;; amdgpu-corpus repo=vllm-project/vllm kind=compiled arch=gfx1100 opt=O3
	.text
	.amdgcn_target "amdgcn-amd-amdhsa--gfx1100"
	.amdhsa_code_object_version 6
	.section	.text._ZN4vllm25paged_attention_v2_kernelIffLi32ELi8ELi128ELNS_18Fp8KVCacheDataTypeE0ELb1ELi512EEEvPfS2_PT_PKS3_PKT0_S9_ifPKiSB_iPKfiiiSD_SD_iiiii,"axG",@progbits,_ZN4vllm25paged_attention_v2_kernelIffLi32ELi8ELi128ELNS_18Fp8KVCacheDataTypeE0ELb1ELi512EEEvPfS2_PT_PKS3_PKT0_S9_ifPKiSB_iPKfiiiSD_SD_iiiii,comdat
	.protected	_ZN4vllm25paged_attention_v2_kernelIffLi32ELi8ELi128ELNS_18Fp8KVCacheDataTypeE0ELb1ELi512EEEvPfS2_PT_PKS3_PKT0_S9_ifPKiSB_iPKfiiiSD_SD_iiiii ; -- Begin function _ZN4vllm25paged_attention_v2_kernelIffLi32ELi8ELi128ELNS_18Fp8KVCacheDataTypeE0ELb1ELi512EEEvPfS2_PT_PKS3_PKT0_S9_ifPKiSB_iPKfiiiSD_SD_iiiii
	.globl	_ZN4vllm25paged_attention_v2_kernelIffLi32ELi8ELi128ELNS_18Fp8KVCacheDataTypeE0ELb1ELi512EEEvPfS2_PT_PKS3_PKT0_S9_ifPKiSB_iPKfiiiSD_SD_iiiii
	.p2align	8
	.type	_ZN4vllm25paged_attention_v2_kernelIffLi32ELi8ELi128ELNS_18Fp8KVCacheDataTypeE0ELb1ELi512EEEvPfS2_PT_PKS3_PKT0_S9_ifPKiSB_iPKfiiiSD_SD_iiiii,@function
_ZN4vllm25paged_attention_v2_kernelIffLi32ELi8ELi128ELNS_18Fp8KVCacheDataTypeE0ELb1ELi512EEEvPfS2_PT_PKS3_PKT0_S9_ifPKiSB_iPKfiiiSD_SD_iiiii: ; @_ZN4vllm25paged_attention_v2_kernelIffLi32ELi8ELi128ELNS_18Fp8KVCacheDataTypeE0ELb1ELi512EEEvPfS2_PT_PKS3_PKT0_S9_ifPKiSB_iPKfiiiSD_SD_iiiii
; %bb.0:
	s_load_b64 s[2:3], s[0:1], 0x40
	s_mov_b32 s12, s15
	s_ashr_i32 s15, s14, 31
	s_delay_alu instid0(SALU_CYCLE_1)
	s_lshl_b64 s[4:5], s[14:15], 2
	s_waitcnt lgkmcnt(0)
	s_add_u32 s2, s2, s4
	s_addc_u32 s3, s3, s5
	s_lshl_b32 s15, s12, 9
	s_load_b32 s33, s[2:3], 0x0
	s_waitcnt lgkmcnt(0)
	s_cmp_ge_i32 s15, s33
	s_cbranch_scc1 .LBB0_64
; %bb.1:
	s_mov_b32 s24, s13
	s_clause 0x1
	s_load_b32 s13, s[0:1], 0x90
	s_load_b64 s[34:35], s[0:1], 0x30
	s_mov_b32 s39, 0
	s_waitcnt lgkmcnt(0)
	s_abs_i32 s5, s13
	s_abs_i32 s2, s34
	s_delay_alu instid0(SALU_CYCLE_1) | instskip(SKIP_1) | instid1(VALU_DEP_1)
	v_cvt_f32_u32_e32 v1, s2
	s_sub_i32 s4, 0, s2
	v_rcp_iflag_f32_e32 v1, v1
	s_waitcnt_depctr 0xfff
	v_mul_f32_e32 v1, 0x4f7ffffe, v1
	s_delay_alu instid0(VALU_DEP_1) | instskip(NEXT) | instid1(VALU_DEP_1)
	v_cvt_u32_f32_e32 v1, v1
	v_readfirstlane_b32 s3, v1
	s_delay_alu instid0(VALU_DEP_1) | instskip(NEXT) | instid1(SALU_CYCLE_1)
	s_mul_i32 s4, s4, s3
	s_mul_hi_u32 s4, s3, s4
	s_delay_alu instid0(SALU_CYCLE_1) | instskip(SKIP_4) | instid1(SALU_CYCLE_1)
	s_add_i32 s3, s3, s4
	s_xor_b32 s4, s13, s34
	s_mul_hi_u32 s3, s5, s3
	s_ashr_i32 s4, s4, 31
	s_mul_i32 s6, s3, s2
	s_sub_i32 s5, s5, s6
	s_add_i32 s6, s3, 1
	s_sub_i32 s7, s5, s2
	s_cmp_ge_u32 s5, s2
	s_cselect_b32 s3, s6, s3
	s_cselect_b32 s5, s7, s5
	s_add_i32 s6, s3, 1
	s_cmp_ge_u32 s5, s2
	s_cselect_b32 s2, s6, s3
	s_abs_i32 s17, s24
	s_xor_b32 s2, s2, s4
	s_delay_alu instid0(SALU_CYCLE_1) | instskip(SKIP_2) | instid1(SALU_CYCLE_1)
	s_sub_i32 s8, s2, s4
	s_load_b64 s[2:3], s[0:1], 0x50
	s_abs_i32 s16, s8
	v_cvt_f32_u32_e32 v1, s16
	s_sub_i32 s5, 0, s16
	s_delay_alu instid0(VALU_DEP_1) | instskip(SKIP_2) | instid1(VALU_DEP_1)
	v_rcp_iflag_f32_e32 v1, v1
	s_waitcnt_depctr 0xfff
	v_mul_f32_e32 v1, 0x4f7ffffe, v1
	v_cvt_u32_f32_e32 v1, v1
	s_delay_alu instid0(VALU_DEP_1) | instskip(NEXT) | instid1(VALU_DEP_1)
	v_readfirstlane_b32 s4, v1
	s_mul_i32 s5, s5, s4
	s_delay_alu instid0(SALU_CYCLE_1) | instskip(NEXT) | instid1(SALU_CYCLE_1)
	s_mul_hi_u32 s5, s4, s5
	s_add_i32 s4, s4, s5
	s_waitcnt lgkmcnt(0)
	s_cmp_eq_u64 s[2:3], 0
	s_mul_hi_u32 s18, s17, s4
	s_cbranch_scc1 .LBB0_3
; %bb.2:
	s_ashr_i32 s25, s24, 31
	s_delay_alu instid0(SALU_CYCLE_1) | instskip(NEXT) | instid1(SALU_CYCLE_1)
	s_lshl_b64 s[4:5], s[24:25], 2
	s_add_u32 s2, s2, s4
	s_addc_u32 s3, s3, s5
	s_load_b32 s39, s[2:3], 0x0
.LBB0_3:
	s_load_b128 s[4:7], s[0:1], 0x58
	v_and_b32_e32 v1, 3, v0
	v_cmp_gt_u32_e64 s2, 32, v0
	v_lshlrev_b32_e32 v3, 2, v0
	s_ashr_i32 s3, s24, 31
	s_waitcnt lgkmcnt(0)
	s_ashr_i32 s7, s8, 31
	s_lshl_b32 s20, s24, 5
	s_and_saveexec_b32 s8, s2
	s_cbranch_execz .LBB0_5
; %bb.4:
	s_load_b64 s[10:11], s[0:1], 0x18
	s_mul_i32 s22, s14, s4
	v_and_b32_e32 v4, 0x3fc, v0
	s_ashr_i32 s23, s22, 31
	s_delay_alu instid0(SALU_CYCLE_1) | instskip(NEXT) | instid1(VALU_DEP_1)
	s_lshl_b64 s[22:23], s[22:23], 2
	v_lshl_add_u32 v4, v1, 5, v4
	s_waitcnt lgkmcnt(0)
	s_add_u32 s4, s10, s22
	s_addc_u32 s9, s11, s23
	s_ashr_i32 s21, s20, 31
	s_delay_alu instid0(SALU_CYCLE_1) | instskip(NEXT) | instid1(SALU_CYCLE_1)
	s_lshl_b64 s[10:11], s[20:21], 2
	s_add_u32 s10, s4, s10
	s_addc_u32 s11, s9, s11
	global_load_b32 v2, v3, s[10:11]
	s_waitcnt vmcnt(0)
	ds_store_b32 v4, v2
.LBB0_5:
	s_or_b32 exec_lo, exec_lo, s8
	s_load_b128 s[8:11], s[0:1], 0x78
	s_mul_i32 s4, s18, s16
	s_xor_b32 s3, s3, s7
	s_sub_i32 s4, s17, s4
	s_add_i32 s7, s18, 1
	s_sub_i32 s17, s4, s16
	s_cmp_ge_u32 s4, s16
	s_waitcnt lgkmcnt(0)
	s_cselect_b32 s7, s7, s18
	s_cselect_b32 s4, s17, s4
	s_add_i32 s17, s7, 1
	s_cmp_ge_u32 s4, s16
	s_load_b32 s16, s[0:1], 0x88
	s_cselect_b32 s4, s17, s7
	s_add_i32 s17, s33, -1
	s_xor_b32 s4, s4, s3
	s_abs_i32 s7, s17
	s_sub_i32 s4, s4, s3
	s_mov_b32 s18, -1
	s_waitcnt lgkmcnt(0)
	s_barrier
	s_abs_i32 s21, s11
	buffer_gl0_inv
	v_cvt_f32_u32_e32 v2, s21
	s_sub_i32 s3, 0, s21
                                        ; implicit-def: $sgpr36
	s_delay_alu instid0(VALU_DEP_1) | instskip(SKIP_2) | instid1(VALU_DEP_1)
	v_rcp_iflag_f32_e32 v2, v2
	s_waitcnt_depctr 0xfff
	v_mul_f32_e32 v2, 0x4f7ffffe, v2
	v_cvt_u32_f32_e32 v2, v2
	s_delay_alu instid0(VALU_DEP_1) | instskip(NEXT) | instid1(VALU_DEP_1)
	v_readfirstlane_b32 s25, v2
	s_mul_i32 s3, s3, s25
	s_delay_alu instid0(SALU_CYCLE_1) | instskip(NEXT) | instid1(SALU_CYCLE_1)
	s_mul_hi_u32 s3, s25, s3
	s_add_i32 s25, s25, s3
	s_cmp_lt_i32 s16, 0
	s_mul_hi_u32 s3, s7, s25
	s_cbranch_scc0 .LBB0_7
; %bb.6:
	s_mul_i32 s18, s8, s34
	s_delay_alu instid0(SALU_CYCLE_1) | instskip(NEXT) | instid1(SALU_CYCLE_1)
	s_add_i32 s18, s4, s18
	s_mul_i32 s18, s18, s16
	s_delay_alu instid0(SALU_CYCLE_1)
	s_sub_i32 s36, 1, s18
	s_mov_b32 s18, 0
.LBB0_7:
	s_load_b64 s[26:27], s[0:1], 0x38
	s_ashr_i32 s28, s17, 31
	s_and_not1_b32 vcc_lo, exec_lo, s18
	s_ashr_i32 s11, s11, 31
	s_cbranch_vccnz .LBB0_9
; %bb.8:
	s_mul_i32 s8, s13, s8
	s_delay_alu instid0(SALU_CYCLE_1) | instskip(NEXT) | instid1(SALU_CYCLE_1)
	s_add_i32 s8, s8, s24
	s_mul_i32 s8, s8, s16
	s_delay_alu instid0(SALU_CYCLE_1)
	s_add_i32 s36, s8, 1
.LBB0_9:
	s_clause 0x4
	s_load_b32 s29, s[0:1], 0x48
	s_load_b64 s[30:31], s[0:1], 0x28
	s_load_b32 s8, s[0:1], 0x98
	s_load_b128 s[16:19], s[0:1], 0x0
	s_load_b64 s[22:23], s[0:1], 0x10
	s_xor_b32 s38, s28, s11
	s_mul_i32 s28, s3, s21
	s_add_i32 s34, s3, 1
	s_sub_i32 s7, s7, s28
	v_lshrrev_b32_e32 v16, 5, v0
	s_sub_i32 s37, s7, s21
	v_mov_b32_e32 v5, 0xff7fffff
	v_mbcnt_lo_u32_b32 v4, -1, 0
	s_mul_i32 s6, s4, s6
	v_lshl_add_u32 v17, v16, 3, s15
	s_waitcnt lgkmcnt(0)
	s_mul_i32 s28, s14, s29
	s_delay_alu instid0(SALU_CYCLE_1)
	s_ashr_i32 s29, s28, 31
	s_cmp_ge_u32 s7, s21
	s_cselect_b32 s3, s34, s3
	s_cselect_b32 s7, s37, s7
	s_add_i32 s34, s3, 1
	s_cmp_ge_u32 s7, s21
	s_cselect_b32 s3, s34, s3
	s_add_i32 s7, s33, 7
	s_lshl_b32 s40, s12, 6
	s_ashr_i32 s34, s7, 31
	v_or_b32_e32 v13, s40, v16
	s_lshr_b32 s34, s34, 29
	s_delay_alu instid0(SALU_CYCLE_1)
	s_add_i32 s7, s7, s34
	s_add_i32 s34, s40, 64
	s_ashr_i32 s37, s7, 3
	s_xor_b32 s7, s3, s38
	s_min_i32 s34, s34, s37
	v_ashrrev_i32_e32 v14, 31, v13
	v_cmp_gt_i32_e64 s3, s34, v13
	s_sub_i32 s38, s7, s38
	s_delay_alu instid0(VALU_DEP_1)
	s_and_saveexec_b32 s41, s3
	s_cbranch_execz .LBB0_19
; %bb.10:
	s_load_b64 s[0:1], s[0:1], 0x20
	s_ashr_i32 s7, s6, 31
	v_bfe_u32 v6, v0, 2, 3
	s_lshl_b64 s[42:43], s[6:7], 2
	s_sub_i32 s7, s38, s9
	v_cmp_eq_u32_e32 vcc_lo, 0, v1
	v_dual_mov_b32 v9, 0xff7fffff :: v_dual_lshlrev_b32 v18, 2, v1
	v_subrev_nc_u32_e32 v19, s33, v6
	v_lshlrev_b32_e32 v7, 5, v1
	v_lshl_add_u32 v8, v16, 3, s15
	v_xor_b32_e32 v10, 2, v4
	v_xor_b32_e32 v11, 1, v4
	v_lshlrev_b32_e32 v22, 4, v6
	s_waitcnt lgkmcnt(0)
	s_add_u32 s4, s0, s42
	s_addc_u32 s1, s1, s43
	s_abs_i32 s42, s10
	s_lshl_b64 s[44:45], s[28:29], 2
	v_cvt_f32_u32_e32 v2, s42
	s_sub_i32 s43, 0, s42
	v_cmp_neq_f32_e64 s0, s39, 0
	s_delay_alu instid0(VALU_DEP_2)
	v_rcp_iflag_f32_e32 v5, v2
	v_lshlrev_b32_e32 v12, 2, v6
	v_lshlrev_b64 v[1:2], 2, v[13:14]
	s_waitcnt_depctr 0xfff
	v_mul_f32_e32 v15, 0x4f7ffffe, v5
	v_lshl_or_b32 v20, v16, 5, v12
	v_dual_mov_b32 v5, 0xff7fffff :: v_dual_add_nc_u32 v12, 1, v19
	s_delay_alu instid0(VALU_DEP_3) | instskip(NEXT) | instid1(VALU_DEP_3)
	v_cvt_u32_f32_e32 v21, v15
	v_add_nc_u32_e32 v15, 0xa0, v20
	v_add_co_u32 v20, s4, s4, v22
	s_delay_alu instid0(VALU_DEP_1) | instskip(NEXT) | instid1(VALU_DEP_4)
	v_add_co_ci_u32_e64 v22, null, s1, 0, s4
	v_mul_lo_u32 v19, s43, v21
	s_add_u32 s1, s26, s44
	s_addc_u32 s4, s27, s45
	v_add_co_u32 v1, s1, s1, v1
	s_delay_alu instid0(VALU_DEP_1) | instskip(SKIP_1) | instid1(VALU_DEP_4)
	v_add_co_ci_u32_e64 v2, s1, s4, v2, s1
	v_add_co_u32 v18, s1, v20, v18
	v_mul_hi_u32 v23, v21, v19
	v_add_co_ci_u32_e64 v19, s1, 0, v22, s1
	s_mov_b32 s43, 0
	s_mov_b32 s44, s5
	s_delay_alu instid0(VALU_DEP_2)
	v_add_nc_u32_e32 v20, v21, v23
	v_mov_b32_e32 v21, v13
	s_branch .LBB0_13
.LBB0_11:                               ;   in Loop: Header=BB0_13 Depth=1
	s_or_b32 exec_lo, exec_lo, s45
.LBB0_12:                               ;   in Loop: Header=BB0_13 Depth=1
	s_delay_alu instid0(SALU_CYCLE_1) | instskip(SKIP_2) | instid1(VALU_DEP_1)
	s_or_b32 exec_lo, exec_lo, s4
	v_add_nc_u32_e32 v21, 4, v21
	v_add_co_u32 v1, s4, v1, 16
	v_add_co_ci_u32_e64 v2, s4, 0, v2, s4
	s_delay_alu instid0(VALU_DEP_3) | instskip(SKIP_2) | instid1(VALU_DEP_3)
	v_cmp_le_i32_e64 s1, s34, v21
	v_add_nc_u32_e32 v8, 32, v8
	v_add_nc_u32_e32 v15, 0x80, v15
	s_or_b32 s43, s1, s43
	s_delay_alu instid0(SALU_CYCLE_1)
	s_and_not1_b32 exec_lo, exec_lo, s43
	s_cbranch_execz .LBB0_18
.LBB0_13:                               ; =>This Inner Loop Header: Depth=1
	v_sub_nc_u32_e32 v22, 0, v8
	s_delay_alu instid0(VALU_DEP_1) | instskip(SKIP_1) | instid1(VALU_DEP_1)
	v_max_i32_e32 v22, v8, v22
	s_waitcnt lgkmcnt(0)
	v_mul_hi_u32 v23, v22, s25
	s_delay_alu instid0(VALU_DEP_1) | instskip(NEXT) | instid1(VALU_DEP_1)
	v_mul_lo_u32 v24, v23, s21
	v_sub_nc_u32_e32 v22, v22, v24
	v_add_nc_u32_e32 v24, 1, v23
	s_delay_alu instid0(VALU_DEP_2) | instskip(SKIP_1) | instid1(VALU_DEP_1)
	v_subrev_nc_u32_e32 v25, s21, v22
	v_cmp_le_u32_e64 s1, s21, v22
	v_cndmask_b32_e64 v23, v23, v24, s1
	s_delay_alu instid0(VALU_DEP_3) | instskip(SKIP_1) | instid1(VALU_DEP_3)
	v_cndmask_b32_e64 v22, v22, v25, s1
	v_ashrrev_i32_e32 v24, 31, v8
	v_add_nc_u32_e32 v25, 1, v23
	s_delay_alu instid0(VALU_DEP_3) | instskip(NEXT) | instid1(VALU_DEP_3)
	v_cmp_le_u32_e64 s1, s21, v22
	v_xor_b32_e32 v24, s11, v24
	s_delay_alu instid0(VALU_DEP_2) | instskip(NEXT) | instid1(VALU_DEP_1)
	v_cndmask_b32_e64 v22, v23, v25, s1
	v_xor_b32_e32 v22, v22, v24
	s_delay_alu instid0(VALU_DEP_1) | instskip(NEXT) | instid1(VALU_DEP_1)
	v_sub_nc_u32_e32 v22, v22, v24
	v_add_nc_u32_e32 v23, s36, v22
	v_cmp_ge_i32_e64 s4, s7, v22
	s_delay_alu instid0(VALU_DEP_2) | instskip(NEXT) | instid1(VALU_DEP_1)
	v_sub_nc_u32_e32 v24, 0, v23
	v_max_i32_e32 v24, v23, v24
	v_ashrrev_i32_e32 v23, 31, v23
	s_delay_alu instid0(VALU_DEP_2) | instskip(NEXT) | instid1(VALU_DEP_1)
	v_mul_hi_u32 v25, v24, v20
	v_mul_lo_u32 v25, v25, s42
	s_delay_alu instid0(VALU_DEP_1) | instskip(NEXT) | instid1(VALU_DEP_1)
	v_sub_nc_u32_e32 v24, v24, v25
	v_subrev_nc_u32_e32 v25, s42, v24
	v_cmp_le_u32_e64 s1, s42, v24
	s_delay_alu instid0(VALU_DEP_1) | instskip(NEXT) | instid1(VALU_DEP_1)
	v_cndmask_b32_e64 v24, v24, v25, s1
	v_subrev_nc_u32_e32 v25, s42, v24
	v_cmp_le_u32_e64 s1, s42, v24
	s_delay_alu instid0(VALU_DEP_1) | instskip(NEXT) | instid1(VALU_DEP_1)
	v_cndmask_b32_e64 v24, v24, v25, s1
	v_xor_b32_e32 v24, v24, v23
	s_delay_alu instid0(VALU_DEP_1) | instskip(NEXT) | instid1(VALU_DEP_1)
	v_sub_nc_u32_e32 v23, v24, v23
	v_cmp_ne_u32_e64 s1, 0, v23
	s_delay_alu instid0(VALU_DEP_1) | instskip(NEXT) | instid1(SALU_CYCLE_1)
	s_and_b32 s1, s1, s4
	s_and_b32 s45, vcc_lo, s1
	s_delay_alu instid0(SALU_CYCLE_1)
	s_and_saveexec_b32 s4, s45
	s_cbranch_execz .LBB0_15
; %bb.14:                               ;   in Loop: Header=BB0_13 Depth=1
	ds_store_b32 v15, v9
.LBB0_15:                               ;   in Loop: Header=BB0_13 Depth=1
	s_or_b32 exec_lo, exec_lo, s4
	s_xor_b32 s1, s1, -1
	s_delay_alu instid0(SALU_CYCLE_1)
	s_and_saveexec_b32 s4, s1
	s_cbranch_execz .LBB0_12
; %bb.16:                               ;   in Loop: Header=BB0_13 Depth=1
	global_load_b32 v24, v[1:2], off
	s_waitcnt vmcnt(0)
	v_mad_i64_i32 v[22:23], null, v24, s44, 0
	s_delay_alu instid0(VALU_DEP_1) | instskip(NEXT) | instid1(VALU_DEP_1)
	v_lshlrev_b64 v[22:23], 2, v[22:23]
	v_add_co_u32 v22, s1, v18, v22
	s_delay_alu instid0(VALU_DEP_1)
	v_add_co_ci_u32_e64 v23, s1, v19, v23, s1
	v_cmp_gt_i32_e64 s1, 32, v10
	s_clause 0x7
	global_load_b32 v30, v[22:23], off offset:128
	global_load_b32 v31, v[22:23], off
	global_load_b32 v32, v[22:23], off offset:256
	global_load_b32 v33, v[22:23], off offset:384
	;; [unrolled: 1-line block ×6, first 2 shown]
	ds_load_b128 v[22:25], v7
	ds_load_b128 v[26:29], v7 offset:16
	s_waitcnt vmcnt(7) lgkmcnt(1)
	v_mul_f32_e32 v23, v23, v30
	s_waitcnt vmcnt(6)
	s_delay_alu instid0(VALU_DEP_1) | instskip(SKIP_3) | instid1(VALU_DEP_2)
	v_fmac_f32_e32 v23, v22, v31
	v_cndmask_b32_e64 v22, v4, v10, s1
	v_cmp_gt_i32_e64 s1, 32, v11
	s_waitcnt vmcnt(5)
	v_dual_fmac_f32 v23, v24, v32 :: v_dual_lshlrev_b32 v22, 2, v22
	s_delay_alu instid0(VALU_DEP_2) | instskip(SKIP_1) | instid1(VALU_DEP_1)
	v_cndmask_b32_e64 v24, v4, v11, s1
	s_waitcnt vmcnt(4)
	v_dual_fmac_f32 v23, v25, v33 :: v_dual_lshlrev_b32 v24, 2, v24
	s_waitcnt vmcnt(3) lgkmcnt(0)
	s_delay_alu instid0(VALU_DEP_1) | instskip(SKIP_1) | instid1(VALU_DEP_1)
	v_fmac_f32_e32 v23, v26, v34
	s_waitcnt vmcnt(2)
	v_fmac_f32_e32 v23, v27, v35
	s_waitcnt vmcnt(1)
	s_delay_alu instid0(VALU_DEP_1) | instskip(SKIP_1) | instid1(VALU_DEP_1)
	v_fmac_f32_e32 v23, v28, v36
	s_waitcnt vmcnt(0)
	v_fmac_f32_e32 v23, v29, v37
	ds_bpermute_b32 v22, v22, v23
	s_waitcnt lgkmcnt(0)
	v_add_f32_e32 v22, v23, v22
	ds_bpermute_b32 v23, v24, v22
	s_and_saveexec_b32 s45, vcc_lo
	s_cbranch_execz .LBB0_11
; %bb.17:                               ;   in Loop: Header=BB0_13 Depth=1
	s_waitcnt lgkmcnt(0)
	v_add_f32_e32 v22, v22, v23
	v_add_nc_u32_e32 v24, v12, v8
	s_delay_alu instid0(VALU_DEP_1) | instskip(NEXT) | instid1(VALU_DEP_1)
	v_cvt_f32_i32_e32 v24, v24
	v_mul_f32_e32 v24, s39, v24
	s_delay_alu instid0(VALU_DEP_1) | instskip(NEXT) | instid1(VALU_DEP_1)
	v_cndmask_b32_e64 v23, 0, v24, s0
	v_dual_max_f32 v24, v5, v5 :: v_dual_fmac_f32 v23, s35, v22
	v_add_nc_u32_e32 v22, v6, v8
	s_delay_alu instid0(VALU_DEP_2) | instskip(NEXT) | instid1(VALU_DEP_2)
	v_max_f32_e32 v24, v24, v23
	v_cmp_gt_i32_e64 s1, s33, v22
	s_delay_alu instid0(VALU_DEP_1) | instskip(NEXT) | instid1(VALU_DEP_3)
	v_cndmask_b32_e64 v22, 0, v23, s1
	v_cndmask_b32_e64 v5, v5, v24, s1
	ds_store_b32 v15, v22
	s_branch .LBB0_11
.LBB0_18:
	s_or_b32 exec_lo, exec_lo, s43
.LBB0_19:
	s_delay_alu instid0(SALU_CYCLE_1) | instskip(SKIP_3) | instid1(VALU_DEP_3)
	s_or_b32 exec_lo, exec_lo, s41
	v_xor_b32_e32 v1, 16, v4
	v_xor_b32_e32 v6, 8, v4
	v_dual_max_f32 v7, v5, v5 :: v_dual_and_b32 v18, 31, v0
	v_cmp_gt_i32_e32 vcc_lo, 32, v1
	v_cndmask_b32_e32 v1, v4, v1, vcc_lo
	s_delay_alu instid0(VALU_DEP_4) | instskip(NEXT) | instid1(VALU_DEP_2)
	v_cmp_gt_i32_e32 vcc_lo, 32, v6
	v_lshlrev_b32_e32 v2, 2, v1
	ds_bpermute_b32 v1, v2, v5
	v_cndmask_b32_e32 v5, v4, v6, vcc_lo
	s_delay_alu instid0(VALU_DEP_1) | instskip(SKIP_2) | instid1(VALU_DEP_1)
	v_lshlrev_b32_e32 v5, 2, v5
	s_waitcnt lgkmcnt(0)
	v_max_f32_e32 v1, v1, v1
	v_max_f32_e32 v1, v7, v1
	v_xor_b32_e32 v7, 4, v4
	ds_bpermute_b32 v6, v5, v1
	v_cmp_gt_i32_e32 vcc_lo, 32, v7
	v_cndmask_b32_e32 v7, v4, v7, vcc_lo
	v_cmp_eq_u32_e32 vcc_lo, 0, v18
	s_delay_alu instid0(VALU_DEP_2) | instskip(SKIP_2) | instid1(VALU_DEP_1)
	v_lshlrev_b32_e32 v8, 2, v7
	s_waitcnt lgkmcnt(0)
	v_max_f32_e32 v6, v6, v6
	v_dual_max_f32 v1, v1, v6 :: v_dual_lshlrev_b32 v6, 2, v16
	ds_bpermute_b32 v7, v8, v1
	s_and_saveexec_b32 s0, vcc_lo
	s_cbranch_execz .LBB0_21
; %bb.20:
	s_waitcnt lgkmcnt(0)
	v_max_f32_e32 v7, v7, v7
	v_max_f32_e32 v1, v1, v1
	s_delay_alu instid0(VALU_DEP_1)
	v_max_f32_e32 v1, v1, v7
	ds_store_b32 v6, v1 offset:128
.LBB0_21:
	s_or_b32 exec_lo, exec_lo, s0
	v_cmp_gt_u32_e64 s0, 4, v18
	v_mov_b32_e32 v1, 0xff7fffff
	s_waitcnt lgkmcnt(0)
	v_lshlrev_b32_e32 v7, 2, v18
	s_barrier
	buffer_gl0_inv
	s_and_saveexec_b32 s1, s0
	s_cbranch_execz .LBB0_23
; %bb.22:
	ds_load_b32 v1, v7 offset:128
.LBB0_23:
	s_or_b32 exec_lo, exec_lo, s1
	v_xor_b32_e32 v9, 2, v4
	v_xor_b32_e32 v11, 1, v4
	s_delay_alu instid0(VALU_DEP_2) | instskip(NEXT) | instid1(VALU_DEP_1)
	v_cmp_gt_i32_e64 s1, 32, v9
	v_cndmask_b32_e64 v9, v4, v9, s1
	s_delay_alu instid0(VALU_DEP_3) | instskip(NEXT) | instid1(VALU_DEP_2)
	v_cmp_gt_i32_e64 s1, 32, v11
	v_lshlrev_b32_e32 v9, 2, v9
	s_delay_alu instid0(VALU_DEP_2) | instskip(SKIP_1) | instid1(SALU_CYCLE_1)
	v_cndmask_b32_e64 v4, v4, v11, s1
	s_sub_i32 s1, s34, s40
	s_lshl_b32 s1, s1, 3
	s_waitcnt lgkmcnt(0)
	ds_bpermute_b32 v10, v9, v1
	v_max_f32_e32 v1, v1, v1
	v_lshlrev_b32_e32 v19, 2, v4
	s_add_i32 s1, s1, s15
	s_delay_alu instid0(SALU_CYCLE_1) | instskip(NEXT) | instid1(SALU_CYCLE_1)
	s_min_i32 s1, s1, s33
	s_sub_i32 s7, s1, s15
	s_delay_alu instid0(SALU_CYCLE_1) | instskip(SKIP_2) | instid1(VALU_DEP_1)
	v_cmp_gt_i32_e64 s1, s7, v0
	s_waitcnt lgkmcnt(0)
	v_max_f32_e32 v10, v10, v10
	v_dual_max_f32 v1, v1, v10 :: v_dual_mov_b32 v10, 0
	ds_bpermute_b32 v4, v19, v1
	s_waitcnt lgkmcnt(0)
	v_max_f32_e32 v4, v4, v4
	s_delay_alu instid0(VALU_DEP_1)
	v_max_f32_e32 v1, v1, v4
	v_lshl_add_u32 v4, v0, 2, 0xa0
	ds_bpermute_b32 v1, v10, v1
	s_and_saveexec_b32 s15, s1
	s_cbranch_execz .LBB0_27
; %bb.24:
	v_lshl_add_u32 v11, v0, 2, 0xa0
	v_mov_b32_e32 v10, 0
	v_mov_b32_e32 v12, v0
	s_mov_b32 s35, 0
	.p2align	6
.LBB0_25:                               ; =>This Inner Loop Header: Depth=1
	ds_load_b32 v15, v11
	v_add_nc_u32_e32 v12, 0x80, v12
	s_delay_alu instid0(VALU_DEP_1) | instskip(NEXT) | instid1(VALU_DEP_1)
	v_cmp_le_i32_e64 s4, s7, v12
	s_or_b32 s35, s4, s35
	s_waitcnt lgkmcnt(0)
	v_sub_f32_e32 v15, v15, v1
	s_delay_alu instid0(VALU_DEP_1) | instskip(NEXT) | instid1(VALU_DEP_1)
	v_mul_f32_e32 v15, 0x3fb8aa3b, v15
	v_exp_f32_e32 v15, v15
	ds_store_b32 v11, v15
	v_add_f32_e32 v10, v10, v15
	v_add_nc_u32_e32 v11, 0x200, v11
	s_and_not1_b32 exec_lo, exec_lo, s35
	s_cbranch_execnz .LBB0_25
; %bb.26:
	s_or_b32 exec_lo, exec_lo, s35
.LBB0_27:
	s_delay_alu instid0(SALU_CYCLE_1)
	s_or_b32 exec_lo, exec_lo, s15
	ds_bpermute_b32 v2, v2, v10
	s_waitcnt lgkmcnt(0)
	v_add_f32_e32 v2, v10, v2
	ds_bpermute_b32 v5, v5, v2
	s_waitcnt lgkmcnt(0)
	v_add_f32_e32 v2, v2, v5
	;; [unrolled: 3-line block ×5, first 2 shown]
	s_and_saveexec_b32 s4, vcc_lo
	s_cbranch_execz .LBB0_29
; %bb.28:
	ds_store_b32 v6, v2 offset:144
.LBB0_29:
	s_or_b32 exec_lo, exec_lo, s4
	s_waitcnt lgkmcnt(0)
	s_barrier
	buffer_gl0_inv
	s_and_saveexec_b32 s4, s0
	s_cbranch_execz .LBB0_31
; %bb.30:
	ds_load_b32 v2, v7 offset:144
.LBB0_31:
	s_or_b32 exec_lo, exec_lo, s4
	s_waitcnt lgkmcnt(0)
	ds_bpermute_b32 v5, v9, v2
	s_waitcnt lgkmcnt(0)
	v_add_f32_e32 v2, v2, v5
	ds_bpermute_b32 v5, v19, v2
	s_waitcnt lgkmcnt(0)
	v_dual_add_f32 v2, v2, v5 :: v_dual_mov_b32 v5, 0
	ds_bpermute_b32 v2, v5, v2
	s_and_saveexec_b32 s0, s1
	s_cbranch_execz .LBB0_34
; %bb.32:
	s_waitcnt lgkmcnt(0)
	v_add_f32_e32 v5, 0x358637bd, v2
	s_mov_b32 s1, 0
	s_delay_alu instid0(VALU_DEP_1) | instskip(SKIP_1) | instid1(VALU_DEP_2)
	v_div_scale_f32 v6, null, v5, v5, 1.0
	v_div_scale_f32 v9, vcc_lo, 1.0, v5, 1.0
	v_rcp_f32_e32 v7, v6
	s_waitcnt_depctr 0xfff
	v_fma_f32 v8, -v6, v7, 1.0
	s_delay_alu instid0(VALU_DEP_1) | instskip(NEXT) | instid1(VALU_DEP_1)
	v_fmac_f32_e32 v7, v8, v7
	v_mul_f32_e32 v8, v9, v7
	s_delay_alu instid0(VALU_DEP_1) | instskip(NEXT) | instid1(VALU_DEP_1)
	v_fma_f32 v10, -v6, v8, v9
	v_fmac_f32_e32 v8, v10, v7
	s_delay_alu instid0(VALU_DEP_1) | instskip(NEXT) | instid1(VALU_DEP_1)
	v_fma_f32 v6, -v6, v8, v9
	v_div_fmas_f32 v6, v6, v7, v8
	s_delay_alu instid0(VALU_DEP_1)
	v_div_fixup_f32 v5, v6, v5, 1.0
	v_mov_b32_e32 v6, v0
.LBB0_33:                               ; =>This Inner Loop Header: Depth=1
	ds_load_b32 v7, v4
	s_waitcnt lgkmcnt(0)
	v_dual_mul_f32 v7, v5, v7 :: v_dual_add_nc_u32 v6, 0x80, v6
	s_delay_alu instid0(VALU_DEP_1) | instskip(SKIP_3) | instid1(SALU_CYCLE_1)
	v_cmp_le_i32_e32 vcc_lo, s7, v6
	ds_store_b32 v4, v7
	v_add_nc_u32_e32 v4, 0x200, v4
	s_or_b32 s1, vcc_lo, s1
	s_and_not1_b32 exec_lo, exec_lo, s1
	s_cbranch_execnz .LBB0_33
.LBB0_34:
	s_or_b32 exec_lo, exec_lo, s0
	s_mul_i32 s0, s8, s14
	s_waitcnt lgkmcnt(0)
	s_mul_i32 s14, s0, s13
	s_mov_b32 s0, exec_lo
	s_barrier
	buffer_gl0_inv
	v_cmpx_eq_u32_e32 0, v0
	s_cbranch_execz .LBB0_36
; %bb.35:
	s_ashr_i32 s15, s14, 31
	s_mul_i32 s42, s8, s24
	s_lshl_b64 s[40:41], s[14:15], 2
	v_mov_b32_e32 v4, 0
	s_add_u32 s1, s18, s40
	s_addc_u32 s4, s19, s41
	s_ashr_i32 s43, s42, 31
	s_delay_alu instid0(SALU_CYCLE_1) | instskip(NEXT) | instid1(SALU_CYCLE_1)
	s_lshl_b64 s[18:19], s[42:43], 2
	s_add_u32 s1, s1, s18
	s_addc_u32 s4, s4, s19
	s_ashr_i32 s13, s12, 31
	s_delay_alu instid0(SALU_CYCLE_1) | instskip(NEXT) | instid1(SALU_CYCLE_1)
	s_lshl_b64 s[42:43], s[12:13], 2
	s_add_u32 s44, s1, s42
	s_addc_u32 s45, s4, s43
	s_add_u32 s1, s16, s40
	s_addc_u32 s4, s17, s41
	;; [unrolled: 2-line block ×4, first 2 shown]
	s_clause 0x1
	global_store_b32 v4, v1, s[44:45]
	global_store_b32 v4, v2, s[16:17]
.LBB0_36:
	s_or_b32 exec_lo, exec_lo, s0
	v_dual_mov_b32 v23, 0 :: v_dual_and_b32 v20, 1, v0
	v_mov_b32_e32 v21, 0
	s_mov_b32 s4, 0
	s_and_saveexec_b32 s1, s3
	s_cbranch_execz .LBB0_46
; %bb.37:
	s_ashr_i32 s7, s6, 31
	s_sub_i32 s3, s38, s9
	s_lshl_b64 s[6:7], s[6:7], 2
	v_dual_mov_b32 v21, 0 :: v_dual_lshlrev_b32 v4, 4, v0
	s_add_u32 s0, s30, s6
	s_addc_u32 s7, s31, s7
	s_abs_i32 s6, s10
	v_lshlrev_b32_e32 v5, 4, v20
	v_cvt_f32_u32_e32 v1, s6
	s_sub_i32 s9, 0, s6
	v_dual_mov_b32 v23, 0 :: v_dual_and_b32 v4, 0x1f0, v4
	s_lshl_b64 s[16:17], s[28:29], 2
	s_delay_alu instid0(VALU_DEP_2) | instskip(SKIP_3) | instid1(VALU_DEP_1)
	v_rcp_iflag_f32_e32 v1, v1
	s_add_i32 s37, s37, -1
	v_lshl_or_b32 v5, v16, 5, v5
	v_add_co_u32 v24, s0, s0, v4
	v_add_co_ci_u32_e64 v25, null, s7, 0, s0
	s_delay_alu instid0(VALU_DEP_3) | instskip(SKIP_2) | instid1(VALU_DEP_1)
	v_add_nc_u32_e32 v26, 0xa0, v5
	s_waitcnt_depctr 0xfff
	v_dual_mul_f32 v1, 0x4f7ffffe, v1 :: v_dual_and_b32 v22, 4, v3
	v_cvt_u32_f32_e32 v3, v1
	v_lshlrev_b64 v[1:2], 2, v[13:14]
	s_delay_alu instid0(VALU_DEP_2) | instskip(SKIP_2) | instid1(VALU_DEP_2)
	v_mul_lo_u32 v6, s9, v3
	s_add_u32 s9, s26, s16
	s_addc_u32 s10, s27, s17
	v_add_co_u32 v14, vcc_lo, s9, v1
	s_delay_alu instid0(VALU_DEP_3) | instskip(NEXT) | instid1(VALU_DEP_3)
	v_add_co_ci_u32_e32 v15, vcc_lo, s10, v2, vcc_lo
	v_mul_hi_u32 v6, v3, v6
	s_delay_alu instid0(VALU_DEP_1)
	v_add_nc_u32_e32 v27, v3, v6
	s_branch .LBB0_40
.LBB0_38:                               ;   in Loop: Header=BB0_40 Depth=1
	s_or_b32 exec_lo, exec_lo, s0
	s_waitcnt vmcnt(1) lgkmcnt(0)
	v_mul_f32_e32 v6, v2, v6
	s_waitcnt vmcnt(0)
	v_mul_f32_e32 v2, v2, v10
	s_delay_alu instid0(VALU_DEP_2) | instskip(NEXT) | instid1(VALU_DEP_1)
	v_fmac_f32_e32 v6, v1, v5
	v_fmac_f32_e32 v6, v3, v7
	s_delay_alu instid0(VALU_DEP_1) | instskip(NEXT) | instid1(VALU_DEP_1)
	v_fmac_f32_e32 v6, v4, v8
	v_dual_fmac_f32 v2, v1, v9 :: v_dual_add_f32 v23, v23, v6
	s_delay_alu instid0(VALU_DEP_1) | instskip(NEXT) | instid1(VALU_DEP_1)
	v_fmac_f32_e32 v2, v3, v11
	v_fmac_f32_e32 v2, v4, v12
	s_delay_alu instid0(VALU_DEP_1)
	v_add_f32_e32 v21, v21, v2
.LBB0_39:                               ;   in Loop: Header=BB0_40 Depth=1
	s_or_b32 exec_lo, exec_lo, s7
	v_add_nc_u32_e32 v13, 4, v13
	v_add_co_u32 v14, s0, v14, 16
	s_delay_alu instid0(VALU_DEP_1) | instskip(NEXT) | instid1(VALU_DEP_3)
	v_add_co_ci_u32_e64 v15, s0, 0, v15, s0
	v_cmp_le_i32_e32 vcc_lo, s34, v13
	v_add_nc_u32_e32 v17, 32, v17
	v_add_nc_u32_e32 v26, 0x80, v26
	s_or_b32 s4, vcc_lo, s4
	s_delay_alu instid0(SALU_CYCLE_1)
	s_and_not1_b32 exec_lo, exec_lo, s4
	s_cbranch_execz .LBB0_45
.LBB0_40:                               ; =>This Inner Loop Header: Depth=1
	v_sub_nc_u32_e32 v1, 0, v17
	s_delay_alu instid0(VALU_DEP_1) | instskip(NEXT) | instid1(VALU_DEP_1)
	v_max_i32_e32 v1, v17, v1
	v_mul_hi_u32 v2, v1, s25
	s_delay_alu instid0(VALU_DEP_1) | instskip(NEXT) | instid1(VALU_DEP_1)
	v_mul_lo_u32 v3, v2, s21
	v_sub_nc_u32_e32 v1, v1, v3
	v_add_nc_u32_e32 v3, 1, v2
	s_delay_alu instid0(VALU_DEP_2) | instskip(SKIP_1) | instid1(VALU_DEP_2)
	v_subrev_nc_u32_e32 v4, s21, v1
	v_cmp_le_u32_e32 vcc_lo, s21, v1
	v_dual_cndmask_b32 v2, v2, v3 :: v_dual_cndmask_b32 v1, v1, v4
	v_ashrrev_i32_e32 v3, 31, v17
	s_delay_alu instid0(VALU_DEP_2) | instskip(NEXT) | instid1(VALU_DEP_3)
	v_add_nc_u32_e32 v4, 1, v2
	v_cmp_le_u32_e32 vcc_lo, s21, v1
	s_delay_alu instid0(VALU_DEP_3) | instskip(NEXT) | instid1(VALU_DEP_3)
	v_xor_b32_e32 v3, s11, v3
	v_cndmask_b32_e32 v1, v2, v4, vcc_lo
	s_delay_alu instid0(VALU_DEP_1) | instskip(NEXT) | instid1(VALU_DEP_1)
	v_xor_b32_e32 v1, v1, v3
	v_sub_nc_u32_e32 v1, v1, v3
	s_delay_alu instid0(VALU_DEP_1) | instskip(SKIP_1) | instid1(VALU_DEP_2)
	v_add_nc_u32_e32 v2, s36, v1
	v_cmp_lt_i32_e64 s0, s3, v1
	v_sub_nc_u32_e32 v3, 0, v2
	s_delay_alu instid0(VALU_DEP_1) | instskip(NEXT) | instid1(VALU_DEP_1)
	v_max_i32_e32 v3, v2, v3
	v_mul_hi_u32 v4, v3, v27
	s_delay_alu instid0(VALU_DEP_1) | instskip(NEXT) | instid1(VALU_DEP_1)
	v_mul_lo_u32 v4, v4, s6
	v_sub_nc_u32_e32 v3, v3, v4
	s_delay_alu instid0(VALU_DEP_1) | instskip(SKIP_1) | instid1(VALU_DEP_2)
	v_subrev_nc_u32_e32 v4, s6, v3
	v_cmp_le_u32_e32 vcc_lo, s6, v3
	v_cndmask_b32_e32 v3, v3, v4, vcc_lo
	v_ashrrev_i32_e32 v2, 31, v2
	s_delay_alu instid0(VALU_DEP_2) | instskip(SKIP_1) | instid1(VALU_DEP_2)
	v_subrev_nc_u32_e32 v4, s6, v3
	v_cmp_le_u32_e32 vcc_lo, s6, v3
	v_cndmask_b32_e32 v3, v3, v4, vcc_lo
	s_delay_alu instid0(VALU_DEP_1) | instskip(NEXT) | instid1(VALU_DEP_1)
	v_xor_b32_e32 v3, v3, v2
	v_sub_nc_u32_e32 v2, v3, v2
	s_delay_alu instid0(VALU_DEP_1) | instskip(SKIP_1) | instid1(SALU_CYCLE_1)
	v_cmp_eq_u32_e32 vcc_lo, 0, v2
	s_or_b32 s0, vcc_lo, s0
	s_and_saveexec_b32 s7, s0
	s_cbranch_execz .LBB0_39
; %bb.41:                               ;   in Loop: Header=BB0_40 Depth=1
	global_load_b32 v3, v[14:15], off
	v_add_nc_u32_e32 v28, v22, v17
	s_delay_alu instid0(VALU_DEP_1) | instskip(SKIP_4) | instid1(VALU_DEP_1)
	v_add_nc_u32_e32 v31, 1, v28
	v_add_nc_u32_e32 v30, 2, v28
	v_add_nc_u32_e32 v29, 3, v28
	s_waitcnt vmcnt(0)
	v_mad_i64_i32 v[1:2], null, v3, s5, 0
	v_lshlrev_b64 v[1:2], 2, v[1:2]
	s_delay_alu instid0(VALU_DEP_1) | instskip(NEXT) | instid1(VALU_DEP_2)
	v_add_co_u32 v9, vcc_lo, v24, v1
	v_add_co_ci_u32_e32 v10, vcc_lo, v25, v2, vcc_lo
	ds_load_b128 v[1:4], v26
	v_cmp_eq_u32_e32 vcc_lo, s37, v13
	global_load_b128 v[5:8], v[9:10], off
	s_and_saveexec_b32 s9, vcc_lo
	s_cbranch_execz .LBB0_43
; %bb.42:                               ;   in Loop: Header=BB0_40 Depth=1
	v_cmp_gt_i32_e64 s0, s33, v28
	s_waitcnt vmcnt(0)
	s_delay_alu instid0(VALU_DEP_1) | instskip(SKIP_1) | instid1(VALU_DEP_1)
	v_cndmask_b32_e64 v5, 0, v5, s0
	v_cmp_gt_i32_e64 s0, s33, v31
	v_cndmask_b32_e64 v6, 0, v6, s0
	v_cmp_gt_i32_e64 s0, s33, v30
	s_delay_alu instid0(VALU_DEP_1) | instskip(SKIP_1) | instid1(VALU_DEP_1)
	v_cndmask_b32_e64 v7, 0, v7, s0
	v_cmp_gt_i32_e64 s0, s33, v29
	v_cndmask_b32_e64 v8, 0, v8, s0
.LBB0_43:                               ;   in Loop: Header=BB0_40 Depth=1
	s_or_b32 exec_lo, exec_lo, s9
	global_load_b128 v[9:12], v[9:10], off offset:512
	s_and_saveexec_b32 s0, vcc_lo
	s_cbranch_execz .LBB0_38
; %bb.44:                               ;   in Loop: Header=BB0_40 Depth=1
	v_cmp_gt_i32_e32 vcc_lo, s33, v28
	s_waitcnt vmcnt(0)
	v_cndmask_b32_e32 v9, 0, v9, vcc_lo
	v_cmp_gt_i32_e32 vcc_lo, s33, v31
	v_cndmask_b32_e32 v10, 0, v10, vcc_lo
	v_cmp_gt_i32_e32 vcc_lo, s33, v30
	;; [unrolled: 2-line block ×3, first 2 shown]
	v_cndmask_b32_e32 v12, 0, v12, vcc_lo
	s_branch .LBB0_38
.LBB0_45:
	s_or_b32 exec_lo, exec_lo, s4
.LBB0_46:
	s_delay_alu instid0(SALU_CYCLE_1)
	s_or_b32 exec_lo, exec_lo, s1
	ds_bpermute_b32 v1, v19, v23
	ds_bpermute_b32 v2, v19, v21
	v_and_b32_e32 v4, 0x3c1, v0
	v_lshrrev_b32_e32 v3, 1, v18
	s_mov_b32 s0, exec_lo
	s_waitcnt lgkmcnt(0)
	s_waitcnt_vscnt null, 0x0
	s_barrier
	buffer_gl0_inv
	v_dual_add_f32 v1, v23, v1 :: v_dual_add_f32 v2, v21, v2
	v_cmpx_eq_u32_e32 64, v4
	s_cbranch_execz .LBB0_48
; %bb.47:
	v_lshl_add_u32 v4, v16, 7, 0xa0
	v_lshlrev_b32_e32 v5, 2, v3
	s_delay_alu instid0(VALU_DEP_1)
	v_add3_u32 v4, v4, v5, 0xffffff00
	ds_store_2addr_b32 v4, v1, v2 offset1:16
.LBB0_48:
	s_or_b32 exec_lo, exec_lo, s0
	v_and_b32_e32 v4, 0x3e0, v0
	v_cmp_eq_u32_e32 vcc_lo, 0, v20
	s_mov_b32 s1, exec_lo
	s_waitcnt lgkmcnt(0)
	s_barrier
	v_lshl_add_u32 v4, v4, 2, 0xa0
	buffer_gl0_inv
	v_cmpx_gt_u32_e32 64, v0
	s_cbranch_execz .LBB0_54
; %bb.49:
	s_and_saveexec_b32 s0, vcc_lo
	s_cbranch_execz .LBB0_51
; %bb.50:
	v_lshl_add_u32 v5, v3, 2, v4
	ds_load_b32 v5, v5
	s_waitcnt lgkmcnt(0)
	v_add_f32_e32 v1, v1, v5
.LBB0_51:
	s_or_b32 exec_lo, exec_lo, s0
	s_and_saveexec_b32 s0, vcc_lo
	s_cbranch_execz .LBB0_53
; %bb.52:
	v_lshl_add_u32 v5, v3, 2, v4
	ds_load_b32 v5, v5 offset:64
	s_waitcnt lgkmcnt(0)
	v_add_f32_e32 v2, v2, v5
.LBB0_53:
	s_or_b32 exec_lo, exec_lo, s0
.LBB0_54:
	s_delay_alu instid0(SALU_CYCLE_1)
	s_or_b32 exec_lo, exec_lo, s1
	v_and_b32_e32 v5, 0x3e1, v0
	s_mov_b32 s1, exec_lo
	s_barrier
	buffer_gl0_inv
	v_cmpx_eq_u32_e32 32, v5
	s_cbranch_execz .LBB0_56
; %bb.55:
	v_lshl_add_u32 v6, v3, 2, 0xa0
	ds_store_2addr_b32 v6, v1, v2 offset1:16
.LBB0_56:
	s_or_b32 exec_lo, exec_lo, s1
	s_waitcnt lgkmcnt(0)
	s_barrier
	buffer_gl0_inv
	s_and_saveexec_b32 s0, s2
	s_cbranch_execz .LBB0_62
; %bb.57:
	v_lshl_add_u32 v3, v3, 2, v4
	s_and_saveexec_b32 s1, vcc_lo
	s_cbranch_execz .LBB0_59
; %bb.58:
	ds_load_b32 v4, v3
	s_waitcnt lgkmcnt(0)
	v_add_f32_e32 v1, v1, v4
.LBB0_59:
	s_or_b32 exec_lo, exec_lo, s1
	s_and_saveexec_b32 s1, vcc_lo
	s_cbranch_execz .LBB0_61
; %bb.60:
	ds_load_b32 v3, v3 offset:64
	s_waitcnt lgkmcnt(0)
	v_add_f32_e32 v2, v2, v3
.LBB0_61:
	s_or_b32 exec_lo, exec_lo, s1
.LBB0_62:
	s_delay_alu instid0(SALU_CYCLE_1)
	s_or_b32 exec_lo, exec_lo, s0
	s_barrier
	buffer_gl0_inv
	s_mov_b32 s0, exec_lo
	v_cmpx_eq_u32_e32 0, v5
	s_cbranch_execz .LBB0_64
; %bb.63:
	s_lshl_b32 s0, s14, 5
	s_mul_i32 s2, s8, s20
	s_ashr_i32 s1, s0, 31
	v_lshlrev_b32_e32 v0, 1, v0
	s_lshl_b64 s[0:1], s[0:1], 2
	s_delay_alu instid0(SALU_CYCLE_1) | instskip(SKIP_2) | instid1(SALU_CYCLE_1)
	s_add_u32 s4, s22, s0
	s_addc_u32 s5, s23, s1
	s_ashr_i32 s3, s2, 31
	s_lshl_b64 s[0:1], s[2:3], 2
	s_delay_alu instid0(SALU_CYCLE_1) | instskip(SKIP_2) | instid1(SALU_CYCLE_1)
	s_add_u32 s2, s4, s0
	s_addc_u32 s3, s5, s1
	s_lshl_b32 s0, s12, 5
	s_ashr_i32 s1, s0, 31
	s_delay_alu instid0(SALU_CYCLE_1) | instskip(NEXT) | instid1(SALU_CYCLE_1)
	s_lshl_b64 s[0:1], s[0:1], 2
	s_add_u32 s0, s2, s0
	s_addc_u32 s1, s3, s1
	s_clause 0x1
	global_store_b32 v0, v1, s[0:1]
	global_store_b32 v0, v2, s[0:1] offset:64
.LBB0_64:
	s_nop 0
	s_sendmsg sendmsg(MSG_DEALLOC_VGPRS)
	s_endpgm
	.section	.rodata,"a",@progbits
	.p2align	6, 0x0
	.amdhsa_kernel _ZN4vllm25paged_attention_v2_kernelIffLi32ELi8ELi128ELNS_18Fp8KVCacheDataTypeE0ELb1ELi512EEEvPfS2_PT_PKS3_PKT0_S9_ifPKiSB_iPKfiiiSD_SD_iiiii
		.amdhsa_group_segment_fixed_size 160
		.amdhsa_private_segment_fixed_size 0
		.amdhsa_kernarg_size 400
		.amdhsa_user_sgpr_count 13
		.amdhsa_user_sgpr_dispatch_ptr 0
		.amdhsa_user_sgpr_queue_ptr 0
		.amdhsa_user_sgpr_kernarg_segment_ptr 1
		.amdhsa_user_sgpr_dispatch_id 0
		.amdhsa_user_sgpr_private_segment_size 0
		.amdhsa_wavefront_size32 1
		.amdhsa_uses_dynamic_stack 0
		.amdhsa_enable_private_segment 0
		.amdhsa_system_sgpr_workgroup_id_x 1
		.amdhsa_system_sgpr_workgroup_id_y 1
		.amdhsa_system_sgpr_workgroup_id_z 1
		.amdhsa_system_sgpr_workgroup_info 0
		.amdhsa_system_vgpr_workitem_id 0
		.amdhsa_next_free_vgpr 38
		.amdhsa_next_free_sgpr 46
		.amdhsa_reserve_vcc 1
		.amdhsa_float_round_mode_32 0
		.amdhsa_float_round_mode_16_64 0
		.amdhsa_float_denorm_mode_32 3
		.amdhsa_float_denorm_mode_16_64 3
		.amdhsa_dx10_clamp 1
		.amdhsa_ieee_mode 1
		.amdhsa_fp16_overflow 0
		.amdhsa_workgroup_processor_mode 1
		.amdhsa_memory_ordered 1
		.amdhsa_forward_progress 0
		.amdhsa_shared_vgpr_count 0
		.amdhsa_exception_fp_ieee_invalid_op 0
		.amdhsa_exception_fp_denorm_src 0
		.amdhsa_exception_fp_ieee_div_zero 0
		.amdhsa_exception_fp_ieee_overflow 0
		.amdhsa_exception_fp_ieee_underflow 0
		.amdhsa_exception_fp_ieee_inexact 0
		.amdhsa_exception_int_div_zero 0
	.end_amdhsa_kernel
	.section	.text._ZN4vllm25paged_attention_v2_kernelIffLi32ELi8ELi128ELNS_18Fp8KVCacheDataTypeE0ELb1ELi512EEEvPfS2_PT_PKS3_PKT0_S9_ifPKiSB_iPKfiiiSD_SD_iiiii,"axG",@progbits,_ZN4vllm25paged_attention_v2_kernelIffLi32ELi8ELi128ELNS_18Fp8KVCacheDataTypeE0ELb1ELi512EEEvPfS2_PT_PKS3_PKT0_S9_ifPKiSB_iPKfiiiSD_SD_iiiii,comdat
.Lfunc_end0:
	.size	_ZN4vllm25paged_attention_v2_kernelIffLi32ELi8ELi128ELNS_18Fp8KVCacheDataTypeE0ELb1ELi512EEEvPfS2_PT_PKS3_PKT0_S9_ifPKiSB_iPKfiiiSD_SD_iiiii, .Lfunc_end0-_ZN4vllm25paged_attention_v2_kernelIffLi32ELi8ELi128ELNS_18Fp8KVCacheDataTypeE0ELb1ELi512EEEvPfS2_PT_PKS3_PKT0_S9_ifPKiSB_iPKfiiiSD_SD_iiiii
                                        ; -- End function
	.section	.AMDGPU.csdata,"",@progbits
; Kernel info:
; codeLenInByte = 4364
; NumSgprs: 48
; NumVgprs: 38
; ScratchSize: 0
; MemoryBound: 0
; FloatMode: 240
; IeeeMode: 1
; LDSByteSize: 160 bytes/workgroup (compile time only)
; SGPRBlocks: 5
; VGPRBlocks: 4
; NumSGPRsForWavesPerEU: 48
; NumVGPRsForWavesPerEU: 38
; Occupancy: 16
; WaveLimiterHint : 1
; COMPUTE_PGM_RSRC2:SCRATCH_EN: 0
; COMPUTE_PGM_RSRC2:USER_SGPR: 13
; COMPUTE_PGM_RSRC2:TRAP_HANDLER: 0
; COMPUTE_PGM_RSRC2:TGID_X_EN: 1
; COMPUTE_PGM_RSRC2:TGID_Y_EN: 1
; COMPUTE_PGM_RSRC2:TGID_Z_EN: 1
; COMPUTE_PGM_RSRC2:TIDIG_COMP_CNT: 0
	.section	.text._ZN4vllm32paged_attention_v2_reduce_kernelIfLi32ELi128ELi512EEEvPT_PKfS4_PKS1_PKii,"axG",@progbits,_ZN4vllm32paged_attention_v2_reduce_kernelIfLi32ELi128ELi512EEEvPT_PKfS4_PKS1_PKii,comdat
	.protected	_ZN4vllm32paged_attention_v2_reduce_kernelIfLi32ELi128ELi512EEEvPT_PKfS4_PKS1_PKii ; -- Begin function _ZN4vllm32paged_attention_v2_reduce_kernelIfLi32ELi128ELi512EEEvPT_PKfS4_PKS1_PKii
	.globl	_ZN4vllm32paged_attention_v2_reduce_kernelIfLi32ELi128ELi512EEEvPT_PKfS4_PKS1_PKii
	.p2align	8
	.type	_ZN4vllm32paged_attention_v2_reduce_kernelIfLi32ELi128ELi512EEEvPT_PKfS4_PKS1_PKii,@function
_ZN4vllm32paged_attention_v2_reduce_kernelIfLi32ELi128ELi512EEEvPT_PKfS4_PKS1_PKii: ; @_ZN4vllm32paged_attention_v2_reduce_kernelIfLi32ELi128ELi512EEEvPT_PKfS4_PKS1_PKii
; %bb.0:
	s_load_b128 s[4:7], s[0:1], 0x18
	s_add_u32 s8, s0, 48
	s_mov_b32 s10, s15
	s_addc_u32 s9, s1, 0
	s_ashr_i32 s11, s15, 31
	s_delay_alu instid0(SALU_CYCLE_1)
	s_lshl_b64 s[2:3], s[10:11], 2
	s_waitcnt lgkmcnt(0)
	s_add_u32 s2, s6, s2
	s_addc_u32 s3, s7, s3
	s_load_b32 s20, s[2:3], 0x0
	s_clause 0x2
	s_load_b64 s[6:7], s[0:1], 0x0
	s_load_b32 s11, s[0:1], 0x28
	s_load_b32 s15, s[0:1], 0x30
	s_waitcnt lgkmcnt(0)
	s_add_i32 s2, s20, -1
	s_delay_alu instid0(SALU_CYCLE_1)
	s_cmpk_gt_u32 s2, 0x1ff
	s_mov_b32 s2, -1
	s_cbranch_scc0 .LBB1_26
; %bb.1:
	s_load_b64 s[2:3], s[0:1], 0x8
	s_add_i32 s12, s20, 0x1ff
	s_mul_i32 s18, s15, s10
	s_ashr_i32 s13, s12, 31
	v_mov_b32_e32 v3, 0xff7fffff
	s_lshr_b32 s13, s13, 23
	s_mul_i32 s16, s14, s11
	s_add_i32 s12, s12, s13
	s_ashr_i32 s17, s16, 31
	s_ashr_i32 s19, s12, 9
	s_mul_i32 s12, s18, s11
	v_cmp_gt_i32_e32 vcc_lo, s19, v0
	s_ashr_i32 s13, s12, 31
	s_and_saveexec_b32 s21, vcc_lo
	s_cbranch_execz .LBB1_5
; %bb.2:
	s_load_b32 s28, s[8:9], 0xc
	s_load_b64 s[22:23], s[0:1], 0x10
	s_lshl_b64 s[24:25], s[12:13], 2
	s_lshl_b64 s[26:27], s[16:17], 2
	v_lshlrev_b32_e32 v1, 2, v0
	v_mov_b32_e32 v3, 0xff7fffff
	s_delay_alu instid0(VALU_DEP_2)
	v_dual_mov_b32 v5, v0 :: v_dual_add_nc_u32 v4, 32, v1
	s_waitcnt lgkmcnt(0)
	s_and_b32 s1, s28, 0xffff
	s_add_u32 s0, s24, s26
	s_addc_u32 s24, s25, s27
	s_add_u32 s0, s22, s0
	s_addc_u32 s22, s23, s24
	v_add_co_u32 v1, s0, s0, v1
	s_delay_alu instid0(VALU_DEP_1)
	v_add_co_ci_u32_e64 v2, null, s22, 0, s0
	s_mov_b32 s22, 0
	s_lshl_b32 s23, s1, 2
	.p2align	6
.LBB1_3:                                ; =>This Inner Loop Header: Depth=1
	global_load_b32 v6, v[1:2], off
	v_add_nc_u32_e32 v5, s1, v5
	v_max_f32_e32 v3, v3, v3
	v_add_co_u32 v1, s0, v1, s23
	s_delay_alu instid0(VALU_DEP_1) | instskip(NEXT) | instid1(VALU_DEP_4)
	v_add_co_ci_u32_e64 v2, s0, 0, v2, s0
	v_cmp_le_i32_e64 s0, s19, v5
	s_delay_alu instid0(VALU_DEP_1)
	s_or_b32 s22, s0, s22
	s_waitcnt vmcnt(0)
	v_max_f32_e32 v7, v6, v6
	ds_store_b32 v4, v6
	v_dual_max_f32 v3, v3, v7 :: v_dual_add_nc_u32 v4, s23, v4
	s_and_not1_b32 exec_lo, exec_lo, s22
	s_cbranch_execnz .LBB1_3
; %bb.4:
	s_or_b32 exec_lo, exec_lo, s22
.LBB1_5:
	s_delay_alu instid0(SALU_CYCLE_1)
	s_or_b32 exec_lo, exec_lo, s21
	v_mbcnt_lo_u32_b32 v1, -1, 0
	s_waitcnt lgkmcnt(0)
	s_barrier
	buffer_gl0_inv
	v_xor_b32_e32 v2, 16, v1
	v_xor_b32_e32 v4, 8, v1
	s_delay_alu instid0(VALU_DEP_2) | instskip(NEXT) | instid1(VALU_DEP_1)
	v_cmp_gt_i32_e64 s0, 32, v2
	v_cndmask_b32_e64 v2, v1, v2, s0
	s_delay_alu instid0(VALU_DEP_3) | instskip(NEXT) | instid1(VALU_DEP_2)
	v_cmp_gt_i32_e64 s0, 32, v4
	v_lshlrev_b32_e32 v5, 2, v2
	s_delay_alu instid0(VALU_DEP_2) | instskip(SKIP_4) | instid1(VALU_DEP_2)
	v_cndmask_b32_e64 v4, v1, v4, s0
	ds_bpermute_b32 v2, v5, v3
	v_lshlrev_b32_e32 v6, 2, v4
	v_xor_b32_e32 v4, 4, v1
	v_max_f32_e32 v3, v3, v3
	v_cmp_gt_i32_e64 s0, 32, v4
	s_delay_alu instid0(VALU_DEP_1) | instskip(NEXT) | instid1(VALU_DEP_1)
	v_cndmask_b32_e64 v4, v1, v4, s0
	v_lshlrev_b32_e32 v7, 2, v4
	v_xor_b32_e32 v4, 2, v1
	s_waitcnt lgkmcnt(0)
	v_max_f32_e32 v2, v2, v2
	s_delay_alu instid0(VALU_DEP_2) | instskip(NEXT) | instid1(VALU_DEP_2)
	v_cmp_gt_i32_e64 s0, 32, v4
	v_max_f32_e32 v2, v3, v2
	s_delay_alu instid0(VALU_DEP_2) | instskip(SKIP_3) | instid1(VALU_DEP_1)
	v_cndmask_b32_e64 v4, v1, v4, s0
	ds_bpermute_b32 v3, v6, v2
	s_waitcnt lgkmcnt(0)
	v_max_f32_e32 v3, v3, v3
	v_max_f32_e32 v2, v2, v3
	ds_bpermute_b32 v3, v7, v2
	s_waitcnt lgkmcnt(0)
	v_dual_max_f32 v8, v3, v3 :: v_dual_lshlrev_b32 v3, 2, v4
	s_delay_alu instid0(VALU_DEP_1) | instskip(SKIP_3) | instid1(VALU_DEP_1)
	v_max_f32_e32 v2, v2, v8
	v_xor_b32_e32 v8, 1, v1
	ds_bpermute_b32 v4, v3, v2
	v_cmp_gt_i32_e64 s0, 32, v8
	v_cndmask_b32_e64 v1, v1, v8, s0
	v_lshrrev_b32_e32 v8, 5, v0
	s_delay_alu instid0(VALU_DEP_1) | instskip(SKIP_2) | instid1(VALU_DEP_1)
	v_lshlrev_b32_e32 v8, 2, v8
	s_waitcnt lgkmcnt(0)
	v_max_f32_e32 v4, v4, v4
	v_max_f32_e32 v2, v2, v4
	v_lshlrev_b32_e32 v4, 2, v1
	v_and_b32_e32 v1, 31, v0
	ds_bpermute_b32 v9, v4, v2
	v_cmp_eq_u32_e64 s0, 0, v1
	s_delay_alu instid0(VALU_DEP_1)
	s_and_saveexec_b32 s1, s0
	s_cbranch_execz .LBB1_7
; %bb.6:
	s_waitcnt lgkmcnt(0)
	v_dual_max_f32 v9, v9, v9 :: v_dual_max_f32 v2, v2, v2
	s_delay_alu instid0(VALU_DEP_1)
	v_max_f32_e32 v2, v2, v9
	ds_store_b32 v8, v2
.LBB1_7:
	s_or_b32 exec_lo, exec_lo, s1
	v_cmp_gt_u32_e64 s1, 4, v1
	s_waitcnt lgkmcnt(0)
	v_dual_mov_b32 v2, 0xff7fffff :: v_dual_lshlrev_b32 v9, 2, v1
	s_barrier
	buffer_gl0_inv
	s_and_saveexec_b32 s21, s1
	s_cbranch_execz .LBB1_9
; %bb.8:
	ds_load_b32 v2, v9
.LBB1_9:
	s_or_b32 exec_lo, exec_lo, s21
	s_waitcnt lgkmcnt(0)
	ds_bpermute_b32 v1, v3, v2
	v_max_f32_e32 v2, v2, v2
	s_lshl_b32 s21, s19, 2
	v_mov_b32_e32 v11, 0
	s_waitcnt lgkmcnt(0)
	v_max_f32_e32 v1, v1, v1
	s_delay_alu instid0(VALU_DEP_1) | instskip(SKIP_3) | instid1(VALU_DEP_1)
	v_max_f32_e32 v1, v2, v1
	ds_bpermute_b32 v2, v4, v1
	s_waitcnt lgkmcnt(0)
	v_max_f32_e32 v2, v2, v2
	v_max_f32_e32 v1, v1, v2
	ds_bpermute_b32 v10, v11, v1
	s_and_saveexec_b32 s22, vcc_lo
	s_cbranch_execz .LBB1_13
; %bb.10:
	s_load_b32 s23, s[8:9], 0xc
	s_lshl_b64 s[24:25], s[12:13], 2
	s_lshl_b64 s[26:27], s[16:17], 2
	v_lshlrev_b32_e32 v1, 2, v0
	v_mov_b32_e32 v11, 0
	s_delay_alu instid0(VALU_DEP_2)
	v_dual_mov_b32 v13, v0 :: v_dual_add_nc_u32 v12, 32, v1
	s_waitcnt lgkmcnt(0)
	s_and_b32 s13, s23, 0xffff
	s_add_u32 s17, s24, s26
	s_addc_u32 s23, s25, s27
	s_add_u32 s2, s2, s17
	s_addc_u32 s3, s3, s23
	v_add_co_u32 v1, s2, s2, v1
	s_delay_alu instid0(VALU_DEP_1)
	v_add_co_ci_u32_e64 v2, null, s3, 0, s2
	s_mov_b32 s3, 0
	s_lshl_b32 s17, s13, 2
	s_set_inst_prefetch_distance 0x1
	.p2align	6
.LBB1_11:                               ; =>This Inner Loop Header: Depth=1
	global_load_b32 v14, v[1:2], off
	ds_load_b32 v15, v12
	v_add_nc_u32_e32 v13, s13, v13
	s_waitcnt lgkmcnt(0)
	v_sub_f32_e32 v15, v15, v10
	s_delay_alu instid0(VALU_DEP_1) | instskip(NEXT) | instid1(VALU_DEP_1)
	v_mul_f32_e32 v16, 0x3fb8aa3b, v15
	v_fma_f32 v17, 0x3fb8aa3b, v15, -v16
	v_rndne_f32_e32 v18, v16
	s_delay_alu instid0(VALU_DEP_1) | instskip(NEXT) | instid1(VALU_DEP_1)
	v_dual_fmac_f32 v17, 0x32a5705f, v15 :: v_dual_sub_f32 v16, v16, v18
	v_add_f32_e32 v16, v16, v17
	v_cvt_i32_f32_e32 v17, v18
	v_cmp_ngt_f32_e32 vcc_lo, 0xc2ce8ed0, v15
	v_cmp_nlt_f32_e64 s2, 0x42b17218, v15
	s_delay_alu instid0(VALU_DEP_4) | instskip(SKIP_3) | instid1(VALU_DEP_2)
	v_exp_f32_e32 v16, v16
	s_waitcnt_depctr 0xfff
	v_ldexp_f32 v16, v16, v17
	v_add_nc_u32_e32 v17, s21, v12
	v_cndmask_b32_e32 v16, 0, v16, vcc_lo
	v_add_co_u32 v1, vcc_lo, v1, s17
	v_add_co_ci_u32_e32 v2, vcc_lo, 0, v2, vcc_lo
	s_delay_alu instid0(VALU_DEP_3)
	v_cndmask_b32_e64 v15, 0x7f800000, v16, s2
	v_cmp_le_i32_e32 vcc_lo, s19, v13
	v_add_nc_u32_e32 v12, s17, v12
	s_or_b32 s3, vcc_lo, s3
	s_waitcnt vmcnt(0)
	v_fmac_f32_e32 v11, v14, v15
	v_mul_f32_e32 v16, v14, v15
	ds_store_b32 v17, v16
	s_and_not1_b32 exec_lo, exec_lo, s3
	s_cbranch_execnz .LBB1_11
; %bb.12:
	s_set_inst_prefetch_distance 0x2
	s_or_b32 exec_lo, exec_lo, s3
.LBB1_13:
	s_delay_alu instid0(SALU_CYCLE_1)
	s_or_b32 exec_lo, exec_lo, s22
	ds_bpermute_b32 v1, v5, v11
	s_waitcnt lgkmcnt(0)
	s_barrier
	buffer_gl0_inv
	v_add_f32_e32 v1, v11, v1
	ds_bpermute_b32 v2, v6, v1
	s_waitcnt lgkmcnt(0)
	v_add_f32_e32 v1, v1, v2
	ds_bpermute_b32 v2, v7, v1
	s_waitcnt lgkmcnt(0)
	v_add_f32_e32 v1, v1, v2
	ds_bpermute_b32 v2, v3, v1
	s_waitcnt lgkmcnt(0)
	v_add_f32_e32 v1, v1, v2
	ds_bpermute_b32 v2, v4, v1
	s_waitcnt lgkmcnt(0)
	v_add_f32_e32 v1, v1, v2
	s_and_saveexec_b32 s2, s0
	s_cbranch_execz .LBB1_15
; %bb.14:
	ds_store_b32 v8, v1 offset:16
.LBB1_15:
	s_or_b32 exec_lo, exec_lo, s2
	s_waitcnt lgkmcnt(0)
	s_barrier
	buffer_gl0_inv
	s_and_saveexec_b32 s0, s1
	s_cbranch_execz .LBB1_17
; %bb.16:
	ds_load_b32 v1, v9 offset:16
.LBB1_17:
	s_or_b32 exec_lo, exec_lo, s0
	s_waitcnt lgkmcnt(0)
	ds_bpermute_b32 v2, v3, v1
	s_mov_b32 s0, exec_lo
	s_waitcnt lgkmcnt(0)
	v_add_f32_e32 v1, v1, v2
	ds_bpermute_b32 v2, v4, v1
	s_waitcnt lgkmcnt(0)
	v_dual_add_f32 v1, v1, v2 :: v_dual_mov_b32 v2, 0
	ds_bpermute_b32 v2, v2, v1
	v_cmpx_gt_u32_e32 32, v0
	s_cbranch_execz .LBB1_25
; %bb.18:
	s_cmp_gt_i32 s20, 0
	s_mov_b32 s1, 0
	s_cbranch_scc1 .LBB1_20
; %bb.19:
	v_mov_b32_e32 v1, 0
	s_branch .LBB1_21
.LBB1_20:
	s_mov_b32 s1, -1
.LBB1_21:
	s_delay_alu instid0(SALU_CYCLE_1) | instskip(SKIP_1) | instid1(VALU_DEP_2)
	v_cndmask_b32_e64 v3, 0, 1, s1
	v_mov_b32_e32 v4, s1
	v_cmp_ne_u32_e32 vcc_lo, 1, v3
	s_cbranch_vccnz .LBB1_24
; %bb.22:
	s_waitcnt lgkmcnt(0)
	v_add_f32_e32 v4, 0x358637bd, v2
	s_lshl_b32 s12, s12, 5
	s_lshl_b32 s16, s16, 5
	s_ashr_i32 s13, s12, 31
	s_ashr_i32 s17, s16, 31
	v_div_scale_f32 v2, null, v4, v4, 1.0
	s_lshl_b64 s[12:13], s[12:13], 2
	s_lshl_b64 s[16:17], s[16:17], 2
	s_max_i32 s1, s19, 1
	s_delay_alu instid0(VALU_DEP_1)
	v_rcp_f32_e32 v3, v2
	s_add_i32 s2, s21, 32
	s_add_u32 s3, s12, s16
	s_addc_u32 s12, s13, s17
	s_add_u32 s3, s4, s3
	s_addc_u32 s12, s5, s12
	s_waitcnt_depctr 0xfff
	v_fma_f32 v1, -v2, v3, 1.0
	s_delay_alu instid0(VALU_DEP_1) | instskip(SKIP_1) | instid1(VALU_DEP_1)
	v_fmac_f32_e32 v3, v1, v3
	v_div_scale_f32 v5, vcc_lo, 1.0, v4, 1.0
	v_dual_mov_b32 v1, 0 :: v_dual_mul_f32 v6, v5, v3
	s_delay_alu instid0(VALU_DEP_1) | instskip(NEXT) | instid1(VALU_DEP_1)
	v_fma_f32 v7, -v2, v6, v5
	v_dual_fmac_f32 v6, v7, v3 :: v_dual_lshlrev_b32 v7, 2, v0
	s_delay_alu instid0(VALU_DEP_1) | instskip(NEXT) | instid1(VALU_DEP_1)
	v_fma_f32 v2, -v2, v6, v5
	v_div_fmas_f32 v5, v2, v3, v6
	s_delay_alu instid0(VALU_DEP_3) | instskip(NEXT) | instid1(VALU_DEP_1)
	v_add_co_u32 v2, s3, s3, v7
	v_add_co_ci_u32_e64 v3, null, s12, 0, s3
	s_delay_alu instid0(VALU_DEP_3)
	v_div_fixup_f32 v5, v5, v4, 1.0
	v_mov_b32_e32 v4, v1
.LBB1_23:                               ; =>This Inner Loop Header: Depth=1
	global_load_b32 v6, v[2:3], off
	v_mov_b32_e32 v7, s2
	v_add_co_u32 v2, vcc_lo, 0x80, v2
	v_add_co_ci_u32_e32 v3, vcc_lo, 0, v3, vcc_lo
	ds_load_b32 v7, v7
	s_add_i32 s1, s1, -1
	s_add_i32 s2, s2, 4
	s_cmp_eq_u32 s1, 0
	s_waitcnt vmcnt(0) lgkmcnt(0)
	v_mul_f32_e32 v6, v6, v7
	s_delay_alu instid0(VALU_DEP_1)
	v_fmac_f32_e32 v4, v5, v6
	s_cbranch_scc0 .LBB1_23
.LBB1_24:
	s_lshl_b32 s2, s18, 5
	s_waitcnt lgkmcnt(0)
	v_lshlrev_b64 v[1:2], 2, v[0:1]
	s_ashr_i32 s3, s2, 31
	s_delay_alu instid0(SALU_CYCLE_1) | instskip(NEXT) | instid1(SALU_CYCLE_1)
	s_lshl_b64 s[2:3], s[2:3], 2
	s_add_u32 s1, s6, s2
	s_addc_u32 s12, s7, s3
	s_lshl_b32 s2, s14, 5
	s_delay_alu instid0(SALU_CYCLE_1) | instskip(NEXT) | instid1(SALU_CYCLE_1)
	s_ashr_i32 s3, s2, 31
	s_lshl_b64 s[2:3], s[2:3], 2
	s_delay_alu instid0(SALU_CYCLE_1)
	s_add_u32 s1, s1, s2
	s_addc_u32 s2, s12, s3
	v_add_co_u32 v1, vcc_lo, s1, v1
	v_add_co_ci_u32_e32 v2, vcc_lo, s2, v2, vcc_lo
	global_store_b32 v[1:2], v4, off
.LBB1_25:
	s_or_b32 exec_lo, exec_lo, s0
	s_mov_b32 s2, 0
.LBB1_26:
	s_delay_alu instid0(SALU_CYCLE_1)
	s_and_b32 vcc_lo, exec_lo, s2
	s_cbranch_vccz .LBB1_30
; %bb.27:
	s_mov_b32 s0, exec_lo
	v_cmpx_gt_u32_e32 32, v0
	s_cbranch_execz .LBB1_30
; %bb.28:
	s_mul_i32 s15, s15, s10
	s_load_b32 s8, s[8:9], 0xc
	s_lshl_b32 s0, s15, 5
	s_waitcnt lgkmcnt(0)
	v_dual_mov_b32 v2, 0 :: v_dual_lshlrev_b32 v1, 2, v0
	s_ashr_i32 s1, s0, 31
	s_delay_alu instid0(SALU_CYCLE_1) | instskip(NEXT) | instid1(SALU_CYCLE_1)
	s_lshl_b64 s[0:1], s[0:1], 2
	s_add_u32 s6, s6, s0
	s_addc_u32 s7, s7, s1
	s_lshl_b32 s0, s14, 5
	s_mul_i32 s14, s14, s11
	s_ashr_i32 s1, s0, 31
	s_delay_alu instid0(SALU_CYCLE_1) | instskip(SKIP_4) | instid1(SALU_CYCLE_1)
	s_lshl_b64 s[2:3], s[0:1], 2
	s_mul_i32 s0, s11, s15
	s_add_u32 s1, s6, s2
	s_addc_u32 s2, s7, s3
	s_lshl_b32 s6, s0, 5
	s_ashr_i32 s7, s6, 31
	s_delay_alu instid0(SALU_CYCLE_1) | instskip(NEXT) | instid1(SALU_CYCLE_1)
	s_lshl_b64 s[6:7], s[6:7], 2
	s_add_u32 s0, s4, s6
	s_addc_u32 s6, s5, s7
	s_lshl_b32 s4, s14, 5
	s_delay_alu instid0(SALU_CYCLE_1) | instskip(NEXT) | instid1(SALU_CYCLE_1)
	s_ashr_i32 s5, s4, 31
	s_lshl_b64 s[4:5], s[4:5], 2
	s_delay_alu instid0(SALU_CYCLE_1)
	s_add_u32 s3, s0, s4
	s_addc_u32 s4, s6, s5
	s_and_b32 s5, s8, 0xffff
	s_mov_b32 s6, 0
	s_lshl_b32 s7, s5, 2
	.p2align	6
.LBB1_29:                               ; =>This Inner Loop Header: Depth=1
	v_add_co_u32 v3, vcc_lo, s3, v1
	v_add_co_ci_u32_e32 v4, vcc_lo, s4, v2, vcc_lo
	v_add_nc_u32_e32 v0, s5, v0
	global_load_b32 v5, v[3:4], off
	v_add_co_u32 v3, vcc_lo, s1, v1
	v_add_co_ci_u32_e32 v4, vcc_lo, s2, v2, vcc_lo
	v_cmp_lt_u32_e32 vcc_lo, 31, v0
	v_add_co_u32 v1, s0, v1, s7
	s_delay_alu instid0(VALU_DEP_1)
	v_add_co_ci_u32_e64 v2, s0, 0, v2, s0
	s_or_b32 s6, vcc_lo, s6
	s_waitcnt vmcnt(0)
	global_store_b32 v[3:4], v5, off
	s_and_not1_b32 exec_lo, exec_lo, s6
	s_cbranch_execnz .LBB1_29
.LBB1_30:
	s_nop 0
	s_sendmsg sendmsg(MSG_DEALLOC_VGPRS)
	s_endpgm
	.section	.rodata,"a",@progbits
	.p2align	6, 0x0
	.amdhsa_kernel _ZN4vllm32paged_attention_v2_reduce_kernelIfLi32ELi128ELi512EEEvPT_PKfS4_PKS1_PKii
		.amdhsa_group_segment_fixed_size 32
		.amdhsa_private_segment_fixed_size 0
		.amdhsa_kernarg_size 304
		.amdhsa_user_sgpr_count 14
		.amdhsa_user_sgpr_dispatch_ptr 0
		.amdhsa_user_sgpr_queue_ptr 0
		.amdhsa_user_sgpr_kernarg_segment_ptr 1
		.amdhsa_user_sgpr_dispatch_id 0
		.amdhsa_user_sgpr_private_segment_size 0
		.amdhsa_wavefront_size32 1
		.amdhsa_uses_dynamic_stack 0
		.amdhsa_enable_private_segment 0
		.amdhsa_system_sgpr_workgroup_id_x 1
		.amdhsa_system_sgpr_workgroup_id_y 1
		.amdhsa_system_sgpr_workgroup_id_z 0
		.amdhsa_system_sgpr_workgroup_info 0
		.amdhsa_system_vgpr_workitem_id 0
		.amdhsa_next_free_vgpr 19
		.amdhsa_next_free_sgpr 29
		.amdhsa_reserve_vcc 1
		.amdhsa_float_round_mode_32 0
		.amdhsa_float_round_mode_16_64 0
		.amdhsa_float_denorm_mode_32 3
		.amdhsa_float_denorm_mode_16_64 3
		.amdhsa_dx10_clamp 1
		.amdhsa_ieee_mode 1
		.amdhsa_fp16_overflow 0
		.amdhsa_workgroup_processor_mode 1
		.amdhsa_memory_ordered 1
		.amdhsa_forward_progress 0
		.amdhsa_shared_vgpr_count 0
		.amdhsa_exception_fp_ieee_invalid_op 0
		.amdhsa_exception_fp_denorm_src 0
		.amdhsa_exception_fp_ieee_div_zero 0
		.amdhsa_exception_fp_ieee_overflow 0
		.amdhsa_exception_fp_ieee_underflow 0
		.amdhsa_exception_fp_ieee_inexact 0
		.amdhsa_exception_int_div_zero 0
	.end_amdhsa_kernel
	.section	.text._ZN4vllm32paged_attention_v2_reduce_kernelIfLi32ELi128ELi512EEEvPT_PKfS4_PKS1_PKii,"axG",@progbits,_ZN4vllm32paged_attention_v2_reduce_kernelIfLi32ELi128ELi512EEEvPT_PKfS4_PKS1_PKii,comdat
.Lfunc_end1:
	.size	_ZN4vllm32paged_attention_v2_reduce_kernelIfLi32ELi128ELi512EEEvPT_PKfS4_PKS1_PKii, .Lfunc_end1-_ZN4vllm32paged_attention_v2_reduce_kernelIfLi32ELi128ELi512EEEvPT_PKfS4_PKS1_PKii
                                        ; -- End function
	.section	.AMDGPU.csdata,"",@progbits
; Kernel info:
; codeLenInByte = 2020
; NumSgprs: 31
; NumVgprs: 19
; ScratchSize: 0
; MemoryBound: 0
; FloatMode: 240
; IeeeMode: 1
; LDSByteSize: 32 bytes/workgroup (compile time only)
; SGPRBlocks: 3
; VGPRBlocks: 2
; NumSGPRsForWavesPerEU: 31
; NumVGPRsForWavesPerEU: 19
; Occupancy: 16
; WaveLimiterHint : 0
; COMPUTE_PGM_RSRC2:SCRATCH_EN: 0
; COMPUTE_PGM_RSRC2:USER_SGPR: 14
; COMPUTE_PGM_RSRC2:TRAP_HANDLER: 0
; COMPUTE_PGM_RSRC2:TGID_X_EN: 1
; COMPUTE_PGM_RSRC2:TGID_Y_EN: 1
; COMPUTE_PGM_RSRC2:TGID_Z_EN: 0
; COMPUTE_PGM_RSRC2:TIDIG_COMP_CNT: 0
	.section	.text._ZN4vllm25paged_attention_v2_kernelIffLi64ELi8ELi128ELNS_18Fp8KVCacheDataTypeE0ELb1ELi512EEEvPfS2_PT_PKS3_PKT0_S9_ifPKiSB_iPKfiiiSD_SD_iiiii,"axG",@progbits,_ZN4vllm25paged_attention_v2_kernelIffLi64ELi8ELi128ELNS_18Fp8KVCacheDataTypeE0ELb1ELi512EEEvPfS2_PT_PKS3_PKT0_S9_ifPKiSB_iPKfiiiSD_SD_iiiii,comdat
	.protected	_ZN4vllm25paged_attention_v2_kernelIffLi64ELi8ELi128ELNS_18Fp8KVCacheDataTypeE0ELb1ELi512EEEvPfS2_PT_PKS3_PKT0_S9_ifPKiSB_iPKfiiiSD_SD_iiiii ; -- Begin function _ZN4vllm25paged_attention_v2_kernelIffLi64ELi8ELi128ELNS_18Fp8KVCacheDataTypeE0ELb1ELi512EEEvPfS2_PT_PKS3_PKT0_S9_ifPKiSB_iPKfiiiSD_SD_iiiii
	.globl	_ZN4vllm25paged_attention_v2_kernelIffLi64ELi8ELi128ELNS_18Fp8KVCacheDataTypeE0ELb1ELi512EEEvPfS2_PT_PKS3_PKT0_S9_ifPKiSB_iPKfiiiSD_SD_iiiii
	.p2align	8
	.type	_ZN4vllm25paged_attention_v2_kernelIffLi64ELi8ELi128ELNS_18Fp8KVCacheDataTypeE0ELb1ELi512EEEvPfS2_PT_PKS3_PKT0_S9_ifPKiSB_iPKfiiiSD_SD_iiiii,@function
_ZN4vllm25paged_attention_v2_kernelIffLi64ELi8ELi128ELNS_18Fp8KVCacheDataTypeE0ELb1ELi512EEEvPfS2_PT_PKS3_PKT0_S9_ifPKiSB_iPKfiiiSD_SD_iiiii: ; @_ZN4vllm25paged_attention_v2_kernelIffLi64ELi8ELi128ELNS_18Fp8KVCacheDataTypeE0ELb1ELi512EEEvPfS2_PT_PKS3_PKT0_S9_ifPKiSB_iPKfiiiSD_SD_iiiii
; %bb.0:
	s_load_b64 s[2:3], s[0:1], 0x40
	s_mov_b32 s22, s15
	s_ashr_i32 s15, s14, 31
	s_delay_alu instid0(SALU_CYCLE_1)
	s_lshl_b64 s[4:5], s[14:15], 2
	s_waitcnt lgkmcnt(0)
	s_add_u32 s2, s2, s4
	s_addc_u32 s3, s3, s5
	s_lshl_b32 s39, s22, 9
	s_load_b32 s15, s[2:3], 0x0
	s_waitcnt lgkmcnt(0)
	s_cmp_ge_i32 s39, s15
	s_cbranch_scc1 .LBB2_70
; %bb.1:
	s_clause 0x1
	s_load_b32 s23, s[0:1], 0x90
	s_load_b64 s[36:37], s[0:1], 0x30
	s_mov_b32 s24, s13
	s_mov_b32 s42, 0
	s_waitcnt lgkmcnt(0)
	s_abs_i32 s5, s23
	s_abs_i32 s2, s36
	s_delay_alu instid0(SALU_CYCLE_1) | instskip(SKIP_1) | instid1(VALU_DEP_1)
	v_cvt_f32_u32_e32 v1, s2
	s_sub_i32 s4, 0, s2
	v_rcp_iflag_f32_e32 v1, v1
	s_waitcnt_depctr 0xfff
	v_mul_f32_e32 v1, 0x4f7ffffe, v1
	s_delay_alu instid0(VALU_DEP_1) | instskip(NEXT) | instid1(VALU_DEP_1)
	v_cvt_u32_f32_e32 v1, v1
	v_readfirstlane_b32 s3, v1
	s_delay_alu instid0(VALU_DEP_1) | instskip(NEXT) | instid1(SALU_CYCLE_1)
	s_mul_i32 s4, s4, s3
	s_mul_hi_u32 s4, s3, s4
	s_delay_alu instid0(SALU_CYCLE_1) | instskip(SKIP_4) | instid1(SALU_CYCLE_1)
	s_add_i32 s3, s3, s4
	s_xor_b32 s4, s23, s36
	s_mul_hi_u32 s3, s5, s3
	s_ashr_i32 s4, s4, 31
	s_mul_i32 s6, s3, s2
	s_sub_i32 s5, s5, s6
	s_add_i32 s6, s3, 1
	s_sub_i32 s7, s5, s2
	s_cmp_ge_u32 s5, s2
	s_cselect_b32 s3, s6, s3
	s_cselect_b32 s5, s7, s5
	s_add_i32 s6, s3, 1
	s_cmp_ge_u32 s5, s2
	s_cselect_b32 s2, s6, s3
	s_abs_i32 s17, s13
	s_xor_b32 s2, s2, s4
	s_delay_alu instid0(SALU_CYCLE_1) | instskip(SKIP_2) | instid1(SALU_CYCLE_1)
	s_sub_i32 s8, s2, s4
	s_load_b64 s[2:3], s[0:1], 0x50
	s_abs_i32 s16, s8
	v_cvt_f32_u32_e32 v1, s16
	s_sub_i32 s5, 0, s16
	s_delay_alu instid0(VALU_DEP_1) | instskip(SKIP_2) | instid1(VALU_DEP_1)
	v_rcp_iflag_f32_e32 v1, v1
	s_waitcnt_depctr 0xfff
	v_mul_f32_e32 v1, 0x4f7ffffe, v1
	v_cvt_u32_f32_e32 v1, v1
	s_delay_alu instid0(VALU_DEP_1) | instskip(NEXT) | instid1(VALU_DEP_1)
	v_readfirstlane_b32 s4, v1
	s_mul_i32 s5, s5, s4
	s_delay_alu instid0(SALU_CYCLE_1) | instskip(NEXT) | instid1(SALU_CYCLE_1)
	s_mul_hi_u32 s5, s4, s5
	s_add_i32 s4, s4, s5
	s_waitcnt lgkmcnt(0)
	s_cmp_eq_u64 s[2:3], 0
	s_mul_hi_u32 s18, s17, s4
	s_cbranch_scc1 .LBB2_3
; %bb.2:
	s_ashr_i32 s25, s24, 31
	s_delay_alu instid0(SALU_CYCLE_1) | instskip(NEXT) | instid1(SALU_CYCLE_1)
	s_lshl_b64 s[4:5], s[24:25], 2
	s_add_u32 s2, s2, s4
	s_addc_u32 s3, s3, s5
	s_load_b32 s42, s[2:3], 0x0
.LBB2_3:
	s_load_b128 s[4:7], s[0:1], 0x58
	v_and_b32_e32 v1, 3, v0
	v_cmp_gt_u32_e64 s2, 64, v0
	v_lshlrev_b32_e32 v5, 2, v0
	s_ashr_i32 s3, s24, 31
	s_waitcnt lgkmcnt(0)
	s_ashr_i32 s7, s8, 31
	s_lshl_b32 s12, s24, 6
	s_and_saveexec_b32 s8, s2
	s_cbranch_execz .LBB2_5
; %bb.4:
	s_load_b64 s[10:11], s[0:1], 0x18
	s_mul_i32 s20, s14, s4
	v_and_b32_e32 v3, 0x3fc, v0
	s_ashr_i32 s21, s20, 31
	s_delay_alu instid0(SALU_CYCLE_1) | instskip(NEXT) | instid1(VALU_DEP_1)
	s_lshl_b64 s[20:21], s[20:21], 2
	v_lshl_add_u32 v3, v1, 6, v3
	s_waitcnt lgkmcnt(0)
	s_add_u32 s4, s10, s20
	s_addc_u32 s9, s11, s21
	s_ashr_i32 s13, s12, 31
	s_delay_alu instid0(SALU_CYCLE_1) | instskip(NEXT) | instid1(SALU_CYCLE_1)
	s_lshl_b64 s[10:11], s[12:13], 2
	s_add_u32 s10, s4, s10
	s_addc_u32 s11, s9, s11
	global_load_b32 v2, v5, s[10:11]
	s_waitcnt vmcnt(0)
	ds_store_b32 v3, v2
.LBB2_5:
	s_or_b32 exec_lo, exec_lo, s8
	s_load_b128 s[8:11], s[0:1], 0x78
	s_mul_i32 s4, s18, s16
	s_xor_b32 s3, s3, s7
	s_sub_i32 s4, s17, s4
	s_add_i32 s7, s18, 1
	s_sub_i32 s13, s4, s16
	s_cmp_ge_u32 s4, s16
	s_waitcnt lgkmcnt(0)
	s_cselect_b32 s7, s7, s18
	s_cselect_b32 s4, s13, s4
	s_add_i32 s13, s7, 1
	s_cmp_ge_u32 s4, s16
	s_load_b32 s16, s[0:1], 0x88
	s_cselect_b32 s4, s13, s7
	s_add_i32 s17, s15, -1
	s_xor_b32 s4, s4, s3
	s_abs_i32 s7, s17
	s_sub_i32 s4, s4, s3
	s_mov_b32 s18, -1
	s_waitcnt lgkmcnt(0)
	s_barrier
	s_abs_i32 s13, s11
	buffer_gl0_inv
	v_cvt_f32_u32_e32 v2, s13
	s_sub_i32 s3, 0, s13
                                        ; implicit-def: $sgpr33
	s_delay_alu instid0(VALU_DEP_1) | instskip(SKIP_2) | instid1(VALU_DEP_1)
	v_rcp_iflag_f32_e32 v2, v2
	s_waitcnt_depctr 0xfff
	v_mul_f32_e32 v2, 0x4f7ffffe, v2
	v_cvt_u32_f32_e32 v2, v2
	s_delay_alu instid0(VALU_DEP_1) | instskip(NEXT) | instid1(VALU_DEP_1)
	v_readfirstlane_b32 s25, v2
	s_mul_i32 s3, s3, s25
	s_delay_alu instid0(SALU_CYCLE_1) | instskip(NEXT) | instid1(SALU_CYCLE_1)
	s_mul_hi_u32 s3, s25, s3
	s_add_i32 s25, s25, s3
	s_cmp_lt_i32 s16, 0
	s_mul_hi_u32 s3, s7, s25
	s_cbranch_scc0 .LBB2_7
; %bb.6:
	s_mul_i32 s18, s8, s36
	s_delay_alu instid0(SALU_CYCLE_1) | instskip(NEXT) | instid1(SALU_CYCLE_1)
	s_add_i32 s18, s4, s18
	s_mul_i32 s18, s18, s16
	s_delay_alu instid0(SALU_CYCLE_1)
	s_sub_i32 s33, 1, s18
	s_mov_b32 s18, 0
.LBB2_7:
	s_load_b64 s[26:27], s[0:1], 0x38
	s_ashr_i32 s28, s17, 31
	s_and_not1_b32 vcc_lo, exec_lo, s18
	s_ashr_i32 s36, s11, 31
	s_cbranch_vccnz .LBB2_9
; %bb.8:
	s_mul_i32 s8, s23, s8
	s_delay_alu instid0(SALU_CYCLE_1) | instskip(NEXT) | instid1(SALU_CYCLE_1)
	s_add_i32 s8, s8, s24
	s_mul_i32 s8, s8, s16
	s_delay_alu instid0(SALU_CYCLE_1)
	s_add_i32 s33, s8, 1
.LBB2_9:
	s_clause 0x4
	s_load_b32 s8, s[0:1], 0x48
	s_load_b64 s[30:31], s[0:1], 0x28
	s_load_b32 s11, s[0:1], 0x98
	s_load_b128 s[16:19], s[0:1], 0x0
	s_load_b64 s[20:21], s[0:1], 0x10
	s_xor_b32 s34, s28, s36
	s_mul_i32 s28, s3, s13
	s_add_i32 s35, s3, 1
	s_sub_i32 s7, s7, s28
	v_lshrrev_b32_e32 v28, 5, v0
	v_mov_b32_e32 v4, 0xff7fffff
	v_mbcnt_lo_u32_b32 v3, -1, 0
	s_delay_alu instid0(VALU_DEP_3)
	v_lshl_add_u32 v29, v28, 3, s39
	s_waitcnt lgkmcnt(0)
	s_mul_i32 s28, s14, s8
	s_sub_i32 s8, s7, s13
	s_ashr_i32 s29, s28, 31
	s_cmp_ge_u32 s7, s13
	s_cselect_b32 s3, s35, s3
	s_cselect_b32 s7, s8, s7
	s_add_i32 s8, s3, 1
	s_cmp_ge_u32 s7, s13
	s_cselect_b32 s3, s8, s3
	s_add_i32 s7, s15, 7
	s_lshl_b32 s8, s22, 6
	s_ashr_i32 s35, s7, 31
	v_or_b32_e32 v25, s8, v28
	s_lshr_b32 s35, s35, 29
	s_delay_alu instid0(SALU_CYCLE_1)
	s_add_i32 s7, s7, s35
	s_add_i32 s35, s8, 64
	s_ashr_i32 s40, s7, 3
	s_xor_b32 s7, s3, s34
	s_min_i32 s38, s35, s40
	v_ashrrev_i32_e32 v26, 31, v25
	v_cmp_gt_i32_e64 s3, s38, v25
	s_sub_i32 s41, s7, s34
	s_mul_i32 s34, s4, s6
	s_delay_alu instid0(VALU_DEP_1)
	s_and_saveexec_b32 s6, s3
	s_cbranch_execz .LBB2_19
; %bb.10:
	s_load_b64 s[0:1], s[0:1], 0x20
	s_ashr_i32 s35, s34, 31
	s_sub_i32 s7, s41, s9
	s_lshl_b64 s[44:45], s[34:35], 2
	v_bfe_u32 v6, v0, 2, 3
	v_cmp_eq_u32_e32 vcc_lo, 0, v1
	v_dual_mov_b32 v9, 0xff7fffff :: v_dual_lshlrev_b32 v14, 2, v1
	v_lshlrev_b32_e32 v7, 6, v1
	s_delay_alu instid0(VALU_DEP_4)
	v_subrev_nc_u32_e32 v15, s15, v6
	v_lshlrev_b32_e32 v18, 4, v6
	v_lshl_add_u32 v8, v28, 3, s39
	v_xor_b32_e32 v10, 2, v3
	v_xor_b32_e32 v11, 1, v3
	s_waitcnt lgkmcnt(0)
	s_add_u32 s4, s0, s44
	s_addc_u32 s1, s1, s45
	s_abs_i32 s35, s10
	s_lshl_b64 s[44:45], s[28:29], 2
	v_cvt_f32_u32_e32 v2, s35
	s_sub_i32 s43, 0, s35
	v_cmp_neq_f32_e64 s0, s42, 0
	s_delay_alu instid0(VALU_DEP_2)
	v_rcp_iflag_f32_e32 v4, v2
	v_lshlrev_b32_e32 v12, 2, v6
	v_lshlrev_b64 v[1:2], 2, v[25:26]
	s_waitcnt_depctr 0xfff
	v_mul_f32_e32 v13, 0x4f7ffffe, v4
	v_lshl_or_b32 v16, v28, 5, v12
	v_add_nc_u32_e32 v12, 1, v15
	v_mov_b32_e32 v4, 0xff7fffff
	s_delay_alu instid0(VALU_DEP_4) | instskip(NEXT) | instid1(VALU_DEP_4)
	v_cvt_u32_f32_e32 v17, v13
	v_add_nc_u32_e32 v13, 0x120, v16
	v_add_co_u32 v16, s4, s4, v18
	s_delay_alu instid0(VALU_DEP_1) | instskip(NEXT) | instid1(VALU_DEP_4)
	v_add_co_ci_u32_e64 v18, null, s1, 0, s4
	v_mul_lo_u32 v15, s43, v17
	s_add_u32 s1, s26, s44
	s_addc_u32 s4, s27, s45
	v_add_co_u32 v1, s1, s1, v1
	s_delay_alu instid0(VALU_DEP_1) | instskip(SKIP_1) | instid1(VALU_DEP_4)
	v_add_co_ci_u32_e64 v2, s1, s4, v2, s1
	v_add_co_u32 v14, s1, v16, v14
	v_mul_hi_u32 v19, v17, v15
	v_add_co_ci_u32_e64 v15, s1, 0, v18, s1
	s_mov_b32 s43, 0
	s_mov_b32 s44, s5
	s_delay_alu instid0(VALU_DEP_2)
	v_add_nc_u32_e32 v16, v17, v19
	v_mov_b32_e32 v17, v25
	s_branch .LBB2_13
.LBB2_11:                               ;   in Loop: Header=BB2_13 Depth=1
	s_or_b32 exec_lo, exec_lo, s45
.LBB2_12:                               ;   in Loop: Header=BB2_13 Depth=1
	s_delay_alu instid0(SALU_CYCLE_1) | instskip(SKIP_2) | instid1(VALU_DEP_1)
	s_or_b32 exec_lo, exec_lo, s4
	v_add_nc_u32_e32 v17, 4, v17
	v_add_co_u32 v1, s4, v1, 16
	v_add_co_ci_u32_e64 v2, s4, 0, v2, s4
	s_delay_alu instid0(VALU_DEP_3) | instskip(SKIP_2) | instid1(VALU_DEP_3)
	v_cmp_le_i32_e64 s1, s38, v17
	v_add_nc_u32_e32 v8, 32, v8
	v_add_nc_u32_e32 v13, 0x80, v13
	s_or_b32 s43, s1, s43
	s_delay_alu instid0(SALU_CYCLE_1)
	s_and_not1_b32 exec_lo, exec_lo, s43
	s_cbranch_execz .LBB2_18
.LBB2_13:                               ; =>This Inner Loop Header: Depth=1
	v_sub_nc_u32_e32 v18, 0, v8
	s_delay_alu instid0(VALU_DEP_1) | instskip(SKIP_1) | instid1(VALU_DEP_1)
	v_max_i32_e32 v18, v8, v18
	s_waitcnt lgkmcnt(0)
	v_mul_hi_u32 v19, v18, s25
	s_delay_alu instid0(VALU_DEP_1) | instskip(NEXT) | instid1(VALU_DEP_1)
	v_mul_lo_u32 v20, v19, s13
	v_sub_nc_u32_e32 v18, v18, v20
	v_add_nc_u32_e32 v20, 1, v19
	s_delay_alu instid0(VALU_DEP_2) | instskip(SKIP_1) | instid1(VALU_DEP_1)
	v_subrev_nc_u32_e32 v21, s13, v18
	v_cmp_le_u32_e64 s1, s13, v18
	v_cndmask_b32_e64 v19, v19, v20, s1
	s_delay_alu instid0(VALU_DEP_3) | instskip(SKIP_1) | instid1(VALU_DEP_3)
	v_cndmask_b32_e64 v18, v18, v21, s1
	v_ashrrev_i32_e32 v20, 31, v8
	v_add_nc_u32_e32 v21, 1, v19
	s_delay_alu instid0(VALU_DEP_3) | instskip(NEXT) | instid1(VALU_DEP_3)
	v_cmp_le_u32_e64 s1, s13, v18
	v_xor_b32_e32 v20, s36, v20
	s_delay_alu instid0(VALU_DEP_2) | instskip(NEXT) | instid1(VALU_DEP_1)
	v_cndmask_b32_e64 v18, v19, v21, s1
	v_xor_b32_e32 v18, v18, v20
	s_delay_alu instid0(VALU_DEP_1) | instskip(NEXT) | instid1(VALU_DEP_1)
	v_sub_nc_u32_e32 v18, v18, v20
	v_add_nc_u32_e32 v19, s33, v18
	v_cmp_ge_i32_e64 s4, s7, v18
	s_delay_alu instid0(VALU_DEP_2) | instskip(NEXT) | instid1(VALU_DEP_1)
	v_sub_nc_u32_e32 v20, 0, v19
	v_max_i32_e32 v20, v19, v20
	v_ashrrev_i32_e32 v19, 31, v19
	s_delay_alu instid0(VALU_DEP_2) | instskip(NEXT) | instid1(VALU_DEP_1)
	v_mul_hi_u32 v21, v20, v16
	v_mul_lo_u32 v21, v21, s35
	s_delay_alu instid0(VALU_DEP_1) | instskip(NEXT) | instid1(VALU_DEP_1)
	v_sub_nc_u32_e32 v20, v20, v21
	v_subrev_nc_u32_e32 v21, s35, v20
	v_cmp_le_u32_e64 s1, s35, v20
	s_delay_alu instid0(VALU_DEP_1) | instskip(NEXT) | instid1(VALU_DEP_1)
	v_cndmask_b32_e64 v20, v20, v21, s1
	v_subrev_nc_u32_e32 v21, s35, v20
	v_cmp_le_u32_e64 s1, s35, v20
	s_delay_alu instid0(VALU_DEP_1) | instskip(NEXT) | instid1(VALU_DEP_1)
	v_cndmask_b32_e64 v20, v20, v21, s1
	v_xor_b32_e32 v20, v20, v19
	s_delay_alu instid0(VALU_DEP_1) | instskip(NEXT) | instid1(VALU_DEP_1)
	v_sub_nc_u32_e32 v19, v20, v19
	v_cmp_ne_u32_e64 s1, 0, v19
	s_delay_alu instid0(VALU_DEP_1) | instskip(NEXT) | instid1(SALU_CYCLE_1)
	s_and_b32 s1, s1, s4
	s_and_b32 s45, vcc_lo, s1
	s_delay_alu instid0(SALU_CYCLE_1)
	s_and_saveexec_b32 s4, s45
	s_cbranch_execz .LBB2_15
; %bb.14:                               ;   in Loop: Header=BB2_13 Depth=1
	ds_store_b32 v13, v9
.LBB2_15:                               ;   in Loop: Header=BB2_13 Depth=1
	s_or_b32 exec_lo, exec_lo, s4
	s_xor_b32 s1, s1, -1
	s_delay_alu instid0(SALU_CYCLE_1)
	s_and_saveexec_b32 s4, s1
	s_cbranch_execz .LBB2_12
; %bb.16:                               ;   in Loop: Header=BB2_13 Depth=1
	global_load_b32 v20, v[1:2], off
	s_waitcnt vmcnt(0)
	v_mad_i64_i32 v[18:19], null, v20, s44, 0
	s_delay_alu instid0(VALU_DEP_1) | instskip(NEXT) | instid1(VALU_DEP_1)
	v_lshlrev_b64 v[18:19], 2, v[18:19]
	v_add_co_u32 v18, s1, v14, v18
	s_delay_alu instid0(VALU_DEP_1)
	v_add_co_ci_u32_e64 v19, s1, v15, v19, s1
	v_cmp_gt_i32_e64 s1, 32, v10
	s_clause 0xf
	global_load_b32 v22, v[18:19], off offset:128
	global_load_b32 v23, v[18:19], off
	global_load_b32 v24, v[18:19], off offset:256
	global_load_b32 v27, v[18:19], off offset:384
	;; [unrolled: 1-line block ×14, first 2 shown]
	ds_load_b128 v[18:21], v7
	ds_load_b128 v[30:33], v7 offset:16
	s_waitcnt vmcnt(15) lgkmcnt(1)
	v_mul_f32_e32 v22, v19, v22
	s_waitcnt vmcnt(14)
	s_delay_alu instid0(VALU_DEP_1) | instskip(SKIP_1) | instid1(VALU_DEP_1)
	v_fmac_f32_e32 v22, v18, v23
	s_waitcnt vmcnt(13)
	v_fmac_f32_e32 v22, v20, v24
	s_waitcnt vmcnt(12)
	s_delay_alu instid0(VALU_DEP_1) | instskip(SKIP_4) | instid1(VALU_DEP_1)
	v_fmac_f32_e32 v22, v21, v27
	ds_load_b128 v[18:21], v7 offset:32
	s_waitcnt vmcnt(11) lgkmcnt(1)
	v_fmac_f32_e32 v22, v30, v34
	s_waitcnt vmcnt(10)
	v_fmac_f32_e32 v22, v31, v35
	s_waitcnt vmcnt(9)
	s_delay_alu instid0(VALU_DEP_1) | instskip(SKIP_1) | instid1(VALU_DEP_1)
	v_fmac_f32_e32 v22, v32, v36
	s_waitcnt vmcnt(8)
	v_fmac_f32_e32 v22, v33, v37
	ds_load_b128 v[30:33], v7 offset:48
	s_waitcnt vmcnt(7) lgkmcnt(1)
	v_fmac_f32_e32 v22, v18, v38
	v_cndmask_b32_e64 v18, v3, v10, s1
	v_cmp_gt_i32_e64 s1, 32, v11
	s_waitcnt vmcnt(6)
	s_delay_alu instid0(VALU_DEP_3) | instskip(NEXT) | instid1(VALU_DEP_3)
	v_fmac_f32_e32 v22, v19, v39
	v_lshlrev_b32_e32 v18, 2, v18
	s_delay_alu instid0(VALU_DEP_3) | instskip(SKIP_1) | instid1(VALU_DEP_1)
	v_cndmask_b32_e64 v19, v3, v11, s1
	s_waitcnt vmcnt(5)
	v_dual_fmac_f32 v22, v20, v40 :: v_dual_lshlrev_b32 v19, 2, v19
	s_waitcnt vmcnt(4)
	s_delay_alu instid0(VALU_DEP_1) | instskip(SKIP_1) | instid1(VALU_DEP_1)
	v_fmac_f32_e32 v22, v21, v41
	s_waitcnt vmcnt(3) lgkmcnt(0)
	v_fmac_f32_e32 v22, v30, v42
	s_waitcnt vmcnt(2)
	s_delay_alu instid0(VALU_DEP_1) | instskip(SKIP_1) | instid1(VALU_DEP_1)
	v_fmac_f32_e32 v22, v31, v43
	s_waitcnt vmcnt(1)
	v_fmac_f32_e32 v22, v32, v44
	s_waitcnt vmcnt(0)
	s_delay_alu instid0(VALU_DEP_1)
	v_fmac_f32_e32 v22, v33, v45
	ds_bpermute_b32 v18, v18, v22
	s_waitcnt lgkmcnt(0)
	v_add_f32_e32 v18, v22, v18
	ds_bpermute_b32 v19, v19, v18
	s_and_saveexec_b32 s45, vcc_lo
	s_cbranch_execz .LBB2_11
; %bb.17:                               ;   in Loop: Header=BB2_13 Depth=1
	s_waitcnt lgkmcnt(0)
	v_add_f32_e32 v18, v18, v19
	v_add_nc_u32_e32 v20, v12, v8
	s_delay_alu instid0(VALU_DEP_1) | instskip(NEXT) | instid1(VALU_DEP_1)
	v_cvt_f32_i32_e32 v20, v20
	v_mul_f32_e32 v20, s42, v20
	s_delay_alu instid0(VALU_DEP_1) | instskip(NEXT) | instid1(VALU_DEP_1)
	v_cndmask_b32_e64 v19, 0, v20, s0
	v_dual_max_f32 v20, v4, v4 :: v_dual_fmac_f32 v19, s37, v18
	v_add_nc_u32_e32 v18, v6, v8
	s_delay_alu instid0(VALU_DEP_2) | instskip(NEXT) | instid1(VALU_DEP_2)
	v_max_f32_e32 v20, v20, v19
	v_cmp_gt_i32_e64 s1, s15, v18
	s_delay_alu instid0(VALU_DEP_1) | instskip(NEXT) | instid1(VALU_DEP_3)
	v_cndmask_b32_e64 v18, 0, v19, s1
	v_cndmask_b32_e64 v4, v4, v20, s1
	ds_store_b32 v13, v18
	s_branch .LBB2_11
.LBB2_18:
	s_or_b32 exec_lo, exec_lo, s43
.LBB2_19:
	s_delay_alu instid0(SALU_CYCLE_1) | instskip(SKIP_4) | instid1(VALU_DEP_4)
	s_or_b32 exec_lo, exec_lo, s6
	v_xor_b32_e32 v1, 16, v3
	v_xor_b32_e32 v6, 8, v3
	v_max_f32_e32 v7, v4, v4
	v_and_b32_e32 v30, 31, v0
	v_cmp_gt_i32_e32 vcc_lo, 32, v1
	v_cndmask_b32_e32 v1, v3, v1, vcc_lo
	v_cmp_gt_i32_e32 vcc_lo, 32, v6
	s_delay_alu instid0(VALU_DEP_2) | instskip(SKIP_3) | instid1(VALU_DEP_1)
	v_lshlrev_b32_e32 v2, 2, v1
	ds_bpermute_b32 v1, v2, v4
	s_waitcnt lgkmcnt(0)
	v_dual_cndmask_b32 v4, v3, v6 :: v_dual_max_f32 v1, v1, v1
	v_dual_max_f32 v1, v7, v1 :: v_dual_lshlrev_b32 v4, 2, v4
	v_xor_b32_e32 v7, 4, v3
	ds_bpermute_b32 v6, v4, v1
	v_cmp_gt_i32_e32 vcc_lo, 32, v7
	v_cndmask_b32_e32 v7, v3, v7, vcc_lo
	v_cmp_eq_u32_e32 vcc_lo, 0, v30
	s_delay_alu instid0(VALU_DEP_2) | instskip(SKIP_2) | instid1(VALU_DEP_1)
	v_lshlrev_b32_e32 v8, 2, v7
	s_waitcnt lgkmcnt(0)
	v_max_f32_e32 v6, v6, v6
	v_dual_max_f32 v1, v1, v6 :: v_dual_lshlrev_b32 v6, 2, v28
	ds_bpermute_b32 v7, v8, v1
	s_and_saveexec_b32 s0, vcc_lo
	s_cbranch_execz .LBB2_21
; %bb.20:
	s_waitcnt lgkmcnt(0)
	v_max_f32_e32 v7, v7, v7
	v_max_f32_e32 v1, v1, v1
	s_delay_alu instid0(VALU_DEP_1)
	v_max_f32_e32 v1, v1, v7
	ds_store_b32 v6, v1 offset:256
.LBB2_21:
	s_or_b32 exec_lo, exec_lo, s0
	v_cmp_gt_u32_e64 s0, 4, v30
	v_mov_b32_e32 v1, 0xff7fffff
	s_waitcnt lgkmcnt(0)
	v_lshlrev_b32_e32 v7, 2, v30
	s_barrier
	buffer_gl0_inv
	s_and_saveexec_b32 s1, s0
	s_cbranch_execz .LBB2_23
; %bb.22:
	ds_load_b32 v1, v7 offset:256
.LBB2_23:
	s_or_b32 exec_lo, exec_lo, s1
	v_xor_b32_e32 v9, 2, v3
	v_xor_b32_e32 v11, 1, v3
	s_delay_alu instid0(VALU_DEP_2) | instskip(NEXT) | instid1(VALU_DEP_1)
	v_cmp_gt_i32_e64 s1, 32, v9
	v_cndmask_b32_e64 v9, v3, v9, s1
	s_delay_alu instid0(VALU_DEP_3) | instskip(NEXT) | instid1(VALU_DEP_2)
	v_cmp_gt_i32_e64 s1, 32, v11
	v_lshlrev_b32_e32 v9, 2, v9
	s_delay_alu instid0(VALU_DEP_2) | instskip(SKIP_1) | instid1(SALU_CYCLE_1)
	v_cndmask_b32_e64 v3, v3, v11, s1
	s_sub_i32 s1, s38, s8
	s_lshl_b32 s1, s1, 3
	s_waitcnt lgkmcnt(0)
	ds_bpermute_b32 v10, v9, v1
	v_max_f32_e32 v1, v1, v1
	v_lshlrev_b32_e32 v31, 2, v3
	s_add_i32 s1, s1, s39
	s_delay_alu instid0(SALU_CYCLE_1) | instskip(NEXT) | instid1(SALU_CYCLE_1)
	s_min_i32 s1, s1, s15
	s_sub_i32 s6, s1, s39
	s_delay_alu instid0(SALU_CYCLE_1) | instskip(SKIP_2) | instid1(VALU_DEP_1)
	v_cmp_gt_i32_e64 s1, s6, v0
	s_waitcnt lgkmcnt(0)
	v_max_f32_e32 v10, v10, v10
	v_dual_max_f32 v1, v1, v10 :: v_dual_mov_b32 v10, 0
	ds_bpermute_b32 v3, v31, v1
	s_waitcnt lgkmcnt(0)
	v_max_f32_e32 v3, v3, v3
	s_delay_alu instid0(VALU_DEP_1)
	v_max_f32_e32 v1, v1, v3
	v_lshl_add_u32 v3, v0, 2, 0x120
	ds_bpermute_b32 v1, v10, v1
	s_and_saveexec_b32 s7, s1
	s_cbranch_execz .LBB2_27
; %bb.24:
	v_lshl_add_u32 v11, v0, 2, 0x120
	v_mov_b32_e32 v10, 0
	v_mov_b32_e32 v12, v0
	s_mov_b32 s35, 0
	.p2align	6
.LBB2_25:                               ; =>This Inner Loop Header: Depth=1
	ds_load_b32 v13, v11
	v_add_nc_u32_e32 v12, 0x80, v12
	s_delay_alu instid0(VALU_DEP_1) | instskip(NEXT) | instid1(VALU_DEP_1)
	v_cmp_le_i32_e64 s4, s6, v12
	s_or_b32 s35, s4, s35
	s_waitcnt lgkmcnt(0)
	v_sub_f32_e32 v13, v13, v1
	s_delay_alu instid0(VALU_DEP_1) | instskip(NEXT) | instid1(VALU_DEP_1)
	v_mul_f32_e32 v13, 0x3fb8aa3b, v13
	v_exp_f32_e32 v13, v13
	ds_store_b32 v11, v13
	v_dual_add_f32 v10, v10, v13 :: v_dual_add_nc_u32 v11, 0x200, v11
	s_and_not1_b32 exec_lo, exec_lo, s35
	s_cbranch_execnz .LBB2_25
; %bb.26:
	s_or_b32 exec_lo, exec_lo, s35
.LBB2_27:
	s_delay_alu instid0(SALU_CYCLE_1)
	s_or_b32 exec_lo, exec_lo, s7
	ds_bpermute_b32 v2, v2, v10
	s_waitcnt lgkmcnt(0)
	v_add_f32_e32 v2, v10, v2
	ds_bpermute_b32 v4, v4, v2
	s_waitcnt lgkmcnt(0)
	v_add_f32_e32 v2, v2, v4
	;; [unrolled: 3-line block ×5, first 2 shown]
	s_and_saveexec_b32 s4, vcc_lo
	s_cbranch_execz .LBB2_29
; %bb.28:
	ds_store_b32 v6, v2 offset:272
.LBB2_29:
	s_or_b32 exec_lo, exec_lo, s4
	s_waitcnt lgkmcnt(0)
	s_barrier
	buffer_gl0_inv
	s_and_saveexec_b32 s4, s0
	s_cbranch_execz .LBB2_31
; %bb.30:
	ds_load_b32 v2, v7 offset:272
.LBB2_31:
	s_or_b32 exec_lo, exec_lo, s4
	s_waitcnt lgkmcnt(0)
	ds_bpermute_b32 v4, v9, v2
	s_waitcnt lgkmcnt(0)
	v_add_f32_e32 v2, v2, v4
	ds_bpermute_b32 v4, v31, v2
	s_waitcnt lgkmcnt(0)
	v_add_f32_e32 v2, v2, v4
	v_mov_b32_e32 v4, 0
	ds_bpermute_b32 v2, v4, v2
	s_and_saveexec_b32 s0, s1
	s_cbranch_execz .LBB2_34
; %bb.32:
	s_waitcnt lgkmcnt(0)
	v_add_f32_e32 v4, 0x358637bd, v2
	s_mov_b32 s1, 0
	s_delay_alu instid0(VALU_DEP_1) | instskip(NEXT) | instid1(VALU_DEP_1)
	v_div_scale_f32 v6, null, v4, v4, 1.0
	v_rcp_f32_e32 v7, v6
	s_waitcnt_depctr 0xfff
	v_fma_f32 v8, -v6, v7, 1.0
	s_delay_alu instid0(VALU_DEP_1) | instskip(SKIP_1) | instid1(VALU_DEP_1)
	v_fmac_f32_e32 v7, v8, v7
	v_div_scale_f32 v9, vcc_lo, 1.0, v4, 1.0
	v_mul_f32_e32 v8, v9, v7
	s_delay_alu instid0(VALU_DEP_1) | instskip(NEXT) | instid1(VALU_DEP_1)
	v_fma_f32 v10, -v6, v8, v9
	v_fmac_f32_e32 v8, v10, v7
	s_delay_alu instid0(VALU_DEP_1) | instskip(NEXT) | instid1(VALU_DEP_1)
	v_fma_f32 v6, -v6, v8, v9
	v_div_fmas_f32 v6, v6, v7, v8
	s_delay_alu instid0(VALU_DEP_1)
	v_div_fixup_f32 v4, v6, v4, 1.0
	v_mov_b32_e32 v6, v0
.LBB2_33:                               ; =>This Inner Loop Header: Depth=1
	ds_load_b32 v7, v3
	s_waitcnt lgkmcnt(0)
	v_dual_mul_f32 v7, v4, v7 :: v_dual_add_nc_u32 v6, 0x80, v6
	s_delay_alu instid0(VALU_DEP_1) | instskip(SKIP_3) | instid1(SALU_CYCLE_1)
	v_cmp_le_i32_e32 vcc_lo, s6, v6
	ds_store_b32 v3, v7
	v_add_nc_u32_e32 v3, 0x200, v3
	s_or_b32 s1, vcc_lo, s1
	s_and_not1_b32 exec_lo, exec_lo, s1
	s_cbranch_execnz .LBB2_33
.LBB2_34:
	s_or_b32 exec_lo, exec_lo, s0
	s_mul_i32 s0, s11, s14
	s_waitcnt lgkmcnt(0)
	s_mul_i32 s6, s0, s23
	s_mov_b32 s0, exec_lo
	s_barrier
	buffer_gl0_inv
	v_cmpx_eq_u32_e32 0, v0
	s_cbranch_execz .LBB2_36
; %bb.35:
	s_ashr_i32 s7, s6, 31
	s_mul_i32 s44, s11, s24
	s_lshl_b64 s[42:43], s[6:7], 2
	v_mov_b32_e32 v3, 0
	s_add_u32 s1, s18, s42
	s_addc_u32 s4, s19, s43
	s_ashr_i32 s45, s44, 31
	s_delay_alu instid0(SALU_CYCLE_1) | instskip(NEXT) | instid1(SALU_CYCLE_1)
	s_lshl_b64 s[18:19], s[44:45], 2
	s_add_u32 s1, s1, s18
	s_addc_u32 s4, s4, s19
	s_ashr_i32 s23, s22, 31
	s_delay_alu instid0(SALU_CYCLE_1) | instskip(NEXT) | instid1(SALU_CYCLE_1)
	s_lshl_b64 s[22:23], s[22:23], 2
	s_add_u32 s44, s1, s22
	s_addc_u32 s45, s4, s23
	s_add_u32 s1, s16, s42
	s_addc_u32 s4, s17, s43
	s_add_u32 s1, s1, s18
	s_addc_u32 s4, s4, s19
	s_add_u32 s16, s1, s22
	s_addc_u32 s17, s4, s23
	s_clause 0x1
	global_store_b32 v3, v1, s[44:45]
	global_store_b32 v3, v2, s[16:17]
.LBB2_36:
	s_or_b32 exec_lo, exec_lo, s0
	v_dual_mov_b32 v4, 0 :: v_dual_mov_b32 v3, 0
	v_dual_mov_b32 v1, 0 :: v_dual_and_b32 v32, 1, v0
	v_mov_b32_e32 v2, 0
	s_mov_b32 s4, 0
	s_and_saveexec_b32 s1, s3
	s_cbranch_execz .LBB2_50
; %bb.37:
	s_ashr_i32 s35, s34, 31
	s_sub_i32 s3, s41, s9
	s_lshl_b64 s[16:17], s[34:35], 2
	v_lshlrev_b32_e32 v4, 4, v0
	s_add_u32 s0, s30, s16
	s_addc_u32 s9, s31, s17
	s_abs_i32 s7, s10
	s_mov_b32 s16, 0
	v_cvt_f32_u32_e32 v1, s7
	s_sub_i32 s10, 0, s7
	s_lshl_b64 s[22:23], s[28:29], 2
	s_mov_b32 s17, s16
	s_mov_b32 s18, s16
	v_rcp_iflag_f32_e32 v1, v1
	s_mov_b32 s19, s16
	s_add_i32 s40, s40, -1
	v_and_b32_e32 v33, 4, v5
	v_lshlrev_b32_e32 v5, 4, v32
	v_and_b32_e32 v4, 0x1f0, v4
	s_waitcnt_depctr 0xfff
	v_mul_f32_e32 v3, 0x4f7ffffe, v1
	v_lshlrev_b64 v[1:2], 2, v[25:26]
	v_add_co_u32 v34, s0, s0, v4
	s_delay_alu instid0(VALU_DEP_1) | instskip(NEXT) | instid1(VALU_DEP_4)
	v_add_co_ci_u32_e64 v35, null, s9, 0, s0
	v_cvt_u32_f32_e32 v3, v3
	s_delay_alu instid0(VALU_DEP_1) | instskip(SKIP_4) | instid1(VALU_DEP_3)
	v_mul_lo_u32 v6, s10, v3
	s_add_u32 s10, s26, s22
	s_addc_u32 s14, s27, s23
	v_add_co_u32 v26, vcc_lo, s10, v1
	v_add_co_ci_u32_e32 v27, vcc_lo, s14, v2, vcc_lo
	v_mul_hi_u32 v6, v3, v6
	s_delay_alu instid0(VALU_DEP_1) | instskip(SKIP_3) | instid1(VALU_DEP_2)
	v_add_nc_u32_e32 v37, v3, v6
	v_dual_mov_b32 v1, s16 :: v_dual_mov_b32 v4, s19
	v_lshl_or_b32 v5, v28, 5, v5
	v_dual_mov_b32 v2, s17 :: v_dual_mov_b32 v3, s18
	v_add_nc_u32_e32 v36, 0x120, v5
	s_branch .LBB2_40
.LBB2_38:                               ;   in Loop: Header=BB2_40 Depth=1
	s_or_b32 exec_lo, exec_lo, s0
	s_waitcnt vmcnt(1) lgkmcnt(0)
	v_mul_f32_e32 v18, v6, v18
	v_mul_f32_e32 v10, v6, v10
	;; [unrolled: 1-line block ×3, first 2 shown]
	s_waitcnt vmcnt(0)
	v_mul_f32_e32 v6, v6, v22
	v_fmac_f32_e32 v18, v5, v17
	s_delay_alu instid0(VALU_DEP_3) | instskip(NEXT) | instid1(VALU_DEP_3)
	v_fmac_f32_e32 v14, v5, v13
	v_fmac_f32_e32 v6, v5, v21
	s_delay_alu instid0(VALU_DEP_3) | instskip(NEXT) | instid1(VALU_DEP_2)
	v_fmac_f32_e32 v18, v7, v19
	v_fmac_f32_e32 v6, v7, v23
	s_delay_alu instid0(VALU_DEP_2) | instskip(SKIP_1) | instid1(VALU_DEP_2)
	v_fmac_f32_e32 v18, v8, v20
	v_fmac_f32_e32 v10, v5, v9
	v_dual_fmac_f32 v6, v8, v24 :: v_dual_add_f32 v3, v3, v18
	s_delay_alu instid0(VALU_DEP_2) | instskip(NEXT) | instid1(VALU_DEP_2)
	v_fmac_f32_e32 v10, v7, v11
	v_add_f32_e32 v4, v4, v6
	s_delay_alu instid0(VALU_DEP_2) | instskip(NEXT) | instid1(VALU_DEP_1)
	v_fmac_f32_e32 v10, v8, v12
	v_dual_fmac_f32 v14, v7, v15 :: v_dual_add_f32 v1, v1, v10
	s_delay_alu instid0(VALU_DEP_1) | instskip(NEXT) | instid1(VALU_DEP_1)
	v_fmac_f32_e32 v14, v8, v16
	v_add_f32_e32 v2, v2, v14
.LBB2_39:                               ;   in Loop: Header=BB2_40 Depth=1
	s_or_b32 exec_lo, exec_lo, s9
	v_add_nc_u32_e32 v25, 4, v25
	v_add_co_u32 v26, s0, v26, 16
	s_delay_alu instid0(VALU_DEP_1) | instskip(NEXT) | instid1(VALU_DEP_3)
	v_add_co_ci_u32_e64 v27, s0, 0, v27, s0
	v_cmp_le_i32_e32 vcc_lo, s38, v25
	v_add_nc_u32_e32 v29, 32, v29
	v_add_nc_u32_e32 v36, 0x80, v36
	s_or_b32 s4, vcc_lo, s4
	s_delay_alu instid0(SALU_CYCLE_1)
	s_and_not1_b32 exec_lo, exec_lo, s4
	s_cbranch_execz .LBB2_49
.LBB2_40:                               ; =>This Inner Loop Header: Depth=1
	v_sub_nc_u32_e32 v5, 0, v29
	s_delay_alu instid0(VALU_DEP_1) | instskip(NEXT) | instid1(VALU_DEP_1)
	v_max_i32_e32 v5, v29, v5
	v_mul_hi_u32 v6, v5, s25
	s_delay_alu instid0(VALU_DEP_1) | instskip(NEXT) | instid1(VALU_DEP_1)
	v_mul_lo_u32 v7, v6, s13
	v_sub_nc_u32_e32 v5, v5, v7
	v_add_nc_u32_e32 v7, 1, v6
	s_delay_alu instid0(VALU_DEP_2) | instskip(SKIP_1) | instid1(VALU_DEP_2)
	v_subrev_nc_u32_e32 v8, s13, v5
	v_cmp_le_u32_e32 vcc_lo, s13, v5
	v_dual_cndmask_b32 v6, v6, v7 :: v_dual_cndmask_b32 v5, v5, v8
	v_ashrrev_i32_e32 v7, 31, v29
	s_delay_alu instid0(VALU_DEP_2) | instskip(NEXT) | instid1(VALU_DEP_3)
	v_add_nc_u32_e32 v8, 1, v6
	v_cmp_le_u32_e32 vcc_lo, s13, v5
	s_delay_alu instid0(VALU_DEP_3) | instskip(NEXT) | instid1(VALU_DEP_3)
	v_xor_b32_e32 v7, s36, v7
	v_cndmask_b32_e32 v5, v6, v8, vcc_lo
	s_delay_alu instid0(VALU_DEP_1) | instskip(NEXT) | instid1(VALU_DEP_1)
	v_xor_b32_e32 v5, v5, v7
	v_sub_nc_u32_e32 v5, v5, v7
	s_delay_alu instid0(VALU_DEP_1) | instskip(SKIP_1) | instid1(VALU_DEP_2)
	v_add_nc_u32_e32 v6, s33, v5
	v_cmp_lt_i32_e64 s0, s3, v5
	v_sub_nc_u32_e32 v7, 0, v6
	s_delay_alu instid0(VALU_DEP_1) | instskip(NEXT) | instid1(VALU_DEP_1)
	v_max_i32_e32 v7, v6, v7
	v_mul_hi_u32 v8, v7, v37
	s_delay_alu instid0(VALU_DEP_1) | instskip(NEXT) | instid1(VALU_DEP_1)
	v_mul_lo_u32 v8, v8, s7
	v_sub_nc_u32_e32 v7, v7, v8
	s_delay_alu instid0(VALU_DEP_1) | instskip(SKIP_1) | instid1(VALU_DEP_2)
	v_subrev_nc_u32_e32 v8, s7, v7
	v_cmp_le_u32_e32 vcc_lo, s7, v7
	v_cndmask_b32_e32 v7, v7, v8, vcc_lo
	v_ashrrev_i32_e32 v6, 31, v6
	s_delay_alu instid0(VALU_DEP_2) | instskip(SKIP_1) | instid1(VALU_DEP_2)
	v_subrev_nc_u32_e32 v8, s7, v7
	v_cmp_le_u32_e32 vcc_lo, s7, v7
	v_cndmask_b32_e32 v7, v7, v8, vcc_lo
	s_delay_alu instid0(VALU_DEP_1) | instskip(NEXT) | instid1(VALU_DEP_1)
	v_xor_b32_e32 v7, v7, v6
	v_sub_nc_u32_e32 v6, v7, v6
	s_delay_alu instid0(VALU_DEP_1) | instskip(SKIP_1) | instid1(SALU_CYCLE_1)
	v_cmp_eq_u32_e32 vcc_lo, 0, v6
	s_or_b32 s0, vcc_lo, s0
	s_and_saveexec_b32 s9, s0
	s_cbranch_execz .LBB2_39
; %bb.41:                               ;   in Loop: Header=BB2_40 Depth=1
	global_load_b32 v7, v[26:27], off
	v_add_nc_u32_e32 v38, v33, v29
	s_delay_alu instid0(VALU_DEP_1) | instskip(SKIP_4) | instid1(VALU_DEP_1)
	v_add_nc_u32_e32 v41, 1, v38
	v_add_nc_u32_e32 v40, 2, v38
	;; [unrolled: 1-line block ×3, first 2 shown]
	s_waitcnt vmcnt(0)
	v_mad_i64_i32 v[5:6], null, v7, s5, 0
	v_lshlrev_b64 v[5:6], 2, v[5:6]
	s_delay_alu instid0(VALU_DEP_1) | instskip(NEXT) | instid1(VALU_DEP_2)
	v_add_co_u32 v21, vcc_lo, v34, v5
	v_add_co_ci_u32_e32 v22, vcc_lo, v35, v6, vcc_lo
	ds_load_b128 v[5:8], v36
	v_cmp_eq_u32_e32 vcc_lo, s40, v25
	global_load_b128 v[9:12], v[21:22], off
	s_and_saveexec_b32 s10, vcc_lo
	s_cbranch_execnz .LBB2_45
; %bb.42:                               ;   in Loop: Header=BB2_40 Depth=1
	s_or_b32 exec_lo, exec_lo, s10
	global_load_b128 v[13:16], v[21:22], off offset:512
	s_and_saveexec_b32 s10, vcc_lo
	s_cbranch_execnz .LBB2_46
.LBB2_43:                               ;   in Loop: Header=BB2_40 Depth=1
	s_or_b32 exec_lo, exec_lo, s10
	global_load_b128 v[17:20], v[21:22], off offset:1024
	s_and_saveexec_b32 s10, vcc_lo
	s_cbranch_execnz .LBB2_47
.LBB2_44:                               ;   in Loop: Header=BB2_40 Depth=1
	s_or_b32 exec_lo, exec_lo, s10
	global_load_b128 v[21:24], v[21:22], off offset:1536
	s_and_saveexec_b32 s0, vcc_lo
	s_cbranch_execz .LBB2_38
	s_branch .LBB2_48
.LBB2_45:                               ;   in Loop: Header=BB2_40 Depth=1
	v_cmp_gt_i32_e64 s0, s15, v38
	s_waitcnt vmcnt(0)
	s_delay_alu instid0(VALU_DEP_1) | instskip(SKIP_1) | instid1(VALU_DEP_1)
	v_cndmask_b32_e64 v9, 0, v9, s0
	v_cmp_gt_i32_e64 s0, s15, v41
	v_cndmask_b32_e64 v10, 0, v10, s0
	v_cmp_gt_i32_e64 s0, s15, v40
	s_delay_alu instid0(VALU_DEP_1) | instskip(SKIP_1) | instid1(VALU_DEP_1)
	v_cndmask_b32_e64 v11, 0, v11, s0
	v_cmp_gt_i32_e64 s0, s15, v39
	v_cndmask_b32_e64 v12, 0, v12, s0
	s_or_b32 exec_lo, exec_lo, s10
	global_load_b128 v[13:16], v[21:22], off offset:512
	s_and_saveexec_b32 s10, vcc_lo
	s_cbranch_execz .LBB2_43
.LBB2_46:                               ;   in Loop: Header=BB2_40 Depth=1
	v_cmp_gt_i32_e64 s0, s15, v38
	s_waitcnt vmcnt(0)
	s_delay_alu instid0(VALU_DEP_1) | instskip(SKIP_1) | instid1(VALU_DEP_1)
	v_cndmask_b32_e64 v13, 0, v13, s0
	v_cmp_gt_i32_e64 s0, s15, v41
	v_cndmask_b32_e64 v14, 0, v14, s0
	v_cmp_gt_i32_e64 s0, s15, v40
	s_delay_alu instid0(VALU_DEP_1) | instskip(SKIP_1) | instid1(VALU_DEP_1)
	v_cndmask_b32_e64 v15, 0, v15, s0
	v_cmp_gt_i32_e64 s0, s15, v39
	v_cndmask_b32_e64 v16, 0, v16, s0
	s_or_b32 exec_lo, exec_lo, s10
	global_load_b128 v[17:20], v[21:22], off offset:1024
	s_and_saveexec_b32 s10, vcc_lo
	s_cbranch_execz .LBB2_44
.LBB2_47:                               ;   in Loop: Header=BB2_40 Depth=1
	v_cmp_gt_i32_e64 s0, s15, v38
	s_waitcnt vmcnt(0)
	s_delay_alu instid0(VALU_DEP_1) | instskip(SKIP_1) | instid1(VALU_DEP_1)
	v_cndmask_b32_e64 v17, 0, v17, s0
	v_cmp_gt_i32_e64 s0, s15, v41
	v_cndmask_b32_e64 v18, 0, v18, s0
	v_cmp_gt_i32_e64 s0, s15, v40
	s_delay_alu instid0(VALU_DEP_1) | instskip(SKIP_1) | instid1(VALU_DEP_1)
	v_cndmask_b32_e64 v19, 0, v19, s0
	v_cmp_gt_i32_e64 s0, s15, v39
	v_cndmask_b32_e64 v20, 0, v20, s0
	s_or_b32 exec_lo, exec_lo, s10
	global_load_b128 v[21:24], v[21:22], off offset:1536
	s_and_saveexec_b32 s0, vcc_lo
	s_cbranch_execz .LBB2_38
.LBB2_48:                               ;   in Loop: Header=BB2_40 Depth=1
	v_cmp_gt_i32_e32 vcc_lo, s15, v38
	s_waitcnt vmcnt(0)
	v_cndmask_b32_e32 v21, 0, v21, vcc_lo
	v_cmp_gt_i32_e32 vcc_lo, s15, v41
	v_cndmask_b32_e32 v22, 0, v22, vcc_lo
	v_cmp_gt_i32_e32 vcc_lo, s15, v40
	;; [unrolled: 2-line block ×3, first 2 shown]
	v_cndmask_b32_e32 v24, 0, v24, vcc_lo
	s_branch .LBB2_38
.LBB2_49:
	s_or_b32 exec_lo, exec_lo, s4
.LBB2_50:
	s_delay_alu instid0(SALU_CYCLE_1)
	s_or_b32 exec_lo, exec_lo, s1
	ds_bpermute_b32 v5, v31, v1
	ds_bpermute_b32 v9, v31, v2
	;; [unrolled: 1-line block ×4, first 2 shown]
	v_lshrrev_b32_e32 v7, 1, v30
	v_lshl_add_u32 v8, v28, 8, 0x120
	v_and_b32_e32 v12, 0x3c1, v0
	s_mov_b32 s0, exec_lo
	s_waitcnt lgkmcnt(0)
	s_waitcnt_vscnt null, 0x0
	s_barrier
	buffer_gl0_inv
	v_add_f32_e32 v6, v1, v5
	v_dual_add_f32 v5, v2, v9 :: v_dual_add_f32 v2, v3, v10
	v_add_f32_e32 v1, v4, v11
	v_cmpx_eq_u32_e32 64, v12
	s_cbranch_execz .LBB2_52
; %bb.51:
	v_lshlrev_b32_e32 v3, 2, v7
	s_delay_alu instid0(VALU_DEP_1)
	v_add3_u32 v3, v8, v3, 0xfffffe00
	ds_store_2addr_b32 v3, v6, v5 offset1:16
	ds_store_2addr_b32 v3, v2, v1 offset0:32 offset1:48
.LBB2_52:
	s_or_b32 exec_lo, exec_lo, s0
	v_cmp_eq_u32_e32 vcc_lo, 0, v32
	s_waitcnt lgkmcnt(0)
	s_barrier
	buffer_gl0_inv
	s_and_saveexec_b32 s0, s2
	s_cbranch_execz .LBB2_59
; %bb.53:
	s_and_saveexec_b32 s1, vcc_lo
	s_cbranch_execnz .LBB2_71
; %bb.54:
	s_or_b32 exec_lo, exec_lo, s1
	s_and_saveexec_b32 s1, vcc_lo
	s_cbranch_execnz .LBB2_72
.LBB2_55:
	s_or_b32 exec_lo, exec_lo, s1
	s_and_saveexec_b32 s1, vcc_lo
	s_cbranch_execnz .LBB2_73
.LBB2_56:
	s_or_b32 exec_lo, exec_lo, s1
	s_and_saveexec_b32 s1, vcc_lo
	s_cbranch_execz .LBB2_58
.LBB2_57:
	v_lshl_add_u32 v3, v7, 2, v8
	ds_load_b32 v3, v3 offset:192
	s_waitcnt lgkmcnt(0)
	v_add_f32_e32 v1, v1, v3
.LBB2_58:
	s_or_b32 exec_lo, exec_lo, s1
.LBB2_59:
	s_delay_alu instid0(SALU_CYCLE_1)
	s_or_b32 exec_lo, exec_lo, s0
	v_and_b32_e32 v3, 0x3e1, v0
	s_mov_b32 s1, exec_lo
	s_barrier
	buffer_gl0_inv
	v_cmpx_eq_u32_e32 32, v3
	s_cbranch_execz .LBB2_61
; %bb.60:
	v_lshl_add_u32 v4, v7, 2, 0x120
	ds_store_2addr_b32 v4, v6, v5 offset1:16
	ds_store_2addr_b32 v4, v2, v1 offset0:32 offset1:48
.LBB2_61:
	s_or_b32 exec_lo, exec_lo, s1
	s_delay_alu instid0(SALU_CYCLE_1)
	s_mov_b32 s1, exec_lo
	s_waitcnt lgkmcnt(0)
	s_barrier
	buffer_gl0_inv
	v_cmpx_gt_u32_e32 32, v0
	s_cbranch_execz .LBB2_68
; %bb.62:
	v_lshl_add_u32 v4, v7, 2, v8
	s_and_saveexec_b32 s0, vcc_lo
	s_cbranch_execnz .LBB2_74
; %bb.63:
	s_or_b32 exec_lo, exec_lo, s0
	s_and_saveexec_b32 s0, vcc_lo
	s_cbranch_execnz .LBB2_75
.LBB2_64:
	s_or_b32 exec_lo, exec_lo, s0
	s_and_saveexec_b32 s0, vcc_lo
	s_cbranch_execnz .LBB2_76
.LBB2_65:
	s_or_b32 exec_lo, exec_lo, s0
	s_and_saveexec_b32 s0, vcc_lo
	s_cbranch_execz .LBB2_67
.LBB2_66:
	ds_load_b32 v4, v4 offset:192
	s_waitcnt lgkmcnt(0)
	v_add_f32_e32 v1, v1, v4
.LBB2_67:
	s_or_b32 exec_lo, exec_lo, s0
.LBB2_68:
	s_delay_alu instid0(SALU_CYCLE_1)
	s_or_b32 exec_lo, exec_lo, s1
	s_barrier
	buffer_gl0_inv
	s_mov_b32 s0, exec_lo
	v_cmpx_eq_u32_e32 0, v3
	s_cbranch_execz .LBB2_70
; %bb.69:
	s_lshl_b32 s0, s6, 6
	s_mul_i32 s2, s11, s12
	s_ashr_i32 s1, s0, 31
	v_lshlrev_b32_e32 v0, 1, v0
	s_lshl_b64 s[0:1], s[0:1], 2
	s_delay_alu instid0(SALU_CYCLE_1) | instskip(SKIP_2) | instid1(SALU_CYCLE_1)
	s_add_u32 s4, s20, s0
	s_addc_u32 s5, s21, s1
	s_ashr_i32 s3, s2, 31
	s_lshl_b64 s[0:1], s[2:3], 2
	s_delay_alu instid0(SALU_CYCLE_1) | instskip(SKIP_2) | instid1(SALU_CYCLE_1)
	s_add_u32 s2, s4, s0
	s_addc_u32 s3, s5, s1
	s_ashr_i32 s9, s8, 31
	s_lshl_b64 s[0:1], s[8:9], 2
	s_delay_alu instid0(SALU_CYCLE_1)
	s_add_u32 s0, s2, s0
	s_addc_u32 s1, s3, s1
	s_clause 0x3
	global_store_b32 v0, v6, s[0:1]
	global_store_b32 v0, v5, s[0:1] offset:64
	global_store_b32 v0, v2, s[0:1] offset:128
	;; [unrolled: 1-line block ×3, first 2 shown]
.LBB2_70:
	s_nop 0
	s_sendmsg sendmsg(MSG_DEALLOC_VGPRS)
	s_endpgm
.LBB2_71:
	v_lshl_add_u32 v3, v7, 2, v8
	ds_load_b32 v3, v3
	s_waitcnt lgkmcnt(0)
	v_add_f32_e32 v6, v6, v3
	s_or_b32 exec_lo, exec_lo, s1
	s_and_saveexec_b32 s1, vcc_lo
	s_cbranch_execz .LBB2_55
.LBB2_72:
	v_lshl_add_u32 v3, v7, 2, v8
	ds_load_b32 v3, v3 offset:64
	s_waitcnt lgkmcnt(0)
	v_add_f32_e32 v5, v5, v3
	s_or_b32 exec_lo, exec_lo, s1
	s_and_saveexec_b32 s1, vcc_lo
	s_cbranch_execz .LBB2_56
.LBB2_73:
	v_lshl_add_u32 v3, v7, 2, v8
	ds_load_b32 v3, v3 offset:128
	s_waitcnt lgkmcnt(0)
	v_add_f32_e32 v2, v2, v3
	s_or_b32 exec_lo, exec_lo, s1
	s_and_saveexec_b32 s1, vcc_lo
	s_cbranch_execnz .LBB2_57
	s_branch .LBB2_58
.LBB2_74:
	ds_load_b32 v7, v4
	s_waitcnt lgkmcnt(0)
	v_add_f32_e32 v6, v6, v7
	s_or_b32 exec_lo, exec_lo, s0
	s_and_saveexec_b32 s0, vcc_lo
	s_cbranch_execz .LBB2_64
.LBB2_75:
	ds_load_b32 v7, v4 offset:64
	s_waitcnt lgkmcnt(0)
	v_add_f32_e32 v5, v5, v7
	s_or_b32 exec_lo, exec_lo, s0
	s_and_saveexec_b32 s0, vcc_lo
	s_cbranch_execz .LBB2_65
.LBB2_76:
	ds_load_b32 v7, v4 offset:128
	s_waitcnt lgkmcnt(0)
	v_add_f32_e32 v2, v2, v7
	s_or_b32 exec_lo, exec_lo, s0
	s_and_saveexec_b32 s0, vcc_lo
	s_cbranch_execnz .LBB2_66
	s_branch .LBB2_67
	.section	.rodata,"a",@progbits
	.p2align	6, 0x0
	.amdhsa_kernel _ZN4vllm25paged_attention_v2_kernelIffLi64ELi8ELi128ELNS_18Fp8KVCacheDataTypeE0ELb1ELi512EEEvPfS2_PT_PKS3_PKT0_S9_ifPKiSB_iPKfiiiSD_SD_iiiii
		.amdhsa_group_segment_fixed_size 288
		.amdhsa_private_segment_fixed_size 0
		.amdhsa_kernarg_size 400
		.amdhsa_user_sgpr_count 13
		.amdhsa_user_sgpr_dispatch_ptr 0
		.amdhsa_user_sgpr_queue_ptr 0
		.amdhsa_user_sgpr_kernarg_segment_ptr 1
		.amdhsa_user_sgpr_dispatch_id 0
		.amdhsa_user_sgpr_private_segment_size 0
		.amdhsa_wavefront_size32 1
		.amdhsa_uses_dynamic_stack 0
		.amdhsa_enable_private_segment 0
		.amdhsa_system_sgpr_workgroup_id_x 1
		.amdhsa_system_sgpr_workgroup_id_y 1
		.amdhsa_system_sgpr_workgroup_id_z 1
		.amdhsa_system_sgpr_workgroup_info 0
		.amdhsa_system_vgpr_workitem_id 0
		.amdhsa_next_free_vgpr 46
		.amdhsa_next_free_sgpr 46
		.amdhsa_reserve_vcc 1
		.amdhsa_float_round_mode_32 0
		.amdhsa_float_round_mode_16_64 0
		.amdhsa_float_denorm_mode_32 3
		.amdhsa_float_denorm_mode_16_64 3
		.amdhsa_dx10_clamp 1
		.amdhsa_ieee_mode 1
		.amdhsa_fp16_overflow 0
		.amdhsa_workgroup_processor_mode 1
		.amdhsa_memory_ordered 1
		.amdhsa_forward_progress 0
		.amdhsa_shared_vgpr_count 0
		.amdhsa_exception_fp_ieee_invalid_op 0
		.amdhsa_exception_fp_denorm_src 0
		.amdhsa_exception_fp_ieee_div_zero 0
		.amdhsa_exception_fp_ieee_overflow 0
		.amdhsa_exception_fp_ieee_underflow 0
		.amdhsa_exception_fp_ieee_inexact 0
		.amdhsa_exception_int_div_zero 0
	.end_amdhsa_kernel
	.section	.text._ZN4vllm25paged_attention_v2_kernelIffLi64ELi8ELi128ELNS_18Fp8KVCacheDataTypeE0ELb1ELi512EEEvPfS2_PT_PKS3_PKT0_S9_ifPKiSB_iPKfiiiSD_SD_iiiii,"axG",@progbits,_ZN4vllm25paged_attention_v2_kernelIffLi64ELi8ELi128ELNS_18Fp8KVCacheDataTypeE0ELb1ELi512EEEvPfS2_PT_PKS3_PKT0_S9_ifPKiSB_iPKfiiiSD_SD_iiiii,comdat
.Lfunc_end2:
	.size	_ZN4vllm25paged_attention_v2_kernelIffLi64ELi8ELi128ELNS_18Fp8KVCacheDataTypeE0ELb1ELi512EEEvPfS2_PT_PKS3_PKT0_S9_ifPKiSB_iPKfiiiSD_SD_iiiii, .Lfunc_end2-_ZN4vllm25paged_attention_v2_kernelIffLi64ELi8ELi128ELNS_18Fp8KVCacheDataTypeE0ELb1ELi512EEEvPfS2_PT_PKS3_PKT0_S9_ifPKiSB_iPKfiiiSD_SD_iiiii
                                        ; -- End function
	.section	.AMDGPU.csdata,"",@progbits
; Kernel info:
; codeLenInByte = 5096
; NumSgprs: 48
; NumVgprs: 46
; ScratchSize: 0
; MemoryBound: 0
; FloatMode: 240
; IeeeMode: 1
; LDSByteSize: 288 bytes/workgroup (compile time only)
; SGPRBlocks: 5
; VGPRBlocks: 5
; NumSGPRsForWavesPerEU: 48
; NumVGPRsForWavesPerEU: 46
; Occupancy: 16
; WaveLimiterHint : 1
; COMPUTE_PGM_RSRC2:SCRATCH_EN: 0
; COMPUTE_PGM_RSRC2:USER_SGPR: 13
; COMPUTE_PGM_RSRC2:TRAP_HANDLER: 0
; COMPUTE_PGM_RSRC2:TGID_X_EN: 1
; COMPUTE_PGM_RSRC2:TGID_Y_EN: 1
; COMPUTE_PGM_RSRC2:TGID_Z_EN: 1
; COMPUTE_PGM_RSRC2:TIDIG_COMP_CNT: 0
	.section	.text._ZN4vllm32paged_attention_v2_reduce_kernelIfLi64ELi128ELi512EEEvPT_PKfS4_PKS1_PKii,"axG",@progbits,_ZN4vllm32paged_attention_v2_reduce_kernelIfLi64ELi128ELi512EEEvPT_PKfS4_PKS1_PKii,comdat
	.protected	_ZN4vllm32paged_attention_v2_reduce_kernelIfLi64ELi128ELi512EEEvPT_PKfS4_PKS1_PKii ; -- Begin function _ZN4vllm32paged_attention_v2_reduce_kernelIfLi64ELi128ELi512EEEvPT_PKfS4_PKS1_PKii
	.globl	_ZN4vllm32paged_attention_v2_reduce_kernelIfLi64ELi128ELi512EEEvPT_PKfS4_PKS1_PKii
	.p2align	8
	.type	_ZN4vllm32paged_attention_v2_reduce_kernelIfLi64ELi128ELi512EEEvPT_PKfS4_PKS1_PKii,@function
_ZN4vllm32paged_attention_v2_reduce_kernelIfLi64ELi128ELi512EEEvPT_PKfS4_PKS1_PKii: ; @_ZN4vllm32paged_attention_v2_reduce_kernelIfLi64ELi128ELi512EEEvPT_PKfS4_PKS1_PKii
; %bb.0:
	s_load_b128 s[4:7], s[0:1], 0x18
	s_add_u32 s8, s0, 48
	s_mov_b32 s10, s15
	s_addc_u32 s9, s1, 0
	s_ashr_i32 s11, s15, 31
	s_delay_alu instid0(SALU_CYCLE_1)
	s_lshl_b64 s[2:3], s[10:11], 2
	s_waitcnt lgkmcnt(0)
	s_add_u32 s2, s6, s2
	s_addc_u32 s3, s7, s3
	s_load_b32 s20, s[2:3], 0x0
	s_clause 0x2
	s_load_b64 s[6:7], s[0:1], 0x0
	s_load_b32 s11, s[0:1], 0x28
	s_load_b32 s15, s[0:1], 0x30
	s_waitcnt lgkmcnt(0)
	s_add_i32 s2, s20, -1
	s_delay_alu instid0(SALU_CYCLE_1)
	s_cmpk_gt_u32 s2, 0x1ff
	s_mov_b32 s2, -1
	s_cbranch_scc0 .LBB3_26
; %bb.1:
	s_load_b64 s[2:3], s[0:1], 0x8
	s_add_i32 s12, s20, 0x1ff
	s_mul_i32 s18, s15, s10
	s_ashr_i32 s13, s12, 31
	v_mov_b32_e32 v3, 0xff7fffff
	s_lshr_b32 s13, s13, 23
	s_mul_i32 s16, s14, s11
	s_add_i32 s12, s12, s13
	s_ashr_i32 s17, s16, 31
	s_ashr_i32 s19, s12, 9
	s_mul_i32 s12, s18, s11
	v_cmp_gt_i32_e32 vcc_lo, s19, v0
	s_ashr_i32 s13, s12, 31
	s_and_saveexec_b32 s21, vcc_lo
	s_cbranch_execz .LBB3_5
; %bb.2:
	s_load_b32 s28, s[8:9], 0xc
	s_load_b64 s[22:23], s[0:1], 0x10
	s_lshl_b64 s[24:25], s[12:13], 2
	s_lshl_b64 s[26:27], s[16:17], 2
	v_lshlrev_b32_e32 v1, 2, v0
	v_mov_b32_e32 v3, 0xff7fffff
	s_delay_alu instid0(VALU_DEP_2)
	v_dual_mov_b32 v5, v0 :: v_dual_add_nc_u32 v4, 32, v1
	s_waitcnt lgkmcnt(0)
	s_and_b32 s1, s28, 0xffff
	s_add_u32 s0, s24, s26
	s_addc_u32 s24, s25, s27
	s_add_u32 s0, s22, s0
	s_addc_u32 s22, s23, s24
	v_add_co_u32 v1, s0, s0, v1
	s_delay_alu instid0(VALU_DEP_1)
	v_add_co_ci_u32_e64 v2, null, s22, 0, s0
	s_mov_b32 s22, 0
	s_lshl_b32 s23, s1, 2
	.p2align	6
.LBB3_3:                                ; =>This Inner Loop Header: Depth=1
	global_load_b32 v6, v[1:2], off
	v_add_nc_u32_e32 v5, s1, v5
	v_max_f32_e32 v3, v3, v3
	v_add_co_u32 v1, s0, v1, s23
	s_delay_alu instid0(VALU_DEP_1) | instskip(NEXT) | instid1(VALU_DEP_4)
	v_add_co_ci_u32_e64 v2, s0, 0, v2, s0
	v_cmp_le_i32_e64 s0, s19, v5
	s_delay_alu instid0(VALU_DEP_1)
	s_or_b32 s22, s0, s22
	s_waitcnt vmcnt(0)
	v_max_f32_e32 v7, v6, v6
	ds_store_b32 v4, v6
	v_dual_max_f32 v3, v3, v7 :: v_dual_add_nc_u32 v4, s23, v4
	s_and_not1_b32 exec_lo, exec_lo, s22
	s_cbranch_execnz .LBB3_3
; %bb.4:
	s_or_b32 exec_lo, exec_lo, s22
.LBB3_5:
	s_delay_alu instid0(SALU_CYCLE_1)
	s_or_b32 exec_lo, exec_lo, s21
	v_mbcnt_lo_u32_b32 v1, -1, 0
	s_waitcnt lgkmcnt(0)
	s_barrier
	buffer_gl0_inv
	v_xor_b32_e32 v2, 16, v1
	v_xor_b32_e32 v4, 8, v1
	s_delay_alu instid0(VALU_DEP_2) | instskip(NEXT) | instid1(VALU_DEP_1)
	v_cmp_gt_i32_e64 s0, 32, v2
	v_cndmask_b32_e64 v2, v1, v2, s0
	s_delay_alu instid0(VALU_DEP_3) | instskip(NEXT) | instid1(VALU_DEP_2)
	v_cmp_gt_i32_e64 s0, 32, v4
	v_lshlrev_b32_e32 v5, 2, v2
	s_delay_alu instid0(VALU_DEP_2) | instskip(SKIP_4) | instid1(VALU_DEP_2)
	v_cndmask_b32_e64 v4, v1, v4, s0
	ds_bpermute_b32 v2, v5, v3
	v_lshlrev_b32_e32 v6, 2, v4
	v_xor_b32_e32 v4, 4, v1
	v_max_f32_e32 v3, v3, v3
	v_cmp_gt_i32_e64 s0, 32, v4
	s_delay_alu instid0(VALU_DEP_1) | instskip(NEXT) | instid1(VALU_DEP_1)
	v_cndmask_b32_e64 v4, v1, v4, s0
	v_lshlrev_b32_e32 v7, 2, v4
	v_xor_b32_e32 v4, 2, v1
	s_waitcnt lgkmcnt(0)
	v_max_f32_e32 v2, v2, v2
	s_delay_alu instid0(VALU_DEP_2) | instskip(NEXT) | instid1(VALU_DEP_2)
	v_cmp_gt_i32_e64 s0, 32, v4
	v_max_f32_e32 v2, v3, v2
	s_delay_alu instid0(VALU_DEP_2) | instskip(SKIP_3) | instid1(VALU_DEP_1)
	v_cndmask_b32_e64 v4, v1, v4, s0
	ds_bpermute_b32 v3, v6, v2
	s_waitcnt lgkmcnt(0)
	v_max_f32_e32 v3, v3, v3
	v_max_f32_e32 v2, v2, v3
	ds_bpermute_b32 v3, v7, v2
	s_waitcnt lgkmcnt(0)
	v_dual_max_f32 v8, v3, v3 :: v_dual_lshlrev_b32 v3, 2, v4
	s_delay_alu instid0(VALU_DEP_1) | instskip(SKIP_3) | instid1(VALU_DEP_1)
	v_max_f32_e32 v2, v2, v8
	v_xor_b32_e32 v8, 1, v1
	ds_bpermute_b32 v4, v3, v2
	v_cmp_gt_i32_e64 s0, 32, v8
	v_cndmask_b32_e64 v1, v1, v8, s0
	v_lshrrev_b32_e32 v8, 5, v0
	s_delay_alu instid0(VALU_DEP_1) | instskip(SKIP_2) | instid1(VALU_DEP_1)
	v_lshlrev_b32_e32 v8, 2, v8
	s_waitcnt lgkmcnt(0)
	v_max_f32_e32 v4, v4, v4
	v_max_f32_e32 v2, v2, v4
	v_lshlrev_b32_e32 v4, 2, v1
	v_and_b32_e32 v1, 31, v0
	ds_bpermute_b32 v9, v4, v2
	v_cmp_eq_u32_e64 s0, 0, v1
	s_delay_alu instid0(VALU_DEP_1)
	s_and_saveexec_b32 s1, s0
	s_cbranch_execz .LBB3_7
; %bb.6:
	s_waitcnt lgkmcnt(0)
	v_dual_max_f32 v9, v9, v9 :: v_dual_max_f32 v2, v2, v2
	s_delay_alu instid0(VALU_DEP_1)
	v_max_f32_e32 v2, v2, v9
	ds_store_b32 v8, v2
.LBB3_7:
	s_or_b32 exec_lo, exec_lo, s1
	v_cmp_gt_u32_e64 s1, 4, v1
	s_waitcnt lgkmcnt(0)
	v_dual_mov_b32 v2, 0xff7fffff :: v_dual_lshlrev_b32 v9, 2, v1
	s_barrier
	buffer_gl0_inv
	s_and_saveexec_b32 s21, s1
	s_cbranch_execz .LBB3_9
; %bb.8:
	ds_load_b32 v2, v9
.LBB3_9:
	s_or_b32 exec_lo, exec_lo, s21
	s_waitcnt lgkmcnt(0)
	ds_bpermute_b32 v1, v3, v2
	v_max_f32_e32 v2, v2, v2
	s_lshl_b32 s21, s19, 2
	v_mov_b32_e32 v11, 0
	s_waitcnt lgkmcnt(0)
	v_max_f32_e32 v1, v1, v1
	s_delay_alu instid0(VALU_DEP_1) | instskip(SKIP_3) | instid1(VALU_DEP_1)
	v_max_f32_e32 v1, v2, v1
	ds_bpermute_b32 v2, v4, v1
	s_waitcnt lgkmcnt(0)
	v_max_f32_e32 v2, v2, v2
	v_max_f32_e32 v1, v1, v2
	ds_bpermute_b32 v10, v11, v1
	s_and_saveexec_b32 s22, vcc_lo
	s_cbranch_execz .LBB3_13
; %bb.10:
	s_load_b32 s23, s[8:9], 0xc
	s_lshl_b64 s[24:25], s[12:13], 2
	s_lshl_b64 s[26:27], s[16:17], 2
	v_lshlrev_b32_e32 v1, 2, v0
	v_mov_b32_e32 v11, 0
	s_delay_alu instid0(VALU_DEP_2)
	v_dual_mov_b32 v13, v0 :: v_dual_add_nc_u32 v12, 32, v1
	s_waitcnt lgkmcnt(0)
	s_and_b32 s13, s23, 0xffff
	s_add_u32 s17, s24, s26
	s_addc_u32 s23, s25, s27
	s_add_u32 s2, s2, s17
	s_addc_u32 s3, s3, s23
	v_add_co_u32 v1, s2, s2, v1
	s_delay_alu instid0(VALU_DEP_1)
	v_add_co_ci_u32_e64 v2, null, s3, 0, s2
	s_mov_b32 s3, 0
	s_lshl_b32 s17, s13, 2
	s_set_inst_prefetch_distance 0x1
	.p2align	6
.LBB3_11:                               ; =>This Inner Loop Header: Depth=1
	global_load_b32 v14, v[1:2], off
	ds_load_b32 v15, v12
	v_add_nc_u32_e32 v13, s13, v13
	s_waitcnt lgkmcnt(0)
	v_sub_f32_e32 v15, v15, v10
	s_delay_alu instid0(VALU_DEP_1) | instskip(NEXT) | instid1(VALU_DEP_1)
	v_mul_f32_e32 v16, 0x3fb8aa3b, v15
	v_fma_f32 v17, 0x3fb8aa3b, v15, -v16
	v_rndne_f32_e32 v18, v16
	s_delay_alu instid0(VALU_DEP_1) | instskip(NEXT) | instid1(VALU_DEP_1)
	v_dual_fmac_f32 v17, 0x32a5705f, v15 :: v_dual_sub_f32 v16, v16, v18
	v_add_f32_e32 v16, v16, v17
	v_cvt_i32_f32_e32 v17, v18
	v_cmp_ngt_f32_e32 vcc_lo, 0xc2ce8ed0, v15
	v_cmp_nlt_f32_e64 s2, 0x42b17218, v15
	s_delay_alu instid0(VALU_DEP_4) | instskip(SKIP_3) | instid1(VALU_DEP_2)
	v_exp_f32_e32 v16, v16
	s_waitcnt_depctr 0xfff
	v_ldexp_f32 v16, v16, v17
	v_add_nc_u32_e32 v17, s21, v12
	v_cndmask_b32_e32 v16, 0, v16, vcc_lo
	v_add_co_u32 v1, vcc_lo, v1, s17
	v_add_co_ci_u32_e32 v2, vcc_lo, 0, v2, vcc_lo
	s_delay_alu instid0(VALU_DEP_3)
	v_cndmask_b32_e64 v15, 0x7f800000, v16, s2
	v_cmp_le_i32_e32 vcc_lo, s19, v13
	v_add_nc_u32_e32 v12, s17, v12
	s_or_b32 s3, vcc_lo, s3
	s_waitcnt vmcnt(0)
	v_fmac_f32_e32 v11, v14, v15
	v_mul_f32_e32 v16, v14, v15
	ds_store_b32 v17, v16
	s_and_not1_b32 exec_lo, exec_lo, s3
	s_cbranch_execnz .LBB3_11
; %bb.12:
	s_set_inst_prefetch_distance 0x2
	s_or_b32 exec_lo, exec_lo, s3
.LBB3_13:
	s_delay_alu instid0(SALU_CYCLE_1)
	s_or_b32 exec_lo, exec_lo, s22
	ds_bpermute_b32 v1, v5, v11
	s_waitcnt lgkmcnt(0)
	s_barrier
	buffer_gl0_inv
	v_add_f32_e32 v1, v11, v1
	ds_bpermute_b32 v2, v6, v1
	s_waitcnt lgkmcnt(0)
	v_add_f32_e32 v1, v1, v2
	ds_bpermute_b32 v2, v7, v1
	s_waitcnt lgkmcnt(0)
	v_add_f32_e32 v1, v1, v2
	ds_bpermute_b32 v2, v3, v1
	s_waitcnt lgkmcnt(0)
	v_add_f32_e32 v1, v1, v2
	ds_bpermute_b32 v2, v4, v1
	s_waitcnt lgkmcnt(0)
	v_add_f32_e32 v1, v1, v2
	s_and_saveexec_b32 s2, s0
	s_cbranch_execz .LBB3_15
; %bb.14:
	ds_store_b32 v8, v1 offset:16
.LBB3_15:
	s_or_b32 exec_lo, exec_lo, s2
	s_waitcnt lgkmcnt(0)
	s_barrier
	buffer_gl0_inv
	s_and_saveexec_b32 s0, s1
	s_cbranch_execz .LBB3_17
; %bb.16:
	ds_load_b32 v1, v9 offset:16
.LBB3_17:
	s_or_b32 exec_lo, exec_lo, s0
	s_waitcnt lgkmcnt(0)
	ds_bpermute_b32 v2, v3, v1
	s_mov_b32 s0, exec_lo
	s_waitcnt lgkmcnt(0)
	v_add_f32_e32 v1, v1, v2
	ds_bpermute_b32 v2, v4, v1
	s_waitcnt lgkmcnt(0)
	v_dual_add_f32 v1, v1, v2 :: v_dual_mov_b32 v2, 0
	ds_bpermute_b32 v2, v2, v1
	v_cmpx_gt_u32_e32 64, v0
	s_cbranch_execz .LBB3_25
; %bb.18:
	s_cmp_gt_i32 s20, 0
	s_mov_b32 s1, 0
	s_cbranch_scc1 .LBB3_20
; %bb.19:
	v_mov_b32_e32 v1, 0
	s_branch .LBB3_21
.LBB3_20:
	s_mov_b32 s1, -1
.LBB3_21:
	s_delay_alu instid0(SALU_CYCLE_1) | instskip(SKIP_1) | instid1(VALU_DEP_2)
	v_cndmask_b32_e64 v3, 0, 1, s1
	v_mov_b32_e32 v4, s1
	v_cmp_ne_u32_e32 vcc_lo, 1, v3
	s_cbranch_vccnz .LBB3_24
; %bb.22:
	s_waitcnt lgkmcnt(0)
	v_add_f32_e32 v4, 0x358637bd, v2
	s_lshl_b32 s12, s12, 6
	s_lshl_b32 s16, s16, 6
	s_ashr_i32 s13, s12, 31
	s_ashr_i32 s17, s16, 31
	v_div_scale_f32 v2, null, v4, v4, 1.0
	s_lshl_b64 s[12:13], s[12:13], 2
	s_lshl_b64 s[16:17], s[16:17], 2
	s_max_i32 s1, s19, 1
	s_delay_alu instid0(VALU_DEP_1)
	v_rcp_f32_e32 v3, v2
	s_add_i32 s2, s21, 32
	s_add_u32 s3, s12, s16
	s_addc_u32 s12, s13, s17
	s_add_u32 s3, s4, s3
	s_addc_u32 s12, s5, s12
	s_waitcnt_depctr 0xfff
	v_fma_f32 v1, -v2, v3, 1.0
	s_delay_alu instid0(VALU_DEP_1) | instskip(SKIP_1) | instid1(VALU_DEP_1)
	v_fmac_f32_e32 v3, v1, v3
	v_div_scale_f32 v5, vcc_lo, 1.0, v4, 1.0
	v_dual_mov_b32 v1, 0 :: v_dual_mul_f32 v6, v5, v3
	s_delay_alu instid0(VALU_DEP_1) | instskip(NEXT) | instid1(VALU_DEP_1)
	v_fma_f32 v7, -v2, v6, v5
	v_dual_fmac_f32 v6, v7, v3 :: v_dual_lshlrev_b32 v7, 2, v0
	s_delay_alu instid0(VALU_DEP_1) | instskip(NEXT) | instid1(VALU_DEP_1)
	v_fma_f32 v2, -v2, v6, v5
	v_div_fmas_f32 v5, v2, v3, v6
	s_delay_alu instid0(VALU_DEP_3) | instskip(NEXT) | instid1(VALU_DEP_1)
	v_add_co_u32 v2, s3, s3, v7
	v_add_co_ci_u32_e64 v3, null, s12, 0, s3
	s_delay_alu instid0(VALU_DEP_3)
	v_div_fixup_f32 v5, v5, v4, 1.0
	v_mov_b32_e32 v4, v1
.LBB3_23:                               ; =>This Inner Loop Header: Depth=1
	global_load_b32 v6, v[2:3], off
	v_mov_b32_e32 v7, s2
	v_add_co_u32 v2, vcc_lo, 0x100, v2
	v_add_co_ci_u32_e32 v3, vcc_lo, 0, v3, vcc_lo
	ds_load_b32 v7, v7
	s_add_i32 s1, s1, -1
	s_add_i32 s2, s2, 4
	s_cmp_eq_u32 s1, 0
	s_waitcnt vmcnt(0) lgkmcnt(0)
	v_mul_f32_e32 v6, v6, v7
	s_delay_alu instid0(VALU_DEP_1)
	v_fmac_f32_e32 v4, v5, v6
	s_cbranch_scc0 .LBB3_23
.LBB3_24:
	s_lshl_b32 s2, s18, 6
	s_waitcnt lgkmcnt(0)
	v_lshlrev_b64 v[1:2], 2, v[0:1]
	s_ashr_i32 s3, s2, 31
	s_delay_alu instid0(SALU_CYCLE_1) | instskip(NEXT) | instid1(SALU_CYCLE_1)
	s_lshl_b64 s[2:3], s[2:3], 2
	s_add_u32 s1, s6, s2
	s_addc_u32 s12, s7, s3
	s_lshl_b32 s2, s14, 6
	s_delay_alu instid0(SALU_CYCLE_1) | instskip(NEXT) | instid1(SALU_CYCLE_1)
	s_ashr_i32 s3, s2, 31
	s_lshl_b64 s[2:3], s[2:3], 2
	s_delay_alu instid0(SALU_CYCLE_1)
	s_add_u32 s1, s1, s2
	s_addc_u32 s2, s12, s3
	v_add_co_u32 v1, vcc_lo, s1, v1
	v_add_co_ci_u32_e32 v2, vcc_lo, s2, v2, vcc_lo
	global_store_b32 v[1:2], v4, off
.LBB3_25:
	s_or_b32 exec_lo, exec_lo, s0
	s_mov_b32 s2, 0
.LBB3_26:
	s_delay_alu instid0(SALU_CYCLE_1)
	s_and_b32 vcc_lo, exec_lo, s2
	s_cbranch_vccz .LBB3_30
; %bb.27:
	s_mov_b32 s0, exec_lo
	v_cmpx_gt_u32_e32 64, v0
	s_cbranch_execz .LBB3_30
; %bb.28:
	s_mul_i32 s15, s15, s10
	s_load_b32 s8, s[8:9], 0xc
	s_lshl_b32 s0, s15, 6
	s_waitcnt lgkmcnt(0)
	v_dual_mov_b32 v2, 0 :: v_dual_lshlrev_b32 v1, 2, v0
	s_ashr_i32 s1, s0, 31
	s_delay_alu instid0(SALU_CYCLE_1) | instskip(NEXT) | instid1(SALU_CYCLE_1)
	s_lshl_b64 s[0:1], s[0:1], 2
	s_add_u32 s6, s6, s0
	s_addc_u32 s7, s7, s1
	s_lshl_b32 s0, s14, 6
	s_mul_i32 s14, s14, s11
	s_ashr_i32 s1, s0, 31
	s_delay_alu instid0(SALU_CYCLE_1) | instskip(SKIP_4) | instid1(SALU_CYCLE_1)
	s_lshl_b64 s[2:3], s[0:1], 2
	s_mul_i32 s0, s11, s15
	s_add_u32 s1, s6, s2
	s_addc_u32 s2, s7, s3
	s_lshl_b32 s6, s0, 6
	s_ashr_i32 s7, s6, 31
	s_delay_alu instid0(SALU_CYCLE_1) | instskip(NEXT) | instid1(SALU_CYCLE_1)
	s_lshl_b64 s[6:7], s[6:7], 2
	s_add_u32 s0, s4, s6
	s_addc_u32 s6, s5, s7
	s_lshl_b32 s4, s14, 6
	s_delay_alu instid0(SALU_CYCLE_1) | instskip(NEXT) | instid1(SALU_CYCLE_1)
	s_ashr_i32 s5, s4, 31
	s_lshl_b64 s[4:5], s[4:5], 2
	s_delay_alu instid0(SALU_CYCLE_1)
	s_add_u32 s3, s0, s4
	s_addc_u32 s4, s6, s5
	s_and_b32 s5, s8, 0xffff
	s_mov_b32 s6, 0
	s_lshl_b32 s7, s5, 2
	.p2align	6
.LBB3_29:                               ; =>This Inner Loop Header: Depth=1
	v_add_co_u32 v3, vcc_lo, s3, v1
	v_add_co_ci_u32_e32 v4, vcc_lo, s4, v2, vcc_lo
	v_add_nc_u32_e32 v0, s5, v0
	global_load_b32 v5, v[3:4], off
	v_add_co_u32 v3, vcc_lo, s1, v1
	v_add_co_ci_u32_e32 v4, vcc_lo, s2, v2, vcc_lo
	v_cmp_lt_u32_e32 vcc_lo, 63, v0
	v_add_co_u32 v1, s0, v1, s7
	s_delay_alu instid0(VALU_DEP_1)
	v_add_co_ci_u32_e64 v2, s0, 0, v2, s0
	s_or_b32 s6, vcc_lo, s6
	s_waitcnt vmcnt(0)
	global_store_b32 v[3:4], v5, off
	s_and_not1_b32 exec_lo, exec_lo, s6
	s_cbranch_execnz .LBB3_29
.LBB3_30:
	s_nop 0
	s_sendmsg sendmsg(MSG_DEALLOC_VGPRS)
	s_endpgm
	.section	.rodata,"a",@progbits
	.p2align	6, 0x0
	.amdhsa_kernel _ZN4vllm32paged_attention_v2_reduce_kernelIfLi64ELi128ELi512EEEvPT_PKfS4_PKS1_PKii
		.amdhsa_group_segment_fixed_size 32
		.amdhsa_private_segment_fixed_size 0
		.amdhsa_kernarg_size 304
		.amdhsa_user_sgpr_count 14
		.amdhsa_user_sgpr_dispatch_ptr 0
		.amdhsa_user_sgpr_queue_ptr 0
		.amdhsa_user_sgpr_kernarg_segment_ptr 1
		.amdhsa_user_sgpr_dispatch_id 0
		.amdhsa_user_sgpr_private_segment_size 0
		.amdhsa_wavefront_size32 1
		.amdhsa_uses_dynamic_stack 0
		.amdhsa_enable_private_segment 0
		.amdhsa_system_sgpr_workgroup_id_x 1
		.amdhsa_system_sgpr_workgroup_id_y 1
		.amdhsa_system_sgpr_workgroup_id_z 0
		.amdhsa_system_sgpr_workgroup_info 0
		.amdhsa_system_vgpr_workitem_id 0
		.amdhsa_next_free_vgpr 19
		.amdhsa_next_free_sgpr 29
		.amdhsa_reserve_vcc 1
		.amdhsa_float_round_mode_32 0
		.amdhsa_float_round_mode_16_64 0
		.amdhsa_float_denorm_mode_32 3
		.amdhsa_float_denorm_mode_16_64 3
		.amdhsa_dx10_clamp 1
		.amdhsa_ieee_mode 1
		.amdhsa_fp16_overflow 0
		.amdhsa_workgroup_processor_mode 1
		.amdhsa_memory_ordered 1
		.amdhsa_forward_progress 0
		.amdhsa_shared_vgpr_count 0
		.amdhsa_exception_fp_ieee_invalid_op 0
		.amdhsa_exception_fp_denorm_src 0
		.amdhsa_exception_fp_ieee_div_zero 0
		.amdhsa_exception_fp_ieee_overflow 0
		.amdhsa_exception_fp_ieee_underflow 0
		.amdhsa_exception_fp_ieee_inexact 0
		.amdhsa_exception_int_div_zero 0
	.end_amdhsa_kernel
	.section	.text._ZN4vllm32paged_attention_v2_reduce_kernelIfLi64ELi128ELi512EEEvPT_PKfS4_PKS1_PKii,"axG",@progbits,_ZN4vllm32paged_attention_v2_reduce_kernelIfLi64ELi128ELi512EEEvPT_PKfS4_PKS1_PKii,comdat
.Lfunc_end3:
	.size	_ZN4vllm32paged_attention_v2_reduce_kernelIfLi64ELi128ELi512EEEvPT_PKfS4_PKS1_PKii, .Lfunc_end3-_ZN4vllm32paged_attention_v2_reduce_kernelIfLi64ELi128ELi512EEEvPT_PKfS4_PKS1_PKii
                                        ; -- End function
	.section	.AMDGPU.csdata,"",@progbits
; Kernel info:
; codeLenInByte = 2020
; NumSgprs: 31
; NumVgprs: 19
; ScratchSize: 0
; MemoryBound: 0
; FloatMode: 240
; IeeeMode: 1
; LDSByteSize: 32 bytes/workgroup (compile time only)
; SGPRBlocks: 3
; VGPRBlocks: 2
; NumSGPRsForWavesPerEU: 31
; NumVGPRsForWavesPerEU: 19
; Occupancy: 16
; WaveLimiterHint : 0
; COMPUTE_PGM_RSRC2:SCRATCH_EN: 0
; COMPUTE_PGM_RSRC2:USER_SGPR: 14
; COMPUTE_PGM_RSRC2:TRAP_HANDLER: 0
; COMPUTE_PGM_RSRC2:TGID_X_EN: 1
; COMPUTE_PGM_RSRC2:TGID_Y_EN: 1
; COMPUTE_PGM_RSRC2:TGID_Z_EN: 0
; COMPUTE_PGM_RSRC2:TIDIG_COMP_CNT: 0
	.section	.text._ZN4vllm25paged_attention_v2_kernelIffLi80ELi8ELi128ELNS_18Fp8KVCacheDataTypeE0ELb1ELi512EEEvPfS2_PT_PKS3_PKT0_S9_ifPKiSB_iPKfiiiSD_SD_iiiii,"axG",@progbits,_ZN4vllm25paged_attention_v2_kernelIffLi80ELi8ELi128ELNS_18Fp8KVCacheDataTypeE0ELb1ELi512EEEvPfS2_PT_PKS3_PKT0_S9_ifPKiSB_iPKfiiiSD_SD_iiiii,comdat
	.protected	_ZN4vllm25paged_attention_v2_kernelIffLi80ELi8ELi128ELNS_18Fp8KVCacheDataTypeE0ELb1ELi512EEEvPfS2_PT_PKS3_PKT0_S9_ifPKiSB_iPKfiiiSD_SD_iiiii ; -- Begin function _ZN4vllm25paged_attention_v2_kernelIffLi80ELi8ELi128ELNS_18Fp8KVCacheDataTypeE0ELb1ELi512EEEvPfS2_PT_PKS3_PKT0_S9_ifPKiSB_iPKfiiiSD_SD_iiiii
	.globl	_ZN4vllm25paged_attention_v2_kernelIffLi80ELi8ELi128ELNS_18Fp8KVCacheDataTypeE0ELb1ELi512EEEvPfS2_PT_PKS3_PKT0_S9_ifPKiSB_iPKfiiiSD_SD_iiiii
	.p2align	8
	.type	_ZN4vllm25paged_attention_v2_kernelIffLi80ELi8ELi128ELNS_18Fp8KVCacheDataTypeE0ELb1ELi512EEEvPfS2_PT_PKS3_PKT0_S9_ifPKiSB_iPKfiiiSD_SD_iiiii,@function
_ZN4vllm25paged_attention_v2_kernelIffLi80ELi8ELi128ELNS_18Fp8KVCacheDataTypeE0ELb1ELi512EEEvPfS2_PT_PKS3_PKT0_S9_ifPKiSB_iPKfiiiSD_SD_iiiii: ; @_ZN4vllm25paged_attention_v2_kernelIffLi80ELi8ELi128ELNS_18Fp8KVCacheDataTypeE0ELb1ELi512EEEvPfS2_PT_PKS3_PKT0_S9_ifPKiSB_iPKfiiiSD_SD_iiiii
; %bb.0:
	s_load_b64 s[2:3], s[0:1], 0x40
	s_mov_b32 s12, s15
	s_ashr_i32 s15, s14, 31
	s_delay_alu instid0(SALU_CYCLE_1)
	s_lshl_b64 s[4:5], s[14:15], 2
	s_waitcnt lgkmcnt(0)
	s_add_u32 s2, s2, s4
	s_addc_u32 s3, s3, s5
	s_lshl_b32 s38, s12, 9
	s_load_b32 s15, s[2:3], 0x0
	s_waitcnt lgkmcnt(0)
	s_cmp_ge_i32 s38, s15
	s_cbranch_scc1 .LBB4_74
; %bb.1:
	s_mov_b32 s24, s13
	s_clause 0x1
	s_load_b32 s13, s[0:1], 0x90
	s_load_b64 s[36:37], s[0:1], 0x30
	s_mov_b32 s40, 0
	s_waitcnt lgkmcnt(0)
	s_abs_i32 s5, s13
	s_abs_i32 s2, s36
	s_delay_alu instid0(SALU_CYCLE_1) | instskip(SKIP_1) | instid1(VALU_DEP_1)
	v_cvt_f32_u32_e32 v1, s2
	s_sub_i32 s4, 0, s2
	v_rcp_iflag_f32_e32 v1, v1
	s_waitcnt_depctr 0xfff
	v_mul_f32_e32 v1, 0x4f7ffffe, v1
	s_delay_alu instid0(VALU_DEP_1) | instskip(NEXT) | instid1(VALU_DEP_1)
	v_cvt_u32_f32_e32 v1, v1
	v_readfirstlane_b32 s3, v1
	s_delay_alu instid0(VALU_DEP_1) | instskip(NEXT) | instid1(SALU_CYCLE_1)
	s_mul_i32 s4, s4, s3
	s_mul_hi_u32 s4, s3, s4
	s_delay_alu instid0(SALU_CYCLE_1) | instskip(SKIP_4) | instid1(SALU_CYCLE_1)
	s_add_i32 s3, s3, s4
	s_xor_b32 s4, s13, s36
	s_mul_hi_u32 s3, s5, s3
	s_ashr_i32 s4, s4, 31
	s_mul_i32 s6, s3, s2
	s_sub_i32 s5, s5, s6
	s_add_i32 s6, s3, 1
	s_sub_i32 s7, s5, s2
	s_cmp_ge_u32 s5, s2
	s_cselect_b32 s3, s6, s3
	s_cselect_b32 s5, s7, s5
	s_add_i32 s6, s3, 1
	s_cmp_ge_u32 s5, s2
	s_cselect_b32 s2, s6, s3
	s_abs_i32 s17, s24
	s_xor_b32 s2, s2, s4
	s_delay_alu instid0(SALU_CYCLE_1) | instskip(SKIP_2) | instid1(SALU_CYCLE_1)
	s_sub_i32 s8, s2, s4
	s_load_b64 s[2:3], s[0:1], 0x50
	s_abs_i32 s16, s8
	v_cvt_f32_u32_e32 v1, s16
	s_sub_i32 s5, 0, s16
	s_delay_alu instid0(VALU_DEP_1) | instskip(SKIP_2) | instid1(VALU_DEP_1)
	v_rcp_iflag_f32_e32 v1, v1
	s_waitcnt_depctr 0xfff
	v_mul_f32_e32 v1, 0x4f7ffffe, v1
	v_cvt_u32_f32_e32 v1, v1
	s_delay_alu instid0(VALU_DEP_1) | instskip(NEXT) | instid1(VALU_DEP_1)
	v_readfirstlane_b32 s4, v1
	s_mul_i32 s5, s5, s4
	s_delay_alu instid0(SALU_CYCLE_1) | instskip(NEXT) | instid1(SALU_CYCLE_1)
	s_mul_hi_u32 s5, s4, s5
	s_add_i32 s4, s4, s5
	s_waitcnt lgkmcnt(0)
	s_cmp_eq_u64 s[2:3], 0
	s_mul_hi_u32 s18, s17, s4
	s_cbranch_scc1 .LBB4_3
; %bb.2:
	s_ashr_i32 s25, s24, 31
	s_delay_alu instid0(SALU_CYCLE_1) | instskip(NEXT) | instid1(SALU_CYCLE_1)
	s_lshl_b64 s[4:5], s[24:25], 2
	s_add_u32 s2, s2, s4
	s_addc_u32 s3, s3, s5
	s_load_b32 s40, s[2:3], 0x0
.LBB4_3:
	s_load_b128 s[4:7], s[0:1], 0x58
	v_and_b32_e32 v1, 3, v0
	v_lshlrev_b32_e32 v6, 2, v0
	s_ashr_i32 s2, s24, 31
	s_ashr_i32 s3, s8, 31
	s_mul_i32 s20, s24, 0x50
	s_waitcnt lgkmcnt(0)
	s_mov_b32 s7, exec_lo
	v_cmpx_gt_u32_e32 0x50, v0
	s_cbranch_execz .LBB4_5
; %bb.4:
	s_load_b64 s[8:9], s[0:1], 0x18
	s_mul_i32 s10, s14, s4
	v_and_b32_e32 v3, 0x3fc, v0
	s_ashr_i32 s11, s10, 31
	s_delay_alu instid0(SALU_CYCLE_1) | instskip(NEXT) | instid1(VALU_DEP_1)
	s_lshl_b64 s[10:11], s[10:11], 2
	v_mad_u32_u24 v3, 0x50, v1, v3
	s_waitcnt lgkmcnt(0)
	s_add_u32 s4, s8, s10
	s_addc_u32 s10, s9, s11
	s_ashr_i32 s21, s20, 31
	s_delay_alu instid0(SALU_CYCLE_1) | instskip(NEXT) | instid1(SALU_CYCLE_1)
	s_lshl_b64 s[8:9], s[20:21], 2
	s_add_u32 s8, s4, s8
	s_addc_u32 s9, s10, s9
	global_load_b32 v2, v6, s[8:9]
	s_waitcnt vmcnt(0)
	ds_store_b32 v3, v2
.LBB4_5:
	s_or_b32 exec_lo, exec_lo, s7
	s_load_b128 s[8:11], s[0:1], 0x78
	s_mul_i32 s4, s18, s16
	s_xor_b32 s2, s2, s3
	s_sub_i32 s3, s17, s4
	s_add_i32 s4, s18, 1
	s_sub_i32 s7, s3, s16
	s_cmp_ge_u32 s3, s16
	s_mov_b32 s17, -1
	s_cselect_b32 s4, s4, s18
	s_cselect_b32 s3, s7, s3
	s_add_i32 s7, s4, 1
	s_cmp_ge_u32 s3, s16
	s_waitcnt lgkmcnt(0)
	s_cselect_b32 s3, s7, s4
	s_load_b32 s4, s[0:1], 0x88
	s_xor_b32 s3, s3, s2
	s_add_i32 s16, s15, -1
	s_sub_i32 s3, s3, s2
	s_abs_i32 s7, s16
	s_waitcnt lgkmcnt(0)
	s_barrier
	s_abs_i32 s21, s11
	buffer_gl0_inv
	v_cvt_f32_u32_e32 v2, s21
	s_sub_i32 s2, 0, s21
                                        ; implicit-def: $sgpr33
	s_delay_alu instid0(VALU_DEP_1) | instskip(SKIP_2) | instid1(VALU_DEP_1)
	v_rcp_iflag_f32_e32 v2, v2
	s_waitcnt_depctr 0xfff
	v_mul_f32_e32 v2, 0x4f7ffffe, v2
	v_cvt_u32_f32_e32 v2, v2
	s_delay_alu instid0(VALU_DEP_1) | instskip(NEXT) | instid1(VALU_DEP_1)
	v_readfirstlane_b32 s25, v2
	s_mul_i32 s2, s2, s25
	s_delay_alu instid0(SALU_CYCLE_1) | instskip(NEXT) | instid1(SALU_CYCLE_1)
	s_mul_hi_u32 s2, s25, s2
	s_add_i32 s25, s25, s2
	s_cmp_lt_i32 s4, 0
	s_mul_hi_u32 s2, s7, s25
	s_cbranch_scc0 .LBB4_7
; %bb.6:
	s_mul_i32 s17, s8, s36
	s_delay_alu instid0(SALU_CYCLE_1) | instskip(NEXT) | instid1(SALU_CYCLE_1)
	s_add_i32 s17, s3, s17
	s_mul_i32 s17, s17, s4
	s_delay_alu instid0(SALU_CYCLE_1)
	s_sub_i32 s33, 1, s17
	s_mov_b32 s17, 0
.LBB4_7:
	s_load_b64 s[26:27], s[0:1], 0x38
	s_ashr_i32 s28, s16, 31
	s_and_not1_b32 vcc_lo, exec_lo, s17
	s_ashr_i32 s11, s11, 31
	s_cbranch_vccnz .LBB4_9
; %bb.8:
	s_mul_i32 s8, s13, s8
	s_delay_alu instid0(SALU_CYCLE_1) | instskip(NEXT) | instid1(SALU_CYCLE_1)
	s_add_i32 s8, s8, s24
	s_mul_i32 s4, s8, s4
	s_delay_alu instid0(SALU_CYCLE_1)
	s_add_i32 s33, s4, 1
.LBB4_9:
	s_clause 0x4
	s_load_b32 s8, s[0:1], 0x48
	s_load_b64 s[30:31], s[0:1], 0x28
	s_load_b32 s4, s[0:1], 0x98
	s_load_b128 s[16:19], s[0:1], 0x0
	s_load_b64 s[22:23], s[0:1], 0x10
	s_xor_b32 s34, s28, s11
	s_mul_i32 s28, s2, s21
	s_add_i32 s35, s2, 1
	s_sub_i32 s7, s7, s28
	v_lshrrev_b32_e32 v33, 5, v0
	v_mov_b32_e32 v4, 0xff7fffff
	v_mbcnt_lo_u32_b32 v3, -1, 0
	s_delay_alu instid0(VALU_DEP_3)
	v_lshl_add_u32 v34, v33, 3, s38
	s_waitcnt lgkmcnt(0)
	s_mul_i32 s28, s14, s8
	s_sub_i32 s8, s7, s21
	s_ashr_i32 s29, s28, 31
	s_cmp_ge_u32 s7, s21
	s_cselect_b32 s2, s35, s2
	s_cselect_b32 s7, s8, s7
	s_add_i32 s8, s2, 1
	s_cmp_ge_u32 s7, s21
	s_cselect_b32 s2, s8, s2
	s_add_i32 s8, s15, 7
	s_lshl_b32 s7, s12, 6
	s_ashr_i32 s35, s8, 31
	v_or_b32_e32 v30, s7, v33
	s_lshr_b32 s35, s35, 29
	s_xor_b32 s39, s2, s34
	s_add_i32 s8, s8, s35
	s_add_i32 s35, s7, 64
	s_ashr_i32 s36, s8, 3
	v_ashrrev_i32_e32 v31, 31, v30
	s_min_i32 s8, s35, s36
	s_sub_i32 s39, s39, s34
	v_cmp_gt_i32_e64 s2, s8, v30
	s_mul_i32 s34, s3, s6
	s_delay_alu instid0(VALU_DEP_1)
	s_and_saveexec_b32 s6, s2
	s_cbranch_execz .LBB4_19
; %bb.10:
	s_load_b64 s[0:1], s[0:1], 0x20
	s_ashr_i32 s35, s34, 31
	v_bfe_u32 v5, v0, 2, 3
	s_lshl_b64 s[42:43], s[34:35], 2
	s_sub_i32 s35, s39, s9
	v_cmp_eq_u32_e32 vcc_lo, 0, v1
	v_dual_mov_b32 v9, 0xff7fffff :: v_dual_lshlrev_b32 v14, 2, v1
	v_subrev_nc_u32_e32 v15, s15, v5
	v_lshlrev_b32_e32 v18, 4, v5
	v_mul_u32_u24_e32 v7, 0x50, v1
	v_lshl_add_u32 v8, v33, 3, s38
	v_xor_b32_e32 v10, 2, v3
	v_xor_b32_e32 v11, 1, v3
	s_waitcnt lgkmcnt(0)
	s_add_u32 s3, s0, s42
	s_addc_u32 s1, s1, s43
	s_abs_i32 s41, s10
	v_cmp_neq_f32_e64 s0, s40, 0
	v_cvt_f32_u32_e32 v2, s41
	s_sub_i32 s42, 0, s41
	s_delay_alu instid0(VALU_DEP_1)
	v_rcp_iflag_f32_e32 v4, v2
	v_lshlrev_b32_e32 v12, 2, v5
	v_lshlrev_b64 v[1:2], 2, v[30:31]
	s_waitcnt_depctr 0xfff
	v_mul_f32_e32 v13, 0x4f7ffffe, v4
	v_lshl_or_b32 v16, v33, 5, v12
	v_add_nc_u32_e32 v12, 1, v15
	v_mov_b32_e32 v4, 0xff7fffff
	s_delay_alu instid0(VALU_DEP_4) | instskip(NEXT) | instid1(VALU_DEP_4)
	v_cvt_u32_f32_e32 v17, v13
	v_add_nc_u32_e32 v13, 0x160, v16
	v_add_co_u32 v16, s3, s3, v18
	s_delay_alu instid0(VALU_DEP_1) | instskip(NEXT) | instid1(VALU_DEP_4)
	v_add_co_ci_u32_e64 v18, null, s1, 0, s3
	v_mul_lo_u32 v15, s42, v17
	s_lshl_b64 s[42:43], s[28:29], 2
	s_delay_alu instid0(SALU_CYCLE_1) | instskip(SKIP_2) | instid1(VALU_DEP_1)
	s_add_u32 s1, s26, s42
	s_addc_u32 s3, s27, s43
	v_add_co_u32 v1, s1, s1, v1
	v_add_co_ci_u32_e64 v2, s1, s3, v2, s1
	s_delay_alu instid0(VALU_DEP_3) | instskip(SKIP_1) | instid1(VALU_DEP_1)
	v_mul_hi_u32 v19, v17, v15
	v_add_co_u32 v14, s1, v16, v14
	v_add_co_ci_u32_e64 v15, s1, 0, v18, s1
	s_mov_b32 s42, 0
	s_mov_b32 s43, s5
	s_delay_alu instid0(VALU_DEP_3)
	v_dual_mov_b32 v17, v30 :: v_dual_add_nc_u32 v16, v17, v19
	s_branch .LBB4_13
.LBB4_11:                               ;   in Loop: Header=BB4_13 Depth=1
	s_or_b32 exec_lo, exec_lo, s44
.LBB4_12:                               ;   in Loop: Header=BB4_13 Depth=1
	s_delay_alu instid0(SALU_CYCLE_1) | instskip(SKIP_2) | instid1(VALU_DEP_1)
	s_or_b32 exec_lo, exec_lo, s3
	v_add_nc_u32_e32 v17, 4, v17
	v_add_co_u32 v1, s3, v1, 16
	v_add_co_ci_u32_e64 v2, s3, 0, v2, s3
	s_delay_alu instid0(VALU_DEP_3) | instskip(SKIP_2) | instid1(VALU_DEP_3)
	v_cmp_le_i32_e64 s1, s8, v17
	v_add_nc_u32_e32 v8, 32, v8
	v_add_nc_u32_e32 v13, 0x80, v13
	s_or_b32 s42, s1, s42
	s_delay_alu instid0(SALU_CYCLE_1)
	s_and_not1_b32 exec_lo, exec_lo, s42
	s_cbranch_execz .LBB4_18
.LBB4_13:                               ; =>This Inner Loop Header: Depth=1
	v_sub_nc_u32_e32 v18, 0, v8
	s_delay_alu instid0(VALU_DEP_1) | instskip(SKIP_1) | instid1(VALU_DEP_1)
	v_max_i32_e32 v18, v8, v18
	s_waitcnt lgkmcnt(0)
	v_mul_hi_u32 v19, v18, s25
	s_delay_alu instid0(VALU_DEP_1) | instskip(NEXT) | instid1(VALU_DEP_1)
	v_mul_lo_u32 v20, v19, s21
	v_sub_nc_u32_e32 v18, v18, v20
	v_add_nc_u32_e32 v20, 1, v19
	s_delay_alu instid0(VALU_DEP_2) | instskip(SKIP_1) | instid1(VALU_DEP_1)
	v_subrev_nc_u32_e32 v21, s21, v18
	v_cmp_le_u32_e64 s1, s21, v18
	v_cndmask_b32_e64 v19, v19, v20, s1
	s_delay_alu instid0(VALU_DEP_3) | instskip(SKIP_1) | instid1(VALU_DEP_3)
	v_cndmask_b32_e64 v18, v18, v21, s1
	v_ashrrev_i32_e32 v20, 31, v8
	v_add_nc_u32_e32 v21, 1, v19
	s_delay_alu instid0(VALU_DEP_3) | instskip(NEXT) | instid1(VALU_DEP_3)
	v_cmp_le_u32_e64 s1, s21, v18
	v_xor_b32_e32 v20, s11, v20
	s_delay_alu instid0(VALU_DEP_2) | instskip(NEXT) | instid1(VALU_DEP_1)
	v_cndmask_b32_e64 v18, v19, v21, s1
	v_xor_b32_e32 v18, v18, v20
	s_delay_alu instid0(VALU_DEP_1) | instskip(NEXT) | instid1(VALU_DEP_1)
	v_sub_nc_u32_e32 v18, v18, v20
	v_add_nc_u32_e32 v19, s33, v18
	v_cmp_ge_i32_e64 s3, s35, v18
	s_delay_alu instid0(VALU_DEP_2) | instskip(NEXT) | instid1(VALU_DEP_1)
	v_sub_nc_u32_e32 v20, 0, v19
	v_max_i32_e32 v20, v19, v20
	v_ashrrev_i32_e32 v19, 31, v19
	s_delay_alu instid0(VALU_DEP_2) | instskip(NEXT) | instid1(VALU_DEP_1)
	v_mul_hi_u32 v21, v20, v16
	v_mul_lo_u32 v21, v21, s41
	s_delay_alu instid0(VALU_DEP_1) | instskip(NEXT) | instid1(VALU_DEP_1)
	v_sub_nc_u32_e32 v20, v20, v21
	v_subrev_nc_u32_e32 v21, s41, v20
	v_cmp_le_u32_e64 s1, s41, v20
	s_delay_alu instid0(VALU_DEP_1) | instskip(NEXT) | instid1(VALU_DEP_1)
	v_cndmask_b32_e64 v20, v20, v21, s1
	v_subrev_nc_u32_e32 v21, s41, v20
	v_cmp_le_u32_e64 s1, s41, v20
	s_delay_alu instid0(VALU_DEP_1) | instskip(NEXT) | instid1(VALU_DEP_1)
	v_cndmask_b32_e64 v20, v20, v21, s1
	v_xor_b32_e32 v20, v20, v19
	s_delay_alu instid0(VALU_DEP_1) | instskip(NEXT) | instid1(VALU_DEP_1)
	v_sub_nc_u32_e32 v19, v20, v19
	v_cmp_ne_u32_e64 s1, 0, v19
	s_delay_alu instid0(VALU_DEP_1) | instskip(NEXT) | instid1(SALU_CYCLE_1)
	s_and_b32 s1, s1, s3
	s_and_b32 s44, vcc_lo, s1
	s_delay_alu instid0(SALU_CYCLE_1)
	s_and_saveexec_b32 s3, s44
	s_cbranch_execz .LBB4_15
; %bb.14:                               ;   in Loop: Header=BB4_13 Depth=1
	ds_store_b32 v13, v9
.LBB4_15:                               ;   in Loop: Header=BB4_13 Depth=1
	s_or_b32 exec_lo, exec_lo, s3
	s_xor_b32 s1, s1, -1
	s_delay_alu instid0(SALU_CYCLE_1)
	s_and_saveexec_b32 s3, s1
	s_cbranch_execz .LBB4_12
; %bb.16:                               ;   in Loop: Header=BB4_13 Depth=1
	global_load_b32 v20, v[1:2], off
	s_waitcnt vmcnt(0)
	v_mad_i64_i32 v[18:19], null, v20, s43, 0
	s_delay_alu instid0(VALU_DEP_1) | instskip(NEXT) | instid1(VALU_DEP_1)
	v_lshlrev_b64 v[18:19], 2, v[18:19]
	v_add_co_u32 v18, s1, v14, v18
	s_delay_alu instid0(VALU_DEP_1)
	v_add_co_ci_u32_e64 v19, s1, v15, v19, s1
	v_cmp_gt_i32_e64 s1, 32, v10
	s_clause 0x13
	global_load_b32 v26, v[18:19], off offset:128
	global_load_b32 v27, v[18:19], off
	global_load_b32 v28, v[18:19], off offset:256
	global_load_b32 v29, v[18:19], off offset:384
	;; [unrolled: 1-line block ×18, first 2 shown]
	ds_load_b128 v[18:21], v7
	ds_load_b128 v[22:25], v7 offset:16
	s_waitcnt vmcnt(19) lgkmcnt(1)
	v_mul_f32_e32 v26, v19, v26
	s_waitcnt vmcnt(18)
	s_delay_alu instid0(VALU_DEP_1) | instskip(SKIP_1) | instid1(VALU_DEP_1)
	v_fmac_f32_e32 v26, v18, v27
	s_waitcnt vmcnt(17)
	v_fmac_f32_e32 v26, v20, v28
	s_waitcnt vmcnt(16)
	s_delay_alu instid0(VALU_DEP_1) | instskip(SKIP_4) | instid1(VALU_DEP_1)
	v_fmac_f32_e32 v26, v21, v29
	ds_load_b128 v[18:21], v7 offset:32
	s_waitcnt vmcnt(15) lgkmcnt(1)
	v_fmac_f32_e32 v26, v22, v32
	s_waitcnt vmcnt(14)
	v_fmac_f32_e32 v26, v23, v35
	s_waitcnt vmcnt(13)
	s_delay_alu instid0(VALU_DEP_1) | instskip(SKIP_1) | instid1(VALU_DEP_1)
	v_fmac_f32_e32 v26, v24, v36
	s_waitcnt vmcnt(12)
	v_fmac_f32_e32 v26, v25, v37
	ds_load_b128 v[22:25], v7 offset:48
	s_waitcnt vmcnt(11) lgkmcnt(1)
	v_fmac_f32_e32 v26, v18, v38
	s_waitcnt vmcnt(10)
	s_delay_alu instid0(VALU_DEP_1) | instskip(SKIP_1) | instid1(VALU_DEP_1)
	v_fmac_f32_e32 v26, v19, v39
	s_waitcnt vmcnt(9)
	v_fmac_f32_e32 v26, v20, v40
	s_waitcnt vmcnt(8)
	s_delay_alu instid0(VALU_DEP_1) | instskip(SKIP_4) | instid1(VALU_DEP_1)
	v_fmac_f32_e32 v26, v21, v41
	ds_load_b128 v[18:21], v7 offset:64
	s_waitcnt vmcnt(7) lgkmcnt(1)
	v_fmac_f32_e32 v26, v22, v42
	s_waitcnt vmcnt(6)
	v_fmac_f32_e32 v26, v23, v43
	s_waitcnt vmcnt(5)
	s_delay_alu instid0(VALU_DEP_1) | instskip(SKIP_1) | instid1(VALU_DEP_1)
	v_fmac_f32_e32 v26, v24, v44
	s_waitcnt vmcnt(4)
	v_fmac_f32_e32 v26, v25, v45
	s_waitcnt vmcnt(3) lgkmcnt(0)
	s_delay_alu instid0(VALU_DEP_1) | instskip(SKIP_3) | instid1(VALU_DEP_3)
	v_fmac_f32_e32 v26, v18, v46
	v_cndmask_b32_e64 v18, v3, v10, s1
	v_cmp_gt_i32_e64 s1, 32, v11
	s_waitcnt vmcnt(2)
	v_fmac_f32_e32 v26, v19, v47
	s_delay_alu instid0(VALU_DEP_3) | instskip(NEXT) | instid1(VALU_DEP_3)
	v_lshlrev_b32_e32 v18, 2, v18
	v_cndmask_b32_e64 v19, v3, v11, s1
	s_waitcnt vmcnt(1)
	s_delay_alu instid0(VALU_DEP_1) | instskip(SKIP_1) | instid1(VALU_DEP_1)
	v_dual_fmac_f32 v26, v20, v48 :: v_dual_lshlrev_b32 v19, 2, v19
	s_waitcnt vmcnt(0)
	v_fmac_f32_e32 v26, v21, v49
	ds_bpermute_b32 v18, v18, v26
	s_waitcnt lgkmcnt(0)
	v_add_f32_e32 v18, v26, v18
	ds_bpermute_b32 v19, v19, v18
	s_and_saveexec_b32 s44, vcc_lo
	s_cbranch_execz .LBB4_11
; %bb.17:                               ;   in Loop: Header=BB4_13 Depth=1
	s_waitcnt lgkmcnt(0)
	v_add_f32_e32 v18, v18, v19
	v_add_nc_u32_e32 v20, v12, v8
	s_delay_alu instid0(VALU_DEP_1) | instskip(NEXT) | instid1(VALU_DEP_1)
	v_cvt_f32_i32_e32 v20, v20
	v_mul_f32_e32 v20, s40, v20
	s_delay_alu instid0(VALU_DEP_1) | instskip(NEXT) | instid1(VALU_DEP_1)
	v_cndmask_b32_e64 v19, 0, v20, s0
	v_dual_max_f32 v20, v4, v4 :: v_dual_fmac_f32 v19, s37, v18
	v_add_nc_u32_e32 v18, v5, v8
	s_delay_alu instid0(VALU_DEP_2) | instskip(NEXT) | instid1(VALU_DEP_2)
	v_max_f32_e32 v20, v20, v19
	v_cmp_gt_i32_e64 s1, s15, v18
	s_delay_alu instid0(VALU_DEP_1) | instskip(NEXT) | instid1(VALU_DEP_3)
	v_cndmask_b32_e64 v18, 0, v19, s1
	v_cndmask_b32_e64 v4, v4, v20, s1
	ds_store_b32 v13, v18
	s_branch .LBB4_11
.LBB4_18:
	s_or_b32 exec_lo, exec_lo, s42
.LBB4_19:
	s_delay_alu instid0(SALU_CYCLE_1) | instskip(SKIP_4) | instid1(VALU_DEP_4)
	s_or_b32 exec_lo, exec_lo, s6
	v_xor_b32_e32 v1, 16, v3
	v_xor_b32_e32 v5, 8, v3
	v_max_f32_e32 v7, v4, v4
	v_and_b32_e32 v35, 31, v0
	v_cmp_gt_i32_e32 vcc_lo, 32, v1
	v_cndmask_b32_e32 v1, v3, v1, vcc_lo
	v_cmp_gt_i32_e32 vcc_lo, 32, v5
	s_delay_alu instid0(VALU_DEP_2) | instskip(SKIP_3) | instid1(VALU_DEP_1)
	v_lshlrev_b32_e32 v2, 2, v1
	ds_bpermute_b32 v1, v2, v4
	v_cndmask_b32_e32 v4, v3, v5, vcc_lo
	s_waitcnt lgkmcnt(0)
	v_dual_max_f32 v1, v1, v1 :: v_dual_lshlrev_b32 v4, 2, v4
	s_delay_alu instid0(VALU_DEP_1)
	v_max_f32_e32 v1, v7, v1
	v_xor_b32_e32 v7, 4, v3
	ds_bpermute_b32 v5, v4, v1
	v_cmp_gt_i32_e32 vcc_lo, 32, v7
	v_cndmask_b32_e32 v7, v3, v7, vcc_lo
	v_cmp_eq_u32_e32 vcc_lo, 0, v35
	s_waitcnt lgkmcnt(0)
	s_delay_alu instid0(VALU_DEP_2) | instskip(NEXT) | instid1(VALU_DEP_1)
	v_dual_max_f32 v5, v5, v5 :: v_dual_lshlrev_b32 v8, 2, v7
	v_max_f32_e32 v1, v1, v5
	v_lshlrev_b32_e32 v5, 2, v33
	ds_bpermute_b32 v7, v8, v1
	s_and_saveexec_b32 s0, vcc_lo
	s_cbranch_execz .LBB4_21
; %bb.20:
	s_waitcnt lgkmcnt(0)
	v_max_f32_e32 v7, v7, v7
	v_max_f32_e32 v1, v1, v1
	s_delay_alu instid0(VALU_DEP_1)
	v_max_f32_e32 v1, v1, v7
	ds_store_b32 v5, v1 offset:320
.LBB4_21:
	s_or_b32 exec_lo, exec_lo, s0
	v_cmp_gt_u32_e64 s0, 4, v35
	v_mov_b32_e32 v1, 0xff7fffff
	s_waitcnt lgkmcnt(0)
	v_lshlrev_b32_e32 v7, 2, v35
	s_barrier
	buffer_gl0_inv
	s_and_saveexec_b32 s1, s0
	s_cbranch_execz .LBB4_23
; %bb.22:
	ds_load_b32 v1, v7 offset:320
.LBB4_23:
	s_or_b32 exec_lo, exec_lo, s1
	v_xor_b32_e32 v9, 2, v3
	v_xor_b32_e32 v11, 1, v3
	s_delay_alu instid0(VALU_DEP_2) | instskip(NEXT) | instid1(VALU_DEP_1)
	v_cmp_gt_i32_e64 s1, 32, v9
	v_cndmask_b32_e64 v9, v3, v9, s1
	s_delay_alu instid0(VALU_DEP_3) | instskip(NEXT) | instid1(VALU_DEP_2)
	v_cmp_gt_i32_e64 s1, 32, v11
	v_lshlrev_b32_e32 v9, 2, v9
	s_delay_alu instid0(VALU_DEP_2) | instskip(SKIP_1) | instid1(SALU_CYCLE_1)
	v_cndmask_b32_e64 v3, v3, v11, s1
	s_sub_i32 s1, s8, s7
	s_lshl_b32 s1, s1, 3
	s_waitcnt lgkmcnt(0)
	ds_bpermute_b32 v10, v9, v1
	v_dual_max_f32 v1, v1, v1 :: v_dual_lshlrev_b32 v36, 2, v3
	s_add_i32 s1, s1, s38
	s_delay_alu instid0(SALU_CYCLE_1) | instskip(NEXT) | instid1(SALU_CYCLE_1)
	s_min_i32 s1, s1, s15
	s_sub_i32 s6, s1, s38
	s_delay_alu instid0(SALU_CYCLE_1) | instskip(SKIP_2) | instid1(VALU_DEP_1)
	v_cmp_gt_i32_e64 s1, s6, v0
	s_waitcnt lgkmcnt(0)
	v_max_f32_e32 v10, v10, v10
	v_dual_max_f32 v1, v1, v10 :: v_dual_mov_b32 v10, 0
	ds_bpermute_b32 v3, v36, v1
	s_waitcnt lgkmcnt(0)
	v_max_f32_e32 v3, v3, v3
	s_delay_alu instid0(VALU_DEP_1)
	v_max_f32_e32 v1, v1, v3
	v_lshl_add_u32 v3, v0, 2, 0x160
	ds_bpermute_b32 v1, v10, v1
	s_and_saveexec_b32 s7, s1
	s_cbranch_execz .LBB4_27
; %bb.24:
	v_lshl_add_u32 v11, v0, 2, 0x160
	v_mov_b32_e32 v10, 0
	v_mov_b32_e32 v12, v0
	s_mov_b32 s35, 0
	.p2align	6
.LBB4_25:                               ; =>This Inner Loop Header: Depth=1
	ds_load_b32 v13, v11
	v_add_nc_u32_e32 v12, 0x80, v12
	s_delay_alu instid0(VALU_DEP_1) | instskip(NEXT) | instid1(VALU_DEP_1)
	v_cmp_le_i32_e64 s3, s6, v12
	s_or_b32 s35, s3, s35
	s_waitcnt lgkmcnt(0)
	v_sub_f32_e32 v13, v13, v1
	s_delay_alu instid0(VALU_DEP_1) | instskip(NEXT) | instid1(VALU_DEP_1)
	v_mul_f32_e32 v13, 0x3fb8aa3b, v13
	v_exp_f32_e32 v13, v13
	ds_store_b32 v11, v13
	v_dual_add_f32 v10, v10, v13 :: v_dual_add_nc_u32 v11, 0x200, v11
	s_and_not1_b32 exec_lo, exec_lo, s35
	s_cbranch_execnz .LBB4_25
; %bb.26:
	s_or_b32 exec_lo, exec_lo, s35
.LBB4_27:
	s_delay_alu instid0(SALU_CYCLE_1)
	s_or_b32 exec_lo, exec_lo, s7
	ds_bpermute_b32 v2, v2, v10
	s_waitcnt lgkmcnt(0)
	v_add_f32_e32 v2, v10, v2
	ds_bpermute_b32 v4, v4, v2
	s_waitcnt lgkmcnt(0)
	v_add_f32_e32 v2, v2, v4
	;; [unrolled: 3-line block ×5, first 2 shown]
	s_and_saveexec_b32 s3, vcc_lo
	s_cbranch_execz .LBB4_29
; %bb.28:
	ds_store_b32 v5, v2 offset:336
.LBB4_29:
	s_or_b32 exec_lo, exec_lo, s3
	s_waitcnt lgkmcnt(0)
	s_barrier
	buffer_gl0_inv
	s_and_saveexec_b32 s3, s0
	s_cbranch_execz .LBB4_31
; %bb.30:
	ds_load_b32 v2, v7 offset:336
.LBB4_31:
	s_or_b32 exec_lo, exec_lo, s3
	s_waitcnt lgkmcnt(0)
	ds_bpermute_b32 v4, v9, v2
	s_waitcnt lgkmcnt(0)
	v_add_f32_e32 v2, v2, v4
	ds_bpermute_b32 v4, v36, v2
	s_waitcnt lgkmcnt(0)
	v_add_f32_e32 v2, v2, v4
	v_mov_b32_e32 v4, 0
	ds_bpermute_b32 v2, v4, v2
	s_and_saveexec_b32 s0, s1
	s_cbranch_execz .LBB4_34
; %bb.32:
	s_waitcnt lgkmcnt(0)
	v_add_f32_e32 v4, 0x358637bd, v2
	s_mov_b32 s1, 0
	s_delay_alu instid0(VALU_DEP_1) | instskip(NEXT) | instid1(VALU_DEP_1)
	v_div_scale_f32 v5, null, v4, v4, 1.0
	v_rcp_f32_e32 v7, v5
	s_waitcnt_depctr 0xfff
	v_fma_f32 v8, -v5, v7, 1.0
	s_delay_alu instid0(VALU_DEP_1) | instskip(SKIP_1) | instid1(VALU_DEP_1)
	v_fmac_f32_e32 v7, v8, v7
	v_div_scale_f32 v9, vcc_lo, 1.0, v4, 1.0
	v_mul_f32_e32 v8, v9, v7
	s_delay_alu instid0(VALU_DEP_1) | instskip(NEXT) | instid1(VALU_DEP_1)
	v_fma_f32 v10, -v5, v8, v9
	v_fmac_f32_e32 v8, v10, v7
	s_delay_alu instid0(VALU_DEP_1) | instskip(NEXT) | instid1(VALU_DEP_1)
	v_fma_f32 v5, -v5, v8, v9
	v_div_fmas_f32 v5, v5, v7, v8
	s_delay_alu instid0(VALU_DEP_1)
	v_div_fixup_f32 v4, v5, v4, 1.0
	v_mov_b32_e32 v5, v0
.LBB4_33:                               ; =>This Inner Loop Header: Depth=1
	ds_load_b32 v7, v3
	v_add_nc_u32_e32 v5, 0x80, v5
	s_delay_alu instid0(VALU_DEP_1)
	v_cmp_le_i32_e32 vcc_lo, s6, v5
	s_or_b32 s1, vcc_lo, s1
	s_waitcnt lgkmcnt(0)
	v_mul_f32_e32 v7, v4, v7
	ds_store_b32 v3, v7
	v_add_nc_u32_e32 v3, 0x200, v3
	s_and_not1_b32 exec_lo, exec_lo, s1
	s_cbranch_execnz .LBB4_33
.LBB4_34:
	s_or_b32 exec_lo, exec_lo, s0
	s_mul_i32 s0, s4, s14
	s_waitcnt lgkmcnt(0)
	s_mul_i32 s6, s0, s13
	s_mov_b32 s0, exec_lo
	s_barrier
	buffer_gl0_inv
	v_cmpx_eq_u32_e32 0, v0
	s_cbranch_execz .LBB4_36
; %bb.35:
	s_ashr_i32 s7, s6, 31
	s_mul_i32 s42, s4, s24
	s_lshl_b64 s[40:41], s[6:7], 2
	v_mov_b32_e32 v3, 0
	s_add_u32 s1, s18, s40
	s_addc_u32 s3, s19, s41
	s_ashr_i32 s43, s42, 31
	s_delay_alu instid0(SALU_CYCLE_1) | instskip(NEXT) | instid1(SALU_CYCLE_1)
	s_lshl_b64 s[18:19], s[42:43], 2
	s_add_u32 s1, s1, s18
	s_addc_u32 s3, s3, s19
	s_ashr_i32 s13, s12, 31
	s_delay_alu instid0(SALU_CYCLE_1) | instskip(NEXT) | instid1(SALU_CYCLE_1)
	s_lshl_b64 s[42:43], s[12:13], 2
	s_add_u32 s44, s1, s42
	s_addc_u32 s45, s3, s43
	s_add_u32 s1, s16, s40
	s_addc_u32 s3, s17, s41
	;; [unrolled: 2-line block ×4, first 2 shown]
	s_clause 0x1
	global_store_b32 v3, v1, s[44:45]
	global_store_b32 v3, v2, s[16:17]
.LBB4_36:
	s_or_b32 exec_lo, exec_lo, s0
	v_dual_mov_b32 v5, 0 :: v_dual_mov_b32 v4, 0
	v_dual_mov_b32 v2, 0 :: v_dual_and_b32 v37, 1, v0
	v_mov_b32_e32 v3, 0
	v_mov_b32_e32 v1, 0
	s_mov_b32 s3, 0
	s_and_saveexec_b32 s1, s2
	s_cbranch_execz .LBB4_52
; %bb.37:
	s_ashr_i32 s35, s34, 31
	s_sub_i32 s2, s39, s9
	s_lshl_b64 s[16:17], s[34:35], 2
	s_mov_b32 s40, 0
	s_add_u32 s0, s30, s16
	s_addc_u32 s9, s31, s17
	s_abs_i32 s7, s10
	s_mov_b32 s41, s40
	v_cvt_f32_u32_e32 v1, s7
	s_sub_i32 s10, 0, s7
	s_mov_b32 s42, s40
	s_mov_b32 s43, s40
	;; [unrolled: 1-line block ×3, first 2 shown]
	v_rcp_iflag_f32_e32 v1, v1
	v_and_b32_e32 v38, 4, v6
	v_lshlrev_b32_e32 v4, 4, v0
	v_lshlrev_b32_e32 v5, 4, v37
	s_lshl_b64 s[16:17], s[28:29], 2
	s_add_i32 s36, s36, -1
	s_delay_alu instid0(VALU_DEP_2) | instskip(NEXT) | instid1(VALU_DEP_2)
	v_and_b32_e32 v4, 0x1f0, v4
	v_lshl_or_b32 v5, v33, 5, v5
	s_waitcnt_depctr 0xfff
	v_mul_f32_e32 v3, 0x4f7ffffe, v1
	v_lshlrev_b64 v[1:2], 2, v[30:31]
	v_add_co_u32 v39, s0, s0, v4
	v_add_nc_u32_e32 v41, 0x160, v5
	s_delay_alu instid0(VALU_DEP_4) | instskip(SKIP_1) | instid1(VALU_DEP_2)
	v_cvt_u32_f32_e32 v3, v3
	v_add_co_ci_u32_e64 v40, null, s9, 0, s0
	v_mul_lo_u32 v6, s10, v3
	s_add_u32 s10, s26, s16
	s_addc_u32 s13, s27, s17
	v_add_co_u32 v31, vcc_lo, s10, v1
	v_add_co_ci_u32_e32 v32, vcc_lo, s13, v2, vcc_lo
	s_delay_alu instid0(VALU_DEP_3) | instskip(NEXT) | instid1(VALU_DEP_1)
	v_mul_hi_u32 v6, v3, v6
	v_dual_mov_b32 v1, s40 :: v_dual_add_nc_u32 v42, v3, v6
	v_dual_mov_b32 v2, s41 :: v_dual_mov_b32 v3, s42
	v_dual_mov_b32 v4, s43 :: v_dual_mov_b32 v5, s44
	s_branch .LBB4_40
.LBB4_38:                               ;   in Loop: Header=BB4_40 Depth=1
	s_or_b32 exec_lo, exec_lo, s0
	s_waitcnt vmcnt(1) lgkmcnt(0)
	v_mul_f32_e32 v23, v7, v23
	v_mul_f32_e32 v15, v7, v15
	;; [unrolled: 1-line block ×4, first 2 shown]
	s_waitcnt vmcnt(0)
	v_mul_f32_e32 v7, v7, v27
	v_fmac_f32_e32 v23, v6, v22
	v_fmac_f32_e32 v15, v6, v14
	;; [unrolled: 1-line block ×3, first 2 shown]
	s_delay_alu instid0(VALU_DEP_4) | instskip(NEXT) | instid1(VALU_DEP_4)
	v_fmac_f32_e32 v7, v6, v26
	v_fmac_f32_e32 v23, v8, v24
	s_delay_alu instid0(VALU_DEP_4) | instskip(NEXT) | instid1(VALU_DEP_4)
	v_fmac_f32_e32 v15, v8, v16
	v_fmac_f32_e32 v19, v8, v20
	;; [unrolled: 3-line block ×3, first 2 shown]
	v_fmac_f32_e32 v11, v6, v10
	v_fmac_f32_e32 v15, v9, v17
	;; [unrolled: 1-line block ×3, first 2 shown]
	s_delay_alu instid0(VALU_DEP_4) | instskip(NEXT) | instid1(VALU_DEP_3)
	v_dual_fmac_f32 v7, v9, v29 :: v_dual_add_f32 v4, v4, v23
	v_dual_fmac_f32 v11, v8, v12 :: v_dual_add_f32 v2, v2, v15
	s_delay_alu instid0(VALU_DEP_3) | instskip(NEXT) | instid1(VALU_DEP_3)
	v_add_f32_e32 v3, v3, v19
	v_add_f32_e32 v5, v5, v7
	s_delay_alu instid0(VALU_DEP_3) | instskip(NEXT) | instid1(VALU_DEP_1)
	v_fmac_f32_e32 v11, v9, v13
	v_add_f32_e32 v1, v1, v11
.LBB4_39:                               ;   in Loop: Header=BB4_40 Depth=1
	s_or_b32 exec_lo, exec_lo, s9
	v_add_nc_u32_e32 v30, 4, v30
	v_add_co_u32 v31, s0, v31, 16
	s_delay_alu instid0(VALU_DEP_1) | instskip(NEXT) | instid1(VALU_DEP_3)
	v_add_co_ci_u32_e64 v32, s0, 0, v32, s0
	v_cmp_le_i32_e32 vcc_lo, s8, v30
	v_add_nc_u32_e32 v34, 32, v34
	v_add_nc_u32_e32 v41, 0x80, v41
	s_or_b32 s3, vcc_lo, s3
	s_delay_alu instid0(SALU_CYCLE_1)
	s_and_not1_b32 exec_lo, exec_lo, s3
	s_cbranch_execz .LBB4_51
.LBB4_40:                               ; =>This Inner Loop Header: Depth=1
	v_sub_nc_u32_e32 v6, 0, v34
	s_delay_alu instid0(VALU_DEP_1) | instskip(NEXT) | instid1(VALU_DEP_1)
	v_max_i32_e32 v6, v34, v6
	v_mul_hi_u32 v7, v6, s25
	s_delay_alu instid0(VALU_DEP_1) | instskip(NEXT) | instid1(VALU_DEP_1)
	v_mul_lo_u32 v8, v7, s21
	v_sub_nc_u32_e32 v6, v6, v8
	v_add_nc_u32_e32 v8, 1, v7
	s_delay_alu instid0(VALU_DEP_2) | instskip(SKIP_1) | instid1(VALU_DEP_2)
	v_subrev_nc_u32_e32 v9, s21, v6
	v_cmp_le_u32_e32 vcc_lo, s21, v6
	v_dual_cndmask_b32 v7, v7, v8 :: v_dual_cndmask_b32 v6, v6, v9
	v_ashrrev_i32_e32 v8, 31, v34
	s_delay_alu instid0(VALU_DEP_2) | instskip(NEXT) | instid1(VALU_DEP_3)
	v_add_nc_u32_e32 v9, 1, v7
	v_cmp_le_u32_e32 vcc_lo, s21, v6
	s_delay_alu instid0(VALU_DEP_3) | instskip(NEXT) | instid1(VALU_DEP_3)
	v_xor_b32_e32 v8, s11, v8
	v_cndmask_b32_e32 v6, v7, v9, vcc_lo
	s_delay_alu instid0(VALU_DEP_1) | instskip(NEXT) | instid1(VALU_DEP_1)
	v_xor_b32_e32 v6, v6, v8
	v_sub_nc_u32_e32 v6, v6, v8
	s_delay_alu instid0(VALU_DEP_1) | instskip(SKIP_1) | instid1(VALU_DEP_2)
	v_add_nc_u32_e32 v7, s33, v6
	v_cmp_lt_i32_e64 s0, s2, v6
	v_sub_nc_u32_e32 v8, 0, v7
	s_delay_alu instid0(VALU_DEP_1) | instskip(NEXT) | instid1(VALU_DEP_1)
	v_max_i32_e32 v8, v7, v8
	v_mul_hi_u32 v9, v8, v42
	s_delay_alu instid0(VALU_DEP_1) | instskip(NEXT) | instid1(VALU_DEP_1)
	v_mul_lo_u32 v9, v9, s7
	v_sub_nc_u32_e32 v8, v8, v9
	s_delay_alu instid0(VALU_DEP_1) | instskip(SKIP_1) | instid1(VALU_DEP_2)
	v_subrev_nc_u32_e32 v9, s7, v8
	v_cmp_le_u32_e32 vcc_lo, s7, v8
	v_cndmask_b32_e32 v8, v8, v9, vcc_lo
	v_ashrrev_i32_e32 v7, 31, v7
	s_delay_alu instid0(VALU_DEP_2) | instskip(SKIP_1) | instid1(VALU_DEP_2)
	v_subrev_nc_u32_e32 v9, s7, v8
	v_cmp_le_u32_e32 vcc_lo, s7, v8
	v_cndmask_b32_e32 v8, v8, v9, vcc_lo
	s_delay_alu instid0(VALU_DEP_1) | instskip(NEXT) | instid1(VALU_DEP_1)
	v_xor_b32_e32 v8, v8, v7
	v_sub_nc_u32_e32 v7, v8, v7
	s_delay_alu instid0(VALU_DEP_1) | instskip(SKIP_1) | instid1(SALU_CYCLE_1)
	v_cmp_eq_u32_e32 vcc_lo, 0, v7
	s_or_b32 s0, vcc_lo, s0
	s_and_saveexec_b32 s9, s0
	s_cbranch_execz .LBB4_39
; %bb.41:                               ;   in Loop: Header=BB4_40 Depth=1
	global_load_b32 v8, v[31:32], off
	v_add_nc_u32_e32 v43, v38, v34
	s_delay_alu instid0(VALU_DEP_1) | instskip(SKIP_4) | instid1(VALU_DEP_1)
	v_add_nc_u32_e32 v46, 1, v43
	v_add_nc_u32_e32 v45, 2, v43
	;; [unrolled: 1-line block ×3, first 2 shown]
	s_waitcnt vmcnt(0)
	v_mad_i64_i32 v[6:7], null, v8, s5, 0
	v_lshlrev_b64 v[6:7], 2, v[6:7]
	s_delay_alu instid0(VALU_DEP_1) | instskip(NEXT) | instid1(VALU_DEP_2)
	v_add_co_u32 v26, vcc_lo, v39, v6
	v_add_co_ci_u32_e32 v27, vcc_lo, v40, v7, vcc_lo
	ds_load_b128 v[6:9], v41
	v_cmp_eq_u32_e32 vcc_lo, s36, v30
	global_load_b128 v[10:13], v[26:27], off
	s_and_saveexec_b32 s10, vcc_lo
	s_cbranch_execnz .LBB4_46
; %bb.42:                               ;   in Loop: Header=BB4_40 Depth=1
	s_or_b32 exec_lo, exec_lo, s10
	global_load_b128 v[14:17], v[26:27], off offset:512
	s_and_saveexec_b32 s10, vcc_lo
	s_cbranch_execnz .LBB4_47
.LBB4_43:                               ;   in Loop: Header=BB4_40 Depth=1
	s_or_b32 exec_lo, exec_lo, s10
	global_load_b128 v[18:21], v[26:27], off offset:1024
	s_and_saveexec_b32 s10, vcc_lo
	s_cbranch_execnz .LBB4_48
.LBB4_44:                               ;   in Loop: Header=BB4_40 Depth=1
	s_or_b32 exec_lo, exec_lo, s10
	global_load_b128 v[22:25], v[26:27], off offset:1536
	s_and_saveexec_b32 s10, vcc_lo
	s_cbranch_execnz .LBB4_49
.LBB4_45:                               ;   in Loop: Header=BB4_40 Depth=1
	s_or_b32 exec_lo, exec_lo, s10
	global_load_b128 v[26:29], v[26:27], off offset:2048
	s_and_saveexec_b32 s0, vcc_lo
	s_cbranch_execz .LBB4_38
	s_branch .LBB4_50
.LBB4_46:                               ;   in Loop: Header=BB4_40 Depth=1
	v_cmp_gt_i32_e64 s0, s15, v43
	s_waitcnt vmcnt(0)
	s_delay_alu instid0(VALU_DEP_1) | instskip(SKIP_1) | instid1(VALU_DEP_1)
	v_cndmask_b32_e64 v10, 0, v10, s0
	v_cmp_gt_i32_e64 s0, s15, v46
	v_cndmask_b32_e64 v11, 0, v11, s0
	v_cmp_gt_i32_e64 s0, s15, v45
	s_delay_alu instid0(VALU_DEP_1) | instskip(SKIP_1) | instid1(VALU_DEP_1)
	v_cndmask_b32_e64 v12, 0, v12, s0
	v_cmp_gt_i32_e64 s0, s15, v44
	v_cndmask_b32_e64 v13, 0, v13, s0
	s_or_b32 exec_lo, exec_lo, s10
	global_load_b128 v[14:17], v[26:27], off offset:512
	s_and_saveexec_b32 s10, vcc_lo
	s_cbranch_execz .LBB4_43
.LBB4_47:                               ;   in Loop: Header=BB4_40 Depth=1
	v_cmp_gt_i32_e64 s0, s15, v43
	s_waitcnt vmcnt(0)
	s_delay_alu instid0(VALU_DEP_1) | instskip(SKIP_1) | instid1(VALU_DEP_1)
	v_cndmask_b32_e64 v14, 0, v14, s0
	v_cmp_gt_i32_e64 s0, s15, v46
	v_cndmask_b32_e64 v15, 0, v15, s0
	v_cmp_gt_i32_e64 s0, s15, v45
	s_delay_alu instid0(VALU_DEP_1) | instskip(SKIP_1) | instid1(VALU_DEP_1)
	v_cndmask_b32_e64 v16, 0, v16, s0
	v_cmp_gt_i32_e64 s0, s15, v44
	v_cndmask_b32_e64 v17, 0, v17, s0
	s_or_b32 exec_lo, exec_lo, s10
	global_load_b128 v[18:21], v[26:27], off offset:1024
	s_and_saveexec_b32 s10, vcc_lo
	s_cbranch_execz .LBB4_44
.LBB4_48:                               ;   in Loop: Header=BB4_40 Depth=1
	v_cmp_gt_i32_e64 s0, s15, v43
	s_waitcnt vmcnt(0)
	s_delay_alu instid0(VALU_DEP_1) | instskip(SKIP_1) | instid1(VALU_DEP_1)
	v_cndmask_b32_e64 v18, 0, v18, s0
	v_cmp_gt_i32_e64 s0, s15, v46
	v_cndmask_b32_e64 v19, 0, v19, s0
	v_cmp_gt_i32_e64 s0, s15, v45
	s_delay_alu instid0(VALU_DEP_1) | instskip(SKIP_1) | instid1(VALU_DEP_1)
	v_cndmask_b32_e64 v20, 0, v20, s0
	v_cmp_gt_i32_e64 s0, s15, v44
	v_cndmask_b32_e64 v21, 0, v21, s0
	s_or_b32 exec_lo, exec_lo, s10
	global_load_b128 v[22:25], v[26:27], off offset:1536
	s_and_saveexec_b32 s10, vcc_lo
	s_cbranch_execz .LBB4_45
.LBB4_49:                               ;   in Loop: Header=BB4_40 Depth=1
	v_cmp_gt_i32_e64 s0, s15, v43
	s_waitcnt vmcnt(0)
	s_delay_alu instid0(VALU_DEP_1) | instskip(SKIP_1) | instid1(VALU_DEP_1)
	v_cndmask_b32_e64 v22, 0, v22, s0
	v_cmp_gt_i32_e64 s0, s15, v46
	v_cndmask_b32_e64 v23, 0, v23, s0
	v_cmp_gt_i32_e64 s0, s15, v45
	s_delay_alu instid0(VALU_DEP_1) | instskip(SKIP_1) | instid1(VALU_DEP_1)
	v_cndmask_b32_e64 v24, 0, v24, s0
	v_cmp_gt_i32_e64 s0, s15, v44
	v_cndmask_b32_e64 v25, 0, v25, s0
	s_or_b32 exec_lo, exec_lo, s10
	global_load_b128 v[26:29], v[26:27], off offset:2048
	s_and_saveexec_b32 s0, vcc_lo
	s_cbranch_execz .LBB4_38
.LBB4_50:                               ;   in Loop: Header=BB4_40 Depth=1
	v_cmp_gt_i32_e32 vcc_lo, s15, v43
	s_waitcnt vmcnt(0)
	v_cndmask_b32_e32 v26, 0, v26, vcc_lo
	v_cmp_gt_i32_e32 vcc_lo, s15, v46
	v_cndmask_b32_e32 v27, 0, v27, vcc_lo
	v_cmp_gt_i32_e32 vcc_lo, s15, v45
	v_cndmask_b32_e32 v28, 0, v28, vcc_lo
	v_cmp_gt_i32_e32 vcc_lo, s15, v44
	v_cndmask_b32_e32 v29, 0, v29, vcc_lo
	s_branch .LBB4_38
.LBB4_51:
	s_or_b32 exec_lo, exec_lo, s3
.LBB4_52:
	s_delay_alu instid0(SALU_CYCLE_1)
	s_or_b32 exec_lo, exec_lo, s1
	ds_bpermute_b32 v6, v36, v1
	ds_bpermute_b32 v10, v36, v2
	;; [unrolled: 1-line block ×5, first 2 shown]
	v_and_b32_e32 v7, 0x3c1, v0
	v_lshrrev_b32_e32 v8, 1, v35
	s_movk_i32 s0, 0x140
	s_waitcnt lgkmcnt(0)
	s_waitcnt_vscnt null, 0x0
	v_mad_u32_u24 v9, v33, s0, 0x160
	v_cmp_eq_u32_e32 vcc_lo, 64, v7
	s_barrier
	buffer_gl0_inv
	v_add_f32_e32 v7, v1, v6
	v_dual_add_f32 v6, v2, v10 :: v_dual_add_f32 v3, v3, v11
	v_add_f32_e32 v2, v4, v12
	v_dual_add_f32 v1, v5, v13 :: v_dual_lshlrev_b32 v4, 2, v8
	s_and_saveexec_b32 s0, vcc_lo
	s_cbranch_execz .LBB4_54
; %bb.53:
	s_delay_alu instid0(VALU_DEP_1)
	v_add3_u32 v5, v9, v4, 0xfffffd80
	ds_store_2addr_b32 v5, v7, v6 offset1:16
	ds_store_2addr_b32 v5, v3, v2 offset0:32 offset1:48
	ds_store_b32 v5, v1 offset:256
.LBB4_54:
	s_or_b32 exec_lo, exec_lo, s0
	v_cmp_eq_u32_e32 vcc_lo, 0, v37
	s_mov_b32 s1, exec_lo
	s_waitcnt lgkmcnt(0)
	s_barrier
	buffer_gl0_inv
	v_cmpx_gt_u32_e32 64, v0
	s_cbranch_execz .LBB4_62
; %bb.55:
	s_and_saveexec_b32 s0, vcc_lo
	s_cbranch_execnz .LBB4_75
; %bb.56:
	s_or_b32 exec_lo, exec_lo, s0
	s_and_saveexec_b32 s0, vcc_lo
	s_cbranch_execnz .LBB4_76
.LBB4_57:
	s_or_b32 exec_lo, exec_lo, s0
	s_and_saveexec_b32 s0, vcc_lo
	s_cbranch_execnz .LBB4_77
.LBB4_58:
	s_or_b32 exec_lo, exec_lo, s0
	s_and_saveexec_b32 s0, vcc_lo
	s_cbranch_execnz .LBB4_78
.LBB4_59:
	s_or_b32 exec_lo, exec_lo, s0
	s_and_saveexec_b32 s0, vcc_lo
	s_cbranch_execz .LBB4_61
.LBB4_60:
	v_lshl_add_u32 v5, v8, 2, v9
	ds_load_b32 v5, v5 offset:256
	s_waitcnt lgkmcnt(0)
	v_add_f32_e32 v1, v1, v5
.LBB4_61:
	s_or_b32 exec_lo, exec_lo, s0
.LBB4_62:
	s_delay_alu instid0(SALU_CYCLE_1)
	s_or_b32 exec_lo, exec_lo, s1
	v_and_b32_e32 v5, 0x3e1, v0
	s_mov_b32 s1, exec_lo
	s_barrier
	buffer_gl0_inv
	v_cmpx_eq_u32_e32 32, v5
	s_cbranch_execz .LBB4_64
; %bb.63:
	v_add3_u32 v4, v9, v4, 0xfffffec0
	ds_store_2addr_b32 v4, v7, v6 offset1:16
	ds_store_2addr_b32 v4, v3, v2 offset0:32 offset1:48
	ds_store_b32 v4, v1 offset:256
.LBB4_64:
	s_or_b32 exec_lo, exec_lo, s1
	s_delay_alu instid0(SALU_CYCLE_1)
	s_mov_b32 s1, exec_lo
	s_waitcnt lgkmcnt(0)
	s_barrier
	buffer_gl0_inv
	v_cmpx_gt_u32_e32 32, v0
	s_cbranch_execz .LBB4_72
; %bb.65:
	v_lshl_add_u32 v4, v8, 2, v9
	s_and_saveexec_b32 s0, vcc_lo
	s_cbranch_execnz .LBB4_79
; %bb.66:
	s_or_b32 exec_lo, exec_lo, s0
	s_and_saveexec_b32 s0, vcc_lo
	s_cbranch_execnz .LBB4_80
.LBB4_67:
	s_or_b32 exec_lo, exec_lo, s0
	s_and_saveexec_b32 s0, vcc_lo
	s_cbranch_execnz .LBB4_81
.LBB4_68:
	s_or_b32 exec_lo, exec_lo, s0
	s_and_saveexec_b32 s0, vcc_lo
	s_cbranch_execnz .LBB4_82
.LBB4_69:
	s_or_b32 exec_lo, exec_lo, s0
	s_and_saveexec_b32 s0, vcc_lo
	s_cbranch_execz .LBB4_71
.LBB4_70:
	ds_load_b32 v4, v4 offset:256
	s_waitcnt lgkmcnt(0)
	v_add_f32_e32 v1, v1, v4
.LBB4_71:
	s_or_b32 exec_lo, exec_lo, s0
.LBB4_72:
	s_delay_alu instid0(SALU_CYCLE_1)
	s_or_b32 exec_lo, exec_lo, s1
	s_barrier
	buffer_gl0_inv
	s_mov_b32 s0, exec_lo
	v_cmpx_eq_u32_e32 0, v5
	s_cbranch_execz .LBB4_74
; %bb.73:
	s_mul_i32 s0, s6, 0x50
	s_mul_i32 s2, s4, s20
	s_ashr_i32 s1, s0, 31
	v_lshlrev_b32_e32 v0, 1, v0
	s_lshl_b64 s[0:1], s[0:1], 2
	s_delay_alu instid0(SALU_CYCLE_1) | instskip(SKIP_2) | instid1(SALU_CYCLE_1)
	s_add_u32 s4, s22, s0
	s_addc_u32 s5, s23, s1
	s_ashr_i32 s3, s2, 31
	s_lshl_b64 s[0:1], s[2:3], 2
	s_mul_i32 s2, s12, 0x50
	s_add_u32 s4, s4, s0
	s_addc_u32 s5, s5, s1
	s_ashr_i32 s3, s2, 31
	s_delay_alu instid0(SALU_CYCLE_1) | instskip(NEXT) | instid1(SALU_CYCLE_1)
	s_lshl_b64 s[0:1], s[2:3], 2
	s_add_u32 s0, s4, s0
	s_addc_u32 s1, s5, s1
	s_clause 0x4
	global_store_b32 v0, v7, s[0:1]
	global_store_b32 v0, v6, s[0:1] offset:64
	global_store_b32 v0, v3, s[0:1] offset:128
	;; [unrolled: 1-line block ×4, first 2 shown]
.LBB4_74:
	s_nop 0
	s_sendmsg sendmsg(MSG_DEALLOC_VGPRS)
	s_endpgm
.LBB4_75:
	v_lshl_add_u32 v5, v8, 2, v9
	ds_load_b32 v5, v5
	s_waitcnt lgkmcnt(0)
	v_add_f32_e32 v7, v7, v5
	s_or_b32 exec_lo, exec_lo, s0
	s_and_saveexec_b32 s0, vcc_lo
	s_cbranch_execz .LBB4_57
.LBB4_76:
	v_lshl_add_u32 v5, v8, 2, v9
	ds_load_b32 v5, v5 offset:64
	s_waitcnt lgkmcnt(0)
	v_add_f32_e32 v6, v6, v5
	s_or_b32 exec_lo, exec_lo, s0
	s_and_saveexec_b32 s0, vcc_lo
	s_cbranch_execz .LBB4_58
.LBB4_77:
	v_lshl_add_u32 v5, v8, 2, v9
	ds_load_b32 v5, v5 offset:128
	s_waitcnt lgkmcnt(0)
	v_add_f32_e32 v3, v3, v5
	s_or_b32 exec_lo, exec_lo, s0
	s_and_saveexec_b32 s0, vcc_lo
	s_cbranch_execz .LBB4_59
.LBB4_78:
	v_lshl_add_u32 v5, v8, 2, v9
	ds_load_b32 v5, v5 offset:192
	s_waitcnt lgkmcnt(0)
	v_add_f32_e32 v2, v2, v5
	s_or_b32 exec_lo, exec_lo, s0
	s_and_saveexec_b32 s0, vcc_lo
	s_cbranch_execnz .LBB4_60
	s_branch .LBB4_61
.LBB4_79:
	ds_load_b32 v8, v4
	s_waitcnt lgkmcnt(0)
	v_add_f32_e32 v7, v7, v8
	s_or_b32 exec_lo, exec_lo, s0
	s_and_saveexec_b32 s0, vcc_lo
	s_cbranch_execz .LBB4_67
.LBB4_80:
	ds_load_b32 v8, v4 offset:64
	s_waitcnt lgkmcnt(0)
	v_add_f32_e32 v6, v6, v8
	s_or_b32 exec_lo, exec_lo, s0
	s_and_saveexec_b32 s0, vcc_lo
	s_cbranch_execz .LBB4_68
.LBB4_81:
	ds_load_b32 v8, v4 offset:128
	s_waitcnt lgkmcnt(0)
	v_add_f32_e32 v3, v3, v8
	s_or_b32 exec_lo, exec_lo, s0
	s_and_saveexec_b32 s0, vcc_lo
	s_cbranch_execz .LBB4_69
.LBB4_82:
	ds_load_b32 v8, v4 offset:192
	s_waitcnt lgkmcnt(0)
	v_add_f32_e32 v2, v2, v8
	s_or_b32 exec_lo, exec_lo, s0
	s_and_saveexec_b32 s0, vcc_lo
	s_cbranch_execnz .LBB4_70
	s_branch .LBB4_71
	.section	.rodata,"a",@progbits
	.p2align	6, 0x0
	.amdhsa_kernel _ZN4vllm25paged_attention_v2_kernelIffLi80ELi8ELi128ELNS_18Fp8KVCacheDataTypeE0ELb1ELi512EEEvPfS2_PT_PKS3_PKT0_S9_ifPKiSB_iPKfiiiSD_SD_iiiii
		.amdhsa_group_segment_fixed_size 352
		.amdhsa_private_segment_fixed_size 0
		.amdhsa_kernarg_size 400
		.amdhsa_user_sgpr_count 13
		.amdhsa_user_sgpr_dispatch_ptr 0
		.amdhsa_user_sgpr_queue_ptr 0
		.amdhsa_user_sgpr_kernarg_segment_ptr 1
		.amdhsa_user_sgpr_dispatch_id 0
		.amdhsa_user_sgpr_private_segment_size 0
		.amdhsa_wavefront_size32 1
		.amdhsa_uses_dynamic_stack 0
		.amdhsa_enable_private_segment 0
		.amdhsa_system_sgpr_workgroup_id_x 1
		.amdhsa_system_sgpr_workgroup_id_y 1
		.amdhsa_system_sgpr_workgroup_id_z 1
		.amdhsa_system_sgpr_workgroup_info 0
		.amdhsa_system_vgpr_workitem_id 0
		.amdhsa_next_free_vgpr 50
		.amdhsa_next_free_sgpr 46
		.amdhsa_reserve_vcc 1
		.amdhsa_float_round_mode_32 0
		.amdhsa_float_round_mode_16_64 0
		.amdhsa_float_denorm_mode_32 3
		.amdhsa_float_denorm_mode_16_64 3
		.amdhsa_dx10_clamp 1
		.amdhsa_ieee_mode 1
		.amdhsa_fp16_overflow 0
		.amdhsa_workgroup_processor_mode 1
		.amdhsa_memory_ordered 1
		.amdhsa_forward_progress 0
		.amdhsa_shared_vgpr_count 0
		.amdhsa_exception_fp_ieee_invalid_op 0
		.amdhsa_exception_fp_denorm_src 0
		.amdhsa_exception_fp_ieee_div_zero 0
		.amdhsa_exception_fp_ieee_overflow 0
		.amdhsa_exception_fp_ieee_underflow 0
		.amdhsa_exception_fp_ieee_inexact 0
		.amdhsa_exception_int_div_zero 0
	.end_amdhsa_kernel
	.section	.text._ZN4vllm25paged_attention_v2_kernelIffLi80ELi8ELi128ELNS_18Fp8KVCacheDataTypeE0ELb1ELi512EEEvPfS2_PT_PKS3_PKT0_S9_ifPKiSB_iPKfiiiSD_SD_iiiii,"axG",@progbits,_ZN4vllm25paged_attention_v2_kernelIffLi80ELi8ELi128ELNS_18Fp8KVCacheDataTypeE0ELb1ELi512EEEvPfS2_PT_PKS3_PKT0_S9_ifPKiSB_iPKfiiiSD_SD_iiiii,comdat
.Lfunc_end4:
	.size	_ZN4vllm25paged_attention_v2_kernelIffLi80ELi8ELi128ELNS_18Fp8KVCacheDataTypeE0ELb1ELi512EEEvPfS2_PT_PKS3_PKT0_S9_ifPKiSB_iPKfiiiSD_SD_iiiii, .Lfunc_end4-_ZN4vllm25paged_attention_v2_kernelIffLi80ELi8ELi128ELNS_18Fp8KVCacheDataTypeE0ELb1ELi512EEEvPfS2_PT_PKS3_PKT0_S9_ifPKiSB_iPKfiiiSD_SD_iiiii
                                        ; -- End function
	.section	.AMDGPU.csdata,"",@progbits
; Kernel info:
; codeLenInByte = 5472
; NumSgprs: 48
; NumVgprs: 50
; ScratchSize: 0
; MemoryBound: 0
; FloatMode: 240
; IeeeMode: 1
; LDSByteSize: 352 bytes/workgroup (compile time only)
; SGPRBlocks: 5
; VGPRBlocks: 6
; NumSGPRsForWavesPerEU: 48
; NumVGPRsForWavesPerEU: 50
; Occupancy: 16
; WaveLimiterHint : 1
; COMPUTE_PGM_RSRC2:SCRATCH_EN: 0
; COMPUTE_PGM_RSRC2:USER_SGPR: 13
; COMPUTE_PGM_RSRC2:TRAP_HANDLER: 0
; COMPUTE_PGM_RSRC2:TGID_X_EN: 1
; COMPUTE_PGM_RSRC2:TGID_Y_EN: 1
; COMPUTE_PGM_RSRC2:TGID_Z_EN: 1
; COMPUTE_PGM_RSRC2:TIDIG_COMP_CNT: 0
	.section	.text._ZN4vllm32paged_attention_v2_reduce_kernelIfLi80ELi128ELi512EEEvPT_PKfS4_PKS1_PKii,"axG",@progbits,_ZN4vllm32paged_attention_v2_reduce_kernelIfLi80ELi128ELi512EEEvPT_PKfS4_PKS1_PKii,comdat
	.protected	_ZN4vllm32paged_attention_v2_reduce_kernelIfLi80ELi128ELi512EEEvPT_PKfS4_PKS1_PKii ; -- Begin function _ZN4vllm32paged_attention_v2_reduce_kernelIfLi80ELi128ELi512EEEvPT_PKfS4_PKS1_PKii
	.globl	_ZN4vllm32paged_attention_v2_reduce_kernelIfLi80ELi128ELi512EEEvPT_PKfS4_PKS1_PKii
	.p2align	8
	.type	_ZN4vllm32paged_attention_v2_reduce_kernelIfLi80ELi128ELi512EEEvPT_PKfS4_PKS1_PKii,@function
_ZN4vllm32paged_attention_v2_reduce_kernelIfLi80ELi128ELi512EEEvPT_PKfS4_PKS1_PKii: ; @_ZN4vllm32paged_attention_v2_reduce_kernelIfLi80ELi128ELi512EEEvPT_PKfS4_PKS1_PKii
; %bb.0:
	s_load_b128 s[4:7], s[0:1], 0x18
	s_add_u32 s8, s0, 48
	s_mov_b32 s10, s15
	s_addc_u32 s9, s1, 0
	s_ashr_i32 s11, s15, 31
	s_delay_alu instid0(SALU_CYCLE_1)
	s_lshl_b64 s[2:3], s[10:11], 2
	s_waitcnt lgkmcnt(0)
	s_add_u32 s2, s6, s2
	s_addc_u32 s3, s7, s3
	s_load_b32 s20, s[2:3], 0x0
	s_clause 0x2
	s_load_b64 s[6:7], s[0:1], 0x0
	s_load_b32 s11, s[0:1], 0x28
	s_load_b32 s15, s[0:1], 0x30
	s_waitcnt lgkmcnt(0)
	s_add_i32 s2, s20, -1
	s_delay_alu instid0(SALU_CYCLE_1)
	s_cmpk_gt_u32 s2, 0x1ff
	s_mov_b32 s2, -1
	s_cbranch_scc0 .LBB5_26
; %bb.1:
	s_load_b64 s[2:3], s[0:1], 0x8
	s_add_i32 s12, s20, 0x1ff
	s_mul_i32 s18, s15, s10
	s_ashr_i32 s13, s12, 31
	v_mov_b32_e32 v3, 0xff7fffff
	s_lshr_b32 s13, s13, 23
	s_mul_i32 s16, s14, s11
	s_add_i32 s12, s12, s13
	s_ashr_i32 s17, s16, 31
	s_ashr_i32 s19, s12, 9
	s_mul_i32 s12, s18, s11
	v_cmp_gt_i32_e32 vcc_lo, s19, v0
	s_ashr_i32 s13, s12, 31
	s_and_saveexec_b32 s21, vcc_lo
	s_cbranch_execz .LBB5_5
; %bb.2:
	s_load_b32 s28, s[8:9], 0xc
	s_load_b64 s[22:23], s[0:1], 0x10
	s_lshl_b64 s[24:25], s[12:13], 2
	s_lshl_b64 s[26:27], s[16:17], 2
	v_lshlrev_b32_e32 v1, 2, v0
	v_mov_b32_e32 v3, 0xff7fffff
	s_delay_alu instid0(VALU_DEP_2)
	v_dual_mov_b32 v5, v0 :: v_dual_add_nc_u32 v4, 32, v1
	s_waitcnt lgkmcnt(0)
	s_and_b32 s1, s28, 0xffff
	s_add_u32 s0, s24, s26
	s_addc_u32 s24, s25, s27
	s_add_u32 s0, s22, s0
	s_addc_u32 s22, s23, s24
	v_add_co_u32 v1, s0, s0, v1
	s_delay_alu instid0(VALU_DEP_1)
	v_add_co_ci_u32_e64 v2, null, s22, 0, s0
	s_mov_b32 s22, 0
	s_lshl_b32 s23, s1, 2
	.p2align	6
.LBB5_3:                                ; =>This Inner Loop Header: Depth=1
	global_load_b32 v6, v[1:2], off
	v_add_nc_u32_e32 v5, s1, v5
	v_max_f32_e32 v3, v3, v3
	v_add_co_u32 v1, s0, v1, s23
	s_delay_alu instid0(VALU_DEP_1) | instskip(NEXT) | instid1(VALU_DEP_4)
	v_add_co_ci_u32_e64 v2, s0, 0, v2, s0
	v_cmp_le_i32_e64 s0, s19, v5
	s_delay_alu instid0(VALU_DEP_1)
	s_or_b32 s22, s0, s22
	s_waitcnt vmcnt(0)
	v_max_f32_e32 v7, v6, v6
	ds_store_b32 v4, v6
	v_dual_max_f32 v3, v3, v7 :: v_dual_add_nc_u32 v4, s23, v4
	s_and_not1_b32 exec_lo, exec_lo, s22
	s_cbranch_execnz .LBB5_3
; %bb.4:
	s_or_b32 exec_lo, exec_lo, s22
.LBB5_5:
	s_delay_alu instid0(SALU_CYCLE_1)
	s_or_b32 exec_lo, exec_lo, s21
	v_mbcnt_lo_u32_b32 v1, -1, 0
	s_waitcnt lgkmcnt(0)
	s_barrier
	buffer_gl0_inv
	v_xor_b32_e32 v2, 16, v1
	v_xor_b32_e32 v4, 8, v1
	s_delay_alu instid0(VALU_DEP_2) | instskip(NEXT) | instid1(VALU_DEP_1)
	v_cmp_gt_i32_e64 s0, 32, v2
	v_cndmask_b32_e64 v2, v1, v2, s0
	s_delay_alu instid0(VALU_DEP_3) | instskip(NEXT) | instid1(VALU_DEP_2)
	v_cmp_gt_i32_e64 s0, 32, v4
	v_lshlrev_b32_e32 v5, 2, v2
	s_delay_alu instid0(VALU_DEP_2) | instskip(SKIP_4) | instid1(VALU_DEP_2)
	v_cndmask_b32_e64 v4, v1, v4, s0
	ds_bpermute_b32 v2, v5, v3
	v_lshlrev_b32_e32 v6, 2, v4
	v_xor_b32_e32 v4, 4, v1
	v_max_f32_e32 v3, v3, v3
	v_cmp_gt_i32_e64 s0, 32, v4
	s_delay_alu instid0(VALU_DEP_1) | instskip(NEXT) | instid1(VALU_DEP_1)
	v_cndmask_b32_e64 v4, v1, v4, s0
	v_lshlrev_b32_e32 v7, 2, v4
	v_xor_b32_e32 v4, 2, v1
	s_waitcnt lgkmcnt(0)
	v_max_f32_e32 v2, v2, v2
	s_delay_alu instid0(VALU_DEP_2) | instskip(NEXT) | instid1(VALU_DEP_2)
	v_cmp_gt_i32_e64 s0, 32, v4
	v_max_f32_e32 v2, v3, v2
	s_delay_alu instid0(VALU_DEP_2) | instskip(SKIP_3) | instid1(VALU_DEP_1)
	v_cndmask_b32_e64 v4, v1, v4, s0
	ds_bpermute_b32 v3, v6, v2
	s_waitcnt lgkmcnt(0)
	v_max_f32_e32 v3, v3, v3
	v_max_f32_e32 v2, v2, v3
	ds_bpermute_b32 v3, v7, v2
	s_waitcnt lgkmcnt(0)
	v_dual_max_f32 v8, v3, v3 :: v_dual_lshlrev_b32 v3, 2, v4
	s_delay_alu instid0(VALU_DEP_1) | instskip(SKIP_3) | instid1(VALU_DEP_1)
	v_max_f32_e32 v2, v2, v8
	v_xor_b32_e32 v8, 1, v1
	ds_bpermute_b32 v4, v3, v2
	v_cmp_gt_i32_e64 s0, 32, v8
	v_cndmask_b32_e64 v1, v1, v8, s0
	v_lshrrev_b32_e32 v8, 5, v0
	s_delay_alu instid0(VALU_DEP_1) | instskip(SKIP_2) | instid1(VALU_DEP_1)
	v_lshlrev_b32_e32 v8, 2, v8
	s_waitcnt lgkmcnt(0)
	v_max_f32_e32 v4, v4, v4
	v_max_f32_e32 v2, v2, v4
	v_lshlrev_b32_e32 v4, 2, v1
	v_and_b32_e32 v1, 31, v0
	ds_bpermute_b32 v9, v4, v2
	v_cmp_eq_u32_e64 s0, 0, v1
	s_delay_alu instid0(VALU_DEP_1)
	s_and_saveexec_b32 s1, s0
	s_cbranch_execz .LBB5_7
; %bb.6:
	s_waitcnt lgkmcnt(0)
	v_dual_max_f32 v9, v9, v9 :: v_dual_max_f32 v2, v2, v2
	s_delay_alu instid0(VALU_DEP_1)
	v_max_f32_e32 v2, v2, v9
	ds_store_b32 v8, v2
.LBB5_7:
	s_or_b32 exec_lo, exec_lo, s1
	v_cmp_gt_u32_e64 s1, 4, v1
	s_waitcnt lgkmcnt(0)
	v_dual_mov_b32 v2, 0xff7fffff :: v_dual_lshlrev_b32 v9, 2, v1
	s_barrier
	buffer_gl0_inv
	s_and_saveexec_b32 s21, s1
	s_cbranch_execz .LBB5_9
; %bb.8:
	ds_load_b32 v2, v9
.LBB5_9:
	s_or_b32 exec_lo, exec_lo, s21
	s_waitcnt lgkmcnt(0)
	ds_bpermute_b32 v1, v3, v2
	v_max_f32_e32 v2, v2, v2
	s_lshl_b32 s21, s19, 2
	v_mov_b32_e32 v11, 0
	s_waitcnt lgkmcnt(0)
	v_max_f32_e32 v1, v1, v1
	s_delay_alu instid0(VALU_DEP_1) | instskip(SKIP_3) | instid1(VALU_DEP_1)
	v_max_f32_e32 v1, v2, v1
	ds_bpermute_b32 v2, v4, v1
	s_waitcnt lgkmcnt(0)
	v_max_f32_e32 v2, v2, v2
	v_max_f32_e32 v1, v1, v2
	ds_bpermute_b32 v10, v11, v1
	s_and_saveexec_b32 s22, vcc_lo
	s_cbranch_execz .LBB5_13
; %bb.10:
	s_load_b32 s23, s[8:9], 0xc
	s_lshl_b64 s[24:25], s[12:13], 2
	s_lshl_b64 s[26:27], s[16:17], 2
	v_lshlrev_b32_e32 v1, 2, v0
	v_mov_b32_e32 v11, 0
	s_delay_alu instid0(VALU_DEP_2)
	v_dual_mov_b32 v13, v0 :: v_dual_add_nc_u32 v12, 32, v1
	s_waitcnt lgkmcnt(0)
	s_and_b32 s13, s23, 0xffff
	s_add_u32 s17, s24, s26
	s_addc_u32 s23, s25, s27
	s_add_u32 s2, s2, s17
	s_addc_u32 s3, s3, s23
	v_add_co_u32 v1, s2, s2, v1
	s_delay_alu instid0(VALU_DEP_1)
	v_add_co_ci_u32_e64 v2, null, s3, 0, s2
	s_mov_b32 s3, 0
	s_lshl_b32 s17, s13, 2
	s_set_inst_prefetch_distance 0x1
	.p2align	6
.LBB5_11:                               ; =>This Inner Loop Header: Depth=1
	global_load_b32 v14, v[1:2], off
	ds_load_b32 v15, v12
	v_add_nc_u32_e32 v13, s13, v13
	s_waitcnt lgkmcnt(0)
	v_sub_f32_e32 v15, v15, v10
	s_delay_alu instid0(VALU_DEP_1) | instskip(NEXT) | instid1(VALU_DEP_1)
	v_mul_f32_e32 v16, 0x3fb8aa3b, v15
	v_fma_f32 v17, 0x3fb8aa3b, v15, -v16
	v_rndne_f32_e32 v18, v16
	s_delay_alu instid0(VALU_DEP_1) | instskip(NEXT) | instid1(VALU_DEP_1)
	v_dual_fmac_f32 v17, 0x32a5705f, v15 :: v_dual_sub_f32 v16, v16, v18
	v_add_f32_e32 v16, v16, v17
	v_cvt_i32_f32_e32 v17, v18
	v_cmp_ngt_f32_e32 vcc_lo, 0xc2ce8ed0, v15
	v_cmp_nlt_f32_e64 s2, 0x42b17218, v15
	s_delay_alu instid0(VALU_DEP_4) | instskip(SKIP_3) | instid1(VALU_DEP_2)
	v_exp_f32_e32 v16, v16
	s_waitcnt_depctr 0xfff
	v_ldexp_f32 v16, v16, v17
	v_add_nc_u32_e32 v17, s21, v12
	v_cndmask_b32_e32 v16, 0, v16, vcc_lo
	v_add_co_u32 v1, vcc_lo, v1, s17
	v_add_co_ci_u32_e32 v2, vcc_lo, 0, v2, vcc_lo
	s_delay_alu instid0(VALU_DEP_3)
	v_cndmask_b32_e64 v15, 0x7f800000, v16, s2
	v_cmp_le_i32_e32 vcc_lo, s19, v13
	v_add_nc_u32_e32 v12, s17, v12
	s_or_b32 s3, vcc_lo, s3
	s_waitcnt vmcnt(0)
	v_fmac_f32_e32 v11, v14, v15
	v_mul_f32_e32 v16, v14, v15
	ds_store_b32 v17, v16
	s_and_not1_b32 exec_lo, exec_lo, s3
	s_cbranch_execnz .LBB5_11
; %bb.12:
	s_set_inst_prefetch_distance 0x2
	s_or_b32 exec_lo, exec_lo, s3
.LBB5_13:
	s_delay_alu instid0(SALU_CYCLE_1)
	s_or_b32 exec_lo, exec_lo, s22
	ds_bpermute_b32 v1, v5, v11
	s_waitcnt lgkmcnt(0)
	s_barrier
	buffer_gl0_inv
	v_add_f32_e32 v1, v11, v1
	ds_bpermute_b32 v2, v6, v1
	s_waitcnt lgkmcnt(0)
	v_add_f32_e32 v1, v1, v2
	ds_bpermute_b32 v2, v7, v1
	s_waitcnt lgkmcnt(0)
	;; [unrolled: 3-line block ×4, first 2 shown]
	v_add_f32_e32 v1, v1, v2
	s_and_saveexec_b32 s2, s0
	s_cbranch_execz .LBB5_15
; %bb.14:
	ds_store_b32 v8, v1 offset:16
.LBB5_15:
	s_or_b32 exec_lo, exec_lo, s2
	s_waitcnt lgkmcnt(0)
	s_barrier
	buffer_gl0_inv
	s_and_saveexec_b32 s0, s1
	s_cbranch_execz .LBB5_17
; %bb.16:
	ds_load_b32 v1, v9 offset:16
.LBB5_17:
	s_or_b32 exec_lo, exec_lo, s0
	s_waitcnt lgkmcnt(0)
	ds_bpermute_b32 v2, v3, v1
	s_mov_b32 s0, exec_lo
	s_waitcnt lgkmcnt(0)
	v_add_f32_e32 v1, v1, v2
	ds_bpermute_b32 v2, v4, v1
	s_waitcnt lgkmcnt(0)
	v_dual_add_f32 v1, v1, v2 :: v_dual_mov_b32 v2, 0
	ds_bpermute_b32 v2, v2, v1
	v_cmpx_gt_u32_e32 0x50, v0
	s_cbranch_execz .LBB5_25
; %bb.18:
	s_cmp_gt_i32 s20, 0
	s_mov_b32 s1, 0
	s_cbranch_scc1 .LBB5_20
; %bb.19:
	v_mov_b32_e32 v1, 0
	s_branch .LBB5_21
.LBB5_20:
	s_mov_b32 s1, -1
.LBB5_21:
	s_delay_alu instid0(SALU_CYCLE_1) | instskip(SKIP_1) | instid1(VALU_DEP_2)
	v_cndmask_b32_e64 v3, 0, 1, s1
	v_mov_b32_e32 v4, s1
	v_cmp_ne_u32_e32 vcc_lo, 1, v3
	s_cbranch_vccnz .LBB5_24
; %bb.22:
	s_waitcnt lgkmcnt(0)
	v_add_f32_e32 v4, 0x358637bd, v2
	s_mulk_i32 s12, 0x50
	s_mulk_i32 s16, 0x50
	s_ashr_i32 s13, s12, 31
	s_ashr_i32 s17, s16, 31
	v_div_scale_f32 v2, null, v4, v4, 1.0
	s_lshl_b64 s[12:13], s[12:13], 2
	s_lshl_b64 s[16:17], s[16:17], 2
	s_max_i32 s1, s19, 1
	s_delay_alu instid0(VALU_DEP_1)
	v_rcp_f32_e32 v3, v2
	s_add_i32 s2, s21, 32
	s_add_u32 s3, s12, s16
	s_addc_u32 s12, s13, s17
	s_add_u32 s3, s4, s3
	s_addc_u32 s12, s5, s12
	s_waitcnt_depctr 0xfff
	v_fma_f32 v1, -v2, v3, 1.0
	s_delay_alu instid0(VALU_DEP_1) | instskip(SKIP_1) | instid1(VALU_DEP_1)
	v_fmac_f32_e32 v3, v1, v3
	v_div_scale_f32 v5, vcc_lo, 1.0, v4, 1.0
	v_dual_mov_b32 v1, 0 :: v_dual_mul_f32 v6, v5, v3
	s_delay_alu instid0(VALU_DEP_1) | instskip(NEXT) | instid1(VALU_DEP_1)
	v_fma_f32 v7, -v2, v6, v5
	v_dual_fmac_f32 v6, v7, v3 :: v_dual_lshlrev_b32 v7, 2, v0
	s_delay_alu instid0(VALU_DEP_1) | instskip(NEXT) | instid1(VALU_DEP_1)
	v_fma_f32 v2, -v2, v6, v5
	v_div_fmas_f32 v5, v2, v3, v6
	s_delay_alu instid0(VALU_DEP_3) | instskip(NEXT) | instid1(VALU_DEP_1)
	v_add_co_u32 v2, s3, s3, v7
	v_add_co_ci_u32_e64 v3, null, s12, 0, s3
	s_delay_alu instid0(VALU_DEP_3)
	v_div_fixup_f32 v5, v5, v4, 1.0
	v_mov_b32_e32 v4, v1
.LBB5_23:                               ; =>This Inner Loop Header: Depth=1
	global_load_b32 v6, v[2:3], off
	v_mov_b32_e32 v7, s2
	v_add_co_u32 v2, vcc_lo, 0x140, v2
	v_add_co_ci_u32_e32 v3, vcc_lo, 0, v3, vcc_lo
	ds_load_b32 v7, v7
	s_add_i32 s1, s1, -1
	s_add_i32 s2, s2, 4
	s_cmp_eq_u32 s1, 0
	s_waitcnt vmcnt(0) lgkmcnt(0)
	v_mul_f32_e32 v6, v6, v7
	s_delay_alu instid0(VALU_DEP_1)
	v_fmac_f32_e32 v4, v5, v6
	s_cbranch_scc0 .LBB5_23
.LBB5_24:
	s_mul_i32 s2, s18, 0x50
	s_mul_i32 s12, s14, 0x50
	s_ashr_i32 s3, s2, 31
	s_waitcnt lgkmcnt(0)
	v_lshlrev_b64 v[1:2], 2, v[0:1]
	s_lshl_b64 s[2:3], s[2:3], 2
	s_delay_alu instid0(SALU_CYCLE_1) | instskip(SKIP_2) | instid1(SALU_CYCLE_1)
	s_add_u32 s1, s6, s2
	s_addc_u32 s16, s7, s3
	s_ashr_i32 s13, s12, 31
	s_lshl_b64 s[2:3], s[12:13], 2
	s_delay_alu instid0(SALU_CYCLE_1)
	s_add_u32 s1, s1, s2
	s_addc_u32 s2, s16, s3
	v_add_co_u32 v1, vcc_lo, s1, v1
	v_add_co_ci_u32_e32 v2, vcc_lo, s2, v2, vcc_lo
	global_store_b32 v[1:2], v4, off
.LBB5_25:
	s_or_b32 exec_lo, exec_lo, s0
	s_mov_b32 s2, 0
.LBB5_26:
	s_delay_alu instid0(SALU_CYCLE_1)
	s_and_b32 vcc_lo, exec_lo, s2
	s_cbranch_vccz .LBB5_30
; %bb.27:
	s_mov_b32 s0, exec_lo
	v_cmpx_gt_u32_e32 0x50, v0
	s_cbranch_execz .LBB5_30
; %bb.28:
	s_mul_i32 s0, s15, s10
	s_load_b32 s10, s[8:9], 0xc
	s_mulk_i32 s0, 0x50
	s_mul_i32 s12, s14, 0x50
	s_ashr_i32 s1, s0, 31
	s_mul_i32 s8, s12, s11
	s_lshl_b64 s[2:3], s[0:1], 2
	s_waitcnt lgkmcnt(0)
	v_dual_mov_b32 v2, 0 :: v_dual_lshlrev_b32 v1, 2, v0
	s_add_u32 s1, s6, s2
	s_addc_u32 s7, s7, s3
	s_ashr_i32 s13, s12, 31
	s_mul_i32 s6, s0, s11
	s_lshl_b64 s[2:3], s[12:13], 2
	s_delay_alu instid0(SALU_CYCLE_1) | instskip(SKIP_2) | instid1(SALU_CYCLE_1)
	s_add_u32 s1, s1, s2
	s_addc_u32 s2, s7, s3
	s_ashr_i32 s7, s6, 31
	s_lshl_b64 s[6:7], s[6:7], 2
	s_delay_alu instid0(SALU_CYCLE_1) | instskip(SKIP_2) | instid1(SALU_CYCLE_1)
	s_add_u32 s0, s4, s6
	s_addc_u32 s6, s5, s7
	s_ashr_i32 s9, s8, 31
	s_lshl_b64 s[4:5], s[8:9], 2
	s_delay_alu instid0(SALU_CYCLE_1)
	s_add_u32 s3, s0, s4
	s_addc_u32 s4, s6, s5
	s_and_b32 s5, s10, 0xffff
	s_mov_b32 s6, 0
	s_lshl_b32 s7, s5, 2
	.p2align	6
.LBB5_29:                               ; =>This Inner Loop Header: Depth=1
	v_add_co_u32 v3, vcc_lo, s3, v1
	v_add_co_ci_u32_e32 v4, vcc_lo, s4, v2, vcc_lo
	v_add_nc_u32_e32 v0, s5, v0
	global_load_b32 v5, v[3:4], off
	v_add_co_u32 v3, vcc_lo, s1, v1
	v_add_co_ci_u32_e32 v4, vcc_lo, s2, v2, vcc_lo
	v_cmp_lt_u32_e32 vcc_lo, 0x4f, v0
	v_add_co_u32 v1, s0, v1, s7
	s_delay_alu instid0(VALU_DEP_1)
	v_add_co_ci_u32_e64 v2, s0, 0, v2, s0
	s_or_b32 s6, vcc_lo, s6
	s_waitcnt vmcnt(0)
	global_store_b32 v[3:4], v5, off
	s_and_not1_b32 exec_lo, exec_lo, s6
	s_cbranch_execnz .LBB5_29
.LBB5_30:
	s_nop 0
	s_sendmsg sendmsg(MSG_DEALLOC_VGPRS)
	s_endpgm
	.section	.rodata,"a",@progbits
	.p2align	6, 0x0
	.amdhsa_kernel _ZN4vllm32paged_attention_v2_reduce_kernelIfLi80ELi128ELi512EEEvPT_PKfS4_PKS1_PKii
		.amdhsa_group_segment_fixed_size 32
		.amdhsa_private_segment_fixed_size 0
		.amdhsa_kernarg_size 304
		.amdhsa_user_sgpr_count 14
		.amdhsa_user_sgpr_dispatch_ptr 0
		.amdhsa_user_sgpr_queue_ptr 0
		.amdhsa_user_sgpr_kernarg_segment_ptr 1
		.amdhsa_user_sgpr_dispatch_id 0
		.amdhsa_user_sgpr_private_segment_size 0
		.amdhsa_wavefront_size32 1
		.amdhsa_uses_dynamic_stack 0
		.amdhsa_enable_private_segment 0
		.amdhsa_system_sgpr_workgroup_id_x 1
		.amdhsa_system_sgpr_workgroup_id_y 1
		.amdhsa_system_sgpr_workgroup_id_z 0
		.amdhsa_system_sgpr_workgroup_info 0
		.amdhsa_system_vgpr_workitem_id 0
		.amdhsa_next_free_vgpr 19
		.amdhsa_next_free_sgpr 29
		.amdhsa_reserve_vcc 1
		.amdhsa_float_round_mode_32 0
		.amdhsa_float_round_mode_16_64 0
		.amdhsa_float_denorm_mode_32 3
		.amdhsa_float_denorm_mode_16_64 3
		.amdhsa_dx10_clamp 1
		.amdhsa_ieee_mode 1
		.amdhsa_fp16_overflow 0
		.amdhsa_workgroup_processor_mode 1
		.amdhsa_memory_ordered 1
		.amdhsa_forward_progress 0
		.amdhsa_shared_vgpr_count 0
		.amdhsa_exception_fp_ieee_invalid_op 0
		.amdhsa_exception_fp_denorm_src 0
		.amdhsa_exception_fp_ieee_div_zero 0
		.amdhsa_exception_fp_ieee_overflow 0
		.amdhsa_exception_fp_ieee_underflow 0
		.amdhsa_exception_fp_ieee_inexact 0
		.amdhsa_exception_int_div_zero 0
	.end_amdhsa_kernel
	.section	.text._ZN4vllm32paged_attention_v2_reduce_kernelIfLi80ELi128ELi512EEEvPT_PKfS4_PKS1_PKii,"axG",@progbits,_ZN4vllm32paged_attention_v2_reduce_kernelIfLi80ELi128ELi512EEEvPT_PKfS4_PKS1_PKii,comdat
.Lfunc_end5:
	.size	_ZN4vllm32paged_attention_v2_reduce_kernelIfLi80ELi128ELi512EEEvPT_PKfS4_PKS1_PKii, .Lfunc_end5-_ZN4vllm32paged_attention_v2_reduce_kernelIfLi80ELi128ELi512EEEvPT_PKfS4_PKS1_PKii
                                        ; -- End function
	.section	.AMDGPU.csdata,"",@progbits
; Kernel info:
; codeLenInByte = 2024
; NumSgprs: 31
; NumVgprs: 19
; ScratchSize: 0
; MemoryBound: 0
; FloatMode: 240
; IeeeMode: 1
; LDSByteSize: 32 bytes/workgroup (compile time only)
; SGPRBlocks: 3
; VGPRBlocks: 2
; NumSGPRsForWavesPerEU: 31
; NumVGPRsForWavesPerEU: 19
; Occupancy: 16
; WaveLimiterHint : 0
; COMPUTE_PGM_RSRC2:SCRATCH_EN: 0
; COMPUTE_PGM_RSRC2:USER_SGPR: 14
; COMPUTE_PGM_RSRC2:TRAP_HANDLER: 0
; COMPUTE_PGM_RSRC2:TGID_X_EN: 1
; COMPUTE_PGM_RSRC2:TGID_Y_EN: 1
; COMPUTE_PGM_RSRC2:TGID_Z_EN: 0
; COMPUTE_PGM_RSRC2:TIDIG_COMP_CNT: 0
	.section	.text._ZN4vllm25paged_attention_v2_kernelIffLi96ELi8ELi128ELNS_18Fp8KVCacheDataTypeE0ELb1ELi512EEEvPfS2_PT_PKS3_PKT0_S9_ifPKiSB_iPKfiiiSD_SD_iiiii,"axG",@progbits,_ZN4vllm25paged_attention_v2_kernelIffLi96ELi8ELi128ELNS_18Fp8KVCacheDataTypeE0ELb1ELi512EEEvPfS2_PT_PKS3_PKT0_S9_ifPKiSB_iPKfiiiSD_SD_iiiii,comdat
	.protected	_ZN4vllm25paged_attention_v2_kernelIffLi96ELi8ELi128ELNS_18Fp8KVCacheDataTypeE0ELb1ELi512EEEvPfS2_PT_PKS3_PKT0_S9_ifPKiSB_iPKfiiiSD_SD_iiiii ; -- Begin function _ZN4vllm25paged_attention_v2_kernelIffLi96ELi8ELi128ELNS_18Fp8KVCacheDataTypeE0ELb1ELi512EEEvPfS2_PT_PKS3_PKT0_S9_ifPKiSB_iPKfiiiSD_SD_iiiii
	.globl	_ZN4vllm25paged_attention_v2_kernelIffLi96ELi8ELi128ELNS_18Fp8KVCacheDataTypeE0ELb1ELi512EEEvPfS2_PT_PKS3_PKT0_S9_ifPKiSB_iPKfiiiSD_SD_iiiii
	.p2align	8
	.type	_ZN4vllm25paged_attention_v2_kernelIffLi96ELi8ELi128ELNS_18Fp8KVCacheDataTypeE0ELb1ELi512EEEvPfS2_PT_PKS3_PKT0_S9_ifPKiSB_iPKfiiiSD_SD_iiiii,@function
_ZN4vllm25paged_attention_v2_kernelIffLi96ELi8ELi128ELNS_18Fp8KVCacheDataTypeE0ELb1ELi512EEEvPfS2_PT_PKS3_PKT0_S9_ifPKiSB_iPKfiiiSD_SD_iiiii: ; @_ZN4vllm25paged_attention_v2_kernelIffLi96ELi8ELi128ELNS_18Fp8KVCacheDataTypeE0ELb1ELi512EEEvPfS2_PT_PKS3_PKT0_S9_ifPKiSB_iPKfiiiSD_SD_iiiii
; %bb.0:
	s_load_b64 s[2:3], s[0:1], 0x40
	s_mov_b32 s12, s15
	s_ashr_i32 s15, s14, 31
	s_delay_alu instid0(SALU_CYCLE_1)
	s_lshl_b64 s[4:5], s[14:15], 2
	s_waitcnt lgkmcnt(0)
	s_add_u32 s2, s2, s4
	s_addc_u32 s3, s3, s5
	s_lshl_b32 s38, s12, 9
	s_load_b32 s15, s[2:3], 0x0
	s_waitcnt lgkmcnt(0)
	s_cmp_ge_i32 s38, s15
	s_cbranch_scc1 .LBB6_78
; %bb.1:
	s_mov_b32 s24, s13
	s_clause 0x1
	s_load_b32 s13, s[0:1], 0x90
	s_load_b64 s[36:37], s[0:1], 0x30
	s_mov_b32 s40, 0
	s_waitcnt lgkmcnt(0)
	s_abs_i32 s5, s13
	s_abs_i32 s2, s36
	s_delay_alu instid0(SALU_CYCLE_1) | instskip(SKIP_1) | instid1(VALU_DEP_1)
	v_cvt_f32_u32_e32 v1, s2
	s_sub_i32 s4, 0, s2
	v_rcp_iflag_f32_e32 v1, v1
	s_waitcnt_depctr 0xfff
	v_mul_f32_e32 v1, 0x4f7ffffe, v1
	s_delay_alu instid0(VALU_DEP_1) | instskip(NEXT) | instid1(VALU_DEP_1)
	v_cvt_u32_f32_e32 v1, v1
	v_readfirstlane_b32 s3, v1
	s_delay_alu instid0(VALU_DEP_1) | instskip(NEXT) | instid1(SALU_CYCLE_1)
	s_mul_i32 s4, s4, s3
	s_mul_hi_u32 s4, s3, s4
	s_delay_alu instid0(SALU_CYCLE_1) | instskip(SKIP_4) | instid1(SALU_CYCLE_1)
	s_add_i32 s3, s3, s4
	s_xor_b32 s4, s13, s36
	s_mul_hi_u32 s3, s5, s3
	s_ashr_i32 s4, s4, 31
	s_mul_i32 s6, s3, s2
	s_sub_i32 s5, s5, s6
	s_add_i32 s6, s3, 1
	s_sub_i32 s7, s5, s2
	s_cmp_ge_u32 s5, s2
	s_cselect_b32 s3, s6, s3
	s_cselect_b32 s5, s7, s5
	s_add_i32 s6, s3, 1
	s_cmp_ge_u32 s5, s2
	s_cselect_b32 s2, s6, s3
	s_abs_i32 s17, s24
	s_xor_b32 s2, s2, s4
	s_delay_alu instid0(SALU_CYCLE_1) | instskip(SKIP_2) | instid1(SALU_CYCLE_1)
	s_sub_i32 s8, s2, s4
	s_load_b64 s[2:3], s[0:1], 0x50
	s_abs_i32 s16, s8
	v_cvt_f32_u32_e32 v1, s16
	s_sub_i32 s5, 0, s16
	s_delay_alu instid0(VALU_DEP_1) | instskip(SKIP_2) | instid1(VALU_DEP_1)
	v_rcp_iflag_f32_e32 v1, v1
	s_waitcnt_depctr 0xfff
	v_mul_f32_e32 v1, 0x4f7ffffe, v1
	v_cvt_u32_f32_e32 v1, v1
	s_delay_alu instid0(VALU_DEP_1) | instskip(NEXT) | instid1(VALU_DEP_1)
	v_readfirstlane_b32 s4, v1
	s_mul_i32 s5, s5, s4
	s_delay_alu instid0(SALU_CYCLE_1) | instskip(NEXT) | instid1(SALU_CYCLE_1)
	s_mul_hi_u32 s5, s4, s5
	s_add_i32 s4, s4, s5
	s_waitcnt lgkmcnt(0)
	s_cmp_eq_u64 s[2:3], 0
	s_mul_hi_u32 s18, s17, s4
	s_cbranch_scc1 .LBB6_3
; %bb.2:
	s_ashr_i32 s25, s24, 31
	s_delay_alu instid0(SALU_CYCLE_1) | instskip(NEXT) | instid1(SALU_CYCLE_1)
	s_lshl_b64 s[4:5], s[24:25], 2
	s_add_u32 s2, s2, s4
	s_addc_u32 s3, s3, s5
	s_load_b32 s40, s[2:3], 0x0
.LBB6_3:
	s_load_b128 s[4:7], s[0:1], 0x58
	v_and_b32_e32 v1, 3, v0
	v_lshlrev_b32_e32 v3, 2, v0
	s_ashr_i32 s2, s24, 31
	s_ashr_i32 s3, s8, 31
	s_mul_i32 s20, s24, 0x60
	s_waitcnt lgkmcnt(0)
	s_mov_b32 s7, exec_lo
	v_cmpx_gt_u32_e32 0x60, v0
	s_cbranch_execz .LBB6_5
; %bb.4:
	s_load_b64 s[8:9], s[0:1], 0x18
	s_mul_i32 s10, s14, s4
	v_and_b32_e32 v4, 0x3fc, v0
	s_ashr_i32 s11, s10, 31
	s_delay_alu instid0(SALU_CYCLE_1) | instskip(NEXT) | instid1(VALU_DEP_1)
	s_lshl_b64 s[10:11], s[10:11], 2
	v_mad_u32_u24 v4, 0x60, v1, v4
	s_waitcnt lgkmcnt(0)
	s_add_u32 s4, s8, s10
	s_addc_u32 s10, s9, s11
	s_ashr_i32 s21, s20, 31
	s_delay_alu instid0(SALU_CYCLE_1) | instskip(NEXT) | instid1(SALU_CYCLE_1)
	s_lshl_b64 s[8:9], s[20:21], 2
	s_add_u32 s8, s4, s8
	s_addc_u32 s9, s10, s9
	global_load_b32 v2, v3, s[8:9]
	s_waitcnt vmcnt(0)
	ds_store_b32 v4, v2
.LBB6_5:
	s_or_b32 exec_lo, exec_lo, s7
	s_load_b128 s[8:11], s[0:1], 0x78
	s_mul_i32 s4, s18, s16
	s_xor_b32 s2, s2, s3
	s_sub_i32 s3, s17, s4
	s_add_i32 s4, s18, 1
	s_sub_i32 s7, s3, s16
	s_cmp_ge_u32 s3, s16
	s_mov_b32 s17, -1
	s_cselect_b32 s4, s4, s18
	s_cselect_b32 s3, s7, s3
	s_add_i32 s7, s4, 1
	s_cmp_ge_u32 s3, s16
	s_waitcnt lgkmcnt(0)
	s_cselect_b32 s3, s7, s4
	s_load_b32 s4, s[0:1], 0x88
	s_xor_b32 s3, s3, s2
	s_add_i32 s16, s15, -1
	s_sub_i32 s3, s3, s2
	s_abs_i32 s7, s16
	s_waitcnt lgkmcnt(0)
	s_barrier
	s_abs_i32 s21, s11
	buffer_gl0_inv
	v_cvt_f32_u32_e32 v2, s21
	s_sub_i32 s2, 0, s21
                                        ; implicit-def: $sgpr33
	s_delay_alu instid0(VALU_DEP_1) | instskip(SKIP_2) | instid1(VALU_DEP_1)
	v_rcp_iflag_f32_e32 v2, v2
	s_waitcnt_depctr 0xfff
	v_mul_f32_e32 v2, 0x4f7ffffe, v2
	v_cvt_u32_f32_e32 v2, v2
	s_delay_alu instid0(VALU_DEP_1) | instskip(NEXT) | instid1(VALU_DEP_1)
	v_readfirstlane_b32 s25, v2
	s_mul_i32 s2, s2, s25
	s_delay_alu instid0(SALU_CYCLE_1) | instskip(NEXT) | instid1(SALU_CYCLE_1)
	s_mul_hi_u32 s2, s25, s2
	s_add_i32 s25, s25, s2
	s_cmp_lt_i32 s4, 0
	s_mul_hi_u32 s2, s7, s25
	s_cbranch_scc0 .LBB6_7
; %bb.6:
	s_mul_i32 s17, s8, s36
	s_delay_alu instid0(SALU_CYCLE_1) | instskip(NEXT) | instid1(SALU_CYCLE_1)
	s_add_i32 s17, s3, s17
	s_mul_i32 s17, s17, s4
	s_delay_alu instid0(SALU_CYCLE_1)
	s_sub_i32 s33, 1, s17
	s_mov_b32 s17, 0
.LBB6_7:
	s_load_b64 s[26:27], s[0:1], 0x38
	s_ashr_i32 s28, s16, 31
	s_and_not1_b32 vcc_lo, exec_lo, s17
	s_ashr_i32 s11, s11, 31
	s_cbranch_vccnz .LBB6_9
; %bb.8:
	s_mul_i32 s8, s13, s8
	s_delay_alu instid0(SALU_CYCLE_1) | instskip(NEXT) | instid1(SALU_CYCLE_1)
	s_add_i32 s8, s8, s24
	s_mul_i32 s4, s8, s4
	s_delay_alu instid0(SALU_CYCLE_1)
	s_add_i32 s33, s4, 1
.LBB6_9:
	s_clause 0x4
	s_load_b32 s8, s[0:1], 0x48
	s_load_b64 s[30:31], s[0:1], 0x28
	s_load_b32 s4, s[0:1], 0x98
	s_load_b128 s[16:19], s[0:1], 0x0
	s_load_b64 s[22:23], s[0:1], 0x10
	s_xor_b32 s34, s28, s11
	s_mul_i32 s28, s2, s21
	s_add_i32 s35, s2, 1
	s_sub_i32 s7, s7, s28
	v_lshrrev_b32_e32 v32, 5, v0
	v_mov_b32_e32 v5, 0xff7fffff
	v_mbcnt_lo_u32_b32 v4, -1, 0
	s_delay_alu instid0(VALU_DEP_3)
	v_lshl_add_u32 v33, v32, 3, s38
	s_waitcnt lgkmcnt(0)
	s_mul_i32 s28, s14, s8
	s_sub_i32 s8, s7, s21
	s_ashr_i32 s29, s28, 31
	s_cmp_ge_u32 s7, s21
	s_cselect_b32 s2, s35, s2
	s_cselect_b32 s7, s8, s7
	s_add_i32 s8, s2, 1
	s_cmp_ge_u32 s7, s21
	s_cselect_b32 s2, s8, s2
	s_add_i32 s8, s15, 7
	s_lshl_b32 s7, s12, 6
	s_ashr_i32 s35, s8, 31
	v_or_b32_e32 v29, s7, v32
	s_lshr_b32 s35, s35, 29
	s_xor_b32 s39, s2, s34
	s_add_i32 s8, s8, s35
	s_add_i32 s35, s7, 64
	s_ashr_i32 s36, s8, 3
	v_ashrrev_i32_e32 v30, 31, v29
	s_min_i32 s8, s35, s36
	s_sub_i32 s39, s39, s34
	v_cmp_gt_i32_e64 s2, s8, v29
	s_mul_i32 s34, s3, s6
	s_delay_alu instid0(VALU_DEP_1)
	s_and_saveexec_b32 s6, s2
	s_cbranch_execz .LBB6_19
; %bb.10:
	s_load_b64 s[0:1], s[0:1], 0x20
	s_ashr_i32 s35, s34, 31
	v_bfe_u32 v6, v0, 2, 3
	s_lshl_b64 s[42:43], s[34:35], 2
	s_sub_i32 s35, s39, s9
	v_cmp_eq_u32_e32 vcc_lo, 0, v1
	v_dual_mov_b32 v9, 0xff7fffff :: v_dual_lshlrev_b32 v14, 2, v1
	v_subrev_nc_u32_e32 v15, s15, v6
	v_mul_u32_u24_e32 v7, 0x60, v1
	v_lshl_add_u32 v8, v32, 3, s38
	v_xor_b32_e32 v10, 2, v4
	v_xor_b32_e32 v11, 1, v4
	v_lshlrev_b32_e32 v18, 4, v6
	s_waitcnt lgkmcnt(0)
	s_add_u32 s3, s0, s42
	s_addc_u32 s1, s1, s43
	s_abs_i32 s41, s10
	v_cmp_neq_f32_e64 s0, s40, 0
	v_cvt_f32_u32_e32 v2, s41
	s_sub_i32 s42, 0, s41
	s_delay_alu instid0(VALU_DEP_1)
	v_rcp_iflag_f32_e32 v5, v2
	v_lshlrev_b32_e32 v12, 2, v6
	v_lshlrev_b64 v[1:2], 2, v[29:30]
	s_waitcnt_depctr 0xfff
	v_mul_f32_e32 v13, 0x4f7ffffe, v5
	v_lshl_or_b32 v16, v32, 5, v12
	v_dual_mov_b32 v5, 0xff7fffff :: v_dual_add_nc_u32 v12, 1, v15
	s_delay_alu instid0(VALU_DEP_3) | instskip(NEXT) | instid1(VALU_DEP_3)
	v_cvt_u32_f32_e32 v17, v13
	v_add_nc_u32_e32 v13, 0x1a0, v16
	v_add_co_u32 v16, s3, s3, v18
	s_delay_alu instid0(VALU_DEP_1) | instskip(NEXT) | instid1(VALU_DEP_4)
	v_add_co_ci_u32_e64 v18, null, s1, 0, s3
	v_mul_lo_u32 v15, s42, v17
	s_lshl_b64 s[42:43], s[28:29], 2
	s_delay_alu instid0(SALU_CYCLE_1) | instskip(SKIP_2) | instid1(VALU_DEP_1)
	s_add_u32 s1, s26, s42
	s_addc_u32 s3, s27, s43
	v_add_co_u32 v1, s1, s1, v1
	v_add_co_ci_u32_e64 v2, s1, s3, v2, s1
	s_delay_alu instid0(VALU_DEP_3) | instskip(SKIP_1) | instid1(VALU_DEP_1)
	v_mul_hi_u32 v19, v17, v15
	v_add_co_u32 v14, s1, v16, v14
	v_add_co_ci_u32_e64 v15, s1, 0, v18, s1
	s_mov_b32 s42, 0
	s_mov_b32 s43, s5
	s_delay_alu instid0(VALU_DEP_3)
	v_add_nc_u32_e32 v16, v17, v19
	v_mov_b32_e32 v17, v29
	s_branch .LBB6_13
.LBB6_11:                               ;   in Loop: Header=BB6_13 Depth=1
	s_or_b32 exec_lo, exec_lo, s44
.LBB6_12:                               ;   in Loop: Header=BB6_13 Depth=1
	s_delay_alu instid0(SALU_CYCLE_1) | instskip(SKIP_2) | instid1(VALU_DEP_1)
	s_or_b32 exec_lo, exec_lo, s3
	v_add_nc_u32_e32 v17, 4, v17
	v_add_co_u32 v1, s3, v1, 16
	v_add_co_ci_u32_e64 v2, s3, 0, v2, s3
	s_delay_alu instid0(VALU_DEP_3) | instskip(SKIP_2) | instid1(VALU_DEP_3)
	v_cmp_le_i32_e64 s1, s8, v17
	v_add_nc_u32_e32 v8, 32, v8
	v_add_nc_u32_e32 v13, 0x80, v13
	s_or_b32 s42, s1, s42
	s_delay_alu instid0(SALU_CYCLE_1)
	s_and_not1_b32 exec_lo, exec_lo, s42
	s_cbranch_execz .LBB6_18
.LBB6_13:                               ; =>This Inner Loop Header: Depth=1
	v_sub_nc_u32_e32 v18, 0, v8
	s_delay_alu instid0(VALU_DEP_1) | instskip(SKIP_1) | instid1(VALU_DEP_1)
	v_max_i32_e32 v18, v8, v18
	s_waitcnt lgkmcnt(0)
	v_mul_hi_u32 v19, v18, s25
	s_delay_alu instid0(VALU_DEP_1) | instskip(NEXT) | instid1(VALU_DEP_1)
	v_mul_lo_u32 v20, v19, s21
	v_sub_nc_u32_e32 v18, v18, v20
	v_add_nc_u32_e32 v20, 1, v19
	s_delay_alu instid0(VALU_DEP_2) | instskip(SKIP_1) | instid1(VALU_DEP_1)
	v_subrev_nc_u32_e32 v21, s21, v18
	v_cmp_le_u32_e64 s1, s21, v18
	v_cndmask_b32_e64 v19, v19, v20, s1
	s_delay_alu instid0(VALU_DEP_3) | instskip(SKIP_1) | instid1(VALU_DEP_3)
	v_cndmask_b32_e64 v18, v18, v21, s1
	v_ashrrev_i32_e32 v20, 31, v8
	v_add_nc_u32_e32 v21, 1, v19
	s_delay_alu instid0(VALU_DEP_3) | instskip(NEXT) | instid1(VALU_DEP_3)
	v_cmp_le_u32_e64 s1, s21, v18
	v_xor_b32_e32 v20, s11, v20
	s_delay_alu instid0(VALU_DEP_2) | instskip(NEXT) | instid1(VALU_DEP_1)
	v_cndmask_b32_e64 v18, v19, v21, s1
	v_xor_b32_e32 v18, v18, v20
	s_delay_alu instid0(VALU_DEP_1) | instskip(NEXT) | instid1(VALU_DEP_1)
	v_sub_nc_u32_e32 v18, v18, v20
	v_add_nc_u32_e32 v19, s33, v18
	v_cmp_ge_i32_e64 s3, s35, v18
	s_delay_alu instid0(VALU_DEP_2) | instskip(NEXT) | instid1(VALU_DEP_1)
	v_sub_nc_u32_e32 v20, 0, v19
	v_max_i32_e32 v20, v19, v20
	v_ashrrev_i32_e32 v19, 31, v19
	s_delay_alu instid0(VALU_DEP_2) | instskip(NEXT) | instid1(VALU_DEP_1)
	v_mul_hi_u32 v21, v20, v16
	v_mul_lo_u32 v21, v21, s41
	s_delay_alu instid0(VALU_DEP_1) | instskip(NEXT) | instid1(VALU_DEP_1)
	v_sub_nc_u32_e32 v20, v20, v21
	v_subrev_nc_u32_e32 v21, s41, v20
	v_cmp_le_u32_e64 s1, s41, v20
	s_delay_alu instid0(VALU_DEP_1) | instskip(NEXT) | instid1(VALU_DEP_1)
	v_cndmask_b32_e64 v20, v20, v21, s1
	v_subrev_nc_u32_e32 v21, s41, v20
	v_cmp_le_u32_e64 s1, s41, v20
	s_delay_alu instid0(VALU_DEP_1) | instskip(NEXT) | instid1(VALU_DEP_1)
	v_cndmask_b32_e64 v20, v20, v21, s1
	v_xor_b32_e32 v20, v20, v19
	s_delay_alu instid0(VALU_DEP_1) | instskip(NEXT) | instid1(VALU_DEP_1)
	v_sub_nc_u32_e32 v19, v20, v19
	v_cmp_ne_u32_e64 s1, 0, v19
	s_delay_alu instid0(VALU_DEP_1) | instskip(NEXT) | instid1(SALU_CYCLE_1)
	s_and_b32 s1, s1, s3
	s_and_b32 s44, vcc_lo, s1
	s_delay_alu instid0(SALU_CYCLE_1)
	s_and_saveexec_b32 s3, s44
	s_cbranch_execz .LBB6_15
; %bb.14:                               ;   in Loop: Header=BB6_13 Depth=1
	ds_store_b32 v13, v9
.LBB6_15:                               ;   in Loop: Header=BB6_13 Depth=1
	s_or_b32 exec_lo, exec_lo, s3
	s_xor_b32 s1, s1, -1
	s_delay_alu instid0(SALU_CYCLE_1)
	s_and_saveexec_b32 s3, s1
	s_cbranch_execz .LBB6_12
; %bb.16:                               ;   in Loop: Header=BB6_13 Depth=1
	global_load_b32 v20, v[1:2], off
	s_waitcnt vmcnt(0)
	v_mad_i64_i32 v[18:19], null, v20, s43, 0
	s_delay_alu instid0(VALU_DEP_1) | instskip(NEXT) | instid1(VALU_DEP_1)
	v_lshlrev_b64 v[18:19], 2, v[18:19]
	v_add_co_u32 v18, s1, v14, v18
	s_delay_alu instid0(VALU_DEP_1)
	v_add_co_ci_u32_e64 v19, s1, v15, v19, s1
	v_cmp_gt_i32_e64 s1, 32, v10
	s_clause 0x17
	global_load_b32 v26, v[18:19], off offset:128
	global_load_b32 v27, v[18:19], off
	global_load_b32 v28, v[18:19], off offset:256
	global_load_b32 v31, v[18:19], off offset:384
	;; [unrolled: 1-line block ×22, first 2 shown]
	ds_load_b128 v[18:21], v7
	ds_load_b128 v[22:25], v7 offset:16
	s_waitcnt vmcnt(23) lgkmcnt(1)
	v_mul_f32_e32 v26, v19, v26
	s_waitcnt vmcnt(22)
	s_delay_alu instid0(VALU_DEP_1) | instskip(SKIP_1) | instid1(VALU_DEP_1)
	v_fmac_f32_e32 v26, v18, v27
	s_waitcnt vmcnt(21)
	v_fmac_f32_e32 v26, v20, v28
	s_waitcnt vmcnt(20)
	s_delay_alu instid0(VALU_DEP_1) | instskip(SKIP_4) | instid1(VALU_DEP_1)
	v_fmac_f32_e32 v26, v21, v31
	ds_load_b128 v[18:21], v7 offset:32
	s_waitcnt vmcnt(19) lgkmcnt(1)
	v_fmac_f32_e32 v26, v22, v34
	s_waitcnt vmcnt(18)
	v_fmac_f32_e32 v26, v23, v35
	s_waitcnt vmcnt(17)
	s_delay_alu instid0(VALU_DEP_1) | instskip(SKIP_1) | instid1(VALU_DEP_1)
	v_fmac_f32_e32 v26, v24, v36
	s_waitcnt vmcnt(16)
	v_fmac_f32_e32 v26, v25, v37
	ds_load_b128 v[22:25], v7 offset:48
	s_waitcnt vmcnt(15) lgkmcnt(1)
	v_fmac_f32_e32 v26, v18, v38
	s_waitcnt vmcnt(14)
	s_delay_alu instid0(VALU_DEP_1) | instskip(SKIP_1) | instid1(VALU_DEP_1)
	v_fmac_f32_e32 v26, v19, v39
	s_waitcnt vmcnt(13)
	v_fmac_f32_e32 v26, v20, v40
	s_waitcnt vmcnt(12)
	s_delay_alu instid0(VALU_DEP_1) | instskip(SKIP_4) | instid1(VALU_DEP_1)
	v_fmac_f32_e32 v26, v21, v41
	ds_load_b128 v[18:21], v7 offset:64
	s_waitcnt vmcnt(11) lgkmcnt(1)
	v_fmac_f32_e32 v26, v22, v42
	s_waitcnt vmcnt(10)
	v_fmac_f32_e32 v26, v23, v43
	s_waitcnt vmcnt(9)
	s_delay_alu instid0(VALU_DEP_1) | instskip(SKIP_1) | instid1(VALU_DEP_1)
	v_fmac_f32_e32 v26, v24, v44
	s_waitcnt vmcnt(8)
	v_fmac_f32_e32 v26, v25, v45
	ds_load_b128 v[22:25], v7 offset:80
	s_waitcnt vmcnt(7) lgkmcnt(1)
	v_fmac_f32_e32 v26, v18, v46
	v_cndmask_b32_e64 v18, v4, v10, s1
	v_cmp_gt_i32_e64 s1, 32, v11
	s_waitcnt vmcnt(6)
	s_delay_alu instid0(VALU_DEP_3) | instskip(NEXT) | instid1(VALU_DEP_3)
	v_fmac_f32_e32 v26, v19, v47
	v_lshlrev_b32_e32 v18, 2, v18
	s_delay_alu instid0(VALU_DEP_3) | instskip(SKIP_1) | instid1(VALU_DEP_1)
	v_cndmask_b32_e64 v19, v4, v11, s1
	s_waitcnt vmcnt(5)
	v_dual_fmac_f32 v26, v20, v48 :: v_dual_lshlrev_b32 v19, 2, v19
	s_waitcnt vmcnt(4)
	s_delay_alu instid0(VALU_DEP_1) | instskip(SKIP_1) | instid1(VALU_DEP_1)
	v_fmac_f32_e32 v26, v21, v49
	s_waitcnt vmcnt(3) lgkmcnt(0)
	v_fmac_f32_e32 v26, v22, v50
	s_waitcnt vmcnt(2)
	s_delay_alu instid0(VALU_DEP_1) | instskip(SKIP_1) | instid1(VALU_DEP_1)
	v_fmac_f32_e32 v26, v23, v51
	s_waitcnt vmcnt(1)
	v_fmac_f32_e32 v26, v24, v52
	s_waitcnt vmcnt(0)
	s_delay_alu instid0(VALU_DEP_1)
	v_fmac_f32_e32 v26, v25, v53
	ds_bpermute_b32 v18, v18, v26
	s_waitcnt lgkmcnt(0)
	v_add_f32_e32 v18, v26, v18
	ds_bpermute_b32 v19, v19, v18
	s_and_saveexec_b32 s44, vcc_lo
	s_cbranch_execz .LBB6_11
; %bb.17:                               ;   in Loop: Header=BB6_13 Depth=1
	s_waitcnt lgkmcnt(0)
	v_add_f32_e32 v18, v18, v19
	v_add_nc_u32_e32 v20, v12, v8
	s_delay_alu instid0(VALU_DEP_1) | instskip(NEXT) | instid1(VALU_DEP_1)
	v_cvt_f32_i32_e32 v20, v20
	v_mul_f32_e32 v20, s40, v20
	s_delay_alu instid0(VALU_DEP_1) | instskip(NEXT) | instid1(VALU_DEP_1)
	v_cndmask_b32_e64 v19, 0, v20, s0
	v_dual_max_f32 v20, v5, v5 :: v_dual_fmac_f32 v19, s37, v18
	v_add_nc_u32_e32 v18, v6, v8
	s_delay_alu instid0(VALU_DEP_2) | instskip(NEXT) | instid1(VALU_DEP_2)
	v_max_f32_e32 v20, v20, v19
	v_cmp_gt_i32_e64 s1, s15, v18
	s_delay_alu instid0(VALU_DEP_1) | instskip(NEXT) | instid1(VALU_DEP_3)
	v_cndmask_b32_e64 v18, 0, v19, s1
	v_cndmask_b32_e64 v5, v5, v20, s1
	ds_store_b32 v13, v18
	s_branch .LBB6_11
.LBB6_18:
	s_or_b32 exec_lo, exec_lo, s42
.LBB6_19:
	s_delay_alu instid0(SALU_CYCLE_1) | instskip(SKIP_3) | instid1(VALU_DEP_3)
	s_or_b32 exec_lo, exec_lo, s6
	v_xor_b32_e32 v1, 16, v4
	v_xor_b32_e32 v6, 8, v4
	v_dual_max_f32 v7, v5, v5 :: v_dual_and_b32 v34, 31, v0
	v_cmp_gt_i32_e32 vcc_lo, 32, v1
	v_cndmask_b32_e32 v1, v4, v1, vcc_lo
	s_delay_alu instid0(VALU_DEP_4) | instskip(NEXT) | instid1(VALU_DEP_2)
	v_cmp_gt_i32_e32 vcc_lo, 32, v6
	v_lshlrev_b32_e32 v2, 2, v1
	ds_bpermute_b32 v1, v2, v5
	v_cndmask_b32_e32 v5, v4, v6, vcc_lo
	s_delay_alu instid0(VALU_DEP_1) | instskip(SKIP_2) | instid1(VALU_DEP_1)
	v_lshlrev_b32_e32 v5, 2, v5
	s_waitcnt lgkmcnt(0)
	v_max_f32_e32 v1, v1, v1
	v_max_f32_e32 v1, v7, v1
	v_xor_b32_e32 v7, 4, v4
	ds_bpermute_b32 v6, v5, v1
	v_cmp_gt_i32_e32 vcc_lo, 32, v7
	v_cndmask_b32_e32 v7, v4, v7, vcc_lo
	v_cmp_eq_u32_e32 vcc_lo, 0, v34
	s_delay_alu instid0(VALU_DEP_2) | instskip(SKIP_2) | instid1(VALU_DEP_1)
	v_lshlrev_b32_e32 v8, 2, v7
	s_waitcnt lgkmcnt(0)
	v_max_f32_e32 v6, v6, v6
	v_dual_max_f32 v1, v1, v6 :: v_dual_lshlrev_b32 v6, 2, v32
	ds_bpermute_b32 v7, v8, v1
	s_and_saveexec_b32 s0, vcc_lo
	s_cbranch_execz .LBB6_21
; %bb.20:
	s_waitcnt lgkmcnt(0)
	v_max_f32_e32 v7, v7, v7
	v_max_f32_e32 v1, v1, v1
	s_delay_alu instid0(VALU_DEP_1)
	v_max_f32_e32 v1, v1, v7
	ds_store_b32 v6, v1 offset:384
.LBB6_21:
	s_or_b32 exec_lo, exec_lo, s0
	v_cmp_gt_u32_e64 s0, 4, v34
	v_mov_b32_e32 v1, 0xff7fffff
	s_waitcnt lgkmcnt(0)
	v_lshlrev_b32_e32 v7, 2, v34
	s_barrier
	buffer_gl0_inv
	s_and_saveexec_b32 s1, s0
	s_cbranch_execz .LBB6_23
; %bb.22:
	ds_load_b32 v1, v7 offset:384
.LBB6_23:
	s_or_b32 exec_lo, exec_lo, s1
	v_xor_b32_e32 v9, 2, v4
	v_xor_b32_e32 v11, 1, v4
	s_delay_alu instid0(VALU_DEP_2) | instskip(NEXT) | instid1(VALU_DEP_1)
	v_cmp_gt_i32_e64 s1, 32, v9
	v_cndmask_b32_e64 v9, v4, v9, s1
	s_delay_alu instid0(VALU_DEP_3) | instskip(NEXT) | instid1(VALU_DEP_2)
	v_cmp_gt_i32_e64 s1, 32, v11
	v_lshlrev_b32_e32 v9, 2, v9
	s_delay_alu instid0(VALU_DEP_2) | instskip(SKIP_1) | instid1(SALU_CYCLE_1)
	v_cndmask_b32_e64 v4, v4, v11, s1
	s_sub_i32 s1, s8, s7
	s_lshl_b32 s1, s1, 3
	s_waitcnt lgkmcnt(0)
	ds_bpermute_b32 v10, v9, v1
	v_max_f32_e32 v1, v1, v1
	v_lshlrev_b32_e32 v35, 2, v4
	s_add_i32 s1, s1, s38
	s_delay_alu instid0(SALU_CYCLE_1) | instskip(NEXT) | instid1(SALU_CYCLE_1)
	s_min_i32 s1, s1, s15
	s_sub_i32 s6, s1, s38
	s_delay_alu instid0(SALU_CYCLE_1) | instskip(SKIP_2) | instid1(VALU_DEP_1)
	v_cmp_gt_i32_e64 s1, s6, v0
	s_waitcnt lgkmcnt(0)
	v_max_f32_e32 v10, v10, v10
	v_dual_max_f32 v1, v1, v10 :: v_dual_mov_b32 v10, 0
	ds_bpermute_b32 v4, v35, v1
	s_waitcnt lgkmcnt(0)
	v_max_f32_e32 v4, v4, v4
	s_delay_alu instid0(VALU_DEP_1)
	v_max_f32_e32 v1, v1, v4
	v_lshl_add_u32 v4, v0, 2, 0x1a0
	ds_bpermute_b32 v1, v10, v1
	s_and_saveexec_b32 s7, s1
	s_cbranch_execz .LBB6_27
; %bb.24:
	v_lshl_add_u32 v11, v0, 2, 0x1a0
	v_mov_b32_e32 v10, 0
	v_mov_b32_e32 v12, v0
	s_mov_b32 s35, 0
	.p2align	6
.LBB6_25:                               ; =>This Inner Loop Header: Depth=1
	ds_load_b32 v13, v11
	v_add_nc_u32_e32 v12, 0x80, v12
	s_delay_alu instid0(VALU_DEP_1) | instskip(NEXT) | instid1(VALU_DEP_1)
	v_cmp_le_i32_e64 s3, s6, v12
	s_or_b32 s35, s3, s35
	s_waitcnt lgkmcnt(0)
	v_sub_f32_e32 v13, v13, v1
	s_delay_alu instid0(VALU_DEP_1) | instskip(NEXT) | instid1(VALU_DEP_1)
	v_mul_f32_e32 v13, 0x3fb8aa3b, v13
	v_exp_f32_e32 v13, v13
	ds_store_b32 v11, v13
	v_dual_add_f32 v10, v10, v13 :: v_dual_add_nc_u32 v11, 0x200, v11
	s_and_not1_b32 exec_lo, exec_lo, s35
	s_cbranch_execnz .LBB6_25
; %bb.26:
	s_or_b32 exec_lo, exec_lo, s35
.LBB6_27:
	s_delay_alu instid0(SALU_CYCLE_1)
	s_or_b32 exec_lo, exec_lo, s7
	ds_bpermute_b32 v2, v2, v10
	s_waitcnt lgkmcnt(0)
	v_add_f32_e32 v2, v10, v2
	ds_bpermute_b32 v5, v5, v2
	s_waitcnt lgkmcnt(0)
	v_add_f32_e32 v2, v2, v5
	;; [unrolled: 3-line block ×5, first 2 shown]
	s_and_saveexec_b32 s3, vcc_lo
	s_cbranch_execz .LBB6_29
; %bb.28:
	ds_store_b32 v6, v2 offset:400
.LBB6_29:
	s_or_b32 exec_lo, exec_lo, s3
	s_waitcnt lgkmcnt(0)
	s_barrier
	buffer_gl0_inv
	s_and_saveexec_b32 s3, s0
	s_cbranch_execz .LBB6_31
; %bb.30:
	ds_load_b32 v2, v7 offset:400
.LBB6_31:
	s_or_b32 exec_lo, exec_lo, s3
	s_waitcnt lgkmcnt(0)
	ds_bpermute_b32 v5, v9, v2
	s_waitcnt lgkmcnt(0)
	v_add_f32_e32 v2, v2, v5
	ds_bpermute_b32 v5, v35, v2
	s_waitcnt lgkmcnt(0)
	v_dual_add_f32 v2, v2, v5 :: v_dual_mov_b32 v5, 0
	ds_bpermute_b32 v2, v5, v2
	s_and_saveexec_b32 s0, s1
	s_cbranch_execz .LBB6_34
; %bb.32:
	s_waitcnt lgkmcnt(0)
	v_add_f32_e32 v5, 0x358637bd, v2
	s_mov_b32 s1, 0
	s_delay_alu instid0(VALU_DEP_1) | instskip(SKIP_1) | instid1(VALU_DEP_2)
	v_div_scale_f32 v6, null, v5, v5, 1.0
	v_div_scale_f32 v9, vcc_lo, 1.0, v5, 1.0
	v_rcp_f32_e32 v7, v6
	s_waitcnt_depctr 0xfff
	v_fma_f32 v8, -v6, v7, 1.0
	s_delay_alu instid0(VALU_DEP_1) | instskip(NEXT) | instid1(VALU_DEP_1)
	v_fmac_f32_e32 v7, v8, v7
	v_mul_f32_e32 v8, v9, v7
	s_delay_alu instid0(VALU_DEP_1) | instskip(NEXT) | instid1(VALU_DEP_1)
	v_fma_f32 v10, -v6, v8, v9
	v_fmac_f32_e32 v8, v10, v7
	s_delay_alu instid0(VALU_DEP_1) | instskip(NEXT) | instid1(VALU_DEP_1)
	v_fma_f32 v6, -v6, v8, v9
	v_div_fmas_f32 v6, v6, v7, v8
	s_delay_alu instid0(VALU_DEP_1)
	v_div_fixup_f32 v5, v6, v5, 1.0
	v_mov_b32_e32 v6, v0
.LBB6_33:                               ; =>This Inner Loop Header: Depth=1
	ds_load_b32 v7, v4
	s_waitcnt lgkmcnt(0)
	v_dual_mul_f32 v7, v5, v7 :: v_dual_add_nc_u32 v6, 0x80, v6
	s_delay_alu instid0(VALU_DEP_1) | instskip(SKIP_3) | instid1(SALU_CYCLE_1)
	v_cmp_le_i32_e32 vcc_lo, s6, v6
	ds_store_b32 v4, v7
	v_add_nc_u32_e32 v4, 0x200, v4
	s_or_b32 s1, vcc_lo, s1
	s_and_not1_b32 exec_lo, exec_lo, s1
	s_cbranch_execnz .LBB6_33
.LBB6_34:
	s_or_b32 exec_lo, exec_lo, s0
	s_mul_i32 s0, s4, s14
	s_waitcnt lgkmcnt(0)
	s_mul_i32 s6, s0, s13
	s_mov_b32 s0, exec_lo
	s_barrier
	buffer_gl0_inv
	v_cmpx_eq_u32_e32 0, v0
	s_cbranch_execz .LBB6_36
; %bb.35:
	s_ashr_i32 s7, s6, 31
	s_mul_i32 s42, s4, s24
	s_lshl_b64 s[40:41], s[6:7], 2
	v_mov_b32_e32 v4, 0
	s_add_u32 s1, s18, s40
	s_addc_u32 s3, s19, s41
	s_ashr_i32 s43, s42, 31
	s_delay_alu instid0(SALU_CYCLE_1) | instskip(NEXT) | instid1(SALU_CYCLE_1)
	s_lshl_b64 s[18:19], s[42:43], 2
	s_add_u32 s1, s1, s18
	s_addc_u32 s3, s3, s19
	s_ashr_i32 s13, s12, 31
	s_delay_alu instid0(SALU_CYCLE_1) | instskip(NEXT) | instid1(SALU_CYCLE_1)
	s_lshl_b64 s[42:43], s[12:13], 2
	s_add_u32 s44, s1, s42
	s_addc_u32 s45, s3, s43
	s_add_u32 s1, s16, s40
	s_addc_u32 s3, s17, s41
	;; [unrolled: 2-line block ×4, first 2 shown]
	s_clause 0x1
	global_store_b32 v4, v1, s[44:45]
	global_store_b32 v4, v2, s[16:17]
.LBB6_36:
	s_or_b32 exec_lo, exec_lo, s0
	v_dual_mov_b32 v42, 0 :: v_dual_mov_b32 v39, 0
	v_dual_mov_b32 v41, 0 :: v_dual_and_b32 v36, 1, v0
	v_dual_mov_b32 v40, 0 :: v_dual_mov_b32 v37, 0
	v_mov_b32_e32 v38, 0
	s_mov_b32 s3, 0
	s_and_saveexec_b32 s1, s2
	s_cbranch_execz .LBB6_54
; %bb.37:
	s_ashr_i32 s35, s34, 31
	s_sub_i32 s2, s39, s9
	s_lshl_b64 s[16:17], s[34:35], 2
	v_dual_mov_b32 v38, 0 :: v_dual_and_b32 v43, 4, v3
	s_add_u32 s0, s30, s16
	s_addc_u32 s9, s31, s17
	s_abs_i32 s7, s10
	v_dual_mov_b32 v40, 0 :: v_dual_lshlrev_b32 v5, 4, v36
	v_cvt_f32_u32_e32 v1, s7
	s_sub_i32 s10, 0, s7
	s_lshl_b64 s[16:17], s[28:29], 2
	s_add_i32 s36, s36, -1
	v_lshl_or_b32 v5, v32, 5, v5
	v_rcp_iflag_f32_e32 v1, v1
	v_mov_b32_e32 v41, 0
	v_dual_mov_b32 v39, 0 :: v_dual_mov_b32 v42, 0
	s_delay_alu instid0(VALU_DEP_3) | instskip(SKIP_1) | instid1(VALU_DEP_1)
	v_add_nc_u32_e32 v46, 0x1a0, v5
	v_dual_mov_b32 v37, 0 :: v_dual_lshlrev_b32 v4, 4, v0
	v_and_b32_e32 v4, 0x1f0, v4
	s_waitcnt_depctr 0xfff
	v_mul_f32_e32 v3, 0x4f7ffffe, v1
	v_lshlrev_b64 v[1:2], 2, v[29:30]
	v_add_co_u32 v44, s0, s0, v4
	s_delay_alu instid0(VALU_DEP_3) | instskip(SKIP_1) | instid1(VALU_DEP_2)
	v_cvt_u32_f32_e32 v3, v3
	v_add_co_ci_u32_e64 v45, null, s9, 0, s0
	v_mul_lo_u32 v6, s10, v3
	s_add_u32 s10, s26, s16
	s_addc_u32 s13, s27, s17
	v_add_co_u32 v30, vcc_lo, s10, v1
	v_add_co_ci_u32_e32 v31, vcc_lo, s13, v2, vcc_lo
	s_delay_alu instid0(VALU_DEP_3) | instskip(NEXT) | instid1(VALU_DEP_1)
	v_mul_hi_u32 v6, v3, v6
	v_add_nc_u32_e32 v47, v3, v6
	s_branch .LBB6_40
.LBB6_38:                               ;   in Loop: Header=BB6_40 Depth=1
	s_or_b32 exec_lo, exec_lo, s0
	s_waitcnt vmcnt(5) lgkmcnt(0)
	v_mul_f32_e32 v6, v2, v6
	s_waitcnt vmcnt(2)
	v_mul_f32_e32 v18, v2, v18
	v_mul_f32_e32 v10, v2, v10
	s_waitcnt vmcnt(1)
	v_mul_f32_e32 v22, v2, v22
	v_mul_f32_e32 v14, v2, v14
	v_fmac_f32_e32 v6, v1, v5
	v_fmac_f32_e32 v18, v1, v17
	s_waitcnt vmcnt(0)
	v_mul_f32_e32 v2, v2, v26
	v_fmac_f32_e32 v10, v1, v9
	v_fmac_f32_e32 v14, v1, v13
	;; [unrolled: 1-line block ×3, first 2 shown]
	s_delay_alu instid0(VALU_DEP_4) | instskip(NEXT) | instid1(VALU_DEP_4)
	v_fmac_f32_e32 v2, v1, v25
	v_fmac_f32_e32 v10, v3, v11
	s_delay_alu instid0(VALU_DEP_4) | instskip(NEXT) | instid1(VALU_DEP_4)
	v_fmac_f32_e32 v14, v3, v15
	v_fmac_f32_e32 v6, v4, v8
	;; [unrolled: 1-line block ×5, first 2 shown]
	s_delay_alu instid0(VALU_DEP_4) | instskip(NEXT) | instid1(VALU_DEP_4)
	v_dual_fmac_f32 v14, v4, v16 :: v_dual_add_f32 v37, v37, v6
	v_fmac_f32_e32 v18, v4, v20
	v_fmac_f32_e32 v22, v1, v21
	;; [unrolled: 1-line block ×3, first 2 shown]
	s_delay_alu instid0(VALU_DEP_4) | instskip(SKIP_4) | instid1(VALU_DEP_2)
	v_add_f32_e32 v38, v38, v14
	v_add_f32_e32 v41, v41, v10
	v_add_f32_e32 v39, v39, v18
	v_fmac_f32_e32 v22, v3, v23
	v_add_f32_e32 v42, v42, v2
	v_fmac_f32_e32 v22, v4, v24
	s_delay_alu instid0(VALU_DEP_1)
	v_add_f32_e32 v40, v40, v22
.LBB6_39:                               ;   in Loop: Header=BB6_40 Depth=1
	s_or_b32 exec_lo, exec_lo, s9
	v_add_nc_u32_e32 v29, 4, v29
	v_add_co_u32 v30, s0, v30, 16
	s_delay_alu instid0(VALU_DEP_1) | instskip(NEXT) | instid1(VALU_DEP_3)
	v_add_co_ci_u32_e64 v31, s0, 0, v31, s0
	v_cmp_le_i32_e32 vcc_lo, s8, v29
	v_add_nc_u32_e32 v33, 32, v33
	v_add_nc_u32_e32 v46, 0x80, v46
	s_or_b32 s3, vcc_lo, s3
	s_delay_alu instid0(SALU_CYCLE_1)
	s_and_not1_b32 exec_lo, exec_lo, s3
	s_cbranch_execz .LBB6_53
.LBB6_40:                               ; =>This Inner Loop Header: Depth=1
	v_sub_nc_u32_e32 v1, 0, v33
	s_delay_alu instid0(VALU_DEP_1) | instskip(NEXT) | instid1(VALU_DEP_1)
	v_max_i32_e32 v1, v33, v1
	v_mul_hi_u32 v2, v1, s25
	s_delay_alu instid0(VALU_DEP_1) | instskip(NEXT) | instid1(VALU_DEP_1)
	v_mul_lo_u32 v3, v2, s21
	v_sub_nc_u32_e32 v1, v1, v3
	v_add_nc_u32_e32 v3, 1, v2
	s_delay_alu instid0(VALU_DEP_2) | instskip(SKIP_1) | instid1(VALU_DEP_2)
	v_subrev_nc_u32_e32 v4, s21, v1
	v_cmp_le_u32_e32 vcc_lo, s21, v1
	v_dual_cndmask_b32 v2, v2, v3 :: v_dual_cndmask_b32 v1, v1, v4
	v_ashrrev_i32_e32 v3, 31, v33
	s_delay_alu instid0(VALU_DEP_2) | instskip(NEXT) | instid1(VALU_DEP_3)
	v_add_nc_u32_e32 v4, 1, v2
	v_cmp_le_u32_e32 vcc_lo, s21, v1
	s_delay_alu instid0(VALU_DEP_3) | instskip(NEXT) | instid1(VALU_DEP_3)
	v_xor_b32_e32 v3, s11, v3
	v_cndmask_b32_e32 v1, v2, v4, vcc_lo
	s_delay_alu instid0(VALU_DEP_1) | instskip(NEXT) | instid1(VALU_DEP_1)
	v_xor_b32_e32 v1, v1, v3
	v_sub_nc_u32_e32 v1, v1, v3
	s_delay_alu instid0(VALU_DEP_1) | instskip(SKIP_1) | instid1(VALU_DEP_2)
	v_add_nc_u32_e32 v2, s33, v1
	v_cmp_lt_i32_e64 s0, s2, v1
	v_sub_nc_u32_e32 v3, 0, v2
	s_delay_alu instid0(VALU_DEP_1) | instskip(NEXT) | instid1(VALU_DEP_1)
	v_max_i32_e32 v3, v2, v3
	v_mul_hi_u32 v4, v3, v47
	s_delay_alu instid0(VALU_DEP_1) | instskip(NEXT) | instid1(VALU_DEP_1)
	v_mul_lo_u32 v4, v4, s7
	v_sub_nc_u32_e32 v3, v3, v4
	s_delay_alu instid0(VALU_DEP_1) | instskip(SKIP_1) | instid1(VALU_DEP_2)
	v_subrev_nc_u32_e32 v4, s7, v3
	v_cmp_le_u32_e32 vcc_lo, s7, v3
	v_cndmask_b32_e32 v3, v3, v4, vcc_lo
	v_ashrrev_i32_e32 v2, 31, v2
	s_delay_alu instid0(VALU_DEP_2) | instskip(SKIP_1) | instid1(VALU_DEP_2)
	v_subrev_nc_u32_e32 v4, s7, v3
	v_cmp_le_u32_e32 vcc_lo, s7, v3
	v_cndmask_b32_e32 v3, v3, v4, vcc_lo
	s_delay_alu instid0(VALU_DEP_1) | instskip(NEXT) | instid1(VALU_DEP_1)
	v_xor_b32_e32 v3, v3, v2
	v_sub_nc_u32_e32 v2, v3, v2
	s_delay_alu instid0(VALU_DEP_1) | instskip(SKIP_1) | instid1(SALU_CYCLE_1)
	v_cmp_eq_u32_e32 vcc_lo, 0, v2
	s_or_b32 s0, vcc_lo, s0
	s_and_saveexec_b32 s9, s0
	s_cbranch_execz .LBB6_39
; %bb.41:                               ;   in Loop: Header=BB6_40 Depth=1
	global_load_b32 v3, v[30:31], off
	v_add_nc_u32_e32 v48, v43, v33
	s_delay_alu instid0(VALU_DEP_1) | instskip(SKIP_4) | instid1(VALU_DEP_1)
	v_add_nc_u32_e32 v51, 1, v48
	v_add_nc_u32_e32 v50, 2, v48
	;; [unrolled: 1-line block ×3, first 2 shown]
	s_waitcnt vmcnt(0)
	v_mad_i64_i32 v[1:2], null, v3, s5, 0
	v_lshlrev_b64 v[1:2], 2, v[1:2]
	s_delay_alu instid0(VALU_DEP_1) | instskip(NEXT) | instid1(VALU_DEP_2)
	v_add_co_u32 v25, vcc_lo, v44, v1
	v_add_co_ci_u32_e32 v26, vcc_lo, v45, v2, vcc_lo
	ds_load_b128 v[1:4], v46
	v_cmp_eq_u32_e32 vcc_lo, s36, v29
	global_load_b128 v[5:8], v[25:26], off
	s_and_saveexec_b32 s10, vcc_lo
	s_cbranch_execnz .LBB6_47
; %bb.42:                               ;   in Loop: Header=BB6_40 Depth=1
	s_or_b32 exec_lo, exec_lo, s10
	global_load_b128 v[9:12], v[25:26], off offset:512
	s_and_saveexec_b32 s10, vcc_lo
	s_cbranch_execnz .LBB6_48
.LBB6_43:                               ;   in Loop: Header=BB6_40 Depth=1
	s_or_b32 exec_lo, exec_lo, s10
	global_load_b128 v[13:16], v[25:26], off offset:1024
	s_and_saveexec_b32 s10, vcc_lo
	s_cbranch_execnz .LBB6_49
.LBB6_44:                               ;   in Loop: Header=BB6_40 Depth=1
	s_or_b32 exec_lo, exec_lo, s10
	global_load_b128 v[17:20], v[25:26], off offset:1536
	s_and_saveexec_b32 s10, vcc_lo
	s_cbranch_execnz .LBB6_50
.LBB6_45:                               ;   in Loop: Header=BB6_40 Depth=1
	s_or_b32 exec_lo, exec_lo, s10
	global_load_b128 v[21:24], v[25:26], off offset:2048
	s_and_saveexec_b32 s10, vcc_lo
	s_cbranch_execnz .LBB6_51
.LBB6_46:                               ;   in Loop: Header=BB6_40 Depth=1
	s_or_b32 exec_lo, exec_lo, s10
	global_load_b128 v[25:28], v[25:26], off offset:2560
	s_and_saveexec_b32 s0, vcc_lo
	s_cbranch_execz .LBB6_38
	s_branch .LBB6_52
.LBB6_47:                               ;   in Loop: Header=BB6_40 Depth=1
	v_cmp_gt_i32_e64 s0, s15, v48
	s_waitcnt vmcnt(0)
	s_delay_alu instid0(VALU_DEP_1) | instskip(SKIP_1) | instid1(VALU_DEP_1)
	v_cndmask_b32_e64 v5, 0, v5, s0
	v_cmp_gt_i32_e64 s0, s15, v51
	v_cndmask_b32_e64 v6, 0, v6, s0
	v_cmp_gt_i32_e64 s0, s15, v50
	s_delay_alu instid0(VALU_DEP_1) | instskip(SKIP_1) | instid1(VALU_DEP_1)
	v_cndmask_b32_e64 v7, 0, v7, s0
	v_cmp_gt_i32_e64 s0, s15, v49
	v_cndmask_b32_e64 v8, 0, v8, s0
	s_or_b32 exec_lo, exec_lo, s10
	global_load_b128 v[9:12], v[25:26], off offset:512
	s_and_saveexec_b32 s10, vcc_lo
	s_cbranch_execz .LBB6_43
.LBB6_48:                               ;   in Loop: Header=BB6_40 Depth=1
	v_cmp_gt_i32_e64 s0, s15, v48
	s_waitcnt vmcnt(0)
	s_delay_alu instid0(VALU_DEP_1) | instskip(SKIP_1) | instid1(VALU_DEP_1)
	v_cndmask_b32_e64 v9, 0, v9, s0
	v_cmp_gt_i32_e64 s0, s15, v51
	v_cndmask_b32_e64 v10, 0, v10, s0
	v_cmp_gt_i32_e64 s0, s15, v50
	s_delay_alu instid0(VALU_DEP_1) | instskip(SKIP_1) | instid1(VALU_DEP_1)
	v_cndmask_b32_e64 v11, 0, v11, s0
	v_cmp_gt_i32_e64 s0, s15, v49
	v_cndmask_b32_e64 v12, 0, v12, s0
	s_or_b32 exec_lo, exec_lo, s10
	global_load_b128 v[13:16], v[25:26], off offset:1024
	s_and_saveexec_b32 s10, vcc_lo
	s_cbranch_execz .LBB6_44
.LBB6_49:                               ;   in Loop: Header=BB6_40 Depth=1
	v_cmp_gt_i32_e64 s0, s15, v48
	s_waitcnt vmcnt(0)
	s_delay_alu instid0(VALU_DEP_1) | instskip(SKIP_1) | instid1(VALU_DEP_1)
	v_cndmask_b32_e64 v13, 0, v13, s0
	v_cmp_gt_i32_e64 s0, s15, v51
	v_cndmask_b32_e64 v14, 0, v14, s0
	v_cmp_gt_i32_e64 s0, s15, v50
	s_delay_alu instid0(VALU_DEP_1) | instskip(SKIP_1) | instid1(VALU_DEP_1)
	v_cndmask_b32_e64 v15, 0, v15, s0
	v_cmp_gt_i32_e64 s0, s15, v49
	v_cndmask_b32_e64 v16, 0, v16, s0
	s_or_b32 exec_lo, exec_lo, s10
	global_load_b128 v[17:20], v[25:26], off offset:1536
	s_and_saveexec_b32 s10, vcc_lo
	s_cbranch_execz .LBB6_45
.LBB6_50:                               ;   in Loop: Header=BB6_40 Depth=1
	v_cmp_gt_i32_e64 s0, s15, v48
	s_waitcnt vmcnt(0)
	s_delay_alu instid0(VALU_DEP_1) | instskip(SKIP_1) | instid1(VALU_DEP_1)
	v_cndmask_b32_e64 v17, 0, v17, s0
	v_cmp_gt_i32_e64 s0, s15, v51
	v_cndmask_b32_e64 v18, 0, v18, s0
	v_cmp_gt_i32_e64 s0, s15, v50
	s_delay_alu instid0(VALU_DEP_1) | instskip(SKIP_1) | instid1(VALU_DEP_1)
	v_cndmask_b32_e64 v19, 0, v19, s0
	v_cmp_gt_i32_e64 s0, s15, v49
	v_cndmask_b32_e64 v20, 0, v20, s0
	s_or_b32 exec_lo, exec_lo, s10
	global_load_b128 v[21:24], v[25:26], off offset:2048
	s_and_saveexec_b32 s10, vcc_lo
	s_cbranch_execz .LBB6_46
.LBB6_51:                               ;   in Loop: Header=BB6_40 Depth=1
	v_cmp_gt_i32_e64 s0, s15, v48
	s_waitcnt vmcnt(0)
	s_delay_alu instid0(VALU_DEP_1) | instskip(SKIP_1) | instid1(VALU_DEP_1)
	v_cndmask_b32_e64 v21, 0, v21, s0
	v_cmp_gt_i32_e64 s0, s15, v51
	v_cndmask_b32_e64 v22, 0, v22, s0
	v_cmp_gt_i32_e64 s0, s15, v50
	s_delay_alu instid0(VALU_DEP_1) | instskip(SKIP_1) | instid1(VALU_DEP_1)
	v_cndmask_b32_e64 v23, 0, v23, s0
	v_cmp_gt_i32_e64 s0, s15, v49
	v_cndmask_b32_e64 v24, 0, v24, s0
	s_or_b32 exec_lo, exec_lo, s10
	global_load_b128 v[25:28], v[25:26], off offset:2560
	s_and_saveexec_b32 s0, vcc_lo
	s_cbranch_execz .LBB6_38
.LBB6_52:                               ;   in Loop: Header=BB6_40 Depth=1
	v_cmp_gt_i32_e32 vcc_lo, s15, v48
	s_waitcnt vmcnt(0)
	v_cndmask_b32_e32 v25, 0, v25, vcc_lo
	v_cmp_gt_i32_e32 vcc_lo, s15, v51
	v_cndmask_b32_e32 v26, 0, v26, vcc_lo
	v_cmp_gt_i32_e32 vcc_lo, s15, v50
	;; [unrolled: 2-line block ×3, first 2 shown]
	v_cndmask_b32_e32 v28, 0, v28, vcc_lo
	s_branch .LBB6_38
.LBB6_53:
	s_or_b32 exec_lo, exec_lo, s3
.LBB6_54:
	s_delay_alu instid0(SALU_CYCLE_1)
	s_or_b32 exec_lo, exec_lo, s1
	ds_bpermute_b32 v1, v35, v37
	ds_bpermute_b32 v2, v35, v41
	;; [unrolled: 1-line block ×6, first 2 shown]
	v_and_b32_e32 v4, 0x3c1, v0
	v_lshrrev_b32_e32 v7, 1, v34
	s_movk_i32 s0, 0x180
	s_waitcnt lgkmcnt(0)
	s_waitcnt_vscnt null, 0x0
	v_mad_u32_u24 v8, v32, s0, 0x1a0
	s_barrier
	buffer_gl0_inv
	v_add_f32_e32 v6, v37, v1
	v_add_f32_e32 v5, v41, v2
	v_cmp_eq_u32_e32 vcc_lo, 64, v4
	v_dual_add_f32 v4, v38, v3 :: v_dual_add_f32 v3, v39, v9
	v_dual_add_f32 v2, v40, v10 :: v_dual_lshlrev_b32 v9, 2, v7
	v_add_f32_e32 v1, v42, v11
	s_and_saveexec_b32 s0, vcc_lo
	s_cbranch_execz .LBB6_56
; %bb.55:
	s_delay_alu instid0(VALU_DEP_2)
	v_add3_u32 v10, v8, v9, 0xfffffd00
	ds_store_2addr_b32 v10, v6, v5 offset1:16
	ds_store_2addr_b32 v10, v4, v3 offset0:32 offset1:48
	ds_store_2addr_b32 v10, v2, v1 offset0:64 offset1:80
.LBB6_56:
	s_or_b32 exec_lo, exec_lo, s0
	v_cmp_eq_u32_e32 vcc_lo, 0, v36
	s_mov_b32 s1, exec_lo
	s_waitcnt lgkmcnt(0)
	s_barrier
	buffer_gl0_inv
	v_cmpx_gt_u32_e32 64, v0
	s_cbranch_execz .LBB6_65
; %bb.57:
	s_and_saveexec_b32 s0, vcc_lo
	s_cbranch_execnz .LBB6_79
; %bb.58:
	s_or_b32 exec_lo, exec_lo, s0
	s_and_saveexec_b32 s0, vcc_lo
	s_cbranch_execnz .LBB6_80
.LBB6_59:
	s_or_b32 exec_lo, exec_lo, s0
	s_and_saveexec_b32 s0, vcc_lo
	s_cbranch_execnz .LBB6_81
.LBB6_60:
	s_or_b32 exec_lo, exec_lo, s0
	s_and_saveexec_b32 s0, vcc_lo
	s_cbranch_execnz .LBB6_82
.LBB6_61:
	s_or_b32 exec_lo, exec_lo, s0
	s_and_saveexec_b32 s0, vcc_lo
	s_cbranch_execnz .LBB6_83
.LBB6_62:
	s_or_b32 exec_lo, exec_lo, s0
	s_and_saveexec_b32 s0, vcc_lo
	s_cbranch_execz .LBB6_64
.LBB6_63:
	v_lshl_add_u32 v10, v7, 2, v8
	ds_load_b32 v10, v10 offset:320
	s_waitcnt lgkmcnt(0)
	v_add_f32_e32 v1, v1, v10
.LBB6_64:
	s_or_b32 exec_lo, exec_lo, s0
.LBB6_65:
	s_delay_alu instid0(SALU_CYCLE_1)
	s_or_b32 exec_lo, exec_lo, s1
	v_and_b32_e32 v10, 0x3e1, v0
	s_mov_b32 s1, exec_lo
	s_barrier
	buffer_gl0_inv
	v_cmpx_eq_u32_e32 32, v10
	s_cbranch_execz .LBB6_67
; %bb.66:
	v_add3_u32 v9, v8, v9, 0xfffffe80
	ds_store_2addr_b32 v9, v6, v5 offset1:16
	ds_store_2addr_b32 v9, v4, v3 offset0:32 offset1:48
	ds_store_2addr_b32 v9, v2, v1 offset0:64 offset1:80
.LBB6_67:
	s_or_b32 exec_lo, exec_lo, s1
	s_delay_alu instid0(SALU_CYCLE_1)
	s_mov_b32 s1, exec_lo
	s_waitcnt lgkmcnt(0)
	s_barrier
	buffer_gl0_inv
	v_cmpx_gt_u32_e32 32, v0
	s_cbranch_execz .LBB6_76
; %bb.68:
	v_lshl_add_u32 v7, v7, 2, v8
	s_and_saveexec_b32 s0, vcc_lo
	s_cbranch_execnz .LBB6_84
; %bb.69:
	s_or_b32 exec_lo, exec_lo, s0
	s_and_saveexec_b32 s0, vcc_lo
	s_cbranch_execnz .LBB6_85
.LBB6_70:
	s_or_b32 exec_lo, exec_lo, s0
	s_and_saveexec_b32 s0, vcc_lo
	s_cbranch_execnz .LBB6_86
.LBB6_71:
	s_or_b32 exec_lo, exec_lo, s0
	s_and_saveexec_b32 s0, vcc_lo
	s_cbranch_execnz .LBB6_87
.LBB6_72:
	s_or_b32 exec_lo, exec_lo, s0
	s_and_saveexec_b32 s0, vcc_lo
	s_cbranch_execnz .LBB6_88
.LBB6_73:
	s_or_b32 exec_lo, exec_lo, s0
	s_and_saveexec_b32 s0, vcc_lo
	s_cbranch_execz .LBB6_75
.LBB6_74:
	ds_load_b32 v7, v7 offset:320
	s_waitcnt lgkmcnt(0)
	v_add_f32_e32 v1, v1, v7
.LBB6_75:
	s_or_b32 exec_lo, exec_lo, s0
.LBB6_76:
	s_delay_alu instid0(SALU_CYCLE_1)
	s_or_b32 exec_lo, exec_lo, s1
	s_barrier
	buffer_gl0_inv
	s_mov_b32 s0, exec_lo
	v_cmpx_eq_u32_e32 0, v10
	s_cbranch_execz .LBB6_78
; %bb.77:
	s_mul_i32 s0, s6, 0x60
	s_mul_i32 s2, s4, s20
	s_ashr_i32 s1, s0, 31
	v_lshlrev_b32_e32 v0, 1, v0
	s_lshl_b64 s[0:1], s[0:1], 2
	s_delay_alu instid0(SALU_CYCLE_1) | instskip(SKIP_2) | instid1(SALU_CYCLE_1)
	s_add_u32 s4, s22, s0
	s_addc_u32 s5, s23, s1
	s_ashr_i32 s3, s2, 31
	s_lshl_b64 s[0:1], s[2:3], 2
	s_mul_i32 s2, s12, 0x60
	s_add_u32 s4, s4, s0
	s_addc_u32 s5, s5, s1
	s_ashr_i32 s3, s2, 31
	s_delay_alu instid0(SALU_CYCLE_1) | instskip(NEXT) | instid1(SALU_CYCLE_1)
	s_lshl_b64 s[0:1], s[2:3], 2
	s_add_u32 s0, s4, s0
	s_addc_u32 s1, s5, s1
	s_clause 0x5
	global_store_b32 v0, v6, s[0:1]
	global_store_b32 v0, v5, s[0:1] offset:64
	global_store_b32 v0, v4, s[0:1] offset:128
	;; [unrolled: 1-line block ×5, first 2 shown]
.LBB6_78:
	s_nop 0
	s_sendmsg sendmsg(MSG_DEALLOC_VGPRS)
	s_endpgm
.LBB6_79:
	v_lshl_add_u32 v10, v7, 2, v8
	ds_load_b32 v10, v10
	s_waitcnt lgkmcnt(0)
	v_add_f32_e32 v6, v6, v10
	s_or_b32 exec_lo, exec_lo, s0
	s_and_saveexec_b32 s0, vcc_lo
	s_cbranch_execz .LBB6_59
.LBB6_80:
	v_lshl_add_u32 v10, v7, 2, v8
	ds_load_b32 v10, v10 offset:64
	s_waitcnt lgkmcnt(0)
	v_add_f32_e32 v5, v5, v10
	s_or_b32 exec_lo, exec_lo, s0
	s_and_saveexec_b32 s0, vcc_lo
	s_cbranch_execz .LBB6_60
.LBB6_81:
	v_lshl_add_u32 v10, v7, 2, v8
	ds_load_b32 v10, v10 offset:128
	s_waitcnt lgkmcnt(0)
	v_add_f32_e32 v4, v4, v10
	s_or_b32 exec_lo, exec_lo, s0
	s_and_saveexec_b32 s0, vcc_lo
	s_cbranch_execz .LBB6_61
.LBB6_82:
	v_lshl_add_u32 v10, v7, 2, v8
	ds_load_b32 v10, v10 offset:192
	s_waitcnt lgkmcnt(0)
	v_add_f32_e32 v3, v3, v10
	s_or_b32 exec_lo, exec_lo, s0
	s_and_saveexec_b32 s0, vcc_lo
	s_cbranch_execz .LBB6_62
.LBB6_83:
	v_lshl_add_u32 v10, v7, 2, v8
	ds_load_b32 v10, v10 offset:256
	s_waitcnt lgkmcnt(0)
	v_add_f32_e32 v2, v2, v10
	s_or_b32 exec_lo, exec_lo, s0
	s_and_saveexec_b32 s0, vcc_lo
	s_cbranch_execnz .LBB6_63
	s_branch .LBB6_64
.LBB6_84:
	ds_load_b32 v8, v7
	s_waitcnt lgkmcnt(0)
	v_add_f32_e32 v6, v6, v8
	s_or_b32 exec_lo, exec_lo, s0
	s_and_saveexec_b32 s0, vcc_lo
	s_cbranch_execz .LBB6_70
.LBB6_85:
	ds_load_b32 v8, v7 offset:64
	s_waitcnt lgkmcnt(0)
	v_add_f32_e32 v5, v5, v8
	s_or_b32 exec_lo, exec_lo, s0
	s_and_saveexec_b32 s0, vcc_lo
	s_cbranch_execz .LBB6_71
.LBB6_86:
	ds_load_b32 v8, v7 offset:128
	s_waitcnt lgkmcnt(0)
	v_add_f32_e32 v4, v4, v8
	s_or_b32 exec_lo, exec_lo, s0
	s_and_saveexec_b32 s0, vcc_lo
	s_cbranch_execz .LBB6_72
.LBB6_87:
	ds_load_b32 v8, v7 offset:192
	s_waitcnt lgkmcnt(0)
	v_add_f32_e32 v3, v3, v8
	s_or_b32 exec_lo, exec_lo, s0
	s_and_saveexec_b32 s0, vcc_lo
	s_cbranch_execz .LBB6_73
.LBB6_88:
	ds_load_b32 v8, v7 offset:256
	s_waitcnt lgkmcnt(0)
	v_add_f32_e32 v2, v2, v8
	s_or_b32 exec_lo, exec_lo, s0
	s_and_saveexec_b32 s0, vcc_lo
	s_cbranch_execnz .LBB6_74
	s_branch .LBB6_75
	.section	.rodata,"a",@progbits
	.p2align	6, 0x0
	.amdhsa_kernel _ZN4vllm25paged_attention_v2_kernelIffLi96ELi8ELi128ELNS_18Fp8KVCacheDataTypeE0ELb1ELi512EEEvPfS2_PT_PKS3_PKT0_S9_ifPKiSB_iPKfiiiSD_SD_iiiii
		.amdhsa_group_segment_fixed_size 416
		.amdhsa_private_segment_fixed_size 0
		.amdhsa_kernarg_size 400
		.amdhsa_user_sgpr_count 13
		.amdhsa_user_sgpr_dispatch_ptr 0
		.amdhsa_user_sgpr_queue_ptr 0
		.amdhsa_user_sgpr_kernarg_segment_ptr 1
		.amdhsa_user_sgpr_dispatch_id 0
		.amdhsa_user_sgpr_private_segment_size 0
		.amdhsa_wavefront_size32 1
		.amdhsa_uses_dynamic_stack 0
		.amdhsa_enable_private_segment 0
		.amdhsa_system_sgpr_workgroup_id_x 1
		.amdhsa_system_sgpr_workgroup_id_y 1
		.amdhsa_system_sgpr_workgroup_id_z 1
		.amdhsa_system_sgpr_workgroup_info 0
		.amdhsa_system_vgpr_workitem_id 0
		.amdhsa_next_free_vgpr 54
		.amdhsa_next_free_sgpr 46
		.amdhsa_reserve_vcc 1
		.amdhsa_float_round_mode_32 0
		.amdhsa_float_round_mode_16_64 0
		.amdhsa_float_denorm_mode_32 3
		.amdhsa_float_denorm_mode_16_64 3
		.amdhsa_dx10_clamp 1
		.amdhsa_ieee_mode 1
		.amdhsa_fp16_overflow 0
		.amdhsa_workgroup_processor_mode 1
		.amdhsa_memory_ordered 1
		.amdhsa_forward_progress 0
		.amdhsa_shared_vgpr_count 0
		.amdhsa_exception_fp_ieee_invalid_op 0
		.amdhsa_exception_fp_denorm_src 0
		.amdhsa_exception_fp_ieee_div_zero 0
		.amdhsa_exception_fp_ieee_overflow 0
		.amdhsa_exception_fp_ieee_underflow 0
		.amdhsa_exception_fp_ieee_inexact 0
		.amdhsa_exception_int_div_zero 0
	.end_amdhsa_kernel
	.section	.text._ZN4vllm25paged_attention_v2_kernelIffLi96ELi8ELi128ELNS_18Fp8KVCacheDataTypeE0ELb1ELi512EEEvPfS2_PT_PKS3_PKT0_S9_ifPKiSB_iPKfiiiSD_SD_iiiii,"axG",@progbits,_ZN4vllm25paged_attention_v2_kernelIffLi96ELi8ELi128ELNS_18Fp8KVCacheDataTypeE0ELb1ELi512EEEvPfS2_PT_PKS3_PKT0_S9_ifPKiSB_iPKfiiiSD_SD_iiiii,comdat
.Lfunc_end6:
	.size	_ZN4vllm25paged_attention_v2_kernelIffLi96ELi8ELi128ELNS_18Fp8KVCacheDataTypeE0ELb1ELi512EEEvPfS2_PT_PKS3_PKT0_S9_ifPKiSB_iPKfiiiSD_SD_iiiii, .Lfunc_end6-_ZN4vllm25paged_attention_v2_kernelIffLi96ELi8ELi128ELNS_18Fp8KVCacheDataTypeE0ELb1ELi512EEEvPfS2_PT_PKS3_PKT0_S9_ifPKiSB_iPKfiiiSD_SD_iiiii
                                        ; -- End function
	.section	.AMDGPU.csdata,"",@progbits
; Kernel info:
; codeLenInByte = 5788
; NumSgprs: 48
; NumVgprs: 54
; ScratchSize: 0
; MemoryBound: 0
; FloatMode: 240
; IeeeMode: 1
; LDSByteSize: 416 bytes/workgroup (compile time only)
; SGPRBlocks: 5
; VGPRBlocks: 6
; NumSGPRsForWavesPerEU: 48
; NumVGPRsForWavesPerEU: 54
; Occupancy: 16
; WaveLimiterHint : 1
; COMPUTE_PGM_RSRC2:SCRATCH_EN: 0
; COMPUTE_PGM_RSRC2:USER_SGPR: 13
; COMPUTE_PGM_RSRC2:TRAP_HANDLER: 0
; COMPUTE_PGM_RSRC2:TGID_X_EN: 1
; COMPUTE_PGM_RSRC2:TGID_Y_EN: 1
; COMPUTE_PGM_RSRC2:TGID_Z_EN: 1
; COMPUTE_PGM_RSRC2:TIDIG_COMP_CNT: 0
	.section	.text._ZN4vllm32paged_attention_v2_reduce_kernelIfLi96ELi128ELi512EEEvPT_PKfS4_PKS1_PKii,"axG",@progbits,_ZN4vllm32paged_attention_v2_reduce_kernelIfLi96ELi128ELi512EEEvPT_PKfS4_PKS1_PKii,comdat
	.protected	_ZN4vllm32paged_attention_v2_reduce_kernelIfLi96ELi128ELi512EEEvPT_PKfS4_PKS1_PKii ; -- Begin function _ZN4vllm32paged_attention_v2_reduce_kernelIfLi96ELi128ELi512EEEvPT_PKfS4_PKS1_PKii
	.globl	_ZN4vllm32paged_attention_v2_reduce_kernelIfLi96ELi128ELi512EEEvPT_PKfS4_PKS1_PKii
	.p2align	8
	.type	_ZN4vllm32paged_attention_v2_reduce_kernelIfLi96ELi128ELi512EEEvPT_PKfS4_PKS1_PKii,@function
_ZN4vllm32paged_attention_v2_reduce_kernelIfLi96ELi128ELi512EEEvPT_PKfS4_PKS1_PKii: ; @_ZN4vllm32paged_attention_v2_reduce_kernelIfLi96ELi128ELi512EEEvPT_PKfS4_PKS1_PKii
; %bb.0:
	s_load_b128 s[4:7], s[0:1], 0x18
	s_add_u32 s8, s0, 48
	s_mov_b32 s10, s15
	s_addc_u32 s9, s1, 0
	s_ashr_i32 s11, s15, 31
	s_delay_alu instid0(SALU_CYCLE_1)
	s_lshl_b64 s[2:3], s[10:11], 2
	s_waitcnt lgkmcnt(0)
	s_add_u32 s2, s6, s2
	s_addc_u32 s3, s7, s3
	s_load_b32 s20, s[2:3], 0x0
	s_clause 0x2
	s_load_b64 s[6:7], s[0:1], 0x0
	s_load_b32 s11, s[0:1], 0x28
	s_load_b32 s15, s[0:1], 0x30
	s_waitcnt lgkmcnt(0)
	s_add_i32 s2, s20, -1
	s_delay_alu instid0(SALU_CYCLE_1)
	s_cmpk_gt_u32 s2, 0x1ff
	s_mov_b32 s2, -1
	s_cbranch_scc0 .LBB7_26
; %bb.1:
	s_load_b64 s[2:3], s[0:1], 0x8
	s_add_i32 s12, s20, 0x1ff
	s_mul_i32 s18, s15, s10
	s_ashr_i32 s13, s12, 31
	v_mov_b32_e32 v3, 0xff7fffff
	s_lshr_b32 s13, s13, 23
	s_mul_i32 s16, s14, s11
	s_add_i32 s12, s12, s13
	s_ashr_i32 s17, s16, 31
	s_ashr_i32 s19, s12, 9
	s_mul_i32 s12, s18, s11
	v_cmp_gt_i32_e32 vcc_lo, s19, v0
	s_ashr_i32 s13, s12, 31
	s_and_saveexec_b32 s21, vcc_lo
	s_cbranch_execz .LBB7_5
; %bb.2:
	s_load_b32 s28, s[8:9], 0xc
	s_load_b64 s[22:23], s[0:1], 0x10
	s_lshl_b64 s[24:25], s[12:13], 2
	s_lshl_b64 s[26:27], s[16:17], 2
	v_lshlrev_b32_e32 v1, 2, v0
	v_mov_b32_e32 v3, 0xff7fffff
	s_delay_alu instid0(VALU_DEP_2)
	v_dual_mov_b32 v5, v0 :: v_dual_add_nc_u32 v4, 32, v1
	s_waitcnt lgkmcnt(0)
	s_and_b32 s1, s28, 0xffff
	s_add_u32 s0, s24, s26
	s_addc_u32 s24, s25, s27
	s_add_u32 s0, s22, s0
	s_addc_u32 s22, s23, s24
	v_add_co_u32 v1, s0, s0, v1
	s_delay_alu instid0(VALU_DEP_1)
	v_add_co_ci_u32_e64 v2, null, s22, 0, s0
	s_mov_b32 s22, 0
	s_lshl_b32 s23, s1, 2
	.p2align	6
.LBB7_3:                                ; =>This Inner Loop Header: Depth=1
	global_load_b32 v6, v[1:2], off
	v_add_nc_u32_e32 v5, s1, v5
	v_max_f32_e32 v3, v3, v3
	v_add_co_u32 v1, s0, v1, s23
	s_delay_alu instid0(VALU_DEP_1) | instskip(NEXT) | instid1(VALU_DEP_4)
	v_add_co_ci_u32_e64 v2, s0, 0, v2, s0
	v_cmp_le_i32_e64 s0, s19, v5
	s_delay_alu instid0(VALU_DEP_1)
	s_or_b32 s22, s0, s22
	s_waitcnt vmcnt(0)
	v_max_f32_e32 v7, v6, v6
	ds_store_b32 v4, v6
	v_dual_max_f32 v3, v3, v7 :: v_dual_add_nc_u32 v4, s23, v4
	s_and_not1_b32 exec_lo, exec_lo, s22
	s_cbranch_execnz .LBB7_3
; %bb.4:
	s_or_b32 exec_lo, exec_lo, s22
.LBB7_5:
	s_delay_alu instid0(SALU_CYCLE_1)
	s_or_b32 exec_lo, exec_lo, s21
	v_mbcnt_lo_u32_b32 v1, -1, 0
	s_waitcnt lgkmcnt(0)
	s_barrier
	buffer_gl0_inv
	v_xor_b32_e32 v2, 16, v1
	v_xor_b32_e32 v4, 8, v1
	s_delay_alu instid0(VALU_DEP_2) | instskip(NEXT) | instid1(VALU_DEP_1)
	v_cmp_gt_i32_e64 s0, 32, v2
	v_cndmask_b32_e64 v2, v1, v2, s0
	s_delay_alu instid0(VALU_DEP_3) | instskip(NEXT) | instid1(VALU_DEP_2)
	v_cmp_gt_i32_e64 s0, 32, v4
	v_lshlrev_b32_e32 v5, 2, v2
	s_delay_alu instid0(VALU_DEP_2) | instskip(SKIP_4) | instid1(VALU_DEP_2)
	v_cndmask_b32_e64 v4, v1, v4, s0
	ds_bpermute_b32 v2, v5, v3
	v_lshlrev_b32_e32 v6, 2, v4
	v_xor_b32_e32 v4, 4, v1
	v_max_f32_e32 v3, v3, v3
	v_cmp_gt_i32_e64 s0, 32, v4
	s_delay_alu instid0(VALU_DEP_1) | instskip(NEXT) | instid1(VALU_DEP_1)
	v_cndmask_b32_e64 v4, v1, v4, s0
	v_lshlrev_b32_e32 v7, 2, v4
	v_xor_b32_e32 v4, 2, v1
	s_waitcnt lgkmcnt(0)
	v_max_f32_e32 v2, v2, v2
	s_delay_alu instid0(VALU_DEP_2) | instskip(NEXT) | instid1(VALU_DEP_2)
	v_cmp_gt_i32_e64 s0, 32, v4
	v_max_f32_e32 v2, v3, v2
	s_delay_alu instid0(VALU_DEP_2) | instskip(SKIP_3) | instid1(VALU_DEP_1)
	v_cndmask_b32_e64 v4, v1, v4, s0
	ds_bpermute_b32 v3, v6, v2
	s_waitcnt lgkmcnt(0)
	v_max_f32_e32 v3, v3, v3
	v_max_f32_e32 v2, v2, v3
	ds_bpermute_b32 v3, v7, v2
	s_waitcnt lgkmcnt(0)
	v_dual_max_f32 v8, v3, v3 :: v_dual_lshlrev_b32 v3, 2, v4
	s_delay_alu instid0(VALU_DEP_1) | instskip(SKIP_3) | instid1(VALU_DEP_1)
	v_max_f32_e32 v2, v2, v8
	v_xor_b32_e32 v8, 1, v1
	ds_bpermute_b32 v4, v3, v2
	v_cmp_gt_i32_e64 s0, 32, v8
	v_cndmask_b32_e64 v1, v1, v8, s0
	v_lshrrev_b32_e32 v8, 5, v0
	s_delay_alu instid0(VALU_DEP_1) | instskip(SKIP_2) | instid1(VALU_DEP_1)
	v_lshlrev_b32_e32 v8, 2, v8
	s_waitcnt lgkmcnt(0)
	v_max_f32_e32 v4, v4, v4
	v_max_f32_e32 v2, v2, v4
	v_lshlrev_b32_e32 v4, 2, v1
	v_and_b32_e32 v1, 31, v0
	ds_bpermute_b32 v9, v4, v2
	v_cmp_eq_u32_e64 s0, 0, v1
	s_delay_alu instid0(VALU_DEP_1)
	s_and_saveexec_b32 s1, s0
	s_cbranch_execz .LBB7_7
; %bb.6:
	s_waitcnt lgkmcnt(0)
	v_dual_max_f32 v9, v9, v9 :: v_dual_max_f32 v2, v2, v2
	s_delay_alu instid0(VALU_DEP_1)
	v_max_f32_e32 v2, v2, v9
	ds_store_b32 v8, v2
.LBB7_7:
	s_or_b32 exec_lo, exec_lo, s1
	v_cmp_gt_u32_e64 s1, 4, v1
	s_waitcnt lgkmcnt(0)
	v_dual_mov_b32 v2, 0xff7fffff :: v_dual_lshlrev_b32 v9, 2, v1
	s_barrier
	buffer_gl0_inv
	s_and_saveexec_b32 s21, s1
	s_cbranch_execz .LBB7_9
; %bb.8:
	ds_load_b32 v2, v9
.LBB7_9:
	s_or_b32 exec_lo, exec_lo, s21
	s_waitcnt lgkmcnt(0)
	ds_bpermute_b32 v1, v3, v2
	v_max_f32_e32 v2, v2, v2
	s_lshl_b32 s21, s19, 2
	v_mov_b32_e32 v11, 0
	s_waitcnt lgkmcnt(0)
	v_max_f32_e32 v1, v1, v1
	s_delay_alu instid0(VALU_DEP_1) | instskip(SKIP_3) | instid1(VALU_DEP_1)
	v_max_f32_e32 v1, v2, v1
	ds_bpermute_b32 v2, v4, v1
	s_waitcnt lgkmcnt(0)
	v_max_f32_e32 v2, v2, v2
	v_max_f32_e32 v1, v1, v2
	ds_bpermute_b32 v10, v11, v1
	s_and_saveexec_b32 s22, vcc_lo
	s_cbranch_execz .LBB7_13
; %bb.10:
	s_load_b32 s23, s[8:9], 0xc
	s_lshl_b64 s[24:25], s[12:13], 2
	s_lshl_b64 s[26:27], s[16:17], 2
	v_lshlrev_b32_e32 v1, 2, v0
	v_mov_b32_e32 v11, 0
	s_delay_alu instid0(VALU_DEP_2)
	v_dual_mov_b32 v13, v0 :: v_dual_add_nc_u32 v12, 32, v1
	s_waitcnt lgkmcnt(0)
	s_and_b32 s13, s23, 0xffff
	s_add_u32 s17, s24, s26
	s_addc_u32 s23, s25, s27
	s_add_u32 s2, s2, s17
	s_addc_u32 s3, s3, s23
	v_add_co_u32 v1, s2, s2, v1
	s_delay_alu instid0(VALU_DEP_1)
	v_add_co_ci_u32_e64 v2, null, s3, 0, s2
	s_mov_b32 s3, 0
	s_lshl_b32 s17, s13, 2
	s_set_inst_prefetch_distance 0x1
	.p2align	6
.LBB7_11:                               ; =>This Inner Loop Header: Depth=1
	global_load_b32 v14, v[1:2], off
	ds_load_b32 v15, v12
	v_add_nc_u32_e32 v13, s13, v13
	s_waitcnt lgkmcnt(0)
	v_sub_f32_e32 v15, v15, v10
	s_delay_alu instid0(VALU_DEP_1) | instskip(NEXT) | instid1(VALU_DEP_1)
	v_mul_f32_e32 v16, 0x3fb8aa3b, v15
	v_fma_f32 v17, 0x3fb8aa3b, v15, -v16
	v_rndne_f32_e32 v18, v16
	s_delay_alu instid0(VALU_DEP_1) | instskip(NEXT) | instid1(VALU_DEP_1)
	v_dual_fmac_f32 v17, 0x32a5705f, v15 :: v_dual_sub_f32 v16, v16, v18
	v_add_f32_e32 v16, v16, v17
	v_cvt_i32_f32_e32 v17, v18
	v_cmp_ngt_f32_e32 vcc_lo, 0xc2ce8ed0, v15
	v_cmp_nlt_f32_e64 s2, 0x42b17218, v15
	s_delay_alu instid0(VALU_DEP_4) | instskip(SKIP_3) | instid1(VALU_DEP_2)
	v_exp_f32_e32 v16, v16
	s_waitcnt_depctr 0xfff
	v_ldexp_f32 v16, v16, v17
	v_add_nc_u32_e32 v17, s21, v12
	v_cndmask_b32_e32 v16, 0, v16, vcc_lo
	v_add_co_u32 v1, vcc_lo, v1, s17
	v_add_co_ci_u32_e32 v2, vcc_lo, 0, v2, vcc_lo
	s_delay_alu instid0(VALU_DEP_3)
	v_cndmask_b32_e64 v15, 0x7f800000, v16, s2
	v_cmp_le_i32_e32 vcc_lo, s19, v13
	v_add_nc_u32_e32 v12, s17, v12
	s_or_b32 s3, vcc_lo, s3
	s_waitcnt vmcnt(0)
	v_fmac_f32_e32 v11, v14, v15
	v_mul_f32_e32 v16, v14, v15
	ds_store_b32 v17, v16
	s_and_not1_b32 exec_lo, exec_lo, s3
	s_cbranch_execnz .LBB7_11
; %bb.12:
	s_set_inst_prefetch_distance 0x2
	s_or_b32 exec_lo, exec_lo, s3
.LBB7_13:
	s_delay_alu instid0(SALU_CYCLE_1)
	s_or_b32 exec_lo, exec_lo, s22
	ds_bpermute_b32 v1, v5, v11
	s_waitcnt lgkmcnt(0)
	s_barrier
	buffer_gl0_inv
	v_add_f32_e32 v1, v11, v1
	ds_bpermute_b32 v2, v6, v1
	s_waitcnt lgkmcnt(0)
	v_add_f32_e32 v1, v1, v2
	ds_bpermute_b32 v2, v7, v1
	s_waitcnt lgkmcnt(0)
	;; [unrolled: 3-line block ×4, first 2 shown]
	v_add_f32_e32 v1, v1, v2
	s_and_saveexec_b32 s2, s0
	s_cbranch_execz .LBB7_15
; %bb.14:
	ds_store_b32 v8, v1 offset:16
.LBB7_15:
	s_or_b32 exec_lo, exec_lo, s2
	s_waitcnt lgkmcnt(0)
	s_barrier
	buffer_gl0_inv
	s_and_saveexec_b32 s0, s1
	s_cbranch_execz .LBB7_17
; %bb.16:
	ds_load_b32 v1, v9 offset:16
.LBB7_17:
	s_or_b32 exec_lo, exec_lo, s0
	s_waitcnt lgkmcnt(0)
	ds_bpermute_b32 v2, v3, v1
	s_mov_b32 s0, exec_lo
	s_waitcnt lgkmcnt(0)
	v_add_f32_e32 v1, v1, v2
	ds_bpermute_b32 v2, v4, v1
	s_waitcnt lgkmcnt(0)
	v_dual_add_f32 v1, v1, v2 :: v_dual_mov_b32 v2, 0
	ds_bpermute_b32 v2, v2, v1
	v_cmpx_gt_u32_e32 0x60, v0
	s_cbranch_execz .LBB7_25
; %bb.18:
	s_cmp_gt_i32 s20, 0
	s_mov_b32 s1, 0
	s_cbranch_scc1 .LBB7_20
; %bb.19:
	v_mov_b32_e32 v1, 0
	s_branch .LBB7_21
.LBB7_20:
	s_mov_b32 s1, -1
.LBB7_21:
	s_delay_alu instid0(SALU_CYCLE_1) | instskip(SKIP_1) | instid1(VALU_DEP_2)
	v_cndmask_b32_e64 v3, 0, 1, s1
	v_mov_b32_e32 v4, s1
	v_cmp_ne_u32_e32 vcc_lo, 1, v3
	s_cbranch_vccnz .LBB7_24
; %bb.22:
	s_waitcnt lgkmcnt(0)
	v_add_f32_e32 v4, 0x358637bd, v2
	s_mulk_i32 s12, 0x60
	s_mulk_i32 s16, 0x60
	s_ashr_i32 s13, s12, 31
	s_ashr_i32 s17, s16, 31
	v_div_scale_f32 v2, null, v4, v4, 1.0
	s_lshl_b64 s[12:13], s[12:13], 2
	s_lshl_b64 s[16:17], s[16:17], 2
	s_max_i32 s1, s19, 1
	s_delay_alu instid0(VALU_DEP_1)
	v_rcp_f32_e32 v3, v2
	s_add_i32 s2, s21, 32
	s_add_u32 s3, s12, s16
	s_addc_u32 s12, s13, s17
	s_add_u32 s3, s4, s3
	s_addc_u32 s12, s5, s12
	s_waitcnt_depctr 0xfff
	v_fma_f32 v1, -v2, v3, 1.0
	s_delay_alu instid0(VALU_DEP_1) | instskip(SKIP_1) | instid1(VALU_DEP_1)
	v_fmac_f32_e32 v3, v1, v3
	v_div_scale_f32 v5, vcc_lo, 1.0, v4, 1.0
	v_dual_mov_b32 v1, 0 :: v_dual_mul_f32 v6, v5, v3
	s_delay_alu instid0(VALU_DEP_1) | instskip(NEXT) | instid1(VALU_DEP_1)
	v_fma_f32 v7, -v2, v6, v5
	v_dual_fmac_f32 v6, v7, v3 :: v_dual_lshlrev_b32 v7, 2, v0
	s_delay_alu instid0(VALU_DEP_1) | instskip(NEXT) | instid1(VALU_DEP_1)
	v_fma_f32 v2, -v2, v6, v5
	v_div_fmas_f32 v5, v2, v3, v6
	s_delay_alu instid0(VALU_DEP_3) | instskip(NEXT) | instid1(VALU_DEP_1)
	v_add_co_u32 v2, s3, s3, v7
	v_add_co_ci_u32_e64 v3, null, s12, 0, s3
	s_delay_alu instid0(VALU_DEP_3)
	v_div_fixup_f32 v5, v5, v4, 1.0
	v_mov_b32_e32 v4, v1
.LBB7_23:                               ; =>This Inner Loop Header: Depth=1
	global_load_b32 v6, v[2:3], off
	v_mov_b32_e32 v7, s2
	v_add_co_u32 v2, vcc_lo, 0x180, v2
	v_add_co_ci_u32_e32 v3, vcc_lo, 0, v3, vcc_lo
	ds_load_b32 v7, v7
	s_add_i32 s1, s1, -1
	s_add_i32 s2, s2, 4
	s_cmp_eq_u32 s1, 0
	s_waitcnt vmcnt(0) lgkmcnt(0)
	v_mul_f32_e32 v6, v6, v7
	s_delay_alu instid0(VALU_DEP_1)
	v_fmac_f32_e32 v4, v5, v6
	s_cbranch_scc0 .LBB7_23
.LBB7_24:
	s_mul_i32 s2, s18, 0x60
	s_mul_i32 s12, s14, 0x60
	s_ashr_i32 s3, s2, 31
	s_waitcnt lgkmcnt(0)
	v_lshlrev_b64 v[1:2], 2, v[0:1]
	s_lshl_b64 s[2:3], s[2:3], 2
	s_delay_alu instid0(SALU_CYCLE_1) | instskip(SKIP_2) | instid1(SALU_CYCLE_1)
	s_add_u32 s1, s6, s2
	s_addc_u32 s16, s7, s3
	s_ashr_i32 s13, s12, 31
	s_lshl_b64 s[2:3], s[12:13], 2
	s_delay_alu instid0(SALU_CYCLE_1)
	s_add_u32 s1, s1, s2
	s_addc_u32 s2, s16, s3
	v_add_co_u32 v1, vcc_lo, s1, v1
	v_add_co_ci_u32_e32 v2, vcc_lo, s2, v2, vcc_lo
	global_store_b32 v[1:2], v4, off
.LBB7_25:
	s_or_b32 exec_lo, exec_lo, s0
	s_mov_b32 s2, 0
.LBB7_26:
	s_delay_alu instid0(SALU_CYCLE_1)
	s_and_b32 vcc_lo, exec_lo, s2
	s_cbranch_vccz .LBB7_30
; %bb.27:
	s_mov_b32 s0, exec_lo
	v_cmpx_gt_u32_e32 0x60, v0
	s_cbranch_execz .LBB7_30
; %bb.28:
	s_mul_i32 s0, s15, s10
	s_load_b32 s10, s[8:9], 0xc
	s_mulk_i32 s0, 0x60
	s_mul_i32 s12, s14, 0x60
	s_ashr_i32 s1, s0, 31
	s_mul_i32 s8, s12, s11
	s_lshl_b64 s[2:3], s[0:1], 2
	s_waitcnt lgkmcnt(0)
	v_dual_mov_b32 v2, 0 :: v_dual_lshlrev_b32 v1, 2, v0
	s_add_u32 s1, s6, s2
	s_addc_u32 s7, s7, s3
	s_ashr_i32 s13, s12, 31
	s_mul_i32 s6, s0, s11
	s_lshl_b64 s[2:3], s[12:13], 2
	s_delay_alu instid0(SALU_CYCLE_1) | instskip(SKIP_2) | instid1(SALU_CYCLE_1)
	s_add_u32 s1, s1, s2
	s_addc_u32 s2, s7, s3
	s_ashr_i32 s7, s6, 31
	s_lshl_b64 s[6:7], s[6:7], 2
	s_delay_alu instid0(SALU_CYCLE_1) | instskip(SKIP_2) | instid1(SALU_CYCLE_1)
	s_add_u32 s0, s4, s6
	s_addc_u32 s6, s5, s7
	s_ashr_i32 s9, s8, 31
	s_lshl_b64 s[4:5], s[8:9], 2
	s_delay_alu instid0(SALU_CYCLE_1)
	s_add_u32 s3, s0, s4
	s_addc_u32 s4, s6, s5
	s_and_b32 s5, s10, 0xffff
	s_mov_b32 s6, 0
	s_lshl_b32 s7, s5, 2
	.p2align	6
.LBB7_29:                               ; =>This Inner Loop Header: Depth=1
	v_add_co_u32 v3, vcc_lo, s3, v1
	v_add_co_ci_u32_e32 v4, vcc_lo, s4, v2, vcc_lo
	v_add_nc_u32_e32 v0, s5, v0
	global_load_b32 v5, v[3:4], off
	v_add_co_u32 v3, vcc_lo, s1, v1
	v_add_co_ci_u32_e32 v4, vcc_lo, s2, v2, vcc_lo
	v_cmp_lt_u32_e32 vcc_lo, 0x5f, v0
	v_add_co_u32 v1, s0, v1, s7
	s_delay_alu instid0(VALU_DEP_1)
	v_add_co_ci_u32_e64 v2, s0, 0, v2, s0
	s_or_b32 s6, vcc_lo, s6
	s_waitcnt vmcnt(0)
	global_store_b32 v[3:4], v5, off
	s_and_not1_b32 exec_lo, exec_lo, s6
	s_cbranch_execnz .LBB7_29
.LBB7_30:
	s_nop 0
	s_sendmsg sendmsg(MSG_DEALLOC_VGPRS)
	s_endpgm
	.section	.rodata,"a",@progbits
	.p2align	6, 0x0
	.amdhsa_kernel _ZN4vllm32paged_attention_v2_reduce_kernelIfLi96ELi128ELi512EEEvPT_PKfS4_PKS1_PKii
		.amdhsa_group_segment_fixed_size 32
		.amdhsa_private_segment_fixed_size 0
		.amdhsa_kernarg_size 304
		.amdhsa_user_sgpr_count 14
		.amdhsa_user_sgpr_dispatch_ptr 0
		.amdhsa_user_sgpr_queue_ptr 0
		.amdhsa_user_sgpr_kernarg_segment_ptr 1
		.amdhsa_user_sgpr_dispatch_id 0
		.amdhsa_user_sgpr_private_segment_size 0
		.amdhsa_wavefront_size32 1
		.amdhsa_uses_dynamic_stack 0
		.amdhsa_enable_private_segment 0
		.amdhsa_system_sgpr_workgroup_id_x 1
		.amdhsa_system_sgpr_workgroup_id_y 1
		.amdhsa_system_sgpr_workgroup_id_z 0
		.amdhsa_system_sgpr_workgroup_info 0
		.amdhsa_system_vgpr_workitem_id 0
		.amdhsa_next_free_vgpr 19
		.amdhsa_next_free_sgpr 29
		.amdhsa_reserve_vcc 1
		.amdhsa_float_round_mode_32 0
		.amdhsa_float_round_mode_16_64 0
		.amdhsa_float_denorm_mode_32 3
		.amdhsa_float_denorm_mode_16_64 3
		.amdhsa_dx10_clamp 1
		.amdhsa_ieee_mode 1
		.amdhsa_fp16_overflow 0
		.amdhsa_workgroup_processor_mode 1
		.amdhsa_memory_ordered 1
		.amdhsa_forward_progress 0
		.amdhsa_shared_vgpr_count 0
		.amdhsa_exception_fp_ieee_invalid_op 0
		.amdhsa_exception_fp_denorm_src 0
		.amdhsa_exception_fp_ieee_div_zero 0
		.amdhsa_exception_fp_ieee_overflow 0
		.amdhsa_exception_fp_ieee_underflow 0
		.amdhsa_exception_fp_ieee_inexact 0
		.amdhsa_exception_int_div_zero 0
	.end_amdhsa_kernel
	.section	.text._ZN4vllm32paged_attention_v2_reduce_kernelIfLi96ELi128ELi512EEEvPT_PKfS4_PKS1_PKii,"axG",@progbits,_ZN4vllm32paged_attention_v2_reduce_kernelIfLi96ELi128ELi512EEEvPT_PKfS4_PKS1_PKii,comdat
.Lfunc_end7:
	.size	_ZN4vllm32paged_attention_v2_reduce_kernelIfLi96ELi128ELi512EEEvPT_PKfS4_PKS1_PKii, .Lfunc_end7-_ZN4vllm32paged_attention_v2_reduce_kernelIfLi96ELi128ELi512EEEvPT_PKfS4_PKS1_PKii
                                        ; -- End function
	.section	.AMDGPU.csdata,"",@progbits
; Kernel info:
; codeLenInByte = 2024
; NumSgprs: 31
; NumVgprs: 19
; ScratchSize: 0
; MemoryBound: 0
; FloatMode: 240
; IeeeMode: 1
; LDSByteSize: 32 bytes/workgroup (compile time only)
; SGPRBlocks: 3
; VGPRBlocks: 2
; NumSGPRsForWavesPerEU: 31
; NumVGPRsForWavesPerEU: 19
; Occupancy: 16
; WaveLimiterHint : 0
; COMPUTE_PGM_RSRC2:SCRATCH_EN: 0
; COMPUTE_PGM_RSRC2:USER_SGPR: 14
; COMPUTE_PGM_RSRC2:TRAP_HANDLER: 0
; COMPUTE_PGM_RSRC2:TGID_X_EN: 1
; COMPUTE_PGM_RSRC2:TGID_Y_EN: 1
; COMPUTE_PGM_RSRC2:TGID_Z_EN: 0
; COMPUTE_PGM_RSRC2:TIDIG_COMP_CNT: 0
	.section	.text._ZN4vllm25paged_attention_v2_kernelIffLi112ELi8ELi128ELNS_18Fp8KVCacheDataTypeE0ELb1ELi512EEEvPfS2_PT_PKS3_PKT0_S9_ifPKiSB_iPKfiiiSD_SD_iiiii,"axG",@progbits,_ZN4vllm25paged_attention_v2_kernelIffLi112ELi8ELi128ELNS_18Fp8KVCacheDataTypeE0ELb1ELi512EEEvPfS2_PT_PKS3_PKT0_S9_ifPKiSB_iPKfiiiSD_SD_iiiii,comdat
	.protected	_ZN4vllm25paged_attention_v2_kernelIffLi112ELi8ELi128ELNS_18Fp8KVCacheDataTypeE0ELb1ELi512EEEvPfS2_PT_PKS3_PKT0_S9_ifPKiSB_iPKfiiiSD_SD_iiiii ; -- Begin function _ZN4vllm25paged_attention_v2_kernelIffLi112ELi8ELi128ELNS_18Fp8KVCacheDataTypeE0ELb1ELi512EEEvPfS2_PT_PKS3_PKT0_S9_ifPKiSB_iPKfiiiSD_SD_iiiii
	.globl	_ZN4vllm25paged_attention_v2_kernelIffLi112ELi8ELi128ELNS_18Fp8KVCacheDataTypeE0ELb1ELi512EEEvPfS2_PT_PKS3_PKT0_S9_ifPKiSB_iPKfiiiSD_SD_iiiii
	.p2align	8
	.type	_ZN4vllm25paged_attention_v2_kernelIffLi112ELi8ELi128ELNS_18Fp8KVCacheDataTypeE0ELb1ELi512EEEvPfS2_PT_PKS3_PKT0_S9_ifPKiSB_iPKfiiiSD_SD_iiiii,@function
_ZN4vllm25paged_attention_v2_kernelIffLi112ELi8ELi128ELNS_18Fp8KVCacheDataTypeE0ELb1ELi512EEEvPfS2_PT_PKS3_PKT0_S9_ifPKiSB_iPKfiiiSD_SD_iiiii: ; @_ZN4vllm25paged_attention_v2_kernelIffLi112ELi8ELi128ELNS_18Fp8KVCacheDataTypeE0ELb1ELi512EEEvPfS2_PT_PKS3_PKT0_S9_ifPKiSB_iPKfiiiSD_SD_iiiii
; %bb.0:
	s_load_b64 s[2:3], s[0:1], 0x40
	s_mov_b32 s12, s15
	s_ashr_i32 s15, s14, 31
	s_delay_alu instid0(SALU_CYCLE_1)
	s_lshl_b64 s[4:5], s[14:15], 2
	s_waitcnt lgkmcnt(0)
	s_add_u32 s2, s2, s4
	s_addc_u32 s3, s3, s5
	s_lshl_b32 s38, s12, 9
	s_load_b32 s15, s[2:3], 0x0
	s_waitcnt lgkmcnt(0)
	s_cmp_ge_i32 s38, s15
	s_cbranch_scc1 .LBB8_82
; %bb.1:
	s_mov_b32 s24, s13
	s_clause 0x1
	s_load_b32 s13, s[0:1], 0x90
	s_load_b64 s[36:37], s[0:1], 0x30
	s_mov_b32 s40, 0
	s_waitcnt lgkmcnt(0)
	s_abs_i32 s5, s13
	s_abs_i32 s2, s36
	s_delay_alu instid0(SALU_CYCLE_1) | instskip(SKIP_1) | instid1(VALU_DEP_1)
	v_cvt_f32_u32_e32 v1, s2
	s_sub_i32 s4, 0, s2
	v_rcp_iflag_f32_e32 v1, v1
	s_waitcnt_depctr 0xfff
	v_mul_f32_e32 v1, 0x4f7ffffe, v1
	s_delay_alu instid0(VALU_DEP_1) | instskip(NEXT) | instid1(VALU_DEP_1)
	v_cvt_u32_f32_e32 v1, v1
	v_readfirstlane_b32 s3, v1
	s_delay_alu instid0(VALU_DEP_1) | instskip(NEXT) | instid1(SALU_CYCLE_1)
	s_mul_i32 s4, s4, s3
	s_mul_hi_u32 s4, s3, s4
	s_delay_alu instid0(SALU_CYCLE_1) | instskip(SKIP_4) | instid1(SALU_CYCLE_1)
	s_add_i32 s3, s3, s4
	s_xor_b32 s4, s13, s36
	s_mul_hi_u32 s3, s5, s3
	s_ashr_i32 s4, s4, 31
	s_mul_i32 s6, s3, s2
	s_sub_i32 s5, s5, s6
	s_add_i32 s6, s3, 1
	s_sub_i32 s7, s5, s2
	s_cmp_ge_u32 s5, s2
	s_cselect_b32 s3, s6, s3
	s_cselect_b32 s5, s7, s5
	s_add_i32 s6, s3, 1
	s_cmp_ge_u32 s5, s2
	s_cselect_b32 s2, s6, s3
	s_abs_i32 s17, s24
	s_xor_b32 s2, s2, s4
	s_delay_alu instid0(SALU_CYCLE_1) | instskip(SKIP_2) | instid1(SALU_CYCLE_1)
	s_sub_i32 s8, s2, s4
	s_load_b64 s[2:3], s[0:1], 0x50
	s_abs_i32 s16, s8
	v_cvt_f32_u32_e32 v1, s16
	s_sub_i32 s5, 0, s16
	s_delay_alu instid0(VALU_DEP_1) | instskip(SKIP_2) | instid1(VALU_DEP_1)
	v_rcp_iflag_f32_e32 v1, v1
	s_waitcnt_depctr 0xfff
	v_mul_f32_e32 v1, 0x4f7ffffe, v1
	v_cvt_u32_f32_e32 v1, v1
	s_delay_alu instid0(VALU_DEP_1) | instskip(NEXT) | instid1(VALU_DEP_1)
	v_readfirstlane_b32 s4, v1
	s_mul_i32 s5, s5, s4
	s_delay_alu instid0(SALU_CYCLE_1) | instskip(NEXT) | instid1(SALU_CYCLE_1)
	s_mul_hi_u32 s5, s4, s5
	s_add_i32 s4, s4, s5
	s_waitcnt lgkmcnt(0)
	s_cmp_eq_u64 s[2:3], 0
	s_mul_hi_u32 s18, s17, s4
	s_cbranch_scc1 .LBB8_3
; %bb.2:
	s_ashr_i32 s25, s24, 31
	s_delay_alu instid0(SALU_CYCLE_1) | instskip(NEXT) | instid1(SALU_CYCLE_1)
	s_lshl_b64 s[4:5], s[24:25], 2
	s_add_u32 s2, s2, s4
	s_addc_u32 s3, s3, s5
	s_load_b32 s40, s[2:3], 0x0
.LBB8_3:
	s_load_b128 s[4:7], s[0:1], 0x58
	v_and_b32_e32 v1, 3, v0
	v_lshlrev_b32_e32 v3, 2, v0
	s_ashr_i32 s2, s24, 31
	s_ashr_i32 s3, s8, 31
	s_mul_i32 s20, s24, 0x70
	s_waitcnt lgkmcnt(0)
	s_mov_b32 s7, exec_lo
	v_cmpx_gt_u32_e32 0x70, v0
	s_cbranch_execz .LBB8_5
; %bb.4:
	s_load_b64 s[8:9], s[0:1], 0x18
	s_mul_i32 s10, s14, s4
	v_and_b32_e32 v4, 0x3fc, v0
	s_ashr_i32 s11, s10, 31
	s_delay_alu instid0(SALU_CYCLE_1) | instskip(NEXT) | instid1(VALU_DEP_1)
	s_lshl_b64 s[10:11], s[10:11], 2
	v_mad_u32_u24 v4, 0x70, v1, v4
	s_waitcnt lgkmcnt(0)
	s_add_u32 s4, s8, s10
	s_addc_u32 s10, s9, s11
	s_ashr_i32 s21, s20, 31
	s_delay_alu instid0(SALU_CYCLE_1) | instskip(NEXT) | instid1(SALU_CYCLE_1)
	s_lshl_b64 s[8:9], s[20:21], 2
	s_add_u32 s8, s4, s8
	s_addc_u32 s9, s10, s9
	global_load_b32 v2, v3, s[8:9]
	s_waitcnt vmcnt(0)
	ds_store_b32 v4, v2
.LBB8_5:
	s_or_b32 exec_lo, exec_lo, s7
	s_load_b128 s[8:11], s[0:1], 0x78
	s_mul_i32 s4, s18, s16
	s_xor_b32 s2, s2, s3
	s_sub_i32 s3, s17, s4
	s_add_i32 s4, s18, 1
	s_sub_i32 s7, s3, s16
	s_cmp_ge_u32 s3, s16
	s_mov_b32 s17, -1
	s_cselect_b32 s4, s4, s18
	s_cselect_b32 s3, s7, s3
	s_add_i32 s7, s4, 1
	s_cmp_ge_u32 s3, s16
	s_waitcnt lgkmcnt(0)
	s_cselect_b32 s3, s7, s4
	s_load_b32 s4, s[0:1], 0x88
	s_xor_b32 s3, s3, s2
	s_add_i32 s16, s15, -1
	s_sub_i32 s3, s3, s2
	s_abs_i32 s7, s16
	s_waitcnt lgkmcnt(0)
	s_barrier
	s_abs_i32 s21, s11
	buffer_gl0_inv
	v_cvt_f32_u32_e32 v2, s21
	s_sub_i32 s2, 0, s21
                                        ; implicit-def: $sgpr33
	s_delay_alu instid0(VALU_DEP_1) | instskip(SKIP_2) | instid1(VALU_DEP_1)
	v_rcp_iflag_f32_e32 v2, v2
	s_waitcnt_depctr 0xfff
	v_mul_f32_e32 v2, 0x4f7ffffe, v2
	v_cvt_u32_f32_e32 v2, v2
	s_delay_alu instid0(VALU_DEP_1) | instskip(NEXT) | instid1(VALU_DEP_1)
	v_readfirstlane_b32 s25, v2
	s_mul_i32 s2, s2, s25
	s_delay_alu instid0(SALU_CYCLE_1) | instskip(NEXT) | instid1(SALU_CYCLE_1)
	s_mul_hi_u32 s2, s25, s2
	s_add_i32 s25, s25, s2
	s_cmp_lt_i32 s4, 0
	s_mul_hi_u32 s2, s7, s25
	s_cbranch_scc0 .LBB8_7
; %bb.6:
	s_mul_i32 s17, s8, s36
	s_delay_alu instid0(SALU_CYCLE_1) | instskip(NEXT) | instid1(SALU_CYCLE_1)
	s_add_i32 s17, s3, s17
	s_mul_i32 s17, s17, s4
	s_delay_alu instid0(SALU_CYCLE_1)
	s_sub_i32 s33, 1, s17
	s_mov_b32 s17, 0
.LBB8_7:
	s_load_b64 s[26:27], s[0:1], 0x38
	s_ashr_i32 s28, s16, 31
	s_and_not1_b32 vcc_lo, exec_lo, s17
	s_ashr_i32 s11, s11, 31
	s_cbranch_vccnz .LBB8_9
; %bb.8:
	s_mul_i32 s8, s13, s8
	s_delay_alu instid0(SALU_CYCLE_1) | instskip(NEXT) | instid1(SALU_CYCLE_1)
	s_add_i32 s8, s8, s24
	s_mul_i32 s4, s8, s4
	s_delay_alu instid0(SALU_CYCLE_1)
	s_add_i32 s33, s4, 1
.LBB8_9:
	s_clause 0x4
	s_load_b32 s8, s[0:1], 0x48
	s_load_b64 s[30:31], s[0:1], 0x28
	s_load_b32 s4, s[0:1], 0x98
	s_load_b128 s[16:19], s[0:1], 0x0
	s_load_b64 s[22:23], s[0:1], 0x10
	s_xor_b32 s34, s28, s11
	s_mul_i32 s28, s2, s21
	s_add_i32 s35, s2, 1
	s_sub_i32 s7, s7, s28
	v_lshrrev_b32_e32 v36, 5, v0
	v_mov_b32_e32 v5, 0xff7fffff
	v_mbcnt_lo_u32_b32 v4, -1, 0
	s_delay_alu instid0(VALU_DEP_3)
	v_lshl_add_u32 v37, v36, 3, s38
	s_waitcnt lgkmcnt(0)
	s_mul_i32 s28, s14, s8
	s_sub_i32 s8, s7, s21
	s_ashr_i32 s29, s28, 31
	s_cmp_ge_u32 s7, s21
	s_cselect_b32 s2, s35, s2
	s_cselect_b32 s7, s8, s7
	s_add_i32 s8, s2, 1
	s_cmp_ge_u32 s7, s21
	s_cselect_b32 s2, s8, s2
	s_add_i32 s8, s15, 7
	s_lshl_b32 s7, s12, 6
	s_ashr_i32 s35, s8, 31
	v_or_b32_e32 v33, s7, v36
	s_lshr_b32 s35, s35, 29
	s_xor_b32 s39, s2, s34
	s_add_i32 s8, s8, s35
	s_add_i32 s35, s7, 64
	s_ashr_i32 s36, s8, 3
	v_ashrrev_i32_e32 v34, 31, v33
	s_min_i32 s8, s35, s36
	s_sub_i32 s39, s39, s34
	v_cmp_gt_i32_e64 s2, s8, v33
	s_mul_i32 s34, s3, s6
	s_delay_alu instid0(VALU_DEP_1)
	s_and_saveexec_b32 s6, s2
	s_cbranch_execz .LBB8_19
; %bb.10:
	s_load_b64 s[0:1], s[0:1], 0x20
	s_ashr_i32 s35, s34, 31
	v_bfe_u32 v6, v0, 2, 3
	s_lshl_b64 s[42:43], s[34:35], 2
	s_sub_i32 s35, s39, s9
	v_cmp_eq_u32_e32 vcc_lo, 0, v1
	v_dual_mov_b32 v9, 0xff7fffff :: v_dual_lshlrev_b32 v14, 2, v1
	v_subrev_nc_u32_e32 v15, s15, v6
	v_mul_u32_u24_e32 v7, 0x70, v1
	v_lshl_add_u32 v8, v36, 3, s38
	v_xor_b32_e32 v10, 2, v4
	v_xor_b32_e32 v11, 1, v4
	v_lshlrev_b32_e32 v18, 4, v6
	s_waitcnt lgkmcnt(0)
	s_add_u32 s3, s0, s42
	s_addc_u32 s1, s1, s43
	s_abs_i32 s41, s10
	v_cmp_neq_f32_e64 s0, s40, 0
	v_cvt_f32_u32_e32 v2, s41
	s_sub_i32 s42, 0, s41
	s_delay_alu instid0(VALU_DEP_1)
	v_rcp_iflag_f32_e32 v5, v2
	v_lshlrev_b32_e32 v12, 2, v6
	v_lshlrev_b64 v[1:2], 2, v[33:34]
	s_waitcnt_depctr 0xfff
	v_mul_f32_e32 v13, 0x4f7ffffe, v5
	v_lshl_or_b32 v16, v36, 5, v12
	v_dual_mov_b32 v5, 0xff7fffff :: v_dual_add_nc_u32 v12, 1, v15
	s_delay_alu instid0(VALU_DEP_3) | instskip(NEXT) | instid1(VALU_DEP_3)
	v_cvt_u32_f32_e32 v17, v13
	v_add_nc_u32_e32 v13, 0x1e0, v16
	v_add_co_u32 v16, s3, s3, v18
	s_delay_alu instid0(VALU_DEP_1) | instskip(NEXT) | instid1(VALU_DEP_4)
	v_add_co_ci_u32_e64 v18, null, s1, 0, s3
	v_mul_lo_u32 v15, s42, v17
	s_lshl_b64 s[42:43], s[28:29], 2
	s_delay_alu instid0(SALU_CYCLE_1) | instskip(SKIP_2) | instid1(VALU_DEP_1)
	s_add_u32 s1, s26, s42
	s_addc_u32 s3, s27, s43
	v_add_co_u32 v1, s1, s1, v1
	v_add_co_ci_u32_e64 v2, s1, s3, v2, s1
	s_delay_alu instid0(VALU_DEP_3) | instskip(SKIP_1) | instid1(VALU_DEP_1)
	v_mul_hi_u32 v19, v17, v15
	v_add_co_u32 v14, s1, v16, v14
	v_add_co_ci_u32_e64 v15, s1, 0, v18, s1
	s_mov_b32 s42, 0
	s_mov_b32 s43, s5
	s_delay_alu instid0(VALU_DEP_3)
	v_add_nc_u32_e32 v16, v17, v19
	v_mov_b32_e32 v17, v33
	s_branch .LBB8_13
.LBB8_11:                               ;   in Loop: Header=BB8_13 Depth=1
	s_or_b32 exec_lo, exec_lo, s44
.LBB8_12:                               ;   in Loop: Header=BB8_13 Depth=1
	s_delay_alu instid0(SALU_CYCLE_1) | instskip(SKIP_2) | instid1(VALU_DEP_1)
	s_or_b32 exec_lo, exec_lo, s3
	v_add_nc_u32_e32 v17, 4, v17
	v_add_co_u32 v1, s3, v1, 16
	v_add_co_ci_u32_e64 v2, s3, 0, v2, s3
	s_delay_alu instid0(VALU_DEP_3) | instskip(SKIP_2) | instid1(VALU_DEP_3)
	v_cmp_le_i32_e64 s1, s8, v17
	v_add_nc_u32_e32 v8, 32, v8
	v_add_nc_u32_e32 v13, 0x80, v13
	s_or_b32 s42, s1, s42
	s_delay_alu instid0(SALU_CYCLE_1)
	s_and_not1_b32 exec_lo, exec_lo, s42
	s_cbranch_execz .LBB8_18
.LBB8_13:                               ; =>This Inner Loop Header: Depth=1
	v_sub_nc_u32_e32 v18, 0, v8
	s_delay_alu instid0(VALU_DEP_1) | instskip(SKIP_1) | instid1(VALU_DEP_1)
	v_max_i32_e32 v18, v8, v18
	s_waitcnt lgkmcnt(0)
	v_mul_hi_u32 v19, v18, s25
	s_delay_alu instid0(VALU_DEP_1) | instskip(NEXT) | instid1(VALU_DEP_1)
	v_mul_lo_u32 v20, v19, s21
	v_sub_nc_u32_e32 v18, v18, v20
	v_add_nc_u32_e32 v20, 1, v19
	s_delay_alu instid0(VALU_DEP_2) | instskip(SKIP_1) | instid1(VALU_DEP_1)
	v_subrev_nc_u32_e32 v21, s21, v18
	v_cmp_le_u32_e64 s1, s21, v18
	v_cndmask_b32_e64 v19, v19, v20, s1
	s_delay_alu instid0(VALU_DEP_3) | instskip(SKIP_1) | instid1(VALU_DEP_3)
	v_cndmask_b32_e64 v18, v18, v21, s1
	v_ashrrev_i32_e32 v20, 31, v8
	v_add_nc_u32_e32 v21, 1, v19
	s_delay_alu instid0(VALU_DEP_3) | instskip(NEXT) | instid1(VALU_DEP_3)
	v_cmp_le_u32_e64 s1, s21, v18
	v_xor_b32_e32 v20, s11, v20
	s_delay_alu instid0(VALU_DEP_2) | instskip(NEXT) | instid1(VALU_DEP_1)
	v_cndmask_b32_e64 v18, v19, v21, s1
	v_xor_b32_e32 v18, v18, v20
	s_delay_alu instid0(VALU_DEP_1) | instskip(NEXT) | instid1(VALU_DEP_1)
	v_sub_nc_u32_e32 v18, v18, v20
	v_add_nc_u32_e32 v19, s33, v18
	v_cmp_ge_i32_e64 s3, s35, v18
	s_delay_alu instid0(VALU_DEP_2) | instskip(NEXT) | instid1(VALU_DEP_1)
	v_sub_nc_u32_e32 v20, 0, v19
	v_max_i32_e32 v20, v19, v20
	v_ashrrev_i32_e32 v19, 31, v19
	s_delay_alu instid0(VALU_DEP_2) | instskip(NEXT) | instid1(VALU_DEP_1)
	v_mul_hi_u32 v21, v20, v16
	v_mul_lo_u32 v21, v21, s41
	s_delay_alu instid0(VALU_DEP_1) | instskip(NEXT) | instid1(VALU_DEP_1)
	v_sub_nc_u32_e32 v20, v20, v21
	v_subrev_nc_u32_e32 v21, s41, v20
	v_cmp_le_u32_e64 s1, s41, v20
	s_delay_alu instid0(VALU_DEP_1) | instskip(NEXT) | instid1(VALU_DEP_1)
	v_cndmask_b32_e64 v20, v20, v21, s1
	v_subrev_nc_u32_e32 v21, s41, v20
	v_cmp_le_u32_e64 s1, s41, v20
	s_delay_alu instid0(VALU_DEP_1) | instskip(NEXT) | instid1(VALU_DEP_1)
	v_cndmask_b32_e64 v20, v20, v21, s1
	v_xor_b32_e32 v20, v20, v19
	s_delay_alu instid0(VALU_DEP_1) | instskip(NEXT) | instid1(VALU_DEP_1)
	v_sub_nc_u32_e32 v19, v20, v19
	v_cmp_ne_u32_e64 s1, 0, v19
	s_delay_alu instid0(VALU_DEP_1) | instskip(NEXT) | instid1(SALU_CYCLE_1)
	s_and_b32 s1, s1, s3
	s_and_b32 s44, vcc_lo, s1
	s_delay_alu instid0(SALU_CYCLE_1)
	s_and_saveexec_b32 s3, s44
	s_cbranch_execz .LBB8_15
; %bb.14:                               ;   in Loop: Header=BB8_13 Depth=1
	ds_store_b32 v13, v9
.LBB8_15:                               ;   in Loop: Header=BB8_13 Depth=1
	s_or_b32 exec_lo, exec_lo, s3
	s_xor_b32 s1, s1, -1
	s_delay_alu instid0(SALU_CYCLE_1)
	s_and_saveexec_b32 s3, s1
	s_cbranch_execz .LBB8_12
; %bb.16:                               ;   in Loop: Header=BB8_13 Depth=1
	global_load_b32 v20, v[1:2], off
	s_waitcnt vmcnt(0)
	v_mad_i64_i32 v[18:19], null, v20, s43, 0
	s_delay_alu instid0(VALU_DEP_1) | instskip(NEXT) | instid1(VALU_DEP_1)
	v_lshlrev_b64 v[18:19], 2, v[18:19]
	v_add_co_u32 v18, s1, v14, v18
	s_delay_alu instid0(VALU_DEP_1)
	v_add_co_ci_u32_e64 v19, s1, v15, v19, s1
	v_cmp_gt_i32_e64 s1, 32, v10
	s_clause 0x1b
	global_load_b32 v26, v[18:19], off offset:128
	global_load_b32 v27, v[18:19], off
	global_load_b32 v28, v[18:19], off offset:256
	global_load_b32 v29, v[18:19], off offset:384
	;; [unrolled: 1-line block ×26, first 2 shown]
	ds_load_b128 v[18:21], v7
	ds_load_b128 v[22:25], v7 offset:16
	s_waitcnt vmcnt(27) lgkmcnt(1)
	v_mul_f32_e32 v26, v19, v26
	s_waitcnt vmcnt(26)
	s_delay_alu instid0(VALU_DEP_1) | instskip(SKIP_1) | instid1(VALU_DEP_1)
	v_fmac_f32_e32 v26, v18, v27
	s_waitcnt vmcnt(25)
	v_fmac_f32_e32 v26, v20, v28
	s_waitcnt vmcnt(24)
	s_delay_alu instid0(VALU_DEP_1) | instskip(SKIP_4) | instid1(VALU_DEP_1)
	v_fmac_f32_e32 v26, v21, v29
	ds_load_b128 v[18:21], v7 offset:32
	s_waitcnt vmcnt(23) lgkmcnt(1)
	v_fmac_f32_e32 v26, v22, v30
	s_waitcnt vmcnt(22)
	v_fmac_f32_e32 v26, v23, v31
	s_waitcnt vmcnt(21)
	s_delay_alu instid0(VALU_DEP_1) | instskip(SKIP_1) | instid1(VALU_DEP_1)
	v_fmac_f32_e32 v26, v24, v32
	s_waitcnt vmcnt(20)
	v_fmac_f32_e32 v26, v25, v35
	ds_load_b128 v[22:25], v7 offset:48
	s_waitcnt vmcnt(19) lgkmcnt(1)
	v_fmac_f32_e32 v26, v18, v38
	s_waitcnt vmcnt(18)
	s_delay_alu instid0(VALU_DEP_1) | instskip(SKIP_1) | instid1(VALU_DEP_1)
	v_fmac_f32_e32 v26, v19, v39
	s_waitcnt vmcnt(17)
	v_fmac_f32_e32 v26, v20, v40
	s_waitcnt vmcnt(16)
	s_delay_alu instid0(VALU_DEP_1) | instskip(SKIP_4) | instid1(VALU_DEP_1)
	v_fmac_f32_e32 v26, v21, v41
	ds_load_b128 v[18:21], v7 offset:64
	s_waitcnt vmcnt(15) lgkmcnt(1)
	v_fmac_f32_e32 v26, v22, v42
	s_waitcnt vmcnt(14)
	v_fmac_f32_e32 v26, v23, v43
	s_waitcnt vmcnt(13)
	s_delay_alu instid0(VALU_DEP_1) | instskip(SKIP_1) | instid1(VALU_DEP_1)
	v_fmac_f32_e32 v26, v24, v44
	s_waitcnt vmcnt(12)
	v_fmac_f32_e32 v26, v25, v45
	ds_load_b128 v[22:25], v7 offset:80
	s_waitcnt vmcnt(11) lgkmcnt(1)
	v_fmac_f32_e32 v26, v18, v46
	s_waitcnt vmcnt(10)
	s_delay_alu instid0(VALU_DEP_1) | instskip(SKIP_1) | instid1(VALU_DEP_1)
	v_fmac_f32_e32 v26, v19, v47
	s_waitcnt vmcnt(9)
	v_fmac_f32_e32 v26, v20, v48
	s_waitcnt vmcnt(8)
	s_delay_alu instid0(VALU_DEP_1) | instskip(SKIP_4) | instid1(VALU_DEP_1)
	v_fmac_f32_e32 v26, v21, v49
	ds_load_b128 v[18:21], v7 offset:96
	s_waitcnt vmcnt(7) lgkmcnt(1)
	v_fmac_f32_e32 v26, v22, v50
	s_waitcnt vmcnt(6)
	v_fmac_f32_e32 v26, v23, v51
	s_waitcnt vmcnt(5)
	s_delay_alu instid0(VALU_DEP_1) | instskip(SKIP_1) | instid1(VALU_DEP_1)
	v_fmac_f32_e32 v26, v24, v52
	s_waitcnt vmcnt(4)
	v_fmac_f32_e32 v26, v25, v53
	s_waitcnt vmcnt(3) lgkmcnt(0)
	s_delay_alu instid0(VALU_DEP_1) | instskip(SKIP_3) | instid1(VALU_DEP_3)
	v_fmac_f32_e32 v26, v18, v54
	v_cndmask_b32_e64 v18, v4, v10, s1
	v_cmp_gt_i32_e64 s1, 32, v11
	s_waitcnt vmcnt(2)
	v_fmac_f32_e32 v26, v19, v55
	s_delay_alu instid0(VALU_DEP_3) | instskip(NEXT) | instid1(VALU_DEP_3)
	v_lshlrev_b32_e32 v18, 2, v18
	v_cndmask_b32_e64 v19, v4, v11, s1
	s_waitcnt vmcnt(1)
	s_delay_alu instid0(VALU_DEP_1) | instskip(SKIP_1) | instid1(VALU_DEP_1)
	v_dual_fmac_f32 v26, v20, v56 :: v_dual_lshlrev_b32 v19, 2, v19
	s_waitcnt vmcnt(0)
	v_fmac_f32_e32 v26, v21, v57
	ds_bpermute_b32 v18, v18, v26
	s_waitcnt lgkmcnt(0)
	v_add_f32_e32 v18, v26, v18
	ds_bpermute_b32 v19, v19, v18
	s_and_saveexec_b32 s44, vcc_lo
	s_cbranch_execz .LBB8_11
; %bb.17:                               ;   in Loop: Header=BB8_13 Depth=1
	s_waitcnt lgkmcnt(0)
	v_add_f32_e32 v18, v18, v19
	v_add_nc_u32_e32 v20, v12, v8
	s_delay_alu instid0(VALU_DEP_1) | instskip(NEXT) | instid1(VALU_DEP_1)
	v_cvt_f32_i32_e32 v20, v20
	v_mul_f32_e32 v20, s40, v20
	s_delay_alu instid0(VALU_DEP_1) | instskip(NEXT) | instid1(VALU_DEP_1)
	v_cndmask_b32_e64 v19, 0, v20, s0
	v_dual_max_f32 v20, v5, v5 :: v_dual_fmac_f32 v19, s37, v18
	v_add_nc_u32_e32 v18, v6, v8
	s_delay_alu instid0(VALU_DEP_2) | instskip(NEXT) | instid1(VALU_DEP_2)
	v_max_f32_e32 v20, v20, v19
	v_cmp_gt_i32_e64 s1, s15, v18
	s_delay_alu instid0(VALU_DEP_1) | instskip(NEXT) | instid1(VALU_DEP_3)
	v_cndmask_b32_e64 v18, 0, v19, s1
	v_cndmask_b32_e64 v5, v5, v20, s1
	ds_store_b32 v13, v18
	s_branch .LBB8_11
.LBB8_18:
	s_or_b32 exec_lo, exec_lo, s42
.LBB8_19:
	s_delay_alu instid0(SALU_CYCLE_1) | instskip(SKIP_3) | instid1(VALU_DEP_3)
	s_or_b32 exec_lo, exec_lo, s6
	v_xor_b32_e32 v1, 16, v4
	v_xor_b32_e32 v6, 8, v4
	v_dual_max_f32 v7, v5, v5 :: v_dual_and_b32 v38, 31, v0
	v_cmp_gt_i32_e32 vcc_lo, 32, v1
	v_cndmask_b32_e32 v1, v4, v1, vcc_lo
	s_delay_alu instid0(VALU_DEP_4) | instskip(NEXT) | instid1(VALU_DEP_2)
	v_cmp_gt_i32_e32 vcc_lo, 32, v6
	v_lshlrev_b32_e32 v2, 2, v1
	ds_bpermute_b32 v1, v2, v5
	v_cndmask_b32_e32 v5, v4, v6, vcc_lo
	s_delay_alu instid0(VALU_DEP_1) | instskip(SKIP_2) | instid1(VALU_DEP_1)
	v_lshlrev_b32_e32 v5, 2, v5
	s_waitcnt lgkmcnt(0)
	v_max_f32_e32 v1, v1, v1
	v_max_f32_e32 v1, v7, v1
	v_xor_b32_e32 v7, 4, v4
	ds_bpermute_b32 v6, v5, v1
	v_cmp_gt_i32_e32 vcc_lo, 32, v7
	v_cndmask_b32_e32 v7, v4, v7, vcc_lo
	v_cmp_eq_u32_e32 vcc_lo, 0, v38
	s_delay_alu instid0(VALU_DEP_2) | instskip(SKIP_2) | instid1(VALU_DEP_1)
	v_lshlrev_b32_e32 v8, 2, v7
	s_waitcnt lgkmcnt(0)
	v_max_f32_e32 v6, v6, v6
	v_dual_max_f32 v1, v1, v6 :: v_dual_lshlrev_b32 v6, 2, v36
	ds_bpermute_b32 v7, v8, v1
	s_and_saveexec_b32 s0, vcc_lo
	s_cbranch_execz .LBB8_21
; %bb.20:
	s_waitcnt lgkmcnt(0)
	v_max_f32_e32 v7, v7, v7
	v_max_f32_e32 v1, v1, v1
	s_delay_alu instid0(VALU_DEP_1)
	v_max_f32_e32 v1, v1, v7
	ds_store_b32 v6, v1 offset:448
.LBB8_21:
	s_or_b32 exec_lo, exec_lo, s0
	v_cmp_gt_u32_e64 s0, 4, v38
	v_mov_b32_e32 v1, 0xff7fffff
	s_waitcnt lgkmcnt(0)
	v_lshlrev_b32_e32 v7, 2, v38
	s_barrier
	buffer_gl0_inv
	s_and_saveexec_b32 s1, s0
	s_cbranch_execz .LBB8_23
; %bb.22:
	ds_load_b32 v1, v7 offset:448
.LBB8_23:
	s_or_b32 exec_lo, exec_lo, s1
	v_xor_b32_e32 v9, 2, v4
	v_xor_b32_e32 v11, 1, v4
	s_delay_alu instid0(VALU_DEP_2) | instskip(NEXT) | instid1(VALU_DEP_1)
	v_cmp_gt_i32_e64 s1, 32, v9
	v_cndmask_b32_e64 v9, v4, v9, s1
	s_delay_alu instid0(VALU_DEP_3) | instskip(NEXT) | instid1(VALU_DEP_2)
	v_cmp_gt_i32_e64 s1, 32, v11
	v_lshlrev_b32_e32 v9, 2, v9
	s_delay_alu instid0(VALU_DEP_2) | instskip(SKIP_1) | instid1(SALU_CYCLE_1)
	v_cndmask_b32_e64 v4, v4, v11, s1
	s_sub_i32 s1, s8, s7
	s_lshl_b32 s1, s1, 3
	s_waitcnt lgkmcnt(0)
	ds_bpermute_b32 v10, v9, v1
	v_max_f32_e32 v1, v1, v1
	v_lshlrev_b32_e32 v39, 2, v4
	s_add_i32 s1, s1, s38
	s_delay_alu instid0(SALU_CYCLE_1) | instskip(NEXT) | instid1(SALU_CYCLE_1)
	s_min_i32 s1, s1, s15
	s_sub_i32 s6, s1, s38
	s_delay_alu instid0(SALU_CYCLE_1) | instskip(SKIP_2) | instid1(VALU_DEP_1)
	v_cmp_gt_i32_e64 s1, s6, v0
	s_waitcnt lgkmcnt(0)
	v_max_f32_e32 v10, v10, v10
	v_dual_max_f32 v1, v1, v10 :: v_dual_mov_b32 v10, 0
	ds_bpermute_b32 v4, v39, v1
	s_waitcnt lgkmcnt(0)
	v_max_f32_e32 v4, v4, v4
	s_delay_alu instid0(VALU_DEP_1)
	v_max_f32_e32 v1, v1, v4
	v_lshl_add_u32 v4, v0, 2, 0x1e0
	ds_bpermute_b32 v1, v10, v1
	s_and_saveexec_b32 s7, s1
	s_cbranch_execz .LBB8_27
; %bb.24:
	v_lshl_add_u32 v11, v0, 2, 0x1e0
	v_mov_b32_e32 v10, 0
	v_mov_b32_e32 v12, v0
	s_mov_b32 s35, 0
	.p2align	6
.LBB8_25:                               ; =>This Inner Loop Header: Depth=1
	ds_load_b32 v13, v11
	v_add_nc_u32_e32 v12, 0x80, v12
	s_delay_alu instid0(VALU_DEP_1) | instskip(NEXT) | instid1(VALU_DEP_1)
	v_cmp_le_i32_e64 s3, s6, v12
	s_or_b32 s35, s3, s35
	s_waitcnt lgkmcnt(0)
	v_sub_f32_e32 v13, v13, v1
	s_delay_alu instid0(VALU_DEP_1) | instskip(NEXT) | instid1(VALU_DEP_1)
	v_mul_f32_e32 v13, 0x3fb8aa3b, v13
	v_exp_f32_e32 v13, v13
	ds_store_b32 v11, v13
	v_dual_add_f32 v10, v10, v13 :: v_dual_add_nc_u32 v11, 0x200, v11
	s_and_not1_b32 exec_lo, exec_lo, s35
	s_cbranch_execnz .LBB8_25
; %bb.26:
	s_or_b32 exec_lo, exec_lo, s35
.LBB8_27:
	s_delay_alu instid0(SALU_CYCLE_1)
	s_or_b32 exec_lo, exec_lo, s7
	ds_bpermute_b32 v2, v2, v10
	s_waitcnt lgkmcnt(0)
	v_add_f32_e32 v2, v10, v2
	ds_bpermute_b32 v5, v5, v2
	s_waitcnt lgkmcnt(0)
	v_add_f32_e32 v2, v2, v5
	;; [unrolled: 3-line block ×5, first 2 shown]
	s_and_saveexec_b32 s3, vcc_lo
	s_cbranch_execz .LBB8_29
; %bb.28:
	ds_store_b32 v6, v2 offset:464
.LBB8_29:
	s_or_b32 exec_lo, exec_lo, s3
	s_waitcnt lgkmcnt(0)
	s_barrier
	buffer_gl0_inv
	s_and_saveexec_b32 s3, s0
	s_cbranch_execz .LBB8_31
; %bb.30:
	ds_load_b32 v2, v7 offset:464
.LBB8_31:
	s_or_b32 exec_lo, exec_lo, s3
	s_waitcnt lgkmcnt(0)
	ds_bpermute_b32 v5, v9, v2
	s_waitcnt lgkmcnt(0)
	v_add_f32_e32 v2, v2, v5
	ds_bpermute_b32 v5, v39, v2
	s_waitcnt lgkmcnt(0)
	v_dual_add_f32 v2, v2, v5 :: v_dual_mov_b32 v5, 0
	ds_bpermute_b32 v2, v5, v2
	s_and_saveexec_b32 s0, s1
	s_cbranch_execz .LBB8_34
; %bb.32:
	s_waitcnt lgkmcnt(0)
	v_add_f32_e32 v5, 0x358637bd, v2
	s_mov_b32 s1, 0
	s_delay_alu instid0(VALU_DEP_1) | instskip(SKIP_1) | instid1(VALU_DEP_2)
	v_div_scale_f32 v6, null, v5, v5, 1.0
	v_div_scale_f32 v9, vcc_lo, 1.0, v5, 1.0
	v_rcp_f32_e32 v7, v6
	s_waitcnt_depctr 0xfff
	v_fma_f32 v8, -v6, v7, 1.0
	s_delay_alu instid0(VALU_DEP_1) | instskip(NEXT) | instid1(VALU_DEP_1)
	v_fmac_f32_e32 v7, v8, v7
	v_mul_f32_e32 v8, v9, v7
	s_delay_alu instid0(VALU_DEP_1) | instskip(NEXT) | instid1(VALU_DEP_1)
	v_fma_f32 v10, -v6, v8, v9
	v_fmac_f32_e32 v8, v10, v7
	s_delay_alu instid0(VALU_DEP_1) | instskip(NEXT) | instid1(VALU_DEP_1)
	v_fma_f32 v6, -v6, v8, v9
	v_div_fmas_f32 v6, v6, v7, v8
	s_delay_alu instid0(VALU_DEP_1)
	v_div_fixup_f32 v5, v6, v5, 1.0
	v_mov_b32_e32 v6, v0
.LBB8_33:                               ; =>This Inner Loop Header: Depth=1
	ds_load_b32 v7, v4
	s_waitcnt lgkmcnt(0)
	v_dual_mul_f32 v7, v5, v7 :: v_dual_add_nc_u32 v6, 0x80, v6
	s_delay_alu instid0(VALU_DEP_1) | instskip(SKIP_3) | instid1(SALU_CYCLE_1)
	v_cmp_le_i32_e32 vcc_lo, s6, v6
	ds_store_b32 v4, v7
	v_add_nc_u32_e32 v4, 0x200, v4
	s_or_b32 s1, vcc_lo, s1
	s_and_not1_b32 exec_lo, exec_lo, s1
	s_cbranch_execnz .LBB8_33
.LBB8_34:
	s_or_b32 exec_lo, exec_lo, s0
	s_mul_i32 s0, s4, s14
	s_waitcnt lgkmcnt(0)
	s_mul_i32 s6, s0, s13
	s_mov_b32 s0, exec_lo
	s_barrier
	buffer_gl0_inv
	v_cmpx_eq_u32_e32 0, v0
	s_cbranch_execz .LBB8_36
; %bb.35:
	s_ashr_i32 s7, s6, 31
	s_mul_i32 s42, s4, s24
	s_lshl_b64 s[40:41], s[6:7], 2
	v_mov_b32_e32 v4, 0
	s_add_u32 s1, s18, s40
	s_addc_u32 s3, s19, s41
	s_ashr_i32 s43, s42, 31
	s_delay_alu instid0(SALU_CYCLE_1) | instskip(NEXT) | instid1(SALU_CYCLE_1)
	s_lshl_b64 s[18:19], s[42:43], 2
	s_add_u32 s1, s1, s18
	s_addc_u32 s3, s3, s19
	s_ashr_i32 s13, s12, 31
	s_delay_alu instid0(SALU_CYCLE_1) | instskip(NEXT) | instid1(SALU_CYCLE_1)
	s_lshl_b64 s[42:43], s[12:13], 2
	s_add_u32 s44, s1, s42
	s_addc_u32 s45, s3, s43
	s_add_u32 s1, s16, s40
	s_addc_u32 s3, s17, s41
	;; [unrolled: 2-line block ×4, first 2 shown]
	s_clause 0x1
	global_store_b32 v4, v1, s[44:45]
	global_store_b32 v4, v2, s[16:17]
.LBB8_36:
	s_or_b32 exec_lo, exec_lo, s0
	v_dual_mov_b32 v47, 0 :: v_dual_and_b32 v40, 1, v0
	v_dual_mov_b32 v44, 0 :: v_dual_mov_b32 v43, 0
	v_dual_mov_b32 v42, 0 :: v_dual_mov_b32 v45, 0
	;; [unrolled: 1-line block ×3, first 2 shown]
	s_mov_b32 s3, 0
	s_and_saveexec_b32 s1, s2
	s_cbranch_execz .LBB8_56
; %bb.37:
	s_ashr_i32 s35, s34, 31
	s_sub_i32 s2, s39, s9
	s_lshl_b64 s[16:17], s[34:35], 2
	v_dual_mov_b32 v41, 0 :: v_dual_and_b32 v48, 4, v3
	s_add_u32 s0, s30, s16
	s_addc_u32 s9, s31, s17
	s_abs_i32 s7, s10
	v_dual_mov_b32 v46, 0 :: v_dual_lshlrev_b32 v5, 4, v40
	v_cvt_f32_u32_e32 v1, s7
	s_sub_i32 s10, 0, s7
	s_lshl_b64 s[16:17], s[28:29], 2
	s_add_i32 s36, s36, -1
	v_lshl_or_b32 v5, v36, 5, v5
	v_rcp_iflag_f32_e32 v1, v1
	v_lshlrev_b32_e32 v3, 4, v0
	v_dual_mov_b32 v45, 0 :: v_dual_mov_b32 v42, 0
	v_dual_mov_b32 v43, 0 :: v_dual_mov_b32 v44, 0
	v_add_nc_u32_e32 v51, 0x1e0, v5
	s_waitcnt_depctr 0xfff
	v_dual_mov_b32 v47, 0 :: v_dual_mul_f32 v4, 0x4f7ffffe, v1
	v_lshlrev_b64 v[1:2], 2, v[33:34]
	v_and_b32_e32 v3, 0x1f0, v3
	s_delay_alu instid0(VALU_DEP_3) | instskip(NEXT) | instid1(VALU_DEP_2)
	v_cvt_u32_f32_e32 v4, v4
	v_add_co_u32 v49, s0, s0, v3
	s_delay_alu instid0(VALU_DEP_1) | instskip(NEXT) | instid1(VALU_DEP_3)
	v_add_co_ci_u32_e64 v50, null, s9, 0, s0
	v_mul_lo_u32 v6, s10, v4
	s_add_u32 s10, s26, s16
	s_addc_u32 s13, s27, s17
	v_add_co_u32 v34, vcc_lo, s10, v1
	v_add_co_ci_u32_e32 v35, vcc_lo, s13, v2, vcc_lo
	s_delay_alu instid0(VALU_DEP_3) | instskip(NEXT) | instid1(VALU_DEP_1)
	v_mul_hi_u32 v6, v4, v6
	v_add_nc_u32_e32 v52, v4, v6
	s_branch .LBB8_40
.LBB8_38:                               ;   in Loop: Header=BB8_40 Depth=1
	s_or_b32 exec_lo, exec_lo, s0
	s_waitcnt vmcnt(1) lgkmcnt(0)
	v_mul_f32_e32 v26, v2, v26
	v_mul_f32_e32 v22, v2, v22
	;; [unrolled: 1-line block ×6, first 2 shown]
	s_waitcnt vmcnt(0)
	v_mul_f32_e32 v2, v2, v30
	v_fmac_f32_e32 v18, v1, v17
	v_fmac_f32_e32 v14, v1, v13
	;; [unrolled: 1-line block ×16, first 2 shown]
	v_add_f32_e32 v42, v42, v18
	v_add_f32_e32 v46, v46, v14
	v_add_f32_e32 v41, v41, v6
	v_add_f32_e32 v47, v47, v2
	v_dual_fmac_f32 v22, v3, v23 :: v_dual_add_f32 v45, v45, v10
	s_delay_alu instid0(VALU_DEP_1) | instskip(NEXT) | instid1(VALU_DEP_1)
	v_fmac_f32_e32 v22, v4, v24
	v_dual_fmac_f32 v26, v1, v25 :: v_dual_add_f32 v43, v43, v22
	s_delay_alu instid0(VALU_DEP_1) | instskip(NEXT) | instid1(VALU_DEP_1)
	v_fmac_f32_e32 v26, v3, v27
	v_fmac_f32_e32 v26, v4, v28
	s_delay_alu instid0(VALU_DEP_1)
	v_add_f32_e32 v44, v44, v26
.LBB8_39:                               ;   in Loop: Header=BB8_40 Depth=1
	s_or_b32 exec_lo, exec_lo, s9
	v_add_nc_u32_e32 v33, 4, v33
	v_add_co_u32 v34, s0, v34, 16
	s_delay_alu instid0(VALU_DEP_1) | instskip(NEXT) | instid1(VALU_DEP_3)
	v_add_co_ci_u32_e64 v35, s0, 0, v35, s0
	v_cmp_le_i32_e32 vcc_lo, s8, v33
	v_add_nc_u32_e32 v37, 32, v37
	v_add_nc_u32_e32 v51, 0x80, v51
	s_or_b32 s3, vcc_lo, s3
	s_delay_alu instid0(SALU_CYCLE_1)
	s_and_not1_b32 exec_lo, exec_lo, s3
	s_cbranch_execz .LBB8_55
.LBB8_40:                               ; =>This Inner Loop Header: Depth=1
	v_sub_nc_u32_e32 v1, 0, v37
	s_delay_alu instid0(VALU_DEP_1) | instskip(NEXT) | instid1(VALU_DEP_1)
	v_max_i32_e32 v1, v37, v1
	v_mul_hi_u32 v2, v1, s25
	s_delay_alu instid0(VALU_DEP_1) | instskip(NEXT) | instid1(VALU_DEP_1)
	v_mul_lo_u32 v3, v2, s21
	v_sub_nc_u32_e32 v1, v1, v3
	v_add_nc_u32_e32 v3, 1, v2
	s_delay_alu instid0(VALU_DEP_2) | instskip(SKIP_1) | instid1(VALU_DEP_2)
	v_subrev_nc_u32_e32 v4, s21, v1
	v_cmp_le_u32_e32 vcc_lo, s21, v1
	v_dual_cndmask_b32 v2, v2, v3 :: v_dual_cndmask_b32 v1, v1, v4
	v_ashrrev_i32_e32 v3, 31, v37
	s_delay_alu instid0(VALU_DEP_2) | instskip(NEXT) | instid1(VALU_DEP_3)
	v_add_nc_u32_e32 v4, 1, v2
	v_cmp_le_u32_e32 vcc_lo, s21, v1
	s_delay_alu instid0(VALU_DEP_3) | instskip(NEXT) | instid1(VALU_DEP_3)
	v_xor_b32_e32 v3, s11, v3
	v_cndmask_b32_e32 v1, v2, v4, vcc_lo
	s_delay_alu instid0(VALU_DEP_1) | instskip(NEXT) | instid1(VALU_DEP_1)
	v_xor_b32_e32 v1, v1, v3
	v_sub_nc_u32_e32 v1, v1, v3
	s_delay_alu instid0(VALU_DEP_1) | instskip(SKIP_1) | instid1(VALU_DEP_2)
	v_add_nc_u32_e32 v2, s33, v1
	v_cmp_lt_i32_e64 s0, s2, v1
	v_sub_nc_u32_e32 v3, 0, v2
	s_delay_alu instid0(VALU_DEP_1) | instskip(NEXT) | instid1(VALU_DEP_1)
	v_max_i32_e32 v3, v2, v3
	v_mul_hi_u32 v4, v3, v52
	s_delay_alu instid0(VALU_DEP_1) | instskip(NEXT) | instid1(VALU_DEP_1)
	v_mul_lo_u32 v4, v4, s7
	v_sub_nc_u32_e32 v3, v3, v4
	s_delay_alu instid0(VALU_DEP_1) | instskip(SKIP_1) | instid1(VALU_DEP_2)
	v_subrev_nc_u32_e32 v4, s7, v3
	v_cmp_le_u32_e32 vcc_lo, s7, v3
	v_cndmask_b32_e32 v3, v3, v4, vcc_lo
	v_ashrrev_i32_e32 v2, 31, v2
	s_delay_alu instid0(VALU_DEP_2) | instskip(SKIP_1) | instid1(VALU_DEP_2)
	v_subrev_nc_u32_e32 v4, s7, v3
	v_cmp_le_u32_e32 vcc_lo, s7, v3
	v_cndmask_b32_e32 v3, v3, v4, vcc_lo
	s_delay_alu instid0(VALU_DEP_1) | instskip(NEXT) | instid1(VALU_DEP_1)
	v_xor_b32_e32 v3, v3, v2
	v_sub_nc_u32_e32 v2, v3, v2
	s_delay_alu instid0(VALU_DEP_1) | instskip(SKIP_1) | instid1(SALU_CYCLE_1)
	v_cmp_eq_u32_e32 vcc_lo, 0, v2
	s_or_b32 s0, vcc_lo, s0
	s_and_saveexec_b32 s9, s0
	s_cbranch_execz .LBB8_39
; %bb.41:                               ;   in Loop: Header=BB8_40 Depth=1
	global_load_b32 v3, v[34:35], off
	v_add_nc_u32_e32 v53, v48, v37
	s_delay_alu instid0(VALU_DEP_1) | instskip(SKIP_4) | instid1(VALU_DEP_1)
	v_add_nc_u32_e32 v56, 1, v53
	v_add_nc_u32_e32 v55, 2, v53
	;; [unrolled: 1-line block ×3, first 2 shown]
	s_waitcnt vmcnt(0)
	v_mad_i64_i32 v[1:2], null, v3, s5, 0
	v_lshlrev_b64 v[1:2], 2, v[1:2]
	s_delay_alu instid0(VALU_DEP_1) | instskip(NEXT) | instid1(VALU_DEP_2)
	v_add_co_u32 v29, vcc_lo, v49, v1
	v_add_co_ci_u32_e32 v30, vcc_lo, v50, v2, vcc_lo
	ds_load_b128 v[1:4], v51
	v_cmp_eq_u32_e32 vcc_lo, s36, v33
	global_load_b128 v[5:8], v[29:30], off
	s_and_saveexec_b32 s10, vcc_lo
	s_cbranch_execnz .LBB8_48
; %bb.42:                               ;   in Loop: Header=BB8_40 Depth=1
	s_or_b32 exec_lo, exec_lo, s10
	global_load_b128 v[9:12], v[29:30], off offset:512
	s_and_saveexec_b32 s10, vcc_lo
	s_cbranch_execnz .LBB8_49
.LBB8_43:                               ;   in Loop: Header=BB8_40 Depth=1
	s_or_b32 exec_lo, exec_lo, s10
	global_load_b128 v[13:16], v[29:30], off offset:1024
	s_and_saveexec_b32 s10, vcc_lo
	s_cbranch_execnz .LBB8_50
.LBB8_44:                               ;   in Loop: Header=BB8_40 Depth=1
	s_or_b32 exec_lo, exec_lo, s10
	global_load_b128 v[17:20], v[29:30], off offset:1536
	s_and_saveexec_b32 s10, vcc_lo
	s_cbranch_execnz .LBB8_51
.LBB8_45:                               ;   in Loop: Header=BB8_40 Depth=1
	s_or_b32 exec_lo, exec_lo, s10
	global_load_b128 v[21:24], v[29:30], off offset:2048
	s_and_saveexec_b32 s10, vcc_lo
	s_cbranch_execnz .LBB8_52
.LBB8_46:                               ;   in Loop: Header=BB8_40 Depth=1
	s_or_b32 exec_lo, exec_lo, s10
	global_load_b128 v[25:28], v[29:30], off offset:2560
	s_and_saveexec_b32 s10, vcc_lo
	s_cbranch_execnz .LBB8_53
.LBB8_47:                               ;   in Loop: Header=BB8_40 Depth=1
	s_or_b32 exec_lo, exec_lo, s10
	global_load_b128 v[29:32], v[29:30], off offset:3072
	s_and_saveexec_b32 s0, vcc_lo
	s_cbranch_execz .LBB8_38
	s_branch .LBB8_54
.LBB8_48:                               ;   in Loop: Header=BB8_40 Depth=1
	v_cmp_gt_i32_e64 s0, s15, v53
	s_waitcnt vmcnt(0)
	s_delay_alu instid0(VALU_DEP_1) | instskip(SKIP_1) | instid1(VALU_DEP_1)
	v_cndmask_b32_e64 v5, 0, v5, s0
	v_cmp_gt_i32_e64 s0, s15, v56
	v_cndmask_b32_e64 v6, 0, v6, s0
	v_cmp_gt_i32_e64 s0, s15, v55
	s_delay_alu instid0(VALU_DEP_1) | instskip(SKIP_1) | instid1(VALU_DEP_1)
	v_cndmask_b32_e64 v7, 0, v7, s0
	v_cmp_gt_i32_e64 s0, s15, v54
	v_cndmask_b32_e64 v8, 0, v8, s0
	s_or_b32 exec_lo, exec_lo, s10
	global_load_b128 v[9:12], v[29:30], off offset:512
	s_and_saveexec_b32 s10, vcc_lo
	s_cbranch_execz .LBB8_43
.LBB8_49:                               ;   in Loop: Header=BB8_40 Depth=1
	v_cmp_gt_i32_e64 s0, s15, v53
	s_waitcnt vmcnt(0)
	s_delay_alu instid0(VALU_DEP_1) | instskip(SKIP_1) | instid1(VALU_DEP_1)
	v_cndmask_b32_e64 v9, 0, v9, s0
	v_cmp_gt_i32_e64 s0, s15, v56
	v_cndmask_b32_e64 v10, 0, v10, s0
	v_cmp_gt_i32_e64 s0, s15, v55
	s_delay_alu instid0(VALU_DEP_1) | instskip(SKIP_1) | instid1(VALU_DEP_1)
	v_cndmask_b32_e64 v11, 0, v11, s0
	v_cmp_gt_i32_e64 s0, s15, v54
	v_cndmask_b32_e64 v12, 0, v12, s0
	s_or_b32 exec_lo, exec_lo, s10
	global_load_b128 v[13:16], v[29:30], off offset:1024
	s_and_saveexec_b32 s10, vcc_lo
	s_cbranch_execz .LBB8_44
.LBB8_50:                               ;   in Loop: Header=BB8_40 Depth=1
	v_cmp_gt_i32_e64 s0, s15, v53
	s_waitcnt vmcnt(0)
	s_delay_alu instid0(VALU_DEP_1) | instskip(SKIP_1) | instid1(VALU_DEP_1)
	v_cndmask_b32_e64 v13, 0, v13, s0
	v_cmp_gt_i32_e64 s0, s15, v56
	v_cndmask_b32_e64 v14, 0, v14, s0
	v_cmp_gt_i32_e64 s0, s15, v55
	s_delay_alu instid0(VALU_DEP_1) | instskip(SKIP_1) | instid1(VALU_DEP_1)
	v_cndmask_b32_e64 v15, 0, v15, s0
	v_cmp_gt_i32_e64 s0, s15, v54
	v_cndmask_b32_e64 v16, 0, v16, s0
	s_or_b32 exec_lo, exec_lo, s10
	global_load_b128 v[17:20], v[29:30], off offset:1536
	s_and_saveexec_b32 s10, vcc_lo
	s_cbranch_execz .LBB8_45
.LBB8_51:                               ;   in Loop: Header=BB8_40 Depth=1
	v_cmp_gt_i32_e64 s0, s15, v53
	s_waitcnt vmcnt(0)
	s_delay_alu instid0(VALU_DEP_1) | instskip(SKIP_1) | instid1(VALU_DEP_1)
	v_cndmask_b32_e64 v17, 0, v17, s0
	v_cmp_gt_i32_e64 s0, s15, v56
	v_cndmask_b32_e64 v18, 0, v18, s0
	v_cmp_gt_i32_e64 s0, s15, v55
	s_delay_alu instid0(VALU_DEP_1) | instskip(SKIP_1) | instid1(VALU_DEP_1)
	v_cndmask_b32_e64 v19, 0, v19, s0
	v_cmp_gt_i32_e64 s0, s15, v54
	v_cndmask_b32_e64 v20, 0, v20, s0
	s_or_b32 exec_lo, exec_lo, s10
	global_load_b128 v[21:24], v[29:30], off offset:2048
	s_and_saveexec_b32 s10, vcc_lo
	s_cbranch_execz .LBB8_46
.LBB8_52:                               ;   in Loop: Header=BB8_40 Depth=1
	v_cmp_gt_i32_e64 s0, s15, v53
	s_waitcnt vmcnt(0)
	s_delay_alu instid0(VALU_DEP_1) | instskip(SKIP_1) | instid1(VALU_DEP_1)
	v_cndmask_b32_e64 v21, 0, v21, s0
	v_cmp_gt_i32_e64 s0, s15, v56
	v_cndmask_b32_e64 v22, 0, v22, s0
	v_cmp_gt_i32_e64 s0, s15, v55
	s_delay_alu instid0(VALU_DEP_1) | instskip(SKIP_1) | instid1(VALU_DEP_1)
	v_cndmask_b32_e64 v23, 0, v23, s0
	v_cmp_gt_i32_e64 s0, s15, v54
	v_cndmask_b32_e64 v24, 0, v24, s0
	s_or_b32 exec_lo, exec_lo, s10
	global_load_b128 v[25:28], v[29:30], off offset:2560
	s_and_saveexec_b32 s10, vcc_lo
	s_cbranch_execz .LBB8_47
.LBB8_53:                               ;   in Loop: Header=BB8_40 Depth=1
	v_cmp_gt_i32_e64 s0, s15, v53
	s_waitcnt vmcnt(0)
	s_delay_alu instid0(VALU_DEP_1) | instskip(SKIP_1) | instid1(VALU_DEP_1)
	v_cndmask_b32_e64 v25, 0, v25, s0
	v_cmp_gt_i32_e64 s0, s15, v56
	v_cndmask_b32_e64 v26, 0, v26, s0
	v_cmp_gt_i32_e64 s0, s15, v55
	s_delay_alu instid0(VALU_DEP_1) | instskip(SKIP_1) | instid1(VALU_DEP_1)
	v_cndmask_b32_e64 v27, 0, v27, s0
	v_cmp_gt_i32_e64 s0, s15, v54
	v_cndmask_b32_e64 v28, 0, v28, s0
	s_or_b32 exec_lo, exec_lo, s10
	global_load_b128 v[29:32], v[29:30], off offset:3072
	s_and_saveexec_b32 s0, vcc_lo
	s_cbranch_execz .LBB8_38
.LBB8_54:                               ;   in Loop: Header=BB8_40 Depth=1
	v_cmp_gt_i32_e32 vcc_lo, s15, v53
	s_waitcnt vmcnt(0)
	v_cndmask_b32_e32 v29, 0, v29, vcc_lo
	v_cmp_gt_i32_e32 vcc_lo, s15, v56
	v_cndmask_b32_e32 v30, 0, v30, vcc_lo
	v_cmp_gt_i32_e32 vcc_lo, s15, v55
	;; [unrolled: 2-line block ×3, first 2 shown]
	v_cndmask_b32_e32 v32, 0, v32, vcc_lo
	s_branch .LBB8_38
.LBB8_55:
	s_or_b32 exec_lo, exec_lo, s3
.LBB8_56:
	s_delay_alu instid0(SALU_CYCLE_1)
	s_or_b32 exec_lo, exec_lo, s1
	ds_bpermute_b32 v1, v39, v41
	ds_bpermute_b32 v2, v39, v45
	;; [unrolled: 1-line block ×7, first 2 shown]
	v_and_b32_e32 v5, 0x3c1, v0
	v_lshrrev_b32_e32 v8, 1, v38
	s_movk_i32 s0, 0x1c0
	s_waitcnt lgkmcnt(0)
	s_waitcnt_vscnt null, 0x0
	v_mad_u32_u24 v9, v36, s0, 0x1e0
	s_barrier
	buffer_gl0_inv
	v_add_f32_e32 v7, v41, v1
	v_add_f32_e32 v6, v45, v2
	v_cmp_eq_u32_e32 vcc_lo, 64, v5
	v_add_f32_e32 v4, v42, v4
	v_add_f32_e32 v5, v46, v3
	v_dual_add_f32 v3, v43, v10 :: v_dual_add_f32 v2, v44, v11
	v_add_f32_e32 v1, v47, v12
	v_lshlrev_b32_e32 v10, 2, v8
	s_and_saveexec_b32 s0, vcc_lo
	s_cbranch_execz .LBB8_58
; %bb.57:
	s_delay_alu instid0(VALU_DEP_1)
	v_add3_u32 v11, v9, v10, 0xfffffc80
	ds_store_2addr_b32 v11, v7, v6 offset1:16
	ds_store_2addr_b32 v11, v5, v4 offset0:32 offset1:48
	ds_store_2addr_b32 v11, v3, v2 offset0:64 offset1:80
	ds_store_b32 v11, v1 offset:384
.LBB8_58:
	s_or_b32 exec_lo, exec_lo, s0
	v_cmp_eq_u32_e32 vcc_lo, 0, v40
	s_mov_b32 s1, exec_lo
	s_waitcnt lgkmcnt(0)
	s_barrier
	buffer_gl0_inv
	v_cmpx_gt_u32_e32 64, v0
	s_cbranch_execz .LBB8_68
; %bb.59:
	s_and_saveexec_b32 s0, vcc_lo
	s_cbranch_execnz .LBB8_83
; %bb.60:
	s_or_b32 exec_lo, exec_lo, s0
	s_and_saveexec_b32 s0, vcc_lo
	s_cbranch_execnz .LBB8_84
.LBB8_61:
	s_or_b32 exec_lo, exec_lo, s0
	s_and_saveexec_b32 s0, vcc_lo
	s_cbranch_execnz .LBB8_85
.LBB8_62:
	s_or_b32 exec_lo, exec_lo, s0
	s_and_saveexec_b32 s0, vcc_lo
	s_cbranch_execnz .LBB8_86
.LBB8_63:
	s_or_b32 exec_lo, exec_lo, s0
	s_and_saveexec_b32 s0, vcc_lo
	s_cbranch_execnz .LBB8_87
.LBB8_64:
	s_or_b32 exec_lo, exec_lo, s0
	s_and_saveexec_b32 s0, vcc_lo
	s_cbranch_execnz .LBB8_88
.LBB8_65:
	s_or_b32 exec_lo, exec_lo, s0
	s_and_saveexec_b32 s0, vcc_lo
	s_cbranch_execz .LBB8_67
.LBB8_66:
	v_lshl_add_u32 v11, v8, 2, v9
	ds_load_b32 v11, v11 offset:384
	s_waitcnt lgkmcnt(0)
	v_add_f32_e32 v1, v1, v11
.LBB8_67:
	s_or_b32 exec_lo, exec_lo, s0
.LBB8_68:
	s_delay_alu instid0(SALU_CYCLE_1)
	s_or_b32 exec_lo, exec_lo, s1
	v_and_b32_e32 v11, 0x3e1, v0
	s_mov_b32 s1, exec_lo
	s_barrier
	buffer_gl0_inv
	v_cmpx_eq_u32_e32 32, v11
	s_cbranch_execz .LBB8_70
; %bb.69:
	v_add3_u32 v10, v9, v10, 0xfffffe40
	ds_store_2addr_b32 v10, v7, v6 offset1:16
	ds_store_2addr_b32 v10, v5, v4 offset0:32 offset1:48
	ds_store_2addr_b32 v10, v3, v2 offset0:64 offset1:80
	ds_store_b32 v10, v1 offset:384
.LBB8_70:
	s_or_b32 exec_lo, exec_lo, s1
	s_delay_alu instid0(SALU_CYCLE_1)
	s_mov_b32 s1, exec_lo
	s_waitcnt lgkmcnt(0)
	s_barrier
	buffer_gl0_inv
	v_cmpx_gt_u32_e32 32, v0
	s_cbranch_execz .LBB8_80
; %bb.71:
	v_lshl_add_u32 v8, v8, 2, v9
	s_and_saveexec_b32 s0, vcc_lo
	s_cbranch_execnz .LBB8_89
; %bb.72:
	s_or_b32 exec_lo, exec_lo, s0
	s_and_saveexec_b32 s0, vcc_lo
	s_cbranch_execnz .LBB8_90
.LBB8_73:
	s_or_b32 exec_lo, exec_lo, s0
	s_and_saveexec_b32 s0, vcc_lo
	s_cbranch_execnz .LBB8_91
.LBB8_74:
	s_or_b32 exec_lo, exec_lo, s0
	s_and_saveexec_b32 s0, vcc_lo
	s_cbranch_execnz .LBB8_92
.LBB8_75:
	s_or_b32 exec_lo, exec_lo, s0
	s_and_saveexec_b32 s0, vcc_lo
	s_cbranch_execnz .LBB8_93
.LBB8_76:
	s_or_b32 exec_lo, exec_lo, s0
	s_and_saveexec_b32 s0, vcc_lo
	s_cbranch_execnz .LBB8_94
.LBB8_77:
	s_or_b32 exec_lo, exec_lo, s0
	s_and_saveexec_b32 s0, vcc_lo
	s_cbranch_execz .LBB8_79
.LBB8_78:
	ds_load_b32 v8, v8 offset:384
	s_waitcnt lgkmcnt(0)
	v_add_f32_e32 v1, v1, v8
.LBB8_79:
	s_or_b32 exec_lo, exec_lo, s0
.LBB8_80:
	s_delay_alu instid0(SALU_CYCLE_1)
	s_or_b32 exec_lo, exec_lo, s1
	s_barrier
	buffer_gl0_inv
	s_mov_b32 s0, exec_lo
	v_cmpx_eq_u32_e32 0, v11
	s_cbranch_execz .LBB8_82
; %bb.81:
	s_mul_i32 s0, s6, 0x70
	s_mul_i32 s2, s4, s20
	s_ashr_i32 s1, s0, 31
	v_lshlrev_b32_e32 v0, 1, v0
	s_lshl_b64 s[0:1], s[0:1], 2
	s_delay_alu instid0(SALU_CYCLE_1) | instskip(SKIP_2) | instid1(SALU_CYCLE_1)
	s_add_u32 s4, s22, s0
	s_addc_u32 s5, s23, s1
	s_ashr_i32 s3, s2, 31
	s_lshl_b64 s[0:1], s[2:3], 2
	s_mul_i32 s2, s12, 0x70
	s_add_u32 s4, s4, s0
	s_addc_u32 s5, s5, s1
	s_ashr_i32 s3, s2, 31
	s_delay_alu instid0(SALU_CYCLE_1) | instskip(NEXT) | instid1(SALU_CYCLE_1)
	s_lshl_b64 s[0:1], s[2:3], 2
	s_add_u32 s0, s4, s0
	s_addc_u32 s1, s5, s1
	s_clause 0x6
	global_store_b32 v0, v7, s[0:1]
	global_store_b32 v0, v6, s[0:1] offset:64
	global_store_b32 v0, v5, s[0:1] offset:128
	;; [unrolled: 1-line block ×6, first 2 shown]
.LBB8_82:
	s_nop 0
	s_sendmsg sendmsg(MSG_DEALLOC_VGPRS)
	s_endpgm
.LBB8_83:
	v_lshl_add_u32 v11, v8, 2, v9
	ds_load_b32 v11, v11
	s_waitcnt lgkmcnt(0)
	v_add_f32_e32 v7, v7, v11
	s_or_b32 exec_lo, exec_lo, s0
	s_and_saveexec_b32 s0, vcc_lo
	s_cbranch_execz .LBB8_61
.LBB8_84:
	v_lshl_add_u32 v11, v8, 2, v9
	ds_load_b32 v11, v11 offset:64
	s_waitcnt lgkmcnt(0)
	v_add_f32_e32 v6, v6, v11
	s_or_b32 exec_lo, exec_lo, s0
	s_and_saveexec_b32 s0, vcc_lo
	s_cbranch_execz .LBB8_62
.LBB8_85:
	v_lshl_add_u32 v11, v8, 2, v9
	ds_load_b32 v11, v11 offset:128
	s_waitcnt lgkmcnt(0)
	v_add_f32_e32 v5, v5, v11
	s_or_b32 exec_lo, exec_lo, s0
	s_and_saveexec_b32 s0, vcc_lo
	s_cbranch_execz .LBB8_63
.LBB8_86:
	v_lshl_add_u32 v11, v8, 2, v9
	ds_load_b32 v11, v11 offset:192
	s_waitcnt lgkmcnt(0)
	v_add_f32_e32 v4, v4, v11
	s_or_b32 exec_lo, exec_lo, s0
	s_and_saveexec_b32 s0, vcc_lo
	s_cbranch_execz .LBB8_64
.LBB8_87:
	v_lshl_add_u32 v11, v8, 2, v9
	ds_load_b32 v11, v11 offset:256
	s_waitcnt lgkmcnt(0)
	v_add_f32_e32 v3, v3, v11
	s_or_b32 exec_lo, exec_lo, s0
	s_and_saveexec_b32 s0, vcc_lo
	s_cbranch_execz .LBB8_65
.LBB8_88:
	v_lshl_add_u32 v11, v8, 2, v9
	ds_load_b32 v11, v11 offset:320
	s_waitcnt lgkmcnt(0)
	v_add_f32_e32 v2, v2, v11
	s_or_b32 exec_lo, exec_lo, s0
	s_and_saveexec_b32 s0, vcc_lo
	s_cbranch_execnz .LBB8_66
	s_branch .LBB8_67
.LBB8_89:
	ds_load_b32 v9, v8
	s_waitcnt lgkmcnt(0)
	v_add_f32_e32 v7, v7, v9
	s_or_b32 exec_lo, exec_lo, s0
	s_and_saveexec_b32 s0, vcc_lo
	s_cbranch_execz .LBB8_73
.LBB8_90:
	ds_load_b32 v9, v8 offset:64
	s_waitcnt lgkmcnt(0)
	v_add_f32_e32 v6, v6, v9
	s_or_b32 exec_lo, exec_lo, s0
	s_and_saveexec_b32 s0, vcc_lo
	s_cbranch_execz .LBB8_74
.LBB8_91:
	ds_load_b32 v9, v8 offset:128
	s_waitcnt lgkmcnt(0)
	v_add_f32_e32 v5, v5, v9
	s_or_b32 exec_lo, exec_lo, s0
	s_and_saveexec_b32 s0, vcc_lo
	s_cbranch_execz .LBB8_75
.LBB8_92:
	ds_load_b32 v9, v8 offset:192
	s_waitcnt lgkmcnt(0)
	v_add_f32_e32 v4, v4, v9
	s_or_b32 exec_lo, exec_lo, s0
	s_and_saveexec_b32 s0, vcc_lo
	s_cbranch_execz .LBB8_76
.LBB8_93:
	ds_load_b32 v9, v8 offset:256
	s_waitcnt lgkmcnt(0)
	v_add_f32_e32 v3, v3, v9
	s_or_b32 exec_lo, exec_lo, s0
	s_and_saveexec_b32 s0, vcc_lo
	s_cbranch_execz .LBB8_77
.LBB8_94:
	ds_load_b32 v9, v8 offset:320
	s_waitcnt lgkmcnt(0)
	v_add_f32_e32 v2, v2, v9
	s_or_b32 exec_lo, exec_lo, s0
	s_and_saveexec_b32 s0, vcc_lo
	s_cbranch_execnz .LBB8_78
	s_branch .LBB8_79
	.section	.rodata,"a",@progbits
	.p2align	6, 0x0
	.amdhsa_kernel _ZN4vllm25paged_attention_v2_kernelIffLi112ELi8ELi128ELNS_18Fp8KVCacheDataTypeE0ELb1ELi512EEEvPfS2_PT_PKS3_PKT0_S9_ifPKiSB_iPKfiiiSD_SD_iiiii
		.amdhsa_group_segment_fixed_size 480
		.amdhsa_private_segment_fixed_size 0
		.amdhsa_kernarg_size 400
		.amdhsa_user_sgpr_count 13
		.amdhsa_user_sgpr_dispatch_ptr 0
		.amdhsa_user_sgpr_queue_ptr 0
		.amdhsa_user_sgpr_kernarg_segment_ptr 1
		.amdhsa_user_sgpr_dispatch_id 0
		.amdhsa_user_sgpr_private_segment_size 0
		.amdhsa_wavefront_size32 1
		.amdhsa_uses_dynamic_stack 0
		.amdhsa_enable_private_segment 0
		.amdhsa_system_sgpr_workgroup_id_x 1
		.amdhsa_system_sgpr_workgroup_id_y 1
		.amdhsa_system_sgpr_workgroup_id_z 1
		.amdhsa_system_sgpr_workgroup_info 0
		.amdhsa_system_vgpr_workitem_id 0
		.amdhsa_next_free_vgpr 58
		.amdhsa_next_free_sgpr 46
		.amdhsa_reserve_vcc 1
		.amdhsa_float_round_mode_32 0
		.amdhsa_float_round_mode_16_64 0
		.amdhsa_float_denorm_mode_32 3
		.amdhsa_float_denorm_mode_16_64 3
		.amdhsa_dx10_clamp 1
		.amdhsa_ieee_mode 1
		.amdhsa_fp16_overflow 0
		.amdhsa_workgroup_processor_mode 1
		.amdhsa_memory_ordered 1
		.amdhsa_forward_progress 0
		.amdhsa_shared_vgpr_count 0
		.amdhsa_exception_fp_ieee_invalid_op 0
		.amdhsa_exception_fp_denorm_src 0
		.amdhsa_exception_fp_ieee_div_zero 0
		.amdhsa_exception_fp_ieee_overflow 0
		.amdhsa_exception_fp_ieee_underflow 0
		.amdhsa_exception_fp_ieee_inexact 0
		.amdhsa_exception_int_div_zero 0
	.end_amdhsa_kernel
	.section	.text._ZN4vllm25paged_attention_v2_kernelIffLi112ELi8ELi128ELNS_18Fp8KVCacheDataTypeE0ELb1ELi512EEEvPfS2_PT_PKS3_PKT0_S9_ifPKiSB_iPKfiiiSD_SD_iiiii,"axG",@progbits,_ZN4vllm25paged_attention_v2_kernelIffLi112ELi8ELi128ELNS_18Fp8KVCacheDataTypeE0ELb1ELi512EEEvPfS2_PT_PKS3_PKT0_S9_ifPKiSB_iPKfiiiSD_SD_iiiii,comdat
.Lfunc_end8:
	.size	_ZN4vllm25paged_attention_v2_kernelIffLi112ELi8ELi128ELNS_18Fp8KVCacheDataTypeE0ELb1ELi512EEEvPfS2_PT_PKS3_PKT0_S9_ifPKiSB_iPKfiiiSD_SD_iiiii, .Lfunc_end8-_ZN4vllm25paged_attention_v2_kernelIffLi112ELi8ELi128ELNS_18Fp8KVCacheDataTypeE0ELb1ELi512EEEvPfS2_PT_PKS3_PKT0_S9_ifPKiSB_iPKfiiiSD_SD_iiiii
                                        ; -- End function
	.section	.AMDGPU.csdata,"",@progbits
; Kernel info:
; codeLenInByte = 6116
; NumSgprs: 48
; NumVgprs: 58
; ScratchSize: 0
; MemoryBound: 0
; FloatMode: 240
; IeeeMode: 1
; LDSByteSize: 480 bytes/workgroup (compile time only)
; SGPRBlocks: 5
; VGPRBlocks: 7
; NumSGPRsForWavesPerEU: 48
; NumVGPRsForWavesPerEU: 58
; Occupancy: 16
; WaveLimiterHint : 1
; COMPUTE_PGM_RSRC2:SCRATCH_EN: 0
; COMPUTE_PGM_RSRC2:USER_SGPR: 13
; COMPUTE_PGM_RSRC2:TRAP_HANDLER: 0
; COMPUTE_PGM_RSRC2:TGID_X_EN: 1
; COMPUTE_PGM_RSRC2:TGID_Y_EN: 1
; COMPUTE_PGM_RSRC2:TGID_Z_EN: 1
; COMPUTE_PGM_RSRC2:TIDIG_COMP_CNT: 0
	.section	.text._ZN4vllm32paged_attention_v2_reduce_kernelIfLi112ELi128ELi512EEEvPT_PKfS4_PKS1_PKii,"axG",@progbits,_ZN4vllm32paged_attention_v2_reduce_kernelIfLi112ELi128ELi512EEEvPT_PKfS4_PKS1_PKii,comdat
	.protected	_ZN4vllm32paged_attention_v2_reduce_kernelIfLi112ELi128ELi512EEEvPT_PKfS4_PKS1_PKii ; -- Begin function _ZN4vllm32paged_attention_v2_reduce_kernelIfLi112ELi128ELi512EEEvPT_PKfS4_PKS1_PKii
	.globl	_ZN4vllm32paged_attention_v2_reduce_kernelIfLi112ELi128ELi512EEEvPT_PKfS4_PKS1_PKii
	.p2align	8
	.type	_ZN4vllm32paged_attention_v2_reduce_kernelIfLi112ELi128ELi512EEEvPT_PKfS4_PKS1_PKii,@function
_ZN4vllm32paged_attention_v2_reduce_kernelIfLi112ELi128ELi512EEEvPT_PKfS4_PKS1_PKii: ; @_ZN4vllm32paged_attention_v2_reduce_kernelIfLi112ELi128ELi512EEEvPT_PKfS4_PKS1_PKii
; %bb.0:
	s_load_b128 s[4:7], s[0:1], 0x18
	s_add_u32 s8, s0, 48
	s_mov_b32 s10, s15
	s_addc_u32 s9, s1, 0
	s_ashr_i32 s11, s15, 31
	s_delay_alu instid0(SALU_CYCLE_1)
	s_lshl_b64 s[2:3], s[10:11], 2
	s_waitcnt lgkmcnt(0)
	s_add_u32 s2, s6, s2
	s_addc_u32 s3, s7, s3
	s_load_b32 s20, s[2:3], 0x0
	s_clause 0x2
	s_load_b64 s[6:7], s[0:1], 0x0
	s_load_b32 s11, s[0:1], 0x28
	s_load_b32 s15, s[0:1], 0x30
	s_waitcnt lgkmcnt(0)
	s_add_i32 s2, s20, -1
	s_delay_alu instid0(SALU_CYCLE_1)
	s_cmpk_gt_u32 s2, 0x1ff
	s_mov_b32 s2, -1
	s_cbranch_scc0 .LBB9_26
; %bb.1:
	s_load_b64 s[2:3], s[0:1], 0x8
	s_add_i32 s12, s20, 0x1ff
	s_mul_i32 s18, s15, s10
	s_ashr_i32 s13, s12, 31
	v_mov_b32_e32 v3, 0xff7fffff
	s_lshr_b32 s13, s13, 23
	s_mul_i32 s16, s14, s11
	s_add_i32 s12, s12, s13
	s_ashr_i32 s17, s16, 31
	s_ashr_i32 s19, s12, 9
	s_mul_i32 s12, s18, s11
	v_cmp_gt_i32_e32 vcc_lo, s19, v0
	s_ashr_i32 s13, s12, 31
	s_and_saveexec_b32 s21, vcc_lo
	s_cbranch_execz .LBB9_5
; %bb.2:
	s_load_b32 s28, s[8:9], 0xc
	s_load_b64 s[22:23], s[0:1], 0x10
	s_lshl_b64 s[24:25], s[12:13], 2
	s_lshl_b64 s[26:27], s[16:17], 2
	v_lshlrev_b32_e32 v1, 2, v0
	v_mov_b32_e32 v3, 0xff7fffff
	s_delay_alu instid0(VALU_DEP_2)
	v_dual_mov_b32 v5, v0 :: v_dual_add_nc_u32 v4, 32, v1
	s_waitcnt lgkmcnt(0)
	s_and_b32 s1, s28, 0xffff
	s_add_u32 s0, s24, s26
	s_addc_u32 s24, s25, s27
	s_add_u32 s0, s22, s0
	s_addc_u32 s22, s23, s24
	v_add_co_u32 v1, s0, s0, v1
	s_delay_alu instid0(VALU_DEP_1)
	v_add_co_ci_u32_e64 v2, null, s22, 0, s0
	s_mov_b32 s22, 0
	s_lshl_b32 s23, s1, 2
	.p2align	6
.LBB9_3:                                ; =>This Inner Loop Header: Depth=1
	global_load_b32 v6, v[1:2], off
	v_add_nc_u32_e32 v5, s1, v5
	v_max_f32_e32 v3, v3, v3
	v_add_co_u32 v1, s0, v1, s23
	s_delay_alu instid0(VALU_DEP_1) | instskip(NEXT) | instid1(VALU_DEP_4)
	v_add_co_ci_u32_e64 v2, s0, 0, v2, s0
	v_cmp_le_i32_e64 s0, s19, v5
	s_delay_alu instid0(VALU_DEP_1)
	s_or_b32 s22, s0, s22
	s_waitcnt vmcnt(0)
	v_max_f32_e32 v7, v6, v6
	ds_store_b32 v4, v6
	v_dual_max_f32 v3, v3, v7 :: v_dual_add_nc_u32 v4, s23, v4
	s_and_not1_b32 exec_lo, exec_lo, s22
	s_cbranch_execnz .LBB9_3
; %bb.4:
	s_or_b32 exec_lo, exec_lo, s22
.LBB9_5:
	s_delay_alu instid0(SALU_CYCLE_1)
	s_or_b32 exec_lo, exec_lo, s21
	v_mbcnt_lo_u32_b32 v1, -1, 0
	s_waitcnt lgkmcnt(0)
	s_barrier
	buffer_gl0_inv
	v_xor_b32_e32 v2, 16, v1
	v_xor_b32_e32 v4, 8, v1
	s_delay_alu instid0(VALU_DEP_2) | instskip(NEXT) | instid1(VALU_DEP_1)
	v_cmp_gt_i32_e64 s0, 32, v2
	v_cndmask_b32_e64 v2, v1, v2, s0
	s_delay_alu instid0(VALU_DEP_3) | instskip(NEXT) | instid1(VALU_DEP_2)
	v_cmp_gt_i32_e64 s0, 32, v4
	v_lshlrev_b32_e32 v5, 2, v2
	s_delay_alu instid0(VALU_DEP_2) | instskip(SKIP_4) | instid1(VALU_DEP_2)
	v_cndmask_b32_e64 v4, v1, v4, s0
	ds_bpermute_b32 v2, v5, v3
	v_lshlrev_b32_e32 v6, 2, v4
	v_xor_b32_e32 v4, 4, v1
	v_max_f32_e32 v3, v3, v3
	v_cmp_gt_i32_e64 s0, 32, v4
	s_delay_alu instid0(VALU_DEP_1) | instskip(NEXT) | instid1(VALU_DEP_1)
	v_cndmask_b32_e64 v4, v1, v4, s0
	v_lshlrev_b32_e32 v7, 2, v4
	v_xor_b32_e32 v4, 2, v1
	s_waitcnt lgkmcnt(0)
	v_max_f32_e32 v2, v2, v2
	s_delay_alu instid0(VALU_DEP_2) | instskip(NEXT) | instid1(VALU_DEP_2)
	v_cmp_gt_i32_e64 s0, 32, v4
	v_max_f32_e32 v2, v3, v2
	s_delay_alu instid0(VALU_DEP_2) | instskip(SKIP_3) | instid1(VALU_DEP_1)
	v_cndmask_b32_e64 v4, v1, v4, s0
	ds_bpermute_b32 v3, v6, v2
	s_waitcnt lgkmcnt(0)
	v_max_f32_e32 v3, v3, v3
	v_max_f32_e32 v2, v2, v3
	ds_bpermute_b32 v3, v7, v2
	s_waitcnt lgkmcnt(0)
	v_dual_max_f32 v8, v3, v3 :: v_dual_lshlrev_b32 v3, 2, v4
	s_delay_alu instid0(VALU_DEP_1) | instskip(SKIP_3) | instid1(VALU_DEP_1)
	v_max_f32_e32 v2, v2, v8
	v_xor_b32_e32 v8, 1, v1
	ds_bpermute_b32 v4, v3, v2
	v_cmp_gt_i32_e64 s0, 32, v8
	v_cndmask_b32_e64 v1, v1, v8, s0
	v_lshrrev_b32_e32 v8, 5, v0
	s_delay_alu instid0(VALU_DEP_1) | instskip(SKIP_2) | instid1(VALU_DEP_1)
	v_lshlrev_b32_e32 v8, 2, v8
	s_waitcnt lgkmcnt(0)
	v_max_f32_e32 v4, v4, v4
	v_max_f32_e32 v2, v2, v4
	v_lshlrev_b32_e32 v4, 2, v1
	v_and_b32_e32 v1, 31, v0
	ds_bpermute_b32 v9, v4, v2
	v_cmp_eq_u32_e64 s0, 0, v1
	s_delay_alu instid0(VALU_DEP_1)
	s_and_saveexec_b32 s1, s0
	s_cbranch_execz .LBB9_7
; %bb.6:
	s_waitcnt lgkmcnt(0)
	v_dual_max_f32 v9, v9, v9 :: v_dual_max_f32 v2, v2, v2
	s_delay_alu instid0(VALU_DEP_1)
	v_max_f32_e32 v2, v2, v9
	ds_store_b32 v8, v2
.LBB9_7:
	s_or_b32 exec_lo, exec_lo, s1
	v_cmp_gt_u32_e64 s1, 4, v1
	s_waitcnt lgkmcnt(0)
	v_dual_mov_b32 v2, 0xff7fffff :: v_dual_lshlrev_b32 v9, 2, v1
	s_barrier
	buffer_gl0_inv
	s_and_saveexec_b32 s21, s1
	s_cbranch_execz .LBB9_9
; %bb.8:
	ds_load_b32 v2, v9
.LBB9_9:
	s_or_b32 exec_lo, exec_lo, s21
	s_waitcnt lgkmcnt(0)
	ds_bpermute_b32 v1, v3, v2
	v_max_f32_e32 v2, v2, v2
	s_lshl_b32 s21, s19, 2
	v_mov_b32_e32 v11, 0
	s_waitcnt lgkmcnt(0)
	v_max_f32_e32 v1, v1, v1
	s_delay_alu instid0(VALU_DEP_1) | instskip(SKIP_3) | instid1(VALU_DEP_1)
	v_max_f32_e32 v1, v2, v1
	ds_bpermute_b32 v2, v4, v1
	s_waitcnt lgkmcnt(0)
	v_max_f32_e32 v2, v2, v2
	v_max_f32_e32 v1, v1, v2
	ds_bpermute_b32 v10, v11, v1
	s_and_saveexec_b32 s22, vcc_lo
	s_cbranch_execz .LBB9_13
; %bb.10:
	s_load_b32 s23, s[8:9], 0xc
	s_lshl_b64 s[24:25], s[12:13], 2
	s_lshl_b64 s[26:27], s[16:17], 2
	v_lshlrev_b32_e32 v1, 2, v0
	v_mov_b32_e32 v11, 0
	s_delay_alu instid0(VALU_DEP_2)
	v_dual_mov_b32 v13, v0 :: v_dual_add_nc_u32 v12, 32, v1
	s_waitcnt lgkmcnt(0)
	s_and_b32 s13, s23, 0xffff
	s_add_u32 s17, s24, s26
	s_addc_u32 s23, s25, s27
	s_add_u32 s2, s2, s17
	s_addc_u32 s3, s3, s23
	v_add_co_u32 v1, s2, s2, v1
	s_delay_alu instid0(VALU_DEP_1)
	v_add_co_ci_u32_e64 v2, null, s3, 0, s2
	s_mov_b32 s3, 0
	s_lshl_b32 s17, s13, 2
	s_set_inst_prefetch_distance 0x1
	.p2align	6
.LBB9_11:                               ; =>This Inner Loop Header: Depth=1
	global_load_b32 v14, v[1:2], off
	ds_load_b32 v15, v12
	v_add_nc_u32_e32 v13, s13, v13
	s_waitcnt lgkmcnt(0)
	v_sub_f32_e32 v15, v15, v10
	s_delay_alu instid0(VALU_DEP_1) | instskip(NEXT) | instid1(VALU_DEP_1)
	v_mul_f32_e32 v16, 0x3fb8aa3b, v15
	v_fma_f32 v17, 0x3fb8aa3b, v15, -v16
	v_rndne_f32_e32 v18, v16
	s_delay_alu instid0(VALU_DEP_1) | instskip(NEXT) | instid1(VALU_DEP_1)
	v_dual_fmac_f32 v17, 0x32a5705f, v15 :: v_dual_sub_f32 v16, v16, v18
	v_add_f32_e32 v16, v16, v17
	v_cvt_i32_f32_e32 v17, v18
	v_cmp_ngt_f32_e32 vcc_lo, 0xc2ce8ed0, v15
	v_cmp_nlt_f32_e64 s2, 0x42b17218, v15
	s_delay_alu instid0(VALU_DEP_4) | instskip(SKIP_3) | instid1(VALU_DEP_2)
	v_exp_f32_e32 v16, v16
	s_waitcnt_depctr 0xfff
	v_ldexp_f32 v16, v16, v17
	v_add_nc_u32_e32 v17, s21, v12
	v_cndmask_b32_e32 v16, 0, v16, vcc_lo
	v_add_co_u32 v1, vcc_lo, v1, s17
	v_add_co_ci_u32_e32 v2, vcc_lo, 0, v2, vcc_lo
	s_delay_alu instid0(VALU_DEP_3)
	v_cndmask_b32_e64 v15, 0x7f800000, v16, s2
	v_cmp_le_i32_e32 vcc_lo, s19, v13
	v_add_nc_u32_e32 v12, s17, v12
	s_or_b32 s3, vcc_lo, s3
	s_waitcnt vmcnt(0)
	v_fmac_f32_e32 v11, v14, v15
	v_mul_f32_e32 v16, v14, v15
	ds_store_b32 v17, v16
	s_and_not1_b32 exec_lo, exec_lo, s3
	s_cbranch_execnz .LBB9_11
; %bb.12:
	s_set_inst_prefetch_distance 0x2
	s_or_b32 exec_lo, exec_lo, s3
.LBB9_13:
	s_delay_alu instid0(SALU_CYCLE_1)
	s_or_b32 exec_lo, exec_lo, s22
	ds_bpermute_b32 v1, v5, v11
	s_waitcnt lgkmcnt(0)
	s_barrier
	buffer_gl0_inv
	v_add_f32_e32 v1, v11, v1
	ds_bpermute_b32 v2, v6, v1
	s_waitcnt lgkmcnt(0)
	v_add_f32_e32 v1, v1, v2
	ds_bpermute_b32 v2, v7, v1
	s_waitcnt lgkmcnt(0)
	;; [unrolled: 3-line block ×4, first 2 shown]
	v_add_f32_e32 v1, v1, v2
	s_and_saveexec_b32 s2, s0
	s_cbranch_execz .LBB9_15
; %bb.14:
	ds_store_b32 v8, v1 offset:16
.LBB9_15:
	s_or_b32 exec_lo, exec_lo, s2
	s_waitcnt lgkmcnt(0)
	s_barrier
	buffer_gl0_inv
	s_and_saveexec_b32 s0, s1
	s_cbranch_execz .LBB9_17
; %bb.16:
	ds_load_b32 v1, v9 offset:16
.LBB9_17:
	s_or_b32 exec_lo, exec_lo, s0
	s_waitcnt lgkmcnt(0)
	ds_bpermute_b32 v2, v3, v1
	s_mov_b32 s0, exec_lo
	s_waitcnt lgkmcnt(0)
	v_add_f32_e32 v1, v1, v2
	ds_bpermute_b32 v2, v4, v1
	s_waitcnt lgkmcnt(0)
	v_dual_add_f32 v1, v1, v2 :: v_dual_mov_b32 v2, 0
	ds_bpermute_b32 v2, v2, v1
	v_cmpx_gt_u32_e32 0x70, v0
	s_cbranch_execz .LBB9_25
; %bb.18:
	s_cmp_gt_i32 s20, 0
	s_mov_b32 s1, 0
	s_cbranch_scc1 .LBB9_20
; %bb.19:
	v_mov_b32_e32 v1, 0
	s_branch .LBB9_21
.LBB9_20:
	s_mov_b32 s1, -1
.LBB9_21:
	s_delay_alu instid0(SALU_CYCLE_1) | instskip(SKIP_1) | instid1(VALU_DEP_2)
	v_cndmask_b32_e64 v3, 0, 1, s1
	v_mov_b32_e32 v4, s1
	v_cmp_ne_u32_e32 vcc_lo, 1, v3
	s_cbranch_vccnz .LBB9_24
; %bb.22:
	s_waitcnt lgkmcnt(0)
	v_add_f32_e32 v4, 0x358637bd, v2
	s_mulk_i32 s12, 0x70
	s_mulk_i32 s16, 0x70
	s_ashr_i32 s13, s12, 31
	s_ashr_i32 s17, s16, 31
	v_div_scale_f32 v2, null, v4, v4, 1.0
	s_lshl_b64 s[12:13], s[12:13], 2
	s_lshl_b64 s[16:17], s[16:17], 2
	s_max_i32 s1, s19, 1
	s_delay_alu instid0(VALU_DEP_1)
	v_rcp_f32_e32 v3, v2
	s_add_i32 s2, s21, 32
	s_add_u32 s3, s12, s16
	s_addc_u32 s12, s13, s17
	s_add_u32 s3, s4, s3
	s_addc_u32 s12, s5, s12
	s_waitcnt_depctr 0xfff
	v_fma_f32 v1, -v2, v3, 1.0
	s_delay_alu instid0(VALU_DEP_1) | instskip(SKIP_1) | instid1(VALU_DEP_1)
	v_fmac_f32_e32 v3, v1, v3
	v_div_scale_f32 v5, vcc_lo, 1.0, v4, 1.0
	v_dual_mov_b32 v1, 0 :: v_dual_mul_f32 v6, v5, v3
	s_delay_alu instid0(VALU_DEP_1) | instskip(NEXT) | instid1(VALU_DEP_1)
	v_fma_f32 v7, -v2, v6, v5
	v_dual_fmac_f32 v6, v7, v3 :: v_dual_lshlrev_b32 v7, 2, v0
	s_delay_alu instid0(VALU_DEP_1) | instskip(NEXT) | instid1(VALU_DEP_1)
	v_fma_f32 v2, -v2, v6, v5
	v_div_fmas_f32 v5, v2, v3, v6
	s_delay_alu instid0(VALU_DEP_3) | instskip(NEXT) | instid1(VALU_DEP_1)
	v_add_co_u32 v2, s3, s3, v7
	v_add_co_ci_u32_e64 v3, null, s12, 0, s3
	s_delay_alu instid0(VALU_DEP_3)
	v_div_fixup_f32 v5, v5, v4, 1.0
	v_mov_b32_e32 v4, v1
.LBB9_23:                               ; =>This Inner Loop Header: Depth=1
	global_load_b32 v6, v[2:3], off
	v_mov_b32_e32 v7, s2
	v_add_co_u32 v2, vcc_lo, 0x1c0, v2
	v_add_co_ci_u32_e32 v3, vcc_lo, 0, v3, vcc_lo
	ds_load_b32 v7, v7
	s_add_i32 s1, s1, -1
	s_add_i32 s2, s2, 4
	s_cmp_eq_u32 s1, 0
	s_waitcnt vmcnt(0) lgkmcnt(0)
	v_mul_f32_e32 v6, v6, v7
	s_delay_alu instid0(VALU_DEP_1)
	v_fmac_f32_e32 v4, v5, v6
	s_cbranch_scc0 .LBB9_23
.LBB9_24:
	s_mul_i32 s2, s18, 0x70
	s_mul_i32 s12, s14, 0x70
	s_ashr_i32 s3, s2, 31
	s_waitcnt lgkmcnt(0)
	v_lshlrev_b64 v[1:2], 2, v[0:1]
	s_lshl_b64 s[2:3], s[2:3], 2
	s_delay_alu instid0(SALU_CYCLE_1) | instskip(SKIP_2) | instid1(SALU_CYCLE_1)
	s_add_u32 s1, s6, s2
	s_addc_u32 s16, s7, s3
	s_ashr_i32 s13, s12, 31
	s_lshl_b64 s[2:3], s[12:13], 2
	s_delay_alu instid0(SALU_CYCLE_1)
	s_add_u32 s1, s1, s2
	s_addc_u32 s2, s16, s3
	v_add_co_u32 v1, vcc_lo, s1, v1
	v_add_co_ci_u32_e32 v2, vcc_lo, s2, v2, vcc_lo
	global_store_b32 v[1:2], v4, off
.LBB9_25:
	s_or_b32 exec_lo, exec_lo, s0
	s_mov_b32 s2, 0
.LBB9_26:
	s_delay_alu instid0(SALU_CYCLE_1)
	s_and_b32 vcc_lo, exec_lo, s2
	s_cbranch_vccz .LBB9_30
; %bb.27:
	s_mov_b32 s0, exec_lo
	v_cmpx_gt_u32_e32 0x70, v0
	s_cbranch_execz .LBB9_30
; %bb.28:
	s_mul_i32 s0, s15, s10
	s_load_b32 s10, s[8:9], 0xc
	s_mulk_i32 s0, 0x70
	s_mul_i32 s12, s14, 0x70
	s_ashr_i32 s1, s0, 31
	s_mul_i32 s8, s12, s11
	s_lshl_b64 s[2:3], s[0:1], 2
	s_waitcnt lgkmcnt(0)
	v_dual_mov_b32 v2, 0 :: v_dual_lshlrev_b32 v1, 2, v0
	s_add_u32 s1, s6, s2
	s_addc_u32 s7, s7, s3
	s_ashr_i32 s13, s12, 31
	s_mul_i32 s6, s0, s11
	s_lshl_b64 s[2:3], s[12:13], 2
	s_delay_alu instid0(SALU_CYCLE_1) | instskip(SKIP_2) | instid1(SALU_CYCLE_1)
	s_add_u32 s1, s1, s2
	s_addc_u32 s2, s7, s3
	s_ashr_i32 s7, s6, 31
	s_lshl_b64 s[6:7], s[6:7], 2
	s_delay_alu instid0(SALU_CYCLE_1) | instskip(SKIP_2) | instid1(SALU_CYCLE_1)
	s_add_u32 s0, s4, s6
	s_addc_u32 s6, s5, s7
	s_ashr_i32 s9, s8, 31
	s_lshl_b64 s[4:5], s[8:9], 2
	s_delay_alu instid0(SALU_CYCLE_1)
	s_add_u32 s3, s0, s4
	s_addc_u32 s4, s6, s5
	s_and_b32 s5, s10, 0xffff
	s_mov_b32 s6, 0
	s_lshl_b32 s7, s5, 2
	.p2align	6
.LBB9_29:                               ; =>This Inner Loop Header: Depth=1
	v_add_co_u32 v3, vcc_lo, s3, v1
	v_add_co_ci_u32_e32 v4, vcc_lo, s4, v2, vcc_lo
	v_add_nc_u32_e32 v0, s5, v0
	global_load_b32 v5, v[3:4], off
	v_add_co_u32 v3, vcc_lo, s1, v1
	v_add_co_ci_u32_e32 v4, vcc_lo, s2, v2, vcc_lo
	v_cmp_lt_u32_e32 vcc_lo, 0x6f, v0
	v_add_co_u32 v1, s0, v1, s7
	s_delay_alu instid0(VALU_DEP_1)
	v_add_co_ci_u32_e64 v2, s0, 0, v2, s0
	s_or_b32 s6, vcc_lo, s6
	s_waitcnt vmcnt(0)
	global_store_b32 v[3:4], v5, off
	s_and_not1_b32 exec_lo, exec_lo, s6
	s_cbranch_execnz .LBB9_29
.LBB9_30:
	s_nop 0
	s_sendmsg sendmsg(MSG_DEALLOC_VGPRS)
	s_endpgm
	.section	.rodata,"a",@progbits
	.p2align	6, 0x0
	.amdhsa_kernel _ZN4vllm32paged_attention_v2_reduce_kernelIfLi112ELi128ELi512EEEvPT_PKfS4_PKS1_PKii
		.amdhsa_group_segment_fixed_size 32
		.amdhsa_private_segment_fixed_size 0
		.amdhsa_kernarg_size 304
		.amdhsa_user_sgpr_count 14
		.amdhsa_user_sgpr_dispatch_ptr 0
		.amdhsa_user_sgpr_queue_ptr 0
		.amdhsa_user_sgpr_kernarg_segment_ptr 1
		.amdhsa_user_sgpr_dispatch_id 0
		.amdhsa_user_sgpr_private_segment_size 0
		.amdhsa_wavefront_size32 1
		.amdhsa_uses_dynamic_stack 0
		.amdhsa_enable_private_segment 0
		.amdhsa_system_sgpr_workgroup_id_x 1
		.amdhsa_system_sgpr_workgroup_id_y 1
		.amdhsa_system_sgpr_workgroup_id_z 0
		.amdhsa_system_sgpr_workgroup_info 0
		.amdhsa_system_vgpr_workitem_id 0
		.amdhsa_next_free_vgpr 19
		.amdhsa_next_free_sgpr 29
		.amdhsa_reserve_vcc 1
		.amdhsa_float_round_mode_32 0
		.amdhsa_float_round_mode_16_64 0
		.amdhsa_float_denorm_mode_32 3
		.amdhsa_float_denorm_mode_16_64 3
		.amdhsa_dx10_clamp 1
		.amdhsa_ieee_mode 1
		.amdhsa_fp16_overflow 0
		.amdhsa_workgroup_processor_mode 1
		.amdhsa_memory_ordered 1
		.amdhsa_forward_progress 0
		.amdhsa_shared_vgpr_count 0
		.amdhsa_exception_fp_ieee_invalid_op 0
		.amdhsa_exception_fp_denorm_src 0
		.amdhsa_exception_fp_ieee_div_zero 0
		.amdhsa_exception_fp_ieee_overflow 0
		.amdhsa_exception_fp_ieee_underflow 0
		.amdhsa_exception_fp_ieee_inexact 0
		.amdhsa_exception_int_div_zero 0
	.end_amdhsa_kernel
	.section	.text._ZN4vllm32paged_attention_v2_reduce_kernelIfLi112ELi128ELi512EEEvPT_PKfS4_PKS1_PKii,"axG",@progbits,_ZN4vllm32paged_attention_v2_reduce_kernelIfLi112ELi128ELi512EEEvPT_PKfS4_PKS1_PKii,comdat
.Lfunc_end9:
	.size	_ZN4vllm32paged_attention_v2_reduce_kernelIfLi112ELi128ELi512EEEvPT_PKfS4_PKS1_PKii, .Lfunc_end9-_ZN4vllm32paged_attention_v2_reduce_kernelIfLi112ELi128ELi512EEEvPT_PKfS4_PKS1_PKii
                                        ; -- End function
	.section	.AMDGPU.csdata,"",@progbits
; Kernel info:
; codeLenInByte = 2024
; NumSgprs: 31
; NumVgprs: 19
; ScratchSize: 0
; MemoryBound: 0
; FloatMode: 240
; IeeeMode: 1
; LDSByteSize: 32 bytes/workgroup (compile time only)
; SGPRBlocks: 3
; VGPRBlocks: 2
; NumSGPRsForWavesPerEU: 31
; NumVGPRsForWavesPerEU: 19
; Occupancy: 16
; WaveLimiterHint : 0
; COMPUTE_PGM_RSRC2:SCRATCH_EN: 0
; COMPUTE_PGM_RSRC2:USER_SGPR: 14
; COMPUTE_PGM_RSRC2:TRAP_HANDLER: 0
; COMPUTE_PGM_RSRC2:TGID_X_EN: 1
; COMPUTE_PGM_RSRC2:TGID_Y_EN: 1
; COMPUTE_PGM_RSRC2:TGID_Z_EN: 0
; COMPUTE_PGM_RSRC2:TIDIG_COMP_CNT: 0
	.section	.text._ZN4vllm25paged_attention_v2_kernelIffLi120ELi8ELi128ELNS_18Fp8KVCacheDataTypeE0ELb1ELi512EEEvPfS2_PT_PKS3_PKT0_S9_ifPKiSB_iPKfiiiSD_SD_iiiii,"axG",@progbits,_ZN4vllm25paged_attention_v2_kernelIffLi120ELi8ELi128ELNS_18Fp8KVCacheDataTypeE0ELb1ELi512EEEvPfS2_PT_PKS3_PKT0_S9_ifPKiSB_iPKfiiiSD_SD_iiiii,comdat
	.protected	_ZN4vllm25paged_attention_v2_kernelIffLi120ELi8ELi128ELNS_18Fp8KVCacheDataTypeE0ELb1ELi512EEEvPfS2_PT_PKS3_PKT0_S9_ifPKiSB_iPKfiiiSD_SD_iiiii ; -- Begin function _ZN4vllm25paged_attention_v2_kernelIffLi120ELi8ELi128ELNS_18Fp8KVCacheDataTypeE0ELb1ELi512EEEvPfS2_PT_PKS3_PKT0_S9_ifPKiSB_iPKfiiiSD_SD_iiiii
	.globl	_ZN4vllm25paged_attention_v2_kernelIffLi120ELi8ELi128ELNS_18Fp8KVCacheDataTypeE0ELb1ELi512EEEvPfS2_PT_PKS3_PKT0_S9_ifPKiSB_iPKfiiiSD_SD_iiiii
	.p2align	8
	.type	_ZN4vllm25paged_attention_v2_kernelIffLi120ELi8ELi128ELNS_18Fp8KVCacheDataTypeE0ELb1ELi512EEEvPfS2_PT_PKS3_PKT0_S9_ifPKiSB_iPKfiiiSD_SD_iiiii,@function
_ZN4vllm25paged_attention_v2_kernelIffLi120ELi8ELi128ELNS_18Fp8KVCacheDataTypeE0ELb1ELi512EEEvPfS2_PT_PKS3_PKT0_S9_ifPKiSB_iPKfiiiSD_SD_iiiii: ; @_ZN4vllm25paged_attention_v2_kernelIffLi120ELi8ELi128ELNS_18Fp8KVCacheDataTypeE0ELb1ELi512EEEvPfS2_PT_PKS3_PKT0_S9_ifPKiSB_iPKfiiiSD_SD_iiiii
; %bb.0:
	s_load_b64 s[2:3], s[0:1], 0x40
	s_mov_b32 s12, s15
	s_ashr_i32 s15, s14, 31
	s_delay_alu instid0(SALU_CYCLE_1)
	s_lshl_b64 s[4:5], s[14:15], 2
	s_waitcnt lgkmcnt(0)
	s_add_u32 s2, s2, s4
	s_addc_u32 s3, s3, s5
	s_lshl_b32 s38, s12, 9
	s_load_b32 s15, s[2:3], 0x0
	s_waitcnt lgkmcnt(0)
	s_cmp_ge_i32 s38, s15
	s_cbranch_scc1 .LBB10_101
; %bb.1:
	s_mov_b32 s24, s13
	s_clause 0x1
	s_load_b32 s13, s[0:1], 0x90
	s_load_b64 s[36:37], s[0:1], 0x30
	s_mov_b32 s40, 0
	s_waitcnt lgkmcnt(0)
	s_abs_i32 s5, s13
	s_abs_i32 s2, s36
	s_delay_alu instid0(SALU_CYCLE_1) | instskip(SKIP_1) | instid1(VALU_DEP_1)
	v_cvt_f32_u32_e32 v1, s2
	s_sub_i32 s4, 0, s2
	v_rcp_iflag_f32_e32 v1, v1
	s_waitcnt_depctr 0xfff
	v_mul_f32_e32 v1, 0x4f7ffffe, v1
	s_delay_alu instid0(VALU_DEP_1) | instskip(NEXT) | instid1(VALU_DEP_1)
	v_cvt_u32_f32_e32 v1, v1
	v_readfirstlane_b32 s3, v1
	s_delay_alu instid0(VALU_DEP_1) | instskip(NEXT) | instid1(SALU_CYCLE_1)
	s_mul_i32 s4, s4, s3
	s_mul_hi_u32 s4, s3, s4
	s_delay_alu instid0(SALU_CYCLE_1) | instskip(SKIP_4) | instid1(SALU_CYCLE_1)
	s_add_i32 s3, s3, s4
	s_xor_b32 s4, s13, s36
	s_mul_hi_u32 s3, s5, s3
	s_ashr_i32 s4, s4, 31
	s_mul_i32 s6, s3, s2
	s_sub_i32 s5, s5, s6
	s_add_i32 s6, s3, 1
	s_sub_i32 s7, s5, s2
	s_cmp_ge_u32 s5, s2
	s_cselect_b32 s3, s6, s3
	s_cselect_b32 s5, s7, s5
	s_add_i32 s6, s3, 1
	s_cmp_ge_u32 s5, s2
	s_cselect_b32 s2, s6, s3
	s_abs_i32 s17, s24
	s_xor_b32 s2, s2, s4
	s_delay_alu instid0(SALU_CYCLE_1) | instskip(SKIP_2) | instid1(SALU_CYCLE_1)
	s_sub_i32 s8, s2, s4
	s_load_b64 s[2:3], s[0:1], 0x50
	s_abs_i32 s16, s8
	v_cvt_f32_u32_e32 v1, s16
	s_sub_i32 s5, 0, s16
	s_delay_alu instid0(VALU_DEP_1) | instskip(SKIP_2) | instid1(VALU_DEP_1)
	v_rcp_iflag_f32_e32 v1, v1
	s_waitcnt_depctr 0xfff
	v_mul_f32_e32 v1, 0x4f7ffffe, v1
	v_cvt_u32_f32_e32 v1, v1
	s_delay_alu instid0(VALU_DEP_1) | instskip(NEXT) | instid1(VALU_DEP_1)
	v_readfirstlane_b32 s4, v1
	s_mul_i32 s5, s5, s4
	s_delay_alu instid0(SALU_CYCLE_1) | instskip(NEXT) | instid1(SALU_CYCLE_1)
	s_mul_hi_u32 s5, s4, s5
	s_add_i32 s4, s4, s5
	s_waitcnt lgkmcnt(0)
	s_cmp_eq_u64 s[2:3], 0
	s_mul_hi_u32 s18, s17, s4
	s_cbranch_scc1 .LBB10_3
; %bb.2:
	s_ashr_i32 s25, s24, 31
	s_delay_alu instid0(SALU_CYCLE_1) | instskip(NEXT) | instid1(SALU_CYCLE_1)
	s_lshl_b64 s[4:5], s[24:25], 2
	s_add_u32 s2, s2, s4
	s_addc_u32 s3, s3, s5
	s_load_b32 s40, s[2:3], 0x0
.LBB10_3:
	s_load_b128 s[4:7], s[0:1], 0x58
	v_and_b32_e32 v1, 3, v0
	v_lshlrev_b32_e32 v3, 2, v0
	s_ashr_i32 s2, s24, 31
	s_ashr_i32 s3, s8, 31
	s_mul_i32 s20, s24, 0x78
	s_waitcnt lgkmcnt(0)
	s_mov_b32 s7, exec_lo
	v_cmpx_gt_u32_e32 0x78, v0
	s_cbranch_execz .LBB10_5
; %bb.4:
	s_load_b64 s[8:9], s[0:1], 0x18
	s_mul_i32 s10, s14, s4
	v_and_b32_e32 v4, 0x3fc, v0
	s_ashr_i32 s11, s10, 31
	s_delay_alu instid0(SALU_CYCLE_1) | instskip(NEXT) | instid1(VALU_DEP_1)
	s_lshl_b64 s[10:11], s[10:11], 2
	v_mad_u32_u24 v4, 0x78, v1, v4
	s_waitcnt lgkmcnt(0)
	s_add_u32 s4, s8, s10
	s_addc_u32 s10, s9, s11
	s_ashr_i32 s21, s20, 31
	s_delay_alu instid0(SALU_CYCLE_1) | instskip(NEXT) | instid1(SALU_CYCLE_1)
	s_lshl_b64 s[8:9], s[20:21], 2
	s_add_u32 s8, s4, s8
	s_addc_u32 s9, s10, s9
	global_load_b32 v2, v3, s[8:9]
	s_waitcnt vmcnt(0)
	ds_store_b32 v4, v2
.LBB10_5:
	s_or_b32 exec_lo, exec_lo, s7
	s_load_b128 s[8:11], s[0:1], 0x78
	s_mul_i32 s4, s18, s16
	s_xor_b32 s2, s2, s3
	s_sub_i32 s3, s17, s4
	s_add_i32 s4, s18, 1
	s_sub_i32 s7, s3, s16
	s_cmp_ge_u32 s3, s16
	s_mov_b32 s17, -1
	s_cselect_b32 s4, s4, s18
	s_cselect_b32 s3, s7, s3
	s_add_i32 s7, s4, 1
	s_cmp_ge_u32 s3, s16
	s_waitcnt lgkmcnt(0)
	s_cselect_b32 s3, s7, s4
	s_load_b32 s4, s[0:1], 0x88
	s_xor_b32 s3, s3, s2
	s_add_i32 s16, s15, -1
	s_sub_i32 s3, s3, s2
	s_abs_i32 s7, s16
	s_waitcnt lgkmcnt(0)
	s_barrier
	s_abs_i32 s21, s11
	buffer_gl0_inv
	v_cvt_f32_u32_e32 v2, s21
	s_sub_i32 s2, 0, s21
                                        ; implicit-def: $sgpr33
	s_delay_alu instid0(VALU_DEP_1) | instskip(SKIP_2) | instid1(VALU_DEP_1)
	v_rcp_iflag_f32_e32 v2, v2
	s_waitcnt_depctr 0xfff
	v_mul_f32_e32 v2, 0x4f7ffffe, v2
	v_cvt_u32_f32_e32 v2, v2
	s_delay_alu instid0(VALU_DEP_1) | instskip(NEXT) | instid1(VALU_DEP_1)
	v_readfirstlane_b32 s25, v2
	s_mul_i32 s2, s2, s25
	s_delay_alu instid0(SALU_CYCLE_1) | instskip(NEXT) | instid1(SALU_CYCLE_1)
	s_mul_hi_u32 s2, s25, s2
	s_add_i32 s25, s25, s2
	s_cmp_lt_i32 s4, 0
	s_mul_hi_u32 s2, s7, s25
	s_cbranch_scc0 .LBB10_7
; %bb.6:
	s_mul_i32 s17, s8, s36
	s_delay_alu instid0(SALU_CYCLE_1) | instskip(NEXT) | instid1(SALU_CYCLE_1)
	s_add_i32 s17, s3, s17
	s_mul_i32 s17, s17, s4
	s_delay_alu instid0(SALU_CYCLE_1)
	s_sub_i32 s33, 1, s17
	s_mov_b32 s17, 0
.LBB10_7:
	s_load_b64 s[26:27], s[0:1], 0x38
	s_ashr_i32 s28, s16, 31
	s_and_not1_b32 vcc_lo, exec_lo, s17
	s_ashr_i32 s11, s11, 31
	s_cbranch_vccnz .LBB10_9
; %bb.8:
	s_mul_i32 s8, s13, s8
	s_delay_alu instid0(SALU_CYCLE_1) | instskip(NEXT) | instid1(SALU_CYCLE_1)
	s_add_i32 s8, s8, s24
	s_mul_i32 s4, s8, s4
	s_delay_alu instid0(SALU_CYCLE_1)
	s_add_i32 s33, s4, 1
.LBB10_9:
	s_clause 0x4
	s_load_b32 s8, s[0:1], 0x48
	s_load_b64 s[30:31], s[0:1], 0x28
	s_load_b32 s4, s[0:1], 0x98
	s_load_b128 s[16:19], s[0:1], 0x0
	s_load_b64 s[22:23], s[0:1], 0x10
	s_xor_b32 s34, s28, s11
	s_mul_i32 s28, s2, s21
	s_add_i32 s35, s2, 1
	s_sub_i32 s7, s7, s28
	v_lshrrev_b32_e32 v40, 5, v0
	v_mov_b32_e32 v5, 0xff7fffff
	v_mbcnt_lo_u32_b32 v4, -1, 0
	s_delay_alu instid0(VALU_DEP_3)
	v_lshl_add_u32 v41, v40, 3, s38
	s_waitcnt lgkmcnt(0)
	s_mul_i32 s28, s14, s8
	s_sub_i32 s8, s7, s21
	s_ashr_i32 s29, s28, 31
	s_cmp_ge_u32 s7, s21
	s_cselect_b32 s2, s35, s2
	s_cselect_b32 s7, s8, s7
	s_add_i32 s8, s2, 1
	s_cmp_ge_u32 s7, s21
	s_cselect_b32 s2, s8, s2
	s_add_i32 s8, s15, 7
	s_lshl_b32 s7, s12, 6
	s_ashr_i32 s35, s8, 31
	v_or_b32_e32 v37, s7, v40
	s_lshr_b32 s35, s35, 29
	s_xor_b32 s39, s2, s34
	s_add_i32 s8, s8, s35
	s_add_i32 s35, s7, 64
	s_ashr_i32 s36, s8, 3
	v_ashrrev_i32_e32 v38, 31, v37
	s_min_i32 s8, s35, s36
	s_sub_i32 s39, s39, s34
	v_cmp_le_i32_e64 s2, s8, v37
	s_mul_i32 s34, s3, s6
	s_mov_b32 s6, exec_lo
	v_cmpx_gt_i32_e64 s8, v37
	s_cbranch_execz .LBB10_19
; %bb.10:
	s_load_b64 s[0:1], s[0:1], 0x20
	s_ashr_i32 s35, s34, 31
	v_bfe_u32 v6, v0, 2, 3
	s_lshl_b64 s[42:43], s[34:35], 2
	s_sub_i32 s35, s39, s9
	v_cmp_eq_u32_e32 vcc_lo, 0, v1
	v_dual_mov_b32 v9, 0xff7fffff :: v_dual_lshlrev_b32 v14, 2, v1
	v_subrev_nc_u32_e32 v15, s15, v6
	v_mul_u32_u24_e32 v7, 0x78, v1
	v_lshl_add_u32 v8, v40, 3, s38
	v_xor_b32_e32 v10, 2, v4
	v_xor_b32_e32 v11, 1, v4
	v_lshlrev_b32_e32 v18, 4, v6
	s_waitcnt lgkmcnt(0)
	s_add_u32 s3, s0, s42
	s_addc_u32 s1, s1, s43
	s_abs_i32 s41, s10
	v_cmp_neq_f32_e64 s0, s40, 0
	v_cvt_f32_u32_e32 v2, s41
	s_sub_i32 s42, 0, s41
	s_delay_alu instid0(VALU_DEP_1)
	v_rcp_iflag_f32_e32 v5, v2
	v_lshlrev_b32_e32 v12, 2, v6
	v_lshlrev_b64 v[1:2], 2, v[37:38]
	s_waitcnt_depctr 0xfff
	v_mul_f32_e32 v13, 0x4f7ffffe, v5
	v_lshl_or_b32 v16, v40, 5, v12
	v_dual_mov_b32 v5, 0xff7fffff :: v_dual_add_nc_u32 v12, 1, v15
	s_delay_alu instid0(VALU_DEP_3) | instskip(NEXT) | instid1(VALU_DEP_3)
	v_cvt_u32_f32_e32 v17, v13
	v_add_nc_u32_e32 v13, 0x200, v16
	v_add_co_u32 v16, s3, s3, v18
	s_delay_alu instid0(VALU_DEP_1) | instskip(NEXT) | instid1(VALU_DEP_4)
	v_add_co_ci_u32_e64 v18, null, s1, 0, s3
	v_mul_lo_u32 v15, s42, v17
	s_lshl_b64 s[42:43], s[28:29], 2
	s_delay_alu instid0(SALU_CYCLE_1) | instskip(SKIP_2) | instid1(VALU_DEP_1)
	s_add_u32 s1, s26, s42
	s_addc_u32 s3, s27, s43
	v_add_co_u32 v1, s1, s1, v1
	v_add_co_ci_u32_e64 v2, s1, s3, v2, s1
	s_delay_alu instid0(VALU_DEP_3) | instskip(SKIP_1) | instid1(VALU_DEP_1)
	v_mul_hi_u32 v19, v17, v15
	v_add_co_u32 v14, s1, v16, v14
	v_add_co_ci_u32_e64 v15, s1, 0, v18, s1
	s_mov_b32 s42, 0
	s_mov_b32 s43, s5
	s_delay_alu instid0(VALU_DEP_3)
	v_add_nc_u32_e32 v16, v17, v19
	v_mov_b32_e32 v17, v37
	s_branch .LBB10_13
.LBB10_11:                              ;   in Loop: Header=BB10_13 Depth=1
	s_or_b32 exec_lo, exec_lo, s44
.LBB10_12:                              ;   in Loop: Header=BB10_13 Depth=1
	s_delay_alu instid0(SALU_CYCLE_1) | instskip(SKIP_2) | instid1(VALU_DEP_1)
	s_or_b32 exec_lo, exec_lo, s3
	v_add_nc_u32_e32 v17, 4, v17
	v_add_co_u32 v1, s3, v1, 16
	v_add_co_ci_u32_e64 v2, s3, 0, v2, s3
	s_delay_alu instid0(VALU_DEP_3) | instskip(SKIP_2) | instid1(VALU_DEP_3)
	v_cmp_le_i32_e64 s1, s8, v17
	v_add_nc_u32_e32 v8, 32, v8
	v_add_nc_u32_e32 v13, 0x80, v13
	s_or_b32 s42, s1, s42
	s_delay_alu instid0(SALU_CYCLE_1)
	s_and_not1_b32 exec_lo, exec_lo, s42
	s_cbranch_execz .LBB10_18
.LBB10_13:                              ; =>This Inner Loop Header: Depth=1
	v_sub_nc_u32_e32 v18, 0, v8
	s_delay_alu instid0(VALU_DEP_1) | instskip(SKIP_1) | instid1(VALU_DEP_1)
	v_max_i32_e32 v18, v8, v18
	s_waitcnt lgkmcnt(0)
	v_mul_hi_u32 v19, v18, s25
	s_delay_alu instid0(VALU_DEP_1) | instskip(NEXT) | instid1(VALU_DEP_1)
	v_mul_lo_u32 v20, v19, s21
	v_sub_nc_u32_e32 v18, v18, v20
	v_add_nc_u32_e32 v20, 1, v19
	s_delay_alu instid0(VALU_DEP_2) | instskip(SKIP_1) | instid1(VALU_DEP_1)
	v_subrev_nc_u32_e32 v21, s21, v18
	v_cmp_le_u32_e64 s1, s21, v18
	v_cndmask_b32_e64 v19, v19, v20, s1
	s_delay_alu instid0(VALU_DEP_3) | instskip(SKIP_1) | instid1(VALU_DEP_3)
	v_cndmask_b32_e64 v18, v18, v21, s1
	v_ashrrev_i32_e32 v20, 31, v8
	v_add_nc_u32_e32 v21, 1, v19
	s_delay_alu instid0(VALU_DEP_3) | instskip(NEXT) | instid1(VALU_DEP_3)
	v_cmp_le_u32_e64 s1, s21, v18
	v_xor_b32_e32 v20, s11, v20
	s_delay_alu instid0(VALU_DEP_2) | instskip(NEXT) | instid1(VALU_DEP_1)
	v_cndmask_b32_e64 v18, v19, v21, s1
	v_xor_b32_e32 v18, v18, v20
	s_delay_alu instid0(VALU_DEP_1) | instskip(NEXT) | instid1(VALU_DEP_1)
	v_sub_nc_u32_e32 v18, v18, v20
	v_add_nc_u32_e32 v19, s33, v18
	v_cmp_ge_i32_e64 s3, s35, v18
	s_delay_alu instid0(VALU_DEP_2) | instskip(NEXT) | instid1(VALU_DEP_1)
	v_sub_nc_u32_e32 v20, 0, v19
	v_max_i32_e32 v20, v19, v20
	v_ashrrev_i32_e32 v19, 31, v19
	s_delay_alu instid0(VALU_DEP_2) | instskip(NEXT) | instid1(VALU_DEP_1)
	v_mul_hi_u32 v21, v20, v16
	v_mul_lo_u32 v21, v21, s41
	s_delay_alu instid0(VALU_DEP_1) | instskip(NEXT) | instid1(VALU_DEP_1)
	v_sub_nc_u32_e32 v20, v20, v21
	v_subrev_nc_u32_e32 v21, s41, v20
	v_cmp_le_u32_e64 s1, s41, v20
	s_delay_alu instid0(VALU_DEP_1) | instskip(NEXT) | instid1(VALU_DEP_1)
	v_cndmask_b32_e64 v20, v20, v21, s1
	v_subrev_nc_u32_e32 v21, s41, v20
	v_cmp_le_u32_e64 s1, s41, v20
	s_delay_alu instid0(VALU_DEP_1) | instskip(NEXT) | instid1(VALU_DEP_1)
	v_cndmask_b32_e64 v20, v20, v21, s1
	v_xor_b32_e32 v20, v20, v19
	s_delay_alu instid0(VALU_DEP_1) | instskip(NEXT) | instid1(VALU_DEP_1)
	v_sub_nc_u32_e32 v19, v20, v19
	v_cmp_ne_u32_e64 s1, 0, v19
	s_delay_alu instid0(VALU_DEP_1) | instskip(NEXT) | instid1(SALU_CYCLE_1)
	s_and_b32 s1, s1, s3
	s_and_b32 s44, vcc_lo, s1
	s_delay_alu instid0(SALU_CYCLE_1)
	s_and_saveexec_b32 s3, s44
	s_cbranch_execz .LBB10_15
; %bb.14:                               ;   in Loop: Header=BB10_13 Depth=1
	ds_store_b32 v13, v9
.LBB10_15:                              ;   in Loop: Header=BB10_13 Depth=1
	s_or_b32 exec_lo, exec_lo, s3
	s_xor_b32 s1, s1, -1
	s_delay_alu instid0(SALU_CYCLE_1)
	s_and_saveexec_b32 s3, s1
	s_cbranch_execz .LBB10_12
; %bb.16:                               ;   in Loop: Header=BB10_13 Depth=1
	global_load_b32 v20, v[1:2], off
	s_waitcnt vmcnt(0)
	v_mad_i64_i32 v[18:19], null, v20, s43, 0
	s_delay_alu instid0(VALU_DEP_1) | instskip(NEXT) | instid1(VALU_DEP_1)
	v_lshlrev_b64 v[18:19], 2, v[18:19]
	v_add_co_u32 v18, s1, v14, v18
	s_delay_alu instid0(VALU_DEP_1)
	v_add_co_ci_u32_e64 v19, s1, v15, v19, s1
	v_cmp_gt_i32_e64 s1, 32, v10
	s_clause 0x1d
	global_load_b32 v26, v[18:19], off offset:128
	global_load_b32 v27, v[18:19], off
	global_load_b32 v28, v[18:19], off offset:256
	global_load_b32 v29, v[18:19], off offset:384
	;; [unrolled: 1-line block ×28, first 2 shown]
	ds_load_2addr_b64 v[18:21], v7 offset1:1
	ds_load_2addr_b64 v[22:25], v7 offset0:2 offset1:3
	s_waitcnt vmcnt(29) lgkmcnt(1)
	v_mul_f32_e32 v26, v19, v26
	s_waitcnt vmcnt(28)
	s_delay_alu instid0(VALU_DEP_1) | instskip(SKIP_1) | instid1(VALU_DEP_1)
	v_fmac_f32_e32 v26, v18, v27
	s_waitcnt vmcnt(27)
	v_fmac_f32_e32 v26, v20, v28
	s_waitcnt vmcnt(26)
	s_delay_alu instid0(VALU_DEP_1) | instskip(SKIP_4) | instid1(VALU_DEP_1)
	v_fmac_f32_e32 v26, v21, v29
	ds_load_2addr_b64 v[18:21], v7 offset0:4 offset1:5
	s_waitcnt vmcnt(25) lgkmcnt(1)
	v_fmac_f32_e32 v26, v22, v30
	s_waitcnt vmcnt(24)
	v_fmac_f32_e32 v26, v23, v31
	s_waitcnt vmcnt(23)
	s_delay_alu instid0(VALU_DEP_1) | instskip(SKIP_1) | instid1(VALU_DEP_1)
	v_fmac_f32_e32 v26, v24, v32
	s_waitcnt vmcnt(22)
	v_fmac_f32_e32 v26, v25, v33
	ds_load_2addr_b64 v[22:25], v7 offset0:6 offset1:7
	s_waitcnt vmcnt(21) lgkmcnt(1)
	v_fmac_f32_e32 v26, v18, v34
	s_waitcnt vmcnt(20)
	s_delay_alu instid0(VALU_DEP_1) | instskip(SKIP_1) | instid1(VALU_DEP_1)
	v_fmac_f32_e32 v26, v19, v35
	s_waitcnt vmcnt(19)
	v_fmac_f32_e32 v26, v20, v36
	s_waitcnt vmcnt(18)
	s_delay_alu instid0(VALU_DEP_1) | instskip(SKIP_4) | instid1(VALU_DEP_1)
	v_fmac_f32_e32 v26, v21, v39
	ds_load_2addr_b64 v[18:21], v7 offset0:8 offset1:9
	s_waitcnt vmcnt(17) lgkmcnt(1)
	v_fmac_f32_e32 v26, v22, v42
	s_waitcnt vmcnt(16)
	v_fmac_f32_e32 v26, v23, v43
	s_waitcnt vmcnt(15)
	s_delay_alu instid0(VALU_DEP_1) | instskip(SKIP_1) | instid1(VALU_DEP_1)
	v_fmac_f32_e32 v26, v24, v44
	s_waitcnt vmcnt(14)
	v_fmac_f32_e32 v26, v25, v45
	ds_load_2addr_b64 v[22:25], v7 offset0:10 offset1:11
	s_waitcnt vmcnt(13) lgkmcnt(1)
	v_fmac_f32_e32 v26, v18, v46
	s_waitcnt vmcnt(12)
	s_delay_alu instid0(VALU_DEP_1) | instskip(SKIP_1) | instid1(VALU_DEP_1)
	v_fmac_f32_e32 v26, v19, v47
	s_waitcnt vmcnt(11)
	v_fmac_f32_e32 v26, v20, v48
	s_waitcnt vmcnt(10)
	s_delay_alu instid0(VALU_DEP_1) | instskip(SKIP_4) | instid1(VALU_DEP_1)
	v_fmac_f32_e32 v26, v21, v49
	ds_load_2addr_b64 v[18:21], v7 offset0:12 offset1:13
	s_waitcnt vmcnt(9) lgkmcnt(1)
	v_fmac_f32_e32 v26, v22, v50
	s_waitcnt vmcnt(8)
	v_fmac_f32_e32 v26, v23, v51
	ds_load_b64 v[22:23], v7 offset:112
	s_waitcnt vmcnt(7)
	v_fmac_f32_e32 v26, v24, v52
	s_waitcnt vmcnt(6)
	s_delay_alu instid0(VALU_DEP_1) | instskip(SKIP_1) | instid1(VALU_DEP_1)
	v_fmac_f32_e32 v26, v25, v53
	s_waitcnt vmcnt(5) lgkmcnt(1)
	v_fmac_f32_e32 v26, v18, v54
	v_cndmask_b32_e64 v18, v4, v10, s1
	v_cmp_gt_i32_e64 s1, 32, v11
	s_waitcnt vmcnt(4)
	s_delay_alu instid0(VALU_DEP_3) | instskip(NEXT) | instid1(VALU_DEP_3)
	v_fmac_f32_e32 v26, v19, v55
	v_lshlrev_b32_e32 v18, 2, v18
	s_delay_alu instid0(VALU_DEP_3) | instskip(SKIP_1) | instid1(VALU_DEP_1)
	v_cndmask_b32_e64 v19, v4, v11, s1
	s_waitcnt vmcnt(3)
	v_dual_fmac_f32 v26, v20, v56 :: v_dual_lshlrev_b32 v19, 2, v19
	s_waitcnt vmcnt(2)
	s_delay_alu instid0(VALU_DEP_1) | instskip(SKIP_1) | instid1(VALU_DEP_1)
	v_fmac_f32_e32 v26, v21, v57
	s_waitcnt vmcnt(1) lgkmcnt(0)
	v_fmac_f32_e32 v26, v22, v58
	s_waitcnt vmcnt(0)
	s_delay_alu instid0(VALU_DEP_1)
	v_fmac_f32_e32 v26, v23, v59
	ds_bpermute_b32 v18, v18, v26
	s_waitcnt lgkmcnt(0)
	v_add_f32_e32 v18, v26, v18
	ds_bpermute_b32 v19, v19, v18
	s_and_saveexec_b32 s44, vcc_lo
	s_cbranch_execz .LBB10_11
; %bb.17:                               ;   in Loop: Header=BB10_13 Depth=1
	s_waitcnt lgkmcnt(0)
	v_add_f32_e32 v18, v18, v19
	v_add_nc_u32_e32 v20, v12, v8
	s_delay_alu instid0(VALU_DEP_1) | instskip(NEXT) | instid1(VALU_DEP_1)
	v_cvt_f32_i32_e32 v20, v20
	v_mul_f32_e32 v20, s40, v20
	s_delay_alu instid0(VALU_DEP_1) | instskip(NEXT) | instid1(VALU_DEP_1)
	v_cndmask_b32_e64 v19, 0, v20, s0
	v_dual_max_f32 v20, v5, v5 :: v_dual_fmac_f32 v19, s37, v18
	v_add_nc_u32_e32 v18, v6, v8
	s_delay_alu instid0(VALU_DEP_2) | instskip(NEXT) | instid1(VALU_DEP_2)
	v_max_f32_e32 v20, v20, v19
	v_cmp_gt_i32_e64 s1, s15, v18
	s_delay_alu instid0(VALU_DEP_1) | instskip(NEXT) | instid1(VALU_DEP_3)
	v_cndmask_b32_e64 v18, 0, v19, s1
	v_cndmask_b32_e64 v5, v5, v20, s1
	ds_store_b32 v13, v18
	s_branch .LBB10_11
.LBB10_18:
	s_or_b32 exec_lo, exec_lo, s42
.LBB10_19:
	s_delay_alu instid0(SALU_CYCLE_1) | instskip(SKIP_2) | instid1(VALU_DEP_2)
	s_or_b32 exec_lo, exec_lo, s6
	v_xor_b32_e32 v1, 16, v4
	v_xor_b32_e32 v2, 8, v4
	v_cmp_gt_i32_e32 vcc_lo, 32, v1
	v_cndmask_b32_e32 v1, v4, v1, vcc_lo
	s_delay_alu instid0(VALU_DEP_3) | instskip(SKIP_1) | instid1(VALU_DEP_3)
	v_cmp_gt_i32_e32 vcc_lo, 32, v2
	v_max_f32_e32 v7, v5, v5
	v_lshlrev_b32_e32 v6, 2, v1
	v_cndmask_b32_e32 v2, v4, v2, vcc_lo
	ds_bpermute_b32 v1, v6, v5
	v_lshlrev_b32_e32 v5, 2, v2
	s_waitcnt lgkmcnt(0)
	v_max_f32_e32 v1, v1, v1
	s_delay_alu instid0(VALU_DEP_1) | instskip(SKIP_4) | instid1(VALU_DEP_1)
	v_max_f32_e32 v1, v7, v1
	v_xor_b32_e32 v7, 4, v4
	ds_bpermute_b32 v2, v5, v1
	v_cmp_gt_i32_e32 vcc_lo, 32, v7
	v_cndmask_b32_e32 v7, v4, v7, vcc_lo
	v_lshlrev_b32_e32 v9, 2, v7
	s_waitcnt lgkmcnt(0)
	v_dual_max_f32 v2, v2, v2 :: v_dual_lshlrev_b32 v7, 2, v40
	s_delay_alu instid0(VALU_DEP_1)
	v_dual_max_f32 v2, v1, v2 :: v_dual_and_b32 v1, 31, v0
	ds_bpermute_b32 v8, v9, v2
	v_cmp_eq_u32_e32 vcc_lo, 0, v1
	s_and_saveexec_b32 s0, vcc_lo
	s_cbranch_execz .LBB10_21
; %bb.20:
	s_waitcnt lgkmcnt(0)
	v_max_f32_e32 v8, v8, v8
	v_max_f32_e32 v2, v2, v2
	s_delay_alu instid0(VALU_DEP_1)
	v_max_f32_e32 v2, v2, v8
	ds_store_b32 v7, v2 offset:480
.LBB10_21:
	s_or_b32 exec_lo, exec_lo, s0
	v_cmp_gt_u32_e64 s0, 4, v1
	v_mov_b32_e32 v2, 0xff7fffff
	s_waitcnt lgkmcnt(0)
	v_lshlrev_b32_e32 v8, 2, v1
	s_barrier
	buffer_gl0_inv
	s_and_saveexec_b32 s1, s0
	s_cbranch_execz .LBB10_23
; %bb.22:
	ds_load_b32 v2, v8 offset:480
.LBB10_23:
	s_or_b32 exec_lo, exec_lo, s1
	v_xor_b32_e32 v10, 2, v4
	v_xor_b32_e32 v12, 1, v4
	s_delay_alu instid0(VALU_DEP_2) | instskip(NEXT) | instid1(VALU_DEP_1)
	v_cmp_gt_i32_e64 s1, 32, v10
	v_cndmask_b32_e64 v10, v4, v10, s1
	s_delay_alu instid0(VALU_DEP_3) | instskip(NEXT) | instid1(VALU_DEP_2)
	v_cmp_gt_i32_e64 s1, 32, v12
	v_lshlrev_b32_e32 v10, 2, v10
	s_delay_alu instid0(VALU_DEP_2) | instskip(SKIP_1) | instid1(SALU_CYCLE_1)
	v_cndmask_b32_e64 v4, v4, v12, s1
	s_sub_i32 s1, s8, s7
	s_lshl_b32 s1, s1, 3
	s_waitcnt lgkmcnt(0)
	ds_bpermute_b32 v11, v10, v2
	v_dual_max_f32 v2, v2, v2 :: v_dual_lshlrev_b32 v43, 2, v4
	s_add_i32 s1, s1, s38
	s_delay_alu instid0(SALU_CYCLE_1) | instskip(NEXT) | instid1(SALU_CYCLE_1)
	s_min_i32 s1, s1, s15
	s_sub_i32 s6, s1, s38
	s_delay_alu instid0(SALU_CYCLE_1) | instskip(SKIP_2) | instid1(VALU_DEP_1)
	v_cmp_gt_i32_e64 s1, s6, v0
	s_waitcnt lgkmcnt(0)
	v_max_f32_e32 v11, v11, v11
	v_dual_max_f32 v2, v2, v11 :: v_dual_mov_b32 v11, 0
	ds_bpermute_b32 v4, v43, v2
	s_waitcnt lgkmcnt(0)
	v_max_f32_e32 v4, v4, v4
	s_delay_alu instid0(VALU_DEP_1)
	v_max_f32_e32 v2, v2, v4
	v_lshl_add_u32 v4, v0, 2, 0x200
	ds_bpermute_b32 v2, v11, v2
	s_and_saveexec_b32 s7, s1
	s_cbranch_execz .LBB10_27
; %bb.24:
	v_lshl_add_u32 v12, v0, 2, 0x200
	v_mov_b32_e32 v11, 0
	v_mov_b32_e32 v13, v0
	s_mov_b32 s35, 0
	.p2align	6
.LBB10_25:                              ; =>This Inner Loop Header: Depth=1
	ds_load_b32 v14, v12
	v_add_nc_u32_e32 v13, 0x80, v13
	s_delay_alu instid0(VALU_DEP_1) | instskip(NEXT) | instid1(VALU_DEP_1)
	v_cmp_le_i32_e64 s3, s6, v13
	s_or_b32 s35, s3, s35
	s_waitcnt lgkmcnt(0)
	v_sub_f32_e32 v14, v14, v2
	s_delay_alu instid0(VALU_DEP_1) | instskip(NEXT) | instid1(VALU_DEP_1)
	v_mul_f32_e32 v14, 0x3fb8aa3b, v14
	v_exp_f32_e32 v14, v14
	ds_store_b32 v12, v14
	v_dual_add_f32 v11, v11, v14 :: v_dual_add_nc_u32 v12, 0x200, v12
	s_and_not1_b32 exec_lo, exec_lo, s35
	s_cbranch_execnz .LBB10_25
; %bb.26:
	s_or_b32 exec_lo, exec_lo, s35
.LBB10_27:
	s_delay_alu instid0(SALU_CYCLE_1)
	s_or_b32 exec_lo, exec_lo, s7
	ds_bpermute_b32 v6, v6, v11
	s_waitcnt lgkmcnt(0)
	v_add_f32_e32 v6, v11, v6
	ds_bpermute_b32 v5, v5, v6
	s_waitcnt lgkmcnt(0)
	v_add_f32_e32 v5, v6, v5
	ds_bpermute_b32 v6, v9, v5
	s_waitcnt lgkmcnt(0)
	v_add_f32_e32 v5, v5, v6
	ds_bpermute_b32 v6, v10, v5
	s_waitcnt lgkmcnt(0)
	v_add_f32_e32 v5, v5, v6
	ds_bpermute_b32 v6, v43, v5
	s_waitcnt lgkmcnt(0)
	v_add_f32_e32 v5, v5, v6
	s_and_saveexec_b32 s3, vcc_lo
	s_cbranch_execz .LBB10_29
; %bb.28:
	ds_store_b32 v7, v5 offset:496
.LBB10_29:
	s_or_b32 exec_lo, exec_lo, s3
	s_waitcnt lgkmcnt(0)
	s_barrier
	buffer_gl0_inv
	s_and_saveexec_b32 s3, s0
	s_cbranch_execz .LBB10_31
; %bb.30:
	ds_load_b32 v5, v8 offset:496
.LBB10_31:
	s_or_b32 exec_lo, exec_lo, s3
	s_waitcnt lgkmcnt(0)
	ds_bpermute_b32 v6, v10, v5
	s_waitcnt lgkmcnt(0)
	v_add_f32_e32 v5, v5, v6
	ds_bpermute_b32 v6, v43, v5
	s_waitcnt lgkmcnt(0)
	v_dual_add_f32 v5, v5, v6 :: v_dual_mov_b32 v6, 0
	ds_bpermute_b32 v5, v6, v5
	s_and_saveexec_b32 s0, s1
	s_cbranch_execz .LBB10_34
; %bb.32:
	s_waitcnt lgkmcnt(0)
	v_add_f32_e32 v6, 0x358637bd, v5
	s_mov_b32 s1, 0
	s_delay_alu instid0(VALU_DEP_1) | instskip(SKIP_1) | instid1(VALU_DEP_2)
	v_div_scale_f32 v7, null, v6, v6, 1.0
	v_div_scale_f32 v10, vcc_lo, 1.0, v6, 1.0
	v_rcp_f32_e32 v8, v7
	s_waitcnt_depctr 0xfff
	v_fma_f32 v9, -v7, v8, 1.0
	s_delay_alu instid0(VALU_DEP_1) | instskip(NEXT) | instid1(VALU_DEP_1)
	v_fmac_f32_e32 v8, v9, v8
	v_mul_f32_e32 v9, v10, v8
	s_delay_alu instid0(VALU_DEP_1) | instskip(NEXT) | instid1(VALU_DEP_1)
	v_fma_f32 v11, -v7, v9, v10
	v_fmac_f32_e32 v9, v11, v8
	s_delay_alu instid0(VALU_DEP_1) | instskip(NEXT) | instid1(VALU_DEP_1)
	v_fma_f32 v7, -v7, v9, v10
	v_div_fmas_f32 v7, v7, v8, v9
	s_delay_alu instid0(VALU_DEP_1)
	v_div_fixup_f32 v6, v7, v6, 1.0
	v_mov_b32_e32 v7, v0
.LBB10_33:                              ; =>This Inner Loop Header: Depth=1
	ds_load_b32 v8, v4
	s_waitcnt lgkmcnt(0)
	v_dual_mul_f32 v8, v6, v8 :: v_dual_add_nc_u32 v7, 0x80, v7
	s_delay_alu instid0(VALU_DEP_1) | instskip(SKIP_3) | instid1(SALU_CYCLE_1)
	v_cmp_le_i32_e32 vcc_lo, s6, v7
	ds_store_b32 v4, v8
	v_add_nc_u32_e32 v4, 0x200, v4
	s_or_b32 s1, vcc_lo, s1
	s_and_not1_b32 exec_lo, exec_lo, s1
	s_cbranch_execnz .LBB10_33
.LBB10_34:
	s_or_b32 exec_lo, exec_lo, s0
	s_mul_i32 s0, s4, s14
	s_waitcnt lgkmcnt(0)
	s_mul_i32 s6, s0, s13
	s_mov_b32 s0, exec_lo
	s_barrier
	buffer_gl0_inv
	v_cmpx_eq_u32_e32 0, v0
	s_cbranch_execz .LBB10_36
; %bb.35:
	s_ashr_i32 s7, s6, 31
	s_mul_i32 s42, s4, s24
	s_lshl_b64 s[40:41], s[6:7], 2
	v_mov_b32_e32 v4, 0
	s_add_u32 s1, s18, s40
	s_addc_u32 s3, s19, s41
	s_ashr_i32 s43, s42, 31
	s_delay_alu instid0(SALU_CYCLE_1) | instskip(NEXT) | instid1(SALU_CYCLE_1)
	s_lshl_b64 s[18:19], s[42:43], 2
	s_add_u32 s1, s1, s18
	s_addc_u32 s3, s3, s19
	s_ashr_i32 s13, s12, 31
	s_delay_alu instid0(SALU_CYCLE_1) | instskip(NEXT) | instid1(SALU_CYCLE_1)
	s_lshl_b64 s[42:43], s[12:13], 2
	s_add_u32 s44, s1, s42
	s_addc_u32 s45, s3, s43
	s_add_u32 s1, s16, s40
	s_addc_u32 s3, s17, s41
	;; [unrolled: 2-line block ×4, first 2 shown]
	s_clause 0x1
	global_store_b32 v4, v2, s[44:45]
	global_store_b32 v4, v5, s[16:17]
.LBB10_36:
	s_or_b32 exec_lo, exec_lo, s0
	v_lshrrev_b32_e32 v42, 1, v1
                                        ; implicit-def: $sgpr0
	s_and_saveexec_b32 s1, s2
	s_delay_alu instid0(SALU_CYCLE_1)
	s_xor_b32 s1, exec_lo, s1
; %bb.37:
	v_lshrrev_b32_e32 v42, 1, v1
	s_mov_b32 s0, 0
                                        ; implicit-def: $vgpr41
                                        ; implicit-def: $vgpr37
                                        ; implicit-def: $vgpr3
; %bb.38:
	s_or_saveexec_b32 s2, s1
	v_dual_mov_b32 v52, s0 :: v_dual_mov_b32 v47, s0
	v_dual_mov_b32 v49, s0 :: v_dual_and_b32 v44, 1, v0
	v_dual_mov_b32 v46, s0 :: v_dual_mov_b32 v51, s0
	v_dual_mov_b32 v48, s0 :: v_dual_mov_b32 v45, s0
	v_mov_b32_e32 v50, s0
	s_xor_b32 exec_lo, exec_lo, s2
	s_cbranch_execz .LBB10_62
; %bb.39:
	s_ashr_i32 s35, s34, 31
	s_sub_i32 s3, s39, s9
	s_lshl_b64 s[0:1], s[34:35], 2
	v_dual_mov_b32 v48, 0 :: v_dual_lshlrev_b32 v5, 4, v44
	s_add_u32 s7, s30, s0
	s_addc_u32 s9, s31, s1
	s_abs_i32 s10, s10
	s_add_i32 s36, s36, -1
	v_cvt_f32_u32_e32 v1, s10
	s_sub_i32 s0, 0, s10
	v_lshl_or_b32 v5, v40, 5, v5
	v_dual_mov_b32 v45, 0 :: v_dual_mov_b32 v50, 0
	s_delay_alu instid0(VALU_DEP_3)
	v_rcp_iflag_f32_e32 v4, v1
	v_and_b32_e32 v53, 4, v3
	v_or_b32_e32 v3, 0x70, v42
	v_lshlrev_b64 v[1:2], 2, v[37:38]
	v_dual_mov_b32 v51, 0 :: v_dual_mov_b32 v46, 0
	v_dual_mov_b32 v49, 0 :: v_dual_add_nc_u32 v54, 0x200, v5
	s_delay_alu instid0(VALU_DEP_4) | instskip(SKIP_1) | instid1(TRANS32_DEP_1)
	v_cmp_gt_u32_e32 vcc_lo, 0x78, v3
	s_mov_b32 s13, s5
	v_mul_f32_e32 v4, 0x4f7ffffe, v4
	v_lshl_or_b32 v7, v42, 3, v53
	v_lshl_or_b32 v3, v3, 3, v53
	v_dual_mov_b32 v47, 0 :: v_dual_mov_b32 v52, 0
	s_delay_alu instid0(VALU_DEP_4) | instskip(NEXT) | instid1(VALU_DEP_4)
	v_cvt_u32_f32_e32 v4, v4
	v_lshlrev_b32_e32 v55, 2, v7
	s_delay_alu instid0(VALU_DEP_4) | instskip(SKIP_1) | instid1(VALU_DEP_3)
	v_lshlrev_b32_e32 v56, 2, v3
	s_mov_b32 s5, 0
	v_mul_lo_u32 v6, s0, v4
	s_lshl_b64 s[0:1], s[28:29], 2
	s_delay_alu instid0(SALU_CYCLE_1) | instskip(SKIP_2) | instid1(VALU_DEP_1)
	s_add_u32 s0, s26, s0
	s_addc_u32 s1, s27, s1
	v_add_co_u32 v38, s0, s0, v1
	v_add_co_ci_u32_e64 v39, s0, s1, v2, s0
	s_delay_alu instid0(VALU_DEP_3) | instskip(NEXT) | instid1(VALU_DEP_1)
	v_mul_hi_u32 v6, v4, v6
	v_add_nc_u32_e32 v57, v4, v6
	s_branch .LBB10_43
.LBB10_40:                              ;   in Loop: Header=BB10_43 Depth=1
	s_or_b32 exec_lo, exec_lo, s1
	s_waitcnt vmcnt(0) lgkmcnt(0)
	v_mul_f32_e32 v34, v2, v34
	s_delay_alu instid0(VALU_DEP_1) | instskip(NEXT) | instid1(VALU_DEP_1)
	v_fmac_f32_e32 v34, v1, v33
	v_fmac_f32_e32 v34, v3, v35
	s_delay_alu instid0(VALU_DEP_1) | instskip(NEXT) | instid1(VALU_DEP_1)
	v_fmac_f32_e32 v34, v4, v36
	v_add_f32_e32 v52, v52, v34
.LBB10_41:                              ;   in Loop: Header=BB10_43 Depth=1
	s_or_b32 exec_lo, exec_lo, s16
	s_waitcnt vmcnt(5) lgkmcnt(0)
	v_mul_f32_e32 v10, v2, v10
	v_mul_f32_e32 v6, v2, v6
	s_waitcnt vmcnt(1)
	s_delay_alu instid0(VALU_DEP_2) | instskip(NEXT) | instid1(VALU_DEP_2)
	v_dual_fmac_f32 v10, v1, v9 :: v_dual_mul_f32 v9, v2, v26
	v_dual_fmac_f32 v6, v1, v5 :: v_dual_mul_f32 v5, v2, v22
	s_delay_alu instid0(VALU_DEP_2) | instskip(NEXT) | instid1(VALU_DEP_2)
	v_dual_fmac_f32 v9, v1, v25 :: v_dual_mul_f32 v18, v2, v18
	v_dual_fmac_f32 v5, v1, v21 :: v_dual_mul_f32 v14, v2, v14
	s_delay_alu instid0(VALU_DEP_2) | instskip(NEXT) | instid1(VALU_DEP_2)
	v_dual_fmac_f32 v9, v3, v27 :: v_dual_fmac_f32 v18, v1, v17
	v_fmac_f32_e32 v5, v3, v23
	v_fmac_f32_e32 v6, v3, v7
	s_waitcnt vmcnt(0)
	s_delay_alu instid0(VALU_DEP_3) | instskip(NEXT) | instid1(VALU_DEP_3)
	v_dual_mul_f32 v2, v2, v30 :: v_dual_fmac_f32 v9, v4, v28
	v_dual_fmac_f32 v18, v3, v19 :: v_dual_fmac_f32 v5, v4, v24
	s_delay_alu instid0(VALU_DEP_2) | instskip(NEXT) | instid1(VALU_DEP_3)
	v_fmac_f32_e32 v2, v1, v29
	v_add_f32_e32 v48, v48, v9
	s_delay_alu instid0(VALU_DEP_3) | instskip(NEXT) | instid1(VALU_DEP_4)
	v_fmac_f32_e32 v18, v4, v20
	v_dual_fmac_f32 v6, v4, v8 :: v_dual_add_f32 v47, v47, v5
	s_delay_alu instid0(VALU_DEP_2) | instskip(NEXT) | instid1(VALU_DEP_2)
	v_dual_fmac_f32 v2, v3, v31 :: v_dual_add_f32 v49, v49, v18
	v_dual_fmac_f32 v10, v3, v11 :: v_dual_add_f32 v45, v45, v6
	s_delay_alu instid0(VALU_DEP_2) | instskip(NEXT) | instid1(VALU_DEP_2)
	v_fmac_f32_e32 v2, v4, v32
	v_fmac_f32_e32 v10, v4, v12
	;; [unrolled: 1-line block ×3, first 2 shown]
	s_delay_alu instid0(VALU_DEP_3) | instskip(NEXT) | instid1(VALU_DEP_3)
	v_add_f32_e32 v46, v46, v2
	v_add_f32_e32 v51, v51, v10
	s_delay_alu instid0(VALU_DEP_3) | instskip(NEXT) | instid1(VALU_DEP_1)
	v_fmac_f32_e32 v14, v3, v15
	v_fmac_f32_e32 v14, v4, v16
	s_delay_alu instid0(VALU_DEP_1)
	v_add_f32_e32 v50, v50, v14
.LBB10_42:                              ;   in Loop: Header=BB10_43 Depth=1
	s_or_b32 exec_lo, exec_lo, s14
	v_add_nc_u32_e32 v37, 4, v37
	v_add_co_u32 v38, s1, v38, 16
	s_delay_alu instid0(VALU_DEP_1) | instskip(NEXT) | instid1(VALU_DEP_3)
	v_add_co_ci_u32_e64 v39, s1, 0, v39, s1
	v_cmp_le_i32_e64 s0, s8, v37
	v_add_nc_u32_e32 v41, 32, v41
	v_add_nc_u32_e32 v54, 0x80, v54
	s_delay_alu instid0(VALU_DEP_3) | instskip(NEXT) | instid1(SALU_CYCLE_1)
	s_or_b32 s5, s0, s5
	s_and_not1_b32 exec_lo, exec_lo, s5
	s_cbranch_execz .LBB10_61
.LBB10_43:                              ; =>This Inner Loop Header: Depth=1
	v_sub_nc_u32_e32 v1, 0, v41
	s_delay_alu instid0(VALU_DEP_1) | instskip(NEXT) | instid1(VALU_DEP_1)
	v_max_i32_e32 v1, v41, v1
	v_mul_hi_u32 v2, v1, s25
	s_delay_alu instid0(VALU_DEP_1) | instskip(NEXT) | instid1(VALU_DEP_1)
	v_mul_lo_u32 v3, v2, s21
	v_sub_nc_u32_e32 v1, v1, v3
	v_add_nc_u32_e32 v3, 1, v2
	s_delay_alu instid0(VALU_DEP_2) | instskip(SKIP_1) | instid1(VALU_DEP_1)
	v_subrev_nc_u32_e32 v4, s21, v1
	v_cmp_le_u32_e64 s0, s21, v1
	v_cndmask_b32_e64 v2, v2, v3, s0
	s_delay_alu instid0(VALU_DEP_3) | instskip(SKIP_1) | instid1(VALU_DEP_3)
	v_cndmask_b32_e64 v1, v1, v4, s0
	v_ashrrev_i32_e32 v3, 31, v41
	v_add_nc_u32_e32 v4, 1, v2
	s_delay_alu instid0(VALU_DEP_3) | instskip(NEXT) | instid1(VALU_DEP_3)
	v_cmp_le_u32_e64 s0, s21, v1
	v_xor_b32_e32 v3, s11, v3
	s_delay_alu instid0(VALU_DEP_2) | instskip(NEXT) | instid1(VALU_DEP_1)
	v_cndmask_b32_e64 v1, v2, v4, s0
	v_xor_b32_e32 v1, v1, v3
	s_delay_alu instid0(VALU_DEP_1) | instskip(NEXT) | instid1(VALU_DEP_1)
	v_sub_nc_u32_e32 v1, v1, v3
	v_add_nc_u32_e32 v2, s33, v1
	v_cmp_lt_i32_e64 s1, s3, v1
	s_delay_alu instid0(VALU_DEP_2) | instskip(NEXT) | instid1(VALU_DEP_1)
	v_sub_nc_u32_e32 v3, 0, v2
	v_max_i32_e32 v3, v2, v3
	v_ashrrev_i32_e32 v2, 31, v2
	s_delay_alu instid0(VALU_DEP_2) | instskip(NEXT) | instid1(VALU_DEP_1)
	v_mul_hi_u32 v4, v3, v57
	v_mul_lo_u32 v4, v4, s10
	s_delay_alu instid0(VALU_DEP_1) | instskip(NEXT) | instid1(VALU_DEP_1)
	v_sub_nc_u32_e32 v3, v3, v4
	v_subrev_nc_u32_e32 v4, s10, v3
	v_cmp_le_u32_e64 s0, s10, v3
	s_delay_alu instid0(VALU_DEP_1) | instskip(NEXT) | instid1(VALU_DEP_1)
	v_cndmask_b32_e64 v3, v3, v4, s0
	v_subrev_nc_u32_e32 v4, s10, v3
	v_cmp_le_u32_e64 s0, s10, v3
	s_delay_alu instid0(VALU_DEP_1) | instskip(NEXT) | instid1(VALU_DEP_1)
	v_cndmask_b32_e64 v3, v3, v4, s0
	v_xor_b32_e32 v3, v3, v2
	s_delay_alu instid0(VALU_DEP_1) | instskip(NEXT) | instid1(VALU_DEP_1)
	v_sub_nc_u32_e32 v2, v3, v2
	v_cmp_eq_u32_e64 s0, 0, v2
	s_delay_alu instid0(VALU_DEP_1) | instskip(NEXT) | instid1(SALU_CYCLE_1)
	s_or_b32 s0, s0, s1
	s_and_saveexec_b32 s14, s0
	s_cbranch_execz .LBB10_42
; %bb.44:                               ;   in Loop: Header=BB10_43 Depth=1
	global_load_b32 v3, v[38:39], off
	v_add_nc_u32_e32 v58, v53, v41
	s_waitcnt vmcnt(0)
	v_mad_i64_i32 v[1:2], null, v3, s13, 0
	s_delay_alu instid0(VALU_DEP_1) | instskip(NEXT) | instid1(VALU_DEP_1)
	v_lshlrev_b64 v[1:2], 2, v[1:2]
	v_add_co_u32 v33, s0, s7, v1
	s_delay_alu instid0(VALU_DEP_1) | instskip(SKIP_2) | instid1(VALU_DEP_1)
	v_add_co_ci_u32_e64 v34, s0, s9, v2, s0
	ds_load_b128 v[1:4], v54
	v_add_co_u32 v29, s0, v33, v55
	v_add_co_ci_u32_e64 v30, s0, 0, v34, s0
	v_cmp_eq_u32_e64 s0, s36, v37
	global_load_b128 v[5:8], v[29:30], off
	s_and_saveexec_b32 s16, s0
	s_cbranch_execnz .LBB10_52
; %bb.45:                               ;   in Loop: Header=BB10_43 Depth=1
	s_or_b32 exec_lo, exec_lo, s16
	global_load_b128 v[9:12], v[29:30], off offset:512
	s_and_saveexec_b32 s16, s0
	s_cbranch_execnz .LBB10_53
.LBB10_46:                              ;   in Loop: Header=BB10_43 Depth=1
	s_or_b32 exec_lo, exec_lo, s16
	global_load_b128 v[13:16], v[29:30], off offset:1024
	s_and_saveexec_b32 s16, s0
	s_cbranch_execnz .LBB10_54
.LBB10_47:                              ;   in Loop: Header=BB10_43 Depth=1
	s_or_b32 exec_lo, exec_lo, s16
	global_load_b128 v[17:20], v[29:30], off offset:1536
	s_and_saveexec_b32 s16, s0
	s_cbranch_execnz .LBB10_55
.LBB10_48:                              ;   in Loop: Header=BB10_43 Depth=1
	s_or_b32 exec_lo, exec_lo, s16
	global_load_b128 v[21:24], v[29:30], off offset:2048
	s_and_saveexec_b32 s16, s0
	s_cbranch_execnz .LBB10_56
.LBB10_49:                              ;   in Loop: Header=BB10_43 Depth=1
	s_or_b32 exec_lo, exec_lo, s16
	global_load_b128 v[25:28], v[29:30], off offset:2560
	s_and_saveexec_b32 s16, s0
	s_cbranch_execnz .LBB10_57
.LBB10_50:                              ;   in Loop: Header=BB10_43 Depth=1
	s_or_b32 exec_lo, exec_lo, s16
	global_load_b128 v[29:32], v[29:30], off offset:3072
	s_and_saveexec_b32 s16, s0
	s_cbranch_execnz .LBB10_58
.LBB10_51:                              ;   in Loop: Header=BB10_43 Depth=1
	s_or_b32 exec_lo, exec_lo, s16
	s_and_saveexec_b32 s16, vcc_lo
	s_cbranch_execz .LBB10_41
	s_branch .LBB10_59
.LBB10_52:                              ;   in Loop: Header=BB10_43 Depth=1
	v_add_nc_u32_e32 v9, 1, v58
	v_cmp_gt_i32_e64 s1, s15, v58
	v_add_nc_u32_e32 v10, 2, v58
	v_add_nc_u32_e32 v11, 3, v58
	s_waitcnt vmcnt(0)
	s_delay_alu instid0(VALU_DEP_3) | instskip(SKIP_1) | instid1(VALU_DEP_1)
	v_cndmask_b32_e64 v5, 0, v5, s1
	v_cmp_gt_i32_e64 s1, s15, v9
	v_cndmask_b32_e64 v6, 0, v6, s1
	v_cmp_gt_i32_e64 s1, s15, v10
	s_delay_alu instid0(VALU_DEP_1) | instskip(SKIP_1) | instid1(VALU_DEP_1)
	v_cndmask_b32_e64 v7, 0, v7, s1
	v_cmp_gt_i32_e64 s1, s15, v11
	v_cndmask_b32_e64 v8, 0, v8, s1
	s_or_b32 exec_lo, exec_lo, s16
	global_load_b128 v[9:12], v[29:30], off offset:512
	s_and_saveexec_b32 s16, s0
	s_cbranch_execz .LBB10_46
.LBB10_53:                              ;   in Loop: Header=BB10_43 Depth=1
	v_add_nc_u32_e32 v13, 1, v58
	v_cmp_gt_i32_e64 s1, s15, v58
	v_add_nc_u32_e32 v14, 2, v58
	v_add_nc_u32_e32 v15, 3, v58
	s_waitcnt vmcnt(0)
	s_delay_alu instid0(VALU_DEP_3) | instskip(SKIP_1) | instid1(VALU_DEP_1)
	v_cndmask_b32_e64 v9, 0, v9, s1
	v_cmp_gt_i32_e64 s1, s15, v13
	v_cndmask_b32_e64 v10, 0, v10, s1
	v_cmp_gt_i32_e64 s1, s15, v14
	s_delay_alu instid0(VALU_DEP_1) | instskip(SKIP_1) | instid1(VALU_DEP_1)
	v_cndmask_b32_e64 v11, 0, v11, s1
	v_cmp_gt_i32_e64 s1, s15, v15
	v_cndmask_b32_e64 v12, 0, v12, s1
	s_or_b32 exec_lo, exec_lo, s16
	global_load_b128 v[13:16], v[29:30], off offset:1024
	s_and_saveexec_b32 s16, s0
	s_cbranch_execz .LBB10_47
.LBB10_54:                              ;   in Loop: Header=BB10_43 Depth=1
	v_add_nc_u32_e32 v17, 1, v58
	v_cmp_gt_i32_e64 s1, s15, v58
	v_add_nc_u32_e32 v18, 2, v58
	v_add_nc_u32_e32 v19, 3, v58
	s_waitcnt vmcnt(0)
	s_delay_alu instid0(VALU_DEP_3) | instskip(SKIP_1) | instid1(VALU_DEP_1)
	v_cndmask_b32_e64 v13, 0, v13, s1
	v_cmp_gt_i32_e64 s1, s15, v17
	v_cndmask_b32_e64 v14, 0, v14, s1
	v_cmp_gt_i32_e64 s1, s15, v18
	s_delay_alu instid0(VALU_DEP_1) | instskip(SKIP_1) | instid1(VALU_DEP_1)
	v_cndmask_b32_e64 v15, 0, v15, s1
	v_cmp_gt_i32_e64 s1, s15, v19
	v_cndmask_b32_e64 v16, 0, v16, s1
	s_or_b32 exec_lo, exec_lo, s16
	global_load_b128 v[17:20], v[29:30], off offset:1536
	s_and_saveexec_b32 s16, s0
	s_cbranch_execz .LBB10_48
.LBB10_55:                              ;   in Loop: Header=BB10_43 Depth=1
	v_add_nc_u32_e32 v21, 1, v58
	v_cmp_gt_i32_e64 s1, s15, v58
	v_add_nc_u32_e32 v22, 2, v58
	v_add_nc_u32_e32 v23, 3, v58
	s_waitcnt vmcnt(0)
	s_delay_alu instid0(VALU_DEP_3) | instskip(SKIP_1) | instid1(VALU_DEP_1)
	v_cndmask_b32_e64 v17, 0, v17, s1
	v_cmp_gt_i32_e64 s1, s15, v21
	v_cndmask_b32_e64 v18, 0, v18, s1
	v_cmp_gt_i32_e64 s1, s15, v22
	s_delay_alu instid0(VALU_DEP_1) | instskip(SKIP_1) | instid1(VALU_DEP_1)
	v_cndmask_b32_e64 v19, 0, v19, s1
	v_cmp_gt_i32_e64 s1, s15, v23
	v_cndmask_b32_e64 v20, 0, v20, s1
	s_or_b32 exec_lo, exec_lo, s16
	global_load_b128 v[21:24], v[29:30], off offset:2048
	s_and_saveexec_b32 s16, s0
	s_cbranch_execz .LBB10_49
.LBB10_56:                              ;   in Loop: Header=BB10_43 Depth=1
	v_add_nc_u32_e32 v25, 1, v58
	v_cmp_gt_i32_e64 s1, s15, v58
	v_add_nc_u32_e32 v26, 2, v58
	v_add_nc_u32_e32 v27, 3, v58
	s_waitcnt vmcnt(0)
	s_delay_alu instid0(VALU_DEP_3) | instskip(SKIP_1) | instid1(VALU_DEP_1)
	v_cndmask_b32_e64 v21, 0, v21, s1
	v_cmp_gt_i32_e64 s1, s15, v25
	v_cndmask_b32_e64 v22, 0, v22, s1
	v_cmp_gt_i32_e64 s1, s15, v26
	s_delay_alu instid0(VALU_DEP_1) | instskip(SKIP_1) | instid1(VALU_DEP_1)
	v_cndmask_b32_e64 v23, 0, v23, s1
	v_cmp_gt_i32_e64 s1, s15, v27
	v_cndmask_b32_e64 v24, 0, v24, s1
	s_or_b32 exec_lo, exec_lo, s16
	global_load_b128 v[25:28], v[29:30], off offset:2560
	s_and_saveexec_b32 s16, s0
	s_cbranch_execz .LBB10_50
.LBB10_57:                              ;   in Loop: Header=BB10_43 Depth=1
	v_add_nc_u32_e32 v31, 1, v58
	v_cmp_gt_i32_e64 s1, s15, v58
	v_add_nc_u32_e32 v32, 2, v58
	v_add_nc_u32_e32 v35, 3, v58
	s_waitcnt vmcnt(0)
	s_delay_alu instid0(VALU_DEP_3) | instskip(SKIP_1) | instid1(VALU_DEP_1)
	v_cndmask_b32_e64 v25, 0, v25, s1
	v_cmp_gt_i32_e64 s1, s15, v31
	v_cndmask_b32_e64 v26, 0, v26, s1
	v_cmp_gt_i32_e64 s1, s15, v32
	s_delay_alu instid0(VALU_DEP_1) | instskip(SKIP_1) | instid1(VALU_DEP_1)
	v_cndmask_b32_e64 v27, 0, v27, s1
	v_cmp_gt_i32_e64 s1, s15, v35
	v_cndmask_b32_e64 v28, 0, v28, s1
	s_or_b32 exec_lo, exec_lo, s16
	global_load_b128 v[29:32], v[29:30], off offset:3072
	s_and_saveexec_b32 s16, s0
	s_cbranch_execz .LBB10_51
.LBB10_58:                              ;   in Loop: Header=BB10_43 Depth=1
	v_add_nc_u32_e32 v35, 1, v58
	v_cmp_gt_i32_e64 s1, s15, v58
	v_add_nc_u32_e32 v36, 2, v58
	v_add_nc_u32_e32 v59, 3, v58
	s_waitcnt vmcnt(0)
	s_delay_alu instid0(VALU_DEP_3) | instskip(SKIP_1) | instid1(VALU_DEP_1)
	v_cndmask_b32_e64 v29, 0, v29, s1
	v_cmp_gt_i32_e64 s1, s15, v35
	v_cndmask_b32_e64 v30, 0, v30, s1
	v_cmp_gt_i32_e64 s1, s15, v36
	s_delay_alu instid0(VALU_DEP_1) | instskip(SKIP_1) | instid1(VALU_DEP_1)
	v_cndmask_b32_e64 v31, 0, v31, s1
	v_cmp_gt_i32_e64 s1, s15, v59
	v_cndmask_b32_e64 v32, 0, v32, s1
	s_or_b32 exec_lo, exec_lo, s16
	s_and_saveexec_b32 s16, vcc_lo
	s_cbranch_execz .LBB10_41
.LBB10_59:                              ;   in Loop: Header=BB10_43 Depth=1
	v_add_co_u32 v33, s1, v33, v56
	s_delay_alu instid0(VALU_DEP_1)
	v_add_co_ci_u32_e64 v34, s1, 0, v34, s1
	global_load_b128 v[33:36], v[33:34], off
	s_and_saveexec_b32 s1, s0
	s_cbranch_execz .LBB10_40
; %bb.60:                               ;   in Loop: Header=BB10_43 Depth=1
	v_add_nc_u32_e32 v59, 1, v58
	v_cmp_gt_i32_e64 s0, s15, v58
	v_add_nc_u32_e32 v60, 2, v58
	v_add_nc_u32_e32 v58, 3, v58
	s_waitcnt vmcnt(0)
	s_delay_alu instid0(VALU_DEP_3) | instskip(SKIP_1) | instid1(VALU_DEP_1)
	v_cndmask_b32_e64 v33, 0, v33, s0
	v_cmp_gt_i32_e64 s0, s15, v59
	v_cndmask_b32_e64 v34, 0, v34, s0
	v_cmp_gt_i32_e64 s0, s15, v60
	s_delay_alu instid0(VALU_DEP_1) | instskip(SKIP_1) | instid1(VALU_DEP_1)
	v_cndmask_b32_e64 v35, 0, v35, s0
	v_cmp_gt_i32_e64 s0, s15, v58
	v_cndmask_b32_e64 v36, 0, v36, s0
	s_branch .LBB10_40
.LBB10_61:
	s_or_b32 exec_lo, exec_lo, s5
.LBB10_62:
	s_delay_alu instid0(SALU_CYCLE_1)
	s_or_b32 exec_lo, exec_lo, s2
	ds_bpermute_b32 v1, v43, v45
	ds_bpermute_b32 v2, v43, v51
	;; [unrolled: 1-line block ×8, first 2 shown]
	s_movk_i32 s0, 0x1e0
	v_cmp_eq_u32_e32 vcc_lo, 0, v44
	v_and_b32_e32 v14, 0x3c0, v0
	v_mad_u32_u24 v9, v40, s0, 0x200
	s_mov_b32 s1, exec_lo
	s_waitcnt lgkmcnt(0)
	s_waitcnt_vscnt null, 0x0
	s_barrier
	buffer_gl0_inv
	v_dual_add_f32 v8, v45, v1 :: v_dual_add_f32 v7, v51, v2
	v_dual_add_f32 v6, v50, v3 :: v_dual_add_f32 v5, v49, v4
	;; [unrolled: 1-line block ×4, first 2 shown]
	v_cmpx_eq_u32_e32 64, v14
	s_cbranch_execz .LBB10_67
; %bb.63:
	v_add_nc_u32_e32 v10, 0xfffffc40, v9
	s_delay_alu instid0(VALU_DEP_1)
	v_lshl_add_u32 v10, v42, 2, v10
	s_and_saveexec_b32 s0, vcc_lo
	s_cbranch_execz .LBB10_65
; %bb.64:
	ds_store_2addr_b32 v10, v8, v7 offset1:16
	ds_store_2addr_b32 v10, v6, v5 offset0:32 offset1:48
	ds_store_2addr_b32 v10, v4, v3 offset0:64 offset1:80
	ds_store_b32 v10, v2 offset:384
.LBB10_65:
	s_or_b32 exec_lo, exec_lo, s0
	v_or_b32_e32 v11, 0x70, v42
	s_delay_alu instid0(VALU_DEP_1) | instskip(NEXT) | instid1(VALU_DEP_1)
	v_cmp_gt_u32_e64 s0, 0x78, v11
	s_and_b32 s0, vcc_lo, s0
	s_delay_alu instid0(SALU_CYCLE_1)
	s_and_b32 exec_lo, exec_lo, s0
	s_cbranch_execz .LBB10_67
; %bb.66:
	ds_store_b32 v10, v1 offset:448
.LBB10_67:
	s_or_b32 exec_lo, exec_lo, s1
	s_delay_alu instid0(SALU_CYCLE_1)
	s_mov_b32 s1, exec_lo
	s_waitcnt lgkmcnt(0)
	s_barrier
	buffer_gl0_inv
	v_cmpx_gt_u32_e32 64, v0
	s_cbranch_execz .LBB10_79
; %bb.68:
	s_and_saveexec_b32 s0, vcc_lo
	s_cbranch_execnz .LBB10_102
; %bb.69:
	s_or_b32 exec_lo, exec_lo, s0
	s_and_saveexec_b32 s0, vcc_lo
	s_cbranch_execnz .LBB10_103
.LBB10_70:
	s_or_b32 exec_lo, exec_lo, s0
	s_and_saveexec_b32 s0, vcc_lo
	s_cbranch_execnz .LBB10_104
.LBB10_71:
	s_or_b32 exec_lo, exec_lo, s0
	s_and_saveexec_b32 s0, vcc_lo
	s_cbranch_execnz .LBB10_105
.LBB10_72:
	s_or_b32 exec_lo, exec_lo, s0
	s_and_saveexec_b32 s0, vcc_lo
	s_cbranch_execnz .LBB10_106
.LBB10_73:
	s_or_b32 exec_lo, exec_lo, s0
	s_and_saveexec_b32 s0, vcc_lo
	s_cbranch_execnz .LBB10_107
.LBB10_74:
	s_or_b32 exec_lo, exec_lo, s0
	s_and_saveexec_b32 s0, vcc_lo
	s_cbranch_execz .LBB10_76
.LBB10_75:
	v_lshl_add_u32 v10, v42, 2, v9
	ds_load_b32 v10, v10 offset:384
	s_waitcnt lgkmcnt(0)
	v_add_f32_e32 v2, v2, v10
.LBB10_76:
	s_or_b32 exec_lo, exec_lo, s0
	v_or_b32_e32 v10, 0x70, v42
	s_delay_alu instid0(VALU_DEP_1) | instskip(NEXT) | instid1(VALU_DEP_1)
	v_cmp_gt_u32_e64 s0, 0x78, v10
	s_and_b32 s2, vcc_lo, s0
	s_delay_alu instid0(SALU_CYCLE_1)
	s_and_saveexec_b32 s0, s2
	s_cbranch_execz .LBB10_78
; %bb.77:
	v_lshl_add_u32 v10, v42, 2, v9
	ds_load_b32 v10, v10 offset:448
	s_waitcnt lgkmcnt(0)
	v_add_f32_e32 v1, v1, v10
.LBB10_78:
	s_or_b32 exec_lo, exec_lo, s0
.LBB10_79:
	s_delay_alu instid0(SALU_CYCLE_1)
	s_or_b32 exec_lo, exec_lo, s1
	v_and_b32_e32 v10, 0x3e0, v0
	s_mov_b32 s1, exec_lo
	s_barrier
	buffer_gl0_inv
	v_cmpx_eq_u32_e32 32, v10
	s_cbranch_execz .LBB10_84
; %bb.80:
	v_add_nc_u32_e32 v10, 0xfffffe20, v9
	s_delay_alu instid0(VALU_DEP_1)
	v_lshl_add_u32 v10, v42, 2, v10
	s_and_saveexec_b32 s0, vcc_lo
	s_cbranch_execz .LBB10_82
; %bb.81:
	ds_store_2addr_b32 v10, v8, v7 offset1:16
	ds_store_2addr_b32 v10, v6, v5 offset0:32 offset1:48
	ds_store_2addr_b32 v10, v4, v3 offset0:64 offset1:80
	ds_store_b32 v10, v2 offset:384
.LBB10_82:
	s_or_b32 exec_lo, exec_lo, s0
	v_or_b32_e32 v11, 0x70, v42
	s_delay_alu instid0(VALU_DEP_1) | instskip(NEXT) | instid1(VALU_DEP_1)
	v_cmp_gt_u32_e64 s0, 0x78, v11
	s_and_b32 s0, vcc_lo, s0
	s_delay_alu instid0(SALU_CYCLE_1)
	s_and_b32 exec_lo, exec_lo, s0
	s_cbranch_execz .LBB10_84
; %bb.83:
	ds_store_b32 v10, v1 offset:448
.LBB10_84:
	s_or_b32 exec_lo, exec_lo, s1
	v_cmp_gt_u32_e64 s0, 32, v0
	s_waitcnt lgkmcnt(0)
	s_barrier
	buffer_gl0_inv
	s_and_saveexec_b32 s2, s0
	s_cbranch_execz .LBB10_96
; %bb.85:
	v_lshl_add_u32 v9, v42, 2, v9
	s_and_saveexec_b32 s1, vcc_lo
	s_cbranch_execnz .LBB10_108
; %bb.86:
	s_or_b32 exec_lo, exec_lo, s1
	s_and_saveexec_b32 s1, vcc_lo
	s_cbranch_execnz .LBB10_109
.LBB10_87:
	s_or_b32 exec_lo, exec_lo, s1
	s_and_saveexec_b32 s1, vcc_lo
	s_cbranch_execnz .LBB10_110
.LBB10_88:
	s_or_b32 exec_lo, exec_lo, s1
	s_and_saveexec_b32 s1, vcc_lo
	s_cbranch_execnz .LBB10_111
.LBB10_89:
	s_or_b32 exec_lo, exec_lo, s1
	s_and_saveexec_b32 s1, vcc_lo
	s_cbranch_execnz .LBB10_112
.LBB10_90:
	s_or_b32 exec_lo, exec_lo, s1
	s_and_saveexec_b32 s1, vcc_lo
	s_cbranch_execnz .LBB10_113
.LBB10_91:
	s_or_b32 exec_lo, exec_lo, s1
	s_and_saveexec_b32 s1, vcc_lo
	s_cbranch_execz .LBB10_93
.LBB10_92:
	ds_load_b32 v10, v9 offset:384
	s_waitcnt lgkmcnt(0)
	v_add_f32_e32 v2, v2, v10
.LBB10_93:
	s_or_b32 exec_lo, exec_lo, s1
	v_or_b32_e32 v10, 0x70, v42
	s_delay_alu instid0(VALU_DEP_1) | instskip(NEXT) | instid1(VALU_DEP_1)
	v_cmp_gt_u32_e64 s1, 0x78, v10
	s_and_b32 s3, vcc_lo, s1
	s_delay_alu instid0(SALU_CYCLE_1)
	s_and_saveexec_b32 s1, s3
	s_cbranch_execz .LBB10_95
; %bb.94:
	ds_load_b32 v9, v9 offset:448
	s_waitcnt lgkmcnt(0)
	v_add_f32_e32 v1, v1, v9
.LBB10_95:
	s_or_b32 exec_lo, exec_lo, s1
.LBB10_96:
	s_delay_alu instid0(SALU_CYCLE_1)
	s_or_b32 exec_lo, exec_lo, s2
	s_barrier
	buffer_gl0_inv
	s_and_saveexec_b32 s1, s0
	s_cbranch_execz .LBB10_101
; %bb.97:
	s_mul_i32 s0, s6, 0x78
	s_mul_i32 s2, s4, s20
	s_ashr_i32 s1, s0, 31
	v_lshrrev_b32_e32 v9, 1, v0
	s_lshl_b64 s[0:1], s[0:1], 2
	s_delay_alu instid0(SALU_CYCLE_1)
	s_add_u32 s4, s22, s0
	s_addc_u32 s1, s23, s1
	s_ashr_i32 s3, s2, 31
	s_mul_i32 s0, s12, 0x78
	s_lshl_b64 s[2:3], s[2:3], 2
	v_lshlrev_b32_e32 v0, 2, v9
	s_add_u32 s2, s4, s2
	s_addc_u32 s3, s1, s3
	s_ashr_i32 s1, s0, 31
	s_delay_alu instid0(SALU_CYCLE_1) | instskip(NEXT) | instid1(SALU_CYCLE_1)
	s_lshl_b64 s[0:1], s[0:1], 2
	s_add_u32 s2, s2, s0
	s_addc_u32 s3, s3, s1
	s_and_saveexec_b32 s0, vcc_lo
; %bb.98:
	s_clause 0x6
	global_store_b32 v0, v8, s[2:3]
	global_store_b32 v0, v7, s[2:3] offset:64
	global_store_b32 v0, v6, s[2:3] offset:128
	;; [unrolled: 1-line block ×6, first 2 shown]
; %bb.99:
	s_or_b32 exec_lo, exec_lo, s0
	v_or_b32_e32 v2, 0x70, v9
	s_delay_alu instid0(VALU_DEP_1) | instskip(NEXT) | instid1(VALU_DEP_1)
	v_cmp_gt_u32_e64 s0, 0x78, v2
	s_and_b32 s0, vcc_lo, s0
	s_delay_alu instid0(SALU_CYCLE_1)
	s_and_b32 exec_lo, exec_lo, s0
	s_cbranch_execz .LBB10_101
; %bb.100:
	global_store_b32 v0, v1, s[2:3] offset:448
.LBB10_101:
	s_nop 0
	s_sendmsg sendmsg(MSG_DEALLOC_VGPRS)
	s_endpgm
.LBB10_102:
	v_lshl_add_u32 v10, v42, 2, v9
	ds_load_b32 v10, v10
	s_waitcnt lgkmcnt(0)
	v_add_f32_e32 v8, v8, v10
	s_or_b32 exec_lo, exec_lo, s0
	s_and_saveexec_b32 s0, vcc_lo
	s_cbranch_execz .LBB10_70
.LBB10_103:
	v_lshl_add_u32 v10, v42, 2, v9
	ds_load_b32 v10, v10 offset:64
	s_waitcnt lgkmcnt(0)
	v_add_f32_e32 v7, v7, v10
	s_or_b32 exec_lo, exec_lo, s0
	s_and_saveexec_b32 s0, vcc_lo
	s_cbranch_execz .LBB10_71
.LBB10_104:
	v_lshl_add_u32 v10, v42, 2, v9
	ds_load_b32 v10, v10 offset:128
	s_waitcnt lgkmcnt(0)
	v_add_f32_e32 v6, v6, v10
	s_or_b32 exec_lo, exec_lo, s0
	s_and_saveexec_b32 s0, vcc_lo
	s_cbranch_execz .LBB10_72
.LBB10_105:
	v_lshl_add_u32 v10, v42, 2, v9
	ds_load_b32 v10, v10 offset:192
	s_waitcnt lgkmcnt(0)
	v_add_f32_e32 v5, v5, v10
	s_or_b32 exec_lo, exec_lo, s0
	s_and_saveexec_b32 s0, vcc_lo
	s_cbranch_execz .LBB10_73
.LBB10_106:
	v_lshl_add_u32 v10, v42, 2, v9
	ds_load_b32 v10, v10 offset:256
	s_waitcnt lgkmcnt(0)
	v_add_f32_e32 v4, v4, v10
	s_or_b32 exec_lo, exec_lo, s0
	s_and_saveexec_b32 s0, vcc_lo
	s_cbranch_execz .LBB10_74
.LBB10_107:
	v_lshl_add_u32 v10, v42, 2, v9
	ds_load_b32 v10, v10 offset:320
	s_waitcnt lgkmcnt(0)
	v_add_f32_e32 v3, v3, v10
	s_or_b32 exec_lo, exec_lo, s0
	s_and_saveexec_b32 s0, vcc_lo
	s_cbranch_execnz .LBB10_75
	s_branch .LBB10_76
.LBB10_108:
	ds_load_b32 v10, v9
	s_waitcnt lgkmcnt(0)
	v_add_f32_e32 v8, v8, v10
	s_or_b32 exec_lo, exec_lo, s1
	s_and_saveexec_b32 s1, vcc_lo
	s_cbranch_execz .LBB10_87
.LBB10_109:
	ds_load_b32 v10, v9 offset:64
	s_waitcnt lgkmcnt(0)
	v_add_f32_e32 v7, v7, v10
	s_or_b32 exec_lo, exec_lo, s1
	s_and_saveexec_b32 s1, vcc_lo
	s_cbranch_execz .LBB10_88
.LBB10_110:
	ds_load_b32 v10, v9 offset:128
	s_waitcnt lgkmcnt(0)
	v_add_f32_e32 v6, v6, v10
	s_or_b32 exec_lo, exec_lo, s1
	s_and_saveexec_b32 s1, vcc_lo
	s_cbranch_execz .LBB10_89
.LBB10_111:
	ds_load_b32 v10, v9 offset:192
	s_waitcnt lgkmcnt(0)
	v_add_f32_e32 v5, v5, v10
	s_or_b32 exec_lo, exec_lo, s1
	s_and_saveexec_b32 s1, vcc_lo
	s_cbranch_execz .LBB10_90
.LBB10_112:
	ds_load_b32 v10, v9 offset:256
	s_waitcnt lgkmcnt(0)
	v_add_f32_e32 v4, v4, v10
	s_or_b32 exec_lo, exec_lo, s1
	s_and_saveexec_b32 s1, vcc_lo
	s_cbranch_execz .LBB10_91
.LBB10_113:
	ds_load_b32 v10, v9 offset:320
	s_waitcnt lgkmcnt(0)
	v_add_f32_e32 v3, v3, v10
	s_or_b32 exec_lo, exec_lo, s1
	s_and_saveexec_b32 s1, vcc_lo
	s_cbranch_execnz .LBB10_92
	s_branch .LBB10_93
	.section	.rodata,"a",@progbits
	.p2align	6, 0x0
	.amdhsa_kernel _ZN4vllm25paged_attention_v2_kernelIffLi120ELi8ELi128ELNS_18Fp8KVCacheDataTypeE0ELb1ELi512EEEvPfS2_PT_PKS3_PKT0_S9_ifPKiSB_iPKfiiiSD_SD_iiiii
		.amdhsa_group_segment_fixed_size 512
		.amdhsa_private_segment_fixed_size 0
		.amdhsa_kernarg_size 400
		.amdhsa_user_sgpr_count 13
		.amdhsa_user_sgpr_dispatch_ptr 0
		.amdhsa_user_sgpr_queue_ptr 0
		.amdhsa_user_sgpr_kernarg_segment_ptr 1
		.amdhsa_user_sgpr_dispatch_id 0
		.amdhsa_user_sgpr_private_segment_size 0
		.amdhsa_wavefront_size32 1
		.amdhsa_uses_dynamic_stack 0
		.amdhsa_enable_private_segment 0
		.amdhsa_system_sgpr_workgroup_id_x 1
		.amdhsa_system_sgpr_workgroup_id_y 1
		.amdhsa_system_sgpr_workgroup_id_z 1
		.amdhsa_system_sgpr_workgroup_info 0
		.amdhsa_system_vgpr_workitem_id 0
		.amdhsa_next_free_vgpr 61
		.amdhsa_next_free_sgpr 46
		.amdhsa_reserve_vcc 1
		.amdhsa_float_round_mode_32 0
		.amdhsa_float_round_mode_16_64 0
		.amdhsa_float_denorm_mode_32 3
		.amdhsa_float_denorm_mode_16_64 3
		.amdhsa_dx10_clamp 1
		.amdhsa_ieee_mode 1
		.amdhsa_fp16_overflow 0
		.amdhsa_workgroup_processor_mode 1
		.amdhsa_memory_ordered 1
		.amdhsa_forward_progress 0
		.amdhsa_shared_vgpr_count 0
		.amdhsa_exception_fp_ieee_invalid_op 0
		.amdhsa_exception_fp_denorm_src 0
		.amdhsa_exception_fp_ieee_div_zero 0
		.amdhsa_exception_fp_ieee_overflow 0
		.amdhsa_exception_fp_ieee_underflow 0
		.amdhsa_exception_fp_ieee_inexact 0
		.amdhsa_exception_int_div_zero 0
	.end_amdhsa_kernel
	.section	.text._ZN4vllm25paged_attention_v2_kernelIffLi120ELi8ELi128ELNS_18Fp8KVCacheDataTypeE0ELb1ELi512EEEvPfS2_PT_PKS3_PKT0_S9_ifPKiSB_iPKfiiiSD_SD_iiiii,"axG",@progbits,_ZN4vllm25paged_attention_v2_kernelIffLi120ELi8ELi128ELNS_18Fp8KVCacheDataTypeE0ELb1ELi512EEEvPfS2_PT_PKS3_PKT0_S9_ifPKiSB_iPKfiiiSD_SD_iiiii,comdat
.Lfunc_end10:
	.size	_ZN4vllm25paged_attention_v2_kernelIffLi120ELi8ELi128ELNS_18Fp8KVCacheDataTypeE0ELb1ELi512EEEvPfS2_PT_PKS3_PKT0_S9_ifPKiSB_iPKfiiiSD_SD_iiiii, .Lfunc_end10-_ZN4vllm25paged_attention_v2_kernelIffLi120ELi8ELi128ELNS_18Fp8KVCacheDataTypeE0ELb1ELi512EEEvPfS2_PT_PKS3_PKT0_S9_ifPKiSB_iPKfiiiSD_SD_iiiii
                                        ; -- End function
	.section	.AMDGPU.csdata,"",@progbits
; Kernel info:
; codeLenInByte = 6956
; NumSgprs: 48
; NumVgprs: 61
; ScratchSize: 0
; MemoryBound: 0
; FloatMode: 240
; IeeeMode: 1
; LDSByteSize: 512 bytes/workgroup (compile time only)
; SGPRBlocks: 5
; VGPRBlocks: 7
; NumSGPRsForWavesPerEU: 48
; NumVGPRsForWavesPerEU: 61
; Occupancy: 16
; WaveLimiterHint : 1
; COMPUTE_PGM_RSRC2:SCRATCH_EN: 0
; COMPUTE_PGM_RSRC2:USER_SGPR: 13
; COMPUTE_PGM_RSRC2:TRAP_HANDLER: 0
; COMPUTE_PGM_RSRC2:TGID_X_EN: 1
; COMPUTE_PGM_RSRC2:TGID_Y_EN: 1
; COMPUTE_PGM_RSRC2:TGID_Z_EN: 1
; COMPUTE_PGM_RSRC2:TIDIG_COMP_CNT: 0
	.section	.text._ZN4vllm32paged_attention_v2_reduce_kernelIfLi120ELi128ELi512EEEvPT_PKfS4_PKS1_PKii,"axG",@progbits,_ZN4vllm32paged_attention_v2_reduce_kernelIfLi120ELi128ELi512EEEvPT_PKfS4_PKS1_PKii,comdat
	.protected	_ZN4vllm32paged_attention_v2_reduce_kernelIfLi120ELi128ELi512EEEvPT_PKfS4_PKS1_PKii ; -- Begin function _ZN4vllm32paged_attention_v2_reduce_kernelIfLi120ELi128ELi512EEEvPT_PKfS4_PKS1_PKii
	.globl	_ZN4vllm32paged_attention_v2_reduce_kernelIfLi120ELi128ELi512EEEvPT_PKfS4_PKS1_PKii
	.p2align	8
	.type	_ZN4vllm32paged_attention_v2_reduce_kernelIfLi120ELi128ELi512EEEvPT_PKfS4_PKS1_PKii,@function
_ZN4vllm32paged_attention_v2_reduce_kernelIfLi120ELi128ELi512EEEvPT_PKfS4_PKS1_PKii: ; @_ZN4vllm32paged_attention_v2_reduce_kernelIfLi120ELi128ELi512EEEvPT_PKfS4_PKS1_PKii
; %bb.0:
	s_load_b128 s[4:7], s[0:1], 0x18
	s_add_u32 s8, s0, 48
	s_mov_b32 s10, s15
	s_addc_u32 s9, s1, 0
	s_ashr_i32 s11, s15, 31
	s_delay_alu instid0(SALU_CYCLE_1)
	s_lshl_b64 s[2:3], s[10:11], 2
	s_waitcnt lgkmcnt(0)
	s_add_u32 s2, s6, s2
	s_addc_u32 s3, s7, s3
	s_load_b32 s20, s[2:3], 0x0
	s_clause 0x2
	s_load_b64 s[6:7], s[0:1], 0x0
	s_load_b32 s11, s[0:1], 0x28
	s_load_b32 s15, s[0:1], 0x30
	s_waitcnt lgkmcnt(0)
	s_add_i32 s2, s20, -1
	s_delay_alu instid0(SALU_CYCLE_1)
	s_cmpk_gt_u32 s2, 0x1ff
	s_mov_b32 s2, -1
	s_cbranch_scc0 .LBB11_26
; %bb.1:
	s_load_b64 s[2:3], s[0:1], 0x8
	s_add_i32 s12, s20, 0x1ff
	s_mul_i32 s18, s15, s10
	s_ashr_i32 s13, s12, 31
	v_mov_b32_e32 v3, 0xff7fffff
	s_lshr_b32 s13, s13, 23
	s_mul_i32 s16, s14, s11
	s_add_i32 s12, s12, s13
	s_ashr_i32 s17, s16, 31
	s_ashr_i32 s19, s12, 9
	s_mul_i32 s12, s18, s11
	v_cmp_gt_i32_e32 vcc_lo, s19, v0
	s_ashr_i32 s13, s12, 31
	s_and_saveexec_b32 s21, vcc_lo
	s_cbranch_execz .LBB11_5
; %bb.2:
	s_load_b32 s28, s[8:9], 0xc
	s_load_b64 s[22:23], s[0:1], 0x10
	s_lshl_b64 s[24:25], s[12:13], 2
	s_lshl_b64 s[26:27], s[16:17], 2
	v_lshlrev_b32_e32 v1, 2, v0
	v_mov_b32_e32 v3, 0xff7fffff
	s_delay_alu instid0(VALU_DEP_2)
	v_dual_mov_b32 v5, v0 :: v_dual_add_nc_u32 v4, 32, v1
	s_waitcnt lgkmcnt(0)
	s_and_b32 s1, s28, 0xffff
	s_add_u32 s0, s24, s26
	s_addc_u32 s24, s25, s27
	s_add_u32 s0, s22, s0
	s_addc_u32 s22, s23, s24
	v_add_co_u32 v1, s0, s0, v1
	s_delay_alu instid0(VALU_DEP_1)
	v_add_co_ci_u32_e64 v2, null, s22, 0, s0
	s_mov_b32 s22, 0
	s_lshl_b32 s23, s1, 2
	.p2align	6
.LBB11_3:                               ; =>This Inner Loop Header: Depth=1
	global_load_b32 v6, v[1:2], off
	v_add_nc_u32_e32 v5, s1, v5
	v_max_f32_e32 v3, v3, v3
	v_add_co_u32 v1, s0, v1, s23
	s_delay_alu instid0(VALU_DEP_1) | instskip(NEXT) | instid1(VALU_DEP_4)
	v_add_co_ci_u32_e64 v2, s0, 0, v2, s0
	v_cmp_le_i32_e64 s0, s19, v5
	s_delay_alu instid0(VALU_DEP_1)
	s_or_b32 s22, s0, s22
	s_waitcnt vmcnt(0)
	v_max_f32_e32 v7, v6, v6
	ds_store_b32 v4, v6
	v_dual_max_f32 v3, v3, v7 :: v_dual_add_nc_u32 v4, s23, v4
	s_and_not1_b32 exec_lo, exec_lo, s22
	s_cbranch_execnz .LBB11_3
; %bb.4:
	s_or_b32 exec_lo, exec_lo, s22
.LBB11_5:
	s_delay_alu instid0(SALU_CYCLE_1)
	s_or_b32 exec_lo, exec_lo, s21
	v_mbcnt_lo_u32_b32 v1, -1, 0
	s_waitcnt lgkmcnt(0)
	s_barrier
	buffer_gl0_inv
	v_xor_b32_e32 v2, 16, v1
	v_xor_b32_e32 v4, 8, v1
	s_delay_alu instid0(VALU_DEP_2) | instskip(NEXT) | instid1(VALU_DEP_1)
	v_cmp_gt_i32_e64 s0, 32, v2
	v_cndmask_b32_e64 v2, v1, v2, s0
	s_delay_alu instid0(VALU_DEP_3) | instskip(NEXT) | instid1(VALU_DEP_2)
	v_cmp_gt_i32_e64 s0, 32, v4
	v_lshlrev_b32_e32 v5, 2, v2
	s_delay_alu instid0(VALU_DEP_2) | instskip(SKIP_4) | instid1(VALU_DEP_2)
	v_cndmask_b32_e64 v4, v1, v4, s0
	ds_bpermute_b32 v2, v5, v3
	v_lshlrev_b32_e32 v6, 2, v4
	v_xor_b32_e32 v4, 4, v1
	v_max_f32_e32 v3, v3, v3
	v_cmp_gt_i32_e64 s0, 32, v4
	s_delay_alu instid0(VALU_DEP_1) | instskip(NEXT) | instid1(VALU_DEP_1)
	v_cndmask_b32_e64 v4, v1, v4, s0
	v_lshlrev_b32_e32 v7, 2, v4
	v_xor_b32_e32 v4, 2, v1
	s_waitcnt lgkmcnt(0)
	v_max_f32_e32 v2, v2, v2
	s_delay_alu instid0(VALU_DEP_2) | instskip(NEXT) | instid1(VALU_DEP_2)
	v_cmp_gt_i32_e64 s0, 32, v4
	v_max_f32_e32 v2, v3, v2
	s_delay_alu instid0(VALU_DEP_2) | instskip(SKIP_3) | instid1(VALU_DEP_1)
	v_cndmask_b32_e64 v4, v1, v4, s0
	ds_bpermute_b32 v3, v6, v2
	s_waitcnt lgkmcnt(0)
	v_max_f32_e32 v3, v3, v3
	v_max_f32_e32 v2, v2, v3
	ds_bpermute_b32 v3, v7, v2
	s_waitcnt lgkmcnt(0)
	v_dual_max_f32 v8, v3, v3 :: v_dual_lshlrev_b32 v3, 2, v4
	s_delay_alu instid0(VALU_DEP_1) | instskip(SKIP_3) | instid1(VALU_DEP_1)
	v_max_f32_e32 v2, v2, v8
	v_xor_b32_e32 v8, 1, v1
	ds_bpermute_b32 v4, v3, v2
	v_cmp_gt_i32_e64 s0, 32, v8
	v_cndmask_b32_e64 v1, v1, v8, s0
	v_lshrrev_b32_e32 v8, 5, v0
	s_delay_alu instid0(VALU_DEP_1) | instskip(SKIP_2) | instid1(VALU_DEP_1)
	v_lshlrev_b32_e32 v8, 2, v8
	s_waitcnt lgkmcnt(0)
	v_max_f32_e32 v4, v4, v4
	v_max_f32_e32 v2, v2, v4
	v_lshlrev_b32_e32 v4, 2, v1
	v_and_b32_e32 v1, 31, v0
	ds_bpermute_b32 v9, v4, v2
	v_cmp_eq_u32_e64 s0, 0, v1
	s_delay_alu instid0(VALU_DEP_1)
	s_and_saveexec_b32 s1, s0
	s_cbranch_execz .LBB11_7
; %bb.6:
	s_waitcnt lgkmcnt(0)
	v_dual_max_f32 v9, v9, v9 :: v_dual_max_f32 v2, v2, v2
	s_delay_alu instid0(VALU_DEP_1)
	v_max_f32_e32 v2, v2, v9
	ds_store_b32 v8, v2
.LBB11_7:
	s_or_b32 exec_lo, exec_lo, s1
	v_cmp_gt_u32_e64 s1, 4, v1
	s_waitcnt lgkmcnt(0)
	v_dual_mov_b32 v2, 0xff7fffff :: v_dual_lshlrev_b32 v9, 2, v1
	s_barrier
	buffer_gl0_inv
	s_and_saveexec_b32 s21, s1
	s_cbranch_execz .LBB11_9
; %bb.8:
	ds_load_b32 v2, v9
.LBB11_9:
	s_or_b32 exec_lo, exec_lo, s21
	s_waitcnt lgkmcnt(0)
	ds_bpermute_b32 v1, v3, v2
	v_max_f32_e32 v2, v2, v2
	s_lshl_b32 s21, s19, 2
	v_mov_b32_e32 v11, 0
	s_waitcnt lgkmcnt(0)
	v_max_f32_e32 v1, v1, v1
	s_delay_alu instid0(VALU_DEP_1) | instskip(SKIP_3) | instid1(VALU_DEP_1)
	v_max_f32_e32 v1, v2, v1
	ds_bpermute_b32 v2, v4, v1
	s_waitcnt lgkmcnt(0)
	v_max_f32_e32 v2, v2, v2
	v_max_f32_e32 v1, v1, v2
	ds_bpermute_b32 v10, v11, v1
	s_and_saveexec_b32 s22, vcc_lo
	s_cbranch_execz .LBB11_13
; %bb.10:
	s_load_b32 s23, s[8:9], 0xc
	s_lshl_b64 s[24:25], s[12:13], 2
	s_lshl_b64 s[26:27], s[16:17], 2
	v_lshlrev_b32_e32 v1, 2, v0
	v_mov_b32_e32 v11, 0
	s_delay_alu instid0(VALU_DEP_2)
	v_dual_mov_b32 v13, v0 :: v_dual_add_nc_u32 v12, 32, v1
	s_waitcnt lgkmcnt(0)
	s_and_b32 s13, s23, 0xffff
	s_add_u32 s17, s24, s26
	s_addc_u32 s23, s25, s27
	s_add_u32 s2, s2, s17
	s_addc_u32 s3, s3, s23
	v_add_co_u32 v1, s2, s2, v1
	s_delay_alu instid0(VALU_DEP_1)
	v_add_co_ci_u32_e64 v2, null, s3, 0, s2
	s_mov_b32 s3, 0
	s_lshl_b32 s17, s13, 2
	s_set_inst_prefetch_distance 0x1
	.p2align	6
.LBB11_11:                              ; =>This Inner Loop Header: Depth=1
	global_load_b32 v14, v[1:2], off
	ds_load_b32 v15, v12
	v_add_nc_u32_e32 v13, s13, v13
	s_waitcnt lgkmcnt(0)
	v_sub_f32_e32 v15, v15, v10
	s_delay_alu instid0(VALU_DEP_1) | instskip(NEXT) | instid1(VALU_DEP_1)
	v_mul_f32_e32 v16, 0x3fb8aa3b, v15
	v_fma_f32 v17, 0x3fb8aa3b, v15, -v16
	v_rndne_f32_e32 v18, v16
	s_delay_alu instid0(VALU_DEP_1) | instskip(NEXT) | instid1(VALU_DEP_1)
	v_dual_fmac_f32 v17, 0x32a5705f, v15 :: v_dual_sub_f32 v16, v16, v18
	v_add_f32_e32 v16, v16, v17
	v_cvt_i32_f32_e32 v17, v18
	v_cmp_ngt_f32_e32 vcc_lo, 0xc2ce8ed0, v15
	v_cmp_nlt_f32_e64 s2, 0x42b17218, v15
	s_delay_alu instid0(VALU_DEP_4) | instskip(SKIP_3) | instid1(VALU_DEP_2)
	v_exp_f32_e32 v16, v16
	s_waitcnt_depctr 0xfff
	v_ldexp_f32 v16, v16, v17
	v_add_nc_u32_e32 v17, s21, v12
	v_cndmask_b32_e32 v16, 0, v16, vcc_lo
	v_add_co_u32 v1, vcc_lo, v1, s17
	v_add_co_ci_u32_e32 v2, vcc_lo, 0, v2, vcc_lo
	s_delay_alu instid0(VALU_DEP_3)
	v_cndmask_b32_e64 v15, 0x7f800000, v16, s2
	v_cmp_le_i32_e32 vcc_lo, s19, v13
	v_add_nc_u32_e32 v12, s17, v12
	s_or_b32 s3, vcc_lo, s3
	s_waitcnt vmcnt(0)
	v_fmac_f32_e32 v11, v14, v15
	v_mul_f32_e32 v16, v14, v15
	ds_store_b32 v17, v16
	s_and_not1_b32 exec_lo, exec_lo, s3
	s_cbranch_execnz .LBB11_11
; %bb.12:
	s_set_inst_prefetch_distance 0x2
	s_or_b32 exec_lo, exec_lo, s3
.LBB11_13:
	s_delay_alu instid0(SALU_CYCLE_1)
	s_or_b32 exec_lo, exec_lo, s22
	ds_bpermute_b32 v1, v5, v11
	s_waitcnt lgkmcnt(0)
	s_barrier
	buffer_gl0_inv
	v_add_f32_e32 v1, v11, v1
	ds_bpermute_b32 v2, v6, v1
	s_waitcnt lgkmcnt(0)
	v_add_f32_e32 v1, v1, v2
	ds_bpermute_b32 v2, v7, v1
	s_waitcnt lgkmcnt(0)
	;; [unrolled: 3-line block ×4, first 2 shown]
	v_add_f32_e32 v1, v1, v2
	s_and_saveexec_b32 s2, s0
	s_cbranch_execz .LBB11_15
; %bb.14:
	ds_store_b32 v8, v1 offset:16
.LBB11_15:
	s_or_b32 exec_lo, exec_lo, s2
	s_waitcnt lgkmcnt(0)
	s_barrier
	buffer_gl0_inv
	s_and_saveexec_b32 s0, s1
	s_cbranch_execz .LBB11_17
; %bb.16:
	ds_load_b32 v1, v9 offset:16
.LBB11_17:
	s_or_b32 exec_lo, exec_lo, s0
	s_waitcnt lgkmcnt(0)
	ds_bpermute_b32 v2, v3, v1
	s_mov_b32 s0, exec_lo
	s_waitcnt lgkmcnt(0)
	v_add_f32_e32 v1, v1, v2
	ds_bpermute_b32 v2, v4, v1
	s_waitcnt lgkmcnt(0)
	v_dual_add_f32 v1, v1, v2 :: v_dual_mov_b32 v2, 0
	ds_bpermute_b32 v2, v2, v1
	v_cmpx_gt_u32_e32 0x78, v0
	s_cbranch_execz .LBB11_25
; %bb.18:
	s_cmp_gt_i32 s20, 0
	s_mov_b32 s1, 0
	s_cbranch_scc1 .LBB11_20
; %bb.19:
	v_mov_b32_e32 v1, 0
	s_branch .LBB11_21
.LBB11_20:
	s_mov_b32 s1, -1
.LBB11_21:
	s_delay_alu instid0(SALU_CYCLE_1) | instskip(SKIP_1) | instid1(VALU_DEP_2)
	v_cndmask_b32_e64 v3, 0, 1, s1
	v_mov_b32_e32 v4, s1
	v_cmp_ne_u32_e32 vcc_lo, 1, v3
	s_cbranch_vccnz .LBB11_24
; %bb.22:
	s_waitcnt lgkmcnt(0)
	v_add_f32_e32 v4, 0x358637bd, v2
	s_mulk_i32 s12, 0x78
	s_mulk_i32 s16, 0x78
	s_ashr_i32 s13, s12, 31
	s_ashr_i32 s17, s16, 31
	v_div_scale_f32 v2, null, v4, v4, 1.0
	s_lshl_b64 s[12:13], s[12:13], 2
	s_lshl_b64 s[16:17], s[16:17], 2
	s_max_i32 s1, s19, 1
	s_delay_alu instid0(VALU_DEP_1)
	v_rcp_f32_e32 v3, v2
	s_add_i32 s2, s21, 32
	s_add_u32 s3, s12, s16
	s_addc_u32 s12, s13, s17
	s_add_u32 s3, s4, s3
	s_addc_u32 s12, s5, s12
	s_waitcnt_depctr 0xfff
	v_fma_f32 v1, -v2, v3, 1.0
	s_delay_alu instid0(VALU_DEP_1) | instskip(SKIP_1) | instid1(VALU_DEP_1)
	v_fmac_f32_e32 v3, v1, v3
	v_div_scale_f32 v5, vcc_lo, 1.0, v4, 1.0
	v_dual_mov_b32 v1, 0 :: v_dual_mul_f32 v6, v5, v3
	s_delay_alu instid0(VALU_DEP_1) | instskip(NEXT) | instid1(VALU_DEP_1)
	v_fma_f32 v7, -v2, v6, v5
	v_dual_fmac_f32 v6, v7, v3 :: v_dual_lshlrev_b32 v7, 2, v0
	s_delay_alu instid0(VALU_DEP_1) | instskip(NEXT) | instid1(VALU_DEP_1)
	v_fma_f32 v2, -v2, v6, v5
	v_div_fmas_f32 v5, v2, v3, v6
	s_delay_alu instid0(VALU_DEP_3) | instskip(NEXT) | instid1(VALU_DEP_1)
	v_add_co_u32 v2, s3, s3, v7
	v_add_co_ci_u32_e64 v3, null, s12, 0, s3
	s_delay_alu instid0(VALU_DEP_3)
	v_div_fixup_f32 v5, v5, v4, 1.0
	v_mov_b32_e32 v4, v1
.LBB11_23:                              ; =>This Inner Loop Header: Depth=1
	global_load_b32 v6, v[2:3], off
	v_mov_b32_e32 v7, s2
	v_add_co_u32 v2, vcc_lo, 0x1e0, v2
	v_add_co_ci_u32_e32 v3, vcc_lo, 0, v3, vcc_lo
	ds_load_b32 v7, v7
	s_add_i32 s1, s1, -1
	s_add_i32 s2, s2, 4
	s_cmp_eq_u32 s1, 0
	s_waitcnt vmcnt(0) lgkmcnt(0)
	v_mul_f32_e32 v6, v6, v7
	s_delay_alu instid0(VALU_DEP_1)
	v_fmac_f32_e32 v4, v5, v6
	s_cbranch_scc0 .LBB11_23
.LBB11_24:
	s_mul_i32 s2, s18, 0x78
	s_mul_i32 s12, s14, 0x78
	s_ashr_i32 s3, s2, 31
	s_waitcnt lgkmcnt(0)
	v_lshlrev_b64 v[1:2], 2, v[0:1]
	s_lshl_b64 s[2:3], s[2:3], 2
	s_delay_alu instid0(SALU_CYCLE_1) | instskip(SKIP_2) | instid1(SALU_CYCLE_1)
	s_add_u32 s1, s6, s2
	s_addc_u32 s16, s7, s3
	s_ashr_i32 s13, s12, 31
	s_lshl_b64 s[2:3], s[12:13], 2
	s_delay_alu instid0(SALU_CYCLE_1)
	s_add_u32 s1, s1, s2
	s_addc_u32 s2, s16, s3
	v_add_co_u32 v1, vcc_lo, s1, v1
	v_add_co_ci_u32_e32 v2, vcc_lo, s2, v2, vcc_lo
	global_store_b32 v[1:2], v4, off
.LBB11_25:
	s_or_b32 exec_lo, exec_lo, s0
	s_mov_b32 s2, 0
.LBB11_26:
	s_delay_alu instid0(SALU_CYCLE_1)
	s_and_b32 vcc_lo, exec_lo, s2
	s_cbranch_vccz .LBB11_30
; %bb.27:
	s_mov_b32 s0, exec_lo
	v_cmpx_gt_u32_e32 0x78, v0
	s_cbranch_execz .LBB11_30
; %bb.28:
	s_mul_i32 s0, s15, s10
	s_load_b32 s10, s[8:9], 0xc
	s_mulk_i32 s0, 0x78
	s_mul_i32 s12, s14, 0x78
	s_ashr_i32 s1, s0, 31
	s_mul_i32 s8, s12, s11
	s_lshl_b64 s[2:3], s[0:1], 2
	s_waitcnt lgkmcnt(0)
	v_dual_mov_b32 v2, 0 :: v_dual_lshlrev_b32 v1, 2, v0
	s_add_u32 s1, s6, s2
	s_addc_u32 s7, s7, s3
	s_ashr_i32 s13, s12, 31
	s_mul_i32 s6, s0, s11
	s_lshl_b64 s[2:3], s[12:13], 2
	s_delay_alu instid0(SALU_CYCLE_1) | instskip(SKIP_2) | instid1(SALU_CYCLE_1)
	s_add_u32 s1, s1, s2
	s_addc_u32 s2, s7, s3
	s_ashr_i32 s7, s6, 31
	s_lshl_b64 s[6:7], s[6:7], 2
	s_delay_alu instid0(SALU_CYCLE_1) | instskip(SKIP_2) | instid1(SALU_CYCLE_1)
	s_add_u32 s0, s4, s6
	s_addc_u32 s6, s5, s7
	s_ashr_i32 s9, s8, 31
	s_lshl_b64 s[4:5], s[8:9], 2
	s_delay_alu instid0(SALU_CYCLE_1)
	s_add_u32 s3, s0, s4
	s_addc_u32 s4, s6, s5
	s_and_b32 s5, s10, 0xffff
	s_mov_b32 s6, 0
	s_lshl_b32 s7, s5, 2
	.p2align	6
.LBB11_29:                              ; =>This Inner Loop Header: Depth=1
	v_add_co_u32 v3, vcc_lo, s3, v1
	v_add_co_ci_u32_e32 v4, vcc_lo, s4, v2, vcc_lo
	v_add_nc_u32_e32 v0, s5, v0
	global_load_b32 v5, v[3:4], off
	v_add_co_u32 v3, vcc_lo, s1, v1
	v_add_co_ci_u32_e32 v4, vcc_lo, s2, v2, vcc_lo
	v_cmp_lt_u32_e32 vcc_lo, 0x77, v0
	v_add_co_u32 v1, s0, v1, s7
	s_delay_alu instid0(VALU_DEP_1)
	v_add_co_ci_u32_e64 v2, s0, 0, v2, s0
	s_or_b32 s6, vcc_lo, s6
	s_waitcnt vmcnt(0)
	global_store_b32 v[3:4], v5, off
	s_and_not1_b32 exec_lo, exec_lo, s6
	s_cbranch_execnz .LBB11_29
.LBB11_30:
	s_nop 0
	s_sendmsg sendmsg(MSG_DEALLOC_VGPRS)
	s_endpgm
	.section	.rodata,"a",@progbits
	.p2align	6, 0x0
	.amdhsa_kernel _ZN4vllm32paged_attention_v2_reduce_kernelIfLi120ELi128ELi512EEEvPT_PKfS4_PKS1_PKii
		.amdhsa_group_segment_fixed_size 32
		.amdhsa_private_segment_fixed_size 0
		.amdhsa_kernarg_size 304
		.amdhsa_user_sgpr_count 14
		.amdhsa_user_sgpr_dispatch_ptr 0
		.amdhsa_user_sgpr_queue_ptr 0
		.amdhsa_user_sgpr_kernarg_segment_ptr 1
		.amdhsa_user_sgpr_dispatch_id 0
		.amdhsa_user_sgpr_private_segment_size 0
		.amdhsa_wavefront_size32 1
		.amdhsa_uses_dynamic_stack 0
		.amdhsa_enable_private_segment 0
		.amdhsa_system_sgpr_workgroup_id_x 1
		.amdhsa_system_sgpr_workgroup_id_y 1
		.amdhsa_system_sgpr_workgroup_id_z 0
		.amdhsa_system_sgpr_workgroup_info 0
		.amdhsa_system_vgpr_workitem_id 0
		.amdhsa_next_free_vgpr 19
		.amdhsa_next_free_sgpr 29
		.amdhsa_reserve_vcc 1
		.amdhsa_float_round_mode_32 0
		.amdhsa_float_round_mode_16_64 0
		.amdhsa_float_denorm_mode_32 3
		.amdhsa_float_denorm_mode_16_64 3
		.amdhsa_dx10_clamp 1
		.amdhsa_ieee_mode 1
		.amdhsa_fp16_overflow 0
		.amdhsa_workgroup_processor_mode 1
		.amdhsa_memory_ordered 1
		.amdhsa_forward_progress 0
		.amdhsa_shared_vgpr_count 0
		.amdhsa_exception_fp_ieee_invalid_op 0
		.amdhsa_exception_fp_denorm_src 0
		.amdhsa_exception_fp_ieee_div_zero 0
		.amdhsa_exception_fp_ieee_overflow 0
		.amdhsa_exception_fp_ieee_underflow 0
		.amdhsa_exception_fp_ieee_inexact 0
		.amdhsa_exception_int_div_zero 0
	.end_amdhsa_kernel
	.section	.text._ZN4vllm32paged_attention_v2_reduce_kernelIfLi120ELi128ELi512EEEvPT_PKfS4_PKS1_PKii,"axG",@progbits,_ZN4vllm32paged_attention_v2_reduce_kernelIfLi120ELi128ELi512EEEvPT_PKfS4_PKS1_PKii,comdat
.Lfunc_end11:
	.size	_ZN4vllm32paged_attention_v2_reduce_kernelIfLi120ELi128ELi512EEEvPT_PKfS4_PKS1_PKii, .Lfunc_end11-_ZN4vllm32paged_attention_v2_reduce_kernelIfLi120ELi128ELi512EEEvPT_PKfS4_PKS1_PKii
                                        ; -- End function
	.section	.AMDGPU.csdata,"",@progbits
; Kernel info:
; codeLenInByte = 2024
; NumSgprs: 31
; NumVgprs: 19
; ScratchSize: 0
; MemoryBound: 0
; FloatMode: 240
; IeeeMode: 1
; LDSByteSize: 32 bytes/workgroup (compile time only)
; SGPRBlocks: 3
; VGPRBlocks: 2
; NumSGPRsForWavesPerEU: 31
; NumVGPRsForWavesPerEU: 19
; Occupancy: 16
; WaveLimiterHint : 0
; COMPUTE_PGM_RSRC2:SCRATCH_EN: 0
; COMPUTE_PGM_RSRC2:USER_SGPR: 14
; COMPUTE_PGM_RSRC2:TRAP_HANDLER: 0
; COMPUTE_PGM_RSRC2:TGID_X_EN: 1
; COMPUTE_PGM_RSRC2:TGID_Y_EN: 1
; COMPUTE_PGM_RSRC2:TGID_Z_EN: 0
; COMPUTE_PGM_RSRC2:TIDIG_COMP_CNT: 0
	.section	.text._ZN4vllm25paged_attention_v2_kernelIffLi128ELi8ELi128ELNS_18Fp8KVCacheDataTypeE0ELb1ELi512EEEvPfS2_PT_PKS3_PKT0_S9_ifPKiSB_iPKfiiiSD_SD_iiiii,"axG",@progbits,_ZN4vllm25paged_attention_v2_kernelIffLi128ELi8ELi128ELNS_18Fp8KVCacheDataTypeE0ELb1ELi512EEEvPfS2_PT_PKS3_PKT0_S9_ifPKiSB_iPKfiiiSD_SD_iiiii,comdat
	.protected	_ZN4vllm25paged_attention_v2_kernelIffLi128ELi8ELi128ELNS_18Fp8KVCacheDataTypeE0ELb1ELi512EEEvPfS2_PT_PKS3_PKT0_S9_ifPKiSB_iPKfiiiSD_SD_iiiii ; -- Begin function _ZN4vllm25paged_attention_v2_kernelIffLi128ELi8ELi128ELNS_18Fp8KVCacheDataTypeE0ELb1ELi512EEEvPfS2_PT_PKS3_PKT0_S9_ifPKiSB_iPKfiiiSD_SD_iiiii
	.globl	_ZN4vllm25paged_attention_v2_kernelIffLi128ELi8ELi128ELNS_18Fp8KVCacheDataTypeE0ELb1ELi512EEEvPfS2_PT_PKS3_PKT0_S9_ifPKiSB_iPKfiiiSD_SD_iiiii
	.p2align	8
	.type	_ZN4vllm25paged_attention_v2_kernelIffLi128ELi8ELi128ELNS_18Fp8KVCacheDataTypeE0ELb1ELi512EEEvPfS2_PT_PKS3_PKT0_S9_ifPKiSB_iPKfiiiSD_SD_iiiii,@function
_ZN4vllm25paged_attention_v2_kernelIffLi128ELi8ELi128ELNS_18Fp8KVCacheDataTypeE0ELb1ELi512EEEvPfS2_PT_PKS3_PKT0_S9_ifPKiSB_iPKfiiiSD_SD_iiiii: ; @_ZN4vllm25paged_attention_v2_kernelIffLi128ELi8ELi128ELNS_18Fp8KVCacheDataTypeE0ELb1ELi512EEEvPfS2_PT_PKS3_PKT0_S9_ifPKiSB_iPKfiiiSD_SD_iiiii
; %bb.0:
	s_load_b64 s[2:3], s[0:1], 0x40
	s_mov_b32 s12, s15
	s_ashr_i32 s15, s14, 31
	s_delay_alu instid0(SALU_CYCLE_1)
	s_lshl_b64 s[4:5], s[14:15], 2
	s_waitcnt lgkmcnt(0)
	s_add_u32 s2, s2, s4
	s_addc_u32 s3, s3, s5
	s_lshl_b32 s38, s12, 9
	s_load_b32 s15, s[2:3], 0x0
	s_waitcnt lgkmcnt(0)
	s_cmp_ge_i32 s38, s15
	s_cbranch_scc1 .LBB12_86
; %bb.1:
	s_mov_b32 s24, s13
	s_clause 0x1
	s_load_b32 s13, s[0:1], 0x90
	s_load_b64 s[36:37], s[0:1], 0x30
	s_mov_b32 s40, 0
	s_waitcnt lgkmcnt(0)
	s_abs_i32 s5, s13
	s_abs_i32 s2, s36
	s_delay_alu instid0(SALU_CYCLE_1) | instskip(SKIP_1) | instid1(VALU_DEP_1)
	v_cvt_f32_u32_e32 v1, s2
	s_sub_i32 s4, 0, s2
	v_rcp_iflag_f32_e32 v1, v1
	s_waitcnt_depctr 0xfff
	v_mul_f32_e32 v1, 0x4f7ffffe, v1
	s_delay_alu instid0(VALU_DEP_1) | instskip(NEXT) | instid1(VALU_DEP_1)
	v_cvt_u32_f32_e32 v1, v1
	v_readfirstlane_b32 s3, v1
	s_delay_alu instid0(VALU_DEP_1) | instskip(NEXT) | instid1(SALU_CYCLE_1)
	s_mul_i32 s4, s4, s3
	s_mul_hi_u32 s4, s3, s4
	s_delay_alu instid0(SALU_CYCLE_1) | instskip(SKIP_4) | instid1(SALU_CYCLE_1)
	s_add_i32 s3, s3, s4
	s_xor_b32 s4, s13, s36
	s_mul_hi_u32 s3, s5, s3
	s_ashr_i32 s4, s4, 31
	s_mul_i32 s6, s3, s2
	s_sub_i32 s5, s5, s6
	s_add_i32 s6, s3, 1
	s_sub_i32 s7, s5, s2
	s_cmp_ge_u32 s5, s2
	s_cselect_b32 s3, s6, s3
	s_cselect_b32 s5, s7, s5
	s_add_i32 s6, s3, 1
	s_cmp_ge_u32 s5, s2
	s_cselect_b32 s2, s6, s3
	s_abs_i32 s17, s24
	s_xor_b32 s2, s2, s4
	s_delay_alu instid0(SALU_CYCLE_1) | instskip(SKIP_2) | instid1(SALU_CYCLE_1)
	s_sub_i32 s8, s2, s4
	s_load_b64 s[2:3], s[0:1], 0x50
	s_abs_i32 s16, s8
	v_cvt_f32_u32_e32 v1, s16
	s_sub_i32 s5, 0, s16
	s_delay_alu instid0(VALU_DEP_1) | instskip(SKIP_2) | instid1(VALU_DEP_1)
	v_rcp_iflag_f32_e32 v1, v1
	s_waitcnt_depctr 0xfff
	v_mul_f32_e32 v1, 0x4f7ffffe, v1
	v_cvt_u32_f32_e32 v1, v1
	s_delay_alu instid0(VALU_DEP_1) | instskip(NEXT) | instid1(VALU_DEP_1)
	v_readfirstlane_b32 s4, v1
	s_mul_i32 s5, s5, s4
	s_delay_alu instid0(SALU_CYCLE_1) | instskip(NEXT) | instid1(SALU_CYCLE_1)
	s_mul_hi_u32 s5, s4, s5
	s_add_i32 s4, s4, s5
	s_waitcnt lgkmcnt(0)
	s_cmp_eq_u64 s[2:3], 0
	s_mul_hi_u32 s18, s17, s4
	s_cbranch_scc1 .LBB12_3
; %bb.2:
	s_ashr_i32 s25, s24, 31
	s_delay_alu instid0(SALU_CYCLE_1) | instskip(NEXT) | instid1(SALU_CYCLE_1)
	s_lshl_b64 s[4:5], s[24:25], 2
	s_add_u32 s2, s2, s4
	s_addc_u32 s3, s3, s5
	s_load_b32 s40, s[2:3], 0x0
.LBB12_3:
	s_load_b128 s[4:7], s[0:1], 0x58
	v_and_b32_e32 v1, 3, v0
	v_lshlrev_b32_e32 v3, 2, v0
	s_ashr_i32 s2, s24, 31
	s_ashr_i32 s3, s8, 31
	s_lshl_b32 s20, s24, 7
	s_waitcnt lgkmcnt(0)
	s_mov_b32 s7, exec_lo
	v_cmpx_gt_u32_e32 0x80, v0
	s_cbranch_execz .LBB12_5
; %bb.4:
	s_load_b64 s[8:9], s[0:1], 0x18
	s_mul_i32 s10, s14, s4
	v_and_b32_e32 v4, 0x3fc, v0
	s_ashr_i32 s11, s10, 31
	s_delay_alu instid0(SALU_CYCLE_1) | instskip(NEXT) | instid1(VALU_DEP_1)
	s_lshl_b64 s[10:11], s[10:11], 2
	v_lshl_add_u32 v4, v1, 7, v4
	s_waitcnt lgkmcnt(0)
	s_add_u32 s4, s8, s10
	s_addc_u32 s10, s9, s11
	s_ashr_i32 s21, s20, 31
	s_delay_alu instid0(SALU_CYCLE_1) | instskip(NEXT) | instid1(SALU_CYCLE_1)
	s_lshl_b64 s[8:9], s[20:21], 2
	s_add_u32 s8, s4, s8
	s_addc_u32 s9, s10, s9
	global_load_b32 v2, v3, s[8:9]
	s_waitcnt vmcnt(0)
	ds_store_b32 v4, v2
.LBB12_5:
	s_or_b32 exec_lo, exec_lo, s7
	s_load_b128 s[8:11], s[0:1], 0x78
	s_mul_i32 s4, s18, s16
	s_xor_b32 s2, s2, s3
	s_sub_i32 s3, s17, s4
	s_add_i32 s4, s18, 1
	s_sub_i32 s7, s3, s16
	s_cmp_ge_u32 s3, s16
	s_mov_b32 s17, -1
	s_cselect_b32 s4, s4, s18
	s_cselect_b32 s3, s7, s3
	s_add_i32 s7, s4, 1
	s_cmp_ge_u32 s3, s16
	s_waitcnt lgkmcnt(0)
	s_cselect_b32 s3, s7, s4
	s_load_b32 s4, s[0:1], 0x88
	s_xor_b32 s3, s3, s2
	s_add_i32 s16, s15, -1
	s_sub_i32 s3, s3, s2
	s_abs_i32 s7, s16
	s_waitcnt lgkmcnt(0)
	s_barrier
	s_abs_i32 s21, s11
	buffer_gl0_inv
	v_cvt_f32_u32_e32 v2, s21
	s_sub_i32 s2, 0, s21
                                        ; implicit-def: $sgpr33
	s_delay_alu instid0(VALU_DEP_1) | instskip(SKIP_2) | instid1(VALU_DEP_1)
	v_rcp_iflag_f32_e32 v2, v2
	s_waitcnt_depctr 0xfff
	v_mul_f32_e32 v2, 0x4f7ffffe, v2
	v_cvt_u32_f32_e32 v2, v2
	s_delay_alu instid0(VALU_DEP_1) | instskip(NEXT) | instid1(VALU_DEP_1)
	v_readfirstlane_b32 s25, v2
	s_mul_i32 s2, s2, s25
	s_delay_alu instid0(SALU_CYCLE_1) | instskip(NEXT) | instid1(SALU_CYCLE_1)
	s_mul_hi_u32 s2, s25, s2
	s_add_i32 s25, s25, s2
	s_cmp_lt_i32 s4, 0
	s_mul_hi_u32 s2, s7, s25
	s_cbranch_scc0 .LBB12_7
; %bb.6:
	s_mul_i32 s17, s8, s36
	s_delay_alu instid0(SALU_CYCLE_1) | instskip(NEXT) | instid1(SALU_CYCLE_1)
	s_add_i32 s17, s3, s17
	s_mul_i32 s17, s17, s4
	s_delay_alu instid0(SALU_CYCLE_1)
	s_sub_i32 s33, 1, s17
	s_mov_b32 s17, 0
.LBB12_7:
	s_load_b64 s[26:27], s[0:1], 0x38
	s_ashr_i32 s28, s16, 31
	s_and_not1_b32 vcc_lo, exec_lo, s17
	s_ashr_i32 s11, s11, 31
	s_cbranch_vccnz .LBB12_9
; %bb.8:
	s_mul_i32 s8, s13, s8
	s_delay_alu instid0(SALU_CYCLE_1) | instskip(NEXT) | instid1(SALU_CYCLE_1)
	s_add_i32 s8, s8, s24
	s_mul_i32 s4, s8, s4
	s_delay_alu instid0(SALU_CYCLE_1)
	s_add_i32 s33, s4, 1
.LBB12_9:
	s_clause 0x4
	s_load_b32 s8, s[0:1], 0x48
	s_load_b64 s[30:31], s[0:1], 0x28
	s_load_b32 s4, s[0:1], 0x98
	s_load_b128 s[16:19], s[0:1], 0x0
	s_load_b64 s[22:23], s[0:1], 0x10
	s_xor_b32 s34, s28, s11
	s_mul_i32 s28, s2, s21
	s_add_i32 s35, s2, 1
	s_sub_i32 s7, s7, s28
	v_lshrrev_b32_e32 v40, 5, v0
	v_mov_b32_e32 v5, 0xff7fffff
	v_mbcnt_lo_u32_b32 v4, -1, 0
	s_delay_alu instid0(VALU_DEP_3)
	v_lshl_add_u32 v41, v40, 3, s38
	s_waitcnt lgkmcnt(0)
	s_mul_i32 s28, s14, s8
	s_sub_i32 s8, s7, s21
	s_ashr_i32 s29, s28, 31
	s_cmp_ge_u32 s7, s21
	s_cselect_b32 s2, s35, s2
	s_cselect_b32 s7, s8, s7
	s_add_i32 s8, s2, 1
	s_cmp_ge_u32 s7, s21
	s_cselect_b32 s2, s8, s2
	s_add_i32 s8, s15, 7
	s_lshl_b32 s7, s12, 6
	s_ashr_i32 s35, s8, 31
	v_or_b32_e32 v37, s7, v40
	s_lshr_b32 s35, s35, 29
	s_xor_b32 s39, s2, s34
	s_add_i32 s8, s8, s35
	s_add_i32 s35, s7, 64
	s_ashr_i32 s36, s8, 3
	v_ashrrev_i32_e32 v38, 31, v37
	s_min_i32 s8, s35, s36
	s_sub_i32 s39, s39, s34
	v_cmp_gt_i32_e64 s2, s8, v37
	s_mul_i32 s34, s3, s6
	s_delay_alu instid0(VALU_DEP_1)
	s_and_saveexec_b32 s6, s2
	s_cbranch_execz .LBB12_19
; %bb.10:
	s_load_b64 s[0:1], s[0:1], 0x20
	s_ashr_i32 s35, s34, 31
	v_bfe_u32 v6, v0, 2, 3
	s_lshl_b64 s[42:43], s[34:35], 2
	s_sub_i32 s35, s39, s9
	v_cmp_eq_u32_e32 vcc_lo, 0, v1
	v_dual_mov_b32 v9, 0xff7fffff :: v_dual_lshlrev_b32 v14, 2, v1
	v_subrev_nc_u32_e32 v15, s15, v6
	v_lshlrev_b32_e32 v7, 7, v1
	v_lshl_add_u32 v8, v40, 3, s38
	v_xor_b32_e32 v10, 2, v4
	v_xor_b32_e32 v11, 1, v4
	v_lshlrev_b32_e32 v18, 4, v6
	s_waitcnt lgkmcnt(0)
	s_add_u32 s3, s0, s42
	s_addc_u32 s1, s1, s43
	s_abs_i32 s41, s10
	v_cmp_neq_f32_e64 s0, s40, 0
	v_cvt_f32_u32_e32 v2, s41
	s_sub_i32 s42, 0, s41
	s_delay_alu instid0(VALU_DEP_1)
	v_rcp_iflag_f32_e32 v5, v2
	v_lshlrev_b32_e32 v12, 2, v6
	v_lshlrev_b64 v[1:2], 2, v[37:38]
	s_waitcnt_depctr 0xfff
	v_mul_f32_e32 v13, 0x4f7ffffe, v5
	v_lshl_or_b32 v16, v40, 5, v12
	v_dual_mov_b32 v5, 0xff7fffff :: v_dual_add_nc_u32 v12, 1, v15
	s_delay_alu instid0(VALU_DEP_3) | instskip(NEXT) | instid1(VALU_DEP_3)
	v_cvt_u32_f32_e32 v17, v13
	v_add_nc_u32_e32 v13, 0x220, v16
	v_add_co_u32 v16, s3, s3, v18
	s_delay_alu instid0(VALU_DEP_1) | instskip(NEXT) | instid1(VALU_DEP_4)
	v_add_co_ci_u32_e64 v18, null, s1, 0, s3
	v_mul_lo_u32 v15, s42, v17
	s_lshl_b64 s[42:43], s[28:29], 2
	s_delay_alu instid0(SALU_CYCLE_1) | instskip(SKIP_2) | instid1(VALU_DEP_1)
	s_add_u32 s1, s26, s42
	s_addc_u32 s3, s27, s43
	v_add_co_u32 v1, s1, s1, v1
	v_add_co_ci_u32_e64 v2, s1, s3, v2, s1
	s_delay_alu instid0(VALU_DEP_3) | instskip(SKIP_1) | instid1(VALU_DEP_1)
	v_mul_hi_u32 v19, v17, v15
	v_add_co_u32 v14, s1, v16, v14
	v_add_co_ci_u32_e64 v15, s1, 0, v18, s1
	s_mov_b32 s42, 0
	s_mov_b32 s43, s5
	s_delay_alu instid0(VALU_DEP_3)
	v_add_nc_u32_e32 v16, v17, v19
	v_mov_b32_e32 v17, v37
	s_branch .LBB12_13
.LBB12_11:                              ;   in Loop: Header=BB12_13 Depth=1
	s_or_b32 exec_lo, exec_lo, s44
.LBB12_12:                              ;   in Loop: Header=BB12_13 Depth=1
	s_delay_alu instid0(SALU_CYCLE_1) | instskip(SKIP_2) | instid1(VALU_DEP_1)
	s_or_b32 exec_lo, exec_lo, s3
	v_add_nc_u32_e32 v17, 4, v17
	v_add_co_u32 v1, s3, v1, 16
	v_add_co_ci_u32_e64 v2, s3, 0, v2, s3
	s_delay_alu instid0(VALU_DEP_3) | instskip(SKIP_2) | instid1(VALU_DEP_3)
	v_cmp_le_i32_e64 s1, s8, v17
	v_add_nc_u32_e32 v8, 32, v8
	v_add_nc_u32_e32 v13, 0x80, v13
	s_or_b32 s42, s1, s42
	s_delay_alu instid0(SALU_CYCLE_1)
	s_and_not1_b32 exec_lo, exec_lo, s42
	s_cbranch_execz .LBB12_18
.LBB12_13:                              ; =>This Inner Loop Header: Depth=1
	v_sub_nc_u32_e32 v18, 0, v8
	s_delay_alu instid0(VALU_DEP_1) | instskip(SKIP_1) | instid1(VALU_DEP_1)
	v_max_i32_e32 v18, v8, v18
	s_waitcnt lgkmcnt(0)
	v_mul_hi_u32 v19, v18, s25
	s_delay_alu instid0(VALU_DEP_1) | instskip(NEXT) | instid1(VALU_DEP_1)
	v_mul_lo_u32 v20, v19, s21
	v_sub_nc_u32_e32 v18, v18, v20
	v_add_nc_u32_e32 v20, 1, v19
	s_delay_alu instid0(VALU_DEP_2) | instskip(SKIP_1) | instid1(VALU_DEP_1)
	v_subrev_nc_u32_e32 v21, s21, v18
	v_cmp_le_u32_e64 s1, s21, v18
	v_cndmask_b32_e64 v19, v19, v20, s1
	s_delay_alu instid0(VALU_DEP_3) | instskip(SKIP_1) | instid1(VALU_DEP_3)
	v_cndmask_b32_e64 v18, v18, v21, s1
	v_ashrrev_i32_e32 v20, 31, v8
	v_add_nc_u32_e32 v21, 1, v19
	s_delay_alu instid0(VALU_DEP_3) | instskip(NEXT) | instid1(VALU_DEP_3)
	v_cmp_le_u32_e64 s1, s21, v18
	v_xor_b32_e32 v20, s11, v20
	s_delay_alu instid0(VALU_DEP_2) | instskip(NEXT) | instid1(VALU_DEP_1)
	v_cndmask_b32_e64 v18, v19, v21, s1
	v_xor_b32_e32 v18, v18, v20
	s_delay_alu instid0(VALU_DEP_1) | instskip(NEXT) | instid1(VALU_DEP_1)
	v_sub_nc_u32_e32 v18, v18, v20
	v_add_nc_u32_e32 v19, s33, v18
	v_cmp_ge_i32_e64 s3, s35, v18
	s_delay_alu instid0(VALU_DEP_2) | instskip(NEXT) | instid1(VALU_DEP_1)
	v_sub_nc_u32_e32 v20, 0, v19
	v_max_i32_e32 v20, v19, v20
	v_ashrrev_i32_e32 v19, 31, v19
	s_delay_alu instid0(VALU_DEP_2) | instskip(NEXT) | instid1(VALU_DEP_1)
	v_mul_hi_u32 v21, v20, v16
	v_mul_lo_u32 v21, v21, s41
	s_delay_alu instid0(VALU_DEP_1) | instskip(NEXT) | instid1(VALU_DEP_1)
	v_sub_nc_u32_e32 v20, v20, v21
	v_subrev_nc_u32_e32 v21, s41, v20
	v_cmp_le_u32_e64 s1, s41, v20
	s_delay_alu instid0(VALU_DEP_1) | instskip(NEXT) | instid1(VALU_DEP_1)
	v_cndmask_b32_e64 v20, v20, v21, s1
	v_subrev_nc_u32_e32 v21, s41, v20
	v_cmp_le_u32_e64 s1, s41, v20
	s_delay_alu instid0(VALU_DEP_1) | instskip(NEXT) | instid1(VALU_DEP_1)
	v_cndmask_b32_e64 v20, v20, v21, s1
	v_xor_b32_e32 v20, v20, v19
	s_delay_alu instid0(VALU_DEP_1) | instskip(NEXT) | instid1(VALU_DEP_1)
	v_sub_nc_u32_e32 v19, v20, v19
	v_cmp_ne_u32_e64 s1, 0, v19
	s_delay_alu instid0(VALU_DEP_1) | instskip(NEXT) | instid1(SALU_CYCLE_1)
	s_and_b32 s1, s1, s3
	s_and_b32 s44, vcc_lo, s1
	s_delay_alu instid0(SALU_CYCLE_1)
	s_and_saveexec_b32 s3, s44
	s_cbranch_execz .LBB12_15
; %bb.14:                               ;   in Loop: Header=BB12_13 Depth=1
	ds_store_b32 v13, v9
.LBB12_15:                              ;   in Loop: Header=BB12_13 Depth=1
	s_or_b32 exec_lo, exec_lo, s3
	s_xor_b32 s1, s1, -1
	s_delay_alu instid0(SALU_CYCLE_1)
	s_and_saveexec_b32 s3, s1
	s_cbranch_execz .LBB12_12
; %bb.16:                               ;   in Loop: Header=BB12_13 Depth=1
	global_load_b32 v20, v[1:2], off
	s_waitcnt vmcnt(0)
	v_mad_i64_i32 v[18:19], null, v20, s43, 0
	s_delay_alu instid0(VALU_DEP_1) | instskip(NEXT) | instid1(VALU_DEP_1)
	v_lshlrev_b64 v[18:19], 2, v[18:19]
	v_add_co_u32 v18, s1, v14, v18
	s_delay_alu instid0(VALU_DEP_1)
	v_add_co_ci_u32_e64 v19, s1, v15, v19, s1
	v_cmp_gt_i32_e64 s1, 32, v10
	s_clause 0x1f
	global_load_b32 v26, v[18:19], off offset:128
	global_load_b32 v27, v[18:19], off
	global_load_b32 v28, v[18:19], off offset:256
	global_load_b32 v29, v[18:19], off offset:384
	;; [unrolled: 1-line block ×30, first 2 shown]
	ds_load_b128 v[18:21], v7
	ds_load_b128 v[22:25], v7 offset:16
	s_waitcnt vmcnt(31) lgkmcnt(1)
	v_mul_f32_e32 v26, v19, v26
	s_waitcnt vmcnt(30)
	s_delay_alu instid0(VALU_DEP_1) | instskip(SKIP_1) | instid1(VALU_DEP_1)
	v_fmac_f32_e32 v26, v18, v27
	s_waitcnt vmcnt(29)
	v_fmac_f32_e32 v26, v20, v28
	s_waitcnt vmcnt(28)
	s_delay_alu instid0(VALU_DEP_1) | instskip(SKIP_4) | instid1(VALU_DEP_1)
	v_fmac_f32_e32 v26, v21, v29
	ds_load_b128 v[18:21], v7 offset:32
	s_waitcnt vmcnt(27) lgkmcnt(1)
	v_fmac_f32_e32 v26, v22, v30
	s_waitcnt vmcnt(26)
	v_fmac_f32_e32 v26, v23, v31
	s_waitcnt vmcnt(25)
	s_delay_alu instid0(VALU_DEP_1) | instskip(SKIP_1) | instid1(VALU_DEP_1)
	v_fmac_f32_e32 v26, v24, v32
	s_waitcnt vmcnt(24)
	v_fmac_f32_e32 v26, v25, v33
	ds_load_b128 v[22:25], v7 offset:48
	s_waitcnt vmcnt(23) lgkmcnt(1)
	v_fmac_f32_e32 v26, v18, v34
	s_waitcnt vmcnt(22)
	s_delay_alu instid0(VALU_DEP_1) | instskip(SKIP_1) | instid1(VALU_DEP_1)
	v_fmac_f32_e32 v26, v19, v35
	s_waitcnt vmcnt(21)
	v_fmac_f32_e32 v26, v20, v36
	s_waitcnt vmcnt(20)
	s_delay_alu instid0(VALU_DEP_1) | instskip(SKIP_4) | instid1(VALU_DEP_1)
	v_fmac_f32_e32 v26, v21, v39
	ds_load_b128 v[18:21], v7 offset:64
	s_waitcnt vmcnt(19) lgkmcnt(1)
	v_fmac_f32_e32 v26, v22, v42
	s_waitcnt vmcnt(18)
	v_fmac_f32_e32 v26, v23, v43
	s_waitcnt vmcnt(17)
	s_delay_alu instid0(VALU_DEP_1) | instskip(SKIP_1) | instid1(VALU_DEP_1)
	v_fmac_f32_e32 v26, v24, v44
	s_waitcnt vmcnt(16)
	v_fmac_f32_e32 v26, v25, v45
	ds_load_b128 v[22:25], v7 offset:80
	s_waitcnt vmcnt(15) lgkmcnt(1)
	v_fmac_f32_e32 v26, v18, v46
	;; [unrolled: 21-line block ×3, first 2 shown]
	v_cndmask_b32_e64 v18, v4, v10, s1
	v_cmp_gt_i32_e64 s1, 32, v11
	s_waitcnt vmcnt(6)
	s_delay_alu instid0(VALU_DEP_3) | instskip(NEXT) | instid1(VALU_DEP_3)
	v_fmac_f32_e32 v26, v19, v55
	v_lshlrev_b32_e32 v18, 2, v18
	s_delay_alu instid0(VALU_DEP_3) | instskip(SKIP_1) | instid1(VALU_DEP_1)
	v_cndmask_b32_e64 v19, v4, v11, s1
	s_waitcnt vmcnt(5)
	v_dual_fmac_f32 v26, v20, v56 :: v_dual_lshlrev_b32 v19, 2, v19
	s_waitcnt vmcnt(4)
	s_delay_alu instid0(VALU_DEP_1) | instskip(SKIP_1) | instid1(VALU_DEP_1)
	v_fmac_f32_e32 v26, v21, v57
	s_waitcnt vmcnt(3) lgkmcnt(0)
	v_fmac_f32_e32 v26, v22, v58
	s_waitcnt vmcnt(2)
	s_delay_alu instid0(VALU_DEP_1) | instskip(SKIP_1) | instid1(VALU_DEP_1)
	v_fmac_f32_e32 v26, v23, v59
	s_waitcnt vmcnt(1)
	v_fmac_f32_e32 v26, v24, v60
	s_waitcnt vmcnt(0)
	s_delay_alu instid0(VALU_DEP_1)
	v_fmac_f32_e32 v26, v25, v61
	ds_bpermute_b32 v18, v18, v26
	s_waitcnt lgkmcnt(0)
	v_add_f32_e32 v18, v26, v18
	ds_bpermute_b32 v19, v19, v18
	s_and_saveexec_b32 s44, vcc_lo
	s_cbranch_execz .LBB12_11
; %bb.17:                               ;   in Loop: Header=BB12_13 Depth=1
	s_waitcnt lgkmcnt(0)
	v_add_f32_e32 v18, v18, v19
	v_add_nc_u32_e32 v20, v12, v8
	s_delay_alu instid0(VALU_DEP_1) | instskip(NEXT) | instid1(VALU_DEP_1)
	v_cvt_f32_i32_e32 v20, v20
	v_mul_f32_e32 v20, s40, v20
	s_delay_alu instid0(VALU_DEP_1) | instskip(NEXT) | instid1(VALU_DEP_1)
	v_cndmask_b32_e64 v19, 0, v20, s0
	v_dual_max_f32 v20, v5, v5 :: v_dual_fmac_f32 v19, s37, v18
	v_add_nc_u32_e32 v18, v6, v8
	s_delay_alu instid0(VALU_DEP_2) | instskip(NEXT) | instid1(VALU_DEP_2)
	v_max_f32_e32 v20, v20, v19
	v_cmp_gt_i32_e64 s1, s15, v18
	s_delay_alu instid0(VALU_DEP_1) | instskip(NEXT) | instid1(VALU_DEP_3)
	v_cndmask_b32_e64 v18, 0, v19, s1
	v_cndmask_b32_e64 v5, v5, v20, s1
	ds_store_b32 v13, v18
	s_branch .LBB12_11
.LBB12_18:
	s_or_b32 exec_lo, exec_lo, s42
.LBB12_19:
	s_delay_alu instid0(SALU_CYCLE_1) | instskip(SKIP_3) | instid1(VALU_DEP_3)
	s_or_b32 exec_lo, exec_lo, s6
	v_xor_b32_e32 v1, 16, v4
	v_xor_b32_e32 v6, 8, v4
	v_dual_max_f32 v7, v5, v5 :: v_dual_and_b32 v42, 31, v0
	v_cmp_gt_i32_e32 vcc_lo, 32, v1
	v_cndmask_b32_e32 v1, v4, v1, vcc_lo
	s_delay_alu instid0(VALU_DEP_4) | instskip(NEXT) | instid1(VALU_DEP_2)
	v_cmp_gt_i32_e32 vcc_lo, 32, v6
	v_lshlrev_b32_e32 v2, 2, v1
	ds_bpermute_b32 v1, v2, v5
	v_cndmask_b32_e32 v5, v4, v6, vcc_lo
	s_delay_alu instid0(VALU_DEP_1) | instskip(SKIP_2) | instid1(VALU_DEP_1)
	v_lshlrev_b32_e32 v5, 2, v5
	s_waitcnt lgkmcnt(0)
	v_max_f32_e32 v1, v1, v1
	v_max_f32_e32 v1, v7, v1
	v_xor_b32_e32 v7, 4, v4
	ds_bpermute_b32 v6, v5, v1
	v_cmp_gt_i32_e32 vcc_lo, 32, v7
	v_cndmask_b32_e32 v7, v4, v7, vcc_lo
	v_cmp_eq_u32_e32 vcc_lo, 0, v42
	s_delay_alu instid0(VALU_DEP_2) | instskip(SKIP_2) | instid1(VALU_DEP_1)
	v_lshlrev_b32_e32 v8, 2, v7
	s_waitcnt lgkmcnt(0)
	v_max_f32_e32 v6, v6, v6
	v_dual_max_f32 v1, v1, v6 :: v_dual_lshlrev_b32 v6, 2, v40
	ds_bpermute_b32 v7, v8, v1
	s_and_saveexec_b32 s0, vcc_lo
	s_cbranch_execz .LBB12_21
; %bb.20:
	s_waitcnt lgkmcnt(0)
	v_max_f32_e32 v7, v7, v7
	v_max_f32_e32 v1, v1, v1
	s_delay_alu instid0(VALU_DEP_1)
	v_max_f32_e32 v1, v1, v7
	ds_store_b32 v6, v1 offset:512
.LBB12_21:
	s_or_b32 exec_lo, exec_lo, s0
	v_cmp_gt_u32_e64 s0, 4, v42
	v_mov_b32_e32 v1, 0xff7fffff
	s_waitcnt lgkmcnt(0)
	v_lshlrev_b32_e32 v7, 2, v42
	s_barrier
	buffer_gl0_inv
	s_and_saveexec_b32 s1, s0
	s_cbranch_execz .LBB12_23
; %bb.22:
	ds_load_b32 v1, v7 offset:512
.LBB12_23:
	s_or_b32 exec_lo, exec_lo, s1
	v_xor_b32_e32 v9, 2, v4
	v_xor_b32_e32 v11, 1, v4
	s_delay_alu instid0(VALU_DEP_2) | instskip(NEXT) | instid1(VALU_DEP_1)
	v_cmp_gt_i32_e64 s1, 32, v9
	v_cndmask_b32_e64 v9, v4, v9, s1
	s_delay_alu instid0(VALU_DEP_3) | instskip(NEXT) | instid1(VALU_DEP_2)
	v_cmp_gt_i32_e64 s1, 32, v11
	v_lshlrev_b32_e32 v9, 2, v9
	s_delay_alu instid0(VALU_DEP_2) | instskip(SKIP_1) | instid1(SALU_CYCLE_1)
	v_cndmask_b32_e64 v4, v4, v11, s1
	s_sub_i32 s1, s8, s7
	s_lshl_b32 s1, s1, 3
	s_waitcnt lgkmcnt(0)
	ds_bpermute_b32 v10, v9, v1
	v_max_f32_e32 v1, v1, v1
	v_lshlrev_b32_e32 v43, 2, v4
	s_add_i32 s1, s1, s38
	s_delay_alu instid0(SALU_CYCLE_1) | instskip(NEXT) | instid1(SALU_CYCLE_1)
	s_min_i32 s1, s1, s15
	s_sub_i32 s6, s1, s38
	s_delay_alu instid0(SALU_CYCLE_1) | instskip(SKIP_2) | instid1(VALU_DEP_1)
	v_cmp_gt_i32_e64 s1, s6, v0
	s_waitcnt lgkmcnt(0)
	v_max_f32_e32 v10, v10, v10
	v_dual_max_f32 v1, v1, v10 :: v_dual_mov_b32 v10, 0
	ds_bpermute_b32 v4, v43, v1
	s_waitcnt lgkmcnt(0)
	v_max_f32_e32 v4, v4, v4
	s_delay_alu instid0(VALU_DEP_1)
	v_max_f32_e32 v1, v1, v4
	v_lshl_add_u32 v4, v0, 2, 0x220
	ds_bpermute_b32 v1, v10, v1
	s_and_saveexec_b32 s7, s1
	s_cbranch_execz .LBB12_27
; %bb.24:
	v_lshl_add_u32 v11, v0, 2, 0x220
	v_mov_b32_e32 v10, 0
	v_mov_b32_e32 v12, v0
	s_mov_b32 s35, 0
	.p2align	6
.LBB12_25:                              ; =>This Inner Loop Header: Depth=1
	ds_load_b32 v13, v11
	v_add_nc_u32_e32 v12, 0x80, v12
	s_delay_alu instid0(VALU_DEP_1) | instskip(NEXT) | instid1(VALU_DEP_1)
	v_cmp_le_i32_e64 s3, s6, v12
	s_or_b32 s35, s3, s35
	s_waitcnt lgkmcnt(0)
	v_sub_f32_e32 v13, v13, v1
	s_delay_alu instid0(VALU_DEP_1) | instskip(NEXT) | instid1(VALU_DEP_1)
	v_mul_f32_e32 v13, 0x3fb8aa3b, v13
	v_exp_f32_e32 v13, v13
	ds_store_b32 v11, v13
	v_dual_add_f32 v10, v10, v13 :: v_dual_add_nc_u32 v11, 0x200, v11
	s_and_not1_b32 exec_lo, exec_lo, s35
	s_cbranch_execnz .LBB12_25
; %bb.26:
	s_or_b32 exec_lo, exec_lo, s35
.LBB12_27:
	s_delay_alu instid0(SALU_CYCLE_1)
	s_or_b32 exec_lo, exec_lo, s7
	ds_bpermute_b32 v2, v2, v10
	s_waitcnt lgkmcnt(0)
	v_add_f32_e32 v2, v10, v2
	ds_bpermute_b32 v5, v5, v2
	s_waitcnt lgkmcnt(0)
	v_add_f32_e32 v2, v2, v5
	;; [unrolled: 3-line block ×5, first 2 shown]
	s_and_saveexec_b32 s3, vcc_lo
	s_cbranch_execz .LBB12_29
; %bb.28:
	ds_store_b32 v6, v2 offset:528
.LBB12_29:
	s_or_b32 exec_lo, exec_lo, s3
	s_waitcnt lgkmcnt(0)
	s_barrier
	buffer_gl0_inv
	s_and_saveexec_b32 s3, s0
	s_cbranch_execz .LBB12_31
; %bb.30:
	ds_load_b32 v2, v7 offset:528
.LBB12_31:
	s_or_b32 exec_lo, exec_lo, s3
	s_waitcnt lgkmcnt(0)
	ds_bpermute_b32 v5, v9, v2
	s_waitcnt lgkmcnt(0)
	v_add_f32_e32 v2, v2, v5
	ds_bpermute_b32 v5, v43, v2
	s_waitcnt lgkmcnt(0)
	v_dual_add_f32 v2, v2, v5 :: v_dual_mov_b32 v5, 0
	ds_bpermute_b32 v2, v5, v2
	s_and_saveexec_b32 s0, s1
	s_cbranch_execz .LBB12_34
; %bb.32:
	s_waitcnt lgkmcnt(0)
	v_add_f32_e32 v5, 0x358637bd, v2
	s_mov_b32 s1, 0
	s_delay_alu instid0(VALU_DEP_1) | instskip(SKIP_1) | instid1(VALU_DEP_2)
	v_div_scale_f32 v6, null, v5, v5, 1.0
	v_div_scale_f32 v9, vcc_lo, 1.0, v5, 1.0
	v_rcp_f32_e32 v7, v6
	s_waitcnt_depctr 0xfff
	v_fma_f32 v8, -v6, v7, 1.0
	s_delay_alu instid0(VALU_DEP_1) | instskip(NEXT) | instid1(VALU_DEP_1)
	v_fmac_f32_e32 v7, v8, v7
	v_mul_f32_e32 v8, v9, v7
	s_delay_alu instid0(VALU_DEP_1) | instskip(NEXT) | instid1(VALU_DEP_1)
	v_fma_f32 v10, -v6, v8, v9
	v_fmac_f32_e32 v8, v10, v7
	s_delay_alu instid0(VALU_DEP_1) | instskip(NEXT) | instid1(VALU_DEP_1)
	v_fma_f32 v6, -v6, v8, v9
	v_div_fmas_f32 v6, v6, v7, v8
	s_delay_alu instid0(VALU_DEP_1)
	v_div_fixup_f32 v5, v6, v5, 1.0
	v_mov_b32_e32 v6, v0
.LBB12_33:                              ; =>This Inner Loop Header: Depth=1
	ds_load_b32 v7, v4
	s_waitcnt lgkmcnt(0)
	v_dual_mul_f32 v7, v5, v7 :: v_dual_add_nc_u32 v6, 0x80, v6
	s_delay_alu instid0(VALU_DEP_1) | instskip(SKIP_3) | instid1(SALU_CYCLE_1)
	v_cmp_le_i32_e32 vcc_lo, s6, v6
	ds_store_b32 v4, v7
	v_add_nc_u32_e32 v4, 0x200, v4
	s_or_b32 s1, vcc_lo, s1
	s_and_not1_b32 exec_lo, exec_lo, s1
	s_cbranch_execnz .LBB12_33
.LBB12_34:
	s_or_b32 exec_lo, exec_lo, s0
	s_mul_i32 s0, s4, s14
	s_waitcnt lgkmcnt(0)
	s_mul_i32 s6, s0, s13
	s_mov_b32 s0, exec_lo
	s_barrier
	buffer_gl0_inv
	v_cmpx_eq_u32_e32 0, v0
	s_cbranch_execz .LBB12_36
; %bb.35:
	s_ashr_i32 s7, s6, 31
	s_mul_i32 s42, s4, s24
	s_lshl_b64 s[40:41], s[6:7], 2
	v_mov_b32_e32 v4, 0
	s_add_u32 s1, s18, s40
	s_addc_u32 s3, s19, s41
	s_ashr_i32 s43, s42, 31
	s_delay_alu instid0(SALU_CYCLE_1) | instskip(NEXT) | instid1(SALU_CYCLE_1)
	s_lshl_b64 s[18:19], s[42:43], 2
	s_add_u32 s1, s1, s18
	s_addc_u32 s3, s3, s19
	s_ashr_i32 s13, s12, 31
	s_delay_alu instid0(SALU_CYCLE_1) | instskip(NEXT) | instid1(SALU_CYCLE_1)
	s_lshl_b64 s[42:43], s[12:13], 2
	s_add_u32 s44, s1, s42
	s_addc_u32 s45, s3, s43
	s_add_u32 s1, s16, s40
	s_addc_u32 s3, s17, s41
	;; [unrolled: 2-line block ×4, first 2 shown]
	s_clause 0x1
	global_store_b32 v4, v1, s[44:45]
	global_store_b32 v4, v2, s[16:17]
.LBB12_36:
	s_or_b32 exec_lo, exec_lo, s0
	v_dual_mov_b32 v52, 0 :: v_dual_mov_b32 v47, 0
	v_dual_mov_b32 v49, 0 :: v_dual_and_b32 v44, 1, v0
	v_dual_mov_b32 v48, 0 :: v_dual_mov_b32 v51, 0
	v_dual_mov_b32 v46, 0 :: v_dual_mov_b32 v45, 0
	v_mov_b32_e32 v50, 0
	s_mov_b32 s3, 0
	s_and_saveexec_b32 s1, s2
	s_cbranch_execz .LBB12_58
; %bb.37:
	s_ashr_i32 s35, s34, 31
	s_sub_i32 s2, s39, s9
	s_lshl_b64 s[16:17], s[34:35], 2
	v_dual_mov_b32 v46, 0 :: v_dual_lshlrev_b32 v5, 4, v44
	s_add_u32 s0, s30, s16
	s_addc_u32 s9, s31, s17
	s_abs_i32 s7, s10
	s_lshl_b64 s[16:17], s[28:29], 2
	v_cvt_f32_u32_e32 v1, s7
	s_sub_i32 s10, 0, s7
	s_add_i32 s36, s36, -1
	v_mov_b32_e32 v50, 0
	v_lshl_or_b32 v5, v40, 5, v5
	v_rcp_iflag_f32_e32 v4, v1
	v_and_b32_e32 v53, 4, v3
	v_lshlrev_b32_e32 v3, 4, v0
	v_lshlrev_b64 v[1:2], 2, v[37:38]
	v_dual_mov_b32 v45, 0 :: v_dual_mov_b32 v48, 0
	v_dual_mov_b32 v51, 0 :: v_dual_add_nc_u32 v56, 0x220, v5
	s_delay_alu instid0(VALU_DEP_4) | instskip(SKIP_1) | instid1(TRANS32_DEP_1)
	v_and_b32_e32 v3, 0x1f0, v3
	v_dual_mov_b32 v49, 0 :: v_dual_mov_b32 v52, 0
	v_dual_mul_f32 v4, 0x4f7ffffe, v4 :: v_dual_mov_b32 v47, 0
	s_delay_alu instid0(VALU_DEP_3) | instskip(NEXT) | instid1(VALU_DEP_1)
	v_add_co_u32 v54, s0, s0, v3
	v_add_co_ci_u32_e64 v55, null, s9, 0, s0
	s_delay_alu instid0(VALU_DEP_3) | instskip(NEXT) | instid1(VALU_DEP_1)
	v_cvt_u32_f32_e32 v4, v4
	v_mul_lo_u32 v6, s10, v4
	s_add_u32 s10, s26, s16
	s_addc_u32 s13, s27, s17
	v_add_co_u32 v38, vcc_lo, s10, v1
	v_add_co_ci_u32_e32 v39, vcc_lo, s13, v2, vcc_lo
	s_delay_alu instid0(VALU_DEP_3) | instskip(NEXT) | instid1(VALU_DEP_1)
	v_mul_hi_u32 v6, v4, v6
	v_add_nc_u32_e32 v57, v4, v6
	s_branch .LBB12_40
.LBB12_38:                              ;   in Loop: Header=BB12_40 Depth=1
	s_or_b32 exec_lo, exec_lo, s0
	s_waitcnt vmcnt(6) lgkmcnt(0)
	v_mul_f32_e32 v10, v2, v10
	v_mul_f32_e32 v6, v2, v6
	s_waitcnt vmcnt(2)
	v_mul_f32_e32 v26, v2, v26
	v_mul_f32_e32 v14, v2, v14
	s_waitcnt vmcnt(1)
	v_mul_f32_e32 v30, v2, v30
	v_fmac_f32_e32 v10, v1, v9
	v_fmac_f32_e32 v6, v1, v5
	v_mul_f32_e32 v22, v2, v22
	v_mul_f32_e32 v18, v2, v18
	s_waitcnt vmcnt(0)
	v_mul_f32_e32 v2, v2, v34
	v_fmac_f32_e32 v10, v3, v11
	v_fmac_f32_e32 v6, v3, v7
	;; [unrolled: 1-line block ×10, first 2 shown]
	v_add_f32_e32 v51, v51, v10
	s_delay_alu instid0(VALU_DEP_4) | instskip(SKIP_3) | instid1(VALU_DEP_4)
	v_dual_fmac_f32 v26, v3, v27 :: v_dual_add_f32 v45, v45, v6
	v_fmac_f32_e32 v22, v3, v23
	v_fmac_f32_e32 v18, v3, v19
	;; [unrolled: 1-line block ×7, first 2 shown]
	s_delay_alu instid0(VALU_DEP_4) | instskip(NEXT) | instid1(VALU_DEP_3)
	v_dual_fmac_f32 v18, v4, v20 :: v_dual_add_f32 v47, v47, v26
	v_dual_fmac_f32 v30, v3, v31 :: v_dual_add_f32 v49, v49, v14
	v_fmac_f32_e32 v2, v4, v36
	s_delay_alu instid0(VALU_DEP_4) | instskip(NEXT) | instid1(VALU_DEP_4)
	v_add_f32_e32 v46, v46, v22
	v_add_f32_e32 v50, v50, v18
	s_delay_alu instid0(VALU_DEP_4) | instskip(NEXT) | instid1(VALU_DEP_4)
	v_fmac_f32_e32 v30, v4, v32
	v_add_f32_e32 v52, v52, v2
	s_delay_alu instid0(VALU_DEP_2)
	v_add_f32_e32 v48, v48, v30
.LBB12_39:                              ;   in Loop: Header=BB12_40 Depth=1
	s_or_b32 exec_lo, exec_lo, s9
	v_add_nc_u32_e32 v37, 4, v37
	v_add_co_u32 v38, s0, v38, 16
	s_delay_alu instid0(VALU_DEP_1) | instskip(NEXT) | instid1(VALU_DEP_3)
	v_add_co_ci_u32_e64 v39, s0, 0, v39, s0
	v_cmp_le_i32_e32 vcc_lo, s8, v37
	v_add_nc_u32_e32 v41, 32, v41
	v_add_nc_u32_e32 v56, 0x80, v56
	s_or_b32 s3, vcc_lo, s3
	s_delay_alu instid0(SALU_CYCLE_1)
	s_and_not1_b32 exec_lo, exec_lo, s3
	s_cbranch_execz .LBB12_57
.LBB12_40:                              ; =>This Inner Loop Header: Depth=1
	v_sub_nc_u32_e32 v1, 0, v41
	s_delay_alu instid0(VALU_DEP_1) | instskip(NEXT) | instid1(VALU_DEP_1)
	v_max_i32_e32 v1, v41, v1
	v_mul_hi_u32 v2, v1, s25
	s_delay_alu instid0(VALU_DEP_1) | instskip(NEXT) | instid1(VALU_DEP_1)
	v_mul_lo_u32 v3, v2, s21
	v_sub_nc_u32_e32 v1, v1, v3
	v_add_nc_u32_e32 v3, 1, v2
	s_delay_alu instid0(VALU_DEP_2) | instskip(SKIP_1) | instid1(VALU_DEP_2)
	v_subrev_nc_u32_e32 v4, s21, v1
	v_cmp_le_u32_e32 vcc_lo, s21, v1
	v_dual_cndmask_b32 v2, v2, v3 :: v_dual_cndmask_b32 v1, v1, v4
	v_ashrrev_i32_e32 v3, 31, v41
	s_delay_alu instid0(VALU_DEP_2) | instskip(NEXT) | instid1(VALU_DEP_3)
	v_add_nc_u32_e32 v4, 1, v2
	v_cmp_le_u32_e32 vcc_lo, s21, v1
	s_delay_alu instid0(VALU_DEP_3) | instskip(NEXT) | instid1(VALU_DEP_3)
	v_xor_b32_e32 v3, s11, v3
	v_cndmask_b32_e32 v1, v2, v4, vcc_lo
	s_delay_alu instid0(VALU_DEP_1) | instskip(NEXT) | instid1(VALU_DEP_1)
	v_xor_b32_e32 v1, v1, v3
	v_sub_nc_u32_e32 v1, v1, v3
	s_delay_alu instid0(VALU_DEP_1) | instskip(SKIP_1) | instid1(VALU_DEP_2)
	v_add_nc_u32_e32 v2, s33, v1
	v_cmp_lt_i32_e64 s0, s2, v1
	v_sub_nc_u32_e32 v3, 0, v2
	s_delay_alu instid0(VALU_DEP_1) | instskip(NEXT) | instid1(VALU_DEP_1)
	v_max_i32_e32 v3, v2, v3
	v_mul_hi_u32 v4, v3, v57
	s_delay_alu instid0(VALU_DEP_1) | instskip(NEXT) | instid1(VALU_DEP_1)
	v_mul_lo_u32 v4, v4, s7
	v_sub_nc_u32_e32 v3, v3, v4
	s_delay_alu instid0(VALU_DEP_1) | instskip(SKIP_1) | instid1(VALU_DEP_2)
	v_subrev_nc_u32_e32 v4, s7, v3
	v_cmp_le_u32_e32 vcc_lo, s7, v3
	v_cndmask_b32_e32 v3, v3, v4, vcc_lo
	v_ashrrev_i32_e32 v2, 31, v2
	s_delay_alu instid0(VALU_DEP_2) | instskip(SKIP_1) | instid1(VALU_DEP_2)
	v_subrev_nc_u32_e32 v4, s7, v3
	v_cmp_le_u32_e32 vcc_lo, s7, v3
	v_cndmask_b32_e32 v3, v3, v4, vcc_lo
	s_delay_alu instid0(VALU_DEP_1) | instskip(NEXT) | instid1(VALU_DEP_1)
	v_xor_b32_e32 v3, v3, v2
	v_sub_nc_u32_e32 v2, v3, v2
	s_delay_alu instid0(VALU_DEP_1) | instskip(SKIP_1) | instid1(SALU_CYCLE_1)
	v_cmp_eq_u32_e32 vcc_lo, 0, v2
	s_or_b32 s0, vcc_lo, s0
	s_and_saveexec_b32 s9, s0
	s_cbranch_execz .LBB12_39
; %bb.41:                               ;   in Loop: Header=BB12_40 Depth=1
	global_load_b32 v3, v[38:39], off
	v_add_nc_u32_e32 v58, v53, v41
	s_delay_alu instid0(VALU_DEP_1) | instskip(SKIP_4) | instid1(VALU_DEP_1)
	v_add_nc_u32_e32 v61, 1, v58
	v_add_nc_u32_e32 v60, 2, v58
	;; [unrolled: 1-line block ×3, first 2 shown]
	s_waitcnt vmcnt(0)
	v_mad_i64_i32 v[1:2], null, v3, s5, 0
	v_lshlrev_b64 v[1:2], 2, v[1:2]
	s_delay_alu instid0(VALU_DEP_1) | instskip(NEXT) | instid1(VALU_DEP_2)
	v_add_co_u32 v33, vcc_lo, v54, v1
	v_add_co_ci_u32_e32 v34, vcc_lo, v55, v2, vcc_lo
	ds_load_b128 v[1:4], v56
	v_cmp_eq_u32_e32 vcc_lo, s36, v37
	global_load_b128 v[5:8], v[33:34], off
	s_and_saveexec_b32 s10, vcc_lo
	s_cbranch_execnz .LBB12_49
; %bb.42:                               ;   in Loop: Header=BB12_40 Depth=1
	s_or_b32 exec_lo, exec_lo, s10
	global_load_b128 v[9:12], v[33:34], off offset:512
	s_and_saveexec_b32 s10, vcc_lo
	s_cbranch_execnz .LBB12_50
.LBB12_43:                              ;   in Loop: Header=BB12_40 Depth=1
	s_or_b32 exec_lo, exec_lo, s10
	global_load_b128 v[13:16], v[33:34], off offset:1024
	s_and_saveexec_b32 s10, vcc_lo
	s_cbranch_execnz .LBB12_51
.LBB12_44:                              ;   in Loop: Header=BB12_40 Depth=1
	s_or_b32 exec_lo, exec_lo, s10
	global_load_b128 v[17:20], v[33:34], off offset:1536
	s_and_saveexec_b32 s10, vcc_lo
	s_cbranch_execnz .LBB12_52
.LBB12_45:                              ;   in Loop: Header=BB12_40 Depth=1
	s_or_b32 exec_lo, exec_lo, s10
	global_load_b128 v[21:24], v[33:34], off offset:2048
	s_and_saveexec_b32 s10, vcc_lo
	s_cbranch_execnz .LBB12_53
.LBB12_46:                              ;   in Loop: Header=BB12_40 Depth=1
	s_or_b32 exec_lo, exec_lo, s10
	global_load_b128 v[25:28], v[33:34], off offset:2560
	s_and_saveexec_b32 s10, vcc_lo
	s_cbranch_execnz .LBB12_54
.LBB12_47:                              ;   in Loop: Header=BB12_40 Depth=1
	s_or_b32 exec_lo, exec_lo, s10
	global_load_b128 v[29:32], v[33:34], off offset:3072
	s_and_saveexec_b32 s10, vcc_lo
	s_cbranch_execnz .LBB12_55
.LBB12_48:                              ;   in Loop: Header=BB12_40 Depth=1
	s_or_b32 exec_lo, exec_lo, s10
	global_load_b128 v[33:36], v[33:34], off offset:3584
	s_and_saveexec_b32 s0, vcc_lo
	s_cbranch_execz .LBB12_38
	s_branch .LBB12_56
.LBB12_49:                              ;   in Loop: Header=BB12_40 Depth=1
	v_cmp_gt_i32_e64 s0, s15, v58
	s_waitcnt vmcnt(0)
	s_delay_alu instid0(VALU_DEP_1) | instskip(SKIP_1) | instid1(VALU_DEP_1)
	v_cndmask_b32_e64 v5, 0, v5, s0
	v_cmp_gt_i32_e64 s0, s15, v61
	v_cndmask_b32_e64 v6, 0, v6, s0
	v_cmp_gt_i32_e64 s0, s15, v60
	s_delay_alu instid0(VALU_DEP_1) | instskip(SKIP_1) | instid1(VALU_DEP_1)
	v_cndmask_b32_e64 v7, 0, v7, s0
	v_cmp_gt_i32_e64 s0, s15, v59
	v_cndmask_b32_e64 v8, 0, v8, s0
	s_or_b32 exec_lo, exec_lo, s10
	global_load_b128 v[9:12], v[33:34], off offset:512
	s_and_saveexec_b32 s10, vcc_lo
	s_cbranch_execz .LBB12_43
.LBB12_50:                              ;   in Loop: Header=BB12_40 Depth=1
	v_cmp_gt_i32_e64 s0, s15, v58
	s_waitcnt vmcnt(0)
	s_delay_alu instid0(VALU_DEP_1) | instskip(SKIP_1) | instid1(VALU_DEP_1)
	v_cndmask_b32_e64 v9, 0, v9, s0
	v_cmp_gt_i32_e64 s0, s15, v61
	v_cndmask_b32_e64 v10, 0, v10, s0
	v_cmp_gt_i32_e64 s0, s15, v60
	s_delay_alu instid0(VALU_DEP_1) | instskip(SKIP_1) | instid1(VALU_DEP_1)
	v_cndmask_b32_e64 v11, 0, v11, s0
	v_cmp_gt_i32_e64 s0, s15, v59
	v_cndmask_b32_e64 v12, 0, v12, s0
	s_or_b32 exec_lo, exec_lo, s10
	global_load_b128 v[13:16], v[33:34], off offset:1024
	s_and_saveexec_b32 s10, vcc_lo
	s_cbranch_execz .LBB12_44
.LBB12_51:                              ;   in Loop: Header=BB12_40 Depth=1
	v_cmp_gt_i32_e64 s0, s15, v58
	s_waitcnt vmcnt(0)
	s_delay_alu instid0(VALU_DEP_1) | instskip(SKIP_1) | instid1(VALU_DEP_1)
	v_cndmask_b32_e64 v13, 0, v13, s0
	v_cmp_gt_i32_e64 s0, s15, v61
	v_cndmask_b32_e64 v14, 0, v14, s0
	v_cmp_gt_i32_e64 s0, s15, v60
	s_delay_alu instid0(VALU_DEP_1) | instskip(SKIP_1) | instid1(VALU_DEP_1)
	v_cndmask_b32_e64 v15, 0, v15, s0
	v_cmp_gt_i32_e64 s0, s15, v59
	v_cndmask_b32_e64 v16, 0, v16, s0
	s_or_b32 exec_lo, exec_lo, s10
	global_load_b128 v[17:20], v[33:34], off offset:1536
	s_and_saveexec_b32 s10, vcc_lo
	s_cbranch_execz .LBB12_45
.LBB12_52:                              ;   in Loop: Header=BB12_40 Depth=1
	v_cmp_gt_i32_e64 s0, s15, v58
	s_waitcnt vmcnt(0)
	s_delay_alu instid0(VALU_DEP_1) | instskip(SKIP_1) | instid1(VALU_DEP_1)
	v_cndmask_b32_e64 v17, 0, v17, s0
	v_cmp_gt_i32_e64 s0, s15, v61
	v_cndmask_b32_e64 v18, 0, v18, s0
	v_cmp_gt_i32_e64 s0, s15, v60
	s_delay_alu instid0(VALU_DEP_1) | instskip(SKIP_1) | instid1(VALU_DEP_1)
	v_cndmask_b32_e64 v19, 0, v19, s0
	v_cmp_gt_i32_e64 s0, s15, v59
	v_cndmask_b32_e64 v20, 0, v20, s0
	s_or_b32 exec_lo, exec_lo, s10
	global_load_b128 v[21:24], v[33:34], off offset:2048
	s_and_saveexec_b32 s10, vcc_lo
	s_cbranch_execz .LBB12_46
.LBB12_53:                              ;   in Loop: Header=BB12_40 Depth=1
	v_cmp_gt_i32_e64 s0, s15, v58
	s_waitcnt vmcnt(0)
	s_delay_alu instid0(VALU_DEP_1) | instskip(SKIP_1) | instid1(VALU_DEP_1)
	v_cndmask_b32_e64 v21, 0, v21, s0
	v_cmp_gt_i32_e64 s0, s15, v61
	v_cndmask_b32_e64 v22, 0, v22, s0
	v_cmp_gt_i32_e64 s0, s15, v60
	s_delay_alu instid0(VALU_DEP_1) | instskip(SKIP_1) | instid1(VALU_DEP_1)
	v_cndmask_b32_e64 v23, 0, v23, s0
	v_cmp_gt_i32_e64 s0, s15, v59
	v_cndmask_b32_e64 v24, 0, v24, s0
	s_or_b32 exec_lo, exec_lo, s10
	global_load_b128 v[25:28], v[33:34], off offset:2560
	s_and_saveexec_b32 s10, vcc_lo
	s_cbranch_execz .LBB12_47
.LBB12_54:                              ;   in Loop: Header=BB12_40 Depth=1
	v_cmp_gt_i32_e64 s0, s15, v58
	s_waitcnt vmcnt(0)
	s_delay_alu instid0(VALU_DEP_1) | instskip(SKIP_1) | instid1(VALU_DEP_1)
	v_cndmask_b32_e64 v25, 0, v25, s0
	v_cmp_gt_i32_e64 s0, s15, v61
	v_cndmask_b32_e64 v26, 0, v26, s0
	v_cmp_gt_i32_e64 s0, s15, v60
	s_delay_alu instid0(VALU_DEP_1) | instskip(SKIP_1) | instid1(VALU_DEP_1)
	v_cndmask_b32_e64 v27, 0, v27, s0
	v_cmp_gt_i32_e64 s0, s15, v59
	v_cndmask_b32_e64 v28, 0, v28, s0
	s_or_b32 exec_lo, exec_lo, s10
	global_load_b128 v[29:32], v[33:34], off offset:3072
	s_and_saveexec_b32 s10, vcc_lo
	s_cbranch_execz .LBB12_48
.LBB12_55:                              ;   in Loop: Header=BB12_40 Depth=1
	v_cmp_gt_i32_e64 s0, s15, v58
	s_waitcnt vmcnt(0)
	s_delay_alu instid0(VALU_DEP_1) | instskip(SKIP_1) | instid1(VALU_DEP_1)
	v_cndmask_b32_e64 v29, 0, v29, s0
	v_cmp_gt_i32_e64 s0, s15, v61
	v_cndmask_b32_e64 v30, 0, v30, s0
	v_cmp_gt_i32_e64 s0, s15, v60
	s_delay_alu instid0(VALU_DEP_1) | instskip(SKIP_1) | instid1(VALU_DEP_1)
	v_cndmask_b32_e64 v31, 0, v31, s0
	v_cmp_gt_i32_e64 s0, s15, v59
	v_cndmask_b32_e64 v32, 0, v32, s0
	s_or_b32 exec_lo, exec_lo, s10
	global_load_b128 v[33:36], v[33:34], off offset:3584
	s_and_saveexec_b32 s0, vcc_lo
	s_cbranch_execz .LBB12_38
.LBB12_56:                              ;   in Loop: Header=BB12_40 Depth=1
	v_cmp_gt_i32_e32 vcc_lo, s15, v58
	s_waitcnt vmcnt(0)
	v_cndmask_b32_e32 v33, 0, v33, vcc_lo
	v_cmp_gt_i32_e32 vcc_lo, s15, v61
	v_cndmask_b32_e32 v34, 0, v34, vcc_lo
	v_cmp_gt_i32_e32 vcc_lo, s15, v60
	;; [unrolled: 2-line block ×3, first 2 shown]
	v_cndmask_b32_e32 v36, 0, v36, vcc_lo
	s_branch .LBB12_38
.LBB12_57:
	s_or_b32 exec_lo, exec_lo, s3
.LBB12_58:
	s_delay_alu instid0(SALU_CYCLE_1)
	s_or_b32 exec_lo, exec_lo, s1
	ds_bpermute_b32 v1, v43, v45
	ds_bpermute_b32 v2, v43, v51
	;; [unrolled: 1-line block ×8, first 2 shown]
	v_lshrrev_b32_e32 v9, 1, v42
	v_lshl_add_u32 v10, v40, 9, 0x220
	v_and_b32_e32 v15, 0x3c1, v0
	s_mov_b32 s0, exec_lo
	s_waitcnt lgkmcnt(0)
	s_waitcnt_vscnt null, 0x0
	s_barrier
	buffer_gl0_inv
	v_dual_add_f32 v8, v45, v1 :: v_dual_add_f32 v7, v51, v2
	v_dual_add_f32 v6, v49, v3 :: v_dual_add_f32 v5, v50, v4
	v_dual_add_f32 v4, v46, v11 :: v_dual_add_f32 v3, v47, v12
	v_add_f32_e32 v2, v48, v13
	v_add_f32_e32 v1, v52, v14
	v_cmpx_eq_u32_e32 64, v15
	s_cbranch_execz .LBB12_60
; %bb.59:
	v_lshlrev_b32_e32 v11, 2, v9
	s_delay_alu instid0(VALU_DEP_1)
	v_add3_u32 v11, v10, v11, 0xfffffc00
	ds_store_2addr_b32 v11, v8, v7 offset1:16
	ds_store_2addr_b32 v11, v6, v5 offset0:32 offset1:48
	ds_store_2addr_b32 v11, v4, v3 offset0:64 offset1:80
	;; [unrolled: 1-line block ×3, first 2 shown]
.LBB12_60:
	s_or_b32 exec_lo, exec_lo, s0
	v_cmp_eq_u32_e32 vcc_lo, 0, v44
	s_mov_b32 s1, exec_lo
	s_waitcnt lgkmcnt(0)
	s_barrier
	buffer_gl0_inv
	v_cmpx_gt_u32_e32 64, v0
	s_cbranch_execz .LBB12_71
; %bb.61:
	s_and_saveexec_b32 s0, vcc_lo
	s_cbranch_execnz .LBB12_87
; %bb.62:
	s_or_b32 exec_lo, exec_lo, s0
	s_and_saveexec_b32 s0, vcc_lo
	s_cbranch_execnz .LBB12_88
.LBB12_63:
	s_or_b32 exec_lo, exec_lo, s0
	s_and_saveexec_b32 s0, vcc_lo
	s_cbranch_execnz .LBB12_89
.LBB12_64:
	s_or_b32 exec_lo, exec_lo, s0
	s_and_saveexec_b32 s0, vcc_lo
	s_cbranch_execnz .LBB12_90
.LBB12_65:
	s_or_b32 exec_lo, exec_lo, s0
	s_and_saveexec_b32 s0, vcc_lo
	s_cbranch_execnz .LBB12_91
.LBB12_66:
	s_or_b32 exec_lo, exec_lo, s0
	s_and_saveexec_b32 s0, vcc_lo
	s_cbranch_execnz .LBB12_92
.LBB12_67:
	s_or_b32 exec_lo, exec_lo, s0
	s_and_saveexec_b32 s0, vcc_lo
	s_cbranch_execnz .LBB12_93
.LBB12_68:
	s_or_b32 exec_lo, exec_lo, s0
	s_and_saveexec_b32 s0, vcc_lo
	s_cbranch_execz .LBB12_70
.LBB12_69:
	v_lshl_add_u32 v11, v9, 2, v10
	ds_load_b32 v11, v11 offset:448
	s_waitcnt lgkmcnt(0)
	v_add_f32_e32 v1, v1, v11
.LBB12_70:
	s_or_b32 exec_lo, exec_lo, s0
.LBB12_71:
	s_delay_alu instid0(SALU_CYCLE_1)
	s_or_b32 exec_lo, exec_lo, s1
	v_and_b32_e32 v11, 0x3e1, v0
	s_mov_b32 s1, exec_lo
	s_barrier
	buffer_gl0_inv
	v_cmpx_eq_u32_e32 32, v11
	s_cbranch_execz .LBB12_73
; %bb.72:
	v_lshl_add_u32 v12, v9, 2, 0x220
	ds_store_2addr_b32 v12, v8, v7 offset1:16
	ds_store_2addr_b32 v12, v6, v5 offset0:32 offset1:48
	ds_store_2addr_b32 v12, v4, v3 offset0:64 offset1:80
	;; [unrolled: 1-line block ×3, first 2 shown]
.LBB12_73:
	s_or_b32 exec_lo, exec_lo, s1
	s_delay_alu instid0(SALU_CYCLE_1)
	s_mov_b32 s1, exec_lo
	s_waitcnt lgkmcnt(0)
	s_barrier
	buffer_gl0_inv
	v_cmpx_gt_u32_e32 32, v0
	s_cbranch_execz .LBB12_84
; %bb.74:
	v_lshl_add_u32 v9, v9, 2, v10
	s_and_saveexec_b32 s0, vcc_lo
	s_cbranch_execnz .LBB12_94
; %bb.75:
	s_or_b32 exec_lo, exec_lo, s0
	s_and_saveexec_b32 s0, vcc_lo
	s_cbranch_execnz .LBB12_95
.LBB12_76:
	s_or_b32 exec_lo, exec_lo, s0
	s_and_saveexec_b32 s0, vcc_lo
	s_cbranch_execnz .LBB12_96
.LBB12_77:
	s_or_b32 exec_lo, exec_lo, s0
	s_and_saveexec_b32 s0, vcc_lo
	s_cbranch_execnz .LBB12_97
.LBB12_78:
	s_or_b32 exec_lo, exec_lo, s0
	s_and_saveexec_b32 s0, vcc_lo
	s_cbranch_execnz .LBB12_98
.LBB12_79:
	s_or_b32 exec_lo, exec_lo, s0
	s_and_saveexec_b32 s0, vcc_lo
	s_cbranch_execnz .LBB12_99
.LBB12_80:
	s_or_b32 exec_lo, exec_lo, s0
	s_and_saveexec_b32 s0, vcc_lo
	s_cbranch_execnz .LBB12_100
.LBB12_81:
	s_or_b32 exec_lo, exec_lo, s0
	s_and_saveexec_b32 s0, vcc_lo
	s_cbranch_execz .LBB12_83
.LBB12_82:
	ds_load_b32 v9, v9 offset:448
	s_waitcnt lgkmcnt(0)
	v_add_f32_e32 v1, v1, v9
.LBB12_83:
	s_or_b32 exec_lo, exec_lo, s0
.LBB12_84:
	s_delay_alu instid0(SALU_CYCLE_1)
	s_or_b32 exec_lo, exec_lo, s1
	s_barrier
	buffer_gl0_inv
	s_mov_b32 s0, exec_lo
	v_cmpx_eq_u32_e32 0, v11
	s_cbranch_execz .LBB12_86
; %bb.85:
	s_lshl_b32 s0, s6, 7
	s_mul_i32 s2, s4, s20
	s_ashr_i32 s1, s0, 31
	v_lshlrev_b32_e32 v0, 1, v0
	s_lshl_b64 s[0:1], s[0:1], 2
	s_delay_alu instid0(SALU_CYCLE_1) | instskip(SKIP_2) | instid1(SALU_CYCLE_1)
	s_add_u32 s4, s22, s0
	s_addc_u32 s5, s23, s1
	s_ashr_i32 s3, s2, 31
	s_lshl_b64 s[0:1], s[2:3], 2
	s_delay_alu instid0(SALU_CYCLE_1) | instskip(SKIP_2) | instid1(SALU_CYCLE_1)
	s_add_u32 s2, s4, s0
	s_addc_u32 s3, s5, s1
	s_lshl_b32 s0, s12, 7
	s_ashr_i32 s1, s0, 31
	s_delay_alu instid0(SALU_CYCLE_1) | instskip(NEXT) | instid1(SALU_CYCLE_1)
	s_lshl_b64 s[0:1], s[0:1], 2
	s_add_u32 s0, s2, s0
	s_addc_u32 s1, s3, s1
	s_clause 0x7
	global_store_b32 v0, v8, s[0:1]
	global_store_b32 v0, v7, s[0:1] offset:64
	global_store_b32 v0, v6, s[0:1] offset:128
	;; [unrolled: 1-line block ×7, first 2 shown]
.LBB12_86:
	s_nop 0
	s_sendmsg sendmsg(MSG_DEALLOC_VGPRS)
	s_endpgm
.LBB12_87:
	v_lshl_add_u32 v11, v9, 2, v10
	ds_load_b32 v11, v11
	s_waitcnt lgkmcnt(0)
	v_add_f32_e32 v8, v8, v11
	s_or_b32 exec_lo, exec_lo, s0
	s_and_saveexec_b32 s0, vcc_lo
	s_cbranch_execz .LBB12_63
.LBB12_88:
	v_lshl_add_u32 v11, v9, 2, v10
	ds_load_b32 v11, v11 offset:64
	s_waitcnt lgkmcnt(0)
	v_add_f32_e32 v7, v7, v11
	s_or_b32 exec_lo, exec_lo, s0
	s_and_saveexec_b32 s0, vcc_lo
	s_cbranch_execz .LBB12_64
.LBB12_89:
	v_lshl_add_u32 v11, v9, 2, v10
	ds_load_b32 v11, v11 offset:128
	s_waitcnt lgkmcnt(0)
	v_add_f32_e32 v6, v6, v11
	s_or_b32 exec_lo, exec_lo, s0
	s_and_saveexec_b32 s0, vcc_lo
	s_cbranch_execz .LBB12_65
.LBB12_90:
	v_lshl_add_u32 v11, v9, 2, v10
	ds_load_b32 v11, v11 offset:192
	s_waitcnt lgkmcnt(0)
	v_add_f32_e32 v5, v5, v11
	s_or_b32 exec_lo, exec_lo, s0
	s_and_saveexec_b32 s0, vcc_lo
	s_cbranch_execz .LBB12_66
.LBB12_91:
	v_lshl_add_u32 v11, v9, 2, v10
	ds_load_b32 v11, v11 offset:256
	s_waitcnt lgkmcnt(0)
	v_add_f32_e32 v4, v4, v11
	s_or_b32 exec_lo, exec_lo, s0
	s_and_saveexec_b32 s0, vcc_lo
	s_cbranch_execz .LBB12_67
.LBB12_92:
	v_lshl_add_u32 v11, v9, 2, v10
	ds_load_b32 v11, v11 offset:320
	s_waitcnt lgkmcnt(0)
	v_add_f32_e32 v3, v3, v11
	s_or_b32 exec_lo, exec_lo, s0
	s_and_saveexec_b32 s0, vcc_lo
	s_cbranch_execz .LBB12_68
.LBB12_93:
	v_lshl_add_u32 v11, v9, 2, v10
	ds_load_b32 v11, v11 offset:384
	s_waitcnt lgkmcnt(0)
	v_add_f32_e32 v2, v2, v11
	s_or_b32 exec_lo, exec_lo, s0
	s_and_saveexec_b32 s0, vcc_lo
	s_cbranch_execnz .LBB12_69
	s_branch .LBB12_70
.LBB12_94:
	ds_load_b32 v10, v9
	s_waitcnt lgkmcnt(0)
	v_add_f32_e32 v8, v8, v10
	s_or_b32 exec_lo, exec_lo, s0
	s_and_saveexec_b32 s0, vcc_lo
	s_cbranch_execz .LBB12_76
.LBB12_95:
	ds_load_b32 v10, v9 offset:64
	s_waitcnt lgkmcnt(0)
	v_add_f32_e32 v7, v7, v10
	s_or_b32 exec_lo, exec_lo, s0
	s_and_saveexec_b32 s0, vcc_lo
	s_cbranch_execz .LBB12_77
.LBB12_96:
	ds_load_b32 v10, v9 offset:128
	s_waitcnt lgkmcnt(0)
	v_add_f32_e32 v6, v6, v10
	s_or_b32 exec_lo, exec_lo, s0
	s_and_saveexec_b32 s0, vcc_lo
	s_cbranch_execz .LBB12_78
.LBB12_97:
	ds_load_b32 v10, v9 offset:192
	s_waitcnt lgkmcnt(0)
	v_add_f32_e32 v5, v5, v10
	s_or_b32 exec_lo, exec_lo, s0
	s_and_saveexec_b32 s0, vcc_lo
	s_cbranch_execz .LBB12_79
.LBB12_98:
	ds_load_b32 v10, v9 offset:256
	s_waitcnt lgkmcnt(0)
	v_add_f32_e32 v4, v4, v10
	s_or_b32 exec_lo, exec_lo, s0
	s_and_saveexec_b32 s0, vcc_lo
	s_cbranch_execz .LBB12_80
.LBB12_99:
	ds_load_b32 v10, v9 offset:320
	s_waitcnt lgkmcnt(0)
	v_add_f32_e32 v3, v3, v10
	s_or_b32 exec_lo, exec_lo, s0
	s_and_saveexec_b32 s0, vcc_lo
	s_cbranch_execz .LBB12_81
.LBB12_100:
	ds_load_b32 v10, v9 offset:384
	s_waitcnt lgkmcnt(0)
	v_add_f32_e32 v2, v2, v10
	s_or_b32 exec_lo, exec_lo, s0
	s_and_saveexec_b32 s0, vcc_lo
	s_cbranch_execnz .LBB12_82
	s_branch .LBB12_83
	.section	.rodata,"a",@progbits
	.p2align	6, 0x0
	.amdhsa_kernel _ZN4vllm25paged_attention_v2_kernelIffLi128ELi8ELi128ELNS_18Fp8KVCacheDataTypeE0ELb1ELi512EEEvPfS2_PT_PKS3_PKT0_S9_ifPKiSB_iPKfiiiSD_SD_iiiii
		.amdhsa_group_segment_fixed_size 544
		.amdhsa_private_segment_fixed_size 0
		.amdhsa_kernarg_size 400
		.amdhsa_user_sgpr_count 13
		.amdhsa_user_sgpr_dispatch_ptr 0
		.amdhsa_user_sgpr_queue_ptr 0
		.amdhsa_user_sgpr_kernarg_segment_ptr 1
		.amdhsa_user_sgpr_dispatch_id 0
		.amdhsa_user_sgpr_private_segment_size 0
		.amdhsa_wavefront_size32 1
		.amdhsa_uses_dynamic_stack 0
		.amdhsa_enable_private_segment 0
		.amdhsa_system_sgpr_workgroup_id_x 1
		.amdhsa_system_sgpr_workgroup_id_y 1
		.amdhsa_system_sgpr_workgroup_id_z 1
		.amdhsa_system_sgpr_workgroup_info 0
		.amdhsa_system_vgpr_workitem_id 0
		.amdhsa_next_free_vgpr 62
		.amdhsa_next_free_sgpr 46
		.amdhsa_reserve_vcc 1
		.amdhsa_float_round_mode_32 0
		.amdhsa_float_round_mode_16_64 0
		.amdhsa_float_denorm_mode_32 3
		.amdhsa_float_denorm_mode_16_64 3
		.amdhsa_dx10_clamp 1
		.amdhsa_ieee_mode 1
		.amdhsa_fp16_overflow 0
		.amdhsa_workgroup_processor_mode 1
		.amdhsa_memory_ordered 1
		.amdhsa_forward_progress 0
		.amdhsa_shared_vgpr_count 0
		.amdhsa_exception_fp_ieee_invalid_op 0
		.amdhsa_exception_fp_denorm_src 0
		.amdhsa_exception_fp_ieee_div_zero 0
		.amdhsa_exception_fp_ieee_overflow 0
		.amdhsa_exception_fp_ieee_underflow 0
		.amdhsa_exception_fp_ieee_inexact 0
		.amdhsa_exception_int_div_zero 0
	.end_amdhsa_kernel
	.section	.text._ZN4vllm25paged_attention_v2_kernelIffLi128ELi8ELi128ELNS_18Fp8KVCacheDataTypeE0ELb1ELi512EEEvPfS2_PT_PKS3_PKT0_S9_ifPKiSB_iPKfiiiSD_SD_iiiii,"axG",@progbits,_ZN4vllm25paged_attention_v2_kernelIffLi128ELi8ELi128ELNS_18Fp8KVCacheDataTypeE0ELb1ELi512EEEvPfS2_PT_PKS3_PKT0_S9_ifPKiSB_iPKfiiiSD_SD_iiiii,comdat
.Lfunc_end12:
	.size	_ZN4vllm25paged_attention_v2_kernelIffLi128ELi8ELi128ELNS_18Fp8KVCacheDataTypeE0ELb1ELi512EEEvPfS2_PT_PKS3_PKT0_S9_ifPKiSB_iPKfiiiSD_SD_iiiii, .Lfunc_end12-_ZN4vllm25paged_attention_v2_kernelIffLi128ELi8ELi128ELNS_18Fp8KVCacheDataTypeE0ELb1ELi512EEEvPfS2_PT_PKS3_PKT0_S9_ifPKiSB_iPKfiiiSD_SD_iiiii
                                        ; -- End function
	.section	.AMDGPU.csdata,"",@progbits
; Kernel info:
; codeLenInByte = 6444
; NumSgprs: 48
; NumVgprs: 62
; ScratchSize: 0
; MemoryBound: 0
; FloatMode: 240
; IeeeMode: 1
; LDSByteSize: 544 bytes/workgroup (compile time only)
; SGPRBlocks: 5
; VGPRBlocks: 7
; NumSGPRsForWavesPerEU: 48
; NumVGPRsForWavesPerEU: 62
; Occupancy: 16
; WaveLimiterHint : 1
; COMPUTE_PGM_RSRC2:SCRATCH_EN: 0
; COMPUTE_PGM_RSRC2:USER_SGPR: 13
; COMPUTE_PGM_RSRC2:TRAP_HANDLER: 0
; COMPUTE_PGM_RSRC2:TGID_X_EN: 1
; COMPUTE_PGM_RSRC2:TGID_Y_EN: 1
; COMPUTE_PGM_RSRC2:TGID_Z_EN: 1
; COMPUTE_PGM_RSRC2:TIDIG_COMP_CNT: 0
	.section	.text._ZN4vllm32paged_attention_v2_reduce_kernelIfLi128ELi128ELi512EEEvPT_PKfS4_PKS1_PKii,"axG",@progbits,_ZN4vllm32paged_attention_v2_reduce_kernelIfLi128ELi128ELi512EEEvPT_PKfS4_PKS1_PKii,comdat
	.protected	_ZN4vllm32paged_attention_v2_reduce_kernelIfLi128ELi128ELi512EEEvPT_PKfS4_PKS1_PKii ; -- Begin function _ZN4vllm32paged_attention_v2_reduce_kernelIfLi128ELi128ELi512EEEvPT_PKfS4_PKS1_PKii
	.globl	_ZN4vllm32paged_attention_v2_reduce_kernelIfLi128ELi128ELi512EEEvPT_PKfS4_PKS1_PKii
	.p2align	8
	.type	_ZN4vllm32paged_attention_v2_reduce_kernelIfLi128ELi128ELi512EEEvPT_PKfS4_PKS1_PKii,@function
_ZN4vllm32paged_attention_v2_reduce_kernelIfLi128ELi128ELi512EEEvPT_PKfS4_PKS1_PKii: ; @_ZN4vllm32paged_attention_v2_reduce_kernelIfLi128ELi128ELi512EEEvPT_PKfS4_PKS1_PKii
; %bb.0:
	s_load_b128 s[4:7], s[0:1], 0x18
	s_add_u32 s8, s0, 48
	s_mov_b32 s10, s15
	s_addc_u32 s9, s1, 0
	s_ashr_i32 s11, s15, 31
	s_delay_alu instid0(SALU_CYCLE_1)
	s_lshl_b64 s[2:3], s[10:11], 2
	s_waitcnt lgkmcnt(0)
	s_add_u32 s2, s6, s2
	s_addc_u32 s3, s7, s3
	s_load_b32 s20, s[2:3], 0x0
	s_clause 0x2
	s_load_b64 s[6:7], s[0:1], 0x0
	s_load_b32 s11, s[0:1], 0x28
	s_load_b32 s15, s[0:1], 0x30
	s_waitcnt lgkmcnt(0)
	s_add_i32 s2, s20, -1
	s_delay_alu instid0(SALU_CYCLE_1)
	s_cmpk_gt_u32 s2, 0x1ff
	s_mov_b32 s2, -1
	s_cbranch_scc0 .LBB13_26
; %bb.1:
	s_load_b64 s[2:3], s[0:1], 0x8
	s_add_i32 s12, s20, 0x1ff
	s_mul_i32 s18, s15, s10
	s_ashr_i32 s13, s12, 31
	v_mov_b32_e32 v3, 0xff7fffff
	s_lshr_b32 s13, s13, 23
	s_mul_i32 s16, s14, s11
	s_add_i32 s12, s12, s13
	s_ashr_i32 s17, s16, 31
	s_ashr_i32 s19, s12, 9
	s_mul_i32 s12, s18, s11
	v_cmp_gt_i32_e32 vcc_lo, s19, v0
	s_ashr_i32 s13, s12, 31
	s_and_saveexec_b32 s21, vcc_lo
	s_cbranch_execz .LBB13_5
; %bb.2:
	s_load_b32 s28, s[8:9], 0xc
	s_load_b64 s[22:23], s[0:1], 0x10
	s_lshl_b64 s[24:25], s[12:13], 2
	s_lshl_b64 s[26:27], s[16:17], 2
	v_lshlrev_b32_e32 v1, 2, v0
	v_mov_b32_e32 v3, 0xff7fffff
	s_delay_alu instid0(VALU_DEP_2)
	v_dual_mov_b32 v5, v0 :: v_dual_add_nc_u32 v4, 32, v1
	s_waitcnt lgkmcnt(0)
	s_and_b32 s1, s28, 0xffff
	s_add_u32 s0, s24, s26
	s_addc_u32 s24, s25, s27
	s_add_u32 s0, s22, s0
	s_addc_u32 s22, s23, s24
	v_add_co_u32 v1, s0, s0, v1
	s_delay_alu instid0(VALU_DEP_1)
	v_add_co_ci_u32_e64 v2, null, s22, 0, s0
	s_mov_b32 s22, 0
	s_lshl_b32 s23, s1, 2
	.p2align	6
.LBB13_3:                               ; =>This Inner Loop Header: Depth=1
	global_load_b32 v6, v[1:2], off
	v_add_nc_u32_e32 v5, s1, v5
	v_max_f32_e32 v3, v3, v3
	v_add_co_u32 v1, s0, v1, s23
	s_delay_alu instid0(VALU_DEP_1) | instskip(NEXT) | instid1(VALU_DEP_4)
	v_add_co_ci_u32_e64 v2, s0, 0, v2, s0
	v_cmp_le_i32_e64 s0, s19, v5
	s_delay_alu instid0(VALU_DEP_1)
	s_or_b32 s22, s0, s22
	s_waitcnt vmcnt(0)
	v_max_f32_e32 v7, v6, v6
	ds_store_b32 v4, v6
	v_dual_max_f32 v3, v3, v7 :: v_dual_add_nc_u32 v4, s23, v4
	s_and_not1_b32 exec_lo, exec_lo, s22
	s_cbranch_execnz .LBB13_3
; %bb.4:
	s_or_b32 exec_lo, exec_lo, s22
.LBB13_5:
	s_delay_alu instid0(SALU_CYCLE_1)
	s_or_b32 exec_lo, exec_lo, s21
	v_mbcnt_lo_u32_b32 v1, -1, 0
	s_waitcnt lgkmcnt(0)
	s_barrier
	buffer_gl0_inv
	v_xor_b32_e32 v2, 16, v1
	v_xor_b32_e32 v4, 8, v1
	s_delay_alu instid0(VALU_DEP_2) | instskip(NEXT) | instid1(VALU_DEP_1)
	v_cmp_gt_i32_e64 s0, 32, v2
	v_cndmask_b32_e64 v2, v1, v2, s0
	s_delay_alu instid0(VALU_DEP_3) | instskip(NEXT) | instid1(VALU_DEP_2)
	v_cmp_gt_i32_e64 s0, 32, v4
	v_lshlrev_b32_e32 v5, 2, v2
	s_delay_alu instid0(VALU_DEP_2) | instskip(SKIP_4) | instid1(VALU_DEP_2)
	v_cndmask_b32_e64 v4, v1, v4, s0
	ds_bpermute_b32 v2, v5, v3
	v_lshlrev_b32_e32 v6, 2, v4
	v_xor_b32_e32 v4, 4, v1
	v_max_f32_e32 v3, v3, v3
	v_cmp_gt_i32_e64 s0, 32, v4
	s_delay_alu instid0(VALU_DEP_1) | instskip(NEXT) | instid1(VALU_DEP_1)
	v_cndmask_b32_e64 v4, v1, v4, s0
	v_lshlrev_b32_e32 v7, 2, v4
	v_xor_b32_e32 v4, 2, v1
	s_waitcnt lgkmcnt(0)
	v_max_f32_e32 v2, v2, v2
	s_delay_alu instid0(VALU_DEP_2) | instskip(NEXT) | instid1(VALU_DEP_2)
	v_cmp_gt_i32_e64 s0, 32, v4
	v_max_f32_e32 v2, v3, v2
	s_delay_alu instid0(VALU_DEP_2) | instskip(SKIP_3) | instid1(VALU_DEP_1)
	v_cndmask_b32_e64 v4, v1, v4, s0
	ds_bpermute_b32 v3, v6, v2
	s_waitcnt lgkmcnt(0)
	v_max_f32_e32 v3, v3, v3
	v_max_f32_e32 v2, v2, v3
	ds_bpermute_b32 v3, v7, v2
	s_waitcnt lgkmcnt(0)
	v_dual_max_f32 v8, v3, v3 :: v_dual_lshlrev_b32 v3, 2, v4
	s_delay_alu instid0(VALU_DEP_1) | instskip(SKIP_3) | instid1(VALU_DEP_1)
	v_max_f32_e32 v2, v2, v8
	v_xor_b32_e32 v8, 1, v1
	ds_bpermute_b32 v4, v3, v2
	v_cmp_gt_i32_e64 s0, 32, v8
	v_cndmask_b32_e64 v1, v1, v8, s0
	v_lshrrev_b32_e32 v8, 5, v0
	s_delay_alu instid0(VALU_DEP_1) | instskip(SKIP_2) | instid1(VALU_DEP_1)
	v_lshlrev_b32_e32 v8, 2, v8
	s_waitcnt lgkmcnt(0)
	v_max_f32_e32 v4, v4, v4
	v_max_f32_e32 v2, v2, v4
	v_lshlrev_b32_e32 v4, 2, v1
	v_and_b32_e32 v1, 31, v0
	ds_bpermute_b32 v9, v4, v2
	v_cmp_eq_u32_e64 s0, 0, v1
	s_delay_alu instid0(VALU_DEP_1)
	s_and_saveexec_b32 s1, s0
	s_cbranch_execz .LBB13_7
; %bb.6:
	s_waitcnt lgkmcnt(0)
	v_dual_max_f32 v9, v9, v9 :: v_dual_max_f32 v2, v2, v2
	s_delay_alu instid0(VALU_DEP_1)
	v_max_f32_e32 v2, v2, v9
	ds_store_b32 v8, v2
.LBB13_7:
	s_or_b32 exec_lo, exec_lo, s1
	v_cmp_gt_u32_e64 s1, 4, v1
	s_waitcnt lgkmcnt(0)
	v_dual_mov_b32 v2, 0xff7fffff :: v_dual_lshlrev_b32 v9, 2, v1
	s_barrier
	buffer_gl0_inv
	s_and_saveexec_b32 s21, s1
	s_cbranch_execz .LBB13_9
; %bb.8:
	ds_load_b32 v2, v9
.LBB13_9:
	s_or_b32 exec_lo, exec_lo, s21
	s_waitcnt lgkmcnt(0)
	ds_bpermute_b32 v1, v3, v2
	v_max_f32_e32 v2, v2, v2
	s_lshl_b32 s21, s19, 2
	v_mov_b32_e32 v11, 0
	s_waitcnt lgkmcnt(0)
	v_max_f32_e32 v1, v1, v1
	s_delay_alu instid0(VALU_DEP_1) | instskip(SKIP_3) | instid1(VALU_DEP_1)
	v_max_f32_e32 v1, v2, v1
	ds_bpermute_b32 v2, v4, v1
	s_waitcnt lgkmcnt(0)
	v_max_f32_e32 v2, v2, v2
	v_max_f32_e32 v1, v1, v2
	ds_bpermute_b32 v10, v11, v1
	s_and_saveexec_b32 s22, vcc_lo
	s_cbranch_execz .LBB13_13
; %bb.10:
	s_load_b32 s23, s[8:9], 0xc
	s_lshl_b64 s[24:25], s[12:13], 2
	s_lshl_b64 s[26:27], s[16:17], 2
	v_lshlrev_b32_e32 v1, 2, v0
	v_mov_b32_e32 v11, 0
	s_delay_alu instid0(VALU_DEP_2)
	v_dual_mov_b32 v13, v0 :: v_dual_add_nc_u32 v12, 32, v1
	s_waitcnt lgkmcnt(0)
	s_and_b32 s13, s23, 0xffff
	s_add_u32 s17, s24, s26
	s_addc_u32 s23, s25, s27
	s_add_u32 s2, s2, s17
	s_addc_u32 s3, s3, s23
	v_add_co_u32 v1, s2, s2, v1
	s_delay_alu instid0(VALU_DEP_1)
	v_add_co_ci_u32_e64 v2, null, s3, 0, s2
	s_mov_b32 s3, 0
	s_lshl_b32 s17, s13, 2
	s_set_inst_prefetch_distance 0x1
	.p2align	6
.LBB13_11:                              ; =>This Inner Loop Header: Depth=1
	global_load_b32 v14, v[1:2], off
	ds_load_b32 v15, v12
	v_add_nc_u32_e32 v13, s13, v13
	s_waitcnt lgkmcnt(0)
	v_sub_f32_e32 v15, v15, v10
	s_delay_alu instid0(VALU_DEP_1) | instskip(NEXT) | instid1(VALU_DEP_1)
	v_mul_f32_e32 v16, 0x3fb8aa3b, v15
	v_fma_f32 v17, 0x3fb8aa3b, v15, -v16
	v_rndne_f32_e32 v18, v16
	s_delay_alu instid0(VALU_DEP_1) | instskip(NEXT) | instid1(VALU_DEP_1)
	v_dual_fmac_f32 v17, 0x32a5705f, v15 :: v_dual_sub_f32 v16, v16, v18
	v_add_f32_e32 v16, v16, v17
	v_cvt_i32_f32_e32 v17, v18
	v_cmp_ngt_f32_e32 vcc_lo, 0xc2ce8ed0, v15
	v_cmp_nlt_f32_e64 s2, 0x42b17218, v15
	s_delay_alu instid0(VALU_DEP_4) | instskip(SKIP_3) | instid1(VALU_DEP_2)
	v_exp_f32_e32 v16, v16
	s_waitcnt_depctr 0xfff
	v_ldexp_f32 v16, v16, v17
	v_add_nc_u32_e32 v17, s21, v12
	v_cndmask_b32_e32 v16, 0, v16, vcc_lo
	v_add_co_u32 v1, vcc_lo, v1, s17
	v_add_co_ci_u32_e32 v2, vcc_lo, 0, v2, vcc_lo
	s_delay_alu instid0(VALU_DEP_3)
	v_cndmask_b32_e64 v15, 0x7f800000, v16, s2
	v_cmp_le_i32_e32 vcc_lo, s19, v13
	v_add_nc_u32_e32 v12, s17, v12
	s_or_b32 s3, vcc_lo, s3
	s_waitcnt vmcnt(0)
	v_fmac_f32_e32 v11, v14, v15
	v_mul_f32_e32 v16, v14, v15
	ds_store_b32 v17, v16
	s_and_not1_b32 exec_lo, exec_lo, s3
	s_cbranch_execnz .LBB13_11
; %bb.12:
	s_set_inst_prefetch_distance 0x2
	s_or_b32 exec_lo, exec_lo, s3
.LBB13_13:
	s_delay_alu instid0(SALU_CYCLE_1)
	s_or_b32 exec_lo, exec_lo, s22
	ds_bpermute_b32 v1, v5, v11
	s_waitcnt lgkmcnt(0)
	s_barrier
	buffer_gl0_inv
	v_add_f32_e32 v1, v11, v1
	ds_bpermute_b32 v2, v6, v1
	s_waitcnt lgkmcnt(0)
	v_add_f32_e32 v1, v1, v2
	ds_bpermute_b32 v2, v7, v1
	s_waitcnt lgkmcnt(0)
	;; [unrolled: 3-line block ×4, first 2 shown]
	v_add_f32_e32 v1, v1, v2
	s_and_saveexec_b32 s2, s0
	s_cbranch_execz .LBB13_15
; %bb.14:
	ds_store_b32 v8, v1 offset:16
.LBB13_15:
	s_or_b32 exec_lo, exec_lo, s2
	s_waitcnt lgkmcnt(0)
	s_barrier
	buffer_gl0_inv
	s_and_saveexec_b32 s0, s1
	s_cbranch_execz .LBB13_17
; %bb.16:
	ds_load_b32 v1, v9 offset:16
.LBB13_17:
	s_or_b32 exec_lo, exec_lo, s0
	s_waitcnt lgkmcnt(0)
	ds_bpermute_b32 v2, v3, v1
	s_mov_b32 s0, exec_lo
	s_waitcnt lgkmcnt(0)
	v_add_f32_e32 v1, v1, v2
	ds_bpermute_b32 v2, v4, v1
	s_waitcnt lgkmcnt(0)
	v_dual_add_f32 v1, v1, v2 :: v_dual_mov_b32 v2, 0
	ds_bpermute_b32 v2, v2, v1
	v_cmpx_gt_u32_e32 0x80, v0
	s_cbranch_execz .LBB13_25
; %bb.18:
	s_cmp_gt_i32 s20, 0
	s_mov_b32 s1, 0
	s_cbranch_scc1 .LBB13_20
; %bb.19:
	v_mov_b32_e32 v1, 0
	s_branch .LBB13_21
.LBB13_20:
	s_mov_b32 s1, -1
.LBB13_21:
	s_delay_alu instid0(SALU_CYCLE_1) | instskip(SKIP_1) | instid1(VALU_DEP_2)
	v_cndmask_b32_e64 v3, 0, 1, s1
	v_mov_b32_e32 v4, s1
	v_cmp_ne_u32_e32 vcc_lo, 1, v3
	s_cbranch_vccnz .LBB13_24
; %bb.22:
	s_waitcnt lgkmcnt(0)
	v_add_f32_e32 v4, 0x358637bd, v2
	s_lshl_b32 s12, s12, 7
	s_lshl_b32 s16, s16, 7
	s_ashr_i32 s13, s12, 31
	s_ashr_i32 s17, s16, 31
	v_div_scale_f32 v2, null, v4, v4, 1.0
	s_lshl_b64 s[12:13], s[12:13], 2
	s_lshl_b64 s[16:17], s[16:17], 2
	s_max_i32 s1, s19, 1
	s_delay_alu instid0(VALU_DEP_1)
	v_rcp_f32_e32 v3, v2
	s_add_i32 s2, s21, 32
	s_add_u32 s3, s12, s16
	s_addc_u32 s12, s13, s17
	s_add_u32 s3, s4, s3
	s_addc_u32 s12, s5, s12
	s_waitcnt_depctr 0xfff
	v_fma_f32 v1, -v2, v3, 1.0
	s_delay_alu instid0(VALU_DEP_1) | instskip(SKIP_1) | instid1(VALU_DEP_1)
	v_fmac_f32_e32 v3, v1, v3
	v_div_scale_f32 v5, vcc_lo, 1.0, v4, 1.0
	v_dual_mov_b32 v1, 0 :: v_dual_mul_f32 v6, v5, v3
	s_delay_alu instid0(VALU_DEP_1) | instskip(NEXT) | instid1(VALU_DEP_1)
	v_fma_f32 v7, -v2, v6, v5
	v_dual_fmac_f32 v6, v7, v3 :: v_dual_lshlrev_b32 v7, 2, v0
	s_delay_alu instid0(VALU_DEP_1) | instskip(NEXT) | instid1(VALU_DEP_1)
	v_fma_f32 v2, -v2, v6, v5
	v_div_fmas_f32 v5, v2, v3, v6
	s_delay_alu instid0(VALU_DEP_3) | instskip(NEXT) | instid1(VALU_DEP_1)
	v_add_co_u32 v2, s3, s3, v7
	v_add_co_ci_u32_e64 v3, null, s12, 0, s3
	s_delay_alu instid0(VALU_DEP_3)
	v_div_fixup_f32 v5, v5, v4, 1.0
	v_mov_b32_e32 v4, v1
.LBB13_23:                              ; =>This Inner Loop Header: Depth=1
	global_load_b32 v6, v[2:3], off
	v_mov_b32_e32 v7, s2
	v_add_co_u32 v2, vcc_lo, 0x200, v2
	v_add_co_ci_u32_e32 v3, vcc_lo, 0, v3, vcc_lo
	ds_load_b32 v7, v7
	s_add_i32 s1, s1, -1
	s_add_i32 s2, s2, 4
	s_cmp_eq_u32 s1, 0
	s_waitcnt vmcnt(0) lgkmcnt(0)
	v_mul_f32_e32 v6, v6, v7
	s_delay_alu instid0(VALU_DEP_1)
	v_fmac_f32_e32 v4, v5, v6
	s_cbranch_scc0 .LBB13_23
.LBB13_24:
	s_lshl_b32 s2, s18, 7
	s_waitcnt lgkmcnt(0)
	v_lshlrev_b64 v[1:2], 2, v[0:1]
	s_ashr_i32 s3, s2, 31
	s_delay_alu instid0(SALU_CYCLE_1) | instskip(NEXT) | instid1(SALU_CYCLE_1)
	s_lshl_b64 s[2:3], s[2:3], 2
	s_add_u32 s1, s6, s2
	s_addc_u32 s12, s7, s3
	s_lshl_b32 s2, s14, 7
	s_delay_alu instid0(SALU_CYCLE_1) | instskip(NEXT) | instid1(SALU_CYCLE_1)
	s_ashr_i32 s3, s2, 31
	s_lshl_b64 s[2:3], s[2:3], 2
	s_delay_alu instid0(SALU_CYCLE_1)
	s_add_u32 s1, s1, s2
	s_addc_u32 s2, s12, s3
	v_add_co_u32 v1, vcc_lo, s1, v1
	v_add_co_ci_u32_e32 v2, vcc_lo, s2, v2, vcc_lo
	global_store_b32 v[1:2], v4, off
.LBB13_25:
	s_or_b32 exec_lo, exec_lo, s0
	s_mov_b32 s2, 0
.LBB13_26:
	s_delay_alu instid0(SALU_CYCLE_1)
	s_and_b32 vcc_lo, exec_lo, s2
	s_cbranch_vccz .LBB13_30
; %bb.27:
	s_mov_b32 s0, exec_lo
	v_cmpx_gt_u32_e32 0x80, v0
	s_cbranch_execz .LBB13_30
; %bb.28:
	s_mul_i32 s15, s15, s10
	s_load_b32 s8, s[8:9], 0xc
	s_lshl_b32 s0, s15, 7
	s_waitcnt lgkmcnt(0)
	v_dual_mov_b32 v2, 0 :: v_dual_lshlrev_b32 v1, 2, v0
	s_ashr_i32 s1, s0, 31
	s_delay_alu instid0(SALU_CYCLE_1) | instskip(NEXT) | instid1(SALU_CYCLE_1)
	s_lshl_b64 s[0:1], s[0:1], 2
	s_add_u32 s6, s6, s0
	s_addc_u32 s7, s7, s1
	s_lshl_b32 s0, s14, 7
	s_mul_i32 s14, s14, s11
	s_ashr_i32 s1, s0, 31
	s_delay_alu instid0(SALU_CYCLE_1) | instskip(SKIP_4) | instid1(SALU_CYCLE_1)
	s_lshl_b64 s[2:3], s[0:1], 2
	s_mul_i32 s0, s11, s15
	s_add_u32 s1, s6, s2
	s_addc_u32 s2, s7, s3
	s_lshl_b32 s6, s0, 7
	s_ashr_i32 s7, s6, 31
	s_delay_alu instid0(SALU_CYCLE_1) | instskip(NEXT) | instid1(SALU_CYCLE_1)
	s_lshl_b64 s[6:7], s[6:7], 2
	s_add_u32 s0, s4, s6
	s_addc_u32 s6, s5, s7
	s_lshl_b32 s4, s14, 7
	s_delay_alu instid0(SALU_CYCLE_1) | instskip(NEXT) | instid1(SALU_CYCLE_1)
	s_ashr_i32 s5, s4, 31
	s_lshl_b64 s[4:5], s[4:5], 2
	s_delay_alu instid0(SALU_CYCLE_1)
	s_add_u32 s3, s0, s4
	s_addc_u32 s4, s6, s5
	s_and_b32 s5, s8, 0xffff
	s_mov_b32 s6, 0
	s_lshl_b32 s7, s5, 2
	.p2align	6
.LBB13_29:                              ; =>This Inner Loop Header: Depth=1
	v_add_co_u32 v3, vcc_lo, s3, v1
	v_add_co_ci_u32_e32 v4, vcc_lo, s4, v2, vcc_lo
	v_add_nc_u32_e32 v0, s5, v0
	global_load_b32 v5, v[3:4], off
	v_add_co_u32 v3, vcc_lo, s1, v1
	v_add_co_ci_u32_e32 v4, vcc_lo, s2, v2, vcc_lo
	v_cmp_lt_u32_e32 vcc_lo, 0x7f, v0
	v_add_co_u32 v1, s0, v1, s7
	s_delay_alu instid0(VALU_DEP_1)
	v_add_co_ci_u32_e64 v2, s0, 0, v2, s0
	s_or_b32 s6, vcc_lo, s6
	s_waitcnt vmcnt(0)
	global_store_b32 v[3:4], v5, off
	s_and_not1_b32 exec_lo, exec_lo, s6
	s_cbranch_execnz .LBB13_29
.LBB13_30:
	s_nop 0
	s_sendmsg sendmsg(MSG_DEALLOC_VGPRS)
	s_endpgm
	.section	.rodata,"a",@progbits
	.p2align	6, 0x0
	.amdhsa_kernel _ZN4vllm32paged_attention_v2_reduce_kernelIfLi128ELi128ELi512EEEvPT_PKfS4_PKS1_PKii
		.amdhsa_group_segment_fixed_size 32
		.amdhsa_private_segment_fixed_size 0
		.amdhsa_kernarg_size 304
		.amdhsa_user_sgpr_count 14
		.amdhsa_user_sgpr_dispatch_ptr 0
		.amdhsa_user_sgpr_queue_ptr 0
		.amdhsa_user_sgpr_kernarg_segment_ptr 1
		.amdhsa_user_sgpr_dispatch_id 0
		.amdhsa_user_sgpr_private_segment_size 0
		.amdhsa_wavefront_size32 1
		.amdhsa_uses_dynamic_stack 0
		.amdhsa_enable_private_segment 0
		.amdhsa_system_sgpr_workgroup_id_x 1
		.amdhsa_system_sgpr_workgroup_id_y 1
		.amdhsa_system_sgpr_workgroup_id_z 0
		.amdhsa_system_sgpr_workgroup_info 0
		.amdhsa_system_vgpr_workitem_id 0
		.amdhsa_next_free_vgpr 19
		.amdhsa_next_free_sgpr 29
		.amdhsa_reserve_vcc 1
		.amdhsa_float_round_mode_32 0
		.amdhsa_float_round_mode_16_64 0
		.amdhsa_float_denorm_mode_32 3
		.amdhsa_float_denorm_mode_16_64 3
		.amdhsa_dx10_clamp 1
		.amdhsa_ieee_mode 1
		.amdhsa_fp16_overflow 0
		.amdhsa_workgroup_processor_mode 1
		.amdhsa_memory_ordered 1
		.amdhsa_forward_progress 0
		.amdhsa_shared_vgpr_count 0
		.amdhsa_exception_fp_ieee_invalid_op 0
		.amdhsa_exception_fp_denorm_src 0
		.amdhsa_exception_fp_ieee_div_zero 0
		.amdhsa_exception_fp_ieee_overflow 0
		.amdhsa_exception_fp_ieee_underflow 0
		.amdhsa_exception_fp_ieee_inexact 0
		.amdhsa_exception_int_div_zero 0
	.end_amdhsa_kernel
	.section	.text._ZN4vllm32paged_attention_v2_reduce_kernelIfLi128ELi128ELi512EEEvPT_PKfS4_PKS1_PKii,"axG",@progbits,_ZN4vllm32paged_attention_v2_reduce_kernelIfLi128ELi128ELi512EEEvPT_PKfS4_PKS1_PKii,comdat
.Lfunc_end13:
	.size	_ZN4vllm32paged_attention_v2_reduce_kernelIfLi128ELi128ELi512EEEvPT_PKfS4_PKS1_PKii, .Lfunc_end13-_ZN4vllm32paged_attention_v2_reduce_kernelIfLi128ELi128ELi512EEEvPT_PKfS4_PKS1_PKii
                                        ; -- End function
	.section	.AMDGPU.csdata,"",@progbits
; Kernel info:
; codeLenInByte = 2032
; NumSgprs: 31
; NumVgprs: 19
; ScratchSize: 0
; MemoryBound: 0
; FloatMode: 240
; IeeeMode: 1
; LDSByteSize: 32 bytes/workgroup (compile time only)
; SGPRBlocks: 3
; VGPRBlocks: 2
; NumSGPRsForWavesPerEU: 31
; NumVGPRsForWavesPerEU: 19
; Occupancy: 16
; WaveLimiterHint : 0
; COMPUTE_PGM_RSRC2:SCRATCH_EN: 0
; COMPUTE_PGM_RSRC2:USER_SGPR: 14
; COMPUTE_PGM_RSRC2:TRAP_HANDLER: 0
; COMPUTE_PGM_RSRC2:TGID_X_EN: 1
; COMPUTE_PGM_RSRC2:TGID_Y_EN: 1
; COMPUTE_PGM_RSRC2:TGID_Z_EN: 0
; COMPUTE_PGM_RSRC2:TIDIG_COMP_CNT: 0
	.section	.text._ZN4vllm25paged_attention_v2_kernelIffLi192ELi8ELi128ELNS_18Fp8KVCacheDataTypeE0ELb1ELi512EEEvPfS2_PT_PKS3_PKT0_S9_ifPKiSB_iPKfiiiSD_SD_iiiii,"axG",@progbits,_ZN4vllm25paged_attention_v2_kernelIffLi192ELi8ELi128ELNS_18Fp8KVCacheDataTypeE0ELb1ELi512EEEvPfS2_PT_PKS3_PKT0_S9_ifPKiSB_iPKfiiiSD_SD_iiiii,comdat
	.protected	_ZN4vllm25paged_attention_v2_kernelIffLi192ELi8ELi128ELNS_18Fp8KVCacheDataTypeE0ELb1ELi512EEEvPfS2_PT_PKS3_PKT0_S9_ifPKiSB_iPKfiiiSD_SD_iiiii ; -- Begin function _ZN4vllm25paged_attention_v2_kernelIffLi192ELi8ELi128ELNS_18Fp8KVCacheDataTypeE0ELb1ELi512EEEvPfS2_PT_PKS3_PKT0_S9_ifPKiSB_iPKfiiiSD_SD_iiiii
	.globl	_ZN4vllm25paged_attention_v2_kernelIffLi192ELi8ELi128ELNS_18Fp8KVCacheDataTypeE0ELb1ELi512EEEvPfS2_PT_PKS3_PKT0_S9_ifPKiSB_iPKfiiiSD_SD_iiiii
	.p2align	8
	.type	_ZN4vllm25paged_attention_v2_kernelIffLi192ELi8ELi128ELNS_18Fp8KVCacheDataTypeE0ELb1ELi512EEEvPfS2_PT_PKS3_PKT0_S9_ifPKiSB_iPKfiiiSD_SD_iiiii,@function
_ZN4vllm25paged_attention_v2_kernelIffLi192ELi8ELi128ELNS_18Fp8KVCacheDataTypeE0ELb1ELi512EEEvPfS2_PT_PKS3_PKT0_S9_ifPKiSB_iPKfiiiSD_SD_iiiii: ; @_ZN4vllm25paged_attention_v2_kernelIffLi192ELi8ELi128ELNS_18Fp8KVCacheDataTypeE0ELb1ELi512EEEvPfS2_PT_PKS3_PKT0_S9_ifPKiSB_iPKfiiiSD_SD_iiiii
; %bb.0:
	s_load_b64 s[2:3], s[0:1], 0x40
	s_mov_b32 s12, s15
	s_ashr_i32 s15, s14, 31
	s_delay_alu instid0(SALU_CYCLE_1)
	s_lshl_b64 s[4:5], s[14:15], 2
	s_waitcnt lgkmcnt(0)
	s_add_u32 s2, s2, s4
	s_addc_u32 s3, s3, s5
	s_lshl_b32 s38, s12, 9
	s_load_b32 s33, s[2:3], 0x0
	s_waitcnt lgkmcnt(0)
	s_cmp_ge_i32 s38, s33
	s_cbranch_scc1 .LBB14_103
; %bb.1:
	s_mov_b32 s30, s13
	s_clause 0x1
	s_load_b32 s13, s[0:1], 0x90
	s_load_b64 s[36:37], s[0:1], 0x30
	s_mov_b32 s40, 0
	s_waitcnt lgkmcnt(0)
	s_abs_i32 s5, s13
	s_abs_i32 s2, s36
	s_delay_alu instid0(SALU_CYCLE_1) | instskip(SKIP_1) | instid1(VALU_DEP_1)
	v_cvt_f32_u32_e32 v1, s2
	s_sub_i32 s4, 0, s2
	v_rcp_iflag_f32_e32 v1, v1
	s_waitcnt_depctr 0xfff
	v_mul_f32_e32 v1, 0x4f7ffffe, v1
	s_delay_alu instid0(VALU_DEP_1) | instskip(NEXT) | instid1(VALU_DEP_1)
	v_cvt_u32_f32_e32 v1, v1
	v_readfirstlane_b32 s3, v1
	s_delay_alu instid0(VALU_DEP_1) | instskip(NEXT) | instid1(SALU_CYCLE_1)
	s_mul_i32 s4, s4, s3
	s_mul_hi_u32 s4, s3, s4
	s_delay_alu instid0(SALU_CYCLE_1) | instskip(SKIP_4) | instid1(SALU_CYCLE_1)
	s_add_i32 s3, s3, s4
	s_xor_b32 s4, s13, s36
	s_mul_hi_u32 s3, s5, s3
	s_ashr_i32 s4, s4, 31
	s_mul_i32 s6, s3, s2
	s_sub_i32 s5, s5, s6
	s_add_i32 s6, s3, 1
	s_sub_i32 s7, s5, s2
	s_cmp_ge_u32 s5, s2
	s_cselect_b32 s3, s6, s3
	s_cselect_b32 s5, s7, s5
	s_add_i32 s6, s3, 1
	s_cmp_ge_u32 s5, s2
	s_cselect_b32 s2, s6, s3
	s_abs_i32 s35, s30
	s_xor_b32 s2, s2, s4
	s_delay_alu instid0(SALU_CYCLE_1) | instskip(SKIP_2) | instid1(SALU_CYCLE_1)
	s_sub_i32 s20, s2, s4
	s_load_b64 s[2:3], s[0:1], 0x50
	s_abs_i32 s34, s20
	v_cvt_f32_u32_e32 v1, s34
	s_sub_i32 s4, 0, s34
	s_delay_alu instid0(VALU_DEP_1) | instskip(SKIP_2) | instid1(VALU_DEP_1)
	v_rcp_iflag_f32_e32 v1, v1
	s_waitcnt_depctr 0xfff
	v_mul_f32_e32 v1, 0x4f7ffffe, v1
	v_cvt_u32_f32_e32 v1, v1
	s_delay_alu instid0(VALU_DEP_1) | instskip(NEXT) | instid1(VALU_DEP_1)
	v_readfirstlane_b32 s21, v1
	s_mul_i32 s4, s4, s21
	s_delay_alu instid0(SALU_CYCLE_1) | instskip(NEXT) | instid1(SALU_CYCLE_1)
	s_mul_hi_u32 s4, s21, s4
	s_add_i32 s21, s21, s4
	s_waitcnt lgkmcnt(0)
	s_cmp_eq_u64 s[2:3], 0
	s_cbranch_scc1 .LBB14_3
; %bb.2:
	s_ashr_i32 s31, s30, 31
	s_delay_alu instid0(SALU_CYCLE_1) | instskip(NEXT) | instid1(SALU_CYCLE_1)
	s_lshl_b64 s[4:5], s[30:31], 2
	s_add_u32 s2, s2, s4
	s_addc_u32 s3, s3, s5
	s_load_b32 s40, s[2:3], 0x0
.LBB14_3:
	s_clause 0x5
	s_load_b128 s[16:19], s[0:1], 0x0
	s_load_b64 s[24:25], s[0:1], 0x10
	s_load_b128 s[8:11], s[0:1], 0x20
	s_load_b64 s[28:29], s[0:1], 0x38
	s_load_b32 s15, s[0:1], 0x98
	s_load_b128 s[4:7], s[0:1], 0x58
	v_and_b32_e32 v6, 3, v0
	s_mul_i32 s26, s30, 0xc0
	s_mul_hi_u32 s3, s35, s21
	s_ashr_i32 s27, s26, 31
	s_waitcnt lgkmcnt(0)
	s_mov_b32 s7, exec_lo
	v_cmpx_gt_u32_e32 0xc0, v0
	s_cbranch_execz .LBB14_6
; %bb.4:
	s_load_b64 s[22:23], s[0:1], 0x18
	v_and_b32_e32 v1, 0x3fc, v0
	s_mul_i32 s42, s14, s4
	s_lshl_b64 s[44:45], s[26:27], 2
	s_ashr_i32 s43, s42, 31
	v_lshrrev_b32_e32 v2, 2, v0
	v_or_b32_e32 v5, v1, v6
	s_lshl_b64 s[42:43], s[42:43], 2
	v_mad_u32_u24 v4, 0xc0, v6, v1
	s_add_u32 s2, s42, s44
	s_addc_u32 s4, s43, s45
	v_lshlrev_b32_e32 v1, 2, v5
	v_subrev_nc_u32_e32 v3, 32, v2
	s_waitcnt lgkmcnt(0)
	s_add_u32 s2, s22, s2
	s_addc_u32 s4, s23, s4
	v_add_co_u32 v1, s2, s2, v1
	s_delay_alu instid0(VALU_DEP_1)
	v_add_co_ci_u32_e64 v2, null, s4, 0, s2
	s_mov_b32 s4, 0
.LBB14_5:                               ; =>This Inner Loop Header: Depth=1
	global_load_b32 v5, v[1:2], off
	v_add_nc_u32_e32 v3, 32, v3
	v_add_co_u32 v1, vcc_lo, 0x200, v1
	v_add_co_ci_u32_e32 v2, vcc_lo, 0, v2, vcc_lo
	s_delay_alu instid0(VALU_DEP_3) | instskip(NEXT) | instid1(VALU_DEP_1)
	v_cmp_lt_u32_e64 s2, 15, v3
	s_or_b32 s4, s2, s4
	s_waitcnt vmcnt(0)
	ds_store_b32 v4, v5
	v_add_nc_u32_e32 v4, 0x80, v4
	s_and_not1_b32 exec_lo, exec_lo, s4
	s_cbranch_execnz .LBB14_5
.LBB14_6:
	s_or_b32 exec_lo, exec_lo, s7
	s_ashr_i32 s4, s20, 31
	s_load_b128 s[20:23], s[0:1], 0x78
	s_ashr_i32 s2, s30, 31
	s_mul_i32 s7, s3, s34
	s_xor_b32 s2, s2, s4
	s_sub_i32 s4, s35, s7
	s_add_i32 s7, s3, 1
	s_sub_i32 s27, s4, s34
	s_cmp_ge_u32 s4, s34
	s_mov_b32 s39, -1
	s_cselect_b32 s3, s7, s3
	s_cselect_b32 s4, s27, s4
	s_add_i32 s7, s3, 1
	s_cmp_ge_u32 s4, s34
	s_waitcnt lgkmcnt(0)
	s_cselect_b32 s3, s7, s3
	s_load_b32 s7, s[0:1], 0x88
	s_xor_b32 s3, s3, s2
	s_add_i32 s35, s33, -1
	s_sub_i32 s2, s3, s2
	s_abs_i32 s34, s35
	s_abs_i32 s4, s23
	s_waitcnt lgkmcnt(0)
	s_barrier
	v_cvt_f32_u32_e32 v1, s4
	s_sub_i32 s3, 0, s4
	buffer_gl0_inv
                                        ; implicit-def: $sgpr31
	v_rcp_iflag_f32_e32 v1, v1
	s_waitcnt_depctr 0xfff
	v_mul_f32_e32 v1, 0x4f7ffffe, v1
	s_delay_alu instid0(VALU_DEP_1) | instskip(NEXT) | instid1(VALU_DEP_1)
	v_cvt_u32_f32_e32 v1, v1
	v_readfirstlane_b32 s27, v1
	s_delay_alu instid0(VALU_DEP_1) | instskip(NEXT) | instid1(SALU_CYCLE_1)
	s_mul_i32 s3, s3, s27
	s_mul_hi_u32 s3, s27, s3
	s_delay_alu instid0(SALU_CYCLE_1)
	s_add_i32 s27, s27, s3
	s_cmp_lt_i32 s7, 0
	s_mul_hi_u32 s3, s34, s27
	s_cbranch_scc0 .LBB14_8
; %bb.7:
	s_mul_i32 s31, s20, s36
	s_mov_b32 s39, 0
	s_add_i32 s31, s2, s31
	s_delay_alu instid0(SALU_CYCLE_1) | instskip(NEXT) | instid1(SALU_CYCLE_1)
	s_mul_i32 s31, s31, s7
	s_sub_i32 s31, 1, s31
.LBB14_8:
	s_ashr_i32 s35, s35, 31
	s_and_not1_b32 vcc_lo, exec_lo, s39
	s_ashr_i32 s23, s23, 31
	s_cbranch_vccnz .LBB14_10
; %bb.9:
	s_mul_i32 s20, s13, s20
	s_delay_alu instid0(SALU_CYCLE_1) | instskip(NEXT) | instid1(SALU_CYCLE_1)
	s_add_i32 s20, s20, s30
	s_mul_i32 s7, s20, s7
	s_delay_alu instid0(SALU_CYCLE_1)
	s_add_i32 s31, s7, 1
.LBB14_10:
	s_load_b32 s0, s[0:1], 0x48
	s_mul_i32 s7, s3, s4
	s_xor_b32 s1, s35, s23
	s_sub_i32 s7, s34, s7
	s_add_i32 s20, s3, 1
	v_lshrrev_b32_e32 v56, 5, v0
	v_mov_b32_e32 v4, 0xff7fffff
	v_mbcnt_lo_u32_b32 v3, -1, 0
	s_mul_i32 s6, s2, s6
	s_delay_alu instid0(VALU_DEP_3)
	v_lshl_add_u32 v57, v56, 3, s38
	s_waitcnt lgkmcnt(0)
	s_mul_i32 s34, s14, s0
	s_sub_i32 s0, s7, s4
	s_ashr_i32 s35, s34, 31
	s_cmp_ge_u32 s7, s4
	s_cselect_b32 s3, s20, s3
	s_cselect_b32 s0, s0, s7
	s_add_i32 s7, s3, 1
	s_cmp_ge_u32 s0, s4
	s_cselect_b32 s0, s7, s3
	s_add_i32 s3, s33, 7
	s_lshl_b32 s41, s12, 6
	s_ashr_i32 s7, s3, 31
	v_or_b32_e32 v53, s41, v56
	s_lshr_b32 s7, s7, 29
	s_delay_alu instid0(SALU_CYCLE_1)
	s_add_i32 s3, s3, s7
	s_add_i32 s7, s41, 64
	s_ashr_i32 s36, s3, 3
	s_xor_b32 s3, s0, s1
	s_min_i32 s20, s7, s36
	v_ashrrev_i32_e32 v54, 31, v53
	v_cmp_gt_i32_e64 s0, s20, v53
	s_sub_i32 s39, s3, s1
	s_delay_alu instid0(VALU_DEP_1)
	s_and_saveexec_b32 s42, s0
	s_cbranch_execz .LBB14_20
; %bb.11:
	s_ashr_i32 s7, s6, 31
	v_bfe_u32 v5, v0, 2, 3
	s_lshl_b64 s[2:3], s[6:7], 2
	s_sub_i32 s7, s39, s21
	s_add_u32 s43, s8, s2
	s_addc_u32 s9, s9, s3
	s_abs_i32 s8, s22
	v_lshlrev_b32_e32 v14, 4, v5
	v_cvt_f32_u32_e32 v1, s8
	s_sub_i32 s44, 0, s8
	v_dual_mov_b32 v8, 0xff7fffff :: v_dual_lshlrev_b32 v13, 2, v5
	s_lshl_b64 s[2:3], s[34:35], 2
	s_delay_alu instid0(VALU_DEP_2)
	v_rcp_iflag_f32_e32 v4, v1
	v_lshlrev_b32_e32 v12, 2, v6
	v_lshlrev_b64 v[1:2], 2, v[53:54]
	s_add_u32 s2, s28, s2
	v_add_co_u32 v14, s43, s43, v14
	s_addc_u32 s3, s29, s3
	v_add_co_ci_u32_e64 v17, null, s9, 0, s43
	v_lshl_or_b32 v18, v56, 5, v13
	s_waitcnt_depctr 0xfff
	v_mul_f32_e32 v11, 0x4f7ffffe, v4
	v_add_co_u32 v1, s2, s2, v1
	s_delay_alu instid0(VALU_DEP_1) | instskip(NEXT) | instid1(VALU_DEP_3)
	v_add_co_ci_u32_e64 v2, s2, s3, v2, s2
	v_cvt_u32_f32_e32 v15, v11
	v_subrev_nc_u32_e32 v11, s33, v5
	v_add_co_u32 v12, s2, v14, v12
	v_cmp_eq_u32_e32 vcc_lo, 0, v6
	s_delay_alu instid0(VALU_DEP_4)
	v_mul_lo_u32 v16, s44, v15
	v_mul_u32_u24_e32 v6, 0xc0, v6
	v_cmp_neq_f32_e64 s1, s40, 0
	v_lshl_add_u32 v7, v56, 3, s38
	v_xor_b32_e32 v9, 2, v3
	v_xor_b32_e32 v10, 1, v3
	v_dual_mov_b32 v4, 0xff7fffff :: v_dual_add_nc_u32 v11, 1, v11
	v_mul_hi_u32 v16, v15, v16
	v_add_co_ci_u32_e64 v13, s2, 0, v17, s2
	v_add_nc_u32_e32 v14, 0x320, v18
	s_mov_b32 s9, 0
	s_mov_b32 s43, s5
	s_delay_alu instid0(VALU_DEP_3)
	v_dual_mov_b32 v16, v53 :: v_dual_add_nc_u32 v15, v15, v16
	s_branch .LBB14_14
.LBB14_12:                              ;   in Loop: Header=BB14_14 Depth=1
	s_or_b32 exec_lo, exec_lo, s44
.LBB14_13:                              ;   in Loop: Header=BB14_14 Depth=1
	s_delay_alu instid0(SALU_CYCLE_1) | instskip(SKIP_2) | instid1(VALU_DEP_1)
	s_or_b32 exec_lo, exec_lo, s3
	v_add_nc_u32_e32 v16, 4, v16
	v_add_co_u32 v1, s3, v1, 16
	v_add_co_ci_u32_e64 v2, s3, 0, v2, s3
	s_delay_alu instid0(VALU_DEP_3) | instskip(SKIP_2) | instid1(VALU_DEP_3)
	v_cmp_le_i32_e64 s2, s20, v16
	v_add_nc_u32_e32 v7, 32, v7
	v_add_nc_u32_e32 v14, 0x80, v14
	s_or_b32 s9, s2, s9
	s_delay_alu instid0(SALU_CYCLE_1)
	s_and_not1_b32 exec_lo, exec_lo, s9
	s_cbranch_execz .LBB14_19
.LBB14_14:                              ; =>This Inner Loop Header: Depth=1
	v_sub_nc_u32_e32 v17, 0, v7
	s_delay_alu instid0(VALU_DEP_1) | instskip(SKIP_1) | instid1(VALU_DEP_1)
	v_max_i32_e32 v17, v7, v17
	s_waitcnt lgkmcnt(0)
	v_mul_hi_u32 v18, v17, s27
	s_delay_alu instid0(VALU_DEP_1) | instskip(NEXT) | instid1(VALU_DEP_1)
	v_mul_lo_u32 v19, v18, s4
	v_sub_nc_u32_e32 v17, v17, v19
	v_add_nc_u32_e32 v19, 1, v18
	s_delay_alu instid0(VALU_DEP_2) | instskip(SKIP_1) | instid1(VALU_DEP_1)
	v_subrev_nc_u32_e32 v20, s4, v17
	v_cmp_le_u32_e64 s2, s4, v17
	v_cndmask_b32_e64 v18, v18, v19, s2
	s_delay_alu instid0(VALU_DEP_3) | instskip(SKIP_1) | instid1(VALU_DEP_3)
	v_cndmask_b32_e64 v17, v17, v20, s2
	v_ashrrev_i32_e32 v19, 31, v7
	v_add_nc_u32_e32 v20, 1, v18
	s_delay_alu instid0(VALU_DEP_3) | instskip(NEXT) | instid1(VALU_DEP_3)
	v_cmp_le_u32_e64 s2, s4, v17
	v_xor_b32_e32 v19, s23, v19
	s_delay_alu instid0(VALU_DEP_2) | instskip(NEXT) | instid1(VALU_DEP_1)
	v_cndmask_b32_e64 v17, v18, v20, s2
	v_xor_b32_e32 v17, v17, v19
	s_delay_alu instid0(VALU_DEP_1) | instskip(NEXT) | instid1(VALU_DEP_1)
	v_sub_nc_u32_e32 v17, v17, v19
	v_add_nc_u32_e32 v18, s31, v17
	v_cmp_ge_i32_e64 s3, s7, v17
	s_delay_alu instid0(VALU_DEP_2) | instskip(NEXT) | instid1(VALU_DEP_1)
	v_sub_nc_u32_e32 v19, 0, v18
	v_max_i32_e32 v19, v18, v19
	v_ashrrev_i32_e32 v18, 31, v18
	s_delay_alu instid0(VALU_DEP_2) | instskip(NEXT) | instid1(VALU_DEP_1)
	v_mul_hi_u32 v20, v19, v15
	v_mul_lo_u32 v20, v20, s8
	s_delay_alu instid0(VALU_DEP_1) | instskip(NEXT) | instid1(VALU_DEP_1)
	v_sub_nc_u32_e32 v19, v19, v20
	v_subrev_nc_u32_e32 v20, s8, v19
	v_cmp_le_u32_e64 s2, s8, v19
	s_delay_alu instid0(VALU_DEP_1) | instskip(NEXT) | instid1(VALU_DEP_1)
	v_cndmask_b32_e64 v19, v19, v20, s2
	v_subrev_nc_u32_e32 v20, s8, v19
	v_cmp_le_u32_e64 s2, s8, v19
	s_delay_alu instid0(VALU_DEP_1) | instskip(NEXT) | instid1(VALU_DEP_1)
	v_cndmask_b32_e64 v19, v19, v20, s2
	v_xor_b32_e32 v19, v19, v18
	s_delay_alu instid0(VALU_DEP_1) | instskip(NEXT) | instid1(VALU_DEP_1)
	v_sub_nc_u32_e32 v18, v19, v18
	v_cmp_ne_u32_e64 s2, 0, v18
	s_delay_alu instid0(VALU_DEP_1) | instskip(NEXT) | instid1(SALU_CYCLE_1)
	s_and_b32 s2, s2, s3
	s_and_b32 s44, vcc_lo, s2
	s_delay_alu instid0(SALU_CYCLE_1)
	s_and_saveexec_b32 s3, s44
	s_cbranch_execz .LBB14_16
; %bb.15:                               ;   in Loop: Header=BB14_14 Depth=1
	ds_store_b32 v14, v8
.LBB14_16:                              ;   in Loop: Header=BB14_14 Depth=1
	s_or_b32 exec_lo, exec_lo, s3
	s_xor_b32 s2, s2, -1
	s_delay_alu instid0(SALU_CYCLE_1)
	s_and_saveexec_b32 s3, s2
	s_cbranch_execz .LBB14_13
; %bb.17:                               ;   in Loop: Header=BB14_14 Depth=1
	global_load_b32 v19, v[1:2], off
	s_waitcnt vmcnt(0)
	v_mad_i64_i32 v[17:18], null, v19, s43, 0
	s_delay_alu instid0(VALU_DEP_1) | instskip(NEXT) | instid1(VALU_DEP_1)
	v_lshlrev_b64 v[17:18], 2, v[17:18]
	v_add_co_u32 v17, s2, v12, v17
	s_delay_alu instid0(VALU_DEP_1)
	v_add_co_ci_u32_e64 v18, s2, v13, v18, s2
	s_clause 0x1f
	global_load_b32 v25, v[17:18], off offset:128
	global_load_b32 v26, v[17:18], off
	global_load_b32 v27, v[17:18], off offset:256
	global_load_b32 v28, v[17:18], off offset:384
	;; [unrolled: 1-line block ×30, first 2 shown]
	v_add_co_u32 v17, s2, 0x1000, v17
	s_delay_alu instid0(VALU_DEP_1)
	v_add_co_ci_u32_e64 v18, s2, 0, v18, s2
	v_cmp_gt_i32_e64 s2, 32, v9
	s_clause 0xf
	global_load_b32 v61, v[17:18], off
	global_load_b32 v62, v[17:18], off offset:128
	global_load_b32 v63, v[17:18], off offset:256
	;; [unrolled: 1-line block ×15, first 2 shown]
	ds_load_b128 v[17:20], v6
	ds_load_b128 v[21:24], v6 offset:16
	s_waitcnt vmcnt(47) lgkmcnt(1)
	v_mul_f32_e32 v25, v18, v25
	s_waitcnt vmcnt(46)
	s_delay_alu instid0(VALU_DEP_1) | instskip(SKIP_1) | instid1(VALU_DEP_1)
	v_fmac_f32_e32 v25, v17, v26
	s_waitcnt vmcnt(45)
	v_fmac_f32_e32 v25, v19, v27
	s_waitcnt vmcnt(44)
	s_delay_alu instid0(VALU_DEP_1) | instskip(SKIP_4) | instid1(VALU_DEP_1)
	v_fmac_f32_e32 v25, v20, v28
	ds_load_b128 v[17:20], v6 offset:32
	s_waitcnt vmcnt(43) lgkmcnt(1)
	v_fmac_f32_e32 v25, v21, v29
	s_waitcnt vmcnt(42)
	v_fmac_f32_e32 v25, v22, v30
	s_waitcnt vmcnt(41)
	s_delay_alu instid0(VALU_DEP_1) | instskip(SKIP_1) | instid1(VALU_DEP_1)
	v_fmac_f32_e32 v25, v23, v31
	s_waitcnt vmcnt(40)
	v_fmac_f32_e32 v25, v24, v32
	ds_load_b128 v[21:24], v6 offset:48
	s_waitcnt vmcnt(39) lgkmcnt(1)
	v_fmac_f32_e32 v25, v17, v33
	s_waitcnt vmcnt(38)
	s_delay_alu instid0(VALU_DEP_1) | instskip(SKIP_1) | instid1(VALU_DEP_1)
	v_fmac_f32_e32 v25, v18, v34
	s_waitcnt vmcnt(37)
	v_fmac_f32_e32 v25, v19, v35
	s_waitcnt vmcnt(36)
	s_delay_alu instid0(VALU_DEP_1) | instskip(SKIP_4) | instid1(VALU_DEP_1)
	v_fmac_f32_e32 v25, v20, v36
	ds_load_b128 v[17:20], v6 offset:64
	s_waitcnt vmcnt(35) lgkmcnt(1)
	v_fmac_f32_e32 v25, v21, v37
	s_waitcnt vmcnt(34)
	v_fmac_f32_e32 v25, v22, v38
	s_waitcnt vmcnt(33)
	s_delay_alu instid0(VALU_DEP_1) | instskip(SKIP_1) | instid1(VALU_DEP_1)
	v_fmac_f32_e32 v25, v23, v39
	s_waitcnt vmcnt(32)
	v_fmac_f32_e32 v25, v24, v40
	ds_load_b128 v[21:24], v6 offset:80
	s_waitcnt vmcnt(31) lgkmcnt(1)
	v_fmac_f32_e32 v25, v17, v41
	;; [unrolled: 21-line block ×5, first 2 shown]
	v_cndmask_b32_e64 v17, v3, v9, s2
	v_cmp_gt_i32_e64 s2, 32, v10
	s_waitcnt vmcnt(6)
	s_delay_alu instid0(VALU_DEP_3) | instskip(NEXT) | instid1(VALU_DEP_3)
	v_fmac_f32_e32 v25, v18, v70
	v_lshlrev_b32_e32 v17, 2, v17
	s_delay_alu instid0(VALU_DEP_3) | instskip(SKIP_1) | instid1(VALU_DEP_1)
	v_cndmask_b32_e64 v18, v3, v10, s2
	s_waitcnt vmcnt(5)
	v_dual_fmac_f32 v25, v19, v71 :: v_dual_lshlrev_b32 v18, 2, v18
	s_waitcnt vmcnt(4)
	s_delay_alu instid0(VALU_DEP_1) | instskip(SKIP_1) | instid1(VALU_DEP_1)
	v_fmac_f32_e32 v25, v20, v72
	s_waitcnt vmcnt(3) lgkmcnt(0)
	v_fmac_f32_e32 v25, v21, v73
	s_waitcnt vmcnt(2)
	s_delay_alu instid0(VALU_DEP_1) | instskip(SKIP_1) | instid1(VALU_DEP_1)
	v_fmac_f32_e32 v25, v22, v74
	s_waitcnt vmcnt(1)
	v_fmac_f32_e32 v25, v23, v75
	s_waitcnt vmcnt(0)
	s_delay_alu instid0(VALU_DEP_1)
	v_fmac_f32_e32 v25, v24, v76
	ds_bpermute_b32 v17, v17, v25
	s_waitcnt lgkmcnt(0)
	v_add_f32_e32 v17, v25, v17
	ds_bpermute_b32 v18, v18, v17
	s_and_saveexec_b32 s44, vcc_lo
	s_cbranch_execz .LBB14_12
; %bb.18:                               ;   in Loop: Header=BB14_14 Depth=1
	s_waitcnt lgkmcnt(0)
	v_add_f32_e32 v17, v17, v18
	v_add_nc_u32_e32 v19, v11, v7
	s_delay_alu instid0(VALU_DEP_1) | instskip(NEXT) | instid1(VALU_DEP_1)
	v_cvt_f32_i32_e32 v19, v19
	v_mul_f32_e32 v19, s40, v19
	s_delay_alu instid0(VALU_DEP_1) | instskip(NEXT) | instid1(VALU_DEP_1)
	v_cndmask_b32_e64 v18, 0, v19, s1
	v_dual_max_f32 v19, v4, v4 :: v_dual_fmac_f32 v18, s37, v17
	v_add_nc_u32_e32 v17, v5, v7
	s_delay_alu instid0(VALU_DEP_2) | instskip(NEXT) | instid1(VALU_DEP_2)
	v_max_f32_e32 v19, v19, v18
	v_cmp_gt_i32_e64 s2, s33, v17
	s_delay_alu instid0(VALU_DEP_1) | instskip(NEXT) | instid1(VALU_DEP_3)
	v_cndmask_b32_e64 v17, 0, v18, s2
	v_cndmask_b32_e64 v4, v4, v19, s2
	ds_store_b32 v14, v17
	s_branch .LBB14_12
.LBB14_19:
	s_or_b32 exec_lo, exec_lo, s9
.LBB14_20:
	s_delay_alu instid0(SALU_CYCLE_1) | instskip(SKIP_4) | instid1(VALU_DEP_4)
	s_or_b32 exec_lo, exec_lo, s42
	v_xor_b32_e32 v1, 16, v3
	v_xor_b32_e32 v5, 8, v3
	v_max_f32_e32 v6, v4, v4
	v_and_b32_e32 v58, 31, v0
	v_cmp_gt_i32_e32 vcc_lo, 32, v1
	v_cndmask_b32_e32 v1, v3, v1, vcc_lo
	v_cmp_gt_i32_e32 vcc_lo, 32, v5
	s_delay_alu instid0(VALU_DEP_2) | instskip(SKIP_4) | instid1(VALU_DEP_1)
	v_lshlrev_b32_e32 v2, 2, v1
	ds_bpermute_b32 v1, v2, v4
	v_cndmask_b32_e32 v4, v3, v5, vcc_lo
	s_waitcnt lgkmcnt(0)
	v_max_f32_e32 v1, v1, v1
	v_max_f32_e32 v1, v6, v1
	v_xor_b32_e32 v6, 4, v3
	s_delay_alu instid0(VALU_DEP_1) | instskip(SKIP_2) | instid1(VALU_DEP_2)
	v_cmp_gt_i32_e32 vcc_lo, 32, v6
	v_cndmask_b32_e32 v6, v3, v6, vcc_lo
	v_cmp_eq_u32_e32 vcc_lo, 0, v58
	v_lshlrev_b32_e32 v7, 2, v6
	v_lshlrev_b32_e32 v4, 2, v4
	ds_bpermute_b32 v5, v4, v1
	s_waitcnt lgkmcnt(0)
	v_max_f32_e32 v5, v5, v5
	s_delay_alu instid0(VALU_DEP_1)
	v_max_f32_e32 v1, v1, v5
	v_lshlrev_b32_e32 v5, 2, v56
	ds_bpermute_b32 v6, v7, v1
	s_and_saveexec_b32 s1, vcc_lo
	s_cbranch_execz .LBB14_22
; %bb.21:
	s_waitcnt lgkmcnt(0)
	v_dual_max_f32 v6, v6, v6 :: v_dual_max_f32 v1, v1, v1
	s_delay_alu instid0(VALU_DEP_1)
	v_max_f32_e32 v1, v1, v6
	ds_store_b32 v5, v1 offset:768
.LBB14_22:
	s_or_b32 exec_lo, exec_lo, s1
	v_cmp_gt_u32_e64 s1, 4, v58
	s_waitcnt lgkmcnt(0)
	v_dual_mov_b32 v1, 0xff7fffff :: v_dual_lshlrev_b32 v6, 2, v58
	s_barrier
	buffer_gl0_inv
	s_and_saveexec_b32 s2, s1
	s_cbranch_execz .LBB14_24
; %bb.23:
	ds_load_b32 v1, v6 offset:768
.LBB14_24:
	s_or_b32 exec_lo, exec_lo, s2
	v_xor_b32_e32 v8, 2, v3
	v_xor_b32_e32 v10, 1, v3
	s_delay_alu instid0(VALU_DEP_2) | instskip(NEXT) | instid1(VALU_DEP_1)
	v_cmp_gt_i32_e64 s2, 32, v8
	v_cndmask_b32_e64 v8, v3, v8, s2
	s_delay_alu instid0(VALU_DEP_3) | instskip(NEXT) | instid1(VALU_DEP_2)
	v_cmp_gt_i32_e64 s2, 32, v10
	v_lshlrev_b32_e32 v8, 2, v8
	s_delay_alu instid0(VALU_DEP_2) | instskip(SKIP_1) | instid1(SALU_CYCLE_1)
	v_cndmask_b32_e64 v3, v3, v10, s2
	s_sub_i32 s2, s20, s41
	s_lshl_b32 s2, s2, 3
	s_waitcnt lgkmcnt(0)
	ds_bpermute_b32 v9, v8, v1
	v_max_f32_e32 v1, v1, v1
	v_lshlrev_b32_e32 v59, 2, v3
	s_add_i32 s2, s2, s38
	s_delay_alu instid0(SALU_CYCLE_1) | instskip(NEXT) | instid1(SALU_CYCLE_1)
	s_min_i32 s2, s2, s33
	s_sub_i32 s7, s2, s38
	s_delay_alu instid0(SALU_CYCLE_1) | instskip(SKIP_2) | instid1(VALU_DEP_1)
	v_cmp_gt_i32_e64 s2, s7, v0
	s_waitcnt lgkmcnt(0)
	v_max_f32_e32 v9, v9, v9
	v_max_f32_e32 v1, v1, v9
	v_mov_b32_e32 v9, 0
	ds_bpermute_b32 v3, v59, v1
	s_waitcnt lgkmcnt(0)
	v_max_f32_e32 v3, v3, v3
	s_delay_alu instid0(VALU_DEP_1)
	v_max_f32_e32 v1, v1, v3
	v_lshl_add_u32 v3, v0, 2, 0x320
	ds_bpermute_b32 v1, v9, v1
	s_and_saveexec_b32 s8, s2
	s_cbranch_execz .LBB14_28
; %bb.25:
	v_lshl_add_u32 v10, v0, 2, 0x320
	v_mov_b32_e32 v9, 0
	v_mov_b32_e32 v11, v0
	s_mov_b32 s9, 0
	.p2align	6
.LBB14_26:                              ; =>This Inner Loop Header: Depth=1
	ds_load_b32 v12, v10
	v_add_nc_u32_e32 v11, 0x80, v11
	s_delay_alu instid0(VALU_DEP_1) | instskip(NEXT) | instid1(VALU_DEP_1)
	v_cmp_le_i32_e64 s3, s7, v11
	s_or_b32 s9, s3, s9
	s_waitcnt lgkmcnt(0)
	v_sub_f32_e32 v12, v12, v1
	s_delay_alu instid0(VALU_DEP_1) | instskip(NEXT) | instid1(VALU_DEP_1)
	v_mul_f32_e32 v12, 0x3fb8aa3b, v12
	v_exp_f32_e32 v12, v12
	ds_store_b32 v10, v12
	v_dual_add_f32 v9, v9, v12 :: v_dual_add_nc_u32 v10, 0x200, v10
	s_and_not1_b32 exec_lo, exec_lo, s9
	s_cbranch_execnz .LBB14_26
; %bb.27:
	s_or_b32 exec_lo, exec_lo, s9
.LBB14_28:
	s_delay_alu instid0(SALU_CYCLE_1)
	s_or_b32 exec_lo, exec_lo, s8
	ds_bpermute_b32 v2, v2, v9
	s_waitcnt lgkmcnt(0)
	v_add_f32_e32 v2, v9, v2
	ds_bpermute_b32 v4, v4, v2
	s_waitcnt lgkmcnt(0)
	v_add_f32_e32 v2, v2, v4
	;; [unrolled: 3-line block ×5, first 2 shown]
	s_and_saveexec_b32 s3, vcc_lo
	s_cbranch_execz .LBB14_30
; %bb.29:
	ds_store_b32 v5, v2 offset:784
.LBB14_30:
	s_or_b32 exec_lo, exec_lo, s3
	s_waitcnt lgkmcnt(0)
	s_barrier
	buffer_gl0_inv
	s_and_saveexec_b32 s3, s1
	s_cbranch_execz .LBB14_32
; %bb.31:
	ds_load_b32 v2, v6 offset:784
.LBB14_32:
	s_or_b32 exec_lo, exec_lo, s3
	s_waitcnt lgkmcnt(0)
	ds_bpermute_b32 v4, v8, v2
	s_waitcnt lgkmcnt(0)
	v_add_f32_e32 v2, v2, v4
	ds_bpermute_b32 v4, v59, v2
	s_waitcnt lgkmcnt(0)
	v_add_f32_e32 v2, v2, v4
	v_mov_b32_e32 v4, 0
	ds_bpermute_b32 v2, v4, v2
	s_and_saveexec_b32 s1, s2
	s_cbranch_execz .LBB14_35
; %bb.33:
	s_waitcnt lgkmcnt(0)
	v_add_f32_e32 v4, 0x358637bd, v2
	s_mov_b32 s2, 0
	s_delay_alu instid0(VALU_DEP_1) | instskip(SKIP_1) | instid1(VALU_DEP_2)
	v_div_scale_f32 v5, null, v4, v4, 1.0
	v_div_scale_f32 v8, vcc_lo, 1.0, v4, 1.0
	v_rcp_f32_e32 v6, v5
	s_waitcnt_depctr 0xfff
	v_fma_f32 v7, -v5, v6, 1.0
	s_delay_alu instid0(VALU_DEP_1) | instskip(NEXT) | instid1(VALU_DEP_1)
	v_fmac_f32_e32 v6, v7, v6
	v_mul_f32_e32 v7, v8, v6
	s_delay_alu instid0(VALU_DEP_1) | instskip(NEXT) | instid1(VALU_DEP_1)
	v_fma_f32 v9, -v5, v7, v8
	v_fmac_f32_e32 v7, v9, v6
	s_delay_alu instid0(VALU_DEP_1) | instskip(NEXT) | instid1(VALU_DEP_1)
	v_fma_f32 v5, -v5, v7, v8
	v_div_fmas_f32 v5, v5, v6, v7
	s_delay_alu instid0(VALU_DEP_1)
	v_div_fixup_f32 v4, v5, v4, 1.0
	v_mov_b32_e32 v5, v0
.LBB14_34:                              ; =>This Inner Loop Header: Depth=1
	ds_load_b32 v6, v3
	s_waitcnt lgkmcnt(0)
	v_dual_mul_f32 v6, v4, v6 :: v_dual_add_nc_u32 v5, 0x80, v5
	s_delay_alu instid0(VALU_DEP_1) | instskip(SKIP_3) | instid1(SALU_CYCLE_1)
	v_cmp_le_i32_e32 vcc_lo, s7, v5
	ds_store_b32 v3, v6
	v_add_nc_u32_e32 v3, 0x200, v3
	s_or_b32 s2, vcc_lo, s2
	s_and_not1_b32 exec_lo, exec_lo, s2
	s_cbranch_execnz .LBB14_34
.LBB14_35:
	s_or_b32 exec_lo, exec_lo, s1
	s_mul_i32 s1, s15, s14
	s_waitcnt lgkmcnt(0)
	s_mul_i32 s2, s1, s13
	s_mov_b32 s1, exec_lo
	s_barrier
	buffer_gl0_inv
	v_cmpx_eq_u32_e32 0, v0
	s_cbranch_execz .LBB14_37
; %bb.36:
	s_ashr_i32 s3, s2, 31
	s_mul_i32 s40, s15, s30
	s_lshl_b64 s[8:9], s[2:3], 2
	v_mov_b32_e32 v3, 0
	s_add_u32 s3, s18, s8
	s_addc_u32 s7, s19, s9
	s_ashr_i32 s41, s40, 31
	s_delay_alu instid0(SALU_CYCLE_1) | instskip(NEXT) | instid1(SALU_CYCLE_1)
	s_lshl_b64 s[18:19], s[40:41], 2
	s_add_u32 s3, s3, s18
	s_addc_u32 s7, s7, s19
	s_ashr_i32 s13, s12, 31
	s_delay_alu instid0(SALU_CYCLE_1) | instskip(NEXT) | instid1(SALU_CYCLE_1)
	s_lshl_b64 s[40:41], s[12:13], 2
	s_add_u32 s42, s3, s40
	s_addc_u32 s43, s7, s41
	s_add_u32 s3, s16, s8
	s_addc_u32 s7, s17, s9
	;; [unrolled: 2-line block ×4, first 2 shown]
	s_clause 0x1
	global_store_b32 v3, v1, s[42:43]
	global_store_b32 v3, v2, s[8:9]
.LBB14_37:
	s_or_b32 exec_lo, exec_lo, s1
	v_dual_mov_b32 v72, 0 :: v_dual_mov_b32 v71, 0
	v_dual_mov_b32 v69, 0 :: v_dual_and_b32 v60, 1, v0
	v_dual_mov_b32 v70, 0 :: v_dual_mov_b32 v67, 0
	v_dual_mov_b32 v68, 0 :: v_dual_mov_b32 v65, 0
	;; [unrolled: 1-line block ×4, first 2 shown]
	v_mov_b32_e32 v62, 0
	s_mov_b32 s3, 0
	s_and_saveexec_b32 s1, s0
	s_cbranch_execz .LBB14_67
; %bb.38:
	s_ashr_i32 s7, s6, 31
	v_dual_mov_b32 v61, 0 :: v_dual_lshlrev_b32 v4, 2, v0
	s_lshl_b64 s[8:9], s[6:7], 2
	s_sub_i32 s6, s39, s21
	s_add_u32 s7, s10, s8
	s_addc_u32 s8, s11, s9
	s_abs_i32 s9, s22
	v_mov_b32_e32 v71, 0
	v_cvt_f32_u32_e32 v3, s9
	v_dual_mov_b32 v72, 0 :: v_dual_and_b32 v73, 4, v4
	v_and_b32_e32 v4, 0x7c, v4
	s_sub_i32 s0, 0, s9
	s_delay_alu instid0(VALU_DEP_3) | instskip(SKIP_1) | instid1(VALU_DEP_2)
	v_rcp_iflag_f32_e32 v3, v3
	v_dual_mov_b32 v62, 0 :: v_dual_lshlrev_b32 v5, 4, v60
	v_or_b32_e32 v9, 0x500, v4
	v_lshlrev_b64 v[1:2], 2, v[53:54]
	v_or_b32_e32 v7, 0x400, v4
	v_or_b32_e32 v8, 0x480, v4
	;; [unrolled: 1-line block ×3, first 2 shown]
	v_lshlrev_b32_e32 v78, 2, v9
	v_lshlrev_b32_e32 v75, 2, v4
	s_delay_alu instid0(TRANS32_DEP_1)
	v_mul_f32_e32 v3, 0x4f7ffffe, v3
	s_lshl_b64 s[10:11], s[34:35], 2
	s_add_i32 s36, s36, -1
	v_lshl_or_b32 v5, v56, 5, v5
	s_add_u32 s10, s28, s10
	v_cvt_u32_f32_e32 v3, v3
	v_add_co_u32 v54, vcc_lo, s10, v1
	v_dual_mov_b32 v63, 0 :: v_dual_mov_b32 v64, 0
	s_delay_alu instid0(VALU_DEP_3) | instskip(SKIP_4) | instid1(VALU_DEP_4)
	v_mul_lo_u32 v6, s0, v3
	s_addc_u32 s0, s29, s11
	v_dual_mov_b32 v65, 0 :: v_dual_mov_b32 v66, 0
	v_dual_mov_b32 v67, 0 :: v_dual_mov_b32 v68, 0
	;; [unrolled: 1-line block ×3, first 2 shown]
	v_mul_hi_u32 v4, v3, v6
	v_add_nc_u32_e32 v74, 0x320, v5
	v_add_co_ci_u32_e32 v55, vcc_lo, s0, v2, vcc_lo
	v_lshlrev_b32_e32 v76, 2, v7
	v_lshlrev_b32_e32 v77, 2, v8
	;; [unrolled: 1-line block ×3, first 2 shown]
	v_add_nc_u32_e32 v80, v3, v4
	s_branch .LBB14_41
.LBB14_39:                              ;   in Loop: Header=BB14_41 Depth=1
	s_or_b32 exec_lo, exec_lo, s0
	s_waitcnt vmcnt(6) lgkmcnt(0)
	v_mul_f32_e32 v26, v2, v26
	v_mul_f32_e32 v18, v2, v18
	s_waitcnt vmcnt(2)
	v_mul_f32_e32 v42, v2, v42
	v_mul_f32_e32 v10, v2, v10
	;; [unrolled: 1-line block ×3, first 2 shown]
	v_fmac_f32_e32 v26, v1, v25
	v_fmac_f32_e32 v18, v1, v17
	s_waitcnt vmcnt(1)
	v_mul_f32_e32 v50, v2, v50
	v_fmac_f32_e32 v10, v1, v9
	v_mul_f32_e32 v38, v2, v38
	v_fmac_f32_e32 v26, v3, v27
	v_fmac_f32_e32 v18, v3, v19
	v_mul_f32_e32 v30, v2, v30
	v_mul_f32_e32 v22, v2, v22
	v_fmac_f32_e32 v34, v1, v33
	v_fmac_f32_e32 v26, v4, v28
	;; [unrolled: 1-line block ×3, first 2 shown]
	v_mul_f32_e32 v14, v2, v14
	v_mul_f32_e32 v6, v2, v6
	s_waitcnt vmcnt(0)
	v_mul_f32_e32 v2, v2, v46
	v_add_f32_e32 v67, v67, v26
	v_fmac_f32_e32 v10, v3, v11
	v_fmac_f32_e32 v18, v4, v20
	;; [unrolled: 1-line block ×5, first 2 shown]
	s_delay_alu instid0(VALU_DEP_4) | instskip(NEXT) | instid1(VALU_DEP_4)
	v_dual_fmac_f32 v34, v3, v35 :: v_dual_add_f32 v69, v69, v18
	v_fmac_f32_e32 v42, v4, v44
	v_fmac_f32_e32 v50, v1, v49
	;; [unrolled: 1-line block ×4, first 2 shown]
	s_delay_alu instid0(VALU_DEP_4) | instskip(SKIP_4) | instid1(VALU_DEP_4)
	v_dual_fmac_f32 v2, v1, v45 :: v_dual_add_f32 v63, v63, v42
	v_fmac_f32_e32 v10, v4, v12
	v_fmac_f32_e32 v38, v1, v37
	v_fmac_f32_e32 v30, v3, v31
	v_fmac_f32_e32 v22, v3, v23
	v_dual_fmac_f32 v34, v4, v36 :: v_dual_add_f32 v71, v71, v10
	v_fmac_f32_e32 v50, v3, v51
	v_fmac_f32_e32 v38, v3, v39
	s_delay_alu instid0(VALU_DEP_3) | instskip(SKIP_2) | instid1(VALU_DEP_4)
	v_dual_fmac_f32 v14, v3, v15 :: v_dual_add_f32 v65, v65, v34
	v_fmac_f32_e32 v6, v3, v7
	v_fmac_f32_e32 v2, v3, v47
	;; [unrolled: 1-line block ×9, first 2 shown]
	v_add_f32_e32 v64, v64, v38
	v_add_f32_e32 v66, v66, v30
	v_add_f32_e32 v68, v68, v22
	v_add_f32_e32 v61, v61, v2
	v_add_f32_e32 v62, v62, v50
	v_add_f32_e32 v70, v70, v14
	v_add_f32_e32 v72, v72, v6
.LBB14_40:                              ;   in Loop: Header=BB14_41 Depth=1
	s_or_b32 exec_lo, exec_lo, s10
	v_add_nc_u32_e32 v53, 4, v53
	v_add_co_u32 v54, s0, v54, 16
	s_delay_alu instid0(VALU_DEP_1) | instskip(NEXT) | instid1(VALU_DEP_3)
	v_add_co_ci_u32_e64 v55, s0, 0, v55, s0
	v_cmp_le_i32_e32 vcc_lo, s20, v53
	v_add_nc_u32_e32 v57, 32, v57
	v_add_nc_u32_e32 v74, 0x80, v74
	s_or_b32 s3, vcc_lo, s3
	s_delay_alu instid0(SALU_CYCLE_1)
	s_and_not1_b32 exec_lo, exec_lo, s3
	s_cbranch_execz .LBB14_66
.LBB14_41:                              ; =>This Inner Loop Header: Depth=1
	v_sub_nc_u32_e32 v1, 0, v57
	s_delay_alu instid0(VALU_DEP_1) | instskip(NEXT) | instid1(VALU_DEP_1)
	v_max_i32_e32 v1, v57, v1
	v_mul_hi_u32 v2, v1, s27
	s_delay_alu instid0(VALU_DEP_1) | instskip(NEXT) | instid1(VALU_DEP_1)
	v_mul_lo_u32 v3, v2, s4
	v_sub_nc_u32_e32 v1, v1, v3
	v_add_nc_u32_e32 v3, 1, v2
	s_delay_alu instid0(VALU_DEP_2) | instskip(SKIP_1) | instid1(VALU_DEP_2)
	v_subrev_nc_u32_e32 v4, s4, v1
	v_cmp_le_u32_e32 vcc_lo, s4, v1
	v_dual_cndmask_b32 v2, v2, v3 :: v_dual_cndmask_b32 v1, v1, v4
	v_ashrrev_i32_e32 v3, 31, v57
	s_delay_alu instid0(VALU_DEP_2) | instskip(NEXT) | instid1(VALU_DEP_3)
	v_add_nc_u32_e32 v4, 1, v2
	v_cmp_le_u32_e32 vcc_lo, s4, v1
	s_delay_alu instid0(VALU_DEP_3) | instskip(NEXT) | instid1(VALU_DEP_3)
	v_xor_b32_e32 v3, s23, v3
	v_cndmask_b32_e32 v1, v2, v4, vcc_lo
	s_delay_alu instid0(VALU_DEP_1) | instskip(NEXT) | instid1(VALU_DEP_1)
	v_xor_b32_e32 v1, v1, v3
	v_sub_nc_u32_e32 v1, v1, v3
	s_delay_alu instid0(VALU_DEP_1) | instskip(SKIP_1) | instid1(VALU_DEP_2)
	v_add_nc_u32_e32 v2, s31, v1
	v_cmp_lt_i32_e64 s0, s6, v1
	v_sub_nc_u32_e32 v3, 0, v2
	s_delay_alu instid0(VALU_DEP_1) | instskip(NEXT) | instid1(VALU_DEP_1)
	v_max_i32_e32 v3, v2, v3
	v_mul_hi_u32 v4, v3, v80
	s_delay_alu instid0(VALU_DEP_1) | instskip(NEXT) | instid1(VALU_DEP_1)
	v_mul_lo_u32 v4, v4, s9
	v_sub_nc_u32_e32 v3, v3, v4
	s_delay_alu instid0(VALU_DEP_1) | instskip(SKIP_1) | instid1(VALU_DEP_2)
	v_subrev_nc_u32_e32 v4, s9, v3
	v_cmp_le_u32_e32 vcc_lo, s9, v3
	v_cndmask_b32_e32 v3, v3, v4, vcc_lo
	v_ashrrev_i32_e32 v2, 31, v2
	s_delay_alu instid0(VALU_DEP_2) | instskip(SKIP_1) | instid1(VALU_DEP_2)
	v_subrev_nc_u32_e32 v4, s9, v3
	v_cmp_le_u32_e32 vcc_lo, s9, v3
	v_cndmask_b32_e32 v3, v3, v4, vcc_lo
	s_delay_alu instid0(VALU_DEP_1) | instskip(NEXT) | instid1(VALU_DEP_1)
	v_xor_b32_e32 v3, v3, v2
	v_sub_nc_u32_e32 v2, v3, v2
	s_delay_alu instid0(VALU_DEP_1) | instskip(SKIP_1) | instid1(SALU_CYCLE_1)
	v_cmp_eq_u32_e32 vcc_lo, 0, v2
	s_or_b32 s0, vcc_lo, s0
	s_and_saveexec_b32 s10, s0
	s_cbranch_execz .LBB14_40
; %bb.42:                               ;   in Loop: Header=BB14_41 Depth=1
	global_load_b32 v3, v[54:55], off
	v_add_nc_u32_e32 v81, v73, v57
	s_delay_alu instid0(VALU_DEP_1) | instskip(SKIP_4) | instid1(VALU_DEP_1)
	v_add_nc_u32_e32 v84, 1, v81
	v_add_nc_u32_e32 v83, 2, v81
	;; [unrolled: 1-line block ×3, first 2 shown]
	s_waitcnt vmcnt(0)
	v_mad_i64_i32 v[1:2], null, v3, s5, 0
	v_lshlrev_b64 v[1:2], 2, v[1:2]
	s_delay_alu instid0(VALU_DEP_1) | instskip(NEXT) | instid1(VALU_DEP_2)
	v_add_co_u32 v45, vcc_lo, s7, v1
	v_add_co_ci_u32_e32 v46, vcc_lo, s8, v2, vcc_lo
	ds_load_b128 v[1:4], v74
	v_add_co_u32 v33, vcc_lo, v45, v75
	v_add_co_ci_u32_e32 v34, vcc_lo, 0, v46, vcc_lo
	v_cmp_eq_u32_e32 vcc_lo, s36, v53
	global_load_b128 v[5:8], v[33:34], off
	s_and_saveexec_b32 s11, vcc_lo
	s_cbranch_execnz .LBB14_59
; %bb.43:                               ;   in Loop: Header=BB14_41 Depth=1
	s_or_b32 exec_lo, exec_lo, s11
	global_load_b128 v[9:12], v[33:34], off offset:512
	s_and_saveexec_b32 s11, vcc_lo
	s_cbranch_execnz .LBB14_60
.LBB14_44:                              ;   in Loop: Header=BB14_41 Depth=1
	s_or_b32 exec_lo, exec_lo, s11
	global_load_b128 v[13:16], v[33:34], off offset:1024
	s_and_saveexec_b32 s11, vcc_lo
	s_cbranch_execnz .LBB14_61
.LBB14_45:                              ;   in Loop: Header=BB14_41 Depth=1
	s_or_b32 exec_lo, exec_lo, s11
	global_load_b128 v[17:20], v[33:34], off offset:1536
	s_and_saveexec_b32 s11, vcc_lo
	s_cbranch_execnz .LBB14_62
.LBB14_46:                              ;   in Loop: Header=BB14_41 Depth=1
	s_or_b32 exec_lo, exec_lo, s11
	global_load_b128 v[21:24], v[33:34], off offset:2048
	s_and_saveexec_b32 s11, vcc_lo
	s_cbranch_execnz .LBB14_63
.LBB14_47:                              ;   in Loop: Header=BB14_41 Depth=1
	s_or_b32 exec_lo, exec_lo, s11
	global_load_b128 v[25:28], v[33:34], off offset:2560
	s_and_saveexec_b32 s11, vcc_lo
	s_cbranch_execnz .LBB14_64
.LBB14_48:                              ;   in Loop: Header=BB14_41 Depth=1
	s_or_b32 exec_lo, exec_lo, s11
	global_load_b128 v[29:32], v[33:34], off offset:3072
	s_and_saveexec_b32 s11, vcc_lo
	s_cbranch_execnz .LBB14_65
.LBB14_49:                              ;   in Loop: Header=BB14_41 Depth=1
	s_or_b32 exec_lo, exec_lo, s11
	global_load_b128 v[33:36], v[33:34], off offset:3584
	s_and_saveexec_b32 s11, vcc_lo
	s_cbranch_execz .LBB14_51
.LBB14_50:                              ;   in Loop: Header=BB14_41 Depth=1
	v_cmp_gt_i32_e64 s0, s33, v81
	s_waitcnt vmcnt(0)
	s_delay_alu instid0(VALU_DEP_1) | instskip(SKIP_1) | instid1(VALU_DEP_1)
	v_cndmask_b32_e64 v33, 0, v33, s0
	v_cmp_gt_i32_e64 s0, s33, v84
	v_cndmask_b32_e64 v34, 0, v34, s0
	v_cmp_gt_i32_e64 s0, s33, v83
	s_delay_alu instid0(VALU_DEP_1) | instskip(SKIP_1) | instid1(VALU_DEP_1)
	v_cndmask_b32_e64 v35, 0, v35, s0
	v_cmp_gt_i32_e64 s0, s33, v82
	v_cndmask_b32_e64 v36, 0, v36, s0
.LBB14_51:                              ;   in Loop: Header=BB14_41 Depth=1
	s_or_b32 exec_lo, exec_lo, s11
	v_add_co_u32 v37, s0, v45, v76
	s_delay_alu instid0(VALU_DEP_1)
	v_add_co_ci_u32_e64 v38, s0, 0, v46, s0
	global_load_b128 v[37:40], v[37:38], off
	s_and_saveexec_b32 s11, vcc_lo
	s_cbranch_execz .LBB14_53
; %bb.52:                               ;   in Loop: Header=BB14_41 Depth=1
	v_cmp_gt_i32_e64 s0, s33, v81
	s_waitcnt vmcnt(0)
	s_delay_alu instid0(VALU_DEP_1) | instskip(SKIP_1) | instid1(VALU_DEP_1)
	v_cndmask_b32_e64 v37, 0, v37, s0
	v_cmp_gt_i32_e64 s0, s33, v84
	v_cndmask_b32_e64 v38, 0, v38, s0
	v_cmp_gt_i32_e64 s0, s33, v83
	s_delay_alu instid0(VALU_DEP_1) | instskip(SKIP_1) | instid1(VALU_DEP_1)
	v_cndmask_b32_e64 v39, 0, v39, s0
	v_cmp_gt_i32_e64 s0, s33, v82
	v_cndmask_b32_e64 v40, 0, v40, s0
.LBB14_53:                              ;   in Loop: Header=BB14_41 Depth=1
	s_or_b32 exec_lo, exec_lo, s11
	v_add_co_u32 v41, s0, v45, v77
	s_delay_alu instid0(VALU_DEP_1)
	v_add_co_ci_u32_e64 v42, s0, 0, v46, s0
	global_load_b128 v[41:44], v[41:42], off
	s_and_saveexec_b32 s11, vcc_lo
	s_cbranch_execz .LBB14_55
; %bb.54:                               ;   in Loop: Header=BB14_41 Depth=1
	v_cmp_gt_i32_e64 s0, s33, v81
	s_waitcnt vmcnt(0)
	s_delay_alu instid0(VALU_DEP_1) | instskip(SKIP_1) | instid1(VALU_DEP_1)
	v_cndmask_b32_e64 v41, 0, v41, s0
	v_cmp_gt_i32_e64 s0, s33, v84
	v_cndmask_b32_e64 v42, 0, v42, s0
	v_cmp_gt_i32_e64 s0, s33, v83
	s_delay_alu instid0(VALU_DEP_1) | instskip(SKIP_1) | instid1(VALU_DEP_1)
	v_cndmask_b32_e64 v43, 0, v43, s0
	v_cmp_gt_i32_e64 s0, s33, v82
	v_cndmask_b32_e64 v44, 0, v44, s0
.LBB14_55:                              ;   in Loop: Header=BB14_41 Depth=1
	;; [unrolled: 20-line block ×3, first 2 shown]
	s_or_b32 exec_lo, exec_lo, s11
	v_add_co_u32 v45, s0, v45, v79
	s_delay_alu instid0(VALU_DEP_1)
	v_add_co_ci_u32_e64 v46, s0, 0, v46, s0
	global_load_b128 v[45:48], v[45:46], off
	s_and_saveexec_b32 s0, vcc_lo
	s_cbranch_execz .LBB14_39
; %bb.58:                               ;   in Loop: Header=BB14_41 Depth=1
	v_cmp_gt_i32_e32 vcc_lo, s33, v81
	s_waitcnt vmcnt(0)
	v_cndmask_b32_e32 v45, 0, v45, vcc_lo
	v_cmp_gt_i32_e32 vcc_lo, s33, v84
	v_cndmask_b32_e32 v46, 0, v46, vcc_lo
	v_cmp_gt_i32_e32 vcc_lo, s33, v83
	;; [unrolled: 2-line block ×3, first 2 shown]
	v_cndmask_b32_e32 v48, 0, v48, vcc_lo
	s_branch .LBB14_39
.LBB14_59:                              ;   in Loop: Header=BB14_41 Depth=1
	v_cmp_gt_i32_e64 s0, s33, v81
	s_waitcnt vmcnt(0)
	s_delay_alu instid0(VALU_DEP_1) | instskip(SKIP_1) | instid1(VALU_DEP_1)
	v_cndmask_b32_e64 v5, 0, v5, s0
	v_cmp_gt_i32_e64 s0, s33, v84
	v_cndmask_b32_e64 v6, 0, v6, s0
	v_cmp_gt_i32_e64 s0, s33, v83
	s_delay_alu instid0(VALU_DEP_1) | instskip(SKIP_1) | instid1(VALU_DEP_1)
	v_cndmask_b32_e64 v7, 0, v7, s0
	v_cmp_gt_i32_e64 s0, s33, v82
	v_cndmask_b32_e64 v8, 0, v8, s0
	s_or_b32 exec_lo, exec_lo, s11
	global_load_b128 v[9:12], v[33:34], off offset:512
	s_and_saveexec_b32 s11, vcc_lo
	s_cbranch_execz .LBB14_44
.LBB14_60:                              ;   in Loop: Header=BB14_41 Depth=1
	v_cmp_gt_i32_e64 s0, s33, v81
	s_waitcnt vmcnt(0)
	s_delay_alu instid0(VALU_DEP_1) | instskip(SKIP_1) | instid1(VALU_DEP_1)
	v_cndmask_b32_e64 v9, 0, v9, s0
	v_cmp_gt_i32_e64 s0, s33, v84
	v_cndmask_b32_e64 v10, 0, v10, s0
	v_cmp_gt_i32_e64 s0, s33, v83
	s_delay_alu instid0(VALU_DEP_1) | instskip(SKIP_1) | instid1(VALU_DEP_1)
	v_cndmask_b32_e64 v11, 0, v11, s0
	v_cmp_gt_i32_e64 s0, s33, v82
	v_cndmask_b32_e64 v12, 0, v12, s0
	s_or_b32 exec_lo, exec_lo, s11
	global_load_b128 v[13:16], v[33:34], off offset:1024
	s_and_saveexec_b32 s11, vcc_lo
	s_cbranch_execz .LBB14_45
.LBB14_61:                              ;   in Loop: Header=BB14_41 Depth=1
	v_cmp_gt_i32_e64 s0, s33, v81
	s_waitcnt vmcnt(0)
	s_delay_alu instid0(VALU_DEP_1) | instskip(SKIP_1) | instid1(VALU_DEP_1)
	v_cndmask_b32_e64 v13, 0, v13, s0
	v_cmp_gt_i32_e64 s0, s33, v84
	v_cndmask_b32_e64 v14, 0, v14, s0
	v_cmp_gt_i32_e64 s0, s33, v83
	s_delay_alu instid0(VALU_DEP_1) | instskip(SKIP_1) | instid1(VALU_DEP_1)
	v_cndmask_b32_e64 v15, 0, v15, s0
	v_cmp_gt_i32_e64 s0, s33, v82
	v_cndmask_b32_e64 v16, 0, v16, s0
	s_or_b32 exec_lo, exec_lo, s11
	global_load_b128 v[17:20], v[33:34], off offset:1536
	s_and_saveexec_b32 s11, vcc_lo
	s_cbranch_execz .LBB14_46
.LBB14_62:                              ;   in Loop: Header=BB14_41 Depth=1
	v_cmp_gt_i32_e64 s0, s33, v81
	s_waitcnt vmcnt(0)
	s_delay_alu instid0(VALU_DEP_1) | instskip(SKIP_1) | instid1(VALU_DEP_1)
	v_cndmask_b32_e64 v17, 0, v17, s0
	v_cmp_gt_i32_e64 s0, s33, v84
	v_cndmask_b32_e64 v18, 0, v18, s0
	v_cmp_gt_i32_e64 s0, s33, v83
	s_delay_alu instid0(VALU_DEP_1) | instskip(SKIP_1) | instid1(VALU_DEP_1)
	v_cndmask_b32_e64 v19, 0, v19, s0
	v_cmp_gt_i32_e64 s0, s33, v82
	v_cndmask_b32_e64 v20, 0, v20, s0
	s_or_b32 exec_lo, exec_lo, s11
	global_load_b128 v[21:24], v[33:34], off offset:2048
	s_and_saveexec_b32 s11, vcc_lo
	s_cbranch_execz .LBB14_47
.LBB14_63:                              ;   in Loop: Header=BB14_41 Depth=1
	v_cmp_gt_i32_e64 s0, s33, v81
	s_waitcnt vmcnt(0)
	s_delay_alu instid0(VALU_DEP_1) | instskip(SKIP_1) | instid1(VALU_DEP_1)
	v_cndmask_b32_e64 v21, 0, v21, s0
	v_cmp_gt_i32_e64 s0, s33, v84
	v_cndmask_b32_e64 v22, 0, v22, s0
	v_cmp_gt_i32_e64 s0, s33, v83
	s_delay_alu instid0(VALU_DEP_1) | instskip(SKIP_1) | instid1(VALU_DEP_1)
	v_cndmask_b32_e64 v23, 0, v23, s0
	v_cmp_gt_i32_e64 s0, s33, v82
	v_cndmask_b32_e64 v24, 0, v24, s0
	s_or_b32 exec_lo, exec_lo, s11
	global_load_b128 v[25:28], v[33:34], off offset:2560
	s_and_saveexec_b32 s11, vcc_lo
	s_cbranch_execz .LBB14_48
.LBB14_64:                              ;   in Loop: Header=BB14_41 Depth=1
	v_cmp_gt_i32_e64 s0, s33, v81
	s_waitcnt vmcnt(0)
	s_delay_alu instid0(VALU_DEP_1) | instskip(SKIP_1) | instid1(VALU_DEP_1)
	v_cndmask_b32_e64 v25, 0, v25, s0
	v_cmp_gt_i32_e64 s0, s33, v84
	v_cndmask_b32_e64 v26, 0, v26, s0
	v_cmp_gt_i32_e64 s0, s33, v83
	s_delay_alu instid0(VALU_DEP_1) | instskip(SKIP_1) | instid1(VALU_DEP_1)
	v_cndmask_b32_e64 v27, 0, v27, s0
	v_cmp_gt_i32_e64 s0, s33, v82
	v_cndmask_b32_e64 v28, 0, v28, s0
	s_or_b32 exec_lo, exec_lo, s11
	global_load_b128 v[29:32], v[33:34], off offset:3072
	s_and_saveexec_b32 s11, vcc_lo
	s_cbranch_execz .LBB14_49
.LBB14_65:                              ;   in Loop: Header=BB14_41 Depth=1
	v_cmp_gt_i32_e64 s0, s33, v81
	s_waitcnt vmcnt(0)
	s_delay_alu instid0(VALU_DEP_1) | instskip(SKIP_1) | instid1(VALU_DEP_1)
	v_cndmask_b32_e64 v29, 0, v29, s0
	v_cmp_gt_i32_e64 s0, s33, v84
	v_cndmask_b32_e64 v30, 0, v30, s0
	v_cmp_gt_i32_e64 s0, s33, v83
	s_delay_alu instid0(VALU_DEP_1) | instskip(SKIP_1) | instid1(VALU_DEP_1)
	v_cndmask_b32_e64 v31, 0, v31, s0
	v_cmp_gt_i32_e64 s0, s33, v82
	v_cndmask_b32_e64 v32, 0, v32, s0
	s_or_b32 exec_lo, exec_lo, s11
	global_load_b128 v[33:36], v[33:34], off offset:3584
	s_and_saveexec_b32 s11, vcc_lo
	s_cbranch_execnz .LBB14_50
	s_branch .LBB14_51
.LBB14_66:
	s_or_b32 exec_lo, exec_lo, s3
.LBB14_67:
	s_delay_alu instid0(SALU_CYCLE_1)
	s_or_b32 exec_lo, exec_lo, s1
	ds_bpermute_b32 v1, v59, v72
	ds_bpermute_b32 v2, v59, v71
	;; [unrolled: 1-line block ×12, first 2 shown]
	v_and_b32_e32 v15, 0x3c1, v0
	v_lshrrev_b32_e32 v13, 1, v58
	s_movk_i32 s0, 0x300
	s_waitcnt lgkmcnt(0)
	s_waitcnt_vscnt null, 0x0
	v_mad_u32_u24 v14, v56, s0, 0x320
	v_cmp_eq_u32_e32 vcc_lo, 64, v15
	v_lshlrev_b32_e32 v15, 2, v13
	s_barrier
	v_dual_add_f32 v1, v72, v1 :: v_dual_add_f32 v2, v71, v2
	v_dual_add_f32 v3, v70, v3 :: v_dual_add_f32 v4, v69, v4
	;; [unrolled: 1-line block ×6, first 2 shown]
	buffer_gl0_inv
	s_and_saveexec_b32 s0, vcc_lo
	s_cbranch_execz .LBB14_69
; %bb.68:
	v_add3_u32 v16, v14, v15, 0xfffffa00
	ds_store_2addr_b32 v16, v1, v2 offset1:16
	ds_store_2addr_b32 v16, v3, v4 offset0:32 offset1:48
	ds_store_2addr_b32 v16, v5, v6 offset0:64 offset1:80
	;; [unrolled: 1-line block ×5, first 2 shown]
.LBB14_69:
	s_or_b32 exec_lo, exec_lo, s0
	v_cmp_eq_u32_e32 vcc_lo, 0, v60
	s_mov_b32 s1, exec_lo
	s_waitcnt lgkmcnt(0)
	s_barrier
	buffer_gl0_inv
	v_cmpx_gt_u32_e32 64, v0
	s_cbranch_execz .LBB14_84
; %bb.70:
	s_and_saveexec_b32 s0, vcc_lo
	s_cbranch_execnz .LBB14_104
; %bb.71:
	s_or_b32 exec_lo, exec_lo, s0
	s_and_saveexec_b32 s0, vcc_lo
	s_cbranch_execnz .LBB14_105
.LBB14_72:
	s_or_b32 exec_lo, exec_lo, s0
	s_and_saveexec_b32 s0, vcc_lo
	s_cbranch_execnz .LBB14_106
.LBB14_73:
	s_or_b32 exec_lo, exec_lo, s0
	s_and_saveexec_b32 s0, vcc_lo
	s_cbranch_execnz .LBB14_107
.LBB14_74:
	s_or_b32 exec_lo, exec_lo, s0
	s_and_saveexec_b32 s0, vcc_lo
	s_cbranch_execnz .LBB14_108
.LBB14_75:
	s_or_b32 exec_lo, exec_lo, s0
	s_and_saveexec_b32 s0, vcc_lo
	s_cbranch_execnz .LBB14_109
.LBB14_76:
	s_or_b32 exec_lo, exec_lo, s0
	s_and_saveexec_b32 s0, vcc_lo
	s_cbranch_execnz .LBB14_110
.LBB14_77:
	s_or_b32 exec_lo, exec_lo, s0
	s_and_saveexec_b32 s0, vcc_lo
	s_cbranch_execnz .LBB14_111
.LBB14_78:
	s_or_b32 exec_lo, exec_lo, s0
	s_and_saveexec_b32 s0, vcc_lo
	s_cbranch_execnz .LBB14_112
.LBB14_79:
	s_or_b32 exec_lo, exec_lo, s0
	s_and_saveexec_b32 s0, vcc_lo
	s_cbranch_execnz .LBB14_113
.LBB14_80:
	s_or_b32 exec_lo, exec_lo, s0
	s_and_saveexec_b32 s0, vcc_lo
	s_cbranch_execnz .LBB14_114
.LBB14_81:
	s_or_b32 exec_lo, exec_lo, s0
	s_and_saveexec_b32 s0, vcc_lo
	s_cbranch_execz .LBB14_83
.LBB14_82:
	v_lshl_add_u32 v16, v13, 2, v14
	ds_load_b32 v16, v16 offset:704
	s_waitcnt lgkmcnt(0)
	v_add_f32_e32 v12, v12, v16
.LBB14_83:
	s_or_b32 exec_lo, exec_lo, s0
.LBB14_84:
	s_delay_alu instid0(SALU_CYCLE_1)
	s_or_b32 exec_lo, exec_lo, s1
	v_and_b32_e32 v16, 0x3e1, v0
	s_mov_b32 s1, exec_lo
	s_barrier
	buffer_gl0_inv
	v_cmpx_eq_u32_e32 32, v16
	s_cbranch_execz .LBB14_86
; %bb.85:
	v_add3_u32 v15, v14, v15, 0xfffffd00
	ds_store_2addr_b32 v15, v1, v2 offset1:16
	ds_store_2addr_b32 v15, v3, v4 offset0:32 offset1:48
	ds_store_2addr_b32 v15, v5, v6 offset0:64 offset1:80
	;; [unrolled: 1-line block ×5, first 2 shown]
.LBB14_86:
	s_or_b32 exec_lo, exec_lo, s1
	s_delay_alu instid0(SALU_CYCLE_1)
	s_mov_b32 s1, exec_lo
	s_waitcnt lgkmcnt(0)
	s_barrier
	buffer_gl0_inv
	v_cmpx_gt_u32_e32 32, v0
	s_cbranch_execz .LBB14_101
; %bb.87:
	v_lshl_add_u32 v13, v13, 2, v14
	s_and_saveexec_b32 s0, vcc_lo
	s_cbranch_execnz .LBB14_115
; %bb.88:
	s_or_b32 exec_lo, exec_lo, s0
	s_and_saveexec_b32 s0, vcc_lo
	s_cbranch_execnz .LBB14_116
.LBB14_89:
	s_or_b32 exec_lo, exec_lo, s0
	s_and_saveexec_b32 s0, vcc_lo
	s_cbranch_execnz .LBB14_117
.LBB14_90:
	s_or_b32 exec_lo, exec_lo, s0
	s_and_saveexec_b32 s0, vcc_lo
	s_cbranch_execnz .LBB14_118
.LBB14_91:
	s_or_b32 exec_lo, exec_lo, s0
	s_and_saveexec_b32 s0, vcc_lo
	s_cbranch_execnz .LBB14_119
.LBB14_92:
	s_or_b32 exec_lo, exec_lo, s0
	s_and_saveexec_b32 s0, vcc_lo
	s_cbranch_execnz .LBB14_120
.LBB14_93:
	s_or_b32 exec_lo, exec_lo, s0
	s_and_saveexec_b32 s0, vcc_lo
	s_cbranch_execnz .LBB14_121
.LBB14_94:
	s_or_b32 exec_lo, exec_lo, s0
	s_and_saveexec_b32 s0, vcc_lo
	s_cbranch_execnz .LBB14_122
.LBB14_95:
	s_or_b32 exec_lo, exec_lo, s0
	s_and_saveexec_b32 s0, vcc_lo
	s_cbranch_execnz .LBB14_123
.LBB14_96:
	s_or_b32 exec_lo, exec_lo, s0
	s_and_saveexec_b32 s0, vcc_lo
	s_cbranch_execnz .LBB14_124
.LBB14_97:
	s_or_b32 exec_lo, exec_lo, s0
	s_and_saveexec_b32 s0, vcc_lo
	s_cbranch_execnz .LBB14_125
.LBB14_98:
	s_or_b32 exec_lo, exec_lo, s0
	s_and_saveexec_b32 s0, vcc_lo
	s_cbranch_execz .LBB14_100
.LBB14_99:
	ds_load_b32 v13, v13 offset:704
	s_waitcnt lgkmcnt(0)
	v_add_f32_e32 v12, v12, v13
.LBB14_100:
	s_or_b32 exec_lo, exec_lo, s0
.LBB14_101:
	s_delay_alu instid0(SALU_CYCLE_1)
	s_or_b32 exec_lo, exec_lo, s1
	s_barrier
	buffer_gl0_inv
	s_mov_b32 s0, exec_lo
	v_cmpx_eq_u32_e32 0, v16
	s_cbranch_execz .LBB14_103
; %bb.102:
	s_mul_i32 s0, s2, 0xc0
	s_mul_i32 s2, s15, s26
	s_ashr_i32 s1, s0, 31
	v_lshlrev_b32_e32 v0, 1, v0
	s_lshl_b64 s[0:1], s[0:1], 2
	s_delay_alu instid0(SALU_CYCLE_1) | instskip(SKIP_2) | instid1(SALU_CYCLE_1)
	s_add_u32 s4, s24, s0
	s_addc_u32 s5, s25, s1
	s_ashr_i32 s3, s2, 31
	s_lshl_b64 s[0:1], s[2:3], 2
	s_mul_i32 s2, s12, 0xc0
	s_add_u32 s4, s4, s0
	s_addc_u32 s5, s5, s1
	s_ashr_i32 s3, s2, 31
	s_delay_alu instid0(SALU_CYCLE_1) | instskip(NEXT) | instid1(SALU_CYCLE_1)
	s_lshl_b64 s[0:1], s[2:3], 2
	s_add_u32 s0, s4, s0
	s_addc_u32 s1, s5, s1
	s_clause 0xb
	global_store_b32 v0, v1, s[0:1]
	global_store_b32 v0, v2, s[0:1] offset:64
	global_store_b32 v0, v3, s[0:1] offset:128
	;; [unrolled: 1-line block ×11, first 2 shown]
.LBB14_103:
	s_nop 0
	s_sendmsg sendmsg(MSG_DEALLOC_VGPRS)
	s_endpgm
.LBB14_104:
	v_lshl_add_u32 v16, v13, 2, v14
	ds_load_b32 v16, v16
	s_waitcnt lgkmcnt(0)
	v_add_f32_e32 v1, v1, v16
	s_or_b32 exec_lo, exec_lo, s0
	s_and_saveexec_b32 s0, vcc_lo
	s_cbranch_execz .LBB14_72
.LBB14_105:
	v_lshl_add_u32 v16, v13, 2, v14
	ds_load_b32 v16, v16 offset:64
	s_waitcnt lgkmcnt(0)
	v_add_f32_e32 v2, v2, v16
	s_or_b32 exec_lo, exec_lo, s0
	s_and_saveexec_b32 s0, vcc_lo
	s_cbranch_execz .LBB14_73
.LBB14_106:
	v_lshl_add_u32 v16, v13, 2, v14
	ds_load_b32 v16, v16 offset:128
	s_waitcnt lgkmcnt(0)
	v_add_f32_e32 v3, v3, v16
	s_or_b32 exec_lo, exec_lo, s0
	s_and_saveexec_b32 s0, vcc_lo
	s_cbranch_execz .LBB14_74
.LBB14_107:
	v_lshl_add_u32 v16, v13, 2, v14
	ds_load_b32 v16, v16 offset:192
	s_waitcnt lgkmcnt(0)
	v_add_f32_e32 v4, v4, v16
	s_or_b32 exec_lo, exec_lo, s0
	s_and_saveexec_b32 s0, vcc_lo
	s_cbranch_execz .LBB14_75
.LBB14_108:
	v_lshl_add_u32 v16, v13, 2, v14
	ds_load_b32 v16, v16 offset:256
	s_waitcnt lgkmcnt(0)
	v_add_f32_e32 v5, v5, v16
	s_or_b32 exec_lo, exec_lo, s0
	s_and_saveexec_b32 s0, vcc_lo
	s_cbranch_execz .LBB14_76
.LBB14_109:
	v_lshl_add_u32 v16, v13, 2, v14
	ds_load_b32 v16, v16 offset:320
	s_waitcnt lgkmcnt(0)
	v_add_f32_e32 v6, v6, v16
	s_or_b32 exec_lo, exec_lo, s0
	s_and_saveexec_b32 s0, vcc_lo
	s_cbranch_execz .LBB14_77
.LBB14_110:
	v_lshl_add_u32 v16, v13, 2, v14
	ds_load_b32 v16, v16 offset:384
	s_waitcnt lgkmcnt(0)
	v_add_f32_e32 v7, v7, v16
	s_or_b32 exec_lo, exec_lo, s0
	s_and_saveexec_b32 s0, vcc_lo
	s_cbranch_execz .LBB14_78
.LBB14_111:
	v_lshl_add_u32 v16, v13, 2, v14
	ds_load_b32 v16, v16 offset:448
	s_waitcnt lgkmcnt(0)
	v_add_f32_e32 v8, v8, v16
	s_or_b32 exec_lo, exec_lo, s0
	s_and_saveexec_b32 s0, vcc_lo
	s_cbranch_execz .LBB14_79
.LBB14_112:
	v_lshl_add_u32 v16, v13, 2, v14
	ds_load_b32 v16, v16 offset:512
	s_waitcnt lgkmcnt(0)
	v_add_f32_e32 v9, v9, v16
	s_or_b32 exec_lo, exec_lo, s0
	s_and_saveexec_b32 s0, vcc_lo
	s_cbranch_execz .LBB14_80
.LBB14_113:
	v_lshl_add_u32 v16, v13, 2, v14
	ds_load_b32 v16, v16 offset:576
	s_waitcnt lgkmcnt(0)
	v_add_f32_e32 v10, v10, v16
	s_or_b32 exec_lo, exec_lo, s0
	s_and_saveexec_b32 s0, vcc_lo
	s_cbranch_execz .LBB14_81
.LBB14_114:
	v_lshl_add_u32 v16, v13, 2, v14
	ds_load_b32 v16, v16 offset:640
	s_waitcnt lgkmcnt(0)
	v_add_f32_e32 v11, v11, v16
	s_or_b32 exec_lo, exec_lo, s0
	s_and_saveexec_b32 s0, vcc_lo
	s_cbranch_execnz .LBB14_82
	s_branch .LBB14_83
.LBB14_115:
	ds_load_b32 v14, v13
	s_waitcnt lgkmcnt(0)
	v_add_f32_e32 v1, v1, v14
	s_or_b32 exec_lo, exec_lo, s0
	s_and_saveexec_b32 s0, vcc_lo
	s_cbranch_execz .LBB14_89
.LBB14_116:
	ds_load_b32 v14, v13 offset:64
	s_waitcnt lgkmcnt(0)
	v_add_f32_e32 v2, v2, v14
	s_or_b32 exec_lo, exec_lo, s0
	s_and_saveexec_b32 s0, vcc_lo
	s_cbranch_execz .LBB14_90
.LBB14_117:
	ds_load_b32 v14, v13 offset:128
	s_waitcnt lgkmcnt(0)
	v_add_f32_e32 v3, v3, v14
	s_or_b32 exec_lo, exec_lo, s0
	s_and_saveexec_b32 s0, vcc_lo
	s_cbranch_execz .LBB14_91
.LBB14_118:
	ds_load_b32 v14, v13 offset:192
	s_waitcnt lgkmcnt(0)
	v_add_f32_e32 v4, v4, v14
	s_or_b32 exec_lo, exec_lo, s0
	s_and_saveexec_b32 s0, vcc_lo
	s_cbranch_execz .LBB14_92
.LBB14_119:
	ds_load_b32 v14, v13 offset:256
	s_waitcnt lgkmcnt(0)
	v_add_f32_e32 v5, v5, v14
	s_or_b32 exec_lo, exec_lo, s0
	s_and_saveexec_b32 s0, vcc_lo
	s_cbranch_execz .LBB14_93
.LBB14_120:
	ds_load_b32 v14, v13 offset:320
	s_waitcnt lgkmcnt(0)
	v_add_f32_e32 v6, v6, v14
	s_or_b32 exec_lo, exec_lo, s0
	s_and_saveexec_b32 s0, vcc_lo
	s_cbranch_execz .LBB14_94
.LBB14_121:
	ds_load_b32 v14, v13 offset:384
	s_waitcnt lgkmcnt(0)
	v_add_f32_e32 v7, v7, v14
	s_or_b32 exec_lo, exec_lo, s0
	s_and_saveexec_b32 s0, vcc_lo
	s_cbranch_execz .LBB14_95
.LBB14_122:
	ds_load_b32 v14, v13 offset:448
	s_waitcnt lgkmcnt(0)
	v_add_f32_e32 v8, v8, v14
	s_or_b32 exec_lo, exec_lo, s0
	s_and_saveexec_b32 s0, vcc_lo
	s_cbranch_execz .LBB14_96
.LBB14_123:
	ds_load_b32 v14, v13 offset:512
	s_waitcnt lgkmcnt(0)
	v_add_f32_e32 v9, v9, v14
	s_or_b32 exec_lo, exec_lo, s0
	s_and_saveexec_b32 s0, vcc_lo
	s_cbranch_execz .LBB14_97
.LBB14_124:
	ds_load_b32 v14, v13 offset:576
	s_waitcnt lgkmcnt(0)
	v_add_f32_e32 v10, v10, v14
	s_or_b32 exec_lo, exec_lo, s0
	s_and_saveexec_b32 s0, vcc_lo
	s_cbranch_execz .LBB14_98
.LBB14_125:
	ds_load_b32 v14, v13 offset:640
	s_waitcnt lgkmcnt(0)
	v_add_f32_e32 v11, v11, v14
	s_or_b32 exec_lo, exec_lo, s0
	s_and_saveexec_b32 s0, vcc_lo
	s_cbranch_execnz .LBB14_99
	s_branch .LBB14_100
	.section	.rodata,"a",@progbits
	.p2align	6, 0x0
	.amdhsa_kernel _ZN4vllm25paged_attention_v2_kernelIffLi192ELi8ELi128ELNS_18Fp8KVCacheDataTypeE0ELb1ELi512EEEvPfS2_PT_PKS3_PKT0_S9_ifPKiSB_iPKfiiiSD_SD_iiiii
		.amdhsa_group_segment_fixed_size 800
		.amdhsa_private_segment_fixed_size 0
		.amdhsa_kernarg_size 400
		.amdhsa_user_sgpr_count 13
		.amdhsa_user_sgpr_dispatch_ptr 0
		.amdhsa_user_sgpr_queue_ptr 0
		.amdhsa_user_sgpr_kernarg_segment_ptr 1
		.amdhsa_user_sgpr_dispatch_id 0
		.amdhsa_user_sgpr_private_segment_size 0
		.amdhsa_wavefront_size32 1
		.amdhsa_uses_dynamic_stack 0
		.amdhsa_enable_private_segment 0
		.amdhsa_system_sgpr_workgroup_id_x 1
		.amdhsa_system_sgpr_workgroup_id_y 1
		.amdhsa_system_sgpr_workgroup_id_z 1
		.amdhsa_system_sgpr_workgroup_info 0
		.amdhsa_system_vgpr_workitem_id 0
		.amdhsa_next_free_vgpr 85
		.amdhsa_next_free_sgpr 46
		.amdhsa_reserve_vcc 1
		.amdhsa_float_round_mode_32 0
		.amdhsa_float_round_mode_16_64 0
		.amdhsa_float_denorm_mode_32 3
		.amdhsa_float_denorm_mode_16_64 3
		.amdhsa_dx10_clamp 1
		.amdhsa_ieee_mode 1
		.amdhsa_fp16_overflow 0
		.amdhsa_workgroup_processor_mode 1
		.amdhsa_memory_ordered 1
		.amdhsa_forward_progress 0
		.amdhsa_shared_vgpr_count 0
		.amdhsa_exception_fp_ieee_invalid_op 0
		.amdhsa_exception_fp_denorm_src 0
		.amdhsa_exception_fp_ieee_div_zero 0
		.amdhsa_exception_fp_ieee_overflow 0
		.amdhsa_exception_fp_ieee_underflow 0
		.amdhsa_exception_fp_ieee_inexact 0
		.amdhsa_exception_int_div_zero 0
	.end_amdhsa_kernel
	.section	.text._ZN4vllm25paged_attention_v2_kernelIffLi192ELi8ELi128ELNS_18Fp8KVCacheDataTypeE0ELb1ELi512EEEvPfS2_PT_PKS3_PKT0_S9_ifPKiSB_iPKfiiiSD_SD_iiiii,"axG",@progbits,_ZN4vllm25paged_attention_v2_kernelIffLi192ELi8ELi128ELNS_18Fp8KVCacheDataTypeE0ELb1ELi512EEEvPfS2_PT_PKS3_PKT0_S9_ifPKiSB_iPKfiiiSD_SD_iiiii,comdat
.Lfunc_end14:
	.size	_ZN4vllm25paged_attention_v2_kernelIffLi192ELi8ELi128ELNS_18Fp8KVCacheDataTypeE0ELb1ELi512EEEvPfS2_PT_PKS3_PKT0_S9_ifPKiSB_iPKfiiiSD_SD_iiiii, .Lfunc_end14-_ZN4vllm25paged_attention_v2_kernelIffLi192ELi8ELi128ELNS_18Fp8KVCacheDataTypeE0ELb1ELi512EEEvPfS2_PT_PKS3_PKT0_S9_ifPKiSB_iPKfiiiSD_SD_iiiii
                                        ; -- End function
	.section	.AMDGPU.csdata,"",@progbits
; Kernel info:
; codeLenInByte = 7936
; NumSgprs: 48
; NumVgprs: 85
; ScratchSize: 0
; MemoryBound: 0
; FloatMode: 240
; IeeeMode: 1
; LDSByteSize: 800 bytes/workgroup (compile time only)
; SGPRBlocks: 5
; VGPRBlocks: 10
; NumSGPRsForWavesPerEU: 48
; NumVGPRsForWavesPerEU: 85
; Occupancy: 16
; WaveLimiterHint : 1
; COMPUTE_PGM_RSRC2:SCRATCH_EN: 0
; COMPUTE_PGM_RSRC2:USER_SGPR: 13
; COMPUTE_PGM_RSRC2:TRAP_HANDLER: 0
; COMPUTE_PGM_RSRC2:TGID_X_EN: 1
; COMPUTE_PGM_RSRC2:TGID_Y_EN: 1
; COMPUTE_PGM_RSRC2:TGID_Z_EN: 1
; COMPUTE_PGM_RSRC2:TIDIG_COMP_CNT: 0
	.section	.text._ZN4vllm32paged_attention_v2_reduce_kernelIfLi192ELi128ELi512EEEvPT_PKfS4_PKS1_PKii,"axG",@progbits,_ZN4vllm32paged_attention_v2_reduce_kernelIfLi192ELi128ELi512EEEvPT_PKfS4_PKS1_PKii,comdat
	.protected	_ZN4vllm32paged_attention_v2_reduce_kernelIfLi192ELi128ELi512EEEvPT_PKfS4_PKS1_PKii ; -- Begin function _ZN4vllm32paged_attention_v2_reduce_kernelIfLi192ELi128ELi512EEEvPT_PKfS4_PKS1_PKii
	.globl	_ZN4vllm32paged_attention_v2_reduce_kernelIfLi192ELi128ELi512EEEvPT_PKfS4_PKS1_PKii
	.p2align	8
	.type	_ZN4vllm32paged_attention_v2_reduce_kernelIfLi192ELi128ELi512EEEvPT_PKfS4_PKS1_PKii,@function
_ZN4vllm32paged_attention_v2_reduce_kernelIfLi192ELi128ELi512EEEvPT_PKfS4_PKS1_PKii: ; @_ZN4vllm32paged_attention_v2_reduce_kernelIfLi192ELi128ELi512EEEvPT_PKfS4_PKS1_PKii
; %bb.0:
	s_load_b128 s[4:7], s[0:1], 0x18
	s_add_u32 s8, s0, 48
	s_mov_b32 s10, s15
	s_addc_u32 s9, s1, 0
	s_ashr_i32 s11, s15, 31
	s_delay_alu instid0(SALU_CYCLE_1)
	s_lshl_b64 s[2:3], s[10:11], 2
	s_waitcnt lgkmcnt(0)
	s_add_u32 s2, s6, s2
	s_addc_u32 s3, s7, s3
	s_load_b32 s18, s[2:3], 0x0
	s_clause 0x2
	s_load_b64 s[6:7], s[0:1], 0x0
	s_load_b32 s11, s[0:1], 0x28
	s_load_b32 s15, s[0:1], 0x30
	s_waitcnt lgkmcnt(0)
	s_add_i32 s2, s18, -1
	s_delay_alu instid0(SALU_CYCLE_1)
	s_cmpk_gt_u32 s2, 0x1ff
	s_mov_b32 s2, -1
	s_cbranch_scc0 .LBB15_24
; %bb.1:
	s_load_b64 s[2:3], s[0:1], 0x8
	s_add_i32 s12, s18, 0x1ff
	s_mul_i32 s20, s15, s10
	s_ashr_i32 s13, s12, 31
	v_mov_b32_e32 v3, 0xff7fffff
	s_lshr_b32 s13, s13, 23
	s_mul_i32 s16, s14, s11
	s_add_i32 s12, s12, s13
	s_ashr_i32 s17, s16, 31
	s_ashr_i32 s19, s12, 9
	s_mul_i32 s12, s20, s11
	v_cmp_gt_i32_e32 vcc_lo, s19, v0
	s_ashr_i32 s13, s12, 31
	s_and_saveexec_b32 s21, vcc_lo
	s_cbranch_execz .LBB15_5
; %bb.2:
	s_load_b32 s28, s[8:9], 0xc
	s_load_b64 s[22:23], s[0:1], 0x10
	s_lshl_b64 s[24:25], s[12:13], 2
	s_lshl_b64 s[26:27], s[16:17], 2
	v_lshlrev_b32_e32 v1, 2, v0
	v_mov_b32_e32 v3, 0xff7fffff
	s_delay_alu instid0(VALU_DEP_2)
	v_dual_mov_b32 v5, v0 :: v_dual_add_nc_u32 v4, 32, v1
	s_waitcnt lgkmcnt(0)
	s_and_b32 s1, s28, 0xffff
	s_add_u32 s0, s24, s26
	s_addc_u32 s24, s25, s27
	s_add_u32 s0, s22, s0
	s_addc_u32 s22, s23, s24
	v_add_co_u32 v1, s0, s0, v1
	s_delay_alu instid0(VALU_DEP_1)
	v_add_co_ci_u32_e64 v2, null, s22, 0, s0
	s_mov_b32 s22, 0
	s_lshl_b32 s23, s1, 2
	.p2align	6
.LBB15_3:                               ; =>This Inner Loop Header: Depth=1
	global_load_b32 v6, v[1:2], off
	v_add_nc_u32_e32 v5, s1, v5
	v_max_f32_e32 v3, v3, v3
	v_add_co_u32 v1, s0, v1, s23
	s_delay_alu instid0(VALU_DEP_1) | instskip(NEXT) | instid1(VALU_DEP_4)
	v_add_co_ci_u32_e64 v2, s0, 0, v2, s0
	v_cmp_le_i32_e64 s0, s19, v5
	s_delay_alu instid0(VALU_DEP_1)
	s_or_b32 s22, s0, s22
	s_waitcnt vmcnt(0)
	v_max_f32_e32 v7, v6, v6
	ds_store_b32 v4, v6
	v_dual_max_f32 v3, v3, v7 :: v_dual_add_nc_u32 v4, s23, v4
	s_and_not1_b32 exec_lo, exec_lo, s22
	s_cbranch_execnz .LBB15_3
; %bb.4:
	s_or_b32 exec_lo, exec_lo, s22
.LBB15_5:
	s_delay_alu instid0(SALU_CYCLE_1)
	s_or_b32 exec_lo, exec_lo, s21
	v_mbcnt_lo_u32_b32 v1, -1, 0
	v_lshrrev_b32_e32 v9, 5, v0
	s_waitcnt lgkmcnt(0)
	s_barrier
	buffer_gl0_inv
	v_xor_b32_e32 v2, 16, v1
	v_xor_b32_e32 v4, 8, v1
	s_delay_alu instid0(VALU_DEP_2) | instskip(NEXT) | instid1(VALU_DEP_1)
	v_cmp_gt_i32_e64 s0, 32, v2
	v_cndmask_b32_e64 v2, v1, v2, s0
	s_delay_alu instid0(VALU_DEP_3) | instskip(NEXT) | instid1(VALU_DEP_2)
	v_cmp_gt_i32_e64 s0, 32, v4
	v_lshlrev_b32_e32 v5, 2, v2
	s_delay_alu instid0(VALU_DEP_2)
	v_cndmask_b32_e64 v4, v1, v4, s0
	ds_bpermute_b32 v2, v5, v3
	s_waitcnt lgkmcnt(0)
	v_dual_max_f32 v3, v3, v3 :: v_dual_max_f32 v2, v2, v2
	v_lshlrev_b32_e32 v7, 2, v4
	v_xor_b32_e32 v4, 4, v1
	s_delay_alu instid0(VALU_DEP_3) | instskip(NEXT) | instid1(VALU_DEP_2)
	v_max_f32_e32 v2, v3, v2
	v_cmp_gt_i32_e64 s0, 32, v4
	ds_bpermute_b32 v3, v7, v2
	v_cndmask_b32_e64 v4, v1, v4, s0
	s_delay_alu instid0(VALU_DEP_1) | instskip(SKIP_1) | instid1(VALU_DEP_1)
	v_lshlrev_b32_e32 v8, 2, v4
	v_xor_b32_e32 v4, 2, v1
	v_cmp_gt_i32_e64 s0, 32, v4
	s_delay_alu instid0(VALU_DEP_1) | instskip(SKIP_2) | instid1(VALU_DEP_1)
	v_cndmask_b32_e64 v4, v1, v4, s0
	s_waitcnt lgkmcnt(0)
	v_max_f32_e32 v3, v3, v3
	v_max_f32_e32 v2, v2, v3
	ds_bpermute_b32 v3, v8, v2
	s_waitcnt lgkmcnt(0)
	v_dual_max_f32 v6, v3, v3 :: v_dual_lshlrev_b32 v3, 2, v4
	s_delay_alu instid0(VALU_DEP_1) | instskip(SKIP_3) | instid1(VALU_DEP_1)
	v_max_f32_e32 v2, v2, v6
	v_xor_b32_e32 v6, 1, v1
	ds_bpermute_b32 v4, v3, v2
	v_cmp_gt_i32_e64 s0, 32, v6
	v_cndmask_b32_e64 v6, v1, v6, s0
	s_waitcnt lgkmcnt(0)
	v_max_f32_e32 v4, v4, v4
	s_delay_alu instid0(VALU_DEP_1) | instskip(SKIP_3) | instid1(VALU_DEP_1)
	v_dual_max_f32 v1, v2, v4 :: v_dual_lshlrev_b32 v4, 2, v6
	v_and_b32_e32 v6, 31, v0
	ds_bpermute_b32 v2, v4, v1
	v_cmp_eq_u32_e64 s0, 0, v6
	s_and_saveexec_b32 s1, s0
	s_cbranch_execz .LBB15_7
; %bb.6:
	s_waitcnt lgkmcnt(0)
	v_dual_max_f32 v2, v2, v2 :: v_dual_max_f32 v1, v1, v1
	s_delay_alu instid0(VALU_DEP_1)
	v_dual_max_f32 v1, v1, v2 :: v_dual_lshlrev_b32 v2, 2, v9
	ds_store_b32 v2, v1
.LBB15_7:
	s_or_b32 exec_lo, exec_lo, s1
	v_cmp_gt_u32_e64 s1, 4, v6
	v_mov_b32_e32 v1, 0xff7fffff
	s_waitcnt lgkmcnt(0)
	s_barrier
	buffer_gl0_inv
	s_and_saveexec_b32 s21, s1
	s_cbranch_execz .LBB15_9
; %bb.8:
	v_lshlrev_b32_e32 v1, 2, v6
	ds_load_b32 v1, v1
.LBB15_9:
	s_or_b32 exec_lo, exec_lo, s21
	s_waitcnt lgkmcnt(0)
	ds_bpermute_b32 v2, v3, v1
	v_max_f32_e32 v1, v1, v1
	s_lshl_b32 s21, s19, 2
	s_waitcnt lgkmcnt(0)
	v_dual_mov_b32 v11, 0 :: v_dual_max_f32 v2, v2, v2
	s_delay_alu instid0(VALU_DEP_1) | instskip(SKIP_3) | instid1(VALU_DEP_1)
	v_max_f32_e32 v1, v1, v2
	ds_bpermute_b32 v2, v4, v1
	s_waitcnt lgkmcnt(0)
	v_max_f32_e32 v2, v2, v2
	v_max_f32_e32 v1, v1, v2
	ds_bpermute_b32 v10, v11, v1
	s_and_saveexec_b32 s22, vcc_lo
	s_cbranch_execz .LBB15_13
; %bb.10:
	s_load_b32 s23, s[8:9], 0xc
	s_lshl_b64 s[24:25], s[12:13], 2
	s_lshl_b64 s[26:27], s[16:17], 2
	v_lshlrev_b32_e32 v1, 2, v0
	v_mov_b32_e32 v11, 0
	s_delay_alu instid0(VALU_DEP_2)
	v_dual_mov_b32 v13, v0 :: v_dual_add_nc_u32 v12, 32, v1
	s_waitcnt lgkmcnt(0)
	s_and_b32 s13, s23, 0xffff
	s_add_u32 s17, s24, s26
	s_addc_u32 s23, s25, s27
	s_add_u32 s2, s2, s17
	s_addc_u32 s3, s3, s23
	v_add_co_u32 v1, s2, s2, v1
	s_delay_alu instid0(VALU_DEP_1)
	v_add_co_ci_u32_e64 v2, null, s3, 0, s2
	s_mov_b32 s3, 0
	s_lshl_b32 s17, s13, 2
	s_set_inst_prefetch_distance 0x1
	.p2align	6
.LBB15_11:                              ; =>This Inner Loop Header: Depth=1
	global_load_b32 v14, v[1:2], off
	ds_load_b32 v15, v12
	v_add_nc_u32_e32 v13, s13, v13
	s_waitcnt lgkmcnt(0)
	v_sub_f32_e32 v15, v15, v10
	s_delay_alu instid0(VALU_DEP_1) | instskip(NEXT) | instid1(VALU_DEP_1)
	v_mul_f32_e32 v16, 0x3fb8aa3b, v15
	v_fma_f32 v17, 0x3fb8aa3b, v15, -v16
	v_rndne_f32_e32 v18, v16
	s_delay_alu instid0(VALU_DEP_1) | instskip(NEXT) | instid1(VALU_DEP_1)
	v_dual_fmac_f32 v17, 0x32a5705f, v15 :: v_dual_sub_f32 v16, v16, v18
	v_add_f32_e32 v16, v16, v17
	v_cvt_i32_f32_e32 v17, v18
	v_cmp_ngt_f32_e32 vcc_lo, 0xc2ce8ed0, v15
	v_cmp_nlt_f32_e64 s2, 0x42b17218, v15
	s_delay_alu instid0(VALU_DEP_4) | instskip(SKIP_3) | instid1(VALU_DEP_2)
	v_exp_f32_e32 v16, v16
	s_waitcnt_depctr 0xfff
	v_ldexp_f32 v16, v16, v17
	v_add_nc_u32_e32 v17, s21, v12
	v_cndmask_b32_e32 v16, 0, v16, vcc_lo
	v_add_co_u32 v1, vcc_lo, v1, s17
	v_add_co_ci_u32_e32 v2, vcc_lo, 0, v2, vcc_lo
	s_delay_alu instid0(VALU_DEP_3)
	v_cndmask_b32_e64 v15, 0x7f800000, v16, s2
	v_cmp_le_i32_e32 vcc_lo, s19, v13
	v_add_nc_u32_e32 v12, s17, v12
	s_or_b32 s3, vcc_lo, s3
	s_waitcnt vmcnt(0)
	v_fmac_f32_e32 v11, v14, v15
	v_mul_f32_e32 v16, v14, v15
	ds_store_b32 v17, v16
	s_and_not1_b32 exec_lo, exec_lo, s3
	s_cbranch_execnz .LBB15_11
; %bb.12:
	s_set_inst_prefetch_distance 0x2
	s_or_b32 exec_lo, exec_lo, s3
.LBB15_13:
	s_delay_alu instid0(SALU_CYCLE_1)
	s_or_b32 exec_lo, exec_lo, s22
	ds_bpermute_b32 v1, v5, v11
	s_waitcnt lgkmcnt(0)
	s_barrier
	buffer_gl0_inv
	v_add_f32_e32 v1, v11, v1
	ds_bpermute_b32 v2, v7, v1
	s_waitcnt lgkmcnt(0)
	v_add_f32_e32 v1, v1, v2
	ds_bpermute_b32 v2, v8, v1
	s_waitcnt lgkmcnt(0)
	v_add_f32_e32 v1, v1, v2
	ds_bpermute_b32 v2, v3, v1
	s_waitcnt lgkmcnt(0)
	v_add_f32_e32 v1, v1, v2
	ds_bpermute_b32 v2, v4, v1
	s_waitcnt lgkmcnt(0)
	v_add_f32_e32 v1, v1, v2
	s_and_saveexec_b32 s2, s0
	s_cbranch_execz .LBB15_15
; %bb.14:
	v_lshlrev_b32_e32 v2, 2, v9
	ds_store_b32 v2, v1 offset:16
.LBB15_15:
	s_or_b32 exec_lo, exec_lo, s2
	s_waitcnt lgkmcnt(0)
	s_barrier
	buffer_gl0_inv
	s_and_saveexec_b32 s0, s1
	s_cbranch_execz .LBB15_17
; %bb.16:
	v_lshlrev_b32_e32 v1, 2, v6
	ds_load_b32 v1, v1 offset:16
.LBB15_17:
	s_or_b32 exec_lo, exec_lo, s0
	s_waitcnt lgkmcnt(0)
	ds_bpermute_b32 v2, v3, v1
	s_mov_b32 s1, exec_lo
	s_waitcnt lgkmcnt(0)
	v_add_f32_e32 v1, v1, v2
	ds_bpermute_b32 v2, v4, v1
	s_waitcnt lgkmcnt(0)
	v_dual_add_f32 v1, v1, v2 :: v_dual_mov_b32 v2, 0
	ds_bpermute_b32 v1, v2, v1
	v_cmpx_gt_u32_e32 0xc0, v0
	s_cbranch_execz .LBB15_23
; %bb.18:
	s_waitcnt lgkmcnt(0)
	v_add_f32_e32 v1, 0x358637bd, v1
	s_mul_i32 s2, s20, 0xc0
	s_mul_i32 s22, s12, 0xc0
	s_ashr_i32 s3, s2, 31
	s_mul_i32 s24, s16, 0xc0
	v_div_scale_f32 v3, null, v1, v1, 1.0
	s_lshl_b64 s[2:3], s[2:3], 2
	s_mul_i32 s12, s14, 0xc0
	s_ashr_i32 s23, s22, 31
	s_delay_alu instid0(VALU_DEP_1)
	v_rcp_f32_e32 v4, v3
	s_ashr_i32 s25, s24, 31
	s_add_u32 s0, s6, s2
	s_addc_u32 s16, s7, s3
	s_ashr_i32 s13, s12, 31
	v_lshlrev_b32_e32 v8, 2, v0
	s_lshl_b64 s[2:3], s[12:13], 2
	s_delay_alu instid0(SALU_CYCLE_1)
	s_add_u32 s2, s0, s2
	s_addc_u32 s3, s16, s3
	s_waitcnt_depctr 0xfff
	v_fma_f32 v5, -v3, v4, 1.0
	s_add_i32 s12, s21, 32
	s_cmp_gt_i32 s18, 0
	s_cselect_b32 s13, -1, 0
	s_delay_alu instid0(VALU_DEP_1) | instskip(SKIP_4) | instid1(VALU_DEP_1)
	v_fmac_f32_e32 v4, v5, v4
	v_div_scale_f32 v6, vcc_lo, 1.0, v1, 1.0
	s_max_i32 s16, s19, 1
	s_lshl_b64 s[18:19], s[22:23], 2
	s_lshl_b64 s[20:21], s[24:25], 2
	v_mul_f32_e32 v5, v6, v4
	s_add_u32 s0, s18, s20
	s_addc_u32 s17, s19, s21
	s_add_u32 s0, s4, s0
	s_addc_u32 s17, s5, s17
	v_fma_f32 v7, -v3, v5, v6
	s_delay_alu instid0(VALU_DEP_1) | instskip(NEXT) | instid1(VALU_DEP_1)
	v_fmac_f32_e32 v5, v7, v4
	v_fma_f32 v3, -v3, v5, v6
	s_delay_alu instid0(VALU_DEP_1) | instskip(NEXT) | instid1(VALU_DEP_1)
	v_div_fmas_f32 v5, v3, v4, v5
	v_div_fixup_f32 v7, v5, v1, 1.0
	v_mov_b32_e32 v1, v0
	v_add_co_u32 v3, s0, s0, v8
	s_delay_alu instid0(VALU_DEP_1)
	v_add_co_ci_u32_e64 v4, null, s17, 0, s0
	s_mov_b32 s17, 0
	s_set_inst_prefetch_distance 0x1
	s_branch .LBB15_20
	.p2align	6
.LBB15_19:                              ;   in Loop: Header=BB15_20 Depth=1
	v_lshlrev_b64 v[5:6], 2, v[1:2]
	v_add_nc_u32_e32 v9, 0x80, v1
	v_cmp_lt_u32_e32 vcc_lo, 63, v1
	s_delay_alu instid0(VALU_DEP_2) | instskip(NEXT) | instid1(VALU_DEP_4)
	v_mov_b32_e32 v1, v9
	v_add_co_u32 v5, s0, s2, v5
	s_delay_alu instid0(VALU_DEP_1) | instskip(SKIP_1) | instid1(VALU_DEP_1)
	v_add_co_ci_u32_e64 v6, s0, s3, v6, s0
	v_add_co_u32 v3, s0, 0x200, v3
	v_add_co_ci_u32_e64 v4, s0, 0, v4, s0
	s_or_b32 s17, vcc_lo, s17
	global_store_b32 v[5:6], v8, off
	s_and_not1_b32 exec_lo, exec_lo, s17
	s_cbranch_execz .LBB15_23
.LBB15_20:                              ; =>This Loop Header: Depth=1
                                        ;     Child Loop BB15_22 Depth 2
	v_mov_b32_e32 v8, 0
	s_and_not1_b32 vcc_lo, exec_lo, s13
	s_cbranch_vccnz .LBB15_19
; %bb.21:                               ;   in Loop: Header=BB15_20 Depth=1
	v_dual_mov_b32 v6, v4 :: v_dual_mov_b32 v5, v3
	s_mov_b32 s0, s12
	s_mov_b32 s18, s16
.LBB15_22:                              ;   Parent Loop BB15_20 Depth=1
                                        ; =>  This Inner Loop Header: Depth=2
	global_load_b32 v9, v[5:6], off
	v_mov_b32_e32 v10, s0
	v_add_co_u32 v5, vcc_lo, 0x300, v5
	v_add_co_ci_u32_e32 v6, vcc_lo, 0, v6, vcc_lo
	ds_load_b32 v10, v10
	s_add_i32 s18, s18, -1
	s_add_i32 s0, s0, 4
	s_cmp_eq_u32 s18, 0
	s_waitcnt vmcnt(0) lgkmcnt(0)
	v_mul_f32_e32 v9, v9, v10
	s_delay_alu instid0(VALU_DEP_1)
	v_fmac_f32_e32 v8, v7, v9
	s_cbranch_scc0 .LBB15_22
	s_branch .LBB15_19
.LBB15_23:
	s_set_inst_prefetch_distance 0x2
	s_or_b32 exec_lo, exec_lo, s1
	s_mov_b32 s2, 0
.LBB15_24:
	s_delay_alu instid0(SALU_CYCLE_1)
	s_and_b32 vcc_lo, exec_lo, s2
	s_cbranch_vccz .LBB15_28
; %bb.25:
	s_mov_b32 s0, exec_lo
	v_cmpx_gt_u32_e32 0xc0, v0
	s_cbranch_execz .LBB15_28
; %bb.26:
	s_mul_i32 s0, s15, s10
	s_load_b32 s10, s[8:9], 0xc
	s_mulk_i32 s0, 0xc0
	s_mul_i32 s12, s14, 0xc0
	s_ashr_i32 s1, s0, 31
	s_mul_i32 s8, s12, s11
	s_lshl_b64 s[2:3], s[0:1], 2
	s_waitcnt lgkmcnt(0)
	v_dual_mov_b32 v2, 0 :: v_dual_lshlrev_b32 v1, 2, v0
	s_add_u32 s1, s6, s2
	s_addc_u32 s7, s7, s3
	s_ashr_i32 s13, s12, 31
	s_mul_i32 s6, s0, s11
	s_lshl_b64 s[2:3], s[12:13], 2
	s_delay_alu instid0(SALU_CYCLE_1) | instskip(SKIP_2) | instid1(SALU_CYCLE_1)
	s_add_u32 s1, s1, s2
	s_addc_u32 s2, s7, s3
	s_ashr_i32 s7, s6, 31
	s_lshl_b64 s[6:7], s[6:7], 2
	s_delay_alu instid0(SALU_CYCLE_1) | instskip(SKIP_2) | instid1(SALU_CYCLE_1)
	s_add_u32 s0, s4, s6
	s_addc_u32 s6, s5, s7
	s_ashr_i32 s9, s8, 31
	s_lshl_b64 s[4:5], s[8:9], 2
	s_delay_alu instid0(SALU_CYCLE_1)
	s_add_u32 s3, s0, s4
	s_addc_u32 s4, s6, s5
	s_and_b32 s5, s10, 0xffff
	s_mov_b32 s6, 0
	s_lshl_b32 s7, s5, 2
	.p2align	6
.LBB15_27:                              ; =>This Inner Loop Header: Depth=1
	v_add_co_u32 v3, vcc_lo, s3, v1
	v_add_co_ci_u32_e32 v4, vcc_lo, s4, v2, vcc_lo
	v_add_nc_u32_e32 v0, s5, v0
	global_load_b32 v5, v[3:4], off
	v_add_co_u32 v3, vcc_lo, s1, v1
	v_add_co_ci_u32_e32 v4, vcc_lo, s2, v2, vcc_lo
	v_cmp_lt_u32_e32 vcc_lo, 0xbf, v0
	v_add_co_u32 v1, s0, v1, s7
	s_delay_alu instid0(VALU_DEP_1)
	v_add_co_ci_u32_e64 v2, s0, 0, v2, s0
	s_or_b32 s6, vcc_lo, s6
	s_waitcnt vmcnt(0)
	global_store_b32 v[3:4], v5, off
	s_and_not1_b32 exec_lo, exec_lo, s6
	s_cbranch_execnz .LBB15_27
.LBB15_28:
	s_nop 0
	s_sendmsg sendmsg(MSG_DEALLOC_VGPRS)
	s_endpgm
	.section	.rodata,"a",@progbits
	.p2align	6, 0x0
	.amdhsa_kernel _ZN4vllm32paged_attention_v2_reduce_kernelIfLi192ELi128ELi512EEEvPT_PKfS4_PKS1_PKii
		.amdhsa_group_segment_fixed_size 32
		.amdhsa_private_segment_fixed_size 0
		.amdhsa_kernarg_size 304
		.amdhsa_user_sgpr_count 14
		.amdhsa_user_sgpr_dispatch_ptr 0
		.amdhsa_user_sgpr_queue_ptr 0
		.amdhsa_user_sgpr_kernarg_segment_ptr 1
		.amdhsa_user_sgpr_dispatch_id 0
		.amdhsa_user_sgpr_private_segment_size 0
		.amdhsa_wavefront_size32 1
		.amdhsa_uses_dynamic_stack 0
		.amdhsa_enable_private_segment 0
		.amdhsa_system_sgpr_workgroup_id_x 1
		.amdhsa_system_sgpr_workgroup_id_y 1
		.amdhsa_system_sgpr_workgroup_id_z 0
		.amdhsa_system_sgpr_workgroup_info 0
		.amdhsa_system_vgpr_workitem_id 0
		.amdhsa_next_free_vgpr 19
		.amdhsa_next_free_sgpr 29
		.amdhsa_reserve_vcc 1
		.amdhsa_float_round_mode_32 0
		.amdhsa_float_round_mode_16_64 0
		.amdhsa_float_denorm_mode_32 3
		.amdhsa_float_denorm_mode_16_64 3
		.amdhsa_dx10_clamp 1
		.amdhsa_ieee_mode 1
		.amdhsa_fp16_overflow 0
		.amdhsa_workgroup_processor_mode 1
		.amdhsa_memory_ordered 1
		.amdhsa_forward_progress 0
		.amdhsa_shared_vgpr_count 0
		.amdhsa_exception_fp_ieee_invalid_op 0
		.amdhsa_exception_fp_denorm_src 0
		.amdhsa_exception_fp_ieee_div_zero 0
		.amdhsa_exception_fp_ieee_overflow 0
		.amdhsa_exception_fp_ieee_underflow 0
		.amdhsa_exception_fp_ieee_inexact 0
		.amdhsa_exception_int_div_zero 0
	.end_amdhsa_kernel
	.section	.text._ZN4vllm32paged_attention_v2_reduce_kernelIfLi192ELi128ELi512EEEvPT_PKfS4_PKS1_PKii,"axG",@progbits,_ZN4vllm32paged_attention_v2_reduce_kernelIfLi192ELi128ELi512EEEvPT_PKfS4_PKS1_PKii,comdat
.Lfunc_end15:
	.size	_ZN4vllm32paged_attention_v2_reduce_kernelIfLi192ELi128ELi512EEEvPT_PKfS4_PKS1_PKii, .Lfunc_end15-_ZN4vllm32paged_attention_v2_reduce_kernelIfLi192ELi128ELi512EEEvPT_PKfS4_PKS1_PKii
                                        ; -- End function
	.section	.AMDGPU.csdata,"",@progbits
; Kernel info:
; codeLenInByte = 2088
; NumSgprs: 31
; NumVgprs: 19
; ScratchSize: 0
; MemoryBound: 0
; FloatMode: 240
; IeeeMode: 1
; LDSByteSize: 32 bytes/workgroup (compile time only)
; SGPRBlocks: 3
; VGPRBlocks: 2
; NumSGPRsForWavesPerEU: 31
; NumVGPRsForWavesPerEU: 19
; Occupancy: 16
; WaveLimiterHint : 0
; COMPUTE_PGM_RSRC2:SCRATCH_EN: 0
; COMPUTE_PGM_RSRC2:USER_SGPR: 14
; COMPUTE_PGM_RSRC2:TRAP_HANDLER: 0
; COMPUTE_PGM_RSRC2:TGID_X_EN: 1
; COMPUTE_PGM_RSRC2:TGID_Y_EN: 1
; COMPUTE_PGM_RSRC2:TGID_Z_EN: 0
; COMPUTE_PGM_RSRC2:TIDIG_COMP_CNT: 0
	.section	.text._ZN4vllm25paged_attention_v2_kernelIffLi256ELi8ELi128ELNS_18Fp8KVCacheDataTypeE0ELb1ELi512EEEvPfS2_PT_PKS3_PKT0_S9_ifPKiSB_iPKfiiiSD_SD_iiiii,"axG",@progbits,_ZN4vllm25paged_attention_v2_kernelIffLi256ELi8ELi128ELNS_18Fp8KVCacheDataTypeE0ELb1ELi512EEEvPfS2_PT_PKS3_PKT0_S9_ifPKiSB_iPKfiiiSD_SD_iiiii,comdat
	.protected	_ZN4vllm25paged_attention_v2_kernelIffLi256ELi8ELi128ELNS_18Fp8KVCacheDataTypeE0ELb1ELi512EEEvPfS2_PT_PKS3_PKT0_S9_ifPKiSB_iPKfiiiSD_SD_iiiii ; -- Begin function _ZN4vllm25paged_attention_v2_kernelIffLi256ELi8ELi128ELNS_18Fp8KVCacheDataTypeE0ELb1ELi512EEEvPfS2_PT_PKS3_PKT0_S9_ifPKiSB_iPKfiiiSD_SD_iiiii
	.globl	_ZN4vllm25paged_attention_v2_kernelIffLi256ELi8ELi128ELNS_18Fp8KVCacheDataTypeE0ELb1ELi512EEEvPfS2_PT_PKS3_PKT0_S9_ifPKiSB_iPKfiiiSD_SD_iiiii
	.p2align	8
	.type	_ZN4vllm25paged_attention_v2_kernelIffLi256ELi8ELi128ELNS_18Fp8KVCacheDataTypeE0ELb1ELi512EEEvPfS2_PT_PKS3_PKT0_S9_ifPKiSB_iPKfiiiSD_SD_iiiii,@function
_ZN4vllm25paged_attention_v2_kernelIffLi256ELi8ELi128ELNS_18Fp8KVCacheDataTypeE0ELb1ELi512EEEvPfS2_PT_PKS3_PKT0_S9_ifPKiSB_iPKfiiiSD_SD_iiiii: ; @_ZN4vllm25paged_attention_v2_kernelIffLi256ELi8ELi128ELNS_18Fp8KVCacheDataTypeE0ELb1ELi512EEEvPfS2_PT_PKS3_PKT0_S9_ifPKiSB_iPKfiiiSD_SD_iiiii
; %bb.0:
	s_load_b64 s[2:3], s[0:1], 0x40
	s_mov_b32 s12, s15
	s_ashr_i32 s15, s14, 31
	s_delay_alu instid0(SALU_CYCLE_1)
	s_lshl_b64 s[4:5], s[14:15], 2
	s_waitcnt lgkmcnt(0)
	s_add_u32 s2, s2, s4
	s_addc_u32 s3, s3, s5
	s_lshl_b32 s38, s12, 9
	s_load_b32 s33, s[2:3], 0x0
	s_waitcnt lgkmcnt(0)
	s_cmp_ge_i32 s38, s33
	s_cbranch_scc1 .LBB16_119
; %bb.1:
	s_mov_b32 s30, s13
	s_clause 0x1
	s_load_b32 s13, s[0:1], 0x90
	s_load_b64 s[36:37], s[0:1], 0x30
	s_mov_b32 s40, 0
	s_waitcnt lgkmcnt(0)
	s_abs_i32 s5, s13
	s_abs_i32 s2, s36
	s_delay_alu instid0(SALU_CYCLE_1) | instskip(SKIP_1) | instid1(VALU_DEP_1)
	v_cvt_f32_u32_e32 v1, s2
	s_sub_i32 s4, 0, s2
	v_rcp_iflag_f32_e32 v1, v1
	s_waitcnt_depctr 0xfff
	v_mul_f32_e32 v1, 0x4f7ffffe, v1
	s_delay_alu instid0(VALU_DEP_1) | instskip(NEXT) | instid1(VALU_DEP_1)
	v_cvt_u32_f32_e32 v1, v1
	v_readfirstlane_b32 s3, v1
	s_delay_alu instid0(VALU_DEP_1) | instskip(NEXT) | instid1(SALU_CYCLE_1)
	s_mul_i32 s4, s4, s3
	s_mul_hi_u32 s4, s3, s4
	s_delay_alu instid0(SALU_CYCLE_1) | instskip(SKIP_4) | instid1(SALU_CYCLE_1)
	s_add_i32 s3, s3, s4
	s_xor_b32 s4, s13, s36
	s_mul_hi_u32 s3, s5, s3
	s_ashr_i32 s4, s4, 31
	s_mul_i32 s6, s3, s2
	s_sub_i32 s5, s5, s6
	s_add_i32 s6, s3, 1
	s_sub_i32 s7, s5, s2
	s_cmp_ge_u32 s5, s2
	s_cselect_b32 s3, s6, s3
	s_cselect_b32 s5, s7, s5
	s_add_i32 s6, s3, 1
	s_cmp_ge_u32 s5, s2
	s_cselect_b32 s2, s6, s3
	s_abs_i32 s35, s30
	s_xor_b32 s2, s2, s4
	s_delay_alu instid0(SALU_CYCLE_1) | instskip(SKIP_2) | instid1(SALU_CYCLE_1)
	s_sub_i32 s20, s2, s4
	s_load_b64 s[2:3], s[0:1], 0x50
	s_abs_i32 s34, s20
	v_cvt_f32_u32_e32 v1, s34
	s_sub_i32 s4, 0, s34
	s_delay_alu instid0(VALU_DEP_1) | instskip(SKIP_2) | instid1(VALU_DEP_1)
	v_rcp_iflag_f32_e32 v1, v1
	s_waitcnt_depctr 0xfff
	v_mul_f32_e32 v1, 0x4f7ffffe, v1
	v_cvt_u32_f32_e32 v1, v1
	s_delay_alu instid0(VALU_DEP_1) | instskip(NEXT) | instid1(VALU_DEP_1)
	v_readfirstlane_b32 s21, v1
	s_mul_i32 s4, s4, s21
	s_delay_alu instid0(SALU_CYCLE_1) | instskip(NEXT) | instid1(SALU_CYCLE_1)
	s_mul_hi_u32 s4, s21, s4
	s_add_i32 s21, s21, s4
	s_waitcnt lgkmcnt(0)
	s_cmp_eq_u64 s[2:3], 0
	s_cbranch_scc1 .LBB16_3
; %bb.2:
	s_ashr_i32 s31, s30, 31
	s_delay_alu instid0(SALU_CYCLE_1) | instskip(NEXT) | instid1(SALU_CYCLE_1)
	s_lshl_b64 s[4:5], s[30:31], 2
	s_add_u32 s2, s2, s4
	s_addc_u32 s3, s3, s5
	s_load_b32 s40, s[2:3], 0x0
.LBB16_3:
	s_clause 0x5
	s_load_b128 s[16:19], s[0:1], 0x0
	s_load_b64 s[24:25], s[0:1], 0x10
	s_load_b128 s[8:11], s[0:1], 0x20
	s_load_b64 s[28:29], s[0:1], 0x38
	s_load_b32 s15, s[0:1], 0x98
	s_load_b128 s[4:7], s[0:1], 0x58
	v_and_b32_e32 v6, 3, v0
	s_lshl_b32 s26, s30, 8
	s_mul_hi_u32 s2, s35, s21
	s_ashr_i32 s27, s26, 31
	s_mov_b32 s3, exec_lo
	v_cmpx_gt_u32_e32 0x100, v0
	s_cbranch_execz .LBB16_6
; %bb.4:
	s_load_b64 s[22:23], s[0:1], 0x18
	v_and_b32_e32 v1, 0x3fc, v0
	s_waitcnt lgkmcnt(0)
	s_mul_i32 s42, s14, s4
	s_lshl_b64 s[44:45], s[26:27], 2
	s_ashr_i32 s43, s42, 31
	v_lshrrev_b32_e32 v2, 2, v0
	v_or_b32_e32 v5, v1, v6
	s_lshl_b64 s[42:43], s[42:43], 2
	v_lshl_add_u32 v4, v6, 8, v1
	s_add_u32 s4, s42, s44
	s_addc_u32 s7, s43, s45
	v_lshlrev_b32_e32 v1, 2, v5
	v_subrev_nc_u32_e32 v3, 32, v2
	s_add_u32 s4, s22, s4
	s_addc_u32 s7, s23, s7
	s_delay_alu instid0(VALU_DEP_2) | instskip(NEXT) | instid1(VALU_DEP_1)
	v_add_co_u32 v1, s4, s4, v1
	v_add_co_ci_u32_e64 v2, null, s7, 0, s4
	s_mov_b32 s4, 0
	.p2align	6
.LBB16_5:                               ; =>This Inner Loop Header: Depth=1
	global_load_b32 v5, v[1:2], off
	v_add_co_u32 v3, s7, v3, 32
	v_add_co_u32 v1, vcc_lo, 0x200, v1
	s_xor_b32 s7, s7, -1
	v_add_co_ci_u32_e32 v2, vcc_lo, 0, v2, vcc_lo
	s_and_b32 s7, exec_lo, s7
	s_delay_alu instid0(SALU_CYCLE_1)
	s_or_b32 s4, s7, s4
	s_waitcnt vmcnt(0)
	ds_store_b32 v4, v5
	v_add_nc_u32_e32 v4, 0x80, v4
	s_and_not1_b32 exec_lo, exec_lo, s4
	s_cbranch_execnz .LBB16_5
.LBB16_6:
	s_or_b32 exec_lo, exec_lo, s3
	s_waitcnt lgkmcnt(0)
	s_ashr_i32 s4, s20, 31
	s_load_b128 s[20:23], s[0:1], 0x78
	s_ashr_i32 s3, s30, 31
	s_mul_i32 s7, s2, s34
	s_xor_b32 s3, s3, s4
	s_sub_i32 s4, s35, s7
	s_add_i32 s7, s2, 1
	s_sub_i32 s27, s4, s34
	s_cmp_ge_u32 s4, s34
	s_mov_b32 s39, -1
	s_cselect_b32 s2, s7, s2
	s_cselect_b32 s4, s27, s4
	s_add_i32 s7, s2, 1
	s_cmp_ge_u32 s4, s34
	s_waitcnt lgkmcnt(0)
	s_cselect_b32 s2, s7, s2
	s_load_b32 s7, s[0:1], 0x88
	s_xor_b32 s2, s2, s3
	s_add_i32 s35, s33, -1
	s_sub_i32 s2, s2, s3
	s_abs_i32 s34, s35
	s_abs_i32 s4, s23
	s_waitcnt lgkmcnt(0)
	s_barrier
	v_cvt_f32_u32_e32 v1, s4
	s_sub_i32 s3, 0, s4
	buffer_gl0_inv
                                        ; implicit-def: $sgpr31
	v_rcp_iflag_f32_e32 v1, v1
	s_waitcnt_depctr 0xfff
	v_mul_f32_e32 v1, 0x4f7ffffe, v1
	s_delay_alu instid0(VALU_DEP_1) | instskip(NEXT) | instid1(VALU_DEP_1)
	v_cvt_u32_f32_e32 v1, v1
	v_readfirstlane_b32 s27, v1
	s_delay_alu instid0(VALU_DEP_1) | instskip(NEXT) | instid1(SALU_CYCLE_1)
	s_mul_i32 s3, s3, s27
	s_mul_hi_u32 s3, s27, s3
	s_delay_alu instid0(SALU_CYCLE_1)
	s_add_i32 s27, s27, s3
	s_cmp_lt_i32 s7, 0
	s_mul_hi_u32 s3, s34, s27
	s_cbranch_scc0 .LBB16_8
; %bb.7:
	s_mul_i32 s31, s20, s36
	s_mov_b32 s39, 0
	s_add_i32 s31, s2, s31
	s_delay_alu instid0(SALU_CYCLE_1) | instskip(NEXT) | instid1(SALU_CYCLE_1)
	s_mul_i32 s31, s31, s7
	s_sub_i32 s31, 1, s31
.LBB16_8:
	s_ashr_i32 s35, s35, 31
	s_and_not1_b32 vcc_lo, exec_lo, s39
	s_ashr_i32 s23, s23, 31
	s_cbranch_vccnz .LBB16_10
; %bb.9:
	s_mul_i32 s20, s13, s20
	s_delay_alu instid0(SALU_CYCLE_1) | instskip(NEXT) | instid1(SALU_CYCLE_1)
	s_add_i32 s20, s20, s30
	s_mul_i32 s7, s20, s7
	s_delay_alu instid0(SALU_CYCLE_1)
	s_add_i32 s31, s7, 1
.LBB16_10:
	s_load_b32 s0, s[0:1], 0x48
	s_mul_i32 s7, s3, s4
	s_xor_b32 s1, s35, s23
	s_sub_i32 s7, s34, s7
	s_add_i32 s20, s3, 1
	v_lshrrev_b32_e32 v72, 5, v0
	v_mov_b32_e32 v4, 0xff7fffff
	v_mbcnt_lo_u32_b32 v3, -1, 0
	s_mul_i32 s6, s2, s6
	s_delay_alu instid0(VALU_DEP_3)
	v_lshl_add_u32 v73, v72, 3, s38
	s_waitcnt lgkmcnt(0)
	s_mul_i32 s34, s14, s0
	s_sub_i32 s0, s7, s4
	s_ashr_i32 s35, s34, 31
	s_cmp_ge_u32 s7, s4
	s_cselect_b32 s3, s20, s3
	s_cselect_b32 s0, s0, s7
	s_add_i32 s7, s3, 1
	s_cmp_ge_u32 s0, s4
	s_cselect_b32 s0, s7, s3
	s_add_i32 s3, s33, 7
	s_lshl_b32 s41, s12, 6
	s_ashr_i32 s7, s3, 31
	v_or_b32_e32 v69, s41, v72
	s_lshr_b32 s7, s7, 29
	s_delay_alu instid0(SALU_CYCLE_1)
	s_add_i32 s3, s3, s7
	s_add_i32 s7, s41, 64
	s_ashr_i32 s36, s3, 3
	s_xor_b32 s3, s0, s1
	s_min_i32 s20, s7, s36
	v_ashrrev_i32_e32 v70, 31, v69
	v_cmp_gt_i32_e64 s0, s20, v69
	s_sub_i32 s39, s3, s1
	s_delay_alu instid0(VALU_DEP_1)
	s_and_saveexec_b32 s42, s0
	s_cbranch_execz .LBB16_20
; %bb.11:
	s_ashr_i32 s7, s6, 31
	v_bfe_u32 v5, v0, 2, 3
	s_lshl_b64 s[2:3], s[6:7], 2
	s_sub_i32 s7, s39, s21
	s_add_u32 s43, s8, s2
	s_addc_u32 s9, s9, s3
	s_abs_i32 s8, s22
	v_lshlrev_b32_e32 v14, 4, v5
	v_cvt_f32_u32_e32 v1, s8
	s_sub_i32 s44, 0, s8
	v_dual_mov_b32 v8, 0xff7fffff :: v_dual_lshlrev_b32 v13, 2, v5
	s_lshl_b64 s[2:3], s[34:35], 2
	s_delay_alu instid0(VALU_DEP_2)
	v_rcp_iflag_f32_e32 v4, v1
	v_lshlrev_b32_e32 v12, 2, v6
	v_lshlrev_b64 v[1:2], 2, v[69:70]
	s_add_u32 s2, s28, s2
	v_add_co_u32 v14, s43, s43, v14
	s_addc_u32 s3, s29, s3
	v_add_co_ci_u32_e64 v17, null, s9, 0, s43
	v_lshl_or_b32 v18, v72, 5, v13
	s_waitcnt_depctr 0xfff
	v_mul_f32_e32 v11, 0x4f7ffffe, v4
	v_add_co_u32 v1, s2, s2, v1
	s_delay_alu instid0(VALU_DEP_1) | instskip(NEXT) | instid1(VALU_DEP_3)
	v_add_co_ci_u32_e64 v2, s2, s3, v2, s2
	v_cvt_u32_f32_e32 v15, v11
	v_subrev_nc_u32_e32 v11, s33, v5
	v_add_co_u32 v12, s2, v14, v12
	v_cmp_eq_u32_e32 vcc_lo, 0, v6
	s_delay_alu instid0(VALU_DEP_4)
	v_mul_lo_u32 v16, s44, v15
	v_lshlrev_b32_e32 v6, 8, v6
	v_cmp_neq_f32_e64 s1, s40, 0
	v_lshl_add_u32 v7, v72, 3, s38
	v_xor_b32_e32 v9, 2, v3
	v_xor_b32_e32 v10, 1, v3
	v_dual_mov_b32 v4, 0xff7fffff :: v_dual_add_nc_u32 v11, 1, v11
	v_mul_hi_u32 v16, v15, v16
	v_add_co_ci_u32_e64 v13, s2, 0, v17, s2
	v_add_nc_u32_e32 v14, 0x420, v18
	s_mov_b32 s9, 0
	s_mov_b32 s43, s5
	s_delay_alu instid0(VALU_DEP_3)
	v_dual_mov_b32 v16, v69 :: v_dual_add_nc_u32 v15, v15, v16
	s_branch .LBB16_14
.LBB16_12:                              ;   in Loop: Header=BB16_14 Depth=1
	s_or_b32 exec_lo, exec_lo, s44
.LBB16_13:                              ;   in Loop: Header=BB16_14 Depth=1
	s_delay_alu instid0(SALU_CYCLE_1) | instskip(SKIP_2) | instid1(VALU_DEP_1)
	s_or_b32 exec_lo, exec_lo, s3
	v_add_nc_u32_e32 v16, 4, v16
	v_add_co_u32 v1, s3, v1, 16
	v_add_co_ci_u32_e64 v2, s3, 0, v2, s3
	s_delay_alu instid0(VALU_DEP_3) | instskip(SKIP_2) | instid1(VALU_DEP_3)
	v_cmp_le_i32_e64 s2, s20, v16
	v_add_nc_u32_e32 v7, 32, v7
	v_add_nc_u32_e32 v14, 0x80, v14
	s_or_b32 s9, s2, s9
	s_delay_alu instid0(SALU_CYCLE_1)
	s_and_not1_b32 exec_lo, exec_lo, s9
	s_cbranch_execz .LBB16_19
.LBB16_14:                              ; =>This Inner Loop Header: Depth=1
	v_sub_nc_u32_e32 v17, 0, v7
	s_delay_alu instid0(VALU_DEP_1) | instskip(SKIP_1) | instid1(VALU_DEP_1)
	v_max_i32_e32 v17, v7, v17
	s_waitcnt lgkmcnt(0)
	v_mul_hi_u32 v18, v17, s27
	s_delay_alu instid0(VALU_DEP_1) | instskip(NEXT) | instid1(VALU_DEP_1)
	v_mul_lo_u32 v19, v18, s4
	v_sub_nc_u32_e32 v17, v17, v19
	v_add_nc_u32_e32 v19, 1, v18
	s_delay_alu instid0(VALU_DEP_2) | instskip(SKIP_1) | instid1(VALU_DEP_1)
	v_subrev_nc_u32_e32 v20, s4, v17
	v_cmp_le_u32_e64 s2, s4, v17
	v_cndmask_b32_e64 v18, v18, v19, s2
	s_delay_alu instid0(VALU_DEP_3) | instskip(SKIP_1) | instid1(VALU_DEP_3)
	v_cndmask_b32_e64 v17, v17, v20, s2
	v_ashrrev_i32_e32 v19, 31, v7
	v_add_nc_u32_e32 v20, 1, v18
	s_delay_alu instid0(VALU_DEP_3) | instskip(NEXT) | instid1(VALU_DEP_3)
	v_cmp_le_u32_e64 s2, s4, v17
	v_xor_b32_e32 v19, s23, v19
	s_delay_alu instid0(VALU_DEP_2) | instskip(NEXT) | instid1(VALU_DEP_1)
	v_cndmask_b32_e64 v17, v18, v20, s2
	v_xor_b32_e32 v17, v17, v19
	s_delay_alu instid0(VALU_DEP_1) | instskip(NEXT) | instid1(VALU_DEP_1)
	v_sub_nc_u32_e32 v17, v17, v19
	v_add_nc_u32_e32 v18, s31, v17
	v_cmp_ge_i32_e64 s3, s7, v17
	s_delay_alu instid0(VALU_DEP_2) | instskip(NEXT) | instid1(VALU_DEP_1)
	v_sub_nc_u32_e32 v19, 0, v18
	v_max_i32_e32 v19, v18, v19
	v_ashrrev_i32_e32 v18, 31, v18
	s_delay_alu instid0(VALU_DEP_2) | instskip(NEXT) | instid1(VALU_DEP_1)
	v_mul_hi_u32 v20, v19, v15
	v_mul_lo_u32 v20, v20, s8
	s_delay_alu instid0(VALU_DEP_1) | instskip(NEXT) | instid1(VALU_DEP_1)
	v_sub_nc_u32_e32 v19, v19, v20
	v_subrev_nc_u32_e32 v20, s8, v19
	v_cmp_le_u32_e64 s2, s8, v19
	s_delay_alu instid0(VALU_DEP_1) | instskip(NEXT) | instid1(VALU_DEP_1)
	v_cndmask_b32_e64 v19, v19, v20, s2
	v_subrev_nc_u32_e32 v20, s8, v19
	v_cmp_le_u32_e64 s2, s8, v19
	s_delay_alu instid0(VALU_DEP_1) | instskip(NEXT) | instid1(VALU_DEP_1)
	v_cndmask_b32_e64 v19, v19, v20, s2
	v_xor_b32_e32 v19, v19, v18
	s_delay_alu instid0(VALU_DEP_1) | instskip(NEXT) | instid1(VALU_DEP_1)
	v_sub_nc_u32_e32 v18, v19, v18
	v_cmp_ne_u32_e64 s2, 0, v18
	s_delay_alu instid0(VALU_DEP_1) | instskip(NEXT) | instid1(SALU_CYCLE_1)
	s_and_b32 s2, s2, s3
	s_and_b32 s44, vcc_lo, s2
	s_delay_alu instid0(SALU_CYCLE_1)
	s_and_saveexec_b32 s3, s44
	s_cbranch_execz .LBB16_16
; %bb.15:                               ;   in Loop: Header=BB16_14 Depth=1
	ds_store_b32 v14, v8
.LBB16_16:                              ;   in Loop: Header=BB16_14 Depth=1
	s_or_b32 exec_lo, exec_lo, s3
	s_xor_b32 s2, s2, -1
	s_delay_alu instid0(SALU_CYCLE_1)
	s_and_saveexec_b32 s3, s2
	s_cbranch_execz .LBB16_13
; %bb.17:                               ;   in Loop: Header=BB16_14 Depth=1
	global_load_b32 v19, v[1:2], off
	s_waitcnt vmcnt(0)
	v_mad_i64_i32 v[17:18], null, v19, s43, 0
	s_delay_alu instid0(VALU_DEP_1) | instskip(NEXT) | instid1(VALU_DEP_1)
	v_lshlrev_b64 v[17:18], 2, v[17:18]
	v_add_co_u32 v17, s2, v12, v17
	s_delay_alu instid0(VALU_DEP_1)
	v_add_co_ci_u32_e64 v18, s2, v13, v18, s2
	s_clause 0x1f
	global_load_b32 v27, v[17:18], off offset:128
	global_load_b32 v28, v[17:18], off
	global_load_b32 v29, v[17:18], off offset:256
	global_load_b32 v30, v[17:18], off offset:384
	;; [unrolled: 1-line block ×30, first 2 shown]
	v_add_co_u32 v25, s2, 0x1000, v17
	s_delay_alu instid0(VALU_DEP_1)
	v_add_co_ci_u32_e64 v26, s2, 0, v18, s2
	s_clause 0x1a
	global_load_b32 v59, v[25:26], off
	global_load_b32 v60, v[25:26], off offset:128
	global_load_b32 v61, v[25:26], off offset:256
	;; [unrolled: 1-line block ×26, first 2 shown]
	ds_load_b128 v[17:20], v6
	s_clause 0x4
	global_load_b32 v90, v[25:26], off offset:3456
	global_load_b32 v91, v[25:26], off offset:3584
	;; [unrolled: 1-line block ×5, first 2 shown]
	ds_load_b128 v[21:24], v6 offset:16
	v_cmp_gt_i32_e64 s2, 32, v9
	s_waitcnt vmcnt(62) lgkmcnt(1)
	v_mul_f32_e32 v27, v18, v27
	s_delay_alu instid0(VALU_DEP_1) | instskip(SKIP_1) | instid1(VALU_DEP_1)
	v_fmac_f32_e32 v27, v17, v28
	s_waitcnt vmcnt(61)
	v_fmac_f32_e32 v27, v19, v29
	s_waitcnt vmcnt(60)
	s_delay_alu instid0(VALU_DEP_1) | instskip(SKIP_4) | instid1(VALU_DEP_1)
	v_fmac_f32_e32 v27, v20, v30
	ds_load_b128 v[17:20], v6 offset:32
	s_waitcnt vmcnt(59) lgkmcnt(1)
	v_fmac_f32_e32 v27, v21, v31
	s_waitcnt vmcnt(58)
	v_fmac_f32_e32 v27, v22, v32
	s_waitcnt vmcnt(57)
	s_delay_alu instid0(VALU_DEP_1) | instskip(SKIP_1) | instid1(VALU_DEP_1)
	v_fmac_f32_e32 v27, v23, v33
	s_waitcnt vmcnt(56)
	v_fmac_f32_e32 v27, v24, v34
	ds_load_b128 v[21:24], v6 offset:48
	s_waitcnt vmcnt(55) lgkmcnt(1)
	v_fmac_f32_e32 v27, v17, v35
	s_waitcnt vmcnt(54)
	s_delay_alu instid0(VALU_DEP_1) | instskip(SKIP_1) | instid1(VALU_DEP_1)
	v_fmac_f32_e32 v27, v18, v36
	s_waitcnt vmcnt(53)
	v_fmac_f32_e32 v27, v19, v37
	s_waitcnt vmcnt(52)
	s_delay_alu instid0(VALU_DEP_1) | instskip(SKIP_4) | instid1(VALU_DEP_1)
	v_fmac_f32_e32 v27, v20, v38
	ds_load_b128 v[17:20], v6 offset:64
	s_waitcnt vmcnt(51) lgkmcnt(1)
	v_fmac_f32_e32 v27, v21, v39
	s_waitcnt vmcnt(50)
	v_fmac_f32_e32 v27, v22, v40
	s_waitcnt vmcnt(49)
	s_delay_alu instid0(VALU_DEP_1) | instskip(SKIP_1) | instid1(VALU_DEP_1)
	v_fmac_f32_e32 v27, v23, v41
	s_waitcnt vmcnt(48)
	v_fmac_f32_e32 v27, v24, v42
	ds_load_b128 v[21:24], v6 offset:80
	s_waitcnt vmcnt(47) lgkmcnt(1)
	v_fmac_f32_e32 v27, v17, v43
	s_waitcnt vmcnt(46)
	;; [unrolled: 21-line block ×6, first 2 shown]
	s_delay_alu instid0(VALU_DEP_1) | instskip(SKIP_1) | instid1(VALU_DEP_1)
	v_fmac_f32_e32 v27, v18, v80
	s_waitcnt vmcnt(13)
	v_fmac_f32_e32 v27, v81, v19
	s_waitcnt vmcnt(12)
	s_delay_alu instid0(VALU_DEP_1) | instskip(SKIP_4) | instid1(VALU_DEP_1)
	v_fmac_f32_e32 v27, v82, v20
	ds_load_b128 v[17:20], v6 offset:224
	s_waitcnt vmcnt(11) lgkmcnt(1)
	v_fmac_f32_e32 v27, v83, v21
	s_waitcnt vmcnt(10)
	v_fmac_f32_e32 v27, v84, v22
	s_waitcnt vmcnt(9)
	s_delay_alu instid0(VALU_DEP_1) | instskip(SKIP_1) | instid1(VALU_DEP_1)
	v_fmac_f32_e32 v27, v85, v23
	s_waitcnt vmcnt(8)
	v_fmac_f32_e32 v27, v86, v24
	ds_load_b128 v[21:24], v6 offset:240
	s_waitcnt vmcnt(7) lgkmcnt(1)
	v_fmac_f32_e32 v27, v87, v17
	v_cndmask_b32_e64 v17, v3, v9, s2
	v_cmp_gt_i32_e64 s2, 32, v10
	s_waitcnt vmcnt(6)
	s_delay_alu instid0(VALU_DEP_3) | instskip(NEXT) | instid1(VALU_DEP_3)
	v_fmac_f32_e32 v27, v88, v18
	v_lshlrev_b32_e32 v17, 2, v17
	s_delay_alu instid0(VALU_DEP_3) | instskip(SKIP_1) | instid1(VALU_DEP_1)
	v_cndmask_b32_e64 v18, v3, v10, s2
	s_waitcnt vmcnt(5)
	v_dual_fmac_f32 v27, v89, v19 :: v_dual_lshlrev_b32 v18, 2, v18
	s_waitcnt vmcnt(4)
	s_delay_alu instid0(VALU_DEP_1) | instskip(SKIP_1) | instid1(VALU_DEP_1)
	v_fmac_f32_e32 v27, v90, v20
	s_waitcnt vmcnt(3) lgkmcnt(0)
	v_fmac_f32_e32 v27, v91, v21
	s_waitcnt vmcnt(2)
	s_delay_alu instid0(VALU_DEP_1) | instskip(SKIP_1) | instid1(VALU_DEP_1)
	v_fmac_f32_e32 v27, v92, v22
	s_waitcnt vmcnt(1)
	v_fmac_f32_e32 v27, v93, v23
	s_waitcnt vmcnt(0)
	s_delay_alu instid0(VALU_DEP_1)
	v_fmac_f32_e32 v27, v25, v24
	ds_bpermute_b32 v17, v17, v27
	s_waitcnt lgkmcnt(0)
	v_add_f32_e32 v17, v27, v17
	ds_bpermute_b32 v18, v18, v17
	s_and_saveexec_b32 s44, vcc_lo
	s_cbranch_execz .LBB16_12
; %bb.18:                               ;   in Loop: Header=BB16_14 Depth=1
	s_waitcnt lgkmcnt(0)
	v_add_f32_e32 v17, v17, v18
	v_add_nc_u32_e32 v19, v11, v7
	s_delay_alu instid0(VALU_DEP_1) | instskip(NEXT) | instid1(VALU_DEP_1)
	v_cvt_f32_i32_e32 v19, v19
	v_mul_f32_e32 v19, s40, v19
	s_delay_alu instid0(VALU_DEP_1) | instskip(NEXT) | instid1(VALU_DEP_1)
	v_cndmask_b32_e64 v18, 0, v19, s1
	v_dual_max_f32 v19, v4, v4 :: v_dual_fmac_f32 v18, s37, v17
	v_add_nc_u32_e32 v17, v5, v7
	s_delay_alu instid0(VALU_DEP_2) | instskip(NEXT) | instid1(VALU_DEP_2)
	v_max_f32_e32 v19, v19, v18
	v_cmp_gt_i32_e64 s2, s33, v17
	s_delay_alu instid0(VALU_DEP_1) | instskip(NEXT) | instid1(VALU_DEP_3)
	v_cndmask_b32_e64 v17, 0, v18, s2
	v_cndmask_b32_e64 v4, v4, v19, s2
	ds_store_b32 v14, v17
	s_branch .LBB16_12
.LBB16_19:
	s_or_b32 exec_lo, exec_lo, s9
.LBB16_20:
	s_delay_alu instid0(SALU_CYCLE_1) | instskip(SKIP_4) | instid1(VALU_DEP_4)
	s_or_b32 exec_lo, exec_lo, s42
	v_xor_b32_e32 v1, 16, v3
	v_xor_b32_e32 v5, 8, v3
	v_max_f32_e32 v6, v4, v4
	v_and_b32_e32 v74, 31, v0
	v_cmp_gt_i32_e32 vcc_lo, 32, v1
	v_cndmask_b32_e32 v1, v3, v1, vcc_lo
	v_cmp_gt_i32_e32 vcc_lo, 32, v5
	s_delay_alu instid0(VALU_DEP_2) | instskip(SKIP_4) | instid1(VALU_DEP_1)
	v_lshlrev_b32_e32 v2, 2, v1
	ds_bpermute_b32 v1, v2, v4
	v_cndmask_b32_e32 v4, v3, v5, vcc_lo
	s_waitcnt lgkmcnt(0)
	v_max_f32_e32 v1, v1, v1
	v_max_f32_e32 v1, v6, v1
	v_xor_b32_e32 v6, 4, v3
	s_delay_alu instid0(VALU_DEP_1) | instskip(SKIP_2) | instid1(VALU_DEP_2)
	v_cmp_gt_i32_e32 vcc_lo, 32, v6
	v_cndmask_b32_e32 v6, v3, v6, vcc_lo
	v_cmp_eq_u32_e32 vcc_lo, 0, v74
	v_lshlrev_b32_e32 v7, 2, v6
	v_lshlrev_b32_e32 v4, 2, v4
	ds_bpermute_b32 v5, v4, v1
	s_waitcnt lgkmcnt(0)
	v_max_f32_e32 v5, v5, v5
	s_delay_alu instid0(VALU_DEP_1)
	v_max_f32_e32 v1, v1, v5
	v_lshlrev_b32_e32 v5, 2, v72
	ds_bpermute_b32 v6, v7, v1
	s_and_saveexec_b32 s1, vcc_lo
	s_cbranch_execz .LBB16_22
; %bb.21:
	s_waitcnt lgkmcnt(0)
	v_dual_max_f32 v6, v6, v6 :: v_dual_max_f32 v1, v1, v1
	s_delay_alu instid0(VALU_DEP_1)
	v_max_f32_e32 v1, v1, v6
	ds_store_b32 v5, v1 offset:1024
.LBB16_22:
	s_or_b32 exec_lo, exec_lo, s1
	v_cmp_gt_u32_e64 s1, 4, v74
	s_waitcnt lgkmcnt(0)
	v_dual_mov_b32 v1, 0xff7fffff :: v_dual_lshlrev_b32 v6, 2, v74
	s_barrier
	buffer_gl0_inv
	s_and_saveexec_b32 s2, s1
	s_cbranch_execz .LBB16_24
; %bb.23:
	ds_load_b32 v1, v6 offset:1024
.LBB16_24:
	s_or_b32 exec_lo, exec_lo, s2
	v_xor_b32_e32 v8, 2, v3
	v_xor_b32_e32 v10, 1, v3
	s_delay_alu instid0(VALU_DEP_2) | instskip(NEXT) | instid1(VALU_DEP_1)
	v_cmp_gt_i32_e64 s2, 32, v8
	v_cndmask_b32_e64 v8, v3, v8, s2
	s_delay_alu instid0(VALU_DEP_3) | instskip(NEXT) | instid1(VALU_DEP_2)
	v_cmp_gt_i32_e64 s2, 32, v10
	v_lshlrev_b32_e32 v8, 2, v8
	s_delay_alu instid0(VALU_DEP_2) | instskip(SKIP_1) | instid1(SALU_CYCLE_1)
	v_cndmask_b32_e64 v3, v3, v10, s2
	s_sub_i32 s2, s20, s41
	s_lshl_b32 s2, s2, 3
	s_waitcnt lgkmcnt(0)
	ds_bpermute_b32 v9, v8, v1
	v_max_f32_e32 v1, v1, v1
	v_lshlrev_b32_e32 v75, 2, v3
	s_add_i32 s2, s2, s38
	s_delay_alu instid0(SALU_CYCLE_1) | instskip(NEXT) | instid1(SALU_CYCLE_1)
	s_min_i32 s2, s2, s33
	s_sub_i32 s7, s2, s38
	s_delay_alu instid0(SALU_CYCLE_1) | instskip(SKIP_2) | instid1(VALU_DEP_1)
	v_cmp_gt_i32_e64 s2, s7, v0
	s_waitcnt lgkmcnt(0)
	v_max_f32_e32 v9, v9, v9
	v_max_f32_e32 v1, v1, v9
	v_mov_b32_e32 v9, 0
	ds_bpermute_b32 v3, v75, v1
	s_waitcnt lgkmcnt(0)
	v_max_f32_e32 v3, v3, v3
	s_delay_alu instid0(VALU_DEP_1)
	v_max_f32_e32 v1, v1, v3
	v_lshl_add_u32 v3, v0, 2, 0x420
	ds_bpermute_b32 v1, v9, v1
	s_and_saveexec_b32 s8, s2
	s_cbranch_execz .LBB16_28
; %bb.25:
	v_lshl_add_u32 v10, v0, 2, 0x420
	v_mov_b32_e32 v9, 0
	v_mov_b32_e32 v11, v0
	s_mov_b32 s9, 0
	.p2align	6
.LBB16_26:                              ; =>This Inner Loop Header: Depth=1
	ds_load_b32 v12, v10
	v_add_nc_u32_e32 v11, 0x80, v11
	s_delay_alu instid0(VALU_DEP_1) | instskip(NEXT) | instid1(VALU_DEP_1)
	v_cmp_le_i32_e64 s3, s7, v11
	s_or_b32 s9, s3, s9
	s_waitcnt lgkmcnt(0)
	v_sub_f32_e32 v12, v12, v1
	s_delay_alu instid0(VALU_DEP_1) | instskip(NEXT) | instid1(VALU_DEP_1)
	v_mul_f32_e32 v12, 0x3fb8aa3b, v12
	v_exp_f32_e32 v12, v12
	ds_store_b32 v10, v12
	v_dual_add_f32 v9, v9, v12 :: v_dual_add_nc_u32 v10, 0x200, v10
	s_and_not1_b32 exec_lo, exec_lo, s9
	s_cbranch_execnz .LBB16_26
; %bb.27:
	s_or_b32 exec_lo, exec_lo, s9
.LBB16_28:
	s_delay_alu instid0(SALU_CYCLE_1)
	s_or_b32 exec_lo, exec_lo, s8
	ds_bpermute_b32 v2, v2, v9
	s_waitcnt lgkmcnt(0)
	v_add_f32_e32 v2, v9, v2
	ds_bpermute_b32 v4, v4, v2
	s_waitcnt lgkmcnt(0)
	v_add_f32_e32 v2, v2, v4
	;; [unrolled: 3-line block ×5, first 2 shown]
	s_and_saveexec_b32 s3, vcc_lo
	s_cbranch_execz .LBB16_30
; %bb.29:
	ds_store_b32 v5, v2 offset:1040
.LBB16_30:
	s_or_b32 exec_lo, exec_lo, s3
	s_waitcnt lgkmcnt(0)
	s_barrier
	buffer_gl0_inv
	s_and_saveexec_b32 s3, s1
	s_cbranch_execz .LBB16_32
; %bb.31:
	ds_load_b32 v2, v6 offset:1040
.LBB16_32:
	s_or_b32 exec_lo, exec_lo, s3
	s_waitcnt lgkmcnt(0)
	ds_bpermute_b32 v4, v8, v2
	s_waitcnt lgkmcnt(0)
	v_add_f32_e32 v2, v2, v4
	ds_bpermute_b32 v4, v75, v2
	s_waitcnt lgkmcnt(0)
	v_add_f32_e32 v2, v2, v4
	v_mov_b32_e32 v4, 0
	ds_bpermute_b32 v2, v4, v2
	s_and_saveexec_b32 s1, s2
	s_cbranch_execz .LBB16_35
; %bb.33:
	s_waitcnt lgkmcnt(0)
	v_add_f32_e32 v4, 0x358637bd, v2
	s_mov_b32 s2, 0
	s_delay_alu instid0(VALU_DEP_1) | instskip(SKIP_1) | instid1(VALU_DEP_2)
	v_div_scale_f32 v5, null, v4, v4, 1.0
	v_div_scale_f32 v8, vcc_lo, 1.0, v4, 1.0
	v_rcp_f32_e32 v6, v5
	s_waitcnt_depctr 0xfff
	v_fma_f32 v7, -v5, v6, 1.0
	s_delay_alu instid0(VALU_DEP_1) | instskip(NEXT) | instid1(VALU_DEP_1)
	v_fmac_f32_e32 v6, v7, v6
	v_mul_f32_e32 v7, v8, v6
	s_delay_alu instid0(VALU_DEP_1) | instskip(NEXT) | instid1(VALU_DEP_1)
	v_fma_f32 v9, -v5, v7, v8
	v_fmac_f32_e32 v7, v9, v6
	s_delay_alu instid0(VALU_DEP_1) | instskip(NEXT) | instid1(VALU_DEP_1)
	v_fma_f32 v5, -v5, v7, v8
	v_div_fmas_f32 v5, v5, v6, v7
	s_delay_alu instid0(VALU_DEP_1)
	v_div_fixup_f32 v4, v5, v4, 1.0
	v_mov_b32_e32 v5, v0
.LBB16_34:                              ; =>This Inner Loop Header: Depth=1
	ds_load_b32 v6, v3
	s_waitcnt lgkmcnt(0)
	v_dual_mul_f32 v6, v4, v6 :: v_dual_add_nc_u32 v5, 0x80, v5
	s_delay_alu instid0(VALU_DEP_1) | instskip(SKIP_3) | instid1(SALU_CYCLE_1)
	v_cmp_le_i32_e32 vcc_lo, s7, v5
	ds_store_b32 v3, v6
	v_add_nc_u32_e32 v3, 0x200, v3
	s_or_b32 s2, vcc_lo, s2
	s_and_not1_b32 exec_lo, exec_lo, s2
	s_cbranch_execnz .LBB16_34
.LBB16_35:
	s_or_b32 exec_lo, exec_lo, s1
	s_mul_i32 s1, s15, s14
	s_waitcnt lgkmcnt(0)
	s_mul_i32 s2, s1, s13
	s_mov_b32 s1, exec_lo
	s_barrier
	buffer_gl0_inv
	v_cmpx_eq_u32_e32 0, v0
	s_cbranch_execz .LBB16_37
; %bb.36:
	s_ashr_i32 s3, s2, 31
	s_mul_i32 s40, s15, s30
	s_lshl_b64 s[8:9], s[2:3], 2
	v_mov_b32_e32 v3, 0
	s_add_u32 s3, s18, s8
	s_addc_u32 s7, s19, s9
	s_ashr_i32 s41, s40, 31
	s_delay_alu instid0(SALU_CYCLE_1) | instskip(NEXT) | instid1(SALU_CYCLE_1)
	s_lshl_b64 s[18:19], s[40:41], 2
	s_add_u32 s3, s3, s18
	s_addc_u32 s7, s7, s19
	s_ashr_i32 s13, s12, 31
	s_delay_alu instid0(SALU_CYCLE_1) | instskip(NEXT) | instid1(SALU_CYCLE_1)
	s_lshl_b64 s[40:41], s[12:13], 2
	s_add_u32 s42, s3, s40
	s_addc_u32 s43, s7, s41
	s_add_u32 s3, s16, s8
	s_addc_u32 s7, s17, s9
	;; [unrolled: 2-line block ×4, first 2 shown]
	s_clause 0x1
	global_store_b32 v3, v1, s[42:43]
	global_store_b32 v3, v2, s[8:9]
.LBB16_37:
	s_or_b32 exec_lo, exec_lo, s1
	v_dual_mov_b32 v91, 0 :: v_dual_and_b32 v76, 1, v0
	v_dual_mov_b32 v92, 0 :: v_dual_mov_b32 v89, 0
	v_dual_mov_b32 v90, 0 :: v_dual_mov_b32 v87, 0
	v_dual_mov_b32 v88, 0 :: v_dual_mov_b32 v85, 0
	v_dual_mov_b32 v86, 0 :: v_dual_mov_b32 v83, 0
	v_dual_mov_b32 v84, 0 :: v_dual_mov_b32 v81, 0
	v_dual_mov_b32 v82, 0 :: v_dual_mov_b32 v79, 0
	v_dual_mov_b32 v80, 0 :: v_dual_mov_b32 v77, 0
	v_mov_b32_e32 v78, 0
	s_mov_b32 s3, 0
	s_and_saveexec_b32 s1, s0
	s_cbranch_execz .LBB16_75
; %bb.38:
	s_ashr_i32 s7, s6, 31
	v_dual_mov_b32 v78, 0 :: v_dual_lshlrev_b32 v3, 2, v0
	s_lshl_b64 s[8:9], s[6:7], 2
	s_sub_i32 s6, s39, s21
	s_add_u32 s7, s10, s8
	s_addc_u32 s8, s11, s9
	s_abs_i32 s9, s22
	v_lshlrev_b64 v[1:2], 2, v[69:70]
	v_cvt_f32_u32_e32 v4, s9
	s_sub_i32 s0, 0, s9
	s_lshl_b64 s[16:17], s[34:35], 2
	s_add_i32 s10, s36, -1
	v_dual_mov_b32 v80, 0 :: v_dual_lshlrev_b32 v5, 4, v76
	v_rcp_iflag_f32_e32 v4, v4
	v_mov_b32_e32 v77, 0
	v_dual_mov_b32 v82, 0 :: v_dual_and_b32 v93, 4, v3
	v_dual_mov_b32 v84, 0 :: v_dual_and_b32 v3, 0x7c, v3
	s_add_u32 s11, s28, s16
	v_lshl_or_b32 v5, v72, 5, v5
	v_add_co_u32 v70, vcc_lo, s11, v1
	s_waitcnt_depctr 0xfff
	v_mul_f32_e32 v4, 0x4f7ffffe, v4
	v_or_b32_e32 v6, 0x400, v3
	v_or_b32_e32 v7, 0x480, v3
	;; [unrolled: 1-line block ×4, first 2 shown]
	v_cvt_u32_f32_e32 v4, v4
	v_or_b32_e32 v10, 0x600, v3
	v_or_b32_e32 v11, 0x680, v3
	;; [unrolled: 1-line block ×4, first 2 shown]
	v_mul_lo_u32 v14, s0, v4
	s_addc_u32 s13, s29, s17
	v_dual_mov_b32 v79, 0 :: v_dual_add_nc_u32 v94, 0x420, v5
	v_dual_mov_b32 v86, 0 :: v_dual_lshlrev_b32 v95, 2, v3
	v_add_co_ci_u32_e32 v71, vcc_lo, s13, v2, vcc_lo
	s_delay_alu instid0(VALU_DEP_4)
	v_mul_hi_u32 v1, v4, v14
	v_dual_mov_b32 v81, 0 :: v_dual_lshlrev_b32 v96, 2, v6
	v_dual_mov_b32 v88, 0 :: v_dual_lshlrev_b32 v97, 2, v7
	;; [unrolled: 1-line block ×7, first 2 shown]
	v_lshlrev_b32_e32 v103, 2, v13
	v_dual_mov_b32 v89, 0 :: v_dual_add_nc_u32 v104, v4, v1
	v_mov_b32_e32 v91, 0
	s_branch .LBB16_41
.LBB16_39:                              ;   in Loop: Header=BB16_41 Depth=1
	s_or_b32 exec_lo, exec_lo, s0
	s_waitcnt vmcnt(6) lgkmcnt(0)
	v_mul_f32_e32 v42, v2, v42
	v_mul_f32_e32 v34, v2, v34
	v_mul_f32_e32 v6, v2, v6
	s_waitcnt vmcnt(2)
	v_mul_f32_e32 v62, v2, v62
	v_mul_f32_e32 v26, v2, v26
	v_fmac_f32_e32 v42, v1, v41
	v_fmac_f32_e32 v34, v1, v33
	;; [unrolled: 1-line block ×3, first 2 shown]
	v_mul_f32_e32 v50, v2, v50
	v_fmac_f32_e32 v26, v1, v25
	v_fmac_f32_e32 v42, v3, v43
	;; [unrolled: 1-line block ×3, first 2 shown]
	v_mul_f32_e32 v18, v2, v18
	v_fmac_f32_e32 v6, v3, v7
	s_waitcnt vmcnt(1)
	v_mul_f32_e32 v66, v2, v66
	v_fmac_f32_e32 v42, v4, v44
	v_fmac_f32_e32 v62, v1, v61
	v_mul_f32_e32 v58, v2, v58
	v_mul_f32_e32 v46, v2, v46
	;; [unrolled: 1-line block ×3, first 2 shown]
	v_add_f32_e32 v83, v83, v42
	v_mul_f32_e32 v30, v2, v30
	v_mul_f32_e32 v22, v2, v22
	v_fmac_f32_e32 v26, v3, v27
	v_fmac_f32_e32 v34, v4, v36
	;; [unrolled: 1-line block ×3, first 2 shown]
	v_mul_f32_e32 v14, v2, v14
	v_mul_f32_e32 v10, v2, v10
	s_waitcnt vmcnt(0)
	v_mul_f32_e32 v2, v2, v54
	v_add_f32_e32 v85, v85, v34
	v_fmac_f32_e32 v18, v1, v17
	v_fmac_f32_e32 v6, v4, v8
	;; [unrolled: 1-line block ×8, first 2 shown]
	s_delay_alu instid0(VALU_DEP_4) | instskip(SKIP_4) | instid1(VALU_DEP_4)
	v_dual_fmac_f32 v22, v1, v21 :: v_dual_add_f32 v79, v79, v62
	v_fmac_f32_e32 v26, v4, v28
	v_fmac_f32_e32 v58, v1, v57
	;; [unrolled: 1-line block ×4, first 2 shown]
	v_dual_fmac_f32 v2, v1, v53 :: v_dual_add_f32 v87, v87, v26
	v_fmac_f32_e32 v18, v3, v19
	v_add_f32_e32 v91, v91, v6
	v_fmac_f32_e32 v50, v3, v51
	v_fmac_f32_e32 v46, v3, v47
	;; [unrolled: 1-line block ×9, first 2 shown]
	s_delay_alu instid0(VALU_DEP_4) | instskip(SKIP_4) | instid1(VALU_DEP_4)
	v_dual_fmac_f32 v2, v3, v55 :: v_dual_add_f32 v81, v81, v50
	v_fmac_f32_e32 v18, v4, v20
	v_fmac_f32_e32 v58, v3, v59
	;; [unrolled: 1-line block ×4, first 2 shown]
	v_dual_fmac_f32 v30, v4, v32 :: v_dual_add_f32 v89, v89, v18
	s_delay_alu instid0(VALU_DEP_4)
	v_fmac_f32_e32 v58, v4, v60
	v_fmac_f32_e32 v22, v4, v24
	;; [unrolled: 1-line block ×6, first 2 shown]
	v_add_f32_e32 v80, v80, v58
	v_add_f32_e32 v82, v82, v46
	;; [unrolled: 1-line block ×9, first 2 shown]
.LBB16_40:                              ;   in Loop: Header=BB16_41 Depth=1
	s_or_b32 exec_lo, exec_lo, s11
	v_add_nc_u32_e32 v69, 4, v69
	v_add_co_u32 v70, s0, v70, 16
	s_delay_alu instid0(VALU_DEP_1) | instskip(NEXT) | instid1(VALU_DEP_3)
	v_add_co_ci_u32_e64 v71, s0, 0, v71, s0
	v_cmp_le_i32_e32 vcc_lo, s20, v69
	v_add_nc_u32_e32 v73, 32, v73
	v_add_nc_u32_e32 v94, 0x80, v94
	s_or_b32 s3, vcc_lo, s3
	s_delay_alu instid0(SALU_CYCLE_1)
	s_and_not1_b32 exec_lo, exec_lo, s3
	s_cbranch_execz .LBB16_74
.LBB16_41:                              ; =>This Inner Loop Header: Depth=1
	v_sub_nc_u32_e32 v1, 0, v73
	s_delay_alu instid0(VALU_DEP_1) | instskip(NEXT) | instid1(VALU_DEP_1)
	v_max_i32_e32 v1, v73, v1
	v_mul_hi_u32 v2, v1, s27
	s_delay_alu instid0(VALU_DEP_1) | instskip(NEXT) | instid1(VALU_DEP_1)
	v_mul_lo_u32 v3, v2, s4
	v_sub_nc_u32_e32 v1, v1, v3
	v_add_nc_u32_e32 v3, 1, v2
	s_delay_alu instid0(VALU_DEP_2) | instskip(SKIP_1) | instid1(VALU_DEP_2)
	v_subrev_nc_u32_e32 v4, s4, v1
	v_cmp_le_u32_e32 vcc_lo, s4, v1
	v_dual_cndmask_b32 v2, v2, v3 :: v_dual_cndmask_b32 v1, v1, v4
	v_ashrrev_i32_e32 v3, 31, v73
	s_delay_alu instid0(VALU_DEP_2) | instskip(NEXT) | instid1(VALU_DEP_3)
	v_add_nc_u32_e32 v4, 1, v2
	v_cmp_le_u32_e32 vcc_lo, s4, v1
	s_delay_alu instid0(VALU_DEP_3) | instskip(NEXT) | instid1(VALU_DEP_3)
	v_xor_b32_e32 v3, s23, v3
	v_cndmask_b32_e32 v1, v2, v4, vcc_lo
	s_delay_alu instid0(VALU_DEP_1) | instskip(NEXT) | instid1(VALU_DEP_1)
	v_xor_b32_e32 v1, v1, v3
	v_sub_nc_u32_e32 v1, v1, v3
	s_delay_alu instid0(VALU_DEP_1) | instskip(SKIP_1) | instid1(VALU_DEP_2)
	v_add_nc_u32_e32 v2, s31, v1
	v_cmp_lt_i32_e64 s0, s6, v1
	v_sub_nc_u32_e32 v3, 0, v2
	s_delay_alu instid0(VALU_DEP_1) | instskip(NEXT) | instid1(VALU_DEP_1)
	v_max_i32_e32 v3, v2, v3
	v_mul_hi_u32 v4, v3, v104
	s_delay_alu instid0(VALU_DEP_1) | instskip(NEXT) | instid1(VALU_DEP_1)
	v_mul_lo_u32 v4, v4, s9
	v_sub_nc_u32_e32 v3, v3, v4
	s_delay_alu instid0(VALU_DEP_1) | instskip(SKIP_1) | instid1(VALU_DEP_2)
	v_subrev_nc_u32_e32 v4, s9, v3
	v_cmp_le_u32_e32 vcc_lo, s9, v3
	v_cndmask_b32_e32 v3, v3, v4, vcc_lo
	v_ashrrev_i32_e32 v2, 31, v2
	s_delay_alu instid0(VALU_DEP_2) | instskip(SKIP_1) | instid1(VALU_DEP_2)
	v_subrev_nc_u32_e32 v4, s9, v3
	v_cmp_le_u32_e32 vcc_lo, s9, v3
	v_cndmask_b32_e32 v3, v3, v4, vcc_lo
	s_delay_alu instid0(VALU_DEP_1) | instskip(NEXT) | instid1(VALU_DEP_1)
	v_xor_b32_e32 v3, v3, v2
	v_sub_nc_u32_e32 v2, v3, v2
	s_delay_alu instid0(VALU_DEP_1) | instskip(SKIP_1) | instid1(SALU_CYCLE_1)
	v_cmp_eq_u32_e32 vcc_lo, 0, v2
	s_or_b32 s0, vcc_lo, s0
	s_and_saveexec_b32 s11, s0
	s_cbranch_execz .LBB16_40
; %bb.42:                               ;   in Loop: Header=BB16_41 Depth=1
	global_load_b32 v3, v[70:71], off
	v_add_nc_u32_e32 v105, v93, v73
	s_delay_alu instid0(VALU_DEP_1) | instskip(SKIP_4) | instid1(VALU_DEP_1)
	v_add_nc_u32_e32 v108, 1, v105
	v_add_nc_u32_e32 v107, 2, v105
	;; [unrolled: 1-line block ×3, first 2 shown]
	s_waitcnt vmcnt(0)
	v_mad_i64_i32 v[1:2], null, v3, s5, 0
	v_lshlrev_b64 v[1:2], 2, v[1:2]
	s_delay_alu instid0(VALU_DEP_1) | instskip(NEXT) | instid1(VALU_DEP_2)
	v_add_co_u32 v53, vcc_lo, s7, v1
	v_add_co_ci_u32_e32 v54, vcc_lo, s8, v2, vcc_lo
	ds_load_b128 v[1:4], v94
	v_add_co_u32 v33, vcc_lo, v53, v95
	v_add_co_ci_u32_e32 v34, vcc_lo, 0, v54, vcc_lo
	v_cmp_eq_u32_e32 vcc_lo, s10, v69
	global_load_b128 v[5:8], v[33:34], off
	s_and_saveexec_b32 s13, vcc_lo
	s_cbranch_execnz .LBB16_67
; %bb.43:                               ;   in Loop: Header=BB16_41 Depth=1
	s_or_b32 exec_lo, exec_lo, s13
	global_load_b128 v[9:12], v[33:34], off offset:512
	s_and_saveexec_b32 s13, vcc_lo
	s_cbranch_execnz .LBB16_68
.LBB16_44:                              ;   in Loop: Header=BB16_41 Depth=1
	s_or_b32 exec_lo, exec_lo, s13
	global_load_b128 v[13:16], v[33:34], off offset:1024
	s_and_saveexec_b32 s13, vcc_lo
	s_cbranch_execnz .LBB16_69
.LBB16_45:                              ;   in Loop: Header=BB16_41 Depth=1
	s_or_b32 exec_lo, exec_lo, s13
	global_load_b128 v[17:20], v[33:34], off offset:1536
	s_and_saveexec_b32 s13, vcc_lo
	s_cbranch_execnz .LBB16_70
.LBB16_46:                              ;   in Loop: Header=BB16_41 Depth=1
	s_or_b32 exec_lo, exec_lo, s13
	global_load_b128 v[21:24], v[33:34], off offset:2048
	s_and_saveexec_b32 s13, vcc_lo
	s_cbranch_execnz .LBB16_71
.LBB16_47:                              ;   in Loop: Header=BB16_41 Depth=1
	s_or_b32 exec_lo, exec_lo, s13
	global_load_b128 v[25:28], v[33:34], off offset:2560
	s_and_saveexec_b32 s13, vcc_lo
	s_cbranch_execnz .LBB16_72
.LBB16_48:                              ;   in Loop: Header=BB16_41 Depth=1
	s_or_b32 exec_lo, exec_lo, s13
	global_load_b128 v[29:32], v[33:34], off offset:3072
	s_and_saveexec_b32 s13, vcc_lo
	s_cbranch_execnz .LBB16_73
.LBB16_49:                              ;   in Loop: Header=BB16_41 Depth=1
	s_or_b32 exec_lo, exec_lo, s13
	global_load_b128 v[33:36], v[33:34], off offset:3584
	s_and_saveexec_b32 s13, vcc_lo
	s_cbranch_execz .LBB16_51
.LBB16_50:                              ;   in Loop: Header=BB16_41 Depth=1
	v_cmp_gt_i32_e64 s0, s33, v105
	s_waitcnt vmcnt(0)
	s_delay_alu instid0(VALU_DEP_1) | instskip(SKIP_1) | instid1(VALU_DEP_1)
	v_cndmask_b32_e64 v33, 0, v33, s0
	v_cmp_gt_i32_e64 s0, s33, v108
	v_cndmask_b32_e64 v34, 0, v34, s0
	v_cmp_gt_i32_e64 s0, s33, v107
	s_delay_alu instid0(VALU_DEP_1) | instskip(SKIP_1) | instid1(VALU_DEP_1)
	v_cndmask_b32_e64 v35, 0, v35, s0
	v_cmp_gt_i32_e64 s0, s33, v106
	v_cndmask_b32_e64 v36, 0, v36, s0
.LBB16_51:                              ;   in Loop: Header=BB16_41 Depth=1
	s_or_b32 exec_lo, exec_lo, s13
	v_add_co_u32 v37, s0, v53, v96
	s_delay_alu instid0(VALU_DEP_1)
	v_add_co_ci_u32_e64 v38, s0, 0, v54, s0
	global_load_b128 v[37:40], v[37:38], off
	s_and_saveexec_b32 s13, vcc_lo
	s_cbranch_execz .LBB16_53
; %bb.52:                               ;   in Loop: Header=BB16_41 Depth=1
	v_cmp_gt_i32_e64 s0, s33, v105
	s_waitcnt vmcnt(0)
	s_delay_alu instid0(VALU_DEP_1) | instskip(SKIP_1) | instid1(VALU_DEP_1)
	v_cndmask_b32_e64 v37, 0, v37, s0
	v_cmp_gt_i32_e64 s0, s33, v108
	v_cndmask_b32_e64 v38, 0, v38, s0
	v_cmp_gt_i32_e64 s0, s33, v107
	s_delay_alu instid0(VALU_DEP_1) | instskip(SKIP_1) | instid1(VALU_DEP_1)
	v_cndmask_b32_e64 v39, 0, v39, s0
	v_cmp_gt_i32_e64 s0, s33, v106
	v_cndmask_b32_e64 v40, 0, v40, s0
.LBB16_53:                              ;   in Loop: Header=BB16_41 Depth=1
	s_or_b32 exec_lo, exec_lo, s13
	v_add_co_u32 v41, s0, v53, v97
	s_delay_alu instid0(VALU_DEP_1)
	v_add_co_ci_u32_e64 v42, s0, 0, v54, s0
	global_load_b128 v[41:44], v[41:42], off
	s_and_saveexec_b32 s13, vcc_lo
	s_cbranch_execz .LBB16_55
; %bb.54:                               ;   in Loop: Header=BB16_41 Depth=1
	v_cmp_gt_i32_e64 s0, s33, v105
	s_waitcnt vmcnt(0)
	s_delay_alu instid0(VALU_DEP_1) | instskip(SKIP_1) | instid1(VALU_DEP_1)
	v_cndmask_b32_e64 v41, 0, v41, s0
	v_cmp_gt_i32_e64 s0, s33, v108
	v_cndmask_b32_e64 v42, 0, v42, s0
	v_cmp_gt_i32_e64 s0, s33, v107
	s_delay_alu instid0(VALU_DEP_1) | instskip(SKIP_1) | instid1(VALU_DEP_1)
	v_cndmask_b32_e64 v43, 0, v43, s0
	v_cmp_gt_i32_e64 s0, s33, v106
	v_cndmask_b32_e64 v44, 0, v44, s0
.LBB16_55:                              ;   in Loop: Header=BB16_41 Depth=1
	;; [unrolled: 20-line block ×7, first 2 shown]
	s_or_b32 exec_lo, exec_lo, s13
	v_add_co_u32 v53, s0, v53, v103
	s_delay_alu instid0(VALU_DEP_1)
	v_add_co_ci_u32_e64 v54, s0, 0, v54, s0
	global_load_b128 v[53:56], v[53:54], off
	s_and_saveexec_b32 s0, vcc_lo
	s_cbranch_execz .LBB16_39
; %bb.66:                               ;   in Loop: Header=BB16_41 Depth=1
	v_cmp_gt_i32_e32 vcc_lo, s33, v105
	s_waitcnt vmcnt(0)
	v_cndmask_b32_e32 v53, 0, v53, vcc_lo
	v_cmp_gt_i32_e32 vcc_lo, s33, v108
	v_cndmask_b32_e32 v54, 0, v54, vcc_lo
	v_cmp_gt_i32_e32 vcc_lo, s33, v107
	;; [unrolled: 2-line block ×3, first 2 shown]
	v_cndmask_b32_e32 v56, 0, v56, vcc_lo
	s_branch .LBB16_39
.LBB16_67:                              ;   in Loop: Header=BB16_41 Depth=1
	v_cmp_gt_i32_e64 s0, s33, v105
	s_waitcnt vmcnt(0)
	s_delay_alu instid0(VALU_DEP_1) | instskip(SKIP_1) | instid1(VALU_DEP_1)
	v_cndmask_b32_e64 v5, 0, v5, s0
	v_cmp_gt_i32_e64 s0, s33, v108
	v_cndmask_b32_e64 v6, 0, v6, s0
	v_cmp_gt_i32_e64 s0, s33, v107
	s_delay_alu instid0(VALU_DEP_1) | instskip(SKIP_1) | instid1(VALU_DEP_1)
	v_cndmask_b32_e64 v7, 0, v7, s0
	v_cmp_gt_i32_e64 s0, s33, v106
	v_cndmask_b32_e64 v8, 0, v8, s0
	s_or_b32 exec_lo, exec_lo, s13
	global_load_b128 v[9:12], v[33:34], off offset:512
	s_and_saveexec_b32 s13, vcc_lo
	s_cbranch_execz .LBB16_44
.LBB16_68:                              ;   in Loop: Header=BB16_41 Depth=1
	v_cmp_gt_i32_e64 s0, s33, v105
	s_waitcnt vmcnt(0)
	s_delay_alu instid0(VALU_DEP_1) | instskip(SKIP_1) | instid1(VALU_DEP_1)
	v_cndmask_b32_e64 v9, 0, v9, s0
	v_cmp_gt_i32_e64 s0, s33, v108
	v_cndmask_b32_e64 v10, 0, v10, s0
	v_cmp_gt_i32_e64 s0, s33, v107
	s_delay_alu instid0(VALU_DEP_1) | instskip(SKIP_1) | instid1(VALU_DEP_1)
	v_cndmask_b32_e64 v11, 0, v11, s0
	v_cmp_gt_i32_e64 s0, s33, v106
	v_cndmask_b32_e64 v12, 0, v12, s0
	s_or_b32 exec_lo, exec_lo, s13
	global_load_b128 v[13:16], v[33:34], off offset:1024
	s_and_saveexec_b32 s13, vcc_lo
	s_cbranch_execz .LBB16_45
.LBB16_69:                              ;   in Loop: Header=BB16_41 Depth=1
	v_cmp_gt_i32_e64 s0, s33, v105
	s_waitcnt vmcnt(0)
	s_delay_alu instid0(VALU_DEP_1) | instskip(SKIP_1) | instid1(VALU_DEP_1)
	v_cndmask_b32_e64 v13, 0, v13, s0
	v_cmp_gt_i32_e64 s0, s33, v108
	v_cndmask_b32_e64 v14, 0, v14, s0
	v_cmp_gt_i32_e64 s0, s33, v107
	s_delay_alu instid0(VALU_DEP_1) | instskip(SKIP_1) | instid1(VALU_DEP_1)
	v_cndmask_b32_e64 v15, 0, v15, s0
	v_cmp_gt_i32_e64 s0, s33, v106
	v_cndmask_b32_e64 v16, 0, v16, s0
	s_or_b32 exec_lo, exec_lo, s13
	global_load_b128 v[17:20], v[33:34], off offset:1536
	s_and_saveexec_b32 s13, vcc_lo
	s_cbranch_execz .LBB16_46
.LBB16_70:                              ;   in Loop: Header=BB16_41 Depth=1
	v_cmp_gt_i32_e64 s0, s33, v105
	s_waitcnt vmcnt(0)
	s_delay_alu instid0(VALU_DEP_1) | instskip(SKIP_1) | instid1(VALU_DEP_1)
	v_cndmask_b32_e64 v17, 0, v17, s0
	v_cmp_gt_i32_e64 s0, s33, v108
	v_cndmask_b32_e64 v18, 0, v18, s0
	v_cmp_gt_i32_e64 s0, s33, v107
	s_delay_alu instid0(VALU_DEP_1) | instskip(SKIP_1) | instid1(VALU_DEP_1)
	v_cndmask_b32_e64 v19, 0, v19, s0
	v_cmp_gt_i32_e64 s0, s33, v106
	v_cndmask_b32_e64 v20, 0, v20, s0
	s_or_b32 exec_lo, exec_lo, s13
	global_load_b128 v[21:24], v[33:34], off offset:2048
	s_and_saveexec_b32 s13, vcc_lo
	s_cbranch_execz .LBB16_47
.LBB16_71:                              ;   in Loop: Header=BB16_41 Depth=1
	v_cmp_gt_i32_e64 s0, s33, v105
	s_waitcnt vmcnt(0)
	s_delay_alu instid0(VALU_DEP_1) | instskip(SKIP_1) | instid1(VALU_DEP_1)
	v_cndmask_b32_e64 v21, 0, v21, s0
	v_cmp_gt_i32_e64 s0, s33, v108
	v_cndmask_b32_e64 v22, 0, v22, s0
	v_cmp_gt_i32_e64 s0, s33, v107
	s_delay_alu instid0(VALU_DEP_1) | instskip(SKIP_1) | instid1(VALU_DEP_1)
	v_cndmask_b32_e64 v23, 0, v23, s0
	v_cmp_gt_i32_e64 s0, s33, v106
	v_cndmask_b32_e64 v24, 0, v24, s0
	s_or_b32 exec_lo, exec_lo, s13
	global_load_b128 v[25:28], v[33:34], off offset:2560
	s_and_saveexec_b32 s13, vcc_lo
	s_cbranch_execz .LBB16_48
.LBB16_72:                              ;   in Loop: Header=BB16_41 Depth=1
	v_cmp_gt_i32_e64 s0, s33, v105
	s_waitcnt vmcnt(0)
	s_delay_alu instid0(VALU_DEP_1) | instskip(SKIP_1) | instid1(VALU_DEP_1)
	v_cndmask_b32_e64 v25, 0, v25, s0
	v_cmp_gt_i32_e64 s0, s33, v108
	v_cndmask_b32_e64 v26, 0, v26, s0
	v_cmp_gt_i32_e64 s0, s33, v107
	s_delay_alu instid0(VALU_DEP_1) | instskip(SKIP_1) | instid1(VALU_DEP_1)
	v_cndmask_b32_e64 v27, 0, v27, s0
	v_cmp_gt_i32_e64 s0, s33, v106
	v_cndmask_b32_e64 v28, 0, v28, s0
	s_or_b32 exec_lo, exec_lo, s13
	global_load_b128 v[29:32], v[33:34], off offset:3072
	s_and_saveexec_b32 s13, vcc_lo
	s_cbranch_execz .LBB16_49
.LBB16_73:                              ;   in Loop: Header=BB16_41 Depth=1
	v_cmp_gt_i32_e64 s0, s33, v105
	s_waitcnt vmcnt(0)
	s_delay_alu instid0(VALU_DEP_1) | instskip(SKIP_1) | instid1(VALU_DEP_1)
	v_cndmask_b32_e64 v29, 0, v29, s0
	v_cmp_gt_i32_e64 s0, s33, v108
	v_cndmask_b32_e64 v30, 0, v30, s0
	v_cmp_gt_i32_e64 s0, s33, v107
	s_delay_alu instid0(VALU_DEP_1) | instskip(SKIP_1) | instid1(VALU_DEP_1)
	v_cndmask_b32_e64 v31, 0, v31, s0
	v_cmp_gt_i32_e64 s0, s33, v106
	v_cndmask_b32_e64 v32, 0, v32, s0
	s_or_b32 exec_lo, exec_lo, s13
	global_load_b128 v[33:36], v[33:34], off offset:3584
	s_and_saveexec_b32 s13, vcc_lo
	s_cbranch_execnz .LBB16_50
	s_branch .LBB16_51
.LBB16_74:
	s_or_b32 exec_lo, exec_lo, s3
.LBB16_75:
	s_delay_alu instid0(SALU_CYCLE_1)
	s_or_b32 exec_lo, exec_lo, s1
	ds_bpermute_b32 v1, v75, v91
	ds_bpermute_b32 v2, v75, v92
	;; [unrolled: 1-line block ×16, first 2 shown]
	v_and_b32_e32 v19, 0x3c1, v0
	v_lshrrev_b32_e32 v17, 1, v74
	v_lshl_add_u32 v18, v72, 10, 0x420
	s_mov_b32 s0, exec_lo
	s_waitcnt lgkmcnt(14)
	v_dual_add_f32 v1, v91, v1 :: v_dual_add_f32 v2, v92, v2
	s_waitcnt lgkmcnt(12)
	v_dual_add_f32 v3, v90, v3 :: v_dual_add_f32 v4, v89, v4
	;; [unrolled: 2-line block ×8, first 2 shown]
	s_waitcnt_vscnt null, 0x0
	s_barrier
	buffer_gl0_inv
	v_cmpx_eq_u32_e32 64, v19
	s_cbranch_execz .LBB16_77
; %bb.76:
	v_lshlrev_b32_e32 v19, 2, v17
	s_delay_alu instid0(VALU_DEP_1)
	v_add3_u32 v19, v18, v19, 0xfffff800
	ds_store_2addr_b32 v19, v1, v2 offset1:16
	ds_store_2addr_b32 v19, v3, v4 offset0:32 offset1:48
	ds_store_2addr_b32 v19, v5, v6 offset0:64 offset1:80
	;; [unrolled: 1-line block ×7, first 2 shown]
.LBB16_77:
	s_or_b32 exec_lo, exec_lo, s0
	v_cmp_eq_u32_e32 vcc_lo, 0, v76
	s_mov_b32 s1, exec_lo
	s_waitcnt lgkmcnt(0)
	s_barrier
	buffer_gl0_inv
	v_cmpx_gt_u32_e32 64, v0
	s_cbranch_execz .LBB16_96
; %bb.78:
	s_and_saveexec_b32 s0, vcc_lo
	s_cbranch_execnz .LBB16_120
; %bb.79:
	s_or_b32 exec_lo, exec_lo, s0
	s_and_saveexec_b32 s0, vcc_lo
	s_cbranch_execnz .LBB16_121
.LBB16_80:
	s_or_b32 exec_lo, exec_lo, s0
	s_and_saveexec_b32 s0, vcc_lo
	s_cbranch_execnz .LBB16_122
.LBB16_81:
	s_or_b32 exec_lo, exec_lo, s0
	s_and_saveexec_b32 s0, vcc_lo
	s_cbranch_execnz .LBB16_123
.LBB16_82:
	s_or_b32 exec_lo, exec_lo, s0
	s_and_saveexec_b32 s0, vcc_lo
	s_cbranch_execnz .LBB16_124
.LBB16_83:
	s_or_b32 exec_lo, exec_lo, s0
	s_and_saveexec_b32 s0, vcc_lo
	s_cbranch_execnz .LBB16_125
.LBB16_84:
	s_or_b32 exec_lo, exec_lo, s0
	s_and_saveexec_b32 s0, vcc_lo
	s_cbranch_execnz .LBB16_126
.LBB16_85:
	s_or_b32 exec_lo, exec_lo, s0
	s_and_saveexec_b32 s0, vcc_lo
	s_cbranch_execnz .LBB16_127
.LBB16_86:
	s_or_b32 exec_lo, exec_lo, s0
	s_and_saveexec_b32 s0, vcc_lo
	s_cbranch_execnz .LBB16_128
.LBB16_87:
	s_or_b32 exec_lo, exec_lo, s0
	s_and_saveexec_b32 s0, vcc_lo
	s_cbranch_execnz .LBB16_129
.LBB16_88:
	s_or_b32 exec_lo, exec_lo, s0
	s_and_saveexec_b32 s0, vcc_lo
	s_cbranch_execnz .LBB16_130
.LBB16_89:
	s_or_b32 exec_lo, exec_lo, s0
	s_and_saveexec_b32 s0, vcc_lo
	s_cbranch_execnz .LBB16_131
.LBB16_90:
	s_or_b32 exec_lo, exec_lo, s0
	s_and_saveexec_b32 s0, vcc_lo
	s_cbranch_execnz .LBB16_132
.LBB16_91:
	s_or_b32 exec_lo, exec_lo, s0
	s_and_saveexec_b32 s0, vcc_lo
	s_cbranch_execnz .LBB16_133
.LBB16_92:
	s_or_b32 exec_lo, exec_lo, s0
	s_and_saveexec_b32 s0, vcc_lo
	s_cbranch_execnz .LBB16_134
.LBB16_93:
	s_or_b32 exec_lo, exec_lo, s0
	s_and_saveexec_b32 s0, vcc_lo
	s_cbranch_execz .LBB16_95
.LBB16_94:
	v_lshl_add_u32 v19, v17, 2, v18
	ds_load_b32 v19, v19 offset:960
	s_waitcnt lgkmcnt(0)
	v_add_f32_e32 v16, v16, v19
.LBB16_95:
	s_or_b32 exec_lo, exec_lo, s0
.LBB16_96:
	s_delay_alu instid0(SALU_CYCLE_1)
	s_or_b32 exec_lo, exec_lo, s1
	v_and_b32_e32 v19, 0x3e1, v0
	s_mov_b32 s1, exec_lo
	s_barrier
	buffer_gl0_inv
	v_cmpx_eq_u32_e32 32, v19
	s_cbranch_execz .LBB16_98
; %bb.97:
	v_lshl_add_u32 v20, v17, 2, 0x420
	ds_store_2addr_b32 v20, v1, v2 offset1:16
	ds_store_2addr_b32 v20, v3, v4 offset0:32 offset1:48
	ds_store_2addr_b32 v20, v5, v6 offset0:64 offset1:80
	;; [unrolled: 1-line block ×7, first 2 shown]
.LBB16_98:
	s_or_b32 exec_lo, exec_lo, s1
	s_delay_alu instid0(SALU_CYCLE_1)
	s_mov_b32 s1, exec_lo
	s_waitcnt lgkmcnt(0)
	s_barrier
	buffer_gl0_inv
	v_cmpx_gt_u32_e32 32, v0
	s_cbranch_execz .LBB16_117
; %bb.99:
	v_lshl_add_u32 v17, v17, 2, v18
	s_and_saveexec_b32 s0, vcc_lo
	s_cbranch_execnz .LBB16_135
; %bb.100:
	s_or_b32 exec_lo, exec_lo, s0
	s_and_saveexec_b32 s0, vcc_lo
	s_cbranch_execnz .LBB16_136
.LBB16_101:
	s_or_b32 exec_lo, exec_lo, s0
	s_and_saveexec_b32 s0, vcc_lo
	s_cbranch_execnz .LBB16_137
.LBB16_102:
	s_or_b32 exec_lo, exec_lo, s0
	s_and_saveexec_b32 s0, vcc_lo
	s_cbranch_execnz .LBB16_138
.LBB16_103:
	s_or_b32 exec_lo, exec_lo, s0
	s_and_saveexec_b32 s0, vcc_lo
	s_cbranch_execnz .LBB16_139
.LBB16_104:
	s_or_b32 exec_lo, exec_lo, s0
	s_and_saveexec_b32 s0, vcc_lo
	s_cbranch_execnz .LBB16_140
.LBB16_105:
	s_or_b32 exec_lo, exec_lo, s0
	s_and_saveexec_b32 s0, vcc_lo
	s_cbranch_execnz .LBB16_141
.LBB16_106:
	s_or_b32 exec_lo, exec_lo, s0
	s_and_saveexec_b32 s0, vcc_lo
	s_cbranch_execnz .LBB16_142
.LBB16_107:
	s_or_b32 exec_lo, exec_lo, s0
	s_and_saveexec_b32 s0, vcc_lo
	s_cbranch_execnz .LBB16_143
.LBB16_108:
	s_or_b32 exec_lo, exec_lo, s0
	s_and_saveexec_b32 s0, vcc_lo
	s_cbranch_execnz .LBB16_144
.LBB16_109:
	s_or_b32 exec_lo, exec_lo, s0
	s_and_saveexec_b32 s0, vcc_lo
	s_cbranch_execnz .LBB16_145
.LBB16_110:
	s_or_b32 exec_lo, exec_lo, s0
	s_and_saveexec_b32 s0, vcc_lo
	s_cbranch_execnz .LBB16_146
.LBB16_111:
	s_or_b32 exec_lo, exec_lo, s0
	s_and_saveexec_b32 s0, vcc_lo
	s_cbranch_execnz .LBB16_147
.LBB16_112:
	s_or_b32 exec_lo, exec_lo, s0
	s_and_saveexec_b32 s0, vcc_lo
	s_cbranch_execnz .LBB16_148
.LBB16_113:
	s_or_b32 exec_lo, exec_lo, s0
	s_and_saveexec_b32 s0, vcc_lo
	s_cbranch_execnz .LBB16_149
.LBB16_114:
	s_or_b32 exec_lo, exec_lo, s0
	s_and_saveexec_b32 s0, vcc_lo
	s_cbranch_execz .LBB16_116
.LBB16_115:
	ds_load_b32 v17, v17 offset:960
	s_waitcnt lgkmcnt(0)
	v_add_f32_e32 v16, v16, v17
.LBB16_116:
	s_or_b32 exec_lo, exec_lo, s0
.LBB16_117:
	s_delay_alu instid0(SALU_CYCLE_1)
	s_or_b32 exec_lo, exec_lo, s1
	s_barrier
	buffer_gl0_inv
	s_mov_b32 s0, exec_lo
	v_cmpx_eq_u32_e32 0, v19
	s_cbranch_execz .LBB16_119
; %bb.118:
	s_lshl_b32 s0, s2, 8
	s_mul_i32 s2, s15, s26
	s_ashr_i32 s1, s0, 31
	v_lshlrev_b32_e32 v0, 1, v0
	s_lshl_b64 s[0:1], s[0:1], 2
	s_delay_alu instid0(SALU_CYCLE_1) | instskip(SKIP_2) | instid1(SALU_CYCLE_1)
	s_add_u32 s4, s24, s0
	s_addc_u32 s5, s25, s1
	s_ashr_i32 s3, s2, 31
	s_lshl_b64 s[0:1], s[2:3], 2
	s_delay_alu instid0(SALU_CYCLE_1) | instskip(SKIP_2) | instid1(SALU_CYCLE_1)
	s_add_u32 s2, s4, s0
	s_addc_u32 s3, s5, s1
	s_lshl_b32 s0, s12, 8
	s_ashr_i32 s1, s0, 31
	s_delay_alu instid0(SALU_CYCLE_1) | instskip(NEXT) | instid1(SALU_CYCLE_1)
	s_lshl_b64 s[0:1], s[0:1], 2
	s_add_u32 s0, s2, s0
	s_addc_u32 s1, s3, s1
	s_clause 0xf
	global_store_b32 v0, v1, s[0:1]
	global_store_b32 v0, v2, s[0:1] offset:64
	global_store_b32 v0, v3, s[0:1] offset:128
	;; [unrolled: 1-line block ×15, first 2 shown]
.LBB16_119:
	s_nop 0
	s_sendmsg sendmsg(MSG_DEALLOC_VGPRS)
	s_endpgm
.LBB16_120:
	v_lshl_add_u32 v19, v17, 2, v18
	ds_load_b32 v19, v19
	s_waitcnt lgkmcnt(0)
	v_add_f32_e32 v1, v1, v19
	s_or_b32 exec_lo, exec_lo, s0
	s_and_saveexec_b32 s0, vcc_lo
	s_cbranch_execz .LBB16_80
.LBB16_121:
	v_lshl_add_u32 v19, v17, 2, v18
	ds_load_b32 v19, v19 offset:64
	s_waitcnt lgkmcnt(0)
	v_add_f32_e32 v2, v2, v19
	s_or_b32 exec_lo, exec_lo, s0
	s_and_saveexec_b32 s0, vcc_lo
	s_cbranch_execz .LBB16_81
.LBB16_122:
	v_lshl_add_u32 v19, v17, 2, v18
	ds_load_b32 v19, v19 offset:128
	s_waitcnt lgkmcnt(0)
	v_add_f32_e32 v3, v3, v19
	s_or_b32 exec_lo, exec_lo, s0
	s_and_saveexec_b32 s0, vcc_lo
	s_cbranch_execz .LBB16_82
.LBB16_123:
	v_lshl_add_u32 v19, v17, 2, v18
	ds_load_b32 v19, v19 offset:192
	s_waitcnt lgkmcnt(0)
	v_add_f32_e32 v4, v4, v19
	s_or_b32 exec_lo, exec_lo, s0
	s_and_saveexec_b32 s0, vcc_lo
	s_cbranch_execz .LBB16_83
.LBB16_124:
	v_lshl_add_u32 v19, v17, 2, v18
	ds_load_b32 v19, v19 offset:256
	s_waitcnt lgkmcnt(0)
	v_add_f32_e32 v5, v5, v19
	s_or_b32 exec_lo, exec_lo, s0
	s_and_saveexec_b32 s0, vcc_lo
	s_cbranch_execz .LBB16_84
.LBB16_125:
	v_lshl_add_u32 v19, v17, 2, v18
	ds_load_b32 v19, v19 offset:320
	s_waitcnt lgkmcnt(0)
	v_add_f32_e32 v6, v6, v19
	s_or_b32 exec_lo, exec_lo, s0
	s_and_saveexec_b32 s0, vcc_lo
	s_cbranch_execz .LBB16_85
.LBB16_126:
	v_lshl_add_u32 v19, v17, 2, v18
	ds_load_b32 v19, v19 offset:384
	s_waitcnt lgkmcnt(0)
	v_add_f32_e32 v7, v7, v19
	s_or_b32 exec_lo, exec_lo, s0
	s_and_saveexec_b32 s0, vcc_lo
	s_cbranch_execz .LBB16_86
.LBB16_127:
	v_lshl_add_u32 v19, v17, 2, v18
	ds_load_b32 v19, v19 offset:448
	s_waitcnt lgkmcnt(0)
	v_add_f32_e32 v8, v8, v19
	s_or_b32 exec_lo, exec_lo, s0
	s_and_saveexec_b32 s0, vcc_lo
	s_cbranch_execz .LBB16_87
.LBB16_128:
	v_lshl_add_u32 v19, v17, 2, v18
	ds_load_b32 v19, v19 offset:512
	s_waitcnt lgkmcnt(0)
	v_add_f32_e32 v9, v9, v19
	s_or_b32 exec_lo, exec_lo, s0
	s_and_saveexec_b32 s0, vcc_lo
	s_cbranch_execz .LBB16_88
.LBB16_129:
	v_lshl_add_u32 v19, v17, 2, v18
	ds_load_b32 v19, v19 offset:576
	s_waitcnt lgkmcnt(0)
	v_add_f32_e32 v10, v10, v19
	s_or_b32 exec_lo, exec_lo, s0
	s_and_saveexec_b32 s0, vcc_lo
	s_cbranch_execz .LBB16_89
.LBB16_130:
	v_lshl_add_u32 v19, v17, 2, v18
	ds_load_b32 v19, v19 offset:640
	s_waitcnt lgkmcnt(0)
	v_add_f32_e32 v11, v11, v19
	s_or_b32 exec_lo, exec_lo, s0
	s_and_saveexec_b32 s0, vcc_lo
	s_cbranch_execz .LBB16_90
.LBB16_131:
	v_lshl_add_u32 v19, v17, 2, v18
	ds_load_b32 v19, v19 offset:704
	s_waitcnt lgkmcnt(0)
	v_add_f32_e32 v12, v12, v19
	s_or_b32 exec_lo, exec_lo, s0
	s_and_saveexec_b32 s0, vcc_lo
	s_cbranch_execz .LBB16_91
.LBB16_132:
	v_lshl_add_u32 v19, v17, 2, v18
	ds_load_b32 v19, v19 offset:768
	s_waitcnt lgkmcnt(0)
	v_add_f32_e32 v13, v13, v19
	s_or_b32 exec_lo, exec_lo, s0
	s_and_saveexec_b32 s0, vcc_lo
	s_cbranch_execz .LBB16_92
.LBB16_133:
	v_lshl_add_u32 v19, v17, 2, v18
	ds_load_b32 v19, v19 offset:832
	s_waitcnt lgkmcnt(0)
	v_add_f32_e32 v14, v14, v19
	s_or_b32 exec_lo, exec_lo, s0
	s_and_saveexec_b32 s0, vcc_lo
	s_cbranch_execz .LBB16_93
.LBB16_134:
	v_lshl_add_u32 v19, v17, 2, v18
	ds_load_b32 v19, v19 offset:896
	s_waitcnt lgkmcnt(0)
	v_add_f32_e32 v15, v15, v19
	s_or_b32 exec_lo, exec_lo, s0
	s_and_saveexec_b32 s0, vcc_lo
	s_cbranch_execnz .LBB16_94
	s_branch .LBB16_95
.LBB16_135:
	ds_load_b32 v18, v17
	s_waitcnt lgkmcnt(0)
	v_add_f32_e32 v1, v1, v18
	s_or_b32 exec_lo, exec_lo, s0
	s_and_saveexec_b32 s0, vcc_lo
	s_cbranch_execz .LBB16_101
.LBB16_136:
	ds_load_b32 v18, v17 offset:64
	s_waitcnt lgkmcnt(0)
	v_add_f32_e32 v2, v2, v18
	s_or_b32 exec_lo, exec_lo, s0
	s_and_saveexec_b32 s0, vcc_lo
	s_cbranch_execz .LBB16_102
.LBB16_137:
	ds_load_b32 v18, v17 offset:128
	s_waitcnt lgkmcnt(0)
	v_add_f32_e32 v3, v3, v18
	s_or_b32 exec_lo, exec_lo, s0
	s_and_saveexec_b32 s0, vcc_lo
	s_cbranch_execz .LBB16_103
.LBB16_138:
	ds_load_b32 v18, v17 offset:192
	s_waitcnt lgkmcnt(0)
	v_add_f32_e32 v4, v4, v18
	s_or_b32 exec_lo, exec_lo, s0
	s_and_saveexec_b32 s0, vcc_lo
	s_cbranch_execz .LBB16_104
.LBB16_139:
	ds_load_b32 v18, v17 offset:256
	s_waitcnt lgkmcnt(0)
	v_add_f32_e32 v5, v5, v18
	s_or_b32 exec_lo, exec_lo, s0
	s_and_saveexec_b32 s0, vcc_lo
	s_cbranch_execz .LBB16_105
.LBB16_140:
	ds_load_b32 v18, v17 offset:320
	s_waitcnt lgkmcnt(0)
	v_add_f32_e32 v6, v6, v18
	s_or_b32 exec_lo, exec_lo, s0
	s_and_saveexec_b32 s0, vcc_lo
	s_cbranch_execz .LBB16_106
.LBB16_141:
	ds_load_b32 v18, v17 offset:384
	s_waitcnt lgkmcnt(0)
	v_add_f32_e32 v7, v7, v18
	s_or_b32 exec_lo, exec_lo, s0
	s_and_saveexec_b32 s0, vcc_lo
	s_cbranch_execz .LBB16_107
.LBB16_142:
	ds_load_b32 v18, v17 offset:448
	s_waitcnt lgkmcnt(0)
	v_add_f32_e32 v8, v8, v18
	s_or_b32 exec_lo, exec_lo, s0
	s_and_saveexec_b32 s0, vcc_lo
	s_cbranch_execz .LBB16_108
.LBB16_143:
	ds_load_b32 v18, v17 offset:512
	s_waitcnt lgkmcnt(0)
	v_add_f32_e32 v9, v9, v18
	s_or_b32 exec_lo, exec_lo, s0
	s_and_saveexec_b32 s0, vcc_lo
	s_cbranch_execz .LBB16_109
.LBB16_144:
	ds_load_b32 v18, v17 offset:576
	s_waitcnt lgkmcnt(0)
	v_add_f32_e32 v10, v10, v18
	s_or_b32 exec_lo, exec_lo, s0
	s_and_saveexec_b32 s0, vcc_lo
	s_cbranch_execz .LBB16_110
.LBB16_145:
	ds_load_b32 v18, v17 offset:640
	s_waitcnt lgkmcnt(0)
	v_add_f32_e32 v11, v11, v18
	s_or_b32 exec_lo, exec_lo, s0
	s_and_saveexec_b32 s0, vcc_lo
	s_cbranch_execz .LBB16_111
.LBB16_146:
	ds_load_b32 v18, v17 offset:704
	s_waitcnt lgkmcnt(0)
	v_add_f32_e32 v12, v12, v18
	s_or_b32 exec_lo, exec_lo, s0
	s_and_saveexec_b32 s0, vcc_lo
	s_cbranch_execz .LBB16_112
.LBB16_147:
	ds_load_b32 v18, v17 offset:768
	s_waitcnt lgkmcnt(0)
	v_add_f32_e32 v13, v13, v18
	s_or_b32 exec_lo, exec_lo, s0
	s_and_saveexec_b32 s0, vcc_lo
	s_cbranch_execz .LBB16_113
.LBB16_148:
	ds_load_b32 v18, v17 offset:832
	s_waitcnt lgkmcnt(0)
	v_add_f32_e32 v14, v14, v18
	s_or_b32 exec_lo, exec_lo, s0
	s_and_saveexec_b32 s0, vcc_lo
	s_cbranch_execz .LBB16_114
.LBB16_149:
	ds_load_b32 v18, v17 offset:896
	s_waitcnt lgkmcnt(0)
	v_add_f32_e32 v15, v15, v18
	s_or_b32 exec_lo, exec_lo, s0
	s_and_saveexec_b32 s0, vcc_lo
	s_cbranch_execnz .LBB16_115
	s_branch .LBB16_116
	.section	.rodata,"a",@progbits
	.p2align	6, 0x0
	.amdhsa_kernel _ZN4vllm25paged_attention_v2_kernelIffLi256ELi8ELi128ELNS_18Fp8KVCacheDataTypeE0ELb1ELi512EEEvPfS2_PT_PKS3_PKT0_S9_ifPKiSB_iPKfiiiSD_SD_iiiii
		.amdhsa_group_segment_fixed_size 1056
		.amdhsa_private_segment_fixed_size 0
		.amdhsa_kernarg_size 400
		.amdhsa_user_sgpr_count 13
		.amdhsa_user_sgpr_dispatch_ptr 0
		.amdhsa_user_sgpr_queue_ptr 0
		.amdhsa_user_sgpr_kernarg_segment_ptr 1
		.amdhsa_user_sgpr_dispatch_id 0
		.amdhsa_user_sgpr_private_segment_size 0
		.amdhsa_wavefront_size32 1
		.amdhsa_uses_dynamic_stack 0
		.amdhsa_enable_private_segment 0
		.amdhsa_system_sgpr_workgroup_id_x 1
		.amdhsa_system_sgpr_workgroup_id_y 1
		.amdhsa_system_sgpr_workgroup_id_z 1
		.amdhsa_system_sgpr_workgroup_info 0
		.amdhsa_system_vgpr_workitem_id 0
		.amdhsa_next_free_vgpr 109
		.amdhsa_next_free_sgpr 46
		.amdhsa_reserve_vcc 1
		.amdhsa_float_round_mode_32 0
		.amdhsa_float_round_mode_16_64 0
		.amdhsa_float_denorm_mode_32 3
		.amdhsa_float_denorm_mode_16_64 3
		.amdhsa_dx10_clamp 1
		.amdhsa_ieee_mode 1
		.amdhsa_fp16_overflow 0
		.amdhsa_workgroup_processor_mode 1
		.amdhsa_memory_ordered 1
		.amdhsa_forward_progress 0
		.amdhsa_shared_vgpr_count 0
		.amdhsa_exception_fp_ieee_invalid_op 0
		.amdhsa_exception_fp_denorm_src 0
		.amdhsa_exception_fp_ieee_div_zero 0
		.amdhsa_exception_fp_ieee_overflow 0
		.amdhsa_exception_fp_ieee_underflow 0
		.amdhsa_exception_fp_ieee_inexact 0
		.amdhsa_exception_int_div_zero 0
	.end_amdhsa_kernel
	.section	.text._ZN4vllm25paged_attention_v2_kernelIffLi256ELi8ELi128ELNS_18Fp8KVCacheDataTypeE0ELb1ELi512EEEvPfS2_PT_PKS3_PKT0_S9_ifPKiSB_iPKfiiiSD_SD_iiiii,"axG",@progbits,_ZN4vllm25paged_attention_v2_kernelIffLi256ELi8ELi128ELNS_18Fp8KVCacheDataTypeE0ELb1ELi512EEEvPfS2_PT_PKS3_PKT0_S9_ifPKiSB_iPKfiiiSD_SD_iiiii,comdat
.Lfunc_end16:
	.size	_ZN4vllm25paged_attention_v2_kernelIffLi256ELi8ELi128ELNS_18Fp8KVCacheDataTypeE0ELb1ELi512EEEvPfS2_PT_PKS3_PKT0_S9_ifPKiSB_iPKfiiiSD_SD_iiiii, .Lfunc_end16-_ZN4vllm25paged_attention_v2_kernelIffLi256ELi8ELi128ELNS_18Fp8KVCacheDataTypeE0ELb1ELi512EEEvPfS2_PT_PKS3_PKT0_S9_ifPKiSB_iPKfiiiSD_SD_iiiii
                                        ; -- End function
	.section	.AMDGPU.csdata,"",@progbits
; Kernel info:
; codeLenInByte = 9348
; NumSgprs: 48
; NumVgprs: 109
; ScratchSize: 0
; MemoryBound: 0
; FloatMode: 240
; IeeeMode: 1
; LDSByteSize: 1056 bytes/workgroup (compile time only)
; SGPRBlocks: 5
; VGPRBlocks: 13
; NumSGPRsForWavesPerEU: 48
; NumVGPRsForWavesPerEU: 109
; Occupancy: 12
; WaveLimiterHint : 1
; COMPUTE_PGM_RSRC2:SCRATCH_EN: 0
; COMPUTE_PGM_RSRC2:USER_SGPR: 13
; COMPUTE_PGM_RSRC2:TRAP_HANDLER: 0
; COMPUTE_PGM_RSRC2:TGID_X_EN: 1
; COMPUTE_PGM_RSRC2:TGID_Y_EN: 1
; COMPUTE_PGM_RSRC2:TGID_Z_EN: 1
; COMPUTE_PGM_RSRC2:TIDIG_COMP_CNT: 0
	.section	.text._ZN4vllm32paged_attention_v2_reduce_kernelIfLi256ELi128ELi512EEEvPT_PKfS4_PKS1_PKii,"axG",@progbits,_ZN4vllm32paged_attention_v2_reduce_kernelIfLi256ELi128ELi512EEEvPT_PKfS4_PKS1_PKii,comdat
	.protected	_ZN4vllm32paged_attention_v2_reduce_kernelIfLi256ELi128ELi512EEEvPT_PKfS4_PKS1_PKii ; -- Begin function _ZN4vllm32paged_attention_v2_reduce_kernelIfLi256ELi128ELi512EEEvPT_PKfS4_PKS1_PKii
	.globl	_ZN4vllm32paged_attention_v2_reduce_kernelIfLi256ELi128ELi512EEEvPT_PKfS4_PKS1_PKii
	.p2align	8
	.type	_ZN4vllm32paged_attention_v2_reduce_kernelIfLi256ELi128ELi512EEEvPT_PKfS4_PKS1_PKii,@function
_ZN4vllm32paged_attention_v2_reduce_kernelIfLi256ELi128ELi512EEEvPT_PKfS4_PKS1_PKii: ; @_ZN4vllm32paged_attention_v2_reduce_kernelIfLi256ELi128ELi512EEEvPT_PKfS4_PKS1_PKii
; %bb.0:
	s_load_b128 s[4:7], s[0:1], 0x18
	s_add_u32 s8, s0, 48
	s_mov_b32 s10, s15
	s_addc_u32 s9, s1, 0
	s_ashr_i32 s11, s15, 31
	s_delay_alu instid0(SALU_CYCLE_1)
	s_lshl_b64 s[2:3], s[10:11], 2
	s_waitcnt lgkmcnt(0)
	s_add_u32 s2, s6, s2
	s_addc_u32 s3, s7, s3
	s_load_b32 s18, s[2:3], 0x0
	s_clause 0x2
	s_load_b64 s[6:7], s[0:1], 0x0
	s_load_b32 s11, s[0:1], 0x28
	s_load_b32 s15, s[0:1], 0x30
	s_waitcnt lgkmcnt(0)
	s_add_i32 s2, s18, -1
	s_delay_alu instid0(SALU_CYCLE_1)
	s_cmpk_gt_u32 s2, 0x1ff
	s_mov_b32 s2, -1
	s_cbranch_scc0 .LBB17_24
; %bb.1:
	s_load_b64 s[2:3], s[0:1], 0x8
	s_add_i32 s12, s18, 0x1ff
	s_mul_i32 s20, s15, s10
	s_ashr_i32 s13, s12, 31
	v_mov_b32_e32 v3, 0xff7fffff
	s_lshr_b32 s13, s13, 23
	s_mul_i32 s16, s14, s11
	s_add_i32 s12, s12, s13
	s_ashr_i32 s17, s16, 31
	s_ashr_i32 s19, s12, 9
	s_mul_i32 s12, s20, s11
	v_cmp_gt_i32_e32 vcc_lo, s19, v0
	s_ashr_i32 s13, s12, 31
	s_and_saveexec_b32 s21, vcc_lo
	s_cbranch_execz .LBB17_5
; %bb.2:
	s_load_b32 s28, s[8:9], 0xc
	s_load_b64 s[22:23], s[0:1], 0x10
	s_lshl_b64 s[24:25], s[12:13], 2
	s_lshl_b64 s[26:27], s[16:17], 2
	v_lshlrev_b32_e32 v1, 2, v0
	v_mov_b32_e32 v3, 0xff7fffff
	s_delay_alu instid0(VALU_DEP_2)
	v_dual_mov_b32 v5, v0 :: v_dual_add_nc_u32 v4, 32, v1
	s_waitcnt lgkmcnt(0)
	s_and_b32 s1, s28, 0xffff
	s_add_u32 s0, s24, s26
	s_addc_u32 s24, s25, s27
	s_add_u32 s0, s22, s0
	s_addc_u32 s22, s23, s24
	v_add_co_u32 v1, s0, s0, v1
	s_delay_alu instid0(VALU_DEP_1)
	v_add_co_ci_u32_e64 v2, null, s22, 0, s0
	s_mov_b32 s22, 0
	s_lshl_b32 s23, s1, 2
	.p2align	6
.LBB17_3:                               ; =>This Inner Loop Header: Depth=1
	global_load_b32 v6, v[1:2], off
	v_add_nc_u32_e32 v5, s1, v5
	v_max_f32_e32 v3, v3, v3
	v_add_co_u32 v1, s0, v1, s23
	s_delay_alu instid0(VALU_DEP_1) | instskip(NEXT) | instid1(VALU_DEP_4)
	v_add_co_ci_u32_e64 v2, s0, 0, v2, s0
	v_cmp_le_i32_e64 s0, s19, v5
	s_delay_alu instid0(VALU_DEP_1)
	s_or_b32 s22, s0, s22
	s_waitcnt vmcnt(0)
	v_max_f32_e32 v7, v6, v6
	ds_store_b32 v4, v6
	v_dual_max_f32 v3, v3, v7 :: v_dual_add_nc_u32 v4, s23, v4
	s_and_not1_b32 exec_lo, exec_lo, s22
	s_cbranch_execnz .LBB17_3
; %bb.4:
	s_or_b32 exec_lo, exec_lo, s22
.LBB17_5:
	s_delay_alu instid0(SALU_CYCLE_1)
	s_or_b32 exec_lo, exec_lo, s21
	v_mbcnt_lo_u32_b32 v1, -1, 0
	v_lshrrev_b32_e32 v9, 5, v0
	s_waitcnt lgkmcnt(0)
	s_barrier
	buffer_gl0_inv
	v_xor_b32_e32 v2, 16, v1
	v_xor_b32_e32 v4, 8, v1
	s_delay_alu instid0(VALU_DEP_2) | instskip(NEXT) | instid1(VALU_DEP_1)
	v_cmp_gt_i32_e64 s0, 32, v2
	v_cndmask_b32_e64 v2, v1, v2, s0
	s_delay_alu instid0(VALU_DEP_3) | instskip(NEXT) | instid1(VALU_DEP_2)
	v_cmp_gt_i32_e64 s0, 32, v4
	v_lshlrev_b32_e32 v5, 2, v2
	s_delay_alu instid0(VALU_DEP_2)
	v_cndmask_b32_e64 v4, v1, v4, s0
	ds_bpermute_b32 v2, v5, v3
	s_waitcnt lgkmcnt(0)
	v_dual_max_f32 v3, v3, v3 :: v_dual_max_f32 v2, v2, v2
	v_lshlrev_b32_e32 v7, 2, v4
	v_xor_b32_e32 v4, 4, v1
	s_delay_alu instid0(VALU_DEP_3) | instskip(NEXT) | instid1(VALU_DEP_2)
	v_max_f32_e32 v2, v3, v2
	v_cmp_gt_i32_e64 s0, 32, v4
	ds_bpermute_b32 v3, v7, v2
	v_cndmask_b32_e64 v4, v1, v4, s0
	s_delay_alu instid0(VALU_DEP_1) | instskip(SKIP_1) | instid1(VALU_DEP_1)
	v_lshlrev_b32_e32 v8, 2, v4
	v_xor_b32_e32 v4, 2, v1
	v_cmp_gt_i32_e64 s0, 32, v4
	s_delay_alu instid0(VALU_DEP_1) | instskip(SKIP_2) | instid1(VALU_DEP_1)
	v_cndmask_b32_e64 v4, v1, v4, s0
	s_waitcnt lgkmcnt(0)
	v_max_f32_e32 v3, v3, v3
	v_max_f32_e32 v2, v2, v3
	ds_bpermute_b32 v3, v8, v2
	s_waitcnt lgkmcnt(0)
	v_dual_max_f32 v6, v3, v3 :: v_dual_lshlrev_b32 v3, 2, v4
	s_delay_alu instid0(VALU_DEP_1) | instskip(SKIP_3) | instid1(VALU_DEP_1)
	v_max_f32_e32 v2, v2, v6
	v_xor_b32_e32 v6, 1, v1
	ds_bpermute_b32 v4, v3, v2
	v_cmp_gt_i32_e64 s0, 32, v6
	v_cndmask_b32_e64 v6, v1, v6, s0
	s_waitcnt lgkmcnt(0)
	v_max_f32_e32 v4, v4, v4
	s_delay_alu instid0(VALU_DEP_1) | instskip(SKIP_3) | instid1(VALU_DEP_1)
	v_dual_max_f32 v1, v2, v4 :: v_dual_lshlrev_b32 v4, 2, v6
	v_and_b32_e32 v6, 31, v0
	ds_bpermute_b32 v2, v4, v1
	v_cmp_eq_u32_e64 s0, 0, v6
	s_and_saveexec_b32 s1, s0
	s_cbranch_execz .LBB17_7
; %bb.6:
	s_waitcnt lgkmcnt(0)
	v_dual_max_f32 v2, v2, v2 :: v_dual_max_f32 v1, v1, v1
	s_delay_alu instid0(VALU_DEP_1)
	v_dual_max_f32 v1, v1, v2 :: v_dual_lshlrev_b32 v2, 2, v9
	ds_store_b32 v2, v1
.LBB17_7:
	s_or_b32 exec_lo, exec_lo, s1
	v_cmp_gt_u32_e64 s1, 4, v6
	v_mov_b32_e32 v1, 0xff7fffff
	s_waitcnt lgkmcnt(0)
	s_barrier
	buffer_gl0_inv
	s_and_saveexec_b32 s21, s1
	s_cbranch_execz .LBB17_9
; %bb.8:
	v_lshlrev_b32_e32 v1, 2, v6
	ds_load_b32 v1, v1
.LBB17_9:
	s_or_b32 exec_lo, exec_lo, s21
	s_waitcnt lgkmcnt(0)
	ds_bpermute_b32 v2, v3, v1
	v_max_f32_e32 v1, v1, v1
	s_lshl_b32 s21, s19, 2
	s_waitcnt lgkmcnt(0)
	v_dual_mov_b32 v11, 0 :: v_dual_max_f32 v2, v2, v2
	s_delay_alu instid0(VALU_DEP_1) | instskip(SKIP_3) | instid1(VALU_DEP_1)
	v_max_f32_e32 v1, v1, v2
	ds_bpermute_b32 v2, v4, v1
	s_waitcnt lgkmcnt(0)
	v_max_f32_e32 v2, v2, v2
	v_max_f32_e32 v1, v1, v2
	ds_bpermute_b32 v10, v11, v1
	s_and_saveexec_b32 s22, vcc_lo
	s_cbranch_execz .LBB17_13
; %bb.10:
	s_load_b32 s23, s[8:9], 0xc
	s_lshl_b64 s[24:25], s[12:13], 2
	s_lshl_b64 s[26:27], s[16:17], 2
	v_lshlrev_b32_e32 v1, 2, v0
	v_mov_b32_e32 v11, 0
	s_delay_alu instid0(VALU_DEP_2)
	v_dual_mov_b32 v13, v0 :: v_dual_add_nc_u32 v12, 32, v1
	s_waitcnt lgkmcnt(0)
	s_and_b32 s13, s23, 0xffff
	s_add_u32 s17, s24, s26
	s_addc_u32 s23, s25, s27
	s_add_u32 s2, s2, s17
	s_addc_u32 s3, s3, s23
	v_add_co_u32 v1, s2, s2, v1
	s_delay_alu instid0(VALU_DEP_1)
	v_add_co_ci_u32_e64 v2, null, s3, 0, s2
	s_mov_b32 s3, 0
	s_lshl_b32 s17, s13, 2
	s_set_inst_prefetch_distance 0x1
	.p2align	6
.LBB17_11:                              ; =>This Inner Loop Header: Depth=1
	global_load_b32 v14, v[1:2], off
	ds_load_b32 v15, v12
	v_add_nc_u32_e32 v13, s13, v13
	s_waitcnt lgkmcnt(0)
	v_sub_f32_e32 v15, v15, v10
	s_delay_alu instid0(VALU_DEP_1) | instskip(NEXT) | instid1(VALU_DEP_1)
	v_mul_f32_e32 v16, 0x3fb8aa3b, v15
	v_fma_f32 v17, 0x3fb8aa3b, v15, -v16
	v_rndne_f32_e32 v18, v16
	s_delay_alu instid0(VALU_DEP_1) | instskip(NEXT) | instid1(VALU_DEP_1)
	v_dual_fmac_f32 v17, 0x32a5705f, v15 :: v_dual_sub_f32 v16, v16, v18
	v_add_f32_e32 v16, v16, v17
	v_cvt_i32_f32_e32 v17, v18
	v_cmp_ngt_f32_e32 vcc_lo, 0xc2ce8ed0, v15
	v_cmp_nlt_f32_e64 s2, 0x42b17218, v15
	s_delay_alu instid0(VALU_DEP_4) | instskip(SKIP_3) | instid1(VALU_DEP_2)
	v_exp_f32_e32 v16, v16
	s_waitcnt_depctr 0xfff
	v_ldexp_f32 v16, v16, v17
	v_add_nc_u32_e32 v17, s21, v12
	v_cndmask_b32_e32 v16, 0, v16, vcc_lo
	v_add_co_u32 v1, vcc_lo, v1, s17
	v_add_co_ci_u32_e32 v2, vcc_lo, 0, v2, vcc_lo
	s_delay_alu instid0(VALU_DEP_3)
	v_cndmask_b32_e64 v15, 0x7f800000, v16, s2
	v_cmp_le_i32_e32 vcc_lo, s19, v13
	v_add_nc_u32_e32 v12, s17, v12
	s_or_b32 s3, vcc_lo, s3
	s_waitcnt vmcnt(0)
	v_fmac_f32_e32 v11, v14, v15
	v_mul_f32_e32 v16, v14, v15
	ds_store_b32 v17, v16
	s_and_not1_b32 exec_lo, exec_lo, s3
	s_cbranch_execnz .LBB17_11
; %bb.12:
	s_set_inst_prefetch_distance 0x2
	s_or_b32 exec_lo, exec_lo, s3
.LBB17_13:
	s_delay_alu instid0(SALU_CYCLE_1)
	s_or_b32 exec_lo, exec_lo, s22
	ds_bpermute_b32 v1, v5, v11
	s_waitcnt lgkmcnt(0)
	s_barrier
	buffer_gl0_inv
	v_add_f32_e32 v1, v11, v1
	ds_bpermute_b32 v2, v7, v1
	s_waitcnt lgkmcnt(0)
	v_add_f32_e32 v1, v1, v2
	ds_bpermute_b32 v2, v8, v1
	s_waitcnt lgkmcnt(0)
	v_add_f32_e32 v1, v1, v2
	ds_bpermute_b32 v2, v3, v1
	s_waitcnt lgkmcnt(0)
	v_add_f32_e32 v1, v1, v2
	ds_bpermute_b32 v2, v4, v1
	s_waitcnt lgkmcnt(0)
	v_add_f32_e32 v1, v1, v2
	s_and_saveexec_b32 s2, s0
	s_cbranch_execz .LBB17_15
; %bb.14:
	v_lshlrev_b32_e32 v2, 2, v9
	ds_store_b32 v2, v1 offset:16
.LBB17_15:
	s_or_b32 exec_lo, exec_lo, s2
	s_waitcnt lgkmcnt(0)
	s_barrier
	buffer_gl0_inv
	s_and_saveexec_b32 s0, s1
	s_cbranch_execz .LBB17_17
; %bb.16:
	v_lshlrev_b32_e32 v1, 2, v6
	ds_load_b32 v1, v1 offset:16
.LBB17_17:
	s_or_b32 exec_lo, exec_lo, s0
	s_waitcnt lgkmcnt(0)
	ds_bpermute_b32 v2, v3, v1
	s_mov_b32 s1, exec_lo
	s_waitcnt lgkmcnt(0)
	v_add_f32_e32 v1, v1, v2
	ds_bpermute_b32 v2, v4, v1
	s_waitcnt lgkmcnt(0)
	v_dual_add_f32 v1, v1, v2 :: v_dual_mov_b32 v2, 0
	ds_bpermute_b32 v1, v2, v1
	v_cmpx_gt_u32_e32 0x100, v0
	s_cbranch_execz .LBB17_23
; %bb.18:
	s_waitcnt lgkmcnt(0)
	v_add_f32_e32 v1, 0x358637bd, v1
	s_lshl_b32 s2, s20, 8
	s_lshl_b32 s22, s12, 8
	s_ashr_i32 s3, s2, 31
	s_lshl_b32 s24, s16, 8
	v_div_scale_f32 v3, null, v1, v1, 1.0
	s_lshl_b64 s[2:3], s[2:3], 2
	s_ashr_i32 s23, s22, 31
	s_ashr_i32 s25, s24, 31
	s_delay_alu instid0(VALU_DEP_1)
	v_rcp_f32_e32 v4, v3
	s_add_u32 s0, s6, s2
	s_addc_u32 s12, s7, s3
	s_lshl_b32 s2, s14, 8
	v_lshlrev_b32_e32 v8, 2, v0
	s_ashr_i32 s3, s2, 31
	s_delay_alu instid0(SALU_CYCLE_1) | instskip(NEXT) | instid1(SALU_CYCLE_1)
	s_lshl_b64 s[2:3], s[2:3], 2
	s_add_u32 s2, s0, s2
	s_waitcnt_depctr 0xfff
	v_fma_f32 v5, -v3, v4, 1.0
	s_addc_u32 s3, s12, s3
	s_add_i32 s12, s21, 32
	s_cmp_gt_i32 s18, 0
	s_cselect_b32 s13, -1, 0
	v_fmac_f32_e32 v4, v5, v4
	v_div_scale_f32 v6, vcc_lo, 1.0, v1, 1.0
	s_max_i32 s16, s19, 1
	s_lshl_b64 s[18:19], s[22:23], 2
	s_lshl_b64 s[20:21], s[24:25], 2
	s_delay_alu instid0(VALU_DEP_1)
	v_mul_f32_e32 v5, v6, v4
	s_add_u32 s0, s18, s20
	s_addc_u32 s17, s19, s21
	s_add_u32 s0, s4, s0
	s_addc_u32 s17, s5, s17
	v_fma_f32 v7, -v3, v5, v6
	s_delay_alu instid0(VALU_DEP_1) | instskip(NEXT) | instid1(VALU_DEP_1)
	v_fmac_f32_e32 v5, v7, v4
	v_fma_f32 v3, -v3, v5, v6
	s_delay_alu instid0(VALU_DEP_1) | instskip(NEXT) | instid1(VALU_DEP_1)
	v_div_fmas_f32 v5, v3, v4, v5
	v_div_fixup_f32 v7, v5, v1, 1.0
	v_mov_b32_e32 v1, v0
	v_add_co_u32 v3, s0, s0, v8
	s_delay_alu instid0(VALU_DEP_1)
	v_add_co_ci_u32_e64 v4, null, s17, 0, s0
	s_mov_b32 s17, 0
	s_set_inst_prefetch_distance 0x1
	s_branch .LBB17_20
	.p2align	6
.LBB17_19:                              ;   in Loop: Header=BB17_20 Depth=1
	v_lshlrev_b64 v[5:6], 2, v[1:2]
	v_add_nc_u32_e32 v9, 0x80, v1
	v_cmp_lt_u32_e32 vcc_lo, 0x7f, v1
	s_delay_alu instid0(VALU_DEP_2) | instskip(NEXT) | instid1(VALU_DEP_4)
	v_mov_b32_e32 v1, v9
	v_add_co_u32 v5, s0, s2, v5
	s_delay_alu instid0(VALU_DEP_1) | instskip(SKIP_1) | instid1(VALU_DEP_1)
	v_add_co_ci_u32_e64 v6, s0, s3, v6, s0
	v_add_co_u32 v3, s0, 0x200, v3
	v_add_co_ci_u32_e64 v4, s0, 0, v4, s0
	s_or_b32 s17, vcc_lo, s17
	global_store_b32 v[5:6], v8, off
	s_and_not1_b32 exec_lo, exec_lo, s17
	s_cbranch_execz .LBB17_23
.LBB17_20:                              ; =>This Loop Header: Depth=1
                                        ;     Child Loop BB17_22 Depth 2
	v_mov_b32_e32 v8, 0
	s_and_not1_b32 vcc_lo, exec_lo, s13
	s_cbranch_vccnz .LBB17_19
; %bb.21:                               ;   in Loop: Header=BB17_20 Depth=1
	v_dual_mov_b32 v6, v4 :: v_dual_mov_b32 v5, v3
	s_mov_b32 s0, s12
	s_mov_b32 s18, s16
.LBB17_22:                              ;   Parent Loop BB17_20 Depth=1
                                        ; =>  This Inner Loop Header: Depth=2
	global_load_b32 v9, v[5:6], off
	v_mov_b32_e32 v10, s0
	v_add_co_u32 v5, vcc_lo, 0x400, v5
	v_add_co_ci_u32_e32 v6, vcc_lo, 0, v6, vcc_lo
	ds_load_b32 v10, v10
	s_add_i32 s18, s18, -1
	s_add_i32 s0, s0, 4
	s_cmp_eq_u32 s18, 0
	s_waitcnt vmcnt(0) lgkmcnt(0)
	v_mul_f32_e32 v9, v9, v10
	s_delay_alu instid0(VALU_DEP_1)
	v_fmac_f32_e32 v8, v7, v9
	s_cbranch_scc0 .LBB17_22
	s_branch .LBB17_19
.LBB17_23:
	s_set_inst_prefetch_distance 0x2
	s_or_b32 exec_lo, exec_lo, s1
	s_mov_b32 s2, 0
.LBB17_24:
	s_delay_alu instid0(SALU_CYCLE_1)
	s_and_b32 vcc_lo, exec_lo, s2
	s_cbranch_vccz .LBB17_28
; %bb.25:
	s_mov_b32 s0, exec_lo
	v_cmpx_gt_u32_e32 0x100, v0
	s_cbranch_execz .LBB17_28
; %bb.26:
	s_mul_i32 s15, s15, s10
	s_load_b32 s8, s[8:9], 0xc
	s_lshl_b32 s0, s15, 8
	s_waitcnt lgkmcnt(0)
	v_dual_mov_b32 v2, 0 :: v_dual_lshlrev_b32 v1, 2, v0
	s_ashr_i32 s1, s0, 31
	s_delay_alu instid0(SALU_CYCLE_1) | instskip(NEXT) | instid1(SALU_CYCLE_1)
	s_lshl_b64 s[0:1], s[0:1], 2
	s_add_u32 s6, s6, s0
	s_addc_u32 s7, s7, s1
	s_lshl_b32 s0, s14, 8
	s_mul_i32 s14, s14, s11
	s_ashr_i32 s1, s0, 31
	s_delay_alu instid0(SALU_CYCLE_1) | instskip(SKIP_4) | instid1(SALU_CYCLE_1)
	s_lshl_b64 s[2:3], s[0:1], 2
	s_mul_i32 s0, s11, s15
	s_add_u32 s1, s6, s2
	s_addc_u32 s2, s7, s3
	s_lshl_b32 s6, s0, 8
	s_ashr_i32 s7, s6, 31
	s_delay_alu instid0(SALU_CYCLE_1) | instskip(NEXT) | instid1(SALU_CYCLE_1)
	s_lshl_b64 s[6:7], s[6:7], 2
	s_add_u32 s0, s4, s6
	s_addc_u32 s6, s5, s7
	s_lshl_b32 s4, s14, 8
	s_delay_alu instid0(SALU_CYCLE_1) | instskip(NEXT) | instid1(SALU_CYCLE_1)
	s_ashr_i32 s5, s4, 31
	s_lshl_b64 s[4:5], s[4:5], 2
	s_delay_alu instid0(SALU_CYCLE_1)
	s_add_u32 s3, s0, s4
	s_addc_u32 s4, s6, s5
	s_and_b32 s5, s8, 0xffff
	s_mov_b32 s6, 0
	s_lshl_b32 s7, s5, 2
	.p2align	6
.LBB17_27:                              ; =>This Inner Loop Header: Depth=1
	v_add_co_u32 v3, vcc_lo, s3, v1
	v_add_co_ci_u32_e32 v4, vcc_lo, s4, v2, vcc_lo
	v_add_nc_u32_e32 v0, s5, v0
	global_load_b32 v5, v[3:4], off
	v_add_co_u32 v3, vcc_lo, s1, v1
	v_add_co_ci_u32_e32 v4, vcc_lo, s2, v2, vcc_lo
	v_cmp_lt_u32_e32 vcc_lo, 0xff, v0
	v_add_co_u32 v1, s0, v1, s7
	s_delay_alu instid0(VALU_DEP_1)
	v_add_co_ci_u32_e64 v2, s0, 0, v2, s0
	s_or_b32 s6, vcc_lo, s6
	s_waitcnt vmcnt(0)
	global_store_b32 v[3:4], v5, off
	s_and_not1_b32 exec_lo, exec_lo, s6
	s_cbranch_execnz .LBB17_27
.LBB17_28:
	s_nop 0
	s_sendmsg sendmsg(MSG_DEALLOC_VGPRS)
	s_endpgm
	.section	.rodata,"a",@progbits
	.p2align	6, 0x0
	.amdhsa_kernel _ZN4vllm32paged_attention_v2_reduce_kernelIfLi256ELi128ELi512EEEvPT_PKfS4_PKS1_PKii
		.amdhsa_group_segment_fixed_size 32
		.amdhsa_private_segment_fixed_size 0
		.amdhsa_kernarg_size 304
		.amdhsa_user_sgpr_count 14
		.amdhsa_user_sgpr_dispatch_ptr 0
		.amdhsa_user_sgpr_queue_ptr 0
		.amdhsa_user_sgpr_kernarg_segment_ptr 1
		.amdhsa_user_sgpr_dispatch_id 0
		.amdhsa_user_sgpr_private_segment_size 0
		.amdhsa_wavefront_size32 1
		.amdhsa_uses_dynamic_stack 0
		.amdhsa_enable_private_segment 0
		.amdhsa_system_sgpr_workgroup_id_x 1
		.amdhsa_system_sgpr_workgroup_id_y 1
		.amdhsa_system_sgpr_workgroup_id_z 0
		.amdhsa_system_sgpr_workgroup_info 0
		.amdhsa_system_vgpr_workitem_id 0
		.amdhsa_next_free_vgpr 19
		.amdhsa_next_free_sgpr 29
		.amdhsa_reserve_vcc 1
		.amdhsa_float_round_mode_32 0
		.amdhsa_float_round_mode_16_64 0
		.amdhsa_float_denorm_mode_32 3
		.amdhsa_float_denorm_mode_16_64 3
		.amdhsa_dx10_clamp 1
		.amdhsa_ieee_mode 1
		.amdhsa_fp16_overflow 0
		.amdhsa_workgroup_processor_mode 1
		.amdhsa_memory_ordered 1
		.amdhsa_forward_progress 0
		.amdhsa_shared_vgpr_count 0
		.amdhsa_exception_fp_ieee_invalid_op 0
		.amdhsa_exception_fp_denorm_src 0
		.amdhsa_exception_fp_ieee_div_zero 0
		.amdhsa_exception_fp_ieee_overflow 0
		.amdhsa_exception_fp_ieee_underflow 0
		.amdhsa_exception_fp_ieee_inexact 0
		.amdhsa_exception_int_div_zero 0
	.end_amdhsa_kernel
	.section	.text._ZN4vllm32paged_attention_v2_reduce_kernelIfLi256ELi128ELi512EEEvPT_PKfS4_PKS1_PKii,"axG",@progbits,_ZN4vllm32paged_attention_v2_reduce_kernelIfLi256ELi128ELi512EEEvPT_PKfS4_PKS1_PKii,comdat
.Lfunc_end17:
	.size	_ZN4vllm32paged_attention_v2_reduce_kernelIfLi256ELi128ELi512EEEvPT_PKfS4_PKS1_PKii, .Lfunc_end17-_ZN4vllm32paged_attention_v2_reduce_kernelIfLi256ELi128ELi512EEEvPT_PKfS4_PKS1_PKii
                                        ; -- End function
	.section	.AMDGPU.csdata,"",@progbits
; Kernel info:
; codeLenInByte = 2088
; NumSgprs: 31
; NumVgprs: 19
; ScratchSize: 0
; MemoryBound: 0
; FloatMode: 240
; IeeeMode: 1
; LDSByteSize: 32 bytes/workgroup (compile time only)
; SGPRBlocks: 3
; VGPRBlocks: 2
; NumSGPRsForWavesPerEU: 31
; NumVGPRsForWavesPerEU: 19
; Occupancy: 16
; WaveLimiterHint : 0
; COMPUTE_PGM_RSRC2:SCRATCH_EN: 0
; COMPUTE_PGM_RSRC2:USER_SGPR: 14
; COMPUTE_PGM_RSRC2:TRAP_HANDLER: 0
; COMPUTE_PGM_RSRC2:TGID_X_EN: 1
; COMPUTE_PGM_RSRC2:TGID_Y_EN: 1
; COMPUTE_PGM_RSRC2:TGID_Z_EN: 0
; COMPUTE_PGM_RSRC2:TIDIG_COMP_CNT: 0
	.section	.text._ZN4vllm25paged_attention_v2_kernelIffLi32ELi8ELi128ELNS_18Fp8KVCacheDataTypeE0ELb0ELi512EEEvPfS2_PT_PKS3_PKT0_S9_ifPKiSB_iPKfiiiSD_SD_iiiii,"axG",@progbits,_ZN4vllm25paged_attention_v2_kernelIffLi32ELi8ELi128ELNS_18Fp8KVCacheDataTypeE0ELb0ELi512EEEvPfS2_PT_PKS3_PKT0_S9_ifPKiSB_iPKfiiiSD_SD_iiiii,comdat
	.protected	_ZN4vllm25paged_attention_v2_kernelIffLi32ELi8ELi128ELNS_18Fp8KVCacheDataTypeE0ELb0ELi512EEEvPfS2_PT_PKS3_PKT0_S9_ifPKiSB_iPKfiiiSD_SD_iiiii ; -- Begin function _ZN4vllm25paged_attention_v2_kernelIffLi32ELi8ELi128ELNS_18Fp8KVCacheDataTypeE0ELb0ELi512EEEvPfS2_PT_PKS3_PKT0_S9_ifPKiSB_iPKfiiiSD_SD_iiiii
	.globl	_ZN4vllm25paged_attention_v2_kernelIffLi32ELi8ELi128ELNS_18Fp8KVCacheDataTypeE0ELb0ELi512EEEvPfS2_PT_PKS3_PKT0_S9_ifPKiSB_iPKfiiiSD_SD_iiiii
	.p2align	8
	.type	_ZN4vllm25paged_attention_v2_kernelIffLi32ELi8ELi128ELNS_18Fp8KVCacheDataTypeE0ELb0ELi512EEEvPfS2_PT_PKS3_PKT0_S9_ifPKiSB_iPKfiiiSD_SD_iiiii,@function
_ZN4vllm25paged_attention_v2_kernelIffLi32ELi8ELi128ELNS_18Fp8KVCacheDataTypeE0ELb0ELi512EEEvPfS2_PT_PKS3_PKT0_S9_ifPKiSB_iPKfiiiSD_SD_iiiii: ; @_ZN4vllm25paged_attention_v2_kernelIffLi32ELi8ELi128ELNS_18Fp8KVCacheDataTypeE0ELb0ELi512EEEvPfS2_PT_PKS3_PKT0_S9_ifPKiSB_iPKfiiiSD_SD_iiiii
; %bb.0:
	s_load_b64 s[2:3], s[0:1], 0x40
	s_mov_b32 s12, s15
	s_ashr_i32 s15, s14, 31
	s_delay_alu instid0(SALU_CYCLE_1)
	s_lshl_b64 s[4:5], s[14:15], 2
	s_waitcnt lgkmcnt(0)
	s_add_u32 s2, s2, s4
	s_addc_u32 s3, s3, s5
	s_lshl_b32 s31, s12, 9
	s_load_b32 s30, s[2:3], 0x0
	s_waitcnt lgkmcnt(0)
	s_cmp_ge_i32 s31, s30
	s_cbranch_scc1 .LBB18_56
; %bb.1:
	s_mov_b32 s20, s13
	s_clause 0x1
	s_load_b32 s13, s[0:1], 0x90
	s_load_b64 s[28:29], s[0:1], 0x30
	s_mov_b32 s33, 0
	s_waitcnt lgkmcnt(0)
	s_abs_i32 s5, s13
	s_abs_i32 s2, s28
	s_delay_alu instid0(SALU_CYCLE_1) | instskip(SKIP_1) | instid1(VALU_DEP_1)
	v_cvt_f32_u32_e32 v1, s2
	s_sub_i32 s4, 0, s2
	v_rcp_iflag_f32_e32 v1, v1
	s_waitcnt_depctr 0xfff
	v_mul_f32_e32 v1, 0x4f7ffffe, v1
	s_delay_alu instid0(VALU_DEP_1) | instskip(NEXT) | instid1(VALU_DEP_1)
	v_cvt_u32_f32_e32 v1, v1
	v_readfirstlane_b32 s3, v1
	s_delay_alu instid0(VALU_DEP_1) | instskip(NEXT) | instid1(SALU_CYCLE_1)
	s_mul_i32 s4, s4, s3
	s_mul_hi_u32 s4, s3, s4
	s_delay_alu instid0(SALU_CYCLE_1) | instskip(SKIP_4) | instid1(SALU_CYCLE_1)
	s_add_i32 s3, s3, s4
	s_xor_b32 s4, s13, s28
	s_mul_hi_u32 s3, s5, s3
	s_ashr_i32 s4, s4, 31
	s_mul_i32 s6, s3, s2
	s_sub_i32 s5, s5, s6
	s_add_i32 s6, s3, 1
	s_sub_i32 s7, s5, s2
	s_cmp_ge_u32 s5, s2
	s_cselect_b32 s3, s6, s3
	s_cselect_b32 s5, s7, s5
	s_add_i32 s6, s3, 1
	s_cmp_ge_u32 s5, s2
	s_cselect_b32 s2, s6, s3
	s_abs_i32 s10, s20
	s_xor_b32 s2, s2, s4
	s_delay_alu instid0(SALU_CYCLE_1) | instskip(SKIP_2) | instid1(SALU_CYCLE_1)
	s_sub_i32 s11, s2, s4
	s_load_b64 s[2:3], s[0:1], 0x50
	s_abs_i32 s8, s11
	v_cvt_f32_u32_e32 v1, s8
	s_sub_i32 s5, 0, s8
	s_delay_alu instid0(VALU_DEP_1) | instskip(SKIP_2) | instid1(VALU_DEP_1)
	v_rcp_iflag_f32_e32 v1, v1
	s_waitcnt_depctr 0xfff
	v_mul_f32_e32 v1, 0x4f7ffffe, v1
	v_cvt_u32_f32_e32 v1, v1
	s_delay_alu instid0(VALU_DEP_1) | instskip(NEXT) | instid1(VALU_DEP_1)
	v_readfirstlane_b32 s4, v1
	s_mul_i32 s5, s5, s4
	s_delay_alu instid0(SALU_CYCLE_1) | instskip(NEXT) | instid1(SALU_CYCLE_1)
	s_mul_hi_u32 s5, s4, s5
	s_add_i32 s4, s4, s5
	s_waitcnt lgkmcnt(0)
	s_cmp_eq_u64 s[2:3], 0
	s_mul_hi_u32 s9, s10, s4
	s_cbranch_scc1 .LBB18_3
; %bb.2:
	s_ashr_i32 s21, s20, 31
	s_delay_alu instid0(SALU_CYCLE_1) | instskip(NEXT) | instid1(SALU_CYCLE_1)
	s_lshl_b64 s[4:5], s[20:21], 2
	s_add_u32 s2, s2, s4
	s_addc_u32 s3, s3, s5
	s_load_b32 s33, s[2:3], 0x0
.LBB18_3:
	s_load_b128 s[4:7], s[0:1], 0x58
	v_and_b32_e32 v9, 3, v0
	v_cmp_gt_u32_e64 s2, 32, v0
	v_lshlrev_b32_e32 v11, 2, v0
	s_ashr_i32 s3, s20, 31
	s_waitcnt lgkmcnt(0)
	s_ashr_i32 s7, s11, 31
	s_lshl_b32 s16, s20, 5
	s_and_saveexec_b32 s11, s2
	s_cbranch_execz .LBB18_5
; %bb.4:
	s_load_b64 s[18:19], s[0:1], 0x18
	s_mul_i32 s22, s14, s4
	v_and_b32_e32 v2, 0x3fc, v0
	s_ashr_i32 s23, s22, 31
	s_delay_alu instid0(SALU_CYCLE_1) | instskip(NEXT) | instid1(VALU_DEP_1)
	s_lshl_b64 s[22:23], s[22:23], 2
	v_lshl_add_u32 v2, v9, 5, v2
	s_waitcnt lgkmcnt(0)
	s_add_u32 s4, s18, s22
	s_addc_u32 s15, s19, s23
	s_ashr_i32 s17, s16, 31
	s_delay_alu instid0(SALU_CYCLE_1) | instskip(NEXT) | instid1(SALU_CYCLE_1)
	s_lshl_b64 s[18:19], s[16:17], 2
	s_add_u32 s18, s4, s18
	s_addc_u32 s19, s15, s19
	global_load_b32 v1, v11, s[18:19]
	s_waitcnt vmcnt(0)
	ds_store_b32 v2, v1
.LBB18_5:
	s_or_b32 exec_lo, exec_lo, s11
	s_add_i32 s4, s30, 7
	s_lshl_b32 s15, s12, 6
	s_ashr_i32 s11, s4, 31
	s_xor_b32 s3, s3, s7
	s_lshr_b32 s11, s11, 29
	s_add_i32 s7, s15, 64
	s_add_i32 s4, s4, s11
	v_lshrrev_b32_e32 v16, 5, v0
	s_ashr_i32 s28, s4, 3
	s_mul_i32 s4, s9, s8
	s_min_i32 s21, s7, s28
	s_clause 0x1
	s_load_b64 s[22:23], s[0:1], 0x38
	s_load_b32 s7, s[0:1], 0x48
	s_sub_i32 s4, s10, s4
	s_add_i32 s10, s9, 1
	s_sub_i32 s11, s4, s8
	s_cmp_ge_u32 s4, s8
	v_or_b32_e32 v13, s15, v16
	s_cselect_b32 s9, s10, s9
	s_cselect_b32 s4, s11, s4
	s_add_i32 s10, s9, 1
	s_cmp_ge_u32 s4, s8
	v_mbcnt_lo_u32_b32 v12, -1, 0
	s_cselect_b32 s4, s10, s9
	s_mov_b32 s8, exec_lo
	s_xor_b32 s4, s4, s3
	s_waitcnt lgkmcnt(0)
	s_sub_i32 s4, s4, s3
	v_cmp_gt_i32_e64 s3, s21, v13
	s_barrier
	buffer_gl0_inv
                                        ; implicit-def: $vgpr15
	s_mul_i32 s24, s14, s7
                                        ; implicit-def: $sgpr7
	s_delay_alu instid0(SALU_CYCLE_1)
	s_ashr_i32 s25, s24, 31
	v_cmpx_le_i32_e64 s21, v13
	s_xor_b32 s8, exec_lo, s8
; %bb.6:
	v_mbcnt_lo_u32_b32 v12, -1, 0
	v_mov_b32_e32 v15, 32
	s_mov_b32 s7, 0xff7fffff
                                        ; implicit-def: $vgpr9
; %bb.7:
	s_or_saveexec_b32 s34, s8
	s_clause 0x3
	s_load_b128 s[8:11], s[0:1], 0x0
	s_load_b64 s[18:19], s[0:1], 0x10
	s_load_b64 s[26:27], s[0:1], 0x28
	s_load_b32 s17, s[0:1], 0x98
	v_mov_b32_e32 v17, s7
	v_ashrrev_i32_e32 v14, 31, v13
	s_mul_i32 s6, s4, s6
	s_xor_b32 exec_lo, exec_lo, s34
	s_cbranch_execz .LBB18_13
; %bb.8:
	s_load_b64 s[0:1], s[0:1], 0x20
	v_xor_b32_e32 v1, 2, v12
	v_bfe_u32 v10, v0, 2, 3
	v_xor_b32_e32 v18, 1, v12
	s_ashr_i32 s7, s6, 31
	v_lshlrev_b32_e32 v5, 5, v9
	v_cmp_gt_i32_e32 vcc_lo, 32, v1
	v_lshlrev_b32_e32 v19, 4, v10
	s_lshl_b64 s[36:37], s[6:7], 2
	v_dual_mov_b32 v24, v13 :: v_dual_lshlrev_b32 v17, 2, v9
	v_cndmask_b32_e32 v20, v12, v1, vcc_lo
	v_cmp_gt_i32_e32 vcc_lo, 32, v18
	ds_load_b128 v[1:4], v5
	ds_load_b128 v[5:8], v5 offset:16
	v_dual_mov_b32 v15, 32 :: v_dual_lshlrev_b32 v22, 2, v10
	s_mov_b32 s35, 0
	v_dual_cndmask_b32 v21, v12, v18 :: v_dual_lshlrev_b32 v18, 2, v20
	s_waitcnt lgkmcnt(0)
	s_add_u32 s0, s0, s36
	s_addc_u32 s1, s1, s37
	v_add_co_u32 v20, s0, s0, v19
	s_delay_alu instid0(VALU_DEP_1) | instskip(SKIP_1) | instid1(VALU_DEP_3)
	v_add_co_ci_u32_e64 v23, null, s1, 0, s0
	v_lshlrev_b32_e32 v19, 2, v21
	v_add_co_u32 v20, vcc_lo, v20, v17
	v_lshlrev_b32_e32 v17, 3, v16
	s_delay_alu instid0(VALU_DEP_4) | instskip(SKIP_2) | instid1(VALU_DEP_4)
	v_add_co_ci_u32_e32 v21, vcc_lo, 0, v23, vcc_lo
	v_cmp_eq_u32_e32 vcc_lo, 0, v9
	v_lshl_or_b32 v23, v16, 5, v22
	v_add3_u32 v22, s31, v17, v10
	v_lshlrev_b64 v[9:10], 2, v[13:14]
	s_lshl_b64 s[36:37], s[24:25], 2
	s_sub_i32 s7, 1, s30
	s_add_u32 s1, s22, s36
	s_addc_u32 s4, s23, s37
	v_cmp_neq_f32_e64 s0, s33, 0
	v_add_co_u32 v9, s1, s1, v9
	v_add_nc_u32_e32 v23, 0xa0, v23
	v_add_co_ci_u32_e64 v10, s1, s4, v10, s1
	v_mov_b32_e32 v17, 0xff7fffff
	s_mov_b32 s36, s5
	s_branch .LBB18_10
.LBB18_9:                               ;   in Loop: Header=BB18_10 Depth=1
	s_or_b32 exec_lo, exec_lo, s4
	v_add_nc_u32_e32 v24, 4, v24
	v_add_co_u32 v9, s4, v9, 16
	v_add_nc_u32_e32 v22, 32, v22
	v_add_nc_u32_e32 v23, 0x80, v23
	s_delay_alu instid0(VALU_DEP_4) | instskip(SKIP_1) | instid1(VALU_DEP_2)
	v_cmp_le_i32_e64 s1, s21, v24
	v_add_co_ci_u32_e64 v10, s4, 0, v10, s4
	s_or_b32 s35, s1, s35
	s_delay_alu instid0(SALU_CYCLE_1)
	s_and_not1_b32 exec_lo, exec_lo, s35
	s_cbranch_execz .LBB18_12
.LBB18_10:                              ; =>This Inner Loop Header: Depth=1
	global_load_b32 v27, v[9:10], off
	s_waitcnt vmcnt(0) lgkmcnt(0)
	v_mad_i64_i32 v[25:26], null, v27, s36, 0
	s_delay_alu instid0(VALU_DEP_1) | instskip(NEXT) | instid1(VALU_DEP_1)
	v_lshlrev_b64 v[25:26], 2, v[25:26]
	v_add_co_u32 v25, s1, v20, v25
	s_delay_alu instid0(VALU_DEP_1)
	v_add_co_ci_u32_e64 v26, s1, v21, v26, s1
	s_clause 0x7
	global_load_b32 v27, v[25:26], off offset:128
	global_load_b32 v28, v[25:26], off
	global_load_b32 v29, v[25:26], off offset:256
	global_load_b32 v30, v[25:26], off offset:384
	;; [unrolled: 1-line block ×6, first 2 shown]
	s_waitcnt vmcnt(7)
	v_mul_f32_e32 v26, v2, v27
	s_waitcnt vmcnt(6)
	s_delay_alu instid0(VALU_DEP_1) | instskip(SKIP_1) | instid1(VALU_DEP_1)
	v_fmac_f32_e32 v26, v1, v28
	s_waitcnt vmcnt(5)
	v_fmac_f32_e32 v26, v3, v29
	s_waitcnt vmcnt(4)
	s_delay_alu instid0(VALU_DEP_1) | instskip(SKIP_1) | instid1(VALU_DEP_1)
	v_fmac_f32_e32 v26, v4, v30
	s_waitcnt vmcnt(3)
	v_fmac_f32_e32 v26, v5, v31
	;; [unrolled: 5-line block ×3, first 2 shown]
	s_waitcnt vmcnt(0)
	s_delay_alu instid0(VALU_DEP_1)
	v_fmac_f32_e32 v26, v8, v25
	ds_bpermute_b32 v25, v18, v26
	s_waitcnt lgkmcnt(0)
	v_add_f32_e32 v25, v26, v25
	ds_bpermute_b32 v26, v19, v25
	s_and_saveexec_b32 s4, vcc_lo
	s_cbranch_execz .LBB18_9
; %bb.11:                               ;   in Loop: Header=BB18_10 Depth=1
	s_waitcnt lgkmcnt(0)
	v_add_f32_e32 v25, v25, v26
	v_add_nc_u32_e32 v27, s7, v22
	v_cmp_gt_i32_e64 s1, s30, v22
	s_delay_alu instid0(VALU_DEP_2) | instskip(NEXT) | instid1(VALU_DEP_1)
	v_cvt_f32_i32_e32 v27, v27
	v_mul_f32_e32 v27, s33, v27
	s_delay_alu instid0(VALU_DEP_1) | instskip(SKIP_1) | instid1(VALU_DEP_2)
	v_cndmask_b32_e64 v26, 0, v27, s0
	v_max_f32_e32 v27, v17, v17
	v_fmac_f32_e32 v26, s29, v25
	s_delay_alu instid0(VALU_DEP_1) | instskip(SKIP_1) | instid1(VALU_DEP_2)
	v_max_f32_e32 v25, v27, v26
	v_cndmask_b32_e64 v26, 0, v26, s1
	v_cndmask_b32_e64 v17, v17, v25, s1
	ds_store_b32 v23, v26
	s_branch .LBB18_9
.LBB18_12:
	s_or_b32 exec_lo, exec_lo, s35
.LBB18_13:
	s_delay_alu instid0(SALU_CYCLE_1) | instskip(SKIP_3) | instid1(VALU_DEP_3)
	s_or_b32 exec_lo, exec_lo, s34
	v_xor_b32_e32 v1, 16, v12
	v_xor_b32_e32 v3, 8, v12
	v_max_f32_e32 v5, v17, v17
	v_cmp_lt_i32_e32 vcc_lo, v1, v15
	v_cndmask_b32_e32 v1, v12, v1, vcc_lo
	s_delay_alu instid0(VALU_DEP_4) | instskip(SKIP_1) | instid1(VALU_DEP_1)
	v_cmp_lt_i32_e32 vcc_lo, v3, v15
	v_cndmask_b32_e32 v3, v12, v3, vcc_lo
	v_lshlrev_b32_e32 v4, 2, v3
	s_delay_alu instid0(VALU_DEP_4) | instskip(SKIP_4) | instid1(VALU_DEP_1)
	v_lshlrev_b32_e32 v2, 2, v1
	ds_bpermute_b32 v1, v2, v17
	v_and_b32_e32 v17, 31, v0
	s_waitcnt lgkmcnt(0)
	v_max_f32_e32 v1, v1, v1
	v_max_f32_e32 v1, v5, v1
	v_xor_b32_e32 v5, 4, v12
	ds_bpermute_b32 v3, v4, v1
	v_cmp_lt_i32_e32 vcc_lo, v5, v15
	v_cndmask_b32_e32 v5, v12, v5, vcc_lo
	v_cmp_eq_u32_e32 vcc_lo, 0, v17
	s_delay_alu instid0(VALU_DEP_2) | instskip(SKIP_3) | instid1(VALU_DEP_1)
	v_lshlrev_b32_e32 v7, 2, v5
	v_lshlrev_b32_e32 v5, 2, v16
	s_waitcnt lgkmcnt(0)
	v_max_f32_e32 v3, v3, v3
	v_max_f32_e32 v1, v1, v3
	ds_bpermute_b32 v3, v7, v1
	s_and_saveexec_b32 s0, vcc_lo
	s_cbranch_execz .LBB18_15
; %bb.14:
	s_waitcnt lgkmcnt(0)
	v_max_f32_e32 v3, v3, v3
	v_max_f32_e32 v1, v1, v1
	s_delay_alu instid0(VALU_DEP_1)
	v_max_f32_e32 v1, v1, v3
	ds_store_b32 v5, v1 offset:128
.LBB18_15:
	s_or_b32 exec_lo, exec_lo, s0
	v_cmp_gt_u32_e64 s0, 4, v17
	v_dual_mov_b32 v1, 0xff7fffff :: v_dual_lshlrev_b32 v6, 2, v17
	s_waitcnt lgkmcnt(0)
	s_barrier
	buffer_gl0_inv
	s_and_saveexec_b32 s1, s0
	s_cbranch_execz .LBB18_17
; %bb.16:
	ds_load_b32 v1, v6 offset:128
.LBB18_17:
	s_or_b32 exec_lo, exec_lo, s1
	v_xor_b32_e32 v3, 2, v12
	v_xor_b32_e32 v9, 1, v12
	v_mov_b32_e32 v10, 0
	s_delay_alu instid0(VALU_DEP_3) | instskip(NEXT) | instid1(VALU_DEP_1)
	v_cmp_lt_i32_e64 s1, v3, v15
	v_cndmask_b32_e64 v3, v12, v3, s1
	s_delay_alu instid0(VALU_DEP_4) | instskip(NEXT) | instid1(VALU_DEP_2)
	v_cmp_lt_i32_e64 s1, v9, v15
	v_lshlrev_b32_e32 v8, 2, v3
	s_delay_alu instid0(VALU_DEP_2) | instskip(SKIP_1) | instid1(SALU_CYCLE_1)
	v_cndmask_b32_e64 v9, v12, v9, s1
	s_sub_i32 s1, s21, s15
	s_lshl_b32 s1, s1, 3
	s_waitcnt lgkmcnt(0)
	ds_bpermute_b32 v3, v8, v1
	v_max_f32_e32 v1, v1, v1
	v_lshlrev_b32_e32 v18, 2, v9
	v_lshlrev_b32_e32 v9, 2, v12
	s_add_i32 s1, s1, s31
	s_delay_alu instid0(SALU_CYCLE_1) | instskip(NEXT) | instid1(VALU_DEP_1)
	s_min_i32 s1, s1, s30
	v_and_b32_e32 v9, 0xffffff80, v9
	s_sub_i32 s7, s1, s31
	s_delay_alu instid0(SALU_CYCLE_1) | instskip(SKIP_2) | instid1(VALU_DEP_1)
	v_cmp_gt_i32_e64 s1, s7, v0
	s_waitcnt lgkmcnt(0)
	v_max_f32_e32 v3, v3, v3
	v_max_f32_e32 v1, v1, v3
	ds_bpermute_b32 v3, v18, v1
	s_waitcnt lgkmcnt(0)
	v_max_f32_e32 v3, v3, v3
	s_delay_alu instid0(VALU_DEP_1)
	v_max_f32_e32 v1, v1, v3
	v_lshl_add_u32 v3, v0, 2, 0xa0
	ds_bpermute_b32 v1, v9, v1
	s_and_saveexec_b32 s15, s1
	s_cbranch_execz .LBB18_21
; %bb.18:
	v_lshl_add_u32 v12, v0, 2, 0xa0
	v_dual_mov_b32 v10, 0 :: v_dual_mov_b32 v15, v0
	s_mov_b32 s29, 0
	.p2align	6
.LBB18_19:                              ; =>This Inner Loop Header: Depth=1
	ds_load_b32 v19, v12
	v_add_nc_u32_e32 v15, 0x80, v15
	s_delay_alu instid0(VALU_DEP_1) | instskip(NEXT) | instid1(VALU_DEP_1)
	v_cmp_le_i32_e64 s4, s7, v15
	s_or_b32 s29, s4, s29
	s_waitcnt lgkmcnt(0)
	v_sub_f32_e32 v19, v19, v1
	s_delay_alu instid0(VALU_DEP_1) | instskip(NEXT) | instid1(VALU_DEP_1)
	v_mul_f32_e32 v19, 0x3fb8aa3b, v19
	v_exp_f32_e32 v19, v19
	ds_store_b32 v12, v19
	v_add_nc_u32_e32 v12, 0x200, v12
	v_add_f32_e32 v10, v10, v19
	s_and_not1_b32 exec_lo, exec_lo, s29
	s_cbranch_execnz .LBB18_19
; %bb.20:
	s_or_b32 exec_lo, exec_lo, s29
.LBB18_21:
	s_delay_alu instid0(SALU_CYCLE_1)
	s_or_b32 exec_lo, exec_lo, s15
	ds_bpermute_b32 v2, v2, v10
	s_waitcnt lgkmcnt(0)
	v_add_f32_e32 v2, v10, v2
	ds_bpermute_b32 v4, v4, v2
	s_waitcnt lgkmcnt(0)
	v_add_f32_e32 v2, v2, v4
	;; [unrolled: 3-line block ×5, first 2 shown]
	s_and_saveexec_b32 s4, vcc_lo
	s_cbranch_execz .LBB18_23
; %bb.22:
	ds_store_b32 v5, v2 offset:144
.LBB18_23:
	s_or_b32 exec_lo, exec_lo, s4
	s_waitcnt lgkmcnt(0)
	s_barrier
	buffer_gl0_inv
	s_and_saveexec_b32 s4, s0
	s_cbranch_execz .LBB18_25
; %bb.24:
	ds_load_b32 v2, v6 offset:144
.LBB18_25:
	s_or_b32 exec_lo, exec_lo, s4
	s_waitcnt lgkmcnt(0)
	ds_bpermute_b32 v4, v8, v2
	s_waitcnt lgkmcnt(0)
	v_add_f32_e32 v2, v2, v4
	ds_bpermute_b32 v4, v18, v2
	s_waitcnt lgkmcnt(0)
	v_add_f32_e32 v2, v2, v4
	ds_bpermute_b32 v2, v9, v2
	s_and_saveexec_b32 s0, s1
	s_cbranch_execz .LBB18_28
; %bb.26:
	s_waitcnt lgkmcnt(0)
	v_add_f32_e32 v4, 0x358637bd, v2
	s_mov_b32 s1, 0
	s_delay_alu instid0(VALU_DEP_1) | instskip(SKIP_1) | instid1(VALU_DEP_2)
	v_div_scale_f32 v5, null, v4, v4, 1.0
	v_div_scale_f32 v8, vcc_lo, 1.0, v4, 1.0
	v_rcp_f32_e32 v6, v5
	s_waitcnt_depctr 0xfff
	v_fma_f32 v7, -v5, v6, 1.0
	s_delay_alu instid0(VALU_DEP_1) | instskip(NEXT) | instid1(VALU_DEP_1)
	v_fmac_f32_e32 v6, v7, v6
	v_mul_f32_e32 v7, v8, v6
	s_delay_alu instid0(VALU_DEP_1) | instskip(NEXT) | instid1(VALU_DEP_1)
	v_fma_f32 v9, -v5, v7, v8
	v_fmac_f32_e32 v7, v9, v6
	s_delay_alu instid0(VALU_DEP_1) | instskip(NEXT) | instid1(VALU_DEP_1)
	v_fma_f32 v5, -v5, v7, v8
	v_div_fmas_f32 v5, v5, v6, v7
	s_delay_alu instid0(VALU_DEP_1)
	v_div_fixup_f32 v4, v5, v4, 1.0
	v_mov_b32_e32 v5, v0
.LBB18_27:                              ; =>This Inner Loop Header: Depth=1
	ds_load_b32 v6, v3
	s_waitcnt lgkmcnt(0)
	v_dual_mul_f32 v6, v4, v6 :: v_dual_add_nc_u32 v5, 0x80, v5
	s_delay_alu instid0(VALU_DEP_1) | instskip(SKIP_3) | instid1(SALU_CYCLE_1)
	v_cmp_le_i32_e32 vcc_lo, s7, v5
	ds_store_b32 v3, v6
	v_add_nc_u32_e32 v3, 0x200, v3
	s_or_b32 s1, vcc_lo, s1
	s_and_not1_b32 exec_lo, exec_lo, s1
	s_cbranch_execnz .LBB18_27
.LBB18_28:
	s_or_b32 exec_lo, exec_lo, s0
	s_mul_i32 s0, s17, s14
	s_waitcnt lgkmcnt(0)
	s_mul_i32 s14, s0, s13
	s_mov_b32 s0, exec_lo
	s_barrier
	buffer_gl0_inv
	v_cmpx_eq_u32_e32 0, v0
	s_cbranch_execz .LBB18_30
; %bb.29:
	s_ashr_i32 s15, s14, 31
	s_mul_i32 s36, s17, s20
	s_lshl_b64 s[34:35], s[14:15], 2
	v_mov_b32_e32 v3, 0
	s_add_u32 s1, s10, s34
	s_addc_u32 s4, s11, s35
	s_ashr_i32 s37, s36, 31
	s_delay_alu instid0(SALU_CYCLE_1) | instskip(NEXT) | instid1(SALU_CYCLE_1)
	s_lshl_b64 s[10:11], s[36:37], 2
	s_add_u32 s1, s1, s10
	s_addc_u32 s4, s4, s11
	s_ashr_i32 s13, s12, 31
	s_delay_alu instid0(SALU_CYCLE_1) | instskip(NEXT) | instid1(SALU_CYCLE_1)
	s_lshl_b64 s[36:37], s[12:13], 2
	s_add_u32 s38, s1, s36
	s_addc_u32 s39, s4, s37
	s_add_u32 s1, s8, s34
	s_addc_u32 s4, s9, s35
	;; [unrolled: 2-line block ×4, first 2 shown]
	s_clause 0x1
	global_store_b32 v3, v1, s[38:39]
	global_store_b32 v3, v2, s[8:9]
.LBB18_30:
	s_or_b32 exec_lo, exec_lo, s0
	v_dual_mov_b32 v21, 0 :: v_dual_mov_b32 v20, 0
	v_and_b32_e32 v19, 1, v0
	s_mov_b32 s4, 0
	s_and_saveexec_b32 s1, s3
	s_cbranch_execz .LBB18_38
; %bb.31:
	v_dual_mov_b32 v20, 0 :: v_dual_lshlrev_b32 v1, 4, v0
	s_ashr_i32 s7, s6, 31
	v_dual_mov_b32 v21, 0 :: v_dual_and_b32 v2, 4, v11
	s_delay_alu instid0(VALU_DEP_2)
	v_and_b32_e32 v1, 0x1f0, v1
	v_lshl_add_u32 v4, v16, 3, s31
	s_lshl_b64 s[6:7], s[6:7], 2
	v_lshlrev_b32_e32 v3, 4, v19
	s_add_u32 s0, s26, s6
	s_addc_u32 s3, s27, s7
	v_add_co_u32 v22, s0, s0, v1
	v_add3_u32 v24, v4, v2, 3
	v_lshlrev_b64 v[1:2], 2, v[13:14]
	s_lshl_b64 s[6:7], s[24:25], 2
	s_add_i32 s28, s28, -1
	v_lshl_or_b32 v3, v16, 5, v3
	v_add_co_ci_u32_e64 v23, null, s3, 0, s0
	s_add_u32 s0, s22, s6
	s_addc_u32 s3, s23, s7
	v_add_co_u32 v14, vcc_lo, s0, v1
	v_add_nc_u32_e32 v25, 0xa0, v3
	v_add_co_ci_u32_e32 v15, vcc_lo, s3, v2, vcc_lo
	s_mov_b32 s3, s5
	s_branch .LBB18_33
.LBB18_32:                              ;   in Loop: Header=BB18_33 Depth=1
	s_or_b32 exec_lo, exec_lo, s0
	s_waitcnt vmcnt(1) lgkmcnt(0)
	v_dual_mul_f32 v6, v2, v6 :: v_dual_add_nc_u32 v13, 4, v13
	s_waitcnt vmcnt(0)
	v_dual_mul_f32 v2, v2, v10 :: v_dual_add_nc_u32 v25, 0x80, v25
	v_add_co_u32 v14, s0, v14, 16
	s_delay_alu instid0(VALU_DEP_3) | instskip(NEXT) | instid1(VALU_DEP_3)
	v_fmac_f32_e32 v6, v1, v5
	v_fmac_f32_e32 v2, v1, v9
	v_cmp_le_i32_e32 vcc_lo, s21, v13
	v_add_nc_u32_e32 v24, 32, v24
	v_add_co_ci_u32_e64 v15, s0, 0, v15, s0
	v_fmac_f32_e32 v6, v3, v7
	s_or_b32 s4, vcc_lo, s4
	s_delay_alu instid0(VALU_DEP_1) | instskip(NEXT) | instid1(VALU_DEP_1)
	v_fmac_f32_e32 v6, v4, v8
	v_dual_fmac_f32 v2, v3, v11 :: v_dual_add_f32 v21, v21, v6
	s_delay_alu instid0(VALU_DEP_1) | instskip(NEXT) | instid1(VALU_DEP_1)
	v_fmac_f32_e32 v2, v4, v12
	v_add_f32_e32 v20, v20, v2
	s_and_not1_b32 exec_lo, exec_lo, s4
	s_cbranch_execz .LBB18_37
.LBB18_33:                              ; =>This Inner Loop Header: Depth=1
	global_load_b32 v3, v[14:15], off
	v_add_nc_u32_e32 v26, -3, v24
	v_add_nc_u32_e32 v28, -2, v24
	;; [unrolled: 1-line block ×3, first 2 shown]
	s_waitcnt vmcnt(0)
	v_mad_i64_i32 v[1:2], null, v3, s3, 0
	s_delay_alu instid0(VALU_DEP_1) | instskip(NEXT) | instid1(VALU_DEP_1)
	v_lshlrev_b64 v[1:2], 2, v[1:2]
	v_add_co_u32 v9, vcc_lo, v22, v1
	s_delay_alu instid0(VALU_DEP_2)
	v_add_co_ci_u32_e32 v10, vcc_lo, v23, v2, vcc_lo
	ds_load_b128 v[1:4], v25
	v_cmp_eq_u32_e32 vcc_lo, s28, v13
	global_load_b128 v[5:8], v[9:10], off
	s_and_saveexec_b32 s5, vcc_lo
	s_cbranch_execz .LBB18_35
; %bb.34:                               ;   in Loop: Header=BB18_33 Depth=1
	v_cmp_gt_i32_e64 s0, s30, v26
	s_waitcnt vmcnt(0)
	s_delay_alu instid0(VALU_DEP_1) | instskip(SKIP_1) | instid1(VALU_DEP_1)
	v_cndmask_b32_e64 v5, 0, v5, s0
	v_cmp_gt_i32_e64 s0, s30, v28
	v_cndmask_b32_e64 v6, 0, v6, s0
	v_cmp_gt_i32_e64 s0, s30, v27
	s_delay_alu instid0(VALU_DEP_1) | instskip(SKIP_1) | instid1(VALU_DEP_1)
	v_cndmask_b32_e64 v7, 0, v7, s0
	v_cmp_gt_i32_e64 s0, s30, v24
	v_cndmask_b32_e64 v8, 0, v8, s0
.LBB18_35:                              ;   in Loop: Header=BB18_33 Depth=1
	s_or_b32 exec_lo, exec_lo, s5
	global_load_b128 v[9:12], v[9:10], off offset:512
	s_and_saveexec_b32 s0, vcc_lo
	s_cbranch_execz .LBB18_32
; %bb.36:                               ;   in Loop: Header=BB18_33 Depth=1
	v_cmp_gt_i32_e32 vcc_lo, s30, v26
	s_waitcnt vmcnt(0)
	v_cndmask_b32_e32 v9, 0, v9, vcc_lo
	v_cmp_gt_i32_e32 vcc_lo, s30, v28
	v_cndmask_b32_e32 v10, 0, v10, vcc_lo
	v_cmp_gt_i32_e32 vcc_lo, s30, v27
	;; [unrolled: 2-line block ×3, first 2 shown]
	v_cndmask_b32_e32 v12, 0, v12, vcc_lo
	s_branch .LBB18_32
.LBB18_37:
	s_or_b32 exec_lo, exec_lo, s4
.LBB18_38:
	s_delay_alu instid0(SALU_CYCLE_1)
	s_or_b32 exec_lo, exec_lo, s1
	ds_bpermute_b32 v1, v18, v21
	ds_bpermute_b32 v2, v18, v20
	v_and_b32_e32 v4, 0x3c1, v0
	v_lshrrev_b32_e32 v3, 1, v17
	s_mov_b32 s0, exec_lo
	s_waitcnt lgkmcnt(0)
	s_waitcnt_vscnt null, 0x0
	s_barrier
	buffer_gl0_inv
	v_dual_add_f32 v1, v21, v1 :: v_dual_add_f32 v2, v20, v2
	v_cmpx_eq_u32_e32 64, v4
	s_cbranch_execz .LBB18_40
; %bb.39:
	v_lshl_add_u32 v4, v16, 7, 0xa0
	v_lshlrev_b32_e32 v5, 2, v3
	s_delay_alu instid0(VALU_DEP_1)
	v_add3_u32 v4, v4, v5, 0xffffff00
	ds_store_2addr_b32 v4, v1, v2 offset1:16
.LBB18_40:
	s_or_b32 exec_lo, exec_lo, s0
	v_and_b32_e32 v4, 0x3e0, v0
	v_cmp_eq_u32_e32 vcc_lo, 0, v19
	s_mov_b32 s1, exec_lo
	s_waitcnt lgkmcnt(0)
	s_barrier
	v_lshl_add_u32 v4, v4, 2, 0xa0
	buffer_gl0_inv
	v_cmpx_gt_u32_e32 64, v0
	s_cbranch_execz .LBB18_46
; %bb.41:
	s_and_saveexec_b32 s0, vcc_lo
	s_cbranch_execz .LBB18_43
; %bb.42:
	v_lshl_add_u32 v5, v3, 2, v4
	ds_load_b32 v5, v5
	s_waitcnt lgkmcnt(0)
	v_add_f32_e32 v1, v1, v5
.LBB18_43:
	s_or_b32 exec_lo, exec_lo, s0
	s_and_saveexec_b32 s0, vcc_lo
	s_cbranch_execz .LBB18_45
; %bb.44:
	v_lshl_add_u32 v5, v3, 2, v4
	ds_load_b32 v5, v5 offset:64
	s_waitcnt lgkmcnt(0)
	v_add_f32_e32 v2, v2, v5
.LBB18_45:
	s_or_b32 exec_lo, exec_lo, s0
.LBB18_46:
	s_delay_alu instid0(SALU_CYCLE_1)
	s_or_b32 exec_lo, exec_lo, s1
	v_and_b32_e32 v5, 0x3e1, v0
	s_mov_b32 s1, exec_lo
	s_barrier
	buffer_gl0_inv
	v_cmpx_eq_u32_e32 32, v5
	s_cbranch_execz .LBB18_48
; %bb.47:
	v_lshl_add_u32 v6, v3, 2, 0xa0
	ds_store_2addr_b32 v6, v1, v2 offset1:16
.LBB18_48:
	s_or_b32 exec_lo, exec_lo, s1
	s_waitcnt lgkmcnt(0)
	s_barrier
	buffer_gl0_inv
	s_and_saveexec_b32 s0, s2
	s_cbranch_execz .LBB18_54
; %bb.49:
	v_lshl_add_u32 v3, v3, 2, v4
	s_and_saveexec_b32 s1, vcc_lo
	s_cbranch_execz .LBB18_51
; %bb.50:
	ds_load_b32 v4, v3
	s_waitcnt lgkmcnt(0)
	v_add_f32_e32 v1, v1, v4
.LBB18_51:
	s_or_b32 exec_lo, exec_lo, s1
	s_and_saveexec_b32 s1, vcc_lo
	s_cbranch_execz .LBB18_53
; %bb.52:
	ds_load_b32 v3, v3 offset:64
	s_waitcnt lgkmcnt(0)
	v_add_f32_e32 v2, v2, v3
.LBB18_53:
	s_or_b32 exec_lo, exec_lo, s1
.LBB18_54:
	s_delay_alu instid0(SALU_CYCLE_1)
	s_or_b32 exec_lo, exec_lo, s0
	s_barrier
	buffer_gl0_inv
	s_mov_b32 s0, exec_lo
	v_cmpx_eq_u32_e32 0, v5
	s_cbranch_execz .LBB18_56
; %bb.55:
	s_lshl_b32 s0, s14, 5
	s_mul_i32 s2, s17, s16
	s_ashr_i32 s1, s0, 31
	v_lshlrev_b32_e32 v0, 1, v0
	s_lshl_b64 s[0:1], s[0:1], 2
	s_delay_alu instid0(SALU_CYCLE_1) | instskip(SKIP_2) | instid1(SALU_CYCLE_1)
	s_add_u32 s4, s18, s0
	s_addc_u32 s5, s19, s1
	s_ashr_i32 s3, s2, 31
	s_lshl_b64 s[0:1], s[2:3], 2
	s_delay_alu instid0(SALU_CYCLE_1) | instskip(SKIP_2) | instid1(SALU_CYCLE_1)
	s_add_u32 s2, s4, s0
	s_addc_u32 s3, s5, s1
	s_lshl_b32 s0, s12, 5
	s_ashr_i32 s1, s0, 31
	s_delay_alu instid0(SALU_CYCLE_1) | instskip(NEXT) | instid1(SALU_CYCLE_1)
	s_lshl_b64 s[0:1], s[0:1], 2
	s_add_u32 s0, s2, s0
	s_addc_u32 s1, s3, s1
	s_clause 0x1
	global_store_b32 v0, v1, s[0:1]
	global_store_b32 v0, v2, s[0:1] offset:64
.LBB18_56:
	s_nop 0
	s_sendmsg sendmsg(MSG_DEALLOC_VGPRS)
	s_endpgm
	.section	.rodata,"a",@progbits
	.p2align	6, 0x0
	.amdhsa_kernel _ZN4vllm25paged_attention_v2_kernelIffLi32ELi8ELi128ELNS_18Fp8KVCacheDataTypeE0ELb0ELi512EEEvPfS2_PT_PKS3_PKT0_S9_ifPKiSB_iPKfiiiSD_SD_iiiii
		.amdhsa_group_segment_fixed_size 160
		.amdhsa_private_segment_fixed_size 0
		.amdhsa_kernarg_size 400
		.amdhsa_user_sgpr_count 13
		.amdhsa_user_sgpr_dispatch_ptr 0
		.amdhsa_user_sgpr_queue_ptr 0
		.amdhsa_user_sgpr_kernarg_segment_ptr 1
		.amdhsa_user_sgpr_dispatch_id 0
		.amdhsa_user_sgpr_private_segment_size 0
		.amdhsa_wavefront_size32 1
		.amdhsa_uses_dynamic_stack 0
		.amdhsa_enable_private_segment 0
		.amdhsa_system_sgpr_workgroup_id_x 1
		.amdhsa_system_sgpr_workgroup_id_y 1
		.amdhsa_system_sgpr_workgroup_id_z 1
		.amdhsa_system_sgpr_workgroup_info 0
		.amdhsa_system_vgpr_workitem_id 0
		.amdhsa_next_free_vgpr 34
		.amdhsa_next_free_sgpr 40
		.amdhsa_reserve_vcc 1
		.amdhsa_float_round_mode_32 0
		.amdhsa_float_round_mode_16_64 0
		.amdhsa_float_denorm_mode_32 3
		.amdhsa_float_denorm_mode_16_64 3
		.amdhsa_dx10_clamp 1
		.amdhsa_ieee_mode 1
		.amdhsa_fp16_overflow 0
		.amdhsa_workgroup_processor_mode 1
		.amdhsa_memory_ordered 1
		.amdhsa_forward_progress 0
		.amdhsa_shared_vgpr_count 0
		.amdhsa_exception_fp_ieee_invalid_op 0
		.amdhsa_exception_fp_denorm_src 0
		.amdhsa_exception_fp_ieee_div_zero 0
		.amdhsa_exception_fp_ieee_overflow 0
		.amdhsa_exception_fp_ieee_underflow 0
		.amdhsa_exception_fp_ieee_inexact 0
		.amdhsa_exception_int_div_zero 0
	.end_amdhsa_kernel
	.section	.text._ZN4vllm25paged_attention_v2_kernelIffLi32ELi8ELi128ELNS_18Fp8KVCacheDataTypeE0ELb0ELi512EEEvPfS2_PT_PKS3_PKT0_S9_ifPKiSB_iPKfiiiSD_SD_iiiii,"axG",@progbits,_ZN4vllm25paged_attention_v2_kernelIffLi32ELi8ELi128ELNS_18Fp8KVCacheDataTypeE0ELb0ELi512EEEvPfS2_PT_PKS3_PKT0_S9_ifPKiSB_iPKfiiiSD_SD_iiiii,comdat
.Lfunc_end18:
	.size	_ZN4vllm25paged_attention_v2_kernelIffLi32ELi8ELi128ELNS_18Fp8KVCacheDataTypeE0ELb0ELi512EEEvPfS2_PT_PKS3_PKT0_S9_ifPKiSB_iPKfiiiSD_SD_iiiii, .Lfunc_end18-_ZN4vllm25paged_attention_v2_kernelIffLi32ELi8ELi128ELNS_18Fp8KVCacheDataTypeE0ELb0ELi512EEEvPfS2_PT_PKS3_PKT0_S9_ifPKiSB_iPKfiiiSD_SD_iiiii
                                        ; -- End function
	.section	.AMDGPU.csdata,"",@progbits
; Kernel info:
; codeLenInByte = 3464
; NumSgprs: 42
; NumVgprs: 34
; ScratchSize: 0
; MemoryBound: 0
; FloatMode: 240
; IeeeMode: 1
; LDSByteSize: 160 bytes/workgroup (compile time only)
; SGPRBlocks: 5
; VGPRBlocks: 4
; NumSGPRsForWavesPerEU: 42
; NumVGPRsForWavesPerEU: 34
; Occupancy: 16
; WaveLimiterHint : 1
; COMPUTE_PGM_RSRC2:SCRATCH_EN: 0
; COMPUTE_PGM_RSRC2:USER_SGPR: 13
; COMPUTE_PGM_RSRC2:TRAP_HANDLER: 0
; COMPUTE_PGM_RSRC2:TGID_X_EN: 1
; COMPUTE_PGM_RSRC2:TGID_Y_EN: 1
; COMPUTE_PGM_RSRC2:TGID_Z_EN: 1
; COMPUTE_PGM_RSRC2:TIDIG_COMP_CNT: 0
	.section	.text._ZN4vllm25paged_attention_v2_kernelIffLi64ELi8ELi128ELNS_18Fp8KVCacheDataTypeE0ELb0ELi512EEEvPfS2_PT_PKS3_PKT0_S9_ifPKiSB_iPKfiiiSD_SD_iiiii,"axG",@progbits,_ZN4vllm25paged_attention_v2_kernelIffLi64ELi8ELi128ELNS_18Fp8KVCacheDataTypeE0ELb0ELi512EEEvPfS2_PT_PKS3_PKT0_S9_ifPKiSB_iPKfiiiSD_SD_iiiii,comdat
	.protected	_ZN4vllm25paged_attention_v2_kernelIffLi64ELi8ELi128ELNS_18Fp8KVCacheDataTypeE0ELb0ELi512EEEvPfS2_PT_PKS3_PKT0_S9_ifPKiSB_iPKfiiiSD_SD_iiiii ; -- Begin function _ZN4vllm25paged_attention_v2_kernelIffLi64ELi8ELi128ELNS_18Fp8KVCacheDataTypeE0ELb0ELi512EEEvPfS2_PT_PKS3_PKT0_S9_ifPKiSB_iPKfiiiSD_SD_iiiii
	.globl	_ZN4vllm25paged_attention_v2_kernelIffLi64ELi8ELi128ELNS_18Fp8KVCacheDataTypeE0ELb0ELi512EEEvPfS2_PT_PKS3_PKT0_S9_ifPKiSB_iPKfiiiSD_SD_iiiii
	.p2align	8
	.type	_ZN4vllm25paged_attention_v2_kernelIffLi64ELi8ELi128ELNS_18Fp8KVCacheDataTypeE0ELb0ELi512EEEvPfS2_PT_PKS3_PKT0_S9_ifPKiSB_iPKfiiiSD_SD_iiiii,@function
_ZN4vllm25paged_attention_v2_kernelIffLi64ELi8ELi128ELNS_18Fp8KVCacheDataTypeE0ELb0ELi512EEEvPfS2_PT_PKS3_PKT0_S9_ifPKiSB_iPKfiiiSD_SD_iiiii: ; @_ZN4vllm25paged_attention_v2_kernelIffLi64ELi8ELi128ELNS_18Fp8KVCacheDataTypeE0ELb0ELi512EEEvPfS2_PT_PKS3_PKT0_S9_ifPKiSB_iPKfiiiSD_SD_iiiii
; %bb.0:
	s_load_b64 s[2:3], s[0:1], 0x40
	s_mov_b32 s20, s15
	s_ashr_i32 s15, s14, 31
	s_delay_alu instid0(SALU_CYCLE_1)
	s_lshl_b64 s[4:5], s[14:15], 2
	s_waitcnt lgkmcnt(0)
	s_add_u32 s2, s2, s4
	s_addc_u32 s3, s3, s5
	s_lshl_b32 s33, s20, 9
	s_load_b32 s15, s[2:3], 0x0
	s_waitcnt lgkmcnt(0)
	s_cmp_ge_i32 s33, s15
	s_cbranch_scc1 .LBB19_62
; %bb.1:
	s_clause 0x1
	s_load_b32 s21, s[0:1], 0x90
	s_load_b64 s[16:17], s[0:1], 0x30
	s_mov_b32 s22, s13
	s_mov_b32 s35, 0
	s_waitcnt lgkmcnt(0)
	s_abs_i32 s5, s21
	s_abs_i32 s2, s16
	s_delay_alu instid0(SALU_CYCLE_1) | instskip(SKIP_1) | instid1(VALU_DEP_1)
	v_cvt_f32_u32_e32 v1, s2
	s_sub_i32 s4, 0, s2
	v_rcp_iflag_f32_e32 v1, v1
	s_waitcnt_depctr 0xfff
	v_mul_f32_e32 v1, 0x4f7ffffe, v1
	s_delay_alu instid0(VALU_DEP_1) | instskip(NEXT) | instid1(VALU_DEP_1)
	v_cvt_u32_f32_e32 v1, v1
	v_readfirstlane_b32 s3, v1
	s_delay_alu instid0(VALU_DEP_1) | instskip(NEXT) | instid1(SALU_CYCLE_1)
	s_mul_i32 s4, s4, s3
	s_mul_hi_u32 s4, s3, s4
	s_delay_alu instid0(SALU_CYCLE_1) | instskip(SKIP_4) | instid1(SALU_CYCLE_1)
	s_add_i32 s3, s3, s4
	s_xor_b32 s4, s21, s16
	s_mul_hi_u32 s3, s5, s3
	s_ashr_i32 s4, s4, 31
	s_mul_i32 s6, s3, s2
	s_sub_i32 s5, s5, s6
	s_add_i32 s6, s3, 1
	s_sub_i32 s7, s5, s2
	s_cmp_ge_u32 s5, s2
	s_cselect_b32 s3, s6, s3
	s_cselect_b32 s5, s7, s5
	s_add_i32 s6, s3, 1
	s_cmp_ge_u32 s5, s2
	s_cselect_b32 s2, s6, s3
	s_abs_i32 s10, s13
	s_xor_b32 s2, s2, s4
	s_delay_alu instid0(SALU_CYCLE_1) | instskip(SKIP_2) | instid1(SALU_CYCLE_1)
	s_sub_i32 s11, s2, s4
	s_load_b64 s[2:3], s[0:1], 0x50
	s_abs_i32 s8, s11
	v_cvt_f32_u32_e32 v1, s8
	s_sub_i32 s5, 0, s8
	s_delay_alu instid0(VALU_DEP_1) | instskip(SKIP_2) | instid1(VALU_DEP_1)
	v_rcp_iflag_f32_e32 v1, v1
	s_waitcnt_depctr 0xfff
	v_mul_f32_e32 v1, 0x4f7ffffe, v1
	v_cvt_u32_f32_e32 v1, v1
	s_delay_alu instid0(VALU_DEP_1) | instskip(NEXT) | instid1(VALU_DEP_1)
	v_readfirstlane_b32 s4, v1
	s_mul_i32 s5, s5, s4
	s_delay_alu instid0(SALU_CYCLE_1) | instskip(NEXT) | instid1(SALU_CYCLE_1)
	s_mul_hi_u32 s5, s4, s5
	s_add_i32 s4, s4, s5
	s_waitcnt lgkmcnt(0)
	s_cmp_eq_u64 s[2:3], 0
	s_mul_hi_u32 s9, s10, s4
	s_cbranch_scc1 .LBB19_3
; %bb.2:
	s_ashr_i32 s23, s22, 31
	s_delay_alu instid0(SALU_CYCLE_1) | instskip(NEXT) | instid1(SALU_CYCLE_1)
	s_lshl_b64 s[4:5], s[22:23], 2
	s_add_u32 s2, s2, s4
	s_addc_u32 s3, s3, s5
	s_load_b32 s35, s[2:3], 0x0
.LBB19_3:
	s_load_b128 s[4:7], s[0:1], 0x58
	v_and_b32_e32 v17, 3, v0
	v_cmp_gt_u32_e64 s2, 64, v0
	v_lshlrev_b32_e32 v19, 2, v0
	s_ashr_i32 s3, s22, 31
	s_waitcnt lgkmcnt(0)
	s_ashr_i32 s7, s11, 31
	s_lshl_b32 s12, s22, 6
	s_and_saveexec_b32 s11, s2
	s_cbranch_execz .LBB19_5
; %bb.4:
	s_load_b64 s[18:19], s[0:1], 0x18
	s_mul_i32 s24, s14, s4
	v_and_b32_e32 v2, 0x3fc, v0
	s_ashr_i32 s25, s24, 31
	s_delay_alu instid0(SALU_CYCLE_1) | instskip(NEXT) | instid1(VALU_DEP_1)
	s_lshl_b64 s[24:25], s[24:25], 2
	v_lshl_add_u32 v2, v17, 6, v2
	s_waitcnt lgkmcnt(0)
	s_add_u32 s4, s18, s24
	s_addc_u32 s16, s19, s25
	s_ashr_i32 s13, s12, 31
	s_delay_alu instid0(SALU_CYCLE_1) | instskip(NEXT) | instid1(SALU_CYCLE_1)
	s_lshl_b64 s[18:19], s[12:13], 2
	s_add_u32 s18, s4, s18
	s_addc_u32 s19, s16, s19
	global_load_b32 v1, v19, s[18:19]
	s_waitcnt vmcnt(0)
	ds_store_b32 v2, v1
.LBB19_5:
	s_or_b32 exec_lo, exec_lo, s11
	s_add_i32 s4, s15, 7
	s_lshl_b32 s16, s20, 6
	s_ashr_i32 s11, s4, 31
	s_xor_b32 s3, s3, s7
	s_lshr_b32 s11, s11, 29
	s_add_i32 s7, s16, 64
	s_add_i32 s4, s4, s11
	v_lshrrev_b32_e32 v24, 5, v0
	s_ashr_i32 s34, s4, 3
	s_mul_i32 s4, s9, s8
	s_min_i32 s23, s7, s34
	s_clause 0x1
	s_load_b64 s[24:25], s[0:1], 0x38
	s_load_b32 s7, s[0:1], 0x48
	s_sub_i32 s4, s10, s4
	s_add_i32 s10, s9, 1
	s_sub_i32 s11, s4, s8
	s_cmp_ge_u32 s4, s8
	v_or_b32_e32 v21, s16, v24
	s_cselect_b32 s9, s10, s9
	s_cselect_b32 s4, s11, s4
	s_add_i32 s10, s9, 1
	s_cmp_ge_u32 s4, s8
	v_mbcnt_lo_u32_b32 v20, -1, 0
	s_cselect_b32 s4, s10, s9
	s_waitcnt lgkmcnt(0)
	s_xor_b32 s4, s4, s3
	s_barrier
	s_sub_i32 s4, s4, s3
	v_cmp_gt_i32_e64 s3, s23, v21
	buffer_gl0_inv
                                        ; implicit-def: $sgpr30
                                        ; implicit-def: $vgpr23
	s_mul_i32 s26, s14, s7
	s_mov_b32 s7, exec_lo
	s_ashr_i32 s27, s26, 31
	v_cmpx_le_i32_e64 s23, v21
	s_xor_b32 s7, exec_lo, s7
; %bb.6:
	v_mbcnt_lo_u32_b32 v20, -1, 0
	v_mov_b32_e32 v23, 32
	s_mov_b32 s30, 0xff7fffff
                                        ; implicit-def: $vgpr17
; %bb.7:
	s_or_saveexec_b32 s7, s7
	s_clause 0x3
	s_load_b128 s[8:11], s[0:1], 0x0
	s_load_b64 s[18:19], s[0:1], 0x10
	s_load_b64 s[28:29], s[0:1], 0x28
	s_load_b32 s13, s[0:1], 0x98
	v_mov_b32_e32 v25, s30
	v_ashrrev_i32_e32 v22, 31, v21
	s_mul_i32 s30, s4, s6
	s_xor_b32 exec_lo, exec_lo, s7
	s_cbranch_execz .LBB19_13
; %bb.8:
	s_load_b64 s[0:1], s[0:1], 0x20
	v_xor_b32_e32 v26, 2, v20
	v_bfe_u32 v18, v0, 2, 3
	v_xor_b32_e32 v27, 1, v20
	s_ashr_i32 s31, s30, 31
	v_lshlrev_b32_e32 v13, 6, v17
	v_cmp_gt_i32_e32 vcc_lo, 32, v26
	s_lshl_b64 s[36:37], s[30:31], 2
	v_dual_mov_b32 v32, v21 :: v_dual_lshlrev_b32 v25, 2, v17
	ds_load_b128 v[1:4], v13
	ds_load_b128 v[5:8], v13 offset:16
	ds_load_b128 v[9:12], v13 offset:32
	;; [unrolled: 1-line block ×3, first 2 shown]
	v_cndmask_b32_e32 v29, v20, v26, vcc_lo
	v_cmp_gt_i32_e32 vcc_lo, 32, v27
	v_dual_mov_b32 v23, 32 :: v_dual_lshlrev_b32 v28, 4, v18
	v_lshlrev_b32_e32 v30, 2, v18
	s_mov_b32 s31, 0
	v_cndmask_b32_e32 v31, v20, v27, vcc_lo
	s_waitcnt lgkmcnt(0)
	s_add_u32 s0, s0, s36
	s_addc_u32 s1, s1, s37
	v_add_co_u32 v26, s0, s0, v28
	s_delay_alu instid0(VALU_DEP_1) | instskip(SKIP_1) | instid1(VALU_DEP_2)
	v_add_co_ci_u32_e64 v28, null, s1, 0, s0
	s_lshl_b64 s[36:37], s[26:27], 2
	v_add_co_u32 v26, vcc_lo, v26, v25
	v_lshlrev_b32_e32 v25, 3, v24
	s_delay_alu instid0(VALU_DEP_3)
	v_add_co_ci_u32_e32 v27, vcc_lo, 0, v28, vcc_lo
	v_lshlrev_b32_e32 v28, 2, v29
	v_lshlrev_b32_e32 v29, 2, v31
	v_cmp_eq_u32_e32 vcc_lo, 0, v17
	v_lshl_or_b32 v31, v24, 5, v30
	v_add3_u32 v30, s33, v25, v18
	v_mov_b32_e32 v25, 0xff7fffff
	v_lshlrev_b64 v[17:18], 2, v[21:22]
	s_sub_i32 s6, 1, s15
	s_add_u32 s1, s24, s36
	s_addc_u32 s4, s25, s37
	v_cmp_neq_f32_e64 s0, s35, 0
	v_add_nc_u32_e32 v31, 0x120, v31
	v_add_co_u32 v17, s1, s1, v17
	s_delay_alu instid0(VALU_DEP_1)
	v_add_co_ci_u32_e64 v18, s1, s4, v18, s1
	s_mov_b32 s36, s5
	s_branch .LBB19_10
.LBB19_9:                               ;   in Loop: Header=BB19_10 Depth=1
	s_or_b32 exec_lo, exec_lo, s4
	v_add_nc_u32_e32 v32, 4, v32
	v_add_co_u32 v17, s4, v17, 16
	v_add_nc_u32_e32 v30, 32, v30
	v_add_nc_u32_e32 v31, 0x80, v31
	s_delay_alu instid0(VALU_DEP_4) | instskip(SKIP_1) | instid1(VALU_DEP_2)
	v_cmp_le_i32_e64 s1, s23, v32
	v_add_co_ci_u32_e64 v18, s4, 0, v18, s4
	s_or_b32 s31, s1, s31
	s_delay_alu instid0(SALU_CYCLE_1)
	s_and_not1_b32 exec_lo, exec_lo, s31
	s_cbranch_execz .LBB19_12
.LBB19_10:                              ; =>This Inner Loop Header: Depth=1
	global_load_b32 v35, v[17:18], off
	s_waitcnt vmcnt(0) lgkmcnt(0)
	v_mad_i64_i32 v[33:34], null, v35, s36, 0
	s_delay_alu instid0(VALU_DEP_1) | instskip(NEXT) | instid1(VALU_DEP_1)
	v_lshlrev_b64 v[33:34], 2, v[33:34]
	v_add_co_u32 v33, s1, v26, v33
	s_delay_alu instid0(VALU_DEP_1)
	v_add_co_ci_u32_e64 v34, s1, v27, v34, s1
	s_clause 0xf
	global_load_b32 v35, v[33:34], off offset:128
	global_load_b32 v36, v[33:34], off
	global_load_b32 v37, v[33:34], off offset:256
	global_load_b32 v38, v[33:34], off offset:384
	;; [unrolled: 1-line block ×14, first 2 shown]
	s_waitcnt vmcnt(15)
	v_mul_f32_e32 v34, v2, v35
	s_waitcnt vmcnt(14)
	s_delay_alu instid0(VALU_DEP_1) | instskip(SKIP_1) | instid1(VALU_DEP_1)
	v_fmac_f32_e32 v34, v1, v36
	s_waitcnt vmcnt(13)
	v_fmac_f32_e32 v34, v3, v37
	s_waitcnt vmcnt(12)
	s_delay_alu instid0(VALU_DEP_1) | instskip(SKIP_1) | instid1(VALU_DEP_1)
	v_fmac_f32_e32 v34, v4, v38
	s_waitcnt vmcnt(11)
	v_fmac_f32_e32 v34, v5, v39
	;; [unrolled: 5-line block ×7, first 2 shown]
	s_waitcnt vmcnt(0)
	s_delay_alu instid0(VALU_DEP_1)
	v_fmac_f32_e32 v34, v16, v33
	ds_bpermute_b32 v33, v28, v34
	s_waitcnt lgkmcnt(0)
	v_add_f32_e32 v33, v34, v33
	ds_bpermute_b32 v34, v29, v33
	s_and_saveexec_b32 s4, vcc_lo
	s_cbranch_execz .LBB19_9
; %bb.11:                               ;   in Loop: Header=BB19_10 Depth=1
	s_waitcnt lgkmcnt(0)
	v_add_f32_e32 v33, v33, v34
	v_add_nc_u32_e32 v35, s6, v30
	v_cmp_gt_i32_e64 s1, s15, v30
	s_delay_alu instid0(VALU_DEP_2) | instskip(NEXT) | instid1(VALU_DEP_1)
	v_cvt_f32_i32_e32 v35, v35
	v_mul_f32_e32 v35, s35, v35
	s_delay_alu instid0(VALU_DEP_1) | instskip(SKIP_1) | instid1(VALU_DEP_2)
	v_cndmask_b32_e64 v34, 0, v35, s0
	v_max_f32_e32 v35, v25, v25
	v_fmac_f32_e32 v34, s17, v33
	s_delay_alu instid0(VALU_DEP_1) | instskip(SKIP_1) | instid1(VALU_DEP_2)
	v_max_f32_e32 v33, v35, v34
	v_cndmask_b32_e64 v34, 0, v34, s1
	v_cndmask_b32_e64 v25, v25, v33, s1
	ds_store_b32 v31, v34
	s_branch .LBB19_9
.LBB19_12:
	s_or_b32 exec_lo, exec_lo, s31
.LBB19_13:
	s_delay_alu instid0(SALU_CYCLE_1) | instskip(SKIP_3) | instid1(VALU_DEP_3)
	s_or_b32 exec_lo, exec_lo, s7
	v_xor_b32_e32 v1, 16, v20
	v_xor_b32_e32 v3, 8, v20
	v_max_f32_e32 v5, v25, v25
	v_cmp_lt_i32_e32 vcc_lo, v1, v23
	v_cndmask_b32_e32 v1, v20, v1, vcc_lo
	s_delay_alu instid0(VALU_DEP_4) | instskip(SKIP_1) | instid1(VALU_DEP_1)
	v_cmp_lt_i32_e32 vcc_lo, v3, v23
	v_cndmask_b32_e32 v3, v20, v3, vcc_lo
	v_lshlrev_b32_e32 v4, 2, v3
	s_delay_alu instid0(VALU_DEP_4) | instskip(SKIP_4) | instid1(VALU_DEP_1)
	v_lshlrev_b32_e32 v2, 2, v1
	ds_bpermute_b32 v1, v2, v25
	v_and_b32_e32 v25, 31, v0
	s_waitcnt lgkmcnt(0)
	v_max_f32_e32 v1, v1, v1
	v_max_f32_e32 v1, v5, v1
	v_xor_b32_e32 v5, 4, v20
	ds_bpermute_b32 v3, v4, v1
	v_cmp_lt_i32_e32 vcc_lo, v5, v23
	v_cndmask_b32_e32 v5, v20, v5, vcc_lo
	v_cmp_eq_u32_e32 vcc_lo, 0, v25
	s_delay_alu instid0(VALU_DEP_2) | instskip(SKIP_3) | instid1(VALU_DEP_1)
	v_lshlrev_b32_e32 v7, 2, v5
	v_lshlrev_b32_e32 v5, 2, v24
	s_waitcnt lgkmcnt(0)
	v_max_f32_e32 v3, v3, v3
	v_max_f32_e32 v1, v1, v3
	ds_bpermute_b32 v3, v7, v1
	s_and_saveexec_b32 s0, vcc_lo
	s_cbranch_execz .LBB19_15
; %bb.14:
	s_waitcnt lgkmcnt(0)
	v_max_f32_e32 v3, v3, v3
	v_max_f32_e32 v1, v1, v1
	s_delay_alu instid0(VALU_DEP_1)
	v_max_f32_e32 v1, v1, v3
	ds_store_b32 v5, v1 offset:256
.LBB19_15:
	s_or_b32 exec_lo, exec_lo, s0
	v_cmp_gt_u32_e64 s0, 4, v25
	v_dual_mov_b32 v1, 0xff7fffff :: v_dual_lshlrev_b32 v6, 2, v25
	s_waitcnt lgkmcnt(0)
	s_barrier
	buffer_gl0_inv
	s_and_saveexec_b32 s1, s0
	s_cbranch_execz .LBB19_17
; %bb.16:
	ds_load_b32 v1, v6 offset:256
.LBB19_17:
	s_or_b32 exec_lo, exec_lo, s1
	v_xor_b32_e32 v3, 2, v20
	v_xor_b32_e32 v9, 1, v20
	v_mov_b32_e32 v10, 0
	s_delay_alu instid0(VALU_DEP_3) | instskip(NEXT) | instid1(VALU_DEP_1)
	v_cmp_lt_i32_e64 s1, v3, v23
	v_cndmask_b32_e64 v3, v20, v3, s1
	s_delay_alu instid0(VALU_DEP_4) | instskip(NEXT) | instid1(VALU_DEP_2)
	v_cmp_lt_i32_e64 s1, v9, v23
	v_lshlrev_b32_e32 v8, 2, v3
	s_delay_alu instid0(VALU_DEP_2) | instskip(SKIP_1) | instid1(SALU_CYCLE_1)
	v_cndmask_b32_e64 v9, v20, v9, s1
	s_sub_i32 s1, s23, s16
	s_lshl_b32 s1, s1, 3
	s_waitcnt lgkmcnt(0)
	ds_bpermute_b32 v3, v8, v1
	v_max_f32_e32 v1, v1, v1
	v_lshlrev_b32_e32 v26, 2, v9
	v_lshlrev_b32_e32 v9, 2, v20
	s_add_i32 s1, s1, s33
	s_delay_alu instid0(SALU_CYCLE_1) | instskip(NEXT) | instid1(VALU_DEP_1)
	s_min_i32 s1, s1, s15
	v_and_b32_e32 v9, 0xffffff80, v9
	s_sub_i32 s6, s1, s33
	s_delay_alu instid0(SALU_CYCLE_1) | instskip(SKIP_2) | instid1(VALU_DEP_1)
	v_cmp_gt_i32_e64 s1, s6, v0
	s_waitcnt lgkmcnt(0)
	v_max_f32_e32 v3, v3, v3
	v_max_f32_e32 v1, v1, v3
	ds_bpermute_b32 v3, v26, v1
	s_waitcnt lgkmcnt(0)
	v_max_f32_e32 v3, v3, v3
	s_delay_alu instid0(VALU_DEP_1)
	v_max_f32_e32 v1, v1, v3
	v_lshl_add_u32 v3, v0, 2, 0x120
	ds_bpermute_b32 v1, v9, v1
	s_and_saveexec_b32 s7, s1
	s_cbranch_execz .LBB19_21
; %bb.18:
	v_lshl_add_u32 v11, v0, 2, 0x120
	v_mov_b32_e32 v10, 0
	v_mov_b32_e32 v12, v0
	s_mov_b32 s17, 0
	.p2align	6
.LBB19_19:                              ; =>This Inner Loop Header: Depth=1
	ds_load_b32 v13, v11
	v_add_nc_u32_e32 v12, 0x80, v12
	s_delay_alu instid0(VALU_DEP_1) | instskip(NEXT) | instid1(VALU_DEP_1)
	v_cmp_le_i32_e64 s4, s6, v12
	s_or_b32 s17, s4, s17
	s_waitcnt lgkmcnt(0)
	v_sub_f32_e32 v13, v13, v1
	s_delay_alu instid0(VALU_DEP_1) | instskip(NEXT) | instid1(VALU_DEP_1)
	v_mul_f32_e32 v13, 0x3fb8aa3b, v13
	v_exp_f32_e32 v13, v13
	ds_store_b32 v11, v13
	v_dual_add_f32 v10, v10, v13 :: v_dual_add_nc_u32 v11, 0x200, v11
	s_and_not1_b32 exec_lo, exec_lo, s17
	s_cbranch_execnz .LBB19_19
; %bb.20:
	s_or_b32 exec_lo, exec_lo, s17
.LBB19_21:
	s_delay_alu instid0(SALU_CYCLE_1)
	s_or_b32 exec_lo, exec_lo, s7
	ds_bpermute_b32 v2, v2, v10
	s_waitcnt lgkmcnt(0)
	v_add_f32_e32 v2, v10, v2
	ds_bpermute_b32 v4, v4, v2
	s_waitcnt lgkmcnt(0)
	v_add_f32_e32 v2, v2, v4
	ds_bpermute_b32 v4, v7, v2
	s_waitcnt lgkmcnt(0)
	v_add_f32_e32 v2, v2, v4
	ds_bpermute_b32 v4, v8, v2
	s_waitcnt lgkmcnt(0)
	v_add_f32_e32 v2, v2, v4
	ds_bpermute_b32 v4, v26, v2
	s_waitcnt lgkmcnt(0)
	v_add_f32_e32 v2, v2, v4
	s_and_saveexec_b32 s4, vcc_lo
	s_cbranch_execz .LBB19_23
; %bb.22:
	ds_store_b32 v5, v2 offset:272
.LBB19_23:
	s_or_b32 exec_lo, exec_lo, s4
	s_waitcnt lgkmcnt(0)
	s_barrier
	buffer_gl0_inv
	s_and_saveexec_b32 s4, s0
	s_cbranch_execz .LBB19_25
; %bb.24:
	ds_load_b32 v2, v6 offset:272
.LBB19_25:
	s_or_b32 exec_lo, exec_lo, s4
	s_waitcnt lgkmcnt(0)
	ds_bpermute_b32 v4, v8, v2
	s_waitcnt lgkmcnt(0)
	v_add_f32_e32 v2, v2, v4
	ds_bpermute_b32 v4, v26, v2
	s_waitcnt lgkmcnt(0)
	v_add_f32_e32 v2, v2, v4
	ds_bpermute_b32 v2, v9, v2
	s_and_saveexec_b32 s0, s1
	s_cbranch_execz .LBB19_28
; %bb.26:
	s_waitcnt lgkmcnt(0)
	v_add_f32_e32 v4, 0x358637bd, v2
	s_mov_b32 s1, 0
	s_delay_alu instid0(VALU_DEP_1) | instskip(SKIP_1) | instid1(VALU_DEP_2)
	v_div_scale_f32 v5, null, v4, v4, 1.0
	v_div_scale_f32 v8, vcc_lo, 1.0, v4, 1.0
	v_rcp_f32_e32 v6, v5
	s_waitcnt_depctr 0xfff
	v_fma_f32 v7, -v5, v6, 1.0
	s_delay_alu instid0(VALU_DEP_1) | instskip(NEXT) | instid1(VALU_DEP_1)
	v_fmac_f32_e32 v6, v7, v6
	v_mul_f32_e32 v7, v8, v6
	s_delay_alu instid0(VALU_DEP_1) | instskip(NEXT) | instid1(VALU_DEP_1)
	v_fma_f32 v9, -v5, v7, v8
	v_fmac_f32_e32 v7, v9, v6
	s_delay_alu instid0(VALU_DEP_1) | instskip(NEXT) | instid1(VALU_DEP_1)
	v_fma_f32 v5, -v5, v7, v8
	v_div_fmas_f32 v5, v5, v6, v7
	s_delay_alu instid0(VALU_DEP_1)
	v_div_fixup_f32 v4, v5, v4, 1.0
	v_mov_b32_e32 v5, v0
.LBB19_27:                              ; =>This Inner Loop Header: Depth=1
	ds_load_b32 v6, v3
	s_waitcnt lgkmcnt(0)
	v_dual_mul_f32 v6, v4, v6 :: v_dual_add_nc_u32 v5, 0x80, v5
	s_delay_alu instid0(VALU_DEP_1) | instskip(SKIP_3) | instid1(SALU_CYCLE_1)
	v_cmp_le_i32_e32 vcc_lo, s6, v5
	ds_store_b32 v3, v6
	v_add_nc_u32_e32 v3, 0x200, v3
	s_or_b32 s1, vcc_lo, s1
	s_and_not1_b32 exec_lo, exec_lo, s1
	s_cbranch_execnz .LBB19_27
.LBB19_28:
	s_or_b32 exec_lo, exec_lo, s0
	s_mul_i32 s0, s13, s14
	s_waitcnt lgkmcnt(0)
	s_mul_i32 s6, s0, s21
	s_mov_b32 s0, exec_lo
	s_barrier
	buffer_gl0_inv
	v_cmpx_eq_u32_e32 0, v0
	s_cbranch_execz .LBB19_30
; %bb.29:
	s_ashr_i32 s7, s6, 31
	s_mul_i32 s38, s13, s22
	s_lshl_b64 s[36:37], s[6:7], 2
	v_mov_b32_e32 v3, 0
	s_add_u32 s1, s10, s36
	s_addc_u32 s4, s11, s37
	s_ashr_i32 s39, s38, 31
	s_delay_alu instid0(SALU_CYCLE_1) | instskip(NEXT) | instid1(SALU_CYCLE_1)
	s_lshl_b64 s[10:11], s[38:39], 2
	s_add_u32 s1, s1, s10
	s_addc_u32 s4, s4, s11
	s_ashr_i32 s21, s20, 31
	s_delay_alu instid0(SALU_CYCLE_1) | instskip(NEXT) | instid1(SALU_CYCLE_1)
	s_lshl_b64 s[20:21], s[20:21], 2
	s_add_u32 s38, s1, s20
	s_addc_u32 s39, s4, s21
	s_add_u32 s1, s8, s36
	s_addc_u32 s4, s9, s37
	;; [unrolled: 2-line block ×4, first 2 shown]
	s_clause 0x1
	global_store_b32 v3, v1, s[38:39]
	global_store_b32 v3, v2, s[8:9]
.LBB19_30:
	s_or_b32 exec_lo, exec_lo, s0
	v_dual_mov_b32 v29, 0 :: v_dual_mov_b32 v30, 0
	v_dual_mov_b32 v28, 0 :: v_dual_and_b32 v27, 1, v0
	v_mov_b32_e32 v31, 0
	s_mov_b32 s4, 0
	s_and_saveexec_b32 s1, s3
	s_cbranch_execz .LBB19_42
; %bb.31:
	v_dual_mov_b32 v28, 0 :: v_dual_lshlrev_b32 v1, 4, v0
	s_ashr_i32 s31, s30, 31
	v_dual_mov_b32 v31, 0 :: v_dual_and_b32 v2, 4, v19
	s_delay_alu instid0(VALU_DEP_2) | instskip(SKIP_4) | instid1(VALU_DEP_2)
	v_and_b32_e32 v1, 0x1f0, v1
	v_lshl_add_u32 v4, v24, 3, s33
	s_lshl_b64 s[8:9], s[30:31], 2
	v_dual_mov_b32 v30, 0 :: v_dual_lshlrev_b32 v3, 4, v27
	s_add_u32 s0, s28, s8
	v_add3_u32 v34, v4, v2, 3
	v_add_co_u32 v32, s0, s0, v1
	v_lshlrev_b64 v[1:2], 2, v[21:22]
	s_addc_u32 s3, s29, s9
	s_lshl_b64 s[8:9], s[26:27], 2
	s_add_i32 s34, s34, -1
	v_lshl_or_b32 v3, v24, 5, v3
	v_add_co_ci_u32_e64 v33, null, s3, 0, s0
	s_add_u32 s0, s24, s8
	s_addc_u32 s3, s25, s9
	v_add_co_u32 v22, vcc_lo, s0, v1
	v_add_nc_u32_e32 v35, 0x120, v3
	v_add_co_ci_u32_e32 v23, vcc_lo, s3, v2, vcc_lo
	v_mov_b32_e32 v29, 0
	s_mov_b32 s3, s5
	s_branch .LBB19_33
.LBB19_32:                              ;   in Loop: Header=BB19_33 Depth=1
	s_or_b32 exec_lo, exec_lo, s0
	s_waitcnt vmcnt(2) lgkmcnt(0)
	v_dual_mul_f32 v10, v2, v10 :: v_dual_add_nc_u32 v35, 0x80, v35
	v_dual_mul_f32 v6, v2, v6 :: v_dual_add_nc_u32 v21, 4, v21
	s_waitcnt vmcnt(1)
	v_mul_f32_e32 v14, v2, v14
	s_waitcnt vmcnt(0)
	v_mul_f32_e32 v2, v2, v18
	v_fmac_f32_e32 v10, v1, v9
	v_add_co_u32 v22, s0, v22, 16
	v_fmac_f32_e32 v14, v1, v13
	s_delay_alu instid0(VALU_DEP_4) | instskip(NEXT) | instid1(VALU_DEP_4)
	v_fmac_f32_e32 v2, v1, v17
	v_fmac_f32_e32 v10, v3, v11
	v_cmp_le_i32_e32 vcc_lo, s23, v21
	v_add_nc_u32_e32 v34, 32, v34
	v_fmac_f32_e32 v14, v3, v15
	v_fmac_f32_e32 v2, v3, v19
	;; [unrolled: 1-line block ×4, first 2 shown]
	v_add_co_ci_u32_e64 v23, s0, 0, v23, s0
	s_delay_alu instid0(VALU_DEP_3) | instskip(NEXT) | instid1(VALU_DEP_3)
	v_dual_fmac_f32 v2, v4, v20 :: v_dual_add_f32 v31, v31, v10
	v_fmac_f32_e32 v6, v3, v7
	v_fmac_f32_e32 v14, v4, v16
	s_or_b32 s4, vcc_lo, s4
	s_delay_alu instid0(VALU_DEP_2) | instskip(NEXT) | instid1(VALU_DEP_2)
	v_dual_add_f32 v29, v29, v2 :: v_dual_fmac_f32 v6, v4, v8
	v_add_f32_e32 v30, v30, v14
	s_delay_alu instid0(VALU_DEP_2)
	v_add_f32_e32 v28, v28, v6
	s_and_not1_b32 exec_lo, exec_lo, s4
	s_cbranch_execz .LBB19_41
.LBB19_33:                              ; =>This Inner Loop Header: Depth=1
	global_load_b32 v3, v[22:23], off
	v_add_nc_u32_e32 v36, -3, v34
	v_add_nc_u32_e32 v38, -2, v34
	;; [unrolled: 1-line block ×3, first 2 shown]
	s_waitcnt vmcnt(0)
	v_mad_i64_i32 v[1:2], null, v3, s3, 0
	s_delay_alu instid0(VALU_DEP_1) | instskip(NEXT) | instid1(VALU_DEP_1)
	v_lshlrev_b64 v[1:2], 2, v[1:2]
	v_add_co_u32 v17, vcc_lo, v32, v1
	s_delay_alu instid0(VALU_DEP_2)
	v_add_co_ci_u32_e32 v18, vcc_lo, v33, v2, vcc_lo
	ds_load_b128 v[1:4], v35
	v_cmp_eq_u32_e32 vcc_lo, s34, v21
	global_load_b128 v[5:8], v[17:18], off
	s_and_saveexec_b32 s5, vcc_lo
	s_cbranch_execnz .LBB19_37
; %bb.34:                               ;   in Loop: Header=BB19_33 Depth=1
	s_or_b32 exec_lo, exec_lo, s5
	global_load_b128 v[9:12], v[17:18], off offset:512
	s_and_saveexec_b32 s5, vcc_lo
	s_cbranch_execnz .LBB19_38
.LBB19_35:                              ;   in Loop: Header=BB19_33 Depth=1
	s_or_b32 exec_lo, exec_lo, s5
	global_load_b128 v[13:16], v[17:18], off offset:1024
	s_and_saveexec_b32 s5, vcc_lo
	s_cbranch_execnz .LBB19_39
.LBB19_36:                              ;   in Loop: Header=BB19_33 Depth=1
	s_or_b32 exec_lo, exec_lo, s5
	global_load_b128 v[17:20], v[17:18], off offset:1536
	s_and_saveexec_b32 s0, vcc_lo
	s_cbranch_execz .LBB19_32
	s_branch .LBB19_40
.LBB19_37:                              ;   in Loop: Header=BB19_33 Depth=1
	v_cmp_gt_i32_e64 s0, s15, v36
	s_waitcnt vmcnt(0)
	s_delay_alu instid0(VALU_DEP_1) | instskip(SKIP_1) | instid1(VALU_DEP_1)
	v_cndmask_b32_e64 v5, 0, v5, s0
	v_cmp_gt_i32_e64 s0, s15, v38
	v_cndmask_b32_e64 v6, 0, v6, s0
	v_cmp_gt_i32_e64 s0, s15, v37
	s_delay_alu instid0(VALU_DEP_1) | instskip(SKIP_1) | instid1(VALU_DEP_1)
	v_cndmask_b32_e64 v7, 0, v7, s0
	v_cmp_gt_i32_e64 s0, s15, v34
	v_cndmask_b32_e64 v8, 0, v8, s0
	s_or_b32 exec_lo, exec_lo, s5
	global_load_b128 v[9:12], v[17:18], off offset:512
	s_and_saveexec_b32 s5, vcc_lo
	s_cbranch_execz .LBB19_35
.LBB19_38:                              ;   in Loop: Header=BB19_33 Depth=1
	v_cmp_gt_i32_e64 s0, s15, v36
	s_waitcnt vmcnt(0)
	s_delay_alu instid0(VALU_DEP_1) | instskip(SKIP_1) | instid1(VALU_DEP_1)
	v_cndmask_b32_e64 v9, 0, v9, s0
	v_cmp_gt_i32_e64 s0, s15, v38
	v_cndmask_b32_e64 v10, 0, v10, s0
	v_cmp_gt_i32_e64 s0, s15, v37
	s_delay_alu instid0(VALU_DEP_1) | instskip(SKIP_1) | instid1(VALU_DEP_1)
	v_cndmask_b32_e64 v11, 0, v11, s0
	v_cmp_gt_i32_e64 s0, s15, v34
	v_cndmask_b32_e64 v12, 0, v12, s0
	s_or_b32 exec_lo, exec_lo, s5
	global_load_b128 v[13:16], v[17:18], off offset:1024
	s_and_saveexec_b32 s5, vcc_lo
	s_cbranch_execz .LBB19_36
.LBB19_39:                              ;   in Loop: Header=BB19_33 Depth=1
	v_cmp_gt_i32_e64 s0, s15, v36
	s_waitcnt vmcnt(0)
	s_delay_alu instid0(VALU_DEP_1) | instskip(SKIP_1) | instid1(VALU_DEP_1)
	v_cndmask_b32_e64 v13, 0, v13, s0
	v_cmp_gt_i32_e64 s0, s15, v38
	v_cndmask_b32_e64 v14, 0, v14, s0
	v_cmp_gt_i32_e64 s0, s15, v37
	s_delay_alu instid0(VALU_DEP_1) | instskip(SKIP_1) | instid1(VALU_DEP_1)
	v_cndmask_b32_e64 v15, 0, v15, s0
	v_cmp_gt_i32_e64 s0, s15, v34
	v_cndmask_b32_e64 v16, 0, v16, s0
	s_or_b32 exec_lo, exec_lo, s5
	global_load_b128 v[17:20], v[17:18], off offset:1536
	s_and_saveexec_b32 s0, vcc_lo
	s_cbranch_execz .LBB19_32
.LBB19_40:                              ;   in Loop: Header=BB19_33 Depth=1
	v_cmp_gt_i32_e32 vcc_lo, s15, v36
	s_waitcnt vmcnt(0)
	v_cndmask_b32_e32 v17, 0, v17, vcc_lo
	v_cmp_gt_i32_e32 vcc_lo, s15, v38
	v_cndmask_b32_e32 v18, 0, v18, vcc_lo
	v_cmp_gt_i32_e32 vcc_lo, s15, v37
	;; [unrolled: 2-line block ×3, first 2 shown]
	v_cndmask_b32_e32 v20, 0, v20, vcc_lo
	s_branch .LBB19_32
.LBB19_41:
	s_or_b32 exec_lo, exec_lo, s4
.LBB19_42:
	s_delay_alu instid0(SALU_CYCLE_1)
	s_or_b32 exec_lo, exec_lo, s1
	ds_bpermute_b32 v1, v26, v28
	ds_bpermute_b32 v2, v26, v31
	ds_bpermute_b32 v7, v26, v30
	ds_bpermute_b32 v8, v26, v29
	v_lshrrev_b32_e32 v5, 1, v25
	v_lshl_add_u32 v6, v24, 8, 0x120
	v_and_b32_e32 v9, 0x3c1, v0
	s_mov_b32 s0, exec_lo
	s_waitcnt lgkmcnt(0)
	s_waitcnt_vscnt null, 0x0
	s_barrier
	buffer_gl0_inv
	v_dual_add_f32 v4, v28, v1 :: v_dual_add_f32 v3, v31, v2
	v_dual_add_f32 v2, v30, v7 :: v_dual_add_f32 v1, v29, v8
	v_cmpx_eq_u32_e32 64, v9
	s_cbranch_execz .LBB19_44
; %bb.43:
	v_lshlrev_b32_e32 v7, 2, v5
	s_delay_alu instid0(VALU_DEP_1)
	v_add3_u32 v7, v6, v7, 0xfffffe00
	ds_store_2addr_b32 v7, v4, v3 offset1:16
	ds_store_2addr_b32 v7, v2, v1 offset0:32 offset1:48
.LBB19_44:
	s_or_b32 exec_lo, exec_lo, s0
	v_cmp_eq_u32_e32 vcc_lo, 0, v27
	s_waitcnt lgkmcnt(0)
	s_barrier
	buffer_gl0_inv
	s_and_saveexec_b32 s0, s2
	s_cbranch_execz .LBB19_51
; %bb.45:
	s_and_saveexec_b32 s1, vcc_lo
	s_cbranch_execnz .LBB19_63
; %bb.46:
	s_or_b32 exec_lo, exec_lo, s1
	s_and_saveexec_b32 s1, vcc_lo
	s_cbranch_execnz .LBB19_64
.LBB19_47:
	s_or_b32 exec_lo, exec_lo, s1
	s_and_saveexec_b32 s1, vcc_lo
	s_cbranch_execnz .LBB19_65
.LBB19_48:
	s_or_b32 exec_lo, exec_lo, s1
	s_and_saveexec_b32 s1, vcc_lo
	s_cbranch_execz .LBB19_50
.LBB19_49:
	v_lshl_add_u32 v7, v5, 2, v6
	ds_load_b32 v7, v7 offset:192
	s_waitcnt lgkmcnt(0)
	v_add_f32_e32 v1, v1, v7
.LBB19_50:
	s_or_b32 exec_lo, exec_lo, s1
.LBB19_51:
	s_delay_alu instid0(SALU_CYCLE_1)
	s_or_b32 exec_lo, exec_lo, s0
	v_and_b32_e32 v7, 0x3e1, v0
	s_mov_b32 s1, exec_lo
	s_barrier
	buffer_gl0_inv
	v_cmpx_eq_u32_e32 32, v7
	s_cbranch_execz .LBB19_53
; %bb.52:
	v_lshl_add_u32 v8, v5, 2, 0x120
	ds_store_2addr_b32 v8, v4, v3 offset1:16
	ds_store_2addr_b32 v8, v2, v1 offset0:32 offset1:48
.LBB19_53:
	s_or_b32 exec_lo, exec_lo, s1
	s_delay_alu instid0(SALU_CYCLE_1)
	s_mov_b32 s1, exec_lo
	s_waitcnt lgkmcnt(0)
	s_barrier
	buffer_gl0_inv
	v_cmpx_gt_u32_e32 32, v0
	s_cbranch_execz .LBB19_60
; %bb.54:
	v_lshl_add_u32 v5, v5, 2, v6
	s_and_saveexec_b32 s0, vcc_lo
	s_cbranch_execnz .LBB19_66
; %bb.55:
	s_or_b32 exec_lo, exec_lo, s0
	s_and_saveexec_b32 s0, vcc_lo
	s_cbranch_execnz .LBB19_67
.LBB19_56:
	s_or_b32 exec_lo, exec_lo, s0
	s_and_saveexec_b32 s0, vcc_lo
	s_cbranch_execnz .LBB19_68
.LBB19_57:
	s_or_b32 exec_lo, exec_lo, s0
	s_and_saveexec_b32 s0, vcc_lo
	s_cbranch_execz .LBB19_59
.LBB19_58:
	ds_load_b32 v5, v5 offset:192
	s_waitcnt lgkmcnt(0)
	v_add_f32_e32 v1, v1, v5
.LBB19_59:
	s_or_b32 exec_lo, exec_lo, s0
.LBB19_60:
	s_delay_alu instid0(SALU_CYCLE_1)
	s_or_b32 exec_lo, exec_lo, s1
	s_barrier
	buffer_gl0_inv
	s_mov_b32 s0, exec_lo
	v_cmpx_eq_u32_e32 0, v7
	s_cbranch_execz .LBB19_62
; %bb.61:
	s_lshl_b32 s0, s6, 6
	s_mul_i32 s2, s13, s12
	s_ashr_i32 s1, s0, 31
	v_lshlrev_b32_e32 v0, 1, v0
	s_lshl_b64 s[0:1], s[0:1], 2
	s_delay_alu instid0(SALU_CYCLE_1) | instskip(SKIP_2) | instid1(SALU_CYCLE_1)
	s_add_u32 s4, s18, s0
	s_addc_u32 s5, s19, s1
	s_ashr_i32 s3, s2, 31
	s_lshl_b64 s[0:1], s[2:3], 2
	s_delay_alu instid0(SALU_CYCLE_1) | instskip(SKIP_2) | instid1(SALU_CYCLE_1)
	s_add_u32 s2, s4, s0
	s_addc_u32 s3, s5, s1
	s_ashr_i32 s17, s16, 31
	s_lshl_b64 s[0:1], s[16:17], 2
	s_delay_alu instid0(SALU_CYCLE_1)
	s_add_u32 s0, s2, s0
	s_addc_u32 s1, s3, s1
	s_clause 0x3
	global_store_b32 v0, v4, s[0:1]
	global_store_b32 v0, v3, s[0:1] offset:64
	global_store_b32 v0, v2, s[0:1] offset:128
	;; [unrolled: 1-line block ×3, first 2 shown]
.LBB19_62:
	s_nop 0
	s_sendmsg sendmsg(MSG_DEALLOC_VGPRS)
	s_endpgm
.LBB19_63:
	v_lshl_add_u32 v7, v5, 2, v6
	ds_load_b32 v7, v7
	s_waitcnt lgkmcnt(0)
	v_add_f32_e32 v4, v4, v7
	s_or_b32 exec_lo, exec_lo, s1
	s_and_saveexec_b32 s1, vcc_lo
	s_cbranch_execz .LBB19_47
.LBB19_64:
	v_lshl_add_u32 v7, v5, 2, v6
	ds_load_b32 v7, v7 offset:64
	s_waitcnt lgkmcnt(0)
	v_add_f32_e32 v3, v3, v7
	s_or_b32 exec_lo, exec_lo, s1
	s_and_saveexec_b32 s1, vcc_lo
	s_cbranch_execz .LBB19_48
.LBB19_65:
	v_lshl_add_u32 v7, v5, 2, v6
	ds_load_b32 v7, v7 offset:128
	s_waitcnt lgkmcnt(0)
	v_add_f32_e32 v2, v2, v7
	s_or_b32 exec_lo, exec_lo, s1
	s_and_saveexec_b32 s1, vcc_lo
	s_cbranch_execnz .LBB19_49
	s_branch .LBB19_50
.LBB19_66:
	ds_load_b32 v6, v5
	s_waitcnt lgkmcnt(0)
	v_add_f32_e32 v4, v4, v6
	s_or_b32 exec_lo, exec_lo, s0
	s_and_saveexec_b32 s0, vcc_lo
	s_cbranch_execz .LBB19_56
.LBB19_67:
	ds_load_b32 v6, v5 offset:64
	s_waitcnt lgkmcnt(0)
	v_add_f32_e32 v3, v3, v6
	s_or_b32 exec_lo, exec_lo, s0
	s_and_saveexec_b32 s0, vcc_lo
	s_cbranch_execz .LBB19_57
.LBB19_68:
	ds_load_b32 v6, v5 offset:128
	s_waitcnt lgkmcnt(0)
	v_add_f32_e32 v2, v2, v6
	s_or_b32 exec_lo, exec_lo, s0
	s_and_saveexec_b32 s0, vcc_lo
	s_cbranch_execnz .LBB19_58
	s_branch .LBB19_59
	.section	.rodata,"a",@progbits
	.p2align	6, 0x0
	.amdhsa_kernel _ZN4vllm25paged_attention_v2_kernelIffLi64ELi8ELi128ELNS_18Fp8KVCacheDataTypeE0ELb0ELi512EEEvPfS2_PT_PKS3_PKT0_S9_ifPKiSB_iPKfiiiSD_SD_iiiii
		.amdhsa_group_segment_fixed_size 288
		.amdhsa_private_segment_fixed_size 0
		.amdhsa_kernarg_size 400
		.amdhsa_user_sgpr_count 13
		.amdhsa_user_sgpr_dispatch_ptr 0
		.amdhsa_user_sgpr_queue_ptr 0
		.amdhsa_user_sgpr_kernarg_segment_ptr 1
		.amdhsa_user_sgpr_dispatch_id 0
		.amdhsa_user_sgpr_private_segment_size 0
		.amdhsa_wavefront_size32 1
		.amdhsa_uses_dynamic_stack 0
		.amdhsa_enable_private_segment 0
		.amdhsa_system_sgpr_workgroup_id_x 1
		.amdhsa_system_sgpr_workgroup_id_y 1
		.amdhsa_system_sgpr_workgroup_id_z 1
		.amdhsa_system_sgpr_workgroup_info 0
		.amdhsa_system_vgpr_workitem_id 0
		.amdhsa_next_free_vgpr 50
		.amdhsa_next_free_sgpr 40
		.amdhsa_reserve_vcc 1
		.amdhsa_float_round_mode_32 0
		.amdhsa_float_round_mode_16_64 0
		.amdhsa_float_denorm_mode_32 3
		.amdhsa_float_denorm_mode_16_64 3
		.amdhsa_dx10_clamp 1
		.amdhsa_ieee_mode 1
		.amdhsa_fp16_overflow 0
		.amdhsa_workgroup_processor_mode 1
		.amdhsa_memory_ordered 1
		.amdhsa_forward_progress 0
		.amdhsa_shared_vgpr_count 0
		.amdhsa_exception_fp_ieee_invalid_op 0
		.amdhsa_exception_fp_denorm_src 0
		.amdhsa_exception_fp_ieee_div_zero 0
		.amdhsa_exception_fp_ieee_overflow 0
		.amdhsa_exception_fp_ieee_underflow 0
		.amdhsa_exception_fp_ieee_inexact 0
		.amdhsa_exception_int_div_zero 0
	.end_amdhsa_kernel
	.section	.text._ZN4vllm25paged_attention_v2_kernelIffLi64ELi8ELi128ELNS_18Fp8KVCacheDataTypeE0ELb0ELi512EEEvPfS2_PT_PKS3_PKT0_S9_ifPKiSB_iPKfiiiSD_SD_iiiii,"axG",@progbits,_ZN4vllm25paged_attention_v2_kernelIffLi64ELi8ELi128ELNS_18Fp8KVCacheDataTypeE0ELb0ELi512EEEvPfS2_PT_PKS3_PKT0_S9_ifPKiSB_iPKfiiiSD_SD_iiiii,comdat
.Lfunc_end19:
	.size	_ZN4vllm25paged_attention_v2_kernelIffLi64ELi8ELi128ELNS_18Fp8KVCacheDataTypeE0ELb0ELi512EEEvPfS2_PT_PKS3_PKT0_S9_ifPKiSB_iPKfiiiSD_SD_iiiii, .Lfunc_end19-_ZN4vllm25paged_attention_v2_kernelIffLi64ELi8ELi128ELNS_18Fp8KVCacheDataTypeE0ELb0ELi512EEEvPfS2_PT_PKS3_PKT0_S9_ifPKiSB_iPKfiiiSD_SD_iiiii
                                        ; -- End function
	.section	.AMDGPU.csdata,"",@progbits
; Kernel info:
; codeLenInByte = 4188
; NumSgprs: 42
; NumVgprs: 50
; ScratchSize: 0
; MemoryBound: 0
; FloatMode: 240
; IeeeMode: 1
; LDSByteSize: 288 bytes/workgroup (compile time only)
; SGPRBlocks: 5
; VGPRBlocks: 6
; NumSGPRsForWavesPerEU: 42
; NumVGPRsForWavesPerEU: 50
; Occupancy: 16
; WaveLimiterHint : 1
; COMPUTE_PGM_RSRC2:SCRATCH_EN: 0
; COMPUTE_PGM_RSRC2:USER_SGPR: 13
; COMPUTE_PGM_RSRC2:TRAP_HANDLER: 0
; COMPUTE_PGM_RSRC2:TGID_X_EN: 1
; COMPUTE_PGM_RSRC2:TGID_Y_EN: 1
; COMPUTE_PGM_RSRC2:TGID_Z_EN: 1
; COMPUTE_PGM_RSRC2:TIDIG_COMP_CNT: 0
	.section	.text._ZN4vllm25paged_attention_v2_kernelIffLi80ELi8ELi128ELNS_18Fp8KVCacheDataTypeE0ELb0ELi512EEEvPfS2_PT_PKS3_PKT0_S9_ifPKiSB_iPKfiiiSD_SD_iiiii,"axG",@progbits,_ZN4vllm25paged_attention_v2_kernelIffLi80ELi8ELi128ELNS_18Fp8KVCacheDataTypeE0ELb0ELi512EEEvPfS2_PT_PKS3_PKT0_S9_ifPKiSB_iPKfiiiSD_SD_iiiii,comdat
	.protected	_ZN4vllm25paged_attention_v2_kernelIffLi80ELi8ELi128ELNS_18Fp8KVCacheDataTypeE0ELb0ELi512EEEvPfS2_PT_PKS3_PKT0_S9_ifPKiSB_iPKfiiiSD_SD_iiiii ; -- Begin function _ZN4vllm25paged_attention_v2_kernelIffLi80ELi8ELi128ELNS_18Fp8KVCacheDataTypeE0ELb0ELi512EEEvPfS2_PT_PKS3_PKT0_S9_ifPKiSB_iPKfiiiSD_SD_iiiii
	.globl	_ZN4vllm25paged_attention_v2_kernelIffLi80ELi8ELi128ELNS_18Fp8KVCacheDataTypeE0ELb0ELi512EEEvPfS2_PT_PKS3_PKT0_S9_ifPKiSB_iPKfiiiSD_SD_iiiii
	.p2align	8
	.type	_ZN4vllm25paged_attention_v2_kernelIffLi80ELi8ELi128ELNS_18Fp8KVCacheDataTypeE0ELb0ELi512EEEvPfS2_PT_PKS3_PKT0_S9_ifPKiSB_iPKfiiiSD_SD_iiiii,@function
_ZN4vllm25paged_attention_v2_kernelIffLi80ELi8ELi128ELNS_18Fp8KVCacheDataTypeE0ELb0ELi512EEEvPfS2_PT_PKS3_PKT0_S9_ifPKiSB_iPKfiiiSD_SD_iiiii: ; @_ZN4vllm25paged_attention_v2_kernelIffLi80ELi8ELi128ELNS_18Fp8KVCacheDataTypeE0ELb0ELi512EEEvPfS2_PT_PKS3_PKT0_S9_ifPKiSB_iPKfiiiSD_SD_iiiii
; %bb.0:
	s_load_b64 s[2:3], s[0:1], 0x40
	s_mov_b32 s12, s15
	s_ashr_i32 s15, s14, 31
	s_delay_alu instid0(SALU_CYCLE_1)
	s_lshl_b64 s[4:5], s[14:15], 2
	s_waitcnt lgkmcnt(0)
	s_add_u32 s2, s2, s4
	s_addc_u32 s3, s3, s5
	s_lshl_b32 s33, s12, 9
	s_load_b32 s15, s[2:3], 0x0
	s_waitcnt lgkmcnt(0)
	s_cmp_ge_i32 s33, s15
	s_cbranch_scc1 .LBB20_66
; %bb.1:
	s_mov_b32 s20, s13
	s_clause 0x1
	s_load_b32 s13, s[0:1], 0x90
	s_load_b64 s[30:31], s[0:1], 0x30
	s_waitcnt lgkmcnt(0)
	s_abs_i32 s5, s13
	s_abs_i32 s2, s30
	s_delay_alu instid0(SALU_CYCLE_1) | instskip(SKIP_1) | instid1(VALU_DEP_1)
	v_cvt_f32_u32_e32 v1, s2
	s_sub_i32 s4, 0, s2
	v_rcp_iflag_f32_e32 v1, v1
	s_waitcnt_depctr 0xfff
	v_mul_f32_e32 v1, 0x4f7ffffe, v1
	s_delay_alu instid0(VALU_DEP_1) | instskip(NEXT) | instid1(VALU_DEP_1)
	v_cvt_u32_f32_e32 v1, v1
	v_readfirstlane_b32 s3, v1
	s_delay_alu instid0(VALU_DEP_1) | instskip(NEXT) | instid1(SALU_CYCLE_1)
	s_mul_i32 s4, s4, s3
	s_mul_hi_u32 s4, s3, s4
	s_delay_alu instid0(SALU_CYCLE_1)
	s_add_i32 s3, s3, s4
	s_xor_b32 s4, s13, s30
	s_mul_hi_u32 s3, s5, s3
	s_ashr_i32 s4, s4, 31
	s_mul_i32 s6, s3, s2
	s_mov_b32 s30, 0
	s_sub_i32 s5, s5, s6
	s_add_i32 s6, s3, 1
	s_sub_i32 s7, s5, s2
	s_cmp_ge_u32 s5, s2
	s_cselect_b32 s3, s6, s3
	s_cselect_b32 s5, s7, s5
	s_add_i32 s6, s3, 1
	s_cmp_ge_u32 s5, s2
	s_cselect_b32 s2, s6, s3
	s_abs_i32 s10, s20
	s_xor_b32 s2, s2, s4
	s_delay_alu instid0(SALU_CYCLE_1) | instskip(SKIP_2) | instid1(SALU_CYCLE_1)
	s_sub_i32 s11, s2, s4
	s_load_b64 s[2:3], s[0:1], 0x50
	s_abs_i32 s8, s11
	v_cvt_f32_u32_e32 v1, s8
	s_sub_i32 s5, 0, s8
	s_delay_alu instid0(VALU_DEP_1) | instskip(SKIP_2) | instid1(VALU_DEP_1)
	v_rcp_iflag_f32_e32 v1, v1
	s_waitcnt_depctr 0xfff
	v_mul_f32_e32 v1, 0x4f7ffffe, v1
	v_cvt_u32_f32_e32 v1, v1
	s_delay_alu instid0(VALU_DEP_1) | instskip(NEXT) | instid1(VALU_DEP_1)
	v_readfirstlane_b32 s4, v1
	s_mul_i32 s5, s5, s4
	s_delay_alu instid0(SALU_CYCLE_1) | instskip(NEXT) | instid1(SALU_CYCLE_1)
	s_mul_hi_u32 s5, s4, s5
	s_add_i32 s4, s4, s5
	s_waitcnt lgkmcnt(0)
	s_cmp_eq_u64 s[2:3], 0
	s_mul_hi_u32 s9, s10, s4
	s_cbranch_scc1 .LBB20_3
; %bb.2:
	s_ashr_i32 s21, s20, 31
	s_delay_alu instid0(SALU_CYCLE_1) | instskip(NEXT) | instid1(SALU_CYCLE_1)
	s_lshl_b64 s[4:5], s[20:21], 2
	s_add_u32 s2, s2, s4
	s_addc_u32 s3, s3, s5
	s_load_b32 s30, s[2:3], 0x0
.LBB20_3:
	s_load_b128 s[4:7], s[0:1], 0x58
	v_and_b32_e32 v21, 3, v0
	v_lshlrev_b32_e32 v23, 2, v0
	s_ashr_i32 s2, s20, 31
	s_ashr_i32 s3, s11, 31
	s_mul_i32 s16, s20, 0x50
	s_waitcnt lgkmcnt(0)
	s_mov_b32 s7, exec_lo
	v_cmpx_gt_u32_e32 0x50, v0
	s_cbranch_execz .LBB20_5
; %bb.4:
	s_load_b64 s[18:19], s[0:1], 0x18
	s_mul_i32 s22, s14, s4
	v_and_b32_e32 v2, 0x3fc, v0
	s_ashr_i32 s23, s22, 31
	s_delay_alu instid0(SALU_CYCLE_1) | instskip(NEXT) | instid1(VALU_DEP_1)
	s_lshl_b64 s[22:23], s[22:23], 2
	v_mad_u32_u24 v2, 0x50, v21, v2
	s_waitcnt lgkmcnt(0)
	s_add_u32 s4, s18, s22
	s_addc_u32 s11, s19, s23
	s_ashr_i32 s17, s16, 31
	s_delay_alu instid0(SALU_CYCLE_1) | instskip(NEXT) | instid1(SALU_CYCLE_1)
	s_lshl_b64 s[18:19], s[16:17], 2
	s_add_u32 s18, s4, s18
	s_addc_u32 s19, s11, s19
	global_load_b32 v1, v23, s[18:19]
	s_waitcnt vmcnt(0)
	ds_store_b32 v2, v1
.LBB20_5:
	s_or_b32 exec_lo, exec_lo, s7
	s_add_i32 s4, s15, 7
	s_lshl_b32 s7, s12, 6
	s_ashr_i32 s11, s4, 31
	s_xor_b32 s2, s2, s3
	s_lshr_b32 s11, s11, 29
	s_add_i32 s3, s7, 64
	s_add_i32 s4, s4, s11
	s_clause 0x1
	s_load_b64 s[22:23], s[0:1], 0x38
	s_load_b32 s11, s[0:1], 0x48
	s_ashr_i32 s21, s4, 3
	s_mul_i32 s4, s9, s8
	s_min_i32 s17, s3, s21
	s_sub_i32 s3, s10, s4
	s_add_i32 s4, s9, 1
	s_sub_i32 s10, s3, s8
	s_cmp_ge_u32 s3, s8
	v_lshrrev_b32_e32 v28, 5, v0
	s_cselect_b32 s4, s4, s9
	s_cselect_b32 s3, s10, s3
	s_add_i32 s9, s4, 1
	s_cmp_ge_u32 s3, s8
	v_or_b32_e32 v25, s7, v28
	s_cselect_b32 s3, s9, s4
	v_mbcnt_lo_u32_b32 v24, -1, 0
	s_xor_b32 s3, s3, s2
	s_mov_b32 s4, exec_lo
	s_sub_i32 s3, s3, s2
	v_cmp_gt_i32_e64 s2, s17, v25
	s_waitcnt lgkmcnt(0)
	s_mul_i32 s24, s14, s11
	s_delay_alu instid0(SALU_CYCLE_1)
	s_ashr_i32 s25, s24, 31
	s_barrier
	buffer_gl0_inv
                                        ; implicit-def: $sgpr28
                                        ; implicit-def: $vgpr27
	v_cmpx_le_i32_e64 s17, v25
	s_xor_b32 s4, exec_lo, s4
; %bb.6:
	v_mbcnt_lo_u32_b32 v24, -1, 0
	v_mov_b32_e32 v27, 32
	s_mov_b32 s28, 0xff7fffff
                                        ; implicit-def: $vgpr21
; %bb.7:
	s_or_saveexec_b32 s34, s4
	s_clause 0x3
	s_load_b128 s[8:11], s[0:1], 0x0
	s_load_b64 s[18:19], s[0:1], 0x10
	s_load_b64 s[26:27], s[0:1], 0x28
	s_load_b32 s4, s[0:1], 0x98
	v_mov_b32_e32 v29, s28
	v_ashrrev_i32_e32 v26, 31, v25
	s_mul_i32 s28, s3, s6
	s_xor_b32 exec_lo, exec_lo, s34
	s_cbranch_execz .LBB20_13
; %bb.8:
	s_load_b64 s[0:1], s[0:1], 0x20
	v_bfe_u32 v22, v0, 2, 3
	v_xor_b32_e32 v29, 2, v24
	s_ashr_i32 s29, s28, 31
	v_xor_b32_e32 v30, 1, v24
	s_lshl_b64 s[36:37], s[28:29], 2
	v_lshlrev_b32_e32 v31, 4, v22
	v_cmp_gt_i32_e32 vcc_lo, 32, v29
	v_mul_u32_u24_e32 v17, 0x50, v21
	v_dual_mov_b32 v36, v25 :: v_dual_lshlrev_b32 v27, 2, v21
	v_dual_cndmask_b32 v29, v24, v29 :: v_dual_lshlrev_b32 v34, 2, v22
	v_cmp_gt_i32_e32 vcc_lo, 32, v30
	ds_load_b128 v[1:4], v17
	ds_load_b128 v[5:8], v17 offset:16
	ds_load_b128 v[9:12], v17 offset:32
	;; [unrolled: 1-line block ×4, first 2 shown]
	s_mov_b32 s35, s5
	v_lshl_or_b32 v35, v28, 5, v34
	s_mov_b32 s29, 0
	v_cndmask_b32_e32 v33, v24, v30, vcc_lo
	s_waitcnt lgkmcnt(0)
	s_add_u32 s0, s0, s36
	s_addc_u32 s1, s1, s37
	v_add_co_u32 v31, s0, s0, v31
	s_delay_alu instid0(VALU_DEP_1) | instskip(SKIP_1) | instid1(VALU_DEP_2)
	v_add_co_ci_u32_e64 v32, null, s1, 0, s0
	s_lshl_b64 s[36:37], s[24:25], 2
	v_add_co_u32 v30, vcc_lo, v31, v27
	s_delay_alu instid0(VALU_DEP_2)
	v_add_co_ci_u32_e32 v31, vcc_lo, 0, v32, vcc_lo
	v_lshlrev_b32_e32 v32, 2, v29
	v_lshlrev_b32_e32 v29, 3, v28
	v_cmp_eq_u32_e32 vcc_lo, 0, v21
	s_sub_i32 s6, 1, s15
	s_add_u32 s1, s22, s36
	s_addc_u32 s3, s23, s37
	v_add3_u32 v34, s33, v29, v22
	v_lshlrev_b64 v[21:22], 2, v[25:26]
	v_mov_b32_e32 v27, 32
	v_lshlrev_b32_e32 v33, 2, v33
	v_cmp_neq_f32_e64 s0, s30, 0
	v_add_nc_u32_e32 v35, 0x160, v35
	v_mov_b32_e32 v29, 0xff7fffff
	v_add_co_u32 v21, s1, s1, v21
	s_delay_alu instid0(VALU_DEP_1)
	v_add_co_ci_u32_e64 v22, s1, s3, v22, s1
	s_branch .LBB20_10
.LBB20_9:                               ;   in Loop: Header=BB20_10 Depth=1
	s_or_b32 exec_lo, exec_lo, s3
	v_add_nc_u32_e32 v36, 4, v36
	v_add_co_u32 v21, s3, v21, 16
	v_add_nc_u32_e32 v34, 32, v34
	v_add_nc_u32_e32 v35, 0x80, v35
	s_delay_alu instid0(VALU_DEP_4) | instskip(SKIP_1) | instid1(VALU_DEP_2)
	v_cmp_le_i32_e64 s1, s17, v36
	v_add_co_ci_u32_e64 v22, s3, 0, v22, s3
	s_or_b32 s29, s1, s29
	s_delay_alu instid0(SALU_CYCLE_1)
	s_and_not1_b32 exec_lo, exec_lo, s29
	s_cbranch_execz .LBB20_12
.LBB20_10:                              ; =>This Inner Loop Header: Depth=1
	global_load_b32 v39, v[21:22], off
	s_waitcnt vmcnt(0) lgkmcnt(0)
	v_mad_i64_i32 v[37:38], null, v39, s35, 0
	s_delay_alu instid0(VALU_DEP_1) | instskip(NEXT) | instid1(VALU_DEP_1)
	v_lshlrev_b64 v[37:38], 2, v[37:38]
	v_add_co_u32 v37, s1, v30, v37
	s_delay_alu instid0(VALU_DEP_1)
	v_add_co_ci_u32_e64 v38, s1, v31, v38, s1
	s_clause 0x13
	global_load_b32 v39, v[37:38], off offset:128
	global_load_b32 v40, v[37:38], off
	global_load_b32 v41, v[37:38], off offset:256
	global_load_b32 v42, v[37:38], off offset:384
	;; [unrolled: 1-line block ×18, first 2 shown]
	s_waitcnt vmcnt(19)
	v_mul_f32_e32 v38, v2, v39
	s_waitcnt vmcnt(18)
	s_delay_alu instid0(VALU_DEP_1) | instskip(SKIP_1) | instid1(VALU_DEP_1)
	v_fmac_f32_e32 v38, v1, v40
	s_waitcnt vmcnt(17)
	v_fmac_f32_e32 v38, v3, v41
	s_waitcnt vmcnt(16)
	s_delay_alu instid0(VALU_DEP_1) | instskip(SKIP_1) | instid1(VALU_DEP_1)
	v_fmac_f32_e32 v38, v4, v42
	s_waitcnt vmcnt(15)
	v_fmac_f32_e32 v38, v5, v43
	;; [unrolled: 5-line block ×9, first 2 shown]
	s_waitcnt vmcnt(0)
	s_delay_alu instid0(VALU_DEP_1)
	v_fmac_f32_e32 v38, v20, v37
	ds_bpermute_b32 v37, v32, v38
	s_waitcnt lgkmcnt(0)
	v_add_f32_e32 v37, v38, v37
	ds_bpermute_b32 v38, v33, v37
	s_and_saveexec_b32 s3, vcc_lo
	s_cbranch_execz .LBB20_9
; %bb.11:                               ;   in Loop: Header=BB20_10 Depth=1
	s_waitcnt lgkmcnt(0)
	v_add_f32_e32 v37, v37, v38
	v_add_nc_u32_e32 v39, s6, v34
	v_cmp_gt_i32_e64 s1, s15, v34
	s_delay_alu instid0(VALU_DEP_2) | instskip(NEXT) | instid1(VALU_DEP_1)
	v_cvt_f32_i32_e32 v39, v39
	v_mul_f32_e32 v39, s30, v39
	s_delay_alu instid0(VALU_DEP_1) | instskip(SKIP_1) | instid1(VALU_DEP_2)
	v_cndmask_b32_e64 v38, 0, v39, s0
	v_max_f32_e32 v39, v29, v29
	v_fmac_f32_e32 v38, s31, v37
	s_delay_alu instid0(VALU_DEP_1) | instskip(SKIP_1) | instid1(VALU_DEP_2)
	v_max_f32_e32 v37, v39, v38
	v_cndmask_b32_e64 v38, 0, v38, s1
	v_cndmask_b32_e64 v29, v29, v37, s1
	ds_store_b32 v35, v38
	s_branch .LBB20_9
.LBB20_12:
	s_or_b32 exec_lo, exec_lo, s29
.LBB20_13:
	s_delay_alu instid0(SALU_CYCLE_1) | instskip(SKIP_3) | instid1(VALU_DEP_3)
	s_or_b32 exec_lo, exec_lo, s34
	v_xor_b32_e32 v1, 16, v24
	v_xor_b32_e32 v3, 8, v24
	v_max_f32_e32 v5, v29, v29
	v_cmp_lt_i32_e32 vcc_lo, v1, v27
	v_cndmask_b32_e32 v1, v24, v1, vcc_lo
	s_delay_alu instid0(VALU_DEP_4) | instskip(SKIP_1) | instid1(VALU_DEP_1)
	v_cmp_lt_i32_e32 vcc_lo, v3, v27
	v_cndmask_b32_e32 v3, v24, v3, vcc_lo
	v_lshlrev_b32_e32 v4, 2, v3
	s_delay_alu instid0(VALU_DEP_4) | instskip(SKIP_4) | instid1(VALU_DEP_1)
	v_lshlrev_b32_e32 v2, 2, v1
	ds_bpermute_b32 v1, v2, v29
	v_and_b32_e32 v29, 31, v0
	s_waitcnt lgkmcnt(0)
	v_max_f32_e32 v1, v1, v1
	v_max_f32_e32 v1, v5, v1
	v_xor_b32_e32 v5, 4, v24
	ds_bpermute_b32 v3, v4, v1
	v_cmp_lt_i32_e32 vcc_lo, v5, v27
	v_cndmask_b32_e32 v5, v24, v5, vcc_lo
	v_cmp_eq_u32_e32 vcc_lo, 0, v29
	s_delay_alu instid0(VALU_DEP_2) | instskip(SKIP_3) | instid1(VALU_DEP_1)
	v_lshlrev_b32_e32 v7, 2, v5
	v_lshlrev_b32_e32 v5, 2, v28
	s_waitcnt lgkmcnt(0)
	v_max_f32_e32 v3, v3, v3
	v_max_f32_e32 v1, v1, v3
	ds_bpermute_b32 v3, v7, v1
	s_and_saveexec_b32 s0, vcc_lo
	s_cbranch_execz .LBB20_15
; %bb.14:
	s_waitcnt lgkmcnt(0)
	v_max_f32_e32 v3, v3, v3
	v_max_f32_e32 v1, v1, v1
	s_delay_alu instid0(VALU_DEP_1)
	v_max_f32_e32 v1, v1, v3
	ds_store_b32 v5, v1 offset:320
.LBB20_15:
	s_or_b32 exec_lo, exec_lo, s0
	v_cmp_gt_u32_e64 s0, 4, v29
	v_dual_mov_b32 v1, 0xff7fffff :: v_dual_lshlrev_b32 v6, 2, v29
	s_waitcnt lgkmcnt(0)
	s_barrier
	buffer_gl0_inv
	s_and_saveexec_b32 s1, s0
	s_cbranch_execz .LBB20_17
; %bb.16:
	ds_load_b32 v1, v6 offset:320
.LBB20_17:
	s_or_b32 exec_lo, exec_lo, s1
	v_xor_b32_e32 v3, 2, v24
	v_xor_b32_e32 v9, 1, v24
	v_mov_b32_e32 v10, 0
	s_delay_alu instid0(VALU_DEP_3) | instskip(NEXT) | instid1(VALU_DEP_1)
	v_cmp_lt_i32_e64 s1, v3, v27
	v_cndmask_b32_e64 v3, v24, v3, s1
	s_delay_alu instid0(VALU_DEP_4) | instskip(NEXT) | instid1(VALU_DEP_2)
	v_cmp_lt_i32_e64 s1, v9, v27
	v_lshlrev_b32_e32 v8, 2, v3
	s_delay_alu instid0(VALU_DEP_2) | instskip(SKIP_1) | instid1(SALU_CYCLE_1)
	v_cndmask_b32_e64 v9, v24, v9, s1
	s_sub_i32 s1, s17, s7
	s_lshl_b32 s1, s1, 3
	s_waitcnt lgkmcnt(0)
	ds_bpermute_b32 v3, v8, v1
	v_max_f32_e32 v1, v1, v1
	v_lshlrev_b32_e32 v30, 2, v9
	v_lshlrev_b32_e32 v9, 2, v24
	s_add_i32 s1, s1, s33
	s_delay_alu instid0(SALU_CYCLE_1) | instskip(NEXT) | instid1(VALU_DEP_1)
	s_min_i32 s1, s1, s15
	v_and_b32_e32 v9, 0xffffff80, v9
	s_sub_i32 s6, s1, s33
	s_delay_alu instid0(SALU_CYCLE_1) | instskip(SKIP_2) | instid1(VALU_DEP_1)
	v_cmp_gt_i32_e64 s1, s6, v0
	s_waitcnt lgkmcnt(0)
	v_max_f32_e32 v3, v3, v3
	v_max_f32_e32 v1, v1, v3
	ds_bpermute_b32 v3, v30, v1
	s_waitcnt lgkmcnt(0)
	v_max_f32_e32 v3, v3, v3
	s_delay_alu instid0(VALU_DEP_1)
	v_max_f32_e32 v1, v1, v3
	v_lshl_add_u32 v3, v0, 2, 0x160
	ds_bpermute_b32 v1, v9, v1
	s_and_saveexec_b32 s7, s1
	s_cbranch_execz .LBB20_21
; %bb.18:
	v_lshl_add_u32 v11, v0, 2, 0x160
	v_mov_b32_e32 v10, 0
	v_mov_b32_e32 v12, v0
	s_mov_b32 s29, 0
	.p2align	6
.LBB20_19:                              ; =>This Inner Loop Header: Depth=1
	ds_load_b32 v13, v11
	v_add_nc_u32_e32 v12, 0x80, v12
	s_delay_alu instid0(VALU_DEP_1) | instskip(NEXT) | instid1(VALU_DEP_1)
	v_cmp_le_i32_e64 s3, s6, v12
	s_or_b32 s29, s3, s29
	s_waitcnt lgkmcnt(0)
	v_sub_f32_e32 v13, v13, v1
	s_delay_alu instid0(VALU_DEP_1) | instskip(NEXT) | instid1(VALU_DEP_1)
	v_mul_f32_e32 v13, 0x3fb8aa3b, v13
	v_exp_f32_e32 v13, v13
	ds_store_b32 v11, v13
	v_dual_add_f32 v10, v10, v13 :: v_dual_add_nc_u32 v11, 0x200, v11
	s_and_not1_b32 exec_lo, exec_lo, s29
	s_cbranch_execnz .LBB20_19
; %bb.20:
	s_or_b32 exec_lo, exec_lo, s29
.LBB20_21:
	s_delay_alu instid0(SALU_CYCLE_1)
	s_or_b32 exec_lo, exec_lo, s7
	ds_bpermute_b32 v2, v2, v10
	s_waitcnt lgkmcnt(0)
	v_add_f32_e32 v2, v10, v2
	ds_bpermute_b32 v4, v4, v2
	s_waitcnt lgkmcnt(0)
	v_add_f32_e32 v2, v2, v4
	;; [unrolled: 3-line block ×5, first 2 shown]
	s_and_saveexec_b32 s3, vcc_lo
	s_cbranch_execz .LBB20_23
; %bb.22:
	ds_store_b32 v5, v2 offset:336
.LBB20_23:
	s_or_b32 exec_lo, exec_lo, s3
	s_waitcnt lgkmcnt(0)
	s_barrier
	buffer_gl0_inv
	s_and_saveexec_b32 s3, s0
	s_cbranch_execz .LBB20_25
; %bb.24:
	ds_load_b32 v2, v6 offset:336
.LBB20_25:
	s_or_b32 exec_lo, exec_lo, s3
	s_waitcnt lgkmcnt(0)
	ds_bpermute_b32 v4, v8, v2
	s_waitcnt lgkmcnt(0)
	v_add_f32_e32 v2, v2, v4
	ds_bpermute_b32 v4, v30, v2
	s_waitcnt lgkmcnt(0)
	v_add_f32_e32 v2, v2, v4
	ds_bpermute_b32 v2, v9, v2
	s_and_saveexec_b32 s0, s1
	s_cbranch_execz .LBB20_28
; %bb.26:
	s_waitcnt lgkmcnt(0)
	v_add_f32_e32 v4, 0x358637bd, v2
	s_mov_b32 s1, 0
	s_delay_alu instid0(VALU_DEP_1) | instskip(SKIP_1) | instid1(VALU_DEP_2)
	v_div_scale_f32 v5, null, v4, v4, 1.0
	v_div_scale_f32 v8, vcc_lo, 1.0, v4, 1.0
	v_rcp_f32_e32 v6, v5
	s_waitcnt_depctr 0xfff
	v_fma_f32 v7, -v5, v6, 1.0
	s_delay_alu instid0(VALU_DEP_1) | instskip(NEXT) | instid1(VALU_DEP_1)
	v_fmac_f32_e32 v6, v7, v6
	v_mul_f32_e32 v7, v8, v6
	s_delay_alu instid0(VALU_DEP_1) | instskip(NEXT) | instid1(VALU_DEP_1)
	v_fma_f32 v9, -v5, v7, v8
	v_fmac_f32_e32 v7, v9, v6
	s_delay_alu instid0(VALU_DEP_1) | instskip(NEXT) | instid1(VALU_DEP_1)
	v_fma_f32 v5, -v5, v7, v8
	v_div_fmas_f32 v5, v5, v6, v7
	s_delay_alu instid0(VALU_DEP_1)
	v_div_fixup_f32 v4, v5, v4, 1.0
	v_mov_b32_e32 v5, v0
.LBB20_27:                              ; =>This Inner Loop Header: Depth=1
	ds_load_b32 v6, v3
	s_waitcnt lgkmcnt(0)
	v_dual_mul_f32 v6, v4, v6 :: v_dual_add_nc_u32 v5, 0x80, v5
	s_delay_alu instid0(VALU_DEP_1) | instskip(SKIP_3) | instid1(SALU_CYCLE_1)
	v_cmp_le_i32_e32 vcc_lo, s6, v5
	ds_store_b32 v3, v6
	v_add_nc_u32_e32 v3, 0x200, v3
	s_or_b32 s1, vcc_lo, s1
	s_and_not1_b32 exec_lo, exec_lo, s1
	s_cbranch_execnz .LBB20_27
.LBB20_28:
	s_or_b32 exec_lo, exec_lo, s0
	s_mul_i32 s0, s4, s14
	s_waitcnt lgkmcnt(0)
	s_mul_i32 s6, s0, s13
	s_mov_b32 s0, exec_lo
	s_barrier
	buffer_gl0_inv
	v_cmpx_eq_u32_e32 0, v0
	s_cbranch_execz .LBB20_30
; %bb.29:
	s_ashr_i32 s7, s6, 31
	s_mul_i32 s34, s4, s20
	s_lshl_b64 s[30:31], s[6:7], 2
	v_mov_b32_e32 v3, 0
	s_add_u32 s1, s10, s30
	s_addc_u32 s3, s11, s31
	s_ashr_i32 s35, s34, 31
	s_delay_alu instid0(SALU_CYCLE_1) | instskip(NEXT) | instid1(SALU_CYCLE_1)
	s_lshl_b64 s[10:11], s[34:35], 2
	s_add_u32 s1, s1, s10
	s_addc_u32 s3, s3, s11
	s_ashr_i32 s13, s12, 31
	s_delay_alu instid0(SALU_CYCLE_1) | instskip(NEXT) | instid1(SALU_CYCLE_1)
	s_lshl_b64 s[34:35], s[12:13], 2
	s_add_u32 s36, s1, s34
	s_addc_u32 s37, s3, s35
	s_add_u32 s1, s8, s30
	s_addc_u32 s3, s9, s31
	;; [unrolled: 2-line block ×4, first 2 shown]
	s_clause 0x1
	global_store_b32 v3, v1, s[36:37]
	global_store_b32 v3, v2, s[8:9]
.LBB20_30:
	s_or_b32 exec_lo, exec_lo, s0
	v_dual_mov_b32 v32, 0 :: v_dual_and_b32 v31, 1, v0
	v_dual_mov_b32 v34, 0 :: v_dual_mov_b32 v35, 0
	v_dual_mov_b32 v36, 0 :: v_dual_mov_b32 v33, 0
	s_mov_b32 s3, 0
	s_and_saveexec_b32 s1, s2
	s_cbranch_execz .LBB20_44
; %bb.31:
	v_dual_mov_b32 v36, 0 :: v_dual_lshlrev_b32 v1, 4, v0
	s_ashr_i32 s29, s28, 31
	v_dual_mov_b32 v33, 0 :: v_dual_and_b32 v2, 4, v23
	s_delay_alu instid0(VALU_DEP_2) | instskip(SKIP_4) | instid1(VALU_DEP_2)
	v_dual_mov_b32 v32, 0 :: v_dual_and_b32 v1, 0x1f0, v1
	v_lshl_add_u32 v4, v28, 3, s33
	s_lshl_b64 s[8:9], s[28:29], 2
	v_dual_mov_b32 v34, 0 :: v_dual_lshlrev_b32 v3, 4, v31
	s_add_u32 s0, s26, s8
	v_add3_u32 v39, v4, v2, 3
	v_add_co_u32 v37, s0, s0, v1
	v_lshlrev_b64 v[1:2], 2, v[25:26]
	s_addc_u32 s2, s27, s9
	s_lshl_b64 s[8:9], s[24:25], 2
	s_add_i32 s21, s21, -1
	v_lshl_or_b32 v3, v28, 5, v3
	v_add_co_ci_u32_e64 v38, null, s2, 0, s0
	s_add_u32 s0, s22, s8
	s_addc_u32 s2, s23, s9
	v_add_co_u32 v26, vcc_lo, s0, v1
	v_dual_mov_b32 v35, 0 :: v_dual_add_nc_u32 v40, 0x160, v3
	v_add_co_ci_u32_e32 v27, vcc_lo, s2, v2, vcc_lo
	s_mov_b32 s2, s5
	s_branch .LBB20_33
.LBB20_32:                              ;   in Loop: Header=BB20_33 Depth=1
	s_or_b32 exec_lo, exec_lo, s0
	s_waitcnt vmcnt(2) lgkmcnt(0)
	v_mul_f32_e32 v14, v2, v14
	v_dual_mul_f32 v6, v2, v6 :: v_dual_add_nc_u32 v25, 4, v25
	v_dual_mul_f32 v10, v2, v10 :: v_dual_add_nc_u32 v39, 32, v39
	s_delay_alu instid0(VALU_DEP_3)
	v_fmac_f32_e32 v14, v1, v13
	s_waitcnt vmcnt(1)
	v_mul_f32_e32 v18, v2, v18
	s_waitcnt vmcnt(0)
	v_mul_f32_e32 v2, v2, v22
	v_fmac_f32_e32 v10, v1, v9
	v_cmp_le_i32_e32 vcc_lo, s17, v25
	v_fmac_f32_e32 v14, v3, v15
	v_fmac_f32_e32 v18, v1, v17
	;; [unrolled: 1-line block ×3, first 2 shown]
	v_add_co_u32 v26, s0, v26, 16
	s_delay_alu instid0(VALU_DEP_4) | instskip(SKIP_3) | instid1(VALU_DEP_4)
	v_fmac_f32_e32 v14, v4, v16
	v_fmac_f32_e32 v6, v1, v5
	;; [unrolled: 1-line block ×4, first 2 shown]
	v_dual_add_f32 v35, v35, v14 :: v_dual_add_nc_u32 v40, 0x80, v40
	s_delay_alu instid0(VALU_DEP_4) | instskip(NEXT) | instid1(VALU_DEP_4)
	v_fmac_f32_e32 v6, v3, v7
	v_fmac_f32_e32 v18, v4, v20
	s_delay_alu instid0(VALU_DEP_4) | instskip(SKIP_1) | instid1(VALU_DEP_4)
	v_fmac_f32_e32 v2, v4, v24
	v_add_co_ci_u32_e64 v27, s0, 0, v27, s0
	v_fmac_f32_e32 v6, v4, v8
	v_fmac_f32_e32 v10, v3, v11
	v_add_f32_e32 v34, v34, v18
	v_add_f32_e32 v32, v32, v2
	s_or_b32 s3, vcc_lo, s3
	s_delay_alu instid0(VALU_DEP_3) | instskip(NEXT) | instid1(VALU_DEP_1)
	v_dual_add_f32 v33, v33, v6 :: v_dual_fmac_f32 v10, v4, v12
	v_add_f32_e32 v36, v36, v10
	s_and_not1_b32 exec_lo, exec_lo, s3
	s_cbranch_execz .LBB20_43
.LBB20_33:                              ; =>This Inner Loop Header: Depth=1
	global_load_b32 v3, v[26:27], off
	v_add_nc_u32_e32 v41, -3, v39
	v_add_nc_u32_e32 v43, -2, v39
	;; [unrolled: 1-line block ×3, first 2 shown]
	s_waitcnt vmcnt(0)
	v_mad_i64_i32 v[1:2], null, v3, s2, 0
	s_delay_alu instid0(VALU_DEP_1) | instskip(NEXT) | instid1(VALU_DEP_1)
	v_lshlrev_b64 v[1:2], 2, v[1:2]
	v_add_co_u32 v21, vcc_lo, v37, v1
	s_delay_alu instid0(VALU_DEP_2)
	v_add_co_ci_u32_e32 v22, vcc_lo, v38, v2, vcc_lo
	ds_load_b128 v[1:4], v40
	v_cmp_eq_u32_e32 vcc_lo, s21, v25
	global_load_b128 v[5:8], v[21:22], off
	s_and_saveexec_b32 s5, vcc_lo
	s_cbranch_execnz .LBB20_38
; %bb.34:                               ;   in Loop: Header=BB20_33 Depth=1
	s_or_b32 exec_lo, exec_lo, s5
	global_load_b128 v[9:12], v[21:22], off offset:512
	s_and_saveexec_b32 s5, vcc_lo
	s_cbranch_execnz .LBB20_39
.LBB20_35:                              ;   in Loop: Header=BB20_33 Depth=1
	s_or_b32 exec_lo, exec_lo, s5
	global_load_b128 v[13:16], v[21:22], off offset:1024
	s_and_saveexec_b32 s5, vcc_lo
	s_cbranch_execnz .LBB20_40
.LBB20_36:                              ;   in Loop: Header=BB20_33 Depth=1
	s_or_b32 exec_lo, exec_lo, s5
	global_load_b128 v[17:20], v[21:22], off offset:1536
	s_and_saveexec_b32 s5, vcc_lo
	s_cbranch_execnz .LBB20_41
.LBB20_37:                              ;   in Loop: Header=BB20_33 Depth=1
	s_or_b32 exec_lo, exec_lo, s5
	global_load_b128 v[21:24], v[21:22], off offset:2048
	s_and_saveexec_b32 s0, vcc_lo
	s_cbranch_execz .LBB20_32
	s_branch .LBB20_42
.LBB20_38:                              ;   in Loop: Header=BB20_33 Depth=1
	v_cmp_gt_i32_e64 s0, s15, v41
	s_waitcnt vmcnt(0)
	s_delay_alu instid0(VALU_DEP_1) | instskip(SKIP_1) | instid1(VALU_DEP_1)
	v_cndmask_b32_e64 v5, 0, v5, s0
	v_cmp_gt_i32_e64 s0, s15, v43
	v_cndmask_b32_e64 v6, 0, v6, s0
	v_cmp_gt_i32_e64 s0, s15, v42
	s_delay_alu instid0(VALU_DEP_1) | instskip(SKIP_1) | instid1(VALU_DEP_1)
	v_cndmask_b32_e64 v7, 0, v7, s0
	v_cmp_gt_i32_e64 s0, s15, v39
	v_cndmask_b32_e64 v8, 0, v8, s0
	s_or_b32 exec_lo, exec_lo, s5
	global_load_b128 v[9:12], v[21:22], off offset:512
	s_and_saveexec_b32 s5, vcc_lo
	s_cbranch_execz .LBB20_35
.LBB20_39:                              ;   in Loop: Header=BB20_33 Depth=1
	v_cmp_gt_i32_e64 s0, s15, v41
	s_waitcnt vmcnt(0)
	s_delay_alu instid0(VALU_DEP_1) | instskip(SKIP_1) | instid1(VALU_DEP_1)
	v_cndmask_b32_e64 v9, 0, v9, s0
	v_cmp_gt_i32_e64 s0, s15, v43
	v_cndmask_b32_e64 v10, 0, v10, s0
	v_cmp_gt_i32_e64 s0, s15, v42
	s_delay_alu instid0(VALU_DEP_1) | instskip(SKIP_1) | instid1(VALU_DEP_1)
	v_cndmask_b32_e64 v11, 0, v11, s0
	v_cmp_gt_i32_e64 s0, s15, v39
	v_cndmask_b32_e64 v12, 0, v12, s0
	s_or_b32 exec_lo, exec_lo, s5
	global_load_b128 v[13:16], v[21:22], off offset:1024
	s_and_saveexec_b32 s5, vcc_lo
	s_cbranch_execz .LBB20_36
.LBB20_40:                              ;   in Loop: Header=BB20_33 Depth=1
	v_cmp_gt_i32_e64 s0, s15, v41
	s_waitcnt vmcnt(0)
	s_delay_alu instid0(VALU_DEP_1) | instskip(SKIP_1) | instid1(VALU_DEP_1)
	v_cndmask_b32_e64 v13, 0, v13, s0
	v_cmp_gt_i32_e64 s0, s15, v43
	v_cndmask_b32_e64 v14, 0, v14, s0
	v_cmp_gt_i32_e64 s0, s15, v42
	s_delay_alu instid0(VALU_DEP_1) | instskip(SKIP_1) | instid1(VALU_DEP_1)
	v_cndmask_b32_e64 v15, 0, v15, s0
	v_cmp_gt_i32_e64 s0, s15, v39
	v_cndmask_b32_e64 v16, 0, v16, s0
	s_or_b32 exec_lo, exec_lo, s5
	global_load_b128 v[17:20], v[21:22], off offset:1536
	s_and_saveexec_b32 s5, vcc_lo
	s_cbranch_execz .LBB20_37
.LBB20_41:                              ;   in Loop: Header=BB20_33 Depth=1
	v_cmp_gt_i32_e64 s0, s15, v41
	s_waitcnt vmcnt(0)
	s_delay_alu instid0(VALU_DEP_1) | instskip(SKIP_1) | instid1(VALU_DEP_1)
	v_cndmask_b32_e64 v17, 0, v17, s0
	v_cmp_gt_i32_e64 s0, s15, v43
	v_cndmask_b32_e64 v18, 0, v18, s0
	v_cmp_gt_i32_e64 s0, s15, v42
	s_delay_alu instid0(VALU_DEP_1) | instskip(SKIP_1) | instid1(VALU_DEP_1)
	v_cndmask_b32_e64 v19, 0, v19, s0
	v_cmp_gt_i32_e64 s0, s15, v39
	v_cndmask_b32_e64 v20, 0, v20, s0
	s_or_b32 exec_lo, exec_lo, s5
	global_load_b128 v[21:24], v[21:22], off offset:2048
	s_and_saveexec_b32 s0, vcc_lo
	s_cbranch_execz .LBB20_32
.LBB20_42:                              ;   in Loop: Header=BB20_33 Depth=1
	v_cmp_gt_i32_e32 vcc_lo, s15, v41
	s_waitcnt vmcnt(0)
	v_cndmask_b32_e32 v21, 0, v21, vcc_lo
	v_cmp_gt_i32_e32 vcc_lo, s15, v43
	v_cndmask_b32_e32 v22, 0, v22, vcc_lo
	v_cmp_gt_i32_e32 vcc_lo, s15, v42
	;; [unrolled: 2-line block ×3, first 2 shown]
	v_cndmask_b32_e32 v24, 0, v24, vcc_lo
	s_branch .LBB20_32
.LBB20_43:
	s_or_b32 exec_lo, exec_lo, s3
.LBB20_44:
	s_delay_alu instid0(SALU_CYCLE_1)
	s_or_b32 exec_lo, exec_lo, s1
	ds_bpermute_b32 v1, v30, v33
	ds_bpermute_b32 v2, v30, v36
	;; [unrolled: 1-line block ×5, first 2 shown]
	v_and_b32_e32 v4, 0x3c1, v0
	v_lshrrev_b32_e32 v6, 1, v29
	s_movk_i32 s0, 0x140
	s_waitcnt lgkmcnt(0)
	s_waitcnt_vscnt null, 0x0
	v_mad_u32_u24 v7, v28, s0, 0x160
	s_barrier
	buffer_gl0_inv
	v_add_f32_e32 v5, v33, v1
	v_cmp_eq_u32_e32 vcc_lo, 64, v4
	v_dual_add_f32 v4, v36, v2 :: v_dual_add_f32 v3, v35, v3
	v_dual_add_f32 v2, v34, v8 :: v_dual_add_f32 v1, v32, v9
	v_lshlrev_b32_e32 v8, 2, v6
	s_and_saveexec_b32 s0, vcc_lo
	s_cbranch_execz .LBB20_46
; %bb.45:
	s_delay_alu instid0(VALU_DEP_1)
	v_add3_u32 v9, v7, v8, 0xfffffd80
	ds_store_2addr_b32 v9, v5, v4 offset1:16
	ds_store_2addr_b32 v9, v3, v2 offset0:32 offset1:48
	ds_store_b32 v9, v1 offset:256
.LBB20_46:
	s_or_b32 exec_lo, exec_lo, s0
	v_cmp_eq_u32_e32 vcc_lo, 0, v31
	s_mov_b32 s1, exec_lo
	s_waitcnt lgkmcnt(0)
	s_barrier
	buffer_gl0_inv
	v_cmpx_gt_u32_e32 64, v0
	s_cbranch_execz .LBB20_54
; %bb.47:
	s_and_saveexec_b32 s0, vcc_lo
	s_cbranch_execnz .LBB20_67
; %bb.48:
	s_or_b32 exec_lo, exec_lo, s0
	s_and_saveexec_b32 s0, vcc_lo
	s_cbranch_execnz .LBB20_68
.LBB20_49:
	s_or_b32 exec_lo, exec_lo, s0
	s_and_saveexec_b32 s0, vcc_lo
	s_cbranch_execnz .LBB20_69
.LBB20_50:
	s_or_b32 exec_lo, exec_lo, s0
	s_and_saveexec_b32 s0, vcc_lo
	s_cbranch_execnz .LBB20_70
.LBB20_51:
	s_or_b32 exec_lo, exec_lo, s0
	s_and_saveexec_b32 s0, vcc_lo
	s_cbranch_execz .LBB20_53
.LBB20_52:
	v_lshl_add_u32 v9, v6, 2, v7
	ds_load_b32 v9, v9 offset:256
	s_waitcnt lgkmcnt(0)
	v_add_f32_e32 v1, v1, v9
.LBB20_53:
	s_or_b32 exec_lo, exec_lo, s0
.LBB20_54:
	s_delay_alu instid0(SALU_CYCLE_1)
	s_or_b32 exec_lo, exec_lo, s1
	v_and_b32_e32 v9, 0x3e1, v0
	s_mov_b32 s1, exec_lo
	s_barrier
	buffer_gl0_inv
	v_cmpx_eq_u32_e32 32, v9
	s_cbranch_execz .LBB20_56
; %bb.55:
	v_add3_u32 v8, v7, v8, 0xfffffec0
	ds_store_2addr_b32 v8, v5, v4 offset1:16
	ds_store_2addr_b32 v8, v3, v2 offset0:32 offset1:48
	ds_store_b32 v8, v1 offset:256
.LBB20_56:
	s_or_b32 exec_lo, exec_lo, s1
	s_delay_alu instid0(SALU_CYCLE_1)
	s_mov_b32 s1, exec_lo
	s_waitcnt lgkmcnt(0)
	s_barrier
	buffer_gl0_inv
	v_cmpx_gt_u32_e32 32, v0
	s_cbranch_execz .LBB20_64
; %bb.57:
	v_lshl_add_u32 v6, v6, 2, v7
	s_and_saveexec_b32 s0, vcc_lo
	s_cbranch_execnz .LBB20_71
; %bb.58:
	s_or_b32 exec_lo, exec_lo, s0
	s_and_saveexec_b32 s0, vcc_lo
	s_cbranch_execnz .LBB20_72
.LBB20_59:
	s_or_b32 exec_lo, exec_lo, s0
	s_and_saveexec_b32 s0, vcc_lo
	s_cbranch_execnz .LBB20_73
.LBB20_60:
	s_or_b32 exec_lo, exec_lo, s0
	s_and_saveexec_b32 s0, vcc_lo
	s_cbranch_execnz .LBB20_74
.LBB20_61:
	s_or_b32 exec_lo, exec_lo, s0
	s_and_saveexec_b32 s0, vcc_lo
	s_cbranch_execz .LBB20_63
.LBB20_62:
	ds_load_b32 v6, v6 offset:256
	s_waitcnt lgkmcnt(0)
	v_add_f32_e32 v1, v1, v6
.LBB20_63:
	s_or_b32 exec_lo, exec_lo, s0
.LBB20_64:
	s_delay_alu instid0(SALU_CYCLE_1)
	s_or_b32 exec_lo, exec_lo, s1
	s_barrier
	buffer_gl0_inv
	s_mov_b32 s0, exec_lo
	v_cmpx_eq_u32_e32 0, v9
	s_cbranch_execz .LBB20_66
; %bb.65:
	s_mul_i32 s0, s6, 0x50
	s_mul_i32 s2, s4, s16
	s_ashr_i32 s1, s0, 31
	v_lshlrev_b32_e32 v0, 1, v0
	s_lshl_b64 s[0:1], s[0:1], 2
	s_delay_alu instid0(SALU_CYCLE_1) | instskip(SKIP_2) | instid1(SALU_CYCLE_1)
	s_add_u32 s4, s18, s0
	s_addc_u32 s5, s19, s1
	s_ashr_i32 s3, s2, 31
	s_lshl_b64 s[0:1], s[2:3], 2
	s_mul_i32 s2, s12, 0x50
	s_add_u32 s4, s4, s0
	s_addc_u32 s5, s5, s1
	s_ashr_i32 s3, s2, 31
	s_delay_alu instid0(SALU_CYCLE_1) | instskip(NEXT) | instid1(SALU_CYCLE_1)
	s_lshl_b64 s[0:1], s[2:3], 2
	s_add_u32 s0, s4, s0
	s_addc_u32 s1, s5, s1
	s_clause 0x4
	global_store_b32 v0, v5, s[0:1]
	global_store_b32 v0, v4, s[0:1] offset:64
	global_store_b32 v0, v3, s[0:1] offset:128
	global_store_b32 v0, v2, s[0:1] offset:192
	global_store_b32 v0, v1, s[0:1] offset:256
.LBB20_66:
	s_nop 0
	s_sendmsg sendmsg(MSG_DEALLOC_VGPRS)
	s_endpgm
.LBB20_67:
	v_lshl_add_u32 v9, v6, 2, v7
	ds_load_b32 v9, v9
	s_waitcnt lgkmcnt(0)
	v_add_f32_e32 v5, v5, v9
	s_or_b32 exec_lo, exec_lo, s0
	s_and_saveexec_b32 s0, vcc_lo
	s_cbranch_execz .LBB20_49
.LBB20_68:
	v_lshl_add_u32 v9, v6, 2, v7
	ds_load_b32 v9, v9 offset:64
	s_waitcnt lgkmcnt(0)
	v_add_f32_e32 v4, v4, v9
	s_or_b32 exec_lo, exec_lo, s0
	s_and_saveexec_b32 s0, vcc_lo
	s_cbranch_execz .LBB20_50
.LBB20_69:
	v_lshl_add_u32 v9, v6, 2, v7
	ds_load_b32 v9, v9 offset:128
	s_waitcnt lgkmcnt(0)
	v_add_f32_e32 v3, v3, v9
	s_or_b32 exec_lo, exec_lo, s0
	s_and_saveexec_b32 s0, vcc_lo
	s_cbranch_execz .LBB20_51
.LBB20_70:
	v_lshl_add_u32 v9, v6, 2, v7
	ds_load_b32 v9, v9 offset:192
	s_waitcnt lgkmcnt(0)
	v_add_f32_e32 v2, v2, v9
	s_or_b32 exec_lo, exec_lo, s0
	s_and_saveexec_b32 s0, vcc_lo
	s_cbranch_execnz .LBB20_52
	s_branch .LBB20_53
.LBB20_71:
	ds_load_b32 v7, v6
	s_waitcnt lgkmcnt(0)
	v_add_f32_e32 v5, v5, v7
	s_or_b32 exec_lo, exec_lo, s0
	s_and_saveexec_b32 s0, vcc_lo
	s_cbranch_execz .LBB20_59
.LBB20_72:
	ds_load_b32 v7, v6 offset:64
	s_waitcnt lgkmcnt(0)
	v_add_f32_e32 v4, v4, v7
	s_or_b32 exec_lo, exec_lo, s0
	s_and_saveexec_b32 s0, vcc_lo
	s_cbranch_execz .LBB20_60
.LBB20_73:
	ds_load_b32 v7, v6 offset:128
	s_waitcnt lgkmcnt(0)
	v_add_f32_e32 v3, v3, v7
	s_or_b32 exec_lo, exec_lo, s0
	s_and_saveexec_b32 s0, vcc_lo
	s_cbranch_execz .LBB20_61
.LBB20_74:
	ds_load_b32 v7, v6 offset:192
	s_waitcnt lgkmcnt(0)
	v_add_f32_e32 v2, v2, v7
	s_or_b32 exec_lo, exec_lo, s0
	s_and_saveexec_b32 s0, vcc_lo
	s_cbranch_execnz .LBB20_62
	s_branch .LBB20_63
	.section	.rodata,"a",@progbits
	.p2align	6, 0x0
	.amdhsa_kernel _ZN4vllm25paged_attention_v2_kernelIffLi80ELi8ELi128ELNS_18Fp8KVCacheDataTypeE0ELb0ELi512EEEvPfS2_PT_PKS3_PKT0_S9_ifPKiSB_iPKfiiiSD_SD_iiiii
		.amdhsa_group_segment_fixed_size 352
		.amdhsa_private_segment_fixed_size 0
		.amdhsa_kernarg_size 400
		.amdhsa_user_sgpr_count 13
		.amdhsa_user_sgpr_dispatch_ptr 0
		.amdhsa_user_sgpr_queue_ptr 0
		.amdhsa_user_sgpr_kernarg_segment_ptr 1
		.amdhsa_user_sgpr_dispatch_id 0
		.amdhsa_user_sgpr_private_segment_size 0
		.amdhsa_wavefront_size32 1
		.amdhsa_uses_dynamic_stack 0
		.amdhsa_enable_private_segment 0
		.amdhsa_system_sgpr_workgroup_id_x 1
		.amdhsa_system_sgpr_workgroup_id_y 1
		.amdhsa_system_sgpr_workgroup_id_z 1
		.amdhsa_system_sgpr_workgroup_info 0
		.amdhsa_system_vgpr_workitem_id 0
		.amdhsa_next_free_vgpr 58
		.amdhsa_next_free_sgpr 38
		.amdhsa_reserve_vcc 1
		.amdhsa_float_round_mode_32 0
		.amdhsa_float_round_mode_16_64 0
		.amdhsa_float_denorm_mode_32 3
		.amdhsa_float_denorm_mode_16_64 3
		.amdhsa_dx10_clamp 1
		.amdhsa_ieee_mode 1
		.amdhsa_fp16_overflow 0
		.amdhsa_workgroup_processor_mode 1
		.amdhsa_memory_ordered 1
		.amdhsa_forward_progress 0
		.amdhsa_shared_vgpr_count 0
		.amdhsa_exception_fp_ieee_invalid_op 0
		.amdhsa_exception_fp_denorm_src 0
		.amdhsa_exception_fp_ieee_div_zero 0
		.amdhsa_exception_fp_ieee_overflow 0
		.amdhsa_exception_fp_ieee_underflow 0
		.amdhsa_exception_fp_ieee_inexact 0
		.amdhsa_exception_int_div_zero 0
	.end_amdhsa_kernel
	.section	.text._ZN4vllm25paged_attention_v2_kernelIffLi80ELi8ELi128ELNS_18Fp8KVCacheDataTypeE0ELb0ELi512EEEvPfS2_PT_PKS3_PKT0_S9_ifPKiSB_iPKfiiiSD_SD_iiiii,"axG",@progbits,_ZN4vllm25paged_attention_v2_kernelIffLi80ELi8ELi128ELNS_18Fp8KVCacheDataTypeE0ELb0ELi512EEEvPfS2_PT_PKS3_PKT0_S9_ifPKiSB_iPKfiiiSD_SD_iiiii,comdat
.Lfunc_end20:
	.size	_ZN4vllm25paged_attention_v2_kernelIffLi80ELi8ELi128ELNS_18Fp8KVCacheDataTypeE0ELb0ELi512EEEvPfS2_PT_PKS3_PKT0_S9_ifPKiSB_iPKfiiiSD_SD_iiiii, .Lfunc_end20-_ZN4vllm25paged_attention_v2_kernelIffLi80ELi8ELi128ELNS_18Fp8KVCacheDataTypeE0ELb0ELi512EEEvPfS2_PT_PKS3_PKT0_S9_ifPKiSB_iPKfiiiSD_SD_iiiii
                                        ; -- End function
	.section	.AMDGPU.csdata,"",@progbits
; Kernel info:
; codeLenInByte = 4572
; NumSgprs: 40
; NumVgprs: 58
; ScratchSize: 0
; MemoryBound: 0
; FloatMode: 240
; IeeeMode: 1
; LDSByteSize: 352 bytes/workgroup (compile time only)
; SGPRBlocks: 4
; VGPRBlocks: 7
; NumSGPRsForWavesPerEU: 40
; NumVGPRsForWavesPerEU: 58
; Occupancy: 16
; WaveLimiterHint : 1
; COMPUTE_PGM_RSRC2:SCRATCH_EN: 0
; COMPUTE_PGM_RSRC2:USER_SGPR: 13
; COMPUTE_PGM_RSRC2:TRAP_HANDLER: 0
; COMPUTE_PGM_RSRC2:TGID_X_EN: 1
; COMPUTE_PGM_RSRC2:TGID_Y_EN: 1
; COMPUTE_PGM_RSRC2:TGID_Z_EN: 1
; COMPUTE_PGM_RSRC2:TIDIG_COMP_CNT: 0
	.section	.text._ZN4vllm25paged_attention_v2_kernelIffLi96ELi8ELi128ELNS_18Fp8KVCacheDataTypeE0ELb0ELi512EEEvPfS2_PT_PKS3_PKT0_S9_ifPKiSB_iPKfiiiSD_SD_iiiii,"axG",@progbits,_ZN4vllm25paged_attention_v2_kernelIffLi96ELi8ELi128ELNS_18Fp8KVCacheDataTypeE0ELb0ELi512EEEvPfS2_PT_PKS3_PKT0_S9_ifPKiSB_iPKfiiiSD_SD_iiiii,comdat
	.protected	_ZN4vllm25paged_attention_v2_kernelIffLi96ELi8ELi128ELNS_18Fp8KVCacheDataTypeE0ELb0ELi512EEEvPfS2_PT_PKS3_PKT0_S9_ifPKiSB_iPKfiiiSD_SD_iiiii ; -- Begin function _ZN4vllm25paged_attention_v2_kernelIffLi96ELi8ELi128ELNS_18Fp8KVCacheDataTypeE0ELb0ELi512EEEvPfS2_PT_PKS3_PKT0_S9_ifPKiSB_iPKfiiiSD_SD_iiiii
	.globl	_ZN4vllm25paged_attention_v2_kernelIffLi96ELi8ELi128ELNS_18Fp8KVCacheDataTypeE0ELb0ELi512EEEvPfS2_PT_PKS3_PKT0_S9_ifPKiSB_iPKfiiiSD_SD_iiiii
	.p2align	8
	.type	_ZN4vllm25paged_attention_v2_kernelIffLi96ELi8ELi128ELNS_18Fp8KVCacheDataTypeE0ELb0ELi512EEEvPfS2_PT_PKS3_PKT0_S9_ifPKiSB_iPKfiiiSD_SD_iiiii,@function
_ZN4vllm25paged_attention_v2_kernelIffLi96ELi8ELi128ELNS_18Fp8KVCacheDataTypeE0ELb0ELi512EEEvPfS2_PT_PKS3_PKT0_S9_ifPKiSB_iPKfiiiSD_SD_iiiii: ; @_ZN4vllm25paged_attention_v2_kernelIffLi96ELi8ELi128ELNS_18Fp8KVCacheDataTypeE0ELb0ELi512EEEvPfS2_PT_PKS3_PKT0_S9_ifPKiSB_iPKfiiiSD_SD_iiiii
; %bb.0:
	s_load_b64 s[2:3], s[0:1], 0x40
	s_mov_b32 s12, s15
	s_ashr_i32 s15, s14, 31
	s_delay_alu instid0(SALU_CYCLE_1)
	s_lshl_b64 s[4:5], s[14:15], 2
	s_waitcnt lgkmcnt(0)
	s_add_u32 s2, s2, s4
	s_addc_u32 s3, s3, s5
	s_lshl_b32 s33, s12, 9
	s_load_b32 s15, s[2:3], 0x0
	s_waitcnt lgkmcnt(0)
	s_cmp_ge_i32 s33, s15
	s_cbranch_scc1 .LBB21_70
; %bb.1:
	s_mov_b32 s20, s13
	s_clause 0x1
	s_load_b32 s13, s[0:1], 0x90
	s_load_b64 s[30:31], s[0:1], 0x30
	s_waitcnt lgkmcnt(0)
	s_abs_i32 s5, s13
	s_abs_i32 s2, s30
	s_delay_alu instid0(SALU_CYCLE_1) | instskip(SKIP_1) | instid1(VALU_DEP_1)
	v_cvt_f32_u32_e32 v1, s2
	s_sub_i32 s4, 0, s2
	v_rcp_iflag_f32_e32 v1, v1
	s_waitcnt_depctr 0xfff
	v_mul_f32_e32 v1, 0x4f7ffffe, v1
	s_delay_alu instid0(VALU_DEP_1) | instskip(NEXT) | instid1(VALU_DEP_1)
	v_cvt_u32_f32_e32 v1, v1
	v_readfirstlane_b32 s3, v1
	s_delay_alu instid0(VALU_DEP_1) | instskip(NEXT) | instid1(SALU_CYCLE_1)
	s_mul_i32 s4, s4, s3
	s_mul_hi_u32 s4, s3, s4
	s_delay_alu instid0(SALU_CYCLE_1)
	s_add_i32 s3, s3, s4
	s_xor_b32 s4, s13, s30
	s_mul_hi_u32 s3, s5, s3
	s_ashr_i32 s4, s4, 31
	s_mul_i32 s6, s3, s2
	s_mov_b32 s30, 0
	s_sub_i32 s5, s5, s6
	s_add_i32 s6, s3, 1
	s_sub_i32 s7, s5, s2
	s_cmp_ge_u32 s5, s2
	s_cselect_b32 s3, s6, s3
	s_cselect_b32 s5, s7, s5
	s_add_i32 s6, s3, 1
	s_cmp_ge_u32 s5, s2
	s_cselect_b32 s2, s6, s3
	s_abs_i32 s10, s20
	s_xor_b32 s2, s2, s4
	s_delay_alu instid0(SALU_CYCLE_1) | instskip(SKIP_2) | instid1(SALU_CYCLE_1)
	s_sub_i32 s11, s2, s4
	s_load_b64 s[2:3], s[0:1], 0x50
	s_abs_i32 s8, s11
	v_cvt_f32_u32_e32 v1, s8
	s_sub_i32 s5, 0, s8
	s_delay_alu instid0(VALU_DEP_1) | instskip(SKIP_2) | instid1(VALU_DEP_1)
	v_rcp_iflag_f32_e32 v1, v1
	s_waitcnt_depctr 0xfff
	v_mul_f32_e32 v1, 0x4f7ffffe, v1
	v_cvt_u32_f32_e32 v1, v1
	s_delay_alu instid0(VALU_DEP_1) | instskip(NEXT) | instid1(VALU_DEP_1)
	v_readfirstlane_b32 s4, v1
	s_mul_i32 s5, s5, s4
	s_delay_alu instid0(SALU_CYCLE_1) | instskip(NEXT) | instid1(SALU_CYCLE_1)
	s_mul_hi_u32 s5, s4, s5
	s_add_i32 s4, s4, s5
	s_waitcnt lgkmcnt(0)
	s_cmp_eq_u64 s[2:3], 0
	s_mul_hi_u32 s9, s10, s4
	s_cbranch_scc1 .LBB21_3
; %bb.2:
	s_ashr_i32 s21, s20, 31
	s_delay_alu instid0(SALU_CYCLE_1) | instskip(NEXT) | instid1(SALU_CYCLE_1)
	s_lshl_b64 s[4:5], s[20:21], 2
	s_add_u32 s2, s2, s4
	s_addc_u32 s3, s3, s5
	s_load_b32 s30, s[2:3], 0x0
.LBB21_3:
	s_load_b128 s[4:7], s[0:1], 0x58
	v_and_b32_e32 v25, 3, v0
	v_lshlrev_b32_e32 v27, 2, v0
	s_ashr_i32 s2, s20, 31
	s_ashr_i32 s3, s11, 31
	s_mul_i32 s16, s20, 0x60
	s_waitcnt lgkmcnt(0)
	s_mov_b32 s7, exec_lo
	v_cmpx_gt_u32_e32 0x60, v0
	s_cbranch_execz .LBB21_5
; %bb.4:
	s_load_b64 s[18:19], s[0:1], 0x18
	s_mul_i32 s22, s14, s4
	v_and_b32_e32 v2, 0x3fc, v0
	s_ashr_i32 s23, s22, 31
	s_delay_alu instid0(SALU_CYCLE_1) | instskip(NEXT) | instid1(VALU_DEP_1)
	s_lshl_b64 s[22:23], s[22:23], 2
	v_mad_u32_u24 v2, 0x60, v25, v2
	s_waitcnt lgkmcnt(0)
	s_add_u32 s4, s18, s22
	s_addc_u32 s11, s19, s23
	s_ashr_i32 s17, s16, 31
	s_delay_alu instid0(SALU_CYCLE_1) | instskip(NEXT) | instid1(SALU_CYCLE_1)
	s_lshl_b64 s[18:19], s[16:17], 2
	s_add_u32 s18, s4, s18
	s_addc_u32 s19, s11, s19
	global_load_b32 v1, v27, s[18:19]
	s_waitcnt vmcnt(0)
	ds_store_b32 v2, v1
.LBB21_5:
	s_or_b32 exec_lo, exec_lo, s7
	s_add_i32 s4, s15, 7
	s_lshl_b32 s7, s12, 6
	s_ashr_i32 s11, s4, 31
	s_xor_b32 s2, s2, s3
	s_lshr_b32 s11, s11, 29
	s_add_i32 s3, s7, 64
	s_add_i32 s4, s4, s11
	s_clause 0x1
	s_load_b64 s[22:23], s[0:1], 0x38
	s_load_b32 s11, s[0:1], 0x48
	s_ashr_i32 s21, s4, 3
	s_mul_i32 s4, s9, s8
	s_min_i32 s17, s3, s21
	s_sub_i32 s3, s10, s4
	s_add_i32 s4, s9, 1
	s_sub_i32 s10, s3, s8
	s_cmp_ge_u32 s3, s8
	v_lshrrev_b32_e32 v32, 5, v0
	s_cselect_b32 s4, s4, s9
	s_cselect_b32 s3, s10, s3
	s_add_i32 s9, s4, 1
	s_cmp_ge_u32 s3, s8
	v_or_b32_e32 v29, s7, v32
	s_cselect_b32 s3, s9, s4
	v_mbcnt_lo_u32_b32 v28, -1, 0
	s_xor_b32 s3, s3, s2
	s_mov_b32 s4, exec_lo
	s_sub_i32 s3, s3, s2
	v_cmp_gt_i32_e64 s2, s17, v29
	s_waitcnt lgkmcnt(0)
	s_mul_i32 s24, s14, s11
	s_delay_alu instid0(SALU_CYCLE_1)
	s_ashr_i32 s25, s24, 31
	s_barrier
	buffer_gl0_inv
                                        ; implicit-def: $sgpr28
                                        ; implicit-def: $vgpr31
	v_cmpx_le_i32_e64 s17, v29
	s_xor_b32 s4, exec_lo, s4
; %bb.6:
	v_mbcnt_lo_u32_b32 v28, -1, 0
	v_mov_b32_e32 v31, 32
	s_mov_b32 s28, 0xff7fffff
                                        ; implicit-def: $vgpr25
; %bb.7:
	s_or_saveexec_b32 s34, s4
	s_clause 0x3
	s_load_b128 s[8:11], s[0:1], 0x0
	s_load_b64 s[18:19], s[0:1], 0x10
	s_load_b64 s[26:27], s[0:1], 0x28
	s_load_b32 s4, s[0:1], 0x98
	v_mov_b32_e32 v33, s28
	v_ashrrev_i32_e32 v30, 31, v29
	s_mul_i32 s28, s3, s6
	s_xor_b32 exec_lo, exec_lo, s34
	s_cbranch_execz .LBB21_13
; %bb.8:
	s_load_b64 s[0:1], s[0:1], 0x20
	v_xor_b32_e32 v18, 2, v28
	v_bfe_u32 v26, v0, 2, 3
	v_xor_b32_e32 v19, 1, v28
	s_ashr_i32 s29, s28, 31
	v_mul_u32_u24_e32 v21, 0x60, v25
	v_cmp_gt_i32_e32 vcc_lo, 32, v18
	v_lshlrev_b32_e32 v17, 2, v25
	s_lshl_b64 s[36:37], s[28:29], 2
	v_dual_mov_b32 v40, v29 :: v_dual_lshlrev_b32 v33, 2, v26
	v_cndmask_b32_e32 v36, v28, v18, vcc_lo
	v_cmp_gt_i32_e32 vcc_lo, 32, v19
	v_lshlrev_b32_e32 v20, 4, v26
	ds_load_b128 v[1:4], v21
	ds_load_b128 v[5:8], v21 offset:16
	ds_load_b128 v[9:12], v21 offset:32
	;; [unrolled: 1-line block ×3, first 2 shown]
	v_lshlrev_b32_e32 v38, 3, v32
	v_lshl_or_b32 v33, v32, 5, v33
	v_cndmask_b32_e32 v37, v28, v19, vcc_lo
	v_dual_mov_b32 v31, 32 :: v_dual_lshlrev_b32 v36, 2, v36
	s_waitcnt lgkmcnt(0)
	s_add_u32 s0, s0, s36
	s_addc_u32 s1, s1, s37
	v_add_co_u32 v18, s0, s0, v20
	s_delay_alu instid0(VALU_DEP_1) | instskip(SKIP_1) | instid1(VALU_DEP_3)
	v_add_co_ci_u32_e64 v20, null, s1, 0, s0
	v_add_nc_u32_e32 v39, 0x1a0, v33
	v_add_co_u32 v34, vcc_lo, v18, v17
	s_delay_alu instid0(VALU_DEP_3)
	v_add_co_ci_u32_e32 v35, vcc_lo, 0, v20, vcc_lo
	ds_load_b128 v[17:20], v21 offset:64
	ds_load_b128 v[21:24], v21 offset:80
	v_cmp_eq_u32_e32 vcc_lo, 0, v25
	v_mov_b32_e32 v33, 0xff7fffff
	v_add3_u32 v38, s33, v38, v26
	v_lshlrev_b64 v[25:26], 2, v[29:30]
	s_lshl_b64 s[36:37], s[24:25], 2
	s_sub_i32 s6, 1, s15
	s_add_u32 s1, s22, s36
	s_addc_u32 s3, s23, s37
	v_lshlrev_b32_e32 v37, 2, v37
	v_add_co_u32 v25, s1, s1, v25
	v_cmp_neq_f32_e64 s0, s30, 0
	v_add_co_ci_u32_e64 v26, s1, s3, v26, s1
	s_mov_b32 s35, s5
	s_mov_b32 s29, 0
	s_branch .LBB21_10
.LBB21_9:                               ;   in Loop: Header=BB21_10 Depth=1
	s_or_b32 exec_lo, exec_lo, s3
	v_add_nc_u32_e32 v40, 4, v40
	v_add_co_u32 v25, s3, v25, 16
	v_add_nc_u32_e32 v38, 32, v38
	v_add_nc_u32_e32 v39, 0x80, v39
	s_delay_alu instid0(VALU_DEP_4) | instskip(SKIP_1) | instid1(VALU_DEP_2)
	v_cmp_le_i32_e64 s1, s17, v40
	v_add_co_ci_u32_e64 v26, s3, 0, v26, s3
	s_or_b32 s29, s1, s29
	s_delay_alu instid0(SALU_CYCLE_1)
	s_and_not1_b32 exec_lo, exec_lo, s29
	s_cbranch_execz .LBB21_12
.LBB21_10:                              ; =>This Inner Loop Header: Depth=1
	global_load_b32 v43, v[25:26], off
	s_waitcnt vmcnt(0) lgkmcnt(0)
	v_mad_i64_i32 v[41:42], null, v43, s35, 0
	s_delay_alu instid0(VALU_DEP_1) | instskip(NEXT) | instid1(VALU_DEP_1)
	v_lshlrev_b64 v[41:42], 2, v[41:42]
	v_add_co_u32 v41, s1, v34, v41
	s_delay_alu instid0(VALU_DEP_1)
	v_add_co_ci_u32_e64 v42, s1, v35, v42, s1
	s_clause 0x17
	global_load_b32 v43, v[41:42], off offset:128
	global_load_b32 v44, v[41:42], off
	global_load_b32 v45, v[41:42], off offset:256
	global_load_b32 v46, v[41:42], off offset:384
	;; [unrolled: 1-line block ×22, first 2 shown]
	s_waitcnt vmcnt(23)
	v_mul_f32_e32 v42, v2, v43
	s_waitcnt vmcnt(22)
	s_delay_alu instid0(VALU_DEP_1) | instskip(SKIP_1) | instid1(VALU_DEP_1)
	v_fmac_f32_e32 v42, v1, v44
	s_waitcnt vmcnt(21)
	v_fmac_f32_e32 v42, v3, v45
	s_waitcnt vmcnt(20)
	s_delay_alu instid0(VALU_DEP_1) | instskip(SKIP_1) | instid1(VALU_DEP_1)
	v_fmac_f32_e32 v42, v4, v46
	s_waitcnt vmcnt(19)
	v_fmac_f32_e32 v42, v5, v47
	;; [unrolled: 5-line block ×7, first 2 shown]
	s_waitcnt vmcnt(8)
	s_delay_alu instid0(VALU_DEP_1) | instskip(SKIP_1) | instid1(VALU_DEP_1)
	v_fmac_f32_e32 v42, v16, v58
	s_waitcnt vmcnt(7) lgkmcnt(1)
	v_fmac_f32_e32 v42, v17, v59
	s_waitcnt vmcnt(6)
	s_delay_alu instid0(VALU_DEP_1) | instskip(SKIP_1) | instid1(VALU_DEP_1)
	v_fmac_f32_e32 v42, v18, v60
	s_waitcnt vmcnt(5)
	v_fmac_f32_e32 v42, v19, v61
	s_waitcnt vmcnt(4)
	s_delay_alu instid0(VALU_DEP_1) | instskip(SKIP_1) | instid1(VALU_DEP_1)
	v_fmac_f32_e32 v42, v20, v62
	s_waitcnt vmcnt(3) lgkmcnt(0)
	v_fmac_f32_e32 v42, v21, v63
	s_waitcnt vmcnt(2)
	s_delay_alu instid0(VALU_DEP_1) | instskip(SKIP_1) | instid1(VALU_DEP_1)
	v_fmac_f32_e32 v42, v22, v64
	s_waitcnt vmcnt(1)
	v_fmac_f32_e32 v42, v23, v65
	s_waitcnt vmcnt(0)
	s_delay_alu instid0(VALU_DEP_1)
	v_fmac_f32_e32 v42, v24, v41
	ds_bpermute_b32 v41, v36, v42
	s_waitcnt lgkmcnt(0)
	v_add_f32_e32 v41, v42, v41
	ds_bpermute_b32 v42, v37, v41
	s_and_saveexec_b32 s3, vcc_lo
	s_cbranch_execz .LBB21_9
; %bb.11:                               ;   in Loop: Header=BB21_10 Depth=1
	s_waitcnt lgkmcnt(0)
	v_add_f32_e32 v41, v41, v42
	v_add_nc_u32_e32 v43, s6, v38
	v_cmp_gt_i32_e64 s1, s15, v38
	s_delay_alu instid0(VALU_DEP_2) | instskip(NEXT) | instid1(VALU_DEP_1)
	v_cvt_f32_i32_e32 v43, v43
	v_mul_f32_e32 v43, s30, v43
	s_delay_alu instid0(VALU_DEP_1) | instskip(SKIP_1) | instid1(VALU_DEP_2)
	v_cndmask_b32_e64 v42, 0, v43, s0
	v_max_f32_e32 v43, v33, v33
	v_fmac_f32_e32 v42, s31, v41
	s_delay_alu instid0(VALU_DEP_1) | instskip(SKIP_1) | instid1(VALU_DEP_2)
	v_max_f32_e32 v41, v43, v42
	v_cndmask_b32_e64 v42, 0, v42, s1
	v_cndmask_b32_e64 v33, v33, v41, s1
	ds_store_b32 v39, v42
	s_branch .LBB21_9
.LBB21_12:
	s_or_b32 exec_lo, exec_lo, s29
.LBB21_13:
	s_delay_alu instid0(SALU_CYCLE_1) | instskip(SKIP_3) | instid1(VALU_DEP_3)
	s_or_b32 exec_lo, exec_lo, s34
	v_xor_b32_e32 v1, 16, v28
	v_xor_b32_e32 v3, 8, v28
	v_max_f32_e32 v5, v33, v33
	v_cmp_lt_i32_e32 vcc_lo, v1, v31
	v_cndmask_b32_e32 v1, v28, v1, vcc_lo
	s_delay_alu instid0(VALU_DEP_4) | instskip(SKIP_1) | instid1(VALU_DEP_1)
	v_cmp_lt_i32_e32 vcc_lo, v3, v31
	v_cndmask_b32_e32 v3, v28, v3, vcc_lo
	v_lshlrev_b32_e32 v4, 2, v3
	s_delay_alu instid0(VALU_DEP_4) | instskip(SKIP_4) | instid1(VALU_DEP_1)
	v_lshlrev_b32_e32 v2, 2, v1
	ds_bpermute_b32 v1, v2, v33
	v_and_b32_e32 v33, 31, v0
	s_waitcnt lgkmcnt(0)
	v_max_f32_e32 v1, v1, v1
	v_max_f32_e32 v1, v5, v1
	v_xor_b32_e32 v5, 4, v28
	ds_bpermute_b32 v3, v4, v1
	v_cmp_lt_i32_e32 vcc_lo, v5, v31
	v_cndmask_b32_e32 v5, v28, v5, vcc_lo
	v_cmp_eq_u32_e32 vcc_lo, 0, v33
	s_delay_alu instid0(VALU_DEP_2) | instskip(SKIP_3) | instid1(VALU_DEP_1)
	v_lshlrev_b32_e32 v7, 2, v5
	v_lshlrev_b32_e32 v5, 2, v32
	s_waitcnt lgkmcnt(0)
	v_max_f32_e32 v3, v3, v3
	v_max_f32_e32 v1, v1, v3
	ds_bpermute_b32 v3, v7, v1
	s_and_saveexec_b32 s0, vcc_lo
	s_cbranch_execz .LBB21_15
; %bb.14:
	s_waitcnt lgkmcnt(0)
	v_max_f32_e32 v3, v3, v3
	v_max_f32_e32 v1, v1, v1
	s_delay_alu instid0(VALU_DEP_1)
	v_max_f32_e32 v1, v1, v3
	ds_store_b32 v5, v1 offset:384
.LBB21_15:
	s_or_b32 exec_lo, exec_lo, s0
	v_cmp_gt_u32_e64 s0, 4, v33
	v_dual_mov_b32 v1, 0xff7fffff :: v_dual_lshlrev_b32 v6, 2, v33
	s_waitcnt lgkmcnt(0)
	s_barrier
	buffer_gl0_inv
	s_and_saveexec_b32 s1, s0
	s_cbranch_execz .LBB21_17
; %bb.16:
	ds_load_b32 v1, v6 offset:384
.LBB21_17:
	s_or_b32 exec_lo, exec_lo, s1
	v_xor_b32_e32 v3, 2, v28
	v_xor_b32_e32 v9, 1, v28
	v_mov_b32_e32 v10, 0
	s_delay_alu instid0(VALU_DEP_3) | instskip(NEXT) | instid1(VALU_DEP_1)
	v_cmp_lt_i32_e64 s1, v3, v31
	v_cndmask_b32_e64 v3, v28, v3, s1
	s_delay_alu instid0(VALU_DEP_4) | instskip(NEXT) | instid1(VALU_DEP_2)
	v_cmp_lt_i32_e64 s1, v9, v31
	v_lshlrev_b32_e32 v8, 2, v3
	s_delay_alu instid0(VALU_DEP_2) | instskip(SKIP_1) | instid1(SALU_CYCLE_1)
	v_cndmask_b32_e64 v9, v28, v9, s1
	s_sub_i32 s1, s17, s7
	s_lshl_b32 s1, s1, 3
	s_waitcnt lgkmcnt(0)
	ds_bpermute_b32 v3, v8, v1
	v_max_f32_e32 v1, v1, v1
	v_lshlrev_b32_e32 v34, 2, v9
	v_lshlrev_b32_e32 v9, 2, v28
	s_add_i32 s1, s1, s33
	s_delay_alu instid0(SALU_CYCLE_1) | instskip(NEXT) | instid1(VALU_DEP_1)
	s_min_i32 s1, s1, s15
	v_and_b32_e32 v9, 0xffffff80, v9
	s_sub_i32 s6, s1, s33
	s_delay_alu instid0(SALU_CYCLE_1) | instskip(SKIP_2) | instid1(VALU_DEP_1)
	v_cmp_gt_i32_e64 s1, s6, v0
	s_waitcnt lgkmcnt(0)
	v_max_f32_e32 v3, v3, v3
	v_max_f32_e32 v1, v1, v3
	ds_bpermute_b32 v3, v34, v1
	s_waitcnt lgkmcnt(0)
	v_max_f32_e32 v3, v3, v3
	s_delay_alu instid0(VALU_DEP_1)
	v_max_f32_e32 v1, v1, v3
	v_lshl_add_u32 v3, v0, 2, 0x1a0
	ds_bpermute_b32 v1, v9, v1
	s_and_saveexec_b32 s7, s1
	s_cbranch_execz .LBB21_21
; %bb.18:
	v_lshl_add_u32 v11, v0, 2, 0x1a0
	v_mov_b32_e32 v10, 0
	v_mov_b32_e32 v12, v0
	s_mov_b32 s29, 0
	.p2align	6
.LBB21_19:                              ; =>This Inner Loop Header: Depth=1
	ds_load_b32 v13, v11
	v_add_nc_u32_e32 v12, 0x80, v12
	s_delay_alu instid0(VALU_DEP_1) | instskip(NEXT) | instid1(VALU_DEP_1)
	v_cmp_le_i32_e64 s3, s6, v12
	s_or_b32 s29, s3, s29
	s_waitcnt lgkmcnt(0)
	v_sub_f32_e32 v13, v13, v1
	s_delay_alu instid0(VALU_DEP_1) | instskip(NEXT) | instid1(VALU_DEP_1)
	v_mul_f32_e32 v13, 0x3fb8aa3b, v13
	v_exp_f32_e32 v13, v13
	ds_store_b32 v11, v13
	v_dual_add_f32 v10, v10, v13 :: v_dual_add_nc_u32 v11, 0x200, v11
	s_and_not1_b32 exec_lo, exec_lo, s29
	s_cbranch_execnz .LBB21_19
; %bb.20:
	s_or_b32 exec_lo, exec_lo, s29
.LBB21_21:
	s_delay_alu instid0(SALU_CYCLE_1)
	s_or_b32 exec_lo, exec_lo, s7
	ds_bpermute_b32 v2, v2, v10
	s_waitcnt lgkmcnt(0)
	v_add_f32_e32 v2, v10, v2
	ds_bpermute_b32 v4, v4, v2
	s_waitcnt lgkmcnt(0)
	v_add_f32_e32 v2, v2, v4
	;; [unrolled: 3-line block ×5, first 2 shown]
	s_and_saveexec_b32 s3, vcc_lo
	s_cbranch_execz .LBB21_23
; %bb.22:
	ds_store_b32 v5, v2 offset:400
.LBB21_23:
	s_or_b32 exec_lo, exec_lo, s3
	s_waitcnt lgkmcnt(0)
	s_barrier
	buffer_gl0_inv
	s_and_saveexec_b32 s3, s0
	s_cbranch_execz .LBB21_25
; %bb.24:
	ds_load_b32 v2, v6 offset:400
.LBB21_25:
	s_or_b32 exec_lo, exec_lo, s3
	s_waitcnt lgkmcnt(0)
	ds_bpermute_b32 v4, v8, v2
	s_waitcnt lgkmcnt(0)
	v_add_f32_e32 v2, v2, v4
	ds_bpermute_b32 v4, v34, v2
	s_waitcnt lgkmcnt(0)
	v_add_f32_e32 v2, v2, v4
	ds_bpermute_b32 v2, v9, v2
	s_and_saveexec_b32 s0, s1
	s_cbranch_execz .LBB21_28
; %bb.26:
	s_waitcnt lgkmcnt(0)
	v_add_f32_e32 v4, 0x358637bd, v2
	s_mov_b32 s1, 0
	s_delay_alu instid0(VALU_DEP_1) | instskip(SKIP_1) | instid1(VALU_DEP_2)
	v_div_scale_f32 v5, null, v4, v4, 1.0
	v_div_scale_f32 v8, vcc_lo, 1.0, v4, 1.0
	v_rcp_f32_e32 v6, v5
	s_waitcnt_depctr 0xfff
	v_fma_f32 v7, -v5, v6, 1.0
	s_delay_alu instid0(VALU_DEP_1) | instskip(NEXT) | instid1(VALU_DEP_1)
	v_fmac_f32_e32 v6, v7, v6
	v_mul_f32_e32 v7, v8, v6
	s_delay_alu instid0(VALU_DEP_1) | instskip(NEXT) | instid1(VALU_DEP_1)
	v_fma_f32 v9, -v5, v7, v8
	v_fmac_f32_e32 v7, v9, v6
	s_delay_alu instid0(VALU_DEP_1) | instskip(NEXT) | instid1(VALU_DEP_1)
	v_fma_f32 v5, -v5, v7, v8
	v_div_fmas_f32 v5, v5, v6, v7
	s_delay_alu instid0(VALU_DEP_1)
	v_div_fixup_f32 v4, v5, v4, 1.0
	v_mov_b32_e32 v5, v0
.LBB21_27:                              ; =>This Inner Loop Header: Depth=1
	ds_load_b32 v6, v3
	s_waitcnt lgkmcnt(0)
	v_dual_mul_f32 v6, v4, v6 :: v_dual_add_nc_u32 v5, 0x80, v5
	s_delay_alu instid0(VALU_DEP_1) | instskip(SKIP_3) | instid1(SALU_CYCLE_1)
	v_cmp_le_i32_e32 vcc_lo, s6, v5
	ds_store_b32 v3, v6
	v_add_nc_u32_e32 v3, 0x200, v3
	s_or_b32 s1, vcc_lo, s1
	s_and_not1_b32 exec_lo, exec_lo, s1
	s_cbranch_execnz .LBB21_27
.LBB21_28:
	s_or_b32 exec_lo, exec_lo, s0
	s_mul_i32 s0, s4, s14
	s_waitcnt lgkmcnt(0)
	s_mul_i32 s6, s0, s13
	s_mov_b32 s0, exec_lo
	s_barrier
	buffer_gl0_inv
	v_cmpx_eq_u32_e32 0, v0
	s_cbranch_execz .LBB21_30
; %bb.29:
	s_ashr_i32 s7, s6, 31
	s_mul_i32 s34, s4, s20
	s_lshl_b64 s[30:31], s[6:7], 2
	v_mov_b32_e32 v3, 0
	s_add_u32 s1, s10, s30
	s_addc_u32 s3, s11, s31
	s_ashr_i32 s35, s34, 31
	s_delay_alu instid0(SALU_CYCLE_1) | instskip(NEXT) | instid1(SALU_CYCLE_1)
	s_lshl_b64 s[10:11], s[34:35], 2
	s_add_u32 s1, s1, s10
	s_addc_u32 s3, s3, s11
	s_ashr_i32 s13, s12, 31
	s_delay_alu instid0(SALU_CYCLE_1) | instskip(NEXT) | instid1(SALU_CYCLE_1)
	s_lshl_b64 s[34:35], s[12:13], 2
	s_add_u32 s36, s1, s34
	s_addc_u32 s37, s3, s35
	s_add_u32 s1, s8, s30
	s_addc_u32 s3, s9, s31
	;; [unrolled: 2-line block ×4, first 2 shown]
	s_clause 0x1
	global_store_b32 v3, v1, s[36:37]
	global_store_b32 v3, v2, s[8:9]
.LBB21_30:
	s_or_b32 exec_lo, exec_lo, s0
	v_dual_mov_b32 v36, 0 :: v_dual_and_b32 v35, 1, v0
	v_dual_mov_b32 v38, 0 :: v_dual_mov_b32 v39, 0
	v_dual_mov_b32 v40, 0 :: v_dual_mov_b32 v41, 0
	v_mov_b32_e32 v37, 0
	s_mov_b32 s3, 0
	s_and_saveexec_b32 s1, s2
	s_cbranch_execz .LBB21_46
; %bb.31:
	v_dual_mov_b32 v40, 0 :: v_dual_lshlrev_b32 v1, 4, v0
	s_ashr_i32 s29, s28, 31
	v_dual_mov_b32 v37, 0 :: v_dual_and_b32 v2, 4, v27
	s_delay_alu instid0(VALU_DEP_2) | instskip(SKIP_4) | instid1(VALU_DEP_2)
	v_dual_mov_b32 v36, 0 :: v_dual_and_b32 v1, 0x1f0, v1
	v_lshl_add_u32 v4, v32, 3, s33
	s_lshl_b64 s[8:9], s[28:29], 2
	v_dual_mov_b32 v38, 0 :: v_dual_lshlrev_b32 v3, 4, v35
	s_add_u32 s0, s26, s8
	v_add3_u32 v44, v4, v2, 3
	v_add_co_u32 v42, s0, s0, v1
	v_lshlrev_b64 v[1:2], 2, v[29:30]
	s_addc_u32 s2, s27, s9
	s_lshl_b64 s[8:9], s[24:25], 2
	s_add_i32 s21, s21, -1
	v_lshl_or_b32 v3, v32, 5, v3
	v_add_co_ci_u32_e64 v43, null, s2, 0, s0
	s_add_u32 s0, s22, s8
	s_addc_u32 s2, s23, s9
	v_add_co_u32 v30, vcc_lo, s0, v1
	v_add_nc_u32_e32 v45, 0x1a0, v3
	v_add_co_ci_u32_e32 v31, vcc_lo, s2, v2, vcc_lo
	v_mov_b32_e32 v41, 0
	v_mov_b32_e32 v39, 0
	s_mov_b32 s2, s5
	s_branch .LBB21_33
.LBB21_32:                              ;   in Loop: Header=BB21_33 Depth=1
	s_or_b32 exec_lo, exec_lo, s0
	s_waitcnt vmcnt(2) lgkmcnt(0)
	v_mul_f32_e32 v18, v2, v18
	v_dual_mul_f32 v10, v2, v10 :: v_dual_add_nc_u32 v45, 0x80, v45
	v_dual_mul_f32 v6, v2, v6 :: v_dual_add_nc_u32 v29, 4, v29
	s_delay_alu instid0(VALU_DEP_3)
	v_fmac_f32_e32 v18, v1, v17
	v_mul_f32_e32 v14, v2, v14
	s_waitcnt vmcnt(1)
	v_mul_f32_e32 v22, v2, v22
	s_waitcnt vmcnt(0)
	v_mul_f32_e32 v2, v2, v26
	v_fmac_f32_e32 v10, v1, v9
	v_fmac_f32_e32 v18, v3, v19
	;; [unrolled: 1-line block ×10, first 2 shown]
	s_delay_alu instid0(VALU_DEP_4) | instskip(NEXT) | instid1(VALU_DEP_4)
	v_dual_fmac_f32 v10, v4, v12 :: v_dual_add_f32 v39, v39, v18
	v_fmac_f32_e32 v6, v3, v7
	v_fmac_f32_e32 v2, v3, v27
	s_delay_alu instid0(VALU_DEP_3) | instskip(SKIP_1) | instid1(VALU_DEP_4)
	v_dual_fmac_f32 v14, v4, v16 :: v_dual_add_f32 v41, v41, v10
	v_fmac_f32_e32 v22, v4, v24
	v_fmac_f32_e32 v6, v4, v8
	s_delay_alu instid0(VALU_DEP_4) | instskip(SKIP_2) | instid1(VALU_DEP_4)
	v_fmac_f32_e32 v2, v4, v28
	v_cmp_le_i32_e32 vcc_lo, s17, v29
	v_add_co_u32 v30, s0, v30, 16
	v_add_f32_e32 v37, v37, v6
	v_add_f32_e32 v40, v40, v14
	;; [unrolled: 1-line block ×4, first 2 shown]
	v_add_nc_u32_e32 v44, 32, v44
	v_add_co_ci_u32_e64 v31, s0, 0, v31, s0
	s_or_b32 s3, vcc_lo, s3
	s_delay_alu instid0(SALU_CYCLE_1)
	s_and_not1_b32 exec_lo, exec_lo, s3
	s_cbranch_execz .LBB21_45
.LBB21_33:                              ; =>This Inner Loop Header: Depth=1
	global_load_b32 v3, v[30:31], off
	v_add_nc_u32_e32 v46, -3, v44
	v_add_nc_u32_e32 v48, -2, v44
	;; [unrolled: 1-line block ×3, first 2 shown]
	s_waitcnt vmcnt(0)
	v_mad_i64_i32 v[1:2], null, v3, s2, 0
	s_delay_alu instid0(VALU_DEP_1) | instskip(NEXT) | instid1(VALU_DEP_1)
	v_lshlrev_b64 v[1:2], 2, v[1:2]
	v_add_co_u32 v25, vcc_lo, v42, v1
	s_delay_alu instid0(VALU_DEP_2)
	v_add_co_ci_u32_e32 v26, vcc_lo, v43, v2, vcc_lo
	ds_load_b128 v[1:4], v45
	v_cmp_eq_u32_e32 vcc_lo, s21, v29
	global_load_b128 v[5:8], v[25:26], off
	s_and_saveexec_b32 s5, vcc_lo
	s_cbranch_execnz .LBB21_39
; %bb.34:                               ;   in Loop: Header=BB21_33 Depth=1
	s_or_b32 exec_lo, exec_lo, s5
	global_load_b128 v[9:12], v[25:26], off offset:512
	s_and_saveexec_b32 s5, vcc_lo
	s_cbranch_execnz .LBB21_40
.LBB21_35:                              ;   in Loop: Header=BB21_33 Depth=1
	s_or_b32 exec_lo, exec_lo, s5
	global_load_b128 v[13:16], v[25:26], off offset:1024
	s_and_saveexec_b32 s5, vcc_lo
	s_cbranch_execnz .LBB21_41
.LBB21_36:                              ;   in Loop: Header=BB21_33 Depth=1
	s_or_b32 exec_lo, exec_lo, s5
	global_load_b128 v[17:20], v[25:26], off offset:1536
	s_and_saveexec_b32 s5, vcc_lo
	s_cbranch_execnz .LBB21_42
.LBB21_37:                              ;   in Loop: Header=BB21_33 Depth=1
	s_or_b32 exec_lo, exec_lo, s5
	global_load_b128 v[21:24], v[25:26], off offset:2048
	s_and_saveexec_b32 s5, vcc_lo
	s_cbranch_execnz .LBB21_43
.LBB21_38:                              ;   in Loop: Header=BB21_33 Depth=1
	s_or_b32 exec_lo, exec_lo, s5
	global_load_b128 v[25:28], v[25:26], off offset:2560
	s_and_saveexec_b32 s0, vcc_lo
	s_cbranch_execz .LBB21_32
	s_branch .LBB21_44
.LBB21_39:                              ;   in Loop: Header=BB21_33 Depth=1
	v_cmp_gt_i32_e64 s0, s15, v46
	s_waitcnt vmcnt(0)
	s_delay_alu instid0(VALU_DEP_1) | instskip(SKIP_1) | instid1(VALU_DEP_1)
	v_cndmask_b32_e64 v5, 0, v5, s0
	v_cmp_gt_i32_e64 s0, s15, v48
	v_cndmask_b32_e64 v6, 0, v6, s0
	v_cmp_gt_i32_e64 s0, s15, v47
	s_delay_alu instid0(VALU_DEP_1) | instskip(SKIP_1) | instid1(VALU_DEP_1)
	v_cndmask_b32_e64 v7, 0, v7, s0
	v_cmp_gt_i32_e64 s0, s15, v44
	v_cndmask_b32_e64 v8, 0, v8, s0
	s_or_b32 exec_lo, exec_lo, s5
	global_load_b128 v[9:12], v[25:26], off offset:512
	s_and_saveexec_b32 s5, vcc_lo
	s_cbranch_execz .LBB21_35
.LBB21_40:                              ;   in Loop: Header=BB21_33 Depth=1
	v_cmp_gt_i32_e64 s0, s15, v46
	s_waitcnt vmcnt(0)
	s_delay_alu instid0(VALU_DEP_1) | instskip(SKIP_1) | instid1(VALU_DEP_1)
	v_cndmask_b32_e64 v9, 0, v9, s0
	v_cmp_gt_i32_e64 s0, s15, v48
	v_cndmask_b32_e64 v10, 0, v10, s0
	v_cmp_gt_i32_e64 s0, s15, v47
	s_delay_alu instid0(VALU_DEP_1) | instskip(SKIP_1) | instid1(VALU_DEP_1)
	v_cndmask_b32_e64 v11, 0, v11, s0
	v_cmp_gt_i32_e64 s0, s15, v44
	v_cndmask_b32_e64 v12, 0, v12, s0
	s_or_b32 exec_lo, exec_lo, s5
	global_load_b128 v[13:16], v[25:26], off offset:1024
	s_and_saveexec_b32 s5, vcc_lo
	s_cbranch_execz .LBB21_36
.LBB21_41:                              ;   in Loop: Header=BB21_33 Depth=1
	v_cmp_gt_i32_e64 s0, s15, v46
	s_waitcnt vmcnt(0)
	s_delay_alu instid0(VALU_DEP_1) | instskip(SKIP_1) | instid1(VALU_DEP_1)
	v_cndmask_b32_e64 v13, 0, v13, s0
	v_cmp_gt_i32_e64 s0, s15, v48
	v_cndmask_b32_e64 v14, 0, v14, s0
	v_cmp_gt_i32_e64 s0, s15, v47
	s_delay_alu instid0(VALU_DEP_1) | instskip(SKIP_1) | instid1(VALU_DEP_1)
	v_cndmask_b32_e64 v15, 0, v15, s0
	v_cmp_gt_i32_e64 s0, s15, v44
	v_cndmask_b32_e64 v16, 0, v16, s0
	s_or_b32 exec_lo, exec_lo, s5
	global_load_b128 v[17:20], v[25:26], off offset:1536
	s_and_saveexec_b32 s5, vcc_lo
	s_cbranch_execz .LBB21_37
.LBB21_42:                              ;   in Loop: Header=BB21_33 Depth=1
	v_cmp_gt_i32_e64 s0, s15, v46
	s_waitcnt vmcnt(0)
	s_delay_alu instid0(VALU_DEP_1) | instskip(SKIP_1) | instid1(VALU_DEP_1)
	v_cndmask_b32_e64 v17, 0, v17, s0
	v_cmp_gt_i32_e64 s0, s15, v48
	v_cndmask_b32_e64 v18, 0, v18, s0
	v_cmp_gt_i32_e64 s0, s15, v47
	s_delay_alu instid0(VALU_DEP_1) | instskip(SKIP_1) | instid1(VALU_DEP_1)
	v_cndmask_b32_e64 v19, 0, v19, s0
	v_cmp_gt_i32_e64 s0, s15, v44
	v_cndmask_b32_e64 v20, 0, v20, s0
	s_or_b32 exec_lo, exec_lo, s5
	global_load_b128 v[21:24], v[25:26], off offset:2048
	s_and_saveexec_b32 s5, vcc_lo
	s_cbranch_execz .LBB21_38
.LBB21_43:                              ;   in Loop: Header=BB21_33 Depth=1
	v_cmp_gt_i32_e64 s0, s15, v46
	s_waitcnt vmcnt(0)
	s_delay_alu instid0(VALU_DEP_1) | instskip(SKIP_1) | instid1(VALU_DEP_1)
	v_cndmask_b32_e64 v21, 0, v21, s0
	v_cmp_gt_i32_e64 s0, s15, v48
	v_cndmask_b32_e64 v22, 0, v22, s0
	v_cmp_gt_i32_e64 s0, s15, v47
	s_delay_alu instid0(VALU_DEP_1) | instskip(SKIP_1) | instid1(VALU_DEP_1)
	v_cndmask_b32_e64 v23, 0, v23, s0
	v_cmp_gt_i32_e64 s0, s15, v44
	v_cndmask_b32_e64 v24, 0, v24, s0
	s_or_b32 exec_lo, exec_lo, s5
	global_load_b128 v[25:28], v[25:26], off offset:2560
	s_and_saveexec_b32 s0, vcc_lo
	s_cbranch_execz .LBB21_32
.LBB21_44:                              ;   in Loop: Header=BB21_33 Depth=1
	v_cmp_gt_i32_e32 vcc_lo, s15, v46
	s_waitcnt vmcnt(0)
	v_cndmask_b32_e32 v25, 0, v25, vcc_lo
	v_cmp_gt_i32_e32 vcc_lo, s15, v48
	v_cndmask_b32_e32 v26, 0, v26, vcc_lo
	v_cmp_gt_i32_e32 vcc_lo, s15, v47
	;; [unrolled: 2-line block ×3, first 2 shown]
	v_cndmask_b32_e32 v28, 0, v28, vcc_lo
	s_branch .LBB21_32
.LBB21_45:
	s_or_b32 exec_lo, exec_lo, s3
.LBB21_46:
	s_delay_alu instid0(SALU_CYCLE_1)
	s_or_b32 exec_lo, exec_lo, s1
	ds_bpermute_b32 v1, v34, v37
	ds_bpermute_b32 v2, v34, v41
	;; [unrolled: 1-line block ×6, first 2 shown]
	v_and_b32_e32 v4, 0x3c1, v0
	v_lshrrev_b32_e32 v7, 1, v33
	s_movk_i32 s0, 0x180
	s_waitcnt lgkmcnt(0)
	s_waitcnt_vscnt null, 0x0
	v_mad_u32_u24 v8, v32, s0, 0x1a0
	s_barrier
	buffer_gl0_inv
	v_add_f32_e32 v6, v37, v1
	v_add_f32_e32 v5, v41, v2
	v_cmp_eq_u32_e32 vcc_lo, 64, v4
	v_dual_add_f32 v4, v40, v3 :: v_dual_add_f32 v3, v39, v9
	v_dual_add_f32 v2, v38, v10 :: v_dual_lshlrev_b32 v9, 2, v7
	v_add_f32_e32 v1, v36, v11
	s_and_saveexec_b32 s0, vcc_lo
	s_cbranch_execz .LBB21_48
; %bb.47:
	s_delay_alu instid0(VALU_DEP_2)
	v_add3_u32 v10, v8, v9, 0xfffffd00
	ds_store_2addr_b32 v10, v6, v5 offset1:16
	ds_store_2addr_b32 v10, v4, v3 offset0:32 offset1:48
	ds_store_2addr_b32 v10, v2, v1 offset0:64 offset1:80
.LBB21_48:
	s_or_b32 exec_lo, exec_lo, s0
	v_cmp_eq_u32_e32 vcc_lo, 0, v35
	s_mov_b32 s1, exec_lo
	s_waitcnt lgkmcnt(0)
	s_barrier
	buffer_gl0_inv
	v_cmpx_gt_u32_e32 64, v0
	s_cbranch_execz .LBB21_57
; %bb.49:
	s_and_saveexec_b32 s0, vcc_lo
	s_cbranch_execnz .LBB21_71
; %bb.50:
	s_or_b32 exec_lo, exec_lo, s0
	s_and_saveexec_b32 s0, vcc_lo
	s_cbranch_execnz .LBB21_72
.LBB21_51:
	s_or_b32 exec_lo, exec_lo, s0
	s_and_saveexec_b32 s0, vcc_lo
	s_cbranch_execnz .LBB21_73
.LBB21_52:
	s_or_b32 exec_lo, exec_lo, s0
	s_and_saveexec_b32 s0, vcc_lo
	s_cbranch_execnz .LBB21_74
.LBB21_53:
	s_or_b32 exec_lo, exec_lo, s0
	s_and_saveexec_b32 s0, vcc_lo
	s_cbranch_execnz .LBB21_75
.LBB21_54:
	s_or_b32 exec_lo, exec_lo, s0
	s_and_saveexec_b32 s0, vcc_lo
	s_cbranch_execz .LBB21_56
.LBB21_55:
	v_lshl_add_u32 v10, v7, 2, v8
	ds_load_b32 v10, v10 offset:320
	s_waitcnt lgkmcnt(0)
	v_add_f32_e32 v1, v1, v10
.LBB21_56:
	s_or_b32 exec_lo, exec_lo, s0
.LBB21_57:
	s_delay_alu instid0(SALU_CYCLE_1)
	s_or_b32 exec_lo, exec_lo, s1
	v_and_b32_e32 v10, 0x3e1, v0
	s_mov_b32 s1, exec_lo
	s_barrier
	buffer_gl0_inv
	v_cmpx_eq_u32_e32 32, v10
	s_cbranch_execz .LBB21_59
; %bb.58:
	v_add3_u32 v9, v8, v9, 0xfffffe80
	ds_store_2addr_b32 v9, v6, v5 offset1:16
	ds_store_2addr_b32 v9, v4, v3 offset0:32 offset1:48
	ds_store_2addr_b32 v9, v2, v1 offset0:64 offset1:80
.LBB21_59:
	s_or_b32 exec_lo, exec_lo, s1
	s_delay_alu instid0(SALU_CYCLE_1)
	s_mov_b32 s1, exec_lo
	s_waitcnt lgkmcnt(0)
	s_barrier
	buffer_gl0_inv
	v_cmpx_gt_u32_e32 32, v0
	s_cbranch_execz .LBB21_68
; %bb.60:
	v_lshl_add_u32 v7, v7, 2, v8
	s_and_saveexec_b32 s0, vcc_lo
	s_cbranch_execnz .LBB21_76
; %bb.61:
	s_or_b32 exec_lo, exec_lo, s0
	s_and_saveexec_b32 s0, vcc_lo
	s_cbranch_execnz .LBB21_77
.LBB21_62:
	s_or_b32 exec_lo, exec_lo, s0
	s_and_saveexec_b32 s0, vcc_lo
	s_cbranch_execnz .LBB21_78
.LBB21_63:
	s_or_b32 exec_lo, exec_lo, s0
	s_and_saveexec_b32 s0, vcc_lo
	s_cbranch_execnz .LBB21_79
.LBB21_64:
	s_or_b32 exec_lo, exec_lo, s0
	s_and_saveexec_b32 s0, vcc_lo
	s_cbranch_execnz .LBB21_80
.LBB21_65:
	s_or_b32 exec_lo, exec_lo, s0
	s_and_saveexec_b32 s0, vcc_lo
	s_cbranch_execz .LBB21_67
.LBB21_66:
	ds_load_b32 v7, v7 offset:320
	s_waitcnt lgkmcnt(0)
	v_add_f32_e32 v1, v1, v7
.LBB21_67:
	s_or_b32 exec_lo, exec_lo, s0
.LBB21_68:
	s_delay_alu instid0(SALU_CYCLE_1)
	s_or_b32 exec_lo, exec_lo, s1
	s_barrier
	buffer_gl0_inv
	s_mov_b32 s0, exec_lo
	v_cmpx_eq_u32_e32 0, v10
	s_cbranch_execz .LBB21_70
; %bb.69:
	s_mul_i32 s0, s6, 0x60
	s_mul_i32 s2, s4, s16
	s_ashr_i32 s1, s0, 31
	v_lshlrev_b32_e32 v0, 1, v0
	s_lshl_b64 s[0:1], s[0:1], 2
	s_delay_alu instid0(SALU_CYCLE_1) | instskip(SKIP_2) | instid1(SALU_CYCLE_1)
	s_add_u32 s4, s18, s0
	s_addc_u32 s5, s19, s1
	s_ashr_i32 s3, s2, 31
	s_lshl_b64 s[0:1], s[2:3], 2
	s_mul_i32 s2, s12, 0x60
	s_add_u32 s4, s4, s0
	s_addc_u32 s5, s5, s1
	s_ashr_i32 s3, s2, 31
	s_delay_alu instid0(SALU_CYCLE_1) | instskip(NEXT) | instid1(SALU_CYCLE_1)
	s_lshl_b64 s[0:1], s[2:3], 2
	s_add_u32 s0, s4, s0
	s_addc_u32 s1, s5, s1
	s_clause 0x5
	global_store_b32 v0, v6, s[0:1]
	global_store_b32 v0, v5, s[0:1] offset:64
	global_store_b32 v0, v4, s[0:1] offset:128
	;; [unrolled: 1-line block ×5, first 2 shown]
.LBB21_70:
	s_nop 0
	s_sendmsg sendmsg(MSG_DEALLOC_VGPRS)
	s_endpgm
.LBB21_71:
	v_lshl_add_u32 v10, v7, 2, v8
	ds_load_b32 v10, v10
	s_waitcnt lgkmcnt(0)
	v_add_f32_e32 v6, v6, v10
	s_or_b32 exec_lo, exec_lo, s0
	s_and_saveexec_b32 s0, vcc_lo
	s_cbranch_execz .LBB21_51
.LBB21_72:
	v_lshl_add_u32 v10, v7, 2, v8
	ds_load_b32 v10, v10 offset:64
	s_waitcnt lgkmcnt(0)
	v_add_f32_e32 v5, v5, v10
	s_or_b32 exec_lo, exec_lo, s0
	s_and_saveexec_b32 s0, vcc_lo
	s_cbranch_execz .LBB21_52
.LBB21_73:
	v_lshl_add_u32 v10, v7, 2, v8
	ds_load_b32 v10, v10 offset:128
	s_waitcnt lgkmcnt(0)
	v_add_f32_e32 v4, v4, v10
	s_or_b32 exec_lo, exec_lo, s0
	s_and_saveexec_b32 s0, vcc_lo
	s_cbranch_execz .LBB21_53
.LBB21_74:
	v_lshl_add_u32 v10, v7, 2, v8
	ds_load_b32 v10, v10 offset:192
	s_waitcnt lgkmcnt(0)
	v_add_f32_e32 v3, v3, v10
	s_or_b32 exec_lo, exec_lo, s0
	s_and_saveexec_b32 s0, vcc_lo
	s_cbranch_execz .LBB21_54
.LBB21_75:
	v_lshl_add_u32 v10, v7, 2, v8
	ds_load_b32 v10, v10 offset:256
	s_waitcnt lgkmcnt(0)
	v_add_f32_e32 v2, v2, v10
	s_or_b32 exec_lo, exec_lo, s0
	s_and_saveexec_b32 s0, vcc_lo
	s_cbranch_execnz .LBB21_55
	s_branch .LBB21_56
.LBB21_76:
	ds_load_b32 v8, v7
	s_waitcnt lgkmcnt(0)
	v_add_f32_e32 v6, v6, v8
	s_or_b32 exec_lo, exec_lo, s0
	s_and_saveexec_b32 s0, vcc_lo
	s_cbranch_execz .LBB21_62
.LBB21_77:
	ds_load_b32 v8, v7 offset:64
	s_waitcnt lgkmcnt(0)
	v_add_f32_e32 v5, v5, v8
	s_or_b32 exec_lo, exec_lo, s0
	s_and_saveexec_b32 s0, vcc_lo
	s_cbranch_execz .LBB21_63
.LBB21_78:
	ds_load_b32 v8, v7 offset:128
	s_waitcnt lgkmcnt(0)
	v_add_f32_e32 v4, v4, v8
	s_or_b32 exec_lo, exec_lo, s0
	s_and_saveexec_b32 s0, vcc_lo
	s_cbranch_execz .LBB21_64
.LBB21_79:
	ds_load_b32 v8, v7 offset:192
	s_waitcnt lgkmcnt(0)
	v_add_f32_e32 v3, v3, v8
	s_or_b32 exec_lo, exec_lo, s0
	s_and_saveexec_b32 s0, vcc_lo
	s_cbranch_execz .LBB21_65
.LBB21_80:
	ds_load_b32 v8, v7 offset:256
	s_waitcnt lgkmcnt(0)
	v_add_f32_e32 v2, v2, v8
	s_or_b32 exec_lo, exec_lo, s0
	s_and_saveexec_b32 s0, vcc_lo
	s_cbranch_execnz .LBB21_66
	s_branch .LBB21_67
	.section	.rodata,"a",@progbits
	.p2align	6, 0x0
	.amdhsa_kernel _ZN4vllm25paged_attention_v2_kernelIffLi96ELi8ELi128ELNS_18Fp8KVCacheDataTypeE0ELb0ELi512EEEvPfS2_PT_PKS3_PKT0_S9_ifPKiSB_iPKfiiiSD_SD_iiiii
		.amdhsa_group_segment_fixed_size 416
		.amdhsa_private_segment_fixed_size 0
		.amdhsa_kernarg_size 400
		.amdhsa_user_sgpr_count 13
		.amdhsa_user_sgpr_dispatch_ptr 0
		.amdhsa_user_sgpr_queue_ptr 0
		.amdhsa_user_sgpr_kernarg_segment_ptr 1
		.amdhsa_user_sgpr_dispatch_id 0
		.amdhsa_user_sgpr_private_segment_size 0
		.amdhsa_wavefront_size32 1
		.amdhsa_uses_dynamic_stack 0
		.amdhsa_enable_private_segment 0
		.amdhsa_system_sgpr_workgroup_id_x 1
		.amdhsa_system_sgpr_workgroup_id_y 1
		.amdhsa_system_sgpr_workgroup_id_z 1
		.amdhsa_system_sgpr_workgroup_info 0
		.amdhsa_system_vgpr_workitem_id 0
		.amdhsa_next_free_vgpr 66
		.amdhsa_next_free_sgpr 38
		.amdhsa_reserve_vcc 1
		.amdhsa_float_round_mode_32 0
		.amdhsa_float_round_mode_16_64 0
		.amdhsa_float_denorm_mode_32 3
		.amdhsa_float_denorm_mode_16_64 3
		.amdhsa_dx10_clamp 1
		.amdhsa_ieee_mode 1
		.amdhsa_fp16_overflow 0
		.amdhsa_workgroup_processor_mode 1
		.amdhsa_memory_ordered 1
		.amdhsa_forward_progress 0
		.amdhsa_shared_vgpr_count 0
		.amdhsa_exception_fp_ieee_invalid_op 0
		.amdhsa_exception_fp_denorm_src 0
		.amdhsa_exception_fp_ieee_div_zero 0
		.amdhsa_exception_fp_ieee_overflow 0
		.amdhsa_exception_fp_ieee_underflow 0
		.amdhsa_exception_fp_ieee_inexact 0
		.amdhsa_exception_int_div_zero 0
	.end_amdhsa_kernel
	.section	.text._ZN4vllm25paged_attention_v2_kernelIffLi96ELi8ELi128ELNS_18Fp8KVCacheDataTypeE0ELb0ELi512EEEvPfS2_PT_PKS3_PKT0_S9_ifPKiSB_iPKfiiiSD_SD_iiiii,"axG",@progbits,_ZN4vllm25paged_attention_v2_kernelIffLi96ELi8ELi128ELNS_18Fp8KVCacheDataTypeE0ELb0ELi512EEEvPfS2_PT_PKS3_PKT0_S9_ifPKiSB_iPKfiiiSD_SD_iiiii,comdat
.Lfunc_end21:
	.size	_ZN4vllm25paged_attention_v2_kernelIffLi96ELi8ELi128ELNS_18Fp8KVCacheDataTypeE0ELb0ELi512EEEvPfS2_PT_PKS3_PKT0_S9_ifPKiSB_iPKfiiiSD_SD_iiiii, .Lfunc_end21-_ZN4vllm25paged_attention_v2_kernelIffLi96ELi8ELi128ELNS_18Fp8KVCacheDataTypeE0ELb0ELi512EEEvPfS2_PT_PKS3_PKT0_S9_ifPKiSB_iPKfiiiSD_SD_iiiii
                                        ; -- End function
	.section	.AMDGPU.csdata,"",@progbits
; Kernel info:
; codeLenInByte = 4900
; NumSgprs: 40
; NumVgprs: 66
; ScratchSize: 0
; MemoryBound: 0
; FloatMode: 240
; IeeeMode: 1
; LDSByteSize: 416 bytes/workgroup (compile time only)
; SGPRBlocks: 4
; VGPRBlocks: 8
; NumSGPRsForWavesPerEU: 40
; NumVGPRsForWavesPerEU: 66
; Occupancy: 16
; WaveLimiterHint : 1
; COMPUTE_PGM_RSRC2:SCRATCH_EN: 0
; COMPUTE_PGM_RSRC2:USER_SGPR: 13
; COMPUTE_PGM_RSRC2:TRAP_HANDLER: 0
; COMPUTE_PGM_RSRC2:TGID_X_EN: 1
; COMPUTE_PGM_RSRC2:TGID_Y_EN: 1
; COMPUTE_PGM_RSRC2:TGID_Z_EN: 1
; COMPUTE_PGM_RSRC2:TIDIG_COMP_CNT: 0
	.section	.text._ZN4vllm25paged_attention_v2_kernelIffLi112ELi8ELi128ELNS_18Fp8KVCacheDataTypeE0ELb0ELi512EEEvPfS2_PT_PKS3_PKT0_S9_ifPKiSB_iPKfiiiSD_SD_iiiii,"axG",@progbits,_ZN4vllm25paged_attention_v2_kernelIffLi112ELi8ELi128ELNS_18Fp8KVCacheDataTypeE0ELb0ELi512EEEvPfS2_PT_PKS3_PKT0_S9_ifPKiSB_iPKfiiiSD_SD_iiiii,comdat
	.protected	_ZN4vllm25paged_attention_v2_kernelIffLi112ELi8ELi128ELNS_18Fp8KVCacheDataTypeE0ELb0ELi512EEEvPfS2_PT_PKS3_PKT0_S9_ifPKiSB_iPKfiiiSD_SD_iiiii ; -- Begin function _ZN4vllm25paged_attention_v2_kernelIffLi112ELi8ELi128ELNS_18Fp8KVCacheDataTypeE0ELb0ELi512EEEvPfS2_PT_PKS3_PKT0_S9_ifPKiSB_iPKfiiiSD_SD_iiiii
	.globl	_ZN4vllm25paged_attention_v2_kernelIffLi112ELi8ELi128ELNS_18Fp8KVCacheDataTypeE0ELb0ELi512EEEvPfS2_PT_PKS3_PKT0_S9_ifPKiSB_iPKfiiiSD_SD_iiiii
	.p2align	8
	.type	_ZN4vllm25paged_attention_v2_kernelIffLi112ELi8ELi128ELNS_18Fp8KVCacheDataTypeE0ELb0ELi512EEEvPfS2_PT_PKS3_PKT0_S9_ifPKiSB_iPKfiiiSD_SD_iiiii,@function
_ZN4vllm25paged_attention_v2_kernelIffLi112ELi8ELi128ELNS_18Fp8KVCacheDataTypeE0ELb0ELi512EEEvPfS2_PT_PKS3_PKT0_S9_ifPKiSB_iPKfiiiSD_SD_iiiii: ; @_ZN4vllm25paged_attention_v2_kernelIffLi112ELi8ELi128ELNS_18Fp8KVCacheDataTypeE0ELb0ELi512EEEvPfS2_PT_PKS3_PKT0_S9_ifPKiSB_iPKfiiiSD_SD_iiiii
; %bb.0:
	s_load_b64 s[2:3], s[0:1], 0x40
	s_mov_b32 s12, s15
	s_ashr_i32 s15, s14, 31
	s_delay_alu instid0(SALU_CYCLE_1)
	s_lshl_b64 s[4:5], s[14:15], 2
	s_waitcnt lgkmcnt(0)
	s_add_u32 s2, s2, s4
	s_addc_u32 s3, s3, s5
	s_lshl_b32 s33, s12, 9
	s_load_b32 s15, s[2:3], 0x0
	s_waitcnt lgkmcnt(0)
	s_cmp_ge_i32 s33, s15
	s_cbranch_scc1 .LBB22_74
; %bb.1:
	s_mov_b32 s20, s13
	s_clause 0x1
	s_load_b32 s13, s[0:1], 0x90
	s_load_b64 s[30:31], s[0:1], 0x30
	s_waitcnt lgkmcnt(0)
	s_abs_i32 s5, s13
	s_abs_i32 s2, s30
	s_delay_alu instid0(SALU_CYCLE_1) | instskip(SKIP_1) | instid1(VALU_DEP_1)
	v_cvt_f32_u32_e32 v1, s2
	s_sub_i32 s4, 0, s2
	v_rcp_iflag_f32_e32 v1, v1
	s_waitcnt_depctr 0xfff
	v_mul_f32_e32 v1, 0x4f7ffffe, v1
	s_delay_alu instid0(VALU_DEP_1) | instskip(NEXT) | instid1(VALU_DEP_1)
	v_cvt_u32_f32_e32 v1, v1
	v_readfirstlane_b32 s3, v1
	s_delay_alu instid0(VALU_DEP_1) | instskip(NEXT) | instid1(SALU_CYCLE_1)
	s_mul_i32 s4, s4, s3
	s_mul_hi_u32 s4, s3, s4
	s_delay_alu instid0(SALU_CYCLE_1)
	s_add_i32 s3, s3, s4
	s_xor_b32 s4, s13, s30
	s_mul_hi_u32 s3, s5, s3
	s_ashr_i32 s4, s4, 31
	s_mul_i32 s6, s3, s2
	s_mov_b32 s30, 0
	s_sub_i32 s5, s5, s6
	s_add_i32 s6, s3, 1
	s_sub_i32 s7, s5, s2
	s_cmp_ge_u32 s5, s2
	s_cselect_b32 s3, s6, s3
	s_cselect_b32 s5, s7, s5
	s_add_i32 s6, s3, 1
	s_cmp_ge_u32 s5, s2
	s_cselect_b32 s2, s6, s3
	s_abs_i32 s10, s20
	s_xor_b32 s2, s2, s4
	s_delay_alu instid0(SALU_CYCLE_1) | instskip(SKIP_2) | instid1(SALU_CYCLE_1)
	s_sub_i32 s11, s2, s4
	s_load_b64 s[2:3], s[0:1], 0x50
	s_abs_i32 s8, s11
	v_cvt_f32_u32_e32 v1, s8
	s_sub_i32 s5, 0, s8
	s_delay_alu instid0(VALU_DEP_1) | instskip(SKIP_2) | instid1(VALU_DEP_1)
	v_rcp_iflag_f32_e32 v1, v1
	s_waitcnt_depctr 0xfff
	v_mul_f32_e32 v1, 0x4f7ffffe, v1
	v_cvt_u32_f32_e32 v1, v1
	s_delay_alu instid0(VALU_DEP_1) | instskip(NEXT) | instid1(VALU_DEP_1)
	v_readfirstlane_b32 s4, v1
	s_mul_i32 s5, s5, s4
	s_delay_alu instid0(SALU_CYCLE_1) | instskip(NEXT) | instid1(SALU_CYCLE_1)
	s_mul_hi_u32 s5, s4, s5
	s_add_i32 s4, s4, s5
	s_waitcnt lgkmcnt(0)
	s_cmp_eq_u64 s[2:3], 0
	s_mul_hi_u32 s9, s10, s4
	s_cbranch_scc1 .LBB22_3
; %bb.2:
	s_ashr_i32 s21, s20, 31
	s_delay_alu instid0(SALU_CYCLE_1) | instskip(NEXT) | instid1(SALU_CYCLE_1)
	s_lshl_b64 s[4:5], s[20:21], 2
	s_add_u32 s2, s2, s4
	s_addc_u32 s3, s3, s5
	s_load_b32 s30, s[2:3], 0x0
.LBB22_3:
	s_load_b128 s[4:7], s[0:1], 0x58
	v_and_b32_e32 v29, 3, v0
	v_lshlrev_b32_e32 v31, 2, v0
	s_ashr_i32 s2, s20, 31
	s_ashr_i32 s3, s11, 31
	s_mul_i32 s16, s20, 0x70
	s_waitcnt lgkmcnt(0)
	s_mov_b32 s7, exec_lo
	v_cmpx_gt_u32_e32 0x70, v0
	s_cbranch_execz .LBB22_5
; %bb.4:
	s_load_b64 s[18:19], s[0:1], 0x18
	s_mul_i32 s22, s14, s4
	v_and_b32_e32 v2, 0x3fc, v0
	s_ashr_i32 s23, s22, 31
	s_delay_alu instid0(SALU_CYCLE_1) | instskip(NEXT) | instid1(VALU_DEP_1)
	s_lshl_b64 s[22:23], s[22:23], 2
	v_mad_u32_u24 v2, 0x70, v29, v2
	s_waitcnt lgkmcnt(0)
	s_add_u32 s4, s18, s22
	s_addc_u32 s11, s19, s23
	s_ashr_i32 s17, s16, 31
	s_delay_alu instid0(SALU_CYCLE_1) | instskip(NEXT) | instid1(SALU_CYCLE_1)
	s_lshl_b64 s[18:19], s[16:17], 2
	s_add_u32 s18, s4, s18
	s_addc_u32 s19, s11, s19
	global_load_b32 v1, v31, s[18:19]
	s_waitcnt vmcnt(0)
	ds_store_b32 v2, v1
.LBB22_5:
	s_or_b32 exec_lo, exec_lo, s7
	s_add_i32 s4, s15, 7
	s_lshl_b32 s7, s12, 6
	s_ashr_i32 s11, s4, 31
	s_xor_b32 s2, s2, s3
	s_lshr_b32 s11, s11, 29
	s_add_i32 s3, s7, 64
	s_add_i32 s4, s4, s11
	s_clause 0x1
	s_load_b64 s[22:23], s[0:1], 0x38
	s_load_b32 s11, s[0:1], 0x48
	s_ashr_i32 s21, s4, 3
	s_mul_i32 s4, s9, s8
	s_min_i32 s17, s3, s21
	s_sub_i32 s3, s10, s4
	s_add_i32 s4, s9, 1
	s_sub_i32 s10, s3, s8
	s_cmp_ge_u32 s3, s8
	v_lshrrev_b32_e32 v36, 5, v0
	s_cselect_b32 s4, s4, s9
	s_cselect_b32 s3, s10, s3
	s_add_i32 s9, s4, 1
	s_cmp_ge_u32 s3, s8
	v_or_b32_e32 v33, s7, v36
	s_cselect_b32 s3, s9, s4
	v_mbcnt_lo_u32_b32 v32, -1, 0
	s_xor_b32 s3, s3, s2
	s_mov_b32 s4, exec_lo
	s_sub_i32 s3, s3, s2
	v_cmp_gt_i32_e64 s2, s17, v33
	s_waitcnt lgkmcnt(0)
	s_mul_i32 s24, s14, s11
	s_delay_alu instid0(SALU_CYCLE_1)
	s_ashr_i32 s25, s24, 31
	s_barrier
	buffer_gl0_inv
                                        ; implicit-def: $sgpr28
                                        ; implicit-def: $vgpr35
	v_cmpx_le_i32_e64 s17, v33
	s_xor_b32 s4, exec_lo, s4
; %bb.6:
	v_mbcnt_lo_u32_b32 v32, -1, 0
	v_mov_b32_e32 v35, 32
	s_mov_b32 s28, 0xff7fffff
                                        ; implicit-def: $vgpr29
; %bb.7:
	s_or_saveexec_b32 s34, s4
	s_clause 0x3
	s_load_b128 s[8:11], s[0:1], 0x0
	s_load_b64 s[18:19], s[0:1], 0x10
	s_load_b64 s[26:27], s[0:1], 0x28
	s_load_b32 s4, s[0:1], 0x98
	v_mov_b32_e32 v37, s28
	v_ashrrev_i32_e32 v34, 31, v33
	s_mul_i32 s28, s3, s6
	s_xor_b32 exec_lo, exec_lo, s34
	s_cbranch_execz .LBB22_13
; %bb.8:
	s_load_b64 s[0:1], s[0:1], 0x20
	v_xor_b32_e32 v18, 2, v32
	v_bfe_u32 v30, v0, 2, 3
	v_xor_b32_e32 v19, 1, v32
	s_ashr_i32 s29, s28, 31
	v_mul_u32_u24_e32 v25, 0x70, v29
	v_cmp_gt_i32_e32 vcc_lo, 32, v18
	v_lshlrev_b32_e32 v17, 2, v29
	s_lshl_b64 s[36:37], s[28:29], 2
	v_dual_mov_b32 v44, v33 :: v_dual_lshlrev_b32 v37, 2, v30
	v_cndmask_b32_e32 v40, v32, v18, vcc_lo
	v_cmp_gt_i32_e32 vcc_lo, 32, v19
	v_lshlrev_b32_e32 v20, 4, v30
	ds_load_b128 v[1:4], v25
	ds_load_b128 v[5:8], v25 offset:16
	ds_load_b128 v[9:12], v25 offset:32
	;; [unrolled: 1-line block ×3, first 2 shown]
	v_lshlrev_b32_e32 v42, 3, v36
	v_lshl_or_b32 v37, v36, 5, v37
	v_cndmask_b32_e32 v41, v32, v19, vcc_lo
	v_dual_mov_b32 v35, 32 :: v_dual_lshlrev_b32 v40, 2, v40
	s_waitcnt lgkmcnt(0)
	s_add_u32 s0, s0, s36
	s_addc_u32 s1, s1, s37
	v_add_co_u32 v18, s0, s0, v20
	s_delay_alu instid0(VALU_DEP_1) | instskip(SKIP_1) | instid1(VALU_DEP_3)
	v_add_co_ci_u32_e64 v20, null, s1, 0, s0
	v_add_nc_u32_e32 v43, 0x1e0, v37
	v_add_co_u32 v38, vcc_lo, v18, v17
	s_delay_alu instid0(VALU_DEP_3)
	v_add_co_ci_u32_e32 v39, vcc_lo, 0, v20, vcc_lo
	ds_load_b128 v[17:20], v25 offset:64
	ds_load_b128 v[21:24], v25 offset:80
	;; [unrolled: 1-line block ×3, first 2 shown]
	v_cmp_eq_u32_e32 vcc_lo, 0, v29
	v_mov_b32_e32 v37, 0xff7fffff
	v_add3_u32 v42, s33, v42, v30
	v_lshlrev_b64 v[29:30], 2, v[33:34]
	s_lshl_b64 s[36:37], s[24:25], 2
	s_sub_i32 s6, 1, s15
	s_add_u32 s1, s22, s36
	s_addc_u32 s3, s23, s37
	v_lshlrev_b32_e32 v41, 2, v41
	v_add_co_u32 v29, s1, s1, v29
	v_cmp_neq_f32_e64 s0, s30, 0
	v_add_co_ci_u32_e64 v30, s1, s3, v30, s1
	s_mov_b32 s35, s5
	s_mov_b32 s29, 0
	s_branch .LBB22_10
.LBB22_9:                               ;   in Loop: Header=BB22_10 Depth=1
	s_or_b32 exec_lo, exec_lo, s3
	v_add_nc_u32_e32 v44, 4, v44
	v_add_co_u32 v29, s3, v29, 16
	v_add_nc_u32_e32 v42, 32, v42
	v_add_nc_u32_e32 v43, 0x80, v43
	s_delay_alu instid0(VALU_DEP_4) | instskip(SKIP_1) | instid1(VALU_DEP_2)
	v_cmp_le_i32_e64 s1, s17, v44
	v_add_co_ci_u32_e64 v30, s3, 0, v30, s3
	s_or_b32 s29, s1, s29
	s_delay_alu instid0(SALU_CYCLE_1)
	s_and_not1_b32 exec_lo, exec_lo, s29
	s_cbranch_execz .LBB22_12
.LBB22_10:                              ; =>This Inner Loop Header: Depth=1
	global_load_b32 v47, v[29:30], off
	s_waitcnt vmcnt(0) lgkmcnt(0)
	v_mad_i64_i32 v[45:46], null, v47, s35, 0
	s_delay_alu instid0(VALU_DEP_1) | instskip(NEXT) | instid1(VALU_DEP_1)
	v_lshlrev_b64 v[45:46], 2, v[45:46]
	v_add_co_u32 v45, s1, v38, v45
	s_delay_alu instid0(VALU_DEP_1)
	v_add_co_ci_u32_e64 v46, s1, v39, v46, s1
	s_clause 0x1b
	global_load_b32 v47, v[45:46], off offset:128
	global_load_b32 v48, v[45:46], off
	global_load_b32 v49, v[45:46], off offset:256
	global_load_b32 v50, v[45:46], off offset:384
	global_load_b32 v51, v[45:46], off offset:512
	global_load_b32 v52, v[45:46], off offset:640
	global_load_b32 v53, v[45:46], off offset:768
	global_load_b32 v54, v[45:46], off offset:896
	global_load_b32 v55, v[45:46], off offset:1024
	global_load_b32 v56, v[45:46], off offset:1152
	global_load_b32 v57, v[45:46], off offset:1280
	global_load_b32 v58, v[45:46], off offset:1408
	global_load_b32 v59, v[45:46], off offset:1536
	global_load_b32 v60, v[45:46], off offset:1664
	global_load_b32 v61, v[45:46], off offset:1792
	global_load_b32 v62, v[45:46], off offset:1920
	global_load_b32 v63, v[45:46], off offset:2048
	global_load_b32 v64, v[45:46], off offset:2176
	global_load_b32 v65, v[45:46], off offset:2304
	global_load_b32 v66, v[45:46], off offset:2432
	global_load_b32 v67, v[45:46], off offset:2560
	global_load_b32 v68, v[45:46], off offset:2688
	global_load_b32 v69, v[45:46], off offset:2816
	global_load_b32 v70, v[45:46], off offset:2944
	global_load_b32 v71, v[45:46], off offset:3072
	global_load_b32 v72, v[45:46], off offset:3200
	global_load_b32 v73, v[45:46], off offset:3328
	global_load_b32 v45, v[45:46], off offset:3456
	s_waitcnt vmcnt(27)
	v_mul_f32_e32 v46, v2, v47
	s_waitcnt vmcnt(26)
	s_delay_alu instid0(VALU_DEP_1) | instskip(SKIP_1) | instid1(VALU_DEP_1)
	v_fmac_f32_e32 v46, v1, v48
	s_waitcnt vmcnt(25)
	v_fmac_f32_e32 v46, v3, v49
	s_waitcnt vmcnt(24)
	s_delay_alu instid0(VALU_DEP_1) | instskip(SKIP_1) | instid1(VALU_DEP_1)
	v_fmac_f32_e32 v46, v4, v50
	s_waitcnt vmcnt(23)
	v_fmac_f32_e32 v46, v5, v51
	;; [unrolled: 5-line block ×7, first 2 shown]
	s_waitcnt vmcnt(12)
	s_delay_alu instid0(VALU_DEP_1) | instskip(SKIP_1) | instid1(VALU_DEP_1)
	v_fmac_f32_e32 v46, v16, v62
	s_waitcnt vmcnt(11) lgkmcnt(2)
	v_fmac_f32_e32 v46, v17, v63
	s_waitcnt vmcnt(10)
	s_delay_alu instid0(VALU_DEP_1) | instskip(SKIP_1) | instid1(VALU_DEP_1)
	v_fmac_f32_e32 v46, v18, v64
	s_waitcnt vmcnt(9)
	v_fmac_f32_e32 v46, v19, v65
	s_waitcnt vmcnt(8)
	s_delay_alu instid0(VALU_DEP_1) | instskip(SKIP_1) | instid1(VALU_DEP_1)
	v_fmac_f32_e32 v46, v20, v66
	s_waitcnt vmcnt(7) lgkmcnt(1)
	v_fmac_f32_e32 v46, v21, v67
	s_waitcnt vmcnt(6)
	s_delay_alu instid0(VALU_DEP_1) | instskip(SKIP_1) | instid1(VALU_DEP_1)
	v_fmac_f32_e32 v46, v22, v68
	s_waitcnt vmcnt(5)
	v_fmac_f32_e32 v46, v23, v69
	s_waitcnt vmcnt(4)
	s_delay_alu instid0(VALU_DEP_1) | instskip(SKIP_1) | instid1(VALU_DEP_1)
	v_fmac_f32_e32 v46, v24, v70
	s_waitcnt vmcnt(3) lgkmcnt(0)
	v_fmac_f32_e32 v46, v25, v71
	s_waitcnt vmcnt(2)
	s_delay_alu instid0(VALU_DEP_1) | instskip(SKIP_1) | instid1(VALU_DEP_1)
	v_fmac_f32_e32 v46, v26, v72
	s_waitcnt vmcnt(1)
	v_fmac_f32_e32 v46, v27, v73
	s_waitcnt vmcnt(0)
	s_delay_alu instid0(VALU_DEP_1)
	v_fmac_f32_e32 v46, v28, v45
	ds_bpermute_b32 v45, v40, v46
	s_waitcnt lgkmcnt(0)
	v_add_f32_e32 v45, v46, v45
	ds_bpermute_b32 v46, v41, v45
	s_and_saveexec_b32 s3, vcc_lo
	s_cbranch_execz .LBB22_9
; %bb.11:                               ;   in Loop: Header=BB22_10 Depth=1
	s_waitcnt lgkmcnt(0)
	v_add_f32_e32 v45, v45, v46
	v_add_nc_u32_e32 v47, s6, v42
	v_cmp_gt_i32_e64 s1, s15, v42
	s_delay_alu instid0(VALU_DEP_2) | instskip(NEXT) | instid1(VALU_DEP_1)
	v_cvt_f32_i32_e32 v47, v47
	v_mul_f32_e32 v47, s30, v47
	s_delay_alu instid0(VALU_DEP_1) | instskip(SKIP_1) | instid1(VALU_DEP_2)
	v_cndmask_b32_e64 v46, 0, v47, s0
	v_max_f32_e32 v47, v37, v37
	v_fmac_f32_e32 v46, s31, v45
	s_delay_alu instid0(VALU_DEP_1) | instskip(SKIP_1) | instid1(VALU_DEP_2)
	v_max_f32_e32 v45, v47, v46
	v_cndmask_b32_e64 v46, 0, v46, s1
	v_cndmask_b32_e64 v37, v37, v45, s1
	ds_store_b32 v43, v46
	s_branch .LBB22_9
.LBB22_12:
	s_or_b32 exec_lo, exec_lo, s29
.LBB22_13:
	s_delay_alu instid0(SALU_CYCLE_1) | instskip(SKIP_3) | instid1(VALU_DEP_3)
	s_or_b32 exec_lo, exec_lo, s34
	v_xor_b32_e32 v1, 16, v32
	v_xor_b32_e32 v3, 8, v32
	v_max_f32_e32 v5, v37, v37
	v_cmp_lt_i32_e32 vcc_lo, v1, v35
	v_cndmask_b32_e32 v1, v32, v1, vcc_lo
	s_delay_alu instid0(VALU_DEP_4) | instskip(SKIP_1) | instid1(VALU_DEP_1)
	v_cmp_lt_i32_e32 vcc_lo, v3, v35
	v_cndmask_b32_e32 v3, v32, v3, vcc_lo
	v_lshlrev_b32_e32 v4, 2, v3
	s_delay_alu instid0(VALU_DEP_4) | instskip(SKIP_4) | instid1(VALU_DEP_1)
	v_lshlrev_b32_e32 v2, 2, v1
	ds_bpermute_b32 v1, v2, v37
	v_and_b32_e32 v37, 31, v0
	s_waitcnt lgkmcnt(0)
	v_max_f32_e32 v1, v1, v1
	v_max_f32_e32 v1, v5, v1
	v_xor_b32_e32 v5, 4, v32
	ds_bpermute_b32 v3, v4, v1
	v_cmp_lt_i32_e32 vcc_lo, v5, v35
	v_cndmask_b32_e32 v5, v32, v5, vcc_lo
	v_cmp_eq_u32_e32 vcc_lo, 0, v37
	s_delay_alu instid0(VALU_DEP_2) | instskip(SKIP_3) | instid1(VALU_DEP_1)
	v_lshlrev_b32_e32 v7, 2, v5
	v_lshlrev_b32_e32 v5, 2, v36
	s_waitcnt lgkmcnt(0)
	v_max_f32_e32 v3, v3, v3
	v_max_f32_e32 v1, v1, v3
	ds_bpermute_b32 v3, v7, v1
	s_and_saveexec_b32 s0, vcc_lo
	s_cbranch_execz .LBB22_15
; %bb.14:
	s_waitcnt lgkmcnt(0)
	v_max_f32_e32 v3, v3, v3
	v_max_f32_e32 v1, v1, v1
	s_delay_alu instid0(VALU_DEP_1)
	v_max_f32_e32 v1, v1, v3
	ds_store_b32 v5, v1 offset:448
.LBB22_15:
	s_or_b32 exec_lo, exec_lo, s0
	v_cmp_gt_u32_e64 s0, 4, v37
	v_dual_mov_b32 v1, 0xff7fffff :: v_dual_lshlrev_b32 v6, 2, v37
	s_waitcnt lgkmcnt(0)
	s_barrier
	buffer_gl0_inv
	s_and_saveexec_b32 s1, s0
	s_cbranch_execz .LBB22_17
; %bb.16:
	ds_load_b32 v1, v6 offset:448
.LBB22_17:
	s_or_b32 exec_lo, exec_lo, s1
	v_xor_b32_e32 v3, 2, v32
	v_xor_b32_e32 v9, 1, v32
	v_mov_b32_e32 v10, 0
	s_delay_alu instid0(VALU_DEP_3) | instskip(NEXT) | instid1(VALU_DEP_1)
	v_cmp_lt_i32_e64 s1, v3, v35
	v_cndmask_b32_e64 v3, v32, v3, s1
	s_delay_alu instid0(VALU_DEP_4) | instskip(NEXT) | instid1(VALU_DEP_2)
	v_cmp_lt_i32_e64 s1, v9, v35
	v_lshlrev_b32_e32 v8, 2, v3
	s_delay_alu instid0(VALU_DEP_2) | instskip(SKIP_1) | instid1(SALU_CYCLE_1)
	v_cndmask_b32_e64 v9, v32, v9, s1
	s_sub_i32 s1, s17, s7
	s_lshl_b32 s1, s1, 3
	s_waitcnt lgkmcnt(0)
	ds_bpermute_b32 v3, v8, v1
	v_max_f32_e32 v1, v1, v1
	v_lshlrev_b32_e32 v38, 2, v9
	v_lshlrev_b32_e32 v9, 2, v32
	s_add_i32 s1, s1, s33
	s_delay_alu instid0(SALU_CYCLE_1) | instskip(NEXT) | instid1(VALU_DEP_1)
	s_min_i32 s1, s1, s15
	v_and_b32_e32 v9, 0xffffff80, v9
	s_sub_i32 s6, s1, s33
	s_delay_alu instid0(SALU_CYCLE_1) | instskip(SKIP_2) | instid1(VALU_DEP_1)
	v_cmp_gt_i32_e64 s1, s6, v0
	s_waitcnt lgkmcnt(0)
	v_max_f32_e32 v3, v3, v3
	v_max_f32_e32 v1, v1, v3
	ds_bpermute_b32 v3, v38, v1
	s_waitcnt lgkmcnt(0)
	v_max_f32_e32 v3, v3, v3
	s_delay_alu instid0(VALU_DEP_1)
	v_max_f32_e32 v1, v1, v3
	v_lshl_add_u32 v3, v0, 2, 0x1e0
	ds_bpermute_b32 v1, v9, v1
	s_and_saveexec_b32 s7, s1
	s_cbranch_execz .LBB22_21
; %bb.18:
	v_lshl_add_u32 v11, v0, 2, 0x1e0
	v_mov_b32_e32 v10, 0
	v_mov_b32_e32 v12, v0
	s_mov_b32 s29, 0
	.p2align	6
.LBB22_19:                              ; =>This Inner Loop Header: Depth=1
	ds_load_b32 v13, v11
	v_add_nc_u32_e32 v12, 0x80, v12
	s_delay_alu instid0(VALU_DEP_1) | instskip(NEXT) | instid1(VALU_DEP_1)
	v_cmp_le_i32_e64 s3, s6, v12
	s_or_b32 s29, s3, s29
	s_waitcnt lgkmcnt(0)
	v_sub_f32_e32 v13, v13, v1
	s_delay_alu instid0(VALU_DEP_1) | instskip(NEXT) | instid1(VALU_DEP_1)
	v_mul_f32_e32 v13, 0x3fb8aa3b, v13
	v_exp_f32_e32 v13, v13
	ds_store_b32 v11, v13
	v_dual_add_f32 v10, v10, v13 :: v_dual_add_nc_u32 v11, 0x200, v11
	s_and_not1_b32 exec_lo, exec_lo, s29
	s_cbranch_execnz .LBB22_19
; %bb.20:
	s_or_b32 exec_lo, exec_lo, s29
.LBB22_21:
	s_delay_alu instid0(SALU_CYCLE_1)
	s_or_b32 exec_lo, exec_lo, s7
	ds_bpermute_b32 v2, v2, v10
	s_waitcnt lgkmcnt(0)
	v_add_f32_e32 v2, v10, v2
	ds_bpermute_b32 v4, v4, v2
	s_waitcnt lgkmcnt(0)
	v_add_f32_e32 v2, v2, v4
	;; [unrolled: 3-line block ×5, first 2 shown]
	s_and_saveexec_b32 s3, vcc_lo
	s_cbranch_execz .LBB22_23
; %bb.22:
	ds_store_b32 v5, v2 offset:464
.LBB22_23:
	s_or_b32 exec_lo, exec_lo, s3
	s_waitcnt lgkmcnt(0)
	s_barrier
	buffer_gl0_inv
	s_and_saveexec_b32 s3, s0
	s_cbranch_execz .LBB22_25
; %bb.24:
	ds_load_b32 v2, v6 offset:464
.LBB22_25:
	s_or_b32 exec_lo, exec_lo, s3
	s_waitcnt lgkmcnt(0)
	ds_bpermute_b32 v4, v8, v2
	s_waitcnt lgkmcnt(0)
	v_add_f32_e32 v2, v2, v4
	ds_bpermute_b32 v4, v38, v2
	s_waitcnt lgkmcnt(0)
	v_add_f32_e32 v2, v2, v4
	ds_bpermute_b32 v2, v9, v2
	s_and_saveexec_b32 s0, s1
	s_cbranch_execz .LBB22_28
; %bb.26:
	s_waitcnt lgkmcnt(0)
	v_add_f32_e32 v4, 0x358637bd, v2
	s_mov_b32 s1, 0
	s_delay_alu instid0(VALU_DEP_1) | instskip(SKIP_1) | instid1(VALU_DEP_2)
	v_div_scale_f32 v5, null, v4, v4, 1.0
	v_div_scale_f32 v8, vcc_lo, 1.0, v4, 1.0
	v_rcp_f32_e32 v6, v5
	s_waitcnt_depctr 0xfff
	v_fma_f32 v7, -v5, v6, 1.0
	s_delay_alu instid0(VALU_DEP_1) | instskip(NEXT) | instid1(VALU_DEP_1)
	v_fmac_f32_e32 v6, v7, v6
	v_mul_f32_e32 v7, v8, v6
	s_delay_alu instid0(VALU_DEP_1) | instskip(NEXT) | instid1(VALU_DEP_1)
	v_fma_f32 v9, -v5, v7, v8
	v_fmac_f32_e32 v7, v9, v6
	s_delay_alu instid0(VALU_DEP_1) | instskip(NEXT) | instid1(VALU_DEP_1)
	v_fma_f32 v5, -v5, v7, v8
	v_div_fmas_f32 v5, v5, v6, v7
	s_delay_alu instid0(VALU_DEP_1)
	v_div_fixup_f32 v4, v5, v4, 1.0
	v_mov_b32_e32 v5, v0
.LBB22_27:                              ; =>This Inner Loop Header: Depth=1
	ds_load_b32 v6, v3
	s_waitcnt lgkmcnt(0)
	v_dual_mul_f32 v6, v4, v6 :: v_dual_add_nc_u32 v5, 0x80, v5
	s_delay_alu instid0(VALU_DEP_1) | instskip(SKIP_3) | instid1(SALU_CYCLE_1)
	v_cmp_le_i32_e32 vcc_lo, s6, v5
	ds_store_b32 v3, v6
	v_add_nc_u32_e32 v3, 0x200, v3
	s_or_b32 s1, vcc_lo, s1
	s_and_not1_b32 exec_lo, exec_lo, s1
	s_cbranch_execnz .LBB22_27
.LBB22_28:
	s_or_b32 exec_lo, exec_lo, s0
	s_mul_i32 s0, s4, s14
	s_waitcnt lgkmcnt(0)
	s_mul_i32 s6, s0, s13
	s_mov_b32 s0, exec_lo
	s_barrier
	buffer_gl0_inv
	v_cmpx_eq_u32_e32 0, v0
	s_cbranch_execz .LBB22_30
; %bb.29:
	s_ashr_i32 s7, s6, 31
	s_mul_i32 s34, s4, s20
	s_lshl_b64 s[30:31], s[6:7], 2
	v_mov_b32_e32 v3, 0
	s_add_u32 s1, s10, s30
	s_addc_u32 s3, s11, s31
	s_ashr_i32 s35, s34, 31
	s_delay_alu instid0(SALU_CYCLE_1) | instskip(NEXT) | instid1(SALU_CYCLE_1)
	s_lshl_b64 s[10:11], s[34:35], 2
	s_add_u32 s1, s1, s10
	s_addc_u32 s3, s3, s11
	s_ashr_i32 s13, s12, 31
	s_delay_alu instid0(SALU_CYCLE_1) | instskip(NEXT) | instid1(SALU_CYCLE_1)
	s_lshl_b64 s[34:35], s[12:13], 2
	s_add_u32 s36, s1, s34
	s_addc_u32 s37, s3, s35
	s_add_u32 s1, s8, s30
	s_addc_u32 s3, s9, s31
	s_add_u32 s1, s1, s10
	s_addc_u32 s3, s3, s11
	s_add_u32 s8, s1, s34
	s_addc_u32 s9, s3, s35
	s_clause 0x1
	global_store_b32 v3, v1, s[36:37]
	global_store_b32 v3, v2, s[8:9]
.LBB22_30:
	s_or_b32 exec_lo, exec_lo, s0
	v_dual_mov_b32 v40, 0 :: v_dual_and_b32 v39, 1, v0
	v_dual_mov_b32 v42, 0 :: v_dual_mov_b32 v43, 0
	v_dual_mov_b32 v44, 0 :: v_dual_mov_b32 v45, 0
	v_dual_mov_b32 v46, 0 :: v_dual_mov_b32 v41, 0
	s_mov_b32 s3, 0
	s_and_saveexec_b32 s1, s2
	s_cbranch_execz .LBB22_48
; %bb.31:
	v_dual_mov_b32 v46, 0 :: v_dual_lshlrev_b32 v1, 4, v0
	s_ashr_i32 s29, s28, 31
	v_dual_mov_b32 v41, 0 :: v_dual_and_b32 v2, 4, v31
	s_delay_alu instid0(VALU_DEP_2) | instskip(SKIP_4) | instid1(VALU_DEP_2)
	v_dual_mov_b32 v42, 0 :: v_dual_and_b32 v1, 0x1f0, v1
	v_lshl_add_u32 v4, v36, 3, s33
	s_lshl_b64 s[8:9], s[28:29], 2
	v_dual_mov_b32 v44, 0 :: v_dual_lshlrev_b32 v3, 4, v39
	s_add_u32 s0, s26, s8
	v_add3_u32 v49, v4, v2, 3
	v_add_co_u32 v47, s0, s0, v1
	v_lshlrev_b64 v[1:2], 2, v[33:34]
	s_addc_u32 s2, s27, s9
	s_lshl_b64 s[8:9], s[24:25], 2
	s_add_i32 s21, s21, -1
	v_lshl_or_b32 v3, v36, 5, v3
	v_add_co_ci_u32_e64 v48, null, s2, 0, s0
	s_add_u32 s0, s22, s8
	s_addc_u32 s2, s23, s9
	v_add_co_u32 v34, vcc_lo, s0, v1
	v_dual_mov_b32 v45, 0 :: v_dual_add_nc_u32 v50, 0x1e0, v3
	v_add_co_ci_u32_e32 v35, vcc_lo, s2, v2, vcc_lo
	v_dual_mov_b32 v43, 0 :: v_dual_mov_b32 v40, 0
	s_mov_b32 s2, s5
	s_branch .LBB22_33
.LBB22_32:                              ;   in Loop: Header=BB22_33 Depth=1
	s_or_b32 exec_lo, exec_lo, s0
	s_waitcnt vmcnt(6) lgkmcnt(0)
	v_mul_f32_e32 v6, v2, v6
	s_waitcnt vmcnt(5)
	v_mul_f32_e32 v10, v2, v10
	v_add_co_u32 v34, s0, v34, 16
	v_add_nc_u32_e32 v50, 0x80, v50
	s_waitcnt vmcnt(2)
	v_dual_fmac_f32 v6, v1, v5 :: v_dual_mul_f32 v5, v2, v22
	s_waitcnt vmcnt(1)
	v_dual_fmac_f32 v10, v1, v9 :: v_dual_mul_f32 v9, v2, v26
	v_add_co_ci_u32_e64 v35, s0, 0, v35, s0
	s_delay_alu instid0(VALU_DEP_3) | instskip(NEXT) | instid1(VALU_DEP_3)
	v_dual_fmac_f32 v5, v1, v21 :: v_dual_mul_f32 v14, v2, v14
	v_dual_fmac_f32 v9, v1, v25 :: v_dual_mul_f32 v18, v2, v18
	v_add_nc_u32_e32 v49, 32, v49
	s_waitcnt vmcnt(0)
	s_delay_alu instid0(VALU_DEP_3) | instskip(NEXT) | instid1(VALU_DEP_3)
	v_dual_fmac_f32 v5, v3, v23 :: v_dual_mul_f32 v2, v2, v30
	v_dual_fmac_f32 v9, v3, v27 :: v_dual_fmac_f32 v14, v1, v13
	s_delay_alu instid0(VALU_DEP_2) | instskip(NEXT) | instid1(VALU_DEP_2)
	v_dual_fmac_f32 v18, v1, v17 :: v_dual_fmac_f32 v5, v4, v24
	v_dual_fmac_f32 v2, v1, v29 :: v_dual_fmac_f32 v9, v4, v28
	s_delay_alu instid0(VALU_DEP_3) | instskip(NEXT) | instid1(VALU_DEP_3)
	v_fmac_f32_e32 v14, v3, v15
	v_fmac_f32_e32 v18, v3, v19
	s_delay_alu instid0(VALU_DEP_4) | instskip(NEXT) | instid1(VALU_DEP_4)
	v_add_f32_e32 v43, v43, v5
	v_fmac_f32_e32 v2, v3, v31
	v_add_f32_e32 v42, v42, v9
	v_fmac_f32_e32 v14, v4, v16
	v_fmac_f32_e32 v6, v3, v7
	;; [unrolled: 1-line block ×3, first 2 shown]
	v_dual_fmac_f32 v2, v4, v32 :: v_dual_add_nc_u32 v33, 4, v33
	s_delay_alu instid0(VALU_DEP_3) | instskip(SKIP_1) | instid1(VALU_DEP_4)
	v_dual_add_f32 v45, v45, v14 :: v_dual_fmac_f32 v6, v4, v8
	v_fmac_f32_e32 v10, v3, v11
	v_add_f32_e32 v44, v44, v18
	s_delay_alu instid0(VALU_DEP_4) | instskip(SKIP_1) | instid1(VALU_DEP_4)
	v_add_f32_e32 v40, v40, v2
	v_cmp_le_i32_e32 vcc_lo, s17, v33
	v_dual_add_f32 v41, v41, v6 :: v_dual_fmac_f32 v10, v4, v12
	s_or_b32 s3, vcc_lo, s3
	s_delay_alu instid0(VALU_DEP_1)
	v_add_f32_e32 v46, v46, v10
	s_and_not1_b32 exec_lo, exec_lo, s3
	s_cbranch_execz .LBB22_47
.LBB22_33:                              ; =>This Inner Loop Header: Depth=1
	global_load_b32 v3, v[34:35], off
	v_add_nc_u32_e32 v51, -3, v49
	v_add_nc_u32_e32 v53, -2, v49
	;; [unrolled: 1-line block ×3, first 2 shown]
	s_waitcnt vmcnt(0)
	v_mad_i64_i32 v[1:2], null, v3, s2, 0
	s_delay_alu instid0(VALU_DEP_1) | instskip(NEXT) | instid1(VALU_DEP_1)
	v_lshlrev_b64 v[1:2], 2, v[1:2]
	v_add_co_u32 v29, vcc_lo, v47, v1
	s_delay_alu instid0(VALU_DEP_2)
	v_add_co_ci_u32_e32 v30, vcc_lo, v48, v2, vcc_lo
	ds_load_b128 v[1:4], v50
	v_cmp_eq_u32_e32 vcc_lo, s21, v33
	global_load_b128 v[5:8], v[29:30], off
	s_and_saveexec_b32 s5, vcc_lo
	s_cbranch_execnz .LBB22_40
; %bb.34:                               ;   in Loop: Header=BB22_33 Depth=1
	s_or_b32 exec_lo, exec_lo, s5
	global_load_b128 v[9:12], v[29:30], off offset:512
	s_and_saveexec_b32 s5, vcc_lo
	s_cbranch_execnz .LBB22_41
.LBB22_35:                              ;   in Loop: Header=BB22_33 Depth=1
	s_or_b32 exec_lo, exec_lo, s5
	global_load_b128 v[13:16], v[29:30], off offset:1024
	s_and_saveexec_b32 s5, vcc_lo
	s_cbranch_execnz .LBB22_42
.LBB22_36:                              ;   in Loop: Header=BB22_33 Depth=1
	s_or_b32 exec_lo, exec_lo, s5
	global_load_b128 v[17:20], v[29:30], off offset:1536
	s_and_saveexec_b32 s5, vcc_lo
	s_cbranch_execnz .LBB22_43
.LBB22_37:                              ;   in Loop: Header=BB22_33 Depth=1
	s_or_b32 exec_lo, exec_lo, s5
	global_load_b128 v[21:24], v[29:30], off offset:2048
	s_and_saveexec_b32 s5, vcc_lo
	s_cbranch_execnz .LBB22_44
.LBB22_38:                              ;   in Loop: Header=BB22_33 Depth=1
	s_or_b32 exec_lo, exec_lo, s5
	global_load_b128 v[25:28], v[29:30], off offset:2560
	s_and_saveexec_b32 s5, vcc_lo
	s_cbranch_execnz .LBB22_45
.LBB22_39:                              ;   in Loop: Header=BB22_33 Depth=1
	s_or_b32 exec_lo, exec_lo, s5
	global_load_b128 v[29:32], v[29:30], off offset:3072
	s_and_saveexec_b32 s0, vcc_lo
	s_cbranch_execz .LBB22_32
	s_branch .LBB22_46
.LBB22_40:                              ;   in Loop: Header=BB22_33 Depth=1
	v_cmp_gt_i32_e64 s0, s15, v51
	s_waitcnt vmcnt(0)
	s_delay_alu instid0(VALU_DEP_1) | instskip(SKIP_1) | instid1(VALU_DEP_1)
	v_cndmask_b32_e64 v5, 0, v5, s0
	v_cmp_gt_i32_e64 s0, s15, v53
	v_cndmask_b32_e64 v6, 0, v6, s0
	v_cmp_gt_i32_e64 s0, s15, v52
	s_delay_alu instid0(VALU_DEP_1) | instskip(SKIP_1) | instid1(VALU_DEP_1)
	v_cndmask_b32_e64 v7, 0, v7, s0
	v_cmp_gt_i32_e64 s0, s15, v49
	v_cndmask_b32_e64 v8, 0, v8, s0
	s_or_b32 exec_lo, exec_lo, s5
	global_load_b128 v[9:12], v[29:30], off offset:512
	s_and_saveexec_b32 s5, vcc_lo
	s_cbranch_execz .LBB22_35
.LBB22_41:                              ;   in Loop: Header=BB22_33 Depth=1
	v_cmp_gt_i32_e64 s0, s15, v51
	s_waitcnt vmcnt(0)
	s_delay_alu instid0(VALU_DEP_1) | instskip(SKIP_1) | instid1(VALU_DEP_1)
	v_cndmask_b32_e64 v9, 0, v9, s0
	v_cmp_gt_i32_e64 s0, s15, v53
	v_cndmask_b32_e64 v10, 0, v10, s0
	v_cmp_gt_i32_e64 s0, s15, v52
	s_delay_alu instid0(VALU_DEP_1) | instskip(SKIP_1) | instid1(VALU_DEP_1)
	v_cndmask_b32_e64 v11, 0, v11, s0
	v_cmp_gt_i32_e64 s0, s15, v49
	v_cndmask_b32_e64 v12, 0, v12, s0
	s_or_b32 exec_lo, exec_lo, s5
	global_load_b128 v[13:16], v[29:30], off offset:1024
	s_and_saveexec_b32 s5, vcc_lo
	s_cbranch_execz .LBB22_36
.LBB22_42:                              ;   in Loop: Header=BB22_33 Depth=1
	v_cmp_gt_i32_e64 s0, s15, v51
	s_waitcnt vmcnt(0)
	s_delay_alu instid0(VALU_DEP_1) | instskip(SKIP_1) | instid1(VALU_DEP_1)
	v_cndmask_b32_e64 v13, 0, v13, s0
	v_cmp_gt_i32_e64 s0, s15, v53
	v_cndmask_b32_e64 v14, 0, v14, s0
	v_cmp_gt_i32_e64 s0, s15, v52
	s_delay_alu instid0(VALU_DEP_1) | instskip(SKIP_1) | instid1(VALU_DEP_1)
	v_cndmask_b32_e64 v15, 0, v15, s0
	v_cmp_gt_i32_e64 s0, s15, v49
	v_cndmask_b32_e64 v16, 0, v16, s0
	s_or_b32 exec_lo, exec_lo, s5
	global_load_b128 v[17:20], v[29:30], off offset:1536
	s_and_saveexec_b32 s5, vcc_lo
	s_cbranch_execz .LBB22_37
.LBB22_43:                              ;   in Loop: Header=BB22_33 Depth=1
	v_cmp_gt_i32_e64 s0, s15, v51
	s_waitcnt vmcnt(0)
	s_delay_alu instid0(VALU_DEP_1) | instskip(SKIP_1) | instid1(VALU_DEP_1)
	v_cndmask_b32_e64 v17, 0, v17, s0
	v_cmp_gt_i32_e64 s0, s15, v53
	v_cndmask_b32_e64 v18, 0, v18, s0
	v_cmp_gt_i32_e64 s0, s15, v52
	s_delay_alu instid0(VALU_DEP_1) | instskip(SKIP_1) | instid1(VALU_DEP_1)
	v_cndmask_b32_e64 v19, 0, v19, s0
	v_cmp_gt_i32_e64 s0, s15, v49
	v_cndmask_b32_e64 v20, 0, v20, s0
	s_or_b32 exec_lo, exec_lo, s5
	global_load_b128 v[21:24], v[29:30], off offset:2048
	s_and_saveexec_b32 s5, vcc_lo
	s_cbranch_execz .LBB22_38
.LBB22_44:                              ;   in Loop: Header=BB22_33 Depth=1
	v_cmp_gt_i32_e64 s0, s15, v51
	s_waitcnt vmcnt(0)
	s_delay_alu instid0(VALU_DEP_1) | instskip(SKIP_1) | instid1(VALU_DEP_1)
	v_cndmask_b32_e64 v21, 0, v21, s0
	v_cmp_gt_i32_e64 s0, s15, v53
	v_cndmask_b32_e64 v22, 0, v22, s0
	v_cmp_gt_i32_e64 s0, s15, v52
	s_delay_alu instid0(VALU_DEP_1) | instskip(SKIP_1) | instid1(VALU_DEP_1)
	v_cndmask_b32_e64 v23, 0, v23, s0
	v_cmp_gt_i32_e64 s0, s15, v49
	v_cndmask_b32_e64 v24, 0, v24, s0
	s_or_b32 exec_lo, exec_lo, s5
	global_load_b128 v[25:28], v[29:30], off offset:2560
	s_and_saveexec_b32 s5, vcc_lo
	s_cbranch_execz .LBB22_39
.LBB22_45:                              ;   in Loop: Header=BB22_33 Depth=1
	v_cmp_gt_i32_e64 s0, s15, v51
	s_waitcnt vmcnt(0)
	s_delay_alu instid0(VALU_DEP_1) | instskip(SKIP_1) | instid1(VALU_DEP_1)
	v_cndmask_b32_e64 v25, 0, v25, s0
	v_cmp_gt_i32_e64 s0, s15, v53
	v_cndmask_b32_e64 v26, 0, v26, s0
	v_cmp_gt_i32_e64 s0, s15, v52
	s_delay_alu instid0(VALU_DEP_1) | instskip(SKIP_1) | instid1(VALU_DEP_1)
	v_cndmask_b32_e64 v27, 0, v27, s0
	v_cmp_gt_i32_e64 s0, s15, v49
	v_cndmask_b32_e64 v28, 0, v28, s0
	s_or_b32 exec_lo, exec_lo, s5
	global_load_b128 v[29:32], v[29:30], off offset:3072
	s_and_saveexec_b32 s0, vcc_lo
	s_cbranch_execz .LBB22_32
.LBB22_46:                              ;   in Loop: Header=BB22_33 Depth=1
	v_cmp_gt_i32_e32 vcc_lo, s15, v51
	s_waitcnt vmcnt(0)
	v_cndmask_b32_e32 v29, 0, v29, vcc_lo
	v_cmp_gt_i32_e32 vcc_lo, s15, v53
	v_cndmask_b32_e32 v30, 0, v30, vcc_lo
	v_cmp_gt_i32_e32 vcc_lo, s15, v52
	;; [unrolled: 2-line block ×3, first 2 shown]
	v_cndmask_b32_e32 v32, 0, v32, vcc_lo
	s_branch .LBB22_32
.LBB22_47:
	s_or_b32 exec_lo, exec_lo, s3
.LBB22_48:
	s_delay_alu instid0(SALU_CYCLE_1)
	s_or_b32 exec_lo, exec_lo, s1
	ds_bpermute_b32 v1, v38, v41
	ds_bpermute_b32 v2, v38, v46
	;; [unrolled: 1-line block ×7, first 2 shown]
	v_and_b32_e32 v5, 0x3c1, v0
	v_lshrrev_b32_e32 v8, 1, v37
	s_movk_i32 s0, 0x1c0
	s_waitcnt lgkmcnt(0)
	s_waitcnt_vscnt null, 0x0
	v_mad_u32_u24 v9, v36, s0, 0x1e0
	s_barrier
	buffer_gl0_inv
	v_dual_add_f32 v7, v41, v1 :: v_dual_add_f32 v6, v46, v2
	v_cmp_eq_u32_e32 vcc_lo, 64, v5
	v_dual_add_f32 v4, v44, v4 :: v_dual_add_f32 v5, v45, v3
	v_dual_add_f32 v3, v43, v10 :: v_dual_add_f32 v2, v42, v11
	v_add_f32_e32 v1, v40, v12
	v_lshlrev_b32_e32 v10, 2, v8
	s_and_saveexec_b32 s0, vcc_lo
	s_cbranch_execz .LBB22_50
; %bb.49:
	s_delay_alu instid0(VALU_DEP_1)
	v_add3_u32 v11, v9, v10, 0xfffffc80
	ds_store_2addr_b32 v11, v7, v6 offset1:16
	ds_store_2addr_b32 v11, v5, v4 offset0:32 offset1:48
	ds_store_2addr_b32 v11, v3, v2 offset0:64 offset1:80
	ds_store_b32 v11, v1 offset:384
.LBB22_50:
	s_or_b32 exec_lo, exec_lo, s0
	v_cmp_eq_u32_e32 vcc_lo, 0, v39
	s_mov_b32 s1, exec_lo
	s_waitcnt lgkmcnt(0)
	s_barrier
	buffer_gl0_inv
	v_cmpx_gt_u32_e32 64, v0
	s_cbranch_execz .LBB22_60
; %bb.51:
	s_and_saveexec_b32 s0, vcc_lo
	s_cbranch_execnz .LBB22_75
; %bb.52:
	s_or_b32 exec_lo, exec_lo, s0
	s_and_saveexec_b32 s0, vcc_lo
	s_cbranch_execnz .LBB22_76
.LBB22_53:
	s_or_b32 exec_lo, exec_lo, s0
	s_and_saveexec_b32 s0, vcc_lo
	s_cbranch_execnz .LBB22_77
.LBB22_54:
	s_or_b32 exec_lo, exec_lo, s0
	s_and_saveexec_b32 s0, vcc_lo
	s_cbranch_execnz .LBB22_78
.LBB22_55:
	s_or_b32 exec_lo, exec_lo, s0
	s_and_saveexec_b32 s0, vcc_lo
	s_cbranch_execnz .LBB22_79
.LBB22_56:
	s_or_b32 exec_lo, exec_lo, s0
	s_and_saveexec_b32 s0, vcc_lo
	s_cbranch_execnz .LBB22_80
.LBB22_57:
	s_or_b32 exec_lo, exec_lo, s0
	s_and_saveexec_b32 s0, vcc_lo
	s_cbranch_execz .LBB22_59
.LBB22_58:
	v_lshl_add_u32 v11, v8, 2, v9
	ds_load_b32 v11, v11 offset:384
	s_waitcnt lgkmcnt(0)
	v_add_f32_e32 v1, v1, v11
.LBB22_59:
	s_or_b32 exec_lo, exec_lo, s0
.LBB22_60:
	s_delay_alu instid0(SALU_CYCLE_1)
	s_or_b32 exec_lo, exec_lo, s1
	v_and_b32_e32 v11, 0x3e1, v0
	s_mov_b32 s1, exec_lo
	s_barrier
	buffer_gl0_inv
	v_cmpx_eq_u32_e32 32, v11
	s_cbranch_execz .LBB22_62
; %bb.61:
	v_add3_u32 v10, v9, v10, 0xfffffe40
	ds_store_2addr_b32 v10, v7, v6 offset1:16
	ds_store_2addr_b32 v10, v5, v4 offset0:32 offset1:48
	ds_store_2addr_b32 v10, v3, v2 offset0:64 offset1:80
	ds_store_b32 v10, v1 offset:384
.LBB22_62:
	s_or_b32 exec_lo, exec_lo, s1
	s_delay_alu instid0(SALU_CYCLE_1)
	s_mov_b32 s1, exec_lo
	s_waitcnt lgkmcnt(0)
	s_barrier
	buffer_gl0_inv
	v_cmpx_gt_u32_e32 32, v0
	s_cbranch_execz .LBB22_72
; %bb.63:
	v_lshl_add_u32 v8, v8, 2, v9
	s_and_saveexec_b32 s0, vcc_lo
	s_cbranch_execnz .LBB22_81
; %bb.64:
	s_or_b32 exec_lo, exec_lo, s0
	s_and_saveexec_b32 s0, vcc_lo
	s_cbranch_execnz .LBB22_82
.LBB22_65:
	s_or_b32 exec_lo, exec_lo, s0
	s_and_saveexec_b32 s0, vcc_lo
	s_cbranch_execnz .LBB22_83
.LBB22_66:
	s_or_b32 exec_lo, exec_lo, s0
	s_and_saveexec_b32 s0, vcc_lo
	s_cbranch_execnz .LBB22_84
.LBB22_67:
	s_or_b32 exec_lo, exec_lo, s0
	s_and_saveexec_b32 s0, vcc_lo
	s_cbranch_execnz .LBB22_85
.LBB22_68:
	s_or_b32 exec_lo, exec_lo, s0
	s_and_saveexec_b32 s0, vcc_lo
	s_cbranch_execnz .LBB22_86
.LBB22_69:
	s_or_b32 exec_lo, exec_lo, s0
	s_and_saveexec_b32 s0, vcc_lo
	s_cbranch_execz .LBB22_71
.LBB22_70:
	ds_load_b32 v8, v8 offset:384
	s_waitcnt lgkmcnt(0)
	v_add_f32_e32 v1, v1, v8
.LBB22_71:
	s_or_b32 exec_lo, exec_lo, s0
.LBB22_72:
	s_delay_alu instid0(SALU_CYCLE_1)
	s_or_b32 exec_lo, exec_lo, s1
	s_barrier
	buffer_gl0_inv
	s_mov_b32 s0, exec_lo
	v_cmpx_eq_u32_e32 0, v11
	s_cbranch_execz .LBB22_74
; %bb.73:
	s_mul_i32 s0, s6, 0x70
	s_mul_i32 s2, s4, s16
	s_ashr_i32 s1, s0, 31
	v_lshlrev_b32_e32 v0, 1, v0
	s_lshl_b64 s[0:1], s[0:1], 2
	s_delay_alu instid0(SALU_CYCLE_1) | instskip(SKIP_2) | instid1(SALU_CYCLE_1)
	s_add_u32 s4, s18, s0
	s_addc_u32 s5, s19, s1
	s_ashr_i32 s3, s2, 31
	s_lshl_b64 s[0:1], s[2:3], 2
	s_mul_i32 s2, s12, 0x70
	s_add_u32 s4, s4, s0
	s_addc_u32 s5, s5, s1
	s_ashr_i32 s3, s2, 31
	s_delay_alu instid0(SALU_CYCLE_1) | instskip(NEXT) | instid1(SALU_CYCLE_1)
	s_lshl_b64 s[0:1], s[2:3], 2
	s_add_u32 s0, s4, s0
	s_addc_u32 s1, s5, s1
	s_clause 0x6
	global_store_b32 v0, v7, s[0:1]
	global_store_b32 v0, v6, s[0:1] offset:64
	global_store_b32 v0, v5, s[0:1] offset:128
	;; [unrolled: 1-line block ×6, first 2 shown]
.LBB22_74:
	s_nop 0
	s_sendmsg sendmsg(MSG_DEALLOC_VGPRS)
	s_endpgm
.LBB22_75:
	v_lshl_add_u32 v11, v8, 2, v9
	ds_load_b32 v11, v11
	s_waitcnt lgkmcnt(0)
	v_add_f32_e32 v7, v7, v11
	s_or_b32 exec_lo, exec_lo, s0
	s_and_saveexec_b32 s0, vcc_lo
	s_cbranch_execz .LBB22_53
.LBB22_76:
	v_lshl_add_u32 v11, v8, 2, v9
	ds_load_b32 v11, v11 offset:64
	s_waitcnt lgkmcnt(0)
	v_add_f32_e32 v6, v6, v11
	s_or_b32 exec_lo, exec_lo, s0
	s_and_saveexec_b32 s0, vcc_lo
	s_cbranch_execz .LBB22_54
.LBB22_77:
	v_lshl_add_u32 v11, v8, 2, v9
	ds_load_b32 v11, v11 offset:128
	s_waitcnt lgkmcnt(0)
	v_add_f32_e32 v5, v5, v11
	s_or_b32 exec_lo, exec_lo, s0
	s_and_saveexec_b32 s0, vcc_lo
	s_cbranch_execz .LBB22_55
.LBB22_78:
	v_lshl_add_u32 v11, v8, 2, v9
	ds_load_b32 v11, v11 offset:192
	s_waitcnt lgkmcnt(0)
	v_add_f32_e32 v4, v4, v11
	s_or_b32 exec_lo, exec_lo, s0
	s_and_saveexec_b32 s0, vcc_lo
	s_cbranch_execz .LBB22_56
.LBB22_79:
	v_lshl_add_u32 v11, v8, 2, v9
	ds_load_b32 v11, v11 offset:256
	s_waitcnt lgkmcnt(0)
	v_add_f32_e32 v3, v3, v11
	s_or_b32 exec_lo, exec_lo, s0
	s_and_saveexec_b32 s0, vcc_lo
	s_cbranch_execz .LBB22_57
.LBB22_80:
	v_lshl_add_u32 v11, v8, 2, v9
	ds_load_b32 v11, v11 offset:320
	s_waitcnt lgkmcnt(0)
	v_add_f32_e32 v2, v2, v11
	s_or_b32 exec_lo, exec_lo, s0
	s_and_saveexec_b32 s0, vcc_lo
	s_cbranch_execnz .LBB22_58
	s_branch .LBB22_59
.LBB22_81:
	ds_load_b32 v9, v8
	s_waitcnt lgkmcnt(0)
	v_add_f32_e32 v7, v7, v9
	s_or_b32 exec_lo, exec_lo, s0
	s_and_saveexec_b32 s0, vcc_lo
	s_cbranch_execz .LBB22_65
.LBB22_82:
	ds_load_b32 v9, v8 offset:64
	s_waitcnt lgkmcnt(0)
	v_add_f32_e32 v6, v6, v9
	s_or_b32 exec_lo, exec_lo, s0
	s_and_saveexec_b32 s0, vcc_lo
	s_cbranch_execz .LBB22_66
.LBB22_83:
	ds_load_b32 v9, v8 offset:128
	s_waitcnt lgkmcnt(0)
	v_add_f32_e32 v5, v5, v9
	s_or_b32 exec_lo, exec_lo, s0
	s_and_saveexec_b32 s0, vcc_lo
	s_cbranch_execz .LBB22_67
.LBB22_84:
	ds_load_b32 v9, v8 offset:192
	s_waitcnt lgkmcnt(0)
	v_add_f32_e32 v4, v4, v9
	s_or_b32 exec_lo, exec_lo, s0
	s_and_saveexec_b32 s0, vcc_lo
	s_cbranch_execz .LBB22_68
.LBB22_85:
	ds_load_b32 v9, v8 offset:256
	s_waitcnt lgkmcnt(0)
	v_add_f32_e32 v3, v3, v9
	s_or_b32 exec_lo, exec_lo, s0
	s_and_saveexec_b32 s0, vcc_lo
	s_cbranch_execz .LBB22_69
.LBB22_86:
	ds_load_b32 v9, v8 offset:320
	s_waitcnt lgkmcnt(0)
	v_add_f32_e32 v2, v2, v9
	s_or_b32 exec_lo, exec_lo, s0
	s_and_saveexec_b32 s0, vcc_lo
	s_cbranch_execnz .LBB22_70
	s_branch .LBB22_71
	.section	.rodata,"a",@progbits
	.p2align	6, 0x0
	.amdhsa_kernel _ZN4vllm25paged_attention_v2_kernelIffLi112ELi8ELi128ELNS_18Fp8KVCacheDataTypeE0ELb0ELi512EEEvPfS2_PT_PKS3_PKT0_S9_ifPKiSB_iPKfiiiSD_SD_iiiii
		.amdhsa_group_segment_fixed_size 480
		.amdhsa_private_segment_fixed_size 0
		.amdhsa_kernarg_size 400
		.amdhsa_user_sgpr_count 13
		.amdhsa_user_sgpr_dispatch_ptr 0
		.amdhsa_user_sgpr_queue_ptr 0
		.amdhsa_user_sgpr_kernarg_segment_ptr 1
		.amdhsa_user_sgpr_dispatch_id 0
		.amdhsa_user_sgpr_private_segment_size 0
		.amdhsa_wavefront_size32 1
		.amdhsa_uses_dynamic_stack 0
		.amdhsa_enable_private_segment 0
		.amdhsa_system_sgpr_workgroup_id_x 1
		.amdhsa_system_sgpr_workgroup_id_y 1
		.amdhsa_system_sgpr_workgroup_id_z 1
		.amdhsa_system_sgpr_workgroup_info 0
		.amdhsa_system_vgpr_workitem_id 0
		.amdhsa_next_free_vgpr 74
		.amdhsa_next_free_sgpr 38
		.amdhsa_reserve_vcc 1
		.amdhsa_float_round_mode_32 0
		.amdhsa_float_round_mode_16_64 0
		.amdhsa_float_denorm_mode_32 3
		.amdhsa_float_denorm_mode_16_64 3
		.amdhsa_dx10_clamp 1
		.amdhsa_ieee_mode 1
		.amdhsa_fp16_overflow 0
		.amdhsa_workgroup_processor_mode 1
		.amdhsa_memory_ordered 1
		.amdhsa_forward_progress 0
		.amdhsa_shared_vgpr_count 0
		.amdhsa_exception_fp_ieee_invalid_op 0
		.amdhsa_exception_fp_denorm_src 0
		.amdhsa_exception_fp_ieee_div_zero 0
		.amdhsa_exception_fp_ieee_overflow 0
		.amdhsa_exception_fp_ieee_underflow 0
		.amdhsa_exception_fp_ieee_inexact 0
		.amdhsa_exception_int_div_zero 0
	.end_amdhsa_kernel
	.section	.text._ZN4vllm25paged_attention_v2_kernelIffLi112ELi8ELi128ELNS_18Fp8KVCacheDataTypeE0ELb0ELi512EEEvPfS2_PT_PKS3_PKT0_S9_ifPKiSB_iPKfiiiSD_SD_iiiii,"axG",@progbits,_ZN4vllm25paged_attention_v2_kernelIffLi112ELi8ELi128ELNS_18Fp8KVCacheDataTypeE0ELb0ELi512EEEvPfS2_PT_PKS3_PKT0_S9_ifPKiSB_iPKfiiiSD_SD_iiiii,comdat
.Lfunc_end22:
	.size	_ZN4vllm25paged_attention_v2_kernelIffLi112ELi8ELi128ELNS_18Fp8KVCacheDataTypeE0ELb0ELi512EEEvPfS2_PT_PKS3_PKT0_S9_ifPKiSB_iPKfiiiSD_SD_iiiii, .Lfunc_end22-_ZN4vllm25paged_attention_v2_kernelIffLi112ELi8ELi128ELNS_18Fp8KVCacheDataTypeE0ELb0ELi512EEEvPfS2_PT_PKS3_PKT0_S9_ifPKiSB_iPKfiiiSD_SD_iiiii
                                        ; -- End function
	.section	.AMDGPU.csdata,"",@progbits
; Kernel info:
; codeLenInByte = 5268
; NumSgprs: 40
; NumVgprs: 74
; ScratchSize: 0
; MemoryBound: 0
; FloatMode: 240
; IeeeMode: 1
; LDSByteSize: 480 bytes/workgroup (compile time only)
; SGPRBlocks: 4
; VGPRBlocks: 9
; NumSGPRsForWavesPerEU: 40
; NumVGPRsForWavesPerEU: 74
; Occupancy: 16
; WaveLimiterHint : 1
; COMPUTE_PGM_RSRC2:SCRATCH_EN: 0
; COMPUTE_PGM_RSRC2:USER_SGPR: 13
; COMPUTE_PGM_RSRC2:TRAP_HANDLER: 0
; COMPUTE_PGM_RSRC2:TGID_X_EN: 1
; COMPUTE_PGM_RSRC2:TGID_Y_EN: 1
; COMPUTE_PGM_RSRC2:TGID_Z_EN: 1
; COMPUTE_PGM_RSRC2:TIDIG_COMP_CNT: 0
	.section	.text._ZN4vllm25paged_attention_v2_kernelIffLi120ELi8ELi128ELNS_18Fp8KVCacheDataTypeE0ELb0ELi512EEEvPfS2_PT_PKS3_PKT0_S9_ifPKiSB_iPKfiiiSD_SD_iiiii,"axG",@progbits,_ZN4vllm25paged_attention_v2_kernelIffLi120ELi8ELi128ELNS_18Fp8KVCacheDataTypeE0ELb0ELi512EEEvPfS2_PT_PKS3_PKT0_S9_ifPKiSB_iPKfiiiSD_SD_iiiii,comdat
	.protected	_ZN4vllm25paged_attention_v2_kernelIffLi120ELi8ELi128ELNS_18Fp8KVCacheDataTypeE0ELb0ELi512EEEvPfS2_PT_PKS3_PKT0_S9_ifPKiSB_iPKfiiiSD_SD_iiiii ; -- Begin function _ZN4vllm25paged_attention_v2_kernelIffLi120ELi8ELi128ELNS_18Fp8KVCacheDataTypeE0ELb0ELi512EEEvPfS2_PT_PKS3_PKT0_S9_ifPKiSB_iPKfiiiSD_SD_iiiii
	.globl	_ZN4vllm25paged_attention_v2_kernelIffLi120ELi8ELi128ELNS_18Fp8KVCacheDataTypeE0ELb0ELi512EEEvPfS2_PT_PKS3_PKT0_S9_ifPKiSB_iPKfiiiSD_SD_iiiii
	.p2align	8
	.type	_ZN4vllm25paged_attention_v2_kernelIffLi120ELi8ELi128ELNS_18Fp8KVCacheDataTypeE0ELb0ELi512EEEvPfS2_PT_PKS3_PKT0_S9_ifPKiSB_iPKfiiiSD_SD_iiiii,@function
_ZN4vllm25paged_attention_v2_kernelIffLi120ELi8ELi128ELNS_18Fp8KVCacheDataTypeE0ELb0ELi512EEEvPfS2_PT_PKS3_PKT0_S9_ifPKiSB_iPKfiiiSD_SD_iiiii: ; @_ZN4vllm25paged_attention_v2_kernelIffLi120ELi8ELi128ELNS_18Fp8KVCacheDataTypeE0ELb0ELi512EEEvPfS2_PT_PKS3_PKT0_S9_ifPKiSB_iPKfiiiSD_SD_iiiii
; %bb.0:
	s_load_b64 s[2:3], s[0:1], 0x40
	s_mov_b32 s12, s15
	s_ashr_i32 s15, s14, 31
	s_delay_alu instid0(SALU_CYCLE_1)
	s_lshl_b64 s[4:5], s[14:15], 2
	s_waitcnt lgkmcnt(0)
	s_add_u32 s2, s2, s4
	s_addc_u32 s3, s3, s5
	s_lshl_b32 s33, s12, 9
	s_load_b32 s15, s[2:3], 0x0
	s_waitcnt lgkmcnt(0)
	s_cmp_ge_i32 s33, s15
	s_cbranch_scc1 .LBB23_93
; %bb.1:
	s_mov_b32 s20, s13
	s_clause 0x1
	s_load_b32 s13, s[0:1], 0x90
	s_load_b64 s[30:31], s[0:1], 0x30
	s_waitcnt lgkmcnt(0)
	s_abs_i32 s5, s13
	s_abs_i32 s2, s30
	s_delay_alu instid0(SALU_CYCLE_1) | instskip(SKIP_1) | instid1(VALU_DEP_1)
	v_cvt_f32_u32_e32 v1, s2
	s_sub_i32 s4, 0, s2
	v_rcp_iflag_f32_e32 v1, v1
	s_waitcnt_depctr 0xfff
	v_mul_f32_e32 v1, 0x4f7ffffe, v1
	s_delay_alu instid0(VALU_DEP_1) | instskip(NEXT) | instid1(VALU_DEP_1)
	v_cvt_u32_f32_e32 v1, v1
	v_readfirstlane_b32 s3, v1
	s_delay_alu instid0(VALU_DEP_1) | instskip(NEXT) | instid1(SALU_CYCLE_1)
	s_mul_i32 s4, s4, s3
	s_mul_hi_u32 s4, s3, s4
	s_delay_alu instid0(SALU_CYCLE_1)
	s_add_i32 s3, s3, s4
	s_xor_b32 s4, s13, s30
	s_mul_hi_u32 s3, s5, s3
	s_ashr_i32 s4, s4, 31
	s_mul_i32 s6, s3, s2
	s_mov_b32 s30, 0
	s_sub_i32 s5, s5, s6
	s_add_i32 s6, s3, 1
	s_sub_i32 s7, s5, s2
	s_cmp_ge_u32 s5, s2
	s_cselect_b32 s3, s6, s3
	s_cselect_b32 s5, s7, s5
	s_add_i32 s6, s3, 1
	s_cmp_ge_u32 s5, s2
	s_cselect_b32 s2, s6, s3
	s_abs_i32 s10, s20
	s_xor_b32 s2, s2, s4
	s_delay_alu instid0(SALU_CYCLE_1) | instskip(SKIP_2) | instid1(SALU_CYCLE_1)
	s_sub_i32 s11, s2, s4
	s_load_b64 s[2:3], s[0:1], 0x50
	s_abs_i32 s8, s11
	v_cvt_f32_u32_e32 v1, s8
	s_sub_i32 s5, 0, s8
	s_delay_alu instid0(VALU_DEP_1) | instskip(SKIP_2) | instid1(VALU_DEP_1)
	v_rcp_iflag_f32_e32 v1, v1
	s_waitcnt_depctr 0xfff
	v_mul_f32_e32 v1, 0x4f7ffffe, v1
	v_cvt_u32_f32_e32 v1, v1
	s_delay_alu instid0(VALU_DEP_1) | instskip(NEXT) | instid1(VALU_DEP_1)
	v_readfirstlane_b32 s4, v1
	s_mul_i32 s5, s5, s4
	s_delay_alu instid0(SALU_CYCLE_1) | instskip(NEXT) | instid1(SALU_CYCLE_1)
	s_mul_hi_u32 s5, s4, s5
	s_add_i32 s4, s4, s5
	s_waitcnt lgkmcnt(0)
	s_cmp_eq_u64 s[2:3], 0
	s_mul_hi_u32 s9, s10, s4
	s_cbranch_scc1 .LBB23_3
; %bb.2:
	s_ashr_i32 s21, s20, 31
	s_delay_alu instid0(SALU_CYCLE_1) | instskip(NEXT) | instid1(SALU_CYCLE_1)
	s_lshl_b64 s[4:5], s[20:21], 2
	s_add_u32 s2, s2, s4
	s_addc_u32 s3, s3, s5
	s_load_b32 s30, s[2:3], 0x0
.LBB23_3:
	s_load_b128 s[4:7], s[0:1], 0x58
	v_and_b32_e32 v31, 3, v0
	v_lshlrev_b32_e32 v33, 2, v0
	s_ashr_i32 s2, s20, 31
	s_ashr_i32 s3, s11, 31
	s_mul_i32 s16, s20, 0x78
	s_waitcnt lgkmcnt(0)
	s_mov_b32 s7, exec_lo
	v_cmpx_gt_u32_e32 0x78, v0
	s_cbranch_execz .LBB23_5
; %bb.4:
	s_load_b64 s[18:19], s[0:1], 0x18
	s_mul_i32 s22, s14, s4
	v_and_b32_e32 v2, 0x3fc, v0
	s_ashr_i32 s23, s22, 31
	s_delay_alu instid0(SALU_CYCLE_1) | instskip(NEXT) | instid1(VALU_DEP_1)
	s_lshl_b64 s[22:23], s[22:23], 2
	v_mad_u32_u24 v2, 0x78, v31, v2
	s_waitcnt lgkmcnt(0)
	s_add_u32 s4, s18, s22
	s_addc_u32 s11, s19, s23
	s_ashr_i32 s17, s16, 31
	s_delay_alu instid0(SALU_CYCLE_1) | instskip(NEXT) | instid1(SALU_CYCLE_1)
	s_lshl_b64 s[18:19], s[16:17], 2
	s_add_u32 s18, s4, s18
	s_addc_u32 s19, s11, s19
	global_load_b32 v1, v33, s[18:19]
	s_waitcnt vmcnt(0)
	ds_store_b32 v2, v1
.LBB23_5:
	s_or_b32 exec_lo, exec_lo, s7
	s_add_i32 s4, s15, 7
	s_lshl_b32 s7, s12, 6
	s_ashr_i32 s11, s4, 31
	s_mul_i32 s18, s9, s8
	s_lshr_b32 s11, s11, 29
	s_xor_b32 s2, s2, s3
	s_add_i32 s4, s4, s11
	s_add_i32 s11, s7, 64
	s_ashr_i32 s21, s4, 3
	s_clause 0x1
	s_load_b64 s[22:23], s[0:1], 0x38
	s_load_b32 s4, s[0:1], 0x48
	s_sub_i32 s3, s10, s18
	s_min_i32 s17, s11, s21
	s_add_i32 s10, s9, 1
	s_sub_i32 s11, s3, s8
	s_cmp_ge_u32 s3, s8
	v_lshrrev_b32_e32 v40, 5, v0
	s_cselect_b32 s9, s10, s9
	s_cselect_b32 s3, s11, s3
	s_add_i32 s10, s9, 1
	s_cmp_ge_u32 s3, s8
	v_or_b32_e32 v37, s7, v40
	s_cselect_b32 s3, s10, s9
	v_mbcnt_lo_u32_b32 v34, -1, 0
	s_xor_b32 s3, s3, s2
	s_waitcnt lgkmcnt(0)
	s_sub_i32 s3, s3, s2
	v_cmp_le_i32_e64 s2, s17, v37
	s_barrier
	buffer_gl0_inv
	s_mul_i32 s24, s14, s4
                                        ; implicit-def: $sgpr28
                                        ; implicit-def: $vgpr35
	s_delay_alu instid0(SALU_CYCLE_1) | instskip(SKIP_1) | instid1(SALU_CYCLE_1)
	s_ashr_i32 s25, s24, 31
	s_and_saveexec_b32 s4, s2
	s_xor_b32 s4, exec_lo, s4
; %bb.6:
	v_mbcnt_lo_u32_b32 v34, -1, 0
	v_mov_b32_e32 v35, 32
	s_mov_b32 s28, 0xff7fffff
                                        ; implicit-def: $vgpr31
; %bb.7:
	s_or_saveexec_b32 s34, s4
	s_clause 0x3
	s_load_b128 s[8:11], s[0:1], 0x0
	s_load_b64 s[18:19], s[0:1], 0x10
	s_load_b64 s[26:27], s[0:1], 0x28
	s_load_b32 s4, s[0:1], 0x98
	v_mov_b32_e32 v36, s28
	v_ashrrev_i32_e32 v38, 31, v37
	s_mul_i32 s28, s3, s6
	s_xor_b32 exec_lo, exec_lo, s34
	s_cbranch_execz .LBB23_13
; %bb.8:
	s_load_b64 s[0:1], s[0:1], 0x20
	v_bfe_u32 v32, v0, 2, 3
	s_ashr_i32 s29, s28, 31
	v_xor_b32_e32 v26, 2, v34
	s_lshl_b64 s[36:37], s[28:29], 2
	s_delay_alu instid0(VALU_DEP_2) | instskip(SKIP_1) | instid1(VALU_DEP_3)
	v_dual_mov_b32 v35, 32 :: v_dual_lshlrev_b32 v28, 4, v32
	v_xor_b32_e32 v27, 1, v34
	v_cmp_gt_i32_e32 vcc_lo, 32, v26
	v_lshlrev_b32_e32 v25, 2, v31
	v_mul_u32_u24_e32 v29, 0x78, v31
	ds_load_2addr_b64 v[1:4], v29 offset1:1
	ds_load_2addr_b64 v[5:8], v29 offset0:2 offset1:3
	ds_load_2addr_b64 v[9:12], v29 offset0:4 offset1:5
	;; [unrolled: 1-line block ×5, first 2 shown]
	v_cndmask_b32_e32 v42, v34, v26, vcc_lo
	v_lshlrev_b32_e32 v44, 3, v40
	s_mov_b32 s35, s5
	s_mov_b32 s29, 0
	s_waitcnt lgkmcnt(0)
	s_add_u32 s0, s0, s36
	s_addc_u32 s1, s1, s37
	v_add_co_u32 v28, s0, s0, v28
	s_delay_alu instid0(VALU_DEP_1) | instskip(SKIP_1) | instid1(VALU_DEP_3)
	v_add_co_ci_u32_e64 v30, null, s1, 0, s0
	v_add3_u32 v44, s33, v44, v32
	v_add_co_u32 v39, vcc_lo, v28, v25
	s_delay_alu instid0(VALU_DEP_3)
	v_add_co_ci_u32_e32 v41, vcc_lo, 0, v30, vcc_lo
	v_cmp_gt_i32_e32 vcc_lo, 32, v27
	v_lshlrev_b32_e32 v36, 2, v32
	s_lshl_b64 s[36:37], s[24:25], 2
	s_sub_i32 s6, 1, s15
	s_add_u32 s1, s22, s36
	v_cndmask_b32_e32 v43, v34, v27, vcc_lo
	ds_load_2addr_b64 v[25:28], v29 offset0:12 offset1:13
	ds_load_b64 v[29:30], v29 offset:112
	v_cmp_eq_u32_e32 vcc_lo, 0, v31
	v_lshlrev_b64 v[31:32], 2, v[37:38]
	v_lshl_or_b32 v36, v40, 5, v36
	s_addc_u32 s3, s23, s37
	v_lshlrev_b32_e32 v42, 2, v42
	v_lshlrev_b32_e32 v43, 2, v43
	v_cmp_neq_f32_e64 s0, s30, 0
	v_add_co_u32 v31, s1, s1, v31
	v_dual_mov_b32 v46, v37 :: v_dual_add_nc_u32 v45, 0x200, v36
	v_add_co_ci_u32_e64 v32, s1, s3, v32, s1
	v_mov_b32_e32 v36, 0xff7fffff
	s_branch .LBB23_10
.LBB23_9:                               ;   in Loop: Header=BB23_10 Depth=1
	s_or_b32 exec_lo, exec_lo, s3
	v_add_nc_u32_e32 v46, 4, v46
	v_add_co_u32 v31, s3, v31, 16
	v_add_nc_u32_e32 v44, 32, v44
	v_add_nc_u32_e32 v45, 0x80, v45
	s_delay_alu instid0(VALU_DEP_4) | instskip(SKIP_1) | instid1(VALU_DEP_2)
	v_cmp_le_i32_e64 s1, s17, v46
	v_add_co_ci_u32_e64 v32, s3, 0, v32, s3
	s_or_b32 s29, s1, s29
	s_delay_alu instid0(SALU_CYCLE_1)
	s_and_not1_b32 exec_lo, exec_lo, s29
	s_cbranch_execz .LBB23_12
.LBB23_10:                              ; =>This Inner Loop Header: Depth=1
	global_load_b32 v49, v[31:32], off
	s_waitcnt vmcnt(0) lgkmcnt(0)
	v_mad_i64_i32 v[47:48], null, v49, s35, 0
	s_delay_alu instid0(VALU_DEP_1) | instskip(NEXT) | instid1(VALU_DEP_1)
	v_lshlrev_b64 v[47:48], 2, v[47:48]
	v_add_co_u32 v47, s1, v39, v47
	s_delay_alu instid0(VALU_DEP_1)
	v_add_co_ci_u32_e64 v48, s1, v41, v48, s1
	s_clause 0x1d
	global_load_b32 v49, v[47:48], off offset:128
	global_load_b32 v50, v[47:48], off
	global_load_b32 v51, v[47:48], off offset:256
	global_load_b32 v52, v[47:48], off offset:384
	;; [unrolled: 1-line block ×28, first 2 shown]
	s_waitcnt vmcnt(29)
	v_mul_f32_e32 v48, v2, v49
	s_waitcnt vmcnt(28)
	s_delay_alu instid0(VALU_DEP_1) | instskip(SKIP_1) | instid1(VALU_DEP_1)
	v_fmac_f32_e32 v48, v1, v50
	s_waitcnt vmcnt(27)
	v_fmac_f32_e32 v48, v3, v51
	s_waitcnt vmcnt(26)
	s_delay_alu instid0(VALU_DEP_1) | instskip(SKIP_1) | instid1(VALU_DEP_1)
	v_fmac_f32_e32 v48, v4, v52
	s_waitcnt vmcnt(25)
	v_fmac_f32_e32 v48, v5, v53
	;; [unrolled: 5-line block ×11, first 2 shown]
	s_waitcnt vmcnt(6)
	s_delay_alu instid0(VALU_DEP_1) | instskip(SKIP_1) | instid1(VALU_DEP_1)
	v_fmac_f32_e32 v48, v24, v72
	s_waitcnt vmcnt(5) lgkmcnt(1)
	v_fmac_f32_e32 v48, v25, v73
	s_waitcnt vmcnt(4)
	s_delay_alu instid0(VALU_DEP_1) | instskip(SKIP_1) | instid1(VALU_DEP_1)
	v_fmac_f32_e32 v48, v26, v74
	s_waitcnt vmcnt(3)
	v_fmac_f32_e32 v48, v27, v75
	s_waitcnt vmcnt(2)
	s_delay_alu instid0(VALU_DEP_1) | instskip(SKIP_1) | instid1(VALU_DEP_1)
	v_fmac_f32_e32 v48, v28, v76
	s_waitcnt vmcnt(1) lgkmcnt(0)
	v_fmac_f32_e32 v48, v29, v77
	s_waitcnt vmcnt(0)
	s_delay_alu instid0(VALU_DEP_1)
	v_fmac_f32_e32 v48, v30, v47
	ds_bpermute_b32 v47, v42, v48
	s_waitcnt lgkmcnt(0)
	v_add_f32_e32 v47, v48, v47
	ds_bpermute_b32 v48, v43, v47
	s_and_saveexec_b32 s3, vcc_lo
	s_cbranch_execz .LBB23_9
; %bb.11:                               ;   in Loop: Header=BB23_10 Depth=1
	s_waitcnt lgkmcnt(0)
	v_add_f32_e32 v47, v47, v48
	v_add_nc_u32_e32 v49, s6, v44
	v_cmp_gt_i32_e64 s1, s15, v44
	s_delay_alu instid0(VALU_DEP_2) | instskip(NEXT) | instid1(VALU_DEP_1)
	v_cvt_f32_i32_e32 v49, v49
	v_mul_f32_e32 v49, s30, v49
	s_delay_alu instid0(VALU_DEP_1) | instskip(NEXT) | instid1(VALU_DEP_1)
	v_cndmask_b32_e64 v48, 0, v49, s0
	v_dual_max_f32 v49, v36, v36 :: v_dual_fmac_f32 v48, s31, v47
	s_delay_alu instid0(VALU_DEP_1) | instskip(SKIP_1) | instid1(VALU_DEP_2)
	v_max_f32_e32 v47, v49, v48
	v_cndmask_b32_e64 v48, 0, v48, s1
	v_cndmask_b32_e64 v36, v36, v47, s1
	ds_store_b32 v45, v48
	s_branch .LBB23_9
.LBB23_12:
	s_or_b32 exec_lo, exec_lo, s29
.LBB23_13:
	s_delay_alu instid0(SALU_CYCLE_1) | instskip(SKIP_4) | instid1(VALU_DEP_4)
	s_or_b32 exec_lo, exec_lo, s34
	v_xor_b32_e32 v1, 16, v34
	v_xor_b32_e32 v2, 8, v34
	v_lshlrev_b32_e32 v6, 2, v40
	v_max_f32_e32 v4, v36, v36
	v_cmp_lt_i32_e32 vcc_lo, v1, v35
	v_cndmask_b32_e32 v1, v34, v1, vcc_lo
	v_cmp_lt_i32_e32 vcc_lo, v2, v35
	s_delay_alu instid0(VALU_DEP_2) | instskip(SKIP_3) | instid1(VALU_DEP_1)
	v_dual_cndmask_b32 v2, v34, v2 :: v_dual_lshlrev_b32 v3, 2, v1
	ds_bpermute_b32 v1, v3, v36
	s_waitcnt lgkmcnt(0)
	v_max_f32_e32 v1, v1, v1
	v_max_f32_e32 v1, v4, v1
	v_xor_b32_e32 v4, 4, v34
	s_delay_alu instid0(VALU_DEP_1) | instskip(SKIP_1) | instid1(VALU_DEP_1)
	v_cmp_lt_i32_e32 vcc_lo, v4, v35
	v_dual_cndmask_b32 v4, v34, v4 :: v_dual_lshlrev_b32 v5, 2, v2
	v_lshlrev_b32_e32 v8, 2, v4
	ds_bpermute_b32 v2, v5, v1
	s_waitcnt lgkmcnt(0)
	v_max_f32_e32 v2, v2, v2
	s_delay_alu instid0(VALU_DEP_1)
	v_dual_max_f32 v2, v1, v2 :: v_dual_and_b32 v1, 31, v0
	ds_bpermute_b32 v4, v8, v2
	v_cmp_eq_u32_e32 vcc_lo, 0, v1
	s_and_saveexec_b32 s0, vcc_lo
	s_cbranch_execz .LBB23_15
; %bb.14:
	s_waitcnt lgkmcnt(0)
	v_max_f32_e32 v4, v4, v4
	v_max_f32_e32 v2, v2, v2
	s_delay_alu instid0(VALU_DEP_1)
	v_max_f32_e32 v2, v2, v4
	ds_store_b32 v6, v2 offset:480
.LBB23_15:
	s_or_b32 exec_lo, exec_lo, s0
	v_cmp_gt_u32_e64 s0, 4, v1
	v_dual_mov_b32 v2, 0xff7fffff :: v_dual_lshlrev_b32 v7, 2, v1
	s_waitcnt lgkmcnt(0)
	s_barrier
	buffer_gl0_inv
	s_and_saveexec_b32 s1, s0
	s_cbranch_execz .LBB23_17
; %bb.16:
	ds_load_b32 v2, v7 offset:480
.LBB23_17:
	s_or_b32 exec_lo, exec_lo, s1
	v_xor_b32_e32 v4, 2, v34
	v_xor_b32_e32 v10, 1, v34
	v_mov_b32_e32 v11, 0
	s_delay_alu instid0(VALU_DEP_3) | instskip(NEXT) | instid1(VALU_DEP_1)
	v_cmp_lt_i32_e64 s1, v4, v35
	v_cndmask_b32_e64 v4, v34, v4, s1
	s_delay_alu instid0(VALU_DEP_4) | instskip(NEXT) | instid1(VALU_DEP_2)
	v_cmp_lt_i32_e64 s1, v10, v35
	v_lshlrev_b32_e32 v9, 2, v4
	s_delay_alu instid0(VALU_DEP_2) | instskip(SKIP_1) | instid1(SALU_CYCLE_1)
	v_cndmask_b32_e64 v10, v34, v10, s1
	s_sub_i32 s1, s17, s7
	s_lshl_b32 s1, s1, 3
	s_waitcnt lgkmcnt(0)
	ds_bpermute_b32 v4, v9, v2
	v_max_f32_e32 v2, v2, v2
	v_lshlrev_b32_e32 v42, 2, v10
	v_lshlrev_b32_e32 v10, 2, v34
	s_add_i32 s1, s1, s33
	s_delay_alu instid0(SALU_CYCLE_1) | instskip(NEXT) | instid1(VALU_DEP_1)
	s_min_i32 s1, s1, s15
	v_and_b32_e32 v10, 0xffffff80, v10
	s_sub_i32 s6, s1, s33
	s_delay_alu instid0(SALU_CYCLE_1) | instskip(SKIP_2) | instid1(VALU_DEP_1)
	v_cmp_gt_i32_e64 s1, s6, v0
	s_waitcnt lgkmcnt(0)
	v_max_f32_e32 v4, v4, v4
	v_max_f32_e32 v2, v2, v4
	ds_bpermute_b32 v4, v42, v2
	s_waitcnt lgkmcnt(0)
	v_max_f32_e32 v4, v4, v4
	s_delay_alu instid0(VALU_DEP_1)
	v_max_f32_e32 v2, v2, v4
	v_lshl_add_u32 v4, v0, 2, 0x200
	ds_bpermute_b32 v2, v10, v2
	s_and_saveexec_b32 s7, s1
	s_cbranch_execz .LBB23_21
; %bb.18:
	v_lshl_add_u32 v12, v0, 2, 0x200
	v_mov_b32_e32 v11, 0
	v_mov_b32_e32 v13, v0
	s_mov_b32 s29, 0
	.p2align	6
.LBB23_19:                              ; =>This Inner Loop Header: Depth=1
	ds_load_b32 v14, v12
	v_add_nc_u32_e32 v13, 0x80, v13
	s_delay_alu instid0(VALU_DEP_1) | instskip(NEXT) | instid1(VALU_DEP_1)
	v_cmp_le_i32_e64 s3, s6, v13
	s_or_b32 s29, s3, s29
	s_waitcnt lgkmcnt(0)
	v_sub_f32_e32 v14, v14, v2
	s_delay_alu instid0(VALU_DEP_1) | instskip(NEXT) | instid1(VALU_DEP_1)
	v_mul_f32_e32 v14, 0x3fb8aa3b, v14
	v_exp_f32_e32 v14, v14
	ds_store_b32 v12, v14
	v_dual_add_f32 v11, v11, v14 :: v_dual_add_nc_u32 v12, 0x200, v12
	s_and_not1_b32 exec_lo, exec_lo, s29
	s_cbranch_execnz .LBB23_19
; %bb.20:
	s_or_b32 exec_lo, exec_lo, s29
.LBB23_21:
	s_delay_alu instid0(SALU_CYCLE_1)
	s_or_b32 exec_lo, exec_lo, s7
	ds_bpermute_b32 v3, v3, v11
	s_waitcnt lgkmcnt(0)
	v_add_f32_e32 v3, v11, v3
	ds_bpermute_b32 v5, v5, v3
	s_waitcnt lgkmcnt(0)
	v_add_f32_e32 v3, v3, v5
	ds_bpermute_b32 v5, v8, v3
	s_waitcnt lgkmcnt(0)
	v_add_f32_e32 v3, v3, v5
	ds_bpermute_b32 v5, v9, v3
	s_waitcnt lgkmcnt(0)
	v_add_f32_e32 v3, v3, v5
	ds_bpermute_b32 v5, v42, v3
	s_waitcnt lgkmcnt(0)
	v_add_f32_e32 v3, v3, v5
	s_and_saveexec_b32 s3, vcc_lo
	s_cbranch_execz .LBB23_23
; %bb.22:
	ds_store_b32 v6, v3 offset:496
.LBB23_23:
	s_or_b32 exec_lo, exec_lo, s3
	s_waitcnt lgkmcnt(0)
	s_barrier
	buffer_gl0_inv
	s_and_saveexec_b32 s3, s0
	s_cbranch_execz .LBB23_25
; %bb.24:
	ds_load_b32 v3, v7 offset:496
.LBB23_25:
	s_or_b32 exec_lo, exec_lo, s3
	s_waitcnt lgkmcnt(0)
	ds_bpermute_b32 v5, v9, v3
	s_waitcnt lgkmcnt(0)
	v_add_f32_e32 v3, v3, v5
	ds_bpermute_b32 v5, v42, v3
	s_waitcnt lgkmcnt(0)
	v_add_f32_e32 v3, v3, v5
	ds_bpermute_b32 v3, v10, v3
	s_and_saveexec_b32 s0, s1
	s_cbranch_execz .LBB23_28
; %bb.26:
	s_waitcnt lgkmcnt(0)
	v_add_f32_e32 v5, 0x358637bd, v3
	s_mov_b32 s1, 0
	s_delay_alu instid0(VALU_DEP_1) | instskip(SKIP_1) | instid1(VALU_DEP_2)
	v_div_scale_f32 v6, null, v5, v5, 1.0
	v_div_scale_f32 v9, vcc_lo, 1.0, v5, 1.0
	v_rcp_f32_e32 v7, v6
	s_waitcnt_depctr 0xfff
	v_fma_f32 v8, -v6, v7, 1.0
	s_delay_alu instid0(VALU_DEP_1) | instskip(NEXT) | instid1(VALU_DEP_1)
	v_fmac_f32_e32 v7, v8, v7
	v_mul_f32_e32 v8, v9, v7
	s_delay_alu instid0(VALU_DEP_1) | instskip(NEXT) | instid1(VALU_DEP_1)
	v_fma_f32 v10, -v6, v8, v9
	v_fmac_f32_e32 v8, v10, v7
	s_delay_alu instid0(VALU_DEP_1) | instskip(NEXT) | instid1(VALU_DEP_1)
	v_fma_f32 v6, -v6, v8, v9
	v_div_fmas_f32 v6, v6, v7, v8
	s_delay_alu instid0(VALU_DEP_1)
	v_div_fixup_f32 v5, v6, v5, 1.0
	v_mov_b32_e32 v6, v0
.LBB23_27:                              ; =>This Inner Loop Header: Depth=1
	ds_load_b32 v7, v4
	s_waitcnt lgkmcnt(0)
	v_dual_mul_f32 v7, v5, v7 :: v_dual_add_nc_u32 v6, 0x80, v6
	s_delay_alu instid0(VALU_DEP_1) | instskip(SKIP_3) | instid1(SALU_CYCLE_1)
	v_cmp_le_i32_e32 vcc_lo, s6, v6
	ds_store_b32 v4, v7
	v_add_nc_u32_e32 v4, 0x200, v4
	s_or_b32 s1, vcc_lo, s1
	s_and_not1_b32 exec_lo, exec_lo, s1
	s_cbranch_execnz .LBB23_27
.LBB23_28:
	s_or_b32 exec_lo, exec_lo, s0
	s_mul_i32 s0, s4, s14
	s_waitcnt lgkmcnt(0)
	s_mul_i32 s6, s0, s13
	s_mov_b32 s0, exec_lo
	s_barrier
	buffer_gl0_inv
	v_cmpx_eq_u32_e32 0, v0
	s_cbranch_execz .LBB23_30
; %bb.29:
	s_ashr_i32 s7, s6, 31
	s_mul_i32 s34, s4, s20
	s_lshl_b64 s[30:31], s[6:7], 2
	v_mov_b32_e32 v4, 0
	s_add_u32 s1, s10, s30
	s_addc_u32 s3, s11, s31
	s_ashr_i32 s35, s34, 31
	s_delay_alu instid0(SALU_CYCLE_1) | instskip(NEXT) | instid1(SALU_CYCLE_1)
	s_lshl_b64 s[10:11], s[34:35], 2
	s_add_u32 s1, s1, s10
	s_addc_u32 s3, s3, s11
	s_ashr_i32 s13, s12, 31
	s_delay_alu instid0(SALU_CYCLE_1) | instskip(NEXT) | instid1(SALU_CYCLE_1)
	s_lshl_b64 s[34:35], s[12:13], 2
	s_add_u32 s36, s1, s34
	s_addc_u32 s37, s3, s35
	s_add_u32 s1, s8, s30
	s_addc_u32 s3, s9, s31
	;; [unrolled: 2-line block ×4, first 2 shown]
	s_clause 0x1
	global_store_b32 v4, v2, s[36:37]
	global_store_b32 v4, v3, s[8:9]
.LBB23_30:
	s_or_b32 exec_lo, exec_lo, s0
	v_lshrrev_b32_e32 v41, 1, v1
                                        ; implicit-def: $sgpr0
	s_and_saveexec_b32 s1, s2
	s_delay_alu instid0(SALU_CYCLE_1)
	s_xor_b32 s1, exec_lo, s1
; %bb.31:
	v_lshrrev_b32_e32 v41, 1, v1
	s_mov_b32 s0, 0
                                        ; implicit-def: $vgpr37
                                        ; implicit-def: $vgpr33
; %bb.32:
	s_or_saveexec_b32 s2, s1
	v_dual_mov_b32 v45, s0 :: v_dual_mov_b32 v46, s0
	v_dual_mov_b32 v48, s0 :: v_dual_and_b32 v43, 1, v0
	v_dual_mov_b32 v47, s0 :: v_dual_mov_b32 v50, s0
	v_dual_mov_b32 v49, s0 :: v_dual_mov_b32 v44, s0
	v_mov_b32_e32 v51, s0
	s_xor_b32 exec_lo, exec_lo, s2
	s_cbranch_execz .LBB23_54
; %bb.33:
	v_dual_mov_b32 v44, 0 :: v_dual_and_b32 v1, 4, v33
	v_or_b32_e32 v2, 0x70, v41
	v_lshl_add_u32 v5, v40, 3, s33
	s_ashr_i32 s29, s28, 31
	v_dual_mov_b32 v50, 0 :: v_dual_lshlrev_b32 v3, 4, v43
	s_lshl_b64 s[0:1], s[28:29], 2
	v_lshl_or_b32 v4, v41, 3, v1
	v_cmp_gt_u32_e32 vcc_lo, 0x78, v2
	v_lshl_or_b32 v6, v2, 3, v1
	v_add3_u32 v52, v5, v1, 3
	v_lshlrev_b64 v[1:2], 2, v[37:38]
	s_add_u32 s3, s26, s0
	s_addc_u32 s7, s27, s1
	s_lshl_b64 s[0:1], s[24:25], 2
	s_add_i32 s21, s21, -1
	v_lshl_or_b32 v3, v40, 5, v3
	s_add_u32 s0, s22, s0
	s_addc_u32 s1, s23, s1
	v_add_co_u32 v38, s0, s0, v1
	s_delay_alu instid0(VALU_DEP_2)
	v_dual_mov_b32 v48, 0 :: v_dual_add_nc_u32 v53, 0x200, v3
	v_add_co_ci_u32_e64 v39, s0, s1, v2, s0
	v_dual_mov_b32 v51, 0 :: v_dual_lshlrev_b32 v54, 2, v4
	v_dual_mov_b32 v46, 0 :: v_dual_lshlrev_b32 v55, 2, v6
	v_mov_b32_e32 v49, 0
	v_mov_b32_e32 v47, 0
	;; [unrolled: 1-line block ×3, first 2 shown]
	s_mov_b32 s8, s5
	s_mov_b32 s5, 0
	s_branch .LBB23_36
.LBB23_34:                              ;   in Loop: Header=BB23_36 Depth=1
	s_or_b32 exec_lo, exec_lo, s1
	s_waitcnt vmcnt(0) lgkmcnt(0)
	v_mul_f32_e32 v34, v2, v34
	s_delay_alu instid0(VALU_DEP_1) | instskip(NEXT) | instid1(VALU_DEP_1)
	v_fmac_f32_e32 v34, v1, v33
	v_fmac_f32_e32 v34, v3, v35
	s_delay_alu instid0(VALU_DEP_1) | instskip(NEXT) | instid1(VALU_DEP_1)
	v_fmac_f32_e32 v34, v4, v36
	v_add_f32_e32 v45, v45, v34
.LBB23_35:                              ;   in Loop: Header=BB23_36 Depth=1
	s_or_b32 exec_lo, exec_lo, s9
	s_waitcnt vmcnt(5) lgkmcnt(0)
	v_mul_f32_e32 v10, v2, v10
	v_mul_f32_e32 v6, v2, v6
	v_add_co_u32 v38, s1, v38, 16
	v_add_nc_u32_e32 v52, 32, v52
	s_waitcnt vmcnt(1)
	v_dual_fmac_f32 v10, v1, v9 :: v_dual_mul_f32 v9, v2, v26
	v_dual_fmac_f32 v6, v1, v5 :: v_dual_mul_f32 v5, v2, v22
	v_add_co_ci_u32_e64 v39, s1, 0, v39, s1
	s_delay_alu instid0(VALU_DEP_3) | instskip(NEXT) | instid1(VALU_DEP_3)
	v_dual_fmac_f32 v9, v1, v25 :: v_dual_mul_f32 v18, v2, v18
	v_dual_fmac_f32 v5, v1, v21 :: v_dual_mul_f32 v14, v2, v14
	v_add_nc_u32_e32 v37, 4, v37
	s_delay_alu instid0(VALU_DEP_3) | instskip(SKIP_1) | instid1(VALU_DEP_3)
	v_dual_fmac_f32 v9, v3, v27 :: v_dual_fmac_f32 v18, v1, v17
	s_waitcnt vmcnt(0)
	v_dual_fmac_f32 v5, v3, v23 :: v_dual_mul_f32 v2, v2, v30
	s_delay_alu instid0(VALU_DEP_2) | instskip(NEXT) | instid1(VALU_DEP_2)
	v_dual_fmac_f32 v6, v3, v7 :: v_dual_fmac_f32 v9, v4, v28
	v_dual_fmac_f32 v18, v3, v19 :: v_dual_fmac_f32 v5, v4, v24
	s_delay_alu instid0(VALU_DEP_3) | instskip(NEXT) | instid1(VALU_DEP_3)
	v_fmac_f32_e32 v2, v1, v29
	v_dual_fmac_f32 v6, v4, v8 :: v_dual_add_f32 v47, v47, v9
	s_delay_alu instid0(VALU_DEP_3) | instskip(SKIP_1) | instid1(VALU_DEP_4)
	v_fmac_f32_e32 v18, v4, v20
	v_fmac_f32_e32 v10, v3, v11
	;; [unrolled: 1-line block ×3, first 2 shown]
	s_delay_alu instid0(VALU_DEP_4) | instskip(NEXT) | instid1(VALU_DEP_4)
	v_add_f32_e32 v44, v44, v6
	v_dual_add_f32 v48, v48, v5 :: v_dual_add_f32 v49, v49, v18
	s_delay_alu instid0(VALU_DEP_4) | instskip(SKIP_3) | instid1(VALU_DEP_4)
	v_fmac_f32_e32 v10, v4, v12
	v_fmac_f32_e32 v14, v1, v13
	v_dual_fmac_f32 v2, v4, v32 :: v_dual_add_nc_u32 v53, 0x80, v53
	v_cmp_le_i32_e64 s0, s17, v37
	v_add_f32_e32 v51, v51, v10
	s_delay_alu instid0(VALU_DEP_4) | instskip(NEXT) | instid1(VALU_DEP_4)
	v_fmac_f32_e32 v14, v3, v15
	v_add_f32_e32 v46, v46, v2
	s_delay_alu instid0(VALU_DEP_4) | instskip(NEXT) | instid1(VALU_DEP_2)
	s_or_b32 s5, s0, s5
	v_fmac_f32_e32 v14, v4, v16
	s_delay_alu instid0(VALU_DEP_1)
	v_add_f32_e32 v50, v50, v14
	s_and_not1_b32 exec_lo, exec_lo, s5
	s_cbranch_execz .LBB23_53
.LBB23_36:                              ; =>This Inner Loop Header: Depth=1
	global_load_b32 v3, v[38:39], off
	v_add_nc_u32_e32 v56, -3, v52
	s_waitcnt vmcnt(0)
	v_mad_i64_i32 v[1:2], null, v3, s8, 0
	s_delay_alu instid0(VALU_DEP_1) | instskip(NEXT) | instid1(VALU_DEP_1)
	v_lshlrev_b64 v[1:2], 2, v[1:2]
	v_add_co_u32 v33, s0, s3, v1
	s_delay_alu instid0(VALU_DEP_1) | instskip(SKIP_2) | instid1(VALU_DEP_1)
	v_add_co_ci_u32_e64 v34, s0, s7, v2, s0
	ds_load_b128 v[1:4], v53
	v_add_co_u32 v29, s0, v33, v54
	v_add_co_ci_u32_e64 v30, s0, 0, v34, s0
	v_cmp_eq_u32_e64 s0, s21, v37
	global_load_b128 v[5:8], v[29:30], off
	s_and_saveexec_b32 s9, s0
	s_cbranch_execnz .LBB23_44
; %bb.37:                               ;   in Loop: Header=BB23_36 Depth=1
	s_or_b32 exec_lo, exec_lo, s9
	global_load_b128 v[9:12], v[29:30], off offset:512
	s_and_saveexec_b32 s9, s0
	s_cbranch_execnz .LBB23_45
.LBB23_38:                              ;   in Loop: Header=BB23_36 Depth=1
	s_or_b32 exec_lo, exec_lo, s9
	global_load_b128 v[13:16], v[29:30], off offset:1024
	s_and_saveexec_b32 s9, s0
	s_cbranch_execnz .LBB23_46
.LBB23_39:                              ;   in Loop: Header=BB23_36 Depth=1
	s_or_b32 exec_lo, exec_lo, s9
	global_load_b128 v[17:20], v[29:30], off offset:1536
	s_and_saveexec_b32 s9, s0
	s_cbranch_execnz .LBB23_47
.LBB23_40:                              ;   in Loop: Header=BB23_36 Depth=1
	s_or_b32 exec_lo, exec_lo, s9
	global_load_b128 v[21:24], v[29:30], off offset:2048
	s_and_saveexec_b32 s9, s0
	s_cbranch_execnz .LBB23_48
.LBB23_41:                              ;   in Loop: Header=BB23_36 Depth=1
	s_or_b32 exec_lo, exec_lo, s9
	global_load_b128 v[25:28], v[29:30], off offset:2560
	s_and_saveexec_b32 s9, s0
	s_cbranch_execnz .LBB23_49
.LBB23_42:                              ;   in Loop: Header=BB23_36 Depth=1
	s_or_b32 exec_lo, exec_lo, s9
	global_load_b128 v[29:32], v[29:30], off offset:3072
	s_and_saveexec_b32 s9, s0
	s_cbranch_execnz .LBB23_50
.LBB23_43:                              ;   in Loop: Header=BB23_36 Depth=1
	s_or_b32 exec_lo, exec_lo, s9
	s_and_saveexec_b32 s9, vcc_lo
	s_cbranch_execz .LBB23_35
	s_branch .LBB23_51
.LBB23_44:                              ;   in Loop: Header=BB23_36 Depth=1
	v_add_nc_u32_e32 v9, -2, v52
	v_cmp_gt_i32_e64 s1, s15, v56
	v_add_nc_u32_e32 v10, -1, v52
	s_waitcnt vmcnt(0)
	s_delay_alu instid0(VALU_DEP_2) | instskip(SKIP_1) | instid1(VALU_DEP_1)
	v_cndmask_b32_e64 v5, 0, v5, s1
	v_cmp_gt_i32_e64 s1, s15, v9
	v_cndmask_b32_e64 v6, 0, v6, s1
	v_cmp_gt_i32_e64 s1, s15, v10
	s_delay_alu instid0(VALU_DEP_1) | instskip(SKIP_1) | instid1(VALU_DEP_1)
	v_cndmask_b32_e64 v7, 0, v7, s1
	v_cmp_gt_i32_e64 s1, s15, v52
	v_cndmask_b32_e64 v8, 0, v8, s1
	s_or_b32 exec_lo, exec_lo, s9
	global_load_b128 v[9:12], v[29:30], off offset:512
	s_and_saveexec_b32 s9, s0
	s_cbranch_execz .LBB23_38
.LBB23_45:                              ;   in Loop: Header=BB23_36 Depth=1
	v_add_nc_u32_e32 v13, -2, v52
	v_cmp_gt_i32_e64 s1, s15, v56
	v_add_nc_u32_e32 v14, -1, v52
	s_waitcnt vmcnt(0)
	s_delay_alu instid0(VALU_DEP_2) | instskip(SKIP_1) | instid1(VALU_DEP_1)
	v_cndmask_b32_e64 v9, 0, v9, s1
	v_cmp_gt_i32_e64 s1, s15, v13
	v_cndmask_b32_e64 v10, 0, v10, s1
	v_cmp_gt_i32_e64 s1, s15, v14
	s_delay_alu instid0(VALU_DEP_1) | instskip(SKIP_1) | instid1(VALU_DEP_1)
	v_cndmask_b32_e64 v11, 0, v11, s1
	v_cmp_gt_i32_e64 s1, s15, v52
	v_cndmask_b32_e64 v12, 0, v12, s1
	s_or_b32 exec_lo, exec_lo, s9
	global_load_b128 v[13:16], v[29:30], off offset:1024
	s_and_saveexec_b32 s9, s0
	s_cbranch_execz .LBB23_39
.LBB23_46:                              ;   in Loop: Header=BB23_36 Depth=1
	v_add_nc_u32_e32 v17, -2, v52
	v_cmp_gt_i32_e64 s1, s15, v56
	v_add_nc_u32_e32 v18, -1, v52
	s_waitcnt vmcnt(0)
	s_delay_alu instid0(VALU_DEP_2) | instskip(SKIP_1) | instid1(VALU_DEP_1)
	v_cndmask_b32_e64 v13, 0, v13, s1
	v_cmp_gt_i32_e64 s1, s15, v17
	v_cndmask_b32_e64 v14, 0, v14, s1
	v_cmp_gt_i32_e64 s1, s15, v18
	s_delay_alu instid0(VALU_DEP_1) | instskip(SKIP_1) | instid1(VALU_DEP_1)
	v_cndmask_b32_e64 v15, 0, v15, s1
	v_cmp_gt_i32_e64 s1, s15, v52
	v_cndmask_b32_e64 v16, 0, v16, s1
	s_or_b32 exec_lo, exec_lo, s9
	global_load_b128 v[17:20], v[29:30], off offset:1536
	s_and_saveexec_b32 s9, s0
	s_cbranch_execz .LBB23_40
.LBB23_47:                              ;   in Loop: Header=BB23_36 Depth=1
	v_add_nc_u32_e32 v21, -2, v52
	v_cmp_gt_i32_e64 s1, s15, v56
	v_add_nc_u32_e32 v22, -1, v52
	s_waitcnt vmcnt(0)
	s_delay_alu instid0(VALU_DEP_2) | instskip(SKIP_1) | instid1(VALU_DEP_1)
	v_cndmask_b32_e64 v17, 0, v17, s1
	v_cmp_gt_i32_e64 s1, s15, v21
	v_cndmask_b32_e64 v18, 0, v18, s1
	v_cmp_gt_i32_e64 s1, s15, v22
	s_delay_alu instid0(VALU_DEP_1) | instskip(SKIP_1) | instid1(VALU_DEP_1)
	v_cndmask_b32_e64 v19, 0, v19, s1
	v_cmp_gt_i32_e64 s1, s15, v52
	v_cndmask_b32_e64 v20, 0, v20, s1
	s_or_b32 exec_lo, exec_lo, s9
	global_load_b128 v[21:24], v[29:30], off offset:2048
	s_and_saveexec_b32 s9, s0
	s_cbranch_execz .LBB23_41
.LBB23_48:                              ;   in Loop: Header=BB23_36 Depth=1
	v_add_nc_u32_e32 v25, -2, v52
	v_cmp_gt_i32_e64 s1, s15, v56
	v_add_nc_u32_e32 v26, -1, v52
	s_waitcnt vmcnt(0)
	s_delay_alu instid0(VALU_DEP_2) | instskip(SKIP_1) | instid1(VALU_DEP_1)
	v_cndmask_b32_e64 v21, 0, v21, s1
	v_cmp_gt_i32_e64 s1, s15, v25
	v_cndmask_b32_e64 v22, 0, v22, s1
	v_cmp_gt_i32_e64 s1, s15, v26
	s_delay_alu instid0(VALU_DEP_1) | instskip(SKIP_1) | instid1(VALU_DEP_1)
	v_cndmask_b32_e64 v23, 0, v23, s1
	v_cmp_gt_i32_e64 s1, s15, v52
	v_cndmask_b32_e64 v24, 0, v24, s1
	s_or_b32 exec_lo, exec_lo, s9
	global_load_b128 v[25:28], v[29:30], off offset:2560
	s_and_saveexec_b32 s9, s0
	s_cbranch_execz .LBB23_42
.LBB23_49:                              ;   in Loop: Header=BB23_36 Depth=1
	v_add_nc_u32_e32 v31, -2, v52
	v_cmp_gt_i32_e64 s1, s15, v56
	v_add_nc_u32_e32 v32, -1, v52
	s_waitcnt vmcnt(0)
	s_delay_alu instid0(VALU_DEP_2) | instskip(SKIP_1) | instid1(VALU_DEP_1)
	v_cndmask_b32_e64 v25, 0, v25, s1
	v_cmp_gt_i32_e64 s1, s15, v31
	v_cndmask_b32_e64 v26, 0, v26, s1
	v_cmp_gt_i32_e64 s1, s15, v32
	s_delay_alu instid0(VALU_DEP_1) | instskip(SKIP_1) | instid1(VALU_DEP_1)
	v_cndmask_b32_e64 v27, 0, v27, s1
	v_cmp_gt_i32_e64 s1, s15, v52
	v_cndmask_b32_e64 v28, 0, v28, s1
	s_or_b32 exec_lo, exec_lo, s9
	global_load_b128 v[29:32], v[29:30], off offset:3072
	s_and_saveexec_b32 s9, s0
	s_cbranch_execz .LBB23_43
.LBB23_50:                              ;   in Loop: Header=BB23_36 Depth=1
	v_add_nc_u32_e32 v35, -2, v52
	v_cmp_gt_i32_e64 s1, s15, v56
	v_add_nc_u32_e32 v36, -1, v52
	s_waitcnt vmcnt(0)
	s_delay_alu instid0(VALU_DEP_2) | instskip(SKIP_1) | instid1(VALU_DEP_1)
	v_cndmask_b32_e64 v29, 0, v29, s1
	v_cmp_gt_i32_e64 s1, s15, v35
	v_cndmask_b32_e64 v30, 0, v30, s1
	v_cmp_gt_i32_e64 s1, s15, v36
	s_delay_alu instid0(VALU_DEP_1) | instskip(SKIP_1) | instid1(VALU_DEP_1)
	v_cndmask_b32_e64 v31, 0, v31, s1
	v_cmp_gt_i32_e64 s1, s15, v52
	v_cndmask_b32_e64 v32, 0, v32, s1
	s_or_b32 exec_lo, exec_lo, s9
	s_and_saveexec_b32 s9, vcc_lo
	s_cbranch_execz .LBB23_35
.LBB23_51:                              ;   in Loop: Header=BB23_36 Depth=1
	v_add_co_u32 v33, s1, v33, v55
	s_delay_alu instid0(VALU_DEP_1)
	v_add_co_ci_u32_e64 v34, s1, 0, v34, s1
	global_load_b128 v[33:36], v[33:34], off
	s_and_saveexec_b32 s1, s0
	s_cbranch_execz .LBB23_34
; %bb.52:                               ;   in Loop: Header=BB23_36 Depth=1
	v_add_nc_u32_e32 v57, -2, v52
	v_cmp_gt_i32_e64 s0, s15, v56
	v_add_nc_u32_e32 v58, -1, v52
	s_waitcnt vmcnt(0)
	s_delay_alu instid0(VALU_DEP_2) | instskip(SKIP_1) | instid1(VALU_DEP_1)
	v_cndmask_b32_e64 v33, 0, v33, s0
	v_cmp_gt_i32_e64 s0, s15, v57
	v_cndmask_b32_e64 v34, 0, v34, s0
	v_cmp_gt_i32_e64 s0, s15, v58
	s_delay_alu instid0(VALU_DEP_1) | instskip(SKIP_1) | instid1(VALU_DEP_1)
	v_cndmask_b32_e64 v35, 0, v35, s0
	v_cmp_gt_i32_e64 s0, s15, v52
	v_cndmask_b32_e64 v36, 0, v36, s0
	s_branch .LBB23_34
.LBB23_53:
	s_or_b32 exec_lo, exec_lo, s5
.LBB23_54:
	s_delay_alu instid0(SALU_CYCLE_1)
	s_or_b32 exec_lo, exec_lo, s2
	ds_bpermute_b32 v1, v42, v44
	ds_bpermute_b32 v2, v42, v51
	;; [unrolled: 1-line block ×8, first 2 shown]
	s_movk_i32 s0, 0x1e0
	v_cmp_eq_u32_e32 vcc_lo, 0, v43
	v_and_b32_e32 v14, 0x3c0, v0
	v_mad_u32_u24 v9, v40, s0, 0x200
	s_mov_b32 s1, exec_lo
	s_waitcnt lgkmcnt(0)
	s_waitcnt_vscnt null, 0x0
	s_barrier
	buffer_gl0_inv
	v_dual_add_f32 v8, v44, v1 :: v_dual_add_f32 v7, v51, v2
	v_dual_add_f32 v6, v50, v3 :: v_dual_add_f32 v5, v49, v4
	;; [unrolled: 1-line block ×4, first 2 shown]
	v_cmpx_eq_u32_e32 64, v14
	s_cbranch_execz .LBB23_59
; %bb.55:
	v_add_nc_u32_e32 v10, 0xfffffc40, v9
	s_delay_alu instid0(VALU_DEP_1)
	v_lshl_add_u32 v10, v41, 2, v10
	s_and_saveexec_b32 s0, vcc_lo
	s_cbranch_execz .LBB23_57
; %bb.56:
	ds_store_2addr_b32 v10, v8, v7 offset1:16
	ds_store_2addr_b32 v10, v6, v5 offset0:32 offset1:48
	ds_store_2addr_b32 v10, v4, v3 offset0:64 offset1:80
	ds_store_b32 v10, v2 offset:384
.LBB23_57:
	s_or_b32 exec_lo, exec_lo, s0
	v_or_b32_e32 v11, 0x70, v41
	s_delay_alu instid0(VALU_DEP_1) | instskip(NEXT) | instid1(VALU_DEP_1)
	v_cmp_gt_u32_e64 s0, 0x78, v11
	s_and_b32 s0, vcc_lo, s0
	s_delay_alu instid0(SALU_CYCLE_1)
	s_and_b32 exec_lo, exec_lo, s0
	s_cbranch_execz .LBB23_59
; %bb.58:
	ds_store_b32 v10, v1 offset:448
.LBB23_59:
	s_or_b32 exec_lo, exec_lo, s1
	s_delay_alu instid0(SALU_CYCLE_1)
	s_mov_b32 s1, exec_lo
	s_waitcnt lgkmcnt(0)
	s_barrier
	buffer_gl0_inv
	v_cmpx_gt_u32_e32 64, v0
	s_cbranch_execz .LBB23_71
; %bb.60:
	s_and_saveexec_b32 s0, vcc_lo
	s_cbranch_execnz .LBB23_94
; %bb.61:
	s_or_b32 exec_lo, exec_lo, s0
	s_and_saveexec_b32 s0, vcc_lo
	s_cbranch_execnz .LBB23_95
.LBB23_62:
	s_or_b32 exec_lo, exec_lo, s0
	s_and_saveexec_b32 s0, vcc_lo
	s_cbranch_execnz .LBB23_96
.LBB23_63:
	s_or_b32 exec_lo, exec_lo, s0
	s_and_saveexec_b32 s0, vcc_lo
	s_cbranch_execnz .LBB23_97
.LBB23_64:
	s_or_b32 exec_lo, exec_lo, s0
	s_and_saveexec_b32 s0, vcc_lo
	s_cbranch_execnz .LBB23_98
.LBB23_65:
	s_or_b32 exec_lo, exec_lo, s0
	s_and_saveexec_b32 s0, vcc_lo
	s_cbranch_execnz .LBB23_99
.LBB23_66:
	s_or_b32 exec_lo, exec_lo, s0
	s_and_saveexec_b32 s0, vcc_lo
	s_cbranch_execz .LBB23_68
.LBB23_67:
	v_lshl_add_u32 v10, v41, 2, v9
	ds_load_b32 v10, v10 offset:384
	s_waitcnt lgkmcnt(0)
	v_add_f32_e32 v2, v2, v10
.LBB23_68:
	s_or_b32 exec_lo, exec_lo, s0
	v_or_b32_e32 v10, 0x70, v41
	s_delay_alu instid0(VALU_DEP_1) | instskip(NEXT) | instid1(VALU_DEP_1)
	v_cmp_gt_u32_e64 s0, 0x78, v10
	s_and_b32 s2, vcc_lo, s0
	s_delay_alu instid0(SALU_CYCLE_1)
	s_and_saveexec_b32 s0, s2
	s_cbranch_execz .LBB23_70
; %bb.69:
	v_lshl_add_u32 v10, v41, 2, v9
	ds_load_b32 v10, v10 offset:448
	s_waitcnt lgkmcnt(0)
	v_add_f32_e32 v1, v1, v10
.LBB23_70:
	s_or_b32 exec_lo, exec_lo, s0
.LBB23_71:
	s_delay_alu instid0(SALU_CYCLE_1)
	s_or_b32 exec_lo, exec_lo, s1
	v_and_b32_e32 v10, 0x3e0, v0
	s_mov_b32 s1, exec_lo
	s_barrier
	buffer_gl0_inv
	v_cmpx_eq_u32_e32 32, v10
	s_cbranch_execz .LBB23_76
; %bb.72:
	v_add_nc_u32_e32 v10, 0xfffffe20, v9
	s_delay_alu instid0(VALU_DEP_1)
	v_lshl_add_u32 v10, v41, 2, v10
	s_and_saveexec_b32 s0, vcc_lo
	s_cbranch_execz .LBB23_74
; %bb.73:
	ds_store_2addr_b32 v10, v8, v7 offset1:16
	ds_store_2addr_b32 v10, v6, v5 offset0:32 offset1:48
	ds_store_2addr_b32 v10, v4, v3 offset0:64 offset1:80
	ds_store_b32 v10, v2 offset:384
.LBB23_74:
	s_or_b32 exec_lo, exec_lo, s0
	v_or_b32_e32 v11, 0x70, v41
	s_delay_alu instid0(VALU_DEP_1) | instskip(NEXT) | instid1(VALU_DEP_1)
	v_cmp_gt_u32_e64 s0, 0x78, v11
	s_and_b32 s0, vcc_lo, s0
	s_delay_alu instid0(SALU_CYCLE_1)
	s_and_b32 exec_lo, exec_lo, s0
	s_cbranch_execz .LBB23_76
; %bb.75:
	ds_store_b32 v10, v1 offset:448
.LBB23_76:
	s_or_b32 exec_lo, exec_lo, s1
	v_cmp_gt_u32_e64 s0, 32, v0
	s_waitcnt lgkmcnt(0)
	s_barrier
	buffer_gl0_inv
	s_and_saveexec_b32 s2, s0
	s_cbranch_execz .LBB23_88
; %bb.77:
	v_lshl_add_u32 v9, v41, 2, v9
	s_and_saveexec_b32 s1, vcc_lo
	s_cbranch_execnz .LBB23_100
; %bb.78:
	s_or_b32 exec_lo, exec_lo, s1
	s_and_saveexec_b32 s1, vcc_lo
	s_cbranch_execnz .LBB23_101
.LBB23_79:
	s_or_b32 exec_lo, exec_lo, s1
	s_and_saveexec_b32 s1, vcc_lo
	s_cbranch_execnz .LBB23_102
.LBB23_80:
	s_or_b32 exec_lo, exec_lo, s1
	s_and_saveexec_b32 s1, vcc_lo
	s_cbranch_execnz .LBB23_103
.LBB23_81:
	s_or_b32 exec_lo, exec_lo, s1
	s_and_saveexec_b32 s1, vcc_lo
	s_cbranch_execnz .LBB23_104
.LBB23_82:
	s_or_b32 exec_lo, exec_lo, s1
	s_and_saveexec_b32 s1, vcc_lo
	s_cbranch_execnz .LBB23_105
.LBB23_83:
	s_or_b32 exec_lo, exec_lo, s1
	s_and_saveexec_b32 s1, vcc_lo
	s_cbranch_execz .LBB23_85
.LBB23_84:
	ds_load_b32 v10, v9 offset:384
	s_waitcnt lgkmcnt(0)
	v_add_f32_e32 v2, v2, v10
.LBB23_85:
	s_or_b32 exec_lo, exec_lo, s1
	v_or_b32_e32 v10, 0x70, v41
	s_delay_alu instid0(VALU_DEP_1) | instskip(NEXT) | instid1(VALU_DEP_1)
	v_cmp_gt_u32_e64 s1, 0x78, v10
	s_and_b32 s3, vcc_lo, s1
	s_delay_alu instid0(SALU_CYCLE_1)
	s_and_saveexec_b32 s1, s3
	s_cbranch_execz .LBB23_87
; %bb.86:
	ds_load_b32 v9, v9 offset:448
	s_waitcnt lgkmcnt(0)
	v_add_f32_e32 v1, v1, v9
.LBB23_87:
	s_or_b32 exec_lo, exec_lo, s1
.LBB23_88:
	s_delay_alu instid0(SALU_CYCLE_1)
	s_or_b32 exec_lo, exec_lo, s2
	s_barrier
	buffer_gl0_inv
	s_and_saveexec_b32 s1, s0
	s_cbranch_execz .LBB23_93
; %bb.89:
	s_mul_i32 s0, s6, 0x78
	s_mul_i32 s2, s4, s16
	s_ashr_i32 s1, s0, 31
	v_lshrrev_b32_e32 v9, 1, v0
	s_lshl_b64 s[0:1], s[0:1], 2
	s_delay_alu instid0(SALU_CYCLE_1)
	s_add_u32 s4, s18, s0
	s_addc_u32 s1, s19, s1
	s_ashr_i32 s3, s2, 31
	s_mul_i32 s0, s12, 0x78
	s_lshl_b64 s[2:3], s[2:3], 2
	v_lshlrev_b32_e32 v0, 2, v9
	s_add_u32 s2, s4, s2
	s_addc_u32 s3, s1, s3
	s_ashr_i32 s1, s0, 31
	s_delay_alu instid0(SALU_CYCLE_1) | instskip(NEXT) | instid1(SALU_CYCLE_1)
	s_lshl_b64 s[0:1], s[0:1], 2
	s_add_u32 s2, s2, s0
	s_addc_u32 s3, s3, s1
	s_and_saveexec_b32 s0, vcc_lo
; %bb.90:
	s_clause 0x6
	global_store_b32 v0, v8, s[2:3]
	global_store_b32 v0, v7, s[2:3] offset:64
	global_store_b32 v0, v6, s[2:3] offset:128
	;; [unrolled: 1-line block ×6, first 2 shown]
; %bb.91:
	s_or_b32 exec_lo, exec_lo, s0
	v_or_b32_e32 v2, 0x70, v9
	s_delay_alu instid0(VALU_DEP_1) | instskip(NEXT) | instid1(VALU_DEP_1)
	v_cmp_gt_u32_e64 s0, 0x78, v2
	s_and_b32 s0, vcc_lo, s0
	s_delay_alu instid0(SALU_CYCLE_1)
	s_and_b32 exec_lo, exec_lo, s0
	s_cbranch_execz .LBB23_93
; %bb.92:
	global_store_b32 v0, v1, s[2:3] offset:448
.LBB23_93:
	s_nop 0
	s_sendmsg sendmsg(MSG_DEALLOC_VGPRS)
	s_endpgm
.LBB23_94:
	v_lshl_add_u32 v10, v41, 2, v9
	ds_load_b32 v10, v10
	s_waitcnt lgkmcnt(0)
	v_add_f32_e32 v8, v8, v10
	s_or_b32 exec_lo, exec_lo, s0
	s_and_saveexec_b32 s0, vcc_lo
	s_cbranch_execz .LBB23_62
.LBB23_95:
	v_lshl_add_u32 v10, v41, 2, v9
	ds_load_b32 v10, v10 offset:64
	s_waitcnt lgkmcnt(0)
	v_add_f32_e32 v7, v7, v10
	s_or_b32 exec_lo, exec_lo, s0
	s_and_saveexec_b32 s0, vcc_lo
	s_cbranch_execz .LBB23_63
.LBB23_96:
	v_lshl_add_u32 v10, v41, 2, v9
	ds_load_b32 v10, v10 offset:128
	s_waitcnt lgkmcnt(0)
	v_add_f32_e32 v6, v6, v10
	s_or_b32 exec_lo, exec_lo, s0
	s_and_saveexec_b32 s0, vcc_lo
	s_cbranch_execz .LBB23_64
.LBB23_97:
	v_lshl_add_u32 v10, v41, 2, v9
	ds_load_b32 v10, v10 offset:192
	s_waitcnt lgkmcnt(0)
	v_add_f32_e32 v5, v5, v10
	s_or_b32 exec_lo, exec_lo, s0
	s_and_saveexec_b32 s0, vcc_lo
	s_cbranch_execz .LBB23_65
.LBB23_98:
	v_lshl_add_u32 v10, v41, 2, v9
	ds_load_b32 v10, v10 offset:256
	s_waitcnt lgkmcnt(0)
	v_add_f32_e32 v4, v4, v10
	s_or_b32 exec_lo, exec_lo, s0
	s_and_saveexec_b32 s0, vcc_lo
	s_cbranch_execz .LBB23_66
.LBB23_99:
	v_lshl_add_u32 v10, v41, 2, v9
	ds_load_b32 v10, v10 offset:320
	s_waitcnt lgkmcnt(0)
	v_add_f32_e32 v3, v3, v10
	s_or_b32 exec_lo, exec_lo, s0
	s_and_saveexec_b32 s0, vcc_lo
	s_cbranch_execnz .LBB23_67
	s_branch .LBB23_68
.LBB23_100:
	ds_load_b32 v10, v9
	s_waitcnt lgkmcnt(0)
	v_add_f32_e32 v8, v8, v10
	s_or_b32 exec_lo, exec_lo, s1
	s_and_saveexec_b32 s1, vcc_lo
	s_cbranch_execz .LBB23_79
.LBB23_101:
	ds_load_b32 v10, v9 offset:64
	s_waitcnt lgkmcnt(0)
	v_add_f32_e32 v7, v7, v10
	s_or_b32 exec_lo, exec_lo, s1
	s_and_saveexec_b32 s1, vcc_lo
	s_cbranch_execz .LBB23_80
.LBB23_102:
	ds_load_b32 v10, v9 offset:128
	s_waitcnt lgkmcnt(0)
	v_add_f32_e32 v6, v6, v10
	s_or_b32 exec_lo, exec_lo, s1
	s_and_saveexec_b32 s1, vcc_lo
	s_cbranch_execz .LBB23_81
.LBB23_103:
	ds_load_b32 v10, v9 offset:192
	s_waitcnt lgkmcnt(0)
	v_add_f32_e32 v5, v5, v10
	s_or_b32 exec_lo, exec_lo, s1
	s_and_saveexec_b32 s1, vcc_lo
	s_cbranch_execz .LBB23_82
.LBB23_104:
	ds_load_b32 v10, v9 offset:256
	s_waitcnt lgkmcnt(0)
	v_add_f32_e32 v4, v4, v10
	s_or_b32 exec_lo, exec_lo, s1
	s_and_saveexec_b32 s1, vcc_lo
	s_cbranch_execz .LBB23_83
.LBB23_105:
	ds_load_b32 v10, v9 offset:320
	s_waitcnt lgkmcnt(0)
	v_add_f32_e32 v3, v3, v10
	s_or_b32 exec_lo, exec_lo, s1
	s_and_saveexec_b32 s1, vcc_lo
	s_cbranch_execnz .LBB23_84
	s_branch .LBB23_85
	.section	.rodata,"a",@progbits
	.p2align	6, 0x0
	.amdhsa_kernel _ZN4vllm25paged_attention_v2_kernelIffLi120ELi8ELi128ELNS_18Fp8KVCacheDataTypeE0ELb0ELi512EEEvPfS2_PT_PKS3_PKT0_S9_ifPKiSB_iPKfiiiSD_SD_iiiii
		.amdhsa_group_segment_fixed_size 512
		.amdhsa_private_segment_fixed_size 0
		.amdhsa_kernarg_size 400
		.amdhsa_user_sgpr_count 13
		.amdhsa_user_sgpr_dispatch_ptr 0
		.amdhsa_user_sgpr_queue_ptr 0
		.amdhsa_user_sgpr_kernarg_segment_ptr 1
		.amdhsa_user_sgpr_dispatch_id 0
		.amdhsa_user_sgpr_private_segment_size 0
		.amdhsa_wavefront_size32 1
		.amdhsa_uses_dynamic_stack 0
		.amdhsa_enable_private_segment 0
		.amdhsa_system_sgpr_workgroup_id_x 1
		.amdhsa_system_sgpr_workgroup_id_y 1
		.amdhsa_system_sgpr_workgroup_id_z 1
		.amdhsa_system_sgpr_workgroup_info 0
		.amdhsa_system_vgpr_workitem_id 0
		.amdhsa_next_free_vgpr 78
		.amdhsa_next_free_sgpr 38
		.amdhsa_reserve_vcc 1
		.amdhsa_float_round_mode_32 0
		.amdhsa_float_round_mode_16_64 0
		.amdhsa_float_denorm_mode_32 3
		.amdhsa_float_denorm_mode_16_64 3
		.amdhsa_dx10_clamp 1
		.amdhsa_ieee_mode 1
		.amdhsa_fp16_overflow 0
		.amdhsa_workgroup_processor_mode 1
		.amdhsa_memory_ordered 1
		.amdhsa_forward_progress 0
		.amdhsa_shared_vgpr_count 0
		.amdhsa_exception_fp_ieee_invalid_op 0
		.amdhsa_exception_fp_denorm_src 0
		.amdhsa_exception_fp_ieee_div_zero 0
		.amdhsa_exception_fp_ieee_overflow 0
		.amdhsa_exception_fp_ieee_underflow 0
		.amdhsa_exception_fp_ieee_inexact 0
		.amdhsa_exception_int_div_zero 0
	.end_amdhsa_kernel
	.section	.text._ZN4vllm25paged_attention_v2_kernelIffLi120ELi8ELi128ELNS_18Fp8KVCacheDataTypeE0ELb0ELi512EEEvPfS2_PT_PKS3_PKT0_S9_ifPKiSB_iPKfiiiSD_SD_iiiii,"axG",@progbits,_ZN4vllm25paged_attention_v2_kernelIffLi120ELi8ELi128ELNS_18Fp8KVCacheDataTypeE0ELb0ELi512EEEvPfS2_PT_PKS3_PKT0_S9_ifPKiSB_iPKfiiiSD_SD_iiiii,comdat
.Lfunc_end23:
	.size	_ZN4vllm25paged_attention_v2_kernelIffLi120ELi8ELi128ELNS_18Fp8KVCacheDataTypeE0ELb0ELi512EEEvPfS2_PT_PKS3_PKT0_S9_ifPKiSB_iPKfiiiSD_SD_iiiii, .Lfunc_end23-_ZN4vllm25paged_attention_v2_kernelIffLi120ELi8ELi128ELNS_18Fp8KVCacheDataTypeE0ELb0ELi512EEEvPfS2_PT_PKS3_PKT0_S9_ifPKiSB_iPKfiiiSD_SD_iiiii
                                        ; -- End function
	.section	.AMDGPU.csdata,"",@progbits
; Kernel info:
; codeLenInByte = 5980
; NumSgprs: 40
; NumVgprs: 78
; ScratchSize: 0
; MemoryBound: 0
; FloatMode: 240
; IeeeMode: 1
; LDSByteSize: 512 bytes/workgroup (compile time only)
; SGPRBlocks: 4
; VGPRBlocks: 9
; NumSGPRsForWavesPerEU: 40
; NumVGPRsForWavesPerEU: 78
; Occupancy: 16
; WaveLimiterHint : 1
; COMPUTE_PGM_RSRC2:SCRATCH_EN: 0
; COMPUTE_PGM_RSRC2:USER_SGPR: 13
; COMPUTE_PGM_RSRC2:TRAP_HANDLER: 0
; COMPUTE_PGM_RSRC2:TGID_X_EN: 1
; COMPUTE_PGM_RSRC2:TGID_Y_EN: 1
; COMPUTE_PGM_RSRC2:TGID_Z_EN: 1
; COMPUTE_PGM_RSRC2:TIDIG_COMP_CNT: 0
	.section	.text._ZN4vllm25paged_attention_v2_kernelIffLi128ELi8ELi128ELNS_18Fp8KVCacheDataTypeE0ELb0ELi512EEEvPfS2_PT_PKS3_PKT0_S9_ifPKiSB_iPKfiiiSD_SD_iiiii,"axG",@progbits,_ZN4vllm25paged_attention_v2_kernelIffLi128ELi8ELi128ELNS_18Fp8KVCacheDataTypeE0ELb0ELi512EEEvPfS2_PT_PKS3_PKT0_S9_ifPKiSB_iPKfiiiSD_SD_iiiii,comdat
	.protected	_ZN4vllm25paged_attention_v2_kernelIffLi128ELi8ELi128ELNS_18Fp8KVCacheDataTypeE0ELb0ELi512EEEvPfS2_PT_PKS3_PKT0_S9_ifPKiSB_iPKfiiiSD_SD_iiiii ; -- Begin function _ZN4vllm25paged_attention_v2_kernelIffLi128ELi8ELi128ELNS_18Fp8KVCacheDataTypeE0ELb0ELi512EEEvPfS2_PT_PKS3_PKT0_S9_ifPKiSB_iPKfiiiSD_SD_iiiii
	.globl	_ZN4vllm25paged_attention_v2_kernelIffLi128ELi8ELi128ELNS_18Fp8KVCacheDataTypeE0ELb0ELi512EEEvPfS2_PT_PKS3_PKT0_S9_ifPKiSB_iPKfiiiSD_SD_iiiii
	.p2align	8
	.type	_ZN4vllm25paged_attention_v2_kernelIffLi128ELi8ELi128ELNS_18Fp8KVCacheDataTypeE0ELb0ELi512EEEvPfS2_PT_PKS3_PKT0_S9_ifPKiSB_iPKfiiiSD_SD_iiiii,@function
_ZN4vllm25paged_attention_v2_kernelIffLi128ELi8ELi128ELNS_18Fp8KVCacheDataTypeE0ELb0ELi512EEEvPfS2_PT_PKS3_PKT0_S9_ifPKiSB_iPKfiiiSD_SD_iiiii: ; @_ZN4vllm25paged_attention_v2_kernelIffLi128ELi8ELi128ELNS_18Fp8KVCacheDataTypeE0ELb0ELi512EEEvPfS2_PT_PKS3_PKT0_S9_ifPKiSB_iPKfiiiSD_SD_iiiii
; %bb.0:
	s_load_b64 s[2:3], s[0:1], 0x40
	s_mov_b32 s12, s15
	s_ashr_i32 s15, s14, 31
	s_delay_alu instid0(SALU_CYCLE_1)
	s_lshl_b64 s[4:5], s[14:15], 2
	s_waitcnt lgkmcnt(0)
	s_add_u32 s2, s2, s4
	s_addc_u32 s3, s3, s5
	s_lshl_b32 s33, s12, 9
	s_load_b32 s15, s[2:3], 0x0
	s_waitcnt lgkmcnt(0)
	s_cmp_ge_i32 s33, s15
	s_cbranch_scc1 .LBB24_78
; %bb.1:
	s_mov_b32 s20, s13
	s_clause 0x1
	s_load_b32 s13, s[0:1], 0x90
	s_load_b64 s[30:31], s[0:1], 0x30
	s_waitcnt lgkmcnt(0)
	s_abs_i32 s5, s13
	s_abs_i32 s2, s30
	s_delay_alu instid0(SALU_CYCLE_1) | instskip(SKIP_1) | instid1(VALU_DEP_1)
	v_cvt_f32_u32_e32 v1, s2
	s_sub_i32 s4, 0, s2
	v_rcp_iflag_f32_e32 v1, v1
	s_waitcnt_depctr 0xfff
	v_mul_f32_e32 v1, 0x4f7ffffe, v1
	s_delay_alu instid0(VALU_DEP_1) | instskip(NEXT) | instid1(VALU_DEP_1)
	v_cvt_u32_f32_e32 v1, v1
	v_readfirstlane_b32 s3, v1
	s_delay_alu instid0(VALU_DEP_1) | instskip(NEXT) | instid1(SALU_CYCLE_1)
	s_mul_i32 s4, s4, s3
	s_mul_hi_u32 s4, s3, s4
	s_delay_alu instid0(SALU_CYCLE_1)
	s_add_i32 s3, s3, s4
	s_xor_b32 s4, s13, s30
	s_mul_hi_u32 s3, s5, s3
	s_ashr_i32 s4, s4, 31
	s_mul_i32 s6, s3, s2
	s_mov_b32 s30, 0
	s_sub_i32 s5, s5, s6
	s_add_i32 s6, s3, 1
	s_sub_i32 s7, s5, s2
	s_cmp_ge_u32 s5, s2
	s_cselect_b32 s3, s6, s3
	s_cselect_b32 s5, s7, s5
	s_add_i32 s6, s3, 1
	s_cmp_ge_u32 s5, s2
	s_cselect_b32 s2, s6, s3
	s_abs_i32 s10, s20
	s_xor_b32 s2, s2, s4
	s_delay_alu instid0(SALU_CYCLE_1) | instskip(SKIP_2) | instid1(SALU_CYCLE_1)
	s_sub_i32 s11, s2, s4
	s_load_b64 s[2:3], s[0:1], 0x50
	s_abs_i32 s8, s11
	v_cvt_f32_u32_e32 v1, s8
	s_sub_i32 s5, 0, s8
	s_delay_alu instid0(VALU_DEP_1) | instskip(SKIP_2) | instid1(VALU_DEP_1)
	v_rcp_iflag_f32_e32 v1, v1
	s_waitcnt_depctr 0xfff
	v_mul_f32_e32 v1, 0x4f7ffffe, v1
	v_cvt_u32_f32_e32 v1, v1
	s_delay_alu instid0(VALU_DEP_1) | instskip(NEXT) | instid1(VALU_DEP_1)
	v_readfirstlane_b32 s4, v1
	s_mul_i32 s5, s5, s4
	s_delay_alu instid0(SALU_CYCLE_1) | instskip(NEXT) | instid1(SALU_CYCLE_1)
	s_mul_hi_u32 s5, s4, s5
	s_add_i32 s4, s4, s5
	s_waitcnt lgkmcnt(0)
	s_cmp_eq_u64 s[2:3], 0
	s_mul_hi_u32 s9, s10, s4
	s_cbranch_scc1 .LBB24_3
; %bb.2:
	s_ashr_i32 s21, s20, 31
	s_delay_alu instid0(SALU_CYCLE_1) | instskip(NEXT) | instid1(SALU_CYCLE_1)
	s_lshl_b64 s[4:5], s[20:21], 2
	s_add_u32 s2, s2, s4
	s_addc_u32 s3, s3, s5
	s_load_b32 s30, s[2:3], 0x0
.LBB24_3:
	s_load_b128 s[4:7], s[0:1], 0x58
	v_and_b32_e32 v33, 3, v0
	v_lshlrev_b32_e32 v35, 2, v0
	s_ashr_i32 s2, s20, 31
	s_ashr_i32 s3, s11, 31
	s_lshl_b32 s16, s20, 7
	s_waitcnt lgkmcnt(0)
	s_mov_b32 s7, exec_lo
	v_cmpx_gt_u32_e32 0x80, v0
	s_cbranch_execz .LBB24_5
; %bb.4:
	s_load_b64 s[18:19], s[0:1], 0x18
	s_mul_i32 s22, s14, s4
	v_and_b32_e32 v2, 0x3fc, v0
	s_ashr_i32 s23, s22, 31
	s_delay_alu instid0(SALU_CYCLE_1) | instskip(NEXT) | instid1(VALU_DEP_1)
	s_lshl_b64 s[22:23], s[22:23], 2
	v_lshl_add_u32 v2, v33, 7, v2
	s_waitcnt lgkmcnt(0)
	s_add_u32 s4, s18, s22
	s_addc_u32 s11, s19, s23
	s_ashr_i32 s17, s16, 31
	s_delay_alu instid0(SALU_CYCLE_1) | instskip(NEXT) | instid1(SALU_CYCLE_1)
	s_lshl_b64 s[18:19], s[16:17], 2
	s_add_u32 s18, s4, s18
	s_addc_u32 s19, s11, s19
	global_load_b32 v1, v35, s[18:19]
	s_waitcnt vmcnt(0)
	ds_store_b32 v2, v1
.LBB24_5:
	s_or_b32 exec_lo, exec_lo, s7
	s_add_i32 s4, s15, 7
	s_lshl_b32 s7, s12, 6
	s_ashr_i32 s11, s4, 31
	s_xor_b32 s2, s2, s3
	s_lshr_b32 s11, s11, 29
	s_add_i32 s3, s7, 64
	s_add_i32 s4, s4, s11
	s_clause 0x1
	s_load_b64 s[22:23], s[0:1], 0x38
	s_load_b32 s11, s[0:1], 0x48
	s_ashr_i32 s21, s4, 3
	s_mul_i32 s4, s9, s8
	s_min_i32 s17, s3, s21
	s_sub_i32 s3, s10, s4
	s_add_i32 s4, s9, 1
	s_sub_i32 s10, s3, s8
	s_cmp_ge_u32 s3, s8
	v_lshrrev_b32_e32 v40, 5, v0
	s_cselect_b32 s4, s4, s9
	s_cselect_b32 s3, s10, s3
	s_add_i32 s9, s4, 1
	s_cmp_ge_u32 s3, s8
	v_or_b32_e32 v37, s7, v40
	s_cselect_b32 s3, s9, s4
	v_mbcnt_lo_u32_b32 v36, -1, 0
	s_xor_b32 s3, s3, s2
	s_mov_b32 s4, exec_lo
	s_sub_i32 s3, s3, s2
	v_cmp_gt_i32_e64 s2, s17, v37
	s_waitcnt lgkmcnt(0)
	s_mul_i32 s24, s14, s11
	s_delay_alu instid0(SALU_CYCLE_1)
	s_ashr_i32 s25, s24, 31
	s_barrier
	buffer_gl0_inv
                                        ; implicit-def: $sgpr28
                                        ; implicit-def: $vgpr39
	v_cmpx_le_i32_e64 s17, v37
	s_xor_b32 s4, exec_lo, s4
; %bb.6:
	v_mbcnt_lo_u32_b32 v36, -1, 0
	v_mov_b32_e32 v39, 32
	s_mov_b32 s28, 0xff7fffff
                                        ; implicit-def: $vgpr33
; %bb.7:
	s_or_saveexec_b32 s34, s4
	s_clause 0x3
	s_load_b128 s[8:11], s[0:1], 0x0
	s_load_b64 s[18:19], s[0:1], 0x10
	s_load_b64 s[26:27], s[0:1], 0x28
	s_load_b32 s4, s[0:1], 0x98
	v_mov_b32_e32 v41, s28
	v_ashrrev_i32_e32 v38, 31, v37
	s_mul_i32 s28, s3, s6
	s_xor_b32 exec_lo, exec_lo, s34
	s_cbranch_execz .LBB24_13
; %bb.8:
	s_load_b64 s[0:1], s[0:1], 0x20
	v_bfe_u32 v34, v0, 2, 3
	s_ashr_i32 s29, s28, 31
	v_xor_b32_e32 v26, 2, v36
	v_xor_b32_e32 v27, 1, v36
	s_lshl_b64 s[36:37], s[28:29], 2
	v_lshlrev_b32_e32 v28, 4, v34
	v_dual_mov_b32 v48, v37 :: v_dual_lshlrev_b32 v29, 7, v33
	v_cmp_gt_i32_e32 vcc_lo, 32, v26
	v_lshlrev_b32_e32 v25, 2, v33
	ds_load_b128 v[1:4], v29
	ds_load_b128 v[5:8], v29 offset:16
	ds_load_b128 v[9:12], v29 offset:32
	;; [unrolled: 1-line block ×5, first 2 shown]
	v_lshlrev_b32_e32 v41, 2, v34
	v_cndmask_b32_e32 v44, v36, v26, vcc_lo
	v_dual_mov_b32 v39, 32 :: v_dual_lshlrev_b32 v46, 3, v40
	s_mov_b32 s35, s5
	s_delay_alu instid0(VALU_DEP_3) | instskip(NEXT) | instid1(VALU_DEP_3)
	v_lshl_or_b32 v41, v40, 5, v41
	v_lshlrev_b32_e32 v44, 2, v44
	s_waitcnt lgkmcnt(0)
	s_add_u32 s0, s0, s36
	s_addc_u32 s1, s1, s37
	v_add_co_u32 v28, s0, s0, v28
	s_delay_alu instid0(VALU_DEP_1) | instskip(SKIP_1) | instid1(VALU_DEP_3)
	v_add_co_ci_u32_e64 v30, null, s1, 0, s0
	v_add_nc_u32_e32 v47, 0x220, v41
	v_add_co_u32 v42, vcc_lo, v28, v25
	s_delay_alu instid0(VALU_DEP_3)
	v_add_co_ci_u32_e32 v43, vcc_lo, 0, v30, vcc_lo
	v_cmp_gt_i32_e32 vcc_lo, 32, v27
	v_mov_b32_e32 v41, 0xff7fffff
	v_add3_u32 v46, s33, v46, v34
	s_lshl_b64 s[36:37], s[24:25], 2
	s_sub_i32 s6, 1, s15
	v_cndmask_b32_e32 v45, v36, v27, vcc_lo
	ds_load_b128 v[25:28], v29 offset:96
	ds_load_b128 v[29:32], v29 offset:112
	v_cmp_eq_u32_e32 vcc_lo, 0, v33
	v_lshlrev_b64 v[33:34], 2, v[37:38]
	s_add_u32 s1, s22, s36
	s_addc_u32 s3, s23, s37
	v_lshlrev_b32_e32 v45, 2, v45
	v_cmp_neq_f32_e64 s0, s30, 0
	s_mov_b32 s29, 0
	v_add_co_u32 v33, s1, s1, v33
	s_delay_alu instid0(VALU_DEP_1)
	v_add_co_ci_u32_e64 v34, s1, s3, v34, s1
	s_branch .LBB24_10
.LBB24_9:                               ;   in Loop: Header=BB24_10 Depth=1
	s_or_b32 exec_lo, exec_lo, s3
	v_add_nc_u32_e32 v48, 4, v48
	v_add_co_u32 v33, s3, v33, 16
	v_add_nc_u32_e32 v46, 32, v46
	v_add_nc_u32_e32 v47, 0x80, v47
	s_delay_alu instid0(VALU_DEP_4) | instskip(SKIP_1) | instid1(VALU_DEP_2)
	v_cmp_le_i32_e64 s1, s17, v48
	v_add_co_ci_u32_e64 v34, s3, 0, v34, s3
	s_or_b32 s29, s1, s29
	s_delay_alu instid0(SALU_CYCLE_1)
	s_and_not1_b32 exec_lo, exec_lo, s29
	s_cbranch_execz .LBB24_12
.LBB24_10:                              ; =>This Inner Loop Header: Depth=1
	global_load_b32 v51, v[33:34], off
	s_waitcnt vmcnt(0) lgkmcnt(0)
	v_mad_i64_i32 v[49:50], null, v51, s35, 0
	s_delay_alu instid0(VALU_DEP_1) | instskip(NEXT) | instid1(VALU_DEP_1)
	v_lshlrev_b64 v[49:50], 2, v[49:50]
	v_add_co_u32 v49, s1, v42, v49
	s_delay_alu instid0(VALU_DEP_1)
	v_add_co_ci_u32_e64 v50, s1, v43, v50, s1
	s_clause 0x1f
	global_load_b32 v51, v[49:50], off offset:128
	global_load_b32 v52, v[49:50], off
	global_load_b32 v53, v[49:50], off offset:256
	global_load_b32 v54, v[49:50], off offset:384
	;; [unrolled: 1-line block ×30, first 2 shown]
	s_waitcnt vmcnt(31)
	v_mul_f32_e32 v50, v2, v51
	s_waitcnt vmcnt(30)
	s_delay_alu instid0(VALU_DEP_1) | instskip(SKIP_1) | instid1(VALU_DEP_1)
	v_fmac_f32_e32 v50, v1, v52
	s_waitcnt vmcnt(29)
	v_fmac_f32_e32 v50, v3, v53
	s_waitcnt vmcnt(28)
	s_delay_alu instid0(VALU_DEP_1) | instskip(SKIP_1) | instid1(VALU_DEP_1)
	v_fmac_f32_e32 v50, v4, v54
	s_waitcnt vmcnt(27)
	v_fmac_f32_e32 v50, v5, v55
	;; [unrolled: 5-line block ×11, first 2 shown]
	s_waitcnt vmcnt(8)
	s_delay_alu instid0(VALU_DEP_1) | instskip(SKIP_1) | instid1(VALU_DEP_1)
	v_fmac_f32_e32 v50, v24, v74
	s_waitcnt vmcnt(7) lgkmcnt(1)
	v_fmac_f32_e32 v50, v25, v75
	s_waitcnt vmcnt(6)
	s_delay_alu instid0(VALU_DEP_1) | instskip(SKIP_1) | instid1(VALU_DEP_1)
	v_fmac_f32_e32 v50, v26, v76
	s_waitcnt vmcnt(5)
	v_fmac_f32_e32 v50, v27, v77
	s_waitcnt vmcnt(4)
	s_delay_alu instid0(VALU_DEP_1) | instskip(SKIP_1) | instid1(VALU_DEP_1)
	v_fmac_f32_e32 v50, v28, v78
	s_waitcnt vmcnt(3) lgkmcnt(0)
	v_fmac_f32_e32 v50, v29, v79
	s_waitcnt vmcnt(2)
	s_delay_alu instid0(VALU_DEP_1) | instskip(SKIP_1) | instid1(VALU_DEP_1)
	v_fmac_f32_e32 v50, v30, v80
	s_waitcnt vmcnt(1)
	v_fmac_f32_e32 v50, v31, v81
	s_waitcnt vmcnt(0)
	s_delay_alu instid0(VALU_DEP_1)
	v_fmac_f32_e32 v50, v32, v49
	ds_bpermute_b32 v49, v44, v50
	s_waitcnt lgkmcnt(0)
	v_add_f32_e32 v49, v50, v49
	ds_bpermute_b32 v50, v45, v49
	s_and_saveexec_b32 s3, vcc_lo
	s_cbranch_execz .LBB24_9
; %bb.11:                               ;   in Loop: Header=BB24_10 Depth=1
	s_waitcnt lgkmcnt(0)
	v_add_f32_e32 v49, v49, v50
	v_add_nc_u32_e32 v51, s6, v46
	v_cmp_gt_i32_e64 s1, s15, v46
	s_delay_alu instid0(VALU_DEP_2) | instskip(NEXT) | instid1(VALU_DEP_1)
	v_cvt_f32_i32_e32 v51, v51
	v_mul_f32_e32 v51, s30, v51
	s_delay_alu instid0(VALU_DEP_1) | instskip(SKIP_1) | instid1(VALU_DEP_2)
	v_cndmask_b32_e64 v50, 0, v51, s0
	v_max_f32_e32 v51, v41, v41
	v_fmac_f32_e32 v50, s31, v49
	s_delay_alu instid0(VALU_DEP_1) | instskip(SKIP_1) | instid1(VALU_DEP_2)
	v_max_f32_e32 v49, v51, v50
	v_cndmask_b32_e64 v50, 0, v50, s1
	v_cndmask_b32_e64 v41, v41, v49, s1
	ds_store_b32 v47, v50
	s_branch .LBB24_9
.LBB24_12:
	s_or_b32 exec_lo, exec_lo, s29
.LBB24_13:
	s_delay_alu instid0(SALU_CYCLE_1) | instskip(SKIP_3) | instid1(VALU_DEP_3)
	s_or_b32 exec_lo, exec_lo, s34
	v_xor_b32_e32 v1, 16, v36
	v_xor_b32_e32 v3, 8, v36
	v_max_f32_e32 v5, v41, v41
	v_cmp_lt_i32_e32 vcc_lo, v1, v39
	v_cndmask_b32_e32 v1, v36, v1, vcc_lo
	s_delay_alu instid0(VALU_DEP_4) | instskip(SKIP_1) | instid1(VALU_DEP_1)
	v_cmp_lt_i32_e32 vcc_lo, v3, v39
	v_cndmask_b32_e32 v3, v36, v3, vcc_lo
	v_lshlrev_b32_e32 v4, 2, v3
	s_delay_alu instid0(VALU_DEP_4) | instskip(SKIP_4) | instid1(VALU_DEP_1)
	v_lshlrev_b32_e32 v2, 2, v1
	ds_bpermute_b32 v1, v2, v41
	v_and_b32_e32 v41, 31, v0
	s_waitcnt lgkmcnt(0)
	v_max_f32_e32 v1, v1, v1
	v_max_f32_e32 v1, v5, v1
	v_xor_b32_e32 v5, 4, v36
	ds_bpermute_b32 v3, v4, v1
	v_cmp_lt_i32_e32 vcc_lo, v5, v39
	v_cndmask_b32_e32 v5, v36, v5, vcc_lo
	v_cmp_eq_u32_e32 vcc_lo, 0, v41
	s_delay_alu instid0(VALU_DEP_2) | instskip(SKIP_3) | instid1(VALU_DEP_1)
	v_lshlrev_b32_e32 v7, 2, v5
	v_lshlrev_b32_e32 v5, 2, v40
	s_waitcnt lgkmcnt(0)
	v_max_f32_e32 v3, v3, v3
	v_max_f32_e32 v1, v1, v3
	ds_bpermute_b32 v3, v7, v1
	s_and_saveexec_b32 s0, vcc_lo
	s_cbranch_execz .LBB24_15
; %bb.14:
	s_waitcnt lgkmcnt(0)
	v_max_f32_e32 v3, v3, v3
	v_max_f32_e32 v1, v1, v1
	s_delay_alu instid0(VALU_DEP_1)
	v_max_f32_e32 v1, v1, v3
	ds_store_b32 v5, v1 offset:512
.LBB24_15:
	s_or_b32 exec_lo, exec_lo, s0
	v_cmp_gt_u32_e64 s0, 4, v41
	v_dual_mov_b32 v1, 0xff7fffff :: v_dual_lshlrev_b32 v6, 2, v41
	s_waitcnt lgkmcnt(0)
	s_barrier
	buffer_gl0_inv
	s_and_saveexec_b32 s1, s0
	s_cbranch_execz .LBB24_17
; %bb.16:
	ds_load_b32 v1, v6 offset:512
.LBB24_17:
	s_or_b32 exec_lo, exec_lo, s1
	v_xor_b32_e32 v3, 2, v36
	v_xor_b32_e32 v9, 1, v36
	v_mov_b32_e32 v10, 0
	s_delay_alu instid0(VALU_DEP_3) | instskip(NEXT) | instid1(VALU_DEP_1)
	v_cmp_lt_i32_e64 s1, v3, v39
	v_cndmask_b32_e64 v3, v36, v3, s1
	s_delay_alu instid0(VALU_DEP_4) | instskip(NEXT) | instid1(VALU_DEP_2)
	v_cmp_lt_i32_e64 s1, v9, v39
	v_lshlrev_b32_e32 v8, 2, v3
	s_delay_alu instid0(VALU_DEP_2) | instskip(SKIP_1) | instid1(SALU_CYCLE_1)
	v_cndmask_b32_e64 v9, v36, v9, s1
	s_sub_i32 s1, s17, s7
	s_lshl_b32 s1, s1, 3
	s_waitcnt lgkmcnt(0)
	ds_bpermute_b32 v3, v8, v1
	v_max_f32_e32 v1, v1, v1
	v_lshlrev_b32_e32 v42, 2, v9
	v_lshlrev_b32_e32 v9, 2, v36
	s_add_i32 s1, s1, s33
	s_delay_alu instid0(SALU_CYCLE_1) | instskip(NEXT) | instid1(VALU_DEP_1)
	s_min_i32 s1, s1, s15
	v_and_b32_e32 v9, 0xffffff80, v9
	s_sub_i32 s6, s1, s33
	s_delay_alu instid0(SALU_CYCLE_1) | instskip(SKIP_2) | instid1(VALU_DEP_1)
	v_cmp_gt_i32_e64 s1, s6, v0
	s_waitcnt lgkmcnt(0)
	v_max_f32_e32 v3, v3, v3
	v_max_f32_e32 v1, v1, v3
	ds_bpermute_b32 v3, v42, v1
	s_waitcnt lgkmcnt(0)
	v_max_f32_e32 v3, v3, v3
	s_delay_alu instid0(VALU_DEP_1)
	v_max_f32_e32 v1, v1, v3
	v_lshl_add_u32 v3, v0, 2, 0x220
	ds_bpermute_b32 v1, v9, v1
	s_and_saveexec_b32 s7, s1
	s_cbranch_execz .LBB24_21
; %bb.18:
	v_lshl_add_u32 v11, v0, 2, 0x220
	v_mov_b32_e32 v10, 0
	v_mov_b32_e32 v12, v0
	s_mov_b32 s29, 0
	.p2align	6
.LBB24_19:                              ; =>This Inner Loop Header: Depth=1
	ds_load_b32 v13, v11
	v_add_nc_u32_e32 v12, 0x80, v12
	s_delay_alu instid0(VALU_DEP_1) | instskip(NEXT) | instid1(VALU_DEP_1)
	v_cmp_le_i32_e64 s3, s6, v12
	s_or_b32 s29, s3, s29
	s_waitcnt lgkmcnt(0)
	v_sub_f32_e32 v13, v13, v1
	s_delay_alu instid0(VALU_DEP_1) | instskip(NEXT) | instid1(VALU_DEP_1)
	v_mul_f32_e32 v13, 0x3fb8aa3b, v13
	v_exp_f32_e32 v13, v13
	ds_store_b32 v11, v13
	v_dual_add_f32 v10, v10, v13 :: v_dual_add_nc_u32 v11, 0x200, v11
	s_and_not1_b32 exec_lo, exec_lo, s29
	s_cbranch_execnz .LBB24_19
; %bb.20:
	s_or_b32 exec_lo, exec_lo, s29
.LBB24_21:
	s_delay_alu instid0(SALU_CYCLE_1)
	s_or_b32 exec_lo, exec_lo, s7
	ds_bpermute_b32 v2, v2, v10
	s_waitcnt lgkmcnt(0)
	v_add_f32_e32 v2, v10, v2
	ds_bpermute_b32 v4, v4, v2
	s_waitcnt lgkmcnt(0)
	v_add_f32_e32 v2, v2, v4
	;; [unrolled: 3-line block ×5, first 2 shown]
	s_and_saveexec_b32 s3, vcc_lo
	s_cbranch_execz .LBB24_23
; %bb.22:
	ds_store_b32 v5, v2 offset:528
.LBB24_23:
	s_or_b32 exec_lo, exec_lo, s3
	s_waitcnt lgkmcnt(0)
	s_barrier
	buffer_gl0_inv
	s_and_saveexec_b32 s3, s0
	s_cbranch_execz .LBB24_25
; %bb.24:
	ds_load_b32 v2, v6 offset:528
.LBB24_25:
	s_or_b32 exec_lo, exec_lo, s3
	s_waitcnt lgkmcnt(0)
	ds_bpermute_b32 v4, v8, v2
	s_waitcnt lgkmcnt(0)
	v_add_f32_e32 v2, v2, v4
	ds_bpermute_b32 v4, v42, v2
	s_waitcnt lgkmcnt(0)
	v_add_f32_e32 v2, v2, v4
	ds_bpermute_b32 v2, v9, v2
	s_and_saveexec_b32 s0, s1
	s_cbranch_execz .LBB24_28
; %bb.26:
	s_waitcnt lgkmcnt(0)
	v_add_f32_e32 v4, 0x358637bd, v2
	s_mov_b32 s1, 0
	s_delay_alu instid0(VALU_DEP_1) | instskip(SKIP_1) | instid1(VALU_DEP_2)
	v_div_scale_f32 v5, null, v4, v4, 1.0
	v_div_scale_f32 v8, vcc_lo, 1.0, v4, 1.0
	v_rcp_f32_e32 v6, v5
	s_waitcnt_depctr 0xfff
	v_fma_f32 v7, -v5, v6, 1.0
	s_delay_alu instid0(VALU_DEP_1) | instskip(NEXT) | instid1(VALU_DEP_1)
	v_fmac_f32_e32 v6, v7, v6
	v_mul_f32_e32 v7, v8, v6
	s_delay_alu instid0(VALU_DEP_1) | instskip(NEXT) | instid1(VALU_DEP_1)
	v_fma_f32 v9, -v5, v7, v8
	v_fmac_f32_e32 v7, v9, v6
	s_delay_alu instid0(VALU_DEP_1) | instskip(NEXT) | instid1(VALU_DEP_1)
	v_fma_f32 v5, -v5, v7, v8
	v_div_fmas_f32 v5, v5, v6, v7
	s_delay_alu instid0(VALU_DEP_1)
	v_div_fixup_f32 v4, v5, v4, 1.0
	v_mov_b32_e32 v5, v0
.LBB24_27:                              ; =>This Inner Loop Header: Depth=1
	ds_load_b32 v6, v3
	s_waitcnt lgkmcnt(0)
	v_dual_mul_f32 v6, v4, v6 :: v_dual_add_nc_u32 v5, 0x80, v5
	s_delay_alu instid0(VALU_DEP_1) | instskip(SKIP_3) | instid1(SALU_CYCLE_1)
	v_cmp_le_i32_e32 vcc_lo, s6, v5
	ds_store_b32 v3, v6
	v_add_nc_u32_e32 v3, 0x200, v3
	s_or_b32 s1, vcc_lo, s1
	s_and_not1_b32 exec_lo, exec_lo, s1
	s_cbranch_execnz .LBB24_27
.LBB24_28:
	s_or_b32 exec_lo, exec_lo, s0
	s_mul_i32 s0, s4, s14
	s_waitcnt lgkmcnt(0)
	s_mul_i32 s6, s0, s13
	s_mov_b32 s0, exec_lo
	s_barrier
	buffer_gl0_inv
	v_cmpx_eq_u32_e32 0, v0
	s_cbranch_execz .LBB24_30
; %bb.29:
	s_ashr_i32 s7, s6, 31
	s_mul_i32 s34, s4, s20
	s_lshl_b64 s[30:31], s[6:7], 2
	v_mov_b32_e32 v3, 0
	s_add_u32 s1, s10, s30
	s_addc_u32 s3, s11, s31
	s_ashr_i32 s35, s34, 31
	s_delay_alu instid0(SALU_CYCLE_1) | instskip(NEXT) | instid1(SALU_CYCLE_1)
	s_lshl_b64 s[10:11], s[34:35], 2
	s_add_u32 s1, s1, s10
	s_addc_u32 s3, s3, s11
	s_ashr_i32 s13, s12, 31
	s_delay_alu instid0(SALU_CYCLE_1) | instskip(NEXT) | instid1(SALU_CYCLE_1)
	s_lshl_b64 s[34:35], s[12:13], 2
	s_add_u32 s36, s1, s34
	s_addc_u32 s37, s3, s35
	s_add_u32 s1, s8, s30
	s_addc_u32 s3, s9, s31
	;; [unrolled: 2-line block ×4, first 2 shown]
	s_clause 0x1
	global_store_b32 v3, v1, s[36:37]
	global_store_b32 v3, v2, s[8:9]
.LBB24_30:
	s_or_b32 exec_lo, exec_lo, s0
	v_dual_mov_b32 v44, 0 :: v_dual_and_b32 v43, 1, v0
	v_dual_mov_b32 v45, 0 :: v_dual_mov_b32 v48, 0
	v_dual_mov_b32 v47, 0 :: v_dual_mov_b32 v50, 0
	;; [unrolled: 1-line block ×3, first 2 shown]
	v_mov_b32_e32 v51, 0
	s_mov_b32 s3, 0
	s_and_saveexec_b32 s1, s2
	s_cbranch_execz .LBB24_50
; %bb.31:
	v_dual_mov_b32 v46, 0 :: v_dual_lshlrev_b32 v1, 4, v0
	s_ashr_i32 s29, s28, 31
	v_dual_mov_b32 v51, 0 :: v_dual_and_b32 v2, 4, v35
	s_delay_alu instid0(VALU_DEP_2) | instskip(SKIP_4) | instid1(VALU_DEP_2)
	v_dual_mov_b32 v48, 0 :: v_dual_and_b32 v1, 0x1f0, v1
	v_lshl_add_u32 v4, v40, 3, s33
	s_lshl_b64 s[8:9], s[28:29], 2
	v_dual_mov_b32 v50, 0 :: v_dual_lshlrev_b32 v3, 4, v43
	s_add_u32 s0, s26, s8
	v_add3_u32 v54, v4, v2, 3
	v_add_co_u32 v52, s0, s0, v1
	v_lshlrev_b64 v[1:2], 2, v[37:38]
	s_addc_u32 s2, s27, s9
	s_lshl_b64 s[8:9], s[24:25], 2
	s_add_i32 s21, s21, -1
	v_lshl_or_b32 v3, v40, 5, v3
	v_add_co_ci_u32_e64 v53, null, s2, 0, s0
	s_add_u32 s0, s22, s8
	s_addc_u32 s2, s23, s9
	v_add_co_u32 v38, vcc_lo, s0, v1
	v_dual_mov_b32 v44, 0 :: v_dual_add_nc_u32 v55, 0x220, v3
	v_add_co_ci_u32_e32 v39, vcc_lo, s2, v2, vcc_lo
	v_mov_b32_e32 v49, 0
	v_mov_b32_e32 v47, 0
	;; [unrolled: 1-line block ×3, first 2 shown]
	s_mov_b32 s2, s5
	s_branch .LBB24_33
.LBB24_32:                              ;   in Loop: Header=BB24_33 Depth=1
	s_or_b32 exec_lo, exec_lo, s0
	s_waitcnt vmcnt(7) lgkmcnt(0)
	v_mul_f32_e32 v6, v2, v6
	s_waitcnt vmcnt(6)
	v_mul_f32_e32 v10, v2, v10
	v_add_co_u32 v38, s0, v38, 16
	s_delay_alu instid0(VALU_DEP_3) | instskip(SKIP_1) | instid1(VALU_DEP_3)
	v_dual_fmac_f32 v6, v1, v5 :: v_dual_add_nc_u32 v55, 0x80, v55
	s_waitcnt vmcnt(4)
	v_dual_mul_f32 v5, v2, v18 :: v_dual_fmac_f32 v10, v1, v9
	s_waitcnt vmcnt(3)
	v_mul_f32_e32 v9, v2, v22
	v_add_co_ci_u32_e64 v39, s0, 0, v39, s0
	s_waitcnt vmcnt(2)
	v_dual_fmac_f32 v6, v3, v7 :: v_dual_mul_f32 v7, v2, v26
	v_mul_f32_e32 v14, v2, v14
	s_waitcnt vmcnt(1)
	v_dual_fmac_f32 v10, v3, v11 :: v_dual_mul_f32 v11, v2, v30
	v_fmac_f32_e32 v5, v1, v17
	v_fmac_f32_e32 v7, v1, v25
	;; [unrolled: 1-line block ×3, first 2 shown]
	s_waitcnt vmcnt(0)
	v_dual_mul_f32 v2, v2, v34 :: v_dual_fmac_f32 v11, v1, v29
	v_dual_fmac_f32 v10, v4, v12 :: v_dual_fmac_f32 v5, v3, v19
	s_delay_alu instid0(VALU_DEP_2) | instskip(SKIP_1) | instid1(VALU_DEP_3)
	v_dual_fmac_f32 v7, v3, v27 :: v_dual_fmac_f32 v2, v1, v33
	v_fmac_f32_e32 v14, v3, v15
	v_dual_fmac_f32 v6, v4, v8 :: v_dual_add_f32 v51, v51, v10
	v_fmac_f32_e32 v9, v1, v21
	v_fmac_f32_e32 v5, v4, v20
	v_dual_fmac_f32 v7, v4, v28 :: v_dual_fmac_f32 v2, v3, v35
	s_delay_alu instid0(VALU_DEP_3) | instskip(SKIP_1) | instid1(VALU_DEP_3)
	v_dual_fmac_f32 v14, v4, v16 :: v_dual_fmac_f32 v9, v3, v23
	v_dual_add_f32 v46, v46, v6 :: v_dual_fmac_f32 v11, v3, v31
	v_dual_add_f32 v49, v49, v5 :: v_dual_fmac_f32 v2, v4, v36
	s_delay_alu instid0(VALU_DEP_4) | instskip(NEXT) | instid1(VALU_DEP_4)
	v_add_f32_e32 v47, v47, v7
	v_dual_add_f32 v50, v50, v14 :: v_dual_add_nc_u32 v37, 4, v37
	v_fmac_f32_e32 v9, v4, v24
	v_dual_fmac_f32 v11, v4, v32 :: v_dual_add_nc_u32 v54, 32, v54
	v_add_f32_e32 v44, v44, v2
	s_delay_alu instid0(VALU_DEP_4) | instskip(NEXT) | instid1(VALU_DEP_3)
	v_cmp_le_i32_e32 vcc_lo, s17, v37
	v_dual_add_f32 v48, v48, v9 :: v_dual_add_f32 v45, v45, v11
	s_or_b32 s3, vcc_lo, s3
	s_delay_alu instid0(SALU_CYCLE_1)
	s_and_not1_b32 exec_lo, exec_lo, s3
	s_cbranch_execz .LBB24_49
.LBB24_33:                              ; =>This Inner Loop Header: Depth=1
	global_load_b32 v3, v[38:39], off
	v_add_nc_u32_e32 v56, -3, v54
	v_add_nc_u32_e32 v58, -2, v54
	;; [unrolled: 1-line block ×3, first 2 shown]
	s_waitcnt vmcnt(0)
	v_mad_i64_i32 v[1:2], null, v3, s2, 0
	s_delay_alu instid0(VALU_DEP_1) | instskip(NEXT) | instid1(VALU_DEP_1)
	v_lshlrev_b64 v[1:2], 2, v[1:2]
	v_add_co_u32 v33, vcc_lo, v52, v1
	s_delay_alu instid0(VALU_DEP_2)
	v_add_co_ci_u32_e32 v34, vcc_lo, v53, v2, vcc_lo
	ds_load_b128 v[1:4], v55
	v_cmp_eq_u32_e32 vcc_lo, s21, v37
	global_load_b128 v[5:8], v[33:34], off
	s_and_saveexec_b32 s5, vcc_lo
	s_cbranch_execnz .LBB24_41
; %bb.34:                               ;   in Loop: Header=BB24_33 Depth=1
	s_or_b32 exec_lo, exec_lo, s5
	global_load_b128 v[9:12], v[33:34], off offset:512
	s_and_saveexec_b32 s5, vcc_lo
	s_cbranch_execnz .LBB24_42
.LBB24_35:                              ;   in Loop: Header=BB24_33 Depth=1
	s_or_b32 exec_lo, exec_lo, s5
	global_load_b128 v[13:16], v[33:34], off offset:1024
	s_and_saveexec_b32 s5, vcc_lo
	s_cbranch_execnz .LBB24_43
.LBB24_36:                              ;   in Loop: Header=BB24_33 Depth=1
	s_or_b32 exec_lo, exec_lo, s5
	global_load_b128 v[17:20], v[33:34], off offset:1536
	s_and_saveexec_b32 s5, vcc_lo
	s_cbranch_execnz .LBB24_44
.LBB24_37:                              ;   in Loop: Header=BB24_33 Depth=1
	s_or_b32 exec_lo, exec_lo, s5
	global_load_b128 v[21:24], v[33:34], off offset:2048
	s_and_saveexec_b32 s5, vcc_lo
	s_cbranch_execnz .LBB24_45
.LBB24_38:                              ;   in Loop: Header=BB24_33 Depth=1
	s_or_b32 exec_lo, exec_lo, s5
	global_load_b128 v[25:28], v[33:34], off offset:2560
	s_and_saveexec_b32 s5, vcc_lo
	s_cbranch_execnz .LBB24_46
.LBB24_39:                              ;   in Loop: Header=BB24_33 Depth=1
	s_or_b32 exec_lo, exec_lo, s5
	global_load_b128 v[29:32], v[33:34], off offset:3072
	s_and_saveexec_b32 s5, vcc_lo
	s_cbranch_execnz .LBB24_47
.LBB24_40:                              ;   in Loop: Header=BB24_33 Depth=1
	s_or_b32 exec_lo, exec_lo, s5
	global_load_b128 v[33:36], v[33:34], off offset:3584
	s_and_saveexec_b32 s0, vcc_lo
	s_cbranch_execz .LBB24_32
	s_branch .LBB24_48
.LBB24_41:                              ;   in Loop: Header=BB24_33 Depth=1
	v_cmp_gt_i32_e64 s0, s15, v56
	s_waitcnt vmcnt(0)
	s_delay_alu instid0(VALU_DEP_1) | instskip(SKIP_1) | instid1(VALU_DEP_1)
	v_cndmask_b32_e64 v5, 0, v5, s0
	v_cmp_gt_i32_e64 s0, s15, v58
	v_cndmask_b32_e64 v6, 0, v6, s0
	v_cmp_gt_i32_e64 s0, s15, v57
	s_delay_alu instid0(VALU_DEP_1) | instskip(SKIP_1) | instid1(VALU_DEP_1)
	v_cndmask_b32_e64 v7, 0, v7, s0
	v_cmp_gt_i32_e64 s0, s15, v54
	v_cndmask_b32_e64 v8, 0, v8, s0
	s_or_b32 exec_lo, exec_lo, s5
	global_load_b128 v[9:12], v[33:34], off offset:512
	s_and_saveexec_b32 s5, vcc_lo
	s_cbranch_execz .LBB24_35
.LBB24_42:                              ;   in Loop: Header=BB24_33 Depth=1
	v_cmp_gt_i32_e64 s0, s15, v56
	s_waitcnt vmcnt(0)
	s_delay_alu instid0(VALU_DEP_1) | instskip(SKIP_1) | instid1(VALU_DEP_1)
	v_cndmask_b32_e64 v9, 0, v9, s0
	v_cmp_gt_i32_e64 s0, s15, v58
	v_cndmask_b32_e64 v10, 0, v10, s0
	v_cmp_gt_i32_e64 s0, s15, v57
	s_delay_alu instid0(VALU_DEP_1) | instskip(SKIP_1) | instid1(VALU_DEP_1)
	v_cndmask_b32_e64 v11, 0, v11, s0
	v_cmp_gt_i32_e64 s0, s15, v54
	v_cndmask_b32_e64 v12, 0, v12, s0
	s_or_b32 exec_lo, exec_lo, s5
	global_load_b128 v[13:16], v[33:34], off offset:1024
	s_and_saveexec_b32 s5, vcc_lo
	s_cbranch_execz .LBB24_36
.LBB24_43:                              ;   in Loop: Header=BB24_33 Depth=1
	v_cmp_gt_i32_e64 s0, s15, v56
	s_waitcnt vmcnt(0)
	s_delay_alu instid0(VALU_DEP_1) | instskip(SKIP_1) | instid1(VALU_DEP_1)
	v_cndmask_b32_e64 v13, 0, v13, s0
	v_cmp_gt_i32_e64 s0, s15, v58
	v_cndmask_b32_e64 v14, 0, v14, s0
	v_cmp_gt_i32_e64 s0, s15, v57
	s_delay_alu instid0(VALU_DEP_1) | instskip(SKIP_1) | instid1(VALU_DEP_1)
	v_cndmask_b32_e64 v15, 0, v15, s0
	v_cmp_gt_i32_e64 s0, s15, v54
	v_cndmask_b32_e64 v16, 0, v16, s0
	s_or_b32 exec_lo, exec_lo, s5
	global_load_b128 v[17:20], v[33:34], off offset:1536
	s_and_saveexec_b32 s5, vcc_lo
	s_cbranch_execz .LBB24_37
.LBB24_44:                              ;   in Loop: Header=BB24_33 Depth=1
	v_cmp_gt_i32_e64 s0, s15, v56
	s_waitcnt vmcnt(0)
	s_delay_alu instid0(VALU_DEP_1) | instskip(SKIP_1) | instid1(VALU_DEP_1)
	v_cndmask_b32_e64 v17, 0, v17, s0
	v_cmp_gt_i32_e64 s0, s15, v58
	v_cndmask_b32_e64 v18, 0, v18, s0
	v_cmp_gt_i32_e64 s0, s15, v57
	s_delay_alu instid0(VALU_DEP_1) | instskip(SKIP_1) | instid1(VALU_DEP_1)
	v_cndmask_b32_e64 v19, 0, v19, s0
	v_cmp_gt_i32_e64 s0, s15, v54
	v_cndmask_b32_e64 v20, 0, v20, s0
	s_or_b32 exec_lo, exec_lo, s5
	global_load_b128 v[21:24], v[33:34], off offset:2048
	s_and_saveexec_b32 s5, vcc_lo
	s_cbranch_execz .LBB24_38
.LBB24_45:                              ;   in Loop: Header=BB24_33 Depth=1
	v_cmp_gt_i32_e64 s0, s15, v56
	s_waitcnt vmcnt(0)
	s_delay_alu instid0(VALU_DEP_1) | instskip(SKIP_1) | instid1(VALU_DEP_1)
	v_cndmask_b32_e64 v21, 0, v21, s0
	v_cmp_gt_i32_e64 s0, s15, v58
	v_cndmask_b32_e64 v22, 0, v22, s0
	v_cmp_gt_i32_e64 s0, s15, v57
	s_delay_alu instid0(VALU_DEP_1) | instskip(SKIP_1) | instid1(VALU_DEP_1)
	v_cndmask_b32_e64 v23, 0, v23, s0
	v_cmp_gt_i32_e64 s0, s15, v54
	v_cndmask_b32_e64 v24, 0, v24, s0
	s_or_b32 exec_lo, exec_lo, s5
	global_load_b128 v[25:28], v[33:34], off offset:2560
	s_and_saveexec_b32 s5, vcc_lo
	s_cbranch_execz .LBB24_39
.LBB24_46:                              ;   in Loop: Header=BB24_33 Depth=1
	v_cmp_gt_i32_e64 s0, s15, v56
	s_waitcnt vmcnt(0)
	s_delay_alu instid0(VALU_DEP_1) | instskip(SKIP_1) | instid1(VALU_DEP_1)
	v_cndmask_b32_e64 v25, 0, v25, s0
	v_cmp_gt_i32_e64 s0, s15, v58
	v_cndmask_b32_e64 v26, 0, v26, s0
	v_cmp_gt_i32_e64 s0, s15, v57
	s_delay_alu instid0(VALU_DEP_1) | instskip(SKIP_1) | instid1(VALU_DEP_1)
	v_cndmask_b32_e64 v27, 0, v27, s0
	v_cmp_gt_i32_e64 s0, s15, v54
	v_cndmask_b32_e64 v28, 0, v28, s0
	s_or_b32 exec_lo, exec_lo, s5
	global_load_b128 v[29:32], v[33:34], off offset:3072
	s_and_saveexec_b32 s5, vcc_lo
	s_cbranch_execz .LBB24_40
.LBB24_47:                              ;   in Loop: Header=BB24_33 Depth=1
	v_cmp_gt_i32_e64 s0, s15, v56
	s_waitcnt vmcnt(0)
	s_delay_alu instid0(VALU_DEP_1) | instskip(SKIP_1) | instid1(VALU_DEP_1)
	v_cndmask_b32_e64 v29, 0, v29, s0
	v_cmp_gt_i32_e64 s0, s15, v58
	v_cndmask_b32_e64 v30, 0, v30, s0
	v_cmp_gt_i32_e64 s0, s15, v57
	s_delay_alu instid0(VALU_DEP_1) | instskip(SKIP_1) | instid1(VALU_DEP_1)
	v_cndmask_b32_e64 v31, 0, v31, s0
	v_cmp_gt_i32_e64 s0, s15, v54
	v_cndmask_b32_e64 v32, 0, v32, s0
	s_or_b32 exec_lo, exec_lo, s5
	global_load_b128 v[33:36], v[33:34], off offset:3584
	s_and_saveexec_b32 s0, vcc_lo
	s_cbranch_execz .LBB24_32
.LBB24_48:                              ;   in Loop: Header=BB24_33 Depth=1
	v_cmp_gt_i32_e32 vcc_lo, s15, v56
	s_waitcnt vmcnt(0)
	v_cndmask_b32_e32 v33, 0, v33, vcc_lo
	v_cmp_gt_i32_e32 vcc_lo, s15, v58
	v_cndmask_b32_e32 v34, 0, v34, vcc_lo
	v_cmp_gt_i32_e32 vcc_lo, s15, v57
	v_cndmask_b32_e32 v35, 0, v35, vcc_lo
	v_cmp_gt_i32_e32 vcc_lo, s15, v54
	v_cndmask_b32_e32 v36, 0, v36, vcc_lo
	s_branch .LBB24_32
.LBB24_49:
	s_or_b32 exec_lo, exec_lo, s3
.LBB24_50:
	s_delay_alu instid0(SALU_CYCLE_1)
	s_or_b32 exec_lo, exec_lo, s1
	ds_bpermute_b32 v1, v42, v46
	ds_bpermute_b32 v2, v42, v51
	;; [unrolled: 1-line block ×8, first 2 shown]
	v_lshrrev_b32_e32 v9, 1, v41
	v_lshl_add_u32 v10, v40, 9, 0x220
	v_and_b32_e32 v15, 0x3c1, v0
	s_mov_b32 s0, exec_lo
	s_waitcnt lgkmcnt(0)
	s_waitcnt_vscnt null, 0x0
	s_barrier
	buffer_gl0_inv
	v_dual_add_f32 v8, v46, v1 :: v_dual_add_f32 v7, v51, v2
	v_dual_add_f32 v6, v50, v3 :: v_dual_add_f32 v5, v49, v4
	;; [unrolled: 1-line block ×4, first 2 shown]
	v_cmpx_eq_u32_e32 64, v15
	s_cbranch_execz .LBB24_52
; %bb.51:
	v_lshlrev_b32_e32 v11, 2, v9
	s_delay_alu instid0(VALU_DEP_1)
	v_add3_u32 v11, v10, v11, 0xfffffc00
	ds_store_2addr_b32 v11, v8, v7 offset1:16
	ds_store_2addr_b32 v11, v6, v5 offset0:32 offset1:48
	ds_store_2addr_b32 v11, v4, v3 offset0:64 offset1:80
	;; [unrolled: 1-line block ×3, first 2 shown]
.LBB24_52:
	s_or_b32 exec_lo, exec_lo, s0
	v_cmp_eq_u32_e32 vcc_lo, 0, v43
	s_mov_b32 s1, exec_lo
	s_waitcnt lgkmcnt(0)
	s_barrier
	buffer_gl0_inv
	v_cmpx_gt_u32_e32 64, v0
	s_cbranch_execz .LBB24_63
; %bb.53:
	s_and_saveexec_b32 s0, vcc_lo
	s_cbranch_execnz .LBB24_79
; %bb.54:
	s_or_b32 exec_lo, exec_lo, s0
	s_and_saveexec_b32 s0, vcc_lo
	s_cbranch_execnz .LBB24_80
.LBB24_55:
	s_or_b32 exec_lo, exec_lo, s0
	s_and_saveexec_b32 s0, vcc_lo
	s_cbranch_execnz .LBB24_81
.LBB24_56:
	s_or_b32 exec_lo, exec_lo, s0
	s_and_saveexec_b32 s0, vcc_lo
	s_cbranch_execnz .LBB24_82
.LBB24_57:
	s_or_b32 exec_lo, exec_lo, s0
	s_and_saveexec_b32 s0, vcc_lo
	s_cbranch_execnz .LBB24_83
.LBB24_58:
	s_or_b32 exec_lo, exec_lo, s0
	s_and_saveexec_b32 s0, vcc_lo
	s_cbranch_execnz .LBB24_84
.LBB24_59:
	s_or_b32 exec_lo, exec_lo, s0
	s_and_saveexec_b32 s0, vcc_lo
	s_cbranch_execnz .LBB24_85
.LBB24_60:
	s_or_b32 exec_lo, exec_lo, s0
	s_and_saveexec_b32 s0, vcc_lo
	s_cbranch_execz .LBB24_62
.LBB24_61:
	v_lshl_add_u32 v11, v9, 2, v10
	ds_load_b32 v11, v11 offset:448
	s_waitcnt lgkmcnt(0)
	v_add_f32_e32 v1, v1, v11
.LBB24_62:
	s_or_b32 exec_lo, exec_lo, s0
.LBB24_63:
	s_delay_alu instid0(SALU_CYCLE_1)
	s_or_b32 exec_lo, exec_lo, s1
	v_and_b32_e32 v11, 0x3e1, v0
	s_mov_b32 s1, exec_lo
	s_barrier
	buffer_gl0_inv
	v_cmpx_eq_u32_e32 32, v11
	s_cbranch_execz .LBB24_65
; %bb.64:
	v_lshl_add_u32 v12, v9, 2, 0x220
	ds_store_2addr_b32 v12, v8, v7 offset1:16
	ds_store_2addr_b32 v12, v6, v5 offset0:32 offset1:48
	ds_store_2addr_b32 v12, v4, v3 offset0:64 offset1:80
	;; [unrolled: 1-line block ×3, first 2 shown]
.LBB24_65:
	s_or_b32 exec_lo, exec_lo, s1
	s_delay_alu instid0(SALU_CYCLE_1)
	s_mov_b32 s1, exec_lo
	s_waitcnt lgkmcnt(0)
	s_barrier
	buffer_gl0_inv
	v_cmpx_gt_u32_e32 32, v0
	s_cbranch_execz .LBB24_76
; %bb.66:
	v_lshl_add_u32 v9, v9, 2, v10
	s_and_saveexec_b32 s0, vcc_lo
	s_cbranch_execnz .LBB24_86
; %bb.67:
	s_or_b32 exec_lo, exec_lo, s0
	s_and_saveexec_b32 s0, vcc_lo
	s_cbranch_execnz .LBB24_87
.LBB24_68:
	s_or_b32 exec_lo, exec_lo, s0
	s_and_saveexec_b32 s0, vcc_lo
	s_cbranch_execnz .LBB24_88
.LBB24_69:
	s_or_b32 exec_lo, exec_lo, s0
	s_and_saveexec_b32 s0, vcc_lo
	s_cbranch_execnz .LBB24_89
.LBB24_70:
	s_or_b32 exec_lo, exec_lo, s0
	s_and_saveexec_b32 s0, vcc_lo
	s_cbranch_execnz .LBB24_90
.LBB24_71:
	s_or_b32 exec_lo, exec_lo, s0
	s_and_saveexec_b32 s0, vcc_lo
	s_cbranch_execnz .LBB24_91
.LBB24_72:
	s_or_b32 exec_lo, exec_lo, s0
	s_and_saveexec_b32 s0, vcc_lo
	s_cbranch_execnz .LBB24_92
.LBB24_73:
	s_or_b32 exec_lo, exec_lo, s0
	s_and_saveexec_b32 s0, vcc_lo
	s_cbranch_execz .LBB24_75
.LBB24_74:
	ds_load_b32 v9, v9 offset:448
	s_waitcnt lgkmcnt(0)
	v_add_f32_e32 v1, v1, v9
.LBB24_75:
	s_or_b32 exec_lo, exec_lo, s0
.LBB24_76:
	s_delay_alu instid0(SALU_CYCLE_1)
	s_or_b32 exec_lo, exec_lo, s1
	s_barrier
	buffer_gl0_inv
	s_mov_b32 s0, exec_lo
	v_cmpx_eq_u32_e32 0, v11
	s_cbranch_execz .LBB24_78
; %bb.77:
	s_lshl_b32 s0, s6, 7
	s_mul_i32 s2, s4, s16
	s_ashr_i32 s1, s0, 31
	v_lshlrev_b32_e32 v0, 1, v0
	s_lshl_b64 s[0:1], s[0:1], 2
	s_delay_alu instid0(SALU_CYCLE_1) | instskip(SKIP_2) | instid1(SALU_CYCLE_1)
	s_add_u32 s4, s18, s0
	s_addc_u32 s5, s19, s1
	s_ashr_i32 s3, s2, 31
	s_lshl_b64 s[0:1], s[2:3], 2
	s_delay_alu instid0(SALU_CYCLE_1) | instskip(SKIP_2) | instid1(SALU_CYCLE_1)
	s_add_u32 s2, s4, s0
	s_addc_u32 s3, s5, s1
	s_lshl_b32 s0, s12, 7
	s_ashr_i32 s1, s0, 31
	s_delay_alu instid0(SALU_CYCLE_1) | instskip(NEXT) | instid1(SALU_CYCLE_1)
	s_lshl_b64 s[0:1], s[0:1], 2
	s_add_u32 s0, s2, s0
	s_addc_u32 s1, s3, s1
	s_clause 0x7
	global_store_b32 v0, v8, s[0:1]
	global_store_b32 v0, v7, s[0:1] offset:64
	global_store_b32 v0, v6, s[0:1] offset:128
	global_store_b32 v0, v5, s[0:1] offset:192
	global_store_b32 v0, v4, s[0:1] offset:256
	global_store_b32 v0, v3, s[0:1] offset:320
	global_store_b32 v0, v2, s[0:1] offset:384
	global_store_b32 v0, v1, s[0:1] offset:448
.LBB24_78:
	s_nop 0
	s_sendmsg sendmsg(MSG_DEALLOC_VGPRS)
	s_endpgm
.LBB24_79:
	v_lshl_add_u32 v11, v9, 2, v10
	ds_load_b32 v11, v11
	s_waitcnt lgkmcnt(0)
	v_add_f32_e32 v8, v8, v11
	s_or_b32 exec_lo, exec_lo, s0
	s_and_saveexec_b32 s0, vcc_lo
	s_cbranch_execz .LBB24_55
.LBB24_80:
	v_lshl_add_u32 v11, v9, 2, v10
	ds_load_b32 v11, v11 offset:64
	s_waitcnt lgkmcnt(0)
	v_add_f32_e32 v7, v7, v11
	s_or_b32 exec_lo, exec_lo, s0
	s_and_saveexec_b32 s0, vcc_lo
	s_cbranch_execz .LBB24_56
.LBB24_81:
	v_lshl_add_u32 v11, v9, 2, v10
	ds_load_b32 v11, v11 offset:128
	s_waitcnt lgkmcnt(0)
	v_add_f32_e32 v6, v6, v11
	s_or_b32 exec_lo, exec_lo, s0
	s_and_saveexec_b32 s0, vcc_lo
	s_cbranch_execz .LBB24_57
.LBB24_82:
	v_lshl_add_u32 v11, v9, 2, v10
	ds_load_b32 v11, v11 offset:192
	s_waitcnt lgkmcnt(0)
	v_add_f32_e32 v5, v5, v11
	s_or_b32 exec_lo, exec_lo, s0
	s_and_saveexec_b32 s0, vcc_lo
	s_cbranch_execz .LBB24_58
.LBB24_83:
	v_lshl_add_u32 v11, v9, 2, v10
	ds_load_b32 v11, v11 offset:256
	s_waitcnt lgkmcnt(0)
	v_add_f32_e32 v4, v4, v11
	s_or_b32 exec_lo, exec_lo, s0
	s_and_saveexec_b32 s0, vcc_lo
	s_cbranch_execz .LBB24_59
.LBB24_84:
	v_lshl_add_u32 v11, v9, 2, v10
	ds_load_b32 v11, v11 offset:320
	s_waitcnt lgkmcnt(0)
	v_add_f32_e32 v3, v3, v11
	s_or_b32 exec_lo, exec_lo, s0
	s_and_saveexec_b32 s0, vcc_lo
	s_cbranch_execz .LBB24_60
.LBB24_85:
	v_lshl_add_u32 v11, v9, 2, v10
	ds_load_b32 v11, v11 offset:384
	s_waitcnt lgkmcnt(0)
	v_add_f32_e32 v2, v2, v11
	s_or_b32 exec_lo, exec_lo, s0
	s_and_saveexec_b32 s0, vcc_lo
	s_cbranch_execnz .LBB24_61
	s_branch .LBB24_62
.LBB24_86:
	ds_load_b32 v10, v9
	s_waitcnt lgkmcnt(0)
	v_add_f32_e32 v8, v8, v10
	s_or_b32 exec_lo, exec_lo, s0
	s_and_saveexec_b32 s0, vcc_lo
	s_cbranch_execz .LBB24_68
.LBB24_87:
	ds_load_b32 v10, v9 offset:64
	s_waitcnt lgkmcnt(0)
	v_add_f32_e32 v7, v7, v10
	s_or_b32 exec_lo, exec_lo, s0
	s_and_saveexec_b32 s0, vcc_lo
	s_cbranch_execz .LBB24_69
.LBB24_88:
	ds_load_b32 v10, v9 offset:128
	s_waitcnt lgkmcnt(0)
	v_add_f32_e32 v6, v6, v10
	s_or_b32 exec_lo, exec_lo, s0
	s_and_saveexec_b32 s0, vcc_lo
	s_cbranch_execz .LBB24_70
.LBB24_89:
	ds_load_b32 v10, v9 offset:192
	s_waitcnt lgkmcnt(0)
	v_add_f32_e32 v5, v5, v10
	s_or_b32 exec_lo, exec_lo, s0
	s_and_saveexec_b32 s0, vcc_lo
	s_cbranch_execz .LBB24_71
.LBB24_90:
	ds_load_b32 v10, v9 offset:256
	s_waitcnt lgkmcnt(0)
	v_add_f32_e32 v4, v4, v10
	s_or_b32 exec_lo, exec_lo, s0
	s_and_saveexec_b32 s0, vcc_lo
	s_cbranch_execz .LBB24_72
.LBB24_91:
	ds_load_b32 v10, v9 offset:320
	s_waitcnt lgkmcnt(0)
	v_add_f32_e32 v3, v3, v10
	s_or_b32 exec_lo, exec_lo, s0
	s_and_saveexec_b32 s0, vcc_lo
	s_cbranch_execz .LBB24_73
.LBB24_92:
	ds_load_b32 v10, v9 offset:384
	s_waitcnt lgkmcnt(0)
	v_add_f32_e32 v2, v2, v10
	s_or_b32 exec_lo, exec_lo, s0
	s_and_saveexec_b32 s0, vcc_lo
	s_cbranch_execnz .LBB24_74
	s_branch .LBB24_75
	.section	.rodata,"a",@progbits
	.p2align	6, 0x0
	.amdhsa_kernel _ZN4vllm25paged_attention_v2_kernelIffLi128ELi8ELi128ELNS_18Fp8KVCacheDataTypeE0ELb0ELi512EEEvPfS2_PT_PKS3_PKT0_S9_ifPKiSB_iPKfiiiSD_SD_iiiii
		.amdhsa_group_segment_fixed_size 544
		.amdhsa_private_segment_fixed_size 0
		.amdhsa_kernarg_size 400
		.amdhsa_user_sgpr_count 13
		.amdhsa_user_sgpr_dispatch_ptr 0
		.amdhsa_user_sgpr_queue_ptr 0
		.amdhsa_user_sgpr_kernarg_segment_ptr 1
		.amdhsa_user_sgpr_dispatch_id 0
		.amdhsa_user_sgpr_private_segment_size 0
		.amdhsa_wavefront_size32 1
		.amdhsa_uses_dynamic_stack 0
		.amdhsa_enable_private_segment 0
		.amdhsa_system_sgpr_workgroup_id_x 1
		.amdhsa_system_sgpr_workgroup_id_y 1
		.amdhsa_system_sgpr_workgroup_id_z 1
		.amdhsa_system_sgpr_workgroup_info 0
		.amdhsa_system_vgpr_workitem_id 0
		.amdhsa_next_free_vgpr 82
		.amdhsa_next_free_sgpr 38
		.amdhsa_reserve_vcc 1
		.amdhsa_float_round_mode_32 0
		.amdhsa_float_round_mode_16_64 0
		.amdhsa_float_denorm_mode_32 3
		.amdhsa_float_denorm_mode_16_64 3
		.amdhsa_dx10_clamp 1
		.amdhsa_ieee_mode 1
		.amdhsa_fp16_overflow 0
		.amdhsa_workgroup_processor_mode 1
		.amdhsa_memory_ordered 1
		.amdhsa_forward_progress 0
		.amdhsa_shared_vgpr_count 0
		.amdhsa_exception_fp_ieee_invalid_op 0
		.amdhsa_exception_fp_denorm_src 0
		.amdhsa_exception_fp_ieee_div_zero 0
		.amdhsa_exception_fp_ieee_overflow 0
		.amdhsa_exception_fp_ieee_underflow 0
		.amdhsa_exception_fp_ieee_inexact 0
		.amdhsa_exception_int_div_zero 0
	.end_amdhsa_kernel
	.section	.text._ZN4vllm25paged_attention_v2_kernelIffLi128ELi8ELi128ELNS_18Fp8KVCacheDataTypeE0ELb0ELi512EEEvPfS2_PT_PKS3_PKT0_S9_ifPKiSB_iPKfiiiSD_SD_iiiii,"axG",@progbits,_ZN4vllm25paged_attention_v2_kernelIffLi128ELi8ELi128ELNS_18Fp8KVCacheDataTypeE0ELb0ELi512EEEvPfS2_PT_PKS3_PKT0_S9_ifPKiSB_iPKfiiiSD_SD_iiiii,comdat
.Lfunc_end24:
	.size	_ZN4vllm25paged_attention_v2_kernelIffLi128ELi8ELi128ELNS_18Fp8KVCacheDataTypeE0ELb0ELi512EEEvPfS2_PT_PKS3_PKT0_S9_ifPKiSB_iPKfiiiSD_SD_iiiii, .Lfunc_end24-_ZN4vllm25paged_attention_v2_kernelIffLi128ELi8ELi128ELNS_18Fp8KVCacheDataTypeE0ELb0ELi512EEEvPfS2_PT_PKS3_PKT0_S9_ifPKiSB_iPKfiiiSD_SD_iiiii
                                        ; -- End function
	.section	.AMDGPU.csdata,"",@progbits
; Kernel info:
; codeLenInByte = 5588
; NumSgprs: 40
; NumVgprs: 82
; ScratchSize: 0
; MemoryBound: 0
; FloatMode: 240
; IeeeMode: 1
; LDSByteSize: 544 bytes/workgroup (compile time only)
; SGPRBlocks: 4
; VGPRBlocks: 10
; NumSGPRsForWavesPerEU: 40
; NumVGPRsForWavesPerEU: 82
; Occupancy: 16
; WaveLimiterHint : 1
; COMPUTE_PGM_RSRC2:SCRATCH_EN: 0
; COMPUTE_PGM_RSRC2:USER_SGPR: 13
; COMPUTE_PGM_RSRC2:TRAP_HANDLER: 0
; COMPUTE_PGM_RSRC2:TGID_X_EN: 1
; COMPUTE_PGM_RSRC2:TGID_Y_EN: 1
; COMPUTE_PGM_RSRC2:TGID_Z_EN: 1
; COMPUTE_PGM_RSRC2:TIDIG_COMP_CNT: 0
	.section	.text._ZN4vllm25paged_attention_v2_kernelIffLi192ELi8ELi128ELNS_18Fp8KVCacheDataTypeE0ELb0ELi512EEEvPfS2_PT_PKS3_PKT0_S9_ifPKiSB_iPKfiiiSD_SD_iiiii,"axG",@progbits,_ZN4vllm25paged_attention_v2_kernelIffLi192ELi8ELi128ELNS_18Fp8KVCacheDataTypeE0ELb0ELi512EEEvPfS2_PT_PKS3_PKT0_S9_ifPKiSB_iPKfiiiSD_SD_iiiii,comdat
	.protected	_ZN4vllm25paged_attention_v2_kernelIffLi192ELi8ELi128ELNS_18Fp8KVCacheDataTypeE0ELb0ELi512EEEvPfS2_PT_PKS3_PKT0_S9_ifPKiSB_iPKfiiiSD_SD_iiiii ; -- Begin function _ZN4vllm25paged_attention_v2_kernelIffLi192ELi8ELi128ELNS_18Fp8KVCacheDataTypeE0ELb0ELi512EEEvPfS2_PT_PKS3_PKT0_S9_ifPKiSB_iPKfiiiSD_SD_iiiii
	.globl	_ZN4vllm25paged_attention_v2_kernelIffLi192ELi8ELi128ELNS_18Fp8KVCacheDataTypeE0ELb0ELi512EEEvPfS2_PT_PKS3_PKT0_S9_ifPKiSB_iPKfiiiSD_SD_iiiii
	.p2align	8
	.type	_ZN4vllm25paged_attention_v2_kernelIffLi192ELi8ELi128ELNS_18Fp8KVCacheDataTypeE0ELb0ELi512EEEvPfS2_PT_PKS3_PKT0_S9_ifPKiSB_iPKfiiiSD_SD_iiiii,@function
_ZN4vllm25paged_attention_v2_kernelIffLi192ELi8ELi128ELNS_18Fp8KVCacheDataTypeE0ELb0ELi512EEEvPfS2_PT_PKS3_PKT0_S9_ifPKiSB_iPKfiiiSD_SD_iiiii: ; @_ZN4vllm25paged_attention_v2_kernelIffLi192ELi8ELi128ELNS_18Fp8KVCacheDataTypeE0ELb0ELi512EEEvPfS2_PT_PKS3_PKT0_S9_ifPKiSB_iPKfiiiSD_SD_iiiii
; %bb.0:
	s_load_b64 s[2:3], s[0:1], 0x40
	s_mov_b32 s12, s15
	s_ashr_i32 s15, s14, 31
	s_delay_alu instid0(SALU_CYCLE_1)
	s_lshl_b64 s[4:5], s[14:15], 2
	s_waitcnt lgkmcnt(0)
	s_add_u32 s2, s2, s4
	s_addc_u32 s3, s3, s5
	s_lshl_b32 s34, s12, 9
	s_load_b32 s33, s[2:3], 0x0
	s_waitcnt lgkmcnt(0)
	s_cmp_ge_i32 s34, s33
	s_cbranch_scc1 .LBB25_95
; %bb.1:
	s_mov_b32 s26, s13
	s_clause 0x1
	s_load_b32 s13, s[0:1], 0x90
	s_load_b64 s[30:31], s[0:1], 0x30
	s_mov_b32 s27, 0
	s_waitcnt lgkmcnt(0)
	s_abs_i32 s5, s13
	s_abs_i32 s2, s30
	s_delay_alu instid0(SALU_CYCLE_1) | instskip(SKIP_1) | instid1(VALU_DEP_1)
	v_cvt_f32_u32_e32 v1, s2
	s_sub_i32 s4, 0, s2
	v_rcp_iflag_f32_e32 v1, v1
	s_waitcnt_depctr 0xfff
	v_mul_f32_e32 v1, 0x4f7ffffe, v1
	s_delay_alu instid0(VALU_DEP_1) | instskip(NEXT) | instid1(VALU_DEP_1)
	v_cvt_u32_f32_e32 v1, v1
	v_readfirstlane_b32 s3, v1
	s_delay_alu instid0(VALU_DEP_1) | instskip(NEXT) | instid1(SALU_CYCLE_1)
	s_mul_i32 s4, s4, s3
	s_mul_hi_u32 s4, s3, s4
	s_delay_alu instid0(SALU_CYCLE_1) | instskip(SKIP_4) | instid1(SALU_CYCLE_1)
	s_add_i32 s3, s3, s4
	s_xor_b32 s4, s13, s30
	s_mul_hi_u32 s3, s5, s3
	s_ashr_i32 s4, s4, 31
	s_mul_i32 s6, s3, s2
	s_sub_i32 s5, s5, s6
	s_add_i32 s6, s3, 1
	s_sub_i32 s7, s5, s2
	s_cmp_ge_u32 s5, s2
	s_cselect_b32 s3, s6, s3
	s_cselect_b32 s5, s7, s5
	s_add_i32 s6, s3, 1
	s_cmp_ge_u32 s5, s2
	s_cselect_b32 s2, s6, s3
	s_abs_i32 s29, s26
	s_xor_b32 s2, s2, s4
	s_delay_alu instid0(SALU_CYCLE_1) | instskip(SKIP_2) | instid1(SALU_CYCLE_1)
	s_sub_i32 s30, s2, s4
	s_load_b64 s[2:3], s[0:1], 0x50
	s_abs_i32 s28, s30
	v_cvt_f32_u32_e32 v1, s28
	s_sub_i32 s4, 0, s28
	s_delay_alu instid0(VALU_DEP_1) | instskip(SKIP_2) | instid1(VALU_DEP_1)
	v_rcp_iflag_f32_e32 v1, v1
	s_waitcnt_depctr 0xfff
	v_mul_f32_e32 v1, 0x4f7ffffe, v1
	v_cvt_u32_f32_e32 v1, v1
	s_delay_alu instid0(VALU_DEP_1) | instskip(NEXT) | instid1(VALU_DEP_1)
	v_readfirstlane_b32 s23, v1
	s_mul_i32 s4, s4, s23
	s_delay_alu instid0(SALU_CYCLE_1) | instskip(NEXT) | instid1(SALU_CYCLE_1)
	s_mul_hi_u32 s4, s23, s4
	s_add_i32 s23, s23, s4
	s_waitcnt lgkmcnt(0)
	s_cmp_eq_u64 s[2:3], 0
	s_cbranch_scc1 .LBB25_3
; %bb.2:
	s_ashr_i32 s27, s26, 31
	s_delay_alu instid0(SALU_CYCLE_1) | instskip(NEXT) | instid1(SALU_CYCLE_1)
	s_lshl_b64 s[4:5], s[26:27], 2
	s_add_u32 s2, s2, s4
	s_addc_u32 s3, s3, s5
	s_load_b32 s27, s[2:3], 0x0
.LBB25_3:
	s_clause 0x5
	s_load_b128 s[16:19], s[0:1], 0x0
	s_load_b64 s[20:21], s[0:1], 0x10
	s_load_b128 s[8:11], s[0:1], 0x20
	s_load_b64 s[24:25], s[0:1], 0x38
	s_load_b32 s15, s[0:1], 0x98
	s_load_b128 s[4:7], s[0:1], 0x58
	v_and_b32_e32 v49, 3, v0
	s_mul_i32 s22, s26, 0xc0
	s_mul_hi_u32 s3, s29, s23
	s_ashr_i32 s23, s22, 31
	s_waitcnt lgkmcnt(0)
	s_mov_b32 s7, exec_lo
	v_cmpx_gt_u32_e32 0xc0, v0
	s_cbranch_execz .LBB25_6
; %bb.4:
	s_load_b64 s[36:37], s[0:1], 0x18
	v_and_b32_e32 v1, 0x3fc, v0
	s_mul_i32 s38, s14, s4
	s_lshl_b64 s[40:41], s[22:23], 2
	s_ashr_i32 s39, s38, 31
	v_lshrrev_b32_e32 v2, 2, v0
	v_or_b32_e32 v5, v1, v49
	s_lshl_b64 s[38:39], s[38:39], 2
	v_mad_u32_u24 v4, 0xc0, v49, v1
	s_add_u32 s2, s38, s40
	s_addc_u32 s4, s39, s41
	v_lshlrev_b32_e32 v1, 2, v5
	v_subrev_nc_u32_e32 v3, 32, v2
	s_waitcnt lgkmcnt(0)
	s_add_u32 s2, s36, s2
	s_addc_u32 s4, s37, s4
	v_add_co_u32 v1, s2, s2, v1
	s_delay_alu instid0(VALU_DEP_1)
	v_add_co_ci_u32_e64 v2, null, s4, 0, s2
	s_mov_b32 s4, 0
.LBB25_5:                               ; =>This Inner Loop Header: Depth=1
	global_load_b32 v5, v[1:2], off
	v_add_nc_u32_e32 v3, 32, v3
	v_add_co_u32 v1, vcc_lo, 0x200, v1
	v_add_co_ci_u32_e32 v2, vcc_lo, 0, v2, vcc_lo
	s_delay_alu instid0(VALU_DEP_3) | instskip(NEXT) | instid1(VALU_DEP_1)
	v_cmp_lt_u32_e64 s2, 15, v3
	s_or_b32 s4, s2, s4
	s_waitcnt vmcnt(0)
	ds_store_b32 v4, v5
	v_add_nc_u32_e32 v4, 0x80, v4
	s_and_not1_b32 exec_lo, exec_lo, s4
	s_cbranch_execnz .LBB25_5
.LBB25_6:
	s_or_b32 exec_lo, exec_lo, s7
	s_add_i32 s7, s33, 7
	s_ashr_i32 s2, s26, 31
	s_ashr_i32 s4, s30, 31
	;; [unrolled: 1-line block ×3, first 2 shown]
	s_xor_b32 s2, s2, s4
	s_lshr_b32 s4, s23, 29
	s_lshl_b32 s30, s12, 6
	s_add_i32 s7, s7, s4
	s_mul_i32 s35, s3, s28
	s_ashr_i32 s23, s7, 3
	s_load_b32 s7, s[0:1], 0x48
	s_add_i32 s4, s30, 64
	s_sub_i32 s0, s29, s35
	s_min_i32 s4, s4, s23
	s_add_i32 s1, s3, 1
	s_sub_i32 s29, s0, s28
	s_cmp_ge_u32 s0, s28
	v_lshrrev_b32_e32 v56, 5, v0
	s_cselect_b32 s1, s1, s3
	s_cselect_b32 s0, s29, s0
	s_add_i32 s3, s1, 1
	s_cmp_ge_u32 s0, s28
	v_or_b32_e32 v53, s30, v56
	s_cselect_b32 s0, s3, s1
	v_mbcnt_lo_u32_b32 v51, -1, 0
	s_xor_b32 s0, s0, s2
	s_mov_b32 s3, exec_lo
	s_sub_i32 s1, s0, s2
	v_cmp_gt_i32_e64 s0, s4, v53
	s_waitcnt lgkmcnt(0)
	s_mul_i32 s28, s14, s7
	s_barrier
	s_ashr_i32 s29, s28, 31
	buffer_gl0_inv
                                        ; implicit-def: $sgpr2
                                        ; implicit-def: $vgpr52
	v_cmpx_le_i32_e64 s4, v53
	s_xor_b32 s3, exec_lo, s3
; %bb.7:
	v_mbcnt_lo_u32_b32 v51, -1, 0
	v_mov_b32_e32 v52, 32
	s_mov_b32 s2, 0xff7fffff
                                        ; implicit-def: $vgpr49
; %bb.8:
	s_or_saveexec_b32 s35, s3
	v_mov_b32_e32 v58, s2
	v_ashrrev_i32_e32 v54, 31, v53
	s_mul_i32 s6, s1, s6
	s_xor_b32 exec_lo, exec_lo, s35
	s_cbranch_execz .LBB25_14
; %bb.9:
	v_bfe_u32 v50, v0, 2, 3
	s_ashr_i32 s7, s6, 31
	v_xor_b32_e32 v41, 2, v51
	s_lshl_b64 s[2:3], s[6:7], 2
	v_xor_b32_e32 v42, 1, v51
	v_lshlrev_b32_e32 v2, 4, v50
	s_add_u32 s1, s8, s2
	v_lshlrev_b32_e32 v1, 2, v49
	s_addc_u32 s2, s9, s3
	v_mul_u32_u24_e32 v45, 0xc0, v49
	v_add_co_u32 v2, s1, s1, v2
	s_delay_alu instid0(VALU_DEP_1) | instskip(SKIP_1) | instid1(VALU_DEP_3)
	v_add_co_ci_u32_e64 v3, null, s2, 0, s1
	v_dual_mov_b32 v63, v53 :: v_dual_lshlrev_b32 v58, 2, v50
	v_add_co_u32 v55, vcc_lo, v2, v1
	s_delay_alu instid0(VALU_DEP_3)
	v_add_co_ci_u32_e32 v57, vcc_lo, 0, v3, vcc_lo
	v_cmp_gt_i32_e32 vcc_lo, 32, v41
	ds_load_b128 v[1:4], v45
	ds_load_b128 v[5:8], v45 offset:16
	ds_load_b128 v[9:12], v45 offset:32
	;; [unrolled: 1-line block ×9, first 2 shown]
	v_lshlrev_b32_e32 v61, 3, v56
	v_cndmask_b32_e32 v59, v51, v41, vcc_lo
	v_cmp_gt_i32_e32 vcc_lo, 32, v42
	v_lshl_or_b32 v58, v56, 5, v58
	s_lshl_b64 s[2:3], s[28:29], 2
	s_sub_i32 s7, 1, s33
	s_add_u32 s2, s24, s2
	v_cndmask_b32_e32 v60, v51, v42, vcc_lo
	ds_load_b128 v[41:44], v45 offset:160
	ds_load_b128 v[45:48], v45 offset:176
	v_cmp_eq_u32_e32 vcc_lo, 0, v49
	v_add_nc_u32_e32 v62, 0x320, v58
	v_mov_b32_e32 v58, 0xff7fffff
	v_add3_u32 v61, s34, v61, v50
	v_lshlrev_b64 v[49:50], 2, v[53:54]
	s_addc_u32 s3, s25, s3
	v_dual_mov_b32 v52, 32 :: v_dual_lshlrev_b32 v59, 2, v59
	v_lshlrev_b32_e32 v60, 2, v60
	v_cmp_neq_f32_e64 s1, s27, 0
	s_delay_alu instid0(VALU_DEP_4) | instskip(NEXT) | instid1(VALU_DEP_1)
	v_add_co_u32 v49, s2, s2, v49
	v_add_co_ci_u32_e64 v50, s2, s3, v50, s2
	s_mov_b32 s9, s5
	s_mov_b32 s8, 0
	s_branch .LBB25_11
.LBB25_10:                              ;   in Loop: Header=BB25_11 Depth=1
	s_or_b32 exec_lo, exec_lo, s3
	v_add_nc_u32_e32 v63, 4, v63
	v_add_co_u32 v49, s3, v49, 16
	v_add_nc_u32_e32 v61, 32, v61
	v_add_nc_u32_e32 v62, 0x80, v62
	s_delay_alu instid0(VALU_DEP_4) | instskip(SKIP_1) | instid1(VALU_DEP_2)
	v_cmp_le_i32_e64 s2, s4, v63
	v_add_co_ci_u32_e64 v50, s3, 0, v50, s3
	s_or_b32 s8, s2, s8
	s_delay_alu instid0(SALU_CYCLE_1)
	s_and_not1_b32 exec_lo, exec_lo, s8
	s_cbranch_execz .LBB25_13
.LBB25_11:                              ; =>This Inner Loop Header: Depth=1
	global_load_b32 v66, v[49:50], off
	s_waitcnt vmcnt(0) lgkmcnt(0)
	v_mad_i64_i32 v[64:65], null, v66, s9, 0
	s_delay_alu instid0(VALU_DEP_1) | instskip(NEXT) | instid1(VALU_DEP_1)
	v_lshlrev_b64 v[64:65], 2, v[64:65]
	v_add_co_u32 v64, s2, v55, v64
	s_delay_alu instid0(VALU_DEP_1)
	v_add_co_ci_u32_e64 v65, s2, v57, v65, s2
	s_clause 0x1e
	global_load_b32 v68, v[64:65], off offset:128
	global_load_b32 v69, v[64:65], off offset:256
	;; [unrolled: 1-line block ×7, first 2 shown]
	global_load_b32 v75, v[64:65], off
	global_load_b32 v76, v[64:65], off offset:1024
	global_load_b32 v77, v[64:65], off offset:1152
	;; [unrolled: 1-line block ×23, first 2 shown]
	v_add_co_u32 v66, s2, 0x1000, v64
	s_delay_alu instid0(VALU_DEP_1)
	v_add_co_ci_u32_e64 v67, s2, 0, v65, s2
	s_clause 0x10
	global_load_b32 v64, v[64:65], off offset:3968
	global_load_b32 v65, v[66:67], off
	global_load_b32 v99, v[66:67], off offset:128
	global_load_b32 v100, v[66:67], off offset:256
	;; [unrolled: 1-line block ×15, first 2 shown]
	s_waitcnt vmcnt(47) lgkmcnt(11)
	v_mul_f32_e32 v67, v2, v68
	s_waitcnt vmcnt(40)
	s_delay_alu instid0(VALU_DEP_1) | instskip(NEXT) | instid1(VALU_DEP_1)
	v_fmac_f32_e32 v67, v1, v75
	v_fmac_f32_e32 v67, v3, v69
	s_delay_alu instid0(VALU_DEP_1) | instskip(SKIP_1) | instid1(VALU_DEP_1)
	v_fmac_f32_e32 v67, v4, v70
	s_waitcnt lgkmcnt(10)
	v_fmac_f32_e32 v67, v5, v71
	s_delay_alu instid0(VALU_DEP_1) | instskip(NEXT) | instid1(VALU_DEP_1)
	v_fmac_f32_e32 v67, v6, v72
	v_fmac_f32_e32 v67, v7, v73
	s_delay_alu instid0(VALU_DEP_1) | instskip(SKIP_1) | instid1(VALU_DEP_1)
	v_fmac_f32_e32 v67, v8, v74
	s_waitcnt vmcnt(39) lgkmcnt(9)
	v_fmac_f32_e32 v67, v9, v76
	s_waitcnt vmcnt(38)
	s_delay_alu instid0(VALU_DEP_1) | instskip(SKIP_1) | instid1(VALU_DEP_1)
	v_fmac_f32_e32 v67, v10, v77
	s_waitcnt vmcnt(37)
	v_fmac_f32_e32 v67, v11, v78
	s_waitcnt vmcnt(36)
	s_delay_alu instid0(VALU_DEP_1) | instskip(SKIP_1) | instid1(VALU_DEP_1)
	v_fmac_f32_e32 v67, v12, v79
	s_waitcnt vmcnt(35) lgkmcnt(8)
	v_fmac_f32_e32 v67, v13, v80
	s_waitcnt vmcnt(34)
	s_delay_alu instid0(VALU_DEP_1) | instskip(SKIP_1) | instid1(VALU_DEP_1)
	v_fmac_f32_e32 v67, v14, v81
	s_waitcnt vmcnt(33)
	v_fmac_f32_e32 v67, v15, v82
	s_waitcnt vmcnt(32)
	;; [unrolled: 10-line block ×10, first 2 shown]
	s_delay_alu instid0(VALU_DEP_1)
	v_fmac_f32_e32 v67, v48, v66
	ds_bpermute_b32 v64, v59, v67
	s_waitcnt lgkmcnt(0)
	v_add_f32_e32 v64, v67, v64
	ds_bpermute_b32 v65, v60, v64
	s_and_saveexec_b32 s3, vcc_lo
	s_cbranch_execz .LBB25_10
; %bb.12:                               ;   in Loop: Header=BB25_11 Depth=1
	s_waitcnt lgkmcnt(0)
	v_add_f32_e32 v64, v64, v65
	v_add_nc_u32_e32 v66, s7, v61
	v_cmp_gt_i32_e64 s2, s33, v61
	s_delay_alu instid0(VALU_DEP_2) | instskip(NEXT) | instid1(VALU_DEP_1)
	v_cvt_f32_i32_e32 v66, v66
	v_mul_f32_e32 v66, s27, v66
	s_delay_alu instid0(VALU_DEP_1) | instskip(NEXT) | instid1(VALU_DEP_1)
	v_cndmask_b32_e64 v65, 0, v66, s1
	v_dual_max_f32 v66, v58, v58 :: v_dual_fmac_f32 v65, s31, v64
	s_delay_alu instid0(VALU_DEP_1) | instskip(SKIP_1) | instid1(VALU_DEP_2)
	v_max_f32_e32 v64, v66, v65
	v_cndmask_b32_e64 v65, 0, v65, s2
	v_cndmask_b32_e64 v58, v58, v64, s2
	ds_store_b32 v62, v65
	s_branch .LBB25_10
.LBB25_13:
	s_or_b32 exec_lo, exec_lo, s8
.LBB25_14:
	s_delay_alu instid0(SALU_CYCLE_1) | instskip(SKIP_4) | instid1(VALU_DEP_4)
	s_or_b32 exec_lo, exec_lo, s35
	v_xor_b32_e32 v1, 16, v51
	v_xor_b32_e32 v3, 8, v51
	v_and_b32_e32 v57, 31, v0
	v_max_f32_e32 v5, v58, v58
	v_cmp_lt_i32_e32 vcc_lo, v1, v52
	v_cndmask_b32_e32 v1, v51, v1, vcc_lo
	v_cmp_lt_i32_e32 vcc_lo, v3, v52
	v_cndmask_b32_e32 v3, v51, v3, vcc_lo
	s_delay_alu instid0(VALU_DEP_1) | instskip(NEXT) | instid1(VALU_DEP_4)
	v_lshlrev_b32_e32 v4, 2, v3
	v_lshlrev_b32_e32 v2, 2, v1
	ds_bpermute_b32 v1, v2, v58
	s_waitcnt lgkmcnt(0)
	v_max_f32_e32 v1, v1, v1
	s_delay_alu instid0(VALU_DEP_1)
	v_max_f32_e32 v1, v5, v1
	v_xor_b32_e32 v5, 4, v51
	ds_bpermute_b32 v3, v4, v1
	v_cmp_lt_i32_e32 vcc_lo, v5, v52
	v_cndmask_b32_e32 v5, v51, v5, vcc_lo
	v_cmp_eq_u32_e32 vcc_lo, 0, v57
	s_delay_alu instid0(VALU_DEP_2) | instskip(SKIP_3) | instid1(VALU_DEP_1)
	v_lshlrev_b32_e32 v7, 2, v5
	v_lshlrev_b32_e32 v5, 2, v56
	s_waitcnt lgkmcnt(0)
	v_max_f32_e32 v3, v3, v3
	v_max_f32_e32 v1, v1, v3
	ds_bpermute_b32 v3, v7, v1
	s_and_saveexec_b32 s1, vcc_lo
	s_cbranch_execz .LBB25_16
; %bb.15:
	s_waitcnt lgkmcnt(0)
	v_max_f32_e32 v3, v3, v3
	v_max_f32_e32 v1, v1, v1
	s_delay_alu instid0(VALU_DEP_1)
	v_max_f32_e32 v1, v1, v3
	ds_store_b32 v5, v1 offset:768
.LBB25_16:
	s_or_b32 exec_lo, exec_lo, s1
	v_cmp_gt_u32_e64 s1, 4, v57
	v_dual_mov_b32 v1, 0xff7fffff :: v_dual_lshlrev_b32 v6, 2, v57
	s_waitcnt lgkmcnt(0)
	s_barrier
	buffer_gl0_inv
	s_and_saveexec_b32 s2, s1
	s_cbranch_execz .LBB25_18
; %bb.17:
	ds_load_b32 v1, v6 offset:768
.LBB25_18:
	s_or_b32 exec_lo, exec_lo, s2
	v_xor_b32_e32 v3, 2, v51
	v_xor_b32_e32 v9, 1, v51
	v_mov_b32_e32 v10, 0
	s_delay_alu instid0(VALU_DEP_3) | instskip(NEXT) | instid1(VALU_DEP_1)
	v_cmp_lt_i32_e64 s2, v3, v52
	v_cndmask_b32_e64 v3, v51, v3, s2
	s_delay_alu instid0(VALU_DEP_4) | instskip(NEXT) | instid1(VALU_DEP_2)
	v_cmp_lt_i32_e64 s2, v9, v52
	v_lshlrev_b32_e32 v8, 2, v3
	s_delay_alu instid0(VALU_DEP_2) | instskip(SKIP_1) | instid1(SALU_CYCLE_1)
	v_cndmask_b32_e64 v9, v51, v9, s2
	s_sub_i32 s2, s4, s30
	s_lshl_b32 s2, s2, 3
	s_waitcnt lgkmcnt(0)
	ds_bpermute_b32 v3, v8, v1
	v_max_f32_e32 v1, v1, v1
	v_lshlrev_b32_e32 v58, 2, v9
	v_lshlrev_b32_e32 v9, 2, v51
	s_add_i32 s2, s2, s34
	s_delay_alu instid0(SALU_CYCLE_1) | instskip(NEXT) | instid1(VALU_DEP_1)
	s_min_i32 s2, s2, s33
	v_and_b32_e32 v9, 0xffffff80, v9
	s_sub_i32 s7, s2, s34
	s_delay_alu instid0(SALU_CYCLE_1) | instskip(SKIP_2) | instid1(VALU_DEP_1)
	v_cmp_gt_i32_e64 s2, s7, v0
	s_waitcnt lgkmcnt(0)
	v_max_f32_e32 v3, v3, v3
	v_max_f32_e32 v1, v1, v3
	ds_bpermute_b32 v3, v58, v1
	s_waitcnt lgkmcnt(0)
	v_max_f32_e32 v3, v3, v3
	s_delay_alu instid0(VALU_DEP_1)
	v_max_f32_e32 v1, v1, v3
	v_lshl_add_u32 v3, v0, 2, 0x320
	ds_bpermute_b32 v1, v9, v1
	s_and_saveexec_b32 s8, s2
	s_cbranch_execz .LBB25_22
; %bb.19:
	v_lshl_add_u32 v11, v0, 2, 0x320
	v_mov_b32_e32 v10, 0
	v_mov_b32_e32 v12, v0
	s_mov_b32 s9, 0
	.p2align	6
.LBB25_20:                              ; =>This Inner Loop Header: Depth=1
	ds_load_b32 v13, v11
	v_add_nc_u32_e32 v12, 0x80, v12
	s_delay_alu instid0(VALU_DEP_1) | instskip(NEXT) | instid1(VALU_DEP_1)
	v_cmp_le_i32_e64 s3, s7, v12
	s_or_b32 s9, s3, s9
	s_waitcnt lgkmcnt(0)
	v_sub_f32_e32 v13, v13, v1
	s_delay_alu instid0(VALU_DEP_1) | instskip(NEXT) | instid1(VALU_DEP_1)
	v_mul_f32_e32 v13, 0x3fb8aa3b, v13
	v_exp_f32_e32 v13, v13
	ds_store_b32 v11, v13
	v_dual_add_f32 v10, v10, v13 :: v_dual_add_nc_u32 v11, 0x200, v11
	s_and_not1_b32 exec_lo, exec_lo, s9
	s_cbranch_execnz .LBB25_20
; %bb.21:
	s_or_b32 exec_lo, exec_lo, s9
.LBB25_22:
	s_delay_alu instid0(SALU_CYCLE_1)
	s_or_b32 exec_lo, exec_lo, s8
	ds_bpermute_b32 v2, v2, v10
	s_waitcnt lgkmcnt(0)
	v_add_f32_e32 v2, v10, v2
	ds_bpermute_b32 v4, v4, v2
	s_waitcnt lgkmcnt(0)
	v_add_f32_e32 v2, v2, v4
	ds_bpermute_b32 v4, v7, v2
	s_waitcnt lgkmcnt(0)
	v_add_f32_e32 v2, v2, v4
	ds_bpermute_b32 v4, v8, v2
	s_waitcnt lgkmcnt(0)
	v_add_f32_e32 v2, v2, v4
	ds_bpermute_b32 v4, v58, v2
	s_waitcnt lgkmcnt(0)
	v_add_f32_e32 v2, v2, v4
	s_and_saveexec_b32 s3, vcc_lo
	s_cbranch_execz .LBB25_24
; %bb.23:
	ds_store_b32 v5, v2 offset:784
.LBB25_24:
	s_or_b32 exec_lo, exec_lo, s3
	s_waitcnt lgkmcnt(0)
	s_barrier
	buffer_gl0_inv
	s_and_saveexec_b32 s3, s1
	s_cbranch_execz .LBB25_26
; %bb.25:
	ds_load_b32 v2, v6 offset:784
.LBB25_26:
	s_or_b32 exec_lo, exec_lo, s3
	s_waitcnt lgkmcnt(0)
	ds_bpermute_b32 v4, v8, v2
	s_waitcnt lgkmcnt(0)
	v_add_f32_e32 v2, v2, v4
	ds_bpermute_b32 v4, v58, v2
	s_waitcnt lgkmcnt(0)
	v_add_f32_e32 v2, v2, v4
	ds_bpermute_b32 v2, v9, v2
	s_and_saveexec_b32 s1, s2
	s_cbranch_execz .LBB25_29
; %bb.27:
	s_waitcnt lgkmcnt(0)
	v_add_f32_e32 v4, 0x358637bd, v2
	s_mov_b32 s2, 0
	s_delay_alu instid0(VALU_DEP_1) | instskip(SKIP_1) | instid1(VALU_DEP_2)
	v_div_scale_f32 v5, null, v4, v4, 1.0
	v_div_scale_f32 v8, vcc_lo, 1.0, v4, 1.0
	v_rcp_f32_e32 v6, v5
	s_waitcnt_depctr 0xfff
	v_fma_f32 v7, -v5, v6, 1.0
	s_delay_alu instid0(VALU_DEP_1) | instskip(NEXT) | instid1(VALU_DEP_1)
	v_fmac_f32_e32 v6, v7, v6
	v_mul_f32_e32 v7, v8, v6
	s_delay_alu instid0(VALU_DEP_1) | instskip(NEXT) | instid1(VALU_DEP_1)
	v_fma_f32 v9, -v5, v7, v8
	v_fmac_f32_e32 v7, v9, v6
	s_delay_alu instid0(VALU_DEP_1) | instskip(NEXT) | instid1(VALU_DEP_1)
	v_fma_f32 v5, -v5, v7, v8
	v_div_fmas_f32 v5, v5, v6, v7
	s_delay_alu instid0(VALU_DEP_1)
	v_div_fixup_f32 v4, v5, v4, 1.0
	v_mov_b32_e32 v5, v0
.LBB25_28:                              ; =>This Inner Loop Header: Depth=1
	ds_load_b32 v6, v3
	s_waitcnt lgkmcnt(0)
	v_dual_mul_f32 v6, v4, v6 :: v_dual_add_nc_u32 v5, 0x80, v5
	s_delay_alu instid0(VALU_DEP_1) | instskip(SKIP_3) | instid1(SALU_CYCLE_1)
	v_cmp_le_i32_e32 vcc_lo, s7, v5
	ds_store_b32 v3, v6
	v_add_nc_u32_e32 v3, 0x200, v3
	s_or_b32 s2, vcc_lo, s2
	s_and_not1_b32 exec_lo, exec_lo, s2
	s_cbranch_execnz .LBB25_28
.LBB25_29:
	s_or_b32 exec_lo, exec_lo, s1
	s_mul_i32 s1, s15, s14
	s_waitcnt lgkmcnt(0)
	s_mul_i32 s2, s1, s13
	s_mov_b32 s1, exec_lo
	s_barrier
	buffer_gl0_inv
	v_cmpx_eq_u32_e32 0, v0
	s_cbranch_execz .LBB25_31
; %bb.30:
	s_ashr_i32 s3, s2, 31
	s_mul_i32 s26, s15, s26
	s_lshl_b64 s[8:9], s[2:3], 2
	v_mov_b32_e32 v3, 0
	s_add_u32 s3, s18, s8
	s_addc_u32 s7, s19, s9
	s_ashr_i32 s27, s26, 31
	s_delay_alu instid0(SALU_CYCLE_1) | instskip(NEXT) | instid1(SALU_CYCLE_1)
	s_lshl_b64 s[18:19], s[26:27], 2
	s_add_u32 s3, s3, s18
	s_addc_u32 s7, s7, s19
	s_ashr_i32 s13, s12, 31
	s_delay_alu instid0(SALU_CYCLE_1) | instskip(NEXT) | instid1(SALU_CYCLE_1)
	s_lshl_b64 s[26:27], s[12:13], 2
	s_add_u32 s30, s3, s26
	s_addc_u32 s31, s7, s27
	s_add_u32 s3, s16, s8
	s_addc_u32 s7, s17, s9
	;; [unrolled: 2-line block ×4, first 2 shown]
	s_clause 0x1
	global_store_b32 v3, v1, s[30:31]
	global_store_b32 v3, v2, s[8:9]
.LBB25_31:
	s_or_b32 exec_lo, exec_lo, s1
	v_dual_mov_b32 v69, 0 :: v_dual_mov_b32 v70, 0
	v_dual_mov_b32 v68, 0 :: v_dual_and_b32 v59, 1, v0
	v_dual_mov_b32 v71, 0 :: v_dual_mov_b32 v66, 0
	v_dual_mov_b32 v67, 0 :: v_dual_mov_b32 v64, 0
	;; [unrolled: 1-line block ×4, first 2 shown]
	v_mov_b32_e32 v61, 0
	s_and_saveexec_b32 s1, s0
	s_cbranch_execz .LBB25_59
; %bb.32:
	v_dual_mov_b32 v60, 0 :: v_dual_lshlrev_b32 v1, 2, v0
	v_dual_mov_b32 v61, 0 :: v_dual_lshlrev_b32 v2, 4, v59
	v_lshl_add_u32 v5, v56, 3, s34
	s_delay_alu instid0(VALU_DEP_3) | instskip(SKIP_4) | instid1(VALU_DEP_2)
	v_dual_mov_b32 v62, 0 :: v_dual_and_b32 v3, 0x7c, v1
	v_dual_mov_b32 v64, 0 :: v_dual_and_b32 v1, 4, v1
	s_ashr_i32 s7, s6, 31
	v_lshl_or_b32 v8, v56, 5, v2
	s_lshl_b64 s[6:7], s[6:7], 2
	v_add3_u32 v72, v5, v1, 3
	v_lshlrev_b64 v[1:2], 2, v[53:54]
	s_add_u32 s3, s10, s6
	s_addc_u32 s6, s11, s7
	s_lshl_b64 s[8:9], s[28:29], 2
	s_add_i32 s23, s23, -1
	v_or_b32_e32 v4, 0x400, v3
	v_or_b32_e32 v6, 0x480, v3
	;; [unrolled: 1-line block ×4, first 2 shown]
	s_add_u32 s0, s24, s8
	s_addc_u32 s7, s25, s9
	v_add_co_u32 v54, vcc_lo, s0, v1
	v_dual_mov_b32 v66, 0 :: v_dual_add_nc_u32 v73, 0x320, v8
	v_add_co_ci_u32_e32 v55, vcc_lo, s7, v2, vcc_lo
	v_dual_mov_b32 v63, 0 :: v_dual_lshlrev_b32 v74, 2, v3
	v_dual_mov_b32 v68, 0 :: v_dual_lshlrev_b32 v75, 2, v4
	;; [unrolled: 1-line block ×5, first 2 shown]
	v_mov_b32_e32 v71, 0
	v_mov_b32_e32 v69, 0
	s_mov_b32 s7, s5
	s_mov_b32 s5, 0
	s_branch .LBB25_34
.LBB25_33:                              ;   in Loop: Header=BB25_34 Depth=1
	s_or_b32 exec_lo, exec_lo, s0
	s_waitcnt vmcnt(10) lgkmcnt(0)
	v_mul_f32_e32 v10, v2, v10
	s_waitcnt vmcnt(3)
	v_mul_f32_e32 v38, v2, v38
	v_mul_f32_e32 v30, v2, v30
	v_mul_f32_e32 v22, v2, v22
	v_mul_f32_e32 v6, v2, v6
	v_fmac_f32_e32 v10, v1, v9
	s_waitcnt vmcnt(1)
	v_dual_mul_f32 v50, v2, v50 :: v_dual_add_nc_u32 v53, 4, v53
	v_fmac_f32_e32 v30, v1, v29
	v_fmac_f32_e32 v22, v1, v21
	;; [unrolled: 1-line block ×4, first 2 shown]
	v_dual_mul_f32 v46, v2, v46 :: v_dual_add_nc_u32 v73, 0x80, v73
	v_mul_f32_e32 v34, v2, v34
	s_delay_alu instid0(VALU_DEP_4)
	v_fmac_f32_e32 v10, v4, v12
	v_fmac_f32_e32 v38, v1, v37
	v_mul_f32_e32 v26, v2, v26
	v_fmac_f32_e32 v30, v3, v31
	v_fmac_f32_e32 v22, v3, v23
	v_add_f32_e32 v71, v71, v10
	v_fmac_f32_e32 v38, v3, v39
	v_mul_f32_e32 v18, v2, v18
	v_mul_f32_e32 v14, v2, v14
	s_waitcnt vmcnt(0)
	v_mul_f32_e32 v2, v2, v42
	v_fmac_f32_e32 v6, v3, v7
	v_fmac_f32_e32 v38, v4, v40
	;; [unrolled: 1-line block ×5, first 2 shown]
	s_delay_alu instid0(VALU_DEP_4) | instskip(NEXT) | instid1(VALU_DEP_4)
	v_dual_fmac_f32 v30, v4, v32 :: v_dual_add_f32 v63, v63, v38
	v_fmac_f32_e32 v50, v3, v51
	v_fmac_f32_e32 v22, v4, v24
	;; [unrolled: 1-line block ×5, first 2 shown]
	s_delay_alu instid0(VALU_DEP_4) | instskip(SKIP_3) | instid1(VALU_DEP_3)
	v_dual_fmac_f32 v2, v1, v41 :: v_dual_add_f32 v67, v67, v22
	v_fmac_f32_e32 v6, v4, v8
	v_fmac_f32_e32 v34, v3, v35
	v_dual_fmac_f32 v26, v3, v27 :: v_dual_add_f32 v65, v65, v30
	v_dual_fmac_f32 v50, v4, v52 :: v_dual_add_f32 v69, v69, v6
	v_fmac_f32_e32 v46, v3, v47
	v_fmac_f32_e32 v18, v3, v19
	s_delay_alu instid0(VALU_DEP_3) | instskip(SKIP_1) | instid1(VALU_DEP_4)
	v_dual_fmac_f32 v14, v3, v15 :: v_dual_add_f32 v61, v61, v50
	v_fmac_f32_e32 v2, v3, v43
	v_fmac_f32_e32 v46, v4, v48
	;; [unrolled: 1-line block ×7, first 2 shown]
	v_cmp_le_i32_e32 vcc_lo, s4, v53
	v_add_co_u32 v54, s0, v54, 16
	v_add_f32_e32 v62, v62, v46
	v_add_f32_e32 v64, v64, v34
	;; [unrolled: 1-line block ×6, first 2 shown]
	v_add_nc_u32_e32 v72, 32, v72
	v_add_co_ci_u32_e64 v55, s0, 0, v55, s0
	s_or_b32 s5, vcc_lo, s5
	s_delay_alu instid0(SALU_CYCLE_1)
	s_and_not1_b32 exec_lo, exec_lo, s5
	s_cbranch_execz .LBB25_58
.LBB25_34:                              ; =>This Inner Loop Header: Depth=1
	global_load_b32 v3, v[54:55], off
	v_add_nc_u32_e32 v79, -3, v72
	v_add_nc_u32_e32 v81, -2, v72
	;; [unrolled: 1-line block ×3, first 2 shown]
	s_waitcnt vmcnt(0)
	v_mad_i64_i32 v[1:2], null, v3, s7, 0
	s_delay_alu instid0(VALU_DEP_1) | instskip(NEXT) | instid1(VALU_DEP_1)
	v_lshlrev_b64 v[1:2], 2, v[1:2]
	v_add_co_u32 v41, vcc_lo, s3, v1
	s_delay_alu instid0(VALU_DEP_2)
	v_add_co_ci_u32_e32 v42, vcc_lo, s6, v2, vcc_lo
	ds_load_b128 v[1:4], v73
	v_add_co_u32 v33, vcc_lo, v41, v74
	v_add_co_ci_u32_e32 v34, vcc_lo, 0, v42, vcc_lo
	v_cmp_eq_u32_e32 vcc_lo, s23, v53
	global_load_b128 v[5:8], v[33:34], off
	s_and_saveexec_b32 s8, vcc_lo
	s_cbranch_execnz .LBB25_51
; %bb.35:                               ;   in Loop: Header=BB25_34 Depth=1
	s_or_b32 exec_lo, exec_lo, s8
	global_load_b128 v[9:12], v[33:34], off offset:512
	s_and_saveexec_b32 s8, vcc_lo
	s_cbranch_execnz .LBB25_52
.LBB25_36:                              ;   in Loop: Header=BB25_34 Depth=1
	s_or_b32 exec_lo, exec_lo, s8
	global_load_b128 v[13:16], v[33:34], off offset:1024
	s_and_saveexec_b32 s8, vcc_lo
	s_cbranch_execnz .LBB25_53
.LBB25_37:                              ;   in Loop: Header=BB25_34 Depth=1
	s_or_b32 exec_lo, exec_lo, s8
	global_load_b128 v[17:20], v[33:34], off offset:1536
	s_and_saveexec_b32 s8, vcc_lo
	s_cbranch_execnz .LBB25_54
.LBB25_38:                              ;   in Loop: Header=BB25_34 Depth=1
	s_or_b32 exec_lo, exec_lo, s8
	global_load_b128 v[21:24], v[33:34], off offset:2048
	s_and_saveexec_b32 s8, vcc_lo
	s_cbranch_execnz .LBB25_55
.LBB25_39:                              ;   in Loop: Header=BB25_34 Depth=1
	s_or_b32 exec_lo, exec_lo, s8
	global_load_b128 v[25:28], v[33:34], off offset:2560
	s_and_saveexec_b32 s8, vcc_lo
	s_cbranch_execnz .LBB25_56
.LBB25_40:                              ;   in Loop: Header=BB25_34 Depth=1
	s_or_b32 exec_lo, exec_lo, s8
	global_load_b128 v[29:32], v[33:34], off offset:3072
	s_and_saveexec_b32 s8, vcc_lo
	s_cbranch_execnz .LBB25_57
.LBB25_41:                              ;   in Loop: Header=BB25_34 Depth=1
	s_or_b32 exec_lo, exec_lo, s8
	global_load_b128 v[33:36], v[33:34], off offset:3584
	s_and_saveexec_b32 s8, vcc_lo
	s_cbranch_execz .LBB25_43
.LBB25_42:                              ;   in Loop: Header=BB25_34 Depth=1
	v_cmp_gt_i32_e64 s0, s33, v79
	s_waitcnt vmcnt(0)
	s_delay_alu instid0(VALU_DEP_1) | instskip(SKIP_1) | instid1(VALU_DEP_1)
	v_cndmask_b32_e64 v33, 0, v33, s0
	v_cmp_gt_i32_e64 s0, s33, v81
	v_cndmask_b32_e64 v34, 0, v34, s0
	v_cmp_gt_i32_e64 s0, s33, v80
	s_delay_alu instid0(VALU_DEP_1) | instskip(SKIP_1) | instid1(VALU_DEP_1)
	v_cndmask_b32_e64 v35, 0, v35, s0
	v_cmp_gt_i32_e64 s0, s33, v72
	v_cndmask_b32_e64 v36, 0, v36, s0
.LBB25_43:                              ;   in Loop: Header=BB25_34 Depth=1
	s_or_b32 exec_lo, exec_lo, s8
	v_add_co_u32 v37, s0, v41, v75
	s_delay_alu instid0(VALU_DEP_1)
	v_add_co_ci_u32_e64 v38, s0, 0, v42, s0
	global_load_b128 v[37:40], v[37:38], off
	s_and_saveexec_b32 s8, vcc_lo
	s_cbranch_execz .LBB25_45
; %bb.44:                               ;   in Loop: Header=BB25_34 Depth=1
	v_cmp_gt_i32_e64 s0, s33, v79
	s_waitcnt vmcnt(0)
	s_delay_alu instid0(VALU_DEP_1) | instskip(SKIP_1) | instid1(VALU_DEP_1)
	v_cndmask_b32_e64 v37, 0, v37, s0
	v_cmp_gt_i32_e64 s0, s33, v81
	v_cndmask_b32_e64 v38, 0, v38, s0
	v_cmp_gt_i32_e64 s0, s33, v80
	s_delay_alu instid0(VALU_DEP_1) | instskip(SKIP_1) | instid1(VALU_DEP_1)
	v_cndmask_b32_e64 v39, 0, v39, s0
	v_cmp_gt_i32_e64 s0, s33, v72
	v_cndmask_b32_e64 v40, 0, v40, s0
.LBB25_45:                              ;   in Loop: Header=BB25_34 Depth=1
	s_or_b32 exec_lo, exec_lo, s8
	v_add_co_u32 v43, s0, v41, v76
	s_delay_alu instid0(VALU_DEP_1)
	v_add_co_ci_u32_e64 v44, s0, 0, v42, s0
	global_load_b128 v[45:48], v[43:44], off
	s_and_saveexec_b32 s8, vcc_lo
	s_cbranch_execz .LBB25_47
; %bb.46:                               ;   in Loop: Header=BB25_34 Depth=1
	v_cmp_gt_i32_e64 s0, s33, v79
	s_waitcnt vmcnt(0)
	s_delay_alu instid0(VALU_DEP_1) | instskip(SKIP_1) | instid1(VALU_DEP_1)
	v_cndmask_b32_e64 v45, 0, v45, s0
	v_cmp_gt_i32_e64 s0, s33, v81
	v_cndmask_b32_e64 v46, 0, v46, s0
	v_cmp_gt_i32_e64 s0, s33, v80
	s_delay_alu instid0(VALU_DEP_1) | instskip(SKIP_1) | instid1(VALU_DEP_1)
	v_cndmask_b32_e64 v47, 0, v47, s0
	v_cmp_gt_i32_e64 s0, s33, v72
	v_cndmask_b32_e64 v48, 0, v48, s0
.LBB25_47:                              ;   in Loop: Header=BB25_34 Depth=1
	;; [unrolled: 20-line block ×3, first 2 shown]
	s_or_b32 exec_lo, exec_lo, s8
	v_add_co_u32 v41, s0, v41, v78
	s_delay_alu instid0(VALU_DEP_1)
	v_add_co_ci_u32_e64 v42, s0, 0, v42, s0
	global_load_b128 v[41:44], v[41:42], off
	s_and_saveexec_b32 s0, vcc_lo
	s_cbranch_execz .LBB25_33
; %bb.50:                               ;   in Loop: Header=BB25_34 Depth=1
	v_cmp_gt_i32_e32 vcc_lo, s33, v79
	s_waitcnt vmcnt(0)
	v_cndmask_b32_e32 v41, 0, v41, vcc_lo
	v_cmp_gt_i32_e32 vcc_lo, s33, v81
	v_cndmask_b32_e32 v42, 0, v42, vcc_lo
	v_cmp_gt_i32_e32 vcc_lo, s33, v80
	;; [unrolled: 2-line block ×3, first 2 shown]
	v_cndmask_b32_e32 v44, 0, v44, vcc_lo
	s_branch .LBB25_33
.LBB25_51:                              ;   in Loop: Header=BB25_34 Depth=1
	v_cmp_gt_i32_e64 s0, s33, v79
	s_waitcnt vmcnt(0)
	s_delay_alu instid0(VALU_DEP_1) | instskip(SKIP_1) | instid1(VALU_DEP_1)
	v_cndmask_b32_e64 v5, 0, v5, s0
	v_cmp_gt_i32_e64 s0, s33, v81
	v_cndmask_b32_e64 v6, 0, v6, s0
	v_cmp_gt_i32_e64 s0, s33, v80
	s_delay_alu instid0(VALU_DEP_1) | instskip(SKIP_1) | instid1(VALU_DEP_1)
	v_cndmask_b32_e64 v7, 0, v7, s0
	v_cmp_gt_i32_e64 s0, s33, v72
	v_cndmask_b32_e64 v8, 0, v8, s0
	s_or_b32 exec_lo, exec_lo, s8
	global_load_b128 v[9:12], v[33:34], off offset:512
	s_and_saveexec_b32 s8, vcc_lo
	s_cbranch_execz .LBB25_36
.LBB25_52:                              ;   in Loop: Header=BB25_34 Depth=1
	v_cmp_gt_i32_e64 s0, s33, v79
	s_waitcnt vmcnt(0)
	s_delay_alu instid0(VALU_DEP_1) | instskip(SKIP_1) | instid1(VALU_DEP_1)
	v_cndmask_b32_e64 v9, 0, v9, s0
	v_cmp_gt_i32_e64 s0, s33, v81
	v_cndmask_b32_e64 v10, 0, v10, s0
	v_cmp_gt_i32_e64 s0, s33, v80
	s_delay_alu instid0(VALU_DEP_1) | instskip(SKIP_1) | instid1(VALU_DEP_1)
	v_cndmask_b32_e64 v11, 0, v11, s0
	v_cmp_gt_i32_e64 s0, s33, v72
	v_cndmask_b32_e64 v12, 0, v12, s0
	s_or_b32 exec_lo, exec_lo, s8
	global_load_b128 v[13:16], v[33:34], off offset:1024
	s_and_saveexec_b32 s8, vcc_lo
	s_cbranch_execz .LBB25_37
.LBB25_53:                              ;   in Loop: Header=BB25_34 Depth=1
	v_cmp_gt_i32_e64 s0, s33, v79
	s_waitcnt vmcnt(0)
	s_delay_alu instid0(VALU_DEP_1) | instskip(SKIP_1) | instid1(VALU_DEP_1)
	v_cndmask_b32_e64 v13, 0, v13, s0
	v_cmp_gt_i32_e64 s0, s33, v81
	v_cndmask_b32_e64 v14, 0, v14, s0
	v_cmp_gt_i32_e64 s0, s33, v80
	s_delay_alu instid0(VALU_DEP_1) | instskip(SKIP_1) | instid1(VALU_DEP_1)
	v_cndmask_b32_e64 v15, 0, v15, s0
	v_cmp_gt_i32_e64 s0, s33, v72
	v_cndmask_b32_e64 v16, 0, v16, s0
	s_or_b32 exec_lo, exec_lo, s8
	global_load_b128 v[17:20], v[33:34], off offset:1536
	s_and_saveexec_b32 s8, vcc_lo
	s_cbranch_execz .LBB25_38
.LBB25_54:                              ;   in Loop: Header=BB25_34 Depth=1
	v_cmp_gt_i32_e64 s0, s33, v79
	s_waitcnt vmcnt(0)
	s_delay_alu instid0(VALU_DEP_1) | instskip(SKIP_1) | instid1(VALU_DEP_1)
	v_cndmask_b32_e64 v17, 0, v17, s0
	v_cmp_gt_i32_e64 s0, s33, v81
	v_cndmask_b32_e64 v18, 0, v18, s0
	v_cmp_gt_i32_e64 s0, s33, v80
	s_delay_alu instid0(VALU_DEP_1) | instskip(SKIP_1) | instid1(VALU_DEP_1)
	v_cndmask_b32_e64 v19, 0, v19, s0
	v_cmp_gt_i32_e64 s0, s33, v72
	v_cndmask_b32_e64 v20, 0, v20, s0
	s_or_b32 exec_lo, exec_lo, s8
	global_load_b128 v[21:24], v[33:34], off offset:2048
	s_and_saveexec_b32 s8, vcc_lo
	s_cbranch_execz .LBB25_39
.LBB25_55:                              ;   in Loop: Header=BB25_34 Depth=1
	v_cmp_gt_i32_e64 s0, s33, v79
	s_waitcnt vmcnt(0)
	s_delay_alu instid0(VALU_DEP_1) | instskip(SKIP_1) | instid1(VALU_DEP_1)
	v_cndmask_b32_e64 v21, 0, v21, s0
	v_cmp_gt_i32_e64 s0, s33, v81
	v_cndmask_b32_e64 v22, 0, v22, s0
	v_cmp_gt_i32_e64 s0, s33, v80
	s_delay_alu instid0(VALU_DEP_1) | instskip(SKIP_1) | instid1(VALU_DEP_1)
	v_cndmask_b32_e64 v23, 0, v23, s0
	v_cmp_gt_i32_e64 s0, s33, v72
	v_cndmask_b32_e64 v24, 0, v24, s0
	s_or_b32 exec_lo, exec_lo, s8
	global_load_b128 v[25:28], v[33:34], off offset:2560
	s_and_saveexec_b32 s8, vcc_lo
	s_cbranch_execz .LBB25_40
.LBB25_56:                              ;   in Loop: Header=BB25_34 Depth=1
	v_cmp_gt_i32_e64 s0, s33, v79
	s_waitcnt vmcnt(0)
	s_delay_alu instid0(VALU_DEP_1) | instskip(SKIP_1) | instid1(VALU_DEP_1)
	v_cndmask_b32_e64 v25, 0, v25, s0
	v_cmp_gt_i32_e64 s0, s33, v81
	v_cndmask_b32_e64 v26, 0, v26, s0
	v_cmp_gt_i32_e64 s0, s33, v80
	s_delay_alu instid0(VALU_DEP_1) | instskip(SKIP_1) | instid1(VALU_DEP_1)
	v_cndmask_b32_e64 v27, 0, v27, s0
	v_cmp_gt_i32_e64 s0, s33, v72
	v_cndmask_b32_e64 v28, 0, v28, s0
	s_or_b32 exec_lo, exec_lo, s8
	global_load_b128 v[29:32], v[33:34], off offset:3072
	s_and_saveexec_b32 s8, vcc_lo
	s_cbranch_execz .LBB25_41
.LBB25_57:                              ;   in Loop: Header=BB25_34 Depth=1
	v_cmp_gt_i32_e64 s0, s33, v79
	s_waitcnt vmcnt(0)
	s_delay_alu instid0(VALU_DEP_1) | instskip(SKIP_1) | instid1(VALU_DEP_1)
	v_cndmask_b32_e64 v29, 0, v29, s0
	v_cmp_gt_i32_e64 s0, s33, v81
	v_cndmask_b32_e64 v30, 0, v30, s0
	v_cmp_gt_i32_e64 s0, s33, v80
	s_delay_alu instid0(VALU_DEP_1) | instskip(SKIP_1) | instid1(VALU_DEP_1)
	v_cndmask_b32_e64 v31, 0, v31, s0
	v_cmp_gt_i32_e64 s0, s33, v72
	v_cndmask_b32_e64 v32, 0, v32, s0
	s_or_b32 exec_lo, exec_lo, s8
	global_load_b128 v[33:36], v[33:34], off offset:3584
	s_and_saveexec_b32 s8, vcc_lo
	s_cbranch_execnz .LBB25_42
	s_branch .LBB25_43
.LBB25_58:
	s_or_b32 exec_lo, exec_lo, s5
.LBB25_59:
	s_delay_alu instid0(SALU_CYCLE_1)
	s_or_b32 exec_lo, exec_lo, s1
	ds_bpermute_b32 v1, v58, v69
	ds_bpermute_b32 v2, v58, v71
	;; [unrolled: 1-line block ×12, first 2 shown]
	v_and_b32_e32 v15, 0x3c1, v0
	v_lshrrev_b32_e32 v13, 1, v57
	s_movk_i32 s0, 0x300
	s_waitcnt lgkmcnt(0)
	s_waitcnt_vscnt null, 0x0
	v_mad_u32_u24 v14, v56, s0, 0x320
	v_cmp_eq_u32_e32 vcc_lo, 64, v15
	v_lshlrev_b32_e32 v15, 2, v13
	s_barrier
	v_dual_add_f32 v1, v69, v1 :: v_dual_add_f32 v2, v71, v2
	v_dual_add_f32 v3, v70, v3 :: v_dual_add_f32 v4, v68, v4
	;; [unrolled: 1-line block ×6, first 2 shown]
	buffer_gl0_inv
	s_and_saveexec_b32 s0, vcc_lo
	s_cbranch_execz .LBB25_61
; %bb.60:
	v_add3_u32 v16, v14, v15, 0xfffffa00
	ds_store_2addr_b32 v16, v1, v2 offset1:16
	ds_store_2addr_b32 v16, v3, v4 offset0:32 offset1:48
	ds_store_2addr_b32 v16, v5, v6 offset0:64 offset1:80
	;; [unrolled: 1-line block ×5, first 2 shown]
.LBB25_61:
	s_or_b32 exec_lo, exec_lo, s0
	v_cmp_eq_u32_e32 vcc_lo, 0, v59
	s_mov_b32 s1, exec_lo
	s_waitcnt lgkmcnt(0)
	s_barrier
	buffer_gl0_inv
	v_cmpx_gt_u32_e32 64, v0
	s_cbranch_execz .LBB25_76
; %bb.62:
	s_and_saveexec_b32 s0, vcc_lo
	s_cbranch_execnz .LBB25_96
; %bb.63:
	s_or_b32 exec_lo, exec_lo, s0
	s_and_saveexec_b32 s0, vcc_lo
	s_cbranch_execnz .LBB25_97
.LBB25_64:
	s_or_b32 exec_lo, exec_lo, s0
	s_and_saveexec_b32 s0, vcc_lo
	s_cbranch_execnz .LBB25_98
.LBB25_65:
	s_or_b32 exec_lo, exec_lo, s0
	s_and_saveexec_b32 s0, vcc_lo
	s_cbranch_execnz .LBB25_99
.LBB25_66:
	s_or_b32 exec_lo, exec_lo, s0
	s_and_saveexec_b32 s0, vcc_lo
	s_cbranch_execnz .LBB25_100
.LBB25_67:
	s_or_b32 exec_lo, exec_lo, s0
	s_and_saveexec_b32 s0, vcc_lo
	s_cbranch_execnz .LBB25_101
.LBB25_68:
	s_or_b32 exec_lo, exec_lo, s0
	s_and_saveexec_b32 s0, vcc_lo
	s_cbranch_execnz .LBB25_102
.LBB25_69:
	s_or_b32 exec_lo, exec_lo, s0
	s_and_saveexec_b32 s0, vcc_lo
	s_cbranch_execnz .LBB25_103
.LBB25_70:
	s_or_b32 exec_lo, exec_lo, s0
	s_and_saveexec_b32 s0, vcc_lo
	s_cbranch_execnz .LBB25_104
.LBB25_71:
	s_or_b32 exec_lo, exec_lo, s0
	s_and_saveexec_b32 s0, vcc_lo
	s_cbranch_execnz .LBB25_105
.LBB25_72:
	s_or_b32 exec_lo, exec_lo, s0
	s_and_saveexec_b32 s0, vcc_lo
	s_cbranch_execnz .LBB25_106
.LBB25_73:
	s_or_b32 exec_lo, exec_lo, s0
	s_and_saveexec_b32 s0, vcc_lo
	s_cbranch_execz .LBB25_75
.LBB25_74:
	v_lshl_add_u32 v16, v13, 2, v14
	ds_load_b32 v16, v16 offset:704
	s_waitcnt lgkmcnt(0)
	v_add_f32_e32 v12, v12, v16
.LBB25_75:
	s_or_b32 exec_lo, exec_lo, s0
.LBB25_76:
	s_delay_alu instid0(SALU_CYCLE_1)
	s_or_b32 exec_lo, exec_lo, s1
	v_and_b32_e32 v16, 0x3e1, v0
	s_mov_b32 s1, exec_lo
	s_barrier
	buffer_gl0_inv
	v_cmpx_eq_u32_e32 32, v16
	s_cbranch_execz .LBB25_78
; %bb.77:
	v_add3_u32 v15, v14, v15, 0xfffffd00
	ds_store_2addr_b32 v15, v1, v2 offset1:16
	ds_store_2addr_b32 v15, v3, v4 offset0:32 offset1:48
	ds_store_2addr_b32 v15, v5, v6 offset0:64 offset1:80
	;; [unrolled: 1-line block ×5, first 2 shown]
.LBB25_78:
	s_or_b32 exec_lo, exec_lo, s1
	s_delay_alu instid0(SALU_CYCLE_1)
	s_mov_b32 s1, exec_lo
	s_waitcnt lgkmcnt(0)
	s_barrier
	buffer_gl0_inv
	v_cmpx_gt_u32_e32 32, v0
	s_cbranch_execz .LBB25_93
; %bb.79:
	v_lshl_add_u32 v13, v13, 2, v14
	s_and_saveexec_b32 s0, vcc_lo
	s_cbranch_execnz .LBB25_107
; %bb.80:
	s_or_b32 exec_lo, exec_lo, s0
	s_and_saveexec_b32 s0, vcc_lo
	s_cbranch_execnz .LBB25_108
.LBB25_81:
	s_or_b32 exec_lo, exec_lo, s0
	s_and_saveexec_b32 s0, vcc_lo
	s_cbranch_execnz .LBB25_109
.LBB25_82:
	s_or_b32 exec_lo, exec_lo, s0
	s_and_saveexec_b32 s0, vcc_lo
	s_cbranch_execnz .LBB25_110
.LBB25_83:
	s_or_b32 exec_lo, exec_lo, s0
	s_and_saveexec_b32 s0, vcc_lo
	s_cbranch_execnz .LBB25_111
.LBB25_84:
	s_or_b32 exec_lo, exec_lo, s0
	s_and_saveexec_b32 s0, vcc_lo
	s_cbranch_execnz .LBB25_112
.LBB25_85:
	s_or_b32 exec_lo, exec_lo, s0
	s_and_saveexec_b32 s0, vcc_lo
	s_cbranch_execnz .LBB25_113
.LBB25_86:
	s_or_b32 exec_lo, exec_lo, s0
	s_and_saveexec_b32 s0, vcc_lo
	s_cbranch_execnz .LBB25_114
.LBB25_87:
	s_or_b32 exec_lo, exec_lo, s0
	s_and_saveexec_b32 s0, vcc_lo
	s_cbranch_execnz .LBB25_115
.LBB25_88:
	s_or_b32 exec_lo, exec_lo, s0
	s_and_saveexec_b32 s0, vcc_lo
	s_cbranch_execnz .LBB25_116
.LBB25_89:
	s_or_b32 exec_lo, exec_lo, s0
	s_and_saveexec_b32 s0, vcc_lo
	s_cbranch_execnz .LBB25_117
.LBB25_90:
	s_or_b32 exec_lo, exec_lo, s0
	s_and_saveexec_b32 s0, vcc_lo
	s_cbranch_execz .LBB25_92
.LBB25_91:
	ds_load_b32 v13, v13 offset:704
	s_waitcnt lgkmcnt(0)
	v_add_f32_e32 v12, v12, v13
.LBB25_92:
	s_or_b32 exec_lo, exec_lo, s0
.LBB25_93:
	s_delay_alu instid0(SALU_CYCLE_1)
	s_or_b32 exec_lo, exec_lo, s1
	s_barrier
	buffer_gl0_inv
	s_mov_b32 s0, exec_lo
	v_cmpx_eq_u32_e32 0, v16
	s_cbranch_execz .LBB25_95
; %bb.94:
	s_mul_i32 s0, s2, 0xc0
	s_mul_i32 s2, s15, s22
	s_ashr_i32 s1, s0, 31
	v_lshlrev_b32_e32 v0, 1, v0
	s_lshl_b64 s[0:1], s[0:1], 2
	s_delay_alu instid0(SALU_CYCLE_1) | instskip(SKIP_2) | instid1(SALU_CYCLE_1)
	s_add_u32 s4, s20, s0
	s_addc_u32 s5, s21, s1
	s_ashr_i32 s3, s2, 31
	s_lshl_b64 s[0:1], s[2:3], 2
	s_mul_i32 s2, s12, 0xc0
	s_add_u32 s4, s4, s0
	s_addc_u32 s5, s5, s1
	s_ashr_i32 s3, s2, 31
	s_delay_alu instid0(SALU_CYCLE_1) | instskip(NEXT) | instid1(SALU_CYCLE_1)
	s_lshl_b64 s[0:1], s[2:3], 2
	s_add_u32 s0, s4, s0
	s_addc_u32 s1, s5, s1
	s_clause 0xb
	global_store_b32 v0, v1, s[0:1]
	global_store_b32 v0, v2, s[0:1] offset:64
	global_store_b32 v0, v3, s[0:1] offset:128
	;; [unrolled: 1-line block ×11, first 2 shown]
.LBB25_95:
	s_nop 0
	s_sendmsg sendmsg(MSG_DEALLOC_VGPRS)
	s_endpgm
.LBB25_96:
	v_lshl_add_u32 v16, v13, 2, v14
	ds_load_b32 v16, v16
	s_waitcnt lgkmcnt(0)
	v_add_f32_e32 v1, v1, v16
	s_or_b32 exec_lo, exec_lo, s0
	s_and_saveexec_b32 s0, vcc_lo
	s_cbranch_execz .LBB25_64
.LBB25_97:
	v_lshl_add_u32 v16, v13, 2, v14
	ds_load_b32 v16, v16 offset:64
	s_waitcnt lgkmcnt(0)
	v_add_f32_e32 v2, v2, v16
	s_or_b32 exec_lo, exec_lo, s0
	s_and_saveexec_b32 s0, vcc_lo
	s_cbranch_execz .LBB25_65
.LBB25_98:
	v_lshl_add_u32 v16, v13, 2, v14
	ds_load_b32 v16, v16 offset:128
	s_waitcnt lgkmcnt(0)
	v_add_f32_e32 v3, v3, v16
	s_or_b32 exec_lo, exec_lo, s0
	s_and_saveexec_b32 s0, vcc_lo
	s_cbranch_execz .LBB25_66
.LBB25_99:
	v_lshl_add_u32 v16, v13, 2, v14
	ds_load_b32 v16, v16 offset:192
	s_waitcnt lgkmcnt(0)
	v_add_f32_e32 v4, v4, v16
	s_or_b32 exec_lo, exec_lo, s0
	s_and_saveexec_b32 s0, vcc_lo
	s_cbranch_execz .LBB25_67
.LBB25_100:
	v_lshl_add_u32 v16, v13, 2, v14
	ds_load_b32 v16, v16 offset:256
	s_waitcnt lgkmcnt(0)
	v_add_f32_e32 v5, v5, v16
	s_or_b32 exec_lo, exec_lo, s0
	s_and_saveexec_b32 s0, vcc_lo
	s_cbranch_execz .LBB25_68
.LBB25_101:
	v_lshl_add_u32 v16, v13, 2, v14
	ds_load_b32 v16, v16 offset:320
	s_waitcnt lgkmcnt(0)
	v_add_f32_e32 v6, v6, v16
	s_or_b32 exec_lo, exec_lo, s0
	s_and_saveexec_b32 s0, vcc_lo
	s_cbranch_execz .LBB25_69
.LBB25_102:
	v_lshl_add_u32 v16, v13, 2, v14
	ds_load_b32 v16, v16 offset:384
	s_waitcnt lgkmcnt(0)
	v_add_f32_e32 v7, v7, v16
	s_or_b32 exec_lo, exec_lo, s0
	s_and_saveexec_b32 s0, vcc_lo
	s_cbranch_execz .LBB25_70
.LBB25_103:
	v_lshl_add_u32 v16, v13, 2, v14
	ds_load_b32 v16, v16 offset:448
	s_waitcnt lgkmcnt(0)
	v_add_f32_e32 v8, v8, v16
	s_or_b32 exec_lo, exec_lo, s0
	s_and_saveexec_b32 s0, vcc_lo
	s_cbranch_execz .LBB25_71
.LBB25_104:
	v_lshl_add_u32 v16, v13, 2, v14
	ds_load_b32 v16, v16 offset:512
	s_waitcnt lgkmcnt(0)
	v_add_f32_e32 v9, v9, v16
	s_or_b32 exec_lo, exec_lo, s0
	s_and_saveexec_b32 s0, vcc_lo
	s_cbranch_execz .LBB25_72
.LBB25_105:
	v_lshl_add_u32 v16, v13, 2, v14
	ds_load_b32 v16, v16 offset:576
	s_waitcnt lgkmcnt(0)
	v_add_f32_e32 v10, v10, v16
	s_or_b32 exec_lo, exec_lo, s0
	s_and_saveexec_b32 s0, vcc_lo
	s_cbranch_execz .LBB25_73
.LBB25_106:
	v_lshl_add_u32 v16, v13, 2, v14
	ds_load_b32 v16, v16 offset:640
	s_waitcnt lgkmcnt(0)
	v_add_f32_e32 v11, v11, v16
	s_or_b32 exec_lo, exec_lo, s0
	s_and_saveexec_b32 s0, vcc_lo
	s_cbranch_execnz .LBB25_74
	s_branch .LBB25_75
.LBB25_107:
	ds_load_b32 v14, v13
	s_waitcnt lgkmcnt(0)
	v_add_f32_e32 v1, v1, v14
	s_or_b32 exec_lo, exec_lo, s0
	s_and_saveexec_b32 s0, vcc_lo
	s_cbranch_execz .LBB25_81
.LBB25_108:
	ds_load_b32 v14, v13 offset:64
	s_waitcnt lgkmcnt(0)
	v_add_f32_e32 v2, v2, v14
	s_or_b32 exec_lo, exec_lo, s0
	s_and_saveexec_b32 s0, vcc_lo
	s_cbranch_execz .LBB25_82
.LBB25_109:
	ds_load_b32 v14, v13 offset:128
	s_waitcnt lgkmcnt(0)
	v_add_f32_e32 v3, v3, v14
	s_or_b32 exec_lo, exec_lo, s0
	s_and_saveexec_b32 s0, vcc_lo
	s_cbranch_execz .LBB25_83
.LBB25_110:
	ds_load_b32 v14, v13 offset:192
	s_waitcnt lgkmcnt(0)
	v_add_f32_e32 v4, v4, v14
	s_or_b32 exec_lo, exec_lo, s0
	s_and_saveexec_b32 s0, vcc_lo
	s_cbranch_execz .LBB25_84
.LBB25_111:
	ds_load_b32 v14, v13 offset:256
	s_waitcnt lgkmcnt(0)
	v_add_f32_e32 v5, v5, v14
	s_or_b32 exec_lo, exec_lo, s0
	s_and_saveexec_b32 s0, vcc_lo
	s_cbranch_execz .LBB25_85
.LBB25_112:
	ds_load_b32 v14, v13 offset:320
	s_waitcnt lgkmcnt(0)
	v_add_f32_e32 v6, v6, v14
	s_or_b32 exec_lo, exec_lo, s0
	s_and_saveexec_b32 s0, vcc_lo
	s_cbranch_execz .LBB25_86
.LBB25_113:
	ds_load_b32 v14, v13 offset:384
	s_waitcnt lgkmcnt(0)
	v_add_f32_e32 v7, v7, v14
	s_or_b32 exec_lo, exec_lo, s0
	s_and_saveexec_b32 s0, vcc_lo
	s_cbranch_execz .LBB25_87
.LBB25_114:
	ds_load_b32 v14, v13 offset:448
	s_waitcnt lgkmcnt(0)
	v_add_f32_e32 v8, v8, v14
	s_or_b32 exec_lo, exec_lo, s0
	s_and_saveexec_b32 s0, vcc_lo
	s_cbranch_execz .LBB25_88
.LBB25_115:
	ds_load_b32 v14, v13 offset:512
	s_waitcnt lgkmcnt(0)
	v_add_f32_e32 v9, v9, v14
	s_or_b32 exec_lo, exec_lo, s0
	s_and_saveexec_b32 s0, vcc_lo
	s_cbranch_execz .LBB25_89
.LBB25_116:
	ds_load_b32 v14, v13 offset:576
	s_waitcnt lgkmcnt(0)
	v_add_f32_e32 v10, v10, v14
	s_or_b32 exec_lo, exec_lo, s0
	s_and_saveexec_b32 s0, vcc_lo
	s_cbranch_execz .LBB25_90
.LBB25_117:
	ds_load_b32 v14, v13 offset:640
	s_waitcnt lgkmcnt(0)
	v_add_f32_e32 v11, v11, v14
	s_or_b32 exec_lo, exec_lo, s0
	s_and_saveexec_b32 s0, vcc_lo
	s_cbranch_execnz .LBB25_91
	s_branch .LBB25_92
	.section	.rodata,"a",@progbits
	.p2align	6, 0x0
	.amdhsa_kernel _ZN4vllm25paged_attention_v2_kernelIffLi192ELi8ELi128ELNS_18Fp8KVCacheDataTypeE0ELb0ELi512EEEvPfS2_PT_PKS3_PKT0_S9_ifPKiSB_iPKfiiiSD_SD_iiiii
		.amdhsa_group_segment_fixed_size 800
		.amdhsa_private_segment_fixed_size 0
		.amdhsa_kernarg_size 400
		.amdhsa_user_sgpr_count 13
		.amdhsa_user_sgpr_dispatch_ptr 0
		.amdhsa_user_sgpr_queue_ptr 0
		.amdhsa_user_sgpr_kernarg_segment_ptr 1
		.amdhsa_user_sgpr_dispatch_id 0
		.amdhsa_user_sgpr_private_segment_size 0
		.amdhsa_wavefront_size32 1
		.amdhsa_uses_dynamic_stack 0
		.amdhsa_enable_private_segment 0
		.amdhsa_system_sgpr_workgroup_id_x 1
		.amdhsa_system_sgpr_workgroup_id_y 1
		.amdhsa_system_sgpr_workgroup_id_z 1
		.amdhsa_system_sgpr_workgroup_info 0
		.amdhsa_system_vgpr_workitem_id 0
		.amdhsa_next_free_vgpr 113
		.amdhsa_next_free_sgpr 42
		.amdhsa_reserve_vcc 1
		.amdhsa_float_round_mode_32 0
		.amdhsa_float_round_mode_16_64 0
		.amdhsa_float_denorm_mode_32 3
		.amdhsa_float_denorm_mode_16_64 3
		.amdhsa_dx10_clamp 1
		.amdhsa_ieee_mode 1
		.amdhsa_fp16_overflow 0
		.amdhsa_workgroup_processor_mode 1
		.amdhsa_memory_ordered 1
		.amdhsa_forward_progress 0
		.amdhsa_shared_vgpr_count 0
		.amdhsa_exception_fp_ieee_invalid_op 0
		.amdhsa_exception_fp_denorm_src 0
		.amdhsa_exception_fp_ieee_div_zero 0
		.amdhsa_exception_fp_ieee_overflow 0
		.amdhsa_exception_fp_ieee_underflow 0
		.amdhsa_exception_fp_ieee_inexact 0
		.amdhsa_exception_int_div_zero 0
	.end_amdhsa_kernel
	.section	.text._ZN4vllm25paged_attention_v2_kernelIffLi192ELi8ELi128ELNS_18Fp8KVCacheDataTypeE0ELb0ELi512EEEvPfS2_PT_PKS3_PKT0_S9_ifPKiSB_iPKfiiiSD_SD_iiiii,"axG",@progbits,_ZN4vllm25paged_attention_v2_kernelIffLi192ELi8ELi128ELNS_18Fp8KVCacheDataTypeE0ELb0ELi512EEEvPfS2_PT_PKS3_PKT0_S9_ifPKiSB_iPKfiiiSD_SD_iiiii,comdat
.Lfunc_end25:
	.size	_ZN4vllm25paged_attention_v2_kernelIffLi192ELi8ELi128ELNS_18Fp8KVCacheDataTypeE0ELb0ELi512EEEvPfS2_PT_PKS3_PKT0_S9_ifPKiSB_iPKfiiiSD_SD_iiiii, .Lfunc_end25-_ZN4vllm25paged_attention_v2_kernelIffLi192ELi8ELi128ELNS_18Fp8KVCacheDataTypeE0ELb0ELi512EEEvPfS2_PT_PKS3_PKT0_S9_ifPKiSB_iPKfiiiSD_SD_iiiii
                                        ; -- End function
	.section	.AMDGPU.csdata,"",@progbits
; Kernel info:
; codeLenInByte = 7060
; NumSgprs: 44
; NumVgprs: 113
; ScratchSize: 0
; MemoryBound: 0
; FloatMode: 240
; IeeeMode: 1
; LDSByteSize: 800 bytes/workgroup (compile time only)
; SGPRBlocks: 5
; VGPRBlocks: 14
; NumSGPRsForWavesPerEU: 44
; NumVGPRsForWavesPerEU: 113
; Occupancy: 12
; WaveLimiterHint : 1
; COMPUTE_PGM_RSRC2:SCRATCH_EN: 0
; COMPUTE_PGM_RSRC2:USER_SGPR: 13
; COMPUTE_PGM_RSRC2:TRAP_HANDLER: 0
; COMPUTE_PGM_RSRC2:TGID_X_EN: 1
; COMPUTE_PGM_RSRC2:TGID_Y_EN: 1
; COMPUTE_PGM_RSRC2:TGID_Z_EN: 1
; COMPUTE_PGM_RSRC2:TIDIG_COMP_CNT: 0
	.section	.text._ZN4vllm25paged_attention_v2_kernelIffLi256ELi8ELi128ELNS_18Fp8KVCacheDataTypeE0ELb0ELi512EEEvPfS2_PT_PKS3_PKT0_S9_ifPKiSB_iPKfiiiSD_SD_iiiii,"axG",@progbits,_ZN4vllm25paged_attention_v2_kernelIffLi256ELi8ELi128ELNS_18Fp8KVCacheDataTypeE0ELb0ELi512EEEvPfS2_PT_PKS3_PKT0_S9_ifPKiSB_iPKfiiiSD_SD_iiiii,comdat
	.protected	_ZN4vllm25paged_attention_v2_kernelIffLi256ELi8ELi128ELNS_18Fp8KVCacheDataTypeE0ELb0ELi512EEEvPfS2_PT_PKS3_PKT0_S9_ifPKiSB_iPKfiiiSD_SD_iiiii ; -- Begin function _ZN4vllm25paged_attention_v2_kernelIffLi256ELi8ELi128ELNS_18Fp8KVCacheDataTypeE0ELb0ELi512EEEvPfS2_PT_PKS3_PKT0_S9_ifPKiSB_iPKfiiiSD_SD_iiiii
	.globl	_ZN4vllm25paged_attention_v2_kernelIffLi256ELi8ELi128ELNS_18Fp8KVCacheDataTypeE0ELb0ELi512EEEvPfS2_PT_PKS3_PKT0_S9_ifPKiSB_iPKfiiiSD_SD_iiiii
	.p2align	8
	.type	_ZN4vllm25paged_attention_v2_kernelIffLi256ELi8ELi128ELNS_18Fp8KVCacheDataTypeE0ELb0ELi512EEEvPfS2_PT_PKS3_PKT0_S9_ifPKiSB_iPKfiiiSD_SD_iiiii,@function
_ZN4vllm25paged_attention_v2_kernelIffLi256ELi8ELi128ELNS_18Fp8KVCacheDataTypeE0ELb0ELi512EEEvPfS2_PT_PKS3_PKT0_S9_ifPKiSB_iPKfiiiSD_SD_iiiii: ; @_ZN4vllm25paged_attention_v2_kernelIffLi256ELi8ELi128ELNS_18Fp8KVCacheDataTypeE0ELb0ELi512EEEvPfS2_PT_PKS3_PKT0_S9_ifPKiSB_iPKfiiiSD_SD_iiiii
; %bb.0:
	s_load_b64 s[2:3], s[0:1], 0x40
	s_mov_b32 s12, s15
	s_ashr_i32 s15, s14, 31
	s_delay_alu instid0(SALU_CYCLE_1)
	s_lshl_b64 s[4:5], s[14:15], 2
	s_waitcnt lgkmcnt(0)
	s_add_u32 s2, s2, s4
	s_addc_u32 s3, s3, s5
	s_lshl_b32 s34, s12, 9
	s_load_b32 s33, s[2:3], 0x0
	s_waitcnt lgkmcnt(0)
	s_cmp_ge_i32 s34, s33
	s_cbranch_scc1 .LBB26_111
; %bb.1:
	s_mov_b32 s26, s13
	s_clause 0x1
	s_load_b32 s13, s[0:1], 0x90
	s_load_b64 s[30:31], s[0:1], 0x30
	s_mov_b32 s27, 0
	s_waitcnt lgkmcnt(0)
	s_abs_i32 s5, s13
	s_abs_i32 s2, s30
	s_delay_alu instid0(SALU_CYCLE_1) | instskip(SKIP_1) | instid1(VALU_DEP_1)
	v_cvt_f32_u32_e32 v1, s2
	s_sub_i32 s4, 0, s2
	v_rcp_iflag_f32_e32 v1, v1
	s_waitcnt_depctr 0xfff
	v_mul_f32_e32 v1, 0x4f7ffffe, v1
	s_delay_alu instid0(VALU_DEP_1) | instskip(NEXT) | instid1(VALU_DEP_1)
	v_cvt_u32_f32_e32 v1, v1
	v_readfirstlane_b32 s3, v1
	s_delay_alu instid0(VALU_DEP_1) | instskip(NEXT) | instid1(SALU_CYCLE_1)
	s_mul_i32 s4, s4, s3
	s_mul_hi_u32 s4, s3, s4
	s_delay_alu instid0(SALU_CYCLE_1) | instskip(SKIP_4) | instid1(SALU_CYCLE_1)
	s_add_i32 s3, s3, s4
	s_xor_b32 s4, s13, s30
	s_mul_hi_u32 s3, s5, s3
	s_ashr_i32 s4, s4, 31
	s_mul_i32 s6, s3, s2
	s_sub_i32 s5, s5, s6
	s_add_i32 s6, s3, 1
	s_sub_i32 s7, s5, s2
	s_cmp_ge_u32 s5, s2
	s_cselect_b32 s3, s6, s3
	s_cselect_b32 s5, s7, s5
	s_add_i32 s6, s3, 1
	s_cmp_ge_u32 s5, s2
	s_cselect_b32 s2, s6, s3
	s_abs_i32 s29, s26
	s_xor_b32 s2, s2, s4
	s_delay_alu instid0(SALU_CYCLE_1) | instskip(SKIP_2) | instid1(SALU_CYCLE_1)
	s_sub_i32 s30, s2, s4
	s_load_b64 s[2:3], s[0:1], 0x50
	s_abs_i32 s28, s30
	v_cvt_f32_u32_e32 v1, s28
	s_sub_i32 s4, 0, s28
	s_delay_alu instid0(VALU_DEP_1) | instskip(SKIP_2) | instid1(VALU_DEP_1)
	v_rcp_iflag_f32_e32 v1, v1
	s_waitcnt_depctr 0xfff
	v_mul_f32_e32 v1, 0x4f7ffffe, v1
	v_cvt_u32_f32_e32 v1, v1
	s_delay_alu instid0(VALU_DEP_1) | instskip(NEXT) | instid1(VALU_DEP_1)
	v_readfirstlane_b32 s23, v1
	s_mul_i32 s4, s4, s23
	s_delay_alu instid0(SALU_CYCLE_1) | instskip(NEXT) | instid1(SALU_CYCLE_1)
	s_mul_hi_u32 s4, s23, s4
	s_add_i32 s23, s23, s4
	s_waitcnt lgkmcnt(0)
	s_cmp_eq_u64 s[2:3], 0
	s_cbranch_scc1 .LBB26_3
; %bb.2:
	s_ashr_i32 s27, s26, 31
	s_delay_alu instid0(SALU_CYCLE_1) | instskip(NEXT) | instid1(SALU_CYCLE_1)
	s_lshl_b64 s[4:5], s[26:27], 2
	s_add_u32 s2, s2, s4
	s_addc_u32 s3, s3, s5
	s_load_b32 s27, s[2:3], 0x0
.LBB26_3:
	s_clause 0x5
	s_load_b128 s[16:19], s[0:1], 0x0
	s_load_b64 s[20:21], s[0:1], 0x10
	s_load_b128 s[8:11], s[0:1], 0x20
	s_load_b64 s[24:25], s[0:1], 0x38
	s_load_b32 s15, s[0:1], 0x98
	s_load_b128 s[4:7], s[0:1], 0x58
	v_and_b32_e32 v49, 3, v0
	s_lshl_b32 s22, s26, 8
	s_mul_hi_u32 s2, s29, s23
	s_ashr_i32 s23, s22, 31
	s_mov_b32 s3, exec_lo
	v_cmpx_gt_u32_e32 0x100, v0
	s_cbranch_execz .LBB26_6
; %bb.4:
	s_load_b64 s[36:37], s[0:1], 0x18
	v_and_b32_e32 v1, 0x3fc, v0
	s_waitcnt lgkmcnt(0)
	s_mul_i32 s38, s14, s4
	s_lshl_b64 s[40:41], s[22:23], 2
	s_ashr_i32 s39, s38, 31
	v_lshrrev_b32_e32 v2, 2, v0
	v_or_b32_e32 v5, v1, v49
	s_lshl_b64 s[38:39], s[38:39], 2
	v_lshl_add_u32 v4, v49, 8, v1
	s_add_u32 s4, s38, s40
	s_addc_u32 s7, s39, s41
	v_lshlrev_b32_e32 v1, 2, v5
	v_subrev_nc_u32_e32 v3, 32, v2
	s_add_u32 s4, s36, s4
	s_addc_u32 s7, s37, s7
	s_delay_alu instid0(VALU_DEP_2) | instskip(NEXT) | instid1(VALU_DEP_1)
	v_add_co_u32 v1, s4, s4, v1
	v_add_co_ci_u32_e64 v2, null, s7, 0, s4
	s_mov_b32 s4, 0
	.p2align	6
.LBB26_5:                               ; =>This Inner Loop Header: Depth=1
	global_load_b32 v5, v[1:2], off
	v_add_co_u32 v3, s7, v3, 32
	v_add_co_u32 v1, vcc_lo, 0x200, v1
	s_xor_b32 s7, s7, -1
	v_add_co_ci_u32_e32 v2, vcc_lo, 0, v2, vcc_lo
	s_and_b32 s7, exec_lo, s7
	s_delay_alu instid0(SALU_CYCLE_1)
	s_or_b32 s4, s7, s4
	s_waitcnt vmcnt(0)
	ds_store_b32 v4, v5
	v_add_nc_u32_e32 v4, 0x80, v4
	s_and_not1_b32 exec_lo, exec_lo, s4
	s_cbranch_execnz .LBB26_5
.LBB26_6:
	s_or_b32 exec_lo, exec_lo, s3
	s_waitcnt lgkmcnt(0)
	s_add_i32 s7, s33, 7
	s_ashr_i32 s3, s26, 31
	s_ashr_i32 s4, s30, 31
	;; [unrolled: 1-line block ×3, first 2 shown]
	s_xor_b32 s3, s3, s4
	s_lshr_b32 s4, s23, 29
	s_lshl_b32 s30, s12, 6
	s_add_i32 s7, s7, s4
	s_mul_i32 s35, s2, s28
	s_ashr_i32 s23, s7, 3
	s_load_b32 s7, s[0:1], 0x48
	s_add_i32 s4, s30, 64
	s_sub_i32 s0, s29, s35
	s_min_i32 s4, s4, s23
	s_add_i32 s1, s2, 1
	s_sub_i32 s29, s0, s28
	s_cmp_ge_u32 s0, s28
	v_lshrrev_b32_e32 v72, 5, v0
	s_cselect_b32 s1, s1, s2
	s_cselect_b32 s0, s29, s0
	s_add_i32 s2, s1, 1
	s_cmp_ge_u32 s0, s28
	v_or_b32_e32 v69, s30, v72
	s_cselect_b32 s0, s2, s1
	v_mbcnt_lo_u32_b32 v67, -1, 0
	s_xor_b32 s0, s0, s3
	s_waitcnt lgkmcnt(0)
	s_sub_i32 s1, s0, s3
	v_cmp_gt_i32_e64 s0, s4, v69
	s_mov_b32 s3, exec_lo
	s_mul_i32 s28, s14, s7
	s_barrier
	s_ashr_i32 s29, s28, 31
	buffer_gl0_inv
                                        ; implicit-def: $sgpr2
                                        ; implicit-def: $vgpr68
	v_cmpx_le_i32_e64 s4, v69
	s_xor_b32 s3, exec_lo, s3
; %bb.7:
	v_mbcnt_lo_u32_b32 v67, -1, 0
	v_mov_b32_e32 v68, 32
	s_mov_b32 s2, 0xff7fffff
                                        ; implicit-def: $vgpr49
; %bb.8:
	s_or_saveexec_b32 s35, s3
	v_mov_b32_e32 v74, s2
	v_ashrrev_i32_e32 v70, 31, v69
	s_mul_i32 s6, s1, s6
	s_xor_b32 exec_lo, exec_lo, s35
	s_cbranch_execz .LBB26_14
; %bb.9:
	v_bfe_u32 v65, v0, 2, 3
	s_ashr_i32 s7, s6, 31
	v_xor_b32_e32 v42, 1, v67
	s_lshl_b64 s[2:3], s[6:7], 2
	v_dual_mov_b32 v68, 32 :: v_dual_lshlrev_b32 v1, 2, v49
	v_lshlrev_b32_e32 v2, 4, v65
	s_add_u32 s1, s8, s2
	s_addc_u32 s2, s9, s3
	v_xor_b32_e32 v41, 2, v67
	v_lshlrev_b32_e32 v61, 8, v49
	v_add_co_u32 v2, s1, s1, v2
	s_delay_alu instid0(VALU_DEP_1) | instskip(SKIP_1) | instid1(VALU_DEP_3)
	v_add_co_ci_u32_e64 v3, null, s2, 0, s1
	v_lshlrev_b32_e32 v74, 3, v72
	v_add_co_u32 v71, vcc_lo, v2, v1
	s_delay_alu instid0(VALU_DEP_3) | instskip(SKIP_1) | instid1(VALU_DEP_4)
	v_add_co_ci_u32_e32 v73, vcc_lo, 0, v3, vcc_lo
	v_cmp_gt_i32_e32 vcc_lo, 32, v41
	v_add3_u32 v77, s34, v74, v65
	v_mov_b32_e32 v74, 0xff7fffff
	ds_load_b128 v[1:4], v61
	ds_load_b128 v[5:8], v61 offset:16
	ds_load_b128 v[9:12], v61 offset:32
	;; [unrolled: 1-line block ×7, first 2 shown]
	v_cndmask_b32_e32 v50, v67, v41, vcc_lo
	v_cmp_gt_i32_e32 vcc_lo, 32, v42
	ds_load_b128 v[33:36], v61 offset:128
	ds_load_b128 v[37:40], v61 offset:144
	v_dual_mov_b32 v79, v69 :: v_dual_lshlrev_b32 v66, 2, v65
	v_lshlrev_b32_e32 v75, 2, v50
	v_cndmask_b32_e32 v51, v67, v42, vcc_lo
	ds_load_b128 v[41:44], v61 offset:160
	ds_load_b128 v[45:48], v61 offset:176
	v_cmp_eq_u32_e32 vcc_lo, 0, v49
	v_lshl_or_b32 v78, v72, 5, v66
	v_lshlrev_b64 v[65:66], 2, v[69:70]
	v_lshlrev_b32_e32 v76, 2, v51
	ds_load_b128 v[49:52], v61 offset:192
	ds_load_b128 v[53:56], v61 offset:208
	;; [unrolled: 1-line block ×4, first 2 shown]
	s_lshl_b64 s[2:3], s[28:29], 2
	s_sub_i32 s7, 1, s33
	s_add_u32 s2, s24, s2
	s_addc_u32 s3, s25, s3
	v_add_co_u32 v65, s2, s2, v65
	v_cmp_neq_f32_e64 s1, s27, 0
	v_add_nc_u32_e32 v78, 0x420, v78
	v_add_co_ci_u32_e64 v66, s2, s3, v66, s2
	s_mov_b32 s9, s5
	s_mov_b32 s8, 0
	s_branch .LBB26_11
.LBB26_10:                              ;   in Loop: Header=BB26_11 Depth=1
	s_or_b32 exec_lo, exec_lo, s3
	v_add_nc_u32_e32 v79, 4, v79
	v_add_co_u32 v65, s3, v65, 16
	v_add_nc_u32_e32 v77, 32, v77
	v_add_nc_u32_e32 v78, 0x80, v78
	s_delay_alu instid0(VALU_DEP_4) | instskip(SKIP_1) | instid1(VALU_DEP_2)
	v_cmp_le_i32_e64 s2, s4, v79
	v_add_co_ci_u32_e64 v66, s3, 0, v66, s3
	s_or_b32 s8, s2, s8
	s_delay_alu instid0(SALU_CYCLE_1)
	s_and_not1_b32 exec_lo, exec_lo, s8
	s_cbranch_execz .LBB26_13
.LBB26_11:                              ; =>This Inner Loop Header: Depth=1
	global_load_b32 v82, v[65:66], off
	s_waitcnt vmcnt(0) lgkmcnt(0)
	v_mad_i64_i32 v[80:81], null, v82, s9, 0
	s_delay_alu instid0(VALU_DEP_1) | instskip(NEXT) | instid1(VALU_DEP_1)
	v_lshlrev_b64 v[80:81], 2, v[80:81]
	v_add_co_u32 v80, s2, v71, v80
	s_delay_alu instid0(VALU_DEP_1)
	v_add_co_ci_u32_e64 v81, s2, v73, v81, s2
	s_clause 0x1e
	global_load_b32 v84, v[80:81], off offset:128
	global_load_b32 v85, v[80:81], off offset:256
	;; [unrolled: 1-line block ×7, first 2 shown]
	global_load_b32 v91, v[80:81], off
	global_load_b32 v92, v[80:81], off offset:1024
	global_load_b32 v93, v[80:81], off offset:1152
	;; [unrolled: 1-line block ×23, first 2 shown]
	v_add_co_u32 v82, s2, 0x1000, v80
	s_delay_alu instid0(VALU_DEP_1)
	v_add_co_ci_u32_e64 v83, s2, 0, v81, s2
	s_clause 0x1f
	global_load_b32 v80, v[80:81], off offset:3968
	global_load_b32 v81, v[82:83], off
	global_load_b32 v115, v[82:83], off offset:128
	global_load_b32 v116, v[82:83], off offset:256
	;; [unrolled: 1-line block ×31, first 2 shown]
	s_waitcnt vmcnt(62) lgkmcnt(15)
	v_mul_f32_e32 v83, v2, v84
	s_waitcnt vmcnt(56)
	s_delay_alu instid0(VALU_DEP_1) | instskip(NEXT) | instid1(VALU_DEP_1)
	v_fmac_f32_e32 v83, v1, v91
	v_fmac_f32_e32 v83, v3, v85
	s_delay_alu instid0(VALU_DEP_1) | instskip(SKIP_1) | instid1(VALU_DEP_1)
	v_fmac_f32_e32 v83, v4, v86
	s_waitcnt lgkmcnt(14)
	v_fmac_f32_e32 v83, v5, v87
	s_delay_alu instid0(VALU_DEP_1) | instskip(NEXT) | instid1(VALU_DEP_1)
	v_fmac_f32_e32 v83, v6, v88
	v_fmac_f32_e32 v83, v7, v89
	s_delay_alu instid0(VALU_DEP_1) | instskip(SKIP_1) | instid1(VALU_DEP_1)
	v_fmac_f32_e32 v83, v8, v90
	s_waitcnt vmcnt(55) lgkmcnt(13)
	v_fmac_f32_e32 v83, v9, v92
	s_waitcnt vmcnt(54)
	s_delay_alu instid0(VALU_DEP_1) | instskip(SKIP_1) | instid1(VALU_DEP_1)
	v_fmac_f32_e32 v83, v10, v93
	s_waitcnt vmcnt(53)
	v_fmac_f32_e32 v83, v11, v94
	s_waitcnt vmcnt(52)
	s_delay_alu instid0(VALU_DEP_1) | instskip(SKIP_1) | instid1(VALU_DEP_1)
	v_fmac_f32_e32 v83, v12, v95
	s_waitcnt vmcnt(51) lgkmcnt(12)
	v_fmac_f32_e32 v83, v13, v96
	s_waitcnt vmcnt(50)
	s_delay_alu instid0(VALU_DEP_1) | instskip(SKIP_1) | instid1(VALU_DEP_1)
	v_fmac_f32_e32 v83, v14, v97
	s_waitcnt vmcnt(49)
	v_fmac_f32_e32 v83, v15, v98
	s_waitcnt vmcnt(48)
	;; [unrolled: 10-line block ×14, first 2 shown]
	s_delay_alu instid0(VALU_DEP_1)
	v_fmac_f32_e32 v83, v64, v82
	ds_bpermute_b32 v80, v75, v83
	s_waitcnt lgkmcnt(0)
	v_add_f32_e32 v80, v83, v80
	ds_bpermute_b32 v81, v76, v80
	s_and_saveexec_b32 s3, vcc_lo
	s_cbranch_execz .LBB26_10
; %bb.12:                               ;   in Loop: Header=BB26_11 Depth=1
	s_waitcnt lgkmcnt(0)
	v_add_f32_e32 v80, v80, v81
	v_add_nc_u32_e32 v82, s7, v77
	v_cmp_gt_i32_e64 s2, s33, v77
	s_delay_alu instid0(VALU_DEP_2) | instskip(NEXT) | instid1(VALU_DEP_1)
	v_cvt_f32_i32_e32 v82, v82
	v_mul_f32_e32 v82, s27, v82
	s_delay_alu instid0(VALU_DEP_1) | instskip(NEXT) | instid1(VALU_DEP_1)
	v_cndmask_b32_e64 v81, 0, v82, s1
	v_dual_max_f32 v82, v74, v74 :: v_dual_fmac_f32 v81, s31, v80
	s_delay_alu instid0(VALU_DEP_1) | instskip(SKIP_1) | instid1(VALU_DEP_2)
	v_max_f32_e32 v80, v82, v81
	v_cndmask_b32_e64 v81, 0, v81, s2
	v_cndmask_b32_e64 v74, v74, v80, s2
	ds_store_b32 v78, v81
	s_branch .LBB26_10
.LBB26_13:
	s_or_b32 exec_lo, exec_lo, s8
.LBB26_14:
	s_delay_alu instid0(SALU_CYCLE_1) | instskip(SKIP_4) | instid1(VALU_DEP_4)
	s_or_b32 exec_lo, exec_lo, s35
	v_xor_b32_e32 v1, 16, v67
	v_xor_b32_e32 v3, 8, v67
	v_and_b32_e32 v73, 31, v0
	v_max_f32_e32 v5, v74, v74
	v_cmp_lt_i32_e32 vcc_lo, v1, v68
	v_cndmask_b32_e32 v1, v67, v1, vcc_lo
	v_cmp_lt_i32_e32 vcc_lo, v3, v68
	v_cndmask_b32_e32 v3, v67, v3, vcc_lo
	s_delay_alu instid0(VALU_DEP_1) | instskip(NEXT) | instid1(VALU_DEP_4)
	v_lshlrev_b32_e32 v4, 2, v3
	v_lshlrev_b32_e32 v2, 2, v1
	ds_bpermute_b32 v1, v2, v74
	s_waitcnt lgkmcnt(0)
	v_max_f32_e32 v1, v1, v1
	s_delay_alu instid0(VALU_DEP_1)
	v_max_f32_e32 v1, v5, v1
	v_xor_b32_e32 v5, 4, v67
	ds_bpermute_b32 v3, v4, v1
	v_cmp_lt_i32_e32 vcc_lo, v5, v68
	v_cndmask_b32_e32 v5, v67, v5, vcc_lo
	v_cmp_eq_u32_e32 vcc_lo, 0, v73
	s_delay_alu instid0(VALU_DEP_2) | instskip(SKIP_3) | instid1(VALU_DEP_1)
	v_lshlrev_b32_e32 v7, 2, v5
	v_lshlrev_b32_e32 v5, 2, v72
	s_waitcnt lgkmcnt(0)
	v_max_f32_e32 v3, v3, v3
	v_max_f32_e32 v1, v1, v3
	ds_bpermute_b32 v3, v7, v1
	s_and_saveexec_b32 s1, vcc_lo
	s_cbranch_execz .LBB26_16
; %bb.15:
	s_waitcnt lgkmcnt(0)
	v_max_f32_e32 v3, v3, v3
	v_max_f32_e32 v1, v1, v1
	s_delay_alu instid0(VALU_DEP_1)
	v_max_f32_e32 v1, v1, v3
	ds_store_b32 v5, v1 offset:1024
.LBB26_16:
	s_or_b32 exec_lo, exec_lo, s1
	v_cmp_gt_u32_e64 s1, 4, v73
	v_dual_mov_b32 v1, 0xff7fffff :: v_dual_lshlrev_b32 v6, 2, v73
	s_waitcnt lgkmcnt(0)
	s_barrier
	buffer_gl0_inv
	s_and_saveexec_b32 s2, s1
	s_cbranch_execz .LBB26_18
; %bb.17:
	ds_load_b32 v1, v6 offset:1024
.LBB26_18:
	s_or_b32 exec_lo, exec_lo, s2
	v_xor_b32_e32 v3, 2, v67
	v_xor_b32_e32 v9, 1, v67
	v_mov_b32_e32 v10, 0
	s_delay_alu instid0(VALU_DEP_3) | instskip(NEXT) | instid1(VALU_DEP_1)
	v_cmp_lt_i32_e64 s2, v3, v68
	v_cndmask_b32_e64 v3, v67, v3, s2
	s_delay_alu instid0(VALU_DEP_4) | instskip(NEXT) | instid1(VALU_DEP_2)
	v_cmp_lt_i32_e64 s2, v9, v68
	v_lshlrev_b32_e32 v8, 2, v3
	s_delay_alu instid0(VALU_DEP_2) | instskip(SKIP_1) | instid1(SALU_CYCLE_1)
	v_cndmask_b32_e64 v9, v67, v9, s2
	s_sub_i32 s2, s4, s30
	s_lshl_b32 s2, s2, 3
	s_waitcnt lgkmcnt(0)
	ds_bpermute_b32 v3, v8, v1
	v_max_f32_e32 v1, v1, v1
	v_lshlrev_b32_e32 v74, 2, v9
	v_lshlrev_b32_e32 v9, 2, v67
	s_add_i32 s2, s2, s34
	s_delay_alu instid0(SALU_CYCLE_1) | instskip(NEXT) | instid1(VALU_DEP_1)
	s_min_i32 s2, s2, s33
	v_and_b32_e32 v9, 0xffffff80, v9
	s_sub_i32 s7, s2, s34
	s_delay_alu instid0(SALU_CYCLE_1) | instskip(SKIP_2) | instid1(VALU_DEP_1)
	v_cmp_gt_i32_e64 s2, s7, v0
	s_waitcnt lgkmcnt(0)
	v_max_f32_e32 v3, v3, v3
	v_max_f32_e32 v1, v1, v3
	ds_bpermute_b32 v3, v74, v1
	s_waitcnt lgkmcnt(0)
	v_max_f32_e32 v3, v3, v3
	s_delay_alu instid0(VALU_DEP_1)
	v_max_f32_e32 v1, v1, v3
	v_lshl_add_u32 v3, v0, 2, 0x420
	ds_bpermute_b32 v1, v9, v1
	s_and_saveexec_b32 s8, s2
	s_cbranch_execz .LBB26_22
; %bb.19:
	v_lshl_add_u32 v11, v0, 2, 0x420
	v_mov_b32_e32 v10, 0
	v_mov_b32_e32 v12, v0
	s_mov_b32 s9, 0
	.p2align	6
.LBB26_20:                              ; =>This Inner Loop Header: Depth=1
	ds_load_b32 v13, v11
	v_add_nc_u32_e32 v12, 0x80, v12
	s_delay_alu instid0(VALU_DEP_1) | instskip(NEXT) | instid1(VALU_DEP_1)
	v_cmp_le_i32_e64 s3, s7, v12
	s_or_b32 s9, s3, s9
	s_waitcnt lgkmcnt(0)
	v_sub_f32_e32 v13, v13, v1
	s_delay_alu instid0(VALU_DEP_1) | instskip(NEXT) | instid1(VALU_DEP_1)
	v_mul_f32_e32 v13, 0x3fb8aa3b, v13
	v_exp_f32_e32 v13, v13
	ds_store_b32 v11, v13
	v_dual_add_f32 v10, v10, v13 :: v_dual_add_nc_u32 v11, 0x200, v11
	s_and_not1_b32 exec_lo, exec_lo, s9
	s_cbranch_execnz .LBB26_20
; %bb.21:
	s_or_b32 exec_lo, exec_lo, s9
.LBB26_22:
	s_delay_alu instid0(SALU_CYCLE_1)
	s_or_b32 exec_lo, exec_lo, s8
	ds_bpermute_b32 v2, v2, v10
	s_waitcnt lgkmcnt(0)
	v_add_f32_e32 v2, v10, v2
	ds_bpermute_b32 v4, v4, v2
	s_waitcnt lgkmcnt(0)
	v_add_f32_e32 v2, v2, v4
	;; [unrolled: 3-line block ×5, first 2 shown]
	s_and_saveexec_b32 s3, vcc_lo
	s_cbranch_execz .LBB26_24
; %bb.23:
	ds_store_b32 v5, v2 offset:1040
.LBB26_24:
	s_or_b32 exec_lo, exec_lo, s3
	s_waitcnt lgkmcnt(0)
	s_barrier
	buffer_gl0_inv
	s_and_saveexec_b32 s3, s1
	s_cbranch_execz .LBB26_26
; %bb.25:
	ds_load_b32 v2, v6 offset:1040
.LBB26_26:
	s_or_b32 exec_lo, exec_lo, s3
	s_waitcnt lgkmcnt(0)
	ds_bpermute_b32 v4, v8, v2
	s_waitcnt lgkmcnt(0)
	v_add_f32_e32 v2, v2, v4
	ds_bpermute_b32 v4, v74, v2
	s_waitcnt lgkmcnt(0)
	v_add_f32_e32 v2, v2, v4
	ds_bpermute_b32 v2, v9, v2
	s_and_saveexec_b32 s1, s2
	s_cbranch_execz .LBB26_29
; %bb.27:
	s_waitcnt lgkmcnt(0)
	v_add_f32_e32 v4, 0x358637bd, v2
	s_mov_b32 s2, 0
	s_delay_alu instid0(VALU_DEP_1) | instskip(SKIP_1) | instid1(VALU_DEP_2)
	v_div_scale_f32 v5, null, v4, v4, 1.0
	v_div_scale_f32 v8, vcc_lo, 1.0, v4, 1.0
	v_rcp_f32_e32 v6, v5
	s_waitcnt_depctr 0xfff
	v_fma_f32 v7, -v5, v6, 1.0
	s_delay_alu instid0(VALU_DEP_1) | instskip(NEXT) | instid1(VALU_DEP_1)
	v_fmac_f32_e32 v6, v7, v6
	v_mul_f32_e32 v7, v8, v6
	s_delay_alu instid0(VALU_DEP_1) | instskip(NEXT) | instid1(VALU_DEP_1)
	v_fma_f32 v9, -v5, v7, v8
	v_fmac_f32_e32 v7, v9, v6
	s_delay_alu instid0(VALU_DEP_1) | instskip(NEXT) | instid1(VALU_DEP_1)
	v_fma_f32 v5, -v5, v7, v8
	v_div_fmas_f32 v5, v5, v6, v7
	s_delay_alu instid0(VALU_DEP_1)
	v_div_fixup_f32 v4, v5, v4, 1.0
	v_mov_b32_e32 v5, v0
.LBB26_28:                              ; =>This Inner Loop Header: Depth=1
	ds_load_b32 v6, v3
	s_waitcnt lgkmcnt(0)
	v_dual_mul_f32 v6, v4, v6 :: v_dual_add_nc_u32 v5, 0x80, v5
	s_delay_alu instid0(VALU_DEP_1) | instskip(SKIP_3) | instid1(SALU_CYCLE_1)
	v_cmp_le_i32_e32 vcc_lo, s7, v5
	ds_store_b32 v3, v6
	v_add_nc_u32_e32 v3, 0x200, v3
	s_or_b32 s2, vcc_lo, s2
	s_and_not1_b32 exec_lo, exec_lo, s2
	s_cbranch_execnz .LBB26_28
.LBB26_29:
	s_or_b32 exec_lo, exec_lo, s1
	s_mul_i32 s1, s15, s14
	s_waitcnt lgkmcnt(0)
	s_mul_i32 s2, s1, s13
	s_mov_b32 s1, exec_lo
	s_barrier
	buffer_gl0_inv
	v_cmpx_eq_u32_e32 0, v0
	s_cbranch_execz .LBB26_31
; %bb.30:
	s_ashr_i32 s3, s2, 31
	s_mul_i32 s26, s15, s26
	s_lshl_b64 s[8:9], s[2:3], 2
	v_mov_b32_e32 v3, 0
	s_add_u32 s3, s18, s8
	s_addc_u32 s7, s19, s9
	s_ashr_i32 s27, s26, 31
	s_delay_alu instid0(SALU_CYCLE_1) | instskip(NEXT) | instid1(SALU_CYCLE_1)
	s_lshl_b64 s[18:19], s[26:27], 2
	s_add_u32 s3, s3, s18
	s_addc_u32 s7, s7, s19
	s_ashr_i32 s13, s12, 31
	s_delay_alu instid0(SALU_CYCLE_1) | instskip(NEXT) | instid1(SALU_CYCLE_1)
	s_lshl_b64 s[26:27], s[12:13], 2
	s_add_u32 s30, s3, s26
	s_addc_u32 s31, s7, s27
	s_add_u32 s3, s16, s8
	s_addc_u32 s7, s17, s9
	s_add_u32 s3, s3, s18
	s_addc_u32 s7, s7, s19
	s_add_u32 s8, s3, s26
	s_addc_u32 s9, s7, s27
	s_clause 0x1
	global_store_b32 v3, v1, s[30:31]
	global_store_b32 v3, v2, s[8:9]
.LBB26_31:
	s_or_b32 exec_lo, exec_lo, s1
	v_dual_mov_b32 v89, 0 :: v_dual_mov_b32 v90, 0
	v_dual_mov_b32 v88, 0 :: v_dual_and_b32 v75, 1, v0
	v_dual_mov_b32 v91, 0 :: v_dual_mov_b32 v86, 0
	v_dual_mov_b32 v87, 0 :: v_dual_mov_b32 v84, 0
	;; [unrolled: 1-line block ×6, first 2 shown]
	v_mov_b32_e32 v77, 0
	s_and_saveexec_b32 s1, s0
	s_cbranch_execz .LBB26_67
; %bb.32:
	v_dual_mov_b32 v76, 0 :: v_dual_lshlrev_b32 v1, 2, v0
	v_dual_mov_b32 v77, 0 :: v_dual_lshlrev_b32 v2, 4, v75
	v_lshl_add_u32 v9, v72, 3, s34
	s_delay_alu instid0(VALU_DEP_3) | instskip(SKIP_4) | instid1(VALU_DEP_2)
	v_dual_mov_b32 v78, 0 :: v_dual_and_b32 v3, 0x7c, v1
	v_dual_mov_b32 v80, 0 :: v_dual_and_b32 v1, 4, v1
	s_ashr_i32 s7, s6, 31
	v_lshl_or_b32 v12, v72, 5, v2
	s_lshl_b64 s[6:7], s[6:7], 2
	v_add3_u32 v92, v9, v1, 3
	v_lshlrev_b64 v[1:2], 2, v[69:70]
	s_add_u32 s3, s10, s6
	s_addc_u32 s6, s11, s7
	s_lshl_b64 s[8:9], s[28:29], 2
	s_add_i32 s7, s23, -1
	v_or_b32_e32 v4, 0x400, v3
	v_or_b32_e32 v5, 0x480, v3
	;; [unrolled: 1-line block ×8, first 2 shown]
	s_add_u32 s0, s24, s8
	s_addc_u32 s8, s25, s9
	v_add_co_u32 v70, vcc_lo, s0, v1
	v_dual_mov_b32 v82, 0 :: v_dual_add_nc_u32 v93, 0x420, v12
	v_add_co_ci_u32_e32 v71, vcc_lo, s8, v2, vcc_lo
	v_dual_mov_b32 v79, 0 :: v_dual_lshlrev_b32 v94, 2, v3
	v_dual_mov_b32 v84, 0 :: v_dual_lshlrev_b32 v95, 2, v4
	;; [unrolled: 1-line block ×9, first 2 shown]
	v_mov_b32_e32 v91, 0
	v_mov_b32_e32 v89, 0
	s_mov_b32 s8, s5
	s_mov_b32 s5, 0
	s_branch .LBB26_34
.LBB26_33:                              ;   in Loop: Header=BB26_34 Depth=1
	s_or_b32 exec_lo, exec_lo, s0
	s_waitcnt vmcnt(11) lgkmcnt(0)
	v_mul_f32_e32 v22, v2, v22
	s_waitcnt vmcnt(9)
	v_mul_f32_e32 v30, v2, v30
	s_waitcnt vmcnt(3)
	v_mul_f32_e32 v58, v2, v58
	v_mul_f32_e32 v46, v2, v46
	;; [unrolled: 1-line block ×3, first 2 shown]
	v_fmac_f32_e32 v22, v1, v21
	v_fmac_f32_e32 v30, v1, v29
	v_mul_f32_e32 v10, v2, v10
	v_mul_f32_e32 v6, v2, v6
	s_waitcnt vmcnt(1)
	v_dual_mul_f32 v66, v2, v66 :: v_dual_add_nc_u32 v69, 4, v69
	v_fmac_f32_e32 v22, v3, v23
	v_fmac_f32_e32 v30, v3, v31
	;; [unrolled: 1-line block ×9, first 2 shown]
	v_dual_mul_f32 v62, v2, v62 :: v_dual_add_nc_u32 v93, 0x80, v93
	v_add_f32_e32 v87, v87, v22
	s_delay_alu instid0(VALU_DEP_4) | instskip(SKIP_3) | instid1(VALU_DEP_4)
	v_dual_fmac_f32 v58, v3, v59 :: v_dual_add_f32 v85, v85, v30
	v_mul_f32_e32 v50, v2, v50
	v_mul_f32_e32 v42, v2, v42
	v_fmac_f32_e32 v46, v3, v47
	v_fmac_f32_e32 v58, v4, v60
	;; [unrolled: 1-line block ×3, first 2 shown]
	v_mul_f32_e32 v34, v2, v34
	v_mul_f32_e32 v26, v2, v26
	v_fmac_f32_e32 v38, v3, v39
	v_add_f32_e32 v79, v79, v58
	v_mul_f32_e32 v18, v2, v18
	v_mul_f32_e32 v14, v2, v14
	s_waitcnt vmcnt(0)
	v_mul_f32_e32 v2, v2, v54
	v_fmac_f32_e32 v10, v3, v11
	v_fmac_f32_e32 v6, v3, v7
	v_fmac_f32_e32 v42, v1, v41
	v_fmac_f32_e32 v46, v4, v48
	v_fmac_f32_e32 v66, v3, v67
	v_fmac_f32_e32 v34, v1, v33
	v_fmac_f32_e32 v26, v1, v25
	s_delay_alu instid0(VALU_DEP_4) | instskip(SKIP_2) | instid1(VALU_DEP_3)
	v_dual_fmac_f32 v38, v4, v40 :: v_dual_add_f32 v81, v81, v46
	v_fmac_f32_e32 v62, v1, v61
	v_fmac_f32_e32 v18, v1, v17
	v_dual_fmac_f32 v14, v1, v13 :: v_dual_add_f32 v83, v83, v38
	v_fmac_f32_e32 v2, v1, v53
	v_fmac_f32_e32 v10, v4, v12
	;; [unrolled: 1-line block ×7, first 2 shown]
	s_delay_alu instid0(VALU_DEP_4) | instskip(NEXT) | instid1(VALU_DEP_4)
	v_dual_fmac_f32 v26, v3, v27 :: v_dual_add_f32 v89, v89, v6
	v_dual_fmac_f32 v62, v3, v63 :: v_dual_add_f32 v77, v77, v66
	v_fmac_f32_e32 v18, v3, v19
	v_fmac_f32_e32 v14, v3, v15
	;; [unrolled: 1-line block ×3, first 2 shown]
	v_add_f32_e32 v91, v91, v10
	v_fmac_f32_e32 v50, v3, v51
	v_fmac_f32_e32 v62, v4, v64
	;; [unrolled: 1-line block ×9, first 2 shown]
	v_cmp_le_i32_e32 vcc_lo, s4, v69
	v_add_co_u32 v70, s0, v70, 16
	v_add_f32_e32 v78, v78, v62
	v_add_f32_e32 v80, v80, v50
	;; [unrolled: 1-line block ×8, first 2 shown]
	v_add_nc_u32_e32 v92, 32, v92
	v_add_co_ci_u32_e64 v71, s0, 0, v71, s0
	s_or_b32 s5, vcc_lo, s5
	s_delay_alu instid0(SALU_CYCLE_1)
	s_and_not1_b32 exec_lo, exec_lo, s5
	s_cbranch_execz .LBB26_66
.LBB26_34:                              ; =>This Inner Loop Header: Depth=1
	global_load_b32 v3, v[70:71], off
	v_add_nc_u32_e32 v103, -3, v92
	v_add_nc_u32_e32 v105, -2, v92
	;; [unrolled: 1-line block ×3, first 2 shown]
	s_waitcnt vmcnt(0)
	v_mad_i64_i32 v[1:2], null, v3, s8, 0
	s_delay_alu instid0(VALU_DEP_1) | instskip(NEXT) | instid1(VALU_DEP_1)
	v_lshlrev_b64 v[1:2], 2, v[1:2]
	v_add_co_u32 v53, vcc_lo, s3, v1
	s_delay_alu instid0(VALU_DEP_2)
	v_add_co_ci_u32_e32 v54, vcc_lo, s6, v2, vcc_lo
	ds_load_b128 v[1:4], v93
	v_add_co_u32 v33, vcc_lo, v53, v94
	v_add_co_ci_u32_e32 v34, vcc_lo, 0, v54, vcc_lo
	v_cmp_eq_u32_e32 vcc_lo, s7, v69
	global_load_b128 v[5:8], v[33:34], off
	s_and_saveexec_b32 s9, vcc_lo
	s_cbranch_execnz .LBB26_59
; %bb.35:                               ;   in Loop: Header=BB26_34 Depth=1
	s_or_b32 exec_lo, exec_lo, s9
	global_load_b128 v[9:12], v[33:34], off offset:512
	s_and_saveexec_b32 s9, vcc_lo
	s_cbranch_execnz .LBB26_60
.LBB26_36:                              ;   in Loop: Header=BB26_34 Depth=1
	s_or_b32 exec_lo, exec_lo, s9
	global_load_b128 v[13:16], v[33:34], off offset:1024
	s_and_saveexec_b32 s9, vcc_lo
	s_cbranch_execnz .LBB26_61
.LBB26_37:                              ;   in Loop: Header=BB26_34 Depth=1
	s_or_b32 exec_lo, exec_lo, s9
	global_load_b128 v[17:20], v[33:34], off offset:1536
	s_and_saveexec_b32 s9, vcc_lo
	s_cbranch_execnz .LBB26_62
.LBB26_38:                              ;   in Loop: Header=BB26_34 Depth=1
	s_or_b32 exec_lo, exec_lo, s9
	global_load_b128 v[21:24], v[33:34], off offset:2048
	s_and_saveexec_b32 s9, vcc_lo
	s_cbranch_execnz .LBB26_63
.LBB26_39:                              ;   in Loop: Header=BB26_34 Depth=1
	s_or_b32 exec_lo, exec_lo, s9
	global_load_b128 v[25:28], v[33:34], off offset:2560
	s_and_saveexec_b32 s9, vcc_lo
	s_cbranch_execnz .LBB26_64
.LBB26_40:                              ;   in Loop: Header=BB26_34 Depth=1
	s_or_b32 exec_lo, exec_lo, s9
	global_load_b128 v[29:32], v[33:34], off offset:3072
	s_and_saveexec_b32 s9, vcc_lo
	s_cbranch_execnz .LBB26_65
.LBB26_41:                              ;   in Loop: Header=BB26_34 Depth=1
	s_or_b32 exec_lo, exec_lo, s9
	global_load_b128 v[33:36], v[33:34], off offset:3584
	s_and_saveexec_b32 s9, vcc_lo
	s_cbranch_execz .LBB26_43
.LBB26_42:                              ;   in Loop: Header=BB26_34 Depth=1
	v_cmp_gt_i32_e64 s0, s33, v103
	s_waitcnt vmcnt(0)
	s_delay_alu instid0(VALU_DEP_1) | instskip(SKIP_1) | instid1(VALU_DEP_1)
	v_cndmask_b32_e64 v33, 0, v33, s0
	v_cmp_gt_i32_e64 s0, s33, v105
	v_cndmask_b32_e64 v34, 0, v34, s0
	v_cmp_gt_i32_e64 s0, s33, v104
	s_delay_alu instid0(VALU_DEP_1) | instskip(SKIP_1) | instid1(VALU_DEP_1)
	v_cndmask_b32_e64 v35, 0, v35, s0
	v_cmp_gt_i32_e64 s0, s33, v92
	v_cndmask_b32_e64 v36, 0, v36, s0
.LBB26_43:                              ;   in Loop: Header=BB26_34 Depth=1
	s_or_b32 exec_lo, exec_lo, s9
	v_add_co_u32 v37, s0, v53, v95
	s_delay_alu instid0(VALU_DEP_1)
	v_add_co_ci_u32_e64 v38, s0, 0, v54, s0
	global_load_b128 v[37:40], v[37:38], off
	s_and_saveexec_b32 s9, vcc_lo
	s_cbranch_execz .LBB26_45
; %bb.44:                               ;   in Loop: Header=BB26_34 Depth=1
	v_cmp_gt_i32_e64 s0, s33, v103
	s_waitcnt vmcnt(0)
	s_delay_alu instid0(VALU_DEP_1) | instskip(SKIP_1) | instid1(VALU_DEP_1)
	v_cndmask_b32_e64 v37, 0, v37, s0
	v_cmp_gt_i32_e64 s0, s33, v105
	v_cndmask_b32_e64 v38, 0, v38, s0
	v_cmp_gt_i32_e64 s0, s33, v104
	s_delay_alu instid0(VALU_DEP_1) | instskip(SKIP_1) | instid1(VALU_DEP_1)
	v_cndmask_b32_e64 v39, 0, v39, s0
	v_cmp_gt_i32_e64 s0, s33, v92
	v_cndmask_b32_e64 v40, 0, v40, s0
.LBB26_45:                              ;   in Loop: Header=BB26_34 Depth=1
	s_or_b32 exec_lo, exec_lo, s9
	v_add_co_u32 v41, s0, v53, v96
	s_delay_alu instid0(VALU_DEP_1)
	v_add_co_ci_u32_e64 v42, s0, 0, v54, s0
	global_load_b128 v[41:44], v[41:42], off
	s_and_saveexec_b32 s9, vcc_lo
	s_cbranch_execz .LBB26_47
; %bb.46:                               ;   in Loop: Header=BB26_34 Depth=1
	v_cmp_gt_i32_e64 s0, s33, v103
	s_waitcnt vmcnt(0)
	s_delay_alu instid0(VALU_DEP_1) | instskip(SKIP_1) | instid1(VALU_DEP_1)
	v_cndmask_b32_e64 v41, 0, v41, s0
	v_cmp_gt_i32_e64 s0, s33, v105
	v_cndmask_b32_e64 v42, 0, v42, s0
	v_cmp_gt_i32_e64 s0, s33, v104
	s_delay_alu instid0(VALU_DEP_1) | instskip(SKIP_1) | instid1(VALU_DEP_1)
	v_cndmask_b32_e64 v43, 0, v43, s0
	v_cmp_gt_i32_e64 s0, s33, v92
	v_cndmask_b32_e64 v44, 0, v44, s0
.LBB26_47:                              ;   in Loop: Header=BB26_34 Depth=1
	;; [unrolled: 20-line block ×7, first 2 shown]
	s_or_b32 exec_lo, exec_lo, s9
	v_add_co_u32 v53, s0, v53, v102
	s_delay_alu instid0(VALU_DEP_1)
	v_add_co_ci_u32_e64 v54, s0, 0, v54, s0
	global_load_b128 v[53:56], v[53:54], off
	s_and_saveexec_b32 s0, vcc_lo
	s_cbranch_execz .LBB26_33
; %bb.58:                               ;   in Loop: Header=BB26_34 Depth=1
	v_cmp_gt_i32_e32 vcc_lo, s33, v103
	s_waitcnt vmcnt(0)
	v_cndmask_b32_e32 v53, 0, v53, vcc_lo
	v_cmp_gt_i32_e32 vcc_lo, s33, v105
	v_cndmask_b32_e32 v54, 0, v54, vcc_lo
	v_cmp_gt_i32_e32 vcc_lo, s33, v104
	;; [unrolled: 2-line block ×3, first 2 shown]
	v_cndmask_b32_e32 v56, 0, v56, vcc_lo
	s_branch .LBB26_33
.LBB26_59:                              ;   in Loop: Header=BB26_34 Depth=1
	v_cmp_gt_i32_e64 s0, s33, v103
	s_waitcnt vmcnt(0)
	s_delay_alu instid0(VALU_DEP_1) | instskip(SKIP_1) | instid1(VALU_DEP_1)
	v_cndmask_b32_e64 v5, 0, v5, s0
	v_cmp_gt_i32_e64 s0, s33, v105
	v_cndmask_b32_e64 v6, 0, v6, s0
	v_cmp_gt_i32_e64 s0, s33, v104
	s_delay_alu instid0(VALU_DEP_1) | instskip(SKIP_1) | instid1(VALU_DEP_1)
	v_cndmask_b32_e64 v7, 0, v7, s0
	v_cmp_gt_i32_e64 s0, s33, v92
	v_cndmask_b32_e64 v8, 0, v8, s0
	s_or_b32 exec_lo, exec_lo, s9
	global_load_b128 v[9:12], v[33:34], off offset:512
	s_and_saveexec_b32 s9, vcc_lo
	s_cbranch_execz .LBB26_36
.LBB26_60:                              ;   in Loop: Header=BB26_34 Depth=1
	v_cmp_gt_i32_e64 s0, s33, v103
	s_waitcnt vmcnt(0)
	s_delay_alu instid0(VALU_DEP_1) | instskip(SKIP_1) | instid1(VALU_DEP_1)
	v_cndmask_b32_e64 v9, 0, v9, s0
	v_cmp_gt_i32_e64 s0, s33, v105
	v_cndmask_b32_e64 v10, 0, v10, s0
	v_cmp_gt_i32_e64 s0, s33, v104
	s_delay_alu instid0(VALU_DEP_1) | instskip(SKIP_1) | instid1(VALU_DEP_1)
	v_cndmask_b32_e64 v11, 0, v11, s0
	v_cmp_gt_i32_e64 s0, s33, v92
	v_cndmask_b32_e64 v12, 0, v12, s0
	s_or_b32 exec_lo, exec_lo, s9
	global_load_b128 v[13:16], v[33:34], off offset:1024
	s_and_saveexec_b32 s9, vcc_lo
	s_cbranch_execz .LBB26_37
.LBB26_61:                              ;   in Loop: Header=BB26_34 Depth=1
	v_cmp_gt_i32_e64 s0, s33, v103
	s_waitcnt vmcnt(0)
	s_delay_alu instid0(VALU_DEP_1) | instskip(SKIP_1) | instid1(VALU_DEP_1)
	v_cndmask_b32_e64 v13, 0, v13, s0
	v_cmp_gt_i32_e64 s0, s33, v105
	v_cndmask_b32_e64 v14, 0, v14, s0
	v_cmp_gt_i32_e64 s0, s33, v104
	s_delay_alu instid0(VALU_DEP_1) | instskip(SKIP_1) | instid1(VALU_DEP_1)
	v_cndmask_b32_e64 v15, 0, v15, s0
	v_cmp_gt_i32_e64 s0, s33, v92
	v_cndmask_b32_e64 v16, 0, v16, s0
	s_or_b32 exec_lo, exec_lo, s9
	global_load_b128 v[17:20], v[33:34], off offset:1536
	s_and_saveexec_b32 s9, vcc_lo
	s_cbranch_execz .LBB26_38
.LBB26_62:                              ;   in Loop: Header=BB26_34 Depth=1
	v_cmp_gt_i32_e64 s0, s33, v103
	s_waitcnt vmcnt(0)
	s_delay_alu instid0(VALU_DEP_1) | instskip(SKIP_1) | instid1(VALU_DEP_1)
	v_cndmask_b32_e64 v17, 0, v17, s0
	v_cmp_gt_i32_e64 s0, s33, v105
	v_cndmask_b32_e64 v18, 0, v18, s0
	v_cmp_gt_i32_e64 s0, s33, v104
	s_delay_alu instid0(VALU_DEP_1) | instskip(SKIP_1) | instid1(VALU_DEP_1)
	v_cndmask_b32_e64 v19, 0, v19, s0
	v_cmp_gt_i32_e64 s0, s33, v92
	v_cndmask_b32_e64 v20, 0, v20, s0
	s_or_b32 exec_lo, exec_lo, s9
	global_load_b128 v[21:24], v[33:34], off offset:2048
	s_and_saveexec_b32 s9, vcc_lo
	s_cbranch_execz .LBB26_39
.LBB26_63:                              ;   in Loop: Header=BB26_34 Depth=1
	v_cmp_gt_i32_e64 s0, s33, v103
	s_waitcnt vmcnt(0)
	s_delay_alu instid0(VALU_DEP_1) | instskip(SKIP_1) | instid1(VALU_DEP_1)
	v_cndmask_b32_e64 v21, 0, v21, s0
	v_cmp_gt_i32_e64 s0, s33, v105
	v_cndmask_b32_e64 v22, 0, v22, s0
	v_cmp_gt_i32_e64 s0, s33, v104
	s_delay_alu instid0(VALU_DEP_1) | instskip(SKIP_1) | instid1(VALU_DEP_1)
	v_cndmask_b32_e64 v23, 0, v23, s0
	v_cmp_gt_i32_e64 s0, s33, v92
	v_cndmask_b32_e64 v24, 0, v24, s0
	s_or_b32 exec_lo, exec_lo, s9
	global_load_b128 v[25:28], v[33:34], off offset:2560
	s_and_saveexec_b32 s9, vcc_lo
	s_cbranch_execz .LBB26_40
.LBB26_64:                              ;   in Loop: Header=BB26_34 Depth=1
	v_cmp_gt_i32_e64 s0, s33, v103
	s_waitcnt vmcnt(0)
	s_delay_alu instid0(VALU_DEP_1) | instskip(SKIP_1) | instid1(VALU_DEP_1)
	v_cndmask_b32_e64 v25, 0, v25, s0
	v_cmp_gt_i32_e64 s0, s33, v105
	v_cndmask_b32_e64 v26, 0, v26, s0
	v_cmp_gt_i32_e64 s0, s33, v104
	s_delay_alu instid0(VALU_DEP_1) | instskip(SKIP_1) | instid1(VALU_DEP_1)
	v_cndmask_b32_e64 v27, 0, v27, s0
	v_cmp_gt_i32_e64 s0, s33, v92
	v_cndmask_b32_e64 v28, 0, v28, s0
	s_or_b32 exec_lo, exec_lo, s9
	global_load_b128 v[29:32], v[33:34], off offset:3072
	s_and_saveexec_b32 s9, vcc_lo
	s_cbranch_execz .LBB26_41
.LBB26_65:                              ;   in Loop: Header=BB26_34 Depth=1
	v_cmp_gt_i32_e64 s0, s33, v103
	s_waitcnt vmcnt(0)
	s_delay_alu instid0(VALU_DEP_1) | instskip(SKIP_1) | instid1(VALU_DEP_1)
	v_cndmask_b32_e64 v29, 0, v29, s0
	v_cmp_gt_i32_e64 s0, s33, v105
	v_cndmask_b32_e64 v30, 0, v30, s0
	v_cmp_gt_i32_e64 s0, s33, v104
	s_delay_alu instid0(VALU_DEP_1) | instskip(SKIP_1) | instid1(VALU_DEP_1)
	v_cndmask_b32_e64 v31, 0, v31, s0
	v_cmp_gt_i32_e64 s0, s33, v92
	v_cndmask_b32_e64 v32, 0, v32, s0
	s_or_b32 exec_lo, exec_lo, s9
	global_load_b128 v[33:36], v[33:34], off offset:3584
	s_and_saveexec_b32 s9, vcc_lo
	s_cbranch_execnz .LBB26_42
	s_branch .LBB26_43
.LBB26_66:
	s_or_b32 exec_lo, exec_lo, s5
.LBB26_67:
	s_delay_alu instid0(SALU_CYCLE_1)
	s_or_b32 exec_lo, exec_lo, s1
	ds_bpermute_b32 v1, v74, v89
	ds_bpermute_b32 v2, v74, v91
	;; [unrolled: 1-line block ×16, first 2 shown]
	v_and_b32_e32 v19, 0x3c1, v0
	v_lshrrev_b32_e32 v17, 1, v73
	v_lshl_add_u32 v18, v72, 10, 0x420
	s_mov_b32 s0, exec_lo
	s_waitcnt lgkmcnt(14)
	v_dual_add_f32 v1, v89, v1 :: v_dual_add_f32 v2, v91, v2
	s_waitcnt lgkmcnt(12)
	v_dual_add_f32 v3, v90, v3 :: v_dual_add_f32 v4, v88, v4
	;; [unrolled: 2-line block ×8, first 2 shown]
	s_waitcnt_vscnt null, 0x0
	s_barrier
	buffer_gl0_inv
	v_cmpx_eq_u32_e32 64, v19
	s_cbranch_execz .LBB26_69
; %bb.68:
	v_lshlrev_b32_e32 v19, 2, v17
	s_delay_alu instid0(VALU_DEP_1)
	v_add3_u32 v19, v18, v19, 0xfffff800
	ds_store_2addr_b32 v19, v1, v2 offset1:16
	ds_store_2addr_b32 v19, v3, v4 offset0:32 offset1:48
	ds_store_2addr_b32 v19, v5, v6 offset0:64 offset1:80
	ds_store_2addr_b32 v19, v7, v8 offset0:96 offset1:112
	ds_store_2addr_b32 v19, v9, v10 offset0:128 offset1:144
	ds_store_2addr_b32 v19, v11, v12 offset0:160 offset1:176
	ds_store_2addr_b32 v19, v13, v14 offset0:192 offset1:208
	ds_store_2addr_b32 v19, v15, v16 offset0:224 offset1:240
.LBB26_69:
	s_or_b32 exec_lo, exec_lo, s0
	v_cmp_eq_u32_e32 vcc_lo, 0, v75
	s_mov_b32 s1, exec_lo
	s_waitcnt lgkmcnt(0)
	s_barrier
	buffer_gl0_inv
	v_cmpx_gt_u32_e32 64, v0
	s_cbranch_execz .LBB26_88
; %bb.70:
	s_and_saveexec_b32 s0, vcc_lo
	s_cbranch_execnz .LBB26_112
; %bb.71:
	s_or_b32 exec_lo, exec_lo, s0
	s_and_saveexec_b32 s0, vcc_lo
	s_cbranch_execnz .LBB26_113
.LBB26_72:
	s_or_b32 exec_lo, exec_lo, s0
	s_and_saveexec_b32 s0, vcc_lo
	s_cbranch_execnz .LBB26_114
.LBB26_73:
	s_or_b32 exec_lo, exec_lo, s0
	s_and_saveexec_b32 s0, vcc_lo
	s_cbranch_execnz .LBB26_115
.LBB26_74:
	s_or_b32 exec_lo, exec_lo, s0
	s_and_saveexec_b32 s0, vcc_lo
	s_cbranch_execnz .LBB26_116
.LBB26_75:
	s_or_b32 exec_lo, exec_lo, s0
	s_and_saveexec_b32 s0, vcc_lo
	s_cbranch_execnz .LBB26_117
.LBB26_76:
	s_or_b32 exec_lo, exec_lo, s0
	s_and_saveexec_b32 s0, vcc_lo
	s_cbranch_execnz .LBB26_118
.LBB26_77:
	s_or_b32 exec_lo, exec_lo, s0
	s_and_saveexec_b32 s0, vcc_lo
	s_cbranch_execnz .LBB26_119
.LBB26_78:
	s_or_b32 exec_lo, exec_lo, s0
	s_and_saveexec_b32 s0, vcc_lo
	s_cbranch_execnz .LBB26_120
.LBB26_79:
	s_or_b32 exec_lo, exec_lo, s0
	s_and_saveexec_b32 s0, vcc_lo
	s_cbranch_execnz .LBB26_121
.LBB26_80:
	s_or_b32 exec_lo, exec_lo, s0
	s_and_saveexec_b32 s0, vcc_lo
	s_cbranch_execnz .LBB26_122
.LBB26_81:
	s_or_b32 exec_lo, exec_lo, s0
	s_and_saveexec_b32 s0, vcc_lo
	s_cbranch_execnz .LBB26_123
.LBB26_82:
	s_or_b32 exec_lo, exec_lo, s0
	s_and_saveexec_b32 s0, vcc_lo
	s_cbranch_execnz .LBB26_124
.LBB26_83:
	s_or_b32 exec_lo, exec_lo, s0
	s_and_saveexec_b32 s0, vcc_lo
	s_cbranch_execnz .LBB26_125
.LBB26_84:
	s_or_b32 exec_lo, exec_lo, s0
	s_and_saveexec_b32 s0, vcc_lo
	s_cbranch_execnz .LBB26_126
.LBB26_85:
	s_or_b32 exec_lo, exec_lo, s0
	s_and_saveexec_b32 s0, vcc_lo
	s_cbranch_execz .LBB26_87
.LBB26_86:
	v_lshl_add_u32 v19, v17, 2, v18
	ds_load_b32 v19, v19 offset:960
	s_waitcnt lgkmcnt(0)
	v_add_f32_e32 v16, v16, v19
.LBB26_87:
	s_or_b32 exec_lo, exec_lo, s0
.LBB26_88:
	s_delay_alu instid0(SALU_CYCLE_1)
	s_or_b32 exec_lo, exec_lo, s1
	v_and_b32_e32 v19, 0x3e1, v0
	s_mov_b32 s1, exec_lo
	s_barrier
	buffer_gl0_inv
	v_cmpx_eq_u32_e32 32, v19
	s_cbranch_execz .LBB26_90
; %bb.89:
	v_lshl_add_u32 v20, v17, 2, 0x420
	ds_store_2addr_b32 v20, v1, v2 offset1:16
	ds_store_2addr_b32 v20, v3, v4 offset0:32 offset1:48
	ds_store_2addr_b32 v20, v5, v6 offset0:64 offset1:80
	;; [unrolled: 1-line block ×7, first 2 shown]
.LBB26_90:
	s_or_b32 exec_lo, exec_lo, s1
	s_delay_alu instid0(SALU_CYCLE_1)
	s_mov_b32 s1, exec_lo
	s_waitcnt lgkmcnt(0)
	s_barrier
	buffer_gl0_inv
	v_cmpx_gt_u32_e32 32, v0
	s_cbranch_execz .LBB26_109
; %bb.91:
	v_lshl_add_u32 v17, v17, 2, v18
	s_and_saveexec_b32 s0, vcc_lo
	s_cbranch_execnz .LBB26_127
; %bb.92:
	s_or_b32 exec_lo, exec_lo, s0
	s_and_saveexec_b32 s0, vcc_lo
	s_cbranch_execnz .LBB26_128
.LBB26_93:
	s_or_b32 exec_lo, exec_lo, s0
	s_and_saveexec_b32 s0, vcc_lo
	s_cbranch_execnz .LBB26_129
.LBB26_94:
	s_or_b32 exec_lo, exec_lo, s0
	s_and_saveexec_b32 s0, vcc_lo
	s_cbranch_execnz .LBB26_130
.LBB26_95:
	s_or_b32 exec_lo, exec_lo, s0
	s_and_saveexec_b32 s0, vcc_lo
	s_cbranch_execnz .LBB26_131
.LBB26_96:
	s_or_b32 exec_lo, exec_lo, s0
	s_and_saveexec_b32 s0, vcc_lo
	s_cbranch_execnz .LBB26_132
.LBB26_97:
	s_or_b32 exec_lo, exec_lo, s0
	s_and_saveexec_b32 s0, vcc_lo
	s_cbranch_execnz .LBB26_133
.LBB26_98:
	s_or_b32 exec_lo, exec_lo, s0
	s_and_saveexec_b32 s0, vcc_lo
	s_cbranch_execnz .LBB26_134
.LBB26_99:
	s_or_b32 exec_lo, exec_lo, s0
	s_and_saveexec_b32 s0, vcc_lo
	s_cbranch_execnz .LBB26_135
.LBB26_100:
	s_or_b32 exec_lo, exec_lo, s0
	s_and_saveexec_b32 s0, vcc_lo
	s_cbranch_execnz .LBB26_136
.LBB26_101:
	s_or_b32 exec_lo, exec_lo, s0
	s_and_saveexec_b32 s0, vcc_lo
	s_cbranch_execnz .LBB26_137
.LBB26_102:
	s_or_b32 exec_lo, exec_lo, s0
	s_and_saveexec_b32 s0, vcc_lo
	s_cbranch_execnz .LBB26_138
.LBB26_103:
	s_or_b32 exec_lo, exec_lo, s0
	s_and_saveexec_b32 s0, vcc_lo
	s_cbranch_execnz .LBB26_139
.LBB26_104:
	s_or_b32 exec_lo, exec_lo, s0
	s_and_saveexec_b32 s0, vcc_lo
	s_cbranch_execnz .LBB26_140
.LBB26_105:
	s_or_b32 exec_lo, exec_lo, s0
	s_and_saveexec_b32 s0, vcc_lo
	s_cbranch_execnz .LBB26_141
.LBB26_106:
	s_or_b32 exec_lo, exec_lo, s0
	s_and_saveexec_b32 s0, vcc_lo
	s_cbranch_execz .LBB26_108
.LBB26_107:
	ds_load_b32 v17, v17 offset:960
	s_waitcnt lgkmcnt(0)
	v_add_f32_e32 v16, v16, v17
.LBB26_108:
	s_or_b32 exec_lo, exec_lo, s0
.LBB26_109:
	s_delay_alu instid0(SALU_CYCLE_1)
	s_or_b32 exec_lo, exec_lo, s1
	s_barrier
	buffer_gl0_inv
	s_mov_b32 s0, exec_lo
	v_cmpx_eq_u32_e32 0, v19
	s_cbranch_execz .LBB26_111
; %bb.110:
	s_lshl_b32 s0, s2, 8
	s_mul_i32 s2, s15, s22
	s_ashr_i32 s1, s0, 31
	v_lshlrev_b32_e32 v0, 1, v0
	s_lshl_b64 s[0:1], s[0:1], 2
	s_delay_alu instid0(SALU_CYCLE_1) | instskip(SKIP_2) | instid1(SALU_CYCLE_1)
	s_add_u32 s4, s20, s0
	s_addc_u32 s5, s21, s1
	s_ashr_i32 s3, s2, 31
	s_lshl_b64 s[0:1], s[2:3], 2
	s_delay_alu instid0(SALU_CYCLE_1) | instskip(SKIP_2) | instid1(SALU_CYCLE_1)
	s_add_u32 s2, s4, s0
	s_addc_u32 s3, s5, s1
	s_lshl_b32 s0, s12, 8
	s_ashr_i32 s1, s0, 31
	s_delay_alu instid0(SALU_CYCLE_1) | instskip(NEXT) | instid1(SALU_CYCLE_1)
	s_lshl_b64 s[0:1], s[0:1], 2
	s_add_u32 s0, s2, s0
	s_addc_u32 s1, s3, s1
	s_clause 0xf
	global_store_b32 v0, v1, s[0:1]
	global_store_b32 v0, v2, s[0:1] offset:64
	global_store_b32 v0, v3, s[0:1] offset:128
	;; [unrolled: 1-line block ×15, first 2 shown]
.LBB26_111:
	s_nop 0
	s_sendmsg sendmsg(MSG_DEALLOC_VGPRS)
	s_endpgm
.LBB26_112:
	v_lshl_add_u32 v19, v17, 2, v18
	ds_load_b32 v19, v19
	s_waitcnt lgkmcnt(0)
	v_add_f32_e32 v1, v1, v19
	s_or_b32 exec_lo, exec_lo, s0
	s_and_saveexec_b32 s0, vcc_lo
	s_cbranch_execz .LBB26_72
.LBB26_113:
	v_lshl_add_u32 v19, v17, 2, v18
	ds_load_b32 v19, v19 offset:64
	s_waitcnt lgkmcnt(0)
	v_add_f32_e32 v2, v2, v19
	s_or_b32 exec_lo, exec_lo, s0
	s_and_saveexec_b32 s0, vcc_lo
	s_cbranch_execz .LBB26_73
.LBB26_114:
	v_lshl_add_u32 v19, v17, 2, v18
	ds_load_b32 v19, v19 offset:128
	s_waitcnt lgkmcnt(0)
	v_add_f32_e32 v3, v3, v19
	s_or_b32 exec_lo, exec_lo, s0
	s_and_saveexec_b32 s0, vcc_lo
	s_cbranch_execz .LBB26_74
.LBB26_115:
	v_lshl_add_u32 v19, v17, 2, v18
	ds_load_b32 v19, v19 offset:192
	s_waitcnt lgkmcnt(0)
	v_add_f32_e32 v4, v4, v19
	s_or_b32 exec_lo, exec_lo, s0
	s_and_saveexec_b32 s0, vcc_lo
	s_cbranch_execz .LBB26_75
.LBB26_116:
	v_lshl_add_u32 v19, v17, 2, v18
	ds_load_b32 v19, v19 offset:256
	s_waitcnt lgkmcnt(0)
	v_add_f32_e32 v5, v5, v19
	s_or_b32 exec_lo, exec_lo, s0
	s_and_saveexec_b32 s0, vcc_lo
	s_cbranch_execz .LBB26_76
.LBB26_117:
	v_lshl_add_u32 v19, v17, 2, v18
	ds_load_b32 v19, v19 offset:320
	s_waitcnt lgkmcnt(0)
	v_add_f32_e32 v6, v6, v19
	s_or_b32 exec_lo, exec_lo, s0
	s_and_saveexec_b32 s0, vcc_lo
	s_cbranch_execz .LBB26_77
.LBB26_118:
	v_lshl_add_u32 v19, v17, 2, v18
	ds_load_b32 v19, v19 offset:384
	s_waitcnt lgkmcnt(0)
	v_add_f32_e32 v7, v7, v19
	s_or_b32 exec_lo, exec_lo, s0
	s_and_saveexec_b32 s0, vcc_lo
	s_cbranch_execz .LBB26_78
.LBB26_119:
	v_lshl_add_u32 v19, v17, 2, v18
	ds_load_b32 v19, v19 offset:448
	s_waitcnt lgkmcnt(0)
	v_add_f32_e32 v8, v8, v19
	s_or_b32 exec_lo, exec_lo, s0
	s_and_saveexec_b32 s0, vcc_lo
	s_cbranch_execz .LBB26_79
.LBB26_120:
	v_lshl_add_u32 v19, v17, 2, v18
	ds_load_b32 v19, v19 offset:512
	s_waitcnt lgkmcnt(0)
	v_add_f32_e32 v9, v9, v19
	s_or_b32 exec_lo, exec_lo, s0
	s_and_saveexec_b32 s0, vcc_lo
	s_cbranch_execz .LBB26_80
.LBB26_121:
	v_lshl_add_u32 v19, v17, 2, v18
	ds_load_b32 v19, v19 offset:576
	s_waitcnt lgkmcnt(0)
	v_add_f32_e32 v10, v10, v19
	s_or_b32 exec_lo, exec_lo, s0
	s_and_saveexec_b32 s0, vcc_lo
	s_cbranch_execz .LBB26_81
.LBB26_122:
	v_lshl_add_u32 v19, v17, 2, v18
	ds_load_b32 v19, v19 offset:640
	s_waitcnt lgkmcnt(0)
	v_add_f32_e32 v11, v11, v19
	s_or_b32 exec_lo, exec_lo, s0
	s_and_saveexec_b32 s0, vcc_lo
	s_cbranch_execz .LBB26_82
.LBB26_123:
	v_lshl_add_u32 v19, v17, 2, v18
	ds_load_b32 v19, v19 offset:704
	s_waitcnt lgkmcnt(0)
	v_add_f32_e32 v12, v12, v19
	s_or_b32 exec_lo, exec_lo, s0
	s_and_saveexec_b32 s0, vcc_lo
	s_cbranch_execz .LBB26_83
.LBB26_124:
	v_lshl_add_u32 v19, v17, 2, v18
	ds_load_b32 v19, v19 offset:768
	s_waitcnt lgkmcnt(0)
	v_add_f32_e32 v13, v13, v19
	s_or_b32 exec_lo, exec_lo, s0
	s_and_saveexec_b32 s0, vcc_lo
	s_cbranch_execz .LBB26_84
.LBB26_125:
	v_lshl_add_u32 v19, v17, 2, v18
	ds_load_b32 v19, v19 offset:832
	s_waitcnt lgkmcnt(0)
	v_add_f32_e32 v14, v14, v19
	s_or_b32 exec_lo, exec_lo, s0
	s_and_saveexec_b32 s0, vcc_lo
	s_cbranch_execz .LBB26_85
.LBB26_126:
	v_lshl_add_u32 v19, v17, 2, v18
	ds_load_b32 v19, v19 offset:896
	s_waitcnt lgkmcnt(0)
	v_add_f32_e32 v15, v15, v19
	s_or_b32 exec_lo, exec_lo, s0
	s_and_saveexec_b32 s0, vcc_lo
	s_cbranch_execnz .LBB26_86
	s_branch .LBB26_87
.LBB26_127:
	ds_load_b32 v18, v17
	s_waitcnt lgkmcnt(0)
	v_add_f32_e32 v1, v1, v18
	s_or_b32 exec_lo, exec_lo, s0
	s_and_saveexec_b32 s0, vcc_lo
	s_cbranch_execz .LBB26_93
.LBB26_128:
	ds_load_b32 v18, v17 offset:64
	s_waitcnt lgkmcnt(0)
	v_add_f32_e32 v2, v2, v18
	s_or_b32 exec_lo, exec_lo, s0
	s_and_saveexec_b32 s0, vcc_lo
	s_cbranch_execz .LBB26_94
.LBB26_129:
	ds_load_b32 v18, v17 offset:128
	s_waitcnt lgkmcnt(0)
	v_add_f32_e32 v3, v3, v18
	s_or_b32 exec_lo, exec_lo, s0
	s_and_saveexec_b32 s0, vcc_lo
	s_cbranch_execz .LBB26_95
.LBB26_130:
	ds_load_b32 v18, v17 offset:192
	s_waitcnt lgkmcnt(0)
	v_add_f32_e32 v4, v4, v18
	s_or_b32 exec_lo, exec_lo, s0
	s_and_saveexec_b32 s0, vcc_lo
	s_cbranch_execz .LBB26_96
.LBB26_131:
	ds_load_b32 v18, v17 offset:256
	s_waitcnt lgkmcnt(0)
	v_add_f32_e32 v5, v5, v18
	s_or_b32 exec_lo, exec_lo, s0
	s_and_saveexec_b32 s0, vcc_lo
	s_cbranch_execz .LBB26_97
.LBB26_132:
	ds_load_b32 v18, v17 offset:320
	s_waitcnt lgkmcnt(0)
	v_add_f32_e32 v6, v6, v18
	s_or_b32 exec_lo, exec_lo, s0
	s_and_saveexec_b32 s0, vcc_lo
	s_cbranch_execz .LBB26_98
.LBB26_133:
	ds_load_b32 v18, v17 offset:384
	s_waitcnt lgkmcnt(0)
	v_add_f32_e32 v7, v7, v18
	s_or_b32 exec_lo, exec_lo, s0
	s_and_saveexec_b32 s0, vcc_lo
	s_cbranch_execz .LBB26_99
.LBB26_134:
	ds_load_b32 v18, v17 offset:448
	s_waitcnt lgkmcnt(0)
	v_add_f32_e32 v8, v8, v18
	s_or_b32 exec_lo, exec_lo, s0
	s_and_saveexec_b32 s0, vcc_lo
	s_cbranch_execz .LBB26_100
.LBB26_135:
	ds_load_b32 v18, v17 offset:512
	s_waitcnt lgkmcnt(0)
	v_add_f32_e32 v9, v9, v18
	s_or_b32 exec_lo, exec_lo, s0
	s_and_saveexec_b32 s0, vcc_lo
	s_cbranch_execz .LBB26_101
.LBB26_136:
	ds_load_b32 v18, v17 offset:576
	s_waitcnt lgkmcnt(0)
	v_add_f32_e32 v10, v10, v18
	s_or_b32 exec_lo, exec_lo, s0
	s_and_saveexec_b32 s0, vcc_lo
	s_cbranch_execz .LBB26_102
.LBB26_137:
	ds_load_b32 v18, v17 offset:640
	s_waitcnt lgkmcnt(0)
	v_add_f32_e32 v11, v11, v18
	s_or_b32 exec_lo, exec_lo, s0
	s_and_saveexec_b32 s0, vcc_lo
	s_cbranch_execz .LBB26_103
.LBB26_138:
	ds_load_b32 v18, v17 offset:704
	s_waitcnt lgkmcnt(0)
	v_add_f32_e32 v12, v12, v18
	s_or_b32 exec_lo, exec_lo, s0
	s_and_saveexec_b32 s0, vcc_lo
	s_cbranch_execz .LBB26_104
.LBB26_139:
	ds_load_b32 v18, v17 offset:768
	s_waitcnt lgkmcnt(0)
	v_add_f32_e32 v13, v13, v18
	s_or_b32 exec_lo, exec_lo, s0
	s_and_saveexec_b32 s0, vcc_lo
	s_cbranch_execz .LBB26_105
.LBB26_140:
	ds_load_b32 v18, v17 offset:832
	s_waitcnt lgkmcnt(0)
	v_add_f32_e32 v14, v14, v18
	s_or_b32 exec_lo, exec_lo, s0
	s_and_saveexec_b32 s0, vcc_lo
	s_cbranch_execz .LBB26_106
.LBB26_141:
	ds_load_b32 v18, v17 offset:896
	s_waitcnt lgkmcnt(0)
	v_add_f32_e32 v15, v15, v18
	s_or_b32 exec_lo, exec_lo, s0
	s_and_saveexec_b32 s0, vcc_lo
	s_cbranch_execnz .LBB26_107
	s_branch .LBB26_108
	.section	.rodata,"a",@progbits
	.p2align	6, 0x0
	.amdhsa_kernel _ZN4vllm25paged_attention_v2_kernelIffLi256ELi8ELi128ELNS_18Fp8KVCacheDataTypeE0ELb0ELi512EEEvPfS2_PT_PKS3_PKT0_S9_ifPKiSB_iPKfiiiSD_SD_iiiii
		.amdhsa_group_segment_fixed_size 1056
		.amdhsa_private_segment_fixed_size 0
		.amdhsa_kernarg_size 400
		.amdhsa_user_sgpr_count 13
		.amdhsa_user_sgpr_dispatch_ptr 0
		.amdhsa_user_sgpr_queue_ptr 0
		.amdhsa_user_sgpr_kernarg_segment_ptr 1
		.amdhsa_user_sgpr_dispatch_id 0
		.amdhsa_user_sgpr_private_segment_size 0
		.amdhsa_wavefront_size32 1
		.amdhsa_uses_dynamic_stack 0
		.amdhsa_enable_private_segment 0
		.amdhsa_system_sgpr_workgroup_id_x 1
		.amdhsa_system_sgpr_workgroup_id_y 1
		.amdhsa_system_sgpr_workgroup_id_z 1
		.amdhsa_system_sgpr_workgroup_info 0
		.amdhsa_system_vgpr_workitem_id 0
		.amdhsa_next_free_vgpr 145
		.amdhsa_next_free_sgpr 42
		.amdhsa_reserve_vcc 1
		.amdhsa_float_round_mode_32 0
		.amdhsa_float_round_mode_16_64 0
		.amdhsa_float_denorm_mode_32 3
		.amdhsa_float_denorm_mode_16_64 3
		.amdhsa_dx10_clamp 1
		.amdhsa_ieee_mode 1
		.amdhsa_fp16_overflow 0
		.amdhsa_workgroup_processor_mode 1
		.amdhsa_memory_ordered 1
		.amdhsa_forward_progress 0
		.amdhsa_shared_vgpr_count 0
		.amdhsa_exception_fp_ieee_invalid_op 0
		.amdhsa_exception_fp_denorm_src 0
		.amdhsa_exception_fp_ieee_div_zero 0
		.amdhsa_exception_fp_ieee_overflow 0
		.amdhsa_exception_fp_ieee_underflow 0
		.amdhsa_exception_fp_ieee_inexact 0
		.amdhsa_exception_int_div_zero 0
	.end_amdhsa_kernel
	.section	.text._ZN4vllm25paged_attention_v2_kernelIffLi256ELi8ELi128ELNS_18Fp8KVCacheDataTypeE0ELb0ELi512EEEvPfS2_PT_PKS3_PKT0_S9_ifPKiSB_iPKfiiiSD_SD_iiiii,"axG",@progbits,_ZN4vllm25paged_attention_v2_kernelIffLi256ELi8ELi128ELNS_18Fp8KVCacheDataTypeE0ELb0ELi512EEEvPfS2_PT_PKS3_PKT0_S9_ifPKiSB_iPKfiiiSD_SD_iiiii,comdat
.Lfunc_end26:
	.size	_ZN4vllm25paged_attention_v2_kernelIffLi256ELi8ELi128ELNS_18Fp8KVCacheDataTypeE0ELb0ELi512EEEvPfS2_PT_PKS3_PKT0_S9_ifPKiSB_iPKfiiiSD_SD_iiiii, .Lfunc_end26-_ZN4vllm25paged_attention_v2_kernelIffLi256ELi8ELi128ELNS_18Fp8KVCacheDataTypeE0ELb0ELi512EEEvPfS2_PT_PKS3_PKT0_S9_ifPKiSB_iPKfiiiSD_SD_iiiii
                                        ; -- End function
	.section	.AMDGPU.csdata,"",@progbits
; Kernel info:
; codeLenInByte = 8480
; NumSgprs: 44
; NumVgprs: 145
; ScratchSize: 0
; MemoryBound: 0
; FloatMode: 240
; IeeeMode: 1
; LDSByteSize: 1056 bytes/workgroup (compile time only)
; SGPRBlocks: 5
; VGPRBlocks: 18
; NumSGPRsForWavesPerEU: 44
; NumVGPRsForWavesPerEU: 145
; Occupancy: 9
; WaveLimiterHint : 1
; COMPUTE_PGM_RSRC2:SCRATCH_EN: 0
; COMPUTE_PGM_RSRC2:USER_SGPR: 13
; COMPUTE_PGM_RSRC2:TRAP_HANDLER: 0
; COMPUTE_PGM_RSRC2:TGID_X_EN: 1
; COMPUTE_PGM_RSRC2:TGID_Y_EN: 1
; COMPUTE_PGM_RSRC2:TGID_Z_EN: 1
; COMPUTE_PGM_RSRC2:TIDIG_COMP_CNT: 0
	.section	.text._ZN4vllm25paged_attention_v2_kernelIffLi32ELi16ELi128ELNS_18Fp8KVCacheDataTypeE0ELb1ELi512EEEvPfS2_PT_PKS3_PKT0_S9_ifPKiSB_iPKfiiiSD_SD_iiiii,"axG",@progbits,_ZN4vllm25paged_attention_v2_kernelIffLi32ELi16ELi128ELNS_18Fp8KVCacheDataTypeE0ELb1ELi512EEEvPfS2_PT_PKS3_PKT0_S9_ifPKiSB_iPKfiiiSD_SD_iiiii,comdat
	.protected	_ZN4vllm25paged_attention_v2_kernelIffLi32ELi16ELi128ELNS_18Fp8KVCacheDataTypeE0ELb1ELi512EEEvPfS2_PT_PKS3_PKT0_S9_ifPKiSB_iPKfiiiSD_SD_iiiii ; -- Begin function _ZN4vllm25paged_attention_v2_kernelIffLi32ELi16ELi128ELNS_18Fp8KVCacheDataTypeE0ELb1ELi512EEEvPfS2_PT_PKS3_PKT0_S9_ifPKiSB_iPKfiiiSD_SD_iiiii
	.globl	_ZN4vllm25paged_attention_v2_kernelIffLi32ELi16ELi128ELNS_18Fp8KVCacheDataTypeE0ELb1ELi512EEEvPfS2_PT_PKS3_PKT0_S9_ifPKiSB_iPKfiiiSD_SD_iiiii
	.p2align	8
	.type	_ZN4vllm25paged_attention_v2_kernelIffLi32ELi16ELi128ELNS_18Fp8KVCacheDataTypeE0ELb1ELi512EEEvPfS2_PT_PKS3_PKT0_S9_ifPKiSB_iPKfiiiSD_SD_iiiii,@function
_ZN4vllm25paged_attention_v2_kernelIffLi32ELi16ELi128ELNS_18Fp8KVCacheDataTypeE0ELb1ELi512EEEvPfS2_PT_PKS3_PKT0_S9_ifPKiSB_iPKfiiiSD_SD_iiiii: ; @_ZN4vllm25paged_attention_v2_kernelIffLi32ELi16ELi128ELNS_18Fp8KVCacheDataTypeE0ELb1ELi512EEEvPfS2_PT_PKS3_PKT0_S9_ifPKiSB_iPKfiiiSD_SD_iiiii
; %bb.0:
	s_load_b64 s[2:3], s[0:1], 0x40
	s_mov_b32 s22, s15
	s_ashr_i32 s15, s14, 31
	s_delay_alu instid0(SALU_CYCLE_1)
	s_lshl_b64 s[4:5], s[14:15], 2
	s_waitcnt lgkmcnt(0)
	s_add_u32 s2, s2, s4
	s_addc_u32 s3, s3, s5
	s_lshl_b32 s38, s22, 9
	s_load_b32 s15, s[2:3], 0x0
	s_waitcnt lgkmcnt(0)
	s_cmp_ge_i32 s38, s15
	s_cbranch_scc1 .LBB27_70
; %bb.1:
	s_clause 0x1
	s_load_b32 s23, s[0:1], 0x90
	s_load_b64 s[36:37], s[0:1], 0x30
	s_mov_b32 s24, s13
	s_mov_b32 s41, 0
	s_waitcnt lgkmcnt(0)
	s_abs_i32 s5, s23
	s_abs_i32 s2, s36
	s_delay_alu instid0(SALU_CYCLE_1) | instskip(SKIP_1) | instid1(VALU_DEP_1)
	v_cvt_f32_u32_e32 v1, s2
	s_sub_i32 s4, 0, s2
	v_rcp_iflag_f32_e32 v1, v1
	s_waitcnt_depctr 0xfff
	v_mul_f32_e32 v1, 0x4f7ffffe, v1
	s_delay_alu instid0(VALU_DEP_1) | instskip(NEXT) | instid1(VALU_DEP_1)
	v_cvt_u32_f32_e32 v1, v1
	v_readfirstlane_b32 s3, v1
	s_delay_alu instid0(VALU_DEP_1) | instskip(NEXT) | instid1(SALU_CYCLE_1)
	s_mul_i32 s4, s4, s3
	s_mul_hi_u32 s4, s3, s4
	s_delay_alu instid0(SALU_CYCLE_1) | instskip(SKIP_4) | instid1(SALU_CYCLE_1)
	s_add_i32 s3, s3, s4
	s_xor_b32 s4, s23, s36
	s_mul_hi_u32 s3, s5, s3
	s_ashr_i32 s4, s4, 31
	s_mul_i32 s6, s3, s2
	s_sub_i32 s5, s5, s6
	s_add_i32 s6, s3, 1
	s_sub_i32 s7, s5, s2
	s_cmp_ge_u32 s5, s2
	s_cselect_b32 s3, s6, s3
	s_cselect_b32 s5, s7, s5
	s_add_i32 s6, s3, 1
	s_cmp_ge_u32 s5, s2
	s_cselect_b32 s2, s6, s3
	s_abs_i32 s17, s13
	s_xor_b32 s2, s2, s4
	s_delay_alu instid0(SALU_CYCLE_1) | instskip(SKIP_2) | instid1(SALU_CYCLE_1)
	s_sub_i32 s8, s2, s4
	s_load_b64 s[2:3], s[0:1], 0x50
	s_abs_i32 s16, s8
	v_cvt_f32_u32_e32 v1, s16
	s_sub_i32 s5, 0, s16
	s_delay_alu instid0(VALU_DEP_1) | instskip(SKIP_2) | instid1(VALU_DEP_1)
	v_rcp_iflag_f32_e32 v1, v1
	s_waitcnt_depctr 0xfff
	v_mul_f32_e32 v1, 0x4f7ffffe, v1
	v_cvt_u32_f32_e32 v1, v1
	s_delay_alu instid0(VALU_DEP_1) | instskip(NEXT) | instid1(VALU_DEP_1)
	v_readfirstlane_b32 s4, v1
	s_mul_i32 s5, s5, s4
	s_delay_alu instid0(SALU_CYCLE_1) | instskip(NEXT) | instid1(SALU_CYCLE_1)
	s_mul_hi_u32 s5, s4, s5
	s_add_i32 s4, s4, s5
	s_waitcnt lgkmcnt(0)
	s_cmp_eq_u64 s[2:3], 0
	s_mul_hi_u32 s18, s17, s4
	s_cbranch_scc1 .LBB27_3
; %bb.2:
	s_ashr_i32 s25, s24, 31
	s_delay_alu instid0(SALU_CYCLE_1) | instskip(NEXT) | instid1(SALU_CYCLE_1)
	s_lshl_b64 s[4:5], s[24:25], 2
	s_add_u32 s2, s2, s4
	s_addc_u32 s3, s3, s5
	s_load_b32 s41, s[2:3], 0x0
.LBB27_3:
	s_load_b128 s[4:7], s[0:1], 0x58
	v_and_b32_e32 v1, 1, v0
	v_lshlrev_b32_e32 v2, 3, v0
	v_lshlrev_b32_e32 v5, 2, v0
	s_ashr_i32 s2, s24, 31
	s_ashr_i32 s3, s8, 31
	s_lshl_b32 s12, s24, 5
	s_waitcnt lgkmcnt(0)
	s_mov_b32 s7, exec_lo
	v_cmpx_gt_u32_e32 16, v0
	s_cbranch_execz .LBB27_5
; %bb.4:
	s_load_b64 s[8:9], s[0:1], 0x18
	s_mul_i32 s10, s14, s4
	v_and_b32_e32 v6, 0xff8, v5
	s_ashr_i32 s11, s10, 31
	s_delay_alu instid0(SALU_CYCLE_1) | instskip(NEXT) | instid1(VALU_DEP_1)
	s_lshl_b64 s[10:11], s[10:11], 2
	v_lshl_add_u32 v6, v1, 6, v6
	s_waitcnt lgkmcnt(0)
	s_add_u32 s4, s8, s10
	s_addc_u32 s10, s9, s11
	s_ashr_i32 s13, s12, 31
	s_delay_alu instid0(SALU_CYCLE_1) | instskip(NEXT) | instid1(SALU_CYCLE_1)
	s_lshl_b64 s[8:9], s[12:13], 2
	s_add_u32 s8, s4, s8
	s_addc_u32 s9, s10, s9
	global_load_b64 v[3:4], v2, s[8:9]
	s_waitcnt vmcnt(0)
	ds_store_b64 v6, v[3:4]
.LBB27_5:
	s_or_b32 exec_lo, exec_lo, s7
	s_load_b128 s[8:11], s[0:1], 0x78
	s_mul_i32 s4, s18, s16
	s_xor_b32 s2, s2, s3
	s_sub_i32 s3, s17, s4
	s_add_i32 s4, s18, 1
	s_sub_i32 s7, s3, s16
	s_cmp_ge_u32 s3, s16
	s_mov_b32 s17, -1
	s_cselect_b32 s4, s4, s18
	s_cselect_b32 s3, s7, s3
	s_add_i32 s7, s4, 1
	s_cmp_ge_u32 s3, s16
	s_waitcnt lgkmcnt(0)
	s_cselect_b32 s3, s7, s4
	s_load_b32 s7, s[0:1], 0x88
	s_xor_b32 s3, s3, s2
	s_add_i32 s16, s15, -1
	s_sub_i32 s3, s3, s2
	s_abs_i32 s4, s16
	s_waitcnt lgkmcnt(0)
	s_barrier
	s_abs_i32 s13, s11
	buffer_gl0_inv
	v_cvt_f32_u32_e32 v3, s13
	s_sub_i32 s2, 0, s13
                                        ; implicit-def: $sgpr33
	s_delay_alu instid0(VALU_DEP_1) | instskip(SKIP_2) | instid1(VALU_DEP_1)
	v_rcp_iflag_f32_e32 v3, v3
	s_waitcnt_depctr 0xfff
	v_mul_f32_e32 v3, 0x4f7ffffe, v3
	v_cvt_u32_f32_e32 v3, v3
	s_delay_alu instid0(VALU_DEP_1) | instskip(NEXT) | instid1(VALU_DEP_1)
	v_readfirstlane_b32 s25, v3
	s_mul_i32 s2, s2, s25
	s_delay_alu instid0(SALU_CYCLE_1) | instskip(NEXT) | instid1(SALU_CYCLE_1)
	s_mul_hi_u32 s2, s25, s2
	s_add_i32 s25, s25, s2
	s_cmp_lt_i32 s7, 0
	s_mul_hi_u32 s2, s4, s25
	s_cbranch_scc0 .LBB27_7
; %bb.6:
	s_mul_i32 s17, s8, s36
	s_delay_alu instid0(SALU_CYCLE_1) | instskip(NEXT) | instid1(SALU_CYCLE_1)
	s_add_i32 s17, s3, s17
	s_mul_i32 s17, s17, s7
	s_delay_alu instid0(SALU_CYCLE_1)
	s_sub_i32 s33, 1, s17
	s_mov_b32 s17, 0
.LBB27_7:
	s_load_b64 s[26:27], s[0:1], 0x38
	s_ashr_i32 s28, s16, 31
	s_and_not1_b32 vcc_lo, exec_lo, s17
	s_ashr_i32 s11, s11, 31
	s_cbranch_vccnz .LBB27_9
; %bb.8:
	s_mul_i32 s8, s23, s8
	s_delay_alu instid0(SALU_CYCLE_1) | instskip(NEXT) | instid1(SALU_CYCLE_1)
	s_add_i32 s8, s8, s24
	s_mul_i32 s7, s8, s7
	s_delay_alu instid0(SALU_CYCLE_1)
	s_add_i32 s33, s7, 1
.LBB27_9:
	s_clause 0x4
	s_load_b32 s7, s[0:1], 0x48
	s_load_b64 s[30:31], s[0:1], 0x28
	s_load_b32 s8, s[0:1], 0x98
	s_load_b128 s[16:19], s[0:1], 0x0
	s_load_b64 s[20:21], s[0:1], 0x10
	s_xor_b32 s34, s28, s11
	s_mul_i32 s28, s2, s13
	s_add_i32 s35, s2, 1
	s_sub_i32 s4, s4, s28
	v_lshrrev_b32_e32 v28, 5, v0
	v_mov_b32_e32 v4, 0xff7fffff
	v_mbcnt_lo_u32_b32 v3, -1, 0
	s_delay_alu instid0(VALU_DEP_3)
	v_lshl_add_u32 v29, v28, 4, s38
	s_waitcnt lgkmcnt(0)
	s_mul_i32 s28, s14, s7
	s_sub_i32 s7, s4, s13
	s_ashr_i32 s29, s28, 31
	s_cmp_ge_u32 s4, s13
	s_cselect_b32 s2, s35, s2
	s_cselect_b32 s4, s7, s4
	s_add_i32 s7, s2, 1
	s_cmp_ge_u32 s4, s13
	s_cselect_b32 s2, s7, s2
	s_add_i32 s7, s15, 15
	s_lshl_b32 s4, s22, 5
	s_ashr_i32 s35, s7, 31
	v_or_b32_e32 v25, s4, v28
	s_lshr_b32 s35, s35, 28
	s_delay_alu instid0(SALU_CYCLE_1)
	s_add_i32 s7, s7, s35
	s_add_i32 s35, s4, 32
	s_ashr_i32 s39, s7, 4
	s_xor_b32 s7, s2, s34
	s_min_i32 s36, s35, s39
	v_ashrrev_i32_e32 v26, 31, v25
	v_cmp_gt_i32_e64 s2, s36, v25
	s_sub_i32 s40, s7, s34
	s_mul_i32 s34, s3, s6
	s_delay_alu instid0(VALU_DEP_1)
	s_and_saveexec_b32 s6, s2
	s_cbranch_execz .LBB27_19
; %bb.10:
	s_load_b64 s[0:1], s[0:1], 0x20
	s_ashr_i32 s35, s34, 31
	s_sub_i32 s7, s40, s9
	s_lshl_b64 s[42:43], s[34:35], 2
	v_bfe_u32 v6, v0, 1, 4
	v_cmp_eq_u32_e32 vcc_lo, 0, v1
	v_lshlrev_b32_e32 v7, 6, v1
	v_lshl_add_u32 v8, v28, 4, s38
	v_mov_b32_e32 v9, 0xff7fffff
	v_lshlrev_b32_e32 v11, 2, v6
	v_subrev_nc_u32_e32 v14, s15, v6
	v_lshlrev_b32_e32 v17, 4, v6
	v_xor_b32_e32 v10, 1, v3
	s_delay_alu instid0(VALU_DEP_4) | instskip(NEXT) | instid1(VALU_DEP_4)
	v_lshl_or_b32 v15, v28, 6, v11
	v_add_nc_u32_e32 v11, 1, v14
	s_waitcnt lgkmcnt(0)
	s_add_u32 s3, s0, s42
	s_addc_u32 s1, s1, s43
	s_abs_i32 s35, s10
	v_cmp_neq_f32_e64 s0, s41, 0
	v_cvt_f32_u32_e32 v4, s35
	s_sub_i32 s42, 0, s35
	s_delay_alu instid0(VALU_DEP_1)
	v_rcp_iflag_f32_e32 v4, v4
	v_and_b32_e32 v13, 8, v2
	v_lshlrev_b64 v[1:2], 2, v[25:26]
	s_waitcnt_depctr 0xfff
	v_mul_f32_e32 v12, 0x4f7ffffe, v4
	v_mov_b32_e32 v4, 0xff7fffff
	s_delay_alu instid0(VALU_DEP_2) | instskip(SKIP_2) | instid1(VALU_DEP_1)
	v_cvt_u32_f32_e32 v16, v12
	v_add_nc_u32_e32 v12, 0xa0, v15
	v_add_co_u32 v15, s3, s3, v17
	v_add_co_ci_u32_e64 v17, null, s1, 0, s3
	s_delay_alu instid0(VALU_DEP_4) | instskip(SKIP_1) | instid1(SALU_CYCLE_1)
	v_mul_lo_u32 v14, s42, v16
	s_lshl_b64 s[42:43], s[28:29], 2
	s_add_u32 s1, s26, s42
	s_addc_u32 s3, s27, s43
	v_add_co_u32 v1, s1, s1, v1
	s_delay_alu instid0(VALU_DEP_1) | instskip(NEXT) | instid1(VALU_DEP_3)
	v_add_co_ci_u32_e64 v2, s1, s3, v2, s1
	v_mul_hi_u32 v18, v16, v14
	v_add_co_u32 v13, s1, v15, v13
	s_delay_alu instid0(VALU_DEP_1) | instskip(SKIP_2) | instid1(VALU_DEP_3)
	v_add_co_ci_u32_e64 v14, s1, 0, v17, s1
	s_mov_b32 s42, 0
	s_mov_b32 s43, s5
	v_dual_mov_b32 v16, v25 :: v_dual_add_nc_u32 v15, v16, v18
	s_branch .LBB27_13
.LBB27_11:                              ;   in Loop: Header=BB27_13 Depth=1
	s_or_b32 exec_lo, exec_lo, s44
.LBB27_12:                              ;   in Loop: Header=BB27_13 Depth=1
	s_delay_alu instid0(SALU_CYCLE_1) | instskip(SKIP_2) | instid1(VALU_DEP_1)
	s_or_b32 exec_lo, exec_lo, s3
	v_add_nc_u32_e32 v16, 4, v16
	v_add_co_u32 v1, s3, v1, 16
	v_add_co_ci_u32_e64 v2, s3, 0, v2, s3
	s_delay_alu instid0(VALU_DEP_3) | instskip(SKIP_2) | instid1(VALU_DEP_3)
	v_cmp_le_i32_e64 s1, s36, v16
	v_add_nc_u32_e32 v8, 64, v8
	v_add_nc_u32_e32 v12, 0x100, v12
	s_or_b32 s42, s1, s42
	s_delay_alu instid0(SALU_CYCLE_1)
	s_and_not1_b32 exec_lo, exec_lo, s42
	s_cbranch_execz .LBB27_18
.LBB27_13:                              ; =>This Inner Loop Header: Depth=1
	v_sub_nc_u32_e32 v17, 0, v8
	s_delay_alu instid0(VALU_DEP_1) | instskip(SKIP_1) | instid1(VALU_DEP_1)
	v_max_i32_e32 v17, v8, v17
	s_waitcnt lgkmcnt(0)
	v_mul_hi_u32 v18, v17, s25
	s_delay_alu instid0(VALU_DEP_1) | instskip(NEXT) | instid1(VALU_DEP_1)
	v_mul_lo_u32 v19, v18, s13
	v_sub_nc_u32_e32 v17, v17, v19
	v_add_nc_u32_e32 v19, 1, v18
	s_delay_alu instid0(VALU_DEP_2) | instskip(SKIP_1) | instid1(VALU_DEP_1)
	v_subrev_nc_u32_e32 v20, s13, v17
	v_cmp_le_u32_e64 s1, s13, v17
	v_cndmask_b32_e64 v18, v18, v19, s1
	s_delay_alu instid0(VALU_DEP_3) | instskip(SKIP_1) | instid1(VALU_DEP_3)
	v_cndmask_b32_e64 v17, v17, v20, s1
	v_ashrrev_i32_e32 v19, 31, v8
	v_add_nc_u32_e32 v20, 1, v18
	s_delay_alu instid0(VALU_DEP_3) | instskip(NEXT) | instid1(VALU_DEP_3)
	v_cmp_le_u32_e64 s1, s13, v17
	v_xor_b32_e32 v19, s11, v19
	s_delay_alu instid0(VALU_DEP_2) | instskip(NEXT) | instid1(VALU_DEP_1)
	v_cndmask_b32_e64 v17, v18, v20, s1
	v_xor_b32_e32 v17, v17, v19
	s_delay_alu instid0(VALU_DEP_1) | instskip(NEXT) | instid1(VALU_DEP_1)
	v_sub_nc_u32_e32 v17, v17, v19
	v_add_nc_u32_e32 v18, s33, v17
	v_cmp_ge_i32_e64 s3, s7, v17
	s_delay_alu instid0(VALU_DEP_2) | instskip(NEXT) | instid1(VALU_DEP_1)
	v_sub_nc_u32_e32 v19, 0, v18
	v_max_i32_e32 v19, v18, v19
	v_ashrrev_i32_e32 v18, 31, v18
	s_delay_alu instid0(VALU_DEP_2) | instskip(NEXT) | instid1(VALU_DEP_1)
	v_mul_hi_u32 v20, v19, v15
	v_mul_lo_u32 v20, v20, s35
	s_delay_alu instid0(VALU_DEP_1) | instskip(NEXT) | instid1(VALU_DEP_1)
	v_sub_nc_u32_e32 v19, v19, v20
	v_subrev_nc_u32_e32 v20, s35, v19
	v_cmp_le_u32_e64 s1, s35, v19
	s_delay_alu instid0(VALU_DEP_1) | instskip(NEXT) | instid1(VALU_DEP_1)
	v_cndmask_b32_e64 v19, v19, v20, s1
	v_subrev_nc_u32_e32 v20, s35, v19
	v_cmp_le_u32_e64 s1, s35, v19
	s_delay_alu instid0(VALU_DEP_1) | instskip(NEXT) | instid1(VALU_DEP_1)
	v_cndmask_b32_e64 v19, v19, v20, s1
	v_xor_b32_e32 v19, v19, v18
	s_delay_alu instid0(VALU_DEP_1) | instskip(NEXT) | instid1(VALU_DEP_1)
	v_sub_nc_u32_e32 v18, v19, v18
	v_cmp_ne_u32_e64 s1, 0, v18
	s_delay_alu instid0(VALU_DEP_1) | instskip(NEXT) | instid1(SALU_CYCLE_1)
	s_and_b32 s1, s1, s3
	s_and_b32 s44, vcc_lo, s1
	s_delay_alu instid0(SALU_CYCLE_1)
	s_and_saveexec_b32 s3, s44
	s_cbranch_execz .LBB27_15
; %bb.14:                               ;   in Loop: Header=BB27_13 Depth=1
	ds_store_b32 v12, v9
.LBB27_15:                              ;   in Loop: Header=BB27_13 Depth=1
	s_or_b32 exec_lo, exec_lo, s3
	s_xor_b32 s1, s1, -1
	s_delay_alu instid0(SALU_CYCLE_1)
	s_and_saveexec_b32 s3, s1
	s_cbranch_execz .LBB27_12
; %bb.16:                               ;   in Loop: Header=BB27_13 Depth=1
	global_load_b32 v19, v[1:2], off
	s_waitcnt vmcnt(0)
	v_mad_i64_i32 v[17:18], null, v19, s43, 0
	s_delay_alu instid0(VALU_DEP_1) | instskip(NEXT) | instid1(VALU_DEP_1)
	v_lshlrev_b64 v[17:18], 2, v[17:18]
	v_add_co_u32 v17, s1, v13, v17
	s_delay_alu instid0(VALU_DEP_1)
	v_add_co_ci_u32_e64 v18, s1, v14, v18, s1
	v_cmp_gt_i32_e64 s1, 32, v10
	s_clause 0x7
	global_load_b64 v[33:34], v[17:18], off offset:256
	global_load_b64 v[35:36], v[17:18], off
	global_load_b64 v[37:38], v[17:18], off offset:512
	global_load_b64 v[39:40], v[17:18], off offset:768
	;; [unrolled: 1-line block ×6, first 2 shown]
	ds_load_b128 v[17:20], v7
	ds_load_b128 v[21:24], v7 offset:16
	s_waitcnt vmcnt(7) lgkmcnt(1)
	v_dual_mul_f32 v27, v19, v33 :: v_dual_mul_f32 v34, v20, v34
	ds_load_b128 v[30:33], v7 offset:32
	s_waitcnt vmcnt(6)
	v_dual_fmac_f32 v27, v17, v35 :: v_dual_fmac_f32 v34, v18, v36
	ds_load_b128 v[17:20], v7 offset:48
	s_waitcnt vmcnt(5) lgkmcnt(2)
	v_dual_fmac_f32 v27, v21, v37 :: v_dual_fmac_f32 v34, v22, v38
	s_waitcnt vmcnt(4)
	s_delay_alu instid0(VALU_DEP_1) | instskip(SKIP_1) | instid1(VALU_DEP_1)
	v_dual_fmac_f32 v27, v23, v39 :: v_dual_fmac_f32 v34, v24, v40
	s_waitcnt vmcnt(3) lgkmcnt(1)
	v_dual_fmac_f32 v27, v30, v41 :: v_dual_fmac_f32 v34, v31, v42
	s_waitcnt vmcnt(2)
	s_delay_alu instid0(VALU_DEP_1) | instskip(SKIP_1) | instid1(VALU_DEP_1)
	v_dual_fmac_f32 v27, v32, v43 :: v_dual_fmac_f32 v34, v33, v44
	s_waitcnt vmcnt(1) lgkmcnt(0)
	v_dual_fmac_f32 v27, v17, v45 :: v_dual_fmac_f32 v34, v18, v46
	v_cndmask_b32_e64 v17, v3, v10, s1
	s_waitcnt vmcnt(0)
	s_delay_alu instid0(VALU_DEP_2) | instskip(NEXT) | instid1(VALU_DEP_1)
	v_dual_fmac_f32 v27, v19, v47 :: v_dual_fmac_f32 v34, v20, v48
	v_dual_add_f32 v17, v27, v34 :: v_dual_lshlrev_b32 v18, 2, v17
	ds_bpermute_b32 v18, v18, v17
	s_and_saveexec_b32 s44, vcc_lo
	s_cbranch_execz .LBB27_11
; %bb.17:                               ;   in Loop: Header=BB27_13 Depth=1
	s_waitcnt lgkmcnt(0)
	v_add_f32_e32 v17, v17, v18
	v_add_nc_u32_e32 v19, v11, v8
	s_delay_alu instid0(VALU_DEP_1) | instskip(NEXT) | instid1(VALU_DEP_1)
	v_cvt_f32_i32_e32 v19, v19
	v_mul_f32_e32 v19, s41, v19
	s_delay_alu instid0(VALU_DEP_1) | instskip(NEXT) | instid1(VALU_DEP_1)
	v_cndmask_b32_e64 v18, 0, v19, s0
	v_dual_max_f32 v19, v4, v4 :: v_dual_fmac_f32 v18, s37, v17
	v_add_nc_u32_e32 v17, v6, v8
	s_delay_alu instid0(VALU_DEP_2) | instskip(NEXT) | instid1(VALU_DEP_2)
	v_max_f32_e32 v19, v19, v18
	v_cmp_gt_i32_e64 s1, s15, v17
	s_delay_alu instid0(VALU_DEP_1) | instskip(NEXT) | instid1(VALU_DEP_3)
	v_cndmask_b32_e64 v17, 0, v18, s1
	v_cndmask_b32_e64 v4, v4, v19, s1
	ds_store_b32 v12, v17
	s_branch .LBB27_11
.LBB27_18:
	s_or_b32 exec_lo, exec_lo, s42
.LBB27_19:
	s_delay_alu instid0(SALU_CYCLE_1) | instskip(SKIP_4) | instid1(VALU_DEP_4)
	s_or_b32 exec_lo, exec_lo, s6
	v_xor_b32_e32 v1, 16, v3
	v_xor_b32_e32 v6, 8, v3
	v_max_f32_e32 v7, v4, v4
	v_and_b32_e32 v30, 31, v0
	v_cmp_gt_i32_e32 vcc_lo, 32, v1
	v_cndmask_b32_e32 v1, v3, v1, vcc_lo
	v_cmp_gt_i32_e32 vcc_lo, 32, v6
	s_delay_alu instid0(VALU_DEP_2) | instskip(SKIP_3) | instid1(VALU_DEP_1)
	v_lshlrev_b32_e32 v2, 2, v1
	ds_bpermute_b32 v1, v2, v4
	s_waitcnt lgkmcnt(0)
	v_dual_cndmask_b32 v4, v3, v6 :: v_dual_max_f32 v1, v1, v1
	v_dual_max_f32 v1, v7, v1 :: v_dual_lshlrev_b32 v4, 2, v4
	v_xor_b32_e32 v7, 4, v3
	ds_bpermute_b32 v6, v4, v1
	v_cmp_gt_i32_e32 vcc_lo, 32, v7
	s_waitcnt lgkmcnt(0)
	v_dual_cndmask_b32 v7, v3, v7 :: v_dual_max_f32 v8, v6, v6
	s_delay_alu instid0(VALU_DEP_1)
	v_dual_max_f32 v1, v1, v8 :: v_dual_lshlrev_b32 v6, 2, v7
	v_xor_b32_e32 v8, 2, v3
	ds_bpermute_b32 v7, v6, v1
	v_cmp_gt_i32_e32 vcc_lo, 32, v8
	s_waitcnt lgkmcnt(0)
	v_max_f32_e32 v7, v7, v7
	v_cndmask_b32_e32 v8, v3, v8, vcc_lo
	v_cmp_eq_u32_e32 vcc_lo, 0, v30
	s_delay_alu instid0(VALU_DEP_3) | instskip(NEXT) | instid1(VALU_DEP_3)
	v_max_f32_e32 v1, v1, v7
	v_lshlrev_b32_e32 v31, 2, v8
	v_lshlrev_b32_e32 v7, 2, v28
	ds_bpermute_b32 v8, v31, v1
	s_and_saveexec_b32 s0, vcc_lo
	s_cbranch_execz .LBB27_21
; %bb.20:
	s_waitcnt lgkmcnt(0)
	v_dual_max_f32 v8, v8, v8 :: v_dual_max_f32 v1, v1, v1
	s_delay_alu instid0(VALU_DEP_1)
	v_max_f32_e32 v1, v1, v8
	ds_store_b32 v7, v1 offset:128
.LBB27_21:
	s_or_b32 exec_lo, exec_lo, s0
	v_cmp_gt_u32_e64 s0, 4, v30
	s_waitcnt lgkmcnt(0)
	v_dual_mov_b32 v1, 0xff7fffff :: v_dual_lshlrev_b32 v8, 2, v30
	s_barrier
	buffer_gl0_inv
	s_and_saveexec_b32 s1, s0
	s_cbranch_execz .LBB27_23
; %bb.22:
	ds_load_b32 v1, v8 offset:128
.LBB27_23:
	s_or_b32 exec_lo, exec_lo, s1
	s_waitcnt lgkmcnt(0)
	ds_bpermute_b32 v9, v31, v1
	v_xor_b32_e32 v10, 1, v3
	s_delay_alu instid0(VALU_DEP_1) | instskip(NEXT) | instid1(VALU_DEP_1)
	v_cmp_gt_i32_e64 s1, 32, v10
	v_cndmask_b32_e64 v3, v3, v10, s1
	v_max_f32_e32 v1, v1, v1
	s_sub_i32 s1, s36, s4
	s_delay_alu instid0(SALU_CYCLE_1) | instskip(NEXT) | instid1(VALU_DEP_2)
	s_lshl_b32 s1, s1, 4
	v_lshlrev_b32_e32 v32, 2, v3
	s_add_i32 s1, s1, s38
	s_delay_alu instid0(SALU_CYCLE_1) | instskip(SKIP_3) | instid1(SALU_CYCLE_1)
	s_min_i32 s1, s1, s15
	s_waitcnt lgkmcnt(0)
	v_max_f32_e32 v9, v9, v9
	s_sub_i32 s6, s1, s38
	v_cmp_gt_i32_e64 s1, s6, v0
	s_delay_alu instid0(VALU_DEP_2) | instskip(SKIP_4) | instid1(VALU_DEP_1)
	v_max_f32_e32 v1, v1, v9
	v_mov_b32_e32 v9, 0
	ds_bpermute_b32 v3, v32, v1
	s_waitcnt lgkmcnt(0)
	v_max_f32_e32 v3, v3, v3
	v_max_f32_e32 v1, v1, v3
	v_lshl_add_u32 v3, v0, 2, 0xa0
	ds_bpermute_b32 v1, v9, v1
	s_and_saveexec_b32 s7, s1
	s_cbranch_execz .LBB27_27
; %bb.24:
	v_lshl_add_u32 v10, v0, 2, 0xa0
	v_mov_b32_e32 v9, 0
	v_mov_b32_e32 v11, v0
	s_mov_b32 s35, 0
	.p2align	6
.LBB27_25:                              ; =>This Inner Loop Header: Depth=1
	ds_load_b32 v12, v10
	v_add_nc_u32_e32 v11, 0x80, v11
	s_delay_alu instid0(VALU_DEP_1) | instskip(NEXT) | instid1(VALU_DEP_1)
	v_cmp_le_i32_e64 s3, s6, v11
	s_or_b32 s35, s3, s35
	s_waitcnt lgkmcnt(0)
	v_sub_f32_e32 v12, v12, v1
	s_delay_alu instid0(VALU_DEP_1) | instskip(NEXT) | instid1(VALU_DEP_1)
	v_mul_f32_e32 v12, 0x3fb8aa3b, v12
	v_exp_f32_e32 v12, v12
	ds_store_b32 v10, v12
	v_dual_add_f32 v9, v9, v12 :: v_dual_add_nc_u32 v10, 0x200, v10
	s_and_not1_b32 exec_lo, exec_lo, s35
	s_cbranch_execnz .LBB27_25
; %bb.26:
	s_or_b32 exec_lo, exec_lo, s35
.LBB27_27:
	s_delay_alu instid0(SALU_CYCLE_1)
	s_or_b32 exec_lo, exec_lo, s7
	ds_bpermute_b32 v2, v2, v9
	s_waitcnt lgkmcnt(0)
	v_add_f32_e32 v2, v9, v2
	ds_bpermute_b32 v4, v4, v2
	s_waitcnt lgkmcnt(0)
	v_add_f32_e32 v2, v2, v4
	;; [unrolled: 3-line block ×5, first 2 shown]
	s_and_saveexec_b32 s3, vcc_lo
	s_cbranch_execz .LBB27_29
; %bb.28:
	ds_store_b32 v7, v2 offset:144
.LBB27_29:
	s_or_b32 exec_lo, exec_lo, s3
	s_waitcnt lgkmcnt(0)
	s_barrier
	buffer_gl0_inv
	s_and_saveexec_b32 s3, s0
	s_cbranch_execz .LBB27_31
; %bb.30:
	ds_load_b32 v2, v8 offset:144
.LBB27_31:
	s_or_b32 exec_lo, exec_lo, s3
	s_waitcnt lgkmcnt(0)
	ds_bpermute_b32 v4, v31, v2
	s_waitcnt lgkmcnt(0)
	v_add_f32_e32 v2, v2, v4
	ds_bpermute_b32 v4, v32, v2
	s_waitcnt lgkmcnt(0)
	v_add_f32_e32 v2, v2, v4
	v_mov_b32_e32 v4, 0
	ds_bpermute_b32 v2, v4, v2
	s_and_saveexec_b32 s0, s1
	s_cbranch_execz .LBB27_34
; %bb.32:
	s_waitcnt lgkmcnt(0)
	v_add_f32_e32 v4, 0x358637bd, v2
	s_mov_b32 s1, 0
	s_delay_alu instid0(VALU_DEP_1) | instskip(NEXT) | instid1(VALU_DEP_1)
	v_div_scale_f32 v6, null, v4, v4, 1.0
	v_rcp_f32_e32 v7, v6
	s_waitcnt_depctr 0xfff
	v_fma_f32 v8, -v6, v7, 1.0
	s_delay_alu instid0(VALU_DEP_1) | instskip(SKIP_1) | instid1(VALU_DEP_1)
	v_fmac_f32_e32 v7, v8, v7
	v_div_scale_f32 v9, vcc_lo, 1.0, v4, 1.0
	v_mul_f32_e32 v8, v9, v7
	s_delay_alu instid0(VALU_DEP_1) | instskip(NEXT) | instid1(VALU_DEP_1)
	v_fma_f32 v10, -v6, v8, v9
	v_fmac_f32_e32 v8, v10, v7
	s_delay_alu instid0(VALU_DEP_1) | instskip(NEXT) | instid1(VALU_DEP_1)
	v_fma_f32 v6, -v6, v8, v9
	v_div_fmas_f32 v6, v6, v7, v8
	s_delay_alu instid0(VALU_DEP_1)
	v_div_fixup_f32 v4, v6, v4, 1.0
	v_mov_b32_e32 v6, v0
.LBB27_33:                              ; =>This Inner Loop Header: Depth=1
	ds_load_b32 v7, v3
	s_waitcnt lgkmcnt(0)
	v_dual_mul_f32 v7, v4, v7 :: v_dual_add_nc_u32 v6, 0x80, v6
	s_delay_alu instid0(VALU_DEP_1) | instskip(SKIP_3) | instid1(SALU_CYCLE_1)
	v_cmp_le_i32_e32 vcc_lo, s6, v6
	ds_store_b32 v3, v7
	v_add_nc_u32_e32 v3, 0x200, v3
	s_or_b32 s1, vcc_lo, s1
	s_and_not1_b32 exec_lo, exec_lo, s1
	s_cbranch_execnz .LBB27_33
.LBB27_34:
	s_or_b32 exec_lo, exec_lo, s0
	s_mul_i32 s0, s8, s14
	s_waitcnt lgkmcnt(0)
	s_mul_i32 s6, s0, s23
	s_mov_b32 s0, exec_lo
	s_barrier
	buffer_gl0_inv
	v_cmpx_eq_u32_e32 0, v0
	s_cbranch_execz .LBB27_36
; %bb.35:
	s_ashr_i32 s7, s6, 31
	s_mul_i32 s44, s8, s24
	s_lshl_b64 s[42:43], s[6:7], 2
	v_mov_b32_e32 v3, 0
	s_add_u32 s1, s18, s42
	s_addc_u32 s3, s19, s43
	s_ashr_i32 s45, s44, 31
	s_delay_alu instid0(SALU_CYCLE_1) | instskip(NEXT) | instid1(SALU_CYCLE_1)
	s_lshl_b64 s[18:19], s[44:45], 2
	s_add_u32 s1, s1, s18
	s_addc_u32 s3, s3, s19
	s_ashr_i32 s23, s22, 31
	s_delay_alu instid0(SALU_CYCLE_1) | instskip(NEXT) | instid1(SALU_CYCLE_1)
	s_lshl_b64 s[22:23], s[22:23], 2
	s_add_u32 s44, s1, s22
	s_addc_u32 s45, s3, s23
	s_add_u32 s1, s16, s42
	s_addc_u32 s3, s17, s43
	s_add_u32 s1, s1, s18
	s_addc_u32 s3, s3, s19
	s_add_u32 s16, s1, s22
	s_addc_u32 s17, s3, s23
	s_clause 0x1
	global_store_b32 v3, v1, s[44:45]
	global_store_b32 v3, v2, s[16:17]
.LBB27_36:
	s_or_b32 exec_lo, exec_lo, s0
	v_dual_mov_b32 v4, 0 :: v_dual_and_b32 v33, 3, v0
	v_dual_mov_b32 v3, 0 :: v_dual_mov_b32 v2, 0
	v_mov_b32_e32 v1, 0
	s_mov_b32 s3, 0
	s_and_saveexec_b32 s1, s2
	s_cbranch_execz .LBB27_50
; %bb.37:
	s_ashr_i32 s35, s34, 31
	s_sub_i32 s2, s40, s9
	s_lshl_b64 s[16:17], s[34:35], 2
	v_lshlrev_b32_e32 v4, 4, v0
	s_add_u32 s0, s30, s16
	s_addc_u32 s9, s31, s17
	s_abs_i32 s7, s10
	s_mov_b32 s16, 0
	v_cvt_f32_u32_e32 v1, s7
	s_sub_i32 s10, 0, s7
	s_lshl_b64 s[22:23], s[28:29], 2
	s_mov_b32 s17, s16
	s_mov_b32 s18, s16
	v_rcp_iflag_f32_e32 v1, v1
	s_mov_b32 s19, s16
	s_add_i32 s39, s39, -1
	v_and_b32_e32 v34, 12, v5
	v_lshlrev_b32_e32 v5, 4, v33
	v_and_b32_e32 v4, 0x1f0, v4
	s_waitcnt_depctr 0xfff
	v_mul_f32_e32 v3, 0x4f7ffffe, v1
	v_lshlrev_b64 v[1:2], 2, v[25:26]
	v_add_co_u32 v35, s0, s0, v4
	s_delay_alu instid0(VALU_DEP_1) | instskip(NEXT) | instid1(VALU_DEP_4)
	v_add_co_ci_u32_e64 v36, null, s9, 0, s0
	v_cvt_u32_f32_e32 v3, v3
	s_delay_alu instid0(VALU_DEP_1) | instskip(SKIP_4) | instid1(VALU_DEP_3)
	v_mul_lo_u32 v6, s10, v3
	s_add_u32 s10, s26, s22
	s_addc_u32 s14, s27, s23
	v_add_co_u32 v26, vcc_lo, s10, v1
	v_add_co_ci_u32_e32 v27, vcc_lo, s14, v2, vcc_lo
	v_mul_hi_u32 v6, v3, v6
	s_delay_alu instid0(VALU_DEP_1) | instskip(SKIP_3) | instid1(VALU_DEP_2)
	v_dual_mov_b32 v1, s16 :: v_dual_add_nc_u32 v38, v3, v6
	v_mov_b32_e32 v2, s17
	v_lshl_or_b32 v5, v28, 6, v5
	v_dual_mov_b32 v3, s18 :: v_dual_mov_b32 v4, s19
	v_add_nc_u32_e32 v37, 0xa0, v5
	s_branch .LBB27_40
.LBB27_38:                              ;   in Loop: Header=BB27_40 Depth=1
	s_or_b32 exec_lo, exec_lo, s0
	s_waitcnt vmcnt(1) lgkmcnt(0)
	v_mul_f32_e32 v18, v6, v18
	v_mul_f32_e32 v10, v6, v10
	;; [unrolled: 1-line block ×3, first 2 shown]
	s_waitcnt vmcnt(0)
	v_mul_f32_e32 v6, v6, v22
	v_fmac_f32_e32 v18, v5, v17
	s_delay_alu instid0(VALU_DEP_3) | instskip(NEXT) | instid1(VALU_DEP_3)
	v_fmac_f32_e32 v14, v5, v13
	v_fmac_f32_e32 v6, v5, v21
	s_delay_alu instid0(VALU_DEP_3) | instskip(NEXT) | instid1(VALU_DEP_2)
	v_fmac_f32_e32 v18, v7, v19
	v_fmac_f32_e32 v6, v7, v23
	s_delay_alu instid0(VALU_DEP_2) | instskip(SKIP_1) | instid1(VALU_DEP_2)
	v_fmac_f32_e32 v18, v8, v20
	v_fmac_f32_e32 v10, v5, v9
	v_dual_fmac_f32 v6, v8, v24 :: v_dual_add_f32 v3, v3, v18
	s_delay_alu instid0(VALU_DEP_2) | instskip(NEXT) | instid1(VALU_DEP_2)
	v_fmac_f32_e32 v10, v7, v11
	v_add_f32_e32 v4, v4, v6
	s_delay_alu instid0(VALU_DEP_2) | instskip(NEXT) | instid1(VALU_DEP_1)
	v_fmac_f32_e32 v10, v8, v12
	v_dual_fmac_f32 v14, v7, v15 :: v_dual_add_f32 v1, v1, v10
	s_delay_alu instid0(VALU_DEP_1) | instskip(NEXT) | instid1(VALU_DEP_1)
	v_fmac_f32_e32 v14, v8, v16
	v_add_f32_e32 v2, v2, v14
.LBB27_39:                              ;   in Loop: Header=BB27_40 Depth=1
	s_or_b32 exec_lo, exec_lo, s9
	v_add_nc_u32_e32 v25, 4, v25
	v_add_co_u32 v26, s0, v26, 16
	s_delay_alu instid0(VALU_DEP_1) | instskip(NEXT) | instid1(VALU_DEP_3)
	v_add_co_ci_u32_e64 v27, s0, 0, v27, s0
	v_cmp_le_i32_e32 vcc_lo, s36, v25
	v_add_nc_u32_e32 v29, 64, v29
	v_add_nc_u32_e32 v37, 0x100, v37
	s_or_b32 s3, vcc_lo, s3
	s_delay_alu instid0(SALU_CYCLE_1)
	s_and_not1_b32 exec_lo, exec_lo, s3
	s_cbranch_execz .LBB27_49
.LBB27_40:                              ; =>This Inner Loop Header: Depth=1
	v_sub_nc_u32_e32 v5, 0, v29
	s_delay_alu instid0(VALU_DEP_1) | instskip(NEXT) | instid1(VALU_DEP_1)
	v_max_i32_e32 v5, v29, v5
	v_mul_hi_u32 v6, v5, s25
	s_delay_alu instid0(VALU_DEP_1) | instskip(NEXT) | instid1(VALU_DEP_1)
	v_mul_lo_u32 v7, v6, s13
	v_sub_nc_u32_e32 v5, v5, v7
	v_add_nc_u32_e32 v7, 1, v6
	s_delay_alu instid0(VALU_DEP_2) | instskip(SKIP_1) | instid1(VALU_DEP_2)
	v_subrev_nc_u32_e32 v8, s13, v5
	v_cmp_le_u32_e32 vcc_lo, s13, v5
	v_dual_cndmask_b32 v6, v6, v7 :: v_dual_cndmask_b32 v5, v5, v8
	v_ashrrev_i32_e32 v7, 31, v29
	s_delay_alu instid0(VALU_DEP_2) | instskip(NEXT) | instid1(VALU_DEP_3)
	v_add_nc_u32_e32 v8, 1, v6
	v_cmp_le_u32_e32 vcc_lo, s13, v5
	s_delay_alu instid0(VALU_DEP_3) | instskip(NEXT) | instid1(VALU_DEP_3)
	v_xor_b32_e32 v7, s11, v7
	v_cndmask_b32_e32 v5, v6, v8, vcc_lo
	s_delay_alu instid0(VALU_DEP_1) | instskip(NEXT) | instid1(VALU_DEP_1)
	v_xor_b32_e32 v5, v5, v7
	v_sub_nc_u32_e32 v5, v5, v7
	s_delay_alu instid0(VALU_DEP_1) | instskip(SKIP_1) | instid1(VALU_DEP_2)
	v_add_nc_u32_e32 v6, s33, v5
	v_cmp_lt_i32_e64 s0, s2, v5
	v_sub_nc_u32_e32 v7, 0, v6
	s_delay_alu instid0(VALU_DEP_1) | instskip(NEXT) | instid1(VALU_DEP_1)
	v_max_i32_e32 v7, v6, v7
	v_mul_hi_u32 v8, v7, v38
	s_delay_alu instid0(VALU_DEP_1) | instskip(NEXT) | instid1(VALU_DEP_1)
	v_mul_lo_u32 v8, v8, s7
	v_sub_nc_u32_e32 v7, v7, v8
	s_delay_alu instid0(VALU_DEP_1) | instskip(SKIP_1) | instid1(VALU_DEP_2)
	v_subrev_nc_u32_e32 v8, s7, v7
	v_cmp_le_u32_e32 vcc_lo, s7, v7
	v_cndmask_b32_e32 v7, v7, v8, vcc_lo
	v_ashrrev_i32_e32 v6, 31, v6
	s_delay_alu instid0(VALU_DEP_2) | instskip(SKIP_1) | instid1(VALU_DEP_2)
	v_subrev_nc_u32_e32 v8, s7, v7
	v_cmp_le_u32_e32 vcc_lo, s7, v7
	v_cndmask_b32_e32 v7, v7, v8, vcc_lo
	s_delay_alu instid0(VALU_DEP_1) | instskip(NEXT) | instid1(VALU_DEP_1)
	v_xor_b32_e32 v7, v7, v6
	v_sub_nc_u32_e32 v6, v7, v6
	s_delay_alu instid0(VALU_DEP_1) | instskip(SKIP_1) | instid1(SALU_CYCLE_1)
	v_cmp_eq_u32_e32 vcc_lo, 0, v6
	s_or_b32 s0, vcc_lo, s0
	s_and_saveexec_b32 s9, s0
	s_cbranch_execz .LBB27_39
; %bb.41:                               ;   in Loop: Header=BB27_40 Depth=1
	global_load_b32 v7, v[26:27], off
	v_add_nc_u32_e32 v39, v34, v29
	s_delay_alu instid0(VALU_DEP_1) | instskip(SKIP_4) | instid1(VALU_DEP_1)
	v_add_nc_u32_e32 v42, 1, v39
	v_add_nc_u32_e32 v41, 2, v39
	;; [unrolled: 1-line block ×3, first 2 shown]
	s_waitcnt vmcnt(0)
	v_mad_i64_i32 v[5:6], null, v7, s5, 0
	v_lshlrev_b64 v[5:6], 2, v[5:6]
	s_delay_alu instid0(VALU_DEP_1) | instskip(NEXT) | instid1(VALU_DEP_2)
	v_add_co_u32 v21, vcc_lo, v35, v5
	v_add_co_ci_u32_e32 v22, vcc_lo, v36, v6, vcc_lo
	ds_load_b128 v[5:8], v37
	v_cmp_eq_u32_e32 vcc_lo, s39, v25
	global_load_b128 v[9:12], v[21:22], off
	s_and_saveexec_b32 s10, vcc_lo
	s_cbranch_execnz .LBB27_45
; %bb.42:                               ;   in Loop: Header=BB27_40 Depth=1
	s_or_b32 exec_lo, exec_lo, s10
	global_load_b128 v[13:16], v[21:22], off offset:512
	s_and_saveexec_b32 s10, vcc_lo
	s_cbranch_execnz .LBB27_46
.LBB27_43:                              ;   in Loop: Header=BB27_40 Depth=1
	s_or_b32 exec_lo, exec_lo, s10
	global_load_b128 v[17:20], v[21:22], off offset:1024
	s_and_saveexec_b32 s10, vcc_lo
	s_cbranch_execnz .LBB27_47
.LBB27_44:                              ;   in Loop: Header=BB27_40 Depth=1
	s_or_b32 exec_lo, exec_lo, s10
	global_load_b128 v[21:24], v[21:22], off offset:1536
	s_and_saveexec_b32 s0, vcc_lo
	s_cbranch_execz .LBB27_38
	s_branch .LBB27_48
.LBB27_45:                              ;   in Loop: Header=BB27_40 Depth=1
	v_cmp_gt_i32_e64 s0, s15, v39
	s_waitcnt vmcnt(0)
	s_delay_alu instid0(VALU_DEP_1) | instskip(SKIP_1) | instid1(VALU_DEP_1)
	v_cndmask_b32_e64 v9, 0, v9, s0
	v_cmp_gt_i32_e64 s0, s15, v42
	v_cndmask_b32_e64 v10, 0, v10, s0
	v_cmp_gt_i32_e64 s0, s15, v41
	s_delay_alu instid0(VALU_DEP_1) | instskip(SKIP_1) | instid1(VALU_DEP_1)
	v_cndmask_b32_e64 v11, 0, v11, s0
	v_cmp_gt_i32_e64 s0, s15, v40
	v_cndmask_b32_e64 v12, 0, v12, s0
	s_or_b32 exec_lo, exec_lo, s10
	global_load_b128 v[13:16], v[21:22], off offset:512
	s_and_saveexec_b32 s10, vcc_lo
	s_cbranch_execz .LBB27_43
.LBB27_46:                              ;   in Loop: Header=BB27_40 Depth=1
	v_cmp_gt_i32_e64 s0, s15, v39
	s_waitcnt vmcnt(0)
	s_delay_alu instid0(VALU_DEP_1) | instskip(SKIP_1) | instid1(VALU_DEP_1)
	v_cndmask_b32_e64 v13, 0, v13, s0
	v_cmp_gt_i32_e64 s0, s15, v42
	v_cndmask_b32_e64 v14, 0, v14, s0
	v_cmp_gt_i32_e64 s0, s15, v41
	s_delay_alu instid0(VALU_DEP_1) | instskip(SKIP_1) | instid1(VALU_DEP_1)
	v_cndmask_b32_e64 v15, 0, v15, s0
	v_cmp_gt_i32_e64 s0, s15, v40
	v_cndmask_b32_e64 v16, 0, v16, s0
	s_or_b32 exec_lo, exec_lo, s10
	global_load_b128 v[17:20], v[21:22], off offset:1024
	s_and_saveexec_b32 s10, vcc_lo
	s_cbranch_execz .LBB27_44
.LBB27_47:                              ;   in Loop: Header=BB27_40 Depth=1
	v_cmp_gt_i32_e64 s0, s15, v39
	s_waitcnt vmcnt(0)
	s_delay_alu instid0(VALU_DEP_1) | instskip(SKIP_1) | instid1(VALU_DEP_1)
	v_cndmask_b32_e64 v17, 0, v17, s0
	v_cmp_gt_i32_e64 s0, s15, v42
	v_cndmask_b32_e64 v18, 0, v18, s0
	v_cmp_gt_i32_e64 s0, s15, v41
	s_delay_alu instid0(VALU_DEP_1) | instskip(SKIP_1) | instid1(VALU_DEP_1)
	v_cndmask_b32_e64 v19, 0, v19, s0
	v_cmp_gt_i32_e64 s0, s15, v40
	v_cndmask_b32_e64 v20, 0, v20, s0
	s_or_b32 exec_lo, exec_lo, s10
	global_load_b128 v[21:24], v[21:22], off offset:1536
	s_and_saveexec_b32 s0, vcc_lo
	s_cbranch_execz .LBB27_38
.LBB27_48:                              ;   in Loop: Header=BB27_40 Depth=1
	v_cmp_gt_i32_e32 vcc_lo, s15, v39
	s_waitcnt vmcnt(0)
	v_cndmask_b32_e32 v21, 0, v21, vcc_lo
	v_cmp_gt_i32_e32 vcc_lo, s15, v42
	v_cndmask_b32_e32 v22, 0, v22, vcc_lo
	v_cmp_gt_i32_e32 vcc_lo, s15, v41
	;; [unrolled: 2-line block ×3, first 2 shown]
	v_cndmask_b32_e32 v24, 0, v24, vcc_lo
	s_branch .LBB27_38
.LBB27_49:
	s_or_b32 exec_lo, exec_lo, s3
.LBB27_50:
	s_delay_alu instid0(SALU_CYCLE_1)
	s_or_b32 exec_lo, exec_lo, s1
	ds_bpermute_b32 v5, v31, v1
	ds_bpermute_b32 v6, v31, v2
	;; [unrolled: 1-line block ×4, first 2 shown]
	s_mov_b32 s0, exec_lo
	s_waitcnt lgkmcnt(0)
	s_waitcnt_vscnt null, 0x0
	s_barrier
	buffer_gl0_inv
	v_dual_add_f32 v1, v1, v5 :: v_dual_add_f32 v2, v2, v6
	v_dual_add_f32 v6, v3, v7 :: v_dual_add_f32 v7, v4, v8
	v_lshrrev_b32_e32 v5, 2, v30
	ds_bpermute_b32 v3, v32, v1
	ds_bpermute_b32 v8, v32, v2
	;; [unrolled: 1-line block ×4, first 2 shown]
	s_waitcnt lgkmcnt(3)
	v_dual_add_f32 v4, v1, v3 :: v_dual_and_b32 v11, 0x3c3, v0
	s_waitcnt lgkmcnt(2)
	v_add_f32_e32 v3, v2, v8
	s_waitcnt lgkmcnt(0)
	v_dual_add_f32 v2, v6, v9 :: v_dual_add_f32 v1, v7, v10
	v_cmpx_eq_u32_e32 64, v11
	s_cbranch_execz .LBB27_52
; %bb.51:
	v_lshl_add_u32 v6, v28, 7, 0xa0
	v_lshlrev_b32_e32 v7, 2, v5
	s_delay_alu instid0(VALU_DEP_1)
	v_add3_u32 v6, v6, v7, 0xffffff00
	ds_store_2addr_b32 v6, v4, v3 offset1:8
	ds_store_2addr_b32 v6, v2, v1 offset0:16 offset1:24
.LBB27_52:
	s_or_b32 exec_lo, exec_lo, s0
	v_and_b32_e32 v6, 0x3e0, v0
	v_cmp_eq_u32_e32 vcc_lo, 0, v33
	s_mov_b32 s1, exec_lo
	s_waitcnt lgkmcnt(0)
	s_barrier
	v_lshl_add_u32 v6, v6, 2, 0xa0
	buffer_gl0_inv
	v_cmpx_gt_u32_e32 64, v0
	s_cbranch_execz .LBB27_59
; %bb.53:
	s_and_saveexec_b32 s0, vcc_lo
	s_cbranch_execnz .LBB27_71
; %bb.54:
	s_or_b32 exec_lo, exec_lo, s0
	s_and_saveexec_b32 s0, vcc_lo
	s_cbranch_execnz .LBB27_72
.LBB27_55:
	s_or_b32 exec_lo, exec_lo, s0
	s_and_saveexec_b32 s0, vcc_lo
	s_cbranch_execnz .LBB27_73
.LBB27_56:
	s_or_b32 exec_lo, exec_lo, s0
	s_and_saveexec_b32 s0, vcc_lo
	s_cbranch_execz .LBB27_58
.LBB27_57:
	v_lshl_add_u32 v7, v5, 2, v6
	ds_load_b32 v7, v7 offset:96
	s_waitcnt lgkmcnt(0)
	v_add_f32_e32 v1, v1, v7
.LBB27_58:
	s_or_b32 exec_lo, exec_lo, s0
.LBB27_59:
	s_delay_alu instid0(SALU_CYCLE_1)
	s_or_b32 exec_lo, exec_lo, s1
	v_and_b32_e32 v7, 0x3e3, v0
	s_mov_b32 s1, exec_lo
	s_barrier
	buffer_gl0_inv
	v_cmpx_eq_u32_e32 32, v7
	s_cbranch_execz .LBB27_61
; %bb.60:
	v_lshl_add_u32 v8, v5, 2, 0xa0
	ds_store_2addr_b32 v8, v4, v3 offset1:8
	ds_store_2addr_b32 v8, v2, v1 offset0:16 offset1:24
.LBB27_61:
	s_or_b32 exec_lo, exec_lo, s1
	s_delay_alu instid0(SALU_CYCLE_1)
	s_mov_b32 s1, exec_lo
	s_waitcnt lgkmcnt(0)
	s_barrier
	buffer_gl0_inv
	v_cmpx_gt_u32_e32 32, v0
	s_cbranch_execz .LBB27_68
; %bb.62:
	v_lshl_add_u32 v5, v5, 2, v6
	s_and_saveexec_b32 s0, vcc_lo
	s_cbranch_execnz .LBB27_74
; %bb.63:
	s_or_b32 exec_lo, exec_lo, s0
	s_and_saveexec_b32 s0, vcc_lo
	s_cbranch_execnz .LBB27_75
.LBB27_64:
	s_or_b32 exec_lo, exec_lo, s0
	s_and_saveexec_b32 s0, vcc_lo
	s_cbranch_execnz .LBB27_76
.LBB27_65:
	s_or_b32 exec_lo, exec_lo, s0
	s_and_saveexec_b32 s0, vcc_lo
	s_cbranch_execz .LBB27_67
.LBB27_66:
	ds_load_b32 v5, v5 offset:96
	s_waitcnt lgkmcnt(0)
	v_add_f32_e32 v1, v1, v5
.LBB27_67:
	s_or_b32 exec_lo, exec_lo, s0
.LBB27_68:
	s_delay_alu instid0(SALU_CYCLE_1)
	s_or_b32 exec_lo, exec_lo, s1
	s_barrier
	buffer_gl0_inv
	s_mov_b32 s0, exec_lo
	v_cmpx_eq_u32_e32 0, v7
	s_cbranch_execz .LBB27_70
; %bb.69:
	s_lshl_b32 s0, s6, 5
	s_mul_i32 s2, s8, s12
	s_ashr_i32 s1, s0, 31
	s_delay_alu instid0(SALU_CYCLE_1) | instskip(NEXT) | instid1(SALU_CYCLE_1)
	s_lshl_b64 s[0:1], s[0:1], 2
	s_add_u32 s5, s20, s0
	s_addc_u32 s6, s21, s1
	s_ashr_i32 s3, s2, 31
	s_delay_alu instid0(SALU_CYCLE_1) | instskip(NEXT) | instid1(SALU_CYCLE_1)
	s_lshl_b64 s[0:1], s[2:3], 2
	s_add_u32 s2, s5, s0
	s_addc_u32 s3, s6, s1
	;; [unrolled: 5-line block ×3, first 2 shown]
	s_clause 0x3
	global_store_b32 v0, v4, s[0:1]
	global_store_b32 v0, v3, s[0:1] offset:32
	global_store_b32 v0, v2, s[0:1] offset:64
	;; [unrolled: 1-line block ×3, first 2 shown]
.LBB27_70:
	s_nop 0
	s_sendmsg sendmsg(MSG_DEALLOC_VGPRS)
	s_endpgm
.LBB27_71:
	v_lshl_add_u32 v7, v5, 2, v6
	ds_load_b32 v7, v7
	s_waitcnt lgkmcnt(0)
	v_add_f32_e32 v4, v4, v7
	s_or_b32 exec_lo, exec_lo, s0
	s_and_saveexec_b32 s0, vcc_lo
	s_cbranch_execz .LBB27_55
.LBB27_72:
	v_lshl_add_u32 v7, v5, 2, v6
	ds_load_b32 v7, v7 offset:32
	s_waitcnt lgkmcnt(0)
	v_add_f32_e32 v3, v3, v7
	s_or_b32 exec_lo, exec_lo, s0
	s_and_saveexec_b32 s0, vcc_lo
	s_cbranch_execz .LBB27_56
.LBB27_73:
	v_lshl_add_u32 v7, v5, 2, v6
	ds_load_b32 v7, v7 offset:64
	s_waitcnt lgkmcnt(0)
	v_add_f32_e32 v2, v2, v7
	s_or_b32 exec_lo, exec_lo, s0
	s_and_saveexec_b32 s0, vcc_lo
	s_cbranch_execnz .LBB27_57
	s_branch .LBB27_58
.LBB27_74:
	ds_load_b32 v6, v5
	s_waitcnt lgkmcnt(0)
	v_add_f32_e32 v4, v4, v6
	s_or_b32 exec_lo, exec_lo, s0
	s_and_saveexec_b32 s0, vcc_lo
	s_cbranch_execz .LBB27_64
.LBB27_75:
	ds_load_b32 v6, v5 offset:32
	s_waitcnt lgkmcnt(0)
	v_add_f32_e32 v3, v3, v6
	s_or_b32 exec_lo, exec_lo, s0
	s_and_saveexec_b32 s0, vcc_lo
	s_cbranch_execz .LBB27_65
.LBB27_76:
	ds_load_b32 v6, v5 offset:64
	s_waitcnt lgkmcnt(0)
	v_add_f32_e32 v2, v2, v6
	s_or_b32 exec_lo, exec_lo, s0
	s_and_saveexec_b32 s0, vcc_lo
	s_cbranch_execnz .LBB27_66
	s_branch .LBB27_67
	.section	.rodata,"a",@progbits
	.p2align	6, 0x0
	.amdhsa_kernel _ZN4vllm25paged_attention_v2_kernelIffLi32ELi16ELi128ELNS_18Fp8KVCacheDataTypeE0ELb1ELi512EEEvPfS2_PT_PKS3_PKT0_S9_ifPKiSB_iPKfiiiSD_SD_iiiii
		.amdhsa_group_segment_fixed_size 160
		.amdhsa_private_segment_fixed_size 0
		.amdhsa_kernarg_size 400
		.amdhsa_user_sgpr_count 13
		.amdhsa_user_sgpr_dispatch_ptr 0
		.amdhsa_user_sgpr_queue_ptr 0
		.amdhsa_user_sgpr_kernarg_segment_ptr 1
		.amdhsa_user_sgpr_dispatch_id 0
		.amdhsa_user_sgpr_private_segment_size 0
		.amdhsa_wavefront_size32 1
		.amdhsa_uses_dynamic_stack 0
		.amdhsa_enable_private_segment 0
		.amdhsa_system_sgpr_workgroup_id_x 1
		.amdhsa_system_sgpr_workgroup_id_y 1
		.amdhsa_system_sgpr_workgroup_id_z 1
		.amdhsa_system_sgpr_workgroup_info 0
		.amdhsa_system_vgpr_workitem_id 0
		.amdhsa_next_free_vgpr 49
		.amdhsa_next_free_sgpr 46
		.amdhsa_reserve_vcc 1
		.amdhsa_float_round_mode_32 0
		.amdhsa_float_round_mode_16_64 0
		.amdhsa_float_denorm_mode_32 3
		.amdhsa_float_denorm_mode_16_64 3
		.amdhsa_dx10_clamp 1
		.amdhsa_ieee_mode 1
		.amdhsa_fp16_overflow 0
		.amdhsa_workgroup_processor_mode 1
		.amdhsa_memory_ordered 1
		.amdhsa_forward_progress 0
		.amdhsa_shared_vgpr_count 0
		.amdhsa_exception_fp_ieee_invalid_op 0
		.amdhsa_exception_fp_denorm_src 0
		.amdhsa_exception_fp_ieee_div_zero 0
		.amdhsa_exception_fp_ieee_overflow 0
		.amdhsa_exception_fp_ieee_underflow 0
		.amdhsa_exception_fp_ieee_inexact 0
		.amdhsa_exception_int_div_zero 0
	.end_amdhsa_kernel
	.section	.text._ZN4vllm25paged_attention_v2_kernelIffLi32ELi16ELi128ELNS_18Fp8KVCacheDataTypeE0ELb1ELi512EEEvPfS2_PT_PKS3_PKT0_S9_ifPKiSB_iPKfiiiSD_SD_iiiii,"axG",@progbits,_ZN4vllm25paged_attention_v2_kernelIffLi32ELi16ELi128ELNS_18Fp8KVCacheDataTypeE0ELb1ELi512EEEvPfS2_PT_PKS3_PKT0_S9_ifPKiSB_iPKfiiiSD_SD_iiiii,comdat
.Lfunc_end27:
	.size	_ZN4vllm25paged_attention_v2_kernelIffLi32ELi16ELi128ELNS_18Fp8KVCacheDataTypeE0ELb1ELi512EEEvPfS2_PT_PKS3_PKT0_S9_ifPKiSB_iPKfiiiSD_SD_iiiii, .Lfunc_end27-_ZN4vllm25paged_attention_v2_kernelIffLi32ELi16ELi128ELNS_18Fp8KVCacheDataTypeE0ELb1ELi512EEEvPfS2_PT_PKS3_PKT0_S9_ifPKiSB_iPKfiiiSD_SD_iiiii
                                        ; -- End function
	.section	.AMDGPU.csdata,"",@progbits
; Kernel info:
; codeLenInByte = 5032
; NumSgprs: 48
; NumVgprs: 49
; ScratchSize: 0
; MemoryBound: 0
; FloatMode: 240
; IeeeMode: 1
; LDSByteSize: 160 bytes/workgroup (compile time only)
; SGPRBlocks: 5
; VGPRBlocks: 6
; NumSGPRsForWavesPerEU: 48
; NumVGPRsForWavesPerEU: 49
; Occupancy: 16
; WaveLimiterHint : 1
; COMPUTE_PGM_RSRC2:SCRATCH_EN: 0
; COMPUTE_PGM_RSRC2:USER_SGPR: 13
; COMPUTE_PGM_RSRC2:TRAP_HANDLER: 0
; COMPUTE_PGM_RSRC2:TGID_X_EN: 1
; COMPUTE_PGM_RSRC2:TGID_Y_EN: 1
; COMPUTE_PGM_RSRC2:TGID_Z_EN: 1
; COMPUTE_PGM_RSRC2:TIDIG_COMP_CNT: 0
	.section	.text._ZN4vllm25paged_attention_v2_kernelIffLi64ELi16ELi128ELNS_18Fp8KVCacheDataTypeE0ELb1ELi512EEEvPfS2_PT_PKS3_PKT0_S9_ifPKiSB_iPKfiiiSD_SD_iiiii,"axG",@progbits,_ZN4vllm25paged_attention_v2_kernelIffLi64ELi16ELi128ELNS_18Fp8KVCacheDataTypeE0ELb1ELi512EEEvPfS2_PT_PKS3_PKT0_S9_ifPKiSB_iPKfiiiSD_SD_iiiii,comdat
	.protected	_ZN4vllm25paged_attention_v2_kernelIffLi64ELi16ELi128ELNS_18Fp8KVCacheDataTypeE0ELb1ELi512EEEvPfS2_PT_PKS3_PKT0_S9_ifPKiSB_iPKfiiiSD_SD_iiiii ; -- Begin function _ZN4vllm25paged_attention_v2_kernelIffLi64ELi16ELi128ELNS_18Fp8KVCacheDataTypeE0ELb1ELi512EEEvPfS2_PT_PKS3_PKT0_S9_ifPKiSB_iPKfiiiSD_SD_iiiii
	.globl	_ZN4vllm25paged_attention_v2_kernelIffLi64ELi16ELi128ELNS_18Fp8KVCacheDataTypeE0ELb1ELi512EEEvPfS2_PT_PKS3_PKT0_S9_ifPKiSB_iPKfiiiSD_SD_iiiii
	.p2align	8
	.type	_ZN4vllm25paged_attention_v2_kernelIffLi64ELi16ELi128ELNS_18Fp8KVCacheDataTypeE0ELb1ELi512EEEvPfS2_PT_PKS3_PKT0_S9_ifPKiSB_iPKfiiiSD_SD_iiiii,@function
_ZN4vllm25paged_attention_v2_kernelIffLi64ELi16ELi128ELNS_18Fp8KVCacheDataTypeE0ELb1ELi512EEEvPfS2_PT_PKS3_PKT0_S9_ifPKiSB_iPKfiiiSD_SD_iiiii: ; @_ZN4vllm25paged_attention_v2_kernelIffLi64ELi16ELi128ELNS_18Fp8KVCacheDataTypeE0ELb1ELi512EEEvPfS2_PT_PKS3_PKT0_S9_ifPKiSB_iPKfiiiSD_SD_iiiii
; %bb.0:
	s_load_b64 s[2:3], s[0:1], 0x40
	s_mov_b32 s12, s15
	s_ashr_i32 s15, s14, 31
	s_delay_alu instid0(SALU_CYCLE_1)
	s_lshl_b64 s[4:5], s[14:15], 2
	s_waitcnt lgkmcnt(0)
	s_add_u32 s2, s2, s4
	s_addc_u32 s3, s3, s5
	s_lshl_b32 s39, s12, 9
	s_load_b32 s15, s[2:3], 0x0
	s_waitcnt lgkmcnt(0)
	s_cmp_ge_i32 s39, s15
	s_cbranch_scc1 .LBB28_86
; %bb.1:
	s_mov_b32 s24, s13
	s_clause 0x1
	s_load_b32 s13, s[0:1], 0x90
	s_load_b64 s[36:37], s[0:1], 0x30
	s_mov_b32 s41, 0
	s_waitcnt lgkmcnt(0)
	s_abs_i32 s5, s13
	s_abs_i32 s2, s36
	s_delay_alu instid0(SALU_CYCLE_1) | instskip(SKIP_1) | instid1(VALU_DEP_1)
	v_cvt_f32_u32_e32 v1, s2
	s_sub_i32 s4, 0, s2
	v_rcp_iflag_f32_e32 v1, v1
	s_waitcnt_depctr 0xfff
	v_mul_f32_e32 v1, 0x4f7ffffe, v1
	s_delay_alu instid0(VALU_DEP_1) | instskip(NEXT) | instid1(VALU_DEP_1)
	v_cvt_u32_f32_e32 v1, v1
	v_readfirstlane_b32 s3, v1
	s_delay_alu instid0(VALU_DEP_1) | instskip(NEXT) | instid1(SALU_CYCLE_1)
	s_mul_i32 s4, s4, s3
	s_mul_hi_u32 s4, s3, s4
	s_delay_alu instid0(SALU_CYCLE_1) | instskip(SKIP_4) | instid1(SALU_CYCLE_1)
	s_add_i32 s3, s3, s4
	s_xor_b32 s4, s13, s36
	s_mul_hi_u32 s3, s5, s3
	s_ashr_i32 s4, s4, 31
	s_mul_i32 s6, s3, s2
	s_sub_i32 s5, s5, s6
	s_add_i32 s6, s3, 1
	s_sub_i32 s7, s5, s2
	s_cmp_ge_u32 s5, s2
	s_cselect_b32 s3, s6, s3
	s_cselect_b32 s5, s7, s5
	s_add_i32 s6, s3, 1
	s_cmp_ge_u32 s5, s2
	s_cselect_b32 s2, s6, s3
	s_abs_i32 s17, s24
	s_xor_b32 s2, s2, s4
	s_delay_alu instid0(SALU_CYCLE_1) | instskip(SKIP_2) | instid1(SALU_CYCLE_1)
	s_sub_i32 s8, s2, s4
	s_load_b64 s[2:3], s[0:1], 0x50
	s_abs_i32 s16, s8
	v_cvt_f32_u32_e32 v1, s16
	s_sub_i32 s5, 0, s16
	s_delay_alu instid0(VALU_DEP_1) | instskip(SKIP_2) | instid1(VALU_DEP_1)
	v_rcp_iflag_f32_e32 v1, v1
	s_waitcnt_depctr 0xfff
	v_mul_f32_e32 v1, 0x4f7ffffe, v1
	v_cvt_u32_f32_e32 v1, v1
	s_delay_alu instid0(VALU_DEP_1) | instskip(NEXT) | instid1(VALU_DEP_1)
	v_readfirstlane_b32 s4, v1
	s_mul_i32 s5, s5, s4
	s_delay_alu instid0(SALU_CYCLE_1) | instskip(NEXT) | instid1(SALU_CYCLE_1)
	s_mul_hi_u32 s5, s4, s5
	s_add_i32 s4, s4, s5
	s_waitcnt lgkmcnt(0)
	s_cmp_eq_u64 s[2:3], 0
	s_mul_hi_u32 s18, s17, s4
	s_cbranch_scc1 .LBB28_3
; %bb.2:
	s_ashr_i32 s25, s24, 31
	s_delay_alu instid0(SALU_CYCLE_1) | instskip(NEXT) | instid1(SALU_CYCLE_1)
	s_lshl_b64 s[4:5], s[24:25], 2
	s_add_u32 s2, s2, s4
	s_addc_u32 s3, s3, s5
	s_load_b32 s41, s[2:3], 0x0
.LBB28_3:
	s_load_b128 s[4:7], s[0:1], 0x58
	v_and_b32_e32 v1, 1, v0
	v_cmp_gt_u32_e64 s2, 32, v0
	v_lshlrev_b32_e32 v2, 3, v0
	v_lshlrev_b32_e32 v3, 2, v0
	s_ashr_i32 s3, s24, 31
	s_waitcnt lgkmcnt(0)
	s_ashr_i32 s7, s8, 31
	s_lshl_b32 s20, s24, 6
	s_and_saveexec_b32 s8, s2
	s_cbranch_execz .LBB28_5
; %bb.4:
	s_load_b64 s[10:11], s[0:1], 0x18
	s_mul_i32 s22, s14, s4
	v_and_b32_e32 v6, 0xff8, v3
	s_ashr_i32 s23, s22, 31
	s_delay_alu instid0(SALU_CYCLE_1) | instskip(NEXT) | instid1(VALU_DEP_1)
	s_lshl_b64 s[22:23], s[22:23], 2
	v_lshl_add_u32 v6, v1, 7, v6
	s_waitcnt lgkmcnt(0)
	s_add_u32 s4, s10, s22
	s_addc_u32 s9, s11, s23
	s_ashr_i32 s21, s20, 31
	s_delay_alu instid0(SALU_CYCLE_1) | instskip(NEXT) | instid1(SALU_CYCLE_1)
	s_lshl_b64 s[10:11], s[20:21], 2
	s_add_u32 s10, s4, s10
	s_addc_u32 s11, s9, s11
	global_load_b64 v[4:5], v2, s[10:11]
	s_waitcnt vmcnt(0)
	ds_store_b64 v6, v[4:5]
.LBB28_5:
	s_or_b32 exec_lo, exec_lo, s8
	s_load_b128 s[8:11], s[0:1], 0x78
	s_mul_i32 s4, s18, s16
	s_xor_b32 s3, s3, s7
	s_sub_i32 s4, s17, s4
	s_add_i32 s7, s18, 1
	s_sub_i32 s17, s4, s16
	s_cmp_ge_u32 s4, s16
	s_waitcnt lgkmcnt(0)
	s_cselect_b32 s7, s7, s18
	s_cselect_b32 s4, s17, s4
	s_add_i32 s17, s7, 1
	s_cmp_ge_u32 s4, s16
	s_load_b32 s16, s[0:1], 0x88
	s_cselect_b32 s4, s17, s7
	s_add_i32 s17, s15, -1
	s_xor_b32 s4, s4, s3
	s_abs_i32 s7, s17
	s_sub_i32 s4, s4, s3
	s_mov_b32 s18, -1
	s_waitcnt lgkmcnt(0)
	s_barrier
	s_abs_i32 s21, s11
	buffer_gl0_inv
	v_cvt_f32_u32_e32 v4, s21
	s_sub_i32 s3, 0, s21
                                        ; implicit-def: $sgpr33
	s_delay_alu instid0(VALU_DEP_1) | instskip(SKIP_2) | instid1(VALU_DEP_1)
	v_rcp_iflag_f32_e32 v4, v4
	s_waitcnt_depctr 0xfff
	v_mul_f32_e32 v4, 0x4f7ffffe, v4
	v_cvt_u32_f32_e32 v4, v4
	s_delay_alu instid0(VALU_DEP_1) | instskip(NEXT) | instid1(VALU_DEP_1)
	v_readfirstlane_b32 s25, v4
	s_mul_i32 s3, s3, s25
	s_delay_alu instid0(SALU_CYCLE_1) | instskip(NEXT) | instid1(SALU_CYCLE_1)
	s_mul_hi_u32 s3, s25, s3
	s_add_i32 s25, s25, s3
	s_cmp_lt_i32 s16, 0
	s_mul_hi_u32 s3, s7, s25
	s_cbranch_scc0 .LBB28_7
; %bb.6:
	s_mul_i32 s18, s8, s36
	s_delay_alu instid0(SALU_CYCLE_1) | instskip(NEXT) | instid1(SALU_CYCLE_1)
	s_add_i32 s18, s4, s18
	s_mul_i32 s18, s18, s16
	s_delay_alu instid0(SALU_CYCLE_1)
	s_sub_i32 s33, 1, s18
	s_mov_b32 s18, 0
.LBB28_7:
	s_load_b64 s[26:27], s[0:1], 0x38
	s_ashr_i32 s28, s17, 31
	s_and_not1_b32 vcc_lo, exec_lo, s18
	s_ashr_i32 s11, s11, 31
	s_cbranch_vccnz .LBB28_9
; %bb.8:
	s_mul_i32 s8, s13, s8
	s_delay_alu instid0(SALU_CYCLE_1) | instskip(NEXT) | instid1(SALU_CYCLE_1)
	s_add_i32 s8, s8, s24
	s_mul_i32 s8, s8, s16
	s_delay_alu instid0(SALU_CYCLE_1)
	s_add_i32 s33, s8, 1
.LBB28_9:
	s_clause 0x4
	s_load_b32 s29, s[0:1], 0x48
	s_load_b64 s[30:31], s[0:1], 0x28
	s_load_b32 s8, s[0:1], 0x98
	s_load_b128 s[16:19], s[0:1], 0x0
	s_load_b64 s[22:23], s[0:1], 0x10
	s_xor_b32 s34, s28, s11
	s_mul_i32 s28, s3, s21
	s_add_i32 s35, s3, 1
	s_sub_i32 s7, s7, s28
	v_lshrrev_b32_e32 v40, 5, v0
	s_sub_i32 s36, s7, s21
	v_mov_b32_e32 v5, 0xff7fffff
	v_mbcnt_lo_u32_b32 v4, -1, 0
	s_delay_alu instid0(VALU_DEP_3) | instskip(SKIP_2) | instid1(SALU_CYCLE_1)
	v_lshl_add_u32 v41, v40, 4, s39
	s_waitcnt lgkmcnt(0)
	s_mul_i32 s28, s14, s29
	s_ashr_i32 s29, s28, 31
	s_cmp_ge_u32 s7, s21
	s_cselect_b32 s3, s35, s3
	s_cselect_b32 s7, s36, s7
	s_add_i32 s35, s3, 1
	s_cmp_ge_u32 s7, s21
	s_cselect_b32 s3, s35, s3
	s_add_i32 s35, s15, 15
	s_lshl_b32 s7, s12, 5
	s_ashr_i32 s36, s35, 31
	v_or_b32_e32 v37, s7, v40
	s_lshr_b32 s36, s36, 28
	s_delay_alu instid0(SALU_CYCLE_1)
	s_add_i32 s35, s35, s36
	s_add_i32 s36, s7, 32
	s_ashr_i32 s38, s35, 4
	s_xor_b32 s35, s3, s34
	s_min_i32 s36, s36, s38
	v_ashrrev_i32_e32 v38, 31, v37
	v_cmp_gt_i32_e64 s3, s36, v37
	s_sub_i32 s40, s35, s34
	s_mul_i32 s34, s4, s6
	s_delay_alu instid0(VALU_DEP_1)
	s_and_saveexec_b32 s6, s3
	s_cbranch_execz .LBB28_19
; %bb.10:
	s_load_b64 s[0:1], s[0:1], 0x20
	s_ashr_i32 s35, s34, 31
	v_bfe_u32 v6, v0, 1, 4
	s_lshl_b64 s[42:43], s[34:35], 2
	s_sub_i32 s35, s40, s9
	v_cmp_eq_u32_e32 vcc_lo, 0, v1
	v_lshlrev_b32_e32 v7, 7, v1
	v_lshlrev_b32_e32 v11, 2, v6
	v_subrev_nc_u32_e32 v14, s15, v6
	v_lshlrev_b32_e32 v17, 4, v6
	v_lshl_add_u32 v8, v40, 4, s39
	v_mov_b32_e32 v9, 0xff7fffff
	v_lshl_or_b32 v15, v40, 6, v11
	v_add_nc_u32_e32 v11, 1, v14
	v_xor_b32_e32 v10, 1, v4
	s_waitcnt lgkmcnt(0)
	s_add_u32 s4, s0, s42
	s_addc_u32 s1, s1, s43
	s_abs_i32 s42, s10
	s_lshl_b64 s[44:45], s[28:29], 2
	v_cvt_f32_u32_e32 v5, s42
	s_sub_i32 s43, 0, s42
	v_cmp_neq_f32_e64 s0, s41, 0
	s_delay_alu instid0(VALU_DEP_2)
	v_rcp_iflag_f32_e32 v5, v5
	v_and_b32_e32 v13, 8, v2
	v_lshlrev_b64 v[1:2], 2, v[37:38]
	s_waitcnt_depctr 0xfff
	v_mul_f32_e32 v12, 0x4f7ffffe, v5
	v_mov_b32_e32 v5, 0xff7fffff
	s_delay_alu instid0(VALU_DEP_2) | instskip(SKIP_2) | instid1(VALU_DEP_1)
	v_cvt_u32_f32_e32 v16, v12
	v_add_nc_u32_e32 v12, 0x120, v15
	v_add_co_u32 v15, s4, s4, v17
	v_add_co_ci_u32_e64 v17, null, s1, 0, s4
	s_delay_alu instid0(VALU_DEP_4) | instskip(SKIP_3) | instid1(VALU_DEP_1)
	v_mul_lo_u32 v14, s43, v16
	s_add_u32 s1, s26, s44
	s_addc_u32 s4, s27, s45
	v_add_co_u32 v1, s1, s1, v1
	v_add_co_ci_u32_e64 v2, s1, s4, v2, s1
	v_add_co_u32 v13, s1, v15, v13
	s_delay_alu instid0(VALU_DEP_4) | instskip(SKIP_3) | instid1(VALU_DEP_2)
	v_mul_hi_u32 v18, v16, v14
	v_add_co_ci_u32_e64 v14, s1, 0, v17, s1
	s_mov_b32 s43, 0
	s_mov_b32 s44, s5
	v_dual_mov_b32 v16, v37 :: v_dual_add_nc_u32 v15, v16, v18
	s_branch .LBB28_13
.LBB28_11:                              ;   in Loop: Header=BB28_13 Depth=1
	s_or_b32 exec_lo, exec_lo, s45
.LBB28_12:                              ;   in Loop: Header=BB28_13 Depth=1
	s_delay_alu instid0(SALU_CYCLE_1) | instskip(SKIP_2) | instid1(VALU_DEP_1)
	s_or_b32 exec_lo, exec_lo, s4
	v_add_nc_u32_e32 v16, 4, v16
	v_add_co_u32 v1, s4, v1, 16
	v_add_co_ci_u32_e64 v2, s4, 0, v2, s4
	s_delay_alu instid0(VALU_DEP_3) | instskip(SKIP_2) | instid1(VALU_DEP_3)
	v_cmp_le_i32_e64 s1, s36, v16
	v_add_nc_u32_e32 v8, 64, v8
	v_add_nc_u32_e32 v12, 0x100, v12
	s_or_b32 s43, s1, s43
	s_delay_alu instid0(SALU_CYCLE_1)
	s_and_not1_b32 exec_lo, exec_lo, s43
	s_cbranch_execz .LBB28_18
.LBB28_13:                              ; =>This Inner Loop Header: Depth=1
	v_sub_nc_u32_e32 v17, 0, v8
	s_delay_alu instid0(VALU_DEP_1) | instskip(SKIP_1) | instid1(VALU_DEP_1)
	v_max_i32_e32 v17, v8, v17
	s_waitcnt lgkmcnt(0)
	v_mul_hi_u32 v18, v17, s25
	s_delay_alu instid0(VALU_DEP_1) | instskip(NEXT) | instid1(VALU_DEP_1)
	v_mul_lo_u32 v19, v18, s21
	v_sub_nc_u32_e32 v17, v17, v19
	v_add_nc_u32_e32 v19, 1, v18
	s_delay_alu instid0(VALU_DEP_2) | instskip(SKIP_1) | instid1(VALU_DEP_1)
	v_subrev_nc_u32_e32 v20, s21, v17
	v_cmp_le_u32_e64 s1, s21, v17
	v_cndmask_b32_e64 v18, v18, v19, s1
	s_delay_alu instid0(VALU_DEP_3) | instskip(SKIP_1) | instid1(VALU_DEP_3)
	v_cndmask_b32_e64 v17, v17, v20, s1
	v_ashrrev_i32_e32 v19, 31, v8
	v_add_nc_u32_e32 v20, 1, v18
	s_delay_alu instid0(VALU_DEP_3) | instskip(NEXT) | instid1(VALU_DEP_3)
	v_cmp_le_u32_e64 s1, s21, v17
	v_xor_b32_e32 v19, s11, v19
	s_delay_alu instid0(VALU_DEP_2) | instskip(NEXT) | instid1(VALU_DEP_1)
	v_cndmask_b32_e64 v17, v18, v20, s1
	v_xor_b32_e32 v17, v17, v19
	s_delay_alu instid0(VALU_DEP_1) | instskip(NEXT) | instid1(VALU_DEP_1)
	v_sub_nc_u32_e32 v17, v17, v19
	v_add_nc_u32_e32 v18, s33, v17
	v_cmp_ge_i32_e64 s4, s35, v17
	s_delay_alu instid0(VALU_DEP_2) | instskip(NEXT) | instid1(VALU_DEP_1)
	v_sub_nc_u32_e32 v19, 0, v18
	v_max_i32_e32 v19, v18, v19
	v_ashrrev_i32_e32 v18, 31, v18
	s_delay_alu instid0(VALU_DEP_2) | instskip(NEXT) | instid1(VALU_DEP_1)
	v_mul_hi_u32 v20, v19, v15
	v_mul_lo_u32 v20, v20, s42
	s_delay_alu instid0(VALU_DEP_1) | instskip(NEXT) | instid1(VALU_DEP_1)
	v_sub_nc_u32_e32 v19, v19, v20
	v_subrev_nc_u32_e32 v20, s42, v19
	v_cmp_le_u32_e64 s1, s42, v19
	s_delay_alu instid0(VALU_DEP_1) | instskip(NEXT) | instid1(VALU_DEP_1)
	v_cndmask_b32_e64 v19, v19, v20, s1
	v_subrev_nc_u32_e32 v20, s42, v19
	v_cmp_le_u32_e64 s1, s42, v19
	s_delay_alu instid0(VALU_DEP_1) | instskip(NEXT) | instid1(VALU_DEP_1)
	v_cndmask_b32_e64 v19, v19, v20, s1
	v_xor_b32_e32 v19, v19, v18
	s_delay_alu instid0(VALU_DEP_1) | instskip(NEXT) | instid1(VALU_DEP_1)
	v_sub_nc_u32_e32 v18, v19, v18
	v_cmp_ne_u32_e64 s1, 0, v18
	s_delay_alu instid0(VALU_DEP_1) | instskip(NEXT) | instid1(SALU_CYCLE_1)
	s_and_b32 s1, s1, s4
	s_and_b32 s45, vcc_lo, s1
	s_delay_alu instid0(SALU_CYCLE_1)
	s_and_saveexec_b32 s4, s45
	s_cbranch_execz .LBB28_15
; %bb.14:                               ;   in Loop: Header=BB28_13 Depth=1
	ds_store_b32 v12, v9
.LBB28_15:                              ;   in Loop: Header=BB28_13 Depth=1
	s_or_b32 exec_lo, exec_lo, s4
	s_xor_b32 s1, s1, -1
	s_delay_alu instid0(SALU_CYCLE_1)
	s_and_saveexec_b32 s4, s1
	s_cbranch_execz .LBB28_12
; %bb.16:                               ;   in Loop: Header=BB28_13 Depth=1
	global_load_b32 v19, v[1:2], off
	s_waitcnt vmcnt(0)
	v_mad_i64_i32 v[17:18], null, v19, s44, 0
	s_delay_alu instid0(VALU_DEP_1) | instskip(NEXT) | instid1(VALU_DEP_1)
	v_lshlrev_b64 v[17:18], 2, v[17:18]
	v_add_co_u32 v17, s1, v13, v17
	s_delay_alu instid0(VALU_DEP_1)
	v_add_co_ci_u32_e64 v18, s1, v14, v18, s1
	v_cmp_gt_i32_e64 s1, 32, v10
	s_clause 0xf
	global_load_b64 v[28:29], v[17:18], off offset:256
	global_load_b64 v[30:31], v[17:18], off
	global_load_b64 v[32:33], v[17:18], off offset:512
	global_load_b64 v[34:35], v[17:18], off offset:768
	;; [unrolled: 1-line block ×14, first 2 shown]
	ds_load_b128 v[17:20], v7
	ds_load_b128 v[21:24], v7 offset:16
	s_waitcnt vmcnt(15) lgkmcnt(1)
	v_dual_mul_f32 v36, v19, v28 :: v_dual_mul_f32 v29, v20, v29
	ds_load_b128 v[25:28], v7 offset:32
	s_waitcnt vmcnt(14)
	v_dual_fmac_f32 v36, v17, v30 :: v_dual_fmac_f32 v29, v18, v31
	ds_load_b128 v[17:20], v7 offset:48
	s_waitcnt vmcnt(13) lgkmcnt(2)
	v_dual_fmac_f32 v36, v21, v32 :: v_dual_fmac_f32 v29, v22, v33
	s_waitcnt vmcnt(12)
	s_delay_alu instid0(VALU_DEP_1) | instskip(SKIP_4) | instid1(VALU_DEP_1)
	v_dual_fmac_f32 v36, v23, v34 :: v_dual_fmac_f32 v29, v24, v35
	ds_load_b128 v[21:24], v7 offset:64
	s_waitcnt vmcnt(11) lgkmcnt(2)
	v_dual_fmac_f32 v36, v25, v42 :: v_dual_fmac_f32 v29, v26, v43
	s_waitcnt vmcnt(10)
	v_dual_fmac_f32 v36, v27, v44 :: v_dual_fmac_f32 v29, v28, v45
	ds_load_b128 v[25:28], v7 offset:80
	s_waitcnt vmcnt(9) lgkmcnt(2)
	v_dual_fmac_f32 v36, v17, v46 :: v_dual_fmac_f32 v29, v18, v47
	s_waitcnt vmcnt(8)
	s_delay_alu instid0(VALU_DEP_1) | instskip(SKIP_4) | instid1(VALU_DEP_1)
	v_dual_fmac_f32 v36, v19, v48 :: v_dual_fmac_f32 v29, v20, v49
	ds_load_b128 v[17:20], v7 offset:96
	s_waitcnt vmcnt(7) lgkmcnt(2)
	v_dual_fmac_f32 v36, v21, v50 :: v_dual_fmac_f32 v29, v22, v51
	s_waitcnt vmcnt(6)
	v_dual_fmac_f32 v36, v23, v52 :: v_dual_fmac_f32 v29, v24, v53
	ds_load_b128 v[21:24], v7 offset:112
	s_waitcnt vmcnt(5) lgkmcnt(2)
	v_dual_fmac_f32 v36, v25, v54 :: v_dual_fmac_f32 v29, v26, v55
	s_waitcnt vmcnt(4)
	s_delay_alu instid0(VALU_DEP_1) | instskip(SKIP_1) | instid1(VALU_DEP_1)
	v_dual_fmac_f32 v36, v27, v56 :: v_dual_fmac_f32 v29, v28, v57
	s_waitcnt vmcnt(3) lgkmcnt(1)
	v_dual_fmac_f32 v36, v17, v58 :: v_dual_fmac_f32 v29, v18, v59
	v_cndmask_b32_e64 v17, v4, v10, s1
	s_waitcnt vmcnt(2)
	s_delay_alu instid0(VALU_DEP_2) | instskip(NEXT) | instid1(VALU_DEP_2)
	v_dual_fmac_f32 v36, v19, v60 :: v_dual_fmac_f32 v29, v20, v61
	v_lshlrev_b32_e32 v18, 2, v17
	s_waitcnt vmcnt(1) lgkmcnt(0)
	s_delay_alu instid0(VALU_DEP_2) | instskip(SKIP_1) | instid1(VALU_DEP_1)
	v_dual_fmac_f32 v36, v21, v62 :: v_dual_fmac_f32 v29, v22, v63
	s_waitcnt vmcnt(0)
	v_dual_fmac_f32 v36, v23, v64 :: v_dual_fmac_f32 v29, v24, v65
	s_delay_alu instid0(VALU_DEP_1)
	v_add_f32_e32 v17, v36, v29
	ds_bpermute_b32 v18, v18, v17
	s_and_saveexec_b32 s45, vcc_lo
	s_cbranch_execz .LBB28_11
; %bb.17:                               ;   in Loop: Header=BB28_13 Depth=1
	s_waitcnt lgkmcnt(0)
	v_add_f32_e32 v17, v17, v18
	v_add_nc_u32_e32 v19, v11, v8
	s_delay_alu instid0(VALU_DEP_1) | instskip(NEXT) | instid1(VALU_DEP_1)
	v_cvt_f32_i32_e32 v19, v19
	v_mul_f32_e32 v19, s41, v19
	s_delay_alu instid0(VALU_DEP_1) | instskip(SKIP_1) | instid1(VALU_DEP_2)
	v_cndmask_b32_e64 v18, 0, v19, s0
	v_max_f32_e32 v19, v5, v5
	v_dual_fmac_f32 v18, s37, v17 :: v_dual_add_nc_u32 v17, v6, v8
	s_delay_alu instid0(VALU_DEP_1) | instskip(NEXT) | instid1(VALU_DEP_2)
	v_max_f32_e32 v19, v19, v18
	v_cmp_gt_i32_e64 s1, s15, v17
	s_delay_alu instid0(VALU_DEP_1) | instskip(NEXT) | instid1(VALU_DEP_3)
	v_cndmask_b32_e64 v17, 0, v18, s1
	v_cndmask_b32_e64 v5, v5, v19, s1
	ds_store_b32 v12, v17
	s_branch .LBB28_11
.LBB28_18:
	s_or_b32 exec_lo, exec_lo, s43
.LBB28_19:
	s_delay_alu instid0(SALU_CYCLE_1) | instskip(SKIP_3) | instid1(VALU_DEP_3)
	s_or_b32 exec_lo, exec_lo, s6
	v_xor_b32_e32 v1, 16, v4
	v_xor_b32_e32 v6, 8, v4
	v_dual_max_f32 v7, v5, v5 :: v_dual_and_b32 v42, 31, v0
	v_cmp_gt_i32_e32 vcc_lo, 32, v1
	v_cndmask_b32_e32 v1, v4, v1, vcc_lo
	s_delay_alu instid0(VALU_DEP_4) | instskip(NEXT) | instid1(VALU_DEP_2)
	v_cmp_gt_i32_e32 vcc_lo, 32, v6
	v_lshlrev_b32_e32 v2, 2, v1
	ds_bpermute_b32 v1, v2, v5
	v_cndmask_b32_e32 v5, v4, v6, vcc_lo
	s_delay_alu instid0(VALU_DEP_1) | instskip(SKIP_2) | instid1(VALU_DEP_1)
	v_lshlrev_b32_e32 v5, 2, v5
	s_waitcnt lgkmcnt(0)
	v_max_f32_e32 v1, v1, v1
	v_max_f32_e32 v1, v7, v1
	v_xor_b32_e32 v7, 4, v4
	ds_bpermute_b32 v6, v5, v1
	v_cmp_gt_i32_e32 vcc_lo, 32, v7
	s_waitcnt lgkmcnt(0)
	v_dual_cndmask_b32 v7, v4, v7 :: v_dual_max_f32 v8, v6, v6
	s_delay_alu instid0(VALU_DEP_1)
	v_dual_max_f32 v1, v1, v8 :: v_dual_lshlrev_b32 v6, 2, v7
	v_xor_b32_e32 v8, 2, v4
	ds_bpermute_b32 v7, v6, v1
	v_cmp_gt_i32_e32 vcc_lo, 32, v8
	v_cndmask_b32_e32 v8, v4, v8, vcc_lo
	v_cmp_eq_u32_e32 vcc_lo, 0, v42
	s_delay_alu instid0(VALU_DEP_2) | instskip(SKIP_2) | instid1(VALU_DEP_1)
	v_lshlrev_b32_e32 v43, 2, v8
	s_waitcnt lgkmcnt(0)
	v_max_f32_e32 v7, v7, v7
	v_max_f32_e32 v1, v1, v7
	v_lshlrev_b32_e32 v7, 2, v40
	ds_bpermute_b32 v8, v43, v1
	s_and_saveexec_b32 s0, vcc_lo
	s_cbranch_execz .LBB28_21
; %bb.20:
	s_waitcnt lgkmcnt(0)
	v_dual_max_f32 v8, v8, v8 :: v_dual_max_f32 v1, v1, v1
	s_delay_alu instid0(VALU_DEP_1)
	v_max_f32_e32 v1, v1, v8
	ds_store_b32 v7, v1 offset:256
.LBB28_21:
	s_or_b32 exec_lo, exec_lo, s0
	v_cmp_gt_u32_e64 s0, 4, v42
	s_waitcnt lgkmcnt(0)
	v_dual_mov_b32 v1, 0xff7fffff :: v_dual_lshlrev_b32 v8, 2, v42
	s_barrier
	buffer_gl0_inv
	s_and_saveexec_b32 s1, s0
	s_cbranch_execz .LBB28_23
; %bb.22:
	ds_load_b32 v1, v8 offset:256
.LBB28_23:
	s_or_b32 exec_lo, exec_lo, s1
	s_waitcnt lgkmcnt(0)
	ds_bpermute_b32 v9, v43, v1
	v_xor_b32_e32 v10, 1, v4
	s_delay_alu instid0(VALU_DEP_1) | instskip(NEXT) | instid1(VALU_DEP_1)
	v_cmp_gt_i32_e64 s1, 32, v10
	v_cndmask_b32_e64 v4, v4, v10, s1
	v_max_f32_e32 v1, v1, v1
	s_sub_i32 s1, s36, s7
	s_delay_alu instid0(SALU_CYCLE_1) | instskip(NEXT) | instid1(VALU_DEP_2)
	s_lshl_b32 s1, s1, 4
	v_lshlrev_b32_e32 v44, 2, v4
	s_add_i32 s1, s1, s39
	s_delay_alu instid0(SALU_CYCLE_1) | instskip(SKIP_3) | instid1(SALU_CYCLE_1)
	s_min_i32 s1, s1, s15
	s_waitcnt lgkmcnt(0)
	v_max_f32_e32 v9, v9, v9
	s_sub_i32 s6, s1, s39
	v_cmp_gt_i32_e64 s1, s6, v0
	s_delay_alu instid0(VALU_DEP_2) | instskip(SKIP_4) | instid1(VALU_DEP_1)
	v_max_f32_e32 v1, v1, v9
	v_mov_b32_e32 v9, 0
	ds_bpermute_b32 v4, v44, v1
	s_waitcnt lgkmcnt(0)
	v_max_f32_e32 v4, v4, v4
	v_max_f32_e32 v1, v1, v4
	v_lshl_add_u32 v4, v0, 2, 0x120
	ds_bpermute_b32 v1, v9, v1
	s_and_saveexec_b32 s7, s1
	s_cbranch_execz .LBB28_27
; %bb.24:
	v_lshl_add_u32 v10, v0, 2, 0x120
	v_mov_b32_e32 v9, 0
	v_mov_b32_e32 v11, v0
	s_mov_b32 s35, 0
	.p2align	6
.LBB28_25:                              ; =>This Inner Loop Header: Depth=1
	ds_load_b32 v12, v10
	v_add_nc_u32_e32 v11, 0x80, v11
	s_delay_alu instid0(VALU_DEP_1) | instskip(NEXT) | instid1(VALU_DEP_1)
	v_cmp_le_i32_e64 s4, s6, v11
	s_or_b32 s35, s4, s35
	s_waitcnt lgkmcnt(0)
	v_sub_f32_e32 v12, v12, v1
	s_delay_alu instid0(VALU_DEP_1) | instskip(NEXT) | instid1(VALU_DEP_1)
	v_mul_f32_e32 v12, 0x3fb8aa3b, v12
	v_exp_f32_e32 v12, v12
	ds_store_b32 v10, v12
	v_dual_add_f32 v9, v9, v12 :: v_dual_add_nc_u32 v10, 0x200, v10
	s_and_not1_b32 exec_lo, exec_lo, s35
	s_cbranch_execnz .LBB28_25
; %bb.26:
	s_or_b32 exec_lo, exec_lo, s35
.LBB28_27:
	s_delay_alu instid0(SALU_CYCLE_1)
	s_or_b32 exec_lo, exec_lo, s7
	ds_bpermute_b32 v2, v2, v9
	s_waitcnt lgkmcnt(0)
	v_add_f32_e32 v2, v9, v2
	ds_bpermute_b32 v5, v5, v2
	s_waitcnt lgkmcnt(0)
	v_add_f32_e32 v2, v2, v5
	;; [unrolled: 3-line block ×5, first 2 shown]
	s_and_saveexec_b32 s4, vcc_lo
	s_cbranch_execz .LBB28_29
; %bb.28:
	ds_store_b32 v7, v2 offset:272
.LBB28_29:
	s_or_b32 exec_lo, exec_lo, s4
	s_waitcnt lgkmcnt(0)
	s_barrier
	buffer_gl0_inv
	s_and_saveexec_b32 s4, s0
	s_cbranch_execz .LBB28_31
; %bb.30:
	ds_load_b32 v2, v8 offset:272
.LBB28_31:
	s_or_b32 exec_lo, exec_lo, s4
	s_waitcnt lgkmcnt(0)
	ds_bpermute_b32 v5, v43, v2
	s_waitcnt lgkmcnt(0)
	v_add_f32_e32 v2, v2, v5
	ds_bpermute_b32 v5, v44, v2
	s_waitcnt lgkmcnt(0)
	v_dual_add_f32 v2, v2, v5 :: v_dual_mov_b32 v5, 0
	ds_bpermute_b32 v2, v5, v2
	s_and_saveexec_b32 s0, s1
	s_cbranch_execz .LBB28_34
; %bb.32:
	s_waitcnt lgkmcnt(0)
	v_add_f32_e32 v5, 0x358637bd, v2
	s_mov_b32 s1, 0
	s_delay_alu instid0(VALU_DEP_1) | instskip(SKIP_1) | instid1(VALU_DEP_2)
	v_div_scale_f32 v6, null, v5, v5, 1.0
	v_div_scale_f32 v9, vcc_lo, 1.0, v5, 1.0
	v_rcp_f32_e32 v7, v6
	s_waitcnt_depctr 0xfff
	v_fma_f32 v8, -v6, v7, 1.0
	s_delay_alu instid0(VALU_DEP_1) | instskip(NEXT) | instid1(VALU_DEP_1)
	v_fmac_f32_e32 v7, v8, v7
	v_mul_f32_e32 v8, v9, v7
	s_delay_alu instid0(VALU_DEP_1) | instskip(NEXT) | instid1(VALU_DEP_1)
	v_fma_f32 v10, -v6, v8, v9
	v_fmac_f32_e32 v8, v10, v7
	s_delay_alu instid0(VALU_DEP_1) | instskip(NEXT) | instid1(VALU_DEP_1)
	v_fma_f32 v6, -v6, v8, v9
	v_div_fmas_f32 v6, v6, v7, v8
	s_delay_alu instid0(VALU_DEP_1)
	v_div_fixup_f32 v5, v6, v5, 1.0
	v_mov_b32_e32 v6, v0
.LBB28_33:                              ; =>This Inner Loop Header: Depth=1
	ds_load_b32 v7, v4
	s_waitcnt lgkmcnt(0)
	v_dual_mul_f32 v7, v5, v7 :: v_dual_add_nc_u32 v6, 0x80, v6
	s_delay_alu instid0(VALU_DEP_1) | instskip(SKIP_3) | instid1(SALU_CYCLE_1)
	v_cmp_le_i32_e32 vcc_lo, s6, v6
	ds_store_b32 v4, v7
	v_add_nc_u32_e32 v4, 0x200, v4
	s_or_b32 s1, vcc_lo, s1
	s_and_not1_b32 exec_lo, exec_lo, s1
	s_cbranch_execnz .LBB28_33
.LBB28_34:
	s_or_b32 exec_lo, exec_lo, s0
	s_mul_i32 s0, s8, s14
	s_waitcnt lgkmcnt(0)
	s_mul_i32 s6, s0, s13
	s_mov_b32 s0, exec_lo
	s_barrier
	buffer_gl0_inv
	v_cmpx_eq_u32_e32 0, v0
	s_cbranch_execz .LBB28_36
; %bb.35:
	s_ashr_i32 s7, s6, 31
	s_mul_i32 s44, s8, s24
	s_lshl_b64 s[42:43], s[6:7], 2
	v_mov_b32_e32 v4, 0
	s_add_u32 s1, s18, s42
	s_addc_u32 s4, s19, s43
	s_ashr_i32 s45, s44, 31
	s_delay_alu instid0(SALU_CYCLE_1) | instskip(NEXT) | instid1(SALU_CYCLE_1)
	s_lshl_b64 s[18:19], s[44:45], 2
	s_add_u32 s1, s1, s18
	s_addc_u32 s4, s4, s19
	s_ashr_i32 s13, s12, 31
	s_delay_alu instid0(SALU_CYCLE_1) | instskip(NEXT) | instid1(SALU_CYCLE_1)
	s_lshl_b64 s[44:45], s[12:13], 2
	s_add_u32 s46, s1, s44
	s_addc_u32 s47, s4, s45
	s_add_u32 s1, s16, s42
	s_addc_u32 s4, s17, s43
	;; [unrolled: 2-line block ×4, first 2 shown]
	s_clause 0x1
	global_store_b32 v4, v1, s[46:47]
	global_store_b32 v4, v2, s[16:17]
.LBB28_36:
	s_or_b32 exec_lo, exec_lo, s0
	v_dual_mov_b32 v53, 0 :: v_dual_mov_b32 v48, 0
	v_dual_mov_b32 v50, 0 :: v_dual_and_b32 v45, 3, v0
	v_dual_mov_b32 v49, 0 :: v_dual_mov_b32 v52, 0
	v_dual_mov_b32 v47, 0 :: v_dual_mov_b32 v46, 0
	v_mov_b32_e32 v51, 0
	s_mov_b32 s4, 0
	s_and_saveexec_b32 s1, s3
	s_cbranch_execz .LBB28_58
; %bb.37:
	s_ashr_i32 s35, s34, 31
	s_sub_i32 s3, s40, s9
	s_lshl_b64 s[16:17], s[34:35], 2
	v_dual_mov_b32 v51, 0 :: v_dual_and_b32 v54, 12, v3
	s_add_u32 s0, s30, s16
	s_addc_u32 s9, s31, s17
	s_abs_i32 s7, s10
	v_dual_mov_b32 v46, 0 :: v_dual_lshlrev_b32 v3, 4, v0
	v_cvt_f32_u32_e32 v1, s7
	s_sub_i32 s10, 0, s7
	s_delay_alu instid0(VALU_DEP_2) | instskip(SKIP_1) | instid1(VALU_DEP_2)
	v_dual_mov_b32 v48, 0 :: v_dual_and_b32 v3, 0x1f0, v3
	s_lshl_b64 s[16:17], s[28:29], 2
	v_rcp_iflag_f32_e32 v4, v1
	v_lshlrev_b64 v[1:2], 2, v[37:38]
	s_add_i32 s38, s38, -1
	v_add_co_u32 v55, s0, s0, v3
	v_dual_mov_b32 v52, 0 :: v_dual_mov_b32 v47, 0
	v_dual_mov_b32 v50, 0 :: v_dual_lshlrev_b32 v5, 4, v45
	s_waitcnt_depctr 0xfff
	v_dual_mov_b32 v49, 0 :: v_dual_mul_f32 v4, 0x4f7ffffe, v4
	v_add_co_ci_u32_e64 v56, null, s9, 0, s0
	v_lshl_or_b32 v5, v40, 6, v5
	v_mov_b32_e32 v53, 0
	s_delay_alu instid0(VALU_DEP_4) | instskip(NEXT) | instid1(VALU_DEP_3)
	v_cvt_u32_f32_e32 v4, v4
	v_add_nc_u32_e32 v57, 0x120, v5
	s_delay_alu instid0(VALU_DEP_2) | instskip(SKIP_4) | instid1(VALU_DEP_3)
	v_mul_lo_u32 v6, s10, v4
	s_add_u32 s10, s26, s16
	s_addc_u32 s13, s27, s17
	v_add_co_u32 v38, vcc_lo, s10, v1
	v_add_co_ci_u32_e32 v39, vcc_lo, s13, v2, vcc_lo
	v_mul_hi_u32 v6, v4, v6
	s_delay_alu instid0(VALU_DEP_1)
	v_add_nc_u32_e32 v58, v4, v6
	s_branch .LBB28_40
.LBB28_38:                              ;   in Loop: Header=BB28_40 Depth=1
	s_or_b32 exec_lo, exec_lo, s0
	s_waitcnt vmcnt(3) lgkmcnt(0)
	v_mul_f32_e32 v22, v2, v22
	s_waitcnt vmcnt(1)
	v_mul_f32_e32 v30, v2, v30
	v_mul_f32_e32 v26, v2, v26
	;; [unrolled: 1-line block ×4, first 2 shown]
	v_fmac_f32_e32 v22, v1, v21
	v_mul_f32_e32 v10, v2, v10
	v_mul_f32_e32 v6, v2, v6
	s_waitcnt vmcnt(0)
	v_mul_f32_e32 v2, v2, v34
	v_fmac_f32_e32 v18, v1, v17
	v_fmac_f32_e32 v22, v3, v23
	;; [unrolled: 1-line block ×10, first 2 shown]
	s_delay_alu instid0(VALU_DEP_4) | instskip(SKIP_2) | instid1(VALU_DEP_3)
	v_dual_fmac_f32 v18, v4, v20 :: v_dual_add_f32 v47, v47, v22
	v_fmac_f32_e32 v26, v1, v25
	v_fmac_f32_e32 v14, v3, v15
	v_dual_fmac_f32 v2, v4, v36 :: v_dual_add_f32 v51, v51, v18
	v_fmac_f32_e32 v30, v3, v31
	v_fmac_f32_e32 v10, v3, v11
	s_delay_alu instid0(VALU_DEP_3) | instskip(SKIP_1) | instid1(VALU_DEP_4)
	v_dual_fmac_f32 v6, v3, v7 :: v_dual_add_f32 v53, v53, v2
	v_fmac_f32_e32 v14, v4, v16
	v_fmac_f32_e32 v30, v4, v32
	v_fmac_f32_e32 v26, v3, v27
	v_fmac_f32_e32 v10, v4, v12
	v_fmac_f32_e32 v6, v4, v8
	v_add_f32_e32 v50, v50, v14
	s_delay_alu instid0(VALU_DEP_4) | instskip(NEXT) | instid1(VALU_DEP_4)
	v_dual_add_f32 v49, v49, v30 :: v_dual_fmac_f32 v26, v4, v28
	v_add_f32_e32 v52, v52, v10
	s_delay_alu instid0(VALU_DEP_4) | instskip(NEXT) | instid1(VALU_DEP_3)
	v_add_f32_e32 v46, v46, v6
	v_add_f32_e32 v48, v48, v26
.LBB28_39:                              ;   in Loop: Header=BB28_40 Depth=1
	s_or_b32 exec_lo, exec_lo, s9
	v_add_nc_u32_e32 v37, 4, v37
	v_add_co_u32 v38, s0, v38, 16
	s_delay_alu instid0(VALU_DEP_1) | instskip(NEXT) | instid1(VALU_DEP_3)
	v_add_co_ci_u32_e64 v39, s0, 0, v39, s0
	v_cmp_le_i32_e32 vcc_lo, s36, v37
	v_add_nc_u32_e32 v41, 64, v41
	v_add_nc_u32_e32 v57, 0x100, v57
	s_or_b32 s4, vcc_lo, s4
	s_delay_alu instid0(SALU_CYCLE_1)
	s_and_not1_b32 exec_lo, exec_lo, s4
	s_cbranch_execz .LBB28_57
.LBB28_40:                              ; =>This Inner Loop Header: Depth=1
	v_sub_nc_u32_e32 v1, 0, v41
	s_delay_alu instid0(VALU_DEP_1) | instskip(NEXT) | instid1(VALU_DEP_1)
	v_max_i32_e32 v1, v41, v1
	v_mul_hi_u32 v2, v1, s25
	s_delay_alu instid0(VALU_DEP_1) | instskip(NEXT) | instid1(VALU_DEP_1)
	v_mul_lo_u32 v3, v2, s21
	v_sub_nc_u32_e32 v1, v1, v3
	v_add_nc_u32_e32 v3, 1, v2
	s_delay_alu instid0(VALU_DEP_2) | instskip(SKIP_1) | instid1(VALU_DEP_2)
	v_subrev_nc_u32_e32 v4, s21, v1
	v_cmp_le_u32_e32 vcc_lo, s21, v1
	v_dual_cndmask_b32 v2, v2, v3 :: v_dual_cndmask_b32 v1, v1, v4
	v_ashrrev_i32_e32 v3, 31, v41
	s_delay_alu instid0(VALU_DEP_2) | instskip(NEXT) | instid1(VALU_DEP_3)
	v_add_nc_u32_e32 v4, 1, v2
	v_cmp_le_u32_e32 vcc_lo, s21, v1
	s_delay_alu instid0(VALU_DEP_3) | instskip(NEXT) | instid1(VALU_DEP_3)
	v_xor_b32_e32 v3, s11, v3
	v_cndmask_b32_e32 v1, v2, v4, vcc_lo
	s_delay_alu instid0(VALU_DEP_1) | instskip(NEXT) | instid1(VALU_DEP_1)
	v_xor_b32_e32 v1, v1, v3
	v_sub_nc_u32_e32 v1, v1, v3
	s_delay_alu instid0(VALU_DEP_1) | instskip(SKIP_1) | instid1(VALU_DEP_2)
	v_add_nc_u32_e32 v2, s33, v1
	v_cmp_lt_i32_e64 s0, s3, v1
	v_sub_nc_u32_e32 v3, 0, v2
	s_delay_alu instid0(VALU_DEP_1) | instskip(NEXT) | instid1(VALU_DEP_1)
	v_max_i32_e32 v3, v2, v3
	v_mul_hi_u32 v4, v3, v58
	s_delay_alu instid0(VALU_DEP_1) | instskip(NEXT) | instid1(VALU_DEP_1)
	v_mul_lo_u32 v4, v4, s7
	v_sub_nc_u32_e32 v3, v3, v4
	s_delay_alu instid0(VALU_DEP_1) | instskip(SKIP_1) | instid1(VALU_DEP_2)
	v_subrev_nc_u32_e32 v4, s7, v3
	v_cmp_le_u32_e32 vcc_lo, s7, v3
	v_cndmask_b32_e32 v3, v3, v4, vcc_lo
	v_ashrrev_i32_e32 v2, 31, v2
	s_delay_alu instid0(VALU_DEP_2) | instskip(SKIP_1) | instid1(VALU_DEP_2)
	v_subrev_nc_u32_e32 v4, s7, v3
	v_cmp_le_u32_e32 vcc_lo, s7, v3
	v_cndmask_b32_e32 v3, v3, v4, vcc_lo
	s_delay_alu instid0(VALU_DEP_1) | instskip(NEXT) | instid1(VALU_DEP_1)
	v_xor_b32_e32 v3, v3, v2
	v_sub_nc_u32_e32 v2, v3, v2
	s_delay_alu instid0(VALU_DEP_1) | instskip(SKIP_1) | instid1(SALU_CYCLE_1)
	v_cmp_eq_u32_e32 vcc_lo, 0, v2
	s_or_b32 s0, vcc_lo, s0
	s_and_saveexec_b32 s9, s0
	s_cbranch_execz .LBB28_39
; %bb.41:                               ;   in Loop: Header=BB28_40 Depth=1
	global_load_b32 v3, v[38:39], off
	v_add_nc_u32_e32 v59, v54, v41
	s_delay_alu instid0(VALU_DEP_1) | instskip(SKIP_4) | instid1(VALU_DEP_1)
	v_add_nc_u32_e32 v62, 1, v59
	v_add_nc_u32_e32 v61, 2, v59
	;; [unrolled: 1-line block ×3, first 2 shown]
	s_waitcnt vmcnt(0)
	v_mad_i64_i32 v[1:2], null, v3, s5, 0
	v_lshlrev_b64 v[1:2], 2, v[1:2]
	s_delay_alu instid0(VALU_DEP_1) | instskip(NEXT) | instid1(VALU_DEP_2)
	v_add_co_u32 v33, vcc_lo, v55, v1
	v_add_co_ci_u32_e32 v34, vcc_lo, v56, v2, vcc_lo
	ds_load_b128 v[1:4], v57
	v_cmp_eq_u32_e32 vcc_lo, s38, v37
	global_load_b128 v[5:8], v[33:34], off
	s_and_saveexec_b32 s10, vcc_lo
	s_cbranch_execnz .LBB28_49
; %bb.42:                               ;   in Loop: Header=BB28_40 Depth=1
	s_or_b32 exec_lo, exec_lo, s10
	global_load_b128 v[9:12], v[33:34], off offset:512
	s_and_saveexec_b32 s10, vcc_lo
	s_cbranch_execnz .LBB28_50
.LBB28_43:                              ;   in Loop: Header=BB28_40 Depth=1
	s_or_b32 exec_lo, exec_lo, s10
	global_load_b128 v[13:16], v[33:34], off offset:1024
	s_and_saveexec_b32 s10, vcc_lo
	s_cbranch_execnz .LBB28_51
.LBB28_44:                              ;   in Loop: Header=BB28_40 Depth=1
	s_or_b32 exec_lo, exec_lo, s10
	global_load_b128 v[17:20], v[33:34], off offset:1536
	s_and_saveexec_b32 s10, vcc_lo
	s_cbranch_execnz .LBB28_52
.LBB28_45:                              ;   in Loop: Header=BB28_40 Depth=1
	s_or_b32 exec_lo, exec_lo, s10
	global_load_b128 v[21:24], v[33:34], off offset:2048
	s_and_saveexec_b32 s10, vcc_lo
	s_cbranch_execnz .LBB28_53
.LBB28_46:                              ;   in Loop: Header=BB28_40 Depth=1
	s_or_b32 exec_lo, exec_lo, s10
	global_load_b128 v[25:28], v[33:34], off offset:2560
	s_and_saveexec_b32 s10, vcc_lo
	s_cbranch_execnz .LBB28_54
.LBB28_47:                              ;   in Loop: Header=BB28_40 Depth=1
	s_or_b32 exec_lo, exec_lo, s10
	global_load_b128 v[29:32], v[33:34], off offset:3072
	s_and_saveexec_b32 s10, vcc_lo
	s_cbranch_execnz .LBB28_55
.LBB28_48:                              ;   in Loop: Header=BB28_40 Depth=1
	s_or_b32 exec_lo, exec_lo, s10
	global_load_b128 v[33:36], v[33:34], off offset:3584
	s_and_saveexec_b32 s0, vcc_lo
	s_cbranch_execz .LBB28_38
	s_branch .LBB28_56
.LBB28_49:                              ;   in Loop: Header=BB28_40 Depth=1
	v_cmp_gt_i32_e64 s0, s15, v59
	s_waitcnt vmcnt(0)
	s_delay_alu instid0(VALU_DEP_1) | instskip(SKIP_1) | instid1(VALU_DEP_1)
	v_cndmask_b32_e64 v5, 0, v5, s0
	v_cmp_gt_i32_e64 s0, s15, v62
	v_cndmask_b32_e64 v6, 0, v6, s0
	v_cmp_gt_i32_e64 s0, s15, v61
	s_delay_alu instid0(VALU_DEP_1) | instskip(SKIP_1) | instid1(VALU_DEP_1)
	v_cndmask_b32_e64 v7, 0, v7, s0
	v_cmp_gt_i32_e64 s0, s15, v60
	v_cndmask_b32_e64 v8, 0, v8, s0
	s_or_b32 exec_lo, exec_lo, s10
	global_load_b128 v[9:12], v[33:34], off offset:512
	s_and_saveexec_b32 s10, vcc_lo
	s_cbranch_execz .LBB28_43
.LBB28_50:                              ;   in Loop: Header=BB28_40 Depth=1
	v_cmp_gt_i32_e64 s0, s15, v59
	s_waitcnt vmcnt(0)
	s_delay_alu instid0(VALU_DEP_1) | instskip(SKIP_1) | instid1(VALU_DEP_1)
	v_cndmask_b32_e64 v9, 0, v9, s0
	v_cmp_gt_i32_e64 s0, s15, v62
	v_cndmask_b32_e64 v10, 0, v10, s0
	v_cmp_gt_i32_e64 s0, s15, v61
	s_delay_alu instid0(VALU_DEP_1) | instskip(SKIP_1) | instid1(VALU_DEP_1)
	v_cndmask_b32_e64 v11, 0, v11, s0
	v_cmp_gt_i32_e64 s0, s15, v60
	v_cndmask_b32_e64 v12, 0, v12, s0
	s_or_b32 exec_lo, exec_lo, s10
	global_load_b128 v[13:16], v[33:34], off offset:1024
	s_and_saveexec_b32 s10, vcc_lo
	s_cbranch_execz .LBB28_44
.LBB28_51:                              ;   in Loop: Header=BB28_40 Depth=1
	v_cmp_gt_i32_e64 s0, s15, v59
	s_waitcnt vmcnt(0)
	s_delay_alu instid0(VALU_DEP_1) | instskip(SKIP_1) | instid1(VALU_DEP_1)
	v_cndmask_b32_e64 v13, 0, v13, s0
	v_cmp_gt_i32_e64 s0, s15, v62
	v_cndmask_b32_e64 v14, 0, v14, s0
	v_cmp_gt_i32_e64 s0, s15, v61
	s_delay_alu instid0(VALU_DEP_1) | instskip(SKIP_1) | instid1(VALU_DEP_1)
	v_cndmask_b32_e64 v15, 0, v15, s0
	v_cmp_gt_i32_e64 s0, s15, v60
	v_cndmask_b32_e64 v16, 0, v16, s0
	s_or_b32 exec_lo, exec_lo, s10
	global_load_b128 v[17:20], v[33:34], off offset:1536
	s_and_saveexec_b32 s10, vcc_lo
	s_cbranch_execz .LBB28_45
.LBB28_52:                              ;   in Loop: Header=BB28_40 Depth=1
	v_cmp_gt_i32_e64 s0, s15, v59
	s_waitcnt vmcnt(0)
	s_delay_alu instid0(VALU_DEP_1) | instskip(SKIP_1) | instid1(VALU_DEP_1)
	v_cndmask_b32_e64 v17, 0, v17, s0
	v_cmp_gt_i32_e64 s0, s15, v62
	v_cndmask_b32_e64 v18, 0, v18, s0
	v_cmp_gt_i32_e64 s0, s15, v61
	s_delay_alu instid0(VALU_DEP_1) | instskip(SKIP_1) | instid1(VALU_DEP_1)
	v_cndmask_b32_e64 v19, 0, v19, s0
	v_cmp_gt_i32_e64 s0, s15, v60
	v_cndmask_b32_e64 v20, 0, v20, s0
	s_or_b32 exec_lo, exec_lo, s10
	global_load_b128 v[21:24], v[33:34], off offset:2048
	s_and_saveexec_b32 s10, vcc_lo
	s_cbranch_execz .LBB28_46
.LBB28_53:                              ;   in Loop: Header=BB28_40 Depth=1
	v_cmp_gt_i32_e64 s0, s15, v59
	s_waitcnt vmcnt(0)
	s_delay_alu instid0(VALU_DEP_1) | instskip(SKIP_1) | instid1(VALU_DEP_1)
	v_cndmask_b32_e64 v21, 0, v21, s0
	v_cmp_gt_i32_e64 s0, s15, v62
	v_cndmask_b32_e64 v22, 0, v22, s0
	v_cmp_gt_i32_e64 s0, s15, v61
	s_delay_alu instid0(VALU_DEP_1) | instskip(SKIP_1) | instid1(VALU_DEP_1)
	v_cndmask_b32_e64 v23, 0, v23, s0
	v_cmp_gt_i32_e64 s0, s15, v60
	v_cndmask_b32_e64 v24, 0, v24, s0
	s_or_b32 exec_lo, exec_lo, s10
	global_load_b128 v[25:28], v[33:34], off offset:2560
	s_and_saveexec_b32 s10, vcc_lo
	s_cbranch_execz .LBB28_47
.LBB28_54:                              ;   in Loop: Header=BB28_40 Depth=1
	v_cmp_gt_i32_e64 s0, s15, v59
	s_waitcnt vmcnt(0)
	s_delay_alu instid0(VALU_DEP_1) | instskip(SKIP_1) | instid1(VALU_DEP_1)
	v_cndmask_b32_e64 v25, 0, v25, s0
	v_cmp_gt_i32_e64 s0, s15, v62
	v_cndmask_b32_e64 v26, 0, v26, s0
	v_cmp_gt_i32_e64 s0, s15, v61
	s_delay_alu instid0(VALU_DEP_1) | instskip(SKIP_1) | instid1(VALU_DEP_1)
	v_cndmask_b32_e64 v27, 0, v27, s0
	v_cmp_gt_i32_e64 s0, s15, v60
	v_cndmask_b32_e64 v28, 0, v28, s0
	s_or_b32 exec_lo, exec_lo, s10
	global_load_b128 v[29:32], v[33:34], off offset:3072
	s_and_saveexec_b32 s10, vcc_lo
	s_cbranch_execz .LBB28_48
.LBB28_55:                              ;   in Loop: Header=BB28_40 Depth=1
	v_cmp_gt_i32_e64 s0, s15, v59
	s_waitcnt vmcnt(0)
	s_delay_alu instid0(VALU_DEP_1) | instskip(SKIP_1) | instid1(VALU_DEP_1)
	v_cndmask_b32_e64 v29, 0, v29, s0
	v_cmp_gt_i32_e64 s0, s15, v62
	v_cndmask_b32_e64 v30, 0, v30, s0
	v_cmp_gt_i32_e64 s0, s15, v61
	s_delay_alu instid0(VALU_DEP_1) | instskip(SKIP_1) | instid1(VALU_DEP_1)
	v_cndmask_b32_e64 v31, 0, v31, s0
	v_cmp_gt_i32_e64 s0, s15, v60
	v_cndmask_b32_e64 v32, 0, v32, s0
	s_or_b32 exec_lo, exec_lo, s10
	global_load_b128 v[33:36], v[33:34], off offset:3584
	s_and_saveexec_b32 s0, vcc_lo
	s_cbranch_execz .LBB28_38
.LBB28_56:                              ;   in Loop: Header=BB28_40 Depth=1
	v_cmp_gt_i32_e32 vcc_lo, s15, v59
	s_waitcnt vmcnt(0)
	v_cndmask_b32_e32 v33, 0, v33, vcc_lo
	v_cmp_gt_i32_e32 vcc_lo, s15, v62
	v_cndmask_b32_e32 v34, 0, v34, vcc_lo
	v_cmp_gt_i32_e32 vcc_lo, s15, v61
	;; [unrolled: 2-line block ×3, first 2 shown]
	v_cndmask_b32_e32 v36, 0, v36, vcc_lo
	s_branch .LBB28_38
.LBB28_57:
	s_or_b32 exec_lo, exec_lo, s4
.LBB28_58:
	s_delay_alu instid0(SALU_CYCLE_1)
	s_or_b32 exec_lo, exec_lo, s1
	ds_bpermute_b32 v1, v43, v46
	ds_bpermute_b32 v2, v43, v52
	;; [unrolled: 1-line block ×8, first 2 shown]
	v_lshrrev_b32_e32 v9, 2, v42
	v_lshl_add_u32 v10, v40, 8, 0x120
	s_mov_b32 s0, exec_lo
	s_waitcnt lgkmcnt(0)
	s_waitcnt_vscnt null, 0x0
	s_barrier
	buffer_gl0_inv
	v_dual_add_f32 v1, v46, v1 :: v_dual_add_f32 v2, v52, v2
	v_dual_add_f32 v3, v50, v3 :: v_dual_add_f32 v4, v51, v4
	;; [unrolled: 1-line block ×3, first 2 shown]
	ds_bpermute_b32 v5, v44, v1
	ds_bpermute_b32 v6, v44, v2
	;; [unrolled: 1-line block ×5, first 2 shown]
	v_add_f32_e32 v13, v49, v7
	v_add_f32_e32 v14, v53, v8
	ds_bpermute_b32 v18, v44, v12
	s_waitcnt lgkmcnt(5)
	v_dual_add_f32 v8, v1, v5 :: v_dual_and_b32 v21, 0x3c3, v0
	s_waitcnt lgkmcnt(4)
	v_add_f32_e32 v7, v2, v6
	ds_bpermute_b32 v20, v44, v14
	s_waitcnt lgkmcnt(3)
	v_dual_add_f32 v6, v3, v15 :: v_dual_add_f32 v5, v4, v16
	s_waitcnt lgkmcnt(2)
	v_add_f32_e32 v4, v11, v17
	ds_bpermute_b32 v19, v44, v13
	s_waitcnt lgkmcnt(2)
	v_add_f32_e32 v3, v12, v18
	s_waitcnt lgkmcnt(0)
	v_dual_add_f32 v1, v14, v20 :: v_dual_add_f32 v2, v13, v19
	v_cmpx_eq_u32_e32 64, v21
	s_cbranch_execz .LBB28_60
; %bb.59:
	v_lshlrev_b32_e32 v11, 2, v9
	s_delay_alu instid0(VALU_DEP_1)
	v_add3_u32 v11, v10, v11, 0xfffffe00
	ds_store_2addr_b32 v11, v8, v7 offset1:8
	ds_store_2addr_b32 v11, v6, v5 offset0:16 offset1:24
	ds_store_2addr_b32 v11, v4, v3 offset0:32 offset1:40
	;; [unrolled: 1-line block ×3, first 2 shown]
.LBB28_60:
	s_or_b32 exec_lo, exec_lo, s0
	v_cmp_eq_u32_e32 vcc_lo, 0, v45
	s_mov_b32 s1, exec_lo
	s_waitcnt lgkmcnt(0)
	s_barrier
	buffer_gl0_inv
	v_cmpx_gt_u32_e32 64, v0
	s_cbranch_execz .LBB28_71
; %bb.61:
	s_and_saveexec_b32 s0, vcc_lo
	s_cbranch_execnz .LBB28_87
; %bb.62:
	s_or_b32 exec_lo, exec_lo, s0
	s_and_saveexec_b32 s0, vcc_lo
	s_cbranch_execnz .LBB28_88
.LBB28_63:
	s_or_b32 exec_lo, exec_lo, s0
	s_and_saveexec_b32 s0, vcc_lo
	s_cbranch_execnz .LBB28_89
.LBB28_64:
	s_or_b32 exec_lo, exec_lo, s0
	s_and_saveexec_b32 s0, vcc_lo
	s_cbranch_execnz .LBB28_90
.LBB28_65:
	s_or_b32 exec_lo, exec_lo, s0
	s_and_saveexec_b32 s0, vcc_lo
	s_cbranch_execnz .LBB28_91
.LBB28_66:
	s_or_b32 exec_lo, exec_lo, s0
	s_and_saveexec_b32 s0, vcc_lo
	s_cbranch_execnz .LBB28_92
.LBB28_67:
	s_or_b32 exec_lo, exec_lo, s0
	s_and_saveexec_b32 s0, vcc_lo
	s_cbranch_execnz .LBB28_93
.LBB28_68:
	s_or_b32 exec_lo, exec_lo, s0
	s_and_saveexec_b32 s0, vcc_lo
	s_cbranch_execz .LBB28_70
.LBB28_69:
	v_lshl_add_u32 v11, v9, 2, v10
	ds_load_b32 v11, v11 offset:224
	s_waitcnt lgkmcnt(0)
	v_add_f32_e32 v1, v1, v11
.LBB28_70:
	s_or_b32 exec_lo, exec_lo, s0
.LBB28_71:
	s_delay_alu instid0(SALU_CYCLE_1)
	s_or_b32 exec_lo, exec_lo, s1
	v_and_b32_e32 v11, 0x3e3, v0
	s_mov_b32 s1, exec_lo
	s_barrier
	buffer_gl0_inv
	v_cmpx_eq_u32_e32 32, v11
	s_cbranch_execz .LBB28_73
; %bb.72:
	v_lshl_add_u32 v12, v9, 2, 0x120
	ds_store_2addr_b32 v12, v8, v7 offset1:8
	ds_store_2addr_b32 v12, v6, v5 offset0:16 offset1:24
	ds_store_2addr_b32 v12, v4, v3 offset0:32 offset1:40
	;; [unrolled: 1-line block ×3, first 2 shown]
.LBB28_73:
	s_or_b32 exec_lo, exec_lo, s1
	s_waitcnt lgkmcnt(0)
	s_barrier
	buffer_gl0_inv
	s_and_saveexec_b32 s0, s2
	s_cbranch_execz .LBB28_84
; %bb.74:
	v_lshl_add_u32 v9, v9, 2, v10
	s_and_saveexec_b32 s1, vcc_lo
	s_cbranch_execnz .LBB28_94
; %bb.75:
	s_or_b32 exec_lo, exec_lo, s1
	s_and_saveexec_b32 s1, vcc_lo
	s_cbranch_execnz .LBB28_95
.LBB28_76:
	s_or_b32 exec_lo, exec_lo, s1
	s_and_saveexec_b32 s1, vcc_lo
	s_cbranch_execnz .LBB28_96
.LBB28_77:
	s_or_b32 exec_lo, exec_lo, s1
	s_and_saveexec_b32 s1, vcc_lo
	s_cbranch_execnz .LBB28_97
.LBB28_78:
	s_or_b32 exec_lo, exec_lo, s1
	s_and_saveexec_b32 s1, vcc_lo
	s_cbranch_execnz .LBB28_98
.LBB28_79:
	s_or_b32 exec_lo, exec_lo, s1
	s_and_saveexec_b32 s1, vcc_lo
	s_cbranch_execnz .LBB28_99
.LBB28_80:
	s_or_b32 exec_lo, exec_lo, s1
	s_and_saveexec_b32 s1, vcc_lo
	s_cbranch_execnz .LBB28_100
.LBB28_81:
	s_or_b32 exec_lo, exec_lo, s1
	s_and_saveexec_b32 s1, vcc_lo
	s_cbranch_execz .LBB28_83
.LBB28_82:
	ds_load_b32 v9, v9 offset:224
	s_waitcnt lgkmcnt(0)
	v_add_f32_e32 v1, v1, v9
.LBB28_83:
	s_or_b32 exec_lo, exec_lo, s1
.LBB28_84:
	s_delay_alu instid0(SALU_CYCLE_1)
	s_or_b32 exec_lo, exec_lo, s0
	s_barrier
	buffer_gl0_inv
	s_mov_b32 s0, exec_lo
	v_cmpx_eq_u32_e32 0, v11
	s_cbranch_execz .LBB28_86
; %bb.85:
	s_lshl_b32 s0, s6, 6
	s_mul_i32 s2, s8, s20
	s_ashr_i32 s1, s0, 31
	s_delay_alu instid0(SALU_CYCLE_1) | instskip(NEXT) | instid1(SALU_CYCLE_1)
	s_lshl_b64 s[0:1], s[0:1], 2
	s_add_u32 s4, s22, s0
	s_addc_u32 s5, s23, s1
	s_ashr_i32 s3, s2, 31
	s_delay_alu instid0(SALU_CYCLE_1) | instskip(NEXT) | instid1(SALU_CYCLE_1)
	s_lshl_b64 s[0:1], s[2:3], 2
	s_add_u32 s2, s4, s0
	s_addc_u32 s3, s5, s1
	s_lshl_b32 s0, s12, 6
	s_delay_alu instid0(SALU_CYCLE_1) | instskip(NEXT) | instid1(SALU_CYCLE_1)
	s_ashr_i32 s1, s0, 31
	s_lshl_b64 s[0:1], s[0:1], 2
	s_delay_alu instid0(SALU_CYCLE_1)
	s_add_u32 s0, s2, s0
	s_addc_u32 s1, s3, s1
	s_clause 0x7
	global_store_b32 v0, v8, s[0:1]
	global_store_b32 v0, v7, s[0:1] offset:32
	global_store_b32 v0, v6, s[0:1] offset:64
	;; [unrolled: 1-line block ×7, first 2 shown]
.LBB28_86:
	s_nop 0
	s_sendmsg sendmsg(MSG_DEALLOC_VGPRS)
	s_endpgm
.LBB28_87:
	v_lshl_add_u32 v11, v9, 2, v10
	ds_load_b32 v11, v11
	s_waitcnt lgkmcnt(0)
	v_add_f32_e32 v8, v8, v11
	s_or_b32 exec_lo, exec_lo, s0
	s_and_saveexec_b32 s0, vcc_lo
	s_cbranch_execz .LBB28_63
.LBB28_88:
	v_lshl_add_u32 v11, v9, 2, v10
	ds_load_b32 v11, v11 offset:32
	s_waitcnt lgkmcnt(0)
	v_add_f32_e32 v7, v7, v11
	s_or_b32 exec_lo, exec_lo, s0
	s_and_saveexec_b32 s0, vcc_lo
	s_cbranch_execz .LBB28_64
.LBB28_89:
	v_lshl_add_u32 v11, v9, 2, v10
	ds_load_b32 v11, v11 offset:64
	s_waitcnt lgkmcnt(0)
	v_add_f32_e32 v6, v6, v11
	s_or_b32 exec_lo, exec_lo, s0
	s_and_saveexec_b32 s0, vcc_lo
	s_cbranch_execz .LBB28_65
.LBB28_90:
	v_lshl_add_u32 v11, v9, 2, v10
	ds_load_b32 v11, v11 offset:96
	s_waitcnt lgkmcnt(0)
	v_add_f32_e32 v5, v5, v11
	s_or_b32 exec_lo, exec_lo, s0
	s_and_saveexec_b32 s0, vcc_lo
	s_cbranch_execz .LBB28_66
.LBB28_91:
	v_lshl_add_u32 v11, v9, 2, v10
	ds_load_b32 v11, v11 offset:128
	s_waitcnt lgkmcnt(0)
	v_add_f32_e32 v4, v4, v11
	s_or_b32 exec_lo, exec_lo, s0
	s_and_saveexec_b32 s0, vcc_lo
	s_cbranch_execz .LBB28_67
.LBB28_92:
	v_lshl_add_u32 v11, v9, 2, v10
	ds_load_b32 v11, v11 offset:160
	s_waitcnt lgkmcnt(0)
	v_add_f32_e32 v3, v3, v11
	s_or_b32 exec_lo, exec_lo, s0
	s_and_saveexec_b32 s0, vcc_lo
	s_cbranch_execz .LBB28_68
.LBB28_93:
	v_lshl_add_u32 v11, v9, 2, v10
	ds_load_b32 v11, v11 offset:192
	s_waitcnt lgkmcnt(0)
	v_add_f32_e32 v2, v2, v11
	s_or_b32 exec_lo, exec_lo, s0
	s_and_saveexec_b32 s0, vcc_lo
	s_cbranch_execnz .LBB28_69
	s_branch .LBB28_70
.LBB28_94:
	ds_load_b32 v10, v9
	s_waitcnt lgkmcnt(0)
	v_add_f32_e32 v8, v8, v10
	s_or_b32 exec_lo, exec_lo, s1
	s_and_saveexec_b32 s1, vcc_lo
	s_cbranch_execz .LBB28_76
.LBB28_95:
	ds_load_b32 v10, v9 offset:32
	s_waitcnt lgkmcnt(0)
	v_add_f32_e32 v7, v7, v10
	s_or_b32 exec_lo, exec_lo, s1
	s_and_saveexec_b32 s1, vcc_lo
	s_cbranch_execz .LBB28_77
.LBB28_96:
	ds_load_b32 v10, v9 offset:64
	s_waitcnt lgkmcnt(0)
	v_add_f32_e32 v6, v6, v10
	s_or_b32 exec_lo, exec_lo, s1
	s_and_saveexec_b32 s1, vcc_lo
	s_cbranch_execz .LBB28_78
.LBB28_97:
	ds_load_b32 v10, v9 offset:96
	s_waitcnt lgkmcnt(0)
	v_add_f32_e32 v5, v5, v10
	s_or_b32 exec_lo, exec_lo, s1
	s_and_saveexec_b32 s1, vcc_lo
	s_cbranch_execz .LBB28_79
.LBB28_98:
	ds_load_b32 v10, v9 offset:128
	s_waitcnt lgkmcnt(0)
	v_add_f32_e32 v4, v4, v10
	s_or_b32 exec_lo, exec_lo, s1
	s_and_saveexec_b32 s1, vcc_lo
	s_cbranch_execz .LBB28_80
.LBB28_99:
	ds_load_b32 v10, v9 offset:160
	s_waitcnt lgkmcnt(0)
	v_add_f32_e32 v3, v3, v10
	s_or_b32 exec_lo, exec_lo, s1
	s_and_saveexec_b32 s1, vcc_lo
	s_cbranch_execz .LBB28_81
.LBB28_100:
	ds_load_b32 v10, v9 offset:192
	s_waitcnt lgkmcnt(0)
	v_add_f32_e32 v2, v2, v10
	s_or_b32 exec_lo, exec_lo, s1
	s_and_saveexec_b32 s1, vcc_lo
	s_cbranch_execnz .LBB28_82
	s_branch .LBB28_83
	.section	.rodata,"a",@progbits
	.p2align	6, 0x0
	.amdhsa_kernel _ZN4vllm25paged_attention_v2_kernelIffLi64ELi16ELi128ELNS_18Fp8KVCacheDataTypeE0ELb1ELi512EEEvPfS2_PT_PKS3_PKT0_S9_ifPKiSB_iPKfiiiSD_SD_iiiii
		.amdhsa_group_segment_fixed_size 288
		.amdhsa_private_segment_fixed_size 0
		.amdhsa_kernarg_size 400
		.amdhsa_user_sgpr_count 13
		.amdhsa_user_sgpr_dispatch_ptr 0
		.amdhsa_user_sgpr_queue_ptr 0
		.amdhsa_user_sgpr_kernarg_segment_ptr 1
		.amdhsa_user_sgpr_dispatch_id 0
		.amdhsa_user_sgpr_private_segment_size 0
		.amdhsa_wavefront_size32 1
		.amdhsa_uses_dynamic_stack 0
		.amdhsa_enable_private_segment 0
		.amdhsa_system_sgpr_workgroup_id_x 1
		.amdhsa_system_sgpr_workgroup_id_y 1
		.amdhsa_system_sgpr_workgroup_id_z 1
		.amdhsa_system_sgpr_workgroup_info 0
		.amdhsa_system_vgpr_workitem_id 0
		.amdhsa_next_free_vgpr 66
		.amdhsa_next_free_sgpr 48
		.amdhsa_reserve_vcc 1
		.amdhsa_float_round_mode_32 0
		.amdhsa_float_round_mode_16_64 0
		.amdhsa_float_denorm_mode_32 3
		.amdhsa_float_denorm_mode_16_64 3
		.amdhsa_dx10_clamp 1
		.amdhsa_ieee_mode 1
		.amdhsa_fp16_overflow 0
		.amdhsa_workgroup_processor_mode 1
		.amdhsa_memory_ordered 1
		.amdhsa_forward_progress 0
		.amdhsa_shared_vgpr_count 0
		.amdhsa_exception_fp_ieee_invalid_op 0
		.amdhsa_exception_fp_denorm_src 0
		.amdhsa_exception_fp_ieee_div_zero 0
		.amdhsa_exception_fp_ieee_overflow 0
		.amdhsa_exception_fp_ieee_underflow 0
		.amdhsa_exception_fp_ieee_inexact 0
		.amdhsa_exception_int_div_zero 0
	.end_amdhsa_kernel
	.section	.text._ZN4vllm25paged_attention_v2_kernelIffLi64ELi16ELi128ELNS_18Fp8KVCacheDataTypeE0ELb1ELi512EEEvPfS2_PT_PKS3_PKT0_S9_ifPKiSB_iPKfiiiSD_SD_iiiii,"axG",@progbits,_ZN4vllm25paged_attention_v2_kernelIffLi64ELi16ELi128ELNS_18Fp8KVCacheDataTypeE0ELb1ELi512EEEvPfS2_PT_PKS3_PKT0_S9_ifPKiSB_iPKfiiiSD_SD_iiiii,comdat
.Lfunc_end28:
	.size	_ZN4vllm25paged_attention_v2_kernelIffLi64ELi16ELi128ELNS_18Fp8KVCacheDataTypeE0ELb1ELi512EEEvPfS2_PT_PKS3_PKT0_S9_ifPKiSB_iPKfiiiSD_SD_iiiii, .Lfunc_end28-_ZN4vllm25paged_attention_v2_kernelIffLi64ELi16ELi128ELNS_18Fp8KVCacheDataTypeE0ELb1ELi512EEEvPfS2_PT_PKS3_PKT0_S9_ifPKiSB_iPKfiiiSD_SD_iiiii
                                        ; -- End function
	.section	.AMDGPU.csdata,"",@progbits
; Kernel info:
; codeLenInByte = 6300
; NumSgprs: 50
; NumVgprs: 66
; ScratchSize: 0
; MemoryBound: 0
; FloatMode: 240
; IeeeMode: 1
; LDSByteSize: 288 bytes/workgroup (compile time only)
; SGPRBlocks: 6
; VGPRBlocks: 8
; NumSGPRsForWavesPerEU: 50
; NumVGPRsForWavesPerEU: 66
; Occupancy: 16
; WaveLimiterHint : 1
; COMPUTE_PGM_RSRC2:SCRATCH_EN: 0
; COMPUTE_PGM_RSRC2:USER_SGPR: 13
; COMPUTE_PGM_RSRC2:TRAP_HANDLER: 0
; COMPUTE_PGM_RSRC2:TGID_X_EN: 1
; COMPUTE_PGM_RSRC2:TGID_Y_EN: 1
; COMPUTE_PGM_RSRC2:TGID_Z_EN: 1
; COMPUTE_PGM_RSRC2:TIDIG_COMP_CNT: 0
	.section	.text._ZN4vllm25paged_attention_v2_kernelIffLi80ELi16ELi128ELNS_18Fp8KVCacheDataTypeE0ELb1ELi512EEEvPfS2_PT_PKS3_PKT0_S9_ifPKiSB_iPKfiiiSD_SD_iiiii,"axG",@progbits,_ZN4vllm25paged_attention_v2_kernelIffLi80ELi16ELi128ELNS_18Fp8KVCacheDataTypeE0ELb1ELi512EEEvPfS2_PT_PKS3_PKT0_S9_ifPKiSB_iPKfiiiSD_SD_iiiii,comdat
	.protected	_ZN4vllm25paged_attention_v2_kernelIffLi80ELi16ELi128ELNS_18Fp8KVCacheDataTypeE0ELb1ELi512EEEvPfS2_PT_PKS3_PKT0_S9_ifPKiSB_iPKfiiiSD_SD_iiiii ; -- Begin function _ZN4vllm25paged_attention_v2_kernelIffLi80ELi16ELi128ELNS_18Fp8KVCacheDataTypeE0ELb1ELi512EEEvPfS2_PT_PKS3_PKT0_S9_ifPKiSB_iPKfiiiSD_SD_iiiii
	.globl	_ZN4vllm25paged_attention_v2_kernelIffLi80ELi16ELi128ELNS_18Fp8KVCacheDataTypeE0ELb1ELi512EEEvPfS2_PT_PKS3_PKT0_S9_ifPKiSB_iPKfiiiSD_SD_iiiii
	.p2align	8
	.type	_ZN4vllm25paged_attention_v2_kernelIffLi80ELi16ELi128ELNS_18Fp8KVCacheDataTypeE0ELb1ELi512EEEvPfS2_PT_PKS3_PKT0_S9_ifPKiSB_iPKfiiiSD_SD_iiiii,@function
_ZN4vllm25paged_attention_v2_kernelIffLi80ELi16ELi128ELNS_18Fp8KVCacheDataTypeE0ELb1ELi512EEEvPfS2_PT_PKS3_PKT0_S9_ifPKiSB_iPKfiiiSD_SD_iiiii: ; @_ZN4vllm25paged_attention_v2_kernelIffLi80ELi16ELi128ELNS_18Fp8KVCacheDataTypeE0ELb1ELi512EEEvPfS2_PT_PKS3_PKT0_S9_ifPKiSB_iPKfiiiSD_SD_iiiii
; %bb.0:
	s_load_b64 s[2:3], s[0:1], 0x40
	s_mov_b32 s12, s15
	s_ashr_i32 s15, s14, 31
	s_delay_alu instid0(SALU_CYCLE_1)
	s_lshl_b64 s[4:5], s[14:15], 2
	s_waitcnt lgkmcnt(0)
	s_add_u32 s2, s2, s4
	s_addc_u32 s3, s3, s5
	s_lshl_b32 s38, s12, 9
	s_load_b32 s15, s[2:3], 0x0
	s_waitcnt lgkmcnt(0)
	s_cmp_ge_i32 s38, s15
	s_cbranch_scc1 .LBB29_94
; %bb.1:
	s_mov_b32 s24, s13
	s_clause 0x1
	s_load_b32 s13, s[0:1], 0x90
	s_load_b64 s[36:37], s[0:1], 0x30
	s_mov_b32 s40, 0
	s_waitcnt lgkmcnt(0)
	s_abs_i32 s5, s13
	s_abs_i32 s2, s36
	s_delay_alu instid0(SALU_CYCLE_1) | instskip(SKIP_1) | instid1(VALU_DEP_1)
	v_cvt_f32_u32_e32 v1, s2
	s_sub_i32 s4, 0, s2
	v_rcp_iflag_f32_e32 v1, v1
	s_waitcnt_depctr 0xfff
	v_mul_f32_e32 v1, 0x4f7ffffe, v1
	s_delay_alu instid0(VALU_DEP_1) | instskip(NEXT) | instid1(VALU_DEP_1)
	v_cvt_u32_f32_e32 v1, v1
	v_readfirstlane_b32 s3, v1
	s_delay_alu instid0(VALU_DEP_1) | instskip(NEXT) | instid1(SALU_CYCLE_1)
	s_mul_i32 s4, s4, s3
	s_mul_hi_u32 s4, s3, s4
	s_delay_alu instid0(SALU_CYCLE_1) | instskip(SKIP_4) | instid1(SALU_CYCLE_1)
	s_add_i32 s3, s3, s4
	s_xor_b32 s4, s13, s36
	s_mul_hi_u32 s3, s5, s3
	s_ashr_i32 s4, s4, 31
	s_mul_i32 s6, s3, s2
	s_sub_i32 s5, s5, s6
	s_add_i32 s6, s3, 1
	s_sub_i32 s7, s5, s2
	s_cmp_ge_u32 s5, s2
	s_cselect_b32 s3, s6, s3
	s_cselect_b32 s5, s7, s5
	s_add_i32 s6, s3, 1
	s_cmp_ge_u32 s5, s2
	s_cselect_b32 s2, s6, s3
	s_abs_i32 s17, s24
	s_xor_b32 s2, s2, s4
	s_delay_alu instid0(SALU_CYCLE_1) | instskip(SKIP_2) | instid1(SALU_CYCLE_1)
	s_sub_i32 s8, s2, s4
	s_load_b64 s[2:3], s[0:1], 0x50
	s_abs_i32 s16, s8
	v_cvt_f32_u32_e32 v1, s16
	s_sub_i32 s5, 0, s16
	s_delay_alu instid0(VALU_DEP_1) | instskip(SKIP_2) | instid1(VALU_DEP_1)
	v_rcp_iflag_f32_e32 v1, v1
	s_waitcnt_depctr 0xfff
	v_mul_f32_e32 v1, 0x4f7ffffe, v1
	v_cvt_u32_f32_e32 v1, v1
	s_delay_alu instid0(VALU_DEP_1) | instskip(NEXT) | instid1(VALU_DEP_1)
	v_readfirstlane_b32 s4, v1
	s_mul_i32 s5, s5, s4
	s_delay_alu instid0(SALU_CYCLE_1) | instskip(NEXT) | instid1(SALU_CYCLE_1)
	s_mul_hi_u32 s5, s4, s5
	s_add_i32 s4, s4, s5
	s_waitcnt lgkmcnt(0)
	s_cmp_eq_u64 s[2:3], 0
	s_mul_hi_u32 s18, s17, s4
	s_cbranch_scc1 .LBB29_3
; %bb.2:
	s_ashr_i32 s25, s24, 31
	s_delay_alu instid0(SALU_CYCLE_1) | instskip(NEXT) | instid1(SALU_CYCLE_1)
	s_lshl_b64 s[4:5], s[24:25], 2
	s_add_u32 s2, s2, s4
	s_addc_u32 s3, s3, s5
	s_load_b32 s40, s[2:3], 0x0
.LBB29_3:
	s_load_b128 s[4:7], s[0:1], 0x58
	v_and_b32_e32 v1, 1, v0
	v_lshlrev_b32_e32 v2, 3, v0
	v_lshlrev_b32_e32 v3, 2, v0
	s_ashr_i32 s2, s24, 31
	s_ashr_i32 s3, s8, 31
	s_mul_i32 s20, s24, 0x50
	s_waitcnt lgkmcnt(0)
	s_mov_b32 s7, exec_lo
	v_cmpx_gt_u32_e32 40, v0
	s_cbranch_execz .LBB29_5
; %bb.4:
	s_load_b64 s[8:9], s[0:1], 0x18
	s_mul_i32 s10, s14, s4
	v_and_b32_e32 v6, 0xff8, v3
	s_ashr_i32 s11, s10, 31
	s_delay_alu instid0(SALU_CYCLE_1) | instskip(NEXT) | instid1(VALU_DEP_1)
	s_lshl_b64 s[10:11], s[10:11], 2
	v_mad_u32_u24 v6, 0xa0, v1, v6
	s_waitcnt lgkmcnt(0)
	s_add_u32 s4, s8, s10
	s_addc_u32 s10, s9, s11
	s_ashr_i32 s21, s20, 31
	s_delay_alu instid0(SALU_CYCLE_1) | instskip(NEXT) | instid1(SALU_CYCLE_1)
	s_lshl_b64 s[8:9], s[20:21], 2
	s_add_u32 s8, s4, s8
	s_addc_u32 s9, s10, s9
	global_load_b64 v[4:5], v2, s[8:9]
	s_waitcnt vmcnt(0)
	ds_store_b64 v6, v[4:5]
.LBB29_5:
	s_or_b32 exec_lo, exec_lo, s7
	s_load_b128 s[8:11], s[0:1], 0x78
	s_mul_i32 s4, s18, s16
	s_xor_b32 s2, s2, s3
	s_sub_i32 s3, s17, s4
	s_add_i32 s4, s18, 1
	s_sub_i32 s7, s3, s16
	s_cmp_ge_u32 s3, s16
	s_mov_b32 s17, -1
	s_cselect_b32 s4, s4, s18
	s_cselect_b32 s3, s7, s3
	s_add_i32 s7, s4, 1
	s_cmp_ge_u32 s3, s16
	s_waitcnt lgkmcnt(0)
	s_cselect_b32 s3, s7, s4
	s_load_b32 s4, s[0:1], 0x88
	s_xor_b32 s3, s3, s2
	s_add_i32 s16, s15, -1
	s_sub_i32 s3, s3, s2
	s_abs_i32 s7, s16
	s_waitcnt lgkmcnt(0)
	s_barrier
	s_abs_i32 s21, s11
	buffer_gl0_inv
	v_cvt_f32_u32_e32 v4, s21
	s_sub_i32 s2, 0, s21
                                        ; implicit-def: $sgpr33
	s_delay_alu instid0(VALU_DEP_1) | instskip(SKIP_2) | instid1(VALU_DEP_1)
	v_rcp_iflag_f32_e32 v4, v4
	s_waitcnt_depctr 0xfff
	v_mul_f32_e32 v4, 0x4f7ffffe, v4
	v_cvt_u32_f32_e32 v4, v4
	s_delay_alu instid0(VALU_DEP_1) | instskip(NEXT) | instid1(VALU_DEP_1)
	v_readfirstlane_b32 s25, v4
	s_mul_i32 s2, s2, s25
	s_delay_alu instid0(SALU_CYCLE_1) | instskip(NEXT) | instid1(SALU_CYCLE_1)
	s_mul_hi_u32 s2, s25, s2
	s_add_i32 s25, s25, s2
	s_cmp_lt_i32 s4, 0
	s_mul_hi_u32 s2, s7, s25
	s_cbranch_scc0 .LBB29_7
; %bb.6:
	s_mul_i32 s17, s8, s36
	s_delay_alu instid0(SALU_CYCLE_1) | instskip(NEXT) | instid1(SALU_CYCLE_1)
	s_add_i32 s17, s3, s17
	s_mul_i32 s17, s17, s4
	s_delay_alu instid0(SALU_CYCLE_1)
	s_sub_i32 s33, 1, s17
	s_mov_b32 s17, 0
.LBB29_7:
	s_load_b64 s[26:27], s[0:1], 0x38
	s_ashr_i32 s28, s16, 31
	s_and_not1_b32 vcc_lo, exec_lo, s17
	s_ashr_i32 s11, s11, 31
	s_cbranch_vccnz .LBB29_9
; %bb.8:
	s_mul_i32 s8, s13, s8
	s_delay_alu instid0(SALU_CYCLE_1) | instskip(NEXT) | instid1(SALU_CYCLE_1)
	s_add_i32 s8, s8, s24
	s_mul_i32 s4, s8, s4
	s_delay_alu instid0(SALU_CYCLE_1)
	s_add_i32 s33, s4, 1
.LBB29_9:
	s_clause 0x4
	s_load_b32 s8, s[0:1], 0x48
	s_load_b64 s[30:31], s[0:1], 0x28
	s_load_b32 s4, s[0:1], 0x98
	s_load_b128 s[16:19], s[0:1], 0x0
	s_load_b64 s[22:23], s[0:1], 0x10
	s_xor_b32 s34, s28, s11
	s_mul_i32 s28, s2, s21
	s_add_i32 s35, s2, 1
	s_sub_i32 s7, s7, s28
	v_lshrrev_b32_e32 v48, 5, v0
	v_mov_b32_e32 v5, 0xff7fffff
	v_mbcnt_lo_u32_b32 v4, -1, 0
	s_delay_alu instid0(VALU_DEP_3)
	v_lshl_add_u32 v49, v48, 4, s38
	s_waitcnt lgkmcnt(0)
	s_mul_i32 s28, s14, s8
	s_sub_i32 s8, s7, s21
	s_ashr_i32 s29, s28, 31
	s_cmp_ge_u32 s7, s21
	s_cselect_b32 s2, s35, s2
	s_cselect_b32 s7, s8, s7
	s_add_i32 s8, s2, 1
	s_cmp_ge_u32 s7, s21
	s_cselect_b32 s2, s8, s2
	s_add_i32 s8, s15, 15
	s_lshl_b32 s7, s12, 5
	s_ashr_i32 s35, s8, 31
	v_or_b32_e32 v45, s7, v48
	s_lshr_b32 s35, s35, 28
	s_xor_b32 s39, s2, s34
	s_add_i32 s8, s8, s35
	s_add_i32 s35, s7, 32
	s_ashr_i32 s36, s8, 4
	v_ashrrev_i32_e32 v46, 31, v45
	s_min_i32 s8, s35, s36
	s_sub_i32 s39, s39, s34
	v_cmp_gt_i32_e64 s2, s8, v45
	s_mul_i32 s34, s3, s6
	s_delay_alu instid0(VALU_DEP_1)
	s_and_saveexec_b32 s6, s2
	s_cbranch_execz .LBB29_19
; %bb.10:
	s_load_b64 s[0:1], s[0:1], 0x20
	s_ashr_i32 s35, s34, 31
	v_bfe_u32 v6, v0, 1, 4
	s_lshl_b64 s[42:43], s[34:35], 2
	s_sub_i32 s35, s39, s9
	v_cmp_eq_u32_e32 vcc_lo, 0, v1
	v_mul_u32_u24_e32 v7, 0xa0, v1
	v_lshlrev_b32_e32 v11, 2, v6
	v_subrev_nc_u32_e32 v14, s15, v6
	v_lshlrev_b32_e32 v17, 4, v6
	v_lshl_add_u32 v8, v48, 4, s38
	v_mov_b32_e32 v9, 0xff7fffff
	v_lshl_or_b32 v15, v48, 6, v11
	v_add_nc_u32_e32 v11, 1, v14
	v_xor_b32_e32 v10, 1, v4
	s_waitcnt lgkmcnt(0)
	s_add_u32 s3, s0, s42
	s_addc_u32 s1, s1, s43
	s_abs_i32 s41, s10
	v_cmp_neq_f32_e64 s0, s40, 0
	v_cvt_f32_u32_e32 v5, s41
	s_sub_i32 s42, 0, s41
	s_delay_alu instid0(VALU_DEP_1)
	v_rcp_iflag_f32_e32 v5, v5
	v_and_b32_e32 v13, 8, v2
	v_lshlrev_b64 v[1:2], 2, v[45:46]
	s_waitcnt_depctr 0xfff
	v_mul_f32_e32 v12, 0x4f7ffffe, v5
	v_mov_b32_e32 v5, 0xff7fffff
	s_delay_alu instid0(VALU_DEP_2) | instskip(SKIP_2) | instid1(VALU_DEP_1)
	v_cvt_u32_f32_e32 v16, v12
	v_add_nc_u32_e32 v12, 0x160, v15
	v_add_co_u32 v15, s3, s3, v17
	v_add_co_ci_u32_e64 v17, null, s1, 0, s3
	s_delay_alu instid0(VALU_DEP_4) | instskip(SKIP_1) | instid1(SALU_CYCLE_1)
	v_mul_lo_u32 v14, s42, v16
	s_lshl_b64 s[42:43], s[28:29], 2
	s_add_u32 s1, s26, s42
	s_addc_u32 s3, s27, s43
	v_add_co_u32 v1, s1, s1, v1
	s_delay_alu instid0(VALU_DEP_1) | instskip(NEXT) | instid1(VALU_DEP_3)
	v_add_co_ci_u32_e64 v2, s1, s3, v2, s1
	v_mul_hi_u32 v18, v16, v14
	v_add_co_u32 v13, s1, v15, v13
	s_delay_alu instid0(VALU_DEP_1) | instskip(SKIP_2) | instid1(VALU_DEP_3)
	v_add_co_ci_u32_e64 v14, s1, 0, v17, s1
	s_mov_b32 s42, 0
	s_mov_b32 s43, s5
	v_dual_mov_b32 v16, v45 :: v_dual_add_nc_u32 v15, v16, v18
	s_branch .LBB29_13
.LBB29_11:                              ;   in Loop: Header=BB29_13 Depth=1
	s_or_b32 exec_lo, exec_lo, s44
.LBB29_12:                              ;   in Loop: Header=BB29_13 Depth=1
	s_delay_alu instid0(SALU_CYCLE_1) | instskip(SKIP_2) | instid1(VALU_DEP_1)
	s_or_b32 exec_lo, exec_lo, s3
	v_add_nc_u32_e32 v16, 4, v16
	v_add_co_u32 v1, s3, v1, 16
	v_add_co_ci_u32_e64 v2, s3, 0, v2, s3
	s_delay_alu instid0(VALU_DEP_3) | instskip(SKIP_2) | instid1(VALU_DEP_3)
	v_cmp_le_i32_e64 s1, s8, v16
	v_add_nc_u32_e32 v8, 64, v8
	v_add_nc_u32_e32 v12, 0x100, v12
	s_or_b32 s42, s1, s42
	s_delay_alu instid0(SALU_CYCLE_1)
	s_and_not1_b32 exec_lo, exec_lo, s42
	s_cbranch_execz .LBB29_18
.LBB29_13:                              ; =>This Inner Loop Header: Depth=1
	v_sub_nc_u32_e32 v17, 0, v8
	s_delay_alu instid0(VALU_DEP_1) | instskip(SKIP_1) | instid1(VALU_DEP_1)
	v_max_i32_e32 v17, v8, v17
	s_waitcnt lgkmcnt(0)
	v_mul_hi_u32 v18, v17, s25
	s_delay_alu instid0(VALU_DEP_1) | instskip(NEXT) | instid1(VALU_DEP_1)
	v_mul_lo_u32 v19, v18, s21
	v_sub_nc_u32_e32 v17, v17, v19
	v_add_nc_u32_e32 v19, 1, v18
	s_delay_alu instid0(VALU_DEP_2) | instskip(SKIP_1) | instid1(VALU_DEP_1)
	v_subrev_nc_u32_e32 v20, s21, v17
	v_cmp_le_u32_e64 s1, s21, v17
	v_cndmask_b32_e64 v18, v18, v19, s1
	s_delay_alu instid0(VALU_DEP_3) | instskip(SKIP_1) | instid1(VALU_DEP_3)
	v_cndmask_b32_e64 v17, v17, v20, s1
	v_ashrrev_i32_e32 v19, 31, v8
	v_add_nc_u32_e32 v20, 1, v18
	s_delay_alu instid0(VALU_DEP_3) | instskip(NEXT) | instid1(VALU_DEP_3)
	v_cmp_le_u32_e64 s1, s21, v17
	v_xor_b32_e32 v19, s11, v19
	s_delay_alu instid0(VALU_DEP_2) | instskip(NEXT) | instid1(VALU_DEP_1)
	v_cndmask_b32_e64 v17, v18, v20, s1
	v_xor_b32_e32 v17, v17, v19
	s_delay_alu instid0(VALU_DEP_1) | instskip(NEXT) | instid1(VALU_DEP_1)
	v_sub_nc_u32_e32 v17, v17, v19
	v_add_nc_u32_e32 v18, s33, v17
	v_cmp_ge_i32_e64 s3, s35, v17
	s_delay_alu instid0(VALU_DEP_2) | instskip(NEXT) | instid1(VALU_DEP_1)
	v_sub_nc_u32_e32 v19, 0, v18
	v_max_i32_e32 v19, v18, v19
	v_ashrrev_i32_e32 v18, 31, v18
	s_delay_alu instid0(VALU_DEP_2) | instskip(NEXT) | instid1(VALU_DEP_1)
	v_mul_hi_u32 v20, v19, v15
	v_mul_lo_u32 v20, v20, s41
	s_delay_alu instid0(VALU_DEP_1) | instskip(NEXT) | instid1(VALU_DEP_1)
	v_sub_nc_u32_e32 v19, v19, v20
	v_subrev_nc_u32_e32 v20, s41, v19
	v_cmp_le_u32_e64 s1, s41, v19
	s_delay_alu instid0(VALU_DEP_1) | instskip(NEXT) | instid1(VALU_DEP_1)
	v_cndmask_b32_e64 v19, v19, v20, s1
	v_subrev_nc_u32_e32 v20, s41, v19
	v_cmp_le_u32_e64 s1, s41, v19
	s_delay_alu instid0(VALU_DEP_1) | instskip(NEXT) | instid1(VALU_DEP_1)
	v_cndmask_b32_e64 v19, v19, v20, s1
	v_xor_b32_e32 v19, v19, v18
	s_delay_alu instid0(VALU_DEP_1) | instskip(NEXT) | instid1(VALU_DEP_1)
	v_sub_nc_u32_e32 v18, v19, v18
	v_cmp_ne_u32_e64 s1, 0, v18
	s_delay_alu instid0(VALU_DEP_1) | instskip(NEXT) | instid1(SALU_CYCLE_1)
	s_and_b32 s1, s1, s3
	s_and_b32 s44, vcc_lo, s1
	s_delay_alu instid0(SALU_CYCLE_1)
	s_and_saveexec_b32 s3, s44
	s_cbranch_execz .LBB29_15
; %bb.14:                               ;   in Loop: Header=BB29_13 Depth=1
	ds_store_b32 v12, v9
.LBB29_15:                              ;   in Loop: Header=BB29_13 Depth=1
	s_or_b32 exec_lo, exec_lo, s3
	s_xor_b32 s1, s1, -1
	s_delay_alu instid0(SALU_CYCLE_1)
	s_and_saveexec_b32 s3, s1
	s_cbranch_execz .LBB29_12
; %bb.16:                               ;   in Loop: Header=BB29_13 Depth=1
	global_load_b32 v19, v[1:2], off
	s_waitcnt vmcnt(0)
	v_mad_i64_i32 v[17:18], null, v19, s43, 0
	s_delay_alu instid0(VALU_DEP_1) | instskip(NEXT) | instid1(VALU_DEP_1)
	v_lshlrev_b64 v[17:18], 2, v[17:18]
	v_add_co_u32 v17, s1, v13, v17
	s_delay_alu instid0(VALU_DEP_1)
	v_add_co_ci_u32_e64 v18, s1, v14, v18, s1
	s_clause 0xf
	global_load_b64 v[28:29], v[17:18], off offset:256
	global_load_b64 v[30:31], v[17:18], off
	global_load_b64 v[32:33], v[17:18], off offset:512
	global_load_b64 v[34:35], v[17:18], off offset:768
	;; [unrolled: 1-line block ×14, first 2 shown]
	v_add_co_u32 v17, s1, 0x1000, v17
	s_delay_alu instid0(VALU_DEP_1)
	v_add_co_ci_u32_e64 v18, s1, 0, v18, s1
	v_cmp_gt_i32_e64 s1, 32, v10
	s_clause 0x3
	global_load_b64 v[66:67], v[17:18], off
	global_load_b64 v[68:69], v[17:18], off offset:256
	global_load_b64 v[70:71], v[17:18], off offset:512
	;; [unrolled: 1-line block ×3, first 2 shown]
	ds_load_b128 v[17:20], v7
	ds_load_b128 v[21:24], v7 offset:16
	s_waitcnt vmcnt(19) lgkmcnt(1)
	v_dual_mul_f32 v44, v19, v28 :: v_dual_mul_f32 v29, v20, v29
	ds_load_b128 v[25:28], v7 offset:32
	s_waitcnt vmcnt(18)
	v_dual_fmac_f32 v44, v17, v30 :: v_dual_fmac_f32 v29, v18, v31
	ds_load_b128 v[17:20], v7 offset:48
	s_waitcnt vmcnt(17) lgkmcnt(2)
	v_dual_fmac_f32 v44, v21, v32 :: v_dual_fmac_f32 v29, v22, v33
	s_waitcnt vmcnt(16)
	s_delay_alu instid0(VALU_DEP_1) | instskip(SKIP_4) | instid1(VALU_DEP_1)
	v_dual_fmac_f32 v44, v23, v34 :: v_dual_fmac_f32 v29, v24, v35
	ds_load_b128 v[21:24], v7 offset:64
	s_waitcnt vmcnt(15) lgkmcnt(2)
	v_dual_fmac_f32 v44, v25, v36 :: v_dual_fmac_f32 v29, v26, v37
	s_waitcnt vmcnt(14)
	v_dual_fmac_f32 v44, v27, v38 :: v_dual_fmac_f32 v29, v28, v39
	ds_load_b128 v[25:28], v7 offset:80
	s_waitcnt vmcnt(13) lgkmcnt(2)
	v_dual_fmac_f32 v44, v17, v40 :: v_dual_fmac_f32 v29, v18, v41
	s_waitcnt vmcnt(12)
	s_delay_alu instid0(VALU_DEP_1) | instskip(SKIP_4) | instid1(VALU_DEP_1)
	v_dual_fmac_f32 v44, v19, v42 :: v_dual_fmac_f32 v29, v20, v43
	ds_load_b128 v[17:20], v7 offset:96
	s_waitcnt vmcnt(11) lgkmcnt(2)
	v_dual_fmac_f32 v44, v21, v50 :: v_dual_fmac_f32 v29, v22, v51
	;; [unrolled: 11-line block ×3, first 2 shown]
	s_waitcnt vmcnt(6)
	v_dual_fmac_f32 v44, v19, v60 :: v_dual_fmac_f32 v29, v20, v61
	ds_load_b128 v[17:20], v7 offset:144
	s_waitcnt vmcnt(5) lgkmcnt(2)
	v_dual_fmac_f32 v44, v21, v62 :: v_dual_fmac_f32 v29, v22, v63
	s_waitcnt vmcnt(4)
	s_delay_alu instid0(VALU_DEP_1) | instskip(SKIP_1) | instid1(VALU_DEP_1)
	v_dual_fmac_f32 v44, v23, v64 :: v_dual_fmac_f32 v29, v24, v65
	s_waitcnt vmcnt(3) lgkmcnt(1)
	v_dual_fmac_f32 v44, v25, v66 :: v_dual_fmac_f32 v29, v26, v67
	s_waitcnt vmcnt(2)
	s_delay_alu instid0(VALU_DEP_1) | instskip(SKIP_1) | instid1(VALU_DEP_1)
	v_dual_fmac_f32 v44, v27, v68 :: v_dual_fmac_f32 v29, v28, v69
	s_waitcnt vmcnt(1) lgkmcnt(0)
	v_dual_fmac_f32 v44, v17, v70 :: v_dual_fmac_f32 v29, v18, v71
	v_cndmask_b32_e64 v17, v4, v10, s1
	s_waitcnt vmcnt(0)
	s_delay_alu instid0(VALU_DEP_2) | instskip(NEXT) | instid1(VALU_DEP_2)
	v_dual_fmac_f32 v44, v19, v72 :: v_dual_fmac_f32 v29, v20, v73
	v_lshlrev_b32_e32 v18, 2, v17
	s_delay_alu instid0(VALU_DEP_2)
	v_add_f32_e32 v17, v44, v29
	ds_bpermute_b32 v18, v18, v17
	s_and_saveexec_b32 s44, vcc_lo
	s_cbranch_execz .LBB29_11
; %bb.17:                               ;   in Loop: Header=BB29_13 Depth=1
	s_waitcnt lgkmcnt(0)
	v_add_f32_e32 v17, v17, v18
	v_add_nc_u32_e32 v19, v11, v8
	s_delay_alu instid0(VALU_DEP_1) | instskip(NEXT) | instid1(VALU_DEP_1)
	v_cvt_f32_i32_e32 v19, v19
	v_mul_f32_e32 v19, s40, v19
	s_delay_alu instid0(VALU_DEP_1) | instskip(SKIP_1) | instid1(VALU_DEP_2)
	v_cndmask_b32_e64 v18, 0, v19, s0
	v_max_f32_e32 v19, v5, v5
	v_dual_fmac_f32 v18, s37, v17 :: v_dual_add_nc_u32 v17, v6, v8
	s_delay_alu instid0(VALU_DEP_1) | instskip(NEXT) | instid1(VALU_DEP_2)
	v_max_f32_e32 v19, v19, v18
	v_cmp_gt_i32_e64 s1, s15, v17
	s_delay_alu instid0(VALU_DEP_1) | instskip(NEXT) | instid1(VALU_DEP_3)
	v_cndmask_b32_e64 v17, 0, v18, s1
	v_cndmask_b32_e64 v5, v5, v19, s1
	ds_store_b32 v12, v17
	s_branch .LBB29_11
.LBB29_18:
	s_or_b32 exec_lo, exec_lo, s42
.LBB29_19:
	s_delay_alu instid0(SALU_CYCLE_1) | instskip(SKIP_3) | instid1(VALU_DEP_3)
	s_or_b32 exec_lo, exec_lo, s6
	v_xor_b32_e32 v1, 16, v4
	v_xor_b32_e32 v6, 8, v4
	v_dual_max_f32 v7, v5, v5 :: v_dual_and_b32 v50, 31, v0
	v_cmp_gt_i32_e32 vcc_lo, 32, v1
	v_cndmask_b32_e32 v1, v4, v1, vcc_lo
	s_delay_alu instid0(VALU_DEP_4) | instskip(NEXT) | instid1(VALU_DEP_2)
	v_cmp_gt_i32_e32 vcc_lo, 32, v6
	v_lshlrev_b32_e32 v2, 2, v1
	ds_bpermute_b32 v1, v2, v5
	v_cndmask_b32_e32 v5, v4, v6, vcc_lo
	s_delay_alu instid0(VALU_DEP_1) | instskip(SKIP_2) | instid1(VALU_DEP_1)
	v_lshlrev_b32_e32 v5, 2, v5
	s_waitcnt lgkmcnt(0)
	v_max_f32_e32 v1, v1, v1
	v_max_f32_e32 v1, v7, v1
	v_xor_b32_e32 v7, 4, v4
	ds_bpermute_b32 v6, v5, v1
	v_cmp_gt_i32_e32 vcc_lo, 32, v7
	s_waitcnt lgkmcnt(0)
	v_dual_cndmask_b32 v7, v4, v7 :: v_dual_max_f32 v8, v6, v6
	s_delay_alu instid0(VALU_DEP_1)
	v_dual_max_f32 v1, v1, v8 :: v_dual_lshlrev_b32 v6, 2, v7
	v_xor_b32_e32 v8, 2, v4
	ds_bpermute_b32 v7, v6, v1
	v_cmp_gt_i32_e32 vcc_lo, 32, v8
	v_cndmask_b32_e32 v8, v4, v8, vcc_lo
	v_cmp_eq_u32_e32 vcc_lo, 0, v50
	s_delay_alu instid0(VALU_DEP_2) | instskip(SKIP_2) | instid1(VALU_DEP_1)
	v_lshlrev_b32_e32 v51, 2, v8
	s_waitcnt lgkmcnt(0)
	v_max_f32_e32 v7, v7, v7
	v_max_f32_e32 v1, v1, v7
	v_lshlrev_b32_e32 v7, 2, v48
	ds_bpermute_b32 v8, v51, v1
	s_and_saveexec_b32 s0, vcc_lo
	s_cbranch_execz .LBB29_21
; %bb.20:
	s_waitcnt lgkmcnt(0)
	v_dual_max_f32 v8, v8, v8 :: v_dual_max_f32 v1, v1, v1
	s_delay_alu instid0(VALU_DEP_1)
	v_max_f32_e32 v1, v1, v8
	ds_store_b32 v7, v1 offset:320
.LBB29_21:
	s_or_b32 exec_lo, exec_lo, s0
	v_cmp_gt_u32_e64 s0, 4, v50
	s_waitcnt lgkmcnt(0)
	v_dual_mov_b32 v1, 0xff7fffff :: v_dual_lshlrev_b32 v8, 2, v50
	s_barrier
	buffer_gl0_inv
	s_and_saveexec_b32 s1, s0
	s_cbranch_execz .LBB29_23
; %bb.22:
	ds_load_b32 v1, v8 offset:320
.LBB29_23:
	s_or_b32 exec_lo, exec_lo, s1
	s_waitcnt lgkmcnt(0)
	ds_bpermute_b32 v9, v51, v1
	v_xor_b32_e32 v10, 1, v4
	s_delay_alu instid0(VALU_DEP_1) | instskip(NEXT) | instid1(VALU_DEP_1)
	v_cmp_gt_i32_e64 s1, 32, v10
	v_cndmask_b32_e64 v4, v4, v10, s1
	v_max_f32_e32 v1, v1, v1
	s_sub_i32 s1, s8, s7
	s_delay_alu instid0(SALU_CYCLE_1) | instskip(NEXT) | instid1(VALU_DEP_2)
	s_lshl_b32 s1, s1, 4
	v_lshlrev_b32_e32 v52, 2, v4
	s_add_i32 s1, s1, s38
	s_delay_alu instid0(SALU_CYCLE_1) | instskip(SKIP_3) | instid1(SALU_CYCLE_1)
	s_min_i32 s1, s1, s15
	s_waitcnt lgkmcnt(0)
	v_max_f32_e32 v9, v9, v9
	s_sub_i32 s6, s1, s38
	v_cmp_gt_i32_e64 s1, s6, v0
	s_delay_alu instid0(VALU_DEP_2) | instskip(SKIP_4) | instid1(VALU_DEP_1)
	v_max_f32_e32 v1, v1, v9
	v_mov_b32_e32 v9, 0
	ds_bpermute_b32 v4, v52, v1
	s_waitcnt lgkmcnt(0)
	v_max_f32_e32 v4, v4, v4
	v_max_f32_e32 v1, v1, v4
	v_lshl_add_u32 v4, v0, 2, 0x160
	ds_bpermute_b32 v1, v9, v1
	s_and_saveexec_b32 s7, s1
	s_cbranch_execz .LBB29_27
; %bb.24:
	v_lshl_add_u32 v10, v0, 2, 0x160
	v_mov_b32_e32 v9, 0
	v_mov_b32_e32 v11, v0
	s_mov_b32 s35, 0
	.p2align	6
.LBB29_25:                              ; =>This Inner Loop Header: Depth=1
	ds_load_b32 v12, v10
	v_add_nc_u32_e32 v11, 0x80, v11
	s_delay_alu instid0(VALU_DEP_1) | instskip(NEXT) | instid1(VALU_DEP_1)
	v_cmp_le_i32_e64 s3, s6, v11
	s_or_b32 s35, s3, s35
	s_waitcnt lgkmcnt(0)
	v_sub_f32_e32 v12, v12, v1
	s_delay_alu instid0(VALU_DEP_1) | instskip(NEXT) | instid1(VALU_DEP_1)
	v_mul_f32_e32 v12, 0x3fb8aa3b, v12
	v_exp_f32_e32 v12, v12
	ds_store_b32 v10, v12
	v_dual_add_f32 v9, v9, v12 :: v_dual_add_nc_u32 v10, 0x200, v10
	s_and_not1_b32 exec_lo, exec_lo, s35
	s_cbranch_execnz .LBB29_25
; %bb.26:
	s_or_b32 exec_lo, exec_lo, s35
.LBB29_27:
	s_delay_alu instid0(SALU_CYCLE_1)
	s_or_b32 exec_lo, exec_lo, s7
	ds_bpermute_b32 v2, v2, v9
	s_waitcnt lgkmcnt(0)
	v_add_f32_e32 v2, v9, v2
	ds_bpermute_b32 v5, v5, v2
	s_waitcnt lgkmcnt(0)
	v_add_f32_e32 v2, v2, v5
	;; [unrolled: 3-line block ×5, first 2 shown]
	s_and_saveexec_b32 s3, vcc_lo
	s_cbranch_execz .LBB29_29
; %bb.28:
	ds_store_b32 v7, v2 offset:336
.LBB29_29:
	s_or_b32 exec_lo, exec_lo, s3
	s_waitcnt lgkmcnt(0)
	s_barrier
	buffer_gl0_inv
	s_and_saveexec_b32 s3, s0
	s_cbranch_execz .LBB29_31
; %bb.30:
	ds_load_b32 v2, v8 offset:336
.LBB29_31:
	s_or_b32 exec_lo, exec_lo, s3
	s_waitcnt lgkmcnt(0)
	ds_bpermute_b32 v5, v51, v2
	s_waitcnt lgkmcnt(0)
	v_add_f32_e32 v2, v2, v5
	ds_bpermute_b32 v5, v52, v2
	s_waitcnt lgkmcnt(0)
	v_dual_add_f32 v2, v2, v5 :: v_dual_mov_b32 v5, 0
	ds_bpermute_b32 v2, v5, v2
	s_and_saveexec_b32 s0, s1
	s_cbranch_execz .LBB29_34
; %bb.32:
	s_waitcnt lgkmcnt(0)
	v_add_f32_e32 v5, 0x358637bd, v2
	s_mov_b32 s1, 0
	s_delay_alu instid0(VALU_DEP_1) | instskip(SKIP_1) | instid1(VALU_DEP_2)
	v_div_scale_f32 v6, null, v5, v5, 1.0
	v_div_scale_f32 v9, vcc_lo, 1.0, v5, 1.0
	v_rcp_f32_e32 v7, v6
	s_waitcnt_depctr 0xfff
	v_fma_f32 v8, -v6, v7, 1.0
	s_delay_alu instid0(VALU_DEP_1) | instskip(NEXT) | instid1(VALU_DEP_1)
	v_fmac_f32_e32 v7, v8, v7
	v_mul_f32_e32 v8, v9, v7
	s_delay_alu instid0(VALU_DEP_1) | instskip(NEXT) | instid1(VALU_DEP_1)
	v_fma_f32 v10, -v6, v8, v9
	v_fmac_f32_e32 v8, v10, v7
	s_delay_alu instid0(VALU_DEP_1) | instskip(NEXT) | instid1(VALU_DEP_1)
	v_fma_f32 v6, -v6, v8, v9
	v_div_fmas_f32 v6, v6, v7, v8
	s_delay_alu instid0(VALU_DEP_1)
	v_div_fixup_f32 v5, v6, v5, 1.0
	v_mov_b32_e32 v6, v0
.LBB29_33:                              ; =>This Inner Loop Header: Depth=1
	ds_load_b32 v7, v4
	s_waitcnt lgkmcnt(0)
	v_dual_mul_f32 v7, v5, v7 :: v_dual_add_nc_u32 v6, 0x80, v6
	s_delay_alu instid0(VALU_DEP_1) | instskip(SKIP_3) | instid1(SALU_CYCLE_1)
	v_cmp_le_i32_e32 vcc_lo, s6, v6
	ds_store_b32 v4, v7
	v_add_nc_u32_e32 v4, 0x200, v4
	s_or_b32 s1, vcc_lo, s1
	s_and_not1_b32 exec_lo, exec_lo, s1
	s_cbranch_execnz .LBB29_33
.LBB29_34:
	s_or_b32 exec_lo, exec_lo, s0
	s_mul_i32 s0, s4, s14
	s_waitcnt lgkmcnt(0)
	s_mul_i32 s6, s0, s13
	s_mov_b32 s0, exec_lo
	s_barrier
	buffer_gl0_inv
	v_cmpx_eq_u32_e32 0, v0
	s_cbranch_execz .LBB29_36
; %bb.35:
	s_ashr_i32 s7, s6, 31
	s_mul_i32 s42, s4, s24
	s_lshl_b64 s[40:41], s[6:7], 2
	v_mov_b32_e32 v4, 0
	s_add_u32 s1, s18, s40
	s_addc_u32 s3, s19, s41
	s_ashr_i32 s43, s42, 31
	s_delay_alu instid0(SALU_CYCLE_1) | instskip(NEXT) | instid1(SALU_CYCLE_1)
	s_lshl_b64 s[18:19], s[42:43], 2
	s_add_u32 s1, s1, s18
	s_addc_u32 s3, s3, s19
	s_ashr_i32 s13, s12, 31
	s_delay_alu instid0(SALU_CYCLE_1) | instskip(NEXT) | instid1(SALU_CYCLE_1)
	s_lshl_b64 s[42:43], s[12:13], 2
	s_add_u32 s44, s1, s42
	s_addc_u32 s45, s3, s43
	s_add_u32 s1, s16, s40
	s_addc_u32 s3, s17, s41
	;; [unrolled: 2-line block ×4, first 2 shown]
	s_clause 0x1
	global_store_b32 v4, v1, s[44:45]
	global_store_b32 v4, v2, s[16:17]
.LBB29_36:
	s_or_b32 exec_lo, exec_lo, s0
	v_dual_mov_b32 v63, 0 :: v_dual_mov_b32 v62, 0
	v_dual_mov_b32 v60, 0 :: v_dual_and_b32 v53, 3, v0
	v_dual_mov_b32 v61, 0 :: v_dual_mov_b32 v58, 0
	v_dual_mov_b32 v59, 0 :: v_dual_mov_b32 v56, 0
	;; [unrolled: 1-line block ×3, first 2 shown]
	v_mov_b32_e32 v55, 0
	s_mov_b32 s3, 0
	s_and_saveexec_b32 s1, s2
	s_cbranch_execz .LBB29_62
; %bb.37:
	s_ashr_i32 s35, s34, 31
	s_sub_i32 s2, s39, s9
	s_lshl_b64 s[16:17], s[34:35], 2
	v_dual_mov_b32 v55, 0 :: v_dual_and_b32 v64, 12, v3
	s_add_u32 s7, s30, s16
	s_addc_u32 s9, s31, s17
	s_abs_i32 s10, s10
	v_dual_mov_b32 v54, 0 :: v_dual_and_b32 v3, 0x7c, v3
	v_cvt_f32_u32_e32 v1, s10
	s_sub_i32 s0, 0, s10
	v_dual_mov_b32 v56, 0 :: v_dual_lshlrev_b32 v5, 4, v53
	s_delay_alu instid0(VALU_DEP_3) | instskip(NEXT) | instid1(VALU_DEP_3)
	v_dual_mov_b32 v62, 0 :: v_dual_lshlrev_b32 v65, 2, v3
	v_rcp_iflag_f32_e32 v4, v1
	v_lshlrev_b64 v[1:2], 2, v[45:46]
	v_or_b32_e32 v7, 0x400, v3
	v_or_b32_e32 v8, 0x480, v3
	s_lshl_b64 s[16:17], s[28:29], 2
	s_add_i32 s36, s36, -1
	v_mov_b32_e32 v57, 0
	v_lshl_or_b32 v5, v48, 6, v5
	v_dual_mov_b32 v58, 0 :: v_dual_mov_b32 v59, 0
	s_delay_alu instid0(TRANS32_DEP_1) | instskip(SKIP_1) | instid1(VALU_DEP_4)
	v_mul_f32_e32 v4, 0x4f7ffffe, v4
	v_dual_mov_b32 v60, 0 :: v_dual_mov_b32 v61, 0
	v_dual_mov_b32 v63, 0 :: v_dual_add_nc_u32 v66, 0x160, v5
	s_delay_alu instid0(VALU_DEP_3) | instskip(SKIP_2) | instid1(VALU_DEP_3)
	v_cvt_u32_f32_e32 v4, v4
	v_lshlrev_b32_e32 v67, 2, v7
	v_lshlrev_b32_e32 v68, 2, v8
	v_mul_lo_u32 v6, s0, v4
	s_add_u32 s0, s26, s16
	s_addc_u32 s13, s27, s17
	v_add_co_u32 v46, vcc_lo, s0, v1
	v_add_co_ci_u32_e32 v47, vcc_lo, s13, v2, vcc_lo
	s_delay_alu instid0(VALU_DEP_3) | instskip(NEXT) | instid1(VALU_DEP_1)
	v_mul_hi_u32 v3, v4, v6
	v_add_nc_u32_e32 v69, v4, v3
	s_branch .LBB29_40
.LBB29_38:                              ;   in Loop: Header=BB29_40 Depth=1
	s_or_b32 exec_lo, exec_lo, s0
	s_waitcnt vmcnt(9) lgkmcnt(0)
	v_mul_f32_e32 v6, v2, v6
	s_waitcnt vmcnt(5)
	v_mul_f32_e32 v22, v2, v22
	s_waitcnt vmcnt(3)
	;; [unrolled: 2-line block ×3, first 2 shown]
	v_mul_f32_e32 v42, v2, v42
	v_mul_f32_e32 v14, v2, v14
	v_fmac_f32_e32 v6, v1, v5
	v_fmac_f32_e32 v22, v1, v21
	v_mul_f32_e32 v34, v2, v34
	v_mul_f32_e32 v26, v2, v26
	;; [unrolled: 1-line block ×3, first 2 shown]
	v_fmac_f32_e32 v6, v3, v7
	v_fmac_f32_e32 v22, v3, v23
	v_mul_f32_e32 v10, v2, v10
	s_waitcnt vmcnt(0)
	v_mul_f32_e32 v2, v2, v38
	v_fmac_f32_e32 v14, v1, v13
	v_fmac_f32_e32 v6, v4, v8
	;; [unrolled: 1-line block ×5, first 2 shown]
	s_delay_alu instid0(VALU_DEP_4) | instskip(NEXT) | instid1(VALU_DEP_4)
	v_dual_fmac_f32 v26, v1, v25 :: v_dual_add_f32 v63, v63, v6
	v_fmac_f32_e32 v30, v3, v31
	s_delay_alu instid0(VALU_DEP_4) | instskip(SKIP_2) | instid1(VALU_DEP_4)
	v_dual_add_f32 v59, v59, v22 :: v_dual_fmac_f32 v18, v1, v17
	v_fmac_f32_e32 v10, v1, v9
	v_fmac_f32_e32 v2, v1, v37
	;; [unrolled: 1-line block ×6, first 2 shown]
	s_delay_alu instid0(VALU_DEP_4) | instskip(NEXT) | instid1(VALU_DEP_4)
	v_dual_fmac_f32 v18, v3, v19 :: v_dual_add_f32 v57, v57, v30
	v_fmac_f32_e32 v42, v4, v44
	v_fmac_f32_e32 v34, v1, v33
	;; [unrolled: 1-line block ×4, first 2 shown]
	s_delay_alu instid0(VALU_DEP_4) | instskip(NEXT) | instid1(VALU_DEP_4)
	v_dual_fmac_f32 v14, v4, v16 :: v_dual_add_f32 v55, v55, v42
	v_fmac_f32_e32 v34, v3, v35
	v_fmac_f32_e32 v26, v4, v28
	s_delay_alu instid0(VALU_DEP_3) | instskip(SKIP_1) | instid1(VALU_DEP_4)
	v_dual_fmac_f32 v18, v4, v20 :: v_dual_add_f32 v61, v61, v14
	v_fmac_f32_e32 v10, v4, v12
	v_fmac_f32_e32 v34, v4, v36
	;; [unrolled: 1-line block ×3, first 2 shown]
	v_add_f32_e32 v58, v58, v26
	v_add_f32_e32 v60, v60, v18
	;; [unrolled: 1-line block ×5, first 2 shown]
.LBB29_39:                              ;   in Loop: Header=BB29_40 Depth=1
	s_or_b32 exec_lo, exec_lo, s13
	v_add_nc_u32_e32 v45, 4, v45
	v_add_co_u32 v46, s0, v46, 16
	s_delay_alu instid0(VALU_DEP_1) | instskip(NEXT) | instid1(VALU_DEP_3)
	v_add_co_ci_u32_e64 v47, s0, 0, v47, s0
	v_cmp_le_i32_e32 vcc_lo, s8, v45
	v_add_nc_u32_e32 v49, 64, v49
	v_add_nc_u32_e32 v66, 0x100, v66
	s_or_b32 s3, vcc_lo, s3
	s_delay_alu instid0(SALU_CYCLE_1)
	s_and_not1_b32 exec_lo, exec_lo, s3
	s_cbranch_execz .LBB29_61
.LBB29_40:                              ; =>This Inner Loop Header: Depth=1
	v_sub_nc_u32_e32 v1, 0, v49
	s_delay_alu instid0(VALU_DEP_1) | instskip(NEXT) | instid1(VALU_DEP_1)
	v_max_i32_e32 v1, v49, v1
	v_mul_hi_u32 v2, v1, s25
	s_delay_alu instid0(VALU_DEP_1) | instskip(NEXT) | instid1(VALU_DEP_1)
	v_mul_lo_u32 v3, v2, s21
	v_sub_nc_u32_e32 v1, v1, v3
	v_add_nc_u32_e32 v3, 1, v2
	s_delay_alu instid0(VALU_DEP_2) | instskip(SKIP_1) | instid1(VALU_DEP_2)
	v_subrev_nc_u32_e32 v4, s21, v1
	v_cmp_le_u32_e32 vcc_lo, s21, v1
	v_dual_cndmask_b32 v2, v2, v3 :: v_dual_cndmask_b32 v1, v1, v4
	v_ashrrev_i32_e32 v3, 31, v49
	s_delay_alu instid0(VALU_DEP_2) | instskip(NEXT) | instid1(VALU_DEP_3)
	v_add_nc_u32_e32 v4, 1, v2
	v_cmp_le_u32_e32 vcc_lo, s21, v1
	s_delay_alu instid0(VALU_DEP_3) | instskip(NEXT) | instid1(VALU_DEP_3)
	v_xor_b32_e32 v3, s11, v3
	v_cndmask_b32_e32 v1, v2, v4, vcc_lo
	s_delay_alu instid0(VALU_DEP_1) | instskip(NEXT) | instid1(VALU_DEP_1)
	v_xor_b32_e32 v1, v1, v3
	v_sub_nc_u32_e32 v1, v1, v3
	s_delay_alu instid0(VALU_DEP_1) | instskip(SKIP_1) | instid1(VALU_DEP_2)
	v_add_nc_u32_e32 v2, s33, v1
	v_cmp_lt_i32_e64 s0, s2, v1
	v_sub_nc_u32_e32 v3, 0, v2
	s_delay_alu instid0(VALU_DEP_1) | instskip(NEXT) | instid1(VALU_DEP_1)
	v_max_i32_e32 v3, v2, v3
	v_mul_hi_u32 v4, v3, v69
	s_delay_alu instid0(VALU_DEP_1) | instskip(NEXT) | instid1(VALU_DEP_1)
	v_mul_lo_u32 v4, v4, s10
	v_sub_nc_u32_e32 v3, v3, v4
	s_delay_alu instid0(VALU_DEP_1) | instskip(SKIP_1) | instid1(VALU_DEP_2)
	v_subrev_nc_u32_e32 v4, s10, v3
	v_cmp_le_u32_e32 vcc_lo, s10, v3
	v_cndmask_b32_e32 v3, v3, v4, vcc_lo
	v_ashrrev_i32_e32 v2, 31, v2
	s_delay_alu instid0(VALU_DEP_2) | instskip(SKIP_1) | instid1(VALU_DEP_2)
	v_subrev_nc_u32_e32 v4, s10, v3
	v_cmp_le_u32_e32 vcc_lo, s10, v3
	v_cndmask_b32_e32 v3, v3, v4, vcc_lo
	s_delay_alu instid0(VALU_DEP_1) | instskip(NEXT) | instid1(VALU_DEP_1)
	v_xor_b32_e32 v3, v3, v2
	v_sub_nc_u32_e32 v2, v3, v2
	s_delay_alu instid0(VALU_DEP_1) | instskip(SKIP_1) | instid1(SALU_CYCLE_1)
	v_cmp_eq_u32_e32 vcc_lo, 0, v2
	s_or_b32 s0, vcc_lo, s0
	s_and_saveexec_b32 s13, s0
	s_cbranch_execz .LBB29_39
; %bb.41:                               ;   in Loop: Header=BB29_40 Depth=1
	global_load_b32 v3, v[46:47], off
	v_add_nc_u32_e32 v70, v64, v49
	s_delay_alu instid0(VALU_DEP_1) | instskip(SKIP_4) | instid1(VALU_DEP_1)
	v_add_nc_u32_e32 v73, 1, v70
	v_add_nc_u32_e32 v72, 2, v70
	;; [unrolled: 1-line block ×3, first 2 shown]
	s_waitcnt vmcnt(0)
	v_mad_i64_i32 v[1:2], null, v3, s5, 0
	v_lshlrev_b64 v[1:2], 2, v[1:2]
	s_delay_alu instid0(VALU_DEP_1) | instskip(NEXT) | instid1(VALU_DEP_2)
	v_add_co_u32 v37, vcc_lo, s7, v1
	v_add_co_ci_u32_e32 v38, vcc_lo, s9, v2, vcc_lo
	ds_load_b128 v[1:4], v66
	v_add_co_u32 v33, vcc_lo, v37, v65
	v_add_co_ci_u32_e32 v34, vcc_lo, 0, v38, vcc_lo
	v_cmp_eq_u32_e32 vcc_lo, s36, v45
	global_load_b128 v[5:8], v[33:34], off
	s_and_saveexec_b32 s14, vcc_lo
	s_cbranch_execnz .LBB29_54
; %bb.42:                               ;   in Loop: Header=BB29_40 Depth=1
	s_or_b32 exec_lo, exec_lo, s14
	global_load_b128 v[9:12], v[33:34], off offset:512
	s_and_saveexec_b32 s14, vcc_lo
	s_cbranch_execnz .LBB29_55
.LBB29_43:                              ;   in Loop: Header=BB29_40 Depth=1
	s_or_b32 exec_lo, exec_lo, s14
	global_load_b128 v[13:16], v[33:34], off offset:1024
	s_and_saveexec_b32 s14, vcc_lo
	s_cbranch_execnz .LBB29_56
.LBB29_44:                              ;   in Loop: Header=BB29_40 Depth=1
	s_or_b32 exec_lo, exec_lo, s14
	global_load_b128 v[17:20], v[33:34], off offset:1536
	s_and_saveexec_b32 s14, vcc_lo
	s_cbranch_execnz .LBB29_57
.LBB29_45:                              ;   in Loop: Header=BB29_40 Depth=1
	s_or_b32 exec_lo, exec_lo, s14
	global_load_b128 v[21:24], v[33:34], off offset:2048
	s_and_saveexec_b32 s14, vcc_lo
	s_cbranch_execnz .LBB29_58
.LBB29_46:                              ;   in Loop: Header=BB29_40 Depth=1
	s_or_b32 exec_lo, exec_lo, s14
	global_load_b128 v[25:28], v[33:34], off offset:2560
	s_and_saveexec_b32 s14, vcc_lo
	s_cbranch_execnz .LBB29_59
.LBB29_47:                              ;   in Loop: Header=BB29_40 Depth=1
	s_or_b32 exec_lo, exec_lo, s14
	global_load_b128 v[29:32], v[33:34], off offset:3072
	s_and_saveexec_b32 s14, vcc_lo
	s_cbranch_execnz .LBB29_60
.LBB29_48:                              ;   in Loop: Header=BB29_40 Depth=1
	s_or_b32 exec_lo, exec_lo, s14
	global_load_b128 v[33:36], v[33:34], off offset:3584
	s_and_saveexec_b32 s14, vcc_lo
	s_cbranch_execz .LBB29_50
.LBB29_49:                              ;   in Loop: Header=BB29_40 Depth=1
	v_cmp_gt_i32_e64 s0, s15, v70
	s_waitcnt vmcnt(0)
	s_delay_alu instid0(VALU_DEP_1) | instskip(SKIP_1) | instid1(VALU_DEP_1)
	v_cndmask_b32_e64 v33, 0, v33, s0
	v_cmp_gt_i32_e64 s0, s15, v73
	v_cndmask_b32_e64 v34, 0, v34, s0
	v_cmp_gt_i32_e64 s0, s15, v72
	s_delay_alu instid0(VALU_DEP_1) | instskip(SKIP_1) | instid1(VALU_DEP_1)
	v_cndmask_b32_e64 v35, 0, v35, s0
	v_cmp_gt_i32_e64 s0, s15, v71
	v_cndmask_b32_e64 v36, 0, v36, s0
.LBB29_50:                              ;   in Loop: Header=BB29_40 Depth=1
	s_or_b32 exec_lo, exec_lo, s14
	v_add_co_u32 v39, s0, v37, v67
	s_delay_alu instid0(VALU_DEP_1)
	v_add_co_ci_u32_e64 v40, s0, 0, v38, s0
	global_load_b128 v[41:44], v[39:40], off
	s_and_saveexec_b32 s14, vcc_lo
	s_cbranch_execz .LBB29_52
; %bb.51:                               ;   in Loop: Header=BB29_40 Depth=1
	v_cmp_gt_i32_e64 s0, s15, v70
	s_waitcnt vmcnt(0)
	s_delay_alu instid0(VALU_DEP_1) | instskip(SKIP_1) | instid1(VALU_DEP_1)
	v_cndmask_b32_e64 v41, 0, v41, s0
	v_cmp_gt_i32_e64 s0, s15, v73
	v_cndmask_b32_e64 v42, 0, v42, s0
	v_cmp_gt_i32_e64 s0, s15, v72
	s_delay_alu instid0(VALU_DEP_1) | instskip(SKIP_1) | instid1(VALU_DEP_1)
	v_cndmask_b32_e64 v43, 0, v43, s0
	v_cmp_gt_i32_e64 s0, s15, v71
	v_cndmask_b32_e64 v44, 0, v44, s0
.LBB29_52:                              ;   in Loop: Header=BB29_40 Depth=1
	s_or_b32 exec_lo, exec_lo, s14
	v_add_co_u32 v37, s0, v37, v68
	s_delay_alu instid0(VALU_DEP_1)
	v_add_co_ci_u32_e64 v38, s0, 0, v38, s0
	global_load_b128 v[37:40], v[37:38], off
	s_and_saveexec_b32 s0, vcc_lo
	s_cbranch_execz .LBB29_38
; %bb.53:                               ;   in Loop: Header=BB29_40 Depth=1
	v_cmp_gt_i32_e32 vcc_lo, s15, v70
	s_waitcnt vmcnt(0)
	v_cndmask_b32_e32 v37, 0, v37, vcc_lo
	v_cmp_gt_i32_e32 vcc_lo, s15, v73
	v_cndmask_b32_e32 v38, 0, v38, vcc_lo
	v_cmp_gt_i32_e32 vcc_lo, s15, v72
	;; [unrolled: 2-line block ×3, first 2 shown]
	v_cndmask_b32_e32 v40, 0, v40, vcc_lo
	s_branch .LBB29_38
.LBB29_54:                              ;   in Loop: Header=BB29_40 Depth=1
	v_cmp_gt_i32_e64 s0, s15, v70
	s_waitcnt vmcnt(0)
	s_delay_alu instid0(VALU_DEP_1) | instskip(SKIP_1) | instid1(VALU_DEP_1)
	v_cndmask_b32_e64 v5, 0, v5, s0
	v_cmp_gt_i32_e64 s0, s15, v73
	v_cndmask_b32_e64 v6, 0, v6, s0
	v_cmp_gt_i32_e64 s0, s15, v72
	s_delay_alu instid0(VALU_DEP_1) | instskip(SKIP_1) | instid1(VALU_DEP_1)
	v_cndmask_b32_e64 v7, 0, v7, s0
	v_cmp_gt_i32_e64 s0, s15, v71
	v_cndmask_b32_e64 v8, 0, v8, s0
	s_or_b32 exec_lo, exec_lo, s14
	global_load_b128 v[9:12], v[33:34], off offset:512
	s_and_saveexec_b32 s14, vcc_lo
	s_cbranch_execz .LBB29_43
.LBB29_55:                              ;   in Loop: Header=BB29_40 Depth=1
	v_cmp_gt_i32_e64 s0, s15, v70
	s_waitcnt vmcnt(0)
	s_delay_alu instid0(VALU_DEP_1) | instskip(SKIP_1) | instid1(VALU_DEP_1)
	v_cndmask_b32_e64 v9, 0, v9, s0
	v_cmp_gt_i32_e64 s0, s15, v73
	v_cndmask_b32_e64 v10, 0, v10, s0
	v_cmp_gt_i32_e64 s0, s15, v72
	s_delay_alu instid0(VALU_DEP_1) | instskip(SKIP_1) | instid1(VALU_DEP_1)
	v_cndmask_b32_e64 v11, 0, v11, s0
	v_cmp_gt_i32_e64 s0, s15, v71
	v_cndmask_b32_e64 v12, 0, v12, s0
	s_or_b32 exec_lo, exec_lo, s14
	global_load_b128 v[13:16], v[33:34], off offset:1024
	s_and_saveexec_b32 s14, vcc_lo
	s_cbranch_execz .LBB29_44
.LBB29_56:                              ;   in Loop: Header=BB29_40 Depth=1
	v_cmp_gt_i32_e64 s0, s15, v70
	s_waitcnt vmcnt(0)
	s_delay_alu instid0(VALU_DEP_1) | instskip(SKIP_1) | instid1(VALU_DEP_1)
	v_cndmask_b32_e64 v13, 0, v13, s0
	v_cmp_gt_i32_e64 s0, s15, v73
	v_cndmask_b32_e64 v14, 0, v14, s0
	v_cmp_gt_i32_e64 s0, s15, v72
	s_delay_alu instid0(VALU_DEP_1) | instskip(SKIP_1) | instid1(VALU_DEP_1)
	v_cndmask_b32_e64 v15, 0, v15, s0
	v_cmp_gt_i32_e64 s0, s15, v71
	v_cndmask_b32_e64 v16, 0, v16, s0
	s_or_b32 exec_lo, exec_lo, s14
	global_load_b128 v[17:20], v[33:34], off offset:1536
	s_and_saveexec_b32 s14, vcc_lo
	s_cbranch_execz .LBB29_45
.LBB29_57:                              ;   in Loop: Header=BB29_40 Depth=1
	v_cmp_gt_i32_e64 s0, s15, v70
	s_waitcnt vmcnt(0)
	s_delay_alu instid0(VALU_DEP_1) | instskip(SKIP_1) | instid1(VALU_DEP_1)
	v_cndmask_b32_e64 v17, 0, v17, s0
	v_cmp_gt_i32_e64 s0, s15, v73
	v_cndmask_b32_e64 v18, 0, v18, s0
	v_cmp_gt_i32_e64 s0, s15, v72
	s_delay_alu instid0(VALU_DEP_1) | instskip(SKIP_1) | instid1(VALU_DEP_1)
	v_cndmask_b32_e64 v19, 0, v19, s0
	v_cmp_gt_i32_e64 s0, s15, v71
	v_cndmask_b32_e64 v20, 0, v20, s0
	s_or_b32 exec_lo, exec_lo, s14
	global_load_b128 v[21:24], v[33:34], off offset:2048
	s_and_saveexec_b32 s14, vcc_lo
	s_cbranch_execz .LBB29_46
.LBB29_58:                              ;   in Loop: Header=BB29_40 Depth=1
	v_cmp_gt_i32_e64 s0, s15, v70
	s_waitcnt vmcnt(0)
	s_delay_alu instid0(VALU_DEP_1) | instskip(SKIP_1) | instid1(VALU_DEP_1)
	v_cndmask_b32_e64 v21, 0, v21, s0
	v_cmp_gt_i32_e64 s0, s15, v73
	v_cndmask_b32_e64 v22, 0, v22, s0
	v_cmp_gt_i32_e64 s0, s15, v72
	s_delay_alu instid0(VALU_DEP_1) | instskip(SKIP_1) | instid1(VALU_DEP_1)
	v_cndmask_b32_e64 v23, 0, v23, s0
	v_cmp_gt_i32_e64 s0, s15, v71
	v_cndmask_b32_e64 v24, 0, v24, s0
	s_or_b32 exec_lo, exec_lo, s14
	global_load_b128 v[25:28], v[33:34], off offset:2560
	s_and_saveexec_b32 s14, vcc_lo
	s_cbranch_execz .LBB29_47
.LBB29_59:                              ;   in Loop: Header=BB29_40 Depth=1
	v_cmp_gt_i32_e64 s0, s15, v70
	s_waitcnt vmcnt(0)
	s_delay_alu instid0(VALU_DEP_1) | instskip(SKIP_1) | instid1(VALU_DEP_1)
	v_cndmask_b32_e64 v25, 0, v25, s0
	v_cmp_gt_i32_e64 s0, s15, v73
	v_cndmask_b32_e64 v26, 0, v26, s0
	v_cmp_gt_i32_e64 s0, s15, v72
	s_delay_alu instid0(VALU_DEP_1) | instskip(SKIP_1) | instid1(VALU_DEP_1)
	v_cndmask_b32_e64 v27, 0, v27, s0
	v_cmp_gt_i32_e64 s0, s15, v71
	v_cndmask_b32_e64 v28, 0, v28, s0
	s_or_b32 exec_lo, exec_lo, s14
	global_load_b128 v[29:32], v[33:34], off offset:3072
	s_and_saveexec_b32 s14, vcc_lo
	s_cbranch_execz .LBB29_48
.LBB29_60:                              ;   in Loop: Header=BB29_40 Depth=1
	v_cmp_gt_i32_e64 s0, s15, v70
	s_waitcnt vmcnt(0)
	s_delay_alu instid0(VALU_DEP_1) | instskip(SKIP_1) | instid1(VALU_DEP_1)
	v_cndmask_b32_e64 v29, 0, v29, s0
	v_cmp_gt_i32_e64 s0, s15, v73
	v_cndmask_b32_e64 v30, 0, v30, s0
	v_cmp_gt_i32_e64 s0, s15, v72
	s_delay_alu instid0(VALU_DEP_1) | instskip(SKIP_1) | instid1(VALU_DEP_1)
	v_cndmask_b32_e64 v31, 0, v31, s0
	v_cmp_gt_i32_e64 s0, s15, v71
	v_cndmask_b32_e64 v32, 0, v32, s0
	s_or_b32 exec_lo, exec_lo, s14
	global_load_b128 v[33:36], v[33:34], off offset:3584
	s_and_saveexec_b32 s14, vcc_lo
	s_cbranch_execnz .LBB29_49
	s_branch .LBB29_50
.LBB29_61:
	s_or_b32 exec_lo, exec_lo, s3
.LBB29_62:
	s_delay_alu instid0(SALU_CYCLE_1)
	s_or_b32 exec_lo, exec_lo, s1
	ds_bpermute_b32 v1, v51, v63
	ds_bpermute_b32 v2, v51, v62
	;; [unrolled: 1-line block ×10, first 2 shown]
	v_lshrrev_b32_e32 v11, 2, v50
	s_movk_i32 s0, 0x140
	s_waitcnt lgkmcnt(0)
	s_waitcnt_vscnt null, 0x0
	v_mad_u32_u24 v12, v48, s0, 0x160
	s_mov_b32 s0, exec_lo
	s_barrier
	buffer_gl0_inv
	v_dual_add_f32 v1, v63, v1 :: v_dual_add_f32 v2, v62, v2
	v_dual_add_f32 v3, v61, v3 :: v_dual_add_f32 v4, v60, v4
	v_dual_add_f32 v5, v59, v5 :: v_dual_add_f32 v6, v58, v6
	v_dual_add_f32 v7, v57, v7 :: v_dual_add_f32 v8, v56, v8
	v_dual_add_f32 v9, v55, v9 :: v_dual_add_f32 v10, v54, v10
	ds_bpermute_b32 v13, v52, v1
	ds_bpermute_b32 v14, v52, v2
	;; [unrolled: 1-line block ×10, first 2 shown]
	v_and_b32_e32 v23, 0x3c3, v0
	s_waitcnt lgkmcnt(8)
	v_dual_add_f32 v1, v1, v13 :: v_dual_add_f32 v2, v2, v14
	s_waitcnt lgkmcnt(6)
	v_dual_add_f32 v3, v3, v15 :: v_dual_add_f32 v4, v4, v16
	;; [unrolled: 2-line block ×5, first 2 shown]
	v_lshlrev_b32_e32 v13, 2, v11
	v_cmpx_eq_u32_e32 64, v23
	s_cbranch_execz .LBB29_64
; %bb.63:
	s_delay_alu instid0(VALU_DEP_2)
	v_add3_u32 v14, v12, v13, 0xfffffd80
	ds_store_2addr_b32 v14, v1, v2 offset1:8
	ds_store_2addr_b32 v14, v3, v4 offset0:16 offset1:24
	ds_store_2addr_b32 v14, v5, v6 offset0:32 offset1:40
	;; [unrolled: 1-line block ×4, first 2 shown]
.LBB29_64:
	s_or_b32 exec_lo, exec_lo, s0
	v_cmp_eq_u32_e32 vcc_lo, 0, v53
	s_mov_b32 s1, exec_lo
	s_waitcnt lgkmcnt(0)
	s_barrier
	buffer_gl0_inv
	v_cmpx_gt_u32_e32 64, v0
	s_cbranch_execz .LBB29_77
; %bb.65:
	s_and_saveexec_b32 s0, vcc_lo
	s_cbranch_execnz .LBB29_95
; %bb.66:
	s_or_b32 exec_lo, exec_lo, s0
	s_and_saveexec_b32 s0, vcc_lo
	s_cbranch_execnz .LBB29_96
.LBB29_67:
	s_or_b32 exec_lo, exec_lo, s0
	s_and_saveexec_b32 s0, vcc_lo
	s_cbranch_execnz .LBB29_97
.LBB29_68:
	s_or_b32 exec_lo, exec_lo, s0
	s_and_saveexec_b32 s0, vcc_lo
	s_cbranch_execnz .LBB29_98
.LBB29_69:
	s_or_b32 exec_lo, exec_lo, s0
	s_and_saveexec_b32 s0, vcc_lo
	s_cbranch_execnz .LBB29_99
.LBB29_70:
	s_or_b32 exec_lo, exec_lo, s0
	s_and_saveexec_b32 s0, vcc_lo
	s_cbranch_execnz .LBB29_100
.LBB29_71:
	s_or_b32 exec_lo, exec_lo, s0
	s_and_saveexec_b32 s0, vcc_lo
	s_cbranch_execnz .LBB29_101
.LBB29_72:
	s_or_b32 exec_lo, exec_lo, s0
	s_and_saveexec_b32 s0, vcc_lo
	s_cbranch_execnz .LBB29_102
.LBB29_73:
	s_or_b32 exec_lo, exec_lo, s0
	s_and_saveexec_b32 s0, vcc_lo
	s_cbranch_execnz .LBB29_103
.LBB29_74:
	s_or_b32 exec_lo, exec_lo, s0
	s_and_saveexec_b32 s0, vcc_lo
	s_cbranch_execz .LBB29_76
.LBB29_75:
	v_lshl_add_u32 v14, v11, 2, v12
	ds_load_b32 v14, v14 offset:288
	s_waitcnt lgkmcnt(0)
	v_add_f32_e32 v10, v10, v14
.LBB29_76:
	s_or_b32 exec_lo, exec_lo, s0
.LBB29_77:
	s_delay_alu instid0(SALU_CYCLE_1)
	s_or_b32 exec_lo, exec_lo, s1
	v_and_b32_e32 v14, 0x3e3, v0
	s_mov_b32 s1, exec_lo
	s_barrier
	buffer_gl0_inv
	v_cmpx_eq_u32_e32 32, v14
	s_cbranch_execz .LBB29_79
; %bb.78:
	v_add3_u32 v13, v12, v13, 0xfffffec0
	ds_store_2addr_b32 v13, v1, v2 offset1:8
	ds_store_2addr_b32 v13, v3, v4 offset0:16 offset1:24
	ds_store_2addr_b32 v13, v5, v6 offset0:32 offset1:40
	;; [unrolled: 1-line block ×4, first 2 shown]
.LBB29_79:
	s_or_b32 exec_lo, exec_lo, s1
	s_delay_alu instid0(SALU_CYCLE_1)
	s_mov_b32 s1, exec_lo
	s_waitcnt lgkmcnt(0)
	s_barrier
	buffer_gl0_inv
	v_cmpx_gt_u32_e32 32, v0
	s_cbranch_execz .LBB29_92
; %bb.80:
	v_lshl_add_u32 v11, v11, 2, v12
	s_and_saveexec_b32 s0, vcc_lo
	s_cbranch_execnz .LBB29_104
; %bb.81:
	s_or_b32 exec_lo, exec_lo, s0
	s_and_saveexec_b32 s0, vcc_lo
	s_cbranch_execnz .LBB29_105
.LBB29_82:
	s_or_b32 exec_lo, exec_lo, s0
	s_and_saveexec_b32 s0, vcc_lo
	s_cbranch_execnz .LBB29_106
.LBB29_83:
	s_or_b32 exec_lo, exec_lo, s0
	s_and_saveexec_b32 s0, vcc_lo
	s_cbranch_execnz .LBB29_107
.LBB29_84:
	s_or_b32 exec_lo, exec_lo, s0
	s_and_saveexec_b32 s0, vcc_lo
	s_cbranch_execnz .LBB29_108
.LBB29_85:
	s_or_b32 exec_lo, exec_lo, s0
	s_and_saveexec_b32 s0, vcc_lo
	s_cbranch_execnz .LBB29_109
.LBB29_86:
	s_or_b32 exec_lo, exec_lo, s0
	s_and_saveexec_b32 s0, vcc_lo
	s_cbranch_execnz .LBB29_110
.LBB29_87:
	s_or_b32 exec_lo, exec_lo, s0
	s_and_saveexec_b32 s0, vcc_lo
	s_cbranch_execnz .LBB29_111
.LBB29_88:
	s_or_b32 exec_lo, exec_lo, s0
	s_and_saveexec_b32 s0, vcc_lo
	s_cbranch_execnz .LBB29_112
.LBB29_89:
	s_or_b32 exec_lo, exec_lo, s0
	s_and_saveexec_b32 s0, vcc_lo
	s_cbranch_execz .LBB29_91
.LBB29_90:
	ds_load_b32 v11, v11 offset:288
	s_waitcnt lgkmcnt(0)
	v_add_f32_e32 v10, v10, v11
.LBB29_91:
	s_or_b32 exec_lo, exec_lo, s0
.LBB29_92:
	s_delay_alu instid0(SALU_CYCLE_1)
	s_or_b32 exec_lo, exec_lo, s1
	s_barrier
	buffer_gl0_inv
	s_mov_b32 s0, exec_lo
	v_cmpx_eq_u32_e32 0, v14
	s_cbranch_execz .LBB29_94
; %bb.93:
	s_mul_i32 s0, s6, 0x50
	s_mul_i32 s2, s4, s20
	s_ashr_i32 s1, s0, 31
	s_delay_alu instid0(SALU_CYCLE_1) | instskip(NEXT) | instid1(SALU_CYCLE_1)
	s_lshl_b64 s[0:1], s[0:1], 2
	s_add_u32 s4, s22, s0
	s_addc_u32 s5, s23, s1
	s_ashr_i32 s3, s2, 31
	s_delay_alu instid0(SALU_CYCLE_1) | instskip(SKIP_4) | instid1(SALU_CYCLE_1)
	s_lshl_b64 s[0:1], s[2:3], 2
	s_mul_i32 s2, s12, 0x50
	s_add_u32 s4, s4, s0
	s_addc_u32 s5, s5, s1
	s_ashr_i32 s3, s2, 31
	s_lshl_b64 s[0:1], s[2:3], 2
	s_delay_alu instid0(SALU_CYCLE_1)
	s_add_u32 s0, s4, s0
	s_addc_u32 s1, s5, s1
	s_clause 0x9
	global_store_b32 v0, v1, s[0:1]
	global_store_b32 v0, v2, s[0:1] offset:32
	global_store_b32 v0, v3, s[0:1] offset:64
	;; [unrolled: 1-line block ×9, first 2 shown]
.LBB29_94:
	s_nop 0
	s_sendmsg sendmsg(MSG_DEALLOC_VGPRS)
	s_endpgm
.LBB29_95:
	v_lshl_add_u32 v14, v11, 2, v12
	ds_load_b32 v14, v14
	s_waitcnt lgkmcnt(0)
	v_add_f32_e32 v1, v1, v14
	s_or_b32 exec_lo, exec_lo, s0
	s_and_saveexec_b32 s0, vcc_lo
	s_cbranch_execz .LBB29_67
.LBB29_96:
	v_lshl_add_u32 v14, v11, 2, v12
	ds_load_b32 v14, v14 offset:32
	s_waitcnt lgkmcnt(0)
	v_add_f32_e32 v2, v2, v14
	s_or_b32 exec_lo, exec_lo, s0
	s_and_saveexec_b32 s0, vcc_lo
	s_cbranch_execz .LBB29_68
.LBB29_97:
	v_lshl_add_u32 v14, v11, 2, v12
	ds_load_b32 v14, v14 offset:64
	s_waitcnt lgkmcnt(0)
	v_add_f32_e32 v3, v3, v14
	s_or_b32 exec_lo, exec_lo, s0
	s_and_saveexec_b32 s0, vcc_lo
	s_cbranch_execz .LBB29_69
.LBB29_98:
	v_lshl_add_u32 v14, v11, 2, v12
	ds_load_b32 v14, v14 offset:96
	s_waitcnt lgkmcnt(0)
	v_add_f32_e32 v4, v4, v14
	s_or_b32 exec_lo, exec_lo, s0
	s_and_saveexec_b32 s0, vcc_lo
	s_cbranch_execz .LBB29_70
.LBB29_99:
	v_lshl_add_u32 v14, v11, 2, v12
	ds_load_b32 v14, v14 offset:128
	s_waitcnt lgkmcnt(0)
	v_add_f32_e32 v5, v5, v14
	s_or_b32 exec_lo, exec_lo, s0
	s_and_saveexec_b32 s0, vcc_lo
	s_cbranch_execz .LBB29_71
.LBB29_100:
	v_lshl_add_u32 v14, v11, 2, v12
	ds_load_b32 v14, v14 offset:160
	s_waitcnt lgkmcnt(0)
	v_add_f32_e32 v6, v6, v14
	s_or_b32 exec_lo, exec_lo, s0
	s_and_saveexec_b32 s0, vcc_lo
	s_cbranch_execz .LBB29_72
.LBB29_101:
	v_lshl_add_u32 v14, v11, 2, v12
	ds_load_b32 v14, v14 offset:192
	s_waitcnt lgkmcnt(0)
	v_add_f32_e32 v7, v7, v14
	s_or_b32 exec_lo, exec_lo, s0
	s_and_saveexec_b32 s0, vcc_lo
	s_cbranch_execz .LBB29_73
.LBB29_102:
	v_lshl_add_u32 v14, v11, 2, v12
	ds_load_b32 v14, v14 offset:224
	s_waitcnt lgkmcnt(0)
	v_add_f32_e32 v8, v8, v14
	s_or_b32 exec_lo, exec_lo, s0
	s_and_saveexec_b32 s0, vcc_lo
	s_cbranch_execz .LBB29_74
.LBB29_103:
	v_lshl_add_u32 v14, v11, 2, v12
	ds_load_b32 v14, v14 offset:256
	s_waitcnt lgkmcnt(0)
	v_add_f32_e32 v9, v9, v14
	s_or_b32 exec_lo, exec_lo, s0
	s_and_saveexec_b32 s0, vcc_lo
	s_cbranch_execnz .LBB29_75
	s_branch .LBB29_76
.LBB29_104:
	ds_load_b32 v12, v11
	s_waitcnt lgkmcnt(0)
	v_add_f32_e32 v1, v1, v12
	s_or_b32 exec_lo, exec_lo, s0
	s_and_saveexec_b32 s0, vcc_lo
	s_cbranch_execz .LBB29_82
.LBB29_105:
	ds_load_b32 v12, v11 offset:32
	s_waitcnt lgkmcnt(0)
	v_add_f32_e32 v2, v2, v12
	s_or_b32 exec_lo, exec_lo, s0
	s_and_saveexec_b32 s0, vcc_lo
	s_cbranch_execz .LBB29_83
.LBB29_106:
	ds_load_b32 v12, v11 offset:64
	s_waitcnt lgkmcnt(0)
	v_add_f32_e32 v3, v3, v12
	s_or_b32 exec_lo, exec_lo, s0
	s_and_saveexec_b32 s0, vcc_lo
	s_cbranch_execz .LBB29_84
.LBB29_107:
	ds_load_b32 v12, v11 offset:96
	s_waitcnt lgkmcnt(0)
	v_add_f32_e32 v4, v4, v12
	s_or_b32 exec_lo, exec_lo, s0
	s_and_saveexec_b32 s0, vcc_lo
	s_cbranch_execz .LBB29_85
.LBB29_108:
	ds_load_b32 v12, v11 offset:128
	s_waitcnt lgkmcnt(0)
	v_add_f32_e32 v5, v5, v12
	s_or_b32 exec_lo, exec_lo, s0
	s_and_saveexec_b32 s0, vcc_lo
	s_cbranch_execz .LBB29_86
.LBB29_109:
	ds_load_b32 v12, v11 offset:160
	s_waitcnt lgkmcnt(0)
	v_add_f32_e32 v6, v6, v12
	s_or_b32 exec_lo, exec_lo, s0
	s_and_saveexec_b32 s0, vcc_lo
	s_cbranch_execz .LBB29_87
.LBB29_110:
	ds_load_b32 v12, v11 offset:192
	s_waitcnt lgkmcnt(0)
	v_add_f32_e32 v7, v7, v12
	s_or_b32 exec_lo, exec_lo, s0
	s_and_saveexec_b32 s0, vcc_lo
	s_cbranch_execz .LBB29_88
.LBB29_111:
	ds_load_b32 v12, v11 offset:224
	s_waitcnt lgkmcnt(0)
	v_add_f32_e32 v8, v8, v12
	s_or_b32 exec_lo, exec_lo, s0
	s_and_saveexec_b32 s0, vcc_lo
	s_cbranch_execz .LBB29_89
.LBB29_112:
	ds_load_b32 v12, v11 offset:256
	s_waitcnt lgkmcnt(0)
	v_add_f32_e32 v9, v9, v12
	s_or_b32 exec_lo, exec_lo, s0
	s_and_saveexec_b32 s0, vcc_lo
	s_cbranch_execnz .LBB29_90
	s_branch .LBB29_91
	.section	.rodata,"a",@progbits
	.p2align	6, 0x0
	.amdhsa_kernel _ZN4vllm25paged_attention_v2_kernelIffLi80ELi16ELi128ELNS_18Fp8KVCacheDataTypeE0ELb1ELi512EEEvPfS2_PT_PKS3_PKT0_S9_ifPKiSB_iPKfiiiSD_SD_iiiii
		.amdhsa_group_segment_fixed_size 352
		.amdhsa_private_segment_fixed_size 0
		.amdhsa_kernarg_size 400
		.amdhsa_user_sgpr_count 13
		.amdhsa_user_sgpr_dispatch_ptr 0
		.amdhsa_user_sgpr_queue_ptr 0
		.amdhsa_user_sgpr_kernarg_segment_ptr 1
		.amdhsa_user_sgpr_dispatch_id 0
		.amdhsa_user_sgpr_private_segment_size 0
		.amdhsa_wavefront_size32 1
		.amdhsa_uses_dynamic_stack 0
		.amdhsa_enable_private_segment 0
		.amdhsa_system_sgpr_workgroup_id_x 1
		.amdhsa_system_sgpr_workgroup_id_y 1
		.amdhsa_system_sgpr_workgroup_id_z 1
		.amdhsa_system_sgpr_workgroup_info 0
		.amdhsa_system_vgpr_workitem_id 0
		.amdhsa_next_free_vgpr 74
		.amdhsa_next_free_sgpr 46
		.amdhsa_reserve_vcc 1
		.amdhsa_float_round_mode_32 0
		.amdhsa_float_round_mode_16_64 0
		.amdhsa_float_denorm_mode_32 3
		.amdhsa_float_denorm_mode_16_64 3
		.amdhsa_dx10_clamp 1
		.amdhsa_ieee_mode 1
		.amdhsa_fp16_overflow 0
		.amdhsa_workgroup_processor_mode 1
		.amdhsa_memory_ordered 1
		.amdhsa_forward_progress 0
		.amdhsa_shared_vgpr_count 0
		.amdhsa_exception_fp_ieee_invalid_op 0
		.amdhsa_exception_fp_denorm_src 0
		.amdhsa_exception_fp_ieee_div_zero 0
		.amdhsa_exception_fp_ieee_overflow 0
		.amdhsa_exception_fp_ieee_underflow 0
		.amdhsa_exception_fp_ieee_inexact 0
		.amdhsa_exception_int_div_zero 0
	.end_amdhsa_kernel
	.section	.text._ZN4vllm25paged_attention_v2_kernelIffLi80ELi16ELi128ELNS_18Fp8KVCacheDataTypeE0ELb1ELi512EEEvPfS2_PT_PKS3_PKT0_S9_ifPKiSB_iPKfiiiSD_SD_iiiii,"axG",@progbits,_ZN4vllm25paged_attention_v2_kernelIffLi80ELi16ELi128ELNS_18Fp8KVCacheDataTypeE0ELb1ELi512EEEvPfS2_PT_PKS3_PKT0_S9_ifPKiSB_iPKfiiiSD_SD_iiiii,comdat
.Lfunc_end29:
	.size	_ZN4vllm25paged_attention_v2_kernelIffLi80ELi16ELi128ELNS_18Fp8KVCacheDataTypeE0ELb1ELi512EEEvPfS2_PT_PKS3_PKT0_S9_ifPKiSB_iPKfiiiSD_SD_iiiii, .Lfunc_end29-_ZN4vllm25paged_attention_v2_kernelIffLi80ELi16ELi128ELNS_18Fp8KVCacheDataTypeE0ELb1ELi512EEEvPfS2_PT_PKS3_PKT0_S9_ifPKiSB_iPKfiiiSD_SD_iiiii
                                        ; -- End function
	.section	.AMDGPU.csdata,"",@progbits
; Kernel info:
; codeLenInByte = 7020
; NumSgprs: 48
; NumVgprs: 74
; ScratchSize: 0
; MemoryBound: 0
; FloatMode: 240
; IeeeMode: 1
; LDSByteSize: 352 bytes/workgroup (compile time only)
; SGPRBlocks: 5
; VGPRBlocks: 9
; NumSGPRsForWavesPerEU: 48
; NumVGPRsForWavesPerEU: 74
; Occupancy: 16
; WaveLimiterHint : 1
; COMPUTE_PGM_RSRC2:SCRATCH_EN: 0
; COMPUTE_PGM_RSRC2:USER_SGPR: 13
; COMPUTE_PGM_RSRC2:TRAP_HANDLER: 0
; COMPUTE_PGM_RSRC2:TGID_X_EN: 1
; COMPUTE_PGM_RSRC2:TGID_Y_EN: 1
; COMPUTE_PGM_RSRC2:TGID_Z_EN: 1
; COMPUTE_PGM_RSRC2:TIDIG_COMP_CNT: 0
	.section	.text._ZN4vllm25paged_attention_v2_kernelIffLi96ELi16ELi128ELNS_18Fp8KVCacheDataTypeE0ELb1ELi512EEEvPfS2_PT_PKS3_PKT0_S9_ifPKiSB_iPKfiiiSD_SD_iiiii,"axG",@progbits,_ZN4vllm25paged_attention_v2_kernelIffLi96ELi16ELi128ELNS_18Fp8KVCacheDataTypeE0ELb1ELi512EEEvPfS2_PT_PKS3_PKT0_S9_ifPKiSB_iPKfiiiSD_SD_iiiii,comdat
	.protected	_ZN4vllm25paged_attention_v2_kernelIffLi96ELi16ELi128ELNS_18Fp8KVCacheDataTypeE0ELb1ELi512EEEvPfS2_PT_PKS3_PKT0_S9_ifPKiSB_iPKfiiiSD_SD_iiiii ; -- Begin function _ZN4vllm25paged_attention_v2_kernelIffLi96ELi16ELi128ELNS_18Fp8KVCacheDataTypeE0ELb1ELi512EEEvPfS2_PT_PKS3_PKT0_S9_ifPKiSB_iPKfiiiSD_SD_iiiii
	.globl	_ZN4vllm25paged_attention_v2_kernelIffLi96ELi16ELi128ELNS_18Fp8KVCacheDataTypeE0ELb1ELi512EEEvPfS2_PT_PKS3_PKT0_S9_ifPKiSB_iPKfiiiSD_SD_iiiii
	.p2align	8
	.type	_ZN4vllm25paged_attention_v2_kernelIffLi96ELi16ELi128ELNS_18Fp8KVCacheDataTypeE0ELb1ELi512EEEvPfS2_PT_PKS3_PKT0_S9_ifPKiSB_iPKfiiiSD_SD_iiiii,@function
_ZN4vllm25paged_attention_v2_kernelIffLi96ELi16ELi128ELNS_18Fp8KVCacheDataTypeE0ELb1ELi512EEEvPfS2_PT_PKS3_PKT0_S9_ifPKiSB_iPKfiiiSD_SD_iiiii: ; @_ZN4vllm25paged_attention_v2_kernelIffLi96ELi16ELi128ELNS_18Fp8KVCacheDataTypeE0ELb1ELi512EEEvPfS2_PT_PKS3_PKT0_S9_ifPKiSB_iPKfiiiSD_SD_iiiii
; %bb.0:
	s_load_b64 s[2:3], s[0:1], 0x40
	s_mov_b32 s12, s15
	s_ashr_i32 s15, s14, 31
	s_delay_alu instid0(SALU_CYCLE_1)
	s_lshl_b64 s[4:5], s[14:15], 2
	s_waitcnt lgkmcnt(0)
	s_add_u32 s2, s2, s4
	s_addc_u32 s3, s3, s5
	s_lshl_b32 s38, s12, 9
	s_load_b32 s15, s[2:3], 0x0
	s_waitcnt lgkmcnt(0)
	s_cmp_ge_i32 s38, s15
	s_cbranch_scc1 .LBB30_102
; %bb.1:
	s_mov_b32 s24, s13
	s_clause 0x1
	s_load_b32 s13, s[0:1], 0x90
	s_load_b64 s[36:37], s[0:1], 0x30
	s_mov_b32 s40, 0
	s_waitcnt lgkmcnt(0)
	s_abs_i32 s5, s13
	s_abs_i32 s2, s36
	s_delay_alu instid0(SALU_CYCLE_1) | instskip(SKIP_1) | instid1(VALU_DEP_1)
	v_cvt_f32_u32_e32 v1, s2
	s_sub_i32 s4, 0, s2
	v_rcp_iflag_f32_e32 v1, v1
	s_waitcnt_depctr 0xfff
	v_mul_f32_e32 v1, 0x4f7ffffe, v1
	s_delay_alu instid0(VALU_DEP_1) | instskip(NEXT) | instid1(VALU_DEP_1)
	v_cvt_u32_f32_e32 v1, v1
	v_readfirstlane_b32 s3, v1
	s_delay_alu instid0(VALU_DEP_1) | instskip(NEXT) | instid1(SALU_CYCLE_1)
	s_mul_i32 s4, s4, s3
	s_mul_hi_u32 s4, s3, s4
	s_delay_alu instid0(SALU_CYCLE_1) | instskip(SKIP_4) | instid1(SALU_CYCLE_1)
	s_add_i32 s3, s3, s4
	s_xor_b32 s4, s13, s36
	s_mul_hi_u32 s3, s5, s3
	s_ashr_i32 s4, s4, 31
	s_mul_i32 s6, s3, s2
	s_sub_i32 s5, s5, s6
	s_add_i32 s6, s3, 1
	s_sub_i32 s7, s5, s2
	s_cmp_ge_u32 s5, s2
	s_cselect_b32 s3, s6, s3
	s_cselect_b32 s5, s7, s5
	s_add_i32 s6, s3, 1
	s_cmp_ge_u32 s5, s2
	s_cselect_b32 s2, s6, s3
	s_abs_i32 s17, s24
	s_xor_b32 s2, s2, s4
	s_delay_alu instid0(SALU_CYCLE_1) | instskip(SKIP_2) | instid1(SALU_CYCLE_1)
	s_sub_i32 s8, s2, s4
	s_load_b64 s[2:3], s[0:1], 0x50
	s_abs_i32 s16, s8
	v_cvt_f32_u32_e32 v1, s16
	s_sub_i32 s5, 0, s16
	s_delay_alu instid0(VALU_DEP_1) | instskip(SKIP_2) | instid1(VALU_DEP_1)
	v_rcp_iflag_f32_e32 v1, v1
	s_waitcnt_depctr 0xfff
	v_mul_f32_e32 v1, 0x4f7ffffe, v1
	v_cvt_u32_f32_e32 v1, v1
	s_delay_alu instid0(VALU_DEP_1) | instskip(NEXT) | instid1(VALU_DEP_1)
	v_readfirstlane_b32 s4, v1
	s_mul_i32 s5, s5, s4
	s_delay_alu instid0(SALU_CYCLE_1) | instskip(NEXT) | instid1(SALU_CYCLE_1)
	s_mul_hi_u32 s5, s4, s5
	s_add_i32 s4, s4, s5
	s_waitcnt lgkmcnt(0)
	s_cmp_eq_u64 s[2:3], 0
	s_mul_hi_u32 s18, s17, s4
	s_cbranch_scc1 .LBB30_3
; %bb.2:
	s_ashr_i32 s25, s24, 31
	s_delay_alu instid0(SALU_CYCLE_1) | instskip(NEXT) | instid1(SALU_CYCLE_1)
	s_lshl_b64 s[4:5], s[24:25], 2
	s_add_u32 s2, s2, s4
	s_addc_u32 s3, s3, s5
	s_load_b32 s40, s[2:3], 0x0
.LBB30_3:
	s_load_b128 s[4:7], s[0:1], 0x58
	v_and_b32_e32 v1, 1, v0
	v_lshlrev_b32_e32 v2, 3, v0
	v_lshlrev_b32_e32 v3, 2, v0
	s_ashr_i32 s2, s24, 31
	s_ashr_i32 s3, s8, 31
	s_mul_i32 s20, s24, 0x60
	s_waitcnt lgkmcnt(0)
	s_mov_b32 s7, exec_lo
	v_cmpx_gt_u32_e32 48, v0
	s_cbranch_execz .LBB30_5
; %bb.4:
	s_load_b64 s[8:9], s[0:1], 0x18
	s_mul_i32 s10, s14, s4
	v_and_b32_e32 v6, 0xff8, v3
	s_ashr_i32 s11, s10, 31
	s_delay_alu instid0(SALU_CYCLE_1) | instskip(NEXT) | instid1(VALU_DEP_1)
	s_lshl_b64 s[10:11], s[10:11], 2
	v_mad_u32_u24 v6, 0xc0, v1, v6
	s_waitcnt lgkmcnt(0)
	s_add_u32 s4, s8, s10
	s_addc_u32 s10, s9, s11
	s_ashr_i32 s21, s20, 31
	s_delay_alu instid0(SALU_CYCLE_1) | instskip(NEXT) | instid1(SALU_CYCLE_1)
	s_lshl_b64 s[8:9], s[20:21], 2
	s_add_u32 s8, s4, s8
	s_addc_u32 s9, s10, s9
	global_load_b64 v[4:5], v2, s[8:9]
	s_waitcnt vmcnt(0)
	ds_store_b64 v6, v[4:5]
.LBB30_5:
	s_or_b32 exec_lo, exec_lo, s7
	s_load_b128 s[8:11], s[0:1], 0x78
	s_mul_i32 s4, s18, s16
	s_xor_b32 s2, s2, s3
	s_sub_i32 s3, s17, s4
	s_add_i32 s4, s18, 1
	s_sub_i32 s7, s3, s16
	s_cmp_ge_u32 s3, s16
	s_mov_b32 s17, -1
	s_cselect_b32 s4, s4, s18
	s_cselect_b32 s3, s7, s3
	s_add_i32 s7, s4, 1
	s_cmp_ge_u32 s3, s16
	s_waitcnt lgkmcnt(0)
	s_cselect_b32 s3, s7, s4
	s_load_b32 s4, s[0:1], 0x88
	s_xor_b32 s3, s3, s2
	s_add_i32 s16, s15, -1
	s_sub_i32 s3, s3, s2
	s_abs_i32 s7, s16
	s_waitcnt lgkmcnt(0)
	s_barrier
	s_abs_i32 s21, s11
	buffer_gl0_inv
	v_cvt_f32_u32_e32 v4, s21
	s_sub_i32 s2, 0, s21
                                        ; implicit-def: $sgpr33
	s_delay_alu instid0(VALU_DEP_1) | instskip(SKIP_2) | instid1(VALU_DEP_1)
	v_rcp_iflag_f32_e32 v4, v4
	s_waitcnt_depctr 0xfff
	v_mul_f32_e32 v4, 0x4f7ffffe, v4
	v_cvt_u32_f32_e32 v4, v4
	s_delay_alu instid0(VALU_DEP_1) | instskip(NEXT) | instid1(VALU_DEP_1)
	v_readfirstlane_b32 s25, v4
	s_mul_i32 s2, s2, s25
	s_delay_alu instid0(SALU_CYCLE_1) | instskip(NEXT) | instid1(SALU_CYCLE_1)
	s_mul_hi_u32 s2, s25, s2
	s_add_i32 s25, s25, s2
	s_cmp_lt_i32 s4, 0
	s_mul_hi_u32 s2, s7, s25
	s_cbranch_scc0 .LBB30_7
; %bb.6:
	s_mul_i32 s17, s8, s36
	s_delay_alu instid0(SALU_CYCLE_1) | instskip(NEXT) | instid1(SALU_CYCLE_1)
	s_add_i32 s17, s3, s17
	s_mul_i32 s17, s17, s4
	s_delay_alu instid0(SALU_CYCLE_1)
	s_sub_i32 s33, 1, s17
	s_mov_b32 s17, 0
.LBB30_7:
	s_load_b64 s[26:27], s[0:1], 0x38
	s_ashr_i32 s28, s16, 31
	s_and_not1_b32 vcc_lo, exec_lo, s17
	s_ashr_i32 s11, s11, 31
	s_cbranch_vccnz .LBB30_9
; %bb.8:
	s_mul_i32 s8, s13, s8
	s_delay_alu instid0(SALU_CYCLE_1) | instskip(NEXT) | instid1(SALU_CYCLE_1)
	s_add_i32 s8, s8, s24
	s_mul_i32 s4, s8, s4
	s_delay_alu instid0(SALU_CYCLE_1)
	s_add_i32 s33, s4, 1
.LBB30_9:
	s_clause 0x4
	s_load_b32 s8, s[0:1], 0x48
	s_load_b64 s[30:31], s[0:1], 0x28
	s_load_b32 s4, s[0:1], 0x98
	s_load_b128 s[16:19], s[0:1], 0x0
	s_load_b64 s[22:23], s[0:1], 0x10
	s_xor_b32 s34, s28, s11
	s_mul_i32 s28, s2, s21
	s_add_i32 s35, s2, 1
	s_sub_i32 s7, s7, s28
	v_lshrrev_b32_e32 v56, 5, v0
	v_mov_b32_e32 v5, 0xff7fffff
	v_mbcnt_lo_u32_b32 v4, -1, 0
	s_delay_alu instid0(VALU_DEP_3)
	v_lshl_add_u32 v57, v56, 4, s38
	s_waitcnt lgkmcnt(0)
	s_mul_i32 s28, s14, s8
	s_sub_i32 s8, s7, s21
	s_ashr_i32 s29, s28, 31
	s_cmp_ge_u32 s7, s21
	s_cselect_b32 s2, s35, s2
	s_cselect_b32 s7, s8, s7
	s_add_i32 s8, s2, 1
	s_cmp_ge_u32 s7, s21
	s_cselect_b32 s2, s8, s2
	s_add_i32 s8, s15, 15
	s_lshl_b32 s7, s12, 5
	s_ashr_i32 s35, s8, 31
	v_or_b32_e32 v53, s7, v56
	s_lshr_b32 s35, s35, 28
	s_xor_b32 s39, s2, s34
	s_add_i32 s8, s8, s35
	s_add_i32 s35, s7, 32
	s_ashr_i32 s36, s8, 4
	v_ashrrev_i32_e32 v54, 31, v53
	s_min_i32 s8, s35, s36
	s_sub_i32 s39, s39, s34
	v_cmp_gt_i32_e64 s2, s8, v53
	s_mul_i32 s34, s3, s6
	s_delay_alu instid0(VALU_DEP_1)
	s_and_saveexec_b32 s6, s2
	s_cbranch_execz .LBB30_19
; %bb.10:
	s_load_b64 s[0:1], s[0:1], 0x20
	s_ashr_i32 s35, s34, 31
	v_bfe_u32 v6, v0, 1, 4
	s_lshl_b64 s[42:43], s[34:35], 2
	s_sub_i32 s35, s39, s9
	v_cmp_eq_u32_e32 vcc_lo, 0, v1
	v_mul_u32_u24_e32 v7, 0xc0, v1
	v_lshlrev_b32_e32 v11, 2, v6
	v_subrev_nc_u32_e32 v14, s15, v6
	v_lshlrev_b32_e32 v17, 4, v6
	v_lshl_add_u32 v8, v56, 4, s38
	v_mov_b32_e32 v9, 0xff7fffff
	v_lshl_or_b32 v15, v56, 6, v11
	v_add_nc_u32_e32 v11, 1, v14
	v_xor_b32_e32 v10, 1, v4
	s_waitcnt lgkmcnt(0)
	s_add_u32 s3, s0, s42
	s_addc_u32 s1, s1, s43
	s_abs_i32 s41, s10
	v_cmp_neq_f32_e64 s0, s40, 0
	v_cvt_f32_u32_e32 v5, s41
	s_sub_i32 s42, 0, s41
	s_delay_alu instid0(VALU_DEP_1)
	v_rcp_iflag_f32_e32 v5, v5
	v_and_b32_e32 v13, 8, v2
	v_lshlrev_b64 v[1:2], 2, v[53:54]
	s_waitcnt_depctr 0xfff
	v_mul_f32_e32 v12, 0x4f7ffffe, v5
	v_mov_b32_e32 v5, 0xff7fffff
	s_delay_alu instid0(VALU_DEP_2) | instskip(SKIP_2) | instid1(VALU_DEP_1)
	v_cvt_u32_f32_e32 v16, v12
	v_add_nc_u32_e32 v12, 0x1a0, v15
	v_add_co_u32 v15, s3, s3, v17
	v_add_co_ci_u32_e64 v17, null, s1, 0, s3
	s_delay_alu instid0(VALU_DEP_4) | instskip(SKIP_1) | instid1(SALU_CYCLE_1)
	v_mul_lo_u32 v14, s42, v16
	s_lshl_b64 s[42:43], s[28:29], 2
	s_add_u32 s1, s26, s42
	s_addc_u32 s3, s27, s43
	v_add_co_u32 v1, s1, s1, v1
	s_delay_alu instid0(VALU_DEP_1) | instskip(NEXT) | instid1(VALU_DEP_3)
	v_add_co_ci_u32_e64 v2, s1, s3, v2, s1
	v_mul_hi_u32 v18, v16, v14
	v_add_co_u32 v13, s1, v15, v13
	s_delay_alu instid0(VALU_DEP_1) | instskip(SKIP_2) | instid1(VALU_DEP_3)
	v_add_co_ci_u32_e64 v14, s1, 0, v17, s1
	s_mov_b32 s42, 0
	s_mov_b32 s43, s5
	v_dual_mov_b32 v16, v53 :: v_dual_add_nc_u32 v15, v16, v18
	s_branch .LBB30_13
.LBB30_11:                              ;   in Loop: Header=BB30_13 Depth=1
	s_or_b32 exec_lo, exec_lo, s44
.LBB30_12:                              ;   in Loop: Header=BB30_13 Depth=1
	s_delay_alu instid0(SALU_CYCLE_1) | instskip(SKIP_2) | instid1(VALU_DEP_1)
	s_or_b32 exec_lo, exec_lo, s3
	v_add_nc_u32_e32 v16, 4, v16
	v_add_co_u32 v1, s3, v1, 16
	v_add_co_ci_u32_e64 v2, s3, 0, v2, s3
	s_delay_alu instid0(VALU_DEP_3) | instskip(SKIP_2) | instid1(VALU_DEP_3)
	v_cmp_le_i32_e64 s1, s8, v16
	v_add_nc_u32_e32 v8, 64, v8
	v_add_nc_u32_e32 v12, 0x100, v12
	s_or_b32 s42, s1, s42
	s_delay_alu instid0(SALU_CYCLE_1)
	s_and_not1_b32 exec_lo, exec_lo, s42
	s_cbranch_execz .LBB30_18
.LBB30_13:                              ; =>This Inner Loop Header: Depth=1
	v_sub_nc_u32_e32 v17, 0, v8
	s_delay_alu instid0(VALU_DEP_1) | instskip(SKIP_1) | instid1(VALU_DEP_1)
	v_max_i32_e32 v17, v8, v17
	s_waitcnt lgkmcnt(0)
	v_mul_hi_u32 v18, v17, s25
	s_delay_alu instid0(VALU_DEP_1) | instskip(NEXT) | instid1(VALU_DEP_1)
	v_mul_lo_u32 v19, v18, s21
	v_sub_nc_u32_e32 v17, v17, v19
	v_add_nc_u32_e32 v19, 1, v18
	s_delay_alu instid0(VALU_DEP_2) | instskip(SKIP_1) | instid1(VALU_DEP_1)
	v_subrev_nc_u32_e32 v20, s21, v17
	v_cmp_le_u32_e64 s1, s21, v17
	v_cndmask_b32_e64 v18, v18, v19, s1
	s_delay_alu instid0(VALU_DEP_3) | instskip(SKIP_1) | instid1(VALU_DEP_3)
	v_cndmask_b32_e64 v17, v17, v20, s1
	v_ashrrev_i32_e32 v19, 31, v8
	v_add_nc_u32_e32 v20, 1, v18
	s_delay_alu instid0(VALU_DEP_3) | instskip(NEXT) | instid1(VALU_DEP_3)
	v_cmp_le_u32_e64 s1, s21, v17
	v_xor_b32_e32 v19, s11, v19
	s_delay_alu instid0(VALU_DEP_2) | instskip(NEXT) | instid1(VALU_DEP_1)
	v_cndmask_b32_e64 v17, v18, v20, s1
	v_xor_b32_e32 v17, v17, v19
	s_delay_alu instid0(VALU_DEP_1) | instskip(NEXT) | instid1(VALU_DEP_1)
	v_sub_nc_u32_e32 v17, v17, v19
	v_add_nc_u32_e32 v18, s33, v17
	v_cmp_ge_i32_e64 s3, s35, v17
	s_delay_alu instid0(VALU_DEP_2) | instskip(NEXT) | instid1(VALU_DEP_1)
	v_sub_nc_u32_e32 v19, 0, v18
	v_max_i32_e32 v19, v18, v19
	v_ashrrev_i32_e32 v18, 31, v18
	s_delay_alu instid0(VALU_DEP_2) | instskip(NEXT) | instid1(VALU_DEP_1)
	v_mul_hi_u32 v20, v19, v15
	v_mul_lo_u32 v20, v20, s41
	s_delay_alu instid0(VALU_DEP_1) | instskip(NEXT) | instid1(VALU_DEP_1)
	v_sub_nc_u32_e32 v19, v19, v20
	v_subrev_nc_u32_e32 v20, s41, v19
	v_cmp_le_u32_e64 s1, s41, v19
	s_delay_alu instid0(VALU_DEP_1) | instskip(NEXT) | instid1(VALU_DEP_1)
	v_cndmask_b32_e64 v19, v19, v20, s1
	v_subrev_nc_u32_e32 v20, s41, v19
	v_cmp_le_u32_e64 s1, s41, v19
	s_delay_alu instid0(VALU_DEP_1) | instskip(NEXT) | instid1(VALU_DEP_1)
	v_cndmask_b32_e64 v19, v19, v20, s1
	v_xor_b32_e32 v19, v19, v18
	s_delay_alu instid0(VALU_DEP_1) | instskip(NEXT) | instid1(VALU_DEP_1)
	v_sub_nc_u32_e32 v18, v19, v18
	v_cmp_ne_u32_e64 s1, 0, v18
	s_delay_alu instid0(VALU_DEP_1) | instskip(NEXT) | instid1(SALU_CYCLE_1)
	s_and_b32 s1, s1, s3
	s_and_b32 s44, vcc_lo, s1
	s_delay_alu instid0(SALU_CYCLE_1)
	s_and_saveexec_b32 s3, s44
	s_cbranch_execz .LBB30_15
; %bb.14:                               ;   in Loop: Header=BB30_13 Depth=1
	ds_store_b32 v12, v9
.LBB30_15:                              ;   in Loop: Header=BB30_13 Depth=1
	s_or_b32 exec_lo, exec_lo, s3
	s_xor_b32 s1, s1, -1
	s_delay_alu instid0(SALU_CYCLE_1)
	s_and_saveexec_b32 s3, s1
	s_cbranch_execz .LBB30_12
; %bb.16:                               ;   in Loop: Header=BB30_13 Depth=1
	global_load_b32 v19, v[1:2], off
	s_waitcnt vmcnt(0)
	v_mad_i64_i32 v[17:18], null, v19, s43, 0
	s_delay_alu instid0(VALU_DEP_1) | instskip(NEXT) | instid1(VALU_DEP_1)
	v_lshlrev_b64 v[17:18], 2, v[17:18]
	v_add_co_u32 v17, s1, v13, v17
	s_delay_alu instid0(VALU_DEP_1)
	v_add_co_ci_u32_e64 v18, s1, v14, v18, s1
	s_clause 0xf
	global_load_b64 v[28:29], v[17:18], off offset:256
	global_load_b64 v[30:31], v[17:18], off
	global_load_b64 v[32:33], v[17:18], off offset:512
	global_load_b64 v[34:35], v[17:18], off offset:768
	;; [unrolled: 1-line block ×14, first 2 shown]
	v_add_co_u32 v17, s1, 0x1000, v17
	s_delay_alu instid0(VALU_DEP_1)
	v_add_co_ci_u32_e64 v18, s1, 0, v18, s1
	v_cmp_gt_i32_e64 s1, 32, v10
	s_clause 0x7
	global_load_b64 v[66:67], v[17:18], off
	global_load_b64 v[68:69], v[17:18], off offset:256
	global_load_b64 v[70:71], v[17:18], off offset:512
	;; [unrolled: 1-line block ×7, first 2 shown]
	ds_load_b128 v[17:20], v7
	ds_load_b128 v[21:24], v7 offset:16
	s_waitcnt vmcnt(23) lgkmcnt(1)
	v_dual_mul_f32 v52, v19, v28 :: v_dual_mul_f32 v29, v20, v29
	ds_load_b128 v[25:28], v7 offset:32
	s_waitcnt vmcnt(22)
	v_dual_fmac_f32 v52, v17, v30 :: v_dual_fmac_f32 v29, v18, v31
	ds_load_b128 v[17:20], v7 offset:48
	s_waitcnt vmcnt(21) lgkmcnt(2)
	v_dual_fmac_f32 v52, v21, v32 :: v_dual_fmac_f32 v29, v22, v33
	s_waitcnt vmcnt(20)
	s_delay_alu instid0(VALU_DEP_1) | instskip(SKIP_4) | instid1(VALU_DEP_1)
	v_dual_fmac_f32 v52, v23, v34 :: v_dual_fmac_f32 v29, v24, v35
	ds_load_b128 v[21:24], v7 offset:64
	s_waitcnt vmcnt(19) lgkmcnt(2)
	v_dual_fmac_f32 v52, v25, v36 :: v_dual_fmac_f32 v29, v26, v37
	s_waitcnt vmcnt(18)
	v_dual_fmac_f32 v52, v27, v38 :: v_dual_fmac_f32 v29, v28, v39
	ds_load_b128 v[25:28], v7 offset:80
	s_waitcnt vmcnt(17) lgkmcnt(2)
	v_dual_fmac_f32 v52, v17, v40 :: v_dual_fmac_f32 v29, v18, v41
	s_waitcnt vmcnt(16)
	s_delay_alu instid0(VALU_DEP_1) | instskip(SKIP_4) | instid1(VALU_DEP_1)
	v_dual_fmac_f32 v52, v19, v42 :: v_dual_fmac_f32 v29, v20, v43
	ds_load_b128 v[17:20], v7 offset:96
	s_waitcnt vmcnt(15) lgkmcnt(2)
	v_dual_fmac_f32 v52, v21, v44 :: v_dual_fmac_f32 v29, v22, v45
	s_waitcnt vmcnt(14)
	v_dual_fmac_f32 v52, v23, v46 :: v_dual_fmac_f32 v29, v24, v47
	ds_load_b128 v[21:24], v7 offset:112
	s_waitcnt vmcnt(13) lgkmcnt(2)
	v_dual_fmac_f32 v52, v25, v48 :: v_dual_fmac_f32 v29, v26, v49
	s_waitcnt vmcnt(12)
	s_delay_alu instid0(VALU_DEP_1) | instskip(SKIP_4) | instid1(VALU_DEP_1)
	v_dual_fmac_f32 v52, v27, v50 :: v_dual_fmac_f32 v29, v28, v51
	ds_load_b128 v[25:28], v7 offset:128
	s_waitcnt vmcnt(11) lgkmcnt(2)
	v_dual_fmac_f32 v52, v17, v58 :: v_dual_fmac_f32 v29, v18, v59
	s_waitcnt vmcnt(10)
	v_dual_fmac_f32 v52, v19, v60 :: v_dual_fmac_f32 v29, v20, v61
	ds_load_b128 v[17:20], v7 offset:144
	s_waitcnt vmcnt(9) lgkmcnt(2)
	v_dual_fmac_f32 v52, v21, v62 :: v_dual_fmac_f32 v29, v22, v63
	s_waitcnt vmcnt(8)
	s_delay_alu instid0(VALU_DEP_1) | instskip(SKIP_4) | instid1(VALU_DEP_1)
	v_dual_fmac_f32 v52, v23, v64 :: v_dual_fmac_f32 v29, v24, v65
	ds_load_b128 v[21:24], v7 offset:160
	s_waitcnt vmcnt(7) lgkmcnt(2)
	v_dual_fmac_f32 v52, v25, v66 :: v_dual_fmac_f32 v29, v26, v67
	s_waitcnt vmcnt(6)
	v_dual_fmac_f32 v52, v27, v68 :: v_dual_fmac_f32 v29, v28, v69
	ds_load_b128 v[25:28], v7 offset:176
	s_waitcnt vmcnt(5) lgkmcnt(2)
	v_dual_fmac_f32 v52, v17, v70 :: v_dual_fmac_f32 v29, v18, v71
	v_cndmask_b32_e64 v17, v4, v10, s1
	s_waitcnt vmcnt(4)
	s_delay_alu instid0(VALU_DEP_2) | instskip(NEXT) | instid1(VALU_DEP_2)
	v_dual_fmac_f32 v52, v19, v72 :: v_dual_fmac_f32 v29, v20, v73
	v_lshlrev_b32_e32 v18, 2, v17
	s_waitcnt vmcnt(3) lgkmcnt(1)
	s_delay_alu instid0(VALU_DEP_2) | instskip(SKIP_1) | instid1(VALU_DEP_1)
	v_dual_fmac_f32 v52, v21, v74 :: v_dual_fmac_f32 v29, v22, v75
	s_waitcnt vmcnt(2)
	v_dual_fmac_f32 v52, v23, v76 :: v_dual_fmac_f32 v29, v24, v77
	s_waitcnt vmcnt(1) lgkmcnt(0)
	s_delay_alu instid0(VALU_DEP_1) | instskip(SKIP_1) | instid1(VALU_DEP_1)
	v_dual_fmac_f32 v52, v25, v78 :: v_dual_fmac_f32 v29, v26, v79
	s_waitcnt vmcnt(0)
	v_dual_fmac_f32 v52, v27, v80 :: v_dual_fmac_f32 v29, v28, v81
	s_delay_alu instid0(VALU_DEP_1)
	v_add_f32_e32 v17, v52, v29
	ds_bpermute_b32 v18, v18, v17
	s_and_saveexec_b32 s44, vcc_lo
	s_cbranch_execz .LBB30_11
; %bb.17:                               ;   in Loop: Header=BB30_13 Depth=1
	s_waitcnt lgkmcnt(0)
	v_add_f32_e32 v17, v17, v18
	v_add_nc_u32_e32 v19, v11, v8
	s_delay_alu instid0(VALU_DEP_1) | instskip(NEXT) | instid1(VALU_DEP_1)
	v_cvt_f32_i32_e32 v19, v19
	v_mul_f32_e32 v19, s40, v19
	s_delay_alu instid0(VALU_DEP_1) | instskip(SKIP_1) | instid1(VALU_DEP_2)
	v_cndmask_b32_e64 v18, 0, v19, s0
	v_max_f32_e32 v19, v5, v5
	v_dual_fmac_f32 v18, s37, v17 :: v_dual_add_nc_u32 v17, v6, v8
	s_delay_alu instid0(VALU_DEP_1) | instskip(NEXT) | instid1(VALU_DEP_2)
	v_max_f32_e32 v19, v19, v18
	v_cmp_gt_i32_e64 s1, s15, v17
	s_delay_alu instid0(VALU_DEP_1) | instskip(NEXT) | instid1(VALU_DEP_3)
	v_cndmask_b32_e64 v17, 0, v18, s1
	v_cndmask_b32_e64 v5, v5, v19, s1
	ds_store_b32 v12, v17
	s_branch .LBB30_11
.LBB30_18:
	s_or_b32 exec_lo, exec_lo, s42
.LBB30_19:
	s_delay_alu instid0(SALU_CYCLE_1) | instskip(SKIP_3) | instid1(VALU_DEP_3)
	s_or_b32 exec_lo, exec_lo, s6
	v_xor_b32_e32 v1, 16, v4
	v_xor_b32_e32 v6, 8, v4
	v_dual_max_f32 v7, v5, v5 :: v_dual_and_b32 v58, 31, v0
	v_cmp_gt_i32_e32 vcc_lo, 32, v1
	v_cndmask_b32_e32 v1, v4, v1, vcc_lo
	s_delay_alu instid0(VALU_DEP_4) | instskip(NEXT) | instid1(VALU_DEP_2)
	v_cmp_gt_i32_e32 vcc_lo, 32, v6
	v_lshlrev_b32_e32 v2, 2, v1
	ds_bpermute_b32 v1, v2, v5
	v_cndmask_b32_e32 v5, v4, v6, vcc_lo
	s_delay_alu instid0(VALU_DEP_1) | instskip(SKIP_2) | instid1(VALU_DEP_1)
	v_lshlrev_b32_e32 v5, 2, v5
	s_waitcnt lgkmcnt(0)
	v_max_f32_e32 v1, v1, v1
	v_max_f32_e32 v1, v7, v1
	v_xor_b32_e32 v7, 4, v4
	ds_bpermute_b32 v6, v5, v1
	v_cmp_gt_i32_e32 vcc_lo, 32, v7
	s_waitcnt lgkmcnt(0)
	v_dual_cndmask_b32 v7, v4, v7 :: v_dual_max_f32 v8, v6, v6
	s_delay_alu instid0(VALU_DEP_1)
	v_dual_max_f32 v1, v1, v8 :: v_dual_lshlrev_b32 v6, 2, v7
	v_xor_b32_e32 v8, 2, v4
	ds_bpermute_b32 v7, v6, v1
	v_cmp_gt_i32_e32 vcc_lo, 32, v8
	v_cndmask_b32_e32 v8, v4, v8, vcc_lo
	v_cmp_eq_u32_e32 vcc_lo, 0, v58
	s_delay_alu instid0(VALU_DEP_2) | instskip(SKIP_2) | instid1(VALU_DEP_1)
	v_lshlrev_b32_e32 v59, 2, v8
	s_waitcnt lgkmcnt(0)
	v_max_f32_e32 v7, v7, v7
	v_max_f32_e32 v1, v1, v7
	v_lshlrev_b32_e32 v7, 2, v56
	ds_bpermute_b32 v8, v59, v1
	s_and_saveexec_b32 s0, vcc_lo
	s_cbranch_execz .LBB30_21
; %bb.20:
	s_waitcnt lgkmcnt(0)
	v_dual_max_f32 v8, v8, v8 :: v_dual_max_f32 v1, v1, v1
	s_delay_alu instid0(VALU_DEP_1)
	v_max_f32_e32 v1, v1, v8
	ds_store_b32 v7, v1 offset:384
.LBB30_21:
	s_or_b32 exec_lo, exec_lo, s0
	v_cmp_gt_u32_e64 s0, 4, v58
	s_waitcnt lgkmcnt(0)
	v_dual_mov_b32 v1, 0xff7fffff :: v_dual_lshlrev_b32 v8, 2, v58
	s_barrier
	buffer_gl0_inv
	s_and_saveexec_b32 s1, s0
	s_cbranch_execz .LBB30_23
; %bb.22:
	ds_load_b32 v1, v8 offset:384
.LBB30_23:
	s_or_b32 exec_lo, exec_lo, s1
	s_waitcnt lgkmcnt(0)
	ds_bpermute_b32 v9, v59, v1
	v_xor_b32_e32 v10, 1, v4
	s_delay_alu instid0(VALU_DEP_1) | instskip(NEXT) | instid1(VALU_DEP_1)
	v_cmp_gt_i32_e64 s1, 32, v10
	v_cndmask_b32_e64 v4, v4, v10, s1
	v_max_f32_e32 v1, v1, v1
	s_sub_i32 s1, s8, s7
	s_delay_alu instid0(SALU_CYCLE_1) | instskip(NEXT) | instid1(VALU_DEP_2)
	s_lshl_b32 s1, s1, 4
	v_lshlrev_b32_e32 v60, 2, v4
	s_add_i32 s1, s1, s38
	s_delay_alu instid0(SALU_CYCLE_1) | instskip(SKIP_3) | instid1(SALU_CYCLE_1)
	s_min_i32 s1, s1, s15
	s_waitcnt lgkmcnt(0)
	v_max_f32_e32 v9, v9, v9
	s_sub_i32 s6, s1, s38
	v_cmp_gt_i32_e64 s1, s6, v0
	s_delay_alu instid0(VALU_DEP_2) | instskip(SKIP_4) | instid1(VALU_DEP_1)
	v_max_f32_e32 v1, v1, v9
	v_mov_b32_e32 v9, 0
	ds_bpermute_b32 v4, v60, v1
	s_waitcnt lgkmcnt(0)
	v_max_f32_e32 v4, v4, v4
	v_max_f32_e32 v1, v1, v4
	v_lshl_add_u32 v4, v0, 2, 0x1a0
	ds_bpermute_b32 v1, v9, v1
	s_and_saveexec_b32 s7, s1
	s_cbranch_execz .LBB30_27
; %bb.24:
	v_lshl_add_u32 v10, v0, 2, 0x1a0
	v_mov_b32_e32 v9, 0
	v_mov_b32_e32 v11, v0
	s_mov_b32 s35, 0
	.p2align	6
.LBB30_25:                              ; =>This Inner Loop Header: Depth=1
	ds_load_b32 v12, v10
	v_add_nc_u32_e32 v11, 0x80, v11
	s_delay_alu instid0(VALU_DEP_1) | instskip(NEXT) | instid1(VALU_DEP_1)
	v_cmp_le_i32_e64 s3, s6, v11
	s_or_b32 s35, s3, s35
	s_waitcnt lgkmcnt(0)
	v_sub_f32_e32 v12, v12, v1
	s_delay_alu instid0(VALU_DEP_1) | instskip(NEXT) | instid1(VALU_DEP_1)
	v_mul_f32_e32 v12, 0x3fb8aa3b, v12
	v_exp_f32_e32 v12, v12
	ds_store_b32 v10, v12
	v_dual_add_f32 v9, v9, v12 :: v_dual_add_nc_u32 v10, 0x200, v10
	s_and_not1_b32 exec_lo, exec_lo, s35
	s_cbranch_execnz .LBB30_25
; %bb.26:
	s_or_b32 exec_lo, exec_lo, s35
.LBB30_27:
	s_delay_alu instid0(SALU_CYCLE_1)
	s_or_b32 exec_lo, exec_lo, s7
	ds_bpermute_b32 v2, v2, v9
	s_waitcnt lgkmcnt(0)
	v_add_f32_e32 v2, v9, v2
	ds_bpermute_b32 v5, v5, v2
	s_waitcnt lgkmcnt(0)
	v_add_f32_e32 v2, v2, v5
	;; [unrolled: 3-line block ×5, first 2 shown]
	s_and_saveexec_b32 s3, vcc_lo
	s_cbranch_execz .LBB30_29
; %bb.28:
	ds_store_b32 v7, v2 offset:400
.LBB30_29:
	s_or_b32 exec_lo, exec_lo, s3
	s_waitcnt lgkmcnt(0)
	s_barrier
	buffer_gl0_inv
	s_and_saveexec_b32 s3, s0
	s_cbranch_execz .LBB30_31
; %bb.30:
	ds_load_b32 v2, v8 offset:400
.LBB30_31:
	s_or_b32 exec_lo, exec_lo, s3
	s_waitcnt lgkmcnt(0)
	ds_bpermute_b32 v5, v59, v2
	s_waitcnt lgkmcnt(0)
	v_add_f32_e32 v2, v2, v5
	ds_bpermute_b32 v5, v60, v2
	s_waitcnt lgkmcnt(0)
	v_dual_add_f32 v2, v2, v5 :: v_dual_mov_b32 v5, 0
	ds_bpermute_b32 v2, v5, v2
	s_and_saveexec_b32 s0, s1
	s_cbranch_execz .LBB30_34
; %bb.32:
	s_waitcnt lgkmcnt(0)
	v_add_f32_e32 v5, 0x358637bd, v2
	s_mov_b32 s1, 0
	s_delay_alu instid0(VALU_DEP_1) | instskip(SKIP_1) | instid1(VALU_DEP_2)
	v_div_scale_f32 v6, null, v5, v5, 1.0
	v_div_scale_f32 v9, vcc_lo, 1.0, v5, 1.0
	v_rcp_f32_e32 v7, v6
	s_waitcnt_depctr 0xfff
	v_fma_f32 v8, -v6, v7, 1.0
	s_delay_alu instid0(VALU_DEP_1) | instskip(NEXT) | instid1(VALU_DEP_1)
	v_fmac_f32_e32 v7, v8, v7
	v_mul_f32_e32 v8, v9, v7
	s_delay_alu instid0(VALU_DEP_1) | instskip(NEXT) | instid1(VALU_DEP_1)
	v_fma_f32 v10, -v6, v8, v9
	v_fmac_f32_e32 v8, v10, v7
	s_delay_alu instid0(VALU_DEP_1) | instskip(NEXT) | instid1(VALU_DEP_1)
	v_fma_f32 v6, -v6, v8, v9
	v_div_fmas_f32 v6, v6, v7, v8
	s_delay_alu instid0(VALU_DEP_1)
	v_div_fixup_f32 v5, v6, v5, 1.0
	v_mov_b32_e32 v6, v0
.LBB30_33:                              ; =>This Inner Loop Header: Depth=1
	ds_load_b32 v7, v4
	s_waitcnt lgkmcnt(0)
	v_dual_mul_f32 v7, v5, v7 :: v_dual_add_nc_u32 v6, 0x80, v6
	s_delay_alu instid0(VALU_DEP_1) | instskip(SKIP_3) | instid1(SALU_CYCLE_1)
	v_cmp_le_i32_e32 vcc_lo, s6, v6
	ds_store_b32 v4, v7
	v_add_nc_u32_e32 v4, 0x200, v4
	s_or_b32 s1, vcc_lo, s1
	s_and_not1_b32 exec_lo, exec_lo, s1
	s_cbranch_execnz .LBB30_33
.LBB30_34:
	s_or_b32 exec_lo, exec_lo, s0
	s_mul_i32 s0, s4, s14
	s_waitcnt lgkmcnt(0)
	s_mul_i32 s6, s0, s13
	s_mov_b32 s0, exec_lo
	s_barrier
	buffer_gl0_inv
	v_cmpx_eq_u32_e32 0, v0
	s_cbranch_execz .LBB30_36
; %bb.35:
	s_ashr_i32 s7, s6, 31
	s_mul_i32 s42, s4, s24
	s_lshl_b64 s[40:41], s[6:7], 2
	v_mov_b32_e32 v4, 0
	s_add_u32 s1, s18, s40
	s_addc_u32 s3, s19, s41
	s_ashr_i32 s43, s42, 31
	s_delay_alu instid0(SALU_CYCLE_1) | instskip(NEXT) | instid1(SALU_CYCLE_1)
	s_lshl_b64 s[18:19], s[42:43], 2
	s_add_u32 s1, s1, s18
	s_addc_u32 s3, s3, s19
	s_ashr_i32 s13, s12, 31
	s_delay_alu instid0(SALU_CYCLE_1) | instskip(NEXT) | instid1(SALU_CYCLE_1)
	s_lshl_b64 s[42:43], s[12:13], 2
	s_add_u32 s44, s1, s42
	s_addc_u32 s45, s3, s43
	s_add_u32 s1, s16, s40
	s_addc_u32 s3, s17, s41
	;; [unrolled: 2-line block ×4, first 2 shown]
	s_clause 0x1
	global_store_b32 v4, v1, s[44:45]
	global_store_b32 v4, v2, s[16:17]
.LBB30_36:
	s_or_b32 exec_lo, exec_lo, s0
	v_dual_mov_b32 v73, 0 :: v_dual_mov_b32 v72, 0
	v_dual_mov_b32 v70, 0 :: v_dual_and_b32 v61, 3, v0
	v_dual_mov_b32 v71, 0 :: v_dual_mov_b32 v68, 0
	v_dual_mov_b32 v69, 0 :: v_dual_mov_b32 v66, 0
	;; [unrolled: 1-line block ×4, first 2 shown]
	v_mov_b32_e32 v63, 0
	s_mov_b32 s3, 0
	s_and_saveexec_b32 s1, s2
	s_cbranch_execz .LBB30_66
; %bb.37:
	s_ashr_i32 s35, s34, 31
	s_sub_i32 s2, s39, s9
	s_lshl_b64 s[16:17], s[34:35], 2
	v_dual_mov_b32 v63, 0 :: v_dual_and_b32 v74, 12, v3
	s_add_u32 s7, s30, s16
	s_addc_u32 s9, s31, s17
	s_abs_i32 s10, s10
	v_dual_mov_b32 v62, 0 :: v_dual_and_b32 v3, 0x7c, v3
	v_cvt_f32_u32_e32 v4, s10
	s_sub_i32 s0, 0, s10
	v_dual_mov_b32 v64, 0 :: v_dual_lshlrev_b32 v5, 4, v61
	v_lshlrev_b64 v[1:2], 2, v[53:54]
	s_delay_alu instid0(VALU_DEP_3)
	v_rcp_iflag_f32_e32 v4, v4
	v_dual_mov_b32 v72, 0 :: v_dual_lshlrev_b32 v75, 2, v3
	v_or_b32_e32 v6, 0x400, v3
	v_or_b32_e32 v7, 0x480, v3
	;; [unrolled: 1-line block ×4, first 2 shown]
	v_mov_b32_e32 v71, 0
	s_lshl_b64 s[16:17], s[28:29], 2
	s_add_i32 s36, s36, -1
	s_delay_alu instid0(TRANS32_DEP_1) | instskip(SKIP_3) | instid1(VALU_DEP_4)
	v_mul_f32_e32 v4, 0x4f7ffffe, v4
	v_lshl_or_b32 v5, v56, 6, v5
	v_dual_mov_b32 v65, 0 :: v_dual_mov_b32 v66, 0
	v_dual_mov_b32 v67, 0 :: v_dual_mov_b32 v68, 0
	v_cvt_u32_f32_e32 v4, v4
	v_dual_mov_b32 v69, 0 :: v_dual_mov_b32 v70, 0
	v_dual_mov_b32 v73, 0 :: v_dual_add_nc_u32 v76, 0x1a0, v5
	s_delay_alu instid0(VALU_DEP_3)
	v_mul_lo_u32 v10, s0, v4
	s_add_u32 s0, s26, s16
	s_addc_u32 s13, s27, s17
	v_add_co_u32 v54, vcc_lo, s0, v1
	v_lshlrev_b32_e32 v77, 2, v6
	v_lshlrev_b32_e32 v78, 2, v7
	;; [unrolled: 1-line block ×3, first 2 shown]
	v_mul_hi_u32 v3, v4, v10
	v_lshlrev_b32_e32 v80, 2, v9
	v_add_co_ci_u32_e32 v55, vcc_lo, s13, v2, vcc_lo
	s_delay_alu instid0(VALU_DEP_3)
	v_add_nc_u32_e32 v81, v4, v3
	s_branch .LBB30_40
.LBB30_38:                              ;   in Loop: Header=BB30_40 Depth=1
	s_or_b32 exec_lo, exec_lo, s0
	s_waitcnt vmcnt(9) lgkmcnt(0)
	v_mul_f32_e32 v14, v2, v14
	s_waitcnt vmcnt(5)
	v_mul_f32_e32 v30, v2, v30
	s_waitcnt vmcnt(3)
	v_mul_f32_e32 v38, v2, v38
	v_mul_f32_e32 v6, v2, v6
	s_waitcnt vmcnt(1)
	v_mul_f32_e32 v50, v2, v50
	v_fmac_f32_e32 v14, v1, v13
	v_fmac_f32_e32 v30, v1, v29
	v_mul_f32_e32 v22, v2, v22
	v_fmac_f32_e32 v6, v1, v5
	v_mul_f32_e32 v42, v2, v42
	v_fmac_f32_e32 v14, v3, v15
	v_fmac_f32_e32 v30, v3, v31
	v_mul_f32_e32 v34, v2, v34
	v_fmac_f32_e32 v6, v3, v7
	v_mul_f32_e32 v26, v2, v26
	v_fmac_f32_e32 v14, v4, v16
	v_fmac_f32_e32 v38, v1, v37
	;; [unrolled: 1-line block ×4, first 2 shown]
	s_delay_alu instid0(VALU_DEP_4) | instskip(NEXT) | instid1(VALU_DEP_4)
	v_dual_fmac_f32 v22, v1, v21 :: v_dual_add_f32 v71, v71, v14
	v_fmac_f32_e32 v38, v3, v39
	s_delay_alu instid0(VALU_DEP_4)
	v_add_f32_e32 v67, v67, v30
	v_mul_f32_e32 v18, v2, v18
	v_mul_f32_e32 v10, v2, v10
	s_waitcnt vmcnt(0)
	v_mul_f32_e32 v2, v2, v46
	v_fmac_f32_e32 v38, v4, v40
	v_fmac_f32_e32 v50, v3, v51
	;; [unrolled: 1-line block ×5, first 2 shown]
	s_delay_alu instid0(VALU_DEP_4) | instskip(NEXT) | instid1(VALU_DEP_4)
	v_dual_add_f32 v65, v65, v38 :: v_dual_fmac_f32 v50, v4, v52
	v_add_f32_e32 v73, v73, v6
	v_fmac_f32_e32 v42, v1, v41
	v_fmac_f32_e32 v22, v3, v23
	s_delay_alu instid0(VALU_DEP_4)
	v_dual_fmac_f32 v18, v1, v17 :: v_dual_add_f32 v63, v63, v50
	v_fmac_f32_e32 v10, v1, v9
	v_fmac_f32_e32 v2, v1, v45
	;; [unrolled: 1-line block ×8, first 2 shown]
	s_delay_alu instid0(VALU_DEP_4) | instskip(NEXT) | instid1(VALU_DEP_4)
	v_dual_fmac_f32 v2, v3, v47 :: v_dual_add_f32 v69, v69, v22
	v_fmac_f32_e32 v42, v4, v44
	v_fmac_f32_e32 v34, v4, v36
	;; [unrolled: 1-line block ×6, first 2 shown]
	v_add_f32_e32 v64, v64, v42
	v_add_f32_e32 v66, v66, v34
	;; [unrolled: 1-line block ×6, first 2 shown]
.LBB30_39:                              ;   in Loop: Header=BB30_40 Depth=1
	s_or_b32 exec_lo, exec_lo, s13
	v_add_nc_u32_e32 v53, 4, v53
	v_add_co_u32 v54, s0, v54, 16
	s_delay_alu instid0(VALU_DEP_1) | instskip(NEXT) | instid1(VALU_DEP_3)
	v_add_co_ci_u32_e64 v55, s0, 0, v55, s0
	v_cmp_le_i32_e32 vcc_lo, s8, v53
	v_add_nc_u32_e32 v57, 64, v57
	v_add_nc_u32_e32 v76, 0x100, v76
	s_or_b32 s3, vcc_lo, s3
	s_delay_alu instid0(SALU_CYCLE_1)
	s_and_not1_b32 exec_lo, exec_lo, s3
	s_cbranch_execz .LBB30_65
.LBB30_40:                              ; =>This Inner Loop Header: Depth=1
	v_sub_nc_u32_e32 v1, 0, v57
	s_delay_alu instid0(VALU_DEP_1) | instskip(NEXT) | instid1(VALU_DEP_1)
	v_max_i32_e32 v1, v57, v1
	v_mul_hi_u32 v2, v1, s25
	s_delay_alu instid0(VALU_DEP_1) | instskip(NEXT) | instid1(VALU_DEP_1)
	v_mul_lo_u32 v3, v2, s21
	v_sub_nc_u32_e32 v1, v1, v3
	v_add_nc_u32_e32 v3, 1, v2
	s_delay_alu instid0(VALU_DEP_2) | instskip(SKIP_1) | instid1(VALU_DEP_2)
	v_subrev_nc_u32_e32 v4, s21, v1
	v_cmp_le_u32_e32 vcc_lo, s21, v1
	v_dual_cndmask_b32 v2, v2, v3 :: v_dual_cndmask_b32 v1, v1, v4
	v_ashrrev_i32_e32 v3, 31, v57
	s_delay_alu instid0(VALU_DEP_2) | instskip(NEXT) | instid1(VALU_DEP_3)
	v_add_nc_u32_e32 v4, 1, v2
	v_cmp_le_u32_e32 vcc_lo, s21, v1
	s_delay_alu instid0(VALU_DEP_3) | instskip(NEXT) | instid1(VALU_DEP_3)
	v_xor_b32_e32 v3, s11, v3
	v_cndmask_b32_e32 v1, v2, v4, vcc_lo
	s_delay_alu instid0(VALU_DEP_1) | instskip(NEXT) | instid1(VALU_DEP_1)
	v_xor_b32_e32 v1, v1, v3
	v_sub_nc_u32_e32 v1, v1, v3
	s_delay_alu instid0(VALU_DEP_1) | instskip(SKIP_1) | instid1(VALU_DEP_2)
	v_add_nc_u32_e32 v2, s33, v1
	v_cmp_lt_i32_e64 s0, s2, v1
	v_sub_nc_u32_e32 v3, 0, v2
	s_delay_alu instid0(VALU_DEP_1) | instskip(NEXT) | instid1(VALU_DEP_1)
	v_max_i32_e32 v3, v2, v3
	v_mul_hi_u32 v4, v3, v81
	s_delay_alu instid0(VALU_DEP_1) | instskip(NEXT) | instid1(VALU_DEP_1)
	v_mul_lo_u32 v4, v4, s10
	v_sub_nc_u32_e32 v3, v3, v4
	s_delay_alu instid0(VALU_DEP_1) | instskip(SKIP_1) | instid1(VALU_DEP_2)
	v_subrev_nc_u32_e32 v4, s10, v3
	v_cmp_le_u32_e32 vcc_lo, s10, v3
	v_cndmask_b32_e32 v3, v3, v4, vcc_lo
	v_ashrrev_i32_e32 v2, 31, v2
	s_delay_alu instid0(VALU_DEP_2) | instskip(SKIP_1) | instid1(VALU_DEP_2)
	v_subrev_nc_u32_e32 v4, s10, v3
	v_cmp_le_u32_e32 vcc_lo, s10, v3
	v_cndmask_b32_e32 v3, v3, v4, vcc_lo
	s_delay_alu instid0(VALU_DEP_1) | instskip(NEXT) | instid1(VALU_DEP_1)
	v_xor_b32_e32 v3, v3, v2
	v_sub_nc_u32_e32 v2, v3, v2
	s_delay_alu instid0(VALU_DEP_1) | instskip(SKIP_1) | instid1(SALU_CYCLE_1)
	v_cmp_eq_u32_e32 vcc_lo, 0, v2
	s_or_b32 s0, vcc_lo, s0
	s_and_saveexec_b32 s13, s0
	s_cbranch_execz .LBB30_39
; %bb.41:                               ;   in Loop: Header=BB30_40 Depth=1
	global_load_b32 v3, v[54:55], off
	v_add_nc_u32_e32 v82, v74, v57
	s_delay_alu instid0(VALU_DEP_1) | instskip(SKIP_4) | instid1(VALU_DEP_1)
	v_add_nc_u32_e32 v85, 1, v82
	v_add_nc_u32_e32 v84, 2, v82
	;; [unrolled: 1-line block ×3, first 2 shown]
	s_waitcnt vmcnt(0)
	v_mad_i64_i32 v[1:2], null, v3, s5, 0
	v_lshlrev_b64 v[1:2], 2, v[1:2]
	s_delay_alu instid0(VALU_DEP_1) | instskip(NEXT) | instid1(VALU_DEP_2)
	v_add_co_u32 v45, vcc_lo, s7, v1
	v_add_co_ci_u32_e32 v46, vcc_lo, s9, v2, vcc_lo
	ds_load_b128 v[1:4], v76
	v_add_co_u32 v33, vcc_lo, v45, v75
	v_add_co_ci_u32_e32 v34, vcc_lo, 0, v46, vcc_lo
	v_cmp_eq_u32_e32 vcc_lo, s36, v53
	global_load_b128 v[5:8], v[33:34], off
	s_and_saveexec_b32 s14, vcc_lo
	s_cbranch_execnz .LBB30_58
; %bb.42:                               ;   in Loop: Header=BB30_40 Depth=1
	s_or_b32 exec_lo, exec_lo, s14
	global_load_b128 v[9:12], v[33:34], off offset:512
	s_and_saveexec_b32 s14, vcc_lo
	s_cbranch_execnz .LBB30_59
.LBB30_43:                              ;   in Loop: Header=BB30_40 Depth=1
	s_or_b32 exec_lo, exec_lo, s14
	global_load_b128 v[13:16], v[33:34], off offset:1024
	s_and_saveexec_b32 s14, vcc_lo
	s_cbranch_execnz .LBB30_60
.LBB30_44:                              ;   in Loop: Header=BB30_40 Depth=1
	s_or_b32 exec_lo, exec_lo, s14
	global_load_b128 v[17:20], v[33:34], off offset:1536
	s_and_saveexec_b32 s14, vcc_lo
	s_cbranch_execnz .LBB30_61
.LBB30_45:                              ;   in Loop: Header=BB30_40 Depth=1
	s_or_b32 exec_lo, exec_lo, s14
	global_load_b128 v[21:24], v[33:34], off offset:2048
	s_and_saveexec_b32 s14, vcc_lo
	s_cbranch_execnz .LBB30_62
.LBB30_46:                              ;   in Loop: Header=BB30_40 Depth=1
	s_or_b32 exec_lo, exec_lo, s14
	global_load_b128 v[25:28], v[33:34], off offset:2560
	s_and_saveexec_b32 s14, vcc_lo
	s_cbranch_execnz .LBB30_63
.LBB30_47:                              ;   in Loop: Header=BB30_40 Depth=1
	s_or_b32 exec_lo, exec_lo, s14
	global_load_b128 v[29:32], v[33:34], off offset:3072
	s_and_saveexec_b32 s14, vcc_lo
	s_cbranch_execnz .LBB30_64
.LBB30_48:                              ;   in Loop: Header=BB30_40 Depth=1
	s_or_b32 exec_lo, exec_lo, s14
	global_load_b128 v[33:36], v[33:34], off offset:3584
	s_and_saveexec_b32 s14, vcc_lo
	s_cbranch_execz .LBB30_50
.LBB30_49:                              ;   in Loop: Header=BB30_40 Depth=1
	v_cmp_gt_i32_e64 s0, s15, v82
	s_waitcnt vmcnt(0)
	s_delay_alu instid0(VALU_DEP_1) | instskip(SKIP_1) | instid1(VALU_DEP_1)
	v_cndmask_b32_e64 v33, 0, v33, s0
	v_cmp_gt_i32_e64 s0, s15, v85
	v_cndmask_b32_e64 v34, 0, v34, s0
	v_cmp_gt_i32_e64 s0, s15, v84
	s_delay_alu instid0(VALU_DEP_1) | instskip(SKIP_1) | instid1(VALU_DEP_1)
	v_cndmask_b32_e64 v35, 0, v35, s0
	v_cmp_gt_i32_e64 s0, s15, v83
	v_cndmask_b32_e64 v36, 0, v36, s0
.LBB30_50:                              ;   in Loop: Header=BB30_40 Depth=1
	s_or_b32 exec_lo, exec_lo, s14
	v_add_co_u32 v37, s0, v45, v77
	s_delay_alu instid0(VALU_DEP_1)
	v_add_co_ci_u32_e64 v38, s0, 0, v46, s0
	global_load_b128 v[37:40], v[37:38], off
	s_and_saveexec_b32 s14, vcc_lo
	s_cbranch_execz .LBB30_52
; %bb.51:                               ;   in Loop: Header=BB30_40 Depth=1
	v_cmp_gt_i32_e64 s0, s15, v82
	s_waitcnt vmcnt(0)
	s_delay_alu instid0(VALU_DEP_1) | instskip(SKIP_1) | instid1(VALU_DEP_1)
	v_cndmask_b32_e64 v37, 0, v37, s0
	v_cmp_gt_i32_e64 s0, s15, v85
	v_cndmask_b32_e64 v38, 0, v38, s0
	v_cmp_gt_i32_e64 s0, s15, v84
	s_delay_alu instid0(VALU_DEP_1) | instskip(SKIP_1) | instid1(VALU_DEP_1)
	v_cndmask_b32_e64 v39, 0, v39, s0
	v_cmp_gt_i32_e64 s0, s15, v83
	v_cndmask_b32_e64 v40, 0, v40, s0
.LBB30_52:                              ;   in Loop: Header=BB30_40 Depth=1
	s_or_b32 exec_lo, exec_lo, s14
	v_add_co_u32 v41, s0, v45, v78
	s_delay_alu instid0(VALU_DEP_1)
	v_add_co_ci_u32_e64 v42, s0, 0, v46, s0
	global_load_b128 v[41:44], v[41:42], off
	s_and_saveexec_b32 s14, vcc_lo
	s_cbranch_execz .LBB30_54
; %bb.53:                               ;   in Loop: Header=BB30_40 Depth=1
	v_cmp_gt_i32_e64 s0, s15, v82
	s_waitcnt vmcnt(0)
	s_delay_alu instid0(VALU_DEP_1) | instskip(SKIP_1) | instid1(VALU_DEP_1)
	v_cndmask_b32_e64 v41, 0, v41, s0
	v_cmp_gt_i32_e64 s0, s15, v85
	v_cndmask_b32_e64 v42, 0, v42, s0
	v_cmp_gt_i32_e64 s0, s15, v84
	s_delay_alu instid0(VALU_DEP_1) | instskip(SKIP_1) | instid1(VALU_DEP_1)
	v_cndmask_b32_e64 v43, 0, v43, s0
	v_cmp_gt_i32_e64 s0, s15, v83
	v_cndmask_b32_e64 v44, 0, v44, s0
.LBB30_54:                              ;   in Loop: Header=BB30_40 Depth=1
	;; [unrolled: 20-line block ×3, first 2 shown]
	s_or_b32 exec_lo, exec_lo, s14
	v_add_co_u32 v45, s0, v45, v80
	s_delay_alu instid0(VALU_DEP_1)
	v_add_co_ci_u32_e64 v46, s0, 0, v46, s0
	global_load_b128 v[45:48], v[45:46], off
	s_and_saveexec_b32 s0, vcc_lo
	s_cbranch_execz .LBB30_38
; %bb.57:                               ;   in Loop: Header=BB30_40 Depth=1
	v_cmp_gt_i32_e32 vcc_lo, s15, v82
	s_waitcnt vmcnt(0)
	v_cndmask_b32_e32 v45, 0, v45, vcc_lo
	v_cmp_gt_i32_e32 vcc_lo, s15, v85
	v_cndmask_b32_e32 v46, 0, v46, vcc_lo
	v_cmp_gt_i32_e32 vcc_lo, s15, v84
	;; [unrolled: 2-line block ×3, first 2 shown]
	v_cndmask_b32_e32 v48, 0, v48, vcc_lo
	s_branch .LBB30_38
.LBB30_58:                              ;   in Loop: Header=BB30_40 Depth=1
	v_cmp_gt_i32_e64 s0, s15, v82
	s_waitcnt vmcnt(0)
	s_delay_alu instid0(VALU_DEP_1) | instskip(SKIP_1) | instid1(VALU_DEP_1)
	v_cndmask_b32_e64 v5, 0, v5, s0
	v_cmp_gt_i32_e64 s0, s15, v85
	v_cndmask_b32_e64 v6, 0, v6, s0
	v_cmp_gt_i32_e64 s0, s15, v84
	s_delay_alu instid0(VALU_DEP_1) | instskip(SKIP_1) | instid1(VALU_DEP_1)
	v_cndmask_b32_e64 v7, 0, v7, s0
	v_cmp_gt_i32_e64 s0, s15, v83
	v_cndmask_b32_e64 v8, 0, v8, s0
	s_or_b32 exec_lo, exec_lo, s14
	global_load_b128 v[9:12], v[33:34], off offset:512
	s_and_saveexec_b32 s14, vcc_lo
	s_cbranch_execz .LBB30_43
.LBB30_59:                              ;   in Loop: Header=BB30_40 Depth=1
	v_cmp_gt_i32_e64 s0, s15, v82
	s_waitcnt vmcnt(0)
	s_delay_alu instid0(VALU_DEP_1) | instskip(SKIP_1) | instid1(VALU_DEP_1)
	v_cndmask_b32_e64 v9, 0, v9, s0
	v_cmp_gt_i32_e64 s0, s15, v85
	v_cndmask_b32_e64 v10, 0, v10, s0
	v_cmp_gt_i32_e64 s0, s15, v84
	s_delay_alu instid0(VALU_DEP_1) | instskip(SKIP_1) | instid1(VALU_DEP_1)
	v_cndmask_b32_e64 v11, 0, v11, s0
	v_cmp_gt_i32_e64 s0, s15, v83
	v_cndmask_b32_e64 v12, 0, v12, s0
	s_or_b32 exec_lo, exec_lo, s14
	global_load_b128 v[13:16], v[33:34], off offset:1024
	s_and_saveexec_b32 s14, vcc_lo
	s_cbranch_execz .LBB30_44
.LBB30_60:                              ;   in Loop: Header=BB30_40 Depth=1
	v_cmp_gt_i32_e64 s0, s15, v82
	s_waitcnt vmcnt(0)
	s_delay_alu instid0(VALU_DEP_1) | instskip(SKIP_1) | instid1(VALU_DEP_1)
	v_cndmask_b32_e64 v13, 0, v13, s0
	v_cmp_gt_i32_e64 s0, s15, v85
	v_cndmask_b32_e64 v14, 0, v14, s0
	v_cmp_gt_i32_e64 s0, s15, v84
	s_delay_alu instid0(VALU_DEP_1) | instskip(SKIP_1) | instid1(VALU_DEP_1)
	v_cndmask_b32_e64 v15, 0, v15, s0
	v_cmp_gt_i32_e64 s0, s15, v83
	v_cndmask_b32_e64 v16, 0, v16, s0
	s_or_b32 exec_lo, exec_lo, s14
	global_load_b128 v[17:20], v[33:34], off offset:1536
	s_and_saveexec_b32 s14, vcc_lo
	s_cbranch_execz .LBB30_45
.LBB30_61:                              ;   in Loop: Header=BB30_40 Depth=1
	v_cmp_gt_i32_e64 s0, s15, v82
	s_waitcnt vmcnt(0)
	s_delay_alu instid0(VALU_DEP_1) | instskip(SKIP_1) | instid1(VALU_DEP_1)
	v_cndmask_b32_e64 v17, 0, v17, s0
	v_cmp_gt_i32_e64 s0, s15, v85
	v_cndmask_b32_e64 v18, 0, v18, s0
	v_cmp_gt_i32_e64 s0, s15, v84
	s_delay_alu instid0(VALU_DEP_1) | instskip(SKIP_1) | instid1(VALU_DEP_1)
	v_cndmask_b32_e64 v19, 0, v19, s0
	v_cmp_gt_i32_e64 s0, s15, v83
	v_cndmask_b32_e64 v20, 0, v20, s0
	s_or_b32 exec_lo, exec_lo, s14
	global_load_b128 v[21:24], v[33:34], off offset:2048
	s_and_saveexec_b32 s14, vcc_lo
	s_cbranch_execz .LBB30_46
.LBB30_62:                              ;   in Loop: Header=BB30_40 Depth=1
	v_cmp_gt_i32_e64 s0, s15, v82
	s_waitcnt vmcnt(0)
	s_delay_alu instid0(VALU_DEP_1) | instskip(SKIP_1) | instid1(VALU_DEP_1)
	v_cndmask_b32_e64 v21, 0, v21, s0
	v_cmp_gt_i32_e64 s0, s15, v85
	v_cndmask_b32_e64 v22, 0, v22, s0
	v_cmp_gt_i32_e64 s0, s15, v84
	s_delay_alu instid0(VALU_DEP_1) | instskip(SKIP_1) | instid1(VALU_DEP_1)
	v_cndmask_b32_e64 v23, 0, v23, s0
	v_cmp_gt_i32_e64 s0, s15, v83
	v_cndmask_b32_e64 v24, 0, v24, s0
	s_or_b32 exec_lo, exec_lo, s14
	global_load_b128 v[25:28], v[33:34], off offset:2560
	s_and_saveexec_b32 s14, vcc_lo
	s_cbranch_execz .LBB30_47
.LBB30_63:                              ;   in Loop: Header=BB30_40 Depth=1
	v_cmp_gt_i32_e64 s0, s15, v82
	s_waitcnt vmcnt(0)
	s_delay_alu instid0(VALU_DEP_1) | instskip(SKIP_1) | instid1(VALU_DEP_1)
	v_cndmask_b32_e64 v25, 0, v25, s0
	v_cmp_gt_i32_e64 s0, s15, v85
	v_cndmask_b32_e64 v26, 0, v26, s0
	v_cmp_gt_i32_e64 s0, s15, v84
	s_delay_alu instid0(VALU_DEP_1) | instskip(SKIP_1) | instid1(VALU_DEP_1)
	v_cndmask_b32_e64 v27, 0, v27, s0
	v_cmp_gt_i32_e64 s0, s15, v83
	v_cndmask_b32_e64 v28, 0, v28, s0
	s_or_b32 exec_lo, exec_lo, s14
	global_load_b128 v[29:32], v[33:34], off offset:3072
	s_and_saveexec_b32 s14, vcc_lo
	s_cbranch_execz .LBB30_48
.LBB30_64:                              ;   in Loop: Header=BB30_40 Depth=1
	v_cmp_gt_i32_e64 s0, s15, v82
	s_waitcnt vmcnt(0)
	s_delay_alu instid0(VALU_DEP_1) | instskip(SKIP_1) | instid1(VALU_DEP_1)
	v_cndmask_b32_e64 v29, 0, v29, s0
	v_cmp_gt_i32_e64 s0, s15, v85
	v_cndmask_b32_e64 v30, 0, v30, s0
	v_cmp_gt_i32_e64 s0, s15, v84
	s_delay_alu instid0(VALU_DEP_1) | instskip(SKIP_1) | instid1(VALU_DEP_1)
	v_cndmask_b32_e64 v31, 0, v31, s0
	v_cmp_gt_i32_e64 s0, s15, v83
	v_cndmask_b32_e64 v32, 0, v32, s0
	s_or_b32 exec_lo, exec_lo, s14
	global_load_b128 v[33:36], v[33:34], off offset:3584
	s_and_saveexec_b32 s14, vcc_lo
	s_cbranch_execnz .LBB30_49
	s_branch .LBB30_50
.LBB30_65:
	s_or_b32 exec_lo, exec_lo, s3
.LBB30_66:
	s_delay_alu instid0(SALU_CYCLE_1)
	s_or_b32 exec_lo, exec_lo, s1
	ds_bpermute_b32 v1, v59, v73
	ds_bpermute_b32 v3, v59, v71
	;; [unrolled: 1-line block ×12, first 2 shown]
	s_movk_i32 s0, 0x180
	s_waitcnt lgkmcnt(0)
	s_waitcnt_vscnt null, 0x0
	s_barrier
	buffer_gl0_inv
	v_add_f32_e32 v1, v73, v1
	v_dual_add_f32 v3, v71, v3 :: v_dual_add_f32 v2, v72, v2
	v_dual_add_f32 v4, v70, v4 :: v_dual_add_f32 v5, v69, v5
	;; [unrolled: 1-line block ×5, first 2 shown]
	v_add_f32_e32 v12, v62, v12
	ds_bpermute_b32 v13, v60, v1
	ds_bpermute_b32 v15, v60, v3
	;; [unrolled: 1-line block ×12, first 2 shown]
	s_waitcnt lgkmcnt(11)
	v_add_f32_e32 v1, v1, v13
	s_waitcnt lgkmcnt(10)
	v_add_f32_e32 v3, v3, v15
	v_and_b32_e32 v15, 0x3c3, v0
	s_waitcnt lgkmcnt(8)
	v_add_f32_e32 v4, v4, v16
	v_lshrrev_b32_e32 v13, 2, v58
	s_waitcnt lgkmcnt(7)
	v_dual_add_f32 v2, v2, v14 :: v_dual_add_f32 v5, v5, v17
	s_waitcnt lgkmcnt(5)
	v_dual_add_f32 v6, v6, v18 :: v_dual_add_f32 v7, v7, v19
	;; [unrolled: 2-line block ×4, first 2 shown]
	s_waitcnt lgkmcnt(0)
	v_add_f32_e32 v12, v12, v24
	v_mad_u32_u24 v14, v56, s0, 0x1a0
	v_cmp_eq_u32_e32 vcc_lo, 64, v15
	v_lshlrev_b32_e32 v15, 2, v13
	s_and_saveexec_b32 s0, vcc_lo
	s_cbranch_execz .LBB30_68
; %bb.67:
	s_delay_alu instid0(VALU_DEP_1)
	v_add3_u32 v16, v14, v15, 0xfffffd00
	ds_store_2addr_b32 v16, v1, v2 offset1:8
	ds_store_2addr_b32 v16, v3, v4 offset0:16 offset1:24
	ds_store_2addr_b32 v16, v5, v6 offset0:32 offset1:40
	;; [unrolled: 1-line block ×5, first 2 shown]
.LBB30_68:
	s_or_b32 exec_lo, exec_lo, s0
	v_cmp_eq_u32_e32 vcc_lo, 0, v61
	s_mov_b32 s1, exec_lo
	s_waitcnt lgkmcnt(0)
	s_barrier
	buffer_gl0_inv
	v_cmpx_gt_u32_e32 64, v0
	s_cbranch_execz .LBB30_83
; %bb.69:
	s_and_saveexec_b32 s0, vcc_lo
	s_cbranch_execnz .LBB30_103
; %bb.70:
	s_or_b32 exec_lo, exec_lo, s0
	s_and_saveexec_b32 s0, vcc_lo
	s_cbranch_execnz .LBB30_104
.LBB30_71:
	s_or_b32 exec_lo, exec_lo, s0
	s_and_saveexec_b32 s0, vcc_lo
	s_cbranch_execnz .LBB30_105
.LBB30_72:
	s_or_b32 exec_lo, exec_lo, s0
	s_and_saveexec_b32 s0, vcc_lo
	s_cbranch_execnz .LBB30_106
.LBB30_73:
	s_or_b32 exec_lo, exec_lo, s0
	s_and_saveexec_b32 s0, vcc_lo
	s_cbranch_execnz .LBB30_107
.LBB30_74:
	s_or_b32 exec_lo, exec_lo, s0
	s_and_saveexec_b32 s0, vcc_lo
	s_cbranch_execnz .LBB30_108
.LBB30_75:
	s_or_b32 exec_lo, exec_lo, s0
	s_and_saveexec_b32 s0, vcc_lo
	s_cbranch_execnz .LBB30_109
.LBB30_76:
	s_or_b32 exec_lo, exec_lo, s0
	s_and_saveexec_b32 s0, vcc_lo
	s_cbranch_execnz .LBB30_110
.LBB30_77:
	s_or_b32 exec_lo, exec_lo, s0
	s_and_saveexec_b32 s0, vcc_lo
	s_cbranch_execnz .LBB30_111
.LBB30_78:
	s_or_b32 exec_lo, exec_lo, s0
	s_and_saveexec_b32 s0, vcc_lo
	s_cbranch_execnz .LBB30_112
.LBB30_79:
	s_or_b32 exec_lo, exec_lo, s0
	s_and_saveexec_b32 s0, vcc_lo
	s_cbranch_execnz .LBB30_113
.LBB30_80:
	s_or_b32 exec_lo, exec_lo, s0
	s_and_saveexec_b32 s0, vcc_lo
	s_cbranch_execz .LBB30_82
.LBB30_81:
	v_lshl_add_u32 v16, v13, 2, v14
	ds_load_b32 v16, v16 offset:352
	s_waitcnt lgkmcnt(0)
	v_add_f32_e32 v12, v12, v16
.LBB30_82:
	s_or_b32 exec_lo, exec_lo, s0
.LBB30_83:
	s_delay_alu instid0(SALU_CYCLE_1)
	s_or_b32 exec_lo, exec_lo, s1
	v_and_b32_e32 v16, 0x3e3, v0
	s_mov_b32 s1, exec_lo
	s_barrier
	buffer_gl0_inv
	v_cmpx_eq_u32_e32 32, v16
	s_cbranch_execz .LBB30_85
; %bb.84:
	v_add3_u32 v15, v14, v15, 0xfffffe80
	ds_store_2addr_b32 v15, v1, v2 offset1:8
	ds_store_2addr_b32 v15, v3, v4 offset0:16 offset1:24
	ds_store_2addr_b32 v15, v5, v6 offset0:32 offset1:40
	;; [unrolled: 1-line block ×5, first 2 shown]
.LBB30_85:
	s_or_b32 exec_lo, exec_lo, s1
	s_delay_alu instid0(SALU_CYCLE_1)
	s_mov_b32 s1, exec_lo
	s_waitcnt lgkmcnt(0)
	s_barrier
	buffer_gl0_inv
	v_cmpx_gt_u32_e32 32, v0
	s_cbranch_execz .LBB30_100
; %bb.86:
	v_lshl_add_u32 v13, v13, 2, v14
	s_and_saveexec_b32 s0, vcc_lo
	s_cbranch_execnz .LBB30_114
; %bb.87:
	s_or_b32 exec_lo, exec_lo, s0
	s_and_saveexec_b32 s0, vcc_lo
	s_cbranch_execnz .LBB30_115
.LBB30_88:
	s_or_b32 exec_lo, exec_lo, s0
	s_and_saveexec_b32 s0, vcc_lo
	s_cbranch_execnz .LBB30_116
.LBB30_89:
	s_or_b32 exec_lo, exec_lo, s0
	s_and_saveexec_b32 s0, vcc_lo
	s_cbranch_execnz .LBB30_117
.LBB30_90:
	s_or_b32 exec_lo, exec_lo, s0
	s_and_saveexec_b32 s0, vcc_lo
	s_cbranch_execnz .LBB30_118
.LBB30_91:
	s_or_b32 exec_lo, exec_lo, s0
	s_and_saveexec_b32 s0, vcc_lo
	s_cbranch_execnz .LBB30_119
.LBB30_92:
	s_or_b32 exec_lo, exec_lo, s0
	s_and_saveexec_b32 s0, vcc_lo
	s_cbranch_execnz .LBB30_120
.LBB30_93:
	s_or_b32 exec_lo, exec_lo, s0
	s_and_saveexec_b32 s0, vcc_lo
	s_cbranch_execnz .LBB30_121
.LBB30_94:
	s_or_b32 exec_lo, exec_lo, s0
	s_and_saveexec_b32 s0, vcc_lo
	s_cbranch_execnz .LBB30_122
.LBB30_95:
	s_or_b32 exec_lo, exec_lo, s0
	s_and_saveexec_b32 s0, vcc_lo
	s_cbranch_execnz .LBB30_123
.LBB30_96:
	s_or_b32 exec_lo, exec_lo, s0
	s_and_saveexec_b32 s0, vcc_lo
	s_cbranch_execnz .LBB30_124
.LBB30_97:
	s_or_b32 exec_lo, exec_lo, s0
	s_and_saveexec_b32 s0, vcc_lo
	s_cbranch_execz .LBB30_99
.LBB30_98:
	ds_load_b32 v13, v13 offset:352
	s_waitcnt lgkmcnt(0)
	v_add_f32_e32 v12, v12, v13
.LBB30_99:
	s_or_b32 exec_lo, exec_lo, s0
.LBB30_100:
	s_delay_alu instid0(SALU_CYCLE_1)
	s_or_b32 exec_lo, exec_lo, s1
	s_barrier
	buffer_gl0_inv
	s_mov_b32 s0, exec_lo
	v_cmpx_eq_u32_e32 0, v16
	s_cbranch_execz .LBB30_102
; %bb.101:
	s_mul_i32 s0, s6, 0x60
	s_mul_i32 s2, s4, s20
	s_ashr_i32 s1, s0, 31
	s_delay_alu instid0(SALU_CYCLE_1) | instskip(NEXT) | instid1(SALU_CYCLE_1)
	s_lshl_b64 s[0:1], s[0:1], 2
	s_add_u32 s4, s22, s0
	s_addc_u32 s5, s23, s1
	s_ashr_i32 s3, s2, 31
	s_delay_alu instid0(SALU_CYCLE_1) | instskip(SKIP_4) | instid1(SALU_CYCLE_1)
	s_lshl_b64 s[0:1], s[2:3], 2
	s_mul_i32 s2, s12, 0x60
	s_add_u32 s4, s4, s0
	s_addc_u32 s5, s5, s1
	s_ashr_i32 s3, s2, 31
	s_lshl_b64 s[0:1], s[2:3], 2
	s_delay_alu instid0(SALU_CYCLE_1)
	s_add_u32 s0, s4, s0
	s_addc_u32 s1, s5, s1
	s_clause 0xb
	global_store_b32 v0, v1, s[0:1]
	global_store_b32 v0, v2, s[0:1] offset:32
	global_store_b32 v0, v3, s[0:1] offset:64
	global_store_b32 v0, v4, s[0:1] offset:96
	global_store_b32 v0, v5, s[0:1] offset:128
	global_store_b32 v0, v6, s[0:1] offset:160
	global_store_b32 v0, v7, s[0:1] offset:192
	global_store_b32 v0, v8, s[0:1] offset:224
	global_store_b32 v0, v9, s[0:1] offset:256
	global_store_b32 v0, v10, s[0:1] offset:288
	global_store_b32 v0, v11, s[0:1] offset:320
	global_store_b32 v0, v12, s[0:1] offset:352
.LBB30_102:
	s_nop 0
	s_sendmsg sendmsg(MSG_DEALLOC_VGPRS)
	s_endpgm
.LBB30_103:
	v_lshl_add_u32 v16, v13, 2, v14
	ds_load_b32 v16, v16
	s_waitcnt lgkmcnt(0)
	v_add_f32_e32 v1, v1, v16
	s_or_b32 exec_lo, exec_lo, s0
	s_and_saveexec_b32 s0, vcc_lo
	s_cbranch_execz .LBB30_71
.LBB30_104:
	v_lshl_add_u32 v16, v13, 2, v14
	ds_load_b32 v16, v16 offset:32
	s_waitcnt lgkmcnt(0)
	v_add_f32_e32 v2, v2, v16
	s_or_b32 exec_lo, exec_lo, s0
	s_and_saveexec_b32 s0, vcc_lo
	s_cbranch_execz .LBB30_72
.LBB30_105:
	v_lshl_add_u32 v16, v13, 2, v14
	ds_load_b32 v16, v16 offset:64
	s_waitcnt lgkmcnt(0)
	v_add_f32_e32 v3, v3, v16
	s_or_b32 exec_lo, exec_lo, s0
	s_and_saveexec_b32 s0, vcc_lo
	s_cbranch_execz .LBB30_73
.LBB30_106:
	v_lshl_add_u32 v16, v13, 2, v14
	ds_load_b32 v16, v16 offset:96
	s_waitcnt lgkmcnt(0)
	v_add_f32_e32 v4, v4, v16
	s_or_b32 exec_lo, exec_lo, s0
	s_and_saveexec_b32 s0, vcc_lo
	s_cbranch_execz .LBB30_74
.LBB30_107:
	v_lshl_add_u32 v16, v13, 2, v14
	ds_load_b32 v16, v16 offset:128
	s_waitcnt lgkmcnt(0)
	v_add_f32_e32 v5, v5, v16
	s_or_b32 exec_lo, exec_lo, s0
	s_and_saveexec_b32 s0, vcc_lo
	s_cbranch_execz .LBB30_75
.LBB30_108:
	v_lshl_add_u32 v16, v13, 2, v14
	ds_load_b32 v16, v16 offset:160
	s_waitcnt lgkmcnt(0)
	v_add_f32_e32 v6, v6, v16
	s_or_b32 exec_lo, exec_lo, s0
	s_and_saveexec_b32 s0, vcc_lo
	s_cbranch_execz .LBB30_76
.LBB30_109:
	v_lshl_add_u32 v16, v13, 2, v14
	ds_load_b32 v16, v16 offset:192
	s_waitcnt lgkmcnt(0)
	v_add_f32_e32 v7, v7, v16
	s_or_b32 exec_lo, exec_lo, s0
	s_and_saveexec_b32 s0, vcc_lo
	s_cbranch_execz .LBB30_77
.LBB30_110:
	v_lshl_add_u32 v16, v13, 2, v14
	ds_load_b32 v16, v16 offset:224
	s_waitcnt lgkmcnt(0)
	v_add_f32_e32 v8, v8, v16
	s_or_b32 exec_lo, exec_lo, s0
	s_and_saveexec_b32 s0, vcc_lo
	s_cbranch_execz .LBB30_78
.LBB30_111:
	v_lshl_add_u32 v16, v13, 2, v14
	ds_load_b32 v16, v16 offset:256
	s_waitcnt lgkmcnt(0)
	v_add_f32_e32 v9, v9, v16
	s_or_b32 exec_lo, exec_lo, s0
	s_and_saveexec_b32 s0, vcc_lo
	s_cbranch_execz .LBB30_79
.LBB30_112:
	v_lshl_add_u32 v16, v13, 2, v14
	ds_load_b32 v16, v16 offset:288
	s_waitcnt lgkmcnt(0)
	v_add_f32_e32 v10, v10, v16
	s_or_b32 exec_lo, exec_lo, s0
	s_and_saveexec_b32 s0, vcc_lo
	s_cbranch_execz .LBB30_80
.LBB30_113:
	v_lshl_add_u32 v16, v13, 2, v14
	ds_load_b32 v16, v16 offset:320
	s_waitcnt lgkmcnt(0)
	v_add_f32_e32 v11, v11, v16
	s_or_b32 exec_lo, exec_lo, s0
	s_and_saveexec_b32 s0, vcc_lo
	s_cbranch_execnz .LBB30_81
	s_branch .LBB30_82
.LBB30_114:
	ds_load_b32 v14, v13
	s_waitcnt lgkmcnt(0)
	v_add_f32_e32 v1, v1, v14
	s_or_b32 exec_lo, exec_lo, s0
	s_and_saveexec_b32 s0, vcc_lo
	s_cbranch_execz .LBB30_88
.LBB30_115:
	ds_load_b32 v14, v13 offset:32
	s_waitcnt lgkmcnt(0)
	v_add_f32_e32 v2, v2, v14
	s_or_b32 exec_lo, exec_lo, s0
	s_and_saveexec_b32 s0, vcc_lo
	s_cbranch_execz .LBB30_89
.LBB30_116:
	ds_load_b32 v14, v13 offset:64
	s_waitcnt lgkmcnt(0)
	v_add_f32_e32 v3, v3, v14
	s_or_b32 exec_lo, exec_lo, s0
	s_and_saveexec_b32 s0, vcc_lo
	s_cbranch_execz .LBB30_90
.LBB30_117:
	ds_load_b32 v14, v13 offset:96
	s_waitcnt lgkmcnt(0)
	v_add_f32_e32 v4, v4, v14
	s_or_b32 exec_lo, exec_lo, s0
	s_and_saveexec_b32 s0, vcc_lo
	s_cbranch_execz .LBB30_91
.LBB30_118:
	ds_load_b32 v14, v13 offset:128
	s_waitcnt lgkmcnt(0)
	v_add_f32_e32 v5, v5, v14
	s_or_b32 exec_lo, exec_lo, s0
	s_and_saveexec_b32 s0, vcc_lo
	s_cbranch_execz .LBB30_92
.LBB30_119:
	ds_load_b32 v14, v13 offset:160
	s_waitcnt lgkmcnt(0)
	v_add_f32_e32 v6, v6, v14
	s_or_b32 exec_lo, exec_lo, s0
	s_and_saveexec_b32 s0, vcc_lo
	s_cbranch_execz .LBB30_93
.LBB30_120:
	ds_load_b32 v14, v13 offset:192
	s_waitcnt lgkmcnt(0)
	v_add_f32_e32 v7, v7, v14
	s_or_b32 exec_lo, exec_lo, s0
	s_and_saveexec_b32 s0, vcc_lo
	s_cbranch_execz .LBB30_94
.LBB30_121:
	ds_load_b32 v14, v13 offset:224
	s_waitcnt lgkmcnt(0)
	v_add_f32_e32 v8, v8, v14
	s_or_b32 exec_lo, exec_lo, s0
	s_and_saveexec_b32 s0, vcc_lo
	s_cbranch_execz .LBB30_95
.LBB30_122:
	ds_load_b32 v14, v13 offset:256
	s_waitcnt lgkmcnt(0)
	v_add_f32_e32 v9, v9, v14
	s_or_b32 exec_lo, exec_lo, s0
	s_and_saveexec_b32 s0, vcc_lo
	s_cbranch_execz .LBB30_96
.LBB30_123:
	ds_load_b32 v14, v13 offset:288
	s_waitcnt lgkmcnt(0)
	v_add_f32_e32 v10, v10, v14
	s_or_b32 exec_lo, exec_lo, s0
	s_and_saveexec_b32 s0, vcc_lo
	s_cbranch_execz .LBB30_97
.LBB30_124:
	ds_load_b32 v14, v13 offset:320
	s_waitcnt lgkmcnt(0)
	v_add_f32_e32 v11, v11, v14
	s_or_b32 exec_lo, exec_lo, s0
	s_and_saveexec_b32 s0, vcc_lo
	s_cbranch_execnz .LBB30_98
	s_branch .LBB30_99
	.section	.rodata,"a",@progbits
	.p2align	6, 0x0
	.amdhsa_kernel _ZN4vllm25paged_attention_v2_kernelIffLi96ELi16ELi128ELNS_18Fp8KVCacheDataTypeE0ELb1ELi512EEEvPfS2_PT_PKS3_PKT0_S9_ifPKiSB_iPKfiiiSD_SD_iiiii
		.amdhsa_group_segment_fixed_size 416
		.amdhsa_private_segment_fixed_size 0
		.amdhsa_kernarg_size 400
		.amdhsa_user_sgpr_count 13
		.amdhsa_user_sgpr_dispatch_ptr 0
		.amdhsa_user_sgpr_queue_ptr 0
		.amdhsa_user_sgpr_kernarg_segment_ptr 1
		.amdhsa_user_sgpr_dispatch_id 0
		.amdhsa_user_sgpr_private_segment_size 0
		.amdhsa_wavefront_size32 1
		.amdhsa_uses_dynamic_stack 0
		.amdhsa_enable_private_segment 0
		.amdhsa_system_sgpr_workgroup_id_x 1
		.amdhsa_system_sgpr_workgroup_id_y 1
		.amdhsa_system_sgpr_workgroup_id_z 1
		.amdhsa_system_sgpr_workgroup_info 0
		.amdhsa_system_vgpr_workitem_id 0
		.amdhsa_next_free_vgpr 86
		.amdhsa_next_free_sgpr 46
		.amdhsa_reserve_vcc 1
		.amdhsa_float_round_mode_32 0
		.amdhsa_float_round_mode_16_64 0
		.amdhsa_float_denorm_mode_32 3
		.amdhsa_float_denorm_mode_16_64 3
		.amdhsa_dx10_clamp 1
		.amdhsa_ieee_mode 1
		.amdhsa_fp16_overflow 0
		.amdhsa_workgroup_processor_mode 1
		.amdhsa_memory_ordered 1
		.amdhsa_forward_progress 0
		.amdhsa_shared_vgpr_count 0
		.amdhsa_exception_fp_ieee_invalid_op 0
		.amdhsa_exception_fp_denorm_src 0
		.amdhsa_exception_fp_ieee_div_zero 0
		.amdhsa_exception_fp_ieee_overflow 0
		.amdhsa_exception_fp_ieee_underflow 0
		.amdhsa_exception_fp_ieee_inexact 0
		.amdhsa_exception_int_div_zero 0
	.end_amdhsa_kernel
	.section	.text._ZN4vllm25paged_attention_v2_kernelIffLi96ELi16ELi128ELNS_18Fp8KVCacheDataTypeE0ELb1ELi512EEEvPfS2_PT_PKS3_PKT0_S9_ifPKiSB_iPKfiiiSD_SD_iiiii,"axG",@progbits,_ZN4vllm25paged_attention_v2_kernelIffLi96ELi16ELi128ELNS_18Fp8KVCacheDataTypeE0ELb1ELi512EEEvPfS2_PT_PKS3_PKT0_S9_ifPKiSB_iPKfiiiSD_SD_iiiii,comdat
.Lfunc_end30:
	.size	_ZN4vllm25paged_attention_v2_kernelIffLi96ELi16ELi128ELNS_18Fp8KVCacheDataTypeE0ELb1ELi512EEEvPfS2_PT_PKS3_PKT0_S9_ifPKiSB_iPKfiiiSD_SD_iiiii, .Lfunc_end30-_ZN4vllm25paged_attention_v2_kernelIffLi96ELi16ELi128ELNS_18Fp8KVCacheDataTypeE0ELb1ELi512EEEvPfS2_PT_PKS3_PKT0_S9_ifPKiSB_iPKfiiiSD_SD_iiiii
                                        ; -- End function
	.section	.AMDGPU.csdata,"",@progbits
; Kernel info:
; codeLenInByte = 7700
; NumSgprs: 48
; NumVgprs: 86
; ScratchSize: 0
; MemoryBound: 0
; FloatMode: 240
; IeeeMode: 1
; LDSByteSize: 416 bytes/workgroup (compile time only)
; SGPRBlocks: 5
; VGPRBlocks: 10
; NumSGPRsForWavesPerEU: 48
; NumVGPRsForWavesPerEU: 86
; Occupancy: 16
; WaveLimiterHint : 1
; COMPUTE_PGM_RSRC2:SCRATCH_EN: 0
; COMPUTE_PGM_RSRC2:USER_SGPR: 13
; COMPUTE_PGM_RSRC2:TRAP_HANDLER: 0
; COMPUTE_PGM_RSRC2:TGID_X_EN: 1
; COMPUTE_PGM_RSRC2:TGID_Y_EN: 1
; COMPUTE_PGM_RSRC2:TGID_Z_EN: 1
; COMPUTE_PGM_RSRC2:TIDIG_COMP_CNT: 0
	.section	.text._ZN4vllm25paged_attention_v2_kernelIffLi112ELi16ELi128ELNS_18Fp8KVCacheDataTypeE0ELb1ELi512EEEvPfS2_PT_PKS3_PKT0_S9_ifPKiSB_iPKfiiiSD_SD_iiiii,"axG",@progbits,_ZN4vllm25paged_attention_v2_kernelIffLi112ELi16ELi128ELNS_18Fp8KVCacheDataTypeE0ELb1ELi512EEEvPfS2_PT_PKS3_PKT0_S9_ifPKiSB_iPKfiiiSD_SD_iiiii,comdat
	.protected	_ZN4vllm25paged_attention_v2_kernelIffLi112ELi16ELi128ELNS_18Fp8KVCacheDataTypeE0ELb1ELi512EEEvPfS2_PT_PKS3_PKT0_S9_ifPKiSB_iPKfiiiSD_SD_iiiii ; -- Begin function _ZN4vllm25paged_attention_v2_kernelIffLi112ELi16ELi128ELNS_18Fp8KVCacheDataTypeE0ELb1ELi512EEEvPfS2_PT_PKS3_PKT0_S9_ifPKiSB_iPKfiiiSD_SD_iiiii
	.globl	_ZN4vllm25paged_attention_v2_kernelIffLi112ELi16ELi128ELNS_18Fp8KVCacheDataTypeE0ELb1ELi512EEEvPfS2_PT_PKS3_PKT0_S9_ifPKiSB_iPKfiiiSD_SD_iiiii
	.p2align	8
	.type	_ZN4vllm25paged_attention_v2_kernelIffLi112ELi16ELi128ELNS_18Fp8KVCacheDataTypeE0ELb1ELi512EEEvPfS2_PT_PKS3_PKT0_S9_ifPKiSB_iPKfiiiSD_SD_iiiii,@function
_ZN4vllm25paged_attention_v2_kernelIffLi112ELi16ELi128ELNS_18Fp8KVCacheDataTypeE0ELb1ELi512EEEvPfS2_PT_PKS3_PKT0_S9_ifPKiSB_iPKfiiiSD_SD_iiiii: ; @_ZN4vllm25paged_attention_v2_kernelIffLi112ELi16ELi128ELNS_18Fp8KVCacheDataTypeE0ELb1ELi512EEEvPfS2_PT_PKS3_PKT0_S9_ifPKiSB_iPKfiiiSD_SD_iiiii
; %bb.0:
	s_load_b64 s[2:3], s[0:1], 0x40
	s_mov_b32 s12, s15
	s_ashr_i32 s15, s14, 31
	s_delay_alu instid0(SALU_CYCLE_1)
	s_lshl_b64 s[4:5], s[14:15], 2
	s_waitcnt lgkmcnt(0)
	s_add_u32 s2, s2, s4
	s_addc_u32 s3, s3, s5
	s_lshl_b32 s38, s12, 9
	s_load_b32 s15, s[2:3], 0x0
	s_waitcnt lgkmcnt(0)
	s_cmp_ge_i32 s38, s15
	s_cbranch_scc1 .LBB31_110
; %bb.1:
	s_mov_b32 s24, s13
	s_clause 0x1
	s_load_b32 s13, s[0:1], 0x90
	s_load_b64 s[36:37], s[0:1], 0x30
	s_mov_b32 s40, 0
	s_waitcnt lgkmcnt(0)
	s_abs_i32 s5, s13
	s_abs_i32 s2, s36
	s_delay_alu instid0(SALU_CYCLE_1) | instskip(SKIP_1) | instid1(VALU_DEP_1)
	v_cvt_f32_u32_e32 v1, s2
	s_sub_i32 s4, 0, s2
	v_rcp_iflag_f32_e32 v1, v1
	s_waitcnt_depctr 0xfff
	v_mul_f32_e32 v1, 0x4f7ffffe, v1
	s_delay_alu instid0(VALU_DEP_1) | instskip(NEXT) | instid1(VALU_DEP_1)
	v_cvt_u32_f32_e32 v1, v1
	v_readfirstlane_b32 s3, v1
	s_delay_alu instid0(VALU_DEP_1) | instskip(NEXT) | instid1(SALU_CYCLE_1)
	s_mul_i32 s4, s4, s3
	s_mul_hi_u32 s4, s3, s4
	s_delay_alu instid0(SALU_CYCLE_1) | instskip(SKIP_4) | instid1(SALU_CYCLE_1)
	s_add_i32 s3, s3, s4
	s_xor_b32 s4, s13, s36
	s_mul_hi_u32 s3, s5, s3
	s_ashr_i32 s4, s4, 31
	s_mul_i32 s6, s3, s2
	s_sub_i32 s5, s5, s6
	s_add_i32 s6, s3, 1
	s_sub_i32 s7, s5, s2
	s_cmp_ge_u32 s5, s2
	s_cselect_b32 s3, s6, s3
	s_cselect_b32 s5, s7, s5
	s_add_i32 s6, s3, 1
	s_cmp_ge_u32 s5, s2
	s_cselect_b32 s2, s6, s3
	s_abs_i32 s17, s24
	s_xor_b32 s2, s2, s4
	s_delay_alu instid0(SALU_CYCLE_1) | instskip(SKIP_2) | instid1(SALU_CYCLE_1)
	s_sub_i32 s8, s2, s4
	s_load_b64 s[2:3], s[0:1], 0x50
	s_abs_i32 s16, s8
	v_cvt_f32_u32_e32 v1, s16
	s_sub_i32 s5, 0, s16
	s_delay_alu instid0(VALU_DEP_1) | instskip(SKIP_2) | instid1(VALU_DEP_1)
	v_rcp_iflag_f32_e32 v1, v1
	s_waitcnt_depctr 0xfff
	v_mul_f32_e32 v1, 0x4f7ffffe, v1
	v_cvt_u32_f32_e32 v1, v1
	s_delay_alu instid0(VALU_DEP_1) | instskip(NEXT) | instid1(VALU_DEP_1)
	v_readfirstlane_b32 s4, v1
	s_mul_i32 s5, s5, s4
	s_delay_alu instid0(SALU_CYCLE_1) | instskip(NEXT) | instid1(SALU_CYCLE_1)
	s_mul_hi_u32 s5, s4, s5
	s_add_i32 s4, s4, s5
	s_waitcnt lgkmcnt(0)
	s_cmp_eq_u64 s[2:3], 0
	s_mul_hi_u32 s18, s17, s4
	s_cbranch_scc1 .LBB31_3
; %bb.2:
	s_ashr_i32 s25, s24, 31
	s_delay_alu instid0(SALU_CYCLE_1) | instskip(NEXT) | instid1(SALU_CYCLE_1)
	s_lshl_b64 s[4:5], s[24:25], 2
	s_add_u32 s2, s2, s4
	s_addc_u32 s3, s3, s5
	s_load_b32 s40, s[2:3], 0x0
.LBB31_3:
	s_load_b128 s[4:7], s[0:1], 0x58
	v_and_b32_e32 v1, 1, v0
	v_lshlrev_b32_e32 v2, 3, v0
	v_lshlrev_b32_e32 v3, 2, v0
	s_ashr_i32 s2, s24, 31
	s_ashr_i32 s3, s8, 31
	s_mul_i32 s20, s24, 0x70
	s_waitcnt lgkmcnt(0)
	s_mov_b32 s7, exec_lo
	v_cmpx_gt_u32_e32 56, v0
	s_cbranch_execz .LBB31_5
; %bb.4:
	s_load_b64 s[8:9], s[0:1], 0x18
	s_mul_i32 s10, s14, s4
	v_and_b32_e32 v6, 0xff8, v3
	s_ashr_i32 s11, s10, 31
	s_delay_alu instid0(SALU_CYCLE_1) | instskip(NEXT) | instid1(VALU_DEP_1)
	s_lshl_b64 s[10:11], s[10:11], 2
	v_mad_u32_u24 v6, 0xe0, v1, v6
	s_waitcnt lgkmcnt(0)
	s_add_u32 s4, s8, s10
	s_addc_u32 s10, s9, s11
	s_ashr_i32 s21, s20, 31
	s_delay_alu instid0(SALU_CYCLE_1) | instskip(NEXT) | instid1(SALU_CYCLE_1)
	s_lshl_b64 s[8:9], s[20:21], 2
	s_add_u32 s8, s4, s8
	s_addc_u32 s9, s10, s9
	global_load_b64 v[4:5], v2, s[8:9]
	s_waitcnt vmcnt(0)
	ds_store_b64 v6, v[4:5]
.LBB31_5:
	s_or_b32 exec_lo, exec_lo, s7
	s_load_b128 s[8:11], s[0:1], 0x78
	s_mul_i32 s4, s18, s16
	s_xor_b32 s2, s2, s3
	s_sub_i32 s3, s17, s4
	s_add_i32 s4, s18, 1
	s_sub_i32 s7, s3, s16
	s_cmp_ge_u32 s3, s16
	s_mov_b32 s17, -1
	s_cselect_b32 s4, s4, s18
	s_cselect_b32 s3, s7, s3
	s_add_i32 s7, s4, 1
	s_cmp_ge_u32 s3, s16
	s_waitcnt lgkmcnt(0)
	s_cselect_b32 s3, s7, s4
	s_load_b32 s4, s[0:1], 0x88
	s_xor_b32 s3, s3, s2
	s_add_i32 s16, s15, -1
	s_sub_i32 s3, s3, s2
	s_abs_i32 s7, s16
	s_waitcnt lgkmcnt(0)
	s_barrier
	s_abs_i32 s21, s11
	buffer_gl0_inv
	v_cvt_f32_u32_e32 v4, s21
	s_sub_i32 s2, 0, s21
                                        ; implicit-def: $sgpr33
	s_delay_alu instid0(VALU_DEP_1) | instskip(SKIP_2) | instid1(VALU_DEP_1)
	v_rcp_iflag_f32_e32 v4, v4
	s_waitcnt_depctr 0xfff
	v_mul_f32_e32 v4, 0x4f7ffffe, v4
	v_cvt_u32_f32_e32 v4, v4
	s_delay_alu instid0(VALU_DEP_1) | instskip(NEXT) | instid1(VALU_DEP_1)
	v_readfirstlane_b32 s25, v4
	s_mul_i32 s2, s2, s25
	s_delay_alu instid0(SALU_CYCLE_1) | instskip(NEXT) | instid1(SALU_CYCLE_1)
	s_mul_hi_u32 s2, s25, s2
	s_add_i32 s25, s25, s2
	s_cmp_lt_i32 s4, 0
	s_mul_hi_u32 s2, s7, s25
	s_cbranch_scc0 .LBB31_7
; %bb.6:
	s_mul_i32 s17, s8, s36
	s_delay_alu instid0(SALU_CYCLE_1) | instskip(NEXT) | instid1(SALU_CYCLE_1)
	s_add_i32 s17, s3, s17
	s_mul_i32 s17, s17, s4
	s_delay_alu instid0(SALU_CYCLE_1)
	s_sub_i32 s33, 1, s17
	s_mov_b32 s17, 0
.LBB31_7:
	s_load_b64 s[26:27], s[0:1], 0x38
	s_ashr_i32 s28, s16, 31
	s_and_not1_b32 vcc_lo, exec_lo, s17
	s_ashr_i32 s11, s11, 31
	s_cbranch_vccnz .LBB31_9
; %bb.8:
	s_mul_i32 s8, s13, s8
	s_delay_alu instid0(SALU_CYCLE_1) | instskip(NEXT) | instid1(SALU_CYCLE_1)
	s_add_i32 s8, s8, s24
	s_mul_i32 s4, s8, s4
	s_delay_alu instid0(SALU_CYCLE_1)
	s_add_i32 s33, s4, 1
.LBB31_9:
	s_clause 0x4
	s_load_b32 s8, s[0:1], 0x48
	s_load_b64 s[30:31], s[0:1], 0x28
	s_load_b32 s4, s[0:1], 0x98
	s_load_b128 s[16:19], s[0:1], 0x0
	s_load_b64 s[22:23], s[0:1], 0x10
	s_xor_b32 s34, s28, s11
	s_mul_i32 s28, s2, s21
	s_add_i32 s35, s2, 1
	s_sub_i32 s7, s7, s28
	v_lshrrev_b32_e32 v64, 5, v0
	v_mov_b32_e32 v5, 0xff7fffff
	v_mbcnt_lo_u32_b32 v4, -1, 0
	s_delay_alu instid0(VALU_DEP_3)
	v_lshl_add_u32 v65, v64, 4, s38
	s_waitcnt lgkmcnt(0)
	s_mul_i32 s28, s14, s8
	s_sub_i32 s8, s7, s21
	s_ashr_i32 s29, s28, 31
	s_cmp_ge_u32 s7, s21
	s_cselect_b32 s2, s35, s2
	s_cselect_b32 s7, s8, s7
	s_add_i32 s8, s2, 1
	s_cmp_ge_u32 s7, s21
	s_cselect_b32 s2, s8, s2
	s_add_i32 s8, s15, 15
	s_lshl_b32 s7, s12, 5
	s_ashr_i32 s35, s8, 31
	v_or_b32_e32 v61, s7, v64
	s_lshr_b32 s35, s35, 28
	s_xor_b32 s39, s2, s34
	s_add_i32 s8, s8, s35
	s_add_i32 s35, s7, 32
	s_ashr_i32 s36, s8, 4
	v_ashrrev_i32_e32 v62, 31, v61
	s_min_i32 s8, s35, s36
	s_sub_i32 s39, s39, s34
	v_cmp_gt_i32_e64 s2, s8, v61
	s_mul_i32 s34, s3, s6
	s_delay_alu instid0(VALU_DEP_1)
	s_and_saveexec_b32 s6, s2
	s_cbranch_execz .LBB31_19
; %bb.10:
	s_load_b64 s[0:1], s[0:1], 0x20
	s_ashr_i32 s35, s34, 31
	v_bfe_u32 v6, v0, 1, 4
	s_lshl_b64 s[42:43], s[34:35], 2
	s_sub_i32 s35, s39, s9
	v_cmp_eq_u32_e32 vcc_lo, 0, v1
	v_mul_u32_u24_e32 v7, 0xe0, v1
	v_lshlrev_b32_e32 v11, 2, v6
	v_subrev_nc_u32_e32 v14, s15, v6
	v_lshlrev_b32_e32 v17, 4, v6
	v_lshl_add_u32 v8, v64, 4, s38
	v_mov_b32_e32 v9, 0xff7fffff
	v_lshl_or_b32 v15, v64, 6, v11
	v_add_nc_u32_e32 v11, 1, v14
	v_xor_b32_e32 v10, 1, v4
	s_waitcnt lgkmcnt(0)
	s_add_u32 s3, s0, s42
	s_addc_u32 s1, s1, s43
	s_abs_i32 s41, s10
	v_cmp_neq_f32_e64 s0, s40, 0
	v_cvt_f32_u32_e32 v5, s41
	s_sub_i32 s42, 0, s41
	s_delay_alu instid0(VALU_DEP_1)
	v_rcp_iflag_f32_e32 v5, v5
	v_and_b32_e32 v13, 8, v2
	v_lshlrev_b64 v[1:2], 2, v[61:62]
	s_waitcnt_depctr 0xfff
	v_mul_f32_e32 v12, 0x4f7ffffe, v5
	v_mov_b32_e32 v5, 0xff7fffff
	s_delay_alu instid0(VALU_DEP_2) | instskip(SKIP_2) | instid1(VALU_DEP_1)
	v_cvt_u32_f32_e32 v16, v12
	v_add_nc_u32_e32 v12, 0x1e0, v15
	v_add_co_u32 v15, s3, s3, v17
	v_add_co_ci_u32_e64 v17, null, s1, 0, s3
	s_delay_alu instid0(VALU_DEP_4) | instskip(SKIP_1) | instid1(SALU_CYCLE_1)
	v_mul_lo_u32 v14, s42, v16
	s_lshl_b64 s[42:43], s[28:29], 2
	s_add_u32 s1, s26, s42
	s_addc_u32 s3, s27, s43
	v_add_co_u32 v1, s1, s1, v1
	s_delay_alu instid0(VALU_DEP_1) | instskip(NEXT) | instid1(VALU_DEP_3)
	v_add_co_ci_u32_e64 v2, s1, s3, v2, s1
	v_mul_hi_u32 v18, v16, v14
	v_add_co_u32 v13, s1, v15, v13
	s_delay_alu instid0(VALU_DEP_1) | instskip(SKIP_2) | instid1(VALU_DEP_3)
	v_add_co_ci_u32_e64 v14, s1, 0, v17, s1
	s_mov_b32 s42, 0
	s_mov_b32 s43, s5
	v_dual_mov_b32 v16, v61 :: v_dual_add_nc_u32 v15, v16, v18
	s_branch .LBB31_13
.LBB31_11:                              ;   in Loop: Header=BB31_13 Depth=1
	s_or_b32 exec_lo, exec_lo, s44
.LBB31_12:                              ;   in Loop: Header=BB31_13 Depth=1
	s_delay_alu instid0(SALU_CYCLE_1) | instskip(SKIP_2) | instid1(VALU_DEP_1)
	s_or_b32 exec_lo, exec_lo, s3
	v_add_nc_u32_e32 v16, 4, v16
	v_add_co_u32 v1, s3, v1, 16
	v_add_co_ci_u32_e64 v2, s3, 0, v2, s3
	s_delay_alu instid0(VALU_DEP_3) | instskip(SKIP_2) | instid1(VALU_DEP_3)
	v_cmp_le_i32_e64 s1, s8, v16
	v_add_nc_u32_e32 v8, 64, v8
	v_add_nc_u32_e32 v12, 0x100, v12
	s_or_b32 s42, s1, s42
	s_delay_alu instid0(SALU_CYCLE_1)
	s_and_not1_b32 exec_lo, exec_lo, s42
	s_cbranch_execz .LBB31_18
.LBB31_13:                              ; =>This Inner Loop Header: Depth=1
	v_sub_nc_u32_e32 v17, 0, v8
	s_delay_alu instid0(VALU_DEP_1) | instskip(SKIP_1) | instid1(VALU_DEP_1)
	v_max_i32_e32 v17, v8, v17
	s_waitcnt lgkmcnt(0)
	v_mul_hi_u32 v18, v17, s25
	s_delay_alu instid0(VALU_DEP_1) | instskip(NEXT) | instid1(VALU_DEP_1)
	v_mul_lo_u32 v19, v18, s21
	v_sub_nc_u32_e32 v17, v17, v19
	v_add_nc_u32_e32 v19, 1, v18
	s_delay_alu instid0(VALU_DEP_2) | instskip(SKIP_1) | instid1(VALU_DEP_1)
	v_subrev_nc_u32_e32 v20, s21, v17
	v_cmp_le_u32_e64 s1, s21, v17
	v_cndmask_b32_e64 v18, v18, v19, s1
	s_delay_alu instid0(VALU_DEP_3) | instskip(SKIP_1) | instid1(VALU_DEP_3)
	v_cndmask_b32_e64 v17, v17, v20, s1
	v_ashrrev_i32_e32 v19, 31, v8
	v_add_nc_u32_e32 v20, 1, v18
	s_delay_alu instid0(VALU_DEP_3) | instskip(NEXT) | instid1(VALU_DEP_3)
	v_cmp_le_u32_e64 s1, s21, v17
	v_xor_b32_e32 v19, s11, v19
	s_delay_alu instid0(VALU_DEP_2) | instskip(NEXT) | instid1(VALU_DEP_1)
	v_cndmask_b32_e64 v17, v18, v20, s1
	v_xor_b32_e32 v17, v17, v19
	s_delay_alu instid0(VALU_DEP_1) | instskip(NEXT) | instid1(VALU_DEP_1)
	v_sub_nc_u32_e32 v17, v17, v19
	v_add_nc_u32_e32 v18, s33, v17
	v_cmp_ge_i32_e64 s3, s35, v17
	s_delay_alu instid0(VALU_DEP_2) | instskip(NEXT) | instid1(VALU_DEP_1)
	v_sub_nc_u32_e32 v19, 0, v18
	v_max_i32_e32 v19, v18, v19
	v_ashrrev_i32_e32 v18, 31, v18
	s_delay_alu instid0(VALU_DEP_2) | instskip(NEXT) | instid1(VALU_DEP_1)
	v_mul_hi_u32 v20, v19, v15
	v_mul_lo_u32 v20, v20, s41
	s_delay_alu instid0(VALU_DEP_1) | instskip(NEXT) | instid1(VALU_DEP_1)
	v_sub_nc_u32_e32 v19, v19, v20
	v_subrev_nc_u32_e32 v20, s41, v19
	v_cmp_le_u32_e64 s1, s41, v19
	s_delay_alu instid0(VALU_DEP_1) | instskip(NEXT) | instid1(VALU_DEP_1)
	v_cndmask_b32_e64 v19, v19, v20, s1
	v_subrev_nc_u32_e32 v20, s41, v19
	v_cmp_le_u32_e64 s1, s41, v19
	s_delay_alu instid0(VALU_DEP_1) | instskip(NEXT) | instid1(VALU_DEP_1)
	v_cndmask_b32_e64 v19, v19, v20, s1
	v_xor_b32_e32 v19, v19, v18
	s_delay_alu instid0(VALU_DEP_1) | instskip(NEXT) | instid1(VALU_DEP_1)
	v_sub_nc_u32_e32 v18, v19, v18
	v_cmp_ne_u32_e64 s1, 0, v18
	s_delay_alu instid0(VALU_DEP_1) | instskip(NEXT) | instid1(SALU_CYCLE_1)
	s_and_b32 s1, s1, s3
	s_and_b32 s44, vcc_lo, s1
	s_delay_alu instid0(SALU_CYCLE_1)
	s_and_saveexec_b32 s3, s44
	s_cbranch_execz .LBB31_15
; %bb.14:                               ;   in Loop: Header=BB31_13 Depth=1
	ds_store_b32 v12, v9
.LBB31_15:                              ;   in Loop: Header=BB31_13 Depth=1
	s_or_b32 exec_lo, exec_lo, s3
	s_xor_b32 s1, s1, -1
	s_delay_alu instid0(SALU_CYCLE_1)
	s_and_saveexec_b32 s3, s1
	s_cbranch_execz .LBB31_12
; %bb.16:                               ;   in Loop: Header=BB31_13 Depth=1
	global_load_b32 v19, v[1:2], off
	s_waitcnt vmcnt(0)
	v_mad_i64_i32 v[17:18], null, v19, s43, 0
	s_delay_alu instid0(VALU_DEP_1) | instskip(NEXT) | instid1(VALU_DEP_1)
	v_lshlrev_b64 v[17:18], 2, v[17:18]
	v_add_co_u32 v17, s1, v13, v17
	s_delay_alu instid0(VALU_DEP_1)
	v_add_co_ci_u32_e64 v18, s1, v14, v18, s1
	s_clause 0xf
	global_load_b64 v[28:29], v[17:18], off offset:256
	global_load_b64 v[30:31], v[17:18], off
	global_load_b64 v[32:33], v[17:18], off offset:512
	global_load_b64 v[34:35], v[17:18], off offset:768
	global_load_b64 v[36:37], v[17:18], off offset:1024
	global_load_b64 v[38:39], v[17:18], off offset:1280
	global_load_b64 v[40:41], v[17:18], off offset:1536
	global_load_b64 v[42:43], v[17:18], off offset:1792
	global_load_b64 v[44:45], v[17:18], off offset:2048
	global_load_b64 v[46:47], v[17:18], off offset:2304
	global_load_b64 v[48:49], v[17:18], off offset:2560
	global_load_b64 v[50:51], v[17:18], off offset:2816
	global_load_b64 v[52:53], v[17:18], off offset:3072
	global_load_b64 v[54:55], v[17:18], off offset:3328
	global_load_b64 v[56:57], v[17:18], off offset:3584
	global_load_b64 v[58:59], v[17:18], off offset:3840
	v_add_co_u32 v17, s1, 0x1000, v17
	s_delay_alu instid0(VALU_DEP_1)
	v_add_co_ci_u32_e64 v18, s1, 0, v18, s1
	v_cmp_gt_i32_e64 s1, 32, v10
	s_clause 0xb
	global_load_b64 v[66:67], v[17:18], off
	global_load_b64 v[68:69], v[17:18], off offset:256
	global_load_b64 v[70:71], v[17:18], off offset:512
	;; [unrolled: 1-line block ×11, first 2 shown]
	ds_load_b128 v[17:20], v7
	ds_load_b128 v[21:24], v7 offset:16
	s_waitcnt vmcnt(27) lgkmcnt(1)
	v_dual_mul_f32 v60, v19, v28 :: v_dual_mul_f32 v29, v20, v29
	ds_load_b128 v[25:28], v7 offset:32
	s_waitcnt vmcnt(26)
	v_dual_fmac_f32 v60, v17, v30 :: v_dual_fmac_f32 v29, v18, v31
	ds_load_b128 v[17:20], v7 offset:48
	s_waitcnt vmcnt(25) lgkmcnt(2)
	v_dual_fmac_f32 v60, v21, v32 :: v_dual_fmac_f32 v29, v22, v33
	s_waitcnt vmcnt(24)
	s_delay_alu instid0(VALU_DEP_1) | instskip(SKIP_4) | instid1(VALU_DEP_1)
	v_dual_fmac_f32 v60, v23, v34 :: v_dual_fmac_f32 v29, v24, v35
	ds_load_b128 v[21:24], v7 offset:64
	s_waitcnt vmcnt(23) lgkmcnt(2)
	v_dual_fmac_f32 v60, v25, v36 :: v_dual_fmac_f32 v29, v26, v37
	s_waitcnt vmcnt(22)
	v_dual_fmac_f32 v60, v27, v38 :: v_dual_fmac_f32 v29, v28, v39
	ds_load_b128 v[25:28], v7 offset:80
	s_waitcnt vmcnt(21) lgkmcnt(2)
	v_dual_fmac_f32 v60, v17, v40 :: v_dual_fmac_f32 v29, v18, v41
	s_waitcnt vmcnt(20)
	s_delay_alu instid0(VALU_DEP_1) | instskip(SKIP_4) | instid1(VALU_DEP_1)
	v_dual_fmac_f32 v60, v19, v42 :: v_dual_fmac_f32 v29, v20, v43
	ds_load_b128 v[17:20], v7 offset:96
	s_waitcnt vmcnt(19) lgkmcnt(2)
	v_dual_fmac_f32 v60, v21, v44 :: v_dual_fmac_f32 v29, v22, v45
	s_waitcnt vmcnt(18)
	v_dual_fmac_f32 v60, v23, v46 :: v_dual_fmac_f32 v29, v24, v47
	ds_load_b128 v[21:24], v7 offset:112
	s_waitcnt vmcnt(17) lgkmcnt(2)
	v_dual_fmac_f32 v60, v25, v48 :: v_dual_fmac_f32 v29, v26, v49
	s_waitcnt vmcnt(16)
	s_delay_alu instid0(VALU_DEP_1) | instskip(SKIP_4) | instid1(VALU_DEP_1)
	v_dual_fmac_f32 v60, v27, v50 :: v_dual_fmac_f32 v29, v28, v51
	ds_load_b128 v[25:28], v7 offset:128
	s_waitcnt vmcnt(15) lgkmcnt(2)
	v_dual_fmac_f32 v60, v17, v52 :: v_dual_fmac_f32 v29, v18, v53
	s_waitcnt vmcnt(14)
	v_dual_fmac_f32 v60, v19, v54 :: v_dual_fmac_f32 v29, v20, v55
	ds_load_b128 v[17:20], v7 offset:144
	s_waitcnt vmcnt(13) lgkmcnt(2)
	v_dual_fmac_f32 v60, v21, v56 :: v_dual_fmac_f32 v29, v22, v57
	s_waitcnt vmcnt(12)
	s_delay_alu instid0(VALU_DEP_1) | instskip(SKIP_4) | instid1(VALU_DEP_1)
	v_dual_fmac_f32 v60, v23, v58 :: v_dual_fmac_f32 v29, v24, v59
	ds_load_b128 v[21:24], v7 offset:160
	s_waitcnt vmcnt(11) lgkmcnt(2)
	v_dual_fmac_f32 v60, v25, v66 :: v_dual_fmac_f32 v29, v26, v67
	s_waitcnt vmcnt(10)
	v_dual_fmac_f32 v60, v27, v68 :: v_dual_fmac_f32 v29, v28, v69
	ds_load_b128 v[25:28], v7 offset:176
	s_waitcnt vmcnt(9) lgkmcnt(2)
	v_dual_fmac_f32 v60, v17, v70 :: v_dual_fmac_f32 v29, v18, v71
	s_waitcnt vmcnt(8)
	s_delay_alu instid0(VALU_DEP_1) | instskip(SKIP_4) | instid1(VALU_DEP_1)
	v_dual_fmac_f32 v60, v19, v72 :: v_dual_fmac_f32 v29, v20, v73
	ds_load_b128 v[17:20], v7 offset:192
	s_waitcnt vmcnt(7) lgkmcnt(2)
	v_dual_fmac_f32 v60, v21, v74 :: v_dual_fmac_f32 v29, v22, v75
	s_waitcnt vmcnt(6)
	v_dual_fmac_f32 v60, v23, v76 :: v_dual_fmac_f32 v29, v24, v77
	ds_load_b128 v[21:24], v7 offset:208
	s_waitcnt vmcnt(5) lgkmcnt(2)
	v_dual_fmac_f32 v60, v25, v78 :: v_dual_fmac_f32 v29, v26, v79
	s_waitcnt vmcnt(4)
	s_delay_alu instid0(VALU_DEP_1) | instskip(SKIP_1) | instid1(VALU_DEP_1)
	v_dual_fmac_f32 v60, v27, v80 :: v_dual_fmac_f32 v29, v28, v81
	s_waitcnt vmcnt(3) lgkmcnt(1)
	v_dual_fmac_f32 v60, v17, v82 :: v_dual_fmac_f32 v29, v18, v83
	v_cndmask_b32_e64 v17, v4, v10, s1
	s_waitcnt vmcnt(2)
	s_delay_alu instid0(VALU_DEP_2) | instskip(NEXT) | instid1(VALU_DEP_2)
	v_dual_fmac_f32 v60, v84, v19 :: v_dual_fmac_f32 v29, v85, v20
	v_lshlrev_b32_e32 v18, 2, v17
	s_waitcnt vmcnt(1) lgkmcnt(0)
	s_delay_alu instid0(VALU_DEP_2) | instskip(SKIP_1) | instid1(VALU_DEP_1)
	v_dual_fmac_f32 v60, v86, v21 :: v_dual_fmac_f32 v29, v87, v22
	s_waitcnt vmcnt(0)
	v_dual_fmac_f32 v60, v88, v23 :: v_dual_fmac_f32 v29, v89, v24
	s_delay_alu instid0(VALU_DEP_1)
	v_add_f32_e32 v17, v60, v29
	ds_bpermute_b32 v18, v18, v17
	s_and_saveexec_b32 s44, vcc_lo
	s_cbranch_execz .LBB31_11
; %bb.17:                               ;   in Loop: Header=BB31_13 Depth=1
	s_waitcnt lgkmcnt(0)
	v_add_f32_e32 v17, v17, v18
	v_add_nc_u32_e32 v19, v11, v8
	s_delay_alu instid0(VALU_DEP_1) | instskip(NEXT) | instid1(VALU_DEP_1)
	v_cvt_f32_i32_e32 v19, v19
	v_mul_f32_e32 v19, s40, v19
	s_delay_alu instid0(VALU_DEP_1) | instskip(SKIP_1) | instid1(VALU_DEP_2)
	v_cndmask_b32_e64 v18, 0, v19, s0
	v_max_f32_e32 v19, v5, v5
	v_dual_fmac_f32 v18, s37, v17 :: v_dual_add_nc_u32 v17, v6, v8
	s_delay_alu instid0(VALU_DEP_1) | instskip(NEXT) | instid1(VALU_DEP_2)
	v_max_f32_e32 v19, v19, v18
	v_cmp_gt_i32_e64 s1, s15, v17
	s_delay_alu instid0(VALU_DEP_1) | instskip(NEXT) | instid1(VALU_DEP_3)
	v_cndmask_b32_e64 v17, 0, v18, s1
	v_cndmask_b32_e64 v5, v5, v19, s1
	ds_store_b32 v12, v17
	s_branch .LBB31_11
.LBB31_18:
	s_or_b32 exec_lo, exec_lo, s42
.LBB31_19:
	s_delay_alu instid0(SALU_CYCLE_1) | instskip(SKIP_3) | instid1(VALU_DEP_3)
	s_or_b32 exec_lo, exec_lo, s6
	v_xor_b32_e32 v1, 16, v4
	v_xor_b32_e32 v6, 8, v4
	v_dual_max_f32 v7, v5, v5 :: v_dual_and_b32 v66, 31, v0
	v_cmp_gt_i32_e32 vcc_lo, 32, v1
	v_cndmask_b32_e32 v1, v4, v1, vcc_lo
	s_delay_alu instid0(VALU_DEP_4) | instskip(NEXT) | instid1(VALU_DEP_2)
	v_cmp_gt_i32_e32 vcc_lo, 32, v6
	v_lshlrev_b32_e32 v2, 2, v1
	ds_bpermute_b32 v1, v2, v5
	v_cndmask_b32_e32 v5, v4, v6, vcc_lo
	s_delay_alu instid0(VALU_DEP_1) | instskip(SKIP_2) | instid1(VALU_DEP_1)
	v_lshlrev_b32_e32 v5, 2, v5
	s_waitcnt lgkmcnt(0)
	v_max_f32_e32 v1, v1, v1
	v_max_f32_e32 v1, v7, v1
	v_xor_b32_e32 v7, 4, v4
	ds_bpermute_b32 v6, v5, v1
	v_cmp_gt_i32_e32 vcc_lo, 32, v7
	s_waitcnt lgkmcnt(0)
	v_dual_cndmask_b32 v7, v4, v7 :: v_dual_max_f32 v8, v6, v6
	s_delay_alu instid0(VALU_DEP_1)
	v_dual_max_f32 v1, v1, v8 :: v_dual_lshlrev_b32 v6, 2, v7
	v_xor_b32_e32 v8, 2, v4
	ds_bpermute_b32 v7, v6, v1
	v_cmp_gt_i32_e32 vcc_lo, 32, v8
	v_cndmask_b32_e32 v8, v4, v8, vcc_lo
	v_cmp_eq_u32_e32 vcc_lo, 0, v66
	s_delay_alu instid0(VALU_DEP_2) | instskip(SKIP_2) | instid1(VALU_DEP_1)
	v_lshlrev_b32_e32 v67, 2, v8
	s_waitcnt lgkmcnt(0)
	v_max_f32_e32 v7, v7, v7
	v_max_f32_e32 v1, v1, v7
	v_lshlrev_b32_e32 v7, 2, v64
	ds_bpermute_b32 v8, v67, v1
	s_and_saveexec_b32 s0, vcc_lo
	s_cbranch_execz .LBB31_21
; %bb.20:
	s_waitcnt lgkmcnt(0)
	v_dual_max_f32 v8, v8, v8 :: v_dual_max_f32 v1, v1, v1
	s_delay_alu instid0(VALU_DEP_1)
	v_max_f32_e32 v1, v1, v8
	ds_store_b32 v7, v1 offset:448
.LBB31_21:
	s_or_b32 exec_lo, exec_lo, s0
	v_cmp_gt_u32_e64 s0, 4, v66
	s_waitcnt lgkmcnt(0)
	v_dual_mov_b32 v1, 0xff7fffff :: v_dual_lshlrev_b32 v8, 2, v66
	s_barrier
	buffer_gl0_inv
	s_and_saveexec_b32 s1, s0
	s_cbranch_execz .LBB31_23
; %bb.22:
	ds_load_b32 v1, v8 offset:448
.LBB31_23:
	s_or_b32 exec_lo, exec_lo, s1
	s_waitcnt lgkmcnt(0)
	ds_bpermute_b32 v9, v67, v1
	v_xor_b32_e32 v10, 1, v4
	s_delay_alu instid0(VALU_DEP_1) | instskip(NEXT) | instid1(VALU_DEP_1)
	v_cmp_gt_i32_e64 s1, 32, v10
	v_cndmask_b32_e64 v4, v4, v10, s1
	v_max_f32_e32 v1, v1, v1
	s_sub_i32 s1, s8, s7
	s_delay_alu instid0(SALU_CYCLE_1) | instskip(NEXT) | instid1(VALU_DEP_2)
	s_lshl_b32 s1, s1, 4
	v_lshlrev_b32_e32 v68, 2, v4
	s_add_i32 s1, s1, s38
	s_delay_alu instid0(SALU_CYCLE_1) | instskip(SKIP_3) | instid1(SALU_CYCLE_1)
	s_min_i32 s1, s1, s15
	s_waitcnt lgkmcnt(0)
	v_max_f32_e32 v9, v9, v9
	s_sub_i32 s6, s1, s38
	v_cmp_gt_i32_e64 s1, s6, v0
	s_delay_alu instid0(VALU_DEP_2) | instskip(SKIP_4) | instid1(VALU_DEP_1)
	v_max_f32_e32 v1, v1, v9
	v_mov_b32_e32 v9, 0
	ds_bpermute_b32 v4, v68, v1
	s_waitcnt lgkmcnt(0)
	v_max_f32_e32 v4, v4, v4
	v_max_f32_e32 v1, v1, v4
	v_lshl_add_u32 v4, v0, 2, 0x1e0
	ds_bpermute_b32 v1, v9, v1
	s_and_saveexec_b32 s7, s1
	s_cbranch_execz .LBB31_27
; %bb.24:
	v_lshl_add_u32 v10, v0, 2, 0x1e0
	v_mov_b32_e32 v9, 0
	v_mov_b32_e32 v11, v0
	s_mov_b32 s35, 0
	.p2align	6
.LBB31_25:                              ; =>This Inner Loop Header: Depth=1
	ds_load_b32 v12, v10
	v_add_nc_u32_e32 v11, 0x80, v11
	s_delay_alu instid0(VALU_DEP_1) | instskip(NEXT) | instid1(VALU_DEP_1)
	v_cmp_le_i32_e64 s3, s6, v11
	s_or_b32 s35, s3, s35
	s_waitcnt lgkmcnt(0)
	v_sub_f32_e32 v12, v12, v1
	s_delay_alu instid0(VALU_DEP_1) | instskip(NEXT) | instid1(VALU_DEP_1)
	v_mul_f32_e32 v12, 0x3fb8aa3b, v12
	v_exp_f32_e32 v12, v12
	ds_store_b32 v10, v12
	v_dual_add_f32 v9, v9, v12 :: v_dual_add_nc_u32 v10, 0x200, v10
	s_and_not1_b32 exec_lo, exec_lo, s35
	s_cbranch_execnz .LBB31_25
; %bb.26:
	s_or_b32 exec_lo, exec_lo, s35
.LBB31_27:
	s_delay_alu instid0(SALU_CYCLE_1)
	s_or_b32 exec_lo, exec_lo, s7
	ds_bpermute_b32 v2, v2, v9
	s_waitcnt lgkmcnt(0)
	v_add_f32_e32 v2, v9, v2
	ds_bpermute_b32 v5, v5, v2
	s_waitcnt lgkmcnt(0)
	v_add_f32_e32 v2, v2, v5
	ds_bpermute_b32 v5, v6, v2
	s_waitcnt lgkmcnt(0)
	v_add_f32_e32 v2, v2, v5
	ds_bpermute_b32 v5, v67, v2
	s_waitcnt lgkmcnt(0)
	v_add_f32_e32 v2, v2, v5
	ds_bpermute_b32 v5, v68, v2
	s_waitcnt lgkmcnt(0)
	v_add_f32_e32 v2, v2, v5
	s_and_saveexec_b32 s3, vcc_lo
	s_cbranch_execz .LBB31_29
; %bb.28:
	ds_store_b32 v7, v2 offset:464
.LBB31_29:
	s_or_b32 exec_lo, exec_lo, s3
	s_waitcnt lgkmcnt(0)
	s_barrier
	buffer_gl0_inv
	s_and_saveexec_b32 s3, s0
	s_cbranch_execz .LBB31_31
; %bb.30:
	ds_load_b32 v2, v8 offset:464
.LBB31_31:
	s_or_b32 exec_lo, exec_lo, s3
	s_waitcnt lgkmcnt(0)
	ds_bpermute_b32 v5, v67, v2
	s_waitcnt lgkmcnt(0)
	v_add_f32_e32 v2, v2, v5
	ds_bpermute_b32 v5, v68, v2
	s_waitcnt lgkmcnt(0)
	v_dual_add_f32 v2, v2, v5 :: v_dual_mov_b32 v5, 0
	ds_bpermute_b32 v2, v5, v2
	s_and_saveexec_b32 s0, s1
	s_cbranch_execz .LBB31_34
; %bb.32:
	s_waitcnt lgkmcnt(0)
	v_add_f32_e32 v5, 0x358637bd, v2
	s_mov_b32 s1, 0
	s_delay_alu instid0(VALU_DEP_1) | instskip(SKIP_1) | instid1(VALU_DEP_2)
	v_div_scale_f32 v6, null, v5, v5, 1.0
	v_div_scale_f32 v9, vcc_lo, 1.0, v5, 1.0
	v_rcp_f32_e32 v7, v6
	s_waitcnt_depctr 0xfff
	v_fma_f32 v8, -v6, v7, 1.0
	s_delay_alu instid0(VALU_DEP_1) | instskip(NEXT) | instid1(VALU_DEP_1)
	v_fmac_f32_e32 v7, v8, v7
	v_mul_f32_e32 v8, v9, v7
	s_delay_alu instid0(VALU_DEP_1) | instskip(NEXT) | instid1(VALU_DEP_1)
	v_fma_f32 v10, -v6, v8, v9
	v_fmac_f32_e32 v8, v10, v7
	s_delay_alu instid0(VALU_DEP_1) | instskip(NEXT) | instid1(VALU_DEP_1)
	v_fma_f32 v6, -v6, v8, v9
	v_div_fmas_f32 v6, v6, v7, v8
	s_delay_alu instid0(VALU_DEP_1)
	v_div_fixup_f32 v5, v6, v5, 1.0
	v_mov_b32_e32 v6, v0
.LBB31_33:                              ; =>This Inner Loop Header: Depth=1
	ds_load_b32 v7, v4
	s_waitcnt lgkmcnt(0)
	v_dual_mul_f32 v7, v5, v7 :: v_dual_add_nc_u32 v6, 0x80, v6
	s_delay_alu instid0(VALU_DEP_1) | instskip(SKIP_3) | instid1(SALU_CYCLE_1)
	v_cmp_le_i32_e32 vcc_lo, s6, v6
	ds_store_b32 v4, v7
	v_add_nc_u32_e32 v4, 0x200, v4
	s_or_b32 s1, vcc_lo, s1
	s_and_not1_b32 exec_lo, exec_lo, s1
	s_cbranch_execnz .LBB31_33
.LBB31_34:
	s_or_b32 exec_lo, exec_lo, s0
	s_mul_i32 s0, s4, s14
	s_waitcnt lgkmcnt(0)
	s_mul_i32 s6, s0, s13
	s_mov_b32 s0, exec_lo
	s_barrier
	buffer_gl0_inv
	v_cmpx_eq_u32_e32 0, v0
	s_cbranch_execz .LBB31_36
; %bb.35:
	s_ashr_i32 s7, s6, 31
	s_mul_i32 s42, s4, s24
	s_lshl_b64 s[40:41], s[6:7], 2
	v_mov_b32_e32 v4, 0
	s_add_u32 s1, s18, s40
	s_addc_u32 s3, s19, s41
	s_ashr_i32 s43, s42, 31
	s_delay_alu instid0(SALU_CYCLE_1) | instskip(NEXT) | instid1(SALU_CYCLE_1)
	s_lshl_b64 s[18:19], s[42:43], 2
	s_add_u32 s1, s1, s18
	s_addc_u32 s3, s3, s19
	s_ashr_i32 s13, s12, 31
	s_delay_alu instid0(SALU_CYCLE_1) | instskip(NEXT) | instid1(SALU_CYCLE_1)
	s_lshl_b64 s[42:43], s[12:13], 2
	s_add_u32 s44, s1, s42
	s_addc_u32 s45, s3, s43
	s_add_u32 s1, s16, s40
	s_addc_u32 s3, s17, s41
	;; [unrolled: 2-line block ×4, first 2 shown]
	s_clause 0x1
	global_store_b32 v4, v1, s[44:45]
	global_store_b32 v4, v2, s[16:17]
.LBB31_36:
	s_or_b32 exec_lo, exec_lo, s0
	v_dual_mov_b32 v82, 0 :: v_dual_and_b32 v69, 3, v0
	v_dual_mov_b32 v83, 0 :: v_dual_mov_b32 v80, 0
	v_dual_mov_b32 v81, 0 :: v_dual_mov_b32 v78, 0
	;; [unrolled: 1-line block ×6, first 2 shown]
	v_mov_b32_e32 v71, 0
	s_mov_b32 s3, 0
	s_and_saveexec_b32 s1, s2
	s_cbranch_execz .LBB31_70
; %bb.37:
	s_ashr_i32 s35, s34, 31
	s_sub_i32 s2, s39, s9
	s_lshl_b64 s[16:17], s[34:35], 2
	v_dual_mov_b32 v71, 0 :: v_dual_and_b32 v84, 12, v3
	s_add_u32 s7, s30, s16
	s_addc_u32 s9, s31, s17
	s_abs_i32 s10, s10
	v_dual_mov_b32 v70, 0 :: v_dual_and_b32 v3, 0x7c, v3
	v_cvt_f32_u32_e32 v4, s10
	s_sub_i32 s0, 0, s10
	v_dual_mov_b32 v72, 0 :: v_dual_lshlrev_b32 v5, 4, v69
	v_lshlrev_b64 v[1:2], 2, v[61:62]
	s_delay_alu instid0(VALU_DEP_3)
	v_rcp_iflag_f32_e32 v4, v4
	v_mov_b32_e32 v77, 0
	v_or_b32_e32 v6, 0x400, v3
	v_or_b32_e32 v7, 0x480, v3
	;; [unrolled: 1-line block ×6, first 2 shown]
	v_dual_mov_b32 v78, 0 :: v_dual_lshlrev_b32 v85, 2, v3
	s_delay_alu instid0(TRANS32_DEP_1)
	v_mul_f32_e32 v4, 0x4f7ffffe, v4
	s_lshl_b64 s[16:17], s[28:29], 2
	s_add_i32 s13, s36, -1
	v_lshl_or_b32 v5, v64, 6, v5
	v_dual_mov_b32 v73, 0 :: v_dual_mov_b32 v74, 0
	v_cvt_u32_f32_e32 v4, v4
	v_dual_mov_b32 v75, 0 :: v_dual_mov_b32 v76, 0
	s_delay_alu instid0(VALU_DEP_4) | instskip(NEXT) | instid1(VALU_DEP_3)
	v_dual_mov_b32 v79, 0 :: v_dual_add_nc_u32 v86, 0x1e0, v5
	v_mul_lo_u32 v12, s0, v4
	s_add_u32 s0, s26, s16
	s_addc_u32 s14, s27, s17
	v_add_co_u32 v62, vcc_lo, s0, v1
	v_dual_mov_b32 v80, 0 :: v_dual_lshlrev_b32 v87, 2, v6
	v_dual_mov_b32 v81, 0 :: v_dual_lshlrev_b32 v88, 2, v7
	s_delay_alu instid0(VALU_DEP_4)
	v_mul_hi_u32 v3, v4, v12
	v_dual_mov_b32 v82, 0 :: v_dual_lshlrev_b32 v89, 2, v8
	v_dual_mov_b32 v83, 0 :: v_dual_lshlrev_b32 v90, 2, v9
	v_lshlrev_b32_e32 v91, 2, v10
	v_lshlrev_b32_e32 v92, 2, v11
	v_add_co_ci_u32_e32 v63, vcc_lo, s14, v2, vcc_lo
	v_add_nc_u32_e32 v93, v4, v3
	s_branch .LBB31_40
.LBB31_38:                              ;   in Loop: Header=BB31_40 Depth=1
	s_or_b32 exec_lo, exec_lo, s0
	s_waitcnt vmcnt(9) lgkmcnt(0)
	v_mul_f32_e32 v22, v2, v22
	s_waitcnt vmcnt(5)
	v_mul_f32_e32 v38, v2, v38
	v_mul_f32_e32 v14, v2, v14
	s_waitcnt vmcnt(3)
	v_mul_f32_e32 v50, v2, v50
	s_waitcnt vmcnt(1)
	v_mul_f32_e32 v58, v2, v58
	v_fmac_f32_e32 v22, v1, v21
	v_fmac_f32_e32 v38, v1, v37
	;; [unrolled: 1-line block ×3, first 2 shown]
	v_mul_f32_e32 v10, v2, v10
	v_mul_f32_e32 v30, v2, v30
	v_fmac_f32_e32 v22, v3, v23
	v_fmac_f32_e32 v38, v3, v39
	;; [unrolled: 1-line block ×4, first 2 shown]
	v_mul_f32_e32 v54, v2, v54
	v_fmac_f32_e32 v22, v4, v24
	v_fmac_f32_e32 v50, v1, v49
	;; [unrolled: 1-line block ×4, first 2 shown]
	s_delay_alu instid0(VALU_DEP_4) | instskip(NEXT) | instid1(VALU_DEP_4)
	v_dual_fmac_f32 v14, v4, v16 :: v_dual_add_f32 v79, v79, v22
	v_fmac_f32_e32 v50, v3, v51
	v_mul_f32_e32 v42, v2, v42
	v_mul_f32_e32 v34, v2, v34
	s_delay_alu instid0(VALU_DEP_4)
	v_add_f32_e32 v81, v81, v14
	v_mul_f32_e32 v26, v2, v26
	v_fmac_f32_e32 v50, v4, v52
	v_dual_fmac_f32 v30, v1, v29 :: v_dual_add_f32 v75, v75, v38
	v_fmac_f32_e32 v58, v3, v59
	v_mul_f32_e32 v18, v2, v18
	s_delay_alu instid0(VALU_DEP_4)
	v_add_f32_e32 v73, v73, v50
	v_mul_f32_e32 v6, v2, v6
	s_waitcnt vmcnt(0)
	v_mul_f32_e32 v2, v2, v46
	v_fmac_f32_e32 v10, v3, v11
	v_fmac_f32_e32 v58, v4, v60
	;; [unrolled: 1-line block ×6, first 2 shown]
	v_dual_add_f32 v71, v71, v58 :: v_dual_fmac_f32 v18, v1, v17
	v_fmac_f32_e32 v6, v1, v5
	v_fmac_f32_e32 v2, v1, v45
	;; [unrolled: 1-line block ×6, first 2 shown]
	s_delay_alu instid0(VALU_DEP_4) | instskip(SKIP_2) | instid1(VALU_DEP_3)
	v_dual_fmac_f32 v30, v4, v32 :: v_dual_add_f32 v83, v83, v10
	v_fmac_f32_e32 v54, v3, v55
	v_fmac_f32_e32 v42, v3, v43
	v_dual_fmac_f32 v18, v3, v19 :: v_dual_add_f32 v77, v77, v30
	v_fmac_f32_e32 v6, v3, v7
	v_fmac_f32_e32 v2, v3, v47
	;; [unrolled: 1-line block ×9, first 2 shown]
	v_add_f32_e32 v72, v72, v54
	v_add_f32_e32 v74, v74, v42
	;; [unrolled: 1-line block ×7, first 2 shown]
.LBB31_39:                              ;   in Loop: Header=BB31_40 Depth=1
	s_or_b32 exec_lo, exec_lo, s14
	v_add_nc_u32_e32 v61, 4, v61
	v_add_co_u32 v62, s0, v62, 16
	s_delay_alu instid0(VALU_DEP_1) | instskip(NEXT) | instid1(VALU_DEP_3)
	v_add_co_ci_u32_e64 v63, s0, 0, v63, s0
	v_cmp_le_i32_e32 vcc_lo, s8, v61
	v_add_nc_u32_e32 v65, 64, v65
	v_add_nc_u32_e32 v86, 0x100, v86
	s_or_b32 s3, vcc_lo, s3
	s_delay_alu instid0(SALU_CYCLE_1)
	s_and_not1_b32 exec_lo, exec_lo, s3
	s_cbranch_execz .LBB31_69
.LBB31_40:                              ; =>This Inner Loop Header: Depth=1
	v_sub_nc_u32_e32 v1, 0, v65
	s_delay_alu instid0(VALU_DEP_1) | instskip(NEXT) | instid1(VALU_DEP_1)
	v_max_i32_e32 v1, v65, v1
	v_mul_hi_u32 v2, v1, s25
	s_delay_alu instid0(VALU_DEP_1) | instskip(NEXT) | instid1(VALU_DEP_1)
	v_mul_lo_u32 v3, v2, s21
	v_sub_nc_u32_e32 v1, v1, v3
	v_add_nc_u32_e32 v3, 1, v2
	s_delay_alu instid0(VALU_DEP_2) | instskip(SKIP_1) | instid1(VALU_DEP_2)
	v_subrev_nc_u32_e32 v4, s21, v1
	v_cmp_le_u32_e32 vcc_lo, s21, v1
	v_dual_cndmask_b32 v2, v2, v3 :: v_dual_cndmask_b32 v1, v1, v4
	v_ashrrev_i32_e32 v3, 31, v65
	s_delay_alu instid0(VALU_DEP_2) | instskip(NEXT) | instid1(VALU_DEP_3)
	v_add_nc_u32_e32 v4, 1, v2
	v_cmp_le_u32_e32 vcc_lo, s21, v1
	s_delay_alu instid0(VALU_DEP_3) | instskip(NEXT) | instid1(VALU_DEP_3)
	v_xor_b32_e32 v3, s11, v3
	v_cndmask_b32_e32 v1, v2, v4, vcc_lo
	s_delay_alu instid0(VALU_DEP_1) | instskip(NEXT) | instid1(VALU_DEP_1)
	v_xor_b32_e32 v1, v1, v3
	v_sub_nc_u32_e32 v1, v1, v3
	s_delay_alu instid0(VALU_DEP_1) | instskip(SKIP_1) | instid1(VALU_DEP_2)
	v_add_nc_u32_e32 v2, s33, v1
	v_cmp_lt_i32_e64 s0, s2, v1
	v_sub_nc_u32_e32 v3, 0, v2
	s_delay_alu instid0(VALU_DEP_1) | instskip(NEXT) | instid1(VALU_DEP_1)
	v_max_i32_e32 v3, v2, v3
	v_mul_hi_u32 v4, v3, v93
	s_delay_alu instid0(VALU_DEP_1) | instskip(NEXT) | instid1(VALU_DEP_1)
	v_mul_lo_u32 v4, v4, s10
	v_sub_nc_u32_e32 v3, v3, v4
	s_delay_alu instid0(VALU_DEP_1) | instskip(SKIP_1) | instid1(VALU_DEP_2)
	v_subrev_nc_u32_e32 v4, s10, v3
	v_cmp_le_u32_e32 vcc_lo, s10, v3
	v_cndmask_b32_e32 v3, v3, v4, vcc_lo
	v_ashrrev_i32_e32 v2, 31, v2
	s_delay_alu instid0(VALU_DEP_2) | instskip(SKIP_1) | instid1(VALU_DEP_2)
	v_subrev_nc_u32_e32 v4, s10, v3
	v_cmp_le_u32_e32 vcc_lo, s10, v3
	v_cndmask_b32_e32 v3, v3, v4, vcc_lo
	s_delay_alu instid0(VALU_DEP_1) | instskip(NEXT) | instid1(VALU_DEP_1)
	v_xor_b32_e32 v3, v3, v2
	v_sub_nc_u32_e32 v2, v3, v2
	s_delay_alu instid0(VALU_DEP_1) | instskip(SKIP_1) | instid1(SALU_CYCLE_1)
	v_cmp_eq_u32_e32 vcc_lo, 0, v2
	s_or_b32 s0, vcc_lo, s0
	s_and_saveexec_b32 s14, s0
	s_cbranch_execz .LBB31_39
; %bb.41:                               ;   in Loop: Header=BB31_40 Depth=1
	global_load_b32 v3, v[62:63], off
	v_add_nc_u32_e32 v94, v84, v65
	s_delay_alu instid0(VALU_DEP_1) | instskip(SKIP_4) | instid1(VALU_DEP_1)
	v_add_nc_u32_e32 v97, 1, v94
	v_add_nc_u32_e32 v96, 2, v94
	;; [unrolled: 1-line block ×3, first 2 shown]
	s_waitcnt vmcnt(0)
	v_mad_i64_i32 v[1:2], null, v3, s5, 0
	v_lshlrev_b64 v[1:2], 2, v[1:2]
	s_delay_alu instid0(VALU_DEP_1) | instskip(NEXT) | instid1(VALU_DEP_2)
	v_add_co_u32 v45, vcc_lo, s7, v1
	v_add_co_ci_u32_e32 v46, vcc_lo, s9, v2, vcc_lo
	ds_load_b128 v[1:4], v86
	v_add_co_u32 v33, vcc_lo, v45, v85
	v_add_co_ci_u32_e32 v34, vcc_lo, 0, v46, vcc_lo
	v_cmp_eq_u32_e32 vcc_lo, s13, v61
	global_load_b128 v[5:8], v[33:34], off
	s_and_saveexec_b32 s16, vcc_lo
	s_cbranch_execnz .LBB31_62
; %bb.42:                               ;   in Loop: Header=BB31_40 Depth=1
	s_or_b32 exec_lo, exec_lo, s16
	global_load_b128 v[9:12], v[33:34], off offset:512
	s_and_saveexec_b32 s16, vcc_lo
	s_cbranch_execnz .LBB31_63
.LBB31_43:                              ;   in Loop: Header=BB31_40 Depth=1
	s_or_b32 exec_lo, exec_lo, s16
	global_load_b128 v[13:16], v[33:34], off offset:1024
	s_and_saveexec_b32 s16, vcc_lo
	s_cbranch_execnz .LBB31_64
.LBB31_44:                              ;   in Loop: Header=BB31_40 Depth=1
	s_or_b32 exec_lo, exec_lo, s16
	global_load_b128 v[17:20], v[33:34], off offset:1536
	s_and_saveexec_b32 s16, vcc_lo
	s_cbranch_execnz .LBB31_65
.LBB31_45:                              ;   in Loop: Header=BB31_40 Depth=1
	s_or_b32 exec_lo, exec_lo, s16
	global_load_b128 v[21:24], v[33:34], off offset:2048
	s_and_saveexec_b32 s16, vcc_lo
	s_cbranch_execnz .LBB31_66
.LBB31_46:                              ;   in Loop: Header=BB31_40 Depth=1
	s_or_b32 exec_lo, exec_lo, s16
	global_load_b128 v[25:28], v[33:34], off offset:2560
	s_and_saveexec_b32 s16, vcc_lo
	s_cbranch_execnz .LBB31_67
.LBB31_47:                              ;   in Loop: Header=BB31_40 Depth=1
	s_or_b32 exec_lo, exec_lo, s16
	global_load_b128 v[29:32], v[33:34], off offset:3072
	s_and_saveexec_b32 s16, vcc_lo
	s_cbranch_execnz .LBB31_68
.LBB31_48:                              ;   in Loop: Header=BB31_40 Depth=1
	s_or_b32 exec_lo, exec_lo, s16
	global_load_b128 v[33:36], v[33:34], off offset:3584
	s_and_saveexec_b32 s16, vcc_lo
	s_cbranch_execz .LBB31_50
.LBB31_49:                              ;   in Loop: Header=BB31_40 Depth=1
	v_cmp_gt_i32_e64 s0, s15, v94
	s_waitcnt vmcnt(0)
	s_delay_alu instid0(VALU_DEP_1) | instskip(SKIP_1) | instid1(VALU_DEP_1)
	v_cndmask_b32_e64 v33, 0, v33, s0
	v_cmp_gt_i32_e64 s0, s15, v97
	v_cndmask_b32_e64 v34, 0, v34, s0
	v_cmp_gt_i32_e64 s0, s15, v96
	s_delay_alu instid0(VALU_DEP_1) | instskip(SKIP_1) | instid1(VALU_DEP_1)
	v_cndmask_b32_e64 v35, 0, v35, s0
	v_cmp_gt_i32_e64 s0, s15, v95
	v_cndmask_b32_e64 v36, 0, v36, s0
.LBB31_50:                              ;   in Loop: Header=BB31_40 Depth=1
	s_or_b32 exec_lo, exec_lo, s16
	v_add_co_u32 v37, s0, v45, v87
	s_delay_alu instid0(VALU_DEP_1)
	v_add_co_ci_u32_e64 v38, s0, 0, v46, s0
	global_load_b128 v[37:40], v[37:38], off
	s_and_saveexec_b32 s16, vcc_lo
	s_cbranch_execz .LBB31_52
; %bb.51:                               ;   in Loop: Header=BB31_40 Depth=1
	v_cmp_gt_i32_e64 s0, s15, v94
	s_waitcnt vmcnt(0)
	s_delay_alu instid0(VALU_DEP_1) | instskip(SKIP_1) | instid1(VALU_DEP_1)
	v_cndmask_b32_e64 v37, 0, v37, s0
	v_cmp_gt_i32_e64 s0, s15, v97
	v_cndmask_b32_e64 v38, 0, v38, s0
	v_cmp_gt_i32_e64 s0, s15, v96
	s_delay_alu instid0(VALU_DEP_1) | instskip(SKIP_1) | instid1(VALU_DEP_1)
	v_cndmask_b32_e64 v39, 0, v39, s0
	v_cmp_gt_i32_e64 s0, s15, v95
	v_cndmask_b32_e64 v40, 0, v40, s0
.LBB31_52:                              ;   in Loop: Header=BB31_40 Depth=1
	s_or_b32 exec_lo, exec_lo, s16
	v_add_co_u32 v41, s0, v45, v88
	s_delay_alu instid0(VALU_DEP_1)
	v_add_co_ci_u32_e64 v42, s0, 0, v46, s0
	global_load_b128 v[41:44], v[41:42], off
	s_and_saveexec_b32 s16, vcc_lo
	s_cbranch_execz .LBB31_54
; %bb.53:                               ;   in Loop: Header=BB31_40 Depth=1
	v_cmp_gt_i32_e64 s0, s15, v94
	s_waitcnt vmcnt(0)
	s_delay_alu instid0(VALU_DEP_1) | instskip(SKIP_1) | instid1(VALU_DEP_1)
	v_cndmask_b32_e64 v41, 0, v41, s0
	v_cmp_gt_i32_e64 s0, s15, v97
	v_cndmask_b32_e64 v42, 0, v42, s0
	v_cmp_gt_i32_e64 s0, s15, v96
	s_delay_alu instid0(VALU_DEP_1) | instskip(SKIP_1) | instid1(VALU_DEP_1)
	v_cndmask_b32_e64 v43, 0, v43, s0
	v_cmp_gt_i32_e64 s0, s15, v95
	v_cndmask_b32_e64 v44, 0, v44, s0
.LBB31_54:                              ;   in Loop: Header=BB31_40 Depth=1
	;; [unrolled: 20-line block ×5, first 2 shown]
	s_or_b32 exec_lo, exec_lo, s16
	v_add_co_u32 v45, s0, v45, v92
	s_delay_alu instid0(VALU_DEP_1)
	v_add_co_ci_u32_e64 v46, s0, 0, v46, s0
	global_load_b128 v[45:48], v[45:46], off
	s_and_saveexec_b32 s0, vcc_lo
	s_cbranch_execz .LBB31_38
; %bb.61:                               ;   in Loop: Header=BB31_40 Depth=1
	v_cmp_gt_i32_e32 vcc_lo, s15, v94
	s_waitcnt vmcnt(0)
	v_cndmask_b32_e32 v45, 0, v45, vcc_lo
	v_cmp_gt_i32_e32 vcc_lo, s15, v97
	v_cndmask_b32_e32 v46, 0, v46, vcc_lo
	v_cmp_gt_i32_e32 vcc_lo, s15, v96
	;; [unrolled: 2-line block ×3, first 2 shown]
	v_cndmask_b32_e32 v48, 0, v48, vcc_lo
	s_branch .LBB31_38
.LBB31_62:                              ;   in Loop: Header=BB31_40 Depth=1
	v_cmp_gt_i32_e64 s0, s15, v94
	s_waitcnt vmcnt(0)
	s_delay_alu instid0(VALU_DEP_1) | instskip(SKIP_1) | instid1(VALU_DEP_1)
	v_cndmask_b32_e64 v5, 0, v5, s0
	v_cmp_gt_i32_e64 s0, s15, v97
	v_cndmask_b32_e64 v6, 0, v6, s0
	v_cmp_gt_i32_e64 s0, s15, v96
	s_delay_alu instid0(VALU_DEP_1) | instskip(SKIP_1) | instid1(VALU_DEP_1)
	v_cndmask_b32_e64 v7, 0, v7, s0
	v_cmp_gt_i32_e64 s0, s15, v95
	v_cndmask_b32_e64 v8, 0, v8, s0
	s_or_b32 exec_lo, exec_lo, s16
	global_load_b128 v[9:12], v[33:34], off offset:512
	s_and_saveexec_b32 s16, vcc_lo
	s_cbranch_execz .LBB31_43
.LBB31_63:                              ;   in Loop: Header=BB31_40 Depth=1
	v_cmp_gt_i32_e64 s0, s15, v94
	s_waitcnt vmcnt(0)
	s_delay_alu instid0(VALU_DEP_1) | instskip(SKIP_1) | instid1(VALU_DEP_1)
	v_cndmask_b32_e64 v9, 0, v9, s0
	v_cmp_gt_i32_e64 s0, s15, v97
	v_cndmask_b32_e64 v10, 0, v10, s0
	v_cmp_gt_i32_e64 s0, s15, v96
	s_delay_alu instid0(VALU_DEP_1) | instskip(SKIP_1) | instid1(VALU_DEP_1)
	v_cndmask_b32_e64 v11, 0, v11, s0
	v_cmp_gt_i32_e64 s0, s15, v95
	v_cndmask_b32_e64 v12, 0, v12, s0
	s_or_b32 exec_lo, exec_lo, s16
	global_load_b128 v[13:16], v[33:34], off offset:1024
	s_and_saveexec_b32 s16, vcc_lo
	s_cbranch_execz .LBB31_44
.LBB31_64:                              ;   in Loop: Header=BB31_40 Depth=1
	v_cmp_gt_i32_e64 s0, s15, v94
	s_waitcnt vmcnt(0)
	s_delay_alu instid0(VALU_DEP_1) | instskip(SKIP_1) | instid1(VALU_DEP_1)
	v_cndmask_b32_e64 v13, 0, v13, s0
	v_cmp_gt_i32_e64 s0, s15, v97
	v_cndmask_b32_e64 v14, 0, v14, s0
	v_cmp_gt_i32_e64 s0, s15, v96
	s_delay_alu instid0(VALU_DEP_1) | instskip(SKIP_1) | instid1(VALU_DEP_1)
	v_cndmask_b32_e64 v15, 0, v15, s0
	v_cmp_gt_i32_e64 s0, s15, v95
	v_cndmask_b32_e64 v16, 0, v16, s0
	s_or_b32 exec_lo, exec_lo, s16
	global_load_b128 v[17:20], v[33:34], off offset:1536
	s_and_saveexec_b32 s16, vcc_lo
	s_cbranch_execz .LBB31_45
.LBB31_65:                              ;   in Loop: Header=BB31_40 Depth=1
	v_cmp_gt_i32_e64 s0, s15, v94
	s_waitcnt vmcnt(0)
	s_delay_alu instid0(VALU_DEP_1) | instskip(SKIP_1) | instid1(VALU_DEP_1)
	v_cndmask_b32_e64 v17, 0, v17, s0
	v_cmp_gt_i32_e64 s0, s15, v97
	v_cndmask_b32_e64 v18, 0, v18, s0
	v_cmp_gt_i32_e64 s0, s15, v96
	s_delay_alu instid0(VALU_DEP_1) | instskip(SKIP_1) | instid1(VALU_DEP_1)
	v_cndmask_b32_e64 v19, 0, v19, s0
	v_cmp_gt_i32_e64 s0, s15, v95
	v_cndmask_b32_e64 v20, 0, v20, s0
	s_or_b32 exec_lo, exec_lo, s16
	global_load_b128 v[21:24], v[33:34], off offset:2048
	s_and_saveexec_b32 s16, vcc_lo
	s_cbranch_execz .LBB31_46
.LBB31_66:                              ;   in Loop: Header=BB31_40 Depth=1
	v_cmp_gt_i32_e64 s0, s15, v94
	s_waitcnt vmcnt(0)
	s_delay_alu instid0(VALU_DEP_1) | instskip(SKIP_1) | instid1(VALU_DEP_1)
	v_cndmask_b32_e64 v21, 0, v21, s0
	v_cmp_gt_i32_e64 s0, s15, v97
	v_cndmask_b32_e64 v22, 0, v22, s0
	v_cmp_gt_i32_e64 s0, s15, v96
	s_delay_alu instid0(VALU_DEP_1) | instskip(SKIP_1) | instid1(VALU_DEP_1)
	v_cndmask_b32_e64 v23, 0, v23, s0
	v_cmp_gt_i32_e64 s0, s15, v95
	v_cndmask_b32_e64 v24, 0, v24, s0
	s_or_b32 exec_lo, exec_lo, s16
	global_load_b128 v[25:28], v[33:34], off offset:2560
	s_and_saveexec_b32 s16, vcc_lo
	s_cbranch_execz .LBB31_47
.LBB31_67:                              ;   in Loop: Header=BB31_40 Depth=1
	v_cmp_gt_i32_e64 s0, s15, v94
	s_waitcnt vmcnt(0)
	s_delay_alu instid0(VALU_DEP_1) | instskip(SKIP_1) | instid1(VALU_DEP_1)
	v_cndmask_b32_e64 v25, 0, v25, s0
	v_cmp_gt_i32_e64 s0, s15, v97
	v_cndmask_b32_e64 v26, 0, v26, s0
	v_cmp_gt_i32_e64 s0, s15, v96
	s_delay_alu instid0(VALU_DEP_1) | instskip(SKIP_1) | instid1(VALU_DEP_1)
	v_cndmask_b32_e64 v27, 0, v27, s0
	v_cmp_gt_i32_e64 s0, s15, v95
	v_cndmask_b32_e64 v28, 0, v28, s0
	s_or_b32 exec_lo, exec_lo, s16
	global_load_b128 v[29:32], v[33:34], off offset:3072
	s_and_saveexec_b32 s16, vcc_lo
	s_cbranch_execz .LBB31_48
.LBB31_68:                              ;   in Loop: Header=BB31_40 Depth=1
	v_cmp_gt_i32_e64 s0, s15, v94
	s_waitcnt vmcnt(0)
	s_delay_alu instid0(VALU_DEP_1) | instskip(SKIP_1) | instid1(VALU_DEP_1)
	v_cndmask_b32_e64 v29, 0, v29, s0
	v_cmp_gt_i32_e64 s0, s15, v97
	v_cndmask_b32_e64 v30, 0, v30, s0
	v_cmp_gt_i32_e64 s0, s15, v96
	s_delay_alu instid0(VALU_DEP_1) | instskip(SKIP_1) | instid1(VALU_DEP_1)
	v_cndmask_b32_e64 v31, 0, v31, s0
	v_cmp_gt_i32_e64 s0, s15, v95
	v_cndmask_b32_e64 v32, 0, v32, s0
	s_or_b32 exec_lo, exec_lo, s16
	global_load_b128 v[33:36], v[33:34], off offset:3584
	s_and_saveexec_b32 s16, vcc_lo
	s_cbranch_execnz .LBB31_49
	s_branch .LBB31_50
.LBB31_69:
	s_or_b32 exec_lo, exec_lo, s3
.LBB31_70:
	s_delay_alu instid0(SALU_CYCLE_1)
	s_or_b32 exec_lo, exec_lo, s1
	ds_bpermute_b32 v1, v67, v82
	ds_bpermute_b32 v3, v67, v81
	;; [unrolled: 1-line block ×14, first 2 shown]
	s_movk_i32 s0, 0x1c0
	s_waitcnt lgkmcnt(0)
	s_waitcnt_vscnt null, 0x0
	s_barrier
	buffer_gl0_inv
	v_add_f32_e32 v1, v82, v1
	v_dual_add_f32 v3, v81, v3 :: v_dual_add_f32 v2, v83, v2
	v_dual_add_f32 v4, v80, v4 :: v_dual_add_f32 v5, v79, v5
	;; [unrolled: 1-line block ×3, first 2 shown]
	v_add_f32_e32 v8, v76, v8
	ds_bpermute_b32 v15, v68, v1
	ds_bpermute_b32 v17, v68, v3
	v_dual_add_f32 v9, v75, v9 :: v_dual_add_f32 v10, v74, v10
	v_dual_add_f32 v11, v73, v11 :: v_dual_add_f32 v12, v72, v12
	;; [unrolled: 1-line block ×3, first 2 shown]
	ds_bpermute_b32 v16, v68, v2
	ds_bpermute_b32 v18, v68, v4
	;; [unrolled: 1-line block ×12, first 2 shown]
	s_waitcnt lgkmcnt(13)
	v_add_f32_e32 v1, v1, v15
	s_waitcnt lgkmcnt(12)
	v_add_f32_e32 v3, v3, v17
	v_and_b32_e32 v17, 0x3c3, v0
	v_lshrrev_b32_e32 v15, 2, v66
	s_delay_alu instid0(VALU_DEP_2)
	v_cmp_eq_u32_e32 vcc_lo, 64, v17
	s_waitcnt lgkmcnt(11)
	v_add_f32_e32 v2, v2, v16
	s_waitcnt lgkmcnt(9)
	v_dual_add_f32 v4, v4, v18 :: v_dual_add_f32 v5, v5, v19
	s_waitcnt lgkmcnt(7)
	v_dual_add_f32 v6, v6, v20 :: v_dual_add_f32 v7, v7, v21
	;; [unrolled: 2-line block ×5, first 2 shown]
	s_waitcnt lgkmcnt(0)
	v_add_f32_e32 v14, v14, v28
	v_mad_u32_u24 v16, v64, s0, 0x1e0
	v_lshlrev_b32_e32 v17, 2, v15
	s_and_saveexec_b32 s0, vcc_lo
	s_cbranch_execz .LBB31_72
; %bb.71:
	s_delay_alu instid0(VALU_DEP_1)
	v_add3_u32 v18, v16, v17, 0xfffffc80
	ds_store_2addr_b32 v18, v1, v2 offset1:8
	ds_store_2addr_b32 v18, v3, v4 offset0:16 offset1:24
	ds_store_2addr_b32 v18, v5, v6 offset0:32 offset1:40
	;; [unrolled: 1-line block ×6, first 2 shown]
.LBB31_72:
	s_or_b32 exec_lo, exec_lo, s0
	v_cmp_eq_u32_e32 vcc_lo, 0, v69
	s_mov_b32 s1, exec_lo
	s_waitcnt lgkmcnt(0)
	s_barrier
	buffer_gl0_inv
	v_cmpx_gt_u32_e32 64, v0
	s_cbranch_execz .LBB31_89
; %bb.73:
	s_and_saveexec_b32 s0, vcc_lo
	s_cbranch_execnz .LBB31_111
; %bb.74:
	s_or_b32 exec_lo, exec_lo, s0
	s_and_saveexec_b32 s0, vcc_lo
	s_cbranch_execnz .LBB31_112
.LBB31_75:
	s_or_b32 exec_lo, exec_lo, s0
	s_and_saveexec_b32 s0, vcc_lo
	s_cbranch_execnz .LBB31_113
.LBB31_76:
	s_or_b32 exec_lo, exec_lo, s0
	s_and_saveexec_b32 s0, vcc_lo
	s_cbranch_execnz .LBB31_114
.LBB31_77:
	s_or_b32 exec_lo, exec_lo, s0
	s_and_saveexec_b32 s0, vcc_lo
	s_cbranch_execnz .LBB31_115
.LBB31_78:
	s_or_b32 exec_lo, exec_lo, s0
	s_and_saveexec_b32 s0, vcc_lo
	s_cbranch_execnz .LBB31_116
.LBB31_79:
	s_or_b32 exec_lo, exec_lo, s0
	s_and_saveexec_b32 s0, vcc_lo
	s_cbranch_execnz .LBB31_117
.LBB31_80:
	s_or_b32 exec_lo, exec_lo, s0
	s_and_saveexec_b32 s0, vcc_lo
	s_cbranch_execnz .LBB31_118
.LBB31_81:
	s_or_b32 exec_lo, exec_lo, s0
	s_and_saveexec_b32 s0, vcc_lo
	s_cbranch_execnz .LBB31_119
.LBB31_82:
	s_or_b32 exec_lo, exec_lo, s0
	s_and_saveexec_b32 s0, vcc_lo
	s_cbranch_execnz .LBB31_120
.LBB31_83:
	s_or_b32 exec_lo, exec_lo, s0
	s_and_saveexec_b32 s0, vcc_lo
	s_cbranch_execnz .LBB31_121
.LBB31_84:
	s_or_b32 exec_lo, exec_lo, s0
	s_and_saveexec_b32 s0, vcc_lo
	s_cbranch_execnz .LBB31_122
.LBB31_85:
	s_or_b32 exec_lo, exec_lo, s0
	s_and_saveexec_b32 s0, vcc_lo
	s_cbranch_execnz .LBB31_123
.LBB31_86:
	s_or_b32 exec_lo, exec_lo, s0
	s_and_saveexec_b32 s0, vcc_lo
	s_cbranch_execz .LBB31_88
.LBB31_87:
	v_lshl_add_u32 v18, v15, 2, v16
	ds_load_b32 v18, v18 offset:416
	s_waitcnt lgkmcnt(0)
	v_add_f32_e32 v14, v14, v18
.LBB31_88:
	s_or_b32 exec_lo, exec_lo, s0
.LBB31_89:
	s_delay_alu instid0(SALU_CYCLE_1)
	s_or_b32 exec_lo, exec_lo, s1
	v_and_b32_e32 v18, 0x3e3, v0
	s_mov_b32 s1, exec_lo
	s_barrier
	buffer_gl0_inv
	v_cmpx_eq_u32_e32 32, v18
	s_cbranch_execz .LBB31_91
; %bb.90:
	v_add3_u32 v17, v16, v17, 0xfffffe40
	ds_store_2addr_b32 v17, v1, v2 offset1:8
	ds_store_2addr_b32 v17, v3, v4 offset0:16 offset1:24
	ds_store_2addr_b32 v17, v5, v6 offset0:32 offset1:40
	;; [unrolled: 1-line block ×6, first 2 shown]
.LBB31_91:
	s_or_b32 exec_lo, exec_lo, s1
	s_delay_alu instid0(SALU_CYCLE_1)
	s_mov_b32 s1, exec_lo
	s_waitcnt lgkmcnt(0)
	s_barrier
	buffer_gl0_inv
	v_cmpx_gt_u32_e32 32, v0
	s_cbranch_execz .LBB31_108
; %bb.92:
	v_lshl_add_u32 v15, v15, 2, v16
	s_and_saveexec_b32 s0, vcc_lo
	s_cbranch_execnz .LBB31_124
; %bb.93:
	s_or_b32 exec_lo, exec_lo, s0
	s_and_saveexec_b32 s0, vcc_lo
	s_cbranch_execnz .LBB31_125
.LBB31_94:
	s_or_b32 exec_lo, exec_lo, s0
	s_and_saveexec_b32 s0, vcc_lo
	s_cbranch_execnz .LBB31_126
.LBB31_95:
	s_or_b32 exec_lo, exec_lo, s0
	s_and_saveexec_b32 s0, vcc_lo
	s_cbranch_execnz .LBB31_127
.LBB31_96:
	s_or_b32 exec_lo, exec_lo, s0
	s_and_saveexec_b32 s0, vcc_lo
	s_cbranch_execnz .LBB31_128
.LBB31_97:
	s_or_b32 exec_lo, exec_lo, s0
	s_and_saveexec_b32 s0, vcc_lo
	s_cbranch_execnz .LBB31_129
.LBB31_98:
	s_or_b32 exec_lo, exec_lo, s0
	s_and_saveexec_b32 s0, vcc_lo
	s_cbranch_execnz .LBB31_130
.LBB31_99:
	s_or_b32 exec_lo, exec_lo, s0
	s_and_saveexec_b32 s0, vcc_lo
	s_cbranch_execnz .LBB31_131
.LBB31_100:
	s_or_b32 exec_lo, exec_lo, s0
	s_and_saveexec_b32 s0, vcc_lo
	s_cbranch_execnz .LBB31_132
.LBB31_101:
	s_or_b32 exec_lo, exec_lo, s0
	s_and_saveexec_b32 s0, vcc_lo
	s_cbranch_execnz .LBB31_133
.LBB31_102:
	s_or_b32 exec_lo, exec_lo, s0
	s_and_saveexec_b32 s0, vcc_lo
	s_cbranch_execnz .LBB31_134
.LBB31_103:
	s_or_b32 exec_lo, exec_lo, s0
	s_and_saveexec_b32 s0, vcc_lo
	s_cbranch_execnz .LBB31_135
.LBB31_104:
	s_or_b32 exec_lo, exec_lo, s0
	s_and_saveexec_b32 s0, vcc_lo
	s_cbranch_execnz .LBB31_136
.LBB31_105:
	s_or_b32 exec_lo, exec_lo, s0
	s_and_saveexec_b32 s0, vcc_lo
	s_cbranch_execz .LBB31_107
.LBB31_106:
	ds_load_b32 v15, v15 offset:416
	s_waitcnt lgkmcnt(0)
	v_add_f32_e32 v14, v14, v15
.LBB31_107:
	s_or_b32 exec_lo, exec_lo, s0
.LBB31_108:
	s_delay_alu instid0(SALU_CYCLE_1)
	s_or_b32 exec_lo, exec_lo, s1
	s_barrier
	buffer_gl0_inv
	s_mov_b32 s0, exec_lo
	v_cmpx_eq_u32_e32 0, v18
	s_cbranch_execz .LBB31_110
; %bb.109:
	s_mul_i32 s0, s6, 0x70
	s_mul_i32 s2, s4, s20
	s_ashr_i32 s1, s0, 31
	s_delay_alu instid0(SALU_CYCLE_1) | instskip(NEXT) | instid1(SALU_CYCLE_1)
	s_lshl_b64 s[0:1], s[0:1], 2
	s_add_u32 s4, s22, s0
	s_addc_u32 s5, s23, s1
	s_ashr_i32 s3, s2, 31
	s_delay_alu instid0(SALU_CYCLE_1) | instskip(SKIP_4) | instid1(SALU_CYCLE_1)
	s_lshl_b64 s[0:1], s[2:3], 2
	s_mul_i32 s2, s12, 0x70
	s_add_u32 s4, s4, s0
	s_addc_u32 s5, s5, s1
	s_ashr_i32 s3, s2, 31
	s_lshl_b64 s[0:1], s[2:3], 2
	s_delay_alu instid0(SALU_CYCLE_1)
	s_add_u32 s0, s4, s0
	s_addc_u32 s1, s5, s1
	s_clause 0xd
	global_store_b32 v0, v1, s[0:1]
	global_store_b32 v0, v2, s[0:1] offset:32
	global_store_b32 v0, v3, s[0:1] offset:64
	;; [unrolled: 1-line block ×13, first 2 shown]
.LBB31_110:
	s_nop 0
	s_sendmsg sendmsg(MSG_DEALLOC_VGPRS)
	s_endpgm
.LBB31_111:
	v_lshl_add_u32 v18, v15, 2, v16
	ds_load_b32 v18, v18
	s_waitcnt lgkmcnt(0)
	v_add_f32_e32 v1, v1, v18
	s_or_b32 exec_lo, exec_lo, s0
	s_and_saveexec_b32 s0, vcc_lo
	s_cbranch_execz .LBB31_75
.LBB31_112:
	v_lshl_add_u32 v18, v15, 2, v16
	ds_load_b32 v18, v18 offset:32
	s_waitcnt lgkmcnt(0)
	v_add_f32_e32 v2, v2, v18
	s_or_b32 exec_lo, exec_lo, s0
	s_and_saveexec_b32 s0, vcc_lo
	s_cbranch_execz .LBB31_76
.LBB31_113:
	v_lshl_add_u32 v18, v15, 2, v16
	ds_load_b32 v18, v18 offset:64
	s_waitcnt lgkmcnt(0)
	v_add_f32_e32 v3, v3, v18
	s_or_b32 exec_lo, exec_lo, s0
	s_and_saveexec_b32 s0, vcc_lo
	s_cbranch_execz .LBB31_77
.LBB31_114:
	v_lshl_add_u32 v18, v15, 2, v16
	ds_load_b32 v18, v18 offset:96
	s_waitcnt lgkmcnt(0)
	v_add_f32_e32 v4, v4, v18
	s_or_b32 exec_lo, exec_lo, s0
	s_and_saveexec_b32 s0, vcc_lo
	s_cbranch_execz .LBB31_78
.LBB31_115:
	v_lshl_add_u32 v18, v15, 2, v16
	ds_load_b32 v18, v18 offset:128
	s_waitcnt lgkmcnt(0)
	v_add_f32_e32 v5, v5, v18
	s_or_b32 exec_lo, exec_lo, s0
	s_and_saveexec_b32 s0, vcc_lo
	s_cbranch_execz .LBB31_79
.LBB31_116:
	v_lshl_add_u32 v18, v15, 2, v16
	ds_load_b32 v18, v18 offset:160
	s_waitcnt lgkmcnt(0)
	v_add_f32_e32 v6, v6, v18
	s_or_b32 exec_lo, exec_lo, s0
	s_and_saveexec_b32 s0, vcc_lo
	s_cbranch_execz .LBB31_80
.LBB31_117:
	v_lshl_add_u32 v18, v15, 2, v16
	ds_load_b32 v18, v18 offset:192
	s_waitcnt lgkmcnt(0)
	v_add_f32_e32 v7, v7, v18
	s_or_b32 exec_lo, exec_lo, s0
	s_and_saveexec_b32 s0, vcc_lo
	s_cbranch_execz .LBB31_81
.LBB31_118:
	v_lshl_add_u32 v18, v15, 2, v16
	ds_load_b32 v18, v18 offset:224
	s_waitcnt lgkmcnt(0)
	v_add_f32_e32 v8, v8, v18
	s_or_b32 exec_lo, exec_lo, s0
	s_and_saveexec_b32 s0, vcc_lo
	s_cbranch_execz .LBB31_82
.LBB31_119:
	v_lshl_add_u32 v18, v15, 2, v16
	ds_load_b32 v18, v18 offset:256
	s_waitcnt lgkmcnt(0)
	v_add_f32_e32 v9, v9, v18
	s_or_b32 exec_lo, exec_lo, s0
	s_and_saveexec_b32 s0, vcc_lo
	s_cbranch_execz .LBB31_83
.LBB31_120:
	v_lshl_add_u32 v18, v15, 2, v16
	ds_load_b32 v18, v18 offset:288
	s_waitcnt lgkmcnt(0)
	v_add_f32_e32 v10, v10, v18
	s_or_b32 exec_lo, exec_lo, s0
	s_and_saveexec_b32 s0, vcc_lo
	s_cbranch_execz .LBB31_84
.LBB31_121:
	v_lshl_add_u32 v18, v15, 2, v16
	ds_load_b32 v18, v18 offset:320
	s_waitcnt lgkmcnt(0)
	v_add_f32_e32 v11, v11, v18
	s_or_b32 exec_lo, exec_lo, s0
	s_and_saveexec_b32 s0, vcc_lo
	s_cbranch_execz .LBB31_85
.LBB31_122:
	v_lshl_add_u32 v18, v15, 2, v16
	ds_load_b32 v18, v18 offset:352
	s_waitcnt lgkmcnt(0)
	v_add_f32_e32 v12, v12, v18
	s_or_b32 exec_lo, exec_lo, s0
	s_and_saveexec_b32 s0, vcc_lo
	s_cbranch_execz .LBB31_86
.LBB31_123:
	v_lshl_add_u32 v18, v15, 2, v16
	ds_load_b32 v18, v18 offset:384
	s_waitcnt lgkmcnt(0)
	v_add_f32_e32 v13, v13, v18
	s_or_b32 exec_lo, exec_lo, s0
	s_and_saveexec_b32 s0, vcc_lo
	s_cbranch_execnz .LBB31_87
	s_branch .LBB31_88
.LBB31_124:
	ds_load_b32 v16, v15
	s_waitcnt lgkmcnt(0)
	v_add_f32_e32 v1, v1, v16
	s_or_b32 exec_lo, exec_lo, s0
	s_and_saveexec_b32 s0, vcc_lo
	s_cbranch_execz .LBB31_94
.LBB31_125:
	ds_load_b32 v16, v15 offset:32
	s_waitcnt lgkmcnt(0)
	v_add_f32_e32 v2, v2, v16
	s_or_b32 exec_lo, exec_lo, s0
	s_and_saveexec_b32 s0, vcc_lo
	s_cbranch_execz .LBB31_95
.LBB31_126:
	ds_load_b32 v16, v15 offset:64
	s_waitcnt lgkmcnt(0)
	v_add_f32_e32 v3, v3, v16
	s_or_b32 exec_lo, exec_lo, s0
	s_and_saveexec_b32 s0, vcc_lo
	s_cbranch_execz .LBB31_96
.LBB31_127:
	ds_load_b32 v16, v15 offset:96
	s_waitcnt lgkmcnt(0)
	v_add_f32_e32 v4, v4, v16
	s_or_b32 exec_lo, exec_lo, s0
	s_and_saveexec_b32 s0, vcc_lo
	s_cbranch_execz .LBB31_97
.LBB31_128:
	ds_load_b32 v16, v15 offset:128
	s_waitcnt lgkmcnt(0)
	v_add_f32_e32 v5, v5, v16
	s_or_b32 exec_lo, exec_lo, s0
	s_and_saveexec_b32 s0, vcc_lo
	s_cbranch_execz .LBB31_98
.LBB31_129:
	ds_load_b32 v16, v15 offset:160
	s_waitcnt lgkmcnt(0)
	v_add_f32_e32 v6, v6, v16
	s_or_b32 exec_lo, exec_lo, s0
	s_and_saveexec_b32 s0, vcc_lo
	s_cbranch_execz .LBB31_99
.LBB31_130:
	ds_load_b32 v16, v15 offset:192
	s_waitcnt lgkmcnt(0)
	v_add_f32_e32 v7, v7, v16
	s_or_b32 exec_lo, exec_lo, s0
	s_and_saveexec_b32 s0, vcc_lo
	s_cbranch_execz .LBB31_100
.LBB31_131:
	ds_load_b32 v16, v15 offset:224
	s_waitcnt lgkmcnt(0)
	v_add_f32_e32 v8, v8, v16
	s_or_b32 exec_lo, exec_lo, s0
	s_and_saveexec_b32 s0, vcc_lo
	s_cbranch_execz .LBB31_101
.LBB31_132:
	ds_load_b32 v16, v15 offset:256
	s_waitcnt lgkmcnt(0)
	v_add_f32_e32 v9, v9, v16
	s_or_b32 exec_lo, exec_lo, s0
	s_and_saveexec_b32 s0, vcc_lo
	s_cbranch_execz .LBB31_102
.LBB31_133:
	ds_load_b32 v16, v15 offset:288
	s_waitcnt lgkmcnt(0)
	v_add_f32_e32 v10, v10, v16
	s_or_b32 exec_lo, exec_lo, s0
	s_and_saveexec_b32 s0, vcc_lo
	s_cbranch_execz .LBB31_103
.LBB31_134:
	ds_load_b32 v16, v15 offset:320
	s_waitcnt lgkmcnt(0)
	v_add_f32_e32 v11, v11, v16
	s_or_b32 exec_lo, exec_lo, s0
	s_and_saveexec_b32 s0, vcc_lo
	s_cbranch_execz .LBB31_104
.LBB31_135:
	ds_load_b32 v16, v15 offset:352
	s_waitcnt lgkmcnt(0)
	v_add_f32_e32 v12, v12, v16
	s_or_b32 exec_lo, exec_lo, s0
	s_and_saveexec_b32 s0, vcc_lo
	s_cbranch_execz .LBB31_105
.LBB31_136:
	ds_load_b32 v16, v15 offset:384
	s_waitcnt lgkmcnt(0)
	v_add_f32_e32 v13, v13, v16
	s_or_b32 exec_lo, exec_lo, s0
	s_and_saveexec_b32 s0, vcc_lo
	s_cbranch_execnz .LBB31_106
	s_branch .LBB31_107
	.section	.rodata,"a",@progbits
	.p2align	6, 0x0
	.amdhsa_kernel _ZN4vllm25paged_attention_v2_kernelIffLi112ELi16ELi128ELNS_18Fp8KVCacheDataTypeE0ELb1ELi512EEEvPfS2_PT_PKS3_PKT0_S9_ifPKiSB_iPKfiiiSD_SD_iiiii
		.amdhsa_group_segment_fixed_size 480
		.amdhsa_private_segment_fixed_size 0
		.amdhsa_kernarg_size 400
		.amdhsa_user_sgpr_count 13
		.amdhsa_user_sgpr_dispatch_ptr 0
		.amdhsa_user_sgpr_queue_ptr 0
		.amdhsa_user_sgpr_kernarg_segment_ptr 1
		.amdhsa_user_sgpr_dispatch_id 0
		.amdhsa_user_sgpr_private_segment_size 0
		.amdhsa_wavefront_size32 1
		.amdhsa_uses_dynamic_stack 0
		.amdhsa_enable_private_segment 0
		.amdhsa_system_sgpr_workgroup_id_x 1
		.amdhsa_system_sgpr_workgroup_id_y 1
		.amdhsa_system_sgpr_workgroup_id_z 1
		.amdhsa_system_sgpr_workgroup_info 0
		.amdhsa_system_vgpr_workitem_id 0
		.amdhsa_next_free_vgpr 98
		.amdhsa_next_free_sgpr 46
		.amdhsa_reserve_vcc 1
		.amdhsa_float_round_mode_32 0
		.amdhsa_float_round_mode_16_64 0
		.amdhsa_float_denorm_mode_32 3
		.amdhsa_float_denorm_mode_16_64 3
		.amdhsa_dx10_clamp 1
		.amdhsa_ieee_mode 1
		.amdhsa_fp16_overflow 0
		.amdhsa_workgroup_processor_mode 1
		.amdhsa_memory_ordered 1
		.amdhsa_forward_progress 0
		.amdhsa_shared_vgpr_count 0
		.amdhsa_exception_fp_ieee_invalid_op 0
		.amdhsa_exception_fp_denorm_src 0
		.amdhsa_exception_fp_ieee_div_zero 0
		.amdhsa_exception_fp_ieee_overflow 0
		.amdhsa_exception_fp_ieee_underflow 0
		.amdhsa_exception_fp_ieee_inexact 0
		.amdhsa_exception_int_div_zero 0
	.end_amdhsa_kernel
	.section	.text._ZN4vllm25paged_attention_v2_kernelIffLi112ELi16ELi128ELNS_18Fp8KVCacheDataTypeE0ELb1ELi512EEEvPfS2_PT_PKS3_PKT0_S9_ifPKiSB_iPKfiiiSD_SD_iiiii,"axG",@progbits,_ZN4vllm25paged_attention_v2_kernelIffLi112ELi16ELi128ELNS_18Fp8KVCacheDataTypeE0ELb1ELi512EEEvPfS2_PT_PKS3_PKT0_S9_ifPKiSB_iPKfiiiSD_SD_iiiii,comdat
.Lfunc_end31:
	.size	_ZN4vllm25paged_attention_v2_kernelIffLi112ELi16ELi128ELNS_18Fp8KVCacheDataTypeE0ELb1ELi512EEEvPfS2_PT_PKS3_PKT0_S9_ifPKiSB_iPKfiiiSD_SD_iiiii, .Lfunc_end31-_ZN4vllm25paged_attention_v2_kernelIffLi112ELi16ELi128ELNS_18Fp8KVCacheDataTypeE0ELb1ELi512EEEvPfS2_PT_PKS3_PKT0_S9_ifPKiSB_iPKfiiiSD_SD_iiiii
                                        ; -- End function
	.section	.AMDGPU.csdata,"",@progbits
; Kernel info:
; codeLenInByte = 8372
; NumSgprs: 48
; NumVgprs: 98
; ScratchSize: 0
; MemoryBound: 0
; FloatMode: 240
; IeeeMode: 1
; LDSByteSize: 480 bytes/workgroup (compile time only)
; SGPRBlocks: 5
; VGPRBlocks: 12
; NumSGPRsForWavesPerEU: 48
; NumVGPRsForWavesPerEU: 98
; Occupancy: 12
; WaveLimiterHint : 1
; COMPUTE_PGM_RSRC2:SCRATCH_EN: 0
; COMPUTE_PGM_RSRC2:USER_SGPR: 13
; COMPUTE_PGM_RSRC2:TRAP_HANDLER: 0
; COMPUTE_PGM_RSRC2:TGID_X_EN: 1
; COMPUTE_PGM_RSRC2:TGID_Y_EN: 1
; COMPUTE_PGM_RSRC2:TGID_Z_EN: 1
; COMPUTE_PGM_RSRC2:TIDIG_COMP_CNT: 0
	.section	.text._ZN4vllm25paged_attention_v2_kernelIffLi120ELi16ELi128ELNS_18Fp8KVCacheDataTypeE0ELb1ELi512EEEvPfS2_PT_PKS3_PKT0_S9_ifPKiSB_iPKfiiiSD_SD_iiiii,"axG",@progbits,_ZN4vllm25paged_attention_v2_kernelIffLi120ELi16ELi128ELNS_18Fp8KVCacheDataTypeE0ELb1ELi512EEEvPfS2_PT_PKS3_PKT0_S9_ifPKiSB_iPKfiiiSD_SD_iiiii,comdat
	.protected	_ZN4vllm25paged_attention_v2_kernelIffLi120ELi16ELi128ELNS_18Fp8KVCacheDataTypeE0ELb1ELi512EEEvPfS2_PT_PKS3_PKT0_S9_ifPKiSB_iPKfiiiSD_SD_iiiii ; -- Begin function _ZN4vllm25paged_attention_v2_kernelIffLi120ELi16ELi128ELNS_18Fp8KVCacheDataTypeE0ELb1ELi512EEEvPfS2_PT_PKS3_PKT0_S9_ifPKiSB_iPKfiiiSD_SD_iiiii
	.globl	_ZN4vllm25paged_attention_v2_kernelIffLi120ELi16ELi128ELNS_18Fp8KVCacheDataTypeE0ELb1ELi512EEEvPfS2_PT_PKS3_PKT0_S9_ifPKiSB_iPKfiiiSD_SD_iiiii
	.p2align	8
	.type	_ZN4vllm25paged_attention_v2_kernelIffLi120ELi16ELi128ELNS_18Fp8KVCacheDataTypeE0ELb1ELi512EEEvPfS2_PT_PKS3_PKT0_S9_ifPKiSB_iPKfiiiSD_SD_iiiii,@function
_ZN4vllm25paged_attention_v2_kernelIffLi120ELi16ELi128ELNS_18Fp8KVCacheDataTypeE0ELb1ELi512EEEvPfS2_PT_PKS3_PKT0_S9_ifPKiSB_iPKfiiiSD_SD_iiiii: ; @_ZN4vllm25paged_attention_v2_kernelIffLi120ELi16ELi128ELNS_18Fp8KVCacheDataTypeE0ELb1ELi512EEEvPfS2_PT_PKS3_PKT0_S9_ifPKiSB_iPKfiiiSD_SD_iiiii
; %bb.0:
	s_load_b64 s[2:3], s[0:1], 0x40
	s_mov_b32 s12, s15
	s_ashr_i32 s15, s14, 31
	s_delay_alu instid0(SALU_CYCLE_1)
	s_lshl_b64 s[4:5], s[14:15], 2
	s_waitcnt lgkmcnt(0)
	s_add_u32 s2, s2, s4
	s_addc_u32 s3, s3, s5
	s_lshl_b32 s38, s12, 9
	s_load_b32 s15, s[2:3], 0x0
	s_waitcnt lgkmcnt(0)
	s_cmp_ge_i32 s38, s15
	s_cbranch_scc1 .LBB32_114
; %bb.1:
	s_mov_b32 s24, s13
	s_clause 0x1
	s_load_b32 s13, s[0:1], 0x90
	s_load_b64 s[36:37], s[0:1], 0x30
	s_mov_b32 s40, 0
	s_waitcnt lgkmcnt(0)
	s_abs_i32 s5, s13
	s_abs_i32 s2, s36
	s_delay_alu instid0(SALU_CYCLE_1) | instskip(SKIP_1) | instid1(VALU_DEP_1)
	v_cvt_f32_u32_e32 v1, s2
	s_sub_i32 s4, 0, s2
	v_rcp_iflag_f32_e32 v1, v1
	s_waitcnt_depctr 0xfff
	v_mul_f32_e32 v1, 0x4f7ffffe, v1
	s_delay_alu instid0(VALU_DEP_1) | instskip(NEXT) | instid1(VALU_DEP_1)
	v_cvt_u32_f32_e32 v1, v1
	v_readfirstlane_b32 s3, v1
	s_delay_alu instid0(VALU_DEP_1) | instskip(NEXT) | instid1(SALU_CYCLE_1)
	s_mul_i32 s4, s4, s3
	s_mul_hi_u32 s4, s3, s4
	s_delay_alu instid0(SALU_CYCLE_1) | instskip(SKIP_4) | instid1(SALU_CYCLE_1)
	s_add_i32 s3, s3, s4
	s_xor_b32 s4, s13, s36
	s_mul_hi_u32 s3, s5, s3
	s_ashr_i32 s4, s4, 31
	s_mul_i32 s6, s3, s2
	s_sub_i32 s5, s5, s6
	s_add_i32 s6, s3, 1
	s_sub_i32 s7, s5, s2
	s_cmp_ge_u32 s5, s2
	s_cselect_b32 s3, s6, s3
	s_cselect_b32 s5, s7, s5
	s_add_i32 s6, s3, 1
	s_cmp_ge_u32 s5, s2
	s_cselect_b32 s2, s6, s3
	s_abs_i32 s17, s24
	s_xor_b32 s2, s2, s4
	s_delay_alu instid0(SALU_CYCLE_1) | instskip(SKIP_2) | instid1(SALU_CYCLE_1)
	s_sub_i32 s8, s2, s4
	s_load_b64 s[2:3], s[0:1], 0x50
	s_abs_i32 s16, s8
	v_cvt_f32_u32_e32 v1, s16
	s_sub_i32 s5, 0, s16
	s_delay_alu instid0(VALU_DEP_1) | instskip(SKIP_2) | instid1(VALU_DEP_1)
	v_rcp_iflag_f32_e32 v1, v1
	s_waitcnt_depctr 0xfff
	v_mul_f32_e32 v1, 0x4f7ffffe, v1
	v_cvt_u32_f32_e32 v1, v1
	s_delay_alu instid0(VALU_DEP_1) | instskip(NEXT) | instid1(VALU_DEP_1)
	v_readfirstlane_b32 s4, v1
	s_mul_i32 s5, s5, s4
	s_delay_alu instid0(SALU_CYCLE_1) | instskip(NEXT) | instid1(SALU_CYCLE_1)
	s_mul_hi_u32 s5, s4, s5
	s_add_i32 s4, s4, s5
	s_waitcnt lgkmcnt(0)
	s_cmp_eq_u64 s[2:3], 0
	s_mul_hi_u32 s18, s17, s4
	s_cbranch_scc1 .LBB32_3
; %bb.2:
	s_ashr_i32 s25, s24, 31
	s_delay_alu instid0(SALU_CYCLE_1) | instskip(NEXT) | instid1(SALU_CYCLE_1)
	s_lshl_b64 s[4:5], s[24:25], 2
	s_add_u32 s2, s2, s4
	s_addc_u32 s3, s3, s5
	s_load_b32 s40, s[2:3], 0x0
.LBB32_3:
	s_load_b128 s[4:7], s[0:1], 0x58
	v_and_b32_e32 v1, 1, v0
	v_lshlrev_b32_e32 v2, 3, v0
	v_lshlrev_b32_e32 v3, 2, v0
	s_ashr_i32 s2, s24, 31
	s_ashr_i32 s3, s8, 31
	s_mul_i32 s20, s24, 0x78
	s_waitcnt lgkmcnt(0)
	s_mov_b32 s7, exec_lo
	v_cmpx_gt_u32_e32 60, v0
	s_cbranch_execz .LBB32_5
; %bb.4:
	s_load_b64 s[8:9], s[0:1], 0x18
	s_mul_i32 s10, s14, s4
	v_and_b32_e32 v6, 0xff8, v3
	s_ashr_i32 s11, s10, 31
	s_delay_alu instid0(SALU_CYCLE_1) | instskip(NEXT) | instid1(VALU_DEP_1)
	s_lshl_b64 s[10:11], s[10:11], 2
	v_mad_u32_u24 v6, 0xf0, v1, v6
	s_waitcnt lgkmcnt(0)
	s_add_u32 s4, s8, s10
	s_addc_u32 s10, s9, s11
	s_ashr_i32 s21, s20, 31
	s_delay_alu instid0(SALU_CYCLE_1) | instskip(NEXT) | instid1(SALU_CYCLE_1)
	s_lshl_b64 s[8:9], s[20:21], 2
	s_add_u32 s8, s4, s8
	s_addc_u32 s9, s10, s9
	global_load_b64 v[4:5], v2, s[8:9]
	s_waitcnt vmcnt(0)
	ds_store_b64 v6, v[4:5]
.LBB32_5:
	s_or_b32 exec_lo, exec_lo, s7
	s_load_b128 s[8:11], s[0:1], 0x78
	s_mul_i32 s4, s18, s16
	s_xor_b32 s2, s2, s3
	s_sub_i32 s3, s17, s4
	s_add_i32 s4, s18, 1
	s_sub_i32 s7, s3, s16
	s_cmp_ge_u32 s3, s16
	s_mov_b32 s17, -1
	s_cselect_b32 s4, s4, s18
	s_cselect_b32 s3, s7, s3
	s_add_i32 s7, s4, 1
	s_cmp_ge_u32 s3, s16
	s_waitcnt lgkmcnt(0)
	s_cselect_b32 s3, s7, s4
	s_load_b32 s4, s[0:1], 0x88
	s_xor_b32 s3, s3, s2
	s_add_i32 s16, s15, -1
	s_sub_i32 s3, s3, s2
	s_abs_i32 s7, s16
	s_waitcnt lgkmcnt(0)
	s_barrier
	s_abs_i32 s21, s11
	buffer_gl0_inv
	v_cvt_f32_u32_e32 v4, s21
	s_sub_i32 s2, 0, s21
                                        ; implicit-def: $sgpr33
	s_delay_alu instid0(VALU_DEP_1) | instskip(SKIP_2) | instid1(VALU_DEP_1)
	v_rcp_iflag_f32_e32 v4, v4
	s_waitcnt_depctr 0xfff
	v_mul_f32_e32 v4, 0x4f7ffffe, v4
	v_cvt_u32_f32_e32 v4, v4
	s_delay_alu instid0(VALU_DEP_1) | instskip(NEXT) | instid1(VALU_DEP_1)
	v_readfirstlane_b32 s25, v4
	s_mul_i32 s2, s2, s25
	s_delay_alu instid0(SALU_CYCLE_1) | instskip(NEXT) | instid1(SALU_CYCLE_1)
	s_mul_hi_u32 s2, s25, s2
	s_add_i32 s25, s25, s2
	s_cmp_lt_i32 s4, 0
	s_mul_hi_u32 s2, s7, s25
	s_cbranch_scc0 .LBB32_7
; %bb.6:
	s_mul_i32 s17, s8, s36
	s_delay_alu instid0(SALU_CYCLE_1) | instskip(NEXT) | instid1(SALU_CYCLE_1)
	s_add_i32 s17, s3, s17
	s_mul_i32 s17, s17, s4
	s_delay_alu instid0(SALU_CYCLE_1)
	s_sub_i32 s33, 1, s17
	s_mov_b32 s17, 0
.LBB32_7:
	s_load_b64 s[26:27], s[0:1], 0x38
	s_ashr_i32 s28, s16, 31
	s_and_not1_b32 vcc_lo, exec_lo, s17
	s_ashr_i32 s11, s11, 31
	s_cbranch_vccnz .LBB32_9
; %bb.8:
	s_mul_i32 s8, s13, s8
	s_delay_alu instid0(SALU_CYCLE_1) | instskip(NEXT) | instid1(SALU_CYCLE_1)
	s_add_i32 s8, s8, s24
	s_mul_i32 s4, s8, s4
	s_delay_alu instid0(SALU_CYCLE_1)
	s_add_i32 s33, s4, 1
.LBB32_9:
	s_clause 0x4
	s_load_b32 s8, s[0:1], 0x48
	s_load_b64 s[30:31], s[0:1], 0x28
	s_load_b32 s4, s[0:1], 0x98
	s_load_b128 s[16:19], s[0:1], 0x0
	s_load_b64 s[22:23], s[0:1], 0x10
	s_xor_b32 s34, s28, s11
	s_mul_i32 s28, s2, s21
	s_add_i32 s35, s2, 1
	s_sub_i32 s7, s7, s28
	v_lshrrev_b32_e32 v68, 5, v0
	v_mov_b32_e32 v5, 0xff7fffff
	v_mbcnt_lo_u32_b32 v4, -1, 0
	s_delay_alu instid0(VALU_DEP_3)
	v_lshl_add_u32 v69, v68, 4, s38
	s_waitcnt lgkmcnt(0)
	s_mul_i32 s28, s14, s8
	s_sub_i32 s8, s7, s21
	s_ashr_i32 s29, s28, 31
	s_cmp_ge_u32 s7, s21
	s_cselect_b32 s2, s35, s2
	s_cselect_b32 s7, s8, s7
	s_add_i32 s8, s2, 1
	s_cmp_ge_u32 s7, s21
	s_cselect_b32 s2, s8, s2
	s_add_i32 s8, s15, 15
	s_lshl_b32 s7, s12, 5
	s_ashr_i32 s35, s8, 31
	v_or_b32_e32 v65, s7, v68
	s_lshr_b32 s35, s35, 28
	s_xor_b32 s39, s2, s34
	s_add_i32 s8, s8, s35
	s_add_i32 s35, s7, 32
	s_ashr_i32 s36, s8, 4
	v_ashrrev_i32_e32 v66, 31, v65
	s_min_i32 s8, s35, s36
	s_sub_i32 s39, s39, s34
	v_cmp_gt_i32_e64 s2, s8, v65
	s_mul_i32 s34, s3, s6
	s_delay_alu instid0(VALU_DEP_1)
	s_and_saveexec_b32 s6, s2
	s_cbranch_execz .LBB32_19
; %bb.10:
	s_load_b64 s[0:1], s[0:1], 0x20
	s_ashr_i32 s35, s34, 31
	v_bfe_u32 v6, v0, 1, 4
	s_lshl_b64 s[42:43], s[34:35], 2
	s_sub_i32 s35, s39, s9
	v_cmp_eq_u32_e32 vcc_lo, 0, v1
	v_mul_u32_u24_e32 v7, 0xf0, v1
	v_lshlrev_b32_e32 v11, 2, v6
	v_subrev_nc_u32_e32 v14, s15, v6
	v_lshlrev_b32_e32 v17, 4, v6
	v_lshl_add_u32 v8, v68, 4, s38
	v_mov_b32_e32 v9, 0xff7fffff
	v_lshl_or_b32 v15, v68, 6, v11
	v_add_nc_u32_e32 v11, 1, v14
	v_xor_b32_e32 v10, 1, v4
	s_waitcnt lgkmcnt(0)
	s_add_u32 s3, s0, s42
	s_addc_u32 s1, s1, s43
	s_abs_i32 s41, s10
	v_cmp_neq_f32_e64 s0, s40, 0
	v_cvt_f32_u32_e32 v5, s41
	s_sub_i32 s42, 0, s41
	s_delay_alu instid0(VALU_DEP_1)
	v_rcp_iflag_f32_e32 v5, v5
	v_and_b32_e32 v13, 8, v2
	v_lshlrev_b64 v[1:2], 2, v[65:66]
	s_waitcnt_depctr 0xfff
	v_mul_f32_e32 v12, 0x4f7ffffe, v5
	v_mov_b32_e32 v5, 0xff7fffff
	s_delay_alu instid0(VALU_DEP_2) | instskip(SKIP_2) | instid1(VALU_DEP_1)
	v_cvt_u32_f32_e32 v16, v12
	v_add_nc_u32_e32 v12, 0x200, v15
	v_add_co_u32 v15, s3, s3, v17
	v_add_co_ci_u32_e64 v17, null, s1, 0, s3
	s_delay_alu instid0(VALU_DEP_4) | instskip(SKIP_1) | instid1(SALU_CYCLE_1)
	v_mul_lo_u32 v14, s42, v16
	s_lshl_b64 s[42:43], s[28:29], 2
	s_add_u32 s1, s26, s42
	s_addc_u32 s3, s27, s43
	v_add_co_u32 v1, s1, s1, v1
	s_delay_alu instid0(VALU_DEP_1) | instskip(NEXT) | instid1(VALU_DEP_3)
	v_add_co_ci_u32_e64 v2, s1, s3, v2, s1
	v_mul_hi_u32 v18, v16, v14
	v_add_co_u32 v13, s1, v15, v13
	s_delay_alu instid0(VALU_DEP_1) | instskip(SKIP_2) | instid1(VALU_DEP_3)
	v_add_co_ci_u32_e64 v14, s1, 0, v17, s1
	s_mov_b32 s42, 0
	s_mov_b32 s43, s5
	v_dual_mov_b32 v16, v65 :: v_dual_add_nc_u32 v15, v16, v18
	s_branch .LBB32_13
.LBB32_11:                              ;   in Loop: Header=BB32_13 Depth=1
	s_or_b32 exec_lo, exec_lo, s44
.LBB32_12:                              ;   in Loop: Header=BB32_13 Depth=1
	s_delay_alu instid0(SALU_CYCLE_1) | instskip(SKIP_2) | instid1(VALU_DEP_1)
	s_or_b32 exec_lo, exec_lo, s3
	v_add_nc_u32_e32 v16, 4, v16
	v_add_co_u32 v1, s3, v1, 16
	v_add_co_ci_u32_e64 v2, s3, 0, v2, s3
	s_delay_alu instid0(VALU_DEP_3) | instskip(SKIP_2) | instid1(VALU_DEP_3)
	v_cmp_le_i32_e64 s1, s8, v16
	v_add_nc_u32_e32 v8, 64, v8
	v_add_nc_u32_e32 v12, 0x100, v12
	s_or_b32 s42, s1, s42
	s_delay_alu instid0(SALU_CYCLE_1)
	s_and_not1_b32 exec_lo, exec_lo, s42
	s_cbranch_execz .LBB32_18
.LBB32_13:                              ; =>This Inner Loop Header: Depth=1
	v_sub_nc_u32_e32 v17, 0, v8
	s_delay_alu instid0(VALU_DEP_1) | instskip(SKIP_1) | instid1(VALU_DEP_1)
	v_max_i32_e32 v17, v8, v17
	s_waitcnt lgkmcnt(0)
	v_mul_hi_u32 v18, v17, s25
	s_delay_alu instid0(VALU_DEP_1) | instskip(NEXT) | instid1(VALU_DEP_1)
	v_mul_lo_u32 v19, v18, s21
	v_sub_nc_u32_e32 v17, v17, v19
	v_add_nc_u32_e32 v19, 1, v18
	s_delay_alu instid0(VALU_DEP_2) | instskip(SKIP_1) | instid1(VALU_DEP_1)
	v_subrev_nc_u32_e32 v20, s21, v17
	v_cmp_le_u32_e64 s1, s21, v17
	v_cndmask_b32_e64 v18, v18, v19, s1
	s_delay_alu instid0(VALU_DEP_3) | instskip(SKIP_1) | instid1(VALU_DEP_3)
	v_cndmask_b32_e64 v17, v17, v20, s1
	v_ashrrev_i32_e32 v19, 31, v8
	v_add_nc_u32_e32 v20, 1, v18
	s_delay_alu instid0(VALU_DEP_3) | instskip(NEXT) | instid1(VALU_DEP_3)
	v_cmp_le_u32_e64 s1, s21, v17
	v_xor_b32_e32 v19, s11, v19
	s_delay_alu instid0(VALU_DEP_2) | instskip(NEXT) | instid1(VALU_DEP_1)
	v_cndmask_b32_e64 v17, v18, v20, s1
	v_xor_b32_e32 v17, v17, v19
	s_delay_alu instid0(VALU_DEP_1) | instskip(NEXT) | instid1(VALU_DEP_1)
	v_sub_nc_u32_e32 v17, v17, v19
	v_add_nc_u32_e32 v18, s33, v17
	v_cmp_ge_i32_e64 s3, s35, v17
	s_delay_alu instid0(VALU_DEP_2) | instskip(NEXT) | instid1(VALU_DEP_1)
	v_sub_nc_u32_e32 v19, 0, v18
	v_max_i32_e32 v19, v18, v19
	v_ashrrev_i32_e32 v18, 31, v18
	s_delay_alu instid0(VALU_DEP_2) | instskip(NEXT) | instid1(VALU_DEP_1)
	v_mul_hi_u32 v20, v19, v15
	v_mul_lo_u32 v20, v20, s41
	s_delay_alu instid0(VALU_DEP_1) | instskip(NEXT) | instid1(VALU_DEP_1)
	v_sub_nc_u32_e32 v19, v19, v20
	v_subrev_nc_u32_e32 v20, s41, v19
	v_cmp_le_u32_e64 s1, s41, v19
	s_delay_alu instid0(VALU_DEP_1) | instskip(NEXT) | instid1(VALU_DEP_1)
	v_cndmask_b32_e64 v19, v19, v20, s1
	v_subrev_nc_u32_e32 v20, s41, v19
	v_cmp_le_u32_e64 s1, s41, v19
	s_delay_alu instid0(VALU_DEP_1) | instskip(NEXT) | instid1(VALU_DEP_1)
	v_cndmask_b32_e64 v19, v19, v20, s1
	v_xor_b32_e32 v19, v19, v18
	s_delay_alu instid0(VALU_DEP_1) | instskip(NEXT) | instid1(VALU_DEP_1)
	v_sub_nc_u32_e32 v18, v19, v18
	v_cmp_ne_u32_e64 s1, 0, v18
	s_delay_alu instid0(VALU_DEP_1) | instskip(NEXT) | instid1(SALU_CYCLE_1)
	s_and_b32 s1, s1, s3
	s_and_b32 s44, vcc_lo, s1
	s_delay_alu instid0(SALU_CYCLE_1)
	s_and_saveexec_b32 s3, s44
	s_cbranch_execz .LBB32_15
; %bb.14:                               ;   in Loop: Header=BB32_13 Depth=1
	ds_store_b32 v12, v9
.LBB32_15:                              ;   in Loop: Header=BB32_13 Depth=1
	s_or_b32 exec_lo, exec_lo, s3
	s_xor_b32 s1, s1, -1
	s_delay_alu instid0(SALU_CYCLE_1)
	s_and_saveexec_b32 s3, s1
	s_cbranch_execz .LBB32_12
; %bb.16:                               ;   in Loop: Header=BB32_13 Depth=1
	global_load_b32 v19, v[1:2], off
	s_waitcnt vmcnt(0)
	v_mad_i64_i32 v[17:18], null, v19, s43, 0
	s_delay_alu instid0(VALU_DEP_1) | instskip(NEXT) | instid1(VALU_DEP_1)
	v_lshlrev_b64 v[17:18], 2, v[17:18]
	v_add_co_u32 v17, s1, v13, v17
	s_delay_alu instid0(VALU_DEP_1)
	v_add_co_ci_u32_e64 v18, s1, v14, v18, s1
	s_clause 0xf
	global_load_b64 v[28:29], v[17:18], off offset:256
	global_load_b64 v[30:31], v[17:18], off
	global_load_b64 v[32:33], v[17:18], off offset:512
	global_load_b64 v[34:35], v[17:18], off offset:768
	;; [unrolled: 1-line block ×14, first 2 shown]
	v_add_co_u32 v17, s1, 0x1000, v17
	s_delay_alu instid0(VALU_DEP_1)
	v_add_co_ci_u32_e64 v18, s1, 0, v18, s1
	v_cmp_gt_i32_e64 s1, 32, v10
	s_clause 0xd
	global_load_b64 v[60:61], v[17:18], off
	global_load_b64 v[62:63], v[17:18], off offset:256
	global_load_b64 v[70:71], v[17:18], off offset:512
	;; [unrolled: 1-line block ×13, first 2 shown]
	ds_load_b128 v[17:20], v7
	ds_load_b128 v[21:24], v7 offset:16
	s_waitcnt vmcnt(29) lgkmcnt(1)
	v_dual_mul_f32 v64, v19, v28 :: v_dual_mul_f32 v29, v20, v29
	ds_load_b128 v[25:28], v7 offset:32
	s_waitcnt vmcnt(28)
	v_dual_fmac_f32 v64, v17, v30 :: v_dual_fmac_f32 v29, v18, v31
	ds_load_b128 v[17:20], v7 offset:48
	s_waitcnt vmcnt(27) lgkmcnt(2)
	v_dual_fmac_f32 v64, v21, v32 :: v_dual_fmac_f32 v29, v22, v33
	s_waitcnt vmcnt(26)
	s_delay_alu instid0(VALU_DEP_1) | instskip(SKIP_4) | instid1(VALU_DEP_1)
	v_dual_fmac_f32 v64, v23, v34 :: v_dual_fmac_f32 v29, v24, v35
	ds_load_b128 v[21:24], v7 offset:64
	s_waitcnt vmcnt(25) lgkmcnt(2)
	v_dual_fmac_f32 v64, v25, v36 :: v_dual_fmac_f32 v29, v26, v37
	s_waitcnt vmcnt(24)
	v_dual_fmac_f32 v64, v27, v38 :: v_dual_fmac_f32 v29, v28, v39
	ds_load_b128 v[25:28], v7 offset:80
	s_waitcnt vmcnt(23) lgkmcnt(2)
	v_dual_fmac_f32 v64, v17, v40 :: v_dual_fmac_f32 v29, v18, v41
	s_waitcnt vmcnt(22)
	s_delay_alu instid0(VALU_DEP_1) | instskip(SKIP_4) | instid1(VALU_DEP_1)
	v_dual_fmac_f32 v64, v19, v42 :: v_dual_fmac_f32 v29, v20, v43
	ds_load_b128 v[17:20], v7 offset:96
	s_waitcnt vmcnt(21) lgkmcnt(2)
	v_dual_fmac_f32 v64, v21, v44 :: v_dual_fmac_f32 v29, v22, v45
	;; [unrolled: 11-line block ×5, first 2 shown]
	s_waitcnt vmcnt(8)
	v_dual_fmac_f32 v64, v23, v76 :: v_dual_fmac_f32 v29, v24, v77
	ds_load_b128 v[21:24], v7 offset:208
	s_waitcnt vmcnt(7) lgkmcnt(2)
	v_dual_fmac_f32 v64, v25, v78 :: v_dual_fmac_f32 v29, v26, v79
	s_waitcnt vmcnt(6)
	s_delay_alu instid0(VALU_DEP_1)
	v_dual_fmac_f32 v64, v27, v80 :: v_dual_fmac_f32 v29, v28, v81
	ds_load_b128 v[25:28], v7 offset:224
	s_waitcnt vmcnt(5) lgkmcnt(2)
	v_dual_fmac_f32 v64, v17, v82 :: v_dual_fmac_f32 v29, v18, v83
	v_cndmask_b32_e64 v17, v4, v10, s1
	s_waitcnt vmcnt(4)
	s_delay_alu instid0(VALU_DEP_2) | instskip(NEXT) | instid1(VALU_DEP_2)
	v_dual_fmac_f32 v64, v84, v19 :: v_dual_fmac_f32 v29, v85, v20
	v_lshlrev_b32_e32 v18, 2, v17
	s_waitcnt vmcnt(3) lgkmcnt(1)
	s_delay_alu instid0(VALU_DEP_2) | instskip(SKIP_1) | instid1(VALU_DEP_1)
	v_dual_fmac_f32 v64, v86, v21 :: v_dual_fmac_f32 v29, v87, v22
	s_waitcnt vmcnt(2)
	v_dual_fmac_f32 v64, v88, v23 :: v_dual_fmac_f32 v29, v89, v24
	s_waitcnt vmcnt(1) lgkmcnt(0)
	s_delay_alu instid0(VALU_DEP_1) | instskip(SKIP_1) | instid1(VALU_DEP_1)
	v_dual_fmac_f32 v64, v90, v25 :: v_dual_fmac_f32 v29, v91, v26
	s_waitcnt vmcnt(0)
	v_dual_fmac_f32 v64, v92, v27 :: v_dual_fmac_f32 v29, v93, v28
	s_delay_alu instid0(VALU_DEP_1)
	v_add_f32_e32 v17, v64, v29
	ds_bpermute_b32 v18, v18, v17
	s_and_saveexec_b32 s44, vcc_lo
	s_cbranch_execz .LBB32_11
; %bb.17:                               ;   in Loop: Header=BB32_13 Depth=1
	s_waitcnt lgkmcnt(0)
	v_add_f32_e32 v17, v17, v18
	v_add_nc_u32_e32 v19, v11, v8
	s_delay_alu instid0(VALU_DEP_1) | instskip(NEXT) | instid1(VALU_DEP_1)
	v_cvt_f32_i32_e32 v19, v19
	v_mul_f32_e32 v19, s40, v19
	s_delay_alu instid0(VALU_DEP_1) | instskip(SKIP_1) | instid1(VALU_DEP_2)
	v_cndmask_b32_e64 v18, 0, v19, s0
	v_max_f32_e32 v19, v5, v5
	v_dual_fmac_f32 v18, s37, v17 :: v_dual_add_nc_u32 v17, v6, v8
	s_delay_alu instid0(VALU_DEP_1) | instskip(NEXT) | instid1(VALU_DEP_2)
	v_max_f32_e32 v19, v19, v18
	v_cmp_gt_i32_e64 s1, s15, v17
	s_delay_alu instid0(VALU_DEP_1) | instskip(NEXT) | instid1(VALU_DEP_3)
	v_cndmask_b32_e64 v17, 0, v18, s1
	v_cndmask_b32_e64 v5, v5, v19, s1
	ds_store_b32 v12, v17
	s_branch .LBB32_11
.LBB32_18:
	s_or_b32 exec_lo, exec_lo, s42
.LBB32_19:
	s_delay_alu instid0(SALU_CYCLE_1) | instskip(SKIP_3) | instid1(VALU_DEP_3)
	s_or_b32 exec_lo, exec_lo, s6
	v_xor_b32_e32 v1, 16, v4
	v_xor_b32_e32 v6, 8, v4
	v_dual_max_f32 v7, v5, v5 :: v_dual_and_b32 v70, 31, v0
	v_cmp_gt_i32_e32 vcc_lo, 32, v1
	v_cndmask_b32_e32 v1, v4, v1, vcc_lo
	s_delay_alu instid0(VALU_DEP_4) | instskip(NEXT) | instid1(VALU_DEP_2)
	v_cmp_gt_i32_e32 vcc_lo, 32, v6
	v_lshlrev_b32_e32 v2, 2, v1
	ds_bpermute_b32 v1, v2, v5
	v_cndmask_b32_e32 v5, v4, v6, vcc_lo
	s_delay_alu instid0(VALU_DEP_1) | instskip(SKIP_2) | instid1(VALU_DEP_1)
	v_lshlrev_b32_e32 v5, 2, v5
	s_waitcnt lgkmcnt(0)
	v_max_f32_e32 v1, v1, v1
	v_max_f32_e32 v1, v7, v1
	v_xor_b32_e32 v7, 4, v4
	ds_bpermute_b32 v6, v5, v1
	v_cmp_gt_i32_e32 vcc_lo, 32, v7
	s_waitcnt lgkmcnt(0)
	v_dual_cndmask_b32 v7, v4, v7 :: v_dual_max_f32 v8, v6, v6
	s_delay_alu instid0(VALU_DEP_1)
	v_dual_max_f32 v1, v1, v8 :: v_dual_lshlrev_b32 v6, 2, v7
	v_xor_b32_e32 v8, 2, v4
	ds_bpermute_b32 v7, v6, v1
	v_cmp_gt_i32_e32 vcc_lo, 32, v8
	v_cndmask_b32_e32 v8, v4, v8, vcc_lo
	v_cmp_eq_u32_e32 vcc_lo, 0, v70
	s_delay_alu instid0(VALU_DEP_2) | instskip(SKIP_2) | instid1(VALU_DEP_1)
	v_lshlrev_b32_e32 v71, 2, v8
	s_waitcnt lgkmcnt(0)
	v_max_f32_e32 v7, v7, v7
	v_max_f32_e32 v1, v1, v7
	v_lshlrev_b32_e32 v7, 2, v68
	ds_bpermute_b32 v8, v71, v1
	s_and_saveexec_b32 s0, vcc_lo
	s_cbranch_execz .LBB32_21
; %bb.20:
	s_waitcnt lgkmcnt(0)
	v_dual_max_f32 v8, v8, v8 :: v_dual_max_f32 v1, v1, v1
	s_delay_alu instid0(VALU_DEP_1)
	v_max_f32_e32 v1, v1, v8
	ds_store_b32 v7, v1 offset:480
.LBB32_21:
	s_or_b32 exec_lo, exec_lo, s0
	v_cmp_gt_u32_e64 s0, 4, v70
	s_waitcnt lgkmcnt(0)
	v_dual_mov_b32 v1, 0xff7fffff :: v_dual_lshlrev_b32 v8, 2, v70
	s_barrier
	buffer_gl0_inv
	s_and_saveexec_b32 s1, s0
	s_cbranch_execz .LBB32_23
; %bb.22:
	ds_load_b32 v1, v8 offset:480
.LBB32_23:
	s_or_b32 exec_lo, exec_lo, s1
	s_waitcnt lgkmcnt(0)
	ds_bpermute_b32 v9, v71, v1
	v_xor_b32_e32 v10, 1, v4
	s_delay_alu instid0(VALU_DEP_1) | instskip(NEXT) | instid1(VALU_DEP_1)
	v_cmp_gt_i32_e64 s1, 32, v10
	v_cndmask_b32_e64 v4, v4, v10, s1
	v_max_f32_e32 v1, v1, v1
	s_sub_i32 s1, s8, s7
	s_delay_alu instid0(SALU_CYCLE_1) | instskip(NEXT) | instid1(VALU_DEP_2)
	s_lshl_b32 s1, s1, 4
	v_lshlrev_b32_e32 v72, 2, v4
	s_add_i32 s1, s1, s38
	s_delay_alu instid0(SALU_CYCLE_1) | instskip(SKIP_3) | instid1(SALU_CYCLE_1)
	s_min_i32 s1, s1, s15
	s_waitcnt lgkmcnt(0)
	v_max_f32_e32 v9, v9, v9
	s_sub_i32 s6, s1, s38
	v_cmp_gt_i32_e64 s1, s6, v0
	s_delay_alu instid0(VALU_DEP_2) | instskip(SKIP_4) | instid1(VALU_DEP_1)
	v_max_f32_e32 v1, v1, v9
	v_mov_b32_e32 v9, 0
	ds_bpermute_b32 v4, v72, v1
	s_waitcnt lgkmcnt(0)
	v_max_f32_e32 v4, v4, v4
	v_max_f32_e32 v1, v1, v4
	v_lshl_add_u32 v4, v0, 2, 0x200
	ds_bpermute_b32 v1, v9, v1
	s_and_saveexec_b32 s7, s1
	s_cbranch_execz .LBB32_27
; %bb.24:
	v_lshl_add_u32 v10, v0, 2, 0x200
	v_mov_b32_e32 v9, 0
	v_mov_b32_e32 v11, v0
	s_mov_b32 s35, 0
	.p2align	6
.LBB32_25:                              ; =>This Inner Loop Header: Depth=1
	ds_load_b32 v12, v10
	v_add_nc_u32_e32 v11, 0x80, v11
	s_delay_alu instid0(VALU_DEP_1) | instskip(NEXT) | instid1(VALU_DEP_1)
	v_cmp_le_i32_e64 s3, s6, v11
	s_or_b32 s35, s3, s35
	s_waitcnt lgkmcnt(0)
	v_sub_f32_e32 v12, v12, v1
	s_delay_alu instid0(VALU_DEP_1) | instskip(NEXT) | instid1(VALU_DEP_1)
	v_mul_f32_e32 v12, 0x3fb8aa3b, v12
	v_exp_f32_e32 v12, v12
	ds_store_b32 v10, v12
	v_dual_add_f32 v9, v9, v12 :: v_dual_add_nc_u32 v10, 0x200, v10
	s_and_not1_b32 exec_lo, exec_lo, s35
	s_cbranch_execnz .LBB32_25
; %bb.26:
	s_or_b32 exec_lo, exec_lo, s35
.LBB32_27:
	s_delay_alu instid0(SALU_CYCLE_1)
	s_or_b32 exec_lo, exec_lo, s7
	ds_bpermute_b32 v2, v2, v9
	s_waitcnt lgkmcnt(0)
	v_add_f32_e32 v2, v9, v2
	ds_bpermute_b32 v5, v5, v2
	s_waitcnt lgkmcnt(0)
	v_add_f32_e32 v2, v2, v5
	;; [unrolled: 3-line block ×5, first 2 shown]
	s_and_saveexec_b32 s3, vcc_lo
	s_cbranch_execz .LBB32_29
; %bb.28:
	ds_store_b32 v7, v2 offset:496
.LBB32_29:
	s_or_b32 exec_lo, exec_lo, s3
	s_waitcnt lgkmcnt(0)
	s_barrier
	buffer_gl0_inv
	s_and_saveexec_b32 s3, s0
	s_cbranch_execz .LBB32_31
; %bb.30:
	ds_load_b32 v2, v8 offset:496
.LBB32_31:
	s_or_b32 exec_lo, exec_lo, s3
	s_waitcnt lgkmcnt(0)
	ds_bpermute_b32 v5, v71, v2
	s_waitcnt lgkmcnt(0)
	v_add_f32_e32 v2, v2, v5
	ds_bpermute_b32 v5, v72, v2
	s_waitcnt lgkmcnt(0)
	v_dual_add_f32 v2, v2, v5 :: v_dual_mov_b32 v5, 0
	ds_bpermute_b32 v2, v5, v2
	s_and_saveexec_b32 s0, s1
	s_cbranch_execz .LBB32_34
; %bb.32:
	s_waitcnt lgkmcnt(0)
	v_add_f32_e32 v5, 0x358637bd, v2
	s_mov_b32 s1, 0
	s_delay_alu instid0(VALU_DEP_1) | instskip(SKIP_1) | instid1(VALU_DEP_2)
	v_div_scale_f32 v6, null, v5, v5, 1.0
	v_div_scale_f32 v9, vcc_lo, 1.0, v5, 1.0
	v_rcp_f32_e32 v7, v6
	s_waitcnt_depctr 0xfff
	v_fma_f32 v8, -v6, v7, 1.0
	s_delay_alu instid0(VALU_DEP_1) | instskip(NEXT) | instid1(VALU_DEP_1)
	v_fmac_f32_e32 v7, v8, v7
	v_mul_f32_e32 v8, v9, v7
	s_delay_alu instid0(VALU_DEP_1) | instskip(NEXT) | instid1(VALU_DEP_1)
	v_fma_f32 v10, -v6, v8, v9
	v_fmac_f32_e32 v8, v10, v7
	s_delay_alu instid0(VALU_DEP_1) | instskip(NEXT) | instid1(VALU_DEP_1)
	v_fma_f32 v6, -v6, v8, v9
	v_div_fmas_f32 v6, v6, v7, v8
	s_delay_alu instid0(VALU_DEP_1)
	v_div_fixup_f32 v5, v6, v5, 1.0
	v_mov_b32_e32 v6, v0
.LBB32_33:                              ; =>This Inner Loop Header: Depth=1
	ds_load_b32 v7, v4
	s_waitcnt lgkmcnt(0)
	v_dual_mul_f32 v7, v5, v7 :: v_dual_add_nc_u32 v6, 0x80, v6
	s_delay_alu instid0(VALU_DEP_1) | instskip(SKIP_3) | instid1(SALU_CYCLE_1)
	v_cmp_le_i32_e32 vcc_lo, s6, v6
	ds_store_b32 v4, v7
	v_add_nc_u32_e32 v4, 0x200, v4
	s_or_b32 s1, vcc_lo, s1
	s_and_not1_b32 exec_lo, exec_lo, s1
	s_cbranch_execnz .LBB32_33
.LBB32_34:
	s_or_b32 exec_lo, exec_lo, s0
	s_mul_i32 s0, s4, s14
	s_waitcnt lgkmcnt(0)
	s_mul_i32 s6, s0, s13
	s_mov_b32 s0, exec_lo
	s_barrier
	buffer_gl0_inv
	v_cmpx_eq_u32_e32 0, v0
	s_cbranch_execz .LBB32_36
; %bb.35:
	s_ashr_i32 s7, s6, 31
	s_mul_i32 s42, s4, s24
	s_lshl_b64 s[40:41], s[6:7], 2
	v_mov_b32_e32 v4, 0
	s_add_u32 s1, s18, s40
	s_addc_u32 s3, s19, s41
	s_ashr_i32 s43, s42, 31
	s_delay_alu instid0(SALU_CYCLE_1) | instskip(NEXT) | instid1(SALU_CYCLE_1)
	s_lshl_b64 s[18:19], s[42:43], 2
	s_add_u32 s1, s1, s18
	s_addc_u32 s3, s3, s19
	s_ashr_i32 s13, s12, 31
	s_delay_alu instid0(SALU_CYCLE_1) | instskip(NEXT) | instid1(SALU_CYCLE_1)
	s_lshl_b64 s[42:43], s[12:13], 2
	s_add_u32 s44, s1, s42
	s_addc_u32 s45, s3, s43
	s_add_u32 s1, s16, s40
	s_addc_u32 s3, s17, s41
	;; [unrolled: 2-line block ×4, first 2 shown]
	s_clause 0x1
	global_store_b32 v4, v1, s[44:45]
	global_store_b32 v4, v2, s[16:17]
.LBB32_36:
	s_or_b32 exec_lo, exec_lo, s0
	v_dual_mov_b32 v87, 0 :: v_dual_mov_b32 v88, 0
	v_dual_mov_b32 v86, 0 :: v_dual_and_b32 v73, 3, v0
	v_dual_mov_b32 v85, 0 :: v_dual_mov_b32 v84, 0
	v_dual_mov_b32 v83, 0 :: v_dual_mov_b32 v82, 0
	;; [unrolled: 1-line block ×6, first 2 shown]
	s_mov_b32 s3, 0
	s_and_saveexec_b32 s1, s2
	s_cbranch_execz .LBB32_72
; %bb.37:
	s_ashr_i32 s35, s34, 31
	s_sub_i32 s2, s39, s9
	s_lshl_b64 s[16:17], s[34:35], 2
	v_dual_mov_b32 v74, 0 :: v_dual_and_b32 v89, 12, v3
	s_add_u32 s7, s30, s16
	s_addc_u32 s9, s31, s17
	s_abs_i32 s10, s10
	v_dual_mov_b32 v76, 0 :: v_dual_and_b32 v3, 0x7c, v3
	v_cvt_f32_u32_e32 v4, s10
	s_sub_i32 s0, 0, s10
	s_delay_alu instid0(VALU_DEP_2) | instskip(SKIP_1) | instid1(VALU_DEP_3)
	v_dual_mov_b32 v77, 0 :: v_dual_lshlrev_b32 v90, 2, v3
	v_or_b32_e32 v6, 0x400, v3
	v_rcp_iflag_f32_e32 v4, v4
	v_mov_b32_e32 v75, 0
	v_or_b32_e32 v7, 0x480, v3
	v_or_b32_e32 v8, 0x500, v3
	;; [unrolled: 1-line block ×6, first 2 shown]
	v_dual_mov_b32 v78, 0 :: v_dual_lshlrev_b32 v5, 4, v73
	s_delay_alu instid0(TRANS32_DEP_1)
	v_mul_f32_e32 v4, 0x4f7ffffe, v4
	v_lshlrev_b64 v[1:2], 2, v[65:66]
	s_lshl_b64 s[16:17], s[28:29], 2
	s_add_i32 s13, s36, -1
	v_lshl_or_b32 v5, v68, 6, v5
	v_cvt_u32_f32_e32 v4, v4
	v_dual_mov_b32 v79, 0 :: v_dual_lshlrev_b32 v92, 2, v6
	v_dual_mov_b32 v82, 0 :: v_dual_lshlrev_b32 v93, 2, v7
	s_delay_alu instid0(VALU_DEP_3)
	v_mul_lo_u32 v3, s0, v4
	s_add_u32 s0, s26, s16
	s_addc_u32 s14, s27, s17
	v_add_co_u32 v66, vcc_lo, s0, v1
	v_dual_mov_b32 v80, 0 :: v_dual_add_nc_u32 v91, 0x200, v5
	v_dual_mov_b32 v81, 0 :: v_dual_lshlrev_b32 v94, 2, v8
	s_delay_alu instid0(VALU_DEP_4)
	v_mul_hi_u32 v3, v4, v3
	v_dual_mov_b32 v84, 0 :: v_dual_lshlrev_b32 v95, 2, v9
	v_dual_mov_b32 v83, 0 :: v_dual_lshlrev_b32 v96, 2, v10
	;; [unrolled: 1-line block ×4, first 2 shown]
	v_add_co_ci_u32_e32 v67, vcc_lo, s14, v2, vcc_lo
	v_dual_mov_b32 v88, 0 :: v_dual_add_nc_u32 v99, v4, v3
	v_mov_b32_e32 v87, 0
	s_branch .LBB32_40
.LBB32_38:                              ;   in Loop: Header=BB32_40 Depth=1
	s_or_b32 exec_lo, exec_lo, s0
	s_waitcnt vmcnt(9) lgkmcnt(0)
	v_mul_f32_e32 v26, v2, v26
	s_waitcnt vmcnt(5)
	v_mul_f32_e32 v42, v2, v42
	v_mul_f32_e32 v18, v2, v18
	s_waitcnt vmcnt(3)
	v_mul_f32_e32 v54, v2, v54
	s_waitcnt vmcnt(1)
	v_mul_f32_e32 v62, v2, v62
	v_fmac_f32_e32 v26, v1, v25
	v_fmac_f32_e32 v42, v1, v41
	;; [unrolled: 1-line block ×3, first 2 shown]
	v_mul_f32_e32 v6, v2, v6
	v_mul_f32_e32 v34, v2, v34
	v_fmac_f32_e32 v26, v3, v27
	v_fmac_f32_e32 v42, v3, v43
	;; [unrolled: 1-line block ×4, first 2 shown]
	v_mul_f32_e32 v58, v2, v58
	v_fmac_f32_e32 v26, v4, v28
	v_fmac_f32_e32 v54, v1, v53
	;; [unrolled: 1-line block ×4, first 2 shown]
	s_delay_alu instid0(VALU_DEP_4) | instskip(NEXT) | instid1(VALU_DEP_4)
	v_dual_fmac_f32 v18, v4, v20 :: v_dual_add_f32 v83, v83, v26
	v_fmac_f32_e32 v54, v3, v55
	v_mul_f32_e32 v46, v2, v46
	v_add_f32_e32 v79, v79, v42
	s_delay_alu instid0(VALU_DEP_4)
	v_add_f32_e32 v85, v85, v18
	v_mul_f32_e32 v38, v2, v38
	v_fmac_f32_e32 v54, v4, v56
	v_fmac_f32_e32 v62, v3, v63
	v_mul_f32_e32 v30, v2, v30
	v_mul_f32_e32 v22, v2, v22
	v_fmac_f32_e32 v34, v1, v33
	v_add_f32_e32 v77, v77, v54
	v_mul_f32_e32 v14, v2, v14
	v_mul_f32_e32 v10, v2, v10
	s_waitcnt vmcnt(0)
	v_mul_f32_e32 v2, v2, v50
	v_fmac_f32_e32 v6, v3, v7
	v_fmac_f32_e32 v62, v4, v64
	;; [unrolled: 1-line block ×5, first 2 shown]
	s_delay_alu instid0(VALU_DEP_4)
	v_dual_fmac_f32 v22, v1, v21 :: v_dual_add_f32 v75, v75, v62
	v_fmac_f32_e32 v34, v3, v35
	v_fmac_f32_e32 v14, v1, v13
	v_fmac_f32_e32 v10, v1, v9
	v_fmac_f32_e32 v2, v1, v49
	v_fmac_f32_e32 v6, v4, v8
	v_fmac_f32_e32 v46, v1, v45
	v_fmac_f32_e32 v38, v3, v39
	v_fmac_f32_e32 v30, v3, v31
	v_fmac_f32_e32 v22, v3, v23
	v_add_f32_e32 v87, v87, v6
	v_fmac_f32_e32 v46, v3, v47
	v_fmac_f32_e32 v34, v4, v36
	;; [unrolled: 1-line block ×5, first 2 shown]
	s_delay_alu instid0(VALU_DEP_4) | instskip(NEXT) | instid1(VALU_DEP_4)
	v_dual_fmac_f32 v2, v3, v51 :: v_dual_add_f32 v81, v81, v34
	v_fmac_f32_e32 v58, v4, v60
	v_fmac_f32_e32 v46, v4, v48
	;; [unrolled: 1-line block ×8, first 2 shown]
	v_add_f32_e32 v76, v76, v58
	v_add_f32_e32 v78, v78, v46
	;; [unrolled: 1-line block ×8, first 2 shown]
.LBB32_39:                              ;   in Loop: Header=BB32_40 Depth=1
	s_or_b32 exec_lo, exec_lo, s14
	v_add_nc_u32_e32 v65, 4, v65
	v_add_co_u32 v66, s0, v66, 16
	s_delay_alu instid0(VALU_DEP_1) | instskip(NEXT) | instid1(VALU_DEP_3)
	v_add_co_ci_u32_e64 v67, s0, 0, v67, s0
	v_cmp_le_i32_e32 vcc_lo, s8, v65
	v_add_nc_u32_e32 v69, 64, v69
	v_add_nc_u32_e32 v91, 0x100, v91
	s_or_b32 s3, vcc_lo, s3
	s_delay_alu instid0(SALU_CYCLE_1)
	s_and_not1_b32 exec_lo, exec_lo, s3
	s_cbranch_execz .LBB32_71
.LBB32_40:                              ; =>This Inner Loop Header: Depth=1
	v_sub_nc_u32_e32 v1, 0, v69
	s_delay_alu instid0(VALU_DEP_1) | instskip(NEXT) | instid1(VALU_DEP_1)
	v_max_i32_e32 v1, v69, v1
	v_mul_hi_u32 v2, v1, s25
	s_delay_alu instid0(VALU_DEP_1) | instskip(NEXT) | instid1(VALU_DEP_1)
	v_mul_lo_u32 v3, v2, s21
	v_sub_nc_u32_e32 v1, v1, v3
	v_add_nc_u32_e32 v3, 1, v2
	s_delay_alu instid0(VALU_DEP_2) | instskip(SKIP_1) | instid1(VALU_DEP_2)
	v_subrev_nc_u32_e32 v4, s21, v1
	v_cmp_le_u32_e32 vcc_lo, s21, v1
	v_dual_cndmask_b32 v2, v2, v3 :: v_dual_cndmask_b32 v1, v1, v4
	v_ashrrev_i32_e32 v3, 31, v69
	s_delay_alu instid0(VALU_DEP_2) | instskip(NEXT) | instid1(VALU_DEP_3)
	v_add_nc_u32_e32 v4, 1, v2
	v_cmp_le_u32_e32 vcc_lo, s21, v1
	s_delay_alu instid0(VALU_DEP_3) | instskip(NEXT) | instid1(VALU_DEP_3)
	v_xor_b32_e32 v3, s11, v3
	v_cndmask_b32_e32 v1, v2, v4, vcc_lo
	s_delay_alu instid0(VALU_DEP_1) | instskip(NEXT) | instid1(VALU_DEP_1)
	v_xor_b32_e32 v1, v1, v3
	v_sub_nc_u32_e32 v1, v1, v3
	s_delay_alu instid0(VALU_DEP_1) | instskip(SKIP_1) | instid1(VALU_DEP_2)
	v_add_nc_u32_e32 v2, s33, v1
	v_cmp_lt_i32_e64 s0, s2, v1
	v_sub_nc_u32_e32 v3, 0, v2
	s_delay_alu instid0(VALU_DEP_1) | instskip(NEXT) | instid1(VALU_DEP_1)
	v_max_i32_e32 v3, v2, v3
	v_mul_hi_u32 v4, v3, v99
	s_delay_alu instid0(VALU_DEP_1) | instskip(NEXT) | instid1(VALU_DEP_1)
	v_mul_lo_u32 v4, v4, s10
	v_sub_nc_u32_e32 v3, v3, v4
	s_delay_alu instid0(VALU_DEP_1) | instskip(SKIP_1) | instid1(VALU_DEP_2)
	v_subrev_nc_u32_e32 v4, s10, v3
	v_cmp_le_u32_e32 vcc_lo, s10, v3
	v_cndmask_b32_e32 v3, v3, v4, vcc_lo
	v_ashrrev_i32_e32 v2, 31, v2
	s_delay_alu instid0(VALU_DEP_2) | instskip(SKIP_1) | instid1(VALU_DEP_2)
	v_subrev_nc_u32_e32 v4, s10, v3
	v_cmp_le_u32_e32 vcc_lo, s10, v3
	v_cndmask_b32_e32 v3, v3, v4, vcc_lo
	s_delay_alu instid0(VALU_DEP_1) | instskip(NEXT) | instid1(VALU_DEP_1)
	v_xor_b32_e32 v3, v3, v2
	v_sub_nc_u32_e32 v2, v3, v2
	s_delay_alu instid0(VALU_DEP_1) | instskip(SKIP_1) | instid1(SALU_CYCLE_1)
	v_cmp_eq_u32_e32 vcc_lo, 0, v2
	s_or_b32 s0, vcc_lo, s0
	s_and_saveexec_b32 s14, s0
	s_cbranch_execz .LBB32_39
; %bb.41:                               ;   in Loop: Header=BB32_40 Depth=1
	global_load_b32 v3, v[66:67], off
	v_add_nc_u32_e32 v100, v89, v69
	s_delay_alu instid0(VALU_DEP_1) | instskip(SKIP_4) | instid1(VALU_DEP_1)
	v_add_nc_u32_e32 v103, 1, v100
	v_add_nc_u32_e32 v102, 2, v100
	;; [unrolled: 1-line block ×3, first 2 shown]
	s_waitcnt vmcnt(0)
	v_mad_i64_i32 v[1:2], null, v3, s5, 0
	v_lshlrev_b64 v[1:2], 2, v[1:2]
	s_delay_alu instid0(VALU_DEP_1) | instskip(NEXT) | instid1(VALU_DEP_2)
	v_add_co_u32 v49, vcc_lo, s7, v1
	v_add_co_ci_u32_e32 v50, vcc_lo, s9, v2, vcc_lo
	ds_load_b128 v[1:4], v91
	v_add_co_u32 v33, vcc_lo, v49, v90
	v_add_co_ci_u32_e32 v34, vcc_lo, 0, v50, vcc_lo
	v_cmp_eq_u32_e32 vcc_lo, s13, v65
	global_load_b128 v[5:8], v[33:34], off
	s_and_saveexec_b32 s16, vcc_lo
	s_cbranch_execnz .LBB32_64
; %bb.42:                               ;   in Loop: Header=BB32_40 Depth=1
	s_or_b32 exec_lo, exec_lo, s16
	global_load_b128 v[9:12], v[33:34], off offset:512
	s_and_saveexec_b32 s16, vcc_lo
	s_cbranch_execnz .LBB32_65
.LBB32_43:                              ;   in Loop: Header=BB32_40 Depth=1
	s_or_b32 exec_lo, exec_lo, s16
	global_load_b128 v[13:16], v[33:34], off offset:1024
	s_and_saveexec_b32 s16, vcc_lo
	s_cbranch_execnz .LBB32_66
.LBB32_44:                              ;   in Loop: Header=BB32_40 Depth=1
	s_or_b32 exec_lo, exec_lo, s16
	global_load_b128 v[17:20], v[33:34], off offset:1536
	s_and_saveexec_b32 s16, vcc_lo
	s_cbranch_execnz .LBB32_67
.LBB32_45:                              ;   in Loop: Header=BB32_40 Depth=1
	s_or_b32 exec_lo, exec_lo, s16
	global_load_b128 v[21:24], v[33:34], off offset:2048
	s_and_saveexec_b32 s16, vcc_lo
	s_cbranch_execnz .LBB32_68
.LBB32_46:                              ;   in Loop: Header=BB32_40 Depth=1
	s_or_b32 exec_lo, exec_lo, s16
	global_load_b128 v[25:28], v[33:34], off offset:2560
	s_and_saveexec_b32 s16, vcc_lo
	s_cbranch_execnz .LBB32_69
.LBB32_47:                              ;   in Loop: Header=BB32_40 Depth=1
	s_or_b32 exec_lo, exec_lo, s16
	global_load_b128 v[29:32], v[33:34], off offset:3072
	s_and_saveexec_b32 s16, vcc_lo
	s_cbranch_execnz .LBB32_70
.LBB32_48:                              ;   in Loop: Header=BB32_40 Depth=1
	s_or_b32 exec_lo, exec_lo, s16
	global_load_b128 v[33:36], v[33:34], off offset:3584
	s_and_saveexec_b32 s16, vcc_lo
	s_cbranch_execz .LBB32_50
.LBB32_49:                              ;   in Loop: Header=BB32_40 Depth=1
	v_cmp_gt_i32_e64 s0, s15, v100
	s_waitcnt vmcnt(0)
	s_delay_alu instid0(VALU_DEP_1) | instskip(SKIP_1) | instid1(VALU_DEP_1)
	v_cndmask_b32_e64 v33, 0, v33, s0
	v_cmp_gt_i32_e64 s0, s15, v103
	v_cndmask_b32_e64 v34, 0, v34, s0
	v_cmp_gt_i32_e64 s0, s15, v102
	s_delay_alu instid0(VALU_DEP_1) | instskip(SKIP_1) | instid1(VALU_DEP_1)
	v_cndmask_b32_e64 v35, 0, v35, s0
	v_cmp_gt_i32_e64 s0, s15, v101
	v_cndmask_b32_e64 v36, 0, v36, s0
.LBB32_50:                              ;   in Loop: Header=BB32_40 Depth=1
	s_or_b32 exec_lo, exec_lo, s16
	v_add_co_u32 v37, s0, v49, v92
	s_delay_alu instid0(VALU_DEP_1)
	v_add_co_ci_u32_e64 v38, s0, 0, v50, s0
	global_load_b128 v[37:40], v[37:38], off
	s_and_saveexec_b32 s16, vcc_lo
	s_cbranch_execz .LBB32_52
; %bb.51:                               ;   in Loop: Header=BB32_40 Depth=1
	v_cmp_gt_i32_e64 s0, s15, v100
	s_waitcnt vmcnt(0)
	s_delay_alu instid0(VALU_DEP_1) | instskip(SKIP_1) | instid1(VALU_DEP_1)
	v_cndmask_b32_e64 v37, 0, v37, s0
	v_cmp_gt_i32_e64 s0, s15, v103
	v_cndmask_b32_e64 v38, 0, v38, s0
	v_cmp_gt_i32_e64 s0, s15, v102
	s_delay_alu instid0(VALU_DEP_1) | instskip(SKIP_1) | instid1(VALU_DEP_1)
	v_cndmask_b32_e64 v39, 0, v39, s0
	v_cmp_gt_i32_e64 s0, s15, v101
	v_cndmask_b32_e64 v40, 0, v40, s0
.LBB32_52:                              ;   in Loop: Header=BB32_40 Depth=1
	s_or_b32 exec_lo, exec_lo, s16
	v_add_co_u32 v41, s0, v49, v93
	s_delay_alu instid0(VALU_DEP_1)
	v_add_co_ci_u32_e64 v42, s0, 0, v50, s0
	global_load_b128 v[41:44], v[41:42], off
	s_and_saveexec_b32 s16, vcc_lo
	s_cbranch_execz .LBB32_54
; %bb.53:                               ;   in Loop: Header=BB32_40 Depth=1
	v_cmp_gt_i32_e64 s0, s15, v100
	s_waitcnt vmcnt(0)
	s_delay_alu instid0(VALU_DEP_1) | instskip(SKIP_1) | instid1(VALU_DEP_1)
	v_cndmask_b32_e64 v41, 0, v41, s0
	v_cmp_gt_i32_e64 s0, s15, v103
	v_cndmask_b32_e64 v42, 0, v42, s0
	v_cmp_gt_i32_e64 s0, s15, v102
	s_delay_alu instid0(VALU_DEP_1) | instskip(SKIP_1) | instid1(VALU_DEP_1)
	v_cndmask_b32_e64 v43, 0, v43, s0
	v_cmp_gt_i32_e64 s0, s15, v101
	v_cndmask_b32_e64 v44, 0, v44, s0
.LBB32_54:                              ;   in Loop: Header=BB32_40 Depth=1
	;; [unrolled: 20-line block ×6, first 2 shown]
	s_or_b32 exec_lo, exec_lo, s16
	v_add_co_u32 v49, s0, v49, v98
	s_delay_alu instid0(VALU_DEP_1)
	v_add_co_ci_u32_e64 v50, s0, 0, v50, s0
	global_load_b128 v[49:52], v[49:50], off
	s_and_saveexec_b32 s0, vcc_lo
	s_cbranch_execz .LBB32_38
; %bb.63:                               ;   in Loop: Header=BB32_40 Depth=1
	v_cmp_gt_i32_e32 vcc_lo, s15, v100
	s_waitcnt vmcnt(0)
	v_cndmask_b32_e32 v49, 0, v49, vcc_lo
	v_cmp_gt_i32_e32 vcc_lo, s15, v103
	v_cndmask_b32_e32 v50, 0, v50, vcc_lo
	v_cmp_gt_i32_e32 vcc_lo, s15, v102
	;; [unrolled: 2-line block ×3, first 2 shown]
	v_cndmask_b32_e32 v52, 0, v52, vcc_lo
	s_branch .LBB32_38
.LBB32_64:                              ;   in Loop: Header=BB32_40 Depth=1
	v_cmp_gt_i32_e64 s0, s15, v100
	s_waitcnt vmcnt(0)
	s_delay_alu instid0(VALU_DEP_1) | instskip(SKIP_1) | instid1(VALU_DEP_1)
	v_cndmask_b32_e64 v5, 0, v5, s0
	v_cmp_gt_i32_e64 s0, s15, v103
	v_cndmask_b32_e64 v6, 0, v6, s0
	v_cmp_gt_i32_e64 s0, s15, v102
	s_delay_alu instid0(VALU_DEP_1) | instskip(SKIP_1) | instid1(VALU_DEP_1)
	v_cndmask_b32_e64 v7, 0, v7, s0
	v_cmp_gt_i32_e64 s0, s15, v101
	v_cndmask_b32_e64 v8, 0, v8, s0
	s_or_b32 exec_lo, exec_lo, s16
	global_load_b128 v[9:12], v[33:34], off offset:512
	s_and_saveexec_b32 s16, vcc_lo
	s_cbranch_execz .LBB32_43
.LBB32_65:                              ;   in Loop: Header=BB32_40 Depth=1
	v_cmp_gt_i32_e64 s0, s15, v100
	s_waitcnt vmcnt(0)
	s_delay_alu instid0(VALU_DEP_1) | instskip(SKIP_1) | instid1(VALU_DEP_1)
	v_cndmask_b32_e64 v9, 0, v9, s0
	v_cmp_gt_i32_e64 s0, s15, v103
	v_cndmask_b32_e64 v10, 0, v10, s0
	v_cmp_gt_i32_e64 s0, s15, v102
	s_delay_alu instid0(VALU_DEP_1) | instskip(SKIP_1) | instid1(VALU_DEP_1)
	v_cndmask_b32_e64 v11, 0, v11, s0
	v_cmp_gt_i32_e64 s0, s15, v101
	v_cndmask_b32_e64 v12, 0, v12, s0
	s_or_b32 exec_lo, exec_lo, s16
	global_load_b128 v[13:16], v[33:34], off offset:1024
	s_and_saveexec_b32 s16, vcc_lo
	s_cbranch_execz .LBB32_44
.LBB32_66:                              ;   in Loop: Header=BB32_40 Depth=1
	v_cmp_gt_i32_e64 s0, s15, v100
	s_waitcnt vmcnt(0)
	s_delay_alu instid0(VALU_DEP_1) | instskip(SKIP_1) | instid1(VALU_DEP_1)
	v_cndmask_b32_e64 v13, 0, v13, s0
	v_cmp_gt_i32_e64 s0, s15, v103
	v_cndmask_b32_e64 v14, 0, v14, s0
	v_cmp_gt_i32_e64 s0, s15, v102
	s_delay_alu instid0(VALU_DEP_1) | instskip(SKIP_1) | instid1(VALU_DEP_1)
	v_cndmask_b32_e64 v15, 0, v15, s0
	v_cmp_gt_i32_e64 s0, s15, v101
	v_cndmask_b32_e64 v16, 0, v16, s0
	s_or_b32 exec_lo, exec_lo, s16
	global_load_b128 v[17:20], v[33:34], off offset:1536
	s_and_saveexec_b32 s16, vcc_lo
	s_cbranch_execz .LBB32_45
.LBB32_67:                              ;   in Loop: Header=BB32_40 Depth=1
	v_cmp_gt_i32_e64 s0, s15, v100
	s_waitcnt vmcnt(0)
	s_delay_alu instid0(VALU_DEP_1) | instskip(SKIP_1) | instid1(VALU_DEP_1)
	v_cndmask_b32_e64 v17, 0, v17, s0
	v_cmp_gt_i32_e64 s0, s15, v103
	v_cndmask_b32_e64 v18, 0, v18, s0
	v_cmp_gt_i32_e64 s0, s15, v102
	s_delay_alu instid0(VALU_DEP_1) | instskip(SKIP_1) | instid1(VALU_DEP_1)
	v_cndmask_b32_e64 v19, 0, v19, s0
	v_cmp_gt_i32_e64 s0, s15, v101
	v_cndmask_b32_e64 v20, 0, v20, s0
	s_or_b32 exec_lo, exec_lo, s16
	global_load_b128 v[21:24], v[33:34], off offset:2048
	s_and_saveexec_b32 s16, vcc_lo
	s_cbranch_execz .LBB32_46
.LBB32_68:                              ;   in Loop: Header=BB32_40 Depth=1
	v_cmp_gt_i32_e64 s0, s15, v100
	s_waitcnt vmcnt(0)
	s_delay_alu instid0(VALU_DEP_1) | instskip(SKIP_1) | instid1(VALU_DEP_1)
	v_cndmask_b32_e64 v21, 0, v21, s0
	v_cmp_gt_i32_e64 s0, s15, v103
	v_cndmask_b32_e64 v22, 0, v22, s0
	v_cmp_gt_i32_e64 s0, s15, v102
	s_delay_alu instid0(VALU_DEP_1) | instskip(SKIP_1) | instid1(VALU_DEP_1)
	v_cndmask_b32_e64 v23, 0, v23, s0
	v_cmp_gt_i32_e64 s0, s15, v101
	v_cndmask_b32_e64 v24, 0, v24, s0
	s_or_b32 exec_lo, exec_lo, s16
	global_load_b128 v[25:28], v[33:34], off offset:2560
	s_and_saveexec_b32 s16, vcc_lo
	s_cbranch_execz .LBB32_47
.LBB32_69:                              ;   in Loop: Header=BB32_40 Depth=1
	v_cmp_gt_i32_e64 s0, s15, v100
	s_waitcnt vmcnt(0)
	s_delay_alu instid0(VALU_DEP_1) | instskip(SKIP_1) | instid1(VALU_DEP_1)
	v_cndmask_b32_e64 v25, 0, v25, s0
	v_cmp_gt_i32_e64 s0, s15, v103
	v_cndmask_b32_e64 v26, 0, v26, s0
	v_cmp_gt_i32_e64 s0, s15, v102
	s_delay_alu instid0(VALU_DEP_1) | instskip(SKIP_1) | instid1(VALU_DEP_1)
	v_cndmask_b32_e64 v27, 0, v27, s0
	v_cmp_gt_i32_e64 s0, s15, v101
	v_cndmask_b32_e64 v28, 0, v28, s0
	s_or_b32 exec_lo, exec_lo, s16
	global_load_b128 v[29:32], v[33:34], off offset:3072
	s_and_saveexec_b32 s16, vcc_lo
	s_cbranch_execz .LBB32_48
.LBB32_70:                              ;   in Loop: Header=BB32_40 Depth=1
	v_cmp_gt_i32_e64 s0, s15, v100
	s_waitcnt vmcnt(0)
	s_delay_alu instid0(VALU_DEP_1) | instskip(SKIP_1) | instid1(VALU_DEP_1)
	v_cndmask_b32_e64 v29, 0, v29, s0
	v_cmp_gt_i32_e64 s0, s15, v103
	v_cndmask_b32_e64 v30, 0, v30, s0
	v_cmp_gt_i32_e64 s0, s15, v102
	s_delay_alu instid0(VALU_DEP_1) | instskip(SKIP_1) | instid1(VALU_DEP_1)
	v_cndmask_b32_e64 v31, 0, v31, s0
	v_cmp_gt_i32_e64 s0, s15, v101
	v_cndmask_b32_e64 v32, 0, v32, s0
	s_or_b32 exec_lo, exec_lo, s16
	global_load_b128 v[33:36], v[33:34], off offset:3584
	s_and_saveexec_b32 s16, vcc_lo
	s_cbranch_execnz .LBB32_49
	s_branch .LBB32_50
.LBB32_71:
	s_or_b32 exec_lo, exec_lo, s3
.LBB32_72:
	s_delay_alu instid0(SALU_CYCLE_1)
	s_or_b32 exec_lo, exec_lo, s1
	ds_bpermute_b32 v3, v71, v86
	ds_bpermute_b32 v4, v71, v85
	;; [unrolled: 1-line block ×15, first 2 shown]
	s_movk_i32 s0, 0x1e0
	s_waitcnt lgkmcnt(0)
	s_waitcnt_vscnt null, 0x0
	s_barrier
	buffer_gl0_inv
	v_dual_add_f32 v3, v86, v3 :: v_dual_add_f32 v4, v85, v4
	v_dual_add_f32 v1, v87, v1 :: v_dual_add_f32 v2, v88, v2
	v_dual_add_f32 v5, v84, v5 :: v_dual_add_f32 v6, v83, v6
	ds_bpermute_b32 v18, v72, v3
	v_dual_add_f32 v7, v82, v7 :: v_dual_add_f32 v8, v81, v8
	ds_bpermute_b32 v16, v72, v1
	v_dual_add_f32 v9, v80, v9 :: v_dual_add_f32 v10, v79, v10
	v_dual_add_f32 v11, v78, v11 :: v_dual_add_f32 v12, v77, v12
	;; [unrolled: 1-line block ×3, first 2 shown]
	v_add_f32_e32 v15, v74, v15
	ds_bpermute_b32 v17, v72, v2
	ds_bpermute_b32 v19, v72, v4
	;; [unrolled: 1-line block ×12, first 2 shown]
	s_waitcnt lgkmcnt(13)
	v_dual_add_f32 v3, v3, v18 :: v_dual_and_b32 v18, 0x3c3, v0
	ds_bpermute_b32 v30, v72, v15
	s_waitcnt lgkmcnt(13)
	v_add_f32_e32 v1, v1, v16
	v_lshrrev_b32_e32 v16, 2, v70
	v_cmp_eq_u32_e32 vcc_lo, 64, v18
	s_waitcnt lgkmcnt(12)
	v_add_f32_e32 v2, v2, v17
	s_waitcnt lgkmcnt(10)
	v_dual_add_f32 v4, v4, v19 :: v_dual_add_f32 v5, v5, v20
	s_waitcnt lgkmcnt(8)
	v_dual_add_f32 v6, v6, v21 :: v_dual_add_f32 v7, v7, v22
	;; [unrolled: 2-line block ×5, first 2 shown]
	s_waitcnt lgkmcnt(1)
	v_add_f32_e32 v14, v14, v29
	v_mad_u32_u24 v17, v68, s0, 0x200
	s_waitcnt lgkmcnt(0)
	v_dual_add_f32 v15, v15, v30 :: v_dual_lshlrev_b32 v18, 2, v16
	s_and_saveexec_b32 s0, vcc_lo
	s_cbranch_execz .LBB32_74
; %bb.73:
	s_delay_alu instid0(VALU_DEP_1)
	v_add3_u32 v19, v17, v18, 0xfffffc40
	ds_store_2addr_b32 v19, v1, v2 offset1:8
	ds_store_2addr_b32 v19, v3, v4 offset0:16 offset1:24
	ds_store_2addr_b32 v19, v5, v6 offset0:32 offset1:40
	ds_store_2addr_b32 v19, v7, v8 offset0:48 offset1:56
	ds_store_2addr_b32 v19, v9, v10 offset0:64 offset1:72
	ds_store_2addr_b32 v19, v11, v12 offset0:80 offset1:88
	ds_store_2addr_b32 v19, v13, v14 offset0:96 offset1:104
	ds_store_b32 v19, v15 offset:448
.LBB32_74:
	s_or_b32 exec_lo, exec_lo, s0
	v_cmp_eq_u32_e32 vcc_lo, 0, v73
	s_mov_b32 s1, exec_lo
	s_waitcnt lgkmcnt(0)
	s_barrier
	buffer_gl0_inv
	v_cmpx_gt_u32_e32 64, v0
	s_cbranch_execz .LBB32_92
; %bb.75:
	s_and_saveexec_b32 s0, vcc_lo
	s_cbranch_execnz .LBB32_115
; %bb.76:
	s_or_b32 exec_lo, exec_lo, s0
	s_and_saveexec_b32 s0, vcc_lo
	s_cbranch_execnz .LBB32_116
.LBB32_77:
	s_or_b32 exec_lo, exec_lo, s0
	s_and_saveexec_b32 s0, vcc_lo
	s_cbranch_execnz .LBB32_117
.LBB32_78:
	s_or_b32 exec_lo, exec_lo, s0
	s_and_saveexec_b32 s0, vcc_lo
	s_cbranch_execnz .LBB32_118
.LBB32_79:
	s_or_b32 exec_lo, exec_lo, s0
	s_and_saveexec_b32 s0, vcc_lo
	s_cbranch_execnz .LBB32_119
.LBB32_80:
	s_or_b32 exec_lo, exec_lo, s0
	s_and_saveexec_b32 s0, vcc_lo
	s_cbranch_execnz .LBB32_120
.LBB32_81:
	s_or_b32 exec_lo, exec_lo, s0
	s_and_saveexec_b32 s0, vcc_lo
	s_cbranch_execnz .LBB32_121
.LBB32_82:
	s_or_b32 exec_lo, exec_lo, s0
	s_and_saveexec_b32 s0, vcc_lo
	s_cbranch_execnz .LBB32_122
.LBB32_83:
	s_or_b32 exec_lo, exec_lo, s0
	s_and_saveexec_b32 s0, vcc_lo
	s_cbranch_execnz .LBB32_123
.LBB32_84:
	s_or_b32 exec_lo, exec_lo, s0
	s_and_saveexec_b32 s0, vcc_lo
	s_cbranch_execnz .LBB32_124
.LBB32_85:
	s_or_b32 exec_lo, exec_lo, s0
	s_and_saveexec_b32 s0, vcc_lo
	s_cbranch_execnz .LBB32_125
.LBB32_86:
	s_or_b32 exec_lo, exec_lo, s0
	s_and_saveexec_b32 s0, vcc_lo
	s_cbranch_execnz .LBB32_126
.LBB32_87:
	s_or_b32 exec_lo, exec_lo, s0
	s_and_saveexec_b32 s0, vcc_lo
	s_cbranch_execnz .LBB32_127
.LBB32_88:
	s_or_b32 exec_lo, exec_lo, s0
	s_and_saveexec_b32 s0, vcc_lo
	s_cbranch_execnz .LBB32_128
.LBB32_89:
	s_or_b32 exec_lo, exec_lo, s0
	s_and_saveexec_b32 s0, vcc_lo
	s_cbranch_execz .LBB32_91
.LBB32_90:
	v_lshl_add_u32 v19, v16, 2, v17
	ds_load_b32 v19, v19 offset:448
	s_waitcnt lgkmcnt(0)
	v_add_f32_e32 v15, v15, v19
.LBB32_91:
	s_or_b32 exec_lo, exec_lo, s0
.LBB32_92:
	s_delay_alu instid0(SALU_CYCLE_1)
	s_or_b32 exec_lo, exec_lo, s1
	v_and_b32_e32 v19, 0x3e3, v0
	s_mov_b32 s1, exec_lo
	s_barrier
	buffer_gl0_inv
	v_cmpx_eq_u32_e32 32, v19
	s_cbranch_execz .LBB32_94
; %bb.93:
	v_add3_u32 v18, v17, v18, 0xfffffe20
	ds_store_2addr_b32 v18, v1, v2 offset1:8
	ds_store_2addr_b32 v18, v3, v4 offset0:16 offset1:24
	ds_store_2addr_b32 v18, v5, v6 offset0:32 offset1:40
	;; [unrolled: 1-line block ×6, first 2 shown]
	ds_store_b32 v18, v15 offset:448
.LBB32_94:
	s_or_b32 exec_lo, exec_lo, s1
	s_delay_alu instid0(SALU_CYCLE_1)
	s_mov_b32 s1, exec_lo
	s_waitcnt lgkmcnt(0)
	s_barrier
	buffer_gl0_inv
	v_cmpx_gt_u32_e32 32, v0
	s_cbranch_execz .LBB32_112
; %bb.95:
	v_lshl_add_u32 v16, v16, 2, v17
	s_and_saveexec_b32 s0, vcc_lo
	s_cbranch_execnz .LBB32_129
; %bb.96:
	s_or_b32 exec_lo, exec_lo, s0
	s_and_saveexec_b32 s0, vcc_lo
	s_cbranch_execnz .LBB32_130
.LBB32_97:
	s_or_b32 exec_lo, exec_lo, s0
	s_and_saveexec_b32 s0, vcc_lo
	s_cbranch_execnz .LBB32_131
.LBB32_98:
	s_or_b32 exec_lo, exec_lo, s0
	s_and_saveexec_b32 s0, vcc_lo
	s_cbranch_execnz .LBB32_132
.LBB32_99:
	s_or_b32 exec_lo, exec_lo, s0
	s_and_saveexec_b32 s0, vcc_lo
	s_cbranch_execnz .LBB32_133
.LBB32_100:
	s_or_b32 exec_lo, exec_lo, s0
	s_and_saveexec_b32 s0, vcc_lo
	s_cbranch_execnz .LBB32_134
.LBB32_101:
	s_or_b32 exec_lo, exec_lo, s0
	s_and_saveexec_b32 s0, vcc_lo
	s_cbranch_execnz .LBB32_135
.LBB32_102:
	s_or_b32 exec_lo, exec_lo, s0
	s_and_saveexec_b32 s0, vcc_lo
	s_cbranch_execnz .LBB32_136
.LBB32_103:
	s_or_b32 exec_lo, exec_lo, s0
	s_and_saveexec_b32 s0, vcc_lo
	s_cbranch_execnz .LBB32_137
.LBB32_104:
	s_or_b32 exec_lo, exec_lo, s0
	s_and_saveexec_b32 s0, vcc_lo
	s_cbranch_execnz .LBB32_138
.LBB32_105:
	s_or_b32 exec_lo, exec_lo, s0
	s_and_saveexec_b32 s0, vcc_lo
	s_cbranch_execnz .LBB32_139
.LBB32_106:
	s_or_b32 exec_lo, exec_lo, s0
	s_and_saveexec_b32 s0, vcc_lo
	s_cbranch_execnz .LBB32_140
.LBB32_107:
	s_or_b32 exec_lo, exec_lo, s0
	s_and_saveexec_b32 s0, vcc_lo
	s_cbranch_execnz .LBB32_141
.LBB32_108:
	s_or_b32 exec_lo, exec_lo, s0
	s_and_saveexec_b32 s0, vcc_lo
	s_cbranch_execnz .LBB32_142
.LBB32_109:
	s_or_b32 exec_lo, exec_lo, s0
	s_and_saveexec_b32 s0, vcc_lo
	s_cbranch_execz .LBB32_111
.LBB32_110:
	ds_load_b32 v16, v16 offset:448
	s_waitcnt lgkmcnt(0)
	v_add_f32_e32 v15, v15, v16
.LBB32_111:
	s_or_b32 exec_lo, exec_lo, s0
.LBB32_112:
	s_delay_alu instid0(SALU_CYCLE_1)
	s_or_b32 exec_lo, exec_lo, s1
	s_barrier
	buffer_gl0_inv
	s_mov_b32 s0, exec_lo
	v_cmpx_eq_u32_e32 0, v19
	s_cbranch_execz .LBB32_114
; %bb.113:
	s_mul_i32 s0, s6, 0x78
	s_mul_i32 s2, s4, s20
	s_ashr_i32 s1, s0, 31
	s_delay_alu instid0(SALU_CYCLE_1) | instskip(NEXT) | instid1(SALU_CYCLE_1)
	s_lshl_b64 s[0:1], s[0:1], 2
	s_add_u32 s4, s22, s0
	s_addc_u32 s5, s23, s1
	s_ashr_i32 s3, s2, 31
	s_delay_alu instid0(SALU_CYCLE_1) | instskip(SKIP_4) | instid1(SALU_CYCLE_1)
	s_lshl_b64 s[0:1], s[2:3], 2
	s_mul_i32 s2, s12, 0x78
	s_add_u32 s4, s4, s0
	s_addc_u32 s5, s5, s1
	s_ashr_i32 s3, s2, 31
	s_lshl_b64 s[0:1], s[2:3], 2
	s_delay_alu instid0(SALU_CYCLE_1)
	s_add_u32 s0, s4, s0
	s_addc_u32 s1, s5, s1
	s_clause 0xe
	global_store_b32 v0, v1, s[0:1]
	global_store_b32 v0, v2, s[0:1] offset:32
	global_store_b32 v0, v3, s[0:1] offset:64
	;; [unrolled: 1-line block ×14, first 2 shown]
.LBB32_114:
	s_nop 0
	s_sendmsg sendmsg(MSG_DEALLOC_VGPRS)
	s_endpgm
.LBB32_115:
	v_lshl_add_u32 v19, v16, 2, v17
	ds_load_b32 v19, v19
	s_waitcnt lgkmcnt(0)
	v_add_f32_e32 v1, v1, v19
	s_or_b32 exec_lo, exec_lo, s0
	s_and_saveexec_b32 s0, vcc_lo
	s_cbranch_execz .LBB32_77
.LBB32_116:
	v_lshl_add_u32 v19, v16, 2, v17
	ds_load_b32 v19, v19 offset:32
	s_waitcnt lgkmcnt(0)
	v_add_f32_e32 v2, v2, v19
	s_or_b32 exec_lo, exec_lo, s0
	s_and_saveexec_b32 s0, vcc_lo
	s_cbranch_execz .LBB32_78
.LBB32_117:
	v_lshl_add_u32 v19, v16, 2, v17
	ds_load_b32 v19, v19 offset:64
	s_waitcnt lgkmcnt(0)
	v_add_f32_e32 v3, v3, v19
	s_or_b32 exec_lo, exec_lo, s0
	s_and_saveexec_b32 s0, vcc_lo
	s_cbranch_execz .LBB32_79
.LBB32_118:
	v_lshl_add_u32 v19, v16, 2, v17
	ds_load_b32 v19, v19 offset:96
	s_waitcnt lgkmcnt(0)
	v_add_f32_e32 v4, v4, v19
	s_or_b32 exec_lo, exec_lo, s0
	s_and_saveexec_b32 s0, vcc_lo
	s_cbranch_execz .LBB32_80
.LBB32_119:
	v_lshl_add_u32 v19, v16, 2, v17
	ds_load_b32 v19, v19 offset:128
	s_waitcnt lgkmcnt(0)
	v_add_f32_e32 v5, v5, v19
	s_or_b32 exec_lo, exec_lo, s0
	s_and_saveexec_b32 s0, vcc_lo
	s_cbranch_execz .LBB32_81
.LBB32_120:
	v_lshl_add_u32 v19, v16, 2, v17
	ds_load_b32 v19, v19 offset:160
	s_waitcnt lgkmcnt(0)
	v_add_f32_e32 v6, v6, v19
	s_or_b32 exec_lo, exec_lo, s0
	s_and_saveexec_b32 s0, vcc_lo
	s_cbranch_execz .LBB32_82
.LBB32_121:
	v_lshl_add_u32 v19, v16, 2, v17
	ds_load_b32 v19, v19 offset:192
	s_waitcnt lgkmcnt(0)
	v_add_f32_e32 v7, v7, v19
	s_or_b32 exec_lo, exec_lo, s0
	s_and_saveexec_b32 s0, vcc_lo
	s_cbranch_execz .LBB32_83
.LBB32_122:
	v_lshl_add_u32 v19, v16, 2, v17
	ds_load_b32 v19, v19 offset:224
	s_waitcnt lgkmcnt(0)
	v_add_f32_e32 v8, v8, v19
	s_or_b32 exec_lo, exec_lo, s0
	s_and_saveexec_b32 s0, vcc_lo
	s_cbranch_execz .LBB32_84
.LBB32_123:
	v_lshl_add_u32 v19, v16, 2, v17
	ds_load_b32 v19, v19 offset:256
	s_waitcnt lgkmcnt(0)
	v_add_f32_e32 v9, v9, v19
	s_or_b32 exec_lo, exec_lo, s0
	s_and_saveexec_b32 s0, vcc_lo
	s_cbranch_execz .LBB32_85
.LBB32_124:
	v_lshl_add_u32 v19, v16, 2, v17
	ds_load_b32 v19, v19 offset:288
	s_waitcnt lgkmcnt(0)
	v_add_f32_e32 v10, v10, v19
	s_or_b32 exec_lo, exec_lo, s0
	s_and_saveexec_b32 s0, vcc_lo
	s_cbranch_execz .LBB32_86
.LBB32_125:
	v_lshl_add_u32 v19, v16, 2, v17
	ds_load_b32 v19, v19 offset:320
	s_waitcnt lgkmcnt(0)
	v_add_f32_e32 v11, v11, v19
	s_or_b32 exec_lo, exec_lo, s0
	s_and_saveexec_b32 s0, vcc_lo
	s_cbranch_execz .LBB32_87
.LBB32_126:
	v_lshl_add_u32 v19, v16, 2, v17
	ds_load_b32 v19, v19 offset:352
	s_waitcnt lgkmcnt(0)
	v_add_f32_e32 v12, v12, v19
	s_or_b32 exec_lo, exec_lo, s0
	s_and_saveexec_b32 s0, vcc_lo
	s_cbranch_execz .LBB32_88
.LBB32_127:
	v_lshl_add_u32 v19, v16, 2, v17
	ds_load_b32 v19, v19 offset:384
	s_waitcnt lgkmcnt(0)
	v_add_f32_e32 v13, v13, v19
	s_or_b32 exec_lo, exec_lo, s0
	s_and_saveexec_b32 s0, vcc_lo
	s_cbranch_execz .LBB32_89
.LBB32_128:
	v_lshl_add_u32 v19, v16, 2, v17
	ds_load_b32 v19, v19 offset:416
	s_waitcnt lgkmcnt(0)
	v_add_f32_e32 v14, v14, v19
	s_or_b32 exec_lo, exec_lo, s0
	s_and_saveexec_b32 s0, vcc_lo
	s_cbranch_execnz .LBB32_90
	s_branch .LBB32_91
.LBB32_129:
	ds_load_b32 v17, v16
	s_waitcnt lgkmcnt(0)
	v_add_f32_e32 v1, v1, v17
	s_or_b32 exec_lo, exec_lo, s0
	s_and_saveexec_b32 s0, vcc_lo
	s_cbranch_execz .LBB32_97
.LBB32_130:
	ds_load_b32 v17, v16 offset:32
	s_waitcnt lgkmcnt(0)
	v_add_f32_e32 v2, v2, v17
	s_or_b32 exec_lo, exec_lo, s0
	s_and_saveexec_b32 s0, vcc_lo
	s_cbranch_execz .LBB32_98
.LBB32_131:
	ds_load_b32 v17, v16 offset:64
	s_waitcnt lgkmcnt(0)
	v_add_f32_e32 v3, v3, v17
	s_or_b32 exec_lo, exec_lo, s0
	s_and_saveexec_b32 s0, vcc_lo
	s_cbranch_execz .LBB32_99
.LBB32_132:
	ds_load_b32 v17, v16 offset:96
	s_waitcnt lgkmcnt(0)
	v_add_f32_e32 v4, v4, v17
	s_or_b32 exec_lo, exec_lo, s0
	s_and_saveexec_b32 s0, vcc_lo
	s_cbranch_execz .LBB32_100
.LBB32_133:
	ds_load_b32 v17, v16 offset:128
	s_waitcnt lgkmcnt(0)
	v_add_f32_e32 v5, v5, v17
	s_or_b32 exec_lo, exec_lo, s0
	s_and_saveexec_b32 s0, vcc_lo
	s_cbranch_execz .LBB32_101
.LBB32_134:
	ds_load_b32 v17, v16 offset:160
	s_waitcnt lgkmcnt(0)
	v_add_f32_e32 v6, v6, v17
	s_or_b32 exec_lo, exec_lo, s0
	s_and_saveexec_b32 s0, vcc_lo
	s_cbranch_execz .LBB32_102
.LBB32_135:
	ds_load_b32 v17, v16 offset:192
	s_waitcnt lgkmcnt(0)
	v_add_f32_e32 v7, v7, v17
	s_or_b32 exec_lo, exec_lo, s0
	s_and_saveexec_b32 s0, vcc_lo
	s_cbranch_execz .LBB32_103
.LBB32_136:
	ds_load_b32 v17, v16 offset:224
	s_waitcnt lgkmcnt(0)
	v_add_f32_e32 v8, v8, v17
	s_or_b32 exec_lo, exec_lo, s0
	s_and_saveexec_b32 s0, vcc_lo
	s_cbranch_execz .LBB32_104
.LBB32_137:
	ds_load_b32 v17, v16 offset:256
	s_waitcnt lgkmcnt(0)
	v_add_f32_e32 v9, v9, v17
	s_or_b32 exec_lo, exec_lo, s0
	s_and_saveexec_b32 s0, vcc_lo
	s_cbranch_execz .LBB32_105
.LBB32_138:
	ds_load_b32 v17, v16 offset:288
	s_waitcnt lgkmcnt(0)
	v_add_f32_e32 v10, v10, v17
	s_or_b32 exec_lo, exec_lo, s0
	s_and_saveexec_b32 s0, vcc_lo
	s_cbranch_execz .LBB32_106
.LBB32_139:
	ds_load_b32 v17, v16 offset:320
	s_waitcnt lgkmcnt(0)
	v_add_f32_e32 v11, v11, v17
	s_or_b32 exec_lo, exec_lo, s0
	s_and_saveexec_b32 s0, vcc_lo
	s_cbranch_execz .LBB32_107
.LBB32_140:
	ds_load_b32 v17, v16 offset:352
	s_waitcnt lgkmcnt(0)
	v_add_f32_e32 v12, v12, v17
	s_or_b32 exec_lo, exec_lo, s0
	s_and_saveexec_b32 s0, vcc_lo
	s_cbranch_execz .LBB32_108
.LBB32_141:
	ds_load_b32 v17, v16 offset:384
	s_waitcnt lgkmcnt(0)
	v_add_f32_e32 v13, v13, v17
	s_or_b32 exec_lo, exec_lo, s0
	s_and_saveexec_b32 s0, vcc_lo
	s_cbranch_execz .LBB32_109
.LBB32_142:
	ds_load_b32 v17, v16 offset:416
	s_waitcnt lgkmcnt(0)
	v_add_f32_e32 v14, v14, v17
	s_or_b32 exec_lo, exec_lo, s0
	s_and_saveexec_b32 s0, vcc_lo
	s_cbranch_execnz .LBB32_110
	s_branch .LBB32_111
	.section	.rodata,"a",@progbits
	.p2align	6, 0x0
	.amdhsa_kernel _ZN4vllm25paged_attention_v2_kernelIffLi120ELi16ELi128ELNS_18Fp8KVCacheDataTypeE0ELb1ELi512EEEvPfS2_PT_PKS3_PKT0_S9_ifPKiSB_iPKfiiiSD_SD_iiiii
		.amdhsa_group_segment_fixed_size 512
		.amdhsa_private_segment_fixed_size 0
		.amdhsa_kernarg_size 400
		.amdhsa_user_sgpr_count 13
		.amdhsa_user_sgpr_dispatch_ptr 0
		.amdhsa_user_sgpr_queue_ptr 0
		.amdhsa_user_sgpr_kernarg_segment_ptr 1
		.amdhsa_user_sgpr_dispatch_id 0
		.amdhsa_user_sgpr_private_segment_size 0
		.amdhsa_wavefront_size32 1
		.amdhsa_uses_dynamic_stack 0
		.amdhsa_enable_private_segment 0
		.amdhsa_system_sgpr_workgroup_id_x 1
		.amdhsa_system_sgpr_workgroup_id_y 1
		.amdhsa_system_sgpr_workgroup_id_z 1
		.amdhsa_system_sgpr_workgroup_info 0
		.amdhsa_system_vgpr_workitem_id 0
		.amdhsa_next_free_vgpr 104
		.amdhsa_next_free_sgpr 46
		.amdhsa_reserve_vcc 1
		.amdhsa_float_round_mode_32 0
		.amdhsa_float_round_mode_16_64 0
		.amdhsa_float_denorm_mode_32 3
		.amdhsa_float_denorm_mode_16_64 3
		.amdhsa_dx10_clamp 1
		.amdhsa_ieee_mode 1
		.amdhsa_fp16_overflow 0
		.amdhsa_workgroup_processor_mode 1
		.amdhsa_memory_ordered 1
		.amdhsa_forward_progress 0
		.amdhsa_shared_vgpr_count 0
		.amdhsa_exception_fp_ieee_invalid_op 0
		.amdhsa_exception_fp_denorm_src 0
		.amdhsa_exception_fp_ieee_div_zero 0
		.amdhsa_exception_fp_ieee_overflow 0
		.amdhsa_exception_fp_ieee_underflow 0
		.amdhsa_exception_fp_ieee_inexact 0
		.amdhsa_exception_int_div_zero 0
	.end_amdhsa_kernel
	.section	.text._ZN4vllm25paged_attention_v2_kernelIffLi120ELi16ELi128ELNS_18Fp8KVCacheDataTypeE0ELb1ELi512EEEvPfS2_PT_PKS3_PKT0_S9_ifPKiSB_iPKfiiiSD_SD_iiiii,"axG",@progbits,_ZN4vllm25paged_attention_v2_kernelIffLi120ELi16ELi128ELNS_18Fp8KVCacheDataTypeE0ELb1ELi512EEEvPfS2_PT_PKS3_PKT0_S9_ifPKiSB_iPKfiiiSD_SD_iiiii,comdat
.Lfunc_end32:
	.size	_ZN4vllm25paged_attention_v2_kernelIffLi120ELi16ELi128ELNS_18Fp8KVCacheDataTypeE0ELb1ELi512EEEvPfS2_PT_PKS3_PKT0_S9_ifPKiSB_iPKfiiiSD_SD_iiiii, .Lfunc_end32-_ZN4vllm25paged_attention_v2_kernelIffLi120ELi16ELi128ELNS_18Fp8KVCacheDataTypeE0ELb1ELi512EEEvPfS2_PT_PKS3_PKT0_S9_ifPKiSB_iPKfiiiSD_SD_iiiii
                                        ; -- End function
	.section	.AMDGPU.csdata,"",@progbits
; Kernel info:
; codeLenInByte = 8716
; NumSgprs: 48
; NumVgprs: 104
; ScratchSize: 0
; MemoryBound: 0
; FloatMode: 240
; IeeeMode: 1
; LDSByteSize: 512 bytes/workgroup (compile time only)
; SGPRBlocks: 5
; VGPRBlocks: 12
; NumSGPRsForWavesPerEU: 48
; NumVGPRsForWavesPerEU: 104
; Occupancy: 12
; WaveLimiterHint : 1
; COMPUTE_PGM_RSRC2:SCRATCH_EN: 0
; COMPUTE_PGM_RSRC2:USER_SGPR: 13
; COMPUTE_PGM_RSRC2:TRAP_HANDLER: 0
; COMPUTE_PGM_RSRC2:TGID_X_EN: 1
; COMPUTE_PGM_RSRC2:TGID_Y_EN: 1
; COMPUTE_PGM_RSRC2:TGID_Z_EN: 1
; COMPUTE_PGM_RSRC2:TIDIG_COMP_CNT: 0
	.section	.text._ZN4vllm25paged_attention_v2_kernelIffLi128ELi16ELi128ELNS_18Fp8KVCacheDataTypeE0ELb1ELi512EEEvPfS2_PT_PKS3_PKT0_S9_ifPKiSB_iPKfiiiSD_SD_iiiii,"axG",@progbits,_ZN4vllm25paged_attention_v2_kernelIffLi128ELi16ELi128ELNS_18Fp8KVCacheDataTypeE0ELb1ELi512EEEvPfS2_PT_PKS3_PKT0_S9_ifPKiSB_iPKfiiiSD_SD_iiiii,comdat
	.protected	_ZN4vllm25paged_attention_v2_kernelIffLi128ELi16ELi128ELNS_18Fp8KVCacheDataTypeE0ELb1ELi512EEEvPfS2_PT_PKS3_PKT0_S9_ifPKiSB_iPKfiiiSD_SD_iiiii ; -- Begin function _ZN4vllm25paged_attention_v2_kernelIffLi128ELi16ELi128ELNS_18Fp8KVCacheDataTypeE0ELb1ELi512EEEvPfS2_PT_PKS3_PKT0_S9_ifPKiSB_iPKfiiiSD_SD_iiiii
	.globl	_ZN4vllm25paged_attention_v2_kernelIffLi128ELi16ELi128ELNS_18Fp8KVCacheDataTypeE0ELb1ELi512EEEvPfS2_PT_PKS3_PKT0_S9_ifPKiSB_iPKfiiiSD_SD_iiiii
	.p2align	8
	.type	_ZN4vllm25paged_attention_v2_kernelIffLi128ELi16ELi128ELNS_18Fp8KVCacheDataTypeE0ELb1ELi512EEEvPfS2_PT_PKS3_PKT0_S9_ifPKiSB_iPKfiiiSD_SD_iiiii,@function
_ZN4vllm25paged_attention_v2_kernelIffLi128ELi16ELi128ELNS_18Fp8KVCacheDataTypeE0ELb1ELi512EEEvPfS2_PT_PKS3_PKT0_S9_ifPKiSB_iPKfiiiSD_SD_iiiii: ; @_ZN4vllm25paged_attention_v2_kernelIffLi128ELi16ELi128ELNS_18Fp8KVCacheDataTypeE0ELb1ELi512EEEvPfS2_PT_PKS3_PKT0_S9_ifPKiSB_iPKfiiiSD_SD_iiiii
; %bb.0:
	s_load_b64 s[2:3], s[0:1], 0x40
	s_mov_b32 s12, s15
	s_ashr_i32 s15, s14, 31
	s_delay_alu instid0(SALU_CYCLE_1)
	s_lshl_b64 s[4:5], s[14:15], 2
	s_waitcnt lgkmcnt(0)
	s_add_u32 s2, s2, s4
	s_addc_u32 s3, s3, s5
	s_lshl_b32 s39, s12, 9
	s_load_b32 s15, s[2:3], 0x0
	s_waitcnt lgkmcnt(0)
	s_cmp_ge_i32 s39, s15
	s_cbranch_scc1 .LBB33_118
; %bb.1:
	s_mov_b32 s24, s13
	s_clause 0x1
	s_load_b32 s13, s[0:1], 0x90
	s_load_b64 s[36:37], s[0:1], 0x30
	s_mov_b32 s41, 0
	s_waitcnt lgkmcnt(0)
	s_abs_i32 s5, s13
	s_abs_i32 s2, s36
	s_delay_alu instid0(SALU_CYCLE_1) | instskip(SKIP_1) | instid1(VALU_DEP_1)
	v_cvt_f32_u32_e32 v1, s2
	s_sub_i32 s4, 0, s2
	v_rcp_iflag_f32_e32 v1, v1
	s_waitcnt_depctr 0xfff
	v_mul_f32_e32 v1, 0x4f7ffffe, v1
	s_delay_alu instid0(VALU_DEP_1) | instskip(NEXT) | instid1(VALU_DEP_1)
	v_cvt_u32_f32_e32 v1, v1
	v_readfirstlane_b32 s3, v1
	s_delay_alu instid0(VALU_DEP_1) | instskip(NEXT) | instid1(SALU_CYCLE_1)
	s_mul_i32 s4, s4, s3
	s_mul_hi_u32 s4, s3, s4
	s_delay_alu instid0(SALU_CYCLE_1) | instskip(SKIP_4) | instid1(SALU_CYCLE_1)
	s_add_i32 s3, s3, s4
	s_xor_b32 s4, s13, s36
	s_mul_hi_u32 s3, s5, s3
	s_ashr_i32 s4, s4, 31
	s_mul_i32 s6, s3, s2
	s_sub_i32 s5, s5, s6
	s_add_i32 s6, s3, 1
	s_sub_i32 s7, s5, s2
	s_cmp_ge_u32 s5, s2
	s_cselect_b32 s3, s6, s3
	s_cselect_b32 s5, s7, s5
	s_add_i32 s6, s3, 1
	s_cmp_ge_u32 s5, s2
	s_cselect_b32 s2, s6, s3
	s_abs_i32 s17, s24
	s_xor_b32 s2, s2, s4
	s_delay_alu instid0(SALU_CYCLE_1) | instskip(SKIP_2) | instid1(SALU_CYCLE_1)
	s_sub_i32 s8, s2, s4
	s_load_b64 s[2:3], s[0:1], 0x50
	s_abs_i32 s16, s8
	v_cvt_f32_u32_e32 v1, s16
	s_sub_i32 s5, 0, s16
	s_delay_alu instid0(VALU_DEP_1) | instskip(SKIP_2) | instid1(VALU_DEP_1)
	v_rcp_iflag_f32_e32 v1, v1
	s_waitcnt_depctr 0xfff
	v_mul_f32_e32 v1, 0x4f7ffffe, v1
	v_cvt_u32_f32_e32 v1, v1
	s_delay_alu instid0(VALU_DEP_1) | instskip(NEXT) | instid1(VALU_DEP_1)
	v_readfirstlane_b32 s4, v1
	s_mul_i32 s5, s5, s4
	s_delay_alu instid0(SALU_CYCLE_1) | instskip(NEXT) | instid1(SALU_CYCLE_1)
	s_mul_hi_u32 s5, s4, s5
	s_add_i32 s4, s4, s5
	s_waitcnt lgkmcnt(0)
	s_cmp_eq_u64 s[2:3], 0
	s_mul_hi_u32 s18, s17, s4
	s_cbranch_scc1 .LBB33_3
; %bb.2:
	s_ashr_i32 s25, s24, 31
	s_delay_alu instid0(SALU_CYCLE_1) | instskip(NEXT) | instid1(SALU_CYCLE_1)
	s_lshl_b64 s[4:5], s[24:25], 2
	s_add_u32 s2, s2, s4
	s_addc_u32 s3, s3, s5
	s_load_b32 s41, s[2:3], 0x0
.LBB33_3:
	s_load_b128 s[4:7], s[0:1], 0x58
	v_and_b32_e32 v1, 1, v0
	v_cmp_gt_u32_e64 s2, 64, v0
	v_lshlrev_b32_e32 v2, 3, v0
	v_lshlrev_b32_e32 v3, 2, v0
	s_ashr_i32 s3, s24, 31
	s_waitcnt lgkmcnt(0)
	s_ashr_i32 s7, s8, 31
	s_lshl_b32 s20, s24, 7
	s_and_saveexec_b32 s8, s2
	s_cbranch_execz .LBB33_5
; %bb.4:
	s_load_b64 s[10:11], s[0:1], 0x18
	s_mul_i32 s22, s14, s4
	v_and_b32_e32 v6, 0xff8, v3
	s_ashr_i32 s23, s22, 31
	s_delay_alu instid0(SALU_CYCLE_1) | instskip(NEXT) | instid1(VALU_DEP_1)
	s_lshl_b64 s[22:23], s[22:23], 2
	v_lshl_add_u32 v6, v1, 8, v6
	s_waitcnt lgkmcnt(0)
	s_add_u32 s4, s10, s22
	s_addc_u32 s9, s11, s23
	s_ashr_i32 s21, s20, 31
	s_delay_alu instid0(SALU_CYCLE_1) | instskip(NEXT) | instid1(SALU_CYCLE_1)
	s_lshl_b64 s[10:11], s[20:21], 2
	s_add_u32 s10, s4, s10
	s_addc_u32 s11, s9, s11
	global_load_b64 v[4:5], v2, s[10:11]
	s_waitcnt vmcnt(0)
	ds_store_b64 v6, v[4:5]
.LBB33_5:
	s_or_b32 exec_lo, exec_lo, s8
	s_load_b128 s[8:11], s[0:1], 0x78
	s_mul_i32 s4, s18, s16
	s_xor_b32 s3, s3, s7
	s_sub_i32 s4, s17, s4
	s_add_i32 s7, s18, 1
	s_sub_i32 s17, s4, s16
	s_cmp_ge_u32 s4, s16
	s_waitcnt lgkmcnt(0)
	s_cselect_b32 s7, s7, s18
	s_cselect_b32 s4, s17, s4
	s_add_i32 s17, s7, 1
	s_cmp_ge_u32 s4, s16
	s_load_b32 s16, s[0:1], 0x88
	s_cselect_b32 s4, s17, s7
	s_add_i32 s17, s15, -1
	s_xor_b32 s4, s4, s3
	s_abs_i32 s7, s17
	s_sub_i32 s4, s4, s3
	s_mov_b32 s18, -1
	s_waitcnt lgkmcnt(0)
	s_barrier
	s_abs_i32 s21, s11
	buffer_gl0_inv
	v_cvt_f32_u32_e32 v4, s21
	s_sub_i32 s3, 0, s21
                                        ; implicit-def: $sgpr33
	s_delay_alu instid0(VALU_DEP_1) | instskip(SKIP_2) | instid1(VALU_DEP_1)
	v_rcp_iflag_f32_e32 v4, v4
	s_waitcnt_depctr 0xfff
	v_mul_f32_e32 v4, 0x4f7ffffe, v4
	v_cvt_u32_f32_e32 v4, v4
	s_delay_alu instid0(VALU_DEP_1) | instskip(NEXT) | instid1(VALU_DEP_1)
	v_readfirstlane_b32 s25, v4
	s_mul_i32 s3, s3, s25
	s_delay_alu instid0(SALU_CYCLE_1) | instskip(NEXT) | instid1(SALU_CYCLE_1)
	s_mul_hi_u32 s3, s25, s3
	s_add_i32 s25, s25, s3
	s_cmp_lt_i32 s16, 0
	s_mul_hi_u32 s3, s7, s25
	s_cbranch_scc0 .LBB33_7
; %bb.6:
	s_mul_i32 s18, s8, s36
	s_delay_alu instid0(SALU_CYCLE_1) | instskip(NEXT) | instid1(SALU_CYCLE_1)
	s_add_i32 s18, s4, s18
	s_mul_i32 s18, s18, s16
	s_delay_alu instid0(SALU_CYCLE_1)
	s_sub_i32 s33, 1, s18
	s_mov_b32 s18, 0
.LBB33_7:
	s_load_b64 s[26:27], s[0:1], 0x38
	s_ashr_i32 s28, s17, 31
	s_and_not1_b32 vcc_lo, exec_lo, s18
	s_ashr_i32 s11, s11, 31
	s_cbranch_vccnz .LBB33_9
; %bb.8:
	s_mul_i32 s8, s13, s8
	s_delay_alu instid0(SALU_CYCLE_1) | instskip(NEXT) | instid1(SALU_CYCLE_1)
	s_add_i32 s8, s8, s24
	s_mul_i32 s8, s8, s16
	s_delay_alu instid0(SALU_CYCLE_1)
	s_add_i32 s33, s8, 1
.LBB33_9:
	s_clause 0x4
	s_load_b32 s29, s[0:1], 0x48
	s_load_b64 s[30:31], s[0:1], 0x28
	s_load_b32 s8, s[0:1], 0x98
	s_load_b128 s[16:19], s[0:1], 0x0
	s_load_b64 s[22:23], s[0:1], 0x10
	s_xor_b32 s34, s28, s11
	s_mul_i32 s28, s3, s21
	s_add_i32 s35, s3, 1
	s_sub_i32 s7, s7, s28
	v_lshrrev_b32_e32 v72, 5, v0
	s_sub_i32 s36, s7, s21
	v_mov_b32_e32 v5, 0xff7fffff
	v_mbcnt_lo_u32_b32 v4, -1, 0
	s_delay_alu instid0(VALU_DEP_3) | instskip(SKIP_2) | instid1(SALU_CYCLE_1)
	v_lshl_add_u32 v73, v72, 4, s39
	s_waitcnt lgkmcnt(0)
	s_mul_i32 s28, s14, s29
	s_ashr_i32 s29, s28, 31
	s_cmp_ge_u32 s7, s21
	s_cselect_b32 s3, s35, s3
	s_cselect_b32 s7, s36, s7
	s_add_i32 s35, s3, 1
	s_cmp_ge_u32 s7, s21
	s_cselect_b32 s3, s35, s3
	s_add_i32 s35, s15, 15
	s_lshl_b32 s7, s12, 5
	s_ashr_i32 s36, s35, 31
	v_or_b32_e32 v69, s7, v72
	s_lshr_b32 s36, s36, 28
	s_delay_alu instid0(SALU_CYCLE_1)
	s_add_i32 s35, s35, s36
	s_add_i32 s36, s7, 32
	s_ashr_i32 s38, s35, 4
	s_xor_b32 s35, s3, s34
	s_min_i32 s36, s36, s38
	v_ashrrev_i32_e32 v70, 31, v69
	v_cmp_gt_i32_e64 s3, s36, v69
	s_sub_i32 s40, s35, s34
	s_mul_i32 s34, s4, s6
	s_delay_alu instid0(VALU_DEP_1)
	s_and_saveexec_b32 s6, s3
	s_cbranch_execz .LBB33_19
; %bb.10:
	s_load_b64 s[0:1], s[0:1], 0x20
	s_ashr_i32 s35, s34, 31
	v_bfe_u32 v6, v0, 1, 4
	s_lshl_b64 s[42:43], s[34:35], 2
	s_sub_i32 s35, s40, s9
	v_cmp_eq_u32_e32 vcc_lo, 0, v1
	v_lshlrev_b32_e32 v7, 8, v1
	v_lshlrev_b32_e32 v10, 2, v6
	v_subrev_nc_u32_e32 v13, s15, v6
	v_lshlrev_b32_e32 v16, 4, v6
	v_lshl_add_u32 v8, v72, 4, s39
	v_xor_b32_e32 v9, 1, v4
	s_waitcnt lgkmcnt(0)
	s_add_u32 s4, s0, s42
	s_addc_u32 s1, s1, s43
	s_abs_i32 s42, s10
	s_lshl_b64 s[44:45], s[28:29], 2
	v_cvt_f32_u32_e32 v5, s42
	s_sub_i32 s43, 0, s42
	v_cmp_neq_f32_e64 s0, s41, 0
	s_delay_alu instid0(VALU_DEP_2)
	v_rcp_iflag_f32_e32 v5, v5
	v_and_b32_e32 v12, 8, v2
	v_lshlrev_b64 v[1:2], 2, v[69:70]
	s_waitcnt_depctr 0xfff
	v_mul_f32_e32 v11, 0x4f7ffffe, v5
	v_mov_b32_e32 v5, 0xff7fffff
	v_lshl_or_b32 v14, v72, 6, v10
	v_add_nc_u32_e32 v10, 1, v13
	s_delay_alu instid0(VALU_DEP_4) | instskip(NEXT) | instid1(VALU_DEP_3)
	v_cvt_u32_f32_e32 v15, v11
	v_add_nc_u32_e32 v11, 0x220, v14
	v_add_co_u32 v14, s4, s4, v16
	s_delay_alu instid0(VALU_DEP_3) | instskip(SKIP_4) | instid1(VALU_DEP_1)
	v_mul_lo_u32 v13, s43, v15
	v_add_co_ci_u32_e64 v16, null, s1, 0, s4
	s_add_u32 s1, s26, s44
	s_addc_u32 s4, s27, s45
	v_add_co_u32 v1, s1, s1, v1
	v_add_co_ci_u32_e64 v2, s1, s4, v2, s1
	s_delay_alu instid0(VALU_DEP_4) | instskip(SKIP_1) | instid1(VALU_DEP_1)
	v_mul_hi_u32 v17, v15, v13
	v_add_co_u32 v12, s1, v14, v12
	v_add_co_ci_u32_e64 v13, s1, 0, v16, s1
	s_mov_b32 s43, 0
	s_mov_b32 s44, s5
	s_delay_alu instid0(VALU_DEP_3)
	v_dual_mov_b32 v15, v69 :: v_dual_add_nc_u32 v14, v15, v17
	s_branch .LBB33_13
.LBB33_11:                              ;   in Loop: Header=BB33_13 Depth=1
	s_or_b32 exec_lo, exec_lo, s45
.LBB33_12:                              ;   in Loop: Header=BB33_13 Depth=1
	s_delay_alu instid0(SALU_CYCLE_1) | instskip(SKIP_2) | instid1(VALU_DEP_1)
	s_or_b32 exec_lo, exec_lo, s4
	v_add_nc_u32_e32 v15, 4, v15
	v_add_co_u32 v1, s4, v1, 16
	v_add_co_ci_u32_e64 v2, s4, 0, v2, s4
	s_delay_alu instid0(VALU_DEP_3) | instskip(SKIP_2) | instid1(VALU_DEP_3)
	v_cmp_le_i32_e64 s1, s36, v15
	v_add_nc_u32_e32 v8, 64, v8
	v_add_nc_u32_e32 v11, 0x100, v11
	s_or_b32 s43, s1, s43
	s_delay_alu instid0(SALU_CYCLE_1)
	s_and_not1_b32 exec_lo, exec_lo, s43
	s_cbranch_execz .LBB33_18
.LBB33_13:                              ; =>This Inner Loop Header: Depth=1
	v_sub_nc_u32_e32 v16, 0, v8
	s_delay_alu instid0(VALU_DEP_1) | instskip(SKIP_1) | instid1(VALU_DEP_1)
	v_max_i32_e32 v16, v8, v16
	s_waitcnt lgkmcnt(0)
	v_mul_hi_u32 v17, v16, s25
	s_delay_alu instid0(VALU_DEP_1) | instskip(NEXT) | instid1(VALU_DEP_1)
	v_mul_lo_u32 v18, v17, s21
	v_sub_nc_u32_e32 v16, v16, v18
	v_add_nc_u32_e32 v18, 1, v17
	s_delay_alu instid0(VALU_DEP_2) | instskip(SKIP_1) | instid1(VALU_DEP_1)
	v_subrev_nc_u32_e32 v19, s21, v16
	v_cmp_le_u32_e64 s1, s21, v16
	v_cndmask_b32_e64 v17, v17, v18, s1
	s_delay_alu instid0(VALU_DEP_3) | instskip(SKIP_1) | instid1(VALU_DEP_3)
	v_cndmask_b32_e64 v16, v16, v19, s1
	v_ashrrev_i32_e32 v18, 31, v8
	v_add_nc_u32_e32 v19, 1, v17
	s_delay_alu instid0(VALU_DEP_3) | instskip(NEXT) | instid1(VALU_DEP_3)
	v_cmp_le_u32_e64 s1, s21, v16
	v_xor_b32_e32 v18, s11, v18
	s_delay_alu instid0(VALU_DEP_2) | instskip(NEXT) | instid1(VALU_DEP_1)
	v_cndmask_b32_e64 v16, v17, v19, s1
	v_xor_b32_e32 v16, v16, v18
	s_delay_alu instid0(VALU_DEP_1) | instskip(NEXT) | instid1(VALU_DEP_1)
	v_sub_nc_u32_e32 v16, v16, v18
	v_add_nc_u32_e32 v17, s33, v16
	v_cmp_ge_i32_e64 s4, s35, v16
	s_delay_alu instid0(VALU_DEP_2) | instskip(NEXT) | instid1(VALU_DEP_1)
	v_sub_nc_u32_e32 v18, 0, v17
	v_max_i32_e32 v18, v17, v18
	v_ashrrev_i32_e32 v17, 31, v17
	s_delay_alu instid0(VALU_DEP_2) | instskip(NEXT) | instid1(VALU_DEP_1)
	v_mul_hi_u32 v19, v18, v14
	v_mul_lo_u32 v19, v19, s42
	s_delay_alu instid0(VALU_DEP_1) | instskip(NEXT) | instid1(VALU_DEP_1)
	v_sub_nc_u32_e32 v18, v18, v19
	v_subrev_nc_u32_e32 v19, s42, v18
	v_cmp_le_u32_e64 s1, s42, v18
	s_delay_alu instid0(VALU_DEP_1) | instskip(NEXT) | instid1(VALU_DEP_1)
	v_cndmask_b32_e64 v18, v18, v19, s1
	v_subrev_nc_u32_e32 v19, s42, v18
	v_cmp_le_u32_e64 s1, s42, v18
	s_delay_alu instid0(VALU_DEP_1) | instskip(NEXT) | instid1(VALU_DEP_1)
	v_cndmask_b32_e64 v18, v18, v19, s1
	v_xor_b32_e32 v18, v18, v17
	s_delay_alu instid0(VALU_DEP_1) | instskip(NEXT) | instid1(VALU_DEP_1)
	v_sub_nc_u32_e32 v17, v18, v17
	v_cmp_ne_u32_e64 s1, 0, v17
	s_delay_alu instid0(VALU_DEP_1) | instskip(NEXT) | instid1(SALU_CYCLE_1)
	s_and_b32 s1, s1, s4
	s_and_b32 s45, vcc_lo, s1
	s_delay_alu instid0(SALU_CYCLE_1)
	s_and_saveexec_b32 s4, s45
	s_cbranch_execz .LBB33_15
; %bb.14:                               ;   in Loop: Header=BB33_13 Depth=1
	v_mov_b32_e32 v16, 0xff7fffff
	ds_store_b32 v11, v16
.LBB33_15:                              ;   in Loop: Header=BB33_13 Depth=1
	s_or_b32 exec_lo, exec_lo, s4
	s_xor_b32 s1, s1, -1
	s_delay_alu instid0(SALU_CYCLE_1)
	s_and_saveexec_b32 s4, s1
	s_cbranch_execz .LBB33_12
; %bb.16:                               ;   in Loop: Header=BB33_13 Depth=1
	global_load_b32 v18, v[1:2], off
	s_waitcnt vmcnt(0)
	v_mad_i64_i32 v[16:17], null, v18, s44, 0
	s_delay_alu instid0(VALU_DEP_1) | instskip(NEXT) | instid1(VALU_DEP_1)
	v_lshlrev_b64 v[16:17], 2, v[16:17]
	v_add_co_u32 v16, s1, v12, v16
	s_delay_alu instid0(VALU_DEP_1)
	v_add_co_ci_u32_e64 v17, s1, v13, v17, s1
	s_clause 0xf
	global_load_b64 v[27:28], v[16:17], off offset:256
	global_load_b64 v[29:30], v[16:17], off offset:512
	;; [unrolled: 1-line block ×3, first 2 shown]
	global_load_b64 v[33:34], v[16:17], off
	global_load_b64 v[35:36], v[16:17], off offset:1024
	global_load_b64 v[37:38], v[16:17], off offset:1280
	;; [unrolled: 1-line block ×12, first 2 shown]
	v_add_co_u32 v16, s1, 0x1000, v16
	s_delay_alu instid0(VALU_DEP_1)
	v_add_co_ci_u32_e64 v17, s1, 0, v17, s1
	v_cmp_gt_i32_e64 s1, 32, v9
	s_clause 0xf
	global_load_b64 v[59:60], v[16:17], off
	global_load_b64 v[61:62], v[16:17], off offset:256
	global_load_b64 v[63:64], v[16:17], off offset:512
	;; [unrolled: 1-line block ×15, first 2 shown]
	ds_load_b128 v[16:19], v7
	ds_load_b128 v[20:23], v7 offset:16
	s_waitcnt vmcnt(31) lgkmcnt(1)
	v_dual_mul_f32 v71, v18, v27 :: v_dual_mul_f32 v28, v19, v28
	ds_load_b128 v[24:27], v7 offset:32
	s_waitcnt vmcnt(28)
	v_dual_fmac_f32 v71, v16, v33 :: v_dual_fmac_f32 v28, v17, v34
	ds_load_b128 v[16:19], v7 offset:48
	s_waitcnt lgkmcnt(2)
	v_dual_fmac_f32 v71, v20, v29 :: v_dual_fmac_f32 v28, v21, v30
	s_delay_alu instid0(VALU_DEP_1) | instskip(SKIP_4) | instid1(VALU_DEP_1)
	v_dual_fmac_f32 v71, v22, v31 :: v_dual_fmac_f32 v28, v23, v32
	ds_load_b128 v[20:23], v7 offset:64
	s_waitcnt vmcnt(27) lgkmcnt(2)
	v_dual_fmac_f32 v71, v24, v35 :: v_dual_fmac_f32 v28, v25, v36
	s_waitcnt vmcnt(26)
	v_dual_fmac_f32 v71, v26, v37 :: v_dual_fmac_f32 v28, v27, v38
	ds_load_b128 v[24:27], v7 offset:80
	s_waitcnt vmcnt(25) lgkmcnt(2)
	v_dual_fmac_f32 v71, v16, v39 :: v_dual_fmac_f32 v28, v17, v40
	s_waitcnt vmcnt(24)
	s_delay_alu instid0(VALU_DEP_1) | instskip(SKIP_4) | instid1(VALU_DEP_1)
	v_dual_fmac_f32 v71, v18, v41 :: v_dual_fmac_f32 v28, v19, v42
	ds_load_b128 v[16:19], v7 offset:96
	s_waitcnt vmcnt(23) lgkmcnt(2)
	v_dual_fmac_f32 v71, v20, v43 :: v_dual_fmac_f32 v28, v21, v44
	s_waitcnt vmcnt(22)
	v_dual_fmac_f32 v71, v22, v45 :: v_dual_fmac_f32 v28, v23, v46
	ds_load_b128 v[20:23], v7 offset:112
	s_waitcnt vmcnt(21) lgkmcnt(2)
	v_dual_fmac_f32 v71, v24, v47 :: v_dual_fmac_f32 v28, v25, v48
	s_waitcnt vmcnt(20)
	;; [unrolled: 11-line block ×6, first 2 shown]
	s_delay_alu instid0(VALU_DEP_1) | instskip(SKIP_1) | instid1(VALU_DEP_1)
	v_dual_fmac_f32 v71, v86, v22 :: v_dual_fmac_f32 v28, v87, v23
	s_waitcnt vmcnt(3) lgkmcnt(1)
	v_dual_fmac_f32 v71, v88, v24 :: v_dual_fmac_f32 v28, v89, v25
	s_waitcnt vmcnt(2)
	s_delay_alu instid0(VALU_DEP_1) | instskip(SKIP_1) | instid1(VALU_DEP_1)
	v_dual_fmac_f32 v71, v90, v26 :: v_dual_fmac_f32 v28, v91, v27
	s_waitcnt vmcnt(1) lgkmcnt(0)
	v_dual_fmac_f32 v71, v92, v16 :: v_dual_fmac_f32 v28, v93, v17
	v_cndmask_b32_e64 v16, v4, v9, s1
	s_waitcnt vmcnt(0)
	s_delay_alu instid0(VALU_DEP_2) | instskip(NEXT) | instid1(VALU_DEP_2)
	v_dual_fmac_f32 v71, v94, v18 :: v_dual_fmac_f32 v28, v95, v19
	v_lshlrev_b32_e32 v17, 2, v16
	s_delay_alu instid0(VALU_DEP_2)
	v_add_f32_e32 v16, v71, v28
	ds_bpermute_b32 v17, v17, v16
	s_and_saveexec_b32 s45, vcc_lo
	s_cbranch_execz .LBB33_11
; %bb.17:                               ;   in Loop: Header=BB33_13 Depth=1
	v_add_nc_u32_e32 v18, v10, v8
	s_waitcnt lgkmcnt(0)
	v_add_f32_e32 v16, v16, v17
	s_delay_alu instid0(VALU_DEP_2) | instskip(NEXT) | instid1(VALU_DEP_1)
	v_cvt_f32_i32_e32 v18, v18
	v_mul_f32_e32 v18, s41, v18
	s_delay_alu instid0(VALU_DEP_1) | instskip(NEXT) | instid1(VALU_DEP_1)
	v_cndmask_b32_e64 v17, 0, v18, s0
	v_dual_max_f32 v18, v5, v5 :: v_dual_fmac_f32 v17, s37, v16
	v_add_nc_u32_e32 v16, v6, v8
	s_delay_alu instid0(VALU_DEP_2) | instskip(NEXT) | instid1(VALU_DEP_2)
	v_max_f32_e32 v18, v18, v17
	v_cmp_gt_i32_e64 s1, s15, v16
	s_delay_alu instid0(VALU_DEP_1) | instskip(NEXT) | instid1(VALU_DEP_3)
	v_cndmask_b32_e64 v16, 0, v17, s1
	v_cndmask_b32_e64 v5, v5, v18, s1
	ds_store_b32 v11, v16
	s_branch .LBB33_11
.LBB33_18:
	s_or_b32 exec_lo, exec_lo, s43
.LBB33_19:
	s_delay_alu instid0(SALU_CYCLE_1) | instskip(SKIP_3) | instid1(VALU_DEP_3)
	s_or_b32 exec_lo, exec_lo, s6
	v_xor_b32_e32 v1, 16, v4
	v_xor_b32_e32 v6, 8, v4
	v_dual_max_f32 v7, v5, v5 :: v_dual_and_b32 v74, 31, v0
	v_cmp_gt_i32_e32 vcc_lo, 32, v1
	v_cndmask_b32_e32 v1, v4, v1, vcc_lo
	s_delay_alu instid0(VALU_DEP_4) | instskip(NEXT) | instid1(VALU_DEP_2)
	v_cmp_gt_i32_e32 vcc_lo, 32, v6
	v_lshlrev_b32_e32 v2, 2, v1
	ds_bpermute_b32 v1, v2, v5
	v_cndmask_b32_e32 v5, v4, v6, vcc_lo
	s_delay_alu instid0(VALU_DEP_1) | instskip(SKIP_2) | instid1(VALU_DEP_1)
	v_lshlrev_b32_e32 v5, 2, v5
	s_waitcnt lgkmcnt(0)
	v_max_f32_e32 v1, v1, v1
	v_max_f32_e32 v1, v7, v1
	v_xor_b32_e32 v7, 4, v4
	ds_bpermute_b32 v6, v5, v1
	v_cmp_gt_i32_e32 vcc_lo, 32, v7
	s_waitcnt lgkmcnt(0)
	v_dual_cndmask_b32 v7, v4, v7 :: v_dual_max_f32 v8, v6, v6
	s_delay_alu instid0(VALU_DEP_1)
	v_dual_max_f32 v1, v1, v8 :: v_dual_lshlrev_b32 v6, 2, v7
	v_xor_b32_e32 v8, 2, v4
	ds_bpermute_b32 v7, v6, v1
	v_cmp_gt_i32_e32 vcc_lo, 32, v8
	v_cndmask_b32_e32 v8, v4, v8, vcc_lo
	v_cmp_eq_u32_e32 vcc_lo, 0, v74
	s_delay_alu instid0(VALU_DEP_2) | instskip(SKIP_2) | instid1(VALU_DEP_1)
	v_lshlrev_b32_e32 v75, 2, v8
	s_waitcnt lgkmcnt(0)
	v_max_f32_e32 v7, v7, v7
	v_max_f32_e32 v1, v1, v7
	v_lshlrev_b32_e32 v7, 2, v72
	ds_bpermute_b32 v8, v75, v1
	s_and_saveexec_b32 s0, vcc_lo
	s_cbranch_execz .LBB33_21
; %bb.20:
	s_waitcnt lgkmcnt(0)
	v_dual_max_f32 v8, v8, v8 :: v_dual_max_f32 v1, v1, v1
	s_delay_alu instid0(VALU_DEP_1)
	v_max_f32_e32 v1, v1, v8
	ds_store_b32 v7, v1 offset:512
.LBB33_21:
	s_or_b32 exec_lo, exec_lo, s0
	v_cmp_gt_u32_e64 s0, 4, v74
	s_waitcnt lgkmcnt(0)
	v_dual_mov_b32 v1, 0xff7fffff :: v_dual_lshlrev_b32 v8, 2, v74
	s_barrier
	buffer_gl0_inv
	s_and_saveexec_b32 s1, s0
	s_cbranch_execz .LBB33_23
; %bb.22:
	ds_load_b32 v1, v8 offset:512
.LBB33_23:
	s_or_b32 exec_lo, exec_lo, s1
	s_waitcnt lgkmcnt(0)
	ds_bpermute_b32 v9, v75, v1
	v_xor_b32_e32 v10, 1, v4
	s_delay_alu instid0(VALU_DEP_1) | instskip(NEXT) | instid1(VALU_DEP_1)
	v_cmp_gt_i32_e64 s1, 32, v10
	v_cndmask_b32_e64 v4, v4, v10, s1
	v_max_f32_e32 v1, v1, v1
	s_sub_i32 s1, s36, s7
	s_delay_alu instid0(SALU_CYCLE_1) | instskip(NEXT) | instid1(VALU_DEP_2)
	s_lshl_b32 s1, s1, 4
	v_lshlrev_b32_e32 v76, 2, v4
	s_add_i32 s1, s1, s39
	s_delay_alu instid0(SALU_CYCLE_1) | instskip(SKIP_3) | instid1(SALU_CYCLE_1)
	s_min_i32 s1, s1, s15
	s_waitcnt lgkmcnt(0)
	v_max_f32_e32 v9, v9, v9
	s_sub_i32 s6, s1, s39
	v_cmp_gt_i32_e64 s1, s6, v0
	s_delay_alu instid0(VALU_DEP_2) | instskip(SKIP_4) | instid1(VALU_DEP_1)
	v_max_f32_e32 v1, v1, v9
	v_mov_b32_e32 v9, 0
	ds_bpermute_b32 v4, v76, v1
	s_waitcnt lgkmcnt(0)
	v_max_f32_e32 v4, v4, v4
	v_max_f32_e32 v1, v1, v4
	v_lshl_add_u32 v4, v0, 2, 0x220
	ds_bpermute_b32 v1, v9, v1
	s_and_saveexec_b32 s7, s1
	s_cbranch_execz .LBB33_27
; %bb.24:
	v_lshl_add_u32 v10, v0, 2, 0x220
	v_mov_b32_e32 v9, 0
	v_mov_b32_e32 v11, v0
	s_mov_b32 s35, 0
	.p2align	6
.LBB33_25:                              ; =>This Inner Loop Header: Depth=1
	ds_load_b32 v12, v10
	v_add_nc_u32_e32 v11, 0x80, v11
	s_delay_alu instid0(VALU_DEP_1) | instskip(NEXT) | instid1(VALU_DEP_1)
	v_cmp_le_i32_e64 s4, s6, v11
	s_or_b32 s35, s4, s35
	s_waitcnt lgkmcnt(0)
	v_sub_f32_e32 v12, v12, v1
	s_delay_alu instid0(VALU_DEP_1) | instskip(NEXT) | instid1(VALU_DEP_1)
	v_mul_f32_e32 v12, 0x3fb8aa3b, v12
	v_exp_f32_e32 v12, v12
	ds_store_b32 v10, v12
	v_dual_add_f32 v9, v9, v12 :: v_dual_add_nc_u32 v10, 0x200, v10
	s_and_not1_b32 exec_lo, exec_lo, s35
	s_cbranch_execnz .LBB33_25
; %bb.26:
	s_or_b32 exec_lo, exec_lo, s35
.LBB33_27:
	s_delay_alu instid0(SALU_CYCLE_1)
	s_or_b32 exec_lo, exec_lo, s7
	ds_bpermute_b32 v2, v2, v9
	s_waitcnt lgkmcnt(0)
	v_add_f32_e32 v2, v9, v2
	ds_bpermute_b32 v5, v5, v2
	s_waitcnt lgkmcnt(0)
	v_add_f32_e32 v2, v2, v5
	;; [unrolled: 3-line block ×5, first 2 shown]
	s_and_saveexec_b32 s4, vcc_lo
	s_cbranch_execz .LBB33_29
; %bb.28:
	ds_store_b32 v7, v2 offset:528
.LBB33_29:
	s_or_b32 exec_lo, exec_lo, s4
	s_waitcnt lgkmcnt(0)
	s_barrier
	buffer_gl0_inv
	s_and_saveexec_b32 s4, s0
	s_cbranch_execz .LBB33_31
; %bb.30:
	ds_load_b32 v2, v8 offset:528
.LBB33_31:
	s_or_b32 exec_lo, exec_lo, s4
	s_waitcnt lgkmcnt(0)
	ds_bpermute_b32 v5, v75, v2
	s_waitcnt lgkmcnt(0)
	v_add_f32_e32 v2, v2, v5
	ds_bpermute_b32 v5, v76, v2
	s_waitcnt lgkmcnt(0)
	v_dual_add_f32 v2, v2, v5 :: v_dual_mov_b32 v5, 0
	ds_bpermute_b32 v2, v5, v2
	s_and_saveexec_b32 s0, s1
	s_cbranch_execz .LBB33_34
; %bb.32:
	s_waitcnt lgkmcnt(0)
	v_add_f32_e32 v5, 0x358637bd, v2
	s_mov_b32 s1, 0
	s_delay_alu instid0(VALU_DEP_1) | instskip(SKIP_1) | instid1(VALU_DEP_2)
	v_div_scale_f32 v6, null, v5, v5, 1.0
	v_div_scale_f32 v9, vcc_lo, 1.0, v5, 1.0
	v_rcp_f32_e32 v7, v6
	s_waitcnt_depctr 0xfff
	v_fma_f32 v8, -v6, v7, 1.0
	s_delay_alu instid0(VALU_DEP_1) | instskip(NEXT) | instid1(VALU_DEP_1)
	v_fmac_f32_e32 v7, v8, v7
	v_mul_f32_e32 v8, v9, v7
	s_delay_alu instid0(VALU_DEP_1) | instskip(NEXT) | instid1(VALU_DEP_1)
	v_fma_f32 v10, -v6, v8, v9
	v_fmac_f32_e32 v8, v10, v7
	s_delay_alu instid0(VALU_DEP_1) | instskip(NEXT) | instid1(VALU_DEP_1)
	v_fma_f32 v6, -v6, v8, v9
	v_div_fmas_f32 v6, v6, v7, v8
	s_delay_alu instid0(VALU_DEP_1)
	v_div_fixup_f32 v5, v6, v5, 1.0
	v_mov_b32_e32 v6, v0
.LBB33_33:                              ; =>This Inner Loop Header: Depth=1
	ds_load_b32 v7, v4
	s_waitcnt lgkmcnt(0)
	v_dual_mul_f32 v7, v5, v7 :: v_dual_add_nc_u32 v6, 0x80, v6
	s_delay_alu instid0(VALU_DEP_1) | instskip(SKIP_3) | instid1(SALU_CYCLE_1)
	v_cmp_le_i32_e32 vcc_lo, s6, v6
	ds_store_b32 v4, v7
	v_add_nc_u32_e32 v4, 0x200, v4
	s_or_b32 s1, vcc_lo, s1
	s_and_not1_b32 exec_lo, exec_lo, s1
	s_cbranch_execnz .LBB33_33
.LBB33_34:
	s_or_b32 exec_lo, exec_lo, s0
	s_mul_i32 s0, s8, s14
	s_waitcnt lgkmcnt(0)
	s_mul_i32 s6, s0, s13
	s_mov_b32 s0, exec_lo
	s_barrier
	buffer_gl0_inv
	v_cmpx_eq_u32_e32 0, v0
	s_cbranch_execz .LBB33_36
; %bb.35:
	s_ashr_i32 s7, s6, 31
	s_mul_i32 s44, s8, s24
	s_lshl_b64 s[42:43], s[6:7], 2
	v_mov_b32_e32 v4, 0
	s_add_u32 s1, s18, s42
	s_addc_u32 s4, s19, s43
	s_ashr_i32 s45, s44, 31
	s_delay_alu instid0(SALU_CYCLE_1) | instskip(NEXT) | instid1(SALU_CYCLE_1)
	s_lshl_b64 s[18:19], s[44:45], 2
	s_add_u32 s1, s1, s18
	s_addc_u32 s4, s4, s19
	s_ashr_i32 s13, s12, 31
	s_delay_alu instid0(SALU_CYCLE_1) | instskip(NEXT) | instid1(SALU_CYCLE_1)
	s_lshl_b64 s[44:45], s[12:13], 2
	s_add_u32 s46, s1, s44
	s_addc_u32 s47, s4, s45
	s_add_u32 s1, s16, s42
	s_addc_u32 s4, s17, s43
	;; [unrolled: 2-line block ×4, first 2 shown]
	s_clause 0x1
	global_store_b32 v4, v1, s[46:47]
	global_store_b32 v4, v2, s[16:17]
.LBB33_36:
	s_or_b32 exec_lo, exec_lo, s0
	v_dual_mov_b32 v92, 0 :: v_dual_and_b32 v77, 3, v0
	v_dual_mov_b32 v93, 0 :: v_dual_mov_b32 v90, 0
	v_dual_mov_b32 v91, 0 :: v_dual_mov_b32 v88, 0
	;; [unrolled: 1-line block ×7, first 2 shown]
	v_mov_b32_e32 v79, 0
	s_mov_b32 s4, 0
	s_and_saveexec_b32 s1, s3
	s_cbranch_execz .LBB33_74
; %bb.37:
	s_ashr_i32 s35, s34, 31
	s_sub_i32 s3, s40, s9
	s_lshl_b64 s[16:17], s[34:35], 2
	v_dual_mov_b32 v79, 0 :: v_dual_and_b32 v94, 12, v3
	s_add_u32 s7, s30, s16
	s_addc_u32 s9, s31, s17
	s_abs_i32 s10, s10
	v_dual_mov_b32 v78, 0 :: v_dual_and_b32 v3, 0x7c, v3
	v_cvt_f32_u32_e32 v4, s10
	s_sub_i32 s0, 0, s10
	v_dual_mov_b32 v80, 0 :: v_dual_lshlrev_b32 v5, 4, v77
	s_delay_alu instid0(VALU_DEP_3) | instskip(NEXT) | instid1(VALU_DEP_3)
	v_or_b32_e32 v6, 0x400, v3
	v_rcp_iflag_f32_e32 v4, v4
	v_mov_b32_e32 v81, 0
	v_or_b32_e32 v7, 0x480, v3
	v_or_b32_e32 v8, 0x500, v3
	v_or_b32_e32 v9, 0x580, v3
	v_or_b32_e32 v10, 0x600, v3
	v_or_b32_e32 v11, 0x680, v3
	v_or_b32_e32 v12, 0x700, v3
	v_or_b32_e32 v13, 0x780, v3
	v_dual_mov_b32 v82, 0 :: v_dual_lshlrev_b32 v95, 2, v3
	v_mul_f32_e32 v4, 0x4f7ffffe, v4
	v_lshlrev_b64 v[1:2], 2, v[69:70]
	s_lshl_b64 s[16:17], s[28:29], 2
	s_add_i32 s13, s38, -1
	v_lshl_or_b32 v5, v72, 6, v5
	v_cvt_u32_f32_e32 v4, v4
	s_add_u32 s14, s26, s16
	v_dual_mov_b32 v84, 0 :: v_dual_lshlrev_b32 v97, 2, v6
	v_add_co_u32 v70, vcc_lo, s14, v1
	s_delay_alu instid0(VALU_DEP_3) | instskip(SKIP_4) | instid1(VALU_DEP_4)
	v_mul_lo_u32 v3, s0, v4
	s_addc_u32 s0, s27, s17
	v_dual_mov_b32 v83, 0 :: v_dual_add_nc_u32 v96, 0x220, v5
	v_dual_mov_b32 v85, 0 :: v_dual_lshlrev_b32 v98, 2, v7
	v_dual_mov_b32 v86, 0 :: v_dual_lshlrev_b32 v99, 2, v8
	v_mul_hi_u32 v3, v4, v3
	v_dual_mov_b32 v87, 0 :: v_dual_lshlrev_b32 v100, 2, v9
	v_dual_mov_b32 v88, 0 :: v_dual_lshlrev_b32 v101, 2, v10
	;; [unrolled: 1-line block ×5, first 2 shown]
	v_add_co_ci_u32_e32 v71, vcc_lo, s0, v2, vcc_lo
	v_dual_mov_b32 v92, 0 :: v_dual_add_nc_u32 v105, v4, v3
	v_mov_b32_e32 v93, 0
	s_branch .LBB33_40
.LBB33_38:                              ;   in Loop: Header=BB33_40 Depth=1
	s_or_b32 exec_lo, exec_lo, s0
	s_waitcnt vmcnt(9) lgkmcnt(0)
	v_mul_f32_e32 v30, v2, v30
	s_waitcnt vmcnt(5)
	v_mul_f32_e32 v46, v2, v46
	v_mul_f32_e32 v22, v2, v22
	s_waitcnt vmcnt(3)
	v_mul_f32_e32 v58, v2, v58
	v_mul_f32_e32 v10, v2, v10
	v_fmac_f32_e32 v30, v1, v29
	v_fmac_f32_e32 v46, v1, v45
	;; [unrolled: 1-line block ×3, first 2 shown]
	s_waitcnt vmcnt(1)
	v_mul_f32_e32 v66, v2, v66
	v_mul_f32_e32 v14, v2, v14
	v_fmac_f32_e32 v30, v3, v31
	v_fmac_f32_e32 v46, v3, v47
	;; [unrolled: 1-line block ×4, first 2 shown]
	v_mul_f32_e32 v38, v2, v38
	v_fmac_f32_e32 v30, v4, v32
	v_fmac_f32_e32 v58, v1, v57
	;; [unrolled: 1-line block ×4, first 2 shown]
	s_delay_alu instid0(VALU_DEP_4) | instskip(NEXT) | instid1(VALU_DEP_4)
	v_dual_fmac_f32 v22, v4, v24 :: v_dual_add_f32 v87, v87, v30
	v_fmac_f32_e32 v58, v3, v59
	v_fmac_f32_e32 v14, v1, v13
	s_delay_alu instid0(VALU_DEP_3)
	v_dual_fmac_f32 v10, v3, v11 :: v_dual_add_f32 v89, v89, v22
	v_mul_f32_e32 v62, v2, v62
	v_mul_f32_e32 v50, v2, v50
	v_mul_f32_e32 v42, v2, v42
	v_dual_fmac_f32 v58, v4, v60 :: v_dual_add_f32 v83, v83, v46
	v_fmac_f32_e32 v66, v3, v67
	v_mul_f32_e32 v34, v2, v34
	v_mul_f32_e32 v26, v2, v26
	s_delay_alu instid0(VALU_DEP_4)
	v_add_f32_e32 v81, v81, v58
	v_fmac_f32_e32 v38, v1, v37
	v_mul_f32_e32 v18, v2, v18
	v_mul_f32_e32 v6, v2, v6
	s_waitcnt vmcnt(0)
	v_mul_f32_e32 v2, v2, v54
	v_fmac_f32_e32 v14, v3, v15
	v_fmac_f32_e32 v10, v4, v12
	;; [unrolled: 1-line block ×6, first 2 shown]
	v_add_f32_e32 v93, v93, v10
	s_delay_alu instid0(VALU_DEP_4)
	v_dual_fmac_f32 v62, v1, v61 :: v_dual_add_f32 v79, v79, v66
	v_fmac_f32_e32 v38, v3, v39
	v_fmac_f32_e32 v18, v1, v17
	;; [unrolled: 1-line block ×9, first 2 shown]
	v_add_f32_e32 v91, v91, v14
	v_fmac_f32_e32 v50, v3, v51
	v_fmac_f32_e32 v38, v4, v40
	;; [unrolled: 1-line block ×5, first 2 shown]
	s_delay_alu instid0(VALU_DEP_4) | instskip(NEXT) | instid1(VALU_DEP_4)
	v_dual_fmac_f32 v2, v3, v55 :: v_dual_add_f32 v85, v85, v38
	v_fmac_f32_e32 v62, v4, v64
	v_fmac_f32_e32 v50, v4, v52
	v_fmac_f32_e32 v42, v4, v44
	v_fmac_f32_e32 v34, v4, v36
	v_fmac_f32_e32 v26, v4, v28
	v_fmac_f32_e32 v18, v4, v20
	v_fmac_f32_e32 v6, v4, v8
	v_fmac_f32_e32 v2, v4, v56
	v_add_f32_e32 v80, v80, v62
	v_add_f32_e32 v82, v82, v50
	;; [unrolled: 1-line block ×8, first 2 shown]
.LBB33_39:                              ;   in Loop: Header=BB33_40 Depth=1
	s_or_b32 exec_lo, exec_lo, s14
	v_add_nc_u32_e32 v69, 4, v69
	v_add_co_u32 v70, s0, v70, 16
	s_delay_alu instid0(VALU_DEP_1) | instskip(NEXT) | instid1(VALU_DEP_3)
	v_add_co_ci_u32_e64 v71, s0, 0, v71, s0
	v_cmp_le_i32_e32 vcc_lo, s36, v69
	v_add_nc_u32_e32 v73, 64, v73
	v_add_nc_u32_e32 v96, 0x100, v96
	s_or_b32 s4, vcc_lo, s4
	s_delay_alu instid0(SALU_CYCLE_1)
	s_and_not1_b32 exec_lo, exec_lo, s4
	s_cbranch_execz .LBB33_73
.LBB33_40:                              ; =>This Inner Loop Header: Depth=1
	v_sub_nc_u32_e32 v1, 0, v73
	s_delay_alu instid0(VALU_DEP_1) | instskip(NEXT) | instid1(VALU_DEP_1)
	v_max_i32_e32 v1, v73, v1
	v_mul_hi_u32 v2, v1, s25
	s_delay_alu instid0(VALU_DEP_1) | instskip(NEXT) | instid1(VALU_DEP_1)
	v_mul_lo_u32 v3, v2, s21
	v_sub_nc_u32_e32 v1, v1, v3
	v_add_nc_u32_e32 v3, 1, v2
	s_delay_alu instid0(VALU_DEP_2) | instskip(SKIP_1) | instid1(VALU_DEP_2)
	v_subrev_nc_u32_e32 v4, s21, v1
	v_cmp_le_u32_e32 vcc_lo, s21, v1
	v_dual_cndmask_b32 v2, v2, v3 :: v_dual_cndmask_b32 v1, v1, v4
	v_ashrrev_i32_e32 v3, 31, v73
	s_delay_alu instid0(VALU_DEP_2) | instskip(NEXT) | instid1(VALU_DEP_3)
	v_add_nc_u32_e32 v4, 1, v2
	v_cmp_le_u32_e32 vcc_lo, s21, v1
	s_delay_alu instid0(VALU_DEP_3) | instskip(NEXT) | instid1(VALU_DEP_3)
	v_xor_b32_e32 v3, s11, v3
	v_cndmask_b32_e32 v1, v2, v4, vcc_lo
	s_delay_alu instid0(VALU_DEP_1) | instskip(NEXT) | instid1(VALU_DEP_1)
	v_xor_b32_e32 v1, v1, v3
	v_sub_nc_u32_e32 v1, v1, v3
	s_delay_alu instid0(VALU_DEP_1) | instskip(SKIP_1) | instid1(VALU_DEP_2)
	v_add_nc_u32_e32 v2, s33, v1
	v_cmp_lt_i32_e64 s0, s3, v1
	v_sub_nc_u32_e32 v3, 0, v2
	s_delay_alu instid0(VALU_DEP_1) | instskip(NEXT) | instid1(VALU_DEP_1)
	v_max_i32_e32 v3, v2, v3
	v_mul_hi_u32 v4, v3, v105
	s_delay_alu instid0(VALU_DEP_1) | instskip(NEXT) | instid1(VALU_DEP_1)
	v_mul_lo_u32 v4, v4, s10
	v_sub_nc_u32_e32 v3, v3, v4
	s_delay_alu instid0(VALU_DEP_1) | instskip(SKIP_1) | instid1(VALU_DEP_2)
	v_subrev_nc_u32_e32 v4, s10, v3
	v_cmp_le_u32_e32 vcc_lo, s10, v3
	v_cndmask_b32_e32 v3, v3, v4, vcc_lo
	v_ashrrev_i32_e32 v2, 31, v2
	s_delay_alu instid0(VALU_DEP_2) | instskip(SKIP_1) | instid1(VALU_DEP_2)
	v_subrev_nc_u32_e32 v4, s10, v3
	v_cmp_le_u32_e32 vcc_lo, s10, v3
	v_cndmask_b32_e32 v3, v3, v4, vcc_lo
	s_delay_alu instid0(VALU_DEP_1) | instskip(NEXT) | instid1(VALU_DEP_1)
	v_xor_b32_e32 v3, v3, v2
	v_sub_nc_u32_e32 v2, v3, v2
	s_delay_alu instid0(VALU_DEP_1) | instskip(SKIP_1) | instid1(SALU_CYCLE_1)
	v_cmp_eq_u32_e32 vcc_lo, 0, v2
	s_or_b32 s0, vcc_lo, s0
	s_and_saveexec_b32 s14, s0
	s_cbranch_execz .LBB33_39
; %bb.41:                               ;   in Loop: Header=BB33_40 Depth=1
	global_load_b32 v3, v[70:71], off
	v_add_nc_u32_e32 v106, v94, v73
	s_delay_alu instid0(VALU_DEP_1) | instskip(SKIP_4) | instid1(VALU_DEP_1)
	v_add_nc_u32_e32 v109, 1, v106
	v_add_nc_u32_e32 v108, 2, v106
	;; [unrolled: 1-line block ×3, first 2 shown]
	s_waitcnt vmcnt(0)
	v_mad_i64_i32 v[1:2], null, v3, s5, 0
	v_lshlrev_b64 v[1:2], 2, v[1:2]
	s_delay_alu instid0(VALU_DEP_1) | instskip(NEXT) | instid1(VALU_DEP_2)
	v_add_co_u32 v53, vcc_lo, s7, v1
	v_add_co_ci_u32_e32 v54, vcc_lo, s9, v2, vcc_lo
	ds_load_b128 v[1:4], v96
	v_add_co_u32 v33, vcc_lo, v53, v95
	v_add_co_ci_u32_e32 v34, vcc_lo, 0, v54, vcc_lo
	v_cmp_eq_u32_e32 vcc_lo, s13, v69
	global_load_b128 v[5:8], v[33:34], off
	s_and_saveexec_b32 s16, vcc_lo
	s_cbranch_execnz .LBB33_66
; %bb.42:                               ;   in Loop: Header=BB33_40 Depth=1
	s_or_b32 exec_lo, exec_lo, s16
	global_load_b128 v[9:12], v[33:34], off offset:512
	s_and_saveexec_b32 s16, vcc_lo
	s_cbranch_execnz .LBB33_67
.LBB33_43:                              ;   in Loop: Header=BB33_40 Depth=1
	s_or_b32 exec_lo, exec_lo, s16
	global_load_b128 v[13:16], v[33:34], off offset:1024
	s_and_saveexec_b32 s16, vcc_lo
	s_cbranch_execnz .LBB33_68
.LBB33_44:                              ;   in Loop: Header=BB33_40 Depth=1
	s_or_b32 exec_lo, exec_lo, s16
	global_load_b128 v[17:20], v[33:34], off offset:1536
	s_and_saveexec_b32 s16, vcc_lo
	s_cbranch_execnz .LBB33_69
.LBB33_45:                              ;   in Loop: Header=BB33_40 Depth=1
	s_or_b32 exec_lo, exec_lo, s16
	global_load_b128 v[21:24], v[33:34], off offset:2048
	s_and_saveexec_b32 s16, vcc_lo
	s_cbranch_execnz .LBB33_70
.LBB33_46:                              ;   in Loop: Header=BB33_40 Depth=1
	s_or_b32 exec_lo, exec_lo, s16
	global_load_b128 v[25:28], v[33:34], off offset:2560
	s_and_saveexec_b32 s16, vcc_lo
	s_cbranch_execnz .LBB33_71
.LBB33_47:                              ;   in Loop: Header=BB33_40 Depth=1
	s_or_b32 exec_lo, exec_lo, s16
	global_load_b128 v[29:32], v[33:34], off offset:3072
	s_and_saveexec_b32 s16, vcc_lo
	s_cbranch_execnz .LBB33_72
.LBB33_48:                              ;   in Loop: Header=BB33_40 Depth=1
	s_or_b32 exec_lo, exec_lo, s16
	global_load_b128 v[33:36], v[33:34], off offset:3584
	s_and_saveexec_b32 s16, vcc_lo
	s_cbranch_execz .LBB33_50
.LBB33_49:                              ;   in Loop: Header=BB33_40 Depth=1
	v_cmp_gt_i32_e64 s0, s15, v106
	s_waitcnt vmcnt(0)
	s_delay_alu instid0(VALU_DEP_1) | instskip(SKIP_1) | instid1(VALU_DEP_1)
	v_cndmask_b32_e64 v33, 0, v33, s0
	v_cmp_gt_i32_e64 s0, s15, v109
	v_cndmask_b32_e64 v34, 0, v34, s0
	v_cmp_gt_i32_e64 s0, s15, v108
	s_delay_alu instid0(VALU_DEP_1) | instskip(SKIP_1) | instid1(VALU_DEP_1)
	v_cndmask_b32_e64 v35, 0, v35, s0
	v_cmp_gt_i32_e64 s0, s15, v107
	v_cndmask_b32_e64 v36, 0, v36, s0
.LBB33_50:                              ;   in Loop: Header=BB33_40 Depth=1
	s_or_b32 exec_lo, exec_lo, s16
	v_add_co_u32 v37, s0, v53, v97
	s_delay_alu instid0(VALU_DEP_1)
	v_add_co_ci_u32_e64 v38, s0, 0, v54, s0
	global_load_b128 v[37:40], v[37:38], off
	s_and_saveexec_b32 s16, vcc_lo
	s_cbranch_execz .LBB33_52
; %bb.51:                               ;   in Loop: Header=BB33_40 Depth=1
	v_cmp_gt_i32_e64 s0, s15, v106
	s_waitcnt vmcnt(0)
	s_delay_alu instid0(VALU_DEP_1) | instskip(SKIP_1) | instid1(VALU_DEP_1)
	v_cndmask_b32_e64 v37, 0, v37, s0
	v_cmp_gt_i32_e64 s0, s15, v109
	v_cndmask_b32_e64 v38, 0, v38, s0
	v_cmp_gt_i32_e64 s0, s15, v108
	s_delay_alu instid0(VALU_DEP_1) | instskip(SKIP_1) | instid1(VALU_DEP_1)
	v_cndmask_b32_e64 v39, 0, v39, s0
	v_cmp_gt_i32_e64 s0, s15, v107
	v_cndmask_b32_e64 v40, 0, v40, s0
.LBB33_52:                              ;   in Loop: Header=BB33_40 Depth=1
	s_or_b32 exec_lo, exec_lo, s16
	v_add_co_u32 v41, s0, v53, v98
	s_delay_alu instid0(VALU_DEP_1)
	v_add_co_ci_u32_e64 v42, s0, 0, v54, s0
	global_load_b128 v[41:44], v[41:42], off
	s_and_saveexec_b32 s16, vcc_lo
	s_cbranch_execz .LBB33_54
; %bb.53:                               ;   in Loop: Header=BB33_40 Depth=1
	v_cmp_gt_i32_e64 s0, s15, v106
	s_waitcnt vmcnt(0)
	s_delay_alu instid0(VALU_DEP_1) | instskip(SKIP_1) | instid1(VALU_DEP_1)
	v_cndmask_b32_e64 v41, 0, v41, s0
	v_cmp_gt_i32_e64 s0, s15, v109
	v_cndmask_b32_e64 v42, 0, v42, s0
	v_cmp_gt_i32_e64 s0, s15, v108
	s_delay_alu instid0(VALU_DEP_1) | instskip(SKIP_1) | instid1(VALU_DEP_1)
	v_cndmask_b32_e64 v43, 0, v43, s0
	v_cmp_gt_i32_e64 s0, s15, v107
	v_cndmask_b32_e64 v44, 0, v44, s0
.LBB33_54:                              ;   in Loop: Header=BB33_40 Depth=1
	;; [unrolled: 20-line block ×7, first 2 shown]
	s_or_b32 exec_lo, exec_lo, s16
	v_add_co_u32 v53, s0, v53, v104
	s_delay_alu instid0(VALU_DEP_1)
	v_add_co_ci_u32_e64 v54, s0, 0, v54, s0
	global_load_b128 v[53:56], v[53:54], off
	s_and_saveexec_b32 s0, vcc_lo
	s_cbranch_execz .LBB33_38
; %bb.65:                               ;   in Loop: Header=BB33_40 Depth=1
	v_cmp_gt_i32_e32 vcc_lo, s15, v106
	s_waitcnt vmcnt(0)
	v_cndmask_b32_e32 v53, 0, v53, vcc_lo
	v_cmp_gt_i32_e32 vcc_lo, s15, v109
	v_cndmask_b32_e32 v54, 0, v54, vcc_lo
	v_cmp_gt_i32_e32 vcc_lo, s15, v108
	;; [unrolled: 2-line block ×3, first 2 shown]
	v_cndmask_b32_e32 v56, 0, v56, vcc_lo
	s_branch .LBB33_38
.LBB33_66:                              ;   in Loop: Header=BB33_40 Depth=1
	v_cmp_gt_i32_e64 s0, s15, v106
	s_waitcnt vmcnt(0)
	s_delay_alu instid0(VALU_DEP_1) | instskip(SKIP_1) | instid1(VALU_DEP_1)
	v_cndmask_b32_e64 v5, 0, v5, s0
	v_cmp_gt_i32_e64 s0, s15, v109
	v_cndmask_b32_e64 v6, 0, v6, s0
	v_cmp_gt_i32_e64 s0, s15, v108
	s_delay_alu instid0(VALU_DEP_1) | instskip(SKIP_1) | instid1(VALU_DEP_1)
	v_cndmask_b32_e64 v7, 0, v7, s0
	v_cmp_gt_i32_e64 s0, s15, v107
	v_cndmask_b32_e64 v8, 0, v8, s0
	s_or_b32 exec_lo, exec_lo, s16
	global_load_b128 v[9:12], v[33:34], off offset:512
	s_and_saveexec_b32 s16, vcc_lo
	s_cbranch_execz .LBB33_43
.LBB33_67:                              ;   in Loop: Header=BB33_40 Depth=1
	v_cmp_gt_i32_e64 s0, s15, v106
	s_waitcnt vmcnt(0)
	s_delay_alu instid0(VALU_DEP_1) | instskip(SKIP_1) | instid1(VALU_DEP_1)
	v_cndmask_b32_e64 v9, 0, v9, s0
	v_cmp_gt_i32_e64 s0, s15, v109
	v_cndmask_b32_e64 v10, 0, v10, s0
	v_cmp_gt_i32_e64 s0, s15, v108
	s_delay_alu instid0(VALU_DEP_1) | instskip(SKIP_1) | instid1(VALU_DEP_1)
	v_cndmask_b32_e64 v11, 0, v11, s0
	v_cmp_gt_i32_e64 s0, s15, v107
	v_cndmask_b32_e64 v12, 0, v12, s0
	s_or_b32 exec_lo, exec_lo, s16
	global_load_b128 v[13:16], v[33:34], off offset:1024
	s_and_saveexec_b32 s16, vcc_lo
	s_cbranch_execz .LBB33_44
.LBB33_68:                              ;   in Loop: Header=BB33_40 Depth=1
	v_cmp_gt_i32_e64 s0, s15, v106
	s_waitcnt vmcnt(0)
	s_delay_alu instid0(VALU_DEP_1) | instskip(SKIP_1) | instid1(VALU_DEP_1)
	v_cndmask_b32_e64 v13, 0, v13, s0
	v_cmp_gt_i32_e64 s0, s15, v109
	v_cndmask_b32_e64 v14, 0, v14, s0
	v_cmp_gt_i32_e64 s0, s15, v108
	s_delay_alu instid0(VALU_DEP_1) | instskip(SKIP_1) | instid1(VALU_DEP_1)
	v_cndmask_b32_e64 v15, 0, v15, s0
	v_cmp_gt_i32_e64 s0, s15, v107
	v_cndmask_b32_e64 v16, 0, v16, s0
	s_or_b32 exec_lo, exec_lo, s16
	global_load_b128 v[17:20], v[33:34], off offset:1536
	s_and_saveexec_b32 s16, vcc_lo
	s_cbranch_execz .LBB33_45
.LBB33_69:                              ;   in Loop: Header=BB33_40 Depth=1
	v_cmp_gt_i32_e64 s0, s15, v106
	s_waitcnt vmcnt(0)
	s_delay_alu instid0(VALU_DEP_1) | instskip(SKIP_1) | instid1(VALU_DEP_1)
	v_cndmask_b32_e64 v17, 0, v17, s0
	v_cmp_gt_i32_e64 s0, s15, v109
	v_cndmask_b32_e64 v18, 0, v18, s0
	v_cmp_gt_i32_e64 s0, s15, v108
	s_delay_alu instid0(VALU_DEP_1) | instskip(SKIP_1) | instid1(VALU_DEP_1)
	v_cndmask_b32_e64 v19, 0, v19, s0
	v_cmp_gt_i32_e64 s0, s15, v107
	v_cndmask_b32_e64 v20, 0, v20, s0
	s_or_b32 exec_lo, exec_lo, s16
	global_load_b128 v[21:24], v[33:34], off offset:2048
	s_and_saveexec_b32 s16, vcc_lo
	s_cbranch_execz .LBB33_46
.LBB33_70:                              ;   in Loop: Header=BB33_40 Depth=1
	v_cmp_gt_i32_e64 s0, s15, v106
	s_waitcnt vmcnt(0)
	s_delay_alu instid0(VALU_DEP_1) | instskip(SKIP_1) | instid1(VALU_DEP_1)
	v_cndmask_b32_e64 v21, 0, v21, s0
	v_cmp_gt_i32_e64 s0, s15, v109
	v_cndmask_b32_e64 v22, 0, v22, s0
	v_cmp_gt_i32_e64 s0, s15, v108
	s_delay_alu instid0(VALU_DEP_1) | instskip(SKIP_1) | instid1(VALU_DEP_1)
	v_cndmask_b32_e64 v23, 0, v23, s0
	v_cmp_gt_i32_e64 s0, s15, v107
	v_cndmask_b32_e64 v24, 0, v24, s0
	s_or_b32 exec_lo, exec_lo, s16
	global_load_b128 v[25:28], v[33:34], off offset:2560
	s_and_saveexec_b32 s16, vcc_lo
	s_cbranch_execz .LBB33_47
.LBB33_71:                              ;   in Loop: Header=BB33_40 Depth=1
	v_cmp_gt_i32_e64 s0, s15, v106
	s_waitcnt vmcnt(0)
	s_delay_alu instid0(VALU_DEP_1) | instskip(SKIP_1) | instid1(VALU_DEP_1)
	v_cndmask_b32_e64 v25, 0, v25, s0
	v_cmp_gt_i32_e64 s0, s15, v109
	v_cndmask_b32_e64 v26, 0, v26, s0
	v_cmp_gt_i32_e64 s0, s15, v108
	s_delay_alu instid0(VALU_DEP_1) | instskip(SKIP_1) | instid1(VALU_DEP_1)
	v_cndmask_b32_e64 v27, 0, v27, s0
	v_cmp_gt_i32_e64 s0, s15, v107
	v_cndmask_b32_e64 v28, 0, v28, s0
	s_or_b32 exec_lo, exec_lo, s16
	global_load_b128 v[29:32], v[33:34], off offset:3072
	s_and_saveexec_b32 s16, vcc_lo
	s_cbranch_execz .LBB33_48
.LBB33_72:                              ;   in Loop: Header=BB33_40 Depth=1
	v_cmp_gt_i32_e64 s0, s15, v106
	s_waitcnt vmcnt(0)
	s_delay_alu instid0(VALU_DEP_1) | instskip(SKIP_1) | instid1(VALU_DEP_1)
	v_cndmask_b32_e64 v29, 0, v29, s0
	v_cmp_gt_i32_e64 s0, s15, v109
	v_cndmask_b32_e64 v30, 0, v30, s0
	v_cmp_gt_i32_e64 s0, s15, v108
	s_delay_alu instid0(VALU_DEP_1) | instskip(SKIP_1) | instid1(VALU_DEP_1)
	v_cndmask_b32_e64 v31, 0, v31, s0
	v_cmp_gt_i32_e64 s0, s15, v107
	v_cndmask_b32_e64 v32, 0, v32, s0
	s_or_b32 exec_lo, exec_lo, s16
	global_load_b128 v[33:36], v[33:34], off offset:3584
	s_and_saveexec_b32 s16, vcc_lo
	s_cbranch_execnz .LBB33_49
	s_branch .LBB33_50
.LBB33_73:
	s_or_b32 exec_lo, exec_lo, s4
.LBB33_74:
	s_delay_alu instid0(SALU_CYCLE_1)
	s_or_b32 exec_lo, exec_lo, s1
	ds_bpermute_b32 v1, v75, v92
	ds_bpermute_b32 v2, v75, v93
	;; [unrolled: 1-line block ×16, first 2 shown]
	s_mov_b32 s0, exec_lo
	s_waitcnt lgkmcnt(0)
	s_waitcnt_vscnt null, 0x0
	s_barrier
	buffer_gl0_inv
	v_dual_add_f32 v1, v92, v1 :: v_dual_add_f32 v2, v93, v2
	v_dual_add_f32 v3, v91, v3 :: v_dual_add_f32 v4, v90, v4
	v_dual_add_f32 v5, v89, v5 :: v_dual_add_f32 v6, v88, v6
	v_dual_add_f32 v7, v87, v7 :: v_dual_add_f32 v8, v86, v8
	v_dual_add_f32 v9, v85, v9 :: v_dual_add_f32 v10, v84, v10
	v_dual_add_f32 v11, v83, v11 :: v_dual_add_f32 v12, v82, v12
	v_dual_add_f32 v13, v81, v13 :: v_dual_add_f32 v14, v80, v14
	v_dual_add_f32 v15, v79, v15 :: v_dual_add_f32 v16, v78, v16
	ds_bpermute_b32 v17, v76, v1
	ds_bpermute_b32 v18, v76, v2
	;; [unrolled: 1-line block ×16, first 2 shown]
	s_waitcnt lgkmcnt(14)
	v_dual_add_f32 v1, v1, v17 :: v_dual_add_f32 v2, v2, v18
	s_waitcnt lgkmcnt(12)
	v_dual_add_f32 v3, v3, v19 :: v_dual_add_f32 v4, v4, v20
	;; [unrolled: 2-line block ×7, first 2 shown]
	v_and_b32_e32 v19, 0x3c3, v0
	s_waitcnt lgkmcnt(0)
	v_dual_add_f32 v15, v15, v31 :: v_dual_add_f32 v16, v16, v32
	v_lshrrev_b32_e32 v17, 2, v74
	v_lshl_add_u32 v18, v72, 9, 0x220
	v_cmpx_eq_u32_e32 64, v19
	s_cbranch_execz .LBB33_76
; %bb.75:
	s_delay_alu instid0(VALU_DEP_3) | instskip(NEXT) | instid1(VALU_DEP_1)
	v_lshlrev_b32_e32 v19, 2, v17
	v_add3_u32 v19, v18, v19, 0xfffffc00
	ds_store_2addr_b32 v19, v1, v2 offset1:8
	ds_store_2addr_b32 v19, v3, v4 offset0:16 offset1:24
	ds_store_2addr_b32 v19, v5, v6 offset0:32 offset1:40
	;; [unrolled: 1-line block ×7, first 2 shown]
.LBB33_76:
	s_or_b32 exec_lo, exec_lo, s0
	v_cmp_eq_u32_e32 vcc_lo, 0, v77
	s_waitcnt lgkmcnt(0)
	s_barrier
	buffer_gl0_inv
	s_and_saveexec_b32 s0, s2
	s_cbranch_execz .LBB33_95
; %bb.77:
	s_and_saveexec_b32 s1, vcc_lo
	s_cbranch_execnz .LBB33_119
; %bb.78:
	s_or_b32 exec_lo, exec_lo, s1
	s_and_saveexec_b32 s1, vcc_lo
	s_cbranch_execnz .LBB33_120
.LBB33_79:
	s_or_b32 exec_lo, exec_lo, s1
	s_and_saveexec_b32 s1, vcc_lo
	s_cbranch_execnz .LBB33_121
.LBB33_80:
	s_or_b32 exec_lo, exec_lo, s1
	s_and_saveexec_b32 s1, vcc_lo
	s_cbranch_execnz .LBB33_122
.LBB33_81:
	s_or_b32 exec_lo, exec_lo, s1
	s_and_saveexec_b32 s1, vcc_lo
	s_cbranch_execnz .LBB33_123
.LBB33_82:
	s_or_b32 exec_lo, exec_lo, s1
	s_and_saveexec_b32 s1, vcc_lo
	s_cbranch_execnz .LBB33_124
.LBB33_83:
	s_or_b32 exec_lo, exec_lo, s1
	s_and_saveexec_b32 s1, vcc_lo
	s_cbranch_execnz .LBB33_125
.LBB33_84:
	s_or_b32 exec_lo, exec_lo, s1
	s_and_saveexec_b32 s1, vcc_lo
	s_cbranch_execnz .LBB33_126
.LBB33_85:
	s_or_b32 exec_lo, exec_lo, s1
	s_and_saveexec_b32 s1, vcc_lo
	s_cbranch_execnz .LBB33_127
.LBB33_86:
	s_or_b32 exec_lo, exec_lo, s1
	s_and_saveexec_b32 s1, vcc_lo
	s_cbranch_execnz .LBB33_128
.LBB33_87:
	s_or_b32 exec_lo, exec_lo, s1
	s_and_saveexec_b32 s1, vcc_lo
	s_cbranch_execnz .LBB33_129
.LBB33_88:
	s_or_b32 exec_lo, exec_lo, s1
	s_and_saveexec_b32 s1, vcc_lo
	s_cbranch_execnz .LBB33_130
.LBB33_89:
	s_or_b32 exec_lo, exec_lo, s1
	s_and_saveexec_b32 s1, vcc_lo
	s_cbranch_execnz .LBB33_131
.LBB33_90:
	s_or_b32 exec_lo, exec_lo, s1
	s_and_saveexec_b32 s1, vcc_lo
	s_cbranch_execnz .LBB33_132
.LBB33_91:
	s_or_b32 exec_lo, exec_lo, s1
	s_and_saveexec_b32 s1, vcc_lo
	s_cbranch_execnz .LBB33_133
.LBB33_92:
	s_or_b32 exec_lo, exec_lo, s1
	s_and_saveexec_b32 s1, vcc_lo
	s_cbranch_execz .LBB33_94
.LBB33_93:
	v_lshl_add_u32 v19, v17, 2, v18
	ds_load_b32 v19, v19 offset:480
	s_waitcnt lgkmcnt(0)
	v_add_f32_e32 v16, v16, v19
.LBB33_94:
	s_or_b32 exec_lo, exec_lo, s1
.LBB33_95:
	s_delay_alu instid0(SALU_CYCLE_1)
	s_or_b32 exec_lo, exec_lo, s0
	v_and_b32_e32 v19, 0x3e3, v0
	s_mov_b32 s1, exec_lo
	s_barrier
	buffer_gl0_inv
	v_cmpx_eq_u32_e32 32, v19
	s_cbranch_execz .LBB33_97
; %bb.96:
	v_lshl_add_u32 v20, v17, 2, 0x220
	ds_store_2addr_b32 v20, v1, v2 offset1:8
	ds_store_2addr_b32 v20, v3, v4 offset0:16 offset1:24
	ds_store_2addr_b32 v20, v5, v6 offset0:32 offset1:40
	;; [unrolled: 1-line block ×7, first 2 shown]
.LBB33_97:
	s_or_b32 exec_lo, exec_lo, s1
	s_delay_alu instid0(SALU_CYCLE_1)
	s_mov_b32 s1, exec_lo
	s_waitcnt lgkmcnt(0)
	s_barrier
	buffer_gl0_inv
	v_cmpx_gt_u32_e32 32, v0
	s_cbranch_execz .LBB33_116
; %bb.98:
	v_lshl_add_u32 v17, v17, 2, v18
	s_and_saveexec_b32 s0, vcc_lo
	s_cbranch_execnz .LBB33_134
; %bb.99:
	s_or_b32 exec_lo, exec_lo, s0
	s_and_saveexec_b32 s0, vcc_lo
	s_cbranch_execnz .LBB33_135
.LBB33_100:
	s_or_b32 exec_lo, exec_lo, s0
	s_and_saveexec_b32 s0, vcc_lo
	s_cbranch_execnz .LBB33_136
.LBB33_101:
	s_or_b32 exec_lo, exec_lo, s0
	s_and_saveexec_b32 s0, vcc_lo
	s_cbranch_execnz .LBB33_137
.LBB33_102:
	s_or_b32 exec_lo, exec_lo, s0
	s_and_saveexec_b32 s0, vcc_lo
	s_cbranch_execnz .LBB33_138
.LBB33_103:
	s_or_b32 exec_lo, exec_lo, s0
	s_and_saveexec_b32 s0, vcc_lo
	s_cbranch_execnz .LBB33_139
.LBB33_104:
	s_or_b32 exec_lo, exec_lo, s0
	s_and_saveexec_b32 s0, vcc_lo
	s_cbranch_execnz .LBB33_140
.LBB33_105:
	s_or_b32 exec_lo, exec_lo, s0
	s_and_saveexec_b32 s0, vcc_lo
	s_cbranch_execnz .LBB33_141
.LBB33_106:
	s_or_b32 exec_lo, exec_lo, s0
	s_and_saveexec_b32 s0, vcc_lo
	s_cbranch_execnz .LBB33_142
.LBB33_107:
	s_or_b32 exec_lo, exec_lo, s0
	s_and_saveexec_b32 s0, vcc_lo
	s_cbranch_execnz .LBB33_143
.LBB33_108:
	s_or_b32 exec_lo, exec_lo, s0
	s_and_saveexec_b32 s0, vcc_lo
	s_cbranch_execnz .LBB33_144
.LBB33_109:
	s_or_b32 exec_lo, exec_lo, s0
	s_and_saveexec_b32 s0, vcc_lo
	s_cbranch_execnz .LBB33_145
.LBB33_110:
	s_or_b32 exec_lo, exec_lo, s0
	s_and_saveexec_b32 s0, vcc_lo
	s_cbranch_execnz .LBB33_146
.LBB33_111:
	s_or_b32 exec_lo, exec_lo, s0
	s_and_saveexec_b32 s0, vcc_lo
	s_cbranch_execnz .LBB33_147
.LBB33_112:
	s_or_b32 exec_lo, exec_lo, s0
	s_and_saveexec_b32 s0, vcc_lo
	s_cbranch_execnz .LBB33_148
.LBB33_113:
	s_or_b32 exec_lo, exec_lo, s0
	s_and_saveexec_b32 s0, vcc_lo
	s_cbranch_execz .LBB33_115
.LBB33_114:
	ds_load_b32 v17, v17 offset:480
	s_waitcnt lgkmcnt(0)
	v_add_f32_e32 v16, v16, v17
.LBB33_115:
	s_or_b32 exec_lo, exec_lo, s0
.LBB33_116:
	s_delay_alu instid0(SALU_CYCLE_1)
	s_or_b32 exec_lo, exec_lo, s1
	s_barrier
	buffer_gl0_inv
	s_mov_b32 s0, exec_lo
	v_cmpx_eq_u32_e32 0, v19
	s_cbranch_execz .LBB33_118
; %bb.117:
	s_lshl_b32 s0, s6, 7
	s_mul_i32 s2, s8, s20
	s_ashr_i32 s1, s0, 31
	s_delay_alu instid0(SALU_CYCLE_1) | instskip(NEXT) | instid1(SALU_CYCLE_1)
	s_lshl_b64 s[0:1], s[0:1], 2
	s_add_u32 s4, s22, s0
	s_addc_u32 s5, s23, s1
	s_ashr_i32 s3, s2, 31
	s_delay_alu instid0(SALU_CYCLE_1) | instskip(NEXT) | instid1(SALU_CYCLE_1)
	s_lshl_b64 s[0:1], s[2:3], 2
	s_add_u32 s2, s4, s0
	s_addc_u32 s3, s5, s1
	s_lshl_b32 s0, s12, 7
	s_delay_alu instid0(SALU_CYCLE_1) | instskip(NEXT) | instid1(SALU_CYCLE_1)
	s_ashr_i32 s1, s0, 31
	s_lshl_b64 s[0:1], s[0:1], 2
	s_delay_alu instid0(SALU_CYCLE_1)
	s_add_u32 s0, s2, s0
	s_addc_u32 s1, s3, s1
	s_clause 0xf
	global_store_b32 v0, v1, s[0:1]
	global_store_b32 v0, v2, s[0:1] offset:32
	global_store_b32 v0, v3, s[0:1] offset:64
	global_store_b32 v0, v4, s[0:1] offset:96
	global_store_b32 v0, v5, s[0:1] offset:128
	global_store_b32 v0, v6, s[0:1] offset:160
	global_store_b32 v0, v7, s[0:1] offset:192
	global_store_b32 v0, v8, s[0:1] offset:224
	global_store_b32 v0, v9, s[0:1] offset:256
	global_store_b32 v0, v10, s[0:1] offset:288
	global_store_b32 v0, v11, s[0:1] offset:320
	global_store_b32 v0, v12, s[0:1] offset:352
	global_store_b32 v0, v13, s[0:1] offset:384
	global_store_b32 v0, v14, s[0:1] offset:416
	global_store_b32 v0, v15, s[0:1] offset:448
	global_store_b32 v0, v16, s[0:1] offset:480
.LBB33_118:
	s_nop 0
	s_sendmsg sendmsg(MSG_DEALLOC_VGPRS)
	s_endpgm
.LBB33_119:
	v_lshl_add_u32 v19, v17, 2, v18
	ds_load_b32 v19, v19
	s_waitcnt lgkmcnt(0)
	v_add_f32_e32 v1, v1, v19
	s_or_b32 exec_lo, exec_lo, s1
	s_and_saveexec_b32 s1, vcc_lo
	s_cbranch_execz .LBB33_79
.LBB33_120:
	v_lshl_add_u32 v19, v17, 2, v18
	ds_load_b32 v19, v19 offset:32
	s_waitcnt lgkmcnt(0)
	v_add_f32_e32 v2, v2, v19
	s_or_b32 exec_lo, exec_lo, s1
	s_and_saveexec_b32 s1, vcc_lo
	s_cbranch_execz .LBB33_80
.LBB33_121:
	v_lshl_add_u32 v19, v17, 2, v18
	ds_load_b32 v19, v19 offset:64
	s_waitcnt lgkmcnt(0)
	v_add_f32_e32 v3, v3, v19
	s_or_b32 exec_lo, exec_lo, s1
	s_and_saveexec_b32 s1, vcc_lo
	s_cbranch_execz .LBB33_81
.LBB33_122:
	v_lshl_add_u32 v19, v17, 2, v18
	ds_load_b32 v19, v19 offset:96
	s_waitcnt lgkmcnt(0)
	v_add_f32_e32 v4, v4, v19
	s_or_b32 exec_lo, exec_lo, s1
	s_and_saveexec_b32 s1, vcc_lo
	s_cbranch_execz .LBB33_82
.LBB33_123:
	v_lshl_add_u32 v19, v17, 2, v18
	ds_load_b32 v19, v19 offset:128
	s_waitcnt lgkmcnt(0)
	v_add_f32_e32 v5, v5, v19
	s_or_b32 exec_lo, exec_lo, s1
	s_and_saveexec_b32 s1, vcc_lo
	s_cbranch_execz .LBB33_83
.LBB33_124:
	v_lshl_add_u32 v19, v17, 2, v18
	ds_load_b32 v19, v19 offset:160
	s_waitcnt lgkmcnt(0)
	v_add_f32_e32 v6, v6, v19
	s_or_b32 exec_lo, exec_lo, s1
	s_and_saveexec_b32 s1, vcc_lo
	s_cbranch_execz .LBB33_84
.LBB33_125:
	v_lshl_add_u32 v19, v17, 2, v18
	ds_load_b32 v19, v19 offset:192
	s_waitcnt lgkmcnt(0)
	v_add_f32_e32 v7, v7, v19
	s_or_b32 exec_lo, exec_lo, s1
	s_and_saveexec_b32 s1, vcc_lo
	s_cbranch_execz .LBB33_85
.LBB33_126:
	v_lshl_add_u32 v19, v17, 2, v18
	ds_load_b32 v19, v19 offset:224
	s_waitcnt lgkmcnt(0)
	v_add_f32_e32 v8, v8, v19
	s_or_b32 exec_lo, exec_lo, s1
	s_and_saveexec_b32 s1, vcc_lo
	s_cbranch_execz .LBB33_86
.LBB33_127:
	v_lshl_add_u32 v19, v17, 2, v18
	ds_load_b32 v19, v19 offset:256
	s_waitcnt lgkmcnt(0)
	v_add_f32_e32 v9, v9, v19
	s_or_b32 exec_lo, exec_lo, s1
	s_and_saveexec_b32 s1, vcc_lo
	s_cbranch_execz .LBB33_87
.LBB33_128:
	v_lshl_add_u32 v19, v17, 2, v18
	ds_load_b32 v19, v19 offset:288
	s_waitcnt lgkmcnt(0)
	v_add_f32_e32 v10, v10, v19
	s_or_b32 exec_lo, exec_lo, s1
	s_and_saveexec_b32 s1, vcc_lo
	s_cbranch_execz .LBB33_88
.LBB33_129:
	v_lshl_add_u32 v19, v17, 2, v18
	ds_load_b32 v19, v19 offset:320
	s_waitcnt lgkmcnt(0)
	v_add_f32_e32 v11, v11, v19
	s_or_b32 exec_lo, exec_lo, s1
	s_and_saveexec_b32 s1, vcc_lo
	s_cbranch_execz .LBB33_89
.LBB33_130:
	v_lshl_add_u32 v19, v17, 2, v18
	ds_load_b32 v19, v19 offset:352
	s_waitcnt lgkmcnt(0)
	v_add_f32_e32 v12, v12, v19
	s_or_b32 exec_lo, exec_lo, s1
	s_and_saveexec_b32 s1, vcc_lo
	s_cbranch_execz .LBB33_90
.LBB33_131:
	v_lshl_add_u32 v19, v17, 2, v18
	ds_load_b32 v19, v19 offset:384
	s_waitcnt lgkmcnt(0)
	v_add_f32_e32 v13, v13, v19
	s_or_b32 exec_lo, exec_lo, s1
	s_and_saveexec_b32 s1, vcc_lo
	s_cbranch_execz .LBB33_91
.LBB33_132:
	v_lshl_add_u32 v19, v17, 2, v18
	ds_load_b32 v19, v19 offset:416
	s_waitcnt lgkmcnt(0)
	v_add_f32_e32 v14, v14, v19
	s_or_b32 exec_lo, exec_lo, s1
	s_and_saveexec_b32 s1, vcc_lo
	s_cbranch_execz .LBB33_92
.LBB33_133:
	v_lshl_add_u32 v19, v17, 2, v18
	ds_load_b32 v19, v19 offset:448
	s_waitcnt lgkmcnt(0)
	v_add_f32_e32 v15, v15, v19
	s_or_b32 exec_lo, exec_lo, s1
	s_and_saveexec_b32 s1, vcc_lo
	s_cbranch_execnz .LBB33_93
	s_branch .LBB33_94
.LBB33_134:
	ds_load_b32 v18, v17
	s_waitcnt lgkmcnt(0)
	v_add_f32_e32 v1, v1, v18
	s_or_b32 exec_lo, exec_lo, s0
	s_and_saveexec_b32 s0, vcc_lo
	s_cbranch_execz .LBB33_100
.LBB33_135:
	ds_load_b32 v18, v17 offset:32
	s_waitcnt lgkmcnt(0)
	v_add_f32_e32 v2, v2, v18
	s_or_b32 exec_lo, exec_lo, s0
	s_and_saveexec_b32 s0, vcc_lo
	s_cbranch_execz .LBB33_101
.LBB33_136:
	ds_load_b32 v18, v17 offset:64
	s_waitcnt lgkmcnt(0)
	v_add_f32_e32 v3, v3, v18
	s_or_b32 exec_lo, exec_lo, s0
	s_and_saveexec_b32 s0, vcc_lo
	s_cbranch_execz .LBB33_102
.LBB33_137:
	ds_load_b32 v18, v17 offset:96
	s_waitcnt lgkmcnt(0)
	v_add_f32_e32 v4, v4, v18
	s_or_b32 exec_lo, exec_lo, s0
	s_and_saveexec_b32 s0, vcc_lo
	s_cbranch_execz .LBB33_103
.LBB33_138:
	ds_load_b32 v18, v17 offset:128
	s_waitcnt lgkmcnt(0)
	v_add_f32_e32 v5, v5, v18
	s_or_b32 exec_lo, exec_lo, s0
	s_and_saveexec_b32 s0, vcc_lo
	s_cbranch_execz .LBB33_104
.LBB33_139:
	ds_load_b32 v18, v17 offset:160
	s_waitcnt lgkmcnt(0)
	v_add_f32_e32 v6, v6, v18
	s_or_b32 exec_lo, exec_lo, s0
	s_and_saveexec_b32 s0, vcc_lo
	s_cbranch_execz .LBB33_105
.LBB33_140:
	ds_load_b32 v18, v17 offset:192
	s_waitcnt lgkmcnt(0)
	v_add_f32_e32 v7, v7, v18
	s_or_b32 exec_lo, exec_lo, s0
	s_and_saveexec_b32 s0, vcc_lo
	s_cbranch_execz .LBB33_106
.LBB33_141:
	ds_load_b32 v18, v17 offset:224
	s_waitcnt lgkmcnt(0)
	v_add_f32_e32 v8, v8, v18
	s_or_b32 exec_lo, exec_lo, s0
	s_and_saveexec_b32 s0, vcc_lo
	s_cbranch_execz .LBB33_107
.LBB33_142:
	ds_load_b32 v18, v17 offset:256
	s_waitcnt lgkmcnt(0)
	v_add_f32_e32 v9, v9, v18
	s_or_b32 exec_lo, exec_lo, s0
	s_and_saveexec_b32 s0, vcc_lo
	s_cbranch_execz .LBB33_108
.LBB33_143:
	ds_load_b32 v18, v17 offset:288
	s_waitcnt lgkmcnt(0)
	v_add_f32_e32 v10, v10, v18
	s_or_b32 exec_lo, exec_lo, s0
	s_and_saveexec_b32 s0, vcc_lo
	s_cbranch_execz .LBB33_109
.LBB33_144:
	ds_load_b32 v18, v17 offset:320
	s_waitcnt lgkmcnt(0)
	v_add_f32_e32 v11, v11, v18
	s_or_b32 exec_lo, exec_lo, s0
	s_and_saveexec_b32 s0, vcc_lo
	s_cbranch_execz .LBB33_110
.LBB33_145:
	ds_load_b32 v18, v17 offset:352
	s_waitcnt lgkmcnt(0)
	v_add_f32_e32 v12, v12, v18
	s_or_b32 exec_lo, exec_lo, s0
	s_and_saveexec_b32 s0, vcc_lo
	s_cbranch_execz .LBB33_111
.LBB33_146:
	ds_load_b32 v18, v17 offset:384
	s_waitcnt lgkmcnt(0)
	v_add_f32_e32 v13, v13, v18
	s_or_b32 exec_lo, exec_lo, s0
	s_and_saveexec_b32 s0, vcc_lo
	s_cbranch_execz .LBB33_112
.LBB33_147:
	ds_load_b32 v18, v17 offset:416
	s_waitcnt lgkmcnt(0)
	v_add_f32_e32 v14, v14, v18
	s_or_b32 exec_lo, exec_lo, s0
	s_and_saveexec_b32 s0, vcc_lo
	s_cbranch_execz .LBB33_113
.LBB33_148:
	ds_load_b32 v18, v17 offset:448
	s_waitcnt lgkmcnt(0)
	v_add_f32_e32 v15, v15, v18
	s_or_b32 exec_lo, exec_lo, s0
	s_and_saveexec_b32 s0, vcc_lo
	s_cbranch_execnz .LBB33_114
	s_branch .LBB33_115
	.section	.rodata,"a",@progbits
	.p2align	6, 0x0
	.amdhsa_kernel _ZN4vllm25paged_attention_v2_kernelIffLi128ELi16ELi128ELNS_18Fp8KVCacheDataTypeE0ELb1ELi512EEEvPfS2_PT_PKS3_PKT0_S9_ifPKiSB_iPKfiiiSD_SD_iiiii
		.amdhsa_group_segment_fixed_size 544
		.amdhsa_private_segment_fixed_size 0
		.amdhsa_kernarg_size 400
		.amdhsa_user_sgpr_count 13
		.amdhsa_user_sgpr_dispatch_ptr 0
		.amdhsa_user_sgpr_queue_ptr 0
		.amdhsa_user_sgpr_kernarg_segment_ptr 1
		.amdhsa_user_sgpr_dispatch_id 0
		.amdhsa_user_sgpr_private_segment_size 0
		.amdhsa_wavefront_size32 1
		.amdhsa_uses_dynamic_stack 0
		.amdhsa_enable_private_segment 0
		.amdhsa_system_sgpr_workgroup_id_x 1
		.amdhsa_system_sgpr_workgroup_id_y 1
		.amdhsa_system_sgpr_workgroup_id_z 1
		.amdhsa_system_sgpr_workgroup_info 0
		.amdhsa_system_vgpr_workitem_id 0
		.amdhsa_next_free_vgpr 110
		.amdhsa_next_free_sgpr 48
		.amdhsa_reserve_vcc 1
		.amdhsa_float_round_mode_32 0
		.amdhsa_float_round_mode_16_64 0
		.amdhsa_float_denorm_mode_32 3
		.amdhsa_float_denorm_mode_16_64 3
		.amdhsa_dx10_clamp 1
		.amdhsa_ieee_mode 1
		.amdhsa_fp16_overflow 0
		.amdhsa_workgroup_processor_mode 1
		.amdhsa_memory_ordered 1
		.amdhsa_forward_progress 0
		.amdhsa_shared_vgpr_count 0
		.amdhsa_exception_fp_ieee_invalid_op 0
		.amdhsa_exception_fp_denorm_src 0
		.amdhsa_exception_fp_ieee_div_zero 0
		.amdhsa_exception_fp_ieee_overflow 0
		.amdhsa_exception_fp_ieee_underflow 0
		.amdhsa_exception_fp_ieee_inexact 0
		.amdhsa_exception_int_div_zero 0
	.end_amdhsa_kernel
	.section	.text._ZN4vllm25paged_attention_v2_kernelIffLi128ELi16ELi128ELNS_18Fp8KVCacheDataTypeE0ELb1ELi512EEEvPfS2_PT_PKS3_PKT0_S9_ifPKiSB_iPKfiiiSD_SD_iiiii,"axG",@progbits,_ZN4vllm25paged_attention_v2_kernelIffLi128ELi16ELi128ELNS_18Fp8KVCacheDataTypeE0ELb1ELi512EEEvPfS2_PT_PKS3_PKT0_S9_ifPKiSB_iPKfiiiSD_SD_iiiii,comdat
.Lfunc_end33:
	.size	_ZN4vllm25paged_attention_v2_kernelIffLi128ELi16ELi128ELNS_18Fp8KVCacheDataTypeE0ELb1ELi512EEEvPfS2_PT_PKS3_PKT0_S9_ifPKiSB_iPKfiiiSD_SD_iiiii, .Lfunc_end33-_ZN4vllm25paged_attention_v2_kernelIffLi128ELi16ELi128ELNS_18Fp8KVCacheDataTypeE0ELb1ELi512EEEvPfS2_PT_PKS3_PKT0_S9_ifPKiSB_iPKfiiiSD_SD_iiiii
                                        ; -- End function
	.section	.AMDGPU.csdata,"",@progbits
; Kernel info:
; codeLenInByte = 9008
; NumSgprs: 50
; NumVgprs: 110
; ScratchSize: 0
; MemoryBound: 0
; FloatMode: 240
; IeeeMode: 1
; LDSByteSize: 544 bytes/workgroup (compile time only)
; SGPRBlocks: 6
; VGPRBlocks: 13
; NumSGPRsForWavesPerEU: 50
; NumVGPRsForWavesPerEU: 110
; Occupancy: 12
; WaveLimiterHint : 1
; COMPUTE_PGM_RSRC2:SCRATCH_EN: 0
; COMPUTE_PGM_RSRC2:USER_SGPR: 13
; COMPUTE_PGM_RSRC2:TRAP_HANDLER: 0
; COMPUTE_PGM_RSRC2:TGID_X_EN: 1
; COMPUTE_PGM_RSRC2:TGID_Y_EN: 1
; COMPUTE_PGM_RSRC2:TGID_Z_EN: 1
; COMPUTE_PGM_RSRC2:TIDIG_COMP_CNT: 0
	.section	.text._ZN4vllm25paged_attention_v2_kernelIffLi192ELi16ELi128ELNS_18Fp8KVCacheDataTypeE0ELb1ELi512EEEvPfS2_PT_PKS3_PKT0_S9_ifPKiSB_iPKfiiiSD_SD_iiiii,"axG",@progbits,_ZN4vllm25paged_attention_v2_kernelIffLi192ELi16ELi128ELNS_18Fp8KVCacheDataTypeE0ELb1ELi512EEEvPfS2_PT_PKS3_PKT0_S9_ifPKiSB_iPKfiiiSD_SD_iiiii,comdat
	.protected	_ZN4vllm25paged_attention_v2_kernelIffLi192ELi16ELi128ELNS_18Fp8KVCacheDataTypeE0ELb1ELi512EEEvPfS2_PT_PKS3_PKT0_S9_ifPKiSB_iPKfiiiSD_SD_iiiii ; -- Begin function _ZN4vllm25paged_attention_v2_kernelIffLi192ELi16ELi128ELNS_18Fp8KVCacheDataTypeE0ELb1ELi512EEEvPfS2_PT_PKS3_PKT0_S9_ifPKiSB_iPKfiiiSD_SD_iiiii
	.globl	_ZN4vllm25paged_attention_v2_kernelIffLi192ELi16ELi128ELNS_18Fp8KVCacheDataTypeE0ELb1ELi512EEEvPfS2_PT_PKS3_PKT0_S9_ifPKiSB_iPKfiiiSD_SD_iiiii
	.p2align	8
	.type	_ZN4vllm25paged_attention_v2_kernelIffLi192ELi16ELi128ELNS_18Fp8KVCacheDataTypeE0ELb1ELi512EEEvPfS2_PT_PKS3_PKT0_S9_ifPKiSB_iPKfiiiSD_SD_iiiii,@function
_ZN4vllm25paged_attention_v2_kernelIffLi192ELi16ELi128ELNS_18Fp8KVCacheDataTypeE0ELb1ELi512EEEvPfS2_PT_PKS3_PKT0_S9_ifPKiSB_iPKfiiiSD_SD_iiiii: ; @_ZN4vllm25paged_attention_v2_kernelIffLi192ELi16ELi128ELNS_18Fp8KVCacheDataTypeE0ELb1ELi512EEEvPfS2_PT_PKS3_PKT0_S9_ifPKiSB_iPKfiiiSD_SD_iiiii
; %bb.0:
	s_load_b64 s[2:3], s[0:1], 0x40
	s_mov_b32 s12, s15
	s_ashr_i32 s15, s14, 31
	s_delay_alu instid0(SALU_CYCLE_1)
	s_lshl_b64 s[4:5], s[14:15], 2
	s_waitcnt lgkmcnt(0)
	s_add_u32 s2, s2, s4
	s_addc_u32 s3, s3, s5
	s_lshl_b32 s38, s12, 9
	s_load_b32 s15, s[2:3], 0x0
	s_waitcnt lgkmcnt(0)
	s_cmp_ge_i32 s38, s15
	s_cbranch_scc1 .LBB34_150
; %bb.1:
	s_mov_b32 s24, s13
	s_clause 0x1
	s_load_b32 s13, s[0:1], 0x90
	s_load_b64 s[36:37], s[0:1], 0x30
	s_mov_b32 s40, 0
	s_waitcnt lgkmcnt(0)
	s_abs_i32 s5, s13
	s_abs_i32 s2, s36
	s_delay_alu instid0(SALU_CYCLE_1) | instskip(SKIP_1) | instid1(VALU_DEP_1)
	v_cvt_f32_u32_e32 v1, s2
	s_sub_i32 s4, 0, s2
	v_rcp_iflag_f32_e32 v1, v1
	s_waitcnt_depctr 0xfff
	v_mul_f32_e32 v1, 0x4f7ffffe, v1
	s_delay_alu instid0(VALU_DEP_1) | instskip(NEXT) | instid1(VALU_DEP_1)
	v_cvt_u32_f32_e32 v1, v1
	v_readfirstlane_b32 s3, v1
	s_delay_alu instid0(VALU_DEP_1) | instskip(NEXT) | instid1(SALU_CYCLE_1)
	s_mul_i32 s4, s4, s3
	s_mul_hi_u32 s4, s3, s4
	s_delay_alu instid0(SALU_CYCLE_1) | instskip(SKIP_4) | instid1(SALU_CYCLE_1)
	s_add_i32 s3, s3, s4
	s_xor_b32 s4, s13, s36
	s_mul_hi_u32 s3, s5, s3
	s_ashr_i32 s4, s4, 31
	s_mul_i32 s6, s3, s2
	s_sub_i32 s5, s5, s6
	s_add_i32 s6, s3, 1
	s_sub_i32 s7, s5, s2
	s_cmp_ge_u32 s5, s2
	s_cselect_b32 s3, s6, s3
	s_cselect_b32 s5, s7, s5
	s_add_i32 s6, s3, 1
	s_cmp_ge_u32 s5, s2
	s_cselect_b32 s2, s6, s3
	s_abs_i32 s17, s24
	s_xor_b32 s2, s2, s4
	s_delay_alu instid0(SALU_CYCLE_1) | instskip(SKIP_2) | instid1(SALU_CYCLE_1)
	s_sub_i32 s8, s2, s4
	s_load_b64 s[2:3], s[0:1], 0x50
	s_abs_i32 s16, s8
	v_cvt_f32_u32_e32 v1, s16
	s_sub_i32 s5, 0, s16
	s_delay_alu instid0(VALU_DEP_1) | instskip(SKIP_2) | instid1(VALU_DEP_1)
	v_rcp_iflag_f32_e32 v1, v1
	s_waitcnt_depctr 0xfff
	v_mul_f32_e32 v1, 0x4f7ffffe, v1
	v_cvt_u32_f32_e32 v1, v1
	s_delay_alu instid0(VALU_DEP_1) | instskip(NEXT) | instid1(VALU_DEP_1)
	v_readfirstlane_b32 s4, v1
	s_mul_i32 s5, s5, s4
	s_delay_alu instid0(SALU_CYCLE_1) | instskip(NEXT) | instid1(SALU_CYCLE_1)
	s_mul_hi_u32 s5, s4, s5
	s_add_i32 s4, s4, s5
	s_waitcnt lgkmcnt(0)
	s_cmp_eq_u64 s[2:3], 0
	s_mul_hi_u32 s18, s17, s4
	s_cbranch_scc1 .LBB34_3
; %bb.2:
	s_ashr_i32 s25, s24, 31
	s_delay_alu instid0(SALU_CYCLE_1) | instskip(NEXT) | instid1(SALU_CYCLE_1)
	s_lshl_b64 s[4:5], s[24:25], 2
	s_add_u32 s2, s2, s4
	s_addc_u32 s3, s3, s5
	s_load_b32 s40, s[2:3], 0x0
.LBB34_3:
	s_load_b128 s[4:7], s[0:1], 0x58
	v_and_b32_e32 v1, 1, v0
	v_lshlrev_b32_e32 v2, 3, v0
	v_lshlrev_b32_e32 v3, 2, v0
	s_ashr_i32 s2, s24, 31
	s_ashr_i32 s3, s8, 31
	s_mul_i32 s20, s24, 0xc0
	s_waitcnt lgkmcnt(0)
	s_mov_b32 s7, exec_lo
	v_cmpx_gt_u32_e32 0x60, v0
	s_cbranch_execz .LBB34_5
; %bb.4:
	s_load_b64 s[8:9], s[0:1], 0x18
	s_mul_i32 s10, s14, s4
	v_and_b32_e32 v6, 0xff8, v3
	s_ashr_i32 s11, s10, 31
	s_delay_alu instid0(SALU_CYCLE_1) | instskip(NEXT) | instid1(VALU_DEP_1)
	s_lshl_b64 s[10:11], s[10:11], 2
	v_mad_u32_u24 v6, 0x180, v1, v6
	s_waitcnt lgkmcnt(0)
	s_add_u32 s4, s8, s10
	s_addc_u32 s10, s9, s11
	s_ashr_i32 s21, s20, 31
	s_delay_alu instid0(SALU_CYCLE_1) | instskip(NEXT) | instid1(SALU_CYCLE_1)
	s_lshl_b64 s[8:9], s[20:21], 2
	s_add_u32 s8, s4, s8
	s_addc_u32 s9, s10, s9
	global_load_b64 v[4:5], v2, s[8:9]
	s_waitcnt vmcnt(0)
	ds_store_b64 v6, v[4:5]
.LBB34_5:
	s_or_b32 exec_lo, exec_lo, s7
	s_load_b128 s[8:11], s[0:1], 0x78
	s_mul_i32 s4, s18, s16
	s_xor_b32 s2, s2, s3
	s_sub_i32 s3, s17, s4
	s_add_i32 s4, s18, 1
	s_sub_i32 s7, s3, s16
	s_cmp_ge_u32 s3, s16
	s_mov_b32 s17, -1
	s_cselect_b32 s4, s4, s18
	s_cselect_b32 s3, s7, s3
	s_add_i32 s7, s4, 1
	s_cmp_ge_u32 s3, s16
	s_waitcnt lgkmcnt(0)
	s_cselect_b32 s3, s7, s4
	s_load_b32 s4, s[0:1], 0x88
	s_xor_b32 s3, s3, s2
	s_add_i32 s16, s15, -1
	s_sub_i32 s3, s3, s2
	s_abs_i32 s7, s16
	s_waitcnt lgkmcnt(0)
	s_barrier
	s_abs_i32 s21, s11
	buffer_gl0_inv
	v_cvt_f32_u32_e32 v4, s21
	s_sub_i32 s2, 0, s21
                                        ; implicit-def: $sgpr33
	s_delay_alu instid0(VALU_DEP_1) | instskip(SKIP_2) | instid1(VALU_DEP_1)
	v_rcp_iflag_f32_e32 v4, v4
	s_waitcnt_depctr 0xfff
	v_mul_f32_e32 v4, 0x4f7ffffe, v4
	v_cvt_u32_f32_e32 v4, v4
	s_delay_alu instid0(VALU_DEP_1) | instskip(NEXT) | instid1(VALU_DEP_1)
	v_readfirstlane_b32 s25, v4
	s_mul_i32 s2, s2, s25
	s_delay_alu instid0(SALU_CYCLE_1) | instskip(NEXT) | instid1(SALU_CYCLE_1)
	s_mul_hi_u32 s2, s25, s2
	s_add_i32 s25, s25, s2
	s_cmp_lt_i32 s4, 0
	s_mul_hi_u32 s2, s7, s25
	s_cbranch_scc0 .LBB34_7
; %bb.6:
	s_mul_i32 s17, s8, s36
	s_delay_alu instid0(SALU_CYCLE_1) | instskip(NEXT) | instid1(SALU_CYCLE_1)
	s_add_i32 s17, s3, s17
	s_mul_i32 s17, s17, s4
	s_delay_alu instid0(SALU_CYCLE_1)
	s_sub_i32 s33, 1, s17
	s_mov_b32 s17, 0
.LBB34_7:
	s_load_b64 s[26:27], s[0:1], 0x38
	s_ashr_i32 s28, s16, 31
	s_and_not1_b32 vcc_lo, exec_lo, s17
	s_ashr_i32 s11, s11, 31
	s_cbranch_vccnz .LBB34_9
; %bb.8:
	s_mul_i32 s8, s13, s8
	s_delay_alu instid0(SALU_CYCLE_1) | instskip(NEXT) | instid1(SALU_CYCLE_1)
	s_add_i32 s8, s8, s24
	s_mul_i32 s4, s8, s4
	s_delay_alu instid0(SALU_CYCLE_1)
	s_add_i32 s33, s4, 1
.LBB34_9:
	s_clause 0x4
	s_load_b32 s8, s[0:1], 0x48
	s_load_b64 s[30:31], s[0:1], 0x28
	s_load_b32 s4, s[0:1], 0x98
	s_load_b128 s[16:19], s[0:1], 0x0
	s_load_b64 s[22:23], s[0:1], 0x10
	s_xor_b32 s34, s28, s11
	s_mul_i32 s28, s2, s21
	s_add_i32 s35, s2, 1
	s_sub_i32 s7, s7, s28
	v_lshrrev_b32_e32 v104, 5, v0
	v_mov_b32_e32 v5, 0xff7fffff
	v_mbcnt_lo_u32_b32 v4, -1, 0
	s_delay_alu instid0(VALU_DEP_3)
	v_lshl_add_u32 v105, v104, 4, s38
	s_waitcnt lgkmcnt(0)
	s_mul_i32 s28, s14, s8
	s_sub_i32 s8, s7, s21
	s_ashr_i32 s29, s28, 31
	s_cmp_ge_u32 s7, s21
	s_cselect_b32 s2, s35, s2
	s_cselect_b32 s7, s8, s7
	s_add_i32 s8, s2, 1
	s_cmp_ge_u32 s7, s21
	s_cselect_b32 s2, s8, s2
	s_add_i32 s8, s15, 15
	s_lshl_b32 s7, s12, 5
	s_ashr_i32 s35, s8, 31
	v_or_b32_e32 v101, s7, v104
	s_lshr_b32 s35, s35, 28
	s_xor_b32 s39, s2, s34
	s_add_i32 s8, s8, s35
	s_add_i32 s35, s7, 32
	s_ashr_i32 s36, s8, 4
	v_ashrrev_i32_e32 v102, 31, v101
	s_min_i32 s8, s35, s36
	s_sub_i32 s39, s39, s34
	v_cmp_gt_i32_e64 s2, s8, v101
	s_mul_i32 s34, s3, s6
	s_delay_alu instid0(VALU_DEP_1)
	s_and_saveexec_b32 s6, s2
	s_cbranch_execz .LBB34_19
; %bb.10:
	s_load_b64 s[0:1], s[0:1], 0x20
	s_ashr_i32 s35, s34, 31
	v_bfe_u32 v6, v0, 1, 4
	s_lshl_b64 s[42:43], s[34:35], 2
	s_sub_i32 s35, s39, s9
	v_cmp_eq_u32_e32 vcc_lo, 0, v1
	v_mul_u32_u24_e32 v7, 0x180, v1
	v_lshlrev_b32_e32 v11, 2, v6
	v_subrev_nc_u32_e32 v14, s15, v6
	v_lshlrev_b32_e32 v17, 4, v6
	v_lshl_add_u32 v8, v104, 4, s38
	v_mov_b32_e32 v9, 0xff7fffff
	v_lshl_or_b32 v15, v104, 6, v11
	v_add_nc_u32_e32 v11, 1, v14
	v_xor_b32_e32 v10, 1, v4
	s_waitcnt lgkmcnt(0)
	s_add_u32 s3, s0, s42
	s_addc_u32 s1, s1, s43
	s_abs_i32 s41, s10
	v_cmp_neq_f32_e64 s0, s40, 0
	v_cvt_f32_u32_e32 v5, s41
	s_sub_i32 s42, 0, s41
	s_delay_alu instid0(VALU_DEP_1)
	v_rcp_iflag_f32_e32 v5, v5
	v_and_b32_e32 v13, 8, v2
	v_lshlrev_b64 v[1:2], 2, v[101:102]
	s_waitcnt_depctr 0xfff
	v_mul_f32_e32 v12, 0x4f7ffffe, v5
	v_mov_b32_e32 v5, 0xff7fffff
	s_delay_alu instid0(VALU_DEP_2) | instskip(SKIP_2) | instid1(VALU_DEP_1)
	v_cvt_u32_f32_e32 v16, v12
	v_add_nc_u32_e32 v12, 0x320, v15
	v_add_co_u32 v15, s3, s3, v17
	v_add_co_ci_u32_e64 v17, null, s1, 0, s3
	s_delay_alu instid0(VALU_DEP_4) | instskip(SKIP_1) | instid1(SALU_CYCLE_1)
	v_mul_lo_u32 v14, s42, v16
	s_lshl_b64 s[42:43], s[28:29], 2
	s_add_u32 s1, s26, s42
	s_addc_u32 s3, s27, s43
	v_add_co_u32 v1, s1, s1, v1
	s_delay_alu instid0(VALU_DEP_1) | instskip(NEXT) | instid1(VALU_DEP_3)
	v_add_co_ci_u32_e64 v2, s1, s3, v2, s1
	v_mul_hi_u32 v18, v16, v14
	v_add_co_u32 v13, s1, v15, v13
	s_delay_alu instid0(VALU_DEP_1) | instskip(SKIP_2) | instid1(VALU_DEP_3)
	v_add_co_ci_u32_e64 v14, s1, 0, v17, s1
	s_mov_b32 s42, 0
	s_mov_b32 s43, s5
	v_dual_mov_b32 v16, v101 :: v_dual_add_nc_u32 v15, v16, v18
	s_branch .LBB34_13
.LBB34_11:                              ;   in Loop: Header=BB34_13 Depth=1
	s_or_b32 exec_lo, exec_lo, s44
.LBB34_12:                              ;   in Loop: Header=BB34_13 Depth=1
	s_delay_alu instid0(SALU_CYCLE_1) | instskip(SKIP_2) | instid1(VALU_DEP_1)
	s_or_b32 exec_lo, exec_lo, s3
	v_add_nc_u32_e32 v16, 4, v16
	v_add_co_u32 v1, s3, v1, 16
	v_add_co_ci_u32_e64 v2, s3, 0, v2, s3
	s_delay_alu instid0(VALU_DEP_3) | instskip(SKIP_2) | instid1(VALU_DEP_3)
	v_cmp_le_i32_e64 s1, s8, v16
	v_add_nc_u32_e32 v8, 64, v8
	v_add_nc_u32_e32 v12, 0x100, v12
	s_or_b32 s42, s1, s42
	s_delay_alu instid0(SALU_CYCLE_1)
	s_and_not1_b32 exec_lo, exec_lo, s42
	s_cbranch_execz .LBB34_18
.LBB34_13:                              ; =>This Inner Loop Header: Depth=1
	v_sub_nc_u32_e32 v17, 0, v8
	s_delay_alu instid0(VALU_DEP_1) | instskip(SKIP_1) | instid1(VALU_DEP_1)
	v_max_i32_e32 v17, v8, v17
	s_waitcnt lgkmcnt(0)
	v_mul_hi_u32 v18, v17, s25
	s_delay_alu instid0(VALU_DEP_1) | instskip(NEXT) | instid1(VALU_DEP_1)
	v_mul_lo_u32 v19, v18, s21
	v_sub_nc_u32_e32 v17, v17, v19
	v_add_nc_u32_e32 v19, 1, v18
	s_delay_alu instid0(VALU_DEP_2) | instskip(SKIP_1) | instid1(VALU_DEP_1)
	v_subrev_nc_u32_e32 v20, s21, v17
	v_cmp_le_u32_e64 s1, s21, v17
	v_cndmask_b32_e64 v18, v18, v19, s1
	s_delay_alu instid0(VALU_DEP_3) | instskip(SKIP_1) | instid1(VALU_DEP_3)
	v_cndmask_b32_e64 v17, v17, v20, s1
	v_ashrrev_i32_e32 v19, 31, v8
	v_add_nc_u32_e32 v20, 1, v18
	s_delay_alu instid0(VALU_DEP_3) | instskip(NEXT) | instid1(VALU_DEP_3)
	v_cmp_le_u32_e64 s1, s21, v17
	v_xor_b32_e32 v19, s11, v19
	s_delay_alu instid0(VALU_DEP_2) | instskip(NEXT) | instid1(VALU_DEP_1)
	v_cndmask_b32_e64 v17, v18, v20, s1
	v_xor_b32_e32 v17, v17, v19
	s_delay_alu instid0(VALU_DEP_1) | instskip(NEXT) | instid1(VALU_DEP_1)
	v_sub_nc_u32_e32 v17, v17, v19
	v_add_nc_u32_e32 v18, s33, v17
	v_cmp_ge_i32_e64 s3, s35, v17
	s_delay_alu instid0(VALU_DEP_2) | instskip(NEXT) | instid1(VALU_DEP_1)
	v_sub_nc_u32_e32 v19, 0, v18
	v_max_i32_e32 v19, v18, v19
	v_ashrrev_i32_e32 v18, 31, v18
	s_delay_alu instid0(VALU_DEP_2) | instskip(NEXT) | instid1(VALU_DEP_1)
	v_mul_hi_u32 v20, v19, v15
	v_mul_lo_u32 v20, v20, s41
	s_delay_alu instid0(VALU_DEP_1) | instskip(NEXT) | instid1(VALU_DEP_1)
	v_sub_nc_u32_e32 v19, v19, v20
	v_subrev_nc_u32_e32 v20, s41, v19
	v_cmp_le_u32_e64 s1, s41, v19
	s_delay_alu instid0(VALU_DEP_1) | instskip(NEXT) | instid1(VALU_DEP_1)
	v_cndmask_b32_e64 v19, v19, v20, s1
	v_subrev_nc_u32_e32 v20, s41, v19
	v_cmp_le_u32_e64 s1, s41, v19
	s_delay_alu instid0(VALU_DEP_1) | instskip(NEXT) | instid1(VALU_DEP_1)
	v_cndmask_b32_e64 v19, v19, v20, s1
	v_xor_b32_e32 v19, v19, v18
	s_delay_alu instid0(VALU_DEP_1) | instskip(NEXT) | instid1(VALU_DEP_1)
	v_sub_nc_u32_e32 v18, v19, v18
	v_cmp_ne_u32_e64 s1, 0, v18
	s_delay_alu instid0(VALU_DEP_1) | instskip(NEXT) | instid1(SALU_CYCLE_1)
	s_and_b32 s1, s1, s3
	s_and_b32 s44, vcc_lo, s1
	s_delay_alu instid0(SALU_CYCLE_1)
	s_and_saveexec_b32 s3, s44
	s_cbranch_execz .LBB34_15
; %bb.14:                               ;   in Loop: Header=BB34_13 Depth=1
	ds_store_b32 v12, v9
.LBB34_15:                              ;   in Loop: Header=BB34_13 Depth=1
	s_or_b32 exec_lo, exec_lo, s3
	s_xor_b32 s1, s1, -1
	s_delay_alu instid0(SALU_CYCLE_1)
	s_and_saveexec_b32 s3, s1
	s_cbranch_execz .LBB34_12
; %bb.16:                               ;   in Loop: Header=BB34_13 Depth=1
	global_load_b32 v19, v[1:2], off
	s_waitcnt vmcnt(0)
	v_mad_i64_i32 v[17:18], null, v19, s43, 0
	s_delay_alu instid0(VALU_DEP_1) | instskip(NEXT) | instid1(VALU_DEP_1)
	v_lshlrev_b64 v[17:18], 2, v[17:18]
	v_add_co_u32 v17, s1, v13, v17
	s_delay_alu instid0(VALU_DEP_1)
	v_add_co_ci_u32_e64 v18, s1, v14, v18, s1
	s_clause 0xe
	global_load_b64 v[28:29], v[17:18], off offset:256
	global_load_b64 v[30:31], v[17:18], off offset:512
	;; [unrolled: 1-line block ×3, first 2 shown]
	global_load_b64 v[34:35], v[17:18], off
	global_load_b64 v[36:37], v[17:18], off offset:1024
	global_load_b64 v[38:39], v[17:18], off offset:1280
	;; [unrolled: 1-line block ×11, first 2 shown]
	v_add_co_u32 v19, s1, v17, 0x2000
	s_delay_alu instid0(VALU_DEP_1) | instskip(SKIP_4) | instid1(VALU_DEP_1)
	v_add_co_ci_u32_e64 v20, s1, 0, v18, s1
	s_clause 0x1
	global_load_b64 v[58:59], v[17:18], off offset:3840
	global_load_b64 v[60:61], v[19:20], off offset:-4096
	v_add_co_u32 v21, s1, 0x1000, v17
	v_add_co_ci_u32_e64 v22, s1, 0, v18, s1
	s_clause 0xf
	global_load_b64 v[62:63], v[21:22], off offset:256
	global_load_b64 v[64:65], v[21:22], off offset:512
	;; [unrolled: 1-line block ×15, first 2 shown]
	global_load_b64 v[92:93], v[19:20], off
	v_add_co_u32 v17, s1, 0x2000, v17
	s_delay_alu instid0(VALU_DEP_1)
	v_add_co_ci_u32_e64 v18, s1, 0, v18, s1
	s_clause 0xe
	global_load_b64 v[94:95], v[17:18], off offset:256
	global_load_b64 v[96:97], v[17:18], off offset:512
	;; [unrolled: 1-line block ×15, first 2 shown]
	ds_load_b128 v[17:20], v7
	ds_load_b128 v[21:24], v7 offset:16
	v_cmp_gt_i32_e64 s1, 32, v10
	s_waitcnt vmcnt(47) lgkmcnt(1)
	v_dual_mul_f32 v100, v19, v28 :: v_dual_mul_f32 v29, v20, v29
	ds_load_b128 v[25:28], v7 offset:32
	s_waitcnt vmcnt(44)
	v_dual_fmac_f32 v100, v17, v34 :: v_dual_fmac_f32 v29, v18, v35
	ds_load_b128 v[17:20], v7 offset:48
	s_waitcnt lgkmcnt(2)
	v_dual_fmac_f32 v100, v21, v30 :: v_dual_fmac_f32 v29, v22, v31
	s_delay_alu instid0(VALU_DEP_1) | instskip(SKIP_4) | instid1(VALU_DEP_1)
	v_dual_fmac_f32 v100, v23, v32 :: v_dual_fmac_f32 v29, v24, v33
	ds_load_b128 v[21:24], v7 offset:64
	s_waitcnt vmcnt(43) lgkmcnt(2)
	v_dual_fmac_f32 v100, v25, v36 :: v_dual_fmac_f32 v29, v26, v37
	s_waitcnt vmcnt(42)
	v_dual_fmac_f32 v100, v27, v38 :: v_dual_fmac_f32 v29, v28, v39
	ds_load_b128 v[25:28], v7 offset:80
	s_waitcnt vmcnt(41) lgkmcnt(2)
	v_dual_fmac_f32 v100, v17, v40 :: v_dual_fmac_f32 v29, v18, v41
	s_waitcnt vmcnt(40)
	s_delay_alu instid0(VALU_DEP_1) | instskip(SKIP_4) | instid1(VALU_DEP_1)
	v_dual_fmac_f32 v100, v19, v42 :: v_dual_fmac_f32 v29, v20, v43
	ds_load_b128 v[17:20], v7 offset:96
	s_waitcnt vmcnt(39) lgkmcnt(2)
	v_dual_fmac_f32 v100, v21, v44 :: v_dual_fmac_f32 v29, v22, v45
	s_waitcnt vmcnt(38)
	v_dual_fmac_f32 v100, v23, v46 :: v_dual_fmac_f32 v29, v24, v47
	ds_load_b128 v[21:24], v7 offset:112
	s_waitcnt vmcnt(37) lgkmcnt(2)
	v_dual_fmac_f32 v100, v25, v48 :: v_dual_fmac_f32 v29, v26, v49
	s_waitcnt vmcnt(36)
	;; [unrolled: 11-line block ×9, first 2 shown]
	s_delay_alu instid0(VALU_DEP_1) | instskip(SKIP_4) | instid1(VALU_DEP_1)
	v_dual_fmac_f32 v100, v112, v23 :: v_dual_fmac_f32 v29, v113, v24
	ds_load_b128 v[21:24], v7 offset:352
	s_waitcnt vmcnt(7) lgkmcnt(2)
	v_dual_fmac_f32 v100, v114, v25 :: v_dual_fmac_f32 v29, v115, v26
	s_waitcnt vmcnt(6)
	v_dual_fmac_f32 v100, v116, v27 :: v_dual_fmac_f32 v29, v117, v28
	ds_load_b128 v[25:28], v7 offset:368
	s_waitcnt vmcnt(5) lgkmcnt(2)
	v_dual_fmac_f32 v100, v118, v17 :: v_dual_fmac_f32 v29, v119, v18
	v_cndmask_b32_e64 v17, v4, v10, s1
	s_waitcnt vmcnt(4)
	s_delay_alu instid0(VALU_DEP_2) | instskip(NEXT) | instid1(VALU_DEP_2)
	v_dual_fmac_f32 v100, v120, v19 :: v_dual_fmac_f32 v29, v121, v20
	v_lshlrev_b32_e32 v18, 2, v17
	s_waitcnt vmcnt(3) lgkmcnt(1)
	s_delay_alu instid0(VALU_DEP_2) | instskip(SKIP_1) | instid1(VALU_DEP_1)
	v_dual_fmac_f32 v100, v122, v21 :: v_dual_fmac_f32 v29, v123, v22
	s_waitcnt vmcnt(2)
	v_dual_fmac_f32 v100, v124, v23 :: v_dual_fmac_f32 v29, v125, v24
	s_waitcnt vmcnt(1) lgkmcnt(0)
	s_delay_alu instid0(VALU_DEP_1) | instskip(SKIP_1) | instid1(VALU_DEP_1)
	v_dual_fmac_f32 v100, v126, v25 :: v_dual_fmac_f32 v29, v127, v26
	s_waitcnt vmcnt(0)
	v_dual_fmac_f32 v100, v128, v27 :: v_dual_fmac_f32 v29, v129, v28
	s_delay_alu instid0(VALU_DEP_1)
	v_add_f32_e32 v17, v100, v29
	ds_bpermute_b32 v18, v18, v17
	s_and_saveexec_b32 s44, vcc_lo
	s_cbranch_execz .LBB34_11
; %bb.17:                               ;   in Loop: Header=BB34_13 Depth=1
	s_waitcnt lgkmcnt(0)
	v_add_f32_e32 v17, v17, v18
	v_add_nc_u32_e32 v19, v11, v8
	s_delay_alu instid0(VALU_DEP_1) | instskip(NEXT) | instid1(VALU_DEP_1)
	v_cvt_f32_i32_e32 v19, v19
	v_mul_f32_e32 v19, s40, v19
	s_delay_alu instid0(VALU_DEP_1) | instskip(SKIP_1) | instid1(VALU_DEP_2)
	v_cndmask_b32_e64 v18, 0, v19, s0
	v_max_f32_e32 v19, v5, v5
	v_dual_fmac_f32 v18, s37, v17 :: v_dual_add_nc_u32 v17, v6, v8
	s_delay_alu instid0(VALU_DEP_1) | instskip(NEXT) | instid1(VALU_DEP_2)
	v_max_f32_e32 v19, v19, v18
	v_cmp_gt_i32_e64 s1, s15, v17
	s_delay_alu instid0(VALU_DEP_1) | instskip(NEXT) | instid1(VALU_DEP_3)
	v_cndmask_b32_e64 v17, 0, v18, s1
	v_cndmask_b32_e64 v5, v5, v19, s1
	ds_store_b32 v12, v17
	s_branch .LBB34_11
.LBB34_18:
	s_or_b32 exec_lo, exec_lo, s42
.LBB34_19:
	s_delay_alu instid0(SALU_CYCLE_1) | instskip(SKIP_3) | instid1(VALU_DEP_3)
	s_or_b32 exec_lo, exec_lo, s6
	v_xor_b32_e32 v1, 16, v4
	v_xor_b32_e32 v6, 8, v4
	v_dual_max_f32 v7, v5, v5 :: v_dual_and_b32 v106, 31, v0
	v_cmp_gt_i32_e32 vcc_lo, 32, v1
	v_cndmask_b32_e32 v1, v4, v1, vcc_lo
	s_delay_alu instid0(VALU_DEP_4) | instskip(NEXT) | instid1(VALU_DEP_2)
	v_cmp_gt_i32_e32 vcc_lo, 32, v6
	v_lshlrev_b32_e32 v2, 2, v1
	ds_bpermute_b32 v1, v2, v5
	v_cndmask_b32_e32 v5, v4, v6, vcc_lo
	s_delay_alu instid0(VALU_DEP_1) | instskip(SKIP_2) | instid1(VALU_DEP_1)
	v_lshlrev_b32_e32 v5, 2, v5
	s_waitcnt lgkmcnt(0)
	v_max_f32_e32 v1, v1, v1
	v_max_f32_e32 v1, v7, v1
	v_xor_b32_e32 v7, 4, v4
	ds_bpermute_b32 v6, v5, v1
	v_cmp_gt_i32_e32 vcc_lo, 32, v7
	s_waitcnt lgkmcnt(0)
	v_dual_cndmask_b32 v7, v4, v7 :: v_dual_max_f32 v8, v6, v6
	s_delay_alu instid0(VALU_DEP_1)
	v_dual_max_f32 v1, v1, v8 :: v_dual_lshlrev_b32 v6, 2, v7
	v_xor_b32_e32 v8, 2, v4
	ds_bpermute_b32 v7, v6, v1
	v_cmp_gt_i32_e32 vcc_lo, 32, v8
	v_cndmask_b32_e32 v8, v4, v8, vcc_lo
	v_cmp_eq_u32_e32 vcc_lo, 0, v106
	s_delay_alu instid0(VALU_DEP_2) | instskip(SKIP_2) | instid1(VALU_DEP_1)
	v_lshlrev_b32_e32 v107, 2, v8
	s_waitcnt lgkmcnt(0)
	v_max_f32_e32 v7, v7, v7
	v_max_f32_e32 v1, v1, v7
	v_lshlrev_b32_e32 v7, 2, v104
	ds_bpermute_b32 v8, v107, v1
	s_and_saveexec_b32 s0, vcc_lo
	s_cbranch_execz .LBB34_21
; %bb.20:
	s_waitcnt lgkmcnt(0)
	v_dual_max_f32 v8, v8, v8 :: v_dual_max_f32 v1, v1, v1
	s_delay_alu instid0(VALU_DEP_1)
	v_max_f32_e32 v1, v1, v8
	ds_store_b32 v7, v1 offset:768
.LBB34_21:
	s_or_b32 exec_lo, exec_lo, s0
	v_cmp_gt_u32_e64 s0, 4, v106
	s_waitcnt lgkmcnt(0)
	v_dual_mov_b32 v1, 0xff7fffff :: v_dual_lshlrev_b32 v8, 2, v106
	s_barrier
	buffer_gl0_inv
	s_and_saveexec_b32 s1, s0
	s_cbranch_execz .LBB34_23
; %bb.22:
	ds_load_b32 v1, v8 offset:768
.LBB34_23:
	s_or_b32 exec_lo, exec_lo, s1
	s_waitcnt lgkmcnt(0)
	ds_bpermute_b32 v9, v107, v1
	v_xor_b32_e32 v10, 1, v4
	s_delay_alu instid0(VALU_DEP_1) | instskip(NEXT) | instid1(VALU_DEP_1)
	v_cmp_gt_i32_e64 s1, 32, v10
	v_cndmask_b32_e64 v4, v4, v10, s1
	v_max_f32_e32 v1, v1, v1
	s_sub_i32 s1, s8, s7
	s_delay_alu instid0(SALU_CYCLE_1) | instskip(NEXT) | instid1(VALU_DEP_2)
	s_lshl_b32 s1, s1, 4
	v_lshlrev_b32_e32 v108, 2, v4
	s_add_i32 s1, s1, s38
	s_delay_alu instid0(SALU_CYCLE_1) | instskip(SKIP_3) | instid1(SALU_CYCLE_1)
	s_min_i32 s1, s1, s15
	s_waitcnt lgkmcnt(0)
	v_max_f32_e32 v9, v9, v9
	s_sub_i32 s6, s1, s38
	v_cmp_gt_i32_e64 s1, s6, v0
	s_delay_alu instid0(VALU_DEP_2) | instskip(SKIP_4) | instid1(VALU_DEP_1)
	v_max_f32_e32 v1, v1, v9
	v_mov_b32_e32 v9, 0
	ds_bpermute_b32 v4, v108, v1
	s_waitcnt lgkmcnt(0)
	v_max_f32_e32 v4, v4, v4
	v_max_f32_e32 v1, v1, v4
	v_lshl_add_u32 v4, v0, 2, 0x320
	ds_bpermute_b32 v1, v9, v1
	s_and_saveexec_b32 s7, s1
	s_cbranch_execz .LBB34_27
; %bb.24:
	v_lshl_add_u32 v10, v0, 2, 0x320
	v_mov_b32_e32 v9, 0
	v_mov_b32_e32 v11, v0
	s_mov_b32 s35, 0
	.p2align	6
.LBB34_25:                              ; =>This Inner Loop Header: Depth=1
	ds_load_b32 v12, v10
	v_add_nc_u32_e32 v11, 0x80, v11
	s_delay_alu instid0(VALU_DEP_1) | instskip(NEXT) | instid1(VALU_DEP_1)
	v_cmp_le_i32_e64 s3, s6, v11
	s_or_b32 s35, s3, s35
	s_waitcnt lgkmcnt(0)
	v_sub_f32_e32 v12, v12, v1
	s_delay_alu instid0(VALU_DEP_1) | instskip(NEXT) | instid1(VALU_DEP_1)
	v_mul_f32_e32 v12, 0x3fb8aa3b, v12
	v_exp_f32_e32 v12, v12
	ds_store_b32 v10, v12
	v_dual_add_f32 v9, v9, v12 :: v_dual_add_nc_u32 v10, 0x200, v10
	s_and_not1_b32 exec_lo, exec_lo, s35
	s_cbranch_execnz .LBB34_25
; %bb.26:
	s_or_b32 exec_lo, exec_lo, s35
.LBB34_27:
	s_delay_alu instid0(SALU_CYCLE_1)
	s_or_b32 exec_lo, exec_lo, s7
	ds_bpermute_b32 v2, v2, v9
	s_waitcnt lgkmcnt(0)
	v_add_f32_e32 v2, v9, v2
	ds_bpermute_b32 v5, v5, v2
	s_waitcnt lgkmcnt(0)
	v_add_f32_e32 v2, v2, v5
	;; [unrolled: 3-line block ×5, first 2 shown]
	s_and_saveexec_b32 s3, vcc_lo
	s_cbranch_execz .LBB34_29
; %bb.28:
	ds_store_b32 v7, v2 offset:784
.LBB34_29:
	s_or_b32 exec_lo, exec_lo, s3
	s_waitcnt lgkmcnt(0)
	s_barrier
	buffer_gl0_inv
	s_and_saveexec_b32 s3, s0
	s_cbranch_execz .LBB34_31
; %bb.30:
	ds_load_b32 v2, v8 offset:784
.LBB34_31:
	s_or_b32 exec_lo, exec_lo, s3
	s_waitcnt lgkmcnt(0)
	ds_bpermute_b32 v5, v107, v2
	s_waitcnt lgkmcnt(0)
	v_add_f32_e32 v2, v2, v5
	ds_bpermute_b32 v5, v108, v2
	s_waitcnt lgkmcnt(0)
	v_dual_add_f32 v2, v2, v5 :: v_dual_mov_b32 v5, 0
	ds_bpermute_b32 v2, v5, v2
	s_and_saveexec_b32 s0, s1
	s_cbranch_execz .LBB34_34
; %bb.32:
	s_waitcnt lgkmcnt(0)
	v_add_f32_e32 v5, 0x358637bd, v2
	s_mov_b32 s1, 0
	s_delay_alu instid0(VALU_DEP_1) | instskip(SKIP_1) | instid1(VALU_DEP_2)
	v_div_scale_f32 v6, null, v5, v5, 1.0
	v_div_scale_f32 v9, vcc_lo, 1.0, v5, 1.0
	v_rcp_f32_e32 v7, v6
	s_waitcnt_depctr 0xfff
	v_fma_f32 v8, -v6, v7, 1.0
	s_delay_alu instid0(VALU_DEP_1) | instskip(NEXT) | instid1(VALU_DEP_1)
	v_fmac_f32_e32 v7, v8, v7
	v_mul_f32_e32 v8, v9, v7
	s_delay_alu instid0(VALU_DEP_1) | instskip(NEXT) | instid1(VALU_DEP_1)
	v_fma_f32 v10, -v6, v8, v9
	v_fmac_f32_e32 v8, v10, v7
	s_delay_alu instid0(VALU_DEP_1) | instskip(NEXT) | instid1(VALU_DEP_1)
	v_fma_f32 v6, -v6, v8, v9
	v_div_fmas_f32 v6, v6, v7, v8
	s_delay_alu instid0(VALU_DEP_1)
	v_div_fixup_f32 v5, v6, v5, 1.0
	v_mov_b32_e32 v6, v0
.LBB34_33:                              ; =>This Inner Loop Header: Depth=1
	ds_load_b32 v7, v4
	s_waitcnt lgkmcnt(0)
	v_dual_mul_f32 v7, v5, v7 :: v_dual_add_nc_u32 v6, 0x80, v6
	s_delay_alu instid0(VALU_DEP_1) | instskip(SKIP_3) | instid1(SALU_CYCLE_1)
	v_cmp_le_i32_e32 vcc_lo, s6, v6
	ds_store_b32 v4, v7
	v_add_nc_u32_e32 v4, 0x200, v4
	s_or_b32 s1, vcc_lo, s1
	s_and_not1_b32 exec_lo, exec_lo, s1
	s_cbranch_execnz .LBB34_33
.LBB34_34:
	s_or_b32 exec_lo, exec_lo, s0
	s_mul_i32 s0, s4, s14
	s_waitcnt lgkmcnt(0)
	s_mul_i32 s6, s0, s13
	s_mov_b32 s0, exec_lo
	s_barrier
	buffer_gl0_inv
	v_cmpx_eq_u32_e32 0, v0
	s_cbranch_execz .LBB34_36
; %bb.35:
	s_ashr_i32 s7, s6, 31
	s_mul_i32 s42, s4, s24
	s_lshl_b64 s[40:41], s[6:7], 2
	v_mov_b32_e32 v4, 0
	s_add_u32 s1, s18, s40
	s_addc_u32 s3, s19, s41
	s_ashr_i32 s43, s42, 31
	s_delay_alu instid0(SALU_CYCLE_1) | instskip(NEXT) | instid1(SALU_CYCLE_1)
	s_lshl_b64 s[18:19], s[42:43], 2
	s_add_u32 s1, s1, s18
	s_addc_u32 s3, s3, s19
	s_ashr_i32 s13, s12, 31
	s_delay_alu instid0(SALU_CYCLE_1) | instskip(NEXT) | instid1(SALU_CYCLE_1)
	s_lshl_b64 s[42:43], s[12:13], 2
	s_add_u32 s44, s1, s42
	s_addc_u32 s45, s3, s43
	s_add_u32 s1, s16, s40
	s_addc_u32 s3, s17, s41
	;; [unrolled: 2-line block ×4, first 2 shown]
	s_clause 0x1
	global_store_b32 v4, v1, s[44:45]
	global_store_b32 v4, v2, s[16:17]
.LBB34_36:
	s_or_b32 exec_lo, exec_lo, s0
	v_dual_mov_b32 v132, 0 :: v_dual_and_b32 v109, 3, v0
	v_dual_mov_b32 v133, 0 :: v_dual_mov_b32 v130, 0
	v_dual_mov_b32 v131, 0 :: v_dual_mov_b32 v128, 0
	;; [unrolled: 1-line block ×11, first 2 shown]
	v_mov_b32_e32 v111, 0
	s_mov_b32 s3, 0
	s_and_saveexec_b32 s1, s2
	s_cbranch_execz .LBB34_90
; %bb.37:
	s_ashr_i32 s35, s34, 31
	s_sub_i32 s2, s39, s9
	s_lshl_b64 s[16:17], s[34:35], 2
	v_dual_mov_b32 v111, 0 :: v_dual_and_b32 v134, 12, v3
	s_add_u32 s7, s30, s16
	s_addc_u32 s9, s31, s17
	s_abs_i32 s10, s10
	v_dual_mov_b32 v110, 0 :: v_dual_and_b32 v3, 0x7c, v3
	v_cvt_f32_u32_e32 v4, s10
	s_sub_i32 s0, 0, s10
	v_lshlrev_b64 v[1:2], 2, v[101:102]
	s_delay_alu instid0(VALU_DEP_3)
	v_or_b32_e32 v6, 0x400, v3
	v_or_b32_e32 v7, 0x480, v3
	v_rcp_iflag_f32_e32 v4, v4
	v_lshlrev_b32_e32 v5, 4, v109
	v_or_b32_e32 v8, 0x500, v3
	v_or_b32_e32 v9, 0x580, v3
	;; [unrolled: 1-line block ×8, first 2 shown]
	v_mul_f32_e32 v4, 0x4f7ffffe, v4
	v_or_b32_e32 v16, 0x900, v3
	v_or_b32_e32 v17, 0x980, v3
	;; [unrolled: 1-line block ×4, first 2 shown]
	v_cvt_u32_f32_e32 v4, v4
	v_or_b32_e32 v20, 0xb00, v3
	v_or_b32_e32 v22, 0xb80, v3
	v_dual_mov_b32 v112, 0 :: v_dual_lshlrev_b32 v135, 2, v3
	s_delay_alu instid0(VALU_DEP_4)
	v_mul_lo_u32 v21, s0, v4
	s_lshl_b64 s[16:17], s[28:29], 2
	s_add_i32 s13, s36, -1
	v_lshl_or_b32 v5, v104, 6, v5
	s_add_u32 s0, s26, s16
	s_addc_u32 s14, s27, s17
	v_add_co_u32 v102, vcc_lo, s0, v1
	s_delay_alu instid0(VALU_DEP_3)
	v_mul_hi_u32 v3, v4, v21
	v_dual_mov_b32 v113, 0 :: v_dual_add_nc_u32 v136, 0x320, v5
	v_dual_mov_b32 v114, 0 :: v_dual_lshlrev_b32 v137, 2, v6
	v_dual_mov_b32 v115, 0 :: v_dual_lshlrev_b32 v138, 2, v7
	;; [unrolled: 1-line block ×3, first 2 shown]
	v_add_co_ci_u32_e32 v103, vcc_lo, s14, v2, vcc_lo
	v_dual_mov_b32 v117, 0 :: v_dual_add_nc_u32 v140, v4, v3
	v_dual_mov_b32 v118, 0 :: v_dual_lshlrev_b32 v141, 2, v9
	v_dual_mov_b32 v119, 0 :: v_dual_lshlrev_b32 v142, 2, v10
	;; [unrolled: 1-line block ×13, first 2 shown]
	v_dual_mov_b32 v131, 0 :: v_dual_mov_b32 v132, 0
	v_mov_b32_e32 v133, 0
	s_branch .LBB34_40
.LBB34_38:                              ;   in Loop: Header=BB34_40 Depth=1
	s_or_b32 exec_lo, exec_lo, s0
	s_waitcnt vmcnt(9) lgkmcnt(0)
	v_mul_f32_e32 v62, v2, v62
	s_waitcnt vmcnt(5)
	v_mul_f32_e32 v78, v2, v78
	v_mul_f32_e32 v54, v2, v54
	;; [unrolled: 1-line block ×3, first 2 shown]
	s_waitcnt vmcnt(3)
	v_mul_f32_e32 v90, v2, v90
	v_fmac_f32_e32 v62, v1, v61
	v_fmac_f32_e32 v78, v1, v77
	;; [unrolled: 1-line block ×3, first 2 shown]
	v_mul_f32_e32 v30, v2, v30
	v_fmac_f32_e32 v14, v1, v13
	v_fmac_f32_e32 v62, v3, v63
	s_waitcnt vmcnt(1)
	v_mul_f32_e32 v98, v2, v98
	v_fmac_f32_e32 v78, v3, v79
	v_mul_f32_e32 v46, v2, v46
	v_fmac_f32_e32 v54, v3, v55
	v_fmac_f32_e32 v62, v4, v64
	v_fmac_f32_e32 v90, v1, v89
	v_fmac_f32_e32 v30, v1, v29
	v_fmac_f32_e32 v14, v3, v15
	v_mul_f32_e32 v70, v2, v70
	v_dual_add_f32 v119, v119, v62 :: v_dual_fmac_f32 v78, v4, v80
	v_fmac_f32_e32 v98, v1, v97
	v_fmac_f32_e32 v46, v1, v45
	;; [unrolled: 1-line block ×4, first 2 shown]
	v_mul_f32_e32 v38, v2, v38
	v_fmac_f32_e32 v30, v3, v31
	s_delay_alu instid0(VALU_DEP_4) | instskip(SKIP_2) | instid1(VALU_DEP_3)
	v_dual_fmac_f32 v14, v4, v16 :: v_dual_add_f32 v121, v121, v54
	v_mul_f32_e32 v94, v2, v94
	v_mul_f32_e32 v86, v2, v86
	v_dual_fmac_f32 v90, v4, v92 :: v_dual_add_f32 v131, v131, v14
	v_mul_f32_e32 v74, v2, v74
	v_mul_f32_e32 v66, v2, v66
	v_dual_fmac_f32 v70, v1, v69 :: v_dual_add_f32 v115, v115, v78
	s_delay_alu instid0(VALU_DEP_4)
	v_dual_fmac_f32 v98, v3, v99 :: v_dual_add_f32 v113, v113, v90
	v_mul_f32_e32 v58, v2, v58
	v_mul_f32_e32 v50, v2, v50
	;; [unrolled: 1-line block ×3, first 2 shown]
	v_fmac_f32_e32 v46, v3, v47
	v_mul_f32_e32 v34, v2, v34
	v_mul_f32_e32 v26, v2, v26
	;; [unrolled: 1-line block ×3, first 2 shown]
	v_fmac_f32_e32 v38, v1, v37
	v_fmac_f32_e32 v30, v4, v32
	v_mul_f32_e32 v18, v2, v18
	v_mul_f32_e32 v10, v2, v10
	;; [unrolled: 1-line block ×3, first 2 shown]
	s_waitcnt vmcnt(0)
	v_mul_f32_e32 v2, v2, v82
	v_dual_fmac_f32 v98, v4, v100 :: v_dual_add_f32 v127, v127, v30
	v_fmac_f32_e32 v94, v1, v93
	v_fmac_f32_e32 v74, v1, v73
	s_delay_alu instid0(VALU_DEP_3)
	v_dual_fmac_f32 v66, v1, v65 :: v_dual_add_f32 v111, v111, v98
	v_fmac_f32_e32 v70, v3, v71
	v_fmac_f32_e32 v58, v1, v57
	v_fmac_f32_e32 v50, v1, v49
	v_fmac_f32_e32 v42, v1, v41
	v_fmac_f32_e32 v46, v4, v48
	v_fmac_f32_e32 v86, v1, v85
	v_fmac_f32_e32 v34, v1, v33
	v_fmac_f32_e32 v26, v1, v25
	s_delay_alu instid0(VALU_DEP_4)
	v_dual_fmac_f32 v22, v1, v21 :: v_dual_add_f32 v123, v123, v46
	v_fmac_f32_e32 v38, v3, v39
	v_fmac_f32_e32 v18, v1, v17
	;; [unrolled: 1-line block ×11, first 2 shown]
	s_delay_alu instid0(VALU_DEP_4)
	v_dual_fmac_f32 v42, v3, v43 :: v_dual_add_f32 v117, v117, v70
	v_fmac_f32_e32 v34, v3, v35
	v_fmac_f32_e32 v26, v3, v27
	;; [unrolled: 1-line block ×7, first 2 shown]
	s_delay_alu instid0(VALU_DEP_4)
	v_dual_fmac_f32 v6, v3, v7 :: v_dual_add_f32 v125, v125, v38
	v_fmac_f32_e32 v2, v3, v83
	v_fmac_f32_e32 v74, v4, v76
	;; [unrolled: 1-line block ×15, first 2 shown]
	v_add_f32_e32 v116, v116, v74
	v_add_f32_e32 v133, v133, v10
	;; [unrolled: 1-line block ×14, first 2 shown]
.LBB34_39:                              ;   in Loop: Header=BB34_40 Depth=1
	s_or_b32 exec_lo, exec_lo, s14
	v_add_nc_u32_e32 v101, 4, v101
	v_add_co_u32 v102, s0, v102, 16
	s_delay_alu instid0(VALU_DEP_1) | instskip(NEXT) | instid1(VALU_DEP_3)
	v_add_co_ci_u32_e64 v103, s0, 0, v103, s0
	v_cmp_le_i32_e32 vcc_lo, s8, v101
	v_add_nc_u32_e32 v105, 64, v105
	v_add_nc_u32_e32 v136, 0x100, v136
	s_or_b32 s3, vcc_lo, s3
	s_delay_alu instid0(SALU_CYCLE_1)
	s_and_not1_b32 exec_lo, exec_lo, s3
	s_cbranch_execz .LBB34_89
.LBB34_40:                              ; =>This Inner Loop Header: Depth=1
	v_sub_nc_u32_e32 v1, 0, v105
	s_delay_alu instid0(VALU_DEP_1) | instskip(NEXT) | instid1(VALU_DEP_1)
	v_max_i32_e32 v1, v105, v1
	v_mul_hi_u32 v2, v1, s25
	s_delay_alu instid0(VALU_DEP_1) | instskip(NEXT) | instid1(VALU_DEP_1)
	v_mul_lo_u32 v3, v2, s21
	v_sub_nc_u32_e32 v1, v1, v3
	v_add_nc_u32_e32 v3, 1, v2
	s_delay_alu instid0(VALU_DEP_2) | instskip(SKIP_1) | instid1(VALU_DEP_2)
	v_subrev_nc_u32_e32 v4, s21, v1
	v_cmp_le_u32_e32 vcc_lo, s21, v1
	v_dual_cndmask_b32 v2, v2, v3 :: v_dual_cndmask_b32 v1, v1, v4
	v_ashrrev_i32_e32 v3, 31, v105
	s_delay_alu instid0(VALU_DEP_2) | instskip(NEXT) | instid1(VALU_DEP_3)
	v_add_nc_u32_e32 v4, 1, v2
	v_cmp_le_u32_e32 vcc_lo, s21, v1
	s_delay_alu instid0(VALU_DEP_3) | instskip(NEXT) | instid1(VALU_DEP_3)
	v_xor_b32_e32 v3, s11, v3
	v_cndmask_b32_e32 v1, v2, v4, vcc_lo
	s_delay_alu instid0(VALU_DEP_1) | instskip(NEXT) | instid1(VALU_DEP_1)
	v_xor_b32_e32 v1, v1, v3
	v_sub_nc_u32_e32 v1, v1, v3
	s_delay_alu instid0(VALU_DEP_1) | instskip(SKIP_1) | instid1(VALU_DEP_2)
	v_add_nc_u32_e32 v2, s33, v1
	v_cmp_lt_i32_e64 s0, s2, v1
	v_sub_nc_u32_e32 v3, 0, v2
	s_delay_alu instid0(VALU_DEP_1) | instskip(NEXT) | instid1(VALU_DEP_1)
	v_max_i32_e32 v3, v2, v3
	v_mul_hi_u32 v4, v3, v140
	s_delay_alu instid0(VALU_DEP_1) | instskip(NEXT) | instid1(VALU_DEP_1)
	v_mul_lo_u32 v4, v4, s10
	v_sub_nc_u32_e32 v3, v3, v4
	s_delay_alu instid0(VALU_DEP_1) | instskip(SKIP_1) | instid1(VALU_DEP_2)
	v_subrev_nc_u32_e32 v4, s10, v3
	v_cmp_le_u32_e32 vcc_lo, s10, v3
	v_cndmask_b32_e32 v3, v3, v4, vcc_lo
	v_ashrrev_i32_e32 v2, 31, v2
	s_delay_alu instid0(VALU_DEP_2) | instskip(SKIP_1) | instid1(VALU_DEP_2)
	v_subrev_nc_u32_e32 v4, s10, v3
	v_cmp_le_u32_e32 vcc_lo, s10, v3
	v_cndmask_b32_e32 v3, v3, v4, vcc_lo
	s_delay_alu instid0(VALU_DEP_1) | instskip(NEXT) | instid1(VALU_DEP_1)
	v_xor_b32_e32 v3, v3, v2
	v_sub_nc_u32_e32 v2, v3, v2
	s_delay_alu instid0(VALU_DEP_1) | instskip(SKIP_1) | instid1(SALU_CYCLE_1)
	v_cmp_eq_u32_e32 vcc_lo, 0, v2
	s_or_b32 s0, vcc_lo, s0
	s_and_saveexec_b32 s14, s0
	s_cbranch_execz .LBB34_39
; %bb.41:                               ;   in Loop: Header=BB34_40 Depth=1
	global_load_b32 v3, v[102:103], off
	v_add_nc_u32_e32 v154, v134, v105
	s_delay_alu instid0(VALU_DEP_1) | instskip(SKIP_4) | instid1(VALU_DEP_1)
	v_add_nc_u32_e32 v157, 1, v154
	v_add_nc_u32_e32 v156, 2, v154
	;; [unrolled: 1-line block ×3, first 2 shown]
	s_waitcnt vmcnt(0)
	v_mad_i64_i32 v[1:2], null, v3, s5, 0
	v_lshlrev_b64 v[1:2], 2, v[1:2]
	s_delay_alu instid0(VALU_DEP_1) | instskip(NEXT) | instid1(VALU_DEP_2)
	v_add_co_u32 v81, vcc_lo, s7, v1
	v_add_co_ci_u32_e32 v82, vcc_lo, s9, v2, vcc_lo
	ds_load_b128 v[1:4], v136
	v_add_co_u32 v33, vcc_lo, v81, v135
	v_add_co_ci_u32_e32 v34, vcc_lo, 0, v82, vcc_lo
	v_cmp_eq_u32_e32 vcc_lo, s13, v101
	global_load_b128 v[5:8], v[33:34], off
	s_and_saveexec_b32 s16, vcc_lo
	s_cbranch_execnz .LBB34_82
; %bb.42:                               ;   in Loop: Header=BB34_40 Depth=1
	s_or_b32 exec_lo, exec_lo, s16
	global_load_b128 v[9:12], v[33:34], off offset:512
	s_and_saveexec_b32 s16, vcc_lo
	s_cbranch_execnz .LBB34_83
.LBB34_43:                              ;   in Loop: Header=BB34_40 Depth=1
	s_or_b32 exec_lo, exec_lo, s16
	global_load_b128 v[13:16], v[33:34], off offset:1024
	s_and_saveexec_b32 s16, vcc_lo
	s_cbranch_execnz .LBB34_84
.LBB34_44:                              ;   in Loop: Header=BB34_40 Depth=1
	s_or_b32 exec_lo, exec_lo, s16
	global_load_b128 v[17:20], v[33:34], off offset:1536
	s_and_saveexec_b32 s16, vcc_lo
	s_cbranch_execnz .LBB34_85
.LBB34_45:                              ;   in Loop: Header=BB34_40 Depth=1
	s_or_b32 exec_lo, exec_lo, s16
	global_load_b128 v[21:24], v[33:34], off offset:2048
	s_and_saveexec_b32 s16, vcc_lo
	s_cbranch_execnz .LBB34_86
.LBB34_46:                              ;   in Loop: Header=BB34_40 Depth=1
	s_or_b32 exec_lo, exec_lo, s16
	global_load_b128 v[25:28], v[33:34], off offset:2560
	s_and_saveexec_b32 s16, vcc_lo
	s_cbranch_execnz .LBB34_87
.LBB34_47:                              ;   in Loop: Header=BB34_40 Depth=1
	s_or_b32 exec_lo, exec_lo, s16
	global_load_b128 v[29:32], v[33:34], off offset:3072
	s_and_saveexec_b32 s16, vcc_lo
	s_cbranch_execnz .LBB34_88
.LBB34_48:                              ;   in Loop: Header=BB34_40 Depth=1
	s_or_b32 exec_lo, exec_lo, s16
	global_load_b128 v[33:36], v[33:34], off offset:3584
	s_and_saveexec_b32 s16, vcc_lo
	s_cbranch_execz .LBB34_50
.LBB34_49:                              ;   in Loop: Header=BB34_40 Depth=1
	v_cmp_gt_i32_e64 s0, s15, v154
	s_waitcnt vmcnt(0)
	s_delay_alu instid0(VALU_DEP_1) | instskip(SKIP_1) | instid1(VALU_DEP_1)
	v_cndmask_b32_e64 v33, 0, v33, s0
	v_cmp_gt_i32_e64 s0, s15, v157
	v_cndmask_b32_e64 v34, 0, v34, s0
	v_cmp_gt_i32_e64 s0, s15, v156
	s_delay_alu instid0(VALU_DEP_1) | instskip(SKIP_1) | instid1(VALU_DEP_1)
	v_cndmask_b32_e64 v35, 0, v35, s0
	v_cmp_gt_i32_e64 s0, s15, v155
	v_cndmask_b32_e64 v36, 0, v36, s0
.LBB34_50:                              ;   in Loop: Header=BB34_40 Depth=1
	s_or_b32 exec_lo, exec_lo, s16
	v_add_co_u32 v37, s0, v81, v137
	s_delay_alu instid0(VALU_DEP_1)
	v_add_co_ci_u32_e64 v38, s0, 0, v82, s0
	global_load_b128 v[37:40], v[37:38], off
	s_and_saveexec_b32 s16, vcc_lo
	s_cbranch_execz .LBB34_52
; %bb.51:                               ;   in Loop: Header=BB34_40 Depth=1
	v_cmp_gt_i32_e64 s0, s15, v154
	s_waitcnt vmcnt(0)
	s_delay_alu instid0(VALU_DEP_1) | instskip(SKIP_1) | instid1(VALU_DEP_1)
	v_cndmask_b32_e64 v37, 0, v37, s0
	v_cmp_gt_i32_e64 s0, s15, v157
	v_cndmask_b32_e64 v38, 0, v38, s0
	v_cmp_gt_i32_e64 s0, s15, v156
	s_delay_alu instid0(VALU_DEP_1) | instskip(SKIP_1) | instid1(VALU_DEP_1)
	v_cndmask_b32_e64 v39, 0, v39, s0
	v_cmp_gt_i32_e64 s0, s15, v155
	v_cndmask_b32_e64 v40, 0, v40, s0
.LBB34_52:                              ;   in Loop: Header=BB34_40 Depth=1
	s_or_b32 exec_lo, exec_lo, s16
	v_add_co_u32 v41, s0, v81, v138
	s_delay_alu instid0(VALU_DEP_1)
	v_add_co_ci_u32_e64 v42, s0, 0, v82, s0
	global_load_b128 v[41:44], v[41:42], off
	s_and_saveexec_b32 s16, vcc_lo
	s_cbranch_execz .LBB34_54
; %bb.53:                               ;   in Loop: Header=BB34_40 Depth=1
	v_cmp_gt_i32_e64 s0, s15, v154
	s_waitcnt vmcnt(0)
	s_delay_alu instid0(VALU_DEP_1) | instskip(SKIP_1) | instid1(VALU_DEP_1)
	v_cndmask_b32_e64 v41, 0, v41, s0
	v_cmp_gt_i32_e64 s0, s15, v157
	v_cndmask_b32_e64 v42, 0, v42, s0
	v_cmp_gt_i32_e64 s0, s15, v156
	s_delay_alu instid0(VALU_DEP_1) | instskip(SKIP_1) | instid1(VALU_DEP_1)
	v_cndmask_b32_e64 v43, 0, v43, s0
	v_cmp_gt_i32_e64 s0, s15, v155
	v_cndmask_b32_e64 v44, 0, v44, s0
.LBB34_54:                              ;   in Loop: Header=BB34_40 Depth=1
	;; [unrolled: 20-line block ×15, first 2 shown]
	s_or_b32 exec_lo, exec_lo, s16
	v_add_co_u32 v81, s0, v81, v153
	s_delay_alu instid0(VALU_DEP_1)
	v_add_co_ci_u32_e64 v82, s0, 0, v82, s0
	global_load_b128 v[81:84], v[81:82], off
	s_and_saveexec_b32 s0, vcc_lo
	s_cbranch_execz .LBB34_38
; %bb.81:                               ;   in Loop: Header=BB34_40 Depth=1
	v_cmp_gt_i32_e32 vcc_lo, s15, v154
	s_waitcnt vmcnt(0)
	v_cndmask_b32_e32 v81, 0, v81, vcc_lo
	v_cmp_gt_i32_e32 vcc_lo, s15, v157
	v_cndmask_b32_e32 v82, 0, v82, vcc_lo
	v_cmp_gt_i32_e32 vcc_lo, s15, v156
	;; [unrolled: 2-line block ×3, first 2 shown]
	v_cndmask_b32_e32 v84, 0, v84, vcc_lo
	s_branch .LBB34_38
.LBB34_82:                              ;   in Loop: Header=BB34_40 Depth=1
	v_cmp_gt_i32_e64 s0, s15, v154
	s_waitcnt vmcnt(0)
	s_delay_alu instid0(VALU_DEP_1) | instskip(SKIP_1) | instid1(VALU_DEP_1)
	v_cndmask_b32_e64 v5, 0, v5, s0
	v_cmp_gt_i32_e64 s0, s15, v157
	v_cndmask_b32_e64 v6, 0, v6, s0
	v_cmp_gt_i32_e64 s0, s15, v156
	s_delay_alu instid0(VALU_DEP_1) | instskip(SKIP_1) | instid1(VALU_DEP_1)
	v_cndmask_b32_e64 v7, 0, v7, s0
	v_cmp_gt_i32_e64 s0, s15, v155
	v_cndmask_b32_e64 v8, 0, v8, s0
	s_or_b32 exec_lo, exec_lo, s16
	global_load_b128 v[9:12], v[33:34], off offset:512
	s_and_saveexec_b32 s16, vcc_lo
	s_cbranch_execz .LBB34_43
.LBB34_83:                              ;   in Loop: Header=BB34_40 Depth=1
	v_cmp_gt_i32_e64 s0, s15, v154
	s_waitcnt vmcnt(0)
	s_delay_alu instid0(VALU_DEP_1) | instskip(SKIP_1) | instid1(VALU_DEP_1)
	v_cndmask_b32_e64 v9, 0, v9, s0
	v_cmp_gt_i32_e64 s0, s15, v157
	v_cndmask_b32_e64 v10, 0, v10, s0
	v_cmp_gt_i32_e64 s0, s15, v156
	s_delay_alu instid0(VALU_DEP_1) | instskip(SKIP_1) | instid1(VALU_DEP_1)
	v_cndmask_b32_e64 v11, 0, v11, s0
	v_cmp_gt_i32_e64 s0, s15, v155
	v_cndmask_b32_e64 v12, 0, v12, s0
	s_or_b32 exec_lo, exec_lo, s16
	global_load_b128 v[13:16], v[33:34], off offset:1024
	s_and_saveexec_b32 s16, vcc_lo
	s_cbranch_execz .LBB34_44
.LBB34_84:                              ;   in Loop: Header=BB34_40 Depth=1
	v_cmp_gt_i32_e64 s0, s15, v154
	s_waitcnt vmcnt(0)
	s_delay_alu instid0(VALU_DEP_1) | instskip(SKIP_1) | instid1(VALU_DEP_1)
	v_cndmask_b32_e64 v13, 0, v13, s0
	v_cmp_gt_i32_e64 s0, s15, v157
	v_cndmask_b32_e64 v14, 0, v14, s0
	v_cmp_gt_i32_e64 s0, s15, v156
	s_delay_alu instid0(VALU_DEP_1) | instskip(SKIP_1) | instid1(VALU_DEP_1)
	v_cndmask_b32_e64 v15, 0, v15, s0
	v_cmp_gt_i32_e64 s0, s15, v155
	v_cndmask_b32_e64 v16, 0, v16, s0
	s_or_b32 exec_lo, exec_lo, s16
	global_load_b128 v[17:20], v[33:34], off offset:1536
	s_and_saveexec_b32 s16, vcc_lo
	s_cbranch_execz .LBB34_45
.LBB34_85:                              ;   in Loop: Header=BB34_40 Depth=1
	v_cmp_gt_i32_e64 s0, s15, v154
	s_waitcnt vmcnt(0)
	s_delay_alu instid0(VALU_DEP_1) | instskip(SKIP_1) | instid1(VALU_DEP_1)
	v_cndmask_b32_e64 v17, 0, v17, s0
	v_cmp_gt_i32_e64 s0, s15, v157
	v_cndmask_b32_e64 v18, 0, v18, s0
	v_cmp_gt_i32_e64 s0, s15, v156
	s_delay_alu instid0(VALU_DEP_1) | instskip(SKIP_1) | instid1(VALU_DEP_1)
	v_cndmask_b32_e64 v19, 0, v19, s0
	v_cmp_gt_i32_e64 s0, s15, v155
	v_cndmask_b32_e64 v20, 0, v20, s0
	s_or_b32 exec_lo, exec_lo, s16
	global_load_b128 v[21:24], v[33:34], off offset:2048
	s_and_saveexec_b32 s16, vcc_lo
	s_cbranch_execz .LBB34_46
.LBB34_86:                              ;   in Loop: Header=BB34_40 Depth=1
	v_cmp_gt_i32_e64 s0, s15, v154
	s_waitcnt vmcnt(0)
	s_delay_alu instid0(VALU_DEP_1) | instskip(SKIP_1) | instid1(VALU_DEP_1)
	v_cndmask_b32_e64 v21, 0, v21, s0
	v_cmp_gt_i32_e64 s0, s15, v157
	v_cndmask_b32_e64 v22, 0, v22, s0
	v_cmp_gt_i32_e64 s0, s15, v156
	s_delay_alu instid0(VALU_DEP_1) | instskip(SKIP_1) | instid1(VALU_DEP_1)
	v_cndmask_b32_e64 v23, 0, v23, s0
	v_cmp_gt_i32_e64 s0, s15, v155
	v_cndmask_b32_e64 v24, 0, v24, s0
	s_or_b32 exec_lo, exec_lo, s16
	global_load_b128 v[25:28], v[33:34], off offset:2560
	s_and_saveexec_b32 s16, vcc_lo
	s_cbranch_execz .LBB34_47
.LBB34_87:                              ;   in Loop: Header=BB34_40 Depth=1
	v_cmp_gt_i32_e64 s0, s15, v154
	s_waitcnt vmcnt(0)
	s_delay_alu instid0(VALU_DEP_1) | instskip(SKIP_1) | instid1(VALU_DEP_1)
	v_cndmask_b32_e64 v25, 0, v25, s0
	v_cmp_gt_i32_e64 s0, s15, v157
	v_cndmask_b32_e64 v26, 0, v26, s0
	v_cmp_gt_i32_e64 s0, s15, v156
	s_delay_alu instid0(VALU_DEP_1) | instskip(SKIP_1) | instid1(VALU_DEP_1)
	v_cndmask_b32_e64 v27, 0, v27, s0
	v_cmp_gt_i32_e64 s0, s15, v155
	v_cndmask_b32_e64 v28, 0, v28, s0
	s_or_b32 exec_lo, exec_lo, s16
	global_load_b128 v[29:32], v[33:34], off offset:3072
	s_and_saveexec_b32 s16, vcc_lo
	s_cbranch_execz .LBB34_48
.LBB34_88:                              ;   in Loop: Header=BB34_40 Depth=1
	v_cmp_gt_i32_e64 s0, s15, v154
	s_waitcnt vmcnt(0)
	s_delay_alu instid0(VALU_DEP_1) | instskip(SKIP_1) | instid1(VALU_DEP_1)
	v_cndmask_b32_e64 v29, 0, v29, s0
	v_cmp_gt_i32_e64 s0, s15, v157
	v_cndmask_b32_e64 v30, 0, v30, s0
	v_cmp_gt_i32_e64 s0, s15, v156
	s_delay_alu instid0(VALU_DEP_1) | instskip(SKIP_1) | instid1(VALU_DEP_1)
	v_cndmask_b32_e64 v31, 0, v31, s0
	v_cmp_gt_i32_e64 s0, s15, v155
	v_cndmask_b32_e64 v32, 0, v32, s0
	s_or_b32 exec_lo, exec_lo, s16
	global_load_b128 v[33:36], v[33:34], off offset:3584
	s_and_saveexec_b32 s16, vcc_lo
	s_cbranch_execnz .LBB34_49
	s_branch .LBB34_50
.LBB34_89:
	s_or_b32 exec_lo, exec_lo, s3
.LBB34_90:
	s_delay_alu instid0(SALU_CYCLE_1)
	s_or_b32 exec_lo, exec_lo, s1
	ds_bpermute_b32 v1, v107, v132
	ds_bpermute_b32 v2, v107, v133
	;; [unrolled: 1-line block ×20, first 2 shown]
	s_waitcnt lgkmcnt(18)
	v_dual_add_f32 v1, v132, v1 :: v_dual_add_f32 v2, v133, v2
	s_waitcnt lgkmcnt(16)
	v_dual_add_f32 v3, v131, v3 :: v_dual_add_f32 v4, v130, v4
	s_waitcnt lgkmcnt(14)
	v_dual_add_f32 v5, v129, v5 :: v_dual_add_f32 v6, v128, v6
	ds_bpermute_b32 v19, v108, v1
	ds_bpermute_b32 v20, v108, v2
	;; [unrolled: 1-line block ×7, first 2 shown]
	s_waitcnt lgkmcnt(19)
	v_dual_add_f32 v7, v127, v7 :: v_dual_add_f32 v8, v126, v8
	s_waitcnt lgkmcnt(17)
	v_dual_add_f32 v9, v125, v9 :: v_dual_add_f32 v10, v124, v10
	;; [unrolled: 2-line block ×3, first 2 shown]
	ds_bpermute_b32 v27, v108, v7
	s_waitcnt lgkmcnt(14)
	v_dual_add_f32 v13, v121, v13 :: v_dual_add_f32 v14, v120, v14
	s_waitcnt lgkmcnt(12)
	v_dual_add_f32 v15, v119, v15 :: v_dual_add_f32 v16, v118, v16
	;; [unrolled: 2-line block ×5, first 2 shown]
	ds_bpermute_b32 v19, v107, v113
	ds_bpermute_b32 v20, v107, v112
	;; [unrolled: 1-line block ×3, first 2 shown]
	v_dual_add_f32 v23, v115, v23 :: v_dual_add_f32 v24, v114, v24
	ds_bpermute_b32 v28, v108, v8
	ds_bpermute_b32 v29, v108, v9
	;; [unrolled: 1-line block ×10, first 2 shown]
	s_waitcnt lgkmcnt(16)
	v_add_f32_e32 v32, v110, v32
	ds_bpermute_b32 v38, v108, v18
	s_waitcnt lgkmcnt(15)
	v_dual_add_f32 v5, v5, v25 :: v_dual_add_f32 v6, v6, v26
	s_waitcnt lgkmcnt(14)
	v_add_f32_e32 v7, v7, v27
	s_waitcnt lgkmcnt(12)
	v_dual_add_f32 v39, v113, v19 :: v_dual_add_f32 v40, v112, v20
	s_waitcnt lgkmcnt(11)
	v_add_f32_e32 v41, v111, v21
	ds_bpermute_b32 v19, v108, v23
	ds_bpermute_b32 v20, v108, v24
	ds_bpermute_b32 v21, v108, v39
	ds_bpermute_b32 v42, v108, v40
	ds_bpermute_b32 v43, v108, v41
	ds_bpermute_b32 v26, v108, v32
	v_and_b32_e32 v27, 0x3c3, v0
	v_lshrrev_b32_e32 v25, 2, v106
	s_movk_i32 s0, 0x300
	s_waitcnt lgkmcnt(15)
	v_dual_add_f32 v8, v8, v28 :: v_dual_add_f32 v9, v9, v29
	s_waitcnt lgkmcnt(14)
	v_add_f32_e32 v10, v10, v30
	s_waitcnt lgkmcnt(12)
	v_dual_add_f32 v11, v11, v22 :: v_dual_add_f32 v12, v12, v31
	s_waitcnt lgkmcnt(10)
	v_dual_add_f32 v13, v13, v33 :: v_dual_add_f32 v14, v14, v34
	;; [unrolled: 2-line block ×7, first 2 shown]
	v_mad_u32_u24 v26, v104, s0, 0x320
	v_cmp_eq_u32_e32 vcc_lo, 64, v27
	v_lshlrev_b32_e32 v27, 2, v25
	s_waitcnt_vscnt null, 0x0
	s_barrier
	buffer_gl0_inv
	s_and_saveexec_b32 s0, vcc_lo
	s_cbranch_execz .LBB34_92
; %bb.91:
	v_add3_u32 v28, v26, v27, 0xfffffa00
	ds_store_2addr_b32 v28, v1, v2 offset1:8
	ds_store_2addr_b32 v28, v3, v4 offset0:16 offset1:24
	ds_store_2addr_b32 v28, v5, v6 offset0:32 offset1:40
	;; [unrolled: 1-line block ×11, first 2 shown]
.LBB34_92:
	s_or_b32 exec_lo, exec_lo, s0
	v_cmp_eq_u32_e32 vcc_lo, 0, v109
	s_mov_b32 s1, exec_lo
	s_waitcnt lgkmcnt(0)
	s_barrier
	buffer_gl0_inv
	v_cmpx_gt_u32_e32 64, v0
	s_cbranch_execz .LBB34_119
; %bb.93:
	s_and_saveexec_b32 s0, vcc_lo
	s_cbranch_execnz .LBB34_151
; %bb.94:
	s_or_b32 exec_lo, exec_lo, s0
	s_and_saveexec_b32 s0, vcc_lo
	s_cbranch_execnz .LBB34_152
.LBB34_95:
	s_or_b32 exec_lo, exec_lo, s0
	s_and_saveexec_b32 s0, vcc_lo
	s_cbranch_execnz .LBB34_153
.LBB34_96:
	s_or_b32 exec_lo, exec_lo, s0
	s_and_saveexec_b32 s0, vcc_lo
	s_cbranch_execnz .LBB34_154
.LBB34_97:
	s_or_b32 exec_lo, exec_lo, s0
	s_and_saveexec_b32 s0, vcc_lo
	s_cbranch_execnz .LBB34_155
.LBB34_98:
	s_or_b32 exec_lo, exec_lo, s0
	s_and_saveexec_b32 s0, vcc_lo
	s_cbranch_execnz .LBB34_156
.LBB34_99:
	s_or_b32 exec_lo, exec_lo, s0
	s_and_saveexec_b32 s0, vcc_lo
	s_cbranch_execnz .LBB34_157
.LBB34_100:
	s_or_b32 exec_lo, exec_lo, s0
	s_and_saveexec_b32 s0, vcc_lo
	s_cbranch_execnz .LBB34_158
.LBB34_101:
	s_or_b32 exec_lo, exec_lo, s0
	s_and_saveexec_b32 s0, vcc_lo
	s_cbranch_execnz .LBB34_159
.LBB34_102:
	s_or_b32 exec_lo, exec_lo, s0
	s_and_saveexec_b32 s0, vcc_lo
	s_cbranch_execnz .LBB34_160
.LBB34_103:
	s_or_b32 exec_lo, exec_lo, s0
	s_and_saveexec_b32 s0, vcc_lo
	s_cbranch_execnz .LBB34_161
.LBB34_104:
	s_or_b32 exec_lo, exec_lo, s0
	s_and_saveexec_b32 s0, vcc_lo
	s_cbranch_execnz .LBB34_162
.LBB34_105:
	s_or_b32 exec_lo, exec_lo, s0
	s_and_saveexec_b32 s0, vcc_lo
	s_cbranch_execnz .LBB34_163
.LBB34_106:
	s_or_b32 exec_lo, exec_lo, s0
	s_and_saveexec_b32 s0, vcc_lo
	s_cbranch_execnz .LBB34_164
.LBB34_107:
	s_or_b32 exec_lo, exec_lo, s0
	s_and_saveexec_b32 s0, vcc_lo
	s_cbranch_execnz .LBB34_165
.LBB34_108:
	s_or_b32 exec_lo, exec_lo, s0
	s_and_saveexec_b32 s0, vcc_lo
	s_cbranch_execnz .LBB34_166
.LBB34_109:
	s_or_b32 exec_lo, exec_lo, s0
	s_and_saveexec_b32 s0, vcc_lo
	s_cbranch_execnz .LBB34_167
.LBB34_110:
	s_or_b32 exec_lo, exec_lo, s0
	s_and_saveexec_b32 s0, vcc_lo
	s_cbranch_execnz .LBB34_168
.LBB34_111:
	s_or_b32 exec_lo, exec_lo, s0
	s_and_saveexec_b32 s0, vcc_lo
	s_cbranch_execnz .LBB34_169
.LBB34_112:
	s_or_b32 exec_lo, exec_lo, s0
	s_and_saveexec_b32 s0, vcc_lo
	s_cbranch_execnz .LBB34_170
.LBB34_113:
	s_or_b32 exec_lo, exec_lo, s0
	s_and_saveexec_b32 s0, vcc_lo
	s_cbranch_execnz .LBB34_171
.LBB34_114:
	s_or_b32 exec_lo, exec_lo, s0
	s_and_saveexec_b32 s0, vcc_lo
	s_cbranch_execnz .LBB34_172
.LBB34_115:
	s_or_b32 exec_lo, exec_lo, s0
	s_and_saveexec_b32 s0, vcc_lo
	s_cbranch_execnz .LBB34_173
.LBB34_116:
	s_or_b32 exec_lo, exec_lo, s0
	s_and_saveexec_b32 s0, vcc_lo
	s_cbranch_execz .LBB34_118
.LBB34_117:
	v_lshl_add_u32 v28, v25, 2, v26
	ds_load_b32 v28, v28 offset:736
	s_waitcnt lgkmcnt(0)
	v_add_f32_e32 v24, v24, v28
.LBB34_118:
	s_or_b32 exec_lo, exec_lo, s0
.LBB34_119:
	s_delay_alu instid0(SALU_CYCLE_1)
	s_or_b32 exec_lo, exec_lo, s1
	v_and_b32_e32 v28, 0x3e3, v0
	s_mov_b32 s1, exec_lo
	s_barrier
	buffer_gl0_inv
	v_cmpx_eq_u32_e32 32, v28
	s_cbranch_execz .LBB34_121
; %bb.120:
	v_add3_u32 v27, v26, v27, 0xfffffd00
	ds_store_2addr_b32 v27, v1, v2 offset1:8
	ds_store_2addr_b32 v27, v3, v4 offset0:16 offset1:24
	ds_store_2addr_b32 v27, v5, v6 offset0:32 offset1:40
	;; [unrolled: 1-line block ×11, first 2 shown]
.LBB34_121:
	s_or_b32 exec_lo, exec_lo, s1
	s_delay_alu instid0(SALU_CYCLE_1)
	s_mov_b32 s1, exec_lo
	s_waitcnt lgkmcnt(0)
	s_barrier
	buffer_gl0_inv
	v_cmpx_gt_u32_e32 32, v0
	s_cbranch_execz .LBB34_148
; %bb.122:
	v_lshl_add_u32 v25, v25, 2, v26
	s_and_saveexec_b32 s0, vcc_lo
	s_cbranch_execnz .LBB34_174
; %bb.123:
	s_or_b32 exec_lo, exec_lo, s0
	s_and_saveexec_b32 s0, vcc_lo
	s_cbranch_execnz .LBB34_175
.LBB34_124:
	s_or_b32 exec_lo, exec_lo, s0
	s_and_saveexec_b32 s0, vcc_lo
	s_cbranch_execnz .LBB34_176
.LBB34_125:
	s_or_b32 exec_lo, exec_lo, s0
	s_and_saveexec_b32 s0, vcc_lo
	s_cbranch_execnz .LBB34_177
.LBB34_126:
	s_or_b32 exec_lo, exec_lo, s0
	s_and_saveexec_b32 s0, vcc_lo
	s_cbranch_execnz .LBB34_178
.LBB34_127:
	s_or_b32 exec_lo, exec_lo, s0
	s_and_saveexec_b32 s0, vcc_lo
	s_cbranch_execnz .LBB34_179
.LBB34_128:
	s_or_b32 exec_lo, exec_lo, s0
	s_and_saveexec_b32 s0, vcc_lo
	s_cbranch_execnz .LBB34_180
.LBB34_129:
	s_or_b32 exec_lo, exec_lo, s0
	s_and_saveexec_b32 s0, vcc_lo
	s_cbranch_execnz .LBB34_181
.LBB34_130:
	s_or_b32 exec_lo, exec_lo, s0
	s_and_saveexec_b32 s0, vcc_lo
	s_cbranch_execnz .LBB34_182
.LBB34_131:
	s_or_b32 exec_lo, exec_lo, s0
	s_and_saveexec_b32 s0, vcc_lo
	s_cbranch_execnz .LBB34_183
.LBB34_132:
	s_or_b32 exec_lo, exec_lo, s0
	s_and_saveexec_b32 s0, vcc_lo
	s_cbranch_execnz .LBB34_184
.LBB34_133:
	s_or_b32 exec_lo, exec_lo, s0
	s_and_saveexec_b32 s0, vcc_lo
	s_cbranch_execnz .LBB34_185
.LBB34_134:
	s_or_b32 exec_lo, exec_lo, s0
	s_and_saveexec_b32 s0, vcc_lo
	s_cbranch_execnz .LBB34_186
.LBB34_135:
	s_or_b32 exec_lo, exec_lo, s0
	s_and_saveexec_b32 s0, vcc_lo
	s_cbranch_execnz .LBB34_187
.LBB34_136:
	s_or_b32 exec_lo, exec_lo, s0
	s_and_saveexec_b32 s0, vcc_lo
	s_cbranch_execnz .LBB34_188
.LBB34_137:
	s_or_b32 exec_lo, exec_lo, s0
	s_and_saveexec_b32 s0, vcc_lo
	s_cbranch_execnz .LBB34_189
.LBB34_138:
	s_or_b32 exec_lo, exec_lo, s0
	s_and_saveexec_b32 s0, vcc_lo
	s_cbranch_execnz .LBB34_190
.LBB34_139:
	s_or_b32 exec_lo, exec_lo, s0
	s_and_saveexec_b32 s0, vcc_lo
	s_cbranch_execnz .LBB34_191
.LBB34_140:
	s_or_b32 exec_lo, exec_lo, s0
	s_and_saveexec_b32 s0, vcc_lo
	s_cbranch_execnz .LBB34_192
.LBB34_141:
	s_or_b32 exec_lo, exec_lo, s0
	s_and_saveexec_b32 s0, vcc_lo
	s_cbranch_execnz .LBB34_193
.LBB34_142:
	s_or_b32 exec_lo, exec_lo, s0
	s_and_saveexec_b32 s0, vcc_lo
	s_cbranch_execnz .LBB34_194
.LBB34_143:
	s_or_b32 exec_lo, exec_lo, s0
	s_and_saveexec_b32 s0, vcc_lo
	s_cbranch_execnz .LBB34_195
.LBB34_144:
	s_or_b32 exec_lo, exec_lo, s0
	s_and_saveexec_b32 s0, vcc_lo
	s_cbranch_execnz .LBB34_196
.LBB34_145:
	s_or_b32 exec_lo, exec_lo, s0
	s_and_saveexec_b32 s0, vcc_lo
	s_cbranch_execz .LBB34_147
.LBB34_146:
	ds_load_b32 v25, v25 offset:736
	s_waitcnt lgkmcnt(0)
	v_add_f32_e32 v24, v24, v25
.LBB34_147:
	s_or_b32 exec_lo, exec_lo, s0
.LBB34_148:
	s_delay_alu instid0(SALU_CYCLE_1)
	s_or_b32 exec_lo, exec_lo, s1
	s_barrier
	buffer_gl0_inv
	s_mov_b32 s0, exec_lo
	v_cmpx_eq_u32_e32 0, v28
	s_cbranch_execz .LBB34_150
; %bb.149:
	s_mul_i32 s0, s6, 0xc0
	s_mul_i32 s2, s4, s20
	s_ashr_i32 s1, s0, 31
	s_delay_alu instid0(SALU_CYCLE_1) | instskip(NEXT) | instid1(SALU_CYCLE_1)
	s_lshl_b64 s[0:1], s[0:1], 2
	s_add_u32 s4, s22, s0
	s_addc_u32 s5, s23, s1
	s_ashr_i32 s3, s2, 31
	s_delay_alu instid0(SALU_CYCLE_1) | instskip(SKIP_4) | instid1(SALU_CYCLE_1)
	s_lshl_b64 s[0:1], s[2:3], 2
	s_mul_i32 s2, s12, 0xc0
	s_add_u32 s4, s4, s0
	s_addc_u32 s5, s5, s1
	s_ashr_i32 s3, s2, 31
	s_lshl_b64 s[0:1], s[2:3], 2
	s_delay_alu instid0(SALU_CYCLE_1)
	s_add_u32 s0, s4, s0
	s_addc_u32 s1, s5, s1
	s_clause 0x17
	global_store_b32 v0, v1, s[0:1]
	global_store_b32 v0, v2, s[0:1] offset:32
	global_store_b32 v0, v3, s[0:1] offset:64
	;; [unrolled: 1-line block ×23, first 2 shown]
.LBB34_150:
	s_nop 0
	s_sendmsg sendmsg(MSG_DEALLOC_VGPRS)
	s_endpgm
.LBB34_151:
	v_lshl_add_u32 v28, v25, 2, v26
	ds_load_b32 v28, v28
	s_waitcnt lgkmcnt(0)
	v_add_f32_e32 v1, v1, v28
	s_or_b32 exec_lo, exec_lo, s0
	s_and_saveexec_b32 s0, vcc_lo
	s_cbranch_execz .LBB34_95
.LBB34_152:
	v_lshl_add_u32 v28, v25, 2, v26
	ds_load_b32 v28, v28 offset:32
	s_waitcnt lgkmcnt(0)
	v_add_f32_e32 v2, v2, v28
	s_or_b32 exec_lo, exec_lo, s0
	s_and_saveexec_b32 s0, vcc_lo
	s_cbranch_execz .LBB34_96
.LBB34_153:
	v_lshl_add_u32 v28, v25, 2, v26
	ds_load_b32 v28, v28 offset:64
	s_waitcnt lgkmcnt(0)
	v_add_f32_e32 v3, v3, v28
	s_or_b32 exec_lo, exec_lo, s0
	s_and_saveexec_b32 s0, vcc_lo
	s_cbranch_execz .LBB34_97
.LBB34_154:
	v_lshl_add_u32 v28, v25, 2, v26
	ds_load_b32 v28, v28 offset:96
	s_waitcnt lgkmcnt(0)
	v_add_f32_e32 v4, v4, v28
	s_or_b32 exec_lo, exec_lo, s0
	s_and_saveexec_b32 s0, vcc_lo
	s_cbranch_execz .LBB34_98
.LBB34_155:
	v_lshl_add_u32 v28, v25, 2, v26
	ds_load_b32 v28, v28 offset:128
	s_waitcnt lgkmcnt(0)
	v_add_f32_e32 v5, v5, v28
	s_or_b32 exec_lo, exec_lo, s0
	s_and_saveexec_b32 s0, vcc_lo
	s_cbranch_execz .LBB34_99
.LBB34_156:
	v_lshl_add_u32 v28, v25, 2, v26
	ds_load_b32 v28, v28 offset:160
	s_waitcnt lgkmcnt(0)
	v_add_f32_e32 v6, v6, v28
	s_or_b32 exec_lo, exec_lo, s0
	s_and_saveexec_b32 s0, vcc_lo
	s_cbranch_execz .LBB34_100
.LBB34_157:
	v_lshl_add_u32 v28, v25, 2, v26
	ds_load_b32 v28, v28 offset:192
	s_waitcnt lgkmcnt(0)
	v_add_f32_e32 v7, v7, v28
	s_or_b32 exec_lo, exec_lo, s0
	s_and_saveexec_b32 s0, vcc_lo
	s_cbranch_execz .LBB34_101
.LBB34_158:
	v_lshl_add_u32 v28, v25, 2, v26
	ds_load_b32 v28, v28 offset:224
	s_waitcnt lgkmcnt(0)
	v_add_f32_e32 v8, v8, v28
	s_or_b32 exec_lo, exec_lo, s0
	s_and_saveexec_b32 s0, vcc_lo
	s_cbranch_execz .LBB34_102
.LBB34_159:
	v_lshl_add_u32 v28, v25, 2, v26
	ds_load_b32 v28, v28 offset:256
	s_waitcnt lgkmcnt(0)
	v_add_f32_e32 v9, v9, v28
	s_or_b32 exec_lo, exec_lo, s0
	s_and_saveexec_b32 s0, vcc_lo
	s_cbranch_execz .LBB34_103
.LBB34_160:
	v_lshl_add_u32 v28, v25, 2, v26
	ds_load_b32 v28, v28 offset:288
	s_waitcnt lgkmcnt(0)
	v_add_f32_e32 v10, v10, v28
	s_or_b32 exec_lo, exec_lo, s0
	s_and_saveexec_b32 s0, vcc_lo
	s_cbranch_execz .LBB34_104
.LBB34_161:
	v_lshl_add_u32 v28, v25, 2, v26
	ds_load_b32 v28, v28 offset:320
	s_waitcnt lgkmcnt(0)
	v_add_f32_e32 v11, v11, v28
	s_or_b32 exec_lo, exec_lo, s0
	s_and_saveexec_b32 s0, vcc_lo
	s_cbranch_execz .LBB34_105
.LBB34_162:
	v_lshl_add_u32 v28, v25, 2, v26
	ds_load_b32 v28, v28 offset:352
	s_waitcnt lgkmcnt(0)
	v_add_f32_e32 v12, v12, v28
	s_or_b32 exec_lo, exec_lo, s0
	s_and_saveexec_b32 s0, vcc_lo
	s_cbranch_execz .LBB34_106
.LBB34_163:
	v_lshl_add_u32 v28, v25, 2, v26
	ds_load_b32 v28, v28 offset:384
	s_waitcnt lgkmcnt(0)
	v_add_f32_e32 v13, v13, v28
	s_or_b32 exec_lo, exec_lo, s0
	s_and_saveexec_b32 s0, vcc_lo
	s_cbranch_execz .LBB34_107
.LBB34_164:
	v_lshl_add_u32 v28, v25, 2, v26
	ds_load_b32 v28, v28 offset:416
	s_waitcnt lgkmcnt(0)
	v_add_f32_e32 v14, v14, v28
	s_or_b32 exec_lo, exec_lo, s0
	s_and_saveexec_b32 s0, vcc_lo
	s_cbranch_execz .LBB34_108
.LBB34_165:
	v_lshl_add_u32 v28, v25, 2, v26
	ds_load_b32 v28, v28 offset:448
	s_waitcnt lgkmcnt(0)
	v_add_f32_e32 v15, v15, v28
	s_or_b32 exec_lo, exec_lo, s0
	s_and_saveexec_b32 s0, vcc_lo
	s_cbranch_execz .LBB34_109
.LBB34_166:
	v_lshl_add_u32 v28, v25, 2, v26
	ds_load_b32 v28, v28 offset:480
	s_waitcnt lgkmcnt(0)
	v_add_f32_e32 v16, v16, v28
	s_or_b32 exec_lo, exec_lo, s0
	s_and_saveexec_b32 s0, vcc_lo
	s_cbranch_execz .LBB34_110
.LBB34_167:
	v_lshl_add_u32 v28, v25, 2, v26
	ds_load_b32 v28, v28 offset:512
	s_waitcnt lgkmcnt(0)
	v_add_f32_e32 v17, v17, v28
	s_or_b32 exec_lo, exec_lo, s0
	s_and_saveexec_b32 s0, vcc_lo
	s_cbranch_execz .LBB34_111
.LBB34_168:
	v_lshl_add_u32 v28, v25, 2, v26
	ds_load_b32 v28, v28 offset:544
	s_waitcnt lgkmcnt(0)
	v_add_f32_e32 v18, v18, v28
	s_or_b32 exec_lo, exec_lo, s0
	s_and_saveexec_b32 s0, vcc_lo
	s_cbranch_execz .LBB34_112
.LBB34_169:
	v_lshl_add_u32 v28, v25, 2, v26
	ds_load_b32 v28, v28 offset:576
	s_waitcnt lgkmcnt(0)
	v_add_f32_e32 v19, v19, v28
	s_or_b32 exec_lo, exec_lo, s0
	s_and_saveexec_b32 s0, vcc_lo
	s_cbranch_execz .LBB34_113
.LBB34_170:
	v_lshl_add_u32 v28, v25, 2, v26
	ds_load_b32 v28, v28 offset:608
	s_waitcnt lgkmcnt(0)
	v_add_f32_e32 v20, v20, v28
	s_or_b32 exec_lo, exec_lo, s0
	s_and_saveexec_b32 s0, vcc_lo
	s_cbranch_execz .LBB34_114
.LBB34_171:
	v_lshl_add_u32 v28, v25, 2, v26
	ds_load_b32 v28, v28 offset:640
	s_waitcnt lgkmcnt(0)
	v_add_f32_e32 v21, v21, v28
	s_or_b32 exec_lo, exec_lo, s0
	s_and_saveexec_b32 s0, vcc_lo
	s_cbranch_execz .LBB34_115
.LBB34_172:
	v_lshl_add_u32 v28, v25, 2, v26
	ds_load_b32 v28, v28 offset:672
	s_waitcnt lgkmcnt(0)
	v_add_f32_e32 v22, v22, v28
	s_or_b32 exec_lo, exec_lo, s0
	s_and_saveexec_b32 s0, vcc_lo
	s_cbranch_execz .LBB34_116
.LBB34_173:
	v_lshl_add_u32 v28, v25, 2, v26
	ds_load_b32 v28, v28 offset:704
	s_waitcnt lgkmcnt(0)
	v_add_f32_e32 v23, v23, v28
	s_or_b32 exec_lo, exec_lo, s0
	s_and_saveexec_b32 s0, vcc_lo
	s_cbranch_execnz .LBB34_117
	s_branch .LBB34_118
.LBB34_174:
	ds_load_b32 v26, v25
	s_waitcnt lgkmcnt(0)
	v_add_f32_e32 v1, v1, v26
	s_or_b32 exec_lo, exec_lo, s0
	s_and_saveexec_b32 s0, vcc_lo
	s_cbranch_execz .LBB34_124
.LBB34_175:
	ds_load_b32 v26, v25 offset:32
	s_waitcnt lgkmcnt(0)
	v_add_f32_e32 v2, v2, v26
	s_or_b32 exec_lo, exec_lo, s0
	s_and_saveexec_b32 s0, vcc_lo
	s_cbranch_execz .LBB34_125
.LBB34_176:
	ds_load_b32 v26, v25 offset:64
	s_waitcnt lgkmcnt(0)
	v_add_f32_e32 v3, v3, v26
	s_or_b32 exec_lo, exec_lo, s0
	s_and_saveexec_b32 s0, vcc_lo
	s_cbranch_execz .LBB34_126
.LBB34_177:
	ds_load_b32 v26, v25 offset:96
	s_waitcnt lgkmcnt(0)
	v_add_f32_e32 v4, v4, v26
	s_or_b32 exec_lo, exec_lo, s0
	s_and_saveexec_b32 s0, vcc_lo
	s_cbranch_execz .LBB34_127
.LBB34_178:
	ds_load_b32 v26, v25 offset:128
	s_waitcnt lgkmcnt(0)
	v_add_f32_e32 v5, v5, v26
	s_or_b32 exec_lo, exec_lo, s0
	s_and_saveexec_b32 s0, vcc_lo
	s_cbranch_execz .LBB34_128
.LBB34_179:
	ds_load_b32 v26, v25 offset:160
	s_waitcnt lgkmcnt(0)
	v_add_f32_e32 v6, v6, v26
	s_or_b32 exec_lo, exec_lo, s0
	s_and_saveexec_b32 s0, vcc_lo
	s_cbranch_execz .LBB34_129
.LBB34_180:
	ds_load_b32 v26, v25 offset:192
	s_waitcnt lgkmcnt(0)
	v_add_f32_e32 v7, v7, v26
	s_or_b32 exec_lo, exec_lo, s0
	s_and_saveexec_b32 s0, vcc_lo
	s_cbranch_execz .LBB34_130
.LBB34_181:
	ds_load_b32 v26, v25 offset:224
	s_waitcnt lgkmcnt(0)
	v_add_f32_e32 v8, v8, v26
	s_or_b32 exec_lo, exec_lo, s0
	s_and_saveexec_b32 s0, vcc_lo
	s_cbranch_execz .LBB34_131
.LBB34_182:
	ds_load_b32 v26, v25 offset:256
	s_waitcnt lgkmcnt(0)
	v_add_f32_e32 v9, v9, v26
	s_or_b32 exec_lo, exec_lo, s0
	s_and_saveexec_b32 s0, vcc_lo
	s_cbranch_execz .LBB34_132
.LBB34_183:
	ds_load_b32 v26, v25 offset:288
	s_waitcnt lgkmcnt(0)
	v_add_f32_e32 v10, v10, v26
	s_or_b32 exec_lo, exec_lo, s0
	s_and_saveexec_b32 s0, vcc_lo
	s_cbranch_execz .LBB34_133
.LBB34_184:
	ds_load_b32 v26, v25 offset:320
	s_waitcnt lgkmcnt(0)
	v_add_f32_e32 v11, v11, v26
	s_or_b32 exec_lo, exec_lo, s0
	s_and_saveexec_b32 s0, vcc_lo
	s_cbranch_execz .LBB34_134
.LBB34_185:
	ds_load_b32 v26, v25 offset:352
	s_waitcnt lgkmcnt(0)
	v_add_f32_e32 v12, v12, v26
	s_or_b32 exec_lo, exec_lo, s0
	s_and_saveexec_b32 s0, vcc_lo
	s_cbranch_execz .LBB34_135
.LBB34_186:
	ds_load_b32 v26, v25 offset:384
	s_waitcnt lgkmcnt(0)
	v_add_f32_e32 v13, v13, v26
	s_or_b32 exec_lo, exec_lo, s0
	s_and_saveexec_b32 s0, vcc_lo
	s_cbranch_execz .LBB34_136
.LBB34_187:
	ds_load_b32 v26, v25 offset:416
	s_waitcnt lgkmcnt(0)
	v_add_f32_e32 v14, v14, v26
	s_or_b32 exec_lo, exec_lo, s0
	s_and_saveexec_b32 s0, vcc_lo
	s_cbranch_execz .LBB34_137
.LBB34_188:
	ds_load_b32 v26, v25 offset:448
	s_waitcnt lgkmcnt(0)
	v_add_f32_e32 v15, v15, v26
	s_or_b32 exec_lo, exec_lo, s0
	s_and_saveexec_b32 s0, vcc_lo
	s_cbranch_execz .LBB34_138
.LBB34_189:
	ds_load_b32 v26, v25 offset:480
	s_waitcnt lgkmcnt(0)
	v_add_f32_e32 v16, v16, v26
	s_or_b32 exec_lo, exec_lo, s0
	s_and_saveexec_b32 s0, vcc_lo
	s_cbranch_execz .LBB34_139
.LBB34_190:
	ds_load_b32 v26, v25 offset:512
	s_waitcnt lgkmcnt(0)
	v_add_f32_e32 v17, v17, v26
	s_or_b32 exec_lo, exec_lo, s0
	s_and_saveexec_b32 s0, vcc_lo
	s_cbranch_execz .LBB34_140
.LBB34_191:
	ds_load_b32 v26, v25 offset:544
	s_waitcnt lgkmcnt(0)
	v_add_f32_e32 v18, v18, v26
	s_or_b32 exec_lo, exec_lo, s0
	s_and_saveexec_b32 s0, vcc_lo
	s_cbranch_execz .LBB34_141
.LBB34_192:
	ds_load_b32 v26, v25 offset:576
	s_waitcnt lgkmcnt(0)
	v_add_f32_e32 v19, v19, v26
	s_or_b32 exec_lo, exec_lo, s0
	s_and_saveexec_b32 s0, vcc_lo
	s_cbranch_execz .LBB34_142
.LBB34_193:
	ds_load_b32 v26, v25 offset:608
	s_waitcnt lgkmcnt(0)
	v_add_f32_e32 v20, v20, v26
	s_or_b32 exec_lo, exec_lo, s0
	s_and_saveexec_b32 s0, vcc_lo
	s_cbranch_execz .LBB34_143
.LBB34_194:
	ds_load_b32 v26, v25 offset:640
	s_waitcnt lgkmcnt(0)
	v_add_f32_e32 v21, v21, v26
	s_or_b32 exec_lo, exec_lo, s0
	s_and_saveexec_b32 s0, vcc_lo
	s_cbranch_execz .LBB34_144
.LBB34_195:
	ds_load_b32 v26, v25 offset:672
	s_waitcnt lgkmcnt(0)
	v_add_f32_e32 v22, v22, v26
	s_or_b32 exec_lo, exec_lo, s0
	s_and_saveexec_b32 s0, vcc_lo
	s_cbranch_execz .LBB34_145
.LBB34_196:
	ds_load_b32 v26, v25 offset:704
	s_waitcnt lgkmcnt(0)
	v_add_f32_e32 v23, v23, v26
	s_or_b32 exec_lo, exec_lo, s0
	s_and_saveexec_b32 s0, vcc_lo
	s_cbranch_execnz .LBB34_146
	s_branch .LBB34_147
	.section	.rodata,"a",@progbits
	.p2align	6, 0x0
	.amdhsa_kernel _ZN4vllm25paged_attention_v2_kernelIffLi192ELi16ELi128ELNS_18Fp8KVCacheDataTypeE0ELb1ELi512EEEvPfS2_PT_PKS3_PKT0_S9_ifPKiSB_iPKfiiiSD_SD_iiiii
		.amdhsa_group_segment_fixed_size 800
		.amdhsa_private_segment_fixed_size 0
		.amdhsa_kernarg_size 400
		.amdhsa_user_sgpr_count 13
		.amdhsa_user_sgpr_dispatch_ptr 0
		.amdhsa_user_sgpr_queue_ptr 0
		.amdhsa_user_sgpr_kernarg_segment_ptr 1
		.amdhsa_user_sgpr_dispatch_id 0
		.amdhsa_user_sgpr_private_segment_size 0
		.amdhsa_wavefront_size32 1
		.amdhsa_uses_dynamic_stack 0
		.amdhsa_enable_private_segment 0
		.amdhsa_system_sgpr_workgroup_id_x 1
		.amdhsa_system_sgpr_workgroup_id_y 1
		.amdhsa_system_sgpr_workgroup_id_z 1
		.amdhsa_system_sgpr_workgroup_info 0
		.amdhsa_system_vgpr_workitem_id 0
		.amdhsa_next_free_vgpr 158
		.amdhsa_next_free_sgpr 46
		.amdhsa_reserve_vcc 1
		.amdhsa_float_round_mode_32 0
		.amdhsa_float_round_mode_16_64 0
		.amdhsa_float_denorm_mode_32 3
		.amdhsa_float_denorm_mode_16_64 3
		.amdhsa_dx10_clamp 1
		.amdhsa_ieee_mode 1
		.amdhsa_fp16_overflow 0
		.amdhsa_workgroup_processor_mode 1
		.amdhsa_memory_ordered 1
		.amdhsa_forward_progress 0
		.amdhsa_shared_vgpr_count 0
		.amdhsa_exception_fp_ieee_invalid_op 0
		.amdhsa_exception_fp_denorm_src 0
		.amdhsa_exception_fp_ieee_div_zero 0
		.amdhsa_exception_fp_ieee_overflow 0
		.amdhsa_exception_fp_ieee_underflow 0
		.amdhsa_exception_fp_ieee_inexact 0
		.amdhsa_exception_int_div_zero 0
	.end_amdhsa_kernel
	.section	.text._ZN4vllm25paged_attention_v2_kernelIffLi192ELi16ELi128ELNS_18Fp8KVCacheDataTypeE0ELb1ELi512EEEvPfS2_PT_PKS3_PKT0_S9_ifPKiSB_iPKfiiiSD_SD_iiiii,"axG",@progbits,_ZN4vllm25paged_attention_v2_kernelIffLi192ELi16ELi128ELNS_18Fp8KVCacheDataTypeE0ELb1ELi512EEEvPfS2_PT_PKS3_PKT0_S9_ifPKiSB_iPKfiiiSD_SD_iiiii,comdat
.Lfunc_end34:
	.size	_ZN4vllm25paged_attention_v2_kernelIffLi192ELi16ELi128ELNS_18Fp8KVCacheDataTypeE0ELb1ELi512EEEvPfS2_PT_PKS3_PKT0_S9_ifPKiSB_iPKfiiiSD_SD_iiiii, .Lfunc_end34-_ZN4vllm25paged_attention_v2_kernelIffLi192ELi16ELi128ELNS_18Fp8KVCacheDataTypeE0ELb1ELi512EEEvPfS2_PT_PKS3_PKT0_S9_ifPKiSB_iPKfiiiSD_SD_iiiii
                                        ; -- End function
	.section	.AMDGPU.csdata,"",@progbits
; Kernel info:
; codeLenInByte = 11820
; NumSgprs: 48
; NumVgprs: 158
; ScratchSize: 0
; MemoryBound: 0
; FloatMode: 240
; IeeeMode: 1
; LDSByteSize: 800 bytes/workgroup (compile time only)
; SGPRBlocks: 5
; VGPRBlocks: 19
; NumSGPRsForWavesPerEU: 48
; NumVGPRsForWavesPerEU: 158
; Occupancy: 9
; WaveLimiterHint : 1
; COMPUTE_PGM_RSRC2:SCRATCH_EN: 0
; COMPUTE_PGM_RSRC2:USER_SGPR: 13
; COMPUTE_PGM_RSRC2:TRAP_HANDLER: 0
; COMPUTE_PGM_RSRC2:TGID_X_EN: 1
; COMPUTE_PGM_RSRC2:TGID_Y_EN: 1
; COMPUTE_PGM_RSRC2:TGID_Z_EN: 1
; COMPUTE_PGM_RSRC2:TIDIG_COMP_CNT: 0
	.section	.text._ZN4vllm25paged_attention_v2_kernelIffLi256ELi16ELi128ELNS_18Fp8KVCacheDataTypeE0ELb1ELi512EEEvPfS2_PT_PKS3_PKT0_S9_ifPKiSB_iPKfiiiSD_SD_iiiii,"axG",@progbits,_ZN4vllm25paged_attention_v2_kernelIffLi256ELi16ELi128ELNS_18Fp8KVCacheDataTypeE0ELb1ELi512EEEvPfS2_PT_PKS3_PKT0_S9_ifPKiSB_iPKfiiiSD_SD_iiiii,comdat
	.protected	_ZN4vllm25paged_attention_v2_kernelIffLi256ELi16ELi128ELNS_18Fp8KVCacheDataTypeE0ELb1ELi512EEEvPfS2_PT_PKS3_PKT0_S9_ifPKiSB_iPKfiiiSD_SD_iiiii ; -- Begin function _ZN4vllm25paged_attention_v2_kernelIffLi256ELi16ELi128ELNS_18Fp8KVCacheDataTypeE0ELb1ELi512EEEvPfS2_PT_PKS3_PKT0_S9_ifPKiSB_iPKfiiiSD_SD_iiiii
	.globl	_ZN4vllm25paged_attention_v2_kernelIffLi256ELi16ELi128ELNS_18Fp8KVCacheDataTypeE0ELb1ELi512EEEvPfS2_PT_PKS3_PKT0_S9_ifPKiSB_iPKfiiiSD_SD_iiiii
	.p2align	8
	.type	_ZN4vllm25paged_attention_v2_kernelIffLi256ELi16ELi128ELNS_18Fp8KVCacheDataTypeE0ELb1ELi512EEEvPfS2_PT_PKS3_PKT0_S9_ifPKiSB_iPKfiiiSD_SD_iiiii,@function
_ZN4vllm25paged_attention_v2_kernelIffLi256ELi16ELi128ELNS_18Fp8KVCacheDataTypeE0ELb1ELi512EEEvPfS2_PT_PKS3_PKT0_S9_ifPKiSB_iPKfiiiSD_SD_iiiii: ; @_ZN4vllm25paged_attention_v2_kernelIffLi256ELi16ELi128ELNS_18Fp8KVCacheDataTypeE0ELb1ELi512EEEvPfS2_PT_PKS3_PKT0_S9_ifPKiSB_iPKfiiiSD_SD_iiiii
; %bb.0:
	s_load_b64 s[2:3], s[0:1], 0x40
	s_mov_b32 s12, s15
	s_ashr_i32 s15, s14, 31
	s_delay_alu instid0(SALU_CYCLE_1)
	s_lshl_b64 s[4:5], s[14:15], 2
	s_waitcnt lgkmcnt(0)
	s_add_u32 s2, s2, s4
	s_addc_u32 s3, s3, s5
	s_lshl_b32 s38, s12, 9
	s_load_b32 s15, s[2:3], 0x0
	s_waitcnt lgkmcnt(0)
	s_cmp_ge_i32 s38, s15
	s_cbranch_scc1 .LBB35_182
; %bb.1:
	s_mov_b32 s24, s13
	s_clause 0x1
	s_load_b32 s13, s[0:1], 0x90
	s_load_b64 s[36:37], s[0:1], 0x30
	s_mov_b32 s40, 0
	s_waitcnt lgkmcnt(0)
	s_abs_i32 s5, s13
	s_abs_i32 s2, s36
	s_delay_alu instid0(SALU_CYCLE_1) | instskip(SKIP_1) | instid1(VALU_DEP_1)
	v_cvt_f32_u32_e32 v1, s2
	s_sub_i32 s4, 0, s2
	v_rcp_iflag_f32_e32 v1, v1
	s_waitcnt_depctr 0xfff
	v_mul_f32_e32 v1, 0x4f7ffffe, v1
	s_delay_alu instid0(VALU_DEP_1) | instskip(NEXT) | instid1(VALU_DEP_1)
	v_cvt_u32_f32_e32 v1, v1
	v_readfirstlane_b32 s3, v1
	s_delay_alu instid0(VALU_DEP_1) | instskip(NEXT) | instid1(SALU_CYCLE_1)
	s_mul_i32 s4, s4, s3
	s_mul_hi_u32 s4, s3, s4
	s_delay_alu instid0(SALU_CYCLE_1) | instskip(SKIP_4) | instid1(SALU_CYCLE_1)
	s_add_i32 s3, s3, s4
	s_xor_b32 s4, s13, s36
	s_mul_hi_u32 s3, s5, s3
	s_ashr_i32 s4, s4, 31
	s_mul_i32 s6, s3, s2
	s_sub_i32 s5, s5, s6
	s_add_i32 s6, s3, 1
	s_sub_i32 s7, s5, s2
	s_cmp_ge_u32 s5, s2
	s_cselect_b32 s3, s6, s3
	s_cselect_b32 s5, s7, s5
	s_add_i32 s6, s3, 1
	s_cmp_ge_u32 s5, s2
	s_cselect_b32 s2, s6, s3
	s_abs_i32 s17, s24
	s_xor_b32 s2, s2, s4
	s_delay_alu instid0(SALU_CYCLE_1) | instskip(SKIP_2) | instid1(SALU_CYCLE_1)
	s_sub_i32 s8, s2, s4
	s_load_b64 s[2:3], s[0:1], 0x50
	s_abs_i32 s16, s8
	v_cvt_f32_u32_e32 v1, s16
	s_sub_i32 s5, 0, s16
	s_delay_alu instid0(VALU_DEP_1) | instskip(SKIP_2) | instid1(VALU_DEP_1)
	v_rcp_iflag_f32_e32 v1, v1
	s_waitcnt_depctr 0xfff
	v_mul_f32_e32 v1, 0x4f7ffffe, v1
	v_cvt_u32_f32_e32 v1, v1
	s_delay_alu instid0(VALU_DEP_1) | instskip(NEXT) | instid1(VALU_DEP_1)
	v_readfirstlane_b32 s4, v1
	s_mul_i32 s5, s5, s4
	s_delay_alu instid0(SALU_CYCLE_1) | instskip(NEXT) | instid1(SALU_CYCLE_1)
	s_mul_hi_u32 s5, s4, s5
	s_add_i32 s4, s4, s5
	s_waitcnt lgkmcnt(0)
	s_cmp_eq_u64 s[2:3], 0
	s_mul_hi_u32 s18, s17, s4
	s_cbranch_scc1 .LBB35_3
; %bb.2:
	s_ashr_i32 s25, s24, 31
	s_delay_alu instid0(SALU_CYCLE_1) | instskip(NEXT) | instid1(SALU_CYCLE_1)
	s_lshl_b64 s[4:5], s[24:25], 2
	s_add_u32 s2, s2, s4
	s_addc_u32 s3, s3, s5
	s_load_b32 s40, s[2:3], 0x0
.LBB35_3:
	s_load_b128 s[4:7], s[0:1], 0x58
	v_and_b32_e32 v1, 1, v0
	v_lshlrev_b32_e32 v2, 3, v0
	v_lshlrev_b32_e32 v3, 2, v0
	s_ashr_i32 s2, s24, 31
	s_ashr_i32 s3, s8, 31
	s_lshl_b32 s20, s24, 8
	s_waitcnt lgkmcnt(0)
	s_mov_b32 s7, exec_lo
	v_cmpx_gt_u32_e32 0x80, v0
	s_cbranch_execz .LBB35_5
; %bb.4:
	s_load_b64 s[8:9], s[0:1], 0x18
	s_mul_i32 s10, s14, s4
	v_and_b32_e32 v6, 0xff8, v3
	s_ashr_i32 s11, s10, 31
	s_delay_alu instid0(SALU_CYCLE_1) | instskip(NEXT) | instid1(VALU_DEP_1)
	s_lshl_b64 s[10:11], s[10:11], 2
	v_lshl_add_u32 v6, v1, 9, v6
	s_waitcnt lgkmcnt(0)
	s_add_u32 s4, s8, s10
	s_addc_u32 s10, s9, s11
	s_ashr_i32 s21, s20, 31
	s_delay_alu instid0(SALU_CYCLE_1) | instskip(NEXT) | instid1(SALU_CYCLE_1)
	s_lshl_b64 s[8:9], s[20:21], 2
	s_add_u32 s8, s4, s8
	s_addc_u32 s9, s10, s9
	global_load_b64 v[4:5], v2, s[8:9]
	s_waitcnt vmcnt(0)
	ds_store_b64 v6, v[4:5]
.LBB35_5:
	s_or_b32 exec_lo, exec_lo, s7
	s_load_b128 s[8:11], s[0:1], 0x78
	s_mul_i32 s4, s18, s16
	s_xor_b32 s2, s2, s3
	s_sub_i32 s3, s17, s4
	s_add_i32 s4, s18, 1
	s_sub_i32 s7, s3, s16
	s_cmp_ge_u32 s3, s16
	s_mov_b32 s17, -1
	s_cselect_b32 s4, s4, s18
	s_cselect_b32 s3, s7, s3
	s_add_i32 s7, s4, 1
	s_cmp_ge_u32 s3, s16
	s_waitcnt lgkmcnt(0)
	s_cselect_b32 s3, s7, s4
	s_load_b32 s4, s[0:1], 0x88
	s_xor_b32 s3, s3, s2
	s_add_i32 s16, s15, -1
	s_sub_i32 s3, s3, s2
	s_abs_i32 s7, s16
	s_waitcnt lgkmcnt(0)
	s_barrier
	s_abs_i32 s21, s11
	buffer_gl0_inv
	v_cvt_f32_u32_e32 v4, s21
	s_sub_i32 s2, 0, s21
                                        ; implicit-def: $sgpr33
	s_delay_alu instid0(VALU_DEP_1) | instskip(SKIP_2) | instid1(VALU_DEP_1)
	v_rcp_iflag_f32_e32 v4, v4
	s_waitcnt_depctr 0xfff
	v_mul_f32_e32 v4, 0x4f7ffffe, v4
	v_cvt_u32_f32_e32 v4, v4
	s_delay_alu instid0(VALU_DEP_1) | instskip(NEXT) | instid1(VALU_DEP_1)
	v_readfirstlane_b32 s25, v4
	s_mul_i32 s2, s2, s25
	s_delay_alu instid0(SALU_CYCLE_1) | instskip(NEXT) | instid1(SALU_CYCLE_1)
	s_mul_hi_u32 s2, s25, s2
	s_add_i32 s25, s25, s2
	s_cmp_lt_i32 s4, 0
	s_mul_hi_u32 s2, s7, s25
	s_cbranch_scc0 .LBB35_7
; %bb.6:
	s_mul_i32 s17, s8, s36
	s_delay_alu instid0(SALU_CYCLE_1) | instskip(NEXT) | instid1(SALU_CYCLE_1)
	s_add_i32 s17, s3, s17
	s_mul_i32 s17, s17, s4
	s_delay_alu instid0(SALU_CYCLE_1)
	s_sub_i32 s33, 1, s17
	s_mov_b32 s17, 0
.LBB35_7:
	s_load_b64 s[26:27], s[0:1], 0x38
	s_ashr_i32 s28, s16, 31
	s_and_not1_b32 vcc_lo, exec_lo, s17
	s_ashr_i32 s11, s11, 31
	s_cbranch_vccnz .LBB35_9
; %bb.8:
	s_mul_i32 s8, s13, s8
	s_delay_alu instid0(SALU_CYCLE_1) | instskip(NEXT) | instid1(SALU_CYCLE_1)
	s_add_i32 s8, s8, s24
	s_mul_i32 s4, s8, s4
	s_delay_alu instid0(SALU_CYCLE_1)
	s_add_i32 s33, s4, 1
.LBB35_9:
	s_clause 0x4
	s_load_b32 s8, s[0:1], 0x48
	s_load_b64 s[30:31], s[0:1], 0x28
	s_load_b32 s4, s[0:1], 0x98
	s_load_b128 s[16:19], s[0:1], 0x0
	s_load_b64 s[22:23], s[0:1], 0x10
	s_xor_b32 s34, s28, s11
	s_mul_i32 s28, s2, s21
	s_add_i32 s35, s2, 1
	s_sub_i32 s7, s7, s28
	v_lshrrev_b32_e32 v174, 5, v0
	v_mov_b32_e32 v5, 0xff7fffff
	v_mbcnt_lo_u32_b32 v4, -1, 0
	s_delay_alu instid0(VALU_DEP_3)
	v_lshl_add_u32 v137, v174, 4, s38
	s_waitcnt lgkmcnt(0)
	s_mul_i32 s28, s14, s8
	s_sub_i32 s8, s7, s21
	s_ashr_i32 s29, s28, 31
	s_cmp_ge_u32 s7, s21
	s_cselect_b32 s2, s35, s2
	s_cselect_b32 s7, s8, s7
	s_add_i32 s8, s2, 1
	s_cmp_ge_u32 s7, s21
	s_cselect_b32 s2, s8, s2
	s_add_i32 s8, s15, 15
	s_lshl_b32 s7, s12, 5
	s_ashr_i32 s35, s8, 31
	v_or_b32_e32 v133, s7, v174
	s_lshr_b32 s35, s35, 28
	s_xor_b32 s39, s2, s34
	s_add_i32 s8, s8, s35
	s_add_i32 s35, s7, 32
	s_ashr_i32 s36, s8, 4
	v_ashrrev_i32_e32 v134, 31, v133
	s_min_i32 s8, s35, s36
	s_sub_i32 s39, s39, s34
	v_cmp_gt_i32_e64 s2, s8, v133
	s_mul_i32 s34, s3, s6
	s_delay_alu instid0(VALU_DEP_1)
	s_and_saveexec_b32 s6, s2
	s_cbranch_execz .LBB35_19
; %bb.10:
	s_load_b64 s[0:1], s[0:1], 0x20
	s_ashr_i32 s35, s34, 31
	v_bfe_u32 v6, v0, 1, 4
	s_lshl_b64 s[42:43], s[34:35], 2
	s_sub_i32 s35, s39, s9
	v_cmp_eq_u32_e32 vcc_lo, 0, v1
	v_lshlrev_b32_e32 v7, 9, v1
	v_lshlrev_b32_e32 v11, 2, v6
	v_subrev_nc_u32_e32 v14, s15, v6
	v_lshlrev_b32_e32 v17, 4, v6
	v_lshl_add_u32 v8, v174, 4, s38
	v_mov_b32_e32 v9, 0xff7fffff
	v_lshl_or_b32 v15, v174, 6, v11
	v_add_nc_u32_e32 v11, 1, v14
	v_xor_b32_e32 v10, 1, v4
	s_waitcnt lgkmcnt(0)
	s_add_u32 s3, s0, s42
	s_addc_u32 s1, s1, s43
	s_abs_i32 s41, s10
	v_cmp_neq_f32_e64 s0, s40, 0
	v_cvt_f32_u32_e32 v5, s41
	s_sub_i32 s42, 0, s41
	s_delay_alu instid0(VALU_DEP_1)
	v_rcp_iflag_f32_e32 v5, v5
	v_and_b32_e32 v13, 8, v2
	v_lshlrev_b64 v[1:2], 2, v[133:134]
	s_waitcnt_depctr 0xfff
	v_mul_f32_e32 v12, 0x4f7ffffe, v5
	v_mov_b32_e32 v5, 0xff7fffff
	s_delay_alu instid0(VALU_DEP_2) | instskip(SKIP_2) | instid1(VALU_DEP_1)
	v_cvt_u32_f32_e32 v16, v12
	v_add_nc_u32_e32 v12, 0x420, v15
	v_add_co_u32 v15, s3, s3, v17
	v_add_co_ci_u32_e64 v17, null, s1, 0, s3
	s_delay_alu instid0(VALU_DEP_4) | instskip(SKIP_1) | instid1(SALU_CYCLE_1)
	v_mul_lo_u32 v14, s42, v16
	s_lshl_b64 s[42:43], s[28:29], 2
	s_add_u32 s1, s26, s42
	s_addc_u32 s3, s27, s43
	v_add_co_u32 v1, s1, s1, v1
	s_delay_alu instid0(VALU_DEP_1) | instskip(NEXT) | instid1(VALU_DEP_3)
	v_add_co_ci_u32_e64 v2, s1, s3, v2, s1
	v_mul_hi_u32 v18, v16, v14
	v_add_co_u32 v13, s1, v15, v13
	s_delay_alu instid0(VALU_DEP_1) | instskip(SKIP_2) | instid1(VALU_DEP_3)
	v_add_co_ci_u32_e64 v14, s1, 0, v17, s1
	s_mov_b32 s42, 0
	s_mov_b32 s43, s5
	v_dual_mov_b32 v16, v133 :: v_dual_add_nc_u32 v15, v16, v18
	s_branch .LBB35_13
.LBB35_11:                              ;   in Loop: Header=BB35_13 Depth=1
	s_or_b32 exec_lo, exec_lo, s44
.LBB35_12:                              ;   in Loop: Header=BB35_13 Depth=1
	s_delay_alu instid0(SALU_CYCLE_1) | instskip(SKIP_2) | instid1(VALU_DEP_1)
	s_or_b32 exec_lo, exec_lo, s3
	v_add_nc_u32_e32 v16, 4, v16
	v_add_co_u32 v1, s3, v1, 16
	v_add_co_ci_u32_e64 v2, s3, 0, v2, s3
	s_delay_alu instid0(VALU_DEP_3) | instskip(SKIP_2) | instid1(VALU_DEP_3)
	v_cmp_le_i32_e64 s1, s8, v16
	v_add_nc_u32_e32 v8, 64, v8
	v_add_nc_u32_e32 v12, 0x100, v12
	s_or_b32 s42, s1, s42
	s_delay_alu instid0(SALU_CYCLE_1)
	s_and_not1_b32 exec_lo, exec_lo, s42
	s_cbranch_execz .LBB35_18
.LBB35_13:                              ; =>This Inner Loop Header: Depth=1
	v_sub_nc_u32_e32 v17, 0, v8
	s_delay_alu instid0(VALU_DEP_1) | instskip(SKIP_1) | instid1(VALU_DEP_1)
	v_max_i32_e32 v17, v8, v17
	s_waitcnt lgkmcnt(0)
	v_mul_hi_u32 v18, v17, s25
	s_delay_alu instid0(VALU_DEP_1) | instskip(NEXT) | instid1(VALU_DEP_1)
	v_mul_lo_u32 v19, v18, s21
	v_sub_nc_u32_e32 v17, v17, v19
	v_add_nc_u32_e32 v19, 1, v18
	s_delay_alu instid0(VALU_DEP_2) | instskip(SKIP_1) | instid1(VALU_DEP_1)
	v_subrev_nc_u32_e32 v20, s21, v17
	v_cmp_le_u32_e64 s1, s21, v17
	v_cndmask_b32_e64 v18, v18, v19, s1
	s_delay_alu instid0(VALU_DEP_3) | instskip(SKIP_1) | instid1(VALU_DEP_3)
	v_cndmask_b32_e64 v17, v17, v20, s1
	v_ashrrev_i32_e32 v19, 31, v8
	v_add_nc_u32_e32 v20, 1, v18
	s_delay_alu instid0(VALU_DEP_3) | instskip(NEXT) | instid1(VALU_DEP_3)
	v_cmp_le_u32_e64 s1, s21, v17
	v_xor_b32_e32 v19, s11, v19
	s_delay_alu instid0(VALU_DEP_2) | instskip(NEXT) | instid1(VALU_DEP_1)
	v_cndmask_b32_e64 v17, v18, v20, s1
	v_xor_b32_e32 v17, v17, v19
	s_delay_alu instid0(VALU_DEP_1) | instskip(NEXT) | instid1(VALU_DEP_1)
	v_sub_nc_u32_e32 v17, v17, v19
	v_add_nc_u32_e32 v18, s33, v17
	v_cmp_ge_i32_e64 s3, s35, v17
	s_delay_alu instid0(VALU_DEP_2) | instskip(NEXT) | instid1(VALU_DEP_1)
	v_sub_nc_u32_e32 v19, 0, v18
	v_max_i32_e32 v19, v18, v19
	v_ashrrev_i32_e32 v18, 31, v18
	s_delay_alu instid0(VALU_DEP_2) | instskip(NEXT) | instid1(VALU_DEP_1)
	v_mul_hi_u32 v20, v19, v15
	v_mul_lo_u32 v20, v20, s41
	s_delay_alu instid0(VALU_DEP_1) | instskip(NEXT) | instid1(VALU_DEP_1)
	v_sub_nc_u32_e32 v19, v19, v20
	v_subrev_nc_u32_e32 v20, s41, v19
	v_cmp_le_u32_e64 s1, s41, v19
	s_delay_alu instid0(VALU_DEP_1) | instskip(NEXT) | instid1(VALU_DEP_1)
	v_cndmask_b32_e64 v19, v19, v20, s1
	v_subrev_nc_u32_e32 v20, s41, v19
	v_cmp_le_u32_e64 s1, s41, v19
	s_delay_alu instid0(VALU_DEP_1) | instskip(NEXT) | instid1(VALU_DEP_1)
	v_cndmask_b32_e64 v19, v19, v20, s1
	v_xor_b32_e32 v19, v19, v18
	s_delay_alu instid0(VALU_DEP_1) | instskip(NEXT) | instid1(VALU_DEP_1)
	v_sub_nc_u32_e32 v18, v19, v18
	v_cmp_ne_u32_e64 s1, 0, v18
	s_delay_alu instid0(VALU_DEP_1) | instskip(NEXT) | instid1(SALU_CYCLE_1)
	s_and_b32 s1, s1, s3
	s_and_b32 s44, vcc_lo, s1
	s_delay_alu instid0(SALU_CYCLE_1)
	s_and_saveexec_b32 s3, s44
	s_cbranch_execz .LBB35_15
; %bb.14:                               ;   in Loop: Header=BB35_13 Depth=1
	ds_store_b32 v12, v9
.LBB35_15:                              ;   in Loop: Header=BB35_13 Depth=1
	s_or_b32 exec_lo, exec_lo, s3
	s_xor_b32 s1, s1, -1
	s_delay_alu instid0(SALU_CYCLE_1)
	s_and_saveexec_b32 s3, s1
	s_cbranch_execz .LBB35_12
; %bb.16:                               ;   in Loop: Header=BB35_13 Depth=1
	global_load_b32 v19, v[1:2], off
	s_waitcnt vmcnt(0)
	v_mad_i64_i32 v[17:18], null, v19, s43, 0
	s_delay_alu instid0(VALU_DEP_1) | instskip(NEXT) | instid1(VALU_DEP_1)
	v_lshlrev_b64 v[17:18], 2, v[17:18]
	v_add_co_u32 v17, s1, v13, v17
	s_delay_alu instid0(VALU_DEP_1)
	v_add_co_ci_u32_e64 v18, s1, v14, v18, s1
	s_clause 0xe
	global_load_b64 v[29:30], v[17:18], off offset:256
	global_load_b64 v[31:32], v[17:18], off offset:512
	;; [unrolled: 1-line block ×3, first 2 shown]
	global_load_b64 v[35:36], v[17:18], off
	global_load_b64 v[37:38], v[17:18], off offset:1024
	global_load_b64 v[39:40], v[17:18], off offset:1280
	;; [unrolled: 1-line block ×11, first 2 shown]
	v_add_co_u32 v19, s1, v17, 0x2000
	s_delay_alu instid0(VALU_DEP_1) | instskip(SKIP_4) | instid1(VALU_DEP_1)
	v_add_co_ci_u32_e64 v20, s1, 0, v18, s1
	s_clause 0x1
	global_load_b64 v[59:60], v[17:18], off offset:3840
	global_load_b64 v[61:62], v[19:20], off offset:-4096
	v_add_co_u32 v21, s1, 0x1000, v17
	v_add_co_ci_u32_e64 v22, s1, 0, v18, s1
	s_clause 0xf
	global_load_b64 v[63:64], v[21:22], off offset:256
	global_load_b64 v[65:66], v[21:22], off offset:512
	;; [unrolled: 1-line block ×15, first 2 shown]
	global_load_b64 v[93:94], v[19:20], off
	v_add_co_u32 v19, s1, 0x2000, v17
	s_delay_alu instid0(VALU_DEP_1)
	v_add_co_ci_u32_e64 v20, s1, 0, v18, s1
	s_clause 0xd
	global_load_b64 v[95:96], v[19:20], off offset:256
	global_load_b64 v[97:98], v[19:20], off offset:512
	;; [unrolled: 1-line block ×14, first 2 shown]
	v_add_co_u32 v123, s1, 0x3000, v17
	s_delay_alu instid0(VALU_DEP_1)
	v_add_co_ci_u32_e64 v124, s1, 0, v18, s1
	s_clause 0xa
	global_load_b64 v[125:126], v[19:20], off offset:3840
	global_load_b64 v[127:128], v[123:124], off
	global_load_b64 v[129:130], v[123:124], off offset:256
	global_load_b64 v[131:132], v[123:124], off offset:512
	;; [unrolled: 1-line block ×9, first 2 shown]
	ds_load_b128 v[17:20], v7
	s_clause 0x4
	global_load_b64 v[150:151], v[123:124], off offset:2560
	global_load_b64 v[152:153], v[123:124], off offset:2816
	;; [unrolled: 1-line block ×5, first 2 shown]
	ds_load_b128 v[21:24], v7 offset:16
	ds_load_b128 v[25:28], v7 offset:32
	v_cmp_gt_i32_e64 s1, 32, v10
	s_waitcnt vmcnt(62) lgkmcnt(2)
	v_dual_mul_f32 v160, v19, v29 :: v_dual_mul_f32 v161, v20, v30
	global_load_b64 v[29:30], v[123:124], off offset:3840
	s_waitcnt vmcnt(60)
	v_dual_fmac_f32 v160, v17, v35 :: v_dual_fmac_f32 v161, v18, v36
	ds_load_b128 v[17:20], v7 offset:48
	s_waitcnt lgkmcnt(2)
	v_dual_fmac_f32 v160, v21, v31 :: v_dual_fmac_f32 v161, v22, v32
	s_delay_alu instid0(VALU_DEP_1) | instskip(SKIP_4) | instid1(VALU_DEP_1)
	v_dual_fmac_f32 v160, v23, v33 :: v_dual_fmac_f32 v161, v24, v34
	ds_load_b128 v[21:24], v7 offset:64
	s_waitcnt vmcnt(59) lgkmcnt(2)
	v_dual_fmac_f32 v160, v25, v37 :: v_dual_fmac_f32 v161, v26, v38
	s_waitcnt vmcnt(58)
	v_dual_fmac_f32 v160, v27, v39 :: v_dual_fmac_f32 v161, v28, v40
	ds_load_b128 v[25:28], v7 offset:80
	s_waitcnt vmcnt(57) lgkmcnt(2)
	v_dual_fmac_f32 v160, v17, v41 :: v_dual_fmac_f32 v161, v18, v42
	s_waitcnt vmcnt(56)
	s_delay_alu instid0(VALU_DEP_1) | instskip(SKIP_4) | instid1(VALU_DEP_1)
	v_dual_fmac_f32 v160, v19, v43 :: v_dual_fmac_f32 v161, v20, v44
	ds_load_b128 v[17:20], v7 offset:96
	s_waitcnt vmcnt(55) lgkmcnt(2)
	v_dual_fmac_f32 v160, v21, v45 :: v_dual_fmac_f32 v161, v22, v46
	s_waitcnt vmcnt(54)
	v_dual_fmac_f32 v160, v23, v47 :: v_dual_fmac_f32 v161, v24, v48
	ds_load_b128 v[21:24], v7 offset:112
	s_waitcnt vmcnt(53) lgkmcnt(2)
	v_dual_fmac_f32 v160, v25, v49 :: v_dual_fmac_f32 v161, v26, v50
	s_waitcnt vmcnt(52)
	;; [unrolled: 11-line block ×14, first 2 shown]
	s_delay_alu instid0(VALU_DEP_1) | instskip(SKIP_1) | instid1(VALU_DEP_1)
	v_dual_fmac_f32 v160, v152, v27 :: v_dual_fmac_f32 v161, v153, v28
	s_waitcnt vmcnt(3) lgkmcnt(1)
	v_dual_fmac_f32 v160, v154, v17 :: v_dual_fmac_f32 v161, v155, v18
	v_cndmask_b32_e64 v17, v4, v10, s1
	s_waitcnt vmcnt(2)
	s_delay_alu instid0(VALU_DEP_2) | instskip(NEXT) | instid1(VALU_DEP_2)
	v_dual_fmac_f32 v160, v156, v19 :: v_dual_fmac_f32 v161, v157, v20
	v_lshlrev_b32_e32 v18, 2, v17
	s_waitcnt vmcnt(1) lgkmcnt(0)
	s_delay_alu instid0(VALU_DEP_2) | instskip(SKIP_1) | instid1(VALU_DEP_1)
	v_dual_fmac_f32 v160, v158, v21 :: v_dual_fmac_f32 v161, v159, v22
	s_waitcnt vmcnt(0)
	v_dual_fmac_f32 v160, v29, v23 :: v_dual_fmac_f32 v161, v30, v24
	s_delay_alu instid0(VALU_DEP_1)
	v_add_f32_e32 v17, v160, v161
	ds_bpermute_b32 v18, v18, v17
	s_and_saveexec_b32 s44, vcc_lo
	s_cbranch_execz .LBB35_11
; %bb.17:                               ;   in Loop: Header=BB35_13 Depth=1
	s_waitcnt lgkmcnt(0)
	v_add_f32_e32 v17, v17, v18
	v_add_nc_u32_e32 v19, v11, v8
	s_delay_alu instid0(VALU_DEP_1) | instskip(NEXT) | instid1(VALU_DEP_1)
	v_cvt_f32_i32_e32 v19, v19
	v_mul_f32_e32 v19, s40, v19
	s_delay_alu instid0(VALU_DEP_1) | instskip(SKIP_1) | instid1(VALU_DEP_2)
	v_cndmask_b32_e64 v18, 0, v19, s0
	v_max_f32_e32 v19, v5, v5
	v_dual_fmac_f32 v18, s37, v17 :: v_dual_add_nc_u32 v17, v6, v8
	s_delay_alu instid0(VALU_DEP_1) | instskip(NEXT) | instid1(VALU_DEP_2)
	v_max_f32_e32 v19, v19, v18
	v_cmp_gt_i32_e64 s1, s15, v17
	s_delay_alu instid0(VALU_DEP_1) | instskip(NEXT) | instid1(VALU_DEP_3)
	v_cndmask_b32_e64 v17, 0, v18, s1
	v_cndmask_b32_e64 v5, v5, v19, s1
	ds_store_b32 v12, v17
	s_branch .LBB35_11
.LBB35_18:
	s_or_b32 exec_lo, exec_lo, s42
.LBB35_19:
	s_delay_alu instid0(SALU_CYCLE_1) | instskip(SKIP_3) | instid1(VALU_DEP_3)
	s_or_b32 exec_lo, exec_lo, s6
	v_xor_b32_e32 v1, 16, v4
	v_xor_b32_e32 v6, 8, v4
	v_dual_max_f32 v7, v5, v5 :: v_dual_and_b32 v58, 31, v0
	v_cmp_gt_i32_e32 vcc_lo, 32, v1
	v_cndmask_b32_e32 v1, v4, v1, vcc_lo
	s_delay_alu instid0(VALU_DEP_4) | instskip(NEXT) | instid1(VALU_DEP_2)
	v_cmp_gt_i32_e32 vcc_lo, 32, v6
	v_lshlrev_b32_e32 v2, 2, v1
	ds_bpermute_b32 v1, v2, v5
	v_cndmask_b32_e32 v5, v4, v6, vcc_lo
	s_delay_alu instid0(VALU_DEP_1) | instskip(SKIP_2) | instid1(VALU_DEP_1)
	v_lshlrev_b32_e32 v5, 2, v5
	s_waitcnt lgkmcnt(0)
	v_max_f32_e32 v1, v1, v1
	v_max_f32_e32 v1, v7, v1
	v_xor_b32_e32 v7, 4, v4
	ds_bpermute_b32 v6, v5, v1
	v_cmp_gt_i32_e32 vcc_lo, 32, v7
	s_waitcnt lgkmcnt(0)
	v_dual_cndmask_b32 v7, v4, v7 :: v_dual_max_f32 v8, v6, v6
	s_delay_alu instid0(VALU_DEP_1)
	v_dual_max_f32 v1, v1, v8 :: v_dual_lshlrev_b32 v6, 2, v7
	v_xor_b32_e32 v8, 2, v4
	ds_bpermute_b32 v7, v6, v1
	v_cmp_gt_i32_e32 vcc_lo, 32, v8
	v_cndmask_b32_e32 v8, v4, v8, vcc_lo
	v_cmp_eq_u32_e32 vcc_lo, 0, v58
	s_delay_alu instid0(VALU_DEP_2) | instskip(SKIP_2) | instid1(VALU_DEP_1)
	v_lshlrev_b32_e32 v139, 2, v8
	s_waitcnt lgkmcnt(0)
	v_max_f32_e32 v7, v7, v7
	v_max_f32_e32 v1, v1, v7
	v_lshlrev_b32_e32 v7, 2, v174
	ds_bpermute_b32 v8, v139, v1
	s_and_saveexec_b32 s0, vcc_lo
	s_cbranch_execz .LBB35_21
; %bb.20:
	s_waitcnt lgkmcnt(0)
	v_dual_max_f32 v8, v8, v8 :: v_dual_max_f32 v1, v1, v1
	s_delay_alu instid0(VALU_DEP_1)
	v_max_f32_e32 v1, v1, v8
	ds_store_b32 v7, v1 offset:1024
.LBB35_21:
	s_or_b32 exec_lo, exec_lo, s0
	v_cmp_gt_u32_e64 s0, 4, v58
	s_waitcnt lgkmcnt(0)
	v_dual_mov_b32 v1, 0xff7fffff :: v_dual_lshlrev_b32 v8, 2, v58
	s_barrier
	buffer_gl0_inv
	s_and_saveexec_b32 s1, s0
	s_cbranch_execz .LBB35_23
; %bb.22:
	ds_load_b32 v1, v8 offset:1024
.LBB35_23:
	s_or_b32 exec_lo, exec_lo, s1
	s_waitcnt lgkmcnt(0)
	ds_bpermute_b32 v9, v139, v1
	v_xor_b32_e32 v10, 1, v4
	s_delay_alu instid0(VALU_DEP_1) | instskip(NEXT) | instid1(VALU_DEP_1)
	v_cmp_gt_i32_e64 s1, 32, v10
	v_cndmask_b32_e64 v4, v4, v10, s1
	v_max_f32_e32 v1, v1, v1
	s_sub_i32 s1, s8, s7
	s_delay_alu instid0(SALU_CYCLE_1) | instskip(NEXT) | instid1(VALU_DEP_2)
	s_lshl_b32 s1, s1, 4
	v_lshlrev_b32_e32 v140, 2, v4
	s_add_i32 s1, s1, s38
	s_delay_alu instid0(SALU_CYCLE_1) | instskip(SKIP_3) | instid1(SALU_CYCLE_1)
	s_min_i32 s1, s1, s15
	s_waitcnt lgkmcnt(0)
	v_max_f32_e32 v9, v9, v9
	s_sub_i32 s6, s1, s38
	v_cmp_gt_i32_e64 s1, s6, v0
	s_delay_alu instid0(VALU_DEP_2) | instskip(SKIP_4) | instid1(VALU_DEP_1)
	v_max_f32_e32 v1, v1, v9
	v_mov_b32_e32 v9, 0
	ds_bpermute_b32 v4, v140, v1
	s_waitcnt lgkmcnt(0)
	v_max_f32_e32 v4, v4, v4
	v_max_f32_e32 v1, v1, v4
	v_lshl_add_u32 v4, v0, 2, 0x420
	ds_bpermute_b32 v1, v9, v1
	s_and_saveexec_b32 s7, s1
	s_cbranch_execz .LBB35_27
; %bb.24:
	v_lshl_add_u32 v10, v0, 2, 0x420
	v_mov_b32_e32 v9, 0
	v_mov_b32_e32 v11, v0
	s_mov_b32 s35, 0
	.p2align	6
.LBB35_25:                              ; =>This Inner Loop Header: Depth=1
	ds_load_b32 v12, v10
	v_add_nc_u32_e32 v11, 0x80, v11
	s_delay_alu instid0(VALU_DEP_1) | instskip(NEXT) | instid1(VALU_DEP_1)
	v_cmp_le_i32_e64 s3, s6, v11
	s_or_b32 s35, s3, s35
	s_waitcnt lgkmcnt(0)
	v_sub_f32_e32 v12, v12, v1
	s_delay_alu instid0(VALU_DEP_1) | instskip(NEXT) | instid1(VALU_DEP_1)
	v_mul_f32_e32 v12, 0x3fb8aa3b, v12
	v_exp_f32_e32 v12, v12
	ds_store_b32 v10, v12
	v_dual_add_f32 v9, v9, v12 :: v_dual_add_nc_u32 v10, 0x200, v10
	s_and_not1_b32 exec_lo, exec_lo, s35
	s_cbranch_execnz .LBB35_25
; %bb.26:
	s_or_b32 exec_lo, exec_lo, s35
.LBB35_27:
	s_delay_alu instid0(SALU_CYCLE_1)
	s_or_b32 exec_lo, exec_lo, s7
	ds_bpermute_b32 v2, v2, v9
	s_waitcnt lgkmcnt(0)
	v_add_f32_e32 v2, v9, v2
	ds_bpermute_b32 v5, v5, v2
	s_waitcnt lgkmcnt(0)
	v_add_f32_e32 v2, v2, v5
	;; [unrolled: 3-line block ×5, first 2 shown]
	s_and_saveexec_b32 s3, vcc_lo
	s_cbranch_execz .LBB35_29
; %bb.28:
	ds_store_b32 v7, v2 offset:1040
.LBB35_29:
	s_or_b32 exec_lo, exec_lo, s3
	s_waitcnt lgkmcnt(0)
	s_barrier
	buffer_gl0_inv
	s_and_saveexec_b32 s3, s0
	s_cbranch_execz .LBB35_31
; %bb.30:
	ds_load_b32 v2, v8 offset:1040
.LBB35_31:
	s_or_b32 exec_lo, exec_lo, s3
	s_waitcnt lgkmcnt(0)
	ds_bpermute_b32 v5, v139, v2
	s_waitcnt lgkmcnt(0)
	v_add_f32_e32 v2, v2, v5
	ds_bpermute_b32 v5, v140, v2
	s_waitcnt lgkmcnt(0)
	v_dual_add_f32 v2, v2, v5 :: v_dual_mov_b32 v5, 0
	ds_bpermute_b32 v2, v5, v2
	s_and_saveexec_b32 s0, s1
	s_cbranch_execz .LBB35_34
; %bb.32:
	s_waitcnt lgkmcnt(0)
	v_add_f32_e32 v5, 0x358637bd, v2
	s_mov_b32 s1, 0
	s_delay_alu instid0(VALU_DEP_1) | instskip(SKIP_1) | instid1(VALU_DEP_2)
	v_div_scale_f32 v6, null, v5, v5, 1.0
	v_div_scale_f32 v9, vcc_lo, 1.0, v5, 1.0
	v_rcp_f32_e32 v7, v6
	s_waitcnt_depctr 0xfff
	v_fma_f32 v8, -v6, v7, 1.0
	s_delay_alu instid0(VALU_DEP_1) | instskip(NEXT) | instid1(VALU_DEP_1)
	v_fmac_f32_e32 v7, v8, v7
	v_mul_f32_e32 v8, v9, v7
	s_delay_alu instid0(VALU_DEP_1) | instskip(NEXT) | instid1(VALU_DEP_1)
	v_fma_f32 v10, -v6, v8, v9
	v_fmac_f32_e32 v8, v10, v7
	s_delay_alu instid0(VALU_DEP_1) | instskip(NEXT) | instid1(VALU_DEP_1)
	v_fma_f32 v6, -v6, v8, v9
	v_div_fmas_f32 v6, v6, v7, v8
	s_delay_alu instid0(VALU_DEP_1)
	v_div_fixup_f32 v5, v6, v5, 1.0
	v_mov_b32_e32 v6, v0
.LBB35_33:                              ; =>This Inner Loop Header: Depth=1
	ds_load_b32 v7, v4
	s_waitcnt lgkmcnt(0)
	v_dual_mul_f32 v7, v5, v7 :: v_dual_add_nc_u32 v6, 0x80, v6
	s_delay_alu instid0(VALU_DEP_1) | instskip(SKIP_3) | instid1(SALU_CYCLE_1)
	v_cmp_le_i32_e32 vcc_lo, s6, v6
	ds_store_b32 v4, v7
	v_add_nc_u32_e32 v4, 0x200, v4
	s_or_b32 s1, vcc_lo, s1
	s_and_not1_b32 exec_lo, exec_lo, s1
	s_cbranch_execnz .LBB35_33
.LBB35_34:
	s_or_b32 exec_lo, exec_lo, s0
	s_mul_i32 s0, s4, s14
	s_waitcnt lgkmcnt(0)
	s_mul_i32 s6, s0, s13
	s_mov_b32 s0, exec_lo
	s_barrier
	buffer_gl0_inv
	v_cmpx_eq_u32_e32 0, v0
	s_cbranch_execz .LBB35_36
; %bb.35:
	s_ashr_i32 s7, s6, 31
	s_mul_i32 s42, s4, s24
	s_lshl_b64 s[40:41], s[6:7], 2
	v_mov_b32_e32 v4, 0
	s_add_u32 s1, s18, s40
	s_addc_u32 s3, s19, s41
	s_ashr_i32 s43, s42, 31
	s_delay_alu instid0(SALU_CYCLE_1) | instskip(NEXT) | instid1(SALU_CYCLE_1)
	s_lshl_b64 s[18:19], s[42:43], 2
	s_add_u32 s1, s1, s18
	s_addc_u32 s3, s3, s19
	s_ashr_i32 s13, s12, 31
	s_delay_alu instid0(SALU_CYCLE_1) | instskip(NEXT) | instid1(SALU_CYCLE_1)
	s_lshl_b64 s[42:43], s[12:13], 2
	s_add_u32 s44, s1, s42
	s_addc_u32 s45, s3, s43
	s_add_u32 s1, s16, s40
	s_addc_u32 s3, s17, s41
	;; [unrolled: 2-line block ×4, first 2 shown]
	s_clause 0x1
	global_store_b32 v4, v1, s[44:45]
	global_store_b32 v4, v2, s[16:17]
.LBB35_36:
	s_or_b32 exec_lo, exec_lo, s0
	v_dual_mov_b32 v172, 0 :: v_dual_and_b32 v59, 3, v0
	v_dual_mov_b32 v173, 0 :: v_dual_mov_b32 v170, 0
	v_dual_mov_b32 v171, 0 :: v_dual_mov_b32 v168, 0
	;; [unrolled: 1-line block ×15, first 2 shown]
	v_mov_b32_e32 v143, 0
	s_mov_b32 s3, 0
	s_and_saveexec_b32 s1, s2
	s_cbranch_execz .LBB35_106
; %bb.37:
	s_ashr_i32 s35, s34, 31
	s_sub_i32 s2, s39, s9
	s_lshl_b64 s[16:17], s[34:35], 2
	v_dual_mov_b32 v143, 0 :: v_dual_and_b32 v4, 0x7c, v3
	s_add_u32 s7, s30, s16
	s_addc_u32 s9, s31, s17
	s_abs_i32 s10, s10
	s_lshl_b64 s[16:17], s[28:29], 2
	v_cvt_f32_u32_e32 v1, s10
	s_sub_i32 s0, 0, s10
	s_add_i32 s13, s36, -1
	v_or_b32_e32 v7, 0x400, v4
	v_or_b32_e32 v8, 0x480, v4
	v_rcp_iflag_f32_e32 v5, v1
	v_and_b32_e32 v2, 12, v3
	v_or_b32_e32 v9, 0x500, v4
	v_or_b32_e32 v10, 0x580, v4
	v_or_b32_e32 v11, 0x600, v4
	v_or_b32_e32 v12, 0x680, v4
	v_or_b32_e32 v13, 0x700, v4
	v_dual_mov_b32 v145, 0 :: v_dual_lshlrev_b32 v6, 4, v59
	v_or_b32_e32 v14, 0x780, v4
	s_delay_alu instid0(TRANS32_DEP_1)
	v_mul_f32_e32 v5, 0x4f7ffffe, v5
	scratch_store_b32 off, v2, off          ; 4-byte Folded Spill
	v_lshlrev_b64 v[1:2], 2, v[133:134]
	v_or_b32_e32 v3, 0xf80, v3
	v_or_b32_e32 v15, 0x800, v4
	v_cvt_u32_f32_e32 v5, v5
	v_or_b32_e32 v16, 0x880, v4
	v_or_b32_e32 v17, 0x900, v4
	;; [unrolled: 1-line block ×4, first 2 shown]
	v_mul_lo_u32 v20, s0, v5
	s_add_u32 s0, s26, s16
	v_mov_b32_e32 v144, 0
	v_add_co_u32 v134, vcc_lo, s0, v1
	v_dual_mov_b32 v146, 0 :: v_dual_lshlrev_b32 v1, 2, v4
	v_or_b32_e32 v21, 0xa80, v4
	v_mul_hi_u32 v20, v5, v20
	v_or_b32_e32 v22, 0xb00, v4
	scratch_store_b32 off, v1, off offset:4 ; 4-byte Folded Spill
	v_dual_mov_b32 v148, 0 :: v_dual_lshlrev_b32 v1, 2, v7
	v_or_b32_e32 v23, 0xb80, v4
	v_or_b32_e32 v24, 0xc00, v4
	v_mov_b32_e32 v150, 0
	scratch_store_b32 off, v1, off offset:8 ; 4-byte Folded Spill
	v_lshlrev_b32_e32 v1, 2, v8
	v_or_b32_e32 v25, 0xc80, v4
	v_or_b32_e32 v26, 0xd00, v4
	v_mov_b32_e32 v152, 0
	v_or_b32_e32 v27, 0xd80, v4
	scratch_store_b32 off, v1, off offset:12 ; 4-byte Folded Spill
	v_lshlrev_b32_e32 v1, 2, v9
	v_or_b32_e32 v28, 0xe00, v4
	v_mov_b32_e32 v154, 0
	v_or_b32_e32 v29, 0xe80, v4
	v_or_b32_e32 v30, 0xf00, v4
	scratch_store_b32 off, v1, off offset:16 ; 4-byte Folded Spill
	v_dual_mov_b32 v156, 0 :: v_dual_lshlrev_b32 v1, 2, v10
	v_lshl_or_b32 v6, v174, 6, v6
	s_addc_u32 s14, s27, s17
	v_dual_mov_b32 v142, 0 :: v_dual_add_nc_u32 v175, v5, v20
	scratch_store_b32 off, v1, off offset:20 ; 4-byte Folded Spill
	v_dual_mov_b32 v158, 0 :: v_dual_lshlrev_b32 v1, 2, v11
	v_add_co_ci_u32_e32 v135, vcc_lo, s14, v2, vcc_lo
	v_dual_mov_b32 v147, 0 :: v_dual_add_nc_u32 v176, 0x420, v6
	scratch_store_b32 off, v1, off offset:24 ; 4-byte Folded Spill
	v_lshlrev_b32_e32 v1, 2, v12
	v_dual_mov_b32 v164, 0 :: v_dual_lshlrev_b32 v187, 2, v16
	v_dual_mov_b32 v149, 0 :: v_dual_lshlrev_b32 v188, 2, v17
	scratch_store_b32 off, v1, off offset:28 ; 4-byte Folded Spill
	v_lshlrev_b32_e32 v1, 2, v13
	v_dual_mov_b32 v166, 0 :: v_dual_lshlrev_b32 v189, 2, v18
	v_dual_mov_b32 v151, 0 :: v_dual_lshlrev_b32 v190, 2, v19
	scratch_store_b32 off, v1, off offset:32 ; 4-byte Folded Spill
	v_dual_mov_b32 v160, 0 :: v_dual_lshlrev_b32 v1, 2, v14
	v_dual_mov_b32 v168, 0 :: v_dual_lshlrev_b32 v191, 2, v21
	;; [unrolled: 1-line block ×3, first 2 shown]
	scratch_store_b32 off, v1, off offset:36 ; 4-byte Folded Spill
	v_dual_mov_b32 v162, 0 :: v_dual_lshlrev_b32 v1, 2, v15
	v_dual_mov_b32 v153, 0 :: v_dual_lshlrev_b32 v138, 2, v23
	;; [unrolled: 1-line block ×6, first 2 shown]
	v_lshlrev_b32_e32 v179, 2, v28
	v_dual_mov_b32 v161, 0 :: v_dual_lshlrev_b32 v180, 2, v29
	v_lshlrev_b32_e32 v181, 2, v30
	v_dual_mov_b32 v163, 0 :: v_dual_lshlrev_b32 v182, 2, v3
	v_mov_b32_e32 v165, 0
	v_mov_b32_e32 v167, 0
	;; [unrolled: 1-line block ×5, first 2 shown]
	scratch_store_b32 off, v1, off offset:40 ; 4-byte Folded Spill
	s_branch .LBB35_40
.LBB35_38:                              ;   in Loop: Header=BB35_40 Depth=1
	s_or_b32 exec_lo, exec_lo, s0
	s_waitcnt lgkmcnt(0)
	v_mul_f32_e32 v30, v2, v30
	s_waitcnt vmcnt(13)
	v_mul_f32_e32 v78, v2, v78
	v_mul_f32_e32 v22, v2, v22
	;; [unrolled: 1-line block ×3, first 2 shown]
	s_waitcnt vmcnt(5)
	v_mul_f32_e32 v114, v2, v114
	v_fmac_f32_e32 v30, v1, v29
	v_fmac_f32_e32 v78, v1, v77
	v_mul_f32_e32 v70, v2, v70
	v_mul_f32_e32 v62, v2, v62
	v_fmac_f32_e32 v22, v1, v21
	v_fmac_f32_e32 v30, v3, v31
	;; [unrolled: 1-line block ×3, first 2 shown]
	s_waitcnt vmcnt(3)
	v_mul_f32_e32 v122, v2, v122
	v_mul_f32_e32 v106, v2, v106
	v_fmac_f32_e32 v78, v3, v79
	v_fmac_f32_e32 v70, v1, v69
	v_fmac_f32_e32 v62, v1, v61
	v_fmac_f32_e32 v30, v4, v32
	v_fmac_f32_e32 v114, v1, v113
	v_fmac_f32_e32 v22, v3, v23
	v_fmac_f32_e32 v14, v3, v15
	s_waitcnt vmcnt(1)
	v_mul_f32_e32 v130, v2, v130
	v_dual_add_f32 v167, v167, v30 :: v_dual_fmac_f32 v106, v1, v105
	v_fmac_f32_e32 v78, v4, v80
	v_fmac_f32_e32 v122, v1, v121
	;; [unrolled: 1-line block ×4, first 2 shown]
	v_mul_f32_e32 v46, v2, v46
	v_dual_add_f32 v155, v155, v78 :: v_dual_fmac_f32 v22, v4, v24
	v_fmac_f32_e32 v114, v3, v115
	v_fmac_f32_e32 v14, v4, v16
	v_fmac_f32_e32 v106, v3, v107
	v_mul_f32_e32 v86, v2, v86
	s_delay_alu instid0(VALU_DEP_4) | instskip(NEXT) | instid1(VALU_DEP_4)
	v_dual_add_f32 v169, v169, v22 :: v_dual_fmac_f32 v114, v4, v116
	v_dual_add_f32 v171, v171, v14 :: v_dual_fmac_f32 v130, v1, v129
	v_fmac_f32_e32 v70, v4, v72
	v_fmac_f32_e32 v122, v3, v123
	;; [unrolled: 1-line block ×3, first 2 shown]
	v_mul_f32_e32 v54, v2, v54
	v_fmac_f32_e32 v46, v1, v45
	v_add_f32_e32 v157, v157, v70
	v_mul_f32_e32 v10, v2, v10
	v_mul_f32_e32 v126, v2, v126
	v_dual_fmac_f32 v122, v4, v124 :: v_dual_add_f32 v159, v159, v62
	v_mul_f32_e32 v118, v2, v118
	v_mul_f32_e32 v110, v2, v110
	v_fmac_f32_e32 v106, v4, v108
	v_mul_f32_e32 v102, v2, v102
	v_mul_f32_e32 v98, v2, v98
	;; [unrolled: 1-line block ×3, first 2 shown]
	v_fmac_f32_e32 v86, v1, v85
	v_mul_f32_e32 v82, v2, v82
	v_mul_f32_e32 v74, v2, v74
	;; [unrolled: 1-line block ×4, first 2 shown]
	v_fmac_f32_e32 v54, v1, v53
	v_mul_f32_e32 v50, v2, v50
	v_fmac_f32_e32 v46, v3, v47
	v_mul_f32_e32 v42, v2, v42
	v_mul_f32_e32 v38, v2, v38
	;; [unrolled: 1-line block ×5, first 2 shown]
	v_fmac_f32_e32 v10, v1, v9
	v_mul_f32_e32 v6, v2, v6
	s_waitcnt vmcnt(0)
	v_mul_f32_e32 v2, v2, v90
	v_add_f32_e32 v147, v147, v114
	v_dual_fmac_f32 v130, v3, v131 :: v_dual_add_f32 v145, v145, v122
	v_fmac_f32_e32 v110, v1, v109
	v_fmac_f32_e32 v102, v1, v101
	;; [unrolled: 1-line block ×3, first 2 shown]
	s_delay_alu instid0(VALU_DEP_4) | instskip(SKIP_3) | instid1(VALU_DEP_4)
	v_dual_fmac_f32 v130, v4, v132 :: v_dual_add_f32 v149, v149, v106
	v_fmac_f32_e32 v126, v1, v125
	v_fmac_f32_e32 v94, v1, v93
	;; [unrolled: 1-line block ×3, first 2 shown]
	v_dual_add_f32 v143, v143, v130 :: v_dual_fmac_f32 v82, v1, v81
	v_fmac_f32_e32 v74, v1, v73
	v_fmac_f32_e32 v66, v1, v65
	;; [unrolled: 1-line block ×9, first 2 shown]
	s_delay_alu instid0(VALU_DEP_4)
	v_dual_fmac_f32 v34, v1, v33 :: v_dual_add_f32 v163, v163, v46
	v_fmac_f32_e32 v26, v1, v25
	v_fmac_f32_e32 v18, v1, v17
	;; [unrolled: 1-line block ×12, first 2 shown]
	s_delay_alu instid0(VALU_DEP_4)
	v_dual_fmac_f32 v66, v3, v67 :: v_dual_add_f32 v153, v153, v86
	v_fmac_f32_e32 v58, v3, v59
	v_fmac_f32_e32 v54, v4, v56
	;; [unrolled: 1-line block ×5, first 2 shown]
	s_delay_alu instid0(VALU_DEP_4)
	v_dual_fmac_f32 v38, v3, v39 :: v_dual_add_f32 v161, v161, v54
	v_fmac_f32_e32 v34, v3, v35
	v_fmac_f32_e32 v26, v3, v27
	;; [unrolled: 1-line block ×7, first 2 shown]
	s_delay_alu instid0(VALU_DEP_4) | instskip(NEXT) | instid1(VALU_DEP_4)
	v_dual_fmac_f32 v102, v4, v104 :: v_dual_add_f32 v173, v173, v10
	v_fmac_f32_e32 v110, v4, v112
	v_fmac_f32_e32 v98, v4, v100
	;; [unrolled: 1-line block ×5, first 2 shown]
	s_delay_alu instid0(VALU_DEP_4)
	v_dual_fmac_f32 v74, v4, v76 :: v_dual_add_f32 v151, v151, v98
	v_fmac_f32_e32 v66, v4, v68
	v_fmac_f32_e32 v58, v4, v60
	;; [unrolled: 1-line block ×8, first 2 shown]
	s_delay_alu instid0(VALU_DEP_4)
	v_dual_fmac_f32 v18, v4, v20 :: v_dual_add_f32 v165, v165, v38
	v_fmac_f32_e32 v6, v4, v8
	v_fmac_f32_e32 v2, v4, v92
	v_add_f32_e32 v144, v144, v126
	v_add_f32_e32 v146, v146, v118
	v_add_f32_e32 v148, v148, v110
	v_add_f32_e32 v150, v150, v102
	v_add_f32_e32 v152, v152, v94
	v_add_f32_e32 v154, v154, v82
	v_add_f32_e32 v156, v156, v74
	v_add_f32_e32 v158, v158, v66
	v_add_f32_e32 v160, v160, v58
	v_add_f32_e32 v162, v162, v50
	v_add_f32_e32 v164, v164, v42
	v_add_f32_e32 v166, v166, v34
	v_add_f32_e32 v168, v168, v26
	v_add_f32_e32 v170, v170, v18
	v_add_f32_e32 v172, v172, v6
	v_add_f32_e32 v142, v142, v2
.LBB35_39:                              ;   in Loop: Header=BB35_40 Depth=1
	s_or_b32 exec_lo, exec_lo, s14
	v_add_nc_u32_e32 v133, 4, v133
	v_add_co_u32 v134, s0, v134, 16
	s_delay_alu instid0(VALU_DEP_1) | instskip(NEXT) | instid1(VALU_DEP_3)
	v_add_co_ci_u32_e64 v135, s0, 0, v135, s0
	v_cmp_le_i32_e32 vcc_lo, s8, v133
	v_add_nc_u32_e32 v137, 64, v137
	v_add_nc_u32_e32 v176, 0x100, v176
	s_or_b32 s3, vcc_lo, s3
	s_delay_alu instid0(SALU_CYCLE_1)
	s_and_not1_b32 exec_lo, exec_lo, s3
	s_cbranch_execz .LBB35_105
.LBB35_40:                              ; =>This Inner Loop Header: Depth=1
	v_sub_nc_u32_e32 v1, 0, v137
	s_delay_alu instid0(VALU_DEP_1) | instskip(NEXT) | instid1(VALU_DEP_1)
	v_max_i32_e32 v1, v137, v1
	v_mul_hi_u32 v2, v1, s25
	s_delay_alu instid0(VALU_DEP_1) | instskip(NEXT) | instid1(VALU_DEP_1)
	v_mul_lo_u32 v3, v2, s21
	v_sub_nc_u32_e32 v1, v1, v3
	v_add_nc_u32_e32 v3, 1, v2
	s_delay_alu instid0(VALU_DEP_2) | instskip(SKIP_1) | instid1(VALU_DEP_2)
	v_subrev_nc_u32_e32 v4, s21, v1
	v_cmp_le_u32_e32 vcc_lo, s21, v1
	v_dual_cndmask_b32 v2, v2, v3 :: v_dual_cndmask_b32 v1, v1, v4
	v_ashrrev_i32_e32 v3, 31, v137
	s_delay_alu instid0(VALU_DEP_2) | instskip(NEXT) | instid1(VALU_DEP_3)
	v_add_nc_u32_e32 v4, 1, v2
	v_cmp_le_u32_e32 vcc_lo, s21, v1
	s_delay_alu instid0(VALU_DEP_3) | instskip(NEXT) | instid1(VALU_DEP_3)
	v_xor_b32_e32 v3, s11, v3
	v_cndmask_b32_e32 v1, v2, v4, vcc_lo
	s_delay_alu instid0(VALU_DEP_1) | instskip(NEXT) | instid1(VALU_DEP_1)
	v_xor_b32_e32 v1, v1, v3
	v_sub_nc_u32_e32 v1, v1, v3
	s_delay_alu instid0(VALU_DEP_1) | instskip(SKIP_1) | instid1(VALU_DEP_2)
	v_add_nc_u32_e32 v2, s33, v1
	v_cmp_lt_i32_e64 s0, s2, v1
	v_sub_nc_u32_e32 v3, 0, v2
	s_delay_alu instid0(VALU_DEP_1) | instskip(NEXT) | instid1(VALU_DEP_1)
	v_max_i32_e32 v3, v2, v3
	v_mul_hi_u32 v4, v3, v175
	s_delay_alu instid0(VALU_DEP_1) | instskip(NEXT) | instid1(VALU_DEP_1)
	v_mul_lo_u32 v4, v4, s10
	v_sub_nc_u32_e32 v3, v3, v4
	s_delay_alu instid0(VALU_DEP_1) | instskip(SKIP_1) | instid1(VALU_DEP_2)
	v_subrev_nc_u32_e32 v4, s10, v3
	v_cmp_le_u32_e32 vcc_lo, s10, v3
	v_cndmask_b32_e32 v3, v3, v4, vcc_lo
	v_ashrrev_i32_e32 v2, 31, v2
	s_delay_alu instid0(VALU_DEP_2) | instskip(SKIP_1) | instid1(VALU_DEP_2)
	v_subrev_nc_u32_e32 v4, s10, v3
	v_cmp_le_u32_e32 vcc_lo, s10, v3
	v_cndmask_b32_e32 v3, v3, v4, vcc_lo
	s_delay_alu instid0(VALU_DEP_1) | instskip(NEXT) | instid1(VALU_DEP_1)
	v_xor_b32_e32 v3, v3, v2
	v_sub_nc_u32_e32 v2, v3, v2
	s_delay_alu instid0(VALU_DEP_1) | instskip(SKIP_1) | instid1(SALU_CYCLE_1)
	v_cmp_eq_u32_e32 vcc_lo, 0, v2
	s_or_b32 s0, vcc_lo, s0
	s_and_saveexec_b32 s14, s0
	s_cbranch_execz .LBB35_39
; %bb.41:                               ;   in Loop: Header=BB35_40 Depth=1
	global_load_b32 v3, v[134:135], off
	scratch_load_b32 v9, off, off           ; 4-byte Folded Reload
	s_waitcnt vmcnt(1)
	v_mad_i64_i32 v[1:2], null, v3, s5, 0
	s_waitcnt vmcnt(0)
	v_add_nc_u32_e32 v184, v9, v137
	s_delay_alu instid0(VALU_DEP_1) | instskip(NEXT) | instid1(VALU_DEP_3)
	v_add_nc_u32_e32 v186, 1, v184
	v_lshlrev_b64 v[1:2], 2, v[1:2]
	v_add_nc_u32_e32 v185, 2, v184
	v_add_nc_u32_e32 v183, 3, v184
	s_delay_alu instid0(VALU_DEP_3) | instskip(SKIP_4) | instid1(VALU_DEP_2)
	v_add_co_u32 v89, vcc_lo, s7, v1
	scratch_load_b32 v1, off, off offset:4  ; 4-byte Folded Reload
	v_add_co_ci_u32_e32 v90, vcc_lo, s9, v2, vcc_lo
	s_waitcnt vmcnt(0)
	v_add_co_u32 v33, vcc_lo, v89, v1
	v_add_co_ci_u32_e32 v34, vcc_lo, 0, v90, vcc_lo
	ds_load_b128 v[1:4], v176
	v_cmp_eq_u32_e32 vcc_lo, s13, v133
	global_load_b128 v[5:8], v[33:34], off
	s_and_saveexec_b32 s16, vcc_lo
	s_cbranch_execnz .LBB35_98
; %bb.42:                               ;   in Loop: Header=BB35_40 Depth=1
	s_or_b32 exec_lo, exec_lo, s16
	global_load_b128 v[9:12], v[33:34], off offset:512
	s_and_saveexec_b32 s16, vcc_lo
	s_cbranch_execnz .LBB35_99
.LBB35_43:                              ;   in Loop: Header=BB35_40 Depth=1
	s_or_b32 exec_lo, exec_lo, s16
	global_load_b128 v[13:16], v[33:34], off offset:1024
	s_and_saveexec_b32 s16, vcc_lo
	s_cbranch_execnz .LBB35_100
.LBB35_44:                              ;   in Loop: Header=BB35_40 Depth=1
	s_or_b32 exec_lo, exec_lo, s16
	global_load_b128 v[17:20], v[33:34], off offset:1536
	s_and_saveexec_b32 s16, vcc_lo
	s_cbranch_execnz .LBB35_101
.LBB35_45:                              ;   in Loop: Header=BB35_40 Depth=1
	s_or_b32 exec_lo, exec_lo, s16
	global_load_b128 v[21:24], v[33:34], off offset:2048
	s_and_saveexec_b32 s16, vcc_lo
	s_cbranch_execnz .LBB35_102
.LBB35_46:                              ;   in Loop: Header=BB35_40 Depth=1
	s_or_b32 exec_lo, exec_lo, s16
	global_load_b128 v[25:28], v[33:34], off offset:2560
	s_and_saveexec_b32 s16, vcc_lo
	s_cbranch_execnz .LBB35_103
.LBB35_47:                              ;   in Loop: Header=BB35_40 Depth=1
	s_or_b32 exec_lo, exec_lo, s16
	global_load_b128 v[29:32], v[33:34], off offset:3072
	s_and_saveexec_b32 s16, vcc_lo
	s_cbranch_execnz .LBB35_104
.LBB35_48:                              ;   in Loop: Header=BB35_40 Depth=1
	s_or_b32 exec_lo, exec_lo, s16
	global_load_b128 v[33:36], v[33:34], off offset:3584
	s_and_saveexec_b32 s16, vcc_lo
	s_cbranch_execz .LBB35_50
.LBB35_49:                              ;   in Loop: Header=BB35_40 Depth=1
	v_cmp_gt_i32_e64 s0, s15, v184
	s_waitcnt vmcnt(0)
	s_delay_alu instid0(VALU_DEP_1) | instskip(SKIP_1) | instid1(VALU_DEP_1)
	v_cndmask_b32_e64 v33, 0, v33, s0
	v_cmp_gt_i32_e64 s0, s15, v186
	v_cndmask_b32_e64 v34, 0, v34, s0
	v_cmp_gt_i32_e64 s0, s15, v185
	s_delay_alu instid0(VALU_DEP_1) | instskip(SKIP_1) | instid1(VALU_DEP_1)
	v_cndmask_b32_e64 v35, 0, v35, s0
	v_cmp_gt_i32_e64 s0, s15, v183
	v_cndmask_b32_e64 v36, 0, v36, s0
.LBB35_50:                              ;   in Loop: Header=BB35_40 Depth=1
	s_or_b32 exec_lo, exec_lo, s16
	scratch_load_b32 v37, off, off offset:8 ; 4-byte Folded Reload
	s_waitcnt vmcnt(0)
	v_add_co_u32 v37, s0, v89, v37
	s_delay_alu instid0(VALU_DEP_1)
	v_add_co_ci_u32_e64 v38, s0, 0, v90, s0
	global_load_b128 v[37:40], v[37:38], off
	s_and_saveexec_b32 s16, vcc_lo
	s_cbranch_execz .LBB35_52
; %bb.51:                               ;   in Loop: Header=BB35_40 Depth=1
	v_cmp_gt_i32_e64 s0, s15, v184
	s_waitcnt vmcnt(0)
	s_delay_alu instid0(VALU_DEP_1) | instskip(SKIP_1) | instid1(VALU_DEP_1)
	v_cndmask_b32_e64 v37, 0, v37, s0
	v_cmp_gt_i32_e64 s0, s15, v186
	v_cndmask_b32_e64 v38, 0, v38, s0
	v_cmp_gt_i32_e64 s0, s15, v185
	s_delay_alu instid0(VALU_DEP_1) | instskip(SKIP_1) | instid1(VALU_DEP_1)
	v_cndmask_b32_e64 v39, 0, v39, s0
	v_cmp_gt_i32_e64 s0, s15, v183
	v_cndmask_b32_e64 v40, 0, v40, s0
.LBB35_52:                              ;   in Loop: Header=BB35_40 Depth=1
	s_or_b32 exec_lo, exec_lo, s16
	scratch_load_b32 v41, off, off offset:12 ; 4-byte Folded Reload
	s_waitcnt vmcnt(0)
	v_add_co_u32 v41, s0, v89, v41
	s_delay_alu instid0(VALU_DEP_1)
	v_add_co_ci_u32_e64 v42, s0, 0, v90, s0
	global_load_b128 v[41:44], v[41:42], off
	s_and_saveexec_b32 s16, vcc_lo
	s_cbranch_execz .LBB35_54
; %bb.53:                               ;   in Loop: Header=BB35_40 Depth=1
	v_cmp_gt_i32_e64 s0, s15, v184
	s_waitcnt vmcnt(0)
	s_delay_alu instid0(VALU_DEP_1) | instskip(SKIP_1) | instid1(VALU_DEP_1)
	v_cndmask_b32_e64 v41, 0, v41, s0
	v_cmp_gt_i32_e64 s0, s15, v186
	v_cndmask_b32_e64 v42, 0, v42, s0
	v_cmp_gt_i32_e64 s0, s15, v185
	s_delay_alu instid0(VALU_DEP_1) | instskip(SKIP_1) | instid1(VALU_DEP_1)
	v_cndmask_b32_e64 v43, 0, v43, s0
	v_cmp_gt_i32_e64 s0, s15, v183
	v_cndmask_b32_e64 v44, 0, v44, s0
.LBB35_54:                              ;   in Loop: Header=BB35_40 Depth=1
	;; [unrolled: 22-line block ×9, first 2 shown]
	s_or_b32 exec_lo, exec_lo, s16
	v_add_co_u32 v73, s0, v89, v187
	s_delay_alu instid0(VALU_DEP_1)
	v_add_co_ci_u32_e64 v74, s0, 0, v90, s0
	global_load_b128 v[73:76], v[73:74], off
	s_and_saveexec_b32 s16, vcc_lo
	s_cbranch_execz .LBB35_70
; %bb.69:                               ;   in Loop: Header=BB35_40 Depth=1
	v_cmp_gt_i32_e64 s0, s15, v184
	s_waitcnt vmcnt(0)
	s_delay_alu instid0(VALU_DEP_1) | instskip(SKIP_1) | instid1(VALU_DEP_1)
	v_cndmask_b32_e64 v73, 0, v73, s0
	v_cmp_gt_i32_e64 s0, s15, v186
	v_cndmask_b32_e64 v74, 0, v74, s0
	v_cmp_gt_i32_e64 s0, s15, v185
	s_delay_alu instid0(VALU_DEP_1) | instskip(SKIP_1) | instid1(VALU_DEP_1)
	v_cndmask_b32_e64 v75, 0, v75, s0
	v_cmp_gt_i32_e64 s0, s15, v183
	v_cndmask_b32_e64 v76, 0, v76, s0
.LBB35_70:                              ;   in Loop: Header=BB35_40 Depth=1
	s_or_b32 exec_lo, exec_lo, s16
	v_add_co_u32 v77, s0, v89, v188
	s_delay_alu instid0(VALU_DEP_1)
	v_add_co_ci_u32_e64 v78, s0, 0, v90, s0
	global_load_b128 v[77:80], v[77:78], off
	s_and_saveexec_b32 s16, vcc_lo
	s_cbranch_execz .LBB35_72
; %bb.71:                               ;   in Loop: Header=BB35_40 Depth=1
	v_cmp_gt_i32_e64 s0, s15, v184
	s_waitcnt vmcnt(0)
	s_delay_alu instid0(VALU_DEP_1) | instskip(SKIP_1) | instid1(VALU_DEP_1)
	v_cndmask_b32_e64 v77, 0, v77, s0
	v_cmp_gt_i32_e64 s0, s15, v186
	v_cndmask_b32_e64 v78, 0, v78, s0
	v_cmp_gt_i32_e64 s0, s15, v185
	s_delay_alu instid0(VALU_DEP_1) | instskip(SKIP_1) | instid1(VALU_DEP_1)
	v_cndmask_b32_e64 v79, 0, v79, s0
	v_cmp_gt_i32_e64 s0, s15, v183
	v_cndmask_b32_e64 v80, 0, v80, s0
.LBB35_72:                              ;   in Loop: Header=BB35_40 Depth=1
	;; [unrolled: 20-line block ×14, first 2 shown]
	s_or_b32 exec_lo, exec_lo, s16
	v_add_co_u32 v89, s0, v89, v182
	s_delay_alu instid0(VALU_DEP_1)
	v_add_co_ci_u32_e64 v90, s0, 0, v90, s0
	global_load_b128 v[89:92], v[89:90], off
	s_and_saveexec_b32 s0, vcc_lo
	s_cbranch_execz .LBB35_38
; %bb.97:                               ;   in Loop: Header=BB35_40 Depth=1
	v_cmp_gt_i32_e32 vcc_lo, s15, v184
	s_waitcnt vmcnt(0)
	v_cndmask_b32_e32 v89, 0, v89, vcc_lo
	v_cmp_gt_i32_e32 vcc_lo, s15, v186
	v_cndmask_b32_e32 v90, 0, v90, vcc_lo
	v_cmp_gt_i32_e32 vcc_lo, s15, v185
	;; [unrolled: 2-line block ×3, first 2 shown]
	v_cndmask_b32_e32 v92, 0, v92, vcc_lo
	s_branch .LBB35_38
.LBB35_98:                              ;   in Loop: Header=BB35_40 Depth=1
	v_cmp_gt_i32_e64 s0, s15, v184
	s_waitcnt vmcnt(0)
	s_delay_alu instid0(VALU_DEP_1) | instskip(SKIP_1) | instid1(VALU_DEP_1)
	v_cndmask_b32_e64 v5, 0, v5, s0
	v_cmp_gt_i32_e64 s0, s15, v186
	v_cndmask_b32_e64 v6, 0, v6, s0
	v_cmp_gt_i32_e64 s0, s15, v185
	s_delay_alu instid0(VALU_DEP_1) | instskip(SKIP_1) | instid1(VALU_DEP_1)
	v_cndmask_b32_e64 v7, 0, v7, s0
	v_cmp_gt_i32_e64 s0, s15, v183
	v_cndmask_b32_e64 v8, 0, v8, s0
	s_or_b32 exec_lo, exec_lo, s16
	global_load_b128 v[9:12], v[33:34], off offset:512
	s_and_saveexec_b32 s16, vcc_lo
	s_cbranch_execz .LBB35_43
.LBB35_99:                              ;   in Loop: Header=BB35_40 Depth=1
	v_cmp_gt_i32_e64 s0, s15, v184
	s_waitcnt vmcnt(0)
	s_delay_alu instid0(VALU_DEP_1) | instskip(SKIP_1) | instid1(VALU_DEP_1)
	v_cndmask_b32_e64 v9, 0, v9, s0
	v_cmp_gt_i32_e64 s0, s15, v186
	v_cndmask_b32_e64 v10, 0, v10, s0
	v_cmp_gt_i32_e64 s0, s15, v185
	s_delay_alu instid0(VALU_DEP_1) | instskip(SKIP_1) | instid1(VALU_DEP_1)
	v_cndmask_b32_e64 v11, 0, v11, s0
	v_cmp_gt_i32_e64 s0, s15, v183
	v_cndmask_b32_e64 v12, 0, v12, s0
	s_or_b32 exec_lo, exec_lo, s16
	global_load_b128 v[13:16], v[33:34], off offset:1024
	s_and_saveexec_b32 s16, vcc_lo
	s_cbranch_execz .LBB35_44
.LBB35_100:                             ;   in Loop: Header=BB35_40 Depth=1
	v_cmp_gt_i32_e64 s0, s15, v184
	s_waitcnt vmcnt(0)
	s_delay_alu instid0(VALU_DEP_1) | instskip(SKIP_1) | instid1(VALU_DEP_1)
	v_cndmask_b32_e64 v13, 0, v13, s0
	v_cmp_gt_i32_e64 s0, s15, v186
	v_cndmask_b32_e64 v14, 0, v14, s0
	v_cmp_gt_i32_e64 s0, s15, v185
	s_delay_alu instid0(VALU_DEP_1) | instskip(SKIP_1) | instid1(VALU_DEP_1)
	v_cndmask_b32_e64 v15, 0, v15, s0
	v_cmp_gt_i32_e64 s0, s15, v183
	v_cndmask_b32_e64 v16, 0, v16, s0
	s_or_b32 exec_lo, exec_lo, s16
	global_load_b128 v[17:20], v[33:34], off offset:1536
	s_and_saveexec_b32 s16, vcc_lo
	s_cbranch_execz .LBB35_45
.LBB35_101:                             ;   in Loop: Header=BB35_40 Depth=1
	v_cmp_gt_i32_e64 s0, s15, v184
	s_waitcnt vmcnt(0)
	s_delay_alu instid0(VALU_DEP_1) | instskip(SKIP_1) | instid1(VALU_DEP_1)
	v_cndmask_b32_e64 v17, 0, v17, s0
	v_cmp_gt_i32_e64 s0, s15, v186
	v_cndmask_b32_e64 v18, 0, v18, s0
	v_cmp_gt_i32_e64 s0, s15, v185
	s_delay_alu instid0(VALU_DEP_1) | instskip(SKIP_1) | instid1(VALU_DEP_1)
	v_cndmask_b32_e64 v19, 0, v19, s0
	v_cmp_gt_i32_e64 s0, s15, v183
	v_cndmask_b32_e64 v20, 0, v20, s0
	s_or_b32 exec_lo, exec_lo, s16
	global_load_b128 v[21:24], v[33:34], off offset:2048
	s_and_saveexec_b32 s16, vcc_lo
	s_cbranch_execz .LBB35_46
.LBB35_102:                             ;   in Loop: Header=BB35_40 Depth=1
	v_cmp_gt_i32_e64 s0, s15, v184
	s_waitcnt vmcnt(0)
	s_delay_alu instid0(VALU_DEP_1) | instskip(SKIP_1) | instid1(VALU_DEP_1)
	v_cndmask_b32_e64 v21, 0, v21, s0
	v_cmp_gt_i32_e64 s0, s15, v186
	v_cndmask_b32_e64 v22, 0, v22, s0
	v_cmp_gt_i32_e64 s0, s15, v185
	s_delay_alu instid0(VALU_DEP_1) | instskip(SKIP_1) | instid1(VALU_DEP_1)
	v_cndmask_b32_e64 v23, 0, v23, s0
	v_cmp_gt_i32_e64 s0, s15, v183
	v_cndmask_b32_e64 v24, 0, v24, s0
	s_or_b32 exec_lo, exec_lo, s16
	global_load_b128 v[25:28], v[33:34], off offset:2560
	s_and_saveexec_b32 s16, vcc_lo
	s_cbranch_execz .LBB35_47
.LBB35_103:                             ;   in Loop: Header=BB35_40 Depth=1
	v_cmp_gt_i32_e64 s0, s15, v184
	s_waitcnt vmcnt(0)
	s_delay_alu instid0(VALU_DEP_1) | instskip(SKIP_1) | instid1(VALU_DEP_1)
	v_cndmask_b32_e64 v25, 0, v25, s0
	v_cmp_gt_i32_e64 s0, s15, v186
	v_cndmask_b32_e64 v26, 0, v26, s0
	v_cmp_gt_i32_e64 s0, s15, v185
	s_delay_alu instid0(VALU_DEP_1) | instskip(SKIP_1) | instid1(VALU_DEP_1)
	v_cndmask_b32_e64 v27, 0, v27, s0
	v_cmp_gt_i32_e64 s0, s15, v183
	v_cndmask_b32_e64 v28, 0, v28, s0
	s_or_b32 exec_lo, exec_lo, s16
	global_load_b128 v[29:32], v[33:34], off offset:3072
	s_and_saveexec_b32 s16, vcc_lo
	s_cbranch_execz .LBB35_48
.LBB35_104:                             ;   in Loop: Header=BB35_40 Depth=1
	v_cmp_gt_i32_e64 s0, s15, v184
	s_waitcnt vmcnt(0)
	s_delay_alu instid0(VALU_DEP_1) | instskip(SKIP_1) | instid1(VALU_DEP_1)
	v_cndmask_b32_e64 v29, 0, v29, s0
	v_cmp_gt_i32_e64 s0, s15, v186
	v_cndmask_b32_e64 v30, 0, v30, s0
	v_cmp_gt_i32_e64 s0, s15, v185
	s_delay_alu instid0(VALU_DEP_1) | instskip(SKIP_1) | instid1(VALU_DEP_1)
	v_cndmask_b32_e64 v31, 0, v31, s0
	v_cmp_gt_i32_e64 s0, s15, v183
	v_cndmask_b32_e64 v32, 0, v32, s0
	s_or_b32 exec_lo, exec_lo, s16
	global_load_b128 v[33:36], v[33:34], off offset:3584
	s_and_saveexec_b32 s16, vcc_lo
	s_cbranch_execnz .LBB35_49
	s_branch .LBB35_50
.LBB35_105:
	s_or_b32 exec_lo, exec_lo, s3
	v_lshrrev_b32_e32 v174, 5, v0
	v_and_b32_e32 v58, 31, v0
	v_and_b32_e32 v59, 3, v0
.LBB35_106:
	s_or_b32 exec_lo, exec_lo, s1
	ds_bpermute_b32 v1, v139, v172
	ds_bpermute_b32 v3, v139, v171
	;; [unrolled: 1-line block ×20, first 2 shown]
	s_waitcnt lgkmcnt(19)
	v_add_f32_e32 v1, v172, v1
	s_waitcnt lgkmcnt(18)
	v_add_f32_e32 v3, v171, v3
	s_waitcnt lgkmcnt(16)
	v_dual_add_f32 v5, v169, v5 :: v_dual_add_f32 v6, v168, v6
	s_waitcnt lgkmcnt(15)
	v_add_f32_e32 v9, v165, v9
	s_waitcnt lgkmcnt(14)
	v_add_f32_e32 v2, v173, v2
	;; [unrolled: 2-line block ×4, first 2 shown]
	ds_bpermute_b32 v13, v140, v1
	ds_bpermute_b32 v15, v140, v3
	;; [unrolled: 1-line block ×8, first 2 shown]
	s_waitcnt lgkmcnt(18)
	v_dual_add_f32 v7, v167, v7 :: v_dual_add_f32 v8, v166, v8
	s_waitcnt lgkmcnt(16)
	v_dual_add_f32 v11, v163, v11 :: v_dual_add_f32 v12, v162, v12
	s_waitcnt lgkmcnt(9)
	v_dual_add_f32 v31, v148, v31 :: v_dual_add_f32 v32, v147, v32
	ds_bpermute_b32 v19, v140, v7
	ds_bpermute_b32 v20, v140, v8
	;; [unrolled: 1-line block ×6, first 2 shown]
	s_waitcnt lgkmcnt(13)
	v_add_f32_e32 v1, v1, v13
	s_waitcnt lgkmcnt(12)
	v_add_f32_e32 v3, v3, v15
	s_waitcnt lgkmcnt(10)
	v_dual_add_f32 v5, v5, v17 :: v_dual_add_f32 v6, v6, v18
	ds_bpermute_b32 v13, v139, v156
	s_waitcnt lgkmcnt(10)
	v_add_f32_e32 v9, v9, v21
	ds_bpermute_b32 v15, v139, v155
	s_waitcnt lgkmcnt(8)
	v_add_f32_e32 v10, v10, v22
	ds_bpermute_b32 v17, v139, v154
	ds_bpermute_b32 v18, v139, v153
	;; [unrolled: 1-line block ×3, first 2 shown]
	v_add_f32_e32 v2, v2, v14
	v_add_f32_e32 v4, v4, v16
	;; [unrolled: 1-line block ×3, first 2 shown]
	v_dual_add_f32 v16, v160, v26 :: v_dual_add_f32 v25, v157, v29
	v_add_f32_e32 v22, v158, v28
	ds_bpermute_b32 v26, v139, v151
	ds_bpermute_b32 v29, v139, v149
	s_waitcnt lgkmcnt(11)
	v_dual_add_f32 v7, v7, v19 :: v_dual_add_f32 v8, v8, v20
	v_add_f32_e32 v19, v159, v27
	s_waitcnt lgkmcnt(9)
	v_dual_add_f32 v11, v11, v23 :: v_dual_add_f32 v12, v12, v24
	ds_bpermute_b32 v20, v140, v14
	ds_bpermute_b32 v23, v140, v16
	s_waitcnt lgkmcnt(7)
	v_add_f32_e32 v34, v155, v15
	ds_bpermute_b32 v15, v139, v146
	s_waitcnt lgkmcnt(7)
	v_add_f32_e32 v35, v154, v17
	v_add_f32_e32 v28, v156, v13
	ds_bpermute_b32 v13, v139, v150
	s_waitcnt lgkmcnt(7)
	v_add_f32_e32 v36, v153, v18
	ds_bpermute_b32 v17, v139, v145
	ds_bpermute_b32 v18, v139, v144
	s_waitcnt lgkmcnt(8)
	v_add_f32_e32 v37, v152, v21
	ds_bpermute_b32 v21, v139, v143
	ds_bpermute_b32 v24, v140, v19
	s_waitcnt lgkmcnt(8)
	v_dual_add_f32 v26, v151, v26 :: v_dual_add_f32 v29, v149, v29
	v_add_f32_e32 v38, v142, v38
	ds_bpermute_b32 v27, v140, v22
	ds_bpermute_b32 v30, v140, v25
	;; [unrolled: 1-line block ×7, first 2 shown]
	s_waitcnt lgkmcnt(12)
	v_add_f32_e32 v47, v146, v15
	ds_bpermute_b32 v33, v140, v28
	ds_bpermute_b32 v57, v140, v38
	s_waitcnt lgkmcnt(13)
	v_add_f32_e32 v43, v150, v13
	ds_bpermute_b32 v41, v140, v36
	s_waitcnt lgkmcnt(12)
	v_dual_add_f32 v50, v145, v17 :: v_dual_add_f32 v51, v144, v18
	ds_bpermute_b32 v52, v140, v47
	s_waitcnt lgkmcnt(12)
	v_add_f32_e32 v53, v143, v21
	ds_bpermute_b32 v45, v140, v43
	ds_bpermute_b32 v54, v140, v50
	;; [unrolled: 1-line block ×3, first 2 shown]
	v_dual_add_f32 v13, v14, v20 :: v_dual_add_f32 v14, v16, v23
	ds_bpermute_b32 v56, v140, v53
	s_waitcnt lgkmcnt(14)
	v_dual_add_f32 v15, v19, v24 :: v_dual_add_f32 v16, v22, v27
	s_waitcnt lgkmcnt(13)
	v_add_f32_e32 v17, v25, v30
	s_waitcnt lgkmcnt(11)
	v_dual_add_f32 v19, v34, v39 :: v_dual_add_f32 v20, v35, v40
	s_waitcnt lgkmcnt(10)
	v_add_f32_e32 v22, v37, v42
	s_waitcnt lgkmcnt(7)
	v_dual_add_f32 v18, v28, v33 :: v_dual_add_f32 v23, v26, v44
	v_dual_add_f32 v25, v29, v46 :: v_dual_add_f32 v26, v31, v48
	s_waitcnt lgkmcnt(5)
	v_add_f32_e32 v21, v36, v41
	s_waitcnt lgkmcnt(4)
	v_dual_add_f32 v27, v32, v49 :: v_dual_add_f32 v28, v47, v52
	v_dual_add_f32 v32, v38, v57 :: v_dual_and_b32 v35, 0x3c3, v0
	s_waitcnt lgkmcnt(2)
	v_dual_add_f32 v24, v43, v45 :: v_dual_add_f32 v29, v50, v54
	s_waitcnt lgkmcnt(1)
	v_add_f32_e32 v30, v51, v55
	v_lshrrev_b32_e32 v33, 2, v58
	s_waitcnt lgkmcnt(0)
	v_add_f32_e32 v31, v53, v56
	v_lshl_add_u32 v34, v174, 10, 0x420
	s_mov_b32 s0, exec_lo
	s_waitcnt_vscnt null, 0x0
	s_barrier
	buffer_gl0_inv
	v_cmpx_eq_u32_e32 64, v35
	s_cbranch_execz .LBB35_108
; %bb.107:
	v_lshlrev_b32_e32 v35, 2, v33
	s_delay_alu instid0(VALU_DEP_1)
	v_add3_u32 v35, v34, v35, 0xfffff800
	ds_store_2addr_b32 v35, v1, v2 offset1:8
	ds_store_2addr_b32 v35, v3, v4 offset0:16 offset1:24
	ds_store_2addr_b32 v35, v5, v6 offset0:32 offset1:40
	;; [unrolled: 1-line block ×15, first 2 shown]
.LBB35_108:
	s_or_b32 exec_lo, exec_lo, s0
	v_cmp_eq_u32_e32 vcc_lo, 0, v59
	s_mov_b32 s1, exec_lo
	s_waitcnt lgkmcnt(0)
	s_barrier
	buffer_gl0_inv
	v_cmpx_gt_u32_e32 64, v0
	s_cbranch_execz .LBB35_143
; %bb.109:
	s_and_saveexec_b32 s0, vcc_lo
	s_cbranch_execnz .LBB35_183
; %bb.110:
	s_or_b32 exec_lo, exec_lo, s0
	s_and_saveexec_b32 s0, vcc_lo
	s_cbranch_execnz .LBB35_184
.LBB35_111:
	s_or_b32 exec_lo, exec_lo, s0
	s_and_saveexec_b32 s0, vcc_lo
	s_cbranch_execnz .LBB35_185
.LBB35_112:
	s_or_b32 exec_lo, exec_lo, s0
	s_and_saveexec_b32 s0, vcc_lo
	s_cbranch_execnz .LBB35_186
.LBB35_113:
	s_or_b32 exec_lo, exec_lo, s0
	s_and_saveexec_b32 s0, vcc_lo
	s_cbranch_execnz .LBB35_187
.LBB35_114:
	s_or_b32 exec_lo, exec_lo, s0
	s_and_saveexec_b32 s0, vcc_lo
	s_cbranch_execnz .LBB35_188
.LBB35_115:
	s_or_b32 exec_lo, exec_lo, s0
	s_and_saveexec_b32 s0, vcc_lo
	s_cbranch_execnz .LBB35_189
.LBB35_116:
	s_or_b32 exec_lo, exec_lo, s0
	s_and_saveexec_b32 s0, vcc_lo
	s_cbranch_execnz .LBB35_190
.LBB35_117:
	s_or_b32 exec_lo, exec_lo, s0
	s_and_saveexec_b32 s0, vcc_lo
	s_cbranch_execnz .LBB35_191
.LBB35_118:
	s_or_b32 exec_lo, exec_lo, s0
	s_and_saveexec_b32 s0, vcc_lo
	s_cbranch_execnz .LBB35_192
.LBB35_119:
	s_or_b32 exec_lo, exec_lo, s0
	s_and_saveexec_b32 s0, vcc_lo
	s_cbranch_execnz .LBB35_193
.LBB35_120:
	s_or_b32 exec_lo, exec_lo, s0
	s_and_saveexec_b32 s0, vcc_lo
	s_cbranch_execnz .LBB35_194
.LBB35_121:
	s_or_b32 exec_lo, exec_lo, s0
	s_and_saveexec_b32 s0, vcc_lo
	s_cbranch_execnz .LBB35_195
.LBB35_122:
	s_or_b32 exec_lo, exec_lo, s0
	s_and_saveexec_b32 s0, vcc_lo
	s_cbranch_execnz .LBB35_196
.LBB35_123:
	s_or_b32 exec_lo, exec_lo, s0
	s_and_saveexec_b32 s0, vcc_lo
	s_cbranch_execnz .LBB35_197
.LBB35_124:
	s_or_b32 exec_lo, exec_lo, s0
	s_and_saveexec_b32 s0, vcc_lo
	s_cbranch_execnz .LBB35_198
.LBB35_125:
	s_or_b32 exec_lo, exec_lo, s0
	s_and_saveexec_b32 s0, vcc_lo
	s_cbranch_execnz .LBB35_199
.LBB35_126:
	s_or_b32 exec_lo, exec_lo, s0
	s_and_saveexec_b32 s0, vcc_lo
	s_cbranch_execnz .LBB35_200
.LBB35_127:
	s_or_b32 exec_lo, exec_lo, s0
	s_and_saveexec_b32 s0, vcc_lo
	s_cbranch_execnz .LBB35_201
.LBB35_128:
	s_or_b32 exec_lo, exec_lo, s0
	s_and_saveexec_b32 s0, vcc_lo
	s_cbranch_execnz .LBB35_202
.LBB35_129:
	s_or_b32 exec_lo, exec_lo, s0
	s_and_saveexec_b32 s0, vcc_lo
	s_cbranch_execnz .LBB35_203
.LBB35_130:
	s_or_b32 exec_lo, exec_lo, s0
	s_and_saveexec_b32 s0, vcc_lo
	s_cbranch_execnz .LBB35_204
.LBB35_131:
	s_or_b32 exec_lo, exec_lo, s0
	s_and_saveexec_b32 s0, vcc_lo
	s_cbranch_execnz .LBB35_205
.LBB35_132:
	s_or_b32 exec_lo, exec_lo, s0
	s_and_saveexec_b32 s0, vcc_lo
	s_cbranch_execnz .LBB35_206
.LBB35_133:
	s_or_b32 exec_lo, exec_lo, s0
	s_and_saveexec_b32 s0, vcc_lo
	s_cbranch_execnz .LBB35_207
.LBB35_134:
	s_or_b32 exec_lo, exec_lo, s0
	s_and_saveexec_b32 s0, vcc_lo
	s_cbranch_execnz .LBB35_208
.LBB35_135:
	s_or_b32 exec_lo, exec_lo, s0
	s_and_saveexec_b32 s0, vcc_lo
	s_cbranch_execnz .LBB35_209
.LBB35_136:
	s_or_b32 exec_lo, exec_lo, s0
	s_and_saveexec_b32 s0, vcc_lo
	s_cbranch_execnz .LBB35_210
.LBB35_137:
	s_or_b32 exec_lo, exec_lo, s0
	s_and_saveexec_b32 s0, vcc_lo
	s_cbranch_execnz .LBB35_211
.LBB35_138:
	s_or_b32 exec_lo, exec_lo, s0
	s_and_saveexec_b32 s0, vcc_lo
	s_cbranch_execnz .LBB35_212
.LBB35_139:
	s_or_b32 exec_lo, exec_lo, s0
	s_and_saveexec_b32 s0, vcc_lo
	s_cbranch_execnz .LBB35_213
.LBB35_140:
	s_or_b32 exec_lo, exec_lo, s0
	s_and_saveexec_b32 s0, vcc_lo
	s_cbranch_execz .LBB35_142
.LBB35_141:
	v_lshl_add_u32 v35, v33, 2, v34
	ds_load_b32 v35, v35 offset:992
	s_waitcnt lgkmcnt(0)
	v_add_f32_e32 v32, v32, v35
.LBB35_142:
	s_or_b32 exec_lo, exec_lo, s0
.LBB35_143:
	s_delay_alu instid0(SALU_CYCLE_1)
	s_or_b32 exec_lo, exec_lo, s1
	v_and_b32_e32 v35, 0x3e3, v0
	s_mov_b32 s1, exec_lo
	s_barrier
	buffer_gl0_inv
	v_cmpx_eq_u32_e32 32, v35
	s_cbranch_execz .LBB35_145
; %bb.144:
	v_lshl_add_u32 v36, v33, 2, 0x420
	ds_store_2addr_b32 v36, v1, v2 offset1:8
	ds_store_2addr_b32 v36, v3, v4 offset0:16 offset1:24
	ds_store_2addr_b32 v36, v5, v6 offset0:32 offset1:40
	ds_store_2addr_b32 v36, v7, v8 offset0:48 offset1:56
	ds_store_2addr_b32 v36, v9, v10 offset0:64 offset1:72
	ds_store_2addr_b32 v36, v11, v12 offset0:80 offset1:88
	ds_store_2addr_b32 v36, v13, v14 offset0:96 offset1:104
	ds_store_2addr_b32 v36, v15, v16 offset0:112 offset1:120
	ds_store_2addr_b32 v36, v17, v18 offset0:128 offset1:136
	ds_store_2addr_b32 v36, v19, v20 offset0:144 offset1:152
	ds_store_2addr_b32 v36, v21, v22 offset0:160 offset1:168
	ds_store_2addr_b32 v36, v23, v24 offset0:176 offset1:184
	ds_store_2addr_b32 v36, v25, v26 offset0:192 offset1:200
	ds_store_2addr_b32 v36, v27, v28 offset0:208 offset1:216
	ds_store_2addr_b32 v36, v29, v30 offset0:224 offset1:232
	ds_store_2addr_b32 v36, v31, v32 offset0:240 offset1:248
.LBB35_145:
	s_or_b32 exec_lo, exec_lo, s1
	s_delay_alu instid0(SALU_CYCLE_1)
	s_mov_b32 s1, exec_lo
	s_waitcnt lgkmcnt(0)
	s_barrier
	buffer_gl0_inv
	v_cmpx_gt_u32_e32 32, v0
	s_cbranch_execz .LBB35_180
; %bb.146:
	v_lshl_add_u32 v33, v33, 2, v34
	s_and_saveexec_b32 s0, vcc_lo
	s_cbranch_execnz .LBB35_214
; %bb.147:
	s_or_b32 exec_lo, exec_lo, s0
	s_and_saveexec_b32 s0, vcc_lo
	s_cbranch_execnz .LBB35_215
.LBB35_148:
	s_or_b32 exec_lo, exec_lo, s0
	s_and_saveexec_b32 s0, vcc_lo
	s_cbranch_execnz .LBB35_216
.LBB35_149:
	s_or_b32 exec_lo, exec_lo, s0
	s_and_saveexec_b32 s0, vcc_lo
	s_cbranch_execnz .LBB35_217
.LBB35_150:
	s_or_b32 exec_lo, exec_lo, s0
	s_and_saveexec_b32 s0, vcc_lo
	s_cbranch_execnz .LBB35_218
.LBB35_151:
	s_or_b32 exec_lo, exec_lo, s0
	s_and_saveexec_b32 s0, vcc_lo
	s_cbranch_execnz .LBB35_219
.LBB35_152:
	s_or_b32 exec_lo, exec_lo, s0
	s_and_saveexec_b32 s0, vcc_lo
	s_cbranch_execnz .LBB35_220
.LBB35_153:
	s_or_b32 exec_lo, exec_lo, s0
	s_and_saveexec_b32 s0, vcc_lo
	s_cbranch_execnz .LBB35_221
.LBB35_154:
	s_or_b32 exec_lo, exec_lo, s0
	s_and_saveexec_b32 s0, vcc_lo
	s_cbranch_execnz .LBB35_222
.LBB35_155:
	s_or_b32 exec_lo, exec_lo, s0
	s_and_saveexec_b32 s0, vcc_lo
	s_cbranch_execnz .LBB35_223
.LBB35_156:
	s_or_b32 exec_lo, exec_lo, s0
	s_and_saveexec_b32 s0, vcc_lo
	s_cbranch_execnz .LBB35_224
.LBB35_157:
	s_or_b32 exec_lo, exec_lo, s0
	s_and_saveexec_b32 s0, vcc_lo
	s_cbranch_execnz .LBB35_225
.LBB35_158:
	s_or_b32 exec_lo, exec_lo, s0
	s_and_saveexec_b32 s0, vcc_lo
	s_cbranch_execnz .LBB35_226
.LBB35_159:
	s_or_b32 exec_lo, exec_lo, s0
	s_and_saveexec_b32 s0, vcc_lo
	s_cbranch_execnz .LBB35_227
.LBB35_160:
	s_or_b32 exec_lo, exec_lo, s0
	s_and_saveexec_b32 s0, vcc_lo
	s_cbranch_execnz .LBB35_228
.LBB35_161:
	s_or_b32 exec_lo, exec_lo, s0
	s_and_saveexec_b32 s0, vcc_lo
	s_cbranch_execnz .LBB35_229
.LBB35_162:
	s_or_b32 exec_lo, exec_lo, s0
	s_and_saveexec_b32 s0, vcc_lo
	s_cbranch_execnz .LBB35_230
.LBB35_163:
	s_or_b32 exec_lo, exec_lo, s0
	s_and_saveexec_b32 s0, vcc_lo
	s_cbranch_execnz .LBB35_231
.LBB35_164:
	s_or_b32 exec_lo, exec_lo, s0
	s_and_saveexec_b32 s0, vcc_lo
	s_cbranch_execnz .LBB35_232
.LBB35_165:
	s_or_b32 exec_lo, exec_lo, s0
	s_and_saveexec_b32 s0, vcc_lo
	s_cbranch_execnz .LBB35_233
.LBB35_166:
	s_or_b32 exec_lo, exec_lo, s0
	s_and_saveexec_b32 s0, vcc_lo
	s_cbranch_execnz .LBB35_234
.LBB35_167:
	s_or_b32 exec_lo, exec_lo, s0
	s_and_saveexec_b32 s0, vcc_lo
	s_cbranch_execnz .LBB35_235
.LBB35_168:
	s_or_b32 exec_lo, exec_lo, s0
	s_and_saveexec_b32 s0, vcc_lo
	s_cbranch_execnz .LBB35_236
.LBB35_169:
	s_or_b32 exec_lo, exec_lo, s0
	s_and_saveexec_b32 s0, vcc_lo
	s_cbranch_execnz .LBB35_237
.LBB35_170:
	s_or_b32 exec_lo, exec_lo, s0
	s_and_saveexec_b32 s0, vcc_lo
	s_cbranch_execnz .LBB35_238
.LBB35_171:
	s_or_b32 exec_lo, exec_lo, s0
	s_and_saveexec_b32 s0, vcc_lo
	s_cbranch_execnz .LBB35_239
.LBB35_172:
	s_or_b32 exec_lo, exec_lo, s0
	s_and_saveexec_b32 s0, vcc_lo
	s_cbranch_execnz .LBB35_240
.LBB35_173:
	s_or_b32 exec_lo, exec_lo, s0
	s_and_saveexec_b32 s0, vcc_lo
	s_cbranch_execnz .LBB35_241
.LBB35_174:
	s_or_b32 exec_lo, exec_lo, s0
	s_and_saveexec_b32 s0, vcc_lo
	s_cbranch_execnz .LBB35_242
.LBB35_175:
	s_or_b32 exec_lo, exec_lo, s0
	s_and_saveexec_b32 s0, vcc_lo
	s_cbranch_execnz .LBB35_243
.LBB35_176:
	s_or_b32 exec_lo, exec_lo, s0
	s_and_saveexec_b32 s0, vcc_lo
	s_cbranch_execnz .LBB35_244
.LBB35_177:
	s_or_b32 exec_lo, exec_lo, s0
	s_and_saveexec_b32 s0, vcc_lo
	s_cbranch_execz .LBB35_179
.LBB35_178:
	ds_load_b32 v33, v33 offset:992
	s_waitcnt lgkmcnt(0)
	v_add_f32_e32 v32, v32, v33
.LBB35_179:
	s_or_b32 exec_lo, exec_lo, s0
.LBB35_180:
	s_delay_alu instid0(SALU_CYCLE_1)
	s_or_b32 exec_lo, exec_lo, s1
	s_barrier
	buffer_gl0_inv
	s_mov_b32 s0, exec_lo
	v_cmpx_eq_u32_e32 0, v35
	s_cbranch_execz .LBB35_182
; %bb.181:
	s_lshl_b32 s0, s6, 8
	s_mul_i32 s2, s4, s20
	s_ashr_i32 s1, s0, 31
	s_delay_alu instid0(SALU_CYCLE_1) | instskip(NEXT) | instid1(SALU_CYCLE_1)
	s_lshl_b64 s[0:1], s[0:1], 2
	s_add_u32 s4, s22, s0
	s_addc_u32 s5, s23, s1
	s_ashr_i32 s3, s2, 31
	s_delay_alu instid0(SALU_CYCLE_1) | instskip(NEXT) | instid1(SALU_CYCLE_1)
	s_lshl_b64 s[0:1], s[2:3], 2
	s_add_u32 s2, s4, s0
	s_addc_u32 s3, s5, s1
	s_lshl_b32 s0, s12, 8
	s_delay_alu instid0(SALU_CYCLE_1) | instskip(NEXT) | instid1(SALU_CYCLE_1)
	s_ashr_i32 s1, s0, 31
	s_lshl_b64 s[0:1], s[0:1], 2
	s_delay_alu instid0(SALU_CYCLE_1)
	s_add_u32 s0, s2, s0
	s_addc_u32 s1, s3, s1
	s_clause 0x1f
	global_store_b32 v0, v1, s[0:1]
	global_store_b32 v0, v2, s[0:1] offset:32
	global_store_b32 v0, v3, s[0:1] offset:64
	;; [unrolled: 1-line block ×31, first 2 shown]
.LBB35_182:
	s_nop 0
	s_sendmsg sendmsg(MSG_DEALLOC_VGPRS)
	s_endpgm
.LBB35_183:
	v_lshl_add_u32 v35, v33, 2, v34
	ds_load_b32 v35, v35
	s_waitcnt lgkmcnt(0)
	v_add_f32_e32 v1, v1, v35
	s_or_b32 exec_lo, exec_lo, s0
	s_and_saveexec_b32 s0, vcc_lo
	s_cbranch_execz .LBB35_111
.LBB35_184:
	v_lshl_add_u32 v35, v33, 2, v34
	ds_load_b32 v35, v35 offset:32
	s_waitcnt lgkmcnt(0)
	v_add_f32_e32 v2, v2, v35
	s_or_b32 exec_lo, exec_lo, s0
	s_and_saveexec_b32 s0, vcc_lo
	s_cbranch_execz .LBB35_112
.LBB35_185:
	v_lshl_add_u32 v35, v33, 2, v34
	ds_load_b32 v35, v35 offset:64
	s_waitcnt lgkmcnt(0)
	v_add_f32_e32 v3, v3, v35
	s_or_b32 exec_lo, exec_lo, s0
	s_and_saveexec_b32 s0, vcc_lo
	s_cbranch_execz .LBB35_113
.LBB35_186:
	v_lshl_add_u32 v35, v33, 2, v34
	ds_load_b32 v35, v35 offset:96
	s_waitcnt lgkmcnt(0)
	v_add_f32_e32 v4, v4, v35
	s_or_b32 exec_lo, exec_lo, s0
	s_and_saveexec_b32 s0, vcc_lo
	s_cbranch_execz .LBB35_114
.LBB35_187:
	v_lshl_add_u32 v35, v33, 2, v34
	ds_load_b32 v35, v35 offset:128
	s_waitcnt lgkmcnt(0)
	v_add_f32_e32 v5, v5, v35
	s_or_b32 exec_lo, exec_lo, s0
	s_and_saveexec_b32 s0, vcc_lo
	s_cbranch_execz .LBB35_115
.LBB35_188:
	v_lshl_add_u32 v35, v33, 2, v34
	ds_load_b32 v35, v35 offset:160
	s_waitcnt lgkmcnt(0)
	v_add_f32_e32 v6, v6, v35
	s_or_b32 exec_lo, exec_lo, s0
	s_and_saveexec_b32 s0, vcc_lo
	s_cbranch_execz .LBB35_116
.LBB35_189:
	v_lshl_add_u32 v35, v33, 2, v34
	ds_load_b32 v35, v35 offset:192
	s_waitcnt lgkmcnt(0)
	v_add_f32_e32 v7, v7, v35
	s_or_b32 exec_lo, exec_lo, s0
	s_and_saveexec_b32 s0, vcc_lo
	s_cbranch_execz .LBB35_117
.LBB35_190:
	v_lshl_add_u32 v35, v33, 2, v34
	ds_load_b32 v35, v35 offset:224
	s_waitcnt lgkmcnt(0)
	v_add_f32_e32 v8, v8, v35
	s_or_b32 exec_lo, exec_lo, s0
	s_and_saveexec_b32 s0, vcc_lo
	s_cbranch_execz .LBB35_118
.LBB35_191:
	v_lshl_add_u32 v35, v33, 2, v34
	ds_load_b32 v35, v35 offset:256
	s_waitcnt lgkmcnt(0)
	v_add_f32_e32 v9, v9, v35
	s_or_b32 exec_lo, exec_lo, s0
	s_and_saveexec_b32 s0, vcc_lo
	s_cbranch_execz .LBB35_119
.LBB35_192:
	v_lshl_add_u32 v35, v33, 2, v34
	ds_load_b32 v35, v35 offset:288
	s_waitcnt lgkmcnt(0)
	v_add_f32_e32 v10, v10, v35
	s_or_b32 exec_lo, exec_lo, s0
	s_and_saveexec_b32 s0, vcc_lo
	s_cbranch_execz .LBB35_120
.LBB35_193:
	v_lshl_add_u32 v35, v33, 2, v34
	ds_load_b32 v35, v35 offset:320
	s_waitcnt lgkmcnt(0)
	v_add_f32_e32 v11, v11, v35
	s_or_b32 exec_lo, exec_lo, s0
	s_and_saveexec_b32 s0, vcc_lo
	s_cbranch_execz .LBB35_121
.LBB35_194:
	v_lshl_add_u32 v35, v33, 2, v34
	ds_load_b32 v35, v35 offset:352
	s_waitcnt lgkmcnt(0)
	v_add_f32_e32 v12, v12, v35
	s_or_b32 exec_lo, exec_lo, s0
	s_and_saveexec_b32 s0, vcc_lo
	s_cbranch_execz .LBB35_122
.LBB35_195:
	v_lshl_add_u32 v35, v33, 2, v34
	ds_load_b32 v35, v35 offset:384
	s_waitcnt lgkmcnt(0)
	v_add_f32_e32 v13, v13, v35
	s_or_b32 exec_lo, exec_lo, s0
	s_and_saveexec_b32 s0, vcc_lo
	s_cbranch_execz .LBB35_123
.LBB35_196:
	v_lshl_add_u32 v35, v33, 2, v34
	ds_load_b32 v35, v35 offset:416
	s_waitcnt lgkmcnt(0)
	v_add_f32_e32 v14, v14, v35
	s_or_b32 exec_lo, exec_lo, s0
	s_and_saveexec_b32 s0, vcc_lo
	s_cbranch_execz .LBB35_124
.LBB35_197:
	v_lshl_add_u32 v35, v33, 2, v34
	ds_load_b32 v35, v35 offset:448
	s_waitcnt lgkmcnt(0)
	v_add_f32_e32 v15, v15, v35
	s_or_b32 exec_lo, exec_lo, s0
	s_and_saveexec_b32 s0, vcc_lo
	s_cbranch_execz .LBB35_125
.LBB35_198:
	v_lshl_add_u32 v35, v33, 2, v34
	ds_load_b32 v35, v35 offset:480
	s_waitcnt lgkmcnt(0)
	v_add_f32_e32 v16, v16, v35
	s_or_b32 exec_lo, exec_lo, s0
	s_and_saveexec_b32 s0, vcc_lo
	s_cbranch_execz .LBB35_126
.LBB35_199:
	v_lshl_add_u32 v35, v33, 2, v34
	ds_load_b32 v35, v35 offset:512
	s_waitcnt lgkmcnt(0)
	v_add_f32_e32 v17, v17, v35
	s_or_b32 exec_lo, exec_lo, s0
	s_and_saveexec_b32 s0, vcc_lo
	s_cbranch_execz .LBB35_127
.LBB35_200:
	v_lshl_add_u32 v35, v33, 2, v34
	ds_load_b32 v35, v35 offset:544
	s_waitcnt lgkmcnt(0)
	v_add_f32_e32 v18, v18, v35
	s_or_b32 exec_lo, exec_lo, s0
	s_and_saveexec_b32 s0, vcc_lo
	s_cbranch_execz .LBB35_128
.LBB35_201:
	v_lshl_add_u32 v35, v33, 2, v34
	ds_load_b32 v35, v35 offset:576
	s_waitcnt lgkmcnt(0)
	v_add_f32_e32 v19, v19, v35
	s_or_b32 exec_lo, exec_lo, s0
	s_and_saveexec_b32 s0, vcc_lo
	s_cbranch_execz .LBB35_129
.LBB35_202:
	v_lshl_add_u32 v35, v33, 2, v34
	ds_load_b32 v35, v35 offset:608
	s_waitcnt lgkmcnt(0)
	v_add_f32_e32 v20, v20, v35
	s_or_b32 exec_lo, exec_lo, s0
	s_and_saveexec_b32 s0, vcc_lo
	s_cbranch_execz .LBB35_130
.LBB35_203:
	v_lshl_add_u32 v35, v33, 2, v34
	ds_load_b32 v35, v35 offset:640
	s_waitcnt lgkmcnt(0)
	v_add_f32_e32 v21, v21, v35
	s_or_b32 exec_lo, exec_lo, s0
	s_and_saveexec_b32 s0, vcc_lo
	s_cbranch_execz .LBB35_131
.LBB35_204:
	v_lshl_add_u32 v35, v33, 2, v34
	ds_load_b32 v35, v35 offset:672
	s_waitcnt lgkmcnt(0)
	v_add_f32_e32 v22, v22, v35
	s_or_b32 exec_lo, exec_lo, s0
	s_and_saveexec_b32 s0, vcc_lo
	s_cbranch_execz .LBB35_132
.LBB35_205:
	v_lshl_add_u32 v35, v33, 2, v34
	ds_load_b32 v35, v35 offset:704
	s_waitcnt lgkmcnt(0)
	v_add_f32_e32 v23, v23, v35
	s_or_b32 exec_lo, exec_lo, s0
	s_and_saveexec_b32 s0, vcc_lo
	s_cbranch_execz .LBB35_133
.LBB35_206:
	v_lshl_add_u32 v35, v33, 2, v34
	ds_load_b32 v35, v35 offset:736
	s_waitcnt lgkmcnt(0)
	v_add_f32_e32 v24, v24, v35
	s_or_b32 exec_lo, exec_lo, s0
	s_and_saveexec_b32 s0, vcc_lo
	s_cbranch_execz .LBB35_134
.LBB35_207:
	v_lshl_add_u32 v35, v33, 2, v34
	ds_load_b32 v35, v35 offset:768
	s_waitcnt lgkmcnt(0)
	v_add_f32_e32 v25, v25, v35
	s_or_b32 exec_lo, exec_lo, s0
	s_and_saveexec_b32 s0, vcc_lo
	s_cbranch_execz .LBB35_135
.LBB35_208:
	v_lshl_add_u32 v35, v33, 2, v34
	ds_load_b32 v35, v35 offset:800
	s_waitcnt lgkmcnt(0)
	v_add_f32_e32 v26, v26, v35
	s_or_b32 exec_lo, exec_lo, s0
	s_and_saveexec_b32 s0, vcc_lo
	s_cbranch_execz .LBB35_136
.LBB35_209:
	v_lshl_add_u32 v35, v33, 2, v34
	ds_load_b32 v35, v35 offset:832
	s_waitcnt lgkmcnt(0)
	v_add_f32_e32 v27, v27, v35
	s_or_b32 exec_lo, exec_lo, s0
	s_and_saveexec_b32 s0, vcc_lo
	s_cbranch_execz .LBB35_137
.LBB35_210:
	v_lshl_add_u32 v35, v33, 2, v34
	ds_load_b32 v35, v35 offset:864
	s_waitcnt lgkmcnt(0)
	v_add_f32_e32 v28, v28, v35
	s_or_b32 exec_lo, exec_lo, s0
	s_and_saveexec_b32 s0, vcc_lo
	s_cbranch_execz .LBB35_138
.LBB35_211:
	v_lshl_add_u32 v35, v33, 2, v34
	ds_load_b32 v35, v35 offset:896
	s_waitcnt lgkmcnt(0)
	v_add_f32_e32 v29, v29, v35
	s_or_b32 exec_lo, exec_lo, s0
	s_and_saveexec_b32 s0, vcc_lo
	s_cbranch_execz .LBB35_139
.LBB35_212:
	v_lshl_add_u32 v35, v33, 2, v34
	ds_load_b32 v35, v35 offset:928
	s_waitcnt lgkmcnt(0)
	v_add_f32_e32 v30, v30, v35
	s_or_b32 exec_lo, exec_lo, s0
	s_and_saveexec_b32 s0, vcc_lo
	s_cbranch_execz .LBB35_140
.LBB35_213:
	v_lshl_add_u32 v35, v33, 2, v34
	ds_load_b32 v35, v35 offset:960
	s_waitcnt lgkmcnt(0)
	v_add_f32_e32 v31, v31, v35
	s_or_b32 exec_lo, exec_lo, s0
	s_and_saveexec_b32 s0, vcc_lo
	s_cbranch_execnz .LBB35_141
	s_branch .LBB35_142
.LBB35_214:
	ds_load_b32 v34, v33
	s_waitcnt lgkmcnt(0)
	v_add_f32_e32 v1, v1, v34
	s_or_b32 exec_lo, exec_lo, s0
	s_and_saveexec_b32 s0, vcc_lo
	s_cbranch_execz .LBB35_148
.LBB35_215:
	ds_load_b32 v34, v33 offset:32
	s_waitcnt lgkmcnt(0)
	v_add_f32_e32 v2, v2, v34
	s_or_b32 exec_lo, exec_lo, s0
	s_and_saveexec_b32 s0, vcc_lo
	s_cbranch_execz .LBB35_149
.LBB35_216:
	ds_load_b32 v34, v33 offset:64
	s_waitcnt lgkmcnt(0)
	v_add_f32_e32 v3, v3, v34
	s_or_b32 exec_lo, exec_lo, s0
	s_and_saveexec_b32 s0, vcc_lo
	s_cbranch_execz .LBB35_150
.LBB35_217:
	ds_load_b32 v34, v33 offset:96
	s_waitcnt lgkmcnt(0)
	v_add_f32_e32 v4, v4, v34
	s_or_b32 exec_lo, exec_lo, s0
	s_and_saveexec_b32 s0, vcc_lo
	s_cbranch_execz .LBB35_151
.LBB35_218:
	ds_load_b32 v34, v33 offset:128
	s_waitcnt lgkmcnt(0)
	v_add_f32_e32 v5, v5, v34
	s_or_b32 exec_lo, exec_lo, s0
	s_and_saveexec_b32 s0, vcc_lo
	s_cbranch_execz .LBB35_152
.LBB35_219:
	ds_load_b32 v34, v33 offset:160
	s_waitcnt lgkmcnt(0)
	v_add_f32_e32 v6, v6, v34
	s_or_b32 exec_lo, exec_lo, s0
	s_and_saveexec_b32 s0, vcc_lo
	s_cbranch_execz .LBB35_153
.LBB35_220:
	ds_load_b32 v34, v33 offset:192
	s_waitcnt lgkmcnt(0)
	v_add_f32_e32 v7, v7, v34
	s_or_b32 exec_lo, exec_lo, s0
	s_and_saveexec_b32 s0, vcc_lo
	s_cbranch_execz .LBB35_154
.LBB35_221:
	ds_load_b32 v34, v33 offset:224
	s_waitcnt lgkmcnt(0)
	v_add_f32_e32 v8, v8, v34
	s_or_b32 exec_lo, exec_lo, s0
	s_and_saveexec_b32 s0, vcc_lo
	s_cbranch_execz .LBB35_155
.LBB35_222:
	ds_load_b32 v34, v33 offset:256
	s_waitcnt lgkmcnt(0)
	v_add_f32_e32 v9, v9, v34
	s_or_b32 exec_lo, exec_lo, s0
	s_and_saveexec_b32 s0, vcc_lo
	s_cbranch_execz .LBB35_156
.LBB35_223:
	ds_load_b32 v34, v33 offset:288
	s_waitcnt lgkmcnt(0)
	v_add_f32_e32 v10, v10, v34
	s_or_b32 exec_lo, exec_lo, s0
	s_and_saveexec_b32 s0, vcc_lo
	s_cbranch_execz .LBB35_157
.LBB35_224:
	ds_load_b32 v34, v33 offset:320
	s_waitcnt lgkmcnt(0)
	v_add_f32_e32 v11, v11, v34
	s_or_b32 exec_lo, exec_lo, s0
	s_and_saveexec_b32 s0, vcc_lo
	s_cbranch_execz .LBB35_158
.LBB35_225:
	ds_load_b32 v34, v33 offset:352
	s_waitcnt lgkmcnt(0)
	v_add_f32_e32 v12, v12, v34
	s_or_b32 exec_lo, exec_lo, s0
	s_and_saveexec_b32 s0, vcc_lo
	s_cbranch_execz .LBB35_159
.LBB35_226:
	ds_load_b32 v34, v33 offset:384
	s_waitcnt lgkmcnt(0)
	v_add_f32_e32 v13, v13, v34
	s_or_b32 exec_lo, exec_lo, s0
	s_and_saveexec_b32 s0, vcc_lo
	s_cbranch_execz .LBB35_160
.LBB35_227:
	ds_load_b32 v34, v33 offset:416
	s_waitcnt lgkmcnt(0)
	v_add_f32_e32 v14, v14, v34
	s_or_b32 exec_lo, exec_lo, s0
	s_and_saveexec_b32 s0, vcc_lo
	s_cbranch_execz .LBB35_161
.LBB35_228:
	ds_load_b32 v34, v33 offset:448
	s_waitcnt lgkmcnt(0)
	v_add_f32_e32 v15, v15, v34
	s_or_b32 exec_lo, exec_lo, s0
	s_and_saveexec_b32 s0, vcc_lo
	s_cbranch_execz .LBB35_162
.LBB35_229:
	ds_load_b32 v34, v33 offset:480
	s_waitcnt lgkmcnt(0)
	v_add_f32_e32 v16, v16, v34
	s_or_b32 exec_lo, exec_lo, s0
	s_and_saveexec_b32 s0, vcc_lo
	s_cbranch_execz .LBB35_163
.LBB35_230:
	ds_load_b32 v34, v33 offset:512
	s_waitcnt lgkmcnt(0)
	v_add_f32_e32 v17, v17, v34
	s_or_b32 exec_lo, exec_lo, s0
	s_and_saveexec_b32 s0, vcc_lo
	s_cbranch_execz .LBB35_164
.LBB35_231:
	ds_load_b32 v34, v33 offset:544
	s_waitcnt lgkmcnt(0)
	v_add_f32_e32 v18, v18, v34
	s_or_b32 exec_lo, exec_lo, s0
	s_and_saveexec_b32 s0, vcc_lo
	s_cbranch_execz .LBB35_165
.LBB35_232:
	ds_load_b32 v34, v33 offset:576
	s_waitcnt lgkmcnt(0)
	v_add_f32_e32 v19, v19, v34
	s_or_b32 exec_lo, exec_lo, s0
	s_and_saveexec_b32 s0, vcc_lo
	s_cbranch_execz .LBB35_166
.LBB35_233:
	ds_load_b32 v34, v33 offset:608
	s_waitcnt lgkmcnt(0)
	v_add_f32_e32 v20, v20, v34
	s_or_b32 exec_lo, exec_lo, s0
	s_and_saveexec_b32 s0, vcc_lo
	s_cbranch_execz .LBB35_167
.LBB35_234:
	ds_load_b32 v34, v33 offset:640
	s_waitcnt lgkmcnt(0)
	v_add_f32_e32 v21, v21, v34
	s_or_b32 exec_lo, exec_lo, s0
	s_and_saveexec_b32 s0, vcc_lo
	s_cbranch_execz .LBB35_168
.LBB35_235:
	ds_load_b32 v34, v33 offset:672
	s_waitcnt lgkmcnt(0)
	v_add_f32_e32 v22, v22, v34
	s_or_b32 exec_lo, exec_lo, s0
	s_and_saveexec_b32 s0, vcc_lo
	s_cbranch_execz .LBB35_169
.LBB35_236:
	ds_load_b32 v34, v33 offset:704
	s_waitcnt lgkmcnt(0)
	v_add_f32_e32 v23, v23, v34
	s_or_b32 exec_lo, exec_lo, s0
	s_and_saveexec_b32 s0, vcc_lo
	s_cbranch_execz .LBB35_170
.LBB35_237:
	ds_load_b32 v34, v33 offset:736
	s_waitcnt lgkmcnt(0)
	v_add_f32_e32 v24, v24, v34
	s_or_b32 exec_lo, exec_lo, s0
	s_and_saveexec_b32 s0, vcc_lo
	s_cbranch_execz .LBB35_171
.LBB35_238:
	ds_load_b32 v34, v33 offset:768
	s_waitcnt lgkmcnt(0)
	v_add_f32_e32 v25, v25, v34
	s_or_b32 exec_lo, exec_lo, s0
	s_and_saveexec_b32 s0, vcc_lo
	s_cbranch_execz .LBB35_172
.LBB35_239:
	ds_load_b32 v34, v33 offset:800
	s_waitcnt lgkmcnt(0)
	v_add_f32_e32 v26, v26, v34
	s_or_b32 exec_lo, exec_lo, s0
	s_and_saveexec_b32 s0, vcc_lo
	s_cbranch_execz .LBB35_173
.LBB35_240:
	ds_load_b32 v34, v33 offset:832
	s_waitcnt lgkmcnt(0)
	v_add_f32_e32 v27, v27, v34
	s_or_b32 exec_lo, exec_lo, s0
	s_and_saveexec_b32 s0, vcc_lo
	s_cbranch_execz .LBB35_174
.LBB35_241:
	ds_load_b32 v34, v33 offset:864
	s_waitcnt lgkmcnt(0)
	v_add_f32_e32 v28, v28, v34
	s_or_b32 exec_lo, exec_lo, s0
	s_and_saveexec_b32 s0, vcc_lo
	s_cbranch_execz .LBB35_175
.LBB35_242:
	ds_load_b32 v34, v33 offset:896
	s_waitcnt lgkmcnt(0)
	v_add_f32_e32 v29, v29, v34
	s_or_b32 exec_lo, exec_lo, s0
	s_and_saveexec_b32 s0, vcc_lo
	s_cbranch_execz .LBB35_176
.LBB35_243:
	ds_load_b32 v34, v33 offset:928
	s_waitcnt lgkmcnt(0)
	v_add_f32_e32 v30, v30, v34
	s_or_b32 exec_lo, exec_lo, s0
	s_and_saveexec_b32 s0, vcc_lo
	s_cbranch_execz .LBB35_177
.LBB35_244:
	ds_load_b32 v34, v33 offset:960
	s_waitcnt lgkmcnt(0)
	v_add_f32_e32 v31, v31, v34
	s_or_b32 exec_lo, exec_lo, s0
	s_and_saveexec_b32 s0, vcc_lo
	s_cbranch_execnz .LBB35_178
	s_branch .LBB35_179
	.section	.rodata,"a",@progbits
	.p2align	6, 0x0
	.amdhsa_kernel _ZN4vllm25paged_attention_v2_kernelIffLi256ELi16ELi128ELNS_18Fp8KVCacheDataTypeE0ELb1ELi512EEEvPfS2_PT_PKS3_PKT0_S9_ifPKiSB_iPKfiiiSD_SD_iiiii
		.amdhsa_group_segment_fixed_size 1056
		.amdhsa_private_segment_fixed_size 48
		.amdhsa_kernarg_size 400
		.amdhsa_user_sgpr_count 13
		.amdhsa_user_sgpr_dispatch_ptr 0
		.amdhsa_user_sgpr_queue_ptr 0
		.amdhsa_user_sgpr_kernarg_segment_ptr 1
		.amdhsa_user_sgpr_dispatch_id 0
		.amdhsa_user_sgpr_private_segment_size 0
		.amdhsa_wavefront_size32 1
		.amdhsa_uses_dynamic_stack 0
		.amdhsa_enable_private_segment 1
		.amdhsa_system_sgpr_workgroup_id_x 1
		.amdhsa_system_sgpr_workgroup_id_y 1
		.amdhsa_system_sgpr_workgroup_id_z 1
		.amdhsa_system_sgpr_workgroup_info 0
		.amdhsa_system_vgpr_workitem_id 0
		.amdhsa_next_free_vgpr 192
		.amdhsa_next_free_sgpr 46
		.amdhsa_reserve_vcc 1
		.amdhsa_float_round_mode_32 0
		.amdhsa_float_round_mode_16_64 0
		.amdhsa_float_denorm_mode_32 3
		.amdhsa_float_denorm_mode_16_64 3
		.amdhsa_dx10_clamp 1
		.amdhsa_ieee_mode 1
		.amdhsa_fp16_overflow 0
		.amdhsa_workgroup_processor_mode 1
		.amdhsa_memory_ordered 1
		.amdhsa_forward_progress 0
		.amdhsa_shared_vgpr_count 0
		.amdhsa_exception_fp_ieee_invalid_op 0
		.amdhsa_exception_fp_denorm_src 0
		.amdhsa_exception_fp_ieee_div_zero 0
		.amdhsa_exception_fp_ieee_overflow 0
		.amdhsa_exception_fp_ieee_underflow 0
		.amdhsa_exception_fp_ieee_inexact 0
		.amdhsa_exception_int_div_zero 0
	.end_amdhsa_kernel
	.section	.text._ZN4vllm25paged_attention_v2_kernelIffLi256ELi16ELi128ELNS_18Fp8KVCacheDataTypeE0ELb1ELi512EEEvPfS2_PT_PKS3_PKT0_S9_ifPKiSB_iPKfiiiSD_SD_iiiii,"axG",@progbits,_ZN4vllm25paged_attention_v2_kernelIffLi256ELi16ELi128ELNS_18Fp8KVCacheDataTypeE0ELb1ELi512EEEvPfS2_PT_PKS3_PKT0_S9_ifPKiSB_iPKfiiiSD_SD_iiiii,comdat
.Lfunc_end35:
	.size	_ZN4vllm25paged_attention_v2_kernelIffLi256ELi16ELi128ELNS_18Fp8KVCacheDataTypeE0ELb1ELi512EEEvPfS2_PT_PKS3_PKT0_S9_ifPKiSB_iPKfiiiSD_SD_iiiii, .Lfunc_end35-_ZN4vllm25paged_attention_v2_kernelIffLi256ELi16ELi128ELNS_18Fp8KVCacheDataTypeE0ELb1ELi512EEEvPfS2_PT_PKS3_PKT0_S9_ifPKiSB_iPKfiiiSD_SD_iiiii
                                        ; -- End function
	.section	.AMDGPU.csdata,"",@progbits
; Kernel info:
; codeLenInByte = 14784
; NumSgprs: 48
; NumVgprs: 192
; ScratchSize: 48
; MemoryBound: 0
; FloatMode: 240
; IeeeMode: 1
; LDSByteSize: 1056 bytes/workgroup (compile time only)
; SGPRBlocks: 5
; VGPRBlocks: 23
; NumSGPRsForWavesPerEU: 48
; NumVGPRsForWavesPerEU: 192
; Occupancy: 8
; WaveLimiterHint : 1
; COMPUTE_PGM_RSRC2:SCRATCH_EN: 1
; COMPUTE_PGM_RSRC2:USER_SGPR: 13
; COMPUTE_PGM_RSRC2:TRAP_HANDLER: 0
; COMPUTE_PGM_RSRC2:TGID_X_EN: 1
; COMPUTE_PGM_RSRC2:TGID_Y_EN: 1
; COMPUTE_PGM_RSRC2:TGID_Z_EN: 1
; COMPUTE_PGM_RSRC2:TIDIG_COMP_CNT: 0
	.section	.text._ZN4vllm25paged_attention_v2_kernelIffLi32ELi16ELi128ELNS_18Fp8KVCacheDataTypeE0ELb0ELi512EEEvPfS2_PT_PKS3_PKT0_S9_ifPKiSB_iPKfiiiSD_SD_iiiii,"axG",@progbits,_ZN4vllm25paged_attention_v2_kernelIffLi32ELi16ELi128ELNS_18Fp8KVCacheDataTypeE0ELb0ELi512EEEvPfS2_PT_PKS3_PKT0_S9_ifPKiSB_iPKfiiiSD_SD_iiiii,comdat
	.protected	_ZN4vllm25paged_attention_v2_kernelIffLi32ELi16ELi128ELNS_18Fp8KVCacheDataTypeE0ELb0ELi512EEEvPfS2_PT_PKS3_PKT0_S9_ifPKiSB_iPKfiiiSD_SD_iiiii ; -- Begin function _ZN4vllm25paged_attention_v2_kernelIffLi32ELi16ELi128ELNS_18Fp8KVCacheDataTypeE0ELb0ELi512EEEvPfS2_PT_PKS3_PKT0_S9_ifPKiSB_iPKfiiiSD_SD_iiiii
	.globl	_ZN4vllm25paged_attention_v2_kernelIffLi32ELi16ELi128ELNS_18Fp8KVCacheDataTypeE0ELb0ELi512EEEvPfS2_PT_PKS3_PKT0_S9_ifPKiSB_iPKfiiiSD_SD_iiiii
	.p2align	8
	.type	_ZN4vllm25paged_attention_v2_kernelIffLi32ELi16ELi128ELNS_18Fp8KVCacheDataTypeE0ELb0ELi512EEEvPfS2_PT_PKS3_PKT0_S9_ifPKiSB_iPKfiiiSD_SD_iiiii,@function
_ZN4vllm25paged_attention_v2_kernelIffLi32ELi16ELi128ELNS_18Fp8KVCacheDataTypeE0ELb0ELi512EEEvPfS2_PT_PKS3_PKT0_S9_ifPKiSB_iPKfiiiSD_SD_iiiii: ; @_ZN4vllm25paged_attention_v2_kernelIffLi32ELi16ELi128ELNS_18Fp8KVCacheDataTypeE0ELb0ELi512EEEvPfS2_PT_PKS3_PKT0_S9_ifPKiSB_iPKfiiiSD_SD_iiiii
; %bb.0:
	s_load_b64 s[2:3], s[0:1], 0x40
	s_mov_b32 s18, s15
	s_ashr_i32 s15, s14, 31
	s_delay_alu instid0(SALU_CYCLE_1)
	s_lshl_b64 s[4:5], s[14:15], 2
	s_waitcnt lgkmcnt(0)
	s_add_u32 s2, s2, s4
	s_addc_u32 s3, s3, s5
	s_lshl_b32 s33, s18, 9
	s_load_b32 s15, s[2:3], 0x0
	s_waitcnt lgkmcnt(0)
	s_cmp_ge_i32 s33, s15
	s_cbranch_scc1 .LBB36_62
; %bb.1:
	s_clause 0x1
	s_load_b32 s19, s[0:1], 0x90
	s_load_b64 s[30:31], s[0:1], 0x30
	s_mov_b32 s20, s13
	s_mov_b32 s34, 0
	s_waitcnt lgkmcnt(0)
	s_abs_i32 s5, s19
	s_abs_i32 s2, s30
	s_delay_alu instid0(SALU_CYCLE_1) | instskip(SKIP_1) | instid1(VALU_DEP_1)
	v_cvt_f32_u32_e32 v1, s2
	s_sub_i32 s4, 0, s2
	v_rcp_iflag_f32_e32 v1, v1
	s_waitcnt_depctr 0xfff
	v_mul_f32_e32 v1, 0x4f7ffffe, v1
	s_delay_alu instid0(VALU_DEP_1) | instskip(NEXT) | instid1(VALU_DEP_1)
	v_cvt_u32_f32_e32 v1, v1
	v_readfirstlane_b32 s3, v1
	s_delay_alu instid0(VALU_DEP_1) | instskip(NEXT) | instid1(SALU_CYCLE_1)
	s_mul_i32 s4, s4, s3
	s_mul_hi_u32 s4, s3, s4
	s_delay_alu instid0(SALU_CYCLE_1) | instskip(SKIP_4) | instid1(SALU_CYCLE_1)
	s_add_i32 s3, s3, s4
	s_xor_b32 s4, s19, s30
	s_mul_hi_u32 s3, s5, s3
	s_ashr_i32 s4, s4, 31
	s_mul_i32 s6, s3, s2
	s_sub_i32 s5, s5, s6
	s_add_i32 s6, s3, 1
	s_sub_i32 s7, s5, s2
	s_cmp_ge_u32 s5, s2
	s_cselect_b32 s3, s6, s3
	s_cselect_b32 s5, s7, s5
	s_add_i32 s6, s3, 1
	s_cmp_ge_u32 s5, s2
	s_cselect_b32 s2, s6, s3
	s_abs_i32 s10, s13
	s_xor_b32 s2, s2, s4
	s_delay_alu instid0(SALU_CYCLE_1) | instskip(SKIP_2) | instid1(SALU_CYCLE_1)
	s_sub_i32 s11, s2, s4
	s_load_b64 s[2:3], s[0:1], 0x50
	s_abs_i32 s8, s11
	v_cvt_f32_u32_e32 v1, s8
	s_sub_i32 s5, 0, s8
	s_delay_alu instid0(VALU_DEP_1) | instskip(SKIP_2) | instid1(VALU_DEP_1)
	v_rcp_iflag_f32_e32 v1, v1
	s_waitcnt_depctr 0xfff
	v_mul_f32_e32 v1, 0x4f7ffffe, v1
	v_cvt_u32_f32_e32 v1, v1
	s_delay_alu instid0(VALU_DEP_1) | instskip(NEXT) | instid1(VALU_DEP_1)
	v_readfirstlane_b32 s4, v1
	s_mul_i32 s5, s5, s4
	s_delay_alu instid0(SALU_CYCLE_1) | instskip(NEXT) | instid1(SALU_CYCLE_1)
	s_mul_hi_u32 s5, s4, s5
	s_add_i32 s4, s4, s5
	s_waitcnt lgkmcnt(0)
	s_cmp_eq_u64 s[2:3], 0
	s_mul_hi_u32 s9, s10, s4
	s_cbranch_scc1 .LBB36_3
; %bb.2:
	s_ashr_i32 s21, s20, 31
	s_delay_alu instid0(SALU_CYCLE_1) | instskip(NEXT) | instid1(SALU_CYCLE_1)
	s_lshl_b64 s[4:5], s[20:21], 2
	s_add_u32 s2, s2, s4
	s_addc_u32 s3, s3, s5
	s_load_b32 s34, s[2:3], 0x0
.LBB36_3:
	s_load_b128 s[4:7], s[0:1], 0x58
	v_and_b32_e32 v1, 1, v0
	v_lshlrev_b32_e32 v2, 3, v0
	v_lshlrev_b32_e32 v19, 2, v0
	s_ashr_i32 s2, s20, 31
	s_ashr_i32 s3, s11, 31
	s_lshl_b32 s12, s20, 5
	s_waitcnt lgkmcnt(0)
	s_mov_b32 s7, exec_lo
	v_cmpx_gt_u32_e32 16, v0
	s_cbranch_execz .LBB36_5
; %bb.4:
	s_load_b64 s[16:17], s[0:1], 0x18
	s_mul_i32 s22, s14, s4
	v_and_b32_e32 v5, 0xff8, v19
	s_ashr_i32 s23, s22, 31
	s_delay_alu instid0(SALU_CYCLE_1) | instskip(NEXT) | instid1(VALU_DEP_1)
	s_lshl_b64 s[22:23], s[22:23], 2
	v_lshl_add_u32 v5, v1, 6, v5
	s_waitcnt lgkmcnt(0)
	s_add_u32 s4, s16, s22
	s_addc_u32 s11, s17, s23
	s_ashr_i32 s13, s12, 31
	s_delay_alu instid0(SALU_CYCLE_1) | instskip(NEXT) | instid1(SALU_CYCLE_1)
	s_lshl_b64 s[16:17], s[12:13], 2
	s_add_u32 s16, s4, s16
	s_addc_u32 s17, s11, s17
	global_load_b64 v[3:4], v2, s[16:17]
	s_waitcnt vmcnt(0)
	ds_store_b64 v5, v[3:4]
.LBB36_5:
	s_or_b32 exec_lo, exec_lo, s7
	s_add_i32 s7, s15, 15
	s_lshl_b32 s4, s18, 5
	s_ashr_i32 s11, s7, 31
	s_xor_b32 s2, s2, s3
	s_lshr_b32 s11, s11, 28
	s_add_i32 s3, s4, 32
	s_add_i32 s7, s7, s11
	s_clause 0x1
	s_load_b64 s[22:23], s[0:1], 0x38
	s_load_b32 s11, s[0:1], 0x48
	s_ashr_i32 s30, s7, 4
	s_mul_i32 s7, s9, s8
	s_min_i32 s21, s3, s30
	s_sub_i32 s3, s10, s7
	s_add_i32 s7, s9, 1
	s_sub_i32 s10, s3, s8
	s_cmp_ge_u32 s3, s8
	v_lshrrev_b32_e32 v24, 5, v0
	s_cselect_b32 s7, s7, s9
	s_cselect_b32 s3, s10, s3
	s_add_i32 s9, s7, 1
	s_cmp_ge_u32 s3, s8
	v_or_b32_e32 v21, s4, v24
	s_cselect_b32 s3, s9, s7
	v_mbcnt_lo_u32_b32 v20, -1, 0
	s_xor_b32 s3, s3, s2
	s_mov_b32 s7, exec_lo
	s_sub_i32 s3, s3, s2
	v_cmp_gt_i32_e64 s2, s21, v21
	s_waitcnt lgkmcnt(0)
	s_mul_i32 s24, s14, s11
	s_delay_alu instid0(SALU_CYCLE_1)
	s_ashr_i32 s25, s24, 31
	s_barrier
	buffer_gl0_inv
                                        ; implicit-def: $sgpr28
                                        ; implicit-def: $vgpr23
	v_cmpx_le_i32_e64 s21, v21
	s_xor_b32 s7, exec_lo, s7
; %bb.6:
	v_mbcnt_lo_u32_b32 v20, -1, 0
	v_mov_b32_e32 v23, 32
	s_mov_b32 s28, 0xff7fffff
                                        ; implicit-def: $vgpr2
                                        ; implicit-def: $vgpr1
; %bb.7:
	s_or_saveexec_b32 s7, s7
	s_clause 0x3
	s_load_b128 s[8:11], s[0:1], 0x0
	s_load_b64 s[16:17], s[0:1], 0x10
	s_load_b64 s[26:27], s[0:1], 0x28
	s_load_b32 s13, s[0:1], 0x98
	v_mov_b32_e32 v25, s28
	v_ashrrev_i32_e32 v22, 31, v21
	s_mul_i32 s28, s3, s6
	s_xor_b32 exec_lo, exec_lo, s7
	s_cbranch_execz .LBB36_13
; %bb.8:
	s_load_b64 s[36:37], s[0:1], 0x20
	v_xor_b32_e32 v25, 1, v20
	v_bfe_u32 v17, v0, 1, 4
	v_lshlrev_b32_e32 v13, 6, v1
	s_ashr_i32 s29, s28, 31
	v_dual_mov_b32 v23, 32 :: v_dual_and_b32 v18, 8, v2
	v_cmp_gt_i32_e64 s0, 32, v25
	v_dual_mov_b32 v31, v21 :: v_dual_lshlrev_b32 v26, 4, v17
	v_cmp_eq_u32_e32 vcc_lo, 0, v1
	s_lshl_b64 s[38:39], s[28:29], 2
	ds_load_b128 v[1:4], v13
	ds_load_b128 v[5:8], v13 offset:16
	ds_load_b128 v[9:12], v13 offset:32
	;; [unrolled: 1-line block ×3, first 2 shown]
	v_cndmask_b32_e64 v25, v20, v25, s0
	v_lshlrev_b32_e32 v29, 4, v24
	v_lshlrev_b32_e32 v30, 2, v17
	s_mov_b32 s35, s5
	s_mov_b32 s29, 0
	s_delay_alu instid0(VALU_DEP_2) | instskip(SKIP_4) | instid1(VALU_DEP_1)
	v_add3_u32 v29, s33, v29, v17
	s_waitcnt lgkmcnt(0)
	s_add_u32 s0, s36, s38
	s_addc_u32 s1, s37, s39
	v_add_co_u32 v27, s0, s0, v26
	v_add_co_ci_u32_e64 v28, null, s1, 0, s0
	s_lshl_b64 s[36:37], s[24:25], 2
	s_delay_alu instid0(VALU_DEP_2)
	v_add_co_u32 v27, s0, v27, v18
	v_lshlrev_b64 v[17:18], 2, v[21:22]
	v_lshlrev_b32_e32 v26, 2, v25
	v_lshl_or_b32 v25, v24, 6, v30
	s_sub_i32 s6, 1, s15
	s_add_u32 s1, s22, s36
	s_addc_u32 s3, s23, s37
	v_add_co_u32 v17, s1, s1, v17
	v_add_co_ci_u32_e64 v28, s0, 0, v28, s0
	v_cmp_neq_f32_e64 s0, s34, 0
	v_add_nc_u32_e32 v30, 0xa0, v25
	v_mov_b32_e32 v25, 0xff7fffff
	v_add_co_ci_u32_e64 v18, s1, s3, v18, s1
	s_branch .LBB36_10
.LBB36_9:                               ;   in Loop: Header=BB36_10 Depth=1
	s_or_b32 exec_lo, exec_lo, s3
	v_add_nc_u32_e32 v31, 4, v31
	v_add_co_u32 v17, s3, v17, 16
	v_add_nc_u32_e32 v29, 64, v29
	v_add_nc_u32_e32 v30, 0x100, v30
	s_delay_alu instid0(VALU_DEP_4) | instskip(SKIP_1) | instid1(VALU_DEP_2)
	v_cmp_le_i32_e64 s1, s21, v31
	v_add_co_ci_u32_e64 v18, s3, 0, v18, s3
	s_or_b32 s29, s1, s29
	s_delay_alu instid0(SALU_CYCLE_1)
	s_and_not1_b32 exec_lo, exec_lo, s29
	s_cbranch_execz .LBB36_12
.LBB36_10:                              ; =>This Inner Loop Header: Depth=1
	global_load_b32 v34, v[17:18], off
	s_waitcnt vmcnt(0) lgkmcnt(0)
	v_mad_i64_i32 v[32:33], null, v34, s35, 0
	s_delay_alu instid0(VALU_DEP_1) | instskip(NEXT) | instid1(VALU_DEP_1)
	v_lshlrev_b64 v[32:33], 2, v[32:33]
	v_add_co_u32 v32, s1, v27, v32
	s_delay_alu instid0(VALU_DEP_1)
	v_add_co_ci_u32_e64 v33, s1, v28, v33, s1
	s_clause 0x7
	global_load_b64 v[34:35], v[32:33], off offset:256
	global_load_b64 v[36:37], v[32:33], off
	global_load_b64 v[38:39], v[32:33], off offset:512
	global_load_b64 v[40:41], v[32:33], off offset:768
	global_load_b64 v[42:43], v[32:33], off offset:1024
	global_load_b64 v[44:45], v[32:33], off offset:1280
	global_load_b64 v[46:47], v[32:33], off offset:1536
	global_load_b64 v[32:33], v[32:33], off offset:1792
	s_waitcnt vmcnt(7)
	v_dual_mul_f32 v34, v3, v34 :: v_dual_mul_f32 v35, v4, v35
	s_waitcnt vmcnt(6)
	s_delay_alu instid0(VALU_DEP_1) | instskip(SKIP_1) | instid1(VALU_DEP_1)
	v_dual_fmac_f32 v34, v1, v36 :: v_dual_fmac_f32 v35, v2, v37
	s_waitcnt vmcnt(5)
	v_dual_fmac_f32 v34, v5, v38 :: v_dual_fmac_f32 v35, v6, v39
	s_waitcnt vmcnt(4)
	s_delay_alu instid0(VALU_DEP_1) | instskip(SKIP_1) | instid1(VALU_DEP_1)
	v_dual_fmac_f32 v34, v7, v40 :: v_dual_fmac_f32 v35, v8, v41
	s_waitcnt vmcnt(3)
	v_dual_fmac_f32 v34, v9, v42 :: v_dual_fmac_f32 v35, v10, v43
	s_waitcnt vmcnt(2)
	s_delay_alu instid0(VALU_DEP_1) | instskip(SKIP_1) | instid1(VALU_DEP_1)
	v_dual_fmac_f32 v34, v11, v44 :: v_dual_fmac_f32 v35, v12, v45
	s_waitcnt vmcnt(1)
	v_dual_fmac_f32 v34, v13, v46 :: v_dual_fmac_f32 v35, v14, v47
	s_waitcnt vmcnt(0)
	s_delay_alu instid0(VALU_DEP_1) | instskip(NEXT) | instid1(VALU_DEP_1)
	v_dual_fmac_f32 v34, v15, v32 :: v_dual_fmac_f32 v35, v16, v33
	v_add_f32_e32 v32, v34, v35
	ds_bpermute_b32 v33, v26, v32
	s_and_saveexec_b32 s3, vcc_lo
	s_cbranch_execz .LBB36_9
; %bb.11:                               ;   in Loop: Header=BB36_10 Depth=1
	s_waitcnt lgkmcnt(0)
	v_add_f32_e32 v32, v32, v33
	v_add_nc_u32_e32 v34, s6, v29
	v_cmp_gt_i32_e64 s1, s15, v29
	s_delay_alu instid0(VALU_DEP_2) | instskip(NEXT) | instid1(VALU_DEP_1)
	v_cvt_f32_i32_e32 v34, v34
	v_mul_f32_e32 v34, s34, v34
	s_delay_alu instid0(VALU_DEP_1) | instskip(NEXT) | instid1(VALU_DEP_1)
	v_cndmask_b32_e64 v33, 0, v34, s0
	v_dual_max_f32 v34, v25, v25 :: v_dual_fmac_f32 v33, s31, v32
	s_delay_alu instid0(VALU_DEP_1) | instskip(SKIP_1) | instid1(VALU_DEP_2)
	v_max_f32_e32 v32, v34, v33
	v_cndmask_b32_e64 v33, 0, v33, s1
	v_cndmask_b32_e64 v25, v25, v32, s1
	ds_store_b32 v30, v33
	s_branch .LBB36_9
.LBB36_12:
	s_or_b32 exec_lo, exec_lo, s29
.LBB36_13:
	s_delay_alu instid0(SALU_CYCLE_1) | instskip(SKIP_4) | instid1(VALU_DEP_4)
	s_or_b32 exec_lo, exec_lo, s7
	v_xor_b32_e32 v1, 16, v20
	v_xor_b32_e32 v3, 8, v20
	;; [unrolled: 1-line block ×4, first 2 shown]
	v_cmp_lt_i32_e32 vcc_lo, v1, v23
	v_cndmask_b32_e32 v1, v20, v1, vcc_lo
	v_cmp_lt_i32_e32 vcc_lo, v3, v23
	v_dual_max_f32 v4, v25, v25 :: v_dual_cndmask_b32 v3, v20, v3
	v_cmp_lt_i32_e32 vcc_lo, v5, v23
	s_delay_alu instid0(VALU_DEP_2) | instskip(SKIP_2) | instid1(VALU_DEP_2)
	v_lshlrev_b32_e32 v3, 2, v3
	v_cndmask_b32_e32 v5, v20, v5, vcc_lo
	v_cmp_lt_i32_e32 vcc_lo, v6, v23
	v_dual_cndmask_b32 v6, v20, v6 :: v_dual_lshlrev_b32 v5, 2, v5
	s_delay_alu instid0(VALU_DEP_1) | instskip(SKIP_4) | instid1(VALU_DEP_1)
	v_lshlrev_b32_e32 v26, 2, v6
	v_lshlrev_b32_e32 v2, 2, v1
	;; [unrolled: 1-line block ×3, first 2 shown]
	ds_bpermute_b32 v1, v2, v25
	v_and_b32_e32 v25, 31, v0
	v_cmp_eq_u32_e32 vcc_lo, 0, v25
	s_waitcnt lgkmcnt(0)
	v_max_f32_e32 v1, v1, v1
	s_delay_alu instid0(VALU_DEP_1) | instskip(SKIP_3) | instid1(VALU_DEP_1)
	v_max_f32_e32 v1, v4, v1
	ds_bpermute_b32 v4, v3, v1
	s_waitcnt lgkmcnt(0)
	v_max_f32_e32 v4, v4, v4
	v_max_f32_e32 v1, v1, v4
	ds_bpermute_b32 v4, v5, v1
	s_waitcnt lgkmcnt(0)
	v_max_f32_e32 v4, v4, v4
	s_delay_alu instid0(VALU_DEP_1)
	v_max_f32_e32 v1, v1, v4
	ds_bpermute_b32 v4, v26, v1
	s_and_saveexec_b32 s0, vcc_lo
	s_cbranch_execz .LBB36_15
; %bb.14:
	s_waitcnt lgkmcnt(0)
	v_dual_max_f32 v4, v4, v4 :: v_dual_max_f32 v1, v1, v1
	s_delay_alu instid0(VALU_DEP_1)
	v_max_f32_e32 v1, v1, v4
	ds_store_b32 v6, v1 offset:128
.LBB36_15:
	s_or_b32 exec_lo, exec_lo, s0
	v_cmp_gt_u32_e64 s0, 4, v25
	v_mov_b32_e32 v1, 0xff7fffff
	v_lshlrev_b32_e32 v7, 2, v25
	s_waitcnt lgkmcnt(0)
	s_barrier
	buffer_gl0_inv
	s_and_saveexec_b32 s1, s0
	s_cbranch_execz .LBB36_17
; %bb.16:
	ds_load_b32 v1, v7 offset:128
.LBB36_17:
	s_or_b32 exec_lo, exec_lo, s1
	s_waitcnt lgkmcnt(0)
	ds_bpermute_b32 v4, v26, v1
	v_xor_b32_e32 v8, 1, v20
	v_max_f32_e32 v1, v1, v1
	v_mov_b32_e32 v9, 0
	s_delay_alu instid0(VALU_DEP_3) | instskip(NEXT) | instid1(VALU_DEP_1)
	v_cmp_lt_i32_e64 s1, v8, v23
	v_cndmask_b32_e64 v8, v20, v8, s1
	s_sub_i32 s1, s21, s4
	s_delay_alu instid0(SALU_CYCLE_1) | instskip(NEXT) | instid1(VALU_DEP_1)
	s_lshl_b32 s1, s1, 4
	v_lshlrev_b32_e32 v27, 2, v8
	v_lshlrev_b32_e32 v8, 2, v20
	s_add_i32 s1, s1, s33
	s_waitcnt lgkmcnt(0)
	v_max_f32_e32 v4, v4, v4
	s_min_i32 s1, s1, s15
	v_and_b32_e32 v8, 0xffffff80, v8
	s_sub_i32 s6, s1, s33
	s_delay_alu instid0(VALU_DEP_2) | instskip(SKIP_4) | instid1(VALU_DEP_1)
	v_max_f32_e32 v1, v1, v4
	v_cmp_gt_i32_e64 s1, s6, v0
	ds_bpermute_b32 v4, v27, v1
	s_waitcnt lgkmcnt(0)
	v_max_f32_e32 v4, v4, v4
	v_max_f32_e32 v1, v1, v4
	v_lshl_add_u32 v4, v0, 2, 0xa0
	ds_bpermute_b32 v1, v8, v1
	s_and_saveexec_b32 s7, s1
	s_cbranch_execz .LBB36_21
; %bb.18:
	v_lshl_add_u32 v10, v0, 2, 0xa0
	v_mov_b32_e32 v9, 0
	v_mov_b32_e32 v11, v0
	s_mov_b32 s29, 0
	.p2align	6
.LBB36_19:                              ; =>This Inner Loop Header: Depth=1
	ds_load_b32 v12, v10
	v_add_nc_u32_e32 v11, 0x80, v11
	s_delay_alu instid0(VALU_DEP_1) | instskip(NEXT) | instid1(VALU_DEP_1)
	v_cmp_le_i32_e64 s3, s6, v11
	s_or_b32 s29, s3, s29
	s_waitcnt lgkmcnt(0)
	v_sub_f32_e32 v12, v12, v1
	s_delay_alu instid0(VALU_DEP_1) | instskip(NEXT) | instid1(VALU_DEP_1)
	v_mul_f32_e32 v12, 0x3fb8aa3b, v12
	v_exp_f32_e32 v12, v12
	ds_store_b32 v10, v12
	v_dual_add_f32 v9, v9, v12 :: v_dual_add_nc_u32 v10, 0x200, v10
	s_and_not1_b32 exec_lo, exec_lo, s29
	s_cbranch_execnz .LBB36_19
; %bb.20:
	s_or_b32 exec_lo, exec_lo, s29
.LBB36_21:
	s_delay_alu instid0(SALU_CYCLE_1)
	s_or_b32 exec_lo, exec_lo, s7
	ds_bpermute_b32 v2, v2, v9
	s_waitcnt lgkmcnt(0)
	v_add_f32_e32 v2, v9, v2
	ds_bpermute_b32 v3, v3, v2
	s_waitcnt lgkmcnt(0)
	v_add_f32_e32 v2, v2, v3
	;; [unrolled: 3-line block ×5, first 2 shown]
	s_and_saveexec_b32 s3, vcc_lo
	s_cbranch_execz .LBB36_23
; %bb.22:
	ds_store_b32 v6, v2 offset:144
.LBB36_23:
	s_or_b32 exec_lo, exec_lo, s3
	s_waitcnt lgkmcnt(0)
	s_barrier
	buffer_gl0_inv
	s_and_saveexec_b32 s3, s0
	s_cbranch_execz .LBB36_25
; %bb.24:
	ds_load_b32 v2, v7 offset:144
.LBB36_25:
	s_or_b32 exec_lo, exec_lo, s3
	s_waitcnt lgkmcnt(0)
	ds_bpermute_b32 v3, v26, v2
	s_waitcnt lgkmcnt(0)
	v_add_f32_e32 v2, v2, v3
	ds_bpermute_b32 v3, v27, v2
	s_waitcnt lgkmcnt(0)
	v_add_f32_e32 v2, v2, v3
	ds_bpermute_b32 v2, v8, v2
	s_and_saveexec_b32 s0, s1
	s_cbranch_execz .LBB36_28
; %bb.26:
	s_waitcnt lgkmcnt(0)
	v_add_f32_e32 v3, 0x358637bd, v2
	s_mov_b32 s1, 0
	s_delay_alu instid0(VALU_DEP_1) | instskip(SKIP_1) | instid1(VALU_DEP_2)
	v_div_scale_f32 v5, null, v3, v3, 1.0
	v_div_scale_f32 v8, vcc_lo, 1.0, v3, 1.0
	v_rcp_f32_e32 v6, v5
	s_waitcnt_depctr 0xfff
	v_fma_f32 v7, -v5, v6, 1.0
	s_delay_alu instid0(VALU_DEP_1) | instskip(NEXT) | instid1(VALU_DEP_1)
	v_fmac_f32_e32 v6, v7, v6
	v_mul_f32_e32 v7, v8, v6
	s_delay_alu instid0(VALU_DEP_1) | instskip(NEXT) | instid1(VALU_DEP_1)
	v_fma_f32 v9, -v5, v7, v8
	v_fmac_f32_e32 v7, v9, v6
	s_delay_alu instid0(VALU_DEP_1) | instskip(NEXT) | instid1(VALU_DEP_1)
	v_fma_f32 v5, -v5, v7, v8
	v_div_fmas_f32 v5, v5, v6, v7
	s_delay_alu instid0(VALU_DEP_1)
	v_div_fixup_f32 v3, v5, v3, 1.0
	v_mov_b32_e32 v5, v0
.LBB36_27:                              ; =>This Inner Loop Header: Depth=1
	ds_load_b32 v6, v4
	s_waitcnt lgkmcnt(0)
	v_dual_mul_f32 v6, v3, v6 :: v_dual_add_nc_u32 v5, 0x80, v5
	s_delay_alu instid0(VALU_DEP_1) | instskip(SKIP_3) | instid1(SALU_CYCLE_1)
	v_cmp_le_i32_e32 vcc_lo, s6, v5
	ds_store_b32 v4, v6
	v_add_nc_u32_e32 v4, 0x200, v4
	s_or_b32 s1, vcc_lo, s1
	s_and_not1_b32 exec_lo, exec_lo, s1
	s_cbranch_execnz .LBB36_27
.LBB36_28:
	s_or_b32 exec_lo, exec_lo, s0
	s_mul_i32 s0, s13, s14
	s_waitcnt lgkmcnt(0)
	s_mul_i32 s6, s0, s19
	s_mov_b32 s0, exec_lo
	s_barrier
	buffer_gl0_inv
	v_cmpx_eq_u32_e32 0, v0
	s_cbranch_execz .LBB36_30
; %bb.29:
	s_ashr_i32 s7, s6, 31
	s_mul_i32 s36, s13, s20
	s_lshl_b64 s[34:35], s[6:7], 2
	v_mov_b32_e32 v3, 0
	s_add_u32 s1, s10, s34
	s_addc_u32 s3, s11, s35
	s_ashr_i32 s37, s36, 31
	s_delay_alu instid0(SALU_CYCLE_1) | instskip(NEXT) | instid1(SALU_CYCLE_1)
	s_lshl_b64 s[10:11], s[36:37], 2
	s_add_u32 s1, s1, s10
	s_addc_u32 s3, s3, s11
	s_ashr_i32 s19, s18, 31
	s_delay_alu instid0(SALU_CYCLE_1) | instskip(NEXT) | instid1(SALU_CYCLE_1)
	s_lshl_b64 s[18:19], s[18:19], 2
	s_add_u32 s36, s1, s18
	s_addc_u32 s37, s3, s19
	s_add_u32 s1, s8, s34
	s_addc_u32 s3, s9, s35
	;; [unrolled: 2-line block ×4, first 2 shown]
	s_clause 0x1
	global_store_b32 v3, v1, s[36:37]
	global_store_b32 v3, v2, s[8:9]
.LBB36_30:
	s_or_b32 exec_lo, exec_lo, s0
	v_dual_mov_b32 v30, 0 :: v_dual_mov_b32 v31, 0
	v_dual_mov_b32 v29, 0 :: v_dual_and_b32 v28, 3, v0
	v_mov_b32_e32 v32, 0
	s_mov_b32 s3, 0
	s_and_saveexec_b32 s1, s2
	s_cbranch_execz .LBB36_42
; %bb.31:
	v_dual_mov_b32 v32, 0 :: v_dual_lshlrev_b32 v1, 4, v0
	s_ashr_i32 s29, s28, 31
	v_dual_mov_b32 v29, 0 :: v_dual_and_b32 v2, 12, v19
	s_delay_alu instid0(VALU_DEP_2) | instskip(SKIP_4) | instid1(VALU_DEP_2)
	v_and_b32_e32 v1, 0x1f0, v1
	v_lshl_add_u32 v4, v24, 4, s33
	s_lshl_b64 s[8:9], s[28:29], 2
	v_dual_mov_b32 v30, 0 :: v_dual_lshlrev_b32 v3, 4, v28
	s_add_u32 s0, s26, s8
	v_add3_u32 v35, v4, v2, 3
	v_add_co_u32 v33, s0, s0, v1
	v_lshlrev_b64 v[1:2], 2, v[21:22]
	s_addc_u32 s2, s27, s9
	s_lshl_b64 s[8:9], s[24:25], 2
	s_add_i32 s30, s30, -1
	v_lshl_or_b32 v3, v24, 6, v3
	v_add_co_ci_u32_e64 v34, null, s2, 0, s0
	s_add_u32 s0, s22, s8
	s_addc_u32 s2, s23, s9
	v_add_co_u32 v22, vcc_lo, s0, v1
	v_dual_mov_b32 v31, 0 :: v_dual_add_nc_u32 v36, 0xa0, v3
	v_add_co_ci_u32_e32 v23, vcc_lo, s2, v2, vcc_lo
	s_mov_b32 s2, s5
	s_branch .LBB36_33
.LBB36_32:                              ;   in Loop: Header=BB36_33 Depth=1
	s_or_b32 exec_lo, exec_lo, s0
	s_waitcnt vmcnt(1) lgkmcnt(0)
	v_mul_f32_e32 v14, v2, v14
	v_dual_mul_f32 v6, v2, v6 :: v_dual_add_nc_u32 v21, 4, v21
	v_dual_mul_f32 v10, v2, v10 :: v_dual_add_nc_u32 v35, 64, v35
	s_delay_alu instid0(VALU_DEP_3)
	v_fmac_f32_e32 v14, v1, v13
	s_waitcnt vmcnt(0)
	v_mul_f32_e32 v2, v2, v18
	v_cmp_le_i32_e32 vcc_lo, s21, v21
	v_fmac_f32_e32 v10, v1, v9
	v_add_co_u32 v22, s0, v22, 16
	v_fmac_f32_e32 v14, v3, v15
	v_fmac_f32_e32 v2, v1, v17
	v_add_nc_u32_e32 v36, 0x100, v36
	v_add_co_ci_u32_e64 v23, s0, 0, v23, s0
	s_delay_alu instid0(VALU_DEP_4) | instskip(SKIP_3) | instid1(VALU_DEP_3)
	v_fmac_f32_e32 v14, v4, v16
	v_fmac_f32_e32 v6, v1, v5
	;; [unrolled: 1-line block ×3, first 2 shown]
	s_or_b32 s3, vcc_lo, s3
	v_add_f32_e32 v31, v31, v14
	s_delay_alu instid0(VALU_DEP_3) | instskip(NEXT) | instid1(VALU_DEP_3)
	v_fmac_f32_e32 v6, v3, v7
	v_fmac_f32_e32 v2, v4, v20
	s_delay_alu instid0(VALU_DEP_2) | instskip(SKIP_1) | instid1(VALU_DEP_3)
	v_fmac_f32_e32 v6, v4, v8
	v_fmac_f32_e32 v10, v3, v11
	v_add_f32_e32 v30, v30, v2
	s_delay_alu instid0(VALU_DEP_2) | instskip(NEXT) | instid1(VALU_DEP_1)
	v_dual_add_f32 v29, v29, v6 :: v_dual_fmac_f32 v10, v4, v12
	v_add_f32_e32 v32, v32, v10
	s_and_not1_b32 exec_lo, exec_lo, s3
	s_cbranch_execz .LBB36_41
.LBB36_33:                              ; =>This Inner Loop Header: Depth=1
	global_load_b32 v3, v[22:23], off
	v_add_nc_u32_e32 v37, -3, v35
	v_add_nc_u32_e32 v39, -2, v35
	;; [unrolled: 1-line block ×3, first 2 shown]
	s_waitcnt vmcnt(0)
	v_mad_i64_i32 v[1:2], null, v3, s2, 0
	s_delay_alu instid0(VALU_DEP_1) | instskip(NEXT) | instid1(VALU_DEP_1)
	v_lshlrev_b64 v[1:2], 2, v[1:2]
	v_add_co_u32 v17, vcc_lo, v33, v1
	s_delay_alu instid0(VALU_DEP_2)
	v_add_co_ci_u32_e32 v18, vcc_lo, v34, v2, vcc_lo
	ds_load_b128 v[1:4], v36
	v_cmp_eq_u32_e32 vcc_lo, s30, v21
	global_load_b128 v[5:8], v[17:18], off
	s_and_saveexec_b32 s5, vcc_lo
	s_cbranch_execnz .LBB36_37
; %bb.34:                               ;   in Loop: Header=BB36_33 Depth=1
	s_or_b32 exec_lo, exec_lo, s5
	global_load_b128 v[9:12], v[17:18], off offset:512
	s_and_saveexec_b32 s5, vcc_lo
	s_cbranch_execnz .LBB36_38
.LBB36_35:                              ;   in Loop: Header=BB36_33 Depth=1
	s_or_b32 exec_lo, exec_lo, s5
	global_load_b128 v[13:16], v[17:18], off offset:1024
	s_and_saveexec_b32 s5, vcc_lo
	s_cbranch_execnz .LBB36_39
.LBB36_36:                              ;   in Loop: Header=BB36_33 Depth=1
	s_or_b32 exec_lo, exec_lo, s5
	global_load_b128 v[17:20], v[17:18], off offset:1536
	s_and_saveexec_b32 s0, vcc_lo
	s_cbranch_execz .LBB36_32
	s_branch .LBB36_40
.LBB36_37:                              ;   in Loop: Header=BB36_33 Depth=1
	v_cmp_gt_i32_e64 s0, s15, v37
	s_waitcnt vmcnt(0)
	s_delay_alu instid0(VALU_DEP_1) | instskip(SKIP_1) | instid1(VALU_DEP_1)
	v_cndmask_b32_e64 v5, 0, v5, s0
	v_cmp_gt_i32_e64 s0, s15, v39
	v_cndmask_b32_e64 v6, 0, v6, s0
	v_cmp_gt_i32_e64 s0, s15, v38
	s_delay_alu instid0(VALU_DEP_1) | instskip(SKIP_1) | instid1(VALU_DEP_1)
	v_cndmask_b32_e64 v7, 0, v7, s0
	v_cmp_gt_i32_e64 s0, s15, v35
	v_cndmask_b32_e64 v8, 0, v8, s0
	s_or_b32 exec_lo, exec_lo, s5
	global_load_b128 v[9:12], v[17:18], off offset:512
	s_and_saveexec_b32 s5, vcc_lo
	s_cbranch_execz .LBB36_35
.LBB36_38:                              ;   in Loop: Header=BB36_33 Depth=1
	v_cmp_gt_i32_e64 s0, s15, v37
	s_waitcnt vmcnt(0)
	s_delay_alu instid0(VALU_DEP_1) | instskip(SKIP_1) | instid1(VALU_DEP_1)
	v_cndmask_b32_e64 v9, 0, v9, s0
	v_cmp_gt_i32_e64 s0, s15, v39
	v_cndmask_b32_e64 v10, 0, v10, s0
	v_cmp_gt_i32_e64 s0, s15, v38
	s_delay_alu instid0(VALU_DEP_1) | instskip(SKIP_1) | instid1(VALU_DEP_1)
	v_cndmask_b32_e64 v11, 0, v11, s0
	v_cmp_gt_i32_e64 s0, s15, v35
	v_cndmask_b32_e64 v12, 0, v12, s0
	s_or_b32 exec_lo, exec_lo, s5
	global_load_b128 v[13:16], v[17:18], off offset:1024
	s_and_saveexec_b32 s5, vcc_lo
	s_cbranch_execz .LBB36_36
.LBB36_39:                              ;   in Loop: Header=BB36_33 Depth=1
	v_cmp_gt_i32_e64 s0, s15, v37
	s_waitcnt vmcnt(0)
	s_delay_alu instid0(VALU_DEP_1) | instskip(SKIP_1) | instid1(VALU_DEP_1)
	v_cndmask_b32_e64 v13, 0, v13, s0
	v_cmp_gt_i32_e64 s0, s15, v39
	v_cndmask_b32_e64 v14, 0, v14, s0
	v_cmp_gt_i32_e64 s0, s15, v38
	s_delay_alu instid0(VALU_DEP_1) | instskip(SKIP_1) | instid1(VALU_DEP_1)
	v_cndmask_b32_e64 v15, 0, v15, s0
	v_cmp_gt_i32_e64 s0, s15, v35
	v_cndmask_b32_e64 v16, 0, v16, s0
	s_or_b32 exec_lo, exec_lo, s5
	global_load_b128 v[17:20], v[17:18], off offset:1536
	s_and_saveexec_b32 s0, vcc_lo
	s_cbranch_execz .LBB36_32
.LBB36_40:                              ;   in Loop: Header=BB36_33 Depth=1
	v_cmp_gt_i32_e32 vcc_lo, s15, v37
	s_waitcnt vmcnt(0)
	v_cndmask_b32_e32 v17, 0, v17, vcc_lo
	v_cmp_gt_i32_e32 vcc_lo, s15, v39
	v_cndmask_b32_e32 v18, 0, v18, vcc_lo
	v_cmp_gt_i32_e32 vcc_lo, s15, v38
	v_cndmask_b32_e32 v19, 0, v19, vcc_lo
	v_cmp_gt_i32_e32 vcc_lo, s15, v35
	v_cndmask_b32_e32 v20, 0, v20, vcc_lo
	s_branch .LBB36_32
.LBB36_41:
	s_or_b32 exec_lo, exec_lo, s3
.LBB36_42:
	s_delay_alu instid0(SALU_CYCLE_1)
	s_or_b32 exec_lo, exec_lo, s1
	ds_bpermute_b32 v1, v26, v29
	ds_bpermute_b32 v2, v26, v32
	;; [unrolled: 1-line block ×4, first 2 shown]
	v_lshrrev_b32_e32 v5, 2, v25
	s_mov_b32 s0, exec_lo
	s_waitcnt lgkmcnt(0)
	s_waitcnt_vscnt null, 0x0
	s_barrier
	buffer_gl0_inv
	v_dual_add_f32 v1, v29, v1 :: v_dual_add_f32 v2, v32, v2
	v_dual_add_f32 v6, v31, v3 :: v_dual_add_f32 v7, v30, v4
	ds_bpermute_b32 v3, v27, v1
	ds_bpermute_b32 v8, v27, v2
	ds_bpermute_b32 v9, v27, v6
	ds_bpermute_b32 v10, v27, v7
	s_waitcnt lgkmcnt(3)
	v_dual_add_f32 v4, v1, v3 :: v_dual_and_b32 v11, 0x3c3, v0
	s_waitcnt lgkmcnt(2)
	v_add_f32_e32 v3, v2, v8
	s_waitcnt lgkmcnt(0)
	v_dual_add_f32 v2, v6, v9 :: v_dual_add_f32 v1, v7, v10
	v_cmpx_eq_u32_e32 64, v11
	s_cbranch_execz .LBB36_44
; %bb.43:
	v_lshl_add_u32 v6, v24, 7, 0xa0
	v_lshlrev_b32_e32 v7, 2, v5
	s_delay_alu instid0(VALU_DEP_1)
	v_add3_u32 v6, v6, v7, 0xffffff00
	ds_store_2addr_b32 v6, v4, v3 offset1:8
	ds_store_2addr_b32 v6, v2, v1 offset0:16 offset1:24
.LBB36_44:
	s_or_b32 exec_lo, exec_lo, s0
	v_and_b32_e32 v6, 0x3e0, v0
	v_cmp_eq_u32_e32 vcc_lo, 0, v28
	s_mov_b32 s1, exec_lo
	s_waitcnt lgkmcnt(0)
	s_barrier
	v_lshl_add_u32 v6, v6, 2, 0xa0
	buffer_gl0_inv
	v_cmpx_gt_u32_e32 64, v0
	s_cbranch_execz .LBB36_51
; %bb.45:
	s_and_saveexec_b32 s0, vcc_lo
	s_cbranch_execnz .LBB36_63
; %bb.46:
	s_or_b32 exec_lo, exec_lo, s0
	s_and_saveexec_b32 s0, vcc_lo
	s_cbranch_execnz .LBB36_64
.LBB36_47:
	s_or_b32 exec_lo, exec_lo, s0
	s_and_saveexec_b32 s0, vcc_lo
	s_cbranch_execnz .LBB36_65
.LBB36_48:
	s_or_b32 exec_lo, exec_lo, s0
	s_and_saveexec_b32 s0, vcc_lo
	s_cbranch_execz .LBB36_50
.LBB36_49:
	v_lshl_add_u32 v7, v5, 2, v6
	ds_load_b32 v7, v7 offset:96
	s_waitcnt lgkmcnt(0)
	v_add_f32_e32 v1, v1, v7
.LBB36_50:
	s_or_b32 exec_lo, exec_lo, s0
.LBB36_51:
	s_delay_alu instid0(SALU_CYCLE_1)
	s_or_b32 exec_lo, exec_lo, s1
	v_and_b32_e32 v7, 0x3e3, v0
	s_mov_b32 s1, exec_lo
	s_barrier
	buffer_gl0_inv
	v_cmpx_eq_u32_e32 32, v7
	s_cbranch_execz .LBB36_53
; %bb.52:
	v_lshl_add_u32 v8, v5, 2, 0xa0
	ds_store_2addr_b32 v8, v4, v3 offset1:8
	ds_store_2addr_b32 v8, v2, v1 offset0:16 offset1:24
.LBB36_53:
	s_or_b32 exec_lo, exec_lo, s1
	s_delay_alu instid0(SALU_CYCLE_1)
	s_mov_b32 s1, exec_lo
	s_waitcnt lgkmcnt(0)
	s_barrier
	buffer_gl0_inv
	v_cmpx_gt_u32_e32 32, v0
	s_cbranch_execz .LBB36_60
; %bb.54:
	v_lshl_add_u32 v5, v5, 2, v6
	s_and_saveexec_b32 s0, vcc_lo
	s_cbranch_execnz .LBB36_66
; %bb.55:
	s_or_b32 exec_lo, exec_lo, s0
	s_and_saveexec_b32 s0, vcc_lo
	s_cbranch_execnz .LBB36_67
.LBB36_56:
	s_or_b32 exec_lo, exec_lo, s0
	s_and_saveexec_b32 s0, vcc_lo
	s_cbranch_execnz .LBB36_68
.LBB36_57:
	s_or_b32 exec_lo, exec_lo, s0
	s_and_saveexec_b32 s0, vcc_lo
	s_cbranch_execz .LBB36_59
.LBB36_58:
	ds_load_b32 v5, v5 offset:96
	s_waitcnt lgkmcnt(0)
	v_add_f32_e32 v1, v1, v5
.LBB36_59:
	s_or_b32 exec_lo, exec_lo, s0
.LBB36_60:
	s_delay_alu instid0(SALU_CYCLE_1)
	s_or_b32 exec_lo, exec_lo, s1
	s_barrier
	buffer_gl0_inv
	s_mov_b32 s0, exec_lo
	v_cmpx_eq_u32_e32 0, v7
	s_cbranch_execz .LBB36_62
; %bb.61:
	s_lshl_b32 s0, s6, 5
	s_mul_i32 s2, s13, s12
	s_ashr_i32 s1, s0, 31
	s_delay_alu instid0(SALU_CYCLE_1) | instskip(NEXT) | instid1(SALU_CYCLE_1)
	s_lshl_b64 s[0:1], s[0:1], 2
	s_add_u32 s5, s16, s0
	s_addc_u32 s6, s17, s1
	s_ashr_i32 s3, s2, 31
	s_delay_alu instid0(SALU_CYCLE_1) | instskip(NEXT) | instid1(SALU_CYCLE_1)
	s_lshl_b64 s[0:1], s[2:3], 2
	s_add_u32 s2, s5, s0
	s_addc_u32 s3, s6, s1
	;; [unrolled: 5-line block ×3, first 2 shown]
	s_clause 0x3
	global_store_b32 v0, v4, s[0:1]
	global_store_b32 v0, v3, s[0:1] offset:32
	global_store_b32 v0, v2, s[0:1] offset:64
	;; [unrolled: 1-line block ×3, first 2 shown]
.LBB36_62:
	s_nop 0
	s_sendmsg sendmsg(MSG_DEALLOC_VGPRS)
	s_endpgm
.LBB36_63:
	v_lshl_add_u32 v7, v5, 2, v6
	ds_load_b32 v7, v7
	s_waitcnt lgkmcnt(0)
	v_add_f32_e32 v4, v4, v7
	s_or_b32 exec_lo, exec_lo, s0
	s_and_saveexec_b32 s0, vcc_lo
	s_cbranch_execz .LBB36_47
.LBB36_64:
	v_lshl_add_u32 v7, v5, 2, v6
	ds_load_b32 v7, v7 offset:32
	s_waitcnt lgkmcnt(0)
	v_add_f32_e32 v3, v3, v7
	s_or_b32 exec_lo, exec_lo, s0
	s_and_saveexec_b32 s0, vcc_lo
	s_cbranch_execz .LBB36_48
.LBB36_65:
	v_lshl_add_u32 v7, v5, 2, v6
	ds_load_b32 v7, v7 offset:64
	s_waitcnt lgkmcnt(0)
	v_add_f32_e32 v2, v2, v7
	s_or_b32 exec_lo, exec_lo, s0
	s_and_saveexec_b32 s0, vcc_lo
	s_cbranch_execnz .LBB36_49
	s_branch .LBB36_50
.LBB36_66:
	ds_load_b32 v6, v5
	s_waitcnt lgkmcnt(0)
	v_add_f32_e32 v4, v4, v6
	s_or_b32 exec_lo, exec_lo, s0
	s_and_saveexec_b32 s0, vcc_lo
	s_cbranch_execz .LBB36_56
.LBB36_67:
	ds_load_b32 v6, v5 offset:32
	s_waitcnt lgkmcnt(0)
	v_add_f32_e32 v3, v3, v6
	s_or_b32 exec_lo, exec_lo, s0
	s_and_saveexec_b32 s0, vcc_lo
	s_cbranch_execz .LBB36_57
.LBB36_68:
	ds_load_b32 v6, v5 offset:64
	s_waitcnt lgkmcnt(0)
	v_add_f32_e32 v2, v2, v6
	s_or_b32 exec_lo, exec_lo, s0
	s_and_saveexec_b32 s0, vcc_lo
	s_cbranch_execnz .LBB36_58
	s_branch .LBB36_59
	.section	.rodata,"a",@progbits
	.p2align	6, 0x0
	.amdhsa_kernel _ZN4vllm25paged_attention_v2_kernelIffLi32ELi16ELi128ELNS_18Fp8KVCacheDataTypeE0ELb0ELi512EEEvPfS2_PT_PKS3_PKT0_S9_ifPKiSB_iPKfiiiSD_SD_iiiii
		.amdhsa_group_segment_fixed_size 160
		.amdhsa_private_segment_fixed_size 0
		.amdhsa_kernarg_size 400
		.amdhsa_user_sgpr_count 13
		.amdhsa_user_sgpr_dispatch_ptr 0
		.amdhsa_user_sgpr_queue_ptr 0
		.amdhsa_user_sgpr_kernarg_segment_ptr 1
		.amdhsa_user_sgpr_dispatch_id 0
		.amdhsa_user_sgpr_private_segment_size 0
		.amdhsa_wavefront_size32 1
		.amdhsa_uses_dynamic_stack 0
		.amdhsa_enable_private_segment 0
		.amdhsa_system_sgpr_workgroup_id_x 1
		.amdhsa_system_sgpr_workgroup_id_y 1
		.amdhsa_system_sgpr_workgroup_id_z 1
		.amdhsa_system_sgpr_workgroup_info 0
		.amdhsa_system_vgpr_workitem_id 0
		.amdhsa_next_free_vgpr 48
		.amdhsa_next_free_sgpr 40
		.amdhsa_reserve_vcc 1
		.amdhsa_float_round_mode_32 0
		.amdhsa_float_round_mode_16_64 0
		.amdhsa_float_denorm_mode_32 3
		.amdhsa_float_denorm_mode_16_64 3
		.amdhsa_dx10_clamp 1
		.amdhsa_ieee_mode 1
		.amdhsa_fp16_overflow 0
		.amdhsa_workgroup_processor_mode 1
		.amdhsa_memory_ordered 1
		.amdhsa_forward_progress 0
		.amdhsa_shared_vgpr_count 0
		.amdhsa_exception_fp_ieee_invalid_op 0
		.amdhsa_exception_fp_denorm_src 0
		.amdhsa_exception_fp_ieee_div_zero 0
		.amdhsa_exception_fp_ieee_overflow 0
		.amdhsa_exception_fp_ieee_underflow 0
		.amdhsa_exception_fp_ieee_inexact 0
		.amdhsa_exception_int_div_zero 0
	.end_amdhsa_kernel
	.section	.text._ZN4vllm25paged_attention_v2_kernelIffLi32ELi16ELi128ELNS_18Fp8KVCacheDataTypeE0ELb0ELi512EEEvPfS2_PT_PKS3_PKT0_S9_ifPKiSB_iPKfiiiSD_SD_iiiii,"axG",@progbits,_ZN4vllm25paged_attention_v2_kernelIffLi32ELi16ELi128ELNS_18Fp8KVCacheDataTypeE0ELb0ELi512EEEvPfS2_PT_PKS3_PKT0_S9_ifPKiSB_iPKfiiiSD_SD_iiiii,comdat
.Lfunc_end36:
	.size	_ZN4vllm25paged_attention_v2_kernelIffLi32ELi16ELi128ELNS_18Fp8KVCacheDataTypeE0ELb0ELi512EEEvPfS2_PT_PKS3_PKT0_S9_ifPKiSB_iPKfiiiSD_SD_iiiii, .Lfunc_end36-_ZN4vllm25paged_attention_v2_kernelIffLi32ELi16ELi128ELNS_18Fp8KVCacheDataTypeE0ELb0ELi512EEEvPfS2_PT_PKS3_PKT0_S9_ifPKiSB_iPKfiiiSD_SD_iiiii
                                        ; -- End function
	.section	.AMDGPU.csdata,"",@progbits
; Kernel info:
; codeLenInByte = 4144
; NumSgprs: 42
; NumVgprs: 48
; ScratchSize: 0
; MemoryBound: 0
; FloatMode: 240
; IeeeMode: 1
; LDSByteSize: 160 bytes/workgroup (compile time only)
; SGPRBlocks: 5
; VGPRBlocks: 5
; NumSGPRsForWavesPerEU: 42
; NumVGPRsForWavesPerEU: 48
; Occupancy: 16
; WaveLimiterHint : 1
; COMPUTE_PGM_RSRC2:SCRATCH_EN: 0
; COMPUTE_PGM_RSRC2:USER_SGPR: 13
; COMPUTE_PGM_RSRC2:TRAP_HANDLER: 0
; COMPUTE_PGM_RSRC2:TGID_X_EN: 1
; COMPUTE_PGM_RSRC2:TGID_Y_EN: 1
; COMPUTE_PGM_RSRC2:TGID_Z_EN: 1
; COMPUTE_PGM_RSRC2:TIDIG_COMP_CNT: 0
	.section	.text._ZN4vllm25paged_attention_v2_kernelIffLi64ELi16ELi128ELNS_18Fp8KVCacheDataTypeE0ELb0ELi512EEEvPfS2_PT_PKS3_PKT0_S9_ifPKiSB_iPKfiiiSD_SD_iiiii,"axG",@progbits,_ZN4vllm25paged_attention_v2_kernelIffLi64ELi16ELi128ELNS_18Fp8KVCacheDataTypeE0ELb0ELi512EEEvPfS2_PT_PKS3_PKT0_S9_ifPKiSB_iPKfiiiSD_SD_iiiii,comdat
	.protected	_ZN4vllm25paged_attention_v2_kernelIffLi64ELi16ELi128ELNS_18Fp8KVCacheDataTypeE0ELb0ELi512EEEvPfS2_PT_PKS3_PKT0_S9_ifPKiSB_iPKfiiiSD_SD_iiiii ; -- Begin function _ZN4vllm25paged_attention_v2_kernelIffLi64ELi16ELi128ELNS_18Fp8KVCacheDataTypeE0ELb0ELi512EEEvPfS2_PT_PKS3_PKT0_S9_ifPKiSB_iPKfiiiSD_SD_iiiii
	.globl	_ZN4vllm25paged_attention_v2_kernelIffLi64ELi16ELi128ELNS_18Fp8KVCacheDataTypeE0ELb0ELi512EEEvPfS2_PT_PKS3_PKT0_S9_ifPKiSB_iPKfiiiSD_SD_iiiii
	.p2align	8
	.type	_ZN4vllm25paged_attention_v2_kernelIffLi64ELi16ELi128ELNS_18Fp8KVCacheDataTypeE0ELb0ELi512EEEvPfS2_PT_PKS3_PKT0_S9_ifPKiSB_iPKfiiiSD_SD_iiiii,@function
_ZN4vllm25paged_attention_v2_kernelIffLi64ELi16ELi128ELNS_18Fp8KVCacheDataTypeE0ELb0ELi512EEEvPfS2_PT_PKS3_PKT0_S9_ifPKiSB_iPKfiiiSD_SD_iiiii: ; @_ZN4vllm25paged_attention_v2_kernelIffLi64ELi16ELi128ELNS_18Fp8KVCacheDataTypeE0ELb0ELi512EEEvPfS2_PT_PKS3_PKT0_S9_ifPKiSB_iPKfiiiSD_SD_iiiii
; %bb.0:
	s_load_b64 s[2:3], s[0:1], 0x40
	s_mov_b32 s12, s15
	s_ashr_i32 s15, s14, 31
	s_delay_alu instid0(SALU_CYCLE_1)
	s_lshl_b64 s[4:5], s[14:15], 2
	s_waitcnt lgkmcnt(0)
	s_add_u32 s2, s2, s4
	s_addc_u32 s3, s3, s5
	s_lshl_b32 s34, s12, 9
	s_load_b32 s33, s[2:3], 0x0
	s_waitcnt lgkmcnt(0)
	s_cmp_ge_i32 s34, s33
	s_cbranch_scc1 .LBB37_78
; %bb.1:
	s_mov_b32 s20, s13
	s_clause 0x1
	s_load_b32 s13, s[0:1], 0x90
	s_load_b64 s[30:31], s[0:1], 0x30
	s_waitcnt lgkmcnt(0)
	s_abs_i32 s5, s13
	s_abs_i32 s2, s30
	s_delay_alu instid0(SALU_CYCLE_1) | instskip(SKIP_1) | instid1(VALU_DEP_1)
	v_cvt_f32_u32_e32 v1, s2
	s_sub_i32 s4, 0, s2
	v_rcp_iflag_f32_e32 v1, v1
	s_waitcnt_depctr 0xfff
	v_mul_f32_e32 v1, 0x4f7ffffe, v1
	s_delay_alu instid0(VALU_DEP_1) | instskip(NEXT) | instid1(VALU_DEP_1)
	v_cvt_u32_f32_e32 v1, v1
	v_readfirstlane_b32 s3, v1
	s_delay_alu instid0(VALU_DEP_1) | instskip(NEXT) | instid1(SALU_CYCLE_1)
	s_mul_i32 s4, s4, s3
	s_mul_hi_u32 s4, s3, s4
	s_delay_alu instid0(SALU_CYCLE_1)
	s_add_i32 s3, s3, s4
	s_xor_b32 s4, s13, s30
	s_mul_hi_u32 s3, s5, s3
	s_ashr_i32 s4, s4, 31
	s_mul_i32 s6, s3, s2
	s_mov_b32 s30, 0
	s_sub_i32 s5, s5, s6
	s_add_i32 s6, s3, 1
	s_sub_i32 s7, s5, s2
	s_cmp_ge_u32 s5, s2
	s_cselect_b32 s3, s6, s3
	s_cselect_b32 s5, s7, s5
	s_add_i32 s6, s3, 1
	s_cmp_ge_u32 s5, s2
	s_cselect_b32 s2, s6, s3
	s_abs_i32 s10, s20
	s_xor_b32 s2, s2, s4
	s_delay_alu instid0(SALU_CYCLE_1) | instskip(SKIP_2) | instid1(SALU_CYCLE_1)
	s_sub_i32 s11, s2, s4
	s_load_b64 s[2:3], s[0:1], 0x50
	s_abs_i32 s8, s11
	v_cvt_f32_u32_e32 v1, s8
	s_sub_i32 s5, 0, s8
	s_delay_alu instid0(VALU_DEP_1) | instskip(SKIP_2) | instid1(VALU_DEP_1)
	v_rcp_iflag_f32_e32 v1, v1
	s_waitcnt_depctr 0xfff
	v_mul_f32_e32 v1, 0x4f7ffffe, v1
	v_cvt_u32_f32_e32 v1, v1
	s_delay_alu instid0(VALU_DEP_1) | instskip(NEXT) | instid1(VALU_DEP_1)
	v_readfirstlane_b32 s4, v1
	s_mul_i32 s5, s5, s4
	s_delay_alu instid0(SALU_CYCLE_1) | instskip(NEXT) | instid1(SALU_CYCLE_1)
	s_mul_hi_u32 s5, s4, s5
	s_add_i32 s4, s4, s5
	s_waitcnt lgkmcnt(0)
	s_cmp_eq_u64 s[2:3], 0
	s_mul_hi_u32 s9, s10, s4
	s_cbranch_scc1 .LBB37_3
; %bb.2:
	s_ashr_i32 s21, s20, 31
	s_delay_alu instid0(SALU_CYCLE_1) | instskip(NEXT) | instid1(SALU_CYCLE_1)
	s_lshl_b64 s[4:5], s[20:21], 2
	s_add_u32 s2, s2, s4
	s_addc_u32 s3, s3, s5
	s_load_b32 s30, s[2:3], 0x0
.LBB37_3:
	s_load_b128 s[4:7], s[0:1], 0x58
	v_and_b32_e32 v33, 1, v0
	v_cmp_gt_u32_e64 s2, 32, v0
	v_lshlrev_b32_e32 v1, 3, v0
	v_lshlrev_b32_e32 v35, 2, v0
	s_ashr_i32 s3, s20, 31
	s_ashr_i32 s11, s11, 31
	s_lshl_b32 s16, s20, 6
	s_waitcnt lgkmcnt(0)
	s_and_saveexec_b32 s7, s2
	s_cbranch_execz .LBB37_5
; %bb.4:
	s_load_b64 s[18:19], s[0:1], 0x18
	s_mul_i32 s22, s14, s4
	v_and_b32_e32 v4, 0xff8, v35
	s_ashr_i32 s23, s22, 31
	s_delay_alu instid0(SALU_CYCLE_1) | instskip(NEXT) | instid1(VALU_DEP_1)
	s_lshl_b64 s[22:23], s[22:23], 2
	v_lshl_add_u32 v4, v33, 7, v4
	s_waitcnt lgkmcnt(0)
	s_add_u32 s4, s18, s22
	s_addc_u32 s15, s19, s23
	s_ashr_i32 s17, s16, 31
	s_delay_alu instid0(SALU_CYCLE_1) | instskip(NEXT) | instid1(SALU_CYCLE_1)
	s_lshl_b64 s[18:19], s[16:17], 2
	s_add_u32 s18, s4, s18
	s_addc_u32 s19, s15, s19
	global_load_b64 v[2:3], v1, s[18:19]
	s_waitcnt vmcnt(0)
	ds_store_b64 v4, v[2:3]
.LBB37_5:
	s_or_b32 exec_lo, exec_lo, s7
	s_add_i32 s4, s33, 15
	s_lshl_b32 s7, s12, 5
	s_ashr_i32 s15, s4, 31
	s_xor_b32 s3, s3, s11
	s_lshr_b32 s15, s15, 28
	s_add_i32 s11, s7, 32
	s_add_i32 s4, s4, s15
	v_lshrrev_b32_e32 v40, 5, v0
	s_ashr_i32 s21, s4, 4
	s_mul_i32 s4, s9, s8
	s_min_i32 s17, s11, s21
	s_clause 0x1
	s_load_b64 s[22:23], s[0:1], 0x38
	s_load_b32 s11, s[0:1], 0x48
	s_sub_i32 s4, s10, s4
	s_add_i32 s10, s9, 1
	s_sub_i32 s15, s4, s8
	s_cmp_ge_u32 s4, s8
	v_or_b32_e32 v37, s7, v40
	s_cselect_b32 s9, s10, s9
	s_cselect_b32 s4, s15, s4
	s_add_i32 s10, s9, 1
	s_cmp_ge_u32 s4, s8
	v_mbcnt_lo_u32_b32 v36, -1, 0
	s_cselect_b32 s4, s10, s9
	s_mov_b32 s8, exec_lo
	s_xor_b32 s4, s4, s3
	s_waitcnt lgkmcnt(0)
	s_sub_i32 s4, s4, s3
	v_cmp_gt_i32_e64 s3, s17, v37
	s_barrier
	buffer_gl0_inv
                                        ; implicit-def: $sgpr28
                                        ; implicit-def: $vgpr39
	s_mul_i32 s24, s14, s11
	s_delay_alu instid0(SALU_CYCLE_1)
	s_ashr_i32 s25, s24, 31
	v_cmpx_le_i32_e64 s17, v37
	s_xor_b32 s8, exec_lo, s8
; %bb.6:
	v_mbcnt_lo_u32_b32 v36, -1, 0
	v_mov_b32_e32 v39, 32
	s_mov_b32 s28, 0xff7fffff
                                        ; implicit-def: $vgpr1
                                        ; implicit-def: $vgpr33
; %bb.7:
	s_or_saveexec_b32 s35, s8
	s_clause 0x3
	s_load_b128 s[8:11], s[0:1], 0x0
	s_load_b64 s[18:19], s[0:1], 0x10
	s_load_b64 s[26:27], s[0:1], 0x28
	s_load_b32 s15, s[0:1], 0x98
	v_mov_b32_e32 v41, s28
	v_ashrrev_i32_e32 v38, 31, v37
	s_mul_i32 s28, s4, s6
	s_xor_b32 exec_lo, exec_lo, s35
	s_cbranch_execz .LBB37_13
; %bb.8:
	s_load_b64 s[0:1], s[0:1], 0x20
	v_bfe_u32 v34, v0, 1, 4
	v_xor_b32_e32 v41, 1, v36
	v_lshlrev_b32_e32 v29, 7, v33
	s_ashr_i32 s29, s28, 31
	v_and_b32_e32 v39, 8, v1
	s_lshl_b64 s[36:37], s[28:29], 2
	v_cmp_gt_i32_e32 vcc_lo, 32, v41
	v_lshlrev_b32_e32 v42, 4, v34
	ds_load_b128 v[1:4], v29
	ds_load_b128 v[5:8], v29 offset:16
	ds_load_b128 v[9:12], v29 offset:32
	;; [unrolled: 1-line block ×7, first 2 shown]
	v_lshlrev_b32_e32 v45, 2, v34
	s_mov_b32 s29, 0
	v_cndmask_b32_e32 v41, v36, v41, vcc_lo
	v_mov_b32_e32 v47, v37
	s_delay_alu instid0(VALU_DEP_3) | instskip(NEXT) | instid1(VALU_DEP_3)
	v_lshl_or_b32 v46, v40, 6, v45
	v_lshlrev_b32_e32 v44, 2, v41
	v_lshlrev_b32_e32 v41, 4, v40
	s_waitcnt lgkmcnt(0)
	s_add_u32 s0, s0, s36
	s_addc_u32 s1, s1, s37
	v_add_co_u32 v42, s0, s0, v42
	s_delay_alu instid0(VALU_DEP_1) | instskip(SKIP_1) | instid1(VALU_DEP_2)
	v_add_co_ci_u32_e64 v43, null, s1, 0, s0
	s_lshl_b64 s[36:37], s[24:25], 2
	v_add_co_u32 v42, vcc_lo, v42, v39
	v_mov_b32_e32 v39, 32
	s_delay_alu instid0(VALU_DEP_3)
	v_add_co_ci_u32_e32 v43, vcc_lo, 0, v43, vcc_lo
	v_cmp_eq_u32_e32 vcc_lo, 0, v33
	v_add3_u32 v45, s34, v41, v34
	v_lshlrev_b64 v[33:34], 2, v[37:38]
	s_sub_i32 s6, 1, s33
	s_add_u32 s1, s22, s36
	s_addc_u32 s4, s23, s37
	v_cmp_neq_f32_e64 s0, s30, 0
	v_add_nc_u32_e32 v46, 0x120, v46
	v_add_co_u32 v33, s1, s1, v33
	s_delay_alu instid0(VALU_DEP_1)
	v_add_co_ci_u32_e64 v34, s1, s4, v34, s1
	v_mov_b32_e32 v41, 0xff7fffff
	s_mov_b32 s36, s5
	s_branch .LBB37_10
.LBB37_9:                               ;   in Loop: Header=BB37_10 Depth=1
	s_or_b32 exec_lo, exec_lo, s4
	v_add_nc_u32_e32 v47, 4, v47
	v_add_co_u32 v33, s4, v33, 16
	v_add_nc_u32_e32 v45, 64, v45
	v_add_nc_u32_e32 v46, 0x100, v46
	s_delay_alu instid0(VALU_DEP_4) | instskip(SKIP_1) | instid1(VALU_DEP_2)
	v_cmp_le_i32_e64 s1, s17, v47
	v_add_co_ci_u32_e64 v34, s4, 0, v34, s4
	s_or_b32 s29, s1, s29
	s_delay_alu instid0(SALU_CYCLE_1)
	s_and_not1_b32 exec_lo, exec_lo, s29
	s_cbranch_execz .LBB37_12
.LBB37_10:                              ; =>This Inner Loop Header: Depth=1
	global_load_b32 v50, v[33:34], off
	s_waitcnt vmcnt(0) lgkmcnt(0)
	v_mad_i64_i32 v[48:49], null, v50, s36, 0
	s_delay_alu instid0(VALU_DEP_1) | instskip(NEXT) | instid1(VALU_DEP_1)
	v_lshlrev_b64 v[48:49], 2, v[48:49]
	v_add_co_u32 v48, s1, v42, v48
	s_delay_alu instid0(VALU_DEP_1)
	v_add_co_ci_u32_e64 v49, s1, v43, v49, s1
	s_clause 0xf
	global_load_b64 v[50:51], v[48:49], off offset:256
	global_load_b64 v[52:53], v[48:49], off
	global_load_b64 v[54:55], v[48:49], off offset:512
	global_load_b64 v[56:57], v[48:49], off offset:768
	;; [unrolled: 1-line block ×14, first 2 shown]
	s_waitcnt vmcnt(15)
	v_dual_mul_f32 v50, v3, v50 :: v_dual_mul_f32 v51, v4, v51
	s_waitcnt vmcnt(14)
	s_delay_alu instid0(VALU_DEP_1) | instskip(SKIP_1) | instid1(VALU_DEP_1)
	v_dual_fmac_f32 v50, v1, v52 :: v_dual_fmac_f32 v51, v2, v53
	s_waitcnt vmcnt(13)
	v_dual_fmac_f32 v50, v5, v54 :: v_dual_fmac_f32 v51, v6, v55
	s_waitcnt vmcnt(12)
	s_delay_alu instid0(VALU_DEP_1) | instskip(SKIP_1) | instid1(VALU_DEP_1)
	v_dual_fmac_f32 v50, v7, v56 :: v_dual_fmac_f32 v51, v8, v57
	s_waitcnt vmcnt(11)
	v_dual_fmac_f32 v50, v9, v58 :: v_dual_fmac_f32 v51, v10, v59
	;; [unrolled: 5-line block ×7, first 2 shown]
	s_waitcnt vmcnt(0)
	s_delay_alu instid0(VALU_DEP_1) | instskip(NEXT) | instid1(VALU_DEP_1)
	v_dual_fmac_f32 v50, v31, v48 :: v_dual_fmac_f32 v51, v32, v49
	v_add_f32_e32 v48, v50, v51
	ds_bpermute_b32 v49, v44, v48
	s_and_saveexec_b32 s4, vcc_lo
	s_cbranch_execz .LBB37_9
; %bb.11:                               ;   in Loop: Header=BB37_10 Depth=1
	s_waitcnt lgkmcnt(0)
	v_add_f32_e32 v48, v48, v49
	v_add_nc_u32_e32 v50, s6, v45
	v_cmp_gt_i32_e64 s1, s33, v45
	s_delay_alu instid0(VALU_DEP_2) | instskip(NEXT) | instid1(VALU_DEP_1)
	v_cvt_f32_i32_e32 v50, v50
	v_mul_f32_e32 v50, s30, v50
	s_delay_alu instid0(VALU_DEP_1) | instskip(NEXT) | instid1(VALU_DEP_1)
	v_cndmask_b32_e64 v49, 0, v50, s0
	v_dual_max_f32 v50, v41, v41 :: v_dual_fmac_f32 v49, s31, v48
	s_delay_alu instid0(VALU_DEP_1) | instskip(SKIP_1) | instid1(VALU_DEP_2)
	v_max_f32_e32 v48, v50, v49
	v_cndmask_b32_e64 v49, 0, v49, s1
	v_cndmask_b32_e64 v41, v41, v48, s1
	ds_store_b32 v46, v49
	s_branch .LBB37_9
.LBB37_12:
	s_or_b32 exec_lo, exec_lo, s29
.LBB37_13:
	s_delay_alu instid0(SALU_CYCLE_1) | instskip(SKIP_4) | instid1(VALU_DEP_4)
	s_or_b32 exec_lo, exec_lo, s35
	v_xor_b32_e32 v1, 16, v36
	v_xor_b32_e32 v3, 8, v36
	;; [unrolled: 1-line block ×4, first 2 shown]
	v_cmp_lt_i32_e32 vcc_lo, v1, v39
	v_cndmask_b32_e32 v1, v36, v1, vcc_lo
	v_cmp_lt_i32_e32 vcc_lo, v3, v39
	v_dual_max_f32 v4, v41, v41 :: v_dual_cndmask_b32 v3, v36, v3
	v_cmp_lt_i32_e32 vcc_lo, v5, v39
	s_delay_alu instid0(VALU_DEP_2) | instskip(SKIP_2) | instid1(VALU_DEP_2)
	v_lshlrev_b32_e32 v3, 2, v3
	v_cndmask_b32_e32 v5, v36, v5, vcc_lo
	v_cmp_lt_i32_e32 vcc_lo, v6, v39
	v_dual_cndmask_b32 v6, v36, v6 :: v_dual_lshlrev_b32 v5, 2, v5
	s_delay_alu instid0(VALU_DEP_1) | instskip(SKIP_4) | instid1(VALU_DEP_1)
	v_lshlrev_b32_e32 v42, 2, v6
	v_lshlrev_b32_e32 v2, 2, v1
	;; [unrolled: 1-line block ×3, first 2 shown]
	ds_bpermute_b32 v1, v2, v41
	v_and_b32_e32 v41, 31, v0
	v_cmp_eq_u32_e32 vcc_lo, 0, v41
	s_waitcnt lgkmcnt(0)
	v_max_f32_e32 v1, v1, v1
	s_delay_alu instid0(VALU_DEP_1) | instskip(SKIP_3) | instid1(VALU_DEP_1)
	v_max_f32_e32 v1, v4, v1
	ds_bpermute_b32 v4, v3, v1
	s_waitcnt lgkmcnt(0)
	v_max_f32_e32 v4, v4, v4
	v_max_f32_e32 v1, v1, v4
	ds_bpermute_b32 v4, v5, v1
	s_waitcnt lgkmcnt(0)
	v_max_f32_e32 v4, v4, v4
	s_delay_alu instid0(VALU_DEP_1)
	v_max_f32_e32 v1, v1, v4
	ds_bpermute_b32 v4, v42, v1
	s_and_saveexec_b32 s0, vcc_lo
	s_cbranch_execz .LBB37_15
; %bb.14:
	s_waitcnt lgkmcnt(0)
	v_dual_max_f32 v4, v4, v4 :: v_dual_max_f32 v1, v1, v1
	s_delay_alu instid0(VALU_DEP_1)
	v_max_f32_e32 v1, v1, v4
	ds_store_b32 v6, v1 offset:256
.LBB37_15:
	s_or_b32 exec_lo, exec_lo, s0
	v_cmp_gt_u32_e64 s0, 4, v41
	v_mov_b32_e32 v1, 0xff7fffff
	v_lshlrev_b32_e32 v7, 2, v41
	s_waitcnt lgkmcnt(0)
	s_barrier
	buffer_gl0_inv
	s_and_saveexec_b32 s1, s0
	s_cbranch_execz .LBB37_17
; %bb.16:
	ds_load_b32 v1, v7 offset:256
.LBB37_17:
	s_or_b32 exec_lo, exec_lo, s1
	s_waitcnt lgkmcnt(0)
	ds_bpermute_b32 v4, v42, v1
	v_xor_b32_e32 v8, 1, v36
	v_max_f32_e32 v1, v1, v1
	v_mov_b32_e32 v9, 0
	s_delay_alu instid0(VALU_DEP_3) | instskip(NEXT) | instid1(VALU_DEP_1)
	v_cmp_lt_i32_e64 s1, v8, v39
	v_cndmask_b32_e64 v8, v36, v8, s1
	s_sub_i32 s1, s17, s7
	s_delay_alu instid0(SALU_CYCLE_1) | instskip(NEXT) | instid1(VALU_DEP_1)
	s_lshl_b32 s1, s1, 4
	v_lshlrev_b32_e32 v43, 2, v8
	v_lshlrev_b32_e32 v8, 2, v36
	s_add_i32 s1, s1, s34
	s_waitcnt lgkmcnt(0)
	v_max_f32_e32 v4, v4, v4
	s_min_i32 s1, s1, s33
	v_and_b32_e32 v8, 0xffffff80, v8
	s_sub_i32 s6, s1, s34
	s_delay_alu instid0(VALU_DEP_2) | instskip(SKIP_4) | instid1(VALU_DEP_1)
	v_max_f32_e32 v1, v1, v4
	v_cmp_gt_i32_e64 s1, s6, v0
	ds_bpermute_b32 v4, v43, v1
	s_waitcnt lgkmcnt(0)
	v_max_f32_e32 v4, v4, v4
	v_max_f32_e32 v1, v1, v4
	v_lshl_add_u32 v4, v0, 2, 0x120
	ds_bpermute_b32 v1, v8, v1
	s_and_saveexec_b32 s7, s1
	s_cbranch_execz .LBB37_21
; %bb.18:
	v_lshl_add_u32 v10, v0, 2, 0x120
	v_mov_b32_e32 v9, 0
	v_mov_b32_e32 v11, v0
	s_mov_b32 s29, 0
	.p2align	6
.LBB37_19:                              ; =>This Inner Loop Header: Depth=1
	ds_load_b32 v12, v10
	v_add_nc_u32_e32 v11, 0x80, v11
	s_delay_alu instid0(VALU_DEP_1) | instskip(NEXT) | instid1(VALU_DEP_1)
	v_cmp_le_i32_e64 s4, s6, v11
	s_or_b32 s29, s4, s29
	s_waitcnt lgkmcnt(0)
	v_sub_f32_e32 v12, v12, v1
	s_delay_alu instid0(VALU_DEP_1) | instskip(NEXT) | instid1(VALU_DEP_1)
	v_mul_f32_e32 v12, 0x3fb8aa3b, v12
	v_exp_f32_e32 v12, v12
	ds_store_b32 v10, v12
	v_dual_add_f32 v9, v9, v12 :: v_dual_add_nc_u32 v10, 0x200, v10
	s_and_not1_b32 exec_lo, exec_lo, s29
	s_cbranch_execnz .LBB37_19
; %bb.20:
	s_or_b32 exec_lo, exec_lo, s29
.LBB37_21:
	s_delay_alu instid0(SALU_CYCLE_1)
	s_or_b32 exec_lo, exec_lo, s7
	ds_bpermute_b32 v2, v2, v9
	s_waitcnt lgkmcnt(0)
	v_add_f32_e32 v2, v9, v2
	ds_bpermute_b32 v3, v3, v2
	s_waitcnt lgkmcnt(0)
	v_add_f32_e32 v2, v2, v3
	ds_bpermute_b32 v3, v5, v2
	s_waitcnt lgkmcnt(0)
	v_add_f32_e32 v2, v2, v3
	ds_bpermute_b32 v3, v42, v2
	s_waitcnt lgkmcnt(0)
	v_add_f32_e32 v2, v2, v3
	ds_bpermute_b32 v3, v43, v2
	s_waitcnt lgkmcnt(0)
	v_add_f32_e32 v2, v2, v3
	s_and_saveexec_b32 s4, vcc_lo
	s_cbranch_execz .LBB37_23
; %bb.22:
	ds_store_b32 v6, v2 offset:272
.LBB37_23:
	s_or_b32 exec_lo, exec_lo, s4
	s_waitcnt lgkmcnt(0)
	s_barrier
	buffer_gl0_inv
	s_and_saveexec_b32 s4, s0
	s_cbranch_execz .LBB37_25
; %bb.24:
	ds_load_b32 v2, v7 offset:272
.LBB37_25:
	s_or_b32 exec_lo, exec_lo, s4
	s_waitcnt lgkmcnt(0)
	ds_bpermute_b32 v3, v42, v2
	s_waitcnt lgkmcnt(0)
	v_add_f32_e32 v2, v2, v3
	ds_bpermute_b32 v3, v43, v2
	s_waitcnt lgkmcnt(0)
	v_add_f32_e32 v2, v2, v3
	ds_bpermute_b32 v2, v8, v2
	s_and_saveexec_b32 s0, s1
	s_cbranch_execz .LBB37_28
; %bb.26:
	s_waitcnt lgkmcnt(0)
	v_add_f32_e32 v3, 0x358637bd, v2
	s_mov_b32 s1, 0
	s_delay_alu instid0(VALU_DEP_1) | instskip(SKIP_1) | instid1(VALU_DEP_2)
	v_div_scale_f32 v5, null, v3, v3, 1.0
	v_div_scale_f32 v8, vcc_lo, 1.0, v3, 1.0
	v_rcp_f32_e32 v6, v5
	s_waitcnt_depctr 0xfff
	v_fma_f32 v7, -v5, v6, 1.0
	s_delay_alu instid0(VALU_DEP_1) | instskip(NEXT) | instid1(VALU_DEP_1)
	v_fmac_f32_e32 v6, v7, v6
	v_mul_f32_e32 v7, v8, v6
	s_delay_alu instid0(VALU_DEP_1) | instskip(NEXT) | instid1(VALU_DEP_1)
	v_fma_f32 v9, -v5, v7, v8
	v_fmac_f32_e32 v7, v9, v6
	s_delay_alu instid0(VALU_DEP_1) | instskip(NEXT) | instid1(VALU_DEP_1)
	v_fma_f32 v5, -v5, v7, v8
	v_div_fmas_f32 v5, v5, v6, v7
	s_delay_alu instid0(VALU_DEP_1)
	v_div_fixup_f32 v3, v5, v3, 1.0
	v_mov_b32_e32 v5, v0
.LBB37_27:                              ; =>This Inner Loop Header: Depth=1
	ds_load_b32 v6, v4
	s_waitcnt lgkmcnt(0)
	v_dual_mul_f32 v6, v3, v6 :: v_dual_add_nc_u32 v5, 0x80, v5
	s_delay_alu instid0(VALU_DEP_1) | instskip(SKIP_3) | instid1(SALU_CYCLE_1)
	v_cmp_le_i32_e32 vcc_lo, s6, v5
	ds_store_b32 v4, v6
	v_add_nc_u32_e32 v4, 0x200, v4
	s_or_b32 s1, vcc_lo, s1
	s_and_not1_b32 exec_lo, exec_lo, s1
	s_cbranch_execnz .LBB37_27
.LBB37_28:
	s_or_b32 exec_lo, exec_lo, s0
	s_mul_i32 s0, s15, s14
	s_waitcnt lgkmcnt(0)
	s_mul_i32 s6, s0, s13
	s_mov_b32 s0, exec_lo
	s_barrier
	buffer_gl0_inv
	v_cmpx_eq_u32_e32 0, v0
	s_cbranch_execz .LBB37_30
; %bb.29:
	s_ashr_i32 s7, s6, 31
	s_mul_i32 s36, s15, s20
	s_lshl_b64 s[30:31], s[6:7], 2
	v_mov_b32_e32 v3, 0
	s_add_u32 s1, s10, s30
	s_addc_u32 s4, s11, s31
	s_ashr_i32 s37, s36, 31
	s_delay_alu instid0(SALU_CYCLE_1) | instskip(NEXT) | instid1(SALU_CYCLE_1)
	s_lshl_b64 s[10:11], s[36:37], 2
	s_add_u32 s1, s1, s10
	s_addc_u32 s4, s4, s11
	s_ashr_i32 s13, s12, 31
	s_delay_alu instid0(SALU_CYCLE_1) | instskip(NEXT) | instid1(SALU_CYCLE_1)
	s_lshl_b64 s[36:37], s[12:13], 2
	s_add_u32 s38, s1, s36
	s_addc_u32 s39, s4, s37
	s_add_u32 s1, s8, s30
	s_addc_u32 s4, s9, s31
	;; [unrolled: 2-line block ×4, first 2 shown]
	s_clause 0x1
	global_store_b32 v3, v1, s[38:39]
	global_store_b32 v3, v2, s[8:9]
.LBB37_30:
	s_or_b32 exec_lo, exec_lo, s0
	v_dual_mov_b32 v45, 0 :: v_dual_and_b32 v44, 3, v0
	v_dual_mov_b32 v46, 0 :: v_dual_mov_b32 v49, 0
	v_dual_mov_b32 v48, 0 :: v_dual_mov_b32 v51, 0
	v_dual_mov_b32 v50, 0 :: v_dual_mov_b32 v47, 0
	v_mov_b32_e32 v52, 0
	s_mov_b32 s4, 0
	s_and_saveexec_b32 s1, s3
	s_cbranch_execz .LBB37_50
; %bb.31:
	v_dual_mov_b32 v52, 0 :: v_dual_lshlrev_b32 v1, 4, v0
	s_ashr_i32 s29, s28, 31
	v_dual_mov_b32 v47, 0 :: v_dual_and_b32 v2, 12, v35
	s_delay_alu instid0(VALU_DEP_2) | instskip(SKIP_4) | instid1(VALU_DEP_2)
	v_dual_mov_b32 v48, 0 :: v_dual_and_b32 v1, 0x1f0, v1
	v_lshl_add_u32 v4, v40, 4, s34
	s_lshl_b64 s[8:9], s[28:29], 2
	v_dual_mov_b32 v50, 0 :: v_dual_lshlrev_b32 v3, 4, v44
	s_add_u32 s0, s26, s8
	v_add3_u32 v55, v4, v2, 3
	v_add_co_u32 v53, s0, s0, v1
	v_lshlrev_b64 v[1:2], 2, v[37:38]
	s_addc_u32 s3, s27, s9
	s_lshl_b64 s[8:9], s[24:25], 2
	s_add_i32 s21, s21, -1
	v_lshl_or_b32 v3, v40, 6, v3
	v_add_co_ci_u32_e64 v54, null, s3, 0, s0
	s_add_u32 s0, s22, s8
	s_addc_u32 s3, s23, s9
	v_add_co_u32 v38, vcc_lo, s0, v1
	v_dual_mov_b32 v51, 0 :: v_dual_add_nc_u32 v56, 0x120, v3
	v_add_co_ci_u32_e32 v39, vcc_lo, s3, v2, vcc_lo
	v_dual_mov_b32 v49, 0 :: v_dual_mov_b32 v46, 0
	v_mov_b32_e32 v45, 0
	s_mov_b32 s3, s5
	s_branch .LBB37_33
.LBB37_32:                              ;   in Loop: Header=BB37_33 Depth=1
	s_or_b32 exec_lo, exec_lo, s0
	s_waitcnt vmcnt(7) lgkmcnt(0)
	v_mul_f32_e32 v6, v2, v6
	s_waitcnt vmcnt(6)
	v_mul_f32_e32 v10, v2, v10
	v_add_co_u32 v38, s0, v38, 16
	s_delay_alu instid0(VALU_DEP_3) | instskip(SKIP_1) | instid1(VALU_DEP_3)
	v_dual_fmac_f32 v6, v1, v5 :: v_dual_add_nc_u32 v55, 64, v55
	s_waitcnt vmcnt(4)
	v_dual_mul_f32 v5, v2, v18 :: v_dual_fmac_f32 v10, v1, v9
	s_waitcnt vmcnt(3)
	v_dual_mul_f32 v9, v2, v22 :: v_dual_add_nc_u32 v56, 0x100, v56
	s_waitcnt vmcnt(2)
	v_dual_fmac_f32 v6, v3, v7 :: v_dual_mul_f32 v7, v2, v26
	v_dual_mul_f32 v14, v2, v14 :: v_dual_fmac_f32 v5, v1, v17
	s_waitcnt vmcnt(1)
	v_dual_fmac_f32 v10, v3, v11 :: v_dual_mul_f32 v11, v2, v30
	s_delay_alu instid0(VALU_DEP_3) | instskip(NEXT) | instid1(VALU_DEP_3)
	v_fmac_f32_e32 v7, v1, v25
	v_fmac_f32_e32 v14, v1, v13
	s_waitcnt vmcnt(0)
	v_dual_mul_f32 v2, v2, v34 :: v_dual_fmac_f32 v5, v3, v19
	v_fmac_f32_e32 v9, v1, v21
	s_delay_alu instid0(VALU_DEP_3) | instskip(NEXT) | instid1(VALU_DEP_3)
	v_dual_fmac_f32 v11, v1, v29 :: v_dual_fmac_f32 v14, v3, v15
	v_dual_fmac_f32 v2, v1, v33 :: v_dual_fmac_f32 v5, v4, v20
	s_delay_alu instid0(VALU_DEP_3) | instskip(NEXT) | instid1(VALU_DEP_3)
	v_fmac_f32_e32 v9, v3, v23
	v_dual_fmac_f32 v11, v3, v31 :: v_dual_fmac_f32 v14, v4, v16
	v_fmac_f32_e32 v6, v4, v8
	s_delay_alu instid0(VALU_DEP_3) | instskip(NEXT) | instid1(VALU_DEP_3)
	v_dual_fmac_f32 v2, v3, v35 :: v_dual_fmac_f32 v9, v4, v24
	v_fmac_f32_e32 v11, v4, v32
	s_delay_alu instid0(VALU_DEP_4) | instskip(NEXT) | instid1(VALU_DEP_4)
	v_dual_add_f32 v51, v51, v14 :: v_dual_fmac_f32 v10, v4, v12
	v_add_f32_e32 v47, v47, v6
	s_delay_alu instid0(VALU_DEP_4) | instskip(NEXT) | instid1(VALU_DEP_3)
	v_dual_fmac_f32 v7, v3, v27 :: v_dual_fmac_f32 v2, v4, v36
	v_dual_add_f32 v49, v49, v9 :: v_dual_add_f32 v52, v52, v10
	s_delay_alu instid0(VALU_DEP_2) | instskip(NEXT) | instid1(VALU_DEP_3)
	v_dual_add_f32 v46, v46, v11 :: v_dual_fmac_f32 v7, v4, v28
	v_dual_add_f32 v50, v50, v5 :: v_dual_add_f32 v45, v45, v2
	v_add_co_ci_u32_e64 v39, s0, 0, v39, s0
	s_delay_alu instid0(VALU_DEP_3) | instskip(NEXT) | instid1(VALU_DEP_1)
	v_dual_add_f32 v48, v48, v7 :: v_dual_add_nc_u32 v37, 4, v37
	v_cmp_le_i32_e32 vcc_lo, s17, v37
	s_or_b32 s4, vcc_lo, s4
	s_delay_alu instid0(SALU_CYCLE_1)
	s_and_not1_b32 exec_lo, exec_lo, s4
	s_cbranch_execz .LBB37_49
.LBB37_33:                              ; =>This Inner Loop Header: Depth=1
	global_load_b32 v3, v[38:39], off
	v_add_nc_u32_e32 v57, -3, v55
	v_add_nc_u32_e32 v59, -2, v55
	;; [unrolled: 1-line block ×3, first 2 shown]
	s_waitcnt vmcnt(0)
	v_mad_i64_i32 v[1:2], null, v3, s3, 0
	s_delay_alu instid0(VALU_DEP_1) | instskip(NEXT) | instid1(VALU_DEP_1)
	v_lshlrev_b64 v[1:2], 2, v[1:2]
	v_add_co_u32 v33, vcc_lo, v53, v1
	s_delay_alu instid0(VALU_DEP_2)
	v_add_co_ci_u32_e32 v34, vcc_lo, v54, v2, vcc_lo
	ds_load_b128 v[1:4], v56
	v_cmp_eq_u32_e32 vcc_lo, s21, v37
	global_load_b128 v[5:8], v[33:34], off
	s_and_saveexec_b32 s5, vcc_lo
	s_cbranch_execnz .LBB37_41
; %bb.34:                               ;   in Loop: Header=BB37_33 Depth=1
	s_or_b32 exec_lo, exec_lo, s5
	global_load_b128 v[9:12], v[33:34], off offset:512
	s_and_saveexec_b32 s5, vcc_lo
	s_cbranch_execnz .LBB37_42
.LBB37_35:                              ;   in Loop: Header=BB37_33 Depth=1
	s_or_b32 exec_lo, exec_lo, s5
	global_load_b128 v[13:16], v[33:34], off offset:1024
	s_and_saveexec_b32 s5, vcc_lo
	s_cbranch_execnz .LBB37_43
.LBB37_36:                              ;   in Loop: Header=BB37_33 Depth=1
	s_or_b32 exec_lo, exec_lo, s5
	global_load_b128 v[17:20], v[33:34], off offset:1536
	s_and_saveexec_b32 s5, vcc_lo
	s_cbranch_execnz .LBB37_44
.LBB37_37:                              ;   in Loop: Header=BB37_33 Depth=1
	s_or_b32 exec_lo, exec_lo, s5
	global_load_b128 v[21:24], v[33:34], off offset:2048
	s_and_saveexec_b32 s5, vcc_lo
	s_cbranch_execnz .LBB37_45
.LBB37_38:                              ;   in Loop: Header=BB37_33 Depth=1
	s_or_b32 exec_lo, exec_lo, s5
	global_load_b128 v[25:28], v[33:34], off offset:2560
	s_and_saveexec_b32 s5, vcc_lo
	s_cbranch_execnz .LBB37_46
.LBB37_39:                              ;   in Loop: Header=BB37_33 Depth=1
	s_or_b32 exec_lo, exec_lo, s5
	global_load_b128 v[29:32], v[33:34], off offset:3072
	s_and_saveexec_b32 s5, vcc_lo
	s_cbranch_execnz .LBB37_47
.LBB37_40:                              ;   in Loop: Header=BB37_33 Depth=1
	s_or_b32 exec_lo, exec_lo, s5
	global_load_b128 v[33:36], v[33:34], off offset:3584
	s_and_saveexec_b32 s0, vcc_lo
	s_cbranch_execz .LBB37_32
	s_branch .LBB37_48
.LBB37_41:                              ;   in Loop: Header=BB37_33 Depth=1
	v_cmp_gt_i32_e64 s0, s33, v57
	s_waitcnt vmcnt(0)
	s_delay_alu instid0(VALU_DEP_1) | instskip(SKIP_1) | instid1(VALU_DEP_1)
	v_cndmask_b32_e64 v5, 0, v5, s0
	v_cmp_gt_i32_e64 s0, s33, v59
	v_cndmask_b32_e64 v6, 0, v6, s0
	v_cmp_gt_i32_e64 s0, s33, v58
	s_delay_alu instid0(VALU_DEP_1) | instskip(SKIP_1) | instid1(VALU_DEP_1)
	v_cndmask_b32_e64 v7, 0, v7, s0
	v_cmp_gt_i32_e64 s0, s33, v55
	v_cndmask_b32_e64 v8, 0, v8, s0
	s_or_b32 exec_lo, exec_lo, s5
	global_load_b128 v[9:12], v[33:34], off offset:512
	s_and_saveexec_b32 s5, vcc_lo
	s_cbranch_execz .LBB37_35
.LBB37_42:                              ;   in Loop: Header=BB37_33 Depth=1
	v_cmp_gt_i32_e64 s0, s33, v57
	s_waitcnt vmcnt(0)
	s_delay_alu instid0(VALU_DEP_1) | instskip(SKIP_1) | instid1(VALU_DEP_1)
	v_cndmask_b32_e64 v9, 0, v9, s0
	v_cmp_gt_i32_e64 s0, s33, v59
	v_cndmask_b32_e64 v10, 0, v10, s0
	v_cmp_gt_i32_e64 s0, s33, v58
	s_delay_alu instid0(VALU_DEP_1) | instskip(SKIP_1) | instid1(VALU_DEP_1)
	v_cndmask_b32_e64 v11, 0, v11, s0
	v_cmp_gt_i32_e64 s0, s33, v55
	v_cndmask_b32_e64 v12, 0, v12, s0
	s_or_b32 exec_lo, exec_lo, s5
	global_load_b128 v[13:16], v[33:34], off offset:1024
	s_and_saveexec_b32 s5, vcc_lo
	s_cbranch_execz .LBB37_36
.LBB37_43:                              ;   in Loop: Header=BB37_33 Depth=1
	v_cmp_gt_i32_e64 s0, s33, v57
	s_waitcnt vmcnt(0)
	s_delay_alu instid0(VALU_DEP_1) | instskip(SKIP_1) | instid1(VALU_DEP_1)
	v_cndmask_b32_e64 v13, 0, v13, s0
	v_cmp_gt_i32_e64 s0, s33, v59
	v_cndmask_b32_e64 v14, 0, v14, s0
	v_cmp_gt_i32_e64 s0, s33, v58
	s_delay_alu instid0(VALU_DEP_1) | instskip(SKIP_1) | instid1(VALU_DEP_1)
	v_cndmask_b32_e64 v15, 0, v15, s0
	v_cmp_gt_i32_e64 s0, s33, v55
	v_cndmask_b32_e64 v16, 0, v16, s0
	s_or_b32 exec_lo, exec_lo, s5
	global_load_b128 v[17:20], v[33:34], off offset:1536
	s_and_saveexec_b32 s5, vcc_lo
	s_cbranch_execz .LBB37_37
.LBB37_44:                              ;   in Loop: Header=BB37_33 Depth=1
	v_cmp_gt_i32_e64 s0, s33, v57
	s_waitcnt vmcnt(0)
	s_delay_alu instid0(VALU_DEP_1) | instskip(SKIP_1) | instid1(VALU_DEP_1)
	v_cndmask_b32_e64 v17, 0, v17, s0
	v_cmp_gt_i32_e64 s0, s33, v59
	v_cndmask_b32_e64 v18, 0, v18, s0
	v_cmp_gt_i32_e64 s0, s33, v58
	s_delay_alu instid0(VALU_DEP_1) | instskip(SKIP_1) | instid1(VALU_DEP_1)
	v_cndmask_b32_e64 v19, 0, v19, s0
	v_cmp_gt_i32_e64 s0, s33, v55
	v_cndmask_b32_e64 v20, 0, v20, s0
	s_or_b32 exec_lo, exec_lo, s5
	global_load_b128 v[21:24], v[33:34], off offset:2048
	s_and_saveexec_b32 s5, vcc_lo
	s_cbranch_execz .LBB37_38
.LBB37_45:                              ;   in Loop: Header=BB37_33 Depth=1
	v_cmp_gt_i32_e64 s0, s33, v57
	s_waitcnt vmcnt(0)
	s_delay_alu instid0(VALU_DEP_1) | instskip(SKIP_1) | instid1(VALU_DEP_1)
	v_cndmask_b32_e64 v21, 0, v21, s0
	v_cmp_gt_i32_e64 s0, s33, v59
	v_cndmask_b32_e64 v22, 0, v22, s0
	v_cmp_gt_i32_e64 s0, s33, v58
	s_delay_alu instid0(VALU_DEP_1) | instskip(SKIP_1) | instid1(VALU_DEP_1)
	v_cndmask_b32_e64 v23, 0, v23, s0
	v_cmp_gt_i32_e64 s0, s33, v55
	v_cndmask_b32_e64 v24, 0, v24, s0
	s_or_b32 exec_lo, exec_lo, s5
	global_load_b128 v[25:28], v[33:34], off offset:2560
	s_and_saveexec_b32 s5, vcc_lo
	s_cbranch_execz .LBB37_39
.LBB37_46:                              ;   in Loop: Header=BB37_33 Depth=1
	v_cmp_gt_i32_e64 s0, s33, v57
	s_waitcnt vmcnt(0)
	s_delay_alu instid0(VALU_DEP_1) | instskip(SKIP_1) | instid1(VALU_DEP_1)
	v_cndmask_b32_e64 v25, 0, v25, s0
	v_cmp_gt_i32_e64 s0, s33, v59
	v_cndmask_b32_e64 v26, 0, v26, s0
	v_cmp_gt_i32_e64 s0, s33, v58
	s_delay_alu instid0(VALU_DEP_1) | instskip(SKIP_1) | instid1(VALU_DEP_1)
	v_cndmask_b32_e64 v27, 0, v27, s0
	v_cmp_gt_i32_e64 s0, s33, v55
	v_cndmask_b32_e64 v28, 0, v28, s0
	s_or_b32 exec_lo, exec_lo, s5
	global_load_b128 v[29:32], v[33:34], off offset:3072
	s_and_saveexec_b32 s5, vcc_lo
	s_cbranch_execz .LBB37_40
.LBB37_47:                              ;   in Loop: Header=BB37_33 Depth=1
	v_cmp_gt_i32_e64 s0, s33, v57
	s_waitcnt vmcnt(0)
	s_delay_alu instid0(VALU_DEP_1) | instskip(SKIP_1) | instid1(VALU_DEP_1)
	v_cndmask_b32_e64 v29, 0, v29, s0
	v_cmp_gt_i32_e64 s0, s33, v59
	v_cndmask_b32_e64 v30, 0, v30, s0
	v_cmp_gt_i32_e64 s0, s33, v58
	s_delay_alu instid0(VALU_DEP_1) | instskip(SKIP_1) | instid1(VALU_DEP_1)
	v_cndmask_b32_e64 v31, 0, v31, s0
	v_cmp_gt_i32_e64 s0, s33, v55
	v_cndmask_b32_e64 v32, 0, v32, s0
	s_or_b32 exec_lo, exec_lo, s5
	global_load_b128 v[33:36], v[33:34], off offset:3584
	s_and_saveexec_b32 s0, vcc_lo
	s_cbranch_execz .LBB37_32
.LBB37_48:                              ;   in Loop: Header=BB37_33 Depth=1
	v_cmp_gt_i32_e32 vcc_lo, s33, v57
	s_waitcnt vmcnt(0)
	v_cndmask_b32_e32 v33, 0, v33, vcc_lo
	v_cmp_gt_i32_e32 vcc_lo, s33, v59
	v_cndmask_b32_e32 v34, 0, v34, vcc_lo
	v_cmp_gt_i32_e32 vcc_lo, s33, v58
	;; [unrolled: 2-line block ×3, first 2 shown]
	v_cndmask_b32_e32 v36, 0, v36, vcc_lo
	s_branch .LBB37_32
.LBB37_49:
	s_or_b32 exec_lo, exec_lo, s4
.LBB37_50:
	s_delay_alu instid0(SALU_CYCLE_1)
	s_or_b32 exec_lo, exec_lo, s1
	ds_bpermute_b32 v1, v42, v47
	ds_bpermute_b32 v2, v42, v52
	;; [unrolled: 1-line block ×8, first 2 shown]
	v_lshrrev_b32_e32 v9, 2, v41
	v_lshl_add_u32 v10, v40, 8, 0x120
	s_mov_b32 s0, exec_lo
	s_waitcnt lgkmcnt(0)
	s_waitcnt_vscnt null, 0x0
	s_barrier
	buffer_gl0_inv
	v_dual_add_f32 v1, v47, v1 :: v_dual_add_f32 v2, v52, v2
	v_dual_add_f32 v3, v51, v3 :: v_dual_add_f32 v4, v50, v4
	;; [unrolled: 1-line block ×4, first 2 shown]
	ds_bpermute_b32 v5, v43, v1
	ds_bpermute_b32 v6, v43, v2
	ds_bpermute_b32 v15, v43, v3
	ds_bpermute_b32 v16, v43, v4
	ds_bpermute_b32 v17, v43, v11
	ds_bpermute_b32 v18, v43, v12
	ds_bpermute_b32 v19, v43, v13
	ds_bpermute_b32 v20, v43, v14
	s_waitcnt lgkmcnt(7)
	v_dual_add_f32 v8, v1, v5 :: v_dual_and_b32 v21, 0x3c3, v0
	s_waitcnt lgkmcnt(5)
	v_dual_add_f32 v7, v2, v6 :: v_dual_add_f32 v6, v3, v15
	s_waitcnt lgkmcnt(3)
	v_dual_add_f32 v5, v4, v16 :: v_dual_add_f32 v4, v11, v17
	;; [unrolled: 2-line block ×3, first 2 shown]
	s_waitcnt lgkmcnt(0)
	v_add_f32_e32 v1, v14, v20
	v_cmpx_eq_u32_e32 64, v21
	s_cbranch_execz .LBB37_52
; %bb.51:
	v_lshlrev_b32_e32 v11, 2, v9
	s_delay_alu instid0(VALU_DEP_1)
	v_add3_u32 v11, v10, v11, 0xfffffe00
	ds_store_2addr_b32 v11, v8, v7 offset1:8
	ds_store_2addr_b32 v11, v6, v5 offset0:16 offset1:24
	ds_store_2addr_b32 v11, v4, v3 offset0:32 offset1:40
	;; [unrolled: 1-line block ×3, first 2 shown]
.LBB37_52:
	s_or_b32 exec_lo, exec_lo, s0
	v_cmp_eq_u32_e32 vcc_lo, 0, v44
	s_mov_b32 s1, exec_lo
	s_waitcnt lgkmcnt(0)
	s_barrier
	buffer_gl0_inv
	v_cmpx_gt_u32_e32 64, v0
	s_cbranch_execz .LBB37_63
; %bb.53:
	s_and_saveexec_b32 s0, vcc_lo
	s_cbranch_execnz .LBB37_79
; %bb.54:
	s_or_b32 exec_lo, exec_lo, s0
	s_and_saveexec_b32 s0, vcc_lo
	s_cbranch_execnz .LBB37_80
.LBB37_55:
	s_or_b32 exec_lo, exec_lo, s0
	s_and_saveexec_b32 s0, vcc_lo
	s_cbranch_execnz .LBB37_81
.LBB37_56:
	s_or_b32 exec_lo, exec_lo, s0
	s_and_saveexec_b32 s0, vcc_lo
	s_cbranch_execnz .LBB37_82
.LBB37_57:
	s_or_b32 exec_lo, exec_lo, s0
	s_and_saveexec_b32 s0, vcc_lo
	s_cbranch_execnz .LBB37_83
.LBB37_58:
	s_or_b32 exec_lo, exec_lo, s0
	s_and_saveexec_b32 s0, vcc_lo
	s_cbranch_execnz .LBB37_84
.LBB37_59:
	s_or_b32 exec_lo, exec_lo, s0
	s_and_saveexec_b32 s0, vcc_lo
	s_cbranch_execnz .LBB37_85
.LBB37_60:
	s_or_b32 exec_lo, exec_lo, s0
	s_and_saveexec_b32 s0, vcc_lo
	s_cbranch_execz .LBB37_62
.LBB37_61:
	v_lshl_add_u32 v11, v9, 2, v10
	ds_load_b32 v11, v11 offset:224
	s_waitcnt lgkmcnt(0)
	v_add_f32_e32 v1, v1, v11
.LBB37_62:
	s_or_b32 exec_lo, exec_lo, s0
.LBB37_63:
	s_delay_alu instid0(SALU_CYCLE_1)
	s_or_b32 exec_lo, exec_lo, s1
	v_and_b32_e32 v11, 0x3e3, v0
	s_mov_b32 s1, exec_lo
	s_barrier
	buffer_gl0_inv
	v_cmpx_eq_u32_e32 32, v11
	s_cbranch_execz .LBB37_65
; %bb.64:
	v_lshl_add_u32 v12, v9, 2, 0x120
	ds_store_2addr_b32 v12, v8, v7 offset1:8
	ds_store_2addr_b32 v12, v6, v5 offset0:16 offset1:24
	ds_store_2addr_b32 v12, v4, v3 offset0:32 offset1:40
	;; [unrolled: 1-line block ×3, first 2 shown]
.LBB37_65:
	s_or_b32 exec_lo, exec_lo, s1
	s_waitcnt lgkmcnt(0)
	s_barrier
	buffer_gl0_inv
	s_and_saveexec_b32 s0, s2
	s_cbranch_execz .LBB37_76
; %bb.66:
	v_lshl_add_u32 v9, v9, 2, v10
	s_and_saveexec_b32 s1, vcc_lo
	s_cbranch_execnz .LBB37_86
; %bb.67:
	s_or_b32 exec_lo, exec_lo, s1
	s_and_saveexec_b32 s1, vcc_lo
	s_cbranch_execnz .LBB37_87
.LBB37_68:
	s_or_b32 exec_lo, exec_lo, s1
	s_and_saveexec_b32 s1, vcc_lo
	s_cbranch_execnz .LBB37_88
.LBB37_69:
	s_or_b32 exec_lo, exec_lo, s1
	s_and_saveexec_b32 s1, vcc_lo
	s_cbranch_execnz .LBB37_89
.LBB37_70:
	s_or_b32 exec_lo, exec_lo, s1
	s_and_saveexec_b32 s1, vcc_lo
	s_cbranch_execnz .LBB37_90
.LBB37_71:
	s_or_b32 exec_lo, exec_lo, s1
	s_and_saveexec_b32 s1, vcc_lo
	s_cbranch_execnz .LBB37_91
.LBB37_72:
	s_or_b32 exec_lo, exec_lo, s1
	s_and_saveexec_b32 s1, vcc_lo
	s_cbranch_execnz .LBB37_92
.LBB37_73:
	s_or_b32 exec_lo, exec_lo, s1
	s_and_saveexec_b32 s1, vcc_lo
	s_cbranch_execz .LBB37_75
.LBB37_74:
	ds_load_b32 v9, v9 offset:224
	s_waitcnt lgkmcnt(0)
	v_add_f32_e32 v1, v1, v9
.LBB37_75:
	s_or_b32 exec_lo, exec_lo, s1
.LBB37_76:
	s_delay_alu instid0(SALU_CYCLE_1)
	s_or_b32 exec_lo, exec_lo, s0
	s_barrier
	buffer_gl0_inv
	s_mov_b32 s0, exec_lo
	v_cmpx_eq_u32_e32 0, v11
	s_cbranch_execz .LBB37_78
; %bb.77:
	s_lshl_b32 s0, s6, 6
	s_mul_i32 s2, s15, s16
	s_ashr_i32 s1, s0, 31
	s_delay_alu instid0(SALU_CYCLE_1) | instskip(NEXT) | instid1(SALU_CYCLE_1)
	s_lshl_b64 s[0:1], s[0:1], 2
	s_add_u32 s4, s18, s0
	s_addc_u32 s5, s19, s1
	s_ashr_i32 s3, s2, 31
	s_delay_alu instid0(SALU_CYCLE_1) | instskip(NEXT) | instid1(SALU_CYCLE_1)
	s_lshl_b64 s[0:1], s[2:3], 2
	s_add_u32 s2, s4, s0
	s_addc_u32 s3, s5, s1
	s_lshl_b32 s0, s12, 6
	s_delay_alu instid0(SALU_CYCLE_1) | instskip(NEXT) | instid1(SALU_CYCLE_1)
	s_ashr_i32 s1, s0, 31
	s_lshl_b64 s[0:1], s[0:1], 2
	s_delay_alu instid0(SALU_CYCLE_1)
	s_add_u32 s0, s2, s0
	s_addc_u32 s1, s3, s1
	s_clause 0x7
	global_store_b32 v0, v8, s[0:1]
	global_store_b32 v0, v7, s[0:1] offset:32
	global_store_b32 v0, v6, s[0:1] offset:64
	global_store_b32 v0, v5, s[0:1] offset:96
	global_store_b32 v0, v4, s[0:1] offset:128
	global_store_b32 v0, v3, s[0:1] offset:160
	global_store_b32 v0, v2, s[0:1] offset:192
	global_store_b32 v0, v1, s[0:1] offset:224
.LBB37_78:
	s_nop 0
	s_sendmsg sendmsg(MSG_DEALLOC_VGPRS)
	s_endpgm
.LBB37_79:
	v_lshl_add_u32 v11, v9, 2, v10
	ds_load_b32 v11, v11
	s_waitcnt lgkmcnt(0)
	v_add_f32_e32 v8, v8, v11
	s_or_b32 exec_lo, exec_lo, s0
	s_and_saveexec_b32 s0, vcc_lo
	s_cbranch_execz .LBB37_55
.LBB37_80:
	v_lshl_add_u32 v11, v9, 2, v10
	ds_load_b32 v11, v11 offset:32
	s_waitcnt lgkmcnt(0)
	v_add_f32_e32 v7, v7, v11
	s_or_b32 exec_lo, exec_lo, s0
	s_and_saveexec_b32 s0, vcc_lo
	s_cbranch_execz .LBB37_56
.LBB37_81:
	v_lshl_add_u32 v11, v9, 2, v10
	ds_load_b32 v11, v11 offset:64
	s_waitcnt lgkmcnt(0)
	v_add_f32_e32 v6, v6, v11
	s_or_b32 exec_lo, exec_lo, s0
	s_and_saveexec_b32 s0, vcc_lo
	s_cbranch_execz .LBB37_57
.LBB37_82:
	v_lshl_add_u32 v11, v9, 2, v10
	ds_load_b32 v11, v11 offset:96
	s_waitcnt lgkmcnt(0)
	v_add_f32_e32 v5, v5, v11
	s_or_b32 exec_lo, exec_lo, s0
	s_and_saveexec_b32 s0, vcc_lo
	s_cbranch_execz .LBB37_58
.LBB37_83:
	v_lshl_add_u32 v11, v9, 2, v10
	ds_load_b32 v11, v11 offset:128
	s_waitcnt lgkmcnt(0)
	v_add_f32_e32 v4, v4, v11
	s_or_b32 exec_lo, exec_lo, s0
	s_and_saveexec_b32 s0, vcc_lo
	s_cbranch_execz .LBB37_59
.LBB37_84:
	v_lshl_add_u32 v11, v9, 2, v10
	ds_load_b32 v11, v11 offset:160
	s_waitcnt lgkmcnt(0)
	v_add_f32_e32 v3, v3, v11
	s_or_b32 exec_lo, exec_lo, s0
	s_and_saveexec_b32 s0, vcc_lo
	s_cbranch_execz .LBB37_60
.LBB37_85:
	v_lshl_add_u32 v11, v9, 2, v10
	ds_load_b32 v11, v11 offset:192
	s_waitcnt lgkmcnt(0)
	v_add_f32_e32 v2, v2, v11
	s_or_b32 exec_lo, exec_lo, s0
	s_and_saveexec_b32 s0, vcc_lo
	s_cbranch_execnz .LBB37_61
	s_branch .LBB37_62
.LBB37_86:
	ds_load_b32 v10, v9
	s_waitcnt lgkmcnt(0)
	v_add_f32_e32 v8, v8, v10
	s_or_b32 exec_lo, exec_lo, s1
	s_and_saveexec_b32 s1, vcc_lo
	s_cbranch_execz .LBB37_68
.LBB37_87:
	ds_load_b32 v10, v9 offset:32
	s_waitcnt lgkmcnt(0)
	v_add_f32_e32 v7, v7, v10
	s_or_b32 exec_lo, exec_lo, s1
	s_and_saveexec_b32 s1, vcc_lo
	s_cbranch_execz .LBB37_69
.LBB37_88:
	ds_load_b32 v10, v9 offset:64
	s_waitcnt lgkmcnt(0)
	v_add_f32_e32 v6, v6, v10
	s_or_b32 exec_lo, exec_lo, s1
	s_and_saveexec_b32 s1, vcc_lo
	s_cbranch_execz .LBB37_70
.LBB37_89:
	ds_load_b32 v10, v9 offset:96
	s_waitcnt lgkmcnt(0)
	v_add_f32_e32 v5, v5, v10
	s_or_b32 exec_lo, exec_lo, s1
	s_and_saveexec_b32 s1, vcc_lo
	s_cbranch_execz .LBB37_71
.LBB37_90:
	ds_load_b32 v10, v9 offset:128
	s_waitcnt lgkmcnt(0)
	v_add_f32_e32 v4, v4, v10
	s_or_b32 exec_lo, exec_lo, s1
	s_and_saveexec_b32 s1, vcc_lo
	s_cbranch_execz .LBB37_72
.LBB37_91:
	ds_load_b32 v10, v9 offset:160
	s_waitcnt lgkmcnt(0)
	v_add_f32_e32 v3, v3, v10
	s_or_b32 exec_lo, exec_lo, s1
	s_and_saveexec_b32 s1, vcc_lo
	s_cbranch_execz .LBB37_73
.LBB37_92:
	ds_load_b32 v10, v9 offset:192
	s_waitcnt lgkmcnt(0)
	v_add_f32_e32 v2, v2, v10
	s_or_b32 exec_lo, exec_lo, s1
	s_and_saveexec_b32 s1, vcc_lo
	s_cbranch_execnz .LBB37_74
	s_branch .LBB37_75
	.section	.rodata,"a",@progbits
	.p2align	6, 0x0
	.amdhsa_kernel _ZN4vllm25paged_attention_v2_kernelIffLi64ELi16ELi128ELNS_18Fp8KVCacheDataTypeE0ELb0ELi512EEEvPfS2_PT_PKS3_PKT0_S9_ifPKiSB_iPKfiiiSD_SD_iiiii
		.amdhsa_group_segment_fixed_size 288
		.amdhsa_private_segment_fixed_size 0
		.amdhsa_kernarg_size 400
		.amdhsa_user_sgpr_count 13
		.amdhsa_user_sgpr_dispatch_ptr 0
		.amdhsa_user_sgpr_queue_ptr 0
		.amdhsa_user_sgpr_kernarg_segment_ptr 1
		.amdhsa_user_sgpr_dispatch_id 0
		.amdhsa_user_sgpr_private_segment_size 0
		.amdhsa_wavefront_size32 1
		.amdhsa_uses_dynamic_stack 0
		.amdhsa_enable_private_segment 0
		.amdhsa_system_sgpr_workgroup_id_x 1
		.amdhsa_system_sgpr_workgroup_id_y 1
		.amdhsa_system_sgpr_workgroup_id_z 1
		.amdhsa_system_sgpr_workgroup_info 0
		.amdhsa_system_vgpr_workitem_id 0
		.amdhsa_next_free_vgpr 80
		.amdhsa_next_free_sgpr 40
		.amdhsa_reserve_vcc 1
		.amdhsa_float_round_mode_32 0
		.amdhsa_float_round_mode_16_64 0
		.amdhsa_float_denorm_mode_32 3
		.amdhsa_float_denorm_mode_16_64 3
		.amdhsa_dx10_clamp 1
		.amdhsa_ieee_mode 1
		.amdhsa_fp16_overflow 0
		.amdhsa_workgroup_processor_mode 1
		.amdhsa_memory_ordered 1
		.amdhsa_forward_progress 0
		.amdhsa_shared_vgpr_count 0
		.amdhsa_exception_fp_ieee_invalid_op 0
		.amdhsa_exception_fp_denorm_src 0
		.amdhsa_exception_fp_ieee_div_zero 0
		.amdhsa_exception_fp_ieee_overflow 0
		.amdhsa_exception_fp_ieee_underflow 0
		.amdhsa_exception_fp_ieee_inexact 0
		.amdhsa_exception_int_div_zero 0
	.end_amdhsa_kernel
	.section	.text._ZN4vllm25paged_attention_v2_kernelIffLi64ELi16ELi128ELNS_18Fp8KVCacheDataTypeE0ELb0ELi512EEEvPfS2_PT_PKS3_PKT0_S9_ifPKiSB_iPKfiiiSD_SD_iiiii,"axG",@progbits,_ZN4vllm25paged_attention_v2_kernelIffLi64ELi16ELi128ELNS_18Fp8KVCacheDataTypeE0ELb0ELi512EEEvPfS2_PT_PKS3_PKT0_S9_ifPKiSB_iPKfiiiSD_SD_iiiii,comdat
.Lfunc_end37:
	.size	_ZN4vllm25paged_attention_v2_kernelIffLi64ELi16ELi128ELNS_18Fp8KVCacheDataTypeE0ELb0ELi512EEEvPfS2_PT_PKS3_PKT0_S9_ifPKiSB_iPKfiiiSD_SD_iiiii, .Lfunc_end37-_ZN4vllm25paged_attention_v2_kernelIffLi64ELi16ELi128ELNS_18Fp8KVCacheDataTypeE0ELb0ELi512EEEvPfS2_PT_PKS3_PKT0_S9_ifPKiSB_iPKfiiiSD_SD_iiiii
                                        ; -- End function
	.section	.AMDGPU.csdata,"",@progbits
; Kernel info:
; codeLenInByte = 5468
; NumSgprs: 42
; NumVgprs: 80
; ScratchSize: 0
; MemoryBound: 0
; FloatMode: 240
; IeeeMode: 1
; LDSByteSize: 288 bytes/workgroup (compile time only)
; SGPRBlocks: 5
; VGPRBlocks: 9
; NumSGPRsForWavesPerEU: 42
; NumVGPRsForWavesPerEU: 80
; Occupancy: 16
; WaveLimiterHint : 1
; COMPUTE_PGM_RSRC2:SCRATCH_EN: 0
; COMPUTE_PGM_RSRC2:USER_SGPR: 13
; COMPUTE_PGM_RSRC2:TRAP_HANDLER: 0
; COMPUTE_PGM_RSRC2:TGID_X_EN: 1
; COMPUTE_PGM_RSRC2:TGID_Y_EN: 1
; COMPUTE_PGM_RSRC2:TGID_Z_EN: 1
; COMPUTE_PGM_RSRC2:TIDIG_COMP_CNT: 0
	.section	.text._ZN4vllm25paged_attention_v2_kernelIffLi80ELi16ELi128ELNS_18Fp8KVCacheDataTypeE0ELb0ELi512EEEvPfS2_PT_PKS3_PKT0_S9_ifPKiSB_iPKfiiiSD_SD_iiiii,"axG",@progbits,_ZN4vllm25paged_attention_v2_kernelIffLi80ELi16ELi128ELNS_18Fp8KVCacheDataTypeE0ELb0ELi512EEEvPfS2_PT_PKS3_PKT0_S9_ifPKiSB_iPKfiiiSD_SD_iiiii,comdat
	.protected	_ZN4vllm25paged_attention_v2_kernelIffLi80ELi16ELi128ELNS_18Fp8KVCacheDataTypeE0ELb0ELi512EEEvPfS2_PT_PKS3_PKT0_S9_ifPKiSB_iPKfiiiSD_SD_iiiii ; -- Begin function _ZN4vllm25paged_attention_v2_kernelIffLi80ELi16ELi128ELNS_18Fp8KVCacheDataTypeE0ELb0ELi512EEEvPfS2_PT_PKS3_PKT0_S9_ifPKiSB_iPKfiiiSD_SD_iiiii
	.globl	_ZN4vllm25paged_attention_v2_kernelIffLi80ELi16ELi128ELNS_18Fp8KVCacheDataTypeE0ELb0ELi512EEEvPfS2_PT_PKS3_PKT0_S9_ifPKiSB_iPKfiiiSD_SD_iiiii
	.p2align	8
	.type	_ZN4vllm25paged_attention_v2_kernelIffLi80ELi16ELi128ELNS_18Fp8KVCacheDataTypeE0ELb0ELi512EEEvPfS2_PT_PKS3_PKT0_S9_ifPKiSB_iPKfiiiSD_SD_iiiii,@function
_ZN4vllm25paged_attention_v2_kernelIffLi80ELi16ELi128ELNS_18Fp8KVCacheDataTypeE0ELb0ELi512EEEvPfS2_PT_PKS3_PKT0_S9_ifPKiSB_iPKfiiiSD_SD_iiiii: ; @_ZN4vllm25paged_attention_v2_kernelIffLi80ELi16ELi128ELNS_18Fp8KVCacheDataTypeE0ELb0ELi512EEEvPfS2_PT_PKS3_PKT0_S9_ifPKiSB_iPKfiiiSD_SD_iiiii
; %bb.0:
	s_load_b64 s[2:3], s[0:1], 0x40
	s_mov_b32 s12, s15
	s_ashr_i32 s15, s14, 31
	s_delay_alu instid0(SALU_CYCLE_1)
	s_lshl_b64 s[4:5], s[14:15], 2
	s_waitcnt lgkmcnt(0)
	s_add_u32 s2, s2, s4
	s_addc_u32 s3, s3, s5
	s_lshl_b32 s33, s12, 9
	s_load_b32 s15, s[2:3], 0x0
	s_waitcnt lgkmcnt(0)
	s_cmp_ge_i32 s33, s15
	s_cbranch_scc1 .LBB38_86
; %bb.1:
	s_mov_b32 s20, s13
	s_clause 0x1
	s_load_b32 s13, s[0:1], 0x90
	s_load_b64 s[30:31], s[0:1], 0x30
	s_waitcnt lgkmcnt(0)
	s_abs_i32 s5, s13
	s_abs_i32 s2, s30
	s_delay_alu instid0(SALU_CYCLE_1) | instskip(SKIP_1) | instid1(VALU_DEP_1)
	v_cvt_f32_u32_e32 v1, s2
	s_sub_i32 s4, 0, s2
	v_rcp_iflag_f32_e32 v1, v1
	s_waitcnt_depctr 0xfff
	v_mul_f32_e32 v1, 0x4f7ffffe, v1
	s_delay_alu instid0(VALU_DEP_1) | instskip(NEXT) | instid1(VALU_DEP_1)
	v_cvt_u32_f32_e32 v1, v1
	v_readfirstlane_b32 s3, v1
	s_delay_alu instid0(VALU_DEP_1) | instskip(NEXT) | instid1(SALU_CYCLE_1)
	s_mul_i32 s4, s4, s3
	s_mul_hi_u32 s4, s3, s4
	s_delay_alu instid0(SALU_CYCLE_1)
	s_add_i32 s3, s3, s4
	s_xor_b32 s4, s13, s30
	s_mul_hi_u32 s3, s5, s3
	s_ashr_i32 s4, s4, 31
	s_mul_i32 s6, s3, s2
	s_mov_b32 s30, 0
	s_sub_i32 s5, s5, s6
	s_add_i32 s6, s3, 1
	s_sub_i32 s7, s5, s2
	s_cmp_ge_u32 s5, s2
	s_cselect_b32 s3, s6, s3
	s_cselect_b32 s5, s7, s5
	s_add_i32 s6, s3, 1
	s_cmp_ge_u32 s5, s2
	s_cselect_b32 s2, s6, s3
	s_abs_i32 s10, s20
	s_xor_b32 s2, s2, s4
	s_delay_alu instid0(SALU_CYCLE_1) | instskip(SKIP_2) | instid1(SALU_CYCLE_1)
	s_sub_i32 s11, s2, s4
	s_load_b64 s[2:3], s[0:1], 0x50
	s_abs_i32 s8, s11
	v_cvt_f32_u32_e32 v1, s8
	s_sub_i32 s5, 0, s8
	s_delay_alu instid0(VALU_DEP_1) | instskip(SKIP_2) | instid1(VALU_DEP_1)
	v_rcp_iflag_f32_e32 v1, v1
	s_waitcnt_depctr 0xfff
	v_mul_f32_e32 v1, 0x4f7ffffe, v1
	v_cvt_u32_f32_e32 v1, v1
	s_delay_alu instid0(VALU_DEP_1) | instskip(NEXT) | instid1(VALU_DEP_1)
	v_readfirstlane_b32 s4, v1
	s_mul_i32 s5, s5, s4
	s_delay_alu instid0(SALU_CYCLE_1) | instskip(NEXT) | instid1(SALU_CYCLE_1)
	s_mul_hi_u32 s5, s4, s5
	s_add_i32 s4, s4, s5
	s_waitcnt lgkmcnt(0)
	s_cmp_eq_u64 s[2:3], 0
	s_mul_hi_u32 s9, s10, s4
	s_cbranch_scc1 .LBB38_3
; %bb.2:
	s_ashr_i32 s21, s20, 31
	s_delay_alu instid0(SALU_CYCLE_1) | instskip(NEXT) | instid1(SALU_CYCLE_1)
	s_lshl_b64 s[4:5], s[20:21], 2
	s_add_u32 s2, s2, s4
	s_addc_u32 s3, s3, s5
	s_load_b32 s30, s[2:3], 0x0
.LBB38_3:
	s_load_b128 s[4:7], s[0:1], 0x58
	v_and_b32_e32 v41, 1, v0
	v_lshlrev_b32_e32 v1, 3, v0
	v_lshlrev_b32_e32 v43, 2, v0
	s_ashr_i32 s2, s20, 31
	s_ashr_i32 s3, s11, 31
	s_mul_i32 s16, s20, 0x50
	s_waitcnt lgkmcnt(0)
	s_mov_b32 s7, exec_lo
	v_cmpx_gt_u32_e32 40, v0
	s_cbranch_execz .LBB38_5
; %bb.4:
	s_load_b64 s[18:19], s[0:1], 0x18
	s_mul_i32 s22, s14, s4
	v_and_b32_e32 v4, 0xff8, v43
	s_ashr_i32 s23, s22, 31
	s_delay_alu instid0(SALU_CYCLE_1) | instskip(NEXT) | instid1(VALU_DEP_1)
	s_lshl_b64 s[22:23], s[22:23], 2
	v_mad_u32_u24 v4, 0xa0, v41, v4
	s_waitcnt lgkmcnt(0)
	s_add_u32 s4, s18, s22
	s_addc_u32 s11, s19, s23
	s_ashr_i32 s17, s16, 31
	s_delay_alu instid0(SALU_CYCLE_1) | instskip(NEXT) | instid1(SALU_CYCLE_1)
	s_lshl_b64 s[18:19], s[16:17], 2
	s_add_u32 s18, s4, s18
	s_addc_u32 s19, s11, s19
	global_load_b64 v[2:3], v1, s[18:19]
	s_waitcnt vmcnt(0)
	ds_store_b64 v4, v[2:3]
.LBB38_5:
	s_or_b32 exec_lo, exec_lo, s7
	s_add_i32 s4, s15, 15
	s_lshl_b32 s7, s12, 5
	s_ashr_i32 s11, s4, 31
	s_xor_b32 s2, s2, s3
	s_lshr_b32 s11, s11, 28
	s_add_i32 s3, s7, 32
	s_add_i32 s4, s4, s11
	s_clause 0x1
	s_load_b64 s[22:23], s[0:1], 0x38
	s_load_b32 s11, s[0:1], 0x48
	s_ashr_i32 s21, s4, 4
	s_mul_i32 s4, s9, s8
	s_min_i32 s17, s3, s21
	s_sub_i32 s3, s10, s4
	s_add_i32 s4, s9, 1
	s_sub_i32 s10, s3, s8
	s_cmp_ge_u32 s3, s8
	v_lshrrev_b32_e32 v48, 5, v0
	s_cselect_b32 s4, s4, s9
	s_cselect_b32 s3, s10, s3
	s_add_i32 s9, s4, 1
	s_cmp_ge_u32 s3, s8
	v_or_b32_e32 v45, s7, v48
	s_cselect_b32 s3, s9, s4
	v_mbcnt_lo_u32_b32 v44, -1, 0
	s_xor_b32 s3, s3, s2
	s_mov_b32 s4, exec_lo
	s_sub_i32 s3, s3, s2
	v_cmp_gt_i32_e64 s2, s17, v45
	s_waitcnt lgkmcnt(0)
	s_mul_i32 s24, s14, s11
	s_delay_alu instid0(SALU_CYCLE_1)
	s_ashr_i32 s25, s24, 31
	s_barrier
	buffer_gl0_inv
                                        ; implicit-def: $sgpr28
                                        ; implicit-def: $vgpr47
	v_cmpx_le_i32_e64 s17, v45
	s_xor_b32 s4, exec_lo, s4
; %bb.6:
	v_mbcnt_lo_u32_b32 v44, -1, 0
	v_mov_b32_e32 v47, 32
	s_mov_b32 s28, 0xff7fffff
                                        ; implicit-def: $vgpr1
                                        ; implicit-def: $vgpr41
; %bb.7:
	s_or_saveexec_b32 s34, s4
	s_clause 0x3
	s_load_b128 s[8:11], s[0:1], 0x0
	s_load_b64 s[18:19], s[0:1], 0x10
	s_load_b64 s[26:27], s[0:1], 0x28
	s_load_b32 s4, s[0:1], 0x98
	v_mov_b32_e32 v49, s28
	v_ashrrev_i32_e32 v46, 31, v45
	s_mul_i32 s28, s3, s6
	s_xor_b32 exec_lo, exec_lo, s34
	s_cbranch_execz .LBB38_13
; %bb.8:
	s_load_b64 s[0:1], s[0:1], 0x20
	v_bfe_u32 v42, v0, 1, 4
	s_ashr_i32 s29, s28, 31
	v_xor_b32_e32 v34, 1, v44
	v_mul_u32_u24_e32 v37, 0xa0, v41
	s_lshl_b64 s[36:37], s[28:29], 2
	v_lshlrev_b32_e32 v35, 4, v42
	v_lshlrev_b32_e32 v53, 4, v48
	v_cmp_gt_i32_e32 vcc_lo, 32, v34
	v_and_b32_e32 v33, 8, v1
	ds_load_b128 v[1:4], v37
	ds_load_b128 v[5:8], v37 offset:16
	ds_load_b128 v[9:12], v37 offset:32
	;; [unrolled: 1-line block ×7, first 2 shown]
	v_lshlrev_b32_e32 v49, 2, v42
	v_add3_u32 v53, s33, v53, v42
	v_dual_cndmask_b32 v52, v44, v34 :: v_dual_mov_b32 v47, 32
	v_mov_b32_e32 v55, v45
	s_delay_alu instid0(VALU_DEP_4) | instskip(SKIP_1) | instid1(VALU_DEP_3)
	v_lshl_or_b32 v49, v48, 6, v49
	s_mov_b32 s35, s5
	v_lshlrev_b32_e32 v52, 2, v52
	s_mov_b32 s29, 0
	s_waitcnt lgkmcnt(0)
	s_add_u32 s0, s0, s36
	s_addc_u32 s1, s1, s37
	v_add_co_u32 v35, s0, s0, v35
	s_delay_alu instid0(VALU_DEP_1) | instskip(SKIP_1) | instid1(VALU_DEP_2)
	v_add_co_ci_u32_e64 v36, null, s1, 0, s0
	s_lshl_b64 s[36:37], s[24:25], 2
	v_add_co_u32 v50, vcc_lo, v35, v33
	s_delay_alu instid0(VALU_DEP_2)
	v_add_co_ci_u32_e32 v51, vcc_lo, 0, v36, vcc_lo
	ds_load_b128 v[33:36], v37 offset:128
	ds_load_b128 v[37:40], v37 offset:144
	v_cmp_eq_u32_e32 vcc_lo, 0, v41
	v_lshlrev_b64 v[41:42], 2, v[45:46]
	s_sub_i32 s6, 1, s15
	s_add_u32 s1, s22, s36
	s_addc_u32 s3, s23, s37
	v_cmp_neq_f32_e64 s0, s30, 0
	v_add_nc_u32_e32 v54, 0x160, v49
	v_add_co_u32 v41, s1, s1, v41
	s_delay_alu instid0(VALU_DEP_1)
	v_add_co_ci_u32_e64 v42, s1, s3, v42, s1
	v_mov_b32_e32 v49, 0xff7fffff
	s_branch .LBB38_10
.LBB38_9:                               ;   in Loop: Header=BB38_10 Depth=1
	s_or_b32 exec_lo, exec_lo, s3
	v_add_nc_u32_e32 v55, 4, v55
	v_add_co_u32 v41, s3, v41, 16
	v_add_nc_u32_e32 v53, 64, v53
	v_add_nc_u32_e32 v54, 0x100, v54
	s_delay_alu instid0(VALU_DEP_4) | instskip(SKIP_1) | instid1(VALU_DEP_2)
	v_cmp_le_i32_e64 s1, s17, v55
	v_add_co_ci_u32_e64 v42, s3, 0, v42, s3
	s_or_b32 s29, s1, s29
	s_delay_alu instid0(SALU_CYCLE_1)
	s_and_not1_b32 exec_lo, exec_lo, s29
	s_cbranch_execz .LBB38_12
.LBB38_10:                              ; =>This Inner Loop Header: Depth=1
	global_load_b32 v58, v[41:42], off
	s_waitcnt vmcnt(0) lgkmcnt(0)
	v_mad_i64_i32 v[56:57], null, v58, s35, 0
	s_delay_alu instid0(VALU_DEP_1) | instskip(NEXT) | instid1(VALU_DEP_1)
	v_lshlrev_b64 v[56:57], 2, v[56:57]
	v_add_co_u32 v56, s1, v50, v56
	s_delay_alu instid0(VALU_DEP_1)
	v_add_co_ci_u32_e64 v57, s1, v51, v57, s1
	s_clause 0xf
	global_load_b64 v[58:59], v[56:57], off offset:256
	global_load_b64 v[60:61], v[56:57], off
	global_load_b64 v[62:63], v[56:57], off offset:512
	global_load_b64 v[64:65], v[56:57], off offset:768
	;; [unrolled: 1-line block ×14, first 2 shown]
	v_add_co_u32 v56, s1, 0x1000, v56
	s_delay_alu instid0(VALU_DEP_1)
	v_add_co_ci_u32_e64 v57, s1, 0, v57, s1
	s_clause 0x3
	global_load_b64 v[90:91], v[56:57], off
	global_load_b64 v[92:93], v[56:57], off offset:256
	global_load_b64 v[94:95], v[56:57], off offset:512
	;; [unrolled: 1-line block ×3, first 2 shown]
	s_waitcnt vmcnt(19)
	v_dual_mul_f32 v58, v3, v58 :: v_dual_mul_f32 v59, v4, v59
	s_waitcnt vmcnt(18)
	s_delay_alu instid0(VALU_DEP_1) | instskip(SKIP_1) | instid1(VALU_DEP_1)
	v_dual_fmac_f32 v58, v1, v60 :: v_dual_fmac_f32 v59, v2, v61
	s_waitcnt vmcnt(17)
	v_dual_fmac_f32 v58, v5, v62 :: v_dual_fmac_f32 v59, v6, v63
	s_waitcnt vmcnt(16)
	s_delay_alu instid0(VALU_DEP_1) | instskip(SKIP_1) | instid1(VALU_DEP_1)
	v_dual_fmac_f32 v58, v7, v64 :: v_dual_fmac_f32 v59, v8, v65
	s_waitcnt vmcnt(15)
	v_dual_fmac_f32 v58, v9, v66 :: v_dual_fmac_f32 v59, v10, v67
	;; [unrolled: 5-line block ×7, first 2 shown]
	s_waitcnt vmcnt(4)
	s_delay_alu instid0(VALU_DEP_1) | instskip(SKIP_1) | instid1(VALU_DEP_1)
	v_dual_fmac_f32 v58, v31, v88 :: v_dual_fmac_f32 v59, v32, v89
	s_waitcnt vmcnt(3) lgkmcnt(1)
	v_dual_fmac_f32 v58, v33, v90 :: v_dual_fmac_f32 v59, v34, v91
	s_waitcnt vmcnt(2)
	s_delay_alu instid0(VALU_DEP_1) | instskip(SKIP_1) | instid1(VALU_DEP_1)
	v_dual_fmac_f32 v58, v35, v92 :: v_dual_fmac_f32 v59, v36, v93
	s_waitcnt vmcnt(1) lgkmcnt(0)
	v_dual_fmac_f32 v58, v37, v94 :: v_dual_fmac_f32 v59, v38, v95
	s_waitcnt vmcnt(0)
	s_delay_alu instid0(VALU_DEP_1) | instskip(NEXT) | instid1(VALU_DEP_1)
	v_dual_fmac_f32 v58, v39, v56 :: v_dual_fmac_f32 v59, v40, v57
	v_add_f32_e32 v56, v58, v59
	ds_bpermute_b32 v57, v52, v56
	s_and_saveexec_b32 s3, vcc_lo
	s_cbranch_execz .LBB38_9
; %bb.11:                               ;   in Loop: Header=BB38_10 Depth=1
	s_waitcnt lgkmcnt(0)
	v_add_f32_e32 v56, v56, v57
	v_add_nc_u32_e32 v58, s6, v53
	v_cmp_gt_i32_e64 s1, s15, v53
	s_delay_alu instid0(VALU_DEP_2) | instskip(NEXT) | instid1(VALU_DEP_1)
	v_cvt_f32_i32_e32 v58, v58
	v_mul_f32_e32 v58, s30, v58
	s_delay_alu instid0(VALU_DEP_1) | instskip(NEXT) | instid1(VALU_DEP_1)
	v_cndmask_b32_e64 v57, 0, v58, s0
	v_dual_max_f32 v58, v49, v49 :: v_dual_fmac_f32 v57, s31, v56
	s_delay_alu instid0(VALU_DEP_1) | instskip(SKIP_1) | instid1(VALU_DEP_2)
	v_max_f32_e32 v56, v58, v57
	v_cndmask_b32_e64 v57, 0, v57, s1
	v_cndmask_b32_e64 v49, v49, v56, s1
	ds_store_b32 v54, v57
	s_branch .LBB38_9
.LBB38_12:
	s_or_b32 exec_lo, exec_lo, s29
.LBB38_13:
	s_delay_alu instid0(SALU_CYCLE_1) | instskip(SKIP_4) | instid1(VALU_DEP_4)
	s_or_b32 exec_lo, exec_lo, s34
	v_xor_b32_e32 v1, 16, v44
	v_xor_b32_e32 v3, 8, v44
	;; [unrolled: 1-line block ×4, first 2 shown]
	v_cmp_lt_i32_e32 vcc_lo, v1, v47
	v_cndmask_b32_e32 v1, v44, v1, vcc_lo
	v_cmp_lt_i32_e32 vcc_lo, v3, v47
	v_dual_max_f32 v4, v49, v49 :: v_dual_cndmask_b32 v3, v44, v3
	v_cmp_lt_i32_e32 vcc_lo, v5, v47
	s_delay_alu instid0(VALU_DEP_2) | instskip(SKIP_2) | instid1(VALU_DEP_2)
	v_lshlrev_b32_e32 v3, 2, v3
	v_cndmask_b32_e32 v5, v44, v5, vcc_lo
	v_cmp_lt_i32_e32 vcc_lo, v6, v47
	v_dual_cndmask_b32 v6, v44, v6 :: v_dual_lshlrev_b32 v5, 2, v5
	s_delay_alu instid0(VALU_DEP_1) | instskip(SKIP_4) | instid1(VALU_DEP_1)
	v_lshlrev_b32_e32 v50, 2, v6
	v_lshlrev_b32_e32 v2, 2, v1
	;; [unrolled: 1-line block ×3, first 2 shown]
	ds_bpermute_b32 v1, v2, v49
	v_and_b32_e32 v49, 31, v0
	v_cmp_eq_u32_e32 vcc_lo, 0, v49
	s_waitcnt lgkmcnt(0)
	v_max_f32_e32 v1, v1, v1
	s_delay_alu instid0(VALU_DEP_1) | instskip(SKIP_3) | instid1(VALU_DEP_1)
	v_max_f32_e32 v1, v4, v1
	ds_bpermute_b32 v4, v3, v1
	s_waitcnt lgkmcnt(0)
	v_max_f32_e32 v4, v4, v4
	v_max_f32_e32 v1, v1, v4
	ds_bpermute_b32 v4, v5, v1
	s_waitcnt lgkmcnt(0)
	v_max_f32_e32 v4, v4, v4
	s_delay_alu instid0(VALU_DEP_1)
	v_max_f32_e32 v1, v1, v4
	ds_bpermute_b32 v4, v50, v1
	s_and_saveexec_b32 s0, vcc_lo
	s_cbranch_execz .LBB38_15
; %bb.14:
	s_waitcnt lgkmcnt(0)
	v_dual_max_f32 v4, v4, v4 :: v_dual_max_f32 v1, v1, v1
	s_delay_alu instid0(VALU_DEP_1)
	v_max_f32_e32 v1, v1, v4
	ds_store_b32 v6, v1 offset:320
.LBB38_15:
	s_or_b32 exec_lo, exec_lo, s0
	v_cmp_gt_u32_e64 s0, 4, v49
	v_mov_b32_e32 v1, 0xff7fffff
	v_lshlrev_b32_e32 v7, 2, v49
	s_waitcnt lgkmcnt(0)
	s_barrier
	buffer_gl0_inv
	s_and_saveexec_b32 s1, s0
	s_cbranch_execz .LBB38_17
; %bb.16:
	ds_load_b32 v1, v7 offset:320
.LBB38_17:
	s_or_b32 exec_lo, exec_lo, s1
	s_waitcnt lgkmcnt(0)
	ds_bpermute_b32 v4, v50, v1
	v_xor_b32_e32 v8, 1, v44
	v_max_f32_e32 v1, v1, v1
	v_mov_b32_e32 v9, 0
	s_delay_alu instid0(VALU_DEP_3) | instskip(NEXT) | instid1(VALU_DEP_1)
	v_cmp_lt_i32_e64 s1, v8, v47
	v_cndmask_b32_e64 v8, v44, v8, s1
	s_sub_i32 s1, s17, s7
	s_delay_alu instid0(SALU_CYCLE_1) | instskip(NEXT) | instid1(VALU_DEP_1)
	s_lshl_b32 s1, s1, 4
	v_lshlrev_b32_e32 v51, 2, v8
	v_lshlrev_b32_e32 v8, 2, v44
	s_add_i32 s1, s1, s33
	s_waitcnt lgkmcnt(0)
	v_max_f32_e32 v4, v4, v4
	s_min_i32 s1, s1, s15
	v_and_b32_e32 v8, 0xffffff80, v8
	s_sub_i32 s6, s1, s33
	s_delay_alu instid0(VALU_DEP_2) | instskip(SKIP_4) | instid1(VALU_DEP_1)
	v_max_f32_e32 v1, v1, v4
	v_cmp_gt_i32_e64 s1, s6, v0
	ds_bpermute_b32 v4, v51, v1
	s_waitcnt lgkmcnt(0)
	v_max_f32_e32 v4, v4, v4
	v_max_f32_e32 v1, v1, v4
	v_lshl_add_u32 v4, v0, 2, 0x160
	ds_bpermute_b32 v1, v8, v1
	s_and_saveexec_b32 s7, s1
	s_cbranch_execz .LBB38_21
; %bb.18:
	v_lshl_add_u32 v10, v0, 2, 0x160
	v_mov_b32_e32 v9, 0
	v_mov_b32_e32 v11, v0
	s_mov_b32 s29, 0
	.p2align	6
.LBB38_19:                              ; =>This Inner Loop Header: Depth=1
	ds_load_b32 v12, v10
	v_add_nc_u32_e32 v11, 0x80, v11
	s_delay_alu instid0(VALU_DEP_1) | instskip(NEXT) | instid1(VALU_DEP_1)
	v_cmp_le_i32_e64 s3, s6, v11
	s_or_b32 s29, s3, s29
	s_waitcnt lgkmcnt(0)
	v_sub_f32_e32 v12, v12, v1
	s_delay_alu instid0(VALU_DEP_1) | instskip(NEXT) | instid1(VALU_DEP_1)
	v_mul_f32_e32 v12, 0x3fb8aa3b, v12
	v_exp_f32_e32 v12, v12
	ds_store_b32 v10, v12
	v_dual_add_f32 v9, v9, v12 :: v_dual_add_nc_u32 v10, 0x200, v10
	s_and_not1_b32 exec_lo, exec_lo, s29
	s_cbranch_execnz .LBB38_19
; %bb.20:
	s_or_b32 exec_lo, exec_lo, s29
.LBB38_21:
	s_delay_alu instid0(SALU_CYCLE_1)
	s_or_b32 exec_lo, exec_lo, s7
	ds_bpermute_b32 v2, v2, v9
	s_waitcnt lgkmcnt(0)
	v_add_f32_e32 v2, v9, v2
	ds_bpermute_b32 v3, v3, v2
	s_waitcnt lgkmcnt(0)
	v_add_f32_e32 v2, v2, v3
	;; [unrolled: 3-line block ×5, first 2 shown]
	s_and_saveexec_b32 s3, vcc_lo
	s_cbranch_execz .LBB38_23
; %bb.22:
	ds_store_b32 v6, v2 offset:336
.LBB38_23:
	s_or_b32 exec_lo, exec_lo, s3
	s_waitcnt lgkmcnt(0)
	s_barrier
	buffer_gl0_inv
	s_and_saveexec_b32 s3, s0
	s_cbranch_execz .LBB38_25
; %bb.24:
	ds_load_b32 v2, v7 offset:336
.LBB38_25:
	s_or_b32 exec_lo, exec_lo, s3
	s_waitcnt lgkmcnt(0)
	ds_bpermute_b32 v3, v50, v2
	s_waitcnt lgkmcnt(0)
	v_add_f32_e32 v2, v2, v3
	ds_bpermute_b32 v3, v51, v2
	s_waitcnt lgkmcnt(0)
	v_add_f32_e32 v2, v2, v3
	ds_bpermute_b32 v2, v8, v2
	s_and_saveexec_b32 s0, s1
	s_cbranch_execz .LBB38_28
; %bb.26:
	s_waitcnt lgkmcnt(0)
	v_add_f32_e32 v3, 0x358637bd, v2
	s_mov_b32 s1, 0
	s_delay_alu instid0(VALU_DEP_1) | instskip(SKIP_1) | instid1(VALU_DEP_2)
	v_div_scale_f32 v5, null, v3, v3, 1.0
	v_div_scale_f32 v8, vcc_lo, 1.0, v3, 1.0
	v_rcp_f32_e32 v6, v5
	s_waitcnt_depctr 0xfff
	v_fma_f32 v7, -v5, v6, 1.0
	s_delay_alu instid0(VALU_DEP_1) | instskip(NEXT) | instid1(VALU_DEP_1)
	v_fmac_f32_e32 v6, v7, v6
	v_mul_f32_e32 v7, v8, v6
	s_delay_alu instid0(VALU_DEP_1) | instskip(NEXT) | instid1(VALU_DEP_1)
	v_fma_f32 v9, -v5, v7, v8
	v_fmac_f32_e32 v7, v9, v6
	s_delay_alu instid0(VALU_DEP_1) | instskip(NEXT) | instid1(VALU_DEP_1)
	v_fma_f32 v5, -v5, v7, v8
	v_div_fmas_f32 v5, v5, v6, v7
	s_delay_alu instid0(VALU_DEP_1)
	v_div_fixup_f32 v3, v5, v3, 1.0
	v_mov_b32_e32 v5, v0
.LBB38_27:                              ; =>This Inner Loop Header: Depth=1
	ds_load_b32 v6, v4
	s_waitcnt lgkmcnt(0)
	v_dual_mul_f32 v6, v3, v6 :: v_dual_add_nc_u32 v5, 0x80, v5
	s_delay_alu instid0(VALU_DEP_1) | instskip(SKIP_3) | instid1(SALU_CYCLE_1)
	v_cmp_le_i32_e32 vcc_lo, s6, v5
	ds_store_b32 v4, v6
	v_add_nc_u32_e32 v4, 0x200, v4
	s_or_b32 s1, vcc_lo, s1
	s_and_not1_b32 exec_lo, exec_lo, s1
	s_cbranch_execnz .LBB38_27
.LBB38_28:
	s_or_b32 exec_lo, exec_lo, s0
	s_mul_i32 s0, s4, s14
	s_waitcnt lgkmcnt(0)
	s_mul_i32 s6, s0, s13
	s_mov_b32 s0, exec_lo
	s_barrier
	buffer_gl0_inv
	v_cmpx_eq_u32_e32 0, v0
	s_cbranch_execz .LBB38_30
; %bb.29:
	s_ashr_i32 s7, s6, 31
	s_mul_i32 s34, s4, s20
	s_lshl_b64 s[30:31], s[6:7], 2
	v_mov_b32_e32 v3, 0
	s_add_u32 s1, s10, s30
	s_addc_u32 s3, s11, s31
	s_ashr_i32 s35, s34, 31
	s_delay_alu instid0(SALU_CYCLE_1) | instskip(NEXT) | instid1(SALU_CYCLE_1)
	s_lshl_b64 s[10:11], s[34:35], 2
	s_add_u32 s1, s1, s10
	s_addc_u32 s3, s3, s11
	s_ashr_i32 s13, s12, 31
	s_delay_alu instid0(SALU_CYCLE_1) | instskip(NEXT) | instid1(SALU_CYCLE_1)
	s_lshl_b64 s[34:35], s[12:13], 2
	s_add_u32 s36, s1, s34
	s_addc_u32 s37, s3, s35
	s_add_u32 s1, s8, s30
	s_addc_u32 s3, s9, s31
	;; [unrolled: 2-line block ×4, first 2 shown]
	s_clause 0x1
	global_store_b32 v3, v1, s[36:37]
	global_store_b32 v3, v2, s[8:9]
.LBB38_30:
	s_or_b32 exec_lo, exec_lo, s0
	v_dual_mov_b32 v60, 0 :: v_dual_mov_b32 v61, 0
	v_dual_mov_b32 v59, 0 :: v_dual_and_b32 v52, 3, v0
	v_dual_mov_b32 v62, 0 :: v_dual_mov_b32 v57, 0
	v_dual_mov_b32 v58, 0 :: v_dual_mov_b32 v55, 0
	;; [unrolled: 1-line block ×3, first 2 shown]
	v_mov_b32_e32 v54, 0
	s_and_saveexec_b32 s1, s2
	s_cbranch_execz .LBB38_54
; %bb.31:
	v_dual_mov_b32 v54, 0 :: v_dual_and_b32 v1, 12, v43
	v_dual_mov_b32 v53, 0 :: v_dual_lshlrev_b32 v2, 4, v52
	v_lshl_add_u32 v4, v48, 4, s33
	s_ashr_i32 s29, s28, 31
	v_dual_mov_b32 v56, 0 :: v_dual_and_b32 v3, 0x7c, v43
	s_lshl_b64 s[2:3], s[28:29], 2
	v_lshl_or_b32 v6, v48, 6, v2
	v_add3_u32 v63, v4, v1, 3
	v_lshlrev_b64 v[1:2], 2, v[45:46]
	s_add_u32 s2, s26, s2
	s_addc_u32 s3, s27, s3
	s_lshl_b64 s[8:9], s[24:25], 2
	s_add_i32 s21, s21, -1
	v_or_b32_e32 v5, 0x400, v3
	v_or_b32_e32 v7, 0x480, v3
	s_add_u32 s0, s22, s8
	s_addc_u32 s7, s23, s9
	v_add_co_u32 v46, vcc_lo, s0, v1
	v_dual_mov_b32 v55, 0 :: v_dual_add_nc_u32 v64, 0x160, v6
	v_add_co_ci_u32_e32 v47, vcc_lo, s7, v2, vcc_lo
	v_dual_mov_b32 v58, 0 :: v_dual_lshlrev_b32 v65, 2, v3
	v_dual_mov_b32 v57, 0 :: v_dual_lshlrev_b32 v66, 2, v5
	;; [unrolled: 1-line block ×3, first 2 shown]
	v_dual_mov_b32 v59, 0 :: v_dual_mov_b32 v60, 0
	v_mov_b32_e32 v61, 0
	s_mov_b32 s7, s5
	s_mov_b32 s5, 0
	s_branch .LBB38_33
.LBB38_32:                              ;   in Loop: Header=BB38_33 Depth=1
	s_or_b32 exec_lo, exec_lo, s0
	s_waitcnt vmcnt(6) lgkmcnt(0)
	v_mul_f32_e32 v18, v2, v18
	v_mul_f32_e32 v14, v2, v14
	s_waitcnt vmcnt(2)
	v_dual_mul_f32 v34, v2, v34 :: v_dual_add_nc_u32 v63, 64, v63
	s_waitcnt vmcnt(1)
	v_dual_mul_f32 v42, v2, v42 :: v_dual_add_nc_u32 v45, 4, v45
	v_fmac_f32_e32 v18, v1, v17
	v_fmac_f32_e32 v14, v1, v13
	v_mul_f32_e32 v30, v2, v30
	v_mul_f32_e32 v26, v2, v26
	;; [unrolled: 1-line block ×3, first 2 shown]
	v_fmac_f32_e32 v18, v3, v19
	v_mul_f32_e32 v10, v2, v10
	v_mul_f32_e32 v6, v2, v6
	s_waitcnt vmcnt(0)
	v_mul_f32_e32 v2, v2, v38
	v_fmac_f32_e32 v14, v3, v15
	v_fmac_f32_e32 v18, v4, v20
	;; [unrolled: 1-line block ×5, first 2 shown]
	s_delay_alu instid0(VALU_DEP_4) | instskip(NEXT) | instid1(VALU_DEP_4)
	v_dual_fmac_f32 v14, v4, v16 :: v_dual_add_f32 v59, v59, v18
	v_fmac_f32_e32 v34, v3, v35
	v_fmac_f32_e32 v30, v1, v29
	;; [unrolled: 1-line block ×3, first 2 shown]
	s_delay_alu instid0(VALU_DEP_4) | instskip(NEXT) | instid1(VALU_DEP_4)
	v_dual_add_f32 v61, v61, v14 :: v_dual_fmac_f32 v26, v3, v27
	v_fmac_f32_e32 v34, v4, v36
	v_fmac_f32_e32 v42, v1, v41
	;; [unrolled: 1-line block ×5, first 2 shown]
	v_add_f32_e32 v55, v55, v34
	v_fmac_f32_e32 v22, v3, v23
	v_fmac_f32_e32 v26, v4, v28
	;; [unrolled: 1-line block ×5, first 2 shown]
	s_delay_alu instid0(VALU_DEP_4) | instskip(SKIP_2) | instid1(VALU_DEP_3)
	v_dual_fmac_f32 v2, v4, v40 :: v_dual_add_f32 v57, v57, v26
	v_fmac_f32_e32 v30, v3, v31
	v_fmac_f32_e32 v42, v4, v44
	v_dual_fmac_f32 v22, v4, v24 :: v_dual_add_f32 v53, v53, v2
	v_fmac_f32_e32 v10, v4, v12
	s_delay_alu instid0(VALU_DEP_4)
	v_fmac_f32_e32 v30, v4, v32
	v_fmac_f32_e32 v6, v4, v8
	v_cmp_le_i32_e32 vcc_lo, s17, v45
	v_add_co_u32 v46, s0, v46, 16
	v_add_f32_e32 v54, v54, v42
	v_add_f32_e32 v56, v56, v30
	;; [unrolled: 1-line block ×5, first 2 shown]
	v_add_nc_u32_e32 v64, 0x100, v64
	v_add_co_ci_u32_e64 v47, s0, 0, v47, s0
	s_or_b32 s5, vcc_lo, s5
	s_delay_alu instid0(SALU_CYCLE_1)
	s_and_not1_b32 exec_lo, exec_lo, s5
	s_cbranch_execz .LBB38_53
.LBB38_33:                              ; =>This Inner Loop Header: Depth=1
	global_load_b32 v3, v[46:47], off
	v_add_nc_u32_e32 v68, -3, v63
	v_add_nc_u32_e32 v70, -2, v63
	;; [unrolled: 1-line block ×3, first 2 shown]
	s_waitcnt vmcnt(0)
	v_mad_i64_i32 v[1:2], null, v3, s7, 0
	s_delay_alu instid0(VALU_DEP_1) | instskip(NEXT) | instid1(VALU_DEP_1)
	v_lshlrev_b64 v[1:2], 2, v[1:2]
	v_add_co_u32 v37, vcc_lo, s2, v1
	s_delay_alu instid0(VALU_DEP_2)
	v_add_co_ci_u32_e32 v38, vcc_lo, s3, v2, vcc_lo
	ds_load_b128 v[1:4], v64
	v_add_co_u32 v33, vcc_lo, v37, v65
	v_add_co_ci_u32_e32 v34, vcc_lo, 0, v38, vcc_lo
	v_cmp_eq_u32_e32 vcc_lo, s21, v45
	global_load_b128 v[5:8], v[33:34], off
	s_and_saveexec_b32 s8, vcc_lo
	s_cbranch_execnz .LBB38_46
; %bb.34:                               ;   in Loop: Header=BB38_33 Depth=1
	s_or_b32 exec_lo, exec_lo, s8
	global_load_b128 v[9:12], v[33:34], off offset:512
	s_and_saveexec_b32 s8, vcc_lo
	s_cbranch_execnz .LBB38_47
.LBB38_35:                              ;   in Loop: Header=BB38_33 Depth=1
	s_or_b32 exec_lo, exec_lo, s8
	global_load_b128 v[13:16], v[33:34], off offset:1024
	s_and_saveexec_b32 s8, vcc_lo
	s_cbranch_execnz .LBB38_48
.LBB38_36:                              ;   in Loop: Header=BB38_33 Depth=1
	s_or_b32 exec_lo, exec_lo, s8
	global_load_b128 v[17:20], v[33:34], off offset:1536
	s_and_saveexec_b32 s8, vcc_lo
	s_cbranch_execnz .LBB38_49
.LBB38_37:                              ;   in Loop: Header=BB38_33 Depth=1
	s_or_b32 exec_lo, exec_lo, s8
	global_load_b128 v[21:24], v[33:34], off offset:2048
	s_and_saveexec_b32 s8, vcc_lo
	s_cbranch_execnz .LBB38_50
.LBB38_38:                              ;   in Loop: Header=BB38_33 Depth=1
	s_or_b32 exec_lo, exec_lo, s8
	global_load_b128 v[25:28], v[33:34], off offset:2560
	s_and_saveexec_b32 s8, vcc_lo
	s_cbranch_execnz .LBB38_51
.LBB38_39:                              ;   in Loop: Header=BB38_33 Depth=1
	s_or_b32 exec_lo, exec_lo, s8
	global_load_b128 v[29:32], v[33:34], off offset:3072
	s_and_saveexec_b32 s8, vcc_lo
	s_cbranch_execnz .LBB38_52
.LBB38_40:                              ;   in Loop: Header=BB38_33 Depth=1
	s_or_b32 exec_lo, exec_lo, s8
	global_load_b128 v[33:36], v[33:34], off offset:3584
	s_and_saveexec_b32 s8, vcc_lo
	s_cbranch_execz .LBB38_42
.LBB38_41:                              ;   in Loop: Header=BB38_33 Depth=1
	v_cmp_gt_i32_e64 s0, s15, v68
	s_waitcnt vmcnt(0)
	s_delay_alu instid0(VALU_DEP_1) | instskip(SKIP_1) | instid1(VALU_DEP_1)
	v_cndmask_b32_e64 v33, 0, v33, s0
	v_cmp_gt_i32_e64 s0, s15, v70
	v_cndmask_b32_e64 v34, 0, v34, s0
	v_cmp_gt_i32_e64 s0, s15, v69
	s_delay_alu instid0(VALU_DEP_1) | instskip(SKIP_1) | instid1(VALU_DEP_1)
	v_cndmask_b32_e64 v35, 0, v35, s0
	v_cmp_gt_i32_e64 s0, s15, v63
	v_cndmask_b32_e64 v36, 0, v36, s0
.LBB38_42:                              ;   in Loop: Header=BB38_33 Depth=1
	s_or_b32 exec_lo, exec_lo, s8
	v_add_co_u32 v39, s0, v37, v66
	s_delay_alu instid0(VALU_DEP_1)
	v_add_co_ci_u32_e64 v40, s0, 0, v38, s0
	global_load_b128 v[41:44], v[39:40], off
	s_and_saveexec_b32 s8, vcc_lo
	s_cbranch_execz .LBB38_44
; %bb.43:                               ;   in Loop: Header=BB38_33 Depth=1
	v_cmp_gt_i32_e64 s0, s15, v68
	s_waitcnt vmcnt(0)
	s_delay_alu instid0(VALU_DEP_1) | instskip(SKIP_1) | instid1(VALU_DEP_1)
	v_cndmask_b32_e64 v41, 0, v41, s0
	v_cmp_gt_i32_e64 s0, s15, v70
	v_cndmask_b32_e64 v42, 0, v42, s0
	v_cmp_gt_i32_e64 s0, s15, v69
	s_delay_alu instid0(VALU_DEP_1) | instskip(SKIP_1) | instid1(VALU_DEP_1)
	v_cndmask_b32_e64 v43, 0, v43, s0
	v_cmp_gt_i32_e64 s0, s15, v63
	v_cndmask_b32_e64 v44, 0, v44, s0
.LBB38_44:                              ;   in Loop: Header=BB38_33 Depth=1
	s_or_b32 exec_lo, exec_lo, s8
	v_add_co_u32 v37, s0, v37, v67
	s_delay_alu instid0(VALU_DEP_1)
	v_add_co_ci_u32_e64 v38, s0, 0, v38, s0
	global_load_b128 v[37:40], v[37:38], off
	s_and_saveexec_b32 s0, vcc_lo
	s_cbranch_execz .LBB38_32
; %bb.45:                               ;   in Loop: Header=BB38_33 Depth=1
	v_cmp_gt_i32_e32 vcc_lo, s15, v68
	s_waitcnt vmcnt(0)
	v_cndmask_b32_e32 v37, 0, v37, vcc_lo
	v_cmp_gt_i32_e32 vcc_lo, s15, v70
	v_cndmask_b32_e32 v38, 0, v38, vcc_lo
	v_cmp_gt_i32_e32 vcc_lo, s15, v69
	;; [unrolled: 2-line block ×3, first 2 shown]
	v_cndmask_b32_e32 v40, 0, v40, vcc_lo
	s_branch .LBB38_32
.LBB38_46:                              ;   in Loop: Header=BB38_33 Depth=1
	v_cmp_gt_i32_e64 s0, s15, v68
	s_waitcnt vmcnt(0)
	s_delay_alu instid0(VALU_DEP_1) | instskip(SKIP_1) | instid1(VALU_DEP_1)
	v_cndmask_b32_e64 v5, 0, v5, s0
	v_cmp_gt_i32_e64 s0, s15, v70
	v_cndmask_b32_e64 v6, 0, v6, s0
	v_cmp_gt_i32_e64 s0, s15, v69
	s_delay_alu instid0(VALU_DEP_1) | instskip(SKIP_1) | instid1(VALU_DEP_1)
	v_cndmask_b32_e64 v7, 0, v7, s0
	v_cmp_gt_i32_e64 s0, s15, v63
	v_cndmask_b32_e64 v8, 0, v8, s0
	s_or_b32 exec_lo, exec_lo, s8
	global_load_b128 v[9:12], v[33:34], off offset:512
	s_and_saveexec_b32 s8, vcc_lo
	s_cbranch_execz .LBB38_35
.LBB38_47:                              ;   in Loop: Header=BB38_33 Depth=1
	v_cmp_gt_i32_e64 s0, s15, v68
	s_waitcnt vmcnt(0)
	s_delay_alu instid0(VALU_DEP_1) | instskip(SKIP_1) | instid1(VALU_DEP_1)
	v_cndmask_b32_e64 v9, 0, v9, s0
	v_cmp_gt_i32_e64 s0, s15, v70
	v_cndmask_b32_e64 v10, 0, v10, s0
	v_cmp_gt_i32_e64 s0, s15, v69
	s_delay_alu instid0(VALU_DEP_1) | instskip(SKIP_1) | instid1(VALU_DEP_1)
	v_cndmask_b32_e64 v11, 0, v11, s0
	v_cmp_gt_i32_e64 s0, s15, v63
	v_cndmask_b32_e64 v12, 0, v12, s0
	s_or_b32 exec_lo, exec_lo, s8
	global_load_b128 v[13:16], v[33:34], off offset:1024
	s_and_saveexec_b32 s8, vcc_lo
	s_cbranch_execz .LBB38_36
.LBB38_48:                              ;   in Loop: Header=BB38_33 Depth=1
	v_cmp_gt_i32_e64 s0, s15, v68
	s_waitcnt vmcnt(0)
	s_delay_alu instid0(VALU_DEP_1) | instskip(SKIP_1) | instid1(VALU_DEP_1)
	v_cndmask_b32_e64 v13, 0, v13, s0
	v_cmp_gt_i32_e64 s0, s15, v70
	v_cndmask_b32_e64 v14, 0, v14, s0
	v_cmp_gt_i32_e64 s0, s15, v69
	s_delay_alu instid0(VALU_DEP_1) | instskip(SKIP_1) | instid1(VALU_DEP_1)
	v_cndmask_b32_e64 v15, 0, v15, s0
	v_cmp_gt_i32_e64 s0, s15, v63
	v_cndmask_b32_e64 v16, 0, v16, s0
	s_or_b32 exec_lo, exec_lo, s8
	global_load_b128 v[17:20], v[33:34], off offset:1536
	s_and_saveexec_b32 s8, vcc_lo
	s_cbranch_execz .LBB38_37
.LBB38_49:                              ;   in Loop: Header=BB38_33 Depth=1
	v_cmp_gt_i32_e64 s0, s15, v68
	s_waitcnt vmcnt(0)
	s_delay_alu instid0(VALU_DEP_1) | instskip(SKIP_1) | instid1(VALU_DEP_1)
	v_cndmask_b32_e64 v17, 0, v17, s0
	v_cmp_gt_i32_e64 s0, s15, v70
	v_cndmask_b32_e64 v18, 0, v18, s0
	v_cmp_gt_i32_e64 s0, s15, v69
	s_delay_alu instid0(VALU_DEP_1) | instskip(SKIP_1) | instid1(VALU_DEP_1)
	v_cndmask_b32_e64 v19, 0, v19, s0
	v_cmp_gt_i32_e64 s0, s15, v63
	v_cndmask_b32_e64 v20, 0, v20, s0
	s_or_b32 exec_lo, exec_lo, s8
	global_load_b128 v[21:24], v[33:34], off offset:2048
	s_and_saveexec_b32 s8, vcc_lo
	s_cbranch_execz .LBB38_38
.LBB38_50:                              ;   in Loop: Header=BB38_33 Depth=1
	v_cmp_gt_i32_e64 s0, s15, v68
	s_waitcnt vmcnt(0)
	s_delay_alu instid0(VALU_DEP_1) | instskip(SKIP_1) | instid1(VALU_DEP_1)
	v_cndmask_b32_e64 v21, 0, v21, s0
	v_cmp_gt_i32_e64 s0, s15, v70
	v_cndmask_b32_e64 v22, 0, v22, s0
	v_cmp_gt_i32_e64 s0, s15, v69
	s_delay_alu instid0(VALU_DEP_1) | instskip(SKIP_1) | instid1(VALU_DEP_1)
	v_cndmask_b32_e64 v23, 0, v23, s0
	v_cmp_gt_i32_e64 s0, s15, v63
	v_cndmask_b32_e64 v24, 0, v24, s0
	s_or_b32 exec_lo, exec_lo, s8
	global_load_b128 v[25:28], v[33:34], off offset:2560
	s_and_saveexec_b32 s8, vcc_lo
	s_cbranch_execz .LBB38_39
.LBB38_51:                              ;   in Loop: Header=BB38_33 Depth=1
	v_cmp_gt_i32_e64 s0, s15, v68
	s_waitcnt vmcnt(0)
	s_delay_alu instid0(VALU_DEP_1) | instskip(SKIP_1) | instid1(VALU_DEP_1)
	v_cndmask_b32_e64 v25, 0, v25, s0
	v_cmp_gt_i32_e64 s0, s15, v70
	v_cndmask_b32_e64 v26, 0, v26, s0
	v_cmp_gt_i32_e64 s0, s15, v69
	s_delay_alu instid0(VALU_DEP_1) | instskip(SKIP_1) | instid1(VALU_DEP_1)
	v_cndmask_b32_e64 v27, 0, v27, s0
	v_cmp_gt_i32_e64 s0, s15, v63
	v_cndmask_b32_e64 v28, 0, v28, s0
	s_or_b32 exec_lo, exec_lo, s8
	global_load_b128 v[29:32], v[33:34], off offset:3072
	s_and_saveexec_b32 s8, vcc_lo
	s_cbranch_execz .LBB38_40
.LBB38_52:                              ;   in Loop: Header=BB38_33 Depth=1
	v_cmp_gt_i32_e64 s0, s15, v68
	s_waitcnt vmcnt(0)
	s_delay_alu instid0(VALU_DEP_1) | instskip(SKIP_1) | instid1(VALU_DEP_1)
	v_cndmask_b32_e64 v29, 0, v29, s0
	v_cmp_gt_i32_e64 s0, s15, v70
	v_cndmask_b32_e64 v30, 0, v30, s0
	v_cmp_gt_i32_e64 s0, s15, v69
	s_delay_alu instid0(VALU_DEP_1) | instskip(SKIP_1) | instid1(VALU_DEP_1)
	v_cndmask_b32_e64 v31, 0, v31, s0
	v_cmp_gt_i32_e64 s0, s15, v63
	v_cndmask_b32_e64 v32, 0, v32, s0
	s_or_b32 exec_lo, exec_lo, s8
	global_load_b128 v[33:36], v[33:34], off offset:3584
	s_and_saveexec_b32 s8, vcc_lo
	s_cbranch_execnz .LBB38_41
	s_branch .LBB38_42
.LBB38_53:
	s_or_b32 exec_lo, exec_lo, s5
.LBB38_54:
	s_delay_alu instid0(SALU_CYCLE_1)
	s_or_b32 exec_lo, exec_lo, s1
	ds_bpermute_b32 v1, v50, v60
	ds_bpermute_b32 v2, v50, v62
	;; [unrolled: 1-line block ×10, first 2 shown]
	v_lshrrev_b32_e32 v11, 2, v49
	s_movk_i32 s0, 0x140
	s_waitcnt lgkmcnt(0)
	s_waitcnt_vscnt null, 0x0
	v_mad_u32_u24 v12, v48, s0, 0x160
	s_mov_b32 s0, exec_lo
	s_barrier
	buffer_gl0_inv
	v_dual_add_f32 v1, v60, v1 :: v_dual_add_f32 v2, v62, v2
	v_dual_add_f32 v3, v61, v3 :: v_dual_add_f32 v4, v59, v4
	;; [unrolled: 1-line block ×5, first 2 shown]
	ds_bpermute_b32 v13, v51, v1
	ds_bpermute_b32 v14, v51, v2
	;; [unrolled: 1-line block ×10, first 2 shown]
	v_and_b32_e32 v23, 0x3c3, v0
	s_waitcnt lgkmcnt(8)
	v_dual_add_f32 v1, v1, v13 :: v_dual_add_f32 v2, v2, v14
	s_waitcnt lgkmcnt(6)
	v_dual_add_f32 v3, v3, v15 :: v_dual_add_f32 v4, v4, v16
	;; [unrolled: 2-line block ×5, first 2 shown]
	v_lshlrev_b32_e32 v13, 2, v11
	v_cmpx_eq_u32_e32 64, v23
	s_cbranch_execz .LBB38_56
; %bb.55:
	s_delay_alu instid0(VALU_DEP_2)
	v_add3_u32 v14, v12, v13, 0xfffffd80
	ds_store_2addr_b32 v14, v1, v2 offset1:8
	ds_store_2addr_b32 v14, v3, v4 offset0:16 offset1:24
	ds_store_2addr_b32 v14, v5, v6 offset0:32 offset1:40
	;; [unrolled: 1-line block ×4, first 2 shown]
.LBB38_56:
	s_or_b32 exec_lo, exec_lo, s0
	v_cmp_eq_u32_e32 vcc_lo, 0, v52
	s_mov_b32 s1, exec_lo
	s_waitcnt lgkmcnt(0)
	s_barrier
	buffer_gl0_inv
	v_cmpx_gt_u32_e32 64, v0
	s_cbranch_execz .LBB38_69
; %bb.57:
	s_and_saveexec_b32 s0, vcc_lo
	s_cbranch_execnz .LBB38_87
; %bb.58:
	s_or_b32 exec_lo, exec_lo, s0
	s_and_saveexec_b32 s0, vcc_lo
	s_cbranch_execnz .LBB38_88
.LBB38_59:
	s_or_b32 exec_lo, exec_lo, s0
	s_and_saveexec_b32 s0, vcc_lo
	s_cbranch_execnz .LBB38_89
.LBB38_60:
	s_or_b32 exec_lo, exec_lo, s0
	s_and_saveexec_b32 s0, vcc_lo
	s_cbranch_execnz .LBB38_90
.LBB38_61:
	s_or_b32 exec_lo, exec_lo, s0
	s_and_saveexec_b32 s0, vcc_lo
	s_cbranch_execnz .LBB38_91
.LBB38_62:
	s_or_b32 exec_lo, exec_lo, s0
	s_and_saveexec_b32 s0, vcc_lo
	s_cbranch_execnz .LBB38_92
.LBB38_63:
	s_or_b32 exec_lo, exec_lo, s0
	s_and_saveexec_b32 s0, vcc_lo
	s_cbranch_execnz .LBB38_93
.LBB38_64:
	s_or_b32 exec_lo, exec_lo, s0
	s_and_saveexec_b32 s0, vcc_lo
	s_cbranch_execnz .LBB38_94
.LBB38_65:
	s_or_b32 exec_lo, exec_lo, s0
	s_and_saveexec_b32 s0, vcc_lo
	s_cbranch_execnz .LBB38_95
.LBB38_66:
	s_or_b32 exec_lo, exec_lo, s0
	s_and_saveexec_b32 s0, vcc_lo
	s_cbranch_execz .LBB38_68
.LBB38_67:
	v_lshl_add_u32 v14, v11, 2, v12
	ds_load_b32 v14, v14 offset:288
	s_waitcnt lgkmcnt(0)
	v_add_f32_e32 v10, v10, v14
.LBB38_68:
	s_or_b32 exec_lo, exec_lo, s0
.LBB38_69:
	s_delay_alu instid0(SALU_CYCLE_1)
	s_or_b32 exec_lo, exec_lo, s1
	v_and_b32_e32 v14, 0x3e3, v0
	s_mov_b32 s1, exec_lo
	s_barrier
	buffer_gl0_inv
	v_cmpx_eq_u32_e32 32, v14
	s_cbranch_execz .LBB38_71
; %bb.70:
	v_add3_u32 v13, v12, v13, 0xfffffec0
	ds_store_2addr_b32 v13, v1, v2 offset1:8
	ds_store_2addr_b32 v13, v3, v4 offset0:16 offset1:24
	ds_store_2addr_b32 v13, v5, v6 offset0:32 offset1:40
	;; [unrolled: 1-line block ×4, first 2 shown]
.LBB38_71:
	s_or_b32 exec_lo, exec_lo, s1
	s_delay_alu instid0(SALU_CYCLE_1)
	s_mov_b32 s1, exec_lo
	s_waitcnt lgkmcnt(0)
	s_barrier
	buffer_gl0_inv
	v_cmpx_gt_u32_e32 32, v0
	s_cbranch_execz .LBB38_84
; %bb.72:
	v_lshl_add_u32 v11, v11, 2, v12
	s_and_saveexec_b32 s0, vcc_lo
	s_cbranch_execnz .LBB38_96
; %bb.73:
	s_or_b32 exec_lo, exec_lo, s0
	s_and_saveexec_b32 s0, vcc_lo
	s_cbranch_execnz .LBB38_97
.LBB38_74:
	s_or_b32 exec_lo, exec_lo, s0
	s_and_saveexec_b32 s0, vcc_lo
	s_cbranch_execnz .LBB38_98
.LBB38_75:
	s_or_b32 exec_lo, exec_lo, s0
	s_and_saveexec_b32 s0, vcc_lo
	s_cbranch_execnz .LBB38_99
.LBB38_76:
	s_or_b32 exec_lo, exec_lo, s0
	s_and_saveexec_b32 s0, vcc_lo
	s_cbranch_execnz .LBB38_100
.LBB38_77:
	s_or_b32 exec_lo, exec_lo, s0
	s_and_saveexec_b32 s0, vcc_lo
	s_cbranch_execnz .LBB38_101
.LBB38_78:
	s_or_b32 exec_lo, exec_lo, s0
	s_and_saveexec_b32 s0, vcc_lo
	s_cbranch_execnz .LBB38_102
.LBB38_79:
	s_or_b32 exec_lo, exec_lo, s0
	s_and_saveexec_b32 s0, vcc_lo
	s_cbranch_execnz .LBB38_103
.LBB38_80:
	s_or_b32 exec_lo, exec_lo, s0
	s_and_saveexec_b32 s0, vcc_lo
	s_cbranch_execnz .LBB38_104
.LBB38_81:
	s_or_b32 exec_lo, exec_lo, s0
	s_and_saveexec_b32 s0, vcc_lo
	s_cbranch_execz .LBB38_83
.LBB38_82:
	ds_load_b32 v11, v11 offset:288
	s_waitcnt lgkmcnt(0)
	v_add_f32_e32 v10, v10, v11
.LBB38_83:
	s_or_b32 exec_lo, exec_lo, s0
.LBB38_84:
	s_delay_alu instid0(SALU_CYCLE_1)
	s_or_b32 exec_lo, exec_lo, s1
	s_barrier
	buffer_gl0_inv
	s_mov_b32 s0, exec_lo
	v_cmpx_eq_u32_e32 0, v14
	s_cbranch_execz .LBB38_86
; %bb.85:
	s_mul_i32 s0, s6, 0x50
	s_mul_i32 s2, s4, s16
	s_ashr_i32 s1, s0, 31
	s_delay_alu instid0(SALU_CYCLE_1) | instskip(NEXT) | instid1(SALU_CYCLE_1)
	s_lshl_b64 s[0:1], s[0:1], 2
	s_add_u32 s4, s18, s0
	s_addc_u32 s5, s19, s1
	s_ashr_i32 s3, s2, 31
	s_delay_alu instid0(SALU_CYCLE_1) | instskip(SKIP_4) | instid1(SALU_CYCLE_1)
	s_lshl_b64 s[0:1], s[2:3], 2
	s_mul_i32 s2, s12, 0x50
	s_add_u32 s4, s4, s0
	s_addc_u32 s5, s5, s1
	s_ashr_i32 s3, s2, 31
	s_lshl_b64 s[0:1], s[2:3], 2
	s_delay_alu instid0(SALU_CYCLE_1)
	s_add_u32 s0, s4, s0
	s_addc_u32 s1, s5, s1
	s_clause 0x9
	global_store_b32 v0, v1, s[0:1]
	global_store_b32 v0, v2, s[0:1] offset:32
	global_store_b32 v0, v3, s[0:1] offset:64
	;; [unrolled: 1-line block ×9, first 2 shown]
.LBB38_86:
	s_nop 0
	s_sendmsg sendmsg(MSG_DEALLOC_VGPRS)
	s_endpgm
.LBB38_87:
	v_lshl_add_u32 v14, v11, 2, v12
	ds_load_b32 v14, v14
	s_waitcnt lgkmcnt(0)
	v_add_f32_e32 v1, v1, v14
	s_or_b32 exec_lo, exec_lo, s0
	s_and_saveexec_b32 s0, vcc_lo
	s_cbranch_execz .LBB38_59
.LBB38_88:
	v_lshl_add_u32 v14, v11, 2, v12
	ds_load_b32 v14, v14 offset:32
	s_waitcnt lgkmcnt(0)
	v_add_f32_e32 v2, v2, v14
	s_or_b32 exec_lo, exec_lo, s0
	s_and_saveexec_b32 s0, vcc_lo
	s_cbranch_execz .LBB38_60
.LBB38_89:
	v_lshl_add_u32 v14, v11, 2, v12
	ds_load_b32 v14, v14 offset:64
	s_waitcnt lgkmcnt(0)
	v_add_f32_e32 v3, v3, v14
	s_or_b32 exec_lo, exec_lo, s0
	s_and_saveexec_b32 s0, vcc_lo
	s_cbranch_execz .LBB38_61
.LBB38_90:
	v_lshl_add_u32 v14, v11, 2, v12
	ds_load_b32 v14, v14 offset:96
	s_waitcnt lgkmcnt(0)
	v_add_f32_e32 v4, v4, v14
	s_or_b32 exec_lo, exec_lo, s0
	s_and_saveexec_b32 s0, vcc_lo
	s_cbranch_execz .LBB38_62
.LBB38_91:
	v_lshl_add_u32 v14, v11, 2, v12
	ds_load_b32 v14, v14 offset:128
	s_waitcnt lgkmcnt(0)
	v_add_f32_e32 v5, v5, v14
	s_or_b32 exec_lo, exec_lo, s0
	s_and_saveexec_b32 s0, vcc_lo
	s_cbranch_execz .LBB38_63
.LBB38_92:
	v_lshl_add_u32 v14, v11, 2, v12
	ds_load_b32 v14, v14 offset:160
	s_waitcnt lgkmcnt(0)
	v_add_f32_e32 v6, v6, v14
	s_or_b32 exec_lo, exec_lo, s0
	s_and_saveexec_b32 s0, vcc_lo
	s_cbranch_execz .LBB38_64
.LBB38_93:
	v_lshl_add_u32 v14, v11, 2, v12
	ds_load_b32 v14, v14 offset:192
	s_waitcnt lgkmcnt(0)
	v_add_f32_e32 v7, v7, v14
	s_or_b32 exec_lo, exec_lo, s0
	s_and_saveexec_b32 s0, vcc_lo
	s_cbranch_execz .LBB38_65
.LBB38_94:
	v_lshl_add_u32 v14, v11, 2, v12
	ds_load_b32 v14, v14 offset:224
	s_waitcnt lgkmcnt(0)
	v_add_f32_e32 v8, v8, v14
	s_or_b32 exec_lo, exec_lo, s0
	s_and_saveexec_b32 s0, vcc_lo
	s_cbranch_execz .LBB38_66
.LBB38_95:
	v_lshl_add_u32 v14, v11, 2, v12
	ds_load_b32 v14, v14 offset:256
	s_waitcnt lgkmcnt(0)
	v_add_f32_e32 v9, v9, v14
	s_or_b32 exec_lo, exec_lo, s0
	s_and_saveexec_b32 s0, vcc_lo
	s_cbranch_execnz .LBB38_67
	s_branch .LBB38_68
.LBB38_96:
	ds_load_b32 v12, v11
	s_waitcnt lgkmcnt(0)
	v_add_f32_e32 v1, v1, v12
	s_or_b32 exec_lo, exec_lo, s0
	s_and_saveexec_b32 s0, vcc_lo
	s_cbranch_execz .LBB38_74
.LBB38_97:
	ds_load_b32 v12, v11 offset:32
	s_waitcnt lgkmcnt(0)
	v_add_f32_e32 v2, v2, v12
	s_or_b32 exec_lo, exec_lo, s0
	s_and_saveexec_b32 s0, vcc_lo
	s_cbranch_execz .LBB38_75
.LBB38_98:
	ds_load_b32 v12, v11 offset:64
	s_waitcnt lgkmcnt(0)
	v_add_f32_e32 v3, v3, v12
	s_or_b32 exec_lo, exec_lo, s0
	s_and_saveexec_b32 s0, vcc_lo
	s_cbranch_execz .LBB38_76
.LBB38_99:
	ds_load_b32 v12, v11 offset:96
	s_waitcnt lgkmcnt(0)
	v_add_f32_e32 v4, v4, v12
	s_or_b32 exec_lo, exec_lo, s0
	s_and_saveexec_b32 s0, vcc_lo
	s_cbranch_execz .LBB38_77
.LBB38_100:
	ds_load_b32 v12, v11 offset:128
	s_waitcnt lgkmcnt(0)
	v_add_f32_e32 v5, v5, v12
	s_or_b32 exec_lo, exec_lo, s0
	s_and_saveexec_b32 s0, vcc_lo
	s_cbranch_execz .LBB38_78
.LBB38_101:
	ds_load_b32 v12, v11 offset:160
	s_waitcnt lgkmcnt(0)
	v_add_f32_e32 v6, v6, v12
	s_or_b32 exec_lo, exec_lo, s0
	s_and_saveexec_b32 s0, vcc_lo
	s_cbranch_execz .LBB38_79
.LBB38_102:
	ds_load_b32 v12, v11 offset:192
	s_waitcnt lgkmcnt(0)
	v_add_f32_e32 v7, v7, v12
	s_or_b32 exec_lo, exec_lo, s0
	s_and_saveexec_b32 s0, vcc_lo
	s_cbranch_execz .LBB38_80
.LBB38_103:
	ds_load_b32 v12, v11 offset:224
	s_waitcnt lgkmcnt(0)
	v_add_f32_e32 v8, v8, v12
	s_or_b32 exec_lo, exec_lo, s0
	s_and_saveexec_b32 s0, vcc_lo
	s_cbranch_execz .LBB38_81
.LBB38_104:
	ds_load_b32 v12, v11 offset:256
	s_waitcnt lgkmcnt(0)
	v_add_f32_e32 v9, v9, v12
	s_or_b32 exec_lo, exec_lo, s0
	s_and_saveexec_b32 s0, vcc_lo
	s_cbranch_execnz .LBB38_82
	s_branch .LBB38_83
	.section	.rodata,"a",@progbits
	.p2align	6, 0x0
	.amdhsa_kernel _ZN4vllm25paged_attention_v2_kernelIffLi80ELi16ELi128ELNS_18Fp8KVCacheDataTypeE0ELb0ELi512EEEvPfS2_PT_PKS3_PKT0_S9_ifPKiSB_iPKfiiiSD_SD_iiiii
		.amdhsa_group_segment_fixed_size 352
		.amdhsa_private_segment_fixed_size 0
		.amdhsa_kernarg_size 400
		.amdhsa_user_sgpr_count 13
		.amdhsa_user_sgpr_dispatch_ptr 0
		.amdhsa_user_sgpr_queue_ptr 0
		.amdhsa_user_sgpr_kernarg_segment_ptr 1
		.amdhsa_user_sgpr_dispatch_id 0
		.amdhsa_user_sgpr_private_segment_size 0
		.amdhsa_wavefront_size32 1
		.amdhsa_uses_dynamic_stack 0
		.amdhsa_enable_private_segment 0
		.amdhsa_system_sgpr_workgroup_id_x 1
		.amdhsa_system_sgpr_workgroup_id_y 1
		.amdhsa_system_sgpr_workgroup_id_z 1
		.amdhsa_system_sgpr_workgroup_info 0
		.amdhsa_system_vgpr_workitem_id 0
		.amdhsa_next_free_vgpr 96
		.amdhsa_next_free_sgpr 38
		.amdhsa_reserve_vcc 1
		.amdhsa_float_round_mode_32 0
		.amdhsa_float_round_mode_16_64 0
		.amdhsa_float_denorm_mode_32 3
		.amdhsa_float_denorm_mode_16_64 3
		.amdhsa_dx10_clamp 1
		.amdhsa_ieee_mode 1
		.amdhsa_fp16_overflow 0
		.amdhsa_workgroup_processor_mode 1
		.amdhsa_memory_ordered 1
		.amdhsa_forward_progress 0
		.amdhsa_shared_vgpr_count 0
		.amdhsa_exception_fp_ieee_invalid_op 0
		.amdhsa_exception_fp_denorm_src 0
		.amdhsa_exception_fp_ieee_div_zero 0
		.amdhsa_exception_fp_ieee_overflow 0
		.amdhsa_exception_fp_ieee_underflow 0
		.amdhsa_exception_fp_ieee_inexact 0
		.amdhsa_exception_int_div_zero 0
	.end_amdhsa_kernel
	.section	.text._ZN4vllm25paged_attention_v2_kernelIffLi80ELi16ELi128ELNS_18Fp8KVCacheDataTypeE0ELb0ELi512EEEvPfS2_PT_PKS3_PKT0_S9_ifPKiSB_iPKfiiiSD_SD_iiiii,"axG",@progbits,_ZN4vllm25paged_attention_v2_kernelIffLi80ELi16ELi128ELNS_18Fp8KVCacheDataTypeE0ELb0ELi512EEEvPfS2_PT_PKS3_PKT0_S9_ifPKiSB_iPKfiiiSD_SD_iiiii,comdat
.Lfunc_end38:
	.size	_ZN4vllm25paged_attention_v2_kernelIffLi80ELi16ELi128ELNS_18Fp8KVCacheDataTypeE0ELb0ELi512EEEvPfS2_PT_PKS3_PKT0_S9_ifPKiSB_iPKfiiiSD_SD_iiiii, .Lfunc_end38-_ZN4vllm25paged_attention_v2_kernelIffLi80ELi16ELi128ELNS_18Fp8KVCacheDataTypeE0ELb0ELi512EEEvPfS2_PT_PKS3_PKT0_S9_ifPKiSB_iPKfiiiSD_SD_iiiii
                                        ; -- End function
	.section	.AMDGPU.csdata,"",@progbits
; Kernel info:
; codeLenInByte = 6152
; NumSgprs: 40
; NumVgprs: 96
; ScratchSize: 0
; MemoryBound: 0
; FloatMode: 240
; IeeeMode: 1
; LDSByteSize: 352 bytes/workgroup (compile time only)
; SGPRBlocks: 4
; VGPRBlocks: 11
; NumSGPRsForWavesPerEU: 40
; NumVGPRsForWavesPerEU: 96
; Occupancy: 16
; WaveLimiterHint : 1
; COMPUTE_PGM_RSRC2:SCRATCH_EN: 0
; COMPUTE_PGM_RSRC2:USER_SGPR: 13
; COMPUTE_PGM_RSRC2:TRAP_HANDLER: 0
; COMPUTE_PGM_RSRC2:TGID_X_EN: 1
; COMPUTE_PGM_RSRC2:TGID_Y_EN: 1
; COMPUTE_PGM_RSRC2:TGID_Z_EN: 1
; COMPUTE_PGM_RSRC2:TIDIG_COMP_CNT: 0
	.section	.text._ZN4vllm25paged_attention_v2_kernelIffLi96ELi16ELi128ELNS_18Fp8KVCacheDataTypeE0ELb0ELi512EEEvPfS2_PT_PKS3_PKT0_S9_ifPKiSB_iPKfiiiSD_SD_iiiii,"axG",@progbits,_ZN4vllm25paged_attention_v2_kernelIffLi96ELi16ELi128ELNS_18Fp8KVCacheDataTypeE0ELb0ELi512EEEvPfS2_PT_PKS3_PKT0_S9_ifPKiSB_iPKfiiiSD_SD_iiiii,comdat
	.protected	_ZN4vllm25paged_attention_v2_kernelIffLi96ELi16ELi128ELNS_18Fp8KVCacheDataTypeE0ELb0ELi512EEEvPfS2_PT_PKS3_PKT0_S9_ifPKiSB_iPKfiiiSD_SD_iiiii ; -- Begin function _ZN4vllm25paged_attention_v2_kernelIffLi96ELi16ELi128ELNS_18Fp8KVCacheDataTypeE0ELb0ELi512EEEvPfS2_PT_PKS3_PKT0_S9_ifPKiSB_iPKfiiiSD_SD_iiiii
	.globl	_ZN4vllm25paged_attention_v2_kernelIffLi96ELi16ELi128ELNS_18Fp8KVCacheDataTypeE0ELb0ELi512EEEvPfS2_PT_PKS3_PKT0_S9_ifPKiSB_iPKfiiiSD_SD_iiiii
	.p2align	8
	.type	_ZN4vllm25paged_attention_v2_kernelIffLi96ELi16ELi128ELNS_18Fp8KVCacheDataTypeE0ELb0ELi512EEEvPfS2_PT_PKS3_PKT0_S9_ifPKiSB_iPKfiiiSD_SD_iiiii,@function
_ZN4vllm25paged_attention_v2_kernelIffLi96ELi16ELi128ELNS_18Fp8KVCacheDataTypeE0ELb0ELi512EEEvPfS2_PT_PKS3_PKT0_S9_ifPKiSB_iPKfiiiSD_SD_iiiii: ; @_ZN4vllm25paged_attention_v2_kernelIffLi96ELi16ELi128ELNS_18Fp8KVCacheDataTypeE0ELb0ELi512EEEvPfS2_PT_PKS3_PKT0_S9_ifPKiSB_iPKfiiiSD_SD_iiiii
; %bb.0:
	s_load_b64 s[2:3], s[0:1], 0x40
	s_mov_b32 s12, s15
	s_ashr_i32 s15, s14, 31
	s_delay_alu instid0(SALU_CYCLE_1)
	s_lshl_b64 s[4:5], s[14:15], 2
	s_waitcnt lgkmcnt(0)
	s_add_u32 s2, s2, s4
	s_addc_u32 s3, s3, s5
	s_lshl_b32 s33, s12, 9
	s_load_b32 s15, s[2:3], 0x0
	s_waitcnt lgkmcnt(0)
	s_cmp_ge_i32 s33, s15
	s_cbranch_scc1 .LBB39_94
; %bb.1:
	s_mov_b32 s20, s13
	s_clause 0x1
	s_load_b32 s13, s[0:1], 0x90
	s_load_b64 s[30:31], s[0:1], 0x30
	s_waitcnt lgkmcnt(0)
	s_abs_i32 s5, s13
	s_abs_i32 s2, s30
	s_delay_alu instid0(SALU_CYCLE_1) | instskip(SKIP_1) | instid1(VALU_DEP_1)
	v_cvt_f32_u32_e32 v1, s2
	s_sub_i32 s4, 0, s2
	v_rcp_iflag_f32_e32 v1, v1
	s_waitcnt_depctr 0xfff
	v_mul_f32_e32 v1, 0x4f7ffffe, v1
	s_delay_alu instid0(VALU_DEP_1) | instskip(NEXT) | instid1(VALU_DEP_1)
	v_cvt_u32_f32_e32 v1, v1
	v_readfirstlane_b32 s3, v1
	s_delay_alu instid0(VALU_DEP_1) | instskip(NEXT) | instid1(SALU_CYCLE_1)
	s_mul_i32 s4, s4, s3
	s_mul_hi_u32 s4, s3, s4
	s_delay_alu instid0(SALU_CYCLE_1)
	s_add_i32 s3, s3, s4
	s_xor_b32 s4, s13, s30
	s_mul_hi_u32 s3, s5, s3
	s_ashr_i32 s4, s4, 31
	s_mul_i32 s6, s3, s2
	s_mov_b32 s30, 0
	s_sub_i32 s5, s5, s6
	s_add_i32 s6, s3, 1
	s_sub_i32 s7, s5, s2
	s_cmp_ge_u32 s5, s2
	s_cselect_b32 s3, s6, s3
	s_cselect_b32 s5, s7, s5
	s_add_i32 s6, s3, 1
	s_cmp_ge_u32 s5, s2
	s_cselect_b32 s2, s6, s3
	s_abs_i32 s10, s20
	s_xor_b32 s2, s2, s4
	s_delay_alu instid0(SALU_CYCLE_1) | instskip(SKIP_2) | instid1(SALU_CYCLE_1)
	s_sub_i32 s11, s2, s4
	s_load_b64 s[2:3], s[0:1], 0x50
	s_abs_i32 s8, s11
	v_cvt_f32_u32_e32 v1, s8
	s_sub_i32 s5, 0, s8
	s_delay_alu instid0(VALU_DEP_1) | instskip(SKIP_2) | instid1(VALU_DEP_1)
	v_rcp_iflag_f32_e32 v1, v1
	s_waitcnt_depctr 0xfff
	v_mul_f32_e32 v1, 0x4f7ffffe, v1
	v_cvt_u32_f32_e32 v1, v1
	s_delay_alu instid0(VALU_DEP_1) | instskip(NEXT) | instid1(VALU_DEP_1)
	v_readfirstlane_b32 s4, v1
	s_mul_i32 s5, s5, s4
	s_delay_alu instid0(SALU_CYCLE_1) | instskip(NEXT) | instid1(SALU_CYCLE_1)
	s_mul_hi_u32 s5, s4, s5
	s_add_i32 s4, s4, s5
	s_waitcnt lgkmcnt(0)
	s_cmp_eq_u64 s[2:3], 0
	s_mul_hi_u32 s9, s10, s4
	s_cbranch_scc1 .LBB39_3
; %bb.2:
	s_ashr_i32 s21, s20, 31
	s_delay_alu instid0(SALU_CYCLE_1) | instskip(NEXT) | instid1(SALU_CYCLE_1)
	s_lshl_b64 s[4:5], s[20:21], 2
	s_add_u32 s2, s2, s4
	s_addc_u32 s3, s3, s5
	s_load_b32 s30, s[2:3], 0x0
.LBB39_3:
	s_load_b128 s[4:7], s[0:1], 0x58
	v_and_b32_e32 v49, 1, v0
	v_lshlrev_b32_e32 v1, 3, v0
	v_lshlrev_b32_e32 v51, 2, v0
	s_ashr_i32 s2, s20, 31
	s_ashr_i32 s3, s11, 31
	s_mul_i32 s16, s20, 0x60
	s_waitcnt lgkmcnt(0)
	s_mov_b32 s7, exec_lo
	v_cmpx_gt_u32_e32 48, v0
	s_cbranch_execz .LBB39_5
; %bb.4:
	s_load_b64 s[18:19], s[0:1], 0x18
	s_mul_i32 s22, s14, s4
	v_and_b32_e32 v4, 0xff8, v51
	s_ashr_i32 s23, s22, 31
	s_delay_alu instid0(SALU_CYCLE_1) | instskip(NEXT) | instid1(VALU_DEP_1)
	s_lshl_b64 s[22:23], s[22:23], 2
	v_mad_u32_u24 v4, 0xc0, v49, v4
	s_waitcnt lgkmcnt(0)
	s_add_u32 s4, s18, s22
	s_addc_u32 s11, s19, s23
	s_ashr_i32 s17, s16, 31
	s_delay_alu instid0(SALU_CYCLE_1) | instskip(NEXT) | instid1(SALU_CYCLE_1)
	s_lshl_b64 s[18:19], s[16:17], 2
	s_add_u32 s18, s4, s18
	s_addc_u32 s19, s11, s19
	global_load_b64 v[2:3], v1, s[18:19]
	s_waitcnt vmcnt(0)
	ds_store_b64 v4, v[2:3]
.LBB39_5:
	s_or_b32 exec_lo, exec_lo, s7
	s_add_i32 s4, s15, 15
	s_lshl_b32 s7, s12, 5
	s_ashr_i32 s11, s4, 31
	s_xor_b32 s2, s2, s3
	s_lshr_b32 s11, s11, 28
	s_add_i32 s3, s7, 32
	s_add_i32 s4, s4, s11
	s_clause 0x1
	s_load_b64 s[22:23], s[0:1], 0x38
	s_load_b32 s11, s[0:1], 0x48
	s_ashr_i32 s21, s4, 4
	s_mul_i32 s4, s9, s8
	s_min_i32 s17, s3, s21
	s_sub_i32 s3, s10, s4
	s_add_i32 s4, s9, 1
	s_sub_i32 s10, s3, s8
	s_cmp_ge_u32 s3, s8
	v_lshrrev_b32_e32 v56, 5, v0
	s_cselect_b32 s4, s4, s9
	s_cselect_b32 s3, s10, s3
	s_add_i32 s9, s4, 1
	s_cmp_ge_u32 s3, s8
	v_or_b32_e32 v53, s7, v56
	s_cselect_b32 s3, s9, s4
	v_mbcnt_lo_u32_b32 v52, -1, 0
	s_xor_b32 s3, s3, s2
	s_mov_b32 s4, exec_lo
	s_sub_i32 s3, s3, s2
	v_cmp_gt_i32_e64 s2, s17, v53
	s_waitcnt lgkmcnt(0)
	s_mul_i32 s24, s14, s11
	s_delay_alu instid0(SALU_CYCLE_1)
	s_ashr_i32 s25, s24, 31
	s_barrier
	buffer_gl0_inv
                                        ; implicit-def: $sgpr28
                                        ; implicit-def: $vgpr55
	v_cmpx_le_i32_e64 s17, v53
	s_xor_b32 s4, exec_lo, s4
; %bb.6:
	v_mbcnt_lo_u32_b32 v52, -1, 0
	v_mov_b32_e32 v55, 32
	s_mov_b32 s28, 0xff7fffff
                                        ; implicit-def: $vgpr1
                                        ; implicit-def: $vgpr49
; %bb.7:
	s_or_saveexec_b32 s34, s4
	s_clause 0x3
	s_load_b128 s[8:11], s[0:1], 0x0
	s_load_b64 s[18:19], s[0:1], 0x10
	s_load_b64 s[26:27], s[0:1], 0x28
	s_load_b32 s4, s[0:1], 0x98
	v_mov_b32_e32 v57, s28
	v_ashrrev_i32_e32 v54, 31, v53
	s_mul_i32 s28, s3, s6
	s_xor_b32 exec_lo, exec_lo, s34
	s_cbranch_execz .LBB39_13
; %bb.8:
	s_load_b64 s[0:1], s[0:1], 0x20
	v_bfe_u32 v50, v0, 1, 4
	s_ashr_i32 s29, s28, 31
	v_xor_b32_e32 v34, 1, v52
	s_lshl_b64 s[36:37], s[28:29], 2
	v_mul_u32_u24_e32 v45, 0xc0, v49
	v_lshlrev_b32_e32 v35, 4, v50
	v_lshlrev_b32_e32 v61, 4, v56
	v_cmp_gt_i32_e32 vcc_lo, 32, v34
	v_and_b32_e32 v33, 8, v1
	ds_load_b128 v[1:4], v45
	ds_load_b128 v[5:8], v45 offset:16
	ds_load_b128 v[9:12], v45 offset:32
	ds_load_b128 v[13:16], v45 offset:48
	ds_load_b128 v[17:20], v45 offset:64
	ds_load_b128 v[21:24], v45 offset:80
	ds_load_b128 v[25:28], v45 offset:96
	ds_load_b128 v[29:32], v45 offset:112
	v_lshlrev_b32_e32 v57, 2, v50
	v_add3_u32 v61, s33, v61, v50
	v_dual_cndmask_b32 v60, v52, v34 :: v_dual_mov_b32 v55, 32
	v_mov_b32_e32 v63, v53
	s_delay_alu instid0(VALU_DEP_4) | instskip(SKIP_1) | instid1(VALU_DEP_3)
	v_lshl_or_b32 v57, v56, 6, v57
	s_mov_b32 s35, s5
	v_lshlrev_b32_e32 v60, 2, v60
	s_mov_b32 s29, 0
	s_waitcnt lgkmcnt(0)
	s_add_u32 s0, s0, s36
	s_addc_u32 s1, s1, s37
	v_add_co_u32 v35, s0, s0, v35
	s_delay_alu instid0(VALU_DEP_1) | instskip(SKIP_1) | instid1(VALU_DEP_2)
	v_add_co_ci_u32_e64 v36, null, s1, 0, s0
	s_lshl_b64 s[36:37], s[24:25], 2
	v_add_co_u32 v58, vcc_lo, v35, v33
	s_delay_alu instid0(VALU_DEP_2)
	v_add_co_ci_u32_e32 v59, vcc_lo, 0, v36, vcc_lo
	ds_load_b128 v[33:36], v45 offset:128
	ds_load_b128 v[37:40], v45 offset:144
	;; [unrolled: 1-line block ×4, first 2 shown]
	v_cmp_eq_u32_e32 vcc_lo, 0, v49
	v_lshlrev_b64 v[49:50], 2, v[53:54]
	s_sub_i32 s6, 1, s15
	s_add_u32 s1, s22, s36
	s_addc_u32 s3, s23, s37
	v_cmp_neq_f32_e64 s0, s30, 0
	v_add_nc_u32_e32 v62, 0x1a0, v57
	v_add_co_u32 v49, s1, s1, v49
	s_delay_alu instid0(VALU_DEP_1)
	v_add_co_ci_u32_e64 v50, s1, s3, v50, s1
	v_mov_b32_e32 v57, 0xff7fffff
	s_branch .LBB39_10
.LBB39_9:                               ;   in Loop: Header=BB39_10 Depth=1
	s_or_b32 exec_lo, exec_lo, s3
	v_add_nc_u32_e32 v63, 4, v63
	v_add_co_u32 v49, s3, v49, 16
	v_add_nc_u32_e32 v61, 64, v61
	v_add_nc_u32_e32 v62, 0x100, v62
	s_delay_alu instid0(VALU_DEP_4) | instskip(SKIP_1) | instid1(VALU_DEP_2)
	v_cmp_le_i32_e64 s1, s17, v63
	v_add_co_ci_u32_e64 v50, s3, 0, v50, s3
	s_or_b32 s29, s1, s29
	s_delay_alu instid0(SALU_CYCLE_1)
	s_and_not1_b32 exec_lo, exec_lo, s29
	s_cbranch_execz .LBB39_12
.LBB39_10:                              ; =>This Inner Loop Header: Depth=1
	global_load_b32 v66, v[49:50], off
	s_waitcnt vmcnt(0) lgkmcnt(0)
	v_mad_i64_i32 v[64:65], null, v66, s35, 0
	s_delay_alu instid0(VALU_DEP_1) | instskip(NEXT) | instid1(VALU_DEP_1)
	v_lshlrev_b64 v[64:65], 2, v[64:65]
	v_add_co_u32 v64, s1, v58, v64
	s_delay_alu instid0(VALU_DEP_1)
	v_add_co_ci_u32_e64 v65, s1, v59, v65, s1
	s_clause 0xe
	global_load_b64 v[66:67], v[64:65], off offset:256
	global_load_b64 v[68:69], v[64:65], off offset:512
	;; [unrolled: 1-line block ×3, first 2 shown]
	global_load_b64 v[72:73], v[64:65], off
	global_load_b64 v[74:75], v[64:65], off offset:1024
	global_load_b64 v[76:77], v[64:65], off offset:1280
	;; [unrolled: 1-line block ×11, first 2 shown]
	v_add_co_u32 v96, s1, 0x1000, v64
	s_delay_alu instid0(VALU_DEP_1)
	v_add_co_ci_u32_e64 v97, s1, 0, v65, s1
	s_clause 0x8
	global_load_b64 v[64:65], v[64:65], off offset:3840
	global_load_b64 v[98:99], v[96:97], off
	global_load_b64 v[100:101], v[96:97], off offset:256
	global_load_b64 v[102:103], v[96:97], off offset:512
	;; [unrolled: 1-line block ×7, first 2 shown]
	s_waitcnt vmcnt(23)
	v_dual_mul_f32 v66, v3, v66 :: v_dual_mul_f32 v67, v4, v67
	s_waitcnt vmcnt(20)
	s_delay_alu instid0(VALU_DEP_1) | instskip(NEXT) | instid1(VALU_DEP_1)
	v_dual_fmac_f32 v66, v1, v72 :: v_dual_fmac_f32 v67, v2, v73
	v_dual_fmac_f32 v66, v5, v68 :: v_dual_fmac_f32 v67, v6, v69
	s_delay_alu instid0(VALU_DEP_1) | instskip(SKIP_1) | instid1(VALU_DEP_1)
	v_dual_fmac_f32 v66, v7, v70 :: v_dual_fmac_f32 v67, v8, v71
	s_waitcnt vmcnt(19)
	v_dual_fmac_f32 v66, v9, v74 :: v_dual_fmac_f32 v67, v10, v75
	s_waitcnt vmcnt(18)
	s_delay_alu instid0(VALU_DEP_1) | instskip(SKIP_1) | instid1(VALU_DEP_1)
	v_dual_fmac_f32 v66, v11, v76 :: v_dual_fmac_f32 v67, v12, v77
	s_waitcnt vmcnt(17)
	v_dual_fmac_f32 v66, v13, v78 :: v_dual_fmac_f32 v67, v14, v79
	s_waitcnt vmcnt(16)
	;; [unrolled: 5-line block ×6, first 2 shown]
	s_delay_alu instid0(VALU_DEP_1) | instskip(SKIP_1) | instid1(VALU_DEP_1)
	v_dual_fmac_f32 v66, v31, v64 :: v_dual_fmac_f32 v67, v32, v65
	s_waitcnt vmcnt(7) lgkmcnt(3)
	v_dual_fmac_f32 v66, v33, v98 :: v_dual_fmac_f32 v67, v34, v99
	s_waitcnt vmcnt(6)
	s_delay_alu instid0(VALU_DEP_1) | instskip(SKIP_1) | instid1(VALU_DEP_1)
	v_dual_fmac_f32 v66, v35, v100 :: v_dual_fmac_f32 v67, v36, v101
	s_waitcnt vmcnt(5) lgkmcnt(2)
	v_dual_fmac_f32 v66, v37, v102 :: v_dual_fmac_f32 v67, v38, v103
	s_waitcnt vmcnt(4)
	s_delay_alu instid0(VALU_DEP_1) | instskip(SKIP_1) | instid1(VALU_DEP_1)
	v_dual_fmac_f32 v66, v39, v104 :: v_dual_fmac_f32 v67, v40, v105
	s_waitcnt vmcnt(3) lgkmcnt(1)
	v_dual_fmac_f32 v66, v41, v106 :: v_dual_fmac_f32 v67, v42, v107
	s_waitcnt vmcnt(2)
	s_delay_alu instid0(VALU_DEP_1) | instskip(SKIP_1) | instid1(VALU_DEP_1)
	v_dual_fmac_f32 v66, v43, v108 :: v_dual_fmac_f32 v67, v44, v109
	s_waitcnt vmcnt(1) lgkmcnt(0)
	v_dual_fmac_f32 v66, v45, v110 :: v_dual_fmac_f32 v67, v46, v111
	s_waitcnt vmcnt(0)
	s_delay_alu instid0(VALU_DEP_1) | instskip(NEXT) | instid1(VALU_DEP_1)
	v_dual_fmac_f32 v66, v47, v96 :: v_dual_fmac_f32 v67, v48, v97
	v_add_f32_e32 v64, v66, v67
	ds_bpermute_b32 v65, v60, v64
	s_and_saveexec_b32 s3, vcc_lo
	s_cbranch_execz .LBB39_9
; %bb.11:                               ;   in Loop: Header=BB39_10 Depth=1
	s_waitcnt lgkmcnt(0)
	v_add_f32_e32 v64, v64, v65
	v_add_nc_u32_e32 v66, s6, v61
	v_cmp_gt_i32_e64 s1, s15, v61
	s_delay_alu instid0(VALU_DEP_2) | instskip(NEXT) | instid1(VALU_DEP_1)
	v_cvt_f32_i32_e32 v66, v66
	v_mul_f32_e32 v66, s30, v66
	s_delay_alu instid0(VALU_DEP_1) | instskip(NEXT) | instid1(VALU_DEP_1)
	v_cndmask_b32_e64 v65, 0, v66, s0
	v_dual_max_f32 v66, v57, v57 :: v_dual_fmac_f32 v65, s31, v64
	s_delay_alu instid0(VALU_DEP_1) | instskip(SKIP_1) | instid1(VALU_DEP_2)
	v_max_f32_e32 v64, v66, v65
	v_cndmask_b32_e64 v65, 0, v65, s1
	v_cndmask_b32_e64 v57, v57, v64, s1
	ds_store_b32 v62, v65
	s_branch .LBB39_9
.LBB39_12:
	s_or_b32 exec_lo, exec_lo, s29
.LBB39_13:
	s_delay_alu instid0(SALU_CYCLE_1) | instskip(SKIP_4) | instid1(VALU_DEP_4)
	s_or_b32 exec_lo, exec_lo, s34
	v_xor_b32_e32 v1, 16, v52
	v_xor_b32_e32 v3, 8, v52
	v_xor_b32_e32 v5, 4, v52
	v_xor_b32_e32 v6, 2, v52
	v_cmp_lt_i32_e32 vcc_lo, v1, v55
	v_cndmask_b32_e32 v1, v52, v1, vcc_lo
	v_cmp_lt_i32_e32 vcc_lo, v3, v55
	v_dual_max_f32 v4, v57, v57 :: v_dual_cndmask_b32 v3, v52, v3
	v_cmp_lt_i32_e32 vcc_lo, v5, v55
	s_delay_alu instid0(VALU_DEP_2) | instskip(SKIP_2) | instid1(VALU_DEP_2)
	v_lshlrev_b32_e32 v3, 2, v3
	v_cndmask_b32_e32 v5, v52, v5, vcc_lo
	v_cmp_lt_i32_e32 vcc_lo, v6, v55
	v_dual_cndmask_b32 v6, v52, v6 :: v_dual_lshlrev_b32 v5, 2, v5
	s_delay_alu instid0(VALU_DEP_1) | instskip(SKIP_4) | instid1(VALU_DEP_1)
	v_lshlrev_b32_e32 v58, 2, v6
	v_lshlrev_b32_e32 v2, 2, v1
	v_lshlrev_b32_e32 v6, 2, v56
	ds_bpermute_b32 v1, v2, v57
	v_and_b32_e32 v57, 31, v0
	v_cmp_eq_u32_e32 vcc_lo, 0, v57
	s_waitcnt lgkmcnt(0)
	v_max_f32_e32 v1, v1, v1
	s_delay_alu instid0(VALU_DEP_1) | instskip(SKIP_3) | instid1(VALU_DEP_1)
	v_max_f32_e32 v1, v4, v1
	ds_bpermute_b32 v4, v3, v1
	s_waitcnt lgkmcnt(0)
	v_max_f32_e32 v4, v4, v4
	v_max_f32_e32 v1, v1, v4
	ds_bpermute_b32 v4, v5, v1
	s_waitcnt lgkmcnt(0)
	v_max_f32_e32 v4, v4, v4
	s_delay_alu instid0(VALU_DEP_1)
	v_max_f32_e32 v1, v1, v4
	ds_bpermute_b32 v4, v58, v1
	s_and_saveexec_b32 s0, vcc_lo
	s_cbranch_execz .LBB39_15
; %bb.14:
	s_waitcnt lgkmcnt(0)
	v_dual_max_f32 v4, v4, v4 :: v_dual_max_f32 v1, v1, v1
	s_delay_alu instid0(VALU_DEP_1)
	v_max_f32_e32 v1, v1, v4
	ds_store_b32 v6, v1 offset:384
.LBB39_15:
	s_or_b32 exec_lo, exec_lo, s0
	v_cmp_gt_u32_e64 s0, 4, v57
	v_mov_b32_e32 v1, 0xff7fffff
	v_lshlrev_b32_e32 v7, 2, v57
	s_waitcnt lgkmcnt(0)
	s_barrier
	buffer_gl0_inv
	s_and_saveexec_b32 s1, s0
	s_cbranch_execz .LBB39_17
; %bb.16:
	ds_load_b32 v1, v7 offset:384
.LBB39_17:
	s_or_b32 exec_lo, exec_lo, s1
	s_waitcnt lgkmcnt(0)
	ds_bpermute_b32 v4, v58, v1
	v_xor_b32_e32 v8, 1, v52
	v_max_f32_e32 v1, v1, v1
	v_mov_b32_e32 v9, 0
	s_delay_alu instid0(VALU_DEP_3) | instskip(NEXT) | instid1(VALU_DEP_1)
	v_cmp_lt_i32_e64 s1, v8, v55
	v_cndmask_b32_e64 v8, v52, v8, s1
	s_sub_i32 s1, s17, s7
	s_delay_alu instid0(SALU_CYCLE_1) | instskip(NEXT) | instid1(VALU_DEP_1)
	s_lshl_b32 s1, s1, 4
	v_lshlrev_b32_e32 v59, 2, v8
	v_lshlrev_b32_e32 v8, 2, v52
	s_add_i32 s1, s1, s33
	s_waitcnt lgkmcnt(0)
	v_max_f32_e32 v4, v4, v4
	s_min_i32 s1, s1, s15
	v_and_b32_e32 v8, 0xffffff80, v8
	s_sub_i32 s6, s1, s33
	s_delay_alu instid0(VALU_DEP_2) | instskip(SKIP_4) | instid1(VALU_DEP_1)
	v_max_f32_e32 v1, v1, v4
	v_cmp_gt_i32_e64 s1, s6, v0
	ds_bpermute_b32 v4, v59, v1
	s_waitcnt lgkmcnt(0)
	v_max_f32_e32 v4, v4, v4
	v_max_f32_e32 v1, v1, v4
	v_lshl_add_u32 v4, v0, 2, 0x1a0
	ds_bpermute_b32 v1, v8, v1
	s_and_saveexec_b32 s7, s1
	s_cbranch_execz .LBB39_21
; %bb.18:
	v_lshl_add_u32 v10, v0, 2, 0x1a0
	v_mov_b32_e32 v9, 0
	v_mov_b32_e32 v11, v0
	s_mov_b32 s29, 0
	.p2align	6
.LBB39_19:                              ; =>This Inner Loop Header: Depth=1
	ds_load_b32 v12, v10
	v_add_nc_u32_e32 v11, 0x80, v11
	s_delay_alu instid0(VALU_DEP_1) | instskip(NEXT) | instid1(VALU_DEP_1)
	v_cmp_le_i32_e64 s3, s6, v11
	s_or_b32 s29, s3, s29
	s_waitcnt lgkmcnt(0)
	v_sub_f32_e32 v12, v12, v1
	s_delay_alu instid0(VALU_DEP_1) | instskip(NEXT) | instid1(VALU_DEP_1)
	v_mul_f32_e32 v12, 0x3fb8aa3b, v12
	v_exp_f32_e32 v12, v12
	ds_store_b32 v10, v12
	v_dual_add_f32 v9, v9, v12 :: v_dual_add_nc_u32 v10, 0x200, v10
	s_and_not1_b32 exec_lo, exec_lo, s29
	s_cbranch_execnz .LBB39_19
; %bb.20:
	s_or_b32 exec_lo, exec_lo, s29
.LBB39_21:
	s_delay_alu instid0(SALU_CYCLE_1)
	s_or_b32 exec_lo, exec_lo, s7
	ds_bpermute_b32 v2, v2, v9
	s_waitcnt lgkmcnt(0)
	v_add_f32_e32 v2, v9, v2
	ds_bpermute_b32 v3, v3, v2
	s_waitcnt lgkmcnt(0)
	v_add_f32_e32 v2, v2, v3
	ds_bpermute_b32 v3, v5, v2
	s_waitcnt lgkmcnt(0)
	v_add_f32_e32 v2, v2, v3
	ds_bpermute_b32 v3, v58, v2
	s_waitcnt lgkmcnt(0)
	v_add_f32_e32 v2, v2, v3
	ds_bpermute_b32 v3, v59, v2
	s_waitcnt lgkmcnt(0)
	v_add_f32_e32 v2, v2, v3
	s_and_saveexec_b32 s3, vcc_lo
	s_cbranch_execz .LBB39_23
; %bb.22:
	ds_store_b32 v6, v2 offset:400
.LBB39_23:
	s_or_b32 exec_lo, exec_lo, s3
	s_waitcnt lgkmcnt(0)
	s_barrier
	buffer_gl0_inv
	s_and_saveexec_b32 s3, s0
	s_cbranch_execz .LBB39_25
; %bb.24:
	ds_load_b32 v2, v7 offset:400
.LBB39_25:
	s_or_b32 exec_lo, exec_lo, s3
	s_waitcnt lgkmcnt(0)
	ds_bpermute_b32 v3, v58, v2
	s_waitcnt lgkmcnt(0)
	v_add_f32_e32 v2, v2, v3
	ds_bpermute_b32 v3, v59, v2
	s_waitcnt lgkmcnt(0)
	v_add_f32_e32 v2, v2, v3
	ds_bpermute_b32 v2, v8, v2
	s_and_saveexec_b32 s0, s1
	s_cbranch_execz .LBB39_28
; %bb.26:
	s_waitcnt lgkmcnt(0)
	v_add_f32_e32 v3, 0x358637bd, v2
	s_mov_b32 s1, 0
	s_delay_alu instid0(VALU_DEP_1) | instskip(SKIP_1) | instid1(VALU_DEP_2)
	v_div_scale_f32 v5, null, v3, v3, 1.0
	v_div_scale_f32 v8, vcc_lo, 1.0, v3, 1.0
	v_rcp_f32_e32 v6, v5
	s_waitcnt_depctr 0xfff
	v_fma_f32 v7, -v5, v6, 1.0
	s_delay_alu instid0(VALU_DEP_1) | instskip(NEXT) | instid1(VALU_DEP_1)
	v_fmac_f32_e32 v6, v7, v6
	v_mul_f32_e32 v7, v8, v6
	s_delay_alu instid0(VALU_DEP_1) | instskip(NEXT) | instid1(VALU_DEP_1)
	v_fma_f32 v9, -v5, v7, v8
	v_fmac_f32_e32 v7, v9, v6
	s_delay_alu instid0(VALU_DEP_1) | instskip(NEXT) | instid1(VALU_DEP_1)
	v_fma_f32 v5, -v5, v7, v8
	v_div_fmas_f32 v5, v5, v6, v7
	s_delay_alu instid0(VALU_DEP_1)
	v_div_fixup_f32 v3, v5, v3, 1.0
	v_mov_b32_e32 v5, v0
.LBB39_27:                              ; =>This Inner Loop Header: Depth=1
	ds_load_b32 v6, v4
	s_waitcnt lgkmcnt(0)
	v_dual_mul_f32 v6, v3, v6 :: v_dual_add_nc_u32 v5, 0x80, v5
	s_delay_alu instid0(VALU_DEP_1) | instskip(SKIP_3) | instid1(SALU_CYCLE_1)
	v_cmp_le_i32_e32 vcc_lo, s6, v5
	ds_store_b32 v4, v6
	v_add_nc_u32_e32 v4, 0x200, v4
	s_or_b32 s1, vcc_lo, s1
	s_and_not1_b32 exec_lo, exec_lo, s1
	s_cbranch_execnz .LBB39_27
.LBB39_28:
	s_or_b32 exec_lo, exec_lo, s0
	s_mul_i32 s0, s4, s14
	s_waitcnt lgkmcnt(0)
	s_mul_i32 s6, s0, s13
	s_mov_b32 s0, exec_lo
	s_barrier
	buffer_gl0_inv
	v_cmpx_eq_u32_e32 0, v0
	s_cbranch_execz .LBB39_30
; %bb.29:
	s_ashr_i32 s7, s6, 31
	s_mul_i32 s34, s4, s20
	s_lshl_b64 s[30:31], s[6:7], 2
	v_mov_b32_e32 v3, 0
	s_add_u32 s1, s10, s30
	s_addc_u32 s3, s11, s31
	s_ashr_i32 s35, s34, 31
	s_delay_alu instid0(SALU_CYCLE_1) | instskip(NEXT) | instid1(SALU_CYCLE_1)
	s_lshl_b64 s[10:11], s[34:35], 2
	s_add_u32 s1, s1, s10
	s_addc_u32 s3, s3, s11
	s_ashr_i32 s13, s12, 31
	s_delay_alu instid0(SALU_CYCLE_1) | instskip(NEXT) | instid1(SALU_CYCLE_1)
	s_lshl_b64 s[34:35], s[12:13], 2
	s_add_u32 s36, s1, s34
	s_addc_u32 s37, s3, s35
	s_add_u32 s1, s8, s30
	s_addc_u32 s3, s9, s31
	;; [unrolled: 2-line block ×4, first 2 shown]
	s_clause 0x1
	global_store_b32 v3, v1, s[36:37]
	global_store_b32 v3, v2, s[8:9]
.LBB39_30:
	s_or_b32 exec_lo, exec_lo, s0
	v_dual_mov_b32 v70, 0 :: v_dual_mov_b32 v71, 0
	v_dual_mov_b32 v69, 0 :: v_dual_and_b32 v60, 3, v0
	v_dual_mov_b32 v72, 0 :: v_dual_mov_b32 v67, 0
	v_dual_mov_b32 v68, 0 :: v_dual_mov_b32 v65, 0
	v_dual_mov_b32 v66, 0 :: v_dual_mov_b32 v63, 0
	v_dual_mov_b32 v64, 0 :: v_dual_mov_b32 v61, 0
	v_mov_b32_e32 v62, 0
	s_and_saveexec_b32 s1, s2
	s_cbranch_execz .LBB39_58
; %bb.31:
	v_dual_mov_b32 v62, 0 :: v_dual_and_b32 v1, 12, v51
	v_dual_mov_b32 v61, 0 :: v_dual_lshlrev_b32 v2, 4, v60
	v_lshl_add_u32 v5, v56, 4, s33
	s_ashr_i32 s29, s28, 31
	v_dual_mov_b32 v64, 0 :: v_dual_and_b32 v3, 0x7c, v51
	s_lshl_b64 s[2:3], s[28:29], 2
	v_lshl_or_b32 v8, v56, 6, v2
	v_add3_u32 v73, v5, v1, 3
	v_lshlrev_b64 v[1:2], 2, v[53:54]
	s_add_u32 s2, s26, s2
	s_addc_u32 s3, s27, s3
	s_lshl_b64 s[8:9], s[24:25], 2
	s_add_i32 s21, s21, -1
	v_or_b32_e32 v4, 0x400, v3
	v_or_b32_e32 v6, 0x480, v3
	;; [unrolled: 1-line block ×4, first 2 shown]
	s_add_u32 s0, s22, s8
	s_addc_u32 s7, s23, s9
	v_add_co_u32 v54, vcc_lo, s0, v1
	v_dual_mov_b32 v63, 0 :: v_dual_add_nc_u32 v74, 0x1a0, v8
	v_add_co_ci_u32_e32 v55, vcc_lo, s7, v2, vcc_lo
	v_dual_mov_b32 v66, 0 :: v_dual_lshlrev_b32 v75, 2, v3
	v_dual_mov_b32 v65, 0 :: v_dual_lshlrev_b32 v76, 2, v4
	;; [unrolled: 1-line block ×5, first 2 shown]
	v_dual_mov_b32 v69, 0 :: v_dual_mov_b32 v70, 0
	v_mov_b32_e32 v71, 0
	s_mov_b32 s7, s5
	s_mov_b32 s5, 0
	s_branch .LBB39_33
.LBB39_32:                              ;   in Loop: Header=BB39_33 Depth=1
	s_or_b32 exec_lo, exec_lo, s0
	s_waitcnt vmcnt(6) lgkmcnt(0)
	v_mul_f32_e32 v26, v2, v26
	v_mul_f32_e32 v18, v2, v18
	s_waitcnt vmcnt(2)
	v_dual_mul_f32 v46, v2, v46 :: v_dual_add_nc_u32 v73, 64, v73
	v_mul_f32_e32 v14, v2, v14
	v_fmac_f32_e32 v26, v1, v25
	v_fmac_f32_e32 v18, v1, v17
	v_mul_f32_e32 v34, v2, v34
	s_waitcnt vmcnt(1)
	v_dual_mul_f32 v50, v2, v50 :: v_dual_add_nc_u32 v53, 4, v53
	v_fmac_f32_e32 v26, v3, v27
	v_fmac_f32_e32 v14, v1, v13
	;; [unrolled: 1-line block ×3, first 2 shown]
	v_mul_f32_e32 v38, v2, v38
	v_mul_f32_e32 v30, v2, v30
	v_fmac_f32_e32 v26, v4, v28
	v_fmac_f32_e32 v46, v1, v45
	v_mul_f32_e32 v22, v2, v22
	v_fmac_f32_e32 v34, v1, v33
	v_mul_f32_e32 v10, v2, v10
	v_add_f32_e32 v67, v67, v26
	v_mul_f32_e32 v6, v2, v6
	s_waitcnt vmcnt(0)
	v_mul_f32_e32 v2, v2, v42
	v_fmac_f32_e32 v14, v3, v15
	v_fmac_f32_e32 v18, v4, v20
	;; [unrolled: 1-line block ×5, first 2 shown]
	s_delay_alu instid0(VALU_DEP_4) | instskip(NEXT) | instid1(VALU_DEP_4)
	v_dual_fmac_f32 v34, v3, v35 :: v_dual_add_f32 v69, v69, v18
	v_fmac_f32_e32 v46, v4, v48
	v_fmac_f32_e32 v50, v1, v49
	;; [unrolled: 1-line block ×4, first 2 shown]
	s_delay_alu instid0(VALU_DEP_4) | instskip(SKIP_4) | instid1(VALU_DEP_4)
	v_dual_fmac_f32 v2, v1, v41 :: v_dual_add_f32 v63, v63, v46
	v_fmac_f32_e32 v14, v4, v16
	v_fmac_f32_e32 v38, v1, v37
	;; [unrolled: 1-line block ×4, first 2 shown]
	v_dual_fmac_f32 v34, v4, v36 :: v_dual_add_f32 v71, v71, v14
	v_fmac_f32_e32 v50, v3, v51
	v_fmac_f32_e32 v38, v3, v39
	s_delay_alu instid0(VALU_DEP_3) | instskip(SKIP_2) | instid1(VALU_DEP_4)
	v_dual_fmac_f32 v10, v3, v11 :: v_dual_add_f32 v65, v65, v34
	v_fmac_f32_e32 v6, v3, v7
	v_fmac_f32_e32 v2, v3, v43
	;; [unrolled: 1-line block ×9, first 2 shown]
	v_cmp_le_i32_e32 vcc_lo, s17, v53
	v_add_co_u32 v54, s0, v54, 16
	s_delay_alu instid0(VALU_DEP_4) | instskip(NEXT) | instid1(VALU_DEP_4)
	v_add_f32_e32 v61, v61, v2
	v_add_f32_e32 v62, v62, v50
	;; [unrolled: 1-line block ×7, first 2 shown]
	v_add_nc_u32_e32 v74, 0x100, v74
	v_add_co_ci_u32_e64 v55, s0, 0, v55, s0
	s_or_b32 s5, vcc_lo, s5
	s_delay_alu instid0(SALU_CYCLE_1)
	s_and_not1_b32 exec_lo, exec_lo, s5
	s_cbranch_execz .LBB39_57
.LBB39_33:                              ; =>This Inner Loop Header: Depth=1
	global_load_b32 v3, v[54:55], off
	v_add_nc_u32_e32 v80, -3, v73
	v_add_nc_u32_e32 v82, -2, v73
	;; [unrolled: 1-line block ×3, first 2 shown]
	s_waitcnt vmcnt(0)
	v_mad_i64_i32 v[1:2], null, v3, s7, 0
	s_delay_alu instid0(VALU_DEP_1) | instskip(NEXT) | instid1(VALU_DEP_1)
	v_lshlrev_b64 v[1:2], 2, v[1:2]
	v_add_co_u32 v41, vcc_lo, s2, v1
	s_delay_alu instid0(VALU_DEP_2)
	v_add_co_ci_u32_e32 v42, vcc_lo, s3, v2, vcc_lo
	ds_load_b128 v[1:4], v74
	v_add_co_u32 v33, vcc_lo, v41, v75
	v_add_co_ci_u32_e32 v34, vcc_lo, 0, v42, vcc_lo
	v_cmp_eq_u32_e32 vcc_lo, s21, v53
	global_load_b128 v[5:8], v[33:34], off
	s_and_saveexec_b32 s8, vcc_lo
	s_cbranch_execnz .LBB39_50
; %bb.34:                               ;   in Loop: Header=BB39_33 Depth=1
	s_or_b32 exec_lo, exec_lo, s8
	global_load_b128 v[9:12], v[33:34], off offset:512
	s_and_saveexec_b32 s8, vcc_lo
	s_cbranch_execnz .LBB39_51
.LBB39_35:                              ;   in Loop: Header=BB39_33 Depth=1
	s_or_b32 exec_lo, exec_lo, s8
	global_load_b128 v[13:16], v[33:34], off offset:1024
	s_and_saveexec_b32 s8, vcc_lo
	s_cbranch_execnz .LBB39_52
.LBB39_36:                              ;   in Loop: Header=BB39_33 Depth=1
	s_or_b32 exec_lo, exec_lo, s8
	global_load_b128 v[17:20], v[33:34], off offset:1536
	s_and_saveexec_b32 s8, vcc_lo
	s_cbranch_execnz .LBB39_53
.LBB39_37:                              ;   in Loop: Header=BB39_33 Depth=1
	s_or_b32 exec_lo, exec_lo, s8
	global_load_b128 v[21:24], v[33:34], off offset:2048
	s_and_saveexec_b32 s8, vcc_lo
	s_cbranch_execnz .LBB39_54
.LBB39_38:                              ;   in Loop: Header=BB39_33 Depth=1
	s_or_b32 exec_lo, exec_lo, s8
	global_load_b128 v[25:28], v[33:34], off offset:2560
	s_and_saveexec_b32 s8, vcc_lo
	s_cbranch_execnz .LBB39_55
.LBB39_39:                              ;   in Loop: Header=BB39_33 Depth=1
	s_or_b32 exec_lo, exec_lo, s8
	global_load_b128 v[29:32], v[33:34], off offset:3072
	s_and_saveexec_b32 s8, vcc_lo
	s_cbranch_execnz .LBB39_56
.LBB39_40:                              ;   in Loop: Header=BB39_33 Depth=1
	s_or_b32 exec_lo, exec_lo, s8
	global_load_b128 v[33:36], v[33:34], off offset:3584
	s_and_saveexec_b32 s8, vcc_lo
	s_cbranch_execz .LBB39_42
.LBB39_41:                              ;   in Loop: Header=BB39_33 Depth=1
	v_cmp_gt_i32_e64 s0, s15, v80
	s_waitcnt vmcnt(0)
	s_delay_alu instid0(VALU_DEP_1) | instskip(SKIP_1) | instid1(VALU_DEP_1)
	v_cndmask_b32_e64 v33, 0, v33, s0
	v_cmp_gt_i32_e64 s0, s15, v82
	v_cndmask_b32_e64 v34, 0, v34, s0
	v_cmp_gt_i32_e64 s0, s15, v81
	s_delay_alu instid0(VALU_DEP_1) | instskip(SKIP_1) | instid1(VALU_DEP_1)
	v_cndmask_b32_e64 v35, 0, v35, s0
	v_cmp_gt_i32_e64 s0, s15, v73
	v_cndmask_b32_e64 v36, 0, v36, s0
.LBB39_42:                              ;   in Loop: Header=BB39_33 Depth=1
	s_or_b32 exec_lo, exec_lo, s8
	v_add_co_u32 v37, s0, v41, v76
	s_delay_alu instid0(VALU_DEP_1)
	v_add_co_ci_u32_e64 v38, s0, 0, v42, s0
	global_load_b128 v[37:40], v[37:38], off
	s_and_saveexec_b32 s8, vcc_lo
	s_cbranch_execz .LBB39_44
; %bb.43:                               ;   in Loop: Header=BB39_33 Depth=1
	v_cmp_gt_i32_e64 s0, s15, v80
	s_waitcnt vmcnt(0)
	s_delay_alu instid0(VALU_DEP_1) | instskip(SKIP_1) | instid1(VALU_DEP_1)
	v_cndmask_b32_e64 v37, 0, v37, s0
	v_cmp_gt_i32_e64 s0, s15, v82
	v_cndmask_b32_e64 v38, 0, v38, s0
	v_cmp_gt_i32_e64 s0, s15, v81
	s_delay_alu instid0(VALU_DEP_1) | instskip(SKIP_1) | instid1(VALU_DEP_1)
	v_cndmask_b32_e64 v39, 0, v39, s0
	v_cmp_gt_i32_e64 s0, s15, v73
	v_cndmask_b32_e64 v40, 0, v40, s0
.LBB39_44:                              ;   in Loop: Header=BB39_33 Depth=1
	s_or_b32 exec_lo, exec_lo, s8
	v_add_co_u32 v43, s0, v41, v77
	s_delay_alu instid0(VALU_DEP_1)
	v_add_co_ci_u32_e64 v44, s0, 0, v42, s0
	global_load_b128 v[45:48], v[43:44], off
	s_and_saveexec_b32 s8, vcc_lo
	s_cbranch_execz .LBB39_46
; %bb.45:                               ;   in Loop: Header=BB39_33 Depth=1
	v_cmp_gt_i32_e64 s0, s15, v80
	s_waitcnt vmcnt(0)
	s_delay_alu instid0(VALU_DEP_1) | instskip(SKIP_1) | instid1(VALU_DEP_1)
	v_cndmask_b32_e64 v45, 0, v45, s0
	v_cmp_gt_i32_e64 s0, s15, v82
	v_cndmask_b32_e64 v46, 0, v46, s0
	v_cmp_gt_i32_e64 s0, s15, v81
	s_delay_alu instid0(VALU_DEP_1) | instskip(SKIP_1) | instid1(VALU_DEP_1)
	v_cndmask_b32_e64 v47, 0, v47, s0
	v_cmp_gt_i32_e64 s0, s15, v73
	v_cndmask_b32_e64 v48, 0, v48, s0
.LBB39_46:                              ;   in Loop: Header=BB39_33 Depth=1
	;; [unrolled: 20-line block ×3, first 2 shown]
	s_or_b32 exec_lo, exec_lo, s8
	v_add_co_u32 v41, s0, v41, v79
	s_delay_alu instid0(VALU_DEP_1)
	v_add_co_ci_u32_e64 v42, s0, 0, v42, s0
	global_load_b128 v[41:44], v[41:42], off
	s_and_saveexec_b32 s0, vcc_lo
	s_cbranch_execz .LBB39_32
; %bb.49:                               ;   in Loop: Header=BB39_33 Depth=1
	v_cmp_gt_i32_e32 vcc_lo, s15, v80
	s_waitcnt vmcnt(0)
	v_cndmask_b32_e32 v41, 0, v41, vcc_lo
	v_cmp_gt_i32_e32 vcc_lo, s15, v82
	v_cndmask_b32_e32 v42, 0, v42, vcc_lo
	v_cmp_gt_i32_e32 vcc_lo, s15, v81
	;; [unrolled: 2-line block ×3, first 2 shown]
	v_cndmask_b32_e32 v44, 0, v44, vcc_lo
	s_branch .LBB39_32
.LBB39_50:                              ;   in Loop: Header=BB39_33 Depth=1
	v_cmp_gt_i32_e64 s0, s15, v80
	s_waitcnt vmcnt(0)
	s_delay_alu instid0(VALU_DEP_1) | instskip(SKIP_1) | instid1(VALU_DEP_1)
	v_cndmask_b32_e64 v5, 0, v5, s0
	v_cmp_gt_i32_e64 s0, s15, v82
	v_cndmask_b32_e64 v6, 0, v6, s0
	v_cmp_gt_i32_e64 s0, s15, v81
	s_delay_alu instid0(VALU_DEP_1) | instskip(SKIP_1) | instid1(VALU_DEP_1)
	v_cndmask_b32_e64 v7, 0, v7, s0
	v_cmp_gt_i32_e64 s0, s15, v73
	v_cndmask_b32_e64 v8, 0, v8, s0
	s_or_b32 exec_lo, exec_lo, s8
	global_load_b128 v[9:12], v[33:34], off offset:512
	s_and_saveexec_b32 s8, vcc_lo
	s_cbranch_execz .LBB39_35
.LBB39_51:                              ;   in Loop: Header=BB39_33 Depth=1
	v_cmp_gt_i32_e64 s0, s15, v80
	s_waitcnt vmcnt(0)
	s_delay_alu instid0(VALU_DEP_1) | instskip(SKIP_1) | instid1(VALU_DEP_1)
	v_cndmask_b32_e64 v9, 0, v9, s0
	v_cmp_gt_i32_e64 s0, s15, v82
	v_cndmask_b32_e64 v10, 0, v10, s0
	v_cmp_gt_i32_e64 s0, s15, v81
	s_delay_alu instid0(VALU_DEP_1) | instskip(SKIP_1) | instid1(VALU_DEP_1)
	v_cndmask_b32_e64 v11, 0, v11, s0
	v_cmp_gt_i32_e64 s0, s15, v73
	v_cndmask_b32_e64 v12, 0, v12, s0
	s_or_b32 exec_lo, exec_lo, s8
	global_load_b128 v[13:16], v[33:34], off offset:1024
	s_and_saveexec_b32 s8, vcc_lo
	s_cbranch_execz .LBB39_36
.LBB39_52:                              ;   in Loop: Header=BB39_33 Depth=1
	v_cmp_gt_i32_e64 s0, s15, v80
	s_waitcnt vmcnt(0)
	s_delay_alu instid0(VALU_DEP_1) | instskip(SKIP_1) | instid1(VALU_DEP_1)
	v_cndmask_b32_e64 v13, 0, v13, s0
	v_cmp_gt_i32_e64 s0, s15, v82
	v_cndmask_b32_e64 v14, 0, v14, s0
	v_cmp_gt_i32_e64 s0, s15, v81
	s_delay_alu instid0(VALU_DEP_1) | instskip(SKIP_1) | instid1(VALU_DEP_1)
	v_cndmask_b32_e64 v15, 0, v15, s0
	v_cmp_gt_i32_e64 s0, s15, v73
	v_cndmask_b32_e64 v16, 0, v16, s0
	s_or_b32 exec_lo, exec_lo, s8
	global_load_b128 v[17:20], v[33:34], off offset:1536
	s_and_saveexec_b32 s8, vcc_lo
	s_cbranch_execz .LBB39_37
.LBB39_53:                              ;   in Loop: Header=BB39_33 Depth=1
	v_cmp_gt_i32_e64 s0, s15, v80
	s_waitcnt vmcnt(0)
	s_delay_alu instid0(VALU_DEP_1) | instskip(SKIP_1) | instid1(VALU_DEP_1)
	v_cndmask_b32_e64 v17, 0, v17, s0
	v_cmp_gt_i32_e64 s0, s15, v82
	v_cndmask_b32_e64 v18, 0, v18, s0
	v_cmp_gt_i32_e64 s0, s15, v81
	s_delay_alu instid0(VALU_DEP_1) | instskip(SKIP_1) | instid1(VALU_DEP_1)
	v_cndmask_b32_e64 v19, 0, v19, s0
	v_cmp_gt_i32_e64 s0, s15, v73
	v_cndmask_b32_e64 v20, 0, v20, s0
	s_or_b32 exec_lo, exec_lo, s8
	global_load_b128 v[21:24], v[33:34], off offset:2048
	s_and_saveexec_b32 s8, vcc_lo
	s_cbranch_execz .LBB39_38
.LBB39_54:                              ;   in Loop: Header=BB39_33 Depth=1
	v_cmp_gt_i32_e64 s0, s15, v80
	s_waitcnt vmcnt(0)
	s_delay_alu instid0(VALU_DEP_1) | instskip(SKIP_1) | instid1(VALU_DEP_1)
	v_cndmask_b32_e64 v21, 0, v21, s0
	v_cmp_gt_i32_e64 s0, s15, v82
	v_cndmask_b32_e64 v22, 0, v22, s0
	v_cmp_gt_i32_e64 s0, s15, v81
	s_delay_alu instid0(VALU_DEP_1) | instskip(SKIP_1) | instid1(VALU_DEP_1)
	v_cndmask_b32_e64 v23, 0, v23, s0
	v_cmp_gt_i32_e64 s0, s15, v73
	v_cndmask_b32_e64 v24, 0, v24, s0
	s_or_b32 exec_lo, exec_lo, s8
	global_load_b128 v[25:28], v[33:34], off offset:2560
	s_and_saveexec_b32 s8, vcc_lo
	s_cbranch_execz .LBB39_39
.LBB39_55:                              ;   in Loop: Header=BB39_33 Depth=1
	v_cmp_gt_i32_e64 s0, s15, v80
	s_waitcnt vmcnt(0)
	s_delay_alu instid0(VALU_DEP_1) | instskip(SKIP_1) | instid1(VALU_DEP_1)
	v_cndmask_b32_e64 v25, 0, v25, s0
	v_cmp_gt_i32_e64 s0, s15, v82
	v_cndmask_b32_e64 v26, 0, v26, s0
	v_cmp_gt_i32_e64 s0, s15, v81
	s_delay_alu instid0(VALU_DEP_1) | instskip(SKIP_1) | instid1(VALU_DEP_1)
	v_cndmask_b32_e64 v27, 0, v27, s0
	v_cmp_gt_i32_e64 s0, s15, v73
	v_cndmask_b32_e64 v28, 0, v28, s0
	s_or_b32 exec_lo, exec_lo, s8
	global_load_b128 v[29:32], v[33:34], off offset:3072
	s_and_saveexec_b32 s8, vcc_lo
	s_cbranch_execz .LBB39_40
.LBB39_56:                              ;   in Loop: Header=BB39_33 Depth=1
	v_cmp_gt_i32_e64 s0, s15, v80
	s_waitcnt vmcnt(0)
	s_delay_alu instid0(VALU_DEP_1) | instskip(SKIP_1) | instid1(VALU_DEP_1)
	v_cndmask_b32_e64 v29, 0, v29, s0
	v_cmp_gt_i32_e64 s0, s15, v82
	v_cndmask_b32_e64 v30, 0, v30, s0
	v_cmp_gt_i32_e64 s0, s15, v81
	s_delay_alu instid0(VALU_DEP_1) | instskip(SKIP_1) | instid1(VALU_DEP_1)
	v_cndmask_b32_e64 v31, 0, v31, s0
	v_cmp_gt_i32_e64 s0, s15, v73
	v_cndmask_b32_e64 v32, 0, v32, s0
	s_or_b32 exec_lo, exec_lo, s8
	global_load_b128 v[33:36], v[33:34], off offset:3584
	s_and_saveexec_b32 s8, vcc_lo
	s_cbranch_execnz .LBB39_41
	s_branch .LBB39_42
.LBB39_57:
	s_or_b32 exec_lo, exec_lo, s5
.LBB39_58:
	s_delay_alu instid0(SALU_CYCLE_1)
	s_or_b32 exec_lo, exec_lo, s1
	ds_bpermute_b32 v1, v58, v70
	ds_bpermute_b32 v3, v58, v71
	;; [unrolled: 1-line block ×12, first 2 shown]
	s_movk_i32 s0, 0x180
	s_waitcnt lgkmcnt(0)
	s_waitcnt_vscnt null, 0x0
	s_barrier
	buffer_gl0_inv
	v_add_f32_e32 v1, v70, v1
	v_dual_add_f32 v3, v71, v3 :: v_dual_add_f32 v2, v72, v2
	v_dual_add_f32 v4, v69, v4 :: v_dual_add_f32 v5, v68, v5
	v_dual_add_f32 v6, v67, v6 :: v_dual_add_f32 v7, v66, v7
	v_dual_add_f32 v8, v65, v8 :: v_dual_add_f32 v9, v64, v9
	v_dual_add_f32 v10, v63, v10 :: v_dual_add_f32 v11, v62, v11
	v_add_f32_e32 v12, v61, v12
	ds_bpermute_b32 v13, v59, v1
	ds_bpermute_b32 v15, v59, v3
	;; [unrolled: 1-line block ×12, first 2 shown]
	s_waitcnt lgkmcnt(11)
	v_add_f32_e32 v1, v1, v13
	s_waitcnt lgkmcnt(10)
	v_add_f32_e32 v3, v3, v15
	v_and_b32_e32 v15, 0x3c3, v0
	s_waitcnt lgkmcnt(8)
	v_add_f32_e32 v4, v4, v16
	v_lshrrev_b32_e32 v13, 2, v57
	s_waitcnt lgkmcnt(7)
	v_dual_add_f32 v2, v2, v14 :: v_dual_add_f32 v5, v5, v17
	s_waitcnt lgkmcnt(5)
	v_dual_add_f32 v6, v6, v18 :: v_dual_add_f32 v7, v7, v19
	;; [unrolled: 2-line block ×4, first 2 shown]
	s_waitcnt lgkmcnt(0)
	v_add_f32_e32 v12, v12, v24
	v_mad_u32_u24 v14, v56, s0, 0x1a0
	v_cmp_eq_u32_e32 vcc_lo, 64, v15
	v_lshlrev_b32_e32 v15, 2, v13
	s_and_saveexec_b32 s0, vcc_lo
	s_cbranch_execz .LBB39_60
; %bb.59:
	s_delay_alu instid0(VALU_DEP_1)
	v_add3_u32 v16, v14, v15, 0xfffffd00
	ds_store_2addr_b32 v16, v1, v2 offset1:8
	ds_store_2addr_b32 v16, v3, v4 offset0:16 offset1:24
	ds_store_2addr_b32 v16, v5, v6 offset0:32 offset1:40
	ds_store_2addr_b32 v16, v7, v8 offset0:48 offset1:56
	ds_store_2addr_b32 v16, v9, v10 offset0:64 offset1:72
	ds_store_2addr_b32 v16, v11, v12 offset0:80 offset1:88
.LBB39_60:
	s_or_b32 exec_lo, exec_lo, s0
	v_cmp_eq_u32_e32 vcc_lo, 0, v60
	s_mov_b32 s1, exec_lo
	s_waitcnt lgkmcnt(0)
	s_barrier
	buffer_gl0_inv
	v_cmpx_gt_u32_e32 64, v0
	s_cbranch_execz .LBB39_75
; %bb.61:
	s_and_saveexec_b32 s0, vcc_lo
	s_cbranch_execnz .LBB39_95
; %bb.62:
	s_or_b32 exec_lo, exec_lo, s0
	s_and_saveexec_b32 s0, vcc_lo
	s_cbranch_execnz .LBB39_96
.LBB39_63:
	s_or_b32 exec_lo, exec_lo, s0
	s_and_saveexec_b32 s0, vcc_lo
	s_cbranch_execnz .LBB39_97
.LBB39_64:
	s_or_b32 exec_lo, exec_lo, s0
	s_and_saveexec_b32 s0, vcc_lo
	s_cbranch_execnz .LBB39_98
.LBB39_65:
	s_or_b32 exec_lo, exec_lo, s0
	s_and_saveexec_b32 s0, vcc_lo
	s_cbranch_execnz .LBB39_99
.LBB39_66:
	s_or_b32 exec_lo, exec_lo, s0
	s_and_saveexec_b32 s0, vcc_lo
	s_cbranch_execnz .LBB39_100
.LBB39_67:
	s_or_b32 exec_lo, exec_lo, s0
	s_and_saveexec_b32 s0, vcc_lo
	s_cbranch_execnz .LBB39_101
.LBB39_68:
	s_or_b32 exec_lo, exec_lo, s0
	s_and_saveexec_b32 s0, vcc_lo
	s_cbranch_execnz .LBB39_102
.LBB39_69:
	s_or_b32 exec_lo, exec_lo, s0
	s_and_saveexec_b32 s0, vcc_lo
	s_cbranch_execnz .LBB39_103
.LBB39_70:
	s_or_b32 exec_lo, exec_lo, s0
	s_and_saveexec_b32 s0, vcc_lo
	s_cbranch_execnz .LBB39_104
.LBB39_71:
	s_or_b32 exec_lo, exec_lo, s0
	s_and_saveexec_b32 s0, vcc_lo
	s_cbranch_execnz .LBB39_105
.LBB39_72:
	s_or_b32 exec_lo, exec_lo, s0
	s_and_saveexec_b32 s0, vcc_lo
	s_cbranch_execz .LBB39_74
.LBB39_73:
	v_lshl_add_u32 v16, v13, 2, v14
	ds_load_b32 v16, v16 offset:352
	s_waitcnt lgkmcnt(0)
	v_add_f32_e32 v12, v12, v16
.LBB39_74:
	s_or_b32 exec_lo, exec_lo, s0
.LBB39_75:
	s_delay_alu instid0(SALU_CYCLE_1)
	s_or_b32 exec_lo, exec_lo, s1
	v_and_b32_e32 v16, 0x3e3, v0
	s_mov_b32 s1, exec_lo
	s_barrier
	buffer_gl0_inv
	v_cmpx_eq_u32_e32 32, v16
	s_cbranch_execz .LBB39_77
; %bb.76:
	v_add3_u32 v15, v14, v15, 0xfffffe80
	ds_store_2addr_b32 v15, v1, v2 offset1:8
	ds_store_2addr_b32 v15, v3, v4 offset0:16 offset1:24
	ds_store_2addr_b32 v15, v5, v6 offset0:32 offset1:40
	;; [unrolled: 1-line block ×5, first 2 shown]
.LBB39_77:
	s_or_b32 exec_lo, exec_lo, s1
	s_delay_alu instid0(SALU_CYCLE_1)
	s_mov_b32 s1, exec_lo
	s_waitcnt lgkmcnt(0)
	s_barrier
	buffer_gl0_inv
	v_cmpx_gt_u32_e32 32, v0
	s_cbranch_execz .LBB39_92
; %bb.78:
	v_lshl_add_u32 v13, v13, 2, v14
	s_and_saveexec_b32 s0, vcc_lo
	s_cbranch_execnz .LBB39_106
; %bb.79:
	s_or_b32 exec_lo, exec_lo, s0
	s_and_saveexec_b32 s0, vcc_lo
	s_cbranch_execnz .LBB39_107
.LBB39_80:
	s_or_b32 exec_lo, exec_lo, s0
	s_and_saveexec_b32 s0, vcc_lo
	s_cbranch_execnz .LBB39_108
.LBB39_81:
	s_or_b32 exec_lo, exec_lo, s0
	s_and_saveexec_b32 s0, vcc_lo
	s_cbranch_execnz .LBB39_109
.LBB39_82:
	s_or_b32 exec_lo, exec_lo, s0
	s_and_saveexec_b32 s0, vcc_lo
	s_cbranch_execnz .LBB39_110
.LBB39_83:
	s_or_b32 exec_lo, exec_lo, s0
	s_and_saveexec_b32 s0, vcc_lo
	s_cbranch_execnz .LBB39_111
.LBB39_84:
	s_or_b32 exec_lo, exec_lo, s0
	s_and_saveexec_b32 s0, vcc_lo
	s_cbranch_execnz .LBB39_112
.LBB39_85:
	s_or_b32 exec_lo, exec_lo, s0
	s_and_saveexec_b32 s0, vcc_lo
	s_cbranch_execnz .LBB39_113
.LBB39_86:
	s_or_b32 exec_lo, exec_lo, s0
	s_and_saveexec_b32 s0, vcc_lo
	s_cbranch_execnz .LBB39_114
.LBB39_87:
	s_or_b32 exec_lo, exec_lo, s0
	s_and_saveexec_b32 s0, vcc_lo
	s_cbranch_execnz .LBB39_115
.LBB39_88:
	s_or_b32 exec_lo, exec_lo, s0
	s_and_saveexec_b32 s0, vcc_lo
	s_cbranch_execnz .LBB39_116
.LBB39_89:
	s_or_b32 exec_lo, exec_lo, s0
	s_and_saveexec_b32 s0, vcc_lo
	s_cbranch_execz .LBB39_91
.LBB39_90:
	ds_load_b32 v13, v13 offset:352
	s_waitcnt lgkmcnt(0)
	v_add_f32_e32 v12, v12, v13
.LBB39_91:
	s_or_b32 exec_lo, exec_lo, s0
.LBB39_92:
	s_delay_alu instid0(SALU_CYCLE_1)
	s_or_b32 exec_lo, exec_lo, s1
	s_barrier
	buffer_gl0_inv
	s_mov_b32 s0, exec_lo
	v_cmpx_eq_u32_e32 0, v16
	s_cbranch_execz .LBB39_94
; %bb.93:
	s_mul_i32 s0, s6, 0x60
	s_mul_i32 s2, s4, s16
	s_ashr_i32 s1, s0, 31
	s_delay_alu instid0(SALU_CYCLE_1) | instskip(NEXT) | instid1(SALU_CYCLE_1)
	s_lshl_b64 s[0:1], s[0:1], 2
	s_add_u32 s4, s18, s0
	s_addc_u32 s5, s19, s1
	s_ashr_i32 s3, s2, 31
	s_delay_alu instid0(SALU_CYCLE_1) | instskip(SKIP_4) | instid1(SALU_CYCLE_1)
	s_lshl_b64 s[0:1], s[2:3], 2
	s_mul_i32 s2, s12, 0x60
	s_add_u32 s4, s4, s0
	s_addc_u32 s5, s5, s1
	s_ashr_i32 s3, s2, 31
	s_lshl_b64 s[0:1], s[2:3], 2
	s_delay_alu instid0(SALU_CYCLE_1)
	s_add_u32 s0, s4, s0
	s_addc_u32 s1, s5, s1
	s_clause 0xb
	global_store_b32 v0, v1, s[0:1]
	global_store_b32 v0, v2, s[0:1] offset:32
	global_store_b32 v0, v3, s[0:1] offset:64
	;; [unrolled: 1-line block ×11, first 2 shown]
.LBB39_94:
	s_nop 0
	s_sendmsg sendmsg(MSG_DEALLOC_VGPRS)
	s_endpgm
.LBB39_95:
	v_lshl_add_u32 v16, v13, 2, v14
	ds_load_b32 v16, v16
	s_waitcnt lgkmcnt(0)
	v_add_f32_e32 v1, v1, v16
	s_or_b32 exec_lo, exec_lo, s0
	s_and_saveexec_b32 s0, vcc_lo
	s_cbranch_execz .LBB39_63
.LBB39_96:
	v_lshl_add_u32 v16, v13, 2, v14
	ds_load_b32 v16, v16 offset:32
	s_waitcnt lgkmcnt(0)
	v_add_f32_e32 v2, v2, v16
	s_or_b32 exec_lo, exec_lo, s0
	s_and_saveexec_b32 s0, vcc_lo
	s_cbranch_execz .LBB39_64
.LBB39_97:
	v_lshl_add_u32 v16, v13, 2, v14
	ds_load_b32 v16, v16 offset:64
	s_waitcnt lgkmcnt(0)
	v_add_f32_e32 v3, v3, v16
	s_or_b32 exec_lo, exec_lo, s0
	s_and_saveexec_b32 s0, vcc_lo
	s_cbranch_execz .LBB39_65
.LBB39_98:
	v_lshl_add_u32 v16, v13, 2, v14
	ds_load_b32 v16, v16 offset:96
	s_waitcnt lgkmcnt(0)
	v_add_f32_e32 v4, v4, v16
	s_or_b32 exec_lo, exec_lo, s0
	s_and_saveexec_b32 s0, vcc_lo
	s_cbranch_execz .LBB39_66
.LBB39_99:
	v_lshl_add_u32 v16, v13, 2, v14
	ds_load_b32 v16, v16 offset:128
	s_waitcnt lgkmcnt(0)
	v_add_f32_e32 v5, v5, v16
	s_or_b32 exec_lo, exec_lo, s0
	s_and_saveexec_b32 s0, vcc_lo
	s_cbranch_execz .LBB39_67
.LBB39_100:
	v_lshl_add_u32 v16, v13, 2, v14
	ds_load_b32 v16, v16 offset:160
	s_waitcnt lgkmcnt(0)
	v_add_f32_e32 v6, v6, v16
	s_or_b32 exec_lo, exec_lo, s0
	s_and_saveexec_b32 s0, vcc_lo
	s_cbranch_execz .LBB39_68
.LBB39_101:
	v_lshl_add_u32 v16, v13, 2, v14
	ds_load_b32 v16, v16 offset:192
	s_waitcnt lgkmcnt(0)
	v_add_f32_e32 v7, v7, v16
	s_or_b32 exec_lo, exec_lo, s0
	s_and_saveexec_b32 s0, vcc_lo
	s_cbranch_execz .LBB39_69
.LBB39_102:
	v_lshl_add_u32 v16, v13, 2, v14
	ds_load_b32 v16, v16 offset:224
	s_waitcnt lgkmcnt(0)
	v_add_f32_e32 v8, v8, v16
	s_or_b32 exec_lo, exec_lo, s0
	s_and_saveexec_b32 s0, vcc_lo
	s_cbranch_execz .LBB39_70
.LBB39_103:
	v_lshl_add_u32 v16, v13, 2, v14
	ds_load_b32 v16, v16 offset:256
	s_waitcnt lgkmcnt(0)
	v_add_f32_e32 v9, v9, v16
	s_or_b32 exec_lo, exec_lo, s0
	s_and_saveexec_b32 s0, vcc_lo
	s_cbranch_execz .LBB39_71
.LBB39_104:
	v_lshl_add_u32 v16, v13, 2, v14
	ds_load_b32 v16, v16 offset:288
	s_waitcnt lgkmcnt(0)
	v_add_f32_e32 v10, v10, v16
	s_or_b32 exec_lo, exec_lo, s0
	s_and_saveexec_b32 s0, vcc_lo
	s_cbranch_execz .LBB39_72
.LBB39_105:
	v_lshl_add_u32 v16, v13, 2, v14
	ds_load_b32 v16, v16 offset:320
	s_waitcnt lgkmcnt(0)
	v_add_f32_e32 v11, v11, v16
	s_or_b32 exec_lo, exec_lo, s0
	s_and_saveexec_b32 s0, vcc_lo
	s_cbranch_execnz .LBB39_73
	s_branch .LBB39_74
.LBB39_106:
	ds_load_b32 v14, v13
	s_waitcnt lgkmcnt(0)
	v_add_f32_e32 v1, v1, v14
	s_or_b32 exec_lo, exec_lo, s0
	s_and_saveexec_b32 s0, vcc_lo
	s_cbranch_execz .LBB39_80
.LBB39_107:
	ds_load_b32 v14, v13 offset:32
	s_waitcnt lgkmcnt(0)
	v_add_f32_e32 v2, v2, v14
	s_or_b32 exec_lo, exec_lo, s0
	s_and_saveexec_b32 s0, vcc_lo
	s_cbranch_execz .LBB39_81
.LBB39_108:
	ds_load_b32 v14, v13 offset:64
	s_waitcnt lgkmcnt(0)
	v_add_f32_e32 v3, v3, v14
	s_or_b32 exec_lo, exec_lo, s0
	s_and_saveexec_b32 s0, vcc_lo
	s_cbranch_execz .LBB39_82
.LBB39_109:
	ds_load_b32 v14, v13 offset:96
	s_waitcnt lgkmcnt(0)
	v_add_f32_e32 v4, v4, v14
	s_or_b32 exec_lo, exec_lo, s0
	s_and_saveexec_b32 s0, vcc_lo
	s_cbranch_execz .LBB39_83
.LBB39_110:
	ds_load_b32 v14, v13 offset:128
	s_waitcnt lgkmcnt(0)
	v_add_f32_e32 v5, v5, v14
	s_or_b32 exec_lo, exec_lo, s0
	s_and_saveexec_b32 s0, vcc_lo
	s_cbranch_execz .LBB39_84
.LBB39_111:
	ds_load_b32 v14, v13 offset:160
	s_waitcnt lgkmcnt(0)
	v_add_f32_e32 v6, v6, v14
	s_or_b32 exec_lo, exec_lo, s0
	s_and_saveexec_b32 s0, vcc_lo
	s_cbranch_execz .LBB39_85
.LBB39_112:
	ds_load_b32 v14, v13 offset:192
	s_waitcnt lgkmcnt(0)
	v_add_f32_e32 v7, v7, v14
	s_or_b32 exec_lo, exec_lo, s0
	s_and_saveexec_b32 s0, vcc_lo
	s_cbranch_execz .LBB39_86
.LBB39_113:
	ds_load_b32 v14, v13 offset:224
	s_waitcnt lgkmcnt(0)
	v_add_f32_e32 v8, v8, v14
	s_or_b32 exec_lo, exec_lo, s0
	s_and_saveexec_b32 s0, vcc_lo
	s_cbranch_execz .LBB39_87
.LBB39_114:
	ds_load_b32 v14, v13 offset:256
	s_waitcnt lgkmcnt(0)
	v_add_f32_e32 v9, v9, v14
	s_or_b32 exec_lo, exec_lo, s0
	s_and_saveexec_b32 s0, vcc_lo
	s_cbranch_execz .LBB39_88
.LBB39_115:
	ds_load_b32 v14, v13 offset:288
	s_waitcnt lgkmcnt(0)
	v_add_f32_e32 v10, v10, v14
	s_or_b32 exec_lo, exec_lo, s0
	s_and_saveexec_b32 s0, vcc_lo
	s_cbranch_execz .LBB39_89
.LBB39_116:
	ds_load_b32 v14, v13 offset:320
	s_waitcnt lgkmcnt(0)
	v_add_f32_e32 v11, v11, v14
	s_or_b32 exec_lo, exec_lo, s0
	s_and_saveexec_b32 s0, vcc_lo
	s_cbranch_execnz .LBB39_90
	s_branch .LBB39_91
	.section	.rodata,"a",@progbits
	.p2align	6, 0x0
	.amdhsa_kernel _ZN4vllm25paged_attention_v2_kernelIffLi96ELi16ELi128ELNS_18Fp8KVCacheDataTypeE0ELb0ELi512EEEvPfS2_PT_PKS3_PKT0_S9_ifPKiSB_iPKfiiiSD_SD_iiiii
		.amdhsa_group_segment_fixed_size 416
		.amdhsa_private_segment_fixed_size 0
		.amdhsa_kernarg_size 400
		.amdhsa_user_sgpr_count 13
		.amdhsa_user_sgpr_dispatch_ptr 0
		.amdhsa_user_sgpr_queue_ptr 0
		.amdhsa_user_sgpr_kernarg_segment_ptr 1
		.amdhsa_user_sgpr_dispatch_id 0
		.amdhsa_user_sgpr_private_segment_size 0
		.amdhsa_wavefront_size32 1
		.amdhsa_uses_dynamic_stack 0
		.amdhsa_enable_private_segment 0
		.amdhsa_system_sgpr_workgroup_id_x 1
		.amdhsa_system_sgpr_workgroup_id_y 1
		.amdhsa_system_sgpr_workgroup_id_z 1
		.amdhsa_system_sgpr_workgroup_info 0
		.amdhsa_system_vgpr_workitem_id 0
		.amdhsa_next_free_vgpr 112
		.amdhsa_next_free_sgpr 38
		.amdhsa_reserve_vcc 1
		.amdhsa_float_round_mode_32 0
		.amdhsa_float_round_mode_16_64 0
		.amdhsa_float_denorm_mode_32 3
		.amdhsa_float_denorm_mode_16_64 3
		.amdhsa_dx10_clamp 1
		.amdhsa_ieee_mode 1
		.amdhsa_fp16_overflow 0
		.amdhsa_workgroup_processor_mode 1
		.amdhsa_memory_ordered 1
		.amdhsa_forward_progress 0
		.amdhsa_shared_vgpr_count 0
		.amdhsa_exception_fp_ieee_invalid_op 0
		.amdhsa_exception_fp_denorm_src 0
		.amdhsa_exception_fp_ieee_div_zero 0
		.amdhsa_exception_fp_ieee_overflow 0
		.amdhsa_exception_fp_ieee_underflow 0
		.amdhsa_exception_fp_ieee_inexact 0
		.amdhsa_exception_int_div_zero 0
	.end_amdhsa_kernel
	.section	.text._ZN4vllm25paged_attention_v2_kernelIffLi96ELi16ELi128ELNS_18Fp8KVCacheDataTypeE0ELb0ELi512EEEvPfS2_PT_PKS3_PKT0_S9_ifPKiSB_iPKfiiiSD_SD_iiiii,"axG",@progbits,_ZN4vllm25paged_attention_v2_kernelIffLi96ELi16ELi128ELNS_18Fp8KVCacheDataTypeE0ELb0ELi512EEEvPfS2_PT_PKS3_PKT0_S9_ifPKiSB_iPKfiiiSD_SD_iiiii,comdat
.Lfunc_end39:
	.size	_ZN4vllm25paged_attention_v2_kernelIffLi96ELi16ELi128ELNS_18Fp8KVCacheDataTypeE0ELb0ELi512EEEvPfS2_PT_PKS3_PKT0_S9_ifPKiSB_iPKfiiiSD_SD_iiiii, .Lfunc_end39-_ZN4vllm25paged_attention_v2_kernelIffLi96ELi16ELi128ELNS_18Fp8KVCacheDataTypeE0ELb0ELi512EEEvPfS2_PT_PKS3_PKT0_S9_ifPKiSB_iPKfiiiSD_SD_iiiii
                                        ; -- End function
	.section	.AMDGPU.csdata,"",@progbits
; Kernel info:
; codeLenInByte = 6828
; NumSgprs: 40
; NumVgprs: 112
; ScratchSize: 0
; MemoryBound: 0
; FloatMode: 240
; IeeeMode: 1
; LDSByteSize: 416 bytes/workgroup (compile time only)
; SGPRBlocks: 4
; VGPRBlocks: 13
; NumSGPRsForWavesPerEU: 40
; NumVGPRsForWavesPerEU: 112
; Occupancy: 12
; WaveLimiterHint : 1
; COMPUTE_PGM_RSRC2:SCRATCH_EN: 0
; COMPUTE_PGM_RSRC2:USER_SGPR: 13
; COMPUTE_PGM_RSRC2:TRAP_HANDLER: 0
; COMPUTE_PGM_RSRC2:TGID_X_EN: 1
; COMPUTE_PGM_RSRC2:TGID_Y_EN: 1
; COMPUTE_PGM_RSRC2:TGID_Z_EN: 1
; COMPUTE_PGM_RSRC2:TIDIG_COMP_CNT: 0
	.section	.text._ZN4vllm25paged_attention_v2_kernelIffLi112ELi16ELi128ELNS_18Fp8KVCacheDataTypeE0ELb0ELi512EEEvPfS2_PT_PKS3_PKT0_S9_ifPKiSB_iPKfiiiSD_SD_iiiii,"axG",@progbits,_ZN4vllm25paged_attention_v2_kernelIffLi112ELi16ELi128ELNS_18Fp8KVCacheDataTypeE0ELb0ELi512EEEvPfS2_PT_PKS3_PKT0_S9_ifPKiSB_iPKfiiiSD_SD_iiiii,comdat
	.protected	_ZN4vllm25paged_attention_v2_kernelIffLi112ELi16ELi128ELNS_18Fp8KVCacheDataTypeE0ELb0ELi512EEEvPfS2_PT_PKS3_PKT0_S9_ifPKiSB_iPKfiiiSD_SD_iiiii ; -- Begin function _ZN4vllm25paged_attention_v2_kernelIffLi112ELi16ELi128ELNS_18Fp8KVCacheDataTypeE0ELb0ELi512EEEvPfS2_PT_PKS3_PKT0_S9_ifPKiSB_iPKfiiiSD_SD_iiiii
	.globl	_ZN4vllm25paged_attention_v2_kernelIffLi112ELi16ELi128ELNS_18Fp8KVCacheDataTypeE0ELb0ELi512EEEvPfS2_PT_PKS3_PKT0_S9_ifPKiSB_iPKfiiiSD_SD_iiiii
	.p2align	8
	.type	_ZN4vllm25paged_attention_v2_kernelIffLi112ELi16ELi128ELNS_18Fp8KVCacheDataTypeE0ELb0ELi512EEEvPfS2_PT_PKS3_PKT0_S9_ifPKiSB_iPKfiiiSD_SD_iiiii,@function
_ZN4vllm25paged_attention_v2_kernelIffLi112ELi16ELi128ELNS_18Fp8KVCacheDataTypeE0ELb0ELi512EEEvPfS2_PT_PKS3_PKT0_S9_ifPKiSB_iPKfiiiSD_SD_iiiii: ; @_ZN4vllm25paged_attention_v2_kernelIffLi112ELi16ELi128ELNS_18Fp8KVCacheDataTypeE0ELb0ELi512EEEvPfS2_PT_PKS3_PKT0_S9_ifPKiSB_iPKfiiiSD_SD_iiiii
; %bb.0:
	s_load_b64 s[2:3], s[0:1], 0x40
	s_mov_b32 s12, s15
	s_ashr_i32 s15, s14, 31
	s_delay_alu instid0(SALU_CYCLE_1)
	s_lshl_b64 s[4:5], s[14:15], 2
	s_waitcnt lgkmcnt(0)
	s_add_u32 s2, s2, s4
	s_addc_u32 s3, s3, s5
	s_lshl_b32 s33, s12, 9
	s_load_b32 s15, s[2:3], 0x0
	s_waitcnt lgkmcnt(0)
	s_cmp_ge_i32 s33, s15
	s_cbranch_scc1 .LBB40_102
; %bb.1:
	s_mov_b32 s20, s13
	s_clause 0x1
	s_load_b32 s13, s[0:1], 0x90
	s_load_b64 s[30:31], s[0:1], 0x30
	s_waitcnt lgkmcnt(0)
	s_abs_i32 s5, s13
	s_abs_i32 s2, s30
	s_delay_alu instid0(SALU_CYCLE_1) | instskip(SKIP_1) | instid1(VALU_DEP_1)
	v_cvt_f32_u32_e32 v1, s2
	s_sub_i32 s4, 0, s2
	v_rcp_iflag_f32_e32 v1, v1
	s_waitcnt_depctr 0xfff
	v_mul_f32_e32 v1, 0x4f7ffffe, v1
	s_delay_alu instid0(VALU_DEP_1) | instskip(NEXT) | instid1(VALU_DEP_1)
	v_cvt_u32_f32_e32 v1, v1
	v_readfirstlane_b32 s3, v1
	s_delay_alu instid0(VALU_DEP_1) | instskip(NEXT) | instid1(SALU_CYCLE_1)
	s_mul_i32 s4, s4, s3
	s_mul_hi_u32 s4, s3, s4
	s_delay_alu instid0(SALU_CYCLE_1)
	s_add_i32 s3, s3, s4
	s_xor_b32 s4, s13, s30
	s_mul_hi_u32 s3, s5, s3
	s_ashr_i32 s4, s4, 31
	s_mul_i32 s6, s3, s2
	s_mov_b32 s30, 0
	s_sub_i32 s5, s5, s6
	s_add_i32 s6, s3, 1
	s_sub_i32 s7, s5, s2
	s_cmp_ge_u32 s5, s2
	s_cselect_b32 s3, s6, s3
	s_cselect_b32 s5, s7, s5
	s_add_i32 s6, s3, 1
	s_cmp_ge_u32 s5, s2
	s_cselect_b32 s2, s6, s3
	s_abs_i32 s10, s20
	s_xor_b32 s2, s2, s4
	s_delay_alu instid0(SALU_CYCLE_1) | instskip(SKIP_2) | instid1(SALU_CYCLE_1)
	s_sub_i32 s11, s2, s4
	s_load_b64 s[2:3], s[0:1], 0x50
	s_abs_i32 s8, s11
	v_cvt_f32_u32_e32 v1, s8
	s_sub_i32 s5, 0, s8
	s_delay_alu instid0(VALU_DEP_1) | instskip(SKIP_2) | instid1(VALU_DEP_1)
	v_rcp_iflag_f32_e32 v1, v1
	s_waitcnt_depctr 0xfff
	v_mul_f32_e32 v1, 0x4f7ffffe, v1
	v_cvt_u32_f32_e32 v1, v1
	s_delay_alu instid0(VALU_DEP_1) | instskip(NEXT) | instid1(VALU_DEP_1)
	v_readfirstlane_b32 s4, v1
	s_mul_i32 s5, s5, s4
	s_delay_alu instid0(SALU_CYCLE_1) | instskip(NEXT) | instid1(SALU_CYCLE_1)
	s_mul_hi_u32 s5, s4, s5
	s_add_i32 s4, s4, s5
	s_waitcnt lgkmcnt(0)
	s_cmp_eq_u64 s[2:3], 0
	s_mul_hi_u32 s9, s10, s4
	s_cbranch_scc1 .LBB40_3
; %bb.2:
	s_ashr_i32 s21, s20, 31
	s_delay_alu instid0(SALU_CYCLE_1) | instskip(NEXT) | instid1(SALU_CYCLE_1)
	s_lshl_b64 s[4:5], s[20:21], 2
	s_add_u32 s2, s2, s4
	s_addc_u32 s3, s3, s5
	s_load_b32 s30, s[2:3], 0x0
.LBB40_3:
	s_load_b128 s[4:7], s[0:1], 0x58
	v_and_b32_e32 v49, 1, v0
	v_lshlrev_b32_e32 v1, 3, v0
	v_lshlrev_b32_e32 v59, 2, v0
	s_ashr_i32 s2, s20, 31
	s_ashr_i32 s3, s11, 31
	s_mul_i32 s16, s20, 0x70
	s_waitcnt lgkmcnt(0)
	s_mov_b32 s7, exec_lo
	v_cmpx_gt_u32_e32 56, v0
	s_cbranch_execz .LBB40_5
; %bb.4:
	s_load_b64 s[18:19], s[0:1], 0x18
	s_mul_i32 s22, s14, s4
	v_and_b32_e32 v4, 0xff8, v59
	s_ashr_i32 s23, s22, 31
	s_delay_alu instid0(SALU_CYCLE_1) | instskip(NEXT) | instid1(VALU_DEP_1)
	s_lshl_b64 s[22:23], s[22:23], 2
	v_mad_u32_u24 v4, 0xe0, v49, v4
	s_waitcnt lgkmcnt(0)
	s_add_u32 s4, s18, s22
	s_addc_u32 s11, s19, s23
	s_ashr_i32 s17, s16, 31
	s_delay_alu instid0(SALU_CYCLE_1) | instskip(NEXT) | instid1(SALU_CYCLE_1)
	s_lshl_b64 s[18:19], s[16:17], 2
	s_add_u32 s18, s4, s18
	s_addc_u32 s19, s11, s19
	global_load_b64 v[2:3], v1, s[18:19]
	s_waitcnt vmcnt(0)
	ds_store_b64 v4, v[2:3]
.LBB40_5:
	s_or_b32 exec_lo, exec_lo, s7
	s_add_i32 s4, s15, 15
	s_lshl_b32 s7, s12, 5
	s_ashr_i32 s11, s4, 31
	s_xor_b32 s2, s2, s3
	s_lshr_b32 s11, s11, 28
	s_add_i32 s3, s7, 32
	s_add_i32 s4, s4, s11
	s_clause 0x1
	s_load_b64 s[22:23], s[0:1], 0x38
	s_load_b32 s11, s[0:1], 0x48
	s_ashr_i32 s21, s4, 4
	s_mul_i32 s4, s9, s8
	s_min_i32 s17, s3, s21
	s_sub_i32 s3, s10, s4
	s_add_i32 s4, s9, 1
	s_sub_i32 s10, s3, s8
	s_cmp_ge_u32 s3, s8
	v_lshrrev_b32_e32 v64, 5, v0
	s_cselect_b32 s4, s4, s9
	s_cselect_b32 s3, s10, s3
	s_add_i32 s9, s4, 1
	s_cmp_ge_u32 s3, s8
	v_or_b32_e32 v61, s7, v64
	s_cselect_b32 s3, s9, s4
	v_mbcnt_lo_u32_b32 v60, -1, 0
	s_xor_b32 s3, s3, s2
	s_mov_b32 s4, exec_lo
	s_sub_i32 s3, s3, s2
	v_cmp_gt_i32_e64 s2, s17, v61
	s_waitcnt lgkmcnt(0)
	s_mul_i32 s24, s14, s11
	s_delay_alu instid0(SALU_CYCLE_1)
	s_ashr_i32 s25, s24, 31
	s_barrier
	buffer_gl0_inv
                                        ; implicit-def: $sgpr28
                                        ; implicit-def: $vgpr63
	v_cmpx_le_i32_e64 s17, v61
	s_xor_b32 s4, exec_lo, s4
; %bb.6:
	v_mbcnt_lo_u32_b32 v60, -1, 0
	v_mov_b32_e32 v63, 32
	s_mov_b32 s28, 0xff7fffff
                                        ; implicit-def: $vgpr1
                                        ; implicit-def: $vgpr49
; %bb.7:
	s_or_saveexec_b32 s34, s4
	s_clause 0x3
	s_load_b128 s[8:11], s[0:1], 0x0
	s_load_b64 s[18:19], s[0:1], 0x10
	s_load_b64 s[26:27], s[0:1], 0x28
	s_load_b32 s4, s[0:1], 0x98
	v_mov_b32_e32 v65, s28
	v_ashrrev_i32_e32 v62, 31, v61
	s_mul_i32 s28, s3, s6
	s_xor_b32 exec_lo, exec_lo, s34
	s_cbranch_execz .LBB40_13
; %bb.8:
	s_load_b64 s[0:1], s[0:1], 0x20
	v_bfe_u32 v57, v0, 1, 4
	s_ashr_i32 s29, s28, 31
	v_xor_b32_e32 v34, 1, v60
	s_lshl_b64 s[36:37], s[28:29], 2
	v_mul_u32_u24_e32 v53, 0xe0, v49
	v_lshlrev_b32_e32 v35, 4, v57
	v_dual_mov_b32 v63, 32 :: v_dual_lshlrev_b32 v58, 2, v57
	v_cmp_gt_i32_e32 vcc_lo, 32, v34
	v_and_b32_e32 v33, 8, v1
	ds_load_b128 v[1:4], v53
	ds_load_b128 v[5:8], v53 offset:16
	ds_load_b128 v[9:12], v53 offset:32
	;; [unrolled: 1-line block ×7, first 2 shown]
	v_lshlrev_b32_e32 v65, 4, v64
	v_lshl_or_b32 v70, v64, 6, v58
	v_dual_cndmask_b32 v50, v60, v34 :: v_dual_mov_b32 v71, v61
	s_mov_b32 s35, s5
	s_delay_alu instid0(VALU_DEP_3) | instskip(SKIP_1) | instid1(VALU_DEP_3)
	v_add3_u32 v69, s33, v65, v57
	v_lshlrev_b64 v[57:58], 2, v[61:62]
	v_dual_mov_b32 v65, 0xff7fffff :: v_dual_lshlrev_b32 v68, 2, v50
	s_waitcnt lgkmcnt(0)
	s_add_u32 s0, s0, s36
	s_addc_u32 s1, s1, s37
	v_add_co_u32 v35, s0, s0, v35
	s_delay_alu instid0(VALU_DEP_1) | instskip(SKIP_1) | instid1(VALU_DEP_2)
	v_add_co_ci_u32_e64 v36, null, s1, 0, s0
	s_lshl_b64 s[36:37], s[24:25], 2
	v_add_co_u32 v66, vcc_lo, v35, v33
	s_delay_alu instid0(VALU_DEP_2)
	v_add_co_ci_u32_e32 v67, vcc_lo, 0, v36, vcc_lo
	ds_load_b128 v[33:36], v53 offset:128
	ds_load_b128 v[37:40], v53 offset:144
	;; [unrolled: 1-line block ×4, first 2 shown]
	v_cmp_eq_u32_e32 vcc_lo, 0, v49
	ds_load_b128 v[49:52], v53 offset:192
	ds_load_b128 v[53:56], v53 offset:208
	s_sub_i32 s6, 1, s15
	s_add_u32 s1, s22, s36
	s_addc_u32 s3, s23, s37
	v_add_co_u32 v57, s1, s1, v57
	v_cmp_neq_f32_e64 s0, s30, 0
	v_add_nc_u32_e32 v70, 0x1e0, v70
	v_add_co_ci_u32_e64 v58, s1, s3, v58, s1
	s_mov_b32 s29, 0
	s_branch .LBB40_10
.LBB40_9:                               ;   in Loop: Header=BB40_10 Depth=1
	s_or_b32 exec_lo, exec_lo, s3
	v_add_nc_u32_e32 v71, 4, v71
	v_add_co_u32 v57, s3, v57, 16
	v_add_nc_u32_e32 v69, 64, v69
	v_add_nc_u32_e32 v70, 0x100, v70
	s_delay_alu instid0(VALU_DEP_4) | instskip(SKIP_1) | instid1(VALU_DEP_2)
	v_cmp_le_i32_e64 s1, s17, v71
	v_add_co_ci_u32_e64 v58, s3, 0, v58, s3
	s_or_b32 s29, s1, s29
	s_delay_alu instid0(SALU_CYCLE_1)
	s_and_not1_b32 exec_lo, exec_lo, s29
	s_cbranch_execz .LBB40_12
.LBB40_10:                              ; =>This Inner Loop Header: Depth=1
	global_load_b32 v74, v[57:58], off
	s_waitcnt vmcnt(0) lgkmcnt(0)
	v_mad_i64_i32 v[72:73], null, v74, s35, 0
	s_delay_alu instid0(VALU_DEP_1) | instskip(NEXT) | instid1(VALU_DEP_1)
	v_lshlrev_b64 v[72:73], 2, v[72:73]
	v_add_co_u32 v72, s1, v66, v72
	s_delay_alu instid0(VALU_DEP_1)
	v_add_co_ci_u32_e64 v73, s1, v67, v73, s1
	s_clause 0xe
	global_load_b64 v[74:75], v[72:73], off offset:256
	global_load_b64 v[76:77], v[72:73], off offset:512
	;; [unrolled: 1-line block ×3, first 2 shown]
	global_load_b64 v[80:81], v[72:73], off
	global_load_b64 v[82:83], v[72:73], off offset:1024
	global_load_b64 v[84:85], v[72:73], off offset:1280
	;; [unrolled: 1-line block ×11, first 2 shown]
	v_add_co_u32 v104, s1, 0x1000, v72
	s_delay_alu instid0(VALU_DEP_1)
	v_add_co_ci_u32_e64 v105, s1, 0, v73, s1
	s_clause 0x9
	global_load_b64 v[72:73], v[72:73], off offset:3840
	global_load_b64 v[106:107], v[104:105], off
	global_load_b64 v[108:109], v[104:105], off offset:256
	global_load_b64 v[110:111], v[104:105], off offset:512
	;; [unrolled: 1-line block ×8, first 2 shown]
	s_waitcnt vmcnt(24)
	v_dual_mul_f32 v124, v3, v74 :: v_dual_mul_f32 v125, v4, v75
	global_load_b64 v[74:75], v[104:105], off offset:2304
	s_waitcnt vmcnt(22)
	v_dual_fmac_f32 v124, v1, v80 :: v_dual_fmac_f32 v125, v2, v81
	s_clause 0x1
	global_load_b64 v[80:81], v[104:105], off offset:2560
	global_load_b64 v[104:105], v[104:105], off offset:2816
	v_dual_fmac_f32 v124, v5, v76 :: v_dual_fmac_f32 v125, v6, v77
	s_delay_alu instid0(VALU_DEP_1) | instskip(SKIP_1) | instid1(VALU_DEP_1)
	v_dual_fmac_f32 v124, v7, v78 :: v_dual_fmac_f32 v125, v8, v79
	s_waitcnt vmcnt(23)
	v_dual_fmac_f32 v124, v9, v82 :: v_dual_fmac_f32 v125, v10, v83
	s_waitcnt vmcnt(22)
	s_delay_alu instid0(VALU_DEP_1) | instskip(SKIP_1) | instid1(VALU_DEP_1)
	v_dual_fmac_f32 v124, v11, v84 :: v_dual_fmac_f32 v125, v12, v85
	s_waitcnt vmcnt(21)
	v_dual_fmac_f32 v124, v13, v86 :: v_dual_fmac_f32 v125, v14, v87
	s_waitcnt vmcnt(20)
	;; [unrolled: 5-line block ×6, first 2 shown]
	s_delay_alu instid0(VALU_DEP_1) | instskip(SKIP_1) | instid1(VALU_DEP_1)
	v_dual_fmac_f32 v124, v31, v72 :: v_dual_fmac_f32 v125, v32, v73
	s_waitcnt vmcnt(11) lgkmcnt(5)
	v_dual_fmac_f32 v124, v33, v106 :: v_dual_fmac_f32 v125, v34, v107
	s_waitcnt vmcnt(10)
	s_delay_alu instid0(VALU_DEP_1) | instskip(SKIP_1) | instid1(VALU_DEP_1)
	v_dual_fmac_f32 v124, v35, v108 :: v_dual_fmac_f32 v125, v36, v109
	s_waitcnt vmcnt(9) lgkmcnt(4)
	v_dual_fmac_f32 v124, v37, v110 :: v_dual_fmac_f32 v125, v38, v111
	s_waitcnt vmcnt(8)
	;; [unrolled: 5-line block ×6, first 2 shown]
	s_delay_alu instid0(VALU_DEP_1) | instskip(NEXT) | instid1(VALU_DEP_1)
	v_dual_fmac_f32 v124, v55, v104 :: v_dual_fmac_f32 v125, v56, v105
	v_add_f32_e32 v72, v124, v125
	ds_bpermute_b32 v73, v68, v72
	s_and_saveexec_b32 s3, vcc_lo
	s_cbranch_execz .LBB40_9
; %bb.11:                               ;   in Loop: Header=BB40_10 Depth=1
	s_waitcnt lgkmcnt(0)
	v_add_f32_e32 v72, v72, v73
	v_add_nc_u32_e32 v74, s6, v69
	v_cmp_gt_i32_e64 s1, s15, v69
	s_delay_alu instid0(VALU_DEP_2) | instskip(NEXT) | instid1(VALU_DEP_1)
	v_cvt_f32_i32_e32 v74, v74
	v_mul_f32_e32 v74, s30, v74
	s_delay_alu instid0(VALU_DEP_1) | instskip(NEXT) | instid1(VALU_DEP_1)
	v_cndmask_b32_e64 v73, 0, v74, s0
	v_dual_max_f32 v74, v65, v65 :: v_dual_fmac_f32 v73, s31, v72
	s_delay_alu instid0(VALU_DEP_1) | instskip(SKIP_1) | instid1(VALU_DEP_2)
	v_max_f32_e32 v72, v74, v73
	v_cndmask_b32_e64 v73, 0, v73, s1
	v_cndmask_b32_e64 v65, v65, v72, s1
	ds_store_b32 v70, v73
	s_branch .LBB40_9
.LBB40_12:
	s_or_b32 exec_lo, exec_lo, s29
.LBB40_13:
	s_delay_alu instid0(SALU_CYCLE_1) | instskip(SKIP_4) | instid1(VALU_DEP_4)
	s_or_b32 exec_lo, exec_lo, s34
	v_xor_b32_e32 v1, 16, v60
	v_xor_b32_e32 v3, 8, v60
	;; [unrolled: 1-line block ×4, first 2 shown]
	v_cmp_lt_i32_e32 vcc_lo, v1, v63
	v_cndmask_b32_e32 v1, v60, v1, vcc_lo
	v_cmp_lt_i32_e32 vcc_lo, v3, v63
	v_dual_max_f32 v4, v65, v65 :: v_dual_cndmask_b32 v3, v60, v3
	v_cmp_lt_i32_e32 vcc_lo, v5, v63
	s_delay_alu instid0(VALU_DEP_2) | instskip(SKIP_2) | instid1(VALU_DEP_2)
	v_lshlrev_b32_e32 v3, 2, v3
	v_cndmask_b32_e32 v5, v60, v5, vcc_lo
	v_cmp_lt_i32_e32 vcc_lo, v6, v63
	v_dual_cndmask_b32 v6, v60, v6 :: v_dual_lshlrev_b32 v5, 2, v5
	s_delay_alu instid0(VALU_DEP_1) | instskip(SKIP_4) | instid1(VALU_DEP_1)
	v_lshlrev_b32_e32 v66, 2, v6
	v_lshlrev_b32_e32 v2, 2, v1
	v_lshlrev_b32_e32 v6, 2, v64
	ds_bpermute_b32 v1, v2, v65
	v_and_b32_e32 v65, 31, v0
	v_cmp_eq_u32_e32 vcc_lo, 0, v65
	s_waitcnt lgkmcnt(0)
	v_max_f32_e32 v1, v1, v1
	s_delay_alu instid0(VALU_DEP_1) | instskip(SKIP_3) | instid1(VALU_DEP_1)
	v_max_f32_e32 v1, v4, v1
	ds_bpermute_b32 v4, v3, v1
	s_waitcnt lgkmcnt(0)
	v_max_f32_e32 v4, v4, v4
	v_max_f32_e32 v1, v1, v4
	ds_bpermute_b32 v4, v5, v1
	s_waitcnt lgkmcnt(0)
	v_max_f32_e32 v4, v4, v4
	s_delay_alu instid0(VALU_DEP_1)
	v_max_f32_e32 v1, v1, v4
	ds_bpermute_b32 v4, v66, v1
	s_and_saveexec_b32 s0, vcc_lo
	s_cbranch_execz .LBB40_15
; %bb.14:
	s_waitcnt lgkmcnt(0)
	v_dual_max_f32 v4, v4, v4 :: v_dual_max_f32 v1, v1, v1
	s_delay_alu instid0(VALU_DEP_1)
	v_max_f32_e32 v1, v1, v4
	ds_store_b32 v6, v1 offset:448
.LBB40_15:
	s_or_b32 exec_lo, exec_lo, s0
	v_cmp_gt_u32_e64 s0, 4, v65
	v_mov_b32_e32 v1, 0xff7fffff
	v_lshlrev_b32_e32 v7, 2, v65
	s_waitcnt lgkmcnt(0)
	s_barrier
	buffer_gl0_inv
	s_and_saveexec_b32 s1, s0
	s_cbranch_execz .LBB40_17
; %bb.16:
	ds_load_b32 v1, v7 offset:448
.LBB40_17:
	s_or_b32 exec_lo, exec_lo, s1
	s_waitcnt lgkmcnt(0)
	ds_bpermute_b32 v4, v66, v1
	v_xor_b32_e32 v8, 1, v60
	v_max_f32_e32 v1, v1, v1
	v_mov_b32_e32 v9, 0
	s_delay_alu instid0(VALU_DEP_3) | instskip(NEXT) | instid1(VALU_DEP_1)
	v_cmp_lt_i32_e64 s1, v8, v63
	v_cndmask_b32_e64 v8, v60, v8, s1
	s_sub_i32 s1, s17, s7
	s_delay_alu instid0(SALU_CYCLE_1) | instskip(NEXT) | instid1(VALU_DEP_1)
	s_lshl_b32 s1, s1, 4
	v_lshlrev_b32_e32 v67, 2, v8
	v_lshlrev_b32_e32 v8, 2, v60
	s_add_i32 s1, s1, s33
	s_waitcnt lgkmcnt(0)
	v_max_f32_e32 v4, v4, v4
	s_min_i32 s1, s1, s15
	v_and_b32_e32 v8, 0xffffff80, v8
	s_sub_i32 s6, s1, s33
	s_delay_alu instid0(VALU_DEP_2) | instskip(SKIP_4) | instid1(VALU_DEP_1)
	v_max_f32_e32 v1, v1, v4
	v_cmp_gt_i32_e64 s1, s6, v0
	ds_bpermute_b32 v4, v67, v1
	s_waitcnt lgkmcnt(0)
	v_max_f32_e32 v4, v4, v4
	v_max_f32_e32 v1, v1, v4
	v_lshl_add_u32 v4, v0, 2, 0x1e0
	ds_bpermute_b32 v1, v8, v1
	s_and_saveexec_b32 s7, s1
	s_cbranch_execz .LBB40_21
; %bb.18:
	v_lshl_add_u32 v10, v0, 2, 0x1e0
	v_mov_b32_e32 v9, 0
	v_mov_b32_e32 v11, v0
	s_mov_b32 s29, 0
	.p2align	6
.LBB40_19:                              ; =>This Inner Loop Header: Depth=1
	ds_load_b32 v12, v10
	v_add_nc_u32_e32 v11, 0x80, v11
	s_delay_alu instid0(VALU_DEP_1) | instskip(NEXT) | instid1(VALU_DEP_1)
	v_cmp_le_i32_e64 s3, s6, v11
	s_or_b32 s29, s3, s29
	s_waitcnt lgkmcnt(0)
	v_sub_f32_e32 v12, v12, v1
	s_delay_alu instid0(VALU_DEP_1) | instskip(NEXT) | instid1(VALU_DEP_1)
	v_mul_f32_e32 v12, 0x3fb8aa3b, v12
	v_exp_f32_e32 v12, v12
	ds_store_b32 v10, v12
	v_dual_add_f32 v9, v9, v12 :: v_dual_add_nc_u32 v10, 0x200, v10
	s_and_not1_b32 exec_lo, exec_lo, s29
	s_cbranch_execnz .LBB40_19
; %bb.20:
	s_or_b32 exec_lo, exec_lo, s29
.LBB40_21:
	s_delay_alu instid0(SALU_CYCLE_1)
	s_or_b32 exec_lo, exec_lo, s7
	ds_bpermute_b32 v2, v2, v9
	s_waitcnt lgkmcnt(0)
	v_add_f32_e32 v2, v9, v2
	ds_bpermute_b32 v3, v3, v2
	s_waitcnt lgkmcnt(0)
	v_add_f32_e32 v2, v2, v3
	;; [unrolled: 3-line block ×5, first 2 shown]
	s_and_saveexec_b32 s3, vcc_lo
	s_cbranch_execz .LBB40_23
; %bb.22:
	ds_store_b32 v6, v2 offset:464
.LBB40_23:
	s_or_b32 exec_lo, exec_lo, s3
	s_waitcnt lgkmcnt(0)
	s_barrier
	buffer_gl0_inv
	s_and_saveexec_b32 s3, s0
	s_cbranch_execz .LBB40_25
; %bb.24:
	ds_load_b32 v2, v7 offset:464
.LBB40_25:
	s_or_b32 exec_lo, exec_lo, s3
	s_waitcnt lgkmcnt(0)
	ds_bpermute_b32 v3, v66, v2
	s_waitcnt lgkmcnt(0)
	v_add_f32_e32 v2, v2, v3
	ds_bpermute_b32 v3, v67, v2
	s_waitcnt lgkmcnt(0)
	v_add_f32_e32 v2, v2, v3
	ds_bpermute_b32 v2, v8, v2
	s_and_saveexec_b32 s0, s1
	s_cbranch_execz .LBB40_28
; %bb.26:
	s_waitcnt lgkmcnt(0)
	v_add_f32_e32 v3, 0x358637bd, v2
	s_mov_b32 s1, 0
	s_delay_alu instid0(VALU_DEP_1) | instskip(SKIP_1) | instid1(VALU_DEP_2)
	v_div_scale_f32 v5, null, v3, v3, 1.0
	v_div_scale_f32 v8, vcc_lo, 1.0, v3, 1.0
	v_rcp_f32_e32 v6, v5
	s_waitcnt_depctr 0xfff
	v_fma_f32 v7, -v5, v6, 1.0
	s_delay_alu instid0(VALU_DEP_1) | instskip(NEXT) | instid1(VALU_DEP_1)
	v_fmac_f32_e32 v6, v7, v6
	v_mul_f32_e32 v7, v8, v6
	s_delay_alu instid0(VALU_DEP_1) | instskip(NEXT) | instid1(VALU_DEP_1)
	v_fma_f32 v9, -v5, v7, v8
	v_fmac_f32_e32 v7, v9, v6
	s_delay_alu instid0(VALU_DEP_1) | instskip(NEXT) | instid1(VALU_DEP_1)
	v_fma_f32 v5, -v5, v7, v8
	v_div_fmas_f32 v5, v5, v6, v7
	s_delay_alu instid0(VALU_DEP_1)
	v_div_fixup_f32 v3, v5, v3, 1.0
	v_mov_b32_e32 v5, v0
.LBB40_27:                              ; =>This Inner Loop Header: Depth=1
	ds_load_b32 v6, v4
	s_waitcnt lgkmcnt(0)
	v_dual_mul_f32 v6, v3, v6 :: v_dual_add_nc_u32 v5, 0x80, v5
	s_delay_alu instid0(VALU_DEP_1) | instskip(SKIP_3) | instid1(SALU_CYCLE_1)
	v_cmp_le_i32_e32 vcc_lo, s6, v5
	ds_store_b32 v4, v6
	v_add_nc_u32_e32 v4, 0x200, v4
	s_or_b32 s1, vcc_lo, s1
	s_and_not1_b32 exec_lo, exec_lo, s1
	s_cbranch_execnz .LBB40_27
.LBB40_28:
	s_or_b32 exec_lo, exec_lo, s0
	s_mul_i32 s0, s4, s14
	s_waitcnt lgkmcnt(0)
	s_mul_i32 s6, s0, s13
	s_mov_b32 s0, exec_lo
	s_barrier
	buffer_gl0_inv
	v_cmpx_eq_u32_e32 0, v0
	s_cbranch_execz .LBB40_30
; %bb.29:
	s_ashr_i32 s7, s6, 31
	s_mul_i32 s34, s4, s20
	s_lshl_b64 s[30:31], s[6:7], 2
	v_mov_b32_e32 v3, 0
	s_add_u32 s1, s10, s30
	s_addc_u32 s3, s11, s31
	s_ashr_i32 s35, s34, 31
	s_delay_alu instid0(SALU_CYCLE_1) | instskip(NEXT) | instid1(SALU_CYCLE_1)
	s_lshl_b64 s[10:11], s[34:35], 2
	s_add_u32 s1, s1, s10
	s_addc_u32 s3, s3, s11
	s_ashr_i32 s13, s12, 31
	s_delay_alu instid0(SALU_CYCLE_1) | instskip(NEXT) | instid1(SALU_CYCLE_1)
	s_lshl_b64 s[34:35], s[12:13], 2
	s_add_u32 s36, s1, s34
	s_addc_u32 s37, s3, s35
	s_add_u32 s1, s8, s30
	s_addc_u32 s3, s9, s31
	;; [unrolled: 2-line block ×4, first 2 shown]
	s_clause 0x1
	global_store_b32 v3, v1, s[36:37]
	global_store_b32 v3, v2, s[8:9]
.LBB40_30:
	s_or_b32 exec_lo, exec_lo, s0
	v_dual_mov_b32 v80, 0 :: v_dual_mov_b32 v81, 0
	v_dual_mov_b32 v79, 0 :: v_dual_and_b32 v68, 3, v0
	v_dual_mov_b32 v82, 0 :: v_dual_mov_b32 v77, 0
	v_dual_mov_b32 v78, 0 :: v_dual_mov_b32 v75, 0
	;; [unrolled: 1-line block ×5, first 2 shown]
	v_mov_b32_e32 v70, 0
	s_and_saveexec_b32 s1, s2
	s_cbranch_execz .LBB40_62
; %bb.31:
	v_dual_mov_b32 v70, 0 :: v_dual_and_b32 v1, 12, v59
	v_dual_mov_b32 v69, 0 :: v_dual_lshlrev_b32 v2, 4, v68
	v_lshl_add_u32 v7, v64, 4, s33
	s_ashr_i32 s29, s28, 31
	v_dual_mov_b32 v72, 0 :: v_dual_and_b32 v3, 0x7c, v59
	s_lshl_b64 s[2:3], s[28:29], 2
	v_lshl_or_b32 v10, v64, 6, v2
	v_add3_u32 v83, v7, v1, 3
	v_lshlrev_b64 v[1:2], 2, v[61:62]
	s_add_u32 s2, s26, s2
	s_addc_u32 s3, s27, s3
	s_lshl_b64 s[8:9], s[24:25], 2
	s_add_i32 s21, s21, -1
	v_or_b32_e32 v4, 0x400, v3
	v_or_b32_e32 v5, 0x480, v3
	;; [unrolled: 1-line block ×6, first 2 shown]
	s_add_u32 s0, s22, s8
	s_addc_u32 s7, s23, s9
	v_add_co_u32 v62, vcc_lo, s0, v1
	v_dual_mov_b32 v71, 0 :: v_dual_add_nc_u32 v84, 0x1e0, v10
	v_add_co_ci_u32_e32 v63, vcc_lo, s7, v2, vcc_lo
	v_dual_mov_b32 v74, 0 :: v_dual_lshlrev_b32 v85, 2, v3
	v_dual_mov_b32 v73, 0 :: v_dual_lshlrev_b32 v86, 2, v4
	;; [unrolled: 1-line block ×7, first 2 shown]
	v_dual_mov_b32 v79, 0 :: v_dual_mov_b32 v80, 0
	v_mov_b32_e32 v81, 0
	s_mov_b32 s7, s5
	s_mov_b32 s5, 0
	s_branch .LBB40_33
.LBB40_32:                              ;   in Loop: Header=BB40_33 Depth=1
	s_or_b32 exec_lo, exec_lo, s0
	s_waitcnt vmcnt(6) lgkmcnt(0)
	v_mul_f32_e32 v34, v2, v34
	v_mul_f32_e32 v26, v2, v26
	s_waitcnt vmcnt(1)
	v_dual_mul_f32 v58, v2, v58 :: v_dual_add_nc_u32 v61, 4, v61
	v_dual_mul_f32 v54, v2, v54 :: v_dual_add_nc_u32 v83, 64, v83
	v_fmac_f32_e32 v34, v1, v33
	v_mul_f32_e32 v50, v2, v50
	v_mul_f32_e32 v42, v2, v42
	;; [unrolled: 1-line block ×5, first 2 shown]
	v_fmac_f32_e32 v26, v1, v25
	v_fmac_f32_e32 v34, v3, v35
	v_mul_f32_e32 v18, v2, v18
	v_mul_f32_e32 v14, v2, v14
	;; [unrolled: 1-line block ×4, first 2 shown]
	s_waitcnt vmcnt(0)
	v_mul_f32_e32 v2, v2, v46
	v_fmac_f32_e32 v26, v3, v27
	v_fmac_f32_e32 v34, v4, v36
	v_fmac_f32_e32 v54, v1, v53
	v_fmac_f32_e32 v18, v1, v17
	v_fmac_f32_e32 v2, v1, v45
	s_delay_alu instid0(VALU_DEP_4) | instskip(SKIP_4) | instid1(VALU_DEP_4)
	v_dual_fmac_f32 v42, v1, v41 :: v_dual_add_f32 v75, v75, v34
	v_fmac_f32_e32 v26, v4, v28
	v_fmac_f32_e32 v54, v3, v55
	v_fmac_f32_e32 v14, v1, v13
	v_fmac_f32_e32 v18, v3, v19
	v_dual_fmac_f32 v2, v3, v47 :: v_dual_add_f32 v77, v77, v26
	s_delay_alu instid0(VALU_DEP_4) | instskip(SKIP_3) | instid1(VALU_DEP_4)
	v_fmac_f32_e32 v54, v4, v56
	v_fmac_f32_e32 v58, v1, v57
	;; [unrolled: 1-line block ×4, first 2 shown]
	v_dual_fmac_f32 v22, v1, v21 :: v_dual_add_f32 v71, v71, v54
	v_fmac_f32_e32 v10, v1, v9
	v_fmac_f32_e32 v6, v1, v5
	;; [unrolled: 1-line block ×9, first 2 shown]
	s_delay_alu instid0(VALU_DEP_4) | instskip(NEXT) | instid1(VALU_DEP_4)
	v_dual_fmac_f32 v22, v3, v23 :: v_dual_add_f32 v69, v69, v2
	v_fmac_f32_e32 v42, v4, v44
	v_fmac_f32_e32 v58, v3, v59
	;; [unrolled: 1-line block ×4, first 2 shown]
	s_delay_alu instid0(VALU_DEP_4) | instskip(SKIP_2) | instid1(VALU_DEP_3)
	v_dual_fmac_f32 v14, v4, v16 :: v_dual_add_f32 v73, v73, v42
	v_add_f32_e32 v79, v79, v18
	v_fmac_f32_e32 v50, v3, v51
	v_dual_fmac_f32 v58, v4, v60 :: v_dual_add_f32 v81, v81, v14
	v_fmac_f32_e32 v38, v4, v40
	v_fmac_f32_e32 v30, v4, v32
	s_delay_alu instid0(VALU_DEP_4)
	v_fmac_f32_e32 v50, v4, v52
	v_fmac_f32_e32 v22, v4, v24
	;; [unrolled: 1-line block ×4, first 2 shown]
	v_cmp_le_i32_e32 vcc_lo, s17, v61
	v_add_co_u32 v62, s0, v62, 16
	v_add_f32_e32 v70, v70, v58
	v_add_f32_e32 v72, v72, v50
	;; [unrolled: 1-line block ×7, first 2 shown]
	v_add_nc_u32_e32 v84, 0x100, v84
	v_add_co_ci_u32_e64 v63, s0, 0, v63, s0
	s_or_b32 s5, vcc_lo, s5
	s_delay_alu instid0(SALU_CYCLE_1)
	s_and_not1_b32 exec_lo, exec_lo, s5
	s_cbranch_execz .LBB40_61
.LBB40_33:                              ; =>This Inner Loop Header: Depth=1
	global_load_b32 v3, v[62:63], off
	v_add_nc_u32_e32 v92, -3, v83
	v_add_nc_u32_e32 v94, -2, v83
	;; [unrolled: 1-line block ×3, first 2 shown]
	s_waitcnt vmcnt(0)
	v_mad_i64_i32 v[1:2], null, v3, s7, 0
	s_delay_alu instid0(VALU_DEP_1) | instskip(NEXT) | instid1(VALU_DEP_1)
	v_lshlrev_b64 v[1:2], 2, v[1:2]
	v_add_co_u32 v45, vcc_lo, s2, v1
	s_delay_alu instid0(VALU_DEP_2)
	v_add_co_ci_u32_e32 v46, vcc_lo, s3, v2, vcc_lo
	ds_load_b128 v[1:4], v84
	v_add_co_u32 v33, vcc_lo, v45, v85
	v_add_co_ci_u32_e32 v34, vcc_lo, 0, v46, vcc_lo
	v_cmp_eq_u32_e32 vcc_lo, s21, v61
	global_load_b128 v[5:8], v[33:34], off
	s_and_saveexec_b32 s8, vcc_lo
	s_cbranch_execnz .LBB40_54
; %bb.34:                               ;   in Loop: Header=BB40_33 Depth=1
	s_or_b32 exec_lo, exec_lo, s8
	global_load_b128 v[9:12], v[33:34], off offset:512
	s_and_saveexec_b32 s8, vcc_lo
	s_cbranch_execnz .LBB40_55
.LBB40_35:                              ;   in Loop: Header=BB40_33 Depth=1
	s_or_b32 exec_lo, exec_lo, s8
	global_load_b128 v[13:16], v[33:34], off offset:1024
	s_and_saveexec_b32 s8, vcc_lo
	s_cbranch_execnz .LBB40_56
.LBB40_36:                              ;   in Loop: Header=BB40_33 Depth=1
	s_or_b32 exec_lo, exec_lo, s8
	global_load_b128 v[17:20], v[33:34], off offset:1536
	s_and_saveexec_b32 s8, vcc_lo
	s_cbranch_execnz .LBB40_57
.LBB40_37:                              ;   in Loop: Header=BB40_33 Depth=1
	s_or_b32 exec_lo, exec_lo, s8
	global_load_b128 v[21:24], v[33:34], off offset:2048
	s_and_saveexec_b32 s8, vcc_lo
	s_cbranch_execnz .LBB40_58
.LBB40_38:                              ;   in Loop: Header=BB40_33 Depth=1
	s_or_b32 exec_lo, exec_lo, s8
	global_load_b128 v[25:28], v[33:34], off offset:2560
	s_and_saveexec_b32 s8, vcc_lo
	s_cbranch_execnz .LBB40_59
.LBB40_39:                              ;   in Loop: Header=BB40_33 Depth=1
	s_or_b32 exec_lo, exec_lo, s8
	global_load_b128 v[29:32], v[33:34], off offset:3072
	s_and_saveexec_b32 s8, vcc_lo
	s_cbranch_execnz .LBB40_60
.LBB40_40:                              ;   in Loop: Header=BB40_33 Depth=1
	s_or_b32 exec_lo, exec_lo, s8
	global_load_b128 v[33:36], v[33:34], off offset:3584
	s_and_saveexec_b32 s8, vcc_lo
	s_cbranch_execz .LBB40_42
.LBB40_41:                              ;   in Loop: Header=BB40_33 Depth=1
	v_cmp_gt_i32_e64 s0, s15, v92
	s_waitcnt vmcnt(0)
	s_delay_alu instid0(VALU_DEP_1) | instskip(SKIP_1) | instid1(VALU_DEP_1)
	v_cndmask_b32_e64 v33, 0, v33, s0
	v_cmp_gt_i32_e64 s0, s15, v94
	v_cndmask_b32_e64 v34, 0, v34, s0
	v_cmp_gt_i32_e64 s0, s15, v93
	s_delay_alu instid0(VALU_DEP_1) | instskip(SKIP_1) | instid1(VALU_DEP_1)
	v_cndmask_b32_e64 v35, 0, v35, s0
	v_cmp_gt_i32_e64 s0, s15, v83
	v_cndmask_b32_e64 v36, 0, v36, s0
.LBB40_42:                              ;   in Loop: Header=BB40_33 Depth=1
	s_or_b32 exec_lo, exec_lo, s8
	v_add_co_u32 v37, s0, v45, v86
	s_delay_alu instid0(VALU_DEP_1)
	v_add_co_ci_u32_e64 v38, s0, 0, v46, s0
	global_load_b128 v[37:40], v[37:38], off
	s_and_saveexec_b32 s8, vcc_lo
	s_cbranch_execz .LBB40_44
; %bb.43:                               ;   in Loop: Header=BB40_33 Depth=1
	v_cmp_gt_i32_e64 s0, s15, v92
	s_waitcnt vmcnt(0)
	s_delay_alu instid0(VALU_DEP_1) | instskip(SKIP_1) | instid1(VALU_DEP_1)
	v_cndmask_b32_e64 v37, 0, v37, s0
	v_cmp_gt_i32_e64 s0, s15, v94
	v_cndmask_b32_e64 v38, 0, v38, s0
	v_cmp_gt_i32_e64 s0, s15, v93
	s_delay_alu instid0(VALU_DEP_1) | instskip(SKIP_1) | instid1(VALU_DEP_1)
	v_cndmask_b32_e64 v39, 0, v39, s0
	v_cmp_gt_i32_e64 s0, s15, v83
	v_cndmask_b32_e64 v40, 0, v40, s0
.LBB40_44:                              ;   in Loop: Header=BB40_33 Depth=1
	s_or_b32 exec_lo, exec_lo, s8
	v_add_co_u32 v41, s0, v45, v87
	s_delay_alu instid0(VALU_DEP_1)
	v_add_co_ci_u32_e64 v42, s0, 0, v46, s0
	global_load_b128 v[41:44], v[41:42], off
	s_and_saveexec_b32 s8, vcc_lo
	s_cbranch_execz .LBB40_46
; %bb.45:                               ;   in Loop: Header=BB40_33 Depth=1
	v_cmp_gt_i32_e64 s0, s15, v92
	s_waitcnt vmcnt(0)
	s_delay_alu instid0(VALU_DEP_1) | instskip(SKIP_1) | instid1(VALU_DEP_1)
	v_cndmask_b32_e64 v41, 0, v41, s0
	v_cmp_gt_i32_e64 s0, s15, v94
	v_cndmask_b32_e64 v42, 0, v42, s0
	v_cmp_gt_i32_e64 s0, s15, v93
	s_delay_alu instid0(VALU_DEP_1) | instskip(SKIP_1) | instid1(VALU_DEP_1)
	v_cndmask_b32_e64 v43, 0, v43, s0
	v_cmp_gt_i32_e64 s0, s15, v83
	v_cndmask_b32_e64 v44, 0, v44, s0
.LBB40_46:                              ;   in Loop: Header=BB40_33 Depth=1
	;; [unrolled: 20-line block ×5, first 2 shown]
	s_or_b32 exec_lo, exec_lo, s8
	v_add_co_u32 v45, s0, v45, v91
	s_delay_alu instid0(VALU_DEP_1)
	v_add_co_ci_u32_e64 v46, s0, 0, v46, s0
	global_load_b128 v[45:48], v[45:46], off
	s_and_saveexec_b32 s0, vcc_lo
	s_cbranch_execz .LBB40_32
; %bb.53:                               ;   in Loop: Header=BB40_33 Depth=1
	v_cmp_gt_i32_e32 vcc_lo, s15, v92
	s_waitcnt vmcnt(0)
	v_cndmask_b32_e32 v45, 0, v45, vcc_lo
	v_cmp_gt_i32_e32 vcc_lo, s15, v94
	v_cndmask_b32_e32 v46, 0, v46, vcc_lo
	v_cmp_gt_i32_e32 vcc_lo, s15, v93
	;; [unrolled: 2-line block ×3, first 2 shown]
	v_cndmask_b32_e32 v48, 0, v48, vcc_lo
	s_branch .LBB40_32
.LBB40_54:                              ;   in Loop: Header=BB40_33 Depth=1
	v_cmp_gt_i32_e64 s0, s15, v92
	s_waitcnt vmcnt(0)
	s_delay_alu instid0(VALU_DEP_1) | instskip(SKIP_1) | instid1(VALU_DEP_1)
	v_cndmask_b32_e64 v5, 0, v5, s0
	v_cmp_gt_i32_e64 s0, s15, v94
	v_cndmask_b32_e64 v6, 0, v6, s0
	v_cmp_gt_i32_e64 s0, s15, v93
	s_delay_alu instid0(VALU_DEP_1) | instskip(SKIP_1) | instid1(VALU_DEP_1)
	v_cndmask_b32_e64 v7, 0, v7, s0
	v_cmp_gt_i32_e64 s0, s15, v83
	v_cndmask_b32_e64 v8, 0, v8, s0
	s_or_b32 exec_lo, exec_lo, s8
	global_load_b128 v[9:12], v[33:34], off offset:512
	s_and_saveexec_b32 s8, vcc_lo
	s_cbranch_execz .LBB40_35
.LBB40_55:                              ;   in Loop: Header=BB40_33 Depth=1
	v_cmp_gt_i32_e64 s0, s15, v92
	s_waitcnt vmcnt(0)
	s_delay_alu instid0(VALU_DEP_1) | instskip(SKIP_1) | instid1(VALU_DEP_1)
	v_cndmask_b32_e64 v9, 0, v9, s0
	v_cmp_gt_i32_e64 s0, s15, v94
	v_cndmask_b32_e64 v10, 0, v10, s0
	v_cmp_gt_i32_e64 s0, s15, v93
	s_delay_alu instid0(VALU_DEP_1) | instskip(SKIP_1) | instid1(VALU_DEP_1)
	v_cndmask_b32_e64 v11, 0, v11, s0
	v_cmp_gt_i32_e64 s0, s15, v83
	v_cndmask_b32_e64 v12, 0, v12, s0
	s_or_b32 exec_lo, exec_lo, s8
	global_load_b128 v[13:16], v[33:34], off offset:1024
	s_and_saveexec_b32 s8, vcc_lo
	s_cbranch_execz .LBB40_36
.LBB40_56:                              ;   in Loop: Header=BB40_33 Depth=1
	v_cmp_gt_i32_e64 s0, s15, v92
	s_waitcnt vmcnt(0)
	s_delay_alu instid0(VALU_DEP_1) | instskip(SKIP_1) | instid1(VALU_DEP_1)
	v_cndmask_b32_e64 v13, 0, v13, s0
	v_cmp_gt_i32_e64 s0, s15, v94
	v_cndmask_b32_e64 v14, 0, v14, s0
	v_cmp_gt_i32_e64 s0, s15, v93
	s_delay_alu instid0(VALU_DEP_1) | instskip(SKIP_1) | instid1(VALU_DEP_1)
	v_cndmask_b32_e64 v15, 0, v15, s0
	v_cmp_gt_i32_e64 s0, s15, v83
	v_cndmask_b32_e64 v16, 0, v16, s0
	s_or_b32 exec_lo, exec_lo, s8
	global_load_b128 v[17:20], v[33:34], off offset:1536
	s_and_saveexec_b32 s8, vcc_lo
	s_cbranch_execz .LBB40_37
.LBB40_57:                              ;   in Loop: Header=BB40_33 Depth=1
	v_cmp_gt_i32_e64 s0, s15, v92
	s_waitcnt vmcnt(0)
	s_delay_alu instid0(VALU_DEP_1) | instskip(SKIP_1) | instid1(VALU_DEP_1)
	v_cndmask_b32_e64 v17, 0, v17, s0
	v_cmp_gt_i32_e64 s0, s15, v94
	v_cndmask_b32_e64 v18, 0, v18, s0
	v_cmp_gt_i32_e64 s0, s15, v93
	s_delay_alu instid0(VALU_DEP_1) | instskip(SKIP_1) | instid1(VALU_DEP_1)
	v_cndmask_b32_e64 v19, 0, v19, s0
	v_cmp_gt_i32_e64 s0, s15, v83
	v_cndmask_b32_e64 v20, 0, v20, s0
	s_or_b32 exec_lo, exec_lo, s8
	global_load_b128 v[21:24], v[33:34], off offset:2048
	s_and_saveexec_b32 s8, vcc_lo
	s_cbranch_execz .LBB40_38
.LBB40_58:                              ;   in Loop: Header=BB40_33 Depth=1
	v_cmp_gt_i32_e64 s0, s15, v92
	s_waitcnt vmcnt(0)
	s_delay_alu instid0(VALU_DEP_1) | instskip(SKIP_1) | instid1(VALU_DEP_1)
	v_cndmask_b32_e64 v21, 0, v21, s0
	v_cmp_gt_i32_e64 s0, s15, v94
	v_cndmask_b32_e64 v22, 0, v22, s0
	v_cmp_gt_i32_e64 s0, s15, v93
	s_delay_alu instid0(VALU_DEP_1) | instskip(SKIP_1) | instid1(VALU_DEP_1)
	v_cndmask_b32_e64 v23, 0, v23, s0
	v_cmp_gt_i32_e64 s0, s15, v83
	v_cndmask_b32_e64 v24, 0, v24, s0
	s_or_b32 exec_lo, exec_lo, s8
	global_load_b128 v[25:28], v[33:34], off offset:2560
	s_and_saveexec_b32 s8, vcc_lo
	s_cbranch_execz .LBB40_39
.LBB40_59:                              ;   in Loop: Header=BB40_33 Depth=1
	v_cmp_gt_i32_e64 s0, s15, v92
	s_waitcnt vmcnt(0)
	s_delay_alu instid0(VALU_DEP_1) | instskip(SKIP_1) | instid1(VALU_DEP_1)
	v_cndmask_b32_e64 v25, 0, v25, s0
	v_cmp_gt_i32_e64 s0, s15, v94
	v_cndmask_b32_e64 v26, 0, v26, s0
	v_cmp_gt_i32_e64 s0, s15, v93
	s_delay_alu instid0(VALU_DEP_1) | instskip(SKIP_1) | instid1(VALU_DEP_1)
	v_cndmask_b32_e64 v27, 0, v27, s0
	v_cmp_gt_i32_e64 s0, s15, v83
	v_cndmask_b32_e64 v28, 0, v28, s0
	s_or_b32 exec_lo, exec_lo, s8
	global_load_b128 v[29:32], v[33:34], off offset:3072
	s_and_saveexec_b32 s8, vcc_lo
	s_cbranch_execz .LBB40_40
.LBB40_60:                              ;   in Loop: Header=BB40_33 Depth=1
	v_cmp_gt_i32_e64 s0, s15, v92
	s_waitcnt vmcnt(0)
	s_delay_alu instid0(VALU_DEP_1) | instskip(SKIP_1) | instid1(VALU_DEP_1)
	v_cndmask_b32_e64 v29, 0, v29, s0
	v_cmp_gt_i32_e64 s0, s15, v94
	v_cndmask_b32_e64 v30, 0, v30, s0
	v_cmp_gt_i32_e64 s0, s15, v93
	s_delay_alu instid0(VALU_DEP_1) | instskip(SKIP_1) | instid1(VALU_DEP_1)
	v_cndmask_b32_e64 v31, 0, v31, s0
	v_cmp_gt_i32_e64 s0, s15, v83
	v_cndmask_b32_e64 v32, 0, v32, s0
	s_or_b32 exec_lo, exec_lo, s8
	global_load_b128 v[33:36], v[33:34], off offset:3584
	s_and_saveexec_b32 s8, vcc_lo
	s_cbranch_execnz .LBB40_41
	s_branch .LBB40_42
.LBB40_61:
	s_or_b32 exec_lo, exec_lo, s5
.LBB40_62:
	s_delay_alu instid0(SALU_CYCLE_1)
	s_or_b32 exec_lo, exec_lo, s1
	ds_bpermute_b32 v1, v66, v80
	ds_bpermute_b32 v3, v66, v81
	;; [unrolled: 1-line block ×14, first 2 shown]
	s_movk_i32 s0, 0x1c0
	s_waitcnt lgkmcnt(0)
	s_waitcnt_vscnt null, 0x0
	s_barrier
	buffer_gl0_inv
	v_add_f32_e32 v1, v80, v1
	v_dual_add_f32 v3, v81, v3 :: v_dual_add_f32 v2, v82, v2
	v_dual_add_f32 v4, v79, v4 :: v_dual_add_f32 v5, v78, v5
	;; [unrolled: 1-line block ×3, first 2 shown]
	v_add_f32_e32 v8, v75, v8
	ds_bpermute_b32 v15, v67, v1
	ds_bpermute_b32 v17, v67, v3
	v_dual_add_f32 v9, v74, v9 :: v_dual_add_f32 v10, v73, v10
	v_dual_add_f32 v11, v72, v11 :: v_dual_add_f32 v12, v71, v12
	v_dual_add_f32 v13, v70, v13 :: v_dual_add_f32 v14, v69, v14
	ds_bpermute_b32 v16, v67, v2
	ds_bpermute_b32 v18, v67, v4
	;; [unrolled: 1-line block ×12, first 2 shown]
	s_waitcnt lgkmcnt(13)
	v_add_f32_e32 v1, v1, v15
	s_waitcnt lgkmcnt(12)
	v_add_f32_e32 v3, v3, v17
	v_and_b32_e32 v17, 0x3c3, v0
	v_lshrrev_b32_e32 v15, 2, v65
	s_delay_alu instid0(VALU_DEP_2)
	v_cmp_eq_u32_e32 vcc_lo, 64, v17
	s_waitcnt lgkmcnt(11)
	v_add_f32_e32 v2, v2, v16
	s_waitcnt lgkmcnt(9)
	v_dual_add_f32 v4, v4, v18 :: v_dual_add_f32 v5, v5, v19
	s_waitcnt lgkmcnt(7)
	v_dual_add_f32 v6, v6, v20 :: v_dual_add_f32 v7, v7, v21
	;; [unrolled: 2-line block ×5, first 2 shown]
	s_waitcnt lgkmcnt(0)
	v_add_f32_e32 v14, v14, v28
	v_mad_u32_u24 v16, v64, s0, 0x1e0
	v_lshlrev_b32_e32 v17, 2, v15
	s_and_saveexec_b32 s0, vcc_lo
	s_cbranch_execz .LBB40_64
; %bb.63:
	s_delay_alu instid0(VALU_DEP_1)
	v_add3_u32 v18, v16, v17, 0xfffffc80
	ds_store_2addr_b32 v18, v1, v2 offset1:8
	ds_store_2addr_b32 v18, v3, v4 offset0:16 offset1:24
	ds_store_2addr_b32 v18, v5, v6 offset0:32 offset1:40
	;; [unrolled: 1-line block ×6, first 2 shown]
.LBB40_64:
	s_or_b32 exec_lo, exec_lo, s0
	v_cmp_eq_u32_e32 vcc_lo, 0, v68
	s_mov_b32 s1, exec_lo
	s_waitcnt lgkmcnt(0)
	s_barrier
	buffer_gl0_inv
	v_cmpx_gt_u32_e32 64, v0
	s_cbranch_execz .LBB40_81
; %bb.65:
	s_and_saveexec_b32 s0, vcc_lo
	s_cbranch_execnz .LBB40_103
; %bb.66:
	s_or_b32 exec_lo, exec_lo, s0
	s_and_saveexec_b32 s0, vcc_lo
	s_cbranch_execnz .LBB40_104
.LBB40_67:
	s_or_b32 exec_lo, exec_lo, s0
	s_and_saveexec_b32 s0, vcc_lo
	s_cbranch_execnz .LBB40_105
.LBB40_68:
	s_or_b32 exec_lo, exec_lo, s0
	s_and_saveexec_b32 s0, vcc_lo
	s_cbranch_execnz .LBB40_106
.LBB40_69:
	s_or_b32 exec_lo, exec_lo, s0
	s_and_saveexec_b32 s0, vcc_lo
	s_cbranch_execnz .LBB40_107
.LBB40_70:
	s_or_b32 exec_lo, exec_lo, s0
	s_and_saveexec_b32 s0, vcc_lo
	s_cbranch_execnz .LBB40_108
.LBB40_71:
	s_or_b32 exec_lo, exec_lo, s0
	s_and_saveexec_b32 s0, vcc_lo
	s_cbranch_execnz .LBB40_109
.LBB40_72:
	s_or_b32 exec_lo, exec_lo, s0
	s_and_saveexec_b32 s0, vcc_lo
	s_cbranch_execnz .LBB40_110
.LBB40_73:
	s_or_b32 exec_lo, exec_lo, s0
	s_and_saveexec_b32 s0, vcc_lo
	s_cbranch_execnz .LBB40_111
.LBB40_74:
	s_or_b32 exec_lo, exec_lo, s0
	s_and_saveexec_b32 s0, vcc_lo
	s_cbranch_execnz .LBB40_112
.LBB40_75:
	s_or_b32 exec_lo, exec_lo, s0
	s_and_saveexec_b32 s0, vcc_lo
	s_cbranch_execnz .LBB40_113
.LBB40_76:
	s_or_b32 exec_lo, exec_lo, s0
	s_and_saveexec_b32 s0, vcc_lo
	s_cbranch_execnz .LBB40_114
.LBB40_77:
	s_or_b32 exec_lo, exec_lo, s0
	s_and_saveexec_b32 s0, vcc_lo
	s_cbranch_execnz .LBB40_115
.LBB40_78:
	s_or_b32 exec_lo, exec_lo, s0
	s_and_saveexec_b32 s0, vcc_lo
	s_cbranch_execz .LBB40_80
.LBB40_79:
	v_lshl_add_u32 v18, v15, 2, v16
	ds_load_b32 v18, v18 offset:416
	s_waitcnt lgkmcnt(0)
	v_add_f32_e32 v14, v14, v18
.LBB40_80:
	s_or_b32 exec_lo, exec_lo, s0
.LBB40_81:
	s_delay_alu instid0(SALU_CYCLE_1)
	s_or_b32 exec_lo, exec_lo, s1
	v_and_b32_e32 v18, 0x3e3, v0
	s_mov_b32 s1, exec_lo
	s_barrier
	buffer_gl0_inv
	v_cmpx_eq_u32_e32 32, v18
	s_cbranch_execz .LBB40_83
; %bb.82:
	v_add3_u32 v17, v16, v17, 0xfffffe40
	ds_store_2addr_b32 v17, v1, v2 offset1:8
	ds_store_2addr_b32 v17, v3, v4 offset0:16 offset1:24
	ds_store_2addr_b32 v17, v5, v6 offset0:32 offset1:40
	;; [unrolled: 1-line block ×6, first 2 shown]
.LBB40_83:
	s_or_b32 exec_lo, exec_lo, s1
	s_delay_alu instid0(SALU_CYCLE_1)
	s_mov_b32 s1, exec_lo
	s_waitcnt lgkmcnt(0)
	s_barrier
	buffer_gl0_inv
	v_cmpx_gt_u32_e32 32, v0
	s_cbranch_execz .LBB40_100
; %bb.84:
	v_lshl_add_u32 v15, v15, 2, v16
	s_and_saveexec_b32 s0, vcc_lo
	s_cbranch_execnz .LBB40_116
; %bb.85:
	s_or_b32 exec_lo, exec_lo, s0
	s_and_saveexec_b32 s0, vcc_lo
	s_cbranch_execnz .LBB40_117
.LBB40_86:
	s_or_b32 exec_lo, exec_lo, s0
	s_and_saveexec_b32 s0, vcc_lo
	s_cbranch_execnz .LBB40_118
.LBB40_87:
	s_or_b32 exec_lo, exec_lo, s0
	s_and_saveexec_b32 s0, vcc_lo
	s_cbranch_execnz .LBB40_119
.LBB40_88:
	s_or_b32 exec_lo, exec_lo, s0
	s_and_saveexec_b32 s0, vcc_lo
	s_cbranch_execnz .LBB40_120
.LBB40_89:
	s_or_b32 exec_lo, exec_lo, s0
	s_and_saveexec_b32 s0, vcc_lo
	s_cbranch_execnz .LBB40_121
.LBB40_90:
	s_or_b32 exec_lo, exec_lo, s0
	s_and_saveexec_b32 s0, vcc_lo
	s_cbranch_execnz .LBB40_122
.LBB40_91:
	s_or_b32 exec_lo, exec_lo, s0
	s_and_saveexec_b32 s0, vcc_lo
	s_cbranch_execnz .LBB40_123
.LBB40_92:
	s_or_b32 exec_lo, exec_lo, s0
	s_and_saveexec_b32 s0, vcc_lo
	s_cbranch_execnz .LBB40_124
.LBB40_93:
	s_or_b32 exec_lo, exec_lo, s0
	s_and_saveexec_b32 s0, vcc_lo
	s_cbranch_execnz .LBB40_125
.LBB40_94:
	s_or_b32 exec_lo, exec_lo, s0
	s_and_saveexec_b32 s0, vcc_lo
	s_cbranch_execnz .LBB40_126
.LBB40_95:
	s_or_b32 exec_lo, exec_lo, s0
	s_and_saveexec_b32 s0, vcc_lo
	s_cbranch_execnz .LBB40_127
.LBB40_96:
	s_or_b32 exec_lo, exec_lo, s0
	s_and_saveexec_b32 s0, vcc_lo
	s_cbranch_execnz .LBB40_128
.LBB40_97:
	s_or_b32 exec_lo, exec_lo, s0
	s_and_saveexec_b32 s0, vcc_lo
	s_cbranch_execz .LBB40_99
.LBB40_98:
	ds_load_b32 v15, v15 offset:416
	s_waitcnt lgkmcnt(0)
	v_add_f32_e32 v14, v14, v15
.LBB40_99:
	s_or_b32 exec_lo, exec_lo, s0
.LBB40_100:
	s_delay_alu instid0(SALU_CYCLE_1)
	s_or_b32 exec_lo, exec_lo, s1
	s_barrier
	buffer_gl0_inv
	s_mov_b32 s0, exec_lo
	v_cmpx_eq_u32_e32 0, v18
	s_cbranch_execz .LBB40_102
; %bb.101:
	s_mul_i32 s0, s6, 0x70
	s_mul_i32 s2, s4, s16
	s_ashr_i32 s1, s0, 31
	s_delay_alu instid0(SALU_CYCLE_1) | instskip(NEXT) | instid1(SALU_CYCLE_1)
	s_lshl_b64 s[0:1], s[0:1], 2
	s_add_u32 s4, s18, s0
	s_addc_u32 s5, s19, s1
	s_ashr_i32 s3, s2, 31
	s_delay_alu instid0(SALU_CYCLE_1) | instskip(SKIP_4) | instid1(SALU_CYCLE_1)
	s_lshl_b64 s[0:1], s[2:3], 2
	s_mul_i32 s2, s12, 0x70
	s_add_u32 s4, s4, s0
	s_addc_u32 s5, s5, s1
	s_ashr_i32 s3, s2, 31
	s_lshl_b64 s[0:1], s[2:3], 2
	s_delay_alu instid0(SALU_CYCLE_1)
	s_add_u32 s0, s4, s0
	s_addc_u32 s1, s5, s1
	s_clause 0xd
	global_store_b32 v0, v1, s[0:1]
	global_store_b32 v0, v2, s[0:1] offset:32
	global_store_b32 v0, v3, s[0:1] offset:64
	;; [unrolled: 1-line block ×13, first 2 shown]
.LBB40_102:
	s_nop 0
	s_sendmsg sendmsg(MSG_DEALLOC_VGPRS)
	s_endpgm
.LBB40_103:
	v_lshl_add_u32 v18, v15, 2, v16
	ds_load_b32 v18, v18
	s_waitcnt lgkmcnt(0)
	v_add_f32_e32 v1, v1, v18
	s_or_b32 exec_lo, exec_lo, s0
	s_and_saveexec_b32 s0, vcc_lo
	s_cbranch_execz .LBB40_67
.LBB40_104:
	v_lshl_add_u32 v18, v15, 2, v16
	ds_load_b32 v18, v18 offset:32
	s_waitcnt lgkmcnt(0)
	v_add_f32_e32 v2, v2, v18
	s_or_b32 exec_lo, exec_lo, s0
	s_and_saveexec_b32 s0, vcc_lo
	s_cbranch_execz .LBB40_68
.LBB40_105:
	v_lshl_add_u32 v18, v15, 2, v16
	ds_load_b32 v18, v18 offset:64
	s_waitcnt lgkmcnt(0)
	v_add_f32_e32 v3, v3, v18
	s_or_b32 exec_lo, exec_lo, s0
	s_and_saveexec_b32 s0, vcc_lo
	s_cbranch_execz .LBB40_69
.LBB40_106:
	v_lshl_add_u32 v18, v15, 2, v16
	ds_load_b32 v18, v18 offset:96
	s_waitcnt lgkmcnt(0)
	v_add_f32_e32 v4, v4, v18
	s_or_b32 exec_lo, exec_lo, s0
	s_and_saveexec_b32 s0, vcc_lo
	s_cbranch_execz .LBB40_70
.LBB40_107:
	v_lshl_add_u32 v18, v15, 2, v16
	ds_load_b32 v18, v18 offset:128
	s_waitcnt lgkmcnt(0)
	v_add_f32_e32 v5, v5, v18
	s_or_b32 exec_lo, exec_lo, s0
	s_and_saveexec_b32 s0, vcc_lo
	s_cbranch_execz .LBB40_71
.LBB40_108:
	v_lshl_add_u32 v18, v15, 2, v16
	ds_load_b32 v18, v18 offset:160
	s_waitcnt lgkmcnt(0)
	v_add_f32_e32 v6, v6, v18
	s_or_b32 exec_lo, exec_lo, s0
	s_and_saveexec_b32 s0, vcc_lo
	s_cbranch_execz .LBB40_72
.LBB40_109:
	v_lshl_add_u32 v18, v15, 2, v16
	ds_load_b32 v18, v18 offset:192
	s_waitcnt lgkmcnt(0)
	v_add_f32_e32 v7, v7, v18
	s_or_b32 exec_lo, exec_lo, s0
	s_and_saveexec_b32 s0, vcc_lo
	s_cbranch_execz .LBB40_73
.LBB40_110:
	v_lshl_add_u32 v18, v15, 2, v16
	ds_load_b32 v18, v18 offset:224
	s_waitcnt lgkmcnt(0)
	v_add_f32_e32 v8, v8, v18
	s_or_b32 exec_lo, exec_lo, s0
	s_and_saveexec_b32 s0, vcc_lo
	s_cbranch_execz .LBB40_74
.LBB40_111:
	v_lshl_add_u32 v18, v15, 2, v16
	ds_load_b32 v18, v18 offset:256
	s_waitcnt lgkmcnt(0)
	v_add_f32_e32 v9, v9, v18
	s_or_b32 exec_lo, exec_lo, s0
	s_and_saveexec_b32 s0, vcc_lo
	s_cbranch_execz .LBB40_75
.LBB40_112:
	v_lshl_add_u32 v18, v15, 2, v16
	ds_load_b32 v18, v18 offset:288
	s_waitcnt lgkmcnt(0)
	v_add_f32_e32 v10, v10, v18
	s_or_b32 exec_lo, exec_lo, s0
	s_and_saveexec_b32 s0, vcc_lo
	s_cbranch_execz .LBB40_76
.LBB40_113:
	v_lshl_add_u32 v18, v15, 2, v16
	ds_load_b32 v18, v18 offset:320
	s_waitcnt lgkmcnt(0)
	v_add_f32_e32 v11, v11, v18
	s_or_b32 exec_lo, exec_lo, s0
	s_and_saveexec_b32 s0, vcc_lo
	s_cbranch_execz .LBB40_77
.LBB40_114:
	v_lshl_add_u32 v18, v15, 2, v16
	ds_load_b32 v18, v18 offset:352
	s_waitcnt lgkmcnt(0)
	v_add_f32_e32 v12, v12, v18
	s_or_b32 exec_lo, exec_lo, s0
	s_and_saveexec_b32 s0, vcc_lo
	s_cbranch_execz .LBB40_78
.LBB40_115:
	v_lshl_add_u32 v18, v15, 2, v16
	ds_load_b32 v18, v18 offset:384
	s_waitcnt lgkmcnt(0)
	v_add_f32_e32 v13, v13, v18
	s_or_b32 exec_lo, exec_lo, s0
	s_and_saveexec_b32 s0, vcc_lo
	s_cbranch_execnz .LBB40_79
	s_branch .LBB40_80
.LBB40_116:
	ds_load_b32 v16, v15
	s_waitcnt lgkmcnt(0)
	v_add_f32_e32 v1, v1, v16
	s_or_b32 exec_lo, exec_lo, s0
	s_and_saveexec_b32 s0, vcc_lo
	s_cbranch_execz .LBB40_86
.LBB40_117:
	ds_load_b32 v16, v15 offset:32
	s_waitcnt lgkmcnt(0)
	v_add_f32_e32 v2, v2, v16
	s_or_b32 exec_lo, exec_lo, s0
	s_and_saveexec_b32 s0, vcc_lo
	s_cbranch_execz .LBB40_87
.LBB40_118:
	ds_load_b32 v16, v15 offset:64
	s_waitcnt lgkmcnt(0)
	v_add_f32_e32 v3, v3, v16
	s_or_b32 exec_lo, exec_lo, s0
	s_and_saveexec_b32 s0, vcc_lo
	s_cbranch_execz .LBB40_88
.LBB40_119:
	ds_load_b32 v16, v15 offset:96
	s_waitcnt lgkmcnt(0)
	v_add_f32_e32 v4, v4, v16
	s_or_b32 exec_lo, exec_lo, s0
	s_and_saveexec_b32 s0, vcc_lo
	s_cbranch_execz .LBB40_89
.LBB40_120:
	ds_load_b32 v16, v15 offset:128
	s_waitcnt lgkmcnt(0)
	v_add_f32_e32 v5, v5, v16
	s_or_b32 exec_lo, exec_lo, s0
	s_and_saveexec_b32 s0, vcc_lo
	s_cbranch_execz .LBB40_90
.LBB40_121:
	ds_load_b32 v16, v15 offset:160
	s_waitcnt lgkmcnt(0)
	v_add_f32_e32 v6, v6, v16
	s_or_b32 exec_lo, exec_lo, s0
	s_and_saveexec_b32 s0, vcc_lo
	s_cbranch_execz .LBB40_91
.LBB40_122:
	ds_load_b32 v16, v15 offset:192
	s_waitcnt lgkmcnt(0)
	v_add_f32_e32 v7, v7, v16
	s_or_b32 exec_lo, exec_lo, s0
	s_and_saveexec_b32 s0, vcc_lo
	s_cbranch_execz .LBB40_92
.LBB40_123:
	ds_load_b32 v16, v15 offset:224
	s_waitcnt lgkmcnt(0)
	v_add_f32_e32 v8, v8, v16
	s_or_b32 exec_lo, exec_lo, s0
	s_and_saveexec_b32 s0, vcc_lo
	s_cbranch_execz .LBB40_93
.LBB40_124:
	ds_load_b32 v16, v15 offset:256
	s_waitcnt lgkmcnt(0)
	v_add_f32_e32 v9, v9, v16
	s_or_b32 exec_lo, exec_lo, s0
	s_and_saveexec_b32 s0, vcc_lo
	s_cbranch_execz .LBB40_94
.LBB40_125:
	ds_load_b32 v16, v15 offset:288
	s_waitcnt lgkmcnt(0)
	v_add_f32_e32 v10, v10, v16
	s_or_b32 exec_lo, exec_lo, s0
	s_and_saveexec_b32 s0, vcc_lo
	s_cbranch_execz .LBB40_95
.LBB40_126:
	ds_load_b32 v16, v15 offset:320
	s_waitcnt lgkmcnt(0)
	v_add_f32_e32 v11, v11, v16
	s_or_b32 exec_lo, exec_lo, s0
	s_and_saveexec_b32 s0, vcc_lo
	s_cbranch_execz .LBB40_96
.LBB40_127:
	ds_load_b32 v16, v15 offset:352
	s_waitcnt lgkmcnt(0)
	v_add_f32_e32 v12, v12, v16
	s_or_b32 exec_lo, exec_lo, s0
	s_and_saveexec_b32 s0, vcc_lo
	s_cbranch_execz .LBB40_97
.LBB40_128:
	ds_load_b32 v16, v15 offset:384
	s_waitcnt lgkmcnt(0)
	v_add_f32_e32 v13, v13, v16
	s_or_b32 exec_lo, exec_lo, s0
	s_and_saveexec_b32 s0, vcc_lo
	s_cbranch_execnz .LBB40_98
	s_branch .LBB40_99
	.section	.rodata,"a",@progbits
	.p2align	6, 0x0
	.amdhsa_kernel _ZN4vllm25paged_attention_v2_kernelIffLi112ELi16ELi128ELNS_18Fp8KVCacheDataTypeE0ELb0ELi512EEEvPfS2_PT_PKS3_PKT0_S9_ifPKiSB_iPKfiiiSD_SD_iiiii
		.amdhsa_group_segment_fixed_size 480
		.amdhsa_private_segment_fixed_size 0
		.amdhsa_kernarg_size 400
		.amdhsa_user_sgpr_count 13
		.amdhsa_user_sgpr_dispatch_ptr 0
		.amdhsa_user_sgpr_queue_ptr 0
		.amdhsa_user_sgpr_kernarg_segment_ptr 1
		.amdhsa_user_sgpr_dispatch_id 0
		.amdhsa_user_sgpr_private_segment_size 0
		.amdhsa_wavefront_size32 1
		.amdhsa_uses_dynamic_stack 0
		.amdhsa_enable_private_segment 0
		.amdhsa_system_sgpr_workgroup_id_x 1
		.amdhsa_system_sgpr_workgroup_id_y 1
		.amdhsa_system_sgpr_workgroup_id_z 1
		.amdhsa_system_sgpr_workgroup_info 0
		.amdhsa_system_vgpr_workitem_id 0
		.amdhsa_next_free_vgpr 126
		.amdhsa_next_free_sgpr 38
		.amdhsa_reserve_vcc 1
		.amdhsa_float_round_mode_32 0
		.amdhsa_float_round_mode_16_64 0
		.amdhsa_float_denorm_mode_32 3
		.amdhsa_float_denorm_mode_16_64 3
		.amdhsa_dx10_clamp 1
		.amdhsa_ieee_mode 1
		.amdhsa_fp16_overflow 0
		.amdhsa_workgroup_processor_mode 1
		.amdhsa_memory_ordered 1
		.amdhsa_forward_progress 0
		.amdhsa_shared_vgpr_count 0
		.amdhsa_exception_fp_ieee_invalid_op 0
		.amdhsa_exception_fp_denorm_src 0
		.amdhsa_exception_fp_ieee_div_zero 0
		.amdhsa_exception_fp_ieee_overflow 0
		.amdhsa_exception_fp_ieee_underflow 0
		.amdhsa_exception_fp_ieee_inexact 0
		.amdhsa_exception_int_div_zero 0
	.end_amdhsa_kernel
	.section	.text._ZN4vllm25paged_attention_v2_kernelIffLi112ELi16ELi128ELNS_18Fp8KVCacheDataTypeE0ELb0ELi512EEEvPfS2_PT_PKS3_PKT0_S9_ifPKiSB_iPKfiiiSD_SD_iiiii,"axG",@progbits,_ZN4vllm25paged_attention_v2_kernelIffLi112ELi16ELi128ELNS_18Fp8KVCacheDataTypeE0ELb0ELi512EEEvPfS2_PT_PKS3_PKT0_S9_ifPKiSB_iPKfiiiSD_SD_iiiii,comdat
.Lfunc_end40:
	.size	_ZN4vllm25paged_attention_v2_kernelIffLi112ELi16ELi128ELNS_18Fp8KVCacheDataTypeE0ELb0ELi512EEEvPfS2_PT_PKS3_PKT0_S9_ifPKiSB_iPKfiiiSD_SD_iiiii, .Lfunc_end40-_ZN4vllm25paged_attention_v2_kernelIffLi112ELi16ELi128ELNS_18Fp8KVCacheDataTypeE0ELb0ELi512EEEvPfS2_PT_PKS3_PKT0_S9_ifPKiSB_iPKfiiiSD_SD_iiiii
                                        ; -- End function
	.section	.AMDGPU.csdata,"",@progbits
; Kernel info:
; codeLenInByte = 7504
; NumSgprs: 40
; NumVgprs: 126
; ScratchSize: 0
; MemoryBound: 0
; FloatMode: 240
; IeeeMode: 1
; LDSByteSize: 480 bytes/workgroup (compile time only)
; SGPRBlocks: 4
; VGPRBlocks: 15
; NumSGPRsForWavesPerEU: 40
; NumVGPRsForWavesPerEU: 126
; Occupancy: 10
; WaveLimiterHint : 1
; COMPUTE_PGM_RSRC2:SCRATCH_EN: 0
; COMPUTE_PGM_RSRC2:USER_SGPR: 13
; COMPUTE_PGM_RSRC2:TRAP_HANDLER: 0
; COMPUTE_PGM_RSRC2:TGID_X_EN: 1
; COMPUTE_PGM_RSRC2:TGID_Y_EN: 1
; COMPUTE_PGM_RSRC2:TGID_Z_EN: 1
; COMPUTE_PGM_RSRC2:TIDIG_COMP_CNT: 0
	.section	.text._ZN4vllm25paged_attention_v2_kernelIffLi120ELi16ELi128ELNS_18Fp8KVCacheDataTypeE0ELb0ELi512EEEvPfS2_PT_PKS3_PKT0_S9_ifPKiSB_iPKfiiiSD_SD_iiiii,"axG",@progbits,_ZN4vllm25paged_attention_v2_kernelIffLi120ELi16ELi128ELNS_18Fp8KVCacheDataTypeE0ELb0ELi512EEEvPfS2_PT_PKS3_PKT0_S9_ifPKiSB_iPKfiiiSD_SD_iiiii,comdat
	.protected	_ZN4vllm25paged_attention_v2_kernelIffLi120ELi16ELi128ELNS_18Fp8KVCacheDataTypeE0ELb0ELi512EEEvPfS2_PT_PKS3_PKT0_S9_ifPKiSB_iPKfiiiSD_SD_iiiii ; -- Begin function _ZN4vllm25paged_attention_v2_kernelIffLi120ELi16ELi128ELNS_18Fp8KVCacheDataTypeE0ELb0ELi512EEEvPfS2_PT_PKS3_PKT0_S9_ifPKiSB_iPKfiiiSD_SD_iiiii
	.globl	_ZN4vllm25paged_attention_v2_kernelIffLi120ELi16ELi128ELNS_18Fp8KVCacheDataTypeE0ELb0ELi512EEEvPfS2_PT_PKS3_PKT0_S9_ifPKiSB_iPKfiiiSD_SD_iiiii
	.p2align	8
	.type	_ZN4vllm25paged_attention_v2_kernelIffLi120ELi16ELi128ELNS_18Fp8KVCacheDataTypeE0ELb0ELi512EEEvPfS2_PT_PKS3_PKT0_S9_ifPKiSB_iPKfiiiSD_SD_iiiii,@function
_ZN4vllm25paged_attention_v2_kernelIffLi120ELi16ELi128ELNS_18Fp8KVCacheDataTypeE0ELb0ELi512EEEvPfS2_PT_PKS3_PKT0_S9_ifPKiSB_iPKfiiiSD_SD_iiiii: ; @_ZN4vllm25paged_attention_v2_kernelIffLi120ELi16ELi128ELNS_18Fp8KVCacheDataTypeE0ELb0ELi512EEEvPfS2_PT_PKS3_PKT0_S9_ifPKiSB_iPKfiiiSD_SD_iiiii
; %bb.0:
	s_load_b64 s[2:3], s[0:1], 0x40
	s_mov_b32 s12, s15
	s_ashr_i32 s15, s14, 31
	s_delay_alu instid0(SALU_CYCLE_1)
	s_lshl_b64 s[4:5], s[14:15], 2
	s_waitcnt lgkmcnt(0)
	s_add_u32 s2, s2, s4
	s_addc_u32 s3, s3, s5
	s_lshl_b32 s33, s12, 9
	s_load_b32 s15, s[2:3], 0x0
	s_waitcnt lgkmcnt(0)
	s_cmp_ge_i32 s33, s15
	s_cbranch_scc1 .LBB41_106
; %bb.1:
	s_mov_b32 s20, s13
	s_clause 0x1
	s_load_b32 s13, s[0:1], 0x90
	s_load_b64 s[30:31], s[0:1], 0x30
	s_waitcnt lgkmcnt(0)
	s_abs_i32 s5, s13
	s_abs_i32 s2, s30
	s_delay_alu instid0(SALU_CYCLE_1) | instskip(SKIP_1) | instid1(VALU_DEP_1)
	v_cvt_f32_u32_e32 v1, s2
	s_sub_i32 s4, 0, s2
	v_rcp_iflag_f32_e32 v1, v1
	s_waitcnt_depctr 0xfff
	v_mul_f32_e32 v1, 0x4f7ffffe, v1
	s_delay_alu instid0(VALU_DEP_1) | instskip(NEXT) | instid1(VALU_DEP_1)
	v_cvt_u32_f32_e32 v1, v1
	v_readfirstlane_b32 s3, v1
	s_delay_alu instid0(VALU_DEP_1) | instskip(NEXT) | instid1(SALU_CYCLE_1)
	s_mul_i32 s4, s4, s3
	s_mul_hi_u32 s4, s3, s4
	s_delay_alu instid0(SALU_CYCLE_1)
	s_add_i32 s3, s3, s4
	s_xor_b32 s4, s13, s30
	s_mul_hi_u32 s3, s5, s3
	s_ashr_i32 s4, s4, 31
	s_mul_i32 s6, s3, s2
	s_mov_b32 s30, 0
	s_sub_i32 s5, s5, s6
	s_add_i32 s6, s3, 1
	s_sub_i32 s7, s5, s2
	s_cmp_ge_u32 s5, s2
	s_cselect_b32 s3, s6, s3
	s_cselect_b32 s5, s7, s5
	s_add_i32 s6, s3, 1
	s_cmp_ge_u32 s5, s2
	s_cselect_b32 s2, s6, s3
	s_abs_i32 s10, s20
	s_xor_b32 s2, s2, s4
	s_delay_alu instid0(SALU_CYCLE_1) | instskip(SKIP_2) | instid1(SALU_CYCLE_1)
	s_sub_i32 s11, s2, s4
	s_load_b64 s[2:3], s[0:1], 0x50
	s_abs_i32 s8, s11
	v_cvt_f32_u32_e32 v1, s8
	s_sub_i32 s5, 0, s8
	s_delay_alu instid0(VALU_DEP_1) | instskip(SKIP_2) | instid1(VALU_DEP_1)
	v_rcp_iflag_f32_e32 v1, v1
	s_waitcnt_depctr 0xfff
	v_mul_f32_e32 v1, 0x4f7ffffe, v1
	v_cvt_u32_f32_e32 v1, v1
	s_delay_alu instid0(VALU_DEP_1) | instskip(NEXT) | instid1(VALU_DEP_1)
	v_readfirstlane_b32 s4, v1
	s_mul_i32 s5, s5, s4
	s_delay_alu instid0(SALU_CYCLE_1) | instskip(NEXT) | instid1(SALU_CYCLE_1)
	s_mul_hi_u32 s5, s4, s5
	s_add_i32 s4, s4, s5
	s_waitcnt lgkmcnt(0)
	s_cmp_eq_u64 s[2:3], 0
	s_mul_hi_u32 s9, s10, s4
	s_cbranch_scc1 .LBB41_3
; %bb.2:
	s_ashr_i32 s21, s20, 31
	s_delay_alu instid0(SALU_CYCLE_1) | instskip(NEXT) | instid1(SALU_CYCLE_1)
	s_lshl_b64 s[4:5], s[20:21], 2
	s_add_u32 s2, s2, s4
	s_addc_u32 s3, s3, s5
	s_load_b32 s30, s[2:3], 0x0
.LBB41_3:
	s_load_b128 s[4:7], s[0:1], 0x58
	v_and_b32_e32 v49, 1, v0
	v_lshlrev_b32_e32 v1, 3, v0
	v_lshlrev_b32_e32 v63, 2, v0
	s_ashr_i32 s2, s20, 31
	s_ashr_i32 s3, s11, 31
	s_mul_i32 s16, s20, 0x78
	s_waitcnt lgkmcnt(0)
	s_mov_b32 s7, exec_lo
	v_cmpx_gt_u32_e32 60, v0
	s_cbranch_execz .LBB41_5
; %bb.4:
	s_load_b64 s[18:19], s[0:1], 0x18
	s_mul_i32 s22, s14, s4
	v_and_b32_e32 v4, 0xff8, v63
	s_ashr_i32 s23, s22, 31
	s_delay_alu instid0(SALU_CYCLE_1) | instskip(NEXT) | instid1(VALU_DEP_1)
	s_lshl_b64 s[22:23], s[22:23], 2
	v_mad_u32_u24 v4, 0xf0, v49, v4
	s_waitcnt lgkmcnt(0)
	s_add_u32 s4, s18, s22
	s_addc_u32 s11, s19, s23
	s_ashr_i32 s17, s16, 31
	s_delay_alu instid0(SALU_CYCLE_1) | instskip(NEXT) | instid1(SALU_CYCLE_1)
	s_lshl_b64 s[18:19], s[16:17], 2
	s_add_u32 s18, s4, s18
	s_addc_u32 s19, s11, s19
	global_load_b64 v[2:3], v1, s[18:19]
	s_waitcnt vmcnt(0)
	ds_store_b64 v4, v[2:3]
.LBB41_5:
	s_or_b32 exec_lo, exec_lo, s7
	s_add_i32 s4, s15, 15
	s_lshl_b32 s7, s12, 5
	s_ashr_i32 s11, s4, 31
	s_xor_b32 s2, s2, s3
	s_lshr_b32 s11, s11, 28
	s_add_i32 s3, s7, 32
	s_add_i32 s4, s4, s11
	s_clause 0x1
	s_load_b64 s[22:23], s[0:1], 0x38
	s_load_b32 s11, s[0:1], 0x48
	s_ashr_i32 s21, s4, 4
	s_mul_i32 s4, s9, s8
	s_min_i32 s17, s3, s21
	s_sub_i32 s3, s10, s4
	s_add_i32 s4, s9, 1
	s_sub_i32 s10, s3, s8
	s_cmp_ge_u32 s3, s8
	v_lshrrev_b32_e32 v68, 5, v0
	s_cselect_b32 s4, s4, s9
	s_cselect_b32 s3, s10, s3
	s_add_i32 s9, s4, 1
	s_cmp_ge_u32 s3, s8
	v_or_b32_e32 v65, s7, v68
	s_cselect_b32 s3, s9, s4
	v_mbcnt_lo_u32_b32 v64, -1, 0
	s_xor_b32 s3, s3, s2
	s_mov_b32 s4, exec_lo
	s_sub_i32 s3, s3, s2
	v_cmp_gt_i32_e64 s2, s17, v65
	s_waitcnt lgkmcnt(0)
	s_mul_i32 s24, s14, s11
	s_delay_alu instid0(SALU_CYCLE_1)
	s_ashr_i32 s25, s24, 31
	s_barrier
	buffer_gl0_inv
                                        ; implicit-def: $sgpr28
                                        ; implicit-def: $vgpr67
	v_cmpx_le_i32_e64 s17, v65
	s_xor_b32 s4, exec_lo, s4
; %bb.6:
	v_mbcnt_lo_u32_b32 v64, -1, 0
	v_mov_b32_e32 v67, 32
	s_mov_b32 s28, 0xff7fffff
                                        ; implicit-def: $vgpr1
                                        ; implicit-def: $vgpr49
; %bb.7:
	s_or_saveexec_b32 s34, s4
	s_clause 0x3
	s_load_b128 s[8:11], s[0:1], 0x0
	s_load_b64 s[18:19], s[0:1], 0x10
	s_load_b64 s[26:27], s[0:1], 0x28
	s_load_b32 s4, s[0:1], 0x98
	v_mov_b32_e32 v69, s28
	v_ashrrev_i32_e32 v66, 31, v65
	s_mul_i32 s28, s3, s6
	s_xor_b32 exec_lo, exec_lo, s34
	s_cbranch_execz .LBB41_13
; %bb.8:
	s_load_b64 s[0:1], s[0:1], 0x20
	v_bfe_u32 v61, v0, 1, 4
	s_ashr_i32 s29, s28, 31
	v_xor_b32_e32 v34, 1, v64
	s_lshl_b64 s[36:37], s[28:29], 2
	v_mul_u32_u24_e32 v57, 0xf0, v49
	v_lshlrev_b32_e32 v35, 4, v61
	v_dual_mov_b32 v67, 32 :: v_dual_lshlrev_b32 v62, 2, v61
	v_cmp_gt_i32_e32 vcc_lo, 32, v34
	v_and_b32_e32 v33, 8, v1
	ds_load_b128 v[1:4], v57
	ds_load_b128 v[5:8], v57 offset:16
	ds_load_b128 v[9:12], v57 offset:32
	;; [unrolled: 1-line block ×7, first 2 shown]
	v_lshlrev_b32_e32 v69, 4, v68
	v_lshl_or_b32 v74, v68, 6, v62
	v_dual_cndmask_b32 v50, v64, v34 :: v_dual_mov_b32 v75, v65
	s_mov_b32 s35, s5
	s_delay_alu instid0(VALU_DEP_3) | instskip(SKIP_1) | instid1(VALU_DEP_3)
	v_add3_u32 v73, s33, v69, v61
	v_lshlrev_b64 v[61:62], 2, v[65:66]
	v_dual_mov_b32 v69, 0xff7fffff :: v_dual_lshlrev_b32 v72, 2, v50
	s_waitcnt lgkmcnt(0)
	s_add_u32 s0, s0, s36
	s_addc_u32 s1, s1, s37
	v_add_co_u32 v35, s0, s0, v35
	s_delay_alu instid0(VALU_DEP_1) | instskip(SKIP_1) | instid1(VALU_DEP_2)
	v_add_co_ci_u32_e64 v36, null, s1, 0, s0
	s_lshl_b64 s[36:37], s[24:25], 2
	v_add_co_u32 v70, vcc_lo, v35, v33
	s_delay_alu instid0(VALU_DEP_2)
	v_add_co_ci_u32_e32 v71, vcc_lo, 0, v36, vcc_lo
	ds_load_b128 v[33:36], v57 offset:128
	ds_load_b128 v[37:40], v57 offset:144
	;; [unrolled: 1-line block ×4, first 2 shown]
	v_cmp_eq_u32_e32 vcc_lo, 0, v49
	ds_load_b128 v[49:52], v57 offset:192
	ds_load_b128 v[53:56], v57 offset:208
	;; [unrolled: 1-line block ×3, first 2 shown]
	s_sub_i32 s6, 1, s15
	s_add_u32 s1, s22, s36
	s_addc_u32 s3, s23, s37
	v_add_co_u32 v61, s1, s1, v61
	v_cmp_neq_f32_e64 s0, s30, 0
	v_add_nc_u32_e32 v74, 0x200, v74
	v_add_co_ci_u32_e64 v62, s1, s3, v62, s1
	s_mov_b32 s29, 0
	s_branch .LBB41_10
.LBB41_9:                               ;   in Loop: Header=BB41_10 Depth=1
	s_or_b32 exec_lo, exec_lo, s3
	v_add_nc_u32_e32 v75, 4, v75
	v_add_co_u32 v61, s3, v61, 16
	v_add_nc_u32_e32 v73, 64, v73
	v_add_nc_u32_e32 v74, 0x100, v74
	s_delay_alu instid0(VALU_DEP_4) | instskip(SKIP_1) | instid1(VALU_DEP_2)
	v_cmp_le_i32_e64 s1, s17, v75
	v_add_co_ci_u32_e64 v62, s3, 0, v62, s3
	s_or_b32 s29, s1, s29
	s_delay_alu instid0(SALU_CYCLE_1)
	s_and_not1_b32 exec_lo, exec_lo, s29
	s_cbranch_execz .LBB41_12
.LBB41_10:                              ; =>This Inner Loop Header: Depth=1
	global_load_b32 v78, v[61:62], off
	s_waitcnt vmcnt(0) lgkmcnt(0)
	v_mad_i64_i32 v[76:77], null, v78, s35, 0
	s_delay_alu instid0(VALU_DEP_1) | instskip(NEXT) | instid1(VALU_DEP_1)
	v_lshlrev_b64 v[76:77], 2, v[76:77]
	v_add_co_u32 v76, s1, v70, v76
	s_delay_alu instid0(VALU_DEP_1)
	v_add_co_ci_u32_e64 v77, s1, v71, v77, s1
	s_clause 0xe
	global_load_b64 v[78:79], v[76:77], off offset:256
	global_load_b64 v[80:81], v[76:77], off offset:512
	global_load_b64 v[82:83], v[76:77], off offset:768
	global_load_b64 v[84:85], v[76:77], off
	global_load_b64 v[86:87], v[76:77], off offset:1024
	global_load_b64 v[88:89], v[76:77], off offset:1280
	;; [unrolled: 1-line block ×11, first 2 shown]
	v_add_co_u32 v108, s1, 0x1000, v76
	s_delay_alu instid0(VALU_DEP_1)
	v_add_co_ci_u32_e64 v109, s1, 0, v77, s1
	s_clause 0x7
	global_load_b64 v[76:77], v[76:77], off offset:3840
	global_load_b64 v[110:111], v[108:109], off
	global_load_b64 v[112:113], v[108:109], off offset:256
	global_load_b64 v[114:115], v[108:109], off offset:512
	;; [unrolled: 1-line block ×6, first 2 shown]
	s_waitcnt vmcnt(22)
	v_dual_mul_f32 v124, v3, v78 :: v_dual_mul_f32 v125, v4, v79
	global_load_b64 v[78:79], v[108:109], off offset:1792
	s_waitcnt vmcnt(20)
	v_dual_fmac_f32 v124, v1, v84 :: v_dual_fmac_f32 v125, v2, v85
	global_load_b64 v[84:85], v[108:109], off offset:2048
	v_dual_fmac_f32 v124, v5, v80 :: v_dual_fmac_f32 v125, v6, v81
	global_load_b64 v[80:81], v[108:109], off offset:2304
	;; [unrolled: 2-line block ×3, first 2 shown]
	s_waitcnt vmcnt(22)
	v_dual_fmac_f32 v124, v9, v86 :: v_dual_fmac_f32 v125, v10, v87
	global_load_b64 v[86:87], v[108:109], off offset:2816
	s_waitcnt vmcnt(22)
	v_dual_fmac_f32 v124, v11, v88 :: v_dual_fmac_f32 v125, v12, v89
	s_clause 0x1
	global_load_b64 v[88:89], v[108:109], off offset:3072
	global_load_b64 v[108:109], v[108:109], off offset:3328
	s_waitcnt vmcnt(23)
	v_dual_fmac_f32 v124, v13, v90 :: v_dual_fmac_f32 v125, v14, v91
	s_waitcnt vmcnt(22)
	s_delay_alu instid0(VALU_DEP_1) | instskip(SKIP_1) | instid1(VALU_DEP_1)
	v_dual_fmac_f32 v124, v15, v92 :: v_dual_fmac_f32 v125, v16, v93
	s_waitcnt vmcnt(21)
	v_dual_fmac_f32 v124, v17, v94 :: v_dual_fmac_f32 v125, v18, v95
	s_waitcnt vmcnt(20)
	s_delay_alu instid0(VALU_DEP_1) | instskip(SKIP_1) | instid1(VALU_DEP_1)
	v_dual_fmac_f32 v124, v19, v96 :: v_dual_fmac_f32 v125, v20, v97
	;; [unrolled: 5-line block ×5, first 2 shown]
	s_waitcnt vmcnt(13) lgkmcnt(6)
	v_dual_fmac_f32 v124, v33, v110 :: v_dual_fmac_f32 v125, v34, v111
	s_waitcnt vmcnt(12)
	s_delay_alu instid0(VALU_DEP_1) | instskip(SKIP_1) | instid1(VALU_DEP_1)
	v_dual_fmac_f32 v124, v35, v112 :: v_dual_fmac_f32 v125, v36, v113
	s_waitcnt vmcnt(11) lgkmcnt(5)
	v_dual_fmac_f32 v124, v37, v114 :: v_dual_fmac_f32 v125, v38, v115
	s_waitcnt vmcnt(10)
	s_delay_alu instid0(VALU_DEP_1) | instskip(SKIP_1) | instid1(VALU_DEP_1)
	v_dual_fmac_f32 v124, v39, v116 :: v_dual_fmac_f32 v125, v40, v117
	;; [unrolled: 5-line block ×6, first 2 shown]
	s_waitcnt vmcnt(1) lgkmcnt(0)
	v_dual_fmac_f32 v124, v57, v88 :: v_dual_fmac_f32 v125, v58, v89
	s_waitcnt vmcnt(0)
	s_delay_alu instid0(VALU_DEP_1) | instskip(NEXT) | instid1(VALU_DEP_1)
	v_dual_fmac_f32 v124, v59, v108 :: v_dual_fmac_f32 v125, v60, v109
	v_add_f32_e32 v76, v124, v125
	ds_bpermute_b32 v77, v72, v76
	s_and_saveexec_b32 s3, vcc_lo
	s_cbranch_execz .LBB41_9
; %bb.11:                               ;   in Loop: Header=BB41_10 Depth=1
	s_waitcnt lgkmcnt(0)
	v_add_f32_e32 v76, v76, v77
	v_add_nc_u32_e32 v78, s6, v73
	v_cmp_gt_i32_e64 s1, s15, v73
	s_delay_alu instid0(VALU_DEP_2) | instskip(NEXT) | instid1(VALU_DEP_1)
	v_cvt_f32_i32_e32 v78, v78
	v_mul_f32_e32 v78, s30, v78
	s_delay_alu instid0(VALU_DEP_1) | instskip(NEXT) | instid1(VALU_DEP_1)
	v_cndmask_b32_e64 v77, 0, v78, s0
	v_dual_max_f32 v78, v69, v69 :: v_dual_fmac_f32 v77, s31, v76
	s_delay_alu instid0(VALU_DEP_1) | instskip(SKIP_1) | instid1(VALU_DEP_2)
	v_max_f32_e32 v76, v78, v77
	v_cndmask_b32_e64 v77, 0, v77, s1
	v_cndmask_b32_e64 v69, v69, v76, s1
	ds_store_b32 v74, v77
	s_branch .LBB41_9
.LBB41_12:
	s_or_b32 exec_lo, exec_lo, s29
.LBB41_13:
	s_delay_alu instid0(SALU_CYCLE_1) | instskip(SKIP_4) | instid1(VALU_DEP_4)
	s_or_b32 exec_lo, exec_lo, s34
	v_xor_b32_e32 v1, 16, v64
	v_xor_b32_e32 v3, 8, v64
	;; [unrolled: 1-line block ×4, first 2 shown]
	v_cmp_lt_i32_e32 vcc_lo, v1, v67
	v_cndmask_b32_e32 v1, v64, v1, vcc_lo
	v_cmp_lt_i32_e32 vcc_lo, v3, v67
	v_dual_max_f32 v4, v69, v69 :: v_dual_cndmask_b32 v3, v64, v3
	v_cmp_lt_i32_e32 vcc_lo, v5, v67
	s_delay_alu instid0(VALU_DEP_2) | instskip(SKIP_2) | instid1(VALU_DEP_2)
	v_lshlrev_b32_e32 v3, 2, v3
	v_cndmask_b32_e32 v5, v64, v5, vcc_lo
	v_cmp_lt_i32_e32 vcc_lo, v6, v67
	v_dual_cndmask_b32 v6, v64, v6 :: v_dual_lshlrev_b32 v5, 2, v5
	s_delay_alu instid0(VALU_DEP_1) | instskip(SKIP_4) | instid1(VALU_DEP_1)
	v_lshlrev_b32_e32 v70, 2, v6
	v_lshlrev_b32_e32 v2, 2, v1
	;; [unrolled: 1-line block ×3, first 2 shown]
	ds_bpermute_b32 v1, v2, v69
	v_and_b32_e32 v69, 31, v0
	v_cmp_eq_u32_e32 vcc_lo, 0, v69
	s_waitcnt lgkmcnt(0)
	v_max_f32_e32 v1, v1, v1
	s_delay_alu instid0(VALU_DEP_1) | instskip(SKIP_3) | instid1(VALU_DEP_1)
	v_max_f32_e32 v1, v4, v1
	ds_bpermute_b32 v4, v3, v1
	s_waitcnt lgkmcnt(0)
	v_max_f32_e32 v4, v4, v4
	v_max_f32_e32 v1, v1, v4
	ds_bpermute_b32 v4, v5, v1
	s_waitcnt lgkmcnt(0)
	v_max_f32_e32 v4, v4, v4
	s_delay_alu instid0(VALU_DEP_1)
	v_max_f32_e32 v1, v1, v4
	ds_bpermute_b32 v4, v70, v1
	s_and_saveexec_b32 s0, vcc_lo
	s_cbranch_execz .LBB41_15
; %bb.14:
	s_waitcnt lgkmcnt(0)
	v_dual_max_f32 v4, v4, v4 :: v_dual_max_f32 v1, v1, v1
	s_delay_alu instid0(VALU_DEP_1)
	v_max_f32_e32 v1, v1, v4
	ds_store_b32 v6, v1 offset:480
.LBB41_15:
	s_or_b32 exec_lo, exec_lo, s0
	v_cmp_gt_u32_e64 s0, 4, v69
	v_mov_b32_e32 v1, 0xff7fffff
	v_lshlrev_b32_e32 v7, 2, v69
	s_waitcnt lgkmcnt(0)
	s_barrier
	buffer_gl0_inv
	s_and_saveexec_b32 s1, s0
	s_cbranch_execz .LBB41_17
; %bb.16:
	ds_load_b32 v1, v7 offset:480
.LBB41_17:
	s_or_b32 exec_lo, exec_lo, s1
	s_waitcnt lgkmcnt(0)
	ds_bpermute_b32 v4, v70, v1
	v_xor_b32_e32 v8, 1, v64
	v_max_f32_e32 v1, v1, v1
	v_mov_b32_e32 v9, 0
	s_delay_alu instid0(VALU_DEP_3) | instskip(NEXT) | instid1(VALU_DEP_1)
	v_cmp_lt_i32_e64 s1, v8, v67
	v_cndmask_b32_e64 v8, v64, v8, s1
	s_sub_i32 s1, s17, s7
	s_delay_alu instid0(SALU_CYCLE_1) | instskip(NEXT) | instid1(VALU_DEP_1)
	s_lshl_b32 s1, s1, 4
	v_lshlrev_b32_e32 v71, 2, v8
	v_lshlrev_b32_e32 v8, 2, v64
	s_add_i32 s1, s1, s33
	s_waitcnt lgkmcnt(0)
	v_max_f32_e32 v4, v4, v4
	s_min_i32 s1, s1, s15
	v_and_b32_e32 v8, 0xffffff80, v8
	s_sub_i32 s6, s1, s33
	s_delay_alu instid0(VALU_DEP_2) | instskip(SKIP_4) | instid1(VALU_DEP_1)
	v_max_f32_e32 v1, v1, v4
	v_cmp_gt_i32_e64 s1, s6, v0
	ds_bpermute_b32 v4, v71, v1
	s_waitcnt lgkmcnt(0)
	v_max_f32_e32 v4, v4, v4
	v_max_f32_e32 v1, v1, v4
	v_lshl_add_u32 v4, v0, 2, 0x200
	ds_bpermute_b32 v1, v8, v1
	s_and_saveexec_b32 s7, s1
	s_cbranch_execz .LBB41_21
; %bb.18:
	v_lshl_add_u32 v10, v0, 2, 0x200
	v_mov_b32_e32 v9, 0
	v_mov_b32_e32 v11, v0
	s_mov_b32 s29, 0
	.p2align	6
.LBB41_19:                              ; =>This Inner Loop Header: Depth=1
	ds_load_b32 v12, v10
	v_add_nc_u32_e32 v11, 0x80, v11
	s_delay_alu instid0(VALU_DEP_1) | instskip(NEXT) | instid1(VALU_DEP_1)
	v_cmp_le_i32_e64 s3, s6, v11
	s_or_b32 s29, s3, s29
	s_waitcnt lgkmcnt(0)
	v_sub_f32_e32 v12, v12, v1
	s_delay_alu instid0(VALU_DEP_1) | instskip(NEXT) | instid1(VALU_DEP_1)
	v_mul_f32_e32 v12, 0x3fb8aa3b, v12
	v_exp_f32_e32 v12, v12
	ds_store_b32 v10, v12
	v_dual_add_f32 v9, v9, v12 :: v_dual_add_nc_u32 v10, 0x200, v10
	s_and_not1_b32 exec_lo, exec_lo, s29
	s_cbranch_execnz .LBB41_19
; %bb.20:
	s_or_b32 exec_lo, exec_lo, s29
.LBB41_21:
	s_delay_alu instid0(SALU_CYCLE_1)
	s_or_b32 exec_lo, exec_lo, s7
	ds_bpermute_b32 v2, v2, v9
	s_waitcnt lgkmcnt(0)
	v_add_f32_e32 v2, v9, v2
	ds_bpermute_b32 v3, v3, v2
	s_waitcnt lgkmcnt(0)
	v_add_f32_e32 v2, v2, v3
	;; [unrolled: 3-line block ×5, first 2 shown]
	s_and_saveexec_b32 s3, vcc_lo
	s_cbranch_execz .LBB41_23
; %bb.22:
	ds_store_b32 v6, v2 offset:496
.LBB41_23:
	s_or_b32 exec_lo, exec_lo, s3
	s_waitcnt lgkmcnt(0)
	s_barrier
	buffer_gl0_inv
	s_and_saveexec_b32 s3, s0
	s_cbranch_execz .LBB41_25
; %bb.24:
	ds_load_b32 v2, v7 offset:496
.LBB41_25:
	s_or_b32 exec_lo, exec_lo, s3
	s_waitcnt lgkmcnt(0)
	ds_bpermute_b32 v3, v70, v2
	s_waitcnt lgkmcnt(0)
	v_add_f32_e32 v2, v2, v3
	ds_bpermute_b32 v3, v71, v2
	s_waitcnt lgkmcnt(0)
	v_add_f32_e32 v2, v2, v3
	ds_bpermute_b32 v2, v8, v2
	s_and_saveexec_b32 s0, s1
	s_cbranch_execz .LBB41_28
; %bb.26:
	s_waitcnt lgkmcnt(0)
	v_add_f32_e32 v3, 0x358637bd, v2
	s_mov_b32 s1, 0
	s_delay_alu instid0(VALU_DEP_1) | instskip(SKIP_1) | instid1(VALU_DEP_2)
	v_div_scale_f32 v5, null, v3, v3, 1.0
	v_div_scale_f32 v8, vcc_lo, 1.0, v3, 1.0
	v_rcp_f32_e32 v6, v5
	s_waitcnt_depctr 0xfff
	v_fma_f32 v7, -v5, v6, 1.0
	s_delay_alu instid0(VALU_DEP_1) | instskip(NEXT) | instid1(VALU_DEP_1)
	v_fmac_f32_e32 v6, v7, v6
	v_mul_f32_e32 v7, v8, v6
	s_delay_alu instid0(VALU_DEP_1) | instskip(NEXT) | instid1(VALU_DEP_1)
	v_fma_f32 v9, -v5, v7, v8
	v_fmac_f32_e32 v7, v9, v6
	s_delay_alu instid0(VALU_DEP_1) | instskip(NEXT) | instid1(VALU_DEP_1)
	v_fma_f32 v5, -v5, v7, v8
	v_div_fmas_f32 v5, v5, v6, v7
	s_delay_alu instid0(VALU_DEP_1)
	v_div_fixup_f32 v3, v5, v3, 1.0
	v_mov_b32_e32 v5, v0
.LBB41_27:                              ; =>This Inner Loop Header: Depth=1
	ds_load_b32 v6, v4
	s_waitcnt lgkmcnt(0)
	v_dual_mul_f32 v6, v3, v6 :: v_dual_add_nc_u32 v5, 0x80, v5
	s_delay_alu instid0(VALU_DEP_1) | instskip(SKIP_3) | instid1(SALU_CYCLE_1)
	v_cmp_le_i32_e32 vcc_lo, s6, v5
	ds_store_b32 v4, v6
	v_add_nc_u32_e32 v4, 0x200, v4
	s_or_b32 s1, vcc_lo, s1
	s_and_not1_b32 exec_lo, exec_lo, s1
	s_cbranch_execnz .LBB41_27
.LBB41_28:
	s_or_b32 exec_lo, exec_lo, s0
	s_mul_i32 s0, s4, s14
	s_waitcnt lgkmcnt(0)
	s_mul_i32 s6, s0, s13
	s_mov_b32 s0, exec_lo
	s_barrier
	buffer_gl0_inv
	v_cmpx_eq_u32_e32 0, v0
	s_cbranch_execz .LBB41_30
; %bb.29:
	s_ashr_i32 s7, s6, 31
	s_mul_i32 s34, s4, s20
	s_lshl_b64 s[30:31], s[6:7], 2
	v_mov_b32_e32 v3, 0
	s_add_u32 s1, s10, s30
	s_addc_u32 s3, s11, s31
	s_ashr_i32 s35, s34, 31
	s_delay_alu instid0(SALU_CYCLE_1) | instskip(NEXT) | instid1(SALU_CYCLE_1)
	s_lshl_b64 s[10:11], s[34:35], 2
	s_add_u32 s1, s1, s10
	s_addc_u32 s3, s3, s11
	s_ashr_i32 s13, s12, 31
	s_delay_alu instid0(SALU_CYCLE_1) | instskip(NEXT) | instid1(SALU_CYCLE_1)
	s_lshl_b64 s[34:35], s[12:13], 2
	s_add_u32 s36, s1, s34
	s_addc_u32 s37, s3, s35
	s_add_u32 s1, s8, s30
	s_addc_u32 s3, s9, s31
	;; [unrolled: 2-line block ×4, first 2 shown]
	s_clause 0x1
	global_store_b32 v3, v1, s[36:37]
	global_store_b32 v3, v2, s[8:9]
.LBB41_30:
	s_or_b32 exec_lo, exec_lo, s0
	v_dual_mov_b32 v85, 0 :: v_dual_and_b32 v72, 3, v0
	v_dual_mov_b32 v87, 0 :: v_dual_mov_b32 v86, 0
	v_dual_mov_b32 v84, 0 :: v_dual_mov_b32 v83, 0
	;; [unrolled: 1-line block ×7, first 2 shown]
	s_and_saveexec_b32 s1, s2
	s_cbranch_execz .LBB41_64
; %bb.31:
	v_dual_mov_b32 v74, 0 :: v_dual_and_b32 v1, 12, v63
	v_dual_mov_b32 v73, 0 :: v_dual_lshlrev_b32 v2, 4, v72
	v_lshl_add_u32 v8, v68, 4, s33
	s_ashr_i32 s29, s28, 31
	v_dual_mov_b32 v76, 0 :: v_dual_and_b32 v3, 0x7c, v63
	s_lshl_b64 s[2:3], s[28:29], 2
	v_lshl_or_b32 v11, v68, 6, v2
	v_add3_u32 v88, v8, v1, 3
	v_lshlrev_b64 v[1:2], 2, v[65:66]
	s_add_u32 s2, s26, s2
	s_addc_u32 s3, s27, s3
	s_lshl_b64 s[8:9], s[24:25], 2
	s_add_i32 s21, s21, -1
	v_or_b32_e32 v4, 0x400, v3
	v_or_b32_e32 v5, 0x480, v3
	;; [unrolled: 1-line block ×7, first 2 shown]
	s_add_u32 s0, s22, s8
	s_addc_u32 s7, s23, s9
	v_add_co_u32 v66, vcc_lo, s0, v1
	v_dual_mov_b32 v78, 0 :: v_dual_add_nc_u32 v89, 0x200, v11
	v_add_co_ci_u32_e32 v67, vcc_lo, s7, v2, vcc_lo
	v_dual_mov_b32 v75, 0 :: v_dual_lshlrev_b32 v90, 2, v3
	v_dual_mov_b32 v80, 0 :: v_dual_lshlrev_b32 v91, 2, v4
	v_dual_mov_b32 v77, 0 :: v_dual_lshlrev_b32 v92, 2, v5
	v_dual_mov_b32 v82, 0 :: v_dual_lshlrev_b32 v93, 2, v6
	v_dual_mov_b32 v79, 0 :: v_dual_lshlrev_b32 v94, 2, v7
	v_dual_mov_b32 v84, 0 :: v_dual_lshlrev_b32 v95, 2, v9
	v_dual_mov_b32 v81, 0 :: v_dual_lshlrev_b32 v96, 2, v10
	v_dual_mov_b32 v86, 0 :: v_dual_lshlrev_b32 v97, 2, v12
	v_mov_b32_e32 v83, 0
	v_mov_b32_e32 v87, 0
	;; [unrolled: 1-line block ×3, first 2 shown]
	s_mov_b32 s7, s5
	s_mov_b32 s5, 0
	s_branch .LBB41_33
.LBB41_32:                              ;   in Loop: Header=BB41_33 Depth=1
	s_or_b32 exec_lo, exec_lo, s0
	s_waitcnt vmcnt(6) lgkmcnt(0)
	v_mul_f32_e32 v38, v2, v38
	v_mul_f32_e32 v30, v2, v30
	;; [unrolled: 1-line block ×3, first 2 shown]
	s_waitcnt vmcnt(1)
	v_dual_mul_f32 v62, v2, v62 :: v_dual_add_nc_u32 v65, 4, v65
	v_fmac_f32_e32 v38, v1, v37
	v_dual_mul_f32 v58, v2, v58 :: v_dual_add_nc_u32 v89, 0x100, v89
	v_mul_f32_e32 v54, v2, v54
	v_mul_f32_e32 v46, v2, v46
	;; [unrolled: 1-line block ×6, first 2 shown]
	v_fmac_f32_e32 v30, v1, v29
	v_fmac_f32_e32 v38, v3, v39
	v_mul_f32_e32 v18, v2, v18
	v_mul_f32_e32 v14, v2, v14
	;; [unrolled: 1-line block ×3, first 2 shown]
	s_waitcnt vmcnt(0)
	v_mul_f32_e32 v2, v2, v50
	v_fmac_f32_e32 v10, v1, v9
	v_fmac_f32_e32 v22, v1, v21
	;; [unrolled: 1-line block ×8, first 2 shown]
	v_dual_add_f32 v79, v79, v38 :: v_dual_fmac_f32 v30, v4, v32
	v_fmac_f32_e32 v58, v3, v59
	v_fmac_f32_e32 v6, v1, v5
	v_fmac_f32_e32 v2, v3, v51
	s_delay_alu instid0(VALU_DEP_4) | instskip(SKIP_2) | instid1(VALU_DEP_3)
	v_dual_fmac_f32 v10, v4, v12 :: v_dual_add_f32 v81, v81, v30
	v_fmac_f32_e32 v46, v1, v45
	v_fmac_f32_e32 v42, v1, v41
	v_dual_fmac_f32 v58, v4, v60 :: v_dual_add_f32 v87, v87, v10
	v_fmac_f32_e32 v62, v1, v61
	v_fmac_f32_e32 v34, v1, v33
	s_delay_alu instid0(VALU_DEP_3)
	v_dual_fmac_f32 v26, v1, v25 :: v_dual_add_f32 v75, v75, v58
	v_fmac_f32_e32 v22, v4, v24
	v_fmac_f32_e32 v54, v1, v53
	v_fmac_f32_e32 v18, v1, v17
	v_fmac_f32_e32 v14, v1, v13
	v_fmac_f32_e32 v6, v3, v7
	v_dual_add_f32 v83, v83, v22 :: v_dual_fmac_f32 v2, v4, v52
	v_fmac_f32_e32 v46, v3, v47
	v_fmac_f32_e32 v42, v3, v43
	;; [unrolled: 1-line block ×3, first 2 shown]
	s_delay_alu instid0(VALU_DEP_4) | instskip(NEXT) | instid1(VALU_DEP_4)
	v_dual_fmac_f32 v26, v3, v27 :: v_dual_add_f32 v73, v73, v2
	v_fmac_f32_e32 v46, v4, v48
	v_fmac_f32_e32 v62, v3, v63
	;; [unrolled: 1-line block ×4, first 2 shown]
	s_delay_alu instid0(VALU_DEP_4) | instskip(SKIP_2) | instid1(VALU_DEP_3)
	v_dual_fmac_f32 v6, v4, v8 :: v_dual_add_f32 v77, v77, v46
	v_fmac_f32_e32 v54, v3, v55
	v_fmac_f32_e32 v62, v4, v64
	v_dual_fmac_f32 v42, v4, v44 :: v_dual_add_f32 v85, v85, v6
	v_fmac_f32_e32 v34, v4, v36
	s_delay_alu instid0(VALU_DEP_4)
	v_fmac_f32_e32 v54, v4, v56
	v_fmac_f32_e32 v26, v4, v28
	;; [unrolled: 1-line block ×4, first 2 shown]
	v_cmp_le_i32_e32 vcc_lo, s17, v65
	v_add_co_u32 v66, s0, v66, 16
	v_add_f32_e32 v74, v74, v62
	v_add_f32_e32 v76, v76, v54
	;; [unrolled: 1-line block ×7, first 2 shown]
	v_add_nc_u32_e32 v88, 64, v88
	v_add_co_ci_u32_e64 v67, s0, 0, v67, s0
	s_or_b32 s5, vcc_lo, s5
	s_delay_alu instid0(SALU_CYCLE_1)
	s_and_not1_b32 exec_lo, exec_lo, s5
	s_cbranch_execz .LBB41_63
.LBB41_33:                              ; =>This Inner Loop Header: Depth=1
	global_load_b32 v3, v[66:67], off
	v_add_nc_u32_e32 v98, -3, v88
	v_add_nc_u32_e32 v100, -2, v88
	;; [unrolled: 1-line block ×3, first 2 shown]
	s_waitcnt vmcnt(0)
	v_mad_i64_i32 v[1:2], null, v3, s7, 0
	s_delay_alu instid0(VALU_DEP_1) | instskip(NEXT) | instid1(VALU_DEP_1)
	v_lshlrev_b64 v[1:2], 2, v[1:2]
	v_add_co_u32 v49, vcc_lo, s2, v1
	s_delay_alu instid0(VALU_DEP_2)
	v_add_co_ci_u32_e32 v50, vcc_lo, s3, v2, vcc_lo
	ds_load_b128 v[1:4], v89
	v_add_co_u32 v33, vcc_lo, v49, v90
	v_add_co_ci_u32_e32 v34, vcc_lo, 0, v50, vcc_lo
	v_cmp_eq_u32_e32 vcc_lo, s21, v65
	global_load_b128 v[5:8], v[33:34], off
	s_and_saveexec_b32 s8, vcc_lo
	s_cbranch_execnz .LBB41_56
; %bb.34:                               ;   in Loop: Header=BB41_33 Depth=1
	s_or_b32 exec_lo, exec_lo, s8
	global_load_b128 v[9:12], v[33:34], off offset:512
	s_and_saveexec_b32 s8, vcc_lo
	s_cbranch_execnz .LBB41_57
.LBB41_35:                              ;   in Loop: Header=BB41_33 Depth=1
	s_or_b32 exec_lo, exec_lo, s8
	global_load_b128 v[13:16], v[33:34], off offset:1024
	s_and_saveexec_b32 s8, vcc_lo
	s_cbranch_execnz .LBB41_58
.LBB41_36:                              ;   in Loop: Header=BB41_33 Depth=1
	s_or_b32 exec_lo, exec_lo, s8
	global_load_b128 v[17:20], v[33:34], off offset:1536
	s_and_saveexec_b32 s8, vcc_lo
	s_cbranch_execnz .LBB41_59
.LBB41_37:                              ;   in Loop: Header=BB41_33 Depth=1
	s_or_b32 exec_lo, exec_lo, s8
	global_load_b128 v[21:24], v[33:34], off offset:2048
	s_and_saveexec_b32 s8, vcc_lo
	s_cbranch_execnz .LBB41_60
.LBB41_38:                              ;   in Loop: Header=BB41_33 Depth=1
	s_or_b32 exec_lo, exec_lo, s8
	global_load_b128 v[25:28], v[33:34], off offset:2560
	s_and_saveexec_b32 s8, vcc_lo
	s_cbranch_execnz .LBB41_61
.LBB41_39:                              ;   in Loop: Header=BB41_33 Depth=1
	s_or_b32 exec_lo, exec_lo, s8
	global_load_b128 v[29:32], v[33:34], off offset:3072
	s_and_saveexec_b32 s8, vcc_lo
	s_cbranch_execnz .LBB41_62
.LBB41_40:                              ;   in Loop: Header=BB41_33 Depth=1
	s_or_b32 exec_lo, exec_lo, s8
	global_load_b128 v[33:36], v[33:34], off offset:3584
	s_and_saveexec_b32 s8, vcc_lo
	s_cbranch_execz .LBB41_42
.LBB41_41:                              ;   in Loop: Header=BB41_33 Depth=1
	v_cmp_gt_i32_e64 s0, s15, v98
	s_waitcnt vmcnt(0)
	s_delay_alu instid0(VALU_DEP_1) | instskip(SKIP_1) | instid1(VALU_DEP_1)
	v_cndmask_b32_e64 v33, 0, v33, s0
	v_cmp_gt_i32_e64 s0, s15, v100
	v_cndmask_b32_e64 v34, 0, v34, s0
	v_cmp_gt_i32_e64 s0, s15, v99
	s_delay_alu instid0(VALU_DEP_1) | instskip(SKIP_1) | instid1(VALU_DEP_1)
	v_cndmask_b32_e64 v35, 0, v35, s0
	v_cmp_gt_i32_e64 s0, s15, v88
	v_cndmask_b32_e64 v36, 0, v36, s0
.LBB41_42:                              ;   in Loop: Header=BB41_33 Depth=1
	s_or_b32 exec_lo, exec_lo, s8
	v_add_co_u32 v37, s0, v49, v91
	s_delay_alu instid0(VALU_DEP_1)
	v_add_co_ci_u32_e64 v38, s0, 0, v50, s0
	global_load_b128 v[37:40], v[37:38], off
	s_and_saveexec_b32 s8, vcc_lo
	s_cbranch_execz .LBB41_44
; %bb.43:                               ;   in Loop: Header=BB41_33 Depth=1
	v_cmp_gt_i32_e64 s0, s15, v98
	s_waitcnt vmcnt(0)
	s_delay_alu instid0(VALU_DEP_1) | instskip(SKIP_1) | instid1(VALU_DEP_1)
	v_cndmask_b32_e64 v37, 0, v37, s0
	v_cmp_gt_i32_e64 s0, s15, v100
	v_cndmask_b32_e64 v38, 0, v38, s0
	v_cmp_gt_i32_e64 s0, s15, v99
	s_delay_alu instid0(VALU_DEP_1) | instskip(SKIP_1) | instid1(VALU_DEP_1)
	v_cndmask_b32_e64 v39, 0, v39, s0
	v_cmp_gt_i32_e64 s0, s15, v88
	v_cndmask_b32_e64 v40, 0, v40, s0
.LBB41_44:                              ;   in Loop: Header=BB41_33 Depth=1
	s_or_b32 exec_lo, exec_lo, s8
	v_add_co_u32 v41, s0, v49, v92
	s_delay_alu instid0(VALU_DEP_1)
	v_add_co_ci_u32_e64 v42, s0, 0, v50, s0
	global_load_b128 v[41:44], v[41:42], off
	s_and_saveexec_b32 s8, vcc_lo
	s_cbranch_execz .LBB41_46
; %bb.45:                               ;   in Loop: Header=BB41_33 Depth=1
	v_cmp_gt_i32_e64 s0, s15, v98
	s_waitcnt vmcnt(0)
	s_delay_alu instid0(VALU_DEP_1) | instskip(SKIP_1) | instid1(VALU_DEP_1)
	v_cndmask_b32_e64 v41, 0, v41, s0
	v_cmp_gt_i32_e64 s0, s15, v100
	v_cndmask_b32_e64 v42, 0, v42, s0
	v_cmp_gt_i32_e64 s0, s15, v99
	s_delay_alu instid0(VALU_DEP_1) | instskip(SKIP_1) | instid1(VALU_DEP_1)
	v_cndmask_b32_e64 v43, 0, v43, s0
	v_cmp_gt_i32_e64 s0, s15, v88
	v_cndmask_b32_e64 v44, 0, v44, s0
.LBB41_46:                              ;   in Loop: Header=BB41_33 Depth=1
	;; [unrolled: 20-line block ×6, first 2 shown]
	s_or_b32 exec_lo, exec_lo, s8
	v_add_co_u32 v49, s0, v49, v97
	s_delay_alu instid0(VALU_DEP_1)
	v_add_co_ci_u32_e64 v50, s0, 0, v50, s0
	global_load_b128 v[49:52], v[49:50], off
	s_and_saveexec_b32 s0, vcc_lo
	s_cbranch_execz .LBB41_32
; %bb.55:                               ;   in Loop: Header=BB41_33 Depth=1
	v_cmp_gt_i32_e32 vcc_lo, s15, v98
	s_waitcnt vmcnt(0)
	v_cndmask_b32_e32 v49, 0, v49, vcc_lo
	v_cmp_gt_i32_e32 vcc_lo, s15, v100
	v_cndmask_b32_e32 v50, 0, v50, vcc_lo
	v_cmp_gt_i32_e32 vcc_lo, s15, v99
	;; [unrolled: 2-line block ×3, first 2 shown]
	v_cndmask_b32_e32 v52, 0, v52, vcc_lo
	s_branch .LBB41_32
.LBB41_56:                              ;   in Loop: Header=BB41_33 Depth=1
	v_cmp_gt_i32_e64 s0, s15, v98
	s_waitcnt vmcnt(0)
	s_delay_alu instid0(VALU_DEP_1) | instskip(SKIP_1) | instid1(VALU_DEP_1)
	v_cndmask_b32_e64 v5, 0, v5, s0
	v_cmp_gt_i32_e64 s0, s15, v100
	v_cndmask_b32_e64 v6, 0, v6, s0
	v_cmp_gt_i32_e64 s0, s15, v99
	s_delay_alu instid0(VALU_DEP_1) | instskip(SKIP_1) | instid1(VALU_DEP_1)
	v_cndmask_b32_e64 v7, 0, v7, s0
	v_cmp_gt_i32_e64 s0, s15, v88
	v_cndmask_b32_e64 v8, 0, v8, s0
	s_or_b32 exec_lo, exec_lo, s8
	global_load_b128 v[9:12], v[33:34], off offset:512
	s_and_saveexec_b32 s8, vcc_lo
	s_cbranch_execz .LBB41_35
.LBB41_57:                              ;   in Loop: Header=BB41_33 Depth=1
	v_cmp_gt_i32_e64 s0, s15, v98
	s_waitcnt vmcnt(0)
	s_delay_alu instid0(VALU_DEP_1) | instskip(SKIP_1) | instid1(VALU_DEP_1)
	v_cndmask_b32_e64 v9, 0, v9, s0
	v_cmp_gt_i32_e64 s0, s15, v100
	v_cndmask_b32_e64 v10, 0, v10, s0
	v_cmp_gt_i32_e64 s0, s15, v99
	s_delay_alu instid0(VALU_DEP_1) | instskip(SKIP_1) | instid1(VALU_DEP_1)
	v_cndmask_b32_e64 v11, 0, v11, s0
	v_cmp_gt_i32_e64 s0, s15, v88
	v_cndmask_b32_e64 v12, 0, v12, s0
	s_or_b32 exec_lo, exec_lo, s8
	global_load_b128 v[13:16], v[33:34], off offset:1024
	s_and_saveexec_b32 s8, vcc_lo
	s_cbranch_execz .LBB41_36
.LBB41_58:                              ;   in Loop: Header=BB41_33 Depth=1
	v_cmp_gt_i32_e64 s0, s15, v98
	s_waitcnt vmcnt(0)
	s_delay_alu instid0(VALU_DEP_1) | instskip(SKIP_1) | instid1(VALU_DEP_1)
	v_cndmask_b32_e64 v13, 0, v13, s0
	v_cmp_gt_i32_e64 s0, s15, v100
	v_cndmask_b32_e64 v14, 0, v14, s0
	v_cmp_gt_i32_e64 s0, s15, v99
	s_delay_alu instid0(VALU_DEP_1) | instskip(SKIP_1) | instid1(VALU_DEP_1)
	v_cndmask_b32_e64 v15, 0, v15, s0
	v_cmp_gt_i32_e64 s0, s15, v88
	v_cndmask_b32_e64 v16, 0, v16, s0
	s_or_b32 exec_lo, exec_lo, s8
	global_load_b128 v[17:20], v[33:34], off offset:1536
	s_and_saveexec_b32 s8, vcc_lo
	s_cbranch_execz .LBB41_37
.LBB41_59:                              ;   in Loop: Header=BB41_33 Depth=1
	v_cmp_gt_i32_e64 s0, s15, v98
	s_waitcnt vmcnt(0)
	s_delay_alu instid0(VALU_DEP_1) | instskip(SKIP_1) | instid1(VALU_DEP_1)
	v_cndmask_b32_e64 v17, 0, v17, s0
	v_cmp_gt_i32_e64 s0, s15, v100
	v_cndmask_b32_e64 v18, 0, v18, s0
	v_cmp_gt_i32_e64 s0, s15, v99
	s_delay_alu instid0(VALU_DEP_1) | instskip(SKIP_1) | instid1(VALU_DEP_1)
	v_cndmask_b32_e64 v19, 0, v19, s0
	v_cmp_gt_i32_e64 s0, s15, v88
	v_cndmask_b32_e64 v20, 0, v20, s0
	s_or_b32 exec_lo, exec_lo, s8
	global_load_b128 v[21:24], v[33:34], off offset:2048
	s_and_saveexec_b32 s8, vcc_lo
	s_cbranch_execz .LBB41_38
.LBB41_60:                              ;   in Loop: Header=BB41_33 Depth=1
	v_cmp_gt_i32_e64 s0, s15, v98
	s_waitcnt vmcnt(0)
	s_delay_alu instid0(VALU_DEP_1) | instskip(SKIP_1) | instid1(VALU_DEP_1)
	v_cndmask_b32_e64 v21, 0, v21, s0
	v_cmp_gt_i32_e64 s0, s15, v100
	v_cndmask_b32_e64 v22, 0, v22, s0
	v_cmp_gt_i32_e64 s0, s15, v99
	s_delay_alu instid0(VALU_DEP_1) | instskip(SKIP_1) | instid1(VALU_DEP_1)
	v_cndmask_b32_e64 v23, 0, v23, s0
	v_cmp_gt_i32_e64 s0, s15, v88
	v_cndmask_b32_e64 v24, 0, v24, s0
	s_or_b32 exec_lo, exec_lo, s8
	global_load_b128 v[25:28], v[33:34], off offset:2560
	s_and_saveexec_b32 s8, vcc_lo
	s_cbranch_execz .LBB41_39
.LBB41_61:                              ;   in Loop: Header=BB41_33 Depth=1
	v_cmp_gt_i32_e64 s0, s15, v98
	s_waitcnt vmcnt(0)
	s_delay_alu instid0(VALU_DEP_1) | instskip(SKIP_1) | instid1(VALU_DEP_1)
	v_cndmask_b32_e64 v25, 0, v25, s0
	v_cmp_gt_i32_e64 s0, s15, v100
	v_cndmask_b32_e64 v26, 0, v26, s0
	v_cmp_gt_i32_e64 s0, s15, v99
	s_delay_alu instid0(VALU_DEP_1) | instskip(SKIP_1) | instid1(VALU_DEP_1)
	v_cndmask_b32_e64 v27, 0, v27, s0
	v_cmp_gt_i32_e64 s0, s15, v88
	v_cndmask_b32_e64 v28, 0, v28, s0
	s_or_b32 exec_lo, exec_lo, s8
	global_load_b128 v[29:32], v[33:34], off offset:3072
	s_and_saveexec_b32 s8, vcc_lo
	s_cbranch_execz .LBB41_40
.LBB41_62:                              ;   in Loop: Header=BB41_33 Depth=1
	v_cmp_gt_i32_e64 s0, s15, v98
	s_waitcnt vmcnt(0)
	s_delay_alu instid0(VALU_DEP_1) | instskip(SKIP_1) | instid1(VALU_DEP_1)
	v_cndmask_b32_e64 v29, 0, v29, s0
	v_cmp_gt_i32_e64 s0, s15, v100
	v_cndmask_b32_e64 v30, 0, v30, s0
	v_cmp_gt_i32_e64 s0, s15, v99
	s_delay_alu instid0(VALU_DEP_1) | instskip(SKIP_1) | instid1(VALU_DEP_1)
	v_cndmask_b32_e64 v31, 0, v31, s0
	v_cmp_gt_i32_e64 s0, s15, v88
	v_cndmask_b32_e64 v32, 0, v32, s0
	s_or_b32 exec_lo, exec_lo, s8
	global_load_b128 v[33:36], v[33:34], off offset:3584
	s_and_saveexec_b32 s8, vcc_lo
	s_cbranch_execnz .LBB41_41
	s_branch .LBB41_42
.LBB41_63:
	s_or_b32 exec_lo, exec_lo, s5
.LBB41_64:
	s_delay_alu instid0(SALU_CYCLE_1)
	s_or_b32 exec_lo, exec_lo, s1
	ds_bpermute_b32 v1, v70, v85
	ds_bpermute_b32 v2, v70, v87
	;; [unrolled: 1-line block ×15, first 2 shown]
	s_movk_i32 s0, 0x1e0
	s_waitcnt lgkmcnt(0)
	s_waitcnt_vscnt null, 0x0
	s_barrier
	buffer_gl0_inv
	v_dual_add_f32 v1, v85, v1 :: v_dual_add_f32 v2, v87, v2
	v_dual_add_f32 v3, v86, v3 :: v_dual_add_f32 v4, v84, v4
	;; [unrolled: 1-line block ×3, first 2 shown]
	ds_bpermute_b32 v17, v71, v2
	v_dual_add_f32 v7, v81, v7 :: v_dual_add_f32 v8, v80, v8
	ds_bpermute_b32 v16, v71, v1
	ds_bpermute_b32 v18, v71, v3
	v_dual_add_f32 v9, v79, v9 :: v_dual_add_f32 v10, v78, v10
	v_dual_add_f32 v11, v77, v11 :: v_dual_add_f32 v12, v76, v12
	;; [unrolled: 1-line block ×3, first 2 shown]
	v_add_f32_e32 v15, v73, v15
	ds_bpermute_b32 v19, v71, v4
	ds_bpermute_b32 v20, v71, v5
	;; [unrolled: 1-line block ×8, first 2 shown]
	s_waitcnt lgkmcnt(10)
	v_add_f32_e32 v2, v2, v17
	ds_bpermute_b32 v27, v71, v12
	ds_bpermute_b32 v28, v71, v13
	;; [unrolled: 1-line block ×4, first 2 shown]
	s_waitcnt lgkmcnt(13)
	v_add_f32_e32 v1, v1, v16
	s_waitcnt lgkmcnt(12)
	v_dual_add_f32 v3, v3, v18 :: v_dual_and_b32 v18, 0x3c3, v0
	v_lshrrev_b32_e32 v16, 2, v69
	v_mad_u32_u24 v17, v68, s0, 0x200
	s_waitcnt lgkmcnt(10)
	v_dual_add_f32 v4, v4, v19 :: v_dual_add_f32 v5, v5, v20
	s_waitcnt lgkmcnt(8)
	v_dual_add_f32 v6, v6, v21 :: v_dual_add_f32 v7, v7, v22
	s_waitcnt lgkmcnt(6)
	v_dual_add_f32 v8, v8, v23 :: v_dual_add_f32 v9, v9, v24
	s_waitcnt lgkmcnt(4)
	v_dual_add_f32 v10, v10, v25 :: v_dual_add_f32 v11, v11, v26
	s_waitcnt lgkmcnt(2)
	v_dual_add_f32 v12, v12, v27 :: v_dual_add_f32 v13, v13, v28
	s_waitcnt lgkmcnt(0)
	v_dual_add_f32 v14, v14, v29 :: v_dual_add_f32 v15, v15, v30
	v_cmp_eq_u32_e32 vcc_lo, 64, v18
	v_lshlrev_b32_e32 v18, 2, v16
	s_and_saveexec_b32 s0, vcc_lo
	s_cbranch_execz .LBB41_66
; %bb.65:
	s_delay_alu instid0(VALU_DEP_1)
	v_add3_u32 v19, v17, v18, 0xfffffc40
	ds_store_2addr_b32 v19, v1, v2 offset1:8
	ds_store_2addr_b32 v19, v3, v4 offset0:16 offset1:24
	ds_store_2addr_b32 v19, v5, v6 offset0:32 offset1:40
	;; [unrolled: 1-line block ×6, first 2 shown]
	ds_store_b32 v19, v15 offset:448
.LBB41_66:
	s_or_b32 exec_lo, exec_lo, s0
	v_cmp_eq_u32_e32 vcc_lo, 0, v72
	s_mov_b32 s1, exec_lo
	s_waitcnt lgkmcnt(0)
	s_barrier
	buffer_gl0_inv
	v_cmpx_gt_u32_e32 64, v0
	s_cbranch_execz .LBB41_84
; %bb.67:
	s_and_saveexec_b32 s0, vcc_lo
	s_cbranch_execnz .LBB41_107
; %bb.68:
	s_or_b32 exec_lo, exec_lo, s0
	s_and_saveexec_b32 s0, vcc_lo
	s_cbranch_execnz .LBB41_108
.LBB41_69:
	s_or_b32 exec_lo, exec_lo, s0
	s_and_saveexec_b32 s0, vcc_lo
	s_cbranch_execnz .LBB41_109
.LBB41_70:
	s_or_b32 exec_lo, exec_lo, s0
	s_and_saveexec_b32 s0, vcc_lo
	s_cbranch_execnz .LBB41_110
.LBB41_71:
	s_or_b32 exec_lo, exec_lo, s0
	s_and_saveexec_b32 s0, vcc_lo
	s_cbranch_execnz .LBB41_111
.LBB41_72:
	s_or_b32 exec_lo, exec_lo, s0
	s_and_saveexec_b32 s0, vcc_lo
	s_cbranch_execnz .LBB41_112
.LBB41_73:
	s_or_b32 exec_lo, exec_lo, s0
	s_and_saveexec_b32 s0, vcc_lo
	s_cbranch_execnz .LBB41_113
.LBB41_74:
	s_or_b32 exec_lo, exec_lo, s0
	s_and_saveexec_b32 s0, vcc_lo
	s_cbranch_execnz .LBB41_114
.LBB41_75:
	s_or_b32 exec_lo, exec_lo, s0
	s_and_saveexec_b32 s0, vcc_lo
	s_cbranch_execnz .LBB41_115
.LBB41_76:
	s_or_b32 exec_lo, exec_lo, s0
	s_and_saveexec_b32 s0, vcc_lo
	s_cbranch_execnz .LBB41_116
.LBB41_77:
	s_or_b32 exec_lo, exec_lo, s0
	s_and_saveexec_b32 s0, vcc_lo
	s_cbranch_execnz .LBB41_117
.LBB41_78:
	s_or_b32 exec_lo, exec_lo, s0
	s_and_saveexec_b32 s0, vcc_lo
	s_cbranch_execnz .LBB41_118
.LBB41_79:
	s_or_b32 exec_lo, exec_lo, s0
	s_and_saveexec_b32 s0, vcc_lo
	s_cbranch_execnz .LBB41_119
.LBB41_80:
	s_or_b32 exec_lo, exec_lo, s0
	s_and_saveexec_b32 s0, vcc_lo
	s_cbranch_execnz .LBB41_120
.LBB41_81:
	s_or_b32 exec_lo, exec_lo, s0
	s_and_saveexec_b32 s0, vcc_lo
	s_cbranch_execz .LBB41_83
.LBB41_82:
	v_lshl_add_u32 v19, v16, 2, v17
	ds_load_b32 v19, v19 offset:448
	s_waitcnt lgkmcnt(0)
	v_add_f32_e32 v15, v15, v19
.LBB41_83:
	s_or_b32 exec_lo, exec_lo, s0
.LBB41_84:
	s_delay_alu instid0(SALU_CYCLE_1)
	s_or_b32 exec_lo, exec_lo, s1
	v_and_b32_e32 v19, 0x3e3, v0
	s_mov_b32 s1, exec_lo
	s_barrier
	buffer_gl0_inv
	v_cmpx_eq_u32_e32 32, v19
	s_cbranch_execz .LBB41_86
; %bb.85:
	v_add3_u32 v18, v17, v18, 0xfffffe20
	ds_store_2addr_b32 v18, v1, v2 offset1:8
	ds_store_2addr_b32 v18, v3, v4 offset0:16 offset1:24
	ds_store_2addr_b32 v18, v5, v6 offset0:32 offset1:40
	;; [unrolled: 1-line block ×6, first 2 shown]
	ds_store_b32 v18, v15 offset:448
.LBB41_86:
	s_or_b32 exec_lo, exec_lo, s1
	s_delay_alu instid0(SALU_CYCLE_1)
	s_mov_b32 s1, exec_lo
	s_waitcnt lgkmcnt(0)
	s_barrier
	buffer_gl0_inv
	v_cmpx_gt_u32_e32 32, v0
	s_cbranch_execz .LBB41_104
; %bb.87:
	v_lshl_add_u32 v16, v16, 2, v17
	s_and_saveexec_b32 s0, vcc_lo
	s_cbranch_execnz .LBB41_121
; %bb.88:
	s_or_b32 exec_lo, exec_lo, s0
	s_and_saveexec_b32 s0, vcc_lo
	s_cbranch_execnz .LBB41_122
.LBB41_89:
	s_or_b32 exec_lo, exec_lo, s0
	s_and_saveexec_b32 s0, vcc_lo
	s_cbranch_execnz .LBB41_123
.LBB41_90:
	s_or_b32 exec_lo, exec_lo, s0
	s_and_saveexec_b32 s0, vcc_lo
	s_cbranch_execnz .LBB41_124
.LBB41_91:
	s_or_b32 exec_lo, exec_lo, s0
	s_and_saveexec_b32 s0, vcc_lo
	s_cbranch_execnz .LBB41_125
.LBB41_92:
	s_or_b32 exec_lo, exec_lo, s0
	s_and_saveexec_b32 s0, vcc_lo
	s_cbranch_execnz .LBB41_126
.LBB41_93:
	s_or_b32 exec_lo, exec_lo, s0
	s_and_saveexec_b32 s0, vcc_lo
	s_cbranch_execnz .LBB41_127
.LBB41_94:
	s_or_b32 exec_lo, exec_lo, s0
	s_and_saveexec_b32 s0, vcc_lo
	s_cbranch_execnz .LBB41_128
.LBB41_95:
	s_or_b32 exec_lo, exec_lo, s0
	s_and_saveexec_b32 s0, vcc_lo
	s_cbranch_execnz .LBB41_129
.LBB41_96:
	s_or_b32 exec_lo, exec_lo, s0
	s_and_saveexec_b32 s0, vcc_lo
	s_cbranch_execnz .LBB41_130
.LBB41_97:
	s_or_b32 exec_lo, exec_lo, s0
	s_and_saveexec_b32 s0, vcc_lo
	s_cbranch_execnz .LBB41_131
.LBB41_98:
	s_or_b32 exec_lo, exec_lo, s0
	s_and_saveexec_b32 s0, vcc_lo
	s_cbranch_execnz .LBB41_132
.LBB41_99:
	s_or_b32 exec_lo, exec_lo, s0
	s_and_saveexec_b32 s0, vcc_lo
	s_cbranch_execnz .LBB41_133
.LBB41_100:
	s_or_b32 exec_lo, exec_lo, s0
	s_and_saveexec_b32 s0, vcc_lo
	s_cbranch_execnz .LBB41_134
.LBB41_101:
	s_or_b32 exec_lo, exec_lo, s0
	s_and_saveexec_b32 s0, vcc_lo
	s_cbranch_execz .LBB41_103
.LBB41_102:
	ds_load_b32 v16, v16 offset:448
	s_waitcnt lgkmcnt(0)
	v_add_f32_e32 v15, v15, v16
.LBB41_103:
	s_or_b32 exec_lo, exec_lo, s0
.LBB41_104:
	s_delay_alu instid0(SALU_CYCLE_1)
	s_or_b32 exec_lo, exec_lo, s1
	s_barrier
	buffer_gl0_inv
	s_mov_b32 s0, exec_lo
	v_cmpx_eq_u32_e32 0, v19
	s_cbranch_execz .LBB41_106
; %bb.105:
	s_mul_i32 s0, s6, 0x78
	s_mul_i32 s2, s4, s16
	s_ashr_i32 s1, s0, 31
	s_delay_alu instid0(SALU_CYCLE_1) | instskip(NEXT) | instid1(SALU_CYCLE_1)
	s_lshl_b64 s[0:1], s[0:1], 2
	s_add_u32 s4, s18, s0
	s_addc_u32 s5, s19, s1
	s_ashr_i32 s3, s2, 31
	s_delay_alu instid0(SALU_CYCLE_1) | instskip(SKIP_4) | instid1(SALU_CYCLE_1)
	s_lshl_b64 s[0:1], s[2:3], 2
	s_mul_i32 s2, s12, 0x78
	s_add_u32 s4, s4, s0
	s_addc_u32 s5, s5, s1
	s_ashr_i32 s3, s2, 31
	s_lshl_b64 s[0:1], s[2:3], 2
	s_delay_alu instid0(SALU_CYCLE_1)
	s_add_u32 s0, s4, s0
	s_addc_u32 s1, s5, s1
	s_clause 0xe
	global_store_b32 v0, v1, s[0:1]
	global_store_b32 v0, v2, s[0:1] offset:32
	global_store_b32 v0, v3, s[0:1] offset:64
	global_store_b32 v0, v4, s[0:1] offset:96
	global_store_b32 v0, v5, s[0:1] offset:128
	global_store_b32 v0, v6, s[0:1] offset:160
	global_store_b32 v0, v7, s[0:1] offset:192
	global_store_b32 v0, v8, s[0:1] offset:224
	global_store_b32 v0, v9, s[0:1] offset:256
	global_store_b32 v0, v10, s[0:1] offset:288
	global_store_b32 v0, v11, s[0:1] offset:320
	global_store_b32 v0, v12, s[0:1] offset:352
	global_store_b32 v0, v13, s[0:1] offset:384
	global_store_b32 v0, v14, s[0:1] offset:416
	global_store_b32 v0, v15, s[0:1] offset:448
.LBB41_106:
	s_nop 0
	s_sendmsg sendmsg(MSG_DEALLOC_VGPRS)
	s_endpgm
.LBB41_107:
	v_lshl_add_u32 v19, v16, 2, v17
	ds_load_b32 v19, v19
	s_waitcnt lgkmcnt(0)
	v_add_f32_e32 v1, v1, v19
	s_or_b32 exec_lo, exec_lo, s0
	s_and_saveexec_b32 s0, vcc_lo
	s_cbranch_execz .LBB41_69
.LBB41_108:
	v_lshl_add_u32 v19, v16, 2, v17
	ds_load_b32 v19, v19 offset:32
	s_waitcnt lgkmcnt(0)
	v_add_f32_e32 v2, v2, v19
	s_or_b32 exec_lo, exec_lo, s0
	s_and_saveexec_b32 s0, vcc_lo
	s_cbranch_execz .LBB41_70
.LBB41_109:
	v_lshl_add_u32 v19, v16, 2, v17
	ds_load_b32 v19, v19 offset:64
	s_waitcnt lgkmcnt(0)
	v_add_f32_e32 v3, v3, v19
	s_or_b32 exec_lo, exec_lo, s0
	s_and_saveexec_b32 s0, vcc_lo
	s_cbranch_execz .LBB41_71
.LBB41_110:
	v_lshl_add_u32 v19, v16, 2, v17
	ds_load_b32 v19, v19 offset:96
	s_waitcnt lgkmcnt(0)
	v_add_f32_e32 v4, v4, v19
	s_or_b32 exec_lo, exec_lo, s0
	s_and_saveexec_b32 s0, vcc_lo
	s_cbranch_execz .LBB41_72
.LBB41_111:
	v_lshl_add_u32 v19, v16, 2, v17
	ds_load_b32 v19, v19 offset:128
	s_waitcnt lgkmcnt(0)
	v_add_f32_e32 v5, v5, v19
	s_or_b32 exec_lo, exec_lo, s0
	s_and_saveexec_b32 s0, vcc_lo
	s_cbranch_execz .LBB41_73
.LBB41_112:
	v_lshl_add_u32 v19, v16, 2, v17
	ds_load_b32 v19, v19 offset:160
	s_waitcnt lgkmcnt(0)
	v_add_f32_e32 v6, v6, v19
	s_or_b32 exec_lo, exec_lo, s0
	s_and_saveexec_b32 s0, vcc_lo
	s_cbranch_execz .LBB41_74
.LBB41_113:
	v_lshl_add_u32 v19, v16, 2, v17
	ds_load_b32 v19, v19 offset:192
	s_waitcnt lgkmcnt(0)
	v_add_f32_e32 v7, v7, v19
	s_or_b32 exec_lo, exec_lo, s0
	s_and_saveexec_b32 s0, vcc_lo
	s_cbranch_execz .LBB41_75
.LBB41_114:
	v_lshl_add_u32 v19, v16, 2, v17
	ds_load_b32 v19, v19 offset:224
	s_waitcnt lgkmcnt(0)
	v_add_f32_e32 v8, v8, v19
	s_or_b32 exec_lo, exec_lo, s0
	s_and_saveexec_b32 s0, vcc_lo
	s_cbranch_execz .LBB41_76
.LBB41_115:
	v_lshl_add_u32 v19, v16, 2, v17
	ds_load_b32 v19, v19 offset:256
	s_waitcnt lgkmcnt(0)
	v_add_f32_e32 v9, v9, v19
	s_or_b32 exec_lo, exec_lo, s0
	s_and_saveexec_b32 s0, vcc_lo
	s_cbranch_execz .LBB41_77
.LBB41_116:
	v_lshl_add_u32 v19, v16, 2, v17
	ds_load_b32 v19, v19 offset:288
	s_waitcnt lgkmcnt(0)
	v_add_f32_e32 v10, v10, v19
	s_or_b32 exec_lo, exec_lo, s0
	s_and_saveexec_b32 s0, vcc_lo
	s_cbranch_execz .LBB41_78
.LBB41_117:
	v_lshl_add_u32 v19, v16, 2, v17
	ds_load_b32 v19, v19 offset:320
	s_waitcnt lgkmcnt(0)
	v_add_f32_e32 v11, v11, v19
	s_or_b32 exec_lo, exec_lo, s0
	s_and_saveexec_b32 s0, vcc_lo
	s_cbranch_execz .LBB41_79
.LBB41_118:
	v_lshl_add_u32 v19, v16, 2, v17
	ds_load_b32 v19, v19 offset:352
	s_waitcnt lgkmcnt(0)
	v_add_f32_e32 v12, v12, v19
	s_or_b32 exec_lo, exec_lo, s0
	s_and_saveexec_b32 s0, vcc_lo
	s_cbranch_execz .LBB41_80
.LBB41_119:
	v_lshl_add_u32 v19, v16, 2, v17
	ds_load_b32 v19, v19 offset:384
	s_waitcnt lgkmcnt(0)
	v_add_f32_e32 v13, v13, v19
	s_or_b32 exec_lo, exec_lo, s0
	s_and_saveexec_b32 s0, vcc_lo
	s_cbranch_execz .LBB41_81
.LBB41_120:
	v_lshl_add_u32 v19, v16, 2, v17
	ds_load_b32 v19, v19 offset:416
	s_waitcnt lgkmcnt(0)
	v_add_f32_e32 v14, v14, v19
	s_or_b32 exec_lo, exec_lo, s0
	s_and_saveexec_b32 s0, vcc_lo
	s_cbranch_execnz .LBB41_82
	s_branch .LBB41_83
.LBB41_121:
	ds_load_b32 v17, v16
	s_waitcnt lgkmcnt(0)
	v_add_f32_e32 v1, v1, v17
	s_or_b32 exec_lo, exec_lo, s0
	s_and_saveexec_b32 s0, vcc_lo
	s_cbranch_execz .LBB41_89
.LBB41_122:
	ds_load_b32 v17, v16 offset:32
	s_waitcnt lgkmcnt(0)
	v_add_f32_e32 v2, v2, v17
	s_or_b32 exec_lo, exec_lo, s0
	s_and_saveexec_b32 s0, vcc_lo
	s_cbranch_execz .LBB41_90
.LBB41_123:
	ds_load_b32 v17, v16 offset:64
	s_waitcnt lgkmcnt(0)
	v_add_f32_e32 v3, v3, v17
	s_or_b32 exec_lo, exec_lo, s0
	s_and_saveexec_b32 s0, vcc_lo
	s_cbranch_execz .LBB41_91
.LBB41_124:
	ds_load_b32 v17, v16 offset:96
	s_waitcnt lgkmcnt(0)
	v_add_f32_e32 v4, v4, v17
	s_or_b32 exec_lo, exec_lo, s0
	s_and_saveexec_b32 s0, vcc_lo
	s_cbranch_execz .LBB41_92
.LBB41_125:
	ds_load_b32 v17, v16 offset:128
	s_waitcnt lgkmcnt(0)
	v_add_f32_e32 v5, v5, v17
	s_or_b32 exec_lo, exec_lo, s0
	s_and_saveexec_b32 s0, vcc_lo
	s_cbranch_execz .LBB41_93
.LBB41_126:
	ds_load_b32 v17, v16 offset:160
	s_waitcnt lgkmcnt(0)
	v_add_f32_e32 v6, v6, v17
	s_or_b32 exec_lo, exec_lo, s0
	s_and_saveexec_b32 s0, vcc_lo
	s_cbranch_execz .LBB41_94
.LBB41_127:
	ds_load_b32 v17, v16 offset:192
	s_waitcnt lgkmcnt(0)
	v_add_f32_e32 v7, v7, v17
	s_or_b32 exec_lo, exec_lo, s0
	s_and_saveexec_b32 s0, vcc_lo
	s_cbranch_execz .LBB41_95
.LBB41_128:
	ds_load_b32 v17, v16 offset:224
	s_waitcnt lgkmcnt(0)
	v_add_f32_e32 v8, v8, v17
	s_or_b32 exec_lo, exec_lo, s0
	s_and_saveexec_b32 s0, vcc_lo
	s_cbranch_execz .LBB41_96
.LBB41_129:
	ds_load_b32 v17, v16 offset:256
	s_waitcnt lgkmcnt(0)
	v_add_f32_e32 v9, v9, v17
	s_or_b32 exec_lo, exec_lo, s0
	s_and_saveexec_b32 s0, vcc_lo
	s_cbranch_execz .LBB41_97
.LBB41_130:
	ds_load_b32 v17, v16 offset:288
	s_waitcnt lgkmcnt(0)
	v_add_f32_e32 v10, v10, v17
	s_or_b32 exec_lo, exec_lo, s0
	s_and_saveexec_b32 s0, vcc_lo
	s_cbranch_execz .LBB41_98
.LBB41_131:
	ds_load_b32 v17, v16 offset:320
	s_waitcnt lgkmcnt(0)
	v_add_f32_e32 v11, v11, v17
	s_or_b32 exec_lo, exec_lo, s0
	s_and_saveexec_b32 s0, vcc_lo
	s_cbranch_execz .LBB41_99
.LBB41_132:
	ds_load_b32 v17, v16 offset:352
	s_waitcnt lgkmcnt(0)
	v_add_f32_e32 v12, v12, v17
	s_or_b32 exec_lo, exec_lo, s0
	s_and_saveexec_b32 s0, vcc_lo
	s_cbranch_execz .LBB41_100
.LBB41_133:
	ds_load_b32 v17, v16 offset:384
	s_waitcnt lgkmcnt(0)
	v_add_f32_e32 v13, v13, v17
	s_or_b32 exec_lo, exec_lo, s0
	s_and_saveexec_b32 s0, vcc_lo
	s_cbranch_execz .LBB41_101
.LBB41_134:
	ds_load_b32 v17, v16 offset:416
	s_waitcnt lgkmcnt(0)
	v_add_f32_e32 v14, v14, v17
	s_or_b32 exec_lo, exec_lo, s0
	s_and_saveexec_b32 s0, vcc_lo
	s_cbranch_execnz .LBB41_102
	s_branch .LBB41_103
	.section	.rodata,"a",@progbits
	.p2align	6, 0x0
	.amdhsa_kernel _ZN4vllm25paged_attention_v2_kernelIffLi120ELi16ELi128ELNS_18Fp8KVCacheDataTypeE0ELb0ELi512EEEvPfS2_PT_PKS3_PKT0_S9_ifPKiSB_iPKfiiiSD_SD_iiiii
		.amdhsa_group_segment_fixed_size 512
		.amdhsa_private_segment_fixed_size 0
		.amdhsa_kernarg_size 400
		.amdhsa_user_sgpr_count 13
		.amdhsa_user_sgpr_dispatch_ptr 0
		.amdhsa_user_sgpr_queue_ptr 0
		.amdhsa_user_sgpr_kernarg_segment_ptr 1
		.amdhsa_user_sgpr_dispatch_id 0
		.amdhsa_user_sgpr_private_segment_size 0
		.amdhsa_wavefront_size32 1
		.amdhsa_uses_dynamic_stack 0
		.amdhsa_enable_private_segment 0
		.amdhsa_system_sgpr_workgroup_id_x 1
		.amdhsa_system_sgpr_workgroup_id_y 1
		.amdhsa_system_sgpr_workgroup_id_z 1
		.amdhsa_system_sgpr_workgroup_info 0
		.amdhsa_system_vgpr_workitem_id 0
		.amdhsa_next_free_vgpr 126
		.amdhsa_next_free_sgpr 38
		.amdhsa_reserve_vcc 1
		.amdhsa_float_round_mode_32 0
		.amdhsa_float_round_mode_16_64 0
		.amdhsa_float_denorm_mode_32 3
		.amdhsa_float_denorm_mode_16_64 3
		.amdhsa_dx10_clamp 1
		.amdhsa_ieee_mode 1
		.amdhsa_fp16_overflow 0
		.amdhsa_workgroup_processor_mode 1
		.amdhsa_memory_ordered 1
		.amdhsa_forward_progress 0
		.amdhsa_shared_vgpr_count 0
		.amdhsa_exception_fp_ieee_invalid_op 0
		.amdhsa_exception_fp_denorm_src 0
		.amdhsa_exception_fp_ieee_div_zero 0
		.amdhsa_exception_fp_ieee_overflow 0
		.amdhsa_exception_fp_ieee_underflow 0
		.amdhsa_exception_fp_ieee_inexact 0
		.amdhsa_exception_int_div_zero 0
	.end_amdhsa_kernel
	.section	.text._ZN4vllm25paged_attention_v2_kernelIffLi120ELi16ELi128ELNS_18Fp8KVCacheDataTypeE0ELb0ELi512EEEvPfS2_PT_PKS3_PKT0_S9_ifPKiSB_iPKfiiiSD_SD_iiiii,"axG",@progbits,_ZN4vllm25paged_attention_v2_kernelIffLi120ELi16ELi128ELNS_18Fp8KVCacheDataTypeE0ELb0ELi512EEEvPfS2_PT_PKS3_PKT0_S9_ifPKiSB_iPKfiiiSD_SD_iiiii,comdat
.Lfunc_end41:
	.size	_ZN4vllm25paged_attention_v2_kernelIffLi120ELi16ELi128ELNS_18Fp8KVCacheDataTypeE0ELb0ELi512EEEvPfS2_PT_PKS3_PKT0_S9_ifPKiSB_iPKfiiiSD_SD_iiiii, .Lfunc_end41-_ZN4vllm25paged_attention_v2_kernelIffLi120ELi16ELi128ELNS_18Fp8KVCacheDataTypeE0ELb0ELi512EEEvPfS2_PT_PKS3_PKT0_S9_ifPKiSB_iPKfiiiSD_SD_iiiii
                                        ; -- End function
	.section	.AMDGPU.csdata,"",@progbits
; Kernel info:
; codeLenInByte = 7836
; NumSgprs: 40
; NumVgprs: 126
; ScratchSize: 0
; MemoryBound: 0
; FloatMode: 240
; IeeeMode: 1
; LDSByteSize: 512 bytes/workgroup (compile time only)
; SGPRBlocks: 4
; VGPRBlocks: 15
; NumSGPRsForWavesPerEU: 40
; NumVGPRsForWavesPerEU: 126
; Occupancy: 10
; WaveLimiterHint : 1
; COMPUTE_PGM_RSRC2:SCRATCH_EN: 0
; COMPUTE_PGM_RSRC2:USER_SGPR: 13
; COMPUTE_PGM_RSRC2:TRAP_HANDLER: 0
; COMPUTE_PGM_RSRC2:TGID_X_EN: 1
; COMPUTE_PGM_RSRC2:TGID_Y_EN: 1
; COMPUTE_PGM_RSRC2:TGID_Z_EN: 1
; COMPUTE_PGM_RSRC2:TIDIG_COMP_CNT: 0
	.section	.text._ZN4vllm25paged_attention_v2_kernelIffLi128ELi16ELi128ELNS_18Fp8KVCacheDataTypeE0ELb0ELi512EEEvPfS2_PT_PKS3_PKT0_S9_ifPKiSB_iPKfiiiSD_SD_iiiii,"axG",@progbits,_ZN4vllm25paged_attention_v2_kernelIffLi128ELi16ELi128ELNS_18Fp8KVCacheDataTypeE0ELb0ELi512EEEvPfS2_PT_PKS3_PKT0_S9_ifPKiSB_iPKfiiiSD_SD_iiiii,comdat
	.protected	_ZN4vllm25paged_attention_v2_kernelIffLi128ELi16ELi128ELNS_18Fp8KVCacheDataTypeE0ELb0ELi512EEEvPfS2_PT_PKS3_PKT0_S9_ifPKiSB_iPKfiiiSD_SD_iiiii ; -- Begin function _ZN4vllm25paged_attention_v2_kernelIffLi128ELi16ELi128ELNS_18Fp8KVCacheDataTypeE0ELb0ELi512EEEvPfS2_PT_PKS3_PKT0_S9_ifPKiSB_iPKfiiiSD_SD_iiiii
	.globl	_ZN4vllm25paged_attention_v2_kernelIffLi128ELi16ELi128ELNS_18Fp8KVCacheDataTypeE0ELb0ELi512EEEvPfS2_PT_PKS3_PKT0_S9_ifPKiSB_iPKfiiiSD_SD_iiiii
	.p2align	8
	.type	_ZN4vllm25paged_attention_v2_kernelIffLi128ELi16ELi128ELNS_18Fp8KVCacheDataTypeE0ELb0ELi512EEEvPfS2_PT_PKS3_PKT0_S9_ifPKiSB_iPKfiiiSD_SD_iiiii,@function
_ZN4vllm25paged_attention_v2_kernelIffLi128ELi16ELi128ELNS_18Fp8KVCacheDataTypeE0ELb0ELi512EEEvPfS2_PT_PKS3_PKT0_S9_ifPKiSB_iPKfiiiSD_SD_iiiii: ; @_ZN4vllm25paged_attention_v2_kernelIffLi128ELi16ELi128ELNS_18Fp8KVCacheDataTypeE0ELb0ELi512EEEvPfS2_PT_PKS3_PKT0_S9_ifPKiSB_iPKfiiiSD_SD_iiiii
; %bb.0:
	s_load_b64 s[2:3], s[0:1], 0x40
	s_mov_b32 s12, s15
	s_ashr_i32 s15, s14, 31
	s_delay_alu instid0(SALU_CYCLE_1)
	s_lshl_b64 s[4:5], s[14:15], 2
	s_waitcnt lgkmcnt(0)
	s_add_u32 s2, s2, s4
	s_addc_u32 s3, s3, s5
	s_lshl_b32 s34, s12, 9
	s_load_b32 s33, s[2:3], 0x0
	s_waitcnt lgkmcnt(0)
	s_cmp_ge_i32 s34, s33
	s_cbranch_scc1 .LBB42_110
; %bb.1:
	s_mov_b32 s20, s13
	s_clause 0x1
	s_load_b32 s13, s[0:1], 0x90
	s_load_b64 s[30:31], s[0:1], 0x30
	s_waitcnt lgkmcnt(0)
	s_abs_i32 s5, s13
	s_abs_i32 s2, s30
	s_delay_alu instid0(SALU_CYCLE_1) | instskip(SKIP_1) | instid1(VALU_DEP_1)
	v_cvt_f32_u32_e32 v1, s2
	s_sub_i32 s4, 0, s2
	v_rcp_iflag_f32_e32 v1, v1
	s_waitcnt_depctr 0xfff
	v_mul_f32_e32 v1, 0x4f7ffffe, v1
	s_delay_alu instid0(VALU_DEP_1) | instskip(NEXT) | instid1(VALU_DEP_1)
	v_cvt_u32_f32_e32 v1, v1
	v_readfirstlane_b32 s3, v1
	s_delay_alu instid0(VALU_DEP_1) | instskip(NEXT) | instid1(SALU_CYCLE_1)
	s_mul_i32 s4, s4, s3
	s_mul_hi_u32 s4, s3, s4
	s_delay_alu instid0(SALU_CYCLE_1)
	s_add_i32 s3, s3, s4
	s_xor_b32 s4, s13, s30
	s_mul_hi_u32 s3, s5, s3
	s_ashr_i32 s4, s4, 31
	s_mul_i32 s6, s3, s2
	s_mov_b32 s30, 0
	s_sub_i32 s5, s5, s6
	s_add_i32 s6, s3, 1
	s_sub_i32 s7, s5, s2
	s_cmp_ge_u32 s5, s2
	s_cselect_b32 s3, s6, s3
	s_cselect_b32 s5, s7, s5
	s_add_i32 s6, s3, 1
	s_cmp_ge_u32 s5, s2
	s_cselect_b32 s2, s6, s3
	s_abs_i32 s10, s20
	s_xor_b32 s2, s2, s4
	s_delay_alu instid0(SALU_CYCLE_1) | instskip(SKIP_2) | instid1(SALU_CYCLE_1)
	s_sub_i32 s11, s2, s4
	s_load_b64 s[2:3], s[0:1], 0x50
	s_abs_i32 s8, s11
	v_cvt_f32_u32_e32 v1, s8
	s_sub_i32 s5, 0, s8
	s_delay_alu instid0(VALU_DEP_1) | instskip(SKIP_2) | instid1(VALU_DEP_1)
	v_rcp_iflag_f32_e32 v1, v1
	s_waitcnt_depctr 0xfff
	v_mul_f32_e32 v1, 0x4f7ffffe, v1
	v_cvt_u32_f32_e32 v1, v1
	s_delay_alu instid0(VALU_DEP_1) | instskip(NEXT) | instid1(VALU_DEP_1)
	v_readfirstlane_b32 s4, v1
	s_mul_i32 s5, s5, s4
	s_delay_alu instid0(SALU_CYCLE_1) | instskip(NEXT) | instid1(SALU_CYCLE_1)
	s_mul_hi_u32 s5, s4, s5
	s_add_i32 s4, s4, s5
	s_waitcnt lgkmcnt(0)
	s_cmp_eq_u64 s[2:3], 0
	s_mul_hi_u32 s9, s10, s4
	s_cbranch_scc1 .LBB42_3
; %bb.2:
	s_ashr_i32 s21, s20, 31
	s_delay_alu instid0(SALU_CYCLE_1) | instskip(NEXT) | instid1(SALU_CYCLE_1)
	s_lshl_b64 s[4:5], s[20:21], 2
	s_add_u32 s2, s2, s4
	s_addc_u32 s3, s3, s5
	s_load_b32 s30, s[2:3], 0x0
.LBB42_3:
	s_load_b128 s[4:7], s[0:1], 0x58
	v_and_b32_e32 v49, 1, v0
	v_cmp_gt_u32_e64 s2, 64, v0
	v_lshlrev_b32_e32 v1, 3, v0
	v_lshlrev_b32_e32 v67, 2, v0
	s_ashr_i32 s3, s20, 31
	s_ashr_i32 s11, s11, 31
	s_lshl_b32 s16, s20, 7
	s_waitcnt lgkmcnt(0)
	s_and_saveexec_b32 s7, s2
	s_cbranch_execz .LBB42_5
; %bb.4:
	s_load_b64 s[18:19], s[0:1], 0x18
	s_mul_i32 s22, s14, s4
	v_and_b32_e32 v4, 0xff8, v67
	s_ashr_i32 s23, s22, 31
	s_delay_alu instid0(SALU_CYCLE_1) | instskip(NEXT) | instid1(VALU_DEP_1)
	s_lshl_b64 s[22:23], s[22:23], 2
	v_lshl_add_u32 v4, v49, 8, v4
	s_waitcnt lgkmcnt(0)
	s_add_u32 s4, s18, s22
	s_addc_u32 s15, s19, s23
	s_ashr_i32 s17, s16, 31
	s_delay_alu instid0(SALU_CYCLE_1) | instskip(NEXT) | instid1(SALU_CYCLE_1)
	s_lshl_b64 s[18:19], s[16:17], 2
	s_add_u32 s18, s4, s18
	s_addc_u32 s19, s15, s19
	global_load_b64 v[2:3], v1, s[18:19]
	s_waitcnt vmcnt(0)
	ds_store_b64 v4, v[2:3]
.LBB42_5:
	s_or_b32 exec_lo, exec_lo, s7
	s_add_i32 s4, s33, 15
	s_lshl_b32 s7, s12, 5
	s_ashr_i32 s15, s4, 31
	s_xor_b32 s3, s3, s11
	s_lshr_b32 s15, s15, 28
	s_add_i32 s11, s7, 32
	s_add_i32 s4, s4, s15
	v_lshrrev_b32_e32 v72, 5, v0
	s_ashr_i32 s21, s4, 4
	s_mul_i32 s4, s9, s8
	s_min_i32 s17, s11, s21
	s_clause 0x1
	s_load_b64 s[22:23], s[0:1], 0x38
	s_load_b32 s11, s[0:1], 0x48
	s_sub_i32 s4, s10, s4
	s_add_i32 s10, s9, 1
	s_sub_i32 s15, s4, s8
	s_cmp_ge_u32 s4, s8
	v_or_b32_e32 v69, s7, v72
	s_cselect_b32 s9, s10, s9
	s_cselect_b32 s4, s15, s4
	s_add_i32 s10, s9, 1
	s_cmp_ge_u32 s4, s8
	v_mbcnt_lo_u32_b32 v68, -1, 0
	s_cselect_b32 s4, s10, s9
	s_mov_b32 s8, exec_lo
	s_xor_b32 s4, s4, s3
	s_waitcnt lgkmcnt(0)
	s_sub_i32 s4, s4, s3
	v_cmp_gt_i32_e64 s3, s17, v69
	s_barrier
	buffer_gl0_inv
                                        ; implicit-def: $sgpr28
                                        ; implicit-def: $vgpr71
	s_mul_i32 s24, s14, s11
	s_delay_alu instid0(SALU_CYCLE_1)
	s_ashr_i32 s25, s24, 31
	v_cmpx_le_i32_e64 s17, v69
	s_xor_b32 s8, exec_lo, s8
; %bb.6:
	v_mbcnt_lo_u32_b32 v68, -1, 0
	v_mov_b32_e32 v71, 32
	s_mov_b32 s28, 0xff7fffff
                                        ; implicit-def: $vgpr1
                                        ; implicit-def: $vgpr49
; %bb.7:
	s_or_saveexec_b32 s35, s8
	s_clause 0x3
	s_load_b128 s[8:11], s[0:1], 0x0
	s_load_b64 s[18:19], s[0:1], 0x10
	s_load_b64 s[26:27], s[0:1], 0x28
	s_load_b32 s15, s[0:1], 0x98
	v_mov_b32_e32 v75, s28
	v_ashrrev_i32_e32 v70, 31, v69
	s_mul_i32 s28, s4, s6
	s_xor_b32 exec_lo, exec_lo, s35
	s_cbranch_execz .LBB42_13
; %bb.8:
	s_load_b64 s[0:1], s[0:1], 0x20
	v_bfe_u32 v65, v0, 1, 4
	s_ashr_i32 s29, s28, 31
	v_xor_b32_e32 v34, 1, v68
	s_lshl_b64 s[36:37], s[28:29], 2
	v_lshlrev_b32_e32 v61, 8, v49
	v_lshlrev_b32_e32 v35, 4, v65
	v_dual_mov_b32 v71, 32 :: v_dual_lshlrev_b32 v66, 2, v65
	v_cmp_gt_i32_e32 vcc_lo, 32, v34
	v_and_b32_e32 v33, 8, v1
	ds_load_b128 v[1:4], v61
	ds_load_b128 v[5:8], v61 offset:16
	ds_load_b128 v[9:12], v61 offset:32
	;; [unrolled: 1-line block ×7, first 2 shown]
	v_lshlrev_b32_e32 v75, 4, v72
	v_lshl_or_b32 v78, v72, 6, v66
	v_dual_cndmask_b32 v50, v68, v34 :: v_dual_mov_b32 v79, v69
	s_mov_b32 s29, 0
	s_delay_alu instid0(VALU_DEP_3) | instskip(SKIP_1) | instid1(VALU_DEP_3)
	v_add3_u32 v77, s34, v75, v65
	v_lshlrev_b64 v[65:66], 2, v[69:70]
	v_dual_mov_b32 v75, 0xff7fffff :: v_dual_lshlrev_b32 v76, 2, v50
	s_waitcnt lgkmcnt(0)
	s_add_u32 s0, s0, s36
	s_addc_u32 s1, s1, s37
	v_add_co_u32 v35, s0, s0, v35
	s_delay_alu instid0(VALU_DEP_1) | instskip(SKIP_1) | instid1(VALU_DEP_2)
	v_add_co_ci_u32_e64 v36, null, s1, 0, s0
	s_lshl_b64 s[36:37], s[24:25], 2
	v_add_co_u32 v73, vcc_lo, v35, v33
	s_delay_alu instid0(VALU_DEP_2)
	v_add_co_ci_u32_e32 v74, vcc_lo, 0, v36, vcc_lo
	ds_load_b128 v[33:36], v61 offset:128
	ds_load_b128 v[37:40], v61 offset:144
	ds_load_b128 v[41:44], v61 offset:160
	ds_load_b128 v[45:48], v61 offset:176
	v_cmp_eq_u32_e32 vcc_lo, 0, v49
	ds_load_b128 v[49:52], v61 offset:192
	ds_load_b128 v[53:56], v61 offset:208
	;; [unrolled: 1-line block ×4, first 2 shown]
	s_sub_i32 s6, 1, s33
	s_add_u32 s1, s22, s36
	s_addc_u32 s4, s23, s37
	v_add_co_u32 v65, s1, s1, v65
	v_cmp_neq_f32_e64 s0, s30, 0
	v_add_nc_u32_e32 v78, 0x220, v78
	v_add_co_ci_u32_e64 v66, s1, s4, v66, s1
	s_mov_b32 s36, s5
	s_branch .LBB42_10
.LBB42_9:                               ;   in Loop: Header=BB42_10 Depth=1
	s_or_b32 exec_lo, exec_lo, s4
	v_add_nc_u32_e32 v79, 4, v79
	v_add_co_u32 v65, s4, v65, 16
	v_add_nc_u32_e32 v77, 64, v77
	v_add_nc_u32_e32 v78, 0x100, v78
	s_delay_alu instid0(VALU_DEP_4) | instskip(SKIP_1) | instid1(VALU_DEP_2)
	v_cmp_le_i32_e64 s1, s17, v79
	v_add_co_ci_u32_e64 v66, s4, 0, v66, s4
	s_or_b32 s29, s1, s29
	s_delay_alu instid0(SALU_CYCLE_1)
	s_and_not1_b32 exec_lo, exec_lo, s29
	s_cbranch_execz .LBB42_12
.LBB42_10:                              ; =>This Inner Loop Header: Depth=1
	global_load_b32 v82, v[65:66], off
	s_waitcnt vmcnt(0) lgkmcnt(0)
	v_mad_i64_i32 v[80:81], null, v82, s36, 0
	s_delay_alu instid0(VALU_DEP_1) | instskip(NEXT) | instid1(VALU_DEP_1)
	v_lshlrev_b64 v[80:81], 2, v[80:81]
	v_add_co_u32 v80, s1, v73, v80
	s_delay_alu instid0(VALU_DEP_1)
	v_add_co_ci_u32_e64 v81, s1, v74, v81, s1
	s_clause 0xe
	global_load_b64 v[82:83], v[80:81], off offset:256
	global_load_b64 v[84:85], v[80:81], off offset:512
	;; [unrolled: 1-line block ×3, first 2 shown]
	global_load_b64 v[88:89], v[80:81], off
	global_load_b64 v[90:91], v[80:81], off offset:1024
	global_load_b64 v[92:93], v[80:81], off offset:1280
	;; [unrolled: 1-line block ×11, first 2 shown]
	v_add_co_u32 v112, s1, 0x1000, v80
	s_delay_alu instid0(VALU_DEP_1)
	v_add_co_ci_u32_e64 v113, s1, 0, v81, s1
	s_clause 0x5
	global_load_b64 v[80:81], v[80:81], off offset:3840
	global_load_b64 v[114:115], v[112:113], off
	global_load_b64 v[116:117], v[112:113], off offset:256
	global_load_b64 v[118:119], v[112:113], off offset:512
	;; [unrolled: 1-line block ×4, first 2 shown]
	s_waitcnt vmcnt(20)
	v_dual_mul_f32 v124, v3, v82 :: v_dual_mul_f32 v125, v4, v83
	global_load_b64 v[82:83], v[112:113], off offset:1280
	s_waitcnt vmcnt(18)
	v_dual_fmac_f32 v124, v1, v88 :: v_dual_fmac_f32 v125, v2, v89
	global_load_b64 v[88:89], v[112:113], off offset:1536
	v_dual_fmac_f32 v124, v5, v84 :: v_dual_fmac_f32 v125, v6, v85
	global_load_b64 v[84:85], v[112:113], off offset:1792
	;; [unrolled: 2-line block ×3, first 2 shown]
	s_waitcnt vmcnt(20)
	v_dual_fmac_f32 v124, v9, v90 :: v_dual_fmac_f32 v125, v10, v91
	global_load_b64 v[90:91], v[112:113], off offset:2304
	s_waitcnt vmcnt(20)
	v_dual_fmac_f32 v124, v11, v92 :: v_dual_fmac_f32 v125, v12, v93
	global_load_b64 v[92:93], v[112:113], off offset:2560
	;; [unrolled: 3-line block ×5, first 2 shown]
	s_waitcnt vmcnt(20)
	v_dual_fmac_f32 v124, v19, v100 :: v_dual_fmac_f32 v125, v20, v101
	s_clause 0x1
	global_load_b64 v[100:101], v[112:113], off offset:3584
	global_load_b64 v[112:113], v[112:113], off offset:3840
	s_waitcnt vmcnt(21)
	v_dual_fmac_f32 v124, v21, v102 :: v_dual_fmac_f32 v125, v22, v103
	s_waitcnt vmcnt(20)
	s_delay_alu instid0(VALU_DEP_1) | instskip(SKIP_1) | instid1(VALU_DEP_1)
	v_dual_fmac_f32 v124, v23, v104 :: v_dual_fmac_f32 v125, v24, v105
	s_waitcnt vmcnt(19)
	v_dual_fmac_f32 v124, v25, v106 :: v_dual_fmac_f32 v125, v26, v107
	s_waitcnt vmcnt(18)
	s_delay_alu instid0(VALU_DEP_1) | instskip(SKIP_1) | instid1(VALU_DEP_1)
	v_dual_fmac_f32 v124, v27, v108 :: v_dual_fmac_f32 v125, v28, v109
	;; [unrolled: 5-line block ×3, first 2 shown]
	s_waitcnt vmcnt(15) lgkmcnt(7)
	v_dual_fmac_f32 v124, v33, v114 :: v_dual_fmac_f32 v125, v34, v115
	s_waitcnt vmcnt(14)
	s_delay_alu instid0(VALU_DEP_1) | instskip(SKIP_1) | instid1(VALU_DEP_1)
	v_dual_fmac_f32 v124, v35, v116 :: v_dual_fmac_f32 v125, v36, v117
	s_waitcnt vmcnt(13) lgkmcnt(6)
	v_dual_fmac_f32 v124, v37, v118 :: v_dual_fmac_f32 v125, v38, v119
	s_waitcnt vmcnt(12)
	s_delay_alu instid0(VALU_DEP_1) | instskip(SKIP_1) | instid1(VALU_DEP_1)
	v_dual_fmac_f32 v124, v39, v120 :: v_dual_fmac_f32 v125, v40, v121
	;; [unrolled: 5-line block ×7, first 2 shown]
	s_waitcnt vmcnt(1) lgkmcnt(0)
	v_dual_fmac_f32 v124, v61, v100 :: v_dual_fmac_f32 v125, v62, v101
	s_waitcnt vmcnt(0)
	s_delay_alu instid0(VALU_DEP_1) | instskip(NEXT) | instid1(VALU_DEP_1)
	v_dual_fmac_f32 v124, v63, v112 :: v_dual_fmac_f32 v125, v64, v113
	v_add_f32_e32 v80, v124, v125
	ds_bpermute_b32 v81, v76, v80
	s_and_saveexec_b32 s4, vcc_lo
	s_cbranch_execz .LBB42_9
; %bb.11:                               ;   in Loop: Header=BB42_10 Depth=1
	s_waitcnt lgkmcnt(0)
	v_add_f32_e32 v80, v80, v81
	v_add_nc_u32_e32 v82, s6, v77
	v_cmp_gt_i32_e64 s1, s33, v77
	s_delay_alu instid0(VALU_DEP_2) | instskip(NEXT) | instid1(VALU_DEP_1)
	v_cvt_f32_i32_e32 v82, v82
	v_mul_f32_e32 v82, s30, v82
	s_delay_alu instid0(VALU_DEP_1) | instskip(NEXT) | instid1(VALU_DEP_1)
	v_cndmask_b32_e64 v81, 0, v82, s0
	v_dual_max_f32 v82, v75, v75 :: v_dual_fmac_f32 v81, s31, v80
	s_delay_alu instid0(VALU_DEP_1) | instskip(SKIP_1) | instid1(VALU_DEP_2)
	v_max_f32_e32 v80, v82, v81
	v_cndmask_b32_e64 v81, 0, v81, s1
	v_cndmask_b32_e64 v75, v75, v80, s1
	ds_store_b32 v78, v81
	s_branch .LBB42_9
.LBB42_12:
	s_or_b32 exec_lo, exec_lo, s29
.LBB42_13:
	s_delay_alu instid0(SALU_CYCLE_1)
	s_or_b32 exec_lo, exec_lo, s35
	v_xor_b32_e32 v1, 16, v68
	v_xor_b32_e32 v3, 8, v68
	;; [unrolled: 1-line block ×4, first 2 shown]
	v_and_b32_e32 v73, 31, v0
	v_cmp_lt_i32_e32 vcc_lo, v1, v71
	v_dual_max_f32 v4, v75, v75 :: v_dual_cndmask_b32 v1, v68, v1
	v_cmp_lt_i32_e32 vcc_lo, v3, v71
	s_delay_alu instid0(VALU_DEP_2)
	v_dual_cndmask_b32 v3, v68, v3 :: v_dual_lshlrev_b32 v2, 2, v1
	v_cmp_lt_i32_e32 vcc_lo, v5, v71
	ds_bpermute_b32 v1, v2, v75
	v_lshlrev_b32_e32 v3, 2, v3
	v_cndmask_b32_e32 v5, v68, v5, vcc_lo
	v_cmp_lt_i32_e32 vcc_lo, v6, v71
	v_cndmask_b32_e32 v6, v68, v6, vcc_lo
	v_cmp_eq_u32_e32 vcc_lo, 0, v73
	s_delay_alu instid0(VALU_DEP_2) | instskip(SKIP_4) | instid1(VALU_DEP_1)
	v_lshlrev_b32_e32 v74, 2, v6
	v_lshlrev_b32_e32 v6, 2, v72
	;; [unrolled: 1-line block ×3, first 2 shown]
	s_waitcnt lgkmcnt(0)
	v_max_f32_e32 v1, v1, v1
	v_max_f32_e32 v1, v4, v1
	ds_bpermute_b32 v4, v3, v1
	s_waitcnt lgkmcnt(0)
	v_max_f32_e32 v4, v4, v4
	s_delay_alu instid0(VALU_DEP_1) | instskip(SKIP_3) | instid1(VALU_DEP_1)
	v_max_f32_e32 v1, v1, v4
	ds_bpermute_b32 v4, v5, v1
	s_waitcnt lgkmcnt(0)
	v_max_f32_e32 v4, v4, v4
	v_max_f32_e32 v1, v1, v4
	ds_bpermute_b32 v4, v74, v1
	s_and_saveexec_b32 s0, vcc_lo
	s_cbranch_execz .LBB42_15
; %bb.14:
	s_waitcnt lgkmcnt(0)
	v_dual_max_f32 v4, v4, v4 :: v_dual_max_f32 v1, v1, v1
	s_delay_alu instid0(VALU_DEP_1)
	v_max_f32_e32 v1, v1, v4
	ds_store_b32 v6, v1 offset:512
.LBB42_15:
	s_or_b32 exec_lo, exec_lo, s0
	v_cmp_gt_u32_e64 s0, 4, v73
	v_mov_b32_e32 v1, 0xff7fffff
	v_lshlrev_b32_e32 v7, 2, v73
	s_waitcnt lgkmcnt(0)
	s_barrier
	buffer_gl0_inv
	s_and_saveexec_b32 s1, s0
	s_cbranch_execz .LBB42_17
; %bb.16:
	ds_load_b32 v1, v7 offset:512
.LBB42_17:
	s_or_b32 exec_lo, exec_lo, s1
	s_waitcnt lgkmcnt(0)
	ds_bpermute_b32 v4, v74, v1
	v_xor_b32_e32 v8, 1, v68
	v_max_f32_e32 v1, v1, v1
	v_mov_b32_e32 v9, 0
	s_delay_alu instid0(VALU_DEP_3) | instskip(NEXT) | instid1(VALU_DEP_1)
	v_cmp_lt_i32_e64 s1, v8, v71
	v_cndmask_b32_e64 v8, v68, v8, s1
	s_sub_i32 s1, s17, s7
	s_delay_alu instid0(SALU_CYCLE_1) | instskip(NEXT) | instid1(VALU_DEP_1)
	s_lshl_b32 s1, s1, 4
	v_lshlrev_b32_e32 v75, 2, v8
	v_lshlrev_b32_e32 v8, 2, v68
	s_add_i32 s1, s1, s34
	s_waitcnt lgkmcnt(0)
	v_max_f32_e32 v4, v4, v4
	s_min_i32 s1, s1, s33
	v_and_b32_e32 v8, 0xffffff80, v8
	s_sub_i32 s6, s1, s34
	s_delay_alu instid0(VALU_DEP_2) | instskip(SKIP_4) | instid1(VALU_DEP_1)
	v_max_f32_e32 v1, v1, v4
	v_cmp_gt_i32_e64 s1, s6, v0
	ds_bpermute_b32 v4, v75, v1
	s_waitcnt lgkmcnt(0)
	v_max_f32_e32 v4, v4, v4
	v_max_f32_e32 v1, v1, v4
	v_lshl_add_u32 v4, v0, 2, 0x220
	ds_bpermute_b32 v1, v8, v1
	s_and_saveexec_b32 s7, s1
	s_cbranch_execz .LBB42_21
; %bb.18:
	v_lshl_add_u32 v10, v0, 2, 0x220
	v_mov_b32_e32 v9, 0
	v_mov_b32_e32 v11, v0
	s_mov_b32 s29, 0
	.p2align	6
.LBB42_19:                              ; =>This Inner Loop Header: Depth=1
	ds_load_b32 v12, v10
	v_add_nc_u32_e32 v11, 0x80, v11
	s_delay_alu instid0(VALU_DEP_1) | instskip(NEXT) | instid1(VALU_DEP_1)
	v_cmp_le_i32_e64 s4, s6, v11
	s_or_b32 s29, s4, s29
	s_waitcnt lgkmcnt(0)
	v_sub_f32_e32 v12, v12, v1
	s_delay_alu instid0(VALU_DEP_1) | instskip(NEXT) | instid1(VALU_DEP_1)
	v_mul_f32_e32 v12, 0x3fb8aa3b, v12
	v_exp_f32_e32 v12, v12
	ds_store_b32 v10, v12
	v_dual_add_f32 v9, v9, v12 :: v_dual_add_nc_u32 v10, 0x200, v10
	s_and_not1_b32 exec_lo, exec_lo, s29
	s_cbranch_execnz .LBB42_19
; %bb.20:
	s_or_b32 exec_lo, exec_lo, s29
.LBB42_21:
	s_delay_alu instid0(SALU_CYCLE_1)
	s_or_b32 exec_lo, exec_lo, s7
	ds_bpermute_b32 v2, v2, v9
	s_waitcnt lgkmcnt(0)
	v_add_f32_e32 v2, v9, v2
	ds_bpermute_b32 v3, v3, v2
	s_waitcnt lgkmcnt(0)
	v_add_f32_e32 v2, v2, v3
	;; [unrolled: 3-line block ×5, first 2 shown]
	s_and_saveexec_b32 s4, vcc_lo
	s_cbranch_execz .LBB42_23
; %bb.22:
	ds_store_b32 v6, v2 offset:528
.LBB42_23:
	s_or_b32 exec_lo, exec_lo, s4
	s_waitcnt lgkmcnt(0)
	s_barrier
	buffer_gl0_inv
	s_and_saveexec_b32 s4, s0
	s_cbranch_execz .LBB42_25
; %bb.24:
	ds_load_b32 v2, v7 offset:528
.LBB42_25:
	s_or_b32 exec_lo, exec_lo, s4
	s_waitcnt lgkmcnt(0)
	ds_bpermute_b32 v3, v74, v2
	s_waitcnt lgkmcnt(0)
	v_add_f32_e32 v2, v2, v3
	ds_bpermute_b32 v3, v75, v2
	s_waitcnt lgkmcnt(0)
	v_add_f32_e32 v2, v2, v3
	ds_bpermute_b32 v2, v8, v2
	s_and_saveexec_b32 s0, s1
	s_cbranch_execz .LBB42_28
; %bb.26:
	s_waitcnt lgkmcnt(0)
	v_add_f32_e32 v3, 0x358637bd, v2
	s_mov_b32 s1, 0
	s_delay_alu instid0(VALU_DEP_1) | instskip(SKIP_1) | instid1(VALU_DEP_2)
	v_div_scale_f32 v5, null, v3, v3, 1.0
	v_div_scale_f32 v8, vcc_lo, 1.0, v3, 1.0
	v_rcp_f32_e32 v6, v5
	s_waitcnt_depctr 0xfff
	v_fma_f32 v7, -v5, v6, 1.0
	s_delay_alu instid0(VALU_DEP_1) | instskip(NEXT) | instid1(VALU_DEP_1)
	v_fmac_f32_e32 v6, v7, v6
	v_mul_f32_e32 v7, v8, v6
	s_delay_alu instid0(VALU_DEP_1) | instskip(NEXT) | instid1(VALU_DEP_1)
	v_fma_f32 v9, -v5, v7, v8
	v_fmac_f32_e32 v7, v9, v6
	s_delay_alu instid0(VALU_DEP_1) | instskip(NEXT) | instid1(VALU_DEP_1)
	v_fma_f32 v5, -v5, v7, v8
	v_div_fmas_f32 v5, v5, v6, v7
	s_delay_alu instid0(VALU_DEP_1)
	v_div_fixup_f32 v3, v5, v3, 1.0
	v_mov_b32_e32 v5, v0
.LBB42_27:                              ; =>This Inner Loop Header: Depth=1
	ds_load_b32 v6, v4
	s_waitcnt lgkmcnt(0)
	v_dual_mul_f32 v6, v3, v6 :: v_dual_add_nc_u32 v5, 0x80, v5
	s_delay_alu instid0(VALU_DEP_1) | instskip(SKIP_3) | instid1(SALU_CYCLE_1)
	v_cmp_le_i32_e32 vcc_lo, s6, v5
	ds_store_b32 v4, v6
	v_add_nc_u32_e32 v4, 0x200, v4
	s_or_b32 s1, vcc_lo, s1
	s_and_not1_b32 exec_lo, exec_lo, s1
	s_cbranch_execnz .LBB42_27
.LBB42_28:
	s_or_b32 exec_lo, exec_lo, s0
	s_mul_i32 s0, s15, s14
	s_waitcnt lgkmcnt(0)
	s_mul_i32 s6, s0, s13
	s_mov_b32 s0, exec_lo
	s_barrier
	buffer_gl0_inv
	v_cmpx_eq_u32_e32 0, v0
	s_cbranch_execz .LBB42_30
; %bb.29:
	s_ashr_i32 s7, s6, 31
	s_mul_i32 s36, s15, s20
	s_lshl_b64 s[30:31], s[6:7], 2
	v_mov_b32_e32 v3, 0
	s_add_u32 s1, s10, s30
	s_addc_u32 s4, s11, s31
	s_ashr_i32 s37, s36, 31
	s_delay_alu instid0(SALU_CYCLE_1) | instskip(NEXT) | instid1(SALU_CYCLE_1)
	s_lshl_b64 s[10:11], s[36:37], 2
	s_add_u32 s1, s1, s10
	s_addc_u32 s4, s4, s11
	s_ashr_i32 s13, s12, 31
	s_delay_alu instid0(SALU_CYCLE_1) | instskip(NEXT) | instid1(SALU_CYCLE_1)
	s_lshl_b64 s[36:37], s[12:13], 2
	s_add_u32 s38, s1, s36
	s_addc_u32 s39, s4, s37
	s_add_u32 s1, s8, s30
	s_addc_u32 s4, s9, s31
	s_add_u32 s1, s1, s10
	s_addc_u32 s4, s4, s11
	s_add_u32 s8, s1, s36
	s_addc_u32 s9, s4, s37
	s_clause 0x1
	global_store_b32 v3, v1, s[38:39]
	global_store_b32 v3, v2, s[8:9]
.LBB42_30:
	s_or_b32 exec_lo, exec_lo, s0
	v_dual_mov_b32 v90, 0 :: v_dual_mov_b32 v91, 0
	v_dual_mov_b32 v89, 0 :: v_dual_and_b32 v76, 3, v0
	v_dual_mov_b32 v92, 0 :: v_dual_mov_b32 v87, 0
	v_dual_mov_b32 v88, 0 :: v_dual_mov_b32 v85, 0
	;; [unrolled: 1-line block ×6, first 2 shown]
	v_mov_b32_e32 v78, 0
	s_and_saveexec_b32 s1, s3
	s_cbranch_execz .LBB42_66
; %bb.31:
	v_dual_mov_b32 v78, 0 :: v_dual_and_b32 v1, 12, v67
	v_dual_mov_b32 v77, 0 :: v_dual_lshlrev_b32 v2, 4, v76
	v_lshl_add_u32 v9, v72, 4, s34
	s_ashr_i32 s29, s28, 31
	v_dual_mov_b32 v80, 0 :: v_dual_and_b32 v3, 0x7c, v67
	s_lshl_b64 s[8:9], s[28:29], 2
	v_lshl_or_b32 v12, v72, 6, v2
	v_add3_u32 v93, v9, v1, 3
	v_lshlrev_b64 v[1:2], 2, v[69:70]
	s_add_u32 s3, s26, s8
	s_addc_u32 s4, s27, s9
	s_lshl_b64 s[8:9], s[24:25], 2
	s_add_i32 s7, s21, -1
	v_or_b32_e32 v4, 0x400, v3
	v_or_b32_e32 v5, 0x480, v3
	;; [unrolled: 1-line block ×8, first 2 shown]
	s_add_u32 s0, s22, s8
	s_addc_u32 s8, s23, s9
	v_add_co_u32 v70, vcc_lo, s0, v1
	v_dual_mov_b32 v79, 0 :: v_dual_add_nc_u32 v94, 0x220, v12
	v_add_co_ci_u32_e32 v71, vcc_lo, s8, v2, vcc_lo
	v_dual_mov_b32 v82, 0 :: v_dual_lshlrev_b32 v95, 2, v3
	v_dual_mov_b32 v81, 0 :: v_dual_lshlrev_b32 v96, 2, v4
	v_dual_mov_b32 v84, 0 :: v_dual_lshlrev_b32 v97, 2, v5
	v_dual_mov_b32 v83, 0 :: v_dual_lshlrev_b32 v98, 2, v6
	v_dual_mov_b32 v86, 0 :: v_dual_lshlrev_b32 v99, 2, v7
	v_dual_mov_b32 v85, 0 :: v_dual_lshlrev_b32 v100, 2, v8
	v_dual_mov_b32 v88, 0 :: v_dual_lshlrev_b32 v101, 2, v10
	v_dual_mov_b32 v87, 0 :: v_dual_lshlrev_b32 v102, 2, v11
	v_dual_mov_b32 v92, 0 :: v_dual_lshlrev_b32 v103, 2, v13
	v_dual_mov_b32 v89, 0 :: v_dual_mov_b32 v90, 0
	v_mov_b32_e32 v91, 0
	s_mov_b32 s8, s5
	s_mov_b32 s5, 0
	s_branch .LBB42_33
.LBB42_32:                              ;   in Loop: Header=BB42_33 Depth=1
	s_or_b32 exec_lo, exec_lo, s0
	s_waitcnt vmcnt(6) lgkmcnt(0)
	v_mul_f32_e32 v42, v2, v42
	v_mul_f32_e32 v34, v2, v34
	;; [unrolled: 1-line block ×3, first 2 shown]
	s_waitcnt vmcnt(2)
	v_dual_mul_f32 v62, v2, v62 :: v_dual_add_nc_u32 v93, 64, v93
	v_fmac_f32_e32 v42, v1, v41
	v_mul_f32_e32 v26, v2, v26
	v_fmac_f32_e32 v34, v1, v33
	v_fmac_f32_e32 v14, v1, v13
	v_mul_f32_e32 v50, v2, v50
	v_fmac_f32_e32 v42, v3, v43
	v_fmac_f32_e32 v26, v1, v25
	;; [unrolled: 1-line block ×3, first 2 shown]
	v_mul_f32_e32 v18, v2, v18
	v_fmac_f32_e32 v14, v3, v15
	v_fmac_f32_e32 v42, v4, v44
	;; [unrolled: 1-line block ×3, first 2 shown]
	s_waitcnt vmcnt(1)
	v_dual_mul_f32 v66, v2, v66 :: v_dual_add_nc_u32 v69, 4, v69
	v_mul_f32_e32 v58, v2, v58
	v_mul_f32_e32 v46, v2, v46
	;; [unrolled: 1-line block ×3, first 2 shown]
	v_add_f32_e32 v83, v83, v42
	v_mul_f32_e32 v30, v2, v30
	v_mul_f32_e32 v22, v2, v22
	v_fmac_f32_e32 v26, v3, v27
	v_fmac_f32_e32 v34, v4, v36
	v_fmac_f32_e32 v62, v3, v63
	v_mul_f32_e32 v10, v2, v10
	v_fmac_f32_e32 v18, v1, v17
	v_mul_f32_e32 v6, v2, v6
	v_add_f32_e32 v85, v85, v34
	s_waitcnt vmcnt(0)
	v_mul_f32_e32 v2, v2, v54
	v_fmac_f32_e32 v14, v4, v16
	v_fmac_f32_e32 v50, v1, v49
	;; [unrolled: 1-line block ×7, first 2 shown]
	s_delay_alu instid0(VALU_DEP_4) | instskip(SKIP_4) | instid1(VALU_DEP_4)
	v_dual_fmac_f32 v22, v1, v21 :: v_dual_add_f32 v79, v79, v62
	v_fmac_f32_e32 v26, v4, v28
	v_fmac_f32_e32 v58, v1, v57
	;; [unrolled: 1-line block ×4, first 2 shown]
	v_dual_fmac_f32 v6, v1, v5 :: v_dual_add_f32 v87, v87, v26
	v_dual_fmac_f32 v2, v1, v53 :: v_dual_add_f32 v91, v91, v14
	v_fmac_f32_e32 v50, v3, v51
	v_fmac_f32_e32 v46, v3, v47
	;; [unrolled: 1-line block ×12, first 2 shown]
	s_delay_alu instid0(VALU_DEP_4) | instskip(NEXT) | instid1(VALU_DEP_4)
	v_dual_fmac_f32 v46, v4, v48 :: v_dual_add_f32 v89, v89, v18
	v_dual_fmac_f32 v58, v4, v60 :: v_dual_add_f32 v81, v81, v50
	v_fmac_f32_e32 v38, v4, v40
	v_fmac_f32_e32 v30, v4, v32
	;; [unrolled: 1-line block ×7, first 2 shown]
	v_cmp_le_i32_e32 vcc_lo, s17, v69
	v_add_co_u32 v70, s0, v70, 16
	s_delay_alu instid0(VALU_DEP_4) | instskip(NEXT) | instid1(VALU_DEP_4)
	v_add_f32_e32 v77, v77, v2
	v_add_f32_e32 v78, v78, v66
	;; [unrolled: 1-line block ×9, first 2 shown]
	v_add_nc_u32_e32 v94, 0x100, v94
	v_add_co_ci_u32_e64 v71, s0, 0, v71, s0
	s_or_b32 s5, vcc_lo, s5
	s_delay_alu instid0(SALU_CYCLE_1)
	s_and_not1_b32 exec_lo, exec_lo, s5
	s_cbranch_execz .LBB42_65
.LBB42_33:                              ; =>This Inner Loop Header: Depth=1
	global_load_b32 v3, v[70:71], off
	v_add_nc_u32_e32 v104, -3, v93
	v_add_nc_u32_e32 v106, -2, v93
	;; [unrolled: 1-line block ×3, first 2 shown]
	s_waitcnt vmcnt(0)
	v_mad_i64_i32 v[1:2], null, v3, s8, 0
	s_delay_alu instid0(VALU_DEP_1) | instskip(NEXT) | instid1(VALU_DEP_1)
	v_lshlrev_b64 v[1:2], 2, v[1:2]
	v_add_co_u32 v53, vcc_lo, s3, v1
	s_delay_alu instid0(VALU_DEP_2)
	v_add_co_ci_u32_e32 v54, vcc_lo, s4, v2, vcc_lo
	ds_load_b128 v[1:4], v94
	v_add_co_u32 v33, vcc_lo, v53, v95
	v_add_co_ci_u32_e32 v34, vcc_lo, 0, v54, vcc_lo
	v_cmp_eq_u32_e32 vcc_lo, s7, v69
	global_load_b128 v[5:8], v[33:34], off
	s_and_saveexec_b32 s9, vcc_lo
	s_cbranch_execnz .LBB42_58
; %bb.34:                               ;   in Loop: Header=BB42_33 Depth=1
	s_or_b32 exec_lo, exec_lo, s9
	global_load_b128 v[9:12], v[33:34], off offset:512
	s_and_saveexec_b32 s9, vcc_lo
	s_cbranch_execnz .LBB42_59
.LBB42_35:                              ;   in Loop: Header=BB42_33 Depth=1
	s_or_b32 exec_lo, exec_lo, s9
	global_load_b128 v[13:16], v[33:34], off offset:1024
	s_and_saveexec_b32 s9, vcc_lo
	s_cbranch_execnz .LBB42_60
.LBB42_36:                              ;   in Loop: Header=BB42_33 Depth=1
	s_or_b32 exec_lo, exec_lo, s9
	global_load_b128 v[17:20], v[33:34], off offset:1536
	s_and_saveexec_b32 s9, vcc_lo
	s_cbranch_execnz .LBB42_61
.LBB42_37:                              ;   in Loop: Header=BB42_33 Depth=1
	s_or_b32 exec_lo, exec_lo, s9
	global_load_b128 v[21:24], v[33:34], off offset:2048
	s_and_saveexec_b32 s9, vcc_lo
	s_cbranch_execnz .LBB42_62
.LBB42_38:                              ;   in Loop: Header=BB42_33 Depth=1
	s_or_b32 exec_lo, exec_lo, s9
	global_load_b128 v[25:28], v[33:34], off offset:2560
	s_and_saveexec_b32 s9, vcc_lo
	s_cbranch_execnz .LBB42_63
.LBB42_39:                              ;   in Loop: Header=BB42_33 Depth=1
	s_or_b32 exec_lo, exec_lo, s9
	global_load_b128 v[29:32], v[33:34], off offset:3072
	s_and_saveexec_b32 s9, vcc_lo
	s_cbranch_execnz .LBB42_64
.LBB42_40:                              ;   in Loop: Header=BB42_33 Depth=1
	s_or_b32 exec_lo, exec_lo, s9
	global_load_b128 v[33:36], v[33:34], off offset:3584
	s_and_saveexec_b32 s9, vcc_lo
	s_cbranch_execz .LBB42_42
.LBB42_41:                              ;   in Loop: Header=BB42_33 Depth=1
	v_cmp_gt_i32_e64 s0, s33, v104
	s_waitcnt vmcnt(0)
	s_delay_alu instid0(VALU_DEP_1) | instskip(SKIP_1) | instid1(VALU_DEP_1)
	v_cndmask_b32_e64 v33, 0, v33, s0
	v_cmp_gt_i32_e64 s0, s33, v106
	v_cndmask_b32_e64 v34, 0, v34, s0
	v_cmp_gt_i32_e64 s0, s33, v105
	s_delay_alu instid0(VALU_DEP_1) | instskip(SKIP_1) | instid1(VALU_DEP_1)
	v_cndmask_b32_e64 v35, 0, v35, s0
	v_cmp_gt_i32_e64 s0, s33, v93
	v_cndmask_b32_e64 v36, 0, v36, s0
.LBB42_42:                              ;   in Loop: Header=BB42_33 Depth=1
	s_or_b32 exec_lo, exec_lo, s9
	v_add_co_u32 v37, s0, v53, v96
	s_delay_alu instid0(VALU_DEP_1)
	v_add_co_ci_u32_e64 v38, s0, 0, v54, s0
	global_load_b128 v[37:40], v[37:38], off
	s_and_saveexec_b32 s9, vcc_lo
	s_cbranch_execz .LBB42_44
; %bb.43:                               ;   in Loop: Header=BB42_33 Depth=1
	v_cmp_gt_i32_e64 s0, s33, v104
	s_waitcnt vmcnt(0)
	s_delay_alu instid0(VALU_DEP_1) | instskip(SKIP_1) | instid1(VALU_DEP_1)
	v_cndmask_b32_e64 v37, 0, v37, s0
	v_cmp_gt_i32_e64 s0, s33, v106
	v_cndmask_b32_e64 v38, 0, v38, s0
	v_cmp_gt_i32_e64 s0, s33, v105
	s_delay_alu instid0(VALU_DEP_1) | instskip(SKIP_1) | instid1(VALU_DEP_1)
	v_cndmask_b32_e64 v39, 0, v39, s0
	v_cmp_gt_i32_e64 s0, s33, v93
	v_cndmask_b32_e64 v40, 0, v40, s0
.LBB42_44:                              ;   in Loop: Header=BB42_33 Depth=1
	s_or_b32 exec_lo, exec_lo, s9
	v_add_co_u32 v41, s0, v53, v97
	s_delay_alu instid0(VALU_DEP_1)
	v_add_co_ci_u32_e64 v42, s0, 0, v54, s0
	global_load_b128 v[41:44], v[41:42], off
	s_and_saveexec_b32 s9, vcc_lo
	s_cbranch_execz .LBB42_46
; %bb.45:                               ;   in Loop: Header=BB42_33 Depth=1
	v_cmp_gt_i32_e64 s0, s33, v104
	s_waitcnt vmcnt(0)
	s_delay_alu instid0(VALU_DEP_1) | instskip(SKIP_1) | instid1(VALU_DEP_1)
	v_cndmask_b32_e64 v41, 0, v41, s0
	v_cmp_gt_i32_e64 s0, s33, v106
	v_cndmask_b32_e64 v42, 0, v42, s0
	v_cmp_gt_i32_e64 s0, s33, v105
	s_delay_alu instid0(VALU_DEP_1) | instskip(SKIP_1) | instid1(VALU_DEP_1)
	v_cndmask_b32_e64 v43, 0, v43, s0
	v_cmp_gt_i32_e64 s0, s33, v93
	v_cndmask_b32_e64 v44, 0, v44, s0
.LBB42_46:                              ;   in Loop: Header=BB42_33 Depth=1
	;; [unrolled: 20-line block ×7, first 2 shown]
	s_or_b32 exec_lo, exec_lo, s9
	v_add_co_u32 v53, s0, v53, v103
	s_delay_alu instid0(VALU_DEP_1)
	v_add_co_ci_u32_e64 v54, s0, 0, v54, s0
	global_load_b128 v[53:56], v[53:54], off
	s_and_saveexec_b32 s0, vcc_lo
	s_cbranch_execz .LBB42_32
; %bb.57:                               ;   in Loop: Header=BB42_33 Depth=1
	v_cmp_gt_i32_e32 vcc_lo, s33, v104
	s_waitcnt vmcnt(0)
	v_cndmask_b32_e32 v53, 0, v53, vcc_lo
	v_cmp_gt_i32_e32 vcc_lo, s33, v106
	v_cndmask_b32_e32 v54, 0, v54, vcc_lo
	v_cmp_gt_i32_e32 vcc_lo, s33, v105
	;; [unrolled: 2-line block ×3, first 2 shown]
	v_cndmask_b32_e32 v56, 0, v56, vcc_lo
	s_branch .LBB42_32
.LBB42_58:                              ;   in Loop: Header=BB42_33 Depth=1
	v_cmp_gt_i32_e64 s0, s33, v104
	s_waitcnt vmcnt(0)
	s_delay_alu instid0(VALU_DEP_1) | instskip(SKIP_1) | instid1(VALU_DEP_1)
	v_cndmask_b32_e64 v5, 0, v5, s0
	v_cmp_gt_i32_e64 s0, s33, v106
	v_cndmask_b32_e64 v6, 0, v6, s0
	v_cmp_gt_i32_e64 s0, s33, v105
	s_delay_alu instid0(VALU_DEP_1) | instskip(SKIP_1) | instid1(VALU_DEP_1)
	v_cndmask_b32_e64 v7, 0, v7, s0
	v_cmp_gt_i32_e64 s0, s33, v93
	v_cndmask_b32_e64 v8, 0, v8, s0
	s_or_b32 exec_lo, exec_lo, s9
	global_load_b128 v[9:12], v[33:34], off offset:512
	s_and_saveexec_b32 s9, vcc_lo
	s_cbranch_execz .LBB42_35
.LBB42_59:                              ;   in Loop: Header=BB42_33 Depth=1
	v_cmp_gt_i32_e64 s0, s33, v104
	s_waitcnt vmcnt(0)
	s_delay_alu instid0(VALU_DEP_1) | instskip(SKIP_1) | instid1(VALU_DEP_1)
	v_cndmask_b32_e64 v9, 0, v9, s0
	v_cmp_gt_i32_e64 s0, s33, v106
	v_cndmask_b32_e64 v10, 0, v10, s0
	v_cmp_gt_i32_e64 s0, s33, v105
	s_delay_alu instid0(VALU_DEP_1) | instskip(SKIP_1) | instid1(VALU_DEP_1)
	v_cndmask_b32_e64 v11, 0, v11, s0
	v_cmp_gt_i32_e64 s0, s33, v93
	v_cndmask_b32_e64 v12, 0, v12, s0
	s_or_b32 exec_lo, exec_lo, s9
	global_load_b128 v[13:16], v[33:34], off offset:1024
	s_and_saveexec_b32 s9, vcc_lo
	s_cbranch_execz .LBB42_36
.LBB42_60:                              ;   in Loop: Header=BB42_33 Depth=1
	v_cmp_gt_i32_e64 s0, s33, v104
	s_waitcnt vmcnt(0)
	s_delay_alu instid0(VALU_DEP_1) | instskip(SKIP_1) | instid1(VALU_DEP_1)
	v_cndmask_b32_e64 v13, 0, v13, s0
	v_cmp_gt_i32_e64 s0, s33, v106
	v_cndmask_b32_e64 v14, 0, v14, s0
	v_cmp_gt_i32_e64 s0, s33, v105
	s_delay_alu instid0(VALU_DEP_1) | instskip(SKIP_1) | instid1(VALU_DEP_1)
	v_cndmask_b32_e64 v15, 0, v15, s0
	v_cmp_gt_i32_e64 s0, s33, v93
	v_cndmask_b32_e64 v16, 0, v16, s0
	s_or_b32 exec_lo, exec_lo, s9
	global_load_b128 v[17:20], v[33:34], off offset:1536
	s_and_saveexec_b32 s9, vcc_lo
	s_cbranch_execz .LBB42_37
.LBB42_61:                              ;   in Loop: Header=BB42_33 Depth=1
	v_cmp_gt_i32_e64 s0, s33, v104
	s_waitcnt vmcnt(0)
	s_delay_alu instid0(VALU_DEP_1) | instskip(SKIP_1) | instid1(VALU_DEP_1)
	v_cndmask_b32_e64 v17, 0, v17, s0
	v_cmp_gt_i32_e64 s0, s33, v106
	v_cndmask_b32_e64 v18, 0, v18, s0
	v_cmp_gt_i32_e64 s0, s33, v105
	s_delay_alu instid0(VALU_DEP_1) | instskip(SKIP_1) | instid1(VALU_DEP_1)
	v_cndmask_b32_e64 v19, 0, v19, s0
	v_cmp_gt_i32_e64 s0, s33, v93
	v_cndmask_b32_e64 v20, 0, v20, s0
	s_or_b32 exec_lo, exec_lo, s9
	global_load_b128 v[21:24], v[33:34], off offset:2048
	s_and_saveexec_b32 s9, vcc_lo
	s_cbranch_execz .LBB42_38
.LBB42_62:                              ;   in Loop: Header=BB42_33 Depth=1
	v_cmp_gt_i32_e64 s0, s33, v104
	s_waitcnt vmcnt(0)
	s_delay_alu instid0(VALU_DEP_1) | instskip(SKIP_1) | instid1(VALU_DEP_1)
	v_cndmask_b32_e64 v21, 0, v21, s0
	v_cmp_gt_i32_e64 s0, s33, v106
	v_cndmask_b32_e64 v22, 0, v22, s0
	v_cmp_gt_i32_e64 s0, s33, v105
	s_delay_alu instid0(VALU_DEP_1) | instskip(SKIP_1) | instid1(VALU_DEP_1)
	v_cndmask_b32_e64 v23, 0, v23, s0
	v_cmp_gt_i32_e64 s0, s33, v93
	v_cndmask_b32_e64 v24, 0, v24, s0
	s_or_b32 exec_lo, exec_lo, s9
	global_load_b128 v[25:28], v[33:34], off offset:2560
	s_and_saveexec_b32 s9, vcc_lo
	s_cbranch_execz .LBB42_39
.LBB42_63:                              ;   in Loop: Header=BB42_33 Depth=1
	v_cmp_gt_i32_e64 s0, s33, v104
	s_waitcnt vmcnt(0)
	s_delay_alu instid0(VALU_DEP_1) | instskip(SKIP_1) | instid1(VALU_DEP_1)
	v_cndmask_b32_e64 v25, 0, v25, s0
	v_cmp_gt_i32_e64 s0, s33, v106
	v_cndmask_b32_e64 v26, 0, v26, s0
	v_cmp_gt_i32_e64 s0, s33, v105
	s_delay_alu instid0(VALU_DEP_1) | instskip(SKIP_1) | instid1(VALU_DEP_1)
	v_cndmask_b32_e64 v27, 0, v27, s0
	v_cmp_gt_i32_e64 s0, s33, v93
	v_cndmask_b32_e64 v28, 0, v28, s0
	s_or_b32 exec_lo, exec_lo, s9
	global_load_b128 v[29:32], v[33:34], off offset:3072
	s_and_saveexec_b32 s9, vcc_lo
	s_cbranch_execz .LBB42_40
.LBB42_64:                              ;   in Loop: Header=BB42_33 Depth=1
	v_cmp_gt_i32_e64 s0, s33, v104
	s_waitcnt vmcnt(0)
	s_delay_alu instid0(VALU_DEP_1) | instskip(SKIP_1) | instid1(VALU_DEP_1)
	v_cndmask_b32_e64 v29, 0, v29, s0
	v_cmp_gt_i32_e64 s0, s33, v106
	v_cndmask_b32_e64 v30, 0, v30, s0
	v_cmp_gt_i32_e64 s0, s33, v105
	s_delay_alu instid0(VALU_DEP_1) | instskip(SKIP_1) | instid1(VALU_DEP_1)
	v_cndmask_b32_e64 v31, 0, v31, s0
	v_cmp_gt_i32_e64 s0, s33, v93
	v_cndmask_b32_e64 v32, 0, v32, s0
	s_or_b32 exec_lo, exec_lo, s9
	global_load_b128 v[33:36], v[33:34], off offset:3584
	s_and_saveexec_b32 s9, vcc_lo
	s_cbranch_execnz .LBB42_41
	s_branch .LBB42_42
.LBB42_65:
	s_or_b32 exec_lo, exec_lo, s5
.LBB42_66:
	s_delay_alu instid0(SALU_CYCLE_1)
	s_or_b32 exec_lo, exec_lo, s1
	ds_bpermute_b32 v1, v74, v90
	ds_bpermute_b32 v2, v74, v92
	;; [unrolled: 1-line block ×16, first 2 shown]
	s_mov_b32 s0, exec_lo
	s_waitcnt lgkmcnt(0)
	s_waitcnt_vscnt null, 0x0
	s_barrier
	buffer_gl0_inv
	v_dual_add_f32 v1, v90, v1 :: v_dual_add_f32 v2, v92, v2
	v_dual_add_f32 v3, v91, v3 :: v_dual_add_f32 v4, v89, v4
	;; [unrolled: 1-line block ×8, first 2 shown]
	ds_bpermute_b32 v17, v75, v1
	ds_bpermute_b32 v18, v75, v2
	;; [unrolled: 1-line block ×16, first 2 shown]
	s_waitcnt lgkmcnt(14)
	v_dual_add_f32 v1, v1, v17 :: v_dual_add_f32 v2, v2, v18
	s_waitcnt lgkmcnt(12)
	v_dual_add_f32 v3, v3, v19 :: v_dual_add_f32 v4, v4, v20
	s_waitcnt lgkmcnt(10)
	v_dual_add_f32 v5, v5, v21 :: v_dual_add_f32 v6, v6, v22
	s_waitcnt lgkmcnt(8)
	v_dual_add_f32 v7, v7, v23 :: v_dual_add_f32 v8, v8, v24
	s_waitcnt lgkmcnt(6)
	v_dual_add_f32 v9, v9, v25 :: v_dual_add_f32 v10, v10, v26
	s_waitcnt lgkmcnt(4)
	v_dual_add_f32 v11, v11, v27 :: v_dual_add_f32 v12, v12, v28
	s_waitcnt lgkmcnt(2)
	v_dual_add_f32 v13, v13, v29 :: v_dual_add_f32 v14, v14, v30
	v_and_b32_e32 v19, 0x3c3, v0
	s_waitcnt lgkmcnt(0)
	v_dual_add_f32 v15, v15, v31 :: v_dual_add_f32 v16, v16, v32
	v_lshrrev_b32_e32 v17, 2, v73
	v_lshl_add_u32 v18, v72, 9, 0x220
	v_cmpx_eq_u32_e32 64, v19
	s_cbranch_execz .LBB42_68
; %bb.67:
	s_delay_alu instid0(VALU_DEP_3) | instskip(NEXT) | instid1(VALU_DEP_1)
	v_lshlrev_b32_e32 v19, 2, v17
	v_add3_u32 v19, v18, v19, 0xfffffc00
	ds_store_2addr_b32 v19, v1, v2 offset1:8
	ds_store_2addr_b32 v19, v3, v4 offset0:16 offset1:24
	ds_store_2addr_b32 v19, v5, v6 offset0:32 offset1:40
	;; [unrolled: 1-line block ×7, first 2 shown]
.LBB42_68:
	s_or_b32 exec_lo, exec_lo, s0
	v_cmp_eq_u32_e32 vcc_lo, 0, v76
	s_waitcnt lgkmcnt(0)
	s_barrier
	buffer_gl0_inv
	s_and_saveexec_b32 s0, s2
	s_cbranch_execz .LBB42_87
; %bb.69:
	s_and_saveexec_b32 s1, vcc_lo
	s_cbranch_execnz .LBB42_111
; %bb.70:
	s_or_b32 exec_lo, exec_lo, s1
	s_and_saveexec_b32 s1, vcc_lo
	s_cbranch_execnz .LBB42_112
.LBB42_71:
	s_or_b32 exec_lo, exec_lo, s1
	s_and_saveexec_b32 s1, vcc_lo
	s_cbranch_execnz .LBB42_113
.LBB42_72:
	s_or_b32 exec_lo, exec_lo, s1
	s_and_saveexec_b32 s1, vcc_lo
	s_cbranch_execnz .LBB42_114
.LBB42_73:
	s_or_b32 exec_lo, exec_lo, s1
	s_and_saveexec_b32 s1, vcc_lo
	s_cbranch_execnz .LBB42_115
.LBB42_74:
	s_or_b32 exec_lo, exec_lo, s1
	s_and_saveexec_b32 s1, vcc_lo
	s_cbranch_execnz .LBB42_116
.LBB42_75:
	s_or_b32 exec_lo, exec_lo, s1
	s_and_saveexec_b32 s1, vcc_lo
	s_cbranch_execnz .LBB42_117
.LBB42_76:
	s_or_b32 exec_lo, exec_lo, s1
	s_and_saveexec_b32 s1, vcc_lo
	s_cbranch_execnz .LBB42_118
.LBB42_77:
	s_or_b32 exec_lo, exec_lo, s1
	s_and_saveexec_b32 s1, vcc_lo
	s_cbranch_execnz .LBB42_119
.LBB42_78:
	s_or_b32 exec_lo, exec_lo, s1
	s_and_saveexec_b32 s1, vcc_lo
	s_cbranch_execnz .LBB42_120
.LBB42_79:
	s_or_b32 exec_lo, exec_lo, s1
	s_and_saveexec_b32 s1, vcc_lo
	s_cbranch_execnz .LBB42_121
.LBB42_80:
	s_or_b32 exec_lo, exec_lo, s1
	s_and_saveexec_b32 s1, vcc_lo
	s_cbranch_execnz .LBB42_122
.LBB42_81:
	s_or_b32 exec_lo, exec_lo, s1
	s_and_saveexec_b32 s1, vcc_lo
	s_cbranch_execnz .LBB42_123
.LBB42_82:
	s_or_b32 exec_lo, exec_lo, s1
	s_and_saveexec_b32 s1, vcc_lo
	s_cbranch_execnz .LBB42_124
.LBB42_83:
	s_or_b32 exec_lo, exec_lo, s1
	s_and_saveexec_b32 s1, vcc_lo
	s_cbranch_execnz .LBB42_125
.LBB42_84:
	s_or_b32 exec_lo, exec_lo, s1
	s_and_saveexec_b32 s1, vcc_lo
	s_cbranch_execz .LBB42_86
.LBB42_85:
	v_lshl_add_u32 v19, v17, 2, v18
	ds_load_b32 v19, v19 offset:480
	s_waitcnt lgkmcnt(0)
	v_add_f32_e32 v16, v16, v19
.LBB42_86:
	s_or_b32 exec_lo, exec_lo, s1
.LBB42_87:
	s_delay_alu instid0(SALU_CYCLE_1)
	s_or_b32 exec_lo, exec_lo, s0
	v_and_b32_e32 v19, 0x3e3, v0
	s_mov_b32 s1, exec_lo
	s_barrier
	buffer_gl0_inv
	v_cmpx_eq_u32_e32 32, v19
	s_cbranch_execz .LBB42_89
; %bb.88:
	v_lshl_add_u32 v20, v17, 2, 0x220
	ds_store_2addr_b32 v20, v1, v2 offset1:8
	ds_store_2addr_b32 v20, v3, v4 offset0:16 offset1:24
	ds_store_2addr_b32 v20, v5, v6 offset0:32 offset1:40
	ds_store_2addr_b32 v20, v7, v8 offset0:48 offset1:56
	ds_store_2addr_b32 v20, v9, v10 offset0:64 offset1:72
	ds_store_2addr_b32 v20, v11, v12 offset0:80 offset1:88
	ds_store_2addr_b32 v20, v13, v14 offset0:96 offset1:104
	ds_store_2addr_b32 v20, v15, v16 offset0:112 offset1:120
.LBB42_89:
	s_or_b32 exec_lo, exec_lo, s1
	s_delay_alu instid0(SALU_CYCLE_1)
	s_mov_b32 s1, exec_lo
	s_waitcnt lgkmcnt(0)
	s_barrier
	buffer_gl0_inv
	v_cmpx_gt_u32_e32 32, v0
	s_cbranch_execz .LBB42_108
; %bb.90:
	v_lshl_add_u32 v17, v17, 2, v18
	s_and_saveexec_b32 s0, vcc_lo
	s_cbranch_execnz .LBB42_126
; %bb.91:
	s_or_b32 exec_lo, exec_lo, s0
	s_and_saveexec_b32 s0, vcc_lo
	s_cbranch_execnz .LBB42_127
.LBB42_92:
	s_or_b32 exec_lo, exec_lo, s0
	s_and_saveexec_b32 s0, vcc_lo
	s_cbranch_execnz .LBB42_128
.LBB42_93:
	s_or_b32 exec_lo, exec_lo, s0
	s_and_saveexec_b32 s0, vcc_lo
	s_cbranch_execnz .LBB42_129
.LBB42_94:
	s_or_b32 exec_lo, exec_lo, s0
	s_and_saveexec_b32 s0, vcc_lo
	s_cbranch_execnz .LBB42_130
.LBB42_95:
	s_or_b32 exec_lo, exec_lo, s0
	s_and_saveexec_b32 s0, vcc_lo
	s_cbranch_execnz .LBB42_131
.LBB42_96:
	s_or_b32 exec_lo, exec_lo, s0
	s_and_saveexec_b32 s0, vcc_lo
	s_cbranch_execnz .LBB42_132
.LBB42_97:
	s_or_b32 exec_lo, exec_lo, s0
	s_and_saveexec_b32 s0, vcc_lo
	s_cbranch_execnz .LBB42_133
.LBB42_98:
	s_or_b32 exec_lo, exec_lo, s0
	s_and_saveexec_b32 s0, vcc_lo
	s_cbranch_execnz .LBB42_134
.LBB42_99:
	s_or_b32 exec_lo, exec_lo, s0
	s_and_saveexec_b32 s0, vcc_lo
	s_cbranch_execnz .LBB42_135
.LBB42_100:
	s_or_b32 exec_lo, exec_lo, s0
	s_and_saveexec_b32 s0, vcc_lo
	s_cbranch_execnz .LBB42_136
.LBB42_101:
	s_or_b32 exec_lo, exec_lo, s0
	s_and_saveexec_b32 s0, vcc_lo
	s_cbranch_execnz .LBB42_137
.LBB42_102:
	s_or_b32 exec_lo, exec_lo, s0
	s_and_saveexec_b32 s0, vcc_lo
	s_cbranch_execnz .LBB42_138
.LBB42_103:
	s_or_b32 exec_lo, exec_lo, s0
	s_and_saveexec_b32 s0, vcc_lo
	s_cbranch_execnz .LBB42_139
.LBB42_104:
	s_or_b32 exec_lo, exec_lo, s0
	s_and_saveexec_b32 s0, vcc_lo
	s_cbranch_execnz .LBB42_140
.LBB42_105:
	s_or_b32 exec_lo, exec_lo, s0
	s_and_saveexec_b32 s0, vcc_lo
	s_cbranch_execz .LBB42_107
.LBB42_106:
	ds_load_b32 v17, v17 offset:480
	s_waitcnt lgkmcnt(0)
	v_add_f32_e32 v16, v16, v17
.LBB42_107:
	s_or_b32 exec_lo, exec_lo, s0
.LBB42_108:
	s_delay_alu instid0(SALU_CYCLE_1)
	s_or_b32 exec_lo, exec_lo, s1
	s_barrier
	buffer_gl0_inv
	s_mov_b32 s0, exec_lo
	v_cmpx_eq_u32_e32 0, v19
	s_cbranch_execz .LBB42_110
; %bb.109:
	s_lshl_b32 s0, s6, 7
	s_mul_i32 s2, s15, s16
	s_ashr_i32 s1, s0, 31
	s_delay_alu instid0(SALU_CYCLE_1) | instskip(NEXT) | instid1(SALU_CYCLE_1)
	s_lshl_b64 s[0:1], s[0:1], 2
	s_add_u32 s4, s18, s0
	s_addc_u32 s5, s19, s1
	s_ashr_i32 s3, s2, 31
	s_delay_alu instid0(SALU_CYCLE_1) | instskip(NEXT) | instid1(SALU_CYCLE_1)
	s_lshl_b64 s[0:1], s[2:3], 2
	s_add_u32 s2, s4, s0
	s_addc_u32 s3, s5, s1
	s_lshl_b32 s0, s12, 7
	s_delay_alu instid0(SALU_CYCLE_1) | instskip(NEXT) | instid1(SALU_CYCLE_1)
	s_ashr_i32 s1, s0, 31
	s_lshl_b64 s[0:1], s[0:1], 2
	s_delay_alu instid0(SALU_CYCLE_1)
	s_add_u32 s0, s2, s0
	s_addc_u32 s1, s3, s1
	s_clause 0xf
	global_store_b32 v0, v1, s[0:1]
	global_store_b32 v0, v2, s[0:1] offset:32
	global_store_b32 v0, v3, s[0:1] offset:64
	;; [unrolled: 1-line block ×15, first 2 shown]
.LBB42_110:
	s_nop 0
	s_sendmsg sendmsg(MSG_DEALLOC_VGPRS)
	s_endpgm
.LBB42_111:
	v_lshl_add_u32 v19, v17, 2, v18
	ds_load_b32 v19, v19
	s_waitcnt lgkmcnt(0)
	v_add_f32_e32 v1, v1, v19
	s_or_b32 exec_lo, exec_lo, s1
	s_and_saveexec_b32 s1, vcc_lo
	s_cbranch_execz .LBB42_71
.LBB42_112:
	v_lshl_add_u32 v19, v17, 2, v18
	ds_load_b32 v19, v19 offset:32
	s_waitcnt lgkmcnt(0)
	v_add_f32_e32 v2, v2, v19
	s_or_b32 exec_lo, exec_lo, s1
	s_and_saveexec_b32 s1, vcc_lo
	s_cbranch_execz .LBB42_72
.LBB42_113:
	v_lshl_add_u32 v19, v17, 2, v18
	ds_load_b32 v19, v19 offset:64
	s_waitcnt lgkmcnt(0)
	v_add_f32_e32 v3, v3, v19
	s_or_b32 exec_lo, exec_lo, s1
	s_and_saveexec_b32 s1, vcc_lo
	s_cbranch_execz .LBB42_73
.LBB42_114:
	v_lshl_add_u32 v19, v17, 2, v18
	ds_load_b32 v19, v19 offset:96
	s_waitcnt lgkmcnt(0)
	v_add_f32_e32 v4, v4, v19
	s_or_b32 exec_lo, exec_lo, s1
	s_and_saveexec_b32 s1, vcc_lo
	s_cbranch_execz .LBB42_74
.LBB42_115:
	v_lshl_add_u32 v19, v17, 2, v18
	ds_load_b32 v19, v19 offset:128
	s_waitcnt lgkmcnt(0)
	v_add_f32_e32 v5, v5, v19
	s_or_b32 exec_lo, exec_lo, s1
	s_and_saveexec_b32 s1, vcc_lo
	s_cbranch_execz .LBB42_75
.LBB42_116:
	v_lshl_add_u32 v19, v17, 2, v18
	ds_load_b32 v19, v19 offset:160
	s_waitcnt lgkmcnt(0)
	v_add_f32_e32 v6, v6, v19
	s_or_b32 exec_lo, exec_lo, s1
	s_and_saveexec_b32 s1, vcc_lo
	s_cbranch_execz .LBB42_76
.LBB42_117:
	v_lshl_add_u32 v19, v17, 2, v18
	ds_load_b32 v19, v19 offset:192
	s_waitcnt lgkmcnt(0)
	v_add_f32_e32 v7, v7, v19
	s_or_b32 exec_lo, exec_lo, s1
	s_and_saveexec_b32 s1, vcc_lo
	s_cbranch_execz .LBB42_77
.LBB42_118:
	v_lshl_add_u32 v19, v17, 2, v18
	ds_load_b32 v19, v19 offset:224
	s_waitcnt lgkmcnt(0)
	v_add_f32_e32 v8, v8, v19
	s_or_b32 exec_lo, exec_lo, s1
	s_and_saveexec_b32 s1, vcc_lo
	s_cbranch_execz .LBB42_78
.LBB42_119:
	v_lshl_add_u32 v19, v17, 2, v18
	ds_load_b32 v19, v19 offset:256
	s_waitcnt lgkmcnt(0)
	v_add_f32_e32 v9, v9, v19
	s_or_b32 exec_lo, exec_lo, s1
	s_and_saveexec_b32 s1, vcc_lo
	s_cbranch_execz .LBB42_79
.LBB42_120:
	v_lshl_add_u32 v19, v17, 2, v18
	ds_load_b32 v19, v19 offset:288
	s_waitcnt lgkmcnt(0)
	v_add_f32_e32 v10, v10, v19
	s_or_b32 exec_lo, exec_lo, s1
	s_and_saveexec_b32 s1, vcc_lo
	s_cbranch_execz .LBB42_80
.LBB42_121:
	v_lshl_add_u32 v19, v17, 2, v18
	ds_load_b32 v19, v19 offset:320
	s_waitcnt lgkmcnt(0)
	v_add_f32_e32 v11, v11, v19
	s_or_b32 exec_lo, exec_lo, s1
	s_and_saveexec_b32 s1, vcc_lo
	s_cbranch_execz .LBB42_81
.LBB42_122:
	v_lshl_add_u32 v19, v17, 2, v18
	ds_load_b32 v19, v19 offset:352
	s_waitcnt lgkmcnt(0)
	v_add_f32_e32 v12, v12, v19
	s_or_b32 exec_lo, exec_lo, s1
	s_and_saveexec_b32 s1, vcc_lo
	s_cbranch_execz .LBB42_82
.LBB42_123:
	v_lshl_add_u32 v19, v17, 2, v18
	ds_load_b32 v19, v19 offset:384
	s_waitcnt lgkmcnt(0)
	v_add_f32_e32 v13, v13, v19
	s_or_b32 exec_lo, exec_lo, s1
	s_and_saveexec_b32 s1, vcc_lo
	s_cbranch_execz .LBB42_83
.LBB42_124:
	v_lshl_add_u32 v19, v17, 2, v18
	ds_load_b32 v19, v19 offset:416
	s_waitcnt lgkmcnt(0)
	v_add_f32_e32 v14, v14, v19
	s_or_b32 exec_lo, exec_lo, s1
	s_and_saveexec_b32 s1, vcc_lo
	s_cbranch_execz .LBB42_84
.LBB42_125:
	v_lshl_add_u32 v19, v17, 2, v18
	ds_load_b32 v19, v19 offset:448
	s_waitcnt lgkmcnt(0)
	v_add_f32_e32 v15, v15, v19
	s_or_b32 exec_lo, exec_lo, s1
	s_and_saveexec_b32 s1, vcc_lo
	s_cbranch_execnz .LBB42_85
	s_branch .LBB42_86
.LBB42_126:
	ds_load_b32 v18, v17
	s_waitcnt lgkmcnt(0)
	v_add_f32_e32 v1, v1, v18
	s_or_b32 exec_lo, exec_lo, s0
	s_and_saveexec_b32 s0, vcc_lo
	s_cbranch_execz .LBB42_92
.LBB42_127:
	ds_load_b32 v18, v17 offset:32
	s_waitcnt lgkmcnt(0)
	v_add_f32_e32 v2, v2, v18
	s_or_b32 exec_lo, exec_lo, s0
	s_and_saveexec_b32 s0, vcc_lo
	s_cbranch_execz .LBB42_93
.LBB42_128:
	ds_load_b32 v18, v17 offset:64
	s_waitcnt lgkmcnt(0)
	v_add_f32_e32 v3, v3, v18
	s_or_b32 exec_lo, exec_lo, s0
	s_and_saveexec_b32 s0, vcc_lo
	s_cbranch_execz .LBB42_94
.LBB42_129:
	ds_load_b32 v18, v17 offset:96
	s_waitcnt lgkmcnt(0)
	v_add_f32_e32 v4, v4, v18
	s_or_b32 exec_lo, exec_lo, s0
	s_and_saveexec_b32 s0, vcc_lo
	s_cbranch_execz .LBB42_95
.LBB42_130:
	ds_load_b32 v18, v17 offset:128
	s_waitcnt lgkmcnt(0)
	v_add_f32_e32 v5, v5, v18
	s_or_b32 exec_lo, exec_lo, s0
	s_and_saveexec_b32 s0, vcc_lo
	s_cbranch_execz .LBB42_96
.LBB42_131:
	ds_load_b32 v18, v17 offset:160
	s_waitcnt lgkmcnt(0)
	v_add_f32_e32 v6, v6, v18
	s_or_b32 exec_lo, exec_lo, s0
	s_and_saveexec_b32 s0, vcc_lo
	s_cbranch_execz .LBB42_97
.LBB42_132:
	ds_load_b32 v18, v17 offset:192
	s_waitcnt lgkmcnt(0)
	v_add_f32_e32 v7, v7, v18
	s_or_b32 exec_lo, exec_lo, s0
	s_and_saveexec_b32 s0, vcc_lo
	s_cbranch_execz .LBB42_98
.LBB42_133:
	ds_load_b32 v18, v17 offset:224
	s_waitcnt lgkmcnt(0)
	v_add_f32_e32 v8, v8, v18
	s_or_b32 exec_lo, exec_lo, s0
	s_and_saveexec_b32 s0, vcc_lo
	s_cbranch_execz .LBB42_99
.LBB42_134:
	ds_load_b32 v18, v17 offset:256
	s_waitcnt lgkmcnt(0)
	v_add_f32_e32 v9, v9, v18
	s_or_b32 exec_lo, exec_lo, s0
	s_and_saveexec_b32 s0, vcc_lo
	s_cbranch_execz .LBB42_100
.LBB42_135:
	ds_load_b32 v18, v17 offset:288
	s_waitcnt lgkmcnt(0)
	v_add_f32_e32 v10, v10, v18
	s_or_b32 exec_lo, exec_lo, s0
	s_and_saveexec_b32 s0, vcc_lo
	s_cbranch_execz .LBB42_101
.LBB42_136:
	ds_load_b32 v18, v17 offset:320
	s_waitcnt lgkmcnt(0)
	v_add_f32_e32 v11, v11, v18
	s_or_b32 exec_lo, exec_lo, s0
	s_and_saveexec_b32 s0, vcc_lo
	s_cbranch_execz .LBB42_102
.LBB42_137:
	ds_load_b32 v18, v17 offset:352
	s_waitcnt lgkmcnt(0)
	v_add_f32_e32 v12, v12, v18
	s_or_b32 exec_lo, exec_lo, s0
	s_and_saveexec_b32 s0, vcc_lo
	s_cbranch_execz .LBB42_103
.LBB42_138:
	ds_load_b32 v18, v17 offset:384
	s_waitcnt lgkmcnt(0)
	v_add_f32_e32 v13, v13, v18
	s_or_b32 exec_lo, exec_lo, s0
	s_and_saveexec_b32 s0, vcc_lo
	s_cbranch_execz .LBB42_104
.LBB42_139:
	ds_load_b32 v18, v17 offset:416
	s_waitcnt lgkmcnt(0)
	v_add_f32_e32 v14, v14, v18
	s_or_b32 exec_lo, exec_lo, s0
	s_and_saveexec_b32 s0, vcc_lo
	s_cbranch_execz .LBB42_105
.LBB42_140:
	ds_load_b32 v18, v17 offset:448
	s_waitcnt lgkmcnt(0)
	v_add_f32_e32 v15, v15, v18
	s_or_b32 exec_lo, exec_lo, s0
	s_and_saveexec_b32 s0, vcc_lo
	s_cbranch_execnz .LBB42_106
	s_branch .LBB42_107
	.section	.rodata,"a",@progbits
	.p2align	6, 0x0
	.amdhsa_kernel _ZN4vllm25paged_attention_v2_kernelIffLi128ELi16ELi128ELNS_18Fp8KVCacheDataTypeE0ELb0ELi512EEEvPfS2_PT_PKS3_PKT0_S9_ifPKiSB_iPKfiiiSD_SD_iiiii
		.amdhsa_group_segment_fixed_size 544
		.amdhsa_private_segment_fixed_size 0
		.amdhsa_kernarg_size 400
		.amdhsa_user_sgpr_count 13
		.amdhsa_user_sgpr_dispatch_ptr 0
		.amdhsa_user_sgpr_queue_ptr 0
		.amdhsa_user_sgpr_kernarg_segment_ptr 1
		.amdhsa_user_sgpr_dispatch_id 0
		.amdhsa_user_sgpr_private_segment_size 0
		.amdhsa_wavefront_size32 1
		.amdhsa_uses_dynamic_stack 0
		.amdhsa_enable_private_segment 0
		.amdhsa_system_sgpr_workgroup_id_x 1
		.amdhsa_system_sgpr_workgroup_id_y 1
		.amdhsa_system_sgpr_workgroup_id_z 1
		.amdhsa_system_sgpr_workgroup_info 0
		.amdhsa_system_vgpr_workitem_id 0
		.amdhsa_next_free_vgpr 126
		.amdhsa_next_free_sgpr 40
		.amdhsa_reserve_vcc 1
		.amdhsa_float_round_mode_32 0
		.amdhsa_float_round_mode_16_64 0
		.amdhsa_float_denorm_mode_32 3
		.amdhsa_float_denorm_mode_16_64 3
		.amdhsa_dx10_clamp 1
		.amdhsa_ieee_mode 1
		.amdhsa_fp16_overflow 0
		.amdhsa_workgroup_processor_mode 1
		.amdhsa_memory_ordered 1
		.amdhsa_forward_progress 0
		.amdhsa_shared_vgpr_count 0
		.amdhsa_exception_fp_ieee_invalid_op 0
		.amdhsa_exception_fp_denorm_src 0
		.amdhsa_exception_fp_ieee_div_zero 0
		.amdhsa_exception_fp_ieee_overflow 0
		.amdhsa_exception_fp_ieee_underflow 0
		.amdhsa_exception_fp_ieee_inexact 0
		.amdhsa_exception_int_div_zero 0
	.end_amdhsa_kernel
	.section	.text._ZN4vllm25paged_attention_v2_kernelIffLi128ELi16ELi128ELNS_18Fp8KVCacheDataTypeE0ELb0ELi512EEEvPfS2_PT_PKS3_PKT0_S9_ifPKiSB_iPKfiiiSD_SD_iiiii,"axG",@progbits,_ZN4vllm25paged_attention_v2_kernelIffLi128ELi16ELi128ELNS_18Fp8KVCacheDataTypeE0ELb0ELi512EEEvPfS2_PT_PKS3_PKT0_S9_ifPKiSB_iPKfiiiSD_SD_iiiii,comdat
.Lfunc_end42:
	.size	_ZN4vllm25paged_attention_v2_kernelIffLi128ELi16ELi128ELNS_18Fp8KVCacheDataTypeE0ELb0ELi512EEEvPfS2_PT_PKS3_PKT0_S9_ifPKiSB_iPKfiiiSD_SD_iiiii, .Lfunc_end42-_ZN4vllm25paged_attention_v2_kernelIffLi128ELi16ELi128ELNS_18Fp8KVCacheDataTypeE0ELb0ELi512EEEvPfS2_PT_PKS3_PKT0_S9_ifPKiSB_iPKfiiiSD_SD_iiiii
                                        ; -- End function
	.section	.AMDGPU.csdata,"",@progbits
; Kernel info:
; codeLenInByte = 8124
; NumSgprs: 42
; NumVgprs: 126
; ScratchSize: 0
; MemoryBound: 0
; FloatMode: 240
; IeeeMode: 1
; LDSByteSize: 544 bytes/workgroup (compile time only)
; SGPRBlocks: 5
; VGPRBlocks: 15
; NumSGPRsForWavesPerEU: 42
; NumVGPRsForWavesPerEU: 126
; Occupancy: 10
; WaveLimiterHint : 1
; COMPUTE_PGM_RSRC2:SCRATCH_EN: 0
; COMPUTE_PGM_RSRC2:USER_SGPR: 13
; COMPUTE_PGM_RSRC2:TRAP_HANDLER: 0
; COMPUTE_PGM_RSRC2:TGID_X_EN: 1
; COMPUTE_PGM_RSRC2:TGID_Y_EN: 1
; COMPUTE_PGM_RSRC2:TGID_Z_EN: 1
; COMPUTE_PGM_RSRC2:TIDIG_COMP_CNT: 0
	.section	.text._ZN4vllm25paged_attention_v2_kernelIffLi192ELi16ELi128ELNS_18Fp8KVCacheDataTypeE0ELb0ELi512EEEvPfS2_PT_PKS3_PKT0_S9_ifPKiSB_iPKfiiiSD_SD_iiiii,"axG",@progbits,_ZN4vllm25paged_attention_v2_kernelIffLi192ELi16ELi128ELNS_18Fp8KVCacheDataTypeE0ELb0ELi512EEEvPfS2_PT_PKS3_PKT0_S9_ifPKiSB_iPKfiiiSD_SD_iiiii,comdat
	.protected	_ZN4vllm25paged_attention_v2_kernelIffLi192ELi16ELi128ELNS_18Fp8KVCacheDataTypeE0ELb0ELi512EEEvPfS2_PT_PKS3_PKT0_S9_ifPKiSB_iPKfiiiSD_SD_iiiii ; -- Begin function _ZN4vllm25paged_attention_v2_kernelIffLi192ELi16ELi128ELNS_18Fp8KVCacheDataTypeE0ELb0ELi512EEEvPfS2_PT_PKS3_PKT0_S9_ifPKiSB_iPKfiiiSD_SD_iiiii
	.globl	_ZN4vllm25paged_attention_v2_kernelIffLi192ELi16ELi128ELNS_18Fp8KVCacheDataTypeE0ELb0ELi512EEEvPfS2_PT_PKS3_PKT0_S9_ifPKiSB_iPKfiiiSD_SD_iiiii
	.p2align	8
	.type	_ZN4vllm25paged_attention_v2_kernelIffLi192ELi16ELi128ELNS_18Fp8KVCacheDataTypeE0ELb0ELi512EEEvPfS2_PT_PKS3_PKT0_S9_ifPKiSB_iPKfiiiSD_SD_iiiii,@function
_ZN4vllm25paged_attention_v2_kernelIffLi192ELi16ELi128ELNS_18Fp8KVCacheDataTypeE0ELb0ELi512EEEvPfS2_PT_PKS3_PKT0_S9_ifPKiSB_iPKfiiiSD_SD_iiiii: ; @_ZN4vllm25paged_attention_v2_kernelIffLi192ELi16ELi128ELNS_18Fp8KVCacheDataTypeE0ELb0ELi512EEEvPfS2_PT_PKS3_PKT0_S9_ifPKiSB_iPKfiiiSD_SD_iiiii
; %bb.0:
	s_load_b64 s[2:3], s[0:1], 0x40
	s_mov_b32 s12, s15
	s_ashr_i32 s15, s14, 31
	s_delay_alu instid0(SALU_CYCLE_1)
	s_lshl_b64 s[4:5], s[14:15], 2
	s_waitcnt lgkmcnt(0)
	s_add_u32 s2, s2, s4
	s_addc_u32 s3, s3, s5
	s_lshl_b32 s33, s12, 9
	s_load_b32 s15, s[2:3], 0x0
	s_waitcnt lgkmcnt(0)
	s_cmp_ge_i32 s33, s15
	s_cbranch_scc1 .LBB43_142
; %bb.1:
	s_mov_b32 s20, s13
	s_clause 0x1
	s_load_b32 s13, s[0:1], 0x90
	s_load_b64 s[30:31], s[0:1], 0x30
	s_waitcnt lgkmcnt(0)
	s_abs_i32 s5, s13
	s_abs_i32 s2, s30
	s_delay_alu instid0(SALU_CYCLE_1) | instskip(SKIP_1) | instid1(VALU_DEP_1)
	v_cvt_f32_u32_e32 v1, s2
	s_sub_i32 s4, 0, s2
	v_rcp_iflag_f32_e32 v1, v1
	s_waitcnt_depctr 0xfff
	v_mul_f32_e32 v1, 0x4f7ffffe, v1
	s_delay_alu instid0(VALU_DEP_1) | instskip(NEXT) | instid1(VALU_DEP_1)
	v_cvt_u32_f32_e32 v1, v1
	v_readfirstlane_b32 s3, v1
	s_delay_alu instid0(VALU_DEP_1) | instskip(NEXT) | instid1(SALU_CYCLE_1)
	s_mul_i32 s4, s4, s3
	s_mul_hi_u32 s4, s3, s4
	s_delay_alu instid0(SALU_CYCLE_1)
	s_add_i32 s3, s3, s4
	s_xor_b32 s4, s13, s30
	s_mul_hi_u32 s3, s5, s3
	s_ashr_i32 s4, s4, 31
	s_mul_i32 s6, s3, s2
	s_mov_b32 s30, 0
	s_sub_i32 s5, s5, s6
	s_add_i32 s6, s3, 1
	s_sub_i32 s7, s5, s2
	s_cmp_ge_u32 s5, s2
	s_cselect_b32 s3, s6, s3
	s_cselect_b32 s5, s7, s5
	s_add_i32 s6, s3, 1
	s_cmp_ge_u32 s5, s2
	s_cselect_b32 s2, s6, s3
	s_abs_i32 s10, s20
	s_xor_b32 s2, s2, s4
	s_delay_alu instid0(SALU_CYCLE_1) | instskip(SKIP_2) | instid1(SALU_CYCLE_1)
	s_sub_i32 s11, s2, s4
	s_load_b64 s[2:3], s[0:1], 0x50
	s_abs_i32 s8, s11
	v_cvt_f32_u32_e32 v1, s8
	s_sub_i32 s5, 0, s8
	s_delay_alu instid0(VALU_DEP_1) | instskip(SKIP_2) | instid1(VALU_DEP_1)
	v_rcp_iflag_f32_e32 v1, v1
	s_waitcnt_depctr 0xfff
	v_mul_f32_e32 v1, 0x4f7ffffe, v1
	v_cvt_u32_f32_e32 v1, v1
	s_delay_alu instid0(VALU_DEP_1) | instskip(NEXT) | instid1(VALU_DEP_1)
	v_readfirstlane_b32 s4, v1
	s_mul_i32 s5, s5, s4
	s_delay_alu instid0(SALU_CYCLE_1) | instskip(NEXT) | instid1(SALU_CYCLE_1)
	s_mul_hi_u32 s5, s4, s5
	s_add_i32 s4, s4, s5
	s_waitcnt lgkmcnt(0)
	s_cmp_eq_u64 s[2:3], 0
	s_mul_hi_u32 s9, s10, s4
	s_cbranch_scc1 .LBB43_3
; %bb.2:
	s_ashr_i32 s21, s20, 31
	s_delay_alu instid0(SALU_CYCLE_1) | instskip(NEXT) | instid1(SALU_CYCLE_1)
	s_lshl_b64 s[4:5], s[20:21], 2
	s_add_u32 s2, s2, s4
	s_addc_u32 s3, s3, s5
	s_load_b32 s30, s[2:3], 0x0
.LBB43_3:
	s_load_b128 s[4:7], s[0:1], 0x58
	v_and_b32_e32 v49, 1, v0
	v_lshlrev_b32_e32 v1, 3, v0
	v_lshlrev_b32_e32 v99, 2, v0
	s_ashr_i32 s2, s20, 31
	s_ashr_i32 s3, s11, 31
	s_mul_i32 s16, s20, 0xc0
	s_waitcnt lgkmcnt(0)
	s_mov_b32 s7, exec_lo
	v_cmpx_gt_u32_e32 0x60, v0
	s_cbranch_execz .LBB43_5
; %bb.4:
	s_load_b64 s[18:19], s[0:1], 0x18
	s_mul_i32 s22, s14, s4
	v_and_b32_e32 v4, 0xff8, v99
	s_ashr_i32 s23, s22, 31
	s_delay_alu instid0(SALU_CYCLE_1) | instskip(NEXT) | instid1(VALU_DEP_1)
	s_lshl_b64 s[22:23], s[22:23], 2
	v_mad_u32_u24 v4, 0x180, v49, v4
	s_waitcnt lgkmcnt(0)
	s_add_u32 s4, s18, s22
	s_addc_u32 s11, s19, s23
	s_ashr_i32 s17, s16, 31
	s_delay_alu instid0(SALU_CYCLE_1) | instskip(NEXT) | instid1(SALU_CYCLE_1)
	s_lshl_b64 s[18:19], s[16:17], 2
	s_add_u32 s18, s4, s18
	s_addc_u32 s19, s11, s19
	global_load_b64 v[2:3], v1, s[18:19]
	s_waitcnt vmcnt(0)
	ds_store_b64 v4, v[2:3]
.LBB43_5:
	s_or_b32 exec_lo, exec_lo, s7
	s_add_i32 s4, s15, 15
	s_lshl_b32 s7, s12, 5
	s_ashr_i32 s11, s4, 31
	s_xor_b32 s2, s2, s3
	s_lshr_b32 s11, s11, 28
	s_add_i32 s3, s7, 32
	s_add_i32 s4, s4, s11
	s_clause 0x1
	s_load_b64 s[22:23], s[0:1], 0x38
	s_load_b32 s11, s[0:1], 0x48
	s_ashr_i32 s21, s4, 4
	s_mul_i32 s4, s9, s8
	s_min_i32 s17, s3, s21
	s_sub_i32 s3, s10, s4
	s_add_i32 s4, s9, 1
	s_sub_i32 s10, s3, s8
	s_cmp_ge_u32 s3, s8
	v_lshrrev_b32_e32 v104, 5, v0
	s_cselect_b32 s4, s4, s9
	s_cselect_b32 s3, s10, s3
	s_add_i32 s9, s4, 1
	s_cmp_ge_u32 s3, s8
	v_or_b32_e32 v101, s7, v104
	s_cselect_b32 s3, s9, s4
	v_mbcnt_lo_u32_b32 v100, -1, 0
	s_xor_b32 s3, s3, s2
	s_mov_b32 s4, exec_lo
	s_sub_i32 s3, s3, s2
	v_cmp_gt_i32_e64 s2, s17, v101
	s_waitcnt lgkmcnt(0)
	s_mul_i32 s24, s14, s11
	s_delay_alu instid0(SALU_CYCLE_1)
	s_ashr_i32 s25, s24, 31
	s_barrier
	buffer_gl0_inv
                                        ; implicit-def: $sgpr28
                                        ; implicit-def: $vgpr103
	v_cmpx_le_i32_e64 s17, v101
	s_xor_b32 s4, exec_lo, s4
; %bb.6:
	v_mbcnt_lo_u32_b32 v100, -1, 0
	v_mov_b32_e32 v103, 32
	s_mov_b32 s28, 0xff7fffff
                                        ; implicit-def: $vgpr1
                                        ; implicit-def: $vgpr49
; %bb.7:
	s_or_saveexec_b32 s34, s4
	s_clause 0x3
	s_load_b128 s[8:11], s[0:1], 0x0
	s_load_b64 s[18:19], s[0:1], 0x10
	s_load_b64 s[26:27], s[0:1], 0x28
	s_load_b32 s4, s[0:1], 0x98
	v_mov_b32_e32 v108, s28
	v_ashrrev_i32_e32 v102, 31, v101
	s_mul_i32 s28, s3, s6
	s_xor_b32 exec_lo, exec_lo, s34
	s_cbranch_execz .LBB43_13
; %bb.8:
	s_load_b64 s[0:1], s[0:1], 0x20
	v_bfe_u32 v97, v0, 1, 4
	v_xor_b32_e32 v34, 1, v100
	s_ashr_i32 s29, s28, 31
	v_dual_mov_b32 v111, v101 :: v_dual_lshlrev_b32 v108, 4, v104
	s_delay_alu instid0(VALU_DEP_3)
	v_lshlrev_b32_e32 v35, 4, v97
	s_lshl_b64 s[36:37], s[28:29], 2
	v_cmp_gt_i32_e32 vcc_lo, 32, v34
	v_and_b32_e32 v33, 8, v1
	v_add3_u32 v109, s33, v108, v97
	v_mov_b32_e32 v108, 0xff7fffff
	v_mul_u32_u24_e32 v93, 0x180, v49
	v_cndmask_b32_e32 v50, v100, v34, vcc_lo
	ds_load_b128 v[1:4], v93
	ds_load_b128 v[5:8], v93 offset:16
	ds_load_b128 v[9:12], v93 offset:32
	;; [unrolled: 1-line block ×7, first 2 shown]
	v_lshlrev_b32_e32 v107, 2, v50
	v_dual_mov_b32 v103, 32 :: v_dual_lshlrev_b32 v98, 2, v97
	s_waitcnt lgkmcnt(0)
	s_add_u32 s0, s0, s36
	s_addc_u32 s1, s1, s37
	v_add_co_u32 v35, s0, s0, v35
	s_delay_alu instid0(VALU_DEP_1) | instskip(SKIP_1) | instid1(VALU_DEP_3)
	v_add_co_ci_u32_e64 v36, null, s1, 0, s0
	v_lshl_or_b32 v110, v104, 6, v98
	v_add_co_u32 v105, vcc_lo, v35, v33
	s_delay_alu instid0(VALU_DEP_3)
	v_add_co_ci_u32_e32 v106, vcc_lo, 0, v36, vcc_lo
	ds_load_b128 v[33:36], v93 offset:128
	ds_load_b128 v[37:40], v93 offset:144
	;; [unrolled: 1-line block ×4, first 2 shown]
	v_cmp_eq_u32_e32 vcc_lo, 0, v49
	ds_load_b128 v[49:52], v93 offset:192
	ds_load_b128 v[53:56], v93 offset:208
	;; [unrolled: 1-line block ×12, first 2 shown]
	v_lshlrev_b64 v[97:98], 2, v[101:102]
	s_lshl_b64 s[36:37], s[24:25], 2
	s_sub_i32 s6, 1, s15
	s_add_u32 s1, s22, s36
	s_addc_u32 s3, s23, s37
	v_cmp_neq_f32_e64 s0, s30, 0
	v_add_co_u32 v97, s1, s1, v97
	v_add_nc_u32_e32 v110, 0x320, v110
	v_add_co_ci_u32_e64 v98, s1, s3, v98, s1
	s_mov_b32 s35, s5
	s_mov_b32 s29, 0
	s_branch .LBB43_10
.LBB43_9:                               ;   in Loop: Header=BB43_10 Depth=1
	s_or_b32 exec_lo, exec_lo, s3
	v_add_nc_u32_e32 v111, 4, v111
	v_add_co_u32 v97, s3, v97, 16
	v_add_nc_u32_e32 v109, 64, v109
	v_add_nc_u32_e32 v110, 0x100, v110
	s_delay_alu instid0(VALU_DEP_4) | instskip(SKIP_1) | instid1(VALU_DEP_2)
	v_cmp_le_i32_e64 s1, s17, v111
	v_add_co_ci_u32_e64 v98, s3, 0, v98, s3
	s_or_b32 s29, s1, s29
	s_delay_alu instid0(SALU_CYCLE_1)
	s_and_not1_b32 exec_lo, exec_lo, s29
	s_cbranch_execz .LBB43_12
.LBB43_10:                              ; =>This Inner Loop Header: Depth=1
	global_load_b32 v114, v[97:98], off
	s_waitcnt vmcnt(0) lgkmcnt(0)
	v_mad_i64_i32 v[112:113], null, v114, s35, 0
	s_delay_alu instid0(VALU_DEP_1) | instskip(NEXT) | instid1(VALU_DEP_1)
	v_lshlrev_b64 v[112:113], 2, v[112:113]
	v_add_co_u32 v112, s1, v105, v112
	s_delay_alu instid0(VALU_DEP_1)
	v_add_co_ci_u32_e64 v113, s1, v106, v113, s1
	s_clause 0xf
	global_load_b64 v[114:115], v[112:113], off offset:256
	global_load_b64 v[116:117], v[112:113], off offset:512
	;; [unrolled: 1-line block ×3, first 2 shown]
	global_load_b64 v[120:121], v[112:113], off
	global_load_b64 v[122:123], v[112:113], off offset:1024
	global_load_b64 v[124:125], v[112:113], off offset:1280
	;; [unrolled: 1-line block ×12, first 2 shown]
	v_add_co_u32 v146, s1, v112, 0x2000
	s_delay_alu instid0(VALU_DEP_1) | instskip(SKIP_1) | instid1(VALU_DEP_1)
	v_add_co_ci_u32_e64 v147, s1, 0, v113, s1
	v_add_co_u32 v148, s1, 0x1000, v112
	v_add_co_ci_u32_e64 v149, s1, 0, v113, s1
	s_clause 0xa
	global_load_b64 v[150:151], v[146:147], off offset:-4096
	global_load_b64 v[152:153], v[148:149], off offset:256
	global_load_b64 v[154:155], v[148:149], off offset:512
	;; [unrolled: 1-line block ×10, first 2 shown]
	v_add_co_u32 v112, s1, 0x2000, v112
	s_delay_alu instid0(VALU_DEP_1)
	v_add_co_ci_u32_e64 v113, s1, 0, v113, s1
	s_waitcnt vmcnt(26)
	v_dual_mul_f32 v172, v3, v114 :: v_dual_mul_f32 v173, v4, v115
	global_load_b64 v[114:115], v[148:149], off offset:2816
	s_waitcnt vmcnt(24)
	v_dual_fmac_f32 v172, v1, v120 :: v_dual_fmac_f32 v173, v2, v121
	global_load_b64 v[120:121], v[148:149], off offset:3072
	v_dual_fmac_f32 v172, v5, v116 :: v_dual_fmac_f32 v173, v6, v117
	global_load_b64 v[116:117], v[148:149], off offset:3328
	v_dual_fmac_f32 v172, v7, v118 :: v_dual_fmac_f32 v173, v8, v119
	s_clause 0x1
	global_load_b64 v[118:119], v[148:149], off offset:3584
	global_load_b64 v[148:149], v[148:149], off offset:3840
	s_waitcnt vmcnt(27)
	v_dual_fmac_f32 v172, v9, v122 :: v_dual_fmac_f32 v173, v10, v123
	global_load_b64 v[122:123], v[146:147], off
	s_waitcnt vmcnt(27)
	v_dual_fmac_f32 v172, v11, v124 :: v_dual_fmac_f32 v173, v12, v125
	global_load_b64 v[124:125], v[112:113], off offset:256
	s_waitcnt vmcnt(27)
	v_dual_fmac_f32 v172, v13, v126 :: v_dual_fmac_f32 v173, v14, v127
	global_load_b64 v[126:127], v[112:113], off offset:512
	;; [unrolled: 3-line block ×10, first 2 shown]
	s_waitcnt vmcnt(27)
	v_dual_fmac_f32 v172, v31, v144 :: v_dual_fmac_f32 v173, v32, v145
	s_clause 0x1
	global_load_b64 v[144:145], v[112:113], off offset:2816
	global_load_b64 v[146:147], v[112:113], off offset:3840
	s_waitcnt vmcnt(28) lgkmcnt(15)
	v_dual_fmac_f32 v172, v33, v150 :: v_dual_fmac_f32 v173, v34, v151
	global_load_b64 v[150:151], v[112:113], off offset:3072
	s_waitcnt vmcnt(28)
	v_dual_fmac_f32 v172, v35, v152 :: v_dual_fmac_f32 v173, v36, v153
	s_clause 0x1
	global_load_b64 v[152:153], v[112:113], off offset:3328
	global_load_b64 v[112:113], v[112:113], off offset:3584
	s_waitcnt vmcnt(29) lgkmcnt(14)
	v_dual_fmac_f32 v172, v37, v154 :: v_dual_fmac_f32 v173, v38, v155
	s_waitcnt vmcnt(28)
	s_delay_alu instid0(VALU_DEP_1) | instskip(SKIP_1) | instid1(VALU_DEP_1)
	v_dual_fmac_f32 v172, v39, v156 :: v_dual_fmac_f32 v173, v40, v157
	s_waitcnt vmcnt(27) lgkmcnt(13)
	v_dual_fmac_f32 v172, v41, v158 :: v_dual_fmac_f32 v173, v42, v159
	s_waitcnt vmcnt(26)
	s_delay_alu instid0(VALU_DEP_1) | instskip(SKIP_1) | instid1(VALU_DEP_1)
	v_dual_fmac_f32 v172, v43, v160 :: v_dual_fmac_f32 v173, v44, v161
	;; [unrolled: 5-line block ×14, first 2 shown]
	s_waitcnt vmcnt(0) lgkmcnt(0)
	v_dual_fmac_f32 v172, v93, v112 :: v_dual_fmac_f32 v173, v94, v113
	s_delay_alu instid0(VALU_DEP_1) | instskip(NEXT) | instid1(VALU_DEP_1)
	v_dual_fmac_f32 v172, v95, v146 :: v_dual_fmac_f32 v173, v96, v147
	v_add_f32_e32 v112, v172, v173
	ds_bpermute_b32 v113, v107, v112
	s_and_saveexec_b32 s3, vcc_lo
	s_cbranch_execz .LBB43_9
; %bb.11:                               ;   in Loop: Header=BB43_10 Depth=1
	s_waitcnt lgkmcnt(0)
	v_add_f32_e32 v112, v112, v113
	v_add_nc_u32_e32 v114, s6, v109
	v_cmp_gt_i32_e64 s1, s15, v109
	s_delay_alu instid0(VALU_DEP_2) | instskip(NEXT) | instid1(VALU_DEP_1)
	v_cvt_f32_i32_e32 v114, v114
	v_mul_f32_e32 v114, s30, v114
	s_delay_alu instid0(VALU_DEP_1) | instskip(SKIP_1) | instid1(VALU_DEP_2)
	v_cndmask_b32_e64 v113, 0, v114, s0
	v_max_f32_e32 v114, v108, v108
	v_fmac_f32_e32 v113, s31, v112
	s_delay_alu instid0(VALU_DEP_1) | instskip(SKIP_1) | instid1(VALU_DEP_2)
	v_max_f32_e32 v112, v114, v113
	v_cndmask_b32_e64 v113, 0, v113, s1
	v_cndmask_b32_e64 v108, v108, v112, s1
	ds_store_b32 v110, v113
	s_branch .LBB43_9
.LBB43_12:
	s_or_b32 exec_lo, exec_lo, s29
.LBB43_13:
	s_delay_alu instid0(SALU_CYCLE_1)
	s_or_b32 exec_lo, exec_lo, s34
	v_xor_b32_e32 v1, 16, v100
	v_xor_b32_e32 v3, 8, v100
	;; [unrolled: 1-line block ×4, first 2 shown]
	v_and_b32_e32 v105, 31, v0
	v_cmp_lt_i32_e32 vcc_lo, v1, v103
	v_cndmask_b32_e32 v1, v100, v1, vcc_lo
	v_cmp_lt_i32_e32 vcc_lo, v3, v103
	v_cndmask_b32_e32 v3, v100, v3, vcc_lo
	;; [unrolled: 2-line block ×3, first 2 shown]
	v_cmp_lt_i32_e32 vcc_lo, v6, v103
	s_delay_alu instid0(VALU_DEP_2) | instskip(SKIP_1) | instid1(VALU_DEP_2)
	v_dual_cndmask_b32 v6, v100, v6 :: v_dual_lshlrev_b32 v5, 2, v5
	v_cmp_eq_u32_e32 vcc_lo, 0, v105
	v_lshlrev_b32_e32 v106, 2, v6
	v_lshlrev_b32_e32 v2, 2, v1
	;; [unrolled: 1-line block ×4, first 2 shown]
	ds_bpermute_b32 v1, v2, v108
	s_waitcnt lgkmcnt(0)
	v_dual_max_f32 v4, v108, v108 :: v_dual_max_f32 v1, v1, v1
	s_delay_alu instid0(VALU_DEP_1) | instskip(SKIP_3) | instid1(VALU_DEP_1)
	v_max_f32_e32 v1, v4, v1
	ds_bpermute_b32 v4, v3, v1
	s_waitcnt lgkmcnt(0)
	v_max_f32_e32 v4, v4, v4
	v_max_f32_e32 v1, v1, v4
	ds_bpermute_b32 v4, v5, v1
	s_waitcnt lgkmcnt(0)
	v_max_f32_e32 v4, v4, v4
	s_delay_alu instid0(VALU_DEP_1)
	v_max_f32_e32 v1, v1, v4
	ds_bpermute_b32 v4, v106, v1
	s_and_saveexec_b32 s0, vcc_lo
	s_cbranch_execz .LBB43_15
; %bb.14:
	s_waitcnt lgkmcnt(0)
	v_dual_max_f32 v4, v4, v4 :: v_dual_max_f32 v1, v1, v1
	s_delay_alu instid0(VALU_DEP_1)
	v_max_f32_e32 v1, v1, v4
	ds_store_b32 v6, v1 offset:768
.LBB43_15:
	s_or_b32 exec_lo, exec_lo, s0
	v_cmp_gt_u32_e64 s0, 4, v105
	v_mov_b32_e32 v1, 0xff7fffff
	v_lshlrev_b32_e32 v7, 2, v105
	s_waitcnt lgkmcnt(0)
	s_barrier
	buffer_gl0_inv
	s_and_saveexec_b32 s1, s0
	s_cbranch_execz .LBB43_17
; %bb.16:
	ds_load_b32 v1, v7 offset:768
.LBB43_17:
	s_or_b32 exec_lo, exec_lo, s1
	s_waitcnt lgkmcnt(0)
	ds_bpermute_b32 v4, v106, v1
	v_xor_b32_e32 v8, 1, v100
	v_max_f32_e32 v1, v1, v1
	v_mov_b32_e32 v9, 0
	s_delay_alu instid0(VALU_DEP_3) | instskip(NEXT) | instid1(VALU_DEP_1)
	v_cmp_lt_i32_e64 s1, v8, v103
	v_cndmask_b32_e64 v8, v100, v8, s1
	s_sub_i32 s1, s17, s7
	s_delay_alu instid0(SALU_CYCLE_1) | instskip(NEXT) | instid1(VALU_DEP_1)
	s_lshl_b32 s1, s1, 4
	v_lshlrev_b32_e32 v107, 2, v8
	v_lshlrev_b32_e32 v8, 2, v100
	s_add_i32 s1, s1, s33
	s_waitcnt lgkmcnt(0)
	v_max_f32_e32 v4, v4, v4
	s_min_i32 s1, s1, s15
	v_and_b32_e32 v8, 0xffffff80, v8
	s_sub_i32 s6, s1, s33
	s_delay_alu instid0(VALU_DEP_2) | instskip(SKIP_4) | instid1(VALU_DEP_1)
	v_max_f32_e32 v1, v1, v4
	v_cmp_gt_i32_e64 s1, s6, v0
	ds_bpermute_b32 v4, v107, v1
	s_waitcnt lgkmcnt(0)
	v_max_f32_e32 v4, v4, v4
	v_max_f32_e32 v1, v1, v4
	v_lshl_add_u32 v4, v0, 2, 0x320
	ds_bpermute_b32 v1, v8, v1
	s_and_saveexec_b32 s7, s1
	s_cbranch_execz .LBB43_21
; %bb.18:
	v_lshl_add_u32 v10, v0, 2, 0x320
	v_mov_b32_e32 v9, 0
	v_mov_b32_e32 v11, v0
	s_mov_b32 s29, 0
	.p2align	6
.LBB43_19:                              ; =>This Inner Loop Header: Depth=1
	ds_load_b32 v12, v10
	v_add_nc_u32_e32 v11, 0x80, v11
	s_delay_alu instid0(VALU_DEP_1) | instskip(NEXT) | instid1(VALU_DEP_1)
	v_cmp_le_i32_e64 s3, s6, v11
	s_or_b32 s29, s3, s29
	s_waitcnt lgkmcnt(0)
	v_sub_f32_e32 v12, v12, v1
	s_delay_alu instid0(VALU_DEP_1) | instskip(NEXT) | instid1(VALU_DEP_1)
	v_mul_f32_e32 v12, 0x3fb8aa3b, v12
	v_exp_f32_e32 v12, v12
	ds_store_b32 v10, v12
	v_dual_add_f32 v9, v9, v12 :: v_dual_add_nc_u32 v10, 0x200, v10
	s_and_not1_b32 exec_lo, exec_lo, s29
	s_cbranch_execnz .LBB43_19
; %bb.20:
	s_or_b32 exec_lo, exec_lo, s29
.LBB43_21:
	s_delay_alu instid0(SALU_CYCLE_1)
	s_or_b32 exec_lo, exec_lo, s7
	ds_bpermute_b32 v2, v2, v9
	s_waitcnt lgkmcnt(0)
	v_add_f32_e32 v2, v9, v2
	ds_bpermute_b32 v3, v3, v2
	s_waitcnt lgkmcnt(0)
	v_add_f32_e32 v2, v2, v3
	;; [unrolled: 3-line block ×5, first 2 shown]
	s_and_saveexec_b32 s3, vcc_lo
	s_cbranch_execz .LBB43_23
; %bb.22:
	ds_store_b32 v6, v2 offset:784
.LBB43_23:
	s_or_b32 exec_lo, exec_lo, s3
	s_waitcnt lgkmcnt(0)
	s_barrier
	buffer_gl0_inv
	s_and_saveexec_b32 s3, s0
	s_cbranch_execz .LBB43_25
; %bb.24:
	ds_load_b32 v2, v7 offset:784
.LBB43_25:
	s_or_b32 exec_lo, exec_lo, s3
	s_waitcnt lgkmcnt(0)
	ds_bpermute_b32 v3, v106, v2
	s_waitcnt lgkmcnt(0)
	v_add_f32_e32 v2, v2, v3
	ds_bpermute_b32 v3, v107, v2
	s_waitcnt lgkmcnt(0)
	v_add_f32_e32 v2, v2, v3
	ds_bpermute_b32 v2, v8, v2
	s_and_saveexec_b32 s0, s1
	s_cbranch_execz .LBB43_28
; %bb.26:
	s_waitcnt lgkmcnt(0)
	v_add_f32_e32 v3, 0x358637bd, v2
	s_mov_b32 s1, 0
	s_delay_alu instid0(VALU_DEP_1) | instskip(SKIP_1) | instid1(VALU_DEP_2)
	v_div_scale_f32 v5, null, v3, v3, 1.0
	v_div_scale_f32 v8, vcc_lo, 1.0, v3, 1.0
	v_rcp_f32_e32 v6, v5
	s_waitcnt_depctr 0xfff
	v_fma_f32 v7, -v5, v6, 1.0
	s_delay_alu instid0(VALU_DEP_1) | instskip(NEXT) | instid1(VALU_DEP_1)
	v_fmac_f32_e32 v6, v7, v6
	v_mul_f32_e32 v7, v8, v6
	s_delay_alu instid0(VALU_DEP_1) | instskip(NEXT) | instid1(VALU_DEP_1)
	v_fma_f32 v9, -v5, v7, v8
	v_fmac_f32_e32 v7, v9, v6
	s_delay_alu instid0(VALU_DEP_1) | instskip(NEXT) | instid1(VALU_DEP_1)
	v_fma_f32 v5, -v5, v7, v8
	v_div_fmas_f32 v5, v5, v6, v7
	s_delay_alu instid0(VALU_DEP_1)
	v_div_fixup_f32 v3, v5, v3, 1.0
	v_mov_b32_e32 v5, v0
.LBB43_27:                              ; =>This Inner Loop Header: Depth=1
	ds_load_b32 v6, v4
	s_waitcnt lgkmcnt(0)
	v_dual_mul_f32 v6, v3, v6 :: v_dual_add_nc_u32 v5, 0x80, v5
	s_delay_alu instid0(VALU_DEP_1) | instskip(SKIP_3) | instid1(SALU_CYCLE_1)
	v_cmp_le_i32_e32 vcc_lo, s6, v5
	ds_store_b32 v4, v6
	v_add_nc_u32_e32 v4, 0x200, v4
	s_or_b32 s1, vcc_lo, s1
	s_and_not1_b32 exec_lo, exec_lo, s1
	s_cbranch_execnz .LBB43_27
.LBB43_28:
	s_or_b32 exec_lo, exec_lo, s0
	s_mul_i32 s0, s4, s14
	s_waitcnt lgkmcnt(0)
	s_mul_i32 s6, s0, s13
	s_mov_b32 s0, exec_lo
	s_barrier
	buffer_gl0_inv
	v_cmpx_eq_u32_e32 0, v0
	s_cbranch_execz .LBB43_30
; %bb.29:
	s_ashr_i32 s7, s6, 31
	s_mul_i32 s34, s4, s20
	s_lshl_b64 s[30:31], s[6:7], 2
	v_mov_b32_e32 v3, 0
	s_add_u32 s1, s10, s30
	s_addc_u32 s3, s11, s31
	s_ashr_i32 s35, s34, 31
	s_delay_alu instid0(SALU_CYCLE_1) | instskip(NEXT) | instid1(SALU_CYCLE_1)
	s_lshl_b64 s[10:11], s[34:35], 2
	s_add_u32 s1, s1, s10
	s_addc_u32 s3, s3, s11
	s_ashr_i32 s13, s12, 31
	s_delay_alu instid0(SALU_CYCLE_1) | instskip(NEXT) | instid1(SALU_CYCLE_1)
	s_lshl_b64 s[34:35], s[12:13], 2
	s_add_u32 s36, s1, s34
	s_addc_u32 s37, s3, s35
	s_add_u32 s1, s8, s30
	s_addc_u32 s3, s9, s31
	;; [unrolled: 2-line block ×4, first 2 shown]
	s_clause 0x1
	global_store_b32 v3, v1, s[36:37]
	global_store_b32 v3, v2, s[8:9]
.LBB43_30:
	s_or_b32 exec_lo, exec_lo, s0
	v_dual_mov_b32 v130, 0 :: v_dual_mov_b32 v131, 0
	v_dual_mov_b32 v129, 0 :: v_dual_and_b32 v108, 3, v0
	v_dual_mov_b32 v132, 0 :: v_dual_mov_b32 v127, 0
	v_dual_mov_b32 v128, 0 :: v_dual_mov_b32 v125, 0
	;; [unrolled: 1-line block ×10, first 2 shown]
	v_mov_b32_e32 v110, 0
	s_and_saveexec_b32 s1, s2
	s_cbranch_execz .LBB43_82
; %bb.31:
	v_dual_mov_b32 v110, 0 :: v_dual_and_b32 v1, 12, v99
	v_dual_mov_b32 v109, 0 :: v_dual_lshlrev_b32 v2, 4, v108
	v_lshl_add_u32 v17, v104, 4, s33
	s_ashr_i32 s29, s28, 31
	v_dual_mov_b32 v112, 0 :: v_dual_and_b32 v3, 0x7c, v99
	s_lshl_b64 s[2:3], s[28:29], 2
	v_lshl_or_b32 v20, v104, 6, v2
	v_add3_u32 v133, v17, v1, 3
	v_lshlrev_b64 v[1:2], 2, v[101:102]
	s_add_u32 s2, s26, s2
	s_addc_u32 s3, s27, s3
	s_lshl_b64 s[8:9], s[24:25], 2
	s_add_i32 s7, s21, -1
	v_or_b32_e32 v4, 0x400, v3
	v_or_b32_e32 v5, 0x480, v3
	;; [unrolled: 1-line block ×16, first 2 shown]
	s_add_u32 s0, s22, s8
	s_addc_u32 s8, s23, s9
	v_add_co_u32 v102, vcc_lo, s0, v1
	v_dual_mov_b32 v111, 0 :: v_dual_add_nc_u32 v134, 0x320, v20
	v_add_co_ci_u32_e32 v103, vcc_lo, s8, v2, vcc_lo
	v_dual_mov_b32 v114, 0 :: v_dual_lshlrev_b32 v135, 2, v3
	v_dual_mov_b32 v113, 0 :: v_dual_lshlrev_b32 v136, 2, v4
	;; [unrolled: 1-line block ×17, first 2 shown]
	v_dual_mov_b32 v129, 0 :: v_dual_mov_b32 v130, 0
	v_mov_b32_e32 v131, 0
	s_mov_b32 s8, s5
	s_mov_b32 s5, 0
	s_branch .LBB43_33
.LBB43_32:                              ;   in Loop: Header=BB43_33 Depth=1
	s_or_b32 exec_lo, exec_lo, s0
	s_waitcnt vmcnt(6) lgkmcnt(0)
	v_mul_f32_e32 v74, v2, v74
	v_mul_f32_e32 v66, v2, v66
	;; [unrolled: 1-line block ×4, first 2 shown]
	s_waitcnt vmcnt(1)
	v_dual_mul_f32 v98, v2, v98 :: v_dual_add_nc_u32 v101, 4, v101
	v_fmac_f32_e32 v74, v1, v73
	v_dual_mul_f32 v94, v2, v94 :: v_dual_add_nc_u32 v133, 64, v133
	v_mul_f32_e32 v90, v2, v90
	v_mul_f32_e32 v86, v2, v86
	;; [unrolled: 1-line block ×5, first 2 shown]
	v_fmac_f32_e32 v66, v1, v65
	v_fmac_f32_e32 v74, v3, v75
	v_mul_f32_e32 v58, v2, v58
	v_mul_f32_e32 v54, v2, v54
	;; [unrolled: 1-line block ×4, first 2 shown]
	v_fmac_f32_e32 v42, v1, v41
	v_mul_f32_e32 v38, v2, v38
	v_mul_f32_e32 v34, v2, v34
	;; [unrolled: 1-line block ×7, first 2 shown]
	v_fmac_f32_e32 v18, v1, v17
	v_mul_f32_e32 v6, v2, v6
	s_waitcnt vmcnt(0)
	v_mul_f32_e32 v2, v2, v82
	v_fmac_f32_e32 v66, v3, v67
	v_fmac_f32_e32 v74, v4, v76
	;; [unrolled: 1-line block ×5, first 2 shown]
	s_delay_alu instid0(VALU_DEP_4)
	v_dual_fmac_f32 v34, v1, v33 :: v_dual_add_f32 v115, v115, v74
	v_fmac_f32_e32 v18, v3, v19
	v_fmac_f32_e32 v2, v1, v81
	;; [unrolled: 1-line block ×6, first 2 shown]
	s_delay_alu instid0(VALU_DEP_4) | instskip(SKIP_2) | instid1(VALU_DEP_3)
	v_dual_fmac_f32 v42, v4, v44 :: v_dual_add_f32 v117, v117, v66
	v_fmac_f32_e32 v86, v1, v85
	v_fmac_f32_e32 v34, v3, v35
	v_dual_fmac_f32 v18, v4, v20 :: v_dual_add_f32 v123, v123, v42
	v_fmac_f32_e32 v2, v3, v83
	v_fmac_f32_e32 v94, v4, v96
	;; [unrolled: 1-line block ×3, first 2 shown]
	s_delay_alu instid0(VALU_DEP_4) | instskip(SKIP_1) | instid1(VALU_DEP_4)
	v_add_f32_e32 v129, v129, v18
	v_fmac_f32_e32 v98, v1, v97
	v_dual_fmac_f32 v70, v1, v69 :: v_dual_add_f32 v111, v111, v94
	v_fmac_f32_e32 v62, v1, v61
	v_fmac_f32_e32 v54, v1, v53
	;; [unrolled: 1-line block ×8, first 2 shown]
	s_delay_alu instid0(VALU_DEP_4)
	v_dual_fmac_f32 v26, v1, v25 :: v_dual_add_f32 v119, v119, v58
	v_fmac_f32_e32 v22, v1, v21
	v_fmac_f32_e32 v34, v4, v36
	;; [unrolled: 1-line block ×6, first 2 shown]
	v_dual_add_f32 v125, v125, v34 :: v_dual_fmac_f32 v2, v4, v84
	v_fmac_f32_e32 v86, v4, v88
	v_fmac_f32_e32 v78, v3, v79
	;; [unrolled: 1-line block ×3, first 2 shown]
	s_delay_alu instid0(VALU_DEP_4) | instskip(NEXT) | instid1(VALU_DEP_4)
	v_dual_fmac_f32 v62, v3, v63 :: v_dual_add_f32 v109, v109, v2
	v_dual_fmac_f32 v98, v3, v99 :: v_dual_add_f32 v113, v113, v86
	v_fmac_f32_e32 v54, v3, v55
	v_fmac_f32_e32 v46, v3, v47
	;; [unrolled: 1-line block ×6, first 2 shown]
	s_delay_alu instid0(VALU_DEP_4)
	v_dual_fmac_f32 v26, v3, v27 :: v_dual_add_f32 v121, v121, v50
	v_fmac_f32_e32 v22, v3, v23
	v_fmac_f32_e32 v14, v3, v15
	;; [unrolled: 1-line block ×18, first 2 shown]
	v_cmp_le_i32_e32 vcc_lo, s17, v101
	v_add_f32_e32 v131, v131, v14
	v_add_co_u32 v102, s0, v102, 16
	v_add_f32_e32 v112, v112, v90
	v_add_f32_e32 v114, v114, v78
	;; [unrolled: 1-line block ×13, first 2 shown]
	v_add_nc_u32_e32 v134, 0x100, v134
	v_add_co_ci_u32_e64 v103, s0, 0, v103, s0
	s_or_b32 s5, vcc_lo, s5
	s_delay_alu instid0(SALU_CYCLE_1)
	s_and_not1_b32 exec_lo, exec_lo, s5
	s_cbranch_execz .LBB43_81
.LBB43_33:                              ; =>This Inner Loop Header: Depth=1
	global_load_b32 v3, v[102:103], off
	v_add_nc_u32_e32 v152, -3, v133
	v_add_nc_u32_e32 v154, -2, v133
	;; [unrolled: 1-line block ×3, first 2 shown]
	s_waitcnt vmcnt(0)
	v_mad_i64_i32 v[1:2], null, v3, s8, 0
	s_delay_alu instid0(VALU_DEP_1) | instskip(NEXT) | instid1(VALU_DEP_1)
	v_lshlrev_b64 v[1:2], 2, v[1:2]
	v_add_co_u32 v81, vcc_lo, s2, v1
	s_delay_alu instid0(VALU_DEP_2)
	v_add_co_ci_u32_e32 v82, vcc_lo, s3, v2, vcc_lo
	ds_load_b128 v[1:4], v134
	v_add_co_u32 v33, vcc_lo, v81, v135
	v_add_co_ci_u32_e32 v34, vcc_lo, 0, v82, vcc_lo
	v_cmp_eq_u32_e32 vcc_lo, s7, v101
	global_load_b128 v[5:8], v[33:34], off
	s_and_saveexec_b32 s9, vcc_lo
	s_cbranch_execnz .LBB43_74
; %bb.34:                               ;   in Loop: Header=BB43_33 Depth=1
	s_or_b32 exec_lo, exec_lo, s9
	global_load_b128 v[9:12], v[33:34], off offset:512
	s_and_saveexec_b32 s9, vcc_lo
	s_cbranch_execnz .LBB43_75
.LBB43_35:                              ;   in Loop: Header=BB43_33 Depth=1
	s_or_b32 exec_lo, exec_lo, s9
	global_load_b128 v[13:16], v[33:34], off offset:1024
	s_and_saveexec_b32 s9, vcc_lo
	s_cbranch_execnz .LBB43_76
.LBB43_36:                              ;   in Loop: Header=BB43_33 Depth=1
	s_or_b32 exec_lo, exec_lo, s9
	global_load_b128 v[17:20], v[33:34], off offset:1536
	s_and_saveexec_b32 s9, vcc_lo
	s_cbranch_execnz .LBB43_77
.LBB43_37:                              ;   in Loop: Header=BB43_33 Depth=1
	s_or_b32 exec_lo, exec_lo, s9
	global_load_b128 v[21:24], v[33:34], off offset:2048
	s_and_saveexec_b32 s9, vcc_lo
	s_cbranch_execnz .LBB43_78
.LBB43_38:                              ;   in Loop: Header=BB43_33 Depth=1
	s_or_b32 exec_lo, exec_lo, s9
	global_load_b128 v[25:28], v[33:34], off offset:2560
	s_and_saveexec_b32 s9, vcc_lo
	s_cbranch_execnz .LBB43_79
.LBB43_39:                              ;   in Loop: Header=BB43_33 Depth=1
	s_or_b32 exec_lo, exec_lo, s9
	global_load_b128 v[29:32], v[33:34], off offset:3072
	s_and_saveexec_b32 s9, vcc_lo
	s_cbranch_execnz .LBB43_80
.LBB43_40:                              ;   in Loop: Header=BB43_33 Depth=1
	s_or_b32 exec_lo, exec_lo, s9
	global_load_b128 v[33:36], v[33:34], off offset:3584
	s_and_saveexec_b32 s9, vcc_lo
	s_cbranch_execz .LBB43_42
.LBB43_41:                              ;   in Loop: Header=BB43_33 Depth=1
	v_cmp_gt_i32_e64 s0, s15, v152
	s_waitcnt vmcnt(0)
	s_delay_alu instid0(VALU_DEP_1) | instskip(SKIP_1) | instid1(VALU_DEP_1)
	v_cndmask_b32_e64 v33, 0, v33, s0
	v_cmp_gt_i32_e64 s0, s15, v154
	v_cndmask_b32_e64 v34, 0, v34, s0
	v_cmp_gt_i32_e64 s0, s15, v153
	s_delay_alu instid0(VALU_DEP_1) | instskip(SKIP_1) | instid1(VALU_DEP_1)
	v_cndmask_b32_e64 v35, 0, v35, s0
	v_cmp_gt_i32_e64 s0, s15, v133
	v_cndmask_b32_e64 v36, 0, v36, s0
.LBB43_42:                              ;   in Loop: Header=BB43_33 Depth=1
	s_or_b32 exec_lo, exec_lo, s9
	v_add_co_u32 v37, s0, v81, v136
	s_delay_alu instid0(VALU_DEP_1)
	v_add_co_ci_u32_e64 v38, s0, 0, v82, s0
	global_load_b128 v[37:40], v[37:38], off
	s_and_saveexec_b32 s9, vcc_lo
	s_cbranch_execz .LBB43_44
; %bb.43:                               ;   in Loop: Header=BB43_33 Depth=1
	v_cmp_gt_i32_e64 s0, s15, v152
	s_waitcnt vmcnt(0)
	s_delay_alu instid0(VALU_DEP_1) | instskip(SKIP_1) | instid1(VALU_DEP_1)
	v_cndmask_b32_e64 v37, 0, v37, s0
	v_cmp_gt_i32_e64 s0, s15, v154
	v_cndmask_b32_e64 v38, 0, v38, s0
	v_cmp_gt_i32_e64 s0, s15, v153
	s_delay_alu instid0(VALU_DEP_1) | instskip(SKIP_1) | instid1(VALU_DEP_1)
	v_cndmask_b32_e64 v39, 0, v39, s0
	v_cmp_gt_i32_e64 s0, s15, v133
	v_cndmask_b32_e64 v40, 0, v40, s0
.LBB43_44:                              ;   in Loop: Header=BB43_33 Depth=1
	s_or_b32 exec_lo, exec_lo, s9
	v_add_co_u32 v41, s0, v81, v137
	s_delay_alu instid0(VALU_DEP_1)
	v_add_co_ci_u32_e64 v42, s0, 0, v82, s0
	global_load_b128 v[41:44], v[41:42], off
	s_and_saveexec_b32 s9, vcc_lo
	s_cbranch_execz .LBB43_46
; %bb.45:                               ;   in Loop: Header=BB43_33 Depth=1
	v_cmp_gt_i32_e64 s0, s15, v152
	s_waitcnt vmcnt(0)
	s_delay_alu instid0(VALU_DEP_1) | instskip(SKIP_1) | instid1(VALU_DEP_1)
	v_cndmask_b32_e64 v41, 0, v41, s0
	v_cmp_gt_i32_e64 s0, s15, v154
	v_cndmask_b32_e64 v42, 0, v42, s0
	v_cmp_gt_i32_e64 s0, s15, v153
	s_delay_alu instid0(VALU_DEP_1) | instskip(SKIP_1) | instid1(VALU_DEP_1)
	v_cndmask_b32_e64 v43, 0, v43, s0
	v_cmp_gt_i32_e64 s0, s15, v133
	v_cndmask_b32_e64 v44, 0, v44, s0
.LBB43_46:                              ;   in Loop: Header=BB43_33 Depth=1
	;; [unrolled: 20-line block ×15, first 2 shown]
	s_or_b32 exec_lo, exec_lo, s9
	v_add_co_u32 v81, s0, v81, v151
	s_delay_alu instid0(VALU_DEP_1)
	v_add_co_ci_u32_e64 v82, s0, 0, v82, s0
	global_load_b128 v[81:84], v[81:82], off
	s_and_saveexec_b32 s0, vcc_lo
	s_cbranch_execz .LBB43_32
; %bb.73:                               ;   in Loop: Header=BB43_33 Depth=1
	v_cmp_gt_i32_e32 vcc_lo, s15, v152
	s_waitcnt vmcnt(0)
	v_cndmask_b32_e32 v81, 0, v81, vcc_lo
	v_cmp_gt_i32_e32 vcc_lo, s15, v154
	v_cndmask_b32_e32 v82, 0, v82, vcc_lo
	v_cmp_gt_i32_e32 vcc_lo, s15, v153
	;; [unrolled: 2-line block ×3, first 2 shown]
	v_cndmask_b32_e32 v84, 0, v84, vcc_lo
	s_branch .LBB43_32
.LBB43_74:                              ;   in Loop: Header=BB43_33 Depth=1
	v_cmp_gt_i32_e64 s0, s15, v152
	s_waitcnt vmcnt(0)
	s_delay_alu instid0(VALU_DEP_1) | instskip(SKIP_1) | instid1(VALU_DEP_1)
	v_cndmask_b32_e64 v5, 0, v5, s0
	v_cmp_gt_i32_e64 s0, s15, v154
	v_cndmask_b32_e64 v6, 0, v6, s0
	v_cmp_gt_i32_e64 s0, s15, v153
	s_delay_alu instid0(VALU_DEP_1) | instskip(SKIP_1) | instid1(VALU_DEP_1)
	v_cndmask_b32_e64 v7, 0, v7, s0
	v_cmp_gt_i32_e64 s0, s15, v133
	v_cndmask_b32_e64 v8, 0, v8, s0
	s_or_b32 exec_lo, exec_lo, s9
	global_load_b128 v[9:12], v[33:34], off offset:512
	s_and_saveexec_b32 s9, vcc_lo
	s_cbranch_execz .LBB43_35
.LBB43_75:                              ;   in Loop: Header=BB43_33 Depth=1
	v_cmp_gt_i32_e64 s0, s15, v152
	s_waitcnt vmcnt(0)
	s_delay_alu instid0(VALU_DEP_1) | instskip(SKIP_1) | instid1(VALU_DEP_1)
	v_cndmask_b32_e64 v9, 0, v9, s0
	v_cmp_gt_i32_e64 s0, s15, v154
	v_cndmask_b32_e64 v10, 0, v10, s0
	v_cmp_gt_i32_e64 s0, s15, v153
	s_delay_alu instid0(VALU_DEP_1) | instskip(SKIP_1) | instid1(VALU_DEP_1)
	v_cndmask_b32_e64 v11, 0, v11, s0
	v_cmp_gt_i32_e64 s0, s15, v133
	v_cndmask_b32_e64 v12, 0, v12, s0
	s_or_b32 exec_lo, exec_lo, s9
	global_load_b128 v[13:16], v[33:34], off offset:1024
	s_and_saveexec_b32 s9, vcc_lo
	s_cbranch_execz .LBB43_36
.LBB43_76:                              ;   in Loop: Header=BB43_33 Depth=1
	v_cmp_gt_i32_e64 s0, s15, v152
	s_waitcnt vmcnt(0)
	s_delay_alu instid0(VALU_DEP_1) | instskip(SKIP_1) | instid1(VALU_DEP_1)
	v_cndmask_b32_e64 v13, 0, v13, s0
	v_cmp_gt_i32_e64 s0, s15, v154
	v_cndmask_b32_e64 v14, 0, v14, s0
	v_cmp_gt_i32_e64 s0, s15, v153
	s_delay_alu instid0(VALU_DEP_1) | instskip(SKIP_1) | instid1(VALU_DEP_1)
	v_cndmask_b32_e64 v15, 0, v15, s0
	v_cmp_gt_i32_e64 s0, s15, v133
	v_cndmask_b32_e64 v16, 0, v16, s0
	s_or_b32 exec_lo, exec_lo, s9
	global_load_b128 v[17:20], v[33:34], off offset:1536
	s_and_saveexec_b32 s9, vcc_lo
	s_cbranch_execz .LBB43_37
.LBB43_77:                              ;   in Loop: Header=BB43_33 Depth=1
	v_cmp_gt_i32_e64 s0, s15, v152
	s_waitcnt vmcnt(0)
	s_delay_alu instid0(VALU_DEP_1) | instskip(SKIP_1) | instid1(VALU_DEP_1)
	v_cndmask_b32_e64 v17, 0, v17, s0
	v_cmp_gt_i32_e64 s0, s15, v154
	v_cndmask_b32_e64 v18, 0, v18, s0
	v_cmp_gt_i32_e64 s0, s15, v153
	s_delay_alu instid0(VALU_DEP_1) | instskip(SKIP_1) | instid1(VALU_DEP_1)
	v_cndmask_b32_e64 v19, 0, v19, s0
	v_cmp_gt_i32_e64 s0, s15, v133
	v_cndmask_b32_e64 v20, 0, v20, s0
	s_or_b32 exec_lo, exec_lo, s9
	global_load_b128 v[21:24], v[33:34], off offset:2048
	s_and_saveexec_b32 s9, vcc_lo
	s_cbranch_execz .LBB43_38
.LBB43_78:                              ;   in Loop: Header=BB43_33 Depth=1
	v_cmp_gt_i32_e64 s0, s15, v152
	s_waitcnt vmcnt(0)
	s_delay_alu instid0(VALU_DEP_1) | instskip(SKIP_1) | instid1(VALU_DEP_1)
	v_cndmask_b32_e64 v21, 0, v21, s0
	v_cmp_gt_i32_e64 s0, s15, v154
	v_cndmask_b32_e64 v22, 0, v22, s0
	v_cmp_gt_i32_e64 s0, s15, v153
	s_delay_alu instid0(VALU_DEP_1) | instskip(SKIP_1) | instid1(VALU_DEP_1)
	v_cndmask_b32_e64 v23, 0, v23, s0
	v_cmp_gt_i32_e64 s0, s15, v133
	v_cndmask_b32_e64 v24, 0, v24, s0
	s_or_b32 exec_lo, exec_lo, s9
	global_load_b128 v[25:28], v[33:34], off offset:2560
	s_and_saveexec_b32 s9, vcc_lo
	s_cbranch_execz .LBB43_39
.LBB43_79:                              ;   in Loop: Header=BB43_33 Depth=1
	v_cmp_gt_i32_e64 s0, s15, v152
	s_waitcnt vmcnt(0)
	s_delay_alu instid0(VALU_DEP_1) | instskip(SKIP_1) | instid1(VALU_DEP_1)
	v_cndmask_b32_e64 v25, 0, v25, s0
	v_cmp_gt_i32_e64 s0, s15, v154
	v_cndmask_b32_e64 v26, 0, v26, s0
	v_cmp_gt_i32_e64 s0, s15, v153
	s_delay_alu instid0(VALU_DEP_1) | instskip(SKIP_1) | instid1(VALU_DEP_1)
	v_cndmask_b32_e64 v27, 0, v27, s0
	v_cmp_gt_i32_e64 s0, s15, v133
	v_cndmask_b32_e64 v28, 0, v28, s0
	s_or_b32 exec_lo, exec_lo, s9
	global_load_b128 v[29:32], v[33:34], off offset:3072
	s_and_saveexec_b32 s9, vcc_lo
	s_cbranch_execz .LBB43_40
.LBB43_80:                              ;   in Loop: Header=BB43_33 Depth=1
	v_cmp_gt_i32_e64 s0, s15, v152
	s_waitcnt vmcnt(0)
	s_delay_alu instid0(VALU_DEP_1) | instskip(SKIP_1) | instid1(VALU_DEP_1)
	v_cndmask_b32_e64 v29, 0, v29, s0
	v_cmp_gt_i32_e64 s0, s15, v154
	v_cndmask_b32_e64 v30, 0, v30, s0
	v_cmp_gt_i32_e64 s0, s15, v153
	s_delay_alu instid0(VALU_DEP_1) | instskip(SKIP_1) | instid1(VALU_DEP_1)
	v_cndmask_b32_e64 v31, 0, v31, s0
	v_cmp_gt_i32_e64 s0, s15, v133
	v_cndmask_b32_e64 v32, 0, v32, s0
	s_or_b32 exec_lo, exec_lo, s9
	global_load_b128 v[33:36], v[33:34], off offset:3584
	s_and_saveexec_b32 s9, vcc_lo
	s_cbranch_execnz .LBB43_41
	s_branch .LBB43_42
.LBB43_81:
	s_or_b32 exec_lo, exec_lo, s5
.LBB43_82:
	s_delay_alu instid0(SALU_CYCLE_1)
	s_or_b32 exec_lo, exec_lo, s1
	ds_bpermute_b32 v1, v106, v130
	ds_bpermute_b32 v2, v106, v132
	;; [unrolled: 1-line block ×20, first 2 shown]
	s_waitcnt lgkmcnt(18)
	v_dual_add_f32 v1, v130, v1 :: v_dual_add_f32 v2, v132, v2
	s_waitcnt lgkmcnt(16)
	v_dual_add_f32 v3, v131, v3 :: v_dual_add_f32 v4, v129, v4
	;; [unrolled: 2-line block ×3, first 2 shown]
	ds_bpermute_b32 v19, v107, v1
	ds_bpermute_b32 v20, v107, v2
	;; [unrolled: 1-line block ×7, first 2 shown]
	s_waitcnt lgkmcnt(19)
	v_dual_add_f32 v7, v126, v7 :: v_dual_add_f32 v8, v125, v8
	s_waitcnt lgkmcnt(17)
	v_dual_add_f32 v9, v124, v9 :: v_dual_add_f32 v10, v123, v10
	;; [unrolled: 2-line block ×3, first 2 shown]
	ds_bpermute_b32 v27, v107, v7
	s_waitcnt lgkmcnt(14)
	v_dual_add_f32 v13, v120, v13 :: v_dual_add_f32 v14, v119, v14
	s_waitcnt lgkmcnt(12)
	v_dual_add_f32 v15, v118, v15 :: v_dual_add_f32 v16, v117, v16
	;; [unrolled: 2-line block ×5, first 2 shown]
	ds_bpermute_b32 v19, v106, v112
	ds_bpermute_b32 v20, v106, v111
	;; [unrolled: 1-line block ×3, first 2 shown]
	v_dual_add_f32 v23, v114, v23 :: v_dual_add_f32 v24, v113, v24
	ds_bpermute_b32 v28, v107, v8
	ds_bpermute_b32 v29, v107, v9
	;; [unrolled: 1-line block ×10, first 2 shown]
	s_waitcnt lgkmcnt(16)
	v_add_f32_e32 v32, v109, v32
	ds_bpermute_b32 v38, v107, v18
	s_waitcnt lgkmcnt(15)
	v_dual_add_f32 v5, v5, v25 :: v_dual_add_f32 v6, v6, v26
	s_waitcnt lgkmcnt(14)
	v_add_f32_e32 v7, v7, v27
	s_waitcnt lgkmcnt(12)
	v_dual_add_f32 v39, v112, v19 :: v_dual_add_f32 v40, v111, v20
	s_waitcnt lgkmcnt(11)
	v_add_f32_e32 v41, v110, v21
	ds_bpermute_b32 v19, v107, v23
	ds_bpermute_b32 v20, v107, v24
	ds_bpermute_b32 v21, v107, v39
	ds_bpermute_b32 v42, v107, v40
	ds_bpermute_b32 v43, v107, v41
	ds_bpermute_b32 v26, v107, v32
	v_and_b32_e32 v27, 0x3c3, v0
	v_lshrrev_b32_e32 v25, 2, v105
	s_movk_i32 s0, 0x300
	s_waitcnt lgkmcnt(15)
	v_dual_add_f32 v8, v8, v28 :: v_dual_add_f32 v9, v9, v29
	s_waitcnt lgkmcnt(14)
	v_add_f32_e32 v10, v10, v30
	s_waitcnt lgkmcnt(12)
	v_dual_add_f32 v11, v11, v22 :: v_dual_add_f32 v12, v12, v31
	s_waitcnt lgkmcnt(10)
	v_dual_add_f32 v13, v13, v33 :: v_dual_add_f32 v14, v14, v34
	;; [unrolled: 2-line block ×7, first 2 shown]
	v_mad_u32_u24 v26, v104, s0, 0x320
	v_cmp_eq_u32_e32 vcc_lo, 64, v27
	v_lshlrev_b32_e32 v27, 2, v25
	s_waitcnt_vscnt null, 0x0
	s_barrier
	buffer_gl0_inv
	s_and_saveexec_b32 s0, vcc_lo
	s_cbranch_execz .LBB43_84
; %bb.83:
	v_add3_u32 v28, v26, v27, 0xfffffa00
	ds_store_2addr_b32 v28, v1, v2 offset1:8
	ds_store_2addr_b32 v28, v3, v4 offset0:16 offset1:24
	ds_store_2addr_b32 v28, v5, v6 offset0:32 offset1:40
	;; [unrolled: 1-line block ×11, first 2 shown]
.LBB43_84:
	s_or_b32 exec_lo, exec_lo, s0
	v_cmp_eq_u32_e32 vcc_lo, 0, v108
	s_mov_b32 s1, exec_lo
	s_waitcnt lgkmcnt(0)
	s_barrier
	buffer_gl0_inv
	v_cmpx_gt_u32_e32 64, v0
	s_cbranch_execz .LBB43_111
; %bb.85:
	s_and_saveexec_b32 s0, vcc_lo
	s_cbranch_execnz .LBB43_143
; %bb.86:
	s_or_b32 exec_lo, exec_lo, s0
	s_and_saveexec_b32 s0, vcc_lo
	s_cbranch_execnz .LBB43_144
.LBB43_87:
	s_or_b32 exec_lo, exec_lo, s0
	s_and_saveexec_b32 s0, vcc_lo
	s_cbranch_execnz .LBB43_145
.LBB43_88:
	s_or_b32 exec_lo, exec_lo, s0
	s_and_saveexec_b32 s0, vcc_lo
	s_cbranch_execnz .LBB43_146
.LBB43_89:
	s_or_b32 exec_lo, exec_lo, s0
	s_and_saveexec_b32 s0, vcc_lo
	s_cbranch_execnz .LBB43_147
.LBB43_90:
	s_or_b32 exec_lo, exec_lo, s0
	s_and_saveexec_b32 s0, vcc_lo
	s_cbranch_execnz .LBB43_148
.LBB43_91:
	s_or_b32 exec_lo, exec_lo, s0
	s_and_saveexec_b32 s0, vcc_lo
	s_cbranch_execnz .LBB43_149
.LBB43_92:
	s_or_b32 exec_lo, exec_lo, s0
	s_and_saveexec_b32 s0, vcc_lo
	s_cbranch_execnz .LBB43_150
.LBB43_93:
	s_or_b32 exec_lo, exec_lo, s0
	s_and_saveexec_b32 s0, vcc_lo
	s_cbranch_execnz .LBB43_151
.LBB43_94:
	s_or_b32 exec_lo, exec_lo, s0
	s_and_saveexec_b32 s0, vcc_lo
	s_cbranch_execnz .LBB43_152
.LBB43_95:
	s_or_b32 exec_lo, exec_lo, s0
	s_and_saveexec_b32 s0, vcc_lo
	s_cbranch_execnz .LBB43_153
.LBB43_96:
	s_or_b32 exec_lo, exec_lo, s0
	s_and_saveexec_b32 s0, vcc_lo
	s_cbranch_execnz .LBB43_154
.LBB43_97:
	s_or_b32 exec_lo, exec_lo, s0
	s_and_saveexec_b32 s0, vcc_lo
	s_cbranch_execnz .LBB43_155
.LBB43_98:
	s_or_b32 exec_lo, exec_lo, s0
	s_and_saveexec_b32 s0, vcc_lo
	s_cbranch_execnz .LBB43_156
.LBB43_99:
	s_or_b32 exec_lo, exec_lo, s0
	s_and_saveexec_b32 s0, vcc_lo
	s_cbranch_execnz .LBB43_157
.LBB43_100:
	s_or_b32 exec_lo, exec_lo, s0
	s_and_saveexec_b32 s0, vcc_lo
	s_cbranch_execnz .LBB43_158
.LBB43_101:
	s_or_b32 exec_lo, exec_lo, s0
	s_and_saveexec_b32 s0, vcc_lo
	s_cbranch_execnz .LBB43_159
.LBB43_102:
	s_or_b32 exec_lo, exec_lo, s0
	s_and_saveexec_b32 s0, vcc_lo
	s_cbranch_execnz .LBB43_160
.LBB43_103:
	s_or_b32 exec_lo, exec_lo, s0
	s_and_saveexec_b32 s0, vcc_lo
	s_cbranch_execnz .LBB43_161
.LBB43_104:
	s_or_b32 exec_lo, exec_lo, s0
	s_and_saveexec_b32 s0, vcc_lo
	s_cbranch_execnz .LBB43_162
.LBB43_105:
	s_or_b32 exec_lo, exec_lo, s0
	s_and_saveexec_b32 s0, vcc_lo
	s_cbranch_execnz .LBB43_163
.LBB43_106:
	s_or_b32 exec_lo, exec_lo, s0
	s_and_saveexec_b32 s0, vcc_lo
	s_cbranch_execnz .LBB43_164
.LBB43_107:
	s_or_b32 exec_lo, exec_lo, s0
	s_and_saveexec_b32 s0, vcc_lo
	s_cbranch_execnz .LBB43_165
.LBB43_108:
	s_or_b32 exec_lo, exec_lo, s0
	s_and_saveexec_b32 s0, vcc_lo
	s_cbranch_execz .LBB43_110
.LBB43_109:
	v_lshl_add_u32 v28, v25, 2, v26
	ds_load_b32 v28, v28 offset:736
	s_waitcnt lgkmcnt(0)
	v_add_f32_e32 v24, v24, v28
.LBB43_110:
	s_or_b32 exec_lo, exec_lo, s0
.LBB43_111:
	s_delay_alu instid0(SALU_CYCLE_1)
	s_or_b32 exec_lo, exec_lo, s1
	v_and_b32_e32 v28, 0x3e3, v0
	s_mov_b32 s1, exec_lo
	s_barrier
	buffer_gl0_inv
	v_cmpx_eq_u32_e32 32, v28
	s_cbranch_execz .LBB43_113
; %bb.112:
	v_add3_u32 v27, v26, v27, 0xfffffd00
	ds_store_2addr_b32 v27, v1, v2 offset1:8
	ds_store_2addr_b32 v27, v3, v4 offset0:16 offset1:24
	ds_store_2addr_b32 v27, v5, v6 offset0:32 offset1:40
	;; [unrolled: 1-line block ×11, first 2 shown]
.LBB43_113:
	s_or_b32 exec_lo, exec_lo, s1
	s_delay_alu instid0(SALU_CYCLE_1)
	s_mov_b32 s1, exec_lo
	s_waitcnt lgkmcnt(0)
	s_barrier
	buffer_gl0_inv
	v_cmpx_gt_u32_e32 32, v0
	s_cbranch_execz .LBB43_140
; %bb.114:
	v_lshl_add_u32 v25, v25, 2, v26
	s_and_saveexec_b32 s0, vcc_lo
	s_cbranch_execnz .LBB43_166
; %bb.115:
	s_or_b32 exec_lo, exec_lo, s0
	s_and_saveexec_b32 s0, vcc_lo
	s_cbranch_execnz .LBB43_167
.LBB43_116:
	s_or_b32 exec_lo, exec_lo, s0
	s_and_saveexec_b32 s0, vcc_lo
	s_cbranch_execnz .LBB43_168
.LBB43_117:
	s_or_b32 exec_lo, exec_lo, s0
	s_and_saveexec_b32 s0, vcc_lo
	s_cbranch_execnz .LBB43_169
.LBB43_118:
	s_or_b32 exec_lo, exec_lo, s0
	s_and_saveexec_b32 s0, vcc_lo
	s_cbranch_execnz .LBB43_170
.LBB43_119:
	s_or_b32 exec_lo, exec_lo, s0
	s_and_saveexec_b32 s0, vcc_lo
	s_cbranch_execnz .LBB43_171
.LBB43_120:
	s_or_b32 exec_lo, exec_lo, s0
	s_and_saveexec_b32 s0, vcc_lo
	s_cbranch_execnz .LBB43_172
.LBB43_121:
	s_or_b32 exec_lo, exec_lo, s0
	s_and_saveexec_b32 s0, vcc_lo
	s_cbranch_execnz .LBB43_173
.LBB43_122:
	s_or_b32 exec_lo, exec_lo, s0
	s_and_saveexec_b32 s0, vcc_lo
	s_cbranch_execnz .LBB43_174
.LBB43_123:
	s_or_b32 exec_lo, exec_lo, s0
	s_and_saveexec_b32 s0, vcc_lo
	s_cbranch_execnz .LBB43_175
.LBB43_124:
	s_or_b32 exec_lo, exec_lo, s0
	s_and_saveexec_b32 s0, vcc_lo
	s_cbranch_execnz .LBB43_176
.LBB43_125:
	s_or_b32 exec_lo, exec_lo, s0
	s_and_saveexec_b32 s0, vcc_lo
	s_cbranch_execnz .LBB43_177
.LBB43_126:
	s_or_b32 exec_lo, exec_lo, s0
	s_and_saveexec_b32 s0, vcc_lo
	s_cbranch_execnz .LBB43_178
.LBB43_127:
	s_or_b32 exec_lo, exec_lo, s0
	s_and_saveexec_b32 s0, vcc_lo
	s_cbranch_execnz .LBB43_179
.LBB43_128:
	s_or_b32 exec_lo, exec_lo, s0
	s_and_saveexec_b32 s0, vcc_lo
	s_cbranch_execnz .LBB43_180
.LBB43_129:
	s_or_b32 exec_lo, exec_lo, s0
	s_and_saveexec_b32 s0, vcc_lo
	s_cbranch_execnz .LBB43_181
.LBB43_130:
	s_or_b32 exec_lo, exec_lo, s0
	s_and_saveexec_b32 s0, vcc_lo
	s_cbranch_execnz .LBB43_182
.LBB43_131:
	s_or_b32 exec_lo, exec_lo, s0
	s_and_saveexec_b32 s0, vcc_lo
	s_cbranch_execnz .LBB43_183
.LBB43_132:
	s_or_b32 exec_lo, exec_lo, s0
	s_and_saveexec_b32 s0, vcc_lo
	s_cbranch_execnz .LBB43_184
.LBB43_133:
	s_or_b32 exec_lo, exec_lo, s0
	s_and_saveexec_b32 s0, vcc_lo
	s_cbranch_execnz .LBB43_185
.LBB43_134:
	s_or_b32 exec_lo, exec_lo, s0
	s_and_saveexec_b32 s0, vcc_lo
	s_cbranch_execnz .LBB43_186
.LBB43_135:
	s_or_b32 exec_lo, exec_lo, s0
	s_and_saveexec_b32 s0, vcc_lo
	s_cbranch_execnz .LBB43_187
.LBB43_136:
	s_or_b32 exec_lo, exec_lo, s0
	s_and_saveexec_b32 s0, vcc_lo
	s_cbranch_execnz .LBB43_188
.LBB43_137:
	s_or_b32 exec_lo, exec_lo, s0
	s_and_saveexec_b32 s0, vcc_lo
	s_cbranch_execz .LBB43_139
.LBB43_138:
	ds_load_b32 v25, v25 offset:736
	s_waitcnt lgkmcnt(0)
	v_add_f32_e32 v24, v24, v25
.LBB43_139:
	s_or_b32 exec_lo, exec_lo, s0
.LBB43_140:
	s_delay_alu instid0(SALU_CYCLE_1)
	s_or_b32 exec_lo, exec_lo, s1
	s_barrier
	buffer_gl0_inv
	s_mov_b32 s0, exec_lo
	v_cmpx_eq_u32_e32 0, v28
	s_cbranch_execz .LBB43_142
; %bb.141:
	s_mul_i32 s0, s6, 0xc0
	s_mul_i32 s2, s4, s16
	s_ashr_i32 s1, s0, 31
	s_delay_alu instid0(SALU_CYCLE_1) | instskip(NEXT) | instid1(SALU_CYCLE_1)
	s_lshl_b64 s[0:1], s[0:1], 2
	s_add_u32 s4, s18, s0
	s_addc_u32 s5, s19, s1
	s_ashr_i32 s3, s2, 31
	s_delay_alu instid0(SALU_CYCLE_1) | instskip(SKIP_4) | instid1(SALU_CYCLE_1)
	s_lshl_b64 s[0:1], s[2:3], 2
	s_mul_i32 s2, s12, 0xc0
	s_add_u32 s4, s4, s0
	s_addc_u32 s5, s5, s1
	s_ashr_i32 s3, s2, 31
	s_lshl_b64 s[0:1], s[2:3], 2
	s_delay_alu instid0(SALU_CYCLE_1)
	s_add_u32 s0, s4, s0
	s_addc_u32 s1, s5, s1
	s_clause 0x17
	global_store_b32 v0, v1, s[0:1]
	global_store_b32 v0, v2, s[0:1] offset:32
	global_store_b32 v0, v3, s[0:1] offset:64
	;; [unrolled: 1-line block ×23, first 2 shown]
.LBB43_142:
	s_nop 0
	s_sendmsg sendmsg(MSG_DEALLOC_VGPRS)
	s_endpgm
.LBB43_143:
	v_lshl_add_u32 v28, v25, 2, v26
	ds_load_b32 v28, v28
	s_waitcnt lgkmcnt(0)
	v_add_f32_e32 v1, v1, v28
	s_or_b32 exec_lo, exec_lo, s0
	s_and_saveexec_b32 s0, vcc_lo
	s_cbranch_execz .LBB43_87
.LBB43_144:
	v_lshl_add_u32 v28, v25, 2, v26
	ds_load_b32 v28, v28 offset:32
	s_waitcnt lgkmcnt(0)
	v_add_f32_e32 v2, v2, v28
	s_or_b32 exec_lo, exec_lo, s0
	s_and_saveexec_b32 s0, vcc_lo
	s_cbranch_execz .LBB43_88
.LBB43_145:
	v_lshl_add_u32 v28, v25, 2, v26
	ds_load_b32 v28, v28 offset:64
	s_waitcnt lgkmcnt(0)
	v_add_f32_e32 v3, v3, v28
	s_or_b32 exec_lo, exec_lo, s0
	s_and_saveexec_b32 s0, vcc_lo
	s_cbranch_execz .LBB43_89
.LBB43_146:
	v_lshl_add_u32 v28, v25, 2, v26
	ds_load_b32 v28, v28 offset:96
	s_waitcnt lgkmcnt(0)
	v_add_f32_e32 v4, v4, v28
	s_or_b32 exec_lo, exec_lo, s0
	s_and_saveexec_b32 s0, vcc_lo
	s_cbranch_execz .LBB43_90
.LBB43_147:
	v_lshl_add_u32 v28, v25, 2, v26
	ds_load_b32 v28, v28 offset:128
	s_waitcnt lgkmcnt(0)
	v_add_f32_e32 v5, v5, v28
	s_or_b32 exec_lo, exec_lo, s0
	s_and_saveexec_b32 s0, vcc_lo
	s_cbranch_execz .LBB43_91
.LBB43_148:
	v_lshl_add_u32 v28, v25, 2, v26
	ds_load_b32 v28, v28 offset:160
	s_waitcnt lgkmcnt(0)
	v_add_f32_e32 v6, v6, v28
	s_or_b32 exec_lo, exec_lo, s0
	s_and_saveexec_b32 s0, vcc_lo
	s_cbranch_execz .LBB43_92
.LBB43_149:
	v_lshl_add_u32 v28, v25, 2, v26
	ds_load_b32 v28, v28 offset:192
	s_waitcnt lgkmcnt(0)
	v_add_f32_e32 v7, v7, v28
	s_or_b32 exec_lo, exec_lo, s0
	s_and_saveexec_b32 s0, vcc_lo
	s_cbranch_execz .LBB43_93
.LBB43_150:
	v_lshl_add_u32 v28, v25, 2, v26
	ds_load_b32 v28, v28 offset:224
	s_waitcnt lgkmcnt(0)
	v_add_f32_e32 v8, v8, v28
	s_or_b32 exec_lo, exec_lo, s0
	s_and_saveexec_b32 s0, vcc_lo
	s_cbranch_execz .LBB43_94
.LBB43_151:
	v_lshl_add_u32 v28, v25, 2, v26
	ds_load_b32 v28, v28 offset:256
	s_waitcnt lgkmcnt(0)
	v_add_f32_e32 v9, v9, v28
	s_or_b32 exec_lo, exec_lo, s0
	s_and_saveexec_b32 s0, vcc_lo
	s_cbranch_execz .LBB43_95
.LBB43_152:
	v_lshl_add_u32 v28, v25, 2, v26
	ds_load_b32 v28, v28 offset:288
	s_waitcnt lgkmcnt(0)
	v_add_f32_e32 v10, v10, v28
	s_or_b32 exec_lo, exec_lo, s0
	s_and_saveexec_b32 s0, vcc_lo
	s_cbranch_execz .LBB43_96
.LBB43_153:
	v_lshl_add_u32 v28, v25, 2, v26
	ds_load_b32 v28, v28 offset:320
	s_waitcnt lgkmcnt(0)
	v_add_f32_e32 v11, v11, v28
	s_or_b32 exec_lo, exec_lo, s0
	s_and_saveexec_b32 s0, vcc_lo
	s_cbranch_execz .LBB43_97
.LBB43_154:
	v_lshl_add_u32 v28, v25, 2, v26
	ds_load_b32 v28, v28 offset:352
	s_waitcnt lgkmcnt(0)
	v_add_f32_e32 v12, v12, v28
	s_or_b32 exec_lo, exec_lo, s0
	s_and_saveexec_b32 s0, vcc_lo
	s_cbranch_execz .LBB43_98
.LBB43_155:
	v_lshl_add_u32 v28, v25, 2, v26
	ds_load_b32 v28, v28 offset:384
	s_waitcnt lgkmcnt(0)
	v_add_f32_e32 v13, v13, v28
	s_or_b32 exec_lo, exec_lo, s0
	s_and_saveexec_b32 s0, vcc_lo
	s_cbranch_execz .LBB43_99
.LBB43_156:
	v_lshl_add_u32 v28, v25, 2, v26
	ds_load_b32 v28, v28 offset:416
	s_waitcnt lgkmcnt(0)
	v_add_f32_e32 v14, v14, v28
	s_or_b32 exec_lo, exec_lo, s0
	s_and_saveexec_b32 s0, vcc_lo
	s_cbranch_execz .LBB43_100
.LBB43_157:
	v_lshl_add_u32 v28, v25, 2, v26
	ds_load_b32 v28, v28 offset:448
	s_waitcnt lgkmcnt(0)
	v_add_f32_e32 v15, v15, v28
	s_or_b32 exec_lo, exec_lo, s0
	s_and_saveexec_b32 s0, vcc_lo
	s_cbranch_execz .LBB43_101
.LBB43_158:
	v_lshl_add_u32 v28, v25, 2, v26
	ds_load_b32 v28, v28 offset:480
	s_waitcnt lgkmcnt(0)
	v_add_f32_e32 v16, v16, v28
	s_or_b32 exec_lo, exec_lo, s0
	s_and_saveexec_b32 s0, vcc_lo
	s_cbranch_execz .LBB43_102
.LBB43_159:
	v_lshl_add_u32 v28, v25, 2, v26
	ds_load_b32 v28, v28 offset:512
	s_waitcnt lgkmcnt(0)
	v_add_f32_e32 v17, v17, v28
	s_or_b32 exec_lo, exec_lo, s0
	s_and_saveexec_b32 s0, vcc_lo
	s_cbranch_execz .LBB43_103
.LBB43_160:
	v_lshl_add_u32 v28, v25, 2, v26
	ds_load_b32 v28, v28 offset:544
	s_waitcnt lgkmcnt(0)
	v_add_f32_e32 v18, v18, v28
	s_or_b32 exec_lo, exec_lo, s0
	s_and_saveexec_b32 s0, vcc_lo
	s_cbranch_execz .LBB43_104
.LBB43_161:
	v_lshl_add_u32 v28, v25, 2, v26
	ds_load_b32 v28, v28 offset:576
	s_waitcnt lgkmcnt(0)
	v_add_f32_e32 v19, v19, v28
	s_or_b32 exec_lo, exec_lo, s0
	s_and_saveexec_b32 s0, vcc_lo
	s_cbranch_execz .LBB43_105
.LBB43_162:
	v_lshl_add_u32 v28, v25, 2, v26
	ds_load_b32 v28, v28 offset:608
	s_waitcnt lgkmcnt(0)
	v_add_f32_e32 v20, v20, v28
	s_or_b32 exec_lo, exec_lo, s0
	s_and_saveexec_b32 s0, vcc_lo
	s_cbranch_execz .LBB43_106
.LBB43_163:
	v_lshl_add_u32 v28, v25, 2, v26
	ds_load_b32 v28, v28 offset:640
	s_waitcnt lgkmcnt(0)
	v_add_f32_e32 v21, v21, v28
	s_or_b32 exec_lo, exec_lo, s0
	s_and_saveexec_b32 s0, vcc_lo
	s_cbranch_execz .LBB43_107
.LBB43_164:
	v_lshl_add_u32 v28, v25, 2, v26
	ds_load_b32 v28, v28 offset:672
	s_waitcnt lgkmcnt(0)
	v_add_f32_e32 v22, v22, v28
	s_or_b32 exec_lo, exec_lo, s0
	s_and_saveexec_b32 s0, vcc_lo
	s_cbranch_execz .LBB43_108
.LBB43_165:
	v_lshl_add_u32 v28, v25, 2, v26
	ds_load_b32 v28, v28 offset:704
	s_waitcnt lgkmcnt(0)
	v_add_f32_e32 v23, v23, v28
	s_or_b32 exec_lo, exec_lo, s0
	s_and_saveexec_b32 s0, vcc_lo
	s_cbranch_execnz .LBB43_109
	s_branch .LBB43_110
.LBB43_166:
	ds_load_b32 v26, v25
	s_waitcnt lgkmcnt(0)
	v_add_f32_e32 v1, v1, v26
	s_or_b32 exec_lo, exec_lo, s0
	s_and_saveexec_b32 s0, vcc_lo
	s_cbranch_execz .LBB43_116
.LBB43_167:
	ds_load_b32 v26, v25 offset:32
	s_waitcnt lgkmcnt(0)
	v_add_f32_e32 v2, v2, v26
	s_or_b32 exec_lo, exec_lo, s0
	s_and_saveexec_b32 s0, vcc_lo
	s_cbranch_execz .LBB43_117
.LBB43_168:
	ds_load_b32 v26, v25 offset:64
	s_waitcnt lgkmcnt(0)
	v_add_f32_e32 v3, v3, v26
	s_or_b32 exec_lo, exec_lo, s0
	s_and_saveexec_b32 s0, vcc_lo
	s_cbranch_execz .LBB43_118
.LBB43_169:
	ds_load_b32 v26, v25 offset:96
	s_waitcnt lgkmcnt(0)
	v_add_f32_e32 v4, v4, v26
	s_or_b32 exec_lo, exec_lo, s0
	s_and_saveexec_b32 s0, vcc_lo
	s_cbranch_execz .LBB43_119
.LBB43_170:
	ds_load_b32 v26, v25 offset:128
	s_waitcnt lgkmcnt(0)
	v_add_f32_e32 v5, v5, v26
	s_or_b32 exec_lo, exec_lo, s0
	s_and_saveexec_b32 s0, vcc_lo
	s_cbranch_execz .LBB43_120
.LBB43_171:
	ds_load_b32 v26, v25 offset:160
	s_waitcnt lgkmcnt(0)
	v_add_f32_e32 v6, v6, v26
	s_or_b32 exec_lo, exec_lo, s0
	s_and_saveexec_b32 s0, vcc_lo
	s_cbranch_execz .LBB43_121
.LBB43_172:
	ds_load_b32 v26, v25 offset:192
	s_waitcnt lgkmcnt(0)
	v_add_f32_e32 v7, v7, v26
	s_or_b32 exec_lo, exec_lo, s0
	s_and_saveexec_b32 s0, vcc_lo
	s_cbranch_execz .LBB43_122
.LBB43_173:
	ds_load_b32 v26, v25 offset:224
	s_waitcnt lgkmcnt(0)
	v_add_f32_e32 v8, v8, v26
	s_or_b32 exec_lo, exec_lo, s0
	s_and_saveexec_b32 s0, vcc_lo
	s_cbranch_execz .LBB43_123
.LBB43_174:
	ds_load_b32 v26, v25 offset:256
	s_waitcnt lgkmcnt(0)
	v_add_f32_e32 v9, v9, v26
	s_or_b32 exec_lo, exec_lo, s0
	s_and_saveexec_b32 s0, vcc_lo
	s_cbranch_execz .LBB43_124
.LBB43_175:
	ds_load_b32 v26, v25 offset:288
	s_waitcnt lgkmcnt(0)
	v_add_f32_e32 v10, v10, v26
	s_or_b32 exec_lo, exec_lo, s0
	s_and_saveexec_b32 s0, vcc_lo
	s_cbranch_execz .LBB43_125
.LBB43_176:
	ds_load_b32 v26, v25 offset:320
	s_waitcnt lgkmcnt(0)
	v_add_f32_e32 v11, v11, v26
	s_or_b32 exec_lo, exec_lo, s0
	s_and_saveexec_b32 s0, vcc_lo
	s_cbranch_execz .LBB43_126
.LBB43_177:
	ds_load_b32 v26, v25 offset:352
	s_waitcnt lgkmcnt(0)
	v_add_f32_e32 v12, v12, v26
	s_or_b32 exec_lo, exec_lo, s0
	s_and_saveexec_b32 s0, vcc_lo
	s_cbranch_execz .LBB43_127
.LBB43_178:
	ds_load_b32 v26, v25 offset:384
	s_waitcnt lgkmcnt(0)
	v_add_f32_e32 v13, v13, v26
	s_or_b32 exec_lo, exec_lo, s0
	s_and_saveexec_b32 s0, vcc_lo
	s_cbranch_execz .LBB43_128
.LBB43_179:
	ds_load_b32 v26, v25 offset:416
	s_waitcnt lgkmcnt(0)
	v_add_f32_e32 v14, v14, v26
	s_or_b32 exec_lo, exec_lo, s0
	s_and_saveexec_b32 s0, vcc_lo
	s_cbranch_execz .LBB43_129
.LBB43_180:
	ds_load_b32 v26, v25 offset:448
	s_waitcnt lgkmcnt(0)
	v_add_f32_e32 v15, v15, v26
	s_or_b32 exec_lo, exec_lo, s0
	s_and_saveexec_b32 s0, vcc_lo
	s_cbranch_execz .LBB43_130
.LBB43_181:
	ds_load_b32 v26, v25 offset:480
	s_waitcnt lgkmcnt(0)
	v_add_f32_e32 v16, v16, v26
	s_or_b32 exec_lo, exec_lo, s0
	s_and_saveexec_b32 s0, vcc_lo
	s_cbranch_execz .LBB43_131
.LBB43_182:
	ds_load_b32 v26, v25 offset:512
	s_waitcnt lgkmcnt(0)
	v_add_f32_e32 v17, v17, v26
	s_or_b32 exec_lo, exec_lo, s0
	s_and_saveexec_b32 s0, vcc_lo
	s_cbranch_execz .LBB43_132
.LBB43_183:
	ds_load_b32 v26, v25 offset:544
	s_waitcnt lgkmcnt(0)
	v_add_f32_e32 v18, v18, v26
	s_or_b32 exec_lo, exec_lo, s0
	s_and_saveexec_b32 s0, vcc_lo
	s_cbranch_execz .LBB43_133
.LBB43_184:
	ds_load_b32 v26, v25 offset:576
	s_waitcnt lgkmcnt(0)
	v_add_f32_e32 v19, v19, v26
	s_or_b32 exec_lo, exec_lo, s0
	s_and_saveexec_b32 s0, vcc_lo
	s_cbranch_execz .LBB43_134
.LBB43_185:
	ds_load_b32 v26, v25 offset:608
	s_waitcnt lgkmcnt(0)
	v_add_f32_e32 v20, v20, v26
	s_or_b32 exec_lo, exec_lo, s0
	s_and_saveexec_b32 s0, vcc_lo
	s_cbranch_execz .LBB43_135
.LBB43_186:
	ds_load_b32 v26, v25 offset:640
	s_waitcnt lgkmcnt(0)
	v_add_f32_e32 v21, v21, v26
	s_or_b32 exec_lo, exec_lo, s0
	s_and_saveexec_b32 s0, vcc_lo
	s_cbranch_execz .LBB43_136
.LBB43_187:
	ds_load_b32 v26, v25 offset:672
	s_waitcnt lgkmcnt(0)
	v_add_f32_e32 v22, v22, v26
	s_or_b32 exec_lo, exec_lo, s0
	s_and_saveexec_b32 s0, vcc_lo
	s_cbranch_execz .LBB43_137
.LBB43_188:
	ds_load_b32 v26, v25 offset:704
	s_waitcnt lgkmcnt(0)
	v_add_f32_e32 v23, v23, v26
	s_or_b32 exec_lo, exec_lo, s0
	s_and_saveexec_b32 s0, vcc_lo
	s_cbranch_execnz .LBB43_138
	s_branch .LBB43_139
	.section	.rodata,"a",@progbits
	.p2align	6, 0x0
	.amdhsa_kernel _ZN4vllm25paged_attention_v2_kernelIffLi192ELi16ELi128ELNS_18Fp8KVCacheDataTypeE0ELb0ELi512EEEvPfS2_PT_PKS3_PKT0_S9_ifPKiSB_iPKfiiiSD_SD_iiiii
		.amdhsa_group_segment_fixed_size 800
		.amdhsa_private_segment_fixed_size 0
		.amdhsa_kernarg_size 400
		.amdhsa_user_sgpr_count 13
		.amdhsa_user_sgpr_dispatch_ptr 0
		.amdhsa_user_sgpr_queue_ptr 0
		.amdhsa_user_sgpr_kernarg_segment_ptr 1
		.amdhsa_user_sgpr_dispatch_id 0
		.amdhsa_user_sgpr_private_segment_size 0
		.amdhsa_wavefront_size32 1
		.amdhsa_uses_dynamic_stack 0
		.amdhsa_enable_private_segment 0
		.amdhsa_system_sgpr_workgroup_id_x 1
		.amdhsa_system_sgpr_workgroup_id_y 1
		.amdhsa_system_sgpr_workgroup_id_z 1
		.amdhsa_system_sgpr_workgroup_info 0
		.amdhsa_system_vgpr_workitem_id 0
		.amdhsa_next_free_vgpr 174
		.amdhsa_next_free_sgpr 38
		.amdhsa_reserve_vcc 1
		.amdhsa_float_round_mode_32 0
		.amdhsa_float_round_mode_16_64 0
		.amdhsa_float_denorm_mode_32 3
		.amdhsa_float_denorm_mode_16_64 3
		.amdhsa_dx10_clamp 1
		.amdhsa_ieee_mode 1
		.amdhsa_fp16_overflow 0
		.amdhsa_workgroup_processor_mode 1
		.amdhsa_memory_ordered 1
		.amdhsa_forward_progress 0
		.amdhsa_shared_vgpr_count 0
		.amdhsa_exception_fp_ieee_invalid_op 0
		.amdhsa_exception_fp_denorm_src 0
		.amdhsa_exception_fp_ieee_div_zero 0
		.amdhsa_exception_fp_ieee_overflow 0
		.amdhsa_exception_fp_ieee_underflow 0
		.amdhsa_exception_fp_ieee_inexact 0
		.amdhsa_exception_int_div_zero 0
	.end_amdhsa_kernel
	.section	.text._ZN4vllm25paged_attention_v2_kernelIffLi192ELi16ELi128ELNS_18Fp8KVCacheDataTypeE0ELb0ELi512EEEvPfS2_PT_PKS3_PKT0_S9_ifPKiSB_iPKfiiiSD_SD_iiiii,"axG",@progbits,_ZN4vllm25paged_attention_v2_kernelIffLi192ELi16ELi128ELNS_18Fp8KVCacheDataTypeE0ELb0ELi512EEEvPfS2_PT_PKS3_PKT0_S9_ifPKiSB_iPKfiiiSD_SD_iiiii,comdat
.Lfunc_end43:
	.size	_ZN4vllm25paged_attention_v2_kernelIffLi192ELi16ELi128ELNS_18Fp8KVCacheDataTypeE0ELb0ELi512EEEvPfS2_PT_PKS3_PKT0_S9_ifPKiSB_iPKfiiiSD_SD_iiiii, .Lfunc_end43-_ZN4vllm25paged_attention_v2_kernelIffLi192ELi16ELi128ELNS_18Fp8KVCacheDataTypeE0ELb0ELi512EEEvPfS2_PT_PKS3_PKT0_S9_ifPKiSB_iPKfiiiSD_SD_iiiii
                                        ; -- End function
	.section	.AMDGPU.csdata,"",@progbits
; Kernel info:
; codeLenInByte = 10936
; NumSgprs: 40
; NumVgprs: 174
; ScratchSize: 0
; MemoryBound: 0
; FloatMode: 240
; IeeeMode: 1
; LDSByteSize: 800 bytes/workgroup (compile time only)
; SGPRBlocks: 4
; VGPRBlocks: 21
; NumSGPRsForWavesPerEU: 40
; NumVGPRsForWavesPerEU: 174
; Occupancy: 8
; WaveLimiterHint : 1
; COMPUTE_PGM_RSRC2:SCRATCH_EN: 0
; COMPUTE_PGM_RSRC2:USER_SGPR: 13
; COMPUTE_PGM_RSRC2:TRAP_HANDLER: 0
; COMPUTE_PGM_RSRC2:TGID_X_EN: 1
; COMPUTE_PGM_RSRC2:TGID_Y_EN: 1
; COMPUTE_PGM_RSRC2:TGID_Z_EN: 1
; COMPUTE_PGM_RSRC2:TIDIG_COMP_CNT: 0
	.section	.text._ZN4vllm25paged_attention_v2_kernelIffLi256ELi16ELi128ELNS_18Fp8KVCacheDataTypeE0ELb0ELi512EEEvPfS2_PT_PKS3_PKT0_S9_ifPKiSB_iPKfiiiSD_SD_iiiii,"axG",@progbits,_ZN4vllm25paged_attention_v2_kernelIffLi256ELi16ELi128ELNS_18Fp8KVCacheDataTypeE0ELb0ELi512EEEvPfS2_PT_PKS3_PKT0_S9_ifPKiSB_iPKfiiiSD_SD_iiiii,comdat
	.protected	_ZN4vllm25paged_attention_v2_kernelIffLi256ELi16ELi128ELNS_18Fp8KVCacheDataTypeE0ELb0ELi512EEEvPfS2_PT_PKS3_PKT0_S9_ifPKiSB_iPKfiiiSD_SD_iiiii ; -- Begin function _ZN4vllm25paged_attention_v2_kernelIffLi256ELi16ELi128ELNS_18Fp8KVCacheDataTypeE0ELb0ELi512EEEvPfS2_PT_PKS3_PKT0_S9_ifPKiSB_iPKfiiiSD_SD_iiiii
	.globl	_ZN4vllm25paged_attention_v2_kernelIffLi256ELi16ELi128ELNS_18Fp8KVCacheDataTypeE0ELb0ELi512EEEvPfS2_PT_PKS3_PKT0_S9_ifPKiSB_iPKfiiiSD_SD_iiiii
	.p2align	8
	.type	_ZN4vllm25paged_attention_v2_kernelIffLi256ELi16ELi128ELNS_18Fp8KVCacheDataTypeE0ELb0ELi512EEEvPfS2_PT_PKS3_PKT0_S9_ifPKiSB_iPKfiiiSD_SD_iiiii,@function
_ZN4vllm25paged_attention_v2_kernelIffLi256ELi16ELi128ELNS_18Fp8KVCacheDataTypeE0ELb0ELi512EEEvPfS2_PT_PKS3_PKT0_S9_ifPKiSB_iPKfiiiSD_SD_iiiii: ; @_ZN4vllm25paged_attention_v2_kernelIffLi256ELi16ELi128ELNS_18Fp8KVCacheDataTypeE0ELb0ELi512EEEvPfS2_PT_PKS3_PKT0_S9_ifPKiSB_iPKfiiiSD_SD_iiiii
; %bb.0:
	s_load_b64 s[2:3], s[0:1], 0x40
	s_mov_b32 s12, s15
	s_ashr_i32 s15, s14, 31
	s_delay_alu instid0(SALU_CYCLE_1)
	s_lshl_b64 s[4:5], s[14:15], 2
	s_waitcnt lgkmcnt(0)
	s_add_u32 s2, s2, s4
	s_addc_u32 s3, s3, s5
	s_lshl_b32 s33, s12, 9
	s_load_b32 s15, s[2:3], 0x0
	s_waitcnt lgkmcnt(0)
	s_cmp_ge_i32 s33, s15
	s_cbranch_scc1 .LBB44_174
; %bb.1:
	s_mov_b32 s22, s13
	s_clause 0x1
	s_load_b32 s13, s[0:1], 0x90
	s_load_b64 s[30:31], s[0:1], 0x30
	s_waitcnt lgkmcnt(0)
	s_abs_i32 s5, s13
	s_abs_i32 s2, s30
	s_delay_alu instid0(SALU_CYCLE_1) | instskip(SKIP_1) | instid1(VALU_DEP_1)
	v_cvt_f32_u32_e32 v1, s2
	s_sub_i32 s4, 0, s2
	v_rcp_iflag_f32_e32 v1, v1
	s_waitcnt_depctr 0xfff
	v_mul_f32_e32 v1, 0x4f7ffffe, v1
	s_delay_alu instid0(VALU_DEP_1) | instskip(NEXT) | instid1(VALU_DEP_1)
	v_cvt_u32_f32_e32 v1, v1
	v_readfirstlane_b32 s3, v1
	s_delay_alu instid0(VALU_DEP_1) | instskip(NEXT) | instid1(SALU_CYCLE_1)
	s_mul_i32 s4, s4, s3
	s_mul_hi_u32 s4, s3, s4
	s_delay_alu instid0(SALU_CYCLE_1)
	s_add_i32 s3, s3, s4
	s_xor_b32 s4, s13, s30
	s_mul_hi_u32 s3, s5, s3
	s_ashr_i32 s4, s4, 31
	s_mul_i32 s6, s3, s2
	s_mov_b32 s30, 0
	s_sub_i32 s5, s5, s6
	s_add_i32 s6, s3, 1
	s_sub_i32 s7, s5, s2
	s_cmp_ge_u32 s5, s2
	s_cselect_b32 s3, s6, s3
	s_cselect_b32 s5, s7, s5
	s_add_i32 s6, s3, 1
	s_cmp_ge_u32 s5, s2
	s_cselect_b32 s2, s6, s3
	s_abs_i32 s10, s22
	s_xor_b32 s2, s2, s4
	s_delay_alu instid0(SALU_CYCLE_1) | instskip(SKIP_2) | instid1(SALU_CYCLE_1)
	s_sub_i32 s11, s2, s4
	s_load_b64 s[2:3], s[0:1], 0x50
	s_abs_i32 s8, s11
	v_cvt_f32_u32_e32 v1, s8
	s_sub_i32 s5, 0, s8
	s_delay_alu instid0(VALU_DEP_1) | instskip(SKIP_2) | instid1(VALU_DEP_1)
	v_rcp_iflag_f32_e32 v1, v1
	s_waitcnt_depctr 0xfff
	v_mul_f32_e32 v1, 0x4f7ffffe, v1
	v_cvt_u32_f32_e32 v1, v1
	s_delay_alu instid0(VALU_DEP_1) | instskip(NEXT) | instid1(VALU_DEP_1)
	v_readfirstlane_b32 s4, v1
	s_mul_i32 s5, s5, s4
	s_delay_alu instid0(SALU_CYCLE_1) | instskip(NEXT) | instid1(SALU_CYCLE_1)
	s_mul_hi_u32 s5, s4, s5
	s_add_i32 s4, s4, s5
	s_waitcnt lgkmcnt(0)
	s_cmp_eq_u64 s[2:3], 0
	s_mul_hi_u32 s9, s10, s4
	s_cbranch_scc1 .LBB44_3
; %bb.2:
	s_ashr_i32 s23, s22, 31
	s_delay_alu instid0(SALU_CYCLE_1) | instskip(NEXT) | instid1(SALU_CYCLE_1)
	s_lshl_b64 s[4:5], s[22:23], 2
	s_add_u32 s2, s2, s4
	s_addc_u32 s3, s3, s5
	s_load_b32 s30, s[2:3], 0x0
.LBB44_3:
	s_load_b128 s[4:7], s[0:1], 0x58
	v_and_b32_e32 v49, 1, v0
	v_lshlrev_b32_e32 v1, 3, v0
	v_lshlrev_b32_e32 v135, 2, v0
	s_ashr_i32 s2, s22, 31
	s_ashr_i32 s3, s11, 31
	s_lshl_b32 s16, s22, 8
	s_waitcnt lgkmcnt(0)
	s_mov_b32 s7, exec_lo
	v_cmpx_gt_u32_e32 0x80, v0
	s_cbranch_execz .LBB44_5
; %bb.4:
	s_load_b64 s[18:19], s[0:1], 0x18
	s_mul_i32 s20, s14, s4
	v_and_b32_e32 v4, 0xff8, v135
	s_ashr_i32 s21, s20, 31
	s_delay_alu instid0(SALU_CYCLE_1) | instskip(NEXT) | instid1(VALU_DEP_1)
	s_lshl_b64 s[20:21], s[20:21], 2
	v_lshl_add_u32 v4, v49, 9, v4
	s_waitcnt lgkmcnt(0)
	s_add_u32 s4, s18, s20
	s_addc_u32 s11, s19, s21
	s_ashr_i32 s17, s16, 31
	s_delay_alu instid0(SALU_CYCLE_1) | instskip(NEXT) | instid1(SALU_CYCLE_1)
	s_lshl_b64 s[18:19], s[16:17], 2
	s_add_u32 s18, s4, s18
	s_addc_u32 s19, s11, s19
	global_load_b64 v[2:3], v1, s[18:19]
	s_waitcnt vmcnt(0)
	ds_store_b64 v4, v[2:3]
.LBB44_5:
	s_or_b32 exec_lo, exec_lo, s7
	s_add_i32 s4, s15, 15
	s_lshl_b32 s7, s12, 5
	s_ashr_i32 s11, s4, 31
	s_xor_b32 s2, s2, s3
	s_lshr_b32 s11, s11, 28
	s_add_i32 s3, s7, 32
	s_add_i32 s4, s4, s11
	s_clause 0x1
	s_load_b64 s[20:21], s[0:1], 0x38
	s_load_b32 s11, s[0:1], 0x48
	s_ashr_i32 s23, s4, 4
	s_mul_i32 s4, s9, s8
	s_min_i32 s17, s3, s23
	s_sub_i32 s3, s10, s4
	s_add_i32 s4, s9, 1
	s_sub_i32 s10, s3, s8
	s_cmp_ge_u32 s3, s8
	v_lshrrev_b32_e32 v173, 5, v0
	s_cselect_b32 s4, s4, s9
	s_cselect_b32 s3, s10, s3
	s_add_i32 s9, s4, 1
	s_cmp_ge_u32 s3, s8
	v_or_b32_e32 v133, s7, v173
	s_cselect_b32 s3, s9, s4
	v_mbcnt_lo_u32_b32 v136, -1, 0
	s_xor_b32 s3, s3, s2
	s_mov_b32 s4, exec_lo
	s_sub_i32 s3, s3, s2
	v_cmp_gt_i32_e64 s2, s17, v133
	s_waitcnt lgkmcnt(0)
	s_mul_i32 s24, s14, s11
	s_delay_alu instid0(SALU_CYCLE_1)
	s_ashr_i32 s25, s24, 31
	s_barrier
	buffer_gl0_inv
                                        ; implicit-def: $sgpr28
                                        ; implicit-def: $vgpr137
	v_cmpx_le_i32_e64 s17, v133
	s_xor_b32 s4, exec_lo, s4
; %bb.6:
	v_mbcnt_lo_u32_b32 v136, -1, 0
	v_mov_b32_e32 v137, 32
	s_mov_b32 s28, 0xff7fffff
                                        ; implicit-def: $vgpr1
                                        ; implicit-def: $vgpr49
; %bb.7:
	s_or_saveexec_b32 s34, s4
	s_clause 0x3
	s_load_b128 s[8:11], s[0:1], 0x0
	s_load_b64 s[18:19], s[0:1], 0x10
	s_load_b64 s[26:27], s[0:1], 0x28
	s_load_b32 s4, s[0:1], 0x98
	v_mov_b32_e32 v141, s28
	v_ashrrev_i32_e32 v134, 31, v133
	s_mul_i32 s28, s3, s6
	s_xor_b32 exec_lo, exec_lo, s34
	s_cbranch_execz .LBB44_13
; %bb.8:
	s_load_b64 s[0:1], s[0:1], 0x20
	v_bfe_u32 v129, v0, 1, 4
	v_xor_b32_e32 v34, 1, v136
	s_ashr_i32 s29, s28, 31
	v_dual_mov_b32 v144, v133 :: v_dual_lshlrev_b32 v125, 9, v49
	s_delay_alu instid0(VALU_DEP_3)
	v_lshlrev_b32_e32 v35, 4, v129
	s_lshl_b64 s[36:37], s[28:29], 2
	v_cmp_gt_i32_e32 vcc_lo, 32, v34
	v_and_b32_e32 v33, 8, v1
	ds_load_b128 v[1:4], v125
	ds_load_b128 v[5:8], v125 offset:16
	ds_load_b128 v[9:12], v125 offset:32
	;; [unrolled: 1-line block ×7, first 2 shown]
	v_dual_mov_b32 v137, 32 :: v_dual_lshlrev_b32 v130, 2, v129
	v_dual_cndmask_b32 v50, v136, v34 :: v_dual_lshlrev_b32 v131, 4, v173
	v_mov_b32_e32 v141, 0xff7fffff
	s_delay_alu instid0(VALU_DEP_3) | instskip(SKIP_1) | instid1(VALU_DEP_3)
	v_lshl_or_b32 v132, v173, 6, v130
	s_mov_b32 s35, s5
	v_lshlrev_b32_e32 v140, 2, v50
	v_add3_u32 v142, s33, v131, v129
	s_waitcnt lgkmcnt(0)
	s_add_u32 s0, s0, s36
	s_addc_u32 s1, s1, s37
	v_add_co_u32 v35, s0, s0, v35
	s_delay_alu instid0(VALU_DEP_1) | instskip(SKIP_1) | instid1(VALU_DEP_3)
	v_add_co_ci_u32_e64 v36, null, s1, 0, s0
	v_lshlrev_b64 v[129:130], 2, v[133:134]
	v_add_co_u32 v138, vcc_lo, v35, v33
	s_delay_alu instid0(VALU_DEP_3)
	v_add_co_ci_u32_e32 v139, vcc_lo, 0, v36, vcc_lo
	ds_load_b128 v[33:36], v125 offset:128
	ds_load_b128 v[37:40], v125 offset:144
	;; [unrolled: 1-line block ×4, first 2 shown]
	v_cmp_eq_u32_e32 vcc_lo, 0, v49
	ds_load_b128 v[49:52], v125 offset:192
	ds_load_b128 v[53:56], v125 offset:208
	;; [unrolled: 1-line block ×20, first 2 shown]
	s_lshl_b64 s[36:37], s[24:25], 2
	s_sub_i32 s6, 1, s15
	s_add_u32 s1, s20, s36
	s_addc_u32 s3, s21, s37
	v_add_co_u32 v129, s1, s1, v129
	v_cmp_neq_f32_e64 s0, s30, 0
	v_add_nc_u32_e32 v143, 0x420, v132
	v_add_co_ci_u32_e64 v130, s1, s3, v130, s1
	s_mov_b32 s29, 0
	s_branch .LBB44_10
.LBB44_9:                               ;   in Loop: Header=BB44_10 Depth=1
	s_or_b32 exec_lo, exec_lo, s3
	v_add_nc_u32_e32 v144, 4, v144
	v_add_co_u32 v129, s3, v129, 16
	v_add_nc_u32_e32 v142, 64, v142
	v_add_nc_u32_e32 v143, 0x100, v143
	s_delay_alu instid0(VALU_DEP_4) | instskip(SKIP_1) | instid1(VALU_DEP_2)
	v_cmp_le_i32_e64 s1, s17, v144
	v_add_co_ci_u32_e64 v130, s3, 0, v130, s3
	s_or_b32 s29, s1, s29
	s_delay_alu instid0(SALU_CYCLE_1)
	s_and_not1_b32 exec_lo, exec_lo, s29
	s_cbranch_execz .LBB44_12
.LBB44_10:                              ; =>This Inner Loop Header: Depth=1
	global_load_b32 v145, v[129:130], off
	s_waitcnt vmcnt(0) lgkmcnt(0)
	v_mad_i64_i32 v[131:132], null, v145, s35, 0
	s_delay_alu instid0(VALU_DEP_1) | instskip(NEXT) | instid1(VALU_DEP_1)
	v_lshlrev_b64 v[131:132], 2, v[131:132]
	v_add_co_u32 v131, s1, v138, v131
	s_delay_alu instid0(VALU_DEP_1)
	v_add_co_ci_u32_e64 v132, s1, v139, v132, s1
	s_clause 0xc
	global_load_b64 v[145:146], v[131:132], off offset:256
	global_load_b64 v[147:148], v[131:132], off
	global_load_b64 v[149:150], v[131:132], off offset:512
	global_load_b64 v[151:152], v[131:132], off offset:768
	;; [unrolled: 1-line block ×11, first 2 shown]
	s_waitcnt vmcnt(12)
	v_dual_mul_f32 v145, v3, v145 :: v_dual_mul_f32 v146, v4, v146
	s_waitcnt vmcnt(11)
	s_delay_alu instid0(VALU_DEP_1)
	v_dual_fmac_f32 v145, v1, v147 :: v_dual_fmac_f32 v146, v2, v148
	global_load_b64 v[147:148], v[131:132], off offset:3328
	s_waitcnt vmcnt(11)
	v_dual_fmac_f32 v145, v5, v149 :: v_dual_fmac_f32 v146, v6, v150
	s_clause 0x1
	global_load_b64 v[149:150], v[131:132], off offset:3584
	global_load_b64 v[171:172], v[131:132], off offset:3840
	s_waitcnt vmcnt(12)
	v_dual_fmac_f32 v145, v7, v151 :: v_dual_fmac_f32 v146, v8, v152
	v_add_co_u32 v151, s1, v131, 0x2000
	s_delay_alu instid0(VALU_DEP_1) | instskip(SKIP_1) | instid1(VALU_DEP_3)
	v_add_co_ci_u32_e64 v152, s1, 0, v132, s1
	s_waitcnt vmcnt(11)
	v_dual_fmac_f32 v145, v9, v153 :: v_dual_fmac_f32 v146, v10, v154
	v_add_co_u32 v153, s1, 0x1000, v131
	s_delay_alu instid0(VALU_DEP_1) | instskip(SKIP_1) | instid1(VALU_DEP_3)
	v_add_co_ci_u32_e64 v154, s1, 0, v132, s1
	s_waitcnt vmcnt(10)
	v_dual_fmac_f32 v145, v11, v155 :: v_dual_fmac_f32 v146, v12, v156
	global_load_b64 v[155:156], v[151:152], off offset:-4096
	s_waitcnt vmcnt(10)
	v_dual_fmac_f32 v145, v13, v157 :: v_dual_fmac_f32 v146, v14, v158
	global_load_b64 v[157:158], v[153:154], off offset:256
	s_waitcnt vmcnt(10)
	v_dual_fmac_f32 v145, v15, v159 :: v_dual_fmac_f32 v146, v16, v160
	global_load_b64 v[159:160], v[153:154], off offset:512
	;; [unrolled: 3-line block ×5, first 2 shown]
	s_waitcnt vmcnt(10)
	v_dual_fmac_f32 v145, v23, v167 :: v_dual_fmac_f32 v146, v24, v168
	s_waitcnt vmcnt(9)
	s_delay_alu instid0(VALU_DEP_1) | instskip(SKIP_1) | instid1(VALU_DEP_1)
	v_dual_fmac_f32 v145, v25, v169 :: v_dual_fmac_f32 v146, v26, v170
	s_waitcnt vmcnt(8)
	v_dual_fmac_f32 v145, v27, v147 :: v_dual_fmac_f32 v146, v28, v148
	s_clause 0x2
	global_load_b64 v[147:148], v[153:154], off offset:1536
	global_load_b64 v[167:168], v[153:154], off offset:1792
	;; [unrolled: 1-line block ×3, first 2 shown]
	s_waitcnt vmcnt(10)
	v_dual_fmac_f32 v145, v29, v149 :: v_dual_fmac_f32 v146, v30, v150
	v_add_co_u32 v149, s1, 0x3000, v131
	s_delay_alu instid0(VALU_DEP_1) | instskip(SKIP_1) | instid1(VALU_DEP_3)
	v_add_co_ci_u32_e64 v150, s1, 0, v132, s1
	s_waitcnt vmcnt(9)
	v_dual_fmac_f32 v145, v31, v171 :: v_dual_fmac_f32 v146, v32, v172
	v_add_co_u32 v171, s1, 0x2000, v131
	s_delay_alu instid0(VALU_DEP_1)
	v_add_co_ci_u32_e64 v172, s1, 0, v132, s1
	s_clause 0x1
	global_load_b64 v[151:152], v[151:152], off
	global_load_b64 v[131:132], v[149:150], off offset:3840
	s_waitcnt vmcnt(10) lgkmcnt(23)
	v_dual_fmac_f32 v145, v33, v155 :: v_dual_fmac_f32 v146, v34, v156
	global_load_b64 v[155:156], v[153:154], off offset:2304
	s_waitcnt vmcnt(10)
	v_dual_fmac_f32 v145, v35, v157 :: v_dual_fmac_f32 v146, v36, v158
	global_load_b64 v[157:158], v[153:154], off offset:2560
	s_waitcnt vmcnt(10) lgkmcnt(22)
	v_dual_fmac_f32 v145, v37, v159 :: v_dual_fmac_f32 v146, v38, v160
	global_load_b64 v[159:160], v[153:154], off offset:2816
	s_waitcnt vmcnt(10)
	v_dual_fmac_f32 v145, v39, v161 :: v_dual_fmac_f32 v146, v40, v162
	;; [unrolled: 6-line block ×3, first 2 shown]
	s_clause 0x1
	global_load_b64 v[165:166], v[153:154], off offset:3584
	global_load_b64 v[153:154], v[153:154], off offset:3840
	s_waitcnt vmcnt(11) lgkmcnt(20)
	v_dual_fmac_f32 v145, v45, v147 :: v_dual_fmac_f32 v146, v46, v148
	global_load_b64 v[147:148], v[171:172], off offset:256
	s_waitcnt vmcnt(11)
	v_dual_fmac_f32 v145, v47, v167 :: v_dual_fmac_f32 v146, v48, v168
	global_load_b64 v[167:168], v[171:172], off offset:512
	s_waitcnt vmcnt(11) lgkmcnt(19)
	v_dual_fmac_f32 v145, v49, v169 :: v_dual_fmac_f32 v146, v50, v170
	global_load_b64 v[169:170], v[171:172], off offset:768
	s_waitcnt vmcnt(9)
	v_dual_fmac_f32 v145, v51, v155 :: v_dual_fmac_f32 v146, v52, v156
	;; [unrolled: 6-line block ×5, first 2 shown]
	global_load_b64 v[153:154], v[171:172], off offset:2560
	s_waitcnt lgkmcnt(15)
	v_dual_fmac_f32 v145, v65, v151 :: v_dual_fmac_f32 v146, v66, v152
	global_load_b64 v[151:152], v[171:172], off offset:2816
	s_waitcnt vmcnt(10)
	v_dual_fmac_f32 v145, v67, v147 :: v_dual_fmac_f32 v146, v68, v148
	global_load_b64 v[147:148], v[171:172], off offset:3072
	s_waitcnt vmcnt(10) lgkmcnt(14)
	v_dual_fmac_f32 v145, v69, v167 :: v_dual_fmac_f32 v146, v70, v168
	global_load_b64 v[167:168], v[171:172], off offset:3328
	s_waitcnt vmcnt(10)
	v_dual_fmac_f32 v145, v71, v169 :: v_dual_fmac_f32 v146, v72, v170
	s_clause 0x1
	global_load_b64 v[169:170], v[171:172], off offset:3584
	global_load_b64 v[171:172], v[171:172], off offset:3840
	s_waitcnt vmcnt(11) lgkmcnt(13)
	v_dual_fmac_f32 v145, v73, v155 :: v_dual_fmac_f32 v146, v74, v156
	global_load_b64 v[155:156], v[149:150], off
	s_waitcnt vmcnt(11)
	v_dual_fmac_f32 v145, v75, v157 :: v_dual_fmac_f32 v146, v76, v158
	global_load_b64 v[157:158], v[149:150], off offset:256
	s_waitcnt vmcnt(11) lgkmcnt(12)
	v_dual_fmac_f32 v145, v77, v159 :: v_dual_fmac_f32 v146, v78, v160
	global_load_b64 v[159:160], v[149:150], off offset:512
	s_waitcnt vmcnt(11)
	v_dual_fmac_f32 v145, v79, v161 :: v_dual_fmac_f32 v146, v80, v162
	global_load_b64 v[161:162], v[149:150], off offset:768
	s_waitcnt vmcnt(11) lgkmcnt(11)
	v_dual_fmac_f32 v145, v81, v163 :: v_dual_fmac_f32 v146, v82, v164
	global_load_b64 v[163:164], v[149:150], off offset:1024
	;; [unrolled: 6-line block ×6, first 2 shown]
	s_waitcnt vmcnt(11)
	v_dual_fmac_f32 v145, v99, v157 :: v_dual_fmac_f32 v146, v100, v158
	s_clause 0x1
	global_load_b64 v[157:158], v[149:150], off offset:3328
	global_load_b64 v[149:150], v[149:150], off offset:3584
	s_waitcnt vmcnt(12) lgkmcnt(6)
	v_dual_fmac_f32 v145, v101, v159 :: v_dual_fmac_f32 v146, v102, v160
	s_waitcnt vmcnt(11)
	s_delay_alu instid0(VALU_DEP_1) | instskip(SKIP_1) | instid1(VALU_DEP_1)
	v_dual_fmac_f32 v145, v103, v161 :: v_dual_fmac_f32 v146, v104, v162
	s_waitcnt vmcnt(10) lgkmcnt(5)
	v_dual_fmac_f32 v145, v105, v163 :: v_dual_fmac_f32 v146, v106, v164
	s_waitcnt vmcnt(9)
	s_delay_alu instid0(VALU_DEP_1) | instskip(SKIP_1) | instid1(VALU_DEP_1)
	v_dual_fmac_f32 v145, v107, v165 :: v_dual_fmac_f32 v146, v108, v166
	;; [unrolled: 5-line block ×6, first 2 shown]
	s_waitcnt vmcnt(0) lgkmcnt(0)
	v_dual_fmac_f32 v145, v125, v149 :: v_dual_fmac_f32 v146, v126, v150
	s_delay_alu instid0(VALU_DEP_1) | instskip(NEXT) | instid1(VALU_DEP_1)
	v_dual_fmac_f32 v145, v127, v131 :: v_dual_fmac_f32 v146, v128, v132
	v_add_f32_e32 v131, v145, v146
	ds_bpermute_b32 v132, v140, v131
	s_and_saveexec_b32 s3, vcc_lo
	s_cbranch_execz .LBB44_9
; %bb.11:                               ;   in Loop: Header=BB44_10 Depth=1
	s_waitcnt lgkmcnt(0)
	v_add_f32_e32 v131, v131, v132
	v_add_nc_u32_e32 v145, s6, v142
	v_cmp_gt_i32_e64 s1, s15, v142
	s_delay_alu instid0(VALU_DEP_2) | instskip(NEXT) | instid1(VALU_DEP_1)
	v_cvt_f32_i32_e32 v145, v145
	v_mul_f32_e32 v145, s30, v145
	s_delay_alu instid0(VALU_DEP_1) | instskip(NEXT) | instid1(VALU_DEP_1)
	v_cndmask_b32_e64 v132, 0, v145, s0
	v_dual_max_f32 v145, v141, v141 :: v_dual_fmac_f32 v132, s31, v131
	s_delay_alu instid0(VALU_DEP_1) | instskip(SKIP_1) | instid1(VALU_DEP_2)
	v_max_f32_e32 v131, v145, v132
	v_cndmask_b32_e64 v132, 0, v132, s1
	v_cndmask_b32_e64 v141, v141, v131, s1
	ds_store_b32 v143, v132
	s_branch .LBB44_9
.LBB44_12:
	s_or_b32 exec_lo, exec_lo, s29
.LBB44_13:
	s_delay_alu instid0(SALU_CYCLE_1)
	s_or_b32 exec_lo, exec_lo, s34
	v_xor_b32_e32 v1, 16, v136
	v_xor_b32_e32 v3, 8, v136
	v_xor_b32_e32 v5, 4, v136
	v_xor_b32_e32 v6, 2, v136
	v_and_b32_e32 v58, 31, v0
	v_cmp_lt_i32_e32 vcc_lo, v1, v137
	v_cndmask_b32_e32 v1, v136, v1, vcc_lo
	v_cmp_lt_i32_e32 vcc_lo, v3, v137
	v_dual_max_f32 v4, v141, v141 :: v_dual_cndmask_b32 v3, v136, v3
	v_cmp_lt_i32_e32 vcc_lo, v5, v137
	s_delay_alu instid0(VALU_DEP_2) | instskip(SKIP_2) | instid1(VALU_DEP_2)
	v_lshlrev_b32_e32 v3, 2, v3
	v_cndmask_b32_e32 v5, v136, v5, vcc_lo
	v_cmp_lt_i32_e32 vcc_lo, v6, v137
	v_dual_cndmask_b32 v6, v136, v6 :: v_dual_lshlrev_b32 v5, 2, v5
	v_cmp_eq_u32_e32 vcc_lo, 0, v58
	s_delay_alu instid0(VALU_DEP_2)
	v_lshlrev_b32_e32 v138, 2, v6
	v_lshlrev_b32_e32 v2, 2, v1
	;; [unrolled: 1-line block ×3, first 2 shown]
	ds_bpermute_b32 v1, v2, v141
	s_waitcnt lgkmcnt(0)
	v_max_f32_e32 v1, v1, v1
	s_delay_alu instid0(VALU_DEP_1) | instskip(SKIP_3) | instid1(VALU_DEP_1)
	v_max_f32_e32 v1, v4, v1
	ds_bpermute_b32 v4, v3, v1
	s_waitcnt lgkmcnt(0)
	v_max_f32_e32 v4, v4, v4
	v_max_f32_e32 v1, v1, v4
	ds_bpermute_b32 v4, v5, v1
	s_waitcnt lgkmcnt(0)
	v_max_f32_e32 v4, v4, v4
	s_delay_alu instid0(VALU_DEP_1)
	v_max_f32_e32 v1, v1, v4
	ds_bpermute_b32 v4, v138, v1
	s_and_saveexec_b32 s0, vcc_lo
	s_cbranch_execz .LBB44_15
; %bb.14:
	s_waitcnt lgkmcnt(0)
	v_dual_max_f32 v4, v4, v4 :: v_dual_max_f32 v1, v1, v1
	s_delay_alu instid0(VALU_DEP_1)
	v_max_f32_e32 v1, v1, v4
	ds_store_b32 v6, v1 offset:1024
.LBB44_15:
	s_or_b32 exec_lo, exec_lo, s0
	v_cmp_gt_u32_e64 s0, 4, v58
	v_mov_b32_e32 v1, 0xff7fffff
	v_lshlrev_b32_e32 v7, 2, v58
	s_waitcnt lgkmcnt(0)
	s_barrier
	buffer_gl0_inv
	s_and_saveexec_b32 s1, s0
	s_cbranch_execz .LBB44_17
; %bb.16:
	ds_load_b32 v1, v7 offset:1024
.LBB44_17:
	s_or_b32 exec_lo, exec_lo, s1
	s_waitcnt lgkmcnt(0)
	ds_bpermute_b32 v4, v138, v1
	v_xor_b32_e32 v8, 1, v136
	v_max_f32_e32 v1, v1, v1
	v_mov_b32_e32 v9, 0
	s_delay_alu instid0(VALU_DEP_3) | instskip(NEXT) | instid1(VALU_DEP_1)
	v_cmp_lt_i32_e64 s1, v8, v137
	v_cndmask_b32_e64 v8, v136, v8, s1
	s_sub_i32 s1, s17, s7
	s_delay_alu instid0(SALU_CYCLE_1) | instskip(NEXT) | instid1(VALU_DEP_1)
	s_lshl_b32 s1, s1, 4
	v_lshlrev_b32_e32 v139, 2, v8
	v_lshlrev_b32_e32 v8, 2, v136
	s_add_i32 s1, s1, s33
	s_waitcnt lgkmcnt(0)
	v_max_f32_e32 v4, v4, v4
	s_min_i32 s1, s1, s15
	v_and_b32_e32 v8, 0xffffff80, v8
	s_sub_i32 s6, s1, s33
	s_delay_alu instid0(VALU_DEP_2) | instskip(SKIP_4) | instid1(VALU_DEP_1)
	v_max_f32_e32 v1, v1, v4
	v_cmp_gt_i32_e64 s1, s6, v0
	ds_bpermute_b32 v4, v139, v1
	s_waitcnt lgkmcnt(0)
	v_max_f32_e32 v4, v4, v4
	v_max_f32_e32 v1, v1, v4
	v_lshl_add_u32 v4, v0, 2, 0x420
	ds_bpermute_b32 v1, v8, v1
	s_and_saveexec_b32 s7, s1
	s_cbranch_execz .LBB44_21
; %bb.18:
	v_lshl_add_u32 v10, v0, 2, 0x420
	v_mov_b32_e32 v9, 0
	v_mov_b32_e32 v11, v0
	s_mov_b32 s29, 0
	.p2align	6
.LBB44_19:                              ; =>This Inner Loop Header: Depth=1
	ds_load_b32 v12, v10
	v_add_nc_u32_e32 v11, 0x80, v11
	s_delay_alu instid0(VALU_DEP_1) | instskip(NEXT) | instid1(VALU_DEP_1)
	v_cmp_le_i32_e64 s3, s6, v11
	s_or_b32 s29, s3, s29
	s_waitcnt lgkmcnt(0)
	v_sub_f32_e32 v12, v12, v1
	s_delay_alu instid0(VALU_DEP_1) | instskip(NEXT) | instid1(VALU_DEP_1)
	v_mul_f32_e32 v12, 0x3fb8aa3b, v12
	v_exp_f32_e32 v12, v12
	ds_store_b32 v10, v12
	v_dual_add_f32 v9, v9, v12 :: v_dual_add_nc_u32 v10, 0x200, v10
	s_and_not1_b32 exec_lo, exec_lo, s29
	s_cbranch_execnz .LBB44_19
; %bb.20:
	s_or_b32 exec_lo, exec_lo, s29
.LBB44_21:
	s_delay_alu instid0(SALU_CYCLE_1)
	s_or_b32 exec_lo, exec_lo, s7
	ds_bpermute_b32 v2, v2, v9
	s_waitcnt lgkmcnt(0)
	v_add_f32_e32 v2, v9, v2
	ds_bpermute_b32 v3, v3, v2
	s_waitcnt lgkmcnt(0)
	v_add_f32_e32 v2, v2, v3
	;; [unrolled: 3-line block ×5, first 2 shown]
	s_and_saveexec_b32 s3, vcc_lo
	s_cbranch_execz .LBB44_23
; %bb.22:
	ds_store_b32 v6, v2 offset:1040
.LBB44_23:
	s_or_b32 exec_lo, exec_lo, s3
	s_waitcnt lgkmcnt(0)
	s_barrier
	buffer_gl0_inv
	s_and_saveexec_b32 s3, s0
	s_cbranch_execz .LBB44_25
; %bb.24:
	ds_load_b32 v2, v7 offset:1040
.LBB44_25:
	s_or_b32 exec_lo, exec_lo, s3
	s_waitcnt lgkmcnt(0)
	ds_bpermute_b32 v3, v138, v2
	s_waitcnt lgkmcnt(0)
	v_add_f32_e32 v2, v2, v3
	ds_bpermute_b32 v3, v139, v2
	s_waitcnt lgkmcnt(0)
	v_add_f32_e32 v2, v2, v3
	ds_bpermute_b32 v2, v8, v2
	s_and_saveexec_b32 s0, s1
	s_cbranch_execz .LBB44_28
; %bb.26:
	s_waitcnt lgkmcnt(0)
	v_add_f32_e32 v3, 0x358637bd, v2
	s_mov_b32 s1, 0
	s_delay_alu instid0(VALU_DEP_1) | instskip(SKIP_1) | instid1(VALU_DEP_2)
	v_div_scale_f32 v5, null, v3, v3, 1.0
	v_div_scale_f32 v8, vcc_lo, 1.0, v3, 1.0
	v_rcp_f32_e32 v6, v5
	s_waitcnt_depctr 0xfff
	v_fma_f32 v7, -v5, v6, 1.0
	s_delay_alu instid0(VALU_DEP_1) | instskip(NEXT) | instid1(VALU_DEP_1)
	v_fmac_f32_e32 v6, v7, v6
	v_mul_f32_e32 v7, v8, v6
	s_delay_alu instid0(VALU_DEP_1) | instskip(NEXT) | instid1(VALU_DEP_1)
	v_fma_f32 v9, -v5, v7, v8
	v_fmac_f32_e32 v7, v9, v6
	s_delay_alu instid0(VALU_DEP_1) | instskip(NEXT) | instid1(VALU_DEP_1)
	v_fma_f32 v5, -v5, v7, v8
	v_div_fmas_f32 v5, v5, v6, v7
	s_delay_alu instid0(VALU_DEP_1)
	v_div_fixup_f32 v3, v5, v3, 1.0
	v_mov_b32_e32 v5, v0
.LBB44_27:                              ; =>This Inner Loop Header: Depth=1
	ds_load_b32 v6, v4
	s_waitcnt lgkmcnt(0)
	v_dual_mul_f32 v6, v3, v6 :: v_dual_add_nc_u32 v5, 0x80, v5
	s_delay_alu instid0(VALU_DEP_1) | instskip(SKIP_3) | instid1(SALU_CYCLE_1)
	v_cmp_le_i32_e32 vcc_lo, s6, v5
	ds_store_b32 v4, v6
	v_add_nc_u32_e32 v4, 0x200, v4
	s_or_b32 s1, vcc_lo, s1
	s_and_not1_b32 exec_lo, exec_lo, s1
	s_cbranch_execnz .LBB44_27
.LBB44_28:
	s_or_b32 exec_lo, exec_lo, s0
	s_mul_i32 s0, s4, s14
	s_waitcnt lgkmcnt(0)
	s_mul_i32 s6, s0, s13
	s_mov_b32 s0, exec_lo
	s_barrier
	buffer_gl0_inv
	v_cmpx_eq_u32_e32 0, v0
	s_cbranch_execz .LBB44_30
; %bb.29:
	s_ashr_i32 s7, s6, 31
	s_mul_i32 s34, s4, s22
	s_lshl_b64 s[30:31], s[6:7], 2
	v_mov_b32_e32 v3, 0
	s_add_u32 s1, s10, s30
	s_addc_u32 s3, s11, s31
	s_ashr_i32 s35, s34, 31
	s_delay_alu instid0(SALU_CYCLE_1) | instskip(NEXT) | instid1(SALU_CYCLE_1)
	s_lshl_b64 s[10:11], s[34:35], 2
	s_add_u32 s1, s1, s10
	s_addc_u32 s3, s3, s11
	s_ashr_i32 s13, s12, 31
	s_delay_alu instid0(SALU_CYCLE_1) | instskip(NEXT) | instid1(SALU_CYCLE_1)
	s_lshl_b64 s[34:35], s[12:13], 2
	s_add_u32 s36, s1, s34
	s_addc_u32 s37, s3, s35
	s_add_u32 s1, s8, s30
	s_addc_u32 s3, s9, s31
	;; [unrolled: 2-line block ×4, first 2 shown]
	s_clause 0x1
	global_store_b32 v3, v1, s[36:37]
	global_store_b32 v3, v2, s[8:9]
.LBB44_30:
	s_or_b32 exec_lo, exec_lo, s0
	v_dual_mov_b32 v170, 0 :: v_dual_and_b32 v59, 3, v0
	v_dual_mov_b32 v172, 0 :: v_dual_mov_b32 v171, 0
	v_dual_mov_b32 v169, 0 :: v_dual_mov_b32 v168, 0
	;; [unrolled: 1-line block ×15, first 2 shown]
	v_mov_b32_e32 v141, 0
	s_and_saveexec_b32 s1, s2
	s_cbranch_execz .LBB44_98
; %bb.31:
	v_dual_mov_b32 v142, 0 :: v_dual_and_b32 v1, 12, v135
	v_dual_mov_b32 v141, 0 :: v_dual_lshlrev_b32 v2, 4, v59
	v_lshl_add_u32 v25, v173, 4, s33
	s_ashr_i32 s29, s28, 31
	v_dual_mov_b32 v144, 0 :: v_dual_and_b32 v3, 0x7c, v135
	s_lshl_b64 s[2:3], s[28:29], 2
	v_lshl_or_b32 v28, v173, 6, v2
	v_add3_u32 v173, v25, v1, 3
	v_lshlrev_b64 v[1:2], 2, v[133:134]
	s_add_u32 s2, s26, s2
	s_addc_u32 s3, s27, s3
	s_lshl_b64 s[8:9], s[24:25], 2
	s_add_i32 s7, s23, -1
	s_add_u32 s0, s20, s8
	v_or_b32_e32 v4, 0x400, v3
	v_add_co_u32 v134, vcc_lo, s0, v1
	v_dual_mov_b32 v146, 0 :: v_dual_lshlrev_b32 v1, 2, v3
	v_or_b32_e32 v5, 0x480, v3
	v_or_b32_e32 v6, 0x500, v3
	v_mov_b32_e32 v148, 0
	scratch_store_b32 off, v1, off          ; 4-byte Folded Spill
	v_lshlrev_b32_e32 v1, 2, v4
	v_or_b32_e32 v7, 0x580, v3
	v_mov_b32_e32 v150, 0
	v_or_b32_e32 v8, 0x600, v3
	v_mov_b32_e32 v152, 0
	scratch_store_b32 off, v1, off offset:4 ; 4-byte Folded Spill
	v_lshlrev_b32_e32 v1, 2, v5
	v_or_b32_e32 v9, 0x680, v3
	v_mov_b32_e32 v154, 0
	v_or_b32_e32 v10, 0x700, v3
	v_or_b32_e32 v11, 0x780, v3
	scratch_store_b32 off, v1, off offset:8 ; 4-byte Folded Spill
	v_lshlrev_b32_e32 v1, 2, v6
	v_or_b32_e32 v12, 0x800, v3
	v_or_b32_e32 v13, 0x880, v3
	;; [unrolled: 1-line block ×4, first 2 shown]
	scratch_store_b32 off, v1, off offset:12 ; 4-byte Folded Spill
	v_lshlrev_b32_e32 v1, 2, v7
	v_or_b32_e32 v16, 0xa00, v3
	v_or_b32_e32 v17, 0xa80, v3
	;; [unrolled: 1-line block ×4, first 2 shown]
	scratch_store_b32 off, v1, off offset:16 ; 4-byte Folded Spill
	v_dual_mov_b32 v156, 0 :: v_dual_lshlrev_b32 v1, 2, v8
	v_or_b32_e32 v20, 0xc00, v3
	v_or_b32_e32 v21, 0xc80, v3
	;; [unrolled: 1-line block ×8, first 2 shown]
	scratch_store_b32 off, v1, off offset:20 ; 4-byte Folded Spill
	v_dual_mov_b32 v158, 0 :: v_dual_lshlrev_b32 v1, 2, v9
	s_addc_u32 s8, s21, s9
	v_dual_mov_b32 v143, 0 :: v_dual_add_nc_u32 v174, 0x420, v28
	v_add_co_ci_u32_e32 v135, vcc_lo, s8, v2, vcc_lo
	scratch_store_b32 off, v1, off offset:24 ; 4-byte Folded Spill
	v_dual_mov_b32 v160, 0 :: v_dual_lshlrev_b32 v1, 2, v10
	v_dual_mov_b32 v162, 0 :: v_dual_lshlrev_b32 v183, 2, v11
	;; [unrolled: 1-line block ×13, first 2 shown]
	v_lshlrev_b32_e32 v175, 2, v23
	v_dual_mov_b32 v157, 0 :: v_dual_lshlrev_b32 v176, 2, v24
	v_lshlrev_b32_e32 v177, 2, v26
	v_dual_mov_b32 v159, 0 :: v_dual_lshlrev_b32 v178, 2, v27
	v_lshlrev_b32_e32 v179, 2, v29
	v_mov_b32_e32 v161, 0
	v_mov_b32_e32 v163, 0
	;; [unrolled: 1-line block ×6, first 2 shown]
	s_mov_b32 s8, s5
	s_mov_b32 s5, 0
	scratch_store_b32 off, v1, off offset:28 ; 4-byte Folded Spill
	s_branch .LBB44_33
.LBB44_32:                              ;   in Loop: Header=BB44_33 Depth=1
	s_or_b32 exec_lo, exec_lo, s0
	s_waitcnt vmcnt(10) lgkmcnt(0)
	v_mul_f32_e32 v90, v2, v90
	s_waitcnt vmcnt(8)
	v_mul_f32_e32 v102, v2, v102
	v_mul_f32_e32 v82, v2, v82
	;; [unrolled: 1-line block ×3, first 2 shown]
	s_waitcnt vmcnt(2)
	v_mul_f32_e32 v126, v2, v126
	v_fmac_f32_e32 v90, v1, v89
	v_fmac_f32_e32 v102, v1, v101
	;; [unrolled: 1-line block ×3, first 2 shown]
	v_mul_f32_e32 v74, v2, v74
	v_mul_f32_e32 v50, v2, v50
	v_fmac_f32_e32 v90, v3, v91
	v_fmac_f32_e32 v42, v1, v41
	v_mul_f32_e32 v34, v2, v34
	v_mul_f32_e32 v26, v2, v26
	s_waitcnt vmcnt(1)
	v_dual_mul_f32 v130, v2, v130 :: v_dual_add_nc_u32 v133, 4, v133
	v_mul_f32_e32 v122, v2, v122
	v_mul_f32_e32 v118, v2, v118
	;; [unrolled: 1-line block ×5, first 2 shown]
	v_fmac_f32_e32 v102, v3, v103
	v_mul_f32_e32 v98, v2, v98
	v_fmac_f32_e32 v90, v4, v92
	v_fmac_f32_e32 v126, v1, v125
	v_mul_f32_e32 v86, v2, v86
	v_fmac_f32_e32 v82, v3, v83
	v_mul_f32_e32 v78, v2, v78
	v_dual_add_f32 v151, v151, v90 :: v_dual_fmac_f32 v74, v1, v73
	v_mul_f32_e32 v70, v2, v70
	v_mul_f32_e32 v66, v2, v66
	;; [unrolled: 1-line block ×5, first 2 shown]
	v_fmac_f32_e32 v50, v1, v49
	v_mul_f32_e32 v46, v2, v46
	v_fmac_f32_e32 v42, v3, v43
	v_mul_f32_e32 v38, v2, v38
	;; [unrolled: 2-line block ×4, first 2 shown]
	v_mul_f32_e32 v18, v2, v18
	v_mul_f32_e32 v14, v2, v14
	;; [unrolled: 1-line block ×4, first 2 shown]
	s_waitcnt vmcnt(0)
	v_mul_f32_e32 v2, v2, v94
	v_fmac_f32_e32 v102, v4, v104
	v_fmac_f32_e32 v126, v3, v127
	;; [unrolled: 1-line block ×5, first 2 shown]
	v_dual_add_f32 v149, v149, v102 :: v_dual_fmac_f32 v50, v3, v51
	v_fmac_f32_e32 v42, v4, v44
	v_fmac_f32_e32 v118, v1, v117
	;; [unrolled: 1-line block ×4, first 2 shown]
	s_delay_alu instid0(VALU_DEP_4) | instskip(SKIP_4) | instid1(VALU_DEP_3)
	v_dual_fmac_f32 v18, v1, v17 :: v_dual_add_f32 v163, v163, v42
	v_fmac_f32_e32 v2, v1, v93
	v_dual_fmac_f32 v126, v4, v128 :: v_dual_add_f32 v153, v153, v82
	v_fmac_f32_e32 v130, v1, v129
	v_fmac_f32_e32 v110, v1, v109
	v_dual_fmac_f32 v106, v1, v105 :: v_dual_add_f32 v143, v143, v126
	v_fmac_f32_e32 v98, v1, v97
	v_fmac_f32_e32 v86, v1, v85
	;; [unrolled: 1-line block ×7, first 2 shown]
	s_delay_alu instid0(VALU_DEP_4)
	v_dual_fmac_f32 v62, v1, v61 :: v_dual_add_f32 v155, v155, v74
	v_fmac_f32_e32 v58, v1, v57
	v_fmac_f32_e32 v54, v1, v53
	;; [unrolled: 1-line block ×6, first 2 shown]
	s_delay_alu instid0(VALU_DEP_4)
	v_dual_fmac_f32 v34, v4, v36 :: v_dual_add_f32 v161, v161, v50
	v_fmac_f32_e32 v30, v1, v29
	v_fmac_f32_e32 v26, v4, v28
	;; [unrolled: 1-line block ×5, first 2 shown]
	s_delay_alu instid0(VALU_DEP_4)
	v_dual_fmac_f32 v14, v1, v13 :: v_dual_add_f32 v167, v167, v26
	v_fmac_f32_e32 v10, v1, v9
	v_fmac_f32_e32 v6, v1, v5
	;; [unrolled: 1-line block ×3, first 2 shown]
	v_dual_fmac_f32 v118, v4, v120 :: v_dual_add_f32 v165, v165, v34
	v_fmac_f32_e32 v130, v3, v131
	v_fmac_f32_e32 v106, v3, v107
	s_delay_alu instid0(VALU_DEP_3)
	v_dual_fmac_f32 v98, v3, v99 :: v_dual_add_f32 v145, v145, v118
	v_fmac_f32_e32 v86, v3, v87
	v_fmac_f32_e32 v78, v3, v79
	v_fmac_f32_e32 v70, v3, v71
	v_fmac_f32_e32 v66, v4, v68
	v_fmac_f32_e32 v122, v3, v123
	v_fmac_f32_e32 v62, v3, v63
	v_fmac_f32_e32 v58, v3, v59
	s_delay_alu instid0(VALU_DEP_4)
	v_dual_fmac_f32 v54, v3, v55 :: v_dual_add_f32 v157, v157, v66
	v_fmac_f32_e32 v46, v3, v47
	v_fmac_f32_e32 v38, v3, v39
	;; [unrolled: 1-line block ×8, first 2 shown]
	s_delay_alu instid0(VALU_DEP_4) | instskip(SKIP_4) | instid1(VALU_DEP_4)
	v_dual_fmac_f32 v6, v3, v7 :: v_dual_add_f32 v169, v169, v18
	v_fmac_f32_e32 v2, v4, v96
	v_fmac_f32_e32 v110, v3, v111
	;; [unrolled: 1-line block ×4, first 2 shown]
	v_dual_fmac_f32 v86, v4, v88 :: v_dual_add_f32 v141, v141, v2
	s_delay_alu instid0(VALU_DEP_4) | instskip(SKIP_3) | instid1(VALU_DEP_4)
	v_fmac_f32_e32 v110, v4, v112
	v_fmac_f32_e32 v130, v4, v132
	;; [unrolled: 1-line block ×4, first 2 shown]
	v_dual_fmac_f32 v62, v4, v64 :: v_dual_add_f32 v147, v147, v110
	v_fmac_f32_e32 v58, v4, v60
	v_fmac_f32_e32 v122, v4, v124
	;; [unrolled: 1-line block ×4, first 2 shown]
	s_delay_alu instid0(VALU_DEP_4)
	v_dual_fmac_f32 v38, v4, v40 :: v_dual_add_f32 v159, v159, v58
	v_fmac_f32_e32 v30, v4, v32
	v_fmac_f32_e32 v22, v4, v24
	;; [unrolled: 1-line block ×6, first 2 shown]
	v_add_co_u32 v134, vcc_lo, v134, 16
	v_add_f32_e32 v171, v171, v14
	v_add_co_ci_u32_e32 v135, vcc_lo, 0, v135, vcc_lo
	v_cmp_le_i32_e32 vcc_lo, s17, v133
	v_dual_add_f32 v142, v142, v130 :: v_dual_add_nc_u32 v173, 64, v173
	v_add_f32_e32 v144, v144, v122
	v_add_f32_e32 v146, v146, v114
	v_add_f32_e32 v148, v148, v106
	v_add_f32_e32 v150, v150, v98
	v_add_f32_e32 v152, v152, v86
	v_add_f32_e32 v154, v154, v78
	v_add_f32_e32 v156, v156, v70
	v_add_f32_e32 v158, v158, v62
	v_add_f32_e32 v160, v160, v54
	v_add_f32_e32 v162, v162, v46
	v_add_f32_e32 v164, v164, v38
	v_add_f32_e32 v166, v166, v30
	v_add_f32_e32 v168, v168, v22
	v_add_f32_e32 v172, v172, v10
	v_add_f32_e32 v170, v170, v6
	v_add_nc_u32_e32 v174, 0x100, v174
	s_or_b32 s5, vcc_lo, s5
	s_delay_alu instid0(SALU_CYCLE_1)
	s_and_not1_b32 exec_lo, exec_lo, s5
	s_cbranch_execz .LBB44_97
.LBB44_33:                              ; =>This Inner Loop Header: Depth=1
	global_load_b32 v3, v[134:135], off
	v_add_nc_u32_e32 v180, -3, v173
	v_add_nc_u32_e32 v182, -2, v173
	;; [unrolled: 1-line block ×3, first 2 shown]
	s_waitcnt vmcnt(0)
	v_mad_i64_i32 v[1:2], null, v3, s8, 0
	s_delay_alu instid0(VALU_DEP_1) | instskip(NEXT) | instid1(VALU_DEP_1)
	v_lshlrev_b64 v[1:2], 2, v[1:2]
	v_add_co_u32 v93, vcc_lo, s2, v1
	scratch_load_b32 v1, off, off           ; 4-byte Folded Reload
	v_add_co_ci_u32_e32 v94, vcc_lo, s3, v2, vcc_lo
	s_waitcnt vmcnt(0)
	v_add_co_u32 v33, vcc_lo, v93, v1
	s_delay_alu instid0(VALU_DEP_2)
	v_add_co_ci_u32_e32 v34, vcc_lo, 0, v94, vcc_lo
	ds_load_b128 v[1:4], v174
	v_cmp_eq_u32_e32 vcc_lo, s7, v133
	global_load_b128 v[5:8], v[33:34], off
	s_and_saveexec_b32 s9, vcc_lo
	s_cbranch_execnz .LBB44_90
; %bb.34:                               ;   in Loop: Header=BB44_33 Depth=1
	s_or_b32 exec_lo, exec_lo, s9
	global_load_b128 v[9:12], v[33:34], off offset:512
	s_and_saveexec_b32 s9, vcc_lo
	s_cbranch_execnz .LBB44_91
.LBB44_35:                              ;   in Loop: Header=BB44_33 Depth=1
	s_or_b32 exec_lo, exec_lo, s9
	global_load_b128 v[13:16], v[33:34], off offset:1024
	s_and_saveexec_b32 s9, vcc_lo
	s_cbranch_execnz .LBB44_92
.LBB44_36:                              ;   in Loop: Header=BB44_33 Depth=1
	s_or_b32 exec_lo, exec_lo, s9
	global_load_b128 v[17:20], v[33:34], off offset:1536
	s_and_saveexec_b32 s9, vcc_lo
	s_cbranch_execnz .LBB44_93
.LBB44_37:                              ;   in Loop: Header=BB44_33 Depth=1
	s_or_b32 exec_lo, exec_lo, s9
	global_load_b128 v[21:24], v[33:34], off offset:2048
	s_and_saveexec_b32 s9, vcc_lo
	s_cbranch_execnz .LBB44_94
.LBB44_38:                              ;   in Loop: Header=BB44_33 Depth=1
	s_or_b32 exec_lo, exec_lo, s9
	global_load_b128 v[25:28], v[33:34], off offset:2560
	s_and_saveexec_b32 s9, vcc_lo
	s_cbranch_execnz .LBB44_95
.LBB44_39:                              ;   in Loop: Header=BB44_33 Depth=1
	s_or_b32 exec_lo, exec_lo, s9
	global_load_b128 v[29:32], v[33:34], off offset:3072
	s_and_saveexec_b32 s9, vcc_lo
	s_cbranch_execnz .LBB44_96
.LBB44_40:                              ;   in Loop: Header=BB44_33 Depth=1
	s_or_b32 exec_lo, exec_lo, s9
	global_load_b128 v[33:36], v[33:34], off offset:3584
	s_and_saveexec_b32 s9, vcc_lo
	s_cbranch_execz .LBB44_42
.LBB44_41:                              ;   in Loop: Header=BB44_33 Depth=1
	v_cmp_gt_i32_e64 s0, s15, v180
	s_waitcnt vmcnt(0)
	s_delay_alu instid0(VALU_DEP_1) | instskip(SKIP_1) | instid1(VALU_DEP_1)
	v_cndmask_b32_e64 v33, 0, v33, s0
	v_cmp_gt_i32_e64 s0, s15, v182
	v_cndmask_b32_e64 v34, 0, v34, s0
	v_cmp_gt_i32_e64 s0, s15, v181
	s_delay_alu instid0(VALU_DEP_1) | instskip(SKIP_1) | instid1(VALU_DEP_1)
	v_cndmask_b32_e64 v35, 0, v35, s0
	v_cmp_gt_i32_e64 s0, s15, v173
	v_cndmask_b32_e64 v36, 0, v36, s0
.LBB44_42:                              ;   in Loop: Header=BB44_33 Depth=1
	s_or_b32 exec_lo, exec_lo, s9
	scratch_load_b32 v37, off, off offset:4 ; 4-byte Folded Reload
	s_waitcnt vmcnt(0)
	v_add_co_u32 v37, s0, v93, v37
	s_delay_alu instid0(VALU_DEP_1)
	v_add_co_ci_u32_e64 v38, s0, 0, v94, s0
	global_load_b128 v[37:40], v[37:38], off
	s_and_saveexec_b32 s9, vcc_lo
	s_cbranch_execz .LBB44_44
; %bb.43:                               ;   in Loop: Header=BB44_33 Depth=1
	v_cmp_gt_i32_e64 s0, s15, v180
	s_waitcnt vmcnt(0)
	s_delay_alu instid0(VALU_DEP_1) | instskip(SKIP_1) | instid1(VALU_DEP_1)
	v_cndmask_b32_e64 v37, 0, v37, s0
	v_cmp_gt_i32_e64 s0, s15, v182
	v_cndmask_b32_e64 v38, 0, v38, s0
	v_cmp_gt_i32_e64 s0, s15, v181
	s_delay_alu instid0(VALU_DEP_1) | instskip(SKIP_1) | instid1(VALU_DEP_1)
	v_cndmask_b32_e64 v39, 0, v39, s0
	v_cmp_gt_i32_e64 s0, s15, v173
	v_cndmask_b32_e64 v40, 0, v40, s0
.LBB44_44:                              ;   in Loop: Header=BB44_33 Depth=1
	s_or_b32 exec_lo, exec_lo, s9
	scratch_load_b32 v41, off, off offset:8 ; 4-byte Folded Reload
	s_waitcnt vmcnt(0)
	v_add_co_u32 v41, s0, v93, v41
	s_delay_alu instid0(VALU_DEP_1)
	v_add_co_ci_u32_e64 v42, s0, 0, v94, s0
	global_load_b128 v[41:44], v[41:42], off
	s_and_saveexec_b32 s9, vcc_lo
	s_cbranch_execz .LBB44_46
; %bb.45:                               ;   in Loop: Header=BB44_33 Depth=1
	v_cmp_gt_i32_e64 s0, s15, v180
	s_waitcnt vmcnt(0)
	s_delay_alu instid0(VALU_DEP_1) | instskip(SKIP_1) | instid1(VALU_DEP_1)
	v_cndmask_b32_e64 v41, 0, v41, s0
	v_cmp_gt_i32_e64 s0, s15, v182
	v_cndmask_b32_e64 v42, 0, v42, s0
	v_cmp_gt_i32_e64 s0, s15, v181
	s_delay_alu instid0(VALU_DEP_1) | instskip(SKIP_1) | instid1(VALU_DEP_1)
	v_cndmask_b32_e64 v43, 0, v43, s0
	v_cmp_gt_i32_e64 s0, s15, v173
	v_cndmask_b32_e64 v44, 0, v44, s0
.LBB44_46:                              ;   in Loop: Header=BB44_33 Depth=1
	;; [unrolled: 22-line block ×7, first 2 shown]
	s_or_b32 exec_lo, exec_lo, s9
	v_add_co_u32 v65, s0, v93, v183
	s_delay_alu instid0(VALU_DEP_1)
	v_add_co_ci_u32_e64 v66, s0, 0, v94, s0
	global_load_b128 v[65:68], v[65:66], off
	s_and_saveexec_b32 s9, vcc_lo
	s_cbranch_execz .LBB44_58
; %bb.57:                               ;   in Loop: Header=BB44_33 Depth=1
	v_cmp_gt_i32_e64 s0, s15, v180
	s_waitcnt vmcnt(0)
	s_delay_alu instid0(VALU_DEP_1) | instskip(SKIP_1) | instid1(VALU_DEP_1)
	v_cndmask_b32_e64 v65, 0, v65, s0
	v_cmp_gt_i32_e64 s0, s15, v182
	v_cndmask_b32_e64 v66, 0, v66, s0
	v_cmp_gt_i32_e64 s0, s15, v181
	s_delay_alu instid0(VALU_DEP_1) | instskip(SKIP_1) | instid1(VALU_DEP_1)
	v_cndmask_b32_e64 v67, 0, v67, s0
	v_cmp_gt_i32_e64 s0, s15, v173
	v_cndmask_b32_e64 v68, 0, v68, s0
.LBB44_58:                              ;   in Loop: Header=BB44_33 Depth=1
	s_or_b32 exec_lo, exec_lo, s9
	v_add_co_u32 v69, s0, v93, v184
	s_delay_alu instid0(VALU_DEP_1)
	v_add_co_ci_u32_e64 v70, s0, 0, v94, s0
	global_load_b128 v[69:72], v[69:70], off
	s_and_saveexec_b32 s9, vcc_lo
	s_cbranch_execz .LBB44_60
; %bb.59:                               ;   in Loop: Header=BB44_33 Depth=1
	v_cmp_gt_i32_e64 s0, s15, v180
	s_waitcnt vmcnt(0)
	s_delay_alu instid0(VALU_DEP_1) | instskip(SKIP_1) | instid1(VALU_DEP_1)
	v_cndmask_b32_e64 v69, 0, v69, s0
	v_cmp_gt_i32_e64 s0, s15, v182
	v_cndmask_b32_e64 v70, 0, v70, s0
	v_cmp_gt_i32_e64 s0, s15, v181
	s_delay_alu instid0(VALU_DEP_1) | instskip(SKIP_1) | instid1(VALU_DEP_1)
	v_cndmask_b32_e64 v71, 0, v71, s0
	v_cmp_gt_i32_e64 s0, s15, v173
	v_cndmask_b32_e64 v72, 0, v72, s0
.LBB44_60:                              ;   in Loop: Header=BB44_33 Depth=1
	;; [unrolled: 20-line block ×16, first 2 shown]
	s_or_b32 exec_lo, exec_lo, s9
	v_add_co_u32 v93, s0, v93, v179
	s_delay_alu instid0(VALU_DEP_1)
	v_add_co_ci_u32_e64 v94, s0, 0, v94, s0
	global_load_b128 v[93:96], v[93:94], off
	s_and_saveexec_b32 s0, vcc_lo
	s_cbranch_execz .LBB44_32
; %bb.89:                               ;   in Loop: Header=BB44_33 Depth=1
	v_cmp_gt_i32_e32 vcc_lo, s15, v180
	s_waitcnt vmcnt(0)
	v_cndmask_b32_e32 v93, 0, v93, vcc_lo
	v_cmp_gt_i32_e32 vcc_lo, s15, v182
	v_cndmask_b32_e32 v94, 0, v94, vcc_lo
	v_cmp_gt_i32_e32 vcc_lo, s15, v181
	;; [unrolled: 2-line block ×3, first 2 shown]
	v_cndmask_b32_e32 v96, 0, v96, vcc_lo
	s_branch .LBB44_32
.LBB44_90:                              ;   in Loop: Header=BB44_33 Depth=1
	v_cmp_gt_i32_e64 s0, s15, v180
	s_waitcnt vmcnt(0)
	s_delay_alu instid0(VALU_DEP_1) | instskip(SKIP_1) | instid1(VALU_DEP_1)
	v_cndmask_b32_e64 v5, 0, v5, s0
	v_cmp_gt_i32_e64 s0, s15, v182
	v_cndmask_b32_e64 v6, 0, v6, s0
	v_cmp_gt_i32_e64 s0, s15, v181
	s_delay_alu instid0(VALU_DEP_1) | instskip(SKIP_1) | instid1(VALU_DEP_1)
	v_cndmask_b32_e64 v7, 0, v7, s0
	v_cmp_gt_i32_e64 s0, s15, v173
	v_cndmask_b32_e64 v8, 0, v8, s0
	s_or_b32 exec_lo, exec_lo, s9
	global_load_b128 v[9:12], v[33:34], off offset:512
	s_and_saveexec_b32 s9, vcc_lo
	s_cbranch_execz .LBB44_35
.LBB44_91:                              ;   in Loop: Header=BB44_33 Depth=1
	v_cmp_gt_i32_e64 s0, s15, v180
	s_waitcnt vmcnt(0)
	s_delay_alu instid0(VALU_DEP_1) | instskip(SKIP_1) | instid1(VALU_DEP_1)
	v_cndmask_b32_e64 v9, 0, v9, s0
	v_cmp_gt_i32_e64 s0, s15, v182
	v_cndmask_b32_e64 v10, 0, v10, s0
	v_cmp_gt_i32_e64 s0, s15, v181
	s_delay_alu instid0(VALU_DEP_1) | instskip(SKIP_1) | instid1(VALU_DEP_1)
	v_cndmask_b32_e64 v11, 0, v11, s0
	v_cmp_gt_i32_e64 s0, s15, v173
	v_cndmask_b32_e64 v12, 0, v12, s0
	s_or_b32 exec_lo, exec_lo, s9
	global_load_b128 v[13:16], v[33:34], off offset:1024
	s_and_saveexec_b32 s9, vcc_lo
	s_cbranch_execz .LBB44_36
.LBB44_92:                              ;   in Loop: Header=BB44_33 Depth=1
	v_cmp_gt_i32_e64 s0, s15, v180
	s_waitcnt vmcnt(0)
	s_delay_alu instid0(VALU_DEP_1) | instskip(SKIP_1) | instid1(VALU_DEP_1)
	v_cndmask_b32_e64 v13, 0, v13, s0
	v_cmp_gt_i32_e64 s0, s15, v182
	v_cndmask_b32_e64 v14, 0, v14, s0
	v_cmp_gt_i32_e64 s0, s15, v181
	s_delay_alu instid0(VALU_DEP_1) | instskip(SKIP_1) | instid1(VALU_DEP_1)
	v_cndmask_b32_e64 v15, 0, v15, s0
	v_cmp_gt_i32_e64 s0, s15, v173
	v_cndmask_b32_e64 v16, 0, v16, s0
	s_or_b32 exec_lo, exec_lo, s9
	global_load_b128 v[17:20], v[33:34], off offset:1536
	s_and_saveexec_b32 s9, vcc_lo
	s_cbranch_execz .LBB44_37
.LBB44_93:                              ;   in Loop: Header=BB44_33 Depth=1
	v_cmp_gt_i32_e64 s0, s15, v180
	s_waitcnt vmcnt(0)
	s_delay_alu instid0(VALU_DEP_1) | instskip(SKIP_1) | instid1(VALU_DEP_1)
	v_cndmask_b32_e64 v17, 0, v17, s0
	v_cmp_gt_i32_e64 s0, s15, v182
	v_cndmask_b32_e64 v18, 0, v18, s0
	v_cmp_gt_i32_e64 s0, s15, v181
	s_delay_alu instid0(VALU_DEP_1) | instskip(SKIP_1) | instid1(VALU_DEP_1)
	v_cndmask_b32_e64 v19, 0, v19, s0
	v_cmp_gt_i32_e64 s0, s15, v173
	v_cndmask_b32_e64 v20, 0, v20, s0
	s_or_b32 exec_lo, exec_lo, s9
	global_load_b128 v[21:24], v[33:34], off offset:2048
	s_and_saveexec_b32 s9, vcc_lo
	s_cbranch_execz .LBB44_38
.LBB44_94:                              ;   in Loop: Header=BB44_33 Depth=1
	v_cmp_gt_i32_e64 s0, s15, v180
	s_waitcnt vmcnt(0)
	s_delay_alu instid0(VALU_DEP_1) | instskip(SKIP_1) | instid1(VALU_DEP_1)
	v_cndmask_b32_e64 v21, 0, v21, s0
	v_cmp_gt_i32_e64 s0, s15, v182
	v_cndmask_b32_e64 v22, 0, v22, s0
	v_cmp_gt_i32_e64 s0, s15, v181
	s_delay_alu instid0(VALU_DEP_1) | instskip(SKIP_1) | instid1(VALU_DEP_1)
	v_cndmask_b32_e64 v23, 0, v23, s0
	v_cmp_gt_i32_e64 s0, s15, v173
	v_cndmask_b32_e64 v24, 0, v24, s0
	s_or_b32 exec_lo, exec_lo, s9
	global_load_b128 v[25:28], v[33:34], off offset:2560
	s_and_saveexec_b32 s9, vcc_lo
	s_cbranch_execz .LBB44_39
.LBB44_95:                              ;   in Loop: Header=BB44_33 Depth=1
	v_cmp_gt_i32_e64 s0, s15, v180
	s_waitcnt vmcnt(0)
	s_delay_alu instid0(VALU_DEP_1) | instskip(SKIP_1) | instid1(VALU_DEP_1)
	v_cndmask_b32_e64 v25, 0, v25, s0
	v_cmp_gt_i32_e64 s0, s15, v182
	v_cndmask_b32_e64 v26, 0, v26, s0
	v_cmp_gt_i32_e64 s0, s15, v181
	s_delay_alu instid0(VALU_DEP_1) | instskip(SKIP_1) | instid1(VALU_DEP_1)
	v_cndmask_b32_e64 v27, 0, v27, s0
	v_cmp_gt_i32_e64 s0, s15, v173
	v_cndmask_b32_e64 v28, 0, v28, s0
	s_or_b32 exec_lo, exec_lo, s9
	global_load_b128 v[29:32], v[33:34], off offset:3072
	s_and_saveexec_b32 s9, vcc_lo
	s_cbranch_execz .LBB44_40
.LBB44_96:                              ;   in Loop: Header=BB44_33 Depth=1
	v_cmp_gt_i32_e64 s0, s15, v180
	s_waitcnt vmcnt(0)
	s_delay_alu instid0(VALU_DEP_1) | instskip(SKIP_1) | instid1(VALU_DEP_1)
	v_cndmask_b32_e64 v29, 0, v29, s0
	v_cmp_gt_i32_e64 s0, s15, v182
	v_cndmask_b32_e64 v30, 0, v30, s0
	v_cmp_gt_i32_e64 s0, s15, v181
	s_delay_alu instid0(VALU_DEP_1) | instskip(SKIP_1) | instid1(VALU_DEP_1)
	v_cndmask_b32_e64 v31, 0, v31, s0
	v_cmp_gt_i32_e64 s0, s15, v173
	v_cndmask_b32_e64 v32, 0, v32, s0
	s_or_b32 exec_lo, exec_lo, s9
	global_load_b128 v[33:36], v[33:34], off offset:3584
	s_and_saveexec_b32 s9, vcc_lo
	s_cbranch_execnz .LBB44_41
	s_branch .LBB44_42
.LBB44_97:
	s_or_b32 exec_lo, exec_lo, s5
	v_lshrrev_b32_e32 v173, 5, v0
	v_and_b32_e32 v58, 31, v0
	v_and_b32_e32 v59, 3, v0
.LBB44_98:
	s_or_b32 exec_lo, exec_lo, s1
	ds_bpermute_b32 v1, v138, v170
	ds_bpermute_b32 v3, v138, v171
	;; [unrolled: 1-line block ×20, first 2 shown]
	s_waitcnt lgkmcnt(19)
	v_add_f32_e32 v1, v170, v1
	s_waitcnt lgkmcnt(18)
	v_add_f32_e32 v3, v171, v3
	s_waitcnt lgkmcnt(16)
	v_dual_add_f32 v5, v168, v5 :: v_dual_add_f32 v6, v167, v6
	s_waitcnt lgkmcnt(15)
	v_add_f32_e32 v9, v164, v9
	s_waitcnt lgkmcnt(14)
	v_add_f32_e32 v2, v172, v2
	s_waitcnt lgkmcnt(13)
	v_add_f32_e32 v4, v169, v4
	s_waitcnt lgkmcnt(12)
	v_add_f32_e32 v10, v163, v10
	ds_bpermute_b32 v13, v139, v1
	ds_bpermute_b32 v15, v139, v3
	;; [unrolled: 1-line block ×8, first 2 shown]
	s_waitcnt lgkmcnt(18)
	v_dual_add_f32 v7, v166, v7 :: v_dual_add_f32 v8, v165, v8
	s_waitcnt lgkmcnt(16)
	v_dual_add_f32 v11, v162, v11 :: v_dual_add_f32 v12, v161, v12
	;; [unrolled: 2-line block ×3, first 2 shown]
	ds_bpermute_b32 v19, v139, v7
	ds_bpermute_b32 v20, v139, v8
	;; [unrolled: 1-line block ×6, first 2 shown]
	s_waitcnt lgkmcnt(13)
	v_add_f32_e32 v1, v1, v13
	s_waitcnt lgkmcnt(12)
	v_add_f32_e32 v3, v3, v15
	s_waitcnt lgkmcnt(10)
	v_dual_add_f32 v5, v5, v17 :: v_dual_add_f32 v6, v6, v18
	ds_bpermute_b32 v13, v138, v155
	s_waitcnt lgkmcnt(10)
	v_add_f32_e32 v9, v9, v21
	ds_bpermute_b32 v15, v138, v154
	s_waitcnt lgkmcnt(8)
	v_add_f32_e32 v10, v10, v22
	ds_bpermute_b32 v17, v138, v153
	ds_bpermute_b32 v18, v138, v152
	ds_bpermute_b32 v21, v138, v151
	v_add_f32_e32 v2, v2, v14
	v_add_f32_e32 v4, v4, v16
	;; [unrolled: 1-line block ×3, first 2 shown]
	v_dual_add_f32 v16, v159, v26 :: v_dual_add_f32 v25, v156, v29
	v_add_f32_e32 v22, v157, v28
	ds_bpermute_b32 v26, v138, v150
	ds_bpermute_b32 v29, v138, v148
	s_waitcnt lgkmcnt(11)
	v_dual_add_f32 v7, v7, v19 :: v_dual_add_f32 v8, v8, v20
	v_add_f32_e32 v19, v158, v27
	s_waitcnt lgkmcnt(9)
	v_dual_add_f32 v11, v11, v23 :: v_dual_add_f32 v12, v12, v24
	ds_bpermute_b32 v20, v139, v14
	ds_bpermute_b32 v23, v139, v16
	s_waitcnt lgkmcnt(7)
	v_add_f32_e32 v34, v154, v15
	ds_bpermute_b32 v15, v138, v145
	s_waitcnt lgkmcnt(7)
	v_add_f32_e32 v35, v153, v17
	v_add_f32_e32 v28, v155, v13
	ds_bpermute_b32 v13, v138, v149
	s_waitcnt lgkmcnt(7)
	v_add_f32_e32 v36, v152, v18
	ds_bpermute_b32 v17, v138, v144
	ds_bpermute_b32 v18, v138, v143
	s_waitcnt lgkmcnt(8)
	v_add_f32_e32 v37, v151, v21
	ds_bpermute_b32 v21, v138, v142
	ds_bpermute_b32 v24, v139, v19
	s_waitcnt lgkmcnt(8)
	v_dual_add_f32 v26, v150, v26 :: v_dual_add_f32 v29, v148, v29
	v_add_f32_e32 v38, v141, v38
	ds_bpermute_b32 v27, v139, v22
	ds_bpermute_b32 v30, v139, v25
	;; [unrolled: 1-line block ×7, first 2 shown]
	s_waitcnt lgkmcnt(12)
	v_add_f32_e32 v47, v145, v15
	ds_bpermute_b32 v33, v139, v28
	ds_bpermute_b32 v57, v139, v38
	s_waitcnt lgkmcnt(13)
	v_add_f32_e32 v43, v149, v13
	ds_bpermute_b32 v41, v139, v36
	s_waitcnt lgkmcnt(12)
	v_dual_add_f32 v50, v144, v17 :: v_dual_add_f32 v51, v143, v18
	ds_bpermute_b32 v52, v139, v47
	s_waitcnt lgkmcnt(12)
	v_add_f32_e32 v53, v142, v21
	ds_bpermute_b32 v45, v139, v43
	ds_bpermute_b32 v54, v139, v50
	;; [unrolled: 1-line block ×3, first 2 shown]
	v_dual_add_f32 v13, v14, v20 :: v_dual_add_f32 v14, v16, v23
	ds_bpermute_b32 v56, v139, v53
	s_waitcnt lgkmcnt(14)
	v_dual_add_f32 v15, v19, v24 :: v_dual_add_f32 v16, v22, v27
	s_waitcnt lgkmcnt(13)
	v_add_f32_e32 v17, v25, v30
	s_waitcnt lgkmcnt(11)
	v_dual_add_f32 v19, v34, v39 :: v_dual_add_f32 v20, v35, v40
	s_waitcnt lgkmcnt(10)
	v_add_f32_e32 v22, v37, v42
	s_waitcnt lgkmcnt(7)
	v_dual_add_f32 v18, v28, v33 :: v_dual_add_f32 v23, v26, v44
	v_dual_add_f32 v25, v29, v46 :: v_dual_add_f32 v26, v31, v48
	s_waitcnt lgkmcnt(5)
	v_add_f32_e32 v21, v36, v41
	s_waitcnt lgkmcnt(4)
	v_dual_add_f32 v27, v32, v49 :: v_dual_add_f32 v28, v47, v52
	v_dual_add_f32 v32, v38, v57 :: v_dual_and_b32 v35, 0x3c3, v0
	s_waitcnt lgkmcnt(2)
	v_dual_add_f32 v24, v43, v45 :: v_dual_add_f32 v29, v50, v54
	s_waitcnt lgkmcnt(1)
	v_add_f32_e32 v30, v51, v55
	v_lshrrev_b32_e32 v33, 2, v58
	s_waitcnt lgkmcnt(0)
	v_add_f32_e32 v31, v53, v56
	v_lshl_add_u32 v34, v173, 10, 0x420
	s_mov_b32 s0, exec_lo
	s_waitcnt_vscnt null, 0x0
	s_barrier
	buffer_gl0_inv
	v_cmpx_eq_u32_e32 64, v35
	s_cbranch_execz .LBB44_100
; %bb.99:
	v_lshlrev_b32_e32 v35, 2, v33
	s_delay_alu instid0(VALU_DEP_1)
	v_add3_u32 v35, v34, v35, 0xfffff800
	ds_store_2addr_b32 v35, v1, v2 offset1:8
	ds_store_2addr_b32 v35, v3, v4 offset0:16 offset1:24
	ds_store_2addr_b32 v35, v5, v6 offset0:32 offset1:40
	;; [unrolled: 1-line block ×15, first 2 shown]
.LBB44_100:
	s_or_b32 exec_lo, exec_lo, s0
	v_cmp_eq_u32_e32 vcc_lo, 0, v59
	s_mov_b32 s1, exec_lo
	s_waitcnt lgkmcnt(0)
	s_barrier
	buffer_gl0_inv
	v_cmpx_gt_u32_e32 64, v0
	s_cbranch_execz .LBB44_135
; %bb.101:
	s_and_saveexec_b32 s0, vcc_lo
	s_cbranch_execnz .LBB44_175
; %bb.102:
	s_or_b32 exec_lo, exec_lo, s0
	s_and_saveexec_b32 s0, vcc_lo
	s_cbranch_execnz .LBB44_176
.LBB44_103:
	s_or_b32 exec_lo, exec_lo, s0
	s_and_saveexec_b32 s0, vcc_lo
	s_cbranch_execnz .LBB44_177
.LBB44_104:
	s_or_b32 exec_lo, exec_lo, s0
	s_and_saveexec_b32 s0, vcc_lo
	s_cbranch_execnz .LBB44_178
.LBB44_105:
	s_or_b32 exec_lo, exec_lo, s0
	s_and_saveexec_b32 s0, vcc_lo
	s_cbranch_execnz .LBB44_179
.LBB44_106:
	s_or_b32 exec_lo, exec_lo, s0
	s_and_saveexec_b32 s0, vcc_lo
	s_cbranch_execnz .LBB44_180
.LBB44_107:
	s_or_b32 exec_lo, exec_lo, s0
	s_and_saveexec_b32 s0, vcc_lo
	s_cbranch_execnz .LBB44_181
.LBB44_108:
	s_or_b32 exec_lo, exec_lo, s0
	s_and_saveexec_b32 s0, vcc_lo
	s_cbranch_execnz .LBB44_182
.LBB44_109:
	s_or_b32 exec_lo, exec_lo, s0
	s_and_saveexec_b32 s0, vcc_lo
	s_cbranch_execnz .LBB44_183
.LBB44_110:
	s_or_b32 exec_lo, exec_lo, s0
	s_and_saveexec_b32 s0, vcc_lo
	s_cbranch_execnz .LBB44_184
.LBB44_111:
	s_or_b32 exec_lo, exec_lo, s0
	s_and_saveexec_b32 s0, vcc_lo
	s_cbranch_execnz .LBB44_185
.LBB44_112:
	s_or_b32 exec_lo, exec_lo, s0
	s_and_saveexec_b32 s0, vcc_lo
	s_cbranch_execnz .LBB44_186
.LBB44_113:
	s_or_b32 exec_lo, exec_lo, s0
	s_and_saveexec_b32 s0, vcc_lo
	s_cbranch_execnz .LBB44_187
.LBB44_114:
	s_or_b32 exec_lo, exec_lo, s0
	s_and_saveexec_b32 s0, vcc_lo
	s_cbranch_execnz .LBB44_188
.LBB44_115:
	s_or_b32 exec_lo, exec_lo, s0
	s_and_saveexec_b32 s0, vcc_lo
	s_cbranch_execnz .LBB44_189
.LBB44_116:
	s_or_b32 exec_lo, exec_lo, s0
	s_and_saveexec_b32 s0, vcc_lo
	s_cbranch_execnz .LBB44_190
.LBB44_117:
	s_or_b32 exec_lo, exec_lo, s0
	s_and_saveexec_b32 s0, vcc_lo
	s_cbranch_execnz .LBB44_191
.LBB44_118:
	s_or_b32 exec_lo, exec_lo, s0
	s_and_saveexec_b32 s0, vcc_lo
	s_cbranch_execnz .LBB44_192
.LBB44_119:
	s_or_b32 exec_lo, exec_lo, s0
	s_and_saveexec_b32 s0, vcc_lo
	s_cbranch_execnz .LBB44_193
.LBB44_120:
	s_or_b32 exec_lo, exec_lo, s0
	s_and_saveexec_b32 s0, vcc_lo
	s_cbranch_execnz .LBB44_194
.LBB44_121:
	s_or_b32 exec_lo, exec_lo, s0
	s_and_saveexec_b32 s0, vcc_lo
	s_cbranch_execnz .LBB44_195
.LBB44_122:
	s_or_b32 exec_lo, exec_lo, s0
	s_and_saveexec_b32 s0, vcc_lo
	s_cbranch_execnz .LBB44_196
.LBB44_123:
	s_or_b32 exec_lo, exec_lo, s0
	s_and_saveexec_b32 s0, vcc_lo
	s_cbranch_execnz .LBB44_197
.LBB44_124:
	s_or_b32 exec_lo, exec_lo, s0
	s_and_saveexec_b32 s0, vcc_lo
	s_cbranch_execnz .LBB44_198
.LBB44_125:
	s_or_b32 exec_lo, exec_lo, s0
	s_and_saveexec_b32 s0, vcc_lo
	s_cbranch_execnz .LBB44_199
.LBB44_126:
	s_or_b32 exec_lo, exec_lo, s0
	s_and_saveexec_b32 s0, vcc_lo
	s_cbranch_execnz .LBB44_200
.LBB44_127:
	s_or_b32 exec_lo, exec_lo, s0
	s_and_saveexec_b32 s0, vcc_lo
	s_cbranch_execnz .LBB44_201
.LBB44_128:
	s_or_b32 exec_lo, exec_lo, s0
	s_and_saveexec_b32 s0, vcc_lo
	s_cbranch_execnz .LBB44_202
.LBB44_129:
	s_or_b32 exec_lo, exec_lo, s0
	s_and_saveexec_b32 s0, vcc_lo
	s_cbranch_execnz .LBB44_203
.LBB44_130:
	s_or_b32 exec_lo, exec_lo, s0
	s_and_saveexec_b32 s0, vcc_lo
	s_cbranch_execnz .LBB44_204
.LBB44_131:
	s_or_b32 exec_lo, exec_lo, s0
	s_and_saveexec_b32 s0, vcc_lo
	s_cbranch_execnz .LBB44_205
.LBB44_132:
	s_or_b32 exec_lo, exec_lo, s0
	s_and_saveexec_b32 s0, vcc_lo
	s_cbranch_execz .LBB44_134
.LBB44_133:
	v_lshl_add_u32 v35, v33, 2, v34
	ds_load_b32 v35, v35 offset:992
	s_waitcnt lgkmcnt(0)
	v_add_f32_e32 v32, v32, v35
.LBB44_134:
	s_or_b32 exec_lo, exec_lo, s0
.LBB44_135:
	s_delay_alu instid0(SALU_CYCLE_1)
	s_or_b32 exec_lo, exec_lo, s1
	v_and_b32_e32 v35, 0x3e3, v0
	s_mov_b32 s1, exec_lo
	s_barrier
	buffer_gl0_inv
	v_cmpx_eq_u32_e32 32, v35
	s_cbranch_execz .LBB44_137
; %bb.136:
	v_lshl_add_u32 v36, v33, 2, 0x420
	ds_store_2addr_b32 v36, v1, v2 offset1:8
	ds_store_2addr_b32 v36, v3, v4 offset0:16 offset1:24
	ds_store_2addr_b32 v36, v5, v6 offset0:32 offset1:40
	;; [unrolled: 1-line block ×15, first 2 shown]
.LBB44_137:
	s_or_b32 exec_lo, exec_lo, s1
	s_delay_alu instid0(SALU_CYCLE_1)
	s_mov_b32 s1, exec_lo
	s_waitcnt lgkmcnt(0)
	s_barrier
	buffer_gl0_inv
	v_cmpx_gt_u32_e32 32, v0
	s_cbranch_execz .LBB44_172
; %bb.138:
	v_lshl_add_u32 v33, v33, 2, v34
	s_and_saveexec_b32 s0, vcc_lo
	s_cbranch_execnz .LBB44_206
; %bb.139:
	s_or_b32 exec_lo, exec_lo, s0
	s_and_saveexec_b32 s0, vcc_lo
	s_cbranch_execnz .LBB44_207
.LBB44_140:
	s_or_b32 exec_lo, exec_lo, s0
	s_and_saveexec_b32 s0, vcc_lo
	s_cbranch_execnz .LBB44_208
.LBB44_141:
	s_or_b32 exec_lo, exec_lo, s0
	s_and_saveexec_b32 s0, vcc_lo
	s_cbranch_execnz .LBB44_209
.LBB44_142:
	s_or_b32 exec_lo, exec_lo, s0
	s_and_saveexec_b32 s0, vcc_lo
	s_cbranch_execnz .LBB44_210
.LBB44_143:
	s_or_b32 exec_lo, exec_lo, s0
	s_and_saveexec_b32 s0, vcc_lo
	s_cbranch_execnz .LBB44_211
.LBB44_144:
	s_or_b32 exec_lo, exec_lo, s0
	s_and_saveexec_b32 s0, vcc_lo
	s_cbranch_execnz .LBB44_212
.LBB44_145:
	s_or_b32 exec_lo, exec_lo, s0
	s_and_saveexec_b32 s0, vcc_lo
	s_cbranch_execnz .LBB44_213
.LBB44_146:
	s_or_b32 exec_lo, exec_lo, s0
	s_and_saveexec_b32 s0, vcc_lo
	s_cbranch_execnz .LBB44_214
.LBB44_147:
	s_or_b32 exec_lo, exec_lo, s0
	s_and_saveexec_b32 s0, vcc_lo
	s_cbranch_execnz .LBB44_215
.LBB44_148:
	s_or_b32 exec_lo, exec_lo, s0
	s_and_saveexec_b32 s0, vcc_lo
	s_cbranch_execnz .LBB44_216
.LBB44_149:
	s_or_b32 exec_lo, exec_lo, s0
	s_and_saveexec_b32 s0, vcc_lo
	s_cbranch_execnz .LBB44_217
.LBB44_150:
	s_or_b32 exec_lo, exec_lo, s0
	s_and_saveexec_b32 s0, vcc_lo
	s_cbranch_execnz .LBB44_218
.LBB44_151:
	s_or_b32 exec_lo, exec_lo, s0
	s_and_saveexec_b32 s0, vcc_lo
	s_cbranch_execnz .LBB44_219
.LBB44_152:
	s_or_b32 exec_lo, exec_lo, s0
	s_and_saveexec_b32 s0, vcc_lo
	s_cbranch_execnz .LBB44_220
.LBB44_153:
	s_or_b32 exec_lo, exec_lo, s0
	s_and_saveexec_b32 s0, vcc_lo
	s_cbranch_execnz .LBB44_221
.LBB44_154:
	s_or_b32 exec_lo, exec_lo, s0
	s_and_saveexec_b32 s0, vcc_lo
	s_cbranch_execnz .LBB44_222
.LBB44_155:
	s_or_b32 exec_lo, exec_lo, s0
	s_and_saveexec_b32 s0, vcc_lo
	s_cbranch_execnz .LBB44_223
.LBB44_156:
	s_or_b32 exec_lo, exec_lo, s0
	s_and_saveexec_b32 s0, vcc_lo
	s_cbranch_execnz .LBB44_224
.LBB44_157:
	s_or_b32 exec_lo, exec_lo, s0
	s_and_saveexec_b32 s0, vcc_lo
	s_cbranch_execnz .LBB44_225
.LBB44_158:
	s_or_b32 exec_lo, exec_lo, s0
	s_and_saveexec_b32 s0, vcc_lo
	s_cbranch_execnz .LBB44_226
.LBB44_159:
	s_or_b32 exec_lo, exec_lo, s0
	s_and_saveexec_b32 s0, vcc_lo
	s_cbranch_execnz .LBB44_227
.LBB44_160:
	s_or_b32 exec_lo, exec_lo, s0
	s_and_saveexec_b32 s0, vcc_lo
	s_cbranch_execnz .LBB44_228
.LBB44_161:
	s_or_b32 exec_lo, exec_lo, s0
	s_and_saveexec_b32 s0, vcc_lo
	s_cbranch_execnz .LBB44_229
.LBB44_162:
	s_or_b32 exec_lo, exec_lo, s0
	s_and_saveexec_b32 s0, vcc_lo
	s_cbranch_execnz .LBB44_230
.LBB44_163:
	s_or_b32 exec_lo, exec_lo, s0
	s_and_saveexec_b32 s0, vcc_lo
	s_cbranch_execnz .LBB44_231
.LBB44_164:
	s_or_b32 exec_lo, exec_lo, s0
	s_and_saveexec_b32 s0, vcc_lo
	s_cbranch_execnz .LBB44_232
.LBB44_165:
	s_or_b32 exec_lo, exec_lo, s0
	s_and_saveexec_b32 s0, vcc_lo
	s_cbranch_execnz .LBB44_233
.LBB44_166:
	s_or_b32 exec_lo, exec_lo, s0
	s_and_saveexec_b32 s0, vcc_lo
	s_cbranch_execnz .LBB44_234
.LBB44_167:
	s_or_b32 exec_lo, exec_lo, s0
	s_and_saveexec_b32 s0, vcc_lo
	s_cbranch_execnz .LBB44_235
.LBB44_168:
	s_or_b32 exec_lo, exec_lo, s0
	s_and_saveexec_b32 s0, vcc_lo
	s_cbranch_execnz .LBB44_236
.LBB44_169:
	s_or_b32 exec_lo, exec_lo, s0
	s_and_saveexec_b32 s0, vcc_lo
	s_cbranch_execz .LBB44_171
.LBB44_170:
	ds_load_b32 v33, v33 offset:992
	s_waitcnt lgkmcnt(0)
	v_add_f32_e32 v32, v32, v33
.LBB44_171:
	s_or_b32 exec_lo, exec_lo, s0
.LBB44_172:
	s_delay_alu instid0(SALU_CYCLE_1)
	s_or_b32 exec_lo, exec_lo, s1
	s_barrier
	buffer_gl0_inv
	s_mov_b32 s0, exec_lo
	v_cmpx_eq_u32_e32 0, v35
	s_cbranch_execz .LBB44_174
; %bb.173:
	s_lshl_b32 s0, s6, 8
	s_mul_i32 s2, s4, s16
	s_ashr_i32 s1, s0, 31
	s_delay_alu instid0(SALU_CYCLE_1) | instskip(NEXT) | instid1(SALU_CYCLE_1)
	s_lshl_b64 s[0:1], s[0:1], 2
	s_add_u32 s4, s18, s0
	s_addc_u32 s5, s19, s1
	s_ashr_i32 s3, s2, 31
	s_delay_alu instid0(SALU_CYCLE_1) | instskip(NEXT) | instid1(SALU_CYCLE_1)
	s_lshl_b64 s[0:1], s[2:3], 2
	s_add_u32 s2, s4, s0
	s_addc_u32 s3, s5, s1
	s_lshl_b32 s0, s12, 8
	s_delay_alu instid0(SALU_CYCLE_1) | instskip(NEXT) | instid1(SALU_CYCLE_1)
	s_ashr_i32 s1, s0, 31
	s_lshl_b64 s[0:1], s[0:1], 2
	s_delay_alu instid0(SALU_CYCLE_1)
	s_add_u32 s0, s2, s0
	s_addc_u32 s1, s3, s1
	s_clause 0x1f
	global_store_b32 v0, v1, s[0:1]
	global_store_b32 v0, v2, s[0:1] offset:32
	global_store_b32 v0, v3, s[0:1] offset:64
	;; [unrolled: 1-line block ×31, first 2 shown]
.LBB44_174:
	s_nop 0
	s_sendmsg sendmsg(MSG_DEALLOC_VGPRS)
	s_endpgm
.LBB44_175:
	v_lshl_add_u32 v35, v33, 2, v34
	ds_load_b32 v35, v35
	s_waitcnt lgkmcnt(0)
	v_add_f32_e32 v1, v1, v35
	s_or_b32 exec_lo, exec_lo, s0
	s_and_saveexec_b32 s0, vcc_lo
	s_cbranch_execz .LBB44_103
.LBB44_176:
	v_lshl_add_u32 v35, v33, 2, v34
	ds_load_b32 v35, v35 offset:32
	s_waitcnt lgkmcnt(0)
	v_add_f32_e32 v2, v2, v35
	s_or_b32 exec_lo, exec_lo, s0
	s_and_saveexec_b32 s0, vcc_lo
	s_cbranch_execz .LBB44_104
.LBB44_177:
	v_lshl_add_u32 v35, v33, 2, v34
	ds_load_b32 v35, v35 offset:64
	s_waitcnt lgkmcnt(0)
	v_add_f32_e32 v3, v3, v35
	s_or_b32 exec_lo, exec_lo, s0
	s_and_saveexec_b32 s0, vcc_lo
	s_cbranch_execz .LBB44_105
.LBB44_178:
	v_lshl_add_u32 v35, v33, 2, v34
	ds_load_b32 v35, v35 offset:96
	s_waitcnt lgkmcnt(0)
	v_add_f32_e32 v4, v4, v35
	s_or_b32 exec_lo, exec_lo, s0
	s_and_saveexec_b32 s0, vcc_lo
	s_cbranch_execz .LBB44_106
.LBB44_179:
	v_lshl_add_u32 v35, v33, 2, v34
	ds_load_b32 v35, v35 offset:128
	s_waitcnt lgkmcnt(0)
	v_add_f32_e32 v5, v5, v35
	s_or_b32 exec_lo, exec_lo, s0
	s_and_saveexec_b32 s0, vcc_lo
	s_cbranch_execz .LBB44_107
.LBB44_180:
	v_lshl_add_u32 v35, v33, 2, v34
	ds_load_b32 v35, v35 offset:160
	s_waitcnt lgkmcnt(0)
	v_add_f32_e32 v6, v6, v35
	s_or_b32 exec_lo, exec_lo, s0
	s_and_saveexec_b32 s0, vcc_lo
	s_cbranch_execz .LBB44_108
.LBB44_181:
	v_lshl_add_u32 v35, v33, 2, v34
	ds_load_b32 v35, v35 offset:192
	s_waitcnt lgkmcnt(0)
	v_add_f32_e32 v7, v7, v35
	s_or_b32 exec_lo, exec_lo, s0
	s_and_saveexec_b32 s0, vcc_lo
	s_cbranch_execz .LBB44_109
.LBB44_182:
	v_lshl_add_u32 v35, v33, 2, v34
	ds_load_b32 v35, v35 offset:224
	s_waitcnt lgkmcnt(0)
	v_add_f32_e32 v8, v8, v35
	s_or_b32 exec_lo, exec_lo, s0
	s_and_saveexec_b32 s0, vcc_lo
	s_cbranch_execz .LBB44_110
.LBB44_183:
	v_lshl_add_u32 v35, v33, 2, v34
	ds_load_b32 v35, v35 offset:256
	s_waitcnt lgkmcnt(0)
	v_add_f32_e32 v9, v9, v35
	s_or_b32 exec_lo, exec_lo, s0
	s_and_saveexec_b32 s0, vcc_lo
	s_cbranch_execz .LBB44_111
.LBB44_184:
	v_lshl_add_u32 v35, v33, 2, v34
	ds_load_b32 v35, v35 offset:288
	s_waitcnt lgkmcnt(0)
	v_add_f32_e32 v10, v10, v35
	s_or_b32 exec_lo, exec_lo, s0
	s_and_saveexec_b32 s0, vcc_lo
	s_cbranch_execz .LBB44_112
.LBB44_185:
	v_lshl_add_u32 v35, v33, 2, v34
	ds_load_b32 v35, v35 offset:320
	s_waitcnt lgkmcnt(0)
	v_add_f32_e32 v11, v11, v35
	s_or_b32 exec_lo, exec_lo, s0
	s_and_saveexec_b32 s0, vcc_lo
	s_cbranch_execz .LBB44_113
.LBB44_186:
	v_lshl_add_u32 v35, v33, 2, v34
	ds_load_b32 v35, v35 offset:352
	s_waitcnt lgkmcnt(0)
	v_add_f32_e32 v12, v12, v35
	s_or_b32 exec_lo, exec_lo, s0
	s_and_saveexec_b32 s0, vcc_lo
	s_cbranch_execz .LBB44_114
.LBB44_187:
	v_lshl_add_u32 v35, v33, 2, v34
	ds_load_b32 v35, v35 offset:384
	s_waitcnt lgkmcnt(0)
	v_add_f32_e32 v13, v13, v35
	s_or_b32 exec_lo, exec_lo, s0
	s_and_saveexec_b32 s0, vcc_lo
	s_cbranch_execz .LBB44_115
.LBB44_188:
	v_lshl_add_u32 v35, v33, 2, v34
	ds_load_b32 v35, v35 offset:416
	s_waitcnt lgkmcnt(0)
	v_add_f32_e32 v14, v14, v35
	s_or_b32 exec_lo, exec_lo, s0
	s_and_saveexec_b32 s0, vcc_lo
	s_cbranch_execz .LBB44_116
.LBB44_189:
	v_lshl_add_u32 v35, v33, 2, v34
	ds_load_b32 v35, v35 offset:448
	s_waitcnt lgkmcnt(0)
	v_add_f32_e32 v15, v15, v35
	s_or_b32 exec_lo, exec_lo, s0
	s_and_saveexec_b32 s0, vcc_lo
	s_cbranch_execz .LBB44_117
.LBB44_190:
	v_lshl_add_u32 v35, v33, 2, v34
	ds_load_b32 v35, v35 offset:480
	s_waitcnt lgkmcnt(0)
	v_add_f32_e32 v16, v16, v35
	s_or_b32 exec_lo, exec_lo, s0
	s_and_saveexec_b32 s0, vcc_lo
	s_cbranch_execz .LBB44_118
.LBB44_191:
	v_lshl_add_u32 v35, v33, 2, v34
	ds_load_b32 v35, v35 offset:512
	s_waitcnt lgkmcnt(0)
	v_add_f32_e32 v17, v17, v35
	s_or_b32 exec_lo, exec_lo, s0
	s_and_saveexec_b32 s0, vcc_lo
	s_cbranch_execz .LBB44_119
.LBB44_192:
	v_lshl_add_u32 v35, v33, 2, v34
	ds_load_b32 v35, v35 offset:544
	s_waitcnt lgkmcnt(0)
	v_add_f32_e32 v18, v18, v35
	s_or_b32 exec_lo, exec_lo, s0
	s_and_saveexec_b32 s0, vcc_lo
	s_cbranch_execz .LBB44_120
.LBB44_193:
	v_lshl_add_u32 v35, v33, 2, v34
	ds_load_b32 v35, v35 offset:576
	s_waitcnt lgkmcnt(0)
	v_add_f32_e32 v19, v19, v35
	s_or_b32 exec_lo, exec_lo, s0
	s_and_saveexec_b32 s0, vcc_lo
	s_cbranch_execz .LBB44_121
.LBB44_194:
	v_lshl_add_u32 v35, v33, 2, v34
	ds_load_b32 v35, v35 offset:608
	s_waitcnt lgkmcnt(0)
	v_add_f32_e32 v20, v20, v35
	s_or_b32 exec_lo, exec_lo, s0
	s_and_saveexec_b32 s0, vcc_lo
	s_cbranch_execz .LBB44_122
.LBB44_195:
	v_lshl_add_u32 v35, v33, 2, v34
	ds_load_b32 v35, v35 offset:640
	s_waitcnt lgkmcnt(0)
	v_add_f32_e32 v21, v21, v35
	s_or_b32 exec_lo, exec_lo, s0
	s_and_saveexec_b32 s0, vcc_lo
	s_cbranch_execz .LBB44_123
.LBB44_196:
	v_lshl_add_u32 v35, v33, 2, v34
	ds_load_b32 v35, v35 offset:672
	s_waitcnt lgkmcnt(0)
	v_add_f32_e32 v22, v22, v35
	s_or_b32 exec_lo, exec_lo, s0
	s_and_saveexec_b32 s0, vcc_lo
	s_cbranch_execz .LBB44_124
.LBB44_197:
	v_lshl_add_u32 v35, v33, 2, v34
	ds_load_b32 v35, v35 offset:704
	s_waitcnt lgkmcnt(0)
	v_add_f32_e32 v23, v23, v35
	s_or_b32 exec_lo, exec_lo, s0
	s_and_saveexec_b32 s0, vcc_lo
	s_cbranch_execz .LBB44_125
.LBB44_198:
	v_lshl_add_u32 v35, v33, 2, v34
	ds_load_b32 v35, v35 offset:736
	s_waitcnt lgkmcnt(0)
	v_add_f32_e32 v24, v24, v35
	s_or_b32 exec_lo, exec_lo, s0
	s_and_saveexec_b32 s0, vcc_lo
	s_cbranch_execz .LBB44_126
.LBB44_199:
	v_lshl_add_u32 v35, v33, 2, v34
	ds_load_b32 v35, v35 offset:768
	s_waitcnt lgkmcnt(0)
	v_add_f32_e32 v25, v25, v35
	s_or_b32 exec_lo, exec_lo, s0
	s_and_saveexec_b32 s0, vcc_lo
	s_cbranch_execz .LBB44_127
.LBB44_200:
	v_lshl_add_u32 v35, v33, 2, v34
	ds_load_b32 v35, v35 offset:800
	s_waitcnt lgkmcnt(0)
	v_add_f32_e32 v26, v26, v35
	s_or_b32 exec_lo, exec_lo, s0
	s_and_saveexec_b32 s0, vcc_lo
	s_cbranch_execz .LBB44_128
.LBB44_201:
	v_lshl_add_u32 v35, v33, 2, v34
	ds_load_b32 v35, v35 offset:832
	s_waitcnt lgkmcnt(0)
	v_add_f32_e32 v27, v27, v35
	s_or_b32 exec_lo, exec_lo, s0
	s_and_saveexec_b32 s0, vcc_lo
	s_cbranch_execz .LBB44_129
.LBB44_202:
	v_lshl_add_u32 v35, v33, 2, v34
	ds_load_b32 v35, v35 offset:864
	s_waitcnt lgkmcnt(0)
	v_add_f32_e32 v28, v28, v35
	s_or_b32 exec_lo, exec_lo, s0
	s_and_saveexec_b32 s0, vcc_lo
	s_cbranch_execz .LBB44_130
.LBB44_203:
	v_lshl_add_u32 v35, v33, 2, v34
	ds_load_b32 v35, v35 offset:896
	s_waitcnt lgkmcnt(0)
	v_add_f32_e32 v29, v29, v35
	s_or_b32 exec_lo, exec_lo, s0
	s_and_saveexec_b32 s0, vcc_lo
	s_cbranch_execz .LBB44_131
.LBB44_204:
	v_lshl_add_u32 v35, v33, 2, v34
	ds_load_b32 v35, v35 offset:928
	s_waitcnt lgkmcnt(0)
	v_add_f32_e32 v30, v30, v35
	s_or_b32 exec_lo, exec_lo, s0
	s_and_saveexec_b32 s0, vcc_lo
	s_cbranch_execz .LBB44_132
.LBB44_205:
	v_lshl_add_u32 v35, v33, 2, v34
	ds_load_b32 v35, v35 offset:960
	s_waitcnt lgkmcnt(0)
	v_add_f32_e32 v31, v31, v35
	s_or_b32 exec_lo, exec_lo, s0
	s_and_saveexec_b32 s0, vcc_lo
	s_cbranch_execnz .LBB44_133
	s_branch .LBB44_134
.LBB44_206:
	ds_load_b32 v34, v33
	s_waitcnt lgkmcnt(0)
	v_add_f32_e32 v1, v1, v34
	s_or_b32 exec_lo, exec_lo, s0
	s_and_saveexec_b32 s0, vcc_lo
	s_cbranch_execz .LBB44_140
.LBB44_207:
	ds_load_b32 v34, v33 offset:32
	s_waitcnt lgkmcnt(0)
	v_add_f32_e32 v2, v2, v34
	s_or_b32 exec_lo, exec_lo, s0
	s_and_saveexec_b32 s0, vcc_lo
	s_cbranch_execz .LBB44_141
.LBB44_208:
	ds_load_b32 v34, v33 offset:64
	s_waitcnt lgkmcnt(0)
	v_add_f32_e32 v3, v3, v34
	s_or_b32 exec_lo, exec_lo, s0
	s_and_saveexec_b32 s0, vcc_lo
	s_cbranch_execz .LBB44_142
.LBB44_209:
	ds_load_b32 v34, v33 offset:96
	s_waitcnt lgkmcnt(0)
	v_add_f32_e32 v4, v4, v34
	s_or_b32 exec_lo, exec_lo, s0
	s_and_saveexec_b32 s0, vcc_lo
	s_cbranch_execz .LBB44_143
.LBB44_210:
	ds_load_b32 v34, v33 offset:128
	s_waitcnt lgkmcnt(0)
	v_add_f32_e32 v5, v5, v34
	s_or_b32 exec_lo, exec_lo, s0
	s_and_saveexec_b32 s0, vcc_lo
	s_cbranch_execz .LBB44_144
.LBB44_211:
	ds_load_b32 v34, v33 offset:160
	s_waitcnt lgkmcnt(0)
	v_add_f32_e32 v6, v6, v34
	s_or_b32 exec_lo, exec_lo, s0
	s_and_saveexec_b32 s0, vcc_lo
	s_cbranch_execz .LBB44_145
.LBB44_212:
	ds_load_b32 v34, v33 offset:192
	s_waitcnt lgkmcnt(0)
	v_add_f32_e32 v7, v7, v34
	s_or_b32 exec_lo, exec_lo, s0
	s_and_saveexec_b32 s0, vcc_lo
	s_cbranch_execz .LBB44_146
.LBB44_213:
	ds_load_b32 v34, v33 offset:224
	s_waitcnt lgkmcnt(0)
	v_add_f32_e32 v8, v8, v34
	s_or_b32 exec_lo, exec_lo, s0
	s_and_saveexec_b32 s0, vcc_lo
	s_cbranch_execz .LBB44_147
.LBB44_214:
	ds_load_b32 v34, v33 offset:256
	s_waitcnt lgkmcnt(0)
	v_add_f32_e32 v9, v9, v34
	s_or_b32 exec_lo, exec_lo, s0
	s_and_saveexec_b32 s0, vcc_lo
	s_cbranch_execz .LBB44_148
.LBB44_215:
	ds_load_b32 v34, v33 offset:288
	s_waitcnt lgkmcnt(0)
	v_add_f32_e32 v10, v10, v34
	s_or_b32 exec_lo, exec_lo, s0
	s_and_saveexec_b32 s0, vcc_lo
	s_cbranch_execz .LBB44_149
.LBB44_216:
	ds_load_b32 v34, v33 offset:320
	s_waitcnt lgkmcnt(0)
	v_add_f32_e32 v11, v11, v34
	s_or_b32 exec_lo, exec_lo, s0
	s_and_saveexec_b32 s0, vcc_lo
	s_cbranch_execz .LBB44_150
.LBB44_217:
	ds_load_b32 v34, v33 offset:352
	s_waitcnt lgkmcnt(0)
	v_add_f32_e32 v12, v12, v34
	s_or_b32 exec_lo, exec_lo, s0
	s_and_saveexec_b32 s0, vcc_lo
	s_cbranch_execz .LBB44_151
.LBB44_218:
	ds_load_b32 v34, v33 offset:384
	s_waitcnt lgkmcnt(0)
	v_add_f32_e32 v13, v13, v34
	s_or_b32 exec_lo, exec_lo, s0
	s_and_saveexec_b32 s0, vcc_lo
	s_cbranch_execz .LBB44_152
.LBB44_219:
	ds_load_b32 v34, v33 offset:416
	s_waitcnt lgkmcnt(0)
	v_add_f32_e32 v14, v14, v34
	s_or_b32 exec_lo, exec_lo, s0
	s_and_saveexec_b32 s0, vcc_lo
	s_cbranch_execz .LBB44_153
.LBB44_220:
	ds_load_b32 v34, v33 offset:448
	s_waitcnt lgkmcnt(0)
	v_add_f32_e32 v15, v15, v34
	s_or_b32 exec_lo, exec_lo, s0
	s_and_saveexec_b32 s0, vcc_lo
	s_cbranch_execz .LBB44_154
.LBB44_221:
	ds_load_b32 v34, v33 offset:480
	s_waitcnt lgkmcnt(0)
	v_add_f32_e32 v16, v16, v34
	s_or_b32 exec_lo, exec_lo, s0
	s_and_saveexec_b32 s0, vcc_lo
	s_cbranch_execz .LBB44_155
.LBB44_222:
	ds_load_b32 v34, v33 offset:512
	s_waitcnt lgkmcnt(0)
	v_add_f32_e32 v17, v17, v34
	s_or_b32 exec_lo, exec_lo, s0
	s_and_saveexec_b32 s0, vcc_lo
	s_cbranch_execz .LBB44_156
.LBB44_223:
	ds_load_b32 v34, v33 offset:544
	s_waitcnt lgkmcnt(0)
	v_add_f32_e32 v18, v18, v34
	s_or_b32 exec_lo, exec_lo, s0
	s_and_saveexec_b32 s0, vcc_lo
	s_cbranch_execz .LBB44_157
.LBB44_224:
	ds_load_b32 v34, v33 offset:576
	s_waitcnt lgkmcnt(0)
	v_add_f32_e32 v19, v19, v34
	s_or_b32 exec_lo, exec_lo, s0
	s_and_saveexec_b32 s0, vcc_lo
	s_cbranch_execz .LBB44_158
.LBB44_225:
	ds_load_b32 v34, v33 offset:608
	s_waitcnt lgkmcnt(0)
	v_add_f32_e32 v20, v20, v34
	s_or_b32 exec_lo, exec_lo, s0
	s_and_saveexec_b32 s0, vcc_lo
	s_cbranch_execz .LBB44_159
.LBB44_226:
	ds_load_b32 v34, v33 offset:640
	s_waitcnt lgkmcnt(0)
	v_add_f32_e32 v21, v21, v34
	s_or_b32 exec_lo, exec_lo, s0
	s_and_saveexec_b32 s0, vcc_lo
	s_cbranch_execz .LBB44_160
.LBB44_227:
	ds_load_b32 v34, v33 offset:672
	s_waitcnt lgkmcnt(0)
	v_add_f32_e32 v22, v22, v34
	s_or_b32 exec_lo, exec_lo, s0
	s_and_saveexec_b32 s0, vcc_lo
	s_cbranch_execz .LBB44_161
.LBB44_228:
	ds_load_b32 v34, v33 offset:704
	s_waitcnt lgkmcnt(0)
	v_add_f32_e32 v23, v23, v34
	s_or_b32 exec_lo, exec_lo, s0
	s_and_saveexec_b32 s0, vcc_lo
	s_cbranch_execz .LBB44_162
.LBB44_229:
	ds_load_b32 v34, v33 offset:736
	s_waitcnt lgkmcnt(0)
	v_add_f32_e32 v24, v24, v34
	s_or_b32 exec_lo, exec_lo, s0
	s_and_saveexec_b32 s0, vcc_lo
	s_cbranch_execz .LBB44_163
.LBB44_230:
	ds_load_b32 v34, v33 offset:768
	s_waitcnt lgkmcnt(0)
	v_add_f32_e32 v25, v25, v34
	s_or_b32 exec_lo, exec_lo, s0
	s_and_saveexec_b32 s0, vcc_lo
	s_cbranch_execz .LBB44_164
.LBB44_231:
	ds_load_b32 v34, v33 offset:800
	s_waitcnt lgkmcnt(0)
	v_add_f32_e32 v26, v26, v34
	s_or_b32 exec_lo, exec_lo, s0
	s_and_saveexec_b32 s0, vcc_lo
	s_cbranch_execz .LBB44_165
.LBB44_232:
	ds_load_b32 v34, v33 offset:832
	s_waitcnt lgkmcnt(0)
	v_add_f32_e32 v27, v27, v34
	s_or_b32 exec_lo, exec_lo, s0
	s_and_saveexec_b32 s0, vcc_lo
	s_cbranch_execz .LBB44_166
.LBB44_233:
	ds_load_b32 v34, v33 offset:864
	s_waitcnt lgkmcnt(0)
	v_add_f32_e32 v28, v28, v34
	s_or_b32 exec_lo, exec_lo, s0
	s_and_saveexec_b32 s0, vcc_lo
	s_cbranch_execz .LBB44_167
.LBB44_234:
	ds_load_b32 v34, v33 offset:896
	s_waitcnt lgkmcnt(0)
	v_add_f32_e32 v29, v29, v34
	s_or_b32 exec_lo, exec_lo, s0
	s_and_saveexec_b32 s0, vcc_lo
	s_cbranch_execz .LBB44_168
.LBB44_235:
	ds_load_b32 v34, v33 offset:928
	s_waitcnt lgkmcnt(0)
	v_add_f32_e32 v30, v30, v34
	s_or_b32 exec_lo, exec_lo, s0
	s_and_saveexec_b32 s0, vcc_lo
	s_cbranch_execz .LBB44_169
.LBB44_236:
	ds_load_b32 v34, v33 offset:960
	s_waitcnt lgkmcnt(0)
	v_add_f32_e32 v31, v31, v34
	s_or_b32 exec_lo, exec_lo, s0
	s_and_saveexec_b32 s0, vcc_lo
	s_cbranch_execnz .LBB44_170
	s_branch .LBB44_171
	.section	.rodata,"a",@progbits
	.p2align	6, 0x0
	.amdhsa_kernel _ZN4vllm25paged_attention_v2_kernelIffLi256ELi16ELi128ELNS_18Fp8KVCacheDataTypeE0ELb0ELi512EEEvPfS2_PT_PKS3_PKT0_S9_ifPKiSB_iPKfiiiSD_SD_iiiii
		.amdhsa_group_segment_fixed_size 1056
		.amdhsa_private_segment_fixed_size 36
		.amdhsa_kernarg_size 400
		.amdhsa_user_sgpr_count 13
		.amdhsa_user_sgpr_dispatch_ptr 0
		.amdhsa_user_sgpr_queue_ptr 0
		.amdhsa_user_sgpr_kernarg_segment_ptr 1
		.amdhsa_user_sgpr_dispatch_id 0
		.amdhsa_user_sgpr_private_segment_size 0
		.amdhsa_wavefront_size32 1
		.amdhsa_uses_dynamic_stack 0
		.amdhsa_enable_private_segment 1
		.amdhsa_system_sgpr_workgroup_id_x 1
		.amdhsa_system_sgpr_workgroup_id_y 1
		.amdhsa_system_sgpr_workgroup_id_z 1
		.amdhsa_system_sgpr_workgroup_info 0
		.amdhsa_system_vgpr_workitem_id 0
		.amdhsa_next_free_vgpr 192
		.amdhsa_next_free_sgpr 38
		.amdhsa_reserve_vcc 1
		.amdhsa_float_round_mode_32 0
		.amdhsa_float_round_mode_16_64 0
		.amdhsa_float_denorm_mode_32 3
		.amdhsa_float_denorm_mode_16_64 3
		.amdhsa_dx10_clamp 1
		.amdhsa_ieee_mode 1
		.amdhsa_fp16_overflow 0
		.amdhsa_workgroup_processor_mode 1
		.amdhsa_memory_ordered 1
		.amdhsa_forward_progress 0
		.amdhsa_shared_vgpr_count 0
		.amdhsa_exception_fp_ieee_invalid_op 0
		.amdhsa_exception_fp_denorm_src 0
		.amdhsa_exception_fp_ieee_div_zero 0
		.amdhsa_exception_fp_ieee_overflow 0
		.amdhsa_exception_fp_ieee_underflow 0
		.amdhsa_exception_fp_ieee_inexact 0
		.amdhsa_exception_int_div_zero 0
	.end_amdhsa_kernel
	.section	.text._ZN4vllm25paged_attention_v2_kernelIffLi256ELi16ELi128ELNS_18Fp8KVCacheDataTypeE0ELb0ELi512EEEvPfS2_PT_PKS3_PKT0_S9_ifPKiSB_iPKfiiiSD_SD_iiiii,"axG",@progbits,_ZN4vllm25paged_attention_v2_kernelIffLi256ELi16ELi128ELNS_18Fp8KVCacheDataTypeE0ELb0ELi512EEEvPfS2_PT_PKS3_PKT0_S9_ifPKiSB_iPKfiiiSD_SD_iiiii,comdat
.Lfunc_end44:
	.size	_ZN4vllm25paged_attention_v2_kernelIffLi256ELi16ELi128ELNS_18Fp8KVCacheDataTypeE0ELb0ELi512EEEvPfS2_PT_PKS3_PKT0_S9_ifPKiSB_iPKfiiiSD_SD_iiiii, .Lfunc_end44-_ZN4vllm25paged_attention_v2_kernelIffLi256ELi16ELi128ELNS_18Fp8KVCacheDataTypeE0ELb0ELi512EEEvPfS2_PT_PKS3_PKT0_S9_ifPKiSB_iPKfiiiSD_SD_iiiii
                                        ; -- End function
	.section	.AMDGPU.csdata,"",@progbits
; Kernel info:
; codeLenInByte = 13832
; NumSgprs: 40
; NumVgprs: 192
; ScratchSize: 36
; MemoryBound: 0
; FloatMode: 240
; IeeeMode: 1
; LDSByteSize: 1056 bytes/workgroup (compile time only)
; SGPRBlocks: 4
; VGPRBlocks: 23
; NumSGPRsForWavesPerEU: 40
; NumVGPRsForWavesPerEU: 192
; Occupancy: 8
; WaveLimiterHint : 1
; COMPUTE_PGM_RSRC2:SCRATCH_EN: 1
; COMPUTE_PGM_RSRC2:USER_SGPR: 13
; COMPUTE_PGM_RSRC2:TRAP_HANDLER: 0
; COMPUTE_PGM_RSRC2:TGID_X_EN: 1
; COMPUTE_PGM_RSRC2:TGID_Y_EN: 1
; COMPUTE_PGM_RSRC2:TGID_Z_EN: 1
; COMPUTE_PGM_RSRC2:TIDIG_COMP_CNT: 0
	.section	.text._ZN4vllm25paged_attention_v2_kernelIffLi32ELi32ELi128ELNS_18Fp8KVCacheDataTypeE0ELb1ELi512EEEvPfS2_PT_PKS3_PKT0_S9_ifPKiSB_iPKfiiiSD_SD_iiiii,"axG",@progbits,_ZN4vllm25paged_attention_v2_kernelIffLi32ELi32ELi128ELNS_18Fp8KVCacheDataTypeE0ELb1ELi512EEEvPfS2_PT_PKS3_PKT0_S9_ifPKiSB_iPKfiiiSD_SD_iiiii,comdat
	.protected	_ZN4vllm25paged_attention_v2_kernelIffLi32ELi32ELi128ELNS_18Fp8KVCacheDataTypeE0ELb1ELi512EEEvPfS2_PT_PKS3_PKT0_S9_ifPKiSB_iPKfiiiSD_SD_iiiii ; -- Begin function _ZN4vllm25paged_attention_v2_kernelIffLi32ELi32ELi128ELNS_18Fp8KVCacheDataTypeE0ELb1ELi512EEEvPfS2_PT_PKS3_PKT0_S9_ifPKiSB_iPKfiiiSD_SD_iiiii
	.globl	_ZN4vllm25paged_attention_v2_kernelIffLi32ELi32ELi128ELNS_18Fp8KVCacheDataTypeE0ELb1ELi512EEEvPfS2_PT_PKS3_PKT0_S9_ifPKiSB_iPKfiiiSD_SD_iiiii
	.p2align	8
	.type	_ZN4vllm25paged_attention_v2_kernelIffLi32ELi32ELi128ELNS_18Fp8KVCacheDataTypeE0ELb1ELi512EEEvPfS2_PT_PKS3_PKT0_S9_ifPKiSB_iPKfiiiSD_SD_iiiii,@function
_ZN4vllm25paged_attention_v2_kernelIffLi32ELi32ELi128ELNS_18Fp8KVCacheDataTypeE0ELb1ELi512EEEvPfS2_PT_PKS3_PKT0_S9_ifPKiSB_iPKfiiiSD_SD_iiiii: ; @_ZN4vllm25paged_attention_v2_kernelIffLi32ELi32ELi128ELNS_18Fp8KVCacheDataTypeE0ELb1ELi512EEEvPfS2_PT_PKS3_PKT0_S9_ifPKiSB_iPKfiiiSD_SD_iiiii
; %bb.0:
	s_load_b64 s[2:3], s[0:1], 0x40
	s_mov_b32 s12, s15
	s_ashr_i32 s15, s14, 31
	s_delay_alu instid0(SALU_CYCLE_1)
	s_lshl_b64 s[4:5], s[14:15], 2
	s_waitcnt lgkmcnt(0)
	s_add_u32 s2, s2, s4
	s_addc_u32 s3, s3, s5
	s_lshl_b32 s37, s12, 9
	s_load_b32 s15, s[2:3], 0x0
	s_waitcnt lgkmcnt(0)
	s_cmp_ge_i32 s37, s15
	s_cbranch_scc1 .LBB45_84
; %bb.1:
	s_mov_b32 s24, s13
	s_clause 0x1
	s_load_b32 s13, s[0:1], 0x90
	s_load_b64 s[2:3], s[0:1], 0x30
	s_mov_b32 s39, 0
	s_waitcnt lgkmcnt(0)
	s_abs_i32 s7, s13
	s_abs_i32 s4, s2
	s_delay_alu instid0(SALU_CYCLE_1) | instskip(SKIP_1) | instid1(VALU_DEP_1)
	v_cvt_f32_u32_e32 v1, s4
	s_sub_i32 s6, 0, s4
	v_rcp_iflag_f32_e32 v1, v1
	s_waitcnt_depctr 0xfff
	v_mul_f32_e32 v1, 0x4f7ffffe, v1
	s_delay_alu instid0(VALU_DEP_1) | instskip(NEXT) | instid1(VALU_DEP_1)
	v_cvt_u32_f32_e32 v1, v1
	v_readfirstlane_b32 s5, v1
	s_delay_alu instid0(VALU_DEP_1) | instskip(NEXT) | instid1(SALU_CYCLE_1)
	s_mul_i32 s6, s6, s5
	s_mul_hi_u32 s6, s5, s6
	s_delay_alu instid0(SALU_CYCLE_1) | instskip(SKIP_4) | instid1(SALU_CYCLE_1)
	s_add_i32 s5, s5, s6
	s_xor_b32 s6, s13, s2
	s_mul_hi_u32 s5, s7, s5
	s_ashr_i32 s6, s6, 31
	s_mul_i32 s8, s5, s4
	s_sub_i32 s7, s7, s8
	s_add_i32 s8, s5, 1
	s_sub_i32 s9, s7, s4
	s_cmp_ge_u32 s7, s4
	s_cselect_b32 s5, s8, s5
	s_cselect_b32 s7, s9, s7
	s_add_i32 s8, s5, 1
	s_cmp_ge_u32 s7, s4
	s_cselect_b32 s4, s8, s5
	s_abs_i32 s17, s24
	s_xor_b32 s4, s4, s6
	s_delay_alu instid0(SALU_CYCLE_1) | instskip(SKIP_2) | instid1(SALU_CYCLE_1)
	s_sub_i32 s8, s4, s6
	s_load_b64 s[4:5], s[0:1], 0x50
	s_abs_i32 s16, s8
	v_cvt_f32_u32_e32 v1, s16
	s_sub_i32 s7, 0, s16
	s_delay_alu instid0(VALU_DEP_1) | instskip(SKIP_2) | instid1(VALU_DEP_1)
	v_rcp_iflag_f32_e32 v1, v1
	s_waitcnt_depctr 0xfff
	v_mul_f32_e32 v1, 0x4f7ffffe, v1
	v_cvt_u32_f32_e32 v1, v1
	s_delay_alu instid0(VALU_DEP_1) | instskip(NEXT) | instid1(VALU_DEP_1)
	v_readfirstlane_b32 s6, v1
	s_mul_i32 s7, s7, s6
	s_delay_alu instid0(SALU_CYCLE_1) | instskip(NEXT) | instid1(SALU_CYCLE_1)
	s_mul_hi_u32 s7, s6, s7
	s_add_i32 s6, s6, s7
	s_waitcnt lgkmcnt(0)
	s_cmp_eq_u64 s[4:5], 0
	s_mul_hi_u32 s18, s17, s6
	s_cbranch_scc1 .LBB45_3
; %bb.2:
	s_ashr_i32 s25, s24, 31
	s_delay_alu instid0(SALU_CYCLE_1) | instskip(NEXT) | instid1(SALU_CYCLE_1)
	s_lshl_b64 s[6:7], s[24:25], 2
	s_add_u32 s4, s4, s6
	s_addc_u32 s5, s5, s7
	s_load_b32 s39, s[4:5], 0x0
.LBB45_3:
	s_load_b128 s[4:7], s[0:1], 0x58
	v_lshlrev_b32_e32 v35, 4, v0
	s_waitcnt lgkmcnt(0)
	s_ashr_i32 s7, s24, 31
	s_ashr_i32 s19, s8, 31
	s_lshl_b32 s20, s24, 5
	s_mov_b32 s8, exec_lo
	v_cmpx_gt_u32_e32 8, v0
	s_cbranch_execz .LBB45_5
; %bb.4:
	s_load_b64 s[10:11], s[0:1], 0x18
	s_mul_i32 s22, s14, s4
	s_delay_alu instid0(SALU_CYCLE_1) | instskip(NEXT) | instid1(SALU_CYCLE_1)
	s_ashr_i32 s23, s22, 31
	s_lshl_b64 s[22:23], s[22:23], 2
	s_waitcnt lgkmcnt(0)
	s_add_u32 s4, s10, s22
	s_addc_u32 s9, s11, s23
	s_ashr_i32 s21, s20, 31
	s_delay_alu instid0(SALU_CYCLE_1) | instskip(NEXT) | instid1(SALU_CYCLE_1)
	s_lshl_b64 s[10:11], s[20:21], 2
	s_add_u32 s10, s4, s10
	s_addc_u32 s11, s9, s11
	global_load_b128 v[1:4], v35, s[10:11]
	s_waitcnt vmcnt(0)
	ds_store_b128 v35, v[1:4]
.LBB45_5:
	s_or_b32 exec_lo, exec_lo, s8
	s_load_b128 s[8:11], s[0:1], 0x78
	s_mul_i32 s4, s18, s16
	s_xor_b32 s7, s7, s19
	s_sub_i32 s4, s17, s4
	s_add_i32 s17, s18, 1
	s_sub_i32 s19, s4, s16
	s_cmp_ge_u32 s4, s16
	s_waitcnt lgkmcnt(0)
	s_cselect_b32 s17, s17, s18
	s_cselect_b32 s4, s19, s4
	s_add_i32 s18, s17, 1
	s_cmp_ge_u32 s4, s16
	s_load_b32 s4, s[0:1], 0x88
	s_cselect_b32 s16, s18, s17
	s_mov_b32 s17, -1
	s_xor_b32 s16, s16, s7
	s_waitcnt lgkmcnt(0)
	s_barrier
	s_sub_i32 s34, s16, s7
	s_add_i32 s16, s15, -1
	buffer_gl0_inv
	s_abs_i32 s21, s11
	s_abs_i32 s28, s16
	v_cvt_f32_u32_e32 v1, s21
	s_sub_i32 s7, 0, s21
                                        ; implicit-def: $sgpr33
	s_delay_alu instid0(VALU_DEP_1) | instskip(SKIP_2) | instid1(VALU_DEP_1)
	v_rcp_iflag_f32_e32 v1, v1
	s_waitcnt_depctr 0xfff
	v_mul_f32_e32 v1, 0x4f7ffffe, v1
	v_cvt_u32_f32_e32 v1, v1
	s_delay_alu instid0(VALU_DEP_1) | instskip(NEXT) | instid1(VALU_DEP_1)
	v_readfirstlane_b32 s25, v1
	s_mul_i32 s7, s7, s25
	s_delay_alu instid0(SALU_CYCLE_1) | instskip(NEXT) | instid1(SALU_CYCLE_1)
	s_mul_hi_u32 s7, s25, s7
	s_add_i32 s25, s25, s7
	s_cmp_lt_i32 s4, 0
	s_mul_hi_u32 s7, s28, s25
	s_cbranch_scc0 .LBB45_7
; %bb.6:
	s_mul_i32 s2, s8, s2
	s_mov_b32 s17, 0
	s_add_i32 s2, s34, s2
	s_delay_alu instid0(SALU_CYCLE_1) | instskip(NEXT) | instid1(SALU_CYCLE_1)
	s_mul_i32 s2, s2, s4
	s_sub_i32 s33, 1, s2
.LBB45_7:
	s_load_b64 s[26:27], s[0:1], 0x38
	s_ashr_i32 s2, s16, 31
	s_and_not1_b32 vcc_lo, exec_lo, s17
	s_ashr_i32 s11, s11, 31
	s_cbranch_vccnz .LBB45_9
; %bb.8:
	s_mul_i32 s8, s13, s8
	s_delay_alu instid0(SALU_CYCLE_1) | instskip(NEXT) | instid1(SALU_CYCLE_1)
	s_add_i32 s8, s8, s24
	s_mul_i32 s4, s8, s4
	s_delay_alu instid0(SALU_CYCLE_1)
	s_add_i32 s33, s4, 1
.LBB45_9:
	s_clause 0x4
	s_load_b32 s8, s[0:1], 0x48
	s_load_b64 s[30:31], s[0:1], 0x28
	s_load_b32 s4, s[0:1], 0x98
	s_load_b128 s[16:19], s[0:1], 0x0
	s_load_b64 s[22:23], s[0:1], 0x10
	s_xor_b32 s35, s2, s11
	s_mul_i32 s2, s7, s21
	s_add_i32 s36, s7, 1
	s_sub_i32 s2, s28, s2
	v_lshrrev_b32_e32 v40, 5, v0
	v_and_b32_e32 v41, 31, v0
	v_mov_b32_e32 v39, 0xff7fffff
	s_mul_i32 s34, s34, s6
	s_delay_alu instid0(VALU_DEP_3) | instskip(NEXT) | instid1(VALU_DEP_3)
	v_lshl_add_u32 v42, v40, 5, s37
	v_lshlrev_b32_e32 v36, 2, v41
	s_waitcnt lgkmcnt(0)
	s_mul_i32 s28, s14, s8
	s_sub_i32 s8, s2, s21
	s_ashr_i32 s29, s28, 31
	s_cmp_ge_u32 s2, s21
	s_cselect_b32 s7, s36, s7
	s_cselect_b32 s2, s8, s2
	s_add_i32 s8, s7, 1
	s_cmp_ge_u32 s2, s21
	s_cselect_b32 s2, s8, s7
	s_add_i32 s8, s15, 31
	s_lshl_b32 s7, s12, 4
	s_ashr_i32 s36, s8, 31
	v_add_nc_u32_e32 v37, s7, v40
	s_lshr_b32 s36, s36, 27
	s_add_i32 s38, s7, 16
	s_add_i32 s8, s8, s36
	s_xor_b32 s40, s2, s35
	s_ashr_i32 s36, s8, 5
	v_ashrrev_i32_e32 v38, 31, v37
	s_min_i32 s8, s38, s36
	s_sub_i32 s38, s40, s35
	v_cmp_gt_i32_e64 s2, s8, v37
	s_delay_alu instid0(VALU_DEP_1)
	s_and_saveexec_b32 s6, s2
	s_cbranch_execz .LBB45_17
; %bb.10:
	s_load_b64 s[0:1], s[0:1], 0x20
	s_ashr_i32 s35, s34, 31
	v_lshl_or_b32 v46, v40, 7, v36
	s_lshl_b64 s[40:41], s[34:35], 2
	s_sub_i32 s35, s38, s9
	v_mov_b32_e32 v29, 0
	v_lshlrev_b64 v[33:34], 2, v[37:38]
	v_add_nc_u32_e32 v46, 0xa0, v46
	v_dual_mov_b32 v44, 0xff7fffff :: v_dual_lshlrev_b32 v47, 4, v41
	v_subrev_nc_u32_e32 v45, s15, v41
	v_cmp_neq_f32_e64 vcc_lo, s39, 0
	v_lshl_add_u32 v43, v40, 5, s37
	v_mov_b32_e32 v39, 0xff7fffff
	s_delay_alu instid0(VALU_DEP_4)
	v_add_nc_u32_e32 v45, 1, v45
	s_waitcnt lgkmcnt(0)
	s_add_u32 s42, s0, s40
	s_addc_u32 s41, s1, s41
	s_abs_i32 s40, s10
	v_add_co_u32 v47, s42, s42, v47
	v_cvt_f32_u32_e32 v1, s40
	s_sub_i32 s0, 0, s40
	s_delay_alu instid0(VALU_DEP_1) | instskip(SKIP_2) | instid1(VALU_DEP_1)
	v_rcp_iflag_f32_e32 v1, v1
	s_waitcnt_depctr 0xfff
	v_mul_f32_e32 v1, 0x4f7ffffe, v1
	v_cvt_u32_f32_e32 v49, v1
	ds_load_b128 v[1:4], v29
	ds_load_b128 v[5:8], v29 offset:16
	ds_load_b128 v[9:12], v29 offset:32
	;; [unrolled: 1-line block ×7, first 2 shown]
	v_mul_lo_u32 v48, s0, v49
	s_lshl_b64 s[0:1], s[28:29], 2
	s_delay_alu instid0(SALU_CYCLE_1) | instskip(SKIP_2) | instid1(VALU_DEP_1)
	s_add_u32 s0, s26, s0
	s_addc_u32 s1, s27, s1
	v_add_co_u32 v33, s0, s0, v33
	v_add_co_ci_u32_e64 v34, s0, s1, v34, s0
	s_delay_alu instid0(VALU_DEP_3) | instskip(SKIP_3) | instid1(VALU_DEP_2)
	v_mul_hi_u32 v50, v49, v48
	v_add_co_ci_u32_e64 v48, null, s41, 0, s42
	s_mov_b32 s42, s5
	s_mov_b32 s41, 0
	v_add_nc_u32_e32 v49, v49, v50
	v_mov_b32_e32 v50, v37
	s_branch .LBB45_12
.LBB45_11:                              ;   in Loop: Header=BB45_12 Depth=1
	s_or_b32 exec_lo, exec_lo, s1
	v_add_nc_u32_e32 v50, 4, v50
	v_add_co_u32 v33, s1, v33, 16
	s_delay_alu instid0(VALU_DEP_1) | instskip(NEXT) | instid1(VALU_DEP_3)
	v_add_co_ci_u32_e64 v34, s1, 0, v34, s1
	v_cmp_le_i32_e64 s0, s8, v50
	v_add_nc_u32_e32 v43, 0x80, v43
	v_add_nc_u32_e32 v46, 0x200, v46
	s_delay_alu instid0(VALU_DEP_3) | instskip(NEXT) | instid1(SALU_CYCLE_1)
	s_or_b32 s41, s0, s41
	s_and_not1_b32 exec_lo, exec_lo, s41
	s_cbranch_execz .LBB45_16
.LBB45_12:                              ; =>This Inner Loop Header: Depth=1
	v_sub_nc_u32_e32 v51, 0, v43
	s_delay_alu instid0(VALU_DEP_1) | instskip(NEXT) | instid1(VALU_DEP_1)
	v_max_i32_e32 v51, v43, v51
	v_mul_hi_u32 v52, v51, s25
	s_delay_alu instid0(VALU_DEP_1) | instskip(NEXT) | instid1(VALU_DEP_1)
	v_mul_lo_u32 v53, v52, s21
	v_sub_nc_u32_e32 v51, v51, v53
	v_add_nc_u32_e32 v53, 1, v52
	s_delay_alu instid0(VALU_DEP_2) | instskip(SKIP_1) | instid1(VALU_DEP_1)
	v_subrev_nc_u32_e32 v54, s21, v51
	v_cmp_le_u32_e64 s0, s21, v51
	v_cndmask_b32_e64 v52, v52, v53, s0
	s_delay_alu instid0(VALU_DEP_3) | instskip(SKIP_1) | instid1(VALU_DEP_3)
	v_cndmask_b32_e64 v51, v51, v54, s0
	v_ashrrev_i32_e32 v53, 31, v43
	v_add_nc_u32_e32 v54, 1, v52
	s_delay_alu instid0(VALU_DEP_3) | instskip(NEXT) | instid1(VALU_DEP_3)
	v_cmp_le_u32_e64 s0, s21, v51
	v_xor_b32_e32 v53, s11, v53
	s_delay_alu instid0(VALU_DEP_2) | instskip(NEXT) | instid1(VALU_DEP_1)
	v_cndmask_b32_e64 v51, v52, v54, s0
	v_xor_b32_e32 v51, v51, v53
	s_delay_alu instid0(VALU_DEP_1) | instskip(NEXT) | instid1(VALU_DEP_1)
	v_sub_nc_u32_e32 v51, v51, v53
	v_add_nc_u32_e32 v52, s33, v51
	v_cmp_ge_i32_e64 s1, s35, v51
	s_delay_alu instid0(VALU_DEP_2) | instskip(NEXT) | instid1(VALU_DEP_1)
	v_sub_nc_u32_e32 v53, 0, v52
	v_max_i32_e32 v53, v52, v53
	v_ashrrev_i32_e32 v52, 31, v52
	s_delay_alu instid0(VALU_DEP_2) | instskip(NEXT) | instid1(VALU_DEP_1)
	v_mul_hi_u32 v54, v53, v49
	v_mul_lo_u32 v54, v54, s40
	s_delay_alu instid0(VALU_DEP_1) | instskip(NEXT) | instid1(VALU_DEP_1)
	v_sub_nc_u32_e32 v53, v53, v54
	v_subrev_nc_u32_e32 v54, s40, v53
	v_cmp_le_u32_e64 s0, s40, v53
	s_delay_alu instid0(VALU_DEP_1) | instskip(NEXT) | instid1(VALU_DEP_1)
	v_cndmask_b32_e64 v53, v53, v54, s0
	v_subrev_nc_u32_e32 v54, s40, v53
	v_cmp_le_u32_e64 s0, s40, v53
	s_delay_alu instid0(VALU_DEP_1) | instskip(NEXT) | instid1(VALU_DEP_1)
	v_cndmask_b32_e64 v53, v53, v54, s0
	v_xor_b32_e32 v53, v53, v52
	s_delay_alu instid0(VALU_DEP_1) | instskip(NEXT) | instid1(VALU_DEP_1)
	v_sub_nc_u32_e32 v52, v53, v52
	v_cmp_ne_u32_e64 s0, 0, v52
	s_delay_alu instid0(VALU_DEP_1) | instskip(NEXT) | instid1(SALU_CYCLE_1)
	s_and_b32 s0, s0, s1
	s_and_saveexec_b32 s1, s0
	s_delay_alu instid0(SALU_CYCLE_1)
	s_xor_b32 s0, exec_lo, s1
	s_cbranch_execz .LBB45_14
; %bb.13:                               ;   in Loop: Header=BB45_12 Depth=1
	ds_store_b32 v46, v44
.LBB45_14:                              ;   in Loop: Header=BB45_12 Depth=1
	s_and_not1_saveexec_b32 s1, s0
	s_cbranch_execz .LBB45_11
; %bb.15:                               ;   in Loop: Header=BB45_12 Depth=1
	global_load_b32 v53, v[33:34], off
	s_waitcnt vmcnt(0)
	v_mad_i64_i32 v[51:52], null, v53, s42, 0
	s_delay_alu instid0(VALU_DEP_1) | instskip(NEXT) | instid1(VALU_DEP_1)
	v_lshlrev_b64 v[51:52], 2, v[51:52]
	v_add_co_u32 v79, s0, v47, v51
	s_delay_alu instid0(VALU_DEP_1)
	v_add_co_ci_u32_e64 v80, s0, v48, v52, s0
	s_clause 0x7
	global_load_b128 v[51:54], v[79:80], off offset:512
	global_load_b128 v[55:58], v[79:80], off
	global_load_b128 v[59:62], v[79:80], off offset:1024
	global_load_b128 v[63:66], v[79:80], off offset:1536
	;; [unrolled: 1-line block ×6, first 2 shown]
	s_waitcnt vmcnt(7) lgkmcnt(6)
	v_dual_mul_f32 v51, v5, v51 :: v_dual_mul_f32 v52, v6, v52
	v_dual_mul_f32 v53, v7, v53 :: v_dual_mul_f32 v54, v8, v54
	s_waitcnt vmcnt(6)
	s_delay_alu instid0(VALU_DEP_2) | instskip(NEXT) | instid1(VALU_DEP_2)
	v_dual_fmac_f32 v51, v1, v55 :: v_dual_fmac_f32 v52, v2, v56
	v_dual_fmac_f32 v53, v3, v57 :: v_dual_fmac_f32 v54, v4, v58
	s_waitcnt vmcnt(5) lgkmcnt(5)
	s_delay_alu instid0(VALU_DEP_2) | instskip(NEXT) | instid1(VALU_DEP_2)
	v_dual_fmac_f32 v51, v9, v59 :: v_dual_fmac_f32 v52, v10, v60
	v_dual_fmac_f32 v53, v11, v61 :: v_dual_fmac_f32 v54, v12, v62
	s_waitcnt vmcnt(4) lgkmcnt(4)
	;; [unrolled: 4-line block ×5, first 2 shown]
	s_delay_alu instid0(VALU_DEP_2) | instskip(SKIP_1) | instid1(VALU_DEP_3)
	v_dual_fmac_f32 v51, v25, v75 :: v_dual_fmac_f32 v52, v26, v76
	v_add_nc_u32_e32 v55, v45, v43
	v_dual_fmac_f32 v53, v27, v77 :: v_dual_fmac_f32 v54, v28, v78
	s_waitcnt vmcnt(0) lgkmcnt(0)
	s_delay_alu instid0(VALU_DEP_3) | instskip(NEXT) | instid1(VALU_DEP_3)
	v_dual_fmac_f32 v51, v29, v79 :: v_dual_fmac_f32 v52, v30, v80
	v_cvt_f32_i32_e32 v55, v55
	s_delay_alu instid0(VALU_DEP_3) | instskip(NEXT) | instid1(VALU_DEP_2)
	v_dual_fmac_f32 v53, v31, v81 :: v_dual_fmac_f32 v54, v32, v82
	v_dual_add_f32 v51, v51, v52 :: v_dual_mul_f32 v52, s39, v55
	s_delay_alu instid0(VALU_DEP_1) | instskip(SKIP_1) | instid1(VALU_DEP_2)
	v_dual_add_f32 v51, v53, v51 :: v_dual_cndmask_b32 v52, 0, v52
	v_max_f32_e32 v53, v39, v39
	v_add_f32_e32 v51, v54, v51
	s_delay_alu instid0(VALU_DEP_1) | instskip(SKIP_1) | instid1(VALU_DEP_2)
	v_fmac_f32_e32 v52, s3, v51
	v_add_nc_u32_e32 v51, v41, v43
	v_max_f32_e32 v53, v53, v52
	s_delay_alu instid0(VALU_DEP_2) | instskip(NEXT) | instid1(VALU_DEP_1)
	v_cmp_gt_i32_e64 s0, s15, v51
	v_cndmask_b32_e64 v51, 0, v52, s0
	s_delay_alu instid0(VALU_DEP_3)
	v_cndmask_b32_e64 v39, v39, v53, s0
	ds_store_b32 v46, v51
	s_branch .LBB45_11
.LBB45_16:
	s_or_b32 exec_lo, exec_lo, s41
.LBB45_17:
	s_delay_alu instid0(SALU_CYCLE_1) | instskip(SKIP_4) | instid1(VALU_DEP_2)
	s_or_b32 exec_lo, exec_lo, s6
	s_waitcnt lgkmcnt(7)
	v_mbcnt_lo_u32_b32 v1, -1, 0
	s_waitcnt lgkmcnt(6)
	v_max_f32_e32 v5, v39, v39
	v_xor_b32_e32 v2, 16, v1
	v_xor_b32_e32 v4, 8, v1
	s_delay_alu instid0(VALU_DEP_2) | instskip(SKIP_1) | instid1(VALU_DEP_3)
	v_cmp_gt_i32_e32 vcc_lo, 32, v2
	v_cndmask_b32_e32 v2, v1, v2, vcc_lo
	v_cmp_gt_i32_e32 vcc_lo, 32, v4
	s_delay_alu instid0(VALU_DEP_2) | instskip(SKIP_4) | instid1(VALU_DEP_1)
	v_lshlrev_b32_e32 v2, 2, v2
	v_cndmask_b32_e32 v4, v1, v4, vcc_lo
	ds_bpermute_b32 v3, v2, v39
	s_waitcnt lgkmcnt(0)
	v_dual_max_f32 v6, v3, v3 :: v_dual_lshlrev_b32 v3, 2, v4
	v_max_f32_e32 v4, v5, v6
	v_xor_b32_e32 v6, 4, v1
	ds_bpermute_b32 v5, v3, v4
	v_cmp_gt_i32_e32 vcc_lo, 32, v6
	v_cndmask_b32_e32 v6, v1, v6, vcc_lo
	s_delay_alu instid0(VALU_DEP_1) | instskip(SKIP_1) | instid1(VALU_DEP_1)
	v_lshlrev_b32_e32 v45, 2, v6
	v_xor_b32_e32 v6, 2, v1
	v_cmp_gt_i32_e32 vcc_lo, 32, v6
	s_waitcnt lgkmcnt(0)
	v_max_f32_e32 v5, v5, v5
	v_cndmask_b32_e32 v6, v1, v6, vcc_lo
	s_delay_alu instid0(VALU_DEP_1) | instskip(SKIP_1) | instid1(VALU_DEP_1)
	v_lshlrev_b32_e32 v44, 2, v6
	v_xor_b32_e32 v6, 1, v1
	v_cmp_gt_i32_e32 vcc_lo, 32, v6
	v_cndmask_b32_e32 v6, v1, v6, vcc_lo
	v_max_f32_e32 v4, v4, v5
	v_cmp_eq_u32_e32 vcc_lo, 0, v41
	s_delay_alu instid0(VALU_DEP_3) | instskip(SKIP_3) | instid1(VALU_DEP_1)
	v_lshlrev_b32_e32 v43, 2, v6
	ds_bpermute_b32 v5, v45, v4
	s_waitcnt lgkmcnt(0)
	v_max_f32_e32 v5, v5, v5
	v_max_f32_e32 v4, v4, v5
	ds_bpermute_b32 v5, v44, v4
	s_waitcnt lgkmcnt(0)
	v_max_f32_e32 v5, v5, v5
	s_delay_alu instid0(VALU_DEP_1)
	v_max_f32_e32 v1, v4, v5
	v_lshlrev_b32_e32 v5, 2, v40
	ds_bpermute_b32 v4, v43, v1
	s_and_saveexec_b32 s0, vcc_lo
	s_cbranch_execz .LBB45_19
; %bb.18:
	s_waitcnt lgkmcnt(0)
	v_dual_max_f32 v4, v4, v4 :: v_dual_max_f32 v1, v1, v1
	s_delay_alu instid0(VALU_DEP_1)
	v_max_f32_e32 v1, v1, v4
	ds_store_b32 v5, v1 offset:128
.LBB45_19:
	s_or_b32 exec_lo, exec_lo, s0
	v_cmp_gt_u32_e64 s0, 4, v41
	v_mov_b32_e32 v1, 0xff7fffff
	s_waitcnt lgkmcnt(0)
	s_barrier
	buffer_gl0_inv
	s_and_saveexec_b32 s1, s0
	s_cbranch_execz .LBB45_21
; %bb.20:
	ds_load_b32 v1, v36 offset:128
.LBB45_21:
	s_or_b32 exec_lo, exec_lo, s1
	s_waitcnt lgkmcnt(0)
	ds_bpermute_b32 v4, v44, v1
	v_max_f32_e32 v1, v1, v1
	s_sub_i32 s1, s8, s7
	v_mov_b32_e32 v6, 0
	s_lshl_b32 s1, s1, 5
	s_delay_alu instid0(SALU_CYCLE_1) | instskip(NEXT) | instid1(SALU_CYCLE_1)
	s_add_i32 s1, s1, s37
	s_min_i32 s1, s1, s15
	s_delay_alu instid0(SALU_CYCLE_1) | instskip(NEXT) | instid1(SALU_CYCLE_1)
	s_sub_i32 s6, s1, s37
	v_cmp_gt_i32_e64 s1, s6, v0
	s_waitcnt lgkmcnt(0)
	v_max_f32_e32 v4, v4, v4
	s_delay_alu instid0(VALU_DEP_1) | instskip(SKIP_3) | instid1(VALU_DEP_1)
	v_max_f32_e32 v1, v1, v4
	ds_bpermute_b32 v4, v43, v1
	s_waitcnt lgkmcnt(0)
	v_max_f32_e32 v4, v4, v4
	v_max_f32_e32 v1, v1, v4
	v_lshl_add_u32 v4, v0, 2, 0xa0
	ds_bpermute_b32 v1, v6, v1
	s_and_saveexec_b32 s7, s1
	s_cbranch_execz .LBB45_25
; %bb.22:
	v_lshl_add_u32 v7, v0, 2, 0xa0
	v_mov_b32_e32 v6, 0
	v_mov_b32_e32 v8, v0
	s_mov_b32 s35, 0
	.p2align	6
.LBB45_23:                              ; =>This Inner Loop Header: Depth=1
	ds_load_b32 v9, v7
	v_add_nc_u32_e32 v8, 0x80, v8
	s_delay_alu instid0(VALU_DEP_1) | instskip(NEXT) | instid1(VALU_DEP_1)
	v_cmp_le_i32_e64 s3, s6, v8
	s_or_b32 s35, s3, s35
	s_waitcnt lgkmcnt(0)
	v_sub_f32_e32 v9, v9, v1
	s_delay_alu instid0(VALU_DEP_1) | instskip(NEXT) | instid1(VALU_DEP_1)
	v_mul_f32_e32 v9, 0x3fb8aa3b, v9
	v_exp_f32_e32 v9, v9
	ds_store_b32 v7, v9
	v_dual_add_f32 v6, v6, v9 :: v_dual_add_nc_u32 v7, 0x200, v7
	s_and_not1_b32 exec_lo, exec_lo, s35
	s_cbranch_execnz .LBB45_23
; %bb.24:
	s_or_b32 exec_lo, exec_lo, s35
.LBB45_25:
	s_delay_alu instid0(SALU_CYCLE_1)
	s_or_b32 exec_lo, exec_lo, s7
	ds_bpermute_b32 v2, v2, v6
	s_waitcnt lgkmcnt(0)
	v_add_f32_e32 v2, v6, v2
	ds_bpermute_b32 v3, v3, v2
	s_waitcnt lgkmcnt(0)
	v_add_f32_e32 v2, v2, v3
	;; [unrolled: 3-line block ×5, first 2 shown]
	s_and_saveexec_b32 s3, vcc_lo
	s_cbranch_execz .LBB45_27
; %bb.26:
	ds_store_b32 v5, v2 offset:144
.LBB45_27:
	s_or_b32 exec_lo, exec_lo, s3
	s_waitcnt lgkmcnt(0)
	s_barrier
	buffer_gl0_inv
	s_and_saveexec_b32 s3, s0
	s_cbranch_execz .LBB45_29
; %bb.28:
	ds_load_b32 v2, v36 offset:144
.LBB45_29:
	s_or_b32 exec_lo, exec_lo, s3
	s_waitcnt lgkmcnt(0)
	ds_bpermute_b32 v3, v44, v2
	s_waitcnt lgkmcnt(0)
	v_add_f32_e32 v2, v2, v3
	ds_bpermute_b32 v3, v43, v2
	s_waitcnt lgkmcnt(0)
	v_dual_add_f32 v2, v2, v3 :: v_dual_mov_b32 v3, 0
	ds_bpermute_b32 v2, v3, v2
	s_and_saveexec_b32 s0, s1
	s_cbranch_execz .LBB45_32
; %bb.30:
	s_waitcnt lgkmcnt(0)
	v_add_f32_e32 v3, 0x358637bd, v2
	s_mov_b32 s1, 0
	s_delay_alu instid0(VALU_DEP_1) | instskip(SKIP_1) | instid1(VALU_DEP_2)
	v_div_scale_f32 v5, null, v3, v3, 1.0
	v_div_scale_f32 v8, vcc_lo, 1.0, v3, 1.0
	v_rcp_f32_e32 v6, v5
	s_waitcnt_depctr 0xfff
	v_fma_f32 v7, -v5, v6, 1.0
	s_delay_alu instid0(VALU_DEP_1) | instskip(NEXT) | instid1(VALU_DEP_1)
	v_fmac_f32_e32 v6, v7, v6
	v_mul_f32_e32 v7, v8, v6
	s_delay_alu instid0(VALU_DEP_1) | instskip(NEXT) | instid1(VALU_DEP_1)
	v_fma_f32 v9, -v5, v7, v8
	v_fmac_f32_e32 v7, v9, v6
	s_delay_alu instid0(VALU_DEP_1) | instskip(NEXT) | instid1(VALU_DEP_1)
	v_fma_f32 v5, -v5, v7, v8
	v_div_fmas_f32 v5, v5, v6, v7
	s_delay_alu instid0(VALU_DEP_1)
	v_div_fixup_f32 v3, v5, v3, 1.0
	v_mov_b32_e32 v5, v0
.LBB45_31:                              ; =>This Inner Loop Header: Depth=1
	ds_load_b32 v6, v4
	s_waitcnt lgkmcnt(0)
	v_dual_mul_f32 v6, v3, v6 :: v_dual_add_nc_u32 v5, 0x80, v5
	s_delay_alu instid0(VALU_DEP_1) | instskip(SKIP_3) | instid1(SALU_CYCLE_1)
	v_cmp_le_i32_e32 vcc_lo, s6, v5
	ds_store_b32 v4, v6
	v_add_nc_u32_e32 v4, 0x200, v4
	s_or_b32 s1, vcc_lo, s1
	s_and_not1_b32 exec_lo, exec_lo, s1
	s_cbranch_execnz .LBB45_31
.LBB45_32:
	s_or_b32 exec_lo, exec_lo, s0
	s_mul_i32 s0, s4, s14
	s_waitcnt lgkmcnt(0)
	s_mul_i32 s6, s0, s13
	s_mov_b32 s0, exec_lo
	s_barrier
	buffer_gl0_inv
	v_cmpx_eq_u32_e32 0, v0
	s_cbranch_execz .LBB45_34
; %bb.33:
	s_ashr_i32 s7, s6, 31
	s_mul_i32 s42, s4, s24
	s_lshl_b64 s[40:41], s[6:7], 2
	v_mov_b32_e32 v3, 0
	s_add_u32 s1, s18, s40
	s_addc_u32 s3, s19, s41
	s_ashr_i32 s43, s42, 31
	s_delay_alu instid0(SALU_CYCLE_1) | instskip(NEXT) | instid1(SALU_CYCLE_1)
	s_lshl_b64 s[18:19], s[42:43], 2
	s_add_u32 s1, s1, s18
	s_addc_u32 s3, s3, s19
	s_ashr_i32 s13, s12, 31
	s_delay_alu instid0(SALU_CYCLE_1) | instskip(NEXT) | instid1(SALU_CYCLE_1)
	s_lshl_b64 s[42:43], s[12:13], 2
	s_add_u32 s44, s1, s42
	s_addc_u32 s45, s3, s43
	s_add_u32 s1, s16, s40
	s_addc_u32 s3, s17, s41
	s_add_u32 s1, s1, s18
	s_addc_u32 s3, s3, s19
	s_add_u32 s16, s1, s42
	s_addc_u32 s17, s3, s43
	s_clause 0x1
	global_store_b32 v3, v1, s[44:45]
	global_store_b32 v3, v2, s[16:17]
.LBB45_34:
	s_or_b32 exec_lo, exec_lo, s0
	v_dual_mov_b32 v54, 0 :: v_dual_mov_b32 v49, 0
	v_dual_mov_b32 v51, 0 :: v_dual_and_b32 v46, 7, v0
	v_dual_mov_b32 v48, 0 :: v_dual_mov_b32 v53, 0
	v_dual_mov_b32 v50, 0 :: v_dual_mov_b32 v47, 0
	v_mov_b32_e32 v52, 0
	s_mov_b32 s3, 0
	s_and_saveexec_b32 s1, s2
	s_cbranch_execz .LBB45_56
; %bb.35:
	s_ashr_i32 s35, s34, 31
	s_sub_i32 s2, s38, s9
	s_lshl_b64 s[16:17], s[34:35], 2
	v_dual_mov_b32 v47, 0 :: v_dual_lshlrev_b32 v4, 2, v0
	s_add_u32 s0, s30, s16
	s_addc_u32 s9, s31, s17
	s_abs_i32 s7, s10
	s_delay_alu instid0(VALU_DEP_1) | instskip(SKIP_4) | instid1(VALU_DEP_2)
	v_dual_mov_b32 v54, 0 :: v_dual_and_b32 v55, 28, v4
	v_cvt_f32_u32_e32 v1, s7
	s_sub_i32 s10, 0, s7
	v_dual_mov_b32 v52, 0 :: v_dual_and_b32 v5, 0x1f0, v35
	s_lshl_b64 s[16:17], s[28:29], 2
	v_rcp_iflag_f32_e32 v3, v1
	v_lshlrev_b32_e32 v6, 4, v46
	v_lshlrev_b64 v[1:2], 2, v[37:38]
	v_add_co_u32 v56, s0, s0, v5
	s_add_i32 s36, s36, -1
	v_add_co_ci_u32_e64 v57, null, s9, 0, s0
	s_add_u32 s0, s26, s16
	s_addc_u32 s9, s27, s17
	s_waitcnt_depctr 0xfff
	v_mul_f32_e32 v3, 0x4f7ffffe, v3
	v_lshl_or_b32 v6, v40, 7, v6
	v_add_co_u32 v38, vcc_lo, s0, v1
	v_dual_mov_b32 v53, 0 :: v_dual_mov_b32 v50, 0
	s_delay_alu instid0(VALU_DEP_4) | instskip(SKIP_2) | instid1(VALU_DEP_3)
	v_cvt_u32_f32_e32 v3, v3
	v_dual_mov_b32 v51, 0 :: v_dual_mov_b32 v48, 0
	v_dual_mov_b32 v49, 0 :: v_dual_add_nc_u32 v58, 0xa0, v6
	v_mul_lo_u32 v4, s10, v3
	v_add_co_ci_u32_e32 v39, vcc_lo, s9, v2, vcc_lo
	s_delay_alu instid0(VALU_DEP_2) | instskip(NEXT) | instid1(VALU_DEP_1)
	v_mul_hi_u32 v4, v3, v4
	v_add_nc_u32_e32 v59, v3, v4
	s_branch .LBB45_38
.LBB45_36:                              ;   in Loop: Header=BB45_38 Depth=1
	s_or_b32 exec_lo, exec_lo, s0
	s_waitcnt vmcnt(4) lgkmcnt(0)
	v_mul_f32_e32 v18, v2, v18
	v_mul_f32_e32 v6, v2, v6
	s_waitcnt vmcnt(3)
	v_mul_f32_e32 v22, v2, v22
	v_mul_f32_e32 v10, v2, v10
	s_waitcnt vmcnt(1)
	v_mul_f32_e32 v30, v2, v30
	v_fmac_f32_e32 v18, v1, v17
	v_fmac_f32_e32 v6, v1, v5
	v_mul_f32_e32 v26, v2, v26
	v_fmac_f32_e32 v22, v1, v21
	v_mul_f32_e32 v14, v2, v14
	s_waitcnt vmcnt(0)
	v_mul_f32_e32 v2, v2, v34
	v_fmac_f32_e32 v10, v1, v9
	v_fmac_f32_e32 v18, v3, v19
	;; [unrolled: 1-line block ×14, first 2 shown]
	v_dual_add_f32 v47, v47, v6 :: v_dual_fmac_f32 v10, v4, v12
	v_fmac_f32_e32 v26, v3, v27
	v_add_f32_e32 v51, v51, v18
	v_dual_fmac_f32 v30, v3, v31 :: v_dual_add_f32 v49, v49, v22
	v_fmac_f32_e32 v14, v4, v16
	v_dual_fmac_f32 v2, v4, v36 :: v_dual_add_f32 v53, v53, v10
	s_delay_alu instid0(VALU_DEP_3) | instskip(SKIP_1) | instid1(VALU_DEP_4)
	v_fmac_f32_e32 v30, v4, v32
	v_fmac_f32_e32 v26, v4, v28
	v_add_f32_e32 v52, v52, v14
	s_delay_alu instid0(VALU_DEP_4) | instskip(NEXT) | instid1(VALU_DEP_4)
	v_add_f32_e32 v54, v54, v2
	v_add_f32_e32 v48, v48, v30
	s_delay_alu instid0(VALU_DEP_4)
	v_add_f32_e32 v50, v50, v26
.LBB45_37:                              ;   in Loop: Header=BB45_38 Depth=1
	s_or_b32 exec_lo, exec_lo, s9
	v_add_nc_u32_e32 v37, 4, v37
	v_add_co_u32 v38, s0, v38, 16
	s_delay_alu instid0(VALU_DEP_1) | instskip(NEXT) | instid1(VALU_DEP_3)
	v_add_co_ci_u32_e64 v39, s0, 0, v39, s0
	v_cmp_le_i32_e32 vcc_lo, s8, v37
	v_add_nc_u32_e32 v42, 0x80, v42
	v_add_nc_u32_e32 v58, 0x200, v58
	s_or_b32 s3, vcc_lo, s3
	s_delay_alu instid0(SALU_CYCLE_1)
	s_and_not1_b32 exec_lo, exec_lo, s3
	s_cbranch_execz .LBB45_55
.LBB45_38:                              ; =>This Inner Loop Header: Depth=1
	v_sub_nc_u32_e32 v1, 0, v42
	s_delay_alu instid0(VALU_DEP_1) | instskip(NEXT) | instid1(VALU_DEP_1)
	v_max_i32_e32 v1, v42, v1
	v_mul_hi_u32 v2, v1, s25
	s_delay_alu instid0(VALU_DEP_1) | instskip(NEXT) | instid1(VALU_DEP_1)
	v_mul_lo_u32 v3, v2, s21
	v_sub_nc_u32_e32 v1, v1, v3
	v_add_nc_u32_e32 v3, 1, v2
	s_delay_alu instid0(VALU_DEP_2) | instskip(SKIP_1) | instid1(VALU_DEP_2)
	v_subrev_nc_u32_e32 v4, s21, v1
	v_cmp_le_u32_e32 vcc_lo, s21, v1
	v_dual_cndmask_b32 v2, v2, v3 :: v_dual_cndmask_b32 v1, v1, v4
	v_ashrrev_i32_e32 v3, 31, v42
	s_delay_alu instid0(VALU_DEP_2) | instskip(NEXT) | instid1(VALU_DEP_3)
	v_add_nc_u32_e32 v4, 1, v2
	v_cmp_le_u32_e32 vcc_lo, s21, v1
	s_delay_alu instid0(VALU_DEP_3) | instskip(NEXT) | instid1(VALU_DEP_3)
	v_xor_b32_e32 v3, s11, v3
	v_cndmask_b32_e32 v1, v2, v4, vcc_lo
	s_delay_alu instid0(VALU_DEP_1) | instskip(NEXT) | instid1(VALU_DEP_1)
	v_xor_b32_e32 v1, v1, v3
	v_sub_nc_u32_e32 v1, v1, v3
	s_delay_alu instid0(VALU_DEP_1) | instskip(SKIP_1) | instid1(VALU_DEP_2)
	v_add_nc_u32_e32 v2, s33, v1
	v_cmp_lt_i32_e64 s0, s2, v1
	v_sub_nc_u32_e32 v3, 0, v2
	s_delay_alu instid0(VALU_DEP_1) | instskip(NEXT) | instid1(VALU_DEP_1)
	v_max_i32_e32 v3, v2, v3
	v_mul_hi_u32 v4, v3, v59
	s_delay_alu instid0(VALU_DEP_1) | instskip(NEXT) | instid1(VALU_DEP_1)
	v_mul_lo_u32 v4, v4, s7
	v_sub_nc_u32_e32 v3, v3, v4
	s_delay_alu instid0(VALU_DEP_1) | instskip(SKIP_1) | instid1(VALU_DEP_2)
	v_subrev_nc_u32_e32 v4, s7, v3
	v_cmp_le_u32_e32 vcc_lo, s7, v3
	v_cndmask_b32_e32 v3, v3, v4, vcc_lo
	v_ashrrev_i32_e32 v2, 31, v2
	s_delay_alu instid0(VALU_DEP_2) | instskip(SKIP_1) | instid1(VALU_DEP_2)
	v_subrev_nc_u32_e32 v4, s7, v3
	v_cmp_le_u32_e32 vcc_lo, s7, v3
	v_cndmask_b32_e32 v3, v3, v4, vcc_lo
	s_delay_alu instid0(VALU_DEP_1) | instskip(NEXT) | instid1(VALU_DEP_1)
	v_xor_b32_e32 v3, v3, v2
	v_sub_nc_u32_e32 v2, v3, v2
	s_delay_alu instid0(VALU_DEP_1) | instskip(SKIP_1) | instid1(SALU_CYCLE_1)
	v_cmp_eq_u32_e32 vcc_lo, 0, v2
	s_or_b32 s0, vcc_lo, s0
	s_and_saveexec_b32 s9, s0
	s_cbranch_execz .LBB45_37
; %bb.39:                               ;   in Loop: Header=BB45_38 Depth=1
	global_load_b32 v3, v[38:39], off
	v_add_nc_u32_e32 v60, v55, v42
	s_delay_alu instid0(VALU_DEP_1) | instskip(SKIP_4) | instid1(VALU_DEP_1)
	v_add_nc_u32_e32 v63, 1, v60
	v_add_nc_u32_e32 v62, 2, v60
	;; [unrolled: 1-line block ×3, first 2 shown]
	s_waitcnt vmcnt(0)
	v_mad_i64_i32 v[1:2], null, v3, s5, 0
	v_lshlrev_b64 v[1:2], 2, v[1:2]
	s_delay_alu instid0(VALU_DEP_1) | instskip(NEXT) | instid1(VALU_DEP_2)
	v_add_co_u32 v33, vcc_lo, v56, v1
	v_add_co_ci_u32_e32 v34, vcc_lo, v57, v2, vcc_lo
	ds_load_b128 v[1:4], v58
	v_cmp_eq_u32_e32 vcc_lo, s36, v37
	global_load_b128 v[5:8], v[33:34], off
	s_and_saveexec_b32 s10, vcc_lo
	s_cbranch_execnz .LBB45_47
; %bb.40:                               ;   in Loop: Header=BB45_38 Depth=1
	s_or_b32 exec_lo, exec_lo, s10
	global_load_b128 v[9:12], v[33:34], off offset:512
	s_and_saveexec_b32 s10, vcc_lo
	s_cbranch_execnz .LBB45_48
.LBB45_41:                              ;   in Loop: Header=BB45_38 Depth=1
	s_or_b32 exec_lo, exec_lo, s10
	global_load_b128 v[13:16], v[33:34], off offset:1024
	s_and_saveexec_b32 s10, vcc_lo
	s_cbranch_execnz .LBB45_49
.LBB45_42:                              ;   in Loop: Header=BB45_38 Depth=1
	s_or_b32 exec_lo, exec_lo, s10
	global_load_b128 v[17:20], v[33:34], off offset:1536
	s_and_saveexec_b32 s10, vcc_lo
	s_cbranch_execnz .LBB45_50
.LBB45_43:                              ;   in Loop: Header=BB45_38 Depth=1
	s_or_b32 exec_lo, exec_lo, s10
	global_load_b128 v[21:24], v[33:34], off offset:2048
	s_and_saveexec_b32 s10, vcc_lo
	s_cbranch_execnz .LBB45_51
.LBB45_44:                              ;   in Loop: Header=BB45_38 Depth=1
	s_or_b32 exec_lo, exec_lo, s10
	global_load_b128 v[25:28], v[33:34], off offset:2560
	s_and_saveexec_b32 s10, vcc_lo
	s_cbranch_execnz .LBB45_52
.LBB45_45:                              ;   in Loop: Header=BB45_38 Depth=1
	s_or_b32 exec_lo, exec_lo, s10
	global_load_b128 v[29:32], v[33:34], off offset:3072
	s_and_saveexec_b32 s10, vcc_lo
	s_cbranch_execnz .LBB45_53
.LBB45_46:                              ;   in Loop: Header=BB45_38 Depth=1
	s_or_b32 exec_lo, exec_lo, s10
	global_load_b128 v[33:36], v[33:34], off offset:3584
	s_and_saveexec_b32 s0, vcc_lo
	s_cbranch_execz .LBB45_36
	s_branch .LBB45_54
.LBB45_47:                              ;   in Loop: Header=BB45_38 Depth=1
	v_cmp_gt_i32_e64 s0, s15, v60
	s_waitcnt vmcnt(0)
	s_delay_alu instid0(VALU_DEP_1) | instskip(SKIP_1) | instid1(VALU_DEP_1)
	v_cndmask_b32_e64 v5, 0, v5, s0
	v_cmp_gt_i32_e64 s0, s15, v63
	v_cndmask_b32_e64 v6, 0, v6, s0
	v_cmp_gt_i32_e64 s0, s15, v62
	s_delay_alu instid0(VALU_DEP_1) | instskip(SKIP_1) | instid1(VALU_DEP_1)
	v_cndmask_b32_e64 v7, 0, v7, s0
	v_cmp_gt_i32_e64 s0, s15, v61
	v_cndmask_b32_e64 v8, 0, v8, s0
	s_or_b32 exec_lo, exec_lo, s10
	global_load_b128 v[9:12], v[33:34], off offset:512
	s_and_saveexec_b32 s10, vcc_lo
	s_cbranch_execz .LBB45_41
.LBB45_48:                              ;   in Loop: Header=BB45_38 Depth=1
	v_cmp_gt_i32_e64 s0, s15, v60
	s_waitcnt vmcnt(0)
	s_delay_alu instid0(VALU_DEP_1) | instskip(SKIP_1) | instid1(VALU_DEP_1)
	v_cndmask_b32_e64 v9, 0, v9, s0
	v_cmp_gt_i32_e64 s0, s15, v63
	v_cndmask_b32_e64 v10, 0, v10, s0
	v_cmp_gt_i32_e64 s0, s15, v62
	s_delay_alu instid0(VALU_DEP_1) | instskip(SKIP_1) | instid1(VALU_DEP_1)
	v_cndmask_b32_e64 v11, 0, v11, s0
	v_cmp_gt_i32_e64 s0, s15, v61
	v_cndmask_b32_e64 v12, 0, v12, s0
	s_or_b32 exec_lo, exec_lo, s10
	global_load_b128 v[13:16], v[33:34], off offset:1024
	s_and_saveexec_b32 s10, vcc_lo
	s_cbranch_execz .LBB45_42
.LBB45_49:                              ;   in Loop: Header=BB45_38 Depth=1
	v_cmp_gt_i32_e64 s0, s15, v60
	s_waitcnt vmcnt(0)
	s_delay_alu instid0(VALU_DEP_1) | instskip(SKIP_1) | instid1(VALU_DEP_1)
	v_cndmask_b32_e64 v13, 0, v13, s0
	v_cmp_gt_i32_e64 s0, s15, v63
	v_cndmask_b32_e64 v14, 0, v14, s0
	v_cmp_gt_i32_e64 s0, s15, v62
	s_delay_alu instid0(VALU_DEP_1) | instskip(SKIP_1) | instid1(VALU_DEP_1)
	v_cndmask_b32_e64 v15, 0, v15, s0
	v_cmp_gt_i32_e64 s0, s15, v61
	v_cndmask_b32_e64 v16, 0, v16, s0
	s_or_b32 exec_lo, exec_lo, s10
	global_load_b128 v[17:20], v[33:34], off offset:1536
	s_and_saveexec_b32 s10, vcc_lo
	s_cbranch_execz .LBB45_43
.LBB45_50:                              ;   in Loop: Header=BB45_38 Depth=1
	v_cmp_gt_i32_e64 s0, s15, v60
	s_waitcnt vmcnt(0)
	s_delay_alu instid0(VALU_DEP_1) | instskip(SKIP_1) | instid1(VALU_DEP_1)
	v_cndmask_b32_e64 v17, 0, v17, s0
	v_cmp_gt_i32_e64 s0, s15, v63
	v_cndmask_b32_e64 v18, 0, v18, s0
	v_cmp_gt_i32_e64 s0, s15, v62
	s_delay_alu instid0(VALU_DEP_1) | instskip(SKIP_1) | instid1(VALU_DEP_1)
	v_cndmask_b32_e64 v19, 0, v19, s0
	v_cmp_gt_i32_e64 s0, s15, v61
	v_cndmask_b32_e64 v20, 0, v20, s0
	s_or_b32 exec_lo, exec_lo, s10
	global_load_b128 v[21:24], v[33:34], off offset:2048
	s_and_saveexec_b32 s10, vcc_lo
	s_cbranch_execz .LBB45_44
.LBB45_51:                              ;   in Loop: Header=BB45_38 Depth=1
	v_cmp_gt_i32_e64 s0, s15, v60
	s_waitcnt vmcnt(0)
	s_delay_alu instid0(VALU_DEP_1) | instskip(SKIP_1) | instid1(VALU_DEP_1)
	v_cndmask_b32_e64 v21, 0, v21, s0
	v_cmp_gt_i32_e64 s0, s15, v63
	v_cndmask_b32_e64 v22, 0, v22, s0
	v_cmp_gt_i32_e64 s0, s15, v62
	s_delay_alu instid0(VALU_DEP_1) | instskip(SKIP_1) | instid1(VALU_DEP_1)
	v_cndmask_b32_e64 v23, 0, v23, s0
	v_cmp_gt_i32_e64 s0, s15, v61
	v_cndmask_b32_e64 v24, 0, v24, s0
	s_or_b32 exec_lo, exec_lo, s10
	global_load_b128 v[25:28], v[33:34], off offset:2560
	s_and_saveexec_b32 s10, vcc_lo
	s_cbranch_execz .LBB45_45
.LBB45_52:                              ;   in Loop: Header=BB45_38 Depth=1
	v_cmp_gt_i32_e64 s0, s15, v60
	s_waitcnt vmcnt(0)
	s_delay_alu instid0(VALU_DEP_1) | instskip(SKIP_1) | instid1(VALU_DEP_1)
	v_cndmask_b32_e64 v25, 0, v25, s0
	v_cmp_gt_i32_e64 s0, s15, v63
	v_cndmask_b32_e64 v26, 0, v26, s0
	v_cmp_gt_i32_e64 s0, s15, v62
	s_delay_alu instid0(VALU_DEP_1) | instskip(SKIP_1) | instid1(VALU_DEP_1)
	v_cndmask_b32_e64 v27, 0, v27, s0
	v_cmp_gt_i32_e64 s0, s15, v61
	v_cndmask_b32_e64 v28, 0, v28, s0
	s_or_b32 exec_lo, exec_lo, s10
	global_load_b128 v[29:32], v[33:34], off offset:3072
	s_and_saveexec_b32 s10, vcc_lo
	s_cbranch_execz .LBB45_46
.LBB45_53:                              ;   in Loop: Header=BB45_38 Depth=1
	v_cmp_gt_i32_e64 s0, s15, v60
	s_waitcnt vmcnt(0)
	s_delay_alu instid0(VALU_DEP_1) | instskip(SKIP_1) | instid1(VALU_DEP_1)
	v_cndmask_b32_e64 v29, 0, v29, s0
	v_cmp_gt_i32_e64 s0, s15, v63
	v_cndmask_b32_e64 v30, 0, v30, s0
	v_cmp_gt_i32_e64 s0, s15, v62
	s_delay_alu instid0(VALU_DEP_1) | instskip(SKIP_1) | instid1(VALU_DEP_1)
	v_cndmask_b32_e64 v31, 0, v31, s0
	v_cmp_gt_i32_e64 s0, s15, v61
	v_cndmask_b32_e64 v32, 0, v32, s0
	s_or_b32 exec_lo, exec_lo, s10
	global_load_b128 v[33:36], v[33:34], off offset:3584
	s_and_saveexec_b32 s0, vcc_lo
	s_cbranch_execz .LBB45_36
.LBB45_54:                              ;   in Loop: Header=BB45_38 Depth=1
	v_cmp_gt_i32_e32 vcc_lo, s15, v60
	s_waitcnt vmcnt(0)
	v_cndmask_b32_e32 v33, 0, v33, vcc_lo
	v_cmp_gt_i32_e32 vcc_lo, s15, v63
	v_cndmask_b32_e32 v34, 0, v34, vcc_lo
	v_cmp_gt_i32_e32 vcc_lo, s15, v62
	;; [unrolled: 2-line block ×3, first 2 shown]
	v_cndmask_b32_e32 v36, 0, v36, vcc_lo
	s_branch .LBB45_36
.LBB45_55:
	s_or_b32 exec_lo, exec_lo, s3
.LBB45_56:
	s_delay_alu instid0(SALU_CYCLE_1)
	s_or_b32 exec_lo, exec_lo, s1
	ds_bpermute_b32 v1, v45, v47
	ds_bpermute_b32 v2, v45, v53
	;; [unrolled: 1-line block ×8, first 2 shown]
	s_mov_b32 s0, exec_lo
	s_waitcnt lgkmcnt(0)
	s_waitcnt_vscnt null, 0x0
	s_barrier
	buffer_gl0_inv
	v_dual_add_f32 v1, v47, v1 :: v_dual_add_f32 v2, v53, v2
	v_dual_add_f32 v3, v52, v3 :: v_dual_add_f32 v4, v51, v4
	;; [unrolled: 1-line block ×4, first 2 shown]
	ds_bpermute_b32 v9, v44, v1
	ds_bpermute_b32 v10, v44, v2
	;; [unrolled: 1-line block ×8, first 2 shown]
	s_waitcnt lgkmcnt(6)
	v_dual_add_f32 v1, v1, v9 :: v_dual_add_f32 v2, v2, v10
	s_waitcnt lgkmcnt(4)
	v_dual_add_f32 v3, v3, v11 :: v_dual_add_f32 v4, v4, v12
	;; [unrolled: 2-line block ×4, first 2 shown]
	ds_bpermute_b32 v5, v43, v1
	ds_bpermute_b32 v6, v43, v2
	;; [unrolled: 1-line block ×8, first 2 shown]
	v_lshrrev_b32_e32 v9, 3, v41
	v_and_b32_e32 v20, 0x3c7, v0
	s_waitcnt lgkmcnt(6)
	v_dual_add_f32 v8, v1, v5 :: v_dual_add_f32 v7, v2, v6
	s_waitcnt lgkmcnt(4)
	v_dual_add_f32 v6, v3, v14 :: v_dual_add_f32 v5, v4, v15
	;; [unrolled: 2-line block ×4, first 2 shown]
	v_cmpx_eq_u32_e32 64, v20
	s_cbranch_execz .LBB45_58
; %bb.57:
	v_lshl_add_u32 v10, v40, 7, 0xa0
	v_lshlrev_b32_e32 v11, 2, v9
	s_delay_alu instid0(VALU_DEP_1)
	v_add3_u32 v10, v10, v11, 0xffffff00
	ds_store_2addr_b32 v10, v8, v7 offset1:4
	ds_store_2addr_b32 v10, v6, v5 offset0:8 offset1:12
	ds_store_2addr_b32 v10, v4, v3 offset0:16 offset1:20
	;; [unrolled: 1-line block ×3, first 2 shown]
.LBB45_58:
	s_or_b32 exec_lo, exec_lo, s0
	v_and_b32_e32 v10, 0x3e0, v0
	v_cmp_eq_u32_e32 vcc_lo, 0, v46
	s_mov_b32 s1, exec_lo
	s_waitcnt lgkmcnt(0)
	s_barrier
	v_lshl_add_u32 v10, v10, 2, 0xa0
	buffer_gl0_inv
	v_cmpx_gt_u32_e32 64, v0
	s_cbranch_execz .LBB45_69
; %bb.59:
	s_and_saveexec_b32 s0, vcc_lo
	s_cbranch_execnz .LBB45_85
; %bb.60:
	s_or_b32 exec_lo, exec_lo, s0
	s_and_saveexec_b32 s0, vcc_lo
	s_cbranch_execnz .LBB45_86
.LBB45_61:
	s_or_b32 exec_lo, exec_lo, s0
	s_and_saveexec_b32 s0, vcc_lo
	s_cbranch_execnz .LBB45_87
.LBB45_62:
	s_or_b32 exec_lo, exec_lo, s0
	s_and_saveexec_b32 s0, vcc_lo
	s_cbranch_execnz .LBB45_88
.LBB45_63:
	s_or_b32 exec_lo, exec_lo, s0
	s_and_saveexec_b32 s0, vcc_lo
	s_cbranch_execnz .LBB45_89
.LBB45_64:
	s_or_b32 exec_lo, exec_lo, s0
	s_and_saveexec_b32 s0, vcc_lo
	s_cbranch_execnz .LBB45_90
.LBB45_65:
	s_or_b32 exec_lo, exec_lo, s0
	s_and_saveexec_b32 s0, vcc_lo
	s_cbranch_execnz .LBB45_91
.LBB45_66:
	s_or_b32 exec_lo, exec_lo, s0
	s_and_saveexec_b32 s0, vcc_lo
	s_cbranch_execz .LBB45_68
.LBB45_67:
	v_lshl_add_u32 v11, v9, 2, v10
	ds_load_b32 v11, v11 offset:112
	s_waitcnt lgkmcnt(0)
	v_add_f32_e32 v1, v1, v11
.LBB45_68:
	s_or_b32 exec_lo, exec_lo, s0
.LBB45_69:
	s_delay_alu instid0(SALU_CYCLE_1)
	s_or_b32 exec_lo, exec_lo, s1
	v_and_b32_e32 v11, 0x3e7, v0
	s_mov_b32 s1, exec_lo
	s_barrier
	buffer_gl0_inv
	v_cmpx_eq_u32_e32 32, v11
	s_cbranch_execz .LBB45_71
; %bb.70:
	v_lshl_add_u32 v12, v9, 2, 0xa0
	ds_store_2addr_b32 v12, v8, v7 offset1:4
	ds_store_2addr_b32 v12, v6, v5 offset0:8 offset1:12
	ds_store_2addr_b32 v12, v4, v3 offset0:16 offset1:20
	;; [unrolled: 1-line block ×3, first 2 shown]
.LBB45_71:
	s_or_b32 exec_lo, exec_lo, s1
	s_delay_alu instid0(SALU_CYCLE_1)
	s_mov_b32 s1, exec_lo
	s_waitcnt lgkmcnt(0)
	s_barrier
	buffer_gl0_inv
	v_cmpx_gt_u32_e32 32, v0
	s_cbranch_execz .LBB45_82
; %bb.72:
	v_lshl_add_u32 v9, v9, 2, v10
	s_and_saveexec_b32 s0, vcc_lo
	s_cbranch_execnz .LBB45_92
; %bb.73:
	s_or_b32 exec_lo, exec_lo, s0
	s_and_saveexec_b32 s0, vcc_lo
	s_cbranch_execnz .LBB45_93
.LBB45_74:
	s_or_b32 exec_lo, exec_lo, s0
	s_and_saveexec_b32 s0, vcc_lo
	s_cbranch_execnz .LBB45_94
.LBB45_75:
	s_or_b32 exec_lo, exec_lo, s0
	s_and_saveexec_b32 s0, vcc_lo
	s_cbranch_execnz .LBB45_95
.LBB45_76:
	s_or_b32 exec_lo, exec_lo, s0
	s_and_saveexec_b32 s0, vcc_lo
	s_cbranch_execnz .LBB45_96
.LBB45_77:
	s_or_b32 exec_lo, exec_lo, s0
	s_and_saveexec_b32 s0, vcc_lo
	s_cbranch_execnz .LBB45_97
.LBB45_78:
	s_or_b32 exec_lo, exec_lo, s0
	s_and_saveexec_b32 s0, vcc_lo
	s_cbranch_execnz .LBB45_98
.LBB45_79:
	s_or_b32 exec_lo, exec_lo, s0
	s_and_saveexec_b32 s0, vcc_lo
	s_cbranch_execz .LBB45_81
.LBB45_80:
	ds_load_b32 v9, v9 offset:112
	s_waitcnt lgkmcnt(0)
	v_add_f32_e32 v1, v1, v9
.LBB45_81:
	s_or_b32 exec_lo, exec_lo, s0
.LBB45_82:
	s_delay_alu instid0(SALU_CYCLE_1)
	s_or_b32 exec_lo, exec_lo, s1
	s_barrier
	buffer_gl0_inv
	s_mov_b32 s0, exec_lo
	v_cmpx_eq_u32_e32 0, v11
	s_cbranch_execz .LBB45_84
; %bb.83:
	s_lshl_b32 s0, s6, 5
	s_mul_i32 s2, s4, s20
	s_ashr_i32 s1, s0, 31
	v_lshrrev_b32_e32 v0, 1, v0
	s_lshl_b64 s[0:1], s[0:1], 2
	s_delay_alu instid0(SALU_CYCLE_1) | instskip(SKIP_2) | instid1(SALU_CYCLE_1)
	s_add_u32 s4, s22, s0
	s_addc_u32 s5, s23, s1
	s_ashr_i32 s3, s2, 31
	s_lshl_b64 s[0:1], s[2:3], 2
	s_delay_alu instid0(SALU_CYCLE_1) | instskip(SKIP_2) | instid1(SALU_CYCLE_1)
	s_add_u32 s2, s4, s0
	s_addc_u32 s3, s5, s1
	s_lshl_b32 s0, s12, 5
	s_ashr_i32 s1, s0, 31
	s_delay_alu instid0(SALU_CYCLE_1) | instskip(NEXT) | instid1(SALU_CYCLE_1)
	s_lshl_b64 s[0:1], s[0:1], 2
	s_add_u32 s0, s2, s0
	s_addc_u32 s1, s3, s1
	s_clause 0x7
	global_store_b32 v0, v8, s[0:1]
	global_store_b32 v0, v7, s[0:1] offset:16
	global_store_b32 v0, v6, s[0:1] offset:32
	;; [unrolled: 1-line block ×7, first 2 shown]
.LBB45_84:
	s_nop 0
	s_sendmsg sendmsg(MSG_DEALLOC_VGPRS)
	s_endpgm
.LBB45_85:
	v_lshl_add_u32 v11, v9, 2, v10
	ds_load_b32 v11, v11
	s_waitcnt lgkmcnt(0)
	v_add_f32_e32 v8, v8, v11
	s_or_b32 exec_lo, exec_lo, s0
	s_and_saveexec_b32 s0, vcc_lo
	s_cbranch_execz .LBB45_61
.LBB45_86:
	v_lshl_add_u32 v11, v9, 2, v10
	ds_load_b32 v11, v11 offset:16
	s_waitcnt lgkmcnt(0)
	v_add_f32_e32 v7, v7, v11
	s_or_b32 exec_lo, exec_lo, s0
	s_and_saveexec_b32 s0, vcc_lo
	s_cbranch_execz .LBB45_62
.LBB45_87:
	v_lshl_add_u32 v11, v9, 2, v10
	ds_load_b32 v11, v11 offset:32
	s_waitcnt lgkmcnt(0)
	v_add_f32_e32 v6, v6, v11
	s_or_b32 exec_lo, exec_lo, s0
	s_and_saveexec_b32 s0, vcc_lo
	s_cbranch_execz .LBB45_63
.LBB45_88:
	v_lshl_add_u32 v11, v9, 2, v10
	ds_load_b32 v11, v11 offset:48
	s_waitcnt lgkmcnt(0)
	v_add_f32_e32 v5, v5, v11
	s_or_b32 exec_lo, exec_lo, s0
	s_and_saveexec_b32 s0, vcc_lo
	s_cbranch_execz .LBB45_64
.LBB45_89:
	v_lshl_add_u32 v11, v9, 2, v10
	ds_load_b32 v11, v11 offset:64
	s_waitcnt lgkmcnt(0)
	v_add_f32_e32 v4, v4, v11
	s_or_b32 exec_lo, exec_lo, s0
	s_and_saveexec_b32 s0, vcc_lo
	s_cbranch_execz .LBB45_65
.LBB45_90:
	v_lshl_add_u32 v11, v9, 2, v10
	ds_load_b32 v11, v11 offset:80
	s_waitcnt lgkmcnt(0)
	v_add_f32_e32 v3, v3, v11
	s_or_b32 exec_lo, exec_lo, s0
	s_and_saveexec_b32 s0, vcc_lo
	s_cbranch_execz .LBB45_66
.LBB45_91:
	v_lshl_add_u32 v11, v9, 2, v10
	ds_load_b32 v11, v11 offset:96
	s_waitcnt lgkmcnt(0)
	v_add_f32_e32 v2, v2, v11
	s_or_b32 exec_lo, exec_lo, s0
	s_and_saveexec_b32 s0, vcc_lo
	s_cbranch_execnz .LBB45_67
	s_branch .LBB45_68
.LBB45_92:
	ds_load_b32 v10, v9
	s_waitcnt lgkmcnt(0)
	v_add_f32_e32 v8, v8, v10
	s_or_b32 exec_lo, exec_lo, s0
	s_and_saveexec_b32 s0, vcc_lo
	s_cbranch_execz .LBB45_74
.LBB45_93:
	ds_load_b32 v10, v9 offset:16
	s_waitcnt lgkmcnt(0)
	v_add_f32_e32 v7, v7, v10
	s_or_b32 exec_lo, exec_lo, s0
	s_and_saveexec_b32 s0, vcc_lo
	s_cbranch_execz .LBB45_75
.LBB45_94:
	ds_load_b32 v10, v9 offset:32
	s_waitcnt lgkmcnt(0)
	v_add_f32_e32 v6, v6, v10
	s_or_b32 exec_lo, exec_lo, s0
	s_and_saveexec_b32 s0, vcc_lo
	s_cbranch_execz .LBB45_76
.LBB45_95:
	ds_load_b32 v10, v9 offset:48
	s_waitcnt lgkmcnt(0)
	v_add_f32_e32 v5, v5, v10
	s_or_b32 exec_lo, exec_lo, s0
	s_and_saveexec_b32 s0, vcc_lo
	s_cbranch_execz .LBB45_77
.LBB45_96:
	ds_load_b32 v10, v9 offset:64
	s_waitcnt lgkmcnt(0)
	v_add_f32_e32 v4, v4, v10
	s_or_b32 exec_lo, exec_lo, s0
	s_and_saveexec_b32 s0, vcc_lo
	s_cbranch_execz .LBB45_78
.LBB45_97:
	ds_load_b32 v10, v9 offset:80
	s_waitcnt lgkmcnt(0)
	v_add_f32_e32 v3, v3, v10
	s_or_b32 exec_lo, exec_lo, s0
	s_and_saveexec_b32 s0, vcc_lo
	s_cbranch_execz .LBB45_79
.LBB45_98:
	ds_load_b32 v10, v9 offset:96
	s_waitcnt lgkmcnt(0)
	v_add_f32_e32 v2, v2, v10
	s_or_b32 exec_lo, exec_lo, s0
	s_and_saveexec_b32 s0, vcc_lo
	s_cbranch_execnz .LBB45_80
	s_branch .LBB45_81
	.section	.rodata,"a",@progbits
	.p2align	6, 0x0
	.amdhsa_kernel _ZN4vllm25paged_attention_v2_kernelIffLi32ELi32ELi128ELNS_18Fp8KVCacheDataTypeE0ELb1ELi512EEEvPfS2_PT_PKS3_PKT0_S9_ifPKiSB_iPKfiiiSD_SD_iiiii
		.amdhsa_group_segment_fixed_size 160
		.amdhsa_private_segment_fixed_size 0
		.amdhsa_kernarg_size 400
		.amdhsa_user_sgpr_count 13
		.amdhsa_user_sgpr_dispatch_ptr 0
		.amdhsa_user_sgpr_queue_ptr 0
		.amdhsa_user_sgpr_kernarg_segment_ptr 1
		.amdhsa_user_sgpr_dispatch_id 0
		.amdhsa_user_sgpr_private_segment_size 0
		.amdhsa_wavefront_size32 1
		.amdhsa_uses_dynamic_stack 0
		.amdhsa_enable_private_segment 0
		.amdhsa_system_sgpr_workgroup_id_x 1
		.amdhsa_system_sgpr_workgroup_id_y 1
		.amdhsa_system_sgpr_workgroup_id_z 1
		.amdhsa_system_sgpr_workgroup_info 0
		.amdhsa_system_vgpr_workitem_id 0
		.amdhsa_next_free_vgpr 83
		.amdhsa_next_free_sgpr 46
		.amdhsa_reserve_vcc 1
		.amdhsa_float_round_mode_32 0
		.amdhsa_float_round_mode_16_64 0
		.amdhsa_float_denorm_mode_32 3
		.amdhsa_float_denorm_mode_16_64 3
		.amdhsa_dx10_clamp 1
		.amdhsa_ieee_mode 1
		.amdhsa_fp16_overflow 0
		.amdhsa_workgroup_processor_mode 1
		.amdhsa_memory_ordered 1
		.amdhsa_forward_progress 0
		.amdhsa_shared_vgpr_count 0
		.amdhsa_exception_fp_ieee_invalid_op 0
		.amdhsa_exception_fp_denorm_src 0
		.amdhsa_exception_fp_ieee_div_zero 0
		.amdhsa_exception_fp_ieee_overflow 0
		.amdhsa_exception_fp_ieee_underflow 0
		.amdhsa_exception_fp_ieee_inexact 0
		.amdhsa_exception_int_div_zero 0
	.end_amdhsa_kernel
	.section	.text._ZN4vllm25paged_attention_v2_kernelIffLi32ELi32ELi128ELNS_18Fp8KVCacheDataTypeE0ELb1ELi512EEEvPfS2_PT_PKS3_PKT0_S9_ifPKiSB_iPKfiiiSD_SD_iiiii,"axG",@progbits,_ZN4vllm25paged_attention_v2_kernelIffLi32ELi32ELi128ELNS_18Fp8KVCacheDataTypeE0ELb1ELi512EEEvPfS2_PT_PKS3_PKT0_S9_ifPKiSB_iPKfiiiSD_SD_iiiii,comdat
.Lfunc_end45:
	.size	_ZN4vllm25paged_attention_v2_kernelIffLi32ELi32ELi128ELNS_18Fp8KVCacheDataTypeE0ELb1ELi512EEEvPfS2_PT_PKS3_PKT0_S9_ifPKiSB_iPKfiiiSD_SD_iiiii, .Lfunc_end45-_ZN4vllm25paged_attention_v2_kernelIffLi32ELi32ELi128ELNS_18Fp8KVCacheDataTypeE0ELb1ELi512EEEvPfS2_PT_PKS3_PKT0_S9_ifPKiSB_iPKfiiiSD_SD_iiiii
                                        ; -- End function
	.section	.AMDGPU.csdata,"",@progbits
; Kernel info:
; codeLenInByte = 6232
; NumSgprs: 48
; NumVgprs: 83
; ScratchSize: 0
; MemoryBound: 0
; FloatMode: 240
; IeeeMode: 1
; LDSByteSize: 160 bytes/workgroup (compile time only)
; SGPRBlocks: 5
; VGPRBlocks: 10
; NumSGPRsForWavesPerEU: 48
; NumVGPRsForWavesPerEU: 83
; Occupancy: 16
; WaveLimiterHint : 1
; COMPUTE_PGM_RSRC2:SCRATCH_EN: 0
; COMPUTE_PGM_RSRC2:USER_SGPR: 13
; COMPUTE_PGM_RSRC2:TRAP_HANDLER: 0
; COMPUTE_PGM_RSRC2:TGID_X_EN: 1
; COMPUTE_PGM_RSRC2:TGID_Y_EN: 1
; COMPUTE_PGM_RSRC2:TGID_Z_EN: 1
; COMPUTE_PGM_RSRC2:TIDIG_COMP_CNT: 0
	.section	.text._ZN4vllm25paged_attention_v2_kernelIffLi64ELi32ELi128ELNS_18Fp8KVCacheDataTypeE0ELb1ELi512EEEvPfS2_PT_PKS3_PKT0_S9_ifPKiSB_iPKfiiiSD_SD_iiiii,"axG",@progbits,_ZN4vllm25paged_attention_v2_kernelIffLi64ELi32ELi128ELNS_18Fp8KVCacheDataTypeE0ELb1ELi512EEEvPfS2_PT_PKS3_PKT0_S9_ifPKiSB_iPKfiiiSD_SD_iiiii,comdat
	.protected	_ZN4vllm25paged_attention_v2_kernelIffLi64ELi32ELi128ELNS_18Fp8KVCacheDataTypeE0ELb1ELi512EEEvPfS2_PT_PKS3_PKT0_S9_ifPKiSB_iPKfiiiSD_SD_iiiii ; -- Begin function _ZN4vllm25paged_attention_v2_kernelIffLi64ELi32ELi128ELNS_18Fp8KVCacheDataTypeE0ELb1ELi512EEEvPfS2_PT_PKS3_PKT0_S9_ifPKiSB_iPKfiiiSD_SD_iiiii
	.globl	_ZN4vllm25paged_attention_v2_kernelIffLi64ELi32ELi128ELNS_18Fp8KVCacheDataTypeE0ELb1ELi512EEEvPfS2_PT_PKS3_PKT0_S9_ifPKiSB_iPKfiiiSD_SD_iiiii
	.p2align	8
	.type	_ZN4vllm25paged_attention_v2_kernelIffLi64ELi32ELi128ELNS_18Fp8KVCacheDataTypeE0ELb1ELi512EEEvPfS2_PT_PKS3_PKT0_S9_ifPKiSB_iPKfiiiSD_SD_iiiii,@function
_ZN4vllm25paged_attention_v2_kernelIffLi64ELi32ELi128ELNS_18Fp8KVCacheDataTypeE0ELb1ELi512EEEvPfS2_PT_PKS3_PKT0_S9_ifPKiSB_iPKfiiiSD_SD_iiiii: ; @_ZN4vllm25paged_attention_v2_kernelIffLi64ELi32ELi128ELNS_18Fp8KVCacheDataTypeE0ELb1ELi512EEEvPfS2_PT_PKS3_PKT0_S9_ifPKiSB_iPKfiiiSD_SD_iiiii
; %bb.0:
	s_load_b64 s[2:3], s[0:1], 0x40
	s_mov_b32 s12, s15
	s_ashr_i32 s15, s14, 31
	s_delay_alu instid0(SALU_CYCLE_1)
	s_lshl_b64 s[4:5], s[14:15], 2
	s_waitcnt lgkmcnt(0)
	s_add_u32 s2, s2, s4
	s_addc_u32 s3, s3, s5
	s_lshl_b32 s37, s12, 9
	s_load_b32 s15, s[2:3], 0x0
	s_waitcnt lgkmcnt(0)
	s_cmp_ge_i32 s37, s15
	s_cbranch_scc1 .LBB46_116
; %bb.1:
	s_mov_b32 s24, s13
	s_clause 0x1
	s_load_b32 s13, s[0:1], 0x90
	s_load_b64 s[2:3], s[0:1], 0x30
	s_mov_b32 s39, 0
	s_waitcnt lgkmcnt(0)
	s_abs_i32 s7, s13
	s_abs_i32 s4, s2
	s_delay_alu instid0(SALU_CYCLE_1) | instskip(SKIP_1) | instid1(VALU_DEP_1)
	v_cvt_f32_u32_e32 v1, s4
	s_sub_i32 s6, 0, s4
	v_rcp_iflag_f32_e32 v1, v1
	s_waitcnt_depctr 0xfff
	v_mul_f32_e32 v1, 0x4f7ffffe, v1
	s_delay_alu instid0(VALU_DEP_1) | instskip(NEXT) | instid1(VALU_DEP_1)
	v_cvt_u32_f32_e32 v1, v1
	v_readfirstlane_b32 s5, v1
	s_delay_alu instid0(VALU_DEP_1) | instskip(NEXT) | instid1(SALU_CYCLE_1)
	s_mul_i32 s6, s6, s5
	s_mul_hi_u32 s6, s5, s6
	s_delay_alu instid0(SALU_CYCLE_1) | instskip(SKIP_4) | instid1(SALU_CYCLE_1)
	s_add_i32 s5, s5, s6
	s_xor_b32 s6, s13, s2
	s_mul_hi_u32 s5, s7, s5
	s_ashr_i32 s6, s6, 31
	s_mul_i32 s8, s5, s4
	s_sub_i32 s7, s7, s8
	s_add_i32 s8, s5, 1
	s_sub_i32 s9, s7, s4
	s_cmp_ge_u32 s7, s4
	s_cselect_b32 s5, s8, s5
	s_cselect_b32 s7, s9, s7
	s_add_i32 s8, s5, 1
	s_cmp_ge_u32 s7, s4
	s_cselect_b32 s4, s8, s5
	s_abs_i32 s17, s24
	s_xor_b32 s4, s4, s6
	s_delay_alu instid0(SALU_CYCLE_1) | instskip(SKIP_2) | instid1(SALU_CYCLE_1)
	s_sub_i32 s8, s4, s6
	s_load_b64 s[4:5], s[0:1], 0x50
	s_abs_i32 s16, s8
	v_cvt_f32_u32_e32 v1, s16
	s_sub_i32 s7, 0, s16
	s_delay_alu instid0(VALU_DEP_1) | instskip(SKIP_2) | instid1(VALU_DEP_1)
	v_rcp_iflag_f32_e32 v1, v1
	s_waitcnt_depctr 0xfff
	v_mul_f32_e32 v1, 0x4f7ffffe, v1
	v_cvt_u32_f32_e32 v1, v1
	s_delay_alu instid0(VALU_DEP_1) | instskip(NEXT) | instid1(VALU_DEP_1)
	v_readfirstlane_b32 s6, v1
	s_mul_i32 s7, s7, s6
	s_delay_alu instid0(SALU_CYCLE_1) | instskip(NEXT) | instid1(SALU_CYCLE_1)
	s_mul_hi_u32 s7, s6, s7
	s_add_i32 s6, s6, s7
	s_waitcnt lgkmcnt(0)
	s_cmp_eq_u64 s[4:5], 0
	s_mul_hi_u32 s18, s17, s6
	s_cbranch_scc1 .LBB46_3
; %bb.2:
	s_ashr_i32 s25, s24, 31
	s_delay_alu instid0(SALU_CYCLE_1) | instskip(NEXT) | instid1(SALU_CYCLE_1)
	s_lshl_b64 s[6:7], s[24:25], 2
	s_add_u32 s4, s4, s6
	s_addc_u32 s5, s5, s7
	s_load_b32 s39, s[4:5], 0x0
.LBB46_3:
	s_load_b128 s[4:7], s[0:1], 0x58
	s_waitcnt lgkmcnt(0)
	s_ashr_i32 s7, s24, 31
	s_ashr_i32 s19, s8, 31
	s_lshl_b32 s20, s24, 6
	s_mov_b32 s8, exec_lo
	v_cmpx_gt_u32_e32 16, v0
	s_cbranch_execz .LBB46_5
; %bb.4:
	s_load_b64 s[10:11], s[0:1], 0x18
	s_mul_i32 s22, s14, s4
	v_lshlrev_b32_e32 v5, 4, v0
	s_ashr_i32 s23, s22, 31
	s_delay_alu instid0(SALU_CYCLE_1) | instskip(SKIP_4) | instid1(SALU_CYCLE_1)
	s_lshl_b64 s[22:23], s[22:23], 2
	s_waitcnt lgkmcnt(0)
	s_add_u32 s4, s10, s22
	s_addc_u32 s9, s11, s23
	s_ashr_i32 s21, s20, 31
	s_lshl_b64 s[10:11], s[20:21], 2
	s_delay_alu instid0(SALU_CYCLE_1)
	s_add_u32 s10, s4, s10
	s_addc_u32 s11, s9, s11
	global_load_b128 v[1:4], v5, s[10:11]
	s_waitcnt vmcnt(0)
	ds_store_b128 v5, v[1:4]
.LBB46_5:
	s_or_b32 exec_lo, exec_lo, s8
	s_load_b128 s[8:11], s[0:1], 0x78
	s_mul_i32 s4, s18, s16
	s_xor_b32 s7, s7, s19
	s_sub_i32 s4, s17, s4
	s_add_i32 s17, s18, 1
	s_sub_i32 s19, s4, s16
	s_cmp_ge_u32 s4, s16
	s_waitcnt lgkmcnt(0)
	s_cselect_b32 s17, s17, s18
	s_cselect_b32 s4, s19, s4
	s_add_i32 s18, s17, 1
	s_cmp_ge_u32 s4, s16
	s_load_b32 s4, s[0:1], 0x88
	s_cselect_b32 s16, s18, s17
	s_mov_b32 s17, -1
	s_xor_b32 s16, s16, s7
	s_waitcnt lgkmcnt(0)
	s_barrier
	s_sub_i32 s34, s16, s7
	s_add_i32 s16, s15, -1
	buffer_gl0_inv
	s_abs_i32 s21, s11
	s_abs_i32 s28, s16
	v_cvt_f32_u32_e32 v1, s21
	s_sub_i32 s7, 0, s21
                                        ; implicit-def: $sgpr33
	s_delay_alu instid0(VALU_DEP_1) | instskip(SKIP_2) | instid1(VALU_DEP_1)
	v_rcp_iflag_f32_e32 v1, v1
	s_waitcnt_depctr 0xfff
	v_mul_f32_e32 v1, 0x4f7ffffe, v1
	v_cvt_u32_f32_e32 v1, v1
	s_delay_alu instid0(VALU_DEP_1) | instskip(NEXT) | instid1(VALU_DEP_1)
	v_readfirstlane_b32 s25, v1
	s_mul_i32 s7, s7, s25
	s_delay_alu instid0(SALU_CYCLE_1) | instskip(NEXT) | instid1(SALU_CYCLE_1)
	s_mul_hi_u32 s7, s25, s7
	s_add_i32 s25, s25, s7
	s_cmp_lt_i32 s4, 0
	s_mul_hi_u32 s7, s28, s25
	s_cbranch_scc0 .LBB46_7
; %bb.6:
	s_mul_i32 s2, s8, s2
	s_mov_b32 s17, 0
	s_add_i32 s2, s34, s2
	s_delay_alu instid0(SALU_CYCLE_1) | instskip(NEXT) | instid1(SALU_CYCLE_1)
	s_mul_i32 s2, s2, s4
	s_sub_i32 s33, 1, s2
.LBB46_7:
	s_load_b64 s[26:27], s[0:1], 0x38
	s_ashr_i32 s2, s16, 31
	s_and_not1_b32 vcc_lo, exec_lo, s17
	s_ashr_i32 s11, s11, 31
	s_cbranch_vccnz .LBB46_9
; %bb.8:
	s_mul_i32 s8, s13, s8
	s_delay_alu instid0(SALU_CYCLE_1) | instskip(NEXT) | instid1(SALU_CYCLE_1)
	s_add_i32 s8, s8, s24
	s_mul_i32 s4, s8, s4
	s_delay_alu instid0(SALU_CYCLE_1)
	s_add_i32 s33, s4, 1
.LBB46_9:
	s_clause 0x4
	s_load_b32 s8, s[0:1], 0x48
	s_load_b64 s[30:31], s[0:1], 0x28
	s_load_b32 s4, s[0:1], 0x98
	s_load_b128 s[16:19], s[0:1], 0x0
	s_load_b64 s[22:23], s[0:1], 0x10
	s_xor_b32 s35, s2, s11
	s_mul_i32 s2, s7, s21
	s_add_i32 s36, s7, 1
	s_sub_i32 s2, s28, s2
	v_lshrrev_b32_e32 v72, 5, v0
	v_dual_mov_b32 v68, 0xff7fffff :: v_dual_and_b32 v73, 31, v0
	s_mul_i32 s34, s34, s6
	s_delay_alu instid0(VALU_DEP_2) | instskip(NEXT) | instid1(VALU_DEP_2)
	v_lshl_add_u32 v74, v72, 5, s37
	v_lshlrev_b32_e32 v67, 2, v73
	s_waitcnt lgkmcnt(0)
	s_mul_i32 s28, s14, s8
	s_sub_i32 s8, s2, s21
	s_ashr_i32 s29, s28, 31
	s_cmp_ge_u32 s2, s21
	s_cselect_b32 s7, s36, s7
	s_cselect_b32 s2, s8, s2
	s_add_i32 s8, s7, 1
	s_cmp_ge_u32 s2, s21
	s_cselect_b32 s2, s8, s7
	s_add_i32 s8, s15, 31
	s_lshl_b32 s7, s12, 4
	s_ashr_i32 s36, s8, 31
	v_add_nc_u32_e32 v69, s7, v72
	s_lshr_b32 s36, s36, 27
	s_add_i32 s38, s7, 16
	s_add_i32 s8, s8, s36
	s_xor_b32 s40, s2, s35
	s_ashr_i32 s36, s8, 5
	v_ashrrev_i32_e32 v70, 31, v69
	s_min_i32 s8, s38, s36
	s_sub_i32 s38, s40, s35
	v_cmp_gt_i32_e64 s2, s8, v69
	s_delay_alu instid0(VALU_DEP_1)
	s_and_saveexec_b32 s6, s2
	s_cbranch_execz .LBB46_17
; %bb.10:
	s_load_b64 s[0:1], s[0:1], 0x20
	s_ashr_i32 s35, s34, 31
	v_subrev_nc_u32_e32 v76, s15, v73
	s_lshl_b64 s[40:41], s[34:35], 2
	s_sub_i32 s35, s38, s9
	v_dual_mov_b32 v61, 0 :: v_dual_lshlrev_b32 v78, 4, v73
	v_lshlrev_b64 v[65:66], 2, v[69:70]
	v_lshl_or_b32 v77, v72, 7, v67
	v_cmp_neq_f32_e64 vcc_lo, s39, 0
	v_lshl_add_u32 v71, v72, 5, s37
	v_dual_mov_b32 v75, 0xff7fffff :: v_dual_mov_b32 v68, 0xff7fffff
	s_delay_alu instid0(VALU_DEP_4)
	v_add_nc_u32_e32 v77, 0x120, v77
	v_add_nc_u32_e32 v76, 1, v76
	s_waitcnt lgkmcnt(0)
	s_add_u32 s42, s0, s40
	s_addc_u32 s41, s1, s41
	s_abs_i32 s40, s10
	v_add_co_u32 v78, s42, s42, v78
	v_cvt_f32_u32_e32 v1, s40
	s_sub_i32 s0, 0, s40
	s_delay_alu instid0(VALU_DEP_1)
	v_rcp_iflag_f32_e32 v17, v1
	ds_load_b128 v[1:4], v61
	ds_load_b128 v[5:8], v61 offset:16
	ds_load_b128 v[9:12], v61 offset:32
	;; [unrolled: 1-line block ×3, first 2 shown]
	v_mul_f32_e32 v33, 0x4f7ffffe, v17
	ds_load_b128 v[17:20], v61 offset:64
	ds_load_b128 v[21:24], v61 offset:80
	;; [unrolled: 1-line block ×4, first 2 shown]
	v_cvt_u32_f32_e32 v80, v33
	ds_load_b128 v[33:36], v61 offset:128
	ds_load_b128 v[37:40], v61 offset:144
	ds_load_b128 v[41:44], v61 offset:160
	ds_load_b128 v[45:48], v61 offset:176
	ds_load_b128 v[49:52], v61 offset:192
	ds_load_b128 v[53:56], v61 offset:208
	ds_load_b128 v[57:60], v61 offset:224
	ds_load_b128 v[61:64], v61 offset:240
	v_mul_lo_u32 v79, s0, v80
	s_lshl_b64 s[0:1], s[28:29], 2
	s_delay_alu instid0(SALU_CYCLE_1) | instskip(SKIP_2) | instid1(VALU_DEP_1)
	s_add_u32 s0, s26, s0
	s_addc_u32 s1, s27, s1
	v_add_co_u32 v65, s0, s0, v65
	v_add_co_ci_u32_e64 v66, s0, s1, v66, s0
	s_delay_alu instid0(VALU_DEP_3) | instskip(SKIP_3) | instid1(VALU_DEP_2)
	v_mul_hi_u32 v81, v80, v79
	v_add_co_ci_u32_e64 v79, null, s41, 0, s42
	s_mov_b32 s42, s5
	s_mov_b32 s41, 0
	v_dual_mov_b32 v81, v69 :: v_dual_add_nc_u32 v80, v80, v81
	s_branch .LBB46_12
.LBB46_11:                              ;   in Loop: Header=BB46_12 Depth=1
	s_or_b32 exec_lo, exec_lo, s1
	v_add_nc_u32_e32 v81, 4, v81
	v_add_co_u32 v65, s1, v65, 16
	s_delay_alu instid0(VALU_DEP_1) | instskip(NEXT) | instid1(VALU_DEP_3)
	v_add_co_ci_u32_e64 v66, s1, 0, v66, s1
	v_cmp_le_i32_e64 s0, s8, v81
	v_add_nc_u32_e32 v71, 0x80, v71
	v_add_nc_u32_e32 v77, 0x200, v77
	s_delay_alu instid0(VALU_DEP_3) | instskip(NEXT) | instid1(SALU_CYCLE_1)
	s_or_b32 s41, s0, s41
	s_and_not1_b32 exec_lo, exec_lo, s41
	s_cbranch_execz .LBB46_16
.LBB46_12:                              ; =>This Inner Loop Header: Depth=1
	v_sub_nc_u32_e32 v82, 0, v71
	s_delay_alu instid0(VALU_DEP_1) | instskip(NEXT) | instid1(VALU_DEP_1)
	v_max_i32_e32 v82, v71, v82
	v_mul_hi_u32 v83, v82, s25
	s_delay_alu instid0(VALU_DEP_1) | instskip(NEXT) | instid1(VALU_DEP_1)
	v_mul_lo_u32 v84, v83, s21
	v_sub_nc_u32_e32 v82, v82, v84
	v_add_nc_u32_e32 v84, 1, v83
	s_delay_alu instid0(VALU_DEP_2) | instskip(SKIP_1) | instid1(VALU_DEP_1)
	v_subrev_nc_u32_e32 v85, s21, v82
	v_cmp_le_u32_e64 s0, s21, v82
	v_cndmask_b32_e64 v83, v83, v84, s0
	s_delay_alu instid0(VALU_DEP_3) | instskip(SKIP_1) | instid1(VALU_DEP_3)
	v_cndmask_b32_e64 v82, v82, v85, s0
	v_ashrrev_i32_e32 v84, 31, v71
	v_add_nc_u32_e32 v85, 1, v83
	s_delay_alu instid0(VALU_DEP_3) | instskip(NEXT) | instid1(VALU_DEP_3)
	v_cmp_le_u32_e64 s0, s21, v82
	v_xor_b32_e32 v84, s11, v84
	s_delay_alu instid0(VALU_DEP_2) | instskip(NEXT) | instid1(VALU_DEP_1)
	v_cndmask_b32_e64 v82, v83, v85, s0
	v_xor_b32_e32 v82, v82, v84
	s_delay_alu instid0(VALU_DEP_1) | instskip(NEXT) | instid1(VALU_DEP_1)
	v_sub_nc_u32_e32 v82, v82, v84
	v_add_nc_u32_e32 v83, s33, v82
	v_cmp_ge_i32_e64 s1, s35, v82
	s_delay_alu instid0(VALU_DEP_2) | instskip(NEXT) | instid1(VALU_DEP_1)
	v_sub_nc_u32_e32 v84, 0, v83
	v_max_i32_e32 v84, v83, v84
	v_ashrrev_i32_e32 v83, 31, v83
	s_delay_alu instid0(VALU_DEP_2) | instskip(NEXT) | instid1(VALU_DEP_1)
	v_mul_hi_u32 v85, v84, v80
	v_mul_lo_u32 v85, v85, s40
	s_delay_alu instid0(VALU_DEP_1) | instskip(NEXT) | instid1(VALU_DEP_1)
	v_sub_nc_u32_e32 v84, v84, v85
	v_subrev_nc_u32_e32 v85, s40, v84
	v_cmp_le_u32_e64 s0, s40, v84
	s_delay_alu instid0(VALU_DEP_1) | instskip(NEXT) | instid1(VALU_DEP_1)
	v_cndmask_b32_e64 v84, v84, v85, s0
	v_subrev_nc_u32_e32 v85, s40, v84
	v_cmp_le_u32_e64 s0, s40, v84
	s_delay_alu instid0(VALU_DEP_1) | instskip(NEXT) | instid1(VALU_DEP_1)
	v_cndmask_b32_e64 v84, v84, v85, s0
	v_xor_b32_e32 v84, v84, v83
	s_delay_alu instid0(VALU_DEP_1) | instskip(NEXT) | instid1(VALU_DEP_1)
	v_sub_nc_u32_e32 v83, v84, v83
	v_cmp_ne_u32_e64 s0, 0, v83
	s_delay_alu instid0(VALU_DEP_1) | instskip(NEXT) | instid1(SALU_CYCLE_1)
	s_and_b32 s0, s0, s1
	s_and_saveexec_b32 s1, s0
	s_delay_alu instid0(SALU_CYCLE_1)
	s_xor_b32 s0, exec_lo, s1
	s_cbranch_execz .LBB46_14
; %bb.13:                               ;   in Loop: Header=BB46_12 Depth=1
	ds_store_b32 v77, v75
.LBB46_14:                              ;   in Loop: Header=BB46_12 Depth=1
	s_and_not1_saveexec_b32 s1, s0
	s_cbranch_execz .LBB46_11
; %bb.15:                               ;   in Loop: Header=BB46_12 Depth=1
	global_load_b32 v84, v[65:66], off
	s_waitcnt vmcnt(0)
	v_mad_i64_i32 v[82:83], null, v84, s42, 0
	s_delay_alu instid0(VALU_DEP_1) | instskip(NEXT) | instid1(VALU_DEP_1)
	v_lshlrev_b64 v[82:83], 2, v[82:83]
	v_add_co_u32 v114, s0, v78, v82
	s_delay_alu instid0(VALU_DEP_1)
	v_add_co_ci_u32_e64 v115, s0, v79, v83, s0
	s_clause 0x7
	global_load_b128 v[82:85], v[114:115], off offset:512
	global_load_b128 v[86:89], v[114:115], off
	global_load_b128 v[90:93], v[114:115], off offset:1024
	global_load_b128 v[94:97], v[114:115], off offset:1536
	;; [unrolled: 1-line block ×6, first 2 shown]
	v_add_co_u32 v118, s0, 0x1000, v114
	s_delay_alu instid0(VALU_DEP_1)
	v_add_co_ci_u32_e64 v119, s0, 0, v115, s0
	global_load_b128 v[114:117], v[118:119], off
	s_waitcnt vmcnt(8) lgkmcnt(14)
	v_dual_mul_f32 v120, v5, v82 :: v_dual_mul_f32 v121, v6, v83
	v_dual_mul_f32 v122, v7, v84 :: v_dual_mul_f32 v123, v8, v85
	global_load_b128 v[82:85], v[118:119], off offset:512
	s_waitcnt vmcnt(8)
	v_dual_fmac_f32 v120, v1, v86 :: v_dual_fmac_f32 v121, v2, v87
	v_dual_fmac_f32 v122, v3, v88 :: v_dual_fmac_f32 v123, v4, v89
	global_load_b128 v[86:89], v[118:119], off offset:1024
	s_waitcnt vmcnt(8) lgkmcnt(13)
	v_dual_fmac_f32 v120, v9, v90 :: v_dual_fmac_f32 v121, v10, v91
	v_dual_fmac_f32 v122, v11, v92 :: v_dual_fmac_f32 v123, v12, v93
	global_load_b128 v[90:93], v[118:119], off offset:1536
	s_waitcnt vmcnt(8) lgkmcnt(12)
	;; [unrolled: 4-line block ×6, first 2 shown]
	v_dual_fmac_f32 v120, v29, v110 :: v_dual_fmac_f32 v121, v30, v111
	v_dual_fmac_f32 v122, v31, v112 :: v_dual_fmac_f32 v123, v32, v113
	s_waitcnt vmcnt(7) lgkmcnt(7)
	s_delay_alu instid0(VALU_DEP_2) | instskip(NEXT) | instid1(VALU_DEP_2)
	v_dual_fmac_f32 v120, v33, v114 :: v_dual_fmac_f32 v121, v34, v115
	v_dual_fmac_f32 v122, v35, v116 :: v_dual_fmac_f32 v123, v36, v117
	s_waitcnt vmcnt(6) lgkmcnt(6)
	s_delay_alu instid0(VALU_DEP_2) | instskip(NEXT) | instid1(VALU_DEP_2)
	v_dual_fmac_f32 v121, v38, v83 :: v_dual_fmac_f32 v120, v37, v82
	v_dual_fmac_f32 v122, v39, v84 :: v_dual_fmac_f32 v123, v40, v85
	v_add_nc_u32_e32 v82, v76, v71
	s_waitcnt vmcnt(5) lgkmcnt(5)
	s_delay_alu instid0(VALU_DEP_3) | instskip(NEXT) | instid1(VALU_DEP_3)
	v_dual_fmac_f32 v121, v42, v87 :: v_dual_fmac_f32 v120, v41, v86
	v_dual_fmac_f32 v122, v43, v88 :: v_dual_fmac_f32 v123, v44, v89
	s_delay_alu instid0(VALU_DEP_3) | instskip(SKIP_1) | instid1(VALU_DEP_3)
	v_cvt_f32_i32_e32 v82, v82
	s_waitcnt vmcnt(4) lgkmcnt(4)
	v_dual_fmac_f32 v121, v46, v91 :: v_dual_fmac_f32 v120, v45, v90
	s_delay_alu instid0(VALU_DEP_3) | instskip(SKIP_1) | instid1(VALU_DEP_2)
	v_dual_fmac_f32 v122, v47, v92 :: v_dual_fmac_f32 v123, v48, v93
	s_waitcnt vmcnt(3) lgkmcnt(3)
	v_dual_max_f32 v84, v68, v68 :: v_dual_fmac_f32 v121, v50, v95
	s_delay_alu instid0(VALU_DEP_3) | instskip(NEXT) | instid1(VALU_DEP_3)
	v_fmac_f32_e32 v120, v49, v94
	v_dual_fmac_f32 v122, v51, v96 :: v_dual_fmac_f32 v123, v52, v97
	s_waitcnt vmcnt(2) lgkmcnt(2)
	s_delay_alu instid0(VALU_DEP_2) | instskip(NEXT) | instid1(VALU_DEP_2)
	v_dual_fmac_f32 v121, v54, v99 :: v_dual_fmac_f32 v120, v53, v98
	v_dual_fmac_f32 v122, v55, v100 :: v_dual_fmac_f32 v123, v56, v101
	s_waitcnt vmcnt(1) lgkmcnt(1)
	s_delay_alu instid0(VALU_DEP_2) | instskip(NEXT) | instid1(VALU_DEP_2)
	v_dual_fmac_f32 v121, v58, v103 :: v_dual_fmac_f32 v120, v57, v102
	v_dual_fmac_f32 v122, v59, v104 :: v_dual_fmac_f32 v123, v60, v105
	s_waitcnt vmcnt(0) lgkmcnt(0)
	s_delay_alu instid0(VALU_DEP_2) | instskip(NEXT) | instid1(VALU_DEP_3)
	v_dual_mul_f32 v82, s39, v82 :: v_dual_fmac_f32 v121, v62, v107
	v_fmac_f32_e32 v120, v61, v106
	s_delay_alu instid0(VALU_DEP_3) | instskip(NEXT) | instid1(VALU_DEP_2)
	v_dual_fmac_f32 v122, v63, v108 :: v_dual_fmac_f32 v123, v64, v109
	v_dual_cndmask_b32 v82, 0, v82 :: v_dual_add_f32 v83, v120, v121
	s_delay_alu instid0(VALU_DEP_1) | instskip(NEXT) | instid1(VALU_DEP_1)
	v_add_f32_e32 v83, v122, v83
	v_add_f32_e32 v83, v123, v83
	s_delay_alu instid0(VALU_DEP_1) | instskip(NEXT) | instid1(VALU_DEP_1)
	v_fmac_f32_e32 v82, s3, v83
	v_dual_max_f32 v84, v84, v82 :: v_dual_add_nc_u32 v83, v73, v71
	s_delay_alu instid0(VALU_DEP_1) | instskip(NEXT) | instid1(VALU_DEP_1)
	v_cmp_gt_i32_e64 s0, s15, v83
	v_cndmask_b32_e64 v82, 0, v82, s0
	s_delay_alu instid0(VALU_DEP_3)
	v_cndmask_b32_e64 v68, v68, v84, s0
	ds_store_b32 v77, v82
	s_branch .LBB46_11
.LBB46_16:
	s_or_b32 exec_lo, exec_lo, s41
.LBB46_17:
	s_delay_alu instid0(SALU_CYCLE_1) | instskip(SKIP_4) | instid1(VALU_DEP_2)
	s_or_b32 exec_lo, exec_lo, s6
	s_waitcnt lgkmcnt(15)
	v_mbcnt_lo_u32_b32 v1, -1, 0
	s_waitcnt lgkmcnt(14)
	v_max_f32_e32 v5, v68, v68
	v_xor_b32_e32 v2, 16, v1
	v_xor_b32_e32 v4, 8, v1
	s_delay_alu instid0(VALU_DEP_2) | instskip(SKIP_1) | instid1(VALU_DEP_3)
	v_cmp_gt_i32_e32 vcc_lo, 32, v2
	v_cndmask_b32_e32 v2, v1, v2, vcc_lo
	v_cmp_gt_i32_e32 vcc_lo, 32, v4
	s_delay_alu instid0(VALU_DEP_2) | instskip(SKIP_4) | instid1(VALU_DEP_1)
	v_lshlrev_b32_e32 v2, 2, v2
	v_cndmask_b32_e32 v4, v1, v4, vcc_lo
	ds_bpermute_b32 v3, v2, v68
	s_waitcnt lgkmcnt(0)
	v_dual_max_f32 v6, v3, v3 :: v_dual_lshlrev_b32 v3, 2, v4
	v_max_f32_e32 v4, v5, v6
	v_xor_b32_e32 v6, 4, v1
	ds_bpermute_b32 v5, v3, v4
	v_cmp_gt_i32_e32 vcc_lo, 32, v6
	v_cndmask_b32_e32 v6, v1, v6, vcc_lo
	s_delay_alu instid0(VALU_DEP_1) | instskip(SKIP_1) | instid1(VALU_DEP_1)
	v_lshlrev_b32_e32 v77, 2, v6
	v_xor_b32_e32 v6, 2, v1
	v_cmp_gt_i32_e32 vcc_lo, 32, v6
	s_waitcnt lgkmcnt(0)
	v_max_f32_e32 v5, v5, v5
	v_cndmask_b32_e32 v6, v1, v6, vcc_lo
	s_delay_alu instid0(VALU_DEP_1) | instskip(SKIP_1) | instid1(VALU_DEP_1)
	v_lshlrev_b32_e32 v76, 2, v6
	v_xor_b32_e32 v6, 1, v1
	v_cmp_gt_i32_e32 vcc_lo, 32, v6
	v_cndmask_b32_e32 v6, v1, v6, vcc_lo
	v_max_f32_e32 v4, v4, v5
	v_cmp_eq_u32_e32 vcc_lo, 0, v73
	s_delay_alu instid0(VALU_DEP_3) | instskip(SKIP_3) | instid1(VALU_DEP_1)
	v_lshlrev_b32_e32 v75, 2, v6
	ds_bpermute_b32 v5, v77, v4
	s_waitcnt lgkmcnt(0)
	v_max_f32_e32 v5, v5, v5
	v_max_f32_e32 v4, v4, v5
	ds_bpermute_b32 v5, v76, v4
	s_waitcnt lgkmcnt(0)
	v_max_f32_e32 v5, v5, v5
	s_delay_alu instid0(VALU_DEP_1)
	v_max_f32_e32 v1, v4, v5
	v_lshlrev_b32_e32 v5, 2, v72
	ds_bpermute_b32 v4, v75, v1
	s_and_saveexec_b32 s0, vcc_lo
	s_cbranch_execz .LBB46_19
; %bb.18:
	s_waitcnt lgkmcnt(0)
	v_dual_max_f32 v4, v4, v4 :: v_dual_max_f32 v1, v1, v1
	s_delay_alu instid0(VALU_DEP_1)
	v_max_f32_e32 v1, v1, v4
	ds_store_b32 v5, v1 offset:256
.LBB46_19:
	s_or_b32 exec_lo, exec_lo, s0
	v_cmp_gt_u32_e64 s0, 4, v73
	v_mov_b32_e32 v1, 0xff7fffff
	s_waitcnt lgkmcnt(0)
	s_barrier
	buffer_gl0_inv
	s_and_saveexec_b32 s1, s0
	s_cbranch_execz .LBB46_21
; %bb.20:
	ds_load_b32 v1, v67 offset:256
.LBB46_21:
	s_or_b32 exec_lo, exec_lo, s1
	s_waitcnt lgkmcnt(0)
	ds_bpermute_b32 v4, v76, v1
	v_max_f32_e32 v1, v1, v1
	s_sub_i32 s1, s8, s7
	v_mov_b32_e32 v6, 0
	s_lshl_b32 s1, s1, 5
	s_delay_alu instid0(SALU_CYCLE_1) | instskip(NEXT) | instid1(SALU_CYCLE_1)
	s_add_i32 s1, s1, s37
	s_min_i32 s1, s1, s15
	s_delay_alu instid0(SALU_CYCLE_1) | instskip(NEXT) | instid1(SALU_CYCLE_1)
	s_sub_i32 s6, s1, s37
	v_cmp_gt_i32_e64 s1, s6, v0
	s_waitcnt lgkmcnt(0)
	v_max_f32_e32 v4, v4, v4
	s_delay_alu instid0(VALU_DEP_1) | instskip(SKIP_3) | instid1(VALU_DEP_1)
	v_max_f32_e32 v1, v1, v4
	ds_bpermute_b32 v4, v75, v1
	s_waitcnt lgkmcnt(0)
	v_max_f32_e32 v4, v4, v4
	v_max_f32_e32 v1, v1, v4
	v_lshl_add_u32 v4, v0, 2, 0x120
	ds_bpermute_b32 v1, v6, v1
	s_and_saveexec_b32 s7, s1
	s_cbranch_execz .LBB46_25
; %bb.22:
	v_lshl_add_u32 v7, v0, 2, 0x120
	v_mov_b32_e32 v6, 0
	v_mov_b32_e32 v8, v0
	s_mov_b32 s35, 0
	.p2align	6
.LBB46_23:                              ; =>This Inner Loop Header: Depth=1
	ds_load_b32 v9, v7
	v_add_nc_u32_e32 v8, 0x80, v8
	s_delay_alu instid0(VALU_DEP_1) | instskip(NEXT) | instid1(VALU_DEP_1)
	v_cmp_le_i32_e64 s3, s6, v8
	s_or_b32 s35, s3, s35
	s_waitcnt lgkmcnt(0)
	v_sub_f32_e32 v9, v9, v1
	s_delay_alu instid0(VALU_DEP_1) | instskip(NEXT) | instid1(VALU_DEP_1)
	v_mul_f32_e32 v9, 0x3fb8aa3b, v9
	v_exp_f32_e32 v9, v9
	ds_store_b32 v7, v9
	v_dual_add_f32 v6, v6, v9 :: v_dual_add_nc_u32 v7, 0x200, v7
	s_and_not1_b32 exec_lo, exec_lo, s35
	s_cbranch_execnz .LBB46_23
; %bb.24:
	s_or_b32 exec_lo, exec_lo, s35
.LBB46_25:
	s_delay_alu instid0(SALU_CYCLE_1)
	s_or_b32 exec_lo, exec_lo, s7
	ds_bpermute_b32 v2, v2, v6
	s_waitcnt lgkmcnt(0)
	v_add_f32_e32 v2, v6, v2
	ds_bpermute_b32 v3, v3, v2
	s_waitcnt lgkmcnt(0)
	v_add_f32_e32 v2, v2, v3
	;; [unrolled: 3-line block ×5, first 2 shown]
	s_and_saveexec_b32 s3, vcc_lo
	s_cbranch_execz .LBB46_27
; %bb.26:
	ds_store_b32 v5, v2 offset:272
.LBB46_27:
	s_or_b32 exec_lo, exec_lo, s3
	s_waitcnt lgkmcnt(0)
	s_barrier
	buffer_gl0_inv
	s_and_saveexec_b32 s3, s0
	s_cbranch_execz .LBB46_29
; %bb.28:
	ds_load_b32 v2, v67 offset:272
.LBB46_29:
	s_or_b32 exec_lo, exec_lo, s3
	s_waitcnt lgkmcnt(0)
	ds_bpermute_b32 v3, v76, v2
	s_waitcnt lgkmcnt(0)
	v_add_f32_e32 v2, v2, v3
	ds_bpermute_b32 v3, v75, v2
	s_waitcnt lgkmcnt(0)
	v_dual_add_f32 v2, v2, v3 :: v_dual_mov_b32 v3, 0
	ds_bpermute_b32 v2, v3, v2
	s_and_saveexec_b32 s0, s1
	s_cbranch_execz .LBB46_32
; %bb.30:
	s_waitcnt lgkmcnt(0)
	v_add_f32_e32 v3, 0x358637bd, v2
	s_mov_b32 s1, 0
	s_delay_alu instid0(VALU_DEP_1) | instskip(SKIP_1) | instid1(VALU_DEP_2)
	v_div_scale_f32 v5, null, v3, v3, 1.0
	v_div_scale_f32 v8, vcc_lo, 1.0, v3, 1.0
	v_rcp_f32_e32 v6, v5
	s_waitcnt_depctr 0xfff
	v_fma_f32 v7, -v5, v6, 1.0
	s_delay_alu instid0(VALU_DEP_1) | instskip(NEXT) | instid1(VALU_DEP_1)
	v_fmac_f32_e32 v6, v7, v6
	v_mul_f32_e32 v7, v8, v6
	s_delay_alu instid0(VALU_DEP_1) | instskip(NEXT) | instid1(VALU_DEP_1)
	v_fma_f32 v9, -v5, v7, v8
	v_fmac_f32_e32 v7, v9, v6
	s_delay_alu instid0(VALU_DEP_1) | instskip(NEXT) | instid1(VALU_DEP_1)
	v_fma_f32 v5, -v5, v7, v8
	v_div_fmas_f32 v5, v5, v6, v7
	s_delay_alu instid0(VALU_DEP_1)
	v_div_fixup_f32 v3, v5, v3, 1.0
	v_mov_b32_e32 v5, v0
.LBB46_31:                              ; =>This Inner Loop Header: Depth=1
	ds_load_b32 v6, v4
	s_waitcnt lgkmcnt(0)
	v_dual_mul_f32 v6, v3, v6 :: v_dual_add_nc_u32 v5, 0x80, v5
	s_delay_alu instid0(VALU_DEP_1) | instskip(SKIP_3) | instid1(SALU_CYCLE_1)
	v_cmp_le_i32_e32 vcc_lo, s6, v5
	ds_store_b32 v4, v6
	v_add_nc_u32_e32 v4, 0x200, v4
	s_or_b32 s1, vcc_lo, s1
	s_and_not1_b32 exec_lo, exec_lo, s1
	s_cbranch_execnz .LBB46_31
.LBB46_32:
	s_or_b32 exec_lo, exec_lo, s0
	s_mul_i32 s0, s4, s14
	s_waitcnt lgkmcnt(0)
	s_mul_i32 s6, s0, s13
	s_mov_b32 s0, exec_lo
	s_barrier
	buffer_gl0_inv
	v_cmpx_eq_u32_e32 0, v0
	s_cbranch_execz .LBB46_34
; %bb.33:
	s_ashr_i32 s7, s6, 31
	s_mul_i32 s42, s4, s24
	s_lshl_b64 s[40:41], s[6:7], 2
	v_mov_b32_e32 v3, 0
	s_add_u32 s1, s18, s40
	s_addc_u32 s3, s19, s41
	s_ashr_i32 s43, s42, 31
	s_delay_alu instid0(SALU_CYCLE_1) | instskip(NEXT) | instid1(SALU_CYCLE_1)
	s_lshl_b64 s[18:19], s[42:43], 2
	s_add_u32 s1, s1, s18
	s_addc_u32 s3, s3, s19
	s_ashr_i32 s13, s12, 31
	s_delay_alu instid0(SALU_CYCLE_1) | instskip(NEXT) | instid1(SALU_CYCLE_1)
	s_lshl_b64 s[42:43], s[12:13], 2
	s_add_u32 s44, s1, s42
	s_addc_u32 s45, s3, s43
	s_add_u32 s1, s16, s40
	s_addc_u32 s3, s17, s41
	;; [unrolled: 2-line block ×4, first 2 shown]
	s_clause 0x1
	global_store_b32 v3, v1, s[44:45]
	global_store_b32 v3, v2, s[16:17]
.LBB46_34:
	s_or_b32 exec_lo, exec_lo, s0
	v_dual_mov_b32 v93, 0 :: v_dual_and_b32 v78, 7, v0
	v_dual_mov_b32 v94, 0 :: v_dual_mov_b32 v91, 0
	v_dual_mov_b32 v92, 0 :: v_dual_mov_b32 v89, 0
	;; [unrolled: 1-line block ×7, first 2 shown]
	v_mov_b32_e32 v80, 0
	s_mov_b32 s3, 0
	s_and_saveexec_b32 s1, s2
	s_cbranch_execz .LBB46_72
; %bb.35:
	s_ashr_i32 s35, s34, 31
	s_sub_i32 s2, s38, s9
	s_lshl_b64 s[16:17], s[34:35], 2
	v_dual_mov_b32 v80, 0 :: v_dual_lshlrev_b32 v3, 2, v0
	s_add_u32 s7, s30, s16
	s_addc_u32 s9, s31, s17
	s_abs_i32 s10, s10
	v_lshlrev_b64 v[1:2], 2, v[69:70]
	v_cvt_f32_u32_e32 v4, s10
	s_sub_i32 s0, 0, s10
	s_lshl_b64 s[16:17], s[28:29], 2
	s_add_i32 s13, s36, -1
	v_dual_mov_b32 v82, 0 :: v_dual_lshlrev_b32 v5, 4, v78
	v_rcp_iflag_f32_e32 v4, v4
	v_mov_b32_e32 v79, 0
	v_dual_mov_b32 v84, 0 :: v_dual_and_b32 v95, 28, v3
	v_dual_mov_b32 v86, 0 :: v_dual_and_b32 v3, 0x7c, v3
	s_add_u32 s14, s26, s16
	v_lshl_or_b32 v5, v72, 7, v5
	v_add_co_u32 v70, vcc_lo, s14, v1
	s_waitcnt_depctr 0xfff
	v_mul_f32_e32 v4, 0x4f7ffffe, v4
	v_or_b32_e32 v6, 0x400, v3
	v_or_b32_e32 v7, 0x480, v3
	;; [unrolled: 1-line block ×4, first 2 shown]
	v_cvt_u32_f32_e32 v4, v4
	v_or_b32_e32 v10, 0x600, v3
	v_or_b32_e32 v11, 0x680, v3
	;; [unrolled: 1-line block ×4, first 2 shown]
	v_mul_lo_u32 v14, s0, v4
	s_addc_u32 s16, s27, s17
	v_dual_mov_b32 v81, 0 :: v_dual_add_nc_u32 v96, 0x120, v5
	v_dual_mov_b32 v88, 0 :: v_dual_lshlrev_b32 v97, 2, v3
	v_add_co_ci_u32_e32 v71, vcc_lo, s16, v2, vcc_lo
	s_delay_alu instid0(VALU_DEP_4)
	v_mul_hi_u32 v1, v4, v14
	v_dual_mov_b32 v83, 0 :: v_dual_lshlrev_b32 v98, 2, v6
	v_dual_mov_b32 v90, 0 :: v_dual_lshlrev_b32 v99, 2, v7
	v_dual_mov_b32 v85, 0 :: v_dual_lshlrev_b32 v100, 2, v8
	v_dual_mov_b32 v92, 0 :: v_dual_lshlrev_b32 v101, 2, v9
	v_dual_mov_b32 v87, 0 :: v_dual_lshlrev_b32 v102, 2, v10
	v_dual_mov_b32 v94, 0 :: v_dual_lshlrev_b32 v103, 2, v11
	v_dual_mov_b32 v89, 0 :: v_dual_lshlrev_b32 v104, 2, v12
	v_lshlrev_b32_e32 v105, 2, v13
	v_dual_mov_b32 v91, 0 :: v_dual_add_nc_u32 v106, v4, v1
	v_mov_b32_e32 v93, 0
	s_branch .LBB46_38
.LBB46_36:                              ;   in Loop: Header=BB46_38 Depth=1
	s_or_b32 exec_lo, exec_lo, s0
	s_waitcnt vmcnt(1) lgkmcnt(0)
	v_mul_f32_e32 v66, v2, v66
	v_mul_f32_e32 v62, v2, v62
	;; [unrolled: 1-line block ×15, first 2 shown]
	s_waitcnt vmcnt(0)
	v_mul_f32_e32 v2, v2, v54
	v_fmac_f32_e32 v34, v1, v33
	v_fmac_f32_e32 v42, v1, v41
	;; [unrolled: 1-line block ×14, first 2 shown]
	s_delay_alu instid0(VALU_DEP_4) | instskip(SKIP_1) | instid1(VALU_DEP_4)
	v_dual_fmac_f32 v2, v4, v56 :: v_dual_add_f32 v87, v87, v34
	v_fmac_f32_e32 v50, v1, v49
	v_dual_fmac_f32 v62, v3, v63 :: v_dual_add_f32 v85, v85, v42
	s_delay_alu instid0(VALU_DEP_3) | instskip(NEXT) | instid1(VALU_DEP_3)
	v_dual_add_f32 v79, v79, v2 :: v_dual_fmac_f32 v30, v1, v29
	v_fmac_f32_e32 v50, v3, v51
	v_fmac_f32_e32 v22, v1, v21
	;; [unrolled: 1-line block ×11, first 2 shown]
	v_dual_fmac_f32 v62, v4, v64 :: v_dual_add_f32 v83, v83, v50
	s_delay_alu instid0(VALU_DEP_4) | instskip(SKIP_1) | instid1(VALU_DEP_3)
	v_add_f32_e32 v91, v91, v18
	v_fmac_f32_e32 v66, v3, v67
	v_dual_fmac_f32 v38, v3, v39 :: v_dual_add_f32 v81, v81, v62
	v_fmac_f32_e32 v30, v3, v31
	v_fmac_f32_e32 v22, v3, v23
	;; [unrolled: 1-line block ×6, first 2 shown]
	s_delay_alu instid0(VALU_DEP_4) | instskip(NEXT) | instid1(VALU_DEP_4)
	v_dual_fmac_f32 v6, v3, v7 :: v_dual_add_f32 v89, v89, v26
	v_fmac_f32_e32 v58, v4, v60
	v_fmac_f32_e32 v46, v4, v48
	;; [unrolled: 1-line block ×9, first 2 shown]
	v_add_f32_e32 v82, v82, v58
	v_add_f32_e32 v84, v84, v46
	;; [unrolled: 1-line block ×9, first 2 shown]
.LBB46_37:                              ;   in Loop: Header=BB46_38 Depth=1
	s_or_b32 exec_lo, exec_lo, s14
	v_add_nc_u32_e32 v69, 4, v69
	v_add_co_u32 v70, s0, v70, 16
	s_delay_alu instid0(VALU_DEP_1) | instskip(NEXT) | instid1(VALU_DEP_3)
	v_add_co_ci_u32_e64 v71, s0, 0, v71, s0
	v_cmp_le_i32_e32 vcc_lo, s8, v69
	v_add_nc_u32_e32 v74, 0x80, v74
	v_add_nc_u32_e32 v96, 0x200, v96
	s_or_b32 s3, vcc_lo, s3
	s_delay_alu instid0(SALU_CYCLE_1)
	s_and_not1_b32 exec_lo, exec_lo, s3
	s_cbranch_execz .LBB46_71
.LBB46_38:                              ; =>This Inner Loop Header: Depth=1
	v_sub_nc_u32_e32 v1, 0, v74
	s_delay_alu instid0(VALU_DEP_1) | instskip(NEXT) | instid1(VALU_DEP_1)
	v_max_i32_e32 v1, v74, v1
	v_mul_hi_u32 v2, v1, s25
	s_delay_alu instid0(VALU_DEP_1) | instskip(NEXT) | instid1(VALU_DEP_1)
	v_mul_lo_u32 v3, v2, s21
	v_sub_nc_u32_e32 v1, v1, v3
	v_add_nc_u32_e32 v3, 1, v2
	s_delay_alu instid0(VALU_DEP_2) | instskip(SKIP_1) | instid1(VALU_DEP_2)
	v_subrev_nc_u32_e32 v4, s21, v1
	v_cmp_le_u32_e32 vcc_lo, s21, v1
	v_dual_cndmask_b32 v2, v2, v3 :: v_dual_cndmask_b32 v1, v1, v4
	v_ashrrev_i32_e32 v3, 31, v74
	s_delay_alu instid0(VALU_DEP_2) | instskip(NEXT) | instid1(VALU_DEP_3)
	v_add_nc_u32_e32 v4, 1, v2
	v_cmp_le_u32_e32 vcc_lo, s21, v1
	s_delay_alu instid0(VALU_DEP_3) | instskip(NEXT) | instid1(VALU_DEP_3)
	v_xor_b32_e32 v3, s11, v3
	v_cndmask_b32_e32 v1, v2, v4, vcc_lo
	s_delay_alu instid0(VALU_DEP_1) | instskip(NEXT) | instid1(VALU_DEP_1)
	v_xor_b32_e32 v1, v1, v3
	v_sub_nc_u32_e32 v1, v1, v3
	s_delay_alu instid0(VALU_DEP_1) | instskip(SKIP_1) | instid1(VALU_DEP_2)
	v_add_nc_u32_e32 v2, s33, v1
	v_cmp_lt_i32_e64 s0, s2, v1
	v_sub_nc_u32_e32 v3, 0, v2
	s_delay_alu instid0(VALU_DEP_1) | instskip(NEXT) | instid1(VALU_DEP_1)
	v_max_i32_e32 v3, v2, v3
	v_mul_hi_u32 v4, v3, v106
	s_delay_alu instid0(VALU_DEP_1) | instskip(NEXT) | instid1(VALU_DEP_1)
	v_mul_lo_u32 v4, v4, s10
	v_sub_nc_u32_e32 v3, v3, v4
	s_delay_alu instid0(VALU_DEP_1) | instskip(SKIP_1) | instid1(VALU_DEP_2)
	v_subrev_nc_u32_e32 v4, s10, v3
	v_cmp_le_u32_e32 vcc_lo, s10, v3
	v_cndmask_b32_e32 v3, v3, v4, vcc_lo
	v_ashrrev_i32_e32 v2, 31, v2
	s_delay_alu instid0(VALU_DEP_2) | instskip(SKIP_1) | instid1(VALU_DEP_2)
	v_subrev_nc_u32_e32 v4, s10, v3
	v_cmp_le_u32_e32 vcc_lo, s10, v3
	v_cndmask_b32_e32 v3, v3, v4, vcc_lo
	s_delay_alu instid0(VALU_DEP_1) | instskip(NEXT) | instid1(VALU_DEP_1)
	v_xor_b32_e32 v3, v3, v2
	v_sub_nc_u32_e32 v2, v3, v2
	s_delay_alu instid0(VALU_DEP_1) | instskip(SKIP_1) | instid1(SALU_CYCLE_1)
	v_cmp_eq_u32_e32 vcc_lo, 0, v2
	s_or_b32 s0, vcc_lo, s0
	s_and_saveexec_b32 s14, s0
	s_cbranch_execz .LBB46_37
; %bb.39:                               ;   in Loop: Header=BB46_38 Depth=1
	global_load_b32 v3, v[70:71], off
	v_add_nc_u32_e32 v107, v95, v74
	s_delay_alu instid0(VALU_DEP_1) | instskip(SKIP_4) | instid1(VALU_DEP_1)
	v_add_nc_u32_e32 v110, 1, v107
	v_add_nc_u32_e32 v109, 2, v107
	;; [unrolled: 1-line block ×3, first 2 shown]
	s_waitcnt vmcnt(0)
	v_mad_i64_i32 v[1:2], null, v3, s5, 0
	v_lshlrev_b64 v[1:2], 2, v[1:2]
	s_delay_alu instid0(VALU_DEP_1) | instskip(NEXT) | instid1(VALU_DEP_2)
	v_add_co_u32 v53, vcc_lo, s7, v1
	v_add_co_ci_u32_e32 v54, vcc_lo, s9, v2, vcc_lo
	ds_load_b128 v[1:4], v96
	v_add_co_u32 v33, vcc_lo, v53, v97
	v_add_co_ci_u32_e32 v34, vcc_lo, 0, v54, vcc_lo
	v_cmp_eq_u32_e32 vcc_lo, s13, v69
	global_load_b128 v[5:8], v[33:34], off
	s_and_saveexec_b32 s16, vcc_lo
	s_cbranch_execnz .LBB46_64
; %bb.40:                               ;   in Loop: Header=BB46_38 Depth=1
	s_or_b32 exec_lo, exec_lo, s16
	global_load_b128 v[9:12], v[33:34], off offset:512
	s_and_saveexec_b32 s16, vcc_lo
	s_cbranch_execnz .LBB46_65
.LBB46_41:                              ;   in Loop: Header=BB46_38 Depth=1
	s_or_b32 exec_lo, exec_lo, s16
	global_load_b128 v[13:16], v[33:34], off offset:1024
	s_and_saveexec_b32 s16, vcc_lo
	s_cbranch_execnz .LBB46_66
.LBB46_42:                              ;   in Loop: Header=BB46_38 Depth=1
	s_or_b32 exec_lo, exec_lo, s16
	global_load_b128 v[17:20], v[33:34], off offset:1536
	s_and_saveexec_b32 s16, vcc_lo
	s_cbranch_execnz .LBB46_67
.LBB46_43:                              ;   in Loop: Header=BB46_38 Depth=1
	s_or_b32 exec_lo, exec_lo, s16
	global_load_b128 v[21:24], v[33:34], off offset:2048
	s_and_saveexec_b32 s16, vcc_lo
	s_cbranch_execnz .LBB46_68
.LBB46_44:                              ;   in Loop: Header=BB46_38 Depth=1
	s_or_b32 exec_lo, exec_lo, s16
	global_load_b128 v[25:28], v[33:34], off offset:2560
	s_and_saveexec_b32 s16, vcc_lo
	s_cbranch_execnz .LBB46_69
.LBB46_45:                              ;   in Loop: Header=BB46_38 Depth=1
	s_or_b32 exec_lo, exec_lo, s16
	global_load_b128 v[29:32], v[33:34], off offset:3072
	s_and_saveexec_b32 s16, vcc_lo
	s_cbranch_execnz .LBB46_70
.LBB46_46:                              ;   in Loop: Header=BB46_38 Depth=1
	s_or_b32 exec_lo, exec_lo, s16
	global_load_b128 v[33:36], v[33:34], off offset:3584
	s_and_saveexec_b32 s16, vcc_lo
	s_cbranch_execz .LBB46_48
.LBB46_47:                              ;   in Loop: Header=BB46_38 Depth=1
	v_cmp_gt_i32_e64 s0, s15, v107
	s_waitcnt vmcnt(0)
	s_delay_alu instid0(VALU_DEP_1) | instskip(SKIP_1) | instid1(VALU_DEP_1)
	v_cndmask_b32_e64 v33, 0, v33, s0
	v_cmp_gt_i32_e64 s0, s15, v110
	v_cndmask_b32_e64 v34, 0, v34, s0
	v_cmp_gt_i32_e64 s0, s15, v109
	s_delay_alu instid0(VALU_DEP_1) | instskip(SKIP_1) | instid1(VALU_DEP_1)
	v_cndmask_b32_e64 v35, 0, v35, s0
	v_cmp_gt_i32_e64 s0, s15, v108
	v_cndmask_b32_e64 v36, 0, v36, s0
.LBB46_48:                              ;   in Loop: Header=BB46_38 Depth=1
	s_or_b32 exec_lo, exec_lo, s16
	v_add_co_u32 v37, s0, v53, v98
	s_delay_alu instid0(VALU_DEP_1)
	v_add_co_ci_u32_e64 v38, s0, 0, v54, s0
	global_load_b128 v[37:40], v[37:38], off
	s_and_saveexec_b32 s16, vcc_lo
	s_cbranch_execz .LBB46_50
; %bb.49:                               ;   in Loop: Header=BB46_38 Depth=1
	v_cmp_gt_i32_e64 s0, s15, v107
	s_waitcnt vmcnt(0)
	s_delay_alu instid0(VALU_DEP_1) | instskip(SKIP_1) | instid1(VALU_DEP_1)
	v_cndmask_b32_e64 v37, 0, v37, s0
	v_cmp_gt_i32_e64 s0, s15, v110
	v_cndmask_b32_e64 v38, 0, v38, s0
	v_cmp_gt_i32_e64 s0, s15, v109
	s_delay_alu instid0(VALU_DEP_1) | instskip(SKIP_1) | instid1(VALU_DEP_1)
	v_cndmask_b32_e64 v39, 0, v39, s0
	v_cmp_gt_i32_e64 s0, s15, v108
	v_cndmask_b32_e64 v40, 0, v40, s0
.LBB46_50:                              ;   in Loop: Header=BB46_38 Depth=1
	s_or_b32 exec_lo, exec_lo, s16
	v_add_co_u32 v41, s0, v53, v99
	s_delay_alu instid0(VALU_DEP_1)
	v_add_co_ci_u32_e64 v42, s0, 0, v54, s0
	global_load_b128 v[41:44], v[41:42], off
	s_and_saveexec_b32 s16, vcc_lo
	s_cbranch_execz .LBB46_52
; %bb.51:                               ;   in Loop: Header=BB46_38 Depth=1
	v_cmp_gt_i32_e64 s0, s15, v107
	s_waitcnt vmcnt(0)
	s_delay_alu instid0(VALU_DEP_1) | instskip(SKIP_1) | instid1(VALU_DEP_1)
	v_cndmask_b32_e64 v41, 0, v41, s0
	v_cmp_gt_i32_e64 s0, s15, v110
	v_cndmask_b32_e64 v42, 0, v42, s0
	v_cmp_gt_i32_e64 s0, s15, v109
	s_delay_alu instid0(VALU_DEP_1) | instskip(SKIP_1) | instid1(VALU_DEP_1)
	v_cndmask_b32_e64 v43, 0, v43, s0
	v_cmp_gt_i32_e64 s0, s15, v108
	v_cndmask_b32_e64 v44, 0, v44, s0
.LBB46_52:                              ;   in Loop: Header=BB46_38 Depth=1
	;; [unrolled: 20-line block ×7, first 2 shown]
	s_or_b32 exec_lo, exec_lo, s16
	v_add_co_u32 v53, s0, v53, v105
	s_delay_alu instid0(VALU_DEP_1)
	v_add_co_ci_u32_e64 v54, s0, 0, v54, s0
	global_load_b128 v[53:56], v[53:54], off
	s_and_saveexec_b32 s0, vcc_lo
	s_cbranch_execz .LBB46_36
; %bb.63:                               ;   in Loop: Header=BB46_38 Depth=1
	v_cmp_gt_i32_e32 vcc_lo, s15, v107
	s_waitcnt vmcnt(0)
	v_cndmask_b32_e32 v53, 0, v53, vcc_lo
	v_cmp_gt_i32_e32 vcc_lo, s15, v110
	v_cndmask_b32_e32 v54, 0, v54, vcc_lo
	v_cmp_gt_i32_e32 vcc_lo, s15, v109
	;; [unrolled: 2-line block ×3, first 2 shown]
	v_cndmask_b32_e32 v56, 0, v56, vcc_lo
	s_branch .LBB46_36
.LBB46_64:                              ;   in Loop: Header=BB46_38 Depth=1
	v_cmp_gt_i32_e64 s0, s15, v107
	s_waitcnt vmcnt(0)
	s_delay_alu instid0(VALU_DEP_1) | instskip(SKIP_1) | instid1(VALU_DEP_1)
	v_cndmask_b32_e64 v5, 0, v5, s0
	v_cmp_gt_i32_e64 s0, s15, v110
	v_cndmask_b32_e64 v6, 0, v6, s0
	v_cmp_gt_i32_e64 s0, s15, v109
	s_delay_alu instid0(VALU_DEP_1) | instskip(SKIP_1) | instid1(VALU_DEP_1)
	v_cndmask_b32_e64 v7, 0, v7, s0
	v_cmp_gt_i32_e64 s0, s15, v108
	v_cndmask_b32_e64 v8, 0, v8, s0
	s_or_b32 exec_lo, exec_lo, s16
	global_load_b128 v[9:12], v[33:34], off offset:512
	s_and_saveexec_b32 s16, vcc_lo
	s_cbranch_execz .LBB46_41
.LBB46_65:                              ;   in Loop: Header=BB46_38 Depth=1
	v_cmp_gt_i32_e64 s0, s15, v107
	s_waitcnt vmcnt(0)
	s_delay_alu instid0(VALU_DEP_1) | instskip(SKIP_1) | instid1(VALU_DEP_1)
	v_cndmask_b32_e64 v9, 0, v9, s0
	v_cmp_gt_i32_e64 s0, s15, v110
	v_cndmask_b32_e64 v10, 0, v10, s0
	v_cmp_gt_i32_e64 s0, s15, v109
	s_delay_alu instid0(VALU_DEP_1) | instskip(SKIP_1) | instid1(VALU_DEP_1)
	v_cndmask_b32_e64 v11, 0, v11, s0
	v_cmp_gt_i32_e64 s0, s15, v108
	v_cndmask_b32_e64 v12, 0, v12, s0
	s_or_b32 exec_lo, exec_lo, s16
	global_load_b128 v[13:16], v[33:34], off offset:1024
	s_and_saveexec_b32 s16, vcc_lo
	s_cbranch_execz .LBB46_42
.LBB46_66:                              ;   in Loop: Header=BB46_38 Depth=1
	v_cmp_gt_i32_e64 s0, s15, v107
	s_waitcnt vmcnt(0)
	s_delay_alu instid0(VALU_DEP_1) | instskip(SKIP_1) | instid1(VALU_DEP_1)
	v_cndmask_b32_e64 v13, 0, v13, s0
	v_cmp_gt_i32_e64 s0, s15, v110
	v_cndmask_b32_e64 v14, 0, v14, s0
	v_cmp_gt_i32_e64 s0, s15, v109
	s_delay_alu instid0(VALU_DEP_1) | instskip(SKIP_1) | instid1(VALU_DEP_1)
	v_cndmask_b32_e64 v15, 0, v15, s0
	v_cmp_gt_i32_e64 s0, s15, v108
	v_cndmask_b32_e64 v16, 0, v16, s0
	s_or_b32 exec_lo, exec_lo, s16
	global_load_b128 v[17:20], v[33:34], off offset:1536
	s_and_saveexec_b32 s16, vcc_lo
	s_cbranch_execz .LBB46_43
.LBB46_67:                              ;   in Loop: Header=BB46_38 Depth=1
	v_cmp_gt_i32_e64 s0, s15, v107
	s_waitcnt vmcnt(0)
	s_delay_alu instid0(VALU_DEP_1) | instskip(SKIP_1) | instid1(VALU_DEP_1)
	v_cndmask_b32_e64 v17, 0, v17, s0
	v_cmp_gt_i32_e64 s0, s15, v110
	v_cndmask_b32_e64 v18, 0, v18, s0
	v_cmp_gt_i32_e64 s0, s15, v109
	s_delay_alu instid0(VALU_DEP_1) | instskip(SKIP_1) | instid1(VALU_DEP_1)
	v_cndmask_b32_e64 v19, 0, v19, s0
	v_cmp_gt_i32_e64 s0, s15, v108
	v_cndmask_b32_e64 v20, 0, v20, s0
	s_or_b32 exec_lo, exec_lo, s16
	global_load_b128 v[21:24], v[33:34], off offset:2048
	s_and_saveexec_b32 s16, vcc_lo
	s_cbranch_execz .LBB46_44
.LBB46_68:                              ;   in Loop: Header=BB46_38 Depth=1
	v_cmp_gt_i32_e64 s0, s15, v107
	s_waitcnt vmcnt(0)
	s_delay_alu instid0(VALU_DEP_1) | instskip(SKIP_1) | instid1(VALU_DEP_1)
	v_cndmask_b32_e64 v21, 0, v21, s0
	v_cmp_gt_i32_e64 s0, s15, v110
	v_cndmask_b32_e64 v22, 0, v22, s0
	v_cmp_gt_i32_e64 s0, s15, v109
	s_delay_alu instid0(VALU_DEP_1) | instskip(SKIP_1) | instid1(VALU_DEP_1)
	v_cndmask_b32_e64 v23, 0, v23, s0
	v_cmp_gt_i32_e64 s0, s15, v108
	v_cndmask_b32_e64 v24, 0, v24, s0
	s_or_b32 exec_lo, exec_lo, s16
	global_load_b128 v[25:28], v[33:34], off offset:2560
	s_and_saveexec_b32 s16, vcc_lo
	s_cbranch_execz .LBB46_45
.LBB46_69:                              ;   in Loop: Header=BB46_38 Depth=1
	v_cmp_gt_i32_e64 s0, s15, v107
	s_waitcnt vmcnt(0)
	s_delay_alu instid0(VALU_DEP_1) | instskip(SKIP_1) | instid1(VALU_DEP_1)
	v_cndmask_b32_e64 v25, 0, v25, s0
	v_cmp_gt_i32_e64 s0, s15, v110
	v_cndmask_b32_e64 v26, 0, v26, s0
	v_cmp_gt_i32_e64 s0, s15, v109
	s_delay_alu instid0(VALU_DEP_1) | instskip(SKIP_1) | instid1(VALU_DEP_1)
	v_cndmask_b32_e64 v27, 0, v27, s0
	v_cmp_gt_i32_e64 s0, s15, v108
	v_cndmask_b32_e64 v28, 0, v28, s0
	s_or_b32 exec_lo, exec_lo, s16
	global_load_b128 v[29:32], v[33:34], off offset:3072
	s_and_saveexec_b32 s16, vcc_lo
	s_cbranch_execz .LBB46_46
.LBB46_70:                              ;   in Loop: Header=BB46_38 Depth=1
	v_cmp_gt_i32_e64 s0, s15, v107
	s_waitcnt vmcnt(0)
	s_delay_alu instid0(VALU_DEP_1) | instskip(SKIP_1) | instid1(VALU_DEP_1)
	v_cndmask_b32_e64 v29, 0, v29, s0
	v_cmp_gt_i32_e64 s0, s15, v110
	v_cndmask_b32_e64 v30, 0, v30, s0
	v_cmp_gt_i32_e64 s0, s15, v109
	s_delay_alu instid0(VALU_DEP_1) | instskip(SKIP_1) | instid1(VALU_DEP_1)
	v_cndmask_b32_e64 v31, 0, v31, s0
	v_cmp_gt_i32_e64 s0, s15, v108
	v_cndmask_b32_e64 v32, 0, v32, s0
	s_or_b32 exec_lo, exec_lo, s16
	global_load_b128 v[33:36], v[33:34], off offset:3584
	s_and_saveexec_b32 s16, vcc_lo
	s_cbranch_execnz .LBB46_47
	s_branch .LBB46_48
.LBB46_71:
	s_or_b32 exec_lo, exec_lo, s3
.LBB46_72:
	s_delay_alu instid0(SALU_CYCLE_1)
	s_or_b32 exec_lo, exec_lo, s1
	ds_bpermute_b32 v3, v77, v92
	ds_bpermute_b32 v4, v77, v91
	;; [unrolled: 1-line block ×16, first 2 shown]
	s_mov_b32 s0, exec_lo
	s_waitcnt lgkmcnt(0)
	s_waitcnt_vscnt null, 0x0
	s_barrier
	buffer_gl0_inv
	v_dual_add_f32 v3, v92, v3 :: v_dual_add_f32 v4, v91, v4
	v_dual_add_f32 v5, v90, v5 :: v_dual_add_f32 v6, v89, v6
	;; [unrolled: 1-line block ×3, first 2 shown]
	ds_bpermute_b32 v19, v76, v3
	ds_bpermute_b32 v20, v76, v4
	;; [unrolled: 1-line block ×4, first 2 shown]
	v_dual_add_f32 v7, v88, v7 :: v_dual_add_f32 v8, v87, v8
	v_dual_add_f32 v9, v86, v9 :: v_dual_add_f32 v10, v85, v10
	;; [unrolled: 1-line block ×5, first 2 shown]
	ds_bpermute_b32 v17, v76, v1
	ds_bpermute_b32 v18, v76, v2
	;; [unrolled: 1-line block ×8, first 2 shown]
	s_waitcnt lgkmcnt(10)
	v_dual_add_f32 v3, v3, v19 :: v_dual_add_f32 v4, v4, v20
	s_waitcnt lgkmcnt(8)
	v_dual_add_f32 v5, v5, v21 :: v_dual_add_f32 v6, v6, v22
	ds_bpermute_b32 v19, v76, v13
	ds_bpermute_b32 v20, v76, v14
	;; [unrolled: 1-line block ×7, first 2 shown]
	s_waitcnt lgkmcnt(13)
	v_dual_add_f32 v1, v1, v17 :: v_dual_add_f32 v2, v2, v18
	s_waitcnt lgkmcnt(11)
	v_dual_add_f32 v7, v7, v23 :: v_dual_add_f32 v8, v8, v24
	s_waitcnt lgkmcnt(9)
	v_dual_add_f32 v9, v9, v25 :: v_dual_add_f32 v10, v10, v26
	s_waitcnt lgkmcnt(7)
	v_dual_add_f32 v11, v11, v27 :: v_dual_add_f32 v12, v12, v28
	ds_bpermute_b32 v17, v75, v1
	ds_bpermute_b32 v18, v75, v2
	;; [unrolled: 1-line block ×4, first 2 shown]
	s_waitcnt lgkmcnt(9)
	v_dual_add_f32 v13, v13, v19 :: v_dual_add_f32 v14, v14, v20
	s_waitcnt lgkmcnt(7)
	v_dual_add_f32 v15, v15, v21 :: v_dual_add_f32 v16, v16, v22
	ds_bpermute_b32 v25, v75, v8
	ds_bpermute_b32 v26, v75, v9
	;; [unrolled: 1-line block ×9, first 2 shown]
	s_waitcnt lgkmcnt(14)
	v_dual_add_f32 v3, v3, v29 :: v_dual_add_f32 v4, v4, v30
	s_waitcnt lgkmcnt(12)
	v_dual_add_f32 v6, v6, v31 :: v_dual_add_f32 v1, v1, v17
	s_waitcnt lgkmcnt(10)
	v_dual_add_f32 v2, v2, v18 :: v_dual_add_f32 v5, v5, v23
	s_waitcnt lgkmcnt(9)
	v_add_f32_e32 v7, v7, v24
	v_lshrrev_b32_e32 v17, 3, v73
	v_lshl_add_u32 v18, v72, 8, 0x120
	s_waitcnt lgkmcnt(7)
	v_dual_add_f32 v8, v8, v25 :: v_dual_add_f32 v9, v9, v26
	s_waitcnt lgkmcnt(5)
	v_dual_add_f32 v10, v10, v27 :: v_dual_add_f32 v11, v11, v28
	s_waitcnt lgkmcnt(3)
	v_dual_add_f32 v12, v12, v19 :: v_dual_add_f32 v13, v13, v20
	s_waitcnt lgkmcnt(2)
	v_dual_add_f32 v14, v14, v21 :: v_dual_and_b32 v19, 0x3c7, v0
	s_waitcnt lgkmcnt(0)
	v_dual_add_f32 v15, v15, v22 :: v_dual_add_f32 v16, v16, v32
	s_delay_alu instid0(VALU_DEP_2)
	v_cmpx_eq_u32_e32 64, v19
	s_cbranch_execz .LBB46_74
; %bb.73:
	v_lshlrev_b32_e32 v19, 2, v17
	s_delay_alu instid0(VALU_DEP_1)
	v_add3_u32 v19, v18, v19, 0xfffffe00
	ds_store_2addr_b32 v19, v1, v2 offset1:4
	ds_store_2addr_b32 v19, v3, v4 offset0:8 offset1:12
	ds_store_2addr_b32 v19, v5, v6 offset0:16 offset1:20
	;; [unrolled: 1-line block ×7, first 2 shown]
.LBB46_74:
	s_or_b32 exec_lo, exec_lo, s0
	v_cmp_eq_u32_e32 vcc_lo, 0, v78
	s_mov_b32 s1, exec_lo
	s_waitcnt lgkmcnt(0)
	s_barrier
	buffer_gl0_inv
	v_cmpx_gt_u32_e32 64, v0
	s_cbranch_execz .LBB46_93
; %bb.75:
	s_and_saveexec_b32 s0, vcc_lo
	s_cbranch_execnz .LBB46_117
; %bb.76:
	s_or_b32 exec_lo, exec_lo, s0
	s_and_saveexec_b32 s0, vcc_lo
	s_cbranch_execnz .LBB46_118
.LBB46_77:
	s_or_b32 exec_lo, exec_lo, s0
	s_and_saveexec_b32 s0, vcc_lo
	s_cbranch_execnz .LBB46_119
.LBB46_78:
	s_or_b32 exec_lo, exec_lo, s0
	s_and_saveexec_b32 s0, vcc_lo
	s_cbranch_execnz .LBB46_120
.LBB46_79:
	s_or_b32 exec_lo, exec_lo, s0
	s_and_saveexec_b32 s0, vcc_lo
	s_cbranch_execnz .LBB46_121
.LBB46_80:
	s_or_b32 exec_lo, exec_lo, s0
	s_and_saveexec_b32 s0, vcc_lo
	s_cbranch_execnz .LBB46_122
.LBB46_81:
	s_or_b32 exec_lo, exec_lo, s0
	s_and_saveexec_b32 s0, vcc_lo
	s_cbranch_execnz .LBB46_123
.LBB46_82:
	s_or_b32 exec_lo, exec_lo, s0
	s_and_saveexec_b32 s0, vcc_lo
	s_cbranch_execnz .LBB46_124
.LBB46_83:
	s_or_b32 exec_lo, exec_lo, s0
	s_and_saveexec_b32 s0, vcc_lo
	s_cbranch_execnz .LBB46_125
.LBB46_84:
	s_or_b32 exec_lo, exec_lo, s0
	s_and_saveexec_b32 s0, vcc_lo
	s_cbranch_execnz .LBB46_126
.LBB46_85:
	s_or_b32 exec_lo, exec_lo, s0
	s_and_saveexec_b32 s0, vcc_lo
	s_cbranch_execnz .LBB46_127
.LBB46_86:
	s_or_b32 exec_lo, exec_lo, s0
	s_and_saveexec_b32 s0, vcc_lo
	s_cbranch_execnz .LBB46_128
.LBB46_87:
	s_or_b32 exec_lo, exec_lo, s0
	s_and_saveexec_b32 s0, vcc_lo
	s_cbranch_execnz .LBB46_129
.LBB46_88:
	s_or_b32 exec_lo, exec_lo, s0
	s_and_saveexec_b32 s0, vcc_lo
	s_cbranch_execnz .LBB46_130
.LBB46_89:
	s_or_b32 exec_lo, exec_lo, s0
	s_and_saveexec_b32 s0, vcc_lo
	s_cbranch_execnz .LBB46_131
.LBB46_90:
	s_or_b32 exec_lo, exec_lo, s0
	s_and_saveexec_b32 s0, vcc_lo
	s_cbranch_execz .LBB46_92
.LBB46_91:
	v_lshl_add_u32 v19, v17, 2, v18
	ds_load_b32 v19, v19 offset:240
	s_waitcnt lgkmcnt(0)
	v_add_f32_e32 v16, v16, v19
.LBB46_92:
	s_or_b32 exec_lo, exec_lo, s0
.LBB46_93:
	s_delay_alu instid0(SALU_CYCLE_1)
	s_or_b32 exec_lo, exec_lo, s1
	v_and_b32_e32 v19, 0x3e7, v0
	s_mov_b32 s1, exec_lo
	s_barrier
	buffer_gl0_inv
	v_cmpx_eq_u32_e32 32, v19
	s_cbranch_execz .LBB46_95
; %bb.94:
	v_lshl_add_u32 v20, v17, 2, 0x120
	ds_store_2addr_b32 v20, v1, v2 offset1:4
	ds_store_2addr_b32 v20, v3, v4 offset0:8 offset1:12
	ds_store_2addr_b32 v20, v5, v6 offset0:16 offset1:20
	;; [unrolled: 1-line block ×7, first 2 shown]
.LBB46_95:
	s_or_b32 exec_lo, exec_lo, s1
	s_delay_alu instid0(SALU_CYCLE_1)
	s_mov_b32 s1, exec_lo
	s_waitcnt lgkmcnt(0)
	s_barrier
	buffer_gl0_inv
	v_cmpx_gt_u32_e32 32, v0
	s_cbranch_execz .LBB46_114
; %bb.96:
	v_lshl_add_u32 v17, v17, 2, v18
	s_and_saveexec_b32 s0, vcc_lo
	s_cbranch_execnz .LBB46_132
; %bb.97:
	s_or_b32 exec_lo, exec_lo, s0
	s_and_saveexec_b32 s0, vcc_lo
	s_cbranch_execnz .LBB46_133
.LBB46_98:
	s_or_b32 exec_lo, exec_lo, s0
	s_and_saveexec_b32 s0, vcc_lo
	s_cbranch_execnz .LBB46_134
.LBB46_99:
	s_or_b32 exec_lo, exec_lo, s0
	s_and_saveexec_b32 s0, vcc_lo
	s_cbranch_execnz .LBB46_135
.LBB46_100:
	s_or_b32 exec_lo, exec_lo, s0
	s_and_saveexec_b32 s0, vcc_lo
	s_cbranch_execnz .LBB46_136
.LBB46_101:
	s_or_b32 exec_lo, exec_lo, s0
	s_and_saveexec_b32 s0, vcc_lo
	s_cbranch_execnz .LBB46_137
.LBB46_102:
	s_or_b32 exec_lo, exec_lo, s0
	s_and_saveexec_b32 s0, vcc_lo
	s_cbranch_execnz .LBB46_138
.LBB46_103:
	s_or_b32 exec_lo, exec_lo, s0
	s_and_saveexec_b32 s0, vcc_lo
	s_cbranch_execnz .LBB46_139
.LBB46_104:
	s_or_b32 exec_lo, exec_lo, s0
	s_and_saveexec_b32 s0, vcc_lo
	s_cbranch_execnz .LBB46_140
.LBB46_105:
	s_or_b32 exec_lo, exec_lo, s0
	s_and_saveexec_b32 s0, vcc_lo
	s_cbranch_execnz .LBB46_141
.LBB46_106:
	s_or_b32 exec_lo, exec_lo, s0
	s_and_saveexec_b32 s0, vcc_lo
	s_cbranch_execnz .LBB46_142
.LBB46_107:
	s_or_b32 exec_lo, exec_lo, s0
	s_and_saveexec_b32 s0, vcc_lo
	s_cbranch_execnz .LBB46_143
.LBB46_108:
	s_or_b32 exec_lo, exec_lo, s0
	s_and_saveexec_b32 s0, vcc_lo
	s_cbranch_execnz .LBB46_144
.LBB46_109:
	s_or_b32 exec_lo, exec_lo, s0
	s_and_saveexec_b32 s0, vcc_lo
	s_cbranch_execnz .LBB46_145
.LBB46_110:
	s_or_b32 exec_lo, exec_lo, s0
	s_and_saveexec_b32 s0, vcc_lo
	s_cbranch_execnz .LBB46_146
.LBB46_111:
	s_or_b32 exec_lo, exec_lo, s0
	s_and_saveexec_b32 s0, vcc_lo
	s_cbranch_execz .LBB46_113
.LBB46_112:
	ds_load_b32 v17, v17 offset:240
	s_waitcnt lgkmcnt(0)
	v_add_f32_e32 v16, v16, v17
.LBB46_113:
	s_or_b32 exec_lo, exec_lo, s0
.LBB46_114:
	s_delay_alu instid0(SALU_CYCLE_1)
	s_or_b32 exec_lo, exec_lo, s1
	s_barrier
	buffer_gl0_inv
	s_mov_b32 s0, exec_lo
	v_cmpx_eq_u32_e32 0, v19
	s_cbranch_execz .LBB46_116
; %bb.115:
	s_lshl_b32 s0, s6, 6
	s_mul_i32 s2, s4, s20
	s_ashr_i32 s1, s0, 31
	v_lshrrev_b32_e32 v0, 1, v0
	s_lshl_b64 s[0:1], s[0:1], 2
	s_delay_alu instid0(SALU_CYCLE_1) | instskip(SKIP_2) | instid1(SALU_CYCLE_1)
	s_add_u32 s4, s22, s0
	s_addc_u32 s5, s23, s1
	s_ashr_i32 s3, s2, 31
	s_lshl_b64 s[0:1], s[2:3], 2
	s_delay_alu instid0(SALU_CYCLE_1) | instskip(SKIP_2) | instid1(SALU_CYCLE_1)
	s_add_u32 s2, s4, s0
	s_addc_u32 s3, s5, s1
	s_lshl_b32 s0, s12, 6
	s_ashr_i32 s1, s0, 31
	s_delay_alu instid0(SALU_CYCLE_1) | instskip(NEXT) | instid1(SALU_CYCLE_1)
	s_lshl_b64 s[0:1], s[0:1], 2
	s_add_u32 s0, s2, s0
	s_addc_u32 s1, s3, s1
	s_clause 0xf
	global_store_b32 v0, v1, s[0:1]
	global_store_b32 v0, v2, s[0:1] offset:16
	global_store_b32 v0, v3, s[0:1] offset:32
	global_store_b32 v0, v4, s[0:1] offset:48
	global_store_b32 v0, v5, s[0:1] offset:64
	global_store_b32 v0, v6, s[0:1] offset:80
	global_store_b32 v0, v7, s[0:1] offset:96
	global_store_b32 v0, v8, s[0:1] offset:112
	global_store_b32 v0, v9, s[0:1] offset:128
	global_store_b32 v0, v10, s[0:1] offset:144
	global_store_b32 v0, v11, s[0:1] offset:160
	global_store_b32 v0, v12, s[0:1] offset:176
	global_store_b32 v0, v13, s[0:1] offset:192
	global_store_b32 v0, v14, s[0:1] offset:208
	global_store_b32 v0, v15, s[0:1] offset:224
	global_store_b32 v0, v16, s[0:1] offset:240
.LBB46_116:
	s_nop 0
	s_sendmsg sendmsg(MSG_DEALLOC_VGPRS)
	s_endpgm
.LBB46_117:
	v_lshl_add_u32 v19, v17, 2, v18
	ds_load_b32 v19, v19
	s_waitcnt lgkmcnt(0)
	v_add_f32_e32 v1, v1, v19
	s_or_b32 exec_lo, exec_lo, s0
	s_and_saveexec_b32 s0, vcc_lo
	s_cbranch_execz .LBB46_77
.LBB46_118:
	v_lshl_add_u32 v19, v17, 2, v18
	ds_load_b32 v19, v19 offset:16
	s_waitcnt lgkmcnt(0)
	v_add_f32_e32 v2, v2, v19
	s_or_b32 exec_lo, exec_lo, s0
	s_and_saveexec_b32 s0, vcc_lo
	s_cbranch_execz .LBB46_78
.LBB46_119:
	v_lshl_add_u32 v19, v17, 2, v18
	ds_load_b32 v19, v19 offset:32
	s_waitcnt lgkmcnt(0)
	v_add_f32_e32 v3, v3, v19
	s_or_b32 exec_lo, exec_lo, s0
	s_and_saveexec_b32 s0, vcc_lo
	s_cbranch_execz .LBB46_79
.LBB46_120:
	v_lshl_add_u32 v19, v17, 2, v18
	ds_load_b32 v19, v19 offset:48
	s_waitcnt lgkmcnt(0)
	v_add_f32_e32 v4, v4, v19
	s_or_b32 exec_lo, exec_lo, s0
	s_and_saveexec_b32 s0, vcc_lo
	s_cbranch_execz .LBB46_80
.LBB46_121:
	v_lshl_add_u32 v19, v17, 2, v18
	ds_load_b32 v19, v19 offset:64
	s_waitcnt lgkmcnt(0)
	v_add_f32_e32 v5, v5, v19
	s_or_b32 exec_lo, exec_lo, s0
	s_and_saveexec_b32 s0, vcc_lo
	s_cbranch_execz .LBB46_81
.LBB46_122:
	v_lshl_add_u32 v19, v17, 2, v18
	ds_load_b32 v19, v19 offset:80
	s_waitcnt lgkmcnt(0)
	v_add_f32_e32 v6, v6, v19
	s_or_b32 exec_lo, exec_lo, s0
	s_and_saveexec_b32 s0, vcc_lo
	s_cbranch_execz .LBB46_82
.LBB46_123:
	v_lshl_add_u32 v19, v17, 2, v18
	ds_load_b32 v19, v19 offset:96
	s_waitcnt lgkmcnt(0)
	v_add_f32_e32 v7, v7, v19
	s_or_b32 exec_lo, exec_lo, s0
	s_and_saveexec_b32 s0, vcc_lo
	s_cbranch_execz .LBB46_83
.LBB46_124:
	v_lshl_add_u32 v19, v17, 2, v18
	ds_load_b32 v19, v19 offset:112
	s_waitcnt lgkmcnt(0)
	v_add_f32_e32 v8, v8, v19
	s_or_b32 exec_lo, exec_lo, s0
	s_and_saveexec_b32 s0, vcc_lo
	s_cbranch_execz .LBB46_84
.LBB46_125:
	v_lshl_add_u32 v19, v17, 2, v18
	ds_load_b32 v19, v19 offset:128
	s_waitcnt lgkmcnt(0)
	v_add_f32_e32 v9, v9, v19
	s_or_b32 exec_lo, exec_lo, s0
	s_and_saveexec_b32 s0, vcc_lo
	s_cbranch_execz .LBB46_85
.LBB46_126:
	v_lshl_add_u32 v19, v17, 2, v18
	ds_load_b32 v19, v19 offset:144
	s_waitcnt lgkmcnt(0)
	v_add_f32_e32 v10, v10, v19
	s_or_b32 exec_lo, exec_lo, s0
	s_and_saveexec_b32 s0, vcc_lo
	s_cbranch_execz .LBB46_86
.LBB46_127:
	v_lshl_add_u32 v19, v17, 2, v18
	ds_load_b32 v19, v19 offset:160
	s_waitcnt lgkmcnt(0)
	v_add_f32_e32 v11, v11, v19
	s_or_b32 exec_lo, exec_lo, s0
	s_and_saveexec_b32 s0, vcc_lo
	s_cbranch_execz .LBB46_87
.LBB46_128:
	v_lshl_add_u32 v19, v17, 2, v18
	ds_load_b32 v19, v19 offset:176
	s_waitcnt lgkmcnt(0)
	v_add_f32_e32 v12, v12, v19
	s_or_b32 exec_lo, exec_lo, s0
	s_and_saveexec_b32 s0, vcc_lo
	s_cbranch_execz .LBB46_88
.LBB46_129:
	v_lshl_add_u32 v19, v17, 2, v18
	ds_load_b32 v19, v19 offset:192
	s_waitcnt lgkmcnt(0)
	v_add_f32_e32 v13, v13, v19
	s_or_b32 exec_lo, exec_lo, s0
	s_and_saveexec_b32 s0, vcc_lo
	s_cbranch_execz .LBB46_89
.LBB46_130:
	v_lshl_add_u32 v19, v17, 2, v18
	ds_load_b32 v19, v19 offset:208
	s_waitcnt lgkmcnt(0)
	v_add_f32_e32 v14, v14, v19
	s_or_b32 exec_lo, exec_lo, s0
	s_and_saveexec_b32 s0, vcc_lo
	s_cbranch_execz .LBB46_90
.LBB46_131:
	v_lshl_add_u32 v19, v17, 2, v18
	ds_load_b32 v19, v19 offset:224
	s_waitcnt lgkmcnt(0)
	v_add_f32_e32 v15, v15, v19
	s_or_b32 exec_lo, exec_lo, s0
	s_and_saveexec_b32 s0, vcc_lo
	s_cbranch_execnz .LBB46_91
	s_branch .LBB46_92
.LBB46_132:
	ds_load_b32 v18, v17
	s_waitcnt lgkmcnt(0)
	v_add_f32_e32 v1, v1, v18
	s_or_b32 exec_lo, exec_lo, s0
	s_and_saveexec_b32 s0, vcc_lo
	s_cbranch_execz .LBB46_98
.LBB46_133:
	ds_load_b32 v18, v17 offset:16
	s_waitcnt lgkmcnt(0)
	v_add_f32_e32 v2, v2, v18
	s_or_b32 exec_lo, exec_lo, s0
	s_and_saveexec_b32 s0, vcc_lo
	s_cbranch_execz .LBB46_99
.LBB46_134:
	ds_load_b32 v18, v17 offset:32
	s_waitcnt lgkmcnt(0)
	v_add_f32_e32 v3, v3, v18
	s_or_b32 exec_lo, exec_lo, s0
	s_and_saveexec_b32 s0, vcc_lo
	s_cbranch_execz .LBB46_100
.LBB46_135:
	ds_load_b32 v18, v17 offset:48
	s_waitcnt lgkmcnt(0)
	v_add_f32_e32 v4, v4, v18
	s_or_b32 exec_lo, exec_lo, s0
	s_and_saveexec_b32 s0, vcc_lo
	s_cbranch_execz .LBB46_101
.LBB46_136:
	ds_load_b32 v18, v17 offset:64
	s_waitcnt lgkmcnt(0)
	v_add_f32_e32 v5, v5, v18
	s_or_b32 exec_lo, exec_lo, s0
	s_and_saveexec_b32 s0, vcc_lo
	s_cbranch_execz .LBB46_102
.LBB46_137:
	ds_load_b32 v18, v17 offset:80
	s_waitcnt lgkmcnt(0)
	v_add_f32_e32 v6, v6, v18
	s_or_b32 exec_lo, exec_lo, s0
	s_and_saveexec_b32 s0, vcc_lo
	s_cbranch_execz .LBB46_103
.LBB46_138:
	ds_load_b32 v18, v17 offset:96
	s_waitcnt lgkmcnt(0)
	v_add_f32_e32 v7, v7, v18
	s_or_b32 exec_lo, exec_lo, s0
	s_and_saveexec_b32 s0, vcc_lo
	s_cbranch_execz .LBB46_104
.LBB46_139:
	ds_load_b32 v18, v17 offset:112
	s_waitcnt lgkmcnt(0)
	v_add_f32_e32 v8, v8, v18
	s_or_b32 exec_lo, exec_lo, s0
	s_and_saveexec_b32 s0, vcc_lo
	s_cbranch_execz .LBB46_105
.LBB46_140:
	ds_load_b32 v18, v17 offset:128
	s_waitcnt lgkmcnt(0)
	v_add_f32_e32 v9, v9, v18
	s_or_b32 exec_lo, exec_lo, s0
	s_and_saveexec_b32 s0, vcc_lo
	s_cbranch_execz .LBB46_106
.LBB46_141:
	ds_load_b32 v18, v17 offset:144
	s_waitcnt lgkmcnt(0)
	v_add_f32_e32 v10, v10, v18
	s_or_b32 exec_lo, exec_lo, s0
	s_and_saveexec_b32 s0, vcc_lo
	s_cbranch_execz .LBB46_107
.LBB46_142:
	ds_load_b32 v18, v17 offset:160
	s_waitcnt lgkmcnt(0)
	v_add_f32_e32 v11, v11, v18
	s_or_b32 exec_lo, exec_lo, s0
	s_and_saveexec_b32 s0, vcc_lo
	s_cbranch_execz .LBB46_108
.LBB46_143:
	ds_load_b32 v18, v17 offset:176
	s_waitcnt lgkmcnt(0)
	v_add_f32_e32 v12, v12, v18
	s_or_b32 exec_lo, exec_lo, s0
	s_and_saveexec_b32 s0, vcc_lo
	s_cbranch_execz .LBB46_109
.LBB46_144:
	ds_load_b32 v18, v17 offset:192
	s_waitcnt lgkmcnt(0)
	v_add_f32_e32 v13, v13, v18
	s_or_b32 exec_lo, exec_lo, s0
	s_and_saveexec_b32 s0, vcc_lo
	s_cbranch_execz .LBB46_110
.LBB46_145:
	ds_load_b32 v18, v17 offset:208
	s_waitcnt lgkmcnt(0)
	v_add_f32_e32 v14, v14, v18
	s_or_b32 exec_lo, exec_lo, s0
	s_and_saveexec_b32 s0, vcc_lo
	s_cbranch_execz .LBB46_111
.LBB46_146:
	ds_load_b32 v18, v17 offset:224
	s_waitcnt lgkmcnt(0)
	v_add_f32_e32 v15, v15, v18
	s_or_b32 exec_lo, exec_lo, s0
	s_and_saveexec_b32 s0, vcc_lo
	s_cbranch_execnz .LBB46_112
	s_branch .LBB46_113
	.section	.rodata,"a",@progbits
	.p2align	6, 0x0
	.amdhsa_kernel _ZN4vllm25paged_attention_v2_kernelIffLi64ELi32ELi128ELNS_18Fp8KVCacheDataTypeE0ELb1ELi512EEEvPfS2_PT_PKS3_PKT0_S9_ifPKiSB_iPKfiiiSD_SD_iiiii
		.amdhsa_group_segment_fixed_size 288
		.amdhsa_private_segment_fixed_size 0
		.amdhsa_kernarg_size 400
		.amdhsa_user_sgpr_count 13
		.amdhsa_user_sgpr_dispatch_ptr 0
		.amdhsa_user_sgpr_queue_ptr 0
		.amdhsa_user_sgpr_kernarg_segment_ptr 1
		.amdhsa_user_sgpr_dispatch_id 0
		.amdhsa_user_sgpr_private_segment_size 0
		.amdhsa_wavefront_size32 1
		.amdhsa_uses_dynamic_stack 0
		.amdhsa_enable_private_segment 0
		.amdhsa_system_sgpr_workgroup_id_x 1
		.amdhsa_system_sgpr_workgroup_id_y 1
		.amdhsa_system_sgpr_workgroup_id_z 1
		.amdhsa_system_sgpr_workgroup_info 0
		.amdhsa_system_vgpr_workitem_id 0
		.amdhsa_next_free_vgpr 124
		.amdhsa_next_free_sgpr 46
		.amdhsa_reserve_vcc 1
		.amdhsa_float_round_mode_32 0
		.amdhsa_float_round_mode_16_64 0
		.amdhsa_float_denorm_mode_32 3
		.amdhsa_float_denorm_mode_16_64 3
		.amdhsa_dx10_clamp 1
		.amdhsa_ieee_mode 1
		.amdhsa_fp16_overflow 0
		.amdhsa_workgroup_processor_mode 1
		.amdhsa_memory_ordered 1
		.amdhsa_forward_progress 0
		.amdhsa_shared_vgpr_count 0
		.amdhsa_exception_fp_ieee_invalid_op 0
		.amdhsa_exception_fp_denorm_src 0
		.amdhsa_exception_fp_ieee_div_zero 0
		.amdhsa_exception_fp_ieee_overflow 0
		.amdhsa_exception_fp_ieee_underflow 0
		.amdhsa_exception_fp_ieee_inexact 0
		.amdhsa_exception_int_div_zero 0
	.end_amdhsa_kernel
	.section	.text._ZN4vllm25paged_attention_v2_kernelIffLi64ELi32ELi128ELNS_18Fp8KVCacheDataTypeE0ELb1ELi512EEEvPfS2_PT_PKS3_PKT0_S9_ifPKiSB_iPKfiiiSD_SD_iiiii,"axG",@progbits,_ZN4vllm25paged_attention_v2_kernelIffLi64ELi32ELi128ELNS_18Fp8KVCacheDataTypeE0ELb1ELi512EEEvPfS2_PT_PKS3_PKT0_S9_ifPKiSB_iPKfiiiSD_SD_iiiii,comdat
.Lfunc_end46:
	.size	_ZN4vllm25paged_attention_v2_kernelIffLi64ELi32ELi128ELNS_18Fp8KVCacheDataTypeE0ELb1ELi512EEEvPfS2_PT_PKS3_PKT0_S9_ifPKiSB_iPKfiiiSD_SD_iiiii, .Lfunc_end46-_ZN4vllm25paged_attention_v2_kernelIffLi64ELi32ELi128ELNS_18Fp8KVCacheDataTypeE0ELb1ELi512EEEvPfS2_PT_PKS3_PKT0_S9_ifPKiSB_iPKfiiiSD_SD_iiiii
                                        ; -- End function
	.section	.AMDGPU.csdata,"",@progbits
; Kernel info:
; codeLenInByte = 8920
; NumSgprs: 48
; NumVgprs: 124
; ScratchSize: 0
; MemoryBound: 0
; FloatMode: 240
; IeeeMode: 1
; LDSByteSize: 288 bytes/workgroup (compile time only)
; SGPRBlocks: 5
; VGPRBlocks: 15
; NumSGPRsForWavesPerEU: 48
; NumVGPRsForWavesPerEU: 124
; Occupancy: 10
; WaveLimiterHint : 1
; COMPUTE_PGM_RSRC2:SCRATCH_EN: 0
; COMPUTE_PGM_RSRC2:USER_SGPR: 13
; COMPUTE_PGM_RSRC2:TRAP_HANDLER: 0
; COMPUTE_PGM_RSRC2:TGID_X_EN: 1
; COMPUTE_PGM_RSRC2:TGID_Y_EN: 1
; COMPUTE_PGM_RSRC2:TGID_Z_EN: 1
; COMPUTE_PGM_RSRC2:TIDIG_COMP_CNT: 0
	.section	.text._ZN4vllm25paged_attention_v2_kernelIffLi80ELi32ELi128ELNS_18Fp8KVCacheDataTypeE0ELb1ELi512EEEvPfS2_PT_PKS3_PKT0_S9_ifPKiSB_iPKfiiiSD_SD_iiiii,"axG",@progbits,_ZN4vllm25paged_attention_v2_kernelIffLi80ELi32ELi128ELNS_18Fp8KVCacheDataTypeE0ELb1ELi512EEEvPfS2_PT_PKS3_PKT0_S9_ifPKiSB_iPKfiiiSD_SD_iiiii,comdat
	.protected	_ZN4vllm25paged_attention_v2_kernelIffLi80ELi32ELi128ELNS_18Fp8KVCacheDataTypeE0ELb1ELi512EEEvPfS2_PT_PKS3_PKT0_S9_ifPKiSB_iPKfiiiSD_SD_iiiii ; -- Begin function _ZN4vllm25paged_attention_v2_kernelIffLi80ELi32ELi128ELNS_18Fp8KVCacheDataTypeE0ELb1ELi512EEEvPfS2_PT_PKS3_PKT0_S9_ifPKiSB_iPKfiiiSD_SD_iiiii
	.globl	_ZN4vllm25paged_attention_v2_kernelIffLi80ELi32ELi128ELNS_18Fp8KVCacheDataTypeE0ELb1ELi512EEEvPfS2_PT_PKS3_PKT0_S9_ifPKiSB_iPKfiiiSD_SD_iiiii
	.p2align	8
	.type	_ZN4vllm25paged_attention_v2_kernelIffLi80ELi32ELi128ELNS_18Fp8KVCacheDataTypeE0ELb1ELi512EEEvPfS2_PT_PKS3_PKT0_S9_ifPKiSB_iPKfiiiSD_SD_iiiii,@function
_ZN4vllm25paged_attention_v2_kernelIffLi80ELi32ELi128ELNS_18Fp8KVCacheDataTypeE0ELb1ELi512EEEvPfS2_PT_PKS3_PKT0_S9_ifPKiSB_iPKfiiiSD_SD_iiiii: ; @_ZN4vllm25paged_attention_v2_kernelIffLi80ELi32ELi128ELNS_18Fp8KVCacheDataTypeE0ELb1ELi512EEEvPfS2_PT_PKS3_PKT0_S9_ifPKiSB_iPKfiiiSD_SD_iiiii
; %bb.0:
	s_load_b64 s[2:3], s[0:1], 0x40
	s_mov_b32 s12, s15
	s_ashr_i32 s15, s14, 31
	s_delay_alu instid0(SALU_CYCLE_1)
	s_lshl_b64 s[4:5], s[14:15], 2
	s_waitcnt lgkmcnt(0)
	s_add_u32 s2, s2, s4
	s_addc_u32 s3, s3, s5
	s_lshl_b32 s37, s12, 9
	s_load_b32 s15, s[2:3], 0x0
	s_waitcnt lgkmcnt(0)
	s_cmp_ge_i32 s37, s15
	s_cbranch_scc1 .LBB47_132
; %bb.1:
	s_mov_b32 s24, s13
	s_clause 0x1
	s_load_b32 s13, s[0:1], 0x90
	s_load_b64 s[2:3], s[0:1], 0x30
	s_mov_b32 s39, 0
	s_waitcnt lgkmcnt(0)
	s_abs_i32 s7, s13
	s_abs_i32 s4, s2
	s_delay_alu instid0(SALU_CYCLE_1) | instskip(SKIP_1) | instid1(VALU_DEP_1)
	v_cvt_f32_u32_e32 v1, s4
	s_sub_i32 s6, 0, s4
	v_rcp_iflag_f32_e32 v1, v1
	s_waitcnt_depctr 0xfff
	v_mul_f32_e32 v1, 0x4f7ffffe, v1
	s_delay_alu instid0(VALU_DEP_1) | instskip(NEXT) | instid1(VALU_DEP_1)
	v_cvt_u32_f32_e32 v1, v1
	v_readfirstlane_b32 s5, v1
	s_delay_alu instid0(VALU_DEP_1) | instskip(NEXT) | instid1(SALU_CYCLE_1)
	s_mul_i32 s6, s6, s5
	s_mul_hi_u32 s6, s5, s6
	s_delay_alu instid0(SALU_CYCLE_1) | instskip(SKIP_4) | instid1(SALU_CYCLE_1)
	s_add_i32 s5, s5, s6
	s_xor_b32 s6, s13, s2
	s_mul_hi_u32 s5, s7, s5
	s_ashr_i32 s6, s6, 31
	s_mul_i32 s8, s5, s4
	s_sub_i32 s7, s7, s8
	s_add_i32 s8, s5, 1
	s_sub_i32 s9, s7, s4
	s_cmp_ge_u32 s7, s4
	s_cselect_b32 s5, s8, s5
	s_cselect_b32 s7, s9, s7
	s_add_i32 s8, s5, 1
	s_cmp_ge_u32 s7, s4
	s_cselect_b32 s4, s8, s5
	s_abs_i32 s17, s24
	s_xor_b32 s4, s4, s6
	s_delay_alu instid0(SALU_CYCLE_1) | instskip(SKIP_2) | instid1(SALU_CYCLE_1)
	s_sub_i32 s8, s4, s6
	s_load_b64 s[4:5], s[0:1], 0x50
	s_abs_i32 s16, s8
	v_cvt_f32_u32_e32 v1, s16
	s_sub_i32 s7, 0, s16
	s_delay_alu instid0(VALU_DEP_1) | instskip(SKIP_2) | instid1(VALU_DEP_1)
	v_rcp_iflag_f32_e32 v1, v1
	s_waitcnt_depctr 0xfff
	v_mul_f32_e32 v1, 0x4f7ffffe, v1
	v_cvt_u32_f32_e32 v1, v1
	s_delay_alu instid0(VALU_DEP_1) | instskip(NEXT) | instid1(VALU_DEP_1)
	v_readfirstlane_b32 s6, v1
	s_mul_i32 s7, s7, s6
	s_delay_alu instid0(SALU_CYCLE_1) | instskip(NEXT) | instid1(SALU_CYCLE_1)
	s_mul_hi_u32 s7, s6, s7
	s_add_i32 s6, s6, s7
	s_waitcnt lgkmcnt(0)
	s_cmp_eq_u64 s[4:5], 0
	s_mul_hi_u32 s18, s17, s6
	s_cbranch_scc1 .LBB47_3
; %bb.2:
	s_ashr_i32 s25, s24, 31
	s_delay_alu instid0(SALU_CYCLE_1) | instskip(NEXT) | instid1(SALU_CYCLE_1)
	s_lshl_b64 s[6:7], s[24:25], 2
	s_add_u32 s4, s4, s6
	s_addc_u32 s5, s5, s7
	s_load_b32 s39, s[4:5], 0x0
.LBB47_3:
	s_load_b128 s[4:7], s[0:1], 0x58
	s_waitcnt lgkmcnt(0)
	s_ashr_i32 s7, s24, 31
	s_ashr_i32 s19, s8, 31
	s_mul_i32 s20, s24, 0x50
	s_mov_b32 s8, exec_lo
	v_cmpx_gt_u32_e32 20, v0
	s_cbranch_execz .LBB47_5
; %bb.4:
	s_load_b64 s[10:11], s[0:1], 0x18
	s_mul_i32 s22, s14, s4
	v_lshlrev_b32_e32 v5, 4, v0
	s_ashr_i32 s23, s22, 31
	s_delay_alu instid0(SALU_CYCLE_1) | instskip(SKIP_4) | instid1(SALU_CYCLE_1)
	s_lshl_b64 s[22:23], s[22:23], 2
	s_waitcnt lgkmcnt(0)
	s_add_u32 s4, s10, s22
	s_addc_u32 s9, s11, s23
	s_ashr_i32 s21, s20, 31
	s_lshl_b64 s[10:11], s[20:21], 2
	s_delay_alu instid0(SALU_CYCLE_1)
	s_add_u32 s10, s4, s10
	s_addc_u32 s11, s9, s11
	global_load_b128 v[1:4], v5, s[10:11]
	s_waitcnt vmcnt(0)
	ds_store_b128 v5, v[1:4]
.LBB47_5:
	s_or_b32 exec_lo, exec_lo, s8
	s_load_b128 s[8:11], s[0:1], 0x78
	s_mul_i32 s4, s18, s16
	s_xor_b32 s7, s7, s19
	s_sub_i32 s4, s17, s4
	s_add_i32 s17, s18, 1
	s_sub_i32 s19, s4, s16
	s_cmp_ge_u32 s4, s16
	s_waitcnt lgkmcnt(0)
	s_cselect_b32 s17, s17, s18
	s_cselect_b32 s4, s19, s4
	s_add_i32 s18, s17, 1
	s_cmp_ge_u32 s4, s16
	s_load_b32 s4, s[0:1], 0x88
	s_cselect_b32 s16, s18, s17
	s_mov_b32 s17, -1
	s_xor_b32 s16, s16, s7
	s_waitcnt lgkmcnt(0)
	s_barrier
	s_sub_i32 s34, s16, s7
	s_add_i32 s16, s15, -1
	buffer_gl0_inv
	s_abs_i32 s21, s11
	s_abs_i32 s28, s16
	v_cvt_f32_u32_e32 v1, s21
	s_sub_i32 s7, 0, s21
                                        ; implicit-def: $sgpr33
	s_delay_alu instid0(VALU_DEP_1) | instskip(SKIP_2) | instid1(VALU_DEP_1)
	v_rcp_iflag_f32_e32 v1, v1
	s_waitcnt_depctr 0xfff
	v_mul_f32_e32 v1, 0x4f7ffffe, v1
	v_cvt_u32_f32_e32 v1, v1
	s_delay_alu instid0(VALU_DEP_1) | instskip(NEXT) | instid1(VALU_DEP_1)
	v_readfirstlane_b32 s25, v1
	s_mul_i32 s7, s7, s25
	s_delay_alu instid0(SALU_CYCLE_1) | instskip(NEXT) | instid1(SALU_CYCLE_1)
	s_mul_hi_u32 s7, s25, s7
	s_add_i32 s25, s25, s7
	s_cmp_lt_i32 s4, 0
	s_mul_hi_u32 s7, s28, s25
	s_cbranch_scc0 .LBB47_7
; %bb.6:
	s_mul_i32 s2, s8, s2
	s_mov_b32 s17, 0
	s_add_i32 s2, s34, s2
	s_delay_alu instid0(SALU_CYCLE_1) | instskip(NEXT) | instid1(SALU_CYCLE_1)
	s_mul_i32 s2, s2, s4
	s_sub_i32 s33, 1, s2
.LBB47_7:
	s_load_b64 s[26:27], s[0:1], 0x38
	s_ashr_i32 s2, s16, 31
	s_and_not1_b32 vcc_lo, exec_lo, s17
	s_ashr_i32 s11, s11, 31
	s_cbranch_vccnz .LBB47_9
; %bb.8:
	s_mul_i32 s8, s13, s8
	s_delay_alu instid0(SALU_CYCLE_1) | instskip(NEXT) | instid1(SALU_CYCLE_1)
	s_add_i32 s8, s8, s24
	s_mul_i32 s4, s8, s4
	s_delay_alu instid0(SALU_CYCLE_1)
	s_add_i32 s33, s4, 1
.LBB47_9:
	s_clause 0x4
	s_load_b32 s8, s[0:1], 0x48
	s_load_b64 s[30:31], s[0:1], 0x28
	s_load_b32 s4, s[0:1], 0x98
	s_load_b128 s[16:19], s[0:1], 0x0
	s_load_b64 s[22:23], s[0:1], 0x10
	s_xor_b32 s35, s2, s11
	s_mul_i32 s2, s7, s21
	s_add_i32 s36, s7, 1
	s_sub_i32 s2, s28, s2
	v_lshrrev_b32_e32 v88, 5, v0
	v_dual_mov_b32 v84, 0xff7fffff :: v_dual_and_b32 v89, 31, v0
	s_mul_i32 s34, s34, s6
	s_delay_alu instid0(VALU_DEP_2) | instskip(NEXT) | instid1(VALU_DEP_2)
	v_lshl_add_u32 v90, v88, 5, s37
	v_lshlrev_b32_e32 v83, 2, v89
	s_waitcnt lgkmcnt(0)
	s_mul_i32 s28, s14, s8
	s_sub_i32 s8, s2, s21
	s_ashr_i32 s29, s28, 31
	s_cmp_ge_u32 s2, s21
	s_cselect_b32 s7, s36, s7
	s_cselect_b32 s2, s8, s2
	s_add_i32 s8, s7, 1
	s_cmp_ge_u32 s2, s21
	s_cselect_b32 s2, s8, s7
	s_add_i32 s8, s15, 31
	s_lshl_b32 s7, s12, 4
	s_ashr_i32 s36, s8, 31
	v_add_nc_u32_e32 v85, s7, v88
	s_lshr_b32 s36, s36, 27
	s_add_i32 s38, s7, 16
	s_add_i32 s8, s8, s36
	s_xor_b32 s40, s2, s35
	s_ashr_i32 s36, s8, 5
	v_ashrrev_i32_e32 v86, 31, v85
	s_min_i32 s8, s38, s36
	s_sub_i32 s38, s40, s35
	v_cmp_gt_i32_e64 s2, s8, v85
	s_delay_alu instid0(VALU_DEP_1)
	s_and_saveexec_b32 s6, s2
	s_cbranch_execz .LBB47_17
; %bb.10:
	s_load_b64 s[0:1], s[0:1], 0x20
	s_ashr_i32 s35, s34, 31
	s_sub_i32 s40, s38, s9
	s_lshl_b64 s[42:43], s[34:35], 2
	v_dual_mov_b32 v77, 0 :: v_dual_mov_b32 v92, v85
	v_lshlrev_b64 v[81:82], 2, v[85:86]
	v_dual_mov_b32 v84, 0xff7fffff :: v_dual_lshlrev_b32 v95, 4, v89
	v_subrev_nc_u32_e32 v93, s15, v89
	v_lshl_or_b32 v94, v88, 7, v83
	v_cmp_neq_f32_e64 vcc_lo, s39, 0
	v_lshl_add_u32 v87, v88, 5, s37
	v_mov_b32_e32 v91, 0xff7fffff
	v_add_nc_u32_e32 v93, 1, v93
	v_add_nc_u32_e32 v94, 0x160, v94
	s_waitcnt lgkmcnt(0)
	s_add_u32 s41, s0, s42
	s_addc_u32 s42, s1, s43
	s_abs_i32 s35, s10
	v_add_co_u32 v95, s41, s41, v95
	v_cvt_f32_u32_e32 v1, s35
	s_sub_i32 s0, 0, s35
	s_delay_alu instid0(VALU_DEP_1)
	v_rcp_iflag_f32_e32 v33, v1
	ds_load_b128 v[1:4], v77
	ds_load_b128 v[5:8], v77 offset:16
	ds_load_b128 v[9:12], v77 offset:32
	;; [unrolled: 1-line block ×7, first 2 shown]
	v_mul_f32_e32 v49, 0x4f7ffffe, v33
	ds_load_b128 v[33:36], v77 offset:128
	ds_load_b128 v[37:40], v77 offset:144
	;; [unrolled: 1-line block ×4, first 2 shown]
	v_cvt_u32_f32_e32 v97, v49
	ds_load_b128 v[49:52], v77 offset:192
	ds_load_b128 v[53:56], v77 offset:208
	;; [unrolled: 1-line block ×8, first 2 shown]
	v_mul_lo_u32 v96, s0, v97
	s_lshl_b64 s[0:1], s[28:29], 2
	s_delay_alu instid0(SALU_CYCLE_1) | instskip(SKIP_2) | instid1(VALU_DEP_1)
	s_add_u32 s0, s26, s0
	s_addc_u32 s1, s27, s1
	v_add_co_u32 v81, s0, s0, v81
	v_add_co_ci_u32_e64 v82, s0, s1, v82, s0
	s_delay_alu instid0(VALU_DEP_3) | instskip(SKIP_3) | instid1(VALU_DEP_2)
	v_mul_hi_u32 v98, v97, v96
	v_add_co_ci_u32_e64 v96, null, s42, 0, s41
	s_mov_b32 s42, s5
	s_mov_b32 s41, 0
	v_add_nc_u32_e32 v97, v97, v98
	s_branch .LBB47_12
.LBB47_11:                              ;   in Loop: Header=BB47_12 Depth=1
	s_or_b32 exec_lo, exec_lo, s1
	v_add_nc_u32_e32 v92, 4, v92
	v_add_co_u32 v81, s1, v81, 16
	s_delay_alu instid0(VALU_DEP_1) | instskip(NEXT) | instid1(VALU_DEP_3)
	v_add_co_ci_u32_e64 v82, s1, 0, v82, s1
	v_cmp_le_i32_e64 s0, s8, v92
	v_add_nc_u32_e32 v87, 0x80, v87
	v_add_nc_u32_e32 v94, 0x200, v94
	s_delay_alu instid0(VALU_DEP_3) | instskip(NEXT) | instid1(SALU_CYCLE_1)
	s_or_b32 s41, s0, s41
	s_and_not1_b32 exec_lo, exec_lo, s41
	s_cbranch_execz .LBB47_16
.LBB47_12:                              ; =>This Inner Loop Header: Depth=1
	v_sub_nc_u32_e32 v98, 0, v87
	s_delay_alu instid0(VALU_DEP_1) | instskip(NEXT) | instid1(VALU_DEP_1)
	v_max_i32_e32 v98, v87, v98
	v_mul_hi_u32 v99, v98, s25
	s_delay_alu instid0(VALU_DEP_1) | instskip(NEXT) | instid1(VALU_DEP_1)
	v_mul_lo_u32 v100, v99, s21
	v_sub_nc_u32_e32 v98, v98, v100
	v_add_nc_u32_e32 v100, 1, v99
	s_delay_alu instid0(VALU_DEP_2) | instskip(SKIP_1) | instid1(VALU_DEP_1)
	v_subrev_nc_u32_e32 v101, s21, v98
	v_cmp_le_u32_e64 s0, s21, v98
	v_cndmask_b32_e64 v99, v99, v100, s0
	s_delay_alu instid0(VALU_DEP_3) | instskip(SKIP_1) | instid1(VALU_DEP_3)
	v_cndmask_b32_e64 v98, v98, v101, s0
	v_ashrrev_i32_e32 v100, 31, v87
	v_add_nc_u32_e32 v101, 1, v99
	s_delay_alu instid0(VALU_DEP_3) | instskip(NEXT) | instid1(VALU_DEP_3)
	v_cmp_le_u32_e64 s0, s21, v98
	v_xor_b32_e32 v100, s11, v100
	s_delay_alu instid0(VALU_DEP_2) | instskip(NEXT) | instid1(VALU_DEP_1)
	v_cndmask_b32_e64 v98, v99, v101, s0
	v_xor_b32_e32 v98, v98, v100
	s_delay_alu instid0(VALU_DEP_1) | instskip(NEXT) | instid1(VALU_DEP_1)
	v_sub_nc_u32_e32 v98, v98, v100
	v_add_nc_u32_e32 v99, s33, v98
	v_cmp_ge_i32_e64 s1, s40, v98
	s_delay_alu instid0(VALU_DEP_2) | instskip(NEXT) | instid1(VALU_DEP_1)
	v_sub_nc_u32_e32 v100, 0, v99
	v_max_i32_e32 v100, v99, v100
	v_ashrrev_i32_e32 v99, 31, v99
	s_delay_alu instid0(VALU_DEP_2) | instskip(NEXT) | instid1(VALU_DEP_1)
	v_mul_hi_u32 v101, v100, v97
	v_mul_lo_u32 v101, v101, s35
	s_delay_alu instid0(VALU_DEP_1) | instskip(NEXT) | instid1(VALU_DEP_1)
	v_sub_nc_u32_e32 v100, v100, v101
	v_subrev_nc_u32_e32 v101, s35, v100
	v_cmp_le_u32_e64 s0, s35, v100
	s_delay_alu instid0(VALU_DEP_1) | instskip(NEXT) | instid1(VALU_DEP_1)
	v_cndmask_b32_e64 v100, v100, v101, s0
	v_subrev_nc_u32_e32 v101, s35, v100
	v_cmp_le_u32_e64 s0, s35, v100
	s_delay_alu instid0(VALU_DEP_1) | instskip(NEXT) | instid1(VALU_DEP_1)
	v_cndmask_b32_e64 v100, v100, v101, s0
	v_xor_b32_e32 v100, v100, v99
	s_delay_alu instid0(VALU_DEP_1) | instskip(NEXT) | instid1(VALU_DEP_1)
	v_sub_nc_u32_e32 v99, v100, v99
	v_cmp_ne_u32_e64 s0, 0, v99
	s_delay_alu instid0(VALU_DEP_1) | instskip(NEXT) | instid1(SALU_CYCLE_1)
	s_and_b32 s0, s0, s1
	s_and_saveexec_b32 s1, s0
	s_delay_alu instid0(SALU_CYCLE_1)
	s_xor_b32 s0, exec_lo, s1
	s_cbranch_execz .LBB47_14
; %bb.13:                               ;   in Loop: Header=BB47_12 Depth=1
	ds_store_b32 v94, v91
.LBB47_14:                              ;   in Loop: Header=BB47_12 Depth=1
	s_and_not1_saveexec_b32 s1, s0
	s_cbranch_execz .LBB47_11
; %bb.15:                               ;   in Loop: Header=BB47_12 Depth=1
	global_load_b32 v100, v[81:82], off
	s_waitcnt vmcnt(0)
	v_mad_i64_i32 v[98:99], null, v100, s42, 0
	s_delay_alu instid0(VALU_DEP_1) | instskip(NEXT) | instid1(VALU_DEP_1)
	v_lshlrev_b64 v[98:99], 2, v[98:99]
	v_add_co_u32 v138, s0, v95, v98
	s_delay_alu instid0(VALU_DEP_1)
	v_add_co_ci_u32_e64 v139, s0, v96, v99, s0
	s_clause 0x7
	global_load_b128 v[98:101], v[138:139], off offset:512
	global_load_b128 v[102:105], v[138:139], off
	global_load_b128 v[106:109], v[138:139], off offset:1024
	global_load_b128 v[110:113], v[138:139], off offset:1536
	;; [unrolled: 1-line block ×6, first 2 shown]
	v_add_co_u32 v140, s0, v138, 0x2000
	s_delay_alu instid0(VALU_DEP_1) | instskip(SKIP_1) | instid1(VALU_DEP_1)
	v_add_co_ci_u32_e64 v141, s0, 0, v139, s0
	v_add_co_u32 v142, s0, 0x1000, v138
	v_add_co_ci_u32_e64 v143, s0, 0, v139, s0
	s_clause 0x1
	global_load_b128 v[130:133], v[140:141], off offset:-4096
	global_load_b128 v[134:137], v[142:143], off offset:512
	s_waitcnt vmcnt(9) lgkmcnt(18)
	v_dual_mul_f32 v144, v5, v98 :: v_dual_mul_f32 v145, v6, v99
	v_dual_mul_f32 v146, v7, v100 :: v_dual_mul_f32 v147, v8, v101
	global_load_b128 v[98:101], v[142:143], off offset:1024
	s_waitcnt vmcnt(9)
	v_dual_fmac_f32 v144, v1, v102 :: v_dual_fmac_f32 v145, v2, v103
	v_dual_fmac_f32 v146, v3, v104 :: v_dual_fmac_f32 v147, v4, v105
	global_load_b128 v[102:105], v[142:143], off offset:1536
	s_waitcnt vmcnt(9) lgkmcnt(17)
	v_dual_fmac_f32 v144, v9, v106 :: v_dual_fmac_f32 v145, v10, v107
	v_dual_fmac_f32 v146, v11, v108 :: v_dual_fmac_f32 v147, v12, v109
	global_load_b128 v[106:109], v[142:143], off offset:2048
	s_waitcnt vmcnt(9) lgkmcnt(16)
	;; [unrolled: 4-line block ×4, first 2 shown]
	v_dual_fmac_f32 v144, v21, v118 :: v_dual_fmac_f32 v145, v22, v119
	v_dual_fmac_f32 v146, v23, v120 :: v_dual_fmac_f32 v147, v24, v121
	global_load_b128 v[118:121], v[142:143], off offset:3584
	v_add_co_u32 v142, s0, 0x2000, v138
	s_delay_alu instid0(VALU_DEP_1)
	v_add_co_ci_u32_e64 v143, s0, 0, v139, s0
	global_load_b128 v[138:141], v[140:141], off
	s_waitcnt vmcnt(10) lgkmcnt(13)
	v_dual_fmac_f32 v144, v25, v122 :: v_dual_fmac_f32 v145, v26, v123
	v_dual_fmac_f32 v146, v27, v124 :: v_dual_fmac_f32 v147, v28, v125
	global_load_b128 v[122:125], v[142:143], off offset:512
	s_waitcnt vmcnt(10) lgkmcnt(12)
	v_dual_fmac_f32 v144, v29, v126 :: v_dual_fmac_f32 v145, v30, v127
	v_dual_fmac_f32 v146, v31, v128 :: v_dual_fmac_f32 v147, v32, v129
	global_load_b128 v[126:129], v[142:143], off offset:1024
	s_waitcnt vmcnt(10) lgkmcnt(11)
	v_dual_fmac_f32 v144, v33, v130 :: v_dual_fmac_f32 v145, v34, v131
	v_dual_fmac_f32 v146, v35, v132 :: v_dual_fmac_f32 v147, v36, v133
	global_load_b128 v[130:133], v[142:143], off offset:1536
	s_waitcnt vmcnt(10) lgkmcnt(10)
	v_dual_fmac_f32 v144, v37, v134 :: v_dual_fmac_f32 v145, v38, v135
	v_dual_fmac_f32 v146, v39, v136 :: v_dual_fmac_f32 v147, v40, v137
	s_waitcnt vmcnt(9) lgkmcnt(9)
	s_delay_alu instid0(VALU_DEP_2) | instskip(NEXT) | instid1(VALU_DEP_2)
	v_dual_fmac_f32 v145, v42, v99 :: v_dual_fmac_f32 v144, v41, v98
	v_dual_fmac_f32 v146, v43, v100 :: v_dual_fmac_f32 v147, v44, v101
	s_waitcnt vmcnt(8) lgkmcnt(8)
	s_delay_alu instid0(VALU_DEP_2) | instskip(NEXT) | instid1(VALU_DEP_3)
	v_dual_max_f32 v100, v84, v84 :: v_dual_fmac_f32 v145, v46, v103
	v_fmac_f32_e32 v144, v45, v102
	s_delay_alu instid0(VALU_DEP_3) | instskip(SKIP_1) | instid1(VALU_DEP_2)
	v_dual_fmac_f32 v146, v47, v104 :: v_dual_fmac_f32 v147, v48, v105
	s_waitcnt vmcnt(7) lgkmcnt(7)
	v_dual_fmac_f32 v145, v50, v107 :: v_dual_fmac_f32 v144, v49, v106
	s_delay_alu instid0(VALU_DEP_2) | instskip(SKIP_1) | instid1(VALU_DEP_2)
	v_dual_fmac_f32 v146, v51, v108 :: v_dual_fmac_f32 v147, v52, v109
	s_waitcnt vmcnt(6) lgkmcnt(6)
	v_dual_fmac_f32 v145, v54, v111 :: v_dual_fmac_f32 v144, v53, v110
	s_delay_alu instid0(VALU_DEP_2) | instskip(SKIP_1) | instid1(VALU_DEP_2)
	;; [unrolled: 4-line block ×5, first 2 shown]
	v_dual_fmac_f32 v146, v67, v140 :: v_dual_fmac_f32 v147, v68, v141
	s_waitcnt vmcnt(2) lgkmcnt(2)
	v_dual_fmac_f32 v145, v70, v123 :: v_dual_fmac_f32 v144, v69, v122
	s_delay_alu instid0(VALU_DEP_2) | instskip(SKIP_2) | instid1(VALU_DEP_3)
	v_dual_fmac_f32 v146, v71, v124 :: v_dual_fmac_f32 v147, v72, v125
	v_add_nc_u32_e32 v98, v93, v87
	s_waitcnt vmcnt(1) lgkmcnt(1)
	v_dual_fmac_f32 v145, v74, v127 :: v_dual_fmac_f32 v144, v73, v126
	s_delay_alu instid0(VALU_DEP_3) | instskip(NEXT) | instid1(VALU_DEP_3)
	v_dual_fmac_f32 v146, v75, v128 :: v_dual_fmac_f32 v147, v76, v129
	v_cvt_f32_i32_e32 v98, v98
	s_waitcnt vmcnt(0) lgkmcnt(0)
	s_delay_alu instid0(VALU_DEP_3) | instskip(NEXT) | instid1(VALU_DEP_3)
	v_dual_fmac_f32 v145, v78, v131 :: v_dual_fmac_f32 v144, v77, v130
	v_dual_fmac_f32 v147, v80, v133 :: v_dual_fmac_f32 v146, v79, v132
	s_delay_alu instid0(VALU_DEP_2) | instskip(NEXT) | instid1(VALU_DEP_1)
	v_dual_add_f32 v99, v144, v145 :: v_dual_mul_f32 v98, s39, v98
	v_dual_add_f32 v99, v146, v99 :: v_dual_cndmask_b32 v98, 0, v98
	s_delay_alu instid0(VALU_DEP_1) | instskip(NEXT) | instid1(VALU_DEP_1)
	v_add_f32_e32 v99, v147, v99
	v_fmac_f32_e32 v98, s3, v99
	s_delay_alu instid0(VALU_DEP_1) | instskip(NEXT) | instid1(VALU_DEP_1)
	v_dual_max_f32 v100, v100, v98 :: v_dual_add_nc_u32 v99, v89, v87
	v_cmp_gt_i32_e64 s0, s15, v99
	s_delay_alu instid0(VALU_DEP_1) | instskip(NEXT) | instid1(VALU_DEP_3)
	v_cndmask_b32_e64 v98, 0, v98, s0
	v_cndmask_b32_e64 v84, v84, v100, s0
	ds_store_b32 v94, v98
	s_branch .LBB47_11
.LBB47_16:
	s_or_b32 exec_lo, exec_lo, s41
.LBB47_17:
	s_delay_alu instid0(SALU_CYCLE_1) | instskip(SKIP_4) | instid1(VALU_DEP_2)
	s_or_b32 exec_lo, exec_lo, s6
	s_waitcnt lgkmcnt(19)
	v_mbcnt_lo_u32_b32 v1, -1, 0
	s_waitcnt lgkmcnt(18)
	v_max_f32_e32 v5, v84, v84
	v_xor_b32_e32 v2, 16, v1
	v_xor_b32_e32 v4, 8, v1
	s_delay_alu instid0(VALU_DEP_2) | instskip(SKIP_1) | instid1(VALU_DEP_3)
	v_cmp_gt_i32_e32 vcc_lo, 32, v2
	v_cndmask_b32_e32 v2, v1, v2, vcc_lo
	v_cmp_gt_i32_e32 vcc_lo, 32, v4
	s_delay_alu instid0(VALU_DEP_2) | instskip(SKIP_4) | instid1(VALU_DEP_1)
	v_lshlrev_b32_e32 v2, 2, v2
	v_cndmask_b32_e32 v4, v1, v4, vcc_lo
	ds_bpermute_b32 v3, v2, v84
	s_waitcnt lgkmcnt(0)
	v_dual_max_f32 v6, v3, v3 :: v_dual_lshlrev_b32 v3, 2, v4
	v_max_f32_e32 v4, v5, v6
	v_xor_b32_e32 v6, 4, v1
	ds_bpermute_b32 v5, v3, v4
	v_cmp_gt_i32_e32 vcc_lo, 32, v6
	v_cndmask_b32_e32 v6, v1, v6, vcc_lo
	s_delay_alu instid0(VALU_DEP_1) | instskip(SKIP_1) | instid1(VALU_DEP_1)
	v_lshlrev_b32_e32 v93, 2, v6
	v_xor_b32_e32 v6, 2, v1
	v_cmp_gt_i32_e32 vcc_lo, 32, v6
	s_waitcnt lgkmcnt(0)
	v_max_f32_e32 v5, v5, v5
	v_cndmask_b32_e32 v6, v1, v6, vcc_lo
	s_delay_alu instid0(VALU_DEP_1) | instskip(SKIP_1) | instid1(VALU_DEP_1)
	v_lshlrev_b32_e32 v92, 2, v6
	v_xor_b32_e32 v6, 1, v1
	v_cmp_gt_i32_e32 vcc_lo, 32, v6
	v_cndmask_b32_e32 v6, v1, v6, vcc_lo
	v_max_f32_e32 v4, v4, v5
	v_cmp_eq_u32_e32 vcc_lo, 0, v89
	s_delay_alu instid0(VALU_DEP_3) | instskip(SKIP_3) | instid1(VALU_DEP_1)
	v_lshlrev_b32_e32 v91, 2, v6
	ds_bpermute_b32 v5, v93, v4
	s_waitcnt lgkmcnt(0)
	v_max_f32_e32 v5, v5, v5
	v_max_f32_e32 v4, v4, v5
	ds_bpermute_b32 v5, v92, v4
	s_waitcnt lgkmcnt(0)
	v_max_f32_e32 v5, v5, v5
	s_delay_alu instid0(VALU_DEP_1)
	v_max_f32_e32 v1, v4, v5
	v_lshlrev_b32_e32 v5, 2, v88
	ds_bpermute_b32 v4, v91, v1
	s_and_saveexec_b32 s0, vcc_lo
	s_cbranch_execz .LBB47_19
; %bb.18:
	s_waitcnt lgkmcnt(0)
	v_dual_max_f32 v4, v4, v4 :: v_dual_max_f32 v1, v1, v1
	s_delay_alu instid0(VALU_DEP_1)
	v_max_f32_e32 v1, v1, v4
	ds_store_b32 v5, v1 offset:320
.LBB47_19:
	s_or_b32 exec_lo, exec_lo, s0
	v_cmp_gt_u32_e64 s0, 4, v89
	v_mov_b32_e32 v1, 0xff7fffff
	s_waitcnt lgkmcnt(0)
	s_barrier
	buffer_gl0_inv
	s_and_saveexec_b32 s1, s0
	s_cbranch_execz .LBB47_21
; %bb.20:
	ds_load_b32 v1, v83 offset:320
.LBB47_21:
	s_or_b32 exec_lo, exec_lo, s1
	s_waitcnt lgkmcnt(0)
	ds_bpermute_b32 v4, v92, v1
	v_max_f32_e32 v1, v1, v1
	s_sub_i32 s1, s8, s7
	v_mov_b32_e32 v6, 0
	s_lshl_b32 s1, s1, 5
	s_delay_alu instid0(SALU_CYCLE_1) | instskip(NEXT) | instid1(SALU_CYCLE_1)
	s_add_i32 s1, s1, s37
	s_min_i32 s1, s1, s15
	s_delay_alu instid0(SALU_CYCLE_1) | instskip(NEXT) | instid1(SALU_CYCLE_1)
	s_sub_i32 s6, s1, s37
	v_cmp_gt_i32_e64 s1, s6, v0
	s_waitcnt lgkmcnt(0)
	v_max_f32_e32 v4, v4, v4
	s_delay_alu instid0(VALU_DEP_1) | instskip(SKIP_3) | instid1(VALU_DEP_1)
	v_max_f32_e32 v1, v1, v4
	ds_bpermute_b32 v4, v91, v1
	s_waitcnt lgkmcnt(0)
	v_max_f32_e32 v4, v4, v4
	v_max_f32_e32 v1, v1, v4
	v_lshl_add_u32 v4, v0, 2, 0x160
	ds_bpermute_b32 v1, v6, v1
	s_and_saveexec_b32 s7, s1
	s_cbranch_execz .LBB47_25
; %bb.22:
	v_lshl_add_u32 v7, v0, 2, 0x160
	v_mov_b32_e32 v6, 0
	v_mov_b32_e32 v8, v0
	s_mov_b32 s35, 0
	.p2align	6
.LBB47_23:                              ; =>This Inner Loop Header: Depth=1
	ds_load_b32 v9, v7
	v_add_nc_u32_e32 v8, 0x80, v8
	s_delay_alu instid0(VALU_DEP_1) | instskip(NEXT) | instid1(VALU_DEP_1)
	v_cmp_le_i32_e64 s3, s6, v8
	s_or_b32 s35, s3, s35
	s_waitcnt lgkmcnt(0)
	v_sub_f32_e32 v9, v9, v1
	s_delay_alu instid0(VALU_DEP_1) | instskip(NEXT) | instid1(VALU_DEP_1)
	v_mul_f32_e32 v9, 0x3fb8aa3b, v9
	v_exp_f32_e32 v9, v9
	ds_store_b32 v7, v9
	v_dual_add_f32 v6, v6, v9 :: v_dual_add_nc_u32 v7, 0x200, v7
	s_and_not1_b32 exec_lo, exec_lo, s35
	s_cbranch_execnz .LBB47_23
; %bb.24:
	s_or_b32 exec_lo, exec_lo, s35
.LBB47_25:
	s_delay_alu instid0(SALU_CYCLE_1)
	s_or_b32 exec_lo, exec_lo, s7
	ds_bpermute_b32 v2, v2, v6
	s_waitcnt lgkmcnt(0)
	v_add_f32_e32 v2, v6, v2
	ds_bpermute_b32 v3, v3, v2
	s_waitcnt lgkmcnt(0)
	v_add_f32_e32 v2, v2, v3
	;; [unrolled: 3-line block ×5, first 2 shown]
	s_and_saveexec_b32 s3, vcc_lo
	s_cbranch_execz .LBB47_27
; %bb.26:
	ds_store_b32 v5, v2 offset:336
.LBB47_27:
	s_or_b32 exec_lo, exec_lo, s3
	s_waitcnt lgkmcnt(0)
	s_barrier
	buffer_gl0_inv
	s_and_saveexec_b32 s3, s0
	s_cbranch_execz .LBB47_29
; %bb.28:
	ds_load_b32 v2, v83 offset:336
.LBB47_29:
	s_or_b32 exec_lo, exec_lo, s3
	s_waitcnt lgkmcnt(0)
	ds_bpermute_b32 v3, v92, v2
	s_waitcnt lgkmcnt(0)
	v_add_f32_e32 v2, v2, v3
	ds_bpermute_b32 v3, v91, v2
	s_waitcnt lgkmcnt(0)
	v_dual_add_f32 v2, v2, v3 :: v_dual_mov_b32 v3, 0
	ds_bpermute_b32 v2, v3, v2
	s_and_saveexec_b32 s0, s1
	s_cbranch_execz .LBB47_32
; %bb.30:
	s_waitcnt lgkmcnt(0)
	v_add_f32_e32 v3, 0x358637bd, v2
	s_mov_b32 s1, 0
	s_delay_alu instid0(VALU_DEP_1) | instskip(SKIP_1) | instid1(VALU_DEP_2)
	v_div_scale_f32 v5, null, v3, v3, 1.0
	v_div_scale_f32 v8, vcc_lo, 1.0, v3, 1.0
	v_rcp_f32_e32 v6, v5
	s_waitcnt_depctr 0xfff
	v_fma_f32 v7, -v5, v6, 1.0
	s_delay_alu instid0(VALU_DEP_1) | instskip(NEXT) | instid1(VALU_DEP_1)
	v_fmac_f32_e32 v6, v7, v6
	v_mul_f32_e32 v7, v8, v6
	s_delay_alu instid0(VALU_DEP_1) | instskip(NEXT) | instid1(VALU_DEP_1)
	v_fma_f32 v9, -v5, v7, v8
	v_fmac_f32_e32 v7, v9, v6
	s_delay_alu instid0(VALU_DEP_1) | instskip(NEXT) | instid1(VALU_DEP_1)
	v_fma_f32 v5, -v5, v7, v8
	v_div_fmas_f32 v5, v5, v6, v7
	s_delay_alu instid0(VALU_DEP_1)
	v_div_fixup_f32 v3, v5, v3, 1.0
	v_mov_b32_e32 v5, v0
.LBB47_31:                              ; =>This Inner Loop Header: Depth=1
	ds_load_b32 v6, v4
	s_waitcnt lgkmcnt(0)
	v_dual_mul_f32 v6, v3, v6 :: v_dual_add_nc_u32 v5, 0x80, v5
	s_delay_alu instid0(VALU_DEP_1) | instskip(SKIP_3) | instid1(SALU_CYCLE_1)
	v_cmp_le_i32_e32 vcc_lo, s6, v5
	ds_store_b32 v4, v6
	v_add_nc_u32_e32 v4, 0x200, v4
	s_or_b32 s1, vcc_lo, s1
	s_and_not1_b32 exec_lo, exec_lo, s1
	s_cbranch_execnz .LBB47_31
.LBB47_32:
	s_or_b32 exec_lo, exec_lo, s0
	s_mul_i32 s0, s4, s14
	s_waitcnt lgkmcnt(0)
	s_mul_i32 s6, s0, s13
	s_mov_b32 s0, exec_lo
	s_barrier
	buffer_gl0_inv
	v_cmpx_eq_u32_e32 0, v0
	s_cbranch_execz .LBB47_34
; %bb.33:
	s_ashr_i32 s7, s6, 31
	s_mul_i32 s42, s4, s24
	s_lshl_b64 s[40:41], s[6:7], 2
	v_mov_b32_e32 v3, 0
	s_add_u32 s1, s18, s40
	s_addc_u32 s3, s19, s41
	s_ashr_i32 s43, s42, 31
	s_delay_alu instid0(SALU_CYCLE_1) | instskip(NEXT) | instid1(SALU_CYCLE_1)
	s_lshl_b64 s[18:19], s[42:43], 2
	s_add_u32 s1, s1, s18
	s_addc_u32 s3, s3, s19
	s_ashr_i32 s13, s12, 31
	s_delay_alu instid0(SALU_CYCLE_1) | instskip(NEXT) | instid1(SALU_CYCLE_1)
	s_lshl_b64 s[42:43], s[12:13], 2
	s_add_u32 s44, s1, s42
	s_addc_u32 s45, s3, s43
	s_add_u32 s1, s16, s40
	s_addc_u32 s3, s17, s41
	;; [unrolled: 2-line block ×4, first 2 shown]
	s_clause 0x1
	global_store_b32 v3, v1, s[44:45]
	global_store_b32 v3, v2, s[16:17]
.LBB47_34:
	s_or_b32 exec_lo, exec_lo, s0
	v_dual_mov_b32 v113, 0 :: v_dual_and_b32 v94, 7, v0
	v_dual_mov_b32 v114, 0 :: v_dual_mov_b32 v111, 0
	v_dual_mov_b32 v112, 0 :: v_dual_mov_b32 v109, 0
	v_dual_mov_b32 v110, 0 :: v_dual_mov_b32 v107, 0
	v_dual_mov_b32 v108, 0 :: v_dual_mov_b32 v105, 0
	v_dual_mov_b32 v106, 0 :: v_dual_mov_b32 v103, 0
	v_dual_mov_b32 v104, 0 :: v_dual_mov_b32 v101, 0
	v_dual_mov_b32 v102, 0 :: v_dual_mov_b32 v99, 0
	v_dual_mov_b32 v100, 0 :: v_dual_mov_b32 v97, 0
	v_dual_mov_b32 v98, 0 :: v_dual_mov_b32 v95, 0
	v_mov_b32_e32 v96, 0
	s_mov_b32 s3, 0
	s_and_saveexec_b32 s1, s2
	s_cbranch_execz .LBB47_80
; %bb.35:
	s_ashr_i32 s35, s34, 31
	s_sub_i32 s2, s38, s9
	s_lshl_b64 s[16:17], s[34:35], 2
	v_dual_mov_b32 v96, 0 :: v_dual_lshlrev_b32 v3, 2, v0
	s_add_u32 s7, s30, s16
	s_addc_u32 s9, s31, s17
	s_abs_i32 s10, s10
	s_delay_alu instid0(VALU_DEP_1) | instskip(SKIP_4) | instid1(VALU_DEP_3)
	v_dual_mov_b32 v100, 0 :: v_dual_and_b32 v115, 28, v3
	v_cvt_f32_u32_e32 v1, s10
	s_sub_i32 s0, 0, s10
	v_dual_mov_b32 v102, 0 :: v_dual_and_b32 v3, 0x7c, v3
	v_dual_mov_b32 v98, 0 :: v_dual_lshlrev_b32 v5, 4, v94
	v_rcp_iflag_f32_e32 v4, v1
	v_mov_b32_e32 v95, 0
	v_lshlrev_b64 v[1:2], 2, v[85:86]
	v_or_b32_e32 v6, 0x400, v3
	v_or_b32_e32 v7, 0x480, v3
	;; [unrolled: 1-line block ×7, first 2 shown]
	v_mul_f32_e32 v4, 0x4f7ffffe, v4
	v_or_b32_e32 v14, 0x780, v3
	v_or_b32_e32 v15, 0x800, v3
	;; [unrolled: 1-line block ×4, first 2 shown]
	v_cvt_u32_f32_e32 v4, v4
	v_or_b32_e32 v18, 0x980, v3
	v_dual_mov_b32 v104, 0 :: v_dual_lshlrev_b32 v117, 2, v3
	s_lshl_b64 s[16:17], s[28:29], 2
	s_delay_alu instid0(VALU_DEP_3)
	v_mul_lo_u32 v13, s0, v4
	s_add_i32 s13, s36, -1
	v_lshl_or_b32 v5, v88, 7, v5
	s_add_u32 s14, s26, s16
	s_addc_u32 s16, s27, s17
	v_add_co_u32 v86, vcc_lo, s14, v1
	s_delay_alu instid0(VALU_DEP_2) | instskip(NEXT) | instid1(VALU_DEP_4)
	v_dual_mov_b32 v97, 0 :: v_dual_add_nc_u32 v116, 0x160, v5
	v_mul_hi_u32 v3, v4, v13
	v_add_co_ci_u32_e32 v87, vcc_lo, s16, v2, vcc_lo
	v_dual_mov_b32 v99, 0 :: v_dual_lshlrev_b32 v118, 2, v6
	v_dual_mov_b32 v106, 0 :: v_dual_lshlrev_b32 v119, 2, v7
	;; [unrolled: 1-line block ×6, first 2 shown]
	v_dual_mov_b32 v105, 0 :: v_dual_add_nc_u32 v124, v4, v3
	v_dual_mov_b32 v112, 0 :: v_dual_lshlrev_b32 v125, 2, v12
	v_dual_mov_b32 v107, 0 :: v_dual_lshlrev_b32 v126, 2, v14
	;; [unrolled: 1-line block ×4, first 2 shown]
	v_lshlrev_b32_e32 v129, 2, v17
	v_dual_mov_b32 v111, 0 :: v_dual_lshlrev_b32 v130, 2, v18
	v_mov_b32_e32 v113, 0
	s_branch .LBB47_38
.LBB47_36:                              ;   in Loop: Header=BB47_38 Depth=1
	s_or_b32 exec_lo, exec_lo, s0
	s_waitcnt vmcnt(16) lgkmcnt(0)
	v_mul_f32_e32 v18, v2, v18
	s_waitcnt vmcnt(8)
	v_mul_f32_e32 v50, v2, v50
	v_mul_f32_e32 v26, v2, v26
	s_waitcnt vmcnt(1)
	v_mul_f32_e32 v82, v2, v82
	v_mul_f32_e32 v78, v2, v78
	v_fmac_f32_e32 v18, v1, v17
	v_mul_f32_e32 v74, v2, v74
	v_mul_f32_e32 v70, v2, v70
	;; [unrolled: 1-line block ×7, first 2 shown]
	v_fmac_f32_e32 v50, v1, v49
	v_mul_f32_e32 v38, v2, v38
	v_mul_f32_e32 v34, v2, v34
	;; [unrolled: 1-line block ×4, first 2 shown]
	v_fmac_f32_e32 v26, v1, v25
	v_mul_f32_e32 v14, v2, v14
	v_mul_f32_e32 v10, v2, v10
	;; [unrolled: 1-line block ×3, first 2 shown]
	s_waitcnt vmcnt(0)
	v_mul_f32_e32 v2, v2, v66
	v_fmac_f32_e32 v18, v3, v19
	v_fmac_f32_e32 v58, v1, v57
	;; [unrolled: 1-line block ×10, first 2 shown]
	s_delay_alu instid0(VALU_DEP_4) | instskip(SKIP_2) | instid1(VALU_DEP_3)
	v_dual_fmac_f32 v50, v4, v52 :: v_dual_add_f32 v111, v111, v18
	v_fmac_f32_e32 v78, v1, v77
	v_fmac_f32_e32 v34, v3, v35
	v_dual_fmac_f32 v26, v4, v28 :: v_dual_add_f32 v103, v103, v50
	v_fmac_f32_e32 v70, v3, v71
	v_fmac_f32_e32 v6, v1, v5
	s_delay_alu instid0(VALU_DEP_3) | instskip(SKIP_1) | instid1(VALU_DEP_4)
	v_dual_fmac_f32 v2, v3, v67 :: v_dual_add_f32 v109, v109, v26
	v_fmac_f32_e32 v54, v1, v53
	v_fmac_f32_e32 v70, v4, v72
	;; [unrolled: 1-line block ×5, first 2 shown]
	s_delay_alu instid0(VALU_DEP_4) | instskip(SKIP_3) | instid1(VALU_DEP_4)
	v_dual_fmac_f32 v58, v4, v60 :: v_dual_add_f32 v99, v99, v70
	v_fmac_f32_e32 v78, v3, v79
	v_fmac_f32_e32 v38, v1, v37
	;; [unrolled: 1-line block ×3, first 2 shown]
	v_add_f32_e32 v101, v101, v58
	v_fmac_f32_e32 v22, v1, v21
	v_fmac_f32_e32 v34, v4, v36
	;; [unrolled: 1-line block ×6, first 2 shown]
	v_dual_add_f32 v107, v107, v34 :: v_dual_fmac_f32 v2, v4, v68
	v_fmac_f32_e32 v62, v1, v61
	v_fmac_f32_e32 v78, v4, v80
	;; [unrolled: 1-line block ×5, first 2 shown]
	s_delay_alu instid0(VALU_DEP_4) | instskip(SKIP_2) | instid1(VALU_DEP_3)
	v_dual_fmac_f32 v42, v4, v44 :: v_dual_add_f32 v97, v97, v78
	v_fmac_f32_e32 v74, v3, v75
	v_fmac_f32_e32 v38, v3, v39
	v_dual_fmac_f32 v30, v3, v31 :: v_dual_add_f32 v105, v105, v42
	v_fmac_f32_e32 v22, v3, v23
	v_fmac_f32_e32 v14, v3, v15
	v_fmac_f32_e32 v10, v3, v11
	v_dual_fmac_f32 v6, v4, v8 :: v_dual_add_f32 v95, v95, v2
	v_fmac_f32_e32 v62, v3, v63
	v_fmac_f32_e32 v82, v4, v84
	s_delay_alu instid0(VALU_DEP_3) | instskip(SKIP_1) | instid1(VALU_DEP_4)
	v_dual_fmac_f32 v74, v4, v76 :: v_dual_add_f32 v113, v113, v6
	v_fmac_f32_e32 v54, v4, v56
	v_fmac_f32_e32 v62, v4, v64
	;; [unrolled: 1-line block ×8, first 2 shown]
	v_add_f32_e32 v96, v96, v82
	v_add_f32_e32 v98, v98, v74
	;; [unrolled: 1-line block ×10, first 2 shown]
.LBB47_37:                              ;   in Loop: Header=BB47_38 Depth=1
	s_or_b32 exec_lo, exec_lo, s14
	v_add_nc_u32_e32 v85, 4, v85
	v_add_co_u32 v86, s0, v86, 16
	s_delay_alu instid0(VALU_DEP_1) | instskip(NEXT) | instid1(VALU_DEP_3)
	v_add_co_ci_u32_e64 v87, s0, 0, v87, s0
	v_cmp_le_i32_e32 vcc_lo, s8, v85
	v_add_nc_u32_e32 v90, 0x80, v90
	v_add_nc_u32_e32 v116, 0x200, v116
	s_or_b32 s3, vcc_lo, s3
	s_delay_alu instid0(SALU_CYCLE_1)
	s_and_not1_b32 exec_lo, exec_lo, s3
	s_cbranch_execz .LBB47_79
.LBB47_38:                              ; =>This Inner Loop Header: Depth=1
	v_sub_nc_u32_e32 v1, 0, v90
	s_delay_alu instid0(VALU_DEP_1) | instskip(NEXT) | instid1(VALU_DEP_1)
	v_max_i32_e32 v1, v90, v1
	v_mul_hi_u32 v2, v1, s25
	s_delay_alu instid0(VALU_DEP_1) | instskip(NEXT) | instid1(VALU_DEP_1)
	v_mul_lo_u32 v3, v2, s21
	v_sub_nc_u32_e32 v1, v1, v3
	v_add_nc_u32_e32 v3, 1, v2
	s_delay_alu instid0(VALU_DEP_2) | instskip(SKIP_1) | instid1(VALU_DEP_2)
	v_subrev_nc_u32_e32 v4, s21, v1
	v_cmp_le_u32_e32 vcc_lo, s21, v1
	v_dual_cndmask_b32 v2, v2, v3 :: v_dual_cndmask_b32 v1, v1, v4
	v_ashrrev_i32_e32 v3, 31, v90
	s_delay_alu instid0(VALU_DEP_2) | instskip(NEXT) | instid1(VALU_DEP_3)
	v_add_nc_u32_e32 v4, 1, v2
	v_cmp_le_u32_e32 vcc_lo, s21, v1
	s_delay_alu instid0(VALU_DEP_3) | instskip(NEXT) | instid1(VALU_DEP_3)
	v_xor_b32_e32 v3, s11, v3
	v_cndmask_b32_e32 v1, v2, v4, vcc_lo
	s_delay_alu instid0(VALU_DEP_1) | instskip(NEXT) | instid1(VALU_DEP_1)
	v_xor_b32_e32 v1, v1, v3
	v_sub_nc_u32_e32 v1, v1, v3
	s_delay_alu instid0(VALU_DEP_1) | instskip(SKIP_1) | instid1(VALU_DEP_2)
	v_add_nc_u32_e32 v2, s33, v1
	v_cmp_lt_i32_e64 s0, s2, v1
	v_sub_nc_u32_e32 v3, 0, v2
	s_delay_alu instid0(VALU_DEP_1) | instskip(NEXT) | instid1(VALU_DEP_1)
	v_max_i32_e32 v3, v2, v3
	v_mul_hi_u32 v4, v3, v124
	s_delay_alu instid0(VALU_DEP_1) | instskip(NEXT) | instid1(VALU_DEP_1)
	v_mul_lo_u32 v4, v4, s10
	v_sub_nc_u32_e32 v3, v3, v4
	s_delay_alu instid0(VALU_DEP_1) | instskip(SKIP_1) | instid1(VALU_DEP_2)
	v_subrev_nc_u32_e32 v4, s10, v3
	v_cmp_le_u32_e32 vcc_lo, s10, v3
	v_cndmask_b32_e32 v3, v3, v4, vcc_lo
	v_ashrrev_i32_e32 v2, 31, v2
	s_delay_alu instid0(VALU_DEP_2) | instskip(SKIP_1) | instid1(VALU_DEP_2)
	v_subrev_nc_u32_e32 v4, s10, v3
	v_cmp_le_u32_e32 vcc_lo, s10, v3
	v_cndmask_b32_e32 v3, v3, v4, vcc_lo
	s_delay_alu instid0(VALU_DEP_1) | instskip(NEXT) | instid1(VALU_DEP_1)
	v_xor_b32_e32 v3, v3, v2
	v_sub_nc_u32_e32 v2, v3, v2
	s_delay_alu instid0(VALU_DEP_1) | instskip(SKIP_1) | instid1(SALU_CYCLE_1)
	v_cmp_eq_u32_e32 vcc_lo, 0, v2
	s_or_b32 s0, vcc_lo, s0
	s_and_saveexec_b32 s14, s0
	s_cbranch_execz .LBB47_37
; %bb.39:                               ;   in Loop: Header=BB47_38 Depth=1
	global_load_b32 v3, v[86:87], off
	v_add_nc_u32_e32 v131, v115, v90
	s_delay_alu instid0(VALU_DEP_1) | instskip(SKIP_4) | instid1(VALU_DEP_1)
	v_add_nc_u32_e32 v134, 1, v131
	v_add_nc_u32_e32 v133, 2, v131
	;; [unrolled: 1-line block ×3, first 2 shown]
	s_waitcnt vmcnt(0)
	v_mad_i64_i32 v[1:2], null, v3, s5, 0
	v_lshlrev_b64 v[1:2], 2, v[1:2]
	s_delay_alu instid0(VALU_DEP_1) | instskip(NEXT) | instid1(VALU_DEP_2)
	v_add_co_u32 v65, vcc_lo, s7, v1
	v_add_co_ci_u32_e32 v66, vcc_lo, s9, v2, vcc_lo
	ds_load_b128 v[1:4], v116
	v_add_co_u32 v33, vcc_lo, v65, v117
	v_add_co_ci_u32_e32 v34, vcc_lo, 0, v66, vcc_lo
	v_cmp_eq_u32_e32 vcc_lo, s13, v85
	global_load_b128 v[5:8], v[33:34], off
	s_and_saveexec_b32 s16, vcc_lo
	s_cbranch_execnz .LBB47_72
; %bb.40:                               ;   in Loop: Header=BB47_38 Depth=1
	s_or_b32 exec_lo, exec_lo, s16
	global_load_b128 v[9:12], v[33:34], off offset:512
	s_and_saveexec_b32 s16, vcc_lo
	s_cbranch_execnz .LBB47_73
.LBB47_41:                              ;   in Loop: Header=BB47_38 Depth=1
	s_or_b32 exec_lo, exec_lo, s16
	global_load_b128 v[13:16], v[33:34], off offset:1024
	s_and_saveexec_b32 s16, vcc_lo
	s_cbranch_execnz .LBB47_74
.LBB47_42:                              ;   in Loop: Header=BB47_38 Depth=1
	s_or_b32 exec_lo, exec_lo, s16
	global_load_b128 v[17:20], v[33:34], off offset:1536
	s_and_saveexec_b32 s16, vcc_lo
	s_cbranch_execnz .LBB47_75
.LBB47_43:                              ;   in Loop: Header=BB47_38 Depth=1
	s_or_b32 exec_lo, exec_lo, s16
	global_load_b128 v[21:24], v[33:34], off offset:2048
	s_and_saveexec_b32 s16, vcc_lo
	s_cbranch_execnz .LBB47_76
.LBB47_44:                              ;   in Loop: Header=BB47_38 Depth=1
	s_or_b32 exec_lo, exec_lo, s16
	global_load_b128 v[25:28], v[33:34], off offset:2560
	s_and_saveexec_b32 s16, vcc_lo
	s_cbranch_execnz .LBB47_77
.LBB47_45:                              ;   in Loop: Header=BB47_38 Depth=1
	s_or_b32 exec_lo, exec_lo, s16
	global_load_b128 v[29:32], v[33:34], off offset:3072
	s_and_saveexec_b32 s16, vcc_lo
	s_cbranch_execnz .LBB47_78
.LBB47_46:                              ;   in Loop: Header=BB47_38 Depth=1
	s_or_b32 exec_lo, exec_lo, s16
	global_load_b128 v[33:36], v[33:34], off offset:3584
	s_and_saveexec_b32 s16, vcc_lo
	s_cbranch_execz .LBB47_48
.LBB47_47:                              ;   in Loop: Header=BB47_38 Depth=1
	v_cmp_gt_i32_e64 s0, s15, v131
	s_waitcnt vmcnt(0)
	s_delay_alu instid0(VALU_DEP_1) | instskip(SKIP_1) | instid1(VALU_DEP_1)
	v_cndmask_b32_e64 v33, 0, v33, s0
	v_cmp_gt_i32_e64 s0, s15, v134
	v_cndmask_b32_e64 v34, 0, v34, s0
	v_cmp_gt_i32_e64 s0, s15, v133
	s_delay_alu instid0(VALU_DEP_1) | instskip(SKIP_1) | instid1(VALU_DEP_1)
	v_cndmask_b32_e64 v35, 0, v35, s0
	v_cmp_gt_i32_e64 s0, s15, v132
	v_cndmask_b32_e64 v36, 0, v36, s0
.LBB47_48:                              ;   in Loop: Header=BB47_38 Depth=1
	s_or_b32 exec_lo, exec_lo, s16
	v_add_co_u32 v37, s0, v65, v118
	s_delay_alu instid0(VALU_DEP_1)
	v_add_co_ci_u32_e64 v38, s0, 0, v66, s0
	global_load_b128 v[37:40], v[37:38], off
	s_and_saveexec_b32 s16, vcc_lo
	s_cbranch_execz .LBB47_50
; %bb.49:                               ;   in Loop: Header=BB47_38 Depth=1
	v_cmp_gt_i32_e64 s0, s15, v131
	s_waitcnt vmcnt(0)
	s_delay_alu instid0(VALU_DEP_1) | instskip(SKIP_1) | instid1(VALU_DEP_1)
	v_cndmask_b32_e64 v37, 0, v37, s0
	v_cmp_gt_i32_e64 s0, s15, v134
	v_cndmask_b32_e64 v38, 0, v38, s0
	v_cmp_gt_i32_e64 s0, s15, v133
	s_delay_alu instid0(VALU_DEP_1) | instskip(SKIP_1) | instid1(VALU_DEP_1)
	v_cndmask_b32_e64 v39, 0, v39, s0
	v_cmp_gt_i32_e64 s0, s15, v132
	v_cndmask_b32_e64 v40, 0, v40, s0
.LBB47_50:                              ;   in Loop: Header=BB47_38 Depth=1
	s_or_b32 exec_lo, exec_lo, s16
	v_add_co_u32 v41, s0, v65, v119
	s_delay_alu instid0(VALU_DEP_1)
	v_add_co_ci_u32_e64 v42, s0, 0, v66, s0
	global_load_b128 v[41:44], v[41:42], off
	s_and_saveexec_b32 s16, vcc_lo
	s_cbranch_execz .LBB47_52
; %bb.51:                               ;   in Loop: Header=BB47_38 Depth=1
	v_cmp_gt_i32_e64 s0, s15, v131
	s_waitcnt vmcnt(0)
	s_delay_alu instid0(VALU_DEP_1) | instskip(SKIP_1) | instid1(VALU_DEP_1)
	v_cndmask_b32_e64 v41, 0, v41, s0
	v_cmp_gt_i32_e64 s0, s15, v134
	v_cndmask_b32_e64 v42, 0, v42, s0
	v_cmp_gt_i32_e64 s0, s15, v133
	s_delay_alu instid0(VALU_DEP_1) | instskip(SKIP_1) | instid1(VALU_DEP_1)
	v_cndmask_b32_e64 v43, 0, v43, s0
	v_cmp_gt_i32_e64 s0, s15, v132
	v_cndmask_b32_e64 v44, 0, v44, s0
.LBB47_52:                              ;   in Loop: Header=BB47_38 Depth=1
	;; [unrolled: 20-line block ×11, first 2 shown]
	s_or_b32 exec_lo, exec_lo, s16
	v_add_co_u32 v65, s0, v65, v130
	s_delay_alu instid0(VALU_DEP_1)
	v_add_co_ci_u32_e64 v66, s0, 0, v66, s0
	global_load_b128 v[65:68], v[65:66], off
	s_and_saveexec_b32 s0, vcc_lo
	s_cbranch_execz .LBB47_36
; %bb.71:                               ;   in Loop: Header=BB47_38 Depth=1
	v_cmp_gt_i32_e32 vcc_lo, s15, v131
	s_waitcnt vmcnt(0)
	v_cndmask_b32_e32 v65, 0, v65, vcc_lo
	v_cmp_gt_i32_e32 vcc_lo, s15, v134
	v_cndmask_b32_e32 v66, 0, v66, vcc_lo
	v_cmp_gt_i32_e32 vcc_lo, s15, v133
	;; [unrolled: 2-line block ×3, first 2 shown]
	v_cndmask_b32_e32 v68, 0, v68, vcc_lo
	s_branch .LBB47_36
.LBB47_72:                              ;   in Loop: Header=BB47_38 Depth=1
	v_cmp_gt_i32_e64 s0, s15, v131
	s_waitcnt vmcnt(0)
	s_delay_alu instid0(VALU_DEP_1) | instskip(SKIP_1) | instid1(VALU_DEP_1)
	v_cndmask_b32_e64 v5, 0, v5, s0
	v_cmp_gt_i32_e64 s0, s15, v134
	v_cndmask_b32_e64 v6, 0, v6, s0
	v_cmp_gt_i32_e64 s0, s15, v133
	s_delay_alu instid0(VALU_DEP_1) | instskip(SKIP_1) | instid1(VALU_DEP_1)
	v_cndmask_b32_e64 v7, 0, v7, s0
	v_cmp_gt_i32_e64 s0, s15, v132
	v_cndmask_b32_e64 v8, 0, v8, s0
	s_or_b32 exec_lo, exec_lo, s16
	global_load_b128 v[9:12], v[33:34], off offset:512
	s_and_saveexec_b32 s16, vcc_lo
	s_cbranch_execz .LBB47_41
.LBB47_73:                              ;   in Loop: Header=BB47_38 Depth=1
	v_cmp_gt_i32_e64 s0, s15, v131
	s_waitcnt vmcnt(0)
	s_delay_alu instid0(VALU_DEP_1) | instskip(SKIP_1) | instid1(VALU_DEP_1)
	v_cndmask_b32_e64 v9, 0, v9, s0
	v_cmp_gt_i32_e64 s0, s15, v134
	v_cndmask_b32_e64 v10, 0, v10, s0
	v_cmp_gt_i32_e64 s0, s15, v133
	s_delay_alu instid0(VALU_DEP_1) | instskip(SKIP_1) | instid1(VALU_DEP_1)
	v_cndmask_b32_e64 v11, 0, v11, s0
	v_cmp_gt_i32_e64 s0, s15, v132
	v_cndmask_b32_e64 v12, 0, v12, s0
	s_or_b32 exec_lo, exec_lo, s16
	global_load_b128 v[13:16], v[33:34], off offset:1024
	s_and_saveexec_b32 s16, vcc_lo
	s_cbranch_execz .LBB47_42
.LBB47_74:                              ;   in Loop: Header=BB47_38 Depth=1
	v_cmp_gt_i32_e64 s0, s15, v131
	s_waitcnt vmcnt(0)
	s_delay_alu instid0(VALU_DEP_1) | instskip(SKIP_1) | instid1(VALU_DEP_1)
	v_cndmask_b32_e64 v13, 0, v13, s0
	v_cmp_gt_i32_e64 s0, s15, v134
	v_cndmask_b32_e64 v14, 0, v14, s0
	v_cmp_gt_i32_e64 s0, s15, v133
	s_delay_alu instid0(VALU_DEP_1) | instskip(SKIP_1) | instid1(VALU_DEP_1)
	v_cndmask_b32_e64 v15, 0, v15, s0
	v_cmp_gt_i32_e64 s0, s15, v132
	v_cndmask_b32_e64 v16, 0, v16, s0
	s_or_b32 exec_lo, exec_lo, s16
	global_load_b128 v[17:20], v[33:34], off offset:1536
	s_and_saveexec_b32 s16, vcc_lo
	s_cbranch_execz .LBB47_43
.LBB47_75:                              ;   in Loop: Header=BB47_38 Depth=1
	v_cmp_gt_i32_e64 s0, s15, v131
	s_waitcnt vmcnt(0)
	s_delay_alu instid0(VALU_DEP_1) | instskip(SKIP_1) | instid1(VALU_DEP_1)
	v_cndmask_b32_e64 v17, 0, v17, s0
	v_cmp_gt_i32_e64 s0, s15, v134
	v_cndmask_b32_e64 v18, 0, v18, s0
	v_cmp_gt_i32_e64 s0, s15, v133
	s_delay_alu instid0(VALU_DEP_1) | instskip(SKIP_1) | instid1(VALU_DEP_1)
	v_cndmask_b32_e64 v19, 0, v19, s0
	v_cmp_gt_i32_e64 s0, s15, v132
	v_cndmask_b32_e64 v20, 0, v20, s0
	s_or_b32 exec_lo, exec_lo, s16
	global_load_b128 v[21:24], v[33:34], off offset:2048
	s_and_saveexec_b32 s16, vcc_lo
	s_cbranch_execz .LBB47_44
.LBB47_76:                              ;   in Loop: Header=BB47_38 Depth=1
	v_cmp_gt_i32_e64 s0, s15, v131
	s_waitcnt vmcnt(0)
	s_delay_alu instid0(VALU_DEP_1) | instskip(SKIP_1) | instid1(VALU_DEP_1)
	v_cndmask_b32_e64 v21, 0, v21, s0
	v_cmp_gt_i32_e64 s0, s15, v134
	v_cndmask_b32_e64 v22, 0, v22, s0
	v_cmp_gt_i32_e64 s0, s15, v133
	s_delay_alu instid0(VALU_DEP_1) | instskip(SKIP_1) | instid1(VALU_DEP_1)
	v_cndmask_b32_e64 v23, 0, v23, s0
	v_cmp_gt_i32_e64 s0, s15, v132
	v_cndmask_b32_e64 v24, 0, v24, s0
	s_or_b32 exec_lo, exec_lo, s16
	global_load_b128 v[25:28], v[33:34], off offset:2560
	s_and_saveexec_b32 s16, vcc_lo
	s_cbranch_execz .LBB47_45
.LBB47_77:                              ;   in Loop: Header=BB47_38 Depth=1
	v_cmp_gt_i32_e64 s0, s15, v131
	s_waitcnt vmcnt(0)
	s_delay_alu instid0(VALU_DEP_1) | instskip(SKIP_1) | instid1(VALU_DEP_1)
	v_cndmask_b32_e64 v25, 0, v25, s0
	v_cmp_gt_i32_e64 s0, s15, v134
	v_cndmask_b32_e64 v26, 0, v26, s0
	v_cmp_gt_i32_e64 s0, s15, v133
	s_delay_alu instid0(VALU_DEP_1) | instskip(SKIP_1) | instid1(VALU_DEP_1)
	v_cndmask_b32_e64 v27, 0, v27, s0
	v_cmp_gt_i32_e64 s0, s15, v132
	v_cndmask_b32_e64 v28, 0, v28, s0
	s_or_b32 exec_lo, exec_lo, s16
	global_load_b128 v[29:32], v[33:34], off offset:3072
	s_and_saveexec_b32 s16, vcc_lo
	s_cbranch_execz .LBB47_46
.LBB47_78:                              ;   in Loop: Header=BB47_38 Depth=1
	v_cmp_gt_i32_e64 s0, s15, v131
	s_waitcnt vmcnt(0)
	s_delay_alu instid0(VALU_DEP_1) | instskip(SKIP_1) | instid1(VALU_DEP_1)
	v_cndmask_b32_e64 v29, 0, v29, s0
	v_cmp_gt_i32_e64 s0, s15, v134
	v_cndmask_b32_e64 v30, 0, v30, s0
	v_cmp_gt_i32_e64 s0, s15, v133
	s_delay_alu instid0(VALU_DEP_1) | instskip(SKIP_1) | instid1(VALU_DEP_1)
	v_cndmask_b32_e64 v31, 0, v31, s0
	v_cmp_gt_i32_e64 s0, s15, v132
	v_cndmask_b32_e64 v32, 0, v32, s0
	s_or_b32 exec_lo, exec_lo, s16
	global_load_b128 v[33:36], v[33:34], off offset:3584
	s_and_saveexec_b32 s16, vcc_lo
	s_cbranch_execnz .LBB47_47
	s_branch .LBB47_48
.LBB47_79:
	s_or_b32 exec_lo, exec_lo, s3
.LBB47_80:
	s_delay_alu instid0(SALU_CYCLE_1)
	s_or_b32 exec_lo, exec_lo, s1
	ds_bpermute_b32 v7, v93, v108
	ds_bpermute_b32 v8, v93, v107
	;; [unrolled: 1-line block ×19, first 2 shown]
	s_movk_i32 s0, 0x140
	s_waitcnt lgkmcnt(17)
	v_dual_add_f32 v7, v108, v7 :: v_dual_add_f32 v8, v107, v8
	s_waitcnt lgkmcnt(15)
	v_dual_add_f32 v1, v113, v1 :: v_dual_add_f32 v2, v114, v2
	;; [unrolled: 2-line block ×3, first 2 shown]
	ds_bpermute_b32 v18, v92, v7
	ds_bpermute_b32 v24, v92, v8
	s_waitcnt lgkmcnt(13)
	v_dual_add_f32 v9, v106, v9 :: v_dual_add_f32 v10, v105, v10
	s_waitcnt lgkmcnt(11)
	v_dual_add_f32 v5, v110, v5 :: v_dual_add_f32 v6, v109, v6
	ds_bpermute_b32 v12, v92, v1
	ds_bpermute_b32 v13, v92, v2
	;; [unrolled: 1-line block ×5, first 2 shown]
	s_waitcnt lgkmcnt(13)
	v_dual_add_f32 v11, v104, v11 :: v_dual_add_f32 v20, v102, v20
	s_waitcnt lgkmcnt(12)
	v_dual_add_f32 v19, v103, v19 :: v_dual_add_f32 v22, v100, v22
	ds_bpermute_b32 v16, v92, v5
	ds_bpermute_b32 v17, v92, v6
	;; [unrolled: 1-line block ×3, first 2 shown]
	s_waitcnt lgkmcnt(11)
	v_dual_add_f32 v23, v99, v23 :: v_dual_add_f32 v26, v97, v26
	s_waitcnt lgkmcnt(8)
	v_dual_add_f32 v7, v7, v18 :: v_dual_add_f32 v8, v8, v24
	ds_bpermute_b32 v18, v93, v95
	ds_bpermute_b32 v24, v92, v10
	;; [unrolled: 1-line block ×3, first 2 shown]
	v_add_f32_e32 v21, v101, v21
	s_waitcnt lgkmcnt(9)
	v_dual_add_f32 v1, v1, v12 :: v_dual_add_f32 v2, v2, v13
	s_waitcnt lgkmcnt(7)
	v_dual_add_f32 v3, v3, v14 :: v_dual_add_f32 v4, v4, v15
	s_waitcnt lgkmcnt(6)
	v_add_f32_e32 v9, v9, v28
	v_add_f32_e32 v25, v98, v25
	;; [unrolled: 1-line block ×3, first 2 shown]
	ds_bpermute_b32 v33, v92, v23
	ds_bpermute_b32 v13, v91, v2
	s_waitcnt lgkmcnt(6)
	v_dual_add_f32 v5, v5, v16 :: v_dual_add_f32 v6, v6, v17
	ds_bpermute_b32 v15, v91, v4
	ds_bpermute_b32 v28, v92, v11
	;; [unrolled: 1-line block ×4, first 2 shown]
	s_waitcnt lgkmcnt(9)
	v_add_f32_e32 v20, v20, v30
	s_waitcnt lgkmcnt(8)
	v_add_f32_e32 v18, v95, v18
	;; [unrolled: 2-line block ×3, first 2 shown]
	ds_bpermute_b32 v31, v92, v21
	ds_bpermute_b32 v34, v92, v25
	s_waitcnt lgkmcnt(8)
	v_add_f32_e32 v22, v22, v32
	ds_bpermute_b32 v36, v92, v27
	ds_bpermute_b32 v24, v92, v18
	;; [unrolled: 1-line block ×6, first 2 shown]
	s_waitcnt lgkmcnt(13)
	v_add_f32_e32 v23, v23, v33
	ds_bpermute_b32 v37, v91, v7
	ds_bpermute_b32 v12, v91, v1
	;; [unrolled: 1-line block ×3, first 2 shown]
	s_waitcnt lgkmcnt(13)
	v_dual_add_f32 v4, v4, v15 :: v_dual_add_f32 v11, v11, v28
	s_waitcnt lgkmcnt(11)
	v_dual_add_f32 v19, v19, v29 :: v_dual_add_f32 v26, v26, v35
	v_add_f32_e32 v2, v2, v13
	ds_bpermute_b32 v28, v91, v10
	ds_bpermute_b32 v29, v91, v11
	s_waitcnt lgkmcnt(12)
	v_add_f32_e32 v21, v21, v31
	s_waitcnt lgkmcnt(11)
	v_add_f32_e32 v25, v25, v34
	ds_bpermute_b32 v34, v91, v23
	s_waitcnt lgkmcnt(11)
	v_add_f32_e32 v27, v27, v36
	s_waitcnt lgkmcnt(10)
	v_add_f32_e32 v24, v18, v24
	ds_bpermute_b32 v32, v91, v21
	s_waitcnt lgkmcnt(9)
	v_add_f32_e32 v8, v8, v38
	ds_bpermute_b32 v30, v91, v19
	ds_bpermute_b32 v31, v91, v20
	;; [unrolled: 1-line block ×6, first 2 shown]
	v_add_f32_e32 v6, v6, v17
	ds_bpermute_b32 v35, v91, v25
	s_waitcnt lgkmcnt(15)
	v_add_f32_e32 v3, v3, v14
	s_waitcnt lgkmcnt(14)
	v_add_f32_e32 v5, v5, v16
	;; [unrolled: 2-line block ×4, first 2 shown]
	s_waitcnt lgkmcnt(10)
	v_dual_add_f32 v9, v9, v39 :: v_dual_add_f32 v10, v10, v28
	s_waitcnt lgkmcnt(9)
	v_add_f32_e32 v11, v11, v29
	s_waitcnt lgkmcnt(8)
	v_dual_add_f32 v16, v23, v34 :: v_dual_and_b32 v23, 0x3c7, v0
	s_waitcnt lgkmcnt(0)
	s_waitcnt_vscnt null, 0x0
	v_add_f32_e32 v14, v21, v32
	v_lshrrev_b32_e32 v21, 3, v89
	v_dual_add_f32 v12, v19, v30 :: v_dual_add_f32 v13, v20, v31
	v_add_f32_e32 v15, v22, v33
	v_add_f32_e32 v18, v26, v36
	v_dual_add_f32 v19, v27, v40 :: v_dual_add_f32 v20, v24, v41
	v_mad_u32_u24 v22, v88, s0, 0x160
	v_add_f32_e32 v17, v25, v35
	v_cmp_eq_u32_e32 vcc_lo, 64, v23
	v_lshlrev_b32_e32 v23, 2, v21
	s_barrier
	buffer_gl0_inv
	s_and_saveexec_b32 s0, vcc_lo
	s_cbranch_execz .LBB47_82
; %bb.81:
	v_add3_u32 v24, v22, v23, 0xfffffd80
	ds_store_2addr_b32 v24, v1, v2 offset1:4
	ds_store_2addr_b32 v24, v3, v4 offset0:8 offset1:12
	ds_store_2addr_b32 v24, v5, v6 offset0:16 offset1:20
	;; [unrolled: 1-line block ×9, first 2 shown]
.LBB47_82:
	s_or_b32 exec_lo, exec_lo, s0
	v_cmp_eq_u32_e32 vcc_lo, 0, v94
	s_mov_b32 s1, exec_lo
	s_waitcnt lgkmcnt(0)
	s_barrier
	buffer_gl0_inv
	v_cmpx_gt_u32_e32 64, v0
	s_cbranch_execz .LBB47_105
; %bb.83:
	s_and_saveexec_b32 s0, vcc_lo
	s_cbranch_execnz .LBB47_133
; %bb.84:
	s_or_b32 exec_lo, exec_lo, s0
	s_and_saveexec_b32 s0, vcc_lo
	s_cbranch_execnz .LBB47_134
.LBB47_85:
	s_or_b32 exec_lo, exec_lo, s0
	s_and_saveexec_b32 s0, vcc_lo
	s_cbranch_execnz .LBB47_135
.LBB47_86:
	s_or_b32 exec_lo, exec_lo, s0
	s_and_saveexec_b32 s0, vcc_lo
	s_cbranch_execnz .LBB47_136
.LBB47_87:
	s_or_b32 exec_lo, exec_lo, s0
	s_and_saveexec_b32 s0, vcc_lo
	s_cbranch_execnz .LBB47_137
.LBB47_88:
	s_or_b32 exec_lo, exec_lo, s0
	s_and_saveexec_b32 s0, vcc_lo
	s_cbranch_execnz .LBB47_138
.LBB47_89:
	s_or_b32 exec_lo, exec_lo, s0
	s_and_saveexec_b32 s0, vcc_lo
	s_cbranch_execnz .LBB47_139
.LBB47_90:
	s_or_b32 exec_lo, exec_lo, s0
	s_and_saveexec_b32 s0, vcc_lo
	s_cbranch_execnz .LBB47_140
.LBB47_91:
	s_or_b32 exec_lo, exec_lo, s0
	s_and_saveexec_b32 s0, vcc_lo
	s_cbranch_execnz .LBB47_141
.LBB47_92:
	s_or_b32 exec_lo, exec_lo, s0
	s_and_saveexec_b32 s0, vcc_lo
	s_cbranch_execnz .LBB47_142
.LBB47_93:
	s_or_b32 exec_lo, exec_lo, s0
	s_and_saveexec_b32 s0, vcc_lo
	s_cbranch_execnz .LBB47_143
.LBB47_94:
	s_or_b32 exec_lo, exec_lo, s0
	s_and_saveexec_b32 s0, vcc_lo
	s_cbranch_execnz .LBB47_144
.LBB47_95:
	s_or_b32 exec_lo, exec_lo, s0
	s_and_saveexec_b32 s0, vcc_lo
	s_cbranch_execnz .LBB47_145
.LBB47_96:
	s_or_b32 exec_lo, exec_lo, s0
	s_and_saveexec_b32 s0, vcc_lo
	s_cbranch_execnz .LBB47_146
.LBB47_97:
	s_or_b32 exec_lo, exec_lo, s0
	s_and_saveexec_b32 s0, vcc_lo
	s_cbranch_execnz .LBB47_147
.LBB47_98:
	s_or_b32 exec_lo, exec_lo, s0
	s_and_saveexec_b32 s0, vcc_lo
	s_cbranch_execnz .LBB47_148
.LBB47_99:
	s_or_b32 exec_lo, exec_lo, s0
	s_and_saveexec_b32 s0, vcc_lo
	s_cbranch_execnz .LBB47_149
.LBB47_100:
	s_or_b32 exec_lo, exec_lo, s0
	s_and_saveexec_b32 s0, vcc_lo
	s_cbranch_execnz .LBB47_150
.LBB47_101:
	s_or_b32 exec_lo, exec_lo, s0
	s_and_saveexec_b32 s0, vcc_lo
	s_cbranch_execnz .LBB47_151
.LBB47_102:
	s_or_b32 exec_lo, exec_lo, s0
	s_and_saveexec_b32 s0, vcc_lo
	s_cbranch_execz .LBB47_104
.LBB47_103:
	v_lshl_add_u32 v24, v21, 2, v22
	ds_load_b32 v24, v24 offset:304
	s_waitcnt lgkmcnt(0)
	v_add_f32_e32 v20, v20, v24
.LBB47_104:
	s_or_b32 exec_lo, exec_lo, s0
.LBB47_105:
	s_delay_alu instid0(SALU_CYCLE_1)
	s_or_b32 exec_lo, exec_lo, s1
	v_and_b32_e32 v24, 0x3e7, v0
	s_mov_b32 s1, exec_lo
	s_barrier
	buffer_gl0_inv
	v_cmpx_eq_u32_e32 32, v24
	s_cbranch_execz .LBB47_107
; %bb.106:
	v_add3_u32 v23, v22, v23, 0xfffffec0
	ds_store_2addr_b32 v23, v1, v2 offset1:4
	ds_store_2addr_b32 v23, v3, v4 offset0:8 offset1:12
	ds_store_2addr_b32 v23, v5, v6 offset0:16 offset1:20
	;; [unrolled: 1-line block ×9, first 2 shown]
.LBB47_107:
	s_or_b32 exec_lo, exec_lo, s1
	s_delay_alu instid0(SALU_CYCLE_1)
	s_mov_b32 s1, exec_lo
	s_waitcnt lgkmcnt(0)
	s_barrier
	buffer_gl0_inv
	v_cmpx_gt_u32_e32 32, v0
	s_cbranch_execz .LBB47_130
; %bb.108:
	v_lshl_add_u32 v21, v21, 2, v22
	s_and_saveexec_b32 s0, vcc_lo
	s_cbranch_execnz .LBB47_152
; %bb.109:
	s_or_b32 exec_lo, exec_lo, s0
	s_and_saveexec_b32 s0, vcc_lo
	s_cbranch_execnz .LBB47_153
.LBB47_110:
	s_or_b32 exec_lo, exec_lo, s0
	s_and_saveexec_b32 s0, vcc_lo
	s_cbranch_execnz .LBB47_154
.LBB47_111:
	s_or_b32 exec_lo, exec_lo, s0
	s_and_saveexec_b32 s0, vcc_lo
	s_cbranch_execnz .LBB47_155
.LBB47_112:
	s_or_b32 exec_lo, exec_lo, s0
	s_and_saveexec_b32 s0, vcc_lo
	s_cbranch_execnz .LBB47_156
.LBB47_113:
	s_or_b32 exec_lo, exec_lo, s0
	s_and_saveexec_b32 s0, vcc_lo
	s_cbranch_execnz .LBB47_157
.LBB47_114:
	s_or_b32 exec_lo, exec_lo, s0
	s_and_saveexec_b32 s0, vcc_lo
	s_cbranch_execnz .LBB47_158
.LBB47_115:
	s_or_b32 exec_lo, exec_lo, s0
	s_and_saveexec_b32 s0, vcc_lo
	s_cbranch_execnz .LBB47_159
.LBB47_116:
	s_or_b32 exec_lo, exec_lo, s0
	s_and_saveexec_b32 s0, vcc_lo
	s_cbranch_execnz .LBB47_160
.LBB47_117:
	s_or_b32 exec_lo, exec_lo, s0
	s_and_saveexec_b32 s0, vcc_lo
	s_cbranch_execnz .LBB47_161
.LBB47_118:
	s_or_b32 exec_lo, exec_lo, s0
	s_and_saveexec_b32 s0, vcc_lo
	s_cbranch_execnz .LBB47_162
.LBB47_119:
	s_or_b32 exec_lo, exec_lo, s0
	s_and_saveexec_b32 s0, vcc_lo
	s_cbranch_execnz .LBB47_163
.LBB47_120:
	s_or_b32 exec_lo, exec_lo, s0
	s_and_saveexec_b32 s0, vcc_lo
	s_cbranch_execnz .LBB47_164
.LBB47_121:
	s_or_b32 exec_lo, exec_lo, s0
	s_and_saveexec_b32 s0, vcc_lo
	s_cbranch_execnz .LBB47_165
.LBB47_122:
	s_or_b32 exec_lo, exec_lo, s0
	s_and_saveexec_b32 s0, vcc_lo
	s_cbranch_execnz .LBB47_166
.LBB47_123:
	s_or_b32 exec_lo, exec_lo, s0
	s_and_saveexec_b32 s0, vcc_lo
	s_cbranch_execnz .LBB47_167
.LBB47_124:
	s_or_b32 exec_lo, exec_lo, s0
	s_and_saveexec_b32 s0, vcc_lo
	s_cbranch_execnz .LBB47_168
.LBB47_125:
	s_or_b32 exec_lo, exec_lo, s0
	s_and_saveexec_b32 s0, vcc_lo
	s_cbranch_execnz .LBB47_169
.LBB47_126:
	s_or_b32 exec_lo, exec_lo, s0
	s_and_saveexec_b32 s0, vcc_lo
	s_cbranch_execnz .LBB47_170
.LBB47_127:
	s_or_b32 exec_lo, exec_lo, s0
	s_and_saveexec_b32 s0, vcc_lo
	s_cbranch_execz .LBB47_129
.LBB47_128:
	ds_load_b32 v21, v21 offset:304
	s_waitcnt lgkmcnt(0)
	v_add_f32_e32 v20, v20, v21
.LBB47_129:
	s_or_b32 exec_lo, exec_lo, s0
.LBB47_130:
	s_delay_alu instid0(SALU_CYCLE_1)
	s_or_b32 exec_lo, exec_lo, s1
	s_barrier
	buffer_gl0_inv
	s_mov_b32 s0, exec_lo
	v_cmpx_eq_u32_e32 0, v24
	s_cbranch_execz .LBB47_132
; %bb.131:
	s_mul_i32 s0, s6, 0x50
	s_mul_i32 s2, s4, s20
	s_ashr_i32 s1, s0, 31
	v_lshrrev_b32_e32 v0, 1, v0
	s_lshl_b64 s[0:1], s[0:1], 2
	s_delay_alu instid0(SALU_CYCLE_1) | instskip(SKIP_2) | instid1(SALU_CYCLE_1)
	s_add_u32 s4, s22, s0
	s_addc_u32 s5, s23, s1
	s_ashr_i32 s3, s2, 31
	s_lshl_b64 s[0:1], s[2:3], 2
	s_mul_i32 s2, s12, 0x50
	s_add_u32 s4, s4, s0
	s_addc_u32 s5, s5, s1
	s_ashr_i32 s3, s2, 31
	s_delay_alu instid0(SALU_CYCLE_1) | instskip(NEXT) | instid1(SALU_CYCLE_1)
	s_lshl_b64 s[0:1], s[2:3], 2
	s_add_u32 s0, s4, s0
	s_addc_u32 s1, s5, s1
	s_clause 0x13
	global_store_b32 v0, v1, s[0:1]
	global_store_b32 v0, v2, s[0:1] offset:16
	global_store_b32 v0, v3, s[0:1] offset:32
	;; [unrolled: 1-line block ×19, first 2 shown]
.LBB47_132:
	s_nop 0
	s_sendmsg sendmsg(MSG_DEALLOC_VGPRS)
	s_endpgm
.LBB47_133:
	v_lshl_add_u32 v24, v21, 2, v22
	ds_load_b32 v24, v24
	s_waitcnt lgkmcnt(0)
	v_add_f32_e32 v1, v1, v24
	s_or_b32 exec_lo, exec_lo, s0
	s_and_saveexec_b32 s0, vcc_lo
	s_cbranch_execz .LBB47_85
.LBB47_134:
	v_lshl_add_u32 v24, v21, 2, v22
	ds_load_b32 v24, v24 offset:16
	s_waitcnt lgkmcnt(0)
	v_add_f32_e32 v2, v2, v24
	s_or_b32 exec_lo, exec_lo, s0
	s_and_saveexec_b32 s0, vcc_lo
	s_cbranch_execz .LBB47_86
.LBB47_135:
	v_lshl_add_u32 v24, v21, 2, v22
	ds_load_b32 v24, v24 offset:32
	s_waitcnt lgkmcnt(0)
	v_add_f32_e32 v3, v3, v24
	s_or_b32 exec_lo, exec_lo, s0
	s_and_saveexec_b32 s0, vcc_lo
	s_cbranch_execz .LBB47_87
.LBB47_136:
	v_lshl_add_u32 v24, v21, 2, v22
	ds_load_b32 v24, v24 offset:48
	s_waitcnt lgkmcnt(0)
	v_add_f32_e32 v4, v4, v24
	s_or_b32 exec_lo, exec_lo, s0
	s_and_saveexec_b32 s0, vcc_lo
	s_cbranch_execz .LBB47_88
.LBB47_137:
	v_lshl_add_u32 v24, v21, 2, v22
	ds_load_b32 v24, v24 offset:64
	s_waitcnt lgkmcnt(0)
	v_add_f32_e32 v5, v5, v24
	s_or_b32 exec_lo, exec_lo, s0
	s_and_saveexec_b32 s0, vcc_lo
	s_cbranch_execz .LBB47_89
.LBB47_138:
	v_lshl_add_u32 v24, v21, 2, v22
	ds_load_b32 v24, v24 offset:80
	s_waitcnt lgkmcnt(0)
	v_add_f32_e32 v6, v6, v24
	s_or_b32 exec_lo, exec_lo, s0
	s_and_saveexec_b32 s0, vcc_lo
	s_cbranch_execz .LBB47_90
.LBB47_139:
	v_lshl_add_u32 v24, v21, 2, v22
	ds_load_b32 v24, v24 offset:96
	s_waitcnt lgkmcnt(0)
	v_add_f32_e32 v7, v7, v24
	s_or_b32 exec_lo, exec_lo, s0
	s_and_saveexec_b32 s0, vcc_lo
	s_cbranch_execz .LBB47_91
.LBB47_140:
	v_lshl_add_u32 v24, v21, 2, v22
	ds_load_b32 v24, v24 offset:112
	s_waitcnt lgkmcnt(0)
	v_add_f32_e32 v8, v8, v24
	s_or_b32 exec_lo, exec_lo, s0
	s_and_saveexec_b32 s0, vcc_lo
	s_cbranch_execz .LBB47_92
.LBB47_141:
	v_lshl_add_u32 v24, v21, 2, v22
	ds_load_b32 v24, v24 offset:128
	s_waitcnt lgkmcnt(0)
	v_add_f32_e32 v9, v9, v24
	s_or_b32 exec_lo, exec_lo, s0
	s_and_saveexec_b32 s0, vcc_lo
	s_cbranch_execz .LBB47_93
.LBB47_142:
	v_lshl_add_u32 v24, v21, 2, v22
	ds_load_b32 v24, v24 offset:144
	s_waitcnt lgkmcnt(0)
	v_add_f32_e32 v10, v10, v24
	s_or_b32 exec_lo, exec_lo, s0
	s_and_saveexec_b32 s0, vcc_lo
	s_cbranch_execz .LBB47_94
.LBB47_143:
	v_lshl_add_u32 v24, v21, 2, v22
	ds_load_b32 v24, v24 offset:160
	s_waitcnt lgkmcnt(0)
	v_add_f32_e32 v11, v11, v24
	s_or_b32 exec_lo, exec_lo, s0
	s_and_saveexec_b32 s0, vcc_lo
	s_cbranch_execz .LBB47_95
.LBB47_144:
	v_lshl_add_u32 v24, v21, 2, v22
	ds_load_b32 v24, v24 offset:176
	s_waitcnt lgkmcnt(0)
	v_add_f32_e32 v12, v12, v24
	s_or_b32 exec_lo, exec_lo, s0
	s_and_saveexec_b32 s0, vcc_lo
	s_cbranch_execz .LBB47_96
.LBB47_145:
	v_lshl_add_u32 v24, v21, 2, v22
	ds_load_b32 v24, v24 offset:192
	s_waitcnt lgkmcnt(0)
	v_add_f32_e32 v13, v13, v24
	s_or_b32 exec_lo, exec_lo, s0
	s_and_saveexec_b32 s0, vcc_lo
	s_cbranch_execz .LBB47_97
.LBB47_146:
	v_lshl_add_u32 v24, v21, 2, v22
	ds_load_b32 v24, v24 offset:208
	s_waitcnt lgkmcnt(0)
	v_add_f32_e32 v14, v14, v24
	s_or_b32 exec_lo, exec_lo, s0
	s_and_saveexec_b32 s0, vcc_lo
	s_cbranch_execz .LBB47_98
.LBB47_147:
	v_lshl_add_u32 v24, v21, 2, v22
	ds_load_b32 v24, v24 offset:224
	s_waitcnt lgkmcnt(0)
	v_add_f32_e32 v15, v15, v24
	s_or_b32 exec_lo, exec_lo, s0
	s_and_saveexec_b32 s0, vcc_lo
	s_cbranch_execz .LBB47_99
.LBB47_148:
	v_lshl_add_u32 v24, v21, 2, v22
	ds_load_b32 v24, v24 offset:240
	s_waitcnt lgkmcnt(0)
	v_add_f32_e32 v16, v16, v24
	s_or_b32 exec_lo, exec_lo, s0
	s_and_saveexec_b32 s0, vcc_lo
	s_cbranch_execz .LBB47_100
.LBB47_149:
	v_lshl_add_u32 v24, v21, 2, v22
	ds_load_b32 v24, v24 offset:256
	s_waitcnt lgkmcnt(0)
	v_add_f32_e32 v17, v17, v24
	s_or_b32 exec_lo, exec_lo, s0
	s_and_saveexec_b32 s0, vcc_lo
	s_cbranch_execz .LBB47_101
.LBB47_150:
	v_lshl_add_u32 v24, v21, 2, v22
	ds_load_b32 v24, v24 offset:272
	s_waitcnt lgkmcnt(0)
	v_add_f32_e32 v18, v18, v24
	s_or_b32 exec_lo, exec_lo, s0
	s_and_saveexec_b32 s0, vcc_lo
	s_cbranch_execz .LBB47_102
.LBB47_151:
	v_lshl_add_u32 v24, v21, 2, v22
	ds_load_b32 v24, v24 offset:288
	s_waitcnt lgkmcnt(0)
	v_add_f32_e32 v19, v19, v24
	s_or_b32 exec_lo, exec_lo, s0
	s_and_saveexec_b32 s0, vcc_lo
	s_cbranch_execnz .LBB47_103
	s_branch .LBB47_104
.LBB47_152:
	ds_load_b32 v22, v21
	s_waitcnt lgkmcnt(0)
	v_add_f32_e32 v1, v1, v22
	s_or_b32 exec_lo, exec_lo, s0
	s_and_saveexec_b32 s0, vcc_lo
	s_cbranch_execz .LBB47_110
.LBB47_153:
	ds_load_b32 v22, v21 offset:16
	s_waitcnt lgkmcnt(0)
	v_add_f32_e32 v2, v2, v22
	s_or_b32 exec_lo, exec_lo, s0
	s_and_saveexec_b32 s0, vcc_lo
	s_cbranch_execz .LBB47_111
.LBB47_154:
	ds_load_b32 v22, v21 offset:32
	s_waitcnt lgkmcnt(0)
	v_add_f32_e32 v3, v3, v22
	s_or_b32 exec_lo, exec_lo, s0
	s_and_saveexec_b32 s0, vcc_lo
	s_cbranch_execz .LBB47_112
.LBB47_155:
	ds_load_b32 v22, v21 offset:48
	s_waitcnt lgkmcnt(0)
	v_add_f32_e32 v4, v4, v22
	s_or_b32 exec_lo, exec_lo, s0
	s_and_saveexec_b32 s0, vcc_lo
	s_cbranch_execz .LBB47_113
.LBB47_156:
	ds_load_b32 v22, v21 offset:64
	s_waitcnt lgkmcnt(0)
	v_add_f32_e32 v5, v5, v22
	s_or_b32 exec_lo, exec_lo, s0
	s_and_saveexec_b32 s0, vcc_lo
	s_cbranch_execz .LBB47_114
.LBB47_157:
	ds_load_b32 v22, v21 offset:80
	s_waitcnt lgkmcnt(0)
	v_add_f32_e32 v6, v6, v22
	s_or_b32 exec_lo, exec_lo, s0
	s_and_saveexec_b32 s0, vcc_lo
	s_cbranch_execz .LBB47_115
.LBB47_158:
	ds_load_b32 v22, v21 offset:96
	s_waitcnt lgkmcnt(0)
	v_add_f32_e32 v7, v7, v22
	s_or_b32 exec_lo, exec_lo, s0
	s_and_saveexec_b32 s0, vcc_lo
	s_cbranch_execz .LBB47_116
.LBB47_159:
	ds_load_b32 v22, v21 offset:112
	s_waitcnt lgkmcnt(0)
	v_add_f32_e32 v8, v8, v22
	s_or_b32 exec_lo, exec_lo, s0
	s_and_saveexec_b32 s0, vcc_lo
	s_cbranch_execz .LBB47_117
.LBB47_160:
	ds_load_b32 v22, v21 offset:128
	s_waitcnt lgkmcnt(0)
	v_add_f32_e32 v9, v9, v22
	s_or_b32 exec_lo, exec_lo, s0
	s_and_saveexec_b32 s0, vcc_lo
	s_cbranch_execz .LBB47_118
.LBB47_161:
	ds_load_b32 v22, v21 offset:144
	s_waitcnt lgkmcnt(0)
	v_add_f32_e32 v10, v10, v22
	s_or_b32 exec_lo, exec_lo, s0
	s_and_saveexec_b32 s0, vcc_lo
	s_cbranch_execz .LBB47_119
.LBB47_162:
	ds_load_b32 v22, v21 offset:160
	s_waitcnt lgkmcnt(0)
	v_add_f32_e32 v11, v11, v22
	s_or_b32 exec_lo, exec_lo, s0
	s_and_saveexec_b32 s0, vcc_lo
	s_cbranch_execz .LBB47_120
.LBB47_163:
	ds_load_b32 v22, v21 offset:176
	s_waitcnt lgkmcnt(0)
	v_add_f32_e32 v12, v12, v22
	s_or_b32 exec_lo, exec_lo, s0
	s_and_saveexec_b32 s0, vcc_lo
	s_cbranch_execz .LBB47_121
.LBB47_164:
	ds_load_b32 v22, v21 offset:192
	s_waitcnt lgkmcnt(0)
	v_add_f32_e32 v13, v13, v22
	s_or_b32 exec_lo, exec_lo, s0
	s_and_saveexec_b32 s0, vcc_lo
	s_cbranch_execz .LBB47_122
.LBB47_165:
	ds_load_b32 v22, v21 offset:208
	s_waitcnt lgkmcnt(0)
	v_add_f32_e32 v14, v14, v22
	s_or_b32 exec_lo, exec_lo, s0
	s_and_saveexec_b32 s0, vcc_lo
	s_cbranch_execz .LBB47_123
.LBB47_166:
	ds_load_b32 v22, v21 offset:224
	s_waitcnt lgkmcnt(0)
	v_add_f32_e32 v15, v15, v22
	s_or_b32 exec_lo, exec_lo, s0
	s_and_saveexec_b32 s0, vcc_lo
	s_cbranch_execz .LBB47_124
.LBB47_167:
	ds_load_b32 v22, v21 offset:240
	s_waitcnt lgkmcnt(0)
	v_add_f32_e32 v16, v16, v22
	s_or_b32 exec_lo, exec_lo, s0
	s_and_saveexec_b32 s0, vcc_lo
	s_cbranch_execz .LBB47_125
.LBB47_168:
	ds_load_b32 v22, v21 offset:256
	s_waitcnt lgkmcnt(0)
	v_add_f32_e32 v17, v17, v22
	s_or_b32 exec_lo, exec_lo, s0
	s_and_saveexec_b32 s0, vcc_lo
	s_cbranch_execz .LBB47_126
.LBB47_169:
	ds_load_b32 v22, v21 offset:272
	s_waitcnt lgkmcnt(0)
	v_add_f32_e32 v18, v18, v22
	s_or_b32 exec_lo, exec_lo, s0
	s_and_saveexec_b32 s0, vcc_lo
	s_cbranch_execz .LBB47_127
.LBB47_170:
	ds_load_b32 v22, v21 offset:288
	s_waitcnt lgkmcnt(0)
	v_add_f32_e32 v19, v19, v22
	s_or_b32 exec_lo, exec_lo, s0
	s_and_saveexec_b32 s0, vcc_lo
	s_cbranch_execnz .LBB47_128
	s_branch .LBB47_129
	.section	.rodata,"a",@progbits
	.p2align	6, 0x0
	.amdhsa_kernel _ZN4vllm25paged_attention_v2_kernelIffLi80ELi32ELi128ELNS_18Fp8KVCacheDataTypeE0ELb1ELi512EEEvPfS2_PT_PKS3_PKT0_S9_ifPKiSB_iPKfiiiSD_SD_iiiii
		.amdhsa_group_segment_fixed_size 352
		.amdhsa_private_segment_fixed_size 0
		.amdhsa_kernarg_size 400
		.amdhsa_user_sgpr_count 13
		.amdhsa_user_sgpr_dispatch_ptr 0
		.amdhsa_user_sgpr_queue_ptr 0
		.amdhsa_user_sgpr_kernarg_segment_ptr 1
		.amdhsa_user_sgpr_dispatch_id 0
		.amdhsa_user_sgpr_private_segment_size 0
		.amdhsa_wavefront_size32 1
		.amdhsa_uses_dynamic_stack 0
		.amdhsa_enable_private_segment 0
		.amdhsa_system_sgpr_workgroup_id_x 1
		.amdhsa_system_sgpr_workgroup_id_y 1
		.amdhsa_system_sgpr_workgroup_id_z 1
		.amdhsa_system_sgpr_workgroup_info 0
		.amdhsa_system_vgpr_workitem_id 0
		.amdhsa_next_free_vgpr 148
		.amdhsa_next_free_sgpr 46
		.amdhsa_reserve_vcc 1
		.amdhsa_float_round_mode_32 0
		.amdhsa_float_round_mode_16_64 0
		.amdhsa_float_denorm_mode_32 3
		.amdhsa_float_denorm_mode_16_64 3
		.amdhsa_dx10_clamp 1
		.amdhsa_ieee_mode 1
		.amdhsa_fp16_overflow 0
		.amdhsa_workgroup_processor_mode 1
		.amdhsa_memory_ordered 1
		.amdhsa_forward_progress 0
		.amdhsa_shared_vgpr_count 0
		.amdhsa_exception_fp_ieee_invalid_op 0
		.amdhsa_exception_fp_denorm_src 0
		.amdhsa_exception_fp_ieee_div_zero 0
		.amdhsa_exception_fp_ieee_overflow 0
		.amdhsa_exception_fp_ieee_underflow 0
		.amdhsa_exception_fp_ieee_inexact 0
		.amdhsa_exception_int_div_zero 0
	.end_amdhsa_kernel
	.section	.text._ZN4vllm25paged_attention_v2_kernelIffLi80ELi32ELi128ELNS_18Fp8KVCacheDataTypeE0ELb1ELi512EEEvPfS2_PT_PKS3_PKT0_S9_ifPKiSB_iPKfiiiSD_SD_iiiii,"axG",@progbits,_ZN4vllm25paged_attention_v2_kernelIffLi80ELi32ELi128ELNS_18Fp8KVCacheDataTypeE0ELb1ELi512EEEvPfS2_PT_PKS3_PKT0_S9_ifPKiSB_iPKfiiiSD_SD_iiiii,comdat
.Lfunc_end47:
	.size	_ZN4vllm25paged_attention_v2_kernelIffLi80ELi32ELi128ELNS_18Fp8KVCacheDataTypeE0ELb1ELi512EEEvPfS2_PT_PKS3_PKT0_S9_ifPKiSB_iPKfiiiSD_SD_iiiii, .Lfunc_end47-_ZN4vllm25paged_attention_v2_kernelIffLi80ELi32ELi128ELNS_18Fp8KVCacheDataTypeE0ELb1ELi512EEEvPfS2_PT_PKS3_PKT0_S9_ifPKiSB_iPKfiiiSD_SD_iiiii
                                        ; -- End function
	.section	.AMDGPU.csdata,"",@progbits
; Kernel info:
; codeLenInByte = 10380
; NumSgprs: 48
; NumVgprs: 148
; ScratchSize: 0
; MemoryBound: 0
; FloatMode: 240
; IeeeMode: 1
; LDSByteSize: 352 bytes/workgroup (compile time only)
; SGPRBlocks: 5
; VGPRBlocks: 18
; NumSGPRsForWavesPerEU: 48
; NumVGPRsForWavesPerEU: 148
; Occupancy: 9
; WaveLimiterHint : 1
; COMPUTE_PGM_RSRC2:SCRATCH_EN: 0
; COMPUTE_PGM_RSRC2:USER_SGPR: 13
; COMPUTE_PGM_RSRC2:TRAP_HANDLER: 0
; COMPUTE_PGM_RSRC2:TGID_X_EN: 1
; COMPUTE_PGM_RSRC2:TGID_Y_EN: 1
; COMPUTE_PGM_RSRC2:TGID_Z_EN: 1
; COMPUTE_PGM_RSRC2:TIDIG_COMP_CNT: 0
	.section	.text._ZN4vllm25paged_attention_v2_kernelIffLi96ELi32ELi128ELNS_18Fp8KVCacheDataTypeE0ELb1ELi512EEEvPfS2_PT_PKS3_PKT0_S9_ifPKiSB_iPKfiiiSD_SD_iiiii,"axG",@progbits,_ZN4vllm25paged_attention_v2_kernelIffLi96ELi32ELi128ELNS_18Fp8KVCacheDataTypeE0ELb1ELi512EEEvPfS2_PT_PKS3_PKT0_S9_ifPKiSB_iPKfiiiSD_SD_iiiii,comdat
	.protected	_ZN4vllm25paged_attention_v2_kernelIffLi96ELi32ELi128ELNS_18Fp8KVCacheDataTypeE0ELb1ELi512EEEvPfS2_PT_PKS3_PKT0_S9_ifPKiSB_iPKfiiiSD_SD_iiiii ; -- Begin function _ZN4vllm25paged_attention_v2_kernelIffLi96ELi32ELi128ELNS_18Fp8KVCacheDataTypeE0ELb1ELi512EEEvPfS2_PT_PKS3_PKT0_S9_ifPKiSB_iPKfiiiSD_SD_iiiii
	.globl	_ZN4vllm25paged_attention_v2_kernelIffLi96ELi32ELi128ELNS_18Fp8KVCacheDataTypeE0ELb1ELi512EEEvPfS2_PT_PKS3_PKT0_S9_ifPKiSB_iPKfiiiSD_SD_iiiii
	.p2align	8
	.type	_ZN4vllm25paged_attention_v2_kernelIffLi96ELi32ELi128ELNS_18Fp8KVCacheDataTypeE0ELb1ELi512EEEvPfS2_PT_PKS3_PKT0_S9_ifPKiSB_iPKfiiiSD_SD_iiiii,@function
_ZN4vllm25paged_attention_v2_kernelIffLi96ELi32ELi128ELNS_18Fp8KVCacheDataTypeE0ELb1ELi512EEEvPfS2_PT_PKS3_PKT0_S9_ifPKiSB_iPKfiiiSD_SD_iiiii: ; @_ZN4vllm25paged_attention_v2_kernelIffLi96ELi32ELi128ELNS_18Fp8KVCacheDataTypeE0ELb1ELi512EEEvPfS2_PT_PKS3_PKT0_S9_ifPKiSB_iPKfiiiSD_SD_iiiii
; %bb.0:
	s_load_b64 s[2:3], s[0:1], 0x40
	s_mov_b32 s12, s15
	s_ashr_i32 s15, s14, 31
	s_delay_alu instid0(SALU_CYCLE_1)
	s_lshl_b64 s[4:5], s[14:15], 2
	s_waitcnt lgkmcnt(0)
	s_add_u32 s2, s2, s4
	s_addc_u32 s3, s3, s5
	s_lshl_b32 s37, s12, 9
	s_load_b32 s15, s[2:3], 0x0
	s_waitcnt lgkmcnt(0)
	s_cmp_ge_i32 s37, s15
	s_cbranch_scc1 .LBB48_148
; %bb.1:
	s_mov_b32 s24, s13
	s_clause 0x1
	s_load_b32 s13, s[0:1], 0x90
	s_load_b64 s[2:3], s[0:1], 0x30
	s_mov_b32 s39, 0
	s_waitcnt lgkmcnt(0)
	s_abs_i32 s7, s13
	s_abs_i32 s4, s2
	s_delay_alu instid0(SALU_CYCLE_1) | instskip(SKIP_1) | instid1(VALU_DEP_1)
	v_cvt_f32_u32_e32 v1, s4
	s_sub_i32 s6, 0, s4
	v_rcp_iflag_f32_e32 v1, v1
	s_waitcnt_depctr 0xfff
	v_mul_f32_e32 v1, 0x4f7ffffe, v1
	s_delay_alu instid0(VALU_DEP_1) | instskip(NEXT) | instid1(VALU_DEP_1)
	v_cvt_u32_f32_e32 v1, v1
	v_readfirstlane_b32 s5, v1
	s_delay_alu instid0(VALU_DEP_1) | instskip(NEXT) | instid1(SALU_CYCLE_1)
	s_mul_i32 s6, s6, s5
	s_mul_hi_u32 s6, s5, s6
	s_delay_alu instid0(SALU_CYCLE_1) | instskip(SKIP_4) | instid1(SALU_CYCLE_1)
	s_add_i32 s5, s5, s6
	s_xor_b32 s6, s13, s2
	s_mul_hi_u32 s5, s7, s5
	s_ashr_i32 s6, s6, 31
	s_mul_i32 s8, s5, s4
	s_sub_i32 s7, s7, s8
	s_add_i32 s8, s5, 1
	s_sub_i32 s9, s7, s4
	s_cmp_ge_u32 s7, s4
	s_cselect_b32 s5, s8, s5
	s_cselect_b32 s7, s9, s7
	s_add_i32 s8, s5, 1
	s_cmp_ge_u32 s7, s4
	s_cselect_b32 s4, s8, s5
	s_abs_i32 s17, s24
	s_xor_b32 s4, s4, s6
	s_delay_alu instid0(SALU_CYCLE_1) | instskip(SKIP_2) | instid1(SALU_CYCLE_1)
	s_sub_i32 s8, s4, s6
	s_load_b64 s[4:5], s[0:1], 0x50
	s_abs_i32 s16, s8
	v_cvt_f32_u32_e32 v1, s16
	s_sub_i32 s7, 0, s16
	s_delay_alu instid0(VALU_DEP_1) | instskip(SKIP_2) | instid1(VALU_DEP_1)
	v_rcp_iflag_f32_e32 v1, v1
	s_waitcnt_depctr 0xfff
	v_mul_f32_e32 v1, 0x4f7ffffe, v1
	v_cvt_u32_f32_e32 v1, v1
	s_delay_alu instid0(VALU_DEP_1) | instskip(NEXT) | instid1(VALU_DEP_1)
	v_readfirstlane_b32 s6, v1
	s_mul_i32 s7, s7, s6
	s_delay_alu instid0(SALU_CYCLE_1) | instskip(NEXT) | instid1(SALU_CYCLE_1)
	s_mul_hi_u32 s7, s6, s7
	s_add_i32 s6, s6, s7
	s_waitcnt lgkmcnt(0)
	s_cmp_eq_u64 s[4:5], 0
	s_mul_hi_u32 s18, s17, s6
	s_cbranch_scc1 .LBB48_3
; %bb.2:
	s_ashr_i32 s25, s24, 31
	s_delay_alu instid0(SALU_CYCLE_1) | instskip(NEXT) | instid1(SALU_CYCLE_1)
	s_lshl_b64 s[6:7], s[24:25], 2
	s_add_u32 s4, s4, s6
	s_addc_u32 s5, s5, s7
	s_load_b32 s39, s[4:5], 0x0
.LBB48_3:
	s_load_b128 s[4:7], s[0:1], 0x58
	s_waitcnt lgkmcnt(0)
	s_ashr_i32 s7, s24, 31
	s_ashr_i32 s19, s8, 31
	s_mul_i32 s20, s24, 0x60
	s_mov_b32 s8, exec_lo
	v_cmpx_gt_u32_e32 24, v0
	s_cbranch_execz .LBB48_5
; %bb.4:
	s_load_b64 s[10:11], s[0:1], 0x18
	s_mul_i32 s22, s14, s4
	v_lshlrev_b32_e32 v5, 4, v0
	s_ashr_i32 s23, s22, 31
	s_delay_alu instid0(SALU_CYCLE_1) | instskip(SKIP_4) | instid1(SALU_CYCLE_1)
	s_lshl_b64 s[22:23], s[22:23], 2
	s_waitcnt lgkmcnt(0)
	s_add_u32 s4, s10, s22
	s_addc_u32 s9, s11, s23
	s_ashr_i32 s21, s20, 31
	s_lshl_b64 s[10:11], s[20:21], 2
	s_delay_alu instid0(SALU_CYCLE_1)
	s_add_u32 s10, s4, s10
	s_addc_u32 s11, s9, s11
	global_load_b128 v[1:4], v5, s[10:11]
	s_waitcnt vmcnt(0)
	ds_store_b128 v5, v[1:4]
.LBB48_5:
	s_or_b32 exec_lo, exec_lo, s8
	s_load_b128 s[8:11], s[0:1], 0x78
	s_mul_i32 s4, s18, s16
	s_xor_b32 s7, s7, s19
	s_sub_i32 s4, s17, s4
	s_add_i32 s17, s18, 1
	s_sub_i32 s19, s4, s16
	s_cmp_ge_u32 s4, s16
	s_waitcnt lgkmcnt(0)
	s_cselect_b32 s17, s17, s18
	s_cselect_b32 s4, s19, s4
	s_add_i32 s18, s17, 1
	s_cmp_ge_u32 s4, s16
	s_load_b32 s4, s[0:1], 0x88
	s_cselect_b32 s16, s18, s17
	s_mov_b32 s17, -1
	s_xor_b32 s16, s16, s7
	s_waitcnt lgkmcnt(0)
	s_barrier
	s_sub_i32 s34, s16, s7
	s_add_i32 s16, s15, -1
	buffer_gl0_inv
	s_abs_i32 s21, s11
	s_abs_i32 s28, s16
	v_cvt_f32_u32_e32 v1, s21
	s_sub_i32 s7, 0, s21
                                        ; implicit-def: $sgpr33
	s_delay_alu instid0(VALU_DEP_1) | instskip(SKIP_2) | instid1(VALU_DEP_1)
	v_rcp_iflag_f32_e32 v1, v1
	s_waitcnt_depctr 0xfff
	v_mul_f32_e32 v1, 0x4f7ffffe, v1
	v_cvt_u32_f32_e32 v1, v1
	s_delay_alu instid0(VALU_DEP_1) | instskip(NEXT) | instid1(VALU_DEP_1)
	v_readfirstlane_b32 s25, v1
	s_mul_i32 s7, s7, s25
	s_delay_alu instid0(SALU_CYCLE_1) | instskip(NEXT) | instid1(SALU_CYCLE_1)
	s_mul_hi_u32 s7, s25, s7
	s_add_i32 s25, s25, s7
	s_cmp_lt_i32 s4, 0
	s_mul_hi_u32 s7, s28, s25
	s_cbranch_scc0 .LBB48_7
; %bb.6:
	s_mul_i32 s2, s8, s2
	s_mov_b32 s17, 0
	s_add_i32 s2, s34, s2
	s_delay_alu instid0(SALU_CYCLE_1) | instskip(NEXT) | instid1(SALU_CYCLE_1)
	s_mul_i32 s2, s2, s4
	s_sub_i32 s33, 1, s2
.LBB48_7:
	s_load_b64 s[26:27], s[0:1], 0x38
	s_ashr_i32 s2, s16, 31
	s_and_not1_b32 vcc_lo, exec_lo, s17
	s_ashr_i32 s11, s11, 31
	s_cbranch_vccnz .LBB48_9
; %bb.8:
	s_mul_i32 s8, s13, s8
	s_delay_alu instid0(SALU_CYCLE_1) | instskip(NEXT) | instid1(SALU_CYCLE_1)
	s_add_i32 s8, s8, s24
	s_mul_i32 s4, s8, s4
	s_delay_alu instid0(SALU_CYCLE_1)
	s_add_i32 s33, s4, 1
.LBB48_9:
	s_clause 0x4
	s_load_b32 s8, s[0:1], 0x48
	s_load_b64 s[30:31], s[0:1], 0x28
	s_load_b32 s4, s[0:1], 0x98
	s_load_b128 s[16:19], s[0:1], 0x0
	s_load_b64 s[22:23], s[0:1], 0x10
	s_xor_b32 s35, s2, s11
	s_mul_i32 s2, s7, s21
	s_add_i32 s36, s7, 1
	s_sub_i32 s2, s28, s2
	v_lshrrev_b32_e32 v104, 5, v0
	v_dual_mov_b32 v100, 0xff7fffff :: v_dual_and_b32 v105, 31, v0
	s_mul_i32 s34, s34, s6
	s_delay_alu instid0(VALU_DEP_2) | instskip(NEXT) | instid1(VALU_DEP_2)
	v_lshl_add_u32 v106, v104, 5, s37
	v_lshlrev_b32_e32 v99, 2, v105
	s_waitcnt lgkmcnt(0)
	s_mul_i32 s28, s14, s8
	s_sub_i32 s8, s2, s21
	s_ashr_i32 s29, s28, 31
	s_cmp_ge_u32 s2, s21
	s_cselect_b32 s7, s36, s7
	s_cselect_b32 s2, s8, s2
	s_add_i32 s8, s7, 1
	s_cmp_ge_u32 s2, s21
	s_cselect_b32 s2, s8, s7
	s_add_i32 s8, s15, 31
	s_lshl_b32 s7, s12, 4
	s_ashr_i32 s36, s8, 31
	v_add_nc_u32_e32 v101, s7, v104
	s_lshr_b32 s36, s36, 27
	s_add_i32 s38, s7, 16
	s_add_i32 s8, s8, s36
	s_xor_b32 s40, s2, s35
	s_ashr_i32 s36, s8, 5
	v_ashrrev_i32_e32 v102, 31, v101
	s_min_i32 s8, s38, s36
	s_sub_i32 s38, s40, s35
	v_cmp_gt_i32_e64 s2, s8, v101
	s_delay_alu instid0(VALU_DEP_1)
	s_and_saveexec_b32 s6, s2
	s_cbranch_execz .LBB48_17
; %bb.10:
	s_load_b64 s[0:1], s[0:1], 0x20
	s_ashr_i32 s35, s34, 31
	s_sub_i32 s40, s38, s9
	s_lshl_b64 s[42:43], s[34:35], 2
	v_dual_mov_b32 v93, 0 :: v_dual_mov_b32 v108, v101
	ds_load_b128 v[1:4], v93
	ds_load_b128 v[5:8], v93 offset:16
	v_lshlrev_b64 v[97:98], 2, v[101:102]
	v_dual_mov_b32 v100, 0xff7fffff :: v_dual_lshlrev_b32 v111, 4, v105
	v_subrev_nc_u32_e32 v109, s15, v105
	v_lshl_or_b32 v110, v104, 7, v99
	v_cmp_neq_f32_e64 vcc_lo, s39, 0
	v_lshl_add_u32 v103, v104, 5, s37
	v_mov_b32_e32 v107, 0xff7fffff
	v_add_nc_u32_e32 v109, 1, v109
	v_add_nc_u32_e32 v110, 0x1a0, v110
	s_waitcnt lgkmcnt(0)
	s_add_u32 s41, s0, s42
	s_addc_u32 s42, s1, s43
	s_abs_i32 s35, s10
	v_add_co_u32 v111, s41, s41, v111
	v_cvt_f32_u32_e32 v9, s35
	s_sub_i32 s0, 0, s35
	s_delay_alu instid0(VALU_DEP_1)
	v_rcp_iflag_f32_e32 v49, v9
	ds_load_b128 v[9:12], v93 offset:32
	ds_load_b128 v[13:16], v93 offset:48
	;; [unrolled: 1-line block ×10, first 2 shown]
	v_mul_f32_e32 v65, 0x4f7ffffe, v49
	ds_load_b128 v[49:52], v93 offset:192
	ds_load_b128 v[53:56], v93 offset:208
	;; [unrolled: 1-line block ×4, first 2 shown]
	v_cvt_u32_f32_e32 v113, v65
	ds_load_b128 v[65:68], v93 offset:256
	ds_load_b128 v[69:72], v93 offset:272
	;; [unrolled: 1-line block ×8, first 2 shown]
	v_mul_lo_u32 v112, s0, v113
	s_lshl_b64 s[0:1], s[28:29], 2
	s_delay_alu instid0(SALU_CYCLE_1) | instskip(SKIP_2) | instid1(VALU_DEP_1)
	s_add_u32 s0, s26, s0
	s_addc_u32 s1, s27, s1
	v_add_co_u32 v97, s0, s0, v97
	v_add_co_ci_u32_e64 v98, s0, s1, v98, s0
	s_delay_alu instid0(VALU_DEP_3) | instskip(SKIP_3) | instid1(VALU_DEP_2)
	v_mul_hi_u32 v114, v113, v112
	v_add_co_ci_u32_e64 v112, null, s42, 0, s41
	s_mov_b32 s42, s5
	s_mov_b32 s41, 0
	v_add_nc_u32_e32 v113, v113, v114
	s_branch .LBB48_12
.LBB48_11:                              ;   in Loop: Header=BB48_12 Depth=1
	s_or_b32 exec_lo, exec_lo, s1
	v_add_nc_u32_e32 v108, 4, v108
	v_add_co_u32 v97, s1, v97, 16
	s_delay_alu instid0(VALU_DEP_1) | instskip(NEXT) | instid1(VALU_DEP_3)
	v_add_co_ci_u32_e64 v98, s1, 0, v98, s1
	v_cmp_le_i32_e64 s0, s8, v108
	v_add_nc_u32_e32 v103, 0x80, v103
	v_add_nc_u32_e32 v110, 0x200, v110
	s_delay_alu instid0(VALU_DEP_3) | instskip(NEXT) | instid1(SALU_CYCLE_1)
	s_or_b32 s41, s0, s41
	s_and_not1_b32 exec_lo, exec_lo, s41
	s_cbranch_execz .LBB48_16
.LBB48_12:                              ; =>This Inner Loop Header: Depth=1
	v_sub_nc_u32_e32 v114, 0, v103
	s_delay_alu instid0(VALU_DEP_1) | instskip(NEXT) | instid1(VALU_DEP_1)
	v_max_i32_e32 v114, v103, v114
	v_mul_hi_u32 v115, v114, s25
	s_delay_alu instid0(VALU_DEP_1) | instskip(NEXT) | instid1(VALU_DEP_1)
	v_mul_lo_u32 v116, v115, s21
	v_sub_nc_u32_e32 v114, v114, v116
	v_add_nc_u32_e32 v116, 1, v115
	s_delay_alu instid0(VALU_DEP_2) | instskip(SKIP_1) | instid1(VALU_DEP_1)
	v_subrev_nc_u32_e32 v117, s21, v114
	v_cmp_le_u32_e64 s0, s21, v114
	v_cndmask_b32_e64 v115, v115, v116, s0
	s_delay_alu instid0(VALU_DEP_3) | instskip(SKIP_1) | instid1(VALU_DEP_3)
	v_cndmask_b32_e64 v114, v114, v117, s0
	v_ashrrev_i32_e32 v116, 31, v103
	v_add_nc_u32_e32 v117, 1, v115
	s_delay_alu instid0(VALU_DEP_3) | instskip(NEXT) | instid1(VALU_DEP_3)
	v_cmp_le_u32_e64 s0, s21, v114
	v_xor_b32_e32 v116, s11, v116
	s_delay_alu instid0(VALU_DEP_2) | instskip(NEXT) | instid1(VALU_DEP_1)
	v_cndmask_b32_e64 v114, v115, v117, s0
	v_xor_b32_e32 v114, v114, v116
	s_delay_alu instid0(VALU_DEP_1) | instskip(NEXT) | instid1(VALU_DEP_1)
	v_sub_nc_u32_e32 v114, v114, v116
	v_add_nc_u32_e32 v115, s33, v114
	v_cmp_ge_i32_e64 s1, s40, v114
	s_delay_alu instid0(VALU_DEP_2) | instskip(NEXT) | instid1(VALU_DEP_1)
	v_sub_nc_u32_e32 v116, 0, v115
	v_max_i32_e32 v116, v115, v116
	v_ashrrev_i32_e32 v115, 31, v115
	s_delay_alu instid0(VALU_DEP_2) | instskip(NEXT) | instid1(VALU_DEP_1)
	v_mul_hi_u32 v117, v116, v113
	v_mul_lo_u32 v117, v117, s35
	s_delay_alu instid0(VALU_DEP_1) | instskip(NEXT) | instid1(VALU_DEP_1)
	v_sub_nc_u32_e32 v116, v116, v117
	v_subrev_nc_u32_e32 v117, s35, v116
	v_cmp_le_u32_e64 s0, s35, v116
	s_delay_alu instid0(VALU_DEP_1) | instskip(NEXT) | instid1(VALU_DEP_1)
	v_cndmask_b32_e64 v116, v116, v117, s0
	v_subrev_nc_u32_e32 v117, s35, v116
	v_cmp_le_u32_e64 s0, s35, v116
	s_delay_alu instid0(VALU_DEP_1) | instskip(NEXT) | instid1(VALU_DEP_1)
	v_cndmask_b32_e64 v116, v116, v117, s0
	v_xor_b32_e32 v116, v116, v115
	s_delay_alu instid0(VALU_DEP_1) | instskip(NEXT) | instid1(VALU_DEP_1)
	v_sub_nc_u32_e32 v115, v116, v115
	v_cmp_ne_u32_e64 s0, 0, v115
	s_delay_alu instid0(VALU_DEP_1) | instskip(NEXT) | instid1(SALU_CYCLE_1)
	s_and_b32 s0, s0, s1
	s_and_saveexec_b32 s1, s0
	s_delay_alu instid0(SALU_CYCLE_1)
	s_xor_b32 s0, exec_lo, s1
	s_cbranch_execz .LBB48_14
; %bb.13:                               ;   in Loop: Header=BB48_12 Depth=1
	ds_store_b32 v110, v107
.LBB48_14:                              ;   in Loop: Header=BB48_12 Depth=1
	s_and_not1_saveexec_b32 s1, s0
	s_cbranch_execz .LBB48_11
; %bb.15:                               ;   in Loop: Header=BB48_12 Depth=1
	global_load_b32 v116, v[97:98], off
	s_waitcnt vmcnt(0)
	v_mad_i64_i32 v[114:115], null, v116, s42, 0
	s_delay_alu instid0(VALU_DEP_1) | instskip(NEXT) | instid1(VALU_DEP_1)
	v_lshlrev_b64 v[114:115], 2, v[114:115]
	v_add_co_u32 v162, s0, v111, v114
	s_delay_alu instid0(VALU_DEP_1)
	v_add_co_ci_u32_e64 v163, s0, v112, v115, s0
	s_clause 0x7
	global_load_b128 v[114:117], v[162:163], off offset:512
	global_load_b128 v[118:121], v[162:163], off
	global_load_b128 v[122:125], v[162:163], off offset:1024
	global_load_b128 v[126:129], v[162:163], off offset:1536
	;; [unrolled: 1-line block ×6, first 2 shown]
	v_add_co_u32 v164, s0, v162, 0x2000
	s_delay_alu instid0(VALU_DEP_1) | instskip(SKIP_1) | instid1(VALU_DEP_1)
	v_add_co_ci_u32_e64 v165, s0, 0, v163, s0
	v_add_co_u32 v166, s0, 0x1000, v162
	v_add_co_ci_u32_e64 v167, s0, 0, v163, s0
	s_clause 0x3
	global_load_b128 v[146:149], v[164:165], off offset:-4096
	global_load_b128 v[150:153], v[166:167], off offset:512
	global_load_b128 v[154:157], v[166:167], off offset:1024
	;; [unrolled: 1-line block ×3, first 2 shown]
	s_waitcnt vmcnt(11)
	v_dual_mul_f32 v168, v5, v114 :: v_dual_mul_f32 v169, v6, v115
	v_dual_mul_f32 v170, v7, v116 :: v_dual_mul_f32 v171, v8, v117
	global_load_b128 v[114:117], v[166:167], off offset:2048
	s_waitcnt vmcnt(11)
	v_dual_fmac_f32 v168, v1, v118 :: v_dual_fmac_f32 v169, v2, v119
	v_dual_fmac_f32 v170, v3, v120 :: v_dual_fmac_f32 v171, v4, v121
	global_load_b128 v[118:121], v[166:167], off offset:2560
	s_waitcnt vmcnt(11) lgkmcnt(21)
	v_dual_fmac_f32 v168, v9, v122 :: v_dual_fmac_f32 v169, v10, v123
	v_dual_fmac_f32 v170, v11, v124 :: v_dual_fmac_f32 v171, v12, v125
	global_load_b128 v[122:125], v[166:167], off offset:3072
	s_waitcnt vmcnt(11) lgkmcnt(20)
	v_dual_fmac_f32 v168, v13, v126 :: v_dual_fmac_f32 v169, v14, v127
	v_dual_fmac_f32 v170, v15, v128 :: v_dual_fmac_f32 v171, v16, v129
	global_load_b128 v[126:129], v[166:167], off offset:3584
	v_add_co_u32 v166, s0, 0x2000, v162
	s_delay_alu instid0(VALU_DEP_1)
	v_add_co_ci_u32_e64 v167, s0, 0, v163, s0
	global_load_b128 v[162:165], v[164:165], off
	s_waitcnt vmcnt(12) lgkmcnt(19)
	v_dual_fmac_f32 v168, v17, v130 :: v_dual_fmac_f32 v169, v18, v131
	v_dual_fmac_f32 v170, v19, v132 :: v_dual_fmac_f32 v171, v20, v133
	global_load_b128 v[130:133], v[166:167], off offset:512
	s_waitcnt vmcnt(12) lgkmcnt(18)
	v_dual_fmac_f32 v168, v21, v134 :: v_dual_fmac_f32 v169, v22, v135
	v_dual_fmac_f32 v170, v23, v136 :: v_dual_fmac_f32 v171, v24, v137
	global_load_b128 v[134:137], v[166:167], off offset:1024
	s_waitcnt vmcnt(12) lgkmcnt(17)
	v_dual_fmac_f32 v168, v25, v138 :: v_dual_fmac_f32 v169, v26, v139
	v_dual_fmac_f32 v170, v27, v140 :: v_dual_fmac_f32 v171, v28, v141
	global_load_b128 v[138:141], v[166:167], off offset:1536
	s_waitcnt vmcnt(12) lgkmcnt(16)
	v_dual_fmac_f32 v168, v29, v142 :: v_dual_fmac_f32 v169, v30, v143
	v_dual_fmac_f32 v170, v31, v144 :: v_dual_fmac_f32 v171, v32, v145
	global_load_b128 v[142:145], v[166:167], off offset:2048
	s_waitcnt vmcnt(12) lgkmcnt(15)
	v_dual_fmac_f32 v168, v33, v146 :: v_dual_fmac_f32 v169, v34, v147
	v_dual_fmac_f32 v170, v35, v148 :: v_dual_fmac_f32 v171, v36, v149
	global_load_b128 v[146:149], v[166:167], off offset:2560
	s_waitcnt vmcnt(12) lgkmcnt(14)
	v_dual_fmac_f32 v168, v37, v150 :: v_dual_fmac_f32 v169, v38, v151
	v_dual_fmac_f32 v170, v39, v152 :: v_dual_fmac_f32 v171, v40, v153
	global_load_b128 v[150:153], v[166:167], off offset:3072
	s_waitcnt vmcnt(12) lgkmcnt(13)
	v_dual_fmac_f32 v168, v41, v154 :: v_dual_fmac_f32 v169, v42, v155
	v_dual_fmac_f32 v170, v43, v156 :: v_dual_fmac_f32 v171, v44, v157
	global_load_b128 v[154:157], v[166:167], off offset:3584
	s_waitcnt vmcnt(12) lgkmcnt(12)
	v_dual_fmac_f32 v168, v45, v158 :: v_dual_fmac_f32 v169, v46, v159
	v_dual_fmac_f32 v170, v47, v160 :: v_dual_fmac_f32 v171, v48, v161
	s_waitcnt vmcnt(11) lgkmcnt(11)
	s_delay_alu instid0(VALU_DEP_2) | instskip(NEXT) | instid1(VALU_DEP_2)
	v_dual_fmac_f32 v169, v50, v115 :: v_dual_fmac_f32 v168, v49, v114
	v_dual_fmac_f32 v170, v51, v116 :: v_dual_fmac_f32 v171, v52, v117
	s_waitcnt vmcnt(10) lgkmcnt(10)
	s_delay_alu instid0(VALU_DEP_2) | instskip(NEXT) | instid1(VALU_DEP_3)
	v_dual_max_f32 v116, v100, v100 :: v_dual_fmac_f32 v169, v54, v119
	v_fmac_f32_e32 v168, v53, v118
	s_delay_alu instid0(VALU_DEP_3) | instskip(SKIP_1) | instid1(VALU_DEP_2)
	v_dual_fmac_f32 v170, v55, v120 :: v_dual_fmac_f32 v171, v56, v121
	s_waitcnt vmcnt(9) lgkmcnt(9)
	v_dual_fmac_f32 v169, v58, v123 :: v_dual_fmac_f32 v168, v57, v122
	s_delay_alu instid0(VALU_DEP_2) | instskip(SKIP_1) | instid1(VALU_DEP_2)
	v_dual_fmac_f32 v170, v59, v124 :: v_dual_fmac_f32 v171, v60, v125
	s_waitcnt vmcnt(8) lgkmcnt(8)
	v_dual_fmac_f32 v169, v62, v127 :: v_dual_fmac_f32 v168, v61, v126
	s_delay_alu instid0(VALU_DEP_2) | instskip(SKIP_1) | instid1(VALU_DEP_2)
	;; [unrolled: 4-line block ×7, first 2 shown]
	v_dual_fmac_f32 v170, v83, v144 :: v_dual_fmac_f32 v171, v84, v145
	s_waitcnt vmcnt(2) lgkmcnt(2)
	v_dual_fmac_f32 v169, v86, v147 :: v_dual_fmac_f32 v168, v85, v146
	s_delay_alu instid0(VALU_DEP_2) | instskip(SKIP_2) | instid1(VALU_DEP_3)
	v_dual_fmac_f32 v170, v87, v148 :: v_dual_fmac_f32 v171, v88, v149
	v_add_nc_u32_e32 v114, v109, v103
	s_waitcnt vmcnt(1) lgkmcnt(1)
	v_dual_fmac_f32 v169, v90, v151 :: v_dual_fmac_f32 v168, v89, v150
	s_delay_alu instid0(VALU_DEP_3) | instskip(NEXT) | instid1(VALU_DEP_3)
	v_dual_fmac_f32 v170, v91, v152 :: v_dual_fmac_f32 v171, v92, v153
	v_cvt_f32_i32_e32 v114, v114
	s_waitcnt vmcnt(0) lgkmcnt(0)
	s_delay_alu instid0(VALU_DEP_3) | instskip(NEXT) | instid1(VALU_DEP_3)
	v_dual_fmac_f32 v169, v94, v155 :: v_dual_fmac_f32 v168, v93, v154
	v_dual_fmac_f32 v171, v96, v157 :: v_dual_fmac_f32 v170, v95, v156
	s_delay_alu instid0(VALU_DEP_2) | instskip(NEXT) | instid1(VALU_DEP_1)
	v_dual_add_f32 v115, v168, v169 :: v_dual_mul_f32 v114, s39, v114
	v_dual_add_f32 v115, v170, v115 :: v_dual_cndmask_b32 v114, 0, v114
	s_delay_alu instid0(VALU_DEP_1) | instskip(NEXT) | instid1(VALU_DEP_1)
	v_add_f32_e32 v115, v171, v115
	v_fmac_f32_e32 v114, s3, v115
	s_delay_alu instid0(VALU_DEP_1) | instskip(NEXT) | instid1(VALU_DEP_1)
	v_dual_max_f32 v116, v116, v114 :: v_dual_add_nc_u32 v115, v105, v103
	v_cmp_gt_i32_e64 s0, s15, v115
	s_delay_alu instid0(VALU_DEP_1) | instskip(NEXT) | instid1(VALU_DEP_3)
	v_cndmask_b32_e64 v114, 0, v114, s0
	v_cndmask_b32_e64 v100, v100, v116, s0
	ds_store_b32 v110, v114
	s_branch .LBB48_11
.LBB48_16:
	s_or_b32 exec_lo, exec_lo, s41
.LBB48_17:
	s_delay_alu instid0(SALU_CYCLE_1) | instskip(SKIP_2) | instid1(VALU_DEP_2)
	s_or_b32 exec_lo, exec_lo, s6
	v_mbcnt_lo_u32_b32 v1, -1, 0
	v_max_f32_e32 v5, v100, v100
	v_xor_b32_e32 v2, 16, v1
	v_xor_b32_e32 v4, 8, v1
	s_delay_alu instid0(VALU_DEP_2) | instskip(SKIP_1) | instid1(VALU_DEP_3)
	v_cmp_gt_i32_e32 vcc_lo, 32, v2
	v_cndmask_b32_e32 v2, v1, v2, vcc_lo
	v_cmp_gt_i32_e32 vcc_lo, 32, v4
	s_delay_alu instid0(VALU_DEP_2) | instskip(SKIP_4) | instid1(VALU_DEP_1)
	v_lshlrev_b32_e32 v2, 2, v2
	v_cndmask_b32_e32 v4, v1, v4, vcc_lo
	ds_bpermute_b32 v3, v2, v100
	s_waitcnt lgkmcnt(0)
	v_dual_max_f32 v6, v3, v3 :: v_dual_lshlrev_b32 v3, 2, v4
	v_max_f32_e32 v4, v5, v6
	v_xor_b32_e32 v6, 4, v1
	ds_bpermute_b32 v5, v3, v4
	v_cmp_gt_i32_e32 vcc_lo, 32, v6
	v_cndmask_b32_e32 v6, v1, v6, vcc_lo
	s_delay_alu instid0(VALU_DEP_1) | instskip(SKIP_1) | instid1(VALU_DEP_1)
	v_lshlrev_b32_e32 v109, 2, v6
	v_xor_b32_e32 v6, 2, v1
	v_cmp_gt_i32_e32 vcc_lo, 32, v6
	s_waitcnt lgkmcnt(0)
	v_max_f32_e32 v5, v5, v5
	v_cndmask_b32_e32 v6, v1, v6, vcc_lo
	s_delay_alu instid0(VALU_DEP_1) | instskip(SKIP_1) | instid1(VALU_DEP_1)
	v_lshlrev_b32_e32 v108, 2, v6
	v_xor_b32_e32 v6, 1, v1
	v_cmp_gt_i32_e32 vcc_lo, 32, v6
	v_cndmask_b32_e32 v6, v1, v6, vcc_lo
	v_max_f32_e32 v4, v4, v5
	v_cmp_eq_u32_e32 vcc_lo, 0, v105
	s_delay_alu instid0(VALU_DEP_3) | instskip(SKIP_3) | instid1(VALU_DEP_1)
	v_lshlrev_b32_e32 v107, 2, v6
	ds_bpermute_b32 v5, v109, v4
	s_waitcnt lgkmcnt(0)
	v_max_f32_e32 v5, v5, v5
	v_max_f32_e32 v4, v4, v5
	ds_bpermute_b32 v5, v108, v4
	s_waitcnt lgkmcnt(0)
	v_max_f32_e32 v5, v5, v5
	s_delay_alu instid0(VALU_DEP_1)
	v_max_f32_e32 v1, v4, v5
	v_lshlrev_b32_e32 v5, 2, v104
	ds_bpermute_b32 v4, v107, v1
	s_and_saveexec_b32 s0, vcc_lo
	s_cbranch_execz .LBB48_19
; %bb.18:
	s_waitcnt lgkmcnt(0)
	v_dual_max_f32 v4, v4, v4 :: v_dual_max_f32 v1, v1, v1
	s_delay_alu instid0(VALU_DEP_1)
	v_max_f32_e32 v1, v1, v4
	ds_store_b32 v5, v1 offset:384
.LBB48_19:
	s_or_b32 exec_lo, exec_lo, s0
	v_cmp_gt_u32_e64 s0, 4, v105
	v_mov_b32_e32 v1, 0xff7fffff
	s_waitcnt lgkmcnt(0)
	s_barrier
	buffer_gl0_inv
	s_and_saveexec_b32 s1, s0
	s_cbranch_execz .LBB48_21
; %bb.20:
	ds_load_b32 v1, v99 offset:384
.LBB48_21:
	s_or_b32 exec_lo, exec_lo, s1
	s_waitcnt lgkmcnt(0)
	ds_bpermute_b32 v4, v108, v1
	v_max_f32_e32 v1, v1, v1
	s_sub_i32 s1, s8, s7
	v_mov_b32_e32 v6, 0
	s_lshl_b32 s1, s1, 5
	s_delay_alu instid0(SALU_CYCLE_1) | instskip(NEXT) | instid1(SALU_CYCLE_1)
	s_add_i32 s1, s1, s37
	s_min_i32 s1, s1, s15
	s_delay_alu instid0(SALU_CYCLE_1) | instskip(NEXT) | instid1(SALU_CYCLE_1)
	s_sub_i32 s6, s1, s37
	v_cmp_gt_i32_e64 s1, s6, v0
	s_waitcnt lgkmcnt(0)
	v_max_f32_e32 v4, v4, v4
	s_delay_alu instid0(VALU_DEP_1) | instskip(SKIP_3) | instid1(VALU_DEP_1)
	v_max_f32_e32 v1, v1, v4
	ds_bpermute_b32 v4, v107, v1
	s_waitcnt lgkmcnt(0)
	v_max_f32_e32 v4, v4, v4
	v_max_f32_e32 v1, v1, v4
	v_lshl_add_u32 v4, v0, 2, 0x1a0
	ds_bpermute_b32 v1, v6, v1
	s_and_saveexec_b32 s7, s1
	s_cbranch_execz .LBB48_25
; %bb.22:
	v_lshl_add_u32 v7, v0, 2, 0x1a0
	v_mov_b32_e32 v6, 0
	v_mov_b32_e32 v8, v0
	s_mov_b32 s35, 0
	.p2align	6
.LBB48_23:                              ; =>This Inner Loop Header: Depth=1
	ds_load_b32 v9, v7
	v_add_nc_u32_e32 v8, 0x80, v8
	s_delay_alu instid0(VALU_DEP_1) | instskip(NEXT) | instid1(VALU_DEP_1)
	v_cmp_le_i32_e64 s3, s6, v8
	s_or_b32 s35, s3, s35
	s_waitcnt lgkmcnt(0)
	v_sub_f32_e32 v9, v9, v1
	s_delay_alu instid0(VALU_DEP_1) | instskip(NEXT) | instid1(VALU_DEP_1)
	v_mul_f32_e32 v9, 0x3fb8aa3b, v9
	v_exp_f32_e32 v9, v9
	ds_store_b32 v7, v9
	v_dual_add_f32 v6, v6, v9 :: v_dual_add_nc_u32 v7, 0x200, v7
	s_and_not1_b32 exec_lo, exec_lo, s35
	s_cbranch_execnz .LBB48_23
; %bb.24:
	s_or_b32 exec_lo, exec_lo, s35
.LBB48_25:
	s_delay_alu instid0(SALU_CYCLE_1)
	s_or_b32 exec_lo, exec_lo, s7
	ds_bpermute_b32 v2, v2, v6
	s_waitcnt lgkmcnt(0)
	v_add_f32_e32 v2, v6, v2
	ds_bpermute_b32 v3, v3, v2
	s_waitcnt lgkmcnt(0)
	v_add_f32_e32 v2, v2, v3
	;; [unrolled: 3-line block ×5, first 2 shown]
	s_and_saveexec_b32 s3, vcc_lo
	s_cbranch_execz .LBB48_27
; %bb.26:
	ds_store_b32 v5, v2 offset:400
.LBB48_27:
	s_or_b32 exec_lo, exec_lo, s3
	s_waitcnt lgkmcnt(0)
	s_barrier
	buffer_gl0_inv
	s_and_saveexec_b32 s3, s0
	s_cbranch_execz .LBB48_29
; %bb.28:
	ds_load_b32 v2, v99 offset:400
.LBB48_29:
	s_or_b32 exec_lo, exec_lo, s3
	s_waitcnt lgkmcnt(0)
	ds_bpermute_b32 v3, v108, v2
	s_waitcnt lgkmcnt(0)
	v_add_f32_e32 v2, v2, v3
	ds_bpermute_b32 v3, v107, v2
	s_waitcnt lgkmcnt(0)
	v_dual_add_f32 v2, v2, v3 :: v_dual_mov_b32 v3, 0
	ds_bpermute_b32 v2, v3, v2
	s_and_saveexec_b32 s0, s1
	s_cbranch_execz .LBB48_32
; %bb.30:
	s_waitcnt lgkmcnt(0)
	v_add_f32_e32 v3, 0x358637bd, v2
	s_mov_b32 s1, 0
	s_delay_alu instid0(VALU_DEP_1) | instskip(SKIP_1) | instid1(VALU_DEP_2)
	v_div_scale_f32 v5, null, v3, v3, 1.0
	v_div_scale_f32 v8, vcc_lo, 1.0, v3, 1.0
	v_rcp_f32_e32 v6, v5
	s_waitcnt_depctr 0xfff
	v_fma_f32 v7, -v5, v6, 1.0
	s_delay_alu instid0(VALU_DEP_1) | instskip(NEXT) | instid1(VALU_DEP_1)
	v_fmac_f32_e32 v6, v7, v6
	v_mul_f32_e32 v7, v8, v6
	s_delay_alu instid0(VALU_DEP_1) | instskip(NEXT) | instid1(VALU_DEP_1)
	v_fma_f32 v9, -v5, v7, v8
	v_fmac_f32_e32 v7, v9, v6
	s_delay_alu instid0(VALU_DEP_1) | instskip(NEXT) | instid1(VALU_DEP_1)
	v_fma_f32 v5, -v5, v7, v8
	v_div_fmas_f32 v5, v5, v6, v7
	s_delay_alu instid0(VALU_DEP_1)
	v_div_fixup_f32 v3, v5, v3, 1.0
	v_mov_b32_e32 v5, v0
.LBB48_31:                              ; =>This Inner Loop Header: Depth=1
	ds_load_b32 v6, v4
	s_waitcnt lgkmcnt(0)
	v_dual_mul_f32 v6, v3, v6 :: v_dual_add_nc_u32 v5, 0x80, v5
	s_delay_alu instid0(VALU_DEP_1) | instskip(SKIP_3) | instid1(SALU_CYCLE_1)
	v_cmp_le_i32_e32 vcc_lo, s6, v5
	ds_store_b32 v4, v6
	v_add_nc_u32_e32 v4, 0x200, v4
	s_or_b32 s1, vcc_lo, s1
	s_and_not1_b32 exec_lo, exec_lo, s1
	s_cbranch_execnz .LBB48_31
.LBB48_32:
	s_or_b32 exec_lo, exec_lo, s0
	s_mul_i32 s0, s4, s14
	s_waitcnt lgkmcnt(0)
	s_mul_i32 s6, s0, s13
	s_mov_b32 s0, exec_lo
	s_barrier
	buffer_gl0_inv
	v_cmpx_eq_u32_e32 0, v0
	s_cbranch_execz .LBB48_34
; %bb.33:
	s_ashr_i32 s7, s6, 31
	s_mul_i32 s42, s4, s24
	s_lshl_b64 s[40:41], s[6:7], 2
	v_mov_b32_e32 v3, 0
	s_add_u32 s1, s18, s40
	s_addc_u32 s3, s19, s41
	s_ashr_i32 s43, s42, 31
	s_delay_alu instid0(SALU_CYCLE_1) | instskip(NEXT) | instid1(SALU_CYCLE_1)
	s_lshl_b64 s[18:19], s[42:43], 2
	s_add_u32 s1, s1, s18
	s_addc_u32 s3, s3, s19
	s_ashr_i32 s13, s12, 31
	s_delay_alu instid0(SALU_CYCLE_1) | instskip(NEXT) | instid1(SALU_CYCLE_1)
	s_lshl_b64 s[42:43], s[12:13], 2
	s_add_u32 s44, s1, s42
	s_addc_u32 s45, s3, s43
	s_add_u32 s1, s16, s40
	s_addc_u32 s3, s17, s41
	;; [unrolled: 2-line block ×4, first 2 shown]
	s_clause 0x1
	global_store_b32 v3, v1, s[44:45]
	global_store_b32 v3, v2, s[16:17]
.LBB48_34:
	s_or_b32 exec_lo, exec_lo, s0
	v_dual_mov_b32 v133, 0 :: v_dual_and_b32 v110, 7, v0
	v_dual_mov_b32 v134, 0 :: v_dual_mov_b32 v131, 0
	v_dual_mov_b32 v132, 0 :: v_dual_mov_b32 v129, 0
	;; [unrolled: 1-line block ×11, first 2 shown]
	v_mov_b32_e32 v112, 0
	s_mov_b32 s3, 0
	s_and_saveexec_b32 s1, s2
	s_cbranch_execz .LBB48_88
; %bb.35:
	s_ashr_i32 s35, s34, 31
	s_sub_i32 s2, s38, s9
	s_lshl_b64 s[16:17], s[34:35], 2
	v_dual_mov_b32 v114, 0 :: v_dual_lshlrev_b32 v5, 4, v110
	s_add_u32 s7, s30, s16
	s_addc_u32 s9, s31, s17
	s_abs_i32 s10, s10
	v_dual_mov_b32 v112, 0 :: v_dual_lshlrev_b32 v3, 2, v0
	v_cvt_f32_u32_e32 v4, s10
	s_sub_i32 s0, 0, s10
	v_lshl_or_b32 v5, v104, 7, v5
	s_delay_alu instid0(VALU_DEP_3) | instskip(NEXT) | instid1(VALU_DEP_3)
	v_dual_mov_b32 v116, 0 :: v_dual_and_b32 v135, 28, v3
	v_rcp_iflag_f32_e32 v4, v4
	v_mov_b32_e32 v111, 0
	v_dual_mov_b32 v118, 0 :: v_dual_and_b32 v3, 0x7c, v3
	v_lshlrev_b64 v[1:2], 2, v[101:102]
	v_dual_mov_b32 v113, 0 :: v_dual_add_nc_u32 v136, 0x1a0, v5
	s_lshl_b64 s[16:17], s[28:29], 2
	s_add_i32 s13, s36, -1
	v_or_b32_e32 v6, 0x400, v3
	s_waitcnt_depctr 0xfff
	v_mul_f32_e32 v4, 0x4f7ffffe, v4
	v_or_b32_e32 v7, 0x480, v3
	v_or_b32_e32 v8, 0x500, v3
	;; [unrolled: 1-line block ×4, first 2 shown]
	v_cvt_u32_f32_e32 v4, v4
	v_or_b32_e32 v11, 0x680, v3
	v_or_b32_e32 v12, 0x700, v3
	v_or_b32_e32 v13, 0x780, v3
	v_or_b32_e32 v14, 0x800, v3
	v_mul_lo_u32 v16, s0, v4
	v_or_b32_e32 v15, 0x880, v3
	v_or_b32_e32 v17, 0x900, v3
	;; [unrolled: 1-line block ×7, first 2 shown]
	v_mul_hi_u32 v5, v4, v16
	s_add_u32 s14, s26, s16
	s_addc_u32 s16, s27, s17
	v_add_co_u32 v102, vcc_lo, s14, v1
	v_dual_mov_b32 v120, 0 :: v_dual_lshlrev_b32 v137, 2, v3
	v_add_co_ci_u32_e32 v103, vcc_lo, s16, v2, vcc_lo
	v_dual_mov_b32 v115, 0 :: v_dual_lshlrev_b32 v138, 2, v6
	v_dual_mov_b32 v122, 0 :: v_dual_lshlrev_b32 v139, 2, v7
	v_dual_mov_b32 v117, 0 :: v_dual_add_nc_u32 v140, v4, v5
	v_dual_mov_b32 v124, 0 :: v_dual_lshlrev_b32 v141, 2, v8
	v_dual_mov_b32 v119, 0 :: v_dual_lshlrev_b32 v142, 2, v9
	v_dual_mov_b32 v126, 0 :: v_dual_lshlrev_b32 v143, 2, v10
	v_dual_mov_b32 v121, 0 :: v_dual_lshlrev_b32 v144, 2, v11
	v_dual_mov_b32 v128, 0 :: v_dual_lshlrev_b32 v145, 2, v12
	v_dual_mov_b32 v123, 0 :: v_dual_lshlrev_b32 v146, 2, v13
	v_dual_mov_b32 v130, 0 :: v_dual_lshlrev_b32 v147, 2, v14
	v_dual_mov_b32 v125, 0 :: v_dual_lshlrev_b32 v148, 2, v15
	v_dual_mov_b32 v132, 0 :: v_dual_lshlrev_b32 v149, 2, v17
	v_dual_mov_b32 v127, 0 :: v_dual_lshlrev_b32 v150, 2, v18
	v_dual_mov_b32 v134, 0 :: v_dual_lshlrev_b32 v151, 2, v19
	v_dual_mov_b32 v129, 0 :: v_dual_lshlrev_b32 v152, 2, v20
	v_lshlrev_b32_e32 v153, 2, v21
	v_dual_mov_b32 v131, 0 :: v_dual_lshlrev_b32 v154, 2, v22
	v_mov_b32_e32 v133, 0
	s_branch .LBB48_38
.LBB48_36:                              ;   in Loop: Header=BB48_38 Depth=1
	s_or_b32 exec_lo, exec_lo, s0
	s_waitcnt vmcnt(16) lgkmcnt(0)
	v_mul_f32_e32 v34, v2, v34
	s_waitcnt vmcnt(1)
	v_mul_f32_e32 v98, v2, v98
	v_mul_f32_e32 v94, v2, v94
	;; [unrolled: 1-line block ×18, first 2 shown]
	v_fmac_f32_e32 v34, v1, v33
	v_mul_f32_e32 v18, v2, v18
	v_mul_f32_e32 v14, v2, v14
	;; [unrolled: 1-line block ×4, first 2 shown]
	s_waitcnt vmcnt(0)
	v_mul_f32_e32 v2, v2, v82
	v_fmac_f32_e32 v66, v1, v65
	v_fmac_f32_e32 v42, v1, v41
	;; [unrolled: 1-line block ×13, first 2 shown]
	v_dual_add_f32 v127, v127, v34 :: v_dual_fmac_f32 v66, v4, v68
	v_fmac_f32_e32 v94, v1, v93
	v_fmac_f32_e32 v58, v1, v57
	;; [unrolled: 1-line block ×3, first 2 shown]
	s_delay_alu instid0(VALU_DEP_4) | instskip(SKIP_2) | instid1(VALU_DEP_3)
	v_dual_fmac_f32 v42, v4, v44 :: v_dual_add_f32 v119, v119, v66
	v_fmac_f32_e32 v86, v3, v87
	v_fmac_f32_e32 v18, v3, v19
	v_dual_fmac_f32 v2, v4, v84 :: v_dual_add_f32 v125, v125, v42
	v_fmac_f32_e32 v78, v1, v77
	s_delay_alu instid0(VALU_DEP_4) | instskip(NEXT) | instid1(VALU_DEP_3)
	v_fmac_f32_e32 v86, v4, v88
	v_dual_fmac_f32 v70, v1, v69 :: v_dual_add_f32 v111, v111, v2
	v_fmac_f32_e32 v98, v1, v97
	s_delay_alu instid0(VALU_DEP_3) | instskip(SKIP_4) | instid1(VALU_DEP_4)
	v_dual_fmac_f32 v62, v1, v61 :: v_dual_add_f32 v115, v115, v86
	v_fmac_f32_e32 v74, v4, v76
	v_fmac_f32_e32 v94, v3, v95
	;; [unrolled: 1-line block ×4, first 2 shown]
	v_dual_fmac_f32 v58, v3, v59 :: v_dual_add_f32 v117, v117, v74
	v_fmac_f32_e32 v50, v4, v52
	v_fmac_f32_e32 v90, v1, v89
	;; [unrolled: 1-line block ×4, first 2 shown]
	s_delay_alu instid0(VALU_DEP_4)
	v_dual_fmac_f32 v26, v1, v25 :: v_dual_add_f32 v123, v123, v50
	v_fmac_f32_e32 v22, v1, v21
	v_fmac_f32_e32 v14, v1, v13
	;; [unrolled: 1-line block ×9, first 2 shown]
	v_add_f32_e32 v131, v131, v18
	v_dual_fmac_f32 v98, v3, v99 :: v_dual_add_f32 v113, v113, v94
	v_fmac_f32_e32 v54, v3, v55
	v_fmac_f32_e32 v46, v3, v47
	;; [unrolled: 1-line block ×6, first 2 shown]
	s_delay_alu instid0(VALU_DEP_4)
	v_dual_fmac_f32 v26, v3, v27 :: v_dual_add_f32 v121, v121, v58
	v_fmac_f32_e32 v22, v3, v23
	v_fmac_f32_e32 v14, v3, v15
	;; [unrolled: 1-line block ×15, first 2 shown]
	s_delay_alu instid0(VALU_DEP_4)
	v_dual_fmac_f32 v10, v4, v12 :: v_dual_add_f32 v129, v129, v26
	v_fmac_f32_e32 v6, v4, v8
	v_fmac_f32_e32 v90, v4, v92
	v_add_f32_e32 v112, v112, v98
	v_add_f32_e32 v116, v116, v78
	;; [unrolled: 1-line block ×13, first 2 shown]
.LBB48_37:                              ;   in Loop: Header=BB48_38 Depth=1
	s_or_b32 exec_lo, exec_lo, s14
	v_add_nc_u32_e32 v101, 4, v101
	v_add_co_u32 v102, s0, v102, 16
	s_delay_alu instid0(VALU_DEP_1) | instskip(NEXT) | instid1(VALU_DEP_3)
	v_add_co_ci_u32_e64 v103, s0, 0, v103, s0
	v_cmp_le_i32_e32 vcc_lo, s8, v101
	v_add_nc_u32_e32 v106, 0x80, v106
	v_add_nc_u32_e32 v136, 0x200, v136
	s_or_b32 s3, vcc_lo, s3
	s_delay_alu instid0(SALU_CYCLE_1)
	s_and_not1_b32 exec_lo, exec_lo, s3
	s_cbranch_execz .LBB48_87
.LBB48_38:                              ; =>This Inner Loop Header: Depth=1
	v_sub_nc_u32_e32 v1, 0, v106
	s_delay_alu instid0(VALU_DEP_1) | instskip(NEXT) | instid1(VALU_DEP_1)
	v_max_i32_e32 v1, v106, v1
	v_mul_hi_u32 v2, v1, s25
	s_delay_alu instid0(VALU_DEP_1) | instskip(NEXT) | instid1(VALU_DEP_1)
	v_mul_lo_u32 v3, v2, s21
	v_sub_nc_u32_e32 v1, v1, v3
	v_add_nc_u32_e32 v3, 1, v2
	s_delay_alu instid0(VALU_DEP_2) | instskip(SKIP_1) | instid1(VALU_DEP_2)
	v_subrev_nc_u32_e32 v4, s21, v1
	v_cmp_le_u32_e32 vcc_lo, s21, v1
	v_dual_cndmask_b32 v2, v2, v3 :: v_dual_cndmask_b32 v1, v1, v4
	v_ashrrev_i32_e32 v3, 31, v106
	s_delay_alu instid0(VALU_DEP_2) | instskip(NEXT) | instid1(VALU_DEP_3)
	v_add_nc_u32_e32 v4, 1, v2
	v_cmp_le_u32_e32 vcc_lo, s21, v1
	s_delay_alu instid0(VALU_DEP_3) | instskip(NEXT) | instid1(VALU_DEP_3)
	v_xor_b32_e32 v3, s11, v3
	v_cndmask_b32_e32 v1, v2, v4, vcc_lo
	s_delay_alu instid0(VALU_DEP_1) | instskip(NEXT) | instid1(VALU_DEP_1)
	v_xor_b32_e32 v1, v1, v3
	v_sub_nc_u32_e32 v1, v1, v3
	s_delay_alu instid0(VALU_DEP_1) | instskip(SKIP_1) | instid1(VALU_DEP_2)
	v_add_nc_u32_e32 v2, s33, v1
	v_cmp_lt_i32_e64 s0, s2, v1
	v_sub_nc_u32_e32 v3, 0, v2
	s_delay_alu instid0(VALU_DEP_1) | instskip(NEXT) | instid1(VALU_DEP_1)
	v_max_i32_e32 v3, v2, v3
	v_mul_hi_u32 v4, v3, v140
	s_delay_alu instid0(VALU_DEP_1) | instskip(NEXT) | instid1(VALU_DEP_1)
	v_mul_lo_u32 v4, v4, s10
	v_sub_nc_u32_e32 v3, v3, v4
	s_delay_alu instid0(VALU_DEP_1) | instskip(SKIP_1) | instid1(VALU_DEP_2)
	v_subrev_nc_u32_e32 v4, s10, v3
	v_cmp_le_u32_e32 vcc_lo, s10, v3
	v_cndmask_b32_e32 v3, v3, v4, vcc_lo
	v_ashrrev_i32_e32 v2, 31, v2
	s_delay_alu instid0(VALU_DEP_2) | instskip(SKIP_1) | instid1(VALU_DEP_2)
	v_subrev_nc_u32_e32 v4, s10, v3
	v_cmp_le_u32_e32 vcc_lo, s10, v3
	v_cndmask_b32_e32 v3, v3, v4, vcc_lo
	s_delay_alu instid0(VALU_DEP_1) | instskip(NEXT) | instid1(VALU_DEP_1)
	v_xor_b32_e32 v3, v3, v2
	v_sub_nc_u32_e32 v2, v3, v2
	s_delay_alu instid0(VALU_DEP_1) | instskip(SKIP_1) | instid1(SALU_CYCLE_1)
	v_cmp_eq_u32_e32 vcc_lo, 0, v2
	s_or_b32 s0, vcc_lo, s0
	s_and_saveexec_b32 s14, s0
	s_cbranch_execz .LBB48_37
; %bb.39:                               ;   in Loop: Header=BB48_38 Depth=1
	global_load_b32 v3, v[102:103], off
	v_add_nc_u32_e32 v155, v135, v106
	s_delay_alu instid0(VALU_DEP_1) | instskip(SKIP_4) | instid1(VALU_DEP_1)
	v_add_nc_u32_e32 v158, 1, v155
	v_add_nc_u32_e32 v157, 2, v155
	;; [unrolled: 1-line block ×3, first 2 shown]
	s_waitcnt vmcnt(0)
	v_mad_i64_i32 v[1:2], null, v3, s5, 0
	v_lshlrev_b64 v[1:2], 2, v[1:2]
	s_delay_alu instid0(VALU_DEP_1) | instskip(NEXT) | instid1(VALU_DEP_2)
	v_add_co_u32 v81, vcc_lo, s7, v1
	v_add_co_ci_u32_e32 v82, vcc_lo, s9, v2, vcc_lo
	ds_load_b128 v[1:4], v136
	v_add_co_u32 v33, vcc_lo, v81, v137
	v_add_co_ci_u32_e32 v34, vcc_lo, 0, v82, vcc_lo
	v_cmp_eq_u32_e32 vcc_lo, s13, v101
	global_load_b128 v[5:8], v[33:34], off
	s_and_saveexec_b32 s16, vcc_lo
	s_cbranch_execnz .LBB48_80
; %bb.40:                               ;   in Loop: Header=BB48_38 Depth=1
	s_or_b32 exec_lo, exec_lo, s16
	global_load_b128 v[9:12], v[33:34], off offset:512
	s_and_saveexec_b32 s16, vcc_lo
	s_cbranch_execnz .LBB48_81
.LBB48_41:                              ;   in Loop: Header=BB48_38 Depth=1
	s_or_b32 exec_lo, exec_lo, s16
	global_load_b128 v[13:16], v[33:34], off offset:1024
	s_and_saveexec_b32 s16, vcc_lo
	s_cbranch_execnz .LBB48_82
.LBB48_42:                              ;   in Loop: Header=BB48_38 Depth=1
	s_or_b32 exec_lo, exec_lo, s16
	global_load_b128 v[17:20], v[33:34], off offset:1536
	s_and_saveexec_b32 s16, vcc_lo
	s_cbranch_execnz .LBB48_83
.LBB48_43:                              ;   in Loop: Header=BB48_38 Depth=1
	s_or_b32 exec_lo, exec_lo, s16
	global_load_b128 v[21:24], v[33:34], off offset:2048
	s_and_saveexec_b32 s16, vcc_lo
	s_cbranch_execnz .LBB48_84
.LBB48_44:                              ;   in Loop: Header=BB48_38 Depth=1
	s_or_b32 exec_lo, exec_lo, s16
	global_load_b128 v[25:28], v[33:34], off offset:2560
	s_and_saveexec_b32 s16, vcc_lo
	s_cbranch_execnz .LBB48_85
.LBB48_45:                              ;   in Loop: Header=BB48_38 Depth=1
	s_or_b32 exec_lo, exec_lo, s16
	global_load_b128 v[29:32], v[33:34], off offset:3072
	s_and_saveexec_b32 s16, vcc_lo
	s_cbranch_execnz .LBB48_86
.LBB48_46:                              ;   in Loop: Header=BB48_38 Depth=1
	s_or_b32 exec_lo, exec_lo, s16
	global_load_b128 v[33:36], v[33:34], off offset:3584
	s_and_saveexec_b32 s16, vcc_lo
	s_cbranch_execz .LBB48_48
.LBB48_47:                              ;   in Loop: Header=BB48_38 Depth=1
	v_cmp_gt_i32_e64 s0, s15, v155
	s_waitcnt vmcnt(0)
	s_delay_alu instid0(VALU_DEP_1) | instskip(SKIP_1) | instid1(VALU_DEP_1)
	v_cndmask_b32_e64 v33, 0, v33, s0
	v_cmp_gt_i32_e64 s0, s15, v158
	v_cndmask_b32_e64 v34, 0, v34, s0
	v_cmp_gt_i32_e64 s0, s15, v157
	s_delay_alu instid0(VALU_DEP_1) | instskip(SKIP_1) | instid1(VALU_DEP_1)
	v_cndmask_b32_e64 v35, 0, v35, s0
	v_cmp_gt_i32_e64 s0, s15, v156
	v_cndmask_b32_e64 v36, 0, v36, s0
.LBB48_48:                              ;   in Loop: Header=BB48_38 Depth=1
	s_or_b32 exec_lo, exec_lo, s16
	v_add_co_u32 v37, s0, v81, v138
	s_delay_alu instid0(VALU_DEP_1)
	v_add_co_ci_u32_e64 v38, s0, 0, v82, s0
	global_load_b128 v[37:40], v[37:38], off
	s_and_saveexec_b32 s16, vcc_lo
	s_cbranch_execz .LBB48_50
; %bb.49:                               ;   in Loop: Header=BB48_38 Depth=1
	v_cmp_gt_i32_e64 s0, s15, v155
	s_waitcnt vmcnt(0)
	s_delay_alu instid0(VALU_DEP_1) | instskip(SKIP_1) | instid1(VALU_DEP_1)
	v_cndmask_b32_e64 v37, 0, v37, s0
	v_cmp_gt_i32_e64 s0, s15, v158
	v_cndmask_b32_e64 v38, 0, v38, s0
	v_cmp_gt_i32_e64 s0, s15, v157
	s_delay_alu instid0(VALU_DEP_1) | instskip(SKIP_1) | instid1(VALU_DEP_1)
	v_cndmask_b32_e64 v39, 0, v39, s0
	v_cmp_gt_i32_e64 s0, s15, v156
	v_cndmask_b32_e64 v40, 0, v40, s0
.LBB48_50:                              ;   in Loop: Header=BB48_38 Depth=1
	s_or_b32 exec_lo, exec_lo, s16
	v_add_co_u32 v41, s0, v81, v139
	s_delay_alu instid0(VALU_DEP_1)
	v_add_co_ci_u32_e64 v42, s0, 0, v82, s0
	global_load_b128 v[41:44], v[41:42], off
	s_and_saveexec_b32 s16, vcc_lo
	s_cbranch_execz .LBB48_52
; %bb.51:                               ;   in Loop: Header=BB48_38 Depth=1
	v_cmp_gt_i32_e64 s0, s15, v155
	s_waitcnt vmcnt(0)
	s_delay_alu instid0(VALU_DEP_1) | instskip(SKIP_1) | instid1(VALU_DEP_1)
	v_cndmask_b32_e64 v41, 0, v41, s0
	v_cmp_gt_i32_e64 s0, s15, v158
	v_cndmask_b32_e64 v42, 0, v42, s0
	v_cmp_gt_i32_e64 s0, s15, v157
	s_delay_alu instid0(VALU_DEP_1) | instskip(SKIP_1) | instid1(VALU_DEP_1)
	v_cndmask_b32_e64 v43, 0, v43, s0
	v_cmp_gt_i32_e64 s0, s15, v156
	v_cndmask_b32_e64 v44, 0, v44, s0
.LBB48_52:                              ;   in Loop: Header=BB48_38 Depth=1
	;; [unrolled: 20-line block ×15, first 2 shown]
	s_or_b32 exec_lo, exec_lo, s16
	v_add_co_u32 v81, s0, v81, v154
	s_delay_alu instid0(VALU_DEP_1)
	v_add_co_ci_u32_e64 v82, s0, 0, v82, s0
	global_load_b128 v[81:84], v[81:82], off
	s_and_saveexec_b32 s0, vcc_lo
	s_cbranch_execz .LBB48_36
; %bb.79:                               ;   in Loop: Header=BB48_38 Depth=1
	v_cmp_gt_i32_e32 vcc_lo, s15, v155
	s_waitcnt vmcnt(0)
	v_cndmask_b32_e32 v81, 0, v81, vcc_lo
	v_cmp_gt_i32_e32 vcc_lo, s15, v158
	v_cndmask_b32_e32 v82, 0, v82, vcc_lo
	v_cmp_gt_i32_e32 vcc_lo, s15, v157
	;; [unrolled: 2-line block ×3, first 2 shown]
	v_cndmask_b32_e32 v84, 0, v84, vcc_lo
	s_branch .LBB48_36
.LBB48_80:                              ;   in Loop: Header=BB48_38 Depth=1
	v_cmp_gt_i32_e64 s0, s15, v155
	s_waitcnt vmcnt(0)
	s_delay_alu instid0(VALU_DEP_1) | instskip(SKIP_1) | instid1(VALU_DEP_1)
	v_cndmask_b32_e64 v5, 0, v5, s0
	v_cmp_gt_i32_e64 s0, s15, v158
	v_cndmask_b32_e64 v6, 0, v6, s0
	v_cmp_gt_i32_e64 s0, s15, v157
	s_delay_alu instid0(VALU_DEP_1) | instskip(SKIP_1) | instid1(VALU_DEP_1)
	v_cndmask_b32_e64 v7, 0, v7, s0
	v_cmp_gt_i32_e64 s0, s15, v156
	v_cndmask_b32_e64 v8, 0, v8, s0
	s_or_b32 exec_lo, exec_lo, s16
	global_load_b128 v[9:12], v[33:34], off offset:512
	s_and_saveexec_b32 s16, vcc_lo
	s_cbranch_execz .LBB48_41
.LBB48_81:                              ;   in Loop: Header=BB48_38 Depth=1
	v_cmp_gt_i32_e64 s0, s15, v155
	s_waitcnt vmcnt(0)
	s_delay_alu instid0(VALU_DEP_1) | instskip(SKIP_1) | instid1(VALU_DEP_1)
	v_cndmask_b32_e64 v9, 0, v9, s0
	v_cmp_gt_i32_e64 s0, s15, v158
	v_cndmask_b32_e64 v10, 0, v10, s0
	v_cmp_gt_i32_e64 s0, s15, v157
	s_delay_alu instid0(VALU_DEP_1) | instskip(SKIP_1) | instid1(VALU_DEP_1)
	v_cndmask_b32_e64 v11, 0, v11, s0
	v_cmp_gt_i32_e64 s0, s15, v156
	v_cndmask_b32_e64 v12, 0, v12, s0
	s_or_b32 exec_lo, exec_lo, s16
	global_load_b128 v[13:16], v[33:34], off offset:1024
	s_and_saveexec_b32 s16, vcc_lo
	s_cbranch_execz .LBB48_42
.LBB48_82:                              ;   in Loop: Header=BB48_38 Depth=1
	v_cmp_gt_i32_e64 s0, s15, v155
	s_waitcnt vmcnt(0)
	s_delay_alu instid0(VALU_DEP_1) | instskip(SKIP_1) | instid1(VALU_DEP_1)
	v_cndmask_b32_e64 v13, 0, v13, s0
	v_cmp_gt_i32_e64 s0, s15, v158
	v_cndmask_b32_e64 v14, 0, v14, s0
	v_cmp_gt_i32_e64 s0, s15, v157
	s_delay_alu instid0(VALU_DEP_1) | instskip(SKIP_1) | instid1(VALU_DEP_1)
	v_cndmask_b32_e64 v15, 0, v15, s0
	v_cmp_gt_i32_e64 s0, s15, v156
	v_cndmask_b32_e64 v16, 0, v16, s0
	s_or_b32 exec_lo, exec_lo, s16
	global_load_b128 v[17:20], v[33:34], off offset:1536
	s_and_saveexec_b32 s16, vcc_lo
	s_cbranch_execz .LBB48_43
.LBB48_83:                              ;   in Loop: Header=BB48_38 Depth=1
	v_cmp_gt_i32_e64 s0, s15, v155
	s_waitcnt vmcnt(0)
	s_delay_alu instid0(VALU_DEP_1) | instskip(SKIP_1) | instid1(VALU_DEP_1)
	v_cndmask_b32_e64 v17, 0, v17, s0
	v_cmp_gt_i32_e64 s0, s15, v158
	v_cndmask_b32_e64 v18, 0, v18, s0
	v_cmp_gt_i32_e64 s0, s15, v157
	s_delay_alu instid0(VALU_DEP_1) | instskip(SKIP_1) | instid1(VALU_DEP_1)
	v_cndmask_b32_e64 v19, 0, v19, s0
	v_cmp_gt_i32_e64 s0, s15, v156
	v_cndmask_b32_e64 v20, 0, v20, s0
	s_or_b32 exec_lo, exec_lo, s16
	global_load_b128 v[21:24], v[33:34], off offset:2048
	s_and_saveexec_b32 s16, vcc_lo
	s_cbranch_execz .LBB48_44
.LBB48_84:                              ;   in Loop: Header=BB48_38 Depth=1
	v_cmp_gt_i32_e64 s0, s15, v155
	s_waitcnt vmcnt(0)
	s_delay_alu instid0(VALU_DEP_1) | instskip(SKIP_1) | instid1(VALU_DEP_1)
	v_cndmask_b32_e64 v21, 0, v21, s0
	v_cmp_gt_i32_e64 s0, s15, v158
	v_cndmask_b32_e64 v22, 0, v22, s0
	v_cmp_gt_i32_e64 s0, s15, v157
	s_delay_alu instid0(VALU_DEP_1) | instskip(SKIP_1) | instid1(VALU_DEP_1)
	v_cndmask_b32_e64 v23, 0, v23, s0
	v_cmp_gt_i32_e64 s0, s15, v156
	v_cndmask_b32_e64 v24, 0, v24, s0
	s_or_b32 exec_lo, exec_lo, s16
	global_load_b128 v[25:28], v[33:34], off offset:2560
	s_and_saveexec_b32 s16, vcc_lo
	s_cbranch_execz .LBB48_45
.LBB48_85:                              ;   in Loop: Header=BB48_38 Depth=1
	v_cmp_gt_i32_e64 s0, s15, v155
	s_waitcnt vmcnt(0)
	s_delay_alu instid0(VALU_DEP_1) | instskip(SKIP_1) | instid1(VALU_DEP_1)
	v_cndmask_b32_e64 v25, 0, v25, s0
	v_cmp_gt_i32_e64 s0, s15, v158
	v_cndmask_b32_e64 v26, 0, v26, s0
	v_cmp_gt_i32_e64 s0, s15, v157
	s_delay_alu instid0(VALU_DEP_1) | instskip(SKIP_1) | instid1(VALU_DEP_1)
	v_cndmask_b32_e64 v27, 0, v27, s0
	v_cmp_gt_i32_e64 s0, s15, v156
	v_cndmask_b32_e64 v28, 0, v28, s0
	s_or_b32 exec_lo, exec_lo, s16
	global_load_b128 v[29:32], v[33:34], off offset:3072
	s_and_saveexec_b32 s16, vcc_lo
	s_cbranch_execz .LBB48_46
.LBB48_86:                              ;   in Loop: Header=BB48_38 Depth=1
	v_cmp_gt_i32_e64 s0, s15, v155
	s_waitcnt vmcnt(0)
	s_delay_alu instid0(VALU_DEP_1) | instskip(SKIP_1) | instid1(VALU_DEP_1)
	v_cndmask_b32_e64 v29, 0, v29, s0
	v_cmp_gt_i32_e64 s0, s15, v158
	v_cndmask_b32_e64 v30, 0, v30, s0
	v_cmp_gt_i32_e64 s0, s15, v157
	s_delay_alu instid0(VALU_DEP_1) | instskip(SKIP_1) | instid1(VALU_DEP_1)
	v_cndmask_b32_e64 v31, 0, v31, s0
	v_cmp_gt_i32_e64 s0, s15, v156
	v_cndmask_b32_e64 v32, 0, v32, s0
	s_or_b32 exec_lo, exec_lo, s16
	global_load_b128 v[33:36], v[33:34], off offset:3584
	s_and_saveexec_b32 s16, vcc_lo
	s_cbranch_execnz .LBB48_47
	s_branch .LBB48_48
.LBB48_87:
	s_or_b32 exec_lo, exec_lo, s3
.LBB48_88:
	s_delay_alu instid0(SALU_CYCLE_1)
	s_or_b32 exec_lo, exec_lo, s1
	ds_bpermute_b32 v1, v109, v133
	ds_bpermute_b32 v3, v109, v132
	;; [unrolled: 1-line block ×20, first 2 shown]
	s_waitcnt lgkmcnt(19)
	v_add_f32_e32 v1, v133, v1
	s_waitcnt lgkmcnt(17)
	v_dual_add_f32 v3, v132, v3 :: v_dual_add_f32 v2, v134, v2
	s_waitcnt lgkmcnt(15)
	v_dual_add_f32 v4, v131, v4 :: v_dual_add_f32 v7, v128, v7
	s_waitcnt lgkmcnt(14)
	v_add_f32_e32 v8, v127, v8
	ds_bpermute_b32 v19, v108, v1
	ds_bpermute_b32 v21, v108, v3
	;; [unrolled: 1-line block ×5, first 2 shown]
	s_waitcnt lgkmcnt(16)
	v_dual_add_f32 v11, v124, v11 :: v_dual_add_f32 v12, v123, v12
	v_add_f32_e32 v13, v122, v13
	s_waitcnt lgkmcnt(14)
	v_dual_add_f32 v5, v130, v5 :: v_dual_add_f32 v6, v129, v6
	ds_bpermute_b32 v33, v108, v11
	s_waitcnt lgkmcnt(13)
	v_dual_add_f32 v9, v126, v9 :: v_dual_add_f32 v10, v125, v10
	ds_bpermute_b32 v31, v109, v114
	ds_bpermute_b32 v32, v109, v113
	s_waitcnt lgkmcnt(12)
	v_dual_add_f32 v15, v120, v15 :: v_dual_add_f32 v16, v119, v16
	s_waitcnt lgkmcnt(10)
	v_dual_add_f32 v17, v118, v17 :: v_dual_add_f32 v18, v117, v18
	ds_bpermute_b32 v25, v108, v5
	s_waitcnt lgkmcnt(8)
	v_add_f32_e32 v1, v1, v19
	s_waitcnt lgkmcnt(6)
	v_dual_add_f32 v3, v3, v21 :: v_dual_add_f32 v2, v2, v20
	s_waitcnt lgkmcnt(5)
	v_add_f32_e32 v4, v4, v22
	s_waitcnt lgkmcnt(4)
	v_add_f32_e32 v8, v8, v28
	ds_bpermute_b32 v19, v107, v1
	ds_bpermute_b32 v21, v107, v3
	;; [unrolled: 1-line block ×8, first 2 shown]
	s_waitcnt lgkmcnt(11)
	v_add_f32_e32 v11, v11, v33
	ds_bpermute_b32 v33, v108, v16
	s_waitcnt lgkmcnt(10)
	v_dual_add_f32 v23, v116, v23 :: v_dual_add_f32 v32, v113, v32
	v_add_f32_e32 v31, v114, v31
	ds_bpermute_b32 v29, v108, v9
	s_waitcnt lgkmcnt(10)
	v_dual_add_f32 v24, v115, v24 :: v_dual_add_f32 v5, v5, v25
	ds_bpermute_b32 v36, v108, v23
	ds_bpermute_b32 v39, v108, v32
	ds_bpermute_b32 v20, v107, v2
	v_add_f32_e32 v14, v121, v14
	s_waitcnt lgkmcnt(12)
	v_add_f32_e32 v1, v1, v19
	s_waitcnt lgkmcnt(11)
	v_add_f32_e32 v3, v3, v21
	ds_bpermute_b32 v19, v109, v112
	ds_bpermute_b32 v21, v109, v111
	s_waitcnt lgkmcnt(11)
	v_add_f32_e32 v4, v4, v22
	ds_bpermute_b32 v22, v108, v14
	v_add_f32_e32 v13, v13, v35
	ds_bpermute_b32 v35, v108, v18
	s_waitcnt lgkmcnt(11)
	v_dual_add_f32 v6, v6, v26 :: v_dual_add_f32 v7, v7, v27
	s_waitcnt lgkmcnt(10)
	v_add_f32_e32 v10, v10, v30
	s_waitcnt lgkmcnt(9)
	v_add_f32_e32 v12, v12, v34
	ds_bpermute_b32 v30, v108, v15
	ds_bpermute_b32 v34, v108, v17
	;; [unrolled: 1-line block ×3, first 2 shown]
	s_waitcnt lgkmcnt(11)
	v_add_f32_e32 v16, v16, v33
	ds_bpermute_b32 v38, v108, v31
	ds_bpermute_b32 v26, v107, v6
	ds_bpermute_b32 v28, v107, v8
	s_waitcnt lgkmcnt(10)
	v_dual_add_f32 v9, v9, v29 :: v_dual_add_f32 v2, v2, v20
	ds_bpermute_b32 v25, v107, v5
	s_waitcnt lgkmcnt(10)
	v_add_f32_e32 v19, v112, v19
	s_waitcnt lgkmcnt(9)
	v_add_f32_e32 v21, v111, v21
	ds_bpermute_b32 v27, v107, v7
	s_waitcnt lgkmcnt(9)
	v_dual_add_f32 v14, v14, v22 :: v_dual_add_f32 v23, v23, v36
	ds_bpermute_b32 v40, v108, v19
	s_waitcnt lgkmcnt(9)
	v_add_f32_e32 v18, v18, v35
	ds_bpermute_b32 v22, v108, v21
	v_add_f32_e32 v32, v32, v39
	ds_bpermute_b32 v29, v107, v9
	s_waitcnt lgkmcnt(10)
	v_add_f32_e32 v15, v15, v30
	s_waitcnt lgkmcnt(8)
	v_dual_add_f32 v17, v17, v34 :: v_dual_add_f32 v24, v24, v37
	ds_bpermute_b32 v20, v107, v10
	s_waitcnt lgkmcnt(8)
	v_add_f32_e32 v31, v31, v38
	ds_bpermute_b32 v41, v107, v11
	s_waitcnt lgkmcnt(7)
	v_add_f32_e32 v8, v8, v28
	ds_bpermute_b32 v42, v107, v12
	ds_bpermute_b32 v43, v107, v13
	;; [unrolled: 1-line block ×8, first 2 shown]
	s_waitcnt lgkmcnt(12)
	v_add_f32_e32 v38, v19, v40
	ds_bpermute_b32 v40, v107, v31
	s_waitcnt lgkmcnt(12)
	v_add_f32_e32 v45, v21, v22
	ds_bpermute_b32 v44, v107, v32
	v_add_f32_e32 v6, v6, v26
	ds_bpermute_b32 v37, v107, v23
	ds_bpermute_b32 v46, v107, v38
	;; [unrolled: 1-line block ×3, first 2 shown]
	s_waitcnt lgkmcnt(14)
	v_dual_add_f32 v5, v5, v25 :: v_dual_add_f32 v10, v10, v20
	v_add_f32_e32 v7, v7, v27
	s_waitcnt lgkmcnt(12)
	v_dual_add_f32 v12, v12, v42 :: v_dual_and_b32 v27, 0x3c7, v0
	v_lshrrev_b32_e32 v25, 3, v105
	s_movk_i32 s0, 0x180
	s_waitcnt lgkmcnt(10)
	v_dual_add_f32 v9, v9, v29 :: v_dual_add_f32 v14, v14, v30
	s_waitcnt lgkmcnt(8)
	v_dual_add_f32 v11, v11, v41 :: v_dual_add_f32 v16, v16, v34
	;; [unrolled: 2-line block ×5, first 2 shown]
	s_waitcnt lgkmcnt(2)
	v_add_f32_e32 v19, v23, v37
	s_waitcnt lgkmcnt(0)
	v_dual_add_f32 v21, v31, v40 :: v_dual_add_f32 v24, v45, v26
	v_add_f32_e32 v23, v38, v46
	v_mad_u32_u24 v26, v104, s0, 0x1a0
	v_cmp_eq_u32_e32 vcc_lo, 64, v27
	v_lshlrev_b32_e32 v27, 2, v25
	s_waitcnt_vscnt null, 0x0
	s_barrier
	buffer_gl0_inv
	s_and_saveexec_b32 s0, vcc_lo
	s_cbranch_execz .LBB48_90
; %bb.89:
	v_add3_u32 v28, v26, v27, 0xfffffd00
	ds_store_2addr_b32 v28, v1, v2 offset1:4
	ds_store_2addr_b32 v28, v3, v4 offset0:8 offset1:12
	ds_store_2addr_b32 v28, v5, v6 offset0:16 offset1:20
	;; [unrolled: 1-line block ×11, first 2 shown]
.LBB48_90:
	s_or_b32 exec_lo, exec_lo, s0
	v_cmp_eq_u32_e32 vcc_lo, 0, v110
	s_mov_b32 s1, exec_lo
	s_waitcnt lgkmcnt(0)
	s_barrier
	buffer_gl0_inv
	v_cmpx_gt_u32_e32 64, v0
	s_cbranch_execz .LBB48_117
; %bb.91:
	s_and_saveexec_b32 s0, vcc_lo
	s_cbranch_execnz .LBB48_149
; %bb.92:
	s_or_b32 exec_lo, exec_lo, s0
	s_and_saveexec_b32 s0, vcc_lo
	s_cbranch_execnz .LBB48_150
.LBB48_93:
	s_or_b32 exec_lo, exec_lo, s0
	s_and_saveexec_b32 s0, vcc_lo
	s_cbranch_execnz .LBB48_151
.LBB48_94:
	s_or_b32 exec_lo, exec_lo, s0
	s_and_saveexec_b32 s0, vcc_lo
	s_cbranch_execnz .LBB48_152
.LBB48_95:
	s_or_b32 exec_lo, exec_lo, s0
	s_and_saveexec_b32 s0, vcc_lo
	s_cbranch_execnz .LBB48_153
.LBB48_96:
	s_or_b32 exec_lo, exec_lo, s0
	s_and_saveexec_b32 s0, vcc_lo
	s_cbranch_execnz .LBB48_154
.LBB48_97:
	s_or_b32 exec_lo, exec_lo, s0
	s_and_saveexec_b32 s0, vcc_lo
	s_cbranch_execnz .LBB48_155
.LBB48_98:
	s_or_b32 exec_lo, exec_lo, s0
	s_and_saveexec_b32 s0, vcc_lo
	s_cbranch_execnz .LBB48_156
.LBB48_99:
	s_or_b32 exec_lo, exec_lo, s0
	s_and_saveexec_b32 s0, vcc_lo
	s_cbranch_execnz .LBB48_157
.LBB48_100:
	s_or_b32 exec_lo, exec_lo, s0
	s_and_saveexec_b32 s0, vcc_lo
	s_cbranch_execnz .LBB48_158
.LBB48_101:
	s_or_b32 exec_lo, exec_lo, s0
	s_and_saveexec_b32 s0, vcc_lo
	s_cbranch_execnz .LBB48_159
.LBB48_102:
	s_or_b32 exec_lo, exec_lo, s0
	s_and_saveexec_b32 s0, vcc_lo
	s_cbranch_execnz .LBB48_160
.LBB48_103:
	s_or_b32 exec_lo, exec_lo, s0
	s_and_saveexec_b32 s0, vcc_lo
	s_cbranch_execnz .LBB48_161
.LBB48_104:
	s_or_b32 exec_lo, exec_lo, s0
	s_and_saveexec_b32 s0, vcc_lo
	s_cbranch_execnz .LBB48_162
.LBB48_105:
	s_or_b32 exec_lo, exec_lo, s0
	s_and_saveexec_b32 s0, vcc_lo
	s_cbranch_execnz .LBB48_163
.LBB48_106:
	s_or_b32 exec_lo, exec_lo, s0
	s_and_saveexec_b32 s0, vcc_lo
	s_cbranch_execnz .LBB48_164
.LBB48_107:
	s_or_b32 exec_lo, exec_lo, s0
	s_and_saveexec_b32 s0, vcc_lo
	s_cbranch_execnz .LBB48_165
.LBB48_108:
	s_or_b32 exec_lo, exec_lo, s0
	s_and_saveexec_b32 s0, vcc_lo
	s_cbranch_execnz .LBB48_166
.LBB48_109:
	s_or_b32 exec_lo, exec_lo, s0
	s_and_saveexec_b32 s0, vcc_lo
	s_cbranch_execnz .LBB48_167
.LBB48_110:
	s_or_b32 exec_lo, exec_lo, s0
	s_and_saveexec_b32 s0, vcc_lo
	s_cbranch_execnz .LBB48_168
.LBB48_111:
	s_or_b32 exec_lo, exec_lo, s0
	s_and_saveexec_b32 s0, vcc_lo
	s_cbranch_execnz .LBB48_169
.LBB48_112:
	s_or_b32 exec_lo, exec_lo, s0
	s_and_saveexec_b32 s0, vcc_lo
	s_cbranch_execnz .LBB48_170
.LBB48_113:
	s_or_b32 exec_lo, exec_lo, s0
	s_and_saveexec_b32 s0, vcc_lo
	s_cbranch_execnz .LBB48_171
.LBB48_114:
	s_or_b32 exec_lo, exec_lo, s0
	s_and_saveexec_b32 s0, vcc_lo
	s_cbranch_execz .LBB48_116
.LBB48_115:
	v_lshl_add_u32 v28, v25, 2, v26
	ds_load_b32 v28, v28 offset:368
	s_waitcnt lgkmcnt(0)
	v_add_f32_e32 v24, v24, v28
.LBB48_116:
	s_or_b32 exec_lo, exec_lo, s0
.LBB48_117:
	s_delay_alu instid0(SALU_CYCLE_1)
	s_or_b32 exec_lo, exec_lo, s1
	v_and_b32_e32 v28, 0x3e7, v0
	s_mov_b32 s1, exec_lo
	s_barrier
	buffer_gl0_inv
	v_cmpx_eq_u32_e32 32, v28
	s_cbranch_execz .LBB48_119
; %bb.118:
	v_add3_u32 v27, v26, v27, 0xfffffe80
	ds_store_2addr_b32 v27, v1, v2 offset1:4
	ds_store_2addr_b32 v27, v3, v4 offset0:8 offset1:12
	ds_store_2addr_b32 v27, v5, v6 offset0:16 offset1:20
	;; [unrolled: 1-line block ×11, first 2 shown]
.LBB48_119:
	s_or_b32 exec_lo, exec_lo, s1
	s_delay_alu instid0(SALU_CYCLE_1)
	s_mov_b32 s1, exec_lo
	s_waitcnt lgkmcnt(0)
	s_barrier
	buffer_gl0_inv
	v_cmpx_gt_u32_e32 32, v0
	s_cbranch_execz .LBB48_146
; %bb.120:
	v_lshl_add_u32 v25, v25, 2, v26
	s_and_saveexec_b32 s0, vcc_lo
	s_cbranch_execnz .LBB48_172
; %bb.121:
	s_or_b32 exec_lo, exec_lo, s0
	s_and_saveexec_b32 s0, vcc_lo
	s_cbranch_execnz .LBB48_173
.LBB48_122:
	s_or_b32 exec_lo, exec_lo, s0
	s_and_saveexec_b32 s0, vcc_lo
	s_cbranch_execnz .LBB48_174
.LBB48_123:
	s_or_b32 exec_lo, exec_lo, s0
	s_and_saveexec_b32 s0, vcc_lo
	s_cbranch_execnz .LBB48_175
.LBB48_124:
	s_or_b32 exec_lo, exec_lo, s0
	s_and_saveexec_b32 s0, vcc_lo
	s_cbranch_execnz .LBB48_176
.LBB48_125:
	s_or_b32 exec_lo, exec_lo, s0
	s_and_saveexec_b32 s0, vcc_lo
	s_cbranch_execnz .LBB48_177
.LBB48_126:
	s_or_b32 exec_lo, exec_lo, s0
	s_and_saveexec_b32 s0, vcc_lo
	s_cbranch_execnz .LBB48_178
.LBB48_127:
	s_or_b32 exec_lo, exec_lo, s0
	s_and_saveexec_b32 s0, vcc_lo
	s_cbranch_execnz .LBB48_179
.LBB48_128:
	s_or_b32 exec_lo, exec_lo, s0
	s_and_saveexec_b32 s0, vcc_lo
	s_cbranch_execnz .LBB48_180
.LBB48_129:
	s_or_b32 exec_lo, exec_lo, s0
	s_and_saveexec_b32 s0, vcc_lo
	s_cbranch_execnz .LBB48_181
.LBB48_130:
	s_or_b32 exec_lo, exec_lo, s0
	s_and_saveexec_b32 s0, vcc_lo
	s_cbranch_execnz .LBB48_182
.LBB48_131:
	s_or_b32 exec_lo, exec_lo, s0
	s_and_saveexec_b32 s0, vcc_lo
	s_cbranch_execnz .LBB48_183
.LBB48_132:
	s_or_b32 exec_lo, exec_lo, s0
	s_and_saveexec_b32 s0, vcc_lo
	s_cbranch_execnz .LBB48_184
.LBB48_133:
	s_or_b32 exec_lo, exec_lo, s0
	s_and_saveexec_b32 s0, vcc_lo
	s_cbranch_execnz .LBB48_185
.LBB48_134:
	s_or_b32 exec_lo, exec_lo, s0
	s_and_saveexec_b32 s0, vcc_lo
	s_cbranch_execnz .LBB48_186
.LBB48_135:
	s_or_b32 exec_lo, exec_lo, s0
	s_and_saveexec_b32 s0, vcc_lo
	s_cbranch_execnz .LBB48_187
.LBB48_136:
	s_or_b32 exec_lo, exec_lo, s0
	s_and_saveexec_b32 s0, vcc_lo
	s_cbranch_execnz .LBB48_188
.LBB48_137:
	s_or_b32 exec_lo, exec_lo, s0
	s_and_saveexec_b32 s0, vcc_lo
	s_cbranch_execnz .LBB48_189
.LBB48_138:
	s_or_b32 exec_lo, exec_lo, s0
	s_and_saveexec_b32 s0, vcc_lo
	s_cbranch_execnz .LBB48_190
.LBB48_139:
	s_or_b32 exec_lo, exec_lo, s0
	s_and_saveexec_b32 s0, vcc_lo
	s_cbranch_execnz .LBB48_191
.LBB48_140:
	s_or_b32 exec_lo, exec_lo, s0
	s_and_saveexec_b32 s0, vcc_lo
	s_cbranch_execnz .LBB48_192
.LBB48_141:
	s_or_b32 exec_lo, exec_lo, s0
	s_and_saveexec_b32 s0, vcc_lo
	s_cbranch_execnz .LBB48_193
.LBB48_142:
	s_or_b32 exec_lo, exec_lo, s0
	s_and_saveexec_b32 s0, vcc_lo
	s_cbranch_execnz .LBB48_194
.LBB48_143:
	s_or_b32 exec_lo, exec_lo, s0
	s_and_saveexec_b32 s0, vcc_lo
	s_cbranch_execz .LBB48_145
.LBB48_144:
	ds_load_b32 v25, v25 offset:368
	s_waitcnt lgkmcnt(0)
	v_add_f32_e32 v24, v24, v25
.LBB48_145:
	s_or_b32 exec_lo, exec_lo, s0
.LBB48_146:
	s_delay_alu instid0(SALU_CYCLE_1)
	s_or_b32 exec_lo, exec_lo, s1
	s_barrier
	buffer_gl0_inv
	s_mov_b32 s0, exec_lo
	v_cmpx_eq_u32_e32 0, v28
	s_cbranch_execz .LBB48_148
; %bb.147:
	s_mul_i32 s0, s6, 0x60
	s_mul_i32 s2, s4, s20
	s_ashr_i32 s1, s0, 31
	v_lshrrev_b32_e32 v0, 1, v0
	s_lshl_b64 s[0:1], s[0:1], 2
	s_delay_alu instid0(SALU_CYCLE_1) | instskip(SKIP_2) | instid1(SALU_CYCLE_1)
	s_add_u32 s4, s22, s0
	s_addc_u32 s5, s23, s1
	s_ashr_i32 s3, s2, 31
	s_lshl_b64 s[0:1], s[2:3], 2
	s_mul_i32 s2, s12, 0x60
	s_add_u32 s4, s4, s0
	s_addc_u32 s5, s5, s1
	s_ashr_i32 s3, s2, 31
	s_delay_alu instid0(SALU_CYCLE_1) | instskip(NEXT) | instid1(SALU_CYCLE_1)
	s_lshl_b64 s[0:1], s[2:3], 2
	s_add_u32 s0, s4, s0
	s_addc_u32 s1, s5, s1
	s_clause 0x17
	global_store_b32 v0, v1, s[0:1]
	global_store_b32 v0, v2, s[0:1] offset:16
	global_store_b32 v0, v3, s[0:1] offset:32
	;; [unrolled: 1-line block ×23, first 2 shown]
.LBB48_148:
	s_nop 0
	s_sendmsg sendmsg(MSG_DEALLOC_VGPRS)
	s_endpgm
.LBB48_149:
	v_lshl_add_u32 v28, v25, 2, v26
	ds_load_b32 v28, v28
	s_waitcnt lgkmcnt(0)
	v_add_f32_e32 v1, v1, v28
	s_or_b32 exec_lo, exec_lo, s0
	s_and_saveexec_b32 s0, vcc_lo
	s_cbranch_execz .LBB48_93
.LBB48_150:
	v_lshl_add_u32 v28, v25, 2, v26
	ds_load_b32 v28, v28 offset:16
	s_waitcnt lgkmcnt(0)
	v_add_f32_e32 v2, v2, v28
	s_or_b32 exec_lo, exec_lo, s0
	s_and_saveexec_b32 s0, vcc_lo
	s_cbranch_execz .LBB48_94
.LBB48_151:
	v_lshl_add_u32 v28, v25, 2, v26
	ds_load_b32 v28, v28 offset:32
	s_waitcnt lgkmcnt(0)
	v_add_f32_e32 v3, v3, v28
	s_or_b32 exec_lo, exec_lo, s0
	s_and_saveexec_b32 s0, vcc_lo
	s_cbranch_execz .LBB48_95
.LBB48_152:
	v_lshl_add_u32 v28, v25, 2, v26
	ds_load_b32 v28, v28 offset:48
	s_waitcnt lgkmcnt(0)
	v_add_f32_e32 v4, v4, v28
	s_or_b32 exec_lo, exec_lo, s0
	s_and_saveexec_b32 s0, vcc_lo
	s_cbranch_execz .LBB48_96
.LBB48_153:
	v_lshl_add_u32 v28, v25, 2, v26
	ds_load_b32 v28, v28 offset:64
	s_waitcnt lgkmcnt(0)
	v_add_f32_e32 v5, v5, v28
	s_or_b32 exec_lo, exec_lo, s0
	s_and_saveexec_b32 s0, vcc_lo
	s_cbranch_execz .LBB48_97
.LBB48_154:
	v_lshl_add_u32 v28, v25, 2, v26
	ds_load_b32 v28, v28 offset:80
	s_waitcnt lgkmcnt(0)
	v_add_f32_e32 v6, v6, v28
	s_or_b32 exec_lo, exec_lo, s0
	s_and_saveexec_b32 s0, vcc_lo
	s_cbranch_execz .LBB48_98
.LBB48_155:
	v_lshl_add_u32 v28, v25, 2, v26
	ds_load_b32 v28, v28 offset:96
	s_waitcnt lgkmcnt(0)
	v_add_f32_e32 v7, v7, v28
	s_or_b32 exec_lo, exec_lo, s0
	s_and_saveexec_b32 s0, vcc_lo
	s_cbranch_execz .LBB48_99
.LBB48_156:
	v_lshl_add_u32 v28, v25, 2, v26
	ds_load_b32 v28, v28 offset:112
	s_waitcnt lgkmcnt(0)
	v_add_f32_e32 v8, v8, v28
	s_or_b32 exec_lo, exec_lo, s0
	s_and_saveexec_b32 s0, vcc_lo
	s_cbranch_execz .LBB48_100
.LBB48_157:
	v_lshl_add_u32 v28, v25, 2, v26
	ds_load_b32 v28, v28 offset:128
	s_waitcnt lgkmcnt(0)
	v_add_f32_e32 v9, v9, v28
	s_or_b32 exec_lo, exec_lo, s0
	s_and_saveexec_b32 s0, vcc_lo
	s_cbranch_execz .LBB48_101
.LBB48_158:
	v_lshl_add_u32 v28, v25, 2, v26
	ds_load_b32 v28, v28 offset:144
	s_waitcnt lgkmcnt(0)
	v_add_f32_e32 v10, v10, v28
	s_or_b32 exec_lo, exec_lo, s0
	s_and_saveexec_b32 s0, vcc_lo
	s_cbranch_execz .LBB48_102
.LBB48_159:
	v_lshl_add_u32 v28, v25, 2, v26
	ds_load_b32 v28, v28 offset:160
	s_waitcnt lgkmcnt(0)
	v_add_f32_e32 v11, v11, v28
	s_or_b32 exec_lo, exec_lo, s0
	s_and_saveexec_b32 s0, vcc_lo
	s_cbranch_execz .LBB48_103
.LBB48_160:
	v_lshl_add_u32 v28, v25, 2, v26
	ds_load_b32 v28, v28 offset:176
	s_waitcnt lgkmcnt(0)
	v_add_f32_e32 v12, v12, v28
	s_or_b32 exec_lo, exec_lo, s0
	s_and_saveexec_b32 s0, vcc_lo
	s_cbranch_execz .LBB48_104
.LBB48_161:
	v_lshl_add_u32 v28, v25, 2, v26
	ds_load_b32 v28, v28 offset:192
	s_waitcnt lgkmcnt(0)
	v_add_f32_e32 v13, v13, v28
	s_or_b32 exec_lo, exec_lo, s0
	s_and_saveexec_b32 s0, vcc_lo
	s_cbranch_execz .LBB48_105
.LBB48_162:
	v_lshl_add_u32 v28, v25, 2, v26
	ds_load_b32 v28, v28 offset:208
	s_waitcnt lgkmcnt(0)
	v_add_f32_e32 v14, v14, v28
	s_or_b32 exec_lo, exec_lo, s0
	s_and_saveexec_b32 s0, vcc_lo
	s_cbranch_execz .LBB48_106
.LBB48_163:
	v_lshl_add_u32 v28, v25, 2, v26
	ds_load_b32 v28, v28 offset:224
	s_waitcnt lgkmcnt(0)
	v_add_f32_e32 v15, v15, v28
	s_or_b32 exec_lo, exec_lo, s0
	s_and_saveexec_b32 s0, vcc_lo
	s_cbranch_execz .LBB48_107
.LBB48_164:
	v_lshl_add_u32 v28, v25, 2, v26
	ds_load_b32 v28, v28 offset:240
	s_waitcnt lgkmcnt(0)
	v_add_f32_e32 v16, v16, v28
	s_or_b32 exec_lo, exec_lo, s0
	s_and_saveexec_b32 s0, vcc_lo
	s_cbranch_execz .LBB48_108
.LBB48_165:
	v_lshl_add_u32 v28, v25, 2, v26
	ds_load_b32 v28, v28 offset:256
	s_waitcnt lgkmcnt(0)
	v_add_f32_e32 v17, v17, v28
	s_or_b32 exec_lo, exec_lo, s0
	s_and_saveexec_b32 s0, vcc_lo
	s_cbranch_execz .LBB48_109
.LBB48_166:
	v_lshl_add_u32 v28, v25, 2, v26
	ds_load_b32 v28, v28 offset:272
	s_waitcnt lgkmcnt(0)
	v_add_f32_e32 v18, v18, v28
	s_or_b32 exec_lo, exec_lo, s0
	s_and_saveexec_b32 s0, vcc_lo
	s_cbranch_execz .LBB48_110
.LBB48_167:
	v_lshl_add_u32 v28, v25, 2, v26
	ds_load_b32 v28, v28 offset:288
	s_waitcnt lgkmcnt(0)
	v_add_f32_e32 v19, v19, v28
	s_or_b32 exec_lo, exec_lo, s0
	s_and_saveexec_b32 s0, vcc_lo
	s_cbranch_execz .LBB48_111
.LBB48_168:
	v_lshl_add_u32 v28, v25, 2, v26
	ds_load_b32 v28, v28 offset:304
	s_waitcnt lgkmcnt(0)
	v_add_f32_e32 v20, v20, v28
	s_or_b32 exec_lo, exec_lo, s0
	s_and_saveexec_b32 s0, vcc_lo
	s_cbranch_execz .LBB48_112
.LBB48_169:
	v_lshl_add_u32 v28, v25, 2, v26
	ds_load_b32 v28, v28 offset:320
	s_waitcnt lgkmcnt(0)
	v_add_f32_e32 v21, v21, v28
	s_or_b32 exec_lo, exec_lo, s0
	s_and_saveexec_b32 s0, vcc_lo
	s_cbranch_execz .LBB48_113
.LBB48_170:
	v_lshl_add_u32 v28, v25, 2, v26
	ds_load_b32 v28, v28 offset:336
	s_waitcnt lgkmcnt(0)
	v_add_f32_e32 v22, v22, v28
	s_or_b32 exec_lo, exec_lo, s0
	s_and_saveexec_b32 s0, vcc_lo
	s_cbranch_execz .LBB48_114
.LBB48_171:
	v_lshl_add_u32 v28, v25, 2, v26
	ds_load_b32 v28, v28 offset:352
	s_waitcnt lgkmcnt(0)
	v_add_f32_e32 v23, v23, v28
	s_or_b32 exec_lo, exec_lo, s0
	s_and_saveexec_b32 s0, vcc_lo
	s_cbranch_execnz .LBB48_115
	s_branch .LBB48_116
.LBB48_172:
	ds_load_b32 v26, v25
	s_waitcnt lgkmcnt(0)
	v_add_f32_e32 v1, v1, v26
	s_or_b32 exec_lo, exec_lo, s0
	s_and_saveexec_b32 s0, vcc_lo
	s_cbranch_execz .LBB48_122
.LBB48_173:
	ds_load_b32 v26, v25 offset:16
	s_waitcnt lgkmcnt(0)
	v_add_f32_e32 v2, v2, v26
	s_or_b32 exec_lo, exec_lo, s0
	s_and_saveexec_b32 s0, vcc_lo
	s_cbranch_execz .LBB48_123
.LBB48_174:
	ds_load_b32 v26, v25 offset:32
	s_waitcnt lgkmcnt(0)
	v_add_f32_e32 v3, v3, v26
	s_or_b32 exec_lo, exec_lo, s0
	s_and_saveexec_b32 s0, vcc_lo
	s_cbranch_execz .LBB48_124
.LBB48_175:
	ds_load_b32 v26, v25 offset:48
	s_waitcnt lgkmcnt(0)
	v_add_f32_e32 v4, v4, v26
	s_or_b32 exec_lo, exec_lo, s0
	s_and_saveexec_b32 s0, vcc_lo
	s_cbranch_execz .LBB48_125
.LBB48_176:
	ds_load_b32 v26, v25 offset:64
	s_waitcnt lgkmcnt(0)
	v_add_f32_e32 v5, v5, v26
	s_or_b32 exec_lo, exec_lo, s0
	s_and_saveexec_b32 s0, vcc_lo
	s_cbranch_execz .LBB48_126
.LBB48_177:
	ds_load_b32 v26, v25 offset:80
	s_waitcnt lgkmcnt(0)
	v_add_f32_e32 v6, v6, v26
	s_or_b32 exec_lo, exec_lo, s0
	s_and_saveexec_b32 s0, vcc_lo
	s_cbranch_execz .LBB48_127
.LBB48_178:
	ds_load_b32 v26, v25 offset:96
	s_waitcnt lgkmcnt(0)
	v_add_f32_e32 v7, v7, v26
	s_or_b32 exec_lo, exec_lo, s0
	s_and_saveexec_b32 s0, vcc_lo
	s_cbranch_execz .LBB48_128
.LBB48_179:
	ds_load_b32 v26, v25 offset:112
	s_waitcnt lgkmcnt(0)
	v_add_f32_e32 v8, v8, v26
	s_or_b32 exec_lo, exec_lo, s0
	s_and_saveexec_b32 s0, vcc_lo
	s_cbranch_execz .LBB48_129
.LBB48_180:
	ds_load_b32 v26, v25 offset:128
	s_waitcnt lgkmcnt(0)
	v_add_f32_e32 v9, v9, v26
	s_or_b32 exec_lo, exec_lo, s0
	s_and_saveexec_b32 s0, vcc_lo
	s_cbranch_execz .LBB48_130
.LBB48_181:
	ds_load_b32 v26, v25 offset:144
	s_waitcnt lgkmcnt(0)
	v_add_f32_e32 v10, v10, v26
	s_or_b32 exec_lo, exec_lo, s0
	s_and_saveexec_b32 s0, vcc_lo
	s_cbranch_execz .LBB48_131
.LBB48_182:
	ds_load_b32 v26, v25 offset:160
	s_waitcnt lgkmcnt(0)
	v_add_f32_e32 v11, v11, v26
	s_or_b32 exec_lo, exec_lo, s0
	s_and_saveexec_b32 s0, vcc_lo
	s_cbranch_execz .LBB48_132
.LBB48_183:
	ds_load_b32 v26, v25 offset:176
	s_waitcnt lgkmcnt(0)
	v_add_f32_e32 v12, v12, v26
	s_or_b32 exec_lo, exec_lo, s0
	s_and_saveexec_b32 s0, vcc_lo
	s_cbranch_execz .LBB48_133
.LBB48_184:
	ds_load_b32 v26, v25 offset:192
	s_waitcnt lgkmcnt(0)
	v_add_f32_e32 v13, v13, v26
	s_or_b32 exec_lo, exec_lo, s0
	s_and_saveexec_b32 s0, vcc_lo
	s_cbranch_execz .LBB48_134
.LBB48_185:
	ds_load_b32 v26, v25 offset:208
	s_waitcnt lgkmcnt(0)
	v_add_f32_e32 v14, v14, v26
	s_or_b32 exec_lo, exec_lo, s0
	s_and_saveexec_b32 s0, vcc_lo
	s_cbranch_execz .LBB48_135
.LBB48_186:
	ds_load_b32 v26, v25 offset:224
	s_waitcnt lgkmcnt(0)
	v_add_f32_e32 v15, v15, v26
	s_or_b32 exec_lo, exec_lo, s0
	s_and_saveexec_b32 s0, vcc_lo
	s_cbranch_execz .LBB48_136
.LBB48_187:
	ds_load_b32 v26, v25 offset:240
	s_waitcnt lgkmcnt(0)
	v_add_f32_e32 v16, v16, v26
	s_or_b32 exec_lo, exec_lo, s0
	s_and_saveexec_b32 s0, vcc_lo
	s_cbranch_execz .LBB48_137
.LBB48_188:
	ds_load_b32 v26, v25 offset:256
	s_waitcnt lgkmcnt(0)
	v_add_f32_e32 v17, v17, v26
	s_or_b32 exec_lo, exec_lo, s0
	s_and_saveexec_b32 s0, vcc_lo
	s_cbranch_execz .LBB48_138
.LBB48_189:
	ds_load_b32 v26, v25 offset:272
	s_waitcnt lgkmcnt(0)
	v_add_f32_e32 v18, v18, v26
	s_or_b32 exec_lo, exec_lo, s0
	s_and_saveexec_b32 s0, vcc_lo
	s_cbranch_execz .LBB48_139
.LBB48_190:
	ds_load_b32 v26, v25 offset:288
	s_waitcnt lgkmcnt(0)
	v_add_f32_e32 v19, v19, v26
	s_or_b32 exec_lo, exec_lo, s0
	s_and_saveexec_b32 s0, vcc_lo
	s_cbranch_execz .LBB48_140
.LBB48_191:
	ds_load_b32 v26, v25 offset:304
	s_waitcnt lgkmcnt(0)
	v_add_f32_e32 v20, v20, v26
	s_or_b32 exec_lo, exec_lo, s0
	s_and_saveexec_b32 s0, vcc_lo
	s_cbranch_execz .LBB48_141
.LBB48_192:
	ds_load_b32 v26, v25 offset:320
	s_waitcnt lgkmcnt(0)
	v_add_f32_e32 v21, v21, v26
	s_or_b32 exec_lo, exec_lo, s0
	s_and_saveexec_b32 s0, vcc_lo
	s_cbranch_execz .LBB48_142
.LBB48_193:
	ds_load_b32 v26, v25 offset:336
	s_waitcnt lgkmcnt(0)
	v_add_f32_e32 v22, v22, v26
	s_or_b32 exec_lo, exec_lo, s0
	s_and_saveexec_b32 s0, vcc_lo
	s_cbranch_execz .LBB48_143
.LBB48_194:
	ds_load_b32 v26, v25 offset:352
	s_waitcnt lgkmcnt(0)
	v_add_f32_e32 v23, v23, v26
	s_or_b32 exec_lo, exec_lo, s0
	s_and_saveexec_b32 s0, vcc_lo
	s_cbranch_execnz .LBB48_144
	s_branch .LBB48_145
	.section	.rodata,"a",@progbits
	.p2align	6, 0x0
	.amdhsa_kernel _ZN4vllm25paged_attention_v2_kernelIffLi96ELi32ELi128ELNS_18Fp8KVCacheDataTypeE0ELb1ELi512EEEvPfS2_PT_PKS3_PKT0_S9_ifPKiSB_iPKfiiiSD_SD_iiiii
		.amdhsa_group_segment_fixed_size 416
		.amdhsa_private_segment_fixed_size 0
		.amdhsa_kernarg_size 400
		.amdhsa_user_sgpr_count 13
		.amdhsa_user_sgpr_dispatch_ptr 0
		.amdhsa_user_sgpr_queue_ptr 0
		.amdhsa_user_sgpr_kernarg_segment_ptr 1
		.amdhsa_user_sgpr_dispatch_id 0
		.amdhsa_user_sgpr_private_segment_size 0
		.amdhsa_wavefront_size32 1
		.amdhsa_uses_dynamic_stack 0
		.amdhsa_enable_private_segment 0
		.amdhsa_system_sgpr_workgroup_id_x 1
		.amdhsa_system_sgpr_workgroup_id_y 1
		.amdhsa_system_sgpr_workgroup_id_z 1
		.amdhsa_system_sgpr_workgroup_info 0
		.amdhsa_system_vgpr_workitem_id 0
		.amdhsa_next_free_vgpr 172
		.amdhsa_next_free_sgpr 46
		.amdhsa_reserve_vcc 1
		.amdhsa_float_round_mode_32 0
		.amdhsa_float_round_mode_16_64 0
		.amdhsa_float_denorm_mode_32 3
		.amdhsa_float_denorm_mode_16_64 3
		.amdhsa_dx10_clamp 1
		.amdhsa_ieee_mode 1
		.amdhsa_fp16_overflow 0
		.amdhsa_workgroup_processor_mode 1
		.amdhsa_memory_ordered 1
		.amdhsa_forward_progress 0
		.amdhsa_shared_vgpr_count 0
		.amdhsa_exception_fp_ieee_invalid_op 0
		.amdhsa_exception_fp_denorm_src 0
		.amdhsa_exception_fp_ieee_div_zero 0
		.amdhsa_exception_fp_ieee_overflow 0
		.amdhsa_exception_fp_ieee_underflow 0
		.amdhsa_exception_fp_ieee_inexact 0
		.amdhsa_exception_int_div_zero 0
	.end_amdhsa_kernel
	.section	.text._ZN4vllm25paged_attention_v2_kernelIffLi96ELi32ELi128ELNS_18Fp8KVCacheDataTypeE0ELb1ELi512EEEvPfS2_PT_PKS3_PKT0_S9_ifPKiSB_iPKfiiiSD_SD_iiiii,"axG",@progbits,_ZN4vllm25paged_attention_v2_kernelIffLi96ELi32ELi128ELNS_18Fp8KVCacheDataTypeE0ELb1ELi512EEEvPfS2_PT_PKS3_PKT0_S9_ifPKiSB_iPKfiiiSD_SD_iiiii,comdat
.Lfunc_end48:
	.size	_ZN4vllm25paged_attention_v2_kernelIffLi96ELi32ELi128ELNS_18Fp8KVCacheDataTypeE0ELb1ELi512EEEvPfS2_PT_PKS3_PKT0_S9_ifPKiSB_iPKfiiiSD_SD_iiiii, .Lfunc_end48-_ZN4vllm25paged_attention_v2_kernelIffLi96ELi32ELi128ELNS_18Fp8KVCacheDataTypeE0ELb1ELi512EEEvPfS2_PT_PKS3_PKT0_S9_ifPKiSB_iPKfiiiSD_SD_iiiii
                                        ; -- End function
	.section	.AMDGPU.csdata,"",@progbits
; Kernel info:
; codeLenInByte = 11744
; NumSgprs: 48
; NumVgprs: 172
; ScratchSize: 0
; MemoryBound: 0
; FloatMode: 240
; IeeeMode: 1
; LDSByteSize: 416 bytes/workgroup (compile time only)
; SGPRBlocks: 5
; VGPRBlocks: 21
; NumSGPRsForWavesPerEU: 48
; NumVGPRsForWavesPerEU: 172
; Occupancy: 8
; WaveLimiterHint : 1
; COMPUTE_PGM_RSRC2:SCRATCH_EN: 0
; COMPUTE_PGM_RSRC2:USER_SGPR: 13
; COMPUTE_PGM_RSRC2:TRAP_HANDLER: 0
; COMPUTE_PGM_RSRC2:TGID_X_EN: 1
; COMPUTE_PGM_RSRC2:TGID_Y_EN: 1
; COMPUTE_PGM_RSRC2:TGID_Z_EN: 1
; COMPUTE_PGM_RSRC2:TIDIG_COMP_CNT: 0
	.section	.text._ZN4vllm25paged_attention_v2_kernelIffLi112ELi32ELi128ELNS_18Fp8KVCacheDataTypeE0ELb1ELi512EEEvPfS2_PT_PKS3_PKT0_S9_ifPKiSB_iPKfiiiSD_SD_iiiii,"axG",@progbits,_ZN4vllm25paged_attention_v2_kernelIffLi112ELi32ELi128ELNS_18Fp8KVCacheDataTypeE0ELb1ELi512EEEvPfS2_PT_PKS3_PKT0_S9_ifPKiSB_iPKfiiiSD_SD_iiiii,comdat
	.protected	_ZN4vllm25paged_attention_v2_kernelIffLi112ELi32ELi128ELNS_18Fp8KVCacheDataTypeE0ELb1ELi512EEEvPfS2_PT_PKS3_PKT0_S9_ifPKiSB_iPKfiiiSD_SD_iiiii ; -- Begin function _ZN4vllm25paged_attention_v2_kernelIffLi112ELi32ELi128ELNS_18Fp8KVCacheDataTypeE0ELb1ELi512EEEvPfS2_PT_PKS3_PKT0_S9_ifPKiSB_iPKfiiiSD_SD_iiiii
	.globl	_ZN4vllm25paged_attention_v2_kernelIffLi112ELi32ELi128ELNS_18Fp8KVCacheDataTypeE0ELb1ELi512EEEvPfS2_PT_PKS3_PKT0_S9_ifPKiSB_iPKfiiiSD_SD_iiiii
	.p2align	8
	.type	_ZN4vllm25paged_attention_v2_kernelIffLi112ELi32ELi128ELNS_18Fp8KVCacheDataTypeE0ELb1ELi512EEEvPfS2_PT_PKS3_PKT0_S9_ifPKiSB_iPKfiiiSD_SD_iiiii,@function
_ZN4vllm25paged_attention_v2_kernelIffLi112ELi32ELi128ELNS_18Fp8KVCacheDataTypeE0ELb1ELi512EEEvPfS2_PT_PKS3_PKT0_S9_ifPKiSB_iPKfiiiSD_SD_iiiii: ; @_ZN4vllm25paged_attention_v2_kernelIffLi112ELi32ELi128ELNS_18Fp8KVCacheDataTypeE0ELb1ELi512EEEvPfS2_PT_PKS3_PKT0_S9_ifPKiSB_iPKfiiiSD_SD_iiiii
; %bb.0:
	s_load_b64 s[2:3], s[0:1], 0x40
	s_mov_b32 s12, s15
	s_ashr_i32 s15, s14, 31
	s_delay_alu instid0(SALU_CYCLE_1)
	s_lshl_b64 s[4:5], s[14:15], 2
	s_waitcnt lgkmcnt(0)
	s_add_u32 s2, s2, s4
	s_addc_u32 s3, s3, s5
	s_lshl_b32 s37, s12, 9
	s_load_b32 s15, s[2:3], 0x0
	s_waitcnt lgkmcnt(0)
	s_cmp_ge_i32 s37, s15
	s_cbranch_scc1 .LBB49_164
; %bb.1:
	s_mov_b32 s24, s13
	s_clause 0x1
	s_load_b32 s13, s[0:1], 0x90
	s_load_b64 s[2:3], s[0:1], 0x30
	s_mov_b32 s39, 0
	s_waitcnt lgkmcnt(0)
	s_abs_i32 s7, s13
	s_abs_i32 s4, s2
	s_delay_alu instid0(SALU_CYCLE_1) | instskip(SKIP_1) | instid1(VALU_DEP_1)
	v_cvt_f32_u32_e32 v1, s4
	s_sub_i32 s6, 0, s4
	v_rcp_iflag_f32_e32 v1, v1
	s_waitcnt_depctr 0xfff
	v_mul_f32_e32 v1, 0x4f7ffffe, v1
	s_delay_alu instid0(VALU_DEP_1) | instskip(NEXT) | instid1(VALU_DEP_1)
	v_cvt_u32_f32_e32 v1, v1
	v_readfirstlane_b32 s5, v1
	s_delay_alu instid0(VALU_DEP_1) | instskip(NEXT) | instid1(SALU_CYCLE_1)
	s_mul_i32 s6, s6, s5
	s_mul_hi_u32 s6, s5, s6
	s_delay_alu instid0(SALU_CYCLE_1) | instskip(SKIP_4) | instid1(SALU_CYCLE_1)
	s_add_i32 s5, s5, s6
	s_xor_b32 s6, s13, s2
	s_mul_hi_u32 s5, s7, s5
	s_ashr_i32 s6, s6, 31
	s_mul_i32 s8, s5, s4
	s_sub_i32 s7, s7, s8
	s_add_i32 s8, s5, 1
	s_sub_i32 s9, s7, s4
	s_cmp_ge_u32 s7, s4
	s_cselect_b32 s5, s8, s5
	s_cselect_b32 s7, s9, s7
	s_add_i32 s8, s5, 1
	s_cmp_ge_u32 s7, s4
	s_cselect_b32 s4, s8, s5
	s_abs_i32 s17, s24
	s_xor_b32 s4, s4, s6
	s_delay_alu instid0(SALU_CYCLE_1) | instskip(SKIP_2) | instid1(SALU_CYCLE_1)
	s_sub_i32 s8, s4, s6
	s_load_b64 s[4:5], s[0:1], 0x50
	s_abs_i32 s16, s8
	v_cvt_f32_u32_e32 v1, s16
	s_sub_i32 s7, 0, s16
	s_delay_alu instid0(VALU_DEP_1) | instskip(SKIP_2) | instid1(VALU_DEP_1)
	v_rcp_iflag_f32_e32 v1, v1
	s_waitcnt_depctr 0xfff
	v_mul_f32_e32 v1, 0x4f7ffffe, v1
	v_cvt_u32_f32_e32 v1, v1
	s_delay_alu instid0(VALU_DEP_1) | instskip(NEXT) | instid1(VALU_DEP_1)
	v_readfirstlane_b32 s6, v1
	s_mul_i32 s7, s7, s6
	s_delay_alu instid0(SALU_CYCLE_1) | instskip(NEXT) | instid1(SALU_CYCLE_1)
	s_mul_hi_u32 s7, s6, s7
	s_add_i32 s6, s6, s7
	s_waitcnt lgkmcnt(0)
	s_cmp_eq_u64 s[4:5], 0
	s_mul_hi_u32 s18, s17, s6
	s_cbranch_scc1 .LBB49_3
; %bb.2:
	s_ashr_i32 s25, s24, 31
	s_delay_alu instid0(SALU_CYCLE_1) | instskip(NEXT) | instid1(SALU_CYCLE_1)
	s_lshl_b64 s[6:7], s[24:25], 2
	s_add_u32 s4, s4, s6
	s_addc_u32 s5, s5, s7
	s_load_b32 s39, s[4:5], 0x0
.LBB49_3:
	s_load_b128 s[4:7], s[0:1], 0x58
	s_waitcnt lgkmcnt(0)
	s_ashr_i32 s7, s24, 31
	s_ashr_i32 s19, s8, 31
	s_mul_i32 s20, s24, 0x70
	s_mov_b32 s8, exec_lo
	v_cmpx_gt_u32_e32 28, v0
	s_cbranch_execz .LBB49_5
; %bb.4:
	s_load_b64 s[10:11], s[0:1], 0x18
	s_mul_i32 s22, s14, s4
	v_lshlrev_b32_e32 v5, 4, v0
	s_ashr_i32 s23, s22, 31
	s_delay_alu instid0(SALU_CYCLE_1) | instskip(SKIP_4) | instid1(SALU_CYCLE_1)
	s_lshl_b64 s[22:23], s[22:23], 2
	s_waitcnt lgkmcnt(0)
	s_add_u32 s4, s10, s22
	s_addc_u32 s9, s11, s23
	s_ashr_i32 s21, s20, 31
	s_lshl_b64 s[10:11], s[20:21], 2
	s_delay_alu instid0(SALU_CYCLE_1)
	s_add_u32 s10, s4, s10
	s_addc_u32 s11, s9, s11
	global_load_b128 v[1:4], v5, s[10:11]
	s_waitcnt vmcnt(0)
	ds_store_b128 v5, v[1:4]
.LBB49_5:
	s_or_b32 exec_lo, exec_lo, s8
	s_load_b128 s[8:11], s[0:1], 0x78
	s_mul_i32 s4, s18, s16
	s_xor_b32 s7, s7, s19
	s_sub_i32 s4, s17, s4
	s_add_i32 s17, s18, 1
	s_sub_i32 s19, s4, s16
	s_cmp_ge_u32 s4, s16
	s_waitcnt lgkmcnt(0)
	s_cselect_b32 s17, s17, s18
	s_cselect_b32 s4, s19, s4
	s_add_i32 s18, s17, 1
	s_cmp_ge_u32 s4, s16
	s_load_b32 s4, s[0:1], 0x88
	s_cselect_b32 s16, s18, s17
	s_mov_b32 s17, -1
	s_xor_b32 s16, s16, s7
	s_waitcnt lgkmcnt(0)
	s_barrier
	s_sub_i32 s34, s16, s7
	s_add_i32 s16, s15, -1
	buffer_gl0_inv
	s_abs_i32 s21, s11
	s_abs_i32 s28, s16
	v_cvt_f32_u32_e32 v1, s21
	s_sub_i32 s7, 0, s21
                                        ; implicit-def: $sgpr33
	s_delay_alu instid0(VALU_DEP_1) | instskip(SKIP_2) | instid1(VALU_DEP_1)
	v_rcp_iflag_f32_e32 v1, v1
	s_waitcnt_depctr 0xfff
	v_mul_f32_e32 v1, 0x4f7ffffe, v1
	v_cvt_u32_f32_e32 v1, v1
	s_delay_alu instid0(VALU_DEP_1) | instskip(NEXT) | instid1(VALU_DEP_1)
	v_readfirstlane_b32 s25, v1
	s_mul_i32 s7, s7, s25
	s_delay_alu instid0(SALU_CYCLE_1) | instskip(NEXT) | instid1(SALU_CYCLE_1)
	s_mul_hi_u32 s7, s25, s7
	s_add_i32 s25, s25, s7
	s_cmp_lt_i32 s4, 0
	s_mul_hi_u32 s7, s28, s25
	s_cbranch_scc0 .LBB49_7
; %bb.6:
	s_mul_i32 s2, s8, s2
	s_mov_b32 s17, 0
	s_add_i32 s2, s34, s2
	s_delay_alu instid0(SALU_CYCLE_1) | instskip(NEXT) | instid1(SALU_CYCLE_1)
	s_mul_i32 s2, s2, s4
	s_sub_i32 s33, 1, s2
.LBB49_7:
	s_load_b64 s[26:27], s[0:1], 0x38
	s_ashr_i32 s2, s16, 31
	s_and_not1_b32 vcc_lo, exec_lo, s17
	s_ashr_i32 s11, s11, 31
	s_cbranch_vccnz .LBB49_9
; %bb.8:
	s_mul_i32 s8, s13, s8
	s_delay_alu instid0(SALU_CYCLE_1) | instskip(NEXT) | instid1(SALU_CYCLE_1)
	s_add_i32 s8, s8, s24
	s_mul_i32 s4, s8, s4
	s_delay_alu instid0(SALU_CYCLE_1)
	s_add_i32 s33, s4, 1
.LBB49_9:
	s_clause 0x4
	s_load_b32 s8, s[0:1], 0x48
	s_load_b64 s[30:31], s[0:1], 0x28
	s_load_b32 s4, s[0:1], 0x98
	s_load_b128 s[16:19], s[0:1], 0x0
	s_load_b64 s[22:23], s[0:1], 0x10
	s_xor_b32 s35, s2, s11
	s_mul_i32 s2, s7, s21
	s_add_i32 s36, s7, 1
	s_sub_i32 s2, s28, s2
	v_lshrrev_b32_e32 v120, 5, v0
	v_dual_mov_b32 v116, 0xff7fffff :: v_dual_and_b32 v121, 31, v0
	s_mul_i32 s34, s34, s6
	s_delay_alu instid0(VALU_DEP_2) | instskip(NEXT) | instid1(VALU_DEP_2)
	v_lshl_add_u32 v122, v120, 5, s37
	v_lshlrev_b32_e32 v115, 2, v121
	s_waitcnt lgkmcnt(0)
	s_mul_i32 s28, s14, s8
	s_sub_i32 s8, s2, s21
	s_ashr_i32 s29, s28, 31
	s_cmp_ge_u32 s2, s21
	s_cselect_b32 s7, s36, s7
	s_cselect_b32 s2, s8, s2
	s_add_i32 s8, s7, 1
	s_cmp_ge_u32 s2, s21
	s_cselect_b32 s2, s8, s7
	s_add_i32 s8, s15, 31
	s_lshl_b32 s7, s12, 4
	s_ashr_i32 s36, s8, 31
	v_add_nc_u32_e32 v117, s7, v120
	s_lshr_b32 s36, s36, 27
	s_add_i32 s38, s7, 16
	s_add_i32 s8, s8, s36
	s_xor_b32 s40, s2, s35
	s_ashr_i32 s36, s8, 5
	v_ashrrev_i32_e32 v118, 31, v117
	s_min_i32 s8, s38, s36
	s_sub_i32 s38, s40, s35
	v_cmp_gt_i32_e64 s2, s8, v117
	s_delay_alu instid0(VALU_DEP_1)
	s_and_saveexec_b32 s6, s2
	s_cbranch_execz .LBB49_17
; %bb.10:
	s_load_b64 s[0:1], s[0:1], 0x20
	s_ashr_i32 s35, s34, 31
	s_sub_i32 s40, s38, s9
	s_lshl_b64 s[42:43], s[34:35], 2
	v_dual_mov_b32 v109, 0 :: v_dual_mov_b32 v124, v117
	ds_load_b128 v[1:4], v109
	ds_load_b128 v[5:8], v109 offset:16
	ds_load_b128 v[9:12], v109 offset:32
	;; [unrolled: 1-line block ×5, first 2 shown]
	v_lshlrev_b64 v[113:114], 2, v[117:118]
	v_dual_mov_b32 v116, 0xff7fffff :: v_dual_lshlrev_b32 v127, 4, v121
	v_subrev_nc_u32_e32 v125, s15, v121
	v_lshl_or_b32 v126, v120, 7, v115
	v_cmp_neq_f32_e64 vcc_lo, s39, 0
	v_lshl_add_u32 v119, v120, 5, s37
	v_mov_b32_e32 v123, 0xff7fffff
	v_add_nc_u32_e32 v125, 1, v125
	s_waitcnt lgkmcnt(0)
	s_add_u32 s41, s0, s42
	s_addc_u32 s42, s1, s43
	s_abs_i32 s35, s10
	v_add_co_u32 v127, s41, s41, v127
	v_cvt_f32_u32_e32 v25, s35
	s_sub_i32 s0, 0, s35
	v_add_nc_u32_e32 v126, 0x1e0, v126
	s_delay_alu instid0(VALU_DEP_2)
	v_rcp_iflag_f32_e32 v65, v25
	ds_load_b128 v[25:28], v109 offset:96
	ds_load_b128 v[29:32], v109 offset:112
	;; [unrolled: 1-line block ×10, first 2 shown]
	v_mul_f32_e32 v81, 0x4f7ffffe, v65
	ds_load_b128 v[65:68], v109 offset:256
	ds_load_b128 v[69:72], v109 offset:272
	;; [unrolled: 1-line block ×4, first 2 shown]
	v_cvt_u32_f32_e32 v129, v81
	ds_load_b128 v[81:84], v109 offset:320
	ds_load_b128 v[85:88], v109 offset:336
	;; [unrolled: 1-line block ×8, first 2 shown]
	v_mul_lo_u32 v128, s0, v129
	s_lshl_b64 s[0:1], s[28:29], 2
	s_delay_alu instid0(SALU_CYCLE_1) | instskip(SKIP_2) | instid1(VALU_DEP_1)
	s_add_u32 s0, s26, s0
	s_addc_u32 s1, s27, s1
	v_add_co_u32 v113, s0, s0, v113
	v_add_co_ci_u32_e64 v114, s0, s1, v114, s0
	s_delay_alu instid0(VALU_DEP_3) | instskip(SKIP_3) | instid1(VALU_DEP_2)
	v_mul_hi_u32 v130, v129, v128
	v_add_co_ci_u32_e64 v128, null, s42, 0, s41
	s_mov_b32 s42, s5
	s_mov_b32 s41, 0
	v_add_nc_u32_e32 v129, v129, v130
	s_branch .LBB49_12
.LBB49_11:                              ;   in Loop: Header=BB49_12 Depth=1
	s_or_b32 exec_lo, exec_lo, s1
	v_add_nc_u32_e32 v124, 4, v124
	v_add_co_u32 v113, s1, v113, 16
	s_delay_alu instid0(VALU_DEP_1) | instskip(NEXT) | instid1(VALU_DEP_3)
	v_add_co_ci_u32_e64 v114, s1, 0, v114, s1
	v_cmp_le_i32_e64 s0, s8, v124
	v_add_nc_u32_e32 v119, 0x80, v119
	v_add_nc_u32_e32 v126, 0x200, v126
	s_delay_alu instid0(VALU_DEP_3) | instskip(NEXT) | instid1(SALU_CYCLE_1)
	s_or_b32 s41, s0, s41
	s_and_not1_b32 exec_lo, exec_lo, s41
	s_cbranch_execz .LBB49_16
.LBB49_12:                              ; =>This Inner Loop Header: Depth=1
	v_sub_nc_u32_e32 v130, 0, v119
	s_delay_alu instid0(VALU_DEP_1) | instskip(NEXT) | instid1(VALU_DEP_1)
	v_max_i32_e32 v130, v119, v130
	v_mul_hi_u32 v131, v130, s25
	s_delay_alu instid0(VALU_DEP_1) | instskip(NEXT) | instid1(VALU_DEP_1)
	v_mul_lo_u32 v132, v131, s21
	v_sub_nc_u32_e32 v130, v130, v132
	v_add_nc_u32_e32 v132, 1, v131
	s_delay_alu instid0(VALU_DEP_2) | instskip(SKIP_1) | instid1(VALU_DEP_1)
	v_subrev_nc_u32_e32 v133, s21, v130
	v_cmp_le_u32_e64 s0, s21, v130
	v_cndmask_b32_e64 v131, v131, v132, s0
	s_delay_alu instid0(VALU_DEP_3) | instskip(SKIP_1) | instid1(VALU_DEP_3)
	v_cndmask_b32_e64 v130, v130, v133, s0
	v_ashrrev_i32_e32 v132, 31, v119
	v_add_nc_u32_e32 v133, 1, v131
	s_delay_alu instid0(VALU_DEP_3) | instskip(NEXT) | instid1(VALU_DEP_3)
	v_cmp_le_u32_e64 s0, s21, v130
	v_xor_b32_e32 v132, s11, v132
	s_delay_alu instid0(VALU_DEP_2) | instskip(NEXT) | instid1(VALU_DEP_1)
	v_cndmask_b32_e64 v130, v131, v133, s0
	v_xor_b32_e32 v130, v130, v132
	s_delay_alu instid0(VALU_DEP_1) | instskip(NEXT) | instid1(VALU_DEP_1)
	v_sub_nc_u32_e32 v130, v130, v132
	v_add_nc_u32_e32 v131, s33, v130
	v_cmp_ge_i32_e64 s1, s40, v130
	s_delay_alu instid0(VALU_DEP_2) | instskip(NEXT) | instid1(VALU_DEP_1)
	v_sub_nc_u32_e32 v132, 0, v131
	v_max_i32_e32 v132, v131, v132
	v_ashrrev_i32_e32 v131, 31, v131
	s_delay_alu instid0(VALU_DEP_2) | instskip(NEXT) | instid1(VALU_DEP_1)
	v_mul_hi_u32 v133, v132, v129
	v_mul_lo_u32 v133, v133, s35
	s_delay_alu instid0(VALU_DEP_1) | instskip(NEXT) | instid1(VALU_DEP_1)
	v_sub_nc_u32_e32 v132, v132, v133
	v_subrev_nc_u32_e32 v133, s35, v132
	v_cmp_le_u32_e64 s0, s35, v132
	s_delay_alu instid0(VALU_DEP_1) | instskip(NEXT) | instid1(VALU_DEP_1)
	v_cndmask_b32_e64 v132, v132, v133, s0
	v_subrev_nc_u32_e32 v133, s35, v132
	v_cmp_le_u32_e64 s0, s35, v132
	s_delay_alu instid0(VALU_DEP_1) | instskip(NEXT) | instid1(VALU_DEP_1)
	v_cndmask_b32_e64 v132, v132, v133, s0
	v_xor_b32_e32 v132, v132, v131
	s_delay_alu instid0(VALU_DEP_1) | instskip(NEXT) | instid1(VALU_DEP_1)
	v_sub_nc_u32_e32 v131, v132, v131
	v_cmp_ne_u32_e64 s0, 0, v131
	s_delay_alu instid0(VALU_DEP_1) | instskip(NEXT) | instid1(SALU_CYCLE_1)
	s_and_b32 s0, s0, s1
	s_and_saveexec_b32 s1, s0
	s_delay_alu instid0(SALU_CYCLE_1)
	s_xor_b32 s0, exec_lo, s1
	s_cbranch_execz .LBB49_14
; %bb.13:                               ;   in Loop: Header=BB49_12 Depth=1
	ds_store_b32 v126, v123
.LBB49_14:                              ;   in Loop: Header=BB49_12 Depth=1
	s_and_not1_saveexec_b32 s1, s0
	s_cbranch_execz .LBB49_11
; %bb.15:                               ;   in Loop: Header=BB49_12 Depth=1
	global_load_b32 v132, v[113:114], off
	s_waitcnt vmcnt(0)
	v_mad_i64_i32 v[130:131], null, v132, s42, 0
	s_delay_alu instid0(VALU_DEP_1) | instskip(NEXT) | instid1(VALU_DEP_1)
	v_lshlrev_b64 v[130:131], 2, v[130:131]
	v_add_co_u32 v148, s0, v127, v130
	s_delay_alu instid0(VALU_DEP_1)
	v_add_co_ci_u32_e64 v149, s0, v128, v131, s0
	s_clause 0x3
	global_load_b128 v[132:135], v[148:149], off offset:512
	global_load_b128 v[136:139], v[148:149], off
	global_load_b128 v[140:143], v[148:149], off offset:1024
	global_load_b128 v[144:147], v[148:149], off offset:1536
	s_waitcnt vmcnt(3)
	v_dual_mul_f32 v132, v5, v132 :: v_dual_mul_f32 v133, v6, v133
	v_dual_mul_f32 v131, v7, v134 :: v_dual_mul_f32 v130, v8, v135
	s_waitcnt vmcnt(2)
	s_delay_alu instid0(VALU_DEP_2)
	v_dual_fmac_f32 v132, v1, v136 :: v_dual_fmac_f32 v133, v2, v137
	global_load_b128 v[134:137], v[148:149], off offset:2048
	v_dual_fmac_f32 v131, v3, v138 :: v_dual_fmac_f32 v130, v4, v139
	s_waitcnt vmcnt(2)
	v_dual_fmac_f32 v132, v9, v140 :: v_dual_fmac_f32 v133, v10, v141
	global_load_b128 v[138:141], v[148:149], off offset:2560
	v_dual_fmac_f32 v131, v11, v142 :: v_dual_fmac_f32 v130, v12, v143
	s_waitcnt vmcnt(2)
	v_dual_fmac_f32 v132, v13, v144 :: v_dual_fmac_f32 v133, v14, v145
	global_load_b128 v[142:145], v[148:149], off offset:3072
	v_dual_fmac_f32 v131, v15, v146 :: v_dual_fmac_f32 v130, v16, v147
	v_add_co_u32 v146, s0, v148, 0x2000
	s_delay_alu instid0(VALU_DEP_1) | instskip(SKIP_1) | instid1(VALU_DEP_1)
	v_add_co_ci_u32_e64 v147, s0, 0, v149, s0
	v_add_co_u32 v150, s0, 0x1000, v148
	v_add_co_ci_u32_e64 v151, s0, 0, v149, s0
	s_waitcnt vmcnt(2)
	v_dual_fmac_f32 v132, v17, v134 :: v_dual_fmac_f32 v133, v18, v135
	v_dual_fmac_f32 v131, v19, v136 :: v_dual_fmac_f32 v130, v20, v137
	global_load_b128 v[134:137], v[148:149], off offset:3584
	s_waitcnt vmcnt(2)
	v_dual_fmac_f32 v132, v21, v138 :: v_dual_fmac_f32 v133, v22, v139
	v_dual_fmac_f32 v131, v23, v140 :: v_dual_fmac_f32 v130, v24, v141
	global_load_b128 v[138:141], v[146:147], off offset:-4096
	s_waitcnt vmcnt(2) lgkmcnt(21)
	v_dual_fmac_f32 v132, v25, v142 :: v_dual_fmac_f32 v133, v26, v143
	v_dual_fmac_f32 v131, v27, v144 :: v_dual_fmac_f32 v130, v28, v145
	s_waitcnt vmcnt(1) lgkmcnt(20)
	s_delay_alu instid0(VALU_DEP_2) | instskip(NEXT) | instid1(VALU_DEP_2)
	v_dual_fmac_f32 v132, v29, v134 :: v_dual_fmac_f32 v133, v30, v135
	v_dual_fmac_f32 v131, v31, v136 :: v_dual_fmac_f32 v130, v32, v137
	global_load_b128 v[134:137], v[146:147], off
	s_waitcnt vmcnt(1) lgkmcnt(19)
	v_dual_fmac_f32 v132, v33, v138 :: v_dual_fmac_f32 v133, v34, v139
	v_dual_fmac_f32 v131, v35, v140 :: v_dual_fmac_f32 v130, v36, v141
	s_clause 0x1
	global_load_b128 v[138:141], v[150:151], off offset:512
	global_load_b128 v[142:145], v[150:151], off offset:1024
	v_add_co_u32 v146, s0, 0x2000, v148
	s_delay_alu instid0(VALU_DEP_1) | instskip(SKIP_1) | instid1(VALU_DEP_1)
	v_add_co_ci_u32_e64 v147, s0, 0, v149, s0
	v_add_co_u32 v148, s0, 0x3000, v148
	v_add_co_ci_u32_e64 v149, s0, 0, v149, s0
	s_waitcnt vmcnt(1) lgkmcnt(18)
	v_dual_fmac_f32 v132, v37, v138 :: v_dual_fmac_f32 v133, v38, v139
	v_dual_fmac_f32 v131, v39, v140 :: v_dual_fmac_f32 v130, v40, v141
	s_waitcnt vmcnt(0) lgkmcnt(17)
	s_delay_alu instid0(VALU_DEP_2) | instskip(NEXT) | instid1(VALU_DEP_2)
	v_dual_fmac_f32 v132, v41, v142 :: v_dual_fmac_f32 v133, v42, v143
	v_dual_fmac_f32 v131, v43, v144 :: v_dual_fmac_f32 v130, v44, v145
	s_clause 0x1
	global_load_b128 v[138:141], v[150:151], off offset:1536
	global_load_b128 v[142:145], v[150:151], off offset:2048
	s_waitcnt vmcnt(1) lgkmcnt(16)
	v_dual_fmac_f32 v132, v45, v138 :: v_dual_fmac_f32 v133, v46, v139
	v_dual_fmac_f32 v131, v47, v140 :: v_dual_fmac_f32 v130, v48, v141
	s_waitcnt vmcnt(0) lgkmcnt(15)
	s_delay_alu instid0(VALU_DEP_2) | instskip(NEXT) | instid1(VALU_DEP_2)
	v_dual_fmac_f32 v132, v49, v142 :: v_dual_fmac_f32 v133, v50, v143
	v_dual_fmac_f32 v131, v51, v144 :: v_dual_fmac_f32 v130, v52, v145
	s_clause 0x1
	global_load_b128 v[138:141], v[150:151], off offset:2560
	global_load_b128 v[142:145], v[150:151], off offset:3072
	s_waitcnt vmcnt(1) lgkmcnt(14)
	v_dual_fmac_f32 v132, v53, v138 :: v_dual_fmac_f32 v133, v54, v139
	v_dual_fmac_f32 v131, v55, v140 :: v_dual_fmac_f32 v130, v56, v141
	global_load_b128 v[138:141], v[150:151], off offset:3584
	s_waitcnt vmcnt(1) lgkmcnt(13)
	v_dual_fmac_f32 v132, v57, v142 :: v_dual_fmac_f32 v133, v58, v143
	v_dual_fmac_f32 v131, v59, v144 :: v_dual_fmac_f32 v130, v60, v145
	;; [unrolled: 4-line block ×3, first 2 shown]
	global_load_b128 v[138:141], v[146:147], off offset:1536
	s_waitcnt lgkmcnt(11)
	v_dual_fmac_f32 v132, v65, v134 :: v_dual_fmac_f32 v133, v66, v135
	v_dual_fmac_f32 v131, v67, v136 :: v_dual_fmac_f32 v130, v68, v137
	global_load_b128 v[134:137], v[146:147], off offset:1024
	s_waitcnt vmcnt(2) lgkmcnt(10)
	v_dual_fmac_f32 v132, v69, v142 :: v_dual_fmac_f32 v133, v70, v143
	v_dual_fmac_f32 v131, v71, v144 :: v_dual_fmac_f32 v130, v72, v145
	global_load_b128 v[142:145], v[146:147], off offset:3584
	s_waitcnt vmcnt(1) lgkmcnt(9)
	v_dual_fmac_f32 v132, v73, v134 :: v_dual_fmac_f32 v133, v74, v135
	v_dual_fmac_f32 v131, v75, v136 :: v_dual_fmac_f32 v130, v76, v137
	global_load_b128 v[134:137], v[146:147], off offset:2048
	s_waitcnt lgkmcnt(8)
	v_dual_fmac_f32 v132, v77, v138 :: v_dual_fmac_f32 v133, v78, v139
	v_dual_fmac_f32 v131, v79, v140 :: v_dual_fmac_f32 v130, v80, v141
	global_load_b128 v[138:141], v[146:147], off offset:2560
	s_waitcnt vmcnt(1) lgkmcnt(7)
	v_dual_fmac_f32 v132, v81, v134 :: v_dual_fmac_f32 v133, v82, v135
	v_dual_fmac_f32 v131, v83, v136 :: v_dual_fmac_f32 v130, v84, v137
	global_load_b128 v[134:137], v[146:147], off offset:3072
	s_waitcnt vmcnt(1) lgkmcnt(6)
	v_dual_fmac_f32 v132, v85, v138 :: v_dual_fmac_f32 v133, v86, v139
	v_dual_fmac_f32 v131, v87, v140 :: v_dual_fmac_f32 v130, v88, v141
	global_load_b128 v[138:141], v[148:149], off
	s_waitcnt vmcnt(1) lgkmcnt(5)
	v_dual_fmac_f32 v132, v89, v134 :: v_dual_fmac_f32 v133, v90, v135
	v_dual_fmac_f32 v131, v91, v136 :: v_dual_fmac_f32 v130, v92, v137
	global_load_b128 v[134:137], v[148:149], off offset:512
	s_waitcnt lgkmcnt(4)
	v_dual_fmac_f32 v132, v93, v142 :: v_dual_fmac_f32 v133, v94, v143
	v_dual_fmac_f32 v131, v95, v144 :: v_dual_fmac_f32 v130, v96, v145
	global_load_b128 v[142:145], v[148:149], off offset:1024
	s_waitcnt vmcnt(2) lgkmcnt(3)
	v_dual_fmac_f32 v132, v97, v138 :: v_dual_fmac_f32 v133, v98, v139
	v_dual_fmac_f32 v131, v99, v140 :: v_dual_fmac_f32 v130, v100, v141
	global_load_b128 v[138:141], v[148:149], off offset:1536
	s_waitcnt vmcnt(2) lgkmcnt(2)
	v_dual_fmac_f32 v132, v101, v134 :: v_dual_fmac_f32 v133, v102, v135
	v_dual_fmac_f32 v131, v103, v136 :: v_dual_fmac_f32 v130, v104, v137
	s_waitcnt vmcnt(1) lgkmcnt(1)
	s_delay_alu instid0(VALU_DEP_2) | instskip(NEXT) | instid1(VALU_DEP_2)
	v_dual_fmac_f32 v132, v105, v142 :: v_dual_fmac_f32 v133, v106, v143
	v_dual_fmac_f32 v131, v107, v144 :: v_dual_add_nc_u32 v134, v125, v119
	s_delay_alu instid0(VALU_DEP_3) | instskip(SKIP_1) | instid1(VALU_DEP_3)
	v_fmac_f32_e32 v130, v108, v145
	s_waitcnt vmcnt(0) lgkmcnt(0)
	v_dual_fmac_f32 v132, v109, v138 :: v_dual_fmac_f32 v133, v110, v139
	s_delay_alu instid0(VALU_DEP_3) | instskip(NEXT) | instid1(VALU_DEP_2)
	v_cvt_f32_i32_e32 v134, v134
	v_dual_fmac_f32 v131, v111, v140 :: v_dual_add_f32 v132, v132, v133
	s_delay_alu instid0(VALU_DEP_2) | instskip(NEXT) | instid1(VALU_DEP_1)
	v_dual_mul_f32 v133, s39, v134 :: v_dual_fmac_f32 v130, v112, v141
	v_dual_add_f32 v131, v131, v132 :: v_dual_cndmask_b32 v132, 0, v133
	s_delay_alu instid0(VALU_DEP_1) | instskip(NEXT) | instid1(VALU_DEP_1)
	v_dual_add_f32 v130, v130, v131 :: v_dual_max_f32 v131, v116, v116
	v_fmac_f32_e32 v132, s3, v130
	s_delay_alu instid0(VALU_DEP_1) | instskip(NEXT) | instid1(VALU_DEP_1)
	v_dual_max_f32 v131, v131, v132 :: v_dual_add_nc_u32 v130, v121, v119
	v_cmp_gt_i32_e64 s0, s15, v130
	s_delay_alu instid0(VALU_DEP_1) | instskip(NEXT) | instid1(VALU_DEP_3)
	v_cndmask_b32_e64 v130, 0, v132, s0
	v_cndmask_b32_e64 v116, v116, v131, s0
	ds_store_b32 v126, v130
	s_branch .LBB49_11
.LBB49_16:
	s_or_b32 exec_lo, exec_lo, s41
.LBB49_17:
	s_delay_alu instid0(SALU_CYCLE_1) | instskip(SKIP_2) | instid1(VALU_DEP_2)
	s_or_b32 exec_lo, exec_lo, s6
	v_mbcnt_lo_u32_b32 v1, -1, 0
	v_max_f32_e32 v5, v116, v116
	v_xor_b32_e32 v2, 16, v1
	v_xor_b32_e32 v4, 8, v1
	s_delay_alu instid0(VALU_DEP_2) | instskip(SKIP_1) | instid1(VALU_DEP_3)
	v_cmp_gt_i32_e32 vcc_lo, 32, v2
	v_cndmask_b32_e32 v2, v1, v2, vcc_lo
	v_cmp_gt_i32_e32 vcc_lo, 32, v4
	s_delay_alu instid0(VALU_DEP_2) | instskip(SKIP_4) | instid1(VALU_DEP_1)
	v_lshlrev_b32_e32 v2, 2, v2
	v_cndmask_b32_e32 v4, v1, v4, vcc_lo
	ds_bpermute_b32 v3, v2, v116
	s_waitcnt lgkmcnt(0)
	v_dual_max_f32 v6, v3, v3 :: v_dual_lshlrev_b32 v3, 2, v4
	v_max_f32_e32 v4, v5, v6
	v_xor_b32_e32 v6, 4, v1
	ds_bpermute_b32 v5, v3, v4
	v_cmp_gt_i32_e32 vcc_lo, 32, v6
	v_cndmask_b32_e32 v6, v1, v6, vcc_lo
	s_delay_alu instid0(VALU_DEP_1) | instskip(SKIP_1) | instid1(VALU_DEP_1)
	v_lshlrev_b32_e32 v125, 2, v6
	v_xor_b32_e32 v6, 2, v1
	v_cmp_gt_i32_e32 vcc_lo, 32, v6
	s_waitcnt lgkmcnt(0)
	v_max_f32_e32 v5, v5, v5
	v_cndmask_b32_e32 v6, v1, v6, vcc_lo
	s_delay_alu instid0(VALU_DEP_1) | instskip(SKIP_1) | instid1(VALU_DEP_1)
	v_lshlrev_b32_e32 v124, 2, v6
	v_xor_b32_e32 v6, 1, v1
	v_cmp_gt_i32_e32 vcc_lo, 32, v6
	v_cndmask_b32_e32 v6, v1, v6, vcc_lo
	v_max_f32_e32 v4, v4, v5
	v_cmp_eq_u32_e32 vcc_lo, 0, v121
	s_delay_alu instid0(VALU_DEP_3) | instskip(SKIP_3) | instid1(VALU_DEP_1)
	v_lshlrev_b32_e32 v123, 2, v6
	ds_bpermute_b32 v5, v125, v4
	s_waitcnt lgkmcnt(0)
	v_max_f32_e32 v5, v5, v5
	v_max_f32_e32 v4, v4, v5
	ds_bpermute_b32 v5, v124, v4
	s_waitcnt lgkmcnt(0)
	v_max_f32_e32 v5, v5, v5
	s_delay_alu instid0(VALU_DEP_1)
	v_max_f32_e32 v1, v4, v5
	v_lshlrev_b32_e32 v5, 2, v120
	ds_bpermute_b32 v4, v123, v1
	s_and_saveexec_b32 s0, vcc_lo
	s_cbranch_execz .LBB49_19
; %bb.18:
	s_waitcnt lgkmcnt(0)
	v_dual_max_f32 v4, v4, v4 :: v_dual_max_f32 v1, v1, v1
	s_delay_alu instid0(VALU_DEP_1)
	v_max_f32_e32 v1, v1, v4
	ds_store_b32 v5, v1 offset:448
.LBB49_19:
	s_or_b32 exec_lo, exec_lo, s0
	v_cmp_gt_u32_e64 s0, 4, v121
	v_mov_b32_e32 v1, 0xff7fffff
	s_waitcnt lgkmcnt(0)
	s_barrier
	buffer_gl0_inv
	s_and_saveexec_b32 s1, s0
	s_cbranch_execz .LBB49_21
; %bb.20:
	ds_load_b32 v1, v115 offset:448
.LBB49_21:
	s_or_b32 exec_lo, exec_lo, s1
	s_waitcnt lgkmcnt(0)
	ds_bpermute_b32 v4, v124, v1
	v_max_f32_e32 v1, v1, v1
	s_sub_i32 s1, s8, s7
	v_mov_b32_e32 v6, 0
	s_lshl_b32 s1, s1, 5
	s_delay_alu instid0(SALU_CYCLE_1) | instskip(NEXT) | instid1(SALU_CYCLE_1)
	s_add_i32 s1, s1, s37
	s_min_i32 s1, s1, s15
	s_delay_alu instid0(SALU_CYCLE_1) | instskip(NEXT) | instid1(SALU_CYCLE_1)
	s_sub_i32 s6, s1, s37
	v_cmp_gt_i32_e64 s1, s6, v0
	s_waitcnt lgkmcnt(0)
	v_max_f32_e32 v4, v4, v4
	s_delay_alu instid0(VALU_DEP_1) | instskip(SKIP_3) | instid1(VALU_DEP_1)
	v_max_f32_e32 v1, v1, v4
	ds_bpermute_b32 v4, v123, v1
	s_waitcnt lgkmcnt(0)
	v_max_f32_e32 v4, v4, v4
	v_max_f32_e32 v1, v1, v4
	v_lshl_add_u32 v4, v0, 2, 0x1e0
	ds_bpermute_b32 v1, v6, v1
	s_and_saveexec_b32 s7, s1
	s_cbranch_execz .LBB49_25
; %bb.22:
	v_lshl_add_u32 v7, v0, 2, 0x1e0
	v_mov_b32_e32 v6, 0
	v_mov_b32_e32 v8, v0
	s_mov_b32 s35, 0
	.p2align	6
.LBB49_23:                              ; =>This Inner Loop Header: Depth=1
	ds_load_b32 v9, v7
	v_add_nc_u32_e32 v8, 0x80, v8
	s_delay_alu instid0(VALU_DEP_1) | instskip(NEXT) | instid1(VALU_DEP_1)
	v_cmp_le_i32_e64 s3, s6, v8
	s_or_b32 s35, s3, s35
	s_waitcnt lgkmcnt(0)
	v_sub_f32_e32 v9, v9, v1
	s_delay_alu instid0(VALU_DEP_1) | instskip(NEXT) | instid1(VALU_DEP_1)
	v_mul_f32_e32 v9, 0x3fb8aa3b, v9
	v_exp_f32_e32 v9, v9
	ds_store_b32 v7, v9
	v_dual_add_f32 v6, v6, v9 :: v_dual_add_nc_u32 v7, 0x200, v7
	s_and_not1_b32 exec_lo, exec_lo, s35
	s_cbranch_execnz .LBB49_23
; %bb.24:
	s_or_b32 exec_lo, exec_lo, s35
.LBB49_25:
	s_delay_alu instid0(SALU_CYCLE_1)
	s_or_b32 exec_lo, exec_lo, s7
	ds_bpermute_b32 v2, v2, v6
	s_waitcnt lgkmcnt(0)
	v_add_f32_e32 v2, v6, v2
	ds_bpermute_b32 v3, v3, v2
	s_waitcnt lgkmcnt(0)
	v_add_f32_e32 v2, v2, v3
	;; [unrolled: 3-line block ×5, first 2 shown]
	s_and_saveexec_b32 s3, vcc_lo
	s_cbranch_execz .LBB49_27
; %bb.26:
	ds_store_b32 v5, v2 offset:464
.LBB49_27:
	s_or_b32 exec_lo, exec_lo, s3
	s_waitcnt lgkmcnt(0)
	s_barrier
	buffer_gl0_inv
	s_and_saveexec_b32 s3, s0
	s_cbranch_execz .LBB49_29
; %bb.28:
	ds_load_b32 v2, v115 offset:464
.LBB49_29:
	s_or_b32 exec_lo, exec_lo, s3
	s_waitcnt lgkmcnt(0)
	ds_bpermute_b32 v3, v124, v2
	s_waitcnt lgkmcnt(0)
	v_add_f32_e32 v2, v2, v3
	ds_bpermute_b32 v3, v123, v2
	s_waitcnt lgkmcnt(0)
	v_dual_add_f32 v2, v2, v3 :: v_dual_mov_b32 v3, 0
	ds_bpermute_b32 v2, v3, v2
	s_and_saveexec_b32 s0, s1
	s_cbranch_execz .LBB49_32
; %bb.30:
	s_waitcnt lgkmcnt(0)
	v_add_f32_e32 v3, 0x358637bd, v2
	s_mov_b32 s1, 0
	s_delay_alu instid0(VALU_DEP_1) | instskip(SKIP_1) | instid1(VALU_DEP_2)
	v_div_scale_f32 v5, null, v3, v3, 1.0
	v_div_scale_f32 v8, vcc_lo, 1.0, v3, 1.0
	v_rcp_f32_e32 v6, v5
	s_waitcnt_depctr 0xfff
	v_fma_f32 v7, -v5, v6, 1.0
	s_delay_alu instid0(VALU_DEP_1) | instskip(NEXT) | instid1(VALU_DEP_1)
	v_fmac_f32_e32 v6, v7, v6
	v_mul_f32_e32 v7, v8, v6
	s_delay_alu instid0(VALU_DEP_1) | instskip(NEXT) | instid1(VALU_DEP_1)
	v_fma_f32 v9, -v5, v7, v8
	v_fmac_f32_e32 v7, v9, v6
	s_delay_alu instid0(VALU_DEP_1) | instskip(NEXT) | instid1(VALU_DEP_1)
	v_fma_f32 v5, -v5, v7, v8
	v_div_fmas_f32 v5, v5, v6, v7
	s_delay_alu instid0(VALU_DEP_1)
	v_div_fixup_f32 v3, v5, v3, 1.0
	v_mov_b32_e32 v5, v0
.LBB49_31:                              ; =>This Inner Loop Header: Depth=1
	ds_load_b32 v6, v4
	s_waitcnt lgkmcnt(0)
	v_dual_mul_f32 v6, v3, v6 :: v_dual_add_nc_u32 v5, 0x80, v5
	s_delay_alu instid0(VALU_DEP_1) | instskip(SKIP_3) | instid1(SALU_CYCLE_1)
	v_cmp_le_i32_e32 vcc_lo, s6, v5
	ds_store_b32 v4, v6
	v_add_nc_u32_e32 v4, 0x200, v4
	s_or_b32 s1, vcc_lo, s1
	s_and_not1_b32 exec_lo, exec_lo, s1
	s_cbranch_execnz .LBB49_31
.LBB49_32:
	s_or_b32 exec_lo, exec_lo, s0
	s_mul_i32 s0, s4, s14
	s_waitcnt lgkmcnt(0)
	s_mul_i32 s6, s0, s13
	s_mov_b32 s0, exec_lo
	s_barrier
	buffer_gl0_inv
	v_cmpx_eq_u32_e32 0, v0
	s_cbranch_execz .LBB49_34
; %bb.33:
	s_ashr_i32 s7, s6, 31
	s_mul_i32 s42, s4, s24
	s_lshl_b64 s[40:41], s[6:7], 2
	v_mov_b32_e32 v3, 0
	s_add_u32 s1, s18, s40
	s_addc_u32 s3, s19, s41
	s_ashr_i32 s43, s42, 31
	s_delay_alu instid0(SALU_CYCLE_1) | instskip(NEXT) | instid1(SALU_CYCLE_1)
	s_lshl_b64 s[18:19], s[42:43], 2
	s_add_u32 s1, s1, s18
	s_addc_u32 s3, s3, s19
	s_ashr_i32 s13, s12, 31
	s_delay_alu instid0(SALU_CYCLE_1) | instskip(NEXT) | instid1(SALU_CYCLE_1)
	s_lshl_b64 s[42:43], s[12:13], 2
	s_add_u32 s44, s1, s42
	s_addc_u32 s45, s3, s43
	s_add_u32 s1, s16, s40
	s_addc_u32 s3, s17, s41
	;; [unrolled: 2-line block ×4, first 2 shown]
	s_clause 0x1
	global_store_b32 v3, v1, s[44:45]
	global_store_b32 v3, v2, s[16:17]
.LBB49_34:
	s_or_b32 exec_lo, exec_lo, s0
	v_dual_mov_b32 v153, 0 :: v_dual_and_b32 v126, 7, v0
	v_dual_mov_b32 v154, 0 :: v_dual_mov_b32 v151, 0
	v_dual_mov_b32 v152, 0 :: v_dual_mov_b32 v149, 0
	;; [unrolled: 1-line block ×13, first 2 shown]
	v_mov_b32_e32 v128, 0
	s_mov_b32 s3, 0
	s_and_saveexec_b32 s1, s2
	s_cbranch_execz .LBB49_96
; %bb.35:
	s_ashr_i32 s35, s34, 31
	s_sub_i32 s2, s38, s9
	s_lshl_b64 s[16:17], s[34:35], 2
	v_dual_mov_b32 v128, 0 :: v_dual_lshlrev_b32 v3, 2, v0
	s_add_u32 s7, s30, s16
	s_addc_u32 s9, s31, s17
	s_abs_i32 s10, s10
	v_dual_mov_b32 v130, 0 :: v_dual_lshlrev_b32 v5, 4, v126
	v_cvt_f32_u32_e32 v4, s10
	s_sub_i32 s0, 0, s10
	v_dual_mov_b32 v132, 0 :: v_dual_and_b32 v155, 28, v3
	v_dual_mov_b32 v134, 0 :: v_dual_and_b32 v3, 0x7c, v3
	s_delay_alu instid0(VALU_DEP_3)
	v_rcp_iflag_f32_e32 v4, v4
	v_mov_b32_e32 v127, 0
	v_lshlrev_b64 v[1:2], 2, v[117:118]
	s_lshl_b64 s[16:17], s[28:29], 2
	s_add_i32 s13, s36, -1
	v_lshl_or_b32 v5, v120, 7, v5
	v_or_b32_e32 v6, 0x400, v3
	v_or_b32_e32 v7, 0x480, v3
	;; [unrolled: 1-line block ×4, first 2 shown]
	v_mul_f32_e32 v4, 0x4f7ffffe, v4
	v_or_b32_e32 v10, 0x600, v3
	v_or_b32_e32 v11, 0x680, v3
	;; [unrolled: 1-line block ×4, first 2 shown]
	v_cvt_u32_f32_e32 v4, v4
	v_or_b32_e32 v14, 0x800, v3
	v_or_b32_e32 v15, 0x880, v3
	;; [unrolled: 1-line block ×4, first 2 shown]
	v_mul_lo_u32 v16, s0, v4
	v_or_b32_e32 v19, 0xa00, v3
	v_or_b32_e32 v20, 0xa80, v3
	;; [unrolled: 1-line block ×7, first 2 shown]
	v_mul_hi_u32 v16, v4, v16
	v_or_b32_e32 v26, 0xd80, v3
	s_add_u32 s14, s26, s16
	s_addc_u32 s16, s27, s17
	v_add_co_u32 v118, vcc_lo, s14, v1
	v_add_co_ci_u32_e32 v119, vcc_lo, s16, v2, vcc_lo
	s_delay_alu instid0(VALU_DEP_4)
	v_dual_mov_b32 v129, 0 :: v_dual_add_nc_u32 v156, v4, v16
	v_dual_mov_b32 v136, 0 :: v_dual_add_nc_u32 v157, 0x1e0, v5
	v_dual_mov_b32 v131, 0 :: v_dual_lshlrev_b32 v158, 2, v3
	v_dual_mov_b32 v138, 0 :: v_dual_lshlrev_b32 v159, 2, v6
	;; [unrolled: 1-line block ×19, first 2 shown]
	v_lshlrev_b32_e32 v177, 2, v25
	v_dual_mov_b32 v151, 0 :: v_dual_lshlrev_b32 v178, 2, v26
	v_mov_b32_e32 v153, 0
	s_branch .LBB49_38
.LBB49_36:                              ;   in Loop: Header=BB49_38 Depth=1
	s_or_b32 exec_lo, exec_lo, s0
	s_waitcnt vmcnt(1) lgkmcnt(0)
	v_mul_f32_e32 v114, v2, v114
	v_mul_f32_e32 v110, v2, v110
	;; [unrolled: 1-line block ×27, first 2 shown]
	s_waitcnt vmcnt(0)
	v_mul_f32_e32 v2, v2, v90
	v_fmac_f32_e32 v34, v1, v33
	v_fmac_f32_e32 v82, v1, v81
	;; [unrolled: 1-line block ×14, first 2 shown]
	s_delay_alu instid0(VALU_DEP_4) | instskip(SKIP_1) | instid1(VALU_DEP_3)
	v_dual_fmac_f32 v2, v4, v92 :: v_dual_add_f32 v147, v147, v34
	v_fmac_f32_e32 v94, v1, v93
	v_dual_fmac_f32 v110, v1, v109 :: v_dual_add_f32 v135, v135, v82
	v_fmac_f32_e32 v74, v1, v73
	v_fmac_f32_e32 v66, v3, v67
	;; [unrolled: 1-line block ×7, first 2 shown]
	v_add_f32_e32 v127, v127, v2
	v_dual_add_f32 v149, v149, v26 :: v_dual_fmac_f32 v94, v3, v95
	v_fmac_f32_e32 v86, v1, v85
	v_fmac_f32_e32 v102, v4, v104
	;; [unrolled: 1-line block ×8, first 2 shown]
	s_delay_alu instid0(VALU_DEP_4) | instskip(SKIP_4) | instid1(VALU_DEP_4)
	v_dual_fmac_f32 v74, v3, v75 :: v_dual_add_f32 v133, v133, v94
	v_fmac_f32_e32 v66, v4, v68
	v_fmac_f32_e32 v106, v1, v105
	;; [unrolled: 1-line block ×4, first 2 shown]
	v_dual_fmac_f32 v46, v1, v45 :: v_dual_add_f32 v139, v139, v66
	v_fmac_f32_e32 v42, v1, v41
	v_fmac_f32_e32 v50, v4, v52
	;; [unrolled: 1-line block ×10, first 2 shown]
	v_dual_fmac_f32 v110, v4, v112 :: v_dual_add_f32 v143, v143, v50
	v_fmac_f32_e32 v86, v3, v87
	v_add_f32_e32 v131, v131, v102
	s_delay_alu instid0(VALU_DEP_3)
	v_dual_fmac_f32 v114, v3, v115 :: v_dual_add_f32 v129, v129, v110
	v_fmac_f32_e32 v78, v3, v79
	v_fmac_f32_e32 v70, v3, v71
	;; [unrolled: 1-line block ×7, first 2 shown]
	s_delay_alu instid0(VALU_DEP_4)
	v_dual_fmac_f32 v46, v3, v47 :: v_dual_add_f32 v137, v137, v74
	v_fmac_f32_e32 v42, v3, v43
	v_fmac_f32_e32 v38, v3, v39
	;; [unrolled: 1-line block ×6, first 2 shown]
	v_dual_fmac_f32 v6, v4, v8 :: v_dual_add_f32 v151, v151, v18
	v_fmac_f32_e32 v98, v3, v99
	v_fmac_f32_e32 v86, v4, v88
	s_delay_alu instid0(VALU_DEP_3) | instskip(SKIP_1) | instid1(VALU_DEP_4)
	v_dual_fmac_f32 v78, v4, v80 :: v_dual_add_f32 v153, v153, v6
	v_fmac_f32_e32 v70, v4, v72
	v_fmac_f32_e32 v98, v4, v100
	;; [unrolled: 1-line block ×7, first 2 shown]
	s_delay_alu instid0(VALU_DEP_4) | instskip(SKIP_2) | instid1(VALU_DEP_3)
	v_dual_fmac_f32 v42, v4, v44 :: v_dual_add_f32 v141, v141, v58
	v_fmac_f32_e32 v106, v4, v108
	v_fmac_f32_e32 v38, v4, v40
	v_dual_fmac_f32 v30, v4, v32 :: v_dual_add_f32 v145, v145, v42
	v_fmac_f32_e32 v22, v4, v24
	v_fmac_f32_e32 v14, v4, v16
	;; [unrolled: 1-line block ×3, first 2 shown]
	v_add_f32_e32 v128, v128, v114
	v_add_f32_e32 v130, v130, v106
	v_add_f32_e32 v132, v132, v98
	v_add_f32_e32 v134, v134, v86
	v_add_f32_e32 v136, v136, v78
	v_add_f32_e32 v138, v138, v70
	v_add_f32_e32 v140, v140, v62
	v_add_f32_e32 v142, v142, v54
	v_add_f32_e32 v144, v144, v46
	v_add_f32_e32 v146, v146, v38
	v_add_f32_e32 v148, v148, v30
	v_add_f32_e32 v150, v150, v22
	v_add_f32_e32 v152, v152, v14
	v_add_f32_e32 v154, v154, v10
.LBB49_37:                              ;   in Loop: Header=BB49_38 Depth=1
	s_or_b32 exec_lo, exec_lo, s14
	v_add_nc_u32_e32 v117, 4, v117
	v_add_co_u32 v118, s0, v118, 16
	s_delay_alu instid0(VALU_DEP_1) | instskip(NEXT) | instid1(VALU_DEP_3)
	v_add_co_ci_u32_e64 v119, s0, 0, v119, s0
	v_cmp_le_i32_e32 vcc_lo, s8, v117
	v_add_nc_u32_e32 v122, 0x80, v122
	v_add_nc_u32_e32 v157, 0x200, v157
	s_or_b32 s3, vcc_lo, s3
	s_delay_alu instid0(SALU_CYCLE_1)
	s_and_not1_b32 exec_lo, exec_lo, s3
	s_cbranch_execz .LBB49_95
.LBB49_38:                              ; =>This Inner Loop Header: Depth=1
	v_sub_nc_u32_e32 v1, 0, v122
	s_delay_alu instid0(VALU_DEP_1) | instskip(NEXT) | instid1(VALU_DEP_1)
	v_max_i32_e32 v1, v122, v1
	v_mul_hi_u32 v2, v1, s25
	s_delay_alu instid0(VALU_DEP_1) | instskip(NEXT) | instid1(VALU_DEP_1)
	v_mul_lo_u32 v3, v2, s21
	v_sub_nc_u32_e32 v1, v1, v3
	v_add_nc_u32_e32 v3, 1, v2
	s_delay_alu instid0(VALU_DEP_2) | instskip(SKIP_1) | instid1(VALU_DEP_2)
	v_subrev_nc_u32_e32 v4, s21, v1
	v_cmp_le_u32_e32 vcc_lo, s21, v1
	v_dual_cndmask_b32 v2, v2, v3 :: v_dual_cndmask_b32 v1, v1, v4
	v_ashrrev_i32_e32 v3, 31, v122
	s_delay_alu instid0(VALU_DEP_2) | instskip(NEXT) | instid1(VALU_DEP_3)
	v_add_nc_u32_e32 v4, 1, v2
	v_cmp_le_u32_e32 vcc_lo, s21, v1
	s_delay_alu instid0(VALU_DEP_3) | instskip(NEXT) | instid1(VALU_DEP_3)
	v_xor_b32_e32 v3, s11, v3
	v_cndmask_b32_e32 v1, v2, v4, vcc_lo
	s_delay_alu instid0(VALU_DEP_1) | instskip(NEXT) | instid1(VALU_DEP_1)
	v_xor_b32_e32 v1, v1, v3
	v_sub_nc_u32_e32 v1, v1, v3
	s_delay_alu instid0(VALU_DEP_1) | instskip(SKIP_1) | instid1(VALU_DEP_2)
	v_add_nc_u32_e32 v2, s33, v1
	v_cmp_lt_i32_e64 s0, s2, v1
	v_sub_nc_u32_e32 v3, 0, v2
	s_delay_alu instid0(VALU_DEP_1) | instskip(NEXT) | instid1(VALU_DEP_1)
	v_max_i32_e32 v3, v2, v3
	v_mul_hi_u32 v4, v3, v156
	s_delay_alu instid0(VALU_DEP_1) | instskip(NEXT) | instid1(VALU_DEP_1)
	v_mul_lo_u32 v4, v4, s10
	v_sub_nc_u32_e32 v3, v3, v4
	s_delay_alu instid0(VALU_DEP_1) | instskip(SKIP_1) | instid1(VALU_DEP_2)
	v_subrev_nc_u32_e32 v4, s10, v3
	v_cmp_le_u32_e32 vcc_lo, s10, v3
	v_cndmask_b32_e32 v3, v3, v4, vcc_lo
	v_ashrrev_i32_e32 v2, 31, v2
	s_delay_alu instid0(VALU_DEP_2) | instskip(SKIP_1) | instid1(VALU_DEP_2)
	v_subrev_nc_u32_e32 v4, s10, v3
	v_cmp_le_u32_e32 vcc_lo, s10, v3
	v_cndmask_b32_e32 v3, v3, v4, vcc_lo
	s_delay_alu instid0(VALU_DEP_1) | instskip(NEXT) | instid1(VALU_DEP_1)
	v_xor_b32_e32 v3, v3, v2
	v_sub_nc_u32_e32 v2, v3, v2
	s_delay_alu instid0(VALU_DEP_1) | instskip(SKIP_1) | instid1(SALU_CYCLE_1)
	v_cmp_eq_u32_e32 vcc_lo, 0, v2
	s_or_b32 s0, vcc_lo, s0
	s_and_saveexec_b32 s14, s0
	s_cbranch_execz .LBB49_37
; %bb.39:                               ;   in Loop: Header=BB49_38 Depth=1
	global_load_b32 v3, v[118:119], off
	v_add_nc_u32_e32 v179, v155, v122
	s_delay_alu instid0(VALU_DEP_1) | instskip(SKIP_4) | instid1(VALU_DEP_1)
	v_add_nc_u32_e32 v182, 1, v179
	v_add_nc_u32_e32 v181, 2, v179
	;; [unrolled: 1-line block ×3, first 2 shown]
	s_waitcnt vmcnt(0)
	v_mad_i64_i32 v[1:2], null, v3, s5, 0
	v_lshlrev_b64 v[1:2], 2, v[1:2]
	s_delay_alu instid0(VALU_DEP_1) | instskip(NEXT) | instid1(VALU_DEP_2)
	v_add_co_u32 v89, vcc_lo, s7, v1
	v_add_co_ci_u32_e32 v90, vcc_lo, s9, v2, vcc_lo
	ds_load_b128 v[1:4], v157
	v_add_co_u32 v33, vcc_lo, v89, v158
	v_add_co_ci_u32_e32 v34, vcc_lo, 0, v90, vcc_lo
	v_cmp_eq_u32_e32 vcc_lo, s13, v117
	global_load_b128 v[5:8], v[33:34], off
	s_and_saveexec_b32 s16, vcc_lo
	s_cbranch_execnz .LBB49_88
; %bb.40:                               ;   in Loop: Header=BB49_38 Depth=1
	s_or_b32 exec_lo, exec_lo, s16
	global_load_b128 v[9:12], v[33:34], off offset:512
	s_and_saveexec_b32 s16, vcc_lo
	s_cbranch_execnz .LBB49_89
.LBB49_41:                              ;   in Loop: Header=BB49_38 Depth=1
	s_or_b32 exec_lo, exec_lo, s16
	global_load_b128 v[13:16], v[33:34], off offset:1024
	s_and_saveexec_b32 s16, vcc_lo
	s_cbranch_execnz .LBB49_90
.LBB49_42:                              ;   in Loop: Header=BB49_38 Depth=1
	s_or_b32 exec_lo, exec_lo, s16
	global_load_b128 v[17:20], v[33:34], off offset:1536
	s_and_saveexec_b32 s16, vcc_lo
	s_cbranch_execnz .LBB49_91
.LBB49_43:                              ;   in Loop: Header=BB49_38 Depth=1
	s_or_b32 exec_lo, exec_lo, s16
	global_load_b128 v[21:24], v[33:34], off offset:2048
	s_and_saveexec_b32 s16, vcc_lo
	s_cbranch_execnz .LBB49_92
.LBB49_44:                              ;   in Loop: Header=BB49_38 Depth=1
	s_or_b32 exec_lo, exec_lo, s16
	global_load_b128 v[25:28], v[33:34], off offset:2560
	s_and_saveexec_b32 s16, vcc_lo
	s_cbranch_execnz .LBB49_93
.LBB49_45:                              ;   in Loop: Header=BB49_38 Depth=1
	s_or_b32 exec_lo, exec_lo, s16
	global_load_b128 v[29:32], v[33:34], off offset:3072
	s_and_saveexec_b32 s16, vcc_lo
	s_cbranch_execnz .LBB49_94
.LBB49_46:                              ;   in Loop: Header=BB49_38 Depth=1
	s_or_b32 exec_lo, exec_lo, s16
	global_load_b128 v[33:36], v[33:34], off offset:3584
	s_and_saveexec_b32 s16, vcc_lo
	s_cbranch_execz .LBB49_48
.LBB49_47:                              ;   in Loop: Header=BB49_38 Depth=1
	v_cmp_gt_i32_e64 s0, s15, v179
	s_waitcnt vmcnt(0)
	s_delay_alu instid0(VALU_DEP_1) | instskip(SKIP_1) | instid1(VALU_DEP_1)
	v_cndmask_b32_e64 v33, 0, v33, s0
	v_cmp_gt_i32_e64 s0, s15, v182
	v_cndmask_b32_e64 v34, 0, v34, s0
	v_cmp_gt_i32_e64 s0, s15, v181
	s_delay_alu instid0(VALU_DEP_1) | instskip(SKIP_1) | instid1(VALU_DEP_1)
	v_cndmask_b32_e64 v35, 0, v35, s0
	v_cmp_gt_i32_e64 s0, s15, v180
	v_cndmask_b32_e64 v36, 0, v36, s0
.LBB49_48:                              ;   in Loop: Header=BB49_38 Depth=1
	s_or_b32 exec_lo, exec_lo, s16
	v_add_co_u32 v37, s0, v89, v159
	s_delay_alu instid0(VALU_DEP_1)
	v_add_co_ci_u32_e64 v38, s0, 0, v90, s0
	global_load_b128 v[37:40], v[37:38], off
	s_and_saveexec_b32 s16, vcc_lo
	s_cbranch_execz .LBB49_50
; %bb.49:                               ;   in Loop: Header=BB49_38 Depth=1
	v_cmp_gt_i32_e64 s0, s15, v179
	s_waitcnt vmcnt(0)
	s_delay_alu instid0(VALU_DEP_1) | instskip(SKIP_1) | instid1(VALU_DEP_1)
	v_cndmask_b32_e64 v37, 0, v37, s0
	v_cmp_gt_i32_e64 s0, s15, v182
	v_cndmask_b32_e64 v38, 0, v38, s0
	v_cmp_gt_i32_e64 s0, s15, v181
	s_delay_alu instid0(VALU_DEP_1) | instskip(SKIP_1) | instid1(VALU_DEP_1)
	v_cndmask_b32_e64 v39, 0, v39, s0
	v_cmp_gt_i32_e64 s0, s15, v180
	v_cndmask_b32_e64 v40, 0, v40, s0
.LBB49_50:                              ;   in Loop: Header=BB49_38 Depth=1
	s_or_b32 exec_lo, exec_lo, s16
	v_add_co_u32 v41, s0, v89, v160
	s_delay_alu instid0(VALU_DEP_1)
	v_add_co_ci_u32_e64 v42, s0, 0, v90, s0
	global_load_b128 v[41:44], v[41:42], off
	s_and_saveexec_b32 s16, vcc_lo
	s_cbranch_execz .LBB49_52
; %bb.51:                               ;   in Loop: Header=BB49_38 Depth=1
	v_cmp_gt_i32_e64 s0, s15, v179
	s_waitcnt vmcnt(0)
	s_delay_alu instid0(VALU_DEP_1) | instskip(SKIP_1) | instid1(VALU_DEP_1)
	v_cndmask_b32_e64 v41, 0, v41, s0
	v_cmp_gt_i32_e64 s0, s15, v182
	v_cndmask_b32_e64 v42, 0, v42, s0
	v_cmp_gt_i32_e64 s0, s15, v181
	s_delay_alu instid0(VALU_DEP_1) | instskip(SKIP_1) | instid1(VALU_DEP_1)
	v_cndmask_b32_e64 v43, 0, v43, s0
	v_cmp_gt_i32_e64 s0, s15, v180
	v_cndmask_b32_e64 v44, 0, v44, s0
.LBB49_52:                              ;   in Loop: Header=BB49_38 Depth=1
	;; [unrolled: 20-line block ×19, first 2 shown]
	s_or_b32 exec_lo, exec_lo, s16
	v_add_co_u32 v89, s0, v89, v178
	s_delay_alu instid0(VALU_DEP_1)
	v_add_co_ci_u32_e64 v90, s0, 0, v90, s0
	global_load_b128 v[89:92], v[89:90], off
	s_and_saveexec_b32 s0, vcc_lo
	s_cbranch_execz .LBB49_36
; %bb.87:                               ;   in Loop: Header=BB49_38 Depth=1
	v_cmp_gt_i32_e32 vcc_lo, s15, v179
	s_waitcnt vmcnt(0)
	v_cndmask_b32_e32 v89, 0, v89, vcc_lo
	v_cmp_gt_i32_e32 vcc_lo, s15, v182
	v_cndmask_b32_e32 v90, 0, v90, vcc_lo
	v_cmp_gt_i32_e32 vcc_lo, s15, v181
	;; [unrolled: 2-line block ×3, first 2 shown]
	v_cndmask_b32_e32 v92, 0, v92, vcc_lo
	s_branch .LBB49_36
.LBB49_88:                              ;   in Loop: Header=BB49_38 Depth=1
	v_cmp_gt_i32_e64 s0, s15, v179
	s_waitcnt vmcnt(0)
	s_delay_alu instid0(VALU_DEP_1) | instskip(SKIP_1) | instid1(VALU_DEP_1)
	v_cndmask_b32_e64 v5, 0, v5, s0
	v_cmp_gt_i32_e64 s0, s15, v182
	v_cndmask_b32_e64 v6, 0, v6, s0
	v_cmp_gt_i32_e64 s0, s15, v181
	s_delay_alu instid0(VALU_DEP_1) | instskip(SKIP_1) | instid1(VALU_DEP_1)
	v_cndmask_b32_e64 v7, 0, v7, s0
	v_cmp_gt_i32_e64 s0, s15, v180
	v_cndmask_b32_e64 v8, 0, v8, s0
	s_or_b32 exec_lo, exec_lo, s16
	global_load_b128 v[9:12], v[33:34], off offset:512
	s_and_saveexec_b32 s16, vcc_lo
	s_cbranch_execz .LBB49_41
.LBB49_89:                              ;   in Loop: Header=BB49_38 Depth=1
	v_cmp_gt_i32_e64 s0, s15, v179
	s_waitcnt vmcnt(0)
	s_delay_alu instid0(VALU_DEP_1) | instskip(SKIP_1) | instid1(VALU_DEP_1)
	v_cndmask_b32_e64 v9, 0, v9, s0
	v_cmp_gt_i32_e64 s0, s15, v182
	v_cndmask_b32_e64 v10, 0, v10, s0
	v_cmp_gt_i32_e64 s0, s15, v181
	s_delay_alu instid0(VALU_DEP_1) | instskip(SKIP_1) | instid1(VALU_DEP_1)
	v_cndmask_b32_e64 v11, 0, v11, s0
	v_cmp_gt_i32_e64 s0, s15, v180
	v_cndmask_b32_e64 v12, 0, v12, s0
	s_or_b32 exec_lo, exec_lo, s16
	global_load_b128 v[13:16], v[33:34], off offset:1024
	s_and_saveexec_b32 s16, vcc_lo
	s_cbranch_execz .LBB49_42
.LBB49_90:                              ;   in Loop: Header=BB49_38 Depth=1
	v_cmp_gt_i32_e64 s0, s15, v179
	s_waitcnt vmcnt(0)
	s_delay_alu instid0(VALU_DEP_1) | instskip(SKIP_1) | instid1(VALU_DEP_1)
	v_cndmask_b32_e64 v13, 0, v13, s0
	v_cmp_gt_i32_e64 s0, s15, v182
	v_cndmask_b32_e64 v14, 0, v14, s0
	v_cmp_gt_i32_e64 s0, s15, v181
	s_delay_alu instid0(VALU_DEP_1) | instskip(SKIP_1) | instid1(VALU_DEP_1)
	v_cndmask_b32_e64 v15, 0, v15, s0
	v_cmp_gt_i32_e64 s0, s15, v180
	v_cndmask_b32_e64 v16, 0, v16, s0
	s_or_b32 exec_lo, exec_lo, s16
	global_load_b128 v[17:20], v[33:34], off offset:1536
	s_and_saveexec_b32 s16, vcc_lo
	s_cbranch_execz .LBB49_43
.LBB49_91:                              ;   in Loop: Header=BB49_38 Depth=1
	v_cmp_gt_i32_e64 s0, s15, v179
	s_waitcnt vmcnt(0)
	s_delay_alu instid0(VALU_DEP_1) | instskip(SKIP_1) | instid1(VALU_DEP_1)
	v_cndmask_b32_e64 v17, 0, v17, s0
	v_cmp_gt_i32_e64 s0, s15, v182
	v_cndmask_b32_e64 v18, 0, v18, s0
	v_cmp_gt_i32_e64 s0, s15, v181
	s_delay_alu instid0(VALU_DEP_1) | instskip(SKIP_1) | instid1(VALU_DEP_1)
	v_cndmask_b32_e64 v19, 0, v19, s0
	v_cmp_gt_i32_e64 s0, s15, v180
	v_cndmask_b32_e64 v20, 0, v20, s0
	s_or_b32 exec_lo, exec_lo, s16
	global_load_b128 v[21:24], v[33:34], off offset:2048
	s_and_saveexec_b32 s16, vcc_lo
	s_cbranch_execz .LBB49_44
.LBB49_92:                              ;   in Loop: Header=BB49_38 Depth=1
	v_cmp_gt_i32_e64 s0, s15, v179
	s_waitcnt vmcnt(0)
	s_delay_alu instid0(VALU_DEP_1) | instskip(SKIP_1) | instid1(VALU_DEP_1)
	v_cndmask_b32_e64 v21, 0, v21, s0
	v_cmp_gt_i32_e64 s0, s15, v182
	v_cndmask_b32_e64 v22, 0, v22, s0
	v_cmp_gt_i32_e64 s0, s15, v181
	s_delay_alu instid0(VALU_DEP_1) | instskip(SKIP_1) | instid1(VALU_DEP_1)
	v_cndmask_b32_e64 v23, 0, v23, s0
	v_cmp_gt_i32_e64 s0, s15, v180
	v_cndmask_b32_e64 v24, 0, v24, s0
	s_or_b32 exec_lo, exec_lo, s16
	global_load_b128 v[25:28], v[33:34], off offset:2560
	s_and_saveexec_b32 s16, vcc_lo
	s_cbranch_execz .LBB49_45
.LBB49_93:                              ;   in Loop: Header=BB49_38 Depth=1
	v_cmp_gt_i32_e64 s0, s15, v179
	s_waitcnt vmcnt(0)
	s_delay_alu instid0(VALU_DEP_1) | instskip(SKIP_1) | instid1(VALU_DEP_1)
	v_cndmask_b32_e64 v25, 0, v25, s0
	v_cmp_gt_i32_e64 s0, s15, v182
	v_cndmask_b32_e64 v26, 0, v26, s0
	v_cmp_gt_i32_e64 s0, s15, v181
	s_delay_alu instid0(VALU_DEP_1) | instskip(SKIP_1) | instid1(VALU_DEP_1)
	v_cndmask_b32_e64 v27, 0, v27, s0
	v_cmp_gt_i32_e64 s0, s15, v180
	v_cndmask_b32_e64 v28, 0, v28, s0
	s_or_b32 exec_lo, exec_lo, s16
	global_load_b128 v[29:32], v[33:34], off offset:3072
	s_and_saveexec_b32 s16, vcc_lo
	s_cbranch_execz .LBB49_46
.LBB49_94:                              ;   in Loop: Header=BB49_38 Depth=1
	v_cmp_gt_i32_e64 s0, s15, v179
	s_waitcnt vmcnt(0)
	s_delay_alu instid0(VALU_DEP_1) | instskip(SKIP_1) | instid1(VALU_DEP_1)
	v_cndmask_b32_e64 v29, 0, v29, s0
	v_cmp_gt_i32_e64 s0, s15, v182
	v_cndmask_b32_e64 v30, 0, v30, s0
	v_cmp_gt_i32_e64 s0, s15, v181
	s_delay_alu instid0(VALU_DEP_1) | instskip(SKIP_1) | instid1(VALU_DEP_1)
	v_cndmask_b32_e64 v31, 0, v31, s0
	v_cmp_gt_i32_e64 s0, s15, v180
	v_cndmask_b32_e64 v32, 0, v32, s0
	s_or_b32 exec_lo, exec_lo, s16
	global_load_b128 v[33:36], v[33:34], off offset:3584
	s_and_saveexec_b32 s16, vcc_lo
	s_cbranch_execnz .LBB49_47
	s_branch .LBB49_48
.LBB49_95:
	s_or_b32 exec_lo, exec_lo, s3
.LBB49_96:
	s_delay_alu instid0(SALU_CYCLE_1)
	s_or_b32 exec_lo, exec_lo, s1
	ds_bpermute_b32 v3, v125, v152
	ds_bpermute_b32 v7, v125, v148
	;; [unrolled: 1-line block ×20, first 2 shown]
	s_waitcnt lgkmcnt(19)
	v_add_f32_e32 v3, v152, v3
	s_waitcnt lgkmcnt(18)
	v_add_f32_e32 v7, v148, v7
	s_waitcnt lgkmcnt(16)
	v_dual_add_f32 v1, v153, v1 :: v_dual_add_f32 v4, v151, v4
	s_waitcnt lgkmcnt(14)
	v_dual_add_f32 v5, v150, v5 :: v_dual_add_f32 v6, v149, v6
	s_waitcnt lgkmcnt(13)
	v_add_f32_e32 v8, v147, v8
	ds_bpermute_b32 v14, v124, v3
	ds_bpermute_b32 v18, v124, v7
	s_waitcnt lgkmcnt(13)
	v_dual_add_f32 v9, v146, v9 :: v_dual_add_f32 v10, v145, v10
	s_waitcnt lgkmcnt(12)
	v_add_f32_e32 v2, v154, v2
	ds_bpermute_b32 v12, v124, v1
	ds_bpermute_b32 v15, v124, v4
	;; [unrolled: 1-line block ×8, first 2 shown]
	s_waitcnt lgkmcnt(18)
	v_dual_add_f32 v11, v144, v11 :: v_dual_add_f32 v20, v143, v20
	s_waitcnt lgkmcnt(13)
	v_dual_add_f32 v21, v142, v21 :: v_dual_add_f32 v32, v132, v32
	s_waitcnt lgkmcnt(12)
	v_add_f32_e32 v33, v130, v33
	s_movk_i32 s0, 0x1c0
	ds_bpermute_b32 v28, v124, v20
	s_waitcnt lgkmcnt(10)
	v_add_f32_e32 v3, v3, v14
	s_waitcnt lgkmcnt(9)
	v_add_f32_e32 v7, v7, v18
	ds_bpermute_b32 v29, v124, v21
	ds_bpermute_b32 v40, v124, v32
	;; [unrolled: 1-line block ×3, first 2 shown]
	s_waitcnt lgkmcnt(10)
	v_dual_add_f32 v1, v1, v12 :: v_dual_add_f32 v4, v4, v15
	s_waitcnt lgkmcnt(8)
	v_dual_add_f32 v5, v5, v16 :: v_dual_add_f32 v6, v6, v17
	ds_bpermute_b32 v14, v123, v3
	s_waitcnt lgkmcnt(8)
	v_add_f32_e32 v10, v10, v24
	s_waitcnt lgkmcnt(6)
	v_add_f32_e32 v8, v8, v19
	ds_bpermute_b32 v18, v123, v7
	v_add_f32_e32 v2, v2, v13
	ds_bpermute_b32 v12, v123, v1
	ds_bpermute_b32 v15, v123, v4
	;; [unrolled: 1-line block ×7, first 2 shown]
	s_waitcnt lgkmcnt(13)
	v_add_f32_e32 v9, v9, v23
	ds_bpermute_b32 v23, v125, v138
	v_add_f32_e32 v22, v141, v22
	s_waitcnt lgkmcnt(0)
	s_waitcnt_vscnt null, 0x0
	s_barrier
	buffer_gl0_inv
	v_add_f32_e32 v35, v128, v35
	v_dual_add_f32 v32, v32, v40 :: v_dual_add_f32 v3, v3, v14
	v_add_f32_e32 v14, v140, v25
	ds_bpermute_b32 v25, v125, v135
	v_add_f32_e32 v7, v7, v18
	ds_bpermute_b32 v44, v124, v35
	v_dual_add_f32 v1, v1, v12 :: v_dual_add_f32 v4, v4, v15
	v_add_f32_e32 v5, v5, v16
	v_add_f32_e32 v15, v139, v26
	ds_bpermute_b32 v16, v125, v137
	v_add_f32_e32 v11, v11, v27
	ds_bpermute_b32 v12, v124, v22
	ds_bpermute_b32 v18, v124, v14
	v_add_f32_e32 v6, v6, v17
	v_add_f32_e32 v8, v8, v19
	v_dual_add_f32 v17, v20, v28 :: v_dual_add_f32 v20, v138, v23
	ds_bpermute_b32 v19, v124, v15
	v_add_f32_e32 v21, v21, v29
	ds_bpermute_b32 v23, v125, v136
	ds_bpermute_b32 v26, v125, v134
	;; [unrolled: 1-line block ×4, first 2 shown]
	s_waitcnt lgkmcnt(9)
	v_add_f32_e32 v25, v135, v25
	v_add_f32_e32 v2, v2, v13
	ds_bpermute_b32 v13, v123, v10
	ds_bpermute_b32 v29, v123, v11
	;; [unrolled: 1-line block ×3, first 2 shown]
	s_waitcnt lgkmcnt(10)
	v_add_f32_e32 v16, v137, v16
	s_waitcnt lgkmcnt(9)
	v_add_f32_e32 v22, v22, v12
	ds_bpermute_b32 v12, v125, v131
	s_waitcnt lgkmcnt(9)
	v_add_f32_e32 v18, v14, v18
	ds_bpermute_b32 v14, v125, v127
	ds_bpermute_b32 v30, v123, v17
	;; [unrolled: 1-line block ×3, first 2 shown]
	s_waitcnt lgkmcnt(11)
	v_add_f32_e32 v19, v15, v19
	ds_bpermute_b32 v15, v124, v16
	s_waitcnt lgkmcnt(10)
	v_dual_add_f32 v23, v136, v23 :: v_dual_add_f32 v26, v134, v26
	s_waitcnt lgkmcnt(8)
	v_dual_add_f32 v20, v20, v27 :: v_dual_add_f32 v27, v133, v28
	v_add_f32_e32 v34, v129, v34
	ds_bpermute_b32 v28, v124, v23
	ds_bpermute_b32 v37, v124, v25
	;; [unrolled: 1-line block ×7, first 2 shown]
	s_waitcnt lgkmcnt(13)
	v_add_f32_e32 v11, v11, v29
	s_waitcnt lgkmcnt(11)
	v_add_f32_e32 v12, v131, v12
	v_lshrrev_b32_e32 v29, 3, v121
	s_waitcnt lgkmcnt(10)
	v_add_f32_e32 v14, v127, v14
	ds_bpermute_b32 v39, v124, v27
	v_add_f32_e32 v9, v9, v24
	ds_bpermute_b32 v41, v124, v12
	s_waitcnt lgkmcnt(9)
	v_add_f32_e32 v47, v16, v15
	ds_bpermute_b32 v43, v124, v34
	ds_bpermute_b32 v15, v124, v14
	v_add_f32_e32 v33, v33, v42
	v_add_f32_e32 v35, v35, v44
	ds_bpermute_b32 v42, v123, v32
	s_waitcnt lgkmcnt(11)
	v_add_f32_e32 v23, v23, v28
	s_waitcnt lgkmcnt(9)
	v_dual_add_f32 v25, v25, v37 :: v_dual_add_f32 v26, v26, v38
	ds_bpermute_b32 v28, v123, v47
	v_add_f32_e32 v10, v10, v13
	ds_bpermute_b32 v37, v123, v23
	ds_bpermute_b32 v38, v123, v25
	v_add_f32_e32 v13, v21, v31
	s_waitcnt lgkmcnt(9)
	v_dual_add_f32 v16, v19, v46 :: v_dual_and_b32 v31, 0x3c7, v0
	s_waitcnt lgkmcnt(7)
	v_add_f32_e32 v27, v27, v39
	ds_bpermute_b32 v39, v123, v26
	s_waitcnt lgkmcnt(7)
	v_dual_add_f32 v41, v12, v41 :: v_dual_add_f32 v12, v17, v30
	s_waitcnt lgkmcnt(6)
	v_add_f32_e32 v34, v34, v43
	s_waitcnt lgkmcnt(5)
	v_add_f32_e32 v50, v14, v15
	ds_bpermute_b32 v40, v123, v27
	ds_bpermute_b32 v43, v123, v41
	;; [unrolled: 1-line block ×6, first 2 shown]
	v_add_f32_e32 v14, v22, v36
	v_add_f32_e32 v15, v18, v45
	;; [unrolled: 1-line block ×3, first 2 shown]
	s_waitcnt lgkmcnt(9)
	v_add_f32_e32 v18, v47, v28
	s_waitcnt lgkmcnt(7)
	v_dual_add_f32 v19, v23, v37 :: v_dual_add_f32 v20, v25, v38
	v_add_f32_e32 v23, v32, v42
	v_mad_u32_u24 v30, v120, s0, 0x1e0
	v_cmp_eq_u32_e32 vcc_lo, 64, v31
	s_waitcnt lgkmcnt(6)
	v_add_f32_e32 v21, v26, v39
	s_waitcnt lgkmcnt(5)
	v_dual_add_f32 v22, v27, v40 :: v_dual_lshlrev_b32 v31, 2, v29
	s_waitcnt lgkmcnt(4)
	v_add_f32_e32 v24, v41, v43
	s_waitcnt lgkmcnt(2)
	v_dual_add_f32 v25, v33, v44 :: v_dual_add_f32 v26, v34, v49
	s_waitcnt lgkmcnt(0)
	v_dual_add_f32 v27, v35, v51 :: v_dual_add_f32 v28, v50, v52
	s_and_saveexec_b32 s0, vcc_lo
	s_cbranch_execz .LBB49_98
; %bb.97:
	v_add3_u32 v32, v30, v31, 0xfffffc80
	ds_store_2addr_b32 v32, v1, v2 offset1:4
	ds_store_2addr_b32 v32, v3, v4 offset0:8 offset1:12
	ds_store_2addr_b32 v32, v5, v6 offset0:16 offset1:20
	;; [unrolled: 1-line block ×13, first 2 shown]
.LBB49_98:
	s_or_b32 exec_lo, exec_lo, s0
	v_cmp_eq_u32_e32 vcc_lo, 0, v126
	s_mov_b32 s1, exec_lo
	s_waitcnt lgkmcnt(0)
	s_barrier
	buffer_gl0_inv
	v_cmpx_gt_u32_e32 64, v0
	s_cbranch_execz .LBB49_129
; %bb.99:
	s_and_saveexec_b32 s0, vcc_lo
	s_cbranch_execnz .LBB49_165
; %bb.100:
	s_or_b32 exec_lo, exec_lo, s0
	s_and_saveexec_b32 s0, vcc_lo
	s_cbranch_execnz .LBB49_166
.LBB49_101:
	s_or_b32 exec_lo, exec_lo, s0
	s_and_saveexec_b32 s0, vcc_lo
	s_cbranch_execnz .LBB49_167
.LBB49_102:
	s_or_b32 exec_lo, exec_lo, s0
	s_and_saveexec_b32 s0, vcc_lo
	s_cbranch_execnz .LBB49_168
.LBB49_103:
	s_or_b32 exec_lo, exec_lo, s0
	s_and_saveexec_b32 s0, vcc_lo
	s_cbranch_execnz .LBB49_169
.LBB49_104:
	s_or_b32 exec_lo, exec_lo, s0
	s_and_saveexec_b32 s0, vcc_lo
	s_cbranch_execnz .LBB49_170
.LBB49_105:
	s_or_b32 exec_lo, exec_lo, s0
	s_and_saveexec_b32 s0, vcc_lo
	s_cbranch_execnz .LBB49_171
.LBB49_106:
	s_or_b32 exec_lo, exec_lo, s0
	s_and_saveexec_b32 s0, vcc_lo
	s_cbranch_execnz .LBB49_172
.LBB49_107:
	s_or_b32 exec_lo, exec_lo, s0
	s_and_saveexec_b32 s0, vcc_lo
	s_cbranch_execnz .LBB49_173
.LBB49_108:
	s_or_b32 exec_lo, exec_lo, s0
	s_and_saveexec_b32 s0, vcc_lo
	s_cbranch_execnz .LBB49_174
.LBB49_109:
	s_or_b32 exec_lo, exec_lo, s0
	s_and_saveexec_b32 s0, vcc_lo
	s_cbranch_execnz .LBB49_175
.LBB49_110:
	s_or_b32 exec_lo, exec_lo, s0
	s_and_saveexec_b32 s0, vcc_lo
	s_cbranch_execnz .LBB49_176
.LBB49_111:
	s_or_b32 exec_lo, exec_lo, s0
	s_and_saveexec_b32 s0, vcc_lo
	s_cbranch_execnz .LBB49_177
.LBB49_112:
	s_or_b32 exec_lo, exec_lo, s0
	s_and_saveexec_b32 s0, vcc_lo
	s_cbranch_execnz .LBB49_178
.LBB49_113:
	s_or_b32 exec_lo, exec_lo, s0
	s_and_saveexec_b32 s0, vcc_lo
	s_cbranch_execnz .LBB49_179
.LBB49_114:
	s_or_b32 exec_lo, exec_lo, s0
	s_and_saveexec_b32 s0, vcc_lo
	s_cbranch_execnz .LBB49_180
.LBB49_115:
	s_or_b32 exec_lo, exec_lo, s0
	s_and_saveexec_b32 s0, vcc_lo
	s_cbranch_execnz .LBB49_181
.LBB49_116:
	s_or_b32 exec_lo, exec_lo, s0
	s_and_saveexec_b32 s0, vcc_lo
	s_cbranch_execnz .LBB49_182
.LBB49_117:
	s_or_b32 exec_lo, exec_lo, s0
	s_and_saveexec_b32 s0, vcc_lo
	s_cbranch_execnz .LBB49_183
.LBB49_118:
	s_or_b32 exec_lo, exec_lo, s0
	s_and_saveexec_b32 s0, vcc_lo
	s_cbranch_execnz .LBB49_184
.LBB49_119:
	s_or_b32 exec_lo, exec_lo, s0
	s_and_saveexec_b32 s0, vcc_lo
	s_cbranch_execnz .LBB49_185
.LBB49_120:
	s_or_b32 exec_lo, exec_lo, s0
	s_and_saveexec_b32 s0, vcc_lo
	s_cbranch_execnz .LBB49_186
.LBB49_121:
	s_or_b32 exec_lo, exec_lo, s0
	s_and_saveexec_b32 s0, vcc_lo
	s_cbranch_execnz .LBB49_187
.LBB49_122:
	s_or_b32 exec_lo, exec_lo, s0
	s_and_saveexec_b32 s0, vcc_lo
	s_cbranch_execnz .LBB49_188
.LBB49_123:
	s_or_b32 exec_lo, exec_lo, s0
	s_and_saveexec_b32 s0, vcc_lo
	s_cbranch_execnz .LBB49_189
.LBB49_124:
	s_or_b32 exec_lo, exec_lo, s0
	s_and_saveexec_b32 s0, vcc_lo
	s_cbranch_execnz .LBB49_190
.LBB49_125:
	s_or_b32 exec_lo, exec_lo, s0
	s_and_saveexec_b32 s0, vcc_lo
	s_cbranch_execnz .LBB49_191
.LBB49_126:
	s_or_b32 exec_lo, exec_lo, s0
	s_and_saveexec_b32 s0, vcc_lo
	s_cbranch_execz .LBB49_128
.LBB49_127:
	v_lshl_add_u32 v32, v29, 2, v30
	ds_load_b32 v32, v32 offset:432
	s_waitcnt lgkmcnt(0)
	v_add_f32_e32 v28, v28, v32
.LBB49_128:
	s_or_b32 exec_lo, exec_lo, s0
.LBB49_129:
	s_delay_alu instid0(SALU_CYCLE_1)
	s_or_b32 exec_lo, exec_lo, s1
	v_and_b32_e32 v32, 0x3e7, v0
	s_mov_b32 s1, exec_lo
	s_barrier
	buffer_gl0_inv
	v_cmpx_eq_u32_e32 32, v32
	s_cbranch_execz .LBB49_131
; %bb.130:
	v_add3_u32 v31, v30, v31, 0xfffffe40
	ds_store_2addr_b32 v31, v1, v2 offset1:4
	ds_store_2addr_b32 v31, v3, v4 offset0:8 offset1:12
	ds_store_2addr_b32 v31, v5, v6 offset0:16 offset1:20
	;; [unrolled: 1-line block ×13, first 2 shown]
.LBB49_131:
	s_or_b32 exec_lo, exec_lo, s1
	s_delay_alu instid0(SALU_CYCLE_1)
	s_mov_b32 s1, exec_lo
	s_waitcnt lgkmcnt(0)
	s_barrier
	buffer_gl0_inv
	v_cmpx_gt_u32_e32 32, v0
	s_cbranch_execz .LBB49_162
; %bb.132:
	v_lshl_add_u32 v29, v29, 2, v30
	s_and_saveexec_b32 s0, vcc_lo
	s_cbranch_execnz .LBB49_192
; %bb.133:
	s_or_b32 exec_lo, exec_lo, s0
	s_and_saveexec_b32 s0, vcc_lo
	s_cbranch_execnz .LBB49_193
.LBB49_134:
	s_or_b32 exec_lo, exec_lo, s0
	s_and_saveexec_b32 s0, vcc_lo
	s_cbranch_execnz .LBB49_194
.LBB49_135:
	s_or_b32 exec_lo, exec_lo, s0
	s_and_saveexec_b32 s0, vcc_lo
	s_cbranch_execnz .LBB49_195
.LBB49_136:
	s_or_b32 exec_lo, exec_lo, s0
	s_and_saveexec_b32 s0, vcc_lo
	s_cbranch_execnz .LBB49_196
.LBB49_137:
	s_or_b32 exec_lo, exec_lo, s0
	s_and_saveexec_b32 s0, vcc_lo
	s_cbranch_execnz .LBB49_197
.LBB49_138:
	s_or_b32 exec_lo, exec_lo, s0
	s_and_saveexec_b32 s0, vcc_lo
	s_cbranch_execnz .LBB49_198
.LBB49_139:
	s_or_b32 exec_lo, exec_lo, s0
	s_and_saveexec_b32 s0, vcc_lo
	s_cbranch_execnz .LBB49_199
.LBB49_140:
	s_or_b32 exec_lo, exec_lo, s0
	s_and_saveexec_b32 s0, vcc_lo
	s_cbranch_execnz .LBB49_200
.LBB49_141:
	s_or_b32 exec_lo, exec_lo, s0
	s_and_saveexec_b32 s0, vcc_lo
	s_cbranch_execnz .LBB49_201
.LBB49_142:
	s_or_b32 exec_lo, exec_lo, s0
	s_and_saveexec_b32 s0, vcc_lo
	s_cbranch_execnz .LBB49_202
.LBB49_143:
	s_or_b32 exec_lo, exec_lo, s0
	s_and_saveexec_b32 s0, vcc_lo
	s_cbranch_execnz .LBB49_203
.LBB49_144:
	s_or_b32 exec_lo, exec_lo, s0
	s_and_saveexec_b32 s0, vcc_lo
	s_cbranch_execnz .LBB49_204
.LBB49_145:
	s_or_b32 exec_lo, exec_lo, s0
	s_and_saveexec_b32 s0, vcc_lo
	s_cbranch_execnz .LBB49_205
.LBB49_146:
	s_or_b32 exec_lo, exec_lo, s0
	s_and_saveexec_b32 s0, vcc_lo
	s_cbranch_execnz .LBB49_206
.LBB49_147:
	s_or_b32 exec_lo, exec_lo, s0
	s_and_saveexec_b32 s0, vcc_lo
	s_cbranch_execnz .LBB49_207
.LBB49_148:
	s_or_b32 exec_lo, exec_lo, s0
	s_and_saveexec_b32 s0, vcc_lo
	s_cbranch_execnz .LBB49_208
.LBB49_149:
	s_or_b32 exec_lo, exec_lo, s0
	s_and_saveexec_b32 s0, vcc_lo
	s_cbranch_execnz .LBB49_209
.LBB49_150:
	s_or_b32 exec_lo, exec_lo, s0
	s_and_saveexec_b32 s0, vcc_lo
	s_cbranch_execnz .LBB49_210
.LBB49_151:
	s_or_b32 exec_lo, exec_lo, s0
	s_and_saveexec_b32 s0, vcc_lo
	s_cbranch_execnz .LBB49_211
.LBB49_152:
	s_or_b32 exec_lo, exec_lo, s0
	s_and_saveexec_b32 s0, vcc_lo
	s_cbranch_execnz .LBB49_212
.LBB49_153:
	s_or_b32 exec_lo, exec_lo, s0
	s_and_saveexec_b32 s0, vcc_lo
	s_cbranch_execnz .LBB49_213
.LBB49_154:
	s_or_b32 exec_lo, exec_lo, s0
	s_and_saveexec_b32 s0, vcc_lo
	s_cbranch_execnz .LBB49_214
.LBB49_155:
	s_or_b32 exec_lo, exec_lo, s0
	s_and_saveexec_b32 s0, vcc_lo
	s_cbranch_execnz .LBB49_215
.LBB49_156:
	s_or_b32 exec_lo, exec_lo, s0
	s_and_saveexec_b32 s0, vcc_lo
	s_cbranch_execnz .LBB49_216
.LBB49_157:
	s_or_b32 exec_lo, exec_lo, s0
	s_and_saveexec_b32 s0, vcc_lo
	s_cbranch_execnz .LBB49_217
.LBB49_158:
	s_or_b32 exec_lo, exec_lo, s0
	s_and_saveexec_b32 s0, vcc_lo
	s_cbranch_execnz .LBB49_218
.LBB49_159:
	s_or_b32 exec_lo, exec_lo, s0
	s_and_saveexec_b32 s0, vcc_lo
	s_cbranch_execz .LBB49_161
.LBB49_160:
	ds_load_b32 v29, v29 offset:432
	s_waitcnt lgkmcnt(0)
	v_add_f32_e32 v28, v28, v29
.LBB49_161:
	s_or_b32 exec_lo, exec_lo, s0
.LBB49_162:
	s_delay_alu instid0(SALU_CYCLE_1)
	s_or_b32 exec_lo, exec_lo, s1
	s_barrier
	buffer_gl0_inv
	s_mov_b32 s0, exec_lo
	v_cmpx_eq_u32_e32 0, v32
	s_cbranch_execz .LBB49_164
; %bb.163:
	s_mul_i32 s0, s6, 0x70
	s_mul_i32 s2, s4, s20
	s_ashr_i32 s1, s0, 31
	v_lshrrev_b32_e32 v0, 1, v0
	s_lshl_b64 s[0:1], s[0:1], 2
	s_delay_alu instid0(SALU_CYCLE_1) | instskip(SKIP_2) | instid1(SALU_CYCLE_1)
	s_add_u32 s4, s22, s0
	s_addc_u32 s5, s23, s1
	s_ashr_i32 s3, s2, 31
	s_lshl_b64 s[0:1], s[2:3], 2
	s_mul_i32 s2, s12, 0x70
	s_add_u32 s4, s4, s0
	s_addc_u32 s5, s5, s1
	s_ashr_i32 s3, s2, 31
	s_delay_alu instid0(SALU_CYCLE_1) | instskip(NEXT) | instid1(SALU_CYCLE_1)
	s_lshl_b64 s[0:1], s[2:3], 2
	s_add_u32 s0, s4, s0
	s_addc_u32 s1, s5, s1
	s_clause 0x1b
	global_store_b32 v0, v1, s[0:1]
	global_store_b32 v0, v2, s[0:1] offset:16
	global_store_b32 v0, v3, s[0:1] offset:32
	global_store_b32 v0, v4, s[0:1] offset:48
	global_store_b32 v0, v5, s[0:1] offset:64
	global_store_b32 v0, v6, s[0:1] offset:80
	global_store_b32 v0, v7, s[0:1] offset:96
	global_store_b32 v0, v8, s[0:1] offset:112
	global_store_b32 v0, v9, s[0:1] offset:128
	global_store_b32 v0, v10, s[0:1] offset:144
	global_store_b32 v0, v11, s[0:1] offset:160
	global_store_b32 v0, v12, s[0:1] offset:176
	global_store_b32 v0, v13, s[0:1] offset:192
	global_store_b32 v0, v14, s[0:1] offset:208
	global_store_b32 v0, v15, s[0:1] offset:224
	global_store_b32 v0, v16, s[0:1] offset:240
	global_store_b32 v0, v17, s[0:1] offset:256
	global_store_b32 v0, v18, s[0:1] offset:272
	global_store_b32 v0, v19, s[0:1] offset:288
	global_store_b32 v0, v20, s[0:1] offset:304
	global_store_b32 v0, v21, s[0:1] offset:320
	global_store_b32 v0, v22, s[0:1] offset:336
	global_store_b32 v0, v23, s[0:1] offset:352
	global_store_b32 v0, v24, s[0:1] offset:368
	global_store_b32 v0, v25, s[0:1] offset:384
	global_store_b32 v0, v26, s[0:1] offset:400
	global_store_b32 v0, v27, s[0:1] offset:416
	global_store_b32 v0, v28, s[0:1] offset:432
.LBB49_164:
	s_nop 0
	s_sendmsg sendmsg(MSG_DEALLOC_VGPRS)
	s_endpgm
.LBB49_165:
	v_lshl_add_u32 v32, v29, 2, v30
	ds_load_b32 v32, v32
	s_waitcnt lgkmcnt(0)
	v_add_f32_e32 v1, v1, v32
	s_or_b32 exec_lo, exec_lo, s0
	s_and_saveexec_b32 s0, vcc_lo
	s_cbranch_execz .LBB49_101
.LBB49_166:
	v_lshl_add_u32 v32, v29, 2, v30
	ds_load_b32 v32, v32 offset:16
	s_waitcnt lgkmcnt(0)
	v_add_f32_e32 v2, v2, v32
	s_or_b32 exec_lo, exec_lo, s0
	s_and_saveexec_b32 s0, vcc_lo
	s_cbranch_execz .LBB49_102
.LBB49_167:
	v_lshl_add_u32 v32, v29, 2, v30
	ds_load_b32 v32, v32 offset:32
	s_waitcnt lgkmcnt(0)
	v_add_f32_e32 v3, v3, v32
	s_or_b32 exec_lo, exec_lo, s0
	s_and_saveexec_b32 s0, vcc_lo
	s_cbranch_execz .LBB49_103
.LBB49_168:
	v_lshl_add_u32 v32, v29, 2, v30
	ds_load_b32 v32, v32 offset:48
	s_waitcnt lgkmcnt(0)
	v_add_f32_e32 v4, v4, v32
	s_or_b32 exec_lo, exec_lo, s0
	s_and_saveexec_b32 s0, vcc_lo
	s_cbranch_execz .LBB49_104
.LBB49_169:
	v_lshl_add_u32 v32, v29, 2, v30
	ds_load_b32 v32, v32 offset:64
	s_waitcnt lgkmcnt(0)
	v_add_f32_e32 v5, v5, v32
	s_or_b32 exec_lo, exec_lo, s0
	s_and_saveexec_b32 s0, vcc_lo
	s_cbranch_execz .LBB49_105
.LBB49_170:
	v_lshl_add_u32 v32, v29, 2, v30
	ds_load_b32 v32, v32 offset:80
	s_waitcnt lgkmcnt(0)
	v_add_f32_e32 v6, v6, v32
	s_or_b32 exec_lo, exec_lo, s0
	s_and_saveexec_b32 s0, vcc_lo
	s_cbranch_execz .LBB49_106
.LBB49_171:
	v_lshl_add_u32 v32, v29, 2, v30
	ds_load_b32 v32, v32 offset:96
	s_waitcnt lgkmcnt(0)
	v_add_f32_e32 v7, v7, v32
	s_or_b32 exec_lo, exec_lo, s0
	s_and_saveexec_b32 s0, vcc_lo
	s_cbranch_execz .LBB49_107
.LBB49_172:
	v_lshl_add_u32 v32, v29, 2, v30
	ds_load_b32 v32, v32 offset:112
	s_waitcnt lgkmcnt(0)
	v_add_f32_e32 v8, v8, v32
	s_or_b32 exec_lo, exec_lo, s0
	s_and_saveexec_b32 s0, vcc_lo
	s_cbranch_execz .LBB49_108
.LBB49_173:
	v_lshl_add_u32 v32, v29, 2, v30
	ds_load_b32 v32, v32 offset:128
	s_waitcnt lgkmcnt(0)
	v_add_f32_e32 v9, v9, v32
	s_or_b32 exec_lo, exec_lo, s0
	s_and_saveexec_b32 s0, vcc_lo
	s_cbranch_execz .LBB49_109
.LBB49_174:
	v_lshl_add_u32 v32, v29, 2, v30
	ds_load_b32 v32, v32 offset:144
	s_waitcnt lgkmcnt(0)
	v_add_f32_e32 v10, v10, v32
	s_or_b32 exec_lo, exec_lo, s0
	s_and_saveexec_b32 s0, vcc_lo
	s_cbranch_execz .LBB49_110
.LBB49_175:
	v_lshl_add_u32 v32, v29, 2, v30
	ds_load_b32 v32, v32 offset:160
	s_waitcnt lgkmcnt(0)
	v_add_f32_e32 v11, v11, v32
	s_or_b32 exec_lo, exec_lo, s0
	s_and_saveexec_b32 s0, vcc_lo
	s_cbranch_execz .LBB49_111
.LBB49_176:
	v_lshl_add_u32 v32, v29, 2, v30
	ds_load_b32 v32, v32 offset:176
	s_waitcnt lgkmcnt(0)
	v_add_f32_e32 v12, v12, v32
	s_or_b32 exec_lo, exec_lo, s0
	s_and_saveexec_b32 s0, vcc_lo
	s_cbranch_execz .LBB49_112
.LBB49_177:
	v_lshl_add_u32 v32, v29, 2, v30
	ds_load_b32 v32, v32 offset:192
	s_waitcnt lgkmcnt(0)
	v_add_f32_e32 v13, v13, v32
	s_or_b32 exec_lo, exec_lo, s0
	s_and_saveexec_b32 s0, vcc_lo
	s_cbranch_execz .LBB49_113
.LBB49_178:
	v_lshl_add_u32 v32, v29, 2, v30
	ds_load_b32 v32, v32 offset:208
	s_waitcnt lgkmcnt(0)
	v_add_f32_e32 v14, v14, v32
	s_or_b32 exec_lo, exec_lo, s0
	s_and_saveexec_b32 s0, vcc_lo
	s_cbranch_execz .LBB49_114
.LBB49_179:
	v_lshl_add_u32 v32, v29, 2, v30
	ds_load_b32 v32, v32 offset:224
	s_waitcnt lgkmcnt(0)
	v_add_f32_e32 v15, v15, v32
	s_or_b32 exec_lo, exec_lo, s0
	s_and_saveexec_b32 s0, vcc_lo
	s_cbranch_execz .LBB49_115
.LBB49_180:
	v_lshl_add_u32 v32, v29, 2, v30
	ds_load_b32 v32, v32 offset:240
	s_waitcnt lgkmcnt(0)
	v_add_f32_e32 v16, v16, v32
	s_or_b32 exec_lo, exec_lo, s0
	s_and_saveexec_b32 s0, vcc_lo
	s_cbranch_execz .LBB49_116
.LBB49_181:
	v_lshl_add_u32 v32, v29, 2, v30
	ds_load_b32 v32, v32 offset:256
	s_waitcnt lgkmcnt(0)
	v_add_f32_e32 v17, v17, v32
	s_or_b32 exec_lo, exec_lo, s0
	s_and_saveexec_b32 s0, vcc_lo
	s_cbranch_execz .LBB49_117
.LBB49_182:
	v_lshl_add_u32 v32, v29, 2, v30
	ds_load_b32 v32, v32 offset:272
	s_waitcnt lgkmcnt(0)
	v_add_f32_e32 v18, v18, v32
	s_or_b32 exec_lo, exec_lo, s0
	s_and_saveexec_b32 s0, vcc_lo
	s_cbranch_execz .LBB49_118
.LBB49_183:
	v_lshl_add_u32 v32, v29, 2, v30
	ds_load_b32 v32, v32 offset:288
	s_waitcnt lgkmcnt(0)
	v_add_f32_e32 v19, v19, v32
	s_or_b32 exec_lo, exec_lo, s0
	s_and_saveexec_b32 s0, vcc_lo
	s_cbranch_execz .LBB49_119
.LBB49_184:
	v_lshl_add_u32 v32, v29, 2, v30
	ds_load_b32 v32, v32 offset:304
	s_waitcnt lgkmcnt(0)
	v_add_f32_e32 v20, v20, v32
	s_or_b32 exec_lo, exec_lo, s0
	s_and_saveexec_b32 s0, vcc_lo
	s_cbranch_execz .LBB49_120
.LBB49_185:
	v_lshl_add_u32 v32, v29, 2, v30
	ds_load_b32 v32, v32 offset:320
	s_waitcnt lgkmcnt(0)
	v_add_f32_e32 v21, v21, v32
	s_or_b32 exec_lo, exec_lo, s0
	s_and_saveexec_b32 s0, vcc_lo
	s_cbranch_execz .LBB49_121
.LBB49_186:
	v_lshl_add_u32 v32, v29, 2, v30
	ds_load_b32 v32, v32 offset:336
	s_waitcnt lgkmcnt(0)
	v_add_f32_e32 v22, v22, v32
	s_or_b32 exec_lo, exec_lo, s0
	s_and_saveexec_b32 s0, vcc_lo
	s_cbranch_execz .LBB49_122
.LBB49_187:
	v_lshl_add_u32 v32, v29, 2, v30
	ds_load_b32 v32, v32 offset:352
	s_waitcnt lgkmcnt(0)
	v_add_f32_e32 v23, v23, v32
	s_or_b32 exec_lo, exec_lo, s0
	s_and_saveexec_b32 s0, vcc_lo
	s_cbranch_execz .LBB49_123
.LBB49_188:
	v_lshl_add_u32 v32, v29, 2, v30
	ds_load_b32 v32, v32 offset:368
	s_waitcnt lgkmcnt(0)
	v_add_f32_e32 v24, v24, v32
	s_or_b32 exec_lo, exec_lo, s0
	s_and_saveexec_b32 s0, vcc_lo
	s_cbranch_execz .LBB49_124
.LBB49_189:
	v_lshl_add_u32 v32, v29, 2, v30
	ds_load_b32 v32, v32 offset:384
	s_waitcnt lgkmcnt(0)
	v_add_f32_e32 v25, v25, v32
	s_or_b32 exec_lo, exec_lo, s0
	s_and_saveexec_b32 s0, vcc_lo
	s_cbranch_execz .LBB49_125
.LBB49_190:
	v_lshl_add_u32 v32, v29, 2, v30
	ds_load_b32 v32, v32 offset:400
	s_waitcnt lgkmcnt(0)
	v_add_f32_e32 v26, v26, v32
	s_or_b32 exec_lo, exec_lo, s0
	s_and_saveexec_b32 s0, vcc_lo
	s_cbranch_execz .LBB49_126
.LBB49_191:
	v_lshl_add_u32 v32, v29, 2, v30
	ds_load_b32 v32, v32 offset:416
	s_waitcnt lgkmcnt(0)
	v_add_f32_e32 v27, v27, v32
	s_or_b32 exec_lo, exec_lo, s0
	s_and_saveexec_b32 s0, vcc_lo
	s_cbranch_execnz .LBB49_127
	s_branch .LBB49_128
.LBB49_192:
	ds_load_b32 v30, v29
	s_waitcnt lgkmcnt(0)
	v_add_f32_e32 v1, v1, v30
	s_or_b32 exec_lo, exec_lo, s0
	s_and_saveexec_b32 s0, vcc_lo
	s_cbranch_execz .LBB49_134
.LBB49_193:
	ds_load_b32 v30, v29 offset:16
	s_waitcnt lgkmcnt(0)
	v_add_f32_e32 v2, v2, v30
	s_or_b32 exec_lo, exec_lo, s0
	s_and_saveexec_b32 s0, vcc_lo
	s_cbranch_execz .LBB49_135
.LBB49_194:
	ds_load_b32 v30, v29 offset:32
	s_waitcnt lgkmcnt(0)
	v_add_f32_e32 v3, v3, v30
	s_or_b32 exec_lo, exec_lo, s0
	s_and_saveexec_b32 s0, vcc_lo
	s_cbranch_execz .LBB49_136
.LBB49_195:
	ds_load_b32 v30, v29 offset:48
	s_waitcnt lgkmcnt(0)
	v_add_f32_e32 v4, v4, v30
	s_or_b32 exec_lo, exec_lo, s0
	s_and_saveexec_b32 s0, vcc_lo
	s_cbranch_execz .LBB49_137
.LBB49_196:
	ds_load_b32 v30, v29 offset:64
	s_waitcnt lgkmcnt(0)
	v_add_f32_e32 v5, v5, v30
	s_or_b32 exec_lo, exec_lo, s0
	s_and_saveexec_b32 s0, vcc_lo
	s_cbranch_execz .LBB49_138
.LBB49_197:
	ds_load_b32 v30, v29 offset:80
	s_waitcnt lgkmcnt(0)
	v_add_f32_e32 v6, v6, v30
	s_or_b32 exec_lo, exec_lo, s0
	s_and_saveexec_b32 s0, vcc_lo
	s_cbranch_execz .LBB49_139
.LBB49_198:
	ds_load_b32 v30, v29 offset:96
	s_waitcnt lgkmcnt(0)
	v_add_f32_e32 v7, v7, v30
	s_or_b32 exec_lo, exec_lo, s0
	s_and_saveexec_b32 s0, vcc_lo
	s_cbranch_execz .LBB49_140
.LBB49_199:
	ds_load_b32 v30, v29 offset:112
	s_waitcnt lgkmcnt(0)
	v_add_f32_e32 v8, v8, v30
	s_or_b32 exec_lo, exec_lo, s0
	s_and_saveexec_b32 s0, vcc_lo
	s_cbranch_execz .LBB49_141
.LBB49_200:
	ds_load_b32 v30, v29 offset:128
	s_waitcnt lgkmcnt(0)
	v_add_f32_e32 v9, v9, v30
	s_or_b32 exec_lo, exec_lo, s0
	s_and_saveexec_b32 s0, vcc_lo
	s_cbranch_execz .LBB49_142
.LBB49_201:
	ds_load_b32 v30, v29 offset:144
	s_waitcnt lgkmcnt(0)
	v_add_f32_e32 v10, v10, v30
	s_or_b32 exec_lo, exec_lo, s0
	s_and_saveexec_b32 s0, vcc_lo
	s_cbranch_execz .LBB49_143
.LBB49_202:
	ds_load_b32 v30, v29 offset:160
	s_waitcnt lgkmcnt(0)
	v_add_f32_e32 v11, v11, v30
	s_or_b32 exec_lo, exec_lo, s0
	s_and_saveexec_b32 s0, vcc_lo
	s_cbranch_execz .LBB49_144
.LBB49_203:
	ds_load_b32 v30, v29 offset:176
	s_waitcnt lgkmcnt(0)
	v_add_f32_e32 v12, v12, v30
	s_or_b32 exec_lo, exec_lo, s0
	s_and_saveexec_b32 s0, vcc_lo
	s_cbranch_execz .LBB49_145
.LBB49_204:
	ds_load_b32 v30, v29 offset:192
	s_waitcnt lgkmcnt(0)
	v_add_f32_e32 v13, v13, v30
	s_or_b32 exec_lo, exec_lo, s0
	s_and_saveexec_b32 s0, vcc_lo
	s_cbranch_execz .LBB49_146
.LBB49_205:
	ds_load_b32 v30, v29 offset:208
	s_waitcnt lgkmcnt(0)
	v_add_f32_e32 v14, v14, v30
	s_or_b32 exec_lo, exec_lo, s0
	s_and_saveexec_b32 s0, vcc_lo
	s_cbranch_execz .LBB49_147
.LBB49_206:
	ds_load_b32 v30, v29 offset:224
	s_waitcnt lgkmcnt(0)
	v_add_f32_e32 v15, v15, v30
	s_or_b32 exec_lo, exec_lo, s0
	s_and_saveexec_b32 s0, vcc_lo
	s_cbranch_execz .LBB49_148
.LBB49_207:
	ds_load_b32 v30, v29 offset:240
	s_waitcnt lgkmcnt(0)
	v_add_f32_e32 v16, v16, v30
	s_or_b32 exec_lo, exec_lo, s0
	s_and_saveexec_b32 s0, vcc_lo
	s_cbranch_execz .LBB49_149
.LBB49_208:
	ds_load_b32 v30, v29 offset:256
	s_waitcnt lgkmcnt(0)
	v_add_f32_e32 v17, v17, v30
	s_or_b32 exec_lo, exec_lo, s0
	s_and_saveexec_b32 s0, vcc_lo
	s_cbranch_execz .LBB49_150
.LBB49_209:
	ds_load_b32 v30, v29 offset:272
	s_waitcnt lgkmcnt(0)
	v_add_f32_e32 v18, v18, v30
	s_or_b32 exec_lo, exec_lo, s0
	s_and_saveexec_b32 s0, vcc_lo
	s_cbranch_execz .LBB49_151
.LBB49_210:
	ds_load_b32 v30, v29 offset:288
	s_waitcnt lgkmcnt(0)
	v_add_f32_e32 v19, v19, v30
	s_or_b32 exec_lo, exec_lo, s0
	s_and_saveexec_b32 s0, vcc_lo
	s_cbranch_execz .LBB49_152
.LBB49_211:
	ds_load_b32 v30, v29 offset:304
	s_waitcnt lgkmcnt(0)
	v_add_f32_e32 v20, v20, v30
	s_or_b32 exec_lo, exec_lo, s0
	s_and_saveexec_b32 s0, vcc_lo
	s_cbranch_execz .LBB49_153
.LBB49_212:
	ds_load_b32 v30, v29 offset:320
	s_waitcnt lgkmcnt(0)
	v_add_f32_e32 v21, v21, v30
	s_or_b32 exec_lo, exec_lo, s0
	s_and_saveexec_b32 s0, vcc_lo
	s_cbranch_execz .LBB49_154
.LBB49_213:
	ds_load_b32 v30, v29 offset:336
	s_waitcnt lgkmcnt(0)
	v_add_f32_e32 v22, v22, v30
	s_or_b32 exec_lo, exec_lo, s0
	s_and_saveexec_b32 s0, vcc_lo
	s_cbranch_execz .LBB49_155
.LBB49_214:
	ds_load_b32 v30, v29 offset:352
	s_waitcnt lgkmcnt(0)
	v_add_f32_e32 v23, v23, v30
	s_or_b32 exec_lo, exec_lo, s0
	s_and_saveexec_b32 s0, vcc_lo
	s_cbranch_execz .LBB49_156
.LBB49_215:
	ds_load_b32 v30, v29 offset:368
	s_waitcnt lgkmcnt(0)
	v_add_f32_e32 v24, v24, v30
	s_or_b32 exec_lo, exec_lo, s0
	s_and_saveexec_b32 s0, vcc_lo
	s_cbranch_execz .LBB49_157
.LBB49_216:
	ds_load_b32 v30, v29 offset:384
	s_waitcnt lgkmcnt(0)
	v_add_f32_e32 v25, v25, v30
	s_or_b32 exec_lo, exec_lo, s0
	s_and_saveexec_b32 s0, vcc_lo
	s_cbranch_execz .LBB49_158
.LBB49_217:
	ds_load_b32 v30, v29 offset:400
	s_waitcnt lgkmcnt(0)
	v_add_f32_e32 v26, v26, v30
	s_or_b32 exec_lo, exec_lo, s0
	s_and_saveexec_b32 s0, vcc_lo
	s_cbranch_execz .LBB49_159
.LBB49_218:
	ds_load_b32 v30, v29 offset:416
	s_waitcnt lgkmcnt(0)
	v_add_f32_e32 v27, v27, v30
	s_or_b32 exec_lo, exec_lo, s0
	s_and_saveexec_b32 s0, vcc_lo
	s_cbranch_execnz .LBB49_160
	s_branch .LBB49_161
	.section	.rodata,"a",@progbits
	.p2align	6, 0x0
	.amdhsa_kernel _ZN4vllm25paged_attention_v2_kernelIffLi112ELi32ELi128ELNS_18Fp8KVCacheDataTypeE0ELb1ELi512EEEvPfS2_PT_PKS3_PKT0_S9_ifPKiSB_iPKfiiiSD_SD_iiiii
		.amdhsa_group_segment_fixed_size 480
		.amdhsa_private_segment_fixed_size 0
		.amdhsa_kernarg_size 400
		.amdhsa_user_sgpr_count 13
		.amdhsa_user_sgpr_dispatch_ptr 0
		.amdhsa_user_sgpr_queue_ptr 0
		.amdhsa_user_sgpr_kernarg_segment_ptr 1
		.amdhsa_user_sgpr_dispatch_id 0
		.amdhsa_user_sgpr_private_segment_size 0
		.amdhsa_wavefront_size32 1
		.amdhsa_uses_dynamic_stack 0
		.amdhsa_enable_private_segment 0
		.amdhsa_system_sgpr_workgroup_id_x 1
		.amdhsa_system_sgpr_workgroup_id_y 1
		.amdhsa_system_sgpr_workgroup_id_z 1
		.amdhsa_system_sgpr_workgroup_info 0
		.amdhsa_system_vgpr_workitem_id 0
		.amdhsa_next_free_vgpr 183
		.amdhsa_next_free_sgpr 46
		.amdhsa_reserve_vcc 1
		.amdhsa_float_round_mode_32 0
		.amdhsa_float_round_mode_16_64 0
		.amdhsa_float_denorm_mode_32 3
		.amdhsa_float_denorm_mode_16_64 3
		.amdhsa_dx10_clamp 1
		.amdhsa_ieee_mode 1
		.amdhsa_fp16_overflow 0
		.amdhsa_workgroup_processor_mode 1
		.amdhsa_memory_ordered 1
		.amdhsa_forward_progress 0
		.amdhsa_shared_vgpr_count 0
		.amdhsa_exception_fp_ieee_invalid_op 0
		.amdhsa_exception_fp_denorm_src 0
		.amdhsa_exception_fp_ieee_div_zero 0
		.amdhsa_exception_fp_ieee_overflow 0
		.amdhsa_exception_fp_ieee_underflow 0
		.amdhsa_exception_fp_ieee_inexact 0
		.amdhsa_exception_int_div_zero 0
	.end_amdhsa_kernel
	.section	.text._ZN4vllm25paged_attention_v2_kernelIffLi112ELi32ELi128ELNS_18Fp8KVCacheDataTypeE0ELb1ELi512EEEvPfS2_PT_PKS3_PKT0_S9_ifPKiSB_iPKfiiiSD_SD_iiiii,"axG",@progbits,_ZN4vllm25paged_attention_v2_kernelIffLi112ELi32ELi128ELNS_18Fp8KVCacheDataTypeE0ELb1ELi512EEEvPfS2_PT_PKS3_PKT0_S9_ifPKiSB_iPKfiiiSD_SD_iiiii,comdat
.Lfunc_end49:
	.size	_ZN4vllm25paged_attention_v2_kernelIffLi112ELi32ELi128ELNS_18Fp8KVCacheDataTypeE0ELb1ELi512EEEvPfS2_PT_PKS3_PKT0_S9_ifPKiSB_iPKfiiiSD_SD_iiiii, .Lfunc_end49-_ZN4vllm25paged_attention_v2_kernelIffLi112ELi32ELi128ELNS_18Fp8KVCacheDataTypeE0ELb1ELi512EEEvPfS2_PT_PKS3_PKT0_S9_ifPKiSB_iPKfiiiSD_SD_iiiii
                                        ; -- End function
	.section	.AMDGPU.csdata,"",@progbits
; Kernel info:
; codeLenInByte = 13072
; NumSgprs: 48
; NumVgprs: 183
; ScratchSize: 0
; MemoryBound: 0
; FloatMode: 240
; IeeeMode: 1
; LDSByteSize: 480 bytes/workgroup (compile time only)
; SGPRBlocks: 5
; VGPRBlocks: 22
; NumSGPRsForWavesPerEU: 48
; NumVGPRsForWavesPerEU: 183
; Occupancy: 8
; WaveLimiterHint : 1
; COMPUTE_PGM_RSRC2:SCRATCH_EN: 0
; COMPUTE_PGM_RSRC2:USER_SGPR: 13
; COMPUTE_PGM_RSRC2:TRAP_HANDLER: 0
; COMPUTE_PGM_RSRC2:TGID_X_EN: 1
; COMPUTE_PGM_RSRC2:TGID_Y_EN: 1
; COMPUTE_PGM_RSRC2:TGID_Z_EN: 1
; COMPUTE_PGM_RSRC2:TIDIG_COMP_CNT: 0
	.section	.text._ZN4vllm25paged_attention_v2_kernelIffLi120ELi32ELi128ELNS_18Fp8KVCacheDataTypeE0ELb1ELi512EEEvPfS2_PT_PKS3_PKT0_S9_ifPKiSB_iPKfiiiSD_SD_iiiii,"axG",@progbits,_ZN4vllm25paged_attention_v2_kernelIffLi120ELi32ELi128ELNS_18Fp8KVCacheDataTypeE0ELb1ELi512EEEvPfS2_PT_PKS3_PKT0_S9_ifPKiSB_iPKfiiiSD_SD_iiiii,comdat
	.protected	_ZN4vllm25paged_attention_v2_kernelIffLi120ELi32ELi128ELNS_18Fp8KVCacheDataTypeE0ELb1ELi512EEEvPfS2_PT_PKS3_PKT0_S9_ifPKiSB_iPKfiiiSD_SD_iiiii ; -- Begin function _ZN4vllm25paged_attention_v2_kernelIffLi120ELi32ELi128ELNS_18Fp8KVCacheDataTypeE0ELb1ELi512EEEvPfS2_PT_PKS3_PKT0_S9_ifPKiSB_iPKfiiiSD_SD_iiiii
	.globl	_ZN4vllm25paged_attention_v2_kernelIffLi120ELi32ELi128ELNS_18Fp8KVCacheDataTypeE0ELb1ELi512EEEvPfS2_PT_PKS3_PKT0_S9_ifPKiSB_iPKfiiiSD_SD_iiiii
	.p2align	8
	.type	_ZN4vllm25paged_attention_v2_kernelIffLi120ELi32ELi128ELNS_18Fp8KVCacheDataTypeE0ELb1ELi512EEEvPfS2_PT_PKS3_PKT0_S9_ifPKiSB_iPKfiiiSD_SD_iiiii,@function
_ZN4vllm25paged_attention_v2_kernelIffLi120ELi32ELi128ELNS_18Fp8KVCacheDataTypeE0ELb1ELi512EEEvPfS2_PT_PKS3_PKT0_S9_ifPKiSB_iPKfiiiSD_SD_iiiii: ; @_ZN4vllm25paged_attention_v2_kernelIffLi120ELi32ELi128ELNS_18Fp8KVCacheDataTypeE0ELb1ELi512EEEvPfS2_PT_PKS3_PKT0_S9_ifPKiSB_iPKfiiiSD_SD_iiiii
; %bb.0:
	s_load_b64 s[2:3], s[0:1], 0x40
	s_mov_b32 s12, s15
	s_ashr_i32 s15, s14, 31
	s_delay_alu instid0(SALU_CYCLE_1)
	s_lshl_b64 s[4:5], s[14:15], 2
	s_waitcnt lgkmcnt(0)
	s_add_u32 s2, s2, s4
	s_addc_u32 s3, s3, s5
	s_lshl_b32 s37, s12, 9
	s_load_b32 s15, s[2:3], 0x0
	s_waitcnt lgkmcnt(0)
	s_cmp_ge_i32 s37, s15
	s_cbranch_scc1 .LBB50_172
; %bb.1:
	s_mov_b32 s24, s13
	s_clause 0x1
	s_load_b32 s13, s[0:1], 0x90
	s_load_b64 s[2:3], s[0:1], 0x30
	s_mov_b32 s39, 0
	s_waitcnt lgkmcnt(0)
	s_abs_i32 s7, s13
	s_abs_i32 s4, s2
	s_delay_alu instid0(SALU_CYCLE_1) | instskip(SKIP_1) | instid1(VALU_DEP_1)
	v_cvt_f32_u32_e32 v1, s4
	s_sub_i32 s6, 0, s4
	v_rcp_iflag_f32_e32 v1, v1
	s_waitcnt_depctr 0xfff
	v_mul_f32_e32 v1, 0x4f7ffffe, v1
	s_delay_alu instid0(VALU_DEP_1) | instskip(NEXT) | instid1(VALU_DEP_1)
	v_cvt_u32_f32_e32 v1, v1
	v_readfirstlane_b32 s5, v1
	s_delay_alu instid0(VALU_DEP_1) | instskip(NEXT) | instid1(SALU_CYCLE_1)
	s_mul_i32 s6, s6, s5
	s_mul_hi_u32 s6, s5, s6
	s_delay_alu instid0(SALU_CYCLE_1) | instskip(SKIP_4) | instid1(SALU_CYCLE_1)
	s_add_i32 s5, s5, s6
	s_xor_b32 s6, s13, s2
	s_mul_hi_u32 s5, s7, s5
	s_ashr_i32 s6, s6, 31
	s_mul_i32 s8, s5, s4
	s_sub_i32 s7, s7, s8
	s_add_i32 s8, s5, 1
	s_sub_i32 s9, s7, s4
	s_cmp_ge_u32 s7, s4
	s_cselect_b32 s5, s8, s5
	s_cselect_b32 s7, s9, s7
	s_add_i32 s8, s5, 1
	s_cmp_ge_u32 s7, s4
	s_cselect_b32 s4, s8, s5
	s_abs_i32 s17, s24
	s_xor_b32 s4, s4, s6
	s_delay_alu instid0(SALU_CYCLE_1) | instskip(SKIP_2) | instid1(SALU_CYCLE_1)
	s_sub_i32 s8, s4, s6
	s_load_b64 s[4:5], s[0:1], 0x50
	s_abs_i32 s16, s8
	v_cvt_f32_u32_e32 v1, s16
	s_sub_i32 s7, 0, s16
	s_delay_alu instid0(VALU_DEP_1) | instskip(SKIP_2) | instid1(VALU_DEP_1)
	v_rcp_iflag_f32_e32 v1, v1
	s_waitcnt_depctr 0xfff
	v_mul_f32_e32 v1, 0x4f7ffffe, v1
	v_cvt_u32_f32_e32 v1, v1
	s_delay_alu instid0(VALU_DEP_1) | instskip(NEXT) | instid1(VALU_DEP_1)
	v_readfirstlane_b32 s6, v1
	s_mul_i32 s7, s7, s6
	s_delay_alu instid0(SALU_CYCLE_1) | instskip(NEXT) | instid1(SALU_CYCLE_1)
	s_mul_hi_u32 s7, s6, s7
	s_add_i32 s6, s6, s7
	s_waitcnt lgkmcnt(0)
	s_cmp_eq_u64 s[4:5], 0
	s_mul_hi_u32 s18, s17, s6
	s_cbranch_scc1 .LBB50_3
; %bb.2:
	s_ashr_i32 s25, s24, 31
	s_delay_alu instid0(SALU_CYCLE_1) | instskip(NEXT) | instid1(SALU_CYCLE_1)
	s_lshl_b64 s[6:7], s[24:25], 2
	s_add_u32 s4, s4, s6
	s_addc_u32 s5, s5, s7
	s_load_b32 s39, s[4:5], 0x0
.LBB50_3:
	s_load_b128 s[4:7], s[0:1], 0x58
	s_waitcnt lgkmcnt(0)
	s_ashr_i32 s7, s24, 31
	s_ashr_i32 s19, s8, 31
	s_mul_i32 s20, s24, 0x78
	s_mov_b32 s8, exec_lo
	v_cmpx_gt_u32_e32 30, v0
	s_cbranch_execz .LBB50_5
; %bb.4:
	s_load_b64 s[10:11], s[0:1], 0x18
	s_mul_i32 s22, s14, s4
	v_lshlrev_b32_e32 v5, 4, v0
	s_ashr_i32 s23, s22, 31
	s_delay_alu instid0(SALU_CYCLE_1) | instskip(SKIP_4) | instid1(SALU_CYCLE_1)
	s_lshl_b64 s[22:23], s[22:23], 2
	s_waitcnt lgkmcnt(0)
	s_add_u32 s4, s10, s22
	s_addc_u32 s9, s11, s23
	s_ashr_i32 s21, s20, 31
	s_lshl_b64 s[10:11], s[20:21], 2
	s_delay_alu instid0(SALU_CYCLE_1)
	s_add_u32 s10, s4, s10
	s_addc_u32 s11, s9, s11
	global_load_b128 v[1:4], v5, s[10:11]
	s_waitcnt vmcnt(0)
	ds_store_b128 v5, v[1:4]
.LBB50_5:
	s_or_b32 exec_lo, exec_lo, s8
	s_load_b128 s[8:11], s[0:1], 0x78
	s_mul_i32 s4, s18, s16
	s_xor_b32 s7, s7, s19
	s_sub_i32 s4, s17, s4
	s_add_i32 s17, s18, 1
	s_sub_i32 s19, s4, s16
	s_cmp_ge_u32 s4, s16
	s_waitcnt lgkmcnt(0)
	s_cselect_b32 s17, s17, s18
	s_cselect_b32 s4, s19, s4
	s_add_i32 s18, s17, 1
	s_cmp_ge_u32 s4, s16
	s_load_b32 s4, s[0:1], 0x88
	s_cselect_b32 s16, s18, s17
	s_mov_b32 s17, -1
	s_xor_b32 s16, s16, s7
	s_waitcnt lgkmcnt(0)
	s_barrier
	s_sub_i32 s34, s16, s7
	s_add_i32 s16, s15, -1
	buffer_gl0_inv
	s_abs_i32 s21, s11
	s_abs_i32 s28, s16
	v_cvt_f32_u32_e32 v1, s21
	s_sub_i32 s7, 0, s21
                                        ; implicit-def: $sgpr33
	s_delay_alu instid0(VALU_DEP_1) | instskip(SKIP_2) | instid1(VALU_DEP_1)
	v_rcp_iflag_f32_e32 v1, v1
	s_waitcnt_depctr 0xfff
	v_mul_f32_e32 v1, 0x4f7ffffe, v1
	v_cvt_u32_f32_e32 v1, v1
	s_delay_alu instid0(VALU_DEP_1) | instskip(NEXT) | instid1(VALU_DEP_1)
	v_readfirstlane_b32 s25, v1
	s_mul_i32 s7, s7, s25
	s_delay_alu instid0(SALU_CYCLE_1) | instskip(NEXT) | instid1(SALU_CYCLE_1)
	s_mul_hi_u32 s7, s25, s7
	s_add_i32 s25, s25, s7
	s_cmp_lt_i32 s4, 0
	s_mul_hi_u32 s7, s28, s25
	s_cbranch_scc0 .LBB50_7
; %bb.6:
	s_mul_i32 s2, s8, s2
	s_mov_b32 s17, 0
	s_add_i32 s2, s34, s2
	s_delay_alu instid0(SALU_CYCLE_1) | instskip(NEXT) | instid1(SALU_CYCLE_1)
	s_mul_i32 s2, s2, s4
	s_sub_i32 s33, 1, s2
.LBB50_7:
	s_load_b64 s[26:27], s[0:1], 0x38
	s_ashr_i32 s2, s16, 31
	s_and_not1_b32 vcc_lo, exec_lo, s17
	s_ashr_i32 s11, s11, 31
	s_cbranch_vccnz .LBB50_9
; %bb.8:
	s_mul_i32 s8, s13, s8
	s_delay_alu instid0(SALU_CYCLE_1) | instskip(NEXT) | instid1(SALU_CYCLE_1)
	s_add_i32 s8, s8, s24
	s_mul_i32 s4, s8, s4
	s_delay_alu instid0(SALU_CYCLE_1)
	s_add_i32 s33, s4, 1
.LBB50_9:
	s_clause 0x4
	s_load_b32 s8, s[0:1], 0x48
	s_load_b64 s[30:31], s[0:1], 0x28
	s_load_b32 s4, s[0:1], 0x98
	s_load_b128 s[16:19], s[0:1], 0x0
	s_load_b64 s[22:23], s[0:1], 0x10
	s_xor_b32 s35, s2, s11
	s_mul_i32 s2, s7, s21
	s_add_i32 s36, s7, 1
	s_sub_i32 s2, s28, s2
	v_lshrrev_b32_e32 v166, 5, v0
	v_dual_mov_b32 v128, 0xff7fffff :: v_dual_and_b32 v165, 31, v0
	s_mul_i32 s34, s34, s6
	s_delay_alu instid0(VALU_DEP_2) | instskip(NEXT) | instid1(VALU_DEP_2)
	v_lshl_add_u32 v130, v166, 5, s37
	v_lshlrev_b32_e32 v127, 2, v165
	s_waitcnt lgkmcnt(0)
	s_mul_i32 s28, s14, s8
	s_sub_i32 s8, s2, s21
	s_ashr_i32 s29, s28, 31
	s_cmp_ge_u32 s2, s21
	s_cselect_b32 s7, s36, s7
	s_cselect_b32 s2, s8, s2
	s_add_i32 s8, s7, 1
	s_cmp_ge_u32 s2, s21
	s_cselect_b32 s2, s8, s7
	s_add_i32 s8, s15, 31
	s_lshl_b32 s7, s12, 4
	s_ashr_i32 s36, s8, 31
	v_add_nc_u32_e32 v125, s7, v166
	s_lshr_b32 s36, s36, 27
	s_add_i32 s38, s7, 16
	s_add_i32 s8, s8, s36
	s_xor_b32 s40, s2, s35
	s_ashr_i32 s36, s8, 5
	v_ashrrev_i32_e32 v126, 31, v125
	s_min_i32 s8, s38, s36
	s_sub_i32 s38, s40, s35
	v_cmp_gt_i32_e64 s2, s8, v125
	s_delay_alu instid0(VALU_DEP_1)
	s_and_saveexec_b32 s6, s2
	s_cbranch_execz .LBB50_17
; %bb.10:
	s_load_b64 s[0:1], s[0:1], 0x20
	s_ashr_i32 s35, s34, 31
	s_sub_i32 s40, s38, s9
	s_lshl_b64 s[42:43], s[34:35], 2
	v_dual_mov_b32 v117, 0 :: v_dual_mov_b32 v132, v125
	ds_load_b128 v[1:4], v117
	ds_load_b128 v[5:8], v117 offset:16
	ds_load_b128 v[9:12], v117 offset:32
	;; [unrolled: 1-line block ×7, first 2 shown]
	v_subrev_nc_u32_e32 v124, s15, v165
	v_lshlrev_b64 v[121:122], 2, v[125:126]
	v_dual_mov_b32 v128, 0xff7fffff :: v_dual_lshlrev_b32 v123, 4, v165
	v_lshl_or_b32 v134, v166, 7, v127
	s_delay_alu instid0(VALU_DEP_4)
	v_add_nc_u32_e32 v133, 1, v124
	v_cmp_neq_f32_e64 vcc_lo, s39, 0
	v_lshl_add_u32 v129, v166, 5, s37
	s_waitcnt lgkmcnt(0)
	s_add_u32 s41, s0, s42
	s_addc_u32 s42, s1, s43
	s_abs_i32 s35, s10
	v_mov_b32_e32 v131, 0xff7fffff
	v_cvt_f32_u32_e32 v33, s35
	s_sub_i32 s0, 0, s35
	v_add_nc_u32_e32 v134, 0x200, v134
	s_delay_alu instid0(VALU_DEP_2)
	v_rcp_iflag_f32_e32 v73, v33
	ds_load_b128 v[33:36], v117 offset:128
	ds_load_b128 v[37:40], v117 offset:144
	;; [unrolled: 1-line block ×10, first 2 shown]
	v_mul_f32_e32 v89, 0x4f7ffffe, v73
	ds_load_b128 v[73:76], v117 offset:288
	ds_load_b128 v[77:80], v117 offset:304
	ds_load_b128 v[81:84], v117 offset:320
	ds_load_b128 v[85:88], v117 offset:336
	v_cvt_u32_f32_e32 v137, v89
	ds_load_b128 v[89:92], v117 offset:352
	ds_load_b128 v[93:96], v117 offset:368
	;; [unrolled: 1-line block ×8, first 2 shown]
	v_mul_lo_u32 v135, s0, v137
	s_lshl_b64 s[0:1], s[28:29], 2
	s_delay_alu instid0(SALU_CYCLE_1) | instskip(SKIP_2) | instid1(VALU_DEP_1)
	s_add_u32 s0, s26, s0
	s_addc_u32 s1, s27, s1
	v_add_co_u32 v121, s0, s0, v121
	v_add_co_ci_u32_e64 v122, s0, s1, v122, s0
	s_delay_alu instid0(VALU_DEP_3) | instskip(SKIP_1) | instid1(VALU_DEP_1)
	v_mul_hi_u32 v124, v137, v135
	v_add_co_u32 v135, s41, s41, v123
	v_add_co_ci_u32_e64 v136, null, s42, 0, s41
	s_mov_b32 s42, s5
	s_mov_b32 s41, 0
	s_delay_alu instid0(VALU_DEP_3)
	v_add_nc_u32_e32 v137, v137, v124
	s_branch .LBB50_12
.LBB50_11:                              ;   in Loop: Header=BB50_12 Depth=1
	s_or_b32 exec_lo, exec_lo, s1
	v_add_nc_u32_e32 v132, 4, v132
	v_add_co_u32 v121, s1, v121, 16
	s_delay_alu instid0(VALU_DEP_1) | instskip(NEXT) | instid1(VALU_DEP_3)
	v_add_co_ci_u32_e64 v122, s1, 0, v122, s1
	v_cmp_le_i32_e64 s0, s8, v132
	v_add_nc_u32_e32 v129, 0x80, v129
	v_add_nc_u32_e32 v134, 0x200, v134
	s_delay_alu instid0(VALU_DEP_3) | instskip(NEXT) | instid1(SALU_CYCLE_1)
	s_or_b32 s41, s0, s41
	s_and_not1_b32 exec_lo, exec_lo, s41
	s_cbranch_execz .LBB50_16
.LBB50_12:                              ; =>This Inner Loop Header: Depth=1
	v_sub_nc_u32_e32 v123, 0, v129
	s_delay_alu instid0(VALU_DEP_1) | instskip(NEXT) | instid1(VALU_DEP_1)
	v_max_i32_e32 v123, v129, v123
	v_mul_hi_u32 v124, v123, s25
	s_delay_alu instid0(VALU_DEP_1) | instskip(NEXT) | instid1(VALU_DEP_1)
	v_mul_lo_u32 v138, v124, s21
	v_sub_nc_u32_e32 v123, v123, v138
	v_add_nc_u32_e32 v138, 1, v124
	s_delay_alu instid0(VALU_DEP_2) | instskip(SKIP_1) | instid1(VALU_DEP_1)
	v_subrev_nc_u32_e32 v139, s21, v123
	v_cmp_le_u32_e64 s0, s21, v123
	v_cndmask_b32_e64 v124, v124, v138, s0
	s_delay_alu instid0(VALU_DEP_3) | instskip(SKIP_1) | instid1(VALU_DEP_3)
	v_cndmask_b32_e64 v123, v123, v139, s0
	v_ashrrev_i32_e32 v138, 31, v129
	v_add_nc_u32_e32 v139, 1, v124
	s_delay_alu instid0(VALU_DEP_3) | instskip(NEXT) | instid1(VALU_DEP_3)
	v_cmp_le_u32_e64 s0, s21, v123
	v_xor_b32_e32 v138, s11, v138
	s_delay_alu instid0(VALU_DEP_2) | instskip(NEXT) | instid1(VALU_DEP_1)
	v_cndmask_b32_e64 v123, v124, v139, s0
	v_xor_b32_e32 v123, v123, v138
	s_delay_alu instid0(VALU_DEP_1) | instskip(NEXT) | instid1(VALU_DEP_1)
	v_sub_nc_u32_e32 v123, v123, v138
	v_add_nc_u32_e32 v124, s33, v123
	v_cmp_ge_i32_e64 s1, s40, v123
	s_delay_alu instid0(VALU_DEP_2) | instskip(NEXT) | instid1(VALU_DEP_1)
	v_sub_nc_u32_e32 v138, 0, v124
	v_max_i32_e32 v138, v124, v138
	v_ashrrev_i32_e32 v124, 31, v124
	s_delay_alu instid0(VALU_DEP_2) | instskip(NEXT) | instid1(VALU_DEP_1)
	v_mul_hi_u32 v139, v138, v137
	v_mul_lo_u32 v139, v139, s35
	s_delay_alu instid0(VALU_DEP_1) | instskip(NEXT) | instid1(VALU_DEP_1)
	v_sub_nc_u32_e32 v138, v138, v139
	v_subrev_nc_u32_e32 v139, s35, v138
	v_cmp_le_u32_e64 s0, s35, v138
	s_delay_alu instid0(VALU_DEP_1) | instskip(NEXT) | instid1(VALU_DEP_1)
	v_cndmask_b32_e64 v138, v138, v139, s0
	v_subrev_nc_u32_e32 v139, s35, v138
	v_cmp_le_u32_e64 s0, s35, v138
	s_delay_alu instid0(VALU_DEP_1) | instskip(NEXT) | instid1(VALU_DEP_1)
	v_cndmask_b32_e64 v138, v138, v139, s0
	v_xor_b32_e32 v138, v138, v124
	s_delay_alu instid0(VALU_DEP_1) | instskip(NEXT) | instid1(VALU_DEP_1)
	v_sub_nc_u32_e32 v124, v138, v124
	v_cmp_ne_u32_e64 s0, 0, v124
	s_delay_alu instid0(VALU_DEP_1) | instskip(NEXT) | instid1(SALU_CYCLE_1)
	s_and_b32 s0, s0, s1
	s_and_saveexec_b32 s1, s0
	s_delay_alu instid0(SALU_CYCLE_1)
	s_xor_b32 s0, exec_lo, s1
	s_cbranch_execz .LBB50_14
; %bb.13:                               ;   in Loop: Header=BB50_12 Depth=1
	ds_store_b32 v134, v131
.LBB50_14:                              ;   in Loop: Header=BB50_12 Depth=1
	s_and_not1_saveexec_b32 s1, s0
	s_cbranch_execz .LBB50_11
; %bb.15:                               ;   in Loop: Header=BB50_12 Depth=1
	global_load_b32 v138, v[121:122], off
	s_waitcnt vmcnt(0)
	v_mad_i64_i32 v[123:124], null, v138, s42, 0
	s_delay_alu instid0(VALU_DEP_1) | instskip(NEXT) | instid1(VALU_DEP_1)
	v_lshlrev_b64 v[123:124], 2, v[123:124]
	v_add_co_u32 v123, s0, v135, v123
	s_delay_alu instid0(VALU_DEP_1)
	v_add_co_ci_u32_e64 v124, s0, v136, v124, s0
	global_load_b128 v[140:143], v[123:124], off offset:512
	s_waitcnt vmcnt(0)
	v_dual_mul_f32 v139, v7, v142 :: v_dual_mul_f32 v138, v8, v143
	global_load_b128 v[142:145], v[123:124], off
	v_dual_mul_f32 v140, v5, v140 :: v_dual_mul_f32 v141, v6, v141
	s_waitcnt vmcnt(0)
	s_delay_alu instid0(VALU_DEP_1)
	v_dual_fmac_f32 v140, v1, v142 :: v_dual_fmac_f32 v141, v2, v143
	v_dual_fmac_f32 v139, v3, v144 :: v_dual_fmac_f32 v138, v4, v145
	s_clause 0x1
	global_load_b128 v[142:145], v[123:124], off offset:1024
	global_load_b128 v[146:149], v[123:124], off offset:1536
	s_waitcnt vmcnt(1)
	v_dual_fmac_f32 v140, v9, v142 :: v_dual_fmac_f32 v141, v10, v143
	v_dual_fmac_f32 v139, v11, v144 :: v_dual_fmac_f32 v138, v12, v145
	s_waitcnt vmcnt(0)
	s_delay_alu instid0(VALU_DEP_2) | instskip(NEXT) | instid1(VALU_DEP_2)
	v_dual_fmac_f32 v140, v13, v146 :: v_dual_fmac_f32 v141, v14, v147
	v_dual_fmac_f32 v139, v15, v148 :: v_dual_fmac_f32 v138, v16, v149
	s_clause 0x1
	global_load_b128 v[142:145], v[123:124], off offset:2048
	global_load_b128 v[146:149], v[123:124], off offset:2560
	s_waitcnt vmcnt(1)
	v_dual_fmac_f32 v140, v17, v142 :: v_dual_fmac_f32 v141, v18, v143
	v_dual_fmac_f32 v139, v19, v144 :: v_dual_fmac_f32 v138, v20, v145
	s_waitcnt vmcnt(0)
	s_delay_alu instid0(VALU_DEP_2) | instskip(NEXT) | instid1(VALU_DEP_2)
	v_dual_fmac_f32 v140, v21, v146 :: v_dual_fmac_f32 v141, v22, v147
	v_dual_fmac_f32 v139, v23, v148 :: v_dual_fmac_f32 v138, v24, v149
	s_clause 0x1
	global_load_b128 v[142:145], v[123:124], off offset:3072
	global_load_b128 v[146:149], v[123:124], off offset:3584
	s_waitcnt vmcnt(1)
	v_dual_fmac_f32 v140, v25, v142 :: v_dual_fmac_f32 v141, v26, v143
	v_dual_fmac_f32 v139, v27, v144 :: v_dual_fmac_f32 v138, v28, v145
	s_waitcnt vmcnt(0)
	s_delay_alu instid0(VALU_DEP_2) | instskip(SKIP_1) | instid1(VALU_DEP_1)
	v_dual_fmac_f32 v140, v29, v146 :: v_dual_fmac_f32 v141, v30, v147
	v_add_co_u32 v146, s0, v123, 0x2000
	v_add_co_ci_u32_e64 v147, s0, 0, v124, s0
	v_dual_fmac_f32 v139, v31, v148 :: v_dual_fmac_f32 v138, v32, v149
	s_clause 0x1
	global_load_b128 v[142:145], v[146:147], off offset:-4096
	global_load_b128 v[146:149], v[146:147], off
	v_add_co_u32 v154, s0, 0x1000, v123
	s_delay_alu instid0(VALU_DEP_1) | instskip(SKIP_1) | instid1(VALU_DEP_1)
	v_add_co_ci_u32_e64 v155, s0, 0, v124, s0
	v_add_co_u32 v156, s0, 0x2000, v123
	v_add_co_ci_u32_e64 v157, s0, 0, v124, s0
	v_add_co_u32 v123, s0, 0x3000, v123
	s_delay_alu instid0(VALU_DEP_1)
	v_add_co_ci_u32_e64 v124, s0, 0, v124, s0
	s_waitcnt vmcnt(1) lgkmcnt(21)
	v_dual_fmac_f32 v140, v33, v142 :: v_dual_fmac_f32 v141, v34, v143
	v_dual_fmac_f32 v139, v35, v144 :: v_dual_fmac_f32 v138, v36, v145
	s_clause 0x1
	global_load_b128 v[142:145], v[154:155], off offset:512
	global_load_b128 v[150:153], v[154:155], off offset:1024
	s_waitcnt vmcnt(1) lgkmcnt(20)
	v_dual_fmac_f32 v140, v37, v142 :: v_dual_fmac_f32 v141, v38, v143
	v_dual_fmac_f32 v139, v39, v144 :: v_dual_fmac_f32 v138, v40, v145
	s_waitcnt vmcnt(0) lgkmcnt(19)
	s_delay_alu instid0(VALU_DEP_2) | instskip(NEXT) | instid1(VALU_DEP_2)
	v_dual_fmac_f32 v140, v41, v150 :: v_dual_fmac_f32 v141, v42, v151
	v_dual_fmac_f32 v139, v43, v152 :: v_dual_fmac_f32 v138, v44, v153
	s_clause 0x1
	global_load_b128 v[142:145], v[154:155], off offset:1536
	global_load_b128 v[150:153], v[154:155], off offset:2048
	s_waitcnt vmcnt(1) lgkmcnt(18)
	v_dual_fmac_f32 v140, v45, v142 :: v_dual_fmac_f32 v141, v46, v143
	v_dual_fmac_f32 v139, v47, v144 :: v_dual_fmac_f32 v138, v48, v145
	s_waitcnt vmcnt(0) lgkmcnt(17)
	s_delay_alu instid0(VALU_DEP_2) | instskip(NEXT) | instid1(VALU_DEP_2)
	;; [unrolled: 10-line block ×3, first 2 shown]
	v_dual_fmac_f32 v140, v57, v150 :: v_dual_fmac_f32 v141, v58, v151
	v_dual_fmac_f32 v139, v59, v152 :: v_dual_fmac_f32 v138, v60, v153
	s_clause 0x1
	global_load_b128 v[142:145], v[154:155], off offset:3584
	global_load_b128 v[150:153], v[156:157], off offset:512
	s_waitcnt vmcnt(1) lgkmcnt(14)
	v_dual_fmac_f32 v140, v61, v142 :: v_dual_fmac_f32 v141, v62, v143
	v_dual_fmac_f32 v139, v63, v144 :: v_dual_fmac_f32 v138, v64, v145
	s_waitcnt lgkmcnt(13)
	s_delay_alu instid0(VALU_DEP_2) | instskip(NEXT) | instid1(VALU_DEP_2)
	v_dual_fmac_f32 v140, v65, v146 :: v_dual_fmac_f32 v141, v66, v147
	v_dual_fmac_f32 v139, v67, v148 :: v_dual_fmac_f32 v138, v68, v149
	s_clause 0x1
	global_load_b128 v[142:145], v[156:157], off offset:1024
	global_load_b128 v[146:149], v[156:157], off offset:1536
	s_waitcnt vmcnt(2) lgkmcnt(12)
	v_dual_fmac_f32 v140, v69, v150 :: v_dual_fmac_f32 v141, v70, v151
	v_dual_fmac_f32 v139, v71, v152 :: v_dual_fmac_f32 v138, v72, v153
	s_waitcnt vmcnt(1) lgkmcnt(11)
	s_delay_alu instid0(VALU_DEP_2) | instskip(NEXT) | instid1(VALU_DEP_2)
	v_dual_fmac_f32 v140, v73, v142 :: v_dual_fmac_f32 v141, v74, v143
	v_dual_fmac_f32 v139, v75, v144 :: v_dual_fmac_f32 v138, v76, v145
	s_waitcnt vmcnt(0) lgkmcnt(10)
	s_delay_alu instid0(VALU_DEP_2) | instskip(NEXT) | instid1(VALU_DEP_2)
	v_dual_fmac_f32 v140, v77, v146 :: v_dual_fmac_f32 v141, v78, v147
	v_dual_fmac_f32 v139, v79, v148 :: v_dual_fmac_f32 v138, v80, v149
	s_clause 0x1
	global_load_b128 v[142:145], v[156:157], off offset:2048
	global_load_b128 v[146:149], v[156:157], off offset:2560
	s_waitcnt vmcnt(1) lgkmcnt(9)
	v_dual_fmac_f32 v140, v81, v142 :: v_dual_fmac_f32 v141, v82, v143
	v_dual_fmac_f32 v139, v83, v144 :: v_dual_fmac_f32 v138, v84, v145
	s_waitcnt vmcnt(0) lgkmcnt(8)
	s_delay_alu instid0(VALU_DEP_2) | instskip(NEXT) | instid1(VALU_DEP_2)
	v_dual_fmac_f32 v140, v85, v146 :: v_dual_fmac_f32 v141, v86, v147
	v_dual_fmac_f32 v139, v87, v148 :: v_dual_fmac_f32 v138, v88, v149
	s_clause 0x1
	global_load_b128 v[142:145], v[156:157], off offset:3072
	global_load_b128 v[146:149], v[156:157], off offset:3584
	s_waitcnt vmcnt(1) lgkmcnt(7)
	v_dual_fmac_f32 v140, v89, v142 :: v_dual_fmac_f32 v141, v90, v143
	v_dual_fmac_f32 v139, v91, v144 :: v_dual_fmac_f32 v138, v92, v145
	s_waitcnt vmcnt(0) lgkmcnt(6)
	s_delay_alu instid0(VALU_DEP_2) | instskip(NEXT) | instid1(VALU_DEP_2)
	v_dual_fmac_f32 v140, v93, v146 :: v_dual_fmac_f32 v141, v94, v147
	v_dual_fmac_f32 v139, v95, v148 :: v_dual_fmac_f32 v138, v96, v149
	s_clause 0x1
	global_load_b128 v[142:145], v[123:124], off
	global_load_b128 v[146:149], v[123:124], off offset:512
	s_waitcnt vmcnt(1) lgkmcnt(5)
	v_dual_fmac_f32 v140, v97, v142 :: v_dual_fmac_f32 v141, v98, v143
	v_dual_fmac_f32 v139, v99, v144 :: v_dual_fmac_f32 v138, v100, v145
	s_waitcnt vmcnt(0) lgkmcnt(4)
	s_delay_alu instid0(VALU_DEP_2) | instskip(NEXT) | instid1(VALU_DEP_2)
	v_dual_fmac_f32 v140, v101, v146 :: v_dual_fmac_f32 v141, v102, v147
	v_dual_fmac_f32 v139, v103, v148 :: v_dual_fmac_f32 v138, v104, v149
	s_clause 0x1
	global_load_b128 v[142:145], v[123:124], off offset:1024
	global_load_b128 v[146:149], v[123:124], off offset:1536
	s_waitcnt vmcnt(1) lgkmcnt(3)
	v_dual_fmac_f32 v140, v105, v142 :: v_dual_fmac_f32 v141, v106, v143
	v_dual_fmac_f32 v139, v107, v144 :: v_dual_fmac_f32 v138, v108, v145
	s_waitcnt vmcnt(0) lgkmcnt(2)
	s_delay_alu instid0(VALU_DEP_2) | instskip(NEXT) | instid1(VALU_DEP_2)
	v_dual_fmac_f32 v140, v109, v146 :: v_dual_fmac_f32 v141, v110, v147
	v_dual_fmac_f32 v139, v111, v148 :: v_dual_fmac_f32 v138, v112, v149
	s_clause 0x1
	global_load_b128 v[142:145], v[123:124], off offset:2048
	global_load_b128 v[146:149], v[123:124], off offset:2560
	s_waitcnt vmcnt(1) lgkmcnt(1)
	v_dual_fmac_f32 v140, v113, v142 :: v_dual_fmac_f32 v141, v114, v143
	v_dual_fmac_f32 v139, v115, v144 :: v_dual_fmac_f32 v138, v116, v145
	s_waitcnt vmcnt(0) lgkmcnt(0)
	s_delay_alu instid0(VALU_DEP_2) | instskip(NEXT) | instid1(VALU_DEP_2)
	v_dual_fmac_f32 v140, v117, v146 :: v_dual_fmac_f32 v141, v118, v147
	v_dual_fmac_f32 v139, v119, v148 :: v_dual_fmac_f32 v138, v120, v149
	s_delay_alu instid0(VALU_DEP_2) | instskip(NEXT) | instid1(VALU_DEP_1)
	v_add_f32_e32 v124, v140, v141
	v_dual_add_f32 v124, v139, v124 :: v_dual_add_nc_u32 v123, v133, v129
	s_delay_alu instid0(VALU_DEP_1) | instskip(NEXT) | instid1(VALU_DEP_1)
	v_cvt_f32_i32_e32 v123, v123
	v_dual_add_f32 v124, v138, v124 :: v_dual_mul_f32 v123, s39, v123
	s_delay_alu instid0(VALU_DEP_1) | instskip(NEXT) | instid1(VALU_DEP_1)
	v_dual_max_f32 v138, v128, v128 :: v_dual_cndmask_b32 v123, 0, v123
	v_dual_fmac_f32 v123, s3, v124 :: v_dual_add_nc_u32 v124, v165, v129
	s_delay_alu instid0(VALU_DEP_1) | instskip(NEXT) | instid1(VALU_DEP_2)
	v_max_f32_e32 v138, v138, v123
	v_cmp_gt_i32_e64 s0, s15, v124
	s_delay_alu instid0(VALU_DEP_1) | instskip(NEXT) | instid1(VALU_DEP_3)
	v_cndmask_b32_e64 v123, 0, v123, s0
	v_cndmask_b32_e64 v128, v128, v138, s0
	ds_store_b32 v134, v123
	s_branch .LBB50_11
.LBB50_16:
	s_or_b32 exec_lo, exec_lo, s41
.LBB50_17:
	s_delay_alu instid0(SALU_CYCLE_1) | instskip(SKIP_2) | instid1(VALU_DEP_2)
	s_or_b32 exec_lo, exec_lo, s6
	v_mbcnt_lo_u32_b32 v1, -1, 0
	v_max_f32_e32 v5, v128, v128
	v_xor_b32_e32 v2, 16, v1
	v_xor_b32_e32 v4, 8, v1
	s_delay_alu instid0(VALU_DEP_2) | instskip(SKIP_1) | instid1(VALU_DEP_3)
	v_cmp_gt_i32_e32 vcc_lo, 32, v2
	v_cndmask_b32_e32 v2, v1, v2, vcc_lo
	v_cmp_gt_i32_e32 vcc_lo, 32, v4
	s_delay_alu instid0(VALU_DEP_2) | instskip(SKIP_4) | instid1(VALU_DEP_1)
	v_lshlrev_b32_e32 v2, 2, v2
	v_cndmask_b32_e32 v4, v1, v4, vcc_lo
	ds_bpermute_b32 v3, v2, v128
	s_waitcnt lgkmcnt(0)
	v_dual_max_f32 v6, v3, v3 :: v_dual_lshlrev_b32 v3, 2, v4
	v_max_f32_e32 v4, v5, v6
	v_xor_b32_e32 v6, 4, v1
	ds_bpermute_b32 v5, v3, v4
	v_cmp_gt_i32_e32 vcc_lo, 32, v6
	v_cndmask_b32_e32 v6, v1, v6, vcc_lo
	s_delay_alu instid0(VALU_DEP_1) | instskip(SKIP_1) | instid1(VALU_DEP_1)
	v_lshlrev_b32_e32 v133, 2, v6
	v_xor_b32_e32 v6, 2, v1
	v_cmp_gt_i32_e32 vcc_lo, 32, v6
	s_waitcnt lgkmcnt(0)
	v_max_f32_e32 v5, v5, v5
	v_cndmask_b32_e32 v6, v1, v6, vcc_lo
	s_delay_alu instid0(VALU_DEP_1) | instskip(SKIP_1) | instid1(VALU_DEP_1)
	v_lshlrev_b32_e32 v132, 2, v6
	v_xor_b32_e32 v6, 1, v1
	v_cmp_gt_i32_e32 vcc_lo, 32, v6
	v_cndmask_b32_e32 v6, v1, v6, vcc_lo
	v_max_f32_e32 v4, v4, v5
	v_cmp_eq_u32_e32 vcc_lo, 0, v165
	s_delay_alu instid0(VALU_DEP_3) | instskip(SKIP_3) | instid1(VALU_DEP_1)
	v_lshlrev_b32_e32 v131, 2, v6
	ds_bpermute_b32 v5, v133, v4
	s_waitcnt lgkmcnt(0)
	v_max_f32_e32 v5, v5, v5
	v_max_f32_e32 v4, v4, v5
	ds_bpermute_b32 v5, v132, v4
	s_waitcnt lgkmcnt(0)
	v_max_f32_e32 v5, v5, v5
	s_delay_alu instid0(VALU_DEP_1)
	v_max_f32_e32 v1, v4, v5
	v_lshlrev_b32_e32 v5, 2, v166
	ds_bpermute_b32 v4, v131, v1
	s_and_saveexec_b32 s0, vcc_lo
	s_cbranch_execz .LBB50_19
; %bb.18:
	s_waitcnt lgkmcnt(0)
	v_dual_max_f32 v4, v4, v4 :: v_dual_max_f32 v1, v1, v1
	s_delay_alu instid0(VALU_DEP_1)
	v_max_f32_e32 v1, v1, v4
	ds_store_b32 v5, v1 offset:480
.LBB50_19:
	s_or_b32 exec_lo, exec_lo, s0
	v_cmp_gt_u32_e64 s0, 4, v165
	v_mov_b32_e32 v1, 0xff7fffff
	s_waitcnt lgkmcnt(0)
	s_barrier
	buffer_gl0_inv
	s_and_saveexec_b32 s1, s0
	s_cbranch_execz .LBB50_21
; %bb.20:
	ds_load_b32 v1, v127 offset:480
.LBB50_21:
	s_or_b32 exec_lo, exec_lo, s1
	s_waitcnt lgkmcnt(0)
	ds_bpermute_b32 v4, v132, v1
	v_max_f32_e32 v1, v1, v1
	s_sub_i32 s1, s8, s7
	v_mov_b32_e32 v6, 0
	s_lshl_b32 s1, s1, 5
	s_delay_alu instid0(SALU_CYCLE_1) | instskip(NEXT) | instid1(SALU_CYCLE_1)
	s_add_i32 s1, s1, s37
	s_min_i32 s1, s1, s15
	s_delay_alu instid0(SALU_CYCLE_1) | instskip(NEXT) | instid1(SALU_CYCLE_1)
	s_sub_i32 s6, s1, s37
	v_cmp_gt_i32_e64 s1, s6, v0
	s_waitcnt lgkmcnt(0)
	v_max_f32_e32 v4, v4, v4
	s_delay_alu instid0(VALU_DEP_1) | instskip(SKIP_3) | instid1(VALU_DEP_1)
	v_max_f32_e32 v1, v1, v4
	ds_bpermute_b32 v4, v131, v1
	s_waitcnt lgkmcnt(0)
	v_max_f32_e32 v4, v4, v4
	v_max_f32_e32 v1, v1, v4
	v_lshl_add_u32 v4, v0, 2, 0x200
	ds_bpermute_b32 v1, v6, v1
	s_and_saveexec_b32 s7, s1
	s_cbranch_execz .LBB50_25
; %bb.22:
	v_lshl_add_u32 v7, v0, 2, 0x200
	v_mov_b32_e32 v6, 0
	v_mov_b32_e32 v8, v0
	s_mov_b32 s35, 0
	.p2align	6
.LBB50_23:                              ; =>This Inner Loop Header: Depth=1
	ds_load_b32 v9, v7
	v_add_nc_u32_e32 v8, 0x80, v8
	s_delay_alu instid0(VALU_DEP_1) | instskip(NEXT) | instid1(VALU_DEP_1)
	v_cmp_le_i32_e64 s3, s6, v8
	s_or_b32 s35, s3, s35
	s_waitcnt lgkmcnt(0)
	v_sub_f32_e32 v9, v9, v1
	s_delay_alu instid0(VALU_DEP_1) | instskip(NEXT) | instid1(VALU_DEP_1)
	v_mul_f32_e32 v9, 0x3fb8aa3b, v9
	v_exp_f32_e32 v9, v9
	ds_store_b32 v7, v9
	v_dual_add_f32 v6, v6, v9 :: v_dual_add_nc_u32 v7, 0x200, v7
	s_and_not1_b32 exec_lo, exec_lo, s35
	s_cbranch_execnz .LBB50_23
; %bb.24:
	s_or_b32 exec_lo, exec_lo, s35
.LBB50_25:
	s_delay_alu instid0(SALU_CYCLE_1)
	s_or_b32 exec_lo, exec_lo, s7
	ds_bpermute_b32 v2, v2, v6
	s_waitcnt lgkmcnt(0)
	v_add_f32_e32 v2, v6, v2
	ds_bpermute_b32 v3, v3, v2
	s_waitcnt lgkmcnt(0)
	v_add_f32_e32 v2, v2, v3
	;; [unrolled: 3-line block ×5, first 2 shown]
	s_and_saveexec_b32 s3, vcc_lo
	s_cbranch_execz .LBB50_27
; %bb.26:
	ds_store_b32 v5, v2 offset:496
.LBB50_27:
	s_or_b32 exec_lo, exec_lo, s3
	s_waitcnt lgkmcnt(0)
	s_barrier
	buffer_gl0_inv
	s_and_saveexec_b32 s3, s0
	s_cbranch_execz .LBB50_29
; %bb.28:
	ds_load_b32 v2, v127 offset:496
.LBB50_29:
	s_or_b32 exec_lo, exec_lo, s3
	s_waitcnt lgkmcnt(0)
	ds_bpermute_b32 v3, v132, v2
	s_waitcnt lgkmcnt(0)
	v_add_f32_e32 v2, v2, v3
	ds_bpermute_b32 v3, v131, v2
	s_waitcnt lgkmcnt(0)
	v_dual_add_f32 v2, v2, v3 :: v_dual_mov_b32 v3, 0
	ds_bpermute_b32 v2, v3, v2
	s_and_saveexec_b32 s0, s1
	s_cbranch_execz .LBB50_32
; %bb.30:
	s_waitcnt lgkmcnt(0)
	v_add_f32_e32 v3, 0x358637bd, v2
	s_mov_b32 s1, 0
	s_delay_alu instid0(VALU_DEP_1) | instskip(SKIP_1) | instid1(VALU_DEP_2)
	v_div_scale_f32 v5, null, v3, v3, 1.0
	v_div_scale_f32 v8, vcc_lo, 1.0, v3, 1.0
	v_rcp_f32_e32 v6, v5
	s_waitcnt_depctr 0xfff
	v_fma_f32 v7, -v5, v6, 1.0
	s_delay_alu instid0(VALU_DEP_1) | instskip(NEXT) | instid1(VALU_DEP_1)
	v_fmac_f32_e32 v6, v7, v6
	v_mul_f32_e32 v7, v8, v6
	s_delay_alu instid0(VALU_DEP_1) | instskip(NEXT) | instid1(VALU_DEP_1)
	v_fma_f32 v9, -v5, v7, v8
	v_fmac_f32_e32 v7, v9, v6
	s_delay_alu instid0(VALU_DEP_1) | instskip(NEXT) | instid1(VALU_DEP_1)
	v_fma_f32 v5, -v5, v7, v8
	v_div_fmas_f32 v5, v5, v6, v7
	s_delay_alu instid0(VALU_DEP_1)
	v_div_fixup_f32 v3, v5, v3, 1.0
	v_mov_b32_e32 v5, v0
.LBB50_31:                              ; =>This Inner Loop Header: Depth=1
	ds_load_b32 v6, v4
	s_waitcnt lgkmcnt(0)
	v_dual_mul_f32 v6, v3, v6 :: v_dual_add_nc_u32 v5, 0x80, v5
	s_delay_alu instid0(VALU_DEP_1) | instskip(SKIP_3) | instid1(SALU_CYCLE_1)
	v_cmp_le_i32_e32 vcc_lo, s6, v5
	ds_store_b32 v4, v6
	v_add_nc_u32_e32 v4, 0x200, v4
	s_or_b32 s1, vcc_lo, s1
	s_and_not1_b32 exec_lo, exec_lo, s1
	s_cbranch_execnz .LBB50_31
.LBB50_32:
	s_or_b32 exec_lo, exec_lo, s0
	s_mul_i32 s0, s4, s14
	s_waitcnt lgkmcnt(0)
	s_mul_i32 s6, s0, s13
	s_mov_b32 s0, exec_lo
	s_barrier
	buffer_gl0_inv
	v_cmpx_eq_u32_e32 0, v0
	s_cbranch_execz .LBB50_34
; %bb.33:
	s_ashr_i32 s7, s6, 31
	s_mul_i32 s42, s4, s24
	s_lshl_b64 s[40:41], s[6:7], 2
	v_mov_b32_e32 v3, 0
	s_add_u32 s1, s18, s40
	s_addc_u32 s3, s19, s41
	s_ashr_i32 s43, s42, 31
	s_delay_alu instid0(SALU_CYCLE_1) | instskip(NEXT) | instid1(SALU_CYCLE_1)
	s_lshl_b64 s[18:19], s[42:43], 2
	s_add_u32 s1, s1, s18
	s_addc_u32 s3, s3, s19
	s_ashr_i32 s13, s12, 31
	s_delay_alu instid0(SALU_CYCLE_1) | instskip(NEXT) | instid1(SALU_CYCLE_1)
	s_lshl_b64 s[42:43], s[12:13], 2
	s_add_u32 s44, s1, s42
	s_addc_u32 s45, s3, s43
	s_add_u32 s1, s16, s40
	s_addc_u32 s3, s17, s41
	;; [unrolled: 2-line block ×4, first 2 shown]
	s_clause 0x1
	global_store_b32 v3, v1, s[44:45]
	global_store_b32 v3, v2, s[16:17]
.LBB50_34:
	s_or_b32 exec_lo, exec_lo, s0
	v_dual_mov_b32 v163, 0 :: v_dual_mov_b32 v164, 0
	v_dual_mov_b32 v162, 0 :: v_dual_and_b32 v55, 7, v0
	v_dual_mov_b32 v161, 0 :: v_dual_mov_b32 v160, 0
	v_dual_mov_b32 v159, 0 :: v_dual_mov_b32 v158, 0
	;; [unrolled: 1-line block ×13, first 2 shown]
	v_mov_b32_e32 v135, 0
	s_mov_b32 s3, 0
	s_and_saveexec_b32 s1, s2
	s_cbranch_execz .LBB50_100
; %bb.35:
	s_ashr_i32 s35, s34, 31
	s_sub_i32 s2, s38, s9
	s_lshl_b64 s[16:17], s[34:35], 2
	v_dual_mov_b32 v135, 0 :: v_dual_lshlrev_b32 v4, 2, v0
	s_add_u32 s7, s30, s16
	s_addc_u32 s9, s31, s17
	s_abs_i32 s10, s10
	s_delay_alu instid0(VALU_DEP_1) | instskip(SKIP_4) | instid1(VALU_DEP_3)
	v_dual_mov_b32 v138, 0 :: v_dual_and_b32 v165, 28, v4
	v_cvt_f32_u32_e32 v3, s10
	v_dual_mov_b32 v137, 0 :: v_dual_and_b32 v4, 0x7c, v4
	s_sub_i32 s0, 0, s10
	v_dual_mov_b32 v136, 0 :: v_dual_lshlrev_b32 v5, 4, v55
	v_rcp_iflag_f32_e32 v3, v3
	v_lshlrev_b64 v[1:2], 2, v[125:126]
	s_lshl_b64 s[16:17], s[28:29], 2
	s_add_i32 s13, s36, -1
	v_lshl_or_b32 v5, v166, 7, v5
	v_or_b32_e32 v6, 0x400, v4
	v_lshlrev_b32_e32 v168, 2, v4
	v_or_b32_e32 v7, 0x480, v4
	v_or_b32_e32 v8, 0x500, v4
	;; [unrolled: 1-line block ×3, first 2 shown]
	v_mul_f32_e32 v3, 0x4f7ffffe, v3
	v_or_b32_e32 v10, 0x600, v4
	v_or_b32_e32 v11, 0x680, v4
	;; [unrolled: 1-line block ×4, first 2 shown]
	v_cvt_u32_f32_e32 v3, v3
	v_or_b32_e32 v15, 0x800, v4
	v_or_b32_e32 v16, 0x880, v4
	;; [unrolled: 1-line block ×4, first 2 shown]
	v_mul_lo_u32 v14, s0, v3
	v_or_b32_e32 v19, 0xa00, v4
	v_or_b32_e32 v20, 0xa80, v4
	;; [unrolled: 1-line block ×7, first 2 shown]
	v_mul_hi_u32 v14, v3, v14
	v_or_b32_e32 v26, 0xd80, v4
	v_or_b32_e32 v27, 0xe00, v4
	;; [unrolled: 1-line block ×3, first 2 shown]
	s_add_u32 s14, s26, s16
	s_addc_u32 s16, s27, s17
	v_add_co_u32 v126, vcc_lo, s14, v1
	v_dual_mov_b32 v139, 0 :: v_dual_add_nc_u32 v166, v3, v14
	v_add_co_ci_u32_e32 v127, vcc_lo, s16, v2, vcc_lo
	v_dual_mov_b32 v140, 0 :: v_dual_add_nc_u32 v167, 0x200, v5
	v_dual_mov_b32 v142, 0 :: v_dual_lshlrev_b32 v169, 2, v6
	v_dual_mov_b32 v141, 0 :: v_dual_lshlrev_b32 v170, 2, v7
	;; [unrolled: 1-line block ×22, first 2 shown]
	v_dual_mov_b32 v164, 0 :: v_dual_mov_b32 v163, 0
	s_branch .LBB50_38
.LBB50_36:                              ;   in Loop: Header=BB50_38 Depth=1
	s_or_b32 exec_lo, exec_lo, s0
	s_waitcnt vmcnt(16) lgkmcnt(0)
	v_mul_f32_e32 v58, v2, v58
	s_waitcnt vmcnt(8)
	v_mul_f32_e32 v90, v2, v90
	v_mul_f32_e32 v66, v2, v66
	;; [unrolled: 1-line block ×3, first 2 shown]
	s_waitcnt vmcnt(4)
	v_mul_f32_e32 v110, v2, v110
	v_fmac_f32_e32 v58, v1, v57
	v_mul_f32_e32 v102, v2, v102
	v_fmac_f32_e32 v90, v1, v89
	;; [unrolled: 2-line block ×5, first 2 shown]
	s_waitcnt vmcnt(2)
	v_mul_f32_e32 v118, v2, v118
	v_mul_f32_e32 v82, v2, v82
	v_fmac_f32_e32 v102, v1, v101
	v_fmac_f32_e32 v90, v3, v91
	;; [unrolled: 1-line block ×4, first 2 shown]
	v_mul_f32_e32 v50, v2, v50
	v_fmac_f32_e32 v42, v1, v41
	v_fmac_f32_e32 v58, v4, v60
	;; [unrolled: 1-line block ×5, first 2 shown]
	s_waitcnt vmcnt(1)
	v_mul_f32_e32 v122, v2, v122
	v_add_f32_e32 v151, v151, v58
	v_mul_f32_e32 v114, v2, v114
	v_mul_f32_e32 v106, v2, v106
	;; [unrolled: 1-line block ×4, first 2 shown]
	v_fmac_f32_e32 v82, v1, v81
	v_fmac_f32_e32 v102, v3, v103
	;; [unrolled: 1-line block ×4, first 2 shown]
	v_mul_f32_e32 v78, v2, v78
	v_mul_f32_e32 v70, v2, v70
	;; [unrolled: 1-line block ×3, first 2 shown]
	v_add_f32_e32 v143, v143, v90
	v_fmac_f32_e32 v74, v3, v75
	v_fmac_f32_e32 v66, v4, v68
	;; [unrolled: 1-line block ×3, first 2 shown]
	v_mul_f32_e32 v54, v2, v54
	v_mul_f32_e32 v46, v2, v46
	v_fmac_f32_e32 v50, v1, v49
	v_dual_add_f32 v149, v149, v66 :: v_dual_fmac_f32 v42, v3, v43
	v_mul_f32_e32 v38, v2, v38
	v_mul_f32_e32 v34, v2, v34
	;; [unrolled: 1-line block ×4, first 2 shown]
	v_fmac_f32_e32 v26, v3, v27
	v_mul_f32_e32 v18, v2, v18
	v_mul_f32_e32 v14, v2, v14
	;; [unrolled: 1-line block ×3, first 2 shown]
	s_waitcnt vmcnt(0)
	v_mul_f32_e32 v2, v2, v98
	v_fmac_f32_e32 v6, v4, v8
	v_fmac_f32_e32 v110, v4, v112
	;; [unrolled: 1-line block ×5, first 2 shown]
	v_dual_add_f32 v163, v163, v6 :: v_dual_fmac_f32 v122, v1, v121
	v_dual_add_f32 v139, v139, v110 :: v_dual_fmac_f32 v102, v4, v104
	v_fmac_f32_e32 v118, v3, v119
	v_fmac_f32_e32 v78, v1, v77
	v_fmac_f32_e32 v70, v1, v69
	v_fmac_f32_e32 v62, v1, v61
	v_dual_add_f32 v141, v141, v102 :: v_dual_fmac_f32 v74, v4, v76
	v_fmac_f32_e32 v114, v1, v113
	v_fmac_f32_e32 v54, v1, v53
	;; [unrolled: 1-line block ×4, first 2 shown]
	v_dual_add_f32 v147, v147, v74 :: v_dual_fmac_f32 v42, v4, v44
	v_fmac_f32_e32 v106, v1, v105
	v_fmac_f32_e32 v38, v1, v37
	;; [unrolled: 1-line block ×3, first 2 shown]
	s_delay_alu instid0(VALU_DEP_4)
	v_dual_fmac_f32 v30, v1, v29 :: v_dual_add_f32 v155, v155, v42
	v_fmac_f32_e32 v22, v1, v21
	v_fmac_f32_e32 v26, v4, v28
	;; [unrolled: 1-line block ×6, first 2 shown]
	v_dual_fmac_f32 v118, v4, v120 :: v_dual_add_f32 v159, v159, v26
	v_fmac_f32_e32 v122, v3, v123
	v_fmac_f32_e32 v94, v3, v95
	s_delay_alu instid0(VALU_DEP_3) | instskip(SKIP_4) | instid1(VALU_DEP_4)
	v_dual_fmac_f32 v86, v3, v87 :: v_dual_add_f32 v137, v137, v118
	v_fmac_f32_e32 v82, v4, v84
	v_fmac_f32_e32 v114, v3, v115
	;; [unrolled: 1-line block ×4, first 2 shown]
	v_dual_fmac_f32 v62, v3, v63 :: v_dual_add_f32 v145, v145, v82
	v_fmac_f32_e32 v54, v3, v55
	v_fmac_f32_e32 v46, v3, v47
	;; [unrolled: 1-line block ×6, first 2 shown]
	s_delay_alu instid0(VALU_DEP_4)
	v_dual_fmac_f32 v30, v3, v31 :: v_dual_add_f32 v153, v153, v50
	v_fmac_f32_e32 v22, v3, v23
	v_fmac_f32_e32 v18, v3, v19
	;; [unrolled: 1-line block ×17, first 2 shown]
	s_delay_alu instid0(VALU_DEP_4) | instskip(SKIP_2) | instid1(VALU_DEP_3)
	v_dual_fmac_f32 v18, v4, v20 :: v_dual_add_f32 v157, v157, v34
	v_fmac_f32_e32 v114, v4, v116
	v_fmac_f32_e32 v14, v4, v16
	v_dual_fmac_f32 v10, v4, v12 :: v_dual_add_f32 v161, v161, v18
	v_fmac_f32_e32 v2, v4, v100
	v_fmac_f32_e32 v106, v4, v108
	v_add_f32_e32 v136, v136, v122
	v_add_f32_e32 v138, v138, v114
	;; [unrolled: 1-line block ×16, first 2 shown]
.LBB50_37:                              ;   in Loop: Header=BB50_38 Depth=1
	s_or_b32 exec_lo, exec_lo, s14
	v_add_nc_u32_e32 v125, 4, v125
	v_add_co_u32 v126, s0, v126, 16
	s_delay_alu instid0(VALU_DEP_1) | instskip(NEXT) | instid1(VALU_DEP_3)
	v_add_co_ci_u32_e64 v127, s0, 0, v127, s0
	v_cmp_le_i32_e32 vcc_lo, s8, v125
	v_add_nc_u32_e32 v130, 0x80, v130
	v_add_nc_u32_e32 v167, 0x200, v167
	s_or_b32 s3, vcc_lo, s3
	s_delay_alu instid0(SALU_CYCLE_1)
	s_and_not1_b32 exec_lo, exec_lo, s3
	s_cbranch_execz .LBB50_99
.LBB50_38:                              ; =>This Inner Loop Header: Depth=1
	v_sub_nc_u32_e32 v1, 0, v130
	s_delay_alu instid0(VALU_DEP_1) | instskip(NEXT) | instid1(VALU_DEP_1)
	v_max_i32_e32 v1, v130, v1
	v_mul_hi_u32 v2, v1, s25
	s_delay_alu instid0(VALU_DEP_1) | instskip(NEXT) | instid1(VALU_DEP_1)
	v_mul_lo_u32 v3, v2, s21
	v_sub_nc_u32_e32 v1, v1, v3
	v_add_nc_u32_e32 v3, 1, v2
	s_delay_alu instid0(VALU_DEP_2) | instskip(SKIP_1) | instid1(VALU_DEP_2)
	v_subrev_nc_u32_e32 v4, s21, v1
	v_cmp_le_u32_e32 vcc_lo, s21, v1
	v_dual_cndmask_b32 v2, v2, v3 :: v_dual_cndmask_b32 v1, v1, v4
	v_ashrrev_i32_e32 v3, 31, v130
	s_delay_alu instid0(VALU_DEP_2) | instskip(NEXT) | instid1(VALU_DEP_3)
	v_add_nc_u32_e32 v4, 1, v2
	v_cmp_le_u32_e32 vcc_lo, s21, v1
	s_delay_alu instid0(VALU_DEP_3) | instskip(NEXT) | instid1(VALU_DEP_3)
	v_xor_b32_e32 v3, s11, v3
	v_cndmask_b32_e32 v1, v2, v4, vcc_lo
	s_delay_alu instid0(VALU_DEP_1) | instskip(NEXT) | instid1(VALU_DEP_1)
	v_xor_b32_e32 v1, v1, v3
	v_sub_nc_u32_e32 v1, v1, v3
	s_delay_alu instid0(VALU_DEP_1) | instskip(SKIP_1) | instid1(VALU_DEP_2)
	v_add_nc_u32_e32 v2, s33, v1
	v_cmp_lt_i32_e64 s0, s2, v1
	v_sub_nc_u32_e32 v3, 0, v2
	s_delay_alu instid0(VALU_DEP_1) | instskip(NEXT) | instid1(VALU_DEP_1)
	v_max_i32_e32 v3, v2, v3
	v_mul_hi_u32 v4, v3, v166
	s_delay_alu instid0(VALU_DEP_1) | instskip(NEXT) | instid1(VALU_DEP_1)
	v_mul_lo_u32 v4, v4, s10
	v_sub_nc_u32_e32 v3, v3, v4
	s_delay_alu instid0(VALU_DEP_1) | instskip(SKIP_1) | instid1(VALU_DEP_2)
	v_subrev_nc_u32_e32 v4, s10, v3
	v_cmp_le_u32_e32 vcc_lo, s10, v3
	v_cndmask_b32_e32 v3, v3, v4, vcc_lo
	v_ashrrev_i32_e32 v2, 31, v2
	s_delay_alu instid0(VALU_DEP_2) | instskip(SKIP_1) | instid1(VALU_DEP_2)
	v_subrev_nc_u32_e32 v4, s10, v3
	v_cmp_le_u32_e32 vcc_lo, s10, v3
	v_cndmask_b32_e32 v3, v3, v4, vcc_lo
	s_delay_alu instid0(VALU_DEP_1) | instskip(NEXT) | instid1(VALU_DEP_1)
	v_xor_b32_e32 v3, v3, v2
	v_sub_nc_u32_e32 v2, v3, v2
	s_delay_alu instid0(VALU_DEP_1) | instskip(SKIP_1) | instid1(SALU_CYCLE_1)
	v_cmp_eq_u32_e32 vcc_lo, 0, v2
	s_or_b32 s0, vcc_lo, s0
	s_and_saveexec_b32 s14, s0
	s_cbranch_execz .LBB50_37
; %bb.39:                               ;   in Loop: Header=BB50_38 Depth=1
	global_load_b32 v3, v[126:127], off
	v_add_nc_u32_e32 v134, v165, v130
	s_delay_alu instid0(VALU_DEP_1) | instskip(SKIP_4) | instid1(VALU_DEP_1)
	v_add_nc_u32_e32 v129, 1, v134
	v_add_nc_u32_e32 v128, 2, v134
	;; [unrolled: 1-line block ×3, first 2 shown]
	s_waitcnt vmcnt(0)
	v_mad_i64_i32 v[1:2], null, v3, s5, 0
	v_lshlrev_b64 v[1:2], 2, v[1:2]
	s_delay_alu instid0(VALU_DEP_1) | instskip(NEXT) | instid1(VALU_DEP_2)
	v_add_co_u32 v97, vcc_lo, s7, v1
	v_add_co_ci_u32_e32 v98, vcc_lo, s9, v2, vcc_lo
	ds_load_b128 v[1:4], v167
	v_add_co_u32 v33, vcc_lo, v97, v168
	v_add_co_ci_u32_e32 v34, vcc_lo, 0, v98, vcc_lo
	v_cmp_eq_u32_e32 vcc_lo, s13, v125
	global_load_b128 v[5:8], v[33:34], off
	s_and_saveexec_b32 s16, vcc_lo
	s_cbranch_execnz .LBB50_92
; %bb.40:                               ;   in Loop: Header=BB50_38 Depth=1
	s_or_b32 exec_lo, exec_lo, s16
	global_load_b128 v[9:12], v[33:34], off offset:512
	s_and_saveexec_b32 s16, vcc_lo
	s_cbranch_execnz .LBB50_93
.LBB50_41:                              ;   in Loop: Header=BB50_38 Depth=1
	s_or_b32 exec_lo, exec_lo, s16
	global_load_b128 v[13:16], v[33:34], off offset:1024
	s_and_saveexec_b32 s16, vcc_lo
	s_cbranch_execnz .LBB50_94
.LBB50_42:                              ;   in Loop: Header=BB50_38 Depth=1
	s_or_b32 exec_lo, exec_lo, s16
	global_load_b128 v[17:20], v[33:34], off offset:1536
	s_and_saveexec_b32 s16, vcc_lo
	s_cbranch_execnz .LBB50_95
.LBB50_43:                              ;   in Loop: Header=BB50_38 Depth=1
	s_or_b32 exec_lo, exec_lo, s16
	global_load_b128 v[21:24], v[33:34], off offset:2048
	s_and_saveexec_b32 s16, vcc_lo
	s_cbranch_execnz .LBB50_96
.LBB50_44:                              ;   in Loop: Header=BB50_38 Depth=1
	s_or_b32 exec_lo, exec_lo, s16
	global_load_b128 v[25:28], v[33:34], off offset:2560
	s_and_saveexec_b32 s16, vcc_lo
	s_cbranch_execnz .LBB50_97
.LBB50_45:                              ;   in Loop: Header=BB50_38 Depth=1
	s_or_b32 exec_lo, exec_lo, s16
	global_load_b128 v[29:32], v[33:34], off offset:3072
	s_and_saveexec_b32 s16, vcc_lo
	s_cbranch_execnz .LBB50_98
.LBB50_46:                              ;   in Loop: Header=BB50_38 Depth=1
	s_or_b32 exec_lo, exec_lo, s16
	global_load_b128 v[33:36], v[33:34], off offset:3584
	s_and_saveexec_b32 s16, vcc_lo
	s_cbranch_execz .LBB50_48
.LBB50_47:                              ;   in Loop: Header=BB50_38 Depth=1
	v_cmp_gt_i32_e64 s0, s15, v134
	s_waitcnt vmcnt(0)
	s_delay_alu instid0(VALU_DEP_1) | instskip(SKIP_1) | instid1(VALU_DEP_1)
	v_cndmask_b32_e64 v33, 0, v33, s0
	v_cmp_gt_i32_e64 s0, s15, v129
	v_cndmask_b32_e64 v34, 0, v34, s0
	v_cmp_gt_i32_e64 s0, s15, v128
	s_delay_alu instid0(VALU_DEP_1) | instskip(SKIP_1) | instid1(VALU_DEP_1)
	v_cndmask_b32_e64 v35, 0, v35, s0
	v_cmp_gt_i32_e64 s0, s15, v191
	v_cndmask_b32_e64 v36, 0, v36, s0
.LBB50_48:                              ;   in Loop: Header=BB50_38 Depth=1
	s_or_b32 exec_lo, exec_lo, s16
	v_add_co_u32 v37, s0, v97, v169
	s_delay_alu instid0(VALU_DEP_1)
	v_add_co_ci_u32_e64 v38, s0, 0, v98, s0
	global_load_b128 v[37:40], v[37:38], off
	s_and_saveexec_b32 s16, vcc_lo
	s_cbranch_execz .LBB50_50
; %bb.49:                               ;   in Loop: Header=BB50_38 Depth=1
	v_cmp_gt_i32_e64 s0, s15, v134
	s_waitcnt vmcnt(0)
	s_delay_alu instid0(VALU_DEP_1) | instskip(SKIP_1) | instid1(VALU_DEP_1)
	v_cndmask_b32_e64 v37, 0, v37, s0
	v_cmp_gt_i32_e64 s0, s15, v129
	v_cndmask_b32_e64 v38, 0, v38, s0
	v_cmp_gt_i32_e64 s0, s15, v128
	s_delay_alu instid0(VALU_DEP_1) | instskip(SKIP_1) | instid1(VALU_DEP_1)
	v_cndmask_b32_e64 v39, 0, v39, s0
	v_cmp_gt_i32_e64 s0, s15, v191
	v_cndmask_b32_e64 v40, 0, v40, s0
.LBB50_50:                              ;   in Loop: Header=BB50_38 Depth=1
	s_or_b32 exec_lo, exec_lo, s16
	v_add_co_u32 v41, s0, v97, v170
	s_delay_alu instid0(VALU_DEP_1)
	v_add_co_ci_u32_e64 v42, s0, 0, v98, s0
	global_load_b128 v[41:44], v[41:42], off
	s_and_saveexec_b32 s16, vcc_lo
	s_cbranch_execz .LBB50_52
; %bb.51:                               ;   in Loop: Header=BB50_38 Depth=1
	v_cmp_gt_i32_e64 s0, s15, v134
	s_waitcnt vmcnt(0)
	s_delay_alu instid0(VALU_DEP_1) | instskip(SKIP_1) | instid1(VALU_DEP_1)
	v_cndmask_b32_e64 v41, 0, v41, s0
	v_cmp_gt_i32_e64 s0, s15, v129
	v_cndmask_b32_e64 v42, 0, v42, s0
	v_cmp_gt_i32_e64 s0, s15, v128
	s_delay_alu instid0(VALU_DEP_1) | instskip(SKIP_1) | instid1(VALU_DEP_1)
	v_cndmask_b32_e64 v43, 0, v43, s0
	v_cmp_gt_i32_e64 s0, s15, v191
	v_cndmask_b32_e64 v44, 0, v44, s0
.LBB50_52:                              ;   in Loop: Header=BB50_38 Depth=1
	s_or_b32 exec_lo, exec_lo, s16
	v_add_co_u32 v45, s0, v97, v171
	s_delay_alu instid0(VALU_DEP_1)
	v_add_co_ci_u32_e64 v46, s0, 0, v98, s0
	global_load_b128 v[45:48], v[45:46], off
	s_and_saveexec_b32 s16, vcc_lo
	s_cbranch_execz .LBB50_54
; %bb.53:                               ;   in Loop: Header=BB50_38 Depth=1
	v_cmp_gt_i32_e64 s0, s15, v134
	s_waitcnt vmcnt(0)
	s_delay_alu instid0(VALU_DEP_1) | instskip(SKIP_1) | instid1(VALU_DEP_1)
	v_cndmask_b32_e64 v45, 0, v45, s0
	v_cmp_gt_i32_e64 s0, s15, v129
	v_cndmask_b32_e64 v46, 0, v46, s0
	v_cmp_gt_i32_e64 s0, s15, v128
	s_delay_alu instid0(VALU_DEP_1) | instskip(SKIP_1) | instid1(VALU_DEP_1)
	v_cndmask_b32_e64 v47, 0, v47, s0
	v_cmp_gt_i32_e64 s0, s15, v191
	v_cndmask_b32_e64 v48, 0, v48, s0
.LBB50_54:                              ;   in Loop: Header=BB50_38 Depth=1
	s_or_b32 exec_lo, exec_lo, s16
	v_add_co_u32 v49, s0, v97, v172
	s_delay_alu instid0(VALU_DEP_1)
	v_add_co_ci_u32_e64 v50, s0, 0, v98, s0
	global_load_b128 v[49:52], v[49:50], off
	s_and_saveexec_b32 s16, vcc_lo
	s_cbranch_execz .LBB50_56
; %bb.55:                               ;   in Loop: Header=BB50_38 Depth=1
	v_cmp_gt_i32_e64 s0, s15, v134
	s_waitcnt vmcnt(0)
	s_delay_alu instid0(VALU_DEP_1) | instskip(SKIP_1) | instid1(VALU_DEP_1)
	v_cndmask_b32_e64 v49, 0, v49, s0
	v_cmp_gt_i32_e64 s0, s15, v129
	v_cndmask_b32_e64 v50, 0, v50, s0
	v_cmp_gt_i32_e64 s0, s15, v128
	s_delay_alu instid0(VALU_DEP_1) | instskip(SKIP_1) | instid1(VALU_DEP_1)
	v_cndmask_b32_e64 v51, 0, v51, s0
	v_cmp_gt_i32_e64 s0, s15, v191
	v_cndmask_b32_e64 v52, 0, v52, s0
.LBB50_56:                              ;   in Loop: Header=BB50_38 Depth=1
	s_or_b32 exec_lo, exec_lo, s16
	v_add_co_u32 v53, s0, v97, v173
	s_delay_alu instid0(VALU_DEP_1)
	v_add_co_ci_u32_e64 v54, s0, 0, v98, s0
	global_load_b128 v[53:56], v[53:54], off
	s_and_saveexec_b32 s16, vcc_lo
	s_cbranch_execz .LBB50_58
; %bb.57:                               ;   in Loop: Header=BB50_38 Depth=1
	v_cmp_gt_i32_e64 s0, s15, v134
	s_waitcnt vmcnt(0)
	s_delay_alu instid0(VALU_DEP_1) | instskip(SKIP_1) | instid1(VALU_DEP_1)
	v_cndmask_b32_e64 v53, 0, v53, s0
	v_cmp_gt_i32_e64 s0, s15, v129
	v_cndmask_b32_e64 v54, 0, v54, s0
	v_cmp_gt_i32_e64 s0, s15, v128
	s_delay_alu instid0(VALU_DEP_1) | instskip(SKIP_1) | instid1(VALU_DEP_1)
	v_cndmask_b32_e64 v55, 0, v55, s0
	v_cmp_gt_i32_e64 s0, s15, v191
	v_cndmask_b32_e64 v56, 0, v56, s0
.LBB50_58:                              ;   in Loop: Header=BB50_38 Depth=1
	s_or_b32 exec_lo, exec_lo, s16
	v_add_co_u32 v57, s0, v97, v174
	s_delay_alu instid0(VALU_DEP_1)
	v_add_co_ci_u32_e64 v58, s0, 0, v98, s0
	global_load_b128 v[57:60], v[57:58], off
	s_and_saveexec_b32 s16, vcc_lo
	s_cbranch_execz .LBB50_60
; %bb.59:                               ;   in Loop: Header=BB50_38 Depth=1
	v_cmp_gt_i32_e64 s0, s15, v134
	s_waitcnt vmcnt(0)
	s_delay_alu instid0(VALU_DEP_1) | instskip(SKIP_1) | instid1(VALU_DEP_1)
	v_cndmask_b32_e64 v57, 0, v57, s0
	v_cmp_gt_i32_e64 s0, s15, v129
	v_cndmask_b32_e64 v58, 0, v58, s0
	v_cmp_gt_i32_e64 s0, s15, v128
	s_delay_alu instid0(VALU_DEP_1) | instskip(SKIP_1) | instid1(VALU_DEP_1)
	v_cndmask_b32_e64 v59, 0, v59, s0
	v_cmp_gt_i32_e64 s0, s15, v191
	v_cndmask_b32_e64 v60, 0, v60, s0
.LBB50_60:                              ;   in Loop: Header=BB50_38 Depth=1
	s_or_b32 exec_lo, exec_lo, s16
	v_add_co_u32 v61, s0, v97, v175
	s_delay_alu instid0(VALU_DEP_1)
	v_add_co_ci_u32_e64 v62, s0, 0, v98, s0
	global_load_b128 v[61:64], v[61:62], off
	s_and_saveexec_b32 s16, vcc_lo
	s_cbranch_execz .LBB50_62
; %bb.61:                               ;   in Loop: Header=BB50_38 Depth=1
	v_cmp_gt_i32_e64 s0, s15, v134
	s_waitcnt vmcnt(0)
	s_delay_alu instid0(VALU_DEP_1) | instskip(SKIP_1) | instid1(VALU_DEP_1)
	v_cndmask_b32_e64 v61, 0, v61, s0
	v_cmp_gt_i32_e64 s0, s15, v129
	v_cndmask_b32_e64 v62, 0, v62, s0
	v_cmp_gt_i32_e64 s0, s15, v128
	s_delay_alu instid0(VALU_DEP_1) | instskip(SKIP_1) | instid1(VALU_DEP_1)
	v_cndmask_b32_e64 v63, 0, v63, s0
	v_cmp_gt_i32_e64 s0, s15, v191
	v_cndmask_b32_e64 v64, 0, v64, s0
.LBB50_62:                              ;   in Loop: Header=BB50_38 Depth=1
	s_or_b32 exec_lo, exec_lo, s16
	v_add_co_u32 v65, s0, v97, v176
	s_delay_alu instid0(VALU_DEP_1)
	v_add_co_ci_u32_e64 v66, s0, 0, v98, s0
	global_load_b128 v[65:68], v[65:66], off
	s_and_saveexec_b32 s16, vcc_lo
	s_cbranch_execz .LBB50_64
; %bb.63:                               ;   in Loop: Header=BB50_38 Depth=1
	v_cmp_gt_i32_e64 s0, s15, v134
	s_waitcnt vmcnt(0)
	s_delay_alu instid0(VALU_DEP_1) | instskip(SKIP_1) | instid1(VALU_DEP_1)
	v_cndmask_b32_e64 v65, 0, v65, s0
	v_cmp_gt_i32_e64 s0, s15, v129
	v_cndmask_b32_e64 v66, 0, v66, s0
	v_cmp_gt_i32_e64 s0, s15, v128
	s_delay_alu instid0(VALU_DEP_1) | instskip(SKIP_1) | instid1(VALU_DEP_1)
	v_cndmask_b32_e64 v67, 0, v67, s0
	v_cmp_gt_i32_e64 s0, s15, v191
	v_cndmask_b32_e64 v68, 0, v68, s0
.LBB50_64:                              ;   in Loop: Header=BB50_38 Depth=1
	s_or_b32 exec_lo, exec_lo, s16
	v_add_co_u32 v69, s0, v97, v177
	s_delay_alu instid0(VALU_DEP_1)
	v_add_co_ci_u32_e64 v70, s0, 0, v98, s0
	global_load_b128 v[69:72], v[69:70], off
	s_and_saveexec_b32 s16, vcc_lo
	s_cbranch_execz .LBB50_66
; %bb.65:                               ;   in Loop: Header=BB50_38 Depth=1
	v_cmp_gt_i32_e64 s0, s15, v134
	s_waitcnt vmcnt(0)
	s_delay_alu instid0(VALU_DEP_1) | instskip(SKIP_1) | instid1(VALU_DEP_1)
	v_cndmask_b32_e64 v69, 0, v69, s0
	v_cmp_gt_i32_e64 s0, s15, v129
	v_cndmask_b32_e64 v70, 0, v70, s0
	v_cmp_gt_i32_e64 s0, s15, v128
	s_delay_alu instid0(VALU_DEP_1) | instskip(SKIP_1) | instid1(VALU_DEP_1)
	v_cndmask_b32_e64 v71, 0, v71, s0
	v_cmp_gt_i32_e64 s0, s15, v191
	v_cndmask_b32_e64 v72, 0, v72, s0
.LBB50_66:                              ;   in Loop: Header=BB50_38 Depth=1
	s_or_b32 exec_lo, exec_lo, s16
	v_add_co_u32 v73, s0, v97, v178
	s_delay_alu instid0(VALU_DEP_1)
	v_add_co_ci_u32_e64 v74, s0, 0, v98, s0
	global_load_b128 v[73:76], v[73:74], off
	s_and_saveexec_b32 s16, vcc_lo
	s_cbranch_execz .LBB50_68
; %bb.67:                               ;   in Loop: Header=BB50_38 Depth=1
	v_cmp_gt_i32_e64 s0, s15, v134
	s_waitcnt vmcnt(0)
	s_delay_alu instid0(VALU_DEP_1) | instskip(SKIP_1) | instid1(VALU_DEP_1)
	v_cndmask_b32_e64 v73, 0, v73, s0
	v_cmp_gt_i32_e64 s0, s15, v129
	v_cndmask_b32_e64 v74, 0, v74, s0
	v_cmp_gt_i32_e64 s0, s15, v128
	s_delay_alu instid0(VALU_DEP_1) | instskip(SKIP_1) | instid1(VALU_DEP_1)
	v_cndmask_b32_e64 v75, 0, v75, s0
	v_cmp_gt_i32_e64 s0, s15, v191
	v_cndmask_b32_e64 v76, 0, v76, s0
.LBB50_68:                              ;   in Loop: Header=BB50_38 Depth=1
	s_or_b32 exec_lo, exec_lo, s16
	v_add_co_u32 v77, s0, v97, v179
	s_delay_alu instid0(VALU_DEP_1)
	v_add_co_ci_u32_e64 v78, s0, 0, v98, s0
	global_load_b128 v[77:80], v[77:78], off
	s_and_saveexec_b32 s16, vcc_lo
	s_cbranch_execz .LBB50_70
; %bb.69:                               ;   in Loop: Header=BB50_38 Depth=1
	v_cmp_gt_i32_e64 s0, s15, v134
	s_waitcnt vmcnt(0)
	s_delay_alu instid0(VALU_DEP_1) | instskip(SKIP_1) | instid1(VALU_DEP_1)
	v_cndmask_b32_e64 v77, 0, v77, s0
	v_cmp_gt_i32_e64 s0, s15, v129
	v_cndmask_b32_e64 v78, 0, v78, s0
	v_cmp_gt_i32_e64 s0, s15, v128
	s_delay_alu instid0(VALU_DEP_1) | instskip(SKIP_1) | instid1(VALU_DEP_1)
	v_cndmask_b32_e64 v79, 0, v79, s0
	v_cmp_gt_i32_e64 s0, s15, v191
	v_cndmask_b32_e64 v80, 0, v80, s0
.LBB50_70:                              ;   in Loop: Header=BB50_38 Depth=1
	s_or_b32 exec_lo, exec_lo, s16
	v_add_co_u32 v81, s0, v97, v180
	s_delay_alu instid0(VALU_DEP_1)
	v_add_co_ci_u32_e64 v82, s0, 0, v98, s0
	global_load_b128 v[81:84], v[81:82], off
	s_and_saveexec_b32 s16, vcc_lo
	s_cbranch_execz .LBB50_72
; %bb.71:                               ;   in Loop: Header=BB50_38 Depth=1
	v_cmp_gt_i32_e64 s0, s15, v134
	s_waitcnt vmcnt(0)
	s_delay_alu instid0(VALU_DEP_1) | instskip(SKIP_1) | instid1(VALU_DEP_1)
	v_cndmask_b32_e64 v81, 0, v81, s0
	v_cmp_gt_i32_e64 s0, s15, v129
	v_cndmask_b32_e64 v82, 0, v82, s0
	v_cmp_gt_i32_e64 s0, s15, v128
	s_delay_alu instid0(VALU_DEP_1) | instskip(SKIP_1) | instid1(VALU_DEP_1)
	v_cndmask_b32_e64 v83, 0, v83, s0
	v_cmp_gt_i32_e64 s0, s15, v191
	v_cndmask_b32_e64 v84, 0, v84, s0
.LBB50_72:                              ;   in Loop: Header=BB50_38 Depth=1
	s_or_b32 exec_lo, exec_lo, s16
	v_add_co_u32 v85, s0, v97, v181
	s_delay_alu instid0(VALU_DEP_1)
	v_add_co_ci_u32_e64 v86, s0, 0, v98, s0
	global_load_b128 v[85:88], v[85:86], off
	s_and_saveexec_b32 s16, vcc_lo
	s_cbranch_execz .LBB50_74
; %bb.73:                               ;   in Loop: Header=BB50_38 Depth=1
	v_cmp_gt_i32_e64 s0, s15, v134
	s_waitcnt vmcnt(0)
	s_delay_alu instid0(VALU_DEP_1) | instskip(SKIP_1) | instid1(VALU_DEP_1)
	v_cndmask_b32_e64 v85, 0, v85, s0
	v_cmp_gt_i32_e64 s0, s15, v129
	v_cndmask_b32_e64 v86, 0, v86, s0
	v_cmp_gt_i32_e64 s0, s15, v128
	s_delay_alu instid0(VALU_DEP_1) | instskip(SKIP_1) | instid1(VALU_DEP_1)
	v_cndmask_b32_e64 v87, 0, v87, s0
	v_cmp_gt_i32_e64 s0, s15, v191
	v_cndmask_b32_e64 v88, 0, v88, s0
.LBB50_74:                              ;   in Loop: Header=BB50_38 Depth=1
	s_or_b32 exec_lo, exec_lo, s16
	v_add_co_u32 v89, s0, v97, v182
	s_delay_alu instid0(VALU_DEP_1)
	v_add_co_ci_u32_e64 v90, s0, 0, v98, s0
	global_load_b128 v[89:92], v[89:90], off
	s_and_saveexec_b32 s16, vcc_lo
	s_cbranch_execz .LBB50_76
; %bb.75:                               ;   in Loop: Header=BB50_38 Depth=1
	v_cmp_gt_i32_e64 s0, s15, v134
	s_waitcnt vmcnt(0)
	s_delay_alu instid0(VALU_DEP_1) | instskip(SKIP_1) | instid1(VALU_DEP_1)
	v_cndmask_b32_e64 v89, 0, v89, s0
	v_cmp_gt_i32_e64 s0, s15, v129
	v_cndmask_b32_e64 v90, 0, v90, s0
	v_cmp_gt_i32_e64 s0, s15, v128
	s_delay_alu instid0(VALU_DEP_1) | instskip(SKIP_1) | instid1(VALU_DEP_1)
	v_cndmask_b32_e64 v91, 0, v91, s0
	v_cmp_gt_i32_e64 s0, s15, v191
	v_cndmask_b32_e64 v92, 0, v92, s0
.LBB50_76:                              ;   in Loop: Header=BB50_38 Depth=1
	s_or_b32 exec_lo, exec_lo, s16
	v_add_co_u32 v93, s0, v97, v183
	s_delay_alu instid0(VALU_DEP_1)
	v_add_co_ci_u32_e64 v94, s0, 0, v98, s0
	global_load_b128 v[93:96], v[93:94], off
	s_and_saveexec_b32 s16, vcc_lo
	s_cbranch_execz .LBB50_78
; %bb.77:                               ;   in Loop: Header=BB50_38 Depth=1
	v_cmp_gt_i32_e64 s0, s15, v134
	s_waitcnt vmcnt(0)
	s_delay_alu instid0(VALU_DEP_1) | instskip(SKIP_1) | instid1(VALU_DEP_1)
	v_cndmask_b32_e64 v93, 0, v93, s0
	v_cmp_gt_i32_e64 s0, s15, v129
	v_cndmask_b32_e64 v94, 0, v94, s0
	v_cmp_gt_i32_e64 s0, s15, v128
	s_delay_alu instid0(VALU_DEP_1) | instskip(SKIP_1) | instid1(VALU_DEP_1)
	v_cndmask_b32_e64 v95, 0, v95, s0
	v_cmp_gt_i32_e64 s0, s15, v191
	v_cndmask_b32_e64 v96, 0, v96, s0
.LBB50_78:                              ;   in Loop: Header=BB50_38 Depth=1
	s_or_b32 exec_lo, exec_lo, s16
	v_add_co_u32 v99, s0, v97, v184
	s_delay_alu instid0(VALU_DEP_1)
	v_add_co_ci_u32_e64 v100, s0, 0, v98, s0
	global_load_b128 v[101:104], v[99:100], off
	s_and_saveexec_b32 s16, vcc_lo
	s_cbranch_execz .LBB50_80
; %bb.79:                               ;   in Loop: Header=BB50_38 Depth=1
	v_cmp_gt_i32_e64 s0, s15, v134
	s_waitcnt vmcnt(0)
	s_delay_alu instid0(VALU_DEP_1) | instskip(SKIP_1) | instid1(VALU_DEP_1)
	v_cndmask_b32_e64 v101, 0, v101, s0
	v_cmp_gt_i32_e64 s0, s15, v129
	v_cndmask_b32_e64 v102, 0, v102, s0
	v_cmp_gt_i32_e64 s0, s15, v128
	s_delay_alu instid0(VALU_DEP_1) | instskip(SKIP_1) | instid1(VALU_DEP_1)
	v_cndmask_b32_e64 v103, 0, v103, s0
	v_cmp_gt_i32_e64 s0, s15, v191
	v_cndmask_b32_e64 v104, 0, v104, s0
.LBB50_80:                              ;   in Loop: Header=BB50_38 Depth=1
	s_or_b32 exec_lo, exec_lo, s16
	v_add_co_u32 v99, s0, v97, v185
	s_delay_alu instid0(VALU_DEP_1)
	v_add_co_ci_u32_e64 v100, s0, 0, v98, s0
	global_load_b128 v[105:108], v[99:100], off
	s_and_saveexec_b32 s16, vcc_lo
	s_cbranch_execz .LBB50_82
; %bb.81:                               ;   in Loop: Header=BB50_38 Depth=1
	v_cmp_gt_i32_e64 s0, s15, v134
	s_waitcnt vmcnt(0)
	s_delay_alu instid0(VALU_DEP_1) | instskip(SKIP_1) | instid1(VALU_DEP_1)
	v_cndmask_b32_e64 v105, 0, v105, s0
	v_cmp_gt_i32_e64 s0, s15, v129
	v_cndmask_b32_e64 v106, 0, v106, s0
	v_cmp_gt_i32_e64 s0, s15, v128
	s_delay_alu instid0(VALU_DEP_1) | instskip(SKIP_1) | instid1(VALU_DEP_1)
	v_cndmask_b32_e64 v107, 0, v107, s0
	v_cmp_gt_i32_e64 s0, s15, v191
	v_cndmask_b32_e64 v108, 0, v108, s0
.LBB50_82:                              ;   in Loop: Header=BB50_38 Depth=1
	s_or_b32 exec_lo, exec_lo, s16
	v_add_co_u32 v99, s0, v97, v186
	s_delay_alu instid0(VALU_DEP_1)
	v_add_co_ci_u32_e64 v100, s0, 0, v98, s0
	global_load_b128 v[109:112], v[99:100], off
	s_and_saveexec_b32 s16, vcc_lo
	s_cbranch_execz .LBB50_84
; %bb.83:                               ;   in Loop: Header=BB50_38 Depth=1
	v_cmp_gt_i32_e64 s0, s15, v134
	s_waitcnt vmcnt(0)
	s_delay_alu instid0(VALU_DEP_1) | instskip(SKIP_1) | instid1(VALU_DEP_1)
	v_cndmask_b32_e64 v109, 0, v109, s0
	v_cmp_gt_i32_e64 s0, s15, v129
	v_cndmask_b32_e64 v110, 0, v110, s0
	v_cmp_gt_i32_e64 s0, s15, v128
	s_delay_alu instid0(VALU_DEP_1) | instskip(SKIP_1) | instid1(VALU_DEP_1)
	v_cndmask_b32_e64 v111, 0, v111, s0
	v_cmp_gt_i32_e64 s0, s15, v191
	v_cndmask_b32_e64 v112, 0, v112, s0
.LBB50_84:                              ;   in Loop: Header=BB50_38 Depth=1
	s_or_b32 exec_lo, exec_lo, s16
	v_add_co_u32 v99, s0, v97, v187
	s_delay_alu instid0(VALU_DEP_1)
	v_add_co_ci_u32_e64 v100, s0, 0, v98, s0
	global_load_b128 v[113:116], v[99:100], off
	s_and_saveexec_b32 s16, vcc_lo
	s_cbranch_execz .LBB50_86
; %bb.85:                               ;   in Loop: Header=BB50_38 Depth=1
	v_cmp_gt_i32_e64 s0, s15, v134
	s_waitcnt vmcnt(0)
	s_delay_alu instid0(VALU_DEP_1) | instskip(SKIP_1) | instid1(VALU_DEP_1)
	v_cndmask_b32_e64 v113, 0, v113, s0
	v_cmp_gt_i32_e64 s0, s15, v129
	v_cndmask_b32_e64 v114, 0, v114, s0
	v_cmp_gt_i32_e64 s0, s15, v128
	s_delay_alu instid0(VALU_DEP_1) | instskip(SKIP_1) | instid1(VALU_DEP_1)
	v_cndmask_b32_e64 v115, 0, v115, s0
	v_cmp_gt_i32_e64 s0, s15, v191
	v_cndmask_b32_e64 v116, 0, v116, s0
.LBB50_86:                              ;   in Loop: Header=BB50_38 Depth=1
	s_or_b32 exec_lo, exec_lo, s16
	v_add_co_u32 v99, s0, v97, v188
	s_delay_alu instid0(VALU_DEP_1)
	v_add_co_ci_u32_e64 v100, s0, 0, v98, s0
	global_load_b128 v[117:120], v[99:100], off
	s_and_saveexec_b32 s16, vcc_lo
	s_cbranch_execz .LBB50_88
; %bb.87:                               ;   in Loop: Header=BB50_38 Depth=1
	v_cmp_gt_i32_e64 s0, s15, v134
	s_waitcnt vmcnt(0)
	s_delay_alu instid0(VALU_DEP_1) | instskip(SKIP_1) | instid1(VALU_DEP_1)
	v_cndmask_b32_e64 v117, 0, v117, s0
	v_cmp_gt_i32_e64 s0, s15, v129
	v_cndmask_b32_e64 v118, 0, v118, s0
	v_cmp_gt_i32_e64 s0, s15, v128
	s_delay_alu instid0(VALU_DEP_1) | instskip(SKIP_1) | instid1(VALU_DEP_1)
	v_cndmask_b32_e64 v119, 0, v119, s0
	v_cmp_gt_i32_e64 s0, s15, v191
	v_cndmask_b32_e64 v120, 0, v120, s0
.LBB50_88:                              ;   in Loop: Header=BB50_38 Depth=1
	s_or_b32 exec_lo, exec_lo, s16
	v_add_co_u32 v99, s0, v97, v189
	s_delay_alu instid0(VALU_DEP_1)
	v_add_co_ci_u32_e64 v100, s0, 0, v98, s0
	global_load_b128 v[121:124], v[99:100], off
	s_and_saveexec_b32 s16, vcc_lo
	s_cbranch_execz .LBB50_90
; %bb.89:                               ;   in Loop: Header=BB50_38 Depth=1
	v_cmp_gt_i32_e64 s0, s15, v134
	s_waitcnt vmcnt(0)
	s_delay_alu instid0(VALU_DEP_1) | instskip(SKIP_1) | instid1(VALU_DEP_1)
	v_cndmask_b32_e64 v121, 0, v121, s0
	v_cmp_gt_i32_e64 s0, s15, v129
	v_cndmask_b32_e64 v122, 0, v122, s0
	v_cmp_gt_i32_e64 s0, s15, v128
	s_delay_alu instid0(VALU_DEP_1) | instskip(SKIP_1) | instid1(VALU_DEP_1)
	v_cndmask_b32_e64 v123, 0, v123, s0
	v_cmp_gt_i32_e64 s0, s15, v191
	v_cndmask_b32_e64 v124, 0, v124, s0
.LBB50_90:                              ;   in Loop: Header=BB50_38 Depth=1
	s_or_b32 exec_lo, exec_lo, s16
	v_add_co_u32 v97, s0, v97, v190
	s_delay_alu instid0(VALU_DEP_1)
	v_add_co_ci_u32_e64 v98, s0, 0, v98, s0
	global_load_b128 v[97:100], v[97:98], off
	s_and_saveexec_b32 s0, vcc_lo
	s_cbranch_execz .LBB50_36
; %bb.91:                               ;   in Loop: Header=BB50_38 Depth=1
	v_cmp_gt_i32_e32 vcc_lo, s15, v134
	s_waitcnt vmcnt(0)
	v_cndmask_b32_e32 v97, 0, v97, vcc_lo
	v_cmp_gt_i32_e32 vcc_lo, s15, v129
	v_cndmask_b32_e32 v98, 0, v98, vcc_lo
	v_cmp_gt_i32_e32 vcc_lo, s15, v128
	;; [unrolled: 2-line block ×3, first 2 shown]
	v_cndmask_b32_e32 v100, 0, v100, vcc_lo
	s_branch .LBB50_36
.LBB50_92:                              ;   in Loop: Header=BB50_38 Depth=1
	v_cmp_gt_i32_e64 s0, s15, v134
	s_waitcnt vmcnt(0)
	s_delay_alu instid0(VALU_DEP_1) | instskip(SKIP_1) | instid1(VALU_DEP_1)
	v_cndmask_b32_e64 v5, 0, v5, s0
	v_cmp_gt_i32_e64 s0, s15, v129
	v_cndmask_b32_e64 v6, 0, v6, s0
	v_cmp_gt_i32_e64 s0, s15, v128
	s_delay_alu instid0(VALU_DEP_1) | instskip(SKIP_1) | instid1(VALU_DEP_1)
	v_cndmask_b32_e64 v7, 0, v7, s0
	v_cmp_gt_i32_e64 s0, s15, v191
	v_cndmask_b32_e64 v8, 0, v8, s0
	s_or_b32 exec_lo, exec_lo, s16
	global_load_b128 v[9:12], v[33:34], off offset:512
	s_and_saveexec_b32 s16, vcc_lo
	s_cbranch_execz .LBB50_41
.LBB50_93:                              ;   in Loop: Header=BB50_38 Depth=1
	v_cmp_gt_i32_e64 s0, s15, v134
	s_waitcnt vmcnt(0)
	s_delay_alu instid0(VALU_DEP_1) | instskip(SKIP_1) | instid1(VALU_DEP_1)
	v_cndmask_b32_e64 v9, 0, v9, s0
	v_cmp_gt_i32_e64 s0, s15, v129
	v_cndmask_b32_e64 v10, 0, v10, s0
	v_cmp_gt_i32_e64 s0, s15, v128
	s_delay_alu instid0(VALU_DEP_1) | instskip(SKIP_1) | instid1(VALU_DEP_1)
	v_cndmask_b32_e64 v11, 0, v11, s0
	v_cmp_gt_i32_e64 s0, s15, v191
	v_cndmask_b32_e64 v12, 0, v12, s0
	s_or_b32 exec_lo, exec_lo, s16
	global_load_b128 v[13:16], v[33:34], off offset:1024
	s_and_saveexec_b32 s16, vcc_lo
	s_cbranch_execz .LBB50_42
.LBB50_94:                              ;   in Loop: Header=BB50_38 Depth=1
	v_cmp_gt_i32_e64 s0, s15, v134
	s_waitcnt vmcnt(0)
	s_delay_alu instid0(VALU_DEP_1) | instskip(SKIP_1) | instid1(VALU_DEP_1)
	v_cndmask_b32_e64 v13, 0, v13, s0
	v_cmp_gt_i32_e64 s0, s15, v129
	v_cndmask_b32_e64 v14, 0, v14, s0
	v_cmp_gt_i32_e64 s0, s15, v128
	s_delay_alu instid0(VALU_DEP_1) | instskip(SKIP_1) | instid1(VALU_DEP_1)
	v_cndmask_b32_e64 v15, 0, v15, s0
	v_cmp_gt_i32_e64 s0, s15, v191
	v_cndmask_b32_e64 v16, 0, v16, s0
	s_or_b32 exec_lo, exec_lo, s16
	global_load_b128 v[17:20], v[33:34], off offset:1536
	s_and_saveexec_b32 s16, vcc_lo
	s_cbranch_execz .LBB50_43
.LBB50_95:                              ;   in Loop: Header=BB50_38 Depth=1
	v_cmp_gt_i32_e64 s0, s15, v134
	s_waitcnt vmcnt(0)
	s_delay_alu instid0(VALU_DEP_1) | instskip(SKIP_1) | instid1(VALU_DEP_1)
	v_cndmask_b32_e64 v17, 0, v17, s0
	v_cmp_gt_i32_e64 s0, s15, v129
	v_cndmask_b32_e64 v18, 0, v18, s0
	v_cmp_gt_i32_e64 s0, s15, v128
	s_delay_alu instid0(VALU_DEP_1) | instskip(SKIP_1) | instid1(VALU_DEP_1)
	v_cndmask_b32_e64 v19, 0, v19, s0
	v_cmp_gt_i32_e64 s0, s15, v191
	v_cndmask_b32_e64 v20, 0, v20, s0
	s_or_b32 exec_lo, exec_lo, s16
	global_load_b128 v[21:24], v[33:34], off offset:2048
	s_and_saveexec_b32 s16, vcc_lo
	s_cbranch_execz .LBB50_44
.LBB50_96:                              ;   in Loop: Header=BB50_38 Depth=1
	v_cmp_gt_i32_e64 s0, s15, v134
	s_waitcnt vmcnt(0)
	s_delay_alu instid0(VALU_DEP_1) | instskip(SKIP_1) | instid1(VALU_DEP_1)
	v_cndmask_b32_e64 v21, 0, v21, s0
	v_cmp_gt_i32_e64 s0, s15, v129
	v_cndmask_b32_e64 v22, 0, v22, s0
	v_cmp_gt_i32_e64 s0, s15, v128
	s_delay_alu instid0(VALU_DEP_1) | instskip(SKIP_1) | instid1(VALU_DEP_1)
	v_cndmask_b32_e64 v23, 0, v23, s0
	v_cmp_gt_i32_e64 s0, s15, v191
	v_cndmask_b32_e64 v24, 0, v24, s0
	s_or_b32 exec_lo, exec_lo, s16
	global_load_b128 v[25:28], v[33:34], off offset:2560
	s_and_saveexec_b32 s16, vcc_lo
	s_cbranch_execz .LBB50_45
.LBB50_97:                              ;   in Loop: Header=BB50_38 Depth=1
	v_cmp_gt_i32_e64 s0, s15, v134
	s_waitcnt vmcnt(0)
	s_delay_alu instid0(VALU_DEP_1) | instskip(SKIP_1) | instid1(VALU_DEP_1)
	v_cndmask_b32_e64 v25, 0, v25, s0
	v_cmp_gt_i32_e64 s0, s15, v129
	v_cndmask_b32_e64 v26, 0, v26, s0
	v_cmp_gt_i32_e64 s0, s15, v128
	s_delay_alu instid0(VALU_DEP_1) | instskip(SKIP_1) | instid1(VALU_DEP_1)
	v_cndmask_b32_e64 v27, 0, v27, s0
	v_cmp_gt_i32_e64 s0, s15, v191
	v_cndmask_b32_e64 v28, 0, v28, s0
	s_or_b32 exec_lo, exec_lo, s16
	global_load_b128 v[29:32], v[33:34], off offset:3072
	s_and_saveexec_b32 s16, vcc_lo
	s_cbranch_execz .LBB50_46
.LBB50_98:                              ;   in Loop: Header=BB50_38 Depth=1
	v_cmp_gt_i32_e64 s0, s15, v134
	s_waitcnt vmcnt(0)
	s_delay_alu instid0(VALU_DEP_1) | instskip(SKIP_1) | instid1(VALU_DEP_1)
	v_cndmask_b32_e64 v29, 0, v29, s0
	v_cmp_gt_i32_e64 s0, s15, v129
	v_cndmask_b32_e64 v30, 0, v30, s0
	v_cmp_gt_i32_e64 s0, s15, v128
	s_delay_alu instid0(VALU_DEP_1) | instskip(SKIP_1) | instid1(VALU_DEP_1)
	v_cndmask_b32_e64 v31, 0, v31, s0
	v_cmp_gt_i32_e64 s0, s15, v191
	v_cndmask_b32_e64 v32, 0, v32, s0
	s_or_b32 exec_lo, exec_lo, s16
	global_load_b128 v[33:36], v[33:34], off offset:3584
	s_and_saveexec_b32 s16, vcc_lo
	s_cbranch_execnz .LBB50_47
	s_branch .LBB50_48
.LBB50_99:
	s_or_b32 exec_lo, exec_lo, s3
	v_lshrrev_b32_e32 v166, 5, v0
	v_and_b32_e32 v165, 31, v0
	v_and_b32_e32 v55, 7, v0
.LBB50_100:
	s_or_b32 exec_lo, exec_lo, s1
	ds_bpermute_b32 v1, v133, v163
	ds_bpermute_b32 v2, v133, v164
	;; [unrolled: 1-line block ×20, first 2 shown]
	s_waitcnt lgkmcnt(18)
	v_dual_add_f32 v1, v163, v1 :: v_dual_add_f32 v2, v164, v2
	s_waitcnt lgkmcnt(16)
	v_dual_add_f32 v3, v162, v3 :: v_dual_add_f32 v4, v161, v4
	s_waitcnt lgkmcnt(15)
	v_add_f32_e32 v7, v158, v7
	ds_bpermute_b32 v14, v132, v1
	ds_bpermute_b32 v15, v132, v2
	s_waitcnt lgkmcnt(14)
	v_add_f32_e32 v8, v157, v8
	ds_bpermute_b32 v17, v132, v4
	v_dual_add_f32 v5, v160, v5 :: v_dual_add_f32 v6, v159, v6
	ds_bpermute_b32 v16, v132, v3
	ds_bpermute_b32 v20, v132, v7
	s_waitcnt lgkmcnt(16)
	v_add_f32_e32 v13, v152, v13
	ds_bpermute_b32 v18, v132, v5
	ds_bpermute_b32 v19, v132, v6
	;; [unrolled: 1-line block ×3, first 2 shown]
	s_waitcnt lgkmcnt(17)
	v_dual_add_f32 v9, v156, v9 :: v_dual_add_f32 v10, v155, v10
	s_waitcnt lgkmcnt(15)
	v_dual_add_f32 v11, v154, v11 :: v_dual_add_f32 v12, v153, v12
	;; [unrolled: 2-line block ×3, first 2 shown]
	ds_bpermute_b32 v23, v132, v9
	ds_bpermute_b32 v24, v132, v10
	s_waitcnt lgkmcnt(8)
	v_dual_add_f32 v1, v1, v14 :: v_dual_add_f32 v2, v2, v15
	ds_bpermute_b32 v36, v133, v137
	s_waitcnt lgkmcnt(8)
	v_add_f32_e32 v4, v4, v17
	ds_bpermute_b32 v37, v133, v136
	ds_bpermute_b32 v14, v131, v1
	;; [unrolled: 1-line block ×3, first 2 shown]
	s_waitcnt lgkmcnt(10)
	v_add_f32_e32 v3, v3, v16
	s_waitcnt lgkmcnt(9)
	v_add_f32_e32 v7, v7, v20
	s_waitcnt lgkmcnt(7)
	v_dual_add_f32 v5, v5, v18 :: v_dual_add_f32 v6, v6, v19
	s_waitcnt lgkmcnt(6)
	v_add_f32_e32 v8, v8, v21
	ds_bpermute_b32 v16, v131, v3
	ds_bpermute_b32 v17, v131, v4
	;; [unrolled: 1-line block ×6, first 2 shown]
	s_waitcnt lgkmcnt(10)
	v_dual_add_f32 v9, v9, v23 :: v_dual_add_f32 v10, v10, v24
	ds_bpermute_b32 v23, v132, v11
	ds_bpermute_b32 v24, v132, v12
	;; [unrolled: 1-line block ×5, first 2 shown]
	s_waitcnt lgkmcnt(11)
	v_dual_add_f32 v1, v1, v14 :: v_dual_add_f32 v2, v2, v15
	ds_bpermute_b32 v20, v131, v7
	ds_bpermute_b32 v14, v133, v146
	;; [unrolled: 1-line block ×3, first 2 shown]
	v_dual_add_f32 v36, v137, v36 :: v_dual_add_f32 v37, v136, v37
	s_waitcnt lgkmcnt(12)
	v_dual_add_f32 v3, v3, v16 :: v_dual_add_f32 v4, v4, v17
	s_waitcnt lgkmcnt(11)
	v_add_f32_e32 v5, v5, v18
	ds_bpermute_b32 v45, v132, v36
	s_waitcnt lgkmcnt(9)
	v_dual_add_f32 v8, v8, v21 :: v_dual_add_f32 v13, v13, v31
	ds_bpermute_b32 v46, v132, v37
	v_add_f32_e32 v6, v6, v19
	s_waitcnt lgkmcnt(8)
	v_dual_add_f32 v11, v11, v23 :: v_dual_add_f32 v12, v12, v24
	ds_bpermute_b32 v23, v133, v145
	s_waitcnt lgkmcnt(6)
	v_dual_add_f32 v9, v9, v27 :: v_dual_add_f32 v10, v10, v28
	v_add_f32_e32 v16, v149, v26
	v_add_f32_e32 v21, v147, v30
	s_waitcnt lgkmcnt(5)
	v_dual_add_f32 v7, v7, v20 :: v_dual_add_f32 v20, v148, v29
	s_waitcnt lgkmcnt(3)
	v_dual_add_f32 v14, v146, v14 :: v_dual_add_f32 v15, v25, v15
	ds_bpermute_b32 v18, v132, v16
	ds_bpermute_b32 v25, v133, v144
	ds_bpermute_b32 v24, v132, v20
	ds_bpermute_b32 v26, v132, v21
	ds_bpermute_b32 v27, v133, v143
	ds_bpermute_b32 v28, v133, v142
	ds_bpermute_b32 v29, v132, v14
	ds_bpermute_b32 v30, v133, v141
	v_add_f32_e32 v22, v22, v32
	ds_bpermute_b32 v19, v131, v12
	ds_bpermute_b32 v31, v131, v13
	;; [unrolled: 1-line block ×5, first 2 shown]
	s_waitcnt lgkmcnt(14)
	v_add_f32_e32 v37, v37, v46
	s_movk_i32 s0, 0x1e0
	s_waitcnt lgkmcnt(0)
	s_waitcnt_vscnt null, 0x0
	s_barrier
	buffer_gl0_inv
	v_dual_add_f32 v23, v145, v23 :: v_dual_add_f32 v16, v16, v18
	ds_bpermute_b32 v18, v133, v139
	v_dual_add_f32 v20, v20, v24 :: v_dual_add_f32 v21, v21, v26
	ds_bpermute_b32 v24, v133, v135
	;; [unrolled: 2-line block ×3, first 2 shown]
	v_add_f32_e32 v27, v143, v27
	v_dual_add_f32 v29, v14, v29 :: v_dual_add_f32 v34, v140, v34
	v_add_f32_e32 v14, v141, v30
	ds_bpermute_b32 v30, v132, v25
	ds_bpermute_b32 v39, v132, v27
	;; [unrolled: 1-line block ×7, first 2 shown]
	v_add_f32_e32 v35, v138, v35
	ds_bpermute_b32 v48, v131, v21
	s_waitcnt lgkmcnt(10)
	v_add_f32_e32 v18, v139, v18
	ds_bpermute_b32 v49, v131, v29
	v_add_f32_e32 v15, v15, v33
	s_waitcnt lgkmcnt(10)
	v_add_f32_e32 v24, v135, v24
	ds_bpermute_b32 v44, v132, v35
	ds_bpermute_b32 v43, v132, v18
	s_waitcnt lgkmcnt(11)
	v_add_f32_e32 v23, v23, v26
	v_and_b32_e32 v33, 0x3c7, v0
	v_add_f32_e32 v11, v11, v17
	v_add_f32_e32 v36, v36, v45
	s_waitcnt lgkmcnt(10)
	v_dual_add_f32 v12, v12, v19 :: v_dual_add_f32 v25, v25, v30
	ds_bpermute_b32 v26, v132, v24
	s_waitcnt lgkmcnt(8)
	v_dual_add_f32 v27, v27, v39 :: v_dual_add_f32 v34, v34, v42
	s_waitcnt lgkmcnt(7)
	v_dual_add_f32 v28, v28, v40 :: v_dual_add_f32 v39, v14, v41
	ds_bpermute_b32 v30, v131, v23
	ds_bpermute_b32 v40, v131, v25
	ds_bpermute_b32 v41, v131, v27
	ds_bpermute_b32 v50, v131, v28
	v_add_f32_e32 v14, v22, v32
	ds_bpermute_b32 v53, v131, v37
	v_add_f32_e32 v13, v13, v31
	s_waitcnt lgkmcnt(7)
	v_add_f32_e32 v35, v35, v44
	s_waitcnt lgkmcnt(6)
	v_add_f32_e32 v43, v18, v43
	ds_bpermute_b32 v44, v131, v34
	v_lshrrev_b32_e32 v31, 3, v165
	ds_bpermute_b32 v51, v131, v36
	ds_bpermute_b32 v46, v131, v35
	;; [unrolled: 1-line block ×3, first 2 shown]
	v_add_f32_e32 v16, v16, v38
	s_waitcnt lgkmcnt(9)
	v_add_f32_e32 v52, v24, v26
	ds_bpermute_b32 v42, v131, v39
	v_dual_add_f32 v17, v20, v47 :: v_dual_add_f32 v18, v21, v48
	v_add_f32_e32 v19, v29, v49
	ds_bpermute_b32 v54, v131, v52
	s_waitcnt lgkmcnt(9)
	v_dual_add_f32 v20, v23, v30 :: v_dual_add_f32 v21, v25, v40
	s_waitcnt lgkmcnt(7)
	v_dual_add_f32 v22, v27, v41 :: v_dual_add_f32 v23, v28, v50
	s_waitcnt lgkmcnt(6)
	v_add_f32_e32 v29, v37, v53
	v_mad_u32_u24 v32, v166, s0, 0x200
	v_cmp_eq_u32_e32 vcc_lo, 64, v33
	v_lshlrev_b32_e32 v33, 2, v31
	s_waitcnt lgkmcnt(4)
	v_dual_add_f32 v25, v34, v44 :: v_dual_add_f32 v28, v36, v51
	s_waitcnt lgkmcnt(3)
	v_add_f32_e32 v27, v35, v46
	s_waitcnt lgkmcnt(2)
	v_add_f32_e32 v26, v43, v45
	;; [unrolled: 2-line block ×4, first 2 shown]
	s_and_saveexec_b32 s0, vcc_lo
	s_cbranch_execz .LBB50_102
; %bb.101:
	v_add3_u32 v34, v32, v33, 0xfffffc40
	ds_store_2addr_b32 v34, v1, v2 offset1:4
	ds_store_2addr_b32 v34, v3, v4 offset0:8 offset1:12
	ds_store_2addr_b32 v34, v5, v6 offset0:16 offset1:20
	;; [unrolled: 1-line block ×14, first 2 shown]
.LBB50_102:
	s_or_b32 exec_lo, exec_lo, s0
	v_cmp_eq_u32_e32 vcc_lo, 0, v55
	s_mov_b32 s1, exec_lo
	s_waitcnt lgkmcnt(0)
	s_barrier
	buffer_gl0_inv
	v_cmpx_gt_u32_e32 64, v0
	s_cbranch_execz .LBB50_135
; %bb.103:
	s_and_saveexec_b32 s0, vcc_lo
	s_cbranch_execnz .LBB50_173
; %bb.104:
	s_or_b32 exec_lo, exec_lo, s0
	s_and_saveexec_b32 s0, vcc_lo
	s_cbranch_execnz .LBB50_174
.LBB50_105:
	s_or_b32 exec_lo, exec_lo, s0
	s_and_saveexec_b32 s0, vcc_lo
	s_cbranch_execnz .LBB50_175
.LBB50_106:
	s_or_b32 exec_lo, exec_lo, s0
	s_and_saveexec_b32 s0, vcc_lo
	s_cbranch_execnz .LBB50_176
.LBB50_107:
	s_or_b32 exec_lo, exec_lo, s0
	s_and_saveexec_b32 s0, vcc_lo
	s_cbranch_execnz .LBB50_177
.LBB50_108:
	s_or_b32 exec_lo, exec_lo, s0
	s_and_saveexec_b32 s0, vcc_lo
	s_cbranch_execnz .LBB50_178
.LBB50_109:
	s_or_b32 exec_lo, exec_lo, s0
	s_and_saveexec_b32 s0, vcc_lo
	s_cbranch_execnz .LBB50_179
.LBB50_110:
	s_or_b32 exec_lo, exec_lo, s0
	s_and_saveexec_b32 s0, vcc_lo
	s_cbranch_execnz .LBB50_180
.LBB50_111:
	s_or_b32 exec_lo, exec_lo, s0
	s_and_saveexec_b32 s0, vcc_lo
	s_cbranch_execnz .LBB50_181
.LBB50_112:
	s_or_b32 exec_lo, exec_lo, s0
	s_and_saveexec_b32 s0, vcc_lo
	s_cbranch_execnz .LBB50_182
.LBB50_113:
	s_or_b32 exec_lo, exec_lo, s0
	s_and_saveexec_b32 s0, vcc_lo
	s_cbranch_execnz .LBB50_183
.LBB50_114:
	s_or_b32 exec_lo, exec_lo, s0
	s_and_saveexec_b32 s0, vcc_lo
	s_cbranch_execnz .LBB50_184
.LBB50_115:
	s_or_b32 exec_lo, exec_lo, s0
	s_and_saveexec_b32 s0, vcc_lo
	s_cbranch_execnz .LBB50_185
.LBB50_116:
	s_or_b32 exec_lo, exec_lo, s0
	s_and_saveexec_b32 s0, vcc_lo
	s_cbranch_execnz .LBB50_186
.LBB50_117:
	s_or_b32 exec_lo, exec_lo, s0
	s_and_saveexec_b32 s0, vcc_lo
	s_cbranch_execnz .LBB50_187
.LBB50_118:
	s_or_b32 exec_lo, exec_lo, s0
	s_and_saveexec_b32 s0, vcc_lo
	s_cbranch_execnz .LBB50_188
.LBB50_119:
	s_or_b32 exec_lo, exec_lo, s0
	s_and_saveexec_b32 s0, vcc_lo
	s_cbranch_execnz .LBB50_189
.LBB50_120:
	s_or_b32 exec_lo, exec_lo, s0
	s_and_saveexec_b32 s0, vcc_lo
	s_cbranch_execnz .LBB50_190
.LBB50_121:
	s_or_b32 exec_lo, exec_lo, s0
	s_and_saveexec_b32 s0, vcc_lo
	s_cbranch_execnz .LBB50_191
.LBB50_122:
	s_or_b32 exec_lo, exec_lo, s0
	s_and_saveexec_b32 s0, vcc_lo
	s_cbranch_execnz .LBB50_192
.LBB50_123:
	s_or_b32 exec_lo, exec_lo, s0
	s_and_saveexec_b32 s0, vcc_lo
	s_cbranch_execnz .LBB50_193
.LBB50_124:
	s_or_b32 exec_lo, exec_lo, s0
	s_and_saveexec_b32 s0, vcc_lo
	s_cbranch_execnz .LBB50_194
.LBB50_125:
	s_or_b32 exec_lo, exec_lo, s0
	s_and_saveexec_b32 s0, vcc_lo
	s_cbranch_execnz .LBB50_195
.LBB50_126:
	s_or_b32 exec_lo, exec_lo, s0
	s_and_saveexec_b32 s0, vcc_lo
	s_cbranch_execnz .LBB50_196
.LBB50_127:
	s_or_b32 exec_lo, exec_lo, s0
	s_and_saveexec_b32 s0, vcc_lo
	s_cbranch_execnz .LBB50_197
.LBB50_128:
	s_or_b32 exec_lo, exec_lo, s0
	s_and_saveexec_b32 s0, vcc_lo
	s_cbranch_execnz .LBB50_198
.LBB50_129:
	s_or_b32 exec_lo, exec_lo, s0
	s_and_saveexec_b32 s0, vcc_lo
	s_cbranch_execnz .LBB50_199
.LBB50_130:
	s_or_b32 exec_lo, exec_lo, s0
	s_and_saveexec_b32 s0, vcc_lo
	s_cbranch_execnz .LBB50_200
.LBB50_131:
	s_or_b32 exec_lo, exec_lo, s0
	s_and_saveexec_b32 s0, vcc_lo
	s_cbranch_execnz .LBB50_201
.LBB50_132:
	s_or_b32 exec_lo, exec_lo, s0
	s_and_saveexec_b32 s0, vcc_lo
	s_cbranch_execz .LBB50_134
.LBB50_133:
	v_lshl_add_u32 v34, v31, 2, v32
	ds_load_b32 v34, v34 offset:464
	s_waitcnt lgkmcnt(0)
	v_add_f32_e32 v30, v30, v34
.LBB50_134:
	s_or_b32 exec_lo, exec_lo, s0
.LBB50_135:
	s_delay_alu instid0(SALU_CYCLE_1)
	s_or_b32 exec_lo, exec_lo, s1
	v_and_b32_e32 v34, 0x3e7, v0
	s_mov_b32 s1, exec_lo
	s_barrier
	buffer_gl0_inv
	v_cmpx_eq_u32_e32 32, v34
	s_cbranch_execz .LBB50_137
; %bb.136:
	v_add3_u32 v33, v32, v33, 0xfffffe20
	ds_store_2addr_b32 v33, v1, v2 offset1:4
	ds_store_2addr_b32 v33, v3, v4 offset0:8 offset1:12
	ds_store_2addr_b32 v33, v5, v6 offset0:16 offset1:20
	;; [unrolled: 1-line block ×14, first 2 shown]
.LBB50_137:
	s_or_b32 exec_lo, exec_lo, s1
	s_delay_alu instid0(SALU_CYCLE_1)
	s_mov_b32 s1, exec_lo
	s_waitcnt lgkmcnt(0)
	s_barrier
	buffer_gl0_inv
	v_cmpx_gt_u32_e32 32, v0
	s_cbranch_execz .LBB50_170
; %bb.138:
	v_lshl_add_u32 v31, v31, 2, v32
	s_and_saveexec_b32 s0, vcc_lo
	s_cbranch_execnz .LBB50_202
; %bb.139:
	s_or_b32 exec_lo, exec_lo, s0
	s_and_saveexec_b32 s0, vcc_lo
	s_cbranch_execnz .LBB50_203
.LBB50_140:
	s_or_b32 exec_lo, exec_lo, s0
	s_and_saveexec_b32 s0, vcc_lo
	s_cbranch_execnz .LBB50_204
.LBB50_141:
	s_or_b32 exec_lo, exec_lo, s0
	s_and_saveexec_b32 s0, vcc_lo
	s_cbranch_execnz .LBB50_205
.LBB50_142:
	s_or_b32 exec_lo, exec_lo, s0
	s_and_saveexec_b32 s0, vcc_lo
	s_cbranch_execnz .LBB50_206
.LBB50_143:
	s_or_b32 exec_lo, exec_lo, s0
	s_and_saveexec_b32 s0, vcc_lo
	s_cbranch_execnz .LBB50_207
.LBB50_144:
	s_or_b32 exec_lo, exec_lo, s0
	s_and_saveexec_b32 s0, vcc_lo
	s_cbranch_execnz .LBB50_208
.LBB50_145:
	s_or_b32 exec_lo, exec_lo, s0
	s_and_saveexec_b32 s0, vcc_lo
	s_cbranch_execnz .LBB50_209
.LBB50_146:
	s_or_b32 exec_lo, exec_lo, s0
	s_and_saveexec_b32 s0, vcc_lo
	s_cbranch_execnz .LBB50_210
.LBB50_147:
	s_or_b32 exec_lo, exec_lo, s0
	s_and_saveexec_b32 s0, vcc_lo
	s_cbranch_execnz .LBB50_211
.LBB50_148:
	s_or_b32 exec_lo, exec_lo, s0
	s_and_saveexec_b32 s0, vcc_lo
	s_cbranch_execnz .LBB50_212
.LBB50_149:
	s_or_b32 exec_lo, exec_lo, s0
	s_and_saveexec_b32 s0, vcc_lo
	s_cbranch_execnz .LBB50_213
.LBB50_150:
	s_or_b32 exec_lo, exec_lo, s0
	s_and_saveexec_b32 s0, vcc_lo
	s_cbranch_execnz .LBB50_214
.LBB50_151:
	s_or_b32 exec_lo, exec_lo, s0
	s_and_saveexec_b32 s0, vcc_lo
	s_cbranch_execnz .LBB50_215
.LBB50_152:
	s_or_b32 exec_lo, exec_lo, s0
	s_and_saveexec_b32 s0, vcc_lo
	s_cbranch_execnz .LBB50_216
.LBB50_153:
	s_or_b32 exec_lo, exec_lo, s0
	s_and_saveexec_b32 s0, vcc_lo
	s_cbranch_execnz .LBB50_217
.LBB50_154:
	s_or_b32 exec_lo, exec_lo, s0
	s_and_saveexec_b32 s0, vcc_lo
	s_cbranch_execnz .LBB50_218
.LBB50_155:
	s_or_b32 exec_lo, exec_lo, s0
	s_and_saveexec_b32 s0, vcc_lo
	s_cbranch_execnz .LBB50_219
.LBB50_156:
	s_or_b32 exec_lo, exec_lo, s0
	s_and_saveexec_b32 s0, vcc_lo
	s_cbranch_execnz .LBB50_220
.LBB50_157:
	s_or_b32 exec_lo, exec_lo, s0
	s_and_saveexec_b32 s0, vcc_lo
	s_cbranch_execnz .LBB50_221
.LBB50_158:
	s_or_b32 exec_lo, exec_lo, s0
	s_and_saveexec_b32 s0, vcc_lo
	s_cbranch_execnz .LBB50_222
.LBB50_159:
	s_or_b32 exec_lo, exec_lo, s0
	s_and_saveexec_b32 s0, vcc_lo
	s_cbranch_execnz .LBB50_223
.LBB50_160:
	s_or_b32 exec_lo, exec_lo, s0
	s_and_saveexec_b32 s0, vcc_lo
	s_cbranch_execnz .LBB50_224
.LBB50_161:
	s_or_b32 exec_lo, exec_lo, s0
	s_and_saveexec_b32 s0, vcc_lo
	s_cbranch_execnz .LBB50_225
.LBB50_162:
	s_or_b32 exec_lo, exec_lo, s0
	s_and_saveexec_b32 s0, vcc_lo
	s_cbranch_execnz .LBB50_226
.LBB50_163:
	s_or_b32 exec_lo, exec_lo, s0
	s_and_saveexec_b32 s0, vcc_lo
	s_cbranch_execnz .LBB50_227
.LBB50_164:
	s_or_b32 exec_lo, exec_lo, s0
	s_and_saveexec_b32 s0, vcc_lo
	s_cbranch_execnz .LBB50_228
.LBB50_165:
	s_or_b32 exec_lo, exec_lo, s0
	s_and_saveexec_b32 s0, vcc_lo
	s_cbranch_execnz .LBB50_229
.LBB50_166:
	s_or_b32 exec_lo, exec_lo, s0
	s_and_saveexec_b32 s0, vcc_lo
	s_cbranch_execnz .LBB50_230
.LBB50_167:
	s_or_b32 exec_lo, exec_lo, s0
	s_and_saveexec_b32 s0, vcc_lo
	s_cbranch_execz .LBB50_169
.LBB50_168:
	ds_load_b32 v31, v31 offset:464
	s_waitcnt lgkmcnt(0)
	v_add_f32_e32 v30, v30, v31
.LBB50_169:
	s_or_b32 exec_lo, exec_lo, s0
.LBB50_170:
	s_delay_alu instid0(SALU_CYCLE_1)
	s_or_b32 exec_lo, exec_lo, s1
	s_barrier
	buffer_gl0_inv
	s_mov_b32 s0, exec_lo
	v_cmpx_eq_u32_e32 0, v34
	s_cbranch_execz .LBB50_172
; %bb.171:
	s_mul_i32 s0, s6, 0x78
	s_mul_i32 s2, s4, s20
	s_ashr_i32 s1, s0, 31
	v_lshrrev_b32_e32 v0, 1, v0
	s_lshl_b64 s[0:1], s[0:1], 2
	s_delay_alu instid0(SALU_CYCLE_1) | instskip(SKIP_2) | instid1(SALU_CYCLE_1)
	s_add_u32 s4, s22, s0
	s_addc_u32 s5, s23, s1
	s_ashr_i32 s3, s2, 31
	s_lshl_b64 s[0:1], s[2:3], 2
	s_mul_i32 s2, s12, 0x78
	s_add_u32 s4, s4, s0
	s_addc_u32 s5, s5, s1
	s_ashr_i32 s3, s2, 31
	s_delay_alu instid0(SALU_CYCLE_1) | instskip(NEXT) | instid1(SALU_CYCLE_1)
	s_lshl_b64 s[0:1], s[2:3], 2
	s_add_u32 s0, s4, s0
	s_addc_u32 s1, s5, s1
	s_clause 0x1d
	global_store_b32 v0, v1, s[0:1]
	global_store_b32 v0, v2, s[0:1] offset:16
	global_store_b32 v0, v3, s[0:1] offset:32
	;; [unrolled: 1-line block ×29, first 2 shown]
.LBB50_172:
	s_nop 0
	s_sendmsg sendmsg(MSG_DEALLOC_VGPRS)
	s_endpgm
.LBB50_173:
	v_lshl_add_u32 v34, v31, 2, v32
	ds_load_b32 v34, v34
	s_waitcnt lgkmcnt(0)
	v_add_f32_e32 v1, v1, v34
	s_or_b32 exec_lo, exec_lo, s0
	s_and_saveexec_b32 s0, vcc_lo
	s_cbranch_execz .LBB50_105
.LBB50_174:
	v_lshl_add_u32 v34, v31, 2, v32
	ds_load_b32 v34, v34 offset:16
	s_waitcnt lgkmcnt(0)
	v_add_f32_e32 v2, v2, v34
	s_or_b32 exec_lo, exec_lo, s0
	s_and_saveexec_b32 s0, vcc_lo
	s_cbranch_execz .LBB50_106
.LBB50_175:
	v_lshl_add_u32 v34, v31, 2, v32
	ds_load_b32 v34, v34 offset:32
	s_waitcnt lgkmcnt(0)
	v_add_f32_e32 v3, v3, v34
	s_or_b32 exec_lo, exec_lo, s0
	s_and_saveexec_b32 s0, vcc_lo
	s_cbranch_execz .LBB50_107
.LBB50_176:
	v_lshl_add_u32 v34, v31, 2, v32
	ds_load_b32 v34, v34 offset:48
	s_waitcnt lgkmcnt(0)
	v_add_f32_e32 v4, v4, v34
	s_or_b32 exec_lo, exec_lo, s0
	s_and_saveexec_b32 s0, vcc_lo
	s_cbranch_execz .LBB50_108
.LBB50_177:
	v_lshl_add_u32 v34, v31, 2, v32
	ds_load_b32 v34, v34 offset:64
	s_waitcnt lgkmcnt(0)
	v_add_f32_e32 v5, v5, v34
	s_or_b32 exec_lo, exec_lo, s0
	s_and_saveexec_b32 s0, vcc_lo
	s_cbranch_execz .LBB50_109
.LBB50_178:
	v_lshl_add_u32 v34, v31, 2, v32
	ds_load_b32 v34, v34 offset:80
	s_waitcnt lgkmcnt(0)
	v_add_f32_e32 v6, v6, v34
	s_or_b32 exec_lo, exec_lo, s0
	s_and_saveexec_b32 s0, vcc_lo
	s_cbranch_execz .LBB50_110
.LBB50_179:
	v_lshl_add_u32 v34, v31, 2, v32
	ds_load_b32 v34, v34 offset:96
	s_waitcnt lgkmcnt(0)
	v_add_f32_e32 v7, v7, v34
	s_or_b32 exec_lo, exec_lo, s0
	s_and_saveexec_b32 s0, vcc_lo
	s_cbranch_execz .LBB50_111
.LBB50_180:
	v_lshl_add_u32 v34, v31, 2, v32
	ds_load_b32 v34, v34 offset:112
	s_waitcnt lgkmcnt(0)
	v_add_f32_e32 v8, v8, v34
	s_or_b32 exec_lo, exec_lo, s0
	s_and_saveexec_b32 s0, vcc_lo
	s_cbranch_execz .LBB50_112
.LBB50_181:
	v_lshl_add_u32 v34, v31, 2, v32
	ds_load_b32 v34, v34 offset:128
	s_waitcnt lgkmcnt(0)
	v_add_f32_e32 v9, v9, v34
	s_or_b32 exec_lo, exec_lo, s0
	s_and_saveexec_b32 s0, vcc_lo
	s_cbranch_execz .LBB50_113
.LBB50_182:
	v_lshl_add_u32 v34, v31, 2, v32
	ds_load_b32 v34, v34 offset:144
	s_waitcnt lgkmcnt(0)
	v_add_f32_e32 v10, v10, v34
	s_or_b32 exec_lo, exec_lo, s0
	s_and_saveexec_b32 s0, vcc_lo
	s_cbranch_execz .LBB50_114
.LBB50_183:
	v_lshl_add_u32 v34, v31, 2, v32
	ds_load_b32 v34, v34 offset:160
	s_waitcnt lgkmcnt(0)
	v_add_f32_e32 v11, v11, v34
	s_or_b32 exec_lo, exec_lo, s0
	s_and_saveexec_b32 s0, vcc_lo
	s_cbranch_execz .LBB50_115
.LBB50_184:
	v_lshl_add_u32 v34, v31, 2, v32
	ds_load_b32 v34, v34 offset:176
	s_waitcnt lgkmcnt(0)
	v_add_f32_e32 v12, v12, v34
	s_or_b32 exec_lo, exec_lo, s0
	s_and_saveexec_b32 s0, vcc_lo
	s_cbranch_execz .LBB50_116
.LBB50_185:
	v_lshl_add_u32 v34, v31, 2, v32
	ds_load_b32 v34, v34 offset:192
	s_waitcnt lgkmcnt(0)
	v_add_f32_e32 v13, v13, v34
	s_or_b32 exec_lo, exec_lo, s0
	s_and_saveexec_b32 s0, vcc_lo
	s_cbranch_execz .LBB50_117
.LBB50_186:
	v_lshl_add_u32 v34, v31, 2, v32
	ds_load_b32 v34, v34 offset:208
	s_waitcnt lgkmcnt(0)
	v_add_f32_e32 v14, v14, v34
	s_or_b32 exec_lo, exec_lo, s0
	s_and_saveexec_b32 s0, vcc_lo
	s_cbranch_execz .LBB50_118
.LBB50_187:
	v_lshl_add_u32 v34, v31, 2, v32
	ds_load_b32 v34, v34 offset:224
	s_waitcnt lgkmcnt(0)
	v_add_f32_e32 v15, v15, v34
	s_or_b32 exec_lo, exec_lo, s0
	s_and_saveexec_b32 s0, vcc_lo
	s_cbranch_execz .LBB50_119
.LBB50_188:
	v_lshl_add_u32 v34, v31, 2, v32
	ds_load_b32 v34, v34 offset:240
	s_waitcnt lgkmcnt(0)
	v_add_f32_e32 v16, v16, v34
	s_or_b32 exec_lo, exec_lo, s0
	s_and_saveexec_b32 s0, vcc_lo
	s_cbranch_execz .LBB50_120
.LBB50_189:
	v_lshl_add_u32 v34, v31, 2, v32
	ds_load_b32 v34, v34 offset:256
	s_waitcnt lgkmcnt(0)
	v_add_f32_e32 v17, v17, v34
	s_or_b32 exec_lo, exec_lo, s0
	s_and_saveexec_b32 s0, vcc_lo
	s_cbranch_execz .LBB50_121
.LBB50_190:
	v_lshl_add_u32 v34, v31, 2, v32
	ds_load_b32 v34, v34 offset:272
	s_waitcnt lgkmcnt(0)
	v_add_f32_e32 v18, v18, v34
	s_or_b32 exec_lo, exec_lo, s0
	s_and_saveexec_b32 s0, vcc_lo
	s_cbranch_execz .LBB50_122
.LBB50_191:
	v_lshl_add_u32 v34, v31, 2, v32
	ds_load_b32 v34, v34 offset:288
	s_waitcnt lgkmcnt(0)
	v_add_f32_e32 v19, v19, v34
	s_or_b32 exec_lo, exec_lo, s0
	s_and_saveexec_b32 s0, vcc_lo
	s_cbranch_execz .LBB50_123
.LBB50_192:
	v_lshl_add_u32 v34, v31, 2, v32
	ds_load_b32 v34, v34 offset:304
	s_waitcnt lgkmcnt(0)
	v_add_f32_e32 v20, v20, v34
	s_or_b32 exec_lo, exec_lo, s0
	s_and_saveexec_b32 s0, vcc_lo
	s_cbranch_execz .LBB50_124
.LBB50_193:
	v_lshl_add_u32 v34, v31, 2, v32
	ds_load_b32 v34, v34 offset:320
	s_waitcnt lgkmcnt(0)
	v_add_f32_e32 v21, v21, v34
	s_or_b32 exec_lo, exec_lo, s0
	s_and_saveexec_b32 s0, vcc_lo
	s_cbranch_execz .LBB50_125
.LBB50_194:
	v_lshl_add_u32 v34, v31, 2, v32
	ds_load_b32 v34, v34 offset:336
	s_waitcnt lgkmcnt(0)
	v_add_f32_e32 v22, v22, v34
	s_or_b32 exec_lo, exec_lo, s0
	s_and_saveexec_b32 s0, vcc_lo
	s_cbranch_execz .LBB50_126
.LBB50_195:
	v_lshl_add_u32 v34, v31, 2, v32
	ds_load_b32 v34, v34 offset:352
	s_waitcnt lgkmcnt(0)
	v_add_f32_e32 v23, v23, v34
	s_or_b32 exec_lo, exec_lo, s0
	s_and_saveexec_b32 s0, vcc_lo
	s_cbranch_execz .LBB50_127
.LBB50_196:
	v_lshl_add_u32 v34, v31, 2, v32
	ds_load_b32 v34, v34 offset:368
	s_waitcnt lgkmcnt(0)
	v_add_f32_e32 v24, v24, v34
	s_or_b32 exec_lo, exec_lo, s0
	s_and_saveexec_b32 s0, vcc_lo
	s_cbranch_execz .LBB50_128
.LBB50_197:
	v_lshl_add_u32 v34, v31, 2, v32
	ds_load_b32 v34, v34 offset:384
	s_waitcnt lgkmcnt(0)
	v_add_f32_e32 v25, v25, v34
	s_or_b32 exec_lo, exec_lo, s0
	s_and_saveexec_b32 s0, vcc_lo
	s_cbranch_execz .LBB50_129
.LBB50_198:
	v_lshl_add_u32 v34, v31, 2, v32
	ds_load_b32 v34, v34 offset:400
	s_waitcnt lgkmcnt(0)
	v_add_f32_e32 v26, v26, v34
	s_or_b32 exec_lo, exec_lo, s0
	s_and_saveexec_b32 s0, vcc_lo
	s_cbranch_execz .LBB50_130
.LBB50_199:
	v_lshl_add_u32 v34, v31, 2, v32
	ds_load_b32 v34, v34 offset:416
	s_waitcnt lgkmcnt(0)
	v_add_f32_e32 v27, v27, v34
	s_or_b32 exec_lo, exec_lo, s0
	s_and_saveexec_b32 s0, vcc_lo
	s_cbranch_execz .LBB50_131
.LBB50_200:
	v_lshl_add_u32 v34, v31, 2, v32
	ds_load_b32 v34, v34 offset:432
	s_waitcnt lgkmcnt(0)
	v_add_f32_e32 v28, v28, v34
	s_or_b32 exec_lo, exec_lo, s0
	s_and_saveexec_b32 s0, vcc_lo
	s_cbranch_execz .LBB50_132
.LBB50_201:
	v_lshl_add_u32 v34, v31, 2, v32
	ds_load_b32 v34, v34 offset:448
	s_waitcnt lgkmcnt(0)
	v_add_f32_e32 v29, v29, v34
	s_or_b32 exec_lo, exec_lo, s0
	s_and_saveexec_b32 s0, vcc_lo
	s_cbranch_execnz .LBB50_133
	s_branch .LBB50_134
.LBB50_202:
	ds_load_b32 v32, v31
	s_waitcnt lgkmcnt(0)
	v_add_f32_e32 v1, v1, v32
	s_or_b32 exec_lo, exec_lo, s0
	s_and_saveexec_b32 s0, vcc_lo
	s_cbranch_execz .LBB50_140
.LBB50_203:
	ds_load_b32 v32, v31 offset:16
	s_waitcnt lgkmcnt(0)
	v_add_f32_e32 v2, v2, v32
	s_or_b32 exec_lo, exec_lo, s0
	s_and_saveexec_b32 s0, vcc_lo
	s_cbranch_execz .LBB50_141
.LBB50_204:
	ds_load_b32 v32, v31 offset:32
	s_waitcnt lgkmcnt(0)
	v_add_f32_e32 v3, v3, v32
	s_or_b32 exec_lo, exec_lo, s0
	s_and_saveexec_b32 s0, vcc_lo
	s_cbranch_execz .LBB50_142
.LBB50_205:
	ds_load_b32 v32, v31 offset:48
	s_waitcnt lgkmcnt(0)
	v_add_f32_e32 v4, v4, v32
	s_or_b32 exec_lo, exec_lo, s0
	s_and_saveexec_b32 s0, vcc_lo
	s_cbranch_execz .LBB50_143
.LBB50_206:
	ds_load_b32 v32, v31 offset:64
	s_waitcnt lgkmcnt(0)
	v_add_f32_e32 v5, v5, v32
	s_or_b32 exec_lo, exec_lo, s0
	s_and_saveexec_b32 s0, vcc_lo
	s_cbranch_execz .LBB50_144
.LBB50_207:
	ds_load_b32 v32, v31 offset:80
	s_waitcnt lgkmcnt(0)
	v_add_f32_e32 v6, v6, v32
	s_or_b32 exec_lo, exec_lo, s0
	s_and_saveexec_b32 s0, vcc_lo
	s_cbranch_execz .LBB50_145
.LBB50_208:
	ds_load_b32 v32, v31 offset:96
	s_waitcnt lgkmcnt(0)
	v_add_f32_e32 v7, v7, v32
	s_or_b32 exec_lo, exec_lo, s0
	s_and_saveexec_b32 s0, vcc_lo
	s_cbranch_execz .LBB50_146
.LBB50_209:
	ds_load_b32 v32, v31 offset:112
	s_waitcnt lgkmcnt(0)
	v_add_f32_e32 v8, v8, v32
	s_or_b32 exec_lo, exec_lo, s0
	s_and_saveexec_b32 s0, vcc_lo
	s_cbranch_execz .LBB50_147
.LBB50_210:
	ds_load_b32 v32, v31 offset:128
	s_waitcnt lgkmcnt(0)
	v_add_f32_e32 v9, v9, v32
	s_or_b32 exec_lo, exec_lo, s0
	s_and_saveexec_b32 s0, vcc_lo
	s_cbranch_execz .LBB50_148
.LBB50_211:
	ds_load_b32 v32, v31 offset:144
	s_waitcnt lgkmcnt(0)
	v_add_f32_e32 v10, v10, v32
	s_or_b32 exec_lo, exec_lo, s0
	s_and_saveexec_b32 s0, vcc_lo
	s_cbranch_execz .LBB50_149
.LBB50_212:
	ds_load_b32 v32, v31 offset:160
	s_waitcnt lgkmcnt(0)
	v_add_f32_e32 v11, v11, v32
	s_or_b32 exec_lo, exec_lo, s0
	s_and_saveexec_b32 s0, vcc_lo
	s_cbranch_execz .LBB50_150
.LBB50_213:
	ds_load_b32 v32, v31 offset:176
	s_waitcnt lgkmcnt(0)
	v_add_f32_e32 v12, v12, v32
	s_or_b32 exec_lo, exec_lo, s0
	s_and_saveexec_b32 s0, vcc_lo
	s_cbranch_execz .LBB50_151
.LBB50_214:
	ds_load_b32 v32, v31 offset:192
	s_waitcnt lgkmcnt(0)
	v_add_f32_e32 v13, v13, v32
	s_or_b32 exec_lo, exec_lo, s0
	s_and_saveexec_b32 s0, vcc_lo
	s_cbranch_execz .LBB50_152
.LBB50_215:
	ds_load_b32 v32, v31 offset:208
	s_waitcnt lgkmcnt(0)
	v_add_f32_e32 v14, v14, v32
	s_or_b32 exec_lo, exec_lo, s0
	s_and_saveexec_b32 s0, vcc_lo
	s_cbranch_execz .LBB50_153
.LBB50_216:
	ds_load_b32 v32, v31 offset:224
	s_waitcnt lgkmcnt(0)
	v_add_f32_e32 v15, v15, v32
	s_or_b32 exec_lo, exec_lo, s0
	s_and_saveexec_b32 s0, vcc_lo
	s_cbranch_execz .LBB50_154
.LBB50_217:
	ds_load_b32 v32, v31 offset:240
	s_waitcnt lgkmcnt(0)
	v_add_f32_e32 v16, v16, v32
	s_or_b32 exec_lo, exec_lo, s0
	s_and_saveexec_b32 s0, vcc_lo
	s_cbranch_execz .LBB50_155
.LBB50_218:
	ds_load_b32 v32, v31 offset:256
	s_waitcnt lgkmcnt(0)
	v_add_f32_e32 v17, v17, v32
	s_or_b32 exec_lo, exec_lo, s0
	s_and_saveexec_b32 s0, vcc_lo
	s_cbranch_execz .LBB50_156
.LBB50_219:
	ds_load_b32 v32, v31 offset:272
	s_waitcnt lgkmcnt(0)
	v_add_f32_e32 v18, v18, v32
	s_or_b32 exec_lo, exec_lo, s0
	s_and_saveexec_b32 s0, vcc_lo
	s_cbranch_execz .LBB50_157
.LBB50_220:
	ds_load_b32 v32, v31 offset:288
	s_waitcnt lgkmcnt(0)
	v_add_f32_e32 v19, v19, v32
	s_or_b32 exec_lo, exec_lo, s0
	s_and_saveexec_b32 s0, vcc_lo
	s_cbranch_execz .LBB50_158
.LBB50_221:
	ds_load_b32 v32, v31 offset:304
	s_waitcnt lgkmcnt(0)
	v_add_f32_e32 v20, v20, v32
	s_or_b32 exec_lo, exec_lo, s0
	s_and_saveexec_b32 s0, vcc_lo
	s_cbranch_execz .LBB50_159
.LBB50_222:
	ds_load_b32 v32, v31 offset:320
	s_waitcnt lgkmcnt(0)
	v_add_f32_e32 v21, v21, v32
	s_or_b32 exec_lo, exec_lo, s0
	s_and_saveexec_b32 s0, vcc_lo
	s_cbranch_execz .LBB50_160
.LBB50_223:
	ds_load_b32 v32, v31 offset:336
	s_waitcnt lgkmcnt(0)
	v_add_f32_e32 v22, v22, v32
	s_or_b32 exec_lo, exec_lo, s0
	s_and_saveexec_b32 s0, vcc_lo
	s_cbranch_execz .LBB50_161
.LBB50_224:
	ds_load_b32 v32, v31 offset:352
	s_waitcnt lgkmcnt(0)
	v_add_f32_e32 v23, v23, v32
	s_or_b32 exec_lo, exec_lo, s0
	s_and_saveexec_b32 s0, vcc_lo
	s_cbranch_execz .LBB50_162
.LBB50_225:
	ds_load_b32 v32, v31 offset:368
	s_waitcnt lgkmcnt(0)
	v_add_f32_e32 v24, v24, v32
	s_or_b32 exec_lo, exec_lo, s0
	s_and_saveexec_b32 s0, vcc_lo
	s_cbranch_execz .LBB50_163
.LBB50_226:
	ds_load_b32 v32, v31 offset:384
	s_waitcnt lgkmcnt(0)
	v_add_f32_e32 v25, v25, v32
	s_or_b32 exec_lo, exec_lo, s0
	s_and_saveexec_b32 s0, vcc_lo
	s_cbranch_execz .LBB50_164
.LBB50_227:
	ds_load_b32 v32, v31 offset:400
	s_waitcnt lgkmcnt(0)
	v_add_f32_e32 v26, v26, v32
	s_or_b32 exec_lo, exec_lo, s0
	s_and_saveexec_b32 s0, vcc_lo
	s_cbranch_execz .LBB50_165
.LBB50_228:
	ds_load_b32 v32, v31 offset:416
	s_waitcnt lgkmcnt(0)
	v_add_f32_e32 v27, v27, v32
	s_or_b32 exec_lo, exec_lo, s0
	s_and_saveexec_b32 s0, vcc_lo
	s_cbranch_execz .LBB50_166
.LBB50_229:
	ds_load_b32 v32, v31 offset:432
	s_waitcnt lgkmcnt(0)
	v_add_f32_e32 v28, v28, v32
	s_or_b32 exec_lo, exec_lo, s0
	s_and_saveexec_b32 s0, vcc_lo
	s_cbranch_execz .LBB50_167
.LBB50_230:
	ds_load_b32 v32, v31 offset:448
	s_waitcnt lgkmcnt(0)
	v_add_f32_e32 v29, v29, v32
	s_or_b32 exec_lo, exec_lo, s0
	s_and_saveexec_b32 s0, vcc_lo
	s_cbranch_execnz .LBB50_168
	s_branch .LBB50_169
	.section	.rodata,"a",@progbits
	.p2align	6, 0x0
	.amdhsa_kernel _ZN4vllm25paged_attention_v2_kernelIffLi120ELi32ELi128ELNS_18Fp8KVCacheDataTypeE0ELb1ELi512EEEvPfS2_PT_PKS3_PKT0_S9_ifPKiSB_iPKfiiiSD_SD_iiiii
		.amdhsa_group_segment_fixed_size 512
		.amdhsa_private_segment_fixed_size 0
		.amdhsa_kernarg_size 400
		.amdhsa_user_sgpr_count 13
		.amdhsa_user_sgpr_dispatch_ptr 0
		.amdhsa_user_sgpr_queue_ptr 0
		.amdhsa_user_sgpr_kernarg_segment_ptr 1
		.amdhsa_user_sgpr_dispatch_id 0
		.amdhsa_user_sgpr_private_segment_size 0
		.amdhsa_wavefront_size32 1
		.amdhsa_uses_dynamic_stack 0
		.amdhsa_enable_private_segment 0
		.amdhsa_system_sgpr_workgroup_id_x 1
		.amdhsa_system_sgpr_workgroup_id_y 1
		.amdhsa_system_sgpr_workgroup_id_z 1
		.amdhsa_system_sgpr_workgroup_info 0
		.amdhsa_system_vgpr_workitem_id 0
		.amdhsa_next_free_vgpr 192
		.amdhsa_next_free_sgpr 46
		.amdhsa_reserve_vcc 1
		.amdhsa_float_round_mode_32 0
		.amdhsa_float_round_mode_16_64 0
		.amdhsa_float_denorm_mode_32 3
		.amdhsa_float_denorm_mode_16_64 3
		.amdhsa_dx10_clamp 1
		.amdhsa_ieee_mode 1
		.amdhsa_fp16_overflow 0
		.amdhsa_workgroup_processor_mode 1
		.amdhsa_memory_ordered 1
		.amdhsa_forward_progress 0
		.amdhsa_shared_vgpr_count 0
		.amdhsa_exception_fp_ieee_invalid_op 0
		.amdhsa_exception_fp_denorm_src 0
		.amdhsa_exception_fp_ieee_div_zero 0
		.amdhsa_exception_fp_ieee_overflow 0
		.amdhsa_exception_fp_ieee_underflow 0
		.amdhsa_exception_fp_ieee_inexact 0
		.amdhsa_exception_int_div_zero 0
	.end_amdhsa_kernel
	.section	.text._ZN4vllm25paged_attention_v2_kernelIffLi120ELi32ELi128ELNS_18Fp8KVCacheDataTypeE0ELb1ELi512EEEvPfS2_PT_PKS3_PKT0_S9_ifPKiSB_iPKfiiiSD_SD_iiiii,"axG",@progbits,_ZN4vllm25paged_attention_v2_kernelIffLi120ELi32ELi128ELNS_18Fp8KVCacheDataTypeE0ELb1ELi512EEEvPfS2_PT_PKS3_PKT0_S9_ifPKiSB_iPKfiiiSD_SD_iiiii,comdat
.Lfunc_end50:
	.size	_ZN4vllm25paged_attention_v2_kernelIffLi120ELi32ELi128ELNS_18Fp8KVCacheDataTypeE0ELb1ELi512EEEvPfS2_PT_PKS3_PKT0_S9_ifPKiSB_iPKfiiiSD_SD_iiiii, .Lfunc_end50-_ZN4vllm25paged_attention_v2_kernelIffLi120ELi32ELi128ELNS_18Fp8KVCacheDataTypeE0ELb1ELi512EEEvPfS2_PT_PKS3_PKT0_S9_ifPKiSB_iPKfiiiSD_SD_iiiii
                                        ; -- End function
	.section	.AMDGPU.csdata,"",@progbits
; Kernel info:
; codeLenInByte = 13828
; NumSgprs: 48
; NumVgprs: 192
; ScratchSize: 0
; MemoryBound: 0
; FloatMode: 240
; IeeeMode: 1
; LDSByteSize: 512 bytes/workgroup (compile time only)
; SGPRBlocks: 5
; VGPRBlocks: 23
; NumSGPRsForWavesPerEU: 48
; NumVGPRsForWavesPerEU: 192
; Occupancy: 8
; WaveLimiterHint : 1
; COMPUTE_PGM_RSRC2:SCRATCH_EN: 0
; COMPUTE_PGM_RSRC2:USER_SGPR: 13
; COMPUTE_PGM_RSRC2:TRAP_HANDLER: 0
; COMPUTE_PGM_RSRC2:TGID_X_EN: 1
; COMPUTE_PGM_RSRC2:TGID_Y_EN: 1
; COMPUTE_PGM_RSRC2:TGID_Z_EN: 1
; COMPUTE_PGM_RSRC2:TIDIG_COMP_CNT: 0
	.section	.text._ZN4vllm25paged_attention_v2_kernelIffLi128ELi32ELi128ELNS_18Fp8KVCacheDataTypeE0ELb1ELi512EEEvPfS2_PT_PKS3_PKT0_S9_ifPKiSB_iPKfiiiSD_SD_iiiii,"axG",@progbits,_ZN4vllm25paged_attention_v2_kernelIffLi128ELi32ELi128ELNS_18Fp8KVCacheDataTypeE0ELb1ELi512EEEvPfS2_PT_PKS3_PKT0_S9_ifPKiSB_iPKfiiiSD_SD_iiiii,comdat
	.protected	_ZN4vllm25paged_attention_v2_kernelIffLi128ELi32ELi128ELNS_18Fp8KVCacheDataTypeE0ELb1ELi512EEEvPfS2_PT_PKS3_PKT0_S9_ifPKiSB_iPKfiiiSD_SD_iiiii ; -- Begin function _ZN4vllm25paged_attention_v2_kernelIffLi128ELi32ELi128ELNS_18Fp8KVCacheDataTypeE0ELb1ELi512EEEvPfS2_PT_PKS3_PKT0_S9_ifPKiSB_iPKfiiiSD_SD_iiiii
	.globl	_ZN4vllm25paged_attention_v2_kernelIffLi128ELi32ELi128ELNS_18Fp8KVCacheDataTypeE0ELb1ELi512EEEvPfS2_PT_PKS3_PKT0_S9_ifPKiSB_iPKfiiiSD_SD_iiiii
	.p2align	8
	.type	_ZN4vllm25paged_attention_v2_kernelIffLi128ELi32ELi128ELNS_18Fp8KVCacheDataTypeE0ELb1ELi512EEEvPfS2_PT_PKS3_PKT0_S9_ifPKiSB_iPKfiiiSD_SD_iiiii,@function
_ZN4vllm25paged_attention_v2_kernelIffLi128ELi32ELi128ELNS_18Fp8KVCacheDataTypeE0ELb1ELi512EEEvPfS2_PT_PKS3_PKT0_S9_ifPKiSB_iPKfiiiSD_SD_iiiii: ; @_ZN4vllm25paged_attention_v2_kernelIffLi128ELi32ELi128ELNS_18Fp8KVCacheDataTypeE0ELb1ELi512EEEvPfS2_PT_PKS3_PKT0_S9_ifPKiSB_iPKfiiiSD_SD_iiiii
; %bb.0:
	s_load_b64 s[2:3], s[0:1], 0x40
	s_mov_b32 s12, s15
	s_ashr_i32 s15, s14, 31
	s_delay_alu instid0(SALU_CYCLE_1)
	s_lshl_b64 s[4:5], s[14:15], 2
	s_waitcnt lgkmcnt(0)
	s_add_u32 s2, s2, s4
	s_addc_u32 s3, s3, s5
	s_lshl_b32 s39, s12, 9
	s_load_b32 s15, s[2:3], 0x0
	s_waitcnt lgkmcnt(0)
	s_cmp_ge_i32 s39, s15
	s_cbranch_scc1 .LBB51_180
; %bb.1:
	s_mov_b32 s24, s13
	s_clause 0x1
	s_load_b32 s13, s[0:1], 0x90
	s_load_b64 s[36:37], s[0:1], 0x30
	s_mov_b32 s41, 0
	s_waitcnt lgkmcnt(0)
	s_abs_i32 s5, s13
	s_abs_i32 s2, s36
	s_delay_alu instid0(SALU_CYCLE_1) | instskip(SKIP_1) | instid1(VALU_DEP_1)
	v_cvt_f32_u32_e32 v1, s2
	s_sub_i32 s4, 0, s2
	v_rcp_iflag_f32_e32 v1, v1
	s_waitcnt_depctr 0xfff
	v_mul_f32_e32 v1, 0x4f7ffffe, v1
	s_delay_alu instid0(VALU_DEP_1) | instskip(NEXT) | instid1(VALU_DEP_1)
	v_cvt_u32_f32_e32 v1, v1
	v_readfirstlane_b32 s3, v1
	s_delay_alu instid0(VALU_DEP_1) | instskip(NEXT) | instid1(SALU_CYCLE_1)
	s_mul_i32 s4, s4, s3
	s_mul_hi_u32 s4, s3, s4
	s_delay_alu instid0(SALU_CYCLE_1) | instskip(SKIP_4) | instid1(SALU_CYCLE_1)
	s_add_i32 s3, s3, s4
	s_xor_b32 s4, s13, s36
	s_mul_hi_u32 s3, s5, s3
	s_ashr_i32 s4, s4, 31
	s_mul_i32 s6, s3, s2
	s_sub_i32 s5, s5, s6
	s_add_i32 s6, s3, 1
	s_sub_i32 s7, s5, s2
	s_cmp_ge_u32 s5, s2
	s_cselect_b32 s3, s6, s3
	s_cselect_b32 s5, s7, s5
	s_add_i32 s6, s3, 1
	s_cmp_ge_u32 s5, s2
	s_cselect_b32 s2, s6, s3
	s_abs_i32 s17, s24
	s_xor_b32 s2, s2, s4
	s_delay_alu instid0(SALU_CYCLE_1) | instskip(SKIP_2) | instid1(SALU_CYCLE_1)
	s_sub_i32 s8, s2, s4
	s_load_b64 s[2:3], s[0:1], 0x50
	s_abs_i32 s16, s8
	v_cvt_f32_u32_e32 v1, s16
	s_sub_i32 s5, 0, s16
	s_delay_alu instid0(VALU_DEP_1) | instskip(SKIP_2) | instid1(VALU_DEP_1)
	v_rcp_iflag_f32_e32 v1, v1
	s_waitcnt_depctr 0xfff
	v_mul_f32_e32 v1, 0x4f7ffffe, v1
	v_cvt_u32_f32_e32 v1, v1
	s_delay_alu instid0(VALU_DEP_1) | instskip(NEXT) | instid1(VALU_DEP_1)
	v_readfirstlane_b32 s4, v1
	s_mul_i32 s5, s5, s4
	s_delay_alu instid0(SALU_CYCLE_1) | instskip(NEXT) | instid1(SALU_CYCLE_1)
	s_mul_hi_u32 s5, s4, s5
	s_add_i32 s4, s4, s5
	s_waitcnt lgkmcnt(0)
	s_cmp_eq_u64 s[2:3], 0
	s_mul_hi_u32 s18, s17, s4
	s_cbranch_scc1 .LBB51_3
; %bb.2:
	s_ashr_i32 s25, s24, 31
	s_delay_alu instid0(SALU_CYCLE_1) | instskip(NEXT) | instid1(SALU_CYCLE_1)
	s_lshl_b64 s[4:5], s[24:25], 2
	s_add_u32 s2, s2, s4
	s_addc_u32 s3, s3, s5
	s_load_b32 s41, s[2:3], 0x0
.LBB51_3:
	s_load_b128 s[4:7], s[0:1], 0x58
	v_cmp_gt_u32_e64 s2, 32, v0
	s_ashr_i32 s3, s24, 31
	s_waitcnt lgkmcnt(0)
	s_ashr_i32 s7, s8, 31
	s_lshl_b32 s20, s24, 7
	s_and_saveexec_b32 s8, s2
	s_cbranch_execz .LBB51_5
; %bb.4:
	s_load_b64 s[10:11], s[0:1], 0x18
	s_mul_i32 s22, s14, s4
	v_lshlrev_b32_e32 v5, 4, v0
	s_ashr_i32 s23, s22, 31
	s_delay_alu instid0(SALU_CYCLE_1) | instskip(SKIP_4) | instid1(SALU_CYCLE_1)
	s_lshl_b64 s[22:23], s[22:23], 2
	s_waitcnt lgkmcnt(0)
	s_add_u32 s4, s10, s22
	s_addc_u32 s9, s11, s23
	s_ashr_i32 s21, s20, 31
	s_lshl_b64 s[10:11], s[20:21], 2
	s_delay_alu instid0(SALU_CYCLE_1)
	s_add_u32 s10, s4, s10
	s_addc_u32 s11, s9, s11
	global_load_b128 v[1:4], v5, s[10:11]
	s_waitcnt vmcnt(0)
	ds_store_b128 v5, v[1:4]
.LBB51_5:
	s_or_b32 exec_lo, exec_lo, s8
	s_load_b128 s[8:11], s[0:1], 0x78
	s_mul_i32 s4, s18, s16
	s_xor_b32 s3, s3, s7
	s_sub_i32 s4, s17, s4
	s_add_i32 s7, s18, 1
	s_sub_i32 s17, s4, s16
	s_cmp_ge_u32 s4, s16
	s_waitcnt lgkmcnt(0)
	s_cselect_b32 s7, s7, s18
	s_cselect_b32 s4, s17, s4
	s_add_i32 s17, s7, 1
	s_cmp_ge_u32 s4, s16
	s_load_b32 s16, s[0:1], 0x88
	s_cselect_b32 s4, s17, s7
	s_add_i32 s17, s15, -1
	s_xor_b32 s4, s4, s3
	s_mov_b32 s18, -1
	s_sub_i32 s7, s4, s3
	s_abs_i32 s4, s17
	s_waitcnt lgkmcnt(0)
	s_barrier
	s_abs_i32 s21, s11
	buffer_gl0_inv
	v_cvt_f32_u32_e32 v1, s21
	s_sub_i32 s3, 0, s21
                                        ; implicit-def: $sgpr33
	s_delay_alu instid0(VALU_DEP_1) | instskip(SKIP_2) | instid1(VALU_DEP_1)
	v_rcp_iflag_f32_e32 v1, v1
	s_waitcnt_depctr 0xfff
	v_mul_f32_e32 v1, 0x4f7ffffe, v1
	v_cvt_u32_f32_e32 v1, v1
	s_delay_alu instid0(VALU_DEP_1) | instskip(NEXT) | instid1(VALU_DEP_1)
	v_readfirstlane_b32 s25, v1
	s_mul_i32 s3, s3, s25
	s_delay_alu instid0(SALU_CYCLE_1) | instskip(NEXT) | instid1(SALU_CYCLE_1)
	s_mul_hi_u32 s3, s25, s3
	s_add_i32 s25, s25, s3
	s_cmp_lt_i32 s16, 0
	s_mul_hi_u32 s3, s4, s25
	s_cbranch_scc0 .LBB51_7
; %bb.6:
	s_mul_i32 s18, s8, s36
	s_delay_alu instid0(SALU_CYCLE_1) | instskip(NEXT) | instid1(SALU_CYCLE_1)
	s_add_i32 s18, s7, s18
	s_mul_i32 s18, s18, s16
	s_delay_alu instid0(SALU_CYCLE_1)
	s_sub_i32 s33, 1, s18
	s_mov_b32 s18, 0
.LBB51_7:
	s_load_b64 s[26:27], s[0:1], 0x38
	s_ashr_i32 s28, s17, 31
	s_and_not1_b32 vcc_lo, exec_lo, s18
	s_ashr_i32 s11, s11, 31
	s_cbranch_vccnz .LBB51_9
; %bb.8:
	s_mul_i32 s8, s13, s8
	s_delay_alu instid0(SALU_CYCLE_1) | instskip(NEXT) | instid1(SALU_CYCLE_1)
	s_add_i32 s8, s8, s24
	s_mul_i32 s8, s8, s16
	s_delay_alu instid0(SALU_CYCLE_1)
	s_add_i32 s33, s8, 1
.LBB51_9:
	s_clause 0x4
	s_load_b32 s29, s[0:1], 0x48
	s_load_b64 s[30:31], s[0:1], 0x28
	s_load_b32 s8, s[0:1], 0x98
	s_load_b128 s[16:19], s[0:1], 0x0
	s_load_b64 s[22:23], s[0:1], 0x10
	s_xor_b32 s34, s28, s11
	s_mul_i32 s28, s3, s21
	s_add_i32 s35, s3, 1
	s_sub_i32 s4, s4, s28
	v_lshrrev_b32_e32 v175, 5, v0
	s_sub_i32 s36, s4, s21
	v_and_b32_e32 v176, 31, v0
	v_mov_b32_e32 v132, 0xff7fffff
	s_delay_alu instid0(VALU_DEP_3) | instskip(NEXT) | instid1(VALU_DEP_3)
	v_lshl_add_u32 v138, v175, 5, s39
	v_lshlrev_b32_e32 v131, 2, v176
	s_waitcnt lgkmcnt(0)
	s_mul_i32 s28, s14, s29
	s_delay_alu instid0(SALU_CYCLE_1)
	s_ashr_i32 s29, s28, 31
	s_cmp_ge_u32 s4, s21
	s_cselect_b32 s3, s35, s3
	s_cselect_b32 s4, s36, s4
	s_add_i32 s35, s3, 1
	s_cmp_ge_u32 s4, s21
	s_cselect_b32 s3, s35, s3
	s_add_i32 s35, s15, 31
	s_lshl_b32 s4, s12, 4
	s_ashr_i32 s36, s35, 31
	v_add_nc_u32_e32 v133, s4, v175
	s_lshr_b32 s36, s36, 27
	s_delay_alu instid0(SALU_CYCLE_1)
	s_add_i32 s35, s35, s36
	s_add_i32 s36, s4, 16
	s_ashr_i32 s38, s35, 5
	s_xor_b32 s35, s3, s34
	s_min_i32 s36, s36, s38
	v_ashrrev_i32_e32 v134, 31, v133
	v_cmp_gt_i32_e64 s3, s36, v133
	s_sub_i32 s40, s35, s34
	s_mul_i32 s34, s7, s6
	s_delay_alu instid0(VALU_DEP_1)
	s_and_saveexec_b32 s6, s3
	s_cbranch_execz .LBB51_17
; %bb.10:
	s_load_b64 s[0:1], s[0:1], 0x20
	s_ashr_i32 s35, s34, 31
	s_sub_i32 s7, s40, s9
	s_lshl_b64 s[42:43], s[34:35], 2
	v_dual_mov_b32 v125, 0 :: v_dual_mov_b32 v132, 0xff7fffff
	ds_load_b128 v[1:4], v125
	ds_load_b128 v[5:8], v125 offset:16
	ds_load_b128 v[9:12], v125 offset:32
	;; [unrolled: 1-line block ×7, first 2 shown]
	v_lshlrev_b64 v[129:130], 2, v[133:134]
	v_dual_mov_b32 v136, 0xff7fffff :: v_dual_lshlrev_b32 v141, 4, v176
	v_subrev_nc_u32_e32 v139, s15, v176
	v_lshl_or_b32 v140, v175, 7, v131
	v_cmp_neq_f32_e64 vcc_lo, s41, 0
	v_lshl_add_u32 v135, v175, 5, s39
	v_mov_b32_e32 v137, v133
	s_waitcnt lgkmcnt(0)
	s_add_u32 s42, s0, s42
	v_add_nc_u32_e32 v140, 0x220, v140
	s_addc_u32 s43, s1, s43
	s_abs_i32 s35, s10
	v_add_co_u32 v141, s42, s42, v141
	v_cvt_f32_u32_e32 v33, s35
	s_sub_i32 s0, 0, s35
	v_add_nc_u32_e32 v139, 1, v139
	s_delay_alu instid0(VALU_DEP_2)
	v_rcp_iflag_f32_e32 v73, v33
	ds_load_b128 v[33:36], v125 offset:128
	ds_load_b128 v[37:40], v125 offset:144
	;; [unrolled: 1-line block ×10, first 2 shown]
	v_mul_f32_e32 v89, 0x4f7ffffe, v73
	ds_load_b128 v[73:76], v125 offset:288
	ds_load_b128 v[77:80], v125 offset:304
	;; [unrolled: 1-line block ×4, first 2 shown]
	v_cvt_u32_f32_e32 v143, v89
	ds_load_b128 v[89:92], v125 offset:352
	ds_load_b128 v[93:96], v125 offset:368
	;; [unrolled: 1-line block ×10, first 2 shown]
	v_mul_lo_u32 v142, s0, v143
	s_lshl_b64 s[0:1], s[28:29], 2
	s_delay_alu instid0(SALU_CYCLE_1) | instskip(SKIP_2) | instid1(VALU_DEP_1)
	s_add_u32 s0, s26, s0
	s_addc_u32 s1, s27, s1
	v_add_co_u32 v129, s0, s0, v129
	v_add_co_ci_u32_e64 v130, s0, s1, v130, s0
	s_delay_alu instid0(VALU_DEP_3) | instskip(SKIP_3) | instid1(VALU_DEP_2)
	v_mul_hi_u32 v144, v143, v142
	v_add_co_ci_u32_e64 v142, null, s43, 0, s42
	s_mov_b32 s43, s5
	s_mov_b32 s42, 0
	v_add_nc_u32_e32 v143, v143, v144
	s_branch .LBB51_12
.LBB51_11:                              ;   in Loop: Header=BB51_12 Depth=1
	s_or_b32 exec_lo, exec_lo, s1
	v_add_nc_u32_e32 v137, 4, v137
	v_add_co_u32 v129, s1, v129, 16
	s_delay_alu instid0(VALU_DEP_1) | instskip(NEXT) | instid1(VALU_DEP_3)
	v_add_co_ci_u32_e64 v130, s1, 0, v130, s1
	v_cmp_le_i32_e64 s0, s36, v137
	v_add_nc_u32_e32 v135, 0x80, v135
	v_add_nc_u32_e32 v140, 0x200, v140
	s_delay_alu instid0(VALU_DEP_3) | instskip(NEXT) | instid1(SALU_CYCLE_1)
	s_or_b32 s42, s0, s42
	s_and_not1_b32 exec_lo, exec_lo, s42
	s_cbranch_execz .LBB51_16
.LBB51_12:                              ; =>This Inner Loop Header: Depth=1
	v_sub_nc_u32_e32 v144, 0, v135
	s_delay_alu instid0(VALU_DEP_1) | instskip(NEXT) | instid1(VALU_DEP_1)
	v_max_i32_e32 v144, v135, v144
	v_mul_hi_u32 v145, v144, s25
	s_delay_alu instid0(VALU_DEP_1) | instskip(NEXT) | instid1(VALU_DEP_1)
	v_mul_lo_u32 v146, v145, s21
	v_sub_nc_u32_e32 v144, v144, v146
	v_add_nc_u32_e32 v146, 1, v145
	s_delay_alu instid0(VALU_DEP_2) | instskip(SKIP_1) | instid1(VALU_DEP_1)
	v_subrev_nc_u32_e32 v147, s21, v144
	v_cmp_le_u32_e64 s0, s21, v144
	v_cndmask_b32_e64 v145, v145, v146, s0
	s_delay_alu instid0(VALU_DEP_3) | instskip(SKIP_1) | instid1(VALU_DEP_3)
	v_cndmask_b32_e64 v144, v144, v147, s0
	v_ashrrev_i32_e32 v146, 31, v135
	v_add_nc_u32_e32 v147, 1, v145
	s_delay_alu instid0(VALU_DEP_3) | instskip(NEXT) | instid1(VALU_DEP_3)
	v_cmp_le_u32_e64 s0, s21, v144
	v_xor_b32_e32 v146, s11, v146
	s_delay_alu instid0(VALU_DEP_2) | instskip(NEXT) | instid1(VALU_DEP_1)
	v_cndmask_b32_e64 v144, v145, v147, s0
	v_xor_b32_e32 v144, v144, v146
	s_delay_alu instid0(VALU_DEP_1) | instskip(NEXT) | instid1(VALU_DEP_1)
	v_sub_nc_u32_e32 v144, v144, v146
	v_add_nc_u32_e32 v145, s33, v144
	v_cmp_ge_i32_e64 s1, s7, v144
	s_delay_alu instid0(VALU_DEP_2) | instskip(NEXT) | instid1(VALU_DEP_1)
	v_sub_nc_u32_e32 v146, 0, v145
	v_max_i32_e32 v146, v145, v146
	v_ashrrev_i32_e32 v145, 31, v145
	s_delay_alu instid0(VALU_DEP_2) | instskip(NEXT) | instid1(VALU_DEP_1)
	v_mul_hi_u32 v147, v146, v143
	v_mul_lo_u32 v147, v147, s35
	s_delay_alu instid0(VALU_DEP_1) | instskip(NEXT) | instid1(VALU_DEP_1)
	v_sub_nc_u32_e32 v146, v146, v147
	v_subrev_nc_u32_e32 v147, s35, v146
	v_cmp_le_u32_e64 s0, s35, v146
	s_delay_alu instid0(VALU_DEP_1) | instskip(NEXT) | instid1(VALU_DEP_1)
	v_cndmask_b32_e64 v146, v146, v147, s0
	v_subrev_nc_u32_e32 v147, s35, v146
	v_cmp_le_u32_e64 s0, s35, v146
	s_delay_alu instid0(VALU_DEP_1) | instskip(NEXT) | instid1(VALU_DEP_1)
	v_cndmask_b32_e64 v146, v146, v147, s0
	v_xor_b32_e32 v146, v146, v145
	s_delay_alu instid0(VALU_DEP_1) | instskip(NEXT) | instid1(VALU_DEP_1)
	v_sub_nc_u32_e32 v145, v146, v145
	v_cmp_ne_u32_e64 s0, 0, v145
	s_delay_alu instid0(VALU_DEP_1) | instskip(NEXT) | instid1(SALU_CYCLE_1)
	s_and_b32 s0, s0, s1
	s_and_saveexec_b32 s1, s0
	s_delay_alu instid0(SALU_CYCLE_1)
	s_xor_b32 s0, exec_lo, s1
	s_cbranch_execz .LBB51_14
; %bb.13:                               ;   in Loop: Header=BB51_12 Depth=1
	ds_store_b32 v140, v136
.LBB51_14:                              ;   in Loop: Header=BB51_12 Depth=1
	s_and_not1_saveexec_b32 s1, s0
	s_cbranch_execz .LBB51_11
; %bb.15:                               ;   in Loop: Header=BB51_12 Depth=1
	global_load_b32 v146, v[129:130], off
	s_waitcnt vmcnt(0)
	v_mad_i64_i32 v[144:145], null, v146, s43, 0
	s_delay_alu instid0(VALU_DEP_1) | instskip(NEXT) | instid1(VALU_DEP_1)
	v_lshlrev_b64 v[144:145], 2, v[144:145]
	v_add_co_u32 v170, s0, v141, v144
	s_delay_alu instid0(VALU_DEP_1)
	v_add_co_ci_u32_e64 v171, s0, v142, v145, s0
	s_clause 0x5
	global_load_b128 v[146:149], v[170:171], off offset:512
	global_load_b128 v[150:153], v[170:171], off
	global_load_b128 v[154:157], v[170:171], off offset:1024
	global_load_b128 v[158:161], v[170:171], off offset:1536
	;; [unrolled: 1-line block ×4, first 2 shown]
	v_add_co_u32 v172, s0, v170, 0x2000
	s_delay_alu instid0(VALU_DEP_1) | instskip(SKIP_4) | instid1(VALU_DEP_2)
	v_add_co_ci_u32_e64 v173, s0, 0, v171, s0
	s_waitcnt vmcnt(5)
	v_dual_mul_f32 v146, v5, v146 :: v_dual_mul_f32 v147, v6, v147
	v_dual_mul_f32 v145, v7, v148 :: v_dual_mul_f32 v144, v8, v149
	s_waitcnt vmcnt(4)
	v_dual_fmac_f32 v146, v1, v150 :: v_dual_fmac_f32 v147, v2, v151
	global_load_b128 v[148:151], v[170:171], off offset:3072
	v_dual_fmac_f32 v145, v3, v152 :: v_dual_fmac_f32 v144, v4, v153
	s_waitcnt vmcnt(4)
	v_dual_fmac_f32 v146, v9, v154 :: v_dual_fmac_f32 v147, v10, v155
	global_load_b128 v[152:155], v[170:171], off offset:3584
	v_dual_fmac_f32 v145, v11, v156 :: v_dual_fmac_f32 v144, v12, v157
	s_waitcnt vmcnt(4)
	v_dual_fmac_f32 v146, v13, v158 :: v_dual_fmac_f32 v147, v14, v159
	global_load_b128 v[156:159], v[172:173], off offset:-4096
	v_dual_fmac_f32 v145, v15, v160 :: v_dual_fmac_f32 v144, v16, v161
	s_waitcnt vmcnt(4)
	v_dual_fmac_f32 v146, v17, v162 :: v_dual_fmac_f32 v147, v18, v163
	s_delay_alu instid0(VALU_DEP_2) | instskip(SKIP_1) | instid1(VALU_DEP_1)
	v_dual_fmac_f32 v145, v19, v164 :: v_dual_fmac_f32 v144, v20, v165
	v_add_co_u32 v164, s0, 0x1000, v170
	v_add_co_ci_u32_e64 v165, s0, 0, v171, s0
	s_waitcnt vmcnt(3)
	v_dual_fmac_f32 v146, v21, v166 :: v_dual_fmac_f32 v147, v22, v167
	v_dual_fmac_f32 v145, v23, v168 :: v_dual_fmac_f32 v144, v24, v169
	global_load_b128 v[160:163], v[164:165], off offset:512
	v_add_co_u32 v168, s0, 0x2000, v170
	s_delay_alu instid0(VALU_DEP_1) | instskip(SKIP_1) | instid1(VALU_DEP_1)
	v_add_co_ci_u32_e64 v169, s0, 0, v171, s0
	v_add_co_u32 v170, s0, 0x3000, v170
	v_add_co_ci_u32_e64 v171, s0, 0, v171, s0
	s_waitcnt vmcnt(3)
	v_dual_fmac_f32 v146, v25, v148 :: v_dual_fmac_f32 v147, v26, v149
	v_dual_fmac_f32 v145, v27, v150 :: v_dual_fmac_f32 v144, v28, v151
	global_load_b128 v[148:151], v[164:165], off offset:1024
	s_waitcnt vmcnt(3)
	v_dual_fmac_f32 v146, v29, v152 :: v_dual_fmac_f32 v147, v30, v153
	v_dual_fmac_f32 v145, v31, v154 :: v_dual_fmac_f32 v144, v32, v155
	global_load_b128 v[152:155], v[172:173], off
	s_waitcnt vmcnt(3) lgkmcnt(23)
	v_dual_fmac_f32 v146, v33, v156 :: v_dual_fmac_f32 v147, v34, v157
	v_dual_fmac_f32 v145, v35, v158 :: v_dual_fmac_f32 v144, v36, v159
	global_load_b128 v[156:159], v[164:165], off offset:1536
	s_waitcnt vmcnt(3) lgkmcnt(22)
	v_dual_fmac_f32 v146, v37, v160 :: v_dual_fmac_f32 v147, v38, v161
	v_dual_fmac_f32 v145, v39, v162 :: v_dual_fmac_f32 v144, v40, v163
	global_load_b128 v[160:163], v[164:165], off offset:2048
	s_waitcnt vmcnt(3) lgkmcnt(21)
	v_dual_fmac_f32 v146, v41, v148 :: v_dual_fmac_f32 v147, v42, v149
	v_dual_fmac_f32 v145, v43, v150 :: v_dual_fmac_f32 v144, v44, v151
	global_load_b128 v[148:151], v[164:165], off offset:2560
	s_waitcnt vmcnt(2) lgkmcnt(20)
	v_dual_fmac_f32 v146, v45, v156 :: v_dual_fmac_f32 v147, v46, v157
	v_dual_fmac_f32 v145, v47, v158 :: v_dual_fmac_f32 v144, v48, v159
	s_clause 0x1
	global_load_b128 v[156:159], v[164:165], off offset:3072
	global_load_b128 v[164:167], v[164:165], off offset:3584
	s_waitcnt vmcnt(3) lgkmcnt(19)
	v_dual_fmac_f32 v146, v49, v160 :: v_dual_fmac_f32 v147, v50, v161
	v_dual_fmac_f32 v145, v51, v162 :: v_dual_fmac_f32 v144, v52, v163
	global_load_b128 v[160:163], v[168:169], off offset:1536
	s_waitcnt vmcnt(3) lgkmcnt(18)
	v_dual_fmac_f32 v146, v53, v148 :: v_dual_fmac_f32 v147, v54, v149
	v_dual_fmac_f32 v145, v55, v150 :: v_dual_fmac_f32 v144, v56, v151
	;; [unrolled: 4-line block ×4, first 2 shown]
	global_load_b128 v[164:167], v[168:169], off offset:3584
	s_waitcnt lgkmcnt(15)
	v_dual_fmac_f32 v146, v65, v152 :: v_dual_fmac_f32 v147, v66, v153
	v_dual_fmac_f32 v145, v67, v154 :: v_dual_fmac_f32 v144, v68, v155
	global_load_b128 v[152:155], v[168:169], off offset:2048
	s_waitcnt vmcnt(3) lgkmcnt(14)
	v_dual_fmac_f32 v146, v69, v148 :: v_dual_fmac_f32 v147, v70, v149
	v_dual_fmac_f32 v145, v71, v150 :: v_dual_fmac_f32 v144, v72, v151
	global_load_b128 v[148:151], v[168:169], off offset:2560
	s_waitcnt vmcnt(3) lgkmcnt(13)
	v_dual_fmac_f32 v146, v73, v156 :: v_dual_fmac_f32 v147, v74, v157
	v_dual_fmac_f32 v145, v75, v158 :: v_dual_fmac_f32 v144, v76, v159
	global_load_b128 v[156:159], v[168:169], off offset:3072
	s_waitcnt lgkmcnt(12)
	v_dual_fmac_f32 v146, v77, v160 :: v_dual_fmac_f32 v147, v78, v161
	v_dual_fmac_f32 v145, v79, v162 :: v_dual_fmac_f32 v144, v80, v163
	global_load_b128 v[160:163], v[170:171], off
	s_waitcnt vmcnt(3) lgkmcnt(11)
	v_dual_fmac_f32 v146, v81, v152 :: v_dual_fmac_f32 v147, v82, v153
	v_dual_fmac_f32 v145, v83, v154 :: v_dual_fmac_f32 v144, v84, v155
	global_load_b128 v[152:155], v[170:171], off offset:512
	s_waitcnt vmcnt(3) lgkmcnt(10)
	v_dual_fmac_f32 v146, v85, v148 :: v_dual_fmac_f32 v147, v86, v149
	v_dual_fmac_f32 v145, v87, v150 :: v_dual_fmac_f32 v144, v88, v151
	global_load_b128 v[148:151], v[170:171], off offset:1024
	;; [unrolled: 4-line block ×3, first 2 shown]
	s_waitcnt lgkmcnt(8)
	v_dual_fmac_f32 v146, v93, v164 :: v_dual_fmac_f32 v147, v94, v165
	v_dual_fmac_f32 v145, v95, v166 :: v_dual_fmac_f32 v144, v96, v167
	global_load_b128 v[164:167], v[170:171], off offset:2048
	s_waitcnt vmcnt(4) lgkmcnt(7)
	v_dual_fmac_f32 v146, v97, v160 :: v_dual_fmac_f32 v147, v98, v161
	v_dual_fmac_f32 v145, v99, v162 :: v_dual_fmac_f32 v144, v100, v163
	global_load_b128 v[160:163], v[170:171], off offset:2560
	s_waitcnt vmcnt(4) lgkmcnt(6)
	;; [unrolled: 4-line block ×4, first 2 shown]
	v_dual_fmac_f32 v146, v109, v156 :: v_dual_fmac_f32 v147, v110, v157
	v_dual_fmac_f32 v145, v111, v158 :: v_dual_fmac_f32 v144, v112, v159
	s_waitcnt vmcnt(3) lgkmcnt(3)
	s_delay_alu instid0(VALU_DEP_2) | instskip(NEXT) | instid1(VALU_DEP_2)
	v_dual_fmac_f32 v146, v113, v164 :: v_dual_fmac_f32 v147, v114, v165
	v_dual_fmac_f32 v145, v115, v166 :: v_dual_fmac_f32 v144, v116, v167
	s_waitcnt vmcnt(2) lgkmcnt(2)
	s_delay_alu instid0(VALU_DEP_2) | instskip(SKIP_1) | instid1(VALU_DEP_1)
	v_dual_fmac_f32 v146, v117, v160 :: v_dual_fmac_f32 v147, v118, v161
	s_waitcnt vmcnt(1) lgkmcnt(1)
	v_dual_fmac_f32 v145, v119, v162 :: v_dual_fmac_f32 v146, v121, v152
	s_delay_alu instid0(VALU_DEP_2) | instskip(NEXT) | instid1(VALU_DEP_2)
	v_dual_fmac_f32 v147, v122, v153 :: v_dual_add_nc_u32 v152, v139, v135
	v_dual_fmac_f32 v144, v120, v163 :: v_dual_fmac_f32 v145, v123, v154
	s_waitcnt vmcnt(0) lgkmcnt(0)
	s_delay_alu instid0(VALU_DEP_1) | instskip(NEXT) | instid1(VALU_DEP_3)
	v_dual_fmac_f32 v144, v124, v155 :: v_dual_fmac_f32 v145, v127, v150
	v_dual_fmac_f32 v146, v125, v148 :: v_dual_fmac_f32 v147, v126, v149
	v_cvt_f32_i32_e32 v148, v152
	s_delay_alu instid0(VALU_DEP_1) | instskip(NEXT) | instid1(VALU_DEP_1)
	v_dual_add_f32 v146, v146, v147 :: v_dual_mul_f32 v147, s41, v148
	v_dual_fmac_f32 v144, v128, v151 :: v_dual_add_f32 v145, v145, v146
	s_delay_alu instid0(VALU_DEP_2) | instskip(NEXT) | instid1(VALU_DEP_2)
	v_cndmask_b32_e32 v146, 0, v147, vcc_lo
	v_add_f32_e32 v144, v144, v145
	v_max_f32_e32 v145, v132, v132
	s_delay_alu instid0(VALU_DEP_2) | instskip(NEXT) | instid1(VALU_DEP_1)
	v_fmac_f32_e32 v146, s37, v144
	v_dual_max_f32 v145, v145, v146 :: v_dual_add_nc_u32 v144, v176, v135
	s_delay_alu instid0(VALU_DEP_1) | instskip(NEXT) | instid1(VALU_DEP_1)
	v_cmp_gt_i32_e64 s0, s15, v144
	v_cndmask_b32_e64 v144, 0, v146, s0
	s_delay_alu instid0(VALU_DEP_3)
	v_cndmask_b32_e64 v132, v132, v145, s0
	ds_store_b32 v140, v144
	s_branch .LBB51_11
.LBB51_16:
	s_or_b32 exec_lo, exec_lo, s42
.LBB51_17:
	s_delay_alu instid0(SALU_CYCLE_1) | instskip(SKIP_2) | instid1(VALU_DEP_2)
	s_or_b32 exec_lo, exec_lo, s6
	v_mbcnt_lo_u32_b32 v1, -1, 0
	v_max_f32_e32 v5, v132, v132
	v_xor_b32_e32 v2, 16, v1
	v_xor_b32_e32 v4, 8, v1
	s_delay_alu instid0(VALU_DEP_2) | instskip(SKIP_1) | instid1(VALU_DEP_3)
	v_cmp_gt_i32_e32 vcc_lo, 32, v2
	v_cndmask_b32_e32 v2, v1, v2, vcc_lo
	v_cmp_gt_i32_e32 vcc_lo, 32, v4
	s_delay_alu instid0(VALU_DEP_2) | instskip(SKIP_4) | instid1(VALU_DEP_1)
	v_lshlrev_b32_e32 v2, 2, v2
	v_cndmask_b32_e32 v4, v1, v4, vcc_lo
	ds_bpermute_b32 v3, v2, v132
	s_waitcnt lgkmcnt(0)
	v_dual_max_f32 v6, v3, v3 :: v_dual_lshlrev_b32 v3, 2, v4
	v_max_f32_e32 v4, v5, v6
	v_xor_b32_e32 v6, 4, v1
	ds_bpermute_b32 v5, v3, v4
	v_cmp_gt_i32_e32 vcc_lo, 32, v6
	v_cndmask_b32_e32 v6, v1, v6, vcc_lo
	s_delay_alu instid0(VALU_DEP_1) | instskip(SKIP_1) | instid1(VALU_DEP_1)
	v_lshlrev_b32_e32 v141, 2, v6
	v_xor_b32_e32 v6, 2, v1
	v_cmp_gt_i32_e32 vcc_lo, 32, v6
	s_waitcnt lgkmcnt(0)
	v_max_f32_e32 v5, v5, v5
	v_cndmask_b32_e32 v6, v1, v6, vcc_lo
	s_delay_alu instid0(VALU_DEP_1) | instskip(SKIP_1) | instid1(VALU_DEP_1)
	v_lshlrev_b32_e32 v140, 2, v6
	v_xor_b32_e32 v6, 1, v1
	v_cmp_gt_i32_e32 vcc_lo, 32, v6
	v_cndmask_b32_e32 v6, v1, v6, vcc_lo
	v_max_f32_e32 v4, v4, v5
	v_cmp_eq_u32_e32 vcc_lo, 0, v176
	s_delay_alu instid0(VALU_DEP_3) | instskip(SKIP_3) | instid1(VALU_DEP_1)
	v_lshlrev_b32_e32 v139, 2, v6
	ds_bpermute_b32 v5, v141, v4
	s_waitcnt lgkmcnt(0)
	v_max_f32_e32 v5, v5, v5
	v_max_f32_e32 v4, v4, v5
	ds_bpermute_b32 v5, v140, v4
	s_waitcnt lgkmcnt(0)
	v_max_f32_e32 v5, v5, v5
	s_delay_alu instid0(VALU_DEP_1)
	v_max_f32_e32 v1, v4, v5
	v_lshlrev_b32_e32 v5, 2, v175
	ds_bpermute_b32 v4, v139, v1
	s_and_saveexec_b32 s0, vcc_lo
	s_cbranch_execz .LBB51_19
; %bb.18:
	s_waitcnt lgkmcnt(0)
	v_dual_max_f32 v4, v4, v4 :: v_dual_max_f32 v1, v1, v1
	s_delay_alu instid0(VALU_DEP_1)
	v_max_f32_e32 v1, v1, v4
	ds_store_b32 v5, v1 offset:512
.LBB51_19:
	s_or_b32 exec_lo, exec_lo, s0
	v_cmp_gt_u32_e64 s0, 4, v176
	v_mov_b32_e32 v1, 0xff7fffff
	s_waitcnt lgkmcnt(0)
	s_barrier
	buffer_gl0_inv
	s_and_saveexec_b32 s1, s0
	s_cbranch_execz .LBB51_21
; %bb.20:
	ds_load_b32 v1, v131 offset:512
.LBB51_21:
	s_or_b32 exec_lo, exec_lo, s1
	s_waitcnt lgkmcnt(0)
	ds_bpermute_b32 v4, v140, v1
	v_max_f32_e32 v1, v1, v1
	s_sub_i32 s1, s36, s4
	v_mov_b32_e32 v6, 0
	s_lshl_b32 s1, s1, 5
	s_delay_alu instid0(SALU_CYCLE_1) | instskip(NEXT) | instid1(SALU_CYCLE_1)
	s_add_i32 s1, s1, s39
	s_min_i32 s1, s1, s15
	s_delay_alu instid0(SALU_CYCLE_1) | instskip(NEXT) | instid1(SALU_CYCLE_1)
	s_sub_i32 s6, s1, s39
	v_cmp_gt_i32_e64 s1, s6, v0
	s_waitcnt lgkmcnt(0)
	v_max_f32_e32 v4, v4, v4
	s_delay_alu instid0(VALU_DEP_1) | instskip(SKIP_3) | instid1(VALU_DEP_1)
	v_max_f32_e32 v1, v1, v4
	ds_bpermute_b32 v4, v139, v1
	s_waitcnt lgkmcnt(0)
	v_max_f32_e32 v4, v4, v4
	v_max_f32_e32 v1, v1, v4
	v_lshl_add_u32 v4, v0, 2, 0x220
	ds_bpermute_b32 v1, v6, v1
	s_and_saveexec_b32 s7, s1
	s_cbranch_execz .LBB51_25
; %bb.22:
	v_lshl_add_u32 v7, v0, 2, 0x220
	v_mov_b32_e32 v6, 0
	v_mov_b32_e32 v8, v0
	s_mov_b32 s35, 0
	.p2align	6
.LBB51_23:                              ; =>This Inner Loop Header: Depth=1
	ds_load_b32 v9, v7
	v_add_nc_u32_e32 v8, 0x80, v8
	s_delay_alu instid0(VALU_DEP_1) | instskip(NEXT) | instid1(VALU_DEP_1)
	v_cmp_le_i32_e64 s4, s6, v8
	s_or_b32 s35, s4, s35
	s_waitcnt lgkmcnt(0)
	v_sub_f32_e32 v9, v9, v1
	s_delay_alu instid0(VALU_DEP_1) | instskip(NEXT) | instid1(VALU_DEP_1)
	v_mul_f32_e32 v9, 0x3fb8aa3b, v9
	v_exp_f32_e32 v9, v9
	ds_store_b32 v7, v9
	v_dual_add_f32 v6, v6, v9 :: v_dual_add_nc_u32 v7, 0x200, v7
	s_and_not1_b32 exec_lo, exec_lo, s35
	s_cbranch_execnz .LBB51_23
; %bb.24:
	s_or_b32 exec_lo, exec_lo, s35
.LBB51_25:
	s_delay_alu instid0(SALU_CYCLE_1)
	s_or_b32 exec_lo, exec_lo, s7
	ds_bpermute_b32 v2, v2, v6
	s_waitcnt lgkmcnt(0)
	v_add_f32_e32 v2, v6, v2
	ds_bpermute_b32 v3, v3, v2
	s_waitcnt lgkmcnt(0)
	v_add_f32_e32 v2, v2, v3
	;; [unrolled: 3-line block ×5, first 2 shown]
	s_and_saveexec_b32 s4, vcc_lo
	s_cbranch_execz .LBB51_27
; %bb.26:
	ds_store_b32 v5, v2 offset:528
.LBB51_27:
	s_or_b32 exec_lo, exec_lo, s4
	s_waitcnt lgkmcnt(0)
	s_barrier
	buffer_gl0_inv
	s_and_saveexec_b32 s4, s0
	s_cbranch_execz .LBB51_29
; %bb.28:
	ds_load_b32 v2, v131 offset:528
.LBB51_29:
	s_or_b32 exec_lo, exec_lo, s4
	s_waitcnt lgkmcnt(0)
	ds_bpermute_b32 v3, v140, v2
	s_waitcnt lgkmcnt(0)
	v_add_f32_e32 v2, v2, v3
	ds_bpermute_b32 v3, v139, v2
	s_waitcnt lgkmcnt(0)
	v_dual_add_f32 v2, v2, v3 :: v_dual_mov_b32 v3, 0
	ds_bpermute_b32 v2, v3, v2
	s_and_saveexec_b32 s0, s1
	s_cbranch_execz .LBB51_32
; %bb.30:
	s_waitcnt lgkmcnt(0)
	v_add_f32_e32 v3, 0x358637bd, v2
	s_mov_b32 s1, 0
	s_delay_alu instid0(VALU_DEP_1) | instskip(SKIP_1) | instid1(VALU_DEP_2)
	v_div_scale_f32 v5, null, v3, v3, 1.0
	v_div_scale_f32 v8, vcc_lo, 1.0, v3, 1.0
	v_rcp_f32_e32 v6, v5
	s_waitcnt_depctr 0xfff
	v_fma_f32 v7, -v5, v6, 1.0
	s_delay_alu instid0(VALU_DEP_1) | instskip(NEXT) | instid1(VALU_DEP_1)
	v_fmac_f32_e32 v6, v7, v6
	v_mul_f32_e32 v7, v8, v6
	s_delay_alu instid0(VALU_DEP_1) | instskip(NEXT) | instid1(VALU_DEP_1)
	v_fma_f32 v9, -v5, v7, v8
	v_fmac_f32_e32 v7, v9, v6
	s_delay_alu instid0(VALU_DEP_1) | instskip(NEXT) | instid1(VALU_DEP_1)
	v_fma_f32 v5, -v5, v7, v8
	v_div_fmas_f32 v5, v5, v6, v7
	s_delay_alu instid0(VALU_DEP_1)
	v_div_fixup_f32 v3, v5, v3, 1.0
	v_mov_b32_e32 v5, v0
.LBB51_31:                              ; =>This Inner Loop Header: Depth=1
	ds_load_b32 v6, v4
	s_waitcnt lgkmcnt(0)
	v_dual_mul_f32 v6, v3, v6 :: v_dual_add_nc_u32 v5, 0x80, v5
	s_delay_alu instid0(VALU_DEP_1) | instskip(SKIP_3) | instid1(SALU_CYCLE_1)
	v_cmp_le_i32_e32 vcc_lo, s6, v5
	ds_store_b32 v4, v6
	v_add_nc_u32_e32 v4, 0x200, v4
	s_or_b32 s1, vcc_lo, s1
	s_and_not1_b32 exec_lo, exec_lo, s1
	s_cbranch_execnz .LBB51_31
.LBB51_32:
	s_or_b32 exec_lo, exec_lo, s0
	s_mul_i32 s0, s8, s14
	s_waitcnt lgkmcnt(0)
	s_mul_i32 s6, s0, s13
	s_mov_b32 s0, exec_lo
	s_barrier
	buffer_gl0_inv
	v_cmpx_eq_u32_e32 0, v0
	s_cbranch_execz .LBB51_34
; %bb.33:
	s_ashr_i32 s7, s6, 31
	s_mul_i32 s44, s8, s24
	s_lshl_b64 s[42:43], s[6:7], 2
	v_mov_b32_e32 v3, 0
	s_add_u32 s1, s18, s42
	s_addc_u32 s4, s19, s43
	s_ashr_i32 s45, s44, 31
	s_delay_alu instid0(SALU_CYCLE_1) | instskip(NEXT) | instid1(SALU_CYCLE_1)
	s_lshl_b64 s[18:19], s[44:45], 2
	s_add_u32 s1, s1, s18
	s_addc_u32 s4, s4, s19
	s_ashr_i32 s13, s12, 31
	s_delay_alu instid0(SALU_CYCLE_1) | instskip(NEXT) | instid1(SALU_CYCLE_1)
	s_lshl_b64 s[44:45], s[12:13], 2
	s_add_u32 s46, s1, s44
	s_addc_u32 s47, s4, s45
	s_add_u32 s1, s16, s42
	s_addc_u32 s4, s17, s43
	;; [unrolled: 2-line block ×4, first 2 shown]
	s_clause 0x1
	global_store_b32 v3, v1, s[46:47]
	global_store_b32 v3, v2, s[16:17]
.LBB51_34:
	s_or_b32 exec_lo, exec_lo, s0
	v_dual_mov_b32 v173, 0 :: v_dual_mov_b32 v174, 0
	v_dual_mov_b32 v172, 0 :: v_dual_and_b32 v55, 7, v0
	v_dual_mov_b32 v171, 0 :: v_dual_mov_b32 v170, 0
	v_dual_mov_b32 v169, 0 :: v_dual_mov_b32 v168, 0
	;; [unrolled: 1-line block ×14, first 2 shown]
	v_mov_b32_e32 v143, 0
	s_mov_b32 s4, 0
	s_and_saveexec_b32 s1, s3
	s_cbranch_execz .LBB51_104
; %bb.35:
	v_dual_mov_b32 v144, 0 :: v_dual_lshlrev_b32 v3, 2, v0
	s_ashr_i32 s35, s34, 31
	v_mov_b32_e32 v143, 0
	s_lshl_b64 s[16:17], s[34:35], 2
	s_delay_alu instid0(VALU_DEP_2)
	v_and_b32_e32 v6, 28, v3
	s_sub_i32 s3, s40, s9
	s_add_u32 s7, s30, s16
	v_lshlrev_b64 v[1:2], 2, v[133:134]
	s_addc_u32 s9, s31, s17
	s_abs_i32 s10, s10
	scratch_store_b32 off, v6, off          ; 4-byte Folded Spill
	v_dual_mov_b32 v145, 0 :: v_dual_and_b32 v6, 0x7c, v3
	s_lshl_b64 s[16:17], s[28:29], 2
	s_add_i32 s13, s38, -1
	s_sub_i32 s0, 0, s10
	s_add_u32 s14, s26, s16
	v_or_b32_e32 v7, 0x400, v6
	v_add_co_u32 v134, vcc_lo, s14, v1
	v_dual_mov_b32 v148, 0 :: v_dual_lshlrev_b32 v1, 2, v6
	v_or_b32_e32 v8, 0x480, v6
	v_cvt_f32_u32_e32 v4, s10
	v_or_b32_e32 v9, 0x500, v6
	scratch_store_b32 off, v1, off offset:4 ; 4-byte Folded Spill
	v_dual_mov_b32 v150, 0 :: v_dual_lshlrev_b32 v1, 2, v7
	v_rcp_iflag_f32_e32 v4, v4
	v_or_b32_e32 v10, 0x580, v6
	v_mov_b32_e32 v152, 0
	scratch_store_b32 off, v1, off offset:8 ; 4-byte Folded Spill
	v_lshlrev_b32_e32 v1, 2, v8
	v_or_b32_e32 v11, 0x600, v6
	v_dual_mov_b32 v154, 0 :: v_dual_lshlrev_b32 v5, 4, v55
	v_or_b32_e32 v12, 0x680, v6
	scratch_store_b32 off, v1, off offset:12 ; 4-byte Folded Spill
	v_dual_mul_f32 v4, 0x4f7ffffe, v4 :: v_dual_lshlrev_b32 v1, 2, v9
	v_mov_b32_e32 v156, 0
	v_or_b32_e32 v13, 0x700, v6
	v_mov_b32_e32 v158, 0
	s_delay_alu instid0(VALU_DEP_4)
	v_cvt_u32_f32_e32 v4, v4
	scratch_store_b32 off, v1, off offset:16 ; 4-byte Folded Spill
	v_lshlrev_b32_e32 v1, 2, v10
	v_or_b32_e32 v14, 0x780, v6
	v_mov_b32_e32 v160, 0
	v_mul_lo_u32 v16, s0, v4
	v_or_b32_e32 v15, 0x800, v6
	scratch_store_b32 off, v1, off offset:20 ; 4-byte Folded Spill
	v_dual_mov_b32 v162, 0 :: v_dual_lshlrev_b32 v1, 2, v11
	v_or_b32_e32 v3, 0xf80, v3
	v_lshl_or_b32 v5, v175, 7, v5
	v_or_b32_e32 v17, 0x880, v6
	scratch_store_b32 off, v1, off offset:24 ; 4-byte Folded Spill
	v_lshlrev_b32_e32 v1, 2, v12
	v_mul_hi_u32 v16, v4, v16
	v_or_b32_e32 v18, 0x900, v6
	v_or_b32_e32 v19, 0x980, v6
	;; [unrolled: 1-line block ×3, first 2 shown]
	scratch_store_b32 off, v1, off offset:28 ; 4-byte Folded Spill
	v_lshlrev_b32_e32 v1, 2, v13
	v_or_b32_e32 v21, 0xa80, v6
	v_or_b32_e32 v22, 0xb00, v6
	;; [unrolled: 1-line block ×4, first 2 shown]
	scratch_store_b32 off, v1, off offset:32 ; 4-byte Folded Spill
	v_dual_mov_b32 v164, 0 :: v_dual_lshlrev_b32 v1, 2, v14
	v_or_b32_e32 v25, 0xc80, v6
	v_or_b32_e32 v26, 0xd00, v6
	;; [unrolled: 1-line block ×6, first 2 shown]
	scratch_store_b32 off, v1, off offset:36 ; 4-byte Folded Spill
	v_dual_mov_b32 v166, 0 :: v_dual_lshlrev_b32 v1, 2, v15
	s_addc_u32 s16, s27, s17
	v_dual_mov_b32 v147, 0 :: v_dual_add_nc_u32 v176, v4, v16
	v_add_co_ci_u32_e32 v135, vcc_lo, s16, v2, vcc_lo
	v_dual_mov_b32 v146, 0 :: v_dual_add_nc_u32 v177, 0x220, v5
	scratch_store_b32 off, v1, off offset:40 ; 4-byte Folded Spill
	v_dual_mov_b32 v168, 0 :: v_dual_lshlrev_b32 v1, 2, v17
	v_dual_mov_b32 v170, 0 :: v_dual_lshlrev_b32 v189, 2, v18
	;; [unrolled: 1-line block ×7, first 2 shown]
	v_lshlrev_b32_e32 v175, 2, v24
	v_dual_mov_b32 v155, 0 :: v_dual_lshlrev_b32 v178, 2, v25
	v_lshlrev_b32_e32 v179, 2, v26
	v_dual_mov_b32 v157, 0 :: v_dual_lshlrev_b32 v180, 2, v27
	;; [unrolled: 2-line block ×4, first 2 shown]
	v_mov_b32_e32 v163, 0
	v_mov_b32_e32 v165, 0
	;; [unrolled: 1-line block ×6, first 2 shown]
	scratch_store_b32 off, v1, off offset:44 ; 4-byte Folded Spill
	s_branch .LBB51_38
.LBB51_36:                              ;   in Loop: Header=BB51_38 Depth=1
	s_or_b32 exec_lo, exec_lo, s0
	s_waitcnt lgkmcnt(0)
	v_mul_f32_e32 v50, v2, v50
	s_waitcnt vmcnt(8)
	v_mul_f32_e32 v102, v2, v102
	v_mul_f32_e32 v42, v2, v42
	v_mul_f32_e32 v34, v2, v34
	s_waitcnt vmcnt(1)
	v_mul_f32_e32 v130, v2, v130
	v_fmac_f32_e32 v50, v1, v49
	v_mul_f32_e32 v126, v2, v126
	v_mul_f32_e32 v122, v2, v122
	;; [unrolled: 1-line block ×6, first 2 shown]
	v_fmac_f32_e32 v102, v1, v101
	v_mul_f32_e32 v98, v2, v98
	v_mul_f32_e32 v94, v2, v94
	;; [unrolled: 1-line block ×11, first 2 shown]
	v_fmac_f32_e32 v50, v3, v51
	v_mul_f32_e32 v46, v2, v46
	v_fmac_f32_e32 v42, v1, v41
	v_mul_f32_e32 v38, v2, v38
	;; [unrolled: 2-line block ×3, first 2 shown]
	v_mul_f32_e32 v26, v2, v26
	v_mul_f32_e32 v22, v2, v22
	;; [unrolled: 1-line block ×6, first 2 shown]
	s_waitcnt vmcnt(0)
	v_mul_f32_e32 v2, v2, v90
	v_fmac_f32_e32 v102, v3, v103
	v_fmac_f32_e32 v94, v1, v93
	v_fmac_f32_e32 v82, v1, v81
	v_fmac_f32_e32 v66, v1, v65
	v_fmac_f32_e32 v50, v4, v52
	v_fmac_f32_e32 v118, v1, v117
	v_fmac_f32_e32 v42, v3, v43
	v_fmac_f32_e32 v34, v3, v35
	s_delay_alu instid0(VALU_DEP_4)
	v_dual_fmac_f32 v18, v1, v17 :: v_dual_add_f32 v163, v163, v50
	v_fmac_f32_e32 v2, v1, v89
	v_fmac_f32_e32 v102, v4, v104
	;; [unrolled: 1-line block ×5, first 2 shown]
	s_delay_alu instid0(VALU_DEP_4)
	v_dual_fmac_f32 v74, v1, v73 :: v_dual_add_f32 v151, v151, v102
	v_fmac_f32_e32 v66, v3, v67
	v_fmac_f32_e32 v42, v4, v44
	;; [unrolled: 1-line block ×5, first 2 shown]
	s_delay_alu instid0(VALU_DEP_4) | instskip(SKIP_1) | instid1(VALU_DEP_4)
	v_dual_fmac_f32 v18, v3, v19 :: v_dual_add_f32 v165, v165, v42
	v_fmac_f32_e32 v2, v3, v91
	v_dual_fmac_f32 v118, v4, v120 :: v_dual_add_f32 v167, v167, v34
	v_fmac_f32_e32 v130, v1, v129
	v_fmac_f32_e32 v106, v1, v105
	s_delay_alu instid0(VALU_DEP_3)
	v_dual_fmac_f32 v98, v1, v97 :: v_dual_add_f32 v147, v147, v118
	v_fmac_f32_e32 v94, v4, v96
	v_fmac_f32_e32 v126, v3, v127
	;; [unrolled: 1-line block ×5, first 2 shown]
	v_dual_add_f32 v153, v153, v94 :: v_dual_fmac_f32 v74, v3, v75
	v_fmac_f32_e32 v70, v1, v69
	v_fmac_f32_e32 v66, v4, v68
	;; [unrolled: 1-line block ×5, first 2 shown]
	s_delay_alu instid0(VALU_DEP_4)
	v_dual_fmac_f32 v54, v1, v53 :: v_dual_add_f32 v159, v159, v66
	v_fmac_f32_e32 v46, v1, v45
	v_fmac_f32_e32 v38, v1, v37
	;; [unrolled: 1-line block ×9, first 2 shown]
	s_delay_alu instid0(VALU_DEP_4)
	v_dual_fmac_f32 v6, v1, v5 :: v_dual_add_f32 v171, v171, v18
	v_fmac_f32_e32 v2, v4, v92
	v_fmac_f32_e32 v110, v1, v109
	v_dual_fmac_f32 v126, v4, v128 :: v_dual_add_f32 v155, v155, v82
	v_fmac_f32_e32 v130, v3, v131
	v_fmac_f32_e32 v106, v3, v107
	s_delay_alu instid0(VALU_DEP_3)
	v_dual_fmac_f32 v98, v3, v99 :: v_dual_add_f32 v145, v145, v126
	v_fmac_f32_e32 v86, v3, v87
	v_fmac_f32_e32 v78, v3, v79
	;; [unrolled: 1-line block ×6, first 2 shown]
	s_delay_alu instid0(VALU_DEP_4)
	v_dual_fmac_f32 v58, v3, v59 :: v_dual_add_f32 v157, v157, v74
	v_fmac_f32_e32 v54, v3, v55
	v_fmac_f32_e32 v46, v3, v47
	;; [unrolled: 1-line block ×8, first 2 shown]
	s_delay_alu instid0(VALU_DEP_4)
	v_dual_fmac_f32 v10, v3, v11 :: v_dual_add_f32 v169, v169, v26
	v_fmac_f32_e32 v6, v3, v7
	v_add_f32_e32 v143, v143, v2
	v_fmac_f32_e32 v110, v3, v111
	v_fmac_f32_e32 v106, v4, v108
	;; [unrolled: 1-line block ×9, first 2 shown]
	s_delay_alu instid0(VALU_DEP_4) | instskip(SKIP_2) | instid1(VALU_DEP_3)
	v_dual_fmac_f32 v58, v4, v60 :: v_dual_add_f32 v149, v149, v110
	v_fmac_f32_e32 v122, v4, v124
	v_fmac_f32_e32 v54, v4, v56
	v_dual_fmac_f32 v46, v4, v48 :: v_dual_add_f32 v161, v161, v58
	v_fmac_f32_e32 v38, v4, v40
	v_fmac_f32_e32 v30, v4, v32
	;; [unrolled: 1-line block ×7, first 2 shown]
	v_add_f32_e32 v144, v144, v130
	v_add_f32_e32 v146, v146, v122
	;; [unrolled: 1-line block ×17, first 2 shown]
.LBB51_37:                              ;   in Loop: Header=BB51_38 Depth=1
	s_or_b32 exec_lo, exec_lo, s14
	v_add_nc_u32_e32 v133, 4, v133
	v_add_co_u32 v134, s0, v134, 16
	s_delay_alu instid0(VALU_DEP_1) | instskip(NEXT) | instid1(VALU_DEP_3)
	v_add_co_ci_u32_e64 v135, s0, 0, v135, s0
	v_cmp_le_i32_e32 vcc_lo, s36, v133
	v_add_nc_u32_e32 v138, 0x80, v138
	v_add_nc_u32_e32 v177, 0x200, v177
	s_or_b32 s4, vcc_lo, s4
	s_delay_alu instid0(SALU_CYCLE_1)
	s_and_not1_b32 exec_lo, exec_lo, s4
	s_cbranch_execz .LBB51_103
.LBB51_38:                              ; =>This Inner Loop Header: Depth=1
	v_sub_nc_u32_e32 v1, 0, v138
	s_delay_alu instid0(VALU_DEP_1) | instskip(NEXT) | instid1(VALU_DEP_1)
	v_max_i32_e32 v1, v138, v1
	v_mul_hi_u32 v2, v1, s25
	s_delay_alu instid0(VALU_DEP_1) | instskip(NEXT) | instid1(VALU_DEP_1)
	v_mul_lo_u32 v3, v2, s21
	v_sub_nc_u32_e32 v1, v1, v3
	v_add_nc_u32_e32 v3, 1, v2
	s_delay_alu instid0(VALU_DEP_2) | instskip(SKIP_1) | instid1(VALU_DEP_2)
	v_subrev_nc_u32_e32 v4, s21, v1
	v_cmp_le_u32_e32 vcc_lo, s21, v1
	v_dual_cndmask_b32 v2, v2, v3 :: v_dual_cndmask_b32 v1, v1, v4
	v_ashrrev_i32_e32 v3, 31, v138
	s_delay_alu instid0(VALU_DEP_2) | instskip(NEXT) | instid1(VALU_DEP_3)
	v_add_nc_u32_e32 v4, 1, v2
	v_cmp_le_u32_e32 vcc_lo, s21, v1
	s_delay_alu instid0(VALU_DEP_3) | instskip(NEXT) | instid1(VALU_DEP_3)
	v_xor_b32_e32 v3, s11, v3
	v_cndmask_b32_e32 v1, v2, v4, vcc_lo
	s_delay_alu instid0(VALU_DEP_1) | instskip(NEXT) | instid1(VALU_DEP_1)
	v_xor_b32_e32 v1, v1, v3
	v_sub_nc_u32_e32 v1, v1, v3
	s_delay_alu instid0(VALU_DEP_1) | instskip(SKIP_1) | instid1(VALU_DEP_2)
	v_add_nc_u32_e32 v2, s33, v1
	v_cmp_lt_i32_e64 s0, s3, v1
	v_sub_nc_u32_e32 v3, 0, v2
	s_delay_alu instid0(VALU_DEP_1) | instskip(NEXT) | instid1(VALU_DEP_1)
	v_max_i32_e32 v3, v2, v3
	v_mul_hi_u32 v4, v3, v176
	s_delay_alu instid0(VALU_DEP_1) | instskip(NEXT) | instid1(VALU_DEP_1)
	v_mul_lo_u32 v4, v4, s10
	v_sub_nc_u32_e32 v3, v3, v4
	s_delay_alu instid0(VALU_DEP_1) | instskip(SKIP_1) | instid1(VALU_DEP_2)
	v_subrev_nc_u32_e32 v4, s10, v3
	v_cmp_le_u32_e32 vcc_lo, s10, v3
	v_cndmask_b32_e32 v3, v3, v4, vcc_lo
	v_ashrrev_i32_e32 v2, 31, v2
	s_delay_alu instid0(VALU_DEP_2) | instskip(SKIP_1) | instid1(VALU_DEP_2)
	v_subrev_nc_u32_e32 v4, s10, v3
	v_cmp_le_u32_e32 vcc_lo, s10, v3
	v_cndmask_b32_e32 v3, v3, v4, vcc_lo
	s_delay_alu instid0(VALU_DEP_1) | instskip(NEXT) | instid1(VALU_DEP_1)
	v_xor_b32_e32 v3, v3, v2
	v_sub_nc_u32_e32 v2, v3, v2
	s_delay_alu instid0(VALU_DEP_1) | instskip(SKIP_1) | instid1(SALU_CYCLE_1)
	v_cmp_eq_u32_e32 vcc_lo, 0, v2
	s_or_b32 s0, vcc_lo, s0
	s_and_saveexec_b32 s14, s0
	s_cbranch_execz .LBB51_37
; %bb.39:                               ;   in Loop: Header=BB51_38 Depth=1
	global_load_b32 v3, v[134:135], off
	scratch_load_b32 v9, off, off           ; 4-byte Folded Reload
	s_waitcnt vmcnt(1)
	v_mad_i64_i32 v[1:2], null, v3, s5, 0
	s_waitcnt vmcnt(0)
	v_add_nc_u32_e32 v186, v9, v138
	s_delay_alu instid0(VALU_DEP_1) | instskip(NEXT) | instid1(VALU_DEP_3)
	v_add_nc_u32_e32 v188, 1, v186
	v_lshlrev_b64 v[1:2], 2, v[1:2]
	v_add_nc_u32_e32 v187, 2, v186
	v_add_nc_u32_e32 v185, 3, v186
	s_delay_alu instid0(VALU_DEP_3) | instskip(SKIP_4) | instid1(VALU_DEP_2)
	v_add_co_u32 v89, vcc_lo, s7, v1
	scratch_load_b32 v1, off, off offset:4  ; 4-byte Folded Reload
	v_add_co_ci_u32_e32 v90, vcc_lo, s9, v2, vcc_lo
	s_waitcnt vmcnt(0)
	v_add_co_u32 v33, vcc_lo, v89, v1
	v_add_co_ci_u32_e32 v34, vcc_lo, 0, v90, vcc_lo
	ds_load_b128 v[1:4], v177
	v_cmp_eq_u32_e32 vcc_lo, s13, v133
	global_load_b128 v[5:8], v[33:34], off
	s_and_saveexec_b32 s16, vcc_lo
	s_cbranch_execnz .LBB51_96
; %bb.40:                               ;   in Loop: Header=BB51_38 Depth=1
	s_or_b32 exec_lo, exec_lo, s16
	global_load_b128 v[9:12], v[33:34], off offset:512
	s_and_saveexec_b32 s16, vcc_lo
	s_cbranch_execnz .LBB51_97
.LBB51_41:                              ;   in Loop: Header=BB51_38 Depth=1
	s_or_b32 exec_lo, exec_lo, s16
	global_load_b128 v[13:16], v[33:34], off offset:1024
	s_and_saveexec_b32 s16, vcc_lo
	s_cbranch_execnz .LBB51_98
.LBB51_42:                              ;   in Loop: Header=BB51_38 Depth=1
	s_or_b32 exec_lo, exec_lo, s16
	global_load_b128 v[17:20], v[33:34], off offset:1536
	s_and_saveexec_b32 s16, vcc_lo
	s_cbranch_execnz .LBB51_99
.LBB51_43:                              ;   in Loop: Header=BB51_38 Depth=1
	s_or_b32 exec_lo, exec_lo, s16
	global_load_b128 v[21:24], v[33:34], off offset:2048
	s_and_saveexec_b32 s16, vcc_lo
	s_cbranch_execnz .LBB51_100
.LBB51_44:                              ;   in Loop: Header=BB51_38 Depth=1
	s_or_b32 exec_lo, exec_lo, s16
	global_load_b128 v[25:28], v[33:34], off offset:2560
	s_and_saveexec_b32 s16, vcc_lo
	s_cbranch_execnz .LBB51_101
.LBB51_45:                              ;   in Loop: Header=BB51_38 Depth=1
	s_or_b32 exec_lo, exec_lo, s16
	global_load_b128 v[29:32], v[33:34], off offset:3072
	s_and_saveexec_b32 s16, vcc_lo
	s_cbranch_execnz .LBB51_102
.LBB51_46:                              ;   in Loop: Header=BB51_38 Depth=1
	s_or_b32 exec_lo, exec_lo, s16
	global_load_b128 v[33:36], v[33:34], off offset:3584
	s_and_saveexec_b32 s16, vcc_lo
	s_cbranch_execz .LBB51_48
.LBB51_47:                              ;   in Loop: Header=BB51_38 Depth=1
	v_cmp_gt_i32_e64 s0, s15, v186
	s_waitcnt vmcnt(0)
	s_delay_alu instid0(VALU_DEP_1) | instskip(SKIP_1) | instid1(VALU_DEP_1)
	v_cndmask_b32_e64 v33, 0, v33, s0
	v_cmp_gt_i32_e64 s0, s15, v188
	v_cndmask_b32_e64 v34, 0, v34, s0
	v_cmp_gt_i32_e64 s0, s15, v187
	s_delay_alu instid0(VALU_DEP_1) | instskip(SKIP_1) | instid1(VALU_DEP_1)
	v_cndmask_b32_e64 v35, 0, v35, s0
	v_cmp_gt_i32_e64 s0, s15, v185
	v_cndmask_b32_e64 v36, 0, v36, s0
.LBB51_48:                              ;   in Loop: Header=BB51_38 Depth=1
	s_or_b32 exec_lo, exec_lo, s16
	scratch_load_b32 v37, off, off offset:8 ; 4-byte Folded Reload
	s_waitcnt vmcnt(0)
	v_add_co_u32 v37, s0, v89, v37
	s_delay_alu instid0(VALU_DEP_1)
	v_add_co_ci_u32_e64 v38, s0, 0, v90, s0
	global_load_b128 v[37:40], v[37:38], off
	s_and_saveexec_b32 s16, vcc_lo
	s_cbranch_execz .LBB51_50
; %bb.49:                               ;   in Loop: Header=BB51_38 Depth=1
	v_cmp_gt_i32_e64 s0, s15, v186
	s_waitcnt vmcnt(0)
	s_delay_alu instid0(VALU_DEP_1) | instskip(SKIP_1) | instid1(VALU_DEP_1)
	v_cndmask_b32_e64 v37, 0, v37, s0
	v_cmp_gt_i32_e64 s0, s15, v188
	v_cndmask_b32_e64 v38, 0, v38, s0
	v_cmp_gt_i32_e64 s0, s15, v187
	s_delay_alu instid0(VALU_DEP_1) | instskip(SKIP_1) | instid1(VALU_DEP_1)
	v_cndmask_b32_e64 v39, 0, v39, s0
	v_cmp_gt_i32_e64 s0, s15, v185
	v_cndmask_b32_e64 v40, 0, v40, s0
.LBB51_50:                              ;   in Loop: Header=BB51_38 Depth=1
	s_or_b32 exec_lo, exec_lo, s16
	scratch_load_b32 v41, off, off offset:12 ; 4-byte Folded Reload
	s_waitcnt vmcnt(0)
	v_add_co_u32 v41, s0, v89, v41
	s_delay_alu instid0(VALU_DEP_1)
	v_add_co_ci_u32_e64 v42, s0, 0, v90, s0
	global_load_b128 v[41:44], v[41:42], off
	s_and_saveexec_b32 s16, vcc_lo
	s_cbranch_execz .LBB51_52
; %bb.51:                               ;   in Loop: Header=BB51_38 Depth=1
	v_cmp_gt_i32_e64 s0, s15, v186
	s_waitcnt vmcnt(0)
	s_delay_alu instid0(VALU_DEP_1) | instskip(SKIP_1) | instid1(VALU_DEP_1)
	v_cndmask_b32_e64 v41, 0, v41, s0
	v_cmp_gt_i32_e64 s0, s15, v188
	v_cndmask_b32_e64 v42, 0, v42, s0
	v_cmp_gt_i32_e64 s0, s15, v187
	s_delay_alu instid0(VALU_DEP_1) | instskip(SKIP_1) | instid1(VALU_DEP_1)
	v_cndmask_b32_e64 v43, 0, v43, s0
	v_cmp_gt_i32_e64 s0, s15, v185
	v_cndmask_b32_e64 v44, 0, v44, s0
.LBB51_52:                              ;   in Loop: Header=BB51_38 Depth=1
	;; [unrolled: 22-line block ×10, first 2 shown]
	s_or_b32 exec_lo, exec_lo, s16
	v_add_co_u32 v77, s0, v89, v189
	s_delay_alu instid0(VALU_DEP_1)
	v_add_co_ci_u32_e64 v78, s0, 0, v90, s0
	global_load_b128 v[77:80], v[77:78], off
	s_and_saveexec_b32 s16, vcc_lo
	s_cbranch_execz .LBB51_70
; %bb.69:                               ;   in Loop: Header=BB51_38 Depth=1
	v_cmp_gt_i32_e64 s0, s15, v186
	s_waitcnt vmcnt(0)
	s_delay_alu instid0(VALU_DEP_1) | instskip(SKIP_1) | instid1(VALU_DEP_1)
	v_cndmask_b32_e64 v77, 0, v77, s0
	v_cmp_gt_i32_e64 s0, s15, v188
	v_cndmask_b32_e64 v78, 0, v78, s0
	v_cmp_gt_i32_e64 s0, s15, v187
	s_delay_alu instid0(VALU_DEP_1) | instskip(SKIP_1) | instid1(VALU_DEP_1)
	v_cndmask_b32_e64 v79, 0, v79, s0
	v_cmp_gt_i32_e64 s0, s15, v185
	v_cndmask_b32_e64 v80, 0, v80, s0
.LBB51_70:                              ;   in Loop: Header=BB51_38 Depth=1
	s_or_b32 exec_lo, exec_lo, s16
	v_add_co_u32 v81, s0, v89, v190
	s_delay_alu instid0(VALU_DEP_1)
	v_add_co_ci_u32_e64 v82, s0, 0, v90, s0
	global_load_b128 v[81:84], v[81:82], off
	s_and_saveexec_b32 s16, vcc_lo
	s_cbranch_execz .LBB51_72
; %bb.71:                               ;   in Loop: Header=BB51_38 Depth=1
	v_cmp_gt_i32_e64 s0, s15, v186
	s_waitcnt vmcnt(0)
	s_delay_alu instid0(VALU_DEP_1) | instskip(SKIP_1) | instid1(VALU_DEP_1)
	v_cndmask_b32_e64 v81, 0, v81, s0
	v_cmp_gt_i32_e64 s0, s15, v188
	v_cndmask_b32_e64 v82, 0, v82, s0
	v_cmp_gt_i32_e64 s0, s15, v187
	s_delay_alu instid0(VALU_DEP_1) | instskip(SKIP_1) | instid1(VALU_DEP_1)
	v_cndmask_b32_e64 v83, 0, v83, s0
	v_cmp_gt_i32_e64 s0, s15, v185
	v_cndmask_b32_e64 v84, 0, v84, s0
.LBB51_72:                              ;   in Loop: Header=BB51_38 Depth=1
	;; [unrolled: 20-line block ×13, first 2 shown]
	s_or_b32 exec_lo, exec_lo, s16
	v_add_co_u32 v89, s0, v89, v184
	s_delay_alu instid0(VALU_DEP_1)
	v_add_co_ci_u32_e64 v90, s0, 0, v90, s0
	global_load_b128 v[89:92], v[89:90], off
	s_and_saveexec_b32 s0, vcc_lo
	s_cbranch_execz .LBB51_36
; %bb.95:                               ;   in Loop: Header=BB51_38 Depth=1
	v_cmp_gt_i32_e32 vcc_lo, s15, v186
	s_waitcnt vmcnt(0)
	v_cndmask_b32_e32 v89, 0, v89, vcc_lo
	v_cmp_gt_i32_e32 vcc_lo, s15, v188
	v_cndmask_b32_e32 v90, 0, v90, vcc_lo
	v_cmp_gt_i32_e32 vcc_lo, s15, v187
	;; [unrolled: 2-line block ×3, first 2 shown]
	v_cndmask_b32_e32 v92, 0, v92, vcc_lo
	s_branch .LBB51_36
.LBB51_96:                              ;   in Loop: Header=BB51_38 Depth=1
	v_cmp_gt_i32_e64 s0, s15, v186
	s_waitcnt vmcnt(0)
	s_delay_alu instid0(VALU_DEP_1) | instskip(SKIP_1) | instid1(VALU_DEP_1)
	v_cndmask_b32_e64 v5, 0, v5, s0
	v_cmp_gt_i32_e64 s0, s15, v188
	v_cndmask_b32_e64 v6, 0, v6, s0
	v_cmp_gt_i32_e64 s0, s15, v187
	s_delay_alu instid0(VALU_DEP_1) | instskip(SKIP_1) | instid1(VALU_DEP_1)
	v_cndmask_b32_e64 v7, 0, v7, s0
	v_cmp_gt_i32_e64 s0, s15, v185
	v_cndmask_b32_e64 v8, 0, v8, s0
	s_or_b32 exec_lo, exec_lo, s16
	global_load_b128 v[9:12], v[33:34], off offset:512
	s_and_saveexec_b32 s16, vcc_lo
	s_cbranch_execz .LBB51_41
.LBB51_97:                              ;   in Loop: Header=BB51_38 Depth=1
	v_cmp_gt_i32_e64 s0, s15, v186
	s_waitcnt vmcnt(0)
	s_delay_alu instid0(VALU_DEP_1) | instskip(SKIP_1) | instid1(VALU_DEP_1)
	v_cndmask_b32_e64 v9, 0, v9, s0
	v_cmp_gt_i32_e64 s0, s15, v188
	v_cndmask_b32_e64 v10, 0, v10, s0
	v_cmp_gt_i32_e64 s0, s15, v187
	s_delay_alu instid0(VALU_DEP_1) | instskip(SKIP_1) | instid1(VALU_DEP_1)
	v_cndmask_b32_e64 v11, 0, v11, s0
	v_cmp_gt_i32_e64 s0, s15, v185
	v_cndmask_b32_e64 v12, 0, v12, s0
	s_or_b32 exec_lo, exec_lo, s16
	global_load_b128 v[13:16], v[33:34], off offset:1024
	s_and_saveexec_b32 s16, vcc_lo
	s_cbranch_execz .LBB51_42
.LBB51_98:                              ;   in Loop: Header=BB51_38 Depth=1
	v_cmp_gt_i32_e64 s0, s15, v186
	s_waitcnt vmcnt(0)
	s_delay_alu instid0(VALU_DEP_1) | instskip(SKIP_1) | instid1(VALU_DEP_1)
	v_cndmask_b32_e64 v13, 0, v13, s0
	v_cmp_gt_i32_e64 s0, s15, v188
	v_cndmask_b32_e64 v14, 0, v14, s0
	v_cmp_gt_i32_e64 s0, s15, v187
	s_delay_alu instid0(VALU_DEP_1) | instskip(SKIP_1) | instid1(VALU_DEP_1)
	v_cndmask_b32_e64 v15, 0, v15, s0
	v_cmp_gt_i32_e64 s0, s15, v185
	v_cndmask_b32_e64 v16, 0, v16, s0
	s_or_b32 exec_lo, exec_lo, s16
	global_load_b128 v[17:20], v[33:34], off offset:1536
	s_and_saveexec_b32 s16, vcc_lo
	s_cbranch_execz .LBB51_43
.LBB51_99:                              ;   in Loop: Header=BB51_38 Depth=1
	v_cmp_gt_i32_e64 s0, s15, v186
	s_waitcnt vmcnt(0)
	s_delay_alu instid0(VALU_DEP_1) | instskip(SKIP_1) | instid1(VALU_DEP_1)
	v_cndmask_b32_e64 v17, 0, v17, s0
	v_cmp_gt_i32_e64 s0, s15, v188
	v_cndmask_b32_e64 v18, 0, v18, s0
	v_cmp_gt_i32_e64 s0, s15, v187
	s_delay_alu instid0(VALU_DEP_1) | instskip(SKIP_1) | instid1(VALU_DEP_1)
	v_cndmask_b32_e64 v19, 0, v19, s0
	v_cmp_gt_i32_e64 s0, s15, v185
	v_cndmask_b32_e64 v20, 0, v20, s0
	s_or_b32 exec_lo, exec_lo, s16
	global_load_b128 v[21:24], v[33:34], off offset:2048
	s_and_saveexec_b32 s16, vcc_lo
	s_cbranch_execz .LBB51_44
.LBB51_100:                             ;   in Loop: Header=BB51_38 Depth=1
	v_cmp_gt_i32_e64 s0, s15, v186
	s_waitcnt vmcnt(0)
	s_delay_alu instid0(VALU_DEP_1) | instskip(SKIP_1) | instid1(VALU_DEP_1)
	v_cndmask_b32_e64 v21, 0, v21, s0
	v_cmp_gt_i32_e64 s0, s15, v188
	v_cndmask_b32_e64 v22, 0, v22, s0
	v_cmp_gt_i32_e64 s0, s15, v187
	s_delay_alu instid0(VALU_DEP_1) | instskip(SKIP_1) | instid1(VALU_DEP_1)
	v_cndmask_b32_e64 v23, 0, v23, s0
	v_cmp_gt_i32_e64 s0, s15, v185
	v_cndmask_b32_e64 v24, 0, v24, s0
	s_or_b32 exec_lo, exec_lo, s16
	global_load_b128 v[25:28], v[33:34], off offset:2560
	s_and_saveexec_b32 s16, vcc_lo
	s_cbranch_execz .LBB51_45
.LBB51_101:                             ;   in Loop: Header=BB51_38 Depth=1
	v_cmp_gt_i32_e64 s0, s15, v186
	s_waitcnt vmcnt(0)
	s_delay_alu instid0(VALU_DEP_1) | instskip(SKIP_1) | instid1(VALU_DEP_1)
	v_cndmask_b32_e64 v25, 0, v25, s0
	v_cmp_gt_i32_e64 s0, s15, v188
	v_cndmask_b32_e64 v26, 0, v26, s0
	v_cmp_gt_i32_e64 s0, s15, v187
	s_delay_alu instid0(VALU_DEP_1) | instskip(SKIP_1) | instid1(VALU_DEP_1)
	v_cndmask_b32_e64 v27, 0, v27, s0
	v_cmp_gt_i32_e64 s0, s15, v185
	v_cndmask_b32_e64 v28, 0, v28, s0
	s_or_b32 exec_lo, exec_lo, s16
	global_load_b128 v[29:32], v[33:34], off offset:3072
	s_and_saveexec_b32 s16, vcc_lo
	s_cbranch_execz .LBB51_46
.LBB51_102:                             ;   in Loop: Header=BB51_38 Depth=1
	v_cmp_gt_i32_e64 s0, s15, v186
	s_waitcnt vmcnt(0)
	s_delay_alu instid0(VALU_DEP_1) | instskip(SKIP_1) | instid1(VALU_DEP_1)
	v_cndmask_b32_e64 v29, 0, v29, s0
	v_cmp_gt_i32_e64 s0, s15, v188
	v_cndmask_b32_e64 v30, 0, v30, s0
	v_cmp_gt_i32_e64 s0, s15, v187
	s_delay_alu instid0(VALU_DEP_1) | instskip(SKIP_1) | instid1(VALU_DEP_1)
	v_cndmask_b32_e64 v31, 0, v31, s0
	v_cmp_gt_i32_e64 s0, s15, v185
	v_cndmask_b32_e64 v32, 0, v32, s0
	s_or_b32 exec_lo, exec_lo, s16
	global_load_b128 v[33:36], v[33:34], off offset:3584
	s_and_saveexec_b32 s16, vcc_lo
	s_cbranch_execnz .LBB51_47
	s_branch .LBB51_48
.LBB51_103:
	s_or_b32 exec_lo, exec_lo, s4
	v_lshrrev_b32_e32 v175, 5, v0
	v_and_b32_e32 v176, 31, v0
	v_and_b32_e32 v55, 7, v0
.LBB51_104:
	s_or_b32 exec_lo, exec_lo, s1
	ds_bpermute_b32 v5, v141, v170
	ds_bpermute_b32 v1, v141, v173
	;; [unrolled: 1-line block ×20, first 2 shown]
	s_waitcnt lgkmcnt(19)
	v_add_f32_e32 v5, v170, v5
	s_waitcnt lgkmcnt(18)
	v_add_f32_e32 v1, v173, v1
	s_waitcnt lgkmcnt(16)
	v_dual_add_f32 v3, v172, v3 :: v_dual_add_f32 v4, v171, v4
	s_waitcnt lgkmcnt(14)
	v_dual_add_f32 v6, v169, v6 :: v_dual_add_f32 v7, v168, v7
	s_waitcnt lgkmcnt(13)
	v_add_f32_e32 v8, v167, v8
	ds_bpermute_b32 v23, v140, v5
	s_waitcnt lgkmcnt(13)
	v_add_f32_e32 v2, v174, v2
	ds_bpermute_b32 v19, v140, v1
	ds_bpermute_b32 v21, v140, v3
	;; [unrolled: 1-line block ×7, first 2 shown]
	s_waitcnt lgkmcnt(18)
	v_dual_add_f32 v9, v166, v9 :: v_dual_add_f32 v10, v165, v10
	s_waitcnt lgkmcnt(16)
	v_dual_add_f32 v11, v164, v11 :: v_dual_add_f32 v12, v163, v12
	;; [unrolled: 2-line block ×3, first 2 shown]
	ds_bpermute_b32 v27, v140, v9
	ds_bpermute_b32 v28, v140, v10
	;; [unrolled: 1-line block ×4, first 2 shown]
	s_waitcnt lgkmcnt(17)
	v_add_f32_e32 v15, v160, v15
	s_waitcnt lgkmcnt(11)
	v_add_f32_e32 v5, v5, v23
	v_dual_add_f32 v17, v158, v17 :: v_dual_add_f32 v18, v157, v18
	s_waitcnt lgkmcnt(10)
	v_add_f32_e32 v1, v1, v19
	s_waitcnt lgkmcnt(8)
	v_dual_add_f32 v3, v3, v21 :: v_dual_add_f32 v4, v4, v22
	s_waitcnt lgkmcnt(6)
	v_dual_add_f32 v6, v6, v24 :: v_dual_add_f32 v7, v7, v25
	s_waitcnt lgkmcnt(5)
	v_add_f32_e32 v8, v8, v26
	ds_bpermute_b32 v23, v139, v5
	s_waitcnt lgkmcnt(5)
	v_add_f32_e32 v2, v2, v20
	ds_bpermute_b32 v19, v139, v1
	ds_bpermute_b32 v21, v139, v3
	ds_bpermute_b32 v22, v139, v4
	ds_bpermute_b32 v24, v139, v6
	ds_bpermute_b32 v25, v139, v7
	ds_bpermute_b32 v26, v139, v8
	ds_bpermute_b32 v20, v139, v2
	s_waitcnt lgkmcnt(8)
	v_dual_add_f32 v9, v9, v27 :: v_dual_add_f32 v12, v12, v30
	v_dual_add_f32 v10, v10, v28 :: v_dual_add_f32 v11, v11, v29
	ds_bpermute_b32 v34, v141, v148
	v_add_f32_e32 v16, v159, v16
	ds_bpermute_b32 v27, v139, v9
	ds_bpermute_b32 v28, v139, v10
	;; [unrolled: 1-line block ×5, first 2 shown]
	s_waitcnt lgkmcnt(13)
	v_add_f32_e32 v5, v5, v23
	ds_bpermute_b32 v23, v141, v156
	s_waitcnt lgkmcnt(13)
	v_add_f32_e32 v1, v1, v19
	s_waitcnt lgkmcnt(12)
	v_add_f32_e32 v3, v3, v21
	ds_bpermute_b32 v19, v140, v13
	s_waitcnt lgkmcnt(11)
	v_add_f32_e32 v6, v6, v24
	ds_bpermute_b32 v21, v140, v14
	v_add_f32_e32 v4, v4, v22
	ds_bpermute_b32 v22, v140, v15
	s_waitcnt lgkmcnt(11)
	v_dual_add_f32 v7, v7, v25 :: v_dual_add_f32 v8, v8, v26
	ds_bpermute_b32 v24, v141, v155
	ds_bpermute_b32 v25, v141, v154
	;; [unrolled: 1-line block ×3, first 2 shown]
	s_waitcnt lgkmcnt(13)
	v_add_f32_e32 v2, v2, v20
	ds_bpermute_b32 v29, v139, v11
	s_waitcnt lgkmcnt(11)
	v_dual_add_f32 v9, v9, v27 :: v_dual_add_f32 v10, v10, v28
	ds_bpermute_b32 v27, v140, v17
	ds_bpermute_b32 v20, v139, v12
	;; [unrolled: 1-line block ×3, first 2 shown]
	s_waitcnt lgkmcnt(11)
	v_dual_add_f32 v37, v146, v37 :: v_dual_add_f32 v40, v144, v40
	s_mov_b32 s0, exec_lo
	s_waitcnt lgkmcnt(9)
	v_add_f32_e32 v13, v13, v19
	ds_bpermute_b32 v19, v140, v18
	s_waitcnt lgkmcnt(9)
	v_add_f32_e32 v14, v14, v21
	ds_bpermute_b32 v21, v141, v153
	s_waitcnt lgkmcnt(9)
	v_dual_add_f32 v15, v15, v22 :: v_dual_add_f32 v22, v156, v23
	ds_bpermute_b32 v46, v140, v37
	s_waitcnt lgkmcnt(8)
	v_dual_add_f32 v24, v155, v24 :: v_dual_add_f32 v25, v154, v25
	s_waitcnt lgkmcnt(7)
	v_add_f32_e32 v16, v16, v26
	ds_bpermute_b32 v26, v141, v152
	s_waitcnt lgkmcnt(7)
	v_add_f32_e32 v11, v11, v29
	ds_bpermute_b32 v29, v140, v22
	ds_bpermute_b32 v30, v140, v24
	ds_bpermute_b32 v31, v140, v25
	s_waitcnt lgkmcnt(8)
	v_dual_add_f32 v12, v12, v20 :: v_dual_add_f32 v17, v17, v27
	ds_bpermute_b32 v27, v141, v149
	ds_bpermute_b32 v23, v139, v14
	;; [unrolled: 1-line block ×4, first 2 shown]
	s_waitcnt lgkmcnt(10)
	v_add_f32_e32 v18, v18, v19
	ds_bpermute_b32 v19, v141, v147
	s_waitcnt lgkmcnt(10)
	v_add_f32_e32 v21, v153, v21
	ds_bpermute_b32 v28, v139, v15
	ds_bpermute_b32 v36, v139, v17
	s_waitcnt lgkmcnt(11)
	v_add_f32_e32 v37, v37, v46
	ds_bpermute_b32 v39, v139, v18
	s_waitcnt lgkmcnt(0)
	s_waitcnt_vscnt null, 0x0
	s_barrier
	v_add_f32_e32 v26, v152, v26
	v_add_f32_e32 v38, v145, v38
	;; [unrolled: 1-line block ×3, first 2 shown]
	ds_bpermute_b32 v29, v140, v21
	v_dual_add_f32 v25, v25, v31 :: v_dual_add_f32 v24, v24, v30
	v_dual_add_f32 v30, v151, v32 :: v_dual_add_f32 v31, v150, v33
	v_add_f32_e32 v33, v148, v34
	ds_bpermute_b32 v32, v140, v26
	v_add_f32_e32 v27, v149, v27
	v_add_f32_e32 v41, v143, v41
	;; [unrolled: 1-line block ×3, first 2 shown]
	ds_bpermute_b32 v34, v140, v30
	ds_bpermute_b32 v42, v140, v31
	;; [unrolled: 1-line block ×8, first 2 shown]
	v_dual_add_f32 v14, v14, v23 :: v_dual_add_f32 v13, v13, v20
	s_waitcnt lgkmcnt(9)
	v_dual_add_f32 v18, v18, v39 :: v_dual_add_f32 v29, v21, v29
	ds_bpermute_b32 v21, v140, v40
	v_add_f32_e32 v15, v15, v28
	s_waitcnt lgkmcnt(0)
	buffer_gl0_inv
	v_add_f32_e32 v16, v16, v35
	v_add_f32_e32 v26, v26, v32
	ds_bpermute_b32 v48, v140, v41
	ds_bpermute_b32 v32, v139, v25
	v_add_f32_e32 v30, v30, v34
	v_add_f32_e32 v31, v31, v42
	;; [unrolled: 1-line block ×3, first 2 shown]
	v_dual_add_f32 v33, v33, v44 :: v_dual_add_f32 v44, v19, v45
	v_add_f32_e32 v38, v38, v47
	ds_bpermute_b32 v51, v139, v29
	ds_bpermute_b32 v34, v139, v26
	;; [unrolled: 1-line block ×6, first 2 shown]
	v_add_f32_e32 v40, v40, v21
	ds_bpermute_b32 v45, v139, v27
	ds_bpermute_b32 v47, v139, v37
	v_add_f32_e32 v17, v17, v36
	v_add_f32_e32 v19, v22, v49
	s_waitcnt lgkmcnt(9)
	v_add_f32_e32 v41, v41, v48
	ds_bpermute_b32 v48, v139, v38
	ds_bpermute_b32 v53, v139, v40
	s_waitcnt lgkmcnt(10)
	v_dual_add_f32 v20, v24, v50 :: v_dual_add_f32 v21, v25, v32
	ds_bpermute_b32 v54, v139, v41
	s_waitcnt lgkmcnt(10)
	v_dual_add_f32 v22, v29, v51 :: v_dual_and_b32 v35, 0x3c7, v0
	s_waitcnt lgkmcnt(9)
	v_add_f32_e32 v23, v26, v34
	s_waitcnt lgkmcnt(7)
	v_dual_add_f32 v24, v30, v42 :: v_dual_add_f32 v25, v31, v43
	v_lshl_add_u32 v34, v175, 9, 0x220
	s_waitcnt lgkmcnt(5)
	v_add_f32_e32 v28, v44, v46
	s_waitcnt lgkmcnt(4)
	v_dual_add_f32 v26, v27, v45 :: v_dual_add_f32 v27, v33, v52
	s_waitcnt lgkmcnt(3)
	v_add_f32_e32 v29, v37, v47
	v_lshrrev_b32_e32 v33, 3, v176
	s_waitcnt lgkmcnt(1)
	v_dual_add_f32 v30, v38, v48 :: v_dual_add_f32 v31, v40, v53
	s_waitcnt lgkmcnt(0)
	v_add_f32_e32 v32, v41, v54
	v_cmpx_eq_u32_e32 64, v35
	s_cbranch_execz .LBB51_106
; %bb.105:
	v_lshlrev_b32_e32 v35, 2, v33
	s_delay_alu instid0(VALU_DEP_1)
	v_add3_u32 v35, v34, v35, 0xfffffc00
	ds_store_2addr_b32 v35, v1, v2 offset1:4
	ds_store_2addr_b32 v35, v3, v4 offset0:8 offset1:12
	ds_store_2addr_b32 v35, v5, v6 offset0:16 offset1:20
	;; [unrolled: 1-line block ×15, first 2 shown]
.LBB51_106:
	s_or_b32 exec_lo, exec_lo, s0
	v_cmp_eq_u32_e32 vcc_lo, 0, v55
	s_mov_b32 s1, exec_lo
	s_waitcnt lgkmcnt(0)
	s_barrier
	buffer_gl0_inv
	v_cmpx_gt_u32_e32 64, v0
	s_cbranch_execz .LBB51_141
; %bb.107:
	s_and_saveexec_b32 s0, vcc_lo
	s_cbranch_execnz .LBB51_181
; %bb.108:
	s_or_b32 exec_lo, exec_lo, s0
	s_and_saveexec_b32 s0, vcc_lo
	s_cbranch_execnz .LBB51_182
.LBB51_109:
	s_or_b32 exec_lo, exec_lo, s0
	s_and_saveexec_b32 s0, vcc_lo
	s_cbranch_execnz .LBB51_183
.LBB51_110:
	s_or_b32 exec_lo, exec_lo, s0
	s_and_saveexec_b32 s0, vcc_lo
	s_cbranch_execnz .LBB51_184
.LBB51_111:
	s_or_b32 exec_lo, exec_lo, s0
	s_and_saveexec_b32 s0, vcc_lo
	s_cbranch_execnz .LBB51_185
.LBB51_112:
	s_or_b32 exec_lo, exec_lo, s0
	s_and_saveexec_b32 s0, vcc_lo
	s_cbranch_execnz .LBB51_186
.LBB51_113:
	s_or_b32 exec_lo, exec_lo, s0
	s_and_saveexec_b32 s0, vcc_lo
	s_cbranch_execnz .LBB51_187
.LBB51_114:
	s_or_b32 exec_lo, exec_lo, s0
	s_and_saveexec_b32 s0, vcc_lo
	s_cbranch_execnz .LBB51_188
.LBB51_115:
	s_or_b32 exec_lo, exec_lo, s0
	s_and_saveexec_b32 s0, vcc_lo
	s_cbranch_execnz .LBB51_189
.LBB51_116:
	s_or_b32 exec_lo, exec_lo, s0
	s_and_saveexec_b32 s0, vcc_lo
	s_cbranch_execnz .LBB51_190
.LBB51_117:
	s_or_b32 exec_lo, exec_lo, s0
	s_and_saveexec_b32 s0, vcc_lo
	s_cbranch_execnz .LBB51_191
.LBB51_118:
	s_or_b32 exec_lo, exec_lo, s0
	s_and_saveexec_b32 s0, vcc_lo
	s_cbranch_execnz .LBB51_192
.LBB51_119:
	s_or_b32 exec_lo, exec_lo, s0
	s_and_saveexec_b32 s0, vcc_lo
	s_cbranch_execnz .LBB51_193
.LBB51_120:
	s_or_b32 exec_lo, exec_lo, s0
	s_and_saveexec_b32 s0, vcc_lo
	s_cbranch_execnz .LBB51_194
.LBB51_121:
	s_or_b32 exec_lo, exec_lo, s0
	s_and_saveexec_b32 s0, vcc_lo
	s_cbranch_execnz .LBB51_195
.LBB51_122:
	s_or_b32 exec_lo, exec_lo, s0
	s_and_saveexec_b32 s0, vcc_lo
	s_cbranch_execnz .LBB51_196
.LBB51_123:
	s_or_b32 exec_lo, exec_lo, s0
	s_and_saveexec_b32 s0, vcc_lo
	s_cbranch_execnz .LBB51_197
.LBB51_124:
	s_or_b32 exec_lo, exec_lo, s0
	s_and_saveexec_b32 s0, vcc_lo
	s_cbranch_execnz .LBB51_198
.LBB51_125:
	s_or_b32 exec_lo, exec_lo, s0
	s_and_saveexec_b32 s0, vcc_lo
	s_cbranch_execnz .LBB51_199
.LBB51_126:
	s_or_b32 exec_lo, exec_lo, s0
	s_and_saveexec_b32 s0, vcc_lo
	s_cbranch_execnz .LBB51_200
.LBB51_127:
	s_or_b32 exec_lo, exec_lo, s0
	s_and_saveexec_b32 s0, vcc_lo
	s_cbranch_execnz .LBB51_201
.LBB51_128:
	s_or_b32 exec_lo, exec_lo, s0
	s_and_saveexec_b32 s0, vcc_lo
	s_cbranch_execnz .LBB51_202
.LBB51_129:
	s_or_b32 exec_lo, exec_lo, s0
	s_and_saveexec_b32 s0, vcc_lo
	s_cbranch_execnz .LBB51_203
.LBB51_130:
	s_or_b32 exec_lo, exec_lo, s0
	s_and_saveexec_b32 s0, vcc_lo
	s_cbranch_execnz .LBB51_204
.LBB51_131:
	s_or_b32 exec_lo, exec_lo, s0
	s_and_saveexec_b32 s0, vcc_lo
	s_cbranch_execnz .LBB51_205
.LBB51_132:
	s_or_b32 exec_lo, exec_lo, s0
	s_and_saveexec_b32 s0, vcc_lo
	s_cbranch_execnz .LBB51_206
.LBB51_133:
	s_or_b32 exec_lo, exec_lo, s0
	s_and_saveexec_b32 s0, vcc_lo
	s_cbranch_execnz .LBB51_207
.LBB51_134:
	s_or_b32 exec_lo, exec_lo, s0
	s_and_saveexec_b32 s0, vcc_lo
	s_cbranch_execnz .LBB51_208
.LBB51_135:
	s_or_b32 exec_lo, exec_lo, s0
	s_and_saveexec_b32 s0, vcc_lo
	s_cbranch_execnz .LBB51_209
.LBB51_136:
	s_or_b32 exec_lo, exec_lo, s0
	s_and_saveexec_b32 s0, vcc_lo
	s_cbranch_execnz .LBB51_210
.LBB51_137:
	s_or_b32 exec_lo, exec_lo, s0
	s_and_saveexec_b32 s0, vcc_lo
	s_cbranch_execnz .LBB51_211
.LBB51_138:
	s_or_b32 exec_lo, exec_lo, s0
	s_and_saveexec_b32 s0, vcc_lo
	s_cbranch_execz .LBB51_140
.LBB51_139:
	v_lshl_add_u32 v35, v33, 2, v34
	ds_load_b32 v35, v35 offset:496
	s_waitcnt lgkmcnt(0)
	v_add_f32_e32 v32, v32, v35
.LBB51_140:
	s_or_b32 exec_lo, exec_lo, s0
.LBB51_141:
	s_delay_alu instid0(SALU_CYCLE_1)
	s_or_b32 exec_lo, exec_lo, s1
	v_and_b32_e32 v35, 0x3e7, v0
	s_mov_b32 s1, exec_lo
	s_barrier
	buffer_gl0_inv
	v_cmpx_eq_u32_e32 32, v35
	s_cbranch_execz .LBB51_143
; %bb.142:
	v_lshl_add_u32 v36, v33, 2, 0x220
	ds_store_2addr_b32 v36, v1, v2 offset1:4
	ds_store_2addr_b32 v36, v3, v4 offset0:8 offset1:12
	ds_store_2addr_b32 v36, v5, v6 offset0:16 offset1:20
	;; [unrolled: 1-line block ×15, first 2 shown]
.LBB51_143:
	s_or_b32 exec_lo, exec_lo, s1
	s_waitcnt lgkmcnt(0)
	s_barrier
	buffer_gl0_inv
	s_and_saveexec_b32 s0, s2
	s_cbranch_execz .LBB51_178
; %bb.144:
	v_lshl_add_u32 v33, v33, 2, v34
	s_and_saveexec_b32 s1, vcc_lo
	s_cbranch_execnz .LBB51_212
; %bb.145:
	s_or_b32 exec_lo, exec_lo, s1
	s_and_saveexec_b32 s1, vcc_lo
	s_cbranch_execnz .LBB51_213
.LBB51_146:
	s_or_b32 exec_lo, exec_lo, s1
	s_and_saveexec_b32 s1, vcc_lo
	s_cbranch_execnz .LBB51_214
.LBB51_147:
	s_or_b32 exec_lo, exec_lo, s1
	s_and_saveexec_b32 s1, vcc_lo
	s_cbranch_execnz .LBB51_215
.LBB51_148:
	s_or_b32 exec_lo, exec_lo, s1
	s_and_saveexec_b32 s1, vcc_lo
	s_cbranch_execnz .LBB51_216
.LBB51_149:
	s_or_b32 exec_lo, exec_lo, s1
	s_and_saveexec_b32 s1, vcc_lo
	s_cbranch_execnz .LBB51_217
.LBB51_150:
	s_or_b32 exec_lo, exec_lo, s1
	s_and_saveexec_b32 s1, vcc_lo
	s_cbranch_execnz .LBB51_218
.LBB51_151:
	s_or_b32 exec_lo, exec_lo, s1
	s_and_saveexec_b32 s1, vcc_lo
	s_cbranch_execnz .LBB51_219
.LBB51_152:
	s_or_b32 exec_lo, exec_lo, s1
	s_and_saveexec_b32 s1, vcc_lo
	s_cbranch_execnz .LBB51_220
.LBB51_153:
	s_or_b32 exec_lo, exec_lo, s1
	s_and_saveexec_b32 s1, vcc_lo
	s_cbranch_execnz .LBB51_221
.LBB51_154:
	s_or_b32 exec_lo, exec_lo, s1
	s_and_saveexec_b32 s1, vcc_lo
	s_cbranch_execnz .LBB51_222
.LBB51_155:
	s_or_b32 exec_lo, exec_lo, s1
	s_and_saveexec_b32 s1, vcc_lo
	s_cbranch_execnz .LBB51_223
.LBB51_156:
	s_or_b32 exec_lo, exec_lo, s1
	s_and_saveexec_b32 s1, vcc_lo
	s_cbranch_execnz .LBB51_224
.LBB51_157:
	s_or_b32 exec_lo, exec_lo, s1
	s_and_saveexec_b32 s1, vcc_lo
	s_cbranch_execnz .LBB51_225
.LBB51_158:
	s_or_b32 exec_lo, exec_lo, s1
	s_and_saveexec_b32 s1, vcc_lo
	s_cbranch_execnz .LBB51_226
.LBB51_159:
	s_or_b32 exec_lo, exec_lo, s1
	s_and_saveexec_b32 s1, vcc_lo
	s_cbranch_execnz .LBB51_227
.LBB51_160:
	s_or_b32 exec_lo, exec_lo, s1
	s_and_saveexec_b32 s1, vcc_lo
	s_cbranch_execnz .LBB51_228
.LBB51_161:
	s_or_b32 exec_lo, exec_lo, s1
	s_and_saveexec_b32 s1, vcc_lo
	s_cbranch_execnz .LBB51_229
.LBB51_162:
	s_or_b32 exec_lo, exec_lo, s1
	s_and_saveexec_b32 s1, vcc_lo
	s_cbranch_execnz .LBB51_230
.LBB51_163:
	s_or_b32 exec_lo, exec_lo, s1
	s_and_saveexec_b32 s1, vcc_lo
	s_cbranch_execnz .LBB51_231
.LBB51_164:
	s_or_b32 exec_lo, exec_lo, s1
	s_and_saveexec_b32 s1, vcc_lo
	s_cbranch_execnz .LBB51_232
.LBB51_165:
	s_or_b32 exec_lo, exec_lo, s1
	s_and_saveexec_b32 s1, vcc_lo
	s_cbranch_execnz .LBB51_233
.LBB51_166:
	s_or_b32 exec_lo, exec_lo, s1
	s_and_saveexec_b32 s1, vcc_lo
	s_cbranch_execnz .LBB51_234
.LBB51_167:
	s_or_b32 exec_lo, exec_lo, s1
	s_and_saveexec_b32 s1, vcc_lo
	s_cbranch_execnz .LBB51_235
.LBB51_168:
	s_or_b32 exec_lo, exec_lo, s1
	s_and_saveexec_b32 s1, vcc_lo
	s_cbranch_execnz .LBB51_236
.LBB51_169:
	s_or_b32 exec_lo, exec_lo, s1
	s_and_saveexec_b32 s1, vcc_lo
	s_cbranch_execnz .LBB51_237
.LBB51_170:
	s_or_b32 exec_lo, exec_lo, s1
	s_and_saveexec_b32 s1, vcc_lo
	s_cbranch_execnz .LBB51_238
.LBB51_171:
	s_or_b32 exec_lo, exec_lo, s1
	s_and_saveexec_b32 s1, vcc_lo
	s_cbranch_execnz .LBB51_239
.LBB51_172:
	s_or_b32 exec_lo, exec_lo, s1
	s_and_saveexec_b32 s1, vcc_lo
	s_cbranch_execnz .LBB51_240
.LBB51_173:
	s_or_b32 exec_lo, exec_lo, s1
	s_and_saveexec_b32 s1, vcc_lo
	s_cbranch_execnz .LBB51_241
.LBB51_174:
	s_or_b32 exec_lo, exec_lo, s1
	s_and_saveexec_b32 s1, vcc_lo
	s_cbranch_execnz .LBB51_242
.LBB51_175:
	s_or_b32 exec_lo, exec_lo, s1
	s_and_saveexec_b32 s1, vcc_lo
	s_cbranch_execz .LBB51_177
.LBB51_176:
	ds_load_b32 v33, v33 offset:496
	s_waitcnt lgkmcnt(0)
	v_add_f32_e32 v32, v32, v33
.LBB51_177:
	s_or_b32 exec_lo, exec_lo, s1
.LBB51_178:
	s_delay_alu instid0(SALU_CYCLE_1)
	s_or_b32 exec_lo, exec_lo, s0
	s_barrier
	buffer_gl0_inv
	s_mov_b32 s0, exec_lo
	v_cmpx_eq_u32_e32 0, v35
	s_cbranch_execz .LBB51_180
; %bb.179:
	s_lshl_b32 s0, s6, 7
	s_mul_i32 s2, s8, s20
	s_ashr_i32 s1, s0, 31
	v_lshrrev_b32_e32 v0, 1, v0
	s_lshl_b64 s[0:1], s[0:1], 2
	s_delay_alu instid0(SALU_CYCLE_1) | instskip(SKIP_2) | instid1(SALU_CYCLE_1)
	s_add_u32 s4, s22, s0
	s_addc_u32 s5, s23, s1
	s_ashr_i32 s3, s2, 31
	s_lshl_b64 s[0:1], s[2:3], 2
	s_delay_alu instid0(SALU_CYCLE_1) | instskip(SKIP_2) | instid1(SALU_CYCLE_1)
	s_add_u32 s2, s4, s0
	s_addc_u32 s3, s5, s1
	s_lshl_b32 s0, s12, 7
	s_ashr_i32 s1, s0, 31
	s_delay_alu instid0(SALU_CYCLE_1) | instskip(NEXT) | instid1(SALU_CYCLE_1)
	s_lshl_b64 s[0:1], s[0:1], 2
	s_add_u32 s0, s2, s0
	s_addc_u32 s1, s3, s1
	s_clause 0x1f
	global_store_b32 v0, v1, s[0:1]
	global_store_b32 v0, v2, s[0:1] offset:16
	global_store_b32 v0, v3, s[0:1] offset:32
	;; [unrolled: 1-line block ×31, first 2 shown]
.LBB51_180:
	s_nop 0
	s_sendmsg sendmsg(MSG_DEALLOC_VGPRS)
	s_endpgm
.LBB51_181:
	v_lshl_add_u32 v35, v33, 2, v34
	ds_load_b32 v35, v35
	s_waitcnt lgkmcnt(0)
	v_add_f32_e32 v1, v1, v35
	s_or_b32 exec_lo, exec_lo, s0
	s_and_saveexec_b32 s0, vcc_lo
	s_cbranch_execz .LBB51_109
.LBB51_182:
	v_lshl_add_u32 v35, v33, 2, v34
	ds_load_b32 v35, v35 offset:16
	s_waitcnt lgkmcnt(0)
	v_add_f32_e32 v2, v2, v35
	s_or_b32 exec_lo, exec_lo, s0
	s_and_saveexec_b32 s0, vcc_lo
	s_cbranch_execz .LBB51_110
.LBB51_183:
	v_lshl_add_u32 v35, v33, 2, v34
	ds_load_b32 v35, v35 offset:32
	s_waitcnt lgkmcnt(0)
	v_add_f32_e32 v3, v3, v35
	s_or_b32 exec_lo, exec_lo, s0
	s_and_saveexec_b32 s0, vcc_lo
	s_cbranch_execz .LBB51_111
.LBB51_184:
	v_lshl_add_u32 v35, v33, 2, v34
	ds_load_b32 v35, v35 offset:48
	s_waitcnt lgkmcnt(0)
	v_add_f32_e32 v4, v4, v35
	s_or_b32 exec_lo, exec_lo, s0
	s_and_saveexec_b32 s0, vcc_lo
	s_cbranch_execz .LBB51_112
.LBB51_185:
	v_lshl_add_u32 v35, v33, 2, v34
	ds_load_b32 v35, v35 offset:64
	s_waitcnt lgkmcnt(0)
	v_add_f32_e32 v5, v5, v35
	s_or_b32 exec_lo, exec_lo, s0
	s_and_saveexec_b32 s0, vcc_lo
	s_cbranch_execz .LBB51_113
.LBB51_186:
	v_lshl_add_u32 v35, v33, 2, v34
	ds_load_b32 v35, v35 offset:80
	s_waitcnt lgkmcnt(0)
	v_add_f32_e32 v6, v6, v35
	s_or_b32 exec_lo, exec_lo, s0
	s_and_saveexec_b32 s0, vcc_lo
	s_cbranch_execz .LBB51_114
.LBB51_187:
	v_lshl_add_u32 v35, v33, 2, v34
	ds_load_b32 v35, v35 offset:96
	s_waitcnt lgkmcnt(0)
	v_add_f32_e32 v7, v7, v35
	s_or_b32 exec_lo, exec_lo, s0
	s_and_saveexec_b32 s0, vcc_lo
	s_cbranch_execz .LBB51_115
.LBB51_188:
	v_lshl_add_u32 v35, v33, 2, v34
	ds_load_b32 v35, v35 offset:112
	s_waitcnt lgkmcnt(0)
	v_add_f32_e32 v8, v8, v35
	s_or_b32 exec_lo, exec_lo, s0
	s_and_saveexec_b32 s0, vcc_lo
	s_cbranch_execz .LBB51_116
.LBB51_189:
	v_lshl_add_u32 v35, v33, 2, v34
	ds_load_b32 v35, v35 offset:128
	s_waitcnt lgkmcnt(0)
	v_add_f32_e32 v9, v9, v35
	s_or_b32 exec_lo, exec_lo, s0
	s_and_saveexec_b32 s0, vcc_lo
	s_cbranch_execz .LBB51_117
.LBB51_190:
	v_lshl_add_u32 v35, v33, 2, v34
	ds_load_b32 v35, v35 offset:144
	s_waitcnt lgkmcnt(0)
	v_add_f32_e32 v10, v10, v35
	s_or_b32 exec_lo, exec_lo, s0
	s_and_saveexec_b32 s0, vcc_lo
	s_cbranch_execz .LBB51_118
.LBB51_191:
	v_lshl_add_u32 v35, v33, 2, v34
	ds_load_b32 v35, v35 offset:160
	s_waitcnt lgkmcnt(0)
	v_add_f32_e32 v11, v11, v35
	s_or_b32 exec_lo, exec_lo, s0
	s_and_saveexec_b32 s0, vcc_lo
	s_cbranch_execz .LBB51_119
.LBB51_192:
	v_lshl_add_u32 v35, v33, 2, v34
	ds_load_b32 v35, v35 offset:176
	s_waitcnt lgkmcnt(0)
	v_add_f32_e32 v12, v12, v35
	s_or_b32 exec_lo, exec_lo, s0
	s_and_saveexec_b32 s0, vcc_lo
	s_cbranch_execz .LBB51_120
.LBB51_193:
	v_lshl_add_u32 v35, v33, 2, v34
	ds_load_b32 v35, v35 offset:192
	s_waitcnt lgkmcnt(0)
	v_add_f32_e32 v13, v13, v35
	s_or_b32 exec_lo, exec_lo, s0
	s_and_saveexec_b32 s0, vcc_lo
	s_cbranch_execz .LBB51_121
.LBB51_194:
	v_lshl_add_u32 v35, v33, 2, v34
	ds_load_b32 v35, v35 offset:208
	s_waitcnt lgkmcnt(0)
	v_add_f32_e32 v14, v14, v35
	s_or_b32 exec_lo, exec_lo, s0
	s_and_saveexec_b32 s0, vcc_lo
	s_cbranch_execz .LBB51_122
.LBB51_195:
	v_lshl_add_u32 v35, v33, 2, v34
	ds_load_b32 v35, v35 offset:224
	s_waitcnt lgkmcnt(0)
	v_add_f32_e32 v15, v15, v35
	s_or_b32 exec_lo, exec_lo, s0
	s_and_saveexec_b32 s0, vcc_lo
	s_cbranch_execz .LBB51_123
.LBB51_196:
	v_lshl_add_u32 v35, v33, 2, v34
	ds_load_b32 v35, v35 offset:240
	s_waitcnt lgkmcnt(0)
	v_add_f32_e32 v16, v16, v35
	s_or_b32 exec_lo, exec_lo, s0
	s_and_saveexec_b32 s0, vcc_lo
	s_cbranch_execz .LBB51_124
.LBB51_197:
	v_lshl_add_u32 v35, v33, 2, v34
	ds_load_b32 v35, v35 offset:256
	s_waitcnt lgkmcnt(0)
	v_add_f32_e32 v17, v17, v35
	s_or_b32 exec_lo, exec_lo, s0
	s_and_saveexec_b32 s0, vcc_lo
	s_cbranch_execz .LBB51_125
.LBB51_198:
	v_lshl_add_u32 v35, v33, 2, v34
	ds_load_b32 v35, v35 offset:272
	s_waitcnt lgkmcnt(0)
	v_add_f32_e32 v18, v18, v35
	s_or_b32 exec_lo, exec_lo, s0
	s_and_saveexec_b32 s0, vcc_lo
	s_cbranch_execz .LBB51_126
.LBB51_199:
	v_lshl_add_u32 v35, v33, 2, v34
	ds_load_b32 v35, v35 offset:288
	s_waitcnt lgkmcnt(0)
	v_add_f32_e32 v19, v19, v35
	s_or_b32 exec_lo, exec_lo, s0
	s_and_saveexec_b32 s0, vcc_lo
	s_cbranch_execz .LBB51_127
.LBB51_200:
	v_lshl_add_u32 v35, v33, 2, v34
	ds_load_b32 v35, v35 offset:304
	s_waitcnt lgkmcnt(0)
	v_add_f32_e32 v20, v20, v35
	s_or_b32 exec_lo, exec_lo, s0
	s_and_saveexec_b32 s0, vcc_lo
	s_cbranch_execz .LBB51_128
.LBB51_201:
	v_lshl_add_u32 v35, v33, 2, v34
	ds_load_b32 v35, v35 offset:320
	s_waitcnt lgkmcnt(0)
	v_add_f32_e32 v21, v21, v35
	s_or_b32 exec_lo, exec_lo, s0
	s_and_saveexec_b32 s0, vcc_lo
	s_cbranch_execz .LBB51_129
.LBB51_202:
	v_lshl_add_u32 v35, v33, 2, v34
	ds_load_b32 v35, v35 offset:336
	s_waitcnt lgkmcnt(0)
	v_add_f32_e32 v22, v22, v35
	s_or_b32 exec_lo, exec_lo, s0
	s_and_saveexec_b32 s0, vcc_lo
	s_cbranch_execz .LBB51_130
.LBB51_203:
	v_lshl_add_u32 v35, v33, 2, v34
	ds_load_b32 v35, v35 offset:352
	s_waitcnt lgkmcnt(0)
	v_add_f32_e32 v23, v23, v35
	s_or_b32 exec_lo, exec_lo, s0
	s_and_saveexec_b32 s0, vcc_lo
	s_cbranch_execz .LBB51_131
.LBB51_204:
	v_lshl_add_u32 v35, v33, 2, v34
	ds_load_b32 v35, v35 offset:368
	s_waitcnt lgkmcnt(0)
	v_add_f32_e32 v24, v24, v35
	s_or_b32 exec_lo, exec_lo, s0
	s_and_saveexec_b32 s0, vcc_lo
	s_cbranch_execz .LBB51_132
.LBB51_205:
	v_lshl_add_u32 v35, v33, 2, v34
	ds_load_b32 v35, v35 offset:384
	s_waitcnt lgkmcnt(0)
	v_add_f32_e32 v25, v25, v35
	s_or_b32 exec_lo, exec_lo, s0
	s_and_saveexec_b32 s0, vcc_lo
	s_cbranch_execz .LBB51_133
.LBB51_206:
	v_lshl_add_u32 v35, v33, 2, v34
	ds_load_b32 v35, v35 offset:400
	s_waitcnt lgkmcnt(0)
	v_add_f32_e32 v26, v26, v35
	s_or_b32 exec_lo, exec_lo, s0
	s_and_saveexec_b32 s0, vcc_lo
	s_cbranch_execz .LBB51_134
.LBB51_207:
	v_lshl_add_u32 v35, v33, 2, v34
	ds_load_b32 v35, v35 offset:416
	s_waitcnt lgkmcnt(0)
	v_add_f32_e32 v27, v27, v35
	s_or_b32 exec_lo, exec_lo, s0
	s_and_saveexec_b32 s0, vcc_lo
	s_cbranch_execz .LBB51_135
.LBB51_208:
	v_lshl_add_u32 v35, v33, 2, v34
	ds_load_b32 v35, v35 offset:432
	s_waitcnt lgkmcnt(0)
	v_add_f32_e32 v28, v28, v35
	s_or_b32 exec_lo, exec_lo, s0
	s_and_saveexec_b32 s0, vcc_lo
	s_cbranch_execz .LBB51_136
.LBB51_209:
	v_lshl_add_u32 v35, v33, 2, v34
	ds_load_b32 v35, v35 offset:448
	s_waitcnt lgkmcnt(0)
	v_add_f32_e32 v29, v29, v35
	s_or_b32 exec_lo, exec_lo, s0
	s_and_saveexec_b32 s0, vcc_lo
	s_cbranch_execz .LBB51_137
.LBB51_210:
	v_lshl_add_u32 v35, v33, 2, v34
	ds_load_b32 v35, v35 offset:464
	s_waitcnt lgkmcnt(0)
	v_add_f32_e32 v30, v30, v35
	s_or_b32 exec_lo, exec_lo, s0
	s_and_saveexec_b32 s0, vcc_lo
	s_cbranch_execz .LBB51_138
.LBB51_211:
	v_lshl_add_u32 v35, v33, 2, v34
	ds_load_b32 v35, v35 offset:480
	s_waitcnt lgkmcnt(0)
	v_add_f32_e32 v31, v31, v35
	s_or_b32 exec_lo, exec_lo, s0
	s_and_saveexec_b32 s0, vcc_lo
	s_cbranch_execnz .LBB51_139
	s_branch .LBB51_140
.LBB51_212:
	ds_load_b32 v34, v33
	s_waitcnt lgkmcnt(0)
	v_add_f32_e32 v1, v1, v34
	s_or_b32 exec_lo, exec_lo, s1
	s_and_saveexec_b32 s1, vcc_lo
	s_cbranch_execz .LBB51_146
.LBB51_213:
	ds_load_b32 v34, v33 offset:16
	s_waitcnt lgkmcnt(0)
	v_add_f32_e32 v2, v2, v34
	s_or_b32 exec_lo, exec_lo, s1
	s_and_saveexec_b32 s1, vcc_lo
	s_cbranch_execz .LBB51_147
.LBB51_214:
	ds_load_b32 v34, v33 offset:32
	s_waitcnt lgkmcnt(0)
	v_add_f32_e32 v3, v3, v34
	s_or_b32 exec_lo, exec_lo, s1
	s_and_saveexec_b32 s1, vcc_lo
	s_cbranch_execz .LBB51_148
.LBB51_215:
	ds_load_b32 v34, v33 offset:48
	s_waitcnt lgkmcnt(0)
	v_add_f32_e32 v4, v4, v34
	s_or_b32 exec_lo, exec_lo, s1
	s_and_saveexec_b32 s1, vcc_lo
	s_cbranch_execz .LBB51_149
.LBB51_216:
	ds_load_b32 v34, v33 offset:64
	s_waitcnt lgkmcnt(0)
	v_add_f32_e32 v5, v5, v34
	s_or_b32 exec_lo, exec_lo, s1
	s_and_saveexec_b32 s1, vcc_lo
	s_cbranch_execz .LBB51_150
.LBB51_217:
	ds_load_b32 v34, v33 offset:80
	s_waitcnt lgkmcnt(0)
	v_add_f32_e32 v6, v6, v34
	s_or_b32 exec_lo, exec_lo, s1
	s_and_saveexec_b32 s1, vcc_lo
	s_cbranch_execz .LBB51_151
.LBB51_218:
	ds_load_b32 v34, v33 offset:96
	s_waitcnt lgkmcnt(0)
	v_add_f32_e32 v7, v7, v34
	s_or_b32 exec_lo, exec_lo, s1
	s_and_saveexec_b32 s1, vcc_lo
	s_cbranch_execz .LBB51_152
.LBB51_219:
	ds_load_b32 v34, v33 offset:112
	s_waitcnt lgkmcnt(0)
	v_add_f32_e32 v8, v8, v34
	s_or_b32 exec_lo, exec_lo, s1
	s_and_saveexec_b32 s1, vcc_lo
	s_cbranch_execz .LBB51_153
.LBB51_220:
	ds_load_b32 v34, v33 offset:128
	s_waitcnt lgkmcnt(0)
	v_add_f32_e32 v9, v9, v34
	s_or_b32 exec_lo, exec_lo, s1
	s_and_saveexec_b32 s1, vcc_lo
	s_cbranch_execz .LBB51_154
.LBB51_221:
	ds_load_b32 v34, v33 offset:144
	s_waitcnt lgkmcnt(0)
	v_add_f32_e32 v10, v10, v34
	s_or_b32 exec_lo, exec_lo, s1
	s_and_saveexec_b32 s1, vcc_lo
	s_cbranch_execz .LBB51_155
.LBB51_222:
	ds_load_b32 v34, v33 offset:160
	s_waitcnt lgkmcnt(0)
	v_add_f32_e32 v11, v11, v34
	s_or_b32 exec_lo, exec_lo, s1
	s_and_saveexec_b32 s1, vcc_lo
	s_cbranch_execz .LBB51_156
.LBB51_223:
	ds_load_b32 v34, v33 offset:176
	s_waitcnt lgkmcnt(0)
	v_add_f32_e32 v12, v12, v34
	s_or_b32 exec_lo, exec_lo, s1
	s_and_saveexec_b32 s1, vcc_lo
	s_cbranch_execz .LBB51_157
.LBB51_224:
	ds_load_b32 v34, v33 offset:192
	s_waitcnt lgkmcnt(0)
	v_add_f32_e32 v13, v13, v34
	s_or_b32 exec_lo, exec_lo, s1
	s_and_saveexec_b32 s1, vcc_lo
	s_cbranch_execz .LBB51_158
.LBB51_225:
	ds_load_b32 v34, v33 offset:208
	s_waitcnt lgkmcnt(0)
	v_add_f32_e32 v14, v14, v34
	s_or_b32 exec_lo, exec_lo, s1
	s_and_saveexec_b32 s1, vcc_lo
	s_cbranch_execz .LBB51_159
.LBB51_226:
	ds_load_b32 v34, v33 offset:224
	s_waitcnt lgkmcnt(0)
	v_add_f32_e32 v15, v15, v34
	s_or_b32 exec_lo, exec_lo, s1
	s_and_saveexec_b32 s1, vcc_lo
	s_cbranch_execz .LBB51_160
.LBB51_227:
	ds_load_b32 v34, v33 offset:240
	s_waitcnt lgkmcnt(0)
	v_add_f32_e32 v16, v16, v34
	s_or_b32 exec_lo, exec_lo, s1
	s_and_saveexec_b32 s1, vcc_lo
	s_cbranch_execz .LBB51_161
.LBB51_228:
	ds_load_b32 v34, v33 offset:256
	s_waitcnt lgkmcnt(0)
	v_add_f32_e32 v17, v17, v34
	s_or_b32 exec_lo, exec_lo, s1
	s_and_saveexec_b32 s1, vcc_lo
	s_cbranch_execz .LBB51_162
.LBB51_229:
	ds_load_b32 v34, v33 offset:272
	s_waitcnt lgkmcnt(0)
	v_add_f32_e32 v18, v18, v34
	s_or_b32 exec_lo, exec_lo, s1
	s_and_saveexec_b32 s1, vcc_lo
	s_cbranch_execz .LBB51_163
.LBB51_230:
	ds_load_b32 v34, v33 offset:288
	s_waitcnt lgkmcnt(0)
	v_add_f32_e32 v19, v19, v34
	s_or_b32 exec_lo, exec_lo, s1
	s_and_saveexec_b32 s1, vcc_lo
	s_cbranch_execz .LBB51_164
.LBB51_231:
	ds_load_b32 v34, v33 offset:304
	s_waitcnt lgkmcnt(0)
	v_add_f32_e32 v20, v20, v34
	s_or_b32 exec_lo, exec_lo, s1
	s_and_saveexec_b32 s1, vcc_lo
	s_cbranch_execz .LBB51_165
.LBB51_232:
	ds_load_b32 v34, v33 offset:320
	s_waitcnt lgkmcnt(0)
	v_add_f32_e32 v21, v21, v34
	s_or_b32 exec_lo, exec_lo, s1
	s_and_saveexec_b32 s1, vcc_lo
	s_cbranch_execz .LBB51_166
.LBB51_233:
	ds_load_b32 v34, v33 offset:336
	s_waitcnt lgkmcnt(0)
	v_add_f32_e32 v22, v22, v34
	s_or_b32 exec_lo, exec_lo, s1
	s_and_saveexec_b32 s1, vcc_lo
	s_cbranch_execz .LBB51_167
.LBB51_234:
	ds_load_b32 v34, v33 offset:352
	s_waitcnt lgkmcnt(0)
	v_add_f32_e32 v23, v23, v34
	s_or_b32 exec_lo, exec_lo, s1
	s_and_saveexec_b32 s1, vcc_lo
	s_cbranch_execz .LBB51_168
.LBB51_235:
	ds_load_b32 v34, v33 offset:368
	s_waitcnt lgkmcnt(0)
	v_add_f32_e32 v24, v24, v34
	s_or_b32 exec_lo, exec_lo, s1
	s_and_saveexec_b32 s1, vcc_lo
	s_cbranch_execz .LBB51_169
.LBB51_236:
	ds_load_b32 v34, v33 offset:384
	s_waitcnt lgkmcnt(0)
	v_add_f32_e32 v25, v25, v34
	s_or_b32 exec_lo, exec_lo, s1
	s_and_saveexec_b32 s1, vcc_lo
	s_cbranch_execz .LBB51_170
.LBB51_237:
	ds_load_b32 v34, v33 offset:400
	s_waitcnt lgkmcnt(0)
	v_add_f32_e32 v26, v26, v34
	s_or_b32 exec_lo, exec_lo, s1
	s_and_saveexec_b32 s1, vcc_lo
	s_cbranch_execz .LBB51_171
.LBB51_238:
	ds_load_b32 v34, v33 offset:416
	s_waitcnt lgkmcnt(0)
	v_add_f32_e32 v27, v27, v34
	s_or_b32 exec_lo, exec_lo, s1
	s_and_saveexec_b32 s1, vcc_lo
	s_cbranch_execz .LBB51_172
.LBB51_239:
	ds_load_b32 v34, v33 offset:432
	s_waitcnt lgkmcnt(0)
	v_add_f32_e32 v28, v28, v34
	s_or_b32 exec_lo, exec_lo, s1
	s_and_saveexec_b32 s1, vcc_lo
	s_cbranch_execz .LBB51_173
.LBB51_240:
	ds_load_b32 v34, v33 offset:448
	s_waitcnt lgkmcnt(0)
	v_add_f32_e32 v29, v29, v34
	s_or_b32 exec_lo, exec_lo, s1
	s_and_saveexec_b32 s1, vcc_lo
	s_cbranch_execz .LBB51_174
.LBB51_241:
	ds_load_b32 v34, v33 offset:464
	s_waitcnt lgkmcnt(0)
	v_add_f32_e32 v30, v30, v34
	s_or_b32 exec_lo, exec_lo, s1
	s_and_saveexec_b32 s1, vcc_lo
	s_cbranch_execz .LBB51_175
.LBB51_242:
	ds_load_b32 v34, v33 offset:480
	s_waitcnt lgkmcnt(0)
	v_add_f32_e32 v31, v31, v34
	s_or_b32 exec_lo, exec_lo, s1
	s_and_saveexec_b32 s1, vcc_lo
	s_cbranch_execnz .LBB51_176
	s_branch .LBB51_177
	.section	.rodata,"a",@progbits
	.p2align	6, 0x0
	.amdhsa_kernel _ZN4vllm25paged_attention_v2_kernelIffLi128ELi32ELi128ELNS_18Fp8KVCacheDataTypeE0ELb1ELi512EEEvPfS2_PT_PKS3_PKT0_S9_ifPKiSB_iPKfiiiSD_SD_iiiii
		.amdhsa_group_segment_fixed_size 544
		.amdhsa_private_segment_fixed_size 52
		.amdhsa_kernarg_size 400
		.amdhsa_user_sgpr_count 13
		.amdhsa_user_sgpr_dispatch_ptr 0
		.amdhsa_user_sgpr_queue_ptr 0
		.amdhsa_user_sgpr_kernarg_segment_ptr 1
		.amdhsa_user_sgpr_dispatch_id 0
		.amdhsa_user_sgpr_private_segment_size 0
		.amdhsa_wavefront_size32 1
		.amdhsa_uses_dynamic_stack 0
		.amdhsa_enable_private_segment 1
		.amdhsa_system_sgpr_workgroup_id_x 1
		.amdhsa_system_sgpr_workgroup_id_y 1
		.amdhsa_system_sgpr_workgroup_id_z 1
		.amdhsa_system_sgpr_workgroup_info 0
		.amdhsa_system_vgpr_workitem_id 0
		.amdhsa_next_free_vgpr 192
		.amdhsa_next_free_sgpr 48
		.amdhsa_reserve_vcc 1
		.amdhsa_float_round_mode_32 0
		.amdhsa_float_round_mode_16_64 0
		.amdhsa_float_denorm_mode_32 3
		.amdhsa_float_denorm_mode_16_64 3
		.amdhsa_dx10_clamp 1
		.amdhsa_ieee_mode 1
		.amdhsa_fp16_overflow 0
		.amdhsa_workgroup_processor_mode 1
		.amdhsa_memory_ordered 1
		.amdhsa_forward_progress 0
		.amdhsa_shared_vgpr_count 0
		.amdhsa_exception_fp_ieee_invalid_op 0
		.amdhsa_exception_fp_denorm_src 0
		.amdhsa_exception_fp_ieee_div_zero 0
		.amdhsa_exception_fp_ieee_overflow 0
		.amdhsa_exception_fp_ieee_underflow 0
		.amdhsa_exception_fp_ieee_inexact 0
		.amdhsa_exception_int_div_zero 0
	.end_amdhsa_kernel
	.section	.text._ZN4vllm25paged_attention_v2_kernelIffLi128ELi32ELi128ELNS_18Fp8KVCacheDataTypeE0ELb1ELi512EEEvPfS2_PT_PKS3_PKT0_S9_ifPKiSB_iPKfiiiSD_SD_iiiii,"axG",@progbits,_ZN4vllm25paged_attention_v2_kernelIffLi128ELi32ELi128ELNS_18Fp8KVCacheDataTypeE0ELb1ELi512EEEvPfS2_PT_PKS3_PKT0_S9_ifPKiSB_iPKfiiiSD_SD_iiiii,comdat
.Lfunc_end51:
	.size	_ZN4vllm25paged_attention_v2_kernelIffLi128ELi32ELi128ELNS_18Fp8KVCacheDataTypeE0ELb1ELi512EEEvPfS2_PT_PKS3_PKT0_S9_ifPKiSB_iPKfiiiSD_SD_iiiii, .Lfunc_end51-_ZN4vllm25paged_attention_v2_kernelIffLi128ELi32ELi128ELNS_18Fp8KVCacheDataTypeE0ELb1ELi512EEEvPfS2_PT_PKS3_PKT0_S9_ifPKiSB_iPKfiiiSD_SD_iiiii
                                        ; -- End function
	.section	.AMDGPU.csdata,"",@progbits
; Kernel info:
; codeLenInByte = 14680
; NumSgprs: 50
; NumVgprs: 192
; ScratchSize: 52
; MemoryBound: 0
; FloatMode: 240
; IeeeMode: 1
; LDSByteSize: 544 bytes/workgroup (compile time only)
; SGPRBlocks: 6
; VGPRBlocks: 23
; NumSGPRsForWavesPerEU: 50
; NumVGPRsForWavesPerEU: 192
; Occupancy: 8
; WaveLimiterHint : 1
; COMPUTE_PGM_RSRC2:SCRATCH_EN: 1
; COMPUTE_PGM_RSRC2:USER_SGPR: 13
; COMPUTE_PGM_RSRC2:TRAP_HANDLER: 0
; COMPUTE_PGM_RSRC2:TGID_X_EN: 1
; COMPUTE_PGM_RSRC2:TGID_Y_EN: 1
; COMPUTE_PGM_RSRC2:TGID_Z_EN: 1
; COMPUTE_PGM_RSRC2:TIDIG_COMP_CNT: 0
	.section	.text._ZN4vllm25paged_attention_v2_kernelIffLi192ELi32ELi128ELNS_18Fp8KVCacheDataTypeE0ELb1ELi512EEEvPfS2_PT_PKS3_PKT0_S9_ifPKiSB_iPKfiiiSD_SD_iiiii,"axG",@progbits,_ZN4vllm25paged_attention_v2_kernelIffLi192ELi32ELi128ELNS_18Fp8KVCacheDataTypeE0ELb1ELi512EEEvPfS2_PT_PKS3_PKT0_S9_ifPKiSB_iPKfiiiSD_SD_iiiii,comdat
	.protected	_ZN4vllm25paged_attention_v2_kernelIffLi192ELi32ELi128ELNS_18Fp8KVCacheDataTypeE0ELb1ELi512EEEvPfS2_PT_PKS3_PKT0_S9_ifPKiSB_iPKfiiiSD_SD_iiiii ; -- Begin function _ZN4vllm25paged_attention_v2_kernelIffLi192ELi32ELi128ELNS_18Fp8KVCacheDataTypeE0ELb1ELi512EEEvPfS2_PT_PKS3_PKT0_S9_ifPKiSB_iPKfiiiSD_SD_iiiii
	.globl	_ZN4vllm25paged_attention_v2_kernelIffLi192ELi32ELi128ELNS_18Fp8KVCacheDataTypeE0ELb1ELi512EEEvPfS2_PT_PKS3_PKT0_S9_ifPKiSB_iPKfiiiSD_SD_iiiii
	.p2align	8
	.type	_ZN4vllm25paged_attention_v2_kernelIffLi192ELi32ELi128ELNS_18Fp8KVCacheDataTypeE0ELb1ELi512EEEvPfS2_PT_PKS3_PKT0_S9_ifPKiSB_iPKfiiiSD_SD_iiiii,@function
_ZN4vllm25paged_attention_v2_kernelIffLi192ELi32ELi128ELNS_18Fp8KVCacheDataTypeE0ELb1ELi512EEEvPfS2_PT_PKS3_PKT0_S9_ifPKiSB_iPKfiiiSD_SD_iiiii: ; @_ZN4vllm25paged_attention_v2_kernelIffLi192ELi32ELi128ELNS_18Fp8KVCacheDataTypeE0ELb1ELi512EEEvPfS2_PT_PKS3_PKT0_S9_ifPKiSB_iPKfiiiSD_SD_iiiii
; %bb.0:
	s_load_b64 s[2:3], s[0:1], 0x40
	s_mov_b32 s12, s15
	s_ashr_i32 s15, s14, 31
	s_mov_b32 s26, s13
	s_lshl_b64 s[4:5], s[14:15], 2
	s_waitcnt lgkmcnt(0)
	s_add_u32 s2, s2, s4
	s_addc_u32 s3, s3, s5
	s_lshl_b32 s13, s12, 9
	s_load_b32 s33, s[2:3], 0x0
	s_waitcnt lgkmcnt(0)
	s_cmp_ge_i32 s13, s33
	s_cbranch_scc1 .LBB52_247
; %bb.1:
	s_clause 0x1
	s_load_b32 s15, s[0:1], 0x90
	s_load_b64 s[2:3], s[0:1], 0x30
	v_mov_b32_e32 v68, v0
	s_mov_b32 s37, 0
	s_waitcnt lgkmcnt(0)
	s_abs_i32 s7, s15
	s_abs_i32 s4, s2
	s_delay_alu instid0(SALU_CYCLE_1) | instskip(SKIP_1) | instid1(VALU_DEP_1)
	v_cvt_f32_u32_e32 v0, s4
	s_sub_i32 s6, 0, s4
	v_rcp_iflag_f32_e32 v0, v0
	s_waitcnt_depctr 0xfff
	v_mul_f32_e32 v0, 0x4f7ffffe, v0
	s_delay_alu instid0(VALU_DEP_1) | instskip(NEXT) | instid1(VALU_DEP_1)
	v_cvt_u32_f32_e32 v0, v0
	v_readfirstlane_b32 s5, v0
	s_delay_alu instid0(VALU_DEP_1) | instskip(NEXT) | instid1(SALU_CYCLE_1)
	s_mul_i32 s6, s6, s5
	s_mul_hi_u32 s6, s5, s6
	s_delay_alu instid0(SALU_CYCLE_1) | instskip(SKIP_4) | instid1(SALU_CYCLE_1)
	s_add_i32 s5, s5, s6
	s_xor_b32 s6, s15, s2
	s_mul_hi_u32 s5, s7, s5
	s_ashr_i32 s6, s6, 31
	s_mul_i32 s8, s5, s4
	s_sub_i32 s7, s7, s8
	s_add_i32 s8, s5, 1
	s_sub_i32 s9, s7, s4
	s_cmp_ge_u32 s7, s4
	s_cselect_b32 s5, s8, s5
	s_cselect_b32 s7, s9, s7
	s_add_i32 s8, s5, 1
	s_cmp_ge_u32 s7, s4
	s_cselect_b32 s4, s8, s5
	s_abs_i32 s17, s26
	s_xor_b32 s4, s4, s6
	s_delay_alu instid0(SALU_CYCLE_1) | instskip(SKIP_2) | instid1(SALU_CYCLE_1)
	s_sub_i32 s8, s4, s6
	s_load_b64 s[4:5], s[0:1], 0x50
	s_abs_i32 s16, s8
	v_cvt_f32_u32_e32 v0, s16
	s_sub_i32 s7, 0, s16
	s_delay_alu instid0(VALU_DEP_1) | instskip(SKIP_2) | instid1(VALU_DEP_1)
	v_rcp_iflag_f32_e32 v0, v0
	s_waitcnt_depctr 0xfff
	v_mul_f32_e32 v0, 0x4f7ffffe, v0
	v_cvt_u32_f32_e32 v0, v0
	s_delay_alu instid0(VALU_DEP_1) | instskip(NEXT) | instid1(VALU_DEP_1)
	v_readfirstlane_b32 s6, v0
	s_mul_i32 s7, s7, s6
	s_delay_alu instid0(SALU_CYCLE_1) | instskip(NEXT) | instid1(SALU_CYCLE_1)
	s_mul_hi_u32 s7, s6, s7
	s_add_i32 s6, s6, s7
	s_waitcnt lgkmcnt(0)
	s_cmp_eq_u64 s[4:5], 0
	s_mul_hi_u32 s18, s17, s6
	s_cbranch_scc1 .LBB52_3
; %bb.2:
	s_ashr_i32 s27, s26, 31
	s_delay_alu instid0(SALU_CYCLE_1) | instskip(NEXT) | instid1(SALU_CYCLE_1)
	s_lshl_b64 s[6:7], s[26:27], 2
	s_add_u32 s4, s4, s6
	s_addc_u32 s5, s5, s7
	s_load_b32 s37, s[4:5], 0x0
.LBB52_3:
	s_load_b128 s[4:7], s[0:1], 0x58
	s_waitcnt lgkmcnt(0)
	s_ashr_i32 s7, s26, 31
	s_ashr_i32 s19, s8, 31
	s_mul_i32 s20, s26, 0xc0
	s_mov_b32 s8, exec_lo
	v_cmpx_gt_u32_e32 48, v68
	s_cbranch_execz .LBB52_5
; %bb.4:
	s_load_b64 s[10:11], s[0:1], 0x18
	s_mul_i32 s22, s14, s4
	v_lshlrev_b32_e32 v4, 4, v68
	s_ashr_i32 s23, s22, 31
	s_delay_alu instid0(SALU_CYCLE_1) | instskip(SKIP_4) | instid1(SALU_CYCLE_1)
	s_lshl_b64 s[22:23], s[22:23], 2
	s_waitcnt lgkmcnt(0)
	s_add_u32 s4, s10, s22
	s_addc_u32 s9, s11, s23
	s_ashr_i32 s21, s20, 31
	s_lshl_b64 s[10:11], s[20:21], 2
	s_delay_alu instid0(SALU_CYCLE_1)
	s_add_u32 s10, s4, s10
	s_addc_u32 s11, s9, s11
	global_load_b128 v[0:3], v4, s[10:11]
	s_waitcnt vmcnt(0)
	ds_store_b128 v4, v[0:3]
.LBB52_5:
	s_or_b32 exec_lo, exec_lo, s8
	s_load_b128 s[8:11], s[0:1], 0x78
	s_mul_i32 s4, s18, s16
	s_xor_b32 s7, s7, s19
	s_sub_i32 s4, s17, s4
	s_add_i32 s17, s18, 1
	s_sub_i32 s19, s4, s16
	s_cmp_ge_u32 s4, s16
	s_waitcnt lgkmcnt(0)
	s_cselect_b32 s17, s17, s18
	s_cselect_b32 s4, s19, s4
	s_add_i32 s18, s17, 1
	s_cmp_ge_u32 s4, s16
	s_load_b32 s4, s[0:1], 0x88
	s_cselect_b32 s16, s18, s17
	s_mov_b32 s17, -1
	s_xor_b32 s16, s16, s7
	s_waitcnt lgkmcnt(0)
	s_barrier
	s_sub_i32 s7, s16, s7
	buffer_gl0_inv
                                        ; implicit-def: $sgpr34
	s_abs_i32 s21, s11
	s_delay_alu instid0(SALU_CYCLE_1) | instskip(SKIP_1) | instid1(VALU_DEP_1)
	v_cvt_f32_u32_e32 v0, s21
	s_sub_i32 s16, 0, s21
	v_rcp_iflag_f32_e32 v0, v0
	s_waitcnt_depctr 0xfff
	v_mul_f32_e32 v0, 0x4f7ffffe, v0
	s_delay_alu instid0(VALU_DEP_1) | instskip(NEXT) | instid1(VALU_DEP_1)
	v_cvt_u32_f32_e32 v0, v0
	v_readfirstlane_b32 s27, v0
	s_delay_alu instid0(VALU_DEP_1)
	s_mul_i32 s18, s16, s27
	s_add_i32 s16, s33, -1
	s_mul_hi_u32 s18, s27, s18
	s_abs_i32 s28, s16
	s_add_i32 s27, s27, s18
	s_cmp_lt_i32 s4, 0
	s_mul_hi_u32 s35, s28, s27
	s_cbranch_scc0 .LBB52_7
; %bb.6:
	s_mul_i32 s2, s8, s2
	s_mov_b32 s17, 0
	s_add_i32 s2, s7, s2
	s_delay_alu instid0(SALU_CYCLE_1) | instskip(NEXT) | instid1(SALU_CYCLE_1)
	s_mul_i32 s2, s2, s4
	s_sub_i32 s34, 1, s2
.LBB52_7:
	s_load_b64 s[24:25], s[0:1], 0x38
	s_ashr_i32 s2, s16, 31
	s_and_not1_b32 vcc_lo, exec_lo, s17
	s_ashr_i32 s11, s11, 31
	s_cbranch_vccnz .LBB52_9
; %bb.8:
	s_mul_i32 s8, s15, s8
	s_delay_alu instid0(SALU_CYCLE_1) | instskip(NEXT) | instid1(SALU_CYCLE_1)
	s_add_i32 s8, s8, s26
	s_mul_i32 s4, s8, s4
	s_delay_alu instid0(SALU_CYCLE_1)
	s_add_i32 s34, s4, 1
.LBB52_9:
	s_clause 0x4
	s_load_b32 s8, s[0:1], 0x48
	s_load_b64 s[30:31], s[0:1], 0x28
	s_load_b32 s4, s[0:1], 0x98
	s_load_b128 s[16:19], s[0:1], 0x0
	s_load_b64 s[22:23], s[0:1], 0x10
	s_xor_b32 s36, s2, s11
	s_mul_i32 s2, s35, s21
	s_add_i32 s38, s35, 1
	s_sub_i32 s2, s28, s2
	v_lshrrev_b32_e32 v191, 5, v68
	v_and_b32_e32 v24, 31, v68
	v_mov_b32_e32 v190, 0xff7fffff
	s_mul_i32 s6, s7, s6
	s_delay_alu instid0(VALU_DEP_3) | instskip(NEXT) | instid1(VALU_DEP_3)
	v_lshl_add_u32 v189, v191, 5, s13
	v_lshlrev_b32_e32 v10, 2, v24
	s_waitcnt lgkmcnt(0)
	s_mul_i32 s28, s14, s8
	s_sub_i32 s8, s2, s21
	s_ashr_i32 s29, s28, 31
	s_cmp_ge_u32 s2, s21
	s_cselect_b32 s35, s38, s35
	s_cselect_b32 s2, s8, s2
	s_add_i32 s8, s35, 1
	s_cmp_ge_u32 s2, s21
	s_cselect_b32 s2, s8, s35
	s_add_i32 s8, s33, 31
	s_lshl_b32 s38, s12, 4
	s_ashr_i32 s35, s8, 31
	v_add_nc_u32_e32 v0, s38, v191
	s_lshr_b32 s35, s35, 27
	s_add_i32 s39, s38, 16
	s_add_i32 s8, s8, s35
	s_xor_b32 s40, s2, s36
	s_ashr_i32 s35, s8, 5
	v_ashrrev_i32_e32 v1, 31, v0
	s_min_i32 s8, s39, s35
	s_sub_i32 s36, s40, s36
	v_cmp_gt_i32_e64 s2, s8, v0
	scratch_store_b64 off, v[0:1], off      ; 8-byte Folded Spill
	s_mov_b32 s39, exec_lo
	s_delay_alu instid0(SALU_CYCLE_1)
	s_and_b32 s7, s39, s2
	scratch_store_b32 off, v191, off offset:480 ; 4-byte Folded Spill
	s_mov_b32 exec_lo, s7
	s_cbranch_execz .LBB52_17
; %bb.10:
	s_load_b64 s[0:1], s[0:1], 0x20
	s_ashr_i32 s7, s6, 31
	v_lshlrev_b32_e32 v0, 4, v24
	s_lshl_b64 s[42:43], s[6:7], 2
	s_sub_i32 s40, s36, s9
	v_dual_mov_b32 v22, v68 :: v_dual_mov_b32 v7, v191
	v_cmp_neq_f32_e64 vcc_lo, s37, 0
	s_mov_b32 s41, s5
	s_mov_b32 s7, 0
	v_mov_b32_e32 v190, 0xff7fffff
	v_lshl_add_u32 v191, v7, 5, s13
	s_waitcnt lgkmcnt(0)
	s_add_u32 s0, s0, s42
	s_addc_u32 s1, s1, s43
	v_add_co_u32 v0, s0, s0, v0
	s_abs_i32 s42, s10
	scratch_store_b32 off, v0, off offset:8 ; 4-byte Folded Spill
	v_add_co_ci_u32_e64 v0, null, s1, 0, s0
	s_sub_i32 s0, 0, s42
	scratch_store_b32 off, v0, off offset:24 ; 4-byte Folded Spill
	v_mov_b32_e32 v0, 0
	ds_load_b128 v[1:4], v0
	s_waitcnt lgkmcnt(0)
	scratch_store_b128 off, v[1:4], off offset:40 ; 16-byte Folded Spill
	ds_load_b128 v[1:4], v0 offset:16
	s_waitcnt lgkmcnt(0)
	scratch_store_b128 off, v[1:4], off offset:56 ; 16-byte Folded Spill
	ds_load_b128 v[1:4], v0 offset:32
	s_waitcnt lgkmcnt(0)
	scratch_store_b128 off, v[1:4], off offset:72 ; 16-byte Folded Spill
	ds_load_b128 v[1:4], v0 offset:48
	s_waitcnt lgkmcnt(0)
	scratch_store_b128 off, v[1:4], off offset:88 ; 16-byte Folded Spill
	ds_load_b128 v[1:4], v0 offset:64
	s_waitcnt lgkmcnt(0)
	scratch_store_b128 off, v[1:4], off offset:104 ; 16-byte Folded Spill
	ds_load_b128 v[1:4], v0 offset:80
	s_waitcnt lgkmcnt(0)
	scratch_store_b128 off, v[1:4], off offset:120 ; 16-byte Folded Spill
	ds_load_b128 v[25:28], v0 offset:96
	ds_load_b128 v[29:32], v0 offset:112
	ds_load_b128 v[33:36], v0 offset:128
	;; [unrolled: 1-line block ×41, first 2 shown]
	scratch_load_b64 v[8:9], off, off       ; 8-byte Folded Reload
	v_cvt_f32_u32_e32 v0, s42
	s_delay_alu instid0(VALU_DEP_1) | instskip(SKIP_2) | instid1(VALU_DEP_1)
	v_rcp_iflag_f32_e32 v0, v0
	s_waitcnt_depctr 0xfff
	v_mul_f32_e32 v0, 0x4f7ffffe, v0
	v_cvt_u32_f32_e32 v0, v0
	s_delay_alu instid0(VALU_DEP_1) | instskip(SKIP_1) | instid1(SALU_CYCLE_1)
	v_mul_lo_u32 v5, s0, v0
	s_lshl_b64 s[0:1], s[28:29], 2
	s_add_u32 s0, s24, s0
	s_addc_u32 s1, s25, s1
	s_delay_alu instid0(VALU_DEP_1) | instskip(NEXT) | instid1(VALU_DEP_1)
	v_mul_hi_u32 v5, v0, v5
	v_add_nc_u32_e32 v23, v0, v5
	v_subrev_nc_u32_e32 v0, s33, v24
	s_delay_alu instid0(VALU_DEP_1) | instskip(SKIP_2) | instid1(VALU_DEP_1)
	v_add_nc_u32_e32 v0, 1, v0
	scratch_store_b32 off, v0, off offset:136 ; 4-byte Folded Spill
	v_lshl_or_b32 v0, v7, 7, v10
	v_add_nc_u32_e32 v0, 0x320, v0
	s_waitcnt vmcnt(0)
	v_lshlrev_b64 v[5:6], 2, v[8:9]
	v_mov_b32_e32 v9, v8
	s_delay_alu instid0(VALU_DEP_2) | instskip(NEXT) | instid1(VALU_DEP_1)
	v_add_co_u32 v5, s0, s0, v5
	v_add_co_ci_u32_e64 v6, s0, s1, v6, s0
	s_branch .LBB52_12
.LBB52_11:                              ;   in Loop: Header=BB52_12 Depth=1
	s_or_b32 exec_lo, exec_lo, s1
	v_add_nc_u32_e32 v9, 4, v9
	v_add_co_u32 v5, s0, v5, 16
	s_delay_alu instid0(VALU_DEP_1) | instskip(NEXT) | instid1(VALU_DEP_3)
	v_add_co_ci_u32_e64 v6, s0, 0, v6, s0
	v_cmp_le_i32_e64 s0, s8, v9
	v_add_nc_u32_e32 v191, 0x80, v191
	v_add_nc_u32_e32 v0, 0x200, v0
	s_delay_alu instid0(VALU_DEP_3) | instskip(NEXT) | instid1(SALU_CYCLE_1)
	s_or_b32 s7, s0, s7
	s_and_not1_b32 exec_lo, exec_lo, s7
	s_cbranch_execz .LBB52_16
.LBB52_12:                              ; =>This Inner Loop Header: Depth=1
	v_sub_nc_u32_e32 v7, 0, v191
	s_delay_alu instid0(VALU_DEP_1) | instskip(NEXT) | instid1(VALU_DEP_1)
	v_max_i32_e32 v7, v191, v7
	v_mul_hi_u32 v8, v7, s27
	s_delay_alu instid0(VALU_DEP_1) | instskip(NEXT) | instid1(VALU_DEP_1)
	v_mul_lo_u32 v10, v8, s21
	v_sub_nc_u32_e32 v7, v7, v10
	v_add_nc_u32_e32 v10, 1, v8
	s_delay_alu instid0(VALU_DEP_2) | instskip(SKIP_1) | instid1(VALU_DEP_1)
	v_subrev_nc_u32_e32 v11, s21, v7
	v_cmp_le_u32_e64 s0, s21, v7
	v_cndmask_b32_e64 v8, v8, v10, s0
	s_delay_alu instid0(VALU_DEP_3) | instskip(SKIP_1) | instid1(VALU_DEP_3)
	v_cndmask_b32_e64 v7, v7, v11, s0
	v_ashrrev_i32_e32 v10, 31, v191
	v_add_nc_u32_e32 v11, 1, v8
	s_delay_alu instid0(VALU_DEP_3) | instskip(NEXT) | instid1(VALU_DEP_3)
	v_cmp_le_u32_e64 s0, s21, v7
	v_xor_b32_e32 v10, s11, v10
	s_delay_alu instid0(VALU_DEP_2) | instskip(NEXT) | instid1(VALU_DEP_1)
	v_cndmask_b32_e64 v7, v8, v11, s0
	v_xor_b32_e32 v7, v7, v10
	s_delay_alu instid0(VALU_DEP_1) | instskip(NEXT) | instid1(VALU_DEP_1)
	v_sub_nc_u32_e32 v7, v7, v10
	v_add_nc_u32_e32 v8, s34, v7
	v_cmp_ge_i32_e64 s1, s40, v7
	s_delay_alu instid0(VALU_DEP_2) | instskip(NEXT) | instid1(VALU_DEP_1)
	v_sub_nc_u32_e32 v10, 0, v8
	v_max_i32_e32 v10, v8, v10
	v_ashrrev_i32_e32 v8, 31, v8
	s_delay_alu instid0(VALU_DEP_2) | instskip(NEXT) | instid1(VALU_DEP_1)
	v_mul_hi_u32 v11, v10, v23
	v_mul_lo_u32 v11, v11, s42
	s_delay_alu instid0(VALU_DEP_1) | instskip(NEXT) | instid1(VALU_DEP_1)
	v_sub_nc_u32_e32 v10, v10, v11
	v_subrev_nc_u32_e32 v11, s42, v10
	v_cmp_le_u32_e64 s0, s42, v10
	s_delay_alu instid0(VALU_DEP_1) | instskip(NEXT) | instid1(VALU_DEP_1)
	v_cndmask_b32_e64 v10, v10, v11, s0
	v_subrev_nc_u32_e32 v11, s42, v10
	v_cmp_le_u32_e64 s0, s42, v10
	s_delay_alu instid0(VALU_DEP_1) | instskip(NEXT) | instid1(VALU_DEP_1)
	v_cndmask_b32_e64 v10, v10, v11, s0
	v_xor_b32_e32 v10, v10, v8
	s_delay_alu instid0(VALU_DEP_1) | instskip(NEXT) | instid1(VALU_DEP_1)
	v_sub_nc_u32_e32 v8, v10, v8
	v_cmp_ne_u32_e64 s0, 0, v8
	s_delay_alu instid0(VALU_DEP_1) | instskip(NEXT) | instid1(SALU_CYCLE_1)
	s_and_b32 s0, s0, s1
	s_and_saveexec_b32 s1, s0
	s_delay_alu instid0(SALU_CYCLE_1)
	s_xor_b32 s0, exec_lo, s1
	s_cbranch_execz .LBB52_14
; %bb.13:                               ;   in Loop: Header=BB52_12 Depth=1
	v_mov_b32_e32 v7, 0xff7fffff
	ds_store_b32 v0, v7
.LBB52_14:                              ;   in Loop: Header=BB52_12 Depth=1
	s_and_not1_saveexec_b32 s1, s0
	s_cbranch_execz .LBB52_11
; %bb.15:                               ;   in Loop: Header=BB52_12 Depth=1
	global_load_b32 v10, v[5:6], off
	s_waitcnt vmcnt(0)
	v_mad_i64_i32 v[7:8], null, v10, s41, 0
	scratch_load_b32 v10, off, off offset:8 ; 4-byte Folded Reload
	v_lshlrev_b64 v[7:8], 2, v[7:8]
	s_waitcnt vmcnt(0)
	s_delay_alu instid0(VALU_DEP_1)
	v_add_co_u32 v7, s0, v10, v7
	scratch_load_b32 v10, off, off offset:24 ; 4-byte Folded Reload
	s_waitcnt vmcnt(0)
	v_add_co_ci_u32_e64 v8, s0, v10, v8, s0
	global_load_b128 v[11:14], v[7:8], off offset:512
	scratch_load_b128 v[15:18], off, off offset:56 ; 16-byte Folded Reload
	s_waitcnt vmcnt(0)
	v_dual_mul_f32 v11, v15, v11 :: v_dual_mul_f32 v12, v16, v12
	v_dual_mul_f32 v13, v17, v13 :: v_dual_mul_f32 v10, v18, v14
	global_load_b128 v[14:17], v[7:8], off
	scratch_load_b128 v[18:21], off, off offset:40 ; 16-byte Folded Reload
	s_waitcnt vmcnt(0)
	v_dual_fmac_f32 v11, v18, v14 :: v_dual_fmac_f32 v12, v19, v15
	v_dual_fmac_f32 v13, v20, v16 :: v_dual_fmac_f32 v10, v21, v17
	global_load_b128 v[14:17], v[7:8], off offset:1024
	scratch_load_b128 v[18:21], off, off offset:72 ; 16-byte Folded Reload
	s_waitcnt vmcnt(0)
	v_dual_fmac_f32 v11, v18, v14 :: v_dual_fmac_f32 v12, v19, v15
	v_dual_fmac_f32 v13, v20, v16 :: v_dual_fmac_f32 v10, v21, v17
	global_load_b128 v[14:17], v[7:8], off offset:1536
	;; [unrolled: 5-line block ×5, first 2 shown]
	v_add_co_u32 v18, s0, v7, 0x2000
	s_delay_alu instid0(VALU_DEP_1) | instskip(SKIP_1) | instid1(VALU_DEP_1)
	v_add_co_ci_u32_e64 v19, s0, 0, v8, s0
	v_add_co_u32 v20, s0, 0x1000, v7
	v_add_co_ci_u32_e64 v21, s0, 0, v8, s0
	s_waitcnt vmcnt(0) lgkmcnt(41)
	v_dual_fmac_f32 v11, v25, v14 :: v_dual_fmac_f32 v12, v26, v15
	v_dual_fmac_f32 v13, v27, v16 :: v_dual_fmac_f32 v10, v28, v17
	global_load_b128 v[14:17], v[7:8], off offset:3584
	s_waitcnt vmcnt(0) lgkmcnt(40)
	v_dual_fmac_f32 v11, v29, v14 :: v_dual_fmac_f32 v12, v30, v15
	v_dual_fmac_f32 v13, v31, v16 :: v_dual_fmac_f32 v10, v32, v17
	global_load_b128 v[14:17], v[18:19], off offset:-4096
	s_waitcnt vmcnt(0) lgkmcnt(39)
	v_dual_fmac_f32 v11, v33, v14 :: v_dual_fmac_f32 v12, v34, v15
	v_dual_fmac_f32 v13, v35, v16 :: v_dual_fmac_f32 v10, v36, v17
	global_load_b128 v[14:17], v[20:21], off offset:512
	s_waitcnt vmcnt(0) lgkmcnt(38)
	v_dual_fmac_f32 v11, v37, v14 :: v_dual_fmac_f32 v12, v38, v15
	v_dual_fmac_f32 v13, v39, v16 :: v_dual_fmac_f32 v10, v40, v17
	global_load_b128 v[14:17], v[20:21], off offset:1024
	;; [unrolled: 4-line block ×7, first 2 shown]
	s_waitcnt vmcnt(0) lgkmcnt(32)
	v_dual_fmac_f32 v11, v61, v14 :: v_dual_fmac_f32 v12, v62, v15
	v_dual_fmac_f32 v13, v63, v16 :: v_dual_fmac_f32 v10, v64, v17
	global_load_b128 v[14:17], v[18:19], off
	v_add_co_u32 v18, s0, 0x2000, v7
	s_delay_alu instid0(VALU_DEP_1)
	v_add_co_ci_u32_e64 v19, s0, 0, v8, s0
	s_waitcnt vmcnt(0) lgkmcnt(31)
	v_dual_fmac_f32 v11, v65, v14 :: v_dual_fmac_f32 v12, v66, v15
	v_dual_fmac_f32 v13, v67, v16 :: v_dual_fmac_f32 v10, v68, v17
	global_load_b128 v[14:17], v[18:19], off offset:512
	s_waitcnt vmcnt(0) lgkmcnt(30)
	v_dual_fmac_f32 v11, v69, v14 :: v_dual_fmac_f32 v12, v70, v15
	v_dual_fmac_f32 v13, v71, v16 :: v_dual_fmac_f32 v10, v72, v17
	global_load_b128 v[14:17], v[18:19], off offset:1024
	;; [unrolled: 4-line block ×7, first 2 shown]
	v_add_co_u32 v18, s0, v7, 0x4000
	s_delay_alu instid0(VALU_DEP_1) | instskip(SKIP_1) | instid1(VALU_DEP_1)
	v_add_co_ci_u32_e64 v19, s0, 0, v8, s0
	v_add_co_u32 v20, s0, 0x3000, v7
	v_add_co_ci_u32_e64 v21, s0, 0, v8, s0
	s_waitcnt vmcnt(0) lgkmcnt(24)
	v_dual_fmac_f32 v11, v93, v14 :: v_dual_fmac_f32 v12, v94, v15
	v_dual_fmac_f32 v13, v95, v16 :: v_dual_fmac_f32 v10, v96, v17
	global_load_b128 v[14:17], v[18:19], off offset:-4096
	s_waitcnt vmcnt(0) lgkmcnt(23)
	v_dual_fmac_f32 v11, v97, v14 :: v_dual_fmac_f32 v12, v98, v15
	v_dual_fmac_f32 v13, v99, v16 :: v_dual_fmac_f32 v10, v100, v17
	global_load_b128 v[14:17], v[20:21], off offset:512
	s_waitcnt vmcnt(0) lgkmcnt(22)
	v_dual_fmac_f32 v11, v101, v14 :: v_dual_fmac_f32 v12, v102, v15
	v_dual_fmac_f32 v13, v103, v16 :: v_dual_fmac_f32 v10, v104, v17
	global_load_b128 v[14:17], v[20:21], off offset:1024
	;; [unrolled: 4-line block ×7, first 2 shown]
	s_waitcnt vmcnt(0) lgkmcnt(16)
	v_dual_fmac_f32 v11, v125, v14 :: v_dual_fmac_f32 v12, v126, v15
	v_dual_fmac_f32 v13, v127, v16 :: v_dual_fmac_f32 v10, v128, v17
	global_load_b128 v[14:17], v[18:19], off
	v_add_co_u32 v18, s0, 0x4000, v7
	s_delay_alu instid0(VALU_DEP_1) | instskip(SKIP_1) | instid1(VALU_DEP_1)
	v_add_co_ci_u32_e64 v19, s0, 0, v8, s0
	v_add_co_u32 v7, s0, 0x5000, v7
	v_add_co_ci_u32_e64 v8, s0, 0, v8, s0
	s_waitcnt vmcnt(0) lgkmcnt(15)
	v_dual_fmac_f32 v11, v129, v14 :: v_dual_fmac_f32 v12, v130, v15
	v_dual_fmac_f32 v13, v131, v16 :: v_dual_fmac_f32 v10, v132, v17
	global_load_b128 v[14:17], v[18:19], off offset:512
	s_waitcnt vmcnt(0) lgkmcnt(14)
	v_dual_fmac_f32 v11, v133, v14 :: v_dual_fmac_f32 v12, v134, v15
	v_dual_fmac_f32 v13, v135, v16 :: v_dual_fmac_f32 v10, v136, v17
	global_load_b128 v[14:17], v[18:19], off offset:1024
	;; [unrolled: 4-line block ×7, first 2 shown]
	s_waitcnt vmcnt(0) lgkmcnt(8)
	v_dual_fmac_f32 v11, v157, v14 :: v_dual_fmac_f32 v12, v158, v15
	v_dual_fmac_f32 v13, v159, v16 :: v_dual_fmac_f32 v10, v160, v17
	global_load_b128 v[14:17], v[7:8], off
	s_waitcnt vmcnt(0) lgkmcnt(7)
	v_dual_fmac_f32 v11, v161, v14 :: v_dual_fmac_f32 v12, v162, v15
	v_dual_fmac_f32 v13, v163, v16 :: v_dual_fmac_f32 v10, v164, v17
	global_load_b128 v[14:17], v[7:8], off offset:512
	s_waitcnt vmcnt(0) lgkmcnt(6)
	v_dual_fmac_f32 v11, v165, v14 :: v_dual_fmac_f32 v12, v166, v15
	v_dual_fmac_f32 v13, v167, v16 :: v_dual_fmac_f32 v10, v168, v17
	global_load_b128 v[14:17], v[7:8], off offset:1024
	;; [unrolled: 4-line block ×7, first 2 shown]
	v_add_nc_u32_e32 v8, v24, v191
	s_delay_alu instid0(VALU_DEP_1)
	v_cmp_gt_i32_e64 s0, s33, v8
	scratch_load_b32 v8, off, off offset:136 ; 4-byte Folded Reload
	s_waitcnt vmcnt(1) lgkmcnt(0)
	v_dual_fmac_f32 v11, v1, v14 :: v_dual_fmac_f32 v12, v2, v15
	v_dual_fmac_f32 v13, v3, v16 :: v_dual_fmac_f32 v10, v4, v17
	s_waitcnt vmcnt(0)
	s_delay_alu instid0(VALU_DEP_2) | instskip(NEXT) | instid1(VALU_DEP_1)
	v_dual_add_f32 v7, v11, v12 :: v_dual_add_nc_u32 v8, v8, v191
	v_cvt_f32_i32_e32 v8, v8
	s_delay_alu instid0(VALU_DEP_1) | instskip(NEXT) | instid1(VALU_DEP_1)
	v_dual_add_f32 v7, v13, v7 :: v_dual_mul_f32 v8, s37, v8
	v_dual_add_f32 v7, v10, v7 :: v_dual_cndmask_b32 v8, 0, v8
	s_delay_alu instid0(VALU_DEP_1) | instskip(NEXT) | instid1(VALU_DEP_1)
	v_dual_fmac_f32 v8, s3, v7 :: v_dual_max_f32 v7, v190, v190
	v_max_f32_e32 v7, v7, v8
	s_delay_alu instid0(VALU_DEP_1)
	v_cndmask_b32_e64 v190, v190, v7, s0
	v_cndmask_b32_e64 v7, 0, v8, s0
	ds_store_b32 v0, v7
	s_branch .LBB52_11
.LBB52_16:
	s_or_b32 exec_lo, exec_lo, s7
	scratch_load_b32 v191, off, off offset:480 ; 4-byte Folded Reload
	s_waitcnt lgkmcnt(31)
	v_mov_b32_e32 v68, v22
	v_lshlrev_b32_e32 v10, 2, v24
.LBB52_17:
	s_or_b32 exec_lo, exec_lo, s39
	v_mbcnt_lo_u32_b32 v0, -1, 0
	s_waitcnt lgkmcnt(0)
	v_max_f32_e32 v4, v190, v190
	s_delay_alu instid0(VALU_DEP_2) | instskip(SKIP_1) | instid1(VALU_DEP_2)
	v_xor_b32_e32 v1, 16, v0
	v_xor_b32_e32 v3, 8, v0
	v_cmp_gt_i32_e32 vcc_lo, 32, v1
	v_cndmask_b32_e32 v1, v0, v1, vcc_lo
	s_delay_alu instid0(VALU_DEP_3) | instskip(NEXT) | instid1(VALU_DEP_2)
	v_cmp_gt_i32_e32 vcc_lo, 32, v3
	v_lshlrev_b32_e32 v1, 2, v1
	v_cndmask_b32_e32 v3, v0, v3, vcc_lo
	ds_bpermute_b32 v2, v1, v190
	s_waitcnt lgkmcnt(0)
	v_dual_max_f32 v5, v2, v2 :: v_dual_lshlrev_b32 v2, 2, v3
	s_delay_alu instid0(VALU_DEP_1) | instskip(SKIP_4) | instid1(VALU_DEP_1)
	v_max_f32_e32 v3, v4, v5
	v_xor_b32_e32 v5, 4, v0
	ds_bpermute_b32 v4, v2, v3
	v_cmp_gt_i32_e32 vcc_lo, 32, v5
	v_cndmask_b32_e32 v5, v0, v5, vcc_lo
	v_lshlrev_b32_e32 v58, 2, v5
	v_xor_b32_e32 v5, 2, v0
	s_delay_alu instid0(VALU_DEP_1) | instskip(SKIP_3) | instid1(VALU_DEP_1)
	v_cmp_gt_i32_e32 vcc_lo, 32, v5
	s_waitcnt lgkmcnt(0)
	v_max_f32_e32 v4, v4, v4
	v_cndmask_b32_e32 v5, v0, v5, vcc_lo
	v_dual_max_f32 v3, v3, v4 :: v_dual_lshlrev_b32 v62, 2, v5
	v_xor_b32_e32 v5, 1, v0
	ds_bpermute_b32 v4, v58, v3
	v_cmp_gt_i32_e32 vcc_lo, 32, v5
	v_cndmask_b32_e32 v5, v0, v5, vcc_lo
	v_cmp_eq_u32_e32 vcc_lo, 0, v24
	s_waitcnt lgkmcnt(0)
	s_delay_alu instid0(VALU_DEP_2) | instskip(NEXT) | instid1(VALU_DEP_1)
	v_dual_max_f32 v4, v4, v4 :: v_dual_lshlrev_b32 v69, 2, v5
	v_max_f32_e32 v3, v3, v4
	ds_bpermute_b32 v4, v62, v3
	s_waitcnt lgkmcnt(0)
	v_max_f32_e32 v4, v4, v4
	s_delay_alu instid0(VALU_DEP_1)
	v_max_f32_e32 v0, v3, v4
	s_waitcnt vmcnt(0)
	v_lshlrev_b32_e32 v4, 2, v191
	ds_bpermute_b32 v3, v69, v0
	s_and_saveexec_b32 s0, vcc_lo
	s_cbranch_execz .LBB52_19
; %bb.18:
	s_waitcnt lgkmcnt(0)
	v_dual_max_f32 v3, v3, v3 :: v_dual_max_f32 v0, v0, v0
	s_delay_alu instid0(VALU_DEP_1)
	v_max_f32_e32 v0, v0, v3
	ds_store_b32 v4, v0 offset:768
.LBB52_19:
	s_or_b32 exec_lo, exec_lo, s0
	v_cmp_gt_u32_e64 s0, 4, v24
	v_mov_b32_e32 v0, 0xff7fffff
	s_waitcnt lgkmcnt(0)
	s_waitcnt_vscnt null, 0x0
	s_barrier
	buffer_gl0_inv
	s_and_saveexec_b32 s1, s0
	s_cbranch_execz .LBB52_21
; %bb.20:
	ds_load_b32 v0, v10 offset:768
.LBB52_21:
	s_or_b32 exec_lo, exec_lo, s1
	s_waitcnt lgkmcnt(0)
	ds_bpermute_b32 v3, v62, v0
	v_max_f32_e32 v0, v0, v0
	s_sub_i32 s1, s8, s38
	v_mov_b32_e32 v5, 0
	s_lshl_b32 s1, s1, 5
	s_delay_alu instid0(SALU_CYCLE_1) | instskip(NEXT) | instid1(SALU_CYCLE_1)
	s_add_i32 s1, s1, s13
	s_min_i32 s1, s1, s33
	s_delay_alu instid0(SALU_CYCLE_1) | instskip(NEXT) | instid1(SALU_CYCLE_1)
	s_sub_i32 s7, s1, s13
	v_cmp_gt_i32_e64 s1, s7, v68
	s_waitcnt lgkmcnt(0)
	v_max_f32_e32 v3, v3, v3
	s_delay_alu instid0(VALU_DEP_1) | instskip(SKIP_3) | instid1(VALU_DEP_1)
	v_max_f32_e32 v0, v0, v3
	ds_bpermute_b32 v3, v69, v0
	s_waitcnt lgkmcnt(0)
	v_max_f32_e32 v3, v3, v3
	v_max_f32_e32 v0, v0, v3
	v_lshl_add_u32 v3, v68, 2, 0x320
	ds_bpermute_b32 v0, v5, v0
	s_and_saveexec_b32 s13, s1
	s_cbranch_execz .LBB52_25
; %bb.22:
	v_lshl_add_u32 v6, v68, 2, 0x320
	v_mov_b32_e32 v5, 0
	v_mov_b32_e32 v7, v68
	s_mov_b32 s37, 0
	.p2align	6
.LBB52_23:                              ; =>This Inner Loop Header: Depth=1
	ds_load_b32 v8, v6
	v_add_nc_u32_e32 v7, 0x80, v7
	s_delay_alu instid0(VALU_DEP_1) | instskip(NEXT) | instid1(VALU_DEP_1)
	v_cmp_le_i32_e64 s3, s7, v7
	s_or_b32 s37, s3, s37
	s_waitcnt lgkmcnt(0)
	v_sub_f32_e32 v8, v8, v0
	s_delay_alu instid0(VALU_DEP_1) | instskip(NEXT) | instid1(VALU_DEP_1)
	v_mul_f32_e32 v8, 0x3fb8aa3b, v8
	v_exp_f32_e32 v8, v8
	ds_store_b32 v6, v8
	v_dual_add_f32 v5, v5, v8 :: v_dual_add_nc_u32 v6, 0x200, v6
	s_and_not1_b32 exec_lo, exec_lo, s37
	s_cbranch_execnz .LBB52_23
; %bb.24:
	s_or_b32 exec_lo, exec_lo, s37
.LBB52_25:
	s_delay_alu instid0(SALU_CYCLE_1)
	s_or_b32 exec_lo, exec_lo, s13
	ds_bpermute_b32 v1, v1, v5
	s_waitcnt lgkmcnt(0)
	v_add_f32_e32 v1, v5, v1
	ds_bpermute_b32 v2, v2, v1
	s_waitcnt lgkmcnt(0)
	v_add_f32_e32 v1, v1, v2
	;; [unrolled: 3-line block ×5, first 2 shown]
	s_and_saveexec_b32 s3, vcc_lo
	s_cbranch_execz .LBB52_27
; %bb.26:
	ds_store_b32 v4, v1 offset:784
.LBB52_27:
	s_or_b32 exec_lo, exec_lo, s3
	s_waitcnt lgkmcnt(0)
	s_barrier
	buffer_gl0_inv
	s_and_saveexec_b32 s3, s0
	s_cbranch_execz .LBB52_29
; %bb.28:
	ds_load_b32 v1, v10 offset:784
.LBB52_29:
	s_or_b32 exec_lo, exec_lo, s3
	s_waitcnt lgkmcnt(0)
	ds_bpermute_b32 v2, v62, v1
	s_waitcnt lgkmcnt(0)
	v_add_f32_e32 v1, v1, v2
	ds_bpermute_b32 v2, v69, v1
	s_waitcnt lgkmcnt(0)
	v_dual_add_f32 v1, v1, v2 :: v_dual_mov_b32 v2, 0
	ds_bpermute_b32 v1, v2, v1
	s_and_saveexec_b32 s0, s1
	s_cbranch_execz .LBB52_32
; %bb.30:
	s_waitcnt lgkmcnt(0)
	v_add_f32_e32 v2, 0x358637bd, v1
	s_mov_b32 s1, 0
	s_delay_alu instid0(VALU_DEP_1) | instskip(SKIP_1) | instid1(VALU_DEP_2)
	v_div_scale_f32 v4, null, v2, v2, 1.0
	v_div_scale_f32 v7, vcc_lo, 1.0, v2, 1.0
	v_rcp_f32_e32 v5, v4
	s_waitcnt_depctr 0xfff
	v_fma_f32 v6, -v4, v5, 1.0
	s_delay_alu instid0(VALU_DEP_1) | instskip(NEXT) | instid1(VALU_DEP_1)
	v_fmac_f32_e32 v5, v6, v5
	v_mul_f32_e32 v6, v7, v5
	s_delay_alu instid0(VALU_DEP_1) | instskip(NEXT) | instid1(VALU_DEP_1)
	v_fma_f32 v8, -v4, v6, v7
	v_fmac_f32_e32 v6, v8, v5
	s_delay_alu instid0(VALU_DEP_1) | instskip(NEXT) | instid1(VALU_DEP_1)
	v_fma_f32 v4, -v4, v6, v7
	v_div_fmas_f32 v4, v4, v5, v6
	s_delay_alu instid0(VALU_DEP_1)
	v_div_fixup_f32 v2, v4, v2, 1.0
	v_mov_b32_e32 v4, v68
.LBB52_31:                              ; =>This Inner Loop Header: Depth=1
	ds_load_b32 v5, v3
	s_waitcnt lgkmcnt(0)
	v_dual_mul_f32 v5, v2, v5 :: v_dual_add_nc_u32 v4, 0x80, v4
	s_delay_alu instid0(VALU_DEP_1) | instskip(SKIP_3) | instid1(SALU_CYCLE_1)
	v_cmp_le_i32_e32 vcc_lo, s7, v4
	ds_store_b32 v3, v5
	v_add_nc_u32_e32 v3, 0x200, v3
	s_or_b32 s1, vcc_lo, s1
	s_and_not1_b32 exec_lo, exec_lo, s1
	s_cbranch_execnz .LBB52_31
.LBB52_32:
	s_or_b32 exec_lo, exec_lo, s0
	s_delay_alu instid0(SALU_CYCLE_1)
	s_mov_b32 s0, exec_lo
	s_waitcnt lgkmcnt(0)
	s_barrier
	buffer_gl0_inv
	v_cmpx_eq_u32_e32 0, v68
	s_cbranch_execz .LBB52_34
; %bb.33:
	s_mul_i32 s1, s4, s14
	s_mul_i32 s40, s4, s26
	s_mul_i32 s38, s1, s15
	v_mov_b32_e32 v2, 0
	s_ashr_i32 s39, s38, 31
	s_delay_alu instid0(SALU_CYCLE_1) | instskip(NEXT) | instid1(SALU_CYCLE_1)
	s_lshl_b64 s[38:39], s[38:39], 2
	s_add_u32 s1, s18, s38
	s_addc_u32 s3, s19, s39
	s_ashr_i32 s41, s40, 31
	s_delay_alu instid0(SALU_CYCLE_1) | instskip(NEXT) | instid1(SALU_CYCLE_1)
	s_lshl_b64 s[18:19], s[40:41], 2
	s_add_u32 s1, s1, s18
	s_addc_u32 s3, s3, s19
	;; [unrolled: 5-line block ×3, first 2 shown]
	s_add_u32 s1, s16, s38
	s_addc_u32 s3, s17, s39
	s_add_u32 s1, s1, s18
	s_addc_u32 s3, s3, s19
	;; [unrolled: 2-line block ×3, first 2 shown]
	s_clause 0x1
	global_store_b32 v2, v0, s[42:43]
	global_store_b32 v2, v1, s[16:17]
.LBB52_34:
	s_or_b32 exec_lo, exec_lo, s0
	v_dual_mov_b32 v17, 0 :: v_dual_and_b32 v70, 7, v68
	v_dual_mov_b32 v29, 0 :: v_dual_mov_b32 v18, 0
	v_dual_mov_b32 v22, 0 :: v_dual_mov_b32 v15, 0
	;; [unrolled: 1-line block ×18, first 2 shown]
	v_mov_b32_e32 v49, 0
	v_mov_b32_e32 v79, 0
	;; [unrolled: 1-line block ×11, first 2 shown]
	s_mov_b32 s3, 0
	s_mov_b32 s1, exec_lo
	s_delay_alu instid0(SALU_CYCLE_1)
	s_and_b32 s0, s1, s2
	scratch_store_b32 off, v24, off offset:484 ; 4-byte Folded Spill
	s_mov_b32 exec_lo, s0
	s_cbranch_execz .LBB52_136
; %bb.35:
	v_dual_mov_b32 v59, 0 :: v_dual_lshlrev_b32 v0, 2, v68
	s_ashr_i32 s7, s6, 31
	s_sub_i32 s2, s36, s9
	s_lshl_b64 s[6:7], s[6:7], 2
	s_delay_alu instid0(VALU_DEP_1)
	v_dual_mov_b32 v60, 0 :: v_dual_and_b32 v1, 28, v0
	s_add_u32 s6, s30, s6
	s_addc_u32 s7, s31, s7
	s_abs_i32 s10, s10
	s_clause 0x4
	scratch_store_b32 off, v58, off offset:500
	scratch_store_b32 off, v62, off offset:496
	;; [unrolled: 1-line block ×5, first 2 shown]
	v_cvt_f32_u32_e32 v1, s10
	s_sub_i32 s0, 0, s10
	v_dual_mov_b32 v61, 0 :: v_dual_and_b32 v2, 0x7c, v0
	v_or_b32_e32 v26, 0xf80, v0
	s_delay_alu instid0(VALU_DEP_3)
	v_rcp_iflag_f32_e32 v1, v1
	s_lshl_b64 s[16:17], s[28:29], 2
	s_add_i32 s9, s35, -1
	v_dual_mov_b32 v72, 0 :: v_dual_lshlrev_b32 v45, 4, v70
	v_or_b32_e32 v3, 0x400, v2
	v_or_b32_e32 v4, 0x480, v2
	;; [unrolled: 1-line block ×3, first 2 shown]
	v_mov_b32_e32 v64, 0
	v_or_b32_e32 v6, 0x580, v2
	s_delay_alu instid0(TRANS32_DEP_1)
	v_mul_f32_e32 v1, 0x4f7ffffe, v1
	v_or_b32_e32 v7, 0x600, v2
	v_or_b32_e32 v8, 0x680, v2
	;; [unrolled: 1-line block ×4, first 2 shown]
	v_cvt_u32_f32_e32 v29, v1
	v_or_b32_e32 v11, 0x800, v2
	v_or_b32_e32 v12, 0x880, v2
	;; [unrolled: 1-line block ×4, first 2 shown]
	v_mul_lo_u32 v0, s0, v29
	s_add_u32 s0, s24, s16
	s_addc_u32 s13, s25, s17
	v_or_b32_e32 v15, 0xa00, v2
	v_or_b32_e32 v16, 0xa80, v2
	;; [unrolled: 1-line block ×5, first 2 shown]
	v_mul_hi_u32 v40, v29, v0
	scratch_load_b64 v[0:1], off, off       ; 8-byte Folded Reload
	v_or_b32_e32 v20, 0xc80, v2
	v_or_b32_e32 v21, 0xd00, v2
	;; [unrolled: 1-line block ×4, first 2 shown]
	v_mov_b32_e32 v76, 0
	v_or_b32_e32 v24, 0xe80, v2
	v_add_nc_u32_e32 v29, v29, v40
	scratch_store_b32 off, v70, off offset:504 ; 4-byte Folded Spill
	v_or_b32_e32 v25, 0xf00, v2
	v_or_b32_e32 v27, 0x1000, v2
	;; [unrolled: 1-line block ×3, first 2 shown]
	scratch_store_b32 off, v29, off offset:56 ; 4-byte Folded Spill
	v_lshl_or_b32 v29, v191, 7, v45
	v_or_b32_e32 v30, 0x1100, v2
	v_or_b32_e32 v31, 0x1180, v2
	;; [unrolled: 1-line block ×14, first 2 shown]
	v_mov_b32_e32 v65, 0
	v_mov_b32_e32 v67, 0
	;; [unrolled: 1-line block ×13, first 2 shown]
	v_dual_mov_b32 v63, 0 :: v_dual_mov_b32 v80, 0
	v_mov_b32_e32 v48, 0
	v_mov_b32_e32 v40, 0
	;; [unrolled: 1-line block ×4, first 2 shown]
	s_waitcnt vmcnt(0)
	v_lshlrev_b64 v[0:1], 2, v[0:1]
	s_delay_alu instid0(VALU_DEP_1) | instskip(NEXT) | instid1(VALU_DEP_2)
	v_add_co_u32 v190, vcc_lo, s0, v0
	v_add_co_ci_u32_e32 v191, vcc_lo, s13, v1, vcc_lo
	v_lshlrev_b32_e32 v1, 2, v2
	v_dual_mov_b32 v29, 0 :: v_dual_add_nc_u32 v0, 0x320, v29
	scratch_store_b32 off, v1, off offset:316 ; 4-byte Folded Spill
	v_lshlrev_b32_e32 v1, 2, v3
	scratch_store_b32 off, v1, off offset:320 ; 4-byte Folded Spill
	v_lshlrev_b32_e32 v1, 2, v4
	;; [unrolled: 2-line block ×11, first 2 shown]
	scratch_store_b32 off, v1, off offset:360 ; 4-byte Folded Spill
	v_dual_mov_b32 v14, 0 :: v_dual_lshlrev_b32 v1, 2, v14
	scratch_store_b32 off, v1, off offset:364 ; 4-byte Folded Spill
	v_lshlrev_b32_e32 v1, 2, v15
	v_mov_b32_e32 v15, 0
	scratch_store_b32 off, v1, off offset:368 ; 4-byte Folded Spill
	v_dual_mov_b32 v16, 0 :: v_dual_lshlrev_b32 v1, 2, v16
	scratch_store_b32 off, v1, off offset:372 ; 4-byte Folded Spill
	v_lshlrev_b32_e32 v1, 2, v17
	v_mov_b32_e32 v17, 0
	scratch_store_b32 off, v1, off offset:376 ; 4-byte Folded Spill
	v_dual_mov_b32 v18, 0 :: v_dual_lshlrev_b32 v1, 2, v18
	scratch_store_b32 off, v1, off offset:380 ; 4-byte Folded Spill
	v_lshlrev_b32_e32 v1, 2, v19
	scratch_store_b32 off, v1, off offset:384 ; 4-byte Folded Spill
	v_lshlrev_b32_e32 v1, 2, v20
	;; [unrolled: 2-line block ×3, first 2 shown]
	v_mov_b32_e32 v21, 0
	scratch_store_b32 off, v1, off offset:392 ; 4-byte Folded Spill
	v_dual_mov_b32 v22, 0 :: v_dual_lshlrev_b32 v1, 2, v22
	scratch_store_b32 off, v1, off offset:396 ; 4-byte Folded Spill
	v_lshlrev_b32_e32 v1, 2, v23
	v_mov_b32_e32 v23, 0
	scratch_store_b32 off, v1, off offset:400 ; 4-byte Folded Spill
	v_lshlrev_b32_e32 v1, 2, v24
	scratch_store_b32 off, v1, off offset:404 ; 4-byte Folded Spill
	v_lshlrev_b32_e32 v1, 2, v25
	v_mov_b32_e32 v25, 0
	scratch_store_b32 off, v1, off offset:408 ; 4-byte Folded Spill
	v_dual_mov_b32 v26, 0 :: v_dual_lshlrev_b32 v1, 2, v26
	scratch_store_b32 off, v1, off offset:412 ; 4-byte Folded Spill
	v_lshlrev_b32_e32 v1, 2, v27
	v_mov_b32_e32 v27, 0
	scratch_store_b32 off, v1, off offset:416 ; 4-byte Folded Spill
	v_dual_mov_b32 v28, 0 :: v_dual_lshlrev_b32 v1, 2, v28
	scratch_store_b32 off, v1, off offset:420 ; 4-byte Folded Spill
	v_lshlrev_b32_e32 v1, 2, v30
	scratch_store_b32 off, v1, off offset:424 ; 4-byte Folded Spill
	v_lshlrev_b32_e32 v1, 2, v31
	v_mov_b32_e32 v31, 0
	scratch_store_b32 off, v1, off offset:428 ; 4-byte Folded Spill
	v_dual_mov_b32 v32, 0 :: v_dual_lshlrev_b32 v1, 2, v32
	scratch_store_b32 off, v1, off offset:432 ; 4-byte Folded Spill
	v_lshlrev_b32_e32 v1, 2, v33
	v_mov_b32_e32 v33, 0
	scratch_store_b32 off, v1, off offset:436 ; 4-byte Folded Spill
	v_lshlrev_b32_e32 v1, 2, v34
	scratch_store_b32 off, v1, off offset:440 ; 4-byte Folded Spill
	v_lshlrev_b32_e32 v1, 2, v35
	v_mov_b32_e32 v35, 0
	scratch_store_b32 off, v1, off offset:444 ; 4-byte Folded Spill
	v_dual_mov_b32 v36, 0 :: v_dual_lshlrev_b32 v1, 2, v36
	scratch_store_b32 off, v1, off offset:448 ; 4-byte Folded Spill
	v_lshlrev_b32_e32 v1, 2, v37
	v_mov_b32_e32 v37, 0
	scratch_store_b32 off, v1, off offset:452 ; 4-byte Folded Spill
	v_lshlrev_b32_e32 v1, 2, v38
	scratch_store_b32 off, v1, off offset:456 ; 4-byte Folded Spill
	v_lshlrev_b32_e32 v1, 2, v39
	v_mov_b32_e32 v39, 0
	scratch_store_b32 off, v1, off offset:460 ; 4-byte Folded Spill
	v_lshlrev_b32_e32 v1, 2, v41
	v_mov_b32_e32 v41, 0
	scratch_store_b32 off, v1, off offset:464 ; 4-byte Folded Spill
	v_lshlrev_b32_e32 v1, 2, v42
	scratch_store_b32 off, v1, off offset:468 ; 4-byte Folded Spill
	v_lshlrev_b32_e32 v1, 2, v43
	v_mov_b32_e32 v43, 0
	scratch_store_b32 off, v1, off offset:472 ; 4-byte Folded Spill
	v_dual_mov_b32 v44, 0 :: v_dual_lshlrev_b32 v1, 2, v44
	scratch_store_b32 off, v1, off offset:476 ; 4-byte Folded Spill
	s_branch .LBB52_38
.LBB52_36:                              ;   in Loop: Header=BB52_38 Depth=1
	s_or_b32 exec_lo, exec_lo, s0
	s_waitcnt lgkmcnt(0)
	v_mul_f32_e32 v74, v2, v74
	v_mul_f32_e32 v78, v2, v78
	;; [unrolled: 1-line block ×5, first 2 shown]
	v_fmac_f32_e32 v74, v1, v73
	v_fmac_f32_e32 v78, v1, v77
	scratch_load_b32 v73, off, off offset:156 ; 4-byte Folded Reload
	v_dual_fmac_f32 v6, v1, v5 :: v_dual_mul_f32 v5, v2, v186
	v_fmac_f32_e32 v74, v3, v75
	scratch_load_b32 v75, off, off offset:160 ; 4-byte Folded Reload
	v_mul_f32_e32 v10, v2, v10
	v_dual_fmac_f32 v6, v3, v7 :: v_dual_fmac_f32 v5, v1, v185
	v_fmac_f32_e32 v74, v4, v76
	s_clause 0x1
	scratch_load_b32 v76, off, off offset:164
	scratch_load_b32 v77, off, off offset:168
	v_dual_fmac_f32 v10, v1, v9 :: v_dual_fmac_f32 v5, v3, v187
	v_dual_mul_f32 v7, v2, v182 :: v_dual_fmac_f32 v46, v1, v45
	v_fmac_f32_e32 v26, v1, v25
	s_delay_alu instid0(VALU_DEP_3) | instskip(NEXT) | instid1(VALU_DEP_3)
	v_dual_fmac_f32 v10, v3, v11 :: v_dual_fmac_f32 v5, v4, v188
	v_dual_fmac_f32 v7, v1, v181 :: v_dual_fmac_f32 v78, v3, v79
	v_mul_f32_e32 v50, v2, v50
	s_delay_alu instid0(VALU_DEP_3) | instskip(SKIP_1) | instid1(VALU_DEP_4)
	v_fmac_f32_e32 v10, v4, v12
	v_fmac_f32_e32 v46, v3, v47
	v_fmac_f32_e32 v7, v3, v183
	v_fmac_f32_e32 v26, v3, v27
	v_fmac_f32_e32 v78, v4, v80
	v_fmac_f32_e32 v50, v1, v49
	v_fmac_f32_e32 v46, v4, v48
	v_fmac_f32_e32 v7, v4, v184
	v_dual_fmac_f32 v6, v4, v8 :: v_dual_mul_f32 v9, v2, v174
	v_mul_f32_e32 v8, v2, v178
	v_fmac_f32_e32 v26, v4, v28
	v_mul_f32_e32 v12, v2, v166
	s_clause 0x3
	scratch_load_b32 v79, off, off offset:172
	scratch_load_b32 v80, off, off offset:176
	;; [unrolled: 1-line block ×4, first 2 shown]
	v_fmac_f32_e32 v9, v1, v173
	v_fmac_f32_e32 v8, v1, v177
	v_dual_fmac_f32 v12, v1, v165 :: v_dual_mul_f32 v13, v2, v162
	s_delay_alu instid0(VALU_DEP_3) | instskip(NEXT) | instid1(VALU_DEP_3)
	v_dual_mul_f32 v30, v2, v30 :: v_dual_fmac_f32 v9, v3, v175
	v_dual_fmac_f32 v8, v3, v179 :: v_dual_mul_f32 v11, v2, v170
	v_mul_f32_e32 v22, v2, v22
	s_delay_alu instid0(VALU_DEP_3) | instskip(NEXT) | instid1(VALU_DEP_3)
	v_dual_fmac_f32 v30, v1, v29 :: v_dual_fmac_f32 v9, v4, v176
	v_dual_fmac_f32 v8, v4, v180 :: v_dual_fmac_f32 v11, v1, v169
	v_fmac_f32_e32 v12, v3, v167
	s_delay_alu instid0(VALU_DEP_4) | instskip(SKIP_1) | instid1(VALU_DEP_4)
	v_fmac_f32_e32 v22, v1, v21
	v_mul_f32_e32 v70, v2, v70
	v_dual_mul_f32 v66, v2, v66 :: v_dual_fmac_f32 v11, v3, v171
	s_delay_alu instid0(VALU_DEP_4) | instskip(NEXT) | instid1(VALU_DEP_4)
	v_fmac_f32_e32 v12, v4, v168
	v_fmac_f32_e32 v22, v3, v23
	v_mul_f32_e32 v14, v2, v158
	s_delay_alu instid0(VALU_DEP_4) | instskip(SKIP_1) | instid1(VALU_DEP_4)
	v_dual_fmac_f32 v70, v1, v69 :: v_dual_fmac_f32 v11, v4, v172
	v_mul_f32_e32 v62, v2, v62
	v_fmac_f32_e32 v22, v4, v24
	s_delay_alu instid0(VALU_DEP_4) | instskip(NEXT) | instid1(VALU_DEP_4)
	v_dual_fmac_f32 v14, v1, v157 :: v_dual_mul_f32 v15, v2, v154
	v_dual_fmac_f32 v13, v1, v161 :: v_dual_fmac_f32 v70, v3, v71
	v_mul_f32_e32 v18, v2, v18
	s_delay_alu instid0(VALU_DEP_3) | instskip(NEXT) | instid1(VALU_DEP_3)
	v_fmac_f32_e32 v14, v3, v159
	v_dual_fmac_f32 v66, v1, v65 :: v_dual_fmac_f32 v13, v3, v163
	s_delay_alu instid0(VALU_DEP_4) | instskip(SKIP_1) | instid1(VALU_DEP_4)
	v_fmac_f32_e32 v70, v4, v72
	v_fmac_f32_e32 v62, v1, v61
	;; [unrolled: 1-line block ×3, first 2 shown]
	s_delay_alu instid0(VALU_DEP_4) | instskip(SKIP_3) | instid1(VALU_DEP_4)
	v_dual_mul_f32 v16, v2, v150 :: v_dual_fmac_f32 v13, v4, v164
	v_fmac_f32_e32 v18, v1, v17
	v_mul_f32_e32 v58, v2, v58
	v_fmac_f32_e32 v62, v3, v63
	v_fmac_f32_e32 v16, v1, v149
	s_delay_alu instid0(VALU_DEP_4) | instskip(NEXT) | instid1(VALU_DEP_4)
	v_dual_fmac_f32 v15, v1, v153 :: v_dual_fmac_f32 v18, v3, v19
	v_fmac_f32_e32 v58, v1, v57
	s_delay_alu instid0(VALU_DEP_4) | instskip(NEXT) | instid1(VALU_DEP_4)
	v_fmac_f32_e32 v62, v4, v64
	v_fmac_f32_e32 v16, v3, v151
	s_delay_alu instid0(VALU_DEP_4) | instskip(NEXT) | instid1(VALU_DEP_4)
	v_dual_fmac_f32 v15, v3, v155 :: v_dual_fmac_f32 v18, v4, v20
	v_fmac_f32_e32 v58, v3, v59
	v_mul_f32_e32 v146, v2, v146
	s_delay_alu instid0(VALU_DEP_4) | instskip(NEXT) | instid1(VALU_DEP_4)
	v_fmac_f32_e32 v16, v4, v152
	v_dual_mul_f32 v126, v2, v126 :: v_dual_fmac_f32 v15, v4, v156
	s_delay_alu instid0(VALU_DEP_4) | instskip(NEXT) | instid1(VALU_DEP_4)
	v_fmac_f32_e32 v58, v4, v60
	v_fmac_f32_e32 v146, v1, v145
	v_fmac_f32_e32 v66, v3, v67
	s_clause 0x1
	scratch_load_b32 v63, off, off offset:120
	scratch_load_b32 v67, off, off offset:144
	v_mul_f32_e32 v54, v2, v54
	v_fmac_f32_e32 v146, v3, v147
	v_mul_f32_e32 v38, v2, v38
	v_mul_f32_e32 v42, v2, v42
	;; [unrolled: 1-line block ×3, first 2 shown]
	v_fmac_f32_e32 v54, v1, v53
	v_fmac_f32_e32 v146, v4, v148
	s_clause 0x3
	scratch_load_b128 v[147:150], off, off offset:40
	scratch_load_b32 v61, off, off offset:104
	scratch_load_b32 v65, off, off offset:140
	;; [unrolled: 1-line block ×3, first 2 shown]
	v_fmac_f32_e32 v54, v3, v55
	v_fmac_f32_e32 v38, v1, v37
	s_clause 0x4
	scratch_load_b32 v55, off, off offset:252
	scratch_load_b32 v21, off, off offset:260
	;; [unrolled: 1-line block ×5, first 2 shown]
	v_fmac_f32_e32 v54, v4, v56
	scratch_load_b32 v56, off, off offset:256 ; 4-byte Folded Reload
	v_mul_f32_e32 v130, v2, v130
	v_fmac_f32_e32 v42, v1, v41
	v_fmac_f32_e32 v38, v3, v39
	;; [unrolled: 1-line block ×4, first 2 shown]
	s_clause 0x2
	scratch_load_b32 v47, off, off offset:188
	scratch_load_b32 v51, off, off offset:192
	;; [unrolled: 1-line block ×3, first 2 shown]
	v_fmac_f32_e32 v42, v3, v43
	v_fmac_f32_e32 v38, v4, v40
	s_clause 0x2
	scratch_load_b32 v40, off, off offset:200
	scratch_load_b32 v41, off, off offset:204
	;; [unrolled: 1-line block ×3, first 2 shown]
	v_fmac_f32_e32 v34, v3, v35
	v_fmac_f32_e32 v30, v3, v31
	s_clause 0x4
	scratch_load_b32 v35, off, off offset:220
	scratch_load_b32 v37, off, off offset:228
	;; [unrolled: 1-line block ×5, first 2 shown]
	v_fmac_f32_e32 v34, v4, v36
	scratch_load_b32 v36, off, off offset:224 ; 4-byte Folded Reload
	v_fmac_f32_e32 v50, v4, v52
	v_fmac_f32_e32 v42, v4, v44
	;; [unrolled: 1-line block ×3, first 2 shown]
	s_clause 0x3
	scratch_load_b32 v44, off, off offset:212
	scratch_load_b32 v52, off, off offset:216
	;; [unrolled: 1-line block ×4, first 2 shown]
	v_mul_f32_e32 v110, v2, v110
	v_mul_f32_e32 v106, v2, v106
	;; [unrolled: 1-line block ×9, first 2 shown]
	v_fmac_f32_e32 v114, v1, v113
	v_fmac_f32_e32 v94, v1, v93
	;; [unrolled: 1-line block ×17, first 2 shown]
	s_clause 0x5
	scratch_load_b32 v28, off, off offset:288
	scratch_load_b32 v29, off, off offset:308
	;; [unrolled: 1-line block ×6, first 2 shown]
	s_waitcnt vmcnt(41)
	v_add_f32_e32 v73, v73, v13
	s_waitcnt vmcnt(40)
	v_add_f32_e32 v75, v75, v14
	scratch_load_b32 v14, off, off offset:276 ; 4-byte Folded Reload
	s_waitcnt vmcnt(40)
	v_add_f32_e32 v76, v76, v15
	scratch_load_b32 v15, off, off offset:280 ; 4-byte Folded Reload
	;; [unrolled: 3-line block ×3, first 2 shown]
	v_fmac_f32_e32 v110, v1, v109
	v_fmac_f32_e32 v106, v1, v105
	s_waitcnt vmcnt(36)
	v_add_f32_e32 v63, v63, v5
	s_waitcnt vmcnt(35)
	v_add_f32_e32 v67, v67, v9
	v_fmac_f32_e32 v130, v1, v129
	s_waitcnt vmcnt(34)
	s_delay_alu instid0(VALU_DEP_1)
	v_dual_fmac_f32 v130, v3, v131 :: v_dual_mul_f32 v17, v2, v148
	s_waitcnt vmcnt(33)
	v_add_f32_e32 v61, v61, v6
	s_waitcnt vmcnt(32)
	v_add_f32_e32 v65, v65, v8
	s_waitcnt vmcnt(31)
	v_dual_add_f32 v72, v72, v12 :: v_dual_fmac_f32 v17, v1, v147
	v_mul_f32_e32 v142, v2, v142
	s_waitcnt vmcnt(30)
	v_add_f32_e32 v55, v55, v62
	s_waitcnt vmcnt(29)
	v_dual_fmac_f32 v110, v3, v111 :: v_dual_add_f32 v21, v21, v54
	v_fmac_f32_e32 v17, v3, v149
	s_waitcnt vmcnt(26)
	v_add_f32_e32 v27, v27, v42
	v_dual_fmac_f32 v106, v3, v107 :: v_dual_add_f32 v25, v25, v46
	v_dual_fmac_f32 v110, v4, v112 :: v_dual_add_f32 v23, v23, v50
	v_fmac_f32_e32 v17, v4, v150
	scratch_load_b128 v[147:150], off, off offset:24 ; 16-byte Folded Reload
	v_fmac_f32_e32 v106, v4, v108
	v_dual_fmac_f32 v130, v4, v132 :: v_dual_add_f32 v79, v79, v146
	s_waitcnt vmcnt(26)
	v_add_f32_e32 v56, v56, v58
	s_waitcnt vmcnt(21)
	v_add_f32_e32 v41, v41, v110
	v_add_f32_e32 v49, v49, v130
	s_waitcnt vmcnt(19)
	v_add_f32_e32 v35, v35, v94
	s_waitcnt vmcnt(18)
	;; [unrolled: 2-line block ×5, first 2 shown]
	v_add_f32_e32 v31, v31, v74
	v_fmac_f32_e32 v114, v3, v115
	s_waitcnt vmcnt(14)
	v_add_f32_e32 v36, v36, v90
	s_delay_alu instid0(VALU_DEP_2)
	v_fmac_f32_e32 v114, v4, v116
	s_waitcnt vmcnt(12)
	v_add_f32_e32 v52, v52, v98
	s_waitcnt vmcnt(11)
	v_add_f32_e32 v32, v32, v70
	;; [unrolled: 2-line block ×3, first 2 shown]
	v_add_f32_e32 v40, v40, v114
	s_waitcnt vmcnt(9)
	v_add_f32_e32 v28, v28, v26
	scratch_load_b32 v26, off, off offset:292 ; 4-byte Folded Reload
	s_waitcnt vmcnt(8)
	v_add_f32_e32 v60, v60, v10
	s_waitcnt vmcnt(7)
	v_add_f32_e32 v64, v64, v7
	s_waitcnt vmcnt(4)
	v_dual_add_f32 v71, v71, v11 :: v_dual_add_f32 v14, v14, v38
	s_waitcnt vmcnt(3)
	v_add_f32_e32 v15, v15, v34
	v_add_f32_e32 v43, v43, v106
	s_waitcnt vmcnt(1)
	v_dual_add_f32 v16, v16, v30 :: v_dual_mul_f32 v19, v2, v148
	s_delay_alu instid0(VALU_DEP_1) | instskip(NEXT) | instid1(VALU_DEP_1)
	v_dual_mul_f32 v134, v2, v134 :: v_dual_fmac_f32 v19, v1, v147
	v_fmac_f32_e32 v134, v1, v133
	s_delay_alu instid0(VALU_DEP_2) | instskip(NEXT) | instid1(VALU_DEP_2)
	v_fmac_f32_e32 v19, v3, v149
	v_fmac_f32_e32 v134, v3, v135
	s_delay_alu instid0(VALU_DEP_2) | instskip(NEXT) | instid1(VALU_DEP_2)
	v_dual_fmac_f32 v142, v1, v141 :: v_dual_fmac_f32 v19, v4, v150
	v_fmac_f32_e32 v134, v4, v136
	scratch_load_b128 v[147:150], off, off offset:8 ; 16-byte Folded Reload
	v_mul_f32_e32 v122, v2, v122
	v_fmac_f32_e32 v142, v3, v143
	v_dual_add_f32 v29, v29, v19 :: v_dual_add_f32 v48, v48, v134
	s_delay_alu instid0(VALU_DEP_3) | instskip(NEXT) | instid1(VALU_DEP_3)
	v_fmac_f32_e32 v122, v1, v121
	v_fmac_f32_e32 v142, v4, v144
	s_delay_alu instid0(VALU_DEP_2) | instskip(NEXT) | instid1(VALU_DEP_2)
	v_fmac_f32_e32 v122, v3, v123
	v_add_f32_e32 v80, v80, v142
	s_delay_alu instid0(VALU_DEP_2) | instskip(NEXT) | instid1(VALU_DEP_1)
	v_fmac_f32_e32 v122, v4, v124
	v_dual_fmac_f32 v126, v1, v125 :: v_dual_add_f32 v51, v51, v122
	s_delay_alu instid0(VALU_DEP_1)
	v_fmac_f32_e32 v126, v3, v127
	s_waitcnt vmcnt(1)
	v_add_f32_e32 v26, v26, v22
	scratch_load_b32 v22, off, off offset:296 ; 4-byte Folded Reload
	s_waitcnt vmcnt(1)
	v_mul_f32_e32 v20, v2, v148
	s_delay_alu instid0(VALU_DEP_1) | instskip(NEXT) | instid1(VALU_DEP_1)
	v_fmac_f32_e32 v20, v1, v147
	v_fmac_f32_e32 v20, v3, v149
	s_delay_alu instid0(VALU_DEP_1)
	v_fmac_f32_e32 v20, v4, v150
	s_waitcnt vmcnt(0)
	v_add_f32_e32 v22, v22, v18
	scratch_load_b32 v18, off, off offset:300 ; 4-byte Folded Reload
	s_waitcnt vmcnt(0)
	v_add_f32_e32 v18, v18, v17
	scratch_load_b32 v17, off, off offset:304 ; 4-byte Folded Reload
	v_mul_f32_e32 v118, v2, v118
	v_mul_f32_e32 v2, v2, v138
	s_delay_alu instid0(VALU_DEP_1) | instskip(NEXT) | instid1(VALU_DEP_1)
	v_fmac_f32_e32 v2, v1, v137
	v_fmac_f32_e32 v2, v3, v139
	s_delay_alu instid0(VALU_DEP_1) | instskip(NEXT) | instid1(VALU_DEP_1)
	v_fmac_f32_e32 v2, v4, v140
	v_dual_fmac_f32 v102, v1, v101 :: v_dual_add_f32 v59, v59, v2
	s_delay_alu instid0(VALU_DEP_1) | instskip(NEXT) | instid1(VALU_DEP_1)
	v_fmac_f32_e32 v102, v3, v103
	v_fmac_f32_e32 v102, v4, v104
	s_waitcnt vmcnt(0)
	s_delay_alu instid0(VALU_DEP_1) | instskip(SKIP_1) | instid1(VALU_DEP_1)
	v_dual_add_f32 v44, v44, v102 :: v_dual_add_f32 v17, v17, v20
	v_fmac_f32_e32 v118, v1, v117
	v_fmac_f32_e32 v118, v3, v119
	s_delay_alu instid0(VALU_DEP_1) | instskip(NEXT) | instid1(VALU_DEP_1)
	v_fmac_f32_e32 v118, v4, v120
	v_dual_fmac_f32 v126, v4, v128 :: v_dual_add_f32 v45, v45, v118
	s_delay_alu instid0(VALU_DEP_1)
	v_add_f32_e32 v47, v47, v126
.LBB52_37:                              ;   in Loop: Header=BB52_38 Depth=1
	s_or_b32 exec_lo, exec_lo, s13
	scratch_load_b64 v[1:2], off, off       ; 8-byte Folded Reload
	v_add_co_u32 v190, s0, v190, 16
	s_delay_alu instid0(VALU_DEP_1) | instskip(SKIP_4) | instid1(VALU_DEP_1)
	v_add_co_ci_u32_e64 v191, s0, 0, v191, s0
	v_add_nc_u32_e32 v189, 0x80, v189
	v_add_nc_u32_e32 v0, 0x200, v0
	s_waitcnt vmcnt(0)
	v_mov_b32_e32 v2, v1
	v_add_nc_u32_e32 v2, 4, v2
	s_delay_alu instid0(VALU_DEP_1)
	v_cmp_le_i32_e32 vcc_lo, s8, v2
	v_mov_b32_e32 v1, v2
	s_or_b32 s3, vcc_lo, s3
	scratch_store_b64 off, v[1:2], off      ; 8-byte Folded Spill
	s_and_not1_b32 exec_lo, exec_lo, s3
	s_cbranch_execz .LBB52_135
.LBB52_38:                              ; =>This Inner Loop Header: Depth=1
	v_sub_nc_u32_e32 v1, 0, v189
	s_delay_alu instid0(VALU_DEP_1) | instskip(NEXT) | instid1(VALU_DEP_1)
	v_max_i32_e32 v1, v189, v1
	v_mul_hi_u32 v2, v1, s27
	s_delay_alu instid0(VALU_DEP_1) | instskip(NEXT) | instid1(VALU_DEP_1)
	v_mul_lo_u32 v3, v2, s21
	v_sub_nc_u32_e32 v1, v1, v3
	v_add_nc_u32_e32 v3, 1, v2
	s_delay_alu instid0(VALU_DEP_2) | instskip(SKIP_1) | instid1(VALU_DEP_2)
	v_subrev_nc_u32_e32 v4, s21, v1
	v_cmp_le_u32_e32 vcc_lo, s21, v1
	v_dual_cndmask_b32 v2, v2, v3 :: v_dual_cndmask_b32 v1, v1, v4
	v_ashrrev_i32_e32 v3, 31, v189
	s_delay_alu instid0(VALU_DEP_2) | instskip(NEXT) | instid1(VALU_DEP_3)
	v_add_nc_u32_e32 v4, 1, v2
	v_cmp_le_u32_e32 vcc_lo, s21, v1
	s_delay_alu instid0(VALU_DEP_3) | instskip(NEXT) | instid1(VALU_DEP_3)
	v_xor_b32_e32 v3, s11, v3
	v_cndmask_b32_e32 v1, v2, v4, vcc_lo
	scratch_load_b32 v4, off, off offset:56 ; 4-byte Folded Reload
	v_xor_b32_e32 v1, v1, v3
	s_delay_alu instid0(VALU_DEP_1) | instskip(NEXT) | instid1(VALU_DEP_1)
	v_sub_nc_u32_e32 v1, v1, v3
	v_add_nc_u32_e32 v2, s34, v1
	v_cmp_lt_i32_e64 s0, s2, v1
	s_delay_alu instid0(VALU_DEP_2) | instskip(NEXT) | instid1(VALU_DEP_1)
	v_sub_nc_u32_e32 v3, 0, v2
	v_max_i32_e32 v3, v2, v3
	s_waitcnt vmcnt(0)
	s_delay_alu instid0(VALU_DEP_1) | instskip(NEXT) | instid1(VALU_DEP_1)
	v_mul_hi_u32 v4, v3, v4
	v_mul_lo_u32 v4, v4, s10
	s_delay_alu instid0(VALU_DEP_1) | instskip(NEXT) | instid1(VALU_DEP_1)
	v_sub_nc_u32_e32 v3, v3, v4
	v_subrev_nc_u32_e32 v4, s10, v3
	v_cmp_le_u32_e32 vcc_lo, s10, v3
	s_delay_alu instid0(VALU_DEP_2) | instskip(SKIP_1) | instid1(VALU_DEP_2)
	v_cndmask_b32_e32 v3, v3, v4, vcc_lo
	v_ashrrev_i32_e32 v2, 31, v2
	v_subrev_nc_u32_e32 v4, s10, v3
	v_cmp_le_u32_e32 vcc_lo, s10, v3
	s_delay_alu instid0(VALU_DEP_2) | instskip(NEXT) | instid1(VALU_DEP_1)
	v_cndmask_b32_e32 v3, v3, v4, vcc_lo
	v_xor_b32_e32 v3, v3, v2
	s_delay_alu instid0(VALU_DEP_1) | instskip(NEXT) | instid1(VALU_DEP_1)
	v_sub_nc_u32_e32 v2, v3, v2
	v_cmp_eq_u32_e32 vcc_lo, 0, v2
	s_or_b32 s0, vcc_lo, s0
	s_delay_alu instid0(SALU_CYCLE_1)
	s_and_saveexec_b32 s13, s0
	s_cbranch_execz .LBB52_37
; %bb.39:                               ;   in Loop: Header=BB52_38 Depth=1
	s_clause 0x1f
	scratch_store_b32 off, v29, off offset:308
	scratch_store_b32 off, v17, off offset:304
	;; [unrolled: 1-line block ×32, first 2 shown]
	s_clause 0xf
	scratch_store_b32 off, v48, off offset:180
	scratch_store_b32 off, v80, off offset:176
	;; [unrolled: 1-line block ×16, first 2 shown]
	global_load_b32 v3, v[190:191], off
	scratch_load_b32 v7, off, off offset:312 ; 4-byte Folded Reload
	s_waitcnt vmcnt(1)
	v_mad_i64_i32 v[1:2], null, v3, s5, 0
	s_waitcnt vmcnt(0)
	v_add_nc_u32_e32 v14, v7, v189
	scratch_load_b64 v[7:8], off, off       ; 8-byte Folded Reload
	v_add_nc_u32_e32 v16, 1, v14
	v_lshlrev_b64 v[1:2], 2, v[1:2]
	v_add_nc_u32_e32 v15, 2, v14
	v_add_nc_u32_e32 v13, 3, v14
	s_delay_alu instid0(VALU_DEP_3) | instskip(SKIP_4) | instid1(VALU_DEP_2)
	v_add_co_u32 v137, vcc_lo, s6, v1
	scratch_load_b32 v1, off, off offset:316 ; 4-byte Folded Reload
	v_add_co_ci_u32_e32 v138, vcc_lo, s7, v2, vcc_lo
	s_waitcnt vmcnt(0)
	v_add_co_u32 v5, vcc_lo, v137, v1
	v_add_co_ci_u32_e32 v6, vcc_lo, 0, v138, vcc_lo
	v_cmp_eq_u32_e32 vcc_lo, s9, v7
	global_load_b128 v[1:4], v[5:6], off
	s_waitcnt vmcnt(0)
	scratch_store_b128 off, v[1:4], off offset:8 ; 16-byte Folded Spill
	ds_load_b128 v[1:4], v0
	s_and_saveexec_b32 s16, vcc_lo
	s_cbranch_execz .LBB52_41
; %bb.40:                               ;   in Loop: Header=BB52_38 Depth=1
	scratch_load_b128 v[7:10], off, off offset:8 ; 16-byte Folded Reload
	v_cmp_gt_i32_e64 s0, s33, v14
	s_waitcnt vmcnt(0)
	s_delay_alu instid0(VALU_DEP_1) | instskip(SKIP_1) | instid1(VALU_DEP_1)
	v_cndmask_b32_e64 v7, 0, v7, s0
	v_cmp_gt_i32_e64 s0, s33, v16
	v_cndmask_b32_e64 v8, 0, v8, s0
	v_cmp_gt_i32_e64 s0, s33, v15
	s_delay_alu instid0(VALU_DEP_1) | instskip(SKIP_1) | instid1(VALU_DEP_1)
	v_cndmask_b32_e64 v9, 0, v9, s0
	v_cmp_gt_i32_e64 s0, s33, v13
	v_cndmask_b32_e64 v10, 0, v10, s0
	scratch_store_b128 off, v[7:10], off offset:8 ; 16-byte Folded Spill
.LBB52_41:                              ;   in Loop: Header=BB52_38 Depth=1
	s_or_b32 exec_lo, exec_lo, s16
	global_load_b128 v[7:10], v[5:6], off offset:512
	s_waitcnt vmcnt(0)
	scratch_store_b128 off, v[7:10], off offset:24 ; 16-byte Folded Spill
	s_and_saveexec_b32 s16, vcc_lo
	s_cbranch_execz .LBB52_43
; %bb.42:                               ;   in Loop: Header=BB52_38 Depth=1
	scratch_load_b128 v[7:10], off, off offset:24 ; 16-byte Folded Reload
	v_cmp_gt_i32_e64 s0, s33, v14
	s_waitcnt vmcnt(0)
	s_delay_alu instid0(VALU_DEP_1) | instskip(SKIP_1) | instid1(VALU_DEP_1)
	v_cndmask_b32_e64 v7, 0, v7, s0
	v_cmp_gt_i32_e64 s0, s33, v16
	v_cndmask_b32_e64 v8, 0, v8, s0
	v_cmp_gt_i32_e64 s0, s33, v15
	s_delay_alu instid0(VALU_DEP_1) | instskip(SKIP_1) | instid1(VALU_DEP_1)
	v_cndmask_b32_e64 v9, 0, v9, s0
	v_cmp_gt_i32_e64 s0, s33, v13
	v_cndmask_b32_e64 v10, 0, v10, s0
	scratch_store_b128 off, v[7:10], off offset:24 ; 16-byte Folded Spill
.LBB52_43:                              ;   in Loop: Header=BB52_38 Depth=1
	s_or_b32 exec_lo, exec_lo, s16
	global_load_b128 v[7:10], v[5:6], off offset:1024
	s_waitcnt vmcnt(0)
	scratch_store_b128 off, v[7:10], off offset:40 ; 16-byte Folded Spill
	s_and_saveexec_b32 s16, vcc_lo
	s_cbranch_execnz .LBB52_130
; %bb.44:                               ;   in Loop: Header=BB52_38 Depth=1
	s_or_b32 exec_lo, exec_lo, s16
	global_load_b128 v[17:20], v[5:6], off offset:1536
	s_and_saveexec_b32 s16, vcc_lo
	s_cbranch_execnz .LBB52_131
.LBB52_45:                              ;   in Loop: Header=BB52_38 Depth=1
	s_or_b32 exec_lo, exec_lo, s16
	global_load_b128 v[21:24], v[5:6], off offset:2048
	s_and_saveexec_b32 s16, vcc_lo
	s_cbranch_execnz .LBB52_132
.LBB52_46:                              ;   in Loop: Header=BB52_38 Depth=1
	s_or_b32 exec_lo, exec_lo, s16
	global_load_b128 v[25:28], v[5:6], off offset:2560
	s_and_saveexec_b32 s16, vcc_lo
	s_cbranch_execnz .LBB52_133
.LBB52_47:                              ;   in Loop: Header=BB52_38 Depth=1
	s_or_b32 exec_lo, exec_lo, s16
	global_load_b128 v[29:32], v[5:6], off offset:3072
	s_and_saveexec_b32 s16, vcc_lo
	s_cbranch_execnz .LBB52_134
.LBB52_48:                              ;   in Loop: Header=BB52_38 Depth=1
	s_or_b32 exec_lo, exec_lo, s16
	global_load_b128 v[33:36], v[5:6], off offset:3584
	s_and_saveexec_b32 s16, vcc_lo
	s_cbranch_execz .LBB52_50
.LBB52_49:                              ;   in Loop: Header=BB52_38 Depth=1
	v_cmp_gt_i32_e64 s0, s33, v14
	s_waitcnt vmcnt(0)
	s_delay_alu instid0(VALU_DEP_1) | instskip(SKIP_1) | instid1(VALU_DEP_1)
	v_cndmask_b32_e64 v33, 0, v33, s0
	v_cmp_gt_i32_e64 s0, s33, v16
	v_cndmask_b32_e64 v34, 0, v34, s0
	v_cmp_gt_i32_e64 s0, s33, v15
	s_delay_alu instid0(VALU_DEP_1) | instskip(SKIP_1) | instid1(VALU_DEP_1)
	v_cndmask_b32_e64 v35, 0, v35, s0
	v_cmp_gt_i32_e64 s0, s33, v13
	v_cndmask_b32_e64 v36, 0, v36, s0
.LBB52_50:                              ;   in Loop: Header=BB52_38 Depth=1
	s_or_b32 exec_lo, exec_lo, s16
	scratch_load_b32 v5, off, off offset:320 ; 4-byte Folded Reload
	s_waitcnt vmcnt(0)
	v_add_co_u32 v5, s0, v137, v5
	s_delay_alu instid0(VALU_DEP_1)
	v_add_co_ci_u32_e64 v6, s0, 0, v138, s0
	global_load_b128 v[37:40], v[5:6], off
	s_and_saveexec_b32 s16, vcc_lo
	s_cbranch_execz .LBB52_52
; %bb.51:                               ;   in Loop: Header=BB52_38 Depth=1
	v_cmp_gt_i32_e64 s0, s33, v14
	s_waitcnt vmcnt(0)
	s_delay_alu instid0(VALU_DEP_1) | instskip(SKIP_1) | instid1(VALU_DEP_1)
	v_cndmask_b32_e64 v37, 0, v37, s0
	v_cmp_gt_i32_e64 s0, s33, v16
	v_cndmask_b32_e64 v38, 0, v38, s0
	v_cmp_gt_i32_e64 s0, s33, v15
	s_delay_alu instid0(VALU_DEP_1) | instskip(SKIP_1) | instid1(VALU_DEP_1)
	v_cndmask_b32_e64 v39, 0, v39, s0
	v_cmp_gt_i32_e64 s0, s33, v13
	v_cndmask_b32_e64 v40, 0, v40, s0
.LBB52_52:                              ;   in Loop: Header=BB52_38 Depth=1
	s_or_b32 exec_lo, exec_lo, s16
	scratch_load_b32 v5, off, off offset:324 ; 4-byte Folded Reload
	s_waitcnt vmcnt(0)
	v_add_co_u32 v5, s0, v137, v5
	s_delay_alu instid0(VALU_DEP_1)
	v_add_co_ci_u32_e64 v6, s0, 0, v138, s0
	global_load_b128 v[41:44], v[5:6], off
	s_and_saveexec_b32 s16, vcc_lo
	s_cbranch_execz .LBB52_54
; %bb.53:                               ;   in Loop: Header=BB52_38 Depth=1
	v_cmp_gt_i32_e64 s0, s33, v14
	s_waitcnt vmcnt(0)
	s_delay_alu instid0(VALU_DEP_1) | instskip(SKIP_1) | instid1(VALU_DEP_1)
	v_cndmask_b32_e64 v41, 0, v41, s0
	v_cmp_gt_i32_e64 s0, s33, v16
	v_cndmask_b32_e64 v42, 0, v42, s0
	v_cmp_gt_i32_e64 s0, s33, v15
	s_delay_alu instid0(VALU_DEP_1) | instskip(SKIP_1) | instid1(VALU_DEP_1)
	v_cndmask_b32_e64 v43, 0, v43, s0
	v_cmp_gt_i32_e64 s0, s33, v13
	v_cndmask_b32_e64 v44, 0, v44, s0
.LBB52_54:                              ;   in Loop: Header=BB52_38 Depth=1
	;; [unrolled: 22-line block ×24, first 2 shown]
	s_or_b32 exec_lo, exec_lo, s16
	scratch_load_b32 v5, off, off offset:416 ; 4-byte Folded Reload
	s_waitcnt vmcnt(0)
	v_add_co_u32 v5, s0, v137, v5
	s_delay_alu instid0(VALU_DEP_1)
	v_add_co_ci_u32_e64 v6, s0, 0, v138, s0
	global_load_b128 v[133:136], v[5:6], off
	s_and_saveexec_b32 s16, vcc_lo
	s_cbranch_execz .LBB52_100
; %bb.99:                               ;   in Loop: Header=BB52_38 Depth=1
	v_cmp_gt_i32_e64 s0, s33, v14
	s_waitcnt vmcnt(0)
	s_delay_alu instid0(VALU_DEP_1) | instskip(SKIP_1) | instid1(VALU_DEP_1)
	v_cndmask_b32_e64 v133, 0, v133, s0
	v_cmp_gt_i32_e64 s0, s33, v16
	v_cndmask_b32_e64 v134, 0, v134, s0
	v_cmp_gt_i32_e64 s0, s33, v15
	s_delay_alu instid0(VALU_DEP_1) | instskip(SKIP_1) | instid1(VALU_DEP_1)
	v_cndmask_b32_e64 v135, 0, v135, s0
	v_cmp_gt_i32_e64 s0, s33, v13
	v_cndmask_b32_e64 v136, 0, v136, s0
.LBB52_100:                             ;   in Loop: Header=BB52_38 Depth=1
	s_or_b32 exec_lo, exec_lo, s16
	scratch_load_b32 v5, off, off offset:420 ; 4-byte Folded Reload
	s_waitcnt vmcnt(0)
	v_add_co_u32 v5, s0, v137, v5
	s_delay_alu instid0(VALU_DEP_1)
	v_add_co_ci_u32_e64 v6, s0, 0, v138, s0
	global_load_b128 v[141:144], v[5:6], off
	s_and_saveexec_b32 s16, vcc_lo
	s_cbranch_execz .LBB52_102
; %bb.101:                              ;   in Loop: Header=BB52_38 Depth=1
	v_cmp_gt_i32_e64 s0, s33, v14
	s_waitcnt vmcnt(0)
	s_delay_alu instid0(VALU_DEP_1) | instskip(SKIP_1) | instid1(VALU_DEP_1)
	v_cndmask_b32_e64 v141, 0, v141, s0
	v_cmp_gt_i32_e64 s0, s33, v16
	v_cndmask_b32_e64 v142, 0, v142, s0
	v_cmp_gt_i32_e64 s0, s33, v15
	s_delay_alu instid0(VALU_DEP_1) | instskip(SKIP_1) | instid1(VALU_DEP_1)
	v_cndmask_b32_e64 v143, 0, v143, s0
	v_cmp_gt_i32_e64 s0, s33, v13
	v_cndmask_b32_e64 v144, 0, v144, s0
.LBB52_102:                             ;   in Loop: Header=BB52_38 Depth=1
	s_or_b32 exec_lo, exec_lo, s16
	scratch_load_b32 v5, off, off offset:424 ; 4-byte Folded Reload
	s_waitcnt vmcnt(0)
	v_add_co_u32 v5, s0, v137, v5
	s_delay_alu instid0(VALU_DEP_1)
	v_add_co_ci_u32_e64 v6, s0, 0, v138, s0
	global_load_b128 v[145:148], v[5:6], off
	s_and_saveexec_b32 s16, vcc_lo
	s_cbranch_execz .LBB52_104
; %bb.103:                              ;   in Loop: Header=BB52_38 Depth=1
	v_cmp_gt_i32_e64 s0, s33, v14
	s_waitcnt vmcnt(0)
	s_delay_alu instid0(VALU_DEP_1) | instskip(SKIP_1) | instid1(VALU_DEP_1)
	v_cndmask_b32_e64 v145, 0, v145, s0
	v_cmp_gt_i32_e64 s0, s33, v16
	v_cndmask_b32_e64 v146, 0, v146, s0
	v_cmp_gt_i32_e64 s0, s33, v15
	s_delay_alu instid0(VALU_DEP_1) | instskip(SKIP_1) | instid1(VALU_DEP_1)
	v_cndmask_b32_e64 v147, 0, v147, s0
	v_cmp_gt_i32_e64 s0, s33, v13
	v_cndmask_b32_e64 v148, 0, v148, s0
.LBB52_104:                             ;   in Loop: Header=BB52_38 Depth=1
	;; [unrolled: 22-line block ×14, first 2 shown]
	s_or_b32 exec_lo, exec_lo, s16
	scratch_load_b32 v139, off, off offset:476 ; 4-byte Folded Reload
	s_waitcnt vmcnt(0)
	v_add_co_u32 v137, s0, v137, v139
	s_delay_alu instid0(VALU_DEP_1)
	v_add_co_ci_u32_e64 v138, s0, 0, v138, s0
	global_load_b128 v[137:140], v[137:138], off
	s_and_saveexec_b32 s0, vcc_lo
	s_cbranch_execz .LBB52_36
; %bb.129:                              ;   in Loop: Header=BB52_38 Depth=1
	v_cmp_gt_i32_e32 vcc_lo, s33, v14
	s_waitcnt vmcnt(0)
	v_cndmask_b32_e32 v137, 0, v137, vcc_lo
	v_cmp_gt_i32_e32 vcc_lo, s33, v16
	v_cndmask_b32_e32 v138, 0, v138, vcc_lo
	v_cmp_gt_i32_e32 vcc_lo, s33, v15
	;; [unrolled: 2-line block ×3, first 2 shown]
	v_cndmask_b32_e32 v140, 0, v140, vcc_lo
	s_branch .LBB52_36
.LBB52_130:                             ;   in Loop: Header=BB52_38 Depth=1
	scratch_load_b128 v[7:10], off, off offset:40 ; 16-byte Folded Reload
	v_cmp_gt_i32_e64 s0, s33, v14
	s_waitcnt vmcnt(0)
	s_delay_alu instid0(VALU_DEP_1) | instskip(SKIP_1) | instid1(VALU_DEP_1)
	v_cndmask_b32_e64 v7, 0, v7, s0
	v_cmp_gt_i32_e64 s0, s33, v16
	v_cndmask_b32_e64 v8, 0, v8, s0
	v_cmp_gt_i32_e64 s0, s33, v15
	s_delay_alu instid0(VALU_DEP_1) | instskip(SKIP_1) | instid1(VALU_DEP_1)
	v_cndmask_b32_e64 v9, 0, v9, s0
	v_cmp_gt_i32_e64 s0, s33, v13
	v_cndmask_b32_e64 v10, 0, v10, s0
	scratch_store_b128 off, v[7:10], off offset:40 ; 16-byte Folded Spill
	s_or_b32 exec_lo, exec_lo, s16
	global_load_b128 v[17:20], v[5:6], off offset:1536
	s_and_saveexec_b32 s16, vcc_lo
	s_cbranch_execz .LBB52_45
.LBB52_131:                             ;   in Loop: Header=BB52_38 Depth=1
	v_cmp_gt_i32_e64 s0, s33, v14
	s_waitcnt vmcnt(0)
	s_delay_alu instid0(VALU_DEP_1) | instskip(SKIP_1) | instid1(VALU_DEP_1)
	v_cndmask_b32_e64 v17, 0, v17, s0
	v_cmp_gt_i32_e64 s0, s33, v16
	v_cndmask_b32_e64 v18, 0, v18, s0
	v_cmp_gt_i32_e64 s0, s33, v15
	s_delay_alu instid0(VALU_DEP_1) | instskip(SKIP_1) | instid1(VALU_DEP_1)
	v_cndmask_b32_e64 v19, 0, v19, s0
	v_cmp_gt_i32_e64 s0, s33, v13
	v_cndmask_b32_e64 v20, 0, v20, s0
	s_or_b32 exec_lo, exec_lo, s16
	global_load_b128 v[21:24], v[5:6], off offset:2048
	s_and_saveexec_b32 s16, vcc_lo
	s_cbranch_execz .LBB52_46
.LBB52_132:                             ;   in Loop: Header=BB52_38 Depth=1
	v_cmp_gt_i32_e64 s0, s33, v14
	s_waitcnt vmcnt(0)
	s_delay_alu instid0(VALU_DEP_1) | instskip(SKIP_1) | instid1(VALU_DEP_1)
	v_cndmask_b32_e64 v21, 0, v21, s0
	v_cmp_gt_i32_e64 s0, s33, v16
	v_cndmask_b32_e64 v22, 0, v22, s0
	v_cmp_gt_i32_e64 s0, s33, v15
	s_delay_alu instid0(VALU_DEP_1) | instskip(SKIP_1) | instid1(VALU_DEP_1)
	v_cndmask_b32_e64 v23, 0, v23, s0
	v_cmp_gt_i32_e64 s0, s33, v13
	v_cndmask_b32_e64 v24, 0, v24, s0
	s_or_b32 exec_lo, exec_lo, s16
	global_load_b128 v[25:28], v[5:6], off offset:2560
	s_and_saveexec_b32 s16, vcc_lo
	s_cbranch_execz .LBB52_47
.LBB52_133:                             ;   in Loop: Header=BB52_38 Depth=1
	v_cmp_gt_i32_e64 s0, s33, v14
	s_waitcnt vmcnt(0)
	s_delay_alu instid0(VALU_DEP_1) | instskip(SKIP_1) | instid1(VALU_DEP_1)
	v_cndmask_b32_e64 v25, 0, v25, s0
	v_cmp_gt_i32_e64 s0, s33, v16
	v_cndmask_b32_e64 v26, 0, v26, s0
	v_cmp_gt_i32_e64 s0, s33, v15
	s_delay_alu instid0(VALU_DEP_1) | instskip(SKIP_1) | instid1(VALU_DEP_1)
	v_cndmask_b32_e64 v27, 0, v27, s0
	v_cmp_gt_i32_e64 s0, s33, v13
	v_cndmask_b32_e64 v28, 0, v28, s0
	s_or_b32 exec_lo, exec_lo, s16
	global_load_b128 v[29:32], v[5:6], off offset:3072
	s_and_saveexec_b32 s16, vcc_lo
	s_cbranch_execz .LBB52_48
.LBB52_134:                             ;   in Loop: Header=BB52_38 Depth=1
	v_cmp_gt_i32_e64 s0, s33, v14
	s_waitcnt vmcnt(0)
	s_delay_alu instid0(VALU_DEP_1) | instskip(SKIP_1) | instid1(VALU_DEP_1)
	v_cndmask_b32_e64 v29, 0, v29, s0
	v_cmp_gt_i32_e64 s0, s33, v16
	v_cndmask_b32_e64 v30, 0, v30, s0
	v_cmp_gt_i32_e64 s0, s33, v15
	s_delay_alu instid0(VALU_DEP_1) | instskip(SKIP_1) | instid1(VALU_DEP_1)
	v_cndmask_b32_e64 v31, 0, v31, s0
	v_cmp_gt_i32_e64 s0, s33, v13
	v_cndmask_b32_e64 v32, 0, v32, s0
	s_or_b32 exec_lo, exec_lo, s16
	global_load_b128 v[33:36], v[5:6], off offset:3584
	s_and_saveexec_b32 s16, vcc_lo
	s_cbranch_execnz .LBB52_49
	s_branch .LBB52_50
.LBB52_135:
	s_or_b32 exec_lo, exec_lo, s3
	s_clause 0x5
	scratch_load_b32 v68, off, off offset:488
	scratch_load_b32 v191, off, off offset:480
	;; [unrolled: 1-line block ×6, first 2 shown]
.LBB52_136:
	s_or_b32 exec_lo, exec_lo, s1
	s_waitcnt vmcnt(1)
	ds_bpermute_b32 v0, v58, v17
	ds_bpermute_b32 v1, v58, v29
	;; [unrolled: 1-line block ×16, first 2 shown]
	s_movk_i32 s0, 0x300
	s_waitcnt vmcnt(0)
	v_cmp_eq_u32_e32 vcc_lo, 0, v70
	s_mov_b32 s1, exec_lo
	s_waitcnt lgkmcnt(15)
	v_add_f32_e32 v0, v17, v0
	s_waitcnt lgkmcnt(14)
	v_add_f32_e32 v1, v29, v1
	;; [unrolled: 2-line block ×4, first 2 shown]
	s_waitcnt lgkmcnt(10)
	v_dual_add_f32 v6, v16, v6 :: v_dual_add_f32 v7, v15, v7
	s_waitcnt lgkmcnt(9)
	v_add_f32_e32 v8, v14, v8
	ds_bpermute_b32 v14, v62, v0
	ds_bpermute_b32 v15, v62, v1
	;; [unrolled: 1-line block ×4, first 2 shown]
	s_waitcnt lgkmcnt(11)
	v_dual_add_f32 v4, v26, v4 :: v_dual_add_f32 v5, v28, v5
	s_waitcnt lgkmcnt(9)
	v_dual_add_f32 v10, v25, v10 :: v_dual_add_f32 v11, v23, v11
	;; [unrolled: 2-line block ×3, first 2 shown]
	ds_bpermute_b32 v19, v62, v5
	ds_bpermute_b32 v18, v62, v4
	;; [unrolled: 1-line block ×10, first 2 shown]
	s_waitcnt lgkmcnt(12)
	v_dual_add_f32 v0, v0, v14 :: v_dual_add_f32 v1, v1, v15
	s_waitcnt lgkmcnt(11)
	v_add_f32_e32 v3, v3, v17
	ds_bpermute_b32 v26, v62, v12
	s_waitcnt lgkmcnt(11)
	v_add_f32_e32 v2, v2, v16
	ds_bpermute_b32 v15, v69, v0
	ds_bpermute_b32 v16, v69, v1
	;; [unrolled: 1-line block ×4, first 2 shown]
	v_add_f32_e32 v13, v56, v13
	s_waitcnt lgkmcnt(14)
	v_add_f32_e32 v5, v5, v19
	ds_bpermute_b32 v17, v69, v2
	s_waitcnt lgkmcnt(14)
	v_add_f32_e32 v4, v4, v18
	s_waitcnt lgkmcnt(11)
	v_dual_add_f32 v8, v8, v22 :: v_dual_add_f32 v11, v11, v25
	v_add_f32_e32 v10, v10, v24
	s_waitcnt lgkmcnt(9)
	v_dual_add_f32 v6, v6, v20 :: v_dual_add_f32 v7, v7, v21
	ds_bpermute_b32 v18, v69, v3
	ds_bpermute_b32 v19, v69, v4
	;; [unrolled: 1-line block ×5, first 2 shown]
	s_waitcnt lgkmcnt(10)
	v_add_f32_e32 v12, v12, v26
	v_add_f32_e32 v26, v53, v28
	s_waitcnt lgkmcnt(8)
	v_dual_add_f32 v0, v0, v15 :: v_dual_add_f32 v1, v1, v16
	ds_bpermute_b32 v15, v69, v11
	ds_bpermute_b32 v16, v69, v12
	s_waitcnt lgkmcnt(9)
	v_add_f32_e32 v9, v9, v23
	ds_bpermute_b32 v21, v69, v6
	s_waitcnt lgkmcnt(8)
	v_dual_add_f32 v2, v2, v17 :: v_dual_add_f32 v17, v55, v27
	v_add_f32_e32 v27, v32, v29
	ds_bpermute_b32 v23, v69, v8
	v_add_f32_e32 v14, v31, v14
	ds_bpermute_b32 v28, v62, v13
	ds_bpermute_b32 v30, v62, v26
	;; [unrolled: 1-line block ×4, first 2 shown]
	s_waitcnt lgkmcnt(10)
	v_add_f32_e32 v5, v5, v20
	ds_bpermute_b32 v32, v62, v14
	s_waitcnt lgkmcnt(9)
	v_dual_add_f32 v4, v4, v19 :: v_dual_add_f32 v7, v7, v22
	v_add_f32_e32 v10, v10, v25
	ds_bpermute_b32 v19, v58, v36
	ds_bpermute_b32 v24, v69, v9
	s_waitcnt lgkmcnt(9)
	v_dual_add_f32 v11, v11, v15 :: v_dual_add_f32 v12, v12, v16
	ds_bpermute_b32 v15, v58, v33
	ds_bpermute_b32 v16, v58, v39
	v_add_f32_e32 v3, v3, v18
	ds_bpermute_b32 v18, v58, v37
	ds_bpermute_b32 v20, v58, v35
	s_waitcnt lgkmcnt(12)
	v_add_f32_e32 v6, v6, v21
	s_waitcnt lgkmcnt(10)
	v_dual_add_f32 v8, v8, v23 :: v_dual_add_f32 v13, v13, v28
	s_waitcnt lgkmcnt(8)
	v_dual_add_f32 v21, v26, v30 :: v_dual_add_f32 v22, v27, v31
	s_waitcnt lgkmcnt(7)
	v_add_f32_e32 v17, v17, v29
	ds_bpermute_b32 v29, v58, v44
	s_waitcnt lgkmcnt(7)
	v_add_f32_e32 v23, v14, v32
	ds_bpermute_b32 v14, v69, v13
	ds_bpermute_b32 v25, v69, v21
	;; [unrolled: 1-line block ×4, first 2 shown]
	s_waitcnt lgkmcnt(10)
	v_add_f32_e32 v19, v36, v19
	s_waitcnt lgkmcnt(9)
	v_add_f32_e32 v9, v9, v24
	ds_bpermute_b32 v24, v69, v17
	s_waitcnt lgkmcnt(8)
	v_dual_add_f32 v33, v33, v15 :: v_dual_add_f32 v34, v39, v16
	ds_bpermute_b32 v28, v58, v52
	ds_bpermute_b32 v30, v58, v43
	ds_bpermute_b32 v31, v58, v41
	s_waitcnt lgkmcnt(10)
	v_add_f32_e32 v18, v37, v18
	ds_bpermute_b32 v27, v69, v23
	s_waitcnt lgkmcnt(10)
	v_add_f32_e32 v20, v35, v20
	ds_bpermute_b32 v36, v62, v34
	ds_bpermute_b32 v38, v62, v19
	ds_bpermute_b32 v35, v62, v33
	ds_bpermute_b32 v37, v62, v18
	ds_bpermute_b32 v39, v62, v20
	s_waitcnt lgkmcnt(13)
	v_add_f32_e32 v13, v13, v14
	s_waitcnt lgkmcnt(11)
	v_dual_add_f32 v15, v21, v25 :: v_dual_add_f32 v16, v22, v26
	v_add_f32_e32 v22, v44, v29
	s_waitcnt lgkmcnt(10)
	v_add_f32_e32 v25, v40, v32
	ds_bpermute_b32 v53, v58, v80
	s_waitcnt lgkmcnt(10)
	v_add_f32_e32 v14, v17, v24
	ds_bpermute_b32 v55, v58, v77
	ds_bpermute_b32 v56, v58, v76
	s_waitcnt lgkmcnt(9)
	v_dual_add_f32 v21, v52, v28 :: v_dual_add_f32 v24, v41, v31
	s_waitcnt lgkmcnt(8)
	v_add_f32_e32 v17, v23, v27
	s_waitcnt lgkmcnt(7)
	v_dual_add_f32 v23, v43, v30 :: v_dual_add_f32 v32, v34, v36
	ds_bpermute_b32 v27, v62, v22
	s_waitcnt lgkmcnt(7)
	v_add_f32_e32 v34, v19, v38
	ds_bpermute_b32 v30, v62, v25
	ds_bpermute_b32 v29, v62, v24
	;; [unrolled: 1-line block ×4, first 2 shown]
	s_waitcnt lgkmcnt(10)
	v_add_f32_e32 v31, v33, v35
	s_waitcnt lgkmcnt(8)
	v_add_f32_e32 v35, v20, v39
	ds_bpermute_b32 v26, v62, v21
	v_add_f32_e32 v33, v18, v37
	ds_bpermute_b32 v18, v58, v45
	ds_bpermute_b32 v19, v58, v51
	;; [unrolled: 1-line block ×6, first 2 shown]
	s_waitcnt lgkmcnt(10)
	v_dual_add_f32 v27, v22, v27 :: v_dual_add_f32 v30, v25, v30
	s_waitcnt lgkmcnt(8)
	v_dual_add_f32 v29, v24, v29 :: v_dual_add_f32 v36, v49, v36
	ds_bpermute_b32 v24, v69, v27
	ds_bpermute_b32 v42, v69, v35
	;; [unrolled: 1-line block ×3, first 2 shown]
	s_waitcnt lgkmcnt(9)
	v_add_f32_e32 v26, v21, v26
	ds_bpermute_b32 v40, v69, v33
	s_waitcnt lgkmcnt(9)
	v_dual_add_f32 v45, v45, v18 :: v_dual_add_f32 v28, v23, v28
	s_waitcnt lgkmcnt(7)
	v_add_f32_e32 v21, v34, v41
	ds_bpermute_b32 v38, v69, v31
	ds_bpermute_b32 v23, v69, v26
	v_add_f32_e32 v34, v79, v54
	v_add_f32_e32 v46, v51, v19
	ds_bpermute_b32 v43, v69, v29
	s_waitcnt lgkmcnt(9)
	v_add_f32_e32 v19, v32, v39
	ds_bpermute_b32 v25, v69, v28
	ds_bpermute_b32 v39, v62, v34
	s_waitcnt lgkmcnt(10)
	v_add_f32_e32 v47, v47, v20
	s_waitcnt lgkmcnt(9)
	v_add_f32_e32 v37, v48, v37
	ds_bpermute_b32 v51, v62, v36
	ds_bpermute_b32 v49, v62, v46
	s_waitcnt lgkmcnt(10)
	v_add_f32_e32 v24, v27, v24
	ds_bpermute_b32 v48, v62, v45
	s_waitcnt lgkmcnt(9)
	v_dual_add_f32 v27, v30, v44 :: v_dual_add_f32 v22, v35, v42
	s_waitcnt lgkmcnt(8)
	v_dual_add_f32 v20, v33, v40 :: v_dual_add_f32 v33, v80, v53
	v_add_f32_e32 v35, v77, v55
	ds_bpermute_b32 v44, v58, v72
	s_waitcnt lgkmcnt(8)
	v_add_f32_e32 v18, v31, v38
	ds_bpermute_b32 v52, v62, v37
	s_waitcnt lgkmcnt(8)
	;; [unrolled: 3-line block ×3, first 2 shown]
	v_add_f32_e32 v26, v29, v43
	ds_bpermute_b32 v43, v58, v73
	ds_bpermute_b32 v50, v62, v47
	s_waitcnt lgkmcnt(8)
	v_add_f32_e32 v34, v34, v39
	ds_bpermute_b32 v38, v62, v33
	v_add_f32_e32 v25, v28, v25
	ds_bpermute_b32 v53, v58, v64
	s_waitcnt lgkmcnt(8)
	v_add_f32_e32 v29, v46, v49
	ds_bpermute_b32 v46, v58, v67
	s_waitcnt lgkmcnt(8)
	v_add_f32_e32 v28, v45, v48
	ds_bpermute_b32 v45, v58, v71
	v_add_f32_e32 v31, v36, v51
	v_add_f32_e32 v36, v76, v56
	ds_bpermute_b32 v40, v62, v35
	ds_bpermute_b32 v48, v69, v28
	;; [unrolled: 1-line block ×4, first 2 shown]
	s_waitcnt lgkmcnt(11)
	v_dual_add_f32 v32, v37, v52 :: v_dual_add_f32 v37, v75, v57
	ds_bpermute_b32 v41, v62, v36
	ds_bpermute_b32 v57, v58, v59
	s_waitcnt lgkmcnt(12)
	v_dual_add_f32 v39, v72, v44 :: v_dual_add_f32 v54, v63, v54
	s_waitcnt lgkmcnt(10)
	v_add_f32_e32 v30, v47, v50
	s_waitcnt lgkmcnt(9)
	v_add_f32_e32 v33, v33, v38
	v_add_f32_e32 v38, v73, v43
	ds_bpermute_b32 v42, v62, v37
	ds_bpermute_b32 v47, v58, v65
	;; [unrolled: 1-line block ×7, first 2 shown]
	s_waitcnt lgkmcnt(12)
	v_add_f32_e32 v35, v35, v40
	v_add_f32_e32 v40, v71, v45
	ds_bpermute_b32 v51, v69, v31
	s_waitcnt lgkmcnt(10)
	v_add_f32_e32 v56, v60, v56
	v_add_f32_e32 v28, v28, v48
	scratch_load_b32 v48, off, off offset:484 ; 4-byte Folded Reload
	s_waitcnt lgkmcnt(9)
	v_dual_add_f32 v36, v36, v41 :: v_dual_add_f32 v41, v67, v46
	ds_bpermute_b32 v45, v62, v40
	s_waitcnt lgkmcnt(9)
	v_add_f32_e32 v57, v59, v57
	ds_bpermute_b32 v59, v62, v54
	v_add_f32_e32 v55, v61, v55
	ds_bpermute_b32 v61, v62, v56
	s_waitcnt lgkmcnt(10)
	v_add_f32_e32 v37, v37, v42
	s_waitcnt lgkmcnt(8)
	v_dual_add_f32 v42, v65, v47 :: v_dual_add_f32 v39, v39, v44
	ds_bpermute_b32 v63, v69, v33
	s_waitcnt lgkmcnt(7)
	v_add_f32_e32 v38, v38, v43
	ds_bpermute_b32 v46, v62, v41
	ds_bpermute_b32 v47, v62, v42
	v_add_f32_e32 v53, v64, v53
	ds_bpermute_b32 v64, v69, v34
	ds_bpermute_b32 v65, v69, v35
	;; [unrolled: 1-line block ×5, first 2 shown]
	s_waitcnt lgkmcnt(12)
	v_dual_add_f32 v30, v30, v50 :: v_dual_add_f32 v29, v29, v49
	s_waitcnt lgkmcnt(10)
	v_add_f32_e32 v40, v40, v45
	ds_bpermute_b32 v60, v62, v55
	s_waitcnt lgkmcnt(10)
	v_add_f32_e32 v54, v54, v59
	v_and_b32_e32 v50, 0x3c0, v68
	s_waitcnt lgkmcnt(9)
	v_add_f32_e32 v56, v56, v61
	ds_bpermute_b32 v44, v69, v39
	ds_bpermute_b32 v45, v69, v40
	;; [unrolled: 1-line block ×3, first 2 shown]
	v_add_f32_e32 v31, v31, v51
	v_mad_u32_u24 v49, v191, s0, 0x320
	s_waitcnt lgkmcnt(9)
	v_dual_add_f32 v41, v41, v46 :: v_dual_add_f32 v42, v42, v47
	ds_bpermute_b32 v58, v62, v53
	ds_bpermute_b32 v62, v62, v57
	;; [unrolled: 1-line block ×5, first 2 shown]
	v_add_f32_e32 v33, v33, v63
	s_waitcnt lgkmcnt(9)
	v_dual_add_f32 v35, v35, v65 :: v_dual_add_f32 v38, v38, v43
	s_waitcnt lgkmcnt(8)
	v_dual_add_f32 v36, v36, v66 :: v_dual_add_f32 v55, v55, v60
	v_add_f32_e32 v37, v37, v67
	s_waitcnt vmcnt(0) lgkmcnt(0)
	s_waitcnt_vscnt null, 0x0
	s_barrier
	buffer_gl0_inv
	ds_bpermute_b32 v60, v69, v55
	v_add_f32_e32 v32, v32, v52
	v_add_f32_e32 v34, v34, v64
	v_dual_add_f32 v39, v39, v44 :: v_dual_add_f32 v40, v40, v45
	v_dual_add_f32 v44, v54, v59 :: v_dual_add_f32 v53, v53, v58
	v_add_f32_e32 v57, v57, v62
	v_dual_add_f32 v41, v41, v46 :: v_dual_add_f32 v42, v42, v47
	ds_bpermute_b32 v58, v69, v53
	ds_bpermute_b32 v62, v69, v57
	s_waitcnt lgkmcnt(2)
	v_dual_add_f32 v46, v56, v61 :: v_dual_add_f32 v45, v55, v60
	s_waitcnt lgkmcnt(1)
	v_add_f32_e32 v43, v53, v58
	s_waitcnt lgkmcnt(0)
	v_add_f32_e32 v47, v57, v62
	v_lshrrev_b32_e32 v48, 3, v48
	v_cmpx_eq_u32_e32 64, v50
	s_cbranch_execz .LBB52_139
; %bb.137:
	s_and_b32 exec_lo, exec_lo, vcc_lo
	s_cbranch_execz .LBB52_139
; %bb.138:
	v_lshlrev_b32_e32 v50, 2, v48
	s_delay_alu instid0(VALU_DEP_1)
	v_add3_u32 v50, v49, v50, 0xfffffa00
	ds_store_2addr_b32 v50, v0, v1 offset1:4
	ds_store_2addr_b32 v50, v2, v3 offset0:8 offset1:12
	ds_store_2addr_b32 v50, v4, v5 offset0:16 offset1:20
	;; [unrolled: 1-line block ×23, first 2 shown]
.LBB52_139:
	s_or_b32 exec_lo, exec_lo, s1
	s_delay_alu instid0(SALU_CYCLE_1)
	s_mov_b32 s1, exec_lo
	s_waitcnt lgkmcnt(0)
	s_barrier
	buffer_gl0_inv
	v_cmpx_gt_u32_e32 64, v68
	s_cbranch_execz .LBB52_190
; %bb.140:
	s_and_saveexec_b32 s0, vcc_lo
	s_cbranch_execnz .LBB52_248
; %bb.141:
	s_or_b32 exec_lo, exec_lo, s0
	s_and_saveexec_b32 s0, vcc_lo
	s_cbranch_execnz .LBB52_249
.LBB52_142:
	s_or_b32 exec_lo, exec_lo, s0
	s_and_saveexec_b32 s0, vcc_lo
	s_cbranch_execnz .LBB52_250
.LBB52_143:
	s_or_b32 exec_lo, exec_lo, s0
	s_and_saveexec_b32 s0, vcc_lo
	s_cbranch_execnz .LBB52_251
.LBB52_144:
	s_or_b32 exec_lo, exec_lo, s0
	s_and_saveexec_b32 s0, vcc_lo
	s_cbranch_execnz .LBB52_252
.LBB52_145:
	s_or_b32 exec_lo, exec_lo, s0
	s_and_saveexec_b32 s0, vcc_lo
	s_cbranch_execnz .LBB52_253
.LBB52_146:
	s_or_b32 exec_lo, exec_lo, s0
	s_and_saveexec_b32 s0, vcc_lo
	s_cbranch_execnz .LBB52_254
.LBB52_147:
	s_or_b32 exec_lo, exec_lo, s0
	s_and_saveexec_b32 s0, vcc_lo
	s_cbranch_execnz .LBB52_255
.LBB52_148:
	s_or_b32 exec_lo, exec_lo, s0
	s_and_saveexec_b32 s0, vcc_lo
	s_cbranch_execnz .LBB52_256
.LBB52_149:
	s_or_b32 exec_lo, exec_lo, s0
	s_and_saveexec_b32 s0, vcc_lo
	s_cbranch_execnz .LBB52_257
.LBB52_150:
	s_or_b32 exec_lo, exec_lo, s0
	s_and_saveexec_b32 s0, vcc_lo
	s_cbranch_execnz .LBB52_258
.LBB52_151:
	s_or_b32 exec_lo, exec_lo, s0
	s_and_saveexec_b32 s0, vcc_lo
	s_cbranch_execnz .LBB52_259
.LBB52_152:
	s_or_b32 exec_lo, exec_lo, s0
	s_and_saveexec_b32 s0, vcc_lo
	s_cbranch_execnz .LBB52_260
.LBB52_153:
	s_or_b32 exec_lo, exec_lo, s0
	s_and_saveexec_b32 s0, vcc_lo
	s_cbranch_execnz .LBB52_261
.LBB52_154:
	s_or_b32 exec_lo, exec_lo, s0
	s_and_saveexec_b32 s0, vcc_lo
	s_cbranch_execnz .LBB52_262
.LBB52_155:
	s_or_b32 exec_lo, exec_lo, s0
	s_and_saveexec_b32 s0, vcc_lo
	s_cbranch_execnz .LBB52_263
.LBB52_156:
	s_or_b32 exec_lo, exec_lo, s0
	s_and_saveexec_b32 s0, vcc_lo
	s_cbranch_execnz .LBB52_264
.LBB52_157:
	s_or_b32 exec_lo, exec_lo, s0
	s_and_saveexec_b32 s0, vcc_lo
	s_cbranch_execnz .LBB52_265
.LBB52_158:
	s_or_b32 exec_lo, exec_lo, s0
	s_and_saveexec_b32 s0, vcc_lo
	s_cbranch_execnz .LBB52_266
.LBB52_159:
	s_or_b32 exec_lo, exec_lo, s0
	s_and_saveexec_b32 s0, vcc_lo
	s_cbranch_execnz .LBB52_267
.LBB52_160:
	s_or_b32 exec_lo, exec_lo, s0
	s_and_saveexec_b32 s0, vcc_lo
	s_cbranch_execnz .LBB52_268
.LBB52_161:
	s_or_b32 exec_lo, exec_lo, s0
	s_and_saveexec_b32 s0, vcc_lo
	s_cbranch_execnz .LBB52_269
.LBB52_162:
	s_or_b32 exec_lo, exec_lo, s0
	s_and_saveexec_b32 s0, vcc_lo
	s_cbranch_execnz .LBB52_270
.LBB52_163:
	s_or_b32 exec_lo, exec_lo, s0
	s_and_saveexec_b32 s0, vcc_lo
	s_cbranch_execnz .LBB52_271
.LBB52_164:
	s_or_b32 exec_lo, exec_lo, s0
	s_and_saveexec_b32 s0, vcc_lo
	s_cbranch_execnz .LBB52_272
.LBB52_165:
	s_or_b32 exec_lo, exec_lo, s0
	s_and_saveexec_b32 s0, vcc_lo
	s_cbranch_execnz .LBB52_273
.LBB52_166:
	s_or_b32 exec_lo, exec_lo, s0
	s_and_saveexec_b32 s0, vcc_lo
	s_cbranch_execnz .LBB52_274
.LBB52_167:
	s_or_b32 exec_lo, exec_lo, s0
	s_and_saveexec_b32 s0, vcc_lo
	s_cbranch_execnz .LBB52_275
.LBB52_168:
	s_or_b32 exec_lo, exec_lo, s0
	s_and_saveexec_b32 s0, vcc_lo
	s_cbranch_execnz .LBB52_276
.LBB52_169:
	s_or_b32 exec_lo, exec_lo, s0
	s_and_saveexec_b32 s0, vcc_lo
	s_cbranch_execnz .LBB52_277
.LBB52_170:
	s_or_b32 exec_lo, exec_lo, s0
	s_and_saveexec_b32 s0, vcc_lo
	s_cbranch_execnz .LBB52_278
.LBB52_171:
	s_or_b32 exec_lo, exec_lo, s0
	s_and_saveexec_b32 s0, vcc_lo
	s_cbranch_execnz .LBB52_279
.LBB52_172:
	s_or_b32 exec_lo, exec_lo, s0
	s_and_saveexec_b32 s0, vcc_lo
	s_cbranch_execnz .LBB52_280
.LBB52_173:
	s_or_b32 exec_lo, exec_lo, s0
	s_and_saveexec_b32 s0, vcc_lo
	s_cbranch_execnz .LBB52_281
.LBB52_174:
	s_or_b32 exec_lo, exec_lo, s0
	s_and_saveexec_b32 s0, vcc_lo
	s_cbranch_execnz .LBB52_282
.LBB52_175:
	s_or_b32 exec_lo, exec_lo, s0
	s_and_saveexec_b32 s0, vcc_lo
	s_cbranch_execnz .LBB52_283
.LBB52_176:
	s_or_b32 exec_lo, exec_lo, s0
	s_and_saveexec_b32 s0, vcc_lo
	s_cbranch_execnz .LBB52_284
.LBB52_177:
	s_or_b32 exec_lo, exec_lo, s0
	s_and_saveexec_b32 s0, vcc_lo
	s_cbranch_execnz .LBB52_285
.LBB52_178:
	s_or_b32 exec_lo, exec_lo, s0
	s_and_saveexec_b32 s0, vcc_lo
	s_cbranch_execnz .LBB52_286
.LBB52_179:
	s_or_b32 exec_lo, exec_lo, s0
	s_and_saveexec_b32 s0, vcc_lo
	s_cbranch_execnz .LBB52_287
.LBB52_180:
	s_or_b32 exec_lo, exec_lo, s0
	s_and_saveexec_b32 s0, vcc_lo
	s_cbranch_execnz .LBB52_288
.LBB52_181:
	s_or_b32 exec_lo, exec_lo, s0
	s_and_saveexec_b32 s0, vcc_lo
	s_cbranch_execnz .LBB52_289
.LBB52_182:
	s_or_b32 exec_lo, exec_lo, s0
	s_and_saveexec_b32 s0, vcc_lo
	s_cbranch_execnz .LBB52_290
.LBB52_183:
	s_or_b32 exec_lo, exec_lo, s0
	s_and_saveexec_b32 s0, vcc_lo
	s_cbranch_execnz .LBB52_291
.LBB52_184:
	s_or_b32 exec_lo, exec_lo, s0
	s_and_saveexec_b32 s0, vcc_lo
	s_cbranch_execnz .LBB52_292
.LBB52_185:
	s_or_b32 exec_lo, exec_lo, s0
	s_and_saveexec_b32 s0, vcc_lo
	s_cbranch_execnz .LBB52_293
.LBB52_186:
	s_or_b32 exec_lo, exec_lo, s0
	s_and_saveexec_b32 s0, vcc_lo
	s_cbranch_execnz .LBB52_294
.LBB52_187:
	s_or_b32 exec_lo, exec_lo, s0
	s_and_saveexec_b32 s0, vcc_lo
	s_cbranch_execz .LBB52_189
.LBB52_188:
	v_lshl_add_u32 v50, v48, 2, v49
	ds_load_b32 v50, v50 offset:752
	s_waitcnt lgkmcnt(0)
	v_add_f32_e32 v47, v47, v50
.LBB52_189:
	s_or_b32 exec_lo, exec_lo, s0
.LBB52_190:
	s_delay_alu instid0(SALU_CYCLE_1)
	s_or_b32 exec_lo, exec_lo, s1
	v_and_b32_e32 v50, 0x3e0, v68
	s_mov_b32 s1, exec_lo
	s_barrier
	buffer_gl0_inv
	v_cmpx_eq_u32_e32 32, v50
	s_cbranch_execz .LBB52_193
; %bb.191:
	s_and_b32 exec_lo, exec_lo, vcc_lo
	s_cbranch_execz .LBB52_193
; %bb.192:
	v_lshlrev_b32_e32 v50, 2, v48
	s_delay_alu instid0(VALU_DEP_1)
	v_add3_u32 v50, v49, v50, 0xfffffd00
	ds_store_2addr_b32 v50, v0, v1 offset1:4
	ds_store_2addr_b32 v50, v2, v3 offset0:8 offset1:12
	ds_store_2addr_b32 v50, v4, v5 offset0:16 offset1:20
	;; [unrolled: 1-line block ×23, first 2 shown]
.LBB52_193:
	s_or_b32 exec_lo, exec_lo, s1
	v_cmp_gt_u32_e64 s0, 32, v68
	s_waitcnt lgkmcnt(0)
	s_barrier
	buffer_gl0_inv
	s_and_saveexec_b32 s1, s0
	s_cbranch_execz .LBB52_244
; %bb.194:
	v_lshl_add_u32 v48, v48, 2, v49
	s_and_saveexec_b32 s2, vcc_lo
	s_cbranch_execnz .LBB52_295
; %bb.195:
	s_or_b32 exec_lo, exec_lo, s2
	s_and_saveexec_b32 s2, vcc_lo
	s_cbranch_execnz .LBB52_296
.LBB52_196:
	s_or_b32 exec_lo, exec_lo, s2
	s_and_saveexec_b32 s2, vcc_lo
	s_cbranch_execnz .LBB52_297
.LBB52_197:
	s_or_b32 exec_lo, exec_lo, s2
	s_and_saveexec_b32 s2, vcc_lo
	s_cbranch_execnz .LBB52_298
.LBB52_198:
	s_or_b32 exec_lo, exec_lo, s2
	s_and_saveexec_b32 s2, vcc_lo
	s_cbranch_execnz .LBB52_299
.LBB52_199:
	s_or_b32 exec_lo, exec_lo, s2
	s_and_saveexec_b32 s2, vcc_lo
	s_cbranch_execnz .LBB52_300
.LBB52_200:
	s_or_b32 exec_lo, exec_lo, s2
	s_and_saveexec_b32 s2, vcc_lo
	s_cbranch_execnz .LBB52_301
.LBB52_201:
	s_or_b32 exec_lo, exec_lo, s2
	s_and_saveexec_b32 s2, vcc_lo
	s_cbranch_execnz .LBB52_302
.LBB52_202:
	s_or_b32 exec_lo, exec_lo, s2
	s_and_saveexec_b32 s2, vcc_lo
	s_cbranch_execnz .LBB52_303
.LBB52_203:
	s_or_b32 exec_lo, exec_lo, s2
	s_and_saveexec_b32 s2, vcc_lo
	s_cbranch_execnz .LBB52_304
.LBB52_204:
	s_or_b32 exec_lo, exec_lo, s2
	s_and_saveexec_b32 s2, vcc_lo
	s_cbranch_execnz .LBB52_305
.LBB52_205:
	s_or_b32 exec_lo, exec_lo, s2
	s_and_saveexec_b32 s2, vcc_lo
	s_cbranch_execnz .LBB52_306
.LBB52_206:
	s_or_b32 exec_lo, exec_lo, s2
	s_and_saveexec_b32 s2, vcc_lo
	s_cbranch_execnz .LBB52_307
.LBB52_207:
	s_or_b32 exec_lo, exec_lo, s2
	s_and_saveexec_b32 s2, vcc_lo
	s_cbranch_execnz .LBB52_308
.LBB52_208:
	s_or_b32 exec_lo, exec_lo, s2
	s_and_saveexec_b32 s2, vcc_lo
	s_cbranch_execnz .LBB52_309
.LBB52_209:
	s_or_b32 exec_lo, exec_lo, s2
	s_and_saveexec_b32 s2, vcc_lo
	s_cbranch_execnz .LBB52_310
.LBB52_210:
	s_or_b32 exec_lo, exec_lo, s2
	s_and_saveexec_b32 s2, vcc_lo
	s_cbranch_execnz .LBB52_311
.LBB52_211:
	s_or_b32 exec_lo, exec_lo, s2
	s_and_saveexec_b32 s2, vcc_lo
	s_cbranch_execnz .LBB52_312
.LBB52_212:
	s_or_b32 exec_lo, exec_lo, s2
	s_and_saveexec_b32 s2, vcc_lo
	s_cbranch_execnz .LBB52_313
.LBB52_213:
	s_or_b32 exec_lo, exec_lo, s2
	s_and_saveexec_b32 s2, vcc_lo
	s_cbranch_execnz .LBB52_314
.LBB52_214:
	s_or_b32 exec_lo, exec_lo, s2
	s_and_saveexec_b32 s2, vcc_lo
	s_cbranch_execnz .LBB52_315
.LBB52_215:
	s_or_b32 exec_lo, exec_lo, s2
	s_and_saveexec_b32 s2, vcc_lo
	s_cbranch_execnz .LBB52_316
.LBB52_216:
	s_or_b32 exec_lo, exec_lo, s2
	s_and_saveexec_b32 s2, vcc_lo
	s_cbranch_execnz .LBB52_317
.LBB52_217:
	s_or_b32 exec_lo, exec_lo, s2
	s_and_saveexec_b32 s2, vcc_lo
	s_cbranch_execnz .LBB52_318
.LBB52_218:
	s_or_b32 exec_lo, exec_lo, s2
	s_and_saveexec_b32 s2, vcc_lo
	s_cbranch_execnz .LBB52_319
.LBB52_219:
	s_or_b32 exec_lo, exec_lo, s2
	s_and_saveexec_b32 s2, vcc_lo
	s_cbranch_execnz .LBB52_320
.LBB52_220:
	s_or_b32 exec_lo, exec_lo, s2
	s_and_saveexec_b32 s2, vcc_lo
	s_cbranch_execnz .LBB52_321
.LBB52_221:
	s_or_b32 exec_lo, exec_lo, s2
	s_and_saveexec_b32 s2, vcc_lo
	s_cbranch_execnz .LBB52_322
.LBB52_222:
	s_or_b32 exec_lo, exec_lo, s2
	s_and_saveexec_b32 s2, vcc_lo
	s_cbranch_execnz .LBB52_323
.LBB52_223:
	s_or_b32 exec_lo, exec_lo, s2
	s_and_saveexec_b32 s2, vcc_lo
	s_cbranch_execnz .LBB52_324
.LBB52_224:
	s_or_b32 exec_lo, exec_lo, s2
	s_and_saveexec_b32 s2, vcc_lo
	s_cbranch_execnz .LBB52_325
.LBB52_225:
	s_or_b32 exec_lo, exec_lo, s2
	s_and_saveexec_b32 s2, vcc_lo
	s_cbranch_execnz .LBB52_326
.LBB52_226:
	s_or_b32 exec_lo, exec_lo, s2
	s_and_saveexec_b32 s2, vcc_lo
	s_cbranch_execnz .LBB52_327
.LBB52_227:
	s_or_b32 exec_lo, exec_lo, s2
	s_and_saveexec_b32 s2, vcc_lo
	s_cbranch_execnz .LBB52_328
.LBB52_228:
	s_or_b32 exec_lo, exec_lo, s2
	s_and_saveexec_b32 s2, vcc_lo
	s_cbranch_execnz .LBB52_329
.LBB52_229:
	s_or_b32 exec_lo, exec_lo, s2
	s_and_saveexec_b32 s2, vcc_lo
	s_cbranch_execnz .LBB52_330
.LBB52_230:
	s_or_b32 exec_lo, exec_lo, s2
	s_and_saveexec_b32 s2, vcc_lo
	s_cbranch_execnz .LBB52_331
.LBB52_231:
	s_or_b32 exec_lo, exec_lo, s2
	s_and_saveexec_b32 s2, vcc_lo
	s_cbranch_execnz .LBB52_332
.LBB52_232:
	s_or_b32 exec_lo, exec_lo, s2
	s_and_saveexec_b32 s2, vcc_lo
	s_cbranch_execnz .LBB52_333
.LBB52_233:
	s_or_b32 exec_lo, exec_lo, s2
	s_and_saveexec_b32 s2, vcc_lo
	s_cbranch_execnz .LBB52_334
.LBB52_234:
	s_or_b32 exec_lo, exec_lo, s2
	s_and_saveexec_b32 s2, vcc_lo
	s_cbranch_execnz .LBB52_335
.LBB52_235:
	s_or_b32 exec_lo, exec_lo, s2
	s_and_saveexec_b32 s2, vcc_lo
	s_cbranch_execnz .LBB52_336
.LBB52_236:
	s_or_b32 exec_lo, exec_lo, s2
	s_and_saveexec_b32 s2, vcc_lo
	s_cbranch_execnz .LBB52_337
.LBB52_237:
	s_or_b32 exec_lo, exec_lo, s2
	s_and_saveexec_b32 s2, vcc_lo
	s_cbranch_execnz .LBB52_338
.LBB52_238:
	s_or_b32 exec_lo, exec_lo, s2
	s_and_saveexec_b32 s2, vcc_lo
	s_cbranch_execnz .LBB52_339
.LBB52_239:
	s_or_b32 exec_lo, exec_lo, s2
	s_and_saveexec_b32 s2, vcc_lo
	s_cbranch_execnz .LBB52_340
.LBB52_240:
	s_or_b32 exec_lo, exec_lo, s2
	s_and_saveexec_b32 s2, vcc_lo
	s_cbranch_execnz .LBB52_341
.LBB52_241:
	s_or_b32 exec_lo, exec_lo, s2
	s_and_saveexec_b32 s2, vcc_lo
	s_cbranch_execz .LBB52_243
.LBB52_242:
	ds_load_b32 v48, v48 offset:752
	s_waitcnt lgkmcnt(0)
	v_add_f32_e32 v47, v47, v48
.LBB52_243:
	s_or_b32 exec_lo, exec_lo, s2
.LBB52_244:
	s_delay_alu instid0(SALU_CYCLE_1)
	s_or_b32 exec_lo, exec_lo, s1
	s_barrier
	buffer_gl0_inv
	s_and_saveexec_b32 s1, s0
	s_cbranch_execz .LBB52_247
; %bb.245:
	s_and_b32 exec_lo, exec_lo, vcc_lo
	s_cbranch_execz .LBB52_247
; %bb.246:
	s_mul_i32 s0, s4, s14
	s_mul_i32 s2, s4, s20
	;; [unrolled: 1-line block ×3, first 2 shown]
	v_lshrrev_b32_e32 v48, 1, v68
	s_mulk_i32 s0, 0xc0
	s_delay_alu instid0(SALU_CYCLE_1) | instskip(NEXT) | instid1(VALU_DEP_1)
	s_ashr_i32 s1, s0, 31
	v_and_b32_e32 v48, 0x1fc, v48
	s_lshl_b64 s[0:1], s[0:1], 2
	s_delay_alu instid0(SALU_CYCLE_1) | instskip(SKIP_2) | instid1(SALU_CYCLE_1)
	s_add_u32 s4, s22, s0
	s_addc_u32 s5, s23, s1
	s_ashr_i32 s3, s2, 31
	s_lshl_b64 s[0:1], s[2:3], 2
	s_mul_i32 s2, s12, 0xc0
	s_add_u32 s4, s4, s0
	s_addc_u32 s5, s5, s1
	s_ashr_i32 s3, s2, 31
	s_delay_alu instid0(SALU_CYCLE_1) | instskip(NEXT) | instid1(SALU_CYCLE_1)
	s_lshl_b64 s[0:1], s[2:3], 2
	s_add_u32 s0, s4, s0
	s_addc_u32 s1, s5, s1
	s_clause 0x1f
	global_store_b32 v48, v0, s[0:1]
	global_store_b32 v48, v1, s[0:1] offset:16
	global_store_b32 v48, v2, s[0:1] offset:32
	;; [unrolled: 1-line block ×31, first 2 shown]
	s_clause 0xf
	global_store_b32 v48, v32, s[0:1] offset:512
	global_store_b32 v48, v33, s[0:1] offset:528
	;; [unrolled: 1-line block ×16, first 2 shown]
.LBB52_247:
	s_nop 0
	s_sendmsg sendmsg(MSG_DEALLOC_VGPRS)
	s_endpgm
.LBB52_248:
	v_lshl_add_u32 v50, v48, 2, v49
	ds_load_b32 v50, v50
	s_waitcnt lgkmcnt(0)
	v_add_f32_e32 v0, v0, v50
	s_or_b32 exec_lo, exec_lo, s0
	s_and_saveexec_b32 s0, vcc_lo
	s_cbranch_execz .LBB52_142
.LBB52_249:
	v_lshl_add_u32 v50, v48, 2, v49
	ds_load_b32 v50, v50 offset:16
	s_waitcnt lgkmcnt(0)
	v_add_f32_e32 v1, v1, v50
	s_or_b32 exec_lo, exec_lo, s0
	s_and_saveexec_b32 s0, vcc_lo
	s_cbranch_execz .LBB52_143
.LBB52_250:
	v_lshl_add_u32 v50, v48, 2, v49
	ds_load_b32 v50, v50 offset:32
	s_waitcnt lgkmcnt(0)
	v_add_f32_e32 v2, v2, v50
	s_or_b32 exec_lo, exec_lo, s0
	s_and_saveexec_b32 s0, vcc_lo
	s_cbranch_execz .LBB52_144
.LBB52_251:
	v_lshl_add_u32 v50, v48, 2, v49
	ds_load_b32 v50, v50 offset:48
	s_waitcnt lgkmcnt(0)
	v_add_f32_e32 v3, v3, v50
	s_or_b32 exec_lo, exec_lo, s0
	s_and_saveexec_b32 s0, vcc_lo
	s_cbranch_execz .LBB52_145
.LBB52_252:
	v_lshl_add_u32 v50, v48, 2, v49
	ds_load_b32 v50, v50 offset:64
	s_waitcnt lgkmcnt(0)
	v_add_f32_e32 v4, v4, v50
	s_or_b32 exec_lo, exec_lo, s0
	s_and_saveexec_b32 s0, vcc_lo
	s_cbranch_execz .LBB52_146
.LBB52_253:
	v_lshl_add_u32 v50, v48, 2, v49
	ds_load_b32 v50, v50 offset:80
	s_waitcnt lgkmcnt(0)
	v_add_f32_e32 v5, v5, v50
	s_or_b32 exec_lo, exec_lo, s0
	s_and_saveexec_b32 s0, vcc_lo
	s_cbranch_execz .LBB52_147
.LBB52_254:
	v_lshl_add_u32 v50, v48, 2, v49
	ds_load_b32 v50, v50 offset:96
	s_waitcnt lgkmcnt(0)
	v_add_f32_e32 v6, v6, v50
	s_or_b32 exec_lo, exec_lo, s0
	s_and_saveexec_b32 s0, vcc_lo
	s_cbranch_execz .LBB52_148
.LBB52_255:
	v_lshl_add_u32 v50, v48, 2, v49
	ds_load_b32 v50, v50 offset:112
	s_waitcnt lgkmcnt(0)
	v_add_f32_e32 v7, v7, v50
	s_or_b32 exec_lo, exec_lo, s0
	s_and_saveexec_b32 s0, vcc_lo
	s_cbranch_execz .LBB52_149
.LBB52_256:
	v_lshl_add_u32 v50, v48, 2, v49
	ds_load_b32 v50, v50 offset:128
	s_waitcnt lgkmcnt(0)
	v_add_f32_e32 v8, v8, v50
	s_or_b32 exec_lo, exec_lo, s0
	s_and_saveexec_b32 s0, vcc_lo
	s_cbranch_execz .LBB52_150
.LBB52_257:
	v_lshl_add_u32 v50, v48, 2, v49
	ds_load_b32 v50, v50 offset:144
	s_waitcnt lgkmcnt(0)
	v_add_f32_e32 v9, v9, v50
	s_or_b32 exec_lo, exec_lo, s0
	s_and_saveexec_b32 s0, vcc_lo
	s_cbranch_execz .LBB52_151
.LBB52_258:
	v_lshl_add_u32 v50, v48, 2, v49
	ds_load_b32 v50, v50 offset:160
	s_waitcnt lgkmcnt(0)
	v_add_f32_e32 v10, v10, v50
	s_or_b32 exec_lo, exec_lo, s0
	s_and_saveexec_b32 s0, vcc_lo
	s_cbranch_execz .LBB52_152
.LBB52_259:
	v_lshl_add_u32 v50, v48, 2, v49
	ds_load_b32 v50, v50 offset:176
	s_waitcnt lgkmcnt(0)
	v_add_f32_e32 v11, v11, v50
	s_or_b32 exec_lo, exec_lo, s0
	s_and_saveexec_b32 s0, vcc_lo
	s_cbranch_execz .LBB52_153
.LBB52_260:
	v_lshl_add_u32 v50, v48, 2, v49
	ds_load_b32 v50, v50 offset:192
	s_waitcnt lgkmcnt(0)
	v_add_f32_e32 v12, v12, v50
	s_or_b32 exec_lo, exec_lo, s0
	s_and_saveexec_b32 s0, vcc_lo
	s_cbranch_execz .LBB52_154
.LBB52_261:
	v_lshl_add_u32 v50, v48, 2, v49
	ds_load_b32 v50, v50 offset:208
	s_waitcnt lgkmcnt(0)
	v_add_f32_e32 v13, v13, v50
	s_or_b32 exec_lo, exec_lo, s0
	s_and_saveexec_b32 s0, vcc_lo
	s_cbranch_execz .LBB52_155
.LBB52_262:
	v_lshl_add_u32 v50, v48, 2, v49
	ds_load_b32 v50, v50 offset:224
	s_waitcnt lgkmcnt(0)
	v_add_f32_e32 v14, v14, v50
	s_or_b32 exec_lo, exec_lo, s0
	s_and_saveexec_b32 s0, vcc_lo
	s_cbranch_execz .LBB52_156
.LBB52_263:
	v_lshl_add_u32 v50, v48, 2, v49
	ds_load_b32 v50, v50 offset:240
	s_waitcnt lgkmcnt(0)
	v_add_f32_e32 v15, v15, v50
	s_or_b32 exec_lo, exec_lo, s0
	s_and_saveexec_b32 s0, vcc_lo
	s_cbranch_execz .LBB52_157
.LBB52_264:
	v_lshl_add_u32 v50, v48, 2, v49
	ds_load_b32 v50, v50 offset:256
	s_waitcnt lgkmcnt(0)
	v_add_f32_e32 v16, v16, v50
	s_or_b32 exec_lo, exec_lo, s0
	s_and_saveexec_b32 s0, vcc_lo
	s_cbranch_execz .LBB52_158
.LBB52_265:
	v_lshl_add_u32 v50, v48, 2, v49
	ds_load_b32 v50, v50 offset:272
	s_waitcnt lgkmcnt(0)
	v_add_f32_e32 v17, v17, v50
	s_or_b32 exec_lo, exec_lo, s0
	s_and_saveexec_b32 s0, vcc_lo
	s_cbranch_execz .LBB52_159
.LBB52_266:
	v_lshl_add_u32 v50, v48, 2, v49
	ds_load_b32 v50, v50 offset:288
	s_waitcnt lgkmcnt(0)
	v_add_f32_e32 v18, v18, v50
	s_or_b32 exec_lo, exec_lo, s0
	s_and_saveexec_b32 s0, vcc_lo
	s_cbranch_execz .LBB52_160
.LBB52_267:
	v_lshl_add_u32 v50, v48, 2, v49
	ds_load_b32 v50, v50 offset:304
	s_waitcnt lgkmcnt(0)
	v_add_f32_e32 v19, v19, v50
	s_or_b32 exec_lo, exec_lo, s0
	s_and_saveexec_b32 s0, vcc_lo
	s_cbranch_execz .LBB52_161
.LBB52_268:
	v_lshl_add_u32 v50, v48, 2, v49
	ds_load_b32 v50, v50 offset:320
	s_waitcnt lgkmcnt(0)
	v_add_f32_e32 v20, v20, v50
	s_or_b32 exec_lo, exec_lo, s0
	s_and_saveexec_b32 s0, vcc_lo
	s_cbranch_execz .LBB52_162
.LBB52_269:
	v_lshl_add_u32 v50, v48, 2, v49
	ds_load_b32 v50, v50 offset:336
	s_waitcnt lgkmcnt(0)
	v_add_f32_e32 v21, v21, v50
	s_or_b32 exec_lo, exec_lo, s0
	s_and_saveexec_b32 s0, vcc_lo
	s_cbranch_execz .LBB52_163
.LBB52_270:
	v_lshl_add_u32 v50, v48, 2, v49
	ds_load_b32 v50, v50 offset:352
	s_waitcnt lgkmcnt(0)
	v_add_f32_e32 v22, v22, v50
	s_or_b32 exec_lo, exec_lo, s0
	s_and_saveexec_b32 s0, vcc_lo
	s_cbranch_execz .LBB52_164
.LBB52_271:
	v_lshl_add_u32 v50, v48, 2, v49
	ds_load_b32 v50, v50 offset:368
	s_waitcnt lgkmcnt(0)
	v_add_f32_e32 v23, v23, v50
	s_or_b32 exec_lo, exec_lo, s0
	s_and_saveexec_b32 s0, vcc_lo
	s_cbranch_execz .LBB52_165
.LBB52_272:
	v_lshl_add_u32 v50, v48, 2, v49
	ds_load_b32 v50, v50 offset:384
	s_waitcnt lgkmcnt(0)
	v_add_f32_e32 v24, v24, v50
	s_or_b32 exec_lo, exec_lo, s0
	s_and_saveexec_b32 s0, vcc_lo
	s_cbranch_execz .LBB52_166
.LBB52_273:
	v_lshl_add_u32 v50, v48, 2, v49
	ds_load_b32 v50, v50 offset:400
	s_waitcnt lgkmcnt(0)
	v_add_f32_e32 v25, v25, v50
	s_or_b32 exec_lo, exec_lo, s0
	s_and_saveexec_b32 s0, vcc_lo
	s_cbranch_execz .LBB52_167
.LBB52_274:
	v_lshl_add_u32 v50, v48, 2, v49
	ds_load_b32 v50, v50 offset:416
	s_waitcnt lgkmcnt(0)
	v_add_f32_e32 v26, v26, v50
	s_or_b32 exec_lo, exec_lo, s0
	s_and_saveexec_b32 s0, vcc_lo
	s_cbranch_execz .LBB52_168
.LBB52_275:
	v_lshl_add_u32 v50, v48, 2, v49
	ds_load_b32 v50, v50 offset:432
	s_waitcnt lgkmcnt(0)
	v_add_f32_e32 v27, v27, v50
	s_or_b32 exec_lo, exec_lo, s0
	s_and_saveexec_b32 s0, vcc_lo
	s_cbranch_execz .LBB52_169
.LBB52_276:
	v_lshl_add_u32 v50, v48, 2, v49
	ds_load_b32 v50, v50 offset:448
	s_waitcnt lgkmcnt(0)
	v_add_f32_e32 v28, v28, v50
	s_or_b32 exec_lo, exec_lo, s0
	s_and_saveexec_b32 s0, vcc_lo
	s_cbranch_execz .LBB52_170
.LBB52_277:
	v_lshl_add_u32 v50, v48, 2, v49
	ds_load_b32 v50, v50 offset:464
	s_waitcnt lgkmcnt(0)
	v_add_f32_e32 v29, v29, v50
	s_or_b32 exec_lo, exec_lo, s0
	s_and_saveexec_b32 s0, vcc_lo
	s_cbranch_execz .LBB52_171
.LBB52_278:
	v_lshl_add_u32 v50, v48, 2, v49
	ds_load_b32 v50, v50 offset:480
	s_waitcnt lgkmcnt(0)
	v_add_f32_e32 v30, v30, v50
	s_or_b32 exec_lo, exec_lo, s0
	s_and_saveexec_b32 s0, vcc_lo
	s_cbranch_execz .LBB52_172
.LBB52_279:
	v_lshl_add_u32 v50, v48, 2, v49
	ds_load_b32 v50, v50 offset:496
	s_waitcnt lgkmcnt(0)
	v_add_f32_e32 v31, v31, v50
	s_or_b32 exec_lo, exec_lo, s0
	s_and_saveexec_b32 s0, vcc_lo
	s_cbranch_execz .LBB52_173
.LBB52_280:
	v_lshl_add_u32 v50, v48, 2, v49
	ds_load_b32 v50, v50 offset:512
	s_waitcnt lgkmcnt(0)
	v_add_f32_e32 v32, v32, v50
	s_or_b32 exec_lo, exec_lo, s0
	s_and_saveexec_b32 s0, vcc_lo
	s_cbranch_execz .LBB52_174
.LBB52_281:
	v_lshl_add_u32 v50, v48, 2, v49
	ds_load_b32 v50, v50 offset:528
	s_waitcnt lgkmcnt(0)
	v_add_f32_e32 v33, v33, v50
	s_or_b32 exec_lo, exec_lo, s0
	s_and_saveexec_b32 s0, vcc_lo
	s_cbranch_execz .LBB52_175
.LBB52_282:
	v_lshl_add_u32 v50, v48, 2, v49
	ds_load_b32 v50, v50 offset:544
	s_waitcnt lgkmcnt(0)
	v_add_f32_e32 v34, v34, v50
	s_or_b32 exec_lo, exec_lo, s0
	s_and_saveexec_b32 s0, vcc_lo
	s_cbranch_execz .LBB52_176
.LBB52_283:
	v_lshl_add_u32 v50, v48, 2, v49
	ds_load_b32 v50, v50 offset:560
	s_waitcnt lgkmcnt(0)
	v_add_f32_e32 v35, v35, v50
	s_or_b32 exec_lo, exec_lo, s0
	s_and_saveexec_b32 s0, vcc_lo
	s_cbranch_execz .LBB52_177
.LBB52_284:
	v_lshl_add_u32 v50, v48, 2, v49
	ds_load_b32 v50, v50 offset:576
	s_waitcnt lgkmcnt(0)
	v_add_f32_e32 v36, v36, v50
	s_or_b32 exec_lo, exec_lo, s0
	s_and_saveexec_b32 s0, vcc_lo
	s_cbranch_execz .LBB52_178
.LBB52_285:
	v_lshl_add_u32 v50, v48, 2, v49
	ds_load_b32 v50, v50 offset:592
	s_waitcnt lgkmcnt(0)
	v_add_f32_e32 v37, v37, v50
	s_or_b32 exec_lo, exec_lo, s0
	s_and_saveexec_b32 s0, vcc_lo
	s_cbranch_execz .LBB52_179
.LBB52_286:
	v_lshl_add_u32 v50, v48, 2, v49
	ds_load_b32 v50, v50 offset:608
	s_waitcnt lgkmcnt(0)
	v_add_f32_e32 v38, v38, v50
	s_or_b32 exec_lo, exec_lo, s0
	s_and_saveexec_b32 s0, vcc_lo
	s_cbranch_execz .LBB52_180
.LBB52_287:
	v_lshl_add_u32 v50, v48, 2, v49
	ds_load_b32 v50, v50 offset:624
	s_waitcnt lgkmcnt(0)
	v_add_f32_e32 v39, v39, v50
	s_or_b32 exec_lo, exec_lo, s0
	s_and_saveexec_b32 s0, vcc_lo
	s_cbranch_execz .LBB52_181
.LBB52_288:
	v_lshl_add_u32 v50, v48, 2, v49
	ds_load_b32 v50, v50 offset:640
	s_waitcnt lgkmcnt(0)
	v_add_f32_e32 v40, v40, v50
	s_or_b32 exec_lo, exec_lo, s0
	s_and_saveexec_b32 s0, vcc_lo
	s_cbranch_execz .LBB52_182
.LBB52_289:
	v_lshl_add_u32 v50, v48, 2, v49
	ds_load_b32 v50, v50 offset:656
	s_waitcnt lgkmcnt(0)
	v_add_f32_e32 v41, v41, v50
	s_or_b32 exec_lo, exec_lo, s0
	s_and_saveexec_b32 s0, vcc_lo
	s_cbranch_execz .LBB52_183
.LBB52_290:
	v_lshl_add_u32 v50, v48, 2, v49
	ds_load_b32 v50, v50 offset:672
	s_waitcnt lgkmcnt(0)
	v_add_f32_e32 v42, v42, v50
	s_or_b32 exec_lo, exec_lo, s0
	s_and_saveexec_b32 s0, vcc_lo
	s_cbranch_execz .LBB52_184
.LBB52_291:
	v_lshl_add_u32 v50, v48, 2, v49
	ds_load_b32 v50, v50 offset:688
	s_waitcnt lgkmcnt(0)
	v_add_f32_e32 v43, v43, v50
	s_or_b32 exec_lo, exec_lo, s0
	s_and_saveexec_b32 s0, vcc_lo
	s_cbranch_execz .LBB52_185
.LBB52_292:
	v_lshl_add_u32 v50, v48, 2, v49
	ds_load_b32 v50, v50 offset:704
	s_waitcnt lgkmcnt(0)
	v_add_f32_e32 v44, v44, v50
	s_or_b32 exec_lo, exec_lo, s0
	s_and_saveexec_b32 s0, vcc_lo
	s_cbranch_execz .LBB52_186
.LBB52_293:
	v_lshl_add_u32 v50, v48, 2, v49
	ds_load_b32 v50, v50 offset:720
	s_waitcnt lgkmcnt(0)
	v_add_f32_e32 v45, v45, v50
	s_or_b32 exec_lo, exec_lo, s0
	s_and_saveexec_b32 s0, vcc_lo
	s_cbranch_execz .LBB52_187
.LBB52_294:
	v_lshl_add_u32 v50, v48, 2, v49
	ds_load_b32 v50, v50 offset:736
	s_waitcnt lgkmcnt(0)
	v_add_f32_e32 v46, v46, v50
	s_or_b32 exec_lo, exec_lo, s0
	s_and_saveexec_b32 s0, vcc_lo
	s_cbranch_execnz .LBB52_188
	s_branch .LBB52_189
.LBB52_295:
	ds_load_b32 v49, v48
	s_waitcnt lgkmcnt(0)
	v_add_f32_e32 v0, v0, v49
	s_or_b32 exec_lo, exec_lo, s2
	s_and_saveexec_b32 s2, vcc_lo
	s_cbranch_execz .LBB52_196
.LBB52_296:
	ds_load_b32 v49, v48 offset:16
	s_waitcnt lgkmcnt(0)
	v_add_f32_e32 v1, v1, v49
	s_or_b32 exec_lo, exec_lo, s2
	s_and_saveexec_b32 s2, vcc_lo
	s_cbranch_execz .LBB52_197
.LBB52_297:
	ds_load_b32 v49, v48 offset:32
	s_waitcnt lgkmcnt(0)
	v_add_f32_e32 v2, v2, v49
	s_or_b32 exec_lo, exec_lo, s2
	s_and_saveexec_b32 s2, vcc_lo
	s_cbranch_execz .LBB52_198
.LBB52_298:
	ds_load_b32 v49, v48 offset:48
	s_waitcnt lgkmcnt(0)
	v_add_f32_e32 v3, v3, v49
	s_or_b32 exec_lo, exec_lo, s2
	s_and_saveexec_b32 s2, vcc_lo
	s_cbranch_execz .LBB52_199
.LBB52_299:
	ds_load_b32 v49, v48 offset:64
	s_waitcnt lgkmcnt(0)
	v_add_f32_e32 v4, v4, v49
	s_or_b32 exec_lo, exec_lo, s2
	s_and_saveexec_b32 s2, vcc_lo
	s_cbranch_execz .LBB52_200
.LBB52_300:
	ds_load_b32 v49, v48 offset:80
	s_waitcnt lgkmcnt(0)
	v_add_f32_e32 v5, v5, v49
	s_or_b32 exec_lo, exec_lo, s2
	s_and_saveexec_b32 s2, vcc_lo
	s_cbranch_execz .LBB52_201
.LBB52_301:
	ds_load_b32 v49, v48 offset:96
	s_waitcnt lgkmcnt(0)
	v_add_f32_e32 v6, v6, v49
	s_or_b32 exec_lo, exec_lo, s2
	s_and_saveexec_b32 s2, vcc_lo
	s_cbranch_execz .LBB52_202
.LBB52_302:
	ds_load_b32 v49, v48 offset:112
	s_waitcnt lgkmcnt(0)
	v_add_f32_e32 v7, v7, v49
	s_or_b32 exec_lo, exec_lo, s2
	s_and_saveexec_b32 s2, vcc_lo
	s_cbranch_execz .LBB52_203
.LBB52_303:
	ds_load_b32 v49, v48 offset:128
	s_waitcnt lgkmcnt(0)
	v_add_f32_e32 v8, v8, v49
	s_or_b32 exec_lo, exec_lo, s2
	s_and_saveexec_b32 s2, vcc_lo
	s_cbranch_execz .LBB52_204
.LBB52_304:
	ds_load_b32 v49, v48 offset:144
	s_waitcnt lgkmcnt(0)
	v_add_f32_e32 v9, v9, v49
	s_or_b32 exec_lo, exec_lo, s2
	s_and_saveexec_b32 s2, vcc_lo
	s_cbranch_execz .LBB52_205
.LBB52_305:
	ds_load_b32 v49, v48 offset:160
	s_waitcnt lgkmcnt(0)
	v_add_f32_e32 v10, v10, v49
	s_or_b32 exec_lo, exec_lo, s2
	s_and_saveexec_b32 s2, vcc_lo
	s_cbranch_execz .LBB52_206
.LBB52_306:
	ds_load_b32 v49, v48 offset:176
	s_waitcnt lgkmcnt(0)
	v_add_f32_e32 v11, v11, v49
	s_or_b32 exec_lo, exec_lo, s2
	s_and_saveexec_b32 s2, vcc_lo
	s_cbranch_execz .LBB52_207
.LBB52_307:
	ds_load_b32 v49, v48 offset:192
	s_waitcnt lgkmcnt(0)
	v_add_f32_e32 v12, v12, v49
	s_or_b32 exec_lo, exec_lo, s2
	s_and_saveexec_b32 s2, vcc_lo
	s_cbranch_execz .LBB52_208
.LBB52_308:
	ds_load_b32 v49, v48 offset:208
	s_waitcnt lgkmcnt(0)
	v_add_f32_e32 v13, v13, v49
	s_or_b32 exec_lo, exec_lo, s2
	s_and_saveexec_b32 s2, vcc_lo
	s_cbranch_execz .LBB52_209
.LBB52_309:
	ds_load_b32 v49, v48 offset:224
	s_waitcnt lgkmcnt(0)
	v_add_f32_e32 v14, v14, v49
	s_or_b32 exec_lo, exec_lo, s2
	s_and_saveexec_b32 s2, vcc_lo
	s_cbranch_execz .LBB52_210
.LBB52_310:
	ds_load_b32 v49, v48 offset:240
	s_waitcnt lgkmcnt(0)
	v_add_f32_e32 v15, v15, v49
	s_or_b32 exec_lo, exec_lo, s2
	s_and_saveexec_b32 s2, vcc_lo
	s_cbranch_execz .LBB52_211
.LBB52_311:
	ds_load_b32 v49, v48 offset:256
	s_waitcnt lgkmcnt(0)
	v_add_f32_e32 v16, v16, v49
	s_or_b32 exec_lo, exec_lo, s2
	s_and_saveexec_b32 s2, vcc_lo
	s_cbranch_execz .LBB52_212
.LBB52_312:
	ds_load_b32 v49, v48 offset:272
	s_waitcnt lgkmcnt(0)
	v_add_f32_e32 v17, v17, v49
	s_or_b32 exec_lo, exec_lo, s2
	s_and_saveexec_b32 s2, vcc_lo
	s_cbranch_execz .LBB52_213
.LBB52_313:
	ds_load_b32 v49, v48 offset:288
	s_waitcnt lgkmcnt(0)
	v_add_f32_e32 v18, v18, v49
	s_or_b32 exec_lo, exec_lo, s2
	s_and_saveexec_b32 s2, vcc_lo
	s_cbranch_execz .LBB52_214
.LBB52_314:
	ds_load_b32 v49, v48 offset:304
	s_waitcnt lgkmcnt(0)
	v_add_f32_e32 v19, v19, v49
	s_or_b32 exec_lo, exec_lo, s2
	s_and_saveexec_b32 s2, vcc_lo
	s_cbranch_execz .LBB52_215
.LBB52_315:
	ds_load_b32 v49, v48 offset:320
	s_waitcnt lgkmcnt(0)
	v_add_f32_e32 v20, v20, v49
	s_or_b32 exec_lo, exec_lo, s2
	s_and_saveexec_b32 s2, vcc_lo
	s_cbranch_execz .LBB52_216
.LBB52_316:
	ds_load_b32 v49, v48 offset:336
	s_waitcnt lgkmcnt(0)
	v_add_f32_e32 v21, v21, v49
	s_or_b32 exec_lo, exec_lo, s2
	s_and_saveexec_b32 s2, vcc_lo
	s_cbranch_execz .LBB52_217
.LBB52_317:
	ds_load_b32 v49, v48 offset:352
	s_waitcnt lgkmcnt(0)
	v_add_f32_e32 v22, v22, v49
	s_or_b32 exec_lo, exec_lo, s2
	s_and_saveexec_b32 s2, vcc_lo
	s_cbranch_execz .LBB52_218
.LBB52_318:
	ds_load_b32 v49, v48 offset:368
	s_waitcnt lgkmcnt(0)
	v_add_f32_e32 v23, v23, v49
	s_or_b32 exec_lo, exec_lo, s2
	s_and_saveexec_b32 s2, vcc_lo
	s_cbranch_execz .LBB52_219
.LBB52_319:
	ds_load_b32 v49, v48 offset:384
	s_waitcnt lgkmcnt(0)
	v_add_f32_e32 v24, v24, v49
	s_or_b32 exec_lo, exec_lo, s2
	s_and_saveexec_b32 s2, vcc_lo
	s_cbranch_execz .LBB52_220
.LBB52_320:
	ds_load_b32 v49, v48 offset:400
	s_waitcnt lgkmcnt(0)
	v_add_f32_e32 v25, v25, v49
	s_or_b32 exec_lo, exec_lo, s2
	s_and_saveexec_b32 s2, vcc_lo
	s_cbranch_execz .LBB52_221
.LBB52_321:
	ds_load_b32 v49, v48 offset:416
	s_waitcnt lgkmcnt(0)
	v_add_f32_e32 v26, v26, v49
	s_or_b32 exec_lo, exec_lo, s2
	s_and_saveexec_b32 s2, vcc_lo
	s_cbranch_execz .LBB52_222
.LBB52_322:
	ds_load_b32 v49, v48 offset:432
	s_waitcnt lgkmcnt(0)
	v_add_f32_e32 v27, v27, v49
	s_or_b32 exec_lo, exec_lo, s2
	s_and_saveexec_b32 s2, vcc_lo
	s_cbranch_execz .LBB52_223
.LBB52_323:
	ds_load_b32 v49, v48 offset:448
	s_waitcnt lgkmcnt(0)
	v_add_f32_e32 v28, v28, v49
	s_or_b32 exec_lo, exec_lo, s2
	s_and_saveexec_b32 s2, vcc_lo
	s_cbranch_execz .LBB52_224
.LBB52_324:
	ds_load_b32 v49, v48 offset:464
	s_waitcnt lgkmcnt(0)
	v_add_f32_e32 v29, v29, v49
	s_or_b32 exec_lo, exec_lo, s2
	s_and_saveexec_b32 s2, vcc_lo
	s_cbranch_execz .LBB52_225
.LBB52_325:
	ds_load_b32 v49, v48 offset:480
	s_waitcnt lgkmcnt(0)
	v_add_f32_e32 v30, v30, v49
	s_or_b32 exec_lo, exec_lo, s2
	s_and_saveexec_b32 s2, vcc_lo
	s_cbranch_execz .LBB52_226
.LBB52_326:
	ds_load_b32 v49, v48 offset:496
	s_waitcnt lgkmcnt(0)
	v_add_f32_e32 v31, v31, v49
	s_or_b32 exec_lo, exec_lo, s2
	s_and_saveexec_b32 s2, vcc_lo
	s_cbranch_execz .LBB52_227
.LBB52_327:
	ds_load_b32 v49, v48 offset:512
	s_waitcnt lgkmcnt(0)
	v_add_f32_e32 v32, v32, v49
	s_or_b32 exec_lo, exec_lo, s2
	s_and_saveexec_b32 s2, vcc_lo
	s_cbranch_execz .LBB52_228
.LBB52_328:
	ds_load_b32 v49, v48 offset:528
	s_waitcnt lgkmcnt(0)
	v_add_f32_e32 v33, v33, v49
	s_or_b32 exec_lo, exec_lo, s2
	s_and_saveexec_b32 s2, vcc_lo
	s_cbranch_execz .LBB52_229
.LBB52_329:
	ds_load_b32 v49, v48 offset:544
	s_waitcnt lgkmcnt(0)
	v_add_f32_e32 v34, v34, v49
	s_or_b32 exec_lo, exec_lo, s2
	s_and_saveexec_b32 s2, vcc_lo
	s_cbranch_execz .LBB52_230
.LBB52_330:
	ds_load_b32 v49, v48 offset:560
	s_waitcnt lgkmcnt(0)
	v_add_f32_e32 v35, v35, v49
	s_or_b32 exec_lo, exec_lo, s2
	s_and_saveexec_b32 s2, vcc_lo
	s_cbranch_execz .LBB52_231
.LBB52_331:
	ds_load_b32 v49, v48 offset:576
	s_waitcnt lgkmcnt(0)
	v_add_f32_e32 v36, v36, v49
	s_or_b32 exec_lo, exec_lo, s2
	s_and_saveexec_b32 s2, vcc_lo
	s_cbranch_execz .LBB52_232
.LBB52_332:
	ds_load_b32 v49, v48 offset:592
	s_waitcnt lgkmcnt(0)
	v_add_f32_e32 v37, v37, v49
	s_or_b32 exec_lo, exec_lo, s2
	s_and_saveexec_b32 s2, vcc_lo
	s_cbranch_execz .LBB52_233
.LBB52_333:
	ds_load_b32 v49, v48 offset:608
	s_waitcnt lgkmcnt(0)
	v_add_f32_e32 v38, v38, v49
	s_or_b32 exec_lo, exec_lo, s2
	s_and_saveexec_b32 s2, vcc_lo
	s_cbranch_execz .LBB52_234
.LBB52_334:
	ds_load_b32 v49, v48 offset:624
	s_waitcnt lgkmcnt(0)
	v_add_f32_e32 v39, v39, v49
	s_or_b32 exec_lo, exec_lo, s2
	s_and_saveexec_b32 s2, vcc_lo
	s_cbranch_execz .LBB52_235
.LBB52_335:
	ds_load_b32 v49, v48 offset:640
	s_waitcnt lgkmcnt(0)
	v_add_f32_e32 v40, v40, v49
	s_or_b32 exec_lo, exec_lo, s2
	s_and_saveexec_b32 s2, vcc_lo
	s_cbranch_execz .LBB52_236
.LBB52_336:
	ds_load_b32 v49, v48 offset:656
	s_waitcnt lgkmcnt(0)
	v_add_f32_e32 v41, v41, v49
	s_or_b32 exec_lo, exec_lo, s2
	s_and_saveexec_b32 s2, vcc_lo
	s_cbranch_execz .LBB52_237
.LBB52_337:
	ds_load_b32 v49, v48 offset:672
	s_waitcnt lgkmcnt(0)
	v_add_f32_e32 v42, v42, v49
	s_or_b32 exec_lo, exec_lo, s2
	s_and_saveexec_b32 s2, vcc_lo
	s_cbranch_execz .LBB52_238
.LBB52_338:
	ds_load_b32 v49, v48 offset:688
	s_waitcnt lgkmcnt(0)
	v_add_f32_e32 v43, v43, v49
	s_or_b32 exec_lo, exec_lo, s2
	s_and_saveexec_b32 s2, vcc_lo
	s_cbranch_execz .LBB52_239
.LBB52_339:
	ds_load_b32 v49, v48 offset:704
	s_waitcnt lgkmcnt(0)
	v_add_f32_e32 v44, v44, v49
	s_or_b32 exec_lo, exec_lo, s2
	s_and_saveexec_b32 s2, vcc_lo
	s_cbranch_execz .LBB52_240
.LBB52_340:
	ds_load_b32 v49, v48 offset:720
	s_waitcnt lgkmcnt(0)
	v_add_f32_e32 v45, v45, v49
	s_or_b32 exec_lo, exec_lo, s2
	s_and_saveexec_b32 s2, vcc_lo
	s_cbranch_execz .LBB52_241
.LBB52_341:
	ds_load_b32 v49, v48 offset:736
	s_waitcnt lgkmcnt(0)
	v_add_f32_e32 v46, v46, v49
	s_or_b32 exec_lo, exec_lo, s2
	s_and_saveexec_b32 s2, vcc_lo
	s_cbranch_execnz .LBB52_242
	s_branch .LBB52_243
	.section	.rodata,"a",@progbits
	.p2align	6, 0x0
	.amdhsa_kernel _ZN4vllm25paged_attention_v2_kernelIffLi192ELi32ELi128ELNS_18Fp8KVCacheDataTypeE0ELb1ELi512EEEvPfS2_PT_PKS3_PKT0_S9_ifPKiSB_iPKfiiiSD_SD_iiiii
		.amdhsa_group_segment_fixed_size 800
		.amdhsa_private_segment_fixed_size 512
		.amdhsa_kernarg_size 400
		.amdhsa_user_sgpr_count 13
		.amdhsa_user_sgpr_dispatch_ptr 0
		.amdhsa_user_sgpr_queue_ptr 0
		.amdhsa_user_sgpr_kernarg_segment_ptr 1
		.amdhsa_user_sgpr_dispatch_id 0
		.amdhsa_user_sgpr_private_segment_size 0
		.amdhsa_wavefront_size32 1
		.amdhsa_uses_dynamic_stack 0
		.amdhsa_enable_private_segment 1
		.amdhsa_system_sgpr_workgroup_id_x 1
		.amdhsa_system_sgpr_workgroup_id_y 1
		.amdhsa_system_sgpr_workgroup_id_z 1
		.amdhsa_system_sgpr_workgroup_info 0
		.amdhsa_system_vgpr_workitem_id 0
		.amdhsa_next_free_vgpr 192
		.amdhsa_next_free_sgpr 44
		.amdhsa_reserve_vcc 1
		.amdhsa_float_round_mode_32 0
		.amdhsa_float_round_mode_16_64 0
		.amdhsa_float_denorm_mode_32 3
		.amdhsa_float_denorm_mode_16_64 3
		.amdhsa_dx10_clamp 1
		.amdhsa_ieee_mode 1
		.amdhsa_fp16_overflow 0
		.amdhsa_workgroup_processor_mode 1
		.amdhsa_memory_ordered 1
		.amdhsa_forward_progress 0
		.amdhsa_shared_vgpr_count 0
		.amdhsa_exception_fp_ieee_invalid_op 0
		.amdhsa_exception_fp_denorm_src 0
		.amdhsa_exception_fp_ieee_div_zero 0
		.amdhsa_exception_fp_ieee_overflow 0
		.amdhsa_exception_fp_ieee_underflow 0
		.amdhsa_exception_fp_ieee_inexact 0
		.amdhsa_exception_int_div_zero 0
	.end_amdhsa_kernel
	.section	.text._ZN4vllm25paged_attention_v2_kernelIffLi192ELi32ELi128ELNS_18Fp8KVCacheDataTypeE0ELb1ELi512EEEvPfS2_PT_PKS3_PKT0_S9_ifPKiSB_iPKfiiiSD_SD_iiiii,"axG",@progbits,_ZN4vllm25paged_attention_v2_kernelIffLi192ELi32ELi128ELNS_18Fp8KVCacheDataTypeE0ELb1ELi512EEEvPfS2_PT_PKS3_PKT0_S9_ifPKiSB_iPKfiiiSD_SD_iiiii,comdat
.Lfunc_end52:
	.size	_ZN4vllm25paged_attention_v2_kernelIffLi192ELi32ELi128ELNS_18Fp8KVCacheDataTypeE0ELb1ELi512EEEvPfS2_PT_PKS3_PKT0_S9_ifPKiSB_iPKfiiiSD_SD_iiiii, .Lfunc_end52-_ZN4vllm25paged_attention_v2_kernelIffLi192ELi32ELi128ELNS_18Fp8KVCacheDataTypeE0ELb1ELi512EEEvPfS2_PT_PKS3_PKT0_S9_ifPKiSB_iPKfiiiSD_SD_iiiii
                                        ; -- End function
	.section	.AMDGPU.csdata,"",@progbits
; Kernel info:
; codeLenInByte = 22388
; NumSgprs: 46
; NumVgprs: 192
; ScratchSize: 512
; MemoryBound: 0
; FloatMode: 240
; IeeeMode: 1
; LDSByteSize: 800 bytes/workgroup (compile time only)
; SGPRBlocks: 5
; VGPRBlocks: 23
; NumSGPRsForWavesPerEU: 46
; NumVGPRsForWavesPerEU: 192
; Occupancy: 8
; WaveLimiterHint : 1
; COMPUTE_PGM_RSRC2:SCRATCH_EN: 1
; COMPUTE_PGM_RSRC2:USER_SGPR: 13
; COMPUTE_PGM_RSRC2:TRAP_HANDLER: 0
; COMPUTE_PGM_RSRC2:TGID_X_EN: 1
; COMPUTE_PGM_RSRC2:TGID_Y_EN: 1
; COMPUTE_PGM_RSRC2:TGID_Z_EN: 1
; COMPUTE_PGM_RSRC2:TIDIG_COMP_CNT: 0
	.text
	.p2align	2                               ; -- Begin function _ZN4vllm22paged_attention_kernelIffLi256ELi32ELi128ELNS_18Fp8KVCacheDataTypeE0ELb1ELi512EEEvPfS2_PT_PKS3_PKT0_S9_ifPKiSB_iPKfiiiSD_SD_iiiii
	.type	_ZN4vllm22paged_attention_kernelIffLi256ELi32ELi128ELNS_18Fp8KVCacheDataTypeE0ELb1ELi512EEEvPfS2_PT_PKS3_PKT0_S9_ifPKiSB_iPKfiiiSD_SD_iiiii,@function
_ZN4vllm22paged_attention_kernelIffLi256ELi32ELi128ELNS_18Fp8KVCacheDataTypeE0ELb1ELi512EEEvPfS2_PT_PKS3_PKT0_S9_ifPKiSB_iPKfiiiSD_SD_iiiii: ; @_ZN4vllm22paged_attention_kernelIffLi256ELi32ELi128ELNS_18Fp8KVCacheDataTypeE0ELb1ELi512EEEvPfS2_PT_PKS3_PKT0_S9_ifPKiSB_iPKfiiiSD_SD_iiiii
; %bb.0:
	s_waitcnt vmcnt(0) expcnt(0) lgkmcnt(0)
	s_clause 0x1f
	scratch_store_b32 off, v40, s32 offset:316
	; meta instruction
	scratch_store_b32 off, v41, s32 offset:312
	; meta instruction
	;; [unrolled: 2-line block ×31, first 2 shown]
	scratch_store_b32 off, v95, s32 offset:192
	s_clause 0x1f
	scratch_store_b32 off, v104, s32 offset:188
	; meta instruction
	scratch_store_b32 off, v105, s32 offset:184
	; meta instruction
	;; [unrolled: 2-line block ×31, first 2 shown]
	scratch_store_b32 off, v159, s32 offset:64
	s_clause 0xf
	scratch_store_b32 off, v168, s32 offset:60
	; meta instruction
	scratch_store_b32 off, v169, s32 offset:56
	; meta instruction
	scratch_store_b32 off, v170, s32 offset:52
	; meta instruction
	scratch_store_b32 off, v171, s32 offset:48
	; meta instruction
	scratch_store_b32 off, v172, s32 offset:44
	; meta instruction
	scratch_store_b32 off, v173, s32 offset:40
	; meta instruction
	scratch_store_b32 off, v174, s32 offset:36
	; meta instruction
	scratch_store_b32 off, v175, s32 offset:32
	; meta instruction
	scratch_store_b32 off, v184, s32 offset:28
	; meta instruction
	scratch_store_b32 off, v185, s32 offset:24
	; meta instruction
	scratch_store_b32 off, v186, s32 offset:20
	; meta instruction
	scratch_store_b32 off, v187, s32 offset:16
	; meta instruction
	scratch_store_b32 off, v188, s32 offset:12
	; meta instruction
	scratch_store_b32 off, v189, s32 offset:8
	; meta instruction
	scratch_store_b32 off, v190, s32 offset:4
	; meta instruction
	scratch_store_b32 off, v191, s32
	s_mov_b32 s6, s13
	s_ashr_i32 s7, s13, 31
	v_mov_b32_e32 v30, v0
	s_lshl_b64 s[0:1], s[6:7], 2
	scratch_store_b32 off, v22, s32 offset:960 ; 4-byte Folded Spill
	v_add_co_u32 v0, vcc_lo, v16, s0
	v_mov_b32_e32 v22, v1
	v_add_co_ci_u32_e32 v1, vcc_lo, s1, v17, vcc_lo
	s_clause 0x1
	scratch_store_b32 off, v5, s32 offset:1284
	scratch_store_b32 off, v4, s32 offset:1288
	v_dual_mov_b32 v162, v13 :: v_dual_mov_b32 v29, v10
	flat_load_b32 v47, v[0:1]
	v_dual_mov_b32 v32, v3 :: v_dual_mov_b32 v33, v2
	s_lshl_b32 s19, s14, 9
	s_mov_b32 s7, exec_lo
	s_waitcnt vmcnt(0) lgkmcnt(0)
	v_cmpx_lt_i32_e64 s19, v47
	s_cbranch_execz .LBB53_310
; %bb.1:
	v_sub_nc_u32_e32 v0, 0, v12
	s_clause 0x1
	s_load_b32 s0, s[8:9], 0x10
	s_load_b32 s1, s[8:9], 0x0
	s_mov_b32 s16, s15
	v_max_i32_e32 v0, v12, v0
	s_delay_alu instid0(VALU_DEP_1) | instskip(SKIP_1) | instid1(VALU_DEP_2)
	v_cvt_f32_u32_e32 v1, v0
	v_sub_nc_u32_e32 v2, 0, v0
	v_rcp_iflag_f32_e32 v1, v1
	s_waitcnt lgkmcnt(0)
	s_lshr_b32 s0, s0, 16
	s_delay_alu instid0(SALU_CYCLE_1)
	s_cmp_lg_u32 s0, 0
	s_cselect_b32 s0, -1, 0
	s_waitcnt_depctr 0xfff
	v_mul_f32_e32 v1, 0x4f7ffffe, v1
	s_cmp_lg_u32 s0, 0
	s_addc_u32 s18, s1, 0
	s_abs_i32 s1, s12
	s_delay_alu instid0(VALU_DEP_1) | instskip(SKIP_1) | instid1(VALU_DEP_1)
	v_cvt_u32_f32_e32 v1, v1
	s_abs_i32 s0, s18
	v_mul_lo_u32 v2, v2, v1
	s_delay_alu instid0(VALU_DEP_1) | instskip(NEXT) | instid1(VALU_DEP_1)
	v_mul_hi_u32 v2, v1, v2
	v_add_nc_u32_e32 v1, v1, v2
	s_delay_alu instid0(VALU_DEP_1) | instskip(NEXT) | instid1(VALU_DEP_1)
	v_mul_hi_u32 v1, s0, v1
	v_mul_lo_u32 v2, v1, v0
	v_add_nc_u32_e32 v3, 1, v1
	s_delay_alu instid0(VALU_DEP_2) | instskip(SKIP_1) | instid1(VALU_DEP_1)
	v_sub_nc_u32_e32 v2, s0, v2
	s_mov_b32 s0, exec_lo
	v_sub_nc_u32_e32 v4, v2, v0
	v_cmp_ge_u32_e32 vcc_lo, v2, v0
	s_delay_alu instid0(VALU_DEP_2) | instskip(SKIP_1) | instid1(VALU_DEP_2)
	v_dual_cndmask_b32 v1, v1, v3 :: v_dual_cndmask_b32 v2, v2, v4
	v_xor_b32_e32 v3, s18, v12
	v_add_nc_u32_e32 v4, 1, v1
	s_delay_alu instid0(VALU_DEP_3) | instskip(NEXT) | instid1(VALU_DEP_3)
	v_cmp_ge_u32_e32 vcc_lo, v2, v0
	v_ashrrev_i32_e32 v3, 31, v3
	s_delay_alu instid0(VALU_DEP_3) | instskip(NEXT) | instid1(VALU_DEP_1)
	v_cndmask_b32_e32 v0, v1, v4, vcc_lo
	v_xor_b32_e32 v0, v0, v3
	s_delay_alu instid0(VALU_DEP_1) | instskip(NEXT) | instid1(VALU_DEP_1)
	v_sub_nc_u32_e32 v3, v0, v3
	v_sub_nc_u32_e32 v0, 0, v3
	s_delay_alu instid0(VALU_DEP_1) | instskip(NEXT) | instid1(VALU_DEP_1)
	v_max_i32_e32 v2, v3, v0
	v_cvt_f32_u32_e32 v0, v2
	v_sub_nc_u32_e32 v1, 0, v2
	s_delay_alu instid0(VALU_DEP_2) | instskip(SKIP_2) | instid1(VALU_DEP_1)
	v_rcp_iflag_f32_e32 v0, v0
	s_waitcnt_depctr 0xfff
	v_mul_f32_e32 v0, 0x4f7ffffe, v0
	v_cvt_u32_f32_e32 v0, v0
	s_delay_alu instid0(VALU_DEP_1) | instskip(NEXT) | instid1(VALU_DEP_1)
	v_mul_lo_u32 v1, v1, v0
	v_mul_hi_u32 v1, v0, v1
	s_delay_alu instid0(VALU_DEP_1) | instskip(NEXT) | instid1(VALU_DEP_1)
	v_add_nc_u32_e32 v4, v0, v1
	v_mad_u64_u32 v[0:1], null, s1, v4, 0
	v_mov_b32_e32 v0, 0
	scratch_store_b32 off, v0, s32 offset:368 ; 4-byte Folded Spill
	v_cmpx_ne_u64_e32 0, v[19:20]
	s_cbranch_execz .LBB53_3
; %bb.2:
	s_ashr_i32 s13, s12, 31
	s_delay_alu instid0(SALU_CYCLE_1) | instskip(NEXT) | instid1(SALU_CYCLE_1)
	s_lshl_b64 s[2:3], s[12:13], 2
	v_add_co_u32 v4, vcc_lo, v19, s2
	v_add_co_ci_u32_e32 v5, vcc_lo, s3, v20, vcc_lo
	flat_load_b32 v0, v[4:5]
	s_waitcnt vmcnt(0) lgkmcnt(0)
	scratch_store_b32 off, v0, s32 offset:368 ; 4-byte Folded Spill
.LBB53_3:
	s_or_b32 exec_lo, exec_lo, s0
	v_and_b32_e32 v19, 0x3ff, v31
	v_ashrrev_i32_e32 v0, 31, v3
	s_ashr_i32 s2, s12, 31
	s_lshl_b32 s10, s12, 8
	s_delay_alu instid0(VALU_DEP_2) | instskip(NEXT) | instid1(VALU_DEP_1)
	v_cmp_gt_u32_e64 s0, 64, v19
	s_and_saveexec_b32 s3, s0
	s_cbranch_execz .LBB53_5
; %bb.4:
	v_mul_lo_u32 v3, s6, v21
	s_ashr_i32 s11, s10, 31
	v_lshlrev_b32_e32 v10, 4, v19
	s_lshl_b64 s[4:5], s[10:11], 2
	s_delay_alu instid0(VALU_DEP_2) | instskip(NEXT) | instid1(VALU_DEP_1)
	v_ashrrev_i32_e32 v4, 31, v3
	v_lshlrev_b64 v[3:4], 2, v[3:4]
	s_delay_alu instid0(VALU_DEP_1) | instskip(NEXT) | instid1(VALU_DEP_2)
	v_add_co_u32 v3, vcc_lo, v6, v3
	v_add_co_ci_u32_e32 v4, vcc_lo, v7, v4, vcc_lo
	s_delay_alu instid0(VALU_DEP_2) | instskip(NEXT) | instid1(VALU_DEP_2)
	v_add_co_u32 v3, vcc_lo, v3, s4
	v_add_co_ci_u32_e32 v4, vcc_lo, s5, v4, vcc_lo
	s_delay_alu instid0(VALU_DEP_2) | instskip(NEXT) | instid1(VALU_DEP_2)
	v_add_co_u32 v3, vcc_lo, v3, v10
	v_add_co_ci_u32_e32 v4, vcc_lo, 0, v4, vcc_lo
	flat_load_b128 v[3:6], v[3:4]
	s_waitcnt vmcnt(0) lgkmcnt(0)
	ds_store_b128 v10, v[3:6]
.LBB53_5:
	s_or_b32 exec_lo, exec_lo, s3
	v_sub_nc_u32_e32 v3, 0, v27
	v_mul_lo_u32 v4, v1, v2
	v_xor_b32_e32 v16, s2, v0
	v_add_nc_u32_e32 v6, 1, v1
	s_delay_alu instid0(VALU_DEP_4) | instskip(NEXT) | instid1(VALU_DEP_4)
	v_max_i32_e32 v130, v27, v3
	v_sub_nc_u32_e32 v4, s1, v4
	s_delay_alu instid0(VALU_DEP_2) | instskip(SKIP_1) | instid1(VALU_DEP_2)
	v_cvt_f32_u32_e32 v3, v130
	s_mov_b32 s1, exec_lo
	v_sub_nc_u32_e32 v7, v4, v2
	s_delay_alu instid0(VALU_DEP_2) | instskip(SKIP_1) | instid1(VALU_DEP_2)
	v_rcp_iflag_f32_e32 v3, v3
	v_cmp_ge_u32_e32 vcc_lo, v4, v2
	v_dual_cndmask_b32 v1, v1, v6 :: v_dual_cndmask_b32 v4, v4, v7
	s_waitcnt_depctr 0xfff
	v_dual_mul_f32 v3, 0x4f7ffffe, v3 :: v_dual_add_nc_u32 v6, 1, v1
	v_cmp_ge_u32_e32 vcc_lo, v4, v2
	s_delay_alu instid0(VALU_DEP_2) | instskip(SKIP_1) | instid1(VALU_DEP_4)
	v_cvt_u32_f32_e32 v5, v3
	v_sub_nc_u32_e32 v3, 0, v130
	v_cndmask_b32_e32 v0, v1, v6, vcc_lo
	s_delay_alu instid0(VALU_DEP_2) | instskip(SKIP_1) | instid1(VALU_DEP_3)
	v_mul_lo_u32 v10, v3, v5
	v_add_nc_u32_e32 v3, -1, v47
	v_xor_b32_e32 v4, v0, v16
	s_delay_alu instid0(VALU_DEP_3) | instskip(NEXT) | instid1(VALU_DEP_3)
	v_mul_hi_u32 v7, v5, v10
	v_sub_nc_u32_e32 v10, 0, v3
	s_delay_alu instid0(VALU_DEP_1) | instskip(NEXT) | instid1(VALU_DEP_3)
	v_max_i32_e32 v2, v3, v10
	v_add_nc_u32_e32 v5, v5, v7
	s_delay_alu instid0(VALU_DEP_1)
	v_mad_u64_u32 v[0:1], null, v2, v5, 0
	v_sub_nc_u32_e32 v0, v4, v16
	scratch_store_b32 off, v5, s32 offset:344 ; 4-byte Folded Spill
	s_waitcnt lgkmcnt(0)
	s_waitcnt_vscnt null, 0x0
	s_barrier
	buffer_gl0_inv
                                        ; implicit-def: $vgpr4
	scratch_store_b64 off, v[4:5], s32 offset:328 ; 8-byte Folded Spill
	v_cmpx_gt_i32_e32 0, v28
	s_xor_b32 s1, exec_lo, s1
	s_cbranch_execz .LBB53_7
; %bb.6:
	v_mad_u64_u32 v[4:5], null, v24, v12, v[0:1]
                                        ; implicit-def: $vgpr24
	s_delay_alu instid0(VALU_DEP_1) | instskip(NEXT) | instid1(VALU_DEP_1)
	v_mul_lo_u32 v4, v4, v28
                                        ; implicit-def: $vgpr28
	v_sub_nc_u32_e32 v4, 1, v4
	scratch_store_b64 off, v[4:5], s32 offset:328 ; 8-byte Folded Spill
.LBB53_7:
	s_or_saveexec_b32 s1, s1
	v_ashrrev_i32_e32 v3, 31, v3
	v_ashrrev_i32_e32 v4, 31, v27
	scratch_store_b32 off, v4, s32 offset:336 ; 4-byte Folded Spill
	s_xor_b32 exec_lo, exec_lo, s1
	s_cbranch_execz .LBB53_9
; %bb.8:
	v_mad_u64_u32 v[4:5], null, s18, v24, s[12:13]
	s_delay_alu instid0(VALU_DEP_1)
	v_mad_u64_u32 v[5:6], null, v4, v28, 1
	scratch_store_b64 off, v[5:6], s32 offset:328 ; 8-byte Folded Spill
.LBB53_9:
	s_or_b32 exec_lo, exec_lo, s1
	s_clause 0x1
	s_load_b32 s11, s[8:9], 0x14
	s_load_b32 s8, s[8:9], 0x8
	scratch_load_b32 v10, off, s32 offset:336 ; 4-byte Folded Reload
	v_mul_lo_u32 v4, v1, v130
	v_mul_lo_u32 v16, v0, v23
	s_lshl_b32 s9, s14, 4
	v_sub_nc_u32_e32 v149, 0, v26
	s_add_i32 s1, s9, 16
	s_delay_alu instid0(VALU_DEP_3) | instskip(SKIP_1) | instid1(VALU_DEP_4)
	v_sub_nc_u32_e32 v2, v2, v4
	v_add_nc_u32_e32 v4, 1, v1
	v_ashrrev_i32_e32 v17, 31, v16
	s_delay_alu instid0(VALU_DEP_3) | instskip(SKIP_1) | instid1(VALU_DEP_4)
	v_sub_nc_u32_e32 v7, v2, v130
	v_cmp_ge_u32_e32 vcc_lo, v2, v130
	v_dual_cndmask_b32 v4, v1, v4 :: v_dual_add_nc_u32 v5, 31, v47
	s_delay_alu instid0(VALU_DEP_1) | instskip(NEXT) | instid1(VALU_DEP_4)
	v_ashrrev_i32_e32 v6, 31, v5
	v_cndmask_b32_e32 v2, v2, v7, vcc_lo
	v_mul_lo_u32 v1, s6, v18
	s_delay_alu instid0(VALU_DEP_4) | instskip(NEXT) | instid1(VALU_DEP_4)
	v_add_nc_u32_e32 v7, 1, v4
	v_lshrrev_b32_e32 v6, 27, v6
	s_delay_alu instid0(VALU_DEP_4) | instskip(NEXT) | instid1(VALU_DEP_2)
	v_cmp_ge_u32_e32 vcc_lo, v2, v130
	v_dual_cndmask_b32 v2, v4, v7 :: v_dual_add_nc_u32 v5, v5, v6
	v_and_b32_e32 v4, 31, v19
	s_delay_alu instid0(VALU_DEP_2) | instskip(NEXT) | instid1(VALU_DEP_2)
	v_ashrrev_i32_e32 v12, 5, v5
	v_lshlrev_b32_e32 v20, 2, v4
	scratch_store_b32 off, v4, s32 offset:1020 ; 4-byte Folded Spill
	v_min_i32_e32 v6, s1, v12
	s_waitcnt vmcnt(0)
	v_xor_b32_e32 v3, v3, v10
	v_lshrrev_b32_e32 v10, 5, v19
	v_mov_b32_e32 v148, 0xff7fffff
	s_delay_alu instid0(VALU_DEP_3) | instskip(NEXT) | instid1(VALU_DEP_3)
	v_xor_b32_e32 v0, v2, v3
	v_add_nc_u32_e32 v5, s9, v10
	v_ashrrev_i32_e32 v2, 31, v1
	scratch_store_b32 off, v10, s32 offset:1276 ; 4-byte Folded Spill
	v_sub_nc_u32_e32 v0, v0, v3
	v_cmp_lt_i32_e64 s1, v5, v6
	v_lshlrev_b64 v[160:161], 2, v[1:2]
	v_mov_b32_e32 v1, v5
	s_clause 0x1
	scratch_store_b64 off, v[1:2], s32 offset:320
	scratch_store_b32 off, v6, s32 offset:340
	v_sub_nc_u32_e32 v0, v0, v25
	scratch_store_b32 off, v0, s32 offset:348 ; 4-byte Folded Spill
	s_mov_b32 s13, exec_lo
	s_delay_alu instid0(SALU_CYCLE_1)
	s_and_b32 s2, s13, s1
	scratch_store_b32 off, v19, s32 offset:1280 ; 4-byte Folded Spill
	s_mov_b32 exec_lo, s2
	s_cbranch_execz .LBB53_17
; %bb.10:
	s_clause 0x8
	scratch_store_b32 off, v12, s32 offset:820
	scratch_store_b32 off, v33, s32 offset:812
	;; [unrolled: 1-line block ×8, first 2 shown]
	scratch_store_b64 off, v[16:17], s32 offset:824
	scratch_load_b32 v148, off, s32 offset:1020 ; 4-byte Folded Reload
	v_lshlrev_b64 v[0:1], 2, v[16:17]
	v_mov_b32_e32 v4, 0
	s_ashr_i32 s17, s16, 31
	s_mov_b32 s15, 0
	s_lshl_b64 s[2:3], s[16:17], 2
	s_getpc_b64 s[4:5]
	s_add_u32 s4, s4, llvm.amdgcn.dynlds.offset.table@rel32@lo+4
	s_addc_u32 s5, s5, llvm.amdgcn.dynlds.offset.table@rel32@hi+12
	v_add_co_u32 v0, vcc_lo, v8, v0
	v_add_co_ci_u32_e32 v1, vcc_lo, v9, v1, vcc_lo
	s_add_u32 s4, s2, s4
	s_addc_u32 s5, s3, s5
	v_mov_b32_e32 v5, v26
	s_delay_alu instid0(VALU_DEP_1) | instskip(SKIP_2) | instid1(VALU_DEP_1)
	v_max_i32_e32 v21, v5, v149
	s_waitcnt vmcnt(0)
	v_lshlrev_b32_e32 v2, 4, v148
	v_add_co_u32 v0, vcc_lo, v0, v2
	scratch_store_b32 off, v0, s32 offset:384 ; 4-byte Folded Spill
	v_add_co_ci_u32_e32 v0, vcc_lo, 0, v1, vcc_lo
	scratch_store_b32 off, v0, s32 offset:400 ; 4-byte Folded Spill
	ds_load_b128 v[0:3], v4
	s_waitcnt lgkmcnt(0)
	scratch_store_b128 off, v[0:3], s32 offset:416 ; 16-byte Folded Spill
	ds_load_b128 v[0:3], v4 offset:16
	s_waitcnt lgkmcnt(0)
	scratch_store_b128 off, v[0:3], s32 offset:432 ; 16-byte Folded Spill
	ds_load_b128 v[0:3], v4 offset:32
	;; [unrolled: 3-line block ×23, first 2 shown]
	ds_load_b128 v[43:46], v4 offset:384
	ds_load_b128 v[56:59], v4 offset:400
	ds_load_b128 v[60:63], v4 offset:416
	ds_load_b128 v[72:75], v4 offset:432
	ds_load_b128 v[76:79], v4 offset:448
	ds_load_b128 v[88:91], v4 offset:464
	ds_load_b128 v[92:95], v4 offset:480
	ds_load_b128 v[104:107], v4 offset:496
	ds_load_b128 v[108:111], v4 offset:512
	ds_load_b128 v[120:123], v4 offset:528
	ds_load_b128 v[124:127], v4 offset:544
	ds_load_b128 v[136:139], v4 offset:560
	ds_load_b128 v[140:143], v4 offset:576
	ds_load_b128 v[152:155], v4 offset:592
	ds_load_b128 v[156:159], v4 offset:608
	ds_load_b128 v[168:171], v4 offset:624
	ds_load_b128 v[172:175], v4 offset:640
	ds_load_b128 v[184:187], v4 offset:656
	ds_load_b128 v[188:191], v4 offset:672
	ds_load_b128 v[6:9], v4 offset:688
	ds_load_b128 v[176:179], v4 offset:704
	ds_load_b128 v[180:183], v4 offset:720
	ds_load_b128 v[0:3], v4 offset:736
	ds_load_b128 v[16:19], v4 offset:752
	ds_load_b128 v[27:30], v4 offset:768
	ds_load_b128 v[31:34], v4 offset:784
	ds_load_b128 v[35:38], v4 offset:800
	ds_load_b128 v[48:51], v4 offset:816
	ds_load_b128 v[52:55], v4 offset:832
	ds_load_b128 v[64:67], v4 offset:848
	ds_load_b128 v[68:71], v4 offset:864
	ds_load_b128 v[80:83], v4 offset:880
	ds_load_b128 v[84:87], v4 offset:896
	ds_load_b128 v[96:99], v4 offset:912
	ds_load_b128 v[100:103], v4 offset:928
	ds_load_b128 v[112:115], v4 offset:944
	ds_load_b128 v[116:119], v4 offset:960
	ds_load_b128 v[128:131], v4 offset:976
	ds_load_b128 v[132:135], v4 offset:992
	ds_load_b128 v[144:147], v4 offset:1008
	scratch_load_b32 v4, off, s32 offset:368 ; 4-byte Folded Reload
	s_load_b32 s17, s[4:5], 0x0
	s_clause 0x1
	scratch_store_b32 off, v5, s32 offset:852
	scratch_store_b32 off, v149, s32 offset:816
	v_sub_nc_u32_e32 v5, 0, v21
	s_clause 0x3
	scratch_store_b32 off, v14, s32 offset:844
	scratch_store_b32 off, v15, s32 offset:848
	;; [unrolled: 1-line block ×4, first 2 shown]
	s_waitcnt vmcnt(0)
	v_cmp_neq_f32_e32 vcc_lo, 0, v4
	v_cvt_f32_u32_e32 v4, v21
	s_delay_alu instid0(VALU_DEP_1) | instskip(SKIP_2) | instid1(VALU_DEP_1)
	v_rcp_iflag_f32_e32 v4, v4
	s_waitcnt_depctr 0xfff
	v_mul_f32_e32 v4, 0x4f7ffffe, v4
	v_cvt_u32_f32_e32 v4, v4
	s_delay_alu instid0(VALU_DEP_1) | instskip(NEXT) | instid1(VALU_DEP_1)
	v_mul_lo_u32 v5, v5, v4
	v_mul_hi_u32 v5, v4, v5
	s_delay_alu instid0(VALU_DEP_1) | instskip(SKIP_3) | instid1(VALU_DEP_1)
	v_add_nc_u32_e32 v23, v4, v5
	scratch_load_b64 v[4:5], off, s32 offset:320 ; 8-byte Folded Reload
	s_waitcnt vmcnt(0)
	v_mov_b32_e32 v149, v4
	v_ashrrev_i32_e32 v150, 31, v149
	s_delay_alu instid0(VALU_DEP_1) | instskip(NEXT) | instid1(VALU_DEP_1)
	v_lshlrev_b64 v[4:5], 2, v[149:150]
	v_add_co_u32 v4, s2, v160, v4
	s_delay_alu instid0(VALU_DEP_1) | instskip(NEXT) | instid1(VALU_DEP_2)
	v_add_co_ci_u32_e64 v5, s2, v161, v5, s2
	v_add_co_u32 v4, s2, v14, v4
	scratch_load_b32 v14, off, s32 offset:1276 ; 4-byte Folded Reload
	v_add_co_ci_u32_e64 v5, s2, v15, v5, s2
	s_waitcnt vmcnt(0)
	v_lshl_add_u32 v22, v14, 5, s19
	v_lshl_or_b32 v20, v14, 7, v20
	v_sub_nc_u32_e32 v14, v148, v47
	v_mov_b32_e32 v148, 0xff7fffff
	s_delay_alu instid0(VALU_DEP_2)
	v_add_nc_u32_e32 v10, 1, v14
	v_mov_b32_e32 v14, v149
	v_mov_b32_e32 v151, v149
	s_clause 0x2
	scratch_store_b32 off, v10, s32 offset:784
	scratch_store_b64 off, v[160:161], s32 offset:832
	scratch_store_b64 off, v[14:15], s32 offset:320
	s_branch .LBB53_12
.LBB53_11:                              ;   in Loop: Header=BB53_12 Depth=1
	s_or_b32 exec_lo, exec_lo, s3
	scratch_load_b32 v14, off, s32 offset:340 ; 4-byte Folded Reload
	v_add_nc_u32_e32 v151, 4, v151
	v_add_co_u32 v4, s2, v4, 16
	s_delay_alu instid0(VALU_DEP_1) | instskip(SKIP_4) | instid1(VALU_DEP_1)
	v_add_co_ci_u32_e64 v5, s2, 0, v5, s2
	v_add_nc_u32_e32 v22, 0x80, v22
	v_add_nc_u32_e32 v20, 0x200, v20
	s_waitcnt vmcnt(0)
	v_cmp_ge_i32_e64 s2, v151, v14
	s_or_b32 s15, s2, s15
	s_delay_alu instid0(SALU_CYCLE_1)
	s_and_not1_b32 exec_lo, exec_lo, s15
	s_cbranch_execz .LBB53_16
.LBB53_12:                              ; =>This Inner Loop Header: Depth=1
	s_clause 0x2
	scratch_load_b32 v15, off, s32 offset:344
	scratch_load_b32 v160, off, s32 offset:352
	;; [unrolled: 1-line block ×3, first 2 shown]
	v_sub_nc_u32_e32 v14, 0, v22
	s_delay_alu instid0(VALU_DEP_1) | instskip(SKIP_1) | instid1(VALU_DEP_1)
	v_max_i32_e32 v14, v22, v14
	s_waitcnt vmcnt(2)
	v_mul_hi_u32 v15, v14, v15
	s_waitcnt vmcnt(1)
	s_delay_alu instid0(VALU_DEP_1) | instskip(NEXT) | instid1(VALU_DEP_1)
	v_mul_lo_u32 v149, v15, v160
	v_sub_nc_u32_e32 v14, v14, v149
	v_add_nc_u32_e32 v149, 1, v15
	s_delay_alu instid0(VALU_DEP_2) | instskip(SKIP_1) | instid1(VALU_DEP_1)
	v_sub_nc_u32_e32 v150, v14, v160
	v_cmp_ge_u32_e64 s2, v14, v160
	v_cndmask_b32_e64 v15, v15, v149, s2
	s_delay_alu instid0(VALU_DEP_3) | instskip(SKIP_1) | instid1(VALU_DEP_3)
	v_cndmask_b32_e64 v14, v14, v150, s2
	v_ashrrev_i32_e32 v149, 31, v22
	v_add_nc_u32_e32 v150, 1, v15
	s_delay_alu instid0(VALU_DEP_3) | instskip(SKIP_1) | instid1(VALU_DEP_3)
	v_cmp_ge_u32_e64 s2, v14, v160
	s_waitcnt vmcnt(0)
	v_xor_b32_e32 v149, v149, v161
	s_delay_alu instid0(VALU_DEP_2) | instskip(NEXT) | instid1(VALU_DEP_1)
	v_cndmask_b32_e64 v14, v15, v150, s2
	v_xor_b32_e32 v14, v14, v149
	s_delay_alu instid0(VALU_DEP_1) | instskip(SKIP_3) | instid1(VALU_DEP_1)
	v_sub_nc_u32_e32 v14, v14, v149
	scratch_load_b64 v[149:150], off, s32 offset:328 ; 8-byte Folded Reload
	s_waitcnt vmcnt(0)
	v_add_nc_u32_e32 v15, v14, v149
	v_sub_nc_u32_e32 v149, 0, v15
	s_delay_alu instid0(VALU_DEP_1) | instskip(SKIP_1) | instid1(VALU_DEP_2)
	v_max_i32_e32 v149, v15, v149
	v_ashrrev_i32_e32 v15, 31, v15
	v_mul_hi_u32 v150, v149, v23
	s_delay_alu instid0(VALU_DEP_1) | instskip(NEXT) | instid1(VALU_DEP_1)
	v_mul_lo_u32 v150, v150, v21
	v_sub_nc_u32_e32 v149, v149, v150
	s_delay_alu instid0(VALU_DEP_1) | instskip(SKIP_1) | instid1(VALU_DEP_1)
	v_sub_nc_u32_e32 v150, v149, v21
	v_cmp_ge_u32_e64 s2, v149, v21
	v_cndmask_b32_e64 v149, v149, v150, s2
	s_delay_alu instid0(VALU_DEP_1) | instskip(SKIP_1) | instid1(VALU_DEP_1)
	v_sub_nc_u32_e32 v150, v149, v21
	v_cmp_ge_u32_e64 s2, v149, v21
	v_cndmask_b32_e64 v149, v149, v150, s2
	s_delay_alu instid0(VALU_DEP_1) | instskip(NEXT) | instid1(VALU_DEP_1)
	v_xor_b32_e32 v149, v149, v15
	v_sub_nc_u32_e32 v15, v149, v15
	s_delay_alu instid0(VALU_DEP_1) | instskip(SKIP_3) | instid1(VALU_DEP_1)
	v_cmp_ne_u32_e64 s2, 0, v15
	scratch_load_b32 v15, off, s32 offset:348 ; 4-byte Folded Reload
	s_waitcnt vmcnt(0)
	v_cmp_le_i32_e64 s3, v14, v15
	s_and_b32 s2, s2, s3
	s_delay_alu instid0(SALU_CYCLE_1) | instskip(NEXT) | instid1(SALU_CYCLE_1)
	s_and_saveexec_b32 s3, s2
	s_xor_b32 s2, exec_lo, s3
	s_cbranch_execz .LBB53_14
; %bb.13:                               ;   in Loop: Header=BB53_12 Depth=1
	s_waitcnt lgkmcnt(0)
	v_add_nc_u32_e32 v14, s17, v20
	v_mov_b32_e32 v10, 0xff7fffff
	ds_store_b32 v14, v10
.LBB53_14:                              ;   in Loop: Header=BB53_12 Depth=1
	s_and_not1_saveexec_b32 s3, s2
	s_cbranch_execz .LBB53_11
; %bb.15:                               ;   in Loop: Header=BB53_12 Depth=1
	flat_load_b32 v149, v[4:5]
	scratch_load_b32 v150, off, s32 offset:960 ; 4-byte Folded Reload
	v_mov_b32_e32 v10, v23
	scratch_load_b128 v[23:26], off, s32 offset:432 ; 16-byte Folded Reload
	s_waitcnt vmcnt(1) lgkmcnt(0)
	v_mad_i64_i32 v[14:15], null, v149, v150, 0
	scratch_load_b32 v149, off, s32 offset:384 ; 4-byte Folded Reload
	v_lshlrev_b64 v[14:15], 2, v[14:15]
	s_waitcnt vmcnt(0)
	s_delay_alu instid0(VALU_DEP_1)
	v_add_co_u32 v14, s2, v149, v14
	scratch_load_b32 v149, off, s32 offset:400 ; 4-byte Folded Reload
	s_waitcnt vmcnt(0)
	v_add_co_ci_u32_e64 v15, s2, v149, v15, s2
	v_add_co_u32 v166, s2, 0x1000, v14
	flat_load_b128 v[160:163], v[14:15] offset:512
	v_add_co_ci_u32_e64 v167, s2, 0, v15, s2
	s_waitcnt vmcnt(0) lgkmcnt(0)
	v_dual_mul_f32 v150, v23, v160 :: v_dual_mul_f32 v149, v26, v163
	v_dual_mul_f32 v160, v24, v161 :: v_dual_mul_f32 v161, v25, v162
	flat_load_b128 v[162:165], v[14:15]
	scratch_load_b128 v[23:26], off, s32 offset:416 ; 16-byte Folded Reload
	s_waitcnt vmcnt(0) lgkmcnt(0)
	v_dual_fmac_f32 v161, v25, v164 :: v_dual_fmac_f32 v150, v23, v162
	v_dual_fmac_f32 v149, v26, v165 :: v_dual_fmac_f32 v160, v24, v163
	flat_load_b128 v[162:165], v[14:15] offset:1024
	scratch_load_b128 v[23:26], off, s32 offset:448 ; 16-byte Folded Reload
	s_waitcnt vmcnt(0) lgkmcnt(0)
	v_dual_fmac_f32 v161, v25, v164 :: v_dual_fmac_f32 v150, v23, v162
	v_dual_fmac_f32 v149, v26, v165 :: v_dual_fmac_f32 v160, v24, v163
	flat_load_b128 v[162:165], v[14:15] offset:1536
	;; [unrolled: 5-line block ×6, first 2 shown]
	scratch_load_b128 v[23:26], off, s32 offset:528 ; 16-byte Folded Reload
	s_waitcnt vmcnt(0) lgkmcnt(0)
	v_dual_fmac_f32 v161, v25, v164 :: v_dual_fmac_f32 v150, v23, v162
	v_dual_fmac_f32 v149, v26, v165 :: v_dual_fmac_f32 v160, v24, v163
	flat_load_b128 v[162:165], v[166:167]
	scratch_load_b128 v[23:26], off, s32 offset:544 ; 16-byte Folded Reload
	s_waitcnt vmcnt(0) lgkmcnt(0)
	v_dual_fmac_f32 v161, v25, v164 :: v_dual_fmac_f32 v150, v23, v162
	v_dual_fmac_f32 v149, v26, v165 :: v_dual_fmac_f32 v160, v24, v163
	flat_load_b128 v[162:165], v[166:167] offset:512
	scratch_load_b128 v[23:26], off, s32 offset:560 ; 16-byte Folded Reload
	s_waitcnt vmcnt(0) lgkmcnt(0)
	v_dual_fmac_f32 v161, v25, v164 :: v_dual_fmac_f32 v150, v23, v162
	v_dual_fmac_f32 v149, v26, v165 :: v_dual_fmac_f32 v160, v24, v163
	flat_load_b128 v[162:165], v[166:167] offset:1024
	;; [unrolled: 5-line block ×7, first 2 shown]
	scratch_load_b128 v[23:26], off, s32 offset:656 ; 16-byte Folded Reload
	v_add_co_u32 v166, s2, 0x2000, v14
	s_delay_alu instid0(VALU_DEP_1)
	v_add_co_ci_u32_e64 v167, s2, 0, v15, s2
	s_waitcnt vmcnt(0) lgkmcnt(0)
	v_dual_fmac_f32 v161, v25, v164 :: v_dual_fmac_f32 v150, v23, v162
	v_dual_fmac_f32 v149, v26, v165 :: v_dual_fmac_f32 v160, v24, v163
	flat_load_b128 v[162:165], v[166:167]
	scratch_load_b128 v[23:26], off, s32 offset:672 ; 16-byte Folded Reload
	s_waitcnt vmcnt(0) lgkmcnt(0)
	v_dual_fmac_f32 v161, v25, v164 :: v_dual_fmac_f32 v150, v23, v162
	v_dual_fmac_f32 v149, v26, v165 :: v_dual_fmac_f32 v160, v24, v163
	flat_load_b128 v[162:165], v[166:167] offset:512
	scratch_load_b128 v[23:26], off, s32 offset:688 ; 16-byte Folded Reload
	s_waitcnt vmcnt(0) lgkmcnt(0)
	v_dual_fmac_f32 v161, v25, v164 :: v_dual_fmac_f32 v150, v23, v162
	v_dual_fmac_f32 v149, v26, v165 :: v_dual_fmac_f32 v160, v24, v163
	flat_load_b128 v[162:165], v[166:167] offset:1024
	;; [unrolled: 5-line block ×5, first 2 shown]
	scratch_load_b128 v[23:26], off, s32 offset:752 ; 16-byte Folded Reload
	s_waitcnt vmcnt(0) lgkmcnt(0)
	v_dual_fmac_f32 v150, v23, v162 :: v_dual_fmac_f32 v161, v25, v164
	v_dual_mov_b32 v23, v10 :: v_dual_fmac_f32 v160, v24, v163
	v_fmac_f32_e32 v149, v26, v165
	flat_load_b128 v[162:165], v[166:167] offset:3072
	scratch_load_b128 v[10:13], off, s32 offset:768 ; 16-byte Folded Reload
	s_load_b32 s20, s[4:5], 0x0
	s_waitcnt vmcnt(0) lgkmcnt(0)
	v_dual_fmac_f32 v150, v10, v162 :: v_dual_fmac_f32 v161, v12, v164
	v_dual_fmac_f32 v160, v11, v163 :: v_dual_fmac_f32 v149, v13, v165
	flat_load_b128 v[162:165], v[166:167] offset:3584
	v_add_co_u32 v166, s2, 0x3000, v14
	s_delay_alu instid0(VALU_DEP_1)
	v_add_co_ci_u32_e64 v167, s2, 0, v15, s2
	scratch_load_b32 v10, off, s32 offset:784 ; 4-byte Folded Reload
	s_waitcnt vmcnt(1) lgkmcnt(0)
	v_dual_fmac_f32 v150, v39, v162 :: v_dual_fmac_f32 v161, v41, v164
	v_dual_fmac_f32 v160, v40, v163 :: v_dual_fmac_f32 v149, v42, v165
	flat_load_b128 v[162:165], v[166:167]
	s_waitcnt vmcnt(0) lgkmcnt(0)
	v_dual_fmac_f32 v150, v43, v162 :: v_dual_fmac_f32 v161, v45, v164
	v_dual_fmac_f32 v160, v44, v163 :: v_dual_fmac_f32 v149, v46, v165
	flat_load_b128 v[162:165], v[166:167] offset:512
	s_waitcnt vmcnt(0) lgkmcnt(0)
	v_dual_fmac_f32 v150, v56, v162 :: v_dual_fmac_f32 v161, v58, v164
	v_dual_fmac_f32 v160, v57, v163 :: v_dual_fmac_f32 v149, v59, v165
	flat_load_b128 v[162:165], v[166:167] offset:1024
	;; [unrolled: 4-line block ×7, first 2 shown]
	v_add_co_u32 v166, s2, 0x4000, v14
	s_delay_alu instid0(VALU_DEP_1)
	v_add_co_ci_u32_e64 v167, s2, 0, v15, s2
	s_waitcnt vmcnt(0) lgkmcnt(0)
	v_dual_fmac_f32 v150, v104, v162 :: v_dual_fmac_f32 v161, v106, v164
	v_dual_fmac_f32 v160, v105, v163 :: v_dual_fmac_f32 v149, v107, v165
	flat_load_b128 v[162:165], v[166:167]
	s_waitcnt vmcnt(0) lgkmcnt(0)
	v_dual_fmac_f32 v150, v108, v162 :: v_dual_fmac_f32 v161, v110, v164
	v_dual_fmac_f32 v160, v109, v163 :: v_dual_fmac_f32 v149, v111, v165
	flat_load_b128 v[162:165], v[166:167] offset:512
	s_waitcnt vmcnt(0) lgkmcnt(0)
	v_dual_fmac_f32 v150, v120, v162 :: v_dual_fmac_f32 v161, v122, v164
	v_dual_fmac_f32 v160, v121, v163 :: v_dual_fmac_f32 v149, v123, v165
	flat_load_b128 v[162:165], v[166:167] offset:1024
	;; [unrolled: 4-line block ×7, first 2 shown]
	v_add_co_u32 v166, s2, 0x5000, v14
	s_delay_alu instid0(VALU_DEP_1)
	v_add_co_ci_u32_e64 v167, s2, 0, v15, s2
	s_waitcnt vmcnt(0) lgkmcnt(0)
	v_dual_fmac_f32 v150, v168, v162 :: v_dual_fmac_f32 v161, v170, v164
	v_dual_fmac_f32 v160, v169, v163 :: v_dual_fmac_f32 v149, v171, v165
	flat_load_b128 v[162:165], v[166:167]
	s_waitcnt vmcnt(0) lgkmcnt(0)
	v_dual_fmac_f32 v150, v172, v162 :: v_dual_fmac_f32 v161, v174, v164
	v_dual_fmac_f32 v160, v173, v163 :: v_dual_fmac_f32 v149, v175, v165
	flat_load_b128 v[162:165], v[166:167] offset:512
	s_waitcnt vmcnt(0) lgkmcnt(0)
	v_dual_fmac_f32 v150, v184, v162 :: v_dual_fmac_f32 v161, v186, v164
	v_dual_fmac_f32 v160, v185, v163 :: v_dual_fmac_f32 v149, v187, v165
	flat_load_b128 v[162:165], v[166:167] offset:1024
	;; [unrolled: 4-line block ×7, first 2 shown]
	v_add_co_u32 v166, s2, 0x6000, v14
	s_delay_alu instid0(VALU_DEP_1) | instskip(SKIP_1) | instid1(VALU_DEP_1)
	v_add_co_ci_u32_e64 v167, s2, 0, v15, s2
	v_add_co_u32 v14, s2, 0x7000, v14
	v_add_co_ci_u32_e64 v15, s2, 0, v15, s2
	s_waitcnt vmcnt(0) lgkmcnt(0)
	v_dual_fmac_f32 v150, v16, v162 :: v_dual_fmac_f32 v161, v18, v164
	v_dual_fmac_f32 v160, v17, v163 :: v_dual_fmac_f32 v149, v19, v165
	flat_load_b128 v[162:165], v[166:167]
	s_waitcnt vmcnt(0) lgkmcnt(0)
	v_dual_fmac_f32 v150, v27, v162 :: v_dual_fmac_f32 v161, v29, v164
	v_dual_fmac_f32 v160, v28, v163 :: v_dual_fmac_f32 v149, v30, v165
	flat_load_b128 v[162:165], v[166:167] offset:512
	s_waitcnt vmcnt(0) lgkmcnt(0)
	v_dual_fmac_f32 v150, v31, v162 :: v_dual_fmac_f32 v161, v33, v164
	v_dual_fmac_f32 v160, v32, v163 :: v_dual_fmac_f32 v149, v34, v165
	flat_load_b128 v[162:165], v[166:167] offset:1024
	;; [unrolled: 4-line block ×7, first 2 shown]
	s_waitcnt vmcnt(0) lgkmcnt(0)
	v_dual_fmac_f32 v150, v80, v162 :: v_dual_fmac_f32 v161, v82, v164
	v_dual_fmac_f32 v160, v81, v163 :: v_dual_fmac_f32 v149, v83, v165
	flat_load_b128 v[162:165], v[14:15]
	s_waitcnt vmcnt(0) lgkmcnt(0)
	v_dual_fmac_f32 v150, v84, v162 :: v_dual_fmac_f32 v161, v86, v164
	v_dual_fmac_f32 v160, v85, v163 :: v_dual_fmac_f32 v149, v87, v165
	flat_load_b128 v[162:165], v[14:15] offset:512
	s_waitcnt vmcnt(0) lgkmcnt(0)
	v_dual_fmac_f32 v150, v96, v162 :: v_dual_fmac_f32 v161, v98, v164
	v_dual_fmac_f32 v160, v97, v163 :: v_dual_fmac_f32 v149, v99, v165
	flat_load_b128 v[162:165], v[14:15] offset:1024
	;; [unrolled: 4-line block ×7, first 2 shown]
	scratch_load_b32 v15, off, s32 offset:1020 ; 4-byte Folded Reload
	s_waitcnt vmcnt(1) lgkmcnt(0)
	v_dual_fmac_f32 v150, v144, v162 :: v_dual_fmac_f32 v161, v146, v164
	v_dual_fmac_f32 v160, v145, v163 :: v_dual_fmac_f32 v149, v147, v165
	s_waitcnt vmcnt(0)
	s_delay_alu instid0(VALU_DEP_1) | instskip(NEXT) | instid1(VALU_DEP_1)
	v_dual_add_f32 v14, v150, v160 :: v_dual_add_nc_u32 v15, v15, v22
	v_cmp_lt_i32_e64 s2, v15, v47
	s_delay_alu instid0(VALU_DEP_2) | instskip(NEXT) | instid1(VALU_DEP_1)
	v_add_f32_e32 v14, v161, v14
	v_add_f32_e32 v14, v149, v14
	scratch_load_b32 v149, off, s32 offset:368 ; 4-byte Folded Reload
	v_add_nc_u32_e32 v15, v10, v22
	scratch_load_b32 v10, off, s32 offset:788 ; 4-byte Folded Reload
	v_cvt_f32_i32_e32 v15, v15
	s_waitcnt vmcnt(1)
	s_delay_alu instid0(VALU_DEP_1) | instskip(NEXT) | instid1(VALU_DEP_1)
	v_mul_f32_e32 v15, v149, v15
	v_cndmask_b32_e32 v15, 0, v15, vcc_lo
	s_waitcnt vmcnt(0)
	s_delay_alu instid0(VALU_DEP_1) | instskip(NEXT) | instid1(VALU_DEP_1)
	v_dual_fmac_f32 v15, v14, v10 :: v_dual_add_nc_u32 v14, s20, v20
	v_cndmask_b32_e64 v149, 0, v15, s2
	ds_store_b32 v14, v149
	v_max_f32_e32 v14, v148, v148
	s_delay_alu instid0(VALU_DEP_1) | instskip(NEXT) | instid1(VALU_DEP_1)
	v_max_f32_e32 v14, v14, v15
	v_cndmask_b32_e64 v148, v148, v14, s2
	s_branch .LBB53_11
.LBB53_16:
	s_or_b32 exec_lo, exec_lo, s15
	s_waitcnt lgkmcnt(0)
	s_clause 0xf
	scratch_load_b32 v19, off, s32 offset:1280
	scratch_load_b32 v130, off, s32 offset:352
	;; [unrolled: 1-line block ×13, first 2 shown]
	scratch_load_b64 v[16:17], off, s32 offset:824
	scratch_load_b64 v[160:161], off, s32 offset:832
	scratch_load_b32 v20, off, s32 offset:840
.LBB53_17:
	s_or_b32 exec_lo, exec_lo, s13
	v_mbcnt_lo_u32_b32 v0, -1, 0
	s_waitcnt lgkmcnt(0)
	s_lshr_b32 s5, s11, 16
	s_delay_alu instid0(VALU_DEP_1) | instskip(SKIP_2) | instid1(VALU_DEP_3)
	v_xor_b32_e32 v1, 16, v0
	v_xor_b32_e32 v3, 8, v0
	;; [unrolled: 1-line block ×3, first 2 shown]
	v_cmp_gt_i32_e32 vcc_lo, 32, v1
	v_cndmask_b32_e32 v1, v0, v1, vcc_lo
	s_delay_alu instid0(VALU_DEP_4) | instskip(NEXT) | instid1(VALU_DEP_2)
	v_cmp_gt_i32_e32 vcc_lo, 32, v3
	v_dual_cndmask_b32 v3, v0, v3 :: v_dual_lshlrev_b32 v2, 2, v1
	v_cmp_gt_i32_e32 vcc_lo, 32, v5
	ds_bpermute_b32 v1, v2, v148
	v_dual_max_f32 v4, v148, v148 :: v_dual_lshlrev_b32 v3, 2, v3
	v_cndmask_b32_e32 v5, v0, v5, vcc_lo
	s_waitcnt lgkmcnt(0)
	v_max_f32_e32 v1, v1, v1
	s_delay_alu instid0(VALU_DEP_1)
	v_max_f32_e32 v1, v4, v1
	ds_bpermute_b32 v4, v3, v1
	s_waitcnt lgkmcnt(0)
	v_max_f32_e32 v4, v4, v4
	v_lshlrev_b32_e32 v100, 2, v5
	v_xor_b32_e32 v5, 2, v0
	s_delay_alu instid0(VALU_DEP_3) | instskip(NEXT) | instid1(VALU_DEP_2)
	v_max_f32_e32 v1, v1, v4
	v_cmp_gt_i32_e32 vcc_lo, 32, v5
	ds_bpermute_b32 v4, v100, v1
	v_cndmask_b32_e32 v5, v0, v5, vcc_lo
	s_delay_alu instid0(VALU_DEP_1) | instskip(SKIP_1) | instid1(VALU_DEP_1)
	v_lshlrev_b32_e32 v115, 2, v5
	v_xor_b32_e32 v5, 1, v0
	v_cmp_gt_i32_e32 vcc_lo, 32, v5
	v_cndmask_b32_e32 v5, v0, v5, vcc_lo
	s_waitcnt lgkmcnt(0)
	v_max_f32_e32 v4, v4, v4
	s_delay_alu instid0(VALU_DEP_1) | instskip(SKIP_3) | instid1(VALU_DEP_1)
	v_dual_max_f32 v1, v1, v4 :: v_dual_lshlrev_b32 v28, 2, v5
	ds_bpermute_b32 v4, v115, v1
	s_waitcnt lgkmcnt(0)
	v_max_f32_e32 v4, v4, v4
	v_max_f32_e32 v0, v1, v4
	scratch_load_b32 v4, off, s32 offset:1020 ; 4-byte Folded Reload
	ds_bpermute_b32 v1, v28, v0
	s_waitcnt vmcnt(0)
	v_cmp_eq_u32_e32 vcc_lo, 0, v4
	scratch_load_b32 v4, off, s32 offset:1276 ; 4-byte Folded Reload
	s_waitcnt vmcnt(0)
	v_lshlrev_b32_e32 v4, 2, v4
	s_and_saveexec_b32 s2, vcc_lo
	s_cbranch_execz .LBB53_19
; %bb.18:
	s_waitcnt lgkmcnt(0)
	v_dual_max_f32 v1, v1, v1 :: v_dual_max_f32 v0, v0, v0
	s_delay_alu instid0(VALU_DEP_1)
	v_max_f32_e32 v0, v0, v1
	ds_store_b32 v4, v0 offset:1024
.LBB53_19:
	s_or_b32 exec_lo, exec_lo, s2
	scratch_load_b32 v0, off, s32 offset:1020 ; 4-byte Folded Reload
	s_waitcnt vmcnt(0) lgkmcnt(0)
	s_waitcnt_vscnt null, 0x0
	s_barrier
	buffer_gl0_inv
	v_cmp_gt_u32_e64 s2, 4, v0
	v_mov_b32_e32 v0, 0xff7fffff
	s_delay_alu instid0(VALU_DEP_2)
	s_and_saveexec_b32 s3, s2
	s_cbranch_execz .LBB53_21
; %bb.20:
	ds_load_b32 v0, v20 offset:1024
.LBB53_21:
	s_or_b32 exec_lo, exec_lo, s3
	scratch_load_b32 v5, off, s32 offset:340 ; 4-byte Folded Reload
	s_waitcnt lgkmcnt(0)
	ds_bpermute_b32 v1, v115, v0
	s_waitcnt lgkmcnt(0)
	v_dual_max_f32 v0, v0, v0 :: v_dual_max_f32 v1, v1, v1
	s_delay_alu instid0(VALU_DEP_1)
	v_max_f32_e32 v0, v0, v1
	s_waitcnt vmcnt(0)
	v_subrev_nc_u32_e32 v6, s9, v5
	v_mov_b32_e32 v5, 0
	ds_bpermute_b32 v1, v28, v0
	s_waitcnt lgkmcnt(0)
	v_max_f32_e32 v1, v1, v1
	s_delay_alu instid0(VALU_DEP_1) | instskip(SKIP_3) | instid1(VALU_DEP_1)
	v_max_f32_e32 v0, v0, v1
	v_lshl_add_u32 v1, v6, 5, s19
	ds_bpermute_b32 v0, v5, v0
	v_min_i32_e32 v1, v1, v47
	v_subrev_nc_u32_e32 v1, s19, v1
	s_delay_alu instid0(VALU_DEP_1) | instskip(NEXT) | instid1(VALU_DEP_1)
	v_cmp_lt_i32_e64 s3, v19, v1
	s_and_saveexec_b32 s9, s3
	s_cbranch_execz .LBB53_25
; %bb.22:
	s_getpc_b64 s[20:21]
	s_add_u32 s20, s20, llvm.amdgcn.dynlds.offset.table@rel32@lo+4
	s_addc_u32 s21, s21, llvm.amdgcn.dynlds.offset.table@rel32@hi+12
	s_ashr_i32 s17, s16, 31
	v_mov_b32_e32 v5, 0
	s_lshl_b64 s[22:23], s[16:17], 2
	v_mov_b32_e32 v7, v19
	s_add_u32 s20, s22, s20
	s_addc_u32 s21, s23, s21
	s_mov_b32 s11, 0
	s_load_b32 s4, s[20:21], 0x0
	s_waitcnt lgkmcnt(0)
	v_lshl_add_u32 v6, v19, 2, s4
	.p2align	6
.LBB53_23:                              ; =>This Inner Loop Header: Depth=1
	ds_load_b32 v8, v6
	v_add_nc_u32_e32 v7, 0x80, v7
	s_delay_alu instid0(VALU_DEP_1) | instskip(NEXT) | instid1(VALU_DEP_1)
	v_cmp_ge_i32_e64 s4, v7, v1
	s_or_b32 s11, s4, s11
	s_waitcnt lgkmcnt(0)
	v_sub_f32_e32 v8, v8, v0
	s_delay_alu instid0(VALU_DEP_1) | instskip(NEXT) | instid1(VALU_DEP_1)
	v_mul_f32_e32 v8, 0x3fb8aa3b, v8
	v_exp_f32_e32 v8, v8
	ds_store_b32 v6, v8
	v_dual_add_f32 v5, v5, v8 :: v_dual_add_nc_u32 v6, 0x200, v6
	s_and_not1_b32 exec_lo, exec_lo, s11
	s_cbranch_execnz .LBB53_23
; %bb.24:
	s_or_b32 exec_lo, exec_lo, s11
.LBB53_25:
	s_delay_alu instid0(SALU_CYCLE_1)
	s_or_b32 exec_lo, exec_lo, s9
	ds_bpermute_b32 v2, v2, v5
	s_waitcnt lgkmcnt(0)
	v_add_f32_e32 v2, v5, v2
	ds_bpermute_b32 v3, v3, v2
	s_waitcnt lgkmcnt(0)
	v_add_f32_e32 v2, v2, v3
	;; [unrolled: 3-line block ×5, first 2 shown]
	s_and_saveexec_b32 s4, vcc_lo
	s_cbranch_execz .LBB53_27
; %bb.26:
	ds_store_b32 v4, v2 offset:1040
.LBB53_27:
	s_or_b32 exec_lo, exec_lo, s4
	s_waitcnt lgkmcnt(0)
	s_barrier
	buffer_gl0_inv
	s_and_saveexec_b32 s4, s2
	s_cbranch_execz .LBB53_29
; %bb.28:
	ds_load_b32 v2, v20 offset:1040
.LBB53_29:
	s_or_b32 exec_lo, exec_lo, s4
	s_waitcnt lgkmcnt(0)
	ds_bpermute_b32 v3, v115, v2
	s_waitcnt lgkmcnt(0)
	v_add_f32_e32 v2, v2, v3
	ds_bpermute_b32 v3, v28, v2
	s_waitcnt lgkmcnt(0)
	v_dual_add_f32 v2, v2, v3 :: v_dual_mov_b32 v3, 0
	ds_bpermute_b32 v2, v3, v2
	s_and_saveexec_b32 s2, s3
	s_cbranch_execz .LBB53_32
; %bb.30:
	s_waitcnt lgkmcnt(0)
	v_add_f32_e32 v4, 0x358637bd, v2
	s_getpc_b64 s[20:21]
	s_add_u32 s20, s20, llvm.amdgcn.dynlds.offset.table@rel32@lo+4
	s_addc_u32 s21, s21, llvm.amdgcn.dynlds.offset.table@rel32@hi+12
	s_ashr_i32 s17, s16, 31
	s_delay_alu instid0(SALU_CYCLE_1) | instskip(SKIP_4) | instid1(VALU_DEP_1)
	s_lshl_b64 s[22:23], s[16:17], 2
	v_div_scale_f32 v3, null, v4, v4, 1.0
	s_add_u32 s20, s22, s20
	s_addc_u32 s21, s23, s21
	s_load_b32 s3, s[20:21], 0x0
	v_rcp_f32_e32 v5, v3
	s_waitcnt_depctr 0xfff
	v_fma_f32 v6, -v3, v5, 1.0
	s_delay_alu instid0(VALU_DEP_1) | instskip(SKIP_1) | instid1(VALU_DEP_1)
	v_fmac_f32_e32 v5, v6, v5
	v_div_scale_f32 v7, vcc_lo, 1.0, v4, 1.0
	v_mul_f32_e32 v6, v7, v5
	s_delay_alu instid0(VALU_DEP_1) | instskip(NEXT) | instid1(VALU_DEP_1)
	v_fma_f32 v8, -v3, v6, v7
	v_fmac_f32_e32 v6, v8, v5
	s_delay_alu instid0(VALU_DEP_1) | instskip(NEXT) | instid1(VALU_DEP_1)
	v_fma_f32 v3, -v3, v6, v7
	v_div_fmas_f32 v5, v3, v5, v6
	s_waitcnt lgkmcnt(0)
	v_lshl_add_u32 v3, v19, 2, s3
	s_mov_b32 s3, 0
	s_delay_alu instid0(VALU_DEP_2)
	v_div_fixup_f32 v4, v5, v4, 1.0
	v_mov_b32_e32 v5, v19
.LBB53_31:                              ; =>This Inner Loop Header: Depth=1
	ds_load_b32 v6, v3
	s_waitcnt lgkmcnt(0)
	v_dual_mul_f32 v6, v4, v6 :: v_dual_add_nc_u32 v5, 0x80, v5
	s_delay_alu instid0(VALU_DEP_1) | instskip(SKIP_3) | instid1(SALU_CYCLE_1)
	v_cmp_ge_i32_e32 vcc_lo, v5, v1
	ds_store_b32 v3, v6
	v_add_nc_u32_e32 v3, 0x200, v3
	s_or_b32 s3, vcc_lo, s3
	s_and_not1_b32 exec_lo, exec_lo, s3
	s_cbranch_execnz .LBB53_31
.LBB53_32:
	s_or_b32 exec_lo, exec_lo, s2
	v_cmp_ne_u16_e64 s2, s5, 0
	s_waitcnt lgkmcnt(0)
	s_barrier
	buffer_gl0_inv
	s_cmp_lg_u32 s2, 0
	s_mov_b32 s2, exec_lo
	s_addc_u32 s4, s8, 0
	v_cmpx_eq_u32_e32 0, v19
	s_cbranch_execz .LBB53_34
; %bb.33:
	s_mul_i32 s3, s4, s6
	s_mul_i32 s8, s4, s12
	;; [unrolled: 1-line block ×3, first 2 shown]
	s_ashr_i32 s9, s8, 31
	s_ashr_i32 s15, s14, 31
	;; [unrolled: 1-line block ×3, first 2 shown]
	s_lshl_b64 s[8:9], s[8:9], 2
	s_lshl_b64 s[20:21], s[14:15], 2
	;; [unrolled: 1-line block ×3, first 2 shown]
	s_add_u32 s3, s20, s8
	s_addc_u32 s5, s21, s9
	s_add_u32 s3, s3, s12
	s_addc_u32 s5, s5, s13
	v_add_co_u32 v3, vcc_lo, s3, v33
	v_add_co_ci_u32_e32 v4, vcc_lo, s5, v32, vcc_lo
	v_add_co_u32 v5, vcc_lo, s3, v30
	v_add_co_ci_u32_e32 v6, vcc_lo, s5, v22, vcc_lo
	flat_store_b32 v[3:4], v0
	flat_store_b32 v[5:6], v2
.LBB53_34:
	s_or_b32 exec_lo, exec_lo, s2
	v_dual_mov_b32 v0, 0 :: v_dual_mov_b32 v1, 0
	s_ashr_i32 s17, s16, 31
	s_getpc_b64 s[2:3]
	s_add_u32 s2, s2, llvm.amdgcn.dynlds.offset.table@rel32@lo+4
	s_addc_u32 s3, s3, llvm.amdgcn.dynlds.offset.table@rel32@hi+12
	s_lshl_b64 s[8:9], s[16:17], 2
	scratch_store_b32 off, v0, s32 offset:956 ; 4-byte Folded Spill
	v_dual_mov_b32 v0, 0 :: v_dual_mov_b32 v9, 0
	v_mov_b32_e32 v10, 0
	v_dual_mov_b32 v8, 0 :: v_dual_mov_b32 v21, 0
	scratch_store_b32 off, v0, s32 offset:952 ; 4-byte Folded Spill
	v_mov_b32_e32 v0, 0
	v_mov_b32_e32 v20, 0
	v_dual_mov_b32 v114, 0 :: v_dual_mov_b32 v7, 0
	v_mov_b32_e32 v112, 0
	scratch_store_b32 off, v0, s32 offset:948 ; 4-byte Folded Spill
	v_mov_b32_e32 v0, 0
	v_dual_mov_b32 v6, 0 :: v_dual_mov_b32 v113, 0
	v_mov_b32_e32 v22, 0
	s_add_u32 s2, s8, s2
	scratch_store_b32 off, v0, s32 offset:944 ; 4-byte Folded Spill
	v_dual_mov_b32 v0, 0 :: v_dual_mov_b32 v103, 0
	s_addc_u32 s3, s9, s3
	s_mov_b32 s8, 0
	v_mov_b32_e32 v131, 0
	scratch_store_b32 off, v0, s32 offset:940 ; 4-byte Folded Spill
	v_mov_b32_e32 v0, 0
	scratch_store_b32 off, v0, s32 offset:936 ; 4-byte Folded Spill
	;; [unrolled: 2-line block ×46, first 2 shown]
	s_and_saveexec_b32 s5, s1
	s_cbranch_execz .LBB53_168
; %bb.35:
	v_lshlrev_b64 v[0:1], 2, v[16:17]
	v_add_co_u32 v3, vcc_lo, v14, v160
	v_max_i32_e32 v22, v26, v149
	s_clause 0x2
	scratch_store_b32 off, v100, s32 offset:1300
	scratch_store_b32 off, v115, s32 offset:1296
	;; [unrolled: 1-line block ×3, first 2 shown]
	v_dual_mov_b32 v131, 0 :: v_dual_lshlrev_b32 v2, 2, v19
	scratch_store_b32 off, v3, s32 offset:1024 ; 4-byte Folded Spill
	v_add_co_ci_u32_e32 v3, vcc_lo, v15, v161, vcc_lo
	v_add_co_u32 v0, vcc_lo, v29, v0
	v_cvt_f32_u32_e32 v23, v22
	v_or_b32_e32 v26, 0xf80, v2
	v_sub_nc_u32_e32 v49, 0, v22
	scratch_store_b32 off, v0, s32 offset:1036 ; 4-byte Folded Spill
	v_add_co_ci_u32_e32 v0, vcc_lo, v11, v1, vcc_lo
	v_rcp_iflag_f32_e32 v23, v23
	s_load_b32 s1, s[2:3], 0x0
	v_mov_b32_e32 v112, 0
	scratch_store_b32 off, v0, s32 offset:1040 ; 4-byte Folded Spill
	v_add_nc_u32_e32 v0, -1, v12
	v_mov_b32_e32 v114, 0
	s_lshl_b32 s9, s19, 2
	scratch_store_b32 off, v22, s32 offset:968 ; 4-byte Folded Spill
	v_mov_b32_e32 v113, 0
	v_mov_b32_e32 v103, 0
	v_mul_f32_e32 v23, 0x4f7ffffe, v23
	scratch_store_b32 off, v0, s32 offset:1044 ; 4-byte Folded Spill
	v_mov_b32_e32 v0, 0
	v_cvt_u32_f32_e32 v23, v23
	s_clause 0x1
	scratch_store_b32 off, v0, s32 offset:656
	scratch_store_b32 off, v3, s32 offset:1028
	v_and_b32_e32 v3, 28, v2
	v_mul_lo_u32 v49, v49, v23
	s_waitcnt lgkmcnt(0)
	s_sub_i32 s9, s1, s9
	scratch_store_b32 off, v3, s32 offset:1032 ; 4-byte Folded Spill
	v_and_b32_e32 v3, 0x7c, v2
	v_or_b32_e32 v2, 0x1f80, v2
	v_mul_hi_u32 v49, v23, v49
	s_delay_alu instid0(VALU_DEP_3)
	v_or_b32_e32 v0, 0x400, v3
	v_or_b32_e32 v1, 0x480, v3
	;; [unrolled: 1-line block ×5, first 2 shown]
	v_lshlrev_b32_e32 v0, 2, v0
	v_add_nc_u32_e32 v22, v23, v49
	scratch_store_b32 off, v0, s32 offset:1052 ; 4-byte Folded Spill
	v_lshlrev_b32_e32 v0, 2, v1
	scratch_store_b32 off, v0, s32 offset:1056 ; 4-byte Folded Spill
	v_lshlrev_b32_e32 v0, 2, v4
	;; [unrolled: 2-line block ×4, first 2 shown]
	v_mov_b32_e32 v6, 0
	v_or_b32_e32 v7, 0x680, v3
	v_or_b32_e32 v8, 0x700, v3
	v_or_b32_e32 v9, 0x780, v3
	scratch_store_b32 off, v0, s32 offset:1068 ; 4-byte Folded Spill
	v_or_b32_e32 v10, 0x800, v3
	v_lshlrev_b32_e32 v0, 2, v7
	v_or_b32_e32 v11, 0x880, v3
	v_or_b32_e32 v12, 0x900, v3
	;; [unrolled: 1-line block ×4, first 2 shown]
	scratch_store_b32 off, v0, s32 offset:1072 ; 4-byte Folded Spill
	v_lshlrev_b32_e32 v0, 2, v8
	v_or_b32_e32 v15, 0xa80, v3
	v_or_b32_e32 v16, 0xb00, v3
	;; [unrolled: 1-line block ×4, first 2 shown]
	scratch_store_b32 off, v0, s32 offset:1076 ; 4-byte Folded Spill
	v_dual_mov_b32 v9, 0 :: v_dual_lshlrev_b32 v0, 2, v9
	v_or_b32_e32 v19, 0xc80, v3
	v_or_b32_e32 v20, 0xd00, v3
	v_or_b32_e32 v21, 0xd80, v3
	scratch_store_b32 off, v0, s32 offset:1080 ; 4-byte Folded Spill
	v_lshlrev_b32_e32 v0, 2, v10
	v_or_b32_e32 v83, 0xe00, v3
	v_or_b32_e32 v24, 0xe80, v3
	v_or_b32_e32 v25, 0xf00, v3
	v_or_b32_e32 v27, 0x1000, v3
	scratch_store_b32 off, v0, s32 offset:1084 ; 4-byte Folded Spill
	v_lshlrev_b32_e32 v0, 2, v11
	v_or_b32_e32 v28, 0x1080, v3
	;; [unrolled: 6-line block ×9, first 2 shown]
	v_or_b32_e32 v82, 0x1f00, v3
	v_lshlrev_b32_e32 v3, 2, v3
	v_mov_b32_e32 v7, 0
	scratch_store_b32 off, v0, s32 offset:1116 ; 4-byte Folded Spill
	v_lshlrev_b32_e32 v0, 2, v19
	v_mov_b32_e32 v8, 0
	v_mov_b32_e32 v10, 0
	scratch_store_b32 off, v0, s32 offset:1120 ; 4-byte Folded Spill
	v_lshlrev_b32_e32 v0, 2, v20
	v_mov_b32_e32 v20, 0
	scratch_store_b32 off, v0, s32 offset:1124 ; 4-byte Folded Spill
	v_dual_mov_b32 v21, 0 :: v_dual_lshlrev_b32 v0, 2, v21
	scratch_store_b32 off, v0, s32 offset:1128 ; 4-byte Folded Spill
	v_lshlrev_b32_e32 v0, 2, v83
	scratch_store_b32 off, v0, s32 offset:1132 ; 4-byte Folded Spill
	v_lshlrev_b32_e32 v0, 2, v24
	;; [unrolled: 2-line block ×36, first 2 shown]
	scratch_store_b32 off, v0, s32 offset:1272 ; 4-byte Folded Spill
	v_mov_b32_e32 v0, 0
	scratch_store_b32 off, v22, s32 offset:972 ; 4-byte Folded Spill
	v_mov_b32_e32 v22, 0
	;; [unrolled: 2-line block ×3, first 2 shown]
	s_clause 0x1
	scratch_store_b32 off, v3, s32 offset:1048
	scratch_store_b32 off, v0, s32 offset:688
	v_mov_b32_e32 v0, 0
	scratch_store_b32 off, v0, s32 offset:704 ; 4-byte Folded Spill
	v_mov_b32_e32 v0, 0
	scratch_store_b32 off, v0, s32 offset:720 ; 4-byte Folded Spill
	v_mov_b32_e32 v0, 0
	scratch_store_b32 off, v0, s32 offset:736 ; 4-byte Folded Spill
	v_mov_b32_e32 v0, 0
	scratch_store_b32 off, v0, s32 offset:752 ; 4-byte Folded Spill
	v_mov_b32_e32 v0, 0
	scratch_store_b32 off, v0, s32 offset:768 ; 4-byte Folded Spill
	v_mov_b32_e32 v0, 0
	scratch_store_b32 off, v0, s32 offset:784 ; 4-byte Folded Spill
	v_mov_b32_e32 v0, 0
	scratch_store_b32 off, v0, s32 offset:788 ; 4-byte Folded Spill
	v_mov_b32_e32 v0, 0
	scratch_store_b32 off, v0, s32 offset:792 ; 4-byte Folded Spill
	v_mov_b32_e32 v0, 0
	scratch_store_b32 off, v0, s32 offset:796 ; 4-byte Folded Spill
	v_mov_b32_e32 v0, 0
	scratch_store_b32 off, v0, s32 offset:800 ; 4-byte Folded Spill
	v_mov_b32_e32 v0, 0
	scratch_store_b32 off, v0, s32 offset:804 ; 4-byte Folded Spill
	v_mov_b32_e32 v0, 0
	scratch_store_b32 off, v0, s32 offset:808 ; 4-byte Folded Spill
	v_mov_b32_e32 v0, 0
	scratch_store_b32 off, v0, s32 offset:812 ; 4-byte Folded Spill
	v_mov_b32_e32 v0, 0
	scratch_store_b32 off, v0, s32 offset:816 ; 4-byte Folded Spill
	v_mov_b32_e32 v0, 0
	scratch_store_b32 off, v0, s32 offset:820 ; 4-byte Folded Spill
	v_mov_b32_e32 v0, 0
	scratch_store_b32 off, v0, s32 offset:824 ; 4-byte Folded Spill
	v_mov_b32_e32 v0, 0
	scratch_store_b32 off, v0, s32 offset:832 ; 4-byte Folded Spill
	v_mov_b32_e32 v0, 0
	scratch_store_b32 off, v0, s32 offset:840 ; 4-byte Folded Spill
	v_mov_b32_e32 v0, 0
	scratch_store_b32 off, v0, s32 offset:844 ; 4-byte Folded Spill
	v_mov_b32_e32 v0, 0
	scratch_store_b32 off, v0, s32 offset:848 ; 4-byte Folded Spill
	v_mov_b32_e32 v0, 0
	scratch_store_b32 off, v0, s32 offset:852 ; 4-byte Folded Spill
	v_mov_b32_e32 v0, 0
	scratch_store_b32 off, v0, s32 offset:856 ; 4-byte Folded Spill
	v_mov_b32_e32 v0, 0
	scratch_store_b32 off, v0, s32 offset:860 ; 4-byte Folded Spill
	v_mov_b32_e32 v0, 0
	scratch_store_b32 off, v0, s32 offset:864 ; 4-byte Folded Spill
	v_mov_b32_e32 v0, 0
	scratch_store_b32 off, v0, s32 offset:868 ; 4-byte Folded Spill
	v_mov_b32_e32 v0, 0
	scratch_store_b32 off, v0, s32 offset:872 ; 4-byte Folded Spill
	v_mov_b32_e32 v0, 0
	scratch_store_b32 off, v0, s32 offset:876 ; 4-byte Folded Spill
	v_mov_b32_e32 v0, 0
	scratch_store_b32 off, v0, s32 offset:880 ; 4-byte Folded Spill
	v_mov_b32_e32 v0, 0
	scratch_store_b32 off, v0, s32 offset:884 ; 4-byte Folded Spill
	v_mov_b32_e32 v0, 0
	scratch_store_b32 off, v0, s32 offset:888 ; 4-byte Folded Spill
	v_mov_b32_e32 v0, 0
	scratch_store_b32 off, v0, s32 offset:892 ; 4-byte Folded Spill
	v_mov_b32_e32 v0, 0
	scratch_store_b32 off, v0, s32 offset:896 ; 4-byte Folded Spill
	v_mov_b32_e32 v0, 0
	scratch_store_b32 off, v0, s32 offset:900 ; 4-byte Folded Spill
	v_mov_b32_e32 v0, 0
	scratch_store_b32 off, v0, s32 offset:904 ; 4-byte Folded Spill
	v_mov_b32_e32 v0, 0
	scratch_store_b32 off, v0, s32 offset:908 ; 4-byte Folded Spill
	v_mov_b32_e32 v0, 0
	scratch_store_b32 off, v0, s32 offset:912 ; 4-byte Folded Spill
	v_mov_b32_e32 v0, 0
	scratch_store_b32 off, v0, s32 offset:916 ; 4-byte Folded Spill
	v_mov_b32_e32 v0, 0
	scratch_store_b32 off, v0, s32 offset:920 ; 4-byte Folded Spill
	v_mov_b32_e32 v0, 0
	scratch_store_b32 off, v0, s32 offset:924 ; 4-byte Folded Spill
	v_mov_b32_e32 v0, 0
	scratch_store_b32 off, v0, s32 offset:928 ; 4-byte Folded Spill
	v_mov_b32_e32 v0, 0
	scratch_store_b32 off, v0, s32 offset:932 ; 4-byte Folded Spill
	v_mov_b32_e32 v0, 0
	scratch_store_b32 off, v0, s32 offset:936 ; 4-byte Folded Spill
	v_mov_b32_e32 v0, 0
	scratch_store_b32 off, v0, s32 offset:940 ; 4-byte Folded Spill
	v_mov_b32_e32 v0, 0
	scratch_store_b32 off, v0, s32 offset:944 ; 4-byte Folded Spill
	v_mov_b32_e32 v0, 0
	scratch_store_b32 off, v0, s32 offset:948 ; 4-byte Folded Spill
	v_mov_b32_e32 v0, 0
	scratch_store_b32 off, v0, s32 offset:952 ; 4-byte Folded Spill
	v_mov_b32_e32 v0, 0
	scratch_store_b32 off, v0, s32 offset:964 ; 4-byte Folded Spill
	v_mov_b32_e32 v0, 0
	scratch_store_b32 off, v0, s32 offset:956 ; 4-byte Folded Spill
	scratch_load_b64 v[0:1], off, s32 offset:320 ; 8-byte Folded Reload
	s_branch .LBB53_38
.LBB53_36:                              ;   in Loop: Header=BB53_38 Depth=1
	s_or_b32 exec_lo, exec_lo, s1
	s_waitcnt lgkmcnt(2)
	v_mul_f32_e32 v21, v1, v113
	s_waitcnt lgkmcnt(1)
	v_mul_f32_e32 v20, v1, v117
	v_mul_f32_e32 v9, v1, v9
	;; [unrolled: 1-line block ×4, first 2 shown]
	v_fmac_f32_e32 v21, v0, v112
	v_fmac_f32_e32 v20, v0, v116
	v_dual_mul_f32 v112, v1, v101 :: v_dual_fmac_f32 v9, v0, v8
	v_fmac_f32_e32 v13, v0, v12
	s_delay_alu instid0(VALU_DEP_4) | instskip(NEXT) | instid1(VALU_DEP_4)
	v_fmac_f32_e32 v21, v2, v114
	v_dual_fmac_f32 v20, v2, v118 :: v_dual_fmac_f32 v97, v0, v96
	s_delay_alu instid0(VALU_DEP_4) | instskip(NEXT) | instid1(VALU_DEP_3)
	v_dual_fmac_f32 v112, v0, v100 :: v_dual_fmac_f32 v9, v2, v10
	v_fmac_f32_e32 v21, v3, v115
	s_delay_alu instid0(VALU_DEP_3) | instskip(NEXT) | instid1(VALU_DEP_4)
	v_dual_fmac_f32 v20, v3, v119 :: v_dual_fmac_f32 v13, v2, v14
	v_dual_fmac_f32 v97, v2, v98 :: v_dual_mul_f32 v36, v1, v36
	s_delay_alu instid0(VALU_DEP_4) | instskip(NEXT) | instid1(VALU_DEP_3)
	v_dual_fmac_f32 v112, v2, v102 :: v_dual_mul_f32 v81, v1, v81
	v_dual_add_f32 v131, v131, v20 :: v_dual_add_f32 v22, v22, v21
	s_delay_alu instid0(VALU_DEP_3)
	v_fmac_f32_e32 v97, v3, v99
	scratch_load_b128 v[98:101], off, s32 offset:640 ; 16-byte Folded Reload
	v_dual_fmac_f32 v112, v3, v103 :: v_dual_mul_f32 v85, v1, v85
	v_fmac_f32_e32 v36, v0, v35
	v_mul_f32_e32 v32, v1, v32
	v_mul_f32_e32 v28, v1, v28
	;; [unrolled: 1-line block ×3, first 2 shown]
	s_delay_alu instid0(VALU_DEP_4) | instskip(SKIP_2) | instid1(VALU_DEP_3)
	v_dual_fmac_f32 v85, v0, v84 :: v_dual_fmac_f32 v36, v2, v37
	v_fmac_f32_e32 v81, v0, v80
	v_fmac_f32_e32 v32, v0, v31
	v_dual_fmac_f32 v28, v0, v27 :: v_dual_fmac_f32 v85, v2, v86
	s_delay_alu instid0(VALU_DEP_4) | instskip(NEXT) | instid1(VALU_DEP_4)
	v_fmac_f32_e32 v36, v3, v38
	v_fmac_f32_e32 v81, v2, v82
	s_delay_alu instid0(VALU_DEP_4) | instskip(SKIP_2) | instid1(VALU_DEP_4)
	v_fmac_f32_e32 v32, v2, v33
	v_mul_f32_e32 v69, v1, v69
	v_dual_fmac_f32 v85, v3, v87 :: v_dual_fmac_f32 v28, v2, v29
	v_fmac_f32_e32 v81, v3, v83
	s_delay_alu instid0(VALU_DEP_3) | instskip(NEXT) | instid1(VALU_DEP_3)
	v_dual_fmac_f32 v32, v3, v34 :: v_dual_fmac_f32 v69, v0, v68
	v_dual_fmac_f32 v65, v0, v64 :: v_dual_fmac_f32 v28, v3, v30
	v_mul_f32_e32 v24, v1, v24
	s_delay_alu instid0(VALU_DEP_3) | instskip(NEXT) | instid1(VALU_DEP_3)
	v_dual_mul_f32 v8, v1, v189 :: v_dual_fmac_f32 v69, v2, v70
	v_fmac_f32_e32 v65, v2, v66
	s_delay_alu instid0(VALU_DEP_3) | instskip(NEXT) | instid1(VALU_DEP_3)
	v_dual_mul_f32 v49, v1, v49 :: v_dual_fmac_f32 v24, v0, v23
	v_dual_fmac_f32 v8, v0, v188 :: v_dual_fmac_f32 v69, v3, v71
	s_delay_alu instid0(VALU_DEP_3) | instskip(NEXT) | instid1(VALU_DEP_3)
	v_dual_fmac_f32 v65, v3, v67 :: v_dual_mul_f32 v10, v1, v185
	v_fmac_f32_e32 v24, v2, v25
	s_delay_alu instid0(VALU_DEP_3) | instskip(NEXT) | instid1(VALU_DEP_3)
	v_dual_mul_f32 v53, v1, v53 :: v_dual_fmac_f32 v8, v2, v190
	v_dual_mul_f32 v17, v1, v17 :: v_dual_fmac_f32 v10, v0, v184
	s_delay_alu instid0(VALU_DEP_2) | instskip(NEXT) | instid1(VALU_DEP_3)
	v_dual_fmac_f32 v24, v3, v26 :: v_dual_fmac_f32 v53, v0, v52
	v_dual_fmac_f32 v8, v3, v191 :: v_dual_fmac_f32 v49, v0, v48
	s_delay_alu instid0(VALU_DEP_3) | instskip(NEXT) | instid1(VALU_DEP_3)
	v_fmac_f32_e32 v10, v2, v186
	v_dual_mul_f32 v12, v1, v169 :: v_dual_fmac_f32 v53, v2, v54
	s_delay_alu instid0(VALU_DEP_3) | instskip(NEXT) | instid1(VALU_DEP_3)
	v_dual_mul_f32 v14, v1, v157 :: v_dual_fmac_f32 v49, v2, v50
	v_fmac_f32_e32 v10, v3, v187
	s_delay_alu instid0(VALU_DEP_3) | instskip(SKIP_1) | instid1(VALU_DEP_4)
	v_dual_fmac_f32 v12, v0, v168 :: v_dual_fmac_f32 v53, v3, v55
	v_fmac_f32_e32 v17, v0, v16
	v_dual_fmac_f32 v49, v3, v51 :: v_dual_fmac_f32 v14, v0, v156
	s_delay_alu instid0(VALU_DEP_3) | instskip(NEXT) | instid1(VALU_DEP_3)
	v_dual_fmac_f32 v12, v2, v170 :: v_dual_fmac_f32 v13, v3, v15
	v_dual_mul_f32 v16, v1, v141 :: v_dual_fmac_f32 v17, v2, v18
	v_mul_f32_e32 v18, v1, v137
	s_delay_alu instid0(VALU_DEP_3) | instskip(NEXT) | instid1(VALU_DEP_3)
	v_dual_fmac_f32 v12, v3, v171 :: v_dual_mul_f32 v15, v1, v153
	v_dual_fmac_f32 v16, v0, v140 :: v_dual_fmac_f32 v17, v3, v19
	v_dual_fmac_f32 v9, v3, v11 :: v_dual_fmac_f32 v14, v2, v158
	s_delay_alu instid0(VALU_DEP_4) | instskip(NEXT) | instid1(VALU_DEP_3)
	v_fmac_f32_e32 v18, v0, v136
	v_dual_fmac_f32 v16, v2, v142 :: v_dual_mul_f32 v11, v1, v173
	v_mul_f32_e32 v26, v1, v105
	s_delay_alu instid0(VALU_DEP_3) | instskip(NEXT) | instid1(VALU_DEP_3)
	v_dual_mul_f32 v19, v1, v125 :: v_dual_fmac_f32 v18, v2, v138
	v_dual_fmac_f32 v16, v3, v143 :: v_dual_fmac_f32 v11, v0, v172
	v_fmac_f32_e32 v14, v3, v159
	s_delay_alu instid0(VALU_DEP_4) | instskip(NEXT) | instid1(VALU_DEP_4)
	v_fmac_f32_e32 v26, v0, v104
	v_dual_fmac_f32 v18, v3, v139 :: v_dual_fmac_f32 v15, v0, v152
	s_delay_alu instid0(VALU_DEP_4) | instskip(NEXT) | instid1(VALU_DEP_3)
	v_dual_fmac_f32 v11, v2, v174 :: v_dual_mul_f32 v30, v1, v77
	v_dual_fmac_f32 v26, v2, v106 :: v_dual_mul_f32 v23, v1, v121
	s_delay_alu instid0(VALU_DEP_3) | instskip(NEXT) | instid1(VALU_DEP_3)
	v_fmac_f32_e32 v15, v2, v154
	v_dual_fmac_f32 v11, v3, v175 :: v_dual_fmac_f32 v30, v0, v76
	s_delay_alu instid0(VALU_DEP_3) | instskip(NEXT) | instid1(VALU_DEP_3)
	v_dual_fmac_f32 v26, v3, v107 :: v_dual_fmac_f32 v19, v0, v124
	v_dual_fmac_f32 v15, v3, v155 :: v_dual_mul_f32 v34, v1, v57
	s_delay_alu instid0(VALU_DEP_3) | instskip(NEXT) | instid1(VALU_DEP_3)
	v_dual_fmac_f32 v30, v2, v78 :: v_dual_mul_f32 v25, v1, v109
	v_dual_fmac_f32 v19, v2, v126 :: v_dual_mul_f32 v38, v1, v181
	s_delay_alu instid0(VALU_DEP_3) | instskip(NEXT) | instid1(VALU_DEP_3)
	v_fmac_f32_e32 v34, v0, v56
	v_dual_fmac_f32 v30, v3, v79 :: v_dual_fmac_f32 v23, v0, v120
	s_delay_alu instid0(VALU_DEP_3) | instskip(NEXT) | instid1(VALU_DEP_4)
	v_fmac_f32_e32 v19, v3, v127
	v_dual_mul_f32 v27, v1, v93 :: v_dual_fmac_f32 v38, v0, v180
	s_delay_alu instid0(VALU_DEP_4) | instskip(NEXT) | instid1(VALU_DEP_4)
	v_fmac_f32_e32 v34, v2, v58
	v_fmac_f32_e32 v23, v2, v122
	v_dual_fmac_f32 v25, v0, v108 :: v_dual_mul_f32 v48, v1, v165
	s_delay_alu instid0(VALU_DEP_4) | instskip(NEXT) | instid1(VALU_DEP_4)
	v_fmac_f32_e32 v38, v2, v182
	v_fmac_f32_e32 v34, v3, v59
	s_delay_alu instid0(VALU_DEP_4) | instskip(NEXT) | instid1(VALU_DEP_4)
	v_fmac_f32_e32 v23, v3, v123
	v_fmac_f32_e32 v25, v2, v110
	v_dual_mul_f32 v29, v1, v89 :: v_dual_fmac_f32 v48, v0, v164
	v_dual_fmac_f32 v38, v3, v183 :: v_dual_fmac_f32 v27, v0, v92
	s_delay_alu instid0(VALU_DEP_3) | instskip(NEXT) | instid1(VALU_DEP_3)
	v_dual_fmac_f32 v25, v3, v111 :: v_dual_mul_f32 v50, v1, v161
	v_dual_fmac_f32 v48, v2, v166 :: v_dual_mul_f32 v31, v1, v73
	s_delay_alu instid0(VALU_DEP_3) | instskip(NEXT) | instid1(VALU_DEP_3)
	v_dual_fmac_f32 v27, v2, v94 :: v_dual_mul_f32 v52, v1, v145
	v_fmac_f32_e32 v50, v0, v160
	s_delay_alu instid0(VALU_DEP_3) | instskip(NEXT) | instid1(VALU_DEP_3)
	v_dual_fmac_f32 v48, v3, v167 :: v_dual_fmac_f32 v29, v0, v88
	v_fmac_f32_e32 v27, v3, v95
	s_delay_alu instid0(VALU_DEP_4) | instskip(NEXT) | instid1(VALU_DEP_4)
	v_dual_mul_f32 v33, v1, v61 :: v_dual_fmac_f32 v52, v0, v144
	v_fmac_f32_e32 v50, v2, v162
	s_delay_alu instid0(VALU_DEP_4) | instskip(SKIP_1) | instid1(VALU_DEP_4)
	v_fmac_f32_e32 v29, v2, v90
	v_dual_fmac_f32 v31, v0, v72 :: v_dual_mul_f32 v54, v1, v133
	v_fmac_f32_e32 v52, v2, v146
	s_delay_alu instid0(VALU_DEP_4) | instskip(NEXT) | instid1(VALU_DEP_4)
	v_fmac_f32_e32 v50, v3, v163
	v_fmac_f32_e32 v29, v3, v91
	s_delay_alu instid0(VALU_DEP_4) | instskip(SKIP_2) | instid1(VALU_DEP_3)
	v_fmac_f32_e32 v31, v2, v74
	v_dual_mul_f32 v51, v1, v149 :: v_dual_fmac_f32 v54, v0, v132
	v_dual_fmac_f32 v52, v3, v147 :: v_dual_fmac_f32 v33, v0, v60
	v_fmac_f32_e32 v31, v3, v75
	scratch_load_b32 v21, off, s32 offset:1004 ; 4-byte Folded Reload
	v_fmac_f32_e32 v54, v2, v134
	scratch_load_b128 v[113:116], off, s32 offset:384 ; 16-byte Folded Reload
	v_fmac_f32_e32 v33, v2, v62
	scratch_load_b32 v20, off, s32 offset:1000 ; 4-byte Folded Reload
	v_fmac_f32_e32 v54, v3, v135
	s_waitcnt vmcnt(3)
	v_mul_f32_e32 v55, v1, v99
	s_delay_alu instid0(VALU_DEP_1) | instskip(NEXT) | instid1(VALU_DEP_1)
	v_fmac_f32_e32 v55, v0, v98
	v_fmac_f32_e32 v55, v2, v100
	s_delay_alu instid0(VALU_DEP_1)
	v_fmac_f32_e32 v55, v3, v101
	scratch_load_b128 v[98:101], off, s32 offset:624 ; 16-byte Folded Reload
	v_fmac_f32_e32 v51, v0, v148
	s_waitcnt vmcnt(1)
	v_add_f32_e32 v20, v20, v53
	s_waitcnt vmcnt(0)
	v_mul_f32_e32 v64, v1, v99
	s_delay_alu instid0(VALU_DEP_1) | instskip(NEXT) | instid1(VALU_DEP_1)
	v_dual_fmac_f32 v33, v3, v63 :: v_dual_fmac_f32 v64, v0, v98
	v_fmac_f32_e32 v64, v2, v100
	s_delay_alu instid0(VALU_DEP_1) | instskip(SKIP_3) | instid1(VALU_DEP_1)
	v_dual_mul_f32 v35, v1, v44 :: v_dual_fmac_f32 v64, v3, v101
	scratch_load_b128 v[98:101], off, s32 offset:608 ; 16-byte Folded Reload
	s_waitcnt vmcnt(0)
	v_dual_fmac_f32 v51, v2, v150 :: v_dual_mul_f32 v66, v1, v99
	v_dual_mul_f32 v37, v1, v40 :: v_dual_fmac_f32 v66, v0, v98
	s_delay_alu instid0(VALU_DEP_1) | instskip(NEXT) | instid1(VALU_DEP_1)
	v_dual_fmac_f32 v35, v0, v43 :: v_dual_fmac_f32 v66, v2, v100
	v_dual_fmac_f32 v37, v0, v39 :: v_dual_fmac_f32 v66, v3, v101
	scratch_load_b128 v[98:101], off, s32 offset:592 ; 16-byte Folded Reload
	s_waitcnt vmcnt(0)
	v_mul_f32_e32 v67, v1, v99
	s_delay_alu instid0(VALU_DEP_1) | instskip(NEXT) | instid1(VALU_DEP_1)
	v_fmac_f32_e32 v67, v0, v98
	v_fmac_f32_e32 v67, v2, v100
	s_delay_alu instid0(VALU_DEP_1) | instskip(SKIP_3) | instid1(VALU_DEP_1)
	v_fmac_f32_e32 v67, v3, v101
	scratch_load_b128 v[98:101], off, s32 offset:576 ; 16-byte Folded Reload
	s_waitcnt vmcnt(0)
	v_dual_fmac_f32 v35, v2, v45 :: v_dual_mul_f32 v68, v1, v99
	v_dual_fmac_f32 v37, v2, v41 :: v_dual_fmac_f32 v68, v0, v98
	s_delay_alu instid0(VALU_DEP_1) | instskip(NEXT) | instid1(VALU_DEP_1)
	v_dual_fmac_f32 v35, v3, v46 :: v_dual_fmac_f32 v68, v2, v100
	v_fmac_f32_e32 v68, v3, v101
	scratch_load_b128 v[98:101], off, s32 offset:560 ; 16-byte Folded Reload
	s_waitcnt vmcnt(0)
	v_dual_fmac_f32 v37, v3, v42 :: v_dual_mul_f32 v70, v1, v99
	s_delay_alu instid0(VALU_DEP_1) | instskip(NEXT) | instid1(VALU_DEP_1)
	v_dual_mul_f32 v39, v1, v177 :: v_dual_fmac_f32 v70, v0, v98
	v_dual_fmac_f32 v51, v3, v151 :: v_dual_fmac_f32 v70, v2, v100
	s_delay_alu instid0(VALU_DEP_1) | instskip(SKIP_3) | instid1(VALU_DEP_1)
	v_dual_fmac_f32 v39, v0, v176 :: v_dual_fmac_f32 v70, v3, v101
	scratch_load_b128 v[98:101], off, s32 offset:544 ; 16-byte Folded Reload
	s_waitcnt vmcnt(0)
	v_mul_f32_e32 v71, v1, v99
	v_fmac_f32_e32 v71, v0, v98
	s_delay_alu instid0(VALU_DEP_1) | instskip(NEXT) | instid1(VALU_DEP_1)
	v_fmac_f32_e32 v71, v2, v100
	v_fmac_f32_e32 v71, v3, v101
	scratch_load_b128 v[98:101], off, s32 offset:528 ; 16-byte Folded Reload
	s_waitcnt vmcnt(0)
	v_dual_fmac_f32 v39, v2, v178 :: v_dual_mul_f32 v80, v1, v99
	s_delay_alu instid0(VALU_DEP_1) | instskip(NEXT) | instid1(VALU_DEP_1)
	v_dual_fmac_f32 v39, v3, v179 :: v_dual_fmac_f32 v80, v0, v98
	v_fmac_f32_e32 v80, v2, v100
	s_delay_alu instid0(VALU_DEP_1) | instskip(SKIP_3) | instid1(VALU_DEP_1)
	v_fmac_f32_e32 v80, v3, v101
	scratch_load_b128 v[98:101], off, s32 offset:512 ; 16-byte Folded Reload
	s_waitcnt vmcnt(0)
	v_mul_f32_e32 v82, v1, v99
	v_fmac_f32_e32 v82, v0, v98
	s_delay_alu instid0(VALU_DEP_1) | instskip(NEXT) | instid1(VALU_DEP_1)
	v_fmac_f32_e32 v82, v2, v100
	v_fmac_f32_e32 v82, v3, v101
	scratch_load_b128 v[98:101], off, s32 offset:496 ; 16-byte Folded Reload
	s_waitcnt vmcnt(0)
	v_mul_f32_e32 v83, v1, v99
	s_delay_alu instid0(VALU_DEP_1) | instskip(NEXT) | instid1(VALU_DEP_1)
	v_fmac_f32_e32 v83, v0, v98
	v_fmac_f32_e32 v83, v2, v100
	s_delay_alu instid0(VALU_DEP_1) | instskip(SKIP_3) | instid1(VALU_DEP_1)
	v_fmac_f32_e32 v83, v3, v101
	scratch_load_b128 v[98:101], off, s32 offset:480 ; 16-byte Folded Reload
	s_waitcnt vmcnt(0)
	v_mul_f32_e32 v84, v1, v99
	v_fmac_f32_e32 v84, v0, v98
	s_delay_alu instid0(VALU_DEP_1) | instskip(NEXT) | instid1(VALU_DEP_1)
	v_fmac_f32_e32 v84, v2, v100
	v_fmac_f32_e32 v84, v3, v101
	scratch_load_b128 v[98:101], off, s32 offset:464 ; 16-byte Folded Reload
	s_waitcnt vmcnt(0)
	v_mul_f32_e32 v86, v1, v99
	s_delay_alu instid0(VALU_DEP_1) | instskip(NEXT) | instid1(VALU_DEP_1)
	v_fmac_f32_e32 v86, v0, v98
	;; [unrolled: 15-line block ×3, first 2 shown]
	v_fmac_f32_e32 v96, v2, v100
	s_delay_alu instid0(VALU_DEP_1) | instskip(SKIP_3) | instid1(VALU_DEP_1)
	v_fmac_f32_e32 v96, v3, v101
	scratch_load_b128 v[99:102], off, s32 offset:416 ; 16-byte Folded Reload
	s_waitcnt vmcnt(0)
	v_mul_f32_e32 v98, v1, v100
	v_fmac_f32_e32 v98, v0, v99
	s_delay_alu instid0(VALU_DEP_1) | instskip(NEXT) | instid1(VALU_DEP_1)
	v_fmac_f32_e32 v98, v2, v101
	v_fmac_f32_e32 v98, v3, v102
	scratch_load_b128 v[100:103], off, s32 offset:400 ; 16-byte Folded Reload
	s_waitcnt vmcnt(0)
	v_mul_f32_e32 v99, v1, v101
	s_delay_alu instid0(VALU_DEP_1) | instskip(NEXT) | instid1(VALU_DEP_1)
	v_dual_fmac_f32 v99, v0, v100 :: v_dual_mul_f32 v100, v1, v114
	v_dual_fmac_f32 v99, v2, v102 :: v_dual_fmac_f32 v100, v0, v113
	s_delay_alu instid0(VALU_DEP_1) | instskip(NEXT) | instid1(VALU_DEP_2)
	v_fmac_f32_e32 v99, v3, v103
	v_fmac_f32_e32 v100, v2, v115
	scratch_load_b32 v103, off, s32 offset:980 ; 4-byte Folded Reload
	v_fmac_f32_e32 v100, v3, v116
	scratch_load_b128 v[113:116], off, s32 offset:368 ; 16-byte Folded Reload
	s_waitcnt vmcnt(1)
	v_add_f32_e32 v103, v103, v97
	s_waitcnt vmcnt(0)
	v_mul_f32_e32 v101, v1, v114
	s_delay_alu instid0(VALU_DEP_1) | instskip(NEXT) | instid1(VALU_DEP_1)
	v_fmac_f32_e32 v101, v0, v113
	v_fmac_f32_e32 v101, v2, v115
	s_delay_alu instid0(VALU_DEP_1)
	v_fmac_f32_e32 v101, v3, v116
	scratch_load_b128 v[113:116], off, s32 offset:352 ; 16-byte Folded Reload
	s_waitcnt vmcnt(0)
	v_mul_f32_e32 v102, v1, v114
	s_waitcnt lgkmcnt(0)
	v_mul_f32_e32 v1, v1, v5
	scratch_load_b32 v114, off, s32 offset:992 ; 4-byte Folded Reload
	v_fmac_f32_e32 v1, v0, v4
	v_fmac_f32_e32 v102, v0, v113
	s_clause 0x1
	scratch_load_b32 v113, off, s32 offset:988
	scratch_load_b32 v0, off, s32 offset:672
	v_add_f32_e32 v21, v21, v49
	v_fmac_f32_e32 v1, v2, v6
	scratch_load_b32 v6, off, s32 offset:976 ; 4-byte Folded Reload
	v_fmac_f32_e32 v102, v2, v115
	v_fmac_f32_e32 v1, v3, v7
	scratch_load_b32 v7, off, s32 offset:996 ; 4-byte Folded Reload
	s_waitcnt vmcnt(3)
	v_dual_fmac_f32 v102, v3, v116 :: v_dual_add_f32 v113, v113, v81
	s_waitcnt vmcnt(2)
	v_add_f32_e32 v0, v0, v36
	scratch_store_b32 off, v0, s32 offset:672 ; 4-byte Folded Spill
	scratch_load_b32 v0, off, s32 offset:688 ; 4-byte Folded Reload
	v_add_f32_e32 v114, v114, v69
	s_waitcnt vmcnt(0)
	v_add_f32_e32 v0, v0, v32
	scratch_store_b32 off, v0, s32 offset:688 ; 4-byte Folded Spill
	scratch_load_b32 v0, off, s32 offset:704 ; 4-byte Folded Reload
	s_waitcnt vmcnt(0)
	v_dual_add_f32 v7, v7, v65 :: v_dual_add_f32 v0, v0, v28
	scratch_store_b32 off, v0, s32 offset:704 ; 4-byte Folded Spill
	scratch_load_b32 v0, off, s32 offset:720 ; 4-byte Folded Reload
	s_waitcnt vmcnt(0)
	v_add_f32_e32 v0, v0, v24
	scratch_store_b32 off, v0, s32 offset:720 ; 4-byte Folded Spill
	scratch_load_b32 v0, off, s32 offset:736 ; 4-byte Folded Reload
	s_waitcnt vmcnt(0)
	v_add_f32_e32 v0, v0, v17
	scratch_store_b32 off, v0, s32 offset:736 ; 4-byte Folded Spill
	scratch_load_b32 v0, off, s32 offset:752 ; 4-byte Folded Reload
	s_waitcnt vmcnt(0)
	v_add_f32_e32 v0, v0, v13
	scratch_store_b32 off, v0, s32 offset:752 ; 4-byte Folded Spill
	scratch_load_b32 v0, off, s32 offset:1008 ; 4-byte Folded Reload
	s_waitcnt vmcnt(0)
	v_add_f32_e32 v9, v0, v9
	scratch_load_b32 v0, off, s32 offset:1012 ; 4-byte Folded Reload
	s_waitcnt vmcnt(0)
	v_add_f32_e32 v8, v0, v8
	scratch_load_b32 v0, off, s32 offset:1016 ; 4-byte Folded Reload
	s_waitcnt vmcnt(0)
	v_add_f32_e32 v10, v0, v10
	scratch_load_b32 v0, off, s32 offset:768 ; 4-byte Folded Reload
	s_waitcnt vmcnt(0)
	v_add_f32_e32 v0, v0, v11
	scratch_store_b32 off, v0, s32 offset:768 ; 4-byte Folded Spill
	scratch_load_b32 v0, off, s32 offset:784 ; 4-byte Folded Reload
	s_waitcnt vmcnt(0)
	v_add_f32_e32 v0, v0, v12
	scratch_store_b32 off, v0, s32 offset:784 ; 4-byte Folded Spill
	scratch_load_b32 v0, off, s32 offset:788 ; 4-byte Folded Reload
	s_waitcnt vmcnt(0)
	v_add_f32_e32 v0, v0, v14
	;; [unrolled: 4-line block ×43, first 2 shown]
	scratch_store_b32 off, v0, s32 offset:956 ; 4-byte Folded Spill
	scratch_load_b32 v0, off, s32 offset:656 ; 4-byte Folded Reload
	v_add_f32_e32 v6, v6, v112
	scratch_load_b32 v112, off, s32 offset:984 ; 4-byte Folded Reload
	s_waitcnt vmcnt(0)
	v_add_f32_e32 v112, v112, v85
	v_add_f32_e32 v0, v0, v1
	scratch_store_b32 off, v0, s32 offset:656 ; 4-byte Folded Spill
.LBB53_37:                              ;   in Loop: Header=BB53_38 Depth=1
	s_or_b32 exec_lo, exec_lo, s11
	s_clause 0x1
	scratch_load_b64 v[0:1], off, s32 offset:320
	scratch_load_b32 v1, off, s32 offset:340
	s_waitcnt vmcnt(1)
	v_add_nc_u32_e32 v0, 4, v0
	s_waitcnt vmcnt(0)
	s_delay_alu instid0(VALU_DEP_1) | instskip(SKIP_1) | instid1(SALU_CYCLE_1)
	v_cmp_ge_i32_e32 vcc_lo, v0, v1
	s_or_b32 s8, vcc_lo, s8
	s_and_not1_b32 exec_lo, exec_lo, s8
	s_cbranch_execz .LBB53_167
.LBB53_38:                              ; =>This Inner Loop Header: Depth=1
	scratch_load_b32 v2, off, s32 offset:344 ; 4-byte Folded Reload
	s_waitcnt vmcnt(1)
	v_mov_b32_e32 v5, v0
	s_delay_alu instid0(VALU_DEP_1) | instskip(NEXT) | instid1(VALU_DEP_1)
	v_lshlrev_b32_e32 v0, 5, v5
	v_sub_nc_u32_e32 v1, 0, v0
	s_delay_alu instid0(VALU_DEP_1) | instskip(SKIP_1) | instid1(VALU_DEP_1)
	v_max_i32_e32 v1, v0, v1
	s_waitcnt vmcnt(0)
	v_mul_hi_u32 v2, v1, v2
	s_delay_alu instid0(VALU_DEP_1) | instskip(NEXT) | instid1(VALU_DEP_1)
	v_mul_lo_u32 v3, v2, v130
	v_sub_nc_u32_e32 v1, v1, v3
	v_add_nc_u32_e32 v3, 1, v2
	s_delay_alu instid0(VALU_DEP_2) | instskip(SKIP_1) | instid1(VALU_DEP_3)
	v_cmp_ge_u32_e32 vcc_lo, v1, v130
	v_sub_nc_u32_e32 v4, v1, v130
	v_dual_cndmask_b32 v2, v2, v3 :: v_dual_mov_b32 v3, v5
	s_delay_alu instid0(VALU_DEP_2)
	v_cndmask_b32_e32 v1, v1, v4, vcc_lo
	scratch_store_b64 off, v[3:4], s32 offset:320 ; 8-byte Folded Spill
	v_add_nc_u32_e32 v4, 1, v2
	v_bfe_i32 v3, v5, 26, 1
	scratch_load_b32 v5, off, s32 offset:336 ; 4-byte Folded Reload
	v_cmp_ge_u32_e32 vcc_lo, v1, v130
	v_cndmask_b32_e32 v1, v2, v4, vcc_lo
	scratch_load_b32 v4, off, s32 offset:972 ; 4-byte Folded Reload
	s_waitcnt vmcnt(1)
	v_xor_b32_e32 v3, v3, v5
	scratch_load_b32 v5, off, s32 offset:968 ; 4-byte Folded Reload
	v_xor_b32_e32 v1, v1, v3
	s_delay_alu instid0(VALU_DEP_1) | instskip(SKIP_3) | instid1(VALU_DEP_1)
	v_sub_nc_u32_e32 v1, v1, v3
	scratch_load_b64 v[2:3], off, s32 offset:328 ; 8-byte Folded Reload
	s_waitcnt vmcnt(0)
	v_add_nc_u32_e32 v2, v1, v2
	v_sub_nc_u32_e32 v3, 0, v2
	s_delay_alu instid0(VALU_DEP_1) | instskip(NEXT) | instid1(VALU_DEP_1)
	v_max_i32_e32 v3, v2, v3
	v_mul_hi_u32 v4, v3, v4
	s_delay_alu instid0(VALU_DEP_1) | instskip(NEXT) | instid1(VALU_DEP_1)
	v_mul_lo_u32 v4, v4, v5
	v_sub_nc_u32_e32 v3, v3, v4
	s_delay_alu instid0(VALU_DEP_1) | instskip(SKIP_1) | instid1(VALU_DEP_2)
	v_sub_nc_u32_e32 v4, v3, v5
	v_cmp_ge_u32_e32 vcc_lo, v3, v5
	v_cndmask_b32_e32 v3, v3, v4, vcc_lo
	v_ashrrev_i32_e32 v2, 31, v2
	s_delay_alu instid0(VALU_DEP_2) | instskip(SKIP_1) | instid1(VALU_DEP_2)
	v_sub_nc_u32_e32 v4, v3, v5
	v_cmp_ge_u32_e32 vcc_lo, v3, v5
	v_cndmask_b32_e32 v3, v3, v4, vcc_lo
	s_delay_alu instid0(VALU_DEP_1) | instskip(NEXT) | instid1(VALU_DEP_1)
	v_xor_b32_e32 v3, v3, v2
	v_sub_nc_u32_e32 v2, v3, v2
	s_delay_alu instid0(VALU_DEP_1) | instskip(SKIP_3) | instid1(VALU_DEP_1)
	v_cmp_eq_u32_e32 vcc_lo, 0, v2
	scratch_load_b32 v2, off, s32 offset:348 ; 4-byte Folded Reload
	s_waitcnt vmcnt(0)
	v_cmp_gt_i32_e64 s1, v1, v2
	s_or_b32 s1, vcc_lo, s1
	s_delay_alu instid0(SALU_CYCLE_1)
	s_and_saveexec_b32 s11, s1
	s_cbranch_execz .LBB53_37
; %bb.39:                               ;   in Loop: Header=BB53_38 Depth=1
	s_clause 0xa
	scratch_store_b32 off, v10, s32 offset:1016
	scratch_store_b32 off, v8, s32 offset:1012
	;; [unrolled: 1-line block ×11, first 2 shown]
	s_clause 0x1
	scratch_load_b64 v[1:2], off, s32 offset:320
	scratch_load_b32 v3, off, s32 offset:1024
	s_waitcnt vmcnt(1)
	v_mov_b32_e32 v9, v1
	s_delay_alu instid0(VALU_DEP_1) | instskip(SKIP_1) | instid1(VALU_DEP_2)
	v_ashrrev_i32_e32 v10, 31, v9
	v_mov_b32_e32 v8, v9
	v_lshlrev_b64 v[1:2], 2, v[9:10]
	s_waitcnt vmcnt(0)
	s_delay_alu instid0(VALU_DEP_1)
	v_add_co_u32 v1, vcc_lo, v3, v1
	scratch_load_b32 v3, off, s32 offset:1028 ; 4-byte Folded Reload
	s_waitcnt vmcnt(0)
	v_add_co_ci_u32_e32 v2, vcc_lo, v3, v2, vcc_lo
	flat_load_b32 v3, v[1:2]
	scratch_load_b32 v4, off, s32 offset:960 ; 4-byte Folded Reload
	scratch_store_b64 off, v[8:9], s32 offset:320 ; 8-byte Folded Spill
	scratch_load_b32 v8, off, s32 offset:1044 ; 4-byte Folded Reload
	s_waitcnt vmcnt(1) lgkmcnt(0)
	v_mad_i64_i32 v[1:2], null, v3, v4, 0
	scratch_load_b32 v3, off, s32 offset:1036 ; 4-byte Folded Reload
	v_lshlrev_b64 v[1:2], 2, v[1:2]
	s_waitcnt vmcnt(0)
	s_delay_alu instid0(VALU_DEP_1)
	v_add_co_u32 v6, vcc_lo, v3, v1
	scratch_load_b32 v1, off, s32 offset:1040 ; 4-byte Folded Reload
	s_waitcnt vmcnt(0)
	v_add_co_ci_u32_e32 v7, vcc_lo, v1, v2, vcc_lo
	scratch_load_b32 v1, off, s32 offset:1048 ; 4-byte Folded Reload
	s_waitcnt vmcnt(0)
	v_add_co_u32 v4, vcc_lo, v6, v1
	v_add_co_ci_u32_e32 v5, vcc_lo, 0, v7, vcc_lo
	scratch_load_b32 v1, off, s32 offset:1032 ; 4-byte Folded Reload
	v_cmp_eq_u32_e32 vcc_lo, v9, v8
	flat_load_b128 v[10:13], v[4:5]
	s_waitcnt vmcnt(1)
	v_or_b32_e32 v21, v0, v1
	s_waitcnt vmcnt(0) lgkmcnt(0)
	scratch_store_b128 off, v[10:13], s32 offset:352 ; 16-byte Folded Spill
	v_lshl_add_u32 v0, v21, 2, s9
	v_or_b32_e32 v128, 1, v21
	v_or_b32_e32 v20, 2, v21
	;; [unrolled: 1-line block ×3, first 2 shown]
	ds_load_b128 v[0:3], v0
	s_and_saveexec_b32 s12, vcc_lo
	s_cbranch_execz .LBB53_41
; %bb.40:                               ;   in Loop: Header=BB53_38 Depth=1
	scratch_load_b128 v[8:11], off, s32 offset:352 ; 16-byte Folded Reload
	v_cmp_lt_i32_e64 s1, v21, v47
	s_waitcnt vmcnt(0)
	s_delay_alu instid0(VALU_DEP_1) | instskip(SKIP_1) | instid1(VALU_DEP_1)
	v_cndmask_b32_e64 v8, 0, v8, s1
	v_cmp_lt_i32_e64 s1, v128, v47
	v_cndmask_b32_e64 v9, 0, v9, s1
	v_cmp_lt_i32_e64 s1, v20, v47
	s_delay_alu instid0(VALU_DEP_1) | instskip(SKIP_1) | instid1(VALU_DEP_1)
	v_cndmask_b32_e64 v10, 0, v10, s1
	v_cmp_lt_i32_e64 s1, v129, v47
	v_cndmask_b32_e64 v11, 0, v11, s1
	scratch_store_b128 off, v[8:11], s32 offset:352 ; 16-byte Folded Spill
.LBB53_41:                              ;   in Loop: Header=BB53_38 Depth=1
	s_or_b32 exec_lo, exec_lo, s12
	flat_load_b128 v[8:11], v[4:5] offset:512
	s_waitcnt vmcnt(0) lgkmcnt(0)
	scratch_store_b128 off, v[8:11], s32 offset:368 ; 16-byte Folded Spill
	s_and_saveexec_b32 s12, vcc_lo
	s_cbranch_execz .LBB53_43
; %bb.42:                               ;   in Loop: Header=BB53_38 Depth=1
	scratch_load_b128 v[8:11], off, s32 offset:368 ; 16-byte Folded Reload
	v_cmp_lt_i32_e64 s1, v21, v47
	s_waitcnt vmcnt(0)
	s_delay_alu instid0(VALU_DEP_1) | instskip(SKIP_1) | instid1(VALU_DEP_1)
	v_cndmask_b32_e64 v8, 0, v8, s1
	v_cmp_lt_i32_e64 s1, v128, v47
	v_cndmask_b32_e64 v9, 0, v9, s1
	v_cmp_lt_i32_e64 s1, v20, v47
	s_delay_alu instid0(VALU_DEP_1) | instskip(SKIP_1) | instid1(VALU_DEP_1)
	v_cndmask_b32_e64 v10, 0, v10, s1
	v_cmp_lt_i32_e64 s1, v129, v47
	v_cndmask_b32_e64 v11, 0, v11, s1
	scratch_store_b128 off, v[8:11], s32 offset:368 ; 16-byte Folded Spill
.LBB53_43:                              ;   in Loop: Header=BB53_38 Depth=1
	s_or_b32 exec_lo, exec_lo, s12
	flat_load_b128 v[8:11], v[4:5] offset:1024
	s_waitcnt vmcnt(0) lgkmcnt(0)
	scratch_store_b128 off, v[8:11], s32 offset:384 ; 16-byte Folded Spill
	s_and_saveexec_b32 s12, vcc_lo
	s_cbranch_execz .LBB53_45
; %bb.44:                               ;   in Loop: Header=BB53_38 Depth=1
	scratch_load_b128 v[8:11], off, s32 offset:384 ; 16-byte Folded Reload
	v_cmp_lt_i32_e64 s1, v21, v47
	s_waitcnt vmcnt(0)
	s_delay_alu instid0(VALU_DEP_1) | instskip(SKIP_1) | instid1(VALU_DEP_1)
	v_cndmask_b32_e64 v8, 0, v8, s1
	v_cmp_lt_i32_e64 s1, v128, v47
	v_cndmask_b32_e64 v9, 0, v9, s1
	v_cmp_lt_i32_e64 s1, v20, v47
	s_delay_alu instid0(VALU_DEP_1) | instskip(SKIP_1) | instid1(VALU_DEP_1)
	v_cndmask_b32_e64 v10, 0, v10, s1
	v_cmp_lt_i32_e64 s1, v129, v47
	v_cndmask_b32_e64 v11, 0, v11, s1
	scratch_store_b128 off, v[8:11], s32 offset:384 ; 16-byte Folded Spill
.LBB53_45:                              ;   in Loop: Header=BB53_38 Depth=1
	s_or_b32 exec_lo, exec_lo, s12
	flat_load_b128 v[8:11], v[4:5] offset:1536
	s_waitcnt vmcnt(0) lgkmcnt(0)
	scratch_store_b128 off, v[8:11], s32 offset:400 ; 16-byte Folded Spill
	s_and_saveexec_b32 s12, vcc_lo
	s_cbranch_execz .LBB53_47
; %bb.46:                               ;   in Loop: Header=BB53_38 Depth=1
	scratch_load_b128 v[8:11], off, s32 offset:400 ; 16-byte Folded Reload
	v_cmp_lt_i32_e64 s1, v21, v47
	s_waitcnt vmcnt(0)
	s_delay_alu instid0(VALU_DEP_1) | instskip(SKIP_1) | instid1(VALU_DEP_1)
	v_cndmask_b32_e64 v8, 0, v8, s1
	v_cmp_lt_i32_e64 s1, v128, v47
	v_cndmask_b32_e64 v9, 0, v9, s1
	v_cmp_lt_i32_e64 s1, v20, v47
	s_delay_alu instid0(VALU_DEP_1) | instskip(SKIP_1) | instid1(VALU_DEP_1)
	v_cndmask_b32_e64 v10, 0, v10, s1
	v_cmp_lt_i32_e64 s1, v129, v47
	v_cndmask_b32_e64 v11, 0, v11, s1
	scratch_store_b128 off, v[8:11], s32 offset:400 ; 16-byte Folded Spill
.LBB53_47:                              ;   in Loop: Header=BB53_38 Depth=1
	s_or_b32 exec_lo, exec_lo, s12
	flat_load_b128 v[8:11], v[4:5] offset:2048
	s_waitcnt vmcnt(0) lgkmcnt(0)
	scratch_store_b128 off, v[8:11], s32 offset:416 ; 16-byte Folded Spill
	s_and_saveexec_b32 s12, vcc_lo
	s_cbranch_execz .LBB53_49
; %bb.48:                               ;   in Loop: Header=BB53_38 Depth=1
	scratch_load_b128 v[8:11], off, s32 offset:416 ; 16-byte Folded Reload
	v_cmp_lt_i32_e64 s1, v21, v47
	s_waitcnt vmcnt(0)
	s_delay_alu instid0(VALU_DEP_1) | instskip(SKIP_1) | instid1(VALU_DEP_1)
	v_cndmask_b32_e64 v8, 0, v8, s1
	v_cmp_lt_i32_e64 s1, v128, v47
	v_cndmask_b32_e64 v9, 0, v9, s1
	v_cmp_lt_i32_e64 s1, v20, v47
	s_delay_alu instid0(VALU_DEP_1) | instskip(SKIP_1) | instid1(VALU_DEP_1)
	v_cndmask_b32_e64 v10, 0, v10, s1
	v_cmp_lt_i32_e64 s1, v129, v47
	v_cndmask_b32_e64 v11, 0, v11, s1
	scratch_store_b128 off, v[8:11], s32 offset:416 ; 16-byte Folded Spill
.LBB53_49:                              ;   in Loop: Header=BB53_38 Depth=1
	s_or_b32 exec_lo, exec_lo, s12
	flat_load_b128 v[8:11], v[4:5] offset:2560
	s_waitcnt vmcnt(0) lgkmcnt(0)
	scratch_store_b128 off, v[8:11], s32 offset:432 ; 16-byte Folded Spill
	s_and_saveexec_b32 s12, vcc_lo
	s_cbranch_execz .LBB53_51
; %bb.50:                               ;   in Loop: Header=BB53_38 Depth=1
	scratch_load_b128 v[8:11], off, s32 offset:432 ; 16-byte Folded Reload
	v_cmp_lt_i32_e64 s1, v21, v47
	s_waitcnt vmcnt(0)
	s_delay_alu instid0(VALU_DEP_1) | instskip(SKIP_1) | instid1(VALU_DEP_1)
	v_cndmask_b32_e64 v8, 0, v8, s1
	v_cmp_lt_i32_e64 s1, v128, v47
	v_cndmask_b32_e64 v9, 0, v9, s1
	v_cmp_lt_i32_e64 s1, v20, v47
	s_delay_alu instid0(VALU_DEP_1) | instskip(SKIP_1) | instid1(VALU_DEP_1)
	v_cndmask_b32_e64 v10, 0, v10, s1
	v_cmp_lt_i32_e64 s1, v129, v47
	v_cndmask_b32_e64 v11, 0, v11, s1
	scratch_store_b128 off, v[8:11], s32 offset:432 ; 16-byte Folded Spill
.LBB53_51:                              ;   in Loop: Header=BB53_38 Depth=1
	s_or_b32 exec_lo, exec_lo, s12
	flat_load_b128 v[8:11], v[4:5] offset:3072
	s_waitcnt vmcnt(0) lgkmcnt(0)
	scratch_store_b128 off, v[8:11], s32 offset:448 ; 16-byte Folded Spill
	s_and_saveexec_b32 s12, vcc_lo
	s_cbranch_execz .LBB53_53
; %bb.52:                               ;   in Loop: Header=BB53_38 Depth=1
	scratch_load_b128 v[8:11], off, s32 offset:448 ; 16-byte Folded Reload
	v_cmp_lt_i32_e64 s1, v21, v47
	s_waitcnt vmcnt(0)
	s_delay_alu instid0(VALU_DEP_1) | instskip(SKIP_1) | instid1(VALU_DEP_1)
	v_cndmask_b32_e64 v8, 0, v8, s1
	v_cmp_lt_i32_e64 s1, v128, v47
	v_cndmask_b32_e64 v9, 0, v9, s1
	v_cmp_lt_i32_e64 s1, v20, v47
	s_delay_alu instid0(VALU_DEP_1) | instskip(SKIP_1) | instid1(VALU_DEP_1)
	v_cndmask_b32_e64 v10, 0, v10, s1
	v_cmp_lt_i32_e64 s1, v129, v47
	v_cndmask_b32_e64 v11, 0, v11, s1
	scratch_store_b128 off, v[8:11], s32 offset:448 ; 16-byte Folded Spill
.LBB53_53:                              ;   in Loop: Header=BB53_38 Depth=1
	s_or_b32 exec_lo, exec_lo, s12
	flat_load_b128 v[8:11], v[4:5] offset:3584
	s_waitcnt vmcnt(0) lgkmcnt(0)
	scratch_store_b128 off, v[8:11], s32 offset:464 ; 16-byte Folded Spill
	s_and_saveexec_b32 s12, vcc_lo
	s_cbranch_execz .LBB53_55
; %bb.54:                               ;   in Loop: Header=BB53_38 Depth=1
	scratch_load_b128 v[8:11], off, s32 offset:464 ; 16-byte Folded Reload
	v_cmp_lt_i32_e64 s1, v21, v47
	s_waitcnt vmcnt(0)
	s_delay_alu instid0(VALU_DEP_1) | instskip(SKIP_1) | instid1(VALU_DEP_1)
	v_cndmask_b32_e64 v8, 0, v8, s1
	v_cmp_lt_i32_e64 s1, v128, v47
	v_cndmask_b32_e64 v9, 0, v9, s1
	v_cmp_lt_i32_e64 s1, v20, v47
	s_delay_alu instid0(VALU_DEP_1) | instskip(SKIP_1) | instid1(VALU_DEP_1)
	v_cndmask_b32_e64 v10, 0, v10, s1
	v_cmp_lt_i32_e64 s1, v129, v47
	v_cndmask_b32_e64 v11, 0, v11, s1
	scratch_store_b128 off, v[8:11], s32 offset:464 ; 16-byte Folded Spill
.LBB53_55:                              ;   in Loop: Header=BB53_38 Depth=1
	s_or_b32 exec_lo, exec_lo, s12
	scratch_load_b32 v4, off, s32 offset:1052 ; 4-byte Folded Reload
	s_waitcnt vmcnt(0)
	v_add_co_u32 v4, s1, v6, v4
	s_delay_alu instid0(VALU_DEP_1)
	v_add_co_ci_u32_e64 v5, s1, 0, v7, s1
	flat_load_b128 v[8:11], v[4:5]
	s_waitcnt vmcnt(0) lgkmcnt(0)
	scratch_store_b128 off, v[8:11], s32 offset:480 ; 16-byte Folded Spill
	s_and_saveexec_b32 s12, vcc_lo
	s_cbranch_execz .LBB53_57
; %bb.56:                               ;   in Loop: Header=BB53_38 Depth=1
	scratch_load_b128 v[8:11], off, s32 offset:480 ; 16-byte Folded Reload
	v_cmp_lt_i32_e64 s1, v21, v47
	s_waitcnt vmcnt(0)
	s_delay_alu instid0(VALU_DEP_1) | instskip(SKIP_1) | instid1(VALU_DEP_1)
	v_cndmask_b32_e64 v8, 0, v8, s1
	v_cmp_lt_i32_e64 s1, v128, v47
	v_cndmask_b32_e64 v9, 0, v9, s1
	v_cmp_lt_i32_e64 s1, v20, v47
	s_delay_alu instid0(VALU_DEP_1) | instskip(SKIP_1) | instid1(VALU_DEP_1)
	v_cndmask_b32_e64 v10, 0, v10, s1
	v_cmp_lt_i32_e64 s1, v129, v47
	v_cndmask_b32_e64 v11, 0, v11, s1
	scratch_store_b128 off, v[8:11], s32 offset:480 ; 16-byte Folded Spill
.LBB53_57:                              ;   in Loop: Header=BB53_38 Depth=1
	s_or_b32 exec_lo, exec_lo, s12
	scratch_load_b32 v4, off, s32 offset:1056 ; 4-byte Folded Reload
	s_waitcnt vmcnt(0)
	v_add_co_u32 v4, s1, v6, v4
	s_delay_alu instid0(VALU_DEP_1)
	v_add_co_ci_u32_e64 v5, s1, 0, v7, s1
	flat_load_b128 v[8:11], v[4:5]
	s_waitcnt vmcnt(0) lgkmcnt(0)
	scratch_store_b128 off, v[8:11], s32 offset:496 ; 16-byte Folded Spill
	;; [unrolled: 26-line block ×11, first 2 shown]
	s_and_saveexec_b32 s12, vcc_lo
	s_cbranch_execz .LBB53_77
; %bb.76:                               ;   in Loop: Header=BB53_38 Depth=1
	scratch_load_b128 v[8:11], off, s32 offset:640 ; 16-byte Folded Reload
	v_cmp_lt_i32_e64 s1, v21, v47
	s_waitcnt vmcnt(0)
	s_delay_alu instid0(VALU_DEP_1) | instskip(SKIP_1) | instid1(VALU_DEP_1)
	v_cndmask_b32_e64 v8, 0, v8, s1
	v_cmp_lt_i32_e64 s1, v128, v47
	v_cndmask_b32_e64 v9, 0, v9, s1
	v_cmp_lt_i32_e64 s1, v20, v47
	s_delay_alu instid0(VALU_DEP_1) | instskip(SKIP_1) | instid1(VALU_DEP_1)
	v_cndmask_b32_e64 v10, 0, v10, s1
	v_cmp_lt_i32_e64 s1, v129, v47
	v_cndmask_b32_e64 v11, 0, v11, s1
	scratch_store_b128 off, v[8:11], s32 offset:640 ; 16-byte Folded Spill
.LBB53_77:                              ;   in Loop: Header=BB53_38 Depth=1
	s_or_b32 exec_lo, exec_lo, s12
	scratch_load_b32 v4, off, s32 offset:1096 ; 4-byte Folded Reload
	s_waitcnt vmcnt(0)
	v_add_co_u32 v4, s1, v6, v4
	s_delay_alu instid0(VALU_DEP_1)
	v_add_co_ci_u32_e64 v5, s1, 0, v7, s1
	flat_load_b128 v[132:135], v[4:5]
	s_and_saveexec_b32 s12, vcc_lo
	s_cbranch_execz .LBB53_79
; %bb.78:                               ;   in Loop: Header=BB53_38 Depth=1
	v_cmp_lt_i32_e64 s1, v21, v47
	s_waitcnt vmcnt(0) lgkmcnt(0)
	s_delay_alu instid0(VALU_DEP_1) | instskip(SKIP_1) | instid1(VALU_DEP_1)
	v_cndmask_b32_e64 v132, 0, v132, s1
	v_cmp_lt_i32_e64 s1, v128, v47
	v_cndmask_b32_e64 v133, 0, v133, s1
	v_cmp_lt_i32_e64 s1, v20, v47
	s_delay_alu instid0(VALU_DEP_1) | instskip(SKIP_1) | instid1(VALU_DEP_1)
	v_cndmask_b32_e64 v134, 0, v134, s1
	v_cmp_lt_i32_e64 s1, v129, v47
	v_cndmask_b32_e64 v135, 0, v135, s1
.LBB53_79:                              ;   in Loop: Header=BB53_38 Depth=1
	s_or_b32 exec_lo, exec_lo, s12
	scratch_load_b32 v4, off, s32 offset:1100 ; 4-byte Folded Reload
	s_waitcnt vmcnt(0)
	v_add_co_u32 v4, s1, v6, v4
	s_delay_alu instid0(VALU_DEP_1)
	v_add_co_ci_u32_e64 v5, s1, 0, v7, s1
	flat_load_b128 v[144:147], v[4:5]
	s_and_saveexec_b32 s12, vcc_lo
	s_cbranch_execz .LBB53_81
; %bb.80:                               ;   in Loop: Header=BB53_38 Depth=1
	v_cmp_lt_i32_e64 s1, v21, v47
	s_waitcnt vmcnt(0) lgkmcnt(0)
	s_delay_alu instid0(VALU_DEP_1) | instskip(SKIP_1) | instid1(VALU_DEP_1)
	v_cndmask_b32_e64 v144, 0, v144, s1
	v_cmp_lt_i32_e64 s1, v128, v47
	v_cndmask_b32_e64 v145, 0, v145, s1
	v_cmp_lt_i32_e64 s1, v20, v47
	s_delay_alu instid0(VALU_DEP_1) | instskip(SKIP_1) | instid1(VALU_DEP_1)
	v_cndmask_b32_e64 v146, 0, v146, s1
	v_cmp_lt_i32_e64 s1, v129, v47
	v_cndmask_b32_e64 v147, 0, v147, s1
.LBB53_81:                              ;   in Loop: Header=BB53_38 Depth=1
	;; [unrolled: 22-line block ×11, first 2 shown]
	s_or_b32 exec_lo, exec_lo, s12
	scratch_load_b32 v4, off, s32 offset:1140 ; 4-byte Folded Reload
	s_waitcnt vmcnt(0)
	v_add_co_u32 v4, s1, v6, v4
	s_delay_alu instid0(VALU_DEP_1)
	v_add_co_ci_u32_e64 v5, s1, 0, v7, s1
	flat_load_b128 v[72:75], v[4:5]
	s_and_saveexec_b32 s12, vcc_lo
	s_cbranch_execz .LBB53_101
; %bb.100:                              ;   in Loop: Header=BB53_38 Depth=1
	v_cmp_lt_i32_e64 s1, v21, v47
	s_waitcnt vmcnt(0) lgkmcnt(0)
	s_delay_alu instid0(VALU_DEP_1) | instskip(SKIP_1) | instid1(VALU_DEP_1)
	v_cndmask_b32_e64 v72, 0, v72, s1
	v_cmp_lt_i32_e64 s1, v128, v47
	v_cndmask_b32_e64 v73, 0, v73, s1
	v_cmp_lt_i32_e64 s1, v20, v47
	s_delay_alu instid0(VALU_DEP_1) | instskip(SKIP_1) | instid1(VALU_DEP_1)
	v_cndmask_b32_e64 v74, 0, v74, s1
	v_cmp_lt_i32_e64 s1, v129, v47
	v_cndmask_b32_e64 v75, 0, v75, s1
.LBB53_101:                             ;   in Loop: Header=BB53_38 Depth=1
	s_or_b32 exec_lo, exec_lo, s12
	scratch_load_b32 v4, off, s32 offset:1144 ; 4-byte Folded Reload
	s_waitcnt vmcnt(0)
	v_add_co_u32 v4, s1, v6, v4
	s_delay_alu instid0(VALU_DEP_1)
	v_add_co_ci_u32_e64 v5, s1, 0, v7, s1
	flat_load_b128 v[76:79], v[4:5]
	s_and_saveexec_b32 s12, vcc_lo
	s_cbranch_execz .LBB53_103
; %bb.102:                              ;   in Loop: Header=BB53_38 Depth=1
	v_cmp_lt_i32_e64 s1, v21, v47
	s_waitcnt vmcnt(0) lgkmcnt(0)
	s_delay_alu instid0(VALU_DEP_1) | instskip(SKIP_1) | instid1(VALU_DEP_1)
	v_cndmask_b32_e64 v76, 0, v76, s1
	v_cmp_lt_i32_e64 s1, v128, v47
	v_cndmask_b32_e64 v77, 0, v77, s1
	v_cmp_lt_i32_e64 s1, v20, v47
	s_delay_alu instid0(VALU_DEP_1) | instskip(SKIP_1) | instid1(VALU_DEP_1)
	v_cndmask_b32_e64 v78, 0, v78, s1
	v_cmp_lt_i32_e64 s1, v129, v47
	v_cndmask_b32_e64 v79, 0, v79, s1
.LBB53_103:                             ;   in Loop: Header=BB53_38 Depth=1
	;; [unrolled: 22-line block ×33, first 2 shown]
	s_or_b32 exec_lo, exec_lo, s12
	scratch_load_b32 v4, off, s32 offset:1272 ; 4-byte Folded Reload
	s_waitcnt vmcnt(0)
	v_add_co_u32 v4, s1, v6, v4
	s_delay_alu instid0(VALU_DEP_1)
	v_add_co_ci_u32_e64 v5, s1, 0, v7, s1
	flat_load_b128 v[4:7], v[4:5]
	s_and_saveexec_b32 s1, vcc_lo
	s_cbranch_execz .LBB53_36
; %bb.166:                              ;   in Loop: Header=BB53_38 Depth=1
	v_cmp_lt_i32_e32 vcc_lo, v21, v47
	s_waitcnt vmcnt(0) lgkmcnt(0)
	v_cndmask_b32_e32 v4, 0, v4, vcc_lo
	v_cmp_lt_i32_e32 vcc_lo, v128, v47
	v_cndmask_b32_e32 v5, 0, v5, vcc_lo
	v_cmp_lt_i32_e32 vcc_lo, v20, v47
	;; [unrolled: 2-line block ×3, first 2 shown]
	v_cndmask_b32_e32 v7, 0, v7, vcc_lo
	s_branch .LBB53_36
.LBB53_167:
	s_or_b32 exec_lo, exec_lo, s8
	s_clause 0x3
	scratch_load_b32 v28, off, s32 offset:1292
	scratch_load_b32 v115, off, s32 offset:1296
	;; [unrolled: 1-line block ×4, first 2 shown]
.LBB53_168:
	s_or_b32 exec_lo, exec_lo, s5
	s_clause 0xc
	scratch_load_b32 v18, off, s32 offset:956
	scratch_load_b32 v16, off, s32 offset:952
	;; [unrolled: 1-line block ×13, first 2 shown]
	v_dual_mov_b32 v102, v6 :: v_dual_mov_b32 v99, v131
	v_dual_mov_b32 v69, v10 :: v_dual_mov_b32 v68, v8
	;; [unrolled: 1-line block ×3, first 2 shown]
	scratch_load_b32 v31, off, s32 offset:884 ; 4-byte Folded Reload
	v_dual_mov_b32 v118, v21 :: v_dual_mov_b32 v117, v20
	s_clause 0x2
	scratch_load_b32 v39, off, s32 offset:852
	scratch_load_b32 v71, off, s32 offset:812
	;; [unrolled: 1-line block ×3, first 2 shown]
	s_mov_b32 s5, exec_lo
	s_clause 0xf
	scratch_load_b32 v26, off, s32 offset:932
	scratch_load_b32 v24, off, s32 offset:928
	;; [unrolled: 1-line block ×16, first 2 shown]
	v_mov_b32_e32 v81, v68
	s_clause 0x4
	scratch_load_b32 v132, off, s32 offset:736
	scratch_load_b32 v130, off, s32 offset:720
	;; [unrolled: 1-line block ×5, first 2 shown]
	s_waitcnt vmcnt(37)
	ds_bpermute_b32 v0, v100, v18
	s_waitcnt vmcnt(36)
	ds_bpermute_b32 v2, v100, v16
	v_mov_b32_e32 v101, v22
	scratch_load_b32 v22, off, s32 offset:936 ; 4-byte Folded Reload
	s_waitcnt vmcnt(36)
	ds_bpermute_b32 v3, v100, v15
	v_mov_b32_e32 v17, v1
	ds_bpermute_b32 v1, v100, v1
	s_waitcnt vmcnt(35)
	ds_bpermute_b32 v4, v100, v14
	s_waitcnt vmcnt(33)
	;; [unrolled: 2-line block ×3, first 2 shown]
	ds_bpermute_b32 v12, v100, v32
	ds_bpermute_b32 v5, v100, v13
	s_waitcnt vmcnt(30)
	ds_bpermute_b32 v20, v100, v37
	s_waitcnt vmcnt(29)
	ds_bpermute_b32 v21, v100, v36
	ds_bpermute_b32 v19, v100, v30
	s_waitcnt vmcnt(26)
	ds_bpermute_b32 v29, v100, v33
	s_waitcnt lgkmcnt(11)
	v_add_f32_e32 v0, v18, v0
	s_waitcnt lgkmcnt(10)
	v_add_f32_e32 v2, v16, v2
	s_waitcnt vmcnt(21)
	ds_bpermute_b32 v7, v100, v26
	s_waitcnt vmcnt(20)
	ds_bpermute_b32 v8, v100, v24
	;; [unrolled: 2-line block ×3, first 2 shown]
	s_waitcnt lgkmcnt(10)
	v_dual_add_f32 v1, v17, v1 :: v_dual_add_f32 v4, v14, v4
	s_waitcnt vmcnt(18)
	ds_bpermute_b32 v10, v100, v25
	s_waitcnt lgkmcnt(9)
	v_dual_add_f32 v11, v38, v11 :: v_dual_add_f32 v12, v32, v12
	scratch_load_b32 v32, off, s32 offset:880 ; 4-byte Folded Reload
	ds_bpermute_b32 v17, v115, v4
	s_waitcnt lgkmcnt(9)
	v_add_f32_e32 v5, v13, v5
	ds_bpermute_b32 v13, v115, v0
	ds_bpermute_b32 v14, v115, v1
	scratch_load_b32 v38, off, s32 offset:848 ; 4-byte Folded Reload
	s_waitcnt vmcnt(5)
	ds_bpermute_b32 v87, v100, v129
	s_waitcnt lgkmcnt(6)
	v_dual_add_f32 v7, v26, v7 :: v_dual_add_f32 v8, v24, v8
	ds_bpermute_b32 v18, v115, v5
	ds_bpermute_b32 v24, v100, v34
	s_waitcnt vmcnt(4)
	ds_bpermute_b32 v96, v100, v128
	s_waitcnt lgkmcnt(7)
	v_add_f32_e32 v10, v25, v10
	ds_bpermute_b32 v25, v115, v7
	ds_bpermute_b32 v26, v115, v8
	s_waitcnt lgkmcnt(8)
	v_add_f32_e32 v4, v4, v17
	s_waitcnt lgkmcnt(6)
	v_dual_add_f32 v0, v0, v13 :: v_dual_add_f32 v1, v1, v14
	ds_bpermute_b32 v17, v28, v4
	ds_bpermute_b32 v13, v28, v0
	;; [unrolled: 1-line block ×3, first 2 shown]
	v_add_f32_e32 v19, v30, v19
	s_waitcnt lgkmcnt(6)
	v_add_f32_e32 v24, v34, v24
	ds_bpermute_b32 v34, v100, v49
	s_waitcnt lgkmcnt(4)
	v_dual_add_f32 v7, v7, v25 :: v_dual_add_f32 v8, v8, v26
	ds_bpermute_b32 v26, v115, v11
	s_waitcnt lgkmcnt(4)
	v_add_f32_e32 v4, v4, v17
	v_add_f32_e32 v17, v36, v21
	scratch_load_b32 v36, off, s32 offset:872 ; 4-byte Folded Reload
	s_waitcnt lgkmcnt(3)
	v_add_f32_e32 v0, v0, v13
	ds_bpermute_b32 v13, v115, v12
	s_waitcnt lgkmcnt(0)
	v_dual_add_f32 v11, v11, v26 :: v_dual_add_f32 v12, v12, v13
	s_waitcnt vmcnt(3)
	ds_bpermute_b32 v6, v100, v22
	v_add_f32_e32 v3, v15, v3
	ds_bpermute_b32 v15, v115, v2
	s_waitcnt lgkmcnt(1)
	v_dual_add_f32 v9, v23, v9 :: v_dual_add_f32 v6, v22, v6
	ds_bpermute_b32 v16, v115, v3
	s_waitcnt lgkmcnt(1)
	v_add_f32_e32 v2, v2, v15
	ds_bpermute_b32 v27, v115, v9
	ds_bpermute_b32 v22, v100, v35
	;; [unrolled: 1-line block ×3, first 2 shown]
	v_add_f32_e32 v5, v5, v18
	ds_bpermute_b32 v15, v28, v2
	v_mov_b32_e32 v131, v28
	s_waitcnt lgkmcnt(4)
	v_add_f32_e32 v3, v3, v16
	s_waitcnt lgkmcnt(3)
	v_add_f32_e32 v9, v9, v27
	;; [unrolled: 2-line block ×3, first 2 shown]
	ds_bpermute_b32 v16, v28, v3
	s_waitcnt lgkmcnt(1)
	v_add_f32_e32 v2, v2, v15
	ds_bpermute_b32 v18, v28, v5
	ds_bpermute_b32 v28, v115, v10
	;; [unrolled: 1-line block ×5, first 2 shown]
	v_add_f32_e32 v1, v1, v14
	ds_bpermute_b32 v14, v115, v19
	ds_bpermute_b32 v30, v131, v8
	s_waitcnt lgkmcnt(7)
	v_add_f32_e32 v3, v3, v16
	v_add_f32_e32 v16, v37, v20
	scratch_load_b32 v37, off, s32 offset:876 ; 4-byte Folded Reload
	s_waitcnt vmcnt(3)
	ds_bpermute_b32 v15, v100, v32
	s_waitcnt lgkmcnt(5)
	v_add_f32_e32 v6, v6, v25
	ds_bpermute_b32 v25, v115, v17
	v_dual_add_f32 v5, v5, v18 :: v_dual_add_f32 v10, v10, v28
	v_add_f32_e32 v22, v35, v22
	ds_bpermute_b32 v18, v131, v9
	ds_bpermute_b32 v21, v115, v16
	s_waitcnt lgkmcnt(6)
	v_dual_add_f32 v28, v33, v29 :: v_dual_add_f32 v7, v7, v27
	ds_bpermute_b32 v20, v131, v10
	ds_bpermute_b32 v27, v115, v24
	s_waitcnt lgkmcnt(6)
	v_dual_add_f32 v23, v31, v23 :: v_dual_add_f32 v8, v8, v30
	v_add_f32_e32 v13, v19, v14
	ds_bpermute_b32 v29, v115, v28
	ds_bpermute_b32 v31, v131, v11
	;; [unrolled: 1-line block ×3, first 2 shown]
	s_waitcnt lgkmcnt(8)
	v_add_f32_e32 v14, v32, v15
	ds_bpermute_b32 v15, v115, v23
	s_waitcnt lgkmcnt(8)
	v_add_f32_e32 v17, v17, v25
	ds_bpermute_b32 v26, v115, v22
	ds_bpermute_b32 v30, v131, v13
	ds_bpermute_b32 v19, v115, v14
	s_waitcnt lgkmcnt(9)
	v_dual_add_f32 v9, v9, v18 :: v_dual_add_f32 v16, v16, v21
	ds_bpermute_b32 v18, v131, v12
	s_waitcnt vmcnt(1)
	ds_bpermute_b32 v21, v100, v36
	s_waitcnt lgkmcnt(10)
	v_add_f32_e32 v10, v10, v20
	s_waitcnt lgkmcnt(9)
	v_add_f32_e32 v24, v24, v27
	ds_bpermute_b32 v25, v131, v16
	ds_bpermute_b32 v27, v131, v17
	;; [unrolled: 1-line block ×3, first 2 shown]
	s_waitcnt lgkmcnt(10)
	v_add_f32_e32 v11, v11, v31
	s_waitcnt lgkmcnt(7)
	v_dual_add_f32 v23, v23, v15 :: v_dual_add_f32 v22, v22, v26
	s_waitcnt lgkmcnt(5)
	v_dual_add_f32 v26, v28, v29 :: v_dual_add_f32 v35, v14, v19
	v_add_f32_e32 v13, v13, v30
	ds_bpermute_b32 v29, v131, v24
	ds_bpermute_b32 v28, v131, v22
	s_waitcnt lgkmcnt(6)
	v_add_f32_e32 v12, v12, v18
	ds_bpermute_b32 v19, v131, v23
	s_waitcnt lgkmcnt(6)
	v_add_f32_e32 v21, v36, v21
	s_waitcnt lgkmcnt(4)
	v_dual_add_f32 v14, v16, v25 :: v_dual_add_f32 v15, v17, v27
	ds_bpermute_b32 v31, v131, v26
	ds_bpermute_b32 v36, v100, v48
	;; [unrolled: 1-line block ×3, first 2 shown]
	s_waitcnt lgkmcnt(4)
	v_dual_add_f32 v17, v24, v29 :: v_dual_add_f32 v16, v22, v28
	ds_bpermute_b32 v22, v100, v38
	s_waitcnt lgkmcnt(4)
	v_add_f32_e32 v19, v23, v19
	s_waitcnt lgkmcnt(2)
	v_dual_add_f32 v18, v26, v31 :: v_dual_add_f32 v23, v48, v36
	s_waitcnt lgkmcnt(1)
	v_dual_add_f32 v26, v50, v33 :: v_dual_add_f32 v27, v21, v27
	scratch_load_b32 v50, off, s32 offset:832 ; 4-byte Folded Reload
	ds_bpermute_b32 v36, v100, v52
	ds_bpermute_b32 v21, v115, v23
	;; [unrolled: 1-line block ×4, first 2 shown]
	s_waitcnt vmcnt(1)
	ds_bpermute_b32 v20, v100, v37
	s_waitcnt lgkmcnt(0)
	v_add_f32_e32 v30, v37, v20
	ds_bpermute_b32 v20, v131, v35
	ds_bpermute_b32 v37, v100, v39
	ds_bpermute_b32 v25, v115, v30
	v_add_f32_e32 v24, v51, v32
	scratch_load_b32 v51, off, s32 offset:840 ; 4-byte Folded Reload
	ds_bpermute_b32 v29, v100, v53
	s_waitcnt lgkmcnt(1)
	v_dual_add_f32 v20, v35, v20 :: v_dual_add_f32 v25, v30, v25
	ds_bpermute_b32 v32, v115, v24
	s_waitcnt lgkmcnt(0)
	v_dual_add_f32 v29, v53, v29 :: v_dual_add_f32 v24, v24, v32
	ds_bpermute_b32 v32, v115, v29
	v_add_f32_e32 v22, v38, v22
	ds_bpermute_b32 v38, v131, v25
	v_add_f32_e32 v26, v26, v33
	s_waitcnt vmcnt(1)
	ds_bpermute_b32 v35, v100, v50
	v_add_f32_e32 v30, v39, v37
	ds_bpermute_b32 v39, v131, v27
	s_waitcnt lgkmcnt(3)
	v_add_f32_e32 v29, v29, v32
	s_waitcnt lgkmcnt(1)
	v_add_f32_e32 v35, v50, v35
	ds_bpermute_b32 v37, v115, v30
	ds_bpermute_b32 v53, v115, v35
	s_waitcnt lgkmcnt(0)
	v_dual_add_f32 v36, v52, v36 :: v_dual_add_f32 v35, v35, v53
	s_waitcnt vmcnt(0)
	ds_bpermute_b32 v31, v100, v51
	v_add_f32_e32 v28, v49, v34
	ds_bpermute_b32 v49, v115, v22
	s_waitcnt lgkmcnt(1)
	v_add_f32_e32 v31, v51, v31
	ds_bpermute_b32 v34, v115, v28
	s_waitcnt lgkmcnt(1)
	v_add_f32_e32 v49, v22, v49
	ds_bpermute_b32 v50, v131, v24
	v_add_f32_e32 v54, v23, v21
	ds_bpermute_b32 v33, v115, v31
	;; [unrolled: 2-line block ×3, first 2 shown]
	ds_bpermute_b32 v66, v131, v49
	s_waitcnt lgkmcnt(4)
	v_add_f32_e32 v28, v28, v34
	ds_bpermute_b32 v34, v100, v70
	s_waitcnt lgkmcnt(4)
	v_add_f32_e32 v23, v24, v50
	;; [unrolled: 3-line block ×3, first 2 shown]
	ds_bpermute_b32 v52, v131, v28
	ds_bpermute_b32 v33, v131, v29
	v_add_f32_e32 v48, v64, v48
	s_waitcnt lgkmcnt(3)
	v_add_f32_e32 v32, v70, v34
	scratch_load_b32 v70, off, s32 offset:808 ; 4-byte Folded Reload
	ds_bpermute_b32 v55, v100, v71
	v_add_f32_e32 v30, v30, v37
	ds_bpermute_b32 v37, v115, v36
	s_waitcnt lgkmcnt(3)
	v_add_f32_e32 v25, v28, v52
	ds_bpermute_b32 v52, v100, v80
	v_add_f32_e32 v24, v26, v51
	ds_bpermute_b32 v51, v131, v35
	ds_bpermute_b32 v34, v131, v31
	s_waitcnt lgkmcnt(5)
	v_add_f32_e32 v29, v29, v33
	ds_bpermute_b32 v65, v115, v48
	v_add_f32_e32 v26, v54, v38
	ds_bpermute_b32 v54, v100, v82
	ds_bpermute_b32 v38, v100, v85
	s_waitcnt lgkmcnt(6)
	v_dual_add_f32 v36, v36, v37 :: v_dual_add_f32 v37, v71, v55
	scratch_load_b32 v71, off, s32 offset:788 ; 4-byte Folded Reload
	ds_bpermute_b32 v64, v131, v30
	v_add_f32_e32 v22, v27, v39
	ds_bpermute_b32 v39, v115, v32
	ds_bpermute_b32 v55, v115, v37
	s_waitcnt lgkmcnt(2)
	v_add_f32_e32 v27, v30, v64
	s_waitcnt vmcnt(1)
	ds_bpermute_b32 v50, v100, v70
	s_waitcnt lgkmcnt(0)
	v_add_f32_e32 v50, v70, v50
	scratch_load_b32 v70, off, s32 offset:784 ; 4-byte Folded Reload
	v_add_f32_e32 v30, v31, v34
	v_add_f32_e32 v31, v35, v51
	;; [unrolled: 1-line block ×4, first 2 shown]
	ds_bpermute_b32 v39, v100, v83
	v_add_f32_e32 v48, v48, v65
	ds_bpermute_b32 v53, v131, v36
	s_waitcnt vmcnt(1)
	ds_bpermute_b32 v64, v100, v71
	ds_bpermute_b32 v52, v100, v69
	s_waitcnt lgkmcnt(3)
	v_add_f32_e32 v39, v83, v39
	scratch_load_b32 v83, off, s32 offset:752 ; 4-byte Folded Reload
	v_add_f32_e32 v28, v49, v66
	ds_bpermute_b32 v49, v131, v48
	s_waitcnt lgkmcnt(3)
	v_add_f32_e32 v32, v36, v53
	ds_bpermute_b32 v53, v115, v51
	s_waitcnt lgkmcnt(1)
	v_dual_add_f32 v64, v71, v64 :: v_dual_add_f32 v33, v48, v49
	v_add_f32_e32 v48, v82, v54
	ds_bpermute_b32 v49, v100, v67
	s_waitcnt lgkmcnt(1)
	v_add_f32_e32 v51, v51, v53
	ds_bpermute_b32 v66, v131, v34
	s_waitcnt vmcnt(1)
	ds_bpermute_b32 v65, v100, v70
	s_waitcnt lgkmcnt(0)
	v_add_f32_e32 v65, v70, v65
	ds_bpermute_b32 v70, v115, v65
	v_mov_b32_e32 v82, v67
	s_waitcnt vmcnt(0)
	ds_bpermute_b32 v71, v100, v83
	v_add_f32_e32 v38, v85, v38
	s_waitcnt lgkmcnt(1)
	v_add_f32_e32 v65, v65, v70
	v_dual_add_f32 v36, v37, v55 :: v_dual_add_f32 v49, v82, v49
	ds_bpermute_b32 v37, v100, v84
	ds_bpermute_b32 v55, v100, v68
	;; [unrolled: 1-line block ×4, first 2 shown]
	v_mov_b32_e32 v80, v69
	ds_bpermute_b32 v69, v115, v64
	s_waitcnt lgkmcnt(5)
	v_add_f32_e32 v71, v83, v71
	ds_bpermute_b32 v67, v115, v38
	ds_bpermute_b32 v85, v115, v71
	s_waitcnt lgkmcnt(6)
	v_add_f32_e32 v37, v84, v37
	ds_bpermute_b32 v35, v115, v50
	s_waitcnt lgkmcnt(6)
	v_add_f32_e32 v55, v81, v55
	ds_bpermute_b32 v53, v115, v37
	ds_bpermute_b32 v82, v115, v55
	s_waitcnt lgkmcnt(2)
	v_dual_add_f32 v50, v50, v35 :: v_dual_add_f32 v35, v36, v54
	v_add_f32_e32 v52, v80, v52
	ds_bpermute_b32 v54, v115, v49
	s_waitcnt lgkmcnt(2)
	v_add_f32_e32 v53, v37, v53
	ds_bpermute_b32 v68, v115, v48
	s_waitcnt lgkmcnt(2)
	v_add_f32_e32 v55, v55, v82
	ds_bpermute_b32 v80, v131, v50
	ds_bpermute_b32 v86, v131, v55
	s_waitcnt lgkmcnt(2)
	v_add_f32_e32 v48, v48, v68
	s_waitcnt lgkmcnt(1)
	v_add_f32_e32 v36, v50, v80
	ds_bpermute_b32 v80, v131, v53
	v_add_f32_e32 v64, v64, v69
	ds_bpermute_b32 v69, v100, v132
	ds_bpermute_b32 v84, v131, v64
	v_add_f32_e32 v38, v38, v67
	ds_bpermute_b32 v67, v131, v51
	v_add_f32_e32 v34, v34, v66
	ds_bpermute_b32 v66, v115, v39
	s_waitcnt lgkmcnt(3)
	v_add_f32_e32 v69, v132, v69
	s_waitcnt lgkmcnt(1)
	v_add_f32_e32 v37, v51, v67
	v_add_f32_e32 v51, v53, v80
	;; [unrolled: 1-line block ×3, first 2 shown]
	s_waitcnt lgkmcnt(0)
	v_add_f32_e32 v66, v39, v66
	ds_bpermute_b32 v39, v131, v48
	v_add_f32_e32 v67, v130, v70
	ds_bpermute_b32 v81, v115, v52
	v_add_f32_e32 v70, v71, v85
	v_dual_mov_b32 v130, v118 :: v_dual_add_f32 v71, v129, v87
	ds_bpermute_b32 v87, v100, v113
	ds_bpermute_b32 v86, v100, v116
	v_mov_b32_e32 v129, v117
	s_waitcnt lgkmcnt(3)
	v_add_f32_e32 v39, v48, v39
	ds_bpermute_b32 v83, v131, v66
	s_waitcnt lgkmcnt(3)
	v_add_f32_e32 v52, v52, v81
	ds_bpermute_b32 v81, v131, v65
	ds_bpermute_b32 v82, v131, v52
	s_waitcnt lgkmcnt(2)
	v_add_f32_e32 v48, v66, v83
	ds_bpermute_b32 v66, v100, v118
	v_mov_b32_e32 v118, v113
	scratch_load_b32 v113, off, s32 offset:656 ; 4-byte Folded Reload
	v_dual_add_f32 v54, v49, v54 :: v_dual_add_f32 v49, v64, v84
	ds_bpermute_b32 v68, v131, v38
	ds_bpermute_b32 v97, v100, v119
	;; [unrolled: 1-line block ×3, first 2 shown]
	s_waitcnt lgkmcnt(5)
	v_add_f32_e32 v50, v65, v81
	ds_bpermute_b32 v64, v115, v67
	s_waitcnt lgkmcnt(5)
	v_add_f32_e32 v52, v52, v82
	ds_bpermute_b32 v82, v100, v117
	v_mov_b32_e32 v117, v112
	ds_bpermute_b32 v65, v131, v70
	s_waitcnt vmcnt(0) lgkmcnt(0)
	s_waitcnt_vscnt null, 0x0
	s_barrier
	buffer_gl0_inv
	s_load_b32 s1, s[2:3], 0x0
	v_add_f32_e32 v38, v38, v68
	ds_bpermute_b32 v68, v115, v69
	v_add_f32_e32 v81, v119, v97
	v_mov_b32_e32 v119, v114
	v_add_f32_e32 v71, v71, v83
	ds_bpermute_b32 v98, v131, v54
	v_add_f32_e32 v67, v67, v64
	ds_bpermute_b32 v85, v115, v81
	ds_bpermute_b32 v64, v100, v103
	v_add_f32_e32 v55, v70, v65
	ds_bpermute_b32 v70, v100, v102
	ds_bpermute_b32 v97, v131, v67
	v_add_f32_e32 v82, v129, v82
	s_waitcnt lgkmcnt(0)
	v_add_f32_e32 v68, v69, v68
	ds_bpermute_b32 v69, v100, v114
	v_mov_b32_e32 v114, v99
	ds_bpermute_b32 v99, v100, v99
	v_add_f32_e32 v80, v128, v96
	ds_bpermute_b32 v96, v100, v112
	v_dual_add_f32 v81, v81, v85 :: v_dual_add_f32 v64, v103, v64
	s_waitcnt lgkmcnt(2)
	v_add_f32_e32 v69, v119, v69
	ds_bpermute_b32 v84, v115, v80
	s_waitcnt lgkmcnt(2)
	v_dual_add_f32 v99, v114, v99 :: v_dual_mov_b32 v128, v116
	v_add_f32_e32 v85, v118, v87
	v_mov_b32_e32 v112, v102
	ds_bpermute_b32 v114, v115, v99
	v_add_f32_e32 v83, v128, v86
	ds_bpermute_b32 v102, v115, v85
	ds_bpermute_b32 v65, v131, v68
	;; [unrolled: 1-line block ×3, first 2 shown]
	v_add_f32_e32 v54, v54, v98
	ds_bpermute_b32 v98, v100, v101
	s_waitcnt lgkmcnt(4)
	v_dual_add_f32 v80, v80, v84 :: v_dual_add_f32 v99, v99, v114
	s_waitcnt lgkmcnt(3)
	v_add_f32_e32 v85, v85, v102
	s_waitcnt lgkmcnt(1)
	v_add_f32_e32 v83, v83, v87
	ds_bpermute_b32 v119, v131, v85
	v_add_f32_e32 v70, v112, v70
	ds_bpermute_b32 v112, v115, v64
	;; [unrolled: 2-line block ×4, first 2 shown]
	ds_bpermute_b32 v117, v131, v81
	ds_bpermute_b32 v130, v131, v99
	;; [unrolled: 1-line block ×3, first 2 shown]
	s_waitcnt lgkmcnt(3)
	v_add_f32_e32 v96, v69, v96
	s_waitcnt lgkmcnt(0)
	v_dual_add_f32 v86, v86, v103 :: v_dual_add_f32 v103, v64, v112
	v_mov_b32_e32 v116, v101
	ds_bpermute_b32 v101, v115, v66
	v_add_f32_e32 v64, v68, v65
	v_add_f32_e32 v65, v67, v97
	ds_bpermute_b32 v129, v131, v103
	ds_bpermute_b32 v84, v115, v82
	v_add_f32_e32 v68, v81, v117
	v_add_f32_e32 v81, v85, v119
	ds_bpermute_b32 v112, v131, v96
	scratch_load_b32 v97, off, s32 offset:1276 ; 4-byte Folded Reload
	s_waitcnt lgkmcnt(3)
	v_dual_add_f32 v101, v66, v101 :: v_dual_add_f32 v98, v116, v98
	ds_bpermute_b32 v116, v131, v71
	ds_bpermute_b32 v118, v131, v101
	;; [unrolled: 1-line block ×3, first 2 shown]
	s_waitcnt lgkmcnt(1)
	v_add_f32_e32 v69, v101, v118
	scratch_load_b32 v101, off, s32 offset:1280 ; 4-byte Folded Reload
	s_waitcnt lgkmcnt(0)
	v_add_f32_e32 v98, v98, v66
	v_add_f32_e32 v66, v71, v116
	;; [unrolled: 1-line block ×4, first 2 shown]
	ds_bpermute_b32 v100, v100, v113
	s_waitcnt lgkmcnt(0)
	v_add_f32_e32 v100, v113, v100
	ds_bpermute_b32 v113, v115, v70
	ds_bpermute_b32 v115, v115, v100
	s_waitcnt lgkmcnt(0)
	v_dual_add_f32 v113, v70, v113 :: v_dual_add_f32 v100, v100, v115
	v_add_f32_e32 v82, v82, v84
	ds_bpermute_b32 v84, v131, v80
	ds_bpermute_b32 v114, v131, v113
	;; [unrolled: 1-line block ×4, first 2 shown]
	s_waitcnt lgkmcnt(3)
	v_add_f32_e32 v67, v80, v84
	v_add_f32_e32 v80, v96, v112
	ds_bpermute_b32 v128, v131, v86
	ds_bpermute_b32 v131, v131, v100
	s_waitcnt lgkmcnt(2)
	v_add_f32_e32 v70, v82, v87
	v_dual_add_f32 v84, v113, v114 :: v_dual_add_f32 v85, v98, v115
	s_waitcnt lgkmcnt(0)
	v_dual_add_f32 v82, v86, v128 :: v_dual_add_f32 v87, v100, v131
	v_add_f32_e32 v86, v99, v130
	s_waitcnt vmcnt(1)
	v_lshl_add_u32 v97, v97, 10, s1
	s_waitcnt vmcnt(0)
	v_and_b32_e32 v96, 7, v101
	v_and_b32_e32 v98, 0x3c0, v101
	s_delay_alu instid0(VALU_DEP_2)
	v_cmp_eq_u32_e32 vcc_lo, 0, v96
	scratch_load_b32 v96, off, s32 offset:1020 ; 4-byte Folded Reload
	s_waitcnt vmcnt(0)
	v_lshrrev_b32_e32 v96, 3, v96
	v_cmpx_eq_u32_e32 64, v98
	s_cbranch_execz .LBB53_171
; %bb.169:
	s_and_b32 exec_lo, exec_lo, vcc_lo
	s_cbranch_execz .LBB53_171
; %bb.170:
	v_lshlrev_b32_e32 v98, 2, v96
	s_delay_alu instid0(VALU_DEP_1)
	v_add3_u32 v98, v97, v98, 0xfffff800
	ds_store_2addr_b32 v98, v0, v1 offset1:4
	ds_store_2addr_b32 v98, v2, v3 offset0:8 offset1:12
	ds_store_2addr_b32 v98, v4, v5 offset0:16 offset1:20
	;; [unrolled: 1-line block ×31, first 2 shown]
.LBB53_171:
	s_or_b32 exec_lo, exec_lo, s5
	s_waitcnt lgkmcnt(0)
	s_barrier
	buffer_gl0_inv
	s_and_saveexec_b32 s1, s0
	s_cbranch_execz .LBB53_238
; %bb.172:
	s_and_saveexec_b32 s0, vcc_lo
	s_cbranch_execnz .LBB53_311
; %bb.173:
	s_or_b32 exec_lo, exec_lo, s0
	s_and_saveexec_b32 s0, vcc_lo
	s_cbranch_execnz .LBB53_312
.LBB53_174:
	s_or_b32 exec_lo, exec_lo, s0
	s_and_saveexec_b32 s0, vcc_lo
	s_cbranch_execnz .LBB53_313
.LBB53_175:
	s_or_b32 exec_lo, exec_lo, s0
	s_and_saveexec_b32 s0, vcc_lo
	s_cbranch_execnz .LBB53_314
.LBB53_176:
	s_or_b32 exec_lo, exec_lo, s0
	s_and_saveexec_b32 s0, vcc_lo
	s_cbranch_execnz .LBB53_315
.LBB53_177:
	s_or_b32 exec_lo, exec_lo, s0
	s_and_saveexec_b32 s0, vcc_lo
	s_cbranch_execnz .LBB53_316
.LBB53_178:
	s_or_b32 exec_lo, exec_lo, s0
	s_and_saveexec_b32 s0, vcc_lo
	s_cbranch_execnz .LBB53_317
.LBB53_179:
	s_or_b32 exec_lo, exec_lo, s0
	s_and_saveexec_b32 s0, vcc_lo
	s_cbranch_execnz .LBB53_318
.LBB53_180:
	s_or_b32 exec_lo, exec_lo, s0
	s_and_saveexec_b32 s0, vcc_lo
	s_cbranch_execnz .LBB53_319
.LBB53_181:
	s_or_b32 exec_lo, exec_lo, s0
	s_and_saveexec_b32 s0, vcc_lo
	s_cbranch_execnz .LBB53_320
.LBB53_182:
	s_or_b32 exec_lo, exec_lo, s0
	s_and_saveexec_b32 s0, vcc_lo
	s_cbranch_execnz .LBB53_321
.LBB53_183:
	s_or_b32 exec_lo, exec_lo, s0
	s_and_saveexec_b32 s0, vcc_lo
	s_cbranch_execnz .LBB53_322
.LBB53_184:
	s_or_b32 exec_lo, exec_lo, s0
	s_and_saveexec_b32 s0, vcc_lo
	s_cbranch_execnz .LBB53_323
.LBB53_185:
	s_or_b32 exec_lo, exec_lo, s0
	s_and_saveexec_b32 s0, vcc_lo
	s_cbranch_execnz .LBB53_324
.LBB53_186:
	s_or_b32 exec_lo, exec_lo, s0
	s_and_saveexec_b32 s0, vcc_lo
	s_cbranch_execnz .LBB53_325
.LBB53_187:
	s_or_b32 exec_lo, exec_lo, s0
	s_and_saveexec_b32 s0, vcc_lo
	s_cbranch_execnz .LBB53_326
.LBB53_188:
	s_or_b32 exec_lo, exec_lo, s0
	s_and_saveexec_b32 s0, vcc_lo
	s_cbranch_execnz .LBB53_327
.LBB53_189:
	s_or_b32 exec_lo, exec_lo, s0
	s_and_saveexec_b32 s0, vcc_lo
	s_cbranch_execnz .LBB53_328
.LBB53_190:
	s_or_b32 exec_lo, exec_lo, s0
	s_and_saveexec_b32 s0, vcc_lo
	s_cbranch_execnz .LBB53_329
.LBB53_191:
	s_or_b32 exec_lo, exec_lo, s0
	s_and_saveexec_b32 s0, vcc_lo
	s_cbranch_execnz .LBB53_330
.LBB53_192:
	s_or_b32 exec_lo, exec_lo, s0
	s_and_saveexec_b32 s0, vcc_lo
	s_cbranch_execnz .LBB53_331
.LBB53_193:
	s_or_b32 exec_lo, exec_lo, s0
	s_and_saveexec_b32 s0, vcc_lo
	s_cbranch_execnz .LBB53_332
.LBB53_194:
	s_or_b32 exec_lo, exec_lo, s0
	s_and_saveexec_b32 s0, vcc_lo
	s_cbranch_execnz .LBB53_333
.LBB53_195:
	s_or_b32 exec_lo, exec_lo, s0
	s_and_saveexec_b32 s0, vcc_lo
	s_cbranch_execnz .LBB53_334
.LBB53_196:
	s_or_b32 exec_lo, exec_lo, s0
	s_and_saveexec_b32 s0, vcc_lo
	s_cbranch_execnz .LBB53_335
.LBB53_197:
	s_or_b32 exec_lo, exec_lo, s0
	s_and_saveexec_b32 s0, vcc_lo
	s_cbranch_execnz .LBB53_336
.LBB53_198:
	s_or_b32 exec_lo, exec_lo, s0
	s_and_saveexec_b32 s0, vcc_lo
	s_cbranch_execnz .LBB53_337
.LBB53_199:
	s_or_b32 exec_lo, exec_lo, s0
	s_and_saveexec_b32 s0, vcc_lo
	s_cbranch_execnz .LBB53_338
.LBB53_200:
	s_or_b32 exec_lo, exec_lo, s0
	s_and_saveexec_b32 s0, vcc_lo
	s_cbranch_execnz .LBB53_339
.LBB53_201:
	s_or_b32 exec_lo, exec_lo, s0
	s_and_saveexec_b32 s0, vcc_lo
	s_cbranch_execnz .LBB53_340
.LBB53_202:
	s_or_b32 exec_lo, exec_lo, s0
	s_and_saveexec_b32 s0, vcc_lo
	s_cbranch_execnz .LBB53_341
.LBB53_203:
	s_or_b32 exec_lo, exec_lo, s0
	s_and_saveexec_b32 s0, vcc_lo
	s_cbranch_execnz .LBB53_342
.LBB53_204:
	s_or_b32 exec_lo, exec_lo, s0
	s_and_saveexec_b32 s0, vcc_lo
	s_cbranch_execnz .LBB53_343
.LBB53_205:
	s_or_b32 exec_lo, exec_lo, s0
	s_and_saveexec_b32 s0, vcc_lo
	s_cbranch_execnz .LBB53_344
.LBB53_206:
	s_or_b32 exec_lo, exec_lo, s0
	s_and_saveexec_b32 s0, vcc_lo
	s_cbranch_execnz .LBB53_345
.LBB53_207:
	s_or_b32 exec_lo, exec_lo, s0
	s_and_saveexec_b32 s0, vcc_lo
	s_cbranch_execnz .LBB53_346
.LBB53_208:
	s_or_b32 exec_lo, exec_lo, s0
	s_and_saveexec_b32 s0, vcc_lo
	s_cbranch_execnz .LBB53_347
.LBB53_209:
	s_or_b32 exec_lo, exec_lo, s0
	s_and_saveexec_b32 s0, vcc_lo
	s_cbranch_execnz .LBB53_348
.LBB53_210:
	s_or_b32 exec_lo, exec_lo, s0
	s_and_saveexec_b32 s0, vcc_lo
	s_cbranch_execnz .LBB53_349
.LBB53_211:
	s_or_b32 exec_lo, exec_lo, s0
	s_and_saveexec_b32 s0, vcc_lo
	s_cbranch_execnz .LBB53_350
.LBB53_212:
	s_or_b32 exec_lo, exec_lo, s0
	s_and_saveexec_b32 s0, vcc_lo
	s_cbranch_execnz .LBB53_351
.LBB53_213:
	s_or_b32 exec_lo, exec_lo, s0
	s_and_saveexec_b32 s0, vcc_lo
	s_cbranch_execnz .LBB53_352
.LBB53_214:
	s_or_b32 exec_lo, exec_lo, s0
	s_and_saveexec_b32 s0, vcc_lo
	s_cbranch_execnz .LBB53_353
.LBB53_215:
	s_or_b32 exec_lo, exec_lo, s0
	s_and_saveexec_b32 s0, vcc_lo
	s_cbranch_execnz .LBB53_354
.LBB53_216:
	s_or_b32 exec_lo, exec_lo, s0
	s_and_saveexec_b32 s0, vcc_lo
	s_cbranch_execnz .LBB53_355
.LBB53_217:
	s_or_b32 exec_lo, exec_lo, s0
	s_and_saveexec_b32 s0, vcc_lo
	s_cbranch_execnz .LBB53_356
.LBB53_218:
	s_or_b32 exec_lo, exec_lo, s0
	s_and_saveexec_b32 s0, vcc_lo
	s_cbranch_execnz .LBB53_357
.LBB53_219:
	s_or_b32 exec_lo, exec_lo, s0
	s_and_saveexec_b32 s0, vcc_lo
	s_cbranch_execnz .LBB53_358
.LBB53_220:
	s_or_b32 exec_lo, exec_lo, s0
	s_and_saveexec_b32 s0, vcc_lo
	s_cbranch_execnz .LBB53_359
.LBB53_221:
	s_or_b32 exec_lo, exec_lo, s0
	s_and_saveexec_b32 s0, vcc_lo
	s_cbranch_execnz .LBB53_360
.LBB53_222:
	s_or_b32 exec_lo, exec_lo, s0
	s_and_saveexec_b32 s0, vcc_lo
	s_cbranch_execnz .LBB53_361
.LBB53_223:
	s_or_b32 exec_lo, exec_lo, s0
	s_and_saveexec_b32 s0, vcc_lo
	s_cbranch_execnz .LBB53_362
.LBB53_224:
	s_or_b32 exec_lo, exec_lo, s0
	s_and_saveexec_b32 s0, vcc_lo
	s_cbranch_execnz .LBB53_363
.LBB53_225:
	s_or_b32 exec_lo, exec_lo, s0
	s_and_saveexec_b32 s0, vcc_lo
	s_cbranch_execnz .LBB53_364
.LBB53_226:
	s_or_b32 exec_lo, exec_lo, s0
	s_and_saveexec_b32 s0, vcc_lo
	s_cbranch_execnz .LBB53_365
.LBB53_227:
	s_or_b32 exec_lo, exec_lo, s0
	s_and_saveexec_b32 s0, vcc_lo
	s_cbranch_execnz .LBB53_366
.LBB53_228:
	s_or_b32 exec_lo, exec_lo, s0
	s_and_saveexec_b32 s0, vcc_lo
	s_cbranch_execnz .LBB53_367
.LBB53_229:
	s_or_b32 exec_lo, exec_lo, s0
	s_and_saveexec_b32 s0, vcc_lo
	s_cbranch_execnz .LBB53_368
.LBB53_230:
	s_or_b32 exec_lo, exec_lo, s0
	s_and_saveexec_b32 s0, vcc_lo
	s_cbranch_execnz .LBB53_369
.LBB53_231:
	s_or_b32 exec_lo, exec_lo, s0
	s_and_saveexec_b32 s0, vcc_lo
	s_cbranch_execnz .LBB53_370
.LBB53_232:
	s_or_b32 exec_lo, exec_lo, s0
	s_and_saveexec_b32 s0, vcc_lo
	s_cbranch_execnz .LBB53_371
.LBB53_233:
	s_or_b32 exec_lo, exec_lo, s0
	s_and_saveexec_b32 s0, vcc_lo
	s_cbranch_execnz .LBB53_372
.LBB53_234:
	s_or_b32 exec_lo, exec_lo, s0
	s_and_saveexec_b32 s0, vcc_lo
	s_cbranch_execnz .LBB53_373
.LBB53_235:
	s_or_b32 exec_lo, exec_lo, s0
	s_and_saveexec_b32 s0, vcc_lo
	s_cbranch_execz .LBB53_237
.LBB53_236:
	v_lshl_add_u32 v98, v96, 2, v97
	ds_load_b32 v98, v98 offset:1008
	s_waitcnt lgkmcnt(0)
	v_add_f32_e32 v87, v98, v87
.LBB53_237:
	s_or_b32 exec_lo, exec_lo, s0
.LBB53_238:
	s_delay_alu instid0(SALU_CYCLE_1)
	s_or_b32 exec_lo, exec_lo, s1
	v_and_b32_e32 v98, 0x3e7, v101
	s_mov_b32 s1, exec_lo
	s_barrier
	buffer_gl0_inv
	v_cmpx_eq_u32_e32 32, v98
	s_cbranch_execz .LBB53_240
; %bb.239:
	s_load_b32 s0, s[2:3], 0x0
	s_waitcnt lgkmcnt(0)
	v_lshl_add_u32 v98, v96, 2, s0
	ds_store_2addr_b32 v98, v0, v1 offset1:4
	ds_store_2addr_b32 v98, v2, v3 offset0:8 offset1:12
	ds_store_2addr_b32 v98, v4, v5 offset0:16 offset1:20
	;; [unrolled: 1-line block ×31, first 2 shown]
.LBB53_240:
	s_or_b32 exec_lo, exec_lo, s1
	v_cmp_gt_u32_e64 s0, 32, v101
	s_waitcnt lgkmcnt(0)
	s_barrier
	buffer_gl0_inv
	s_and_saveexec_b32 s1, s0
	s_cbranch_execz .LBB53_307
; %bb.241:
	v_lshl_add_u32 v96, v96, 2, v97
	s_and_saveexec_b32 s2, vcc_lo
	s_cbranch_execnz .LBB53_374
; %bb.242:
	s_or_b32 exec_lo, exec_lo, s2
	s_and_saveexec_b32 s2, vcc_lo
	s_cbranch_execnz .LBB53_375
.LBB53_243:
	s_or_b32 exec_lo, exec_lo, s2
	s_and_saveexec_b32 s2, vcc_lo
	s_cbranch_execnz .LBB53_376
.LBB53_244:
	s_or_b32 exec_lo, exec_lo, s2
	s_and_saveexec_b32 s2, vcc_lo
	s_cbranch_execnz .LBB53_377
.LBB53_245:
	s_or_b32 exec_lo, exec_lo, s2
	s_and_saveexec_b32 s2, vcc_lo
	s_cbranch_execnz .LBB53_378
.LBB53_246:
	s_or_b32 exec_lo, exec_lo, s2
	s_and_saveexec_b32 s2, vcc_lo
	s_cbranch_execnz .LBB53_379
.LBB53_247:
	s_or_b32 exec_lo, exec_lo, s2
	s_and_saveexec_b32 s2, vcc_lo
	s_cbranch_execnz .LBB53_380
.LBB53_248:
	s_or_b32 exec_lo, exec_lo, s2
	s_and_saveexec_b32 s2, vcc_lo
	s_cbranch_execnz .LBB53_381
.LBB53_249:
	s_or_b32 exec_lo, exec_lo, s2
	s_and_saveexec_b32 s2, vcc_lo
	s_cbranch_execnz .LBB53_382
.LBB53_250:
	s_or_b32 exec_lo, exec_lo, s2
	s_and_saveexec_b32 s2, vcc_lo
	s_cbranch_execnz .LBB53_383
.LBB53_251:
	s_or_b32 exec_lo, exec_lo, s2
	s_and_saveexec_b32 s2, vcc_lo
	s_cbranch_execnz .LBB53_384
.LBB53_252:
	s_or_b32 exec_lo, exec_lo, s2
	s_and_saveexec_b32 s2, vcc_lo
	s_cbranch_execnz .LBB53_385
.LBB53_253:
	s_or_b32 exec_lo, exec_lo, s2
	s_and_saveexec_b32 s2, vcc_lo
	s_cbranch_execnz .LBB53_386
.LBB53_254:
	s_or_b32 exec_lo, exec_lo, s2
	s_and_saveexec_b32 s2, vcc_lo
	s_cbranch_execnz .LBB53_387
.LBB53_255:
	s_or_b32 exec_lo, exec_lo, s2
	s_and_saveexec_b32 s2, vcc_lo
	s_cbranch_execnz .LBB53_388
.LBB53_256:
	s_or_b32 exec_lo, exec_lo, s2
	s_and_saveexec_b32 s2, vcc_lo
	s_cbranch_execnz .LBB53_389
.LBB53_257:
	s_or_b32 exec_lo, exec_lo, s2
	s_and_saveexec_b32 s2, vcc_lo
	s_cbranch_execnz .LBB53_390
.LBB53_258:
	s_or_b32 exec_lo, exec_lo, s2
	s_and_saveexec_b32 s2, vcc_lo
	s_cbranch_execnz .LBB53_391
.LBB53_259:
	s_or_b32 exec_lo, exec_lo, s2
	s_and_saveexec_b32 s2, vcc_lo
	s_cbranch_execnz .LBB53_392
.LBB53_260:
	s_or_b32 exec_lo, exec_lo, s2
	s_and_saveexec_b32 s2, vcc_lo
	s_cbranch_execnz .LBB53_393
.LBB53_261:
	s_or_b32 exec_lo, exec_lo, s2
	s_and_saveexec_b32 s2, vcc_lo
	s_cbranch_execnz .LBB53_394
.LBB53_262:
	s_or_b32 exec_lo, exec_lo, s2
	s_and_saveexec_b32 s2, vcc_lo
	s_cbranch_execnz .LBB53_395
.LBB53_263:
	s_or_b32 exec_lo, exec_lo, s2
	s_and_saveexec_b32 s2, vcc_lo
	s_cbranch_execnz .LBB53_396
.LBB53_264:
	s_or_b32 exec_lo, exec_lo, s2
	s_and_saveexec_b32 s2, vcc_lo
	s_cbranch_execnz .LBB53_397
.LBB53_265:
	s_or_b32 exec_lo, exec_lo, s2
	s_and_saveexec_b32 s2, vcc_lo
	s_cbranch_execnz .LBB53_398
.LBB53_266:
	s_or_b32 exec_lo, exec_lo, s2
	s_and_saveexec_b32 s2, vcc_lo
	s_cbranch_execnz .LBB53_399
.LBB53_267:
	s_or_b32 exec_lo, exec_lo, s2
	s_and_saveexec_b32 s2, vcc_lo
	s_cbranch_execnz .LBB53_400
.LBB53_268:
	s_or_b32 exec_lo, exec_lo, s2
	s_and_saveexec_b32 s2, vcc_lo
	s_cbranch_execnz .LBB53_401
.LBB53_269:
	s_or_b32 exec_lo, exec_lo, s2
	s_and_saveexec_b32 s2, vcc_lo
	s_cbranch_execnz .LBB53_402
.LBB53_270:
	s_or_b32 exec_lo, exec_lo, s2
	s_and_saveexec_b32 s2, vcc_lo
	s_cbranch_execnz .LBB53_403
.LBB53_271:
	s_or_b32 exec_lo, exec_lo, s2
	s_and_saveexec_b32 s2, vcc_lo
	s_cbranch_execnz .LBB53_404
.LBB53_272:
	s_or_b32 exec_lo, exec_lo, s2
	s_and_saveexec_b32 s2, vcc_lo
	s_cbranch_execnz .LBB53_405
.LBB53_273:
	s_or_b32 exec_lo, exec_lo, s2
	s_and_saveexec_b32 s2, vcc_lo
	s_cbranch_execnz .LBB53_406
.LBB53_274:
	s_or_b32 exec_lo, exec_lo, s2
	s_and_saveexec_b32 s2, vcc_lo
	s_cbranch_execnz .LBB53_407
.LBB53_275:
	s_or_b32 exec_lo, exec_lo, s2
	s_and_saveexec_b32 s2, vcc_lo
	s_cbranch_execnz .LBB53_408
.LBB53_276:
	s_or_b32 exec_lo, exec_lo, s2
	s_and_saveexec_b32 s2, vcc_lo
	s_cbranch_execnz .LBB53_409
.LBB53_277:
	s_or_b32 exec_lo, exec_lo, s2
	s_and_saveexec_b32 s2, vcc_lo
	s_cbranch_execnz .LBB53_410
.LBB53_278:
	s_or_b32 exec_lo, exec_lo, s2
	s_and_saveexec_b32 s2, vcc_lo
	s_cbranch_execnz .LBB53_411
.LBB53_279:
	s_or_b32 exec_lo, exec_lo, s2
	s_and_saveexec_b32 s2, vcc_lo
	s_cbranch_execnz .LBB53_412
.LBB53_280:
	s_or_b32 exec_lo, exec_lo, s2
	s_and_saveexec_b32 s2, vcc_lo
	s_cbranch_execnz .LBB53_413
.LBB53_281:
	s_or_b32 exec_lo, exec_lo, s2
	s_and_saveexec_b32 s2, vcc_lo
	s_cbranch_execnz .LBB53_414
.LBB53_282:
	s_or_b32 exec_lo, exec_lo, s2
	s_and_saveexec_b32 s2, vcc_lo
	s_cbranch_execnz .LBB53_415
.LBB53_283:
	s_or_b32 exec_lo, exec_lo, s2
	s_and_saveexec_b32 s2, vcc_lo
	s_cbranch_execnz .LBB53_416
.LBB53_284:
	s_or_b32 exec_lo, exec_lo, s2
	s_and_saveexec_b32 s2, vcc_lo
	s_cbranch_execnz .LBB53_417
.LBB53_285:
	s_or_b32 exec_lo, exec_lo, s2
	s_and_saveexec_b32 s2, vcc_lo
	s_cbranch_execnz .LBB53_418
.LBB53_286:
	s_or_b32 exec_lo, exec_lo, s2
	s_and_saveexec_b32 s2, vcc_lo
	s_cbranch_execnz .LBB53_419
.LBB53_287:
	s_or_b32 exec_lo, exec_lo, s2
	s_and_saveexec_b32 s2, vcc_lo
	s_cbranch_execnz .LBB53_420
.LBB53_288:
	s_or_b32 exec_lo, exec_lo, s2
	s_and_saveexec_b32 s2, vcc_lo
	s_cbranch_execnz .LBB53_421
.LBB53_289:
	s_or_b32 exec_lo, exec_lo, s2
	s_and_saveexec_b32 s2, vcc_lo
	s_cbranch_execnz .LBB53_422
.LBB53_290:
	s_or_b32 exec_lo, exec_lo, s2
	s_and_saveexec_b32 s2, vcc_lo
	s_cbranch_execnz .LBB53_423
.LBB53_291:
	s_or_b32 exec_lo, exec_lo, s2
	s_and_saveexec_b32 s2, vcc_lo
	s_cbranch_execnz .LBB53_424
.LBB53_292:
	s_or_b32 exec_lo, exec_lo, s2
	s_and_saveexec_b32 s2, vcc_lo
	s_cbranch_execnz .LBB53_425
.LBB53_293:
	s_or_b32 exec_lo, exec_lo, s2
	s_and_saveexec_b32 s2, vcc_lo
	s_cbranch_execnz .LBB53_426
.LBB53_294:
	s_or_b32 exec_lo, exec_lo, s2
	s_and_saveexec_b32 s2, vcc_lo
	s_cbranch_execnz .LBB53_427
.LBB53_295:
	s_or_b32 exec_lo, exec_lo, s2
	s_and_saveexec_b32 s2, vcc_lo
	s_cbranch_execnz .LBB53_428
.LBB53_296:
	s_or_b32 exec_lo, exec_lo, s2
	s_and_saveexec_b32 s2, vcc_lo
	s_cbranch_execnz .LBB53_429
.LBB53_297:
	s_or_b32 exec_lo, exec_lo, s2
	s_and_saveexec_b32 s2, vcc_lo
	s_cbranch_execnz .LBB53_430
.LBB53_298:
	s_or_b32 exec_lo, exec_lo, s2
	s_and_saveexec_b32 s2, vcc_lo
	s_cbranch_execnz .LBB53_431
.LBB53_299:
	s_or_b32 exec_lo, exec_lo, s2
	s_and_saveexec_b32 s2, vcc_lo
	s_cbranch_execnz .LBB53_432
.LBB53_300:
	s_or_b32 exec_lo, exec_lo, s2
	s_and_saveexec_b32 s2, vcc_lo
	s_cbranch_execnz .LBB53_433
.LBB53_301:
	s_or_b32 exec_lo, exec_lo, s2
	s_and_saveexec_b32 s2, vcc_lo
	s_cbranch_execnz .LBB53_434
.LBB53_302:
	s_or_b32 exec_lo, exec_lo, s2
	s_and_saveexec_b32 s2, vcc_lo
	s_cbranch_execnz .LBB53_435
.LBB53_303:
	s_or_b32 exec_lo, exec_lo, s2
	s_and_saveexec_b32 s2, vcc_lo
	s_cbranch_execnz .LBB53_436
.LBB53_304:
	s_or_b32 exec_lo, exec_lo, s2
	s_and_saveexec_b32 s2, vcc_lo
	s_cbranch_execz .LBB53_306
.LBB53_305:
	ds_load_b32 v96, v96 offset:1008
	s_waitcnt lgkmcnt(0)
	v_add_f32_e32 v87, v96, v87
.LBB53_306:
	s_or_b32 exec_lo, exec_lo, s2
.LBB53_307:
	s_delay_alu instid0(SALU_CYCLE_1)
	s_or_b32 exec_lo, exec_lo, s1
	s_barrier
	buffer_gl0_inv
	s_and_b32 exec_lo, exec_lo, s0
	s_cbranch_execz .LBB53_310
; %bb.308:
	s_and_b32 exec_lo, exec_lo, vcc_lo
	s_cbranch_execz .LBB53_310
; %bb.309:
	s_clause 0x1
	scratch_load_b32 v97, off, s32 offset:1288
	scratch_load_b32 v98, off, s32 offset:1284
	s_mul_i32 s1, s4, s6
	s_mul_i32 s0, s10, s4
	;; [unrolled: 1-line block ×3, first 2 shown]
	s_lshl_b32 s2, s14, 8
	s_lshl_b32 s4, s1, 8
	s_ashr_i32 s1, s0, 31
	s_ashr_i32 s3, s2, 31
	;; [unrolled: 1-line block ×3, first 2 shown]
	s_lshl_b64 s[0:1], s[0:1], 2
	s_lshl_b64 s[2:3], s[2:3], 2
	;; [unrolled: 1-line block ×3, first 2 shown]
	v_lshrrev_b32_e32 v96, 1, v101
	s_add_u32 s0, s2, s0
	s_addc_u32 s1, s3, s1
	s_add_u32 s0, s0, s4
	s_addc_u32 s1, s1, s5
	v_and_b32_e32 v96, 0x1fc, v96
	s_waitcnt vmcnt(1)
	v_add_co_u32 v97, vcc_lo, s0, v97
	s_waitcnt vmcnt(0)
	v_add_co_ci_u32_e32 v98, vcc_lo, s1, v98, vcc_lo
	s_delay_alu instid0(VALU_DEP_2) | instskip(NEXT) | instid1(VALU_DEP_2)
	v_add_co_u32 v96, vcc_lo, v97, v96
	v_add_co_ci_u32_e32 v97, vcc_lo, 0, v98, vcc_lo
	s_clause 0x1f
	flat_store_b32 v[96:97], v0
	flat_store_b32 v[96:97], v1 offset:16
	flat_store_b32 v[96:97], v2 offset:32
	;; [unrolled: 1-line block ×31, first 2 shown]
	s_clause 0x1f
	flat_store_b32 v[96:97], v32 offset:512
	flat_store_b32 v[96:97], v33 offset:528
	;; [unrolled: 1-line block ×32, first 2 shown]
.LBB53_310:
	s_or_b32 exec_lo, exec_lo, s7
	s_clause 0x1f
	scratch_load_b32 v191, off, s32
	scratch_load_b32 v190, off, s32 offset:4
	scratch_load_b32 v189, off, s32 offset:8
	;; [unrolled: 1-line block ×31, first 2 shown]
	s_clause 0x1f
	scratch_load_b32 v127, off, s32 offset:128
	scratch_load_b32 v126, off, s32 offset:132
	scratch_load_b32 v125, off, s32 offset:136
	scratch_load_b32 v124, off, s32 offset:140
	scratch_load_b32 v123, off, s32 offset:144
	scratch_load_b32 v122, off, s32 offset:148
	scratch_load_b32 v121, off, s32 offset:152
	scratch_load_b32 v120, off, s32 offset:156
	scratch_load_b32 v111, off, s32 offset:160
	scratch_load_b32 v110, off, s32 offset:164
	scratch_load_b32 v109, off, s32 offset:168
	scratch_load_b32 v108, off, s32 offset:172
	scratch_load_b32 v107, off, s32 offset:176
	scratch_load_b32 v106, off, s32 offset:180
	scratch_load_b32 v105, off, s32 offset:184
	scratch_load_b32 v104, off, s32 offset:188
	scratch_load_b32 v95, off, s32 offset:192
	scratch_load_b32 v94, off, s32 offset:196
	scratch_load_b32 v93, off, s32 offset:200
	scratch_load_b32 v92, off, s32 offset:204
	scratch_load_b32 v91, off, s32 offset:208
	scratch_load_b32 v90, off, s32 offset:212
	scratch_load_b32 v89, off, s32 offset:216
	scratch_load_b32 v88, off, s32 offset:220
	scratch_load_b32 v79, off, s32 offset:224
	scratch_load_b32 v78, off, s32 offset:228
	scratch_load_b32 v77, off, s32 offset:232
	scratch_load_b32 v76, off, s32 offset:236
	scratch_load_b32 v75, off, s32 offset:240
	scratch_load_b32 v74, off, s32 offset:244
	scratch_load_b32 v73, off, s32 offset:248
	scratch_load_b32 v72, off, s32 offset:252
	s_clause 0xf
	scratch_load_b32 v63, off, s32 offset:256
	scratch_load_b32 v62, off, s32 offset:260
	;; [unrolled: 1-line block ×16, first 2 shown]
	s_waitcnt vmcnt(0) lgkmcnt(0)
	s_setpc_b64 s[30:31]
.LBB53_311:
	v_lshl_add_u32 v98, v96, 2, v97
	ds_load_b32 v98, v98
	s_waitcnt lgkmcnt(0)
	v_add_f32_e32 v0, v98, v0
	s_or_b32 exec_lo, exec_lo, s0
	s_and_saveexec_b32 s0, vcc_lo
	s_cbranch_execz .LBB53_174
.LBB53_312:
	v_lshl_add_u32 v98, v96, 2, v97
	ds_load_b32 v98, v98 offset:16
	s_waitcnt lgkmcnt(0)
	v_add_f32_e32 v1, v98, v1
	s_or_b32 exec_lo, exec_lo, s0
	s_and_saveexec_b32 s0, vcc_lo
	s_cbranch_execz .LBB53_175
.LBB53_313:
	v_lshl_add_u32 v98, v96, 2, v97
	ds_load_b32 v98, v98 offset:32
	s_waitcnt lgkmcnt(0)
	v_add_f32_e32 v2, v98, v2
	s_or_b32 exec_lo, exec_lo, s0
	s_and_saveexec_b32 s0, vcc_lo
	s_cbranch_execz .LBB53_176
.LBB53_314:
	v_lshl_add_u32 v98, v96, 2, v97
	ds_load_b32 v98, v98 offset:48
	s_waitcnt lgkmcnt(0)
	v_add_f32_e32 v3, v98, v3
	s_or_b32 exec_lo, exec_lo, s0
	s_and_saveexec_b32 s0, vcc_lo
	s_cbranch_execz .LBB53_177
.LBB53_315:
	v_lshl_add_u32 v98, v96, 2, v97
	ds_load_b32 v98, v98 offset:64
	s_waitcnt lgkmcnt(0)
	v_add_f32_e32 v4, v98, v4
	s_or_b32 exec_lo, exec_lo, s0
	s_and_saveexec_b32 s0, vcc_lo
	s_cbranch_execz .LBB53_178
.LBB53_316:
	v_lshl_add_u32 v98, v96, 2, v97
	ds_load_b32 v98, v98 offset:80
	s_waitcnt lgkmcnt(0)
	v_add_f32_e32 v5, v98, v5
	s_or_b32 exec_lo, exec_lo, s0
	s_and_saveexec_b32 s0, vcc_lo
	s_cbranch_execz .LBB53_179
.LBB53_317:
	v_lshl_add_u32 v98, v96, 2, v97
	ds_load_b32 v98, v98 offset:96
	s_waitcnt lgkmcnt(0)
	v_add_f32_e32 v6, v98, v6
	s_or_b32 exec_lo, exec_lo, s0
	s_and_saveexec_b32 s0, vcc_lo
	s_cbranch_execz .LBB53_180
.LBB53_318:
	v_lshl_add_u32 v98, v96, 2, v97
	ds_load_b32 v98, v98 offset:112
	s_waitcnt lgkmcnt(0)
	v_add_f32_e32 v7, v98, v7
	s_or_b32 exec_lo, exec_lo, s0
	s_and_saveexec_b32 s0, vcc_lo
	s_cbranch_execz .LBB53_181
.LBB53_319:
	v_lshl_add_u32 v98, v96, 2, v97
	ds_load_b32 v98, v98 offset:128
	s_waitcnt lgkmcnt(0)
	v_add_f32_e32 v8, v98, v8
	s_or_b32 exec_lo, exec_lo, s0
	s_and_saveexec_b32 s0, vcc_lo
	s_cbranch_execz .LBB53_182
.LBB53_320:
	v_lshl_add_u32 v98, v96, 2, v97
	ds_load_b32 v98, v98 offset:144
	s_waitcnt lgkmcnt(0)
	v_add_f32_e32 v9, v98, v9
	s_or_b32 exec_lo, exec_lo, s0
	s_and_saveexec_b32 s0, vcc_lo
	s_cbranch_execz .LBB53_183
.LBB53_321:
	v_lshl_add_u32 v98, v96, 2, v97
	ds_load_b32 v98, v98 offset:160
	s_waitcnt lgkmcnt(0)
	v_add_f32_e32 v10, v98, v10
	s_or_b32 exec_lo, exec_lo, s0
	s_and_saveexec_b32 s0, vcc_lo
	s_cbranch_execz .LBB53_184
.LBB53_322:
	v_lshl_add_u32 v98, v96, 2, v97
	ds_load_b32 v98, v98 offset:176
	s_waitcnt lgkmcnt(0)
	v_add_f32_e32 v11, v98, v11
	s_or_b32 exec_lo, exec_lo, s0
	s_and_saveexec_b32 s0, vcc_lo
	s_cbranch_execz .LBB53_185
.LBB53_323:
	v_lshl_add_u32 v98, v96, 2, v97
	ds_load_b32 v98, v98 offset:192
	s_waitcnt lgkmcnt(0)
	v_add_f32_e32 v12, v98, v12
	s_or_b32 exec_lo, exec_lo, s0
	s_and_saveexec_b32 s0, vcc_lo
	s_cbranch_execz .LBB53_186
.LBB53_324:
	v_lshl_add_u32 v98, v96, 2, v97
	ds_load_b32 v98, v98 offset:208
	s_waitcnt lgkmcnt(0)
	v_add_f32_e32 v13, v98, v13
	s_or_b32 exec_lo, exec_lo, s0
	s_and_saveexec_b32 s0, vcc_lo
	s_cbranch_execz .LBB53_187
.LBB53_325:
	v_lshl_add_u32 v98, v96, 2, v97
	ds_load_b32 v98, v98 offset:224
	s_waitcnt lgkmcnt(0)
	v_add_f32_e32 v14, v98, v14
	s_or_b32 exec_lo, exec_lo, s0
	s_and_saveexec_b32 s0, vcc_lo
	s_cbranch_execz .LBB53_188
.LBB53_326:
	v_lshl_add_u32 v98, v96, 2, v97
	ds_load_b32 v98, v98 offset:240
	s_waitcnt lgkmcnt(0)
	v_add_f32_e32 v15, v98, v15
	s_or_b32 exec_lo, exec_lo, s0
	s_and_saveexec_b32 s0, vcc_lo
	s_cbranch_execz .LBB53_189
.LBB53_327:
	v_lshl_add_u32 v98, v96, 2, v97
	ds_load_b32 v98, v98 offset:256
	s_waitcnt lgkmcnt(0)
	v_add_f32_e32 v16, v98, v16
	s_or_b32 exec_lo, exec_lo, s0
	s_and_saveexec_b32 s0, vcc_lo
	s_cbranch_execz .LBB53_190
.LBB53_328:
	v_lshl_add_u32 v98, v96, 2, v97
	ds_load_b32 v98, v98 offset:272
	s_waitcnt lgkmcnt(0)
	v_add_f32_e32 v17, v98, v17
	s_or_b32 exec_lo, exec_lo, s0
	s_and_saveexec_b32 s0, vcc_lo
	s_cbranch_execz .LBB53_191
.LBB53_329:
	v_lshl_add_u32 v98, v96, 2, v97
	ds_load_b32 v98, v98 offset:288
	s_waitcnt lgkmcnt(0)
	v_add_f32_e32 v18, v98, v18
	s_or_b32 exec_lo, exec_lo, s0
	s_and_saveexec_b32 s0, vcc_lo
	s_cbranch_execz .LBB53_192
.LBB53_330:
	v_lshl_add_u32 v98, v96, 2, v97
	ds_load_b32 v98, v98 offset:304
	s_waitcnt lgkmcnt(0)
	v_add_f32_e32 v19, v98, v19
	s_or_b32 exec_lo, exec_lo, s0
	s_and_saveexec_b32 s0, vcc_lo
	s_cbranch_execz .LBB53_193
.LBB53_331:
	v_lshl_add_u32 v98, v96, 2, v97
	ds_load_b32 v98, v98 offset:320
	s_waitcnt lgkmcnt(0)
	v_add_f32_e32 v20, v98, v20
	s_or_b32 exec_lo, exec_lo, s0
	s_and_saveexec_b32 s0, vcc_lo
	s_cbranch_execz .LBB53_194
.LBB53_332:
	v_lshl_add_u32 v98, v96, 2, v97
	ds_load_b32 v98, v98 offset:336
	s_waitcnt lgkmcnt(0)
	v_add_f32_e32 v21, v98, v21
	s_or_b32 exec_lo, exec_lo, s0
	s_and_saveexec_b32 s0, vcc_lo
	s_cbranch_execz .LBB53_195
.LBB53_333:
	v_lshl_add_u32 v98, v96, 2, v97
	ds_load_b32 v98, v98 offset:352
	s_waitcnt lgkmcnt(0)
	v_add_f32_e32 v22, v98, v22
	s_or_b32 exec_lo, exec_lo, s0
	s_and_saveexec_b32 s0, vcc_lo
	s_cbranch_execz .LBB53_196
.LBB53_334:
	v_lshl_add_u32 v98, v96, 2, v97
	ds_load_b32 v98, v98 offset:368
	s_waitcnt lgkmcnt(0)
	v_add_f32_e32 v23, v98, v23
	s_or_b32 exec_lo, exec_lo, s0
	s_and_saveexec_b32 s0, vcc_lo
	s_cbranch_execz .LBB53_197
.LBB53_335:
	v_lshl_add_u32 v98, v96, 2, v97
	ds_load_b32 v98, v98 offset:384
	s_waitcnt lgkmcnt(0)
	v_add_f32_e32 v24, v98, v24
	s_or_b32 exec_lo, exec_lo, s0
	s_and_saveexec_b32 s0, vcc_lo
	s_cbranch_execz .LBB53_198
.LBB53_336:
	v_lshl_add_u32 v98, v96, 2, v97
	ds_load_b32 v98, v98 offset:400
	s_waitcnt lgkmcnt(0)
	v_add_f32_e32 v25, v98, v25
	s_or_b32 exec_lo, exec_lo, s0
	s_and_saveexec_b32 s0, vcc_lo
	s_cbranch_execz .LBB53_199
.LBB53_337:
	v_lshl_add_u32 v98, v96, 2, v97
	ds_load_b32 v98, v98 offset:416
	s_waitcnt lgkmcnt(0)
	v_add_f32_e32 v26, v98, v26
	s_or_b32 exec_lo, exec_lo, s0
	s_and_saveexec_b32 s0, vcc_lo
	s_cbranch_execz .LBB53_200
.LBB53_338:
	v_lshl_add_u32 v98, v96, 2, v97
	ds_load_b32 v98, v98 offset:432
	s_waitcnt lgkmcnt(0)
	v_add_f32_e32 v27, v98, v27
	s_or_b32 exec_lo, exec_lo, s0
	s_and_saveexec_b32 s0, vcc_lo
	s_cbranch_execz .LBB53_201
.LBB53_339:
	v_lshl_add_u32 v98, v96, 2, v97
	ds_load_b32 v98, v98 offset:448
	s_waitcnt lgkmcnt(0)
	v_add_f32_e32 v28, v98, v28
	s_or_b32 exec_lo, exec_lo, s0
	s_and_saveexec_b32 s0, vcc_lo
	s_cbranch_execz .LBB53_202
.LBB53_340:
	v_lshl_add_u32 v98, v96, 2, v97
	ds_load_b32 v98, v98 offset:464
	s_waitcnt lgkmcnt(0)
	v_add_f32_e32 v29, v98, v29
	s_or_b32 exec_lo, exec_lo, s0
	s_and_saveexec_b32 s0, vcc_lo
	s_cbranch_execz .LBB53_203
.LBB53_341:
	v_lshl_add_u32 v98, v96, 2, v97
	ds_load_b32 v98, v98 offset:480
	s_waitcnt lgkmcnt(0)
	v_add_f32_e32 v30, v98, v30
	s_or_b32 exec_lo, exec_lo, s0
	s_and_saveexec_b32 s0, vcc_lo
	s_cbranch_execz .LBB53_204
.LBB53_342:
	v_lshl_add_u32 v98, v96, 2, v97
	ds_load_b32 v98, v98 offset:496
	s_waitcnt lgkmcnt(0)
	v_add_f32_e32 v31, v98, v31
	s_or_b32 exec_lo, exec_lo, s0
	s_and_saveexec_b32 s0, vcc_lo
	s_cbranch_execz .LBB53_205
.LBB53_343:
	v_lshl_add_u32 v98, v96, 2, v97
	ds_load_b32 v98, v98 offset:512
	s_waitcnt lgkmcnt(0)
	v_add_f32_e32 v32, v98, v32
	s_or_b32 exec_lo, exec_lo, s0
	s_and_saveexec_b32 s0, vcc_lo
	s_cbranch_execz .LBB53_206
.LBB53_344:
	v_lshl_add_u32 v98, v96, 2, v97
	ds_load_b32 v98, v98 offset:528
	s_waitcnt lgkmcnt(0)
	v_add_f32_e32 v33, v98, v33
	s_or_b32 exec_lo, exec_lo, s0
	s_and_saveexec_b32 s0, vcc_lo
	s_cbranch_execz .LBB53_207
.LBB53_345:
	v_lshl_add_u32 v98, v96, 2, v97
	ds_load_b32 v98, v98 offset:544
	s_waitcnt lgkmcnt(0)
	v_add_f32_e32 v34, v98, v34
	s_or_b32 exec_lo, exec_lo, s0
	s_and_saveexec_b32 s0, vcc_lo
	s_cbranch_execz .LBB53_208
.LBB53_346:
	v_lshl_add_u32 v98, v96, 2, v97
	ds_load_b32 v98, v98 offset:560
	s_waitcnt lgkmcnt(0)
	v_add_f32_e32 v35, v98, v35
	s_or_b32 exec_lo, exec_lo, s0
	s_and_saveexec_b32 s0, vcc_lo
	s_cbranch_execz .LBB53_209
.LBB53_347:
	v_lshl_add_u32 v98, v96, 2, v97
	ds_load_b32 v98, v98 offset:576
	s_waitcnt lgkmcnt(0)
	v_add_f32_e32 v36, v98, v36
	s_or_b32 exec_lo, exec_lo, s0
	s_and_saveexec_b32 s0, vcc_lo
	s_cbranch_execz .LBB53_210
.LBB53_348:
	v_lshl_add_u32 v98, v96, 2, v97
	ds_load_b32 v98, v98 offset:592
	s_waitcnt lgkmcnt(0)
	v_add_f32_e32 v37, v98, v37
	s_or_b32 exec_lo, exec_lo, s0
	s_and_saveexec_b32 s0, vcc_lo
	s_cbranch_execz .LBB53_211
.LBB53_349:
	v_lshl_add_u32 v98, v96, 2, v97
	ds_load_b32 v98, v98 offset:608
	s_waitcnt lgkmcnt(0)
	v_add_f32_e32 v38, v98, v38
	s_or_b32 exec_lo, exec_lo, s0
	s_and_saveexec_b32 s0, vcc_lo
	s_cbranch_execz .LBB53_212
.LBB53_350:
	v_lshl_add_u32 v98, v96, 2, v97
	ds_load_b32 v98, v98 offset:624
	s_waitcnt lgkmcnt(0)
	v_add_f32_e32 v39, v98, v39
	s_or_b32 exec_lo, exec_lo, s0
	s_and_saveexec_b32 s0, vcc_lo
	s_cbranch_execz .LBB53_213
.LBB53_351:
	v_lshl_add_u32 v98, v96, 2, v97
	ds_load_b32 v98, v98 offset:640
	s_waitcnt lgkmcnt(0)
	v_add_f32_e32 v48, v98, v48
	s_or_b32 exec_lo, exec_lo, s0
	s_and_saveexec_b32 s0, vcc_lo
	s_cbranch_execz .LBB53_214
.LBB53_352:
	v_lshl_add_u32 v98, v96, 2, v97
	ds_load_b32 v98, v98 offset:656
	s_waitcnt lgkmcnt(0)
	v_add_f32_e32 v49, v98, v49
	s_or_b32 exec_lo, exec_lo, s0
	s_and_saveexec_b32 s0, vcc_lo
	s_cbranch_execz .LBB53_215
.LBB53_353:
	v_lshl_add_u32 v98, v96, 2, v97
	ds_load_b32 v98, v98 offset:672
	s_waitcnt lgkmcnt(0)
	v_add_f32_e32 v50, v98, v50
	s_or_b32 exec_lo, exec_lo, s0
	s_and_saveexec_b32 s0, vcc_lo
	s_cbranch_execz .LBB53_216
.LBB53_354:
	v_lshl_add_u32 v98, v96, 2, v97
	ds_load_b32 v98, v98 offset:688
	s_waitcnt lgkmcnt(0)
	v_add_f32_e32 v51, v98, v51
	s_or_b32 exec_lo, exec_lo, s0
	s_and_saveexec_b32 s0, vcc_lo
	s_cbranch_execz .LBB53_217
.LBB53_355:
	v_lshl_add_u32 v98, v96, 2, v97
	ds_load_b32 v98, v98 offset:704
	s_waitcnt lgkmcnt(0)
	v_add_f32_e32 v52, v98, v52
	s_or_b32 exec_lo, exec_lo, s0
	s_and_saveexec_b32 s0, vcc_lo
	s_cbranch_execz .LBB53_218
.LBB53_356:
	v_lshl_add_u32 v98, v96, 2, v97
	ds_load_b32 v98, v98 offset:720
	s_waitcnt lgkmcnt(0)
	v_add_f32_e32 v53, v98, v53
	s_or_b32 exec_lo, exec_lo, s0
	s_and_saveexec_b32 s0, vcc_lo
	s_cbranch_execz .LBB53_219
.LBB53_357:
	v_lshl_add_u32 v98, v96, 2, v97
	ds_load_b32 v98, v98 offset:736
	s_waitcnt lgkmcnt(0)
	v_add_f32_e32 v54, v98, v54
	s_or_b32 exec_lo, exec_lo, s0
	s_and_saveexec_b32 s0, vcc_lo
	s_cbranch_execz .LBB53_220
.LBB53_358:
	v_lshl_add_u32 v98, v96, 2, v97
	ds_load_b32 v98, v98 offset:752
	s_waitcnt lgkmcnt(0)
	v_add_f32_e32 v55, v98, v55
	s_or_b32 exec_lo, exec_lo, s0
	s_and_saveexec_b32 s0, vcc_lo
	s_cbranch_execz .LBB53_221
.LBB53_359:
	v_lshl_add_u32 v98, v96, 2, v97
	ds_load_b32 v98, v98 offset:768
	s_waitcnt lgkmcnt(0)
	v_add_f32_e32 v64, v98, v64
	s_or_b32 exec_lo, exec_lo, s0
	s_and_saveexec_b32 s0, vcc_lo
	s_cbranch_execz .LBB53_222
.LBB53_360:
	v_lshl_add_u32 v98, v96, 2, v97
	ds_load_b32 v98, v98 offset:784
	s_waitcnt lgkmcnt(0)
	v_add_f32_e32 v65, v98, v65
	s_or_b32 exec_lo, exec_lo, s0
	s_and_saveexec_b32 s0, vcc_lo
	s_cbranch_execz .LBB53_223
.LBB53_361:
	v_lshl_add_u32 v98, v96, 2, v97
	ds_load_b32 v98, v98 offset:800
	s_waitcnt lgkmcnt(0)
	v_add_f32_e32 v66, v98, v66
	s_or_b32 exec_lo, exec_lo, s0
	s_and_saveexec_b32 s0, vcc_lo
	s_cbranch_execz .LBB53_224
.LBB53_362:
	v_lshl_add_u32 v98, v96, 2, v97
	ds_load_b32 v98, v98 offset:816
	s_waitcnt lgkmcnt(0)
	v_add_f32_e32 v67, v98, v67
	s_or_b32 exec_lo, exec_lo, s0
	s_and_saveexec_b32 s0, vcc_lo
	s_cbranch_execz .LBB53_225
.LBB53_363:
	v_lshl_add_u32 v98, v96, 2, v97
	ds_load_b32 v98, v98 offset:832
	s_waitcnt lgkmcnt(0)
	v_add_f32_e32 v68, v98, v68
	s_or_b32 exec_lo, exec_lo, s0
	s_and_saveexec_b32 s0, vcc_lo
	s_cbranch_execz .LBB53_226
.LBB53_364:
	v_lshl_add_u32 v98, v96, 2, v97
	ds_load_b32 v98, v98 offset:848
	s_waitcnt lgkmcnt(0)
	v_add_f32_e32 v69, v98, v69
	s_or_b32 exec_lo, exec_lo, s0
	s_and_saveexec_b32 s0, vcc_lo
	s_cbranch_execz .LBB53_227
.LBB53_365:
	v_lshl_add_u32 v98, v96, 2, v97
	ds_load_b32 v98, v98 offset:864
	s_waitcnt lgkmcnt(0)
	v_add_f32_e32 v70, v98, v70
	s_or_b32 exec_lo, exec_lo, s0
	s_and_saveexec_b32 s0, vcc_lo
	s_cbranch_execz .LBB53_228
.LBB53_366:
	v_lshl_add_u32 v98, v96, 2, v97
	ds_load_b32 v98, v98 offset:880
	s_waitcnt lgkmcnt(0)
	v_add_f32_e32 v71, v98, v71
	s_or_b32 exec_lo, exec_lo, s0
	s_and_saveexec_b32 s0, vcc_lo
	s_cbranch_execz .LBB53_229
.LBB53_367:
	v_lshl_add_u32 v98, v96, 2, v97
	ds_load_b32 v98, v98 offset:896
	s_waitcnt lgkmcnt(0)
	v_add_f32_e32 v80, v98, v80
	s_or_b32 exec_lo, exec_lo, s0
	s_and_saveexec_b32 s0, vcc_lo
	s_cbranch_execz .LBB53_230
.LBB53_368:
	v_lshl_add_u32 v98, v96, 2, v97
	ds_load_b32 v98, v98 offset:912
	s_waitcnt lgkmcnt(0)
	v_add_f32_e32 v81, v98, v81
	s_or_b32 exec_lo, exec_lo, s0
	s_and_saveexec_b32 s0, vcc_lo
	s_cbranch_execz .LBB53_231
.LBB53_369:
	v_lshl_add_u32 v98, v96, 2, v97
	ds_load_b32 v98, v98 offset:928
	s_waitcnt lgkmcnt(0)
	v_add_f32_e32 v82, v98, v82
	s_or_b32 exec_lo, exec_lo, s0
	s_and_saveexec_b32 s0, vcc_lo
	s_cbranch_execz .LBB53_232
.LBB53_370:
	v_lshl_add_u32 v98, v96, 2, v97
	ds_load_b32 v98, v98 offset:944
	s_waitcnt lgkmcnt(0)
	v_add_f32_e32 v83, v98, v83
	s_or_b32 exec_lo, exec_lo, s0
	s_and_saveexec_b32 s0, vcc_lo
	s_cbranch_execz .LBB53_233
.LBB53_371:
	v_lshl_add_u32 v98, v96, 2, v97
	ds_load_b32 v98, v98 offset:960
	s_waitcnt lgkmcnt(0)
	v_add_f32_e32 v84, v98, v84
	s_or_b32 exec_lo, exec_lo, s0
	s_and_saveexec_b32 s0, vcc_lo
	s_cbranch_execz .LBB53_234
.LBB53_372:
	v_lshl_add_u32 v98, v96, 2, v97
	ds_load_b32 v98, v98 offset:976
	s_waitcnt lgkmcnt(0)
	v_add_f32_e32 v85, v98, v85
	s_or_b32 exec_lo, exec_lo, s0
	s_and_saveexec_b32 s0, vcc_lo
	s_cbranch_execz .LBB53_235
.LBB53_373:
	v_lshl_add_u32 v98, v96, 2, v97
	ds_load_b32 v98, v98 offset:992
	s_waitcnt lgkmcnt(0)
	v_add_f32_e32 v86, v98, v86
	s_or_b32 exec_lo, exec_lo, s0
	s_and_saveexec_b32 s0, vcc_lo
	s_cbranch_execnz .LBB53_236
	s_branch .LBB53_237
.LBB53_374:
	ds_load_b32 v97, v96
	s_waitcnt lgkmcnt(0)
	v_add_f32_e32 v0, v97, v0
	s_or_b32 exec_lo, exec_lo, s2
	s_and_saveexec_b32 s2, vcc_lo
	s_cbranch_execz .LBB53_243
.LBB53_375:
	ds_load_b32 v97, v96 offset:16
	s_waitcnt lgkmcnt(0)
	v_add_f32_e32 v1, v97, v1
	s_or_b32 exec_lo, exec_lo, s2
	s_and_saveexec_b32 s2, vcc_lo
	s_cbranch_execz .LBB53_244
.LBB53_376:
	ds_load_b32 v97, v96 offset:32
	s_waitcnt lgkmcnt(0)
	v_add_f32_e32 v2, v97, v2
	s_or_b32 exec_lo, exec_lo, s2
	s_and_saveexec_b32 s2, vcc_lo
	s_cbranch_execz .LBB53_245
.LBB53_377:
	ds_load_b32 v97, v96 offset:48
	s_waitcnt lgkmcnt(0)
	v_add_f32_e32 v3, v97, v3
	s_or_b32 exec_lo, exec_lo, s2
	s_and_saveexec_b32 s2, vcc_lo
	s_cbranch_execz .LBB53_246
.LBB53_378:
	ds_load_b32 v97, v96 offset:64
	s_waitcnt lgkmcnt(0)
	v_add_f32_e32 v4, v97, v4
	s_or_b32 exec_lo, exec_lo, s2
	s_and_saveexec_b32 s2, vcc_lo
	s_cbranch_execz .LBB53_247
.LBB53_379:
	ds_load_b32 v97, v96 offset:80
	s_waitcnt lgkmcnt(0)
	v_add_f32_e32 v5, v97, v5
	s_or_b32 exec_lo, exec_lo, s2
	s_and_saveexec_b32 s2, vcc_lo
	s_cbranch_execz .LBB53_248
.LBB53_380:
	ds_load_b32 v97, v96 offset:96
	s_waitcnt lgkmcnt(0)
	v_add_f32_e32 v6, v97, v6
	s_or_b32 exec_lo, exec_lo, s2
	s_and_saveexec_b32 s2, vcc_lo
	s_cbranch_execz .LBB53_249
.LBB53_381:
	ds_load_b32 v97, v96 offset:112
	s_waitcnt lgkmcnt(0)
	v_add_f32_e32 v7, v97, v7
	s_or_b32 exec_lo, exec_lo, s2
	s_and_saveexec_b32 s2, vcc_lo
	s_cbranch_execz .LBB53_250
.LBB53_382:
	ds_load_b32 v97, v96 offset:128
	s_waitcnt lgkmcnt(0)
	v_add_f32_e32 v8, v97, v8
	s_or_b32 exec_lo, exec_lo, s2
	s_and_saveexec_b32 s2, vcc_lo
	s_cbranch_execz .LBB53_251
.LBB53_383:
	ds_load_b32 v97, v96 offset:144
	s_waitcnt lgkmcnt(0)
	v_add_f32_e32 v9, v97, v9
	s_or_b32 exec_lo, exec_lo, s2
	s_and_saveexec_b32 s2, vcc_lo
	s_cbranch_execz .LBB53_252
.LBB53_384:
	ds_load_b32 v97, v96 offset:160
	s_waitcnt lgkmcnt(0)
	v_add_f32_e32 v10, v97, v10
	s_or_b32 exec_lo, exec_lo, s2
	s_and_saveexec_b32 s2, vcc_lo
	s_cbranch_execz .LBB53_253
.LBB53_385:
	ds_load_b32 v97, v96 offset:176
	s_waitcnt lgkmcnt(0)
	v_add_f32_e32 v11, v97, v11
	s_or_b32 exec_lo, exec_lo, s2
	s_and_saveexec_b32 s2, vcc_lo
	s_cbranch_execz .LBB53_254
.LBB53_386:
	ds_load_b32 v97, v96 offset:192
	s_waitcnt lgkmcnt(0)
	v_add_f32_e32 v12, v97, v12
	s_or_b32 exec_lo, exec_lo, s2
	s_and_saveexec_b32 s2, vcc_lo
	s_cbranch_execz .LBB53_255
.LBB53_387:
	ds_load_b32 v97, v96 offset:208
	s_waitcnt lgkmcnt(0)
	v_add_f32_e32 v13, v97, v13
	s_or_b32 exec_lo, exec_lo, s2
	s_and_saveexec_b32 s2, vcc_lo
	s_cbranch_execz .LBB53_256
.LBB53_388:
	ds_load_b32 v97, v96 offset:224
	s_waitcnt lgkmcnt(0)
	v_add_f32_e32 v14, v97, v14
	s_or_b32 exec_lo, exec_lo, s2
	s_and_saveexec_b32 s2, vcc_lo
	s_cbranch_execz .LBB53_257
.LBB53_389:
	ds_load_b32 v97, v96 offset:240
	s_waitcnt lgkmcnt(0)
	v_add_f32_e32 v15, v97, v15
	s_or_b32 exec_lo, exec_lo, s2
	s_and_saveexec_b32 s2, vcc_lo
	s_cbranch_execz .LBB53_258
.LBB53_390:
	ds_load_b32 v97, v96 offset:256
	s_waitcnt lgkmcnt(0)
	v_add_f32_e32 v16, v97, v16
	s_or_b32 exec_lo, exec_lo, s2
	s_and_saveexec_b32 s2, vcc_lo
	s_cbranch_execz .LBB53_259
.LBB53_391:
	ds_load_b32 v97, v96 offset:272
	s_waitcnt lgkmcnt(0)
	v_add_f32_e32 v17, v97, v17
	s_or_b32 exec_lo, exec_lo, s2
	s_and_saveexec_b32 s2, vcc_lo
	s_cbranch_execz .LBB53_260
.LBB53_392:
	ds_load_b32 v97, v96 offset:288
	s_waitcnt lgkmcnt(0)
	v_add_f32_e32 v18, v97, v18
	s_or_b32 exec_lo, exec_lo, s2
	s_and_saveexec_b32 s2, vcc_lo
	s_cbranch_execz .LBB53_261
.LBB53_393:
	ds_load_b32 v97, v96 offset:304
	s_waitcnt lgkmcnt(0)
	v_add_f32_e32 v19, v97, v19
	s_or_b32 exec_lo, exec_lo, s2
	s_and_saveexec_b32 s2, vcc_lo
	s_cbranch_execz .LBB53_262
.LBB53_394:
	ds_load_b32 v97, v96 offset:320
	s_waitcnt lgkmcnt(0)
	v_add_f32_e32 v20, v97, v20
	s_or_b32 exec_lo, exec_lo, s2
	s_and_saveexec_b32 s2, vcc_lo
	s_cbranch_execz .LBB53_263
.LBB53_395:
	ds_load_b32 v97, v96 offset:336
	s_waitcnt lgkmcnt(0)
	v_add_f32_e32 v21, v97, v21
	s_or_b32 exec_lo, exec_lo, s2
	s_and_saveexec_b32 s2, vcc_lo
	s_cbranch_execz .LBB53_264
.LBB53_396:
	ds_load_b32 v97, v96 offset:352
	s_waitcnt lgkmcnt(0)
	v_add_f32_e32 v22, v97, v22
	s_or_b32 exec_lo, exec_lo, s2
	s_and_saveexec_b32 s2, vcc_lo
	s_cbranch_execz .LBB53_265
.LBB53_397:
	ds_load_b32 v97, v96 offset:368
	s_waitcnt lgkmcnt(0)
	v_add_f32_e32 v23, v97, v23
	s_or_b32 exec_lo, exec_lo, s2
	s_and_saveexec_b32 s2, vcc_lo
	s_cbranch_execz .LBB53_266
.LBB53_398:
	ds_load_b32 v97, v96 offset:384
	s_waitcnt lgkmcnt(0)
	v_add_f32_e32 v24, v97, v24
	s_or_b32 exec_lo, exec_lo, s2
	s_and_saveexec_b32 s2, vcc_lo
	s_cbranch_execz .LBB53_267
.LBB53_399:
	ds_load_b32 v97, v96 offset:400
	s_waitcnt lgkmcnt(0)
	v_add_f32_e32 v25, v97, v25
	s_or_b32 exec_lo, exec_lo, s2
	s_and_saveexec_b32 s2, vcc_lo
	s_cbranch_execz .LBB53_268
.LBB53_400:
	ds_load_b32 v97, v96 offset:416
	s_waitcnt lgkmcnt(0)
	v_add_f32_e32 v26, v97, v26
	s_or_b32 exec_lo, exec_lo, s2
	s_and_saveexec_b32 s2, vcc_lo
	s_cbranch_execz .LBB53_269
.LBB53_401:
	ds_load_b32 v97, v96 offset:432
	s_waitcnt lgkmcnt(0)
	v_add_f32_e32 v27, v97, v27
	s_or_b32 exec_lo, exec_lo, s2
	s_and_saveexec_b32 s2, vcc_lo
	s_cbranch_execz .LBB53_270
.LBB53_402:
	ds_load_b32 v97, v96 offset:448
	s_waitcnt lgkmcnt(0)
	v_add_f32_e32 v28, v97, v28
	s_or_b32 exec_lo, exec_lo, s2
	s_and_saveexec_b32 s2, vcc_lo
	s_cbranch_execz .LBB53_271
.LBB53_403:
	ds_load_b32 v97, v96 offset:464
	s_waitcnt lgkmcnt(0)
	v_add_f32_e32 v29, v97, v29
	s_or_b32 exec_lo, exec_lo, s2
	s_and_saveexec_b32 s2, vcc_lo
	s_cbranch_execz .LBB53_272
.LBB53_404:
	ds_load_b32 v97, v96 offset:480
	s_waitcnt lgkmcnt(0)
	v_add_f32_e32 v30, v97, v30
	s_or_b32 exec_lo, exec_lo, s2
	s_and_saveexec_b32 s2, vcc_lo
	s_cbranch_execz .LBB53_273
.LBB53_405:
	ds_load_b32 v97, v96 offset:496
	s_waitcnt lgkmcnt(0)
	v_add_f32_e32 v31, v97, v31
	s_or_b32 exec_lo, exec_lo, s2
	s_and_saveexec_b32 s2, vcc_lo
	s_cbranch_execz .LBB53_274
.LBB53_406:
	ds_load_b32 v97, v96 offset:512
	s_waitcnt lgkmcnt(0)
	v_add_f32_e32 v32, v97, v32
	s_or_b32 exec_lo, exec_lo, s2
	s_and_saveexec_b32 s2, vcc_lo
	s_cbranch_execz .LBB53_275
.LBB53_407:
	ds_load_b32 v97, v96 offset:528
	s_waitcnt lgkmcnt(0)
	v_add_f32_e32 v33, v97, v33
	s_or_b32 exec_lo, exec_lo, s2
	s_and_saveexec_b32 s2, vcc_lo
	s_cbranch_execz .LBB53_276
.LBB53_408:
	ds_load_b32 v97, v96 offset:544
	s_waitcnt lgkmcnt(0)
	v_add_f32_e32 v34, v97, v34
	s_or_b32 exec_lo, exec_lo, s2
	s_and_saveexec_b32 s2, vcc_lo
	s_cbranch_execz .LBB53_277
.LBB53_409:
	ds_load_b32 v97, v96 offset:560
	s_waitcnt lgkmcnt(0)
	v_add_f32_e32 v35, v97, v35
	s_or_b32 exec_lo, exec_lo, s2
	s_and_saveexec_b32 s2, vcc_lo
	s_cbranch_execz .LBB53_278
.LBB53_410:
	ds_load_b32 v97, v96 offset:576
	s_waitcnt lgkmcnt(0)
	v_add_f32_e32 v36, v97, v36
	s_or_b32 exec_lo, exec_lo, s2
	s_and_saveexec_b32 s2, vcc_lo
	s_cbranch_execz .LBB53_279
.LBB53_411:
	ds_load_b32 v97, v96 offset:592
	s_waitcnt lgkmcnt(0)
	v_add_f32_e32 v37, v97, v37
	s_or_b32 exec_lo, exec_lo, s2
	s_and_saveexec_b32 s2, vcc_lo
	s_cbranch_execz .LBB53_280
.LBB53_412:
	ds_load_b32 v97, v96 offset:608
	s_waitcnt lgkmcnt(0)
	v_add_f32_e32 v38, v97, v38
	s_or_b32 exec_lo, exec_lo, s2
	s_and_saveexec_b32 s2, vcc_lo
	s_cbranch_execz .LBB53_281
.LBB53_413:
	ds_load_b32 v97, v96 offset:624
	s_waitcnt lgkmcnt(0)
	v_add_f32_e32 v39, v97, v39
	s_or_b32 exec_lo, exec_lo, s2
	s_and_saveexec_b32 s2, vcc_lo
	s_cbranch_execz .LBB53_282
.LBB53_414:
	ds_load_b32 v97, v96 offset:640
	s_waitcnt lgkmcnt(0)
	v_add_f32_e32 v48, v97, v48
	s_or_b32 exec_lo, exec_lo, s2
	s_and_saveexec_b32 s2, vcc_lo
	s_cbranch_execz .LBB53_283
.LBB53_415:
	ds_load_b32 v97, v96 offset:656
	s_waitcnt lgkmcnt(0)
	v_add_f32_e32 v49, v97, v49
	s_or_b32 exec_lo, exec_lo, s2
	s_and_saveexec_b32 s2, vcc_lo
	s_cbranch_execz .LBB53_284
.LBB53_416:
	ds_load_b32 v97, v96 offset:672
	s_waitcnt lgkmcnt(0)
	v_add_f32_e32 v50, v97, v50
	s_or_b32 exec_lo, exec_lo, s2
	s_and_saveexec_b32 s2, vcc_lo
	s_cbranch_execz .LBB53_285
.LBB53_417:
	ds_load_b32 v97, v96 offset:688
	s_waitcnt lgkmcnt(0)
	v_add_f32_e32 v51, v97, v51
	s_or_b32 exec_lo, exec_lo, s2
	s_and_saveexec_b32 s2, vcc_lo
	s_cbranch_execz .LBB53_286
.LBB53_418:
	ds_load_b32 v97, v96 offset:704
	s_waitcnt lgkmcnt(0)
	v_add_f32_e32 v52, v97, v52
	s_or_b32 exec_lo, exec_lo, s2
	s_and_saveexec_b32 s2, vcc_lo
	s_cbranch_execz .LBB53_287
.LBB53_419:
	ds_load_b32 v97, v96 offset:720
	s_waitcnt lgkmcnt(0)
	v_add_f32_e32 v53, v97, v53
	s_or_b32 exec_lo, exec_lo, s2
	s_and_saveexec_b32 s2, vcc_lo
	s_cbranch_execz .LBB53_288
.LBB53_420:
	ds_load_b32 v97, v96 offset:736
	s_waitcnt lgkmcnt(0)
	v_add_f32_e32 v54, v97, v54
	s_or_b32 exec_lo, exec_lo, s2
	s_and_saveexec_b32 s2, vcc_lo
	s_cbranch_execz .LBB53_289
.LBB53_421:
	ds_load_b32 v97, v96 offset:752
	s_waitcnt lgkmcnt(0)
	v_add_f32_e32 v55, v97, v55
	s_or_b32 exec_lo, exec_lo, s2
	s_and_saveexec_b32 s2, vcc_lo
	s_cbranch_execz .LBB53_290
.LBB53_422:
	ds_load_b32 v97, v96 offset:768
	s_waitcnt lgkmcnt(0)
	v_add_f32_e32 v64, v97, v64
	s_or_b32 exec_lo, exec_lo, s2
	s_and_saveexec_b32 s2, vcc_lo
	s_cbranch_execz .LBB53_291
.LBB53_423:
	ds_load_b32 v97, v96 offset:784
	s_waitcnt lgkmcnt(0)
	v_add_f32_e32 v65, v97, v65
	s_or_b32 exec_lo, exec_lo, s2
	s_and_saveexec_b32 s2, vcc_lo
	s_cbranch_execz .LBB53_292
.LBB53_424:
	ds_load_b32 v97, v96 offset:800
	s_waitcnt lgkmcnt(0)
	v_add_f32_e32 v66, v97, v66
	s_or_b32 exec_lo, exec_lo, s2
	s_and_saveexec_b32 s2, vcc_lo
	s_cbranch_execz .LBB53_293
.LBB53_425:
	ds_load_b32 v97, v96 offset:816
	s_waitcnt lgkmcnt(0)
	v_add_f32_e32 v67, v97, v67
	s_or_b32 exec_lo, exec_lo, s2
	s_and_saveexec_b32 s2, vcc_lo
	s_cbranch_execz .LBB53_294
.LBB53_426:
	ds_load_b32 v97, v96 offset:832
	s_waitcnt lgkmcnt(0)
	v_add_f32_e32 v68, v97, v68
	s_or_b32 exec_lo, exec_lo, s2
	s_and_saveexec_b32 s2, vcc_lo
	s_cbranch_execz .LBB53_295
.LBB53_427:
	ds_load_b32 v97, v96 offset:848
	s_waitcnt lgkmcnt(0)
	v_add_f32_e32 v69, v97, v69
	s_or_b32 exec_lo, exec_lo, s2
	s_and_saveexec_b32 s2, vcc_lo
	s_cbranch_execz .LBB53_296
.LBB53_428:
	ds_load_b32 v97, v96 offset:864
	s_waitcnt lgkmcnt(0)
	v_add_f32_e32 v70, v97, v70
	s_or_b32 exec_lo, exec_lo, s2
	s_and_saveexec_b32 s2, vcc_lo
	s_cbranch_execz .LBB53_297
.LBB53_429:
	ds_load_b32 v97, v96 offset:880
	s_waitcnt lgkmcnt(0)
	v_add_f32_e32 v71, v97, v71
	s_or_b32 exec_lo, exec_lo, s2
	s_and_saveexec_b32 s2, vcc_lo
	s_cbranch_execz .LBB53_298
.LBB53_430:
	ds_load_b32 v97, v96 offset:896
	s_waitcnt lgkmcnt(0)
	v_add_f32_e32 v80, v97, v80
	s_or_b32 exec_lo, exec_lo, s2
	s_and_saveexec_b32 s2, vcc_lo
	s_cbranch_execz .LBB53_299
.LBB53_431:
	ds_load_b32 v97, v96 offset:912
	s_waitcnt lgkmcnt(0)
	v_add_f32_e32 v81, v97, v81
	s_or_b32 exec_lo, exec_lo, s2
	s_and_saveexec_b32 s2, vcc_lo
	s_cbranch_execz .LBB53_300
.LBB53_432:
	ds_load_b32 v97, v96 offset:928
	s_waitcnt lgkmcnt(0)
	v_add_f32_e32 v82, v97, v82
	s_or_b32 exec_lo, exec_lo, s2
	s_and_saveexec_b32 s2, vcc_lo
	s_cbranch_execz .LBB53_301
.LBB53_433:
	ds_load_b32 v97, v96 offset:944
	s_waitcnt lgkmcnt(0)
	v_add_f32_e32 v83, v97, v83
	s_or_b32 exec_lo, exec_lo, s2
	s_and_saveexec_b32 s2, vcc_lo
	s_cbranch_execz .LBB53_302
.LBB53_434:
	ds_load_b32 v97, v96 offset:960
	s_waitcnt lgkmcnt(0)
	v_add_f32_e32 v84, v97, v84
	s_or_b32 exec_lo, exec_lo, s2
	s_and_saveexec_b32 s2, vcc_lo
	s_cbranch_execz .LBB53_303
.LBB53_435:
	ds_load_b32 v97, v96 offset:976
	s_waitcnt lgkmcnt(0)
	v_add_f32_e32 v85, v97, v85
	s_or_b32 exec_lo, exec_lo, s2
	s_and_saveexec_b32 s2, vcc_lo
	s_cbranch_execz .LBB53_304
.LBB53_436:
	ds_load_b32 v97, v96 offset:992
	s_waitcnt lgkmcnt(0)
	v_add_f32_e32 v86, v97, v86
	s_or_b32 exec_lo, exec_lo, s2
	s_and_saveexec_b32 s2, vcc_lo
	s_cbranch_execnz .LBB53_305
	s_branch .LBB53_306
.Lfunc_end53:
	.size	_ZN4vllm22paged_attention_kernelIffLi256ELi32ELi128ELNS_18Fp8KVCacheDataTypeE0ELb1ELi512EEEvPfS2_PT_PKS3_PKT0_S9_ifPKiSB_iPKfiiiSD_SD_iiiii, .Lfunc_end53-_ZN4vllm22paged_attention_kernelIffLi256ELi32ELi128ELNS_18Fp8KVCacheDataTypeE0ELb1ELi512EEEvPfS2_PT_PKS3_PKT0_S9_ifPKiSB_iPKfiiiSD_SD_iiiii
                                        ; -- End function
	.section	.AMDGPU.csdata,"",@progbits
; Function info:
; codeLenInByte = 33200
; NumSgprs: 35
; NumVgprs: 192
; ScratchSize: 1308
; MemoryBound: 0
	.section	.text._ZN4vllm25paged_attention_v2_kernelIffLi256ELi32ELi128ELNS_18Fp8KVCacheDataTypeE0ELb1ELi512EEEvPfS2_PT_PKS3_PKT0_S9_ifPKiSB_iPKfiiiSD_SD_iiiii,"axG",@progbits,_ZN4vllm25paged_attention_v2_kernelIffLi256ELi32ELi128ELNS_18Fp8KVCacheDataTypeE0ELb1ELi512EEEvPfS2_PT_PKS3_PKT0_S9_ifPKiSB_iPKfiiiSD_SD_iiiii,comdat
	.protected	_ZN4vllm25paged_attention_v2_kernelIffLi256ELi32ELi128ELNS_18Fp8KVCacheDataTypeE0ELb1ELi512EEEvPfS2_PT_PKS3_PKT0_S9_ifPKiSB_iPKfiiiSD_SD_iiiii ; -- Begin function _ZN4vllm25paged_attention_v2_kernelIffLi256ELi32ELi128ELNS_18Fp8KVCacheDataTypeE0ELb1ELi512EEEvPfS2_PT_PKS3_PKT0_S9_ifPKiSB_iPKfiiiSD_SD_iiiii
	.globl	_ZN4vllm25paged_attention_v2_kernelIffLi256ELi32ELi128ELNS_18Fp8KVCacheDataTypeE0ELb1ELi512EEEvPfS2_PT_PKS3_PKT0_S9_ifPKiSB_iPKfiiiSD_SD_iiiii
	.p2align	8
	.type	_ZN4vllm25paged_attention_v2_kernelIffLi256ELi32ELi128ELNS_18Fp8KVCacheDataTypeE0ELb1ELi512EEEvPfS2_PT_PKS3_PKT0_S9_ifPKiSB_iPKfiiiSD_SD_iiiii,@function
_ZN4vllm25paged_attention_v2_kernelIffLi256ELi32ELi128ELNS_18Fp8KVCacheDataTypeE0ELb1ELi512EEEvPfS2_PT_PKS3_PKT0_S9_ifPKiSB_iPKfiiiSD_SD_iiiii: ; @_ZN4vllm25paged_attention_v2_kernelIffLi256ELi32ELi128ELNS_18Fp8KVCacheDataTypeE0ELb1ELi512EEEvPfS2_PT_PKS3_PKT0_S9_ifPKiSB_iPKfiiiSD_SD_iiiii
; %bb.0:
	s_mov_b32 s12, s13
	s_clause 0x7
	s_load_b256 s[24:31], s[0:1], 0x0
	s_load_b256 s[16:23], s[0:1], 0x20
	s_load_b64 s[2:3], s[0:1], 0x40
	s_load_b64 s[10:11], s[0:1], 0x50
	s_load_b32 s13, s[0:1], 0x48
	s_load_b32 s33, s[0:1], 0x88
	s_load_b128 s[36:39], s[0:1], 0x58
	s_load_b128 s[4:7], s[0:1], 0x78
	v_mov_b32_e32 v31, v0
	s_add_u32 s8, s0, 0x90
	s_addc_u32 s9, s1, 0
	s_mov_b32 s32, 0
	s_getpc_b64 s[0:1]
	s_add_u32 s0, s0, _ZN4vllm22paged_attention_kernelIffLi256ELi32ELi128ELNS_18Fp8KVCacheDataTypeE0ELb1ELi512EEEvPfS2_PT_PKS3_PKT0_S9_ifPKiSB_iPKfiiiSD_SD_iiiii@rel32@lo+4
	s_addc_u32 s1, s1, _ZN4vllm22paged_attention_kernelIffLi256ELi32ELi128ELNS_18Fp8KVCacheDataTypeE0ELb1ELi512EEEvPfS2_PT_PKS3_PKT0_S9_ifPKiSB_iPKfiiiSD_SD_iiiii@rel32@hi+12
	s_waitcnt lgkmcnt(0)
	v_dual_mov_b32 v0, s24 :: v_dual_mov_b32 v1, s25
	v_dual_mov_b32 v2, s26 :: v_dual_mov_b32 v3, s27
	;; [unrolled: 1-line block ×14, first 2 shown]
	v_mov_b32_e32 v28, s33
	s_mov_b32 s13, s14
	s_mov_b32 s14, s15
	;; [unrolled: 1-line block ×3, first 2 shown]
	s_swappc_b64 s[30:31], s[0:1]
	s_endpgm
	.section	.rodata,"a",@progbits
	.p2align	6, 0x0
	.amdhsa_kernel _ZN4vllm25paged_attention_v2_kernelIffLi256ELi32ELi128ELNS_18Fp8KVCacheDataTypeE0ELb1ELi512EEEvPfS2_PT_PKS3_PKT0_S9_ifPKiSB_iPKfiiiSD_SD_iiiii
		.amdhsa_group_segment_fixed_size 1056
		.amdhsa_private_segment_fixed_size 1308
		.amdhsa_kernarg_size 400
		.amdhsa_user_sgpr_count 13
		.amdhsa_user_sgpr_dispatch_ptr 0
		.amdhsa_user_sgpr_queue_ptr 0
		.amdhsa_user_sgpr_kernarg_segment_ptr 1
		.amdhsa_user_sgpr_dispatch_id 0
		.amdhsa_user_sgpr_private_segment_size 0
		.amdhsa_wavefront_size32 1
		.amdhsa_uses_dynamic_stack 0
		.amdhsa_enable_private_segment 1
		.amdhsa_system_sgpr_workgroup_id_x 1
		.amdhsa_system_sgpr_workgroup_id_y 1
		.amdhsa_system_sgpr_workgroup_id_z 1
		.amdhsa_system_sgpr_workgroup_info 0
		.amdhsa_system_vgpr_workitem_id 0
		.amdhsa_next_free_vgpr 192
		.amdhsa_next_free_sgpr 40
		.amdhsa_reserve_vcc 1
		.amdhsa_float_round_mode_32 0
		.amdhsa_float_round_mode_16_64 0
		.amdhsa_float_denorm_mode_32 3
		.amdhsa_float_denorm_mode_16_64 3
		.amdhsa_dx10_clamp 1
		.amdhsa_ieee_mode 1
		.amdhsa_fp16_overflow 0
		.amdhsa_workgroup_processor_mode 1
		.amdhsa_memory_ordered 1
		.amdhsa_forward_progress 0
		.amdhsa_shared_vgpr_count 0
		.amdhsa_exception_fp_ieee_invalid_op 0
		.amdhsa_exception_fp_denorm_src 0
		.amdhsa_exception_fp_ieee_div_zero 0
		.amdhsa_exception_fp_ieee_overflow 0
		.amdhsa_exception_fp_ieee_underflow 0
		.amdhsa_exception_fp_ieee_inexact 0
		.amdhsa_exception_int_div_zero 0
	.end_amdhsa_kernel
	.section	.text._ZN4vllm25paged_attention_v2_kernelIffLi256ELi32ELi128ELNS_18Fp8KVCacheDataTypeE0ELb1ELi512EEEvPfS2_PT_PKS3_PKT0_S9_ifPKiSB_iPKfiiiSD_SD_iiiii,"axG",@progbits,_ZN4vllm25paged_attention_v2_kernelIffLi256ELi32ELi128ELNS_18Fp8KVCacheDataTypeE0ELb1ELi512EEEvPfS2_PT_PKS3_PKT0_S9_ifPKiSB_iPKfiiiSD_SD_iiiii,comdat
.Lfunc_end54:
	.size	_ZN4vllm25paged_attention_v2_kernelIffLi256ELi32ELi128ELNS_18Fp8KVCacheDataTypeE0ELb1ELi512EEEvPfS2_PT_PKS3_PKT0_S9_ifPKiSB_iPKfiiiSD_SD_iiiii, .Lfunc_end54-_ZN4vllm25paged_attention_v2_kernelIffLi256ELi32ELi128ELNS_18Fp8KVCacheDataTypeE0ELb1ELi512EEEvPfS2_PT_PKS3_PKT0_S9_ifPKiSB_iPKfiiiSD_SD_iiiii
                                        ; -- End function
	.section	.AMDGPU.csdata,"",@progbits
; Kernel info:
; codeLenInByte = 252
; NumSgprs: 42
; NumVgprs: 192
; ScratchSize: 1308
; MemoryBound: 0
; FloatMode: 240
; IeeeMode: 1
; LDSByteSize: 1056 bytes/workgroup (compile time only)
; SGPRBlocks: 5
; VGPRBlocks: 23
; NumSGPRsForWavesPerEU: 42
; NumVGPRsForWavesPerEU: 192
; Occupancy: 8
; WaveLimiterHint : 1
; COMPUTE_PGM_RSRC2:SCRATCH_EN: 1
; COMPUTE_PGM_RSRC2:USER_SGPR: 13
; COMPUTE_PGM_RSRC2:TRAP_HANDLER: 0
; COMPUTE_PGM_RSRC2:TGID_X_EN: 1
; COMPUTE_PGM_RSRC2:TGID_Y_EN: 1
; COMPUTE_PGM_RSRC2:TGID_Z_EN: 1
; COMPUTE_PGM_RSRC2:TIDIG_COMP_CNT: 0
	.section	.text._ZN4vllm25paged_attention_v2_kernelIffLi32ELi32ELi128ELNS_18Fp8KVCacheDataTypeE0ELb0ELi512EEEvPfS2_PT_PKS3_PKT0_S9_ifPKiSB_iPKfiiiSD_SD_iiiii,"axG",@progbits,_ZN4vllm25paged_attention_v2_kernelIffLi32ELi32ELi128ELNS_18Fp8KVCacheDataTypeE0ELb0ELi512EEEvPfS2_PT_PKS3_PKT0_S9_ifPKiSB_iPKfiiiSD_SD_iiiii,comdat
	.protected	_ZN4vllm25paged_attention_v2_kernelIffLi32ELi32ELi128ELNS_18Fp8KVCacheDataTypeE0ELb0ELi512EEEvPfS2_PT_PKS3_PKT0_S9_ifPKiSB_iPKfiiiSD_SD_iiiii ; -- Begin function _ZN4vllm25paged_attention_v2_kernelIffLi32ELi32ELi128ELNS_18Fp8KVCacheDataTypeE0ELb0ELi512EEEvPfS2_PT_PKS3_PKT0_S9_ifPKiSB_iPKfiiiSD_SD_iiiii
	.globl	_ZN4vllm25paged_attention_v2_kernelIffLi32ELi32ELi128ELNS_18Fp8KVCacheDataTypeE0ELb0ELi512EEEvPfS2_PT_PKS3_PKT0_S9_ifPKiSB_iPKfiiiSD_SD_iiiii
	.p2align	8
	.type	_ZN4vllm25paged_attention_v2_kernelIffLi32ELi32ELi128ELNS_18Fp8KVCacheDataTypeE0ELb0ELi512EEEvPfS2_PT_PKS3_PKT0_S9_ifPKiSB_iPKfiiiSD_SD_iiiii,@function
_ZN4vllm25paged_attention_v2_kernelIffLi32ELi32ELi128ELNS_18Fp8KVCacheDataTypeE0ELb0ELi512EEEvPfS2_PT_PKS3_PKT0_S9_ifPKiSB_iPKfiiiSD_SD_iiiii: ; @_ZN4vllm25paged_attention_v2_kernelIffLi32ELi32ELi128ELNS_18Fp8KVCacheDataTypeE0ELb0ELi512EEEvPfS2_PT_PKS3_PKT0_S9_ifPKiSB_iPKfiiiSD_SD_iiiii
; %bb.0:
	s_load_b64 s[2:3], s[0:1], 0x40
	s_mov_b32 s12, s15
	s_ashr_i32 s15, s14, 31
	s_delay_alu instid0(SALU_CYCLE_1)
	s_lshl_b64 s[4:5], s[14:15], 2
	s_waitcnt lgkmcnt(0)
	s_add_u32 s2, s2, s4
	s_addc_u32 s3, s3, s5
	s_lshl_b32 s30, s12, 9
	s_load_b32 s15, s[2:3], 0x0
	s_waitcnt lgkmcnt(0)
	s_cmp_ge_i32 s30, s15
	s_cbranch_scc1 .LBB55_74
; %bb.1:
	s_mov_b32 s20, s13
	s_clause 0x1
	s_load_b32 s13, s[0:1], 0x90
	s_load_b64 s[2:3], s[0:1], 0x30
	s_mov_b32 s31, 0
	s_waitcnt lgkmcnt(0)
	s_abs_i32 s7, s13
	s_abs_i32 s4, s2
	s_xor_b32 s2, s13, s2
	v_cvt_f32_u32_e32 v1, s4
	s_sub_i32 s6, 0, s4
	s_ashr_i32 s2, s2, 31
	s_delay_alu instid0(VALU_DEP_1) | instskip(SKIP_2) | instid1(VALU_DEP_1)
	v_rcp_iflag_f32_e32 v1, v1
	s_waitcnt_depctr 0xfff
	v_mul_f32_e32 v1, 0x4f7ffffe, v1
	v_cvt_u32_f32_e32 v1, v1
	s_delay_alu instid0(VALU_DEP_1) | instskip(NEXT) | instid1(VALU_DEP_1)
	v_readfirstlane_b32 s5, v1
	s_mul_i32 s6, s6, s5
	s_delay_alu instid0(SALU_CYCLE_1) | instskip(NEXT) | instid1(SALU_CYCLE_1)
	s_mul_hi_u32 s6, s5, s6
	s_add_i32 s5, s5, s6
	s_delay_alu instid0(SALU_CYCLE_1) | instskip(NEXT) | instid1(SALU_CYCLE_1)
	s_mul_hi_u32 s5, s7, s5
	s_mul_i32 s6, s5, s4
	s_delay_alu instid0(SALU_CYCLE_1)
	s_sub_i32 s6, s7, s6
	s_add_i32 s7, s5, 1
	s_sub_i32 s8, s6, s4
	s_cmp_ge_u32 s6, s4
	s_cselect_b32 s5, s7, s5
	s_cselect_b32 s6, s8, s6
	s_add_i32 s7, s5, 1
	s_cmp_ge_u32 s6, s4
	s_cselect_b32 s4, s7, s5
	s_abs_i32 s27, s20
	s_xor_b32 s4, s4, s2
	s_delay_alu instid0(SALU_CYCLE_1) | instskip(SKIP_2) | instid1(SALU_CYCLE_1)
	s_sub_i32 s8, s4, s2
	s_load_b64 s[4:5], s[0:1], 0x50
	s_abs_i32 s2, s8
	v_cvt_f32_u32_e32 v1, s2
	s_sub_i32 s7, 0, s2
	s_delay_alu instid0(VALU_DEP_1) | instskip(SKIP_2) | instid1(VALU_DEP_1)
	v_rcp_iflag_f32_e32 v1, v1
	s_waitcnt_depctr 0xfff
	v_mul_f32_e32 v1, 0x4f7ffffe, v1
	v_cvt_u32_f32_e32 v1, v1
	s_delay_alu instid0(VALU_DEP_1) | instskip(NEXT) | instid1(VALU_DEP_1)
	v_readfirstlane_b32 s6, v1
	s_mul_i32 s7, s7, s6
	s_delay_alu instid0(SALU_CYCLE_1) | instskip(NEXT) | instid1(SALU_CYCLE_1)
	s_mul_hi_u32 s7, s6, s7
	s_add_i32 s6, s6, s7
	s_waitcnt lgkmcnt(0)
	s_cmp_eq_u64 s[4:5], 0
	s_mul_hi_u32 s26, s27, s6
	s_cbranch_scc1 .LBB55_3
; %bb.2:
	s_ashr_i32 s21, s20, 31
	s_delay_alu instid0(SALU_CYCLE_1) | instskip(NEXT) | instid1(SALU_CYCLE_1)
	s_lshl_b64 s[6:7], s[20:21], 2
	s_add_u32 s4, s4, s6
	s_addc_u32 s5, s5, s7
	s_load_b32 s31, s[4:5], 0x0
.LBB55_3:
	s_clause 0x1
	s_load_b64 s[22:23], s[0:1], 0x38
	s_load_b128 s[4:7], s[0:1], 0x58
	v_lshlrev_b32_e32 v35, 4, v0
	s_ashr_i32 s28, s20, 31
	s_ashr_i32 s29, s8, 31
	s_lshl_b32 s16, s20, 5
	s_waitcnt lgkmcnt(0)
	s_mov_b32 s7, exec_lo
	v_cmpx_gt_u32_e32 8, v0
	s_cbranch_execz .LBB55_5
; %bb.4:
	s_load_b64 s[8:9], s[0:1], 0x18
	s_mul_i32 s10, s14, s4
	s_delay_alu instid0(SALU_CYCLE_1) | instskip(NEXT) | instid1(SALU_CYCLE_1)
	s_ashr_i32 s11, s10, 31
	s_lshl_b64 s[10:11], s[10:11], 2
	s_waitcnt lgkmcnt(0)
	s_add_u32 s4, s8, s10
	s_addc_u32 s10, s9, s11
	s_ashr_i32 s17, s16, 31
	s_delay_alu instid0(SALU_CYCLE_1) | instskip(NEXT) | instid1(SALU_CYCLE_1)
	s_lshl_b64 s[8:9], s[16:17], 2
	s_add_u32 s8, s4, s8
	s_addc_u32 s9, s10, s9
	global_load_b128 v[1:4], v35, s[8:9]
	s_waitcnt vmcnt(0)
	ds_store_b128 v35, v[1:4]
.LBB55_5:
	s_or_b32 exec_lo, exec_lo, s7
	s_add_i32 s4, s15, 31
	s_clause 0x1
	s_load_b128 s[8:11], s[0:1], 0x0
	s_load_b64 s[18:19], s[0:1], 0x10
	s_ashr_i32 s7, s4, 31
	s_mul_i32 s34, s26, s2
	s_lshr_b32 s17, s7, 27
	s_lshl_b32 s7, s12, 4
	s_add_i32 s4, s4, s17
	s_load_b64 s[24:25], s[0:1], 0x28
	s_ashr_i32 s21, s4, 5
	s_clause 0x1
	s_load_b32 s4, s[0:1], 0x98
	s_load_b32 s33, s[0:1], 0x48
	s_add_i32 s17, s7, 16
	s_sub_i32 s27, s27, s34
	s_min_i32 s17, s17, s21
	s_xor_b32 s28, s28, s29
	s_add_i32 s29, s26, 1
	s_sub_i32 s34, s27, s2
	s_cmp_ge_u32 s27, s2
	v_lshrrev_b32_e32 v40, 5, v0
	s_cselect_b32 s26, s29, s26
	s_cselect_b32 s27, s34, s27
	s_add_i32 s29, s26, 1
	s_cmp_ge_u32 s27, s2
	v_add_nc_u32_e32 v37, s7, v40
	v_and_b32_e32 v41, 31, v0
	s_cselect_b32 s2, s29, s26
	v_mov_b32_e32 v39, 0xff7fffff
	s_xor_b32 s2, s2, s28
	v_ashrrev_i32_e32 v38, 31, v37
	v_lshlrev_b32_e32 v36, 2, v41
	s_sub_i32 s28, s2, s28
	v_cmp_gt_i32_e64 s2, s17, v37
	s_waitcnt lgkmcnt(0)
	s_mul_i32 s26, s14, s33
	s_mul_i32 s28, s28, s6
	s_ashr_i32 s27, s26, 31
	s_barrier
	buffer_gl0_inv
	s_and_saveexec_b32 s6, s2
	s_cbranch_execz .LBB55_9
; %bb.6:
	s_load_b64 s[0:1], s[0:1], 0x20
	v_dual_mov_b32 v29, 0 :: v_dual_lshlrev_b32 v34, 5, v40
	s_ashr_i32 s29, s28, 31
	v_dual_mov_b32 v46, v37 :: v_dual_lshlrev_b32 v33, 4, v41
	ds_load_b128 v[1:4], v29
	ds_load_b128 v[5:8], v29 offset:16
	ds_load_b128 v[9:12], v29 offset:32
	;; [unrolled: 1-line block ×7, first 2 shown]
	s_lshl_b64 s[34:35], s[28:29], 2
	v_add3_u32 v42, s30, v34, v41
	v_lshl_or_b32 v39, v40, 7, v36
	v_cmp_neq_f32_e64 vcc_lo, s31, 0
	s_mov_b32 s33, 0
	s_delay_alu instid0(VALU_DEP_2)
	v_add_nc_u32_e32 v45, 0xa0, v39
	v_mov_b32_e32 v39, 0xff7fffff
	s_waitcnt lgkmcnt(0)
	s_add_u32 s0, s0, s34
	s_addc_u32 s1, s1, s35
	v_add_co_u32 v43, s0, s0, v33
	v_lshlrev_b64 v[33:34], 2, v[37:38]
	v_add_co_ci_u32_e64 v44, null, s1, 0, s0
	s_lshl_b64 s[0:1], s[26:27], 2
	s_sub_i32 s29, 1, s15
	s_add_u32 s0, s22, s0
	s_addc_u32 s1, s23, s1
	v_add_co_u32 v33, s0, s0, v33
	s_delay_alu instid0(VALU_DEP_1)
	v_add_co_ci_u32_e64 v34, s0, s1, v34, s0
	s_mov_b32 s34, s5
.LBB55_7:                               ; =>This Inner Loop Header: Depth=1
	global_load_b32 v49, v[33:34], off
	v_dual_max_f32 v80, v39, v39 :: v_dual_add_nc_u32 v79, s29, v42
	v_add_nc_u32_e32 v46, 4, v46
	s_delay_alu instid0(VALU_DEP_2) | instskip(NEXT) | instid1(VALU_DEP_2)
	v_cvt_f32_i32_e32 v79, v79
	v_cmp_le_i32_e64 s1, s17, v46
	s_delay_alu instid0(VALU_DEP_1) | instskip(SKIP_2) | instid1(VALU_DEP_1)
	s_or_b32 s33, s1, s33
	s_waitcnt vmcnt(0)
	v_mad_i64_i32 v[47:48], null, v49, s34, 0
	v_lshlrev_b64 v[47:48], 2, v[47:48]
	s_delay_alu instid0(VALU_DEP_1) | instskip(NEXT) | instid1(VALU_DEP_1)
	v_add_co_u32 v75, s0, v43, v47
	v_add_co_ci_u32_e64 v76, s0, v44, v48, s0
	s_clause 0x7
	global_load_b128 v[47:50], v[75:76], off offset:512
	global_load_b128 v[51:54], v[75:76], off
	global_load_b128 v[55:58], v[75:76], off offset:1024
	global_load_b128 v[59:62], v[75:76], off offset:1536
	global_load_b128 v[63:66], v[75:76], off offset:2048
	global_load_b128 v[67:70], v[75:76], off offset:2560
	global_load_b128 v[71:74], v[75:76], off offset:3072
	global_load_b128 v[75:78], v[75:76], off offset:3584
	v_add_co_u32 v33, s0, v33, 16
	s_delay_alu instid0(VALU_DEP_1)
	v_add_co_ci_u32_e64 v34, s0, 0, v34, s0
	v_cmp_gt_i32_e64 s0, s15, v42
	s_waitcnt vmcnt(7)
	v_dual_mul_f32 v47, v5, v47 :: v_dual_add_nc_u32 v42, 0x80, v42
	v_dual_mul_f32 v48, v6, v48 :: v_dual_mul_f32 v49, v7, v49
	s_waitcnt vmcnt(6)
	s_delay_alu instid0(VALU_DEP_2) | instskip(NEXT) | instid1(VALU_DEP_2)
	v_dual_mul_f32 v50, v8, v50 :: v_dual_fmac_f32 v47, v1, v51
	v_dual_fmac_f32 v48, v2, v52 :: v_dual_fmac_f32 v49, v3, v53
	s_waitcnt vmcnt(5)
	s_delay_alu instid0(VALU_DEP_2) | instskip(NEXT) | instid1(VALU_DEP_2)
	v_dual_fmac_f32 v50, v4, v54 :: v_dual_fmac_f32 v47, v9, v55
	v_dual_fmac_f32 v48, v10, v56 :: v_dual_fmac_f32 v49, v11, v57
	s_waitcnt vmcnt(4)
	s_delay_alu instid0(VALU_DEP_2) | instskip(NEXT) | instid1(VALU_DEP_2)
	v_dual_fmac_f32 v50, v12, v58 :: v_dual_fmac_f32 v47, v13, v59
	;; [unrolled: 4-line block ×6, first 2 shown]
	v_dual_fmac_f32 v48, v30, v76 :: v_dual_fmac_f32 v49, v31, v77
	s_delay_alu instid0(VALU_DEP_1) | instskip(SKIP_1) | instid1(VALU_DEP_1)
	v_dual_fmac_f32 v50, v32, v78 :: v_dual_add_f32 v47, v47, v48
	v_mul_f32_e32 v48, s31, v79
	v_dual_add_f32 v47, v49, v47 :: v_dual_cndmask_b32 v48, 0, v48
	s_delay_alu instid0(VALU_DEP_1) | instskip(NEXT) | instid1(VALU_DEP_1)
	v_add_f32_e32 v47, v50, v47
	v_fmac_f32_e32 v48, s3, v47
	s_delay_alu instid0(VALU_DEP_1) | instskip(SKIP_1) | instid1(VALU_DEP_2)
	v_max_f32_e32 v47, v80, v48
	v_cndmask_b32_e64 v48, 0, v48, s0
	v_cndmask_b32_e64 v39, v39, v47, s0
	ds_store_b32 v45, v48
	v_add_nc_u32_e32 v45, 0x200, v45
	s_and_not1_b32 exec_lo, exec_lo, s33
	s_cbranch_execnz .LBB55_7
; %bb.8:
	s_or_b32 exec_lo, exec_lo, s33
.LBB55_9:
	s_delay_alu instid0(SALU_CYCLE_1) | instskip(SKIP_2) | instid1(VALU_DEP_2)
	s_or_b32 exec_lo, exec_lo, s6
	v_mbcnt_lo_u32_b32 v1, -1, 0
	v_max_f32_e32 v5, v39, v39
	v_xor_b32_e32 v2, 16, v1
	v_xor_b32_e32 v4, 8, v1
	s_delay_alu instid0(VALU_DEP_2) | instskip(SKIP_1) | instid1(VALU_DEP_3)
	v_cmp_gt_i32_e32 vcc_lo, 32, v2
	v_cndmask_b32_e32 v2, v1, v2, vcc_lo
	v_cmp_gt_i32_e32 vcc_lo, 32, v4
	s_delay_alu instid0(VALU_DEP_2) | instskip(SKIP_4) | instid1(VALU_DEP_1)
	v_lshlrev_b32_e32 v2, 2, v2
	v_cndmask_b32_e32 v4, v1, v4, vcc_lo
	ds_bpermute_b32 v3, v2, v39
	s_waitcnt lgkmcnt(0)
	v_dual_max_f32 v6, v3, v3 :: v_dual_lshlrev_b32 v3, 2, v4
	v_max_f32_e32 v4, v5, v6
	v_xor_b32_e32 v6, 4, v1
	ds_bpermute_b32 v5, v3, v4
	v_cmp_gt_i32_e32 vcc_lo, 32, v6
	v_cndmask_b32_e32 v6, v1, v6, vcc_lo
	s_delay_alu instid0(VALU_DEP_1) | instskip(SKIP_1) | instid1(VALU_DEP_1)
	v_lshlrev_b32_e32 v44, 2, v6
	v_xor_b32_e32 v6, 2, v1
	v_cmp_gt_i32_e32 vcc_lo, 32, v6
	s_waitcnt lgkmcnt(0)
	v_max_f32_e32 v5, v5, v5
	v_cndmask_b32_e32 v6, v1, v6, vcc_lo
	s_delay_alu instid0(VALU_DEP_1)
	v_dual_max_f32 v4, v4, v5 :: v_dual_lshlrev_b32 v43, 2, v6
	v_xor_b32_e32 v6, 1, v1
	ds_bpermute_b32 v5, v44, v4
	v_cmp_gt_i32_e32 vcc_lo, 32, v6
	v_cndmask_b32_e32 v6, v1, v6, vcc_lo
	v_cmp_eq_u32_e32 vcc_lo, 0, v41
	s_waitcnt lgkmcnt(0)
	s_delay_alu instid0(VALU_DEP_2) | instskip(NEXT) | instid1(VALU_DEP_1)
	v_dual_max_f32 v5, v5, v5 :: v_dual_lshlrev_b32 v42, 2, v6
	v_max_f32_e32 v4, v4, v5
	ds_bpermute_b32 v5, v43, v4
	s_waitcnt lgkmcnt(0)
	v_max_f32_e32 v5, v5, v5
	s_delay_alu instid0(VALU_DEP_1)
	v_max_f32_e32 v1, v4, v5
	v_lshlrev_b32_e32 v5, 2, v40
	ds_bpermute_b32 v4, v42, v1
	s_and_saveexec_b32 s0, vcc_lo
	s_cbranch_execz .LBB55_11
; %bb.10:
	s_waitcnt lgkmcnt(0)
	v_dual_max_f32 v4, v4, v4 :: v_dual_max_f32 v1, v1, v1
	s_delay_alu instid0(VALU_DEP_1)
	v_max_f32_e32 v1, v1, v4
	ds_store_b32 v5, v1 offset:128
.LBB55_11:
	s_or_b32 exec_lo, exec_lo, s0
	v_cmp_gt_u32_e64 s0, 4, v41
	v_mov_b32_e32 v1, 0xff7fffff
	s_waitcnt lgkmcnt(0)
	s_barrier
	buffer_gl0_inv
	s_and_saveexec_b32 s1, s0
	s_cbranch_execz .LBB55_13
; %bb.12:
	ds_load_b32 v1, v36 offset:128
.LBB55_13:
	s_or_b32 exec_lo, exec_lo, s1
	s_waitcnt lgkmcnt(0)
	ds_bpermute_b32 v4, v43, v1
	v_max_f32_e32 v1, v1, v1
	s_sub_i32 s1, s17, s7
	v_mov_b32_e32 v6, 0
	s_lshl_b32 s1, s1, 5
	s_delay_alu instid0(SALU_CYCLE_1) | instskip(NEXT) | instid1(SALU_CYCLE_1)
	s_add_i32 s1, s1, s30
	s_min_i32 s1, s1, s15
	s_delay_alu instid0(SALU_CYCLE_1) | instskip(NEXT) | instid1(SALU_CYCLE_1)
	s_sub_i32 s6, s1, s30
	v_cmp_gt_i32_e64 s1, s6, v0
	s_waitcnt lgkmcnt(0)
	v_max_f32_e32 v4, v4, v4
	s_delay_alu instid0(VALU_DEP_1) | instskip(SKIP_3) | instid1(VALU_DEP_1)
	v_max_f32_e32 v1, v1, v4
	ds_bpermute_b32 v4, v42, v1
	s_waitcnt lgkmcnt(0)
	v_max_f32_e32 v4, v4, v4
	v_max_f32_e32 v1, v1, v4
	v_lshl_add_u32 v4, v0, 2, 0xa0
	ds_bpermute_b32 v1, v6, v1
	s_and_saveexec_b32 s7, s1
	s_cbranch_execz .LBB55_17
; %bb.14:
	v_lshl_add_u32 v7, v0, 2, 0xa0
	v_mov_b32_e32 v6, 0
	v_mov_b32_e32 v8, v0
	s_mov_b32 s29, 0
	.p2align	6
.LBB55_15:                              ; =>This Inner Loop Header: Depth=1
	ds_load_b32 v9, v7
	v_add_nc_u32_e32 v8, 0x80, v8
	s_delay_alu instid0(VALU_DEP_1) | instskip(NEXT) | instid1(VALU_DEP_1)
	v_cmp_le_i32_e64 s3, s6, v8
	s_or_b32 s29, s3, s29
	s_waitcnt lgkmcnt(0)
	v_sub_f32_e32 v9, v9, v1
	s_delay_alu instid0(VALU_DEP_1) | instskip(NEXT) | instid1(VALU_DEP_1)
	v_mul_f32_e32 v9, 0x3fb8aa3b, v9
	v_exp_f32_e32 v9, v9
	ds_store_b32 v7, v9
	v_dual_add_f32 v6, v6, v9 :: v_dual_add_nc_u32 v7, 0x200, v7
	s_and_not1_b32 exec_lo, exec_lo, s29
	s_cbranch_execnz .LBB55_15
; %bb.16:
	s_or_b32 exec_lo, exec_lo, s29
.LBB55_17:
	s_delay_alu instid0(SALU_CYCLE_1)
	s_or_b32 exec_lo, exec_lo, s7
	ds_bpermute_b32 v2, v2, v6
	s_waitcnt lgkmcnt(0)
	v_add_f32_e32 v2, v6, v2
	ds_bpermute_b32 v3, v3, v2
	s_waitcnt lgkmcnt(0)
	v_add_f32_e32 v2, v2, v3
	;; [unrolled: 3-line block ×5, first 2 shown]
	s_and_saveexec_b32 s3, vcc_lo
	s_cbranch_execz .LBB55_19
; %bb.18:
	ds_store_b32 v5, v2 offset:144
.LBB55_19:
	s_or_b32 exec_lo, exec_lo, s3
	s_waitcnt lgkmcnt(0)
	s_barrier
	buffer_gl0_inv
	s_and_saveexec_b32 s3, s0
	s_cbranch_execz .LBB55_21
; %bb.20:
	ds_load_b32 v2, v36 offset:144
.LBB55_21:
	s_or_b32 exec_lo, exec_lo, s3
	s_waitcnt lgkmcnt(0)
	ds_bpermute_b32 v3, v43, v2
	s_waitcnt lgkmcnt(0)
	v_add_f32_e32 v2, v2, v3
	ds_bpermute_b32 v3, v42, v2
	s_waitcnt lgkmcnt(0)
	v_dual_add_f32 v2, v2, v3 :: v_dual_mov_b32 v3, 0
	ds_bpermute_b32 v2, v3, v2
	s_and_saveexec_b32 s0, s1
	s_cbranch_execz .LBB55_24
; %bb.22:
	s_waitcnt lgkmcnt(0)
	v_add_f32_e32 v3, 0x358637bd, v2
	s_mov_b32 s1, 0
	s_delay_alu instid0(VALU_DEP_1) | instskip(SKIP_1) | instid1(VALU_DEP_2)
	v_div_scale_f32 v5, null, v3, v3, 1.0
	v_div_scale_f32 v8, vcc_lo, 1.0, v3, 1.0
	v_rcp_f32_e32 v6, v5
	s_waitcnt_depctr 0xfff
	v_fma_f32 v7, -v5, v6, 1.0
	s_delay_alu instid0(VALU_DEP_1) | instskip(NEXT) | instid1(VALU_DEP_1)
	v_fmac_f32_e32 v6, v7, v6
	v_mul_f32_e32 v7, v8, v6
	s_delay_alu instid0(VALU_DEP_1) | instskip(NEXT) | instid1(VALU_DEP_1)
	v_fma_f32 v9, -v5, v7, v8
	v_fmac_f32_e32 v7, v9, v6
	s_delay_alu instid0(VALU_DEP_1) | instskip(NEXT) | instid1(VALU_DEP_1)
	v_fma_f32 v5, -v5, v7, v8
	v_div_fmas_f32 v5, v5, v6, v7
	s_delay_alu instid0(VALU_DEP_1)
	v_div_fixup_f32 v3, v5, v3, 1.0
	v_mov_b32_e32 v5, v0
.LBB55_23:                              ; =>This Inner Loop Header: Depth=1
	ds_load_b32 v6, v4
	s_waitcnt lgkmcnt(0)
	v_dual_mul_f32 v6, v3, v6 :: v_dual_add_nc_u32 v5, 0x80, v5
	s_delay_alu instid0(VALU_DEP_1) | instskip(SKIP_3) | instid1(SALU_CYCLE_1)
	v_cmp_le_i32_e32 vcc_lo, s6, v5
	ds_store_b32 v4, v6
	v_add_nc_u32_e32 v4, 0x200, v4
	s_or_b32 s1, vcc_lo, s1
	s_and_not1_b32 exec_lo, exec_lo, s1
	s_cbranch_execnz .LBB55_23
.LBB55_24:
	s_or_b32 exec_lo, exec_lo, s0
	s_mul_i32 s0, s4, s14
	s_waitcnt lgkmcnt(0)
	s_mul_i32 s6, s0, s13
	s_mov_b32 s0, exec_lo
	s_barrier
	buffer_gl0_inv
	v_cmpx_eq_u32_e32 0, v0
	s_cbranch_execz .LBB55_26
; %bb.25:
	s_ashr_i32 s7, s6, 31
	s_mul_i32 s36, s4, s20
	s_lshl_b64 s[34:35], s[6:7], 2
	v_mov_b32_e32 v3, 0
	s_add_u32 s1, s10, s34
	s_addc_u32 s3, s11, s35
	s_ashr_i32 s37, s36, 31
	s_delay_alu instid0(SALU_CYCLE_1) | instskip(NEXT) | instid1(SALU_CYCLE_1)
	s_lshl_b64 s[10:11], s[36:37], 2
	s_add_u32 s1, s1, s10
	s_addc_u32 s3, s3, s11
	s_ashr_i32 s13, s12, 31
	s_delay_alu instid0(SALU_CYCLE_1) | instskip(NEXT) | instid1(SALU_CYCLE_1)
	s_lshl_b64 s[36:37], s[12:13], 2
	s_add_u32 s38, s1, s36
	s_addc_u32 s39, s3, s37
	s_add_u32 s1, s8, s34
	s_addc_u32 s3, s9, s35
	;; [unrolled: 2-line block ×4, first 2 shown]
	s_clause 0x1
	global_store_b32 v3, v1, s[38:39]
	global_store_b32 v3, v2, s[8:9]
.LBB55_26:
	s_or_b32 exec_lo, exec_lo, s0
	v_dual_mov_b32 v46, 0 :: v_dual_and_b32 v45, 7, v0
	v_dual_mov_b32 v47, 0 :: v_dual_mov_b32 v50, 0
	v_dual_mov_b32 v49, 0 :: v_dual_mov_b32 v52, 0
	;; [unrolled: 1-line block ×3, first 2 shown]
	v_mov_b32_e32 v53, 0
	s_mov_b32 s3, 0
	s_and_saveexec_b32 s1, s2
	s_cbranch_execz .LBB55_46
; %bb.27:
	v_dual_mov_b32 v48, 0 :: v_dual_lshlrev_b32 v1, 2, v0
	v_dual_mov_b32 v53, 0 :: v_dual_lshlrev_b32 v2, 4, v45
	v_lshl_add_u32 v4, v40, 5, s30
	s_delay_alu instid0(VALU_DEP_3)
	v_dual_mov_b32 v52, 0 :: v_dual_and_b32 v1, 28, v1
	s_ashr_i32 s29, s28, 31
	v_dual_mov_b32 v50, 0 :: v_dual_and_b32 v3, 0x1f0, v35
	s_lshl_b64 s[8:9], s[28:29], 2
	v_lshl_or_b32 v5, v40, 7, v2
	s_add_u32 s0, s24, s8
	v_add3_u32 v56, v4, v1, 3
	v_lshlrev_b64 v[1:2], 2, v[37:38]
	s_addc_u32 s2, s25, s9
	v_add_co_u32 v54, s0, s0, v3
	s_lshl_b64 s[8:9], s[26:27], 2
	s_add_i32 s21, s21, -1
	v_add_co_ci_u32_e64 v55, null, s2, 0, s0
	s_add_u32 s0, s22, s8
	s_addc_u32 s2, s23, s9
	v_add_co_u32 v38, vcc_lo, s0, v1
	v_dual_mov_b32 v46, 0 :: v_dual_add_nc_u32 v57, 0xa0, v5
	v_add_co_ci_u32_e32 v39, vcc_lo, s2, v2, vcc_lo
	v_mov_b32_e32 v51, 0
	v_mov_b32_e32 v49, 0
	;; [unrolled: 1-line block ×3, first 2 shown]
	s_mov_b32 s2, s5
	s_branch .LBB55_29
.LBB55_28:                              ;   in Loop: Header=BB55_29 Depth=1
	s_or_b32 exec_lo, exec_lo, s0
	s_waitcnt vmcnt(7) lgkmcnt(0)
	v_mul_f32_e32 v6, v2, v6
	s_waitcnt vmcnt(6)
	v_mul_f32_e32 v10, v2, v10
	v_add_co_u32 v38, s0, v38, 16
	v_add_nc_u32_e32 v57, 0x200, v57
	s_waitcnt vmcnt(4)
	v_dual_fmac_f32 v6, v1, v5 :: v_dual_mul_f32 v5, v2, v18
	s_waitcnt vmcnt(3)
	v_dual_fmac_f32 v10, v1, v9 :: v_dual_mul_f32 v9, v2, v22
	v_add_co_ci_u32_e64 v39, s0, 0, v39, s0
	s_waitcnt vmcnt(2)
	v_dual_fmac_f32 v6, v3, v7 :: v_dual_mul_f32 v7, v2, v26
	v_mul_f32_e32 v14, v2, v14
	s_waitcnt vmcnt(1)
	v_dual_fmac_f32 v10, v3, v11 :: v_dual_mul_f32 v11, v2, v30
	v_fmac_f32_e32 v5, v1, v17
	v_fmac_f32_e32 v9, v1, v21
	;; [unrolled: 1-line block ×4, first 2 shown]
	s_delay_alu instid0(VALU_DEP_4)
	v_dual_fmac_f32 v6, v4, v8 :: v_dual_fmac_f32 v5, v3, v19
	s_waitcnt vmcnt(0)
	v_dual_mul_f32 v2, v2, v34 :: v_dual_fmac_f32 v11, v1, v29
	v_dual_fmac_f32 v10, v4, v12 :: v_dual_fmac_f32 v9, v3, v23
	v_fmac_f32_e32 v14, v3, v15
	v_fmac_f32_e32 v7, v3, v27
	;; [unrolled: 1-line block ×3, first 2 shown]
	s_delay_alu instid0(VALU_DEP_4) | instskip(SKIP_4) | instid1(VALU_DEP_4)
	v_add_f32_e32 v53, v53, v10
	v_dual_fmac_f32 v2, v1, v33 :: v_dual_fmac_f32 v9, v4, v24
	v_fmac_f32_e32 v14, v4, v16
	v_fmac_f32_e32 v7, v4, v28
	v_dual_add_f32 v48, v48, v6 :: v_dual_fmac_f32 v11, v3, v31
	v_fmac_f32_e32 v2, v3, v35
	s_delay_alu instid0(VALU_DEP_4) | instskip(NEXT) | instid1(VALU_DEP_4)
	v_dual_add_f32 v52, v52, v14 :: v_dual_add_f32 v51, v51, v5
	v_add_f32_e32 v49, v49, v7
	s_delay_alu instid0(VALU_DEP_4) | instskip(NEXT) | instid1(VALU_DEP_4)
	v_dual_fmac_f32 v11, v4, v32 :: v_dual_add_f32 v50, v50, v9
	v_dual_fmac_f32 v2, v4, v36 :: v_dual_add_nc_u32 v37, 4, v37
	s_delay_alu instid0(VALU_DEP_2) | instskip(NEXT) | instid1(VALU_DEP_2)
	v_dual_add_f32 v47, v47, v11 :: v_dual_add_nc_u32 v56, 0x80, v56
	v_add_f32_e32 v46, v46, v2
	s_delay_alu instid0(VALU_DEP_3) | instskip(SKIP_1) | instid1(SALU_CYCLE_1)
	v_cmp_le_i32_e32 vcc_lo, s17, v37
	s_or_b32 s3, vcc_lo, s3
	s_and_not1_b32 exec_lo, exec_lo, s3
	s_cbranch_execz .LBB55_45
.LBB55_29:                              ; =>This Inner Loop Header: Depth=1
	global_load_b32 v3, v[38:39], off
	v_add_nc_u32_e32 v58, -3, v56
	v_add_nc_u32_e32 v60, -2, v56
	;; [unrolled: 1-line block ×3, first 2 shown]
	s_waitcnt vmcnt(0)
	v_mad_i64_i32 v[1:2], null, v3, s2, 0
	s_delay_alu instid0(VALU_DEP_1) | instskip(NEXT) | instid1(VALU_DEP_1)
	v_lshlrev_b64 v[1:2], 2, v[1:2]
	v_add_co_u32 v33, vcc_lo, v54, v1
	s_delay_alu instid0(VALU_DEP_2)
	v_add_co_ci_u32_e32 v34, vcc_lo, v55, v2, vcc_lo
	ds_load_b128 v[1:4], v57
	v_cmp_eq_u32_e32 vcc_lo, s21, v37
	global_load_b128 v[5:8], v[33:34], off
	s_and_saveexec_b32 s5, vcc_lo
	s_cbranch_execnz .LBB55_37
; %bb.30:                               ;   in Loop: Header=BB55_29 Depth=1
	s_or_b32 exec_lo, exec_lo, s5
	global_load_b128 v[9:12], v[33:34], off offset:512
	s_and_saveexec_b32 s5, vcc_lo
	s_cbranch_execnz .LBB55_38
.LBB55_31:                              ;   in Loop: Header=BB55_29 Depth=1
	s_or_b32 exec_lo, exec_lo, s5
	global_load_b128 v[13:16], v[33:34], off offset:1024
	s_and_saveexec_b32 s5, vcc_lo
	s_cbranch_execnz .LBB55_39
.LBB55_32:                              ;   in Loop: Header=BB55_29 Depth=1
	s_or_b32 exec_lo, exec_lo, s5
	global_load_b128 v[17:20], v[33:34], off offset:1536
	s_and_saveexec_b32 s5, vcc_lo
	s_cbranch_execnz .LBB55_40
.LBB55_33:                              ;   in Loop: Header=BB55_29 Depth=1
	s_or_b32 exec_lo, exec_lo, s5
	global_load_b128 v[21:24], v[33:34], off offset:2048
	s_and_saveexec_b32 s5, vcc_lo
	s_cbranch_execnz .LBB55_41
.LBB55_34:                              ;   in Loop: Header=BB55_29 Depth=1
	s_or_b32 exec_lo, exec_lo, s5
	global_load_b128 v[25:28], v[33:34], off offset:2560
	s_and_saveexec_b32 s5, vcc_lo
	s_cbranch_execnz .LBB55_42
.LBB55_35:                              ;   in Loop: Header=BB55_29 Depth=1
	s_or_b32 exec_lo, exec_lo, s5
	global_load_b128 v[29:32], v[33:34], off offset:3072
	s_and_saveexec_b32 s5, vcc_lo
	s_cbranch_execnz .LBB55_43
.LBB55_36:                              ;   in Loop: Header=BB55_29 Depth=1
	s_or_b32 exec_lo, exec_lo, s5
	global_load_b128 v[33:36], v[33:34], off offset:3584
	s_and_saveexec_b32 s0, vcc_lo
	s_cbranch_execz .LBB55_28
	s_branch .LBB55_44
.LBB55_37:                              ;   in Loop: Header=BB55_29 Depth=1
	v_cmp_gt_i32_e64 s0, s15, v58
	s_waitcnt vmcnt(0)
	s_delay_alu instid0(VALU_DEP_1) | instskip(SKIP_1) | instid1(VALU_DEP_1)
	v_cndmask_b32_e64 v5, 0, v5, s0
	v_cmp_gt_i32_e64 s0, s15, v60
	v_cndmask_b32_e64 v6, 0, v6, s0
	v_cmp_gt_i32_e64 s0, s15, v59
	s_delay_alu instid0(VALU_DEP_1) | instskip(SKIP_1) | instid1(VALU_DEP_1)
	v_cndmask_b32_e64 v7, 0, v7, s0
	v_cmp_gt_i32_e64 s0, s15, v56
	v_cndmask_b32_e64 v8, 0, v8, s0
	s_or_b32 exec_lo, exec_lo, s5
	global_load_b128 v[9:12], v[33:34], off offset:512
	s_and_saveexec_b32 s5, vcc_lo
	s_cbranch_execz .LBB55_31
.LBB55_38:                              ;   in Loop: Header=BB55_29 Depth=1
	v_cmp_gt_i32_e64 s0, s15, v58
	s_waitcnt vmcnt(0)
	s_delay_alu instid0(VALU_DEP_1) | instskip(SKIP_1) | instid1(VALU_DEP_1)
	v_cndmask_b32_e64 v9, 0, v9, s0
	v_cmp_gt_i32_e64 s0, s15, v60
	v_cndmask_b32_e64 v10, 0, v10, s0
	v_cmp_gt_i32_e64 s0, s15, v59
	s_delay_alu instid0(VALU_DEP_1) | instskip(SKIP_1) | instid1(VALU_DEP_1)
	v_cndmask_b32_e64 v11, 0, v11, s0
	v_cmp_gt_i32_e64 s0, s15, v56
	v_cndmask_b32_e64 v12, 0, v12, s0
	s_or_b32 exec_lo, exec_lo, s5
	global_load_b128 v[13:16], v[33:34], off offset:1024
	s_and_saveexec_b32 s5, vcc_lo
	s_cbranch_execz .LBB55_32
.LBB55_39:                              ;   in Loop: Header=BB55_29 Depth=1
	v_cmp_gt_i32_e64 s0, s15, v58
	s_waitcnt vmcnt(0)
	s_delay_alu instid0(VALU_DEP_1) | instskip(SKIP_1) | instid1(VALU_DEP_1)
	v_cndmask_b32_e64 v13, 0, v13, s0
	v_cmp_gt_i32_e64 s0, s15, v60
	v_cndmask_b32_e64 v14, 0, v14, s0
	v_cmp_gt_i32_e64 s0, s15, v59
	s_delay_alu instid0(VALU_DEP_1) | instskip(SKIP_1) | instid1(VALU_DEP_1)
	v_cndmask_b32_e64 v15, 0, v15, s0
	v_cmp_gt_i32_e64 s0, s15, v56
	v_cndmask_b32_e64 v16, 0, v16, s0
	s_or_b32 exec_lo, exec_lo, s5
	global_load_b128 v[17:20], v[33:34], off offset:1536
	s_and_saveexec_b32 s5, vcc_lo
	s_cbranch_execz .LBB55_33
.LBB55_40:                              ;   in Loop: Header=BB55_29 Depth=1
	v_cmp_gt_i32_e64 s0, s15, v58
	s_waitcnt vmcnt(0)
	s_delay_alu instid0(VALU_DEP_1) | instskip(SKIP_1) | instid1(VALU_DEP_1)
	v_cndmask_b32_e64 v17, 0, v17, s0
	v_cmp_gt_i32_e64 s0, s15, v60
	v_cndmask_b32_e64 v18, 0, v18, s0
	v_cmp_gt_i32_e64 s0, s15, v59
	s_delay_alu instid0(VALU_DEP_1) | instskip(SKIP_1) | instid1(VALU_DEP_1)
	v_cndmask_b32_e64 v19, 0, v19, s0
	v_cmp_gt_i32_e64 s0, s15, v56
	v_cndmask_b32_e64 v20, 0, v20, s0
	s_or_b32 exec_lo, exec_lo, s5
	global_load_b128 v[21:24], v[33:34], off offset:2048
	s_and_saveexec_b32 s5, vcc_lo
	s_cbranch_execz .LBB55_34
.LBB55_41:                              ;   in Loop: Header=BB55_29 Depth=1
	v_cmp_gt_i32_e64 s0, s15, v58
	s_waitcnt vmcnt(0)
	s_delay_alu instid0(VALU_DEP_1) | instskip(SKIP_1) | instid1(VALU_DEP_1)
	v_cndmask_b32_e64 v21, 0, v21, s0
	v_cmp_gt_i32_e64 s0, s15, v60
	v_cndmask_b32_e64 v22, 0, v22, s0
	v_cmp_gt_i32_e64 s0, s15, v59
	s_delay_alu instid0(VALU_DEP_1) | instskip(SKIP_1) | instid1(VALU_DEP_1)
	v_cndmask_b32_e64 v23, 0, v23, s0
	v_cmp_gt_i32_e64 s0, s15, v56
	v_cndmask_b32_e64 v24, 0, v24, s0
	s_or_b32 exec_lo, exec_lo, s5
	global_load_b128 v[25:28], v[33:34], off offset:2560
	s_and_saveexec_b32 s5, vcc_lo
	s_cbranch_execz .LBB55_35
.LBB55_42:                              ;   in Loop: Header=BB55_29 Depth=1
	v_cmp_gt_i32_e64 s0, s15, v58
	s_waitcnt vmcnt(0)
	s_delay_alu instid0(VALU_DEP_1) | instskip(SKIP_1) | instid1(VALU_DEP_1)
	v_cndmask_b32_e64 v25, 0, v25, s0
	v_cmp_gt_i32_e64 s0, s15, v60
	v_cndmask_b32_e64 v26, 0, v26, s0
	v_cmp_gt_i32_e64 s0, s15, v59
	s_delay_alu instid0(VALU_DEP_1) | instskip(SKIP_1) | instid1(VALU_DEP_1)
	v_cndmask_b32_e64 v27, 0, v27, s0
	v_cmp_gt_i32_e64 s0, s15, v56
	v_cndmask_b32_e64 v28, 0, v28, s0
	s_or_b32 exec_lo, exec_lo, s5
	global_load_b128 v[29:32], v[33:34], off offset:3072
	s_and_saveexec_b32 s5, vcc_lo
	s_cbranch_execz .LBB55_36
.LBB55_43:                              ;   in Loop: Header=BB55_29 Depth=1
	v_cmp_gt_i32_e64 s0, s15, v58
	s_waitcnt vmcnt(0)
	s_delay_alu instid0(VALU_DEP_1) | instskip(SKIP_1) | instid1(VALU_DEP_1)
	v_cndmask_b32_e64 v29, 0, v29, s0
	v_cmp_gt_i32_e64 s0, s15, v60
	v_cndmask_b32_e64 v30, 0, v30, s0
	v_cmp_gt_i32_e64 s0, s15, v59
	s_delay_alu instid0(VALU_DEP_1) | instskip(SKIP_1) | instid1(VALU_DEP_1)
	v_cndmask_b32_e64 v31, 0, v31, s0
	v_cmp_gt_i32_e64 s0, s15, v56
	v_cndmask_b32_e64 v32, 0, v32, s0
	s_or_b32 exec_lo, exec_lo, s5
	global_load_b128 v[33:36], v[33:34], off offset:3584
	s_and_saveexec_b32 s0, vcc_lo
	s_cbranch_execz .LBB55_28
.LBB55_44:                              ;   in Loop: Header=BB55_29 Depth=1
	v_cmp_gt_i32_e32 vcc_lo, s15, v58
	s_waitcnt vmcnt(0)
	v_cndmask_b32_e32 v33, 0, v33, vcc_lo
	v_cmp_gt_i32_e32 vcc_lo, s15, v60
	v_cndmask_b32_e32 v34, 0, v34, vcc_lo
	v_cmp_gt_i32_e32 vcc_lo, s15, v59
	;; [unrolled: 2-line block ×3, first 2 shown]
	v_cndmask_b32_e32 v36, 0, v36, vcc_lo
	s_branch .LBB55_28
.LBB55_45:
	s_or_b32 exec_lo, exec_lo, s3
.LBB55_46:
	s_delay_alu instid0(SALU_CYCLE_1)
	s_or_b32 exec_lo, exec_lo, s1
	ds_bpermute_b32 v1, v44, v48
	ds_bpermute_b32 v2, v44, v53
	;; [unrolled: 1-line block ×8, first 2 shown]
	s_mov_b32 s0, exec_lo
	s_waitcnt lgkmcnt(0)
	s_waitcnt_vscnt null, 0x0
	s_barrier
	buffer_gl0_inv
	v_dual_add_f32 v1, v48, v1 :: v_dual_add_f32 v2, v53, v2
	v_dual_add_f32 v3, v52, v3 :: v_dual_add_f32 v4, v51, v4
	;; [unrolled: 1-line block ×4, first 2 shown]
	ds_bpermute_b32 v9, v43, v1
	ds_bpermute_b32 v10, v43, v2
	;; [unrolled: 1-line block ×8, first 2 shown]
	s_waitcnt lgkmcnt(6)
	v_dual_add_f32 v1, v1, v9 :: v_dual_add_f32 v2, v2, v10
	s_waitcnt lgkmcnt(4)
	v_dual_add_f32 v3, v3, v11 :: v_dual_add_f32 v4, v4, v12
	;; [unrolled: 2-line block ×4, first 2 shown]
	ds_bpermute_b32 v5, v42, v1
	ds_bpermute_b32 v6, v42, v2
	;; [unrolled: 1-line block ×8, first 2 shown]
	v_lshrrev_b32_e32 v9, 3, v41
	v_and_b32_e32 v20, 0x3c7, v0
	s_waitcnt lgkmcnt(6)
	v_dual_add_f32 v8, v1, v5 :: v_dual_add_f32 v7, v2, v6
	s_waitcnt lgkmcnt(4)
	v_dual_add_f32 v6, v3, v14 :: v_dual_add_f32 v5, v4, v15
	;; [unrolled: 2-line block ×4, first 2 shown]
	v_cmpx_eq_u32_e32 64, v20
	s_cbranch_execz .LBB55_48
; %bb.47:
	v_lshl_add_u32 v10, v40, 7, 0xa0
	v_lshlrev_b32_e32 v11, 2, v9
	s_delay_alu instid0(VALU_DEP_1)
	v_add3_u32 v10, v10, v11, 0xffffff00
	ds_store_2addr_b32 v10, v8, v7 offset1:4
	ds_store_2addr_b32 v10, v6, v5 offset0:8 offset1:12
	ds_store_2addr_b32 v10, v4, v3 offset0:16 offset1:20
	;; [unrolled: 1-line block ×3, first 2 shown]
.LBB55_48:
	s_or_b32 exec_lo, exec_lo, s0
	v_and_b32_e32 v10, 0x3e0, v0
	v_cmp_eq_u32_e32 vcc_lo, 0, v45
	s_mov_b32 s1, exec_lo
	s_waitcnt lgkmcnt(0)
	s_barrier
	v_lshl_add_u32 v10, v10, 2, 0xa0
	buffer_gl0_inv
	v_cmpx_gt_u32_e32 64, v0
	s_cbranch_execz .LBB55_59
; %bb.49:
	s_and_saveexec_b32 s0, vcc_lo
	s_cbranch_execnz .LBB55_75
; %bb.50:
	s_or_b32 exec_lo, exec_lo, s0
	s_and_saveexec_b32 s0, vcc_lo
	s_cbranch_execnz .LBB55_76
.LBB55_51:
	s_or_b32 exec_lo, exec_lo, s0
	s_and_saveexec_b32 s0, vcc_lo
	s_cbranch_execnz .LBB55_77
.LBB55_52:
	s_or_b32 exec_lo, exec_lo, s0
	s_and_saveexec_b32 s0, vcc_lo
	s_cbranch_execnz .LBB55_78
.LBB55_53:
	s_or_b32 exec_lo, exec_lo, s0
	s_and_saveexec_b32 s0, vcc_lo
	s_cbranch_execnz .LBB55_79
.LBB55_54:
	s_or_b32 exec_lo, exec_lo, s0
	s_and_saveexec_b32 s0, vcc_lo
	s_cbranch_execnz .LBB55_80
.LBB55_55:
	s_or_b32 exec_lo, exec_lo, s0
	s_and_saveexec_b32 s0, vcc_lo
	s_cbranch_execnz .LBB55_81
.LBB55_56:
	s_or_b32 exec_lo, exec_lo, s0
	s_and_saveexec_b32 s0, vcc_lo
	s_cbranch_execz .LBB55_58
.LBB55_57:
	v_lshl_add_u32 v11, v9, 2, v10
	ds_load_b32 v11, v11 offset:112
	s_waitcnt lgkmcnt(0)
	v_add_f32_e32 v1, v1, v11
.LBB55_58:
	s_or_b32 exec_lo, exec_lo, s0
.LBB55_59:
	s_delay_alu instid0(SALU_CYCLE_1)
	s_or_b32 exec_lo, exec_lo, s1
	v_and_b32_e32 v11, 0x3e7, v0
	s_mov_b32 s1, exec_lo
	s_barrier
	buffer_gl0_inv
	v_cmpx_eq_u32_e32 32, v11
	s_cbranch_execz .LBB55_61
; %bb.60:
	v_lshl_add_u32 v12, v9, 2, 0xa0
	ds_store_2addr_b32 v12, v8, v7 offset1:4
	ds_store_2addr_b32 v12, v6, v5 offset0:8 offset1:12
	ds_store_2addr_b32 v12, v4, v3 offset0:16 offset1:20
	;; [unrolled: 1-line block ×3, first 2 shown]
.LBB55_61:
	s_or_b32 exec_lo, exec_lo, s1
	s_delay_alu instid0(SALU_CYCLE_1)
	s_mov_b32 s1, exec_lo
	s_waitcnt lgkmcnt(0)
	s_barrier
	buffer_gl0_inv
	v_cmpx_gt_u32_e32 32, v0
	s_cbranch_execz .LBB55_72
; %bb.62:
	v_lshl_add_u32 v9, v9, 2, v10
	s_and_saveexec_b32 s0, vcc_lo
	s_cbranch_execnz .LBB55_82
; %bb.63:
	s_or_b32 exec_lo, exec_lo, s0
	s_and_saveexec_b32 s0, vcc_lo
	s_cbranch_execnz .LBB55_83
.LBB55_64:
	s_or_b32 exec_lo, exec_lo, s0
	s_and_saveexec_b32 s0, vcc_lo
	s_cbranch_execnz .LBB55_84
.LBB55_65:
	s_or_b32 exec_lo, exec_lo, s0
	s_and_saveexec_b32 s0, vcc_lo
	s_cbranch_execnz .LBB55_85
.LBB55_66:
	s_or_b32 exec_lo, exec_lo, s0
	s_and_saveexec_b32 s0, vcc_lo
	s_cbranch_execnz .LBB55_86
.LBB55_67:
	s_or_b32 exec_lo, exec_lo, s0
	s_and_saveexec_b32 s0, vcc_lo
	s_cbranch_execnz .LBB55_87
.LBB55_68:
	s_or_b32 exec_lo, exec_lo, s0
	s_and_saveexec_b32 s0, vcc_lo
	s_cbranch_execnz .LBB55_88
.LBB55_69:
	s_or_b32 exec_lo, exec_lo, s0
	s_and_saveexec_b32 s0, vcc_lo
	s_cbranch_execz .LBB55_71
.LBB55_70:
	ds_load_b32 v9, v9 offset:112
	s_waitcnt lgkmcnt(0)
	v_add_f32_e32 v1, v1, v9
.LBB55_71:
	s_or_b32 exec_lo, exec_lo, s0
.LBB55_72:
	s_delay_alu instid0(SALU_CYCLE_1)
	s_or_b32 exec_lo, exec_lo, s1
	s_barrier
	buffer_gl0_inv
	s_mov_b32 s0, exec_lo
	v_cmpx_eq_u32_e32 0, v11
	s_cbranch_execz .LBB55_74
; %bb.73:
	s_lshl_b32 s0, s6, 5
	s_mul_i32 s2, s4, s16
	s_ashr_i32 s1, s0, 31
	v_lshrrev_b32_e32 v0, 1, v0
	s_lshl_b64 s[0:1], s[0:1], 2
	s_delay_alu instid0(SALU_CYCLE_1) | instskip(SKIP_2) | instid1(SALU_CYCLE_1)
	s_add_u32 s4, s18, s0
	s_addc_u32 s5, s19, s1
	s_ashr_i32 s3, s2, 31
	s_lshl_b64 s[0:1], s[2:3], 2
	s_delay_alu instid0(SALU_CYCLE_1) | instskip(SKIP_2) | instid1(SALU_CYCLE_1)
	s_add_u32 s2, s4, s0
	s_addc_u32 s3, s5, s1
	s_lshl_b32 s0, s12, 5
	s_ashr_i32 s1, s0, 31
	s_delay_alu instid0(SALU_CYCLE_1) | instskip(NEXT) | instid1(SALU_CYCLE_1)
	s_lshl_b64 s[0:1], s[0:1], 2
	s_add_u32 s0, s2, s0
	s_addc_u32 s1, s3, s1
	s_clause 0x7
	global_store_b32 v0, v8, s[0:1]
	global_store_b32 v0, v7, s[0:1] offset:16
	global_store_b32 v0, v6, s[0:1] offset:32
	;; [unrolled: 1-line block ×7, first 2 shown]
.LBB55_74:
	s_nop 0
	s_sendmsg sendmsg(MSG_DEALLOC_VGPRS)
	s_endpgm
.LBB55_75:
	v_lshl_add_u32 v11, v9, 2, v10
	ds_load_b32 v11, v11
	s_waitcnt lgkmcnt(0)
	v_add_f32_e32 v8, v8, v11
	s_or_b32 exec_lo, exec_lo, s0
	s_and_saveexec_b32 s0, vcc_lo
	s_cbranch_execz .LBB55_51
.LBB55_76:
	v_lshl_add_u32 v11, v9, 2, v10
	ds_load_b32 v11, v11 offset:16
	s_waitcnt lgkmcnt(0)
	v_add_f32_e32 v7, v7, v11
	s_or_b32 exec_lo, exec_lo, s0
	s_and_saveexec_b32 s0, vcc_lo
	s_cbranch_execz .LBB55_52
.LBB55_77:
	v_lshl_add_u32 v11, v9, 2, v10
	ds_load_b32 v11, v11 offset:32
	s_waitcnt lgkmcnt(0)
	v_add_f32_e32 v6, v6, v11
	s_or_b32 exec_lo, exec_lo, s0
	s_and_saveexec_b32 s0, vcc_lo
	s_cbranch_execz .LBB55_53
.LBB55_78:
	v_lshl_add_u32 v11, v9, 2, v10
	ds_load_b32 v11, v11 offset:48
	s_waitcnt lgkmcnt(0)
	v_add_f32_e32 v5, v5, v11
	s_or_b32 exec_lo, exec_lo, s0
	s_and_saveexec_b32 s0, vcc_lo
	s_cbranch_execz .LBB55_54
.LBB55_79:
	v_lshl_add_u32 v11, v9, 2, v10
	ds_load_b32 v11, v11 offset:64
	s_waitcnt lgkmcnt(0)
	v_add_f32_e32 v4, v4, v11
	s_or_b32 exec_lo, exec_lo, s0
	s_and_saveexec_b32 s0, vcc_lo
	s_cbranch_execz .LBB55_55
.LBB55_80:
	v_lshl_add_u32 v11, v9, 2, v10
	ds_load_b32 v11, v11 offset:80
	s_waitcnt lgkmcnt(0)
	v_add_f32_e32 v3, v3, v11
	s_or_b32 exec_lo, exec_lo, s0
	s_and_saveexec_b32 s0, vcc_lo
	s_cbranch_execz .LBB55_56
.LBB55_81:
	v_lshl_add_u32 v11, v9, 2, v10
	ds_load_b32 v11, v11 offset:96
	s_waitcnt lgkmcnt(0)
	v_add_f32_e32 v2, v2, v11
	s_or_b32 exec_lo, exec_lo, s0
	s_and_saveexec_b32 s0, vcc_lo
	s_cbranch_execnz .LBB55_57
	s_branch .LBB55_58
.LBB55_82:
	ds_load_b32 v10, v9
	s_waitcnt lgkmcnt(0)
	v_add_f32_e32 v8, v8, v10
	s_or_b32 exec_lo, exec_lo, s0
	s_and_saveexec_b32 s0, vcc_lo
	s_cbranch_execz .LBB55_64
.LBB55_83:
	ds_load_b32 v10, v9 offset:16
	s_waitcnt lgkmcnt(0)
	v_add_f32_e32 v7, v7, v10
	s_or_b32 exec_lo, exec_lo, s0
	s_and_saveexec_b32 s0, vcc_lo
	s_cbranch_execz .LBB55_65
.LBB55_84:
	ds_load_b32 v10, v9 offset:32
	s_waitcnt lgkmcnt(0)
	v_add_f32_e32 v6, v6, v10
	s_or_b32 exec_lo, exec_lo, s0
	s_and_saveexec_b32 s0, vcc_lo
	s_cbranch_execz .LBB55_66
.LBB55_85:
	ds_load_b32 v10, v9 offset:48
	s_waitcnt lgkmcnt(0)
	v_add_f32_e32 v5, v5, v10
	s_or_b32 exec_lo, exec_lo, s0
	s_and_saveexec_b32 s0, vcc_lo
	s_cbranch_execz .LBB55_67
.LBB55_86:
	ds_load_b32 v10, v9 offset:64
	s_waitcnt lgkmcnt(0)
	v_add_f32_e32 v4, v4, v10
	s_or_b32 exec_lo, exec_lo, s0
	s_and_saveexec_b32 s0, vcc_lo
	s_cbranch_execz .LBB55_68
.LBB55_87:
	ds_load_b32 v10, v9 offset:80
	s_waitcnt lgkmcnt(0)
	v_add_f32_e32 v3, v3, v10
	s_or_b32 exec_lo, exec_lo, s0
	s_and_saveexec_b32 s0, vcc_lo
	s_cbranch_execz .LBB55_69
.LBB55_88:
	ds_load_b32 v10, v9 offset:96
	s_waitcnt lgkmcnt(0)
	v_add_f32_e32 v2, v2, v10
	s_or_b32 exec_lo, exec_lo, s0
	s_and_saveexec_b32 s0, vcc_lo
	s_cbranch_execnz .LBB55_70
	s_branch .LBB55_71
	.section	.rodata,"a",@progbits
	.p2align	6, 0x0
	.amdhsa_kernel _ZN4vllm25paged_attention_v2_kernelIffLi32ELi32ELi128ELNS_18Fp8KVCacheDataTypeE0ELb0ELi512EEEvPfS2_PT_PKS3_PKT0_S9_ifPKiSB_iPKfiiiSD_SD_iiiii
		.amdhsa_group_segment_fixed_size 160
		.amdhsa_private_segment_fixed_size 0
		.amdhsa_kernarg_size 400
		.amdhsa_user_sgpr_count 13
		.amdhsa_user_sgpr_dispatch_ptr 0
		.amdhsa_user_sgpr_queue_ptr 0
		.amdhsa_user_sgpr_kernarg_segment_ptr 1
		.amdhsa_user_sgpr_dispatch_id 0
		.amdhsa_user_sgpr_private_segment_size 0
		.amdhsa_wavefront_size32 1
		.amdhsa_uses_dynamic_stack 0
		.amdhsa_enable_private_segment 0
		.amdhsa_system_sgpr_workgroup_id_x 1
		.amdhsa_system_sgpr_workgroup_id_y 1
		.amdhsa_system_sgpr_workgroup_id_z 1
		.amdhsa_system_sgpr_workgroup_info 0
		.amdhsa_system_vgpr_workitem_id 0
		.amdhsa_next_free_vgpr 81
		.amdhsa_next_free_sgpr 40
		.amdhsa_reserve_vcc 1
		.amdhsa_float_round_mode_32 0
		.amdhsa_float_round_mode_16_64 0
		.amdhsa_float_denorm_mode_32 3
		.amdhsa_float_denorm_mode_16_64 3
		.amdhsa_dx10_clamp 1
		.amdhsa_ieee_mode 1
		.amdhsa_fp16_overflow 0
		.amdhsa_workgroup_processor_mode 1
		.amdhsa_memory_ordered 1
		.amdhsa_forward_progress 0
		.amdhsa_shared_vgpr_count 0
		.amdhsa_exception_fp_ieee_invalid_op 0
		.amdhsa_exception_fp_denorm_src 0
		.amdhsa_exception_fp_ieee_div_zero 0
		.amdhsa_exception_fp_ieee_overflow 0
		.amdhsa_exception_fp_ieee_underflow 0
		.amdhsa_exception_fp_ieee_inexact 0
		.amdhsa_exception_int_div_zero 0
	.end_amdhsa_kernel
	.section	.text._ZN4vllm25paged_attention_v2_kernelIffLi32ELi32ELi128ELNS_18Fp8KVCacheDataTypeE0ELb0ELi512EEEvPfS2_PT_PKS3_PKT0_S9_ifPKiSB_iPKfiiiSD_SD_iiiii,"axG",@progbits,_ZN4vllm25paged_attention_v2_kernelIffLi32ELi32ELi128ELNS_18Fp8KVCacheDataTypeE0ELb0ELi512EEEvPfS2_PT_PKS3_PKT0_S9_ifPKiSB_iPKfiiiSD_SD_iiiii,comdat
.Lfunc_end55:
	.size	_ZN4vllm25paged_attention_v2_kernelIffLi32ELi32ELi128ELNS_18Fp8KVCacheDataTypeE0ELb0ELi512EEEvPfS2_PT_PKS3_PKT0_S9_ifPKiSB_iPKfiiiSD_SD_iiiii, .Lfunc_end55-_ZN4vllm25paged_attention_v2_kernelIffLi32ELi32ELi128ELNS_18Fp8KVCacheDataTypeE0ELb0ELi512EEEvPfS2_PT_PKS3_PKT0_S9_ifPKiSB_iPKfiiiSD_SD_iiiii
                                        ; -- End function
	.section	.AMDGPU.csdata,"",@progbits
; Kernel info:
; codeLenInByte = 5356
; NumSgprs: 42
; NumVgprs: 81
; ScratchSize: 0
; MemoryBound: 0
; FloatMode: 240
; IeeeMode: 1
; LDSByteSize: 160 bytes/workgroup (compile time only)
; SGPRBlocks: 5
; VGPRBlocks: 10
; NumSGPRsForWavesPerEU: 42
; NumVGPRsForWavesPerEU: 81
; Occupancy: 16
; WaveLimiterHint : 1
; COMPUTE_PGM_RSRC2:SCRATCH_EN: 0
; COMPUTE_PGM_RSRC2:USER_SGPR: 13
; COMPUTE_PGM_RSRC2:TRAP_HANDLER: 0
; COMPUTE_PGM_RSRC2:TGID_X_EN: 1
; COMPUTE_PGM_RSRC2:TGID_Y_EN: 1
; COMPUTE_PGM_RSRC2:TGID_Z_EN: 1
; COMPUTE_PGM_RSRC2:TIDIG_COMP_CNT: 0
	.section	.text._ZN4vllm25paged_attention_v2_kernelIffLi64ELi32ELi128ELNS_18Fp8KVCacheDataTypeE0ELb0ELi512EEEvPfS2_PT_PKS3_PKT0_S9_ifPKiSB_iPKfiiiSD_SD_iiiii,"axG",@progbits,_ZN4vllm25paged_attention_v2_kernelIffLi64ELi32ELi128ELNS_18Fp8KVCacheDataTypeE0ELb0ELi512EEEvPfS2_PT_PKS3_PKT0_S9_ifPKiSB_iPKfiiiSD_SD_iiiii,comdat
	.protected	_ZN4vllm25paged_attention_v2_kernelIffLi64ELi32ELi128ELNS_18Fp8KVCacheDataTypeE0ELb0ELi512EEEvPfS2_PT_PKS3_PKT0_S9_ifPKiSB_iPKfiiiSD_SD_iiiii ; -- Begin function _ZN4vllm25paged_attention_v2_kernelIffLi64ELi32ELi128ELNS_18Fp8KVCacheDataTypeE0ELb0ELi512EEEvPfS2_PT_PKS3_PKT0_S9_ifPKiSB_iPKfiiiSD_SD_iiiii
	.globl	_ZN4vllm25paged_attention_v2_kernelIffLi64ELi32ELi128ELNS_18Fp8KVCacheDataTypeE0ELb0ELi512EEEvPfS2_PT_PKS3_PKT0_S9_ifPKiSB_iPKfiiiSD_SD_iiiii
	.p2align	8
	.type	_ZN4vllm25paged_attention_v2_kernelIffLi64ELi32ELi128ELNS_18Fp8KVCacheDataTypeE0ELb0ELi512EEEvPfS2_PT_PKS3_PKT0_S9_ifPKiSB_iPKfiiiSD_SD_iiiii,@function
_ZN4vllm25paged_attention_v2_kernelIffLi64ELi32ELi128ELNS_18Fp8KVCacheDataTypeE0ELb0ELi512EEEvPfS2_PT_PKS3_PKT0_S9_ifPKiSB_iPKfiiiSD_SD_iiiii: ; @_ZN4vllm25paged_attention_v2_kernelIffLi64ELi32ELi128ELNS_18Fp8KVCacheDataTypeE0ELb0ELi512EEEvPfS2_PT_PKS3_PKT0_S9_ifPKiSB_iPKfiiiSD_SD_iiiii
; %bb.0:
	s_load_b64 s[2:3], s[0:1], 0x40
	s_mov_b32 s12, s15
	s_ashr_i32 s15, s14, 31
	s_delay_alu instid0(SALU_CYCLE_1)
	s_lshl_b64 s[4:5], s[14:15], 2
	s_waitcnt lgkmcnt(0)
	s_add_u32 s2, s2, s4
	s_addc_u32 s3, s3, s5
	s_lshl_b32 s30, s12, 9
	s_load_b32 s15, s[2:3], 0x0
	s_waitcnt lgkmcnt(0)
	s_cmp_ge_i32 s30, s15
	s_cbranch_scc1 .LBB56_106
; %bb.1:
	s_mov_b32 s22, s13
	s_clause 0x1
	s_load_b32 s13, s[0:1], 0x90
	s_load_b64 s[2:3], s[0:1], 0x30
	s_mov_b32 s31, 0
	s_waitcnt lgkmcnt(0)
	s_abs_i32 s7, s13
	s_abs_i32 s4, s2
	s_xor_b32 s2, s13, s2
	v_cvt_f32_u32_e32 v1, s4
	s_sub_i32 s6, 0, s4
	s_ashr_i32 s2, s2, 31
	s_delay_alu instid0(VALU_DEP_1) | instskip(SKIP_2) | instid1(VALU_DEP_1)
	v_rcp_iflag_f32_e32 v1, v1
	s_waitcnt_depctr 0xfff
	v_mul_f32_e32 v1, 0x4f7ffffe, v1
	v_cvt_u32_f32_e32 v1, v1
	s_delay_alu instid0(VALU_DEP_1) | instskip(NEXT) | instid1(VALU_DEP_1)
	v_readfirstlane_b32 s5, v1
	s_mul_i32 s6, s6, s5
	s_delay_alu instid0(SALU_CYCLE_1) | instskip(NEXT) | instid1(SALU_CYCLE_1)
	s_mul_hi_u32 s6, s5, s6
	s_add_i32 s5, s5, s6
	s_delay_alu instid0(SALU_CYCLE_1) | instskip(NEXT) | instid1(SALU_CYCLE_1)
	s_mul_hi_u32 s5, s7, s5
	s_mul_i32 s6, s5, s4
	s_delay_alu instid0(SALU_CYCLE_1)
	s_sub_i32 s6, s7, s6
	s_add_i32 s7, s5, 1
	s_sub_i32 s8, s6, s4
	s_cmp_ge_u32 s6, s4
	s_cselect_b32 s5, s7, s5
	s_cselect_b32 s6, s8, s6
	s_add_i32 s7, s5, 1
	s_cmp_ge_u32 s6, s4
	s_cselect_b32 s4, s7, s5
	s_abs_i32 s27, s22
	s_xor_b32 s4, s4, s2
	s_delay_alu instid0(SALU_CYCLE_1) | instskip(SKIP_2) | instid1(SALU_CYCLE_1)
	s_sub_i32 s8, s4, s2
	s_load_b64 s[4:5], s[0:1], 0x50
	s_abs_i32 s2, s8
	v_cvt_f32_u32_e32 v1, s2
	s_sub_i32 s7, 0, s2
	s_delay_alu instid0(VALU_DEP_1) | instskip(SKIP_2) | instid1(VALU_DEP_1)
	v_rcp_iflag_f32_e32 v1, v1
	s_waitcnt_depctr 0xfff
	v_mul_f32_e32 v1, 0x4f7ffffe, v1
	v_cvt_u32_f32_e32 v1, v1
	s_delay_alu instid0(VALU_DEP_1) | instskip(NEXT) | instid1(VALU_DEP_1)
	v_readfirstlane_b32 s6, v1
	s_mul_i32 s7, s7, s6
	s_delay_alu instid0(SALU_CYCLE_1) | instskip(NEXT) | instid1(SALU_CYCLE_1)
	s_mul_hi_u32 s7, s6, s7
	s_add_i32 s6, s6, s7
	s_waitcnt lgkmcnt(0)
	s_cmp_eq_u64 s[4:5], 0
	s_mul_hi_u32 s26, s27, s6
	s_cbranch_scc1 .LBB56_3
; %bb.2:
	s_ashr_i32 s23, s22, 31
	s_delay_alu instid0(SALU_CYCLE_1) | instskip(NEXT) | instid1(SALU_CYCLE_1)
	s_lshl_b64 s[6:7], s[22:23], 2
	s_add_u32 s4, s4, s6
	s_addc_u32 s5, s5, s7
	s_load_b32 s31, s[4:5], 0x0
.LBB56_3:
	s_clause 0x1
	s_load_b64 s[20:21], s[0:1], 0x38
	s_load_b128 s[4:7], s[0:1], 0x58
	s_ashr_i32 s28, s22, 31
	s_ashr_i32 s29, s8, 31
	s_lshl_b32 s16, s22, 6
	s_waitcnt lgkmcnt(0)
	s_mov_b32 s7, exec_lo
	v_cmpx_gt_u32_e32 16, v0
	s_cbranch_execz .LBB56_5
; %bb.4:
	s_load_b64 s[8:9], s[0:1], 0x18
	s_mul_i32 s10, s14, s4
	v_lshlrev_b32_e32 v5, 4, v0
	s_ashr_i32 s11, s10, 31
	s_delay_alu instid0(SALU_CYCLE_1) | instskip(SKIP_4) | instid1(SALU_CYCLE_1)
	s_lshl_b64 s[10:11], s[10:11], 2
	s_waitcnt lgkmcnt(0)
	s_add_u32 s4, s8, s10
	s_addc_u32 s10, s9, s11
	s_ashr_i32 s17, s16, 31
	s_lshl_b64 s[8:9], s[16:17], 2
	s_delay_alu instid0(SALU_CYCLE_1)
	s_add_u32 s8, s4, s8
	s_addc_u32 s9, s10, s9
	global_load_b128 v[1:4], v5, s[8:9]
	s_waitcnt vmcnt(0)
	ds_store_b128 v5, v[1:4]
.LBB56_5:
	s_or_b32 exec_lo, exec_lo, s7
	s_add_i32 s4, s15, 31
	s_clause 0x1
	s_load_b128 s[8:11], s[0:1], 0x0
	s_load_b64 s[18:19], s[0:1], 0x10
	s_ashr_i32 s7, s4, 31
	s_mul_i32 s34, s26, s2
	s_lshr_b32 s17, s7, 27
	s_lshl_b32 s7, s12, 4
	s_add_i32 s4, s4, s17
	s_load_b64 s[24:25], s[0:1], 0x28
	s_ashr_i32 s23, s4, 5
	s_clause 0x1
	s_load_b32 s4, s[0:1], 0x98
	s_load_b32 s33, s[0:1], 0x48
	s_add_i32 s17, s7, 16
	s_sub_i32 s27, s27, s34
	s_min_i32 s17, s17, s23
	s_xor_b32 s28, s28, s29
	s_add_i32 s29, s26, 1
	s_sub_i32 s34, s27, s2
	s_cmp_ge_u32 s27, s2
	v_lshrrev_b32_e32 v72, 5, v0
	s_cselect_b32 s26, s29, s26
	s_cselect_b32 s27, s34, s27
	s_add_i32 s29, s26, 1
	s_cmp_ge_u32 s27, s2
	v_dual_mov_b32 v68, 0xff7fffff :: v_dual_add_nc_u32 v69, s7, v72
	v_and_b32_e32 v73, 31, v0
	s_cselect_b32 s2, s29, s26
	s_waitcnt lgkmcnt(0)
	s_xor_b32 s2, s2, s28
	v_ashrrev_i32_e32 v70, 31, v69
	s_sub_i32 s28, s2, s28
	v_cmp_gt_i32_e64 s2, s17, v69
	v_lshlrev_b32_e32 v67, 2, v73
	s_mul_i32 s26, s14, s33
	s_mul_i32 s28, s28, s6
	s_ashr_i32 s27, s26, 31
	s_barrier
	buffer_gl0_inv
	s_and_saveexec_b32 s6, s2
	s_cbranch_execz .LBB56_9
; %bb.6:
	s_load_b64 s[0:1], s[0:1], 0x20
	v_lshl_or_b32 v68, v72, 7, v67
	v_mov_b32_e32 v61, 0
	s_ashr_i32 s29, s28, 31
	v_lshlrev_b32_e32 v49, 4, v73
	s_lshl_b64 s[34:35], s[28:29], 2
	v_add_nc_u32_e32 v76, 0x120, v68
	v_mov_b32_e32 v68, 0xff7fffff
	ds_load_b128 v[1:4], v61
	ds_load_b128 v[5:8], v61 offset:16
	ds_load_b128 v[9:12], v61 offset:32
	ds_load_b128 v[13:16], v61 offset:48
	ds_load_b128 v[17:20], v61 offset:64
	ds_load_b128 v[21:24], v61 offset:80
	ds_load_b128 v[25:28], v61 offset:96
	ds_load_b128 v[29:32], v61 offset:112
	ds_load_b128 v[33:36], v61 offset:128
	ds_load_b128 v[37:40], v61 offset:144
	ds_load_b128 v[41:44], v61 offset:160
	ds_load_b128 v[45:48], v61 offset:176
	v_lshlrev_b32_e32 v65, 5, v72
	v_cmp_neq_f32_e64 vcc_lo, s31, 0
	v_mov_b32_e32 v77, v69
	s_mov_b32 s33, 0
	s_delay_alu instid0(VALU_DEP_3)
	v_add3_u32 v75, s30, v65, v73
	v_lshlrev_b64 v[65:66], 2, v[69:70]
	s_waitcnt lgkmcnt(0)
	s_add_u32 s0, s0, s34
	s_addc_u32 s1, s1, s35
	v_add_co_u32 v71, s0, s0, v49
	ds_load_b128 v[49:52], v61 offset:192
	ds_load_b128 v[53:56], v61 offset:208
	;; [unrolled: 1-line block ×4, first 2 shown]
	v_add_co_ci_u32_e64 v74, null, s1, 0, s0
	s_lshl_b64 s[0:1], s[26:27], 2
	s_sub_i32 s29, 1, s15
	s_add_u32 s0, s20, s0
	s_addc_u32 s1, s21, s1
	v_add_co_u32 v65, s0, s0, v65
	s_delay_alu instid0(VALU_DEP_1)
	v_add_co_ci_u32_e64 v66, s0, s1, v66, s0
	s_mov_b32 s34, s5
.LBB56_7:                               ; =>This Inner Loop Header: Depth=1
	global_load_b32 v80, v[65:66], off
	v_add_nc_u32_e32 v77, 4, v77
	s_delay_alu instid0(VALU_DEP_1) | instskip(NEXT) | instid1(VALU_DEP_1)
	v_cmp_le_i32_e64 s1, s17, v77
	s_or_b32 s33, s1, s33
	s_waitcnt vmcnt(0)
	v_mad_i64_i32 v[78:79], null, v80, s34, 0
	s_delay_alu instid0(VALU_DEP_1) | instskip(NEXT) | instid1(VALU_DEP_1)
	v_lshlrev_b64 v[78:79], 2, v[78:79]
	v_add_co_u32 v110, s0, v71, v78
	s_delay_alu instid0(VALU_DEP_1)
	v_add_co_ci_u32_e64 v111, s0, v74, v79, s0
	s_clause 0x7
	global_load_b128 v[78:81], v[110:111], off offset:512
	global_load_b128 v[82:85], v[110:111], off
	global_load_b128 v[86:89], v[110:111], off offset:1024
	global_load_b128 v[90:93], v[110:111], off offset:1536
	;; [unrolled: 1-line block ×6, first 2 shown]
	v_add_co_u32 v114, s0, 0x1000, v110
	s_delay_alu instid0(VALU_DEP_1) | instskip(SKIP_1) | instid1(VALU_DEP_1)
	v_add_co_ci_u32_e64 v115, s0, 0, v111, s0
	v_add_co_u32 v65, s0, v65, 16
	v_add_co_ci_u32_e64 v66, s0, 0, v66, s0
	global_load_b128 v[110:113], v[114:115], off
	v_cmp_gt_i32_e64 s0, s15, v75
	s_waitcnt vmcnt(8)
	v_dual_mul_f32 v118, v5, v78 :: v_dual_mul_f32 v119, v6, v79
	v_dual_mul_f32 v120, v7, v80 :: v_dual_mul_f32 v121, v8, v81
	global_load_b128 v[78:81], v[114:115], off offset:512
	s_waitcnt vmcnt(8)
	v_dual_fmac_f32 v118, v1, v82 :: v_dual_fmac_f32 v119, v2, v83
	v_dual_fmac_f32 v120, v3, v84 :: v_dual_fmac_f32 v121, v4, v85
	global_load_b128 v[82:85], v[114:115], off offset:1024
	s_waitcnt vmcnt(8)
	v_dual_fmac_f32 v118, v9, v86 :: v_dual_fmac_f32 v119, v10, v87
	v_dual_fmac_f32 v120, v11, v88 :: v_dual_fmac_f32 v121, v12, v89
	;; [unrolled: 4-line block ×5, first 2 shown]
	s_clause 0x1
	global_load_b128 v[98:101], v[114:115], off offset:3072
	global_load_b128 v[114:117], v[114:115], off offset:3584
	s_waitcnt vmcnt(9)
	v_dual_fmac_f32 v118, v25, v102 :: v_dual_fmac_f32 v119, v26, v103
	v_dual_fmac_f32 v120, v27, v104 :: v_dual_fmac_f32 v121, v28, v105
	v_dual_max_f32 v103, v68, v68 :: v_dual_add_nc_u32 v102, s29, v75
	s_waitcnt vmcnt(8)
	s_delay_alu instid0(VALU_DEP_3) | instskip(NEXT) | instid1(VALU_DEP_3)
	v_dual_fmac_f32 v118, v29, v106 :: v_dual_fmac_f32 v119, v30, v107
	v_dual_fmac_f32 v120, v31, v108 :: v_dual_fmac_f32 v121, v32, v109
	s_delay_alu instid0(VALU_DEP_3) | instskip(SKIP_1) | instid1(VALU_DEP_3)
	v_cvt_f32_i32_e32 v102, v102
	s_waitcnt vmcnt(7)
	v_dual_fmac_f32 v118, v33, v110 :: v_dual_fmac_f32 v119, v34, v111
	s_delay_alu instid0(VALU_DEP_3) | instskip(SKIP_1) | instid1(VALU_DEP_2)
	v_dual_fmac_f32 v120, v35, v112 :: v_dual_fmac_f32 v121, v36, v113
	s_waitcnt vmcnt(6)
	v_dual_fmac_f32 v118, v37, v78 :: v_dual_add_nc_u32 v75, 0x80, v75
	s_delay_alu instid0(VALU_DEP_2) | instskip(NEXT) | instid1(VALU_DEP_3)
	v_dual_fmac_f32 v119, v38, v79 :: v_dual_fmac_f32 v120, v39, v80
	v_fmac_f32_e32 v121, v40, v81
	v_mul_f32_e32 v79, s31, v102
	s_waitcnt vmcnt(5)
	s_delay_alu instid0(VALU_DEP_3) | instskip(NEXT) | instid1(VALU_DEP_3)
	v_dual_fmac_f32 v118, v41, v82 :: v_dual_fmac_f32 v119, v42, v83
	v_dual_fmac_f32 v120, v43, v84 :: v_dual_fmac_f32 v121, v44, v85
	s_waitcnt vmcnt(4)
	s_delay_alu instid0(VALU_DEP_2) | instskip(NEXT) | instid1(VALU_DEP_2)
	v_dual_fmac_f32 v118, v45, v86 :: v_dual_fmac_f32 v119, v46, v87
	v_dual_fmac_f32 v120, v47, v88 :: v_dual_fmac_f32 v121, v48, v89
	s_waitcnt vmcnt(3) lgkmcnt(3)
	s_delay_alu instid0(VALU_DEP_2) | instskip(NEXT) | instid1(VALU_DEP_2)
	v_dual_fmac_f32 v118, v49, v90 :: v_dual_fmac_f32 v119, v50, v91
	v_dual_fmac_f32 v120, v51, v92 :: v_dual_fmac_f32 v121, v52, v93
	s_waitcnt vmcnt(2) lgkmcnt(2)
	;; [unrolled: 4-line block ×4, first 2 shown]
	s_delay_alu instid0(VALU_DEP_2) | instskip(NEXT) | instid1(VALU_DEP_2)
	v_dual_fmac_f32 v118, v61, v114 :: v_dual_fmac_f32 v119, v62, v115
	v_dual_fmac_f32 v120, v63, v116 :: v_dual_fmac_f32 v121, v64, v117
	s_delay_alu instid0(VALU_DEP_2) | instskip(NEXT) | instid1(VALU_DEP_1)
	v_add_f32_e32 v78, v118, v119
	v_dual_add_f32 v78, v120, v78 :: v_dual_cndmask_b32 v79, 0, v79
	s_delay_alu instid0(VALU_DEP_1) | instskip(NEXT) | instid1(VALU_DEP_1)
	v_add_f32_e32 v78, v121, v78
	v_fmac_f32_e32 v79, s3, v78
	s_delay_alu instid0(VALU_DEP_1) | instskip(SKIP_1) | instid1(VALU_DEP_2)
	v_max_f32_e32 v78, v103, v79
	v_cndmask_b32_e64 v79, 0, v79, s0
	v_cndmask_b32_e64 v68, v68, v78, s0
	ds_store_b32 v76, v79
	v_add_nc_u32_e32 v76, 0x200, v76
	s_and_not1_b32 exec_lo, exec_lo, s33
	s_cbranch_execnz .LBB56_7
; %bb.8:
	s_or_b32 exec_lo, exec_lo, s33
.LBB56_9:
	s_delay_alu instid0(SALU_CYCLE_1) | instskip(SKIP_2) | instid1(VALU_DEP_2)
	s_or_b32 exec_lo, exec_lo, s6
	v_mbcnt_lo_u32_b32 v1, -1, 0
	v_max_f32_e32 v5, v68, v68
	v_xor_b32_e32 v2, 16, v1
	v_xor_b32_e32 v4, 8, v1
	s_delay_alu instid0(VALU_DEP_2) | instskip(SKIP_1) | instid1(VALU_DEP_3)
	v_cmp_gt_i32_e32 vcc_lo, 32, v2
	v_cndmask_b32_e32 v2, v1, v2, vcc_lo
	v_cmp_gt_i32_e32 vcc_lo, 32, v4
	s_delay_alu instid0(VALU_DEP_2) | instskip(SKIP_4) | instid1(VALU_DEP_1)
	v_lshlrev_b32_e32 v2, 2, v2
	v_cndmask_b32_e32 v4, v1, v4, vcc_lo
	ds_bpermute_b32 v3, v2, v68
	s_waitcnt lgkmcnt(0)
	v_dual_max_f32 v6, v3, v3 :: v_dual_lshlrev_b32 v3, 2, v4
	v_max_f32_e32 v4, v5, v6
	v_xor_b32_e32 v6, 4, v1
	ds_bpermute_b32 v5, v3, v4
	v_cmp_gt_i32_e32 vcc_lo, 32, v6
	v_cndmask_b32_e32 v6, v1, v6, vcc_lo
	s_delay_alu instid0(VALU_DEP_1) | instskip(SKIP_1) | instid1(VALU_DEP_1)
	v_lshlrev_b32_e32 v76, 2, v6
	v_xor_b32_e32 v6, 2, v1
	v_cmp_gt_i32_e32 vcc_lo, 32, v6
	s_waitcnt lgkmcnt(0)
	v_max_f32_e32 v5, v5, v5
	v_cndmask_b32_e32 v6, v1, v6, vcc_lo
	s_delay_alu instid0(VALU_DEP_1)
	v_dual_max_f32 v4, v4, v5 :: v_dual_lshlrev_b32 v75, 2, v6
	v_xor_b32_e32 v6, 1, v1
	ds_bpermute_b32 v5, v76, v4
	v_cmp_gt_i32_e32 vcc_lo, 32, v6
	v_cndmask_b32_e32 v6, v1, v6, vcc_lo
	v_cmp_eq_u32_e32 vcc_lo, 0, v73
	s_waitcnt lgkmcnt(0)
	s_delay_alu instid0(VALU_DEP_2) | instskip(NEXT) | instid1(VALU_DEP_1)
	v_dual_max_f32 v5, v5, v5 :: v_dual_lshlrev_b32 v74, 2, v6
	v_max_f32_e32 v4, v4, v5
	ds_bpermute_b32 v5, v75, v4
	s_waitcnt lgkmcnt(0)
	v_max_f32_e32 v5, v5, v5
	s_delay_alu instid0(VALU_DEP_1)
	v_max_f32_e32 v1, v4, v5
	v_lshlrev_b32_e32 v5, 2, v72
	ds_bpermute_b32 v4, v74, v1
	s_and_saveexec_b32 s0, vcc_lo
	s_cbranch_execz .LBB56_11
; %bb.10:
	s_waitcnt lgkmcnt(0)
	v_dual_max_f32 v4, v4, v4 :: v_dual_max_f32 v1, v1, v1
	s_delay_alu instid0(VALU_DEP_1)
	v_max_f32_e32 v1, v1, v4
	ds_store_b32 v5, v1 offset:256
.LBB56_11:
	s_or_b32 exec_lo, exec_lo, s0
	v_cmp_gt_u32_e64 s0, 4, v73
	v_mov_b32_e32 v1, 0xff7fffff
	s_waitcnt lgkmcnt(0)
	s_barrier
	buffer_gl0_inv
	s_and_saveexec_b32 s1, s0
	s_cbranch_execz .LBB56_13
; %bb.12:
	ds_load_b32 v1, v67 offset:256
.LBB56_13:
	s_or_b32 exec_lo, exec_lo, s1
	s_waitcnt lgkmcnt(0)
	ds_bpermute_b32 v4, v75, v1
	v_max_f32_e32 v1, v1, v1
	s_sub_i32 s1, s17, s7
	v_mov_b32_e32 v6, 0
	s_lshl_b32 s1, s1, 5
	s_delay_alu instid0(SALU_CYCLE_1) | instskip(NEXT) | instid1(SALU_CYCLE_1)
	s_add_i32 s1, s1, s30
	s_min_i32 s1, s1, s15
	s_delay_alu instid0(SALU_CYCLE_1) | instskip(NEXT) | instid1(SALU_CYCLE_1)
	s_sub_i32 s6, s1, s30
	v_cmp_gt_i32_e64 s1, s6, v0
	s_waitcnt lgkmcnt(0)
	v_max_f32_e32 v4, v4, v4
	s_delay_alu instid0(VALU_DEP_1) | instskip(SKIP_3) | instid1(VALU_DEP_1)
	v_max_f32_e32 v1, v1, v4
	ds_bpermute_b32 v4, v74, v1
	s_waitcnt lgkmcnt(0)
	v_max_f32_e32 v4, v4, v4
	v_max_f32_e32 v1, v1, v4
	v_lshl_add_u32 v4, v0, 2, 0x120
	ds_bpermute_b32 v1, v6, v1
	s_and_saveexec_b32 s7, s1
	s_cbranch_execz .LBB56_17
; %bb.14:
	v_lshl_add_u32 v7, v0, 2, 0x120
	v_mov_b32_e32 v6, 0
	v_mov_b32_e32 v8, v0
	s_mov_b32 s29, 0
	.p2align	6
.LBB56_15:                              ; =>This Inner Loop Header: Depth=1
	ds_load_b32 v9, v7
	v_add_nc_u32_e32 v8, 0x80, v8
	s_delay_alu instid0(VALU_DEP_1) | instskip(NEXT) | instid1(VALU_DEP_1)
	v_cmp_le_i32_e64 s3, s6, v8
	s_or_b32 s29, s3, s29
	s_waitcnt lgkmcnt(0)
	v_sub_f32_e32 v9, v9, v1
	s_delay_alu instid0(VALU_DEP_1) | instskip(NEXT) | instid1(VALU_DEP_1)
	v_mul_f32_e32 v9, 0x3fb8aa3b, v9
	v_exp_f32_e32 v9, v9
	ds_store_b32 v7, v9
	v_dual_add_f32 v6, v6, v9 :: v_dual_add_nc_u32 v7, 0x200, v7
	s_and_not1_b32 exec_lo, exec_lo, s29
	s_cbranch_execnz .LBB56_15
; %bb.16:
	s_or_b32 exec_lo, exec_lo, s29
.LBB56_17:
	s_delay_alu instid0(SALU_CYCLE_1)
	s_or_b32 exec_lo, exec_lo, s7
	ds_bpermute_b32 v2, v2, v6
	s_waitcnt lgkmcnt(0)
	v_add_f32_e32 v2, v6, v2
	ds_bpermute_b32 v3, v3, v2
	s_waitcnt lgkmcnt(0)
	v_add_f32_e32 v2, v2, v3
	;; [unrolled: 3-line block ×5, first 2 shown]
	s_and_saveexec_b32 s3, vcc_lo
	s_cbranch_execz .LBB56_19
; %bb.18:
	ds_store_b32 v5, v2 offset:272
.LBB56_19:
	s_or_b32 exec_lo, exec_lo, s3
	s_waitcnt lgkmcnt(0)
	s_barrier
	buffer_gl0_inv
	s_and_saveexec_b32 s3, s0
	s_cbranch_execz .LBB56_21
; %bb.20:
	ds_load_b32 v2, v67 offset:272
.LBB56_21:
	s_or_b32 exec_lo, exec_lo, s3
	s_waitcnt lgkmcnt(0)
	ds_bpermute_b32 v3, v75, v2
	s_waitcnt lgkmcnt(0)
	v_add_f32_e32 v2, v2, v3
	ds_bpermute_b32 v3, v74, v2
	s_waitcnt lgkmcnt(0)
	v_dual_add_f32 v2, v2, v3 :: v_dual_mov_b32 v3, 0
	ds_bpermute_b32 v2, v3, v2
	s_and_saveexec_b32 s0, s1
	s_cbranch_execz .LBB56_24
; %bb.22:
	s_waitcnt lgkmcnt(0)
	v_add_f32_e32 v3, 0x358637bd, v2
	s_mov_b32 s1, 0
	s_delay_alu instid0(VALU_DEP_1) | instskip(SKIP_1) | instid1(VALU_DEP_2)
	v_div_scale_f32 v5, null, v3, v3, 1.0
	v_div_scale_f32 v8, vcc_lo, 1.0, v3, 1.0
	v_rcp_f32_e32 v6, v5
	s_waitcnt_depctr 0xfff
	v_fma_f32 v7, -v5, v6, 1.0
	s_delay_alu instid0(VALU_DEP_1) | instskip(NEXT) | instid1(VALU_DEP_1)
	v_fmac_f32_e32 v6, v7, v6
	v_mul_f32_e32 v7, v8, v6
	s_delay_alu instid0(VALU_DEP_1) | instskip(NEXT) | instid1(VALU_DEP_1)
	v_fma_f32 v9, -v5, v7, v8
	v_fmac_f32_e32 v7, v9, v6
	s_delay_alu instid0(VALU_DEP_1) | instskip(NEXT) | instid1(VALU_DEP_1)
	v_fma_f32 v5, -v5, v7, v8
	v_div_fmas_f32 v5, v5, v6, v7
	s_delay_alu instid0(VALU_DEP_1)
	v_div_fixup_f32 v3, v5, v3, 1.0
	v_mov_b32_e32 v5, v0
.LBB56_23:                              ; =>This Inner Loop Header: Depth=1
	ds_load_b32 v6, v4
	s_waitcnt lgkmcnt(0)
	v_dual_mul_f32 v6, v3, v6 :: v_dual_add_nc_u32 v5, 0x80, v5
	s_delay_alu instid0(VALU_DEP_1) | instskip(SKIP_3) | instid1(SALU_CYCLE_1)
	v_cmp_le_i32_e32 vcc_lo, s6, v5
	ds_store_b32 v4, v6
	v_add_nc_u32_e32 v4, 0x200, v4
	s_or_b32 s1, vcc_lo, s1
	s_and_not1_b32 exec_lo, exec_lo, s1
	s_cbranch_execnz .LBB56_23
.LBB56_24:
	s_or_b32 exec_lo, exec_lo, s0
	s_mul_i32 s0, s4, s14
	s_waitcnt lgkmcnt(0)
	s_mul_i32 s6, s0, s13
	s_mov_b32 s0, exec_lo
	s_barrier
	buffer_gl0_inv
	v_cmpx_eq_u32_e32 0, v0
	s_cbranch_execz .LBB56_26
; %bb.25:
	s_ashr_i32 s7, s6, 31
	s_mul_i32 s36, s4, s22
	s_lshl_b64 s[34:35], s[6:7], 2
	v_mov_b32_e32 v3, 0
	s_add_u32 s1, s10, s34
	s_addc_u32 s3, s11, s35
	s_ashr_i32 s37, s36, 31
	s_delay_alu instid0(SALU_CYCLE_1) | instskip(NEXT) | instid1(SALU_CYCLE_1)
	s_lshl_b64 s[10:11], s[36:37], 2
	s_add_u32 s1, s1, s10
	s_addc_u32 s3, s3, s11
	s_ashr_i32 s13, s12, 31
	s_delay_alu instid0(SALU_CYCLE_1) | instskip(NEXT) | instid1(SALU_CYCLE_1)
	s_lshl_b64 s[36:37], s[12:13], 2
	s_add_u32 s38, s1, s36
	s_addc_u32 s39, s3, s37
	s_add_u32 s1, s8, s34
	s_addc_u32 s3, s9, s35
	;; [unrolled: 2-line block ×4, first 2 shown]
	s_clause 0x1
	global_store_b32 v3, v1, s[38:39]
	global_store_b32 v3, v2, s[8:9]
.LBB56_26:
	s_or_b32 exec_lo, exec_lo, s0
	v_dual_mov_b32 v91, 0 :: v_dual_mov_b32 v92, 0
	v_dual_mov_b32 v90, 0 :: v_dual_and_b32 v77, 7, v0
	v_dual_mov_b32 v93, 0 :: v_dual_mov_b32 v88, 0
	v_dual_mov_b32 v89, 0 :: v_dual_mov_b32 v86, 0
	;; [unrolled: 1-line block ×6, first 2 shown]
	v_mov_b32_e32 v79, 0
	s_and_saveexec_b32 s1, s2
	s_cbranch_execz .LBB56_62
; %bb.27:
	v_dual_mov_b32 v78, 0 :: v_dual_lshlrev_b32 v1, 2, v0
	v_dual_mov_b32 v79, 0 :: v_dual_lshlrev_b32 v2, 4, v77
	v_lshl_add_u32 v9, v72, 5, s30
	s_delay_alu instid0(VALU_DEP_3) | instskip(SKIP_4) | instid1(VALU_DEP_2)
	v_dual_mov_b32 v80, 0 :: v_dual_and_b32 v3, 0x7c, v1
	v_dual_mov_b32 v82, 0 :: v_dual_and_b32 v1, 28, v1
	s_ashr_i32 s29, s28, 31
	v_lshl_or_b32 v12, v72, 7, v2
	s_lshl_b64 s[2:3], s[28:29], 2
	v_add3_u32 v94, v9, v1, 3
	v_lshlrev_b64 v[1:2], 2, v[69:70]
	s_add_u32 s2, s24, s2
	s_addc_u32 s3, s25, s3
	s_lshl_b64 s[8:9], s[26:27], 2
	s_add_i32 s7, s23, -1
	v_or_b32_e32 v4, 0x400, v3
	v_or_b32_e32 v5, 0x480, v3
	;; [unrolled: 1-line block ×8, first 2 shown]
	s_add_u32 s0, s20, s8
	s_addc_u32 s8, s21, s9
	v_add_co_u32 v70, vcc_lo, s0, v1
	v_dual_mov_b32 v84, 0 :: v_dual_add_nc_u32 v95, 0x120, v12
	v_add_co_ci_u32_e32 v71, vcc_lo, s8, v2, vcc_lo
	v_dual_mov_b32 v81, 0 :: v_dual_lshlrev_b32 v96, 2, v3
	v_dual_mov_b32 v86, 0 :: v_dual_lshlrev_b32 v97, 2, v4
	;; [unrolled: 1-line block ×9, first 2 shown]
	v_mov_b32_e32 v93, 0
	v_mov_b32_e32 v91, 0
	s_mov_b32 s8, s5
	s_mov_b32 s5, 0
	s_branch .LBB56_29
.LBB56_28:                              ;   in Loop: Header=BB56_29 Depth=1
	s_or_b32 exec_lo, exec_lo, s0
	s_waitcnt vmcnt(9) lgkmcnt(0)
	v_mul_f32_e32 v30, v2, v30
	s_waitcnt vmcnt(5)
	v_mul_f32_e32 v46, v2, v46
	v_mul_f32_e32 v22, v2, v22
	s_waitcnt vmcnt(3)
	v_mul_f32_e32 v58, v2, v58
	v_mul_f32_e32 v10, v2, v10
	v_fmac_f32_e32 v30, v1, v29
	v_fmac_f32_e32 v46, v1, v45
	;; [unrolled: 1-line block ×3, first 2 shown]
	s_waitcnt vmcnt(1)
	v_dual_mul_f32 v66, v2, v66 :: v_dual_add_nc_u32 v69, 4, v69
	v_fmac_f32_e32 v30, v3, v31
	v_fmac_f32_e32 v46, v3, v47
	;; [unrolled: 1-line block ×3, first 2 shown]
	v_mul_f32_e32 v6, v2, v6
	v_fmac_f32_e32 v10, v1, v9
	v_fmac_f32_e32 v30, v4, v32
	;; [unrolled: 1-line block ×5, first 2 shown]
	v_mul_f32_e32 v38, v2, v38
	v_dual_fmac_f32 v22, v4, v24 :: v_dual_add_f32 v87, v87, v30
	s_delay_alu instid0(VALU_DEP_4) | instskip(SKIP_2) | instid1(VALU_DEP_4)
	v_add_f32_e32 v83, v83, v46
	v_fmac_f32_e32 v58, v3, v59
	v_fmac_f32_e32 v6, v1, v5
	v_dual_add_f32 v89, v89, v22 :: v_dual_fmac_f32 v10, v3, v11
	v_dual_mul_f32 v62, v2, v62 :: v_dual_add_nc_u32 v95, 0x200, v95
	v_mul_f32_e32 v50, v2, v50
	v_mul_f32_e32 v42, v2, v42
	v_fmac_f32_e32 v58, v4, v60
	v_fmac_f32_e32 v66, v3, v67
	v_mul_f32_e32 v34, v2, v34
	v_fmac_f32_e32 v38, v1, v37
	v_mul_f32_e32 v26, v2, v26
	v_add_f32_e32 v81, v81, v58
	v_mul_f32_e32 v18, v2, v18
	v_mul_f32_e32 v14, v2, v14
	s_waitcnt vmcnt(0)
	v_mul_f32_e32 v2, v2, v54
	v_fmac_f32_e32 v6, v3, v7
	v_fmac_f32_e32 v10, v4, v12
	;; [unrolled: 1-line block ×5, first 2 shown]
	s_delay_alu instid0(VALU_DEP_4) | instskip(NEXT) | instid1(VALU_DEP_3)
	v_dual_fmac_f32 v38, v3, v39 :: v_dual_add_f32 v93, v93, v10
	v_dual_fmac_f32 v62, v1, v61 :: v_dual_add_f32 v79, v79, v66
	v_fmac_f32_e32 v26, v1, v25
	v_fmac_f32_e32 v18, v1, v17
	;; [unrolled: 1-line block ×8, first 2 shown]
	s_delay_alu instid0(VALU_DEP_4) | instskip(SKIP_2) | instid1(VALU_DEP_3)
	v_dual_fmac_f32 v38, v4, v40 :: v_dual_add_f32 v91, v91, v6
	v_fmac_f32_e32 v62, v3, v63
	v_fmac_f32_e32 v50, v3, v51
	v_dual_fmac_f32 v26, v3, v27 :: v_dual_add_f32 v85, v85, v38
	v_fmac_f32_e32 v18, v3, v19
	v_fmac_f32_e32 v14, v3, v15
	v_fmac_f32_e32 v2, v3, v55
	v_fmac_f32_e32 v62, v4, v64
	v_fmac_f32_e32 v50, v4, v52
	v_fmac_f32_e32 v42, v4, v44
	v_fmac_f32_e32 v34, v4, v36
	v_fmac_f32_e32 v26, v4, v28
	v_fmac_f32_e32 v18, v4, v20
	v_fmac_f32_e32 v14, v4, v16
	v_fmac_f32_e32 v2, v4, v56
	v_cmp_le_i32_e32 vcc_lo, s17, v69
	v_add_co_u32 v70, s0, v70, 16
	v_add_f32_e32 v80, v80, v62
	v_add_f32_e32 v82, v82, v50
	;; [unrolled: 1-line block ×8, first 2 shown]
	v_add_nc_u32_e32 v94, 0x80, v94
	v_add_co_ci_u32_e64 v71, s0, 0, v71, s0
	s_or_b32 s5, vcc_lo, s5
	s_delay_alu instid0(SALU_CYCLE_1)
	s_and_not1_b32 exec_lo, exec_lo, s5
	s_cbranch_execz .LBB56_61
.LBB56_29:                              ; =>This Inner Loop Header: Depth=1
	global_load_b32 v3, v[70:71], off
	v_add_nc_u32_e32 v105, -3, v94
	v_add_nc_u32_e32 v107, -2, v94
	;; [unrolled: 1-line block ×3, first 2 shown]
	s_waitcnt vmcnt(0)
	v_mad_i64_i32 v[1:2], null, v3, s8, 0
	s_delay_alu instid0(VALU_DEP_1) | instskip(NEXT) | instid1(VALU_DEP_1)
	v_lshlrev_b64 v[1:2], 2, v[1:2]
	v_add_co_u32 v53, vcc_lo, s2, v1
	s_delay_alu instid0(VALU_DEP_2)
	v_add_co_ci_u32_e32 v54, vcc_lo, s3, v2, vcc_lo
	ds_load_b128 v[1:4], v95
	v_add_co_u32 v33, vcc_lo, v53, v96
	v_add_co_ci_u32_e32 v34, vcc_lo, 0, v54, vcc_lo
	v_cmp_eq_u32_e32 vcc_lo, s7, v69
	global_load_b128 v[5:8], v[33:34], off
	s_and_saveexec_b32 s9, vcc_lo
	s_cbranch_execnz .LBB56_54
; %bb.30:                               ;   in Loop: Header=BB56_29 Depth=1
	s_or_b32 exec_lo, exec_lo, s9
	global_load_b128 v[9:12], v[33:34], off offset:512
	s_and_saveexec_b32 s9, vcc_lo
	s_cbranch_execnz .LBB56_55
.LBB56_31:                              ;   in Loop: Header=BB56_29 Depth=1
	s_or_b32 exec_lo, exec_lo, s9
	global_load_b128 v[13:16], v[33:34], off offset:1024
	s_and_saveexec_b32 s9, vcc_lo
	s_cbranch_execnz .LBB56_56
.LBB56_32:                              ;   in Loop: Header=BB56_29 Depth=1
	s_or_b32 exec_lo, exec_lo, s9
	global_load_b128 v[17:20], v[33:34], off offset:1536
	s_and_saveexec_b32 s9, vcc_lo
	s_cbranch_execnz .LBB56_57
.LBB56_33:                              ;   in Loop: Header=BB56_29 Depth=1
	s_or_b32 exec_lo, exec_lo, s9
	global_load_b128 v[21:24], v[33:34], off offset:2048
	s_and_saveexec_b32 s9, vcc_lo
	s_cbranch_execnz .LBB56_58
.LBB56_34:                              ;   in Loop: Header=BB56_29 Depth=1
	s_or_b32 exec_lo, exec_lo, s9
	global_load_b128 v[25:28], v[33:34], off offset:2560
	s_and_saveexec_b32 s9, vcc_lo
	s_cbranch_execnz .LBB56_59
.LBB56_35:                              ;   in Loop: Header=BB56_29 Depth=1
	s_or_b32 exec_lo, exec_lo, s9
	global_load_b128 v[29:32], v[33:34], off offset:3072
	s_and_saveexec_b32 s9, vcc_lo
	s_cbranch_execnz .LBB56_60
.LBB56_36:                              ;   in Loop: Header=BB56_29 Depth=1
	s_or_b32 exec_lo, exec_lo, s9
	global_load_b128 v[33:36], v[33:34], off offset:3584
	s_and_saveexec_b32 s9, vcc_lo
	s_cbranch_execz .LBB56_38
.LBB56_37:                              ;   in Loop: Header=BB56_29 Depth=1
	v_cmp_gt_i32_e64 s0, s15, v105
	s_waitcnt vmcnt(0)
	s_delay_alu instid0(VALU_DEP_1) | instskip(SKIP_1) | instid1(VALU_DEP_1)
	v_cndmask_b32_e64 v33, 0, v33, s0
	v_cmp_gt_i32_e64 s0, s15, v107
	v_cndmask_b32_e64 v34, 0, v34, s0
	v_cmp_gt_i32_e64 s0, s15, v106
	s_delay_alu instid0(VALU_DEP_1) | instskip(SKIP_1) | instid1(VALU_DEP_1)
	v_cndmask_b32_e64 v35, 0, v35, s0
	v_cmp_gt_i32_e64 s0, s15, v94
	v_cndmask_b32_e64 v36, 0, v36, s0
.LBB56_38:                              ;   in Loop: Header=BB56_29 Depth=1
	s_or_b32 exec_lo, exec_lo, s9
	v_add_co_u32 v37, s0, v53, v97
	s_delay_alu instid0(VALU_DEP_1)
	v_add_co_ci_u32_e64 v38, s0, 0, v54, s0
	global_load_b128 v[37:40], v[37:38], off
	s_and_saveexec_b32 s9, vcc_lo
	s_cbranch_execz .LBB56_40
; %bb.39:                               ;   in Loop: Header=BB56_29 Depth=1
	v_cmp_gt_i32_e64 s0, s15, v105
	s_waitcnt vmcnt(0)
	s_delay_alu instid0(VALU_DEP_1) | instskip(SKIP_1) | instid1(VALU_DEP_1)
	v_cndmask_b32_e64 v37, 0, v37, s0
	v_cmp_gt_i32_e64 s0, s15, v107
	v_cndmask_b32_e64 v38, 0, v38, s0
	v_cmp_gt_i32_e64 s0, s15, v106
	s_delay_alu instid0(VALU_DEP_1) | instskip(SKIP_1) | instid1(VALU_DEP_1)
	v_cndmask_b32_e64 v39, 0, v39, s0
	v_cmp_gt_i32_e64 s0, s15, v94
	v_cndmask_b32_e64 v40, 0, v40, s0
.LBB56_40:                              ;   in Loop: Header=BB56_29 Depth=1
	s_or_b32 exec_lo, exec_lo, s9
	v_add_co_u32 v41, s0, v53, v98
	s_delay_alu instid0(VALU_DEP_1)
	v_add_co_ci_u32_e64 v42, s0, 0, v54, s0
	global_load_b128 v[41:44], v[41:42], off
	s_and_saveexec_b32 s9, vcc_lo
	s_cbranch_execz .LBB56_42
; %bb.41:                               ;   in Loop: Header=BB56_29 Depth=1
	v_cmp_gt_i32_e64 s0, s15, v105
	s_waitcnt vmcnt(0)
	s_delay_alu instid0(VALU_DEP_1) | instskip(SKIP_1) | instid1(VALU_DEP_1)
	v_cndmask_b32_e64 v41, 0, v41, s0
	v_cmp_gt_i32_e64 s0, s15, v107
	v_cndmask_b32_e64 v42, 0, v42, s0
	v_cmp_gt_i32_e64 s0, s15, v106
	s_delay_alu instid0(VALU_DEP_1) | instskip(SKIP_1) | instid1(VALU_DEP_1)
	v_cndmask_b32_e64 v43, 0, v43, s0
	v_cmp_gt_i32_e64 s0, s15, v94
	v_cndmask_b32_e64 v44, 0, v44, s0
.LBB56_42:                              ;   in Loop: Header=BB56_29 Depth=1
	;; [unrolled: 20-line block ×7, first 2 shown]
	s_or_b32 exec_lo, exec_lo, s9
	v_add_co_u32 v53, s0, v53, v104
	s_delay_alu instid0(VALU_DEP_1)
	v_add_co_ci_u32_e64 v54, s0, 0, v54, s0
	global_load_b128 v[53:56], v[53:54], off
	s_and_saveexec_b32 s0, vcc_lo
	s_cbranch_execz .LBB56_28
; %bb.53:                               ;   in Loop: Header=BB56_29 Depth=1
	v_cmp_gt_i32_e32 vcc_lo, s15, v105
	s_waitcnt vmcnt(0)
	v_cndmask_b32_e32 v53, 0, v53, vcc_lo
	v_cmp_gt_i32_e32 vcc_lo, s15, v107
	v_cndmask_b32_e32 v54, 0, v54, vcc_lo
	v_cmp_gt_i32_e32 vcc_lo, s15, v106
	v_cndmask_b32_e32 v55, 0, v55, vcc_lo
	v_cmp_gt_i32_e32 vcc_lo, s15, v94
	v_cndmask_b32_e32 v56, 0, v56, vcc_lo
	s_branch .LBB56_28
.LBB56_54:                              ;   in Loop: Header=BB56_29 Depth=1
	v_cmp_gt_i32_e64 s0, s15, v105
	s_waitcnt vmcnt(0)
	s_delay_alu instid0(VALU_DEP_1) | instskip(SKIP_1) | instid1(VALU_DEP_1)
	v_cndmask_b32_e64 v5, 0, v5, s0
	v_cmp_gt_i32_e64 s0, s15, v107
	v_cndmask_b32_e64 v6, 0, v6, s0
	v_cmp_gt_i32_e64 s0, s15, v106
	s_delay_alu instid0(VALU_DEP_1) | instskip(SKIP_1) | instid1(VALU_DEP_1)
	v_cndmask_b32_e64 v7, 0, v7, s0
	v_cmp_gt_i32_e64 s0, s15, v94
	v_cndmask_b32_e64 v8, 0, v8, s0
	s_or_b32 exec_lo, exec_lo, s9
	global_load_b128 v[9:12], v[33:34], off offset:512
	s_and_saveexec_b32 s9, vcc_lo
	s_cbranch_execz .LBB56_31
.LBB56_55:                              ;   in Loop: Header=BB56_29 Depth=1
	v_cmp_gt_i32_e64 s0, s15, v105
	s_waitcnt vmcnt(0)
	s_delay_alu instid0(VALU_DEP_1) | instskip(SKIP_1) | instid1(VALU_DEP_1)
	v_cndmask_b32_e64 v9, 0, v9, s0
	v_cmp_gt_i32_e64 s0, s15, v107
	v_cndmask_b32_e64 v10, 0, v10, s0
	v_cmp_gt_i32_e64 s0, s15, v106
	s_delay_alu instid0(VALU_DEP_1) | instskip(SKIP_1) | instid1(VALU_DEP_1)
	v_cndmask_b32_e64 v11, 0, v11, s0
	v_cmp_gt_i32_e64 s0, s15, v94
	v_cndmask_b32_e64 v12, 0, v12, s0
	s_or_b32 exec_lo, exec_lo, s9
	global_load_b128 v[13:16], v[33:34], off offset:1024
	s_and_saveexec_b32 s9, vcc_lo
	s_cbranch_execz .LBB56_32
.LBB56_56:                              ;   in Loop: Header=BB56_29 Depth=1
	v_cmp_gt_i32_e64 s0, s15, v105
	s_waitcnt vmcnt(0)
	s_delay_alu instid0(VALU_DEP_1) | instskip(SKIP_1) | instid1(VALU_DEP_1)
	v_cndmask_b32_e64 v13, 0, v13, s0
	v_cmp_gt_i32_e64 s0, s15, v107
	v_cndmask_b32_e64 v14, 0, v14, s0
	v_cmp_gt_i32_e64 s0, s15, v106
	s_delay_alu instid0(VALU_DEP_1) | instskip(SKIP_1) | instid1(VALU_DEP_1)
	v_cndmask_b32_e64 v15, 0, v15, s0
	v_cmp_gt_i32_e64 s0, s15, v94
	v_cndmask_b32_e64 v16, 0, v16, s0
	s_or_b32 exec_lo, exec_lo, s9
	global_load_b128 v[17:20], v[33:34], off offset:1536
	s_and_saveexec_b32 s9, vcc_lo
	s_cbranch_execz .LBB56_33
.LBB56_57:                              ;   in Loop: Header=BB56_29 Depth=1
	v_cmp_gt_i32_e64 s0, s15, v105
	s_waitcnt vmcnt(0)
	s_delay_alu instid0(VALU_DEP_1) | instskip(SKIP_1) | instid1(VALU_DEP_1)
	v_cndmask_b32_e64 v17, 0, v17, s0
	v_cmp_gt_i32_e64 s0, s15, v107
	v_cndmask_b32_e64 v18, 0, v18, s0
	v_cmp_gt_i32_e64 s0, s15, v106
	s_delay_alu instid0(VALU_DEP_1) | instskip(SKIP_1) | instid1(VALU_DEP_1)
	v_cndmask_b32_e64 v19, 0, v19, s0
	v_cmp_gt_i32_e64 s0, s15, v94
	v_cndmask_b32_e64 v20, 0, v20, s0
	s_or_b32 exec_lo, exec_lo, s9
	global_load_b128 v[21:24], v[33:34], off offset:2048
	s_and_saveexec_b32 s9, vcc_lo
	s_cbranch_execz .LBB56_34
.LBB56_58:                              ;   in Loop: Header=BB56_29 Depth=1
	v_cmp_gt_i32_e64 s0, s15, v105
	s_waitcnt vmcnt(0)
	s_delay_alu instid0(VALU_DEP_1) | instskip(SKIP_1) | instid1(VALU_DEP_1)
	v_cndmask_b32_e64 v21, 0, v21, s0
	v_cmp_gt_i32_e64 s0, s15, v107
	v_cndmask_b32_e64 v22, 0, v22, s0
	v_cmp_gt_i32_e64 s0, s15, v106
	s_delay_alu instid0(VALU_DEP_1) | instskip(SKIP_1) | instid1(VALU_DEP_1)
	v_cndmask_b32_e64 v23, 0, v23, s0
	v_cmp_gt_i32_e64 s0, s15, v94
	v_cndmask_b32_e64 v24, 0, v24, s0
	s_or_b32 exec_lo, exec_lo, s9
	global_load_b128 v[25:28], v[33:34], off offset:2560
	s_and_saveexec_b32 s9, vcc_lo
	s_cbranch_execz .LBB56_35
.LBB56_59:                              ;   in Loop: Header=BB56_29 Depth=1
	v_cmp_gt_i32_e64 s0, s15, v105
	s_waitcnt vmcnt(0)
	s_delay_alu instid0(VALU_DEP_1) | instskip(SKIP_1) | instid1(VALU_DEP_1)
	v_cndmask_b32_e64 v25, 0, v25, s0
	v_cmp_gt_i32_e64 s0, s15, v107
	v_cndmask_b32_e64 v26, 0, v26, s0
	v_cmp_gt_i32_e64 s0, s15, v106
	s_delay_alu instid0(VALU_DEP_1) | instskip(SKIP_1) | instid1(VALU_DEP_1)
	v_cndmask_b32_e64 v27, 0, v27, s0
	v_cmp_gt_i32_e64 s0, s15, v94
	v_cndmask_b32_e64 v28, 0, v28, s0
	s_or_b32 exec_lo, exec_lo, s9
	global_load_b128 v[29:32], v[33:34], off offset:3072
	s_and_saveexec_b32 s9, vcc_lo
	s_cbranch_execz .LBB56_36
.LBB56_60:                              ;   in Loop: Header=BB56_29 Depth=1
	v_cmp_gt_i32_e64 s0, s15, v105
	s_waitcnt vmcnt(0)
	s_delay_alu instid0(VALU_DEP_1) | instskip(SKIP_1) | instid1(VALU_DEP_1)
	v_cndmask_b32_e64 v29, 0, v29, s0
	v_cmp_gt_i32_e64 s0, s15, v107
	v_cndmask_b32_e64 v30, 0, v30, s0
	v_cmp_gt_i32_e64 s0, s15, v106
	s_delay_alu instid0(VALU_DEP_1) | instskip(SKIP_1) | instid1(VALU_DEP_1)
	v_cndmask_b32_e64 v31, 0, v31, s0
	v_cmp_gt_i32_e64 s0, s15, v94
	v_cndmask_b32_e64 v32, 0, v32, s0
	s_or_b32 exec_lo, exec_lo, s9
	global_load_b128 v[33:36], v[33:34], off offset:3584
	s_and_saveexec_b32 s9, vcc_lo
	s_cbranch_execnz .LBB56_37
	s_branch .LBB56_38
.LBB56_61:
	s_or_b32 exec_lo, exec_lo, s5
.LBB56_62:
	s_delay_alu instid0(SALU_CYCLE_1)
	s_or_b32 exec_lo, exec_lo, s1
	ds_bpermute_b32 v3, v76, v92
	ds_bpermute_b32 v4, v76, v90
	;; [unrolled: 1-line block ×16, first 2 shown]
	s_mov_b32 s0, exec_lo
	s_waitcnt lgkmcnt(0)
	s_waitcnt_vscnt null, 0x0
	s_barrier
	buffer_gl0_inv
	v_dual_add_f32 v3, v92, v3 :: v_dual_add_f32 v4, v90, v4
	v_dual_add_f32 v5, v89, v5 :: v_dual_add_f32 v6, v88, v6
	;; [unrolled: 1-line block ×3, first 2 shown]
	ds_bpermute_b32 v19, v75, v3
	ds_bpermute_b32 v20, v75, v4
	;; [unrolled: 1-line block ×4, first 2 shown]
	v_dual_add_f32 v7, v87, v7 :: v_dual_add_f32 v8, v86, v8
	v_dual_add_f32 v9, v85, v9 :: v_dual_add_f32 v10, v84, v10
	;; [unrolled: 1-line block ×5, first 2 shown]
	ds_bpermute_b32 v17, v75, v1
	ds_bpermute_b32 v18, v75, v2
	;; [unrolled: 1-line block ×8, first 2 shown]
	s_waitcnt lgkmcnt(10)
	v_dual_add_f32 v3, v3, v19 :: v_dual_add_f32 v4, v4, v20
	s_waitcnt lgkmcnt(8)
	v_dual_add_f32 v5, v5, v21 :: v_dual_add_f32 v6, v6, v22
	ds_bpermute_b32 v19, v75, v13
	ds_bpermute_b32 v20, v75, v14
	;; [unrolled: 1-line block ×7, first 2 shown]
	s_waitcnt lgkmcnt(13)
	v_dual_add_f32 v1, v1, v17 :: v_dual_add_f32 v2, v2, v18
	s_waitcnt lgkmcnt(11)
	v_dual_add_f32 v7, v7, v23 :: v_dual_add_f32 v8, v8, v24
	;; [unrolled: 2-line block ×4, first 2 shown]
	ds_bpermute_b32 v17, v74, v1
	ds_bpermute_b32 v18, v74, v2
	;; [unrolled: 1-line block ×4, first 2 shown]
	s_waitcnt lgkmcnt(9)
	v_dual_add_f32 v13, v13, v19 :: v_dual_add_f32 v14, v14, v20
	s_waitcnt lgkmcnt(7)
	v_dual_add_f32 v15, v15, v21 :: v_dual_add_f32 v16, v16, v22
	ds_bpermute_b32 v25, v74, v8
	ds_bpermute_b32 v26, v74, v9
	;; [unrolled: 1-line block ×9, first 2 shown]
	s_waitcnt lgkmcnt(14)
	v_dual_add_f32 v3, v3, v29 :: v_dual_add_f32 v4, v4, v30
	s_waitcnt lgkmcnt(12)
	v_dual_add_f32 v6, v6, v31 :: v_dual_add_f32 v1, v1, v17
	;; [unrolled: 2-line block ×3, first 2 shown]
	s_waitcnt lgkmcnt(9)
	v_add_f32_e32 v7, v7, v24
	v_lshrrev_b32_e32 v17, 3, v73
	v_lshl_add_u32 v18, v72, 8, 0x120
	s_waitcnt lgkmcnt(7)
	v_dual_add_f32 v8, v8, v25 :: v_dual_add_f32 v9, v9, v26
	s_waitcnt lgkmcnt(5)
	v_dual_add_f32 v10, v10, v27 :: v_dual_add_f32 v11, v11, v28
	;; [unrolled: 2-line block ×3, first 2 shown]
	s_waitcnt lgkmcnt(2)
	v_dual_add_f32 v14, v14, v21 :: v_dual_and_b32 v19, 0x3c7, v0
	s_waitcnt lgkmcnt(0)
	v_dual_add_f32 v15, v15, v22 :: v_dual_add_f32 v16, v16, v32
	s_delay_alu instid0(VALU_DEP_2)
	v_cmpx_eq_u32_e32 64, v19
	s_cbranch_execz .LBB56_64
; %bb.63:
	v_lshlrev_b32_e32 v19, 2, v17
	s_delay_alu instid0(VALU_DEP_1)
	v_add3_u32 v19, v18, v19, 0xfffffe00
	ds_store_2addr_b32 v19, v1, v2 offset1:4
	ds_store_2addr_b32 v19, v3, v4 offset0:8 offset1:12
	ds_store_2addr_b32 v19, v5, v6 offset0:16 offset1:20
	;; [unrolled: 1-line block ×7, first 2 shown]
.LBB56_64:
	s_or_b32 exec_lo, exec_lo, s0
	v_cmp_eq_u32_e32 vcc_lo, 0, v77
	s_mov_b32 s1, exec_lo
	s_waitcnt lgkmcnt(0)
	s_barrier
	buffer_gl0_inv
	v_cmpx_gt_u32_e32 64, v0
	s_cbranch_execz .LBB56_83
; %bb.65:
	s_and_saveexec_b32 s0, vcc_lo
	s_cbranch_execnz .LBB56_107
; %bb.66:
	s_or_b32 exec_lo, exec_lo, s0
	s_and_saveexec_b32 s0, vcc_lo
	s_cbranch_execnz .LBB56_108
.LBB56_67:
	s_or_b32 exec_lo, exec_lo, s0
	s_and_saveexec_b32 s0, vcc_lo
	s_cbranch_execnz .LBB56_109
.LBB56_68:
	s_or_b32 exec_lo, exec_lo, s0
	s_and_saveexec_b32 s0, vcc_lo
	s_cbranch_execnz .LBB56_110
.LBB56_69:
	s_or_b32 exec_lo, exec_lo, s0
	s_and_saveexec_b32 s0, vcc_lo
	s_cbranch_execnz .LBB56_111
.LBB56_70:
	s_or_b32 exec_lo, exec_lo, s0
	s_and_saveexec_b32 s0, vcc_lo
	s_cbranch_execnz .LBB56_112
.LBB56_71:
	s_or_b32 exec_lo, exec_lo, s0
	s_and_saveexec_b32 s0, vcc_lo
	s_cbranch_execnz .LBB56_113
.LBB56_72:
	s_or_b32 exec_lo, exec_lo, s0
	s_and_saveexec_b32 s0, vcc_lo
	s_cbranch_execnz .LBB56_114
.LBB56_73:
	s_or_b32 exec_lo, exec_lo, s0
	s_and_saveexec_b32 s0, vcc_lo
	s_cbranch_execnz .LBB56_115
.LBB56_74:
	s_or_b32 exec_lo, exec_lo, s0
	s_and_saveexec_b32 s0, vcc_lo
	s_cbranch_execnz .LBB56_116
.LBB56_75:
	s_or_b32 exec_lo, exec_lo, s0
	s_and_saveexec_b32 s0, vcc_lo
	s_cbranch_execnz .LBB56_117
.LBB56_76:
	s_or_b32 exec_lo, exec_lo, s0
	s_and_saveexec_b32 s0, vcc_lo
	s_cbranch_execnz .LBB56_118
.LBB56_77:
	s_or_b32 exec_lo, exec_lo, s0
	s_and_saveexec_b32 s0, vcc_lo
	s_cbranch_execnz .LBB56_119
.LBB56_78:
	s_or_b32 exec_lo, exec_lo, s0
	s_and_saveexec_b32 s0, vcc_lo
	s_cbranch_execnz .LBB56_120
.LBB56_79:
	s_or_b32 exec_lo, exec_lo, s0
	s_and_saveexec_b32 s0, vcc_lo
	s_cbranch_execnz .LBB56_121
.LBB56_80:
	s_or_b32 exec_lo, exec_lo, s0
	s_and_saveexec_b32 s0, vcc_lo
	s_cbranch_execz .LBB56_82
.LBB56_81:
	v_lshl_add_u32 v19, v17, 2, v18
	ds_load_b32 v19, v19 offset:240
	s_waitcnt lgkmcnt(0)
	v_add_f32_e32 v16, v16, v19
.LBB56_82:
	s_or_b32 exec_lo, exec_lo, s0
.LBB56_83:
	s_delay_alu instid0(SALU_CYCLE_1)
	s_or_b32 exec_lo, exec_lo, s1
	v_and_b32_e32 v19, 0x3e7, v0
	s_mov_b32 s1, exec_lo
	s_barrier
	buffer_gl0_inv
	v_cmpx_eq_u32_e32 32, v19
	s_cbranch_execz .LBB56_85
; %bb.84:
	v_lshl_add_u32 v20, v17, 2, 0x120
	ds_store_2addr_b32 v20, v1, v2 offset1:4
	ds_store_2addr_b32 v20, v3, v4 offset0:8 offset1:12
	ds_store_2addr_b32 v20, v5, v6 offset0:16 offset1:20
	;; [unrolled: 1-line block ×7, first 2 shown]
.LBB56_85:
	s_or_b32 exec_lo, exec_lo, s1
	s_delay_alu instid0(SALU_CYCLE_1)
	s_mov_b32 s1, exec_lo
	s_waitcnt lgkmcnt(0)
	s_barrier
	buffer_gl0_inv
	v_cmpx_gt_u32_e32 32, v0
	s_cbranch_execz .LBB56_104
; %bb.86:
	v_lshl_add_u32 v17, v17, 2, v18
	s_and_saveexec_b32 s0, vcc_lo
	s_cbranch_execnz .LBB56_122
; %bb.87:
	s_or_b32 exec_lo, exec_lo, s0
	s_and_saveexec_b32 s0, vcc_lo
	s_cbranch_execnz .LBB56_123
.LBB56_88:
	s_or_b32 exec_lo, exec_lo, s0
	s_and_saveexec_b32 s0, vcc_lo
	s_cbranch_execnz .LBB56_124
.LBB56_89:
	s_or_b32 exec_lo, exec_lo, s0
	s_and_saveexec_b32 s0, vcc_lo
	s_cbranch_execnz .LBB56_125
.LBB56_90:
	s_or_b32 exec_lo, exec_lo, s0
	s_and_saveexec_b32 s0, vcc_lo
	s_cbranch_execnz .LBB56_126
.LBB56_91:
	s_or_b32 exec_lo, exec_lo, s0
	s_and_saveexec_b32 s0, vcc_lo
	s_cbranch_execnz .LBB56_127
.LBB56_92:
	s_or_b32 exec_lo, exec_lo, s0
	s_and_saveexec_b32 s0, vcc_lo
	s_cbranch_execnz .LBB56_128
.LBB56_93:
	s_or_b32 exec_lo, exec_lo, s0
	s_and_saveexec_b32 s0, vcc_lo
	s_cbranch_execnz .LBB56_129
.LBB56_94:
	s_or_b32 exec_lo, exec_lo, s0
	s_and_saveexec_b32 s0, vcc_lo
	s_cbranch_execnz .LBB56_130
.LBB56_95:
	s_or_b32 exec_lo, exec_lo, s0
	s_and_saveexec_b32 s0, vcc_lo
	s_cbranch_execnz .LBB56_131
.LBB56_96:
	s_or_b32 exec_lo, exec_lo, s0
	s_and_saveexec_b32 s0, vcc_lo
	s_cbranch_execnz .LBB56_132
.LBB56_97:
	s_or_b32 exec_lo, exec_lo, s0
	s_and_saveexec_b32 s0, vcc_lo
	s_cbranch_execnz .LBB56_133
.LBB56_98:
	s_or_b32 exec_lo, exec_lo, s0
	s_and_saveexec_b32 s0, vcc_lo
	s_cbranch_execnz .LBB56_134
.LBB56_99:
	s_or_b32 exec_lo, exec_lo, s0
	s_and_saveexec_b32 s0, vcc_lo
	s_cbranch_execnz .LBB56_135
.LBB56_100:
	s_or_b32 exec_lo, exec_lo, s0
	s_and_saveexec_b32 s0, vcc_lo
	s_cbranch_execnz .LBB56_136
.LBB56_101:
	s_or_b32 exec_lo, exec_lo, s0
	s_and_saveexec_b32 s0, vcc_lo
	s_cbranch_execz .LBB56_103
.LBB56_102:
	ds_load_b32 v17, v17 offset:240
	s_waitcnt lgkmcnt(0)
	v_add_f32_e32 v16, v16, v17
.LBB56_103:
	s_or_b32 exec_lo, exec_lo, s0
.LBB56_104:
	s_delay_alu instid0(SALU_CYCLE_1)
	s_or_b32 exec_lo, exec_lo, s1
	s_barrier
	buffer_gl0_inv
	s_mov_b32 s0, exec_lo
	v_cmpx_eq_u32_e32 0, v19
	s_cbranch_execz .LBB56_106
; %bb.105:
	s_lshl_b32 s0, s6, 6
	s_mul_i32 s2, s4, s16
	s_ashr_i32 s1, s0, 31
	v_lshrrev_b32_e32 v0, 1, v0
	s_lshl_b64 s[0:1], s[0:1], 2
	s_delay_alu instid0(SALU_CYCLE_1) | instskip(SKIP_2) | instid1(SALU_CYCLE_1)
	s_add_u32 s4, s18, s0
	s_addc_u32 s5, s19, s1
	s_ashr_i32 s3, s2, 31
	s_lshl_b64 s[0:1], s[2:3], 2
	s_delay_alu instid0(SALU_CYCLE_1) | instskip(SKIP_2) | instid1(SALU_CYCLE_1)
	s_add_u32 s2, s4, s0
	s_addc_u32 s3, s5, s1
	s_lshl_b32 s0, s12, 6
	s_ashr_i32 s1, s0, 31
	s_delay_alu instid0(SALU_CYCLE_1) | instskip(NEXT) | instid1(SALU_CYCLE_1)
	s_lshl_b64 s[0:1], s[0:1], 2
	s_add_u32 s0, s2, s0
	s_addc_u32 s1, s3, s1
	s_clause 0xf
	global_store_b32 v0, v1, s[0:1]
	global_store_b32 v0, v2, s[0:1] offset:16
	global_store_b32 v0, v3, s[0:1] offset:32
	;; [unrolled: 1-line block ×15, first 2 shown]
.LBB56_106:
	s_nop 0
	s_sendmsg sendmsg(MSG_DEALLOC_VGPRS)
	s_endpgm
.LBB56_107:
	v_lshl_add_u32 v19, v17, 2, v18
	ds_load_b32 v19, v19
	s_waitcnt lgkmcnt(0)
	v_add_f32_e32 v1, v1, v19
	s_or_b32 exec_lo, exec_lo, s0
	s_and_saveexec_b32 s0, vcc_lo
	s_cbranch_execz .LBB56_67
.LBB56_108:
	v_lshl_add_u32 v19, v17, 2, v18
	ds_load_b32 v19, v19 offset:16
	s_waitcnt lgkmcnt(0)
	v_add_f32_e32 v2, v2, v19
	s_or_b32 exec_lo, exec_lo, s0
	s_and_saveexec_b32 s0, vcc_lo
	s_cbranch_execz .LBB56_68
.LBB56_109:
	v_lshl_add_u32 v19, v17, 2, v18
	ds_load_b32 v19, v19 offset:32
	s_waitcnt lgkmcnt(0)
	v_add_f32_e32 v3, v3, v19
	s_or_b32 exec_lo, exec_lo, s0
	s_and_saveexec_b32 s0, vcc_lo
	s_cbranch_execz .LBB56_69
.LBB56_110:
	v_lshl_add_u32 v19, v17, 2, v18
	ds_load_b32 v19, v19 offset:48
	s_waitcnt lgkmcnt(0)
	v_add_f32_e32 v4, v4, v19
	s_or_b32 exec_lo, exec_lo, s0
	s_and_saveexec_b32 s0, vcc_lo
	s_cbranch_execz .LBB56_70
.LBB56_111:
	v_lshl_add_u32 v19, v17, 2, v18
	ds_load_b32 v19, v19 offset:64
	s_waitcnt lgkmcnt(0)
	v_add_f32_e32 v5, v5, v19
	s_or_b32 exec_lo, exec_lo, s0
	s_and_saveexec_b32 s0, vcc_lo
	s_cbranch_execz .LBB56_71
.LBB56_112:
	v_lshl_add_u32 v19, v17, 2, v18
	ds_load_b32 v19, v19 offset:80
	s_waitcnt lgkmcnt(0)
	v_add_f32_e32 v6, v6, v19
	s_or_b32 exec_lo, exec_lo, s0
	s_and_saveexec_b32 s0, vcc_lo
	s_cbranch_execz .LBB56_72
.LBB56_113:
	v_lshl_add_u32 v19, v17, 2, v18
	ds_load_b32 v19, v19 offset:96
	s_waitcnt lgkmcnt(0)
	v_add_f32_e32 v7, v7, v19
	s_or_b32 exec_lo, exec_lo, s0
	s_and_saveexec_b32 s0, vcc_lo
	s_cbranch_execz .LBB56_73
.LBB56_114:
	v_lshl_add_u32 v19, v17, 2, v18
	ds_load_b32 v19, v19 offset:112
	s_waitcnt lgkmcnt(0)
	v_add_f32_e32 v8, v8, v19
	s_or_b32 exec_lo, exec_lo, s0
	s_and_saveexec_b32 s0, vcc_lo
	s_cbranch_execz .LBB56_74
.LBB56_115:
	v_lshl_add_u32 v19, v17, 2, v18
	ds_load_b32 v19, v19 offset:128
	s_waitcnt lgkmcnt(0)
	v_add_f32_e32 v9, v9, v19
	s_or_b32 exec_lo, exec_lo, s0
	s_and_saveexec_b32 s0, vcc_lo
	s_cbranch_execz .LBB56_75
.LBB56_116:
	v_lshl_add_u32 v19, v17, 2, v18
	ds_load_b32 v19, v19 offset:144
	s_waitcnt lgkmcnt(0)
	v_add_f32_e32 v10, v10, v19
	s_or_b32 exec_lo, exec_lo, s0
	s_and_saveexec_b32 s0, vcc_lo
	s_cbranch_execz .LBB56_76
.LBB56_117:
	v_lshl_add_u32 v19, v17, 2, v18
	ds_load_b32 v19, v19 offset:160
	s_waitcnt lgkmcnt(0)
	v_add_f32_e32 v11, v11, v19
	s_or_b32 exec_lo, exec_lo, s0
	s_and_saveexec_b32 s0, vcc_lo
	s_cbranch_execz .LBB56_77
.LBB56_118:
	v_lshl_add_u32 v19, v17, 2, v18
	ds_load_b32 v19, v19 offset:176
	s_waitcnt lgkmcnt(0)
	v_add_f32_e32 v12, v12, v19
	s_or_b32 exec_lo, exec_lo, s0
	s_and_saveexec_b32 s0, vcc_lo
	s_cbranch_execz .LBB56_78
.LBB56_119:
	v_lshl_add_u32 v19, v17, 2, v18
	ds_load_b32 v19, v19 offset:192
	s_waitcnt lgkmcnt(0)
	v_add_f32_e32 v13, v13, v19
	s_or_b32 exec_lo, exec_lo, s0
	s_and_saveexec_b32 s0, vcc_lo
	s_cbranch_execz .LBB56_79
.LBB56_120:
	v_lshl_add_u32 v19, v17, 2, v18
	ds_load_b32 v19, v19 offset:208
	s_waitcnt lgkmcnt(0)
	v_add_f32_e32 v14, v14, v19
	s_or_b32 exec_lo, exec_lo, s0
	s_and_saveexec_b32 s0, vcc_lo
	s_cbranch_execz .LBB56_80
.LBB56_121:
	v_lshl_add_u32 v19, v17, 2, v18
	ds_load_b32 v19, v19 offset:224
	s_waitcnt lgkmcnt(0)
	v_add_f32_e32 v15, v15, v19
	s_or_b32 exec_lo, exec_lo, s0
	s_and_saveexec_b32 s0, vcc_lo
	s_cbranch_execnz .LBB56_81
	s_branch .LBB56_82
.LBB56_122:
	ds_load_b32 v18, v17
	s_waitcnt lgkmcnt(0)
	v_add_f32_e32 v1, v1, v18
	s_or_b32 exec_lo, exec_lo, s0
	s_and_saveexec_b32 s0, vcc_lo
	s_cbranch_execz .LBB56_88
.LBB56_123:
	ds_load_b32 v18, v17 offset:16
	s_waitcnt lgkmcnt(0)
	v_add_f32_e32 v2, v2, v18
	s_or_b32 exec_lo, exec_lo, s0
	s_and_saveexec_b32 s0, vcc_lo
	s_cbranch_execz .LBB56_89
.LBB56_124:
	ds_load_b32 v18, v17 offset:32
	s_waitcnt lgkmcnt(0)
	v_add_f32_e32 v3, v3, v18
	s_or_b32 exec_lo, exec_lo, s0
	s_and_saveexec_b32 s0, vcc_lo
	s_cbranch_execz .LBB56_90
.LBB56_125:
	ds_load_b32 v18, v17 offset:48
	s_waitcnt lgkmcnt(0)
	v_add_f32_e32 v4, v4, v18
	s_or_b32 exec_lo, exec_lo, s0
	s_and_saveexec_b32 s0, vcc_lo
	s_cbranch_execz .LBB56_91
.LBB56_126:
	ds_load_b32 v18, v17 offset:64
	s_waitcnt lgkmcnt(0)
	v_add_f32_e32 v5, v5, v18
	s_or_b32 exec_lo, exec_lo, s0
	s_and_saveexec_b32 s0, vcc_lo
	s_cbranch_execz .LBB56_92
.LBB56_127:
	ds_load_b32 v18, v17 offset:80
	s_waitcnt lgkmcnt(0)
	v_add_f32_e32 v6, v6, v18
	s_or_b32 exec_lo, exec_lo, s0
	s_and_saveexec_b32 s0, vcc_lo
	s_cbranch_execz .LBB56_93
.LBB56_128:
	ds_load_b32 v18, v17 offset:96
	s_waitcnt lgkmcnt(0)
	v_add_f32_e32 v7, v7, v18
	s_or_b32 exec_lo, exec_lo, s0
	s_and_saveexec_b32 s0, vcc_lo
	s_cbranch_execz .LBB56_94
.LBB56_129:
	ds_load_b32 v18, v17 offset:112
	s_waitcnt lgkmcnt(0)
	v_add_f32_e32 v8, v8, v18
	s_or_b32 exec_lo, exec_lo, s0
	s_and_saveexec_b32 s0, vcc_lo
	s_cbranch_execz .LBB56_95
.LBB56_130:
	ds_load_b32 v18, v17 offset:128
	s_waitcnt lgkmcnt(0)
	v_add_f32_e32 v9, v9, v18
	s_or_b32 exec_lo, exec_lo, s0
	s_and_saveexec_b32 s0, vcc_lo
	s_cbranch_execz .LBB56_96
.LBB56_131:
	ds_load_b32 v18, v17 offset:144
	s_waitcnt lgkmcnt(0)
	v_add_f32_e32 v10, v10, v18
	s_or_b32 exec_lo, exec_lo, s0
	s_and_saveexec_b32 s0, vcc_lo
	s_cbranch_execz .LBB56_97
.LBB56_132:
	ds_load_b32 v18, v17 offset:160
	s_waitcnt lgkmcnt(0)
	v_add_f32_e32 v11, v11, v18
	s_or_b32 exec_lo, exec_lo, s0
	s_and_saveexec_b32 s0, vcc_lo
	s_cbranch_execz .LBB56_98
.LBB56_133:
	ds_load_b32 v18, v17 offset:176
	s_waitcnt lgkmcnt(0)
	v_add_f32_e32 v12, v12, v18
	s_or_b32 exec_lo, exec_lo, s0
	s_and_saveexec_b32 s0, vcc_lo
	s_cbranch_execz .LBB56_99
.LBB56_134:
	ds_load_b32 v18, v17 offset:192
	s_waitcnt lgkmcnt(0)
	v_add_f32_e32 v13, v13, v18
	s_or_b32 exec_lo, exec_lo, s0
	s_and_saveexec_b32 s0, vcc_lo
	s_cbranch_execz .LBB56_100
.LBB56_135:
	ds_load_b32 v18, v17 offset:208
	s_waitcnt lgkmcnt(0)
	v_add_f32_e32 v14, v14, v18
	s_or_b32 exec_lo, exec_lo, s0
	s_and_saveexec_b32 s0, vcc_lo
	s_cbranch_execz .LBB56_101
.LBB56_136:
	ds_load_b32 v18, v17 offset:224
	s_waitcnt lgkmcnt(0)
	v_add_f32_e32 v15, v15, v18
	s_or_b32 exec_lo, exec_lo, s0
	s_and_saveexec_b32 s0, vcc_lo
	s_cbranch_execnz .LBB56_102
	s_branch .LBB56_103
	.section	.rodata,"a",@progbits
	.p2align	6, 0x0
	.amdhsa_kernel _ZN4vllm25paged_attention_v2_kernelIffLi64ELi32ELi128ELNS_18Fp8KVCacheDataTypeE0ELb0ELi512EEEvPfS2_PT_PKS3_PKT0_S9_ifPKiSB_iPKfiiiSD_SD_iiiii
		.amdhsa_group_segment_fixed_size 288
		.amdhsa_private_segment_fixed_size 0
		.amdhsa_kernarg_size 400
		.amdhsa_user_sgpr_count 13
		.amdhsa_user_sgpr_dispatch_ptr 0
		.amdhsa_user_sgpr_queue_ptr 0
		.amdhsa_user_sgpr_kernarg_segment_ptr 1
		.amdhsa_user_sgpr_dispatch_id 0
		.amdhsa_user_sgpr_private_segment_size 0
		.amdhsa_wavefront_size32 1
		.amdhsa_uses_dynamic_stack 0
		.amdhsa_enable_private_segment 0
		.amdhsa_system_sgpr_workgroup_id_x 1
		.amdhsa_system_sgpr_workgroup_id_y 1
		.amdhsa_system_sgpr_workgroup_id_z 1
		.amdhsa_system_sgpr_workgroup_info 0
		.amdhsa_system_vgpr_workitem_id 0
		.amdhsa_next_free_vgpr 122
		.amdhsa_next_free_sgpr 40
		.amdhsa_reserve_vcc 1
		.amdhsa_float_round_mode_32 0
		.amdhsa_float_round_mode_16_64 0
		.amdhsa_float_denorm_mode_32 3
		.amdhsa_float_denorm_mode_16_64 3
		.amdhsa_dx10_clamp 1
		.amdhsa_ieee_mode 1
		.amdhsa_fp16_overflow 0
		.amdhsa_workgroup_processor_mode 1
		.amdhsa_memory_ordered 1
		.amdhsa_forward_progress 0
		.amdhsa_shared_vgpr_count 0
		.amdhsa_exception_fp_ieee_invalid_op 0
		.amdhsa_exception_fp_denorm_src 0
		.amdhsa_exception_fp_ieee_div_zero 0
		.amdhsa_exception_fp_ieee_overflow 0
		.amdhsa_exception_fp_ieee_underflow 0
		.amdhsa_exception_fp_ieee_inexact 0
		.amdhsa_exception_int_div_zero 0
	.end_amdhsa_kernel
	.section	.text._ZN4vllm25paged_attention_v2_kernelIffLi64ELi32ELi128ELNS_18Fp8KVCacheDataTypeE0ELb0ELi512EEEvPfS2_PT_PKS3_PKT0_S9_ifPKiSB_iPKfiiiSD_SD_iiiii,"axG",@progbits,_ZN4vllm25paged_attention_v2_kernelIffLi64ELi32ELi128ELNS_18Fp8KVCacheDataTypeE0ELb0ELi512EEEvPfS2_PT_PKS3_PKT0_S9_ifPKiSB_iPKfiiiSD_SD_iiiii,comdat
.Lfunc_end56:
	.size	_ZN4vllm25paged_attention_v2_kernelIffLi64ELi32ELi128ELNS_18Fp8KVCacheDataTypeE0ELb0ELi512EEEvPfS2_PT_PKS3_PKT0_S9_ifPKiSB_iPKfiiiSD_SD_iiiii, .Lfunc_end56-_ZN4vllm25paged_attention_v2_kernelIffLi64ELi32ELi128ELNS_18Fp8KVCacheDataTypeE0ELb0ELi512EEEvPfS2_PT_PKS3_PKT0_S9_ifPKiSB_iPKfiiiSD_SD_iiiii
                                        ; -- End function
	.section	.AMDGPU.csdata,"",@progbits
; Kernel info:
; codeLenInByte = 8052
; NumSgprs: 42
; NumVgprs: 122
; ScratchSize: 0
; MemoryBound: 0
; FloatMode: 240
; IeeeMode: 1
; LDSByteSize: 288 bytes/workgroup (compile time only)
; SGPRBlocks: 5
; VGPRBlocks: 15
; NumSGPRsForWavesPerEU: 42
; NumVGPRsForWavesPerEU: 122
; Occupancy: 10
; WaveLimiterHint : 1
; COMPUTE_PGM_RSRC2:SCRATCH_EN: 0
; COMPUTE_PGM_RSRC2:USER_SGPR: 13
; COMPUTE_PGM_RSRC2:TRAP_HANDLER: 0
; COMPUTE_PGM_RSRC2:TGID_X_EN: 1
; COMPUTE_PGM_RSRC2:TGID_Y_EN: 1
; COMPUTE_PGM_RSRC2:TGID_Z_EN: 1
; COMPUTE_PGM_RSRC2:TIDIG_COMP_CNT: 0
	.section	.text._ZN4vllm25paged_attention_v2_kernelIffLi80ELi32ELi128ELNS_18Fp8KVCacheDataTypeE0ELb0ELi512EEEvPfS2_PT_PKS3_PKT0_S9_ifPKiSB_iPKfiiiSD_SD_iiiii,"axG",@progbits,_ZN4vllm25paged_attention_v2_kernelIffLi80ELi32ELi128ELNS_18Fp8KVCacheDataTypeE0ELb0ELi512EEEvPfS2_PT_PKS3_PKT0_S9_ifPKiSB_iPKfiiiSD_SD_iiiii,comdat
	.protected	_ZN4vllm25paged_attention_v2_kernelIffLi80ELi32ELi128ELNS_18Fp8KVCacheDataTypeE0ELb0ELi512EEEvPfS2_PT_PKS3_PKT0_S9_ifPKiSB_iPKfiiiSD_SD_iiiii ; -- Begin function _ZN4vllm25paged_attention_v2_kernelIffLi80ELi32ELi128ELNS_18Fp8KVCacheDataTypeE0ELb0ELi512EEEvPfS2_PT_PKS3_PKT0_S9_ifPKiSB_iPKfiiiSD_SD_iiiii
	.globl	_ZN4vllm25paged_attention_v2_kernelIffLi80ELi32ELi128ELNS_18Fp8KVCacheDataTypeE0ELb0ELi512EEEvPfS2_PT_PKS3_PKT0_S9_ifPKiSB_iPKfiiiSD_SD_iiiii
	.p2align	8
	.type	_ZN4vllm25paged_attention_v2_kernelIffLi80ELi32ELi128ELNS_18Fp8KVCacheDataTypeE0ELb0ELi512EEEvPfS2_PT_PKS3_PKT0_S9_ifPKiSB_iPKfiiiSD_SD_iiiii,@function
_ZN4vllm25paged_attention_v2_kernelIffLi80ELi32ELi128ELNS_18Fp8KVCacheDataTypeE0ELb0ELi512EEEvPfS2_PT_PKS3_PKT0_S9_ifPKiSB_iPKfiiiSD_SD_iiiii: ; @_ZN4vllm25paged_attention_v2_kernelIffLi80ELi32ELi128ELNS_18Fp8KVCacheDataTypeE0ELb0ELi512EEEvPfS2_PT_PKS3_PKT0_S9_ifPKiSB_iPKfiiiSD_SD_iiiii
; %bb.0:
	s_load_b64 s[2:3], s[0:1], 0x40
	s_mov_b32 s12, s15
	s_ashr_i32 s15, s14, 31
	s_delay_alu instid0(SALU_CYCLE_1)
	s_lshl_b64 s[4:5], s[14:15], 2
	s_waitcnt lgkmcnt(0)
	s_add_u32 s2, s2, s4
	s_addc_u32 s3, s3, s5
	s_lshl_b32 s30, s12, 9
	s_load_b32 s15, s[2:3], 0x0
	s_waitcnt lgkmcnt(0)
	s_cmp_ge_i32 s30, s15
	s_cbranch_scc1 .LBB57_122
; %bb.1:
	s_mov_b32 s22, s13
	s_clause 0x1
	s_load_b32 s13, s[0:1], 0x90
	s_load_b64 s[2:3], s[0:1], 0x30
	s_mov_b32 s31, 0
	s_waitcnt lgkmcnt(0)
	s_abs_i32 s7, s13
	s_abs_i32 s4, s2
	s_xor_b32 s2, s13, s2
	v_cvt_f32_u32_e32 v1, s4
	s_sub_i32 s6, 0, s4
	s_ashr_i32 s2, s2, 31
	s_delay_alu instid0(VALU_DEP_1) | instskip(SKIP_2) | instid1(VALU_DEP_1)
	v_rcp_iflag_f32_e32 v1, v1
	s_waitcnt_depctr 0xfff
	v_mul_f32_e32 v1, 0x4f7ffffe, v1
	v_cvt_u32_f32_e32 v1, v1
	s_delay_alu instid0(VALU_DEP_1) | instskip(NEXT) | instid1(VALU_DEP_1)
	v_readfirstlane_b32 s5, v1
	s_mul_i32 s6, s6, s5
	s_delay_alu instid0(SALU_CYCLE_1) | instskip(NEXT) | instid1(SALU_CYCLE_1)
	s_mul_hi_u32 s6, s5, s6
	s_add_i32 s5, s5, s6
	s_delay_alu instid0(SALU_CYCLE_1) | instskip(NEXT) | instid1(SALU_CYCLE_1)
	s_mul_hi_u32 s5, s7, s5
	s_mul_i32 s6, s5, s4
	s_delay_alu instid0(SALU_CYCLE_1)
	s_sub_i32 s6, s7, s6
	s_add_i32 s7, s5, 1
	s_sub_i32 s8, s6, s4
	s_cmp_ge_u32 s6, s4
	s_cselect_b32 s5, s7, s5
	s_cselect_b32 s6, s8, s6
	s_add_i32 s7, s5, 1
	s_cmp_ge_u32 s6, s4
	s_cselect_b32 s4, s7, s5
	s_abs_i32 s27, s22
	s_xor_b32 s4, s4, s2
	s_delay_alu instid0(SALU_CYCLE_1) | instskip(SKIP_2) | instid1(SALU_CYCLE_1)
	s_sub_i32 s8, s4, s2
	s_load_b64 s[4:5], s[0:1], 0x50
	s_abs_i32 s2, s8
	v_cvt_f32_u32_e32 v1, s2
	s_sub_i32 s7, 0, s2
	s_delay_alu instid0(VALU_DEP_1) | instskip(SKIP_2) | instid1(VALU_DEP_1)
	v_rcp_iflag_f32_e32 v1, v1
	s_waitcnt_depctr 0xfff
	v_mul_f32_e32 v1, 0x4f7ffffe, v1
	v_cvt_u32_f32_e32 v1, v1
	s_delay_alu instid0(VALU_DEP_1) | instskip(NEXT) | instid1(VALU_DEP_1)
	v_readfirstlane_b32 s6, v1
	s_mul_i32 s7, s7, s6
	s_delay_alu instid0(SALU_CYCLE_1) | instskip(NEXT) | instid1(SALU_CYCLE_1)
	s_mul_hi_u32 s7, s6, s7
	s_add_i32 s6, s6, s7
	s_waitcnt lgkmcnt(0)
	s_cmp_eq_u64 s[4:5], 0
	s_mul_hi_u32 s26, s27, s6
	s_cbranch_scc1 .LBB57_3
; %bb.2:
	s_ashr_i32 s23, s22, 31
	s_delay_alu instid0(SALU_CYCLE_1) | instskip(NEXT) | instid1(SALU_CYCLE_1)
	s_lshl_b64 s[6:7], s[22:23], 2
	s_add_u32 s4, s4, s6
	s_addc_u32 s5, s5, s7
	s_load_b32 s31, s[4:5], 0x0
.LBB57_3:
	s_clause 0x1
	s_load_b64 s[20:21], s[0:1], 0x38
	s_load_b128 s[4:7], s[0:1], 0x58
	s_ashr_i32 s28, s22, 31
	s_ashr_i32 s29, s8, 31
	s_mul_i32 s16, s22, 0x50
	s_waitcnt lgkmcnt(0)
	s_mov_b32 s7, exec_lo
	v_cmpx_gt_u32_e32 20, v0
	s_cbranch_execz .LBB57_5
; %bb.4:
	s_load_b64 s[8:9], s[0:1], 0x18
	s_mul_i32 s10, s14, s4
	v_lshlrev_b32_e32 v5, 4, v0
	s_ashr_i32 s11, s10, 31
	s_delay_alu instid0(SALU_CYCLE_1) | instskip(SKIP_4) | instid1(SALU_CYCLE_1)
	s_lshl_b64 s[10:11], s[10:11], 2
	s_waitcnt lgkmcnt(0)
	s_add_u32 s4, s8, s10
	s_addc_u32 s10, s9, s11
	s_ashr_i32 s17, s16, 31
	s_lshl_b64 s[8:9], s[16:17], 2
	s_delay_alu instid0(SALU_CYCLE_1)
	s_add_u32 s8, s4, s8
	s_addc_u32 s9, s10, s9
	global_load_b128 v[1:4], v5, s[8:9]
	s_waitcnt vmcnt(0)
	ds_store_b128 v5, v[1:4]
.LBB57_5:
	s_or_b32 exec_lo, exec_lo, s7
	s_add_i32 s4, s15, 31
	s_clause 0x1
	s_load_b128 s[8:11], s[0:1], 0x0
	s_load_b64 s[18:19], s[0:1], 0x10
	s_ashr_i32 s7, s4, 31
	s_mul_i32 s34, s26, s2
	s_lshr_b32 s17, s7, 27
	s_lshl_b32 s7, s12, 4
	s_add_i32 s4, s4, s17
	s_load_b64 s[24:25], s[0:1], 0x28
	s_ashr_i32 s23, s4, 5
	s_clause 0x1
	s_load_b32 s4, s[0:1], 0x98
	s_load_b32 s33, s[0:1], 0x48
	s_add_i32 s17, s7, 16
	s_sub_i32 s27, s27, s34
	s_min_i32 s17, s17, s23
	s_xor_b32 s28, s28, s29
	s_add_i32 s29, s26, 1
	s_sub_i32 s34, s27, s2
	s_cmp_ge_u32 s27, s2
	v_lshrrev_b32_e32 v88, 5, v0
	s_cselect_b32 s26, s29, s26
	s_cselect_b32 s27, s34, s27
	s_add_i32 s29, s26, 1
	s_cmp_ge_u32 s27, s2
	v_dual_mov_b32 v84, 0xff7fffff :: v_dual_add_nc_u32 v85, s7, v88
	v_and_b32_e32 v89, 31, v0
	s_cselect_b32 s2, s29, s26
	s_waitcnt lgkmcnt(0)
	s_xor_b32 s2, s2, s28
	v_ashrrev_i32_e32 v86, 31, v85
	s_sub_i32 s28, s2, s28
	v_cmp_gt_i32_e64 s2, s17, v85
	v_lshlrev_b32_e32 v83, 2, v89
	s_mul_i32 s26, s14, s33
	s_mul_i32 s28, s28, s6
	s_ashr_i32 s27, s26, 31
	s_barrier
	buffer_gl0_inv
	s_and_saveexec_b32 s6, s2
	s_cbranch_execz .LBB57_9
; %bb.6:
	v_dual_mov_b32 v77, 0 :: v_dual_lshlrev_b32 v84, 4, v89
	s_load_b64 s[0:1], s[0:1], 0x20
	s_ashr_i32 s29, s28, 31
	v_lshlrev_b64 v[81:82], 2, v[85:86]
	ds_load_b128 v[1:4], v77
	ds_load_b128 v[5:8], v77 offset:16
	ds_load_b128 v[9:12], v77 offset:32
	;; [unrolled: 1-line block ×19, first 2 shown]
	s_lshl_b64 s[34:35], s[28:29], 2
	v_lshlrev_b32_e32 v91, 5, v88
	v_lshl_or_b32 v92, v88, 7, v83
	s_delay_alu instid0(VALU_DEP_1)
	v_dual_mov_b32 v93, v85 :: v_dual_add_nc_u32 v92, 0x160, v92
	s_waitcnt lgkmcnt(0)
	s_add_u32 s33, s0, s34
	s_addc_u32 s34, s1, s35
	s_lshl_b64 s[0:1], s[26:27], 2
	s_sub_i32 s29, 1, s15
	s_add_u32 s0, s20, s0
	s_addc_u32 s1, s21, s1
	v_add_co_u32 v81, vcc_lo, s0, v81
	v_add_co_u32 v87, s0, s33, v84
	v_add_co_ci_u32_e32 v82, vcc_lo, s1, v82, vcc_lo
	v_add_co_ci_u32_e64 v90, null, s34, 0, s0
	v_cmp_neq_f32_e64 vcc_lo, s31, 0
	v_mov_b32_e32 v84, 0xff7fffff
	v_add3_u32 v91, s30, v91, v89
	s_mov_b32 s34, s5
	s_mov_b32 s33, 0
.LBB57_7:                               ; =>This Inner Loop Header: Depth=1
	global_load_b32 v96, v[81:82], off
	v_add_nc_u32_e32 v93, 4, v93
	s_delay_alu instid0(VALU_DEP_1) | instskip(NEXT) | instid1(VALU_DEP_1)
	v_cmp_le_i32_e64 s1, s17, v93
	s_or_b32 s33, s1, s33
	s_waitcnt vmcnt(0)
	v_mad_i64_i32 v[94:95], null, v96, s34, 0
	s_delay_alu instid0(VALU_DEP_1) | instskip(NEXT) | instid1(VALU_DEP_1)
	v_lshlrev_b64 v[94:95], 2, v[94:95]
	v_add_co_u32 v133, s0, v87, v94
	s_delay_alu instid0(VALU_DEP_1)
	v_add_co_ci_u32_e64 v134, s0, v90, v95, s0
	s_clause 0x7
	global_load_b128 v[94:97], v[133:134], off offset:512
	global_load_b128 v[98:101], v[133:134], off
	global_load_b128 v[102:105], v[133:134], off offset:1024
	global_load_b128 v[106:109], v[133:134], off offset:1536
	;; [unrolled: 1-line block ×6, first 2 shown]
	v_add_co_u32 v138, s0, v133, 0x2000
	s_delay_alu instid0(VALU_DEP_1) | instskip(SKIP_1) | instid1(VALU_DEP_1)
	v_add_co_ci_u32_e64 v139, s0, 0, v134, s0
	v_add_co_u32 v135, s0, 0x1000, v133
	v_add_co_ci_u32_e64 v136, s0, 0, v134, s0
	global_load_b128 v[126:129], v[138:139], off offset:-4096
	v_add_co_u32 v140, s0, 0x2000, v133
	global_load_b128 v[130:133], v[135:136], off offset:512
	v_add_co_ci_u32_e64 v141, s0, 0, v134, s0
	v_add_co_u32 v81, s0, v81, 16
	s_delay_alu instid0(VALU_DEP_1)
	v_add_co_ci_u32_e64 v82, s0, 0, v82, s0
	v_cmp_gt_i32_e64 s0, s15, v91
	s_waitcnt vmcnt(9)
	v_dual_mul_f32 v142, v5, v94 :: v_dual_mul_f32 v143, v6, v95
	v_dual_mul_f32 v144, v7, v96 :: v_dual_mul_f32 v145, v8, v97
	global_load_b128 v[94:97], v[135:136], off offset:1024
	s_waitcnt vmcnt(9)
	v_dual_fmac_f32 v142, v1, v98 :: v_dual_fmac_f32 v143, v2, v99
	v_dual_fmac_f32 v144, v3, v100 :: v_dual_fmac_f32 v145, v4, v101
	global_load_b128 v[98:101], v[135:136], off offset:1536
	s_waitcnt vmcnt(9)
	v_dual_fmac_f32 v142, v9, v102 :: v_dual_fmac_f32 v143, v10, v103
	v_dual_fmac_f32 v144, v11, v104 :: v_dual_fmac_f32 v145, v12, v105
	;; [unrolled: 4-line block ×4, first 2 shown]
	s_clause 0x1
	global_load_b128 v[110:113], v[135:136], off offset:3072
	global_load_b128 v[134:137], v[135:136], off offset:3584
	s_waitcnt vmcnt(10)
	v_dual_fmac_f32 v142, v21, v114 :: v_dual_fmac_f32 v143, v22, v115
	v_dual_fmac_f32 v144, v23, v116 :: v_dual_fmac_f32 v145, v24, v117
	global_load_b128 v[114:117], v[138:139], off
	s_waitcnt vmcnt(10)
	v_dual_fmac_f32 v142, v25, v118 :: v_dual_fmac_f32 v143, v26, v119
	v_dual_fmac_f32 v144, v27, v120 :: v_dual_fmac_f32 v145, v28, v121
	global_load_b128 v[118:121], v[140:141], off offset:512
	s_waitcnt vmcnt(10)
	v_dual_fmac_f32 v142, v29, v122 :: v_dual_fmac_f32 v143, v30, v123
	v_dual_fmac_f32 v144, v31, v124 :: v_dual_fmac_f32 v145, v32, v125
	s_clause 0x1
	global_load_b128 v[122:125], v[140:141], off offset:1024
	global_load_b128 v[138:141], v[140:141], off offset:1536
	s_waitcnt vmcnt(11)
	v_dual_fmac_f32 v142, v33, v126 :: v_dual_fmac_f32 v143, v34, v127
	v_dual_fmac_f32 v144, v35, v128 :: v_dual_fmac_f32 v145, v36, v129
	v_dual_max_f32 v127, v84, v84 :: v_dual_add_nc_u32 v126, s29, v91
	s_waitcnt vmcnt(10)
	s_delay_alu instid0(VALU_DEP_3) | instskip(NEXT) | instid1(VALU_DEP_3)
	v_dual_fmac_f32 v142, v37, v130 :: v_dual_fmac_f32 v143, v38, v131
	v_dual_fmac_f32 v144, v39, v132 :: v_dual_fmac_f32 v145, v40, v133
	s_delay_alu instid0(VALU_DEP_3) | instskip(SKIP_1) | instid1(VALU_DEP_3)
	v_cvt_f32_i32_e32 v126, v126
	s_waitcnt vmcnt(9)
	v_dual_fmac_f32 v142, v41, v94 :: v_dual_add_nc_u32 v91, 0x80, v91
	s_delay_alu instid0(VALU_DEP_3) | instskip(SKIP_3) | instid1(VALU_DEP_3)
	v_dual_fmac_f32 v143, v42, v95 :: v_dual_fmac_f32 v144, v43, v96
	v_fmac_f32_e32 v145, v44, v97
	v_mul_f32_e32 v95, s31, v126
	s_waitcnt vmcnt(8)
	v_dual_fmac_f32 v142, v45, v98 :: v_dual_fmac_f32 v143, v46, v99
	s_delay_alu instid0(VALU_DEP_3) | instskip(SKIP_1) | instid1(VALU_DEP_2)
	v_dual_fmac_f32 v144, v47, v100 :: v_dual_fmac_f32 v145, v48, v101
	s_waitcnt vmcnt(7)
	v_dual_fmac_f32 v142, v49, v102 :: v_dual_fmac_f32 v143, v50, v103
	s_delay_alu instid0(VALU_DEP_2) | instskip(SKIP_1) | instid1(VALU_DEP_2)
	v_dual_fmac_f32 v144, v51, v104 :: v_dual_fmac_f32 v145, v52, v105
	s_waitcnt vmcnt(6)
	v_dual_fmac_f32 v142, v53, v106 :: v_dual_fmac_f32 v143, v54, v107
	s_delay_alu instid0(VALU_DEP_2) | instskip(SKIP_1) | instid1(VALU_DEP_2)
	;; [unrolled: 4-line block ×7, first 2 shown]
	v_dual_fmac_f32 v144, v75, v124 :: v_dual_fmac_f32 v145, v76, v125
	s_waitcnt vmcnt(0)
	v_dual_fmac_f32 v142, v77, v138 :: v_dual_fmac_f32 v143, v78, v139
	s_delay_alu instid0(VALU_DEP_2) | instskip(NEXT) | instid1(VALU_DEP_2)
	v_dual_fmac_f32 v144, v79, v140 :: v_dual_fmac_f32 v145, v80, v141
	v_add_f32_e32 v94, v142, v143
	s_delay_alu instid0(VALU_DEP_1) | instskip(NEXT) | instid1(VALU_DEP_1)
	v_dual_add_f32 v94, v144, v94 :: v_dual_cndmask_b32 v95, 0, v95
	v_add_f32_e32 v94, v145, v94
	s_delay_alu instid0(VALU_DEP_1) | instskip(NEXT) | instid1(VALU_DEP_1)
	v_fmac_f32_e32 v95, s3, v94
	v_max_f32_e32 v94, v127, v95
	v_cndmask_b32_e64 v95, 0, v95, s0
	s_delay_alu instid0(VALU_DEP_2)
	v_cndmask_b32_e64 v84, v84, v94, s0
	ds_store_b32 v92, v95
	v_add_nc_u32_e32 v92, 0x200, v92
	s_and_not1_b32 exec_lo, exec_lo, s33
	s_cbranch_execnz .LBB57_7
; %bb.8:
	s_or_b32 exec_lo, exec_lo, s33
.LBB57_9:
	s_delay_alu instid0(SALU_CYCLE_1) | instskip(SKIP_2) | instid1(VALU_DEP_2)
	s_or_b32 exec_lo, exec_lo, s6
	v_mbcnt_lo_u32_b32 v1, -1, 0
	v_max_f32_e32 v5, v84, v84
	v_xor_b32_e32 v2, 16, v1
	v_xor_b32_e32 v4, 8, v1
	s_delay_alu instid0(VALU_DEP_2) | instskip(SKIP_1) | instid1(VALU_DEP_3)
	v_cmp_gt_i32_e32 vcc_lo, 32, v2
	v_cndmask_b32_e32 v2, v1, v2, vcc_lo
	v_cmp_gt_i32_e32 vcc_lo, 32, v4
	s_delay_alu instid0(VALU_DEP_2) | instskip(SKIP_4) | instid1(VALU_DEP_1)
	v_lshlrev_b32_e32 v2, 2, v2
	v_cndmask_b32_e32 v4, v1, v4, vcc_lo
	ds_bpermute_b32 v3, v2, v84
	s_waitcnt lgkmcnt(0)
	v_dual_max_f32 v6, v3, v3 :: v_dual_lshlrev_b32 v3, 2, v4
	v_max_f32_e32 v4, v5, v6
	v_xor_b32_e32 v6, 4, v1
	ds_bpermute_b32 v5, v3, v4
	v_cmp_gt_i32_e32 vcc_lo, 32, v6
	v_cndmask_b32_e32 v6, v1, v6, vcc_lo
	s_delay_alu instid0(VALU_DEP_1) | instskip(SKIP_1) | instid1(VALU_DEP_1)
	v_lshlrev_b32_e32 v92, 2, v6
	v_xor_b32_e32 v6, 2, v1
	v_cmp_gt_i32_e32 vcc_lo, 32, v6
	s_waitcnt lgkmcnt(0)
	v_max_f32_e32 v5, v5, v5
	v_cndmask_b32_e32 v6, v1, v6, vcc_lo
	s_delay_alu instid0(VALU_DEP_1)
	v_dual_max_f32 v4, v4, v5 :: v_dual_lshlrev_b32 v91, 2, v6
	v_xor_b32_e32 v6, 1, v1
	ds_bpermute_b32 v5, v92, v4
	v_cmp_gt_i32_e32 vcc_lo, 32, v6
	v_cndmask_b32_e32 v6, v1, v6, vcc_lo
	v_cmp_eq_u32_e32 vcc_lo, 0, v89
	s_waitcnt lgkmcnt(0)
	s_delay_alu instid0(VALU_DEP_2) | instskip(NEXT) | instid1(VALU_DEP_1)
	v_dual_max_f32 v5, v5, v5 :: v_dual_lshlrev_b32 v90, 2, v6
	v_max_f32_e32 v4, v4, v5
	ds_bpermute_b32 v5, v91, v4
	s_waitcnt lgkmcnt(0)
	v_max_f32_e32 v5, v5, v5
	s_delay_alu instid0(VALU_DEP_1)
	v_max_f32_e32 v1, v4, v5
	v_lshlrev_b32_e32 v5, 2, v88
	ds_bpermute_b32 v4, v90, v1
	s_and_saveexec_b32 s0, vcc_lo
	s_cbranch_execz .LBB57_11
; %bb.10:
	s_waitcnt lgkmcnt(0)
	v_dual_max_f32 v4, v4, v4 :: v_dual_max_f32 v1, v1, v1
	s_delay_alu instid0(VALU_DEP_1)
	v_max_f32_e32 v1, v1, v4
	ds_store_b32 v5, v1 offset:320
.LBB57_11:
	s_or_b32 exec_lo, exec_lo, s0
	v_cmp_gt_u32_e64 s0, 4, v89
	v_mov_b32_e32 v1, 0xff7fffff
	s_waitcnt lgkmcnt(0)
	s_barrier
	buffer_gl0_inv
	s_and_saveexec_b32 s1, s0
	s_cbranch_execz .LBB57_13
; %bb.12:
	ds_load_b32 v1, v83 offset:320
.LBB57_13:
	s_or_b32 exec_lo, exec_lo, s1
	s_waitcnt lgkmcnt(0)
	ds_bpermute_b32 v4, v91, v1
	v_max_f32_e32 v1, v1, v1
	s_sub_i32 s1, s17, s7
	v_mov_b32_e32 v6, 0
	s_lshl_b32 s1, s1, 5
	s_delay_alu instid0(SALU_CYCLE_1) | instskip(NEXT) | instid1(SALU_CYCLE_1)
	s_add_i32 s1, s1, s30
	s_min_i32 s1, s1, s15
	s_delay_alu instid0(SALU_CYCLE_1) | instskip(NEXT) | instid1(SALU_CYCLE_1)
	s_sub_i32 s6, s1, s30
	v_cmp_gt_i32_e64 s1, s6, v0
	s_waitcnt lgkmcnt(0)
	v_max_f32_e32 v4, v4, v4
	s_delay_alu instid0(VALU_DEP_1) | instskip(SKIP_3) | instid1(VALU_DEP_1)
	v_max_f32_e32 v1, v1, v4
	ds_bpermute_b32 v4, v90, v1
	s_waitcnt lgkmcnt(0)
	v_max_f32_e32 v4, v4, v4
	v_max_f32_e32 v1, v1, v4
	v_lshl_add_u32 v4, v0, 2, 0x160
	ds_bpermute_b32 v1, v6, v1
	s_and_saveexec_b32 s7, s1
	s_cbranch_execz .LBB57_17
; %bb.14:
	v_lshl_add_u32 v7, v0, 2, 0x160
	v_mov_b32_e32 v6, 0
	v_mov_b32_e32 v8, v0
	s_mov_b32 s29, 0
	.p2align	6
.LBB57_15:                              ; =>This Inner Loop Header: Depth=1
	ds_load_b32 v9, v7
	v_add_nc_u32_e32 v8, 0x80, v8
	s_delay_alu instid0(VALU_DEP_1) | instskip(NEXT) | instid1(VALU_DEP_1)
	v_cmp_le_i32_e64 s3, s6, v8
	s_or_b32 s29, s3, s29
	s_waitcnt lgkmcnt(0)
	v_sub_f32_e32 v9, v9, v1
	s_delay_alu instid0(VALU_DEP_1) | instskip(NEXT) | instid1(VALU_DEP_1)
	v_mul_f32_e32 v9, 0x3fb8aa3b, v9
	v_exp_f32_e32 v9, v9
	ds_store_b32 v7, v9
	v_dual_add_f32 v6, v6, v9 :: v_dual_add_nc_u32 v7, 0x200, v7
	s_and_not1_b32 exec_lo, exec_lo, s29
	s_cbranch_execnz .LBB57_15
; %bb.16:
	s_or_b32 exec_lo, exec_lo, s29
.LBB57_17:
	s_delay_alu instid0(SALU_CYCLE_1)
	s_or_b32 exec_lo, exec_lo, s7
	ds_bpermute_b32 v2, v2, v6
	s_waitcnt lgkmcnt(0)
	v_add_f32_e32 v2, v6, v2
	ds_bpermute_b32 v3, v3, v2
	s_waitcnt lgkmcnt(0)
	v_add_f32_e32 v2, v2, v3
	;; [unrolled: 3-line block ×5, first 2 shown]
	s_and_saveexec_b32 s3, vcc_lo
	s_cbranch_execz .LBB57_19
; %bb.18:
	ds_store_b32 v5, v2 offset:336
.LBB57_19:
	s_or_b32 exec_lo, exec_lo, s3
	s_waitcnt lgkmcnt(0)
	s_barrier
	buffer_gl0_inv
	s_and_saveexec_b32 s3, s0
	s_cbranch_execz .LBB57_21
; %bb.20:
	ds_load_b32 v2, v83 offset:336
.LBB57_21:
	s_or_b32 exec_lo, exec_lo, s3
	s_waitcnt lgkmcnt(0)
	ds_bpermute_b32 v3, v91, v2
	s_waitcnt lgkmcnt(0)
	v_add_f32_e32 v2, v2, v3
	ds_bpermute_b32 v3, v90, v2
	s_waitcnt lgkmcnt(0)
	v_dual_add_f32 v2, v2, v3 :: v_dual_mov_b32 v3, 0
	ds_bpermute_b32 v2, v3, v2
	s_and_saveexec_b32 s0, s1
	s_cbranch_execz .LBB57_24
; %bb.22:
	s_waitcnt lgkmcnt(0)
	v_add_f32_e32 v3, 0x358637bd, v2
	s_mov_b32 s1, 0
	s_delay_alu instid0(VALU_DEP_1) | instskip(SKIP_1) | instid1(VALU_DEP_2)
	v_div_scale_f32 v5, null, v3, v3, 1.0
	v_div_scale_f32 v8, vcc_lo, 1.0, v3, 1.0
	v_rcp_f32_e32 v6, v5
	s_waitcnt_depctr 0xfff
	v_fma_f32 v7, -v5, v6, 1.0
	s_delay_alu instid0(VALU_DEP_1) | instskip(NEXT) | instid1(VALU_DEP_1)
	v_fmac_f32_e32 v6, v7, v6
	v_mul_f32_e32 v7, v8, v6
	s_delay_alu instid0(VALU_DEP_1) | instskip(NEXT) | instid1(VALU_DEP_1)
	v_fma_f32 v9, -v5, v7, v8
	v_fmac_f32_e32 v7, v9, v6
	s_delay_alu instid0(VALU_DEP_1) | instskip(NEXT) | instid1(VALU_DEP_1)
	v_fma_f32 v5, -v5, v7, v8
	v_div_fmas_f32 v5, v5, v6, v7
	s_delay_alu instid0(VALU_DEP_1)
	v_div_fixup_f32 v3, v5, v3, 1.0
	v_mov_b32_e32 v5, v0
.LBB57_23:                              ; =>This Inner Loop Header: Depth=1
	ds_load_b32 v6, v4
	s_waitcnt lgkmcnt(0)
	v_dual_mul_f32 v6, v3, v6 :: v_dual_add_nc_u32 v5, 0x80, v5
	s_delay_alu instid0(VALU_DEP_1) | instskip(SKIP_3) | instid1(SALU_CYCLE_1)
	v_cmp_le_i32_e32 vcc_lo, s6, v5
	ds_store_b32 v4, v6
	v_add_nc_u32_e32 v4, 0x200, v4
	s_or_b32 s1, vcc_lo, s1
	s_and_not1_b32 exec_lo, exec_lo, s1
	s_cbranch_execnz .LBB57_23
.LBB57_24:
	s_or_b32 exec_lo, exec_lo, s0
	s_mul_i32 s0, s4, s14
	s_waitcnt lgkmcnt(0)
	s_mul_i32 s6, s0, s13
	s_mov_b32 s0, exec_lo
	s_barrier
	buffer_gl0_inv
	v_cmpx_eq_u32_e32 0, v0
	s_cbranch_execz .LBB57_26
; %bb.25:
	s_ashr_i32 s7, s6, 31
	s_mul_i32 s36, s4, s22
	s_lshl_b64 s[34:35], s[6:7], 2
	v_mov_b32_e32 v3, 0
	s_add_u32 s1, s10, s34
	s_addc_u32 s3, s11, s35
	s_ashr_i32 s37, s36, 31
	s_delay_alu instid0(SALU_CYCLE_1) | instskip(NEXT) | instid1(SALU_CYCLE_1)
	s_lshl_b64 s[10:11], s[36:37], 2
	s_add_u32 s1, s1, s10
	s_addc_u32 s3, s3, s11
	s_ashr_i32 s13, s12, 31
	s_delay_alu instid0(SALU_CYCLE_1) | instskip(NEXT) | instid1(SALU_CYCLE_1)
	s_lshl_b64 s[36:37], s[12:13], 2
	s_add_u32 s38, s1, s36
	s_addc_u32 s39, s3, s37
	s_add_u32 s1, s8, s34
	s_addc_u32 s3, s9, s35
	;; [unrolled: 2-line block ×4, first 2 shown]
	s_clause 0x1
	global_store_b32 v3, v1, s[38:39]
	global_store_b32 v3, v2, s[8:9]
.LBB57_26:
	s_or_b32 exec_lo, exec_lo, s0
	v_dual_mov_b32 v111, 0 :: v_dual_mov_b32 v112, 0
	v_dual_mov_b32 v110, 0 :: v_dual_and_b32 v93, 7, v0
	v_dual_mov_b32 v113, 0 :: v_dual_mov_b32 v108, 0
	v_dual_mov_b32 v109, 0 :: v_dual_mov_b32 v106, 0
	;; [unrolled: 1-line block ×8, first 2 shown]
	v_mov_b32_e32 v95, 0
	s_and_saveexec_b32 s1, s2
	s_cbranch_execz .LBB57_70
; %bb.27:
	v_dual_mov_b32 v94, 0 :: v_dual_lshlrev_b32 v1, 2, v0
	v_dual_mov_b32 v95, 0 :: v_dual_lshlrev_b32 v2, 4, v93
	v_lshl_add_u32 v13, v88, 5, s30
	s_delay_alu instid0(VALU_DEP_3) | instskip(SKIP_4) | instid1(VALU_DEP_2)
	v_dual_mov_b32 v96, 0 :: v_dual_and_b32 v3, 0x7c, v1
	v_dual_mov_b32 v98, 0 :: v_dual_and_b32 v1, 28, v1
	s_ashr_i32 s29, s28, 31
	v_lshl_or_b32 v16, v88, 7, v2
	s_lshl_b64 s[2:3], s[28:29], 2
	v_add3_u32 v114, v13, v1, 3
	v_lshlrev_b64 v[1:2], 2, v[85:86]
	s_add_u32 s2, s24, s2
	s_addc_u32 s3, s25, s3
	s_lshl_b64 s[8:9], s[26:27], 2
	s_add_i32 s7, s23, -1
	v_or_b32_e32 v4, 0x400, v3
	v_or_b32_e32 v5, 0x480, v3
	;; [unrolled: 1-line block ×12, first 2 shown]
	s_add_u32 s0, s20, s8
	s_addc_u32 s8, s21, s9
	v_add_co_u32 v86, vcc_lo, s0, v1
	v_dual_mov_b32 v100, 0 :: v_dual_add_nc_u32 v115, 0x160, v16
	v_add_co_ci_u32_e32 v87, vcc_lo, s8, v2, vcc_lo
	v_dual_mov_b32 v97, 0 :: v_dual_lshlrev_b32 v116, 2, v3
	v_dual_mov_b32 v102, 0 :: v_dual_lshlrev_b32 v117, 2, v4
	;; [unrolled: 1-line block ×13, first 2 shown]
	v_mov_b32_e32 v113, 0
	v_mov_b32_e32 v111, 0
	s_mov_b32 s8, s5
	s_mov_b32 s5, 0
	s_branch .LBB57_29
.LBB57_28:                              ;   in Loop: Header=BB57_29 Depth=1
	s_or_b32 exec_lo, exec_lo, s0
	s_waitcnt vmcnt(19) lgkmcnt(0)
	v_mul_f32_e32 v6, v2, v6
	s_waitcnt vmcnt(9)
	v_mul_f32_e32 v46, v2, v46
	v_mul_f32_e32 v10, v2, v10
	s_waitcnt vmcnt(5)
	v_mul_f32_e32 v62, v2, v62
	v_mul_f32_e32 v38, v2, v38
	v_fmac_f32_e32 v6, v1, v5
	v_fmac_f32_e32 v46, v1, v45
	;; [unrolled: 1-line block ×3, first 2 shown]
	s_waitcnt vmcnt(3)
	v_mul_f32_e32 v74, v2, v74
	v_fmac_f32_e32 v38, v1, v37
	v_fmac_f32_e32 v6, v3, v7
	;; [unrolled: 1-line block ×4, first 2 shown]
	s_waitcnt vmcnt(1)
	v_dual_mul_f32 v82, v2, v82 :: v_dual_add_nc_u32 v85, 4, v85
	v_fmac_f32_e32 v6, v4, v8
	v_fmac_f32_e32 v62, v1, v61
	;; [unrolled: 1-line block ×4, first 2 shown]
	v_mul_f32_e32 v30, v2, v30
	v_fmac_f32_e32 v38, v3, v39
	s_delay_alu instid0(VALU_DEP_4) | instskip(SKIP_3) | instid1(VALU_DEP_4)
	v_dual_fmac_f32 v10, v4, v12 :: v_dual_add_f32 v103, v103, v46
	v_add_f32_e32 v111, v111, v6
	v_fmac_f32_e32 v62, v3, v63
	v_mul_f32_e32 v54, v2, v54
	v_add_f32_e32 v113, v113, v10
	v_mul_f32_e32 v22, v2, v22
	v_fmac_f32_e32 v30, v1, v29
	v_fmac_f32_e32 v62, v4, v64
	v_fmac_f32_e32 v82, v1, v81
	v_fmac_f32_e32 v38, v4, v40
	v_fmac_f32_e32 v74, v3, v75
	v_dual_mul_f32 v78, v2, v78 :: v_dual_add_nc_u32 v115, 0x200, v115
	v_mul_f32_e32 v70, v2, v70
	v_mul_f32_e32 v58, v2, v58
	v_add_f32_e32 v99, v99, v62
	v_mul_f32_e32 v50, v2, v50
	v_mul_f32_e32 v42, v2, v42
	v_fmac_f32_e32 v54, v1, v53
	v_mul_f32_e32 v34, v2, v34
	v_mul_f32_e32 v26, v2, v26
	v_fmac_f32_e32 v22, v1, v21
	v_dual_fmac_f32 v30, v3, v31 :: v_dual_add_f32 v105, v105, v38
	v_fmac_f32_e32 v74, v4, v76
	v_fmac_f32_e32 v82, v3, v83
	v_mul_f32_e32 v18, v2, v18
	v_mul_f32_e32 v14, v2, v14
	s_waitcnt vmcnt(0)
	v_mul_f32_e32 v2, v2, v66
	v_dual_add_f32 v97, v97, v74 :: v_dual_fmac_f32 v82, v4, v84
	v_fmac_f32_e32 v78, v1, v77
	v_fmac_f32_e32 v58, v1, v57
	;; [unrolled: 1-line block ×3, first 2 shown]
	s_delay_alu instid0(VALU_DEP_4)
	v_dual_fmac_f32 v42, v1, v41 :: v_dual_add_f32 v95, v95, v82
	v_fmac_f32_e32 v54, v3, v55
	v_fmac_f32_e32 v34, v1, v33
	;; [unrolled: 1-line block ×8, first 2 shown]
	s_delay_alu instid0(VALU_DEP_4)
	v_dual_fmac_f32 v2, v1, v65 :: v_dual_add_f32 v107, v107, v30
	v_fmac_f32_e32 v58, v3, v59
	v_fmac_f32_e32 v50, v3, v51
	;; [unrolled: 1-line block ×7, first 2 shown]
	s_delay_alu instid0(VALU_DEP_4) | instskip(SKIP_2) | instid1(VALU_DEP_3)
	v_dual_fmac_f32 v22, v4, v24 :: v_dual_add_f32 v101, v101, v54
	v_fmac_f32_e32 v70, v3, v71
	v_fmac_f32_e32 v18, v3, v19
	v_dual_fmac_f32 v14, v3, v15 :: v_dual_add_f32 v109, v109, v22
	v_fmac_f32_e32 v2, v3, v67
	v_fmac_f32_e32 v78, v4, v80
	;; [unrolled: 1-line block ×11, first 2 shown]
	v_cmp_le_i32_e32 vcc_lo, s17, v85
	v_add_co_u32 v86, s0, v86, 16
	v_add_f32_e32 v96, v96, v78
	v_add_f32_e32 v98, v98, v70
	;; [unrolled: 1-line block ×10, first 2 shown]
	v_add_nc_u32_e32 v114, 0x80, v114
	v_add_co_ci_u32_e64 v87, s0, 0, v87, s0
	s_or_b32 s5, vcc_lo, s5
	s_delay_alu instid0(SALU_CYCLE_1)
	s_and_not1_b32 exec_lo, exec_lo, s5
	s_cbranch_execz .LBB57_69
.LBB57_29:                              ; =>This Inner Loop Header: Depth=1
	global_load_b32 v3, v[86:87], off
	v_add_nc_u32_e32 v129, -3, v114
	v_add_nc_u32_e32 v131, -2, v114
	;; [unrolled: 1-line block ×3, first 2 shown]
	s_waitcnt vmcnt(0)
	v_mad_i64_i32 v[1:2], null, v3, s8, 0
	s_delay_alu instid0(VALU_DEP_1) | instskip(NEXT) | instid1(VALU_DEP_1)
	v_lshlrev_b64 v[1:2], 2, v[1:2]
	v_add_co_u32 v65, vcc_lo, s2, v1
	s_delay_alu instid0(VALU_DEP_2)
	v_add_co_ci_u32_e32 v66, vcc_lo, s3, v2, vcc_lo
	ds_load_b128 v[1:4], v115
	v_add_co_u32 v33, vcc_lo, v65, v116
	v_add_co_ci_u32_e32 v34, vcc_lo, 0, v66, vcc_lo
	v_cmp_eq_u32_e32 vcc_lo, s7, v85
	global_load_b128 v[5:8], v[33:34], off
	s_and_saveexec_b32 s9, vcc_lo
	s_cbranch_execnz .LBB57_62
; %bb.30:                               ;   in Loop: Header=BB57_29 Depth=1
	s_or_b32 exec_lo, exec_lo, s9
	global_load_b128 v[9:12], v[33:34], off offset:512
	s_and_saveexec_b32 s9, vcc_lo
	s_cbranch_execnz .LBB57_63
.LBB57_31:                              ;   in Loop: Header=BB57_29 Depth=1
	s_or_b32 exec_lo, exec_lo, s9
	global_load_b128 v[13:16], v[33:34], off offset:1024
	s_and_saveexec_b32 s9, vcc_lo
	s_cbranch_execnz .LBB57_64
.LBB57_32:                              ;   in Loop: Header=BB57_29 Depth=1
	s_or_b32 exec_lo, exec_lo, s9
	global_load_b128 v[17:20], v[33:34], off offset:1536
	s_and_saveexec_b32 s9, vcc_lo
	s_cbranch_execnz .LBB57_65
.LBB57_33:                              ;   in Loop: Header=BB57_29 Depth=1
	s_or_b32 exec_lo, exec_lo, s9
	global_load_b128 v[21:24], v[33:34], off offset:2048
	s_and_saveexec_b32 s9, vcc_lo
	s_cbranch_execnz .LBB57_66
.LBB57_34:                              ;   in Loop: Header=BB57_29 Depth=1
	s_or_b32 exec_lo, exec_lo, s9
	global_load_b128 v[25:28], v[33:34], off offset:2560
	s_and_saveexec_b32 s9, vcc_lo
	s_cbranch_execnz .LBB57_67
.LBB57_35:                              ;   in Loop: Header=BB57_29 Depth=1
	s_or_b32 exec_lo, exec_lo, s9
	global_load_b128 v[29:32], v[33:34], off offset:3072
	s_and_saveexec_b32 s9, vcc_lo
	s_cbranch_execnz .LBB57_68
.LBB57_36:                              ;   in Loop: Header=BB57_29 Depth=1
	s_or_b32 exec_lo, exec_lo, s9
	global_load_b128 v[33:36], v[33:34], off offset:3584
	s_and_saveexec_b32 s9, vcc_lo
	s_cbranch_execz .LBB57_38
.LBB57_37:                              ;   in Loop: Header=BB57_29 Depth=1
	v_cmp_gt_i32_e64 s0, s15, v129
	s_waitcnt vmcnt(0)
	s_delay_alu instid0(VALU_DEP_1) | instskip(SKIP_1) | instid1(VALU_DEP_1)
	v_cndmask_b32_e64 v33, 0, v33, s0
	v_cmp_gt_i32_e64 s0, s15, v131
	v_cndmask_b32_e64 v34, 0, v34, s0
	v_cmp_gt_i32_e64 s0, s15, v130
	s_delay_alu instid0(VALU_DEP_1) | instskip(SKIP_1) | instid1(VALU_DEP_1)
	v_cndmask_b32_e64 v35, 0, v35, s0
	v_cmp_gt_i32_e64 s0, s15, v114
	v_cndmask_b32_e64 v36, 0, v36, s0
.LBB57_38:                              ;   in Loop: Header=BB57_29 Depth=1
	s_or_b32 exec_lo, exec_lo, s9
	v_add_co_u32 v37, s0, v65, v117
	s_delay_alu instid0(VALU_DEP_1)
	v_add_co_ci_u32_e64 v38, s0, 0, v66, s0
	global_load_b128 v[37:40], v[37:38], off
	s_and_saveexec_b32 s9, vcc_lo
	s_cbranch_execz .LBB57_40
; %bb.39:                               ;   in Loop: Header=BB57_29 Depth=1
	v_cmp_gt_i32_e64 s0, s15, v129
	s_waitcnt vmcnt(0)
	s_delay_alu instid0(VALU_DEP_1) | instskip(SKIP_1) | instid1(VALU_DEP_1)
	v_cndmask_b32_e64 v37, 0, v37, s0
	v_cmp_gt_i32_e64 s0, s15, v131
	v_cndmask_b32_e64 v38, 0, v38, s0
	v_cmp_gt_i32_e64 s0, s15, v130
	s_delay_alu instid0(VALU_DEP_1) | instskip(SKIP_1) | instid1(VALU_DEP_1)
	v_cndmask_b32_e64 v39, 0, v39, s0
	v_cmp_gt_i32_e64 s0, s15, v114
	v_cndmask_b32_e64 v40, 0, v40, s0
.LBB57_40:                              ;   in Loop: Header=BB57_29 Depth=1
	s_or_b32 exec_lo, exec_lo, s9
	v_add_co_u32 v41, s0, v65, v118
	s_delay_alu instid0(VALU_DEP_1)
	v_add_co_ci_u32_e64 v42, s0, 0, v66, s0
	global_load_b128 v[41:44], v[41:42], off
	s_and_saveexec_b32 s9, vcc_lo
	s_cbranch_execz .LBB57_42
; %bb.41:                               ;   in Loop: Header=BB57_29 Depth=1
	v_cmp_gt_i32_e64 s0, s15, v129
	s_waitcnt vmcnt(0)
	s_delay_alu instid0(VALU_DEP_1) | instskip(SKIP_1) | instid1(VALU_DEP_1)
	v_cndmask_b32_e64 v41, 0, v41, s0
	v_cmp_gt_i32_e64 s0, s15, v131
	v_cndmask_b32_e64 v42, 0, v42, s0
	v_cmp_gt_i32_e64 s0, s15, v130
	s_delay_alu instid0(VALU_DEP_1) | instskip(SKIP_1) | instid1(VALU_DEP_1)
	v_cndmask_b32_e64 v43, 0, v43, s0
	v_cmp_gt_i32_e64 s0, s15, v114
	v_cndmask_b32_e64 v44, 0, v44, s0
.LBB57_42:                              ;   in Loop: Header=BB57_29 Depth=1
	;; [unrolled: 20-line block ×11, first 2 shown]
	s_or_b32 exec_lo, exec_lo, s9
	v_add_co_u32 v65, s0, v65, v128
	s_delay_alu instid0(VALU_DEP_1)
	v_add_co_ci_u32_e64 v66, s0, 0, v66, s0
	global_load_b128 v[65:68], v[65:66], off
	s_and_saveexec_b32 s0, vcc_lo
	s_cbranch_execz .LBB57_28
; %bb.61:                               ;   in Loop: Header=BB57_29 Depth=1
	v_cmp_gt_i32_e32 vcc_lo, s15, v129
	s_waitcnt vmcnt(0)
	v_cndmask_b32_e32 v65, 0, v65, vcc_lo
	v_cmp_gt_i32_e32 vcc_lo, s15, v131
	v_cndmask_b32_e32 v66, 0, v66, vcc_lo
	v_cmp_gt_i32_e32 vcc_lo, s15, v130
	;; [unrolled: 2-line block ×3, first 2 shown]
	v_cndmask_b32_e32 v68, 0, v68, vcc_lo
	s_branch .LBB57_28
.LBB57_62:                              ;   in Loop: Header=BB57_29 Depth=1
	v_cmp_gt_i32_e64 s0, s15, v129
	s_waitcnt vmcnt(0)
	s_delay_alu instid0(VALU_DEP_1) | instskip(SKIP_1) | instid1(VALU_DEP_1)
	v_cndmask_b32_e64 v5, 0, v5, s0
	v_cmp_gt_i32_e64 s0, s15, v131
	v_cndmask_b32_e64 v6, 0, v6, s0
	v_cmp_gt_i32_e64 s0, s15, v130
	s_delay_alu instid0(VALU_DEP_1) | instskip(SKIP_1) | instid1(VALU_DEP_1)
	v_cndmask_b32_e64 v7, 0, v7, s0
	v_cmp_gt_i32_e64 s0, s15, v114
	v_cndmask_b32_e64 v8, 0, v8, s0
	s_or_b32 exec_lo, exec_lo, s9
	global_load_b128 v[9:12], v[33:34], off offset:512
	s_and_saveexec_b32 s9, vcc_lo
	s_cbranch_execz .LBB57_31
.LBB57_63:                              ;   in Loop: Header=BB57_29 Depth=1
	v_cmp_gt_i32_e64 s0, s15, v129
	s_waitcnt vmcnt(0)
	s_delay_alu instid0(VALU_DEP_1) | instskip(SKIP_1) | instid1(VALU_DEP_1)
	v_cndmask_b32_e64 v9, 0, v9, s0
	v_cmp_gt_i32_e64 s0, s15, v131
	v_cndmask_b32_e64 v10, 0, v10, s0
	v_cmp_gt_i32_e64 s0, s15, v130
	s_delay_alu instid0(VALU_DEP_1) | instskip(SKIP_1) | instid1(VALU_DEP_1)
	v_cndmask_b32_e64 v11, 0, v11, s0
	v_cmp_gt_i32_e64 s0, s15, v114
	v_cndmask_b32_e64 v12, 0, v12, s0
	s_or_b32 exec_lo, exec_lo, s9
	global_load_b128 v[13:16], v[33:34], off offset:1024
	s_and_saveexec_b32 s9, vcc_lo
	s_cbranch_execz .LBB57_32
.LBB57_64:                              ;   in Loop: Header=BB57_29 Depth=1
	v_cmp_gt_i32_e64 s0, s15, v129
	s_waitcnt vmcnt(0)
	s_delay_alu instid0(VALU_DEP_1) | instskip(SKIP_1) | instid1(VALU_DEP_1)
	v_cndmask_b32_e64 v13, 0, v13, s0
	v_cmp_gt_i32_e64 s0, s15, v131
	v_cndmask_b32_e64 v14, 0, v14, s0
	v_cmp_gt_i32_e64 s0, s15, v130
	s_delay_alu instid0(VALU_DEP_1) | instskip(SKIP_1) | instid1(VALU_DEP_1)
	v_cndmask_b32_e64 v15, 0, v15, s0
	v_cmp_gt_i32_e64 s0, s15, v114
	v_cndmask_b32_e64 v16, 0, v16, s0
	s_or_b32 exec_lo, exec_lo, s9
	global_load_b128 v[17:20], v[33:34], off offset:1536
	s_and_saveexec_b32 s9, vcc_lo
	s_cbranch_execz .LBB57_33
.LBB57_65:                              ;   in Loop: Header=BB57_29 Depth=1
	v_cmp_gt_i32_e64 s0, s15, v129
	s_waitcnt vmcnt(0)
	s_delay_alu instid0(VALU_DEP_1) | instskip(SKIP_1) | instid1(VALU_DEP_1)
	v_cndmask_b32_e64 v17, 0, v17, s0
	v_cmp_gt_i32_e64 s0, s15, v131
	v_cndmask_b32_e64 v18, 0, v18, s0
	v_cmp_gt_i32_e64 s0, s15, v130
	s_delay_alu instid0(VALU_DEP_1) | instskip(SKIP_1) | instid1(VALU_DEP_1)
	v_cndmask_b32_e64 v19, 0, v19, s0
	v_cmp_gt_i32_e64 s0, s15, v114
	v_cndmask_b32_e64 v20, 0, v20, s0
	s_or_b32 exec_lo, exec_lo, s9
	global_load_b128 v[21:24], v[33:34], off offset:2048
	s_and_saveexec_b32 s9, vcc_lo
	s_cbranch_execz .LBB57_34
.LBB57_66:                              ;   in Loop: Header=BB57_29 Depth=1
	v_cmp_gt_i32_e64 s0, s15, v129
	s_waitcnt vmcnt(0)
	s_delay_alu instid0(VALU_DEP_1) | instskip(SKIP_1) | instid1(VALU_DEP_1)
	v_cndmask_b32_e64 v21, 0, v21, s0
	v_cmp_gt_i32_e64 s0, s15, v131
	v_cndmask_b32_e64 v22, 0, v22, s0
	v_cmp_gt_i32_e64 s0, s15, v130
	s_delay_alu instid0(VALU_DEP_1) | instskip(SKIP_1) | instid1(VALU_DEP_1)
	v_cndmask_b32_e64 v23, 0, v23, s0
	v_cmp_gt_i32_e64 s0, s15, v114
	v_cndmask_b32_e64 v24, 0, v24, s0
	s_or_b32 exec_lo, exec_lo, s9
	global_load_b128 v[25:28], v[33:34], off offset:2560
	s_and_saveexec_b32 s9, vcc_lo
	s_cbranch_execz .LBB57_35
.LBB57_67:                              ;   in Loop: Header=BB57_29 Depth=1
	v_cmp_gt_i32_e64 s0, s15, v129
	s_waitcnt vmcnt(0)
	s_delay_alu instid0(VALU_DEP_1) | instskip(SKIP_1) | instid1(VALU_DEP_1)
	v_cndmask_b32_e64 v25, 0, v25, s0
	v_cmp_gt_i32_e64 s0, s15, v131
	v_cndmask_b32_e64 v26, 0, v26, s0
	v_cmp_gt_i32_e64 s0, s15, v130
	s_delay_alu instid0(VALU_DEP_1) | instskip(SKIP_1) | instid1(VALU_DEP_1)
	v_cndmask_b32_e64 v27, 0, v27, s0
	v_cmp_gt_i32_e64 s0, s15, v114
	v_cndmask_b32_e64 v28, 0, v28, s0
	s_or_b32 exec_lo, exec_lo, s9
	global_load_b128 v[29:32], v[33:34], off offset:3072
	s_and_saveexec_b32 s9, vcc_lo
	s_cbranch_execz .LBB57_36
.LBB57_68:                              ;   in Loop: Header=BB57_29 Depth=1
	v_cmp_gt_i32_e64 s0, s15, v129
	s_waitcnt vmcnt(0)
	s_delay_alu instid0(VALU_DEP_1) | instskip(SKIP_1) | instid1(VALU_DEP_1)
	v_cndmask_b32_e64 v29, 0, v29, s0
	v_cmp_gt_i32_e64 s0, s15, v131
	v_cndmask_b32_e64 v30, 0, v30, s0
	v_cmp_gt_i32_e64 s0, s15, v130
	s_delay_alu instid0(VALU_DEP_1) | instskip(SKIP_1) | instid1(VALU_DEP_1)
	v_cndmask_b32_e64 v31, 0, v31, s0
	v_cmp_gt_i32_e64 s0, s15, v114
	v_cndmask_b32_e64 v32, 0, v32, s0
	s_or_b32 exec_lo, exec_lo, s9
	global_load_b128 v[33:36], v[33:34], off offset:3584
	s_and_saveexec_b32 s9, vcc_lo
	s_cbranch_execnz .LBB57_37
	s_branch .LBB57_38
.LBB57_69:
	s_or_b32 exec_lo, exec_lo, s5
.LBB57_70:
	s_delay_alu instid0(SALU_CYCLE_1)
	s_or_b32 exec_lo, exec_lo, s1
	ds_bpermute_b32 v7, v92, v107
	ds_bpermute_b32 v8, v92, v106
	;; [unrolled: 1-line block ×19, first 2 shown]
	s_movk_i32 s0, 0x140
	s_waitcnt lgkmcnt(17)
	v_dual_add_f32 v7, v107, v7 :: v_dual_add_f32 v8, v106, v8
	s_waitcnt lgkmcnt(15)
	v_dual_add_f32 v1, v111, v1 :: v_dual_add_f32 v2, v113, v2
	;; [unrolled: 2-line block ×3, first 2 shown]
	ds_bpermute_b32 v18, v91, v7
	ds_bpermute_b32 v24, v91, v8
	s_waitcnt lgkmcnt(14)
	v_add_f32_e32 v9, v105, v9
	s_waitcnt lgkmcnt(12)
	v_dual_add_f32 v11, v103, v11 :: v_dual_add_f32 v20, v101, v20
	s_waitcnt lgkmcnt(10)
	v_dual_add_f32 v5, v109, v5 :: v_dual_add_f32 v6, v108, v6
	ds_bpermute_b32 v12, v91, v1
	ds_bpermute_b32 v13, v91, v2
	;; [unrolled: 1-line block ×4, first 2 shown]
	s_waitcnt lgkmcnt(13)
	v_add_f32_e32 v10, v104, v10
	ds_bpermute_b32 v28, v91, v9
	s_waitcnt lgkmcnt(12)
	v_dual_add_f32 v19, v102, v19 :: v_dual_add_f32 v22, v99, v22
	ds_bpermute_b32 v30, v91, v20
	ds_bpermute_b32 v16, v91, v5
	;; [unrolled: 1-line block ×3, first 2 shown]
	s_waitcnt lgkmcnt(13)
	v_add_f32_e32 v23, v98, v23
	ds_bpermute_b32 v32, v91, v22
	s_waitcnt lgkmcnt(9)
	v_dual_add_f32 v7, v7, v18 :: v_dual_add_f32 v8, v8, v24
	ds_bpermute_b32 v18, v92, v94
	ds_bpermute_b32 v24, v91, v10
	v_add_f32_e32 v21, v100, v21
	v_dual_add_f32 v25, v97, v25 :: v_dual_add_f32 v26, v96, v26
	s_waitcnt lgkmcnt(9)
	v_dual_add_f32 v1, v1, v12 :: v_dual_add_f32 v2, v2, v13
	s_waitcnt lgkmcnt(7)
	v_dual_add_f32 v3, v3, v14 :: v_dual_add_f32 v4, v4, v15
	v_add_f32_e32 v27, v95, v27
	s_waitcnt lgkmcnt(6)
	v_add_f32_e32 v9, v9, v28
	ds_bpermute_b32 v13, v90, v2
	ds_bpermute_b32 v28, v91, v11
	s_waitcnt lgkmcnt(7)
	v_add_f32_e32 v20, v20, v30
	ds_bpermute_b32 v33, v91, v23
	s_waitcnt lgkmcnt(6)
	v_dual_add_f32 v5, v5, v16 :: v_dual_add_f32 v6, v6, v17
	ds_bpermute_b32 v15, v90, v4
	ds_bpermute_b32 v29, v91, v19
	;; [unrolled: 1-line block ×3, first 2 shown]
	s_waitcnt lgkmcnt(7)
	v_add_f32_e32 v18, v94, v18
	ds_bpermute_b32 v31, v91, v21
	s_waitcnt lgkmcnt(7)
	v_add_f32_e32 v10, v10, v24
	ds_bpermute_b32 v34, v91, v25
	v_add_f32_e32 v22, v22, v32
	ds_bpermute_b32 v36, v91, v27
	ds_bpermute_b32 v24, v91, v18
	;; [unrolled: 1-line block ×7, first 2 shown]
	s_waitcnt lgkmcnt(13)
	v_add_f32_e32 v11, v11, v28
	ds_bpermute_b32 v12, v90, v1
	s_waitcnt lgkmcnt(13)
	v_add_f32_e32 v23, v23, v33
	ds_bpermute_b32 v39, v90, v9
	ds_bpermute_b32 v28, v90, v10
	s_waitcnt lgkmcnt(13)
	v_dual_add_f32 v4, v4, v15 :: v_dual_add_f32 v19, v19, v29
	s_waitcnt lgkmcnt(12)
	v_add_f32_e32 v26, v26, v35
	s_waitcnt lgkmcnt(11)
	v_dual_add_f32 v2, v2, v13 :: v_dual_add_f32 v21, v21, v31
	ds_bpermute_b32 v29, v90, v11
	s_waitcnt lgkmcnt(11)
	v_add_f32_e32 v25, v25, v34
	ds_bpermute_b32 v34, v90, v23
	s_waitcnt lgkmcnt(11)
	v_add_f32_e32 v27, v27, v36
	;; [unrolled: 3-line block ×3, first 2 shown]
	s_waitcnt lgkmcnt(9)
	v_add_f32_e32 v8, v8, v38
	ds_bpermute_b32 v30, v90, v19
	ds_bpermute_b32 v31, v90, v20
	;; [unrolled: 1-line block ×6, first 2 shown]
	v_add_f32_e32 v6, v6, v17
	ds_bpermute_b32 v35, v90, v25
	s_waitcnt lgkmcnt(10)
	v_dual_add_f32 v3, v3, v14 :: v_dual_add_f32 v10, v10, v28
	v_add_f32_e32 v5, v5, v16
	v_add_f32_e32 v7, v7, v37
	v_add_f32_e32 v1, v1, v12
	v_add_f32_e32 v9, v9, v39
	s_waitcnt lgkmcnt(9)
	v_add_f32_e32 v11, v11, v29
	s_waitcnt lgkmcnt(8)
	v_dual_add_f32 v16, v23, v34 :: v_dual_and_b32 v23, 0x3c7, v0
	s_waitcnt lgkmcnt(7)
	v_add_f32_e32 v14, v21, v32
	v_lshrrev_b32_e32 v21, 3, v89
	s_waitcnt lgkmcnt(0)
	s_waitcnt_vscnt null, 0x0
	v_dual_add_f32 v12, v19, v30 :: v_dual_add_f32 v13, v20, v31
	v_add_f32_e32 v15, v22, v33
	v_add_f32_e32 v18, v26, v36
	v_dual_add_f32 v19, v27, v40 :: v_dual_add_f32 v20, v24, v41
	v_mad_u32_u24 v22, v88, s0, 0x160
	v_add_f32_e32 v17, v25, v35
	v_cmp_eq_u32_e32 vcc_lo, 64, v23
	v_lshlrev_b32_e32 v23, 2, v21
	s_barrier
	buffer_gl0_inv
	s_and_saveexec_b32 s0, vcc_lo
	s_cbranch_execz .LBB57_72
; %bb.71:
	v_add3_u32 v24, v22, v23, 0xfffffd80
	ds_store_2addr_b32 v24, v1, v2 offset1:4
	ds_store_2addr_b32 v24, v3, v4 offset0:8 offset1:12
	ds_store_2addr_b32 v24, v5, v6 offset0:16 offset1:20
	;; [unrolled: 1-line block ×9, first 2 shown]
.LBB57_72:
	s_or_b32 exec_lo, exec_lo, s0
	v_cmp_eq_u32_e32 vcc_lo, 0, v93
	s_mov_b32 s1, exec_lo
	s_waitcnt lgkmcnt(0)
	s_barrier
	buffer_gl0_inv
	v_cmpx_gt_u32_e32 64, v0
	s_cbranch_execz .LBB57_95
; %bb.73:
	s_and_saveexec_b32 s0, vcc_lo
	s_cbranch_execnz .LBB57_123
; %bb.74:
	s_or_b32 exec_lo, exec_lo, s0
	s_and_saveexec_b32 s0, vcc_lo
	s_cbranch_execnz .LBB57_124
.LBB57_75:
	s_or_b32 exec_lo, exec_lo, s0
	s_and_saveexec_b32 s0, vcc_lo
	s_cbranch_execnz .LBB57_125
.LBB57_76:
	s_or_b32 exec_lo, exec_lo, s0
	s_and_saveexec_b32 s0, vcc_lo
	s_cbranch_execnz .LBB57_126
.LBB57_77:
	s_or_b32 exec_lo, exec_lo, s0
	s_and_saveexec_b32 s0, vcc_lo
	s_cbranch_execnz .LBB57_127
.LBB57_78:
	s_or_b32 exec_lo, exec_lo, s0
	s_and_saveexec_b32 s0, vcc_lo
	s_cbranch_execnz .LBB57_128
.LBB57_79:
	s_or_b32 exec_lo, exec_lo, s0
	s_and_saveexec_b32 s0, vcc_lo
	s_cbranch_execnz .LBB57_129
.LBB57_80:
	s_or_b32 exec_lo, exec_lo, s0
	s_and_saveexec_b32 s0, vcc_lo
	s_cbranch_execnz .LBB57_130
.LBB57_81:
	s_or_b32 exec_lo, exec_lo, s0
	s_and_saveexec_b32 s0, vcc_lo
	s_cbranch_execnz .LBB57_131
.LBB57_82:
	s_or_b32 exec_lo, exec_lo, s0
	s_and_saveexec_b32 s0, vcc_lo
	s_cbranch_execnz .LBB57_132
.LBB57_83:
	s_or_b32 exec_lo, exec_lo, s0
	s_and_saveexec_b32 s0, vcc_lo
	s_cbranch_execnz .LBB57_133
.LBB57_84:
	s_or_b32 exec_lo, exec_lo, s0
	s_and_saveexec_b32 s0, vcc_lo
	s_cbranch_execnz .LBB57_134
.LBB57_85:
	s_or_b32 exec_lo, exec_lo, s0
	s_and_saveexec_b32 s0, vcc_lo
	s_cbranch_execnz .LBB57_135
.LBB57_86:
	s_or_b32 exec_lo, exec_lo, s0
	s_and_saveexec_b32 s0, vcc_lo
	s_cbranch_execnz .LBB57_136
.LBB57_87:
	s_or_b32 exec_lo, exec_lo, s0
	s_and_saveexec_b32 s0, vcc_lo
	s_cbranch_execnz .LBB57_137
.LBB57_88:
	s_or_b32 exec_lo, exec_lo, s0
	s_and_saveexec_b32 s0, vcc_lo
	s_cbranch_execnz .LBB57_138
.LBB57_89:
	s_or_b32 exec_lo, exec_lo, s0
	s_and_saveexec_b32 s0, vcc_lo
	s_cbranch_execnz .LBB57_139
.LBB57_90:
	s_or_b32 exec_lo, exec_lo, s0
	s_and_saveexec_b32 s0, vcc_lo
	s_cbranch_execnz .LBB57_140
.LBB57_91:
	s_or_b32 exec_lo, exec_lo, s0
	s_and_saveexec_b32 s0, vcc_lo
	s_cbranch_execnz .LBB57_141
.LBB57_92:
	s_or_b32 exec_lo, exec_lo, s0
	s_and_saveexec_b32 s0, vcc_lo
	s_cbranch_execz .LBB57_94
.LBB57_93:
	v_lshl_add_u32 v24, v21, 2, v22
	ds_load_b32 v24, v24 offset:304
	s_waitcnt lgkmcnt(0)
	v_add_f32_e32 v20, v20, v24
.LBB57_94:
	s_or_b32 exec_lo, exec_lo, s0
.LBB57_95:
	s_delay_alu instid0(SALU_CYCLE_1)
	s_or_b32 exec_lo, exec_lo, s1
	v_and_b32_e32 v24, 0x3e7, v0
	s_mov_b32 s1, exec_lo
	s_barrier
	buffer_gl0_inv
	v_cmpx_eq_u32_e32 32, v24
	s_cbranch_execz .LBB57_97
; %bb.96:
	v_add3_u32 v23, v22, v23, 0xfffffec0
	ds_store_2addr_b32 v23, v1, v2 offset1:4
	ds_store_2addr_b32 v23, v3, v4 offset0:8 offset1:12
	ds_store_2addr_b32 v23, v5, v6 offset0:16 offset1:20
	;; [unrolled: 1-line block ×9, first 2 shown]
.LBB57_97:
	s_or_b32 exec_lo, exec_lo, s1
	s_delay_alu instid0(SALU_CYCLE_1)
	s_mov_b32 s1, exec_lo
	s_waitcnt lgkmcnt(0)
	s_barrier
	buffer_gl0_inv
	v_cmpx_gt_u32_e32 32, v0
	s_cbranch_execz .LBB57_120
; %bb.98:
	v_lshl_add_u32 v21, v21, 2, v22
	s_and_saveexec_b32 s0, vcc_lo
	s_cbranch_execnz .LBB57_142
; %bb.99:
	s_or_b32 exec_lo, exec_lo, s0
	s_and_saveexec_b32 s0, vcc_lo
	s_cbranch_execnz .LBB57_143
.LBB57_100:
	s_or_b32 exec_lo, exec_lo, s0
	s_and_saveexec_b32 s0, vcc_lo
	s_cbranch_execnz .LBB57_144
.LBB57_101:
	s_or_b32 exec_lo, exec_lo, s0
	s_and_saveexec_b32 s0, vcc_lo
	s_cbranch_execnz .LBB57_145
.LBB57_102:
	s_or_b32 exec_lo, exec_lo, s0
	s_and_saveexec_b32 s0, vcc_lo
	s_cbranch_execnz .LBB57_146
.LBB57_103:
	s_or_b32 exec_lo, exec_lo, s0
	s_and_saveexec_b32 s0, vcc_lo
	s_cbranch_execnz .LBB57_147
.LBB57_104:
	s_or_b32 exec_lo, exec_lo, s0
	s_and_saveexec_b32 s0, vcc_lo
	s_cbranch_execnz .LBB57_148
.LBB57_105:
	s_or_b32 exec_lo, exec_lo, s0
	s_and_saveexec_b32 s0, vcc_lo
	s_cbranch_execnz .LBB57_149
.LBB57_106:
	s_or_b32 exec_lo, exec_lo, s0
	s_and_saveexec_b32 s0, vcc_lo
	s_cbranch_execnz .LBB57_150
.LBB57_107:
	s_or_b32 exec_lo, exec_lo, s0
	s_and_saveexec_b32 s0, vcc_lo
	s_cbranch_execnz .LBB57_151
.LBB57_108:
	s_or_b32 exec_lo, exec_lo, s0
	s_and_saveexec_b32 s0, vcc_lo
	s_cbranch_execnz .LBB57_152
.LBB57_109:
	s_or_b32 exec_lo, exec_lo, s0
	s_and_saveexec_b32 s0, vcc_lo
	s_cbranch_execnz .LBB57_153
.LBB57_110:
	s_or_b32 exec_lo, exec_lo, s0
	s_and_saveexec_b32 s0, vcc_lo
	s_cbranch_execnz .LBB57_154
.LBB57_111:
	s_or_b32 exec_lo, exec_lo, s0
	s_and_saveexec_b32 s0, vcc_lo
	s_cbranch_execnz .LBB57_155
.LBB57_112:
	s_or_b32 exec_lo, exec_lo, s0
	s_and_saveexec_b32 s0, vcc_lo
	s_cbranch_execnz .LBB57_156
.LBB57_113:
	s_or_b32 exec_lo, exec_lo, s0
	s_and_saveexec_b32 s0, vcc_lo
	s_cbranch_execnz .LBB57_157
.LBB57_114:
	s_or_b32 exec_lo, exec_lo, s0
	s_and_saveexec_b32 s0, vcc_lo
	s_cbranch_execnz .LBB57_158
.LBB57_115:
	s_or_b32 exec_lo, exec_lo, s0
	s_and_saveexec_b32 s0, vcc_lo
	s_cbranch_execnz .LBB57_159
.LBB57_116:
	s_or_b32 exec_lo, exec_lo, s0
	s_and_saveexec_b32 s0, vcc_lo
	s_cbranch_execnz .LBB57_160
.LBB57_117:
	s_or_b32 exec_lo, exec_lo, s0
	s_and_saveexec_b32 s0, vcc_lo
	s_cbranch_execz .LBB57_119
.LBB57_118:
	ds_load_b32 v21, v21 offset:304
	s_waitcnt lgkmcnt(0)
	v_add_f32_e32 v20, v20, v21
.LBB57_119:
	s_or_b32 exec_lo, exec_lo, s0
.LBB57_120:
	s_delay_alu instid0(SALU_CYCLE_1)
	s_or_b32 exec_lo, exec_lo, s1
	s_barrier
	buffer_gl0_inv
	s_mov_b32 s0, exec_lo
	v_cmpx_eq_u32_e32 0, v24
	s_cbranch_execz .LBB57_122
; %bb.121:
	s_mul_i32 s0, s6, 0x50
	s_mul_i32 s2, s4, s16
	s_ashr_i32 s1, s0, 31
	v_lshrrev_b32_e32 v0, 1, v0
	s_lshl_b64 s[0:1], s[0:1], 2
	s_delay_alu instid0(SALU_CYCLE_1) | instskip(SKIP_2) | instid1(SALU_CYCLE_1)
	s_add_u32 s4, s18, s0
	s_addc_u32 s5, s19, s1
	s_ashr_i32 s3, s2, 31
	s_lshl_b64 s[0:1], s[2:3], 2
	s_mul_i32 s2, s12, 0x50
	s_add_u32 s4, s4, s0
	s_addc_u32 s5, s5, s1
	s_ashr_i32 s3, s2, 31
	s_delay_alu instid0(SALU_CYCLE_1) | instskip(NEXT) | instid1(SALU_CYCLE_1)
	s_lshl_b64 s[0:1], s[2:3], 2
	s_add_u32 s0, s4, s0
	s_addc_u32 s1, s5, s1
	s_clause 0x13
	global_store_b32 v0, v1, s[0:1]
	global_store_b32 v0, v2, s[0:1] offset:16
	global_store_b32 v0, v3, s[0:1] offset:32
	;; [unrolled: 1-line block ×19, first 2 shown]
.LBB57_122:
	s_nop 0
	s_sendmsg sendmsg(MSG_DEALLOC_VGPRS)
	s_endpgm
.LBB57_123:
	v_lshl_add_u32 v24, v21, 2, v22
	ds_load_b32 v24, v24
	s_waitcnt lgkmcnt(0)
	v_add_f32_e32 v1, v1, v24
	s_or_b32 exec_lo, exec_lo, s0
	s_and_saveexec_b32 s0, vcc_lo
	s_cbranch_execz .LBB57_75
.LBB57_124:
	v_lshl_add_u32 v24, v21, 2, v22
	ds_load_b32 v24, v24 offset:16
	s_waitcnt lgkmcnt(0)
	v_add_f32_e32 v2, v2, v24
	s_or_b32 exec_lo, exec_lo, s0
	s_and_saveexec_b32 s0, vcc_lo
	s_cbranch_execz .LBB57_76
.LBB57_125:
	v_lshl_add_u32 v24, v21, 2, v22
	ds_load_b32 v24, v24 offset:32
	s_waitcnt lgkmcnt(0)
	v_add_f32_e32 v3, v3, v24
	s_or_b32 exec_lo, exec_lo, s0
	s_and_saveexec_b32 s0, vcc_lo
	s_cbranch_execz .LBB57_77
.LBB57_126:
	v_lshl_add_u32 v24, v21, 2, v22
	ds_load_b32 v24, v24 offset:48
	s_waitcnt lgkmcnt(0)
	v_add_f32_e32 v4, v4, v24
	s_or_b32 exec_lo, exec_lo, s0
	s_and_saveexec_b32 s0, vcc_lo
	s_cbranch_execz .LBB57_78
.LBB57_127:
	v_lshl_add_u32 v24, v21, 2, v22
	ds_load_b32 v24, v24 offset:64
	s_waitcnt lgkmcnt(0)
	v_add_f32_e32 v5, v5, v24
	s_or_b32 exec_lo, exec_lo, s0
	s_and_saveexec_b32 s0, vcc_lo
	s_cbranch_execz .LBB57_79
.LBB57_128:
	v_lshl_add_u32 v24, v21, 2, v22
	ds_load_b32 v24, v24 offset:80
	s_waitcnt lgkmcnt(0)
	v_add_f32_e32 v6, v6, v24
	s_or_b32 exec_lo, exec_lo, s0
	s_and_saveexec_b32 s0, vcc_lo
	s_cbranch_execz .LBB57_80
.LBB57_129:
	v_lshl_add_u32 v24, v21, 2, v22
	ds_load_b32 v24, v24 offset:96
	s_waitcnt lgkmcnt(0)
	v_add_f32_e32 v7, v7, v24
	s_or_b32 exec_lo, exec_lo, s0
	s_and_saveexec_b32 s0, vcc_lo
	s_cbranch_execz .LBB57_81
.LBB57_130:
	v_lshl_add_u32 v24, v21, 2, v22
	ds_load_b32 v24, v24 offset:112
	s_waitcnt lgkmcnt(0)
	v_add_f32_e32 v8, v8, v24
	s_or_b32 exec_lo, exec_lo, s0
	s_and_saveexec_b32 s0, vcc_lo
	s_cbranch_execz .LBB57_82
.LBB57_131:
	v_lshl_add_u32 v24, v21, 2, v22
	ds_load_b32 v24, v24 offset:128
	s_waitcnt lgkmcnt(0)
	v_add_f32_e32 v9, v9, v24
	s_or_b32 exec_lo, exec_lo, s0
	s_and_saveexec_b32 s0, vcc_lo
	s_cbranch_execz .LBB57_83
.LBB57_132:
	v_lshl_add_u32 v24, v21, 2, v22
	ds_load_b32 v24, v24 offset:144
	s_waitcnt lgkmcnt(0)
	v_add_f32_e32 v10, v10, v24
	s_or_b32 exec_lo, exec_lo, s0
	s_and_saveexec_b32 s0, vcc_lo
	s_cbranch_execz .LBB57_84
.LBB57_133:
	v_lshl_add_u32 v24, v21, 2, v22
	ds_load_b32 v24, v24 offset:160
	s_waitcnt lgkmcnt(0)
	v_add_f32_e32 v11, v11, v24
	s_or_b32 exec_lo, exec_lo, s0
	s_and_saveexec_b32 s0, vcc_lo
	s_cbranch_execz .LBB57_85
.LBB57_134:
	v_lshl_add_u32 v24, v21, 2, v22
	ds_load_b32 v24, v24 offset:176
	s_waitcnt lgkmcnt(0)
	v_add_f32_e32 v12, v12, v24
	s_or_b32 exec_lo, exec_lo, s0
	s_and_saveexec_b32 s0, vcc_lo
	s_cbranch_execz .LBB57_86
.LBB57_135:
	v_lshl_add_u32 v24, v21, 2, v22
	ds_load_b32 v24, v24 offset:192
	s_waitcnt lgkmcnt(0)
	v_add_f32_e32 v13, v13, v24
	s_or_b32 exec_lo, exec_lo, s0
	s_and_saveexec_b32 s0, vcc_lo
	s_cbranch_execz .LBB57_87
.LBB57_136:
	v_lshl_add_u32 v24, v21, 2, v22
	ds_load_b32 v24, v24 offset:208
	s_waitcnt lgkmcnt(0)
	v_add_f32_e32 v14, v14, v24
	s_or_b32 exec_lo, exec_lo, s0
	s_and_saveexec_b32 s0, vcc_lo
	s_cbranch_execz .LBB57_88
.LBB57_137:
	v_lshl_add_u32 v24, v21, 2, v22
	ds_load_b32 v24, v24 offset:224
	s_waitcnt lgkmcnt(0)
	v_add_f32_e32 v15, v15, v24
	s_or_b32 exec_lo, exec_lo, s0
	s_and_saveexec_b32 s0, vcc_lo
	s_cbranch_execz .LBB57_89
.LBB57_138:
	v_lshl_add_u32 v24, v21, 2, v22
	ds_load_b32 v24, v24 offset:240
	s_waitcnt lgkmcnt(0)
	v_add_f32_e32 v16, v16, v24
	s_or_b32 exec_lo, exec_lo, s0
	s_and_saveexec_b32 s0, vcc_lo
	s_cbranch_execz .LBB57_90
.LBB57_139:
	v_lshl_add_u32 v24, v21, 2, v22
	ds_load_b32 v24, v24 offset:256
	s_waitcnt lgkmcnt(0)
	v_add_f32_e32 v17, v17, v24
	s_or_b32 exec_lo, exec_lo, s0
	s_and_saveexec_b32 s0, vcc_lo
	s_cbranch_execz .LBB57_91
.LBB57_140:
	v_lshl_add_u32 v24, v21, 2, v22
	ds_load_b32 v24, v24 offset:272
	s_waitcnt lgkmcnt(0)
	v_add_f32_e32 v18, v18, v24
	s_or_b32 exec_lo, exec_lo, s0
	s_and_saveexec_b32 s0, vcc_lo
	s_cbranch_execz .LBB57_92
.LBB57_141:
	v_lshl_add_u32 v24, v21, 2, v22
	ds_load_b32 v24, v24 offset:288
	s_waitcnt lgkmcnt(0)
	v_add_f32_e32 v19, v19, v24
	s_or_b32 exec_lo, exec_lo, s0
	s_and_saveexec_b32 s0, vcc_lo
	s_cbranch_execnz .LBB57_93
	s_branch .LBB57_94
.LBB57_142:
	ds_load_b32 v22, v21
	s_waitcnt lgkmcnt(0)
	v_add_f32_e32 v1, v1, v22
	s_or_b32 exec_lo, exec_lo, s0
	s_and_saveexec_b32 s0, vcc_lo
	s_cbranch_execz .LBB57_100
.LBB57_143:
	ds_load_b32 v22, v21 offset:16
	s_waitcnt lgkmcnt(0)
	v_add_f32_e32 v2, v2, v22
	s_or_b32 exec_lo, exec_lo, s0
	s_and_saveexec_b32 s0, vcc_lo
	s_cbranch_execz .LBB57_101
.LBB57_144:
	ds_load_b32 v22, v21 offset:32
	s_waitcnt lgkmcnt(0)
	v_add_f32_e32 v3, v3, v22
	s_or_b32 exec_lo, exec_lo, s0
	s_and_saveexec_b32 s0, vcc_lo
	s_cbranch_execz .LBB57_102
.LBB57_145:
	ds_load_b32 v22, v21 offset:48
	s_waitcnt lgkmcnt(0)
	v_add_f32_e32 v4, v4, v22
	s_or_b32 exec_lo, exec_lo, s0
	s_and_saveexec_b32 s0, vcc_lo
	s_cbranch_execz .LBB57_103
.LBB57_146:
	ds_load_b32 v22, v21 offset:64
	s_waitcnt lgkmcnt(0)
	v_add_f32_e32 v5, v5, v22
	s_or_b32 exec_lo, exec_lo, s0
	s_and_saveexec_b32 s0, vcc_lo
	s_cbranch_execz .LBB57_104
.LBB57_147:
	ds_load_b32 v22, v21 offset:80
	s_waitcnt lgkmcnt(0)
	v_add_f32_e32 v6, v6, v22
	s_or_b32 exec_lo, exec_lo, s0
	s_and_saveexec_b32 s0, vcc_lo
	s_cbranch_execz .LBB57_105
.LBB57_148:
	ds_load_b32 v22, v21 offset:96
	s_waitcnt lgkmcnt(0)
	v_add_f32_e32 v7, v7, v22
	s_or_b32 exec_lo, exec_lo, s0
	s_and_saveexec_b32 s0, vcc_lo
	s_cbranch_execz .LBB57_106
.LBB57_149:
	ds_load_b32 v22, v21 offset:112
	s_waitcnt lgkmcnt(0)
	v_add_f32_e32 v8, v8, v22
	s_or_b32 exec_lo, exec_lo, s0
	s_and_saveexec_b32 s0, vcc_lo
	s_cbranch_execz .LBB57_107
.LBB57_150:
	ds_load_b32 v22, v21 offset:128
	s_waitcnt lgkmcnt(0)
	v_add_f32_e32 v9, v9, v22
	s_or_b32 exec_lo, exec_lo, s0
	s_and_saveexec_b32 s0, vcc_lo
	s_cbranch_execz .LBB57_108
.LBB57_151:
	ds_load_b32 v22, v21 offset:144
	s_waitcnt lgkmcnt(0)
	v_add_f32_e32 v10, v10, v22
	s_or_b32 exec_lo, exec_lo, s0
	s_and_saveexec_b32 s0, vcc_lo
	s_cbranch_execz .LBB57_109
.LBB57_152:
	ds_load_b32 v22, v21 offset:160
	s_waitcnt lgkmcnt(0)
	v_add_f32_e32 v11, v11, v22
	s_or_b32 exec_lo, exec_lo, s0
	s_and_saveexec_b32 s0, vcc_lo
	s_cbranch_execz .LBB57_110
.LBB57_153:
	ds_load_b32 v22, v21 offset:176
	s_waitcnt lgkmcnt(0)
	v_add_f32_e32 v12, v12, v22
	s_or_b32 exec_lo, exec_lo, s0
	s_and_saveexec_b32 s0, vcc_lo
	s_cbranch_execz .LBB57_111
.LBB57_154:
	ds_load_b32 v22, v21 offset:192
	s_waitcnt lgkmcnt(0)
	v_add_f32_e32 v13, v13, v22
	s_or_b32 exec_lo, exec_lo, s0
	s_and_saveexec_b32 s0, vcc_lo
	s_cbranch_execz .LBB57_112
.LBB57_155:
	ds_load_b32 v22, v21 offset:208
	s_waitcnt lgkmcnt(0)
	v_add_f32_e32 v14, v14, v22
	s_or_b32 exec_lo, exec_lo, s0
	s_and_saveexec_b32 s0, vcc_lo
	s_cbranch_execz .LBB57_113
.LBB57_156:
	ds_load_b32 v22, v21 offset:224
	s_waitcnt lgkmcnt(0)
	v_add_f32_e32 v15, v15, v22
	s_or_b32 exec_lo, exec_lo, s0
	s_and_saveexec_b32 s0, vcc_lo
	s_cbranch_execz .LBB57_114
.LBB57_157:
	ds_load_b32 v22, v21 offset:240
	s_waitcnt lgkmcnt(0)
	v_add_f32_e32 v16, v16, v22
	s_or_b32 exec_lo, exec_lo, s0
	s_and_saveexec_b32 s0, vcc_lo
	s_cbranch_execz .LBB57_115
.LBB57_158:
	ds_load_b32 v22, v21 offset:256
	s_waitcnt lgkmcnt(0)
	v_add_f32_e32 v17, v17, v22
	s_or_b32 exec_lo, exec_lo, s0
	s_and_saveexec_b32 s0, vcc_lo
	s_cbranch_execz .LBB57_116
.LBB57_159:
	ds_load_b32 v22, v21 offset:272
	s_waitcnt lgkmcnt(0)
	v_add_f32_e32 v18, v18, v22
	s_or_b32 exec_lo, exec_lo, s0
	s_and_saveexec_b32 s0, vcc_lo
	s_cbranch_execz .LBB57_117
.LBB57_160:
	ds_load_b32 v22, v21 offset:288
	s_waitcnt lgkmcnt(0)
	v_add_f32_e32 v19, v19, v22
	s_or_b32 exec_lo, exec_lo, s0
	s_and_saveexec_b32 s0, vcc_lo
	s_cbranch_execnz .LBB57_118
	s_branch .LBB57_119
	.section	.rodata,"a",@progbits
	.p2align	6, 0x0
	.amdhsa_kernel _ZN4vllm25paged_attention_v2_kernelIffLi80ELi32ELi128ELNS_18Fp8KVCacheDataTypeE0ELb0ELi512EEEvPfS2_PT_PKS3_PKT0_S9_ifPKiSB_iPKfiiiSD_SD_iiiii
		.amdhsa_group_segment_fixed_size 352
		.amdhsa_private_segment_fixed_size 0
		.amdhsa_kernarg_size 400
		.amdhsa_user_sgpr_count 13
		.amdhsa_user_sgpr_dispatch_ptr 0
		.amdhsa_user_sgpr_queue_ptr 0
		.amdhsa_user_sgpr_kernarg_segment_ptr 1
		.amdhsa_user_sgpr_dispatch_id 0
		.amdhsa_user_sgpr_private_segment_size 0
		.amdhsa_wavefront_size32 1
		.amdhsa_uses_dynamic_stack 0
		.amdhsa_enable_private_segment 0
		.amdhsa_system_sgpr_workgroup_id_x 1
		.amdhsa_system_sgpr_workgroup_id_y 1
		.amdhsa_system_sgpr_workgroup_id_z 1
		.amdhsa_system_sgpr_workgroup_info 0
		.amdhsa_system_vgpr_workitem_id 0
		.amdhsa_next_free_vgpr 146
		.amdhsa_next_free_sgpr 40
		.amdhsa_reserve_vcc 1
		.amdhsa_float_round_mode_32 0
		.amdhsa_float_round_mode_16_64 0
		.amdhsa_float_denorm_mode_32 3
		.amdhsa_float_denorm_mode_16_64 3
		.amdhsa_dx10_clamp 1
		.amdhsa_ieee_mode 1
		.amdhsa_fp16_overflow 0
		.amdhsa_workgroup_processor_mode 1
		.amdhsa_memory_ordered 1
		.amdhsa_forward_progress 0
		.amdhsa_shared_vgpr_count 0
		.amdhsa_exception_fp_ieee_invalid_op 0
		.amdhsa_exception_fp_denorm_src 0
		.amdhsa_exception_fp_ieee_div_zero 0
		.amdhsa_exception_fp_ieee_overflow 0
		.amdhsa_exception_fp_ieee_underflow 0
		.amdhsa_exception_fp_ieee_inexact 0
		.amdhsa_exception_int_div_zero 0
	.end_amdhsa_kernel
	.section	.text._ZN4vllm25paged_attention_v2_kernelIffLi80ELi32ELi128ELNS_18Fp8KVCacheDataTypeE0ELb0ELi512EEEvPfS2_PT_PKS3_PKT0_S9_ifPKiSB_iPKfiiiSD_SD_iiiii,"axG",@progbits,_ZN4vllm25paged_attention_v2_kernelIffLi80ELi32ELi128ELNS_18Fp8KVCacheDataTypeE0ELb0ELi512EEEvPfS2_PT_PKS3_PKT0_S9_ifPKiSB_iPKfiiiSD_SD_iiiii,comdat
.Lfunc_end57:
	.size	_ZN4vllm25paged_attention_v2_kernelIffLi80ELi32ELi128ELNS_18Fp8KVCacheDataTypeE0ELb0ELi512EEEvPfS2_PT_PKS3_PKT0_S9_ifPKiSB_iPKfiiiSD_SD_iiiii, .Lfunc_end57-_ZN4vllm25paged_attention_v2_kernelIffLi80ELi32ELi128ELNS_18Fp8KVCacheDataTypeE0ELb0ELi512EEEvPfS2_PT_PKS3_PKT0_S9_ifPKiSB_iPKfiiiSD_SD_iiiii
                                        ; -- End function
	.section	.AMDGPU.csdata,"",@progbits
; Kernel info:
; codeLenInByte = 9492
; NumSgprs: 42
; NumVgprs: 146
; ScratchSize: 0
; MemoryBound: 0
; FloatMode: 240
; IeeeMode: 1
; LDSByteSize: 352 bytes/workgroup (compile time only)
; SGPRBlocks: 5
; VGPRBlocks: 18
; NumSGPRsForWavesPerEU: 42
; NumVGPRsForWavesPerEU: 146
; Occupancy: 9
; WaveLimiterHint : 1
; COMPUTE_PGM_RSRC2:SCRATCH_EN: 0
; COMPUTE_PGM_RSRC2:USER_SGPR: 13
; COMPUTE_PGM_RSRC2:TRAP_HANDLER: 0
; COMPUTE_PGM_RSRC2:TGID_X_EN: 1
; COMPUTE_PGM_RSRC2:TGID_Y_EN: 1
; COMPUTE_PGM_RSRC2:TGID_Z_EN: 1
; COMPUTE_PGM_RSRC2:TIDIG_COMP_CNT: 0
	.section	.text._ZN4vllm25paged_attention_v2_kernelIffLi96ELi32ELi128ELNS_18Fp8KVCacheDataTypeE0ELb0ELi512EEEvPfS2_PT_PKS3_PKT0_S9_ifPKiSB_iPKfiiiSD_SD_iiiii,"axG",@progbits,_ZN4vllm25paged_attention_v2_kernelIffLi96ELi32ELi128ELNS_18Fp8KVCacheDataTypeE0ELb0ELi512EEEvPfS2_PT_PKS3_PKT0_S9_ifPKiSB_iPKfiiiSD_SD_iiiii,comdat
	.protected	_ZN4vllm25paged_attention_v2_kernelIffLi96ELi32ELi128ELNS_18Fp8KVCacheDataTypeE0ELb0ELi512EEEvPfS2_PT_PKS3_PKT0_S9_ifPKiSB_iPKfiiiSD_SD_iiiii ; -- Begin function _ZN4vllm25paged_attention_v2_kernelIffLi96ELi32ELi128ELNS_18Fp8KVCacheDataTypeE0ELb0ELi512EEEvPfS2_PT_PKS3_PKT0_S9_ifPKiSB_iPKfiiiSD_SD_iiiii
	.globl	_ZN4vllm25paged_attention_v2_kernelIffLi96ELi32ELi128ELNS_18Fp8KVCacheDataTypeE0ELb0ELi512EEEvPfS2_PT_PKS3_PKT0_S9_ifPKiSB_iPKfiiiSD_SD_iiiii
	.p2align	8
	.type	_ZN4vllm25paged_attention_v2_kernelIffLi96ELi32ELi128ELNS_18Fp8KVCacheDataTypeE0ELb0ELi512EEEvPfS2_PT_PKS3_PKT0_S9_ifPKiSB_iPKfiiiSD_SD_iiiii,@function
_ZN4vllm25paged_attention_v2_kernelIffLi96ELi32ELi128ELNS_18Fp8KVCacheDataTypeE0ELb0ELi512EEEvPfS2_PT_PKS3_PKT0_S9_ifPKiSB_iPKfiiiSD_SD_iiiii: ; @_ZN4vllm25paged_attention_v2_kernelIffLi96ELi32ELi128ELNS_18Fp8KVCacheDataTypeE0ELb0ELi512EEEvPfS2_PT_PKS3_PKT0_S9_ifPKiSB_iPKfiiiSD_SD_iiiii
; %bb.0:
	s_load_b64 s[2:3], s[0:1], 0x40
	s_mov_b32 s12, s15
	s_ashr_i32 s15, s14, 31
	s_delay_alu instid0(SALU_CYCLE_1)
	s_lshl_b64 s[4:5], s[14:15], 2
	s_waitcnt lgkmcnt(0)
	s_add_u32 s2, s2, s4
	s_addc_u32 s3, s3, s5
	s_lshl_b32 s30, s12, 9
	s_load_b32 s15, s[2:3], 0x0
	s_waitcnt lgkmcnt(0)
	s_cmp_ge_i32 s30, s15
	s_cbranch_scc1 .LBB58_138
; %bb.1:
	s_mov_b32 s22, s13
	s_clause 0x1
	s_load_b32 s13, s[0:1], 0x90
	s_load_b64 s[2:3], s[0:1], 0x30
	s_mov_b32 s31, 0
	s_waitcnt lgkmcnt(0)
	s_abs_i32 s7, s13
	s_abs_i32 s4, s2
	s_xor_b32 s2, s13, s2
	v_cvt_f32_u32_e32 v1, s4
	s_sub_i32 s6, 0, s4
	s_ashr_i32 s2, s2, 31
	s_delay_alu instid0(VALU_DEP_1) | instskip(SKIP_2) | instid1(VALU_DEP_1)
	v_rcp_iflag_f32_e32 v1, v1
	s_waitcnt_depctr 0xfff
	v_mul_f32_e32 v1, 0x4f7ffffe, v1
	v_cvt_u32_f32_e32 v1, v1
	s_delay_alu instid0(VALU_DEP_1) | instskip(NEXT) | instid1(VALU_DEP_1)
	v_readfirstlane_b32 s5, v1
	s_mul_i32 s6, s6, s5
	s_delay_alu instid0(SALU_CYCLE_1) | instskip(NEXT) | instid1(SALU_CYCLE_1)
	s_mul_hi_u32 s6, s5, s6
	s_add_i32 s5, s5, s6
	s_delay_alu instid0(SALU_CYCLE_1) | instskip(NEXT) | instid1(SALU_CYCLE_1)
	s_mul_hi_u32 s5, s7, s5
	s_mul_i32 s6, s5, s4
	s_delay_alu instid0(SALU_CYCLE_1)
	s_sub_i32 s6, s7, s6
	s_add_i32 s7, s5, 1
	s_sub_i32 s8, s6, s4
	s_cmp_ge_u32 s6, s4
	s_cselect_b32 s5, s7, s5
	s_cselect_b32 s6, s8, s6
	s_add_i32 s7, s5, 1
	s_cmp_ge_u32 s6, s4
	s_cselect_b32 s4, s7, s5
	s_abs_i32 s25, s22
	s_xor_b32 s4, s4, s2
	s_delay_alu instid0(SALU_CYCLE_1) | instskip(SKIP_2) | instid1(SALU_CYCLE_1)
	s_sub_i32 s8, s4, s2
	s_load_b64 s[4:5], s[0:1], 0x50
	s_abs_i32 s2, s8
	v_cvt_f32_u32_e32 v1, s2
	s_sub_i32 s7, 0, s2
	s_delay_alu instid0(VALU_DEP_1) | instskip(SKIP_2) | instid1(VALU_DEP_1)
	v_rcp_iflag_f32_e32 v1, v1
	s_waitcnt_depctr 0xfff
	v_mul_f32_e32 v1, 0x4f7ffffe, v1
	v_cvt_u32_f32_e32 v1, v1
	s_delay_alu instid0(VALU_DEP_1) | instskip(NEXT) | instid1(VALU_DEP_1)
	v_readfirstlane_b32 s6, v1
	s_mul_i32 s7, s7, s6
	s_delay_alu instid0(SALU_CYCLE_1) | instskip(NEXT) | instid1(SALU_CYCLE_1)
	s_mul_hi_u32 s7, s6, s7
	s_add_i32 s6, s6, s7
	s_waitcnt lgkmcnt(0)
	s_cmp_eq_u64 s[4:5], 0
	s_mul_hi_u32 s24, s25, s6
	s_cbranch_scc1 .LBB58_3
; %bb.2:
	s_ashr_i32 s23, s22, 31
	s_delay_alu instid0(SALU_CYCLE_1) | instskip(NEXT) | instid1(SALU_CYCLE_1)
	s_lshl_b64 s[6:7], s[22:23], 2
	s_add_u32 s4, s4, s6
	s_addc_u32 s5, s5, s7
	s_load_b32 s31, s[4:5], 0x0
.LBB58_3:
	s_clause 0x1
	s_load_b64 s[20:21], s[0:1], 0x38
	s_load_b128 s[4:7], s[0:1], 0x58
	s_ashr_i32 s28, s22, 31
	s_ashr_i32 s29, s8, 31
	s_mul_i32 s16, s22, 0x60
	s_waitcnt lgkmcnt(0)
	s_mov_b32 s7, exec_lo
	v_cmpx_gt_u32_e32 24, v0
	s_cbranch_execz .LBB58_5
; %bb.4:
	s_load_b64 s[8:9], s[0:1], 0x18
	s_mul_i32 s10, s14, s4
	v_lshlrev_b32_e32 v5, 4, v0
	s_ashr_i32 s11, s10, 31
	s_delay_alu instid0(SALU_CYCLE_1) | instskip(SKIP_4) | instid1(SALU_CYCLE_1)
	s_lshl_b64 s[10:11], s[10:11], 2
	s_waitcnt lgkmcnt(0)
	s_add_u32 s4, s8, s10
	s_addc_u32 s10, s9, s11
	s_ashr_i32 s17, s16, 31
	s_lshl_b64 s[8:9], s[16:17], 2
	s_delay_alu instid0(SALU_CYCLE_1)
	s_add_u32 s8, s4, s8
	s_addc_u32 s9, s10, s9
	global_load_b128 v[1:4], v5, s[8:9]
	s_waitcnt vmcnt(0)
	ds_store_b128 v5, v[1:4]
.LBB58_5:
	s_or_b32 exec_lo, exec_lo, s7
	s_add_i32 s4, s15, 31
	s_clause 0x1
	s_load_b128 s[8:11], s[0:1], 0x0
	s_load_b64 s[18:19], s[0:1], 0x10
	s_ashr_i32 s7, s4, 31
	s_mul_i32 s34, s24, s2
	s_lshr_b32 s17, s7, 27
	s_lshl_b32 s7, s12, 4
	s_add_i32 s4, s4, s17
	s_load_b64 s[26:27], s[0:1], 0x28
	s_ashr_i32 s23, s4, 5
	s_clause 0x1
	s_load_b32 s4, s[0:1], 0x98
	s_load_b32 s33, s[0:1], 0x48
	s_add_i32 s17, s7, 16
	s_sub_i32 s25, s25, s34
	s_min_i32 s17, s17, s23
	s_xor_b32 s28, s28, s29
	s_add_i32 s29, s24, 1
	s_sub_i32 s34, s25, s2
	s_cmp_ge_u32 s25, s2
	v_lshrrev_b32_e32 v104, 5, v0
	s_cselect_b32 s24, s29, s24
	s_cselect_b32 s25, s34, s25
	s_add_i32 s29, s24, 1
	s_cmp_ge_u32 s25, s2
	v_dual_mov_b32 v106, 0xff7fffff :: v_dual_add_nc_u32 v101, s7, v104
	v_and_b32_e32 v105, 31, v0
	s_cselect_b32 s2, s29, s24
	s_waitcnt lgkmcnt(0)
	s_xor_b32 s2, s2, s28
	v_ashrrev_i32_e32 v102, 31, v101
	s_sub_i32 s28, s2, s28
	v_cmp_gt_i32_e64 s2, s17, v101
	v_lshlrev_b32_e32 v99, 2, v105
	s_mul_i32 s24, s14, s33
	s_mul_i32 s28, s28, s6
	s_ashr_i32 s25, s24, 31
	s_barrier
	buffer_gl0_inv
	s_and_saveexec_b32 s6, s2
	s_cbranch_execz .LBB58_9
; %bb.6:
	s_load_b64 s[0:1], s[0:1], 0x20
	v_lshl_or_b32 v106, v104, 7, v99
	v_mov_b32_e32 v93, 0
	s_ashr_i32 s29, s28, 31
	v_lshlrev_b32_e32 v49, 4, v105
	s_lshl_b64 s[34:35], s[28:29], 2
	v_add_nc_u32_e32 v108, 0x1a0, v106
	v_mov_b32_e32 v106, 0xff7fffff
	ds_load_b128 v[1:4], v93
	ds_load_b128 v[5:8], v93 offset:16
	ds_load_b128 v[9:12], v93 offset:32
	ds_load_b128 v[13:16], v93 offset:48
	ds_load_b128 v[17:20], v93 offset:64
	ds_load_b128 v[21:24], v93 offset:80
	ds_load_b128 v[25:28], v93 offset:96
	ds_load_b128 v[29:32], v93 offset:112
	ds_load_b128 v[33:36], v93 offset:128
	ds_load_b128 v[37:40], v93 offset:144
	ds_load_b128 v[41:44], v93 offset:160
	ds_load_b128 v[45:48], v93 offset:176
	v_lshlrev_b32_e32 v97, 5, v104
	v_cmp_neq_f32_e64 vcc_lo, s31, 0
	v_mov_b32_e32 v109, v101
	s_mov_b32 s33, 0
	s_delay_alu instid0(VALU_DEP_3)
	v_add3_u32 v107, s30, v97, v105
	v_lshlrev_b64 v[97:98], 2, v[101:102]
	s_waitcnt lgkmcnt(0)
	s_add_u32 s0, s0, s34
	s_addc_u32 s1, s1, s35
	v_add_co_u32 v100, s0, s0, v49
	ds_load_b128 v[49:52], v93 offset:192
	ds_load_b128 v[53:56], v93 offset:208
	;; [unrolled: 1-line block ×12, first 2 shown]
	v_add_co_ci_u32_e64 v103, null, s1, 0, s0
	s_lshl_b64 s[0:1], s[24:25], 2
	s_sub_i32 s29, 1, s15
	s_add_u32 s0, s20, s0
	s_addc_u32 s1, s21, s1
	v_add_co_u32 v97, s0, s0, v97
	s_delay_alu instid0(VALU_DEP_1)
	v_add_co_ci_u32_e64 v98, s0, s1, v98, s0
	s_mov_b32 s34, s5
.LBB58_7:                               ; =>This Inner Loop Header: Depth=1
	global_load_b32 v112, v[97:98], off
	v_add_nc_u32_e32 v109, 4, v109
	s_delay_alu instid0(VALU_DEP_1) | instskip(NEXT) | instid1(VALU_DEP_1)
	v_cmp_le_i32_e64 s1, s17, v109
	s_or_b32 s33, s1, s33
	s_waitcnt vmcnt(0)
	v_mad_i64_i32 v[110:111], null, v112, s34, 0
	s_delay_alu instid0(VALU_DEP_1) | instskip(NEXT) | instid1(VALU_DEP_1)
	v_lshlrev_b64 v[110:111], 2, v[110:111]
	v_add_co_u32 v157, s0, v100, v110
	s_delay_alu instid0(VALU_DEP_1)
	v_add_co_ci_u32_e64 v158, s0, v103, v111, s0
	s_clause 0x7
	global_load_b128 v[110:113], v[157:158], off offset:512
	global_load_b128 v[114:117], v[157:158], off
	global_load_b128 v[118:121], v[157:158], off offset:1024
	global_load_b128 v[122:125], v[157:158], off offset:1536
	;; [unrolled: 1-line block ×6, first 2 shown]
	v_add_co_u32 v162, s0, v157, 0x2000
	s_delay_alu instid0(VALU_DEP_1) | instskip(SKIP_1) | instid1(VALU_DEP_1)
	v_add_co_ci_u32_e64 v163, s0, 0, v158, s0
	v_add_co_u32 v159, s0, 0x1000, v157
	v_add_co_ci_u32_e64 v160, s0, 0, v158, s0
	s_clause 0x2
	global_load_b128 v[142:145], v[162:163], off offset:-4096
	global_load_b128 v[146:149], v[159:160], off offset:512
	global_load_b128 v[150:153], v[159:160], off offset:1024
	v_add_co_u32 v164, s0, 0x2000, v157
	global_load_b128 v[154:157], v[159:160], off offset:1536
	v_add_co_ci_u32_e64 v165, s0, 0, v158, s0
	v_add_co_u32 v97, s0, v97, 16
	s_delay_alu instid0(VALU_DEP_1)
	v_add_co_ci_u32_e64 v98, s0, 0, v98, s0
	v_cmp_gt_i32_e64 s0, s15, v107
	s_waitcnt vmcnt(11)
	v_dual_mul_f32 v166, v5, v110 :: v_dual_mul_f32 v167, v6, v111
	v_dual_mul_f32 v168, v7, v112 :: v_dual_mul_f32 v169, v8, v113
	global_load_b128 v[110:113], v[159:160], off offset:2048
	s_waitcnt vmcnt(11)
	v_dual_fmac_f32 v166, v1, v114 :: v_dual_fmac_f32 v167, v2, v115
	v_dual_fmac_f32 v168, v3, v116 :: v_dual_fmac_f32 v169, v4, v117
	global_load_b128 v[114:117], v[159:160], off offset:2560
	s_waitcnt vmcnt(11)
	v_dual_fmac_f32 v166, v9, v118 :: v_dual_fmac_f32 v167, v10, v119
	v_dual_fmac_f32 v168, v11, v120 :: v_dual_fmac_f32 v169, v12, v121
	s_clause 0x1
	global_load_b128 v[118:121], v[159:160], off offset:3072
	global_load_b128 v[158:161], v[159:160], off offset:3584
	s_waitcnt vmcnt(12)
	v_dual_fmac_f32 v166, v13, v122 :: v_dual_fmac_f32 v167, v14, v123
	v_dual_fmac_f32 v168, v15, v124 :: v_dual_fmac_f32 v169, v16, v125
	global_load_b128 v[122:125], v[162:163], off
	s_waitcnt vmcnt(12)
	v_dual_fmac_f32 v166, v17, v126 :: v_dual_fmac_f32 v167, v18, v127
	v_dual_fmac_f32 v168, v19, v128 :: v_dual_fmac_f32 v169, v20, v129
	global_load_b128 v[126:129], v[164:165], off offset:512
	s_waitcnt vmcnt(12)
	v_dual_fmac_f32 v166, v21, v130 :: v_dual_fmac_f32 v167, v22, v131
	v_dual_fmac_f32 v168, v23, v132 :: v_dual_fmac_f32 v169, v24, v133
	global_load_b128 v[130:133], v[164:165], off offset:1024
	;; [unrolled: 4-line block ×5, first 2 shown]
	s_waitcnt vmcnt(12)
	v_dual_fmac_f32 v166, v37, v146 :: v_dual_fmac_f32 v167, v38, v147
	v_dual_fmac_f32 v168, v39, v148 :: v_dual_fmac_f32 v169, v40, v149
	s_clause 0x1
	global_load_b128 v[146:149], v[164:165], off offset:3072
	global_load_b128 v[162:165], v[164:165], off offset:3584
	s_waitcnt vmcnt(13)
	v_dual_fmac_f32 v166, v41, v150 :: v_dual_fmac_f32 v167, v42, v151
	v_dual_fmac_f32 v168, v43, v152 :: v_dual_fmac_f32 v169, v44, v153
	v_dual_max_f32 v151, v106, v106 :: v_dual_add_nc_u32 v150, s29, v107
	s_waitcnt vmcnt(12)
	s_delay_alu instid0(VALU_DEP_3) | instskip(NEXT) | instid1(VALU_DEP_3)
	v_dual_fmac_f32 v166, v45, v154 :: v_dual_fmac_f32 v167, v46, v155
	v_dual_fmac_f32 v168, v47, v156 :: v_dual_fmac_f32 v169, v48, v157
	s_delay_alu instid0(VALU_DEP_3) | instskip(SKIP_1) | instid1(VALU_DEP_3)
	v_cvt_f32_i32_e32 v150, v150
	s_waitcnt vmcnt(11) lgkmcnt(11)
	v_dual_fmac_f32 v166, v49, v110 :: v_dual_add_nc_u32 v107, 0x80, v107
	s_delay_alu instid0(VALU_DEP_3) | instskip(SKIP_3) | instid1(VALU_DEP_3)
	v_dual_fmac_f32 v167, v50, v111 :: v_dual_fmac_f32 v168, v51, v112
	v_fmac_f32_e32 v169, v52, v113
	v_mul_f32_e32 v111, s31, v150
	s_waitcnt vmcnt(10) lgkmcnt(10)
	v_dual_fmac_f32 v166, v53, v114 :: v_dual_fmac_f32 v167, v54, v115
	s_delay_alu instid0(VALU_DEP_3) | instskip(SKIP_1) | instid1(VALU_DEP_2)
	v_dual_fmac_f32 v168, v55, v116 :: v_dual_fmac_f32 v169, v56, v117
	s_waitcnt vmcnt(9) lgkmcnt(9)
	v_dual_fmac_f32 v166, v57, v118 :: v_dual_fmac_f32 v167, v58, v119
	s_delay_alu instid0(VALU_DEP_2) | instskip(SKIP_1) | instid1(VALU_DEP_2)
	v_dual_fmac_f32 v168, v59, v120 :: v_dual_fmac_f32 v169, v60, v121
	s_waitcnt vmcnt(8) lgkmcnt(8)
	v_dual_fmac_f32 v166, v61, v158 :: v_dual_fmac_f32 v167, v62, v159
	s_delay_alu instid0(VALU_DEP_2) | instskip(SKIP_1) | instid1(VALU_DEP_2)
	;; [unrolled: 4-line block ×9, first 2 shown]
	v_dual_fmac_f32 v168, v91, v148 :: v_dual_fmac_f32 v169, v92, v149
	s_waitcnt vmcnt(0) lgkmcnt(0)
	v_dual_fmac_f32 v166, v93, v162 :: v_dual_fmac_f32 v167, v94, v163
	s_delay_alu instid0(VALU_DEP_2) | instskip(NEXT) | instid1(VALU_DEP_2)
	v_dual_fmac_f32 v168, v95, v164 :: v_dual_fmac_f32 v169, v96, v165
	v_add_f32_e32 v110, v166, v167
	s_delay_alu instid0(VALU_DEP_1) | instskip(NEXT) | instid1(VALU_DEP_1)
	v_dual_add_f32 v110, v168, v110 :: v_dual_cndmask_b32 v111, 0, v111
	v_add_f32_e32 v110, v169, v110
	s_delay_alu instid0(VALU_DEP_1) | instskip(NEXT) | instid1(VALU_DEP_1)
	v_fmac_f32_e32 v111, s3, v110
	v_max_f32_e32 v110, v151, v111
	v_cndmask_b32_e64 v111, 0, v111, s0
	s_delay_alu instid0(VALU_DEP_2)
	v_cndmask_b32_e64 v106, v106, v110, s0
	ds_store_b32 v108, v111
	v_add_nc_u32_e32 v108, 0x200, v108
	s_and_not1_b32 exec_lo, exec_lo, s33
	s_cbranch_execnz .LBB58_7
; %bb.8:
	s_or_b32 exec_lo, exec_lo, s33
.LBB58_9:
	s_delay_alu instid0(SALU_CYCLE_1) | instskip(SKIP_1) | instid1(VALU_DEP_1)
	s_or_b32 exec_lo, exec_lo, s6
	v_mbcnt_lo_u32_b32 v1, -1, 0
	v_xor_b32_e32 v2, 16, v1
	v_xor_b32_e32 v4, 8, v1
	s_delay_alu instid0(VALU_DEP_2) | instskip(SKIP_1) | instid1(VALU_DEP_3)
	v_cmp_gt_i32_e32 vcc_lo, 32, v2
	v_cndmask_b32_e32 v2, v1, v2, vcc_lo
	v_cmp_gt_i32_e32 vcc_lo, 32, v4
	v_max_f32_e32 v5, v106, v106
	s_delay_alu instid0(VALU_DEP_3) | instskip(SKIP_4) | instid1(VALU_DEP_1)
	v_lshlrev_b32_e32 v2, 2, v2
	v_cndmask_b32_e32 v4, v1, v4, vcc_lo
	ds_bpermute_b32 v3, v2, v106
	s_waitcnt lgkmcnt(0)
	v_dual_max_f32 v6, v3, v3 :: v_dual_lshlrev_b32 v3, 2, v4
	v_max_f32_e32 v4, v5, v6
	v_xor_b32_e32 v6, 4, v1
	ds_bpermute_b32 v5, v3, v4
	v_cmp_gt_i32_e32 vcc_lo, 32, v6
	v_cndmask_b32_e32 v6, v1, v6, vcc_lo
	s_delay_alu instid0(VALU_DEP_1) | instskip(SKIP_1) | instid1(VALU_DEP_1)
	v_lshlrev_b32_e32 v108, 2, v6
	v_xor_b32_e32 v6, 2, v1
	v_cmp_gt_i32_e32 vcc_lo, 32, v6
	s_waitcnt lgkmcnt(0)
	v_max_f32_e32 v5, v5, v5
	v_cndmask_b32_e32 v6, v1, v6, vcc_lo
	s_delay_alu instid0(VALU_DEP_1)
	v_dual_max_f32 v4, v4, v5 :: v_dual_lshlrev_b32 v107, 2, v6
	v_xor_b32_e32 v6, 1, v1
	ds_bpermute_b32 v5, v108, v4
	v_cmp_gt_i32_e32 vcc_lo, 32, v6
	v_cndmask_b32_e32 v6, v1, v6, vcc_lo
	v_cmp_eq_u32_e32 vcc_lo, 0, v105
	s_waitcnt lgkmcnt(0)
	s_delay_alu instid0(VALU_DEP_2) | instskip(NEXT) | instid1(VALU_DEP_1)
	v_dual_max_f32 v5, v5, v5 :: v_dual_lshlrev_b32 v106, 2, v6
	v_max_f32_e32 v4, v4, v5
	ds_bpermute_b32 v5, v107, v4
	s_waitcnt lgkmcnt(0)
	v_max_f32_e32 v5, v5, v5
	s_delay_alu instid0(VALU_DEP_1)
	v_max_f32_e32 v1, v4, v5
	v_lshlrev_b32_e32 v5, 2, v104
	ds_bpermute_b32 v4, v106, v1
	s_and_saveexec_b32 s0, vcc_lo
	s_cbranch_execz .LBB58_11
; %bb.10:
	s_waitcnt lgkmcnt(0)
	v_dual_max_f32 v4, v4, v4 :: v_dual_max_f32 v1, v1, v1
	s_delay_alu instid0(VALU_DEP_1)
	v_max_f32_e32 v1, v1, v4
	ds_store_b32 v5, v1 offset:384
.LBB58_11:
	s_or_b32 exec_lo, exec_lo, s0
	v_cmp_gt_u32_e64 s0, 4, v105
	v_mov_b32_e32 v1, 0xff7fffff
	s_waitcnt lgkmcnt(0)
	s_barrier
	buffer_gl0_inv
	s_and_saveexec_b32 s1, s0
	s_cbranch_execz .LBB58_13
; %bb.12:
	ds_load_b32 v1, v99 offset:384
.LBB58_13:
	s_or_b32 exec_lo, exec_lo, s1
	s_waitcnt lgkmcnt(0)
	ds_bpermute_b32 v4, v107, v1
	v_max_f32_e32 v1, v1, v1
	s_sub_i32 s1, s17, s7
	v_mov_b32_e32 v6, 0
	s_lshl_b32 s1, s1, 5
	s_delay_alu instid0(SALU_CYCLE_1) | instskip(NEXT) | instid1(SALU_CYCLE_1)
	s_add_i32 s1, s1, s30
	s_min_i32 s1, s1, s15
	s_delay_alu instid0(SALU_CYCLE_1) | instskip(NEXT) | instid1(SALU_CYCLE_1)
	s_sub_i32 s6, s1, s30
	v_cmp_gt_i32_e64 s1, s6, v0
	s_waitcnt lgkmcnt(0)
	v_max_f32_e32 v4, v4, v4
	s_delay_alu instid0(VALU_DEP_1) | instskip(SKIP_3) | instid1(VALU_DEP_1)
	v_max_f32_e32 v1, v1, v4
	ds_bpermute_b32 v4, v106, v1
	s_waitcnt lgkmcnt(0)
	v_max_f32_e32 v4, v4, v4
	v_max_f32_e32 v1, v1, v4
	v_lshl_add_u32 v4, v0, 2, 0x1a0
	ds_bpermute_b32 v1, v6, v1
	s_and_saveexec_b32 s7, s1
	s_cbranch_execz .LBB58_17
; %bb.14:
	v_lshl_add_u32 v7, v0, 2, 0x1a0
	v_mov_b32_e32 v6, 0
	v_mov_b32_e32 v8, v0
	s_mov_b32 s29, 0
	.p2align	6
.LBB58_15:                              ; =>This Inner Loop Header: Depth=1
	ds_load_b32 v9, v7
	v_add_nc_u32_e32 v8, 0x80, v8
	s_delay_alu instid0(VALU_DEP_1) | instskip(NEXT) | instid1(VALU_DEP_1)
	v_cmp_le_i32_e64 s3, s6, v8
	s_or_b32 s29, s3, s29
	s_waitcnt lgkmcnt(0)
	v_sub_f32_e32 v9, v9, v1
	s_delay_alu instid0(VALU_DEP_1) | instskip(NEXT) | instid1(VALU_DEP_1)
	v_mul_f32_e32 v9, 0x3fb8aa3b, v9
	v_exp_f32_e32 v9, v9
	ds_store_b32 v7, v9
	v_dual_add_f32 v6, v6, v9 :: v_dual_add_nc_u32 v7, 0x200, v7
	s_and_not1_b32 exec_lo, exec_lo, s29
	s_cbranch_execnz .LBB58_15
; %bb.16:
	s_or_b32 exec_lo, exec_lo, s29
.LBB58_17:
	s_delay_alu instid0(SALU_CYCLE_1)
	s_or_b32 exec_lo, exec_lo, s7
	ds_bpermute_b32 v2, v2, v6
	s_waitcnt lgkmcnt(0)
	v_add_f32_e32 v2, v6, v2
	ds_bpermute_b32 v3, v3, v2
	s_waitcnt lgkmcnt(0)
	v_add_f32_e32 v2, v2, v3
	;; [unrolled: 3-line block ×5, first 2 shown]
	s_and_saveexec_b32 s3, vcc_lo
	s_cbranch_execz .LBB58_19
; %bb.18:
	ds_store_b32 v5, v2 offset:400
.LBB58_19:
	s_or_b32 exec_lo, exec_lo, s3
	s_waitcnt lgkmcnt(0)
	s_barrier
	buffer_gl0_inv
	s_and_saveexec_b32 s3, s0
	s_cbranch_execz .LBB58_21
; %bb.20:
	ds_load_b32 v2, v99 offset:400
.LBB58_21:
	s_or_b32 exec_lo, exec_lo, s3
	s_waitcnt lgkmcnt(0)
	ds_bpermute_b32 v3, v107, v2
	s_waitcnt lgkmcnt(0)
	v_add_f32_e32 v2, v2, v3
	ds_bpermute_b32 v3, v106, v2
	s_waitcnt lgkmcnt(0)
	v_dual_add_f32 v2, v2, v3 :: v_dual_mov_b32 v3, 0
	ds_bpermute_b32 v2, v3, v2
	s_and_saveexec_b32 s0, s1
	s_cbranch_execz .LBB58_24
; %bb.22:
	s_waitcnt lgkmcnt(0)
	v_add_f32_e32 v3, 0x358637bd, v2
	s_mov_b32 s1, 0
	s_delay_alu instid0(VALU_DEP_1) | instskip(SKIP_1) | instid1(VALU_DEP_2)
	v_div_scale_f32 v5, null, v3, v3, 1.0
	v_div_scale_f32 v8, vcc_lo, 1.0, v3, 1.0
	v_rcp_f32_e32 v6, v5
	s_waitcnt_depctr 0xfff
	v_fma_f32 v7, -v5, v6, 1.0
	s_delay_alu instid0(VALU_DEP_1) | instskip(NEXT) | instid1(VALU_DEP_1)
	v_fmac_f32_e32 v6, v7, v6
	v_mul_f32_e32 v7, v8, v6
	s_delay_alu instid0(VALU_DEP_1) | instskip(NEXT) | instid1(VALU_DEP_1)
	v_fma_f32 v9, -v5, v7, v8
	v_fmac_f32_e32 v7, v9, v6
	s_delay_alu instid0(VALU_DEP_1) | instskip(NEXT) | instid1(VALU_DEP_1)
	v_fma_f32 v5, -v5, v7, v8
	v_div_fmas_f32 v5, v5, v6, v7
	s_delay_alu instid0(VALU_DEP_1)
	v_div_fixup_f32 v3, v5, v3, 1.0
	v_mov_b32_e32 v5, v0
.LBB58_23:                              ; =>This Inner Loop Header: Depth=1
	ds_load_b32 v6, v4
	s_waitcnt lgkmcnt(0)
	v_dual_mul_f32 v6, v3, v6 :: v_dual_add_nc_u32 v5, 0x80, v5
	s_delay_alu instid0(VALU_DEP_1) | instskip(SKIP_3) | instid1(SALU_CYCLE_1)
	v_cmp_le_i32_e32 vcc_lo, s6, v5
	ds_store_b32 v4, v6
	v_add_nc_u32_e32 v4, 0x200, v4
	s_or_b32 s1, vcc_lo, s1
	s_and_not1_b32 exec_lo, exec_lo, s1
	s_cbranch_execnz .LBB58_23
.LBB58_24:
	s_or_b32 exec_lo, exec_lo, s0
	s_mul_i32 s0, s4, s14
	s_waitcnt lgkmcnt(0)
	s_mul_i32 s6, s0, s13
	s_mov_b32 s0, exec_lo
	s_barrier
	buffer_gl0_inv
	v_cmpx_eq_u32_e32 0, v0
	s_cbranch_execz .LBB58_26
; %bb.25:
	s_ashr_i32 s7, s6, 31
	s_mul_i32 s36, s4, s22
	s_lshl_b64 s[34:35], s[6:7], 2
	v_mov_b32_e32 v3, 0
	s_add_u32 s1, s10, s34
	s_addc_u32 s3, s11, s35
	s_ashr_i32 s37, s36, 31
	s_delay_alu instid0(SALU_CYCLE_1) | instskip(NEXT) | instid1(SALU_CYCLE_1)
	s_lshl_b64 s[10:11], s[36:37], 2
	s_add_u32 s1, s1, s10
	s_addc_u32 s3, s3, s11
	s_ashr_i32 s13, s12, 31
	s_delay_alu instid0(SALU_CYCLE_1) | instskip(NEXT) | instid1(SALU_CYCLE_1)
	s_lshl_b64 s[36:37], s[12:13], 2
	s_add_u32 s38, s1, s36
	s_addc_u32 s39, s3, s37
	s_add_u32 s1, s8, s34
	s_addc_u32 s3, s9, s35
	s_add_u32 s1, s1, s10
	s_addc_u32 s3, s3, s11
	s_add_u32 s8, s1, s36
	s_addc_u32 s9, s3, s37
	s_clause 0x1
	global_store_b32 v3, v1, s[38:39]
	global_store_b32 v3, v2, s[8:9]
.LBB58_26:
	s_or_b32 exec_lo, exec_lo, s0
	v_dual_mov_b32 v131, 0 :: v_dual_mov_b32 v132, 0
	v_dual_mov_b32 v130, 0 :: v_dual_and_b32 v109, 7, v0
	v_dual_mov_b32 v133, 0 :: v_dual_mov_b32 v128, 0
	v_dual_mov_b32 v129, 0 :: v_dual_mov_b32 v126, 0
	v_dual_mov_b32 v127, 0 :: v_dual_mov_b32 v124, 0
	v_dual_mov_b32 v125, 0 :: v_dual_mov_b32 v122, 0
	v_dual_mov_b32 v123, 0 :: v_dual_mov_b32 v120, 0
	v_dual_mov_b32 v121, 0 :: v_dual_mov_b32 v118, 0
	v_dual_mov_b32 v119, 0 :: v_dual_mov_b32 v116, 0
	v_dual_mov_b32 v117, 0 :: v_dual_mov_b32 v114, 0
	v_dual_mov_b32 v115, 0 :: v_dual_mov_b32 v112, 0
	v_dual_mov_b32 v113, 0 :: v_dual_mov_b32 v110, 0
	v_mov_b32_e32 v111, 0
	s_and_saveexec_b32 s1, s2
	s_cbranch_execz .LBB58_78
; %bb.27:
	v_dual_mov_b32 v110, 0 :: v_dual_lshlrev_b32 v1, 2, v0
	v_dual_mov_b32 v111, 0 :: v_dual_lshlrev_b32 v2, 4, v109
	v_lshl_add_u32 v17, v104, 5, s30
	s_delay_alu instid0(VALU_DEP_3) | instskip(SKIP_4) | instid1(VALU_DEP_2)
	v_dual_mov_b32 v112, 0 :: v_dual_and_b32 v3, 0x7c, v1
	v_dual_mov_b32 v114, 0 :: v_dual_and_b32 v1, 28, v1
	s_ashr_i32 s29, s28, 31
	v_lshl_or_b32 v20, v104, 7, v2
	s_lshl_b64 s[2:3], s[28:29], 2
	v_add3_u32 v134, v17, v1, 3
	v_lshlrev_b64 v[1:2], 2, v[101:102]
	s_add_u32 s2, s26, s2
	s_addc_u32 s3, s27, s3
	s_lshl_b64 s[8:9], s[24:25], 2
	s_add_i32 s7, s23, -1
	v_or_b32_e32 v4, 0x400, v3
	v_or_b32_e32 v5, 0x480, v3
	;; [unrolled: 1-line block ×16, first 2 shown]
	s_add_u32 s0, s20, s8
	s_addc_u32 s8, s21, s9
	v_add_co_u32 v102, vcc_lo, s0, v1
	v_dual_mov_b32 v116, 0 :: v_dual_add_nc_u32 v135, 0x1a0, v20
	v_add_co_ci_u32_e32 v103, vcc_lo, s8, v2, vcc_lo
	v_dual_mov_b32 v113, 0 :: v_dual_lshlrev_b32 v136, 2, v3
	v_dual_mov_b32 v118, 0 :: v_dual_lshlrev_b32 v137, 2, v4
	;; [unrolled: 1-line block ×17, first 2 shown]
	v_mov_b32_e32 v133, 0
	v_mov_b32_e32 v131, 0
	s_mov_b32 s8, s5
	s_mov_b32 s5, 0
	s_branch .LBB58_29
.LBB58_28:                              ;   in Loop: Header=BB58_29 Depth=1
	s_or_b32 exec_lo, exec_lo, s0
	s_waitcnt vmcnt(9) lgkmcnt(0)
	v_mul_f32_e32 v62, v2, v62
	s_waitcnt vmcnt(5)
	v_mul_f32_e32 v78, v2, v78
	v_mul_f32_e32 v54, v2, v54
	;; [unrolled: 1-line block ×3, first 2 shown]
	s_waitcnt vmcnt(3)
	v_mul_f32_e32 v90, v2, v90
	v_fmac_f32_e32 v62, v1, v61
	v_fmac_f32_e32 v78, v1, v77
	;; [unrolled: 1-line block ×3, first 2 shown]
	v_mul_f32_e32 v30, v2, v30
	v_fmac_f32_e32 v10, v1, v9
	v_fmac_f32_e32 v62, v3, v63
	s_waitcnt vmcnt(1)
	v_dual_mul_f32 v98, v2, v98 :: v_dual_add_nc_u32 v101, 4, v101
	v_fmac_f32_e32 v78, v3, v79
	v_mul_f32_e32 v46, v2, v46
	v_fmac_f32_e32 v62, v4, v64
	v_fmac_f32_e32 v90, v1, v89
	;; [unrolled: 1-line block ×5, first 2 shown]
	v_add_f32_e32 v119, v119, v62
	v_mul_f32_e32 v70, v2, v70
	v_fmac_f32_e32 v78, v4, v80
	v_fmac_f32_e32 v98, v1, v97
	;; [unrolled: 1-line block ×5, first 2 shown]
	v_mul_f32_e32 v38, v2, v38
	v_fmac_f32_e32 v30, v3, v31
	s_delay_alu instid0(VALU_DEP_4) | instskip(SKIP_2) | instid1(VALU_DEP_3)
	v_dual_fmac_f32 v10, v4, v12 :: v_dual_add_f32 v121, v121, v54
	v_dual_mul_f32 v94, v2, v94 :: v_dual_add_nc_u32 v135, 0x200, v135
	v_mul_f32_e32 v86, v2, v86
	v_dual_fmac_f32 v90, v4, v92 :: v_dual_add_f32 v133, v133, v10
	v_mul_f32_e32 v74, v2, v74
	v_mul_f32_e32 v66, v2, v66
	v_dual_fmac_f32 v70, v1, v69 :: v_dual_add_f32 v115, v115, v78
	s_delay_alu instid0(VALU_DEP_4)
	v_dual_fmac_f32 v98, v3, v99 :: v_dual_add_f32 v113, v113, v90
	v_mul_f32_e32 v58, v2, v58
	v_mul_f32_e32 v50, v2, v50
	;; [unrolled: 1-line block ×3, first 2 shown]
	v_fmac_f32_e32 v46, v3, v47
	v_mul_f32_e32 v34, v2, v34
	v_fmac_f32_e32 v38, v1, v37
	v_mul_f32_e32 v26, v2, v26
	v_mul_f32_e32 v22, v2, v22
	v_fmac_f32_e32 v30, v4, v32
	v_mul_f32_e32 v18, v2, v18
	v_mul_f32_e32 v14, v2, v14
	;; [unrolled: 1-line block ×3, first 2 shown]
	s_waitcnt vmcnt(0)
	v_mul_f32_e32 v2, v2, v82
	v_dual_fmac_f32 v98, v4, v100 :: v_dual_add_f32 v127, v127, v30
	v_fmac_f32_e32 v94, v1, v93
	v_fmac_f32_e32 v74, v1, v73
	s_delay_alu instid0(VALU_DEP_3)
	v_dual_fmac_f32 v66, v1, v65 :: v_dual_add_f32 v111, v111, v98
	v_fmac_f32_e32 v70, v3, v71
	v_fmac_f32_e32 v58, v1, v57
	;; [unrolled: 1-line block ×8, first 2 shown]
	s_delay_alu instid0(VALU_DEP_4)
	v_dual_fmac_f32 v26, v1, v25 :: v_dual_add_f32 v123, v123, v46
	v_fmac_f32_e32 v22, v1, v21
	v_fmac_f32_e32 v18, v1, v17
	;; [unrolled: 1-line block ×11, first 2 shown]
	s_delay_alu instid0(VALU_DEP_4)
	v_dual_fmac_f32 v42, v3, v43 :: v_dual_add_f32 v117, v117, v70
	v_fmac_f32_e32 v34, v3, v35
	v_fmac_f32_e32 v38, v4, v40
	v_fmac_f32_e32 v86, v3, v87
	v_fmac_f32_e32 v26, v3, v27
	v_fmac_f32_e32 v22, v3, v23
	s_delay_alu instid0(VALU_DEP_4)
	v_dual_fmac_f32 v18, v3, v19 :: v_dual_add_f32 v125, v125, v38
	v_fmac_f32_e32 v14, v3, v15
	v_fmac_f32_e32 v6, v3, v7
	;; [unrolled: 1-line block ×14, first 2 shown]
	s_delay_alu instid0(VALU_DEP_4) | instskip(SKIP_3) | instid1(VALU_DEP_4)
	v_dual_fmac_f32 v6, v4, v8 :: v_dual_add_f32 v129, v129, v22
	v_fmac_f32_e32 v86, v4, v88
	v_fmac_f32_e32 v2, v4, v84
	v_cmp_le_i32_e32 vcc_lo, s17, v101
	v_add_f32_e32 v131, v131, v6
	v_add_co_u32 v102, s0, v102, 16
	v_add_f32_e32 v112, v112, v94
	v_add_f32_e32 v114, v114, v86
	;; [unrolled: 1-line block ×12, first 2 shown]
	v_add_nc_u32_e32 v134, 0x80, v134
	v_add_co_ci_u32_e64 v103, s0, 0, v103, s0
	s_or_b32 s5, vcc_lo, s5
	s_delay_alu instid0(SALU_CYCLE_1)
	s_and_not1_b32 exec_lo, exec_lo, s5
	s_cbranch_execz .LBB58_77
.LBB58_29:                              ; =>This Inner Loop Header: Depth=1
	global_load_b32 v3, v[102:103], off
	v_add_nc_u32_e32 v153, -3, v134
	v_add_nc_u32_e32 v155, -2, v134
	;; [unrolled: 1-line block ×3, first 2 shown]
	s_waitcnt vmcnt(0)
	v_mad_i64_i32 v[1:2], null, v3, s8, 0
	s_delay_alu instid0(VALU_DEP_1) | instskip(NEXT) | instid1(VALU_DEP_1)
	v_lshlrev_b64 v[1:2], 2, v[1:2]
	v_add_co_u32 v81, vcc_lo, s2, v1
	s_delay_alu instid0(VALU_DEP_2)
	v_add_co_ci_u32_e32 v82, vcc_lo, s3, v2, vcc_lo
	ds_load_b128 v[1:4], v135
	v_add_co_u32 v33, vcc_lo, v81, v136
	v_add_co_ci_u32_e32 v34, vcc_lo, 0, v82, vcc_lo
	v_cmp_eq_u32_e32 vcc_lo, s7, v101
	global_load_b128 v[5:8], v[33:34], off
	s_and_saveexec_b32 s9, vcc_lo
	s_cbranch_execnz .LBB58_70
; %bb.30:                               ;   in Loop: Header=BB58_29 Depth=1
	s_or_b32 exec_lo, exec_lo, s9
	global_load_b128 v[9:12], v[33:34], off offset:512
	s_and_saveexec_b32 s9, vcc_lo
	s_cbranch_execnz .LBB58_71
.LBB58_31:                              ;   in Loop: Header=BB58_29 Depth=1
	s_or_b32 exec_lo, exec_lo, s9
	global_load_b128 v[13:16], v[33:34], off offset:1024
	s_and_saveexec_b32 s9, vcc_lo
	s_cbranch_execnz .LBB58_72
.LBB58_32:                              ;   in Loop: Header=BB58_29 Depth=1
	s_or_b32 exec_lo, exec_lo, s9
	global_load_b128 v[17:20], v[33:34], off offset:1536
	s_and_saveexec_b32 s9, vcc_lo
	s_cbranch_execnz .LBB58_73
.LBB58_33:                              ;   in Loop: Header=BB58_29 Depth=1
	s_or_b32 exec_lo, exec_lo, s9
	global_load_b128 v[21:24], v[33:34], off offset:2048
	s_and_saveexec_b32 s9, vcc_lo
	s_cbranch_execnz .LBB58_74
.LBB58_34:                              ;   in Loop: Header=BB58_29 Depth=1
	s_or_b32 exec_lo, exec_lo, s9
	global_load_b128 v[25:28], v[33:34], off offset:2560
	s_and_saveexec_b32 s9, vcc_lo
	s_cbranch_execnz .LBB58_75
.LBB58_35:                              ;   in Loop: Header=BB58_29 Depth=1
	s_or_b32 exec_lo, exec_lo, s9
	global_load_b128 v[29:32], v[33:34], off offset:3072
	s_and_saveexec_b32 s9, vcc_lo
	s_cbranch_execnz .LBB58_76
.LBB58_36:                              ;   in Loop: Header=BB58_29 Depth=1
	s_or_b32 exec_lo, exec_lo, s9
	global_load_b128 v[33:36], v[33:34], off offset:3584
	s_and_saveexec_b32 s9, vcc_lo
	s_cbranch_execz .LBB58_38
.LBB58_37:                              ;   in Loop: Header=BB58_29 Depth=1
	v_cmp_gt_i32_e64 s0, s15, v153
	s_waitcnt vmcnt(0)
	s_delay_alu instid0(VALU_DEP_1) | instskip(SKIP_1) | instid1(VALU_DEP_1)
	v_cndmask_b32_e64 v33, 0, v33, s0
	v_cmp_gt_i32_e64 s0, s15, v155
	v_cndmask_b32_e64 v34, 0, v34, s0
	v_cmp_gt_i32_e64 s0, s15, v154
	s_delay_alu instid0(VALU_DEP_1) | instskip(SKIP_1) | instid1(VALU_DEP_1)
	v_cndmask_b32_e64 v35, 0, v35, s0
	v_cmp_gt_i32_e64 s0, s15, v134
	v_cndmask_b32_e64 v36, 0, v36, s0
.LBB58_38:                              ;   in Loop: Header=BB58_29 Depth=1
	s_or_b32 exec_lo, exec_lo, s9
	v_add_co_u32 v37, s0, v81, v137
	s_delay_alu instid0(VALU_DEP_1)
	v_add_co_ci_u32_e64 v38, s0, 0, v82, s0
	global_load_b128 v[37:40], v[37:38], off
	s_and_saveexec_b32 s9, vcc_lo
	s_cbranch_execz .LBB58_40
; %bb.39:                               ;   in Loop: Header=BB58_29 Depth=1
	v_cmp_gt_i32_e64 s0, s15, v153
	s_waitcnt vmcnt(0)
	s_delay_alu instid0(VALU_DEP_1) | instskip(SKIP_1) | instid1(VALU_DEP_1)
	v_cndmask_b32_e64 v37, 0, v37, s0
	v_cmp_gt_i32_e64 s0, s15, v155
	v_cndmask_b32_e64 v38, 0, v38, s0
	v_cmp_gt_i32_e64 s0, s15, v154
	s_delay_alu instid0(VALU_DEP_1) | instskip(SKIP_1) | instid1(VALU_DEP_1)
	v_cndmask_b32_e64 v39, 0, v39, s0
	v_cmp_gt_i32_e64 s0, s15, v134
	v_cndmask_b32_e64 v40, 0, v40, s0
.LBB58_40:                              ;   in Loop: Header=BB58_29 Depth=1
	s_or_b32 exec_lo, exec_lo, s9
	v_add_co_u32 v41, s0, v81, v138
	s_delay_alu instid0(VALU_DEP_1)
	v_add_co_ci_u32_e64 v42, s0, 0, v82, s0
	global_load_b128 v[41:44], v[41:42], off
	s_and_saveexec_b32 s9, vcc_lo
	s_cbranch_execz .LBB58_42
; %bb.41:                               ;   in Loop: Header=BB58_29 Depth=1
	v_cmp_gt_i32_e64 s0, s15, v153
	s_waitcnt vmcnt(0)
	s_delay_alu instid0(VALU_DEP_1) | instskip(SKIP_1) | instid1(VALU_DEP_1)
	v_cndmask_b32_e64 v41, 0, v41, s0
	v_cmp_gt_i32_e64 s0, s15, v155
	v_cndmask_b32_e64 v42, 0, v42, s0
	v_cmp_gt_i32_e64 s0, s15, v154
	s_delay_alu instid0(VALU_DEP_1) | instskip(SKIP_1) | instid1(VALU_DEP_1)
	v_cndmask_b32_e64 v43, 0, v43, s0
	v_cmp_gt_i32_e64 s0, s15, v134
	v_cndmask_b32_e64 v44, 0, v44, s0
.LBB58_42:                              ;   in Loop: Header=BB58_29 Depth=1
	;; [unrolled: 20-line block ×15, first 2 shown]
	s_or_b32 exec_lo, exec_lo, s9
	v_add_co_u32 v81, s0, v81, v152
	s_delay_alu instid0(VALU_DEP_1)
	v_add_co_ci_u32_e64 v82, s0, 0, v82, s0
	global_load_b128 v[81:84], v[81:82], off
	s_and_saveexec_b32 s0, vcc_lo
	s_cbranch_execz .LBB58_28
; %bb.69:                               ;   in Loop: Header=BB58_29 Depth=1
	v_cmp_gt_i32_e32 vcc_lo, s15, v153
	s_waitcnt vmcnt(0)
	v_cndmask_b32_e32 v81, 0, v81, vcc_lo
	v_cmp_gt_i32_e32 vcc_lo, s15, v155
	v_cndmask_b32_e32 v82, 0, v82, vcc_lo
	v_cmp_gt_i32_e32 vcc_lo, s15, v154
	v_cndmask_b32_e32 v83, 0, v83, vcc_lo
	v_cmp_gt_i32_e32 vcc_lo, s15, v134
	v_cndmask_b32_e32 v84, 0, v84, vcc_lo
	s_branch .LBB58_28
.LBB58_70:                              ;   in Loop: Header=BB58_29 Depth=1
	v_cmp_gt_i32_e64 s0, s15, v153
	s_waitcnt vmcnt(0)
	s_delay_alu instid0(VALU_DEP_1) | instskip(SKIP_1) | instid1(VALU_DEP_1)
	v_cndmask_b32_e64 v5, 0, v5, s0
	v_cmp_gt_i32_e64 s0, s15, v155
	v_cndmask_b32_e64 v6, 0, v6, s0
	v_cmp_gt_i32_e64 s0, s15, v154
	s_delay_alu instid0(VALU_DEP_1) | instskip(SKIP_1) | instid1(VALU_DEP_1)
	v_cndmask_b32_e64 v7, 0, v7, s0
	v_cmp_gt_i32_e64 s0, s15, v134
	v_cndmask_b32_e64 v8, 0, v8, s0
	s_or_b32 exec_lo, exec_lo, s9
	global_load_b128 v[9:12], v[33:34], off offset:512
	s_and_saveexec_b32 s9, vcc_lo
	s_cbranch_execz .LBB58_31
.LBB58_71:                              ;   in Loop: Header=BB58_29 Depth=1
	v_cmp_gt_i32_e64 s0, s15, v153
	s_waitcnt vmcnt(0)
	s_delay_alu instid0(VALU_DEP_1) | instskip(SKIP_1) | instid1(VALU_DEP_1)
	v_cndmask_b32_e64 v9, 0, v9, s0
	v_cmp_gt_i32_e64 s0, s15, v155
	v_cndmask_b32_e64 v10, 0, v10, s0
	v_cmp_gt_i32_e64 s0, s15, v154
	s_delay_alu instid0(VALU_DEP_1) | instskip(SKIP_1) | instid1(VALU_DEP_1)
	v_cndmask_b32_e64 v11, 0, v11, s0
	v_cmp_gt_i32_e64 s0, s15, v134
	v_cndmask_b32_e64 v12, 0, v12, s0
	s_or_b32 exec_lo, exec_lo, s9
	global_load_b128 v[13:16], v[33:34], off offset:1024
	s_and_saveexec_b32 s9, vcc_lo
	s_cbranch_execz .LBB58_32
.LBB58_72:                              ;   in Loop: Header=BB58_29 Depth=1
	v_cmp_gt_i32_e64 s0, s15, v153
	s_waitcnt vmcnt(0)
	s_delay_alu instid0(VALU_DEP_1) | instskip(SKIP_1) | instid1(VALU_DEP_1)
	v_cndmask_b32_e64 v13, 0, v13, s0
	v_cmp_gt_i32_e64 s0, s15, v155
	v_cndmask_b32_e64 v14, 0, v14, s0
	v_cmp_gt_i32_e64 s0, s15, v154
	s_delay_alu instid0(VALU_DEP_1) | instskip(SKIP_1) | instid1(VALU_DEP_1)
	v_cndmask_b32_e64 v15, 0, v15, s0
	v_cmp_gt_i32_e64 s0, s15, v134
	v_cndmask_b32_e64 v16, 0, v16, s0
	s_or_b32 exec_lo, exec_lo, s9
	global_load_b128 v[17:20], v[33:34], off offset:1536
	s_and_saveexec_b32 s9, vcc_lo
	s_cbranch_execz .LBB58_33
.LBB58_73:                              ;   in Loop: Header=BB58_29 Depth=1
	v_cmp_gt_i32_e64 s0, s15, v153
	s_waitcnt vmcnt(0)
	s_delay_alu instid0(VALU_DEP_1) | instskip(SKIP_1) | instid1(VALU_DEP_1)
	v_cndmask_b32_e64 v17, 0, v17, s0
	v_cmp_gt_i32_e64 s0, s15, v155
	v_cndmask_b32_e64 v18, 0, v18, s0
	v_cmp_gt_i32_e64 s0, s15, v154
	s_delay_alu instid0(VALU_DEP_1) | instskip(SKIP_1) | instid1(VALU_DEP_1)
	v_cndmask_b32_e64 v19, 0, v19, s0
	v_cmp_gt_i32_e64 s0, s15, v134
	v_cndmask_b32_e64 v20, 0, v20, s0
	s_or_b32 exec_lo, exec_lo, s9
	global_load_b128 v[21:24], v[33:34], off offset:2048
	s_and_saveexec_b32 s9, vcc_lo
	s_cbranch_execz .LBB58_34
.LBB58_74:                              ;   in Loop: Header=BB58_29 Depth=1
	v_cmp_gt_i32_e64 s0, s15, v153
	s_waitcnt vmcnt(0)
	s_delay_alu instid0(VALU_DEP_1) | instskip(SKIP_1) | instid1(VALU_DEP_1)
	v_cndmask_b32_e64 v21, 0, v21, s0
	v_cmp_gt_i32_e64 s0, s15, v155
	v_cndmask_b32_e64 v22, 0, v22, s0
	v_cmp_gt_i32_e64 s0, s15, v154
	s_delay_alu instid0(VALU_DEP_1) | instskip(SKIP_1) | instid1(VALU_DEP_1)
	v_cndmask_b32_e64 v23, 0, v23, s0
	v_cmp_gt_i32_e64 s0, s15, v134
	v_cndmask_b32_e64 v24, 0, v24, s0
	s_or_b32 exec_lo, exec_lo, s9
	global_load_b128 v[25:28], v[33:34], off offset:2560
	s_and_saveexec_b32 s9, vcc_lo
	s_cbranch_execz .LBB58_35
.LBB58_75:                              ;   in Loop: Header=BB58_29 Depth=1
	v_cmp_gt_i32_e64 s0, s15, v153
	s_waitcnt vmcnt(0)
	s_delay_alu instid0(VALU_DEP_1) | instskip(SKIP_1) | instid1(VALU_DEP_1)
	v_cndmask_b32_e64 v25, 0, v25, s0
	v_cmp_gt_i32_e64 s0, s15, v155
	v_cndmask_b32_e64 v26, 0, v26, s0
	v_cmp_gt_i32_e64 s0, s15, v154
	s_delay_alu instid0(VALU_DEP_1) | instskip(SKIP_1) | instid1(VALU_DEP_1)
	v_cndmask_b32_e64 v27, 0, v27, s0
	v_cmp_gt_i32_e64 s0, s15, v134
	v_cndmask_b32_e64 v28, 0, v28, s0
	s_or_b32 exec_lo, exec_lo, s9
	global_load_b128 v[29:32], v[33:34], off offset:3072
	s_and_saveexec_b32 s9, vcc_lo
	s_cbranch_execz .LBB58_36
.LBB58_76:                              ;   in Loop: Header=BB58_29 Depth=1
	v_cmp_gt_i32_e64 s0, s15, v153
	s_waitcnt vmcnt(0)
	s_delay_alu instid0(VALU_DEP_1) | instskip(SKIP_1) | instid1(VALU_DEP_1)
	v_cndmask_b32_e64 v29, 0, v29, s0
	v_cmp_gt_i32_e64 s0, s15, v155
	v_cndmask_b32_e64 v30, 0, v30, s0
	v_cmp_gt_i32_e64 s0, s15, v154
	s_delay_alu instid0(VALU_DEP_1) | instskip(SKIP_1) | instid1(VALU_DEP_1)
	v_cndmask_b32_e64 v31, 0, v31, s0
	v_cmp_gt_i32_e64 s0, s15, v134
	v_cndmask_b32_e64 v32, 0, v32, s0
	s_or_b32 exec_lo, exec_lo, s9
	global_load_b128 v[33:36], v[33:34], off offset:3584
	s_and_saveexec_b32 s9, vcc_lo
	s_cbranch_execnz .LBB58_37
	s_branch .LBB58_38
.LBB58_77:
	s_or_b32 exec_lo, exec_lo, s5
.LBB58_78:
	s_delay_alu instid0(SALU_CYCLE_1)
	s_or_b32 exec_lo, exec_lo, s1
	ds_bpermute_b32 v1, v108, v131
	ds_bpermute_b32 v3, v108, v132
	;; [unrolled: 1-line block ×20, first 2 shown]
	s_waitcnt lgkmcnt(19)
	v_add_f32_e32 v1, v131, v1
	s_waitcnt lgkmcnt(17)
	v_dual_add_f32 v3, v132, v3 :: v_dual_add_f32 v2, v133, v2
	s_waitcnt lgkmcnt(15)
	v_dual_add_f32 v4, v130, v4 :: v_dual_add_f32 v5, v129, v5
	s_waitcnt lgkmcnt(14)
	v_add_f32_e32 v6, v128, v6
	ds_bpermute_b32 v19, v107, v1
	ds_bpermute_b32 v21, v107, v3
	;; [unrolled: 1-line block ×4, first 2 shown]
	s_waitcnt lgkmcnt(16)
	v_dual_add_f32 v11, v123, v11 :: v_dual_add_f32 v12, v122, v12
	ds_bpermute_b32 v26, v107, v6
	s_waitcnt lgkmcnt(16)
	v_add_f32_e32 v13, v121, v13
	ds_bpermute_b32 v24, v108, v114
	ds_bpermute_b32 v33, v107, v11
	s_waitcnt lgkmcnt(16)
	v_dual_add_f32 v7, v127, v7 :: v_dual_add_f32 v8, v126, v8
	s_waitcnt lgkmcnt(14)
	v_dual_add_f32 v9, v125, v9 :: v_dual_add_f32 v10, v124, v10
	ds_bpermute_b32 v31, v108, v113
	s_waitcnt lgkmcnt(12)
	v_dual_add_f32 v15, v119, v15 :: v_dual_add_f32 v16, v118, v16
	s_waitcnt lgkmcnt(10)
	v_dual_add_f32 v23, v115, v23 :: v_dual_add_f32 v32, v112, v32
	ds_bpermute_b32 v25, v107, v5
	s_waitcnt lgkmcnt(8)
	v_add_f32_e32 v1, v1, v19
	s_waitcnt lgkmcnt(6)
	v_dual_add_f32 v3, v3, v21 :: v_dual_add_f32 v2, v2, v20
	s_waitcnt lgkmcnt(5)
	v_add_f32_e32 v4, v4, v22
	ds_bpermute_b32 v27, v107, v7
	ds_bpermute_b32 v19, v106, v1
	;; [unrolled: 1-line block ×3, first 2 shown]
	s_waitcnt lgkmcnt(7)
	v_add_f32_e32 v6, v6, v26
	ds_bpermute_b32 v22, v106, v4
	ds_bpermute_b32 v35, v107, v13
	;; [unrolled: 1-line block ×5, first 2 shown]
	s_waitcnt lgkmcnt(10)
	v_add_f32_e32 v11, v11, v33
	ds_bpermute_b32 v33, v107, v16
	ds_bpermute_b32 v39, v107, v32
	v_dual_add_f32 v17, v117, v17 :: v_dual_add_f32 v18, v116, v18
	ds_bpermute_b32 v29, v107, v9
	s_waitcnt lgkmcnt(11)
	v_dual_add_f32 v24, v114, v24 :: v_dual_add_f32 v5, v5, v25
	ds_bpermute_b32 v36, v107, v23
	ds_bpermute_b32 v20, v106, v2
	;; [unrolled: 1-line block ×3, first 2 shown]
	s_waitcnt lgkmcnt(12)
	v_dual_add_f32 v14, v120, v14 :: v_dual_add_f32 v1, v1, v19
	s_waitcnt lgkmcnt(11)
	v_add_f32_e32 v3, v3, v21
	ds_bpermute_b32 v19, v108, v111
	ds_bpermute_b32 v21, v108, v110
	s_waitcnt lgkmcnt(12)
	v_add_f32_e32 v4, v4, v22
	ds_bpermute_b32 v22, v107, v14
	s_waitcnt lgkmcnt(12)
	v_add_f32_e32 v13, v13, v35
	v_add_f32_e32 v31, v113, v31
	s_waitcnt lgkmcnt(10)
	v_dual_add_f32 v7, v7, v27 :: v_dual_add_f32 v10, v10, v30
	v_add_f32_e32 v8, v8, v28
	s_waitcnt lgkmcnt(9)
	v_add_f32_e32 v12, v12, v34
	ds_bpermute_b32 v30, v107, v15
	ds_bpermute_b32 v34, v107, v17
	;; [unrolled: 1-line block ×5, first 2 shown]
	s_waitcnt lgkmcnt(9)
	v_dual_add_f32 v9, v9, v29 :: v_dual_add_f32 v2, v2, v20
	v_add_f32_e32 v16, v16, v33
	v_add_f32_e32 v32, v32, v39
	ds_bpermute_b32 v25, v106, v5
	s_waitcnt lgkmcnt(8)
	v_add_f32_e32 v19, v111, v19
	s_waitcnt lgkmcnt(7)
	v_add_f32_e32 v21, v110, v21
	ds_bpermute_b32 v27, v106, v7
	s_waitcnt lgkmcnt(7)
	v_add_f32_e32 v14, v14, v22
	ds_bpermute_b32 v38, v107, v31
	ds_bpermute_b32 v40, v107, v19
	;; [unrolled: 1-line block ×3, first 2 shown]
	v_dual_add_f32 v23, v23, v36 :: v_dual_add_f32 v6, v6, v26
	ds_bpermute_b32 v29, v106, v9
	s_waitcnt lgkmcnt(10)
	v_add_f32_e32 v15, v15, v30
	s_waitcnt lgkmcnt(8)
	v_dual_add_f32 v17, v17, v34 :: v_dual_add_f32 v18, v18, v35
	s_waitcnt lgkmcnt(7)
	v_add_f32_e32 v24, v24, v37
	ds_bpermute_b32 v20, v106, v10
	ds_bpermute_b32 v41, v106, v11
	;; [unrolled: 1-line block ×10, first 2 shown]
	s_waitcnt lgkmcnt(13)
	v_dual_add_f32 v31, v31, v38 :: v_dual_add_f32 v8, v8, v28
	s_waitcnt lgkmcnt(11)
	v_dual_add_f32 v38, v19, v40 :: v_dual_add_f32 v45, v21, v22
	ds_bpermute_b32 v39, v106, v24
	ds_bpermute_b32 v40, v106, v31
	;; [unrolled: 1-line block ×5, first 2 shown]
	s_waitcnt lgkmcnt(14)
	v_dual_add_f32 v5, v5, v25 :: v_dual_add_f32 v10, v10, v20
	s_waitcnt lgkmcnt(12)
	v_dual_add_f32 v7, v7, v27 :: v_dual_add_f32 v12, v12, v42
	v_and_b32_e32 v27, 0x3c7, v0
	v_lshrrev_b32_e32 v25, 3, v105
	s_movk_i32 s0, 0x180
	s_waitcnt lgkmcnt(10)
	v_dual_add_f32 v9, v9, v29 :: v_dual_add_f32 v14, v14, v30
	s_waitcnt lgkmcnt(8)
	v_dual_add_f32 v11, v11, v41 :: v_dual_add_f32 v16, v16, v34
	;; [unrolled: 2-line block ×3, first 2 shown]
	v_add_f32_e32 v15, v15, v33
	v_add_f32_e32 v17, v17, v35
	s_waitcnt lgkmcnt(4)
	v_dual_add_f32 v19, v23, v37 :: v_dual_add_f32 v20, v24, v39
	s_waitcnt lgkmcnt(3)
	v_add_f32_e32 v21, v31, v40
	s_waitcnt lgkmcnt(2)
	v_add_f32_e32 v22, v32, v44
	;; [unrolled: 2-line block ×3, first 2 shown]
	v_add_f32_e32 v23, v38, v46
	v_mad_u32_u24 v26, v104, s0, 0x1a0
	v_cmp_eq_u32_e32 vcc_lo, 64, v27
	v_lshlrev_b32_e32 v27, 2, v25
	s_waitcnt_vscnt null, 0x0
	s_barrier
	buffer_gl0_inv
	s_and_saveexec_b32 s0, vcc_lo
	s_cbranch_execz .LBB58_80
; %bb.79:
	v_add3_u32 v28, v26, v27, 0xfffffd00
	ds_store_2addr_b32 v28, v1, v2 offset1:4
	ds_store_2addr_b32 v28, v3, v4 offset0:8 offset1:12
	ds_store_2addr_b32 v28, v5, v6 offset0:16 offset1:20
	;; [unrolled: 1-line block ×11, first 2 shown]
.LBB58_80:
	s_or_b32 exec_lo, exec_lo, s0
	v_cmp_eq_u32_e32 vcc_lo, 0, v109
	s_mov_b32 s1, exec_lo
	s_waitcnt lgkmcnt(0)
	s_barrier
	buffer_gl0_inv
	v_cmpx_gt_u32_e32 64, v0
	s_cbranch_execz .LBB58_107
; %bb.81:
	s_and_saveexec_b32 s0, vcc_lo
	s_cbranch_execnz .LBB58_139
; %bb.82:
	s_or_b32 exec_lo, exec_lo, s0
	s_and_saveexec_b32 s0, vcc_lo
	s_cbranch_execnz .LBB58_140
.LBB58_83:
	s_or_b32 exec_lo, exec_lo, s0
	s_and_saveexec_b32 s0, vcc_lo
	s_cbranch_execnz .LBB58_141
.LBB58_84:
	s_or_b32 exec_lo, exec_lo, s0
	s_and_saveexec_b32 s0, vcc_lo
	s_cbranch_execnz .LBB58_142
.LBB58_85:
	s_or_b32 exec_lo, exec_lo, s0
	s_and_saveexec_b32 s0, vcc_lo
	s_cbranch_execnz .LBB58_143
.LBB58_86:
	s_or_b32 exec_lo, exec_lo, s0
	s_and_saveexec_b32 s0, vcc_lo
	s_cbranch_execnz .LBB58_144
.LBB58_87:
	s_or_b32 exec_lo, exec_lo, s0
	s_and_saveexec_b32 s0, vcc_lo
	s_cbranch_execnz .LBB58_145
.LBB58_88:
	s_or_b32 exec_lo, exec_lo, s0
	s_and_saveexec_b32 s0, vcc_lo
	s_cbranch_execnz .LBB58_146
.LBB58_89:
	s_or_b32 exec_lo, exec_lo, s0
	s_and_saveexec_b32 s0, vcc_lo
	s_cbranch_execnz .LBB58_147
.LBB58_90:
	s_or_b32 exec_lo, exec_lo, s0
	s_and_saveexec_b32 s0, vcc_lo
	s_cbranch_execnz .LBB58_148
.LBB58_91:
	s_or_b32 exec_lo, exec_lo, s0
	s_and_saveexec_b32 s0, vcc_lo
	s_cbranch_execnz .LBB58_149
.LBB58_92:
	s_or_b32 exec_lo, exec_lo, s0
	s_and_saveexec_b32 s0, vcc_lo
	s_cbranch_execnz .LBB58_150
.LBB58_93:
	s_or_b32 exec_lo, exec_lo, s0
	s_and_saveexec_b32 s0, vcc_lo
	s_cbranch_execnz .LBB58_151
.LBB58_94:
	s_or_b32 exec_lo, exec_lo, s0
	s_and_saveexec_b32 s0, vcc_lo
	s_cbranch_execnz .LBB58_152
.LBB58_95:
	s_or_b32 exec_lo, exec_lo, s0
	s_and_saveexec_b32 s0, vcc_lo
	s_cbranch_execnz .LBB58_153
.LBB58_96:
	s_or_b32 exec_lo, exec_lo, s0
	s_and_saveexec_b32 s0, vcc_lo
	s_cbranch_execnz .LBB58_154
.LBB58_97:
	s_or_b32 exec_lo, exec_lo, s0
	s_and_saveexec_b32 s0, vcc_lo
	s_cbranch_execnz .LBB58_155
.LBB58_98:
	s_or_b32 exec_lo, exec_lo, s0
	s_and_saveexec_b32 s0, vcc_lo
	s_cbranch_execnz .LBB58_156
.LBB58_99:
	s_or_b32 exec_lo, exec_lo, s0
	s_and_saveexec_b32 s0, vcc_lo
	s_cbranch_execnz .LBB58_157
.LBB58_100:
	s_or_b32 exec_lo, exec_lo, s0
	s_and_saveexec_b32 s0, vcc_lo
	s_cbranch_execnz .LBB58_158
.LBB58_101:
	s_or_b32 exec_lo, exec_lo, s0
	s_and_saveexec_b32 s0, vcc_lo
	s_cbranch_execnz .LBB58_159
.LBB58_102:
	s_or_b32 exec_lo, exec_lo, s0
	s_and_saveexec_b32 s0, vcc_lo
	s_cbranch_execnz .LBB58_160
.LBB58_103:
	s_or_b32 exec_lo, exec_lo, s0
	s_and_saveexec_b32 s0, vcc_lo
	s_cbranch_execnz .LBB58_161
.LBB58_104:
	s_or_b32 exec_lo, exec_lo, s0
	s_and_saveexec_b32 s0, vcc_lo
	s_cbranch_execz .LBB58_106
.LBB58_105:
	v_lshl_add_u32 v28, v25, 2, v26
	ds_load_b32 v28, v28 offset:368
	s_waitcnt lgkmcnt(0)
	v_add_f32_e32 v24, v24, v28
.LBB58_106:
	s_or_b32 exec_lo, exec_lo, s0
.LBB58_107:
	s_delay_alu instid0(SALU_CYCLE_1)
	s_or_b32 exec_lo, exec_lo, s1
	v_and_b32_e32 v28, 0x3e7, v0
	s_mov_b32 s1, exec_lo
	s_barrier
	buffer_gl0_inv
	v_cmpx_eq_u32_e32 32, v28
	s_cbranch_execz .LBB58_109
; %bb.108:
	v_add3_u32 v27, v26, v27, 0xfffffe80
	ds_store_2addr_b32 v27, v1, v2 offset1:4
	ds_store_2addr_b32 v27, v3, v4 offset0:8 offset1:12
	ds_store_2addr_b32 v27, v5, v6 offset0:16 offset1:20
	;; [unrolled: 1-line block ×11, first 2 shown]
.LBB58_109:
	s_or_b32 exec_lo, exec_lo, s1
	s_delay_alu instid0(SALU_CYCLE_1)
	s_mov_b32 s1, exec_lo
	s_waitcnt lgkmcnt(0)
	s_barrier
	buffer_gl0_inv
	v_cmpx_gt_u32_e32 32, v0
	s_cbranch_execz .LBB58_136
; %bb.110:
	v_lshl_add_u32 v25, v25, 2, v26
	s_and_saveexec_b32 s0, vcc_lo
	s_cbranch_execnz .LBB58_162
; %bb.111:
	s_or_b32 exec_lo, exec_lo, s0
	s_and_saveexec_b32 s0, vcc_lo
	s_cbranch_execnz .LBB58_163
.LBB58_112:
	s_or_b32 exec_lo, exec_lo, s0
	s_and_saveexec_b32 s0, vcc_lo
	s_cbranch_execnz .LBB58_164
.LBB58_113:
	s_or_b32 exec_lo, exec_lo, s0
	s_and_saveexec_b32 s0, vcc_lo
	s_cbranch_execnz .LBB58_165
.LBB58_114:
	s_or_b32 exec_lo, exec_lo, s0
	s_and_saveexec_b32 s0, vcc_lo
	s_cbranch_execnz .LBB58_166
.LBB58_115:
	s_or_b32 exec_lo, exec_lo, s0
	s_and_saveexec_b32 s0, vcc_lo
	s_cbranch_execnz .LBB58_167
.LBB58_116:
	s_or_b32 exec_lo, exec_lo, s0
	s_and_saveexec_b32 s0, vcc_lo
	s_cbranch_execnz .LBB58_168
.LBB58_117:
	s_or_b32 exec_lo, exec_lo, s0
	s_and_saveexec_b32 s0, vcc_lo
	s_cbranch_execnz .LBB58_169
.LBB58_118:
	s_or_b32 exec_lo, exec_lo, s0
	s_and_saveexec_b32 s0, vcc_lo
	s_cbranch_execnz .LBB58_170
.LBB58_119:
	s_or_b32 exec_lo, exec_lo, s0
	s_and_saveexec_b32 s0, vcc_lo
	s_cbranch_execnz .LBB58_171
.LBB58_120:
	s_or_b32 exec_lo, exec_lo, s0
	s_and_saveexec_b32 s0, vcc_lo
	s_cbranch_execnz .LBB58_172
.LBB58_121:
	s_or_b32 exec_lo, exec_lo, s0
	s_and_saveexec_b32 s0, vcc_lo
	s_cbranch_execnz .LBB58_173
.LBB58_122:
	s_or_b32 exec_lo, exec_lo, s0
	s_and_saveexec_b32 s0, vcc_lo
	s_cbranch_execnz .LBB58_174
.LBB58_123:
	s_or_b32 exec_lo, exec_lo, s0
	s_and_saveexec_b32 s0, vcc_lo
	s_cbranch_execnz .LBB58_175
.LBB58_124:
	s_or_b32 exec_lo, exec_lo, s0
	s_and_saveexec_b32 s0, vcc_lo
	s_cbranch_execnz .LBB58_176
.LBB58_125:
	s_or_b32 exec_lo, exec_lo, s0
	s_and_saveexec_b32 s0, vcc_lo
	s_cbranch_execnz .LBB58_177
.LBB58_126:
	s_or_b32 exec_lo, exec_lo, s0
	s_and_saveexec_b32 s0, vcc_lo
	s_cbranch_execnz .LBB58_178
.LBB58_127:
	s_or_b32 exec_lo, exec_lo, s0
	s_and_saveexec_b32 s0, vcc_lo
	s_cbranch_execnz .LBB58_179
.LBB58_128:
	s_or_b32 exec_lo, exec_lo, s0
	s_and_saveexec_b32 s0, vcc_lo
	s_cbranch_execnz .LBB58_180
.LBB58_129:
	s_or_b32 exec_lo, exec_lo, s0
	s_and_saveexec_b32 s0, vcc_lo
	s_cbranch_execnz .LBB58_181
.LBB58_130:
	s_or_b32 exec_lo, exec_lo, s0
	s_and_saveexec_b32 s0, vcc_lo
	s_cbranch_execnz .LBB58_182
.LBB58_131:
	s_or_b32 exec_lo, exec_lo, s0
	s_and_saveexec_b32 s0, vcc_lo
	s_cbranch_execnz .LBB58_183
.LBB58_132:
	s_or_b32 exec_lo, exec_lo, s0
	s_and_saveexec_b32 s0, vcc_lo
	s_cbranch_execnz .LBB58_184
.LBB58_133:
	s_or_b32 exec_lo, exec_lo, s0
	s_and_saveexec_b32 s0, vcc_lo
	s_cbranch_execz .LBB58_135
.LBB58_134:
	ds_load_b32 v25, v25 offset:368
	s_waitcnt lgkmcnt(0)
	v_add_f32_e32 v24, v24, v25
.LBB58_135:
	s_or_b32 exec_lo, exec_lo, s0
.LBB58_136:
	s_delay_alu instid0(SALU_CYCLE_1)
	s_or_b32 exec_lo, exec_lo, s1
	s_barrier
	buffer_gl0_inv
	s_mov_b32 s0, exec_lo
	v_cmpx_eq_u32_e32 0, v28
	s_cbranch_execz .LBB58_138
; %bb.137:
	s_mul_i32 s0, s6, 0x60
	s_mul_i32 s2, s4, s16
	s_ashr_i32 s1, s0, 31
	v_lshrrev_b32_e32 v0, 1, v0
	s_lshl_b64 s[0:1], s[0:1], 2
	s_delay_alu instid0(SALU_CYCLE_1) | instskip(SKIP_2) | instid1(SALU_CYCLE_1)
	s_add_u32 s4, s18, s0
	s_addc_u32 s5, s19, s1
	s_ashr_i32 s3, s2, 31
	s_lshl_b64 s[0:1], s[2:3], 2
	s_mul_i32 s2, s12, 0x60
	s_add_u32 s4, s4, s0
	s_addc_u32 s5, s5, s1
	s_ashr_i32 s3, s2, 31
	s_delay_alu instid0(SALU_CYCLE_1) | instskip(NEXT) | instid1(SALU_CYCLE_1)
	s_lshl_b64 s[0:1], s[2:3], 2
	s_add_u32 s0, s4, s0
	s_addc_u32 s1, s5, s1
	s_clause 0x17
	global_store_b32 v0, v1, s[0:1]
	global_store_b32 v0, v2, s[0:1] offset:16
	global_store_b32 v0, v3, s[0:1] offset:32
	;; [unrolled: 1-line block ×23, first 2 shown]
.LBB58_138:
	s_nop 0
	s_sendmsg sendmsg(MSG_DEALLOC_VGPRS)
	s_endpgm
.LBB58_139:
	v_lshl_add_u32 v28, v25, 2, v26
	ds_load_b32 v28, v28
	s_waitcnt lgkmcnt(0)
	v_add_f32_e32 v1, v1, v28
	s_or_b32 exec_lo, exec_lo, s0
	s_and_saveexec_b32 s0, vcc_lo
	s_cbranch_execz .LBB58_83
.LBB58_140:
	v_lshl_add_u32 v28, v25, 2, v26
	ds_load_b32 v28, v28 offset:16
	s_waitcnt lgkmcnt(0)
	v_add_f32_e32 v2, v2, v28
	s_or_b32 exec_lo, exec_lo, s0
	s_and_saveexec_b32 s0, vcc_lo
	s_cbranch_execz .LBB58_84
.LBB58_141:
	v_lshl_add_u32 v28, v25, 2, v26
	ds_load_b32 v28, v28 offset:32
	s_waitcnt lgkmcnt(0)
	v_add_f32_e32 v3, v3, v28
	s_or_b32 exec_lo, exec_lo, s0
	s_and_saveexec_b32 s0, vcc_lo
	s_cbranch_execz .LBB58_85
.LBB58_142:
	v_lshl_add_u32 v28, v25, 2, v26
	ds_load_b32 v28, v28 offset:48
	s_waitcnt lgkmcnt(0)
	v_add_f32_e32 v4, v4, v28
	s_or_b32 exec_lo, exec_lo, s0
	s_and_saveexec_b32 s0, vcc_lo
	s_cbranch_execz .LBB58_86
.LBB58_143:
	v_lshl_add_u32 v28, v25, 2, v26
	ds_load_b32 v28, v28 offset:64
	s_waitcnt lgkmcnt(0)
	v_add_f32_e32 v5, v5, v28
	s_or_b32 exec_lo, exec_lo, s0
	s_and_saveexec_b32 s0, vcc_lo
	s_cbranch_execz .LBB58_87
.LBB58_144:
	v_lshl_add_u32 v28, v25, 2, v26
	ds_load_b32 v28, v28 offset:80
	s_waitcnt lgkmcnt(0)
	v_add_f32_e32 v6, v6, v28
	s_or_b32 exec_lo, exec_lo, s0
	s_and_saveexec_b32 s0, vcc_lo
	s_cbranch_execz .LBB58_88
.LBB58_145:
	v_lshl_add_u32 v28, v25, 2, v26
	ds_load_b32 v28, v28 offset:96
	s_waitcnt lgkmcnt(0)
	v_add_f32_e32 v7, v7, v28
	s_or_b32 exec_lo, exec_lo, s0
	s_and_saveexec_b32 s0, vcc_lo
	s_cbranch_execz .LBB58_89
.LBB58_146:
	v_lshl_add_u32 v28, v25, 2, v26
	ds_load_b32 v28, v28 offset:112
	s_waitcnt lgkmcnt(0)
	v_add_f32_e32 v8, v8, v28
	s_or_b32 exec_lo, exec_lo, s0
	s_and_saveexec_b32 s0, vcc_lo
	s_cbranch_execz .LBB58_90
.LBB58_147:
	v_lshl_add_u32 v28, v25, 2, v26
	ds_load_b32 v28, v28 offset:128
	s_waitcnt lgkmcnt(0)
	v_add_f32_e32 v9, v9, v28
	s_or_b32 exec_lo, exec_lo, s0
	s_and_saveexec_b32 s0, vcc_lo
	s_cbranch_execz .LBB58_91
.LBB58_148:
	v_lshl_add_u32 v28, v25, 2, v26
	ds_load_b32 v28, v28 offset:144
	s_waitcnt lgkmcnt(0)
	v_add_f32_e32 v10, v10, v28
	s_or_b32 exec_lo, exec_lo, s0
	s_and_saveexec_b32 s0, vcc_lo
	s_cbranch_execz .LBB58_92
.LBB58_149:
	v_lshl_add_u32 v28, v25, 2, v26
	ds_load_b32 v28, v28 offset:160
	s_waitcnt lgkmcnt(0)
	v_add_f32_e32 v11, v11, v28
	s_or_b32 exec_lo, exec_lo, s0
	s_and_saveexec_b32 s0, vcc_lo
	s_cbranch_execz .LBB58_93
.LBB58_150:
	v_lshl_add_u32 v28, v25, 2, v26
	ds_load_b32 v28, v28 offset:176
	s_waitcnt lgkmcnt(0)
	v_add_f32_e32 v12, v12, v28
	s_or_b32 exec_lo, exec_lo, s0
	s_and_saveexec_b32 s0, vcc_lo
	s_cbranch_execz .LBB58_94
.LBB58_151:
	v_lshl_add_u32 v28, v25, 2, v26
	ds_load_b32 v28, v28 offset:192
	s_waitcnt lgkmcnt(0)
	v_add_f32_e32 v13, v13, v28
	s_or_b32 exec_lo, exec_lo, s0
	s_and_saveexec_b32 s0, vcc_lo
	s_cbranch_execz .LBB58_95
.LBB58_152:
	v_lshl_add_u32 v28, v25, 2, v26
	ds_load_b32 v28, v28 offset:208
	s_waitcnt lgkmcnt(0)
	v_add_f32_e32 v14, v14, v28
	s_or_b32 exec_lo, exec_lo, s0
	s_and_saveexec_b32 s0, vcc_lo
	s_cbranch_execz .LBB58_96
.LBB58_153:
	v_lshl_add_u32 v28, v25, 2, v26
	ds_load_b32 v28, v28 offset:224
	s_waitcnt lgkmcnt(0)
	v_add_f32_e32 v15, v15, v28
	s_or_b32 exec_lo, exec_lo, s0
	s_and_saveexec_b32 s0, vcc_lo
	s_cbranch_execz .LBB58_97
.LBB58_154:
	v_lshl_add_u32 v28, v25, 2, v26
	ds_load_b32 v28, v28 offset:240
	s_waitcnt lgkmcnt(0)
	v_add_f32_e32 v16, v16, v28
	s_or_b32 exec_lo, exec_lo, s0
	s_and_saveexec_b32 s0, vcc_lo
	s_cbranch_execz .LBB58_98
.LBB58_155:
	v_lshl_add_u32 v28, v25, 2, v26
	ds_load_b32 v28, v28 offset:256
	s_waitcnt lgkmcnt(0)
	v_add_f32_e32 v17, v17, v28
	s_or_b32 exec_lo, exec_lo, s0
	s_and_saveexec_b32 s0, vcc_lo
	s_cbranch_execz .LBB58_99
.LBB58_156:
	v_lshl_add_u32 v28, v25, 2, v26
	ds_load_b32 v28, v28 offset:272
	s_waitcnt lgkmcnt(0)
	v_add_f32_e32 v18, v18, v28
	s_or_b32 exec_lo, exec_lo, s0
	s_and_saveexec_b32 s0, vcc_lo
	s_cbranch_execz .LBB58_100
.LBB58_157:
	v_lshl_add_u32 v28, v25, 2, v26
	ds_load_b32 v28, v28 offset:288
	s_waitcnt lgkmcnt(0)
	v_add_f32_e32 v19, v19, v28
	s_or_b32 exec_lo, exec_lo, s0
	s_and_saveexec_b32 s0, vcc_lo
	s_cbranch_execz .LBB58_101
.LBB58_158:
	v_lshl_add_u32 v28, v25, 2, v26
	ds_load_b32 v28, v28 offset:304
	s_waitcnt lgkmcnt(0)
	v_add_f32_e32 v20, v20, v28
	s_or_b32 exec_lo, exec_lo, s0
	s_and_saveexec_b32 s0, vcc_lo
	s_cbranch_execz .LBB58_102
.LBB58_159:
	v_lshl_add_u32 v28, v25, 2, v26
	ds_load_b32 v28, v28 offset:320
	s_waitcnt lgkmcnt(0)
	v_add_f32_e32 v21, v21, v28
	s_or_b32 exec_lo, exec_lo, s0
	s_and_saveexec_b32 s0, vcc_lo
	s_cbranch_execz .LBB58_103
.LBB58_160:
	v_lshl_add_u32 v28, v25, 2, v26
	ds_load_b32 v28, v28 offset:336
	s_waitcnt lgkmcnt(0)
	v_add_f32_e32 v22, v22, v28
	s_or_b32 exec_lo, exec_lo, s0
	s_and_saveexec_b32 s0, vcc_lo
	s_cbranch_execz .LBB58_104
.LBB58_161:
	v_lshl_add_u32 v28, v25, 2, v26
	ds_load_b32 v28, v28 offset:352
	s_waitcnt lgkmcnt(0)
	v_add_f32_e32 v23, v23, v28
	s_or_b32 exec_lo, exec_lo, s0
	s_and_saveexec_b32 s0, vcc_lo
	s_cbranch_execnz .LBB58_105
	s_branch .LBB58_106
.LBB58_162:
	ds_load_b32 v26, v25
	s_waitcnt lgkmcnt(0)
	v_add_f32_e32 v1, v1, v26
	s_or_b32 exec_lo, exec_lo, s0
	s_and_saveexec_b32 s0, vcc_lo
	s_cbranch_execz .LBB58_112
.LBB58_163:
	ds_load_b32 v26, v25 offset:16
	s_waitcnt lgkmcnt(0)
	v_add_f32_e32 v2, v2, v26
	s_or_b32 exec_lo, exec_lo, s0
	s_and_saveexec_b32 s0, vcc_lo
	s_cbranch_execz .LBB58_113
.LBB58_164:
	ds_load_b32 v26, v25 offset:32
	s_waitcnt lgkmcnt(0)
	v_add_f32_e32 v3, v3, v26
	s_or_b32 exec_lo, exec_lo, s0
	s_and_saveexec_b32 s0, vcc_lo
	s_cbranch_execz .LBB58_114
.LBB58_165:
	ds_load_b32 v26, v25 offset:48
	s_waitcnt lgkmcnt(0)
	v_add_f32_e32 v4, v4, v26
	s_or_b32 exec_lo, exec_lo, s0
	s_and_saveexec_b32 s0, vcc_lo
	s_cbranch_execz .LBB58_115
.LBB58_166:
	ds_load_b32 v26, v25 offset:64
	s_waitcnt lgkmcnt(0)
	v_add_f32_e32 v5, v5, v26
	s_or_b32 exec_lo, exec_lo, s0
	s_and_saveexec_b32 s0, vcc_lo
	s_cbranch_execz .LBB58_116
.LBB58_167:
	ds_load_b32 v26, v25 offset:80
	s_waitcnt lgkmcnt(0)
	v_add_f32_e32 v6, v6, v26
	s_or_b32 exec_lo, exec_lo, s0
	s_and_saveexec_b32 s0, vcc_lo
	s_cbranch_execz .LBB58_117
.LBB58_168:
	ds_load_b32 v26, v25 offset:96
	s_waitcnt lgkmcnt(0)
	v_add_f32_e32 v7, v7, v26
	s_or_b32 exec_lo, exec_lo, s0
	s_and_saveexec_b32 s0, vcc_lo
	s_cbranch_execz .LBB58_118
.LBB58_169:
	ds_load_b32 v26, v25 offset:112
	s_waitcnt lgkmcnt(0)
	v_add_f32_e32 v8, v8, v26
	s_or_b32 exec_lo, exec_lo, s0
	s_and_saveexec_b32 s0, vcc_lo
	s_cbranch_execz .LBB58_119
.LBB58_170:
	ds_load_b32 v26, v25 offset:128
	s_waitcnt lgkmcnt(0)
	v_add_f32_e32 v9, v9, v26
	s_or_b32 exec_lo, exec_lo, s0
	s_and_saveexec_b32 s0, vcc_lo
	s_cbranch_execz .LBB58_120
.LBB58_171:
	ds_load_b32 v26, v25 offset:144
	s_waitcnt lgkmcnt(0)
	v_add_f32_e32 v10, v10, v26
	s_or_b32 exec_lo, exec_lo, s0
	s_and_saveexec_b32 s0, vcc_lo
	s_cbranch_execz .LBB58_121
.LBB58_172:
	ds_load_b32 v26, v25 offset:160
	s_waitcnt lgkmcnt(0)
	v_add_f32_e32 v11, v11, v26
	s_or_b32 exec_lo, exec_lo, s0
	s_and_saveexec_b32 s0, vcc_lo
	s_cbranch_execz .LBB58_122
.LBB58_173:
	ds_load_b32 v26, v25 offset:176
	s_waitcnt lgkmcnt(0)
	v_add_f32_e32 v12, v12, v26
	s_or_b32 exec_lo, exec_lo, s0
	s_and_saveexec_b32 s0, vcc_lo
	s_cbranch_execz .LBB58_123
.LBB58_174:
	ds_load_b32 v26, v25 offset:192
	s_waitcnt lgkmcnt(0)
	v_add_f32_e32 v13, v13, v26
	s_or_b32 exec_lo, exec_lo, s0
	s_and_saveexec_b32 s0, vcc_lo
	s_cbranch_execz .LBB58_124
.LBB58_175:
	ds_load_b32 v26, v25 offset:208
	s_waitcnt lgkmcnt(0)
	v_add_f32_e32 v14, v14, v26
	s_or_b32 exec_lo, exec_lo, s0
	s_and_saveexec_b32 s0, vcc_lo
	s_cbranch_execz .LBB58_125
.LBB58_176:
	ds_load_b32 v26, v25 offset:224
	s_waitcnt lgkmcnt(0)
	v_add_f32_e32 v15, v15, v26
	s_or_b32 exec_lo, exec_lo, s0
	s_and_saveexec_b32 s0, vcc_lo
	s_cbranch_execz .LBB58_126
.LBB58_177:
	ds_load_b32 v26, v25 offset:240
	s_waitcnt lgkmcnt(0)
	v_add_f32_e32 v16, v16, v26
	s_or_b32 exec_lo, exec_lo, s0
	s_and_saveexec_b32 s0, vcc_lo
	s_cbranch_execz .LBB58_127
.LBB58_178:
	ds_load_b32 v26, v25 offset:256
	s_waitcnt lgkmcnt(0)
	v_add_f32_e32 v17, v17, v26
	s_or_b32 exec_lo, exec_lo, s0
	s_and_saveexec_b32 s0, vcc_lo
	s_cbranch_execz .LBB58_128
.LBB58_179:
	ds_load_b32 v26, v25 offset:272
	s_waitcnt lgkmcnt(0)
	v_add_f32_e32 v18, v18, v26
	s_or_b32 exec_lo, exec_lo, s0
	s_and_saveexec_b32 s0, vcc_lo
	s_cbranch_execz .LBB58_129
.LBB58_180:
	ds_load_b32 v26, v25 offset:288
	s_waitcnt lgkmcnt(0)
	v_add_f32_e32 v19, v19, v26
	s_or_b32 exec_lo, exec_lo, s0
	s_and_saveexec_b32 s0, vcc_lo
	s_cbranch_execz .LBB58_130
.LBB58_181:
	ds_load_b32 v26, v25 offset:304
	s_waitcnt lgkmcnt(0)
	v_add_f32_e32 v20, v20, v26
	s_or_b32 exec_lo, exec_lo, s0
	s_and_saveexec_b32 s0, vcc_lo
	s_cbranch_execz .LBB58_131
.LBB58_182:
	ds_load_b32 v26, v25 offset:320
	s_waitcnt lgkmcnt(0)
	v_add_f32_e32 v21, v21, v26
	s_or_b32 exec_lo, exec_lo, s0
	s_and_saveexec_b32 s0, vcc_lo
	s_cbranch_execz .LBB58_132
.LBB58_183:
	ds_load_b32 v26, v25 offset:336
	s_waitcnt lgkmcnt(0)
	v_add_f32_e32 v22, v22, v26
	s_or_b32 exec_lo, exec_lo, s0
	s_and_saveexec_b32 s0, vcc_lo
	s_cbranch_execz .LBB58_133
.LBB58_184:
	ds_load_b32 v26, v25 offset:352
	s_waitcnt lgkmcnt(0)
	v_add_f32_e32 v23, v23, v26
	s_or_b32 exec_lo, exec_lo, s0
	s_and_saveexec_b32 s0, vcc_lo
	s_cbranch_execnz .LBB58_134
	s_branch .LBB58_135
	.section	.rodata,"a",@progbits
	.p2align	6, 0x0
	.amdhsa_kernel _ZN4vllm25paged_attention_v2_kernelIffLi96ELi32ELi128ELNS_18Fp8KVCacheDataTypeE0ELb0ELi512EEEvPfS2_PT_PKS3_PKT0_S9_ifPKiSB_iPKfiiiSD_SD_iiiii
		.amdhsa_group_segment_fixed_size 416
		.amdhsa_private_segment_fixed_size 0
		.amdhsa_kernarg_size 400
		.amdhsa_user_sgpr_count 13
		.amdhsa_user_sgpr_dispatch_ptr 0
		.amdhsa_user_sgpr_queue_ptr 0
		.amdhsa_user_sgpr_kernarg_segment_ptr 1
		.amdhsa_user_sgpr_dispatch_id 0
		.amdhsa_user_sgpr_private_segment_size 0
		.amdhsa_wavefront_size32 1
		.amdhsa_uses_dynamic_stack 0
		.amdhsa_enable_private_segment 0
		.amdhsa_system_sgpr_workgroup_id_x 1
		.amdhsa_system_sgpr_workgroup_id_y 1
		.amdhsa_system_sgpr_workgroup_id_z 1
		.amdhsa_system_sgpr_workgroup_info 0
		.amdhsa_system_vgpr_workitem_id 0
		.amdhsa_next_free_vgpr 170
		.amdhsa_next_free_sgpr 40
		.amdhsa_reserve_vcc 1
		.amdhsa_float_round_mode_32 0
		.amdhsa_float_round_mode_16_64 0
		.amdhsa_float_denorm_mode_32 3
		.amdhsa_float_denorm_mode_16_64 3
		.amdhsa_dx10_clamp 1
		.amdhsa_ieee_mode 1
		.amdhsa_fp16_overflow 0
		.amdhsa_workgroup_processor_mode 1
		.amdhsa_memory_ordered 1
		.amdhsa_forward_progress 0
		.amdhsa_shared_vgpr_count 0
		.amdhsa_exception_fp_ieee_invalid_op 0
		.amdhsa_exception_fp_denorm_src 0
		.amdhsa_exception_fp_ieee_div_zero 0
		.amdhsa_exception_fp_ieee_overflow 0
		.amdhsa_exception_fp_ieee_underflow 0
		.amdhsa_exception_fp_ieee_inexact 0
		.amdhsa_exception_int_div_zero 0
	.end_amdhsa_kernel
	.section	.text._ZN4vllm25paged_attention_v2_kernelIffLi96ELi32ELi128ELNS_18Fp8KVCacheDataTypeE0ELb0ELi512EEEvPfS2_PT_PKS3_PKT0_S9_ifPKiSB_iPKfiiiSD_SD_iiiii,"axG",@progbits,_ZN4vllm25paged_attention_v2_kernelIffLi96ELi32ELi128ELNS_18Fp8KVCacheDataTypeE0ELb0ELi512EEEvPfS2_PT_PKS3_PKT0_S9_ifPKiSB_iPKfiiiSD_SD_iiiii,comdat
.Lfunc_end58:
	.size	_ZN4vllm25paged_attention_v2_kernelIffLi96ELi32ELi128ELNS_18Fp8KVCacheDataTypeE0ELb0ELi512EEEvPfS2_PT_PKS3_PKT0_S9_ifPKiSB_iPKfiiiSD_SD_iiiii, .Lfunc_end58-_ZN4vllm25paged_attention_v2_kernelIffLi96ELi32ELi128ELNS_18Fp8KVCacheDataTypeE0ELb0ELi512EEEvPfS2_PT_PKS3_PKT0_S9_ifPKiSB_iPKfiiiSD_SD_iiiii
                                        ; -- End function
	.section	.AMDGPU.csdata,"",@progbits
; Kernel info:
; codeLenInByte = 10884
; NumSgprs: 42
; NumVgprs: 170
; ScratchSize: 0
; MemoryBound: 0
; FloatMode: 240
; IeeeMode: 1
; LDSByteSize: 416 bytes/workgroup (compile time only)
; SGPRBlocks: 5
; VGPRBlocks: 21
; NumSGPRsForWavesPerEU: 42
; NumVGPRsForWavesPerEU: 170
; Occupancy: 8
; WaveLimiterHint : 1
; COMPUTE_PGM_RSRC2:SCRATCH_EN: 0
; COMPUTE_PGM_RSRC2:USER_SGPR: 13
; COMPUTE_PGM_RSRC2:TRAP_HANDLER: 0
; COMPUTE_PGM_RSRC2:TGID_X_EN: 1
; COMPUTE_PGM_RSRC2:TGID_Y_EN: 1
; COMPUTE_PGM_RSRC2:TGID_Z_EN: 1
; COMPUTE_PGM_RSRC2:TIDIG_COMP_CNT: 0
	.section	.text._ZN4vllm25paged_attention_v2_kernelIffLi112ELi32ELi128ELNS_18Fp8KVCacheDataTypeE0ELb0ELi512EEEvPfS2_PT_PKS3_PKT0_S9_ifPKiSB_iPKfiiiSD_SD_iiiii,"axG",@progbits,_ZN4vllm25paged_attention_v2_kernelIffLi112ELi32ELi128ELNS_18Fp8KVCacheDataTypeE0ELb0ELi512EEEvPfS2_PT_PKS3_PKT0_S9_ifPKiSB_iPKfiiiSD_SD_iiiii,comdat
	.protected	_ZN4vllm25paged_attention_v2_kernelIffLi112ELi32ELi128ELNS_18Fp8KVCacheDataTypeE0ELb0ELi512EEEvPfS2_PT_PKS3_PKT0_S9_ifPKiSB_iPKfiiiSD_SD_iiiii ; -- Begin function _ZN4vllm25paged_attention_v2_kernelIffLi112ELi32ELi128ELNS_18Fp8KVCacheDataTypeE0ELb0ELi512EEEvPfS2_PT_PKS3_PKT0_S9_ifPKiSB_iPKfiiiSD_SD_iiiii
	.globl	_ZN4vllm25paged_attention_v2_kernelIffLi112ELi32ELi128ELNS_18Fp8KVCacheDataTypeE0ELb0ELi512EEEvPfS2_PT_PKS3_PKT0_S9_ifPKiSB_iPKfiiiSD_SD_iiiii
	.p2align	8
	.type	_ZN4vllm25paged_attention_v2_kernelIffLi112ELi32ELi128ELNS_18Fp8KVCacheDataTypeE0ELb0ELi512EEEvPfS2_PT_PKS3_PKT0_S9_ifPKiSB_iPKfiiiSD_SD_iiiii,@function
_ZN4vllm25paged_attention_v2_kernelIffLi112ELi32ELi128ELNS_18Fp8KVCacheDataTypeE0ELb0ELi512EEEvPfS2_PT_PKS3_PKT0_S9_ifPKiSB_iPKfiiiSD_SD_iiiii: ; @_ZN4vllm25paged_attention_v2_kernelIffLi112ELi32ELi128ELNS_18Fp8KVCacheDataTypeE0ELb0ELi512EEEvPfS2_PT_PKS3_PKT0_S9_ifPKiSB_iPKfiiiSD_SD_iiiii
; %bb.0:
	s_load_b64 s[2:3], s[0:1], 0x40
	s_mov_b32 s12, s15
	s_ashr_i32 s15, s14, 31
	s_delay_alu instid0(SALU_CYCLE_1)
	s_lshl_b64 s[4:5], s[14:15], 2
	s_waitcnt lgkmcnt(0)
	s_add_u32 s2, s2, s4
	s_addc_u32 s3, s3, s5
	s_lshl_b32 s30, s12, 9
	s_load_b32 s15, s[2:3], 0x0
	s_waitcnt lgkmcnt(0)
	s_cmp_ge_i32 s30, s15
	s_cbranch_scc1 .LBB59_154
; %bb.1:
	s_mov_b32 s22, s13
	s_clause 0x1
	s_load_b32 s13, s[0:1], 0x90
	s_load_b64 s[2:3], s[0:1], 0x30
	s_mov_b32 s31, 0
	s_waitcnt lgkmcnt(0)
	s_abs_i32 s7, s13
	s_abs_i32 s4, s2
	s_xor_b32 s2, s13, s2
	v_cvt_f32_u32_e32 v1, s4
	s_sub_i32 s6, 0, s4
	s_ashr_i32 s2, s2, 31
	s_delay_alu instid0(VALU_DEP_1) | instskip(SKIP_2) | instid1(VALU_DEP_1)
	v_rcp_iflag_f32_e32 v1, v1
	s_waitcnt_depctr 0xfff
	v_mul_f32_e32 v1, 0x4f7ffffe, v1
	v_cvt_u32_f32_e32 v1, v1
	s_delay_alu instid0(VALU_DEP_1) | instskip(NEXT) | instid1(VALU_DEP_1)
	v_readfirstlane_b32 s5, v1
	s_mul_i32 s6, s6, s5
	s_delay_alu instid0(SALU_CYCLE_1) | instskip(NEXT) | instid1(SALU_CYCLE_1)
	s_mul_hi_u32 s6, s5, s6
	s_add_i32 s5, s5, s6
	s_delay_alu instid0(SALU_CYCLE_1) | instskip(NEXT) | instid1(SALU_CYCLE_1)
	s_mul_hi_u32 s5, s7, s5
	s_mul_i32 s6, s5, s4
	s_delay_alu instid0(SALU_CYCLE_1)
	s_sub_i32 s6, s7, s6
	s_add_i32 s7, s5, 1
	s_sub_i32 s8, s6, s4
	s_cmp_ge_u32 s6, s4
	s_cselect_b32 s5, s7, s5
	s_cselect_b32 s6, s8, s6
	s_add_i32 s7, s5, 1
	s_cmp_ge_u32 s6, s4
	s_cselect_b32 s4, s7, s5
	s_abs_i32 s25, s22
	s_xor_b32 s4, s4, s2
	s_delay_alu instid0(SALU_CYCLE_1) | instskip(SKIP_2) | instid1(SALU_CYCLE_1)
	s_sub_i32 s8, s4, s2
	s_load_b64 s[4:5], s[0:1], 0x50
	s_abs_i32 s2, s8
	v_cvt_f32_u32_e32 v1, s2
	s_sub_i32 s7, 0, s2
	s_delay_alu instid0(VALU_DEP_1) | instskip(SKIP_2) | instid1(VALU_DEP_1)
	v_rcp_iflag_f32_e32 v1, v1
	s_waitcnt_depctr 0xfff
	v_mul_f32_e32 v1, 0x4f7ffffe, v1
	v_cvt_u32_f32_e32 v1, v1
	s_delay_alu instid0(VALU_DEP_1) | instskip(NEXT) | instid1(VALU_DEP_1)
	v_readfirstlane_b32 s6, v1
	s_mul_i32 s7, s7, s6
	s_delay_alu instid0(SALU_CYCLE_1) | instskip(NEXT) | instid1(SALU_CYCLE_1)
	s_mul_hi_u32 s7, s6, s7
	s_add_i32 s6, s6, s7
	s_waitcnt lgkmcnt(0)
	s_cmp_eq_u64 s[4:5], 0
	s_mul_hi_u32 s24, s25, s6
	s_cbranch_scc1 .LBB59_3
; %bb.2:
	s_ashr_i32 s23, s22, 31
	s_delay_alu instid0(SALU_CYCLE_1) | instskip(NEXT) | instid1(SALU_CYCLE_1)
	s_lshl_b64 s[6:7], s[22:23], 2
	s_add_u32 s4, s4, s6
	s_addc_u32 s5, s5, s7
	s_load_b32 s31, s[4:5], 0x0
.LBB59_3:
	s_clause 0x1
	s_load_b64 s[20:21], s[0:1], 0x38
	s_load_b128 s[4:7], s[0:1], 0x58
	s_ashr_i32 s28, s22, 31
	s_ashr_i32 s29, s8, 31
	s_mul_i32 s16, s22, 0x70
	s_waitcnt lgkmcnt(0)
	s_mov_b32 s7, exec_lo
	v_cmpx_gt_u32_e32 28, v0
	s_cbranch_execz .LBB59_5
; %bb.4:
	s_load_b64 s[8:9], s[0:1], 0x18
	s_mul_i32 s10, s14, s4
	v_lshlrev_b32_e32 v5, 4, v0
	s_ashr_i32 s11, s10, 31
	s_delay_alu instid0(SALU_CYCLE_1) | instskip(SKIP_4) | instid1(SALU_CYCLE_1)
	s_lshl_b64 s[10:11], s[10:11], 2
	s_waitcnt lgkmcnt(0)
	s_add_u32 s4, s8, s10
	s_addc_u32 s10, s9, s11
	s_ashr_i32 s17, s16, 31
	s_lshl_b64 s[8:9], s[16:17], 2
	s_delay_alu instid0(SALU_CYCLE_1)
	s_add_u32 s8, s4, s8
	s_addc_u32 s9, s10, s9
	global_load_b128 v[1:4], v5, s[8:9]
	s_waitcnt vmcnt(0)
	ds_store_b128 v5, v[1:4]
.LBB59_5:
	s_or_b32 exec_lo, exec_lo, s7
	s_add_i32 s4, s15, 31
	s_clause 0x1
	s_load_b128 s[8:11], s[0:1], 0x0
	s_load_b64 s[18:19], s[0:1], 0x10
	s_ashr_i32 s7, s4, 31
	s_mul_i32 s34, s24, s2
	s_lshr_b32 s17, s7, 27
	s_lshl_b32 s7, s12, 4
	s_add_i32 s4, s4, s17
	s_load_b64 s[26:27], s[0:1], 0x28
	s_ashr_i32 s23, s4, 5
	s_clause 0x1
	s_load_b32 s4, s[0:1], 0x98
	s_load_b32 s33, s[0:1], 0x48
	s_add_i32 s17, s7, 16
	s_sub_i32 s25, s25, s34
	s_min_i32 s17, s17, s23
	s_xor_b32 s28, s28, s29
	s_add_i32 s29, s24, 1
	s_sub_i32 s34, s25, s2
	s_cmp_ge_u32 s25, s2
	v_lshrrev_b32_e32 v120, 5, v0
	s_cselect_b32 s24, s29, s24
	s_cselect_b32 s25, s34, s25
	s_add_i32 s29, s24, 1
	s_cmp_ge_u32 s25, s2
	v_dual_mov_b32 v122, 0xff7fffff :: v_dual_add_nc_u32 v117, s7, v120
	v_and_b32_e32 v121, 31, v0
	s_cselect_b32 s2, s29, s24
	s_waitcnt lgkmcnt(0)
	s_xor_b32 s2, s2, s28
	v_ashrrev_i32_e32 v118, 31, v117
	s_sub_i32 s28, s2, s28
	v_cmp_gt_i32_e64 s2, s17, v117
	v_lshlrev_b32_e32 v115, 2, v121
	s_mul_i32 s24, s14, s33
	s_mul_i32 s28, s28, s6
	s_ashr_i32 s25, s24, 31
	s_barrier
	buffer_gl0_inv
	s_and_saveexec_b32 s6, s2
	s_cbranch_execz .LBB59_9
; %bb.6:
	s_load_b64 s[0:1], s[0:1], 0x20
	v_lshl_or_b32 v122, v120, 7, v115
	v_mov_b32_e32 v109, 0
	s_ashr_i32 s29, s28, 31
	v_lshlrev_b32_e32 v49, 4, v121
	s_lshl_b64 s[34:35], s[28:29], 2
	v_add_nc_u32_e32 v124, 0x1e0, v122
	v_mov_b32_e32 v122, 0xff7fffff
	ds_load_b128 v[1:4], v109
	ds_load_b128 v[5:8], v109 offset:16
	ds_load_b128 v[9:12], v109 offset:32
	;; [unrolled: 1-line block ×11, first 2 shown]
	v_lshlrev_b32_e32 v113, 5, v120
	v_cmp_neq_f32_e64 vcc_lo, s31, 0
	v_mov_b32_e32 v125, v117
	s_mov_b32 s33, 0
	s_delay_alu instid0(VALU_DEP_3)
	v_add3_u32 v123, s30, v113, v121
	v_lshlrev_b64 v[113:114], 2, v[117:118]
	s_waitcnt lgkmcnt(0)
	s_add_u32 s0, s0, s34
	s_addc_u32 s1, s1, s35
	v_add_co_u32 v116, s0, s0, v49
	ds_load_b128 v[49:52], v109 offset:192
	ds_load_b128 v[53:56], v109 offset:208
	;; [unrolled: 1-line block ×16, first 2 shown]
	v_add_co_ci_u32_e64 v119, null, s1, 0, s0
	s_lshl_b64 s[0:1], s[24:25], 2
	s_sub_i32 s29, 1, s15
	s_add_u32 s0, s20, s0
	s_addc_u32 s1, s21, s1
	v_add_co_u32 v113, s0, s0, v113
	s_delay_alu instid0(VALU_DEP_1)
	v_add_co_ci_u32_e64 v114, s0, s1, v114, s0
	s_mov_b32 s34, s5
.LBB59_7:                               ; =>This Inner Loop Header: Depth=1
	global_load_b32 v128, v[113:114], off
	s_waitcnt vmcnt(0)
	v_mad_i64_i32 v[126:127], null, v128, s34, 0
	s_delay_alu instid0(VALU_DEP_1) | instskip(NEXT) | instid1(VALU_DEP_1)
	v_lshlrev_b64 v[126:127], 2, v[126:127]
	v_add_co_u32 v144, s0, v116, v126
	s_delay_alu instid0(VALU_DEP_1)
	v_add_co_ci_u32_e64 v145, s0, v119, v127, s0
	s_clause 0x3
	global_load_b128 v[128:131], v[144:145], off offset:512
	global_load_b128 v[132:135], v[144:145], off
	global_load_b128 v[136:139], v[144:145], off offset:1024
	global_load_b128 v[140:143], v[144:145], off offset:1536
	s_waitcnt vmcnt(3)
	v_dual_mul_f32 v128, v5, v128 :: v_dual_mul_f32 v129, v6, v129
	v_dual_mul_f32 v127, v7, v130 :: v_dual_mul_f32 v126, v8, v131
	s_waitcnt vmcnt(2)
	s_delay_alu instid0(VALU_DEP_2)
	v_dual_fmac_f32 v128, v1, v132 :: v_dual_fmac_f32 v129, v2, v133
	global_load_b128 v[130:133], v[144:145], off offset:2048
	v_dual_fmac_f32 v127, v3, v134 :: v_dual_fmac_f32 v126, v4, v135
	s_waitcnt vmcnt(2)
	v_dual_fmac_f32 v128, v9, v136 :: v_dual_fmac_f32 v129, v10, v137
	global_load_b128 v[134:137], v[144:145], off offset:2560
	v_dual_fmac_f32 v127, v11, v138 :: v_dual_fmac_f32 v126, v12, v139
	s_waitcnt vmcnt(2)
	v_dual_fmac_f32 v128, v13, v140 :: v_dual_fmac_f32 v129, v14, v141
	global_load_b128 v[138:141], v[144:145], off offset:3072
	v_dual_fmac_f32 v127, v15, v142 :: v_dual_fmac_f32 v126, v16, v143
	v_add_co_u32 v142, s0, 0x1000, v144
	s_delay_alu instid0(VALU_DEP_1) | instskip(SKIP_1) | instid1(VALU_DEP_1)
	v_add_co_ci_u32_e64 v143, s0, 0, v145, s0
	v_add_co_u32 v146, s0, v144, 0x2000
	v_add_co_ci_u32_e64 v147, s0, 0, v145, s0
	s_waitcnt vmcnt(2)
	v_dual_fmac_f32 v128, v17, v130 :: v_dual_fmac_f32 v129, v18, v131
	v_dual_fmac_f32 v127, v19, v132 :: v_dual_fmac_f32 v126, v20, v133
	global_load_b128 v[130:133], v[144:145], off offset:3584
	s_waitcnt vmcnt(2)
	v_dual_fmac_f32 v128, v21, v134 :: v_dual_fmac_f32 v129, v22, v135
	v_dual_fmac_f32 v127, v23, v136 :: v_dual_fmac_f32 v126, v24, v137
	global_load_b128 v[134:137], v[146:147], off offset:-4096
	s_waitcnt vmcnt(2)
	v_dual_fmac_f32 v128, v25, v138 :: v_dual_fmac_f32 v129, v26, v139
	v_dual_fmac_f32 v127, v27, v140 :: v_dual_fmac_f32 v126, v28, v141
	s_waitcnt vmcnt(1)
	s_delay_alu instid0(VALU_DEP_2) | instskip(NEXT) | instid1(VALU_DEP_2)
	v_dual_fmac_f32 v128, v29, v130 :: v_dual_fmac_f32 v129, v30, v131
	v_dual_fmac_f32 v127, v31, v132 :: v_dual_fmac_f32 v126, v32, v133
	s_clause 0x1
	global_load_b128 v[130:133], v[142:143], off offset:512
	global_load_b128 v[138:141], v[146:147], off
	s_waitcnt vmcnt(2)
	v_dual_fmac_f32 v128, v33, v134 :: v_dual_fmac_f32 v129, v34, v135
	v_dual_fmac_f32 v127, v35, v136 :: v_dual_fmac_f32 v126, v36, v137
	global_load_b128 v[134:137], v[142:143], off offset:1024
	v_add_co_u32 v146, s0, 0x2000, v144
	s_delay_alu instid0(VALU_DEP_1) | instskip(SKIP_1) | instid1(VALU_DEP_1)
	v_add_co_ci_u32_e64 v147, s0, 0, v145, s0
	v_add_co_u32 v144, s0, 0x3000, v144
	v_add_co_ci_u32_e64 v145, s0, 0, v145, s0
	v_add_co_u32 v113, s0, v113, 16
	s_delay_alu instid0(VALU_DEP_1)
	v_add_co_ci_u32_e64 v114, s0, 0, v114, s0
	v_cmp_gt_i32_e64 s0, s15, v123
	s_waitcnt vmcnt(2)
	v_dual_fmac_f32 v128, v37, v130 :: v_dual_fmac_f32 v129, v38, v131
	v_dual_fmac_f32 v127, v39, v132 :: v_dual_fmac_f32 v126, v40, v133
	global_load_b128 v[130:133], v[142:143], off offset:1536
	s_waitcnt vmcnt(1)
	v_dual_fmac_f32 v128, v41, v134 :: v_dual_fmac_f32 v129, v42, v135
	v_dual_fmac_f32 v127, v43, v136 :: v_dual_fmac_f32 v126, v44, v137
	global_load_b128 v[134:137], v[142:143], off offset:2048
	;; [unrolled: 4-line block ×3, first 2 shown]
	s_waitcnt vmcnt(1) lgkmcnt(15)
	v_dual_fmac_f32 v128, v49, v134 :: v_dual_fmac_f32 v129, v50, v135
	v_dual_fmac_f32 v127, v51, v136 :: v_dual_fmac_f32 v126, v52, v137
	global_load_b128 v[134:137], v[142:143], off offset:3072
	s_waitcnt vmcnt(1) lgkmcnt(14)
	v_dual_fmac_f32 v128, v53, v130 :: v_dual_fmac_f32 v129, v54, v131
	v_dual_fmac_f32 v127, v55, v132 :: v_dual_fmac_f32 v126, v56, v133
	global_load_b128 v[130:133], v[142:143], off offset:3584
	;; [unrolled: 4-line block ×4, first 2 shown]
	s_waitcnt lgkmcnt(11)
	v_dual_fmac_f32 v128, v65, v138 :: v_dual_fmac_f32 v129, v66, v139
	v_dual_fmac_f32 v127, v67, v140 :: v_dual_fmac_f32 v126, v68, v141
	global_load_b128 v[138:141], v[146:147], off offset:1536
	s_waitcnt vmcnt(2) lgkmcnt(10)
	v_dual_fmac_f32 v128, v69, v134 :: v_dual_fmac_f32 v129, v70, v135
	v_dual_fmac_f32 v127, v71, v136 :: v_dual_fmac_f32 v126, v72, v137
	global_load_b128 v[134:137], v[146:147], off offset:2048
	s_waitcnt vmcnt(2) lgkmcnt(9)
	;; [unrolled: 4-line block ×5, first 2 shown]
	v_dual_fmac_f32 v128, v85, v130 :: v_dual_fmac_f32 v129, v86, v131
	v_dual_fmac_f32 v127, v87, v132 :: v_dual_fmac_f32 v126, v88, v133
	global_load_b128 v[130:133], v[144:145], off
	s_waitcnt vmcnt(2) lgkmcnt(5)
	v_dual_fmac_f32 v128, v89, v138 :: v_dual_fmac_f32 v129, v90, v139
	v_dual_fmac_f32 v127, v91, v140 :: v_dual_fmac_f32 v126, v92, v141
	global_load_b128 v[138:141], v[144:145], off offset:512
	s_waitcnt vmcnt(2) lgkmcnt(4)
	v_dual_fmac_f32 v128, v93, v134 :: v_dual_fmac_f32 v129, v94, v135
	v_dual_fmac_f32 v127, v95, v136 :: v_dual_fmac_f32 v126, v96, v137
	s_clause 0x1
	global_load_b128 v[134:137], v[144:145], off offset:1024
	global_load_b128 v[142:145], v[144:145], off offset:1536
	s_waitcnt vmcnt(3) lgkmcnt(3)
	v_dual_fmac_f32 v128, v97, v130 :: v_dual_fmac_f32 v129, v98, v131
	v_dual_fmac_f32 v127, v99, v132 :: v_dual_fmac_f32 v126, v100, v133
	v_dual_max_f32 v131, v122, v122 :: v_dual_add_nc_u32 v130, s29, v123
	s_waitcnt vmcnt(2) lgkmcnt(2)
	s_delay_alu instid0(VALU_DEP_3) | instskip(NEXT) | instid1(VALU_DEP_3)
	v_dual_fmac_f32 v128, v101, v138 :: v_dual_fmac_f32 v129, v102, v139
	v_dual_fmac_f32 v127, v103, v140 :: v_dual_fmac_f32 v126, v104, v141
	s_delay_alu instid0(VALU_DEP_3) | instskip(SKIP_1) | instid1(VALU_DEP_3)
	v_cvt_f32_i32_e32 v130, v130
	s_waitcnt vmcnt(1) lgkmcnt(1)
	v_dual_fmac_f32 v128, v105, v134 :: v_dual_fmac_f32 v129, v106, v135
	s_delay_alu instid0(VALU_DEP_3) | instskip(SKIP_1) | instid1(VALU_DEP_2)
	v_dual_fmac_f32 v127, v107, v136 :: v_dual_fmac_f32 v126, v108, v137
	s_waitcnt vmcnt(0) lgkmcnt(0)
	v_dual_fmac_f32 v128, v109, v142 :: v_dual_add_nc_u32 v123, 0x80, v123
	s_delay_alu instid0(VALU_DEP_3) | instskip(NEXT) | instid1(VALU_DEP_3)
	v_fmac_f32_e32 v129, v110, v143
	v_dual_fmac_f32 v127, v111, v144 :: v_dual_fmac_f32 v126, v112, v145
	s_delay_alu instid0(VALU_DEP_2) | instskip(NEXT) | instid1(VALU_DEP_1)
	v_dual_add_f32 v128, v128, v129 :: v_dual_mul_f32 v129, s31, v130
	v_dual_add_f32 v127, v127, v128 :: v_dual_cndmask_b32 v128, 0, v129
	s_delay_alu instid0(VALU_DEP_1) | instskip(NEXT) | instid1(VALU_DEP_1)
	v_dual_add_f32 v126, v126, v127 :: v_dual_add_nc_u32 v125, 4, v125
	v_cmp_le_i32_e64 s1, s17, v125
	s_delay_alu instid0(VALU_DEP_2) | instskip(NEXT) | instid1(VALU_DEP_2)
	v_fmac_f32_e32 v128, s3, v126
	s_or_b32 s33, s1, s33
	s_delay_alu instid0(VALU_DEP_1) | instskip(SKIP_1) | instid1(VALU_DEP_2)
	v_max_f32_e32 v126, v131, v128
	v_cndmask_b32_e64 v127, 0, v128, s0
	v_cndmask_b32_e64 v122, v122, v126, s0
	ds_store_b32 v124, v127
	v_add_nc_u32_e32 v124, 0x200, v124
	s_and_not1_b32 exec_lo, exec_lo, s33
	s_cbranch_execnz .LBB59_7
; %bb.8:
	s_or_b32 exec_lo, exec_lo, s33
.LBB59_9:
	s_delay_alu instid0(SALU_CYCLE_1) | instskip(SKIP_1) | instid1(VALU_DEP_1)
	s_or_b32 exec_lo, exec_lo, s6
	v_mbcnt_lo_u32_b32 v1, -1, 0
	v_xor_b32_e32 v2, 16, v1
	v_xor_b32_e32 v4, 8, v1
	s_delay_alu instid0(VALU_DEP_2) | instskip(SKIP_1) | instid1(VALU_DEP_3)
	v_cmp_gt_i32_e32 vcc_lo, 32, v2
	v_cndmask_b32_e32 v2, v1, v2, vcc_lo
	v_cmp_gt_i32_e32 vcc_lo, 32, v4
	v_max_f32_e32 v5, v122, v122
	s_delay_alu instid0(VALU_DEP_3) | instskip(SKIP_4) | instid1(VALU_DEP_1)
	v_lshlrev_b32_e32 v2, 2, v2
	v_cndmask_b32_e32 v4, v1, v4, vcc_lo
	ds_bpermute_b32 v3, v2, v122
	s_waitcnt lgkmcnt(0)
	v_dual_max_f32 v6, v3, v3 :: v_dual_lshlrev_b32 v3, 2, v4
	v_max_f32_e32 v4, v5, v6
	v_xor_b32_e32 v6, 4, v1
	ds_bpermute_b32 v5, v3, v4
	v_cmp_gt_i32_e32 vcc_lo, 32, v6
	v_cndmask_b32_e32 v6, v1, v6, vcc_lo
	s_delay_alu instid0(VALU_DEP_1) | instskip(SKIP_1) | instid1(VALU_DEP_1)
	v_lshlrev_b32_e32 v124, 2, v6
	v_xor_b32_e32 v6, 2, v1
	v_cmp_gt_i32_e32 vcc_lo, 32, v6
	s_waitcnt lgkmcnt(0)
	v_max_f32_e32 v5, v5, v5
	v_cndmask_b32_e32 v6, v1, v6, vcc_lo
	s_delay_alu instid0(VALU_DEP_1)
	v_dual_max_f32 v4, v4, v5 :: v_dual_lshlrev_b32 v123, 2, v6
	v_xor_b32_e32 v6, 1, v1
	ds_bpermute_b32 v5, v124, v4
	v_cmp_gt_i32_e32 vcc_lo, 32, v6
	v_cndmask_b32_e32 v6, v1, v6, vcc_lo
	v_cmp_eq_u32_e32 vcc_lo, 0, v121
	s_waitcnt lgkmcnt(0)
	s_delay_alu instid0(VALU_DEP_2) | instskip(NEXT) | instid1(VALU_DEP_1)
	v_dual_max_f32 v5, v5, v5 :: v_dual_lshlrev_b32 v122, 2, v6
	v_max_f32_e32 v4, v4, v5
	ds_bpermute_b32 v5, v123, v4
	s_waitcnt lgkmcnt(0)
	v_max_f32_e32 v5, v5, v5
	s_delay_alu instid0(VALU_DEP_1)
	v_max_f32_e32 v1, v4, v5
	v_lshlrev_b32_e32 v5, 2, v120
	ds_bpermute_b32 v4, v122, v1
	s_and_saveexec_b32 s0, vcc_lo
	s_cbranch_execz .LBB59_11
; %bb.10:
	s_waitcnt lgkmcnt(0)
	v_dual_max_f32 v4, v4, v4 :: v_dual_max_f32 v1, v1, v1
	s_delay_alu instid0(VALU_DEP_1)
	v_max_f32_e32 v1, v1, v4
	ds_store_b32 v5, v1 offset:448
.LBB59_11:
	s_or_b32 exec_lo, exec_lo, s0
	v_cmp_gt_u32_e64 s0, 4, v121
	v_mov_b32_e32 v1, 0xff7fffff
	s_waitcnt lgkmcnt(0)
	s_barrier
	buffer_gl0_inv
	s_and_saveexec_b32 s1, s0
	s_cbranch_execz .LBB59_13
; %bb.12:
	ds_load_b32 v1, v115 offset:448
.LBB59_13:
	s_or_b32 exec_lo, exec_lo, s1
	s_waitcnt lgkmcnt(0)
	ds_bpermute_b32 v4, v123, v1
	v_max_f32_e32 v1, v1, v1
	s_sub_i32 s1, s17, s7
	v_mov_b32_e32 v6, 0
	s_lshl_b32 s1, s1, 5
	s_delay_alu instid0(SALU_CYCLE_1) | instskip(NEXT) | instid1(SALU_CYCLE_1)
	s_add_i32 s1, s1, s30
	s_min_i32 s1, s1, s15
	s_delay_alu instid0(SALU_CYCLE_1) | instskip(NEXT) | instid1(SALU_CYCLE_1)
	s_sub_i32 s6, s1, s30
	v_cmp_gt_i32_e64 s1, s6, v0
	s_waitcnt lgkmcnt(0)
	v_max_f32_e32 v4, v4, v4
	s_delay_alu instid0(VALU_DEP_1) | instskip(SKIP_3) | instid1(VALU_DEP_1)
	v_max_f32_e32 v1, v1, v4
	ds_bpermute_b32 v4, v122, v1
	s_waitcnt lgkmcnt(0)
	v_max_f32_e32 v4, v4, v4
	v_max_f32_e32 v1, v1, v4
	v_lshl_add_u32 v4, v0, 2, 0x1e0
	ds_bpermute_b32 v1, v6, v1
	s_and_saveexec_b32 s7, s1
	s_cbranch_execz .LBB59_17
; %bb.14:
	v_lshl_add_u32 v7, v0, 2, 0x1e0
	v_mov_b32_e32 v6, 0
	v_mov_b32_e32 v8, v0
	s_mov_b32 s29, 0
	.p2align	6
.LBB59_15:                              ; =>This Inner Loop Header: Depth=1
	ds_load_b32 v9, v7
	v_add_nc_u32_e32 v8, 0x80, v8
	s_delay_alu instid0(VALU_DEP_1) | instskip(NEXT) | instid1(VALU_DEP_1)
	v_cmp_le_i32_e64 s3, s6, v8
	s_or_b32 s29, s3, s29
	s_waitcnt lgkmcnt(0)
	v_sub_f32_e32 v9, v9, v1
	s_delay_alu instid0(VALU_DEP_1) | instskip(NEXT) | instid1(VALU_DEP_1)
	v_mul_f32_e32 v9, 0x3fb8aa3b, v9
	v_exp_f32_e32 v9, v9
	ds_store_b32 v7, v9
	v_dual_add_f32 v6, v6, v9 :: v_dual_add_nc_u32 v7, 0x200, v7
	s_and_not1_b32 exec_lo, exec_lo, s29
	s_cbranch_execnz .LBB59_15
; %bb.16:
	s_or_b32 exec_lo, exec_lo, s29
.LBB59_17:
	s_delay_alu instid0(SALU_CYCLE_1)
	s_or_b32 exec_lo, exec_lo, s7
	ds_bpermute_b32 v2, v2, v6
	s_waitcnt lgkmcnt(0)
	v_add_f32_e32 v2, v6, v2
	ds_bpermute_b32 v3, v3, v2
	s_waitcnt lgkmcnt(0)
	v_add_f32_e32 v2, v2, v3
	;; [unrolled: 3-line block ×5, first 2 shown]
	s_and_saveexec_b32 s3, vcc_lo
	s_cbranch_execz .LBB59_19
; %bb.18:
	ds_store_b32 v5, v2 offset:464
.LBB59_19:
	s_or_b32 exec_lo, exec_lo, s3
	s_waitcnt lgkmcnt(0)
	s_barrier
	buffer_gl0_inv
	s_and_saveexec_b32 s3, s0
	s_cbranch_execz .LBB59_21
; %bb.20:
	ds_load_b32 v2, v115 offset:464
.LBB59_21:
	s_or_b32 exec_lo, exec_lo, s3
	s_waitcnt lgkmcnt(0)
	ds_bpermute_b32 v3, v123, v2
	s_waitcnt lgkmcnt(0)
	v_add_f32_e32 v2, v2, v3
	ds_bpermute_b32 v3, v122, v2
	s_waitcnt lgkmcnt(0)
	v_dual_add_f32 v2, v2, v3 :: v_dual_mov_b32 v3, 0
	ds_bpermute_b32 v2, v3, v2
	s_and_saveexec_b32 s0, s1
	s_cbranch_execz .LBB59_24
; %bb.22:
	s_waitcnt lgkmcnt(0)
	v_add_f32_e32 v3, 0x358637bd, v2
	s_mov_b32 s1, 0
	s_delay_alu instid0(VALU_DEP_1) | instskip(SKIP_1) | instid1(VALU_DEP_2)
	v_div_scale_f32 v5, null, v3, v3, 1.0
	v_div_scale_f32 v8, vcc_lo, 1.0, v3, 1.0
	v_rcp_f32_e32 v6, v5
	s_waitcnt_depctr 0xfff
	v_fma_f32 v7, -v5, v6, 1.0
	s_delay_alu instid0(VALU_DEP_1) | instskip(NEXT) | instid1(VALU_DEP_1)
	v_fmac_f32_e32 v6, v7, v6
	v_mul_f32_e32 v7, v8, v6
	s_delay_alu instid0(VALU_DEP_1) | instskip(NEXT) | instid1(VALU_DEP_1)
	v_fma_f32 v9, -v5, v7, v8
	v_fmac_f32_e32 v7, v9, v6
	s_delay_alu instid0(VALU_DEP_1) | instskip(NEXT) | instid1(VALU_DEP_1)
	v_fma_f32 v5, -v5, v7, v8
	v_div_fmas_f32 v5, v5, v6, v7
	s_delay_alu instid0(VALU_DEP_1)
	v_div_fixup_f32 v3, v5, v3, 1.0
	v_mov_b32_e32 v5, v0
.LBB59_23:                              ; =>This Inner Loop Header: Depth=1
	ds_load_b32 v6, v4
	s_waitcnt lgkmcnt(0)
	v_dual_mul_f32 v6, v3, v6 :: v_dual_add_nc_u32 v5, 0x80, v5
	s_delay_alu instid0(VALU_DEP_1) | instskip(SKIP_3) | instid1(SALU_CYCLE_1)
	v_cmp_le_i32_e32 vcc_lo, s6, v5
	ds_store_b32 v4, v6
	v_add_nc_u32_e32 v4, 0x200, v4
	s_or_b32 s1, vcc_lo, s1
	s_and_not1_b32 exec_lo, exec_lo, s1
	s_cbranch_execnz .LBB59_23
.LBB59_24:
	s_or_b32 exec_lo, exec_lo, s0
	s_mul_i32 s0, s4, s14
	s_waitcnt lgkmcnt(0)
	s_mul_i32 s6, s0, s13
	s_mov_b32 s0, exec_lo
	s_barrier
	buffer_gl0_inv
	v_cmpx_eq_u32_e32 0, v0
	s_cbranch_execz .LBB59_26
; %bb.25:
	s_ashr_i32 s7, s6, 31
	s_mul_i32 s36, s4, s22
	s_lshl_b64 s[34:35], s[6:7], 2
	v_mov_b32_e32 v3, 0
	s_add_u32 s1, s10, s34
	s_addc_u32 s3, s11, s35
	s_ashr_i32 s37, s36, 31
	s_delay_alu instid0(SALU_CYCLE_1) | instskip(NEXT) | instid1(SALU_CYCLE_1)
	s_lshl_b64 s[10:11], s[36:37], 2
	s_add_u32 s1, s1, s10
	s_addc_u32 s3, s3, s11
	s_ashr_i32 s13, s12, 31
	s_delay_alu instid0(SALU_CYCLE_1) | instskip(NEXT) | instid1(SALU_CYCLE_1)
	s_lshl_b64 s[36:37], s[12:13], 2
	s_add_u32 s38, s1, s36
	s_addc_u32 s39, s3, s37
	s_add_u32 s1, s8, s34
	s_addc_u32 s3, s9, s35
	;; [unrolled: 2-line block ×4, first 2 shown]
	s_clause 0x1
	global_store_b32 v3, v1, s[38:39]
	global_store_b32 v3, v2, s[8:9]
.LBB59_26:
	s_or_b32 exec_lo, exec_lo, s0
	v_dual_mov_b32 v151, 0 :: v_dual_mov_b32 v152, 0
	v_dual_mov_b32 v150, 0 :: v_dual_and_b32 v125, 7, v0
	v_dual_mov_b32 v153, 0 :: v_dual_mov_b32 v148, 0
	v_dual_mov_b32 v149, 0 :: v_dual_mov_b32 v146, 0
	;; [unrolled: 1-line block ×12, first 2 shown]
	v_mov_b32_e32 v127, 0
	s_and_saveexec_b32 s1, s2
	s_cbranch_execz .LBB59_86
; %bb.27:
	v_dual_mov_b32 v126, 0 :: v_dual_lshlrev_b32 v1, 2, v0
	v_dual_mov_b32 v127, 0 :: v_dual_lshlrev_b32 v2, 4, v125
	v_lshl_add_u32 v21, v120, 5, s30
	s_delay_alu instid0(VALU_DEP_3) | instskip(SKIP_4) | instid1(VALU_DEP_2)
	v_dual_mov_b32 v128, 0 :: v_dual_and_b32 v3, 0x7c, v1
	v_dual_mov_b32 v130, 0 :: v_dual_and_b32 v1, 28, v1
	s_ashr_i32 s29, s28, 31
	v_lshl_or_b32 v24, v120, 7, v2
	s_lshl_b64 s[2:3], s[28:29], 2
	v_add3_u32 v154, v21, v1, 3
	v_lshlrev_b64 v[1:2], 2, v[117:118]
	s_add_u32 s2, s26, s2
	s_addc_u32 s3, s27, s3
	s_lshl_b64 s[8:9], s[24:25], 2
	s_add_i32 s7, s23, -1
	v_or_b32_e32 v4, 0x400, v3
	v_or_b32_e32 v5, 0x480, v3
	;; [unrolled: 1-line block ×20, first 2 shown]
	s_add_u32 s0, s20, s8
	s_addc_u32 s8, s21, s9
	v_add_co_u32 v118, vcc_lo, s0, v1
	v_dual_mov_b32 v132, 0 :: v_dual_add_nc_u32 v155, 0x1e0, v24
	v_add_co_ci_u32_e32 v119, vcc_lo, s8, v2, vcc_lo
	v_dual_mov_b32 v129, 0 :: v_dual_lshlrev_b32 v156, 2, v3
	v_dual_mov_b32 v134, 0 :: v_dual_lshlrev_b32 v157, 2, v4
	;; [unrolled: 1-line block ×21, first 2 shown]
	v_mov_b32_e32 v153, 0
	v_mov_b32_e32 v151, 0
	s_mov_b32 s8, s5
	s_mov_b32 s5, 0
	s_branch .LBB59_29
.LBB59_28:                              ;   in Loop: Header=BB59_29 Depth=1
	s_or_b32 exec_lo, exec_lo, s0
	s_waitcnt vmcnt(27) lgkmcnt(0)
	v_mul_f32_e32 v6, v2, v6
	s_waitcnt vmcnt(9)
	v_mul_f32_e32 v78, v2, v78
	v_mul_f32_e32 v22, v2, v22
	s_waitcnt vmcnt(5)
	v_mul_f32_e32 v98, v2, v98
	v_mul_f32_e32 v70, v2, v70
	v_fmac_f32_e32 v6, v1, v5
	v_fmac_f32_e32 v78, v1, v77
	v_mul_f32_e32 v46, v2, v46
	v_fmac_f32_e32 v22, v1, v21
	s_waitcnt vmcnt(3)
	v_mul_f32_e32 v106, v2, v106
	v_fmac_f32_e32 v6, v3, v7
	v_mul_f32_e32 v62, v2, v62
	v_fmac_f32_e32 v70, v1, v69
	v_fmac_f32_e32 v78, v3, v79
	v_fmac_f32_e32 v46, v1, v45
	v_fmac_f32_e32 v22, v3, v23
	v_fmac_f32_e32 v6, v4, v8
	v_fmac_f32_e32 v98, v1, v97
	s_waitcnt vmcnt(1)
	v_dual_mul_f32 v114, v2, v114 :: v_dual_add_nc_u32 v117, 4, v117
	v_fmac_f32_e32 v62, v1, v61
	v_fmac_f32_e32 v70, v3, v71
	;; [unrolled: 1-line block ×5, first 2 shown]
	v_mul_f32_e32 v30, v2, v30
	s_delay_alu instid0(VALU_DEP_4) | instskip(SKIP_3) | instid1(VALU_DEP_4)
	v_dual_fmac_f32 v22, v4, v24 :: v_dual_add_f32 v135, v135, v78
	v_add_f32_e32 v151, v151, v6
	v_fmac_f32_e32 v98, v3, v99
	v_mul_f32_e32 v86, v2, v86
	v_dual_add_f32 v149, v149, v22 :: v_dual_fmac_f32 v62, v3, v63
	v_fmac_f32_e32 v70, v4, v72
	v_fmac_f32_e32 v106, v3, v107
	;; [unrolled: 1-line block ×5, first 2 shown]
	v_mul_f32_e32 v38, v2, v38
	s_delay_alu instid0(VALU_DEP_4)
	v_dual_fmac_f32 v30, v1, v29 :: v_dual_add_f32 v131, v131, v98
	v_mul_f32_e32 v10, v2, v10
	v_dual_mul_f32 v110, v2, v110 :: v_dual_add_nc_u32 v155, 0x200, v155
	v_mul_f32_e32 v102, v2, v102
	v_mul_f32_e32 v94, v2, v94
	;; [unrolled: 1-line block ×3, first 2 shown]
	v_fmac_f32_e32 v86, v1, v85
	v_mul_f32_e32 v74, v2, v74
	v_mul_f32_e32 v66, v2, v66
	v_dual_fmac_f32 v62, v4, v64 :: v_dual_add_f32 v137, v137, v70
	v_dual_fmac_f32 v106, v4, v108 :: v_dual_add_f32 v143, v143, v46
	v_fmac_f32_e32 v114, v3, v115
	v_mul_f32_e32 v58, v2, v58
	v_mul_f32_e32 v54, v2, v54
	s_delay_alu instid0(VALU_DEP_4)
	v_add_f32_e32 v129, v129, v106
	v_mul_f32_e32 v50, v2, v50
	v_mul_f32_e32 v42, v2, v42
	;; [unrolled: 1-line block ×3, first 2 shown]
	v_fmac_f32_e32 v38, v1, v37
	v_mul_f32_e32 v26, v2, v26
	v_fmac_f32_e32 v30, v3, v31
	v_mul_f32_e32 v18, v2, v18
	v_mul_f32_e32 v14, v2, v14
	s_waitcnt vmcnt(0)
	v_mul_f32_e32 v2, v2, v90
	v_fmac_f32_e32 v10, v1, v9
	v_dual_fmac_f32 v114, v4, v116 :: v_dual_add_f32 v139, v139, v62
	v_fmac_f32_e32 v110, v1, v109
	v_fmac_f32_e32 v94, v1, v93
	s_delay_alu instid0(VALU_DEP_3)
	v_dual_fmac_f32 v82, v1, v81 :: v_dual_add_f32 v127, v127, v114
	v_fmac_f32_e32 v86, v3, v87
	v_fmac_f32_e32 v74, v1, v73
	;; [unrolled: 1-line block ×14, first 2 shown]
	s_delay_alu instid0(VALU_DEP_4)
	v_dual_fmac_f32 v2, v1, v89 :: v_dual_add_f32 v147, v147, v30
	v_fmac_f32_e32 v10, v3, v11
	v_fmac_f32_e32 v82, v3, v83
	;; [unrolled: 1-line block ×6, first 2 shown]
	s_delay_alu instid0(VALU_DEP_4)
	v_dual_fmac_f32 v58, v3, v59 :: v_dual_add_f32 v133, v133, v86
	v_fmac_f32_e32 v54, v3, v55
	v_fmac_f32_e32 v50, v3, v51
	;; [unrolled: 1-line block ×8, first 2 shown]
	s_delay_alu instid0(VALU_DEP_4)
	v_dual_fmac_f32 v14, v3, v15 :: v_dual_add_f32 v145, v145, v38
	v_fmac_f32_e32 v2, v3, v91
	v_fmac_f32_e32 v10, v4, v12
	;; [unrolled: 1-line block ×5, first 2 shown]
	s_delay_alu instid0(VALU_DEP_4) | instskip(NEXT) | instid1(VALU_DEP_4)
	v_dual_fmac_f32 v74, v4, v76 :: v_dual_add_f32 v153, v153, v10
	v_fmac_f32_e32 v94, v4, v96
	v_fmac_f32_e32 v66, v4, v68
	;; [unrolled: 1-line block ×7, first 2 shown]
	s_delay_alu instid0(VALU_DEP_4)
	v_dual_fmac_f32 v34, v4, v36 :: v_dual_add_f32 v141, v141, v54
	v_fmac_f32_e32 v26, v4, v28
	v_fmac_f32_e32 v18, v4, v20
	;; [unrolled: 1-line block ×4, first 2 shown]
	v_cmp_le_i32_e32 vcc_lo, s17, v117
	v_add_co_u32 v118, s0, v118, 16
	v_add_f32_e32 v128, v128, v110
	v_add_f32_e32 v130, v130, v102
	;; [unrolled: 1-line block ×14, first 2 shown]
	v_add_nc_u32_e32 v154, 0x80, v154
	v_add_co_ci_u32_e64 v119, s0, 0, v119, s0
	s_or_b32 s5, vcc_lo, s5
	s_delay_alu instid0(SALU_CYCLE_1)
	s_and_not1_b32 exec_lo, exec_lo, s5
	s_cbranch_execz .LBB59_85
.LBB59_29:                              ; =>This Inner Loop Header: Depth=1
	global_load_b32 v3, v[118:119], off
	v_add_nc_u32_e32 v177, -3, v154
	v_add_nc_u32_e32 v179, -2, v154
	;; [unrolled: 1-line block ×3, first 2 shown]
	s_waitcnt vmcnt(0)
	v_mad_i64_i32 v[1:2], null, v3, s8, 0
	s_delay_alu instid0(VALU_DEP_1) | instskip(NEXT) | instid1(VALU_DEP_1)
	v_lshlrev_b64 v[1:2], 2, v[1:2]
	v_add_co_u32 v89, vcc_lo, s2, v1
	s_delay_alu instid0(VALU_DEP_2)
	v_add_co_ci_u32_e32 v90, vcc_lo, s3, v2, vcc_lo
	ds_load_b128 v[1:4], v155
	v_add_co_u32 v33, vcc_lo, v89, v156
	v_add_co_ci_u32_e32 v34, vcc_lo, 0, v90, vcc_lo
	v_cmp_eq_u32_e32 vcc_lo, s7, v117
	global_load_b128 v[5:8], v[33:34], off
	s_and_saveexec_b32 s9, vcc_lo
	s_cbranch_execnz .LBB59_78
; %bb.30:                               ;   in Loop: Header=BB59_29 Depth=1
	s_or_b32 exec_lo, exec_lo, s9
	global_load_b128 v[9:12], v[33:34], off offset:512
	s_and_saveexec_b32 s9, vcc_lo
	s_cbranch_execnz .LBB59_79
.LBB59_31:                              ;   in Loop: Header=BB59_29 Depth=1
	s_or_b32 exec_lo, exec_lo, s9
	global_load_b128 v[13:16], v[33:34], off offset:1024
	s_and_saveexec_b32 s9, vcc_lo
	s_cbranch_execnz .LBB59_80
.LBB59_32:                              ;   in Loop: Header=BB59_29 Depth=1
	s_or_b32 exec_lo, exec_lo, s9
	global_load_b128 v[17:20], v[33:34], off offset:1536
	s_and_saveexec_b32 s9, vcc_lo
	s_cbranch_execnz .LBB59_81
.LBB59_33:                              ;   in Loop: Header=BB59_29 Depth=1
	s_or_b32 exec_lo, exec_lo, s9
	global_load_b128 v[21:24], v[33:34], off offset:2048
	s_and_saveexec_b32 s9, vcc_lo
	s_cbranch_execnz .LBB59_82
.LBB59_34:                              ;   in Loop: Header=BB59_29 Depth=1
	s_or_b32 exec_lo, exec_lo, s9
	global_load_b128 v[25:28], v[33:34], off offset:2560
	s_and_saveexec_b32 s9, vcc_lo
	s_cbranch_execnz .LBB59_83
.LBB59_35:                              ;   in Loop: Header=BB59_29 Depth=1
	s_or_b32 exec_lo, exec_lo, s9
	global_load_b128 v[29:32], v[33:34], off offset:3072
	s_and_saveexec_b32 s9, vcc_lo
	s_cbranch_execnz .LBB59_84
.LBB59_36:                              ;   in Loop: Header=BB59_29 Depth=1
	s_or_b32 exec_lo, exec_lo, s9
	global_load_b128 v[33:36], v[33:34], off offset:3584
	s_and_saveexec_b32 s9, vcc_lo
	s_cbranch_execz .LBB59_38
.LBB59_37:                              ;   in Loop: Header=BB59_29 Depth=1
	v_cmp_gt_i32_e64 s0, s15, v177
	s_waitcnt vmcnt(0)
	s_delay_alu instid0(VALU_DEP_1) | instskip(SKIP_1) | instid1(VALU_DEP_1)
	v_cndmask_b32_e64 v33, 0, v33, s0
	v_cmp_gt_i32_e64 s0, s15, v179
	v_cndmask_b32_e64 v34, 0, v34, s0
	v_cmp_gt_i32_e64 s0, s15, v178
	s_delay_alu instid0(VALU_DEP_1) | instskip(SKIP_1) | instid1(VALU_DEP_1)
	v_cndmask_b32_e64 v35, 0, v35, s0
	v_cmp_gt_i32_e64 s0, s15, v154
	v_cndmask_b32_e64 v36, 0, v36, s0
.LBB59_38:                              ;   in Loop: Header=BB59_29 Depth=1
	s_or_b32 exec_lo, exec_lo, s9
	v_add_co_u32 v37, s0, v89, v157
	s_delay_alu instid0(VALU_DEP_1)
	v_add_co_ci_u32_e64 v38, s0, 0, v90, s0
	global_load_b128 v[37:40], v[37:38], off
	s_and_saveexec_b32 s9, vcc_lo
	s_cbranch_execz .LBB59_40
; %bb.39:                               ;   in Loop: Header=BB59_29 Depth=1
	v_cmp_gt_i32_e64 s0, s15, v177
	s_waitcnt vmcnt(0)
	s_delay_alu instid0(VALU_DEP_1) | instskip(SKIP_1) | instid1(VALU_DEP_1)
	v_cndmask_b32_e64 v37, 0, v37, s0
	v_cmp_gt_i32_e64 s0, s15, v179
	v_cndmask_b32_e64 v38, 0, v38, s0
	v_cmp_gt_i32_e64 s0, s15, v178
	s_delay_alu instid0(VALU_DEP_1) | instskip(SKIP_1) | instid1(VALU_DEP_1)
	v_cndmask_b32_e64 v39, 0, v39, s0
	v_cmp_gt_i32_e64 s0, s15, v154
	v_cndmask_b32_e64 v40, 0, v40, s0
.LBB59_40:                              ;   in Loop: Header=BB59_29 Depth=1
	s_or_b32 exec_lo, exec_lo, s9
	v_add_co_u32 v41, s0, v89, v158
	s_delay_alu instid0(VALU_DEP_1)
	v_add_co_ci_u32_e64 v42, s0, 0, v90, s0
	global_load_b128 v[41:44], v[41:42], off
	s_and_saveexec_b32 s9, vcc_lo
	s_cbranch_execz .LBB59_42
; %bb.41:                               ;   in Loop: Header=BB59_29 Depth=1
	v_cmp_gt_i32_e64 s0, s15, v177
	s_waitcnt vmcnt(0)
	s_delay_alu instid0(VALU_DEP_1) | instskip(SKIP_1) | instid1(VALU_DEP_1)
	v_cndmask_b32_e64 v41, 0, v41, s0
	v_cmp_gt_i32_e64 s0, s15, v179
	v_cndmask_b32_e64 v42, 0, v42, s0
	v_cmp_gt_i32_e64 s0, s15, v178
	s_delay_alu instid0(VALU_DEP_1) | instskip(SKIP_1) | instid1(VALU_DEP_1)
	v_cndmask_b32_e64 v43, 0, v43, s0
	v_cmp_gt_i32_e64 s0, s15, v154
	v_cndmask_b32_e64 v44, 0, v44, s0
.LBB59_42:                              ;   in Loop: Header=BB59_29 Depth=1
	;; [unrolled: 20-line block ×19, first 2 shown]
	s_or_b32 exec_lo, exec_lo, s9
	v_add_co_u32 v89, s0, v89, v176
	s_delay_alu instid0(VALU_DEP_1)
	v_add_co_ci_u32_e64 v90, s0, 0, v90, s0
	global_load_b128 v[89:92], v[89:90], off
	s_and_saveexec_b32 s0, vcc_lo
	s_cbranch_execz .LBB59_28
; %bb.77:                               ;   in Loop: Header=BB59_29 Depth=1
	v_cmp_gt_i32_e32 vcc_lo, s15, v177
	s_waitcnt vmcnt(0)
	v_cndmask_b32_e32 v89, 0, v89, vcc_lo
	v_cmp_gt_i32_e32 vcc_lo, s15, v179
	v_cndmask_b32_e32 v90, 0, v90, vcc_lo
	v_cmp_gt_i32_e32 vcc_lo, s15, v178
	;; [unrolled: 2-line block ×3, first 2 shown]
	v_cndmask_b32_e32 v92, 0, v92, vcc_lo
	s_branch .LBB59_28
.LBB59_78:                              ;   in Loop: Header=BB59_29 Depth=1
	v_cmp_gt_i32_e64 s0, s15, v177
	s_waitcnt vmcnt(0)
	s_delay_alu instid0(VALU_DEP_1) | instskip(SKIP_1) | instid1(VALU_DEP_1)
	v_cndmask_b32_e64 v5, 0, v5, s0
	v_cmp_gt_i32_e64 s0, s15, v179
	v_cndmask_b32_e64 v6, 0, v6, s0
	v_cmp_gt_i32_e64 s0, s15, v178
	s_delay_alu instid0(VALU_DEP_1) | instskip(SKIP_1) | instid1(VALU_DEP_1)
	v_cndmask_b32_e64 v7, 0, v7, s0
	v_cmp_gt_i32_e64 s0, s15, v154
	v_cndmask_b32_e64 v8, 0, v8, s0
	s_or_b32 exec_lo, exec_lo, s9
	global_load_b128 v[9:12], v[33:34], off offset:512
	s_and_saveexec_b32 s9, vcc_lo
	s_cbranch_execz .LBB59_31
.LBB59_79:                              ;   in Loop: Header=BB59_29 Depth=1
	v_cmp_gt_i32_e64 s0, s15, v177
	s_waitcnt vmcnt(0)
	s_delay_alu instid0(VALU_DEP_1) | instskip(SKIP_1) | instid1(VALU_DEP_1)
	v_cndmask_b32_e64 v9, 0, v9, s0
	v_cmp_gt_i32_e64 s0, s15, v179
	v_cndmask_b32_e64 v10, 0, v10, s0
	v_cmp_gt_i32_e64 s0, s15, v178
	s_delay_alu instid0(VALU_DEP_1) | instskip(SKIP_1) | instid1(VALU_DEP_1)
	v_cndmask_b32_e64 v11, 0, v11, s0
	v_cmp_gt_i32_e64 s0, s15, v154
	v_cndmask_b32_e64 v12, 0, v12, s0
	s_or_b32 exec_lo, exec_lo, s9
	global_load_b128 v[13:16], v[33:34], off offset:1024
	s_and_saveexec_b32 s9, vcc_lo
	s_cbranch_execz .LBB59_32
.LBB59_80:                              ;   in Loop: Header=BB59_29 Depth=1
	v_cmp_gt_i32_e64 s0, s15, v177
	s_waitcnt vmcnt(0)
	s_delay_alu instid0(VALU_DEP_1) | instskip(SKIP_1) | instid1(VALU_DEP_1)
	v_cndmask_b32_e64 v13, 0, v13, s0
	v_cmp_gt_i32_e64 s0, s15, v179
	v_cndmask_b32_e64 v14, 0, v14, s0
	v_cmp_gt_i32_e64 s0, s15, v178
	s_delay_alu instid0(VALU_DEP_1) | instskip(SKIP_1) | instid1(VALU_DEP_1)
	v_cndmask_b32_e64 v15, 0, v15, s0
	v_cmp_gt_i32_e64 s0, s15, v154
	v_cndmask_b32_e64 v16, 0, v16, s0
	s_or_b32 exec_lo, exec_lo, s9
	global_load_b128 v[17:20], v[33:34], off offset:1536
	s_and_saveexec_b32 s9, vcc_lo
	s_cbranch_execz .LBB59_33
.LBB59_81:                              ;   in Loop: Header=BB59_29 Depth=1
	v_cmp_gt_i32_e64 s0, s15, v177
	s_waitcnt vmcnt(0)
	s_delay_alu instid0(VALU_DEP_1) | instskip(SKIP_1) | instid1(VALU_DEP_1)
	v_cndmask_b32_e64 v17, 0, v17, s0
	v_cmp_gt_i32_e64 s0, s15, v179
	v_cndmask_b32_e64 v18, 0, v18, s0
	v_cmp_gt_i32_e64 s0, s15, v178
	s_delay_alu instid0(VALU_DEP_1) | instskip(SKIP_1) | instid1(VALU_DEP_1)
	v_cndmask_b32_e64 v19, 0, v19, s0
	v_cmp_gt_i32_e64 s0, s15, v154
	v_cndmask_b32_e64 v20, 0, v20, s0
	s_or_b32 exec_lo, exec_lo, s9
	global_load_b128 v[21:24], v[33:34], off offset:2048
	s_and_saveexec_b32 s9, vcc_lo
	s_cbranch_execz .LBB59_34
.LBB59_82:                              ;   in Loop: Header=BB59_29 Depth=1
	v_cmp_gt_i32_e64 s0, s15, v177
	s_waitcnt vmcnt(0)
	s_delay_alu instid0(VALU_DEP_1) | instskip(SKIP_1) | instid1(VALU_DEP_1)
	v_cndmask_b32_e64 v21, 0, v21, s0
	v_cmp_gt_i32_e64 s0, s15, v179
	v_cndmask_b32_e64 v22, 0, v22, s0
	v_cmp_gt_i32_e64 s0, s15, v178
	s_delay_alu instid0(VALU_DEP_1) | instskip(SKIP_1) | instid1(VALU_DEP_1)
	v_cndmask_b32_e64 v23, 0, v23, s0
	v_cmp_gt_i32_e64 s0, s15, v154
	v_cndmask_b32_e64 v24, 0, v24, s0
	s_or_b32 exec_lo, exec_lo, s9
	global_load_b128 v[25:28], v[33:34], off offset:2560
	s_and_saveexec_b32 s9, vcc_lo
	s_cbranch_execz .LBB59_35
.LBB59_83:                              ;   in Loop: Header=BB59_29 Depth=1
	v_cmp_gt_i32_e64 s0, s15, v177
	s_waitcnt vmcnt(0)
	s_delay_alu instid0(VALU_DEP_1) | instskip(SKIP_1) | instid1(VALU_DEP_1)
	v_cndmask_b32_e64 v25, 0, v25, s0
	v_cmp_gt_i32_e64 s0, s15, v179
	v_cndmask_b32_e64 v26, 0, v26, s0
	v_cmp_gt_i32_e64 s0, s15, v178
	s_delay_alu instid0(VALU_DEP_1) | instskip(SKIP_1) | instid1(VALU_DEP_1)
	v_cndmask_b32_e64 v27, 0, v27, s0
	v_cmp_gt_i32_e64 s0, s15, v154
	v_cndmask_b32_e64 v28, 0, v28, s0
	s_or_b32 exec_lo, exec_lo, s9
	global_load_b128 v[29:32], v[33:34], off offset:3072
	s_and_saveexec_b32 s9, vcc_lo
	s_cbranch_execz .LBB59_36
.LBB59_84:                              ;   in Loop: Header=BB59_29 Depth=1
	v_cmp_gt_i32_e64 s0, s15, v177
	s_waitcnt vmcnt(0)
	s_delay_alu instid0(VALU_DEP_1) | instskip(SKIP_1) | instid1(VALU_DEP_1)
	v_cndmask_b32_e64 v29, 0, v29, s0
	v_cmp_gt_i32_e64 s0, s15, v179
	v_cndmask_b32_e64 v30, 0, v30, s0
	v_cmp_gt_i32_e64 s0, s15, v178
	s_delay_alu instid0(VALU_DEP_1) | instskip(SKIP_1) | instid1(VALU_DEP_1)
	v_cndmask_b32_e64 v31, 0, v31, s0
	v_cmp_gt_i32_e64 s0, s15, v154
	v_cndmask_b32_e64 v32, 0, v32, s0
	s_or_b32 exec_lo, exec_lo, s9
	global_load_b128 v[33:36], v[33:34], off offset:3584
	s_and_saveexec_b32 s9, vcc_lo
	s_cbranch_execnz .LBB59_37
	s_branch .LBB59_38
.LBB59_85:
	s_or_b32 exec_lo, exec_lo, s5
.LBB59_86:
	s_delay_alu instid0(SALU_CYCLE_1)
	s_or_b32 exec_lo, exec_lo, s1
	ds_bpermute_b32 v3, v124, v152
	ds_bpermute_b32 v1, v124, v151
	;; [unrolled: 1-line block ×20, first 2 shown]
	s_waitcnt lgkmcnt(19)
	v_add_f32_e32 v3, v152, v3
	s_waitcnt lgkmcnt(17)
	v_dual_add_f32 v1, v151, v1 :: v_dual_add_f32 v4, v150, v4
	s_waitcnt lgkmcnt(15)
	v_dual_add_f32 v5, v149, v5 :: v_dual_add_f32 v6, v148, v6
	s_waitcnt lgkmcnt(14)
	v_add_f32_e32 v7, v147, v7
	ds_bpermute_b32 v14, v123, v3
	s_waitcnt lgkmcnt(13)
	v_add_f32_e32 v8, v146, v8
	v_add_f32_e32 v2, v153, v2
	ds_bpermute_b32 v12, v123, v1
	ds_bpermute_b32 v15, v123, v4
	;; [unrolled: 1-line block ×5, first 2 shown]
	s_waitcnt lgkmcnt(16)
	v_dual_add_f32 v9, v145, v9 :: v_dual_add_f32 v10, v144, v10
	ds_bpermute_b32 v19, v123, v8
	ds_bpermute_b32 v13, v123, v2
	s_waitcnt lgkmcnt(16)
	v_add_f32_e32 v11, v143, v11
	ds_bpermute_b32 v23, v123, v9
	ds_bpermute_b32 v24, v123, v10
	s_waitcnt lgkmcnt(16)
	v_dual_add_f32 v21, v141, v21 :: v_dual_add_f32 v22, v140, v22
	s_waitcnt lgkmcnt(12)
	v_dual_add_f32 v32, v131, v32 :: v_dual_add_f32 v33, v129, v33
	;; [unrolled: 2-line block ×3, first 2 shown]
	ds_bpermute_b32 v29, v123, v21
	ds_bpermute_b32 v40, v123, v32
	s_waitcnt lgkmcnt(9)
	v_dual_add_f32 v1, v1, v12 :: v_dual_add_f32 v4, v4, v15
	s_waitcnt lgkmcnt(7)
	v_dual_add_f32 v5, v5, v16 :: v_dual_add_f32 v6, v6, v17
	s_waitcnt lgkmcnt(6)
	v_add_f32_e32 v7, v7, v18
	ds_bpermute_b32 v14, v122, v3
	ds_bpermute_b32 v12, v122, v1
	s_waitcnt lgkmcnt(7)
	v_add_f32_e32 v8, v8, v19
	ds_bpermute_b32 v15, v122, v4
	ds_bpermute_b32 v16, v122, v5
	;; [unrolled: 1-line block ×5, first 2 shown]
	s_waitcnt lgkmcnt(9)
	v_dual_add_f32 v9, v9, v23 :: v_dual_add_f32 v10, v10, v24
	ds_bpermute_b32 v23, v124, v137
	v_add_f32_e32 v2, v2, v13
	ds_bpermute_b32 v19, v122, v8
	ds_bpermute_b32 v27, v123, v11
	;; [unrolled: 1-line block ×5, first 2 shown]
	s_movk_i32 s0, 0x1c0
	s_waitcnt lgkmcnt(0)
	s_waitcnt_vscnt null, 0x0
	s_barrier
	v_add_f32_e32 v3, v3, v14
	v_dual_add_f32 v14, v139, v25 :: v_dual_add_f32 v1, v1, v12
	v_dual_add_f32 v4, v4, v15 :: v_dual_add_f32 v5, v5, v16
	;; [unrolled: 1-line block ×3, first 2 shown]
	ds_bpermute_b32 v12, v123, v22
	v_add_f32_e32 v15, v138, v26
	ds_bpermute_b32 v16, v124, v136
	v_dual_add_f32 v17, v20, v28 :: v_dual_add_f32 v20, v137, v23
	ds_bpermute_b32 v18, v123, v14
	ds_bpermute_b32 v23, v124, v135
	v_add_f32_e32 v8, v8, v19
	v_add_f32_e32 v11, v11, v27
	ds_bpermute_b32 v19, v123, v15
	ds_bpermute_b32 v25, v124, v134
	;; [unrolled: 1-line block ×5, first 2 shown]
	v_add_f32_e32 v21, v21, v29
	v_add_f32_e32 v2, v2, v13
	ds_bpermute_b32 v13, v122, v10
	ds_bpermute_b32 v30, v122, v17
	s_waitcnt lgkmcnt(0)
	buffer_gl0_inv
	v_dual_add_f32 v35, v127, v35 :: v_dual_add_f32 v22, v22, v12
	ds_bpermute_b32 v12, v124, v130
	v_add_f32_e32 v16, v136, v16
	ds_bpermute_b32 v29, v122, v11
	ds_bpermute_b32 v31, v122, v21
	v_add_f32_e32 v18, v14, v18
	ds_bpermute_b32 v14, v124, v126
	v_add_f32_e32 v23, v135, v23
	;; [unrolled: 2-line block ×3, first 2 shown]
	ds_bpermute_b32 v15, v123, v16
	v_dual_add_f32 v26, v133, v26 :: v_dual_add_f32 v25, v134, v25
	v_add_f32_e32 v20, v20, v27
	v_add_f32_e32 v27, v132, v28
	ds_bpermute_b32 v28, v123, v23
	v_add_f32_e32 v34, v128, v34
	ds_bpermute_b32 v37, v123, v25
	ds_bpermute_b32 v38, v123, v26
	;; [unrolled: 1-line block ×3, first 2 shown]
	v_add_f32_e32 v32, v32, v40
	s_waitcnt lgkmcnt(9)
	v_add_f32_e32 v12, v130, v12
	ds_bpermute_b32 v45, v122, v18
	ds_bpermute_b32 v46, v122, v19
	;; [unrolled: 1-line block ×3, first 2 shown]
	s_waitcnt lgkmcnt(9)
	v_dual_add_f32 v11, v11, v29 :: v_dual_add_f32 v14, v126, v14
	ds_bpermute_b32 v39, v123, v27
	ds_bpermute_b32 v41, v123, v12
	v_lshrrev_b32_e32 v29, 3, v121
	s_waitcnt lgkmcnt(9)
	v_add_f32_e32 v47, v16, v15
	ds_bpermute_b32 v15, v123, v14
	v_add_f32_e32 v33, v33, v42
	ds_bpermute_b32 v42, v122, v32
	s_waitcnt lgkmcnt(10)
	v_dual_add_f32 v10, v10, v13 :: v_dual_add_f32 v23, v23, v28
	ds_bpermute_b32 v43, v123, v34
	s_waitcnt lgkmcnt(9)
	v_dual_add_f32 v25, v25, v37 :: v_dual_add_f32 v26, v26, v38
	s_waitcnt lgkmcnt(8)
	v_add_f32_e32 v35, v35, v44
	ds_bpermute_b32 v28, v122, v47
	ds_bpermute_b32 v37, v122, v23
	;; [unrolled: 1-line block ×3, first 2 shown]
	v_add_f32_e32 v13, v21, v31
	v_and_b32_e32 v31, 0x3c7, v0
	s_waitcnt lgkmcnt(9)
	v_dual_add_f32 v9, v9, v24 :: v_dual_add_f32 v16, v19, v46
	s_waitcnt lgkmcnt(7)
	v_add_f32_e32 v27, v27, v39
	s_waitcnt lgkmcnt(6)
	v_add_f32_e32 v41, v12, v41
	ds_bpermute_b32 v39, v122, v26
	v_add_f32_e32 v12, v17, v30
	s_waitcnt lgkmcnt(6)
	v_add_f32_e32 v50, v14, v15
	ds_bpermute_b32 v40, v122, v27
	ds_bpermute_b32 v44, v122, v33
	;; [unrolled: 1-line block ×3, first 2 shown]
	v_add_f32_e32 v14, v22, v36
	s_waitcnt lgkmcnt(7)
	v_add_f32_e32 v34, v34, v43
	ds_bpermute_b32 v43, v122, v41
	ds_bpermute_b32 v52, v122, v50
	v_add_f32_e32 v15, v18, v45
	v_add_f32_e32 v17, v20, v48
	ds_bpermute_b32 v49, v122, v34
	s_waitcnt lgkmcnt(9)
	v_add_f32_e32 v18, v47, v28
	s_waitcnt lgkmcnt(7)
	v_dual_add_f32 v19, v23, v37 :: v_dual_add_f32 v20, v25, v38
	v_add_f32_e32 v23, v32, v42
	v_mad_u32_u24 v30, v120, s0, 0x1e0
	v_cmp_eq_u32_e32 vcc_lo, 64, v31
	v_lshlrev_b32_e32 v31, 2, v29
	s_waitcnt lgkmcnt(5)
	v_dual_add_f32 v21, v26, v39 :: v_dual_add_f32 v22, v27, v40
	s_waitcnt lgkmcnt(4)
	v_add_f32_e32 v25, v33, v44
	s_waitcnt lgkmcnt(3)
	v_add_f32_e32 v27, v35, v51
	;; [unrolled: 2-line block ×5, first 2 shown]
	s_and_saveexec_b32 s0, vcc_lo
	s_cbranch_execz .LBB59_88
; %bb.87:
	v_add3_u32 v32, v30, v31, 0xfffffc80
	ds_store_2addr_b32 v32, v1, v2 offset1:4
	ds_store_2addr_b32 v32, v3, v4 offset0:8 offset1:12
	ds_store_2addr_b32 v32, v5, v6 offset0:16 offset1:20
	;; [unrolled: 1-line block ×13, first 2 shown]
.LBB59_88:
	s_or_b32 exec_lo, exec_lo, s0
	v_cmp_eq_u32_e32 vcc_lo, 0, v125
	s_mov_b32 s1, exec_lo
	s_waitcnt lgkmcnt(0)
	s_barrier
	buffer_gl0_inv
	v_cmpx_gt_u32_e32 64, v0
	s_cbranch_execz .LBB59_119
; %bb.89:
	s_and_saveexec_b32 s0, vcc_lo
	s_cbranch_execnz .LBB59_155
; %bb.90:
	s_or_b32 exec_lo, exec_lo, s0
	s_and_saveexec_b32 s0, vcc_lo
	s_cbranch_execnz .LBB59_156
.LBB59_91:
	s_or_b32 exec_lo, exec_lo, s0
	s_and_saveexec_b32 s0, vcc_lo
	s_cbranch_execnz .LBB59_157
.LBB59_92:
	s_or_b32 exec_lo, exec_lo, s0
	s_and_saveexec_b32 s0, vcc_lo
	s_cbranch_execnz .LBB59_158
.LBB59_93:
	s_or_b32 exec_lo, exec_lo, s0
	s_and_saveexec_b32 s0, vcc_lo
	s_cbranch_execnz .LBB59_159
.LBB59_94:
	s_or_b32 exec_lo, exec_lo, s0
	s_and_saveexec_b32 s0, vcc_lo
	s_cbranch_execnz .LBB59_160
.LBB59_95:
	s_or_b32 exec_lo, exec_lo, s0
	s_and_saveexec_b32 s0, vcc_lo
	s_cbranch_execnz .LBB59_161
.LBB59_96:
	s_or_b32 exec_lo, exec_lo, s0
	s_and_saveexec_b32 s0, vcc_lo
	s_cbranch_execnz .LBB59_162
.LBB59_97:
	s_or_b32 exec_lo, exec_lo, s0
	s_and_saveexec_b32 s0, vcc_lo
	s_cbranch_execnz .LBB59_163
.LBB59_98:
	s_or_b32 exec_lo, exec_lo, s0
	s_and_saveexec_b32 s0, vcc_lo
	s_cbranch_execnz .LBB59_164
.LBB59_99:
	s_or_b32 exec_lo, exec_lo, s0
	s_and_saveexec_b32 s0, vcc_lo
	s_cbranch_execnz .LBB59_165
.LBB59_100:
	s_or_b32 exec_lo, exec_lo, s0
	s_and_saveexec_b32 s0, vcc_lo
	s_cbranch_execnz .LBB59_166
.LBB59_101:
	s_or_b32 exec_lo, exec_lo, s0
	s_and_saveexec_b32 s0, vcc_lo
	s_cbranch_execnz .LBB59_167
.LBB59_102:
	s_or_b32 exec_lo, exec_lo, s0
	s_and_saveexec_b32 s0, vcc_lo
	s_cbranch_execnz .LBB59_168
.LBB59_103:
	s_or_b32 exec_lo, exec_lo, s0
	s_and_saveexec_b32 s0, vcc_lo
	s_cbranch_execnz .LBB59_169
.LBB59_104:
	s_or_b32 exec_lo, exec_lo, s0
	s_and_saveexec_b32 s0, vcc_lo
	s_cbranch_execnz .LBB59_170
.LBB59_105:
	s_or_b32 exec_lo, exec_lo, s0
	s_and_saveexec_b32 s0, vcc_lo
	s_cbranch_execnz .LBB59_171
.LBB59_106:
	s_or_b32 exec_lo, exec_lo, s0
	s_and_saveexec_b32 s0, vcc_lo
	s_cbranch_execnz .LBB59_172
.LBB59_107:
	s_or_b32 exec_lo, exec_lo, s0
	s_and_saveexec_b32 s0, vcc_lo
	s_cbranch_execnz .LBB59_173
.LBB59_108:
	s_or_b32 exec_lo, exec_lo, s0
	s_and_saveexec_b32 s0, vcc_lo
	s_cbranch_execnz .LBB59_174
.LBB59_109:
	s_or_b32 exec_lo, exec_lo, s0
	s_and_saveexec_b32 s0, vcc_lo
	s_cbranch_execnz .LBB59_175
.LBB59_110:
	s_or_b32 exec_lo, exec_lo, s0
	s_and_saveexec_b32 s0, vcc_lo
	s_cbranch_execnz .LBB59_176
.LBB59_111:
	s_or_b32 exec_lo, exec_lo, s0
	s_and_saveexec_b32 s0, vcc_lo
	s_cbranch_execnz .LBB59_177
.LBB59_112:
	s_or_b32 exec_lo, exec_lo, s0
	s_and_saveexec_b32 s0, vcc_lo
	s_cbranch_execnz .LBB59_178
.LBB59_113:
	s_or_b32 exec_lo, exec_lo, s0
	s_and_saveexec_b32 s0, vcc_lo
	s_cbranch_execnz .LBB59_179
.LBB59_114:
	s_or_b32 exec_lo, exec_lo, s0
	s_and_saveexec_b32 s0, vcc_lo
	s_cbranch_execnz .LBB59_180
.LBB59_115:
	s_or_b32 exec_lo, exec_lo, s0
	s_and_saveexec_b32 s0, vcc_lo
	s_cbranch_execnz .LBB59_181
.LBB59_116:
	s_or_b32 exec_lo, exec_lo, s0
	s_and_saveexec_b32 s0, vcc_lo
	s_cbranch_execz .LBB59_118
.LBB59_117:
	v_lshl_add_u32 v32, v29, 2, v30
	ds_load_b32 v32, v32 offset:432
	s_waitcnt lgkmcnt(0)
	v_add_f32_e32 v28, v28, v32
.LBB59_118:
	s_or_b32 exec_lo, exec_lo, s0
.LBB59_119:
	s_delay_alu instid0(SALU_CYCLE_1)
	s_or_b32 exec_lo, exec_lo, s1
	v_and_b32_e32 v32, 0x3e7, v0
	s_mov_b32 s1, exec_lo
	s_barrier
	buffer_gl0_inv
	v_cmpx_eq_u32_e32 32, v32
	s_cbranch_execz .LBB59_121
; %bb.120:
	v_add3_u32 v31, v30, v31, 0xfffffe40
	ds_store_2addr_b32 v31, v1, v2 offset1:4
	ds_store_2addr_b32 v31, v3, v4 offset0:8 offset1:12
	ds_store_2addr_b32 v31, v5, v6 offset0:16 offset1:20
	;; [unrolled: 1-line block ×13, first 2 shown]
.LBB59_121:
	s_or_b32 exec_lo, exec_lo, s1
	s_delay_alu instid0(SALU_CYCLE_1)
	s_mov_b32 s1, exec_lo
	s_waitcnt lgkmcnt(0)
	s_barrier
	buffer_gl0_inv
	v_cmpx_gt_u32_e32 32, v0
	s_cbranch_execz .LBB59_152
; %bb.122:
	v_lshl_add_u32 v29, v29, 2, v30
	s_and_saveexec_b32 s0, vcc_lo
	s_cbranch_execnz .LBB59_182
; %bb.123:
	s_or_b32 exec_lo, exec_lo, s0
	s_and_saveexec_b32 s0, vcc_lo
	s_cbranch_execnz .LBB59_183
.LBB59_124:
	s_or_b32 exec_lo, exec_lo, s0
	s_and_saveexec_b32 s0, vcc_lo
	s_cbranch_execnz .LBB59_184
.LBB59_125:
	s_or_b32 exec_lo, exec_lo, s0
	s_and_saveexec_b32 s0, vcc_lo
	s_cbranch_execnz .LBB59_185
.LBB59_126:
	s_or_b32 exec_lo, exec_lo, s0
	s_and_saveexec_b32 s0, vcc_lo
	s_cbranch_execnz .LBB59_186
.LBB59_127:
	s_or_b32 exec_lo, exec_lo, s0
	s_and_saveexec_b32 s0, vcc_lo
	s_cbranch_execnz .LBB59_187
.LBB59_128:
	s_or_b32 exec_lo, exec_lo, s0
	s_and_saveexec_b32 s0, vcc_lo
	s_cbranch_execnz .LBB59_188
.LBB59_129:
	s_or_b32 exec_lo, exec_lo, s0
	s_and_saveexec_b32 s0, vcc_lo
	s_cbranch_execnz .LBB59_189
.LBB59_130:
	s_or_b32 exec_lo, exec_lo, s0
	s_and_saveexec_b32 s0, vcc_lo
	s_cbranch_execnz .LBB59_190
.LBB59_131:
	s_or_b32 exec_lo, exec_lo, s0
	s_and_saveexec_b32 s0, vcc_lo
	s_cbranch_execnz .LBB59_191
.LBB59_132:
	s_or_b32 exec_lo, exec_lo, s0
	s_and_saveexec_b32 s0, vcc_lo
	s_cbranch_execnz .LBB59_192
.LBB59_133:
	s_or_b32 exec_lo, exec_lo, s0
	s_and_saveexec_b32 s0, vcc_lo
	s_cbranch_execnz .LBB59_193
.LBB59_134:
	s_or_b32 exec_lo, exec_lo, s0
	s_and_saveexec_b32 s0, vcc_lo
	s_cbranch_execnz .LBB59_194
.LBB59_135:
	s_or_b32 exec_lo, exec_lo, s0
	s_and_saveexec_b32 s0, vcc_lo
	s_cbranch_execnz .LBB59_195
.LBB59_136:
	s_or_b32 exec_lo, exec_lo, s0
	s_and_saveexec_b32 s0, vcc_lo
	s_cbranch_execnz .LBB59_196
.LBB59_137:
	s_or_b32 exec_lo, exec_lo, s0
	s_and_saveexec_b32 s0, vcc_lo
	s_cbranch_execnz .LBB59_197
.LBB59_138:
	s_or_b32 exec_lo, exec_lo, s0
	s_and_saveexec_b32 s0, vcc_lo
	s_cbranch_execnz .LBB59_198
.LBB59_139:
	s_or_b32 exec_lo, exec_lo, s0
	s_and_saveexec_b32 s0, vcc_lo
	s_cbranch_execnz .LBB59_199
.LBB59_140:
	s_or_b32 exec_lo, exec_lo, s0
	s_and_saveexec_b32 s0, vcc_lo
	s_cbranch_execnz .LBB59_200
.LBB59_141:
	s_or_b32 exec_lo, exec_lo, s0
	s_and_saveexec_b32 s0, vcc_lo
	s_cbranch_execnz .LBB59_201
.LBB59_142:
	s_or_b32 exec_lo, exec_lo, s0
	s_and_saveexec_b32 s0, vcc_lo
	s_cbranch_execnz .LBB59_202
.LBB59_143:
	s_or_b32 exec_lo, exec_lo, s0
	s_and_saveexec_b32 s0, vcc_lo
	s_cbranch_execnz .LBB59_203
.LBB59_144:
	s_or_b32 exec_lo, exec_lo, s0
	s_and_saveexec_b32 s0, vcc_lo
	s_cbranch_execnz .LBB59_204
.LBB59_145:
	s_or_b32 exec_lo, exec_lo, s0
	s_and_saveexec_b32 s0, vcc_lo
	s_cbranch_execnz .LBB59_205
.LBB59_146:
	s_or_b32 exec_lo, exec_lo, s0
	s_and_saveexec_b32 s0, vcc_lo
	s_cbranch_execnz .LBB59_206
.LBB59_147:
	s_or_b32 exec_lo, exec_lo, s0
	s_and_saveexec_b32 s0, vcc_lo
	s_cbranch_execnz .LBB59_207
.LBB59_148:
	s_or_b32 exec_lo, exec_lo, s0
	s_and_saveexec_b32 s0, vcc_lo
	s_cbranch_execnz .LBB59_208
.LBB59_149:
	s_or_b32 exec_lo, exec_lo, s0
	s_and_saveexec_b32 s0, vcc_lo
	s_cbranch_execz .LBB59_151
.LBB59_150:
	ds_load_b32 v29, v29 offset:432
	s_waitcnt lgkmcnt(0)
	v_add_f32_e32 v28, v28, v29
.LBB59_151:
	s_or_b32 exec_lo, exec_lo, s0
.LBB59_152:
	s_delay_alu instid0(SALU_CYCLE_1)
	s_or_b32 exec_lo, exec_lo, s1
	s_barrier
	buffer_gl0_inv
	s_mov_b32 s0, exec_lo
	v_cmpx_eq_u32_e32 0, v32
	s_cbranch_execz .LBB59_154
; %bb.153:
	s_mul_i32 s0, s6, 0x70
	s_mul_i32 s2, s4, s16
	s_ashr_i32 s1, s0, 31
	v_lshrrev_b32_e32 v0, 1, v0
	s_lshl_b64 s[0:1], s[0:1], 2
	s_delay_alu instid0(SALU_CYCLE_1) | instskip(SKIP_2) | instid1(SALU_CYCLE_1)
	s_add_u32 s4, s18, s0
	s_addc_u32 s5, s19, s1
	s_ashr_i32 s3, s2, 31
	s_lshl_b64 s[0:1], s[2:3], 2
	s_mul_i32 s2, s12, 0x70
	s_add_u32 s4, s4, s0
	s_addc_u32 s5, s5, s1
	s_ashr_i32 s3, s2, 31
	s_delay_alu instid0(SALU_CYCLE_1) | instskip(NEXT) | instid1(SALU_CYCLE_1)
	s_lshl_b64 s[0:1], s[2:3], 2
	s_add_u32 s0, s4, s0
	s_addc_u32 s1, s5, s1
	s_clause 0x1b
	global_store_b32 v0, v1, s[0:1]
	global_store_b32 v0, v2, s[0:1] offset:16
	global_store_b32 v0, v3, s[0:1] offset:32
	;; [unrolled: 1-line block ×27, first 2 shown]
.LBB59_154:
	s_nop 0
	s_sendmsg sendmsg(MSG_DEALLOC_VGPRS)
	s_endpgm
.LBB59_155:
	v_lshl_add_u32 v32, v29, 2, v30
	ds_load_b32 v32, v32
	s_waitcnt lgkmcnt(0)
	v_add_f32_e32 v1, v1, v32
	s_or_b32 exec_lo, exec_lo, s0
	s_and_saveexec_b32 s0, vcc_lo
	s_cbranch_execz .LBB59_91
.LBB59_156:
	v_lshl_add_u32 v32, v29, 2, v30
	ds_load_b32 v32, v32 offset:16
	s_waitcnt lgkmcnt(0)
	v_add_f32_e32 v2, v2, v32
	s_or_b32 exec_lo, exec_lo, s0
	s_and_saveexec_b32 s0, vcc_lo
	s_cbranch_execz .LBB59_92
.LBB59_157:
	v_lshl_add_u32 v32, v29, 2, v30
	ds_load_b32 v32, v32 offset:32
	s_waitcnt lgkmcnt(0)
	v_add_f32_e32 v3, v3, v32
	s_or_b32 exec_lo, exec_lo, s0
	s_and_saveexec_b32 s0, vcc_lo
	s_cbranch_execz .LBB59_93
.LBB59_158:
	v_lshl_add_u32 v32, v29, 2, v30
	ds_load_b32 v32, v32 offset:48
	s_waitcnt lgkmcnt(0)
	v_add_f32_e32 v4, v4, v32
	s_or_b32 exec_lo, exec_lo, s0
	s_and_saveexec_b32 s0, vcc_lo
	s_cbranch_execz .LBB59_94
.LBB59_159:
	v_lshl_add_u32 v32, v29, 2, v30
	ds_load_b32 v32, v32 offset:64
	s_waitcnt lgkmcnt(0)
	v_add_f32_e32 v5, v5, v32
	s_or_b32 exec_lo, exec_lo, s0
	s_and_saveexec_b32 s0, vcc_lo
	s_cbranch_execz .LBB59_95
.LBB59_160:
	v_lshl_add_u32 v32, v29, 2, v30
	ds_load_b32 v32, v32 offset:80
	s_waitcnt lgkmcnt(0)
	v_add_f32_e32 v6, v6, v32
	s_or_b32 exec_lo, exec_lo, s0
	s_and_saveexec_b32 s0, vcc_lo
	s_cbranch_execz .LBB59_96
.LBB59_161:
	v_lshl_add_u32 v32, v29, 2, v30
	ds_load_b32 v32, v32 offset:96
	s_waitcnt lgkmcnt(0)
	v_add_f32_e32 v7, v7, v32
	s_or_b32 exec_lo, exec_lo, s0
	s_and_saveexec_b32 s0, vcc_lo
	s_cbranch_execz .LBB59_97
.LBB59_162:
	v_lshl_add_u32 v32, v29, 2, v30
	ds_load_b32 v32, v32 offset:112
	s_waitcnt lgkmcnt(0)
	v_add_f32_e32 v8, v8, v32
	s_or_b32 exec_lo, exec_lo, s0
	s_and_saveexec_b32 s0, vcc_lo
	s_cbranch_execz .LBB59_98
.LBB59_163:
	v_lshl_add_u32 v32, v29, 2, v30
	ds_load_b32 v32, v32 offset:128
	s_waitcnt lgkmcnt(0)
	v_add_f32_e32 v9, v9, v32
	s_or_b32 exec_lo, exec_lo, s0
	s_and_saveexec_b32 s0, vcc_lo
	s_cbranch_execz .LBB59_99
.LBB59_164:
	v_lshl_add_u32 v32, v29, 2, v30
	ds_load_b32 v32, v32 offset:144
	s_waitcnt lgkmcnt(0)
	v_add_f32_e32 v10, v10, v32
	s_or_b32 exec_lo, exec_lo, s0
	s_and_saveexec_b32 s0, vcc_lo
	s_cbranch_execz .LBB59_100
.LBB59_165:
	v_lshl_add_u32 v32, v29, 2, v30
	ds_load_b32 v32, v32 offset:160
	s_waitcnt lgkmcnt(0)
	v_add_f32_e32 v11, v11, v32
	s_or_b32 exec_lo, exec_lo, s0
	s_and_saveexec_b32 s0, vcc_lo
	s_cbranch_execz .LBB59_101
.LBB59_166:
	v_lshl_add_u32 v32, v29, 2, v30
	ds_load_b32 v32, v32 offset:176
	s_waitcnt lgkmcnt(0)
	v_add_f32_e32 v12, v12, v32
	s_or_b32 exec_lo, exec_lo, s0
	s_and_saveexec_b32 s0, vcc_lo
	s_cbranch_execz .LBB59_102
.LBB59_167:
	v_lshl_add_u32 v32, v29, 2, v30
	ds_load_b32 v32, v32 offset:192
	s_waitcnt lgkmcnt(0)
	v_add_f32_e32 v13, v13, v32
	s_or_b32 exec_lo, exec_lo, s0
	s_and_saveexec_b32 s0, vcc_lo
	s_cbranch_execz .LBB59_103
.LBB59_168:
	v_lshl_add_u32 v32, v29, 2, v30
	ds_load_b32 v32, v32 offset:208
	s_waitcnt lgkmcnt(0)
	v_add_f32_e32 v14, v14, v32
	s_or_b32 exec_lo, exec_lo, s0
	s_and_saveexec_b32 s0, vcc_lo
	s_cbranch_execz .LBB59_104
.LBB59_169:
	v_lshl_add_u32 v32, v29, 2, v30
	ds_load_b32 v32, v32 offset:224
	s_waitcnt lgkmcnt(0)
	v_add_f32_e32 v15, v15, v32
	s_or_b32 exec_lo, exec_lo, s0
	s_and_saveexec_b32 s0, vcc_lo
	s_cbranch_execz .LBB59_105
.LBB59_170:
	v_lshl_add_u32 v32, v29, 2, v30
	ds_load_b32 v32, v32 offset:240
	s_waitcnt lgkmcnt(0)
	v_add_f32_e32 v16, v16, v32
	s_or_b32 exec_lo, exec_lo, s0
	s_and_saveexec_b32 s0, vcc_lo
	s_cbranch_execz .LBB59_106
.LBB59_171:
	v_lshl_add_u32 v32, v29, 2, v30
	ds_load_b32 v32, v32 offset:256
	s_waitcnt lgkmcnt(0)
	v_add_f32_e32 v17, v17, v32
	s_or_b32 exec_lo, exec_lo, s0
	s_and_saveexec_b32 s0, vcc_lo
	s_cbranch_execz .LBB59_107
.LBB59_172:
	v_lshl_add_u32 v32, v29, 2, v30
	ds_load_b32 v32, v32 offset:272
	s_waitcnt lgkmcnt(0)
	v_add_f32_e32 v18, v18, v32
	s_or_b32 exec_lo, exec_lo, s0
	s_and_saveexec_b32 s0, vcc_lo
	s_cbranch_execz .LBB59_108
.LBB59_173:
	v_lshl_add_u32 v32, v29, 2, v30
	ds_load_b32 v32, v32 offset:288
	s_waitcnt lgkmcnt(0)
	v_add_f32_e32 v19, v19, v32
	s_or_b32 exec_lo, exec_lo, s0
	s_and_saveexec_b32 s0, vcc_lo
	s_cbranch_execz .LBB59_109
.LBB59_174:
	v_lshl_add_u32 v32, v29, 2, v30
	ds_load_b32 v32, v32 offset:304
	s_waitcnt lgkmcnt(0)
	v_add_f32_e32 v20, v20, v32
	s_or_b32 exec_lo, exec_lo, s0
	s_and_saveexec_b32 s0, vcc_lo
	s_cbranch_execz .LBB59_110
.LBB59_175:
	v_lshl_add_u32 v32, v29, 2, v30
	ds_load_b32 v32, v32 offset:320
	s_waitcnt lgkmcnt(0)
	v_add_f32_e32 v21, v21, v32
	s_or_b32 exec_lo, exec_lo, s0
	s_and_saveexec_b32 s0, vcc_lo
	s_cbranch_execz .LBB59_111
.LBB59_176:
	v_lshl_add_u32 v32, v29, 2, v30
	ds_load_b32 v32, v32 offset:336
	s_waitcnt lgkmcnt(0)
	v_add_f32_e32 v22, v22, v32
	s_or_b32 exec_lo, exec_lo, s0
	s_and_saveexec_b32 s0, vcc_lo
	s_cbranch_execz .LBB59_112
.LBB59_177:
	v_lshl_add_u32 v32, v29, 2, v30
	ds_load_b32 v32, v32 offset:352
	s_waitcnt lgkmcnt(0)
	v_add_f32_e32 v23, v23, v32
	s_or_b32 exec_lo, exec_lo, s0
	s_and_saveexec_b32 s0, vcc_lo
	s_cbranch_execz .LBB59_113
.LBB59_178:
	v_lshl_add_u32 v32, v29, 2, v30
	ds_load_b32 v32, v32 offset:368
	s_waitcnt lgkmcnt(0)
	v_add_f32_e32 v24, v24, v32
	s_or_b32 exec_lo, exec_lo, s0
	s_and_saveexec_b32 s0, vcc_lo
	s_cbranch_execz .LBB59_114
.LBB59_179:
	v_lshl_add_u32 v32, v29, 2, v30
	ds_load_b32 v32, v32 offset:384
	s_waitcnt lgkmcnt(0)
	v_add_f32_e32 v25, v25, v32
	s_or_b32 exec_lo, exec_lo, s0
	s_and_saveexec_b32 s0, vcc_lo
	s_cbranch_execz .LBB59_115
.LBB59_180:
	v_lshl_add_u32 v32, v29, 2, v30
	ds_load_b32 v32, v32 offset:400
	s_waitcnt lgkmcnt(0)
	v_add_f32_e32 v26, v26, v32
	s_or_b32 exec_lo, exec_lo, s0
	s_and_saveexec_b32 s0, vcc_lo
	s_cbranch_execz .LBB59_116
.LBB59_181:
	v_lshl_add_u32 v32, v29, 2, v30
	ds_load_b32 v32, v32 offset:416
	s_waitcnt lgkmcnt(0)
	v_add_f32_e32 v27, v27, v32
	s_or_b32 exec_lo, exec_lo, s0
	s_and_saveexec_b32 s0, vcc_lo
	s_cbranch_execnz .LBB59_117
	s_branch .LBB59_118
.LBB59_182:
	ds_load_b32 v30, v29
	s_waitcnt lgkmcnt(0)
	v_add_f32_e32 v1, v1, v30
	s_or_b32 exec_lo, exec_lo, s0
	s_and_saveexec_b32 s0, vcc_lo
	s_cbranch_execz .LBB59_124
.LBB59_183:
	ds_load_b32 v30, v29 offset:16
	s_waitcnt lgkmcnt(0)
	v_add_f32_e32 v2, v2, v30
	s_or_b32 exec_lo, exec_lo, s0
	s_and_saveexec_b32 s0, vcc_lo
	s_cbranch_execz .LBB59_125
.LBB59_184:
	ds_load_b32 v30, v29 offset:32
	s_waitcnt lgkmcnt(0)
	v_add_f32_e32 v3, v3, v30
	s_or_b32 exec_lo, exec_lo, s0
	s_and_saveexec_b32 s0, vcc_lo
	s_cbranch_execz .LBB59_126
.LBB59_185:
	ds_load_b32 v30, v29 offset:48
	s_waitcnt lgkmcnt(0)
	v_add_f32_e32 v4, v4, v30
	s_or_b32 exec_lo, exec_lo, s0
	s_and_saveexec_b32 s0, vcc_lo
	s_cbranch_execz .LBB59_127
.LBB59_186:
	ds_load_b32 v30, v29 offset:64
	s_waitcnt lgkmcnt(0)
	v_add_f32_e32 v5, v5, v30
	s_or_b32 exec_lo, exec_lo, s0
	s_and_saveexec_b32 s0, vcc_lo
	s_cbranch_execz .LBB59_128
.LBB59_187:
	ds_load_b32 v30, v29 offset:80
	s_waitcnt lgkmcnt(0)
	v_add_f32_e32 v6, v6, v30
	s_or_b32 exec_lo, exec_lo, s0
	s_and_saveexec_b32 s0, vcc_lo
	s_cbranch_execz .LBB59_129
.LBB59_188:
	ds_load_b32 v30, v29 offset:96
	s_waitcnt lgkmcnt(0)
	v_add_f32_e32 v7, v7, v30
	s_or_b32 exec_lo, exec_lo, s0
	s_and_saveexec_b32 s0, vcc_lo
	s_cbranch_execz .LBB59_130
.LBB59_189:
	ds_load_b32 v30, v29 offset:112
	s_waitcnt lgkmcnt(0)
	v_add_f32_e32 v8, v8, v30
	s_or_b32 exec_lo, exec_lo, s0
	s_and_saveexec_b32 s0, vcc_lo
	s_cbranch_execz .LBB59_131
.LBB59_190:
	ds_load_b32 v30, v29 offset:128
	s_waitcnt lgkmcnt(0)
	v_add_f32_e32 v9, v9, v30
	s_or_b32 exec_lo, exec_lo, s0
	s_and_saveexec_b32 s0, vcc_lo
	s_cbranch_execz .LBB59_132
.LBB59_191:
	ds_load_b32 v30, v29 offset:144
	s_waitcnt lgkmcnt(0)
	v_add_f32_e32 v10, v10, v30
	s_or_b32 exec_lo, exec_lo, s0
	s_and_saveexec_b32 s0, vcc_lo
	s_cbranch_execz .LBB59_133
.LBB59_192:
	ds_load_b32 v30, v29 offset:160
	s_waitcnt lgkmcnt(0)
	v_add_f32_e32 v11, v11, v30
	s_or_b32 exec_lo, exec_lo, s0
	s_and_saveexec_b32 s0, vcc_lo
	s_cbranch_execz .LBB59_134
.LBB59_193:
	ds_load_b32 v30, v29 offset:176
	s_waitcnt lgkmcnt(0)
	v_add_f32_e32 v12, v12, v30
	s_or_b32 exec_lo, exec_lo, s0
	s_and_saveexec_b32 s0, vcc_lo
	s_cbranch_execz .LBB59_135
.LBB59_194:
	ds_load_b32 v30, v29 offset:192
	s_waitcnt lgkmcnt(0)
	v_add_f32_e32 v13, v13, v30
	s_or_b32 exec_lo, exec_lo, s0
	s_and_saveexec_b32 s0, vcc_lo
	s_cbranch_execz .LBB59_136
.LBB59_195:
	ds_load_b32 v30, v29 offset:208
	s_waitcnt lgkmcnt(0)
	v_add_f32_e32 v14, v14, v30
	s_or_b32 exec_lo, exec_lo, s0
	s_and_saveexec_b32 s0, vcc_lo
	s_cbranch_execz .LBB59_137
.LBB59_196:
	ds_load_b32 v30, v29 offset:224
	s_waitcnt lgkmcnt(0)
	v_add_f32_e32 v15, v15, v30
	s_or_b32 exec_lo, exec_lo, s0
	s_and_saveexec_b32 s0, vcc_lo
	s_cbranch_execz .LBB59_138
.LBB59_197:
	ds_load_b32 v30, v29 offset:240
	s_waitcnt lgkmcnt(0)
	v_add_f32_e32 v16, v16, v30
	s_or_b32 exec_lo, exec_lo, s0
	s_and_saveexec_b32 s0, vcc_lo
	s_cbranch_execz .LBB59_139
.LBB59_198:
	ds_load_b32 v30, v29 offset:256
	s_waitcnt lgkmcnt(0)
	v_add_f32_e32 v17, v17, v30
	s_or_b32 exec_lo, exec_lo, s0
	s_and_saveexec_b32 s0, vcc_lo
	s_cbranch_execz .LBB59_140
.LBB59_199:
	ds_load_b32 v30, v29 offset:272
	s_waitcnt lgkmcnt(0)
	v_add_f32_e32 v18, v18, v30
	s_or_b32 exec_lo, exec_lo, s0
	s_and_saveexec_b32 s0, vcc_lo
	s_cbranch_execz .LBB59_141
.LBB59_200:
	ds_load_b32 v30, v29 offset:288
	s_waitcnt lgkmcnt(0)
	v_add_f32_e32 v19, v19, v30
	s_or_b32 exec_lo, exec_lo, s0
	s_and_saveexec_b32 s0, vcc_lo
	s_cbranch_execz .LBB59_142
.LBB59_201:
	ds_load_b32 v30, v29 offset:304
	s_waitcnt lgkmcnt(0)
	v_add_f32_e32 v20, v20, v30
	s_or_b32 exec_lo, exec_lo, s0
	s_and_saveexec_b32 s0, vcc_lo
	s_cbranch_execz .LBB59_143
.LBB59_202:
	ds_load_b32 v30, v29 offset:320
	s_waitcnt lgkmcnt(0)
	v_add_f32_e32 v21, v21, v30
	s_or_b32 exec_lo, exec_lo, s0
	s_and_saveexec_b32 s0, vcc_lo
	s_cbranch_execz .LBB59_144
.LBB59_203:
	ds_load_b32 v30, v29 offset:336
	s_waitcnt lgkmcnt(0)
	v_add_f32_e32 v22, v22, v30
	s_or_b32 exec_lo, exec_lo, s0
	s_and_saveexec_b32 s0, vcc_lo
	s_cbranch_execz .LBB59_145
.LBB59_204:
	ds_load_b32 v30, v29 offset:352
	s_waitcnt lgkmcnt(0)
	v_add_f32_e32 v23, v23, v30
	s_or_b32 exec_lo, exec_lo, s0
	s_and_saveexec_b32 s0, vcc_lo
	s_cbranch_execz .LBB59_146
.LBB59_205:
	ds_load_b32 v30, v29 offset:368
	s_waitcnt lgkmcnt(0)
	v_add_f32_e32 v24, v24, v30
	s_or_b32 exec_lo, exec_lo, s0
	s_and_saveexec_b32 s0, vcc_lo
	s_cbranch_execz .LBB59_147
.LBB59_206:
	ds_load_b32 v30, v29 offset:384
	s_waitcnt lgkmcnt(0)
	v_add_f32_e32 v25, v25, v30
	s_or_b32 exec_lo, exec_lo, s0
	s_and_saveexec_b32 s0, vcc_lo
	s_cbranch_execz .LBB59_148
.LBB59_207:
	ds_load_b32 v30, v29 offset:400
	s_waitcnt lgkmcnt(0)
	v_add_f32_e32 v26, v26, v30
	s_or_b32 exec_lo, exec_lo, s0
	s_and_saveexec_b32 s0, vcc_lo
	s_cbranch_execz .LBB59_149
.LBB59_208:
	ds_load_b32 v30, v29 offset:416
	s_waitcnt lgkmcnt(0)
	v_add_f32_e32 v27, v27, v30
	s_or_b32 exec_lo, exec_lo, s0
	s_and_saveexec_b32 s0, vcc_lo
	s_cbranch_execnz .LBB59_150
	s_branch .LBB59_151
	.section	.rodata,"a",@progbits
	.p2align	6, 0x0
	.amdhsa_kernel _ZN4vllm25paged_attention_v2_kernelIffLi112ELi32ELi128ELNS_18Fp8KVCacheDataTypeE0ELb0ELi512EEEvPfS2_PT_PKS3_PKT0_S9_ifPKiSB_iPKfiiiSD_SD_iiiii
		.amdhsa_group_segment_fixed_size 480
		.amdhsa_private_segment_fixed_size 0
		.amdhsa_kernarg_size 400
		.amdhsa_user_sgpr_count 13
		.amdhsa_user_sgpr_dispatch_ptr 0
		.amdhsa_user_sgpr_queue_ptr 0
		.amdhsa_user_sgpr_kernarg_segment_ptr 1
		.amdhsa_user_sgpr_dispatch_id 0
		.amdhsa_user_sgpr_private_segment_size 0
		.amdhsa_wavefront_size32 1
		.amdhsa_uses_dynamic_stack 0
		.amdhsa_enable_private_segment 0
		.amdhsa_system_sgpr_workgroup_id_x 1
		.amdhsa_system_sgpr_workgroup_id_y 1
		.amdhsa_system_sgpr_workgroup_id_z 1
		.amdhsa_system_sgpr_workgroup_info 0
		.amdhsa_system_vgpr_workitem_id 0
		.amdhsa_next_free_vgpr 180
		.amdhsa_next_free_sgpr 40
		.amdhsa_reserve_vcc 1
		.amdhsa_float_round_mode_32 0
		.amdhsa_float_round_mode_16_64 0
		.amdhsa_float_denorm_mode_32 3
		.amdhsa_float_denorm_mode_16_64 3
		.amdhsa_dx10_clamp 1
		.amdhsa_ieee_mode 1
		.amdhsa_fp16_overflow 0
		.amdhsa_workgroup_processor_mode 1
		.amdhsa_memory_ordered 1
		.amdhsa_forward_progress 0
		.amdhsa_shared_vgpr_count 0
		.amdhsa_exception_fp_ieee_invalid_op 0
		.amdhsa_exception_fp_denorm_src 0
		.amdhsa_exception_fp_ieee_div_zero 0
		.amdhsa_exception_fp_ieee_overflow 0
		.amdhsa_exception_fp_ieee_underflow 0
		.amdhsa_exception_fp_ieee_inexact 0
		.amdhsa_exception_int_div_zero 0
	.end_amdhsa_kernel
	.section	.text._ZN4vllm25paged_attention_v2_kernelIffLi112ELi32ELi128ELNS_18Fp8KVCacheDataTypeE0ELb0ELi512EEEvPfS2_PT_PKS3_PKT0_S9_ifPKiSB_iPKfiiiSD_SD_iiiii,"axG",@progbits,_ZN4vllm25paged_attention_v2_kernelIffLi112ELi32ELi128ELNS_18Fp8KVCacheDataTypeE0ELb0ELi512EEEvPfS2_PT_PKS3_PKT0_S9_ifPKiSB_iPKfiiiSD_SD_iiiii,comdat
.Lfunc_end59:
	.size	_ZN4vllm25paged_attention_v2_kernelIffLi112ELi32ELi128ELNS_18Fp8KVCacheDataTypeE0ELb0ELi512EEEvPfS2_PT_PKS3_PKT0_S9_ifPKiSB_iPKfiiiSD_SD_iiiii, .Lfunc_end59-_ZN4vllm25paged_attention_v2_kernelIffLi112ELi32ELi128ELNS_18Fp8KVCacheDataTypeE0ELb0ELi512EEEvPfS2_PT_PKS3_PKT0_S9_ifPKiSB_iPKfiiiSD_SD_iiiii
                                        ; -- End function
	.section	.AMDGPU.csdata,"",@progbits
; Kernel info:
; codeLenInByte = 12196
; NumSgprs: 42
; NumVgprs: 180
; ScratchSize: 0
; MemoryBound: 0
; FloatMode: 240
; IeeeMode: 1
; LDSByteSize: 480 bytes/workgroup (compile time only)
; SGPRBlocks: 5
; VGPRBlocks: 22
; NumSGPRsForWavesPerEU: 42
; NumVGPRsForWavesPerEU: 180
; Occupancy: 8
; WaveLimiterHint : 1
; COMPUTE_PGM_RSRC2:SCRATCH_EN: 0
; COMPUTE_PGM_RSRC2:USER_SGPR: 13
; COMPUTE_PGM_RSRC2:TRAP_HANDLER: 0
; COMPUTE_PGM_RSRC2:TGID_X_EN: 1
; COMPUTE_PGM_RSRC2:TGID_Y_EN: 1
; COMPUTE_PGM_RSRC2:TGID_Z_EN: 1
; COMPUTE_PGM_RSRC2:TIDIG_COMP_CNT: 0
	.section	.text._ZN4vllm25paged_attention_v2_kernelIffLi120ELi32ELi128ELNS_18Fp8KVCacheDataTypeE0ELb0ELi512EEEvPfS2_PT_PKS3_PKT0_S9_ifPKiSB_iPKfiiiSD_SD_iiiii,"axG",@progbits,_ZN4vllm25paged_attention_v2_kernelIffLi120ELi32ELi128ELNS_18Fp8KVCacheDataTypeE0ELb0ELi512EEEvPfS2_PT_PKS3_PKT0_S9_ifPKiSB_iPKfiiiSD_SD_iiiii,comdat
	.protected	_ZN4vllm25paged_attention_v2_kernelIffLi120ELi32ELi128ELNS_18Fp8KVCacheDataTypeE0ELb0ELi512EEEvPfS2_PT_PKS3_PKT0_S9_ifPKiSB_iPKfiiiSD_SD_iiiii ; -- Begin function _ZN4vllm25paged_attention_v2_kernelIffLi120ELi32ELi128ELNS_18Fp8KVCacheDataTypeE0ELb0ELi512EEEvPfS2_PT_PKS3_PKT0_S9_ifPKiSB_iPKfiiiSD_SD_iiiii
	.globl	_ZN4vllm25paged_attention_v2_kernelIffLi120ELi32ELi128ELNS_18Fp8KVCacheDataTypeE0ELb0ELi512EEEvPfS2_PT_PKS3_PKT0_S9_ifPKiSB_iPKfiiiSD_SD_iiiii
	.p2align	8
	.type	_ZN4vllm25paged_attention_v2_kernelIffLi120ELi32ELi128ELNS_18Fp8KVCacheDataTypeE0ELb0ELi512EEEvPfS2_PT_PKS3_PKT0_S9_ifPKiSB_iPKfiiiSD_SD_iiiii,@function
_ZN4vllm25paged_attention_v2_kernelIffLi120ELi32ELi128ELNS_18Fp8KVCacheDataTypeE0ELb0ELi512EEEvPfS2_PT_PKS3_PKT0_S9_ifPKiSB_iPKfiiiSD_SD_iiiii: ; @_ZN4vllm25paged_attention_v2_kernelIffLi120ELi32ELi128ELNS_18Fp8KVCacheDataTypeE0ELb0ELi512EEEvPfS2_PT_PKS3_PKT0_S9_ifPKiSB_iPKfiiiSD_SD_iiiii
; %bb.0:
	s_load_b64 s[2:3], s[0:1], 0x40
	s_mov_b32 s12, s15
	s_ashr_i32 s15, s14, 31
	s_delay_alu instid0(SALU_CYCLE_1)
	s_lshl_b64 s[4:5], s[14:15], 2
	s_waitcnt lgkmcnt(0)
	s_add_u32 s2, s2, s4
	s_addc_u32 s3, s3, s5
	s_lshl_b32 s30, s12, 9
	s_load_b32 s15, s[2:3], 0x0
	s_waitcnt lgkmcnt(0)
	s_cmp_ge_i32 s30, s15
	s_cbranch_scc1 .LBB60_162
; %bb.1:
	s_mov_b32 s22, s13
	s_clause 0x1
	s_load_b32 s13, s[0:1], 0x90
	s_load_b64 s[2:3], s[0:1], 0x30
	s_mov_b32 s31, 0
	s_waitcnt lgkmcnt(0)
	s_abs_i32 s7, s13
	s_abs_i32 s4, s2
	s_xor_b32 s2, s13, s2
	v_cvt_f32_u32_e32 v1, s4
	s_sub_i32 s6, 0, s4
	s_ashr_i32 s2, s2, 31
	s_delay_alu instid0(VALU_DEP_1) | instskip(SKIP_2) | instid1(VALU_DEP_1)
	v_rcp_iflag_f32_e32 v1, v1
	s_waitcnt_depctr 0xfff
	v_mul_f32_e32 v1, 0x4f7ffffe, v1
	v_cvt_u32_f32_e32 v1, v1
	s_delay_alu instid0(VALU_DEP_1) | instskip(NEXT) | instid1(VALU_DEP_1)
	v_readfirstlane_b32 s5, v1
	s_mul_i32 s6, s6, s5
	s_delay_alu instid0(SALU_CYCLE_1) | instskip(NEXT) | instid1(SALU_CYCLE_1)
	s_mul_hi_u32 s6, s5, s6
	s_add_i32 s5, s5, s6
	s_delay_alu instid0(SALU_CYCLE_1) | instskip(NEXT) | instid1(SALU_CYCLE_1)
	s_mul_hi_u32 s5, s7, s5
	s_mul_i32 s6, s5, s4
	s_delay_alu instid0(SALU_CYCLE_1)
	s_sub_i32 s6, s7, s6
	s_add_i32 s7, s5, 1
	s_sub_i32 s8, s6, s4
	s_cmp_ge_u32 s6, s4
	s_cselect_b32 s5, s7, s5
	s_cselect_b32 s6, s8, s6
	s_add_i32 s7, s5, 1
	s_cmp_ge_u32 s6, s4
	s_cselect_b32 s4, s7, s5
	s_abs_i32 s25, s22
	s_xor_b32 s4, s4, s2
	s_delay_alu instid0(SALU_CYCLE_1) | instskip(SKIP_2) | instid1(SALU_CYCLE_1)
	s_sub_i32 s8, s4, s2
	s_load_b64 s[4:5], s[0:1], 0x50
	s_abs_i32 s2, s8
	v_cvt_f32_u32_e32 v1, s2
	s_sub_i32 s7, 0, s2
	s_delay_alu instid0(VALU_DEP_1) | instskip(SKIP_2) | instid1(VALU_DEP_1)
	v_rcp_iflag_f32_e32 v1, v1
	s_waitcnt_depctr 0xfff
	v_mul_f32_e32 v1, 0x4f7ffffe, v1
	v_cvt_u32_f32_e32 v1, v1
	s_delay_alu instid0(VALU_DEP_1) | instskip(NEXT) | instid1(VALU_DEP_1)
	v_readfirstlane_b32 s6, v1
	s_mul_i32 s7, s7, s6
	s_delay_alu instid0(SALU_CYCLE_1) | instskip(NEXT) | instid1(SALU_CYCLE_1)
	s_mul_hi_u32 s7, s6, s7
	s_add_i32 s6, s6, s7
	s_waitcnt lgkmcnt(0)
	s_cmp_eq_u64 s[4:5], 0
	s_mul_hi_u32 s24, s25, s6
	s_cbranch_scc1 .LBB60_3
; %bb.2:
	s_ashr_i32 s23, s22, 31
	s_delay_alu instid0(SALU_CYCLE_1) | instskip(NEXT) | instid1(SALU_CYCLE_1)
	s_lshl_b64 s[6:7], s[22:23], 2
	s_add_u32 s4, s4, s6
	s_addc_u32 s5, s5, s7
	s_load_b32 s31, s[4:5], 0x0
.LBB60_3:
	s_clause 0x1
	s_load_b64 s[20:21], s[0:1], 0x38
	s_load_b128 s[4:7], s[0:1], 0x58
	s_ashr_i32 s28, s22, 31
	s_ashr_i32 s29, s8, 31
	s_mul_i32 s16, s22, 0x78
	s_waitcnt lgkmcnt(0)
	s_mov_b32 s7, exec_lo
	v_cmpx_gt_u32_e32 30, v0
	s_cbranch_execz .LBB60_5
; %bb.4:
	s_load_b64 s[8:9], s[0:1], 0x18
	s_mul_i32 s10, s14, s4
	v_lshlrev_b32_e32 v5, 4, v0
	s_ashr_i32 s11, s10, 31
	s_delay_alu instid0(SALU_CYCLE_1) | instskip(SKIP_4) | instid1(SALU_CYCLE_1)
	s_lshl_b64 s[10:11], s[10:11], 2
	s_waitcnt lgkmcnt(0)
	s_add_u32 s4, s8, s10
	s_addc_u32 s10, s9, s11
	s_ashr_i32 s17, s16, 31
	s_lshl_b64 s[8:9], s[16:17], 2
	s_delay_alu instid0(SALU_CYCLE_1)
	s_add_u32 s8, s4, s8
	s_addc_u32 s9, s10, s9
	global_load_b128 v[1:4], v5, s[8:9]
	s_waitcnt vmcnt(0)
	ds_store_b128 v5, v[1:4]
.LBB60_5:
	s_or_b32 exec_lo, exec_lo, s7
	s_add_i32 s4, s15, 31
	s_clause 0x1
	s_load_b128 s[8:11], s[0:1], 0x0
	s_load_b64 s[18:19], s[0:1], 0x10
	s_ashr_i32 s7, s4, 31
	s_mul_i32 s34, s24, s2
	s_lshr_b32 s17, s7, 27
	s_lshl_b32 s7, s12, 4
	s_add_i32 s4, s4, s17
	s_load_b64 s[26:27], s[0:1], 0x28
	s_ashr_i32 s23, s4, 5
	s_clause 0x1
	s_load_b32 s4, s[0:1], 0x98
	s_load_b32 s33, s[0:1], 0x48
	s_add_i32 s17, s7, 16
	s_sub_i32 s25, s25, s34
	s_min_i32 s17, s17, s23
	s_xor_b32 s28, s28, s29
	s_add_i32 s29, s24, 1
	s_sub_i32 s34, s25, s2
	s_cmp_ge_u32 s25, s2
	v_lshrrev_b32_e32 v128, 5, v0
	s_cselect_b32 s24, s29, s24
	s_cselect_b32 s25, s34, s25
	s_add_i32 s29, s24, 1
	s_cmp_ge_u32 s25, s2
	v_dual_mov_b32 v130, 0xff7fffff :: v_dual_add_nc_u32 v125, s7, v128
	v_and_b32_e32 v129, 31, v0
	s_cselect_b32 s2, s29, s24
	s_waitcnt lgkmcnt(0)
	s_xor_b32 s2, s2, s28
	v_ashrrev_i32_e32 v126, 31, v125
	s_sub_i32 s28, s2, s28
	v_cmp_gt_i32_e64 s2, s17, v125
	v_lshlrev_b32_e32 v123, 2, v129
	s_mul_i32 s24, s14, s33
	s_mul_i32 s28, s28, s6
	s_ashr_i32 s25, s24, 31
	s_barrier
	buffer_gl0_inv
	s_and_saveexec_b32 s6, s2
	s_cbranch_execz .LBB60_9
; %bb.6:
	s_load_b64 s[0:1], s[0:1], 0x20
	s_ashr_i32 s29, s28, 31
	v_lshlrev_b32_e32 v49, 4, v129
	v_lshl_or_b32 v130, v128, 7, v123
	v_mov_b32_e32 v117, 0
	s_lshl_b64 s[34:35], s[28:29], 2
	v_lshlrev_b32_e32 v121, 5, v128
	v_cmp_neq_f32_e64 vcc_lo, s31, 0
	v_add_nc_u32_e32 v132, 0x200, v130
	ds_load_b128 v[1:4], v117
	ds_load_b128 v[5:8], v117 offset:16
	ds_load_b128 v[9:12], v117 offset:32
	;; [unrolled: 1-line block ×11, first 2 shown]
	v_mov_b32_e32 v130, 0xff7fffff
	v_add3_u32 v131, s30, v121, v129
	v_lshlrev_b64 v[121:122], 2, v[125:126]
	v_mov_b32_e32 v133, v125
	s_mov_b32 s33, 0
	s_waitcnt lgkmcnt(0)
	s_add_u32 s0, s0, s34
	s_addc_u32 s1, s1, s35
	v_add_co_u32 v124, s0, s0, v49
	ds_load_b128 v[49:52], v117 offset:192
	ds_load_b128 v[53:56], v117 offset:208
	ds_load_b128 v[57:60], v117 offset:224
	ds_load_b128 v[61:64], v117 offset:240
	ds_load_b128 v[65:68], v117 offset:256
	ds_load_b128 v[69:72], v117 offset:272
	ds_load_b128 v[73:76], v117 offset:288
	ds_load_b128 v[77:80], v117 offset:304
	ds_load_b128 v[81:84], v117 offset:320
	ds_load_b128 v[85:88], v117 offset:336
	ds_load_b128 v[89:92], v117 offset:352
	ds_load_b128 v[93:96], v117 offset:368
	ds_load_b128 v[97:100], v117 offset:384
	ds_load_b128 v[101:104], v117 offset:400
	ds_load_b128 v[105:108], v117 offset:416
	ds_load_b128 v[109:112], v117 offset:432
	ds_load_b128 v[113:116], v117 offset:448
	ds_load_b128 v[117:120], v117 offset:464
	v_add_co_ci_u32_e64 v127, null, s1, 0, s0
	s_lshl_b64 s[0:1], s[24:25], 2
	s_sub_i32 s29, 1, s15
	s_add_u32 s0, s20, s0
	s_addc_u32 s1, s21, s1
	v_add_co_u32 v121, s0, s0, v121
	s_delay_alu instid0(VALU_DEP_1)
	v_add_co_ci_u32_e64 v122, s0, s1, v122, s0
	s_mov_b32 s34, s5
.LBB60_7:                               ; =>This Inner Loop Header: Depth=1
	global_load_b32 v136, v[121:122], off
	s_waitcnt vmcnt(0)
	v_mad_i64_i32 v[134:135], null, v136, s34, 0
	s_delay_alu instid0(VALU_DEP_1) | instskip(NEXT) | instid1(VALU_DEP_1)
	v_lshlrev_b64 v[134:135], 2, v[134:135]
	v_add_co_u32 v150, s0, v124, v134
	s_delay_alu instid0(VALU_DEP_1) | instskip(NEXT) | instid1(VALU_DEP_2)
	v_add_co_ci_u32_e64 v151, s0, v127, v135, s0
	v_add_co_u32 v146, s0, v150, 0x2000
	global_load_b128 v[136:139], v[150:151], off offset:512
	v_add_co_ci_u32_e64 v147, s0, 0, v151, s0
	v_add_co_u32 v152, s0, 0x1000, v150
	s_delay_alu instid0(VALU_DEP_1) | instskip(SKIP_1) | instid1(VALU_DEP_1)
	v_add_co_ci_u32_e64 v153, s0, 0, v151, s0
	v_add_co_u32 v154, s0, 0x2000, v150
	v_add_co_ci_u32_e64 v155, s0, 0, v151, s0
	s_waitcnt vmcnt(0)
	v_dual_mul_f32 v135, v7, v138 :: v_dual_mul_f32 v134, v8, v139
	global_load_b128 v[138:141], v[150:151], off
	v_dual_mul_f32 v136, v5, v136 :: v_dual_mul_f32 v137, v6, v137
	s_waitcnt vmcnt(0)
	s_delay_alu instid0(VALU_DEP_1)
	v_dual_fmac_f32 v136, v1, v138 :: v_dual_fmac_f32 v137, v2, v139
	v_dual_fmac_f32 v135, v3, v140 :: v_dual_fmac_f32 v134, v4, v141
	s_clause 0x1
	global_load_b128 v[138:141], v[150:151], off offset:1024
	global_load_b128 v[142:145], v[150:151], off offset:1536
	s_waitcnt vmcnt(1)
	v_dual_fmac_f32 v136, v9, v138 :: v_dual_fmac_f32 v137, v10, v139
	v_dual_fmac_f32 v135, v11, v140 :: v_dual_fmac_f32 v134, v12, v141
	s_waitcnt vmcnt(0)
	s_delay_alu instid0(VALU_DEP_2) | instskip(NEXT) | instid1(VALU_DEP_2)
	v_dual_fmac_f32 v136, v13, v142 :: v_dual_fmac_f32 v137, v14, v143
	v_dual_fmac_f32 v135, v15, v144 :: v_dual_fmac_f32 v134, v16, v145
	s_clause 0x1
	global_load_b128 v[138:141], v[150:151], off offset:2048
	global_load_b128 v[142:145], v[150:151], off offset:2560
	s_waitcnt vmcnt(1)
	v_dual_fmac_f32 v136, v17, v138 :: v_dual_fmac_f32 v137, v18, v139
	v_dual_fmac_f32 v135, v19, v140 :: v_dual_fmac_f32 v134, v20, v141
	s_waitcnt vmcnt(0)
	s_delay_alu instid0(VALU_DEP_2) | instskip(NEXT) | instid1(VALU_DEP_2)
	v_dual_fmac_f32 v136, v21, v142 :: v_dual_fmac_f32 v137, v22, v143
	v_dual_fmac_f32 v135, v23, v144 :: v_dual_fmac_f32 v134, v24, v145
	s_clause 0x1
	global_load_b128 v[138:141], v[150:151], off offset:3072
	global_load_b128 v[142:145], v[150:151], off offset:3584
	s_waitcnt vmcnt(1)
	v_dual_fmac_f32 v136, v25, v138 :: v_dual_fmac_f32 v137, v26, v139
	v_dual_fmac_f32 v135, v27, v140 :: v_dual_fmac_f32 v134, v28, v141
	s_waitcnt vmcnt(0)
	s_delay_alu instid0(VALU_DEP_2) | instskip(NEXT) | instid1(VALU_DEP_2)
	v_dual_fmac_f32 v136, v29, v142 :: v_dual_fmac_f32 v137, v30, v143
	v_dual_fmac_f32 v135, v31, v144 :: v_dual_fmac_f32 v134, v32, v145
	s_clause 0x1
	global_load_b128 v[138:141], v[146:147], off offset:-4096
	global_load_b128 v[142:145], v[146:147], off
	s_waitcnt vmcnt(1)
	v_dual_fmac_f32 v136, v33, v138 :: v_dual_fmac_f32 v137, v34, v139
	v_dual_fmac_f32 v135, v35, v140 :: v_dual_fmac_f32 v134, v36, v141
	s_clause 0x1
	global_load_b128 v[138:141], v[152:153], off offset:512
	global_load_b128 v[146:149], v[152:153], off offset:1024
	s_waitcnt vmcnt(1)
	v_dual_fmac_f32 v136, v37, v138 :: v_dual_fmac_f32 v137, v38, v139
	v_dual_fmac_f32 v135, v39, v140 :: v_dual_fmac_f32 v134, v40, v141
	s_waitcnt vmcnt(0)
	s_delay_alu instid0(VALU_DEP_2) | instskip(NEXT) | instid1(VALU_DEP_2)
	v_dual_fmac_f32 v136, v41, v146 :: v_dual_fmac_f32 v137, v42, v147
	v_dual_fmac_f32 v135, v43, v148 :: v_dual_fmac_f32 v134, v44, v149
	s_clause 0x1
	global_load_b128 v[138:141], v[152:153], off offset:1536
	global_load_b128 v[146:149], v[152:153], off offset:2048
	s_waitcnt vmcnt(1)
	v_dual_fmac_f32 v136, v45, v138 :: v_dual_fmac_f32 v137, v46, v139
	v_dual_fmac_f32 v135, v47, v140 :: v_dual_fmac_f32 v134, v48, v141
	s_waitcnt vmcnt(0) lgkmcnt(17)
	s_delay_alu instid0(VALU_DEP_2) | instskip(NEXT) | instid1(VALU_DEP_2)
	v_dual_fmac_f32 v136, v49, v146 :: v_dual_fmac_f32 v137, v50, v147
	v_dual_fmac_f32 v135, v51, v148 :: v_dual_fmac_f32 v134, v52, v149
	s_clause 0x1
	global_load_b128 v[138:141], v[152:153], off offset:2560
	global_load_b128 v[146:149], v[152:153], off offset:3072
	s_waitcnt vmcnt(1) lgkmcnt(16)
	v_dual_fmac_f32 v136, v53, v138 :: v_dual_fmac_f32 v137, v54, v139
	v_dual_fmac_f32 v135, v55, v140 :: v_dual_fmac_f32 v134, v56, v141
	s_waitcnt vmcnt(0) lgkmcnt(15)
	s_delay_alu instid0(VALU_DEP_2) | instskip(NEXT) | instid1(VALU_DEP_2)
	v_dual_fmac_f32 v136, v57, v146 :: v_dual_fmac_f32 v137, v58, v147
	v_dual_fmac_f32 v135, v59, v148 :: v_dual_fmac_f32 v134, v60, v149
	s_clause 0x1
	global_load_b128 v[138:141], v[152:153], off offset:3584
	global_load_b128 v[146:149], v[154:155], off offset:512
	s_waitcnt vmcnt(1) lgkmcnt(14)
	v_dual_fmac_f32 v136, v61, v138 :: v_dual_fmac_f32 v137, v62, v139
	v_dual_fmac_f32 v135, v63, v140 :: v_dual_fmac_f32 v134, v64, v141
	s_waitcnt lgkmcnt(13)
	s_delay_alu instid0(VALU_DEP_2) | instskip(NEXT) | instid1(VALU_DEP_2)
	v_dual_fmac_f32 v136, v65, v142 :: v_dual_fmac_f32 v137, v66, v143
	v_dual_fmac_f32 v135, v67, v144 :: v_dual_fmac_f32 v134, v68, v145
	s_clause 0x1
	global_load_b128 v[138:141], v[154:155], off offset:1024
	global_load_b128 v[142:145], v[154:155], off offset:1536
	s_waitcnt vmcnt(2) lgkmcnt(12)
	v_dual_fmac_f32 v136, v69, v146 :: v_dual_fmac_f32 v137, v70, v147
	v_dual_fmac_f32 v135, v71, v148 :: v_dual_fmac_f32 v134, v72, v149
	v_add_co_u32 v146, s0, 0x3000, v150
	s_delay_alu instid0(VALU_DEP_1) | instskip(SKIP_1) | instid1(VALU_DEP_1)
	v_add_co_ci_u32_e64 v147, s0, 0, v151, s0
	v_add_co_u32 v121, s0, v121, 16
	v_add_co_ci_u32_e64 v122, s0, 0, v122, s0
	v_cmp_gt_i32_e64 s0, s15, v131
	s_waitcnt vmcnt(1) lgkmcnt(11)
	v_dual_fmac_f32 v136, v73, v138 :: v_dual_fmac_f32 v137, v74, v139
	v_dual_fmac_f32 v135, v75, v140 :: v_dual_fmac_f32 v134, v76, v141
	s_waitcnt vmcnt(0) lgkmcnt(10)
	s_delay_alu instid0(VALU_DEP_2) | instskip(NEXT) | instid1(VALU_DEP_2)
	v_dual_fmac_f32 v136, v77, v142 :: v_dual_fmac_f32 v137, v78, v143
	v_dual_fmac_f32 v135, v79, v144 :: v_dual_fmac_f32 v134, v80, v145
	s_clause 0x1
	global_load_b128 v[138:141], v[154:155], off offset:2048
	global_load_b128 v[142:145], v[154:155], off offset:2560
	s_waitcnt vmcnt(1) lgkmcnt(9)
	v_dual_fmac_f32 v136, v81, v138 :: v_dual_fmac_f32 v137, v82, v139
	v_dual_fmac_f32 v135, v83, v140 :: v_dual_fmac_f32 v134, v84, v141
	s_waitcnt vmcnt(0) lgkmcnt(8)
	s_delay_alu instid0(VALU_DEP_2) | instskip(NEXT) | instid1(VALU_DEP_2)
	v_dual_fmac_f32 v136, v85, v142 :: v_dual_fmac_f32 v137, v86, v143
	v_dual_fmac_f32 v135, v87, v144 :: v_dual_fmac_f32 v134, v88, v145
	s_clause 0x1
	global_load_b128 v[138:141], v[154:155], off offset:3072
	global_load_b128 v[142:145], v[154:155], off offset:3584
	s_waitcnt vmcnt(1) lgkmcnt(7)
	v_dual_fmac_f32 v136, v89, v138 :: v_dual_fmac_f32 v137, v90, v139
	v_dual_fmac_f32 v135, v91, v140 :: v_dual_fmac_f32 v134, v92, v141
	s_waitcnt vmcnt(0) lgkmcnt(6)
	s_delay_alu instid0(VALU_DEP_2) | instskip(NEXT) | instid1(VALU_DEP_2)
	v_dual_fmac_f32 v136, v93, v142 :: v_dual_fmac_f32 v137, v94, v143
	v_dual_fmac_f32 v135, v95, v144 :: v_dual_fmac_f32 v134, v96, v145
	s_clause 0x1
	global_load_b128 v[138:141], v[146:147], off
	global_load_b128 v[142:145], v[146:147], off offset:512
	s_waitcnt vmcnt(1) lgkmcnt(5)
	v_dual_fmac_f32 v136, v97, v138 :: v_dual_fmac_f32 v137, v98, v139
	v_dual_fmac_f32 v135, v99, v140 :: v_dual_fmac_f32 v134, v100, v141
	s_waitcnt vmcnt(0) lgkmcnt(4)
	s_delay_alu instid0(VALU_DEP_2) | instskip(NEXT) | instid1(VALU_DEP_2)
	v_dual_fmac_f32 v136, v101, v142 :: v_dual_fmac_f32 v137, v102, v143
	v_dual_fmac_f32 v135, v103, v144 :: v_dual_fmac_f32 v134, v104, v145
	s_clause 0x1
	global_load_b128 v[138:141], v[146:147], off offset:1024
	global_load_b128 v[142:145], v[146:147], off offset:1536
	s_waitcnt vmcnt(1) lgkmcnt(3)
	v_dual_fmac_f32 v136, v105, v138 :: v_dual_fmac_f32 v137, v106, v139
	v_dual_fmac_f32 v135, v107, v140 :: v_dual_fmac_f32 v134, v108, v141
	s_waitcnt vmcnt(0) lgkmcnt(2)
	s_delay_alu instid0(VALU_DEP_2) | instskip(NEXT) | instid1(VALU_DEP_2)
	v_dual_fmac_f32 v136, v109, v142 :: v_dual_fmac_f32 v137, v110, v143
	v_dual_fmac_f32 v135, v111, v144 :: v_dual_fmac_f32 v134, v112, v145
	s_clause 0x1
	global_load_b128 v[138:141], v[146:147], off offset:2048
	global_load_b128 v[142:145], v[146:147], off offset:2560
	s_waitcnt vmcnt(1) lgkmcnt(1)
	v_dual_fmac_f32 v136, v113, v138 :: v_dual_fmac_f32 v137, v114, v139
	v_dual_fmac_f32 v135, v115, v140 :: v_dual_fmac_f32 v134, v116, v141
	v_dual_max_f32 v139, v130, v130 :: v_dual_add_nc_u32 v138, s29, v131
	s_waitcnt vmcnt(0) lgkmcnt(0)
	s_delay_alu instid0(VALU_DEP_3) | instskip(NEXT) | instid1(VALU_DEP_3)
	v_dual_fmac_f32 v136, v117, v142 :: v_dual_fmac_f32 v137, v118, v143
	v_fmac_f32_e32 v135, v119, v144
	s_delay_alu instid0(VALU_DEP_3) | instskip(SKIP_1) | instid1(VALU_DEP_2)
	v_cvt_f32_i32_e32 v138, v138
	v_dual_fmac_f32 v134, v120, v145 :: v_dual_add_nc_u32 v131, 0x80, v131
	v_dual_add_f32 v136, v136, v137 :: v_dual_mul_f32 v137, s31, v138
	s_delay_alu instid0(VALU_DEP_1) | instskip(NEXT) | instid1(VALU_DEP_1)
	v_dual_add_f32 v135, v135, v136 :: v_dual_cndmask_b32 v136, 0, v137
	v_dual_add_f32 v134, v134, v135 :: v_dual_add_nc_u32 v133, 4, v133
	s_delay_alu instid0(VALU_DEP_1) | instskip(NEXT) | instid1(VALU_DEP_2)
	v_cmp_le_i32_e64 s1, s17, v133
	v_fmac_f32_e32 v136, s3, v134
	s_delay_alu instid0(VALU_DEP_2) | instskip(NEXT) | instid1(VALU_DEP_1)
	s_or_b32 s33, s1, s33
	v_max_f32_e32 v134, v139, v136
	v_cndmask_b32_e64 v135, 0, v136, s0
	s_delay_alu instid0(VALU_DEP_2)
	v_cndmask_b32_e64 v130, v130, v134, s0
	ds_store_b32 v132, v135
	v_add_nc_u32_e32 v132, 0x200, v132
	s_and_not1_b32 exec_lo, exec_lo, s33
	s_cbranch_execnz .LBB60_7
; %bb.8:
	s_or_b32 exec_lo, exec_lo, s33
.LBB60_9:
	s_delay_alu instid0(SALU_CYCLE_1) | instskip(SKIP_1) | instid1(VALU_DEP_1)
	s_or_b32 exec_lo, exec_lo, s6
	v_mbcnt_lo_u32_b32 v1, -1, 0
	v_xor_b32_e32 v2, 16, v1
	v_xor_b32_e32 v4, 8, v1
	s_delay_alu instid0(VALU_DEP_2) | instskip(SKIP_1) | instid1(VALU_DEP_3)
	v_cmp_gt_i32_e32 vcc_lo, 32, v2
	v_cndmask_b32_e32 v2, v1, v2, vcc_lo
	v_cmp_gt_i32_e32 vcc_lo, 32, v4
	v_max_f32_e32 v5, v130, v130
	s_delay_alu instid0(VALU_DEP_3) | instskip(SKIP_4) | instid1(VALU_DEP_1)
	v_lshlrev_b32_e32 v2, 2, v2
	v_cndmask_b32_e32 v4, v1, v4, vcc_lo
	ds_bpermute_b32 v3, v2, v130
	s_waitcnt lgkmcnt(0)
	v_dual_max_f32 v6, v3, v3 :: v_dual_lshlrev_b32 v3, 2, v4
	v_max_f32_e32 v4, v5, v6
	v_xor_b32_e32 v6, 4, v1
	ds_bpermute_b32 v5, v3, v4
	v_cmp_gt_i32_e32 vcc_lo, 32, v6
	v_cndmask_b32_e32 v6, v1, v6, vcc_lo
	s_delay_alu instid0(VALU_DEP_1) | instskip(SKIP_1) | instid1(VALU_DEP_1)
	v_lshlrev_b32_e32 v132, 2, v6
	v_xor_b32_e32 v6, 2, v1
	v_cmp_gt_i32_e32 vcc_lo, 32, v6
	s_waitcnt lgkmcnt(0)
	v_max_f32_e32 v5, v5, v5
	v_cndmask_b32_e32 v6, v1, v6, vcc_lo
	s_delay_alu instid0(VALU_DEP_1)
	v_dual_max_f32 v4, v4, v5 :: v_dual_lshlrev_b32 v131, 2, v6
	v_xor_b32_e32 v6, 1, v1
	ds_bpermute_b32 v5, v132, v4
	v_cmp_gt_i32_e32 vcc_lo, 32, v6
	v_cndmask_b32_e32 v6, v1, v6, vcc_lo
	v_cmp_eq_u32_e32 vcc_lo, 0, v129
	s_waitcnt lgkmcnt(0)
	s_delay_alu instid0(VALU_DEP_2) | instskip(NEXT) | instid1(VALU_DEP_1)
	v_dual_max_f32 v5, v5, v5 :: v_dual_lshlrev_b32 v130, 2, v6
	v_max_f32_e32 v4, v4, v5
	ds_bpermute_b32 v5, v131, v4
	s_waitcnt lgkmcnt(0)
	v_max_f32_e32 v5, v5, v5
	s_delay_alu instid0(VALU_DEP_1)
	v_max_f32_e32 v1, v4, v5
	v_lshlrev_b32_e32 v5, 2, v128
	ds_bpermute_b32 v4, v130, v1
	s_and_saveexec_b32 s0, vcc_lo
	s_cbranch_execz .LBB60_11
; %bb.10:
	s_waitcnt lgkmcnt(0)
	v_dual_max_f32 v4, v4, v4 :: v_dual_max_f32 v1, v1, v1
	s_delay_alu instid0(VALU_DEP_1)
	v_max_f32_e32 v1, v1, v4
	ds_store_b32 v5, v1 offset:480
.LBB60_11:
	s_or_b32 exec_lo, exec_lo, s0
	v_cmp_gt_u32_e64 s0, 4, v129
	v_mov_b32_e32 v1, 0xff7fffff
	s_waitcnt lgkmcnt(0)
	s_barrier
	buffer_gl0_inv
	s_and_saveexec_b32 s1, s0
	s_cbranch_execz .LBB60_13
; %bb.12:
	ds_load_b32 v1, v123 offset:480
.LBB60_13:
	s_or_b32 exec_lo, exec_lo, s1
	s_waitcnt lgkmcnt(0)
	ds_bpermute_b32 v4, v131, v1
	v_max_f32_e32 v1, v1, v1
	s_sub_i32 s1, s17, s7
	v_mov_b32_e32 v6, 0
	s_lshl_b32 s1, s1, 5
	s_delay_alu instid0(SALU_CYCLE_1) | instskip(NEXT) | instid1(SALU_CYCLE_1)
	s_add_i32 s1, s1, s30
	s_min_i32 s1, s1, s15
	s_delay_alu instid0(SALU_CYCLE_1) | instskip(NEXT) | instid1(SALU_CYCLE_1)
	s_sub_i32 s6, s1, s30
	v_cmp_gt_i32_e64 s1, s6, v0
	s_waitcnt lgkmcnt(0)
	v_max_f32_e32 v4, v4, v4
	s_delay_alu instid0(VALU_DEP_1) | instskip(SKIP_3) | instid1(VALU_DEP_1)
	v_max_f32_e32 v1, v1, v4
	ds_bpermute_b32 v4, v130, v1
	s_waitcnt lgkmcnt(0)
	v_max_f32_e32 v4, v4, v4
	v_max_f32_e32 v1, v1, v4
	v_lshl_add_u32 v4, v0, 2, 0x200
	ds_bpermute_b32 v1, v6, v1
	s_and_saveexec_b32 s7, s1
	s_cbranch_execz .LBB60_17
; %bb.14:
	v_lshl_add_u32 v7, v0, 2, 0x200
	v_mov_b32_e32 v6, 0
	v_mov_b32_e32 v8, v0
	s_mov_b32 s29, 0
	.p2align	6
.LBB60_15:                              ; =>This Inner Loop Header: Depth=1
	ds_load_b32 v9, v7
	v_add_nc_u32_e32 v8, 0x80, v8
	s_delay_alu instid0(VALU_DEP_1) | instskip(NEXT) | instid1(VALU_DEP_1)
	v_cmp_le_i32_e64 s3, s6, v8
	s_or_b32 s29, s3, s29
	s_waitcnt lgkmcnt(0)
	v_sub_f32_e32 v9, v9, v1
	s_delay_alu instid0(VALU_DEP_1) | instskip(NEXT) | instid1(VALU_DEP_1)
	v_mul_f32_e32 v9, 0x3fb8aa3b, v9
	v_exp_f32_e32 v9, v9
	ds_store_b32 v7, v9
	v_dual_add_f32 v6, v6, v9 :: v_dual_add_nc_u32 v7, 0x200, v7
	s_and_not1_b32 exec_lo, exec_lo, s29
	s_cbranch_execnz .LBB60_15
; %bb.16:
	s_or_b32 exec_lo, exec_lo, s29
.LBB60_17:
	s_delay_alu instid0(SALU_CYCLE_1)
	s_or_b32 exec_lo, exec_lo, s7
	ds_bpermute_b32 v2, v2, v6
	s_waitcnt lgkmcnt(0)
	v_add_f32_e32 v2, v6, v2
	ds_bpermute_b32 v3, v3, v2
	s_waitcnt lgkmcnt(0)
	v_add_f32_e32 v2, v2, v3
	;; [unrolled: 3-line block ×5, first 2 shown]
	s_and_saveexec_b32 s3, vcc_lo
	s_cbranch_execz .LBB60_19
; %bb.18:
	ds_store_b32 v5, v2 offset:496
.LBB60_19:
	s_or_b32 exec_lo, exec_lo, s3
	s_waitcnt lgkmcnt(0)
	s_barrier
	buffer_gl0_inv
	s_and_saveexec_b32 s3, s0
	s_cbranch_execz .LBB60_21
; %bb.20:
	ds_load_b32 v2, v123 offset:496
.LBB60_21:
	s_or_b32 exec_lo, exec_lo, s3
	s_waitcnt lgkmcnt(0)
	ds_bpermute_b32 v3, v131, v2
	s_waitcnt lgkmcnt(0)
	v_add_f32_e32 v2, v2, v3
	ds_bpermute_b32 v3, v130, v2
	s_waitcnt lgkmcnt(0)
	v_dual_add_f32 v2, v2, v3 :: v_dual_mov_b32 v3, 0
	ds_bpermute_b32 v2, v3, v2
	s_and_saveexec_b32 s0, s1
	s_cbranch_execz .LBB60_24
; %bb.22:
	s_waitcnt lgkmcnt(0)
	v_add_f32_e32 v3, 0x358637bd, v2
	s_mov_b32 s1, 0
	s_delay_alu instid0(VALU_DEP_1) | instskip(SKIP_1) | instid1(VALU_DEP_2)
	v_div_scale_f32 v5, null, v3, v3, 1.0
	v_div_scale_f32 v8, vcc_lo, 1.0, v3, 1.0
	v_rcp_f32_e32 v6, v5
	s_waitcnt_depctr 0xfff
	v_fma_f32 v7, -v5, v6, 1.0
	s_delay_alu instid0(VALU_DEP_1) | instskip(NEXT) | instid1(VALU_DEP_1)
	v_fmac_f32_e32 v6, v7, v6
	v_mul_f32_e32 v7, v8, v6
	s_delay_alu instid0(VALU_DEP_1) | instskip(NEXT) | instid1(VALU_DEP_1)
	v_fma_f32 v9, -v5, v7, v8
	v_fmac_f32_e32 v7, v9, v6
	s_delay_alu instid0(VALU_DEP_1) | instskip(NEXT) | instid1(VALU_DEP_1)
	v_fma_f32 v5, -v5, v7, v8
	v_div_fmas_f32 v5, v5, v6, v7
	s_delay_alu instid0(VALU_DEP_1)
	v_div_fixup_f32 v3, v5, v3, 1.0
	v_mov_b32_e32 v5, v0
.LBB60_23:                              ; =>This Inner Loop Header: Depth=1
	ds_load_b32 v6, v4
	s_waitcnt lgkmcnt(0)
	v_dual_mul_f32 v6, v3, v6 :: v_dual_add_nc_u32 v5, 0x80, v5
	s_delay_alu instid0(VALU_DEP_1) | instskip(SKIP_3) | instid1(SALU_CYCLE_1)
	v_cmp_le_i32_e32 vcc_lo, s6, v5
	ds_store_b32 v4, v6
	v_add_nc_u32_e32 v4, 0x200, v4
	s_or_b32 s1, vcc_lo, s1
	s_and_not1_b32 exec_lo, exec_lo, s1
	s_cbranch_execnz .LBB60_23
.LBB60_24:
	s_or_b32 exec_lo, exec_lo, s0
	s_mul_i32 s0, s4, s14
	s_waitcnt lgkmcnt(0)
	s_mul_i32 s6, s0, s13
	s_mov_b32 s0, exec_lo
	s_barrier
	buffer_gl0_inv
	v_cmpx_eq_u32_e32 0, v0
	s_cbranch_execz .LBB60_26
; %bb.25:
	s_ashr_i32 s7, s6, 31
	s_mul_i32 s36, s4, s22
	s_lshl_b64 s[34:35], s[6:7], 2
	v_mov_b32_e32 v3, 0
	s_add_u32 s1, s10, s34
	s_addc_u32 s3, s11, s35
	s_ashr_i32 s37, s36, 31
	s_delay_alu instid0(SALU_CYCLE_1) | instskip(NEXT) | instid1(SALU_CYCLE_1)
	s_lshl_b64 s[10:11], s[36:37], 2
	s_add_u32 s1, s1, s10
	s_addc_u32 s3, s3, s11
	s_ashr_i32 s13, s12, 31
	s_delay_alu instid0(SALU_CYCLE_1) | instskip(NEXT) | instid1(SALU_CYCLE_1)
	s_lshl_b64 s[36:37], s[12:13], 2
	s_add_u32 s38, s1, s36
	s_addc_u32 s39, s3, s37
	s_add_u32 s1, s8, s34
	s_addc_u32 s3, s9, s35
	;; [unrolled: 2-line block ×4, first 2 shown]
	s_clause 0x1
	global_store_b32 v3, v1, s[38:39]
	global_store_b32 v3, v2, s[8:9]
.LBB60_26:
	s_or_b32 exec_lo, exec_lo, s0
	v_dual_mov_b32 v161, 0 :: v_dual_mov_b32 v162, 0
	v_dual_mov_b32 v160, 0 :: v_dual_and_b32 v133, 7, v0
	v_dual_mov_b32 v163, 0 :: v_dual_mov_b32 v158, 0
	v_dual_mov_b32 v159, 0 :: v_dual_mov_b32 v156, 0
	;; [unrolled: 1-line block ×13, first 2 shown]
	v_mov_b32_e32 v135, 0
	s_and_saveexec_b32 s1, s2
	s_cbranch_execz .LBB60_90
; %bb.27:
	v_dual_mov_b32 v134, 0 :: v_dual_lshlrev_b32 v1, 2, v0
	v_dual_mov_b32 v135, 0 :: v_dual_lshlrev_b32 v2, 4, v133
	v_lshl_add_u32 v23, v128, 5, s30
	s_delay_alu instid0(VALU_DEP_3) | instskip(SKIP_4) | instid1(VALU_DEP_2)
	v_dual_mov_b32 v136, 0 :: v_dual_and_b32 v3, 0x7c, v1
	v_dual_mov_b32 v138, 0 :: v_dual_and_b32 v1, 28, v1
	s_ashr_i32 s29, s28, 31
	v_lshl_or_b32 v26, v128, 7, v2
	s_lshl_b64 s[2:3], s[28:29], 2
	v_add3_u32 v164, v23, v1, 3
	v_lshlrev_b64 v[1:2], 2, v[125:126]
	s_add_u32 s2, s26, s2
	s_addc_u32 s3, s27, s3
	s_lshl_b64 s[8:9], s[24:25], 2
	s_add_i32 s7, s23, -1
	v_or_b32_e32 v4, 0x400, v3
	v_or_b32_e32 v5, 0x480, v3
	;; [unrolled: 1-line block ×22, first 2 shown]
	s_add_u32 s0, s20, s8
	s_addc_u32 s8, s21, s9
	v_add_co_u32 v126, vcc_lo, s0, v1
	v_dual_mov_b32 v140, 0 :: v_dual_add_nc_u32 v165, 0x200, v26
	v_add_co_ci_u32_e32 v127, vcc_lo, s8, v2, vcc_lo
	v_dual_mov_b32 v137, 0 :: v_dual_lshlrev_b32 v166, 2, v3
	v_dual_mov_b32 v142, 0 :: v_dual_lshlrev_b32 v167, 2, v4
	;; [unrolled: 1-line block ×23, first 2 shown]
	v_mov_b32_e32 v163, 0
	v_mov_b32_e32 v161, 0
	s_mov_b32 s8, s5
	s_mov_b32 s5, 0
	s_branch .LBB60_29
.LBB60_28:                              ;   in Loop: Header=BB60_29 Depth=1
	s_or_b32 exec_lo, exec_lo, s0
	s_waitcnt vmcnt(17) lgkmcnt(0)
	v_mul_f32_e32 v54, v2, v54
	s_waitcnt vmcnt(9)
	v_mul_f32_e32 v86, v2, v86
	v_mul_f32_e32 v46, v2, v46
	;; [unrolled: 1-line block ×3, first 2 shown]
	s_waitcnt vmcnt(5)
	v_mul_f32_e32 v106, v2, v106
	v_fmac_f32_e32 v54, v1, v53
	v_fmac_f32_e32 v86, v1, v85
	v_mul_f32_e32 v78, v2, v78
	v_fmac_f32_e32 v46, v1, v45
	v_mul_f32_e32 v22, v2, v22
	v_fmac_f32_e32 v54, v3, v55
	v_fmac_f32_e32 v6, v1, v5
	s_waitcnt vmcnt(3)
	v_mul_f32_e32 v114, v2, v114
	v_fmac_f32_e32 v86, v3, v87
	v_fmac_f32_e32 v78, v1, v77
	;; [unrolled: 1-line block ×5, first 2 shown]
	v_mul_f32_e32 v38, v2, v38
	v_fmac_f32_e32 v22, v1, v21
	v_fmac_f32_e32 v6, v3, v7
	v_add_f32_e32 v151, v151, v54
	s_waitcnt vmcnt(1)
	v_dual_mul_f32 v122, v2, v122 :: v_dual_add_nc_u32 v125, 4, v125
	v_fmac_f32_e32 v86, v4, v88
	v_fmac_f32_e32 v114, v1, v113
	v_mul_f32_e32 v70, v2, v70
	v_fmac_f32_e32 v78, v3, v79
	s_delay_alu instid0(VALU_DEP_4) | instskip(SKIP_2) | instid1(VALU_DEP_3)
	v_dual_fmac_f32 v46, v4, v48 :: v_dual_add_f32 v143, v143, v86
	v_fmac_f32_e32 v106, v3, v107
	v_fmac_f32_e32 v38, v1, v37
	v_dual_fmac_f32 v22, v3, v23 :: v_dual_add_f32 v153, v153, v46
	v_fmac_f32_e32 v6, v4, v8
	s_delay_alu instid0(VALU_DEP_4)
	v_fmac_f32_e32 v106, v4, v108
	v_mul_f32_e32 v94, v2, v94
	v_mul_f32_e32 v62, v2, v62
	v_fmac_f32_e32 v70, v1, v69
	v_add_f32_e32 v161, v161, v6
	v_dual_fmac_f32 v122, v1, v121 :: v_dual_add_f32 v139, v139, v106
	v_fmac_f32_e32 v78, v4, v80
	v_fmac_f32_e32 v114, v3, v115
	v_fmac_f32_e32 v38, v3, v39
	v_fmac_f32_e32 v22, v4, v24
	v_dual_mul_f32 v118, v2, v118 :: v_dual_add_nc_u32 v165, 0x200, v165
	v_mul_f32_e32 v110, v2, v110
	v_mul_f32_e32 v102, v2, v102
	;; [unrolled: 1-line block ×4, first 2 shown]
	v_fmac_f32_e32 v94, v1, v93
	v_mul_f32_e32 v74, v2, v74
	v_mul_f32_e32 v66, v2, v66
	v_fmac_f32_e32 v62, v1, v61
	v_dual_fmac_f32 v70, v3, v71 :: v_dual_add_f32 v145, v145, v78
	v_dual_fmac_f32 v114, v4, v116 :: v_dual_add_f32 v159, v159, v22
	v_fmac_f32_e32 v122, v3, v123
	v_mul_f32_e32 v58, v2, v58
	v_mul_f32_e32 v50, v2, v50
	s_delay_alu instid0(VALU_DEP_4)
	v_add_f32_e32 v137, v137, v114
	v_mul_f32_e32 v42, v2, v42
	v_mul_f32_e32 v34, v2, v34
	;; [unrolled: 1-line block ×4, first 2 shown]
	v_fmac_f32_e32 v38, v4, v40
	v_mul_f32_e32 v18, v2, v18
	v_mul_f32_e32 v14, v2, v14
	;; [unrolled: 1-line block ×3, first 2 shown]
	s_waitcnt vmcnt(0)
	v_mul_f32_e32 v2, v2, v98
	v_dual_fmac_f32 v122, v4, v124 :: v_dual_add_f32 v155, v155, v38
	v_fmac_f32_e32 v118, v1, v117
	v_fmac_f32_e32 v102, v1, v101
	s_delay_alu instid0(VALU_DEP_3)
	v_dual_fmac_f32 v90, v1, v89 :: v_dual_add_f32 v135, v135, v122
	v_fmac_f32_e32 v82, v1, v81
	v_fmac_f32_e32 v94, v3, v95
	;; [unrolled: 1-line block ×9, first 2 shown]
	s_delay_alu instid0(VALU_DEP_4)
	v_dual_fmac_f32 v42, v1, v41 :: v_dual_add_f32 v147, v147, v70
	v_fmac_f32_e32 v34, v1, v33
	v_fmac_f32_e32 v30, v1, v29
	;; [unrolled: 1-line block ×14, first 2 shown]
	s_delay_alu instid0(VALU_DEP_4) | instskip(SKIP_2) | instid1(VALU_DEP_3)
	v_dual_fmac_f32 v62, v4, v64 :: v_dual_add_f32 v141, v141, v94
	v_fmac_f32_e32 v110, v3, v111
	v_fmac_f32_e32 v58, v3, v59
	v_dual_fmac_f32 v50, v3, v51 :: v_dual_add_f32 v149, v149, v62
	v_fmac_f32_e32 v42, v3, v43
	v_fmac_f32_e32 v34, v3, v35
	;; [unrolled: 1-line block ×21, first 2 shown]
	s_delay_alu instid0(VALU_DEP_4)
	v_dual_fmac_f32 v14, v4, v16 :: v_dual_add_f32 v157, v157, v30
	v_fmac_f32_e32 v10, v4, v12
	v_fmac_f32_e32 v110, v4, v112
	;; [unrolled: 1-line block ×3, first 2 shown]
	v_cmp_le_i32_e32 vcc_lo, s17, v125
	v_add_co_u32 v126, s0, v126, 16
	v_add_f32_e32 v163, v163, v10
	v_add_f32_e32 v136, v136, v118
	v_add_f32_e32 v138, v138, v110
	v_add_f32_e32 v140, v140, v102
	v_add_f32_e32 v142, v142, v90
	v_add_f32_e32 v144, v144, v82
	v_add_f32_e32 v146, v146, v74
	v_add_f32_e32 v148, v148, v66
	v_add_f32_e32 v150, v150, v58
	v_add_f32_e32 v152, v152, v50
	v_add_f32_e32 v154, v154, v42
	v_add_f32_e32 v156, v156, v34
	v_add_f32_e32 v158, v158, v26
	v_add_f32_e32 v160, v160, v18
	v_add_f32_e32 v162, v162, v14
	v_add_f32_e32 v134, v134, v2
	v_add_nc_u32_e32 v164, 0x80, v164
	v_add_co_ci_u32_e64 v127, s0, 0, v127, s0
	s_or_b32 s5, vcc_lo, s5
	s_delay_alu instid0(SALU_CYCLE_1)
	s_and_not1_b32 exec_lo, exec_lo, s5
	s_cbranch_execz .LBB60_89
.LBB60_29:                              ; =>This Inner Loop Header: Depth=1
	global_load_b32 v3, v[126:127], off
	v_add_nc_u32_e32 v189, -3, v164
	v_add_nc_u32_e32 v191, -2, v164
	;; [unrolled: 1-line block ×3, first 2 shown]
	s_waitcnt vmcnt(0)
	v_mad_i64_i32 v[1:2], null, v3, s8, 0
	s_delay_alu instid0(VALU_DEP_1) | instskip(NEXT) | instid1(VALU_DEP_1)
	v_lshlrev_b64 v[1:2], 2, v[1:2]
	v_add_co_u32 v97, vcc_lo, s2, v1
	s_delay_alu instid0(VALU_DEP_2)
	v_add_co_ci_u32_e32 v98, vcc_lo, s3, v2, vcc_lo
	ds_load_b128 v[1:4], v165
	v_add_co_u32 v33, vcc_lo, v97, v166
	v_add_co_ci_u32_e32 v34, vcc_lo, 0, v98, vcc_lo
	v_cmp_eq_u32_e32 vcc_lo, s7, v125
	global_load_b128 v[5:8], v[33:34], off
	s_and_saveexec_b32 s9, vcc_lo
	s_cbranch_execnz .LBB60_82
; %bb.30:                               ;   in Loop: Header=BB60_29 Depth=1
	s_or_b32 exec_lo, exec_lo, s9
	global_load_b128 v[9:12], v[33:34], off offset:512
	s_and_saveexec_b32 s9, vcc_lo
	s_cbranch_execnz .LBB60_83
.LBB60_31:                              ;   in Loop: Header=BB60_29 Depth=1
	s_or_b32 exec_lo, exec_lo, s9
	global_load_b128 v[13:16], v[33:34], off offset:1024
	s_and_saveexec_b32 s9, vcc_lo
	s_cbranch_execnz .LBB60_84
.LBB60_32:                              ;   in Loop: Header=BB60_29 Depth=1
	s_or_b32 exec_lo, exec_lo, s9
	global_load_b128 v[17:20], v[33:34], off offset:1536
	s_and_saveexec_b32 s9, vcc_lo
	s_cbranch_execnz .LBB60_85
.LBB60_33:                              ;   in Loop: Header=BB60_29 Depth=1
	s_or_b32 exec_lo, exec_lo, s9
	global_load_b128 v[21:24], v[33:34], off offset:2048
	s_and_saveexec_b32 s9, vcc_lo
	s_cbranch_execnz .LBB60_86
.LBB60_34:                              ;   in Loop: Header=BB60_29 Depth=1
	s_or_b32 exec_lo, exec_lo, s9
	global_load_b128 v[25:28], v[33:34], off offset:2560
	s_and_saveexec_b32 s9, vcc_lo
	s_cbranch_execnz .LBB60_87
.LBB60_35:                              ;   in Loop: Header=BB60_29 Depth=1
	s_or_b32 exec_lo, exec_lo, s9
	global_load_b128 v[29:32], v[33:34], off offset:3072
	s_and_saveexec_b32 s9, vcc_lo
	s_cbranch_execnz .LBB60_88
.LBB60_36:                              ;   in Loop: Header=BB60_29 Depth=1
	s_or_b32 exec_lo, exec_lo, s9
	global_load_b128 v[33:36], v[33:34], off offset:3584
	s_and_saveexec_b32 s9, vcc_lo
	s_cbranch_execz .LBB60_38
.LBB60_37:                              ;   in Loop: Header=BB60_29 Depth=1
	v_cmp_gt_i32_e64 s0, s15, v189
	s_waitcnt vmcnt(0)
	s_delay_alu instid0(VALU_DEP_1) | instskip(SKIP_1) | instid1(VALU_DEP_1)
	v_cndmask_b32_e64 v33, 0, v33, s0
	v_cmp_gt_i32_e64 s0, s15, v191
	v_cndmask_b32_e64 v34, 0, v34, s0
	v_cmp_gt_i32_e64 s0, s15, v190
	s_delay_alu instid0(VALU_DEP_1) | instskip(SKIP_1) | instid1(VALU_DEP_1)
	v_cndmask_b32_e64 v35, 0, v35, s0
	v_cmp_gt_i32_e64 s0, s15, v164
	v_cndmask_b32_e64 v36, 0, v36, s0
.LBB60_38:                              ;   in Loop: Header=BB60_29 Depth=1
	s_or_b32 exec_lo, exec_lo, s9
	v_add_co_u32 v37, s0, v97, v167
	s_delay_alu instid0(VALU_DEP_1)
	v_add_co_ci_u32_e64 v38, s0, 0, v98, s0
	global_load_b128 v[37:40], v[37:38], off
	s_and_saveexec_b32 s9, vcc_lo
	s_cbranch_execz .LBB60_40
; %bb.39:                               ;   in Loop: Header=BB60_29 Depth=1
	v_cmp_gt_i32_e64 s0, s15, v189
	s_waitcnt vmcnt(0)
	s_delay_alu instid0(VALU_DEP_1) | instskip(SKIP_1) | instid1(VALU_DEP_1)
	v_cndmask_b32_e64 v37, 0, v37, s0
	v_cmp_gt_i32_e64 s0, s15, v191
	v_cndmask_b32_e64 v38, 0, v38, s0
	v_cmp_gt_i32_e64 s0, s15, v190
	s_delay_alu instid0(VALU_DEP_1) | instskip(SKIP_1) | instid1(VALU_DEP_1)
	v_cndmask_b32_e64 v39, 0, v39, s0
	v_cmp_gt_i32_e64 s0, s15, v164
	v_cndmask_b32_e64 v40, 0, v40, s0
.LBB60_40:                              ;   in Loop: Header=BB60_29 Depth=1
	s_or_b32 exec_lo, exec_lo, s9
	v_add_co_u32 v41, s0, v97, v168
	s_delay_alu instid0(VALU_DEP_1)
	v_add_co_ci_u32_e64 v42, s0, 0, v98, s0
	global_load_b128 v[41:44], v[41:42], off
	s_and_saveexec_b32 s9, vcc_lo
	s_cbranch_execz .LBB60_42
; %bb.41:                               ;   in Loop: Header=BB60_29 Depth=1
	v_cmp_gt_i32_e64 s0, s15, v189
	s_waitcnt vmcnt(0)
	s_delay_alu instid0(VALU_DEP_1) | instskip(SKIP_1) | instid1(VALU_DEP_1)
	v_cndmask_b32_e64 v41, 0, v41, s0
	v_cmp_gt_i32_e64 s0, s15, v191
	v_cndmask_b32_e64 v42, 0, v42, s0
	v_cmp_gt_i32_e64 s0, s15, v190
	s_delay_alu instid0(VALU_DEP_1) | instskip(SKIP_1) | instid1(VALU_DEP_1)
	v_cndmask_b32_e64 v43, 0, v43, s0
	v_cmp_gt_i32_e64 s0, s15, v164
	v_cndmask_b32_e64 v44, 0, v44, s0
.LBB60_42:                              ;   in Loop: Header=BB60_29 Depth=1
	;; [unrolled: 20-line block ×21, first 2 shown]
	s_or_b32 exec_lo, exec_lo, s9
	v_add_co_u32 v97, s0, v97, v188
	s_delay_alu instid0(VALU_DEP_1)
	v_add_co_ci_u32_e64 v98, s0, 0, v98, s0
	global_load_b128 v[97:100], v[97:98], off
	s_and_saveexec_b32 s0, vcc_lo
	s_cbranch_execz .LBB60_28
; %bb.81:                               ;   in Loop: Header=BB60_29 Depth=1
	v_cmp_gt_i32_e32 vcc_lo, s15, v189
	s_waitcnt vmcnt(0)
	v_cndmask_b32_e32 v97, 0, v97, vcc_lo
	v_cmp_gt_i32_e32 vcc_lo, s15, v191
	v_cndmask_b32_e32 v98, 0, v98, vcc_lo
	v_cmp_gt_i32_e32 vcc_lo, s15, v190
	;; [unrolled: 2-line block ×3, first 2 shown]
	v_cndmask_b32_e32 v100, 0, v100, vcc_lo
	s_branch .LBB60_28
.LBB60_82:                              ;   in Loop: Header=BB60_29 Depth=1
	v_cmp_gt_i32_e64 s0, s15, v189
	s_waitcnt vmcnt(0)
	s_delay_alu instid0(VALU_DEP_1) | instskip(SKIP_1) | instid1(VALU_DEP_1)
	v_cndmask_b32_e64 v5, 0, v5, s0
	v_cmp_gt_i32_e64 s0, s15, v191
	v_cndmask_b32_e64 v6, 0, v6, s0
	v_cmp_gt_i32_e64 s0, s15, v190
	s_delay_alu instid0(VALU_DEP_1) | instskip(SKIP_1) | instid1(VALU_DEP_1)
	v_cndmask_b32_e64 v7, 0, v7, s0
	v_cmp_gt_i32_e64 s0, s15, v164
	v_cndmask_b32_e64 v8, 0, v8, s0
	s_or_b32 exec_lo, exec_lo, s9
	global_load_b128 v[9:12], v[33:34], off offset:512
	s_and_saveexec_b32 s9, vcc_lo
	s_cbranch_execz .LBB60_31
.LBB60_83:                              ;   in Loop: Header=BB60_29 Depth=1
	v_cmp_gt_i32_e64 s0, s15, v189
	s_waitcnt vmcnt(0)
	s_delay_alu instid0(VALU_DEP_1) | instskip(SKIP_1) | instid1(VALU_DEP_1)
	v_cndmask_b32_e64 v9, 0, v9, s0
	v_cmp_gt_i32_e64 s0, s15, v191
	v_cndmask_b32_e64 v10, 0, v10, s0
	v_cmp_gt_i32_e64 s0, s15, v190
	s_delay_alu instid0(VALU_DEP_1) | instskip(SKIP_1) | instid1(VALU_DEP_1)
	v_cndmask_b32_e64 v11, 0, v11, s0
	v_cmp_gt_i32_e64 s0, s15, v164
	v_cndmask_b32_e64 v12, 0, v12, s0
	s_or_b32 exec_lo, exec_lo, s9
	global_load_b128 v[13:16], v[33:34], off offset:1024
	s_and_saveexec_b32 s9, vcc_lo
	s_cbranch_execz .LBB60_32
.LBB60_84:                              ;   in Loop: Header=BB60_29 Depth=1
	v_cmp_gt_i32_e64 s0, s15, v189
	s_waitcnt vmcnt(0)
	s_delay_alu instid0(VALU_DEP_1) | instskip(SKIP_1) | instid1(VALU_DEP_1)
	v_cndmask_b32_e64 v13, 0, v13, s0
	v_cmp_gt_i32_e64 s0, s15, v191
	v_cndmask_b32_e64 v14, 0, v14, s0
	v_cmp_gt_i32_e64 s0, s15, v190
	s_delay_alu instid0(VALU_DEP_1) | instskip(SKIP_1) | instid1(VALU_DEP_1)
	v_cndmask_b32_e64 v15, 0, v15, s0
	v_cmp_gt_i32_e64 s0, s15, v164
	v_cndmask_b32_e64 v16, 0, v16, s0
	s_or_b32 exec_lo, exec_lo, s9
	global_load_b128 v[17:20], v[33:34], off offset:1536
	s_and_saveexec_b32 s9, vcc_lo
	s_cbranch_execz .LBB60_33
.LBB60_85:                              ;   in Loop: Header=BB60_29 Depth=1
	v_cmp_gt_i32_e64 s0, s15, v189
	s_waitcnt vmcnt(0)
	s_delay_alu instid0(VALU_DEP_1) | instskip(SKIP_1) | instid1(VALU_DEP_1)
	v_cndmask_b32_e64 v17, 0, v17, s0
	v_cmp_gt_i32_e64 s0, s15, v191
	v_cndmask_b32_e64 v18, 0, v18, s0
	v_cmp_gt_i32_e64 s0, s15, v190
	s_delay_alu instid0(VALU_DEP_1) | instskip(SKIP_1) | instid1(VALU_DEP_1)
	v_cndmask_b32_e64 v19, 0, v19, s0
	v_cmp_gt_i32_e64 s0, s15, v164
	v_cndmask_b32_e64 v20, 0, v20, s0
	s_or_b32 exec_lo, exec_lo, s9
	global_load_b128 v[21:24], v[33:34], off offset:2048
	s_and_saveexec_b32 s9, vcc_lo
	s_cbranch_execz .LBB60_34
.LBB60_86:                              ;   in Loop: Header=BB60_29 Depth=1
	v_cmp_gt_i32_e64 s0, s15, v189
	s_waitcnt vmcnt(0)
	s_delay_alu instid0(VALU_DEP_1) | instskip(SKIP_1) | instid1(VALU_DEP_1)
	v_cndmask_b32_e64 v21, 0, v21, s0
	v_cmp_gt_i32_e64 s0, s15, v191
	v_cndmask_b32_e64 v22, 0, v22, s0
	v_cmp_gt_i32_e64 s0, s15, v190
	s_delay_alu instid0(VALU_DEP_1) | instskip(SKIP_1) | instid1(VALU_DEP_1)
	v_cndmask_b32_e64 v23, 0, v23, s0
	v_cmp_gt_i32_e64 s0, s15, v164
	v_cndmask_b32_e64 v24, 0, v24, s0
	s_or_b32 exec_lo, exec_lo, s9
	global_load_b128 v[25:28], v[33:34], off offset:2560
	s_and_saveexec_b32 s9, vcc_lo
	s_cbranch_execz .LBB60_35
.LBB60_87:                              ;   in Loop: Header=BB60_29 Depth=1
	v_cmp_gt_i32_e64 s0, s15, v189
	s_waitcnt vmcnt(0)
	s_delay_alu instid0(VALU_DEP_1) | instskip(SKIP_1) | instid1(VALU_DEP_1)
	v_cndmask_b32_e64 v25, 0, v25, s0
	v_cmp_gt_i32_e64 s0, s15, v191
	v_cndmask_b32_e64 v26, 0, v26, s0
	v_cmp_gt_i32_e64 s0, s15, v190
	s_delay_alu instid0(VALU_DEP_1) | instskip(SKIP_1) | instid1(VALU_DEP_1)
	v_cndmask_b32_e64 v27, 0, v27, s0
	v_cmp_gt_i32_e64 s0, s15, v164
	v_cndmask_b32_e64 v28, 0, v28, s0
	s_or_b32 exec_lo, exec_lo, s9
	global_load_b128 v[29:32], v[33:34], off offset:3072
	s_and_saveexec_b32 s9, vcc_lo
	s_cbranch_execz .LBB60_36
.LBB60_88:                              ;   in Loop: Header=BB60_29 Depth=1
	v_cmp_gt_i32_e64 s0, s15, v189
	s_waitcnt vmcnt(0)
	s_delay_alu instid0(VALU_DEP_1) | instskip(SKIP_1) | instid1(VALU_DEP_1)
	v_cndmask_b32_e64 v29, 0, v29, s0
	v_cmp_gt_i32_e64 s0, s15, v191
	v_cndmask_b32_e64 v30, 0, v30, s0
	v_cmp_gt_i32_e64 s0, s15, v190
	s_delay_alu instid0(VALU_DEP_1) | instskip(SKIP_1) | instid1(VALU_DEP_1)
	v_cndmask_b32_e64 v31, 0, v31, s0
	v_cmp_gt_i32_e64 s0, s15, v164
	v_cndmask_b32_e64 v32, 0, v32, s0
	s_or_b32 exec_lo, exec_lo, s9
	global_load_b128 v[33:36], v[33:34], off offset:3584
	s_and_saveexec_b32 s9, vcc_lo
	s_cbranch_execnz .LBB60_37
	s_branch .LBB60_38
.LBB60_89:
	s_or_b32 exec_lo, exec_lo, s5
.LBB60_90:
	s_delay_alu instid0(SALU_CYCLE_1)
	s_or_b32 exec_lo, exec_lo, s1
	ds_bpermute_b32 v1, v132, v161
	ds_bpermute_b32 v3, v132, v162
	;; [unrolled: 1-line block ×20, first 2 shown]
	s_waitcnt lgkmcnt(19)
	v_add_f32_e32 v1, v161, v1
	s_waitcnt lgkmcnt(18)
	v_add_f32_e32 v3, v162, v3
	s_waitcnt lgkmcnt(16)
	v_dual_add_f32 v7, v157, v7 :: v_dual_add_f32 v2, v163, v2
	s_waitcnt lgkmcnt(14)
	v_dual_add_f32 v4, v160, v4 :: v_dual_add_f32 v5, v159, v5
	s_waitcnt lgkmcnt(13)
	v_add_f32_e32 v6, v158, v6
	s_waitcnt lgkmcnt(12)
	v_add_f32_e32 v8, v156, v8
	ds_bpermute_b32 v14, v131, v1
	ds_bpermute_b32 v16, v131, v3
	ds_bpermute_b32 v20, v131, v7
	ds_bpermute_b32 v15, v131, v2
	ds_bpermute_b32 v17, v131, v4
	ds_bpermute_b32 v18, v131, v5
	ds_bpermute_b32 v19, v131, v6
	ds_bpermute_b32 v21, v131, v8
	s_waitcnt lgkmcnt(18)
	v_dual_add_f32 v9, v155, v9 :: v_dual_add_f32 v10, v154, v10
	s_waitcnt lgkmcnt(16)
	v_dual_add_f32 v11, v153, v11 :: v_dual_add_f32 v12, v152, v12
	s_waitcnt lgkmcnt(15)
	v_add_f32_e32 v13, v151, v13
	ds_bpermute_b32 v23, v131, v9
	ds_bpermute_b32 v24, v131, v10
	;; [unrolled: 1-line block ×4, first 2 shown]
	s_waitcnt lgkmcnt(18)
	v_add_f32_e32 v22, v150, v22
	s_movk_i32 s0, 0x1e0
	s_waitcnt lgkmcnt(0)
	s_waitcnt_vscnt null, 0x0
	v_add_f32_e32 v1, v1, v14
	v_add_f32_e32 v3, v3, v16
	v_dual_add_f32 v7, v7, v20 :: v_dual_add_f32 v2, v2, v15
	v_dual_add_f32 v4, v4, v17 :: v_dual_add_f32 v5, v5, v18
	v_add_f32_e32 v6, v6, v19
	v_add_f32_e32 v8, v8, v21
	ds_bpermute_b32 v14, v130, v1
	ds_bpermute_b32 v16, v130, v3
	;; [unrolled: 1-line block ×5, first 2 shown]
	v_dual_add_f32 v9, v9, v23 :: v_dual_add_f32 v10, v10, v24
	ds_bpermute_b32 v21, v130, v8
	ds_bpermute_b32 v23, v131, v11
	ds_bpermute_b32 v24, v131, v12
	ds_bpermute_b32 v17, v130, v4
	ds_bpermute_b32 v19, v130, v6
	v_add_f32_e32 v25, v149, v25
	ds_bpermute_b32 v27, v130, v9
	ds_bpermute_b32 v28, v130, v10
	;; [unrolled: 1-line block ×4, first 2 shown]
	v_dual_add_f32 v36, v136, v36 :: v_dual_add_f32 v37, v135, v37
	s_waitcnt lgkmcnt(0)
	s_barrier
	v_add_f32_e32 v1, v1, v14
	v_add_f32_e32 v3, v3, v16
	ds_bpermute_b32 v14, v132, v145
	v_dual_add_f32 v7, v7, v20 :: v_dual_add_f32 v16, v148, v26
	v_add_f32_e32 v20, v147, v29
	v_dual_add_f32 v2, v2, v15 :: v_dual_add_f32 v5, v5, v18
	v_add_f32_e32 v8, v8, v21
	ds_bpermute_b32 v15, v131, v25
	v_dual_add_f32 v11, v11, v23 :: v_dual_add_f32 v12, v12, v24
	ds_bpermute_b32 v18, v131, v16
	v_add_f32_e32 v21, v146, v30
	ds_bpermute_b32 v23, v132, v144
	ds_bpermute_b32 v24, v131, v20
	v_dual_add_f32 v9, v9, v27 :: v_dual_add_f32 v10, v10, v28
	ds_bpermute_b32 v26, v131, v21
	ds_bpermute_b32 v27, v132, v142
	;; [unrolled: 1-line block ×4, first 2 shown]
	s_waitcnt lgkmcnt(8)
	v_add_f32_e32 v14, v145, v14
	v_dual_add_f32 v13, v13, v31 :: v_dual_add_f32 v22, v22, v32
	ds_bpermute_b32 v45, v131, v36
	ds_bpermute_b32 v46, v131, v37
	v_add_f32_e32 v6, v6, v19
	ds_bpermute_b32 v19, v130, v12
	s_waitcnt lgkmcnt(10)
	v_add_f32_e32 v15, v25, v15
	ds_bpermute_b32 v25, v132, v143
	ds_bpermute_b32 v32, v130, v22
	s_waitcnt lgkmcnt(11)
	v_add_f32_e32 v16, v16, v18
	ds_bpermute_b32 v18, v132, v138
	s_waitcnt lgkmcnt(11)
	v_add_f32_e32 v23, v144, v23
	;; [unrolled: 3-line block ×4, first 2 shown]
	ds_bpermute_b32 v26, v131, v23
	s_waitcnt lgkmcnt(10)
	v_dual_add_f32 v27, v142, v27 :: v_dual_add_f32 v28, v141, v28
	v_dual_add_f32 v34, v139, v34 :: v_dual_add_f32 v35, v137, v35
	ds_bpermute_b32 v31, v130, v13
	ds_bpermute_b32 v33, v130, v15
	;; [unrolled: 1-line block ×5, first 2 shown]
	s_waitcnt lgkmcnt(12)
	v_add_f32_e32 v37, v37, v46
	s_waitcnt lgkmcnt(10)
	v_add_f32_e32 v25, v143, v25
	v_add_f32_e32 v4, v4, v17
	ds_bpermute_b32 v17, v130, v11
	s_waitcnt lgkmcnt(9)
	v_add_f32_e32 v18, v138, v18
	ds_bpermute_b32 v38, v130, v16
	s_waitcnt lgkmcnt(9)
	v_dual_add_f32 v29, v14, v29 :: v_dual_add_f32 v14, v140, v30
	s_waitcnt lgkmcnt(8)
	v_add_f32_e32 v24, v134, v24
	ds_bpermute_b32 v30, v131, v25
	s_waitcnt lgkmcnt(8)
	v_add_f32_e32 v23, v23, v26
	ds_bpermute_b32 v39, v131, v27
	ds_bpermute_b32 v41, v131, v14
	;; [unrolled: 1-line block ×4, first 2 shown]
	v_add_f32_e32 v36, v36, v45
	ds_bpermute_b32 v47, v130, v20
	s_waitcnt lgkmcnt(10)
	v_add_f32_e32 v28, v28, v40
	s_waitcnt lgkmcnt(8)
	v_dual_add_f32 v34, v34, v42 :: v_dual_add_f32 v35, v35, v44
	v_add_f32_e32 v12, v12, v19
	ds_bpermute_b32 v48, v130, v21
	ds_bpermute_b32 v49, v130, v29
	;; [unrolled: 1-line block ×6, first 2 shown]
	v_add_f32_e32 v15, v15, v33
	v_and_b32_e32 v33, 0x3c7, v0
	s_waitcnt lgkmcnt(11)
	v_add_f32_e32 v25, v25, v30
	ds_bpermute_b32 v30, v130, v23
	s_waitcnt lgkmcnt(11)
	v_add_f32_e32 v27, v27, v39
	s_waitcnt lgkmcnt(10)
	v_add_f32_e32 v39, v14, v41
	s_waitcnt lgkmcnt(8)
	v_dual_add_f32 v43, v18, v43 :: v_dual_add_f32 v52, v24, v26
	ds_bpermute_b32 v40, v130, v25
	ds_bpermute_b32 v41, v130, v27
	;; [unrolled: 1-line block ×5, first 2 shown]
	v_add_f32_e32 v14, v22, v32
	ds_bpermute_b32 v53, v130, v37
	v_add_f32_e32 v13, v13, v31
	v_lshrrev_b32_e32 v31, 3, v129
	v_dual_add_f32 v11, v11, v17 :: v_dual_add_f32 v16, v16, v38
	s_waitcnt lgkmcnt(12)
	v_dual_add_f32 v17, v20, v47 :: v_dual_add_f32 v18, v21, v48
	s_waitcnt lgkmcnt(11)
	v_add_f32_e32 v19, v29, v49
	v_mad_u32_u24 v32, v128, s0, 0x200
	s_waitcnt lgkmcnt(6)
	v_add_f32_e32 v20, v23, v30
	v_add_f32_e32 v23, v28, v50
	;; [unrolled: 1-line block ×3, first 2 shown]
	v_cmp_eq_u32_e32 vcc_lo, 64, v33
	v_lshlrev_b32_e32 v33, 2, v31
	s_waitcnt lgkmcnt(4)
	v_dual_add_f32 v21, v25, v40 :: v_dual_add_f32 v22, v27, v41
	s_waitcnt lgkmcnt(3)
	v_add_f32_e32 v24, v39, v42
	s_waitcnt lgkmcnt(2)
	v_dual_add_f32 v26, v43, v45 :: v_dual_add_f32 v25, v34, v44
	v_add_f32_e32 v27, v35, v46
	s_waitcnt lgkmcnt(0)
	v_dual_add_f32 v29, v37, v53 :: v_dual_add_f32 v30, v52, v54
	buffer_gl0_inv
	s_and_saveexec_b32 s0, vcc_lo
	s_cbranch_execz .LBB60_92
; %bb.91:
	v_add3_u32 v34, v32, v33, 0xfffffc40
	ds_store_2addr_b32 v34, v1, v2 offset1:4
	ds_store_2addr_b32 v34, v3, v4 offset0:8 offset1:12
	ds_store_2addr_b32 v34, v5, v6 offset0:16 offset1:20
	ds_store_2addr_b32 v34, v7, v8 offset0:24 offset1:28
	ds_store_2addr_b32 v34, v9, v10 offset0:32 offset1:36
	ds_store_2addr_b32 v34, v11, v12 offset0:40 offset1:44
	ds_store_2addr_b32 v34, v13, v14 offset0:48 offset1:52
	ds_store_2addr_b32 v34, v15, v16 offset0:56 offset1:60
	ds_store_2addr_b32 v34, v17, v18 offset0:64 offset1:68
	ds_store_2addr_b32 v34, v19, v20 offset0:72 offset1:76
	ds_store_2addr_b32 v34, v21, v22 offset0:80 offset1:84
	ds_store_2addr_b32 v34, v23, v24 offset0:88 offset1:92
	ds_store_2addr_b32 v34, v25, v26 offset0:96 offset1:100
	ds_store_2addr_b32 v34, v27, v28 offset0:104 offset1:108
	ds_store_2addr_b32 v34, v29, v30 offset0:112 offset1:116
.LBB60_92:
	s_or_b32 exec_lo, exec_lo, s0
	v_cmp_eq_u32_e32 vcc_lo, 0, v133
	s_mov_b32 s1, exec_lo
	s_waitcnt lgkmcnt(0)
	s_barrier
	buffer_gl0_inv
	v_cmpx_gt_u32_e32 64, v0
	s_cbranch_execz .LBB60_125
; %bb.93:
	s_and_saveexec_b32 s0, vcc_lo
	s_cbranch_execnz .LBB60_163
; %bb.94:
	s_or_b32 exec_lo, exec_lo, s0
	s_and_saveexec_b32 s0, vcc_lo
	s_cbranch_execnz .LBB60_164
.LBB60_95:
	s_or_b32 exec_lo, exec_lo, s0
	s_and_saveexec_b32 s0, vcc_lo
	s_cbranch_execnz .LBB60_165
.LBB60_96:
	s_or_b32 exec_lo, exec_lo, s0
	s_and_saveexec_b32 s0, vcc_lo
	s_cbranch_execnz .LBB60_166
.LBB60_97:
	s_or_b32 exec_lo, exec_lo, s0
	s_and_saveexec_b32 s0, vcc_lo
	s_cbranch_execnz .LBB60_167
.LBB60_98:
	s_or_b32 exec_lo, exec_lo, s0
	s_and_saveexec_b32 s0, vcc_lo
	s_cbranch_execnz .LBB60_168
.LBB60_99:
	s_or_b32 exec_lo, exec_lo, s0
	s_and_saveexec_b32 s0, vcc_lo
	s_cbranch_execnz .LBB60_169
.LBB60_100:
	s_or_b32 exec_lo, exec_lo, s0
	s_and_saveexec_b32 s0, vcc_lo
	s_cbranch_execnz .LBB60_170
.LBB60_101:
	s_or_b32 exec_lo, exec_lo, s0
	s_and_saveexec_b32 s0, vcc_lo
	s_cbranch_execnz .LBB60_171
.LBB60_102:
	s_or_b32 exec_lo, exec_lo, s0
	s_and_saveexec_b32 s0, vcc_lo
	s_cbranch_execnz .LBB60_172
.LBB60_103:
	s_or_b32 exec_lo, exec_lo, s0
	s_and_saveexec_b32 s0, vcc_lo
	s_cbranch_execnz .LBB60_173
.LBB60_104:
	s_or_b32 exec_lo, exec_lo, s0
	s_and_saveexec_b32 s0, vcc_lo
	s_cbranch_execnz .LBB60_174
.LBB60_105:
	s_or_b32 exec_lo, exec_lo, s0
	s_and_saveexec_b32 s0, vcc_lo
	s_cbranch_execnz .LBB60_175
.LBB60_106:
	s_or_b32 exec_lo, exec_lo, s0
	s_and_saveexec_b32 s0, vcc_lo
	s_cbranch_execnz .LBB60_176
.LBB60_107:
	s_or_b32 exec_lo, exec_lo, s0
	s_and_saveexec_b32 s0, vcc_lo
	s_cbranch_execnz .LBB60_177
.LBB60_108:
	s_or_b32 exec_lo, exec_lo, s0
	s_and_saveexec_b32 s0, vcc_lo
	s_cbranch_execnz .LBB60_178
.LBB60_109:
	s_or_b32 exec_lo, exec_lo, s0
	s_and_saveexec_b32 s0, vcc_lo
	s_cbranch_execnz .LBB60_179
.LBB60_110:
	s_or_b32 exec_lo, exec_lo, s0
	s_and_saveexec_b32 s0, vcc_lo
	s_cbranch_execnz .LBB60_180
.LBB60_111:
	s_or_b32 exec_lo, exec_lo, s0
	s_and_saveexec_b32 s0, vcc_lo
	s_cbranch_execnz .LBB60_181
.LBB60_112:
	s_or_b32 exec_lo, exec_lo, s0
	s_and_saveexec_b32 s0, vcc_lo
	s_cbranch_execnz .LBB60_182
.LBB60_113:
	s_or_b32 exec_lo, exec_lo, s0
	s_and_saveexec_b32 s0, vcc_lo
	s_cbranch_execnz .LBB60_183
.LBB60_114:
	s_or_b32 exec_lo, exec_lo, s0
	s_and_saveexec_b32 s0, vcc_lo
	s_cbranch_execnz .LBB60_184
.LBB60_115:
	s_or_b32 exec_lo, exec_lo, s0
	s_and_saveexec_b32 s0, vcc_lo
	s_cbranch_execnz .LBB60_185
.LBB60_116:
	s_or_b32 exec_lo, exec_lo, s0
	s_and_saveexec_b32 s0, vcc_lo
	s_cbranch_execnz .LBB60_186
.LBB60_117:
	s_or_b32 exec_lo, exec_lo, s0
	s_and_saveexec_b32 s0, vcc_lo
	s_cbranch_execnz .LBB60_187
.LBB60_118:
	s_or_b32 exec_lo, exec_lo, s0
	s_and_saveexec_b32 s0, vcc_lo
	s_cbranch_execnz .LBB60_188
.LBB60_119:
	s_or_b32 exec_lo, exec_lo, s0
	s_and_saveexec_b32 s0, vcc_lo
	s_cbranch_execnz .LBB60_189
.LBB60_120:
	s_or_b32 exec_lo, exec_lo, s0
	s_and_saveexec_b32 s0, vcc_lo
	s_cbranch_execnz .LBB60_190
.LBB60_121:
	s_or_b32 exec_lo, exec_lo, s0
	s_and_saveexec_b32 s0, vcc_lo
	s_cbranch_execnz .LBB60_191
.LBB60_122:
	s_or_b32 exec_lo, exec_lo, s0
	s_and_saveexec_b32 s0, vcc_lo
	s_cbranch_execz .LBB60_124
.LBB60_123:
	v_lshl_add_u32 v34, v31, 2, v32
	ds_load_b32 v34, v34 offset:464
	s_waitcnt lgkmcnt(0)
	v_add_f32_e32 v30, v30, v34
.LBB60_124:
	s_or_b32 exec_lo, exec_lo, s0
.LBB60_125:
	s_delay_alu instid0(SALU_CYCLE_1)
	s_or_b32 exec_lo, exec_lo, s1
	v_and_b32_e32 v34, 0x3e7, v0
	s_mov_b32 s1, exec_lo
	s_barrier
	buffer_gl0_inv
	v_cmpx_eq_u32_e32 32, v34
	s_cbranch_execz .LBB60_127
; %bb.126:
	v_add3_u32 v33, v32, v33, 0xfffffe20
	ds_store_2addr_b32 v33, v1, v2 offset1:4
	ds_store_2addr_b32 v33, v3, v4 offset0:8 offset1:12
	ds_store_2addr_b32 v33, v5, v6 offset0:16 offset1:20
	;; [unrolled: 1-line block ×14, first 2 shown]
.LBB60_127:
	s_or_b32 exec_lo, exec_lo, s1
	s_delay_alu instid0(SALU_CYCLE_1)
	s_mov_b32 s1, exec_lo
	s_waitcnt lgkmcnt(0)
	s_barrier
	buffer_gl0_inv
	v_cmpx_gt_u32_e32 32, v0
	s_cbranch_execz .LBB60_160
; %bb.128:
	v_lshl_add_u32 v31, v31, 2, v32
	s_and_saveexec_b32 s0, vcc_lo
	s_cbranch_execnz .LBB60_192
; %bb.129:
	s_or_b32 exec_lo, exec_lo, s0
	s_and_saveexec_b32 s0, vcc_lo
	s_cbranch_execnz .LBB60_193
.LBB60_130:
	s_or_b32 exec_lo, exec_lo, s0
	s_and_saveexec_b32 s0, vcc_lo
	s_cbranch_execnz .LBB60_194
.LBB60_131:
	s_or_b32 exec_lo, exec_lo, s0
	s_and_saveexec_b32 s0, vcc_lo
	s_cbranch_execnz .LBB60_195
.LBB60_132:
	s_or_b32 exec_lo, exec_lo, s0
	s_and_saveexec_b32 s0, vcc_lo
	s_cbranch_execnz .LBB60_196
.LBB60_133:
	s_or_b32 exec_lo, exec_lo, s0
	s_and_saveexec_b32 s0, vcc_lo
	s_cbranch_execnz .LBB60_197
.LBB60_134:
	s_or_b32 exec_lo, exec_lo, s0
	s_and_saveexec_b32 s0, vcc_lo
	s_cbranch_execnz .LBB60_198
.LBB60_135:
	s_or_b32 exec_lo, exec_lo, s0
	s_and_saveexec_b32 s0, vcc_lo
	s_cbranch_execnz .LBB60_199
.LBB60_136:
	s_or_b32 exec_lo, exec_lo, s0
	s_and_saveexec_b32 s0, vcc_lo
	s_cbranch_execnz .LBB60_200
.LBB60_137:
	s_or_b32 exec_lo, exec_lo, s0
	s_and_saveexec_b32 s0, vcc_lo
	s_cbranch_execnz .LBB60_201
.LBB60_138:
	s_or_b32 exec_lo, exec_lo, s0
	s_and_saveexec_b32 s0, vcc_lo
	s_cbranch_execnz .LBB60_202
.LBB60_139:
	s_or_b32 exec_lo, exec_lo, s0
	s_and_saveexec_b32 s0, vcc_lo
	s_cbranch_execnz .LBB60_203
.LBB60_140:
	s_or_b32 exec_lo, exec_lo, s0
	s_and_saveexec_b32 s0, vcc_lo
	s_cbranch_execnz .LBB60_204
.LBB60_141:
	s_or_b32 exec_lo, exec_lo, s0
	s_and_saveexec_b32 s0, vcc_lo
	s_cbranch_execnz .LBB60_205
.LBB60_142:
	s_or_b32 exec_lo, exec_lo, s0
	s_and_saveexec_b32 s0, vcc_lo
	s_cbranch_execnz .LBB60_206
.LBB60_143:
	s_or_b32 exec_lo, exec_lo, s0
	s_and_saveexec_b32 s0, vcc_lo
	s_cbranch_execnz .LBB60_207
.LBB60_144:
	s_or_b32 exec_lo, exec_lo, s0
	s_and_saveexec_b32 s0, vcc_lo
	s_cbranch_execnz .LBB60_208
.LBB60_145:
	s_or_b32 exec_lo, exec_lo, s0
	s_and_saveexec_b32 s0, vcc_lo
	s_cbranch_execnz .LBB60_209
.LBB60_146:
	s_or_b32 exec_lo, exec_lo, s0
	s_and_saveexec_b32 s0, vcc_lo
	s_cbranch_execnz .LBB60_210
.LBB60_147:
	s_or_b32 exec_lo, exec_lo, s0
	s_and_saveexec_b32 s0, vcc_lo
	s_cbranch_execnz .LBB60_211
.LBB60_148:
	s_or_b32 exec_lo, exec_lo, s0
	s_and_saveexec_b32 s0, vcc_lo
	s_cbranch_execnz .LBB60_212
.LBB60_149:
	s_or_b32 exec_lo, exec_lo, s0
	s_and_saveexec_b32 s0, vcc_lo
	s_cbranch_execnz .LBB60_213
.LBB60_150:
	s_or_b32 exec_lo, exec_lo, s0
	s_and_saveexec_b32 s0, vcc_lo
	s_cbranch_execnz .LBB60_214
.LBB60_151:
	s_or_b32 exec_lo, exec_lo, s0
	s_and_saveexec_b32 s0, vcc_lo
	s_cbranch_execnz .LBB60_215
.LBB60_152:
	s_or_b32 exec_lo, exec_lo, s0
	s_and_saveexec_b32 s0, vcc_lo
	s_cbranch_execnz .LBB60_216
.LBB60_153:
	s_or_b32 exec_lo, exec_lo, s0
	s_and_saveexec_b32 s0, vcc_lo
	s_cbranch_execnz .LBB60_217
.LBB60_154:
	s_or_b32 exec_lo, exec_lo, s0
	s_and_saveexec_b32 s0, vcc_lo
	s_cbranch_execnz .LBB60_218
.LBB60_155:
	s_or_b32 exec_lo, exec_lo, s0
	s_and_saveexec_b32 s0, vcc_lo
	s_cbranch_execnz .LBB60_219
.LBB60_156:
	s_or_b32 exec_lo, exec_lo, s0
	s_and_saveexec_b32 s0, vcc_lo
	s_cbranch_execnz .LBB60_220
.LBB60_157:
	s_or_b32 exec_lo, exec_lo, s0
	s_and_saveexec_b32 s0, vcc_lo
	s_cbranch_execz .LBB60_159
.LBB60_158:
	ds_load_b32 v31, v31 offset:464
	s_waitcnt lgkmcnt(0)
	v_add_f32_e32 v30, v30, v31
.LBB60_159:
	s_or_b32 exec_lo, exec_lo, s0
.LBB60_160:
	s_delay_alu instid0(SALU_CYCLE_1)
	s_or_b32 exec_lo, exec_lo, s1
	s_barrier
	buffer_gl0_inv
	s_mov_b32 s0, exec_lo
	v_cmpx_eq_u32_e32 0, v34
	s_cbranch_execz .LBB60_162
; %bb.161:
	s_mul_i32 s0, s6, 0x78
	s_mul_i32 s2, s4, s16
	s_ashr_i32 s1, s0, 31
	v_lshrrev_b32_e32 v0, 1, v0
	s_lshl_b64 s[0:1], s[0:1], 2
	s_delay_alu instid0(SALU_CYCLE_1) | instskip(SKIP_2) | instid1(SALU_CYCLE_1)
	s_add_u32 s4, s18, s0
	s_addc_u32 s5, s19, s1
	s_ashr_i32 s3, s2, 31
	s_lshl_b64 s[0:1], s[2:3], 2
	s_mul_i32 s2, s12, 0x78
	s_add_u32 s4, s4, s0
	s_addc_u32 s5, s5, s1
	s_ashr_i32 s3, s2, 31
	s_delay_alu instid0(SALU_CYCLE_1) | instskip(NEXT) | instid1(SALU_CYCLE_1)
	s_lshl_b64 s[0:1], s[2:3], 2
	s_add_u32 s0, s4, s0
	s_addc_u32 s1, s5, s1
	s_clause 0x1d
	global_store_b32 v0, v1, s[0:1]
	global_store_b32 v0, v2, s[0:1] offset:16
	global_store_b32 v0, v3, s[0:1] offset:32
	;; [unrolled: 1-line block ×29, first 2 shown]
.LBB60_162:
	s_nop 0
	s_sendmsg sendmsg(MSG_DEALLOC_VGPRS)
	s_endpgm
.LBB60_163:
	v_lshl_add_u32 v34, v31, 2, v32
	ds_load_b32 v34, v34
	s_waitcnt lgkmcnt(0)
	v_add_f32_e32 v1, v1, v34
	s_or_b32 exec_lo, exec_lo, s0
	s_and_saveexec_b32 s0, vcc_lo
	s_cbranch_execz .LBB60_95
.LBB60_164:
	v_lshl_add_u32 v34, v31, 2, v32
	ds_load_b32 v34, v34 offset:16
	s_waitcnt lgkmcnt(0)
	v_add_f32_e32 v2, v2, v34
	s_or_b32 exec_lo, exec_lo, s0
	s_and_saveexec_b32 s0, vcc_lo
	s_cbranch_execz .LBB60_96
.LBB60_165:
	v_lshl_add_u32 v34, v31, 2, v32
	ds_load_b32 v34, v34 offset:32
	s_waitcnt lgkmcnt(0)
	v_add_f32_e32 v3, v3, v34
	s_or_b32 exec_lo, exec_lo, s0
	s_and_saveexec_b32 s0, vcc_lo
	s_cbranch_execz .LBB60_97
.LBB60_166:
	v_lshl_add_u32 v34, v31, 2, v32
	ds_load_b32 v34, v34 offset:48
	s_waitcnt lgkmcnt(0)
	v_add_f32_e32 v4, v4, v34
	s_or_b32 exec_lo, exec_lo, s0
	s_and_saveexec_b32 s0, vcc_lo
	s_cbranch_execz .LBB60_98
.LBB60_167:
	v_lshl_add_u32 v34, v31, 2, v32
	ds_load_b32 v34, v34 offset:64
	s_waitcnt lgkmcnt(0)
	v_add_f32_e32 v5, v5, v34
	s_or_b32 exec_lo, exec_lo, s0
	s_and_saveexec_b32 s0, vcc_lo
	s_cbranch_execz .LBB60_99
.LBB60_168:
	v_lshl_add_u32 v34, v31, 2, v32
	ds_load_b32 v34, v34 offset:80
	s_waitcnt lgkmcnt(0)
	v_add_f32_e32 v6, v6, v34
	s_or_b32 exec_lo, exec_lo, s0
	s_and_saveexec_b32 s0, vcc_lo
	s_cbranch_execz .LBB60_100
.LBB60_169:
	v_lshl_add_u32 v34, v31, 2, v32
	ds_load_b32 v34, v34 offset:96
	s_waitcnt lgkmcnt(0)
	v_add_f32_e32 v7, v7, v34
	s_or_b32 exec_lo, exec_lo, s0
	s_and_saveexec_b32 s0, vcc_lo
	s_cbranch_execz .LBB60_101
.LBB60_170:
	v_lshl_add_u32 v34, v31, 2, v32
	ds_load_b32 v34, v34 offset:112
	s_waitcnt lgkmcnt(0)
	v_add_f32_e32 v8, v8, v34
	s_or_b32 exec_lo, exec_lo, s0
	s_and_saveexec_b32 s0, vcc_lo
	s_cbranch_execz .LBB60_102
.LBB60_171:
	v_lshl_add_u32 v34, v31, 2, v32
	ds_load_b32 v34, v34 offset:128
	s_waitcnt lgkmcnt(0)
	v_add_f32_e32 v9, v9, v34
	s_or_b32 exec_lo, exec_lo, s0
	s_and_saveexec_b32 s0, vcc_lo
	s_cbranch_execz .LBB60_103
.LBB60_172:
	v_lshl_add_u32 v34, v31, 2, v32
	ds_load_b32 v34, v34 offset:144
	s_waitcnt lgkmcnt(0)
	v_add_f32_e32 v10, v10, v34
	s_or_b32 exec_lo, exec_lo, s0
	s_and_saveexec_b32 s0, vcc_lo
	s_cbranch_execz .LBB60_104
.LBB60_173:
	v_lshl_add_u32 v34, v31, 2, v32
	ds_load_b32 v34, v34 offset:160
	s_waitcnt lgkmcnt(0)
	v_add_f32_e32 v11, v11, v34
	s_or_b32 exec_lo, exec_lo, s0
	s_and_saveexec_b32 s0, vcc_lo
	s_cbranch_execz .LBB60_105
.LBB60_174:
	v_lshl_add_u32 v34, v31, 2, v32
	ds_load_b32 v34, v34 offset:176
	s_waitcnt lgkmcnt(0)
	v_add_f32_e32 v12, v12, v34
	s_or_b32 exec_lo, exec_lo, s0
	s_and_saveexec_b32 s0, vcc_lo
	s_cbranch_execz .LBB60_106
.LBB60_175:
	v_lshl_add_u32 v34, v31, 2, v32
	ds_load_b32 v34, v34 offset:192
	s_waitcnt lgkmcnt(0)
	v_add_f32_e32 v13, v13, v34
	s_or_b32 exec_lo, exec_lo, s0
	s_and_saveexec_b32 s0, vcc_lo
	s_cbranch_execz .LBB60_107
.LBB60_176:
	v_lshl_add_u32 v34, v31, 2, v32
	ds_load_b32 v34, v34 offset:208
	s_waitcnt lgkmcnt(0)
	v_add_f32_e32 v14, v14, v34
	s_or_b32 exec_lo, exec_lo, s0
	s_and_saveexec_b32 s0, vcc_lo
	s_cbranch_execz .LBB60_108
.LBB60_177:
	v_lshl_add_u32 v34, v31, 2, v32
	ds_load_b32 v34, v34 offset:224
	s_waitcnt lgkmcnt(0)
	v_add_f32_e32 v15, v15, v34
	s_or_b32 exec_lo, exec_lo, s0
	s_and_saveexec_b32 s0, vcc_lo
	s_cbranch_execz .LBB60_109
.LBB60_178:
	v_lshl_add_u32 v34, v31, 2, v32
	ds_load_b32 v34, v34 offset:240
	s_waitcnt lgkmcnt(0)
	v_add_f32_e32 v16, v16, v34
	s_or_b32 exec_lo, exec_lo, s0
	s_and_saveexec_b32 s0, vcc_lo
	s_cbranch_execz .LBB60_110
.LBB60_179:
	v_lshl_add_u32 v34, v31, 2, v32
	ds_load_b32 v34, v34 offset:256
	s_waitcnt lgkmcnt(0)
	v_add_f32_e32 v17, v17, v34
	s_or_b32 exec_lo, exec_lo, s0
	s_and_saveexec_b32 s0, vcc_lo
	s_cbranch_execz .LBB60_111
.LBB60_180:
	v_lshl_add_u32 v34, v31, 2, v32
	ds_load_b32 v34, v34 offset:272
	s_waitcnt lgkmcnt(0)
	v_add_f32_e32 v18, v18, v34
	s_or_b32 exec_lo, exec_lo, s0
	s_and_saveexec_b32 s0, vcc_lo
	s_cbranch_execz .LBB60_112
.LBB60_181:
	v_lshl_add_u32 v34, v31, 2, v32
	ds_load_b32 v34, v34 offset:288
	s_waitcnt lgkmcnt(0)
	v_add_f32_e32 v19, v19, v34
	s_or_b32 exec_lo, exec_lo, s0
	s_and_saveexec_b32 s0, vcc_lo
	s_cbranch_execz .LBB60_113
.LBB60_182:
	v_lshl_add_u32 v34, v31, 2, v32
	ds_load_b32 v34, v34 offset:304
	s_waitcnt lgkmcnt(0)
	v_add_f32_e32 v20, v20, v34
	s_or_b32 exec_lo, exec_lo, s0
	s_and_saveexec_b32 s0, vcc_lo
	s_cbranch_execz .LBB60_114
.LBB60_183:
	v_lshl_add_u32 v34, v31, 2, v32
	ds_load_b32 v34, v34 offset:320
	s_waitcnt lgkmcnt(0)
	v_add_f32_e32 v21, v21, v34
	s_or_b32 exec_lo, exec_lo, s0
	s_and_saveexec_b32 s0, vcc_lo
	s_cbranch_execz .LBB60_115
.LBB60_184:
	v_lshl_add_u32 v34, v31, 2, v32
	ds_load_b32 v34, v34 offset:336
	s_waitcnt lgkmcnt(0)
	v_add_f32_e32 v22, v22, v34
	s_or_b32 exec_lo, exec_lo, s0
	s_and_saveexec_b32 s0, vcc_lo
	s_cbranch_execz .LBB60_116
.LBB60_185:
	v_lshl_add_u32 v34, v31, 2, v32
	ds_load_b32 v34, v34 offset:352
	s_waitcnt lgkmcnt(0)
	v_add_f32_e32 v23, v23, v34
	s_or_b32 exec_lo, exec_lo, s0
	s_and_saveexec_b32 s0, vcc_lo
	s_cbranch_execz .LBB60_117
.LBB60_186:
	v_lshl_add_u32 v34, v31, 2, v32
	ds_load_b32 v34, v34 offset:368
	s_waitcnt lgkmcnt(0)
	v_add_f32_e32 v24, v24, v34
	s_or_b32 exec_lo, exec_lo, s0
	s_and_saveexec_b32 s0, vcc_lo
	s_cbranch_execz .LBB60_118
.LBB60_187:
	v_lshl_add_u32 v34, v31, 2, v32
	ds_load_b32 v34, v34 offset:384
	s_waitcnt lgkmcnt(0)
	v_add_f32_e32 v25, v25, v34
	s_or_b32 exec_lo, exec_lo, s0
	s_and_saveexec_b32 s0, vcc_lo
	s_cbranch_execz .LBB60_119
.LBB60_188:
	v_lshl_add_u32 v34, v31, 2, v32
	ds_load_b32 v34, v34 offset:400
	s_waitcnt lgkmcnt(0)
	v_add_f32_e32 v26, v26, v34
	s_or_b32 exec_lo, exec_lo, s0
	s_and_saveexec_b32 s0, vcc_lo
	s_cbranch_execz .LBB60_120
.LBB60_189:
	v_lshl_add_u32 v34, v31, 2, v32
	ds_load_b32 v34, v34 offset:416
	s_waitcnt lgkmcnt(0)
	v_add_f32_e32 v27, v27, v34
	s_or_b32 exec_lo, exec_lo, s0
	s_and_saveexec_b32 s0, vcc_lo
	s_cbranch_execz .LBB60_121
.LBB60_190:
	v_lshl_add_u32 v34, v31, 2, v32
	ds_load_b32 v34, v34 offset:432
	s_waitcnt lgkmcnt(0)
	v_add_f32_e32 v28, v28, v34
	s_or_b32 exec_lo, exec_lo, s0
	s_and_saveexec_b32 s0, vcc_lo
	s_cbranch_execz .LBB60_122
.LBB60_191:
	v_lshl_add_u32 v34, v31, 2, v32
	ds_load_b32 v34, v34 offset:448
	s_waitcnt lgkmcnt(0)
	v_add_f32_e32 v29, v29, v34
	s_or_b32 exec_lo, exec_lo, s0
	s_and_saveexec_b32 s0, vcc_lo
	s_cbranch_execnz .LBB60_123
	s_branch .LBB60_124
.LBB60_192:
	ds_load_b32 v32, v31
	s_waitcnt lgkmcnt(0)
	v_add_f32_e32 v1, v1, v32
	s_or_b32 exec_lo, exec_lo, s0
	s_and_saveexec_b32 s0, vcc_lo
	s_cbranch_execz .LBB60_130
.LBB60_193:
	ds_load_b32 v32, v31 offset:16
	s_waitcnt lgkmcnt(0)
	v_add_f32_e32 v2, v2, v32
	s_or_b32 exec_lo, exec_lo, s0
	s_and_saveexec_b32 s0, vcc_lo
	s_cbranch_execz .LBB60_131
.LBB60_194:
	ds_load_b32 v32, v31 offset:32
	s_waitcnt lgkmcnt(0)
	v_add_f32_e32 v3, v3, v32
	s_or_b32 exec_lo, exec_lo, s0
	s_and_saveexec_b32 s0, vcc_lo
	s_cbranch_execz .LBB60_132
.LBB60_195:
	ds_load_b32 v32, v31 offset:48
	s_waitcnt lgkmcnt(0)
	v_add_f32_e32 v4, v4, v32
	s_or_b32 exec_lo, exec_lo, s0
	s_and_saveexec_b32 s0, vcc_lo
	s_cbranch_execz .LBB60_133
.LBB60_196:
	ds_load_b32 v32, v31 offset:64
	s_waitcnt lgkmcnt(0)
	v_add_f32_e32 v5, v5, v32
	s_or_b32 exec_lo, exec_lo, s0
	s_and_saveexec_b32 s0, vcc_lo
	s_cbranch_execz .LBB60_134
.LBB60_197:
	ds_load_b32 v32, v31 offset:80
	s_waitcnt lgkmcnt(0)
	v_add_f32_e32 v6, v6, v32
	s_or_b32 exec_lo, exec_lo, s0
	s_and_saveexec_b32 s0, vcc_lo
	s_cbranch_execz .LBB60_135
.LBB60_198:
	ds_load_b32 v32, v31 offset:96
	s_waitcnt lgkmcnt(0)
	v_add_f32_e32 v7, v7, v32
	s_or_b32 exec_lo, exec_lo, s0
	s_and_saveexec_b32 s0, vcc_lo
	s_cbranch_execz .LBB60_136
.LBB60_199:
	ds_load_b32 v32, v31 offset:112
	s_waitcnt lgkmcnt(0)
	v_add_f32_e32 v8, v8, v32
	s_or_b32 exec_lo, exec_lo, s0
	s_and_saveexec_b32 s0, vcc_lo
	s_cbranch_execz .LBB60_137
.LBB60_200:
	ds_load_b32 v32, v31 offset:128
	s_waitcnt lgkmcnt(0)
	v_add_f32_e32 v9, v9, v32
	s_or_b32 exec_lo, exec_lo, s0
	s_and_saveexec_b32 s0, vcc_lo
	s_cbranch_execz .LBB60_138
.LBB60_201:
	ds_load_b32 v32, v31 offset:144
	s_waitcnt lgkmcnt(0)
	v_add_f32_e32 v10, v10, v32
	s_or_b32 exec_lo, exec_lo, s0
	s_and_saveexec_b32 s0, vcc_lo
	s_cbranch_execz .LBB60_139
.LBB60_202:
	ds_load_b32 v32, v31 offset:160
	s_waitcnt lgkmcnt(0)
	v_add_f32_e32 v11, v11, v32
	s_or_b32 exec_lo, exec_lo, s0
	s_and_saveexec_b32 s0, vcc_lo
	s_cbranch_execz .LBB60_140
.LBB60_203:
	ds_load_b32 v32, v31 offset:176
	s_waitcnt lgkmcnt(0)
	v_add_f32_e32 v12, v12, v32
	s_or_b32 exec_lo, exec_lo, s0
	s_and_saveexec_b32 s0, vcc_lo
	s_cbranch_execz .LBB60_141
.LBB60_204:
	ds_load_b32 v32, v31 offset:192
	s_waitcnt lgkmcnt(0)
	v_add_f32_e32 v13, v13, v32
	s_or_b32 exec_lo, exec_lo, s0
	s_and_saveexec_b32 s0, vcc_lo
	s_cbranch_execz .LBB60_142
.LBB60_205:
	ds_load_b32 v32, v31 offset:208
	s_waitcnt lgkmcnt(0)
	v_add_f32_e32 v14, v14, v32
	s_or_b32 exec_lo, exec_lo, s0
	s_and_saveexec_b32 s0, vcc_lo
	s_cbranch_execz .LBB60_143
.LBB60_206:
	ds_load_b32 v32, v31 offset:224
	s_waitcnt lgkmcnt(0)
	v_add_f32_e32 v15, v15, v32
	s_or_b32 exec_lo, exec_lo, s0
	s_and_saveexec_b32 s0, vcc_lo
	s_cbranch_execz .LBB60_144
.LBB60_207:
	ds_load_b32 v32, v31 offset:240
	s_waitcnt lgkmcnt(0)
	v_add_f32_e32 v16, v16, v32
	s_or_b32 exec_lo, exec_lo, s0
	s_and_saveexec_b32 s0, vcc_lo
	s_cbranch_execz .LBB60_145
.LBB60_208:
	ds_load_b32 v32, v31 offset:256
	s_waitcnt lgkmcnt(0)
	v_add_f32_e32 v17, v17, v32
	s_or_b32 exec_lo, exec_lo, s0
	s_and_saveexec_b32 s0, vcc_lo
	s_cbranch_execz .LBB60_146
.LBB60_209:
	ds_load_b32 v32, v31 offset:272
	s_waitcnt lgkmcnt(0)
	v_add_f32_e32 v18, v18, v32
	s_or_b32 exec_lo, exec_lo, s0
	s_and_saveexec_b32 s0, vcc_lo
	s_cbranch_execz .LBB60_147
.LBB60_210:
	ds_load_b32 v32, v31 offset:288
	s_waitcnt lgkmcnt(0)
	v_add_f32_e32 v19, v19, v32
	s_or_b32 exec_lo, exec_lo, s0
	s_and_saveexec_b32 s0, vcc_lo
	s_cbranch_execz .LBB60_148
.LBB60_211:
	ds_load_b32 v32, v31 offset:304
	s_waitcnt lgkmcnt(0)
	v_add_f32_e32 v20, v20, v32
	s_or_b32 exec_lo, exec_lo, s0
	s_and_saveexec_b32 s0, vcc_lo
	s_cbranch_execz .LBB60_149
.LBB60_212:
	ds_load_b32 v32, v31 offset:320
	s_waitcnt lgkmcnt(0)
	v_add_f32_e32 v21, v21, v32
	s_or_b32 exec_lo, exec_lo, s0
	s_and_saveexec_b32 s0, vcc_lo
	s_cbranch_execz .LBB60_150
.LBB60_213:
	ds_load_b32 v32, v31 offset:336
	s_waitcnt lgkmcnt(0)
	v_add_f32_e32 v22, v22, v32
	s_or_b32 exec_lo, exec_lo, s0
	s_and_saveexec_b32 s0, vcc_lo
	s_cbranch_execz .LBB60_151
.LBB60_214:
	ds_load_b32 v32, v31 offset:352
	s_waitcnt lgkmcnt(0)
	v_add_f32_e32 v23, v23, v32
	s_or_b32 exec_lo, exec_lo, s0
	s_and_saveexec_b32 s0, vcc_lo
	s_cbranch_execz .LBB60_152
.LBB60_215:
	ds_load_b32 v32, v31 offset:368
	s_waitcnt lgkmcnt(0)
	v_add_f32_e32 v24, v24, v32
	s_or_b32 exec_lo, exec_lo, s0
	s_and_saveexec_b32 s0, vcc_lo
	s_cbranch_execz .LBB60_153
.LBB60_216:
	ds_load_b32 v32, v31 offset:384
	s_waitcnt lgkmcnt(0)
	v_add_f32_e32 v25, v25, v32
	s_or_b32 exec_lo, exec_lo, s0
	s_and_saveexec_b32 s0, vcc_lo
	s_cbranch_execz .LBB60_154
.LBB60_217:
	ds_load_b32 v32, v31 offset:400
	s_waitcnt lgkmcnt(0)
	v_add_f32_e32 v26, v26, v32
	s_or_b32 exec_lo, exec_lo, s0
	s_and_saveexec_b32 s0, vcc_lo
	s_cbranch_execz .LBB60_155
.LBB60_218:
	ds_load_b32 v32, v31 offset:416
	s_waitcnt lgkmcnt(0)
	v_add_f32_e32 v27, v27, v32
	s_or_b32 exec_lo, exec_lo, s0
	s_and_saveexec_b32 s0, vcc_lo
	s_cbranch_execz .LBB60_156
.LBB60_219:
	ds_load_b32 v32, v31 offset:432
	s_waitcnt lgkmcnt(0)
	v_add_f32_e32 v28, v28, v32
	s_or_b32 exec_lo, exec_lo, s0
	s_and_saveexec_b32 s0, vcc_lo
	s_cbranch_execz .LBB60_157
.LBB60_220:
	ds_load_b32 v32, v31 offset:448
	s_waitcnt lgkmcnt(0)
	v_add_f32_e32 v29, v29, v32
	s_or_b32 exec_lo, exec_lo, s0
	s_and_saveexec_b32 s0, vcc_lo
	s_cbranch_execnz .LBB60_158
	s_branch .LBB60_159
	.section	.rodata,"a",@progbits
	.p2align	6, 0x0
	.amdhsa_kernel _ZN4vllm25paged_attention_v2_kernelIffLi120ELi32ELi128ELNS_18Fp8KVCacheDataTypeE0ELb0ELi512EEEvPfS2_PT_PKS3_PKT0_S9_ifPKiSB_iPKfiiiSD_SD_iiiii
		.amdhsa_group_segment_fixed_size 512
		.amdhsa_private_segment_fixed_size 0
		.amdhsa_kernarg_size 400
		.amdhsa_user_sgpr_count 13
		.amdhsa_user_sgpr_dispatch_ptr 0
		.amdhsa_user_sgpr_queue_ptr 0
		.amdhsa_user_sgpr_kernarg_segment_ptr 1
		.amdhsa_user_sgpr_dispatch_id 0
		.amdhsa_user_sgpr_private_segment_size 0
		.amdhsa_wavefront_size32 1
		.amdhsa_uses_dynamic_stack 0
		.amdhsa_enable_private_segment 0
		.amdhsa_system_sgpr_workgroup_id_x 1
		.amdhsa_system_sgpr_workgroup_id_y 1
		.amdhsa_system_sgpr_workgroup_id_z 1
		.amdhsa_system_sgpr_workgroup_info 0
		.amdhsa_system_vgpr_workitem_id 0
		.amdhsa_next_free_vgpr 192
		.amdhsa_next_free_sgpr 40
		.amdhsa_reserve_vcc 1
		.amdhsa_float_round_mode_32 0
		.amdhsa_float_round_mode_16_64 0
		.amdhsa_float_denorm_mode_32 3
		.amdhsa_float_denorm_mode_16_64 3
		.amdhsa_dx10_clamp 1
		.amdhsa_ieee_mode 1
		.amdhsa_fp16_overflow 0
		.amdhsa_workgroup_processor_mode 1
		.amdhsa_memory_ordered 1
		.amdhsa_forward_progress 0
		.amdhsa_shared_vgpr_count 0
		.amdhsa_exception_fp_ieee_invalid_op 0
		.amdhsa_exception_fp_denorm_src 0
		.amdhsa_exception_fp_ieee_div_zero 0
		.amdhsa_exception_fp_ieee_overflow 0
		.amdhsa_exception_fp_ieee_underflow 0
		.amdhsa_exception_fp_ieee_inexact 0
		.amdhsa_exception_int_div_zero 0
	.end_amdhsa_kernel
	.section	.text._ZN4vllm25paged_attention_v2_kernelIffLi120ELi32ELi128ELNS_18Fp8KVCacheDataTypeE0ELb0ELi512EEEvPfS2_PT_PKS3_PKT0_S9_ifPKiSB_iPKfiiiSD_SD_iiiii,"axG",@progbits,_ZN4vllm25paged_attention_v2_kernelIffLi120ELi32ELi128ELNS_18Fp8KVCacheDataTypeE0ELb0ELi512EEEvPfS2_PT_PKS3_PKT0_S9_ifPKiSB_iPKfiiiSD_SD_iiiii,comdat
.Lfunc_end60:
	.size	_ZN4vllm25paged_attention_v2_kernelIffLi120ELi32ELi128ELNS_18Fp8KVCacheDataTypeE0ELb0ELi512EEEvPfS2_PT_PKS3_PKT0_S9_ifPKiSB_iPKfiiiSD_SD_iiiii, .Lfunc_end60-_ZN4vllm25paged_attention_v2_kernelIffLi120ELi32ELi128ELNS_18Fp8KVCacheDataTypeE0ELb0ELi512EEEvPfS2_PT_PKS3_PKT0_S9_ifPKiSB_iPKfiiiSD_SD_iiiii
                                        ; -- End function
	.section	.AMDGPU.csdata,"",@progbits
; Kernel info:
; codeLenInByte = 12932
; NumSgprs: 42
; NumVgprs: 192
; ScratchSize: 0
; MemoryBound: 0
; FloatMode: 240
; IeeeMode: 1
; LDSByteSize: 512 bytes/workgroup (compile time only)
; SGPRBlocks: 5
; VGPRBlocks: 23
; NumSGPRsForWavesPerEU: 42
; NumVGPRsForWavesPerEU: 192
; Occupancy: 8
; WaveLimiterHint : 1
; COMPUTE_PGM_RSRC2:SCRATCH_EN: 0
; COMPUTE_PGM_RSRC2:USER_SGPR: 13
; COMPUTE_PGM_RSRC2:TRAP_HANDLER: 0
; COMPUTE_PGM_RSRC2:TGID_X_EN: 1
; COMPUTE_PGM_RSRC2:TGID_Y_EN: 1
; COMPUTE_PGM_RSRC2:TGID_Z_EN: 1
; COMPUTE_PGM_RSRC2:TIDIG_COMP_CNT: 0
	.section	.text._ZN4vllm25paged_attention_v2_kernelIffLi128ELi32ELi128ELNS_18Fp8KVCacheDataTypeE0ELb0ELi512EEEvPfS2_PT_PKS3_PKT0_S9_ifPKiSB_iPKfiiiSD_SD_iiiii,"axG",@progbits,_ZN4vllm25paged_attention_v2_kernelIffLi128ELi32ELi128ELNS_18Fp8KVCacheDataTypeE0ELb0ELi512EEEvPfS2_PT_PKS3_PKT0_S9_ifPKiSB_iPKfiiiSD_SD_iiiii,comdat
	.protected	_ZN4vllm25paged_attention_v2_kernelIffLi128ELi32ELi128ELNS_18Fp8KVCacheDataTypeE0ELb0ELi512EEEvPfS2_PT_PKS3_PKT0_S9_ifPKiSB_iPKfiiiSD_SD_iiiii ; -- Begin function _ZN4vllm25paged_attention_v2_kernelIffLi128ELi32ELi128ELNS_18Fp8KVCacheDataTypeE0ELb0ELi512EEEvPfS2_PT_PKS3_PKT0_S9_ifPKiSB_iPKfiiiSD_SD_iiiii
	.globl	_ZN4vllm25paged_attention_v2_kernelIffLi128ELi32ELi128ELNS_18Fp8KVCacheDataTypeE0ELb0ELi512EEEvPfS2_PT_PKS3_PKT0_S9_ifPKiSB_iPKfiiiSD_SD_iiiii
	.p2align	8
	.type	_ZN4vllm25paged_attention_v2_kernelIffLi128ELi32ELi128ELNS_18Fp8KVCacheDataTypeE0ELb0ELi512EEEvPfS2_PT_PKS3_PKT0_S9_ifPKiSB_iPKfiiiSD_SD_iiiii,@function
_ZN4vllm25paged_attention_v2_kernelIffLi128ELi32ELi128ELNS_18Fp8KVCacheDataTypeE0ELb0ELi512EEEvPfS2_PT_PKS3_PKT0_S9_ifPKiSB_iPKfiiiSD_SD_iiiii: ; @_ZN4vllm25paged_attention_v2_kernelIffLi128ELi32ELi128ELNS_18Fp8KVCacheDataTypeE0ELb0ELi512EEEvPfS2_PT_PKS3_PKT0_S9_ifPKiSB_iPKfiiiSD_SD_iiiii
; %bb.0:
	s_load_b64 s[2:3], s[0:1], 0x40
	s_mov_b32 s12, s15
	s_ashr_i32 s15, s14, 31
	s_delay_alu instid0(SALU_CYCLE_1)
	s_lshl_b64 s[4:5], s[14:15], 2
	s_waitcnt lgkmcnt(0)
	s_add_u32 s2, s2, s4
	s_addc_u32 s3, s3, s5
	s_lshl_b32 s34, s12, 9
	s_load_b32 s33, s[2:3], 0x0
	s_waitcnt lgkmcnt(0)
	s_cmp_ge_i32 s34, s33
	s_cbranch_scc1 .LBB61_170
; %bb.1:
	s_mov_b32 s22, s13
	s_clause 0x1
	s_load_b32 s13, s[0:1], 0x90
	s_load_b64 s[30:31], s[0:1], 0x30
	v_mov_b32_e32 v174, v0
	s_waitcnt lgkmcnt(0)
	s_abs_i32 s5, s13
	s_abs_i32 s2, s30
	s_delay_alu instid0(SALU_CYCLE_1) | instskip(SKIP_1) | instid1(VALU_DEP_1)
	v_cvt_f32_u32_e32 v0, s2
	s_sub_i32 s4, 0, s2
	v_rcp_iflag_f32_e32 v0, v0
	s_waitcnt_depctr 0xfff
	v_mul_f32_e32 v0, 0x4f7ffffe, v0
	s_delay_alu instid0(VALU_DEP_1) | instskip(NEXT) | instid1(VALU_DEP_1)
	v_cvt_u32_f32_e32 v0, v0
	v_readfirstlane_b32 s3, v0
	s_delay_alu instid0(VALU_DEP_1) | instskip(NEXT) | instid1(SALU_CYCLE_1)
	s_mul_i32 s4, s4, s3
	s_mul_hi_u32 s4, s3, s4
	s_delay_alu instid0(SALU_CYCLE_1)
	s_add_i32 s3, s3, s4
	s_xor_b32 s4, s13, s30
	s_mul_hi_u32 s3, s5, s3
	s_ashr_i32 s4, s4, 31
	s_mul_i32 s6, s3, s2
	s_mov_b32 s30, 0
	s_sub_i32 s5, s5, s6
	s_add_i32 s6, s3, 1
	s_sub_i32 s7, s5, s2
	s_cmp_ge_u32 s5, s2
	s_cselect_b32 s3, s6, s3
	s_cselect_b32 s5, s7, s5
	s_add_i32 s6, s3, 1
	s_cmp_ge_u32 s5, s2
	s_cselect_b32 s2, s6, s3
	s_abs_i32 s28, s22
	s_xor_b32 s2, s2, s4
	s_delay_alu instid0(SALU_CYCLE_1) | instskip(SKIP_2) | instid1(SALU_CYCLE_1)
	s_sub_i32 s8, s2, s4
	s_load_b64 s[2:3], s[0:1], 0x50
	s_abs_i32 s24, s8
	v_cvt_f32_u32_e32 v0, s24
	s_sub_i32 s5, 0, s24
	s_delay_alu instid0(VALU_DEP_1) | instskip(SKIP_2) | instid1(VALU_DEP_1)
	v_rcp_iflag_f32_e32 v0, v0
	s_waitcnt_depctr 0xfff
	v_mul_f32_e32 v0, 0x4f7ffffe, v0
	v_cvt_u32_f32_e32 v0, v0
	s_delay_alu instid0(VALU_DEP_1) | instskip(NEXT) | instid1(VALU_DEP_1)
	v_readfirstlane_b32 s4, v0
	s_mul_i32 s5, s5, s4
	s_delay_alu instid0(SALU_CYCLE_1) | instskip(NEXT) | instid1(SALU_CYCLE_1)
	s_mul_hi_u32 s5, s4, s5
	s_add_i32 s4, s4, s5
	s_waitcnt lgkmcnt(0)
	s_cmp_eq_u64 s[2:3], 0
	s_mul_hi_u32 s25, s28, s4
	s_cbranch_scc1 .LBB61_3
; %bb.2:
	s_ashr_i32 s23, s22, 31
	s_delay_alu instid0(SALU_CYCLE_1) | instskip(NEXT) | instid1(SALU_CYCLE_1)
	s_lshl_b64 s[4:5], s[22:23], 2
	s_add_u32 s2, s2, s4
	s_addc_u32 s3, s3, s5
	s_load_b32 s30, s[2:3], 0x0
.LBB61_3:
	s_clause 0x1
	s_load_b64 s[20:21], s[0:1], 0x38
	s_load_b128 s[4:7], s[0:1], 0x58
	v_cmp_gt_u32_e64 s2, 32, v174
	s_ashr_i32 s3, s22, 31
	s_waitcnt lgkmcnt(0)
	s_ashr_i32 s7, s8, 31
	s_lshl_b32 s16, s22, 7
	s_and_saveexec_b32 s8, s2
	s_cbranch_execz .LBB61_5
; %bb.4:
	s_load_b64 s[10:11], s[0:1], 0x18
	s_mul_i32 s18, s14, s4
	v_lshlrev_b32_e32 v4, 4, v174
	s_ashr_i32 s19, s18, 31
	s_delay_alu instid0(SALU_CYCLE_1) | instskip(SKIP_4) | instid1(SALU_CYCLE_1)
	s_lshl_b64 s[18:19], s[18:19], 2
	s_waitcnt lgkmcnt(0)
	s_add_u32 s4, s10, s18
	s_addc_u32 s9, s11, s19
	s_ashr_i32 s17, s16, 31
	s_lshl_b64 s[10:11], s[16:17], 2
	s_delay_alu instid0(SALU_CYCLE_1)
	s_add_u32 s10, s4, s10
	s_addc_u32 s11, s9, s11
	global_load_b128 v[0:3], v4, s[10:11]
	s_waitcnt vmcnt(0)
	ds_store_b128 v4, v[0:3]
.LBB61_5:
	s_or_b32 exec_lo, exec_lo, s8
	s_add_i32 s15, s33, 31
	s_clause 0x1
	s_load_b128 s[8:11], s[0:1], 0x0
	s_load_b64 s[18:19], s[0:1], 0x10
	s_ashr_i32 s4, s15, 31
	s_mul_i32 s35, s25, s24
	s_lshr_b32 s17, s4, 27
	s_lshl_b32 s4, s12, 4
	s_add_i32 s15, s15, s17
	s_load_b64 s[26:27], s[0:1], 0x28
	s_ashr_i32 s23, s15, 5
	s_clause 0x1
	s_load_b32 s15, s[0:1], 0x98
	s_load_b32 s29, s[0:1], 0x48
	s_add_i32 s17, s4, 16
	s_xor_b32 s3, s3, s7
	s_sub_i32 s7, s28, s35
	s_min_i32 s17, s17, s23
	s_add_i32 s28, s25, 1
	s_sub_i32 s35, s7, s24
	s_cmp_ge_u32 s7, s24
	v_lshrrev_b32_e32 v175, 5, v174
	s_cselect_b32 s25, s28, s25
	s_cselect_b32 s7, s35, s7
	s_add_i32 s28, s25, 1
	s_cmp_ge_u32 s7, s24
	v_add_nc_u32_e32 v133, s4, v175
	v_dual_mov_b32 v137, 0xff7fffff :: v_dual_and_b32 v176, 31, v174
	s_cselect_b32 s7, s28, s25
	s_waitcnt lgkmcnt(0)
	s_xor_b32 s7, s7, s3
	v_ashrrev_i32_e32 v134, 31, v133
	s_sub_i32 s7, s7, s3
	v_cmp_gt_i32_e64 s3, s17, v133
	v_lshlrev_b32_e32 v0, 2, v176
	s_mul_i32 s24, s14, s29
	s_mul_i32 s28, s7, s6
	s_ashr_i32 s25, s24, 31
	s_barrier
	buffer_gl0_inv
	s_and_saveexec_b32 s6, s3
	s_cbranch_execz .LBB61_9
; %bb.6:
	s_load_b64 s[0:1], s[0:1], 0x20
	s_ashr_i32 s29, s28, 31
	v_dual_mov_b32 v125, 0 :: v_dual_mov_b32 v140, v133
	v_lshlrev_b32_e32 v49, 4, v176
	s_lshl_b64 s[36:37], s[28:29], 2
	ds_load_b128 v[1:4], v125
	ds_load_b128 v[5:8], v125 offset:16
	ds_load_b128 v[9:12], v125 offset:32
	;; [unrolled: 1-line block ×11, first 2 shown]
	v_lshlrev_b32_e32 v129, 5, v175
	v_lshl_or_b32 v131, v175, 7, v0
	v_cmp_neq_f32_e64 vcc_lo, s30, 0
	v_mov_b32_e32 v137, 0xff7fffff
	s_mov_b32 s35, s5
	v_add3_u32 v138, s34, v129, v176
	v_lshlrev_b64 v[129:130], 2, v[133:134]
	v_add_nc_u32_e32 v139, 0x220, v131
	s_mov_b32 s29, 0
	s_waitcnt lgkmcnt(0)
	s_add_u32 s0, s0, s36
	s_addc_u32 s1, s1, s37
	v_add_co_u32 v135, s0, s0, v49
	ds_load_b128 v[49:52], v125 offset:192
	ds_load_b128 v[53:56], v125 offset:208
	;; [unrolled: 1-line block ×20, first 2 shown]
	v_add_co_ci_u32_e64 v136, null, s1, 0, s0
	s_lshl_b64 s[0:1], s[24:25], 2
	s_sub_i32 s7, 1, s33
	s_add_u32 s0, s20, s0
	s_addc_u32 s1, s21, s1
	v_add_co_u32 v129, s0, s0, v129
	s_delay_alu instid0(VALU_DEP_1)
	v_add_co_ci_u32_e64 v130, s0, s1, v130, s0
.LBB61_7:                               ; =>This Inner Loop Header: Depth=1
	global_load_b32 v141, v[129:130], off
	v_add_nc_u32_e32 v140, 4, v140
	s_delay_alu instid0(VALU_DEP_1) | instskip(NEXT) | instid1(VALU_DEP_1)
	v_cmp_le_i32_e64 s1, s17, v140
	s_or_b32 s29, s1, s29
	s_waitcnt vmcnt(0)
	v_mad_i64_i32 v[131:132], null, v141, s35, 0
	s_delay_alu instid0(VALU_DEP_1) | instskip(NEXT) | instid1(VALU_DEP_1)
	v_lshlrev_b64 v[131:132], 2, v[131:132]
	v_add_co_u32 v131, s0, v135, v131
	s_delay_alu instid0(VALU_DEP_1)
	v_add_co_ci_u32_e64 v132, s0, v136, v132, s0
	global_load_b128 v[143:146], v[131:132], off offset:512
	s_waitcnt vmcnt(0)
	v_dual_mul_f32 v142, v7, v145 :: v_dual_mul_f32 v141, v8, v146
	global_load_b128 v[145:148], v[131:132], off
	v_dual_mul_f32 v143, v5, v143 :: v_dual_mul_f32 v144, v6, v144
	s_waitcnt vmcnt(0)
	s_delay_alu instid0(VALU_DEP_1)
	v_dual_fmac_f32 v143, v1, v145 :: v_dual_fmac_f32 v144, v2, v146
	v_dual_fmac_f32 v142, v3, v147 :: v_dual_fmac_f32 v141, v4, v148
	s_clause 0x1
	global_load_b128 v[145:148], v[131:132], off offset:1024
	global_load_b128 v[149:152], v[131:132], off offset:1536
	s_waitcnt vmcnt(1)
	v_dual_fmac_f32 v143, v9, v145 :: v_dual_fmac_f32 v144, v10, v146
	v_dual_fmac_f32 v142, v11, v147 :: v_dual_fmac_f32 v141, v12, v148
	s_waitcnt vmcnt(0)
	s_delay_alu instid0(VALU_DEP_2) | instskip(NEXT) | instid1(VALU_DEP_2)
	v_dual_fmac_f32 v143, v13, v149 :: v_dual_fmac_f32 v144, v14, v150
	v_dual_fmac_f32 v142, v15, v151 :: v_dual_fmac_f32 v141, v16, v152
	s_clause 0x1
	global_load_b128 v[145:148], v[131:132], off offset:2048
	global_load_b128 v[149:152], v[131:132], off offset:2560
	s_waitcnt vmcnt(1)
	v_dual_fmac_f32 v143, v17, v145 :: v_dual_fmac_f32 v144, v18, v146
	v_dual_fmac_f32 v142, v19, v147 :: v_dual_fmac_f32 v141, v20, v148
	s_waitcnt vmcnt(0)
	s_delay_alu instid0(VALU_DEP_2) | instskip(NEXT) | instid1(VALU_DEP_2)
	v_dual_fmac_f32 v143, v21, v149 :: v_dual_fmac_f32 v144, v22, v150
	v_dual_fmac_f32 v142, v23, v151 :: v_dual_fmac_f32 v141, v24, v152
	s_clause 0x1
	global_load_b128 v[145:148], v[131:132], off offset:3072
	global_load_b128 v[149:152], v[131:132], off offset:3584
	s_waitcnt vmcnt(1)
	v_dual_fmac_f32 v143, v25, v145 :: v_dual_fmac_f32 v144, v26, v146
	v_dual_fmac_f32 v142, v27, v147 :: v_dual_fmac_f32 v141, v28, v148
	s_waitcnt vmcnt(0)
	s_delay_alu instid0(VALU_DEP_2) | instskip(SKIP_1) | instid1(VALU_DEP_1)
	v_dual_fmac_f32 v143, v29, v149 :: v_dual_fmac_f32 v144, v30, v150
	v_add_co_u32 v149, s0, v131, 0x2000
	v_add_co_ci_u32_e64 v150, s0, 0, v132, s0
	v_dual_fmac_f32 v142, v31, v151 :: v_dual_fmac_f32 v141, v32, v152
	s_clause 0x1
	global_load_b128 v[145:148], v[149:150], off offset:-4096
	global_load_b128 v[149:152], v[149:150], off
	v_add_co_u32 v157, s0, 0x1000, v131
	s_delay_alu instid0(VALU_DEP_1) | instskip(SKIP_1) | instid1(VALU_DEP_1)
	v_add_co_ci_u32_e64 v158, s0, 0, v132, s0
	v_add_co_u32 v159, s0, 0x2000, v131
	v_add_co_ci_u32_e64 v160, s0, 0, v132, s0
	v_add_co_u32 v131, s0, 0x3000, v131
	s_delay_alu instid0(VALU_DEP_1) | instskip(SKIP_1) | instid1(VALU_DEP_1)
	v_add_co_ci_u32_e64 v132, s0, 0, v132, s0
	v_add_co_u32 v129, s0, v129, 16
	v_add_co_ci_u32_e64 v130, s0, 0, v130, s0
	v_cmp_gt_i32_e64 s0, s33, v138
	s_waitcnt vmcnt(1)
	v_dual_fmac_f32 v143, v33, v145 :: v_dual_fmac_f32 v144, v34, v146
	v_dual_fmac_f32 v142, v35, v147 :: v_dual_fmac_f32 v141, v36, v148
	s_clause 0x1
	global_load_b128 v[145:148], v[157:158], off offset:512
	global_load_b128 v[153:156], v[157:158], off offset:1024
	s_waitcnt vmcnt(1)
	v_dual_fmac_f32 v143, v37, v145 :: v_dual_fmac_f32 v144, v38, v146
	v_dual_fmac_f32 v142, v39, v147 :: v_dual_fmac_f32 v141, v40, v148
	s_waitcnt vmcnt(0)
	s_delay_alu instid0(VALU_DEP_2) | instskip(NEXT) | instid1(VALU_DEP_2)
	v_dual_fmac_f32 v143, v41, v153 :: v_dual_fmac_f32 v144, v42, v154
	v_dual_fmac_f32 v142, v43, v155 :: v_dual_fmac_f32 v141, v44, v156
	s_clause 0x1
	global_load_b128 v[145:148], v[157:158], off offset:1536
	global_load_b128 v[153:156], v[157:158], off offset:2048
	s_waitcnt vmcnt(1)
	v_dual_fmac_f32 v143, v45, v145 :: v_dual_fmac_f32 v144, v46, v146
	v_dual_fmac_f32 v142, v47, v147 :: v_dual_fmac_f32 v141, v48, v148
	s_waitcnt vmcnt(0) lgkmcnt(19)
	s_delay_alu instid0(VALU_DEP_2) | instskip(NEXT) | instid1(VALU_DEP_2)
	v_dual_fmac_f32 v143, v49, v153 :: v_dual_fmac_f32 v144, v50, v154
	v_dual_fmac_f32 v142, v51, v155 :: v_dual_fmac_f32 v141, v52, v156
	s_clause 0x1
	global_load_b128 v[145:148], v[157:158], off offset:2560
	global_load_b128 v[153:156], v[157:158], off offset:3072
	s_waitcnt vmcnt(1) lgkmcnt(18)
	v_dual_fmac_f32 v143, v53, v145 :: v_dual_fmac_f32 v144, v54, v146
	v_dual_fmac_f32 v142, v55, v147 :: v_dual_fmac_f32 v141, v56, v148
	s_waitcnt vmcnt(0) lgkmcnt(17)
	s_delay_alu instid0(VALU_DEP_2) | instskip(NEXT) | instid1(VALU_DEP_2)
	v_dual_fmac_f32 v143, v57, v153 :: v_dual_fmac_f32 v144, v58, v154
	v_dual_fmac_f32 v142, v59, v155 :: v_dual_fmac_f32 v141, v60, v156
	s_clause 0x1
	global_load_b128 v[145:148], v[157:158], off offset:3584
	global_load_b128 v[153:156], v[159:160], off offset:512
	s_waitcnt vmcnt(1) lgkmcnt(16)
	v_dual_fmac_f32 v143, v61, v145 :: v_dual_fmac_f32 v144, v62, v146
	v_dual_fmac_f32 v142, v63, v147 :: v_dual_fmac_f32 v141, v64, v148
	s_waitcnt lgkmcnt(15)
	s_delay_alu instid0(VALU_DEP_2) | instskip(NEXT) | instid1(VALU_DEP_2)
	v_dual_fmac_f32 v143, v65, v149 :: v_dual_fmac_f32 v144, v66, v150
	v_dual_fmac_f32 v142, v67, v151 :: v_dual_fmac_f32 v141, v68, v152
	s_clause 0x1
	global_load_b128 v[145:148], v[159:160], off offset:1024
	global_load_b128 v[149:152], v[159:160], off offset:1536
	s_waitcnt vmcnt(2) lgkmcnt(14)
	v_dual_fmac_f32 v143, v69, v153 :: v_dual_fmac_f32 v144, v70, v154
	v_dual_fmac_f32 v142, v71, v155 :: v_dual_fmac_f32 v141, v72, v156
	s_waitcnt vmcnt(1) lgkmcnt(13)
	s_delay_alu instid0(VALU_DEP_2) | instskip(NEXT) | instid1(VALU_DEP_2)
	v_dual_fmac_f32 v143, v73, v145 :: v_dual_fmac_f32 v144, v74, v146
	v_dual_fmac_f32 v142, v75, v147 :: v_dual_fmac_f32 v141, v76, v148
	s_waitcnt vmcnt(0) lgkmcnt(12)
	s_delay_alu instid0(VALU_DEP_2) | instskip(NEXT) | instid1(VALU_DEP_2)
	v_dual_fmac_f32 v143, v77, v149 :: v_dual_fmac_f32 v144, v78, v150
	v_dual_fmac_f32 v142, v79, v151 :: v_dual_fmac_f32 v141, v80, v152
	s_clause 0x1
	global_load_b128 v[145:148], v[159:160], off offset:2048
	global_load_b128 v[149:152], v[159:160], off offset:2560
	s_waitcnt vmcnt(1) lgkmcnt(11)
	v_dual_fmac_f32 v143, v81, v145 :: v_dual_fmac_f32 v144, v82, v146
	v_dual_fmac_f32 v142, v83, v147 :: v_dual_fmac_f32 v141, v84, v148
	s_waitcnt vmcnt(0) lgkmcnt(10)
	s_delay_alu instid0(VALU_DEP_2) | instskip(NEXT) | instid1(VALU_DEP_2)
	v_dual_fmac_f32 v143, v85, v149 :: v_dual_fmac_f32 v144, v86, v150
	v_dual_fmac_f32 v142, v87, v151 :: v_dual_fmac_f32 v141, v88, v152
	s_clause 0x1
	global_load_b128 v[145:148], v[159:160], off offset:3072
	global_load_b128 v[149:152], v[159:160], off offset:3584
	s_waitcnt vmcnt(1) lgkmcnt(9)
	v_dual_fmac_f32 v143, v89, v145 :: v_dual_fmac_f32 v144, v90, v146
	v_dual_fmac_f32 v142, v91, v147 :: v_dual_fmac_f32 v141, v92, v148
	s_waitcnt vmcnt(0) lgkmcnt(8)
	s_delay_alu instid0(VALU_DEP_2) | instskip(NEXT) | instid1(VALU_DEP_2)
	v_dual_fmac_f32 v143, v93, v149 :: v_dual_fmac_f32 v144, v94, v150
	v_dual_fmac_f32 v142, v95, v151 :: v_dual_fmac_f32 v141, v96, v152
	s_clause 0x1
	global_load_b128 v[145:148], v[131:132], off
	global_load_b128 v[149:152], v[131:132], off offset:512
	s_waitcnt vmcnt(1) lgkmcnt(7)
	v_dual_fmac_f32 v143, v97, v145 :: v_dual_fmac_f32 v144, v98, v146
	v_dual_fmac_f32 v142, v99, v147 :: v_dual_fmac_f32 v141, v100, v148
	s_waitcnt vmcnt(0) lgkmcnt(6)
	s_delay_alu instid0(VALU_DEP_2) | instskip(NEXT) | instid1(VALU_DEP_2)
	v_dual_fmac_f32 v143, v101, v149 :: v_dual_fmac_f32 v144, v102, v150
	v_dual_fmac_f32 v142, v103, v151 :: v_dual_fmac_f32 v141, v104, v152
	s_clause 0x1
	global_load_b128 v[145:148], v[131:132], off offset:1024
	global_load_b128 v[149:152], v[131:132], off offset:1536
	s_waitcnt vmcnt(1) lgkmcnt(5)
	v_dual_fmac_f32 v143, v105, v145 :: v_dual_fmac_f32 v144, v106, v146
	v_dual_fmac_f32 v142, v107, v147 :: v_dual_fmac_f32 v141, v108, v148
	s_waitcnt vmcnt(0) lgkmcnt(4)
	s_delay_alu instid0(VALU_DEP_2) | instskip(NEXT) | instid1(VALU_DEP_2)
	v_dual_fmac_f32 v143, v109, v149 :: v_dual_fmac_f32 v144, v110, v150
	v_dual_fmac_f32 v142, v111, v151 :: v_dual_fmac_f32 v141, v112, v152
	s_clause 0x1
	global_load_b128 v[145:148], v[131:132], off offset:2048
	;; [unrolled: 10-line block ×3, first 2 shown]
	global_load_b128 v[149:152], v[131:132], off offset:3584
	v_add_nc_u32_e32 v132, s7, v138
	v_add_nc_u32_e32 v138, 0x80, v138
	s_delay_alu instid0(VALU_DEP_2) | instskip(SKIP_4) | instid1(VALU_DEP_2)
	v_cvt_f32_i32_e32 v132, v132
	s_waitcnt vmcnt(1) lgkmcnt(1)
	v_dual_fmac_f32 v143, v121, v145 :: v_dual_fmac_f32 v144, v122, v146
	v_dual_fmac_f32 v142, v123, v147 :: v_dual_fmac_f32 v141, v124, v148
	s_waitcnt vmcnt(0) lgkmcnt(0)
	v_dual_fmac_f32 v143, v125, v149 :: v_dual_fmac_f32 v144, v126, v150
	s_delay_alu instid0(VALU_DEP_2) | instskip(NEXT) | instid1(VALU_DEP_2)
	v_dual_fmac_f32 v142, v127, v151 :: v_dual_fmac_f32 v141, v128, v152
	v_add_f32_e32 v131, v143, v144
	s_delay_alu instid0(VALU_DEP_1) | instskip(NEXT) | instid1(VALU_DEP_1)
	v_dual_add_f32 v131, v142, v131 :: v_dual_max_f32 v142, v137, v137
	v_dual_mul_f32 v132, s30, v132 :: v_dual_add_f32 v131, v141, v131
	s_delay_alu instid0(VALU_DEP_1) | instskip(NEXT) | instid1(VALU_DEP_1)
	v_cndmask_b32_e32 v132, 0, v132, vcc_lo
	v_fmac_f32_e32 v132, s31, v131
	s_delay_alu instid0(VALU_DEP_1) | instskip(SKIP_1) | instid1(VALU_DEP_2)
	v_max_f32_e32 v131, v142, v132
	v_cndmask_b32_e64 v132, 0, v132, s0
	v_cndmask_b32_e64 v137, v137, v131, s0
	ds_store_b32 v139, v132
	v_add_nc_u32_e32 v139, 0x200, v139
	s_and_not1_b32 exec_lo, exec_lo, s29
	s_cbranch_execnz .LBB61_7
; %bb.8:
	s_or_b32 exec_lo, exec_lo, s29
.LBB61_9:
	s_delay_alu instid0(SALU_CYCLE_1) | instskip(SKIP_2) | instid1(VALU_DEP_2)
	s_or_b32 exec_lo, exec_lo, s6
	v_mbcnt_lo_u32_b32 v1, -1, 0
	v_max_f32_e32 v5, v137, v137
	v_xor_b32_e32 v2, 16, v1
	v_xor_b32_e32 v4, 8, v1
	s_delay_alu instid0(VALU_DEP_2) | instskip(SKIP_1) | instid1(VALU_DEP_3)
	v_cmp_gt_i32_e32 vcc_lo, 32, v2
	v_cndmask_b32_e32 v2, v1, v2, vcc_lo
	v_cmp_gt_i32_e32 vcc_lo, 32, v4
	s_delay_alu instid0(VALU_DEP_2) | instskip(SKIP_4) | instid1(VALU_DEP_1)
	v_lshlrev_b32_e32 v2, 2, v2
	v_cndmask_b32_e32 v4, v1, v4, vcc_lo
	ds_bpermute_b32 v3, v2, v137
	s_waitcnt lgkmcnt(0)
	v_dual_max_f32 v6, v3, v3 :: v_dual_lshlrev_b32 v3, 2, v4
	v_max_f32_e32 v4, v5, v6
	v_xor_b32_e32 v6, 4, v1
	ds_bpermute_b32 v5, v3, v4
	v_cmp_gt_i32_e32 vcc_lo, 32, v6
	v_cndmask_b32_e32 v6, v1, v6, vcc_lo
	s_delay_alu instid0(VALU_DEP_1) | instskip(SKIP_1) | instid1(VALU_DEP_1)
	v_lshlrev_b32_e32 v140, 2, v6
	v_xor_b32_e32 v6, 2, v1
	v_cmp_gt_i32_e32 vcc_lo, 32, v6
	s_waitcnt lgkmcnt(0)
	v_max_f32_e32 v5, v5, v5
	v_cndmask_b32_e32 v6, v1, v6, vcc_lo
	s_delay_alu instid0(VALU_DEP_1)
	v_dual_max_f32 v4, v4, v5 :: v_dual_lshlrev_b32 v139, 2, v6
	v_xor_b32_e32 v6, 1, v1
	ds_bpermute_b32 v5, v140, v4
	v_cmp_gt_i32_e32 vcc_lo, 32, v6
	v_cndmask_b32_e32 v6, v1, v6, vcc_lo
	v_cmp_eq_u32_e32 vcc_lo, 0, v176
	s_waitcnt lgkmcnt(0)
	s_delay_alu instid0(VALU_DEP_2) | instskip(NEXT) | instid1(VALU_DEP_1)
	v_dual_max_f32 v5, v5, v5 :: v_dual_lshlrev_b32 v138, 2, v6
	v_max_f32_e32 v4, v4, v5
	ds_bpermute_b32 v5, v139, v4
	s_waitcnt lgkmcnt(0)
	v_max_f32_e32 v5, v5, v5
	s_delay_alu instid0(VALU_DEP_1)
	v_max_f32_e32 v1, v4, v5
	v_lshlrev_b32_e32 v5, 2, v175
	ds_bpermute_b32 v4, v138, v1
	s_and_saveexec_b32 s0, vcc_lo
	s_cbranch_execz .LBB61_11
; %bb.10:
	s_waitcnt lgkmcnt(0)
	v_dual_max_f32 v4, v4, v4 :: v_dual_max_f32 v1, v1, v1
	s_delay_alu instid0(VALU_DEP_1)
	v_max_f32_e32 v1, v1, v4
	ds_store_b32 v5, v1 offset:512
.LBB61_11:
	s_or_b32 exec_lo, exec_lo, s0
	v_cmp_gt_u32_e64 s0, 4, v176
	v_mov_b32_e32 v1, 0xff7fffff
	s_waitcnt lgkmcnt(0)
	s_barrier
	buffer_gl0_inv
	s_and_saveexec_b32 s1, s0
	s_cbranch_execz .LBB61_13
; %bb.12:
	ds_load_b32 v1, v0 offset:512
.LBB61_13:
	s_or_b32 exec_lo, exec_lo, s1
	s_waitcnt lgkmcnt(0)
	ds_bpermute_b32 v4, v139, v1
	v_max_f32_e32 v1, v1, v1
	s_sub_i32 s1, s17, s4
	v_mov_b32_e32 v6, 0
	s_lshl_b32 s1, s1, 5
	s_delay_alu instid0(SALU_CYCLE_1) | instskip(NEXT) | instid1(SALU_CYCLE_1)
	s_add_i32 s1, s1, s34
	s_min_i32 s1, s1, s33
	s_delay_alu instid0(SALU_CYCLE_1) | instskip(NEXT) | instid1(SALU_CYCLE_1)
	s_sub_i32 s6, s1, s34
	v_cmp_gt_i32_e64 s1, s6, v174
	s_waitcnt lgkmcnt(0)
	v_max_f32_e32 v4, v4, v4
	s_delay_alu instid0(VALU_DEP_1) | instskip(SKIP_3) | instid1(VALU_DEP_1)
	v_max_f32_e32 v1, v1, v4
	ds_bpermute_b32 v4, v138, v1
	s_waitcnt lgkmcnt(0)
	v_max_f32_e32 v4, v4, v4
	v_max_f32_e32 v1, v1, v4
	v_lshl_add_u32 v4, v174, 2, 0x220
	ds_bpermute_b32 v1, v6, v1
	s_and_saveexec_b32 s7, s1
	s_cbranch_execz .LBB61_17
; %bb.14:
	v_lshl_add_u32 v7, v174, 2, 0x220
	v_mov_b32_e32 v6, 0
	v_mov_b32_e32 v8, v174
	s_mov_b32 s29, 0
	.p2align	6
.LBB61_15:                              ; =>This Inner Loop Header: Depth=1
	ds_load_b32 v9, v7
	v_add_nc_u32_e32 v8, 0x80, v8
	s_delay_alu instid0(VALU_DEP_1) | instskip(NEXT) | instid1(VALU_DEP_1)
	v_cmp_le_i32_e64 s4, s6, v8
	s_or_b32 s29, s4, s29
	s_waitcnt lgkmcnt(0)
	v_sub_f32_e32 v9, v9, v1
	s_delay_alu instid0(VALU_DEP_1) | instskip(NEXT) | instid1(VALU_DEP_1)
	v_mul_f32_e32 v9, 0x3fb8aa3b, v9
	v_exp_f32_e32 v9, v9
	ds_store_b32 v7, v9
	v_dual_add_f32 v6, v6, v9 :: v_dual_add_nc_u32 v7, 0x200, v7
	s_and_not1_b32 exec_lo, exec_lo, s29
	s_cbranch_execnz .LBB61_15
; %bb.16:
	s_or_b32 exec_lo, exec_lo, s29
.LBB61_17:
	s_delay_alu instid0(SALU_CYCLE_1)
	s_or_b32 exec_lo, exec_lo, s7
	ds_bpermute_b32 v2, v2, v6
	s_waitcnt lgkmcnt(0)
	v_add_f32_e32 v2, v6, v2
	ds_bpermute_b32 v3, v3, v2
	s_waitcnt lgkmcnt(0)
	v_add_f32_e32 v2, v2, v3
	ds_bpermute_b32 v3, v140, v2
	s_waitcnt lgkmcnt(0)
	v_add_f32_e32 v2, v2, v3
	ds_bpermute_b32 v3, v139, v2
	s_waitcnt lgkmcnt(0)
	v_add_f32_e32 v2, v2, v3
	ds_bpermute_b32 v3, v138, v2
	s_waitcnt lgkmcnt(0)
	v_add_f32_e32 v2, v2, v3
	s_and_saveexec_b32 s4, vcc_lo
	s_cbranch_execz .LBB61_19
; %bb.18:
	ds_store_b32 v5, v2 offset:528
.LBB61_19:
	s_or_b32 exec_lo, exec_lo, s4
	s_waitcnt lgkmcnt(0)
	s_barrier
	buffer_gl0_inv
	s_and_saveexec_b32 s4, s0
	s_cbranch_execz .LBB61_21
; %bb.20:
	ds_load_b32 v2, v0 offset:528
.LBB61_21:
	s_or_b32 exec_lo, exec_lo, s4
	s_waitcnt lgkmcnt(0)
	ds_bpermute_b32 v0, v139, v2
	s_waitcnt lgkmcnt(0)
	v_add_f32_e32 v0, v2, v0
	ds_bpermute_b32 v2, v138, v0
	s_waitcnt lgkmcnt(0)
	v_add_f32_e32 v0, v0, v2
	v_mov_b32_e32 v2, 0
	ds_bpermute_b32 v0, v2, v0
	s_and_saveexec_b32 s0, s1
	s_cbranch_execz .LBB61_24
; %bb.22:
	s_waitcnt lgkmcnt(0)
	v_add_f32_e32 v2, 0x358637bd, v0
	s_mov_b32 s1, 0
	s_delay_alu instid0(VALU_DEP_1) | instskip(NEXT) | instid1(VALU_DEP_1)
	v_div_scale_f32 v3, null, v2, v2, 1.0
	v_rcp_f32_e32 v5, v3
	s_waitcnt_depctr 0xfff
	v_fma_f32 v6, -v3, v5, 1.0
	s_delay_alu instid0(VALU_DEP_1) | instskip(SKIP_1) | instid1(VALU_DEP_1)
	v_fmac_f32_e32 v5, v6, v5
	v_div_scale_f32 v7, vcc_lo, 1.0, v2, 1.0
	v_mul_f32_e32 v6, v7, v5
	s_delay_alu instid0(VALU_DEP_1) | instskip(NEXT) | instid1(VALU_DEP_1)
	v_fma_f32 v8, -v3, v6, v7
	v_fmac_f32_e32 v6, v8, v5
	s_delay_alu instid0(VALU_DEP_1) | instskip(NEXT) | instid1(VALU_DEP_1)
	v_fma_f32 v3, -v3, v6, v7
	v_div_fmas_f32 v3, v3, v5, v6
	s_delay_alu instid0(VALU_DEP_1)
	v_div_fixup_f32 v2, v3, v2, 1.0
	v_mov_b32_e32 v3, v174
.LBB61_23:                              ; =>This Inner Loop Header: Depth=1
	ds_load_b32 v5, v4
	v_add_nc_u32_e32 v3, 0x80, v3
	s_delay_alu instid0(VALU_DEP_1)
	v_cmp_le_i32_e32 vcc_lo, s6, v3
	s_or_b32 s1, vcc_lo, s1
	s_waitcnt lgkmcnt(0)
	v_mul_f32_e32 v5, v2, v5
	ds_store_b32 v4, v5
	v_add_nc_u32_e32 v4, 0x200, v4
	s_and_not1_b32 exec_lo, exec_lo, s1
	s_cbranch_execnz .LBB61_23
.LBB61_24:
	s_or_b32 exec_lo, exec_lo, s0
	s_mul_i32 s0, s15, s14
	s_waitcnt lgkmcnt(0)
	s_mul_i32 s6, s0, s13
	s_mov_b32 s0, exec_lo
	s_barrier
	buffer_gl0_inv
	v_cmpx_eq_u32_e32 0, v174
	s_cbranch_execz .LBB61_26
; %bb.25:
	s_ashr_i32 s7, s6, 31
	s_mul_i32 s36, s15, s22
	s_lshl_b64 s[30:31], s[6:7], 2
	v_mov_b32_e32 v2, 0
	s_add_u32 s1, s10, s30
	s_addc_u32 s4, s11, s31
	s_ashr_i32 s37, s36, 31
	s_delay_alu instid0(SALU_CYCLE_1) | instskip(NEXT) | instid1(SALU_CYCLE_1)
	s_lshl_b64 s[10:11], s[36:37], 2
	s_add_u32 s1, s1, s10
	s_addc_u32 s4, s4, s11
	s_ashr_i32 s13, s12, 31
	s_delay_alu instid0(SALU_CYCLE_1) | instskip(NEXT) | instid1(SALU_CYCLE_1)
	s_lshl_b64 s[36:37], s[12:13], 2
	s_add_u32 s38, s1, s36
	s_addc_u32 s39, s4, s37
	s_add_u32 s1, s8, s30
	s_addc_u32 s4, s9, s31
	;; [unrolled: 2-line block ×4, first 2 shown]
	s_clause 0x1
	global_store_b32 v2, v1, s[38:39]
	global_store_b32 v2, v0, s[8:9]
.LBB61_26:
	s_or_b32 exec_lo, exec_lo, s0
	v_dual_mov_b32 v171, 0 :: v_dual_and_b32 v54, 7, v174
	v_dual_mov_b32 v173, 0 :: v_dual_mov_b32 v172, 0
	v_dual_mov_b32 v170, 0 :: v_dual_mov_b32 v169, 0
	;; [unrolled: 1-line block ×15, first 2 shown]
	v_mov_b32_e32 v142, 0
	s_and_saveexec_b32 s1, s3
	s_cbranch_execz .LBB61_94
; %bb.27:
	v_dual_mov_b32 v143, 0 :: v_dual_lshlrev_b32 v0, 2, v174
	v_mov_b32_e32 v142, 0
	v_lshl_add_u32 v25, v175, 5, s34
	s_ashr_i32 s29, s28, 31
	s_delay_alu instid0(VALU_DEP_3)
	v_and_b32_e32 v1, 28, v0
	s_lshl_b64 s[8:9], s[28:29], 2
	s_clause 0x1
	scratch_store_b32 off, v176, off offset:40
	scratch_store_b32 off, v174, off offset:32
	v_dual_mov_b32 v145, 0 :: v_dual_and_b32 v2, 0x7c, v0
	v_or_b32_e32 v28, 0xf80, v0
	v_add3_u32 v174, v25, v1, 3
	v_lshlrev_b64 v[0:1], 2, v[133:134]
	s_add_u32 s3, s26, s8
	s_addc_u32 s4, s27, s9
	s_lshl_b64 s[8:9], s[24:25], 2
	s_add_i32 s7, s23, -1
	s_add_u32 s0, s20, s8
	v_or_b32_e32 v3, 0x400, v2
	v_add_co_u32 v134, vcc_lo, s0, v0
	v_dual_mov_b32 v147, 0 :: v_dual_lshlrev_b32 v0, 2, v2
	v_or_b32_e32 v4, 0x480, v2
	scratch_store_b32 off, v175, off offset:36 ; 4-byte Folded Spill
	v_or_b32_e32 v5, 0x500, v2
	scratch_store_b32 off, v0, off          ; 4-byte Folded Spill
	v_dual_mov_b32 v149, 0 :: v_dual_lshlrev_b32 v0, 2, v3
	scratch_store_b32 off, v54, off offset:44 ; 4-byte Folded Spill
	v_or_b32_e32 v6, 0x580, v2
	v_mov_b32_e32 v151, 0
	scratch_store_b32 off, v0, off offset:4 ; 4-byte Folded Spill
	v_lshlrev_b32_e32 v0, 2, v4
	v_or_b32_e32 v7, 0x600, v2
	v_mov_b32_e32 v153, 0
	v_or_b32_e32 v8, 0x680, v2
	v_mov_b32_e32 v155, 0
	scratch_store_b32 off, v0, off offset:8 ; 4-byte Folded Spill
	v_lshlrev_b32_e32 v0, 2, v5
	v_or_b32_e32 v9, 0x700, v2
	v_dual_mov_b32 v144, 0 :: v_dual_lshlrev_b32 v23, 4, v54
	v_mov_b32_e32 v157, 0
	scratch_store_b32 off, v0, off offset:12 ; 4-byte Folded Spill
	v_lshlrev_b32_e32 v0, 2, v6
	v_or_b32_e32 v10, 0x780, v2
	v_or_b32_e32 v11, 0x800, v2
	v_or_b32_e32 v12, 0x880, v2
	v_or_b32_e32 v13, 0x900, v2
	scratch_store_b32 off, v0, off offset:16 ; 4-byte Folded Spill
	v_lshlrev_b32_e32 v0, 2, v7
	v_or_b32_e32 v14, 0x980, v2
	v_or_b32_e32 v15, 0xa00, v2
	;; [unrolled: 1-line block ×4, first 2 shown]
	scratch_store_b32 off, v0, off offset:20 ; 4-byte Folded Spill
	v_dual_mov_b32 v159, 0 :: v_dual_lshlrev_b32 v0, 2, v8
	v_or_b32_e32 v18, 0xb80, v2
	v_or_b32_e32 v19, 0xc00, v2
	;; [unrolled: 1-line block ×8, first 2 shown]
	v_lshl_or_b32 v23, v175, 7, v23
	scratch_store_b32 off, v0, off offset:24 ; 4-byte Folded Spill
	v_dual_mov_b32 v161, 0 :: v_dual_lshlrev_b32 v0, 2, v9
	s_addc_u32 s8, s21, s9
	v_dual_mov_b32 v146, 0 :: v_dual_add_nc_u32 v175, 0x220, v23
	v_add_co_ci_u32_e32 v135, vcc_lo, s8, v1, vcc_lo
	scratch_store_b32 off, v0, off offset:28 ; 4-byte Folded Spill
	v_dual_mov_b32 v163, 0 :: v_dual_lshlrev_b32 v184, 2, v10
	v_dual_mov_b32 v148, 0 :: v_dual_lshlrev_b32 v185, 2, v11
	;; [unrolled: 1-line block ×12, first 2 shown]
	v_lshlrev_b32_e32 v0, 2, v22
	v_dual_mov_b32 v160, 0 :: v_dual_lshlrev_b32 v177, 2, v24
	v_lshlrev_b32_e32 v178, 2, v26
	v_dual_mov_b32 v162, 0 :: v_dual_lshlrev_b32 v179, 2, v27
	v_lshlrev_b32_e32 v180, 2, v28
	v_mov_b32_e32 v164, 0
	v_mov_b32_e32 v166, 0
	;; [unrolled: 1-line block ×5, first 2 shown]
	s_mov_b32 s8, s5
	s_mov_b32 s5, 0
	s_branch .LBB61_29
.LBB61_28:                              ;   in Loop: Header=BB61_29 Depth=1
	s_or_b32 exec_lo, exec_lo, s0
	s_waitcnt lgkmcnt(0)
	v_mul_f32_e32 v30, v2, v30
	s_waitcnt vmcnt(13)
	v_mul_f32_e32 v78, v2, v78
	v_mul_f32_e32 v22, v2, v22
	;; [unrolled: 1-line block ×3, first 2 shown]
	s_waitcnt vmcnt(5)
	v_mul_f32_e32 v114, v2, v114
	v_fmac_f32_e32 v30, v1, v29
	v_fmac_f32_e32 v78, v1, v77
	v_mul_f32_e32 v70, v2, v70
	v_mul_f32_e32 v62, v2, v62
	v_fmac_f32_e32 v22, v1, v21
	v_fmac_f32_e32 v30, v3, v31
	;; [unrolled: 1-line block ×3, first 2 shown]
	s_waitcnt vmcnt(3)
	v_mul_f32_e32 v122, v2, v122
	v_fmac_f32_e32 v78, v3, v79
	v_fmac_f32_e32 v70, v1, v69
	;; [unrolled: 1-line block ×7, first 2 shown]
	s_waitcnt vmcnt(1)
	v_dual_mul_f32 v130, v2, v130 :: v_dual_add_nc_u32 v133, 4, v133
	v_mul_f32_e32 v106, v2, v106
	v_fmac_f32_e32 v78, v4, v80
	v_fmac_f32_e32 v122, v1, v121
	v_fmac_f32_e32 v70, v3, v71
	v_fmac_f32_e32 v62, v3, v63
	v_add_f32_e32 v167, v167, v30
	v_dual_add_f32 v155, v155, v78 :: v_dual_fmac_f32 v22, v4, v24
	v_fmac_f32_e32 v114, v3, v115
	v_fmac_f32_e32 v10, v4, v12
	;; [unrolled: 1-line block ×3, first 2 shown]
	s_delay_alu instid0(VALU_DEP_4) | instskip(SKIP_1) | instid1(VALU_DEP_4)
	v_dual_fmac_f32 v70, v4, v72 :: v_dual_add_f32 v169, v169, v22
	v_fmac_f32_e32 v122, v3, v123
	v_dual_fmac_f32 v114, v4, v116 :: v_dual_add_f32 v173, v173, v10
	v_fmac_f32_e32 v130, v1, v129
	v_fmac_f32_e32 v62, v4, v64
	v_mul_f32_e32 v46, v2, v46
	s_delay_alu instid0(VALU_DEP_4)
	v_add_f32_e32 v147, v147, v114
	v_mul_f32_e32 v6, v2, v6
	v_fmac_f32_e32 v106, v3, v107
	v_mul_f32_e32 v86, v2, v86
	v_dual_add_f32 v157, v157, v70 :: v_dual_fmac_f32 v122, v4, v124
	v_add_f32_e32 v159, v159, v62
	v_fmac_f32_e32 v130, v3, v131
	v_mul_f32_e32 v54, v2, v54
	v_fmac_f32_e32 v46, v1, v45
	v_add_f32_e32 v145, v145, v122
	v_fmac_f32_e32 v6, v1, v5
	v_dual_mul_f32 v126, v2, v126 :: v_dual_add_nc_u32 v175, 0x200, v175
	v_mul_f32_e32 v118, v2, v118
	v_mul_f32_e32 v110, v2, v110
	v_fmac_f32_e32 v106, v4, v108
	v_fmac_f32_e32 v130, v4, v132
	v_mul_f32_e32 v102, v2, v102
	v_mul_f32_e32 v98, v2, v98
	;; [unrolled: 1-line block ×3, first 2 shown]
	v_add_f32_e32 v149, v149, v106
	v_fmac_f32_e32 v86, v1, v85
	v_mul_f32_e32 v82, v2, v82
	v_mul_f32_e32 v74, v2, v74
	;; [unrolled: 1-line block ×4, first 2 shown]
	v_fmac_f32_e32 v54, v1, v53
	v_mul_f32_e32 v50, v2, v50
	v_fmac_f32_e32 v46, v3, v47
	v_mul_f32_e32 v42, v2, v42
	v_mul_f32_e32 v38, v2, v38
	;; [unrolled: 1-line block ×6, first 2 shown]
	v_fmac_f32_e32 v6, v3, v7
	s_waitcnt vmcnt(0)
	v_mul_f32_e32 v2, v2, v94
	v_dual_add_f32 v143, v143, v130 :: v_dual_fmac_f32 v126, v1, v125
	v_fmac_f32_e32 v102, v1, v101
	v_fmac_f32_e32 v98, v1, v97
	;; [unrolled: 1-line block ×14, first 2 shown]
	s_delay_alu instid0(VALU_DEP_4)
	v_dual_fmac_f32 v34, v1, v33 :: v_dual_add_f32 v163, v163, v46
	v_fmac_f32_e32 v26, v1, v25
	v_fmac_f32_e32 v18, v1, v17
	;; [unrolled: 1-line block ×8, first 2 shown]
	v_add_f32_e32 v171, v171, v6
	v_fmac_f32_e32 v110, v3, v111
	v_fmac_f32_e32 v90, v3, v91
	;; [unrolled: 1-line block ×6, first 2 shown]
	s_delay_alu instid0(VALU_DEP_4)
	v_dual_fmac_f32 v66, v3, v67 :: v_dual_add_f32 v153, v153, v86
	v_fmac_f32_e32 v58, v3, v59
	v_fmac_f32_e32 v54, v4, v56
	;; [unrolled: 1-line block ×5, first 2 shown]
	s_delay_alu instid0(VALU_DEP_4)
	v_dual_fmac_f32 v38, v3, v39 :: v_dual_add_f32 v161, v161, v54
	v_fmac_f32_e32 v34, v3, v35
	v_fmac_f32_e32 v26, v3, v27
	;; [unrolled: 1-line block ×11, first 2 shown]
	s_delay_alu instid0(VALU_DEP_4)
	v_dual_fmac_f32 v74, v4, v76 :: v_dual_add_f32 v151, v151, v98
	v_fmac_f32_e32 v66, v4, v68
	v_fmac_f32_e32 v58, v4, v60
	;; [unrolled: 1-line block ×8, first 2 shown]
	s_delay_alu instid0(VALU_DEP_4)
	v_dual_fmac_f32 v18, v4, v20 :: v_dual_add_f32 v165, v165, v38
	v_fmac_f32_e32 v14, v4, v16
	v_fmac_f32_e32 v2, v4, v96
	v_add_co_u32 v134, vcc_lo, v134, 16
	v_add_co_ci_u32_e32 v135, vcc_lo, 0, v135, vcc_lo
	v_cmp_le_i32_e32 vcc_lo, s17, v133
	v_add_f32_e32 v144, v144, v126
	v_add_f32_e32 v146, v146, v118
	;; [unrolled: 1-line block ×16, first 2 shown]
	v_add_nc_u32_e32 v174, 0x80, v174
	s_or_b32 s5, vcc_lo, s5
	s_delay_alu instid0(SALU_CYCLE_1)
	s_and_not1_b32 exec_lo, exec_lo, s5
	s_cbranch_execz .LBB61_93
.LBB61_29:                              ; =>This Inner Loop Header: Depth=1
	global_load_b32 v3, v[134:135], off
	v_add_nc_u32_e32 v181, -3, v174
	v_add_nc_u32_e32 v183, -2, v174
	;; [unrolled: 1-line block ×3, first 2 shown]
	s_waitcnt vmcnt(0)
	v_mad_i64_i32 v[1:2], null, v3, s8, 0
	s_delay_alu instid0(VALU_DEP_1) | instskip(NEXT) | instid1(VALU_DEP_1)
	v_lshlrev_b64 v[1:2], 2, v[1:2]
	v_add_co_u32 v93, vcc_lo, s3, v1
	scratch_load_b32 v1, off, off           ; 4-byte Folded Reload
	v_add_co_ci_u32_e32 v94, vcc_lo, s4, v2, vcc_lo
	s_waitcnt vmcnt(0)
	v_add_co_u32 v33, vcc_lo, v93, v1
	s_delay_alu instid0(VALU_DEP_2)
	v_add_co_ci_u32_e32 v34, vcc_lo, 0, v94, vcc_lo
	ds_load_b128 v[1:4], v175
	v_cmp_eq_u32_e32 vcc_lo, s7, v133
	global_load_b128 v[5:8], v[33:34], off
	s_and_saveexec_b32 s9, vcc_lo
	s_cbranch_execnz .LBB61_86
; %bb.30:                               ;   in Loop: Header=BB61_29 Depth=1
	s_or_b32 exec_lo, exec_lo, s9
	global_load_b128 v[9:12], v[33:34], off offset:512
	s_and_saveexec_b32 s9, vcc_lo
	s_cbranch_execnz .LBB61_87
.LBB61_31:                              ;   in Loop: Header=BB61_29 Depth=1
	s_or_b32 exec_lo, exec_lo, s9
	global_load_b128 v[13:16], v[33:34], off offset:1024
	s_and_saveexec_b32 s9, vcc_lo
	s_cbranch_execnz .LBB61_88
.LBB61_32:                              ;   in Loop: Header=BB61_29 Depth=1
	s_or_b32 exec_lo, exec_lo, s9
	global_load_b128 v[17:20], v[33:34], off offset:1536
	s_and_saveexec_b32 s9, vcc_lo
	s_cbranch_execnz .LBB61_89
.LBB61_33:                              ;   in Loop: Header=BB61_29 Depth=1
	s_or_b32 exec_lo, exec_lo, s9
	global_load_b128 v[21:24], v[33:34], off offset:2048
	s_and_saveexec_b32 s9, vcc_lo
	s_cbranch_execnz .LBB61_90
.LBB61_34:                              ;   in Loop: Header=BB61_29 Depth=1
	s_or_b32 exec_lo, exec_lo, s9
	global_load_b128 v[25:28], v[33:34], off offset:2560
	s_and_saveexec_b32 s9, vcc_lo
	s_cbranch_execnz .LBB61_91
.LBB61_35:                              ;   in Loop: Header=BB61_29 Depth=1
	s_or_b32 exec_lo, exec_lo, s9
	global_load_b128 v[29:32], v[33:34], off offset:3072
	s_and_saveexec_b32 s9, vcc_lo
	s_cbranch_execnz .LBB61_92
.LBB61_36:                              ;   in Loop: Header=BB61_29 Depth=1
	s_or_b32 exec_lo, exec_lo, s9
	global_load_b128 v[33:36], v[33:34], off offset:3584
	s_and_saveexec_b32 s9, vcc_lo
	s_cbranch_execz .LBB61_38
.LBB61_37:                              ;   in Loop: Header=BB61_29 Depth=1
	v_cmp_gt_i32_e64 s0, s33, v181
	s_waitcnt vmcnt(0)
	s_delay_alu instid0(VALU_DEP_1) | instskip(SKIP_1) | instid1(VALU_DEP_1)
	v_cndmask_b32_e64 v33, 0, v33, s0
	v_cmp_gt_i32_e64 s0, s33, v183
	v_cndmask_b32_e64 v34, 0, v34, s0
	v_cmp_gt_i32_e64 s0, s33, v182
	s_delay_alu instid0(VALU_DEP_1) | instskip(SKIP_1) | instid1(VALU_DEP_1)
	v_cndmask_b32_e64 v35, 0, v35, s0
	v_cmp_gt_i32_e64 s0, s33, v174
	v_cndmask_b32_e64 v36, 0, v36, s0
.LBB61_38:                              ;   in Loop: Header=BB61_29 Depth=1
	s_or_b32 exec_lo, exec_lo, s9
	scratch_load_b32 v37, off, off offset:4 ; 4-byte Folded Reload
	s_waitcnt vmcnt(0)
	v_add_co_u32 v37, s0, v93, v37
	s_delay_alu instid0(VALU_DEP_1)
	v_add_co_ci_u32_e64 v38, s0, 0, v94, s0
	global_load_b128 v[37:40], v[37:38], off
	s_and_saveexec_b32 s9, vcc_lo
	s_cbranch_execz .LBB61_40
; %bb.39:                               ;   in Loop: Header=BB61_29 Depth=1
	v_cmp_gt_i32_e64 s0, s33, v181
	s_waitcnt vmcnt(0)
	s_delay_alu instid0(VALU_DEP_1) | instskip(SKIP_1) | instid1(VALU_DEP_1)
	v_cndmask_b32_e64 v37, 0, v37, s0
	v_cmp_gt_i32_e64 s0, s33, v183
	v_cndmask_b32_e64 v38, 0, v38, s0
	v_cmp_gt_i32_e64 s0, s33, v182
	s_delay_alu instid0(VALU_DEP_1) | instskip(SKIP_1) | instid1(VALU_DEP_1)
	v_cndmask_b32_e64 v39, 0, v39, s0
	v_cmp_gt_i32_e64 s0, s33, v174
	v_cndmask_b32_e64 v40, 0, v40, s0
.LBB61_40:                              ;   in Loop: Header=BB61_29 Depth=1
	s_or_b32 exec_lo, exec_lo, s9
	scratch_load_b32 v41, off, off offset:8 ; 4-byte Folded Reload
	s_waitcnt vmcnt(0)
	v_add_co_u32 v41, s0, v93, v41
	s_delay_alu instid0(VALU_DEP_1)
	v_add_co_ci_u32_e64 v42, s0, 0, v94, s0
	global_load_b128 v[41:44], v[41:42], off
	s_and_saveexec_b32 s9, vcc_lo
	s_cbranch_execz .LBB61_42
; %bb.41:                               ;   in Loop: Header=BB61_29 Depth=1
	v_cmp_gt_i32_e64 s0, s33, v181
	s_waitcnt vmcnt(0)
	s_delay_alu instid0(VALU_DEP_1) | instskip(SKIP_1) | instid1(VALU_DEP_1)
	v_cndmask_b32_e64 v41, 0, v41, s0
	v_cmp_gt_i32_e64 s0, s33, v183
	v_cndmask_b32_e64 v42, 0, v42, s0
	v_cmp_gt_i32_e64 s0, s33, v182
	s_delay_alu instid0(VALU_DEP_1) | instskip(SKIP_1) | instid1(VALU_DEP_1)
	v_cndmask_b32_e64 v43, 0, v43, s0
	v_cmp_gt_i32_e64 s0, s33, v174
	v_cndmask_b32_e64 v44, 0, v44, s0
.LBB61_42:                              ;   in Loop: Header=BB61_29 Depth=1
	;; [unrolled: 22-line block ×7, first 2 shown]
	s_or_b32 exec_lo, exec_lo, s9
	v_add_co_u32 v65, s0, v93, v184
	s_delay_alu instid0(VALU_DEP_1)
	v_add_co_ci_u32_e64 v66, s0, 0, v94, s0
	global_load_b128 v[65:68], v[65:66], off
	s_and_saveexec_b32 s9, vcc_lo
	s_cbranch_execz .LBB61_54
; %bb.53:                               ;   in Loop: Header=BB61_29 Depth=1
	v_cmp_gt_i32_e64 s0, s33, v181
	s_waitcnt vmcnt(0)
	s_delay_alu instid0(VALU_DEP_1) | instskip(SKIP_1) | instid1(VALU_DEP_1)
	v_cndmask_b32_e64 v65, 0, v65, s0
	v_cmp_gt_i32_e64 s0, s33, v183
	v_cndmask_b32_e64 v66, 0, v66, s0
	v_cmp_gt_i32_e64 s0, s33, v182
	s_delay_alu instid0(VALU_DEP_1) | instskip(SKIP_1) | instid1(VALU_DEP_1)
	v_cndmask_b32_e64 v67, 0, v67, s0
	v_cmp_gt_i32_e64 s0, s33, v174
	v_cndmask_b32_e64 v68, 0, v68, s0
.LBB61_54:                              ;   in Loop: Header=BB61_29 Depth=1
	s_or_b32 exec_lo, exec_lo, s9
	v_add_co_u32 v69, s0, v93, v185
	s_delay_alu instid0(VALU_DEP_1)
	v_add_co_ci_u32_e64 v70, s0, 0, v94, s0
	global_load_b128 v[69:72], v[69:70], off
	s_and_saveexec_b32 s9, vcc_lo
	s_cbranch_execz .LBB61_56
; %bb.55:                               ;   in Loop: Header=BB61_29 Depth=1
	v_cmp_gt_i32_e64 s0, s33, v181
	s_waitcnt vmcnt(0)
	s_delay_alu instid0(VALU_DEP_1) | instskip(SKIP_1) | instid1(VALU_DEP_1)
	v_cndmask_b32_e64 v69, 0, v69, s0
	v_cmp_gt_i32_e64 s0, s33, v183
	v_cndmask_b32_e64 v70, 0, v70, s0
	v_cmp_gt_i32_e64 s0, s33, v182
	s_delay_alu instid0(VALU_DEP_1) | instskip(SKIP_1) | instid1(VALU_DEP_1)
	v_cndmask_b32_e64 v71, 0, v71, s0
	v_cmp_gt_i32_e64 s0, s33, v174
	v_cndmask_b32_e64 v72, 0, v72, s0
.LBB61_56:                              ;   in Loop: Header=BB61_29 Depth=1
	;; [unrolled: 20-line block ×16, first 2 shown]
	s_or_b32 exec_lo, exec_lo, s9
	v_add_co_u32 v93, s0, v93, v180
	s_delay_alu instid0(VALU_DEP_1)
	v_add_co_ci_u32_e64 v94, s0, 0, v94, s0
	global_load_b128 v[93:96], v[93:94], off
	s_and_saveexec_b32 s0, vcc_lo
	s_cbranch_execz .LBB61_28
; %bb.85:                               ;   in Loop: Header=BB61_29 Depth=1
	v_cmp_gt_i32_e32 vcc_lo, s33, v181
	s_waitcnt vmcnt(0)
	v_cndmask_b32_e32 v93, 0, v93, vcc_lo
	v_cmp_gt_i32_e32 vcc_lo, s33, v183
	v_cndmask_b32_e32 v94, 0, v94, vcc_lo
	v_cmp_gt_i32_e32 vcc_lo, s33, v182
	;; [unrolled: 2-line block ×3, first 2 shown]
	v_cndmask_b32_e32 v96, 0, v96, vcc_lo
	s_branch .LBB61_28
.LBB61_86:                              ;   in Loop: Header=BB61_29 Depth=1
	v_cmp_gt_i32_e64 s0, s33, v181
	s_waitcnt vmcnt(0)
	s_delay_alu instid0(VALU_DEP_1) | instskip(SKIP_1) | instid1(VALU_DEP_1)
	v_cndmask_b32_e64 v5, 0, v5, s0
	v_cmp_gt_i32_e64 s0, s33, v183
	v_cndmask_b32_e64 v6, 0, v6, s0
	v_cmp_gt_i32_e64 s0, s33, v182
	s_delay_alu instid0(VALU_DEP_1) | instskip(SKIP_1) | instid1(VALU_DEP_1)
	v_cndmask_b32_e64 v7, 0, v7, s0
	v_cmp_gt_i32_e64 s0, s33, v174
	v_cndmask_b32_e64 v8, 0, v8, s0
	s_or_b32 exec_lo, exec_lo, s9
	global_load_b128 v[9:12], v[33:34], off offset:512
	s_and_saveexec_b32 s9, vcc_lo
	s_cbranch_execz .LBB61_31
.LBB61_87:                              ;   in Loop: Header=BB61_29 Depth=1
	v_cmp_gt_i32_e64 s0, s33, v181
	s_waitcnt vmcnt(0)
	s_delay_alu instid0(VALU_DEP_1) | instskip(SKIP_1) | instid1(VALU_DEP_1)
	v_cndmask_b32_e64 v9, 0, v9, s0
	v_cmp_gt_i32_e64 s0, s33, v183
	v_cndmask_b32_e64 v10, 0, v10, s0
	v_cmp_gt_i32_e64 s0, s33, v182
	s_delay_alu instid0(VALU_DEP_1) | instskip(SKIP_1) | instid1(VALU_DEP_1)
	v_cndmask_b32_e64 v11, 0, v11, s0
	v_cmp_gt_i32_e64 s0, s33, v174
	v_cndmask_b32_e64 v12, 0, v12, s0
	s_or_b32 exec_lo, exec_lo, s9
	global_load_b128 v[13:16], v[33:34], off offset:1024
	s_and_saveexec_b32 s9, vcc_lo
	s_cbranch_execz .LBB61_32
.LBB61_88:                              ;   in Loop: Header=BB61_29 Depth=1
	v_cmp_gt_i32_e64 s0, s33, v181
	s_waitcnt vmcnt(0)
	s_delay_alu instid0(VALU_DEP_1) | instskip(SKIP_1) | instid1(VALU_DEP_1)
	v_cndmask_b32_e64 v13, 0, v13, s0
	v_cmp_gt_i32_e64 s0, s33, v183
	v_cndmask_b32_e64 v14, 0, v14, s0
	v_cmp_gt_i32_e64 s0, s33, v182
	s_delay_alu instid0(VALU_DEP_1) | instskip(SKIP_1) | instid1(VALU_DEP_1)
	v_cndmask_b32_e64 v15, 0, v15, s0
	v_cmp_gt_i32_e64 s0, s33, v174
	v_cndmask_b32_e64 v16, 0, v16, s0
	s_or_b32 exec_lo, exec_lo, s9
	global_load_b128 v[17:20], v[33:34], off offset:1536
	s_and_saveexec_b32 s9, vcc_lo
	s_cbranch_execz .LBB61_33
.LBB61_89:                              ;   in Loop: Header=BB61_29 Depth=1
	v_cmp_gt_i32_e64 s0, s33, v181
	s_waitcnt vmcnt(0)
	s_delay_alu instid0(VALU_DEP_1) | instskip(SKIP_1) | instid1(VALU_DEP_1)
	v_cndmask_b32_e64 v17, 0, v17, s0
	v_cmp_gt_i32_e64 s0, s33, v183
	v_cndmask_b32_e64 v18, 0, v18, s0
	v_cmp_gt_i32_e64 s0, s33, v182
	s_delay_alu instid0(VALU_DEP_1) | instskip(SKIP_1) | instid1(VALU_DEP_1)
	v_cndmask_b32_e64 v19, 0, v19, s0
	v_cmp_gt_i32_e64 s0, s33, v174
	v_cndmask_b32_e64 v20, 0, v20, s0
	s_or_b32 exec_lo, exec_lo, s9
	global_load_b128 v[21:24], v[33:34], off offset:2048
	s_and_saveexec_b32 s9, vcc_lo
	s_cbranch_execz .LBB61_34
.LBB61_90:                              ;   in Loop: Header=BB61_29 Depth=1
	v_cmp_gt_i32_e64 s0, s33, v181
	s_waitcnt vmcnt(0)
	s_delay_alu instid0(VALU_DEP_1) | instskip(SKIP_1) | instid1(VALU_DEP_1)
	v_cndmask_b32_e64 v21, 0, v21, s0
	v_cmp_gt_i32_e64 s0, s33, v183
	v_cndmask_b32_e64 v22, 0, v22, s0
	v_cmp_gt_i32_e64 s0, s33, v182
	s_delay_alu instid0(VALU_DEP_1) | instskip(SKIP_1) | instid1(VALU_DEP_1)
	v_cndmask_b32_e64 v23, 0, v23, s0
	v_cmp_gt_i32_e64 s0, s33, v174
	v_cndmask_b32_e64 v24, 0, v24, s0
	s_or_b32 exec_lo, exec_lo, s9
	global_load_b128 v[25:28], v[33:34], off offset:2560
	s_and_saveexec_b32 s9, vcc_lo
	s_cbranch_execz .LBB61_35
.LBB61_91:                              ;   in Loop: Header=BB61_29 Depth=1
	v_cmp_gt_i32_e64 s0, s33, v181
	s_waitcnt vmcnt(0)
	s_delay_alu instid0(VALU_DEP_1) | instskip(SKIP_1) | instid1(VALU_DEP_1)
	v_cndmask_b32_e64 v25, 0, v25, s0
	v_cmp_gt_i32_e64 s0, s33, v183
	v_cndmask_b32_e64 v26, 0, v26, s0
	v_cmp_gt_i32_e64 s0, s33, v182
	s_delay_alu instid0(VALU_DEP_1) | instskip(SKIP_1) | instid1(VALU_DEP_1)
	v_cndmask_b32_e64 v27, 0, v27, s0
	v_cmp_gt_i32_e64 s0, s33, v174
	v_cndmask_b32_e64 v28, 0, v28, s0
	s_or_b32 exec_lo, exec_lo, s9
	global_load_b128 v[29:32], v[33:34], off offset:3072
	s_and_saveexec_b32 s9, vcc_lo
	s_cbranch_execz .LBB61_36
.LBB61_92:                              ;   in Loop: Header=BB61_29 Depth=1
	v_cmp_gt_i32_e64 s0, s33, v181
	s_waitcnt vmcnt(0)
	s_delay_alu instid0(VALU_DEP_1) | instskip(SKIP_1) | instid1(VALU_DEP_1)
	v_cndmask_b32_e64 v29, 0, v29, s0
	v_cmp_gt_i32_e64 s0, s33, v183
	v_cndmask_b32_e64 v30, 0, v30, s0
	v_cmp_gt_i32_e64 s0, s33, v182
	s_delay_alu instid0(VALU_DEP_1) | instskip(SKIP_1) | instid1(VALU_DEP_1)
	v_cndmask_b32_e64 v31, 0, v31, s0
	v_cmp_gt_i32_e64 s0, s33, v174
	v_cndmask_b32_e64 v32, 0, v32, s0
	s_or_b32 exec_lo, exec_lo, s9
	global_load_b128 v[33:36], v[33:34], off offset:3584
	s_and_saveexec_b32 s9, vcc_lo
	s_cbranch_execnz .LBB61_37
	s_branch .LBB61_38
.LBB61_93:
	s_or_b32 exec_lo, exec_lo, s5
	s_clause 0x3
	scratch_load_b32 v174, off, off offset:32
	scratch_load_b32 v175, off, off offset:36
	;; [unrolled: 1-line block ×4, first 2 shown]
.LBB61_94:
	s_or_b32 exec_lo, exec_lo, s1
	ds_bpermute_b32 v4, v140, v169
	ds_bpermute_b32 v0, v140, v171
	;; [unrolled: 1-line block ×20, first 2 shown]
	s_waitcnt lgkmcnt(19)
	v_add_f32_e32 v4, v169, v4
	s_waitcnt lgkmcnt(18)
	v_add_f32_e32 v0, v171, v0
	s_waitcnt lgkmcnt(16)
	v_dual_add_f32 v2, v172, v2 :: v_dual_add_f32 v3, v170, v3
	s_waitcnt lgkmcnt(14)
	v_dual_add_f32 v5, v168, v5 :: v_dual_add_f32 v6, v167, v6
	s_waitcnt lgkmcnt(13)
	v_add_f32_e32 v7, v166, v7
	ds_bpermute_b32 v22, v139, v4
	s_waitcnt lgkmcnt(13)
	v_add_f32_e32 v1, v173, v1
	ds_bpermute_b32 v18, v139, v0
	ds_bpermute_b32 v20, v139, v2
	;; [unrolled: 1-line block ×7, first 2 shown]
	s_waitcnt lgkmcnt(18)
	v_dual_add_f32 v8, v165, v8 :: v_dual_add_f32 v9, v164, v9
	s_waitcnt lgkmcnt(16)
	v_dual_add_f32 v10, v163, v10 :: v_dual_add_f32 v11, v162, v11
	;; [unrolled: 2-line block ×3, first 2 shown]
	ds_bpermute_b32 v26, v139, v8
	ds_bpermute_b32 v27, v139, v9
	;; [unrolled: 1-line block ×4, first 2 shown]
	s_waitcnt lgkmcnt(17)
	v_add_f32_e32 v14, v159, v14
	s_waitcnt lgkmcnt(11)
	v_add_f32_e32 v4, v4, v22
	v_dual_add_f32 v16, v157, v16 :: v_dual_add_f32 v17, v156, v17
	s_waitcnt lgkmcnt(10)
	v_add_f32_e32 v0, v0, v18
	s_waitcnt lgkmcnt(8)
	v_dual_add_f32 v2, v2, v20 :: v_dual_add_f32 v3, v3, v21
	s_waitcnt lgkmcnt(6)
	v_dual_add_f32 v5, v5, v23 :: v_dual_add_f32 v6, v6, v24
	s_waitcnt lgkmcnt(5)
	v_add_f32_e32 v7, v7, v25
	ds_bpermute_b32 v22, v138, v4
	s_waitcnt lgkmcnt(5)
	v_add_f32_e32 v1, v1, v19
	ds_bpermute_b32 v18, v138, v0
	ds_bpermute_b32 v20, v138, v2
	;; [unrolled: 1-line block ×7, first 2 shown]
	s_waitcnt lgkmcnt(8)
	v_dual_add_f32 v8, v8, v26 :: v_dual_add_f32 v11, v11, v29
	v_dual_add_f32 v9, v9, v27 :: v_dual_add_f32 v10, v10, v28
	ds_bpermute_b32 v33, v140, v147
	v_add_f32_e32 v15, v158, v15
	ds_bpermute_b32 v26, v138, v8
	ds_bpermute_b32 v27, v138, v9
	;; [unrolled: 1-line block ×5, first 2 shown]
	s_waitcnt lgkmcnt(13)
	v_add_f32_e32 v4, v4, v22
	ds_bpermute_b32 v22, v140, v155
	s_waitcnt lgkmcnt(13)
	v_add_f32_e32 v0, v0, v18
	s_waitcnt lgkmcnt(12)
	v_add_f32_e32 v2, v2, v20
	ds_bpermute_b32 v18, v139, v12
	s_waitcnt lgkmcnt(11)
	v_add_f32_e32 v5, v5, v23
	ds_bpermute_b32 v20, v139, v13
	v_add_f32_e32 v3, v3, v21
	ds_bpermute_b32 v21, v139, v14
	s_waitcnt lgkmcnt(11)
	v_dual_add_f32 v6, v6, v24 :: v_dual_add_f32 v7, v7, v25
	ds_bpermute_b32 v23, v140, v154
	ds_bpermute_b32 v24, v140, v153
	;; [unrolled: 1-line block ×3, first 2 shown]
	s_waitcnt lgkmcnt(13)
	v_add_f32_e32 v1, v1, v19
	ds_bpermute_b32 v28, v138, v10
	s_waitcnt lgkmcnt(11)
	v_dual_add_f32 v8, v8, v26 :: v_dual_add_f32 v9, v9, v27
	ds_bpermute_b32 v26, v139, v16
	ds_bpermute_b32 v19, v138, v11
	;; [unrolled: 1-line block ×3, first 2 shown]
	s_waitcnt lgkmcnt(11)
	v_dual_add_f32 v36, v145, v36 :: v_dual_add_f32 v39, v143, v39
	s_mov_b32 s0, exec_lo
	s_waitcnt lgkmcnt(9)
	v_add_f32_e32 v12, v12, v18
	ds_bpermute_b32 v18, v139, v17
	s_waitcnt lgkmcnt(9)
	v_add_f32_e32 v13, v13, v20
	ds_bpermute_b32 v20, v140, v152
	s_waitcnt lgkmcnt(9)
	v_dual_add_f32 v14, v14, v21 :: v_dual_add_f32 v21, v155, v22
	ds_bpermute_b32 v45, v139, v36
	s_waitcnt lgkmcnt(8)
	v_dual_add_f32 v23, v154, v23 :: v_dual_add_f32 v24, v153, v24
	s_waitcnt lgkmcnt(7)
	v_add_f32_e32 v15, v15, v25
	ds_bpermute_b32 v25, v140, v151
	s_waitcnt lgkmcnt(7)
	v_add_f32_e32 v10, v10, v28
	ds_bpermute_b32 v28, v139, v21
	ds_bpermute_b32 v29, v139, v23
	;; [unrolled: 1-line block ×3, first 2 shown]
	s_waitcnt lgkmcnt(8)
	v_dual_add_f32 v11, v11, v19 :: v_dual_add_f32 v16, v16, v26
	ds_bpermute_b32 v26, v140, v148
	ds_bpermute_b32 v22, v138, v13
	;; [unrolled: 1-line block ×4, first 2 shown]
	s_waitcnt lgkmcnt(10)
	v_add_f32_e32 v17, v17, v18
	ds_bpermute_b32 v18, v140, v146
	s_waitcnt lgkmcnt(10)
	v_add_f32_e32 v20, v152, v20
	ds_bpermute_b32 v27, v138, v14
	ds_bpermute_b32 v35, v138, v16
	s_waitcnt lgkmcnt(11)
	v_add_f32_e32 v36, v36, v45
	ds_bpermute_b32 v38, v138, v17
	s_waitcnt vmcnt(0) lgkmcnt(0)
	s_waitcnt_vscnt null, 0x0
	s_barrier
	v_add_f32_e32 v25, v151, v25
	v_add_f32_e32 v37, v144, v37
	;; [unrolled: 1-line block ×3, first 2 shown]
	ds_bpermute_b32 v28, v139, v20
	v_dual_add_f32 v24, v24, v30 :: v_dual_add_f32 v23, v23, v29
	v_dual_add_f32 v29, v150, v31 :: v_dual_add_f32 v30, v149, v32
	v_add_f32_e32 v32, v147, v33
	ds_bpermute_b32 v31, v139, v25
	v_add_f32_e32 v26, v148, v26
	v_add_f32_e32 v40, v142, v40
	;; [unrolled: 1-line block ×3, first 2 shown]
	ds_bpermute_b32 v33, v139, v29
	ds_bpermute_b32 v41, v139, v30
	;; [unrolled: 1-line block ×8, first 2 shown]
	v_dual_add_f32 v13, v13, v22 :: v_dual_add_f32 v12, v12, v19
	s_waitcnt lgkmcnt(9)
	v_dual_add_f32 v17, v17, v38 :: v_dual_add_f32 v28, v20, v28
	ds_bpermute_b32 v20, v139, v39
	v_add_f32_e32 v14, v14, v27
	s_waitcnt lgkmcnt(0)
	buffer_gl0_inv
	v_add_f32_e32 v15, v15, v34
	v_add_f32_e32 v25, v25, v31
	ds_bpermute_b32 v47, v139, v40
	ds_bpermute_b32 v31, v138, v24
	v_add_f32_e32 v29, v29, v33
	v_add_f32_e32 v30, v30, v41
	;; [unrolled: 1-line block ×3, first 2 shown]
	v_dual_add_f32 v32, v32, v43 :: v_dual_add_f32 v43, v18, v44
	v_add_f32_e32 v37, v37, v46
	ds_bpermute_b32 v50, v138, v28
	ds_bpermute_b32 v33, v138, v25
	;; [unrolled: 1-line block ×6, first 2 shown]
	v_add_f32_e32 v39, v39, v20
	ds_bpermute_b32 v44, v138, v26
	ds_bpermute_b32 v46, v138, v36
	v_add_f32_e32 v16, v16, v35
	v_add_f32_e32 v18, v21, v48
	s_waitcnt lgkmcnt(9)
	v_add_f32_e32 v40, v40, v47
	ds_bpermute_b32 v47, v138, v37
	ds_bpermute_b32 v52, v138, v39
	s_waitcnt lgkmcnt(10)
	v_dual_add_f32 v19, v23, v49 :: v_dual_add_f32 v20, v24, v31
	ds_bpermute_b32 v53, v138, v40
	v_and_b32_e32 v34, 0x3c7, v174
	s_waitcnt lgkmcnt(9)
	v_dual_add_f32 v21, v28, v50 :: v_dual_add_f32 v22, v25, v33
	s_waitcnt lgkmcnt(7)
	v_dual_add_f32 v23, v29, v41 :: v_dual_add_f32 v24, v30, v42
	v_lshl_add_u32 v33, v175, 9, 0x220
	s_waitcnt lgkmcnt(5)
	v_add_f32_e32 v27, v43, v45
	s_waitcnt lgkmcnt(4)
	v_dual_add_f32 v25, v26, v44 :: v_dual_add_f32 v26, v32, v51
	s_waitcnt lgkmcnt(3)
	v_add_f32_e32 v28, v36, v46
	v_lshrrev_b32_e32 v32, 3, v176
	s_waitcnt lgkmcnt(1)
	v_dual_add_f32 v29, v37, v47 :: v_dual_add_f32 v30, v39, v52
	s_waitcnt lgkmcnt(0)
	v_add_f32_e32 v31, v40, v53
	v_cmpx_eq_u32_e32 64, v34
	s_cbranch_execz .LBB61_96
; %bb.95:
	v_lshlrev_b32_e32 v34, 2, v32
	s_delay_alu instid0(VALU_DEP_1)
	v_add3_u32 v34, v33, v34, 0xfffffc00
	ds_store_2addr_b32 v34, v0, v1 offset1:4
	ds_store_2addr_b32 v34, v2, v3 offset0:8 offset1:12
	ds_store_2addr_b32 v34, v4, v5 offset0:16 offset1:20
	;; [unrolled: 1-line block ×15, first 2 shown]
.LBB61_96:
	s_or_b32 exec_lo, exec_lo, s0
	v_cmp_eq_u32_e32 vcc_lo, 0, v54
	s_mov_b32 s1, exec_lo
	s_waitcnt lgkmcnt(0)
	s_barrier
	buffer_gl0_inv
	v_cmpx_gt_u32_e32 64, v174
	s_cbranch_execz .LBB61_131
; %bb.97:
	s_and_saveexec_b32 s0, vcc_lo
	s_cbranch_execnz .LBB61_171
; %bb.98:
	s_or_b32 exec_lo, exec_lo, s0
	s_and_saveexec_b32 s0, vcc_lo
	s_cbranch_execnz .LBB61_172
.LBB61_99:
	s_or_b32 exec_lo, exec_lo, s0
	s_and_saveexec_b32 s0, vcc_lo
	s_cbranch_execnz .LBB61_173
.LBB61_100:
	s_or_b32 exec_lo, exec_lo, s0
	s_and_saveexec_b32 s0, vcc_lo
	s_cbranch_execnz .LBB61_174
.LBB61_101:
	s_or_b32 exec_lo, exec_lo, s0
	s_and_saveexec_b32 s0, vcc_lo
	s_cbranch_execnz .LBB61_175
.LBB61_102:
	s_or_b32 exec_lo, exec_lo, s0
	s_and_saveexec_b32 s0, vcc_lo
	s_cbranch_execnz .LBB61_176
.LBB61_103:
	s_or_b32 exec_lo, exec_lo, s0
	s_and_saveexec_b32 s0, vcc_lo
	s_cbranch_execnz .LBB61_177
.LBB61_104:
	s_or_b32 exec_lo, exec_lo, s0
	s_and_saveexec_b32 s0, vcc_lo
	s_cbranch_execnz .LBB61_178
.LBB61_105:
	s_or_b32 exec_lo, exec_lo, s0
	s_and_saveexec_b32 s0, vcc_lo
	s_cbranch_execnz .LBB61_179
.LBB61_106:
	s_or_b32 exec_lo, exec_lo, s0
	s_and_saveexec_b32 s0, vcc_lo
	s_cbranch_execnz .LBB61_180
.LBB61_107:
	s_or_b32 exec_lo, exec_lo, s0
	s_and_saveexec_b32 s0, vcc_lo
	s_cbranch_execnz .LBB61_181
.LBB61_108:
	s_or_b32 exec_lo, exec_lo, s0
	s_and_saveexec_b32 s0, vcc_lo
	s_cbranch_execnz .LBB61_182
.LBB61_109:
	s_or_b32 exec_lo, exec_lo, s0
	s_and_saveexec_b32 s0, vcc_lo
	s_cbranch_execnz .LBB61_183
.LBB61_110:
	s_or_b32 exec_lo, exec_lo, s0
	s_and_saveexec_b32 s0, vcc_lo
	s_cbranch_execnz .LBB61_184
.LBB61_111:
	s_or_b32 exec_lo, exec_lo, s0
	s_and_saveexec_b32 s0, vcc_lo
	s_cbranch_execnz .LBB61_185
.LBB61_112:
	s_or_b32 exec_lo, exec_lo, s0
	s_and_saveexec_b32 s0, vcc_lo
	s_cbranch_execnz .LBB61_186
.LBB61_113:
	s_or_b32 exec_lo, exec_lo, s0
	s_and_saveexec_b32 s0, vcc_lo
	s_cbranch_execnz .LBB61_187
.LBB61_114:
	s_or_b32 exec_lo, exec_lo, s0
	s_and_saveexec_b32 s0, vcc_lo
	s_cbranch_execnz .LBB61_188
.LBB61_115:
	s_or_b32 exec_lo, exec_lo, s0
	s_and_saveexec_b32 s0, vcc_lo
	s_cbranch_execnz .LBB61_189
.LBB61_116:
	s_or_b32 exec_lo, exec_lo, s0
	s_and_saveexec_b32 s0, vcc_lo
	s_cbranch_execnz .LBB61_190
.LBB61_117:
	s_or_b32 exec_lo, exec_lo, s0
	s_and_saveexec_b32 s0, vcc_lo
	s_cbranch_execnz .LBB61_191
.LBB61_118:
	s_or_b32 exec_lo, exec_lo, s0
	s_and_saveexec_b32 s0, vcc_lo
	s_cbranch_execnz .LBB61_192
.LBB61_119:
	s_or_b32 exec_lo, exec_lo, s0
	s_and_saveexec_b32 s0, vcc_lo
	s_cbranch_execnz .LBB61_193
.LBB61_120:
	s_or_b32 exec_lo, exec_lo, s0
	s_and_saveexec_b32 s0, vcc_lo
	s_cbranch_execnz .LBB61_194
.LBB61_121:
	s_or_b32 exec_lo, exec_lo, s0
	s_and_saveexec_b32 s0, vcc_lo
	s_cbranch_execnz .LBB61_195
.LBB61_122:
	s_or_b32 exec_lo, exec_lo, s0
	s_and_saveexec_b32 s0, vcc_lo
	s_cbranch_execnz .LBB61_196
.LBB61_123:
	s_or_b32 exec_lo, exec_lo, s0
	s_and_saveexec_b32 s0, vcc_lo
	s_cbranch_execnz .LBB61_197
.LBB61_124:
	s_or_b32 exec_lo, exec_lo, s0
	s_and_saveexec_b32 s0, vcc_lo
	s_cbranch_execnz .LBB61_198
.LBB61_125:
	s_or_b32 exec_lo, exec_lo, s0
	s_and_saveexec_b32 s0, vcc_lo
	s_cbranch_execnz .LBB61_199
.LBB61_126:
	s_or_b32 exec_lo, exec_lo, s0
	s_and_saveexec_b32 s0, vcc_lo
	s_cbranch_execnz .LBB61_200
.LBB61_127:
	s_or_b32 exec_lo, exec_lo, s0
	s_and_saveexec_b32 s0, vcc_lo
	s_cbranch_execnz .LBB61_201
.LBB61_128:
	s_or_b32 exec_lo, exec_lo, s0
	s_and_saveexec_b32 s0, vcc_lo
	s_cbranch_execz .LBB61_130
.LBB61_129:
	v_lshl_add_u32 v34, v32, 2, v33
	ds_load_b32 v34, v34 offset:496
	s_waitcnt lgkmcnt(0)
	v_add_f32_e32 v31, v31, v34
.LBB61_130:
	s_or_b32 exec_lo, exec_lo, s0
.LBB61_131:
	s_delay_alu instid0(SALU_CYCLE_1)
	s_or_b32 exec_lo, exec_lo, s1
	v_and_b32_e32 v34, 0x3e7, v174
	s_mov_b32 s1, exec_lo
	s_barrier
	buffer_gl0_inv
	v_cmpx_eq_u32_e32 32, v34
	s_cbranch_execz .LBB61_133
; %bb.132:
	v_lshl_add_u32 v35, v32, 2, 0x220
	ds_store_2addr_b32 v35, v0, v1 offset1:4
	ds_store_2addr_b32 v35, v2, v3 offset0:8 offset1:12
	ds_store_2addr_b32 v35, v4, v5 offset0:16 offset1:20
	;; [unrolled: 1-line block ×15, first 2 shown]
.LBB61_133:
	s_or_b32 exec_lo, exec_lo, s1
	s_waitcnt lgkmcnt(0)
	s_barrier
	buffer_gl0_inv
	s_and_saveexec_b32 s0, s2
	s_cbranch_execz .LBB61_168
; %bb.134:
	v_lshl_add_u32 v32, v32, 2, v33
	s_and_saveexec_b32 s1, vcc_lo
	s_cbranch_execnz .LBB61_202
; %bb.135:
	s_or_b32 exec_lo, exec_lo, s1
	s_and_saveexec_b32 s1, vcc_lo
	s_cbranch_execnz .LBB61_203
.LBB61_136:
	s_or_b32 exec_lo, exec_lo, s1
	s_and_saveexec_b32 s1, vcc_lo
	s_cbranch_execnz .LBB61_204
.LBB61_137:
	s_or_b32 exec_lo, exec_lo, s1
	s_and_saveexec_b32 s1, vcc_lo
	s_cbranch_execnz .LBB61_205
.LBB61_138:
	s_or_b32 exec_lo, exec_lo, s1
	s_and_saveexec_b32 s1, vcc_lo
	s_cbranch_execnz .LBB61_206
.LBB61_139:
	s_or_b32 exec_lo, exec_lo, s1
	s_and_saveexec_b32 s1, vcc_lo
	s_cbranch_execnz .LBB61_207
.LBB61_140:
	s_or_b32 exec_lo, exec_lo, s1
	s_and_saveexec_b32 s1, vcc_lo
	s_cbranch_execnz .LBB61_208
.LBB61_141:
	s_or_b32 exec_lo, exec_lo, s1
	s_and_saveexec_b32 s1, vcc_lo
	s_cbranch_execnz .LBB61_209
.LBB61_142:
	s_or_b32 exec_lo, exec_lo, s1
	s_and_saveexec_b32 s1, vcc_lo
	s_cbranch_execnz .LBB61_210
.LBB61_143:
	s_or_b32 exec_lo, exec_lo, s1
	s_and_saveexec_b32 s1, vcc_lo
	s_cbranch_execnz .LBB61_211
.LBB61_144:
	s_or_b32 exec_lo, exec_lo, s1
	s_and_saveexec_b32 s1, vcc_lo
	s_cbranch_execnz .LBB61_212
.LBB61_145:
	s_or_b32 exec_lo, exec_lo, s1
	s_and_saveexec_b32 s1, vcc_lo
	s_cbranch_execnz .LBB61_213
.LBB61_146:
	s_or_b32 exec_lo, exec_lo, s1
	s_and_saveexec_b32 s1, vcc_lo
	s_cbranch_execnz .LBB61_214
.LBB61_147:
	s_or_b32 exec_lo, exec_lo, s1
	s_and_saveexec_b32 s1, vcc_lo
	s_cbranch_execnz .LBB61_215
.LBB61_148:
	s_or_b32 exec_lo, exec_lo, s1
	s_and_saveexec_b32 s1, vcc_lo
	s_cbranch_execnz .LBB61_216
.LBB61_149:
	s_or_b32 exec_lo, exec_lo, s1
	s_and_saveexec_b32 s1, vcc_lo
	s_cbranch_execnz .LBB61_217
.LBB61_150:
	s_or_b32 exec_lo, exec_lo, s1
	s_and_saveexec_b32 s1, vcc_lo
	s_cbranch_execnz .LBB61_218
.LBB61_151:
	s_or_b32 exec_lo, exec_lo, s1
	s_and_saveexec_b32 s1, vcc_lo
	s_cbranch_execnz .LBB61_219
.LBB61_152:
	s_or_b32 exec_lo, exec_lo, s1
	s_and_saveexec_b32 s1, vcc_lo
	s_cbranch_execnz .LBB61_220
.LBB61_153:
	s_or_b32 exec_lo, exec_lo, s1
	s_and_saveexec_b32 s1, vcc_lo
	s_cbranch_execnz .LBB61_221
.LBB61_154:
	s_or_b32 exec_lo, exec_lo, s1
	s_and_saveexec_b32 s1, vcc_lo
	s_cbranch_execnz .LBB61_222
.LBB61_155:
	s_or_b32 exec_lo, exec_lo, s1
	s_and_saveexec_b32 s1, vcc_lo
	s_cbranch_execnz .LBB61_223
.LBB61_156:
	s_or_b32 exec_lo, exec_lo, s1
	s_and_saveexec_b32 s1, vcc_lo
	s_cbranch_execnz .LBB61_224
.LBB61_157:
	s_or_b32 exec_lo, exec_lo, s1
	s_and_saveexec_b32 s1, vcc_lo
	s_cbranch_execnz .LBB61_225
.LBB61_158:
	s_or_b32 exec_lo, exec_lo, s1
	s_and_saveexec_b32 s1, vcc_lo
	s_cbranch_execnz .LBB61_226
.LBB61_159:
	s_or_b32 exec_lo, exec_lo, s1
	s_and_saveexec_b32 s1, vcc_lo
	s_cbranch_execnz .LBB61_227
.LBB61_160:
	s_or_b32 exec_lo, exec_lo, s1
	s_and_saveexec_b32 s1, vcc_lo
	s_cbranch_execnz .LBB61_228
.LBB61_161:
	s_or_b32 exec_lo, exec_lo, s1
	s_and_saveexec_b32 s1, vcc_lo
	s_cbranch_execnz .LBB61_229
.LBB61_162:
	s_or_b32 exec_lo, exec_lo, s1
	s_and_saveexec_b32 s1, vcc_lo
	s_cbranch_execnz .LBB61_230
.LBB61_163:
	s_or_b32 exec_lo, exec_lo, s1
	s_and_saveexec_b32 s1, vcc_lo
	s_cbranch_execnz .LBB61_231
.LBB61_164:
	s_or_b32 exec_lo, exec_lo, s1
	s_and_saveexec_b32 s1, vcc_lo
	s_cbranch_execnz .LBB61_232
.LBB61_165:
	s_or_b32 exec_lo, exec_lo, s1
	s_and_saveexec_b32 s1, vcc_lo
	s_cbranch_execz .LBB61_167
.LBB61_166:
	ds_load_b32 v32, v32 offset:496
	s_waitcnt lgkmcnt(0)
	v_add_f32_e32 v31, v31, v32
.LBB61_167:
	s_or_b32 exec_lo, exec_lo, s1
.LBB61_168:
	s_delay_alu instid0(SALU_CYCLE_1)
	s_or_b32 exec_lo, exec_lo, s0
	s_barrier
	buffer_gl0_inv
	s_mov_b32 s0, exec_lo
	v_cmpx_eq_u32_e32 0, v34
	s_cbranch_execz .LBB61_170
; %bb.169:
	s_lshl_b32 s0, s6, 7
	s_mul_i32 s2, s15, s16
	s_ashr_i32 s1, s0, 31
	v_lshrrev_b32_e32 v32, 1, v174
	s_lshl_b64 s[0:1], s[0:1], 2
	s_delay_alu instid0(SALU_CYCLE_1) | instskip(SKIP_2) | instid1(SALU_CYCLE_1)
	s_add_u32 s4, s18, s0
	s_addc_u32 s5, s19, s1
	s_ashr_i32 s3, s2, 31
	s_lshl_b64 s[0:1], s[2:3], 2
	s_delay_alu instid0(SALU_CYCLE_1) | instskip(SKIP_2) | instid1(SALU_CYCLE_1)
	s_add_u32 s2, s4, s0
	s_addc_u32 s3, s5, s1
	s_lshl_b32 s0, s12, 7
	s_ashr_i32 s1, s0, 31
	s_delay_alu instid0(SALU_CYCLE_1) | instskip(NEXT) | instid1(SALU_CYCLE_1)
	s_lshl_b64 s[0:1], s[0:1], 2
	s_add_u32 s0, s2, s0
	s_addc_u32 s1, s3, s1
	s_clause 0x1f
	global_store_b32 v32, v0, s[0:1]
	global_store_b32 v32, v1, s[0:1] offset:16
	global_store_b32 v32, v2, s[0:1] offset:32
	;; [unrolled: 1-line block ×31, first 2 shown]
.LBB61_170:
	s_nop 0
	s_sendmsg sendmsg(MSG_DEALLOC_VGPRS)
	s_endpgm
.LBB61_171:
	v_lshl_add_u32 v34, v32, 2, v33
	ds_load_b32 v34, v34
	s_waitcnt lgkmcnt(0)
	v_add_f32_e32 v0, v0, v34
	s_or_b32 exec_lo, exec_lo, s0
	s_and_saveexec_b32 s0, vcc_lo
	s_cbranch_execz .LBB61_99
.LBB61_172:
	v_lshl_add_u32 v34, v32, 2, v33
	ds_load_b32 v34, v34 offset:16
	s_waitcnt lgkmcnt(0)
	v_add_f32_e32 v1, v1, v34
	s_or_b32 exec_lo, exec_lo, s0
	s_and_saveexec_b32 s0, vcc_lo
	s_cbranch_execz .LBB61_100
.LBB61_173:
	v_lshl_add_u32 v34, v32, 2, v33
	ds_load_b32 v34, v34 offset:32
	s_waitcnt lgkmcnt(0)
	v_add_f32_e32 v2, v2, v34
	s_or_b32 exec_lo, exec_lo, s0
	s_and_saveexec_b32 s0, vcc_lo
	s_cbranch_execz .LBB61_101
.LBB61_174:
	v_lshl_add_u32 v34, v32, 2, v33
	ds_load_b32 v34, v34 offset:48
	s_waitcnt lgkmcnt(0)
	v_add_f32_e32 v3, v3, v34
	s_or_b32 exec_lo, exec_lo, s0
	s_and_saveexec_b32 s0, vcc_lo
	s_cbranch_execz .LBB61_102
.LBB61_175:
	v_lshl_add_u32 v34, v32, 2, v33
	ds_load_b32 v34, v34 offset:64
	s_waitcnt lgkmcnt(0)
	v_add_f32_e32 v4, v4, v34
	s_or_b32 exec_lo, exec_lo, s0
	s_and_saveexec_b32 s0, vcc_lo
	s_cbranch_execz .LBB61_103
.LBB61_176:
	v_lshl_add_u32 v34, v32, 2, v33
	ds_load_b32 v34, v34 offset:80
	s_waitcnt lgkmcnt(0)
	v_add_f32_e32 v5, v5, v34
	s_or_b32 exec_lo, exec_lo, s0
	s_and_saveexec_b32 s0, vcc_lo
	s_cbranch_execz .LBB61_104
.LBB61_177:
	v_lshl_add_u32 v34, v32, 2, v33
	ds_load_b32 v34, v34 offset:96
	s_waitcnt lgkmcnt(0)
	v_add_f32_e32 v6, v6, v34
	s_or_b32 exec_lo, exec_lo, s0
	s_and_saveexec_b32 s0, vcc_lo
	s_cbranch_execz .LBB61_105
.LBB61_178:
	v_lshl_add_u32 v34, v32, 2, v33
	ds_load_b32 v34, v34 offset:112
	s_waitcnt lgkmcnt(0)
	v_add_f32_e32 v7, v7, v34
	s_or_b32 exec_lo, exec_lo, s0
	s_and_saveexec_b32 s0, vcc_lo
	s_cbranch_execz .LBB61_106
.LBB61_179:
	v_lshl_add_u32 v34, v32, 2, v33
	ds_load_b32 v34, v34 offset:128
	s_waitcnt lgkmcnt(0)
	v_add_f32_e32 v8, v8, v34
	s_or_b32 exec_lo, exec_lo, s0
	s_and_saveexec_b32 s0, vcc_lo
	s_cbranch_execz .LBB61_107
.LBB61_180:
	v_lshl_add_u32 v34, v32, 2, v33
	ds_load_b32 v34, v34 offset:144
	s_waitcnt lgkmcnt(0)
	v_add_f32_e32 v9, v9, v34
	s_or_b32 exec_lo, exec_lo, s0
	s_and_saveexec_b32 s0, vcc_lo
	s_cbranch_execz .LBB61_108
.LBB61_181:
	v_lshl_add_u32 v34, v32, 2, v33
	ds_load_b32 v34, v34 offset:160
	s_waitcnt lgkmcnt(0)
	v_add_f32_e32 v10, v10, v34
	s_or_b32 exec_lo, exec_lo, s0
	s_and_saveexec_b32 s0, vcc_lo
	s_cbranch_execz .LBB61_109
.LBB61_182:
	v_lshl_add_u32 v34, v32, 2, v33
	ds_load_b32 v34, v34 offset:176
	s_waitcnt lgkmcnt(0)
	v_add_f32_e32 v11, v11, v34
	s_or_b32 exec_lo, exec_lo, s0
	s_and_saveexec_b32 s0, vcc_lo
	s_cbranch_execz .LBB61_110
.LBB61_183:
	v_lshl_add_u32 v34, v32, 2, v33
	ds_load_b32 v34, v34 offset:192
	s_waitcnt lgkmcnt(0)
	v_add_f32_e32 v12, v12, v34
	s_or_b32 exec_lo, exec_lo, s0
	s_and_saveexec_b32 s0, vcc_lo
	s_cbranch_execz .LBB61_111
.LBB61_184:
	v_lshl_add_u32 v34, v32, 2, v33
	ds_load_b32 v34, v34 offset:208
	s_waitcnt lgkmcnt(0)
	v_add_f32_e32 v13, v13, v34
	s_or_b32 exec_lo, exec_lo, s0
	s_and_saveexec_b32 s0, vcc_lo
	s_cbranch_execz .LBB61_112
.LBB61_185:
	v_lshl_add_u32 v34, v32, 2, v33
	ds_load_b32 v34, v34 offset:224
	s_waitcnt lgkmcnt(0)
	v_add_f32_e32 v14, v14, v34
	s_or_b32 exec_lo, exec_lo, s0
	s_and_saveexec_b32 s0, vcc_lo
	s_cbranch_execz .LBB61_113
.LBB61_186:
	v_lshl_add_u32 v34, v32, 2, v33
	ds_load_b32 v34, v34 offset:240
	s_waitcnt lgkmcnt(0)
	v_add_f32_e32 v15, v15, v34
	s_or_b32 exec_lo, exec_lo, s0
	s_and_saveexec_b32 s0, vcc_lo
	s_cbranch_execz .LBB61_114
.LBB61_187:
	v_lshl_add_u32 v34, v32, 2, v33
	ds_load_b32 v34, v34 offset:256
	s_waitcnt lgkmcnt(0)
	v_add_f32_e32 v16, v16, v34
	s_or_b32 exec_lo, exec_lo, s0
	s_and_saveexec_b32 s0, vcc_lo
	s_cbranch_execz .LBB61_115
.LBB61_188:
	v_lshl_add_u32 v34, v32, 2, v33
	ds_load_b32 v34, v34 offset:272
	s_waitcnt lgkmcnt(0)
	v_add_f32_e32 v17, v17, v34
	s_or_b32 exec_lo, exec_lo, s0
	s_and_saveexec_b32 s0, vcc_lo
	s_cbranch_execz .LBB61_116
.LBB61_189:
	v_lshl_add_u32 v34, v32, 2, v33
	ds_load_b32 v34, v34 offset:288
	s_waitcnt lgkmcnt(0)
	v_add_f32_e32 v18, v18, v34
	s_or_b32 exec_lo, exec_lo, s0
	s_and_saveexec_b32 s0, vcc_lo
	s_cbranch_execz .LBB61_117
.LBB61_190:
	v_lshl_add_u32 v34, v32, 2, v33
	ds_load_b32 v34, v34 offset:304
	s_waitcnt lgkmcnt(0)
	v_add_f32_e32 v19, v19, v34
	s_or_b32 exec_lo, exec_lo, s0
	s_and_saveexec_b32 s0, vcc_lo
	s_cbranch_execz .LBB61_118
.LBB61_191:
	v_lshl_add_u32 v34, v32, 2, v33
	ds_load_b32 v34, v34 offset:320
	s_waitcnt lgkmcnt(0)
	v_add_f32_e32 v20, v20, v34
	s_or_b32 exec_lo, exec_lo, s0
	s_and_saveexec_b32 s0, vcc_lo
	s_cbranch_execz .LBB61_119
.LBB61_192:
	v_lshl_add_u32 v34, v32, 2, v33
	ds_load_b32 v34, v34 offset:336
	s_waitcnt lgkmcnt(0)
	v_add_f32_e32 v21, v21, v34
	s_or_b32 exec_lo, exec_lo, s0
	s_and_saveexec_b32 s0, vcc_lo
	s_cbranch_execz .LBB61_120
.LBB61_193:
	v_lshl_add_u32 v34, v32, 2, v33
	ds_load_b32 v34, v34 offset:352
	s_waitcnt lgkmcnt(0)
	v_add_f32_e32 v22, v22, v34
	s_or_b32 exec_lo, exec_lo, s0
	s_and_saveexec_b32 s0, vcc_lo
	s_cbranch_execz .LBB61_121
.LBB61_194:
	v_lshl_add_u32 v34, v32, 2, v33
	ds_load_b32 v34, v34 offset:368
	s_waitcnt lgkmcnt(0)
	v_add_f32_e32 v23, v23, v34
	s_or_b32 exec_lo, exec_lo, s0
	s_and_saveexec_b32 s0, vcc_lo
	s_cbranch_execz .LBB61_122
.LBB61_195:
	v_lshl_add_u32 v34, v32, 2, v33
	ds_load_b32 v34, v34 offset:384
	s_waitcnt lgkmcnt(0)
	v_add_f32_e32 v24, v24, v34
	s_or_b32 exec_lo, exec_lo, s0
	s_and_saveexec_b32 s0, vcc_lo
	s_cbranch_execz .LBB61_123
.LBB61_196:
	v_lshl_add_u32 v34, v32, 2, v33
	ds_load_b32 v34, v34 offset:400
	s_waitcnt lgkmcnt(0)
	v_add_f32_e32 v25, v25, v34
	s_or_b32 exec_lo, exec_lo, s0
	s_and_saveexec_b32 s0, vcc_lo
	s_cbranch_execz .LBB61_124
.LBB61_197:
	v_lshl_add_u32 v34, v32, 2, v33
	ds_load_b32 v34, v34 offset:416
	s_waitcnt lgkmcnt(0)
	v_add_f32_e32 v26, v26, v34
	s_or_b32 exec_lo, exec_lo, s0
	s_and_saveexec_b32 s0, vcc_lo
	s_cbranch_execz .LBB61_125
.LBB61_198:
	v_lshl_add_u32 v34, v32, 2, v33
	ds_load_b32 v34, v34 offset:432
	s_waitcnt lgkmcnt(0)
	v_add_f32_e32 v27, v27, v34
	s_or_b32 exec_lo, exec_lo, s0
	s_and_saveexec_b32 s0, vcc_lo
	s_cbranch_execz .LBB61_126
.LBB61_199:
	v_lshl_add_u32 v34, v32, 2, v33
	ds_load_b32 v34, v34 offset:448
	s_waitcnt lgkmcnt(0)
	v_add_f32_e32 v28, v28, v34
	s_or_b32 exec_lo, exec_lo, s0
	s_and_saveexec_b32 s0, vcc_lo
	s_cbranch_execz .LBB61_127
.LBB61_200:
	v_lshl_add_u32 v34, v32, 2, v33
	ds_load_b32 v34, v34 offset:464
	s_waitcnt lgkmcnt(0)
	v_add_f32_e32 v29, v29, v34
	s_or_b32 exec_lo, exec_lo, s0
	s_and_saveexec_b32 s0, vcc_lo
	s_cbranch_execz .LBB61_128
.LBB61_201:
	v_lshl_add_u32 v34, v32, 2, v33
	ds_load_b32 v34, v34 offset:480
	s_waitcnt lgkmcnt(0)
	v_add_f32_e32 v30, v30, v34
	s_or_b32 exec_lo, exec_lo, s0
	s_and_saveexec_b32 s0, vcc_lo
	s_cbranch_execnz .LBB61_129
	s_branch .LBB61_130
.LBB61_202:
	ds_load_b32 v33, v32
	s_waitcnt lgkmcnt(0)
	v_add_f32_e32 v0, v0, v33
	s_or_b32 exec_lo, exec_lo, s1
	s_and_saveexec_b32 s1, vcc_lo
	s_cbranch_execz .LBB61_136
.LBB61_203:
	ds_load_b32 v33, v32 offset:16
	s_waitcnt lgkmcnt(0)
	v_add_f32_e32 v1, v1, v33
	s_or_b32 exec_lo, exec_lo, s1
	s_and_saveexec_b32 s1, vcc_lo
	s_cbranch_execz .LBB61_137
.LBB61_204:
	ds_load_b32 v33, v32 offset:32
	s_waitcnt lgkmcnt(0)
	v_add_f32_e32 v2, v2, v33
	s_or_b32 exec_lo, exec_lo, s1
	s_and_saveexec_b32 s1, vcc_lo
	s_cbranch_execz .LBB61_138
.LBB61_205:
	ds_load_b32 v33, v32 offset:48
	s_waitcnt lgkmcnt(0)
	v_add_f32_e32 v3, v3, v33
	s_or_b32 exec_lo, exec_lo, s1
	s_and_saveexec_b32 s1, vcc_lo
	s_cbranch_execz .LBB61_139
.LBB61_206:
	ds_load_b32 v33, v32 offset:64
	s_waitcnt lgkmcnt(0)
	v_add_f32_e32 v4, v4, v33
	s_or_b32 exec_lo, exec_lo, s1
	s_and_saveexec_b32 s1, vcc_lo
	s_cbranch_execz .LBB61_140
.LBB61_207:
	ds_load_b32 v33, v32 offset:80
	s_waitcnt lgkmcnt(0)
	v_add_f32_e32 v5, v5, v33
	s_or_b32 exec_lo, exec_lo, s1
	s_and_saveexec_b32 s1, vcc_lo
	s_cbranch_execz .LBB61_141
.LBB61_208:
	ds_load_b32 v33, v32 offset:96
	s_waitcnt lgkmcnt(0)
	v_add_f32_e32 v6, v6, v33
	s_or_b32 exec_lo, exec_lo, s1
	s_and_saveexec_b32 s1, vcc_lo
	s_cbranch_execz .LBB61_142
.LBB61_209:
	ds_load_b32 v33, v32 offset:112
	s_waitcnt lgkmcnt(0)
	v_add_f32_e32 v7, v7, v33
	s_or_b32 exec_lo, exec_lo, s1
	s_and_saveexec_b32 s1, vcc_lo
	s_cbranch_execz .LBB61_143
.LBB61_210:
	ds_load_b32 v33, v32 offset:128
	s_waitcnt lgkmcnt(0)
	v_add_f32_e32 v8, v8, v33
	s_or_b32 exec_lo, exec_lo, s1
	s_and_saveexec_b32 s1, vcc_lo
	s_cbranch_execz .LBB61_144
.LBB61_211:
	ds_load_b32 v33, v32 offset:144
	s_waitcnt lgkmcnt(0)
	v_add_f32_e32 v9, v9, v33
	s_or_b32 exec_lo, exec_lo, s1
	s_and_saveexec_b32 s1, vcc_lo
	s_cbranch_execz .LBB61_145
.LBB61_212:
	ds_load_b32 v33, v32 offset:160
	s_waitcnt lgkmcnt(0)
	v_add_f32_e32 v10, v10, v33
	s_or_b32 exec_lo, exec_lo, s1
	s_and_saveexec_b32 s1, vcc_lo
	s_cbranch_execz .LBB61_146
.LBB61_213:
	ds_load_b32 v33, v32 offset:176
	s_waitcnt lgkmcnt(0)
	v_add_f32_e32 v11, v11, v33
	s_or_b32 exec_lo, exec_lo, s1
	s_and_saveexec_b32 s1, vcc_lo
	s_cbranch_execz .LBB61_147
.LBB61_214:
	ds_load_b32 v33, v32 offset:192
	s_waitcnt lgkmcnt(0)
	v_add_f32_e32 v12, v12, v33
	s_or_b32 exec_lo, exec_lo, s1
	s_and_saveexec_b32 s1, vcc_lo
	s_cbranch_execz .LBB61_148
.LBB61_215:
	ds_load_b32 v33, v32 offset:208
	s_waitcnt lgkmcnt(0)
	v_add_f32_e32 v13, v13, v33
	s_or_b32 exec_lo, exec_lo, s1
	s_and_saveexec_b32 s1, vcc_lo
	s_cbranch_execz .LBB61_149
.LBB61_216:
	ds_load_b32 v33, v32 offset:224
	s_waitcnt lgkmcnt(0)
	v_add_f32_e32 v14, v14, v33
	s_or_b32 exec_lo, exec_lo, s1
	s_and_saveexec_b32 s1, vcc_lo
	s_cbranch_execz .LBB61_150
.LBB61_217:
	ds_load_b32 v33, v32 offset:240
	s_waitcnt lgkmcnt(0)
	v_add_f32_e32 v15, v15, v33
	s_or_b32 exec_lo, exec_lo, s1
	s_and_saveexec_b32 s1, vcc_lo
	s_cbranch_execz .LBB61_151
.LBB61_218:
	ds_load_b32 v33, v32 offset:256
	s_waitcnt lgkmcnt(0)
	v_add_f32_e32 v16, v16, v33
	s_or_b32 exec_lo, exec_lo, s1
	s_and_saveexec_b32 s1, vcc_lo
	s_cbranch_execz .LBB61_152
.LBB61_219:
	ds_load_b32 v33, v32 offset:272
	s_waitcnt lgkmcnt(0)
	v_add_f32_e32 v17, v17, v33
	s_or_b32 exec_lo, exec_lo, s1
	s_and_saveexec_b32 s1, vcc_lo
	s_cbranch_execz .LBB61_153
.LBB61_220:
	ds_load_b32 v33, v32 offset:288
	s_waitcnt lgkmcnt(0)
	v_add_f32_e32 v18, v18, v33
	s_or_b32 exec_lo, exec_lo, s1
	s_and_saveexec_b32 s1, vcc_lo
	s_cbranch_execz .LBB61_154
.LBB61_221:
	ds_load_b32 v33, v32 offset:304
	s_waitcnt lgkmcnt(0)
	v_add_f32_e32 v19, v19, v33
	s_or_b32 exec_lo, exec_lo, s1
	s_and_saveexec_b32 s1, vcc_lo
	s_cbranch_execz .LBB61_155
.LBB61_222:
	ds_load_b32 v33, v32 offset:320
	s_waitcnt lgkmcnt(0)
	v_add_f32_e32 v20, v20, v33
	s_or_b32 exec_lo, exec_lo, s1
	s_and_saveexec_b32 s1, vcc_lo
	s_cbranch_execz .LBB61_156
.LBB61_223:
	ds_load_b32 v33, v32 offset:336
	s_waitcnt lgkmcnt(0)
	v_add_f32_e32 v21, v21, v33
	s_or_b32 exec_lo, exec_lo, s1
	s_and_saveexec_b32 s1, vcc_lo
	s_cbranch_execz .LBB61_157
.LBB61_224:
	ds_load_b32 v33, v32 offset:352
	s_waitcnt lgkmcnt(0)
	v_add_f32_e32 v22, v22, v33
	s_or_b32 exec_lo, exec_lo, s1
	s_and_saveexec_b32 s1, vcc_lo
	s_cbranch_execz .LBB61_158
.LBB61_225:
	ds_load_b32 v33, v32 offset:368
	s_waitcnt lgkmcnt(0)
	v_add_f32_e32 v23, v23, v33
	s_or_b32 exec_lo, exec_lo, s1
	s_and_saveexec_b32 s1, vcc_lo
	s_cbranch_execz .LBB61_159
.LBB61_226:
	ds_load_b32 v33, v32 offset:384
	s_waitcnt lgkmcnt(0)
	v_add_f32_e32 v24, v24, v33
	s_or_b32 exec_lo, exec_lo, s1
	s_and_saveexec_b32 s1, vcc_lo
	s_cbranch_execz .LBB61_160
.LBB61_227:
	ds_load_b32 v33, v32 offset:400
	s_waitcnt lgkmcnt(0)
	v_add_f32_e32 v25, v25, v33
	s_or_b32 exec_lo, exec_lo, s1
	s_and_saveexec_b32 s1, vcc_lo
	s_cbranch_execz .LBB61_161
.LBB61_228:
	ds_load_b32 v33, v32 offset:416
	s_waitcnt lgkmcnt(0)
	v_add_f32_e32 v26, v26, v33
	s_or_b32 exec_lo, exec_lo, s1
	s_and_saveexec_b32 s1, vcc_lo
	s_cbranch_execz .LBB61_162
.LBB61_229:
	ds_load_b32 v33, v32 offset:432
	s_waitcnt lgkmcnt(0)
	v_add_f32_e32 v27, v27, v33
	s_or_b32 exec_lo, exec_lo, s1
	s_and_saveexec_b32 s1, vcc_lo
	s_cbranch_execz .LBB61_163
.LBB61_230:
	ds_load_b32 v33, v32 offset:448
	s_waitcnt lgkmcnt(0)
	v_add_f32_e32 v28, v28, v33
	s_or_b32 exec_lo, exec_lo, s1
	s_and_saveexec_b32 s1, vcc_lo
	s_cbranch_execz .LBB61_164
.LBB61_231:
	ds_load_b32 v33, v32 offset:464
	s_waitcnt lgkmcnt(0)
	v_add_f32_e32 v29, v29, v33
	s_or_b32 exec_lo, exec_lo, s1
	s_and_saveexec_b32 s1, vcc_lo
	s_cbranch_execz .LBB61_165
.LBB61_232:
	ds_load_b32 v33, v32 offset:480
	s_waitcnt lgkmcnt(0)
	v_add_f32_e32 v30, v30, v33
	s_or_b32 exec_lo, exec_lo, s1
	s_and_saveexec_b32 s1, vcc_lo
	s_cbranch_execnz .LBB61_166
	s_branch .LBB61_167
	.section	.rodata,"a",@progbits
	.p2align	6, 0x0
	.amdhsa_kernel _ZN4vllm25paged_attention_v2_kernelIffLi128ELi32ELi128ELNS_18Fp8KVCacheDataTypeE0ELb0ELi512EEEvPfS2_PT_PKS3_PKT0_S9_ifPKiSB_iPKfiiiSD_SD_iiiii
		.amdhsa_group_segment_fixed_size 544
		.amdhsa_private_segment_fixed_size 52
		.amdhsa_kernarg_size 400
		.amdhsa_user_sgpr_count 13
		.amdhsa_user_sgpr_dispatch_ptr 0
		.amdhsa_user_sgpr_queue_ptr 0
		.amdhsa_user_sgpr_kernarg_segment_ptr 1
		.amdhsa_user_sgpr_dispatch_id 0
		.amdhsa_user_sgpr_private_segment_size 0
		.amdhsa_wavefront_size32 1
		.amdhsa_uses_dynamic_stack 0
		.amdhsa_enable_private_segment 1
		.amdhsa_system_sgpr_workgroup_id_x 1
		.amdhsa_system_sgpr_workgroup_id_y 1
		.amdhsa_system_sgpr_workgroup_id_z 1
		.amdhsa_system_sgpr_workgroup_info 0
		.amdhsa_system_vgpr_workitem_id 0
		.amdhsa_next_free_vgpr 192
		.amdhsa_next_free_sgpr 40
		.amdhsa_reserve_vcc 1
		.amdhsa_float_round_mode_32 0
		.amdhsa_float_round_mode_16_64 0
		.amdhsa_float_denorm_mode_32 3
		.amdhsa_float_denorm_mode_16_64 3
		.amdhsa_dx10_clamp 1
		.amdhsa_ieee_mode 1
		.amdhsa_fp16_overflow 0
		.amdhsa_workgroup_processor_mode 1
		.amdhsa_memory_ordered 1
		.amdhsa_forward_progress 0
		.amdhsa_shared_vgpr_count 0
		.amdhsa_exception_fp_ieee_invalid_op 0
		.amdhsa_exception_fp_denorm_src 0
		.amdhsa_exception_fp_ieee_div_zero 0
		.amdhsa_exception_fp_ieee_overflow 0
		.amdhsa_exception_fp_ieee_underflow 0
		.amdhsa_exception_fp_ieee_inexact 0
		.amdhsa_exception_int_div_zero 0
	.end_amdhsa_kernel
	.section	.text._ZN4vllm25paged_attention_v2_kernelIffLi128ELi32ELi128ELNS_18Fp8KVCacheDataTypeE0ELb0ELi512EEEvPfS2_PT_PKS3_PKT0_S9_ifPKiSB_iPKfiiiSD_SD_iiiii,"axG",@progbits,_ZN4vllm25paged_attention_v2_kernelIffLi128ELi32ELi128ELNS_18Fp8KVCacheDataTypeE0ELb0ELi512EEEvPfS2_PT_PKS3_PKT0_S9_ifPKiSB_iPKfiiiSD_SD_iiiii,comdat
.Lfunc_end61:
	.size	_ZN4vllm25paged_attention_v2_kernelIffLi128ELi32ELi128ELNS_18Fp8KVCacheDataTypeE0ELb0ELi512EEEvPfS2_PT_PKS3_PKT0_S9_ifPKiSB_iPKfiiiSD_SD_iiiii, .Lfunc_end61-_ZN4vllm25paged_attention_v2_kernelIffLi128ELi32ELi128ELNS_18Fp8KVCacheDataTypeE0ELb0ELi512EEEvPfS2_PT_PKS3_PKT0_S9_ifPKiSB_iPKfiiiSD_SD_iiiii
                                        ; -- End function
	.section	.AMDGPU.csdata,"",@progbits
; Kernel info:
; codeLenInByte = 13856
; NumSgprs: 42
; NumVgprs: 192
; ScratchSize: 52
; MemoryBound: 0
; FloatMode: 240
; IeeeMode: 1
; LDSByteSize: 544 bytes/workgroup (compile time only)
; SGPRBlocks: 5
; VGPRBlocks: 23
; NumSGPRsForWavesPerEU: 42
; NumVGPRsForWavesPerEU: 192
; Occupancy: 8
; WaveLimiterHint : 1
; COMPUTE_PGM_RSRC2:SCRATCH_EN: 1
; COMPUTE_PGM_RSRC2:USER_SGPR: 13
; COMPUTE_PGM_RSRC2:TRAP_HANDLER: 0
; COMPUTE_PGM_RSRC2:TGID_X_EN: 1
; COMPUTE_PGM_RSRC2:TGID_Y_EN: 1
; COMPUTE_PGM_RSRC2:TGID_Z_EN: 1
; COMPUTE_PGM_RSRC2:TIDIG_COMP_CNT: 0
	.section	.text._ZN4vllm25paged_attention_v2_kernelIffLi192ELi32ELi128ELNS_18Fp8KVCacheDataTypeE0ELb0ELi512EEEvPfS2_PT_PKS3_PKT0_S9_ifPKiSB_iPKfiiiSD_SD_iiiii,"axG",@progbits,_ZN4vllm25paged_attention_v2_kernelIffLi192ELi32ELi128ELNS_18Fp8KVCacheDataTypeE0ELb0ELi512EEEvPfS2_PT_PKS3_PKT0_S9_ifPKiSB_iPKfiiiSD_SD_iiiii,comdat
	.protected	_ZN4vllm25paged_attention_v2_kernelIffLi192ELi32ELi128ELNS_18Fp8KVCacheDataTypeE0ELb0ELi512EEEvPfS2_PT_PKS3_PKT0_S9_ifPKiSB_iPKfiiiSD_SD_iiiii ; -- Begin function _ZN4vllm25paged_attention_v2_kernelIffLi192ELi32ELi128ELNS_18Fp8KVCacheDataTypeE0ELb0ELi512EEEvPfS2_PT_PKS3_PKT0_S9_ifPKiSB_iPKfiiiSD_SD_iiiii
	.globl	_ZN4vllm25paged_attention_v2_kernelIffLi192ELi32ELi128ELNS_18Fp8KVCacheDataTypeE0ELb0ELi512EEEvPfS2_PT_PKS3_PKT0_S9_ifPKiSB_iPKfiiiSD_SD_iiiii
	.p2align	8
	.type	_ZN4vllm25paged_attention_v2_kernelIffLi192ELi32ELi128ELNS_18Fp8KVCacheDataTypeE0ELb0ELi512EEEvPfS2_PT_PKS3_PKT0_S9_ifPKiSB_iPKfiiiSD_SD_iiiii,@function
_ZN4vllm25paged_attention_v2_kernelIffLi192ELi32ELi128ELNS_18Fp8KVCacheDataTypeE0ELb0ELi512EEEvPfS2_PT_PKS3_PKT0_S9_ifPKiSB_iPKfiiiSD_SD_iiiii: ; @_ZN4vllm25paged_attention_v2_kernelIffLi192ELi32ELi128ELNS_18Fp8KVCacheDataTypeE0ELb0ELi512EEEvPfS2_PT_PKS3_PKT0_S9_ifPKiSB_iPKfiiiSD_SD_iiiii
; %bb.0:
	s_load_b64 s[2:3], s[0:1], 0x40
	s_mov_b32 s12, s15
	s_ashr_i32 s15, s14, 31
	s_delay_alu instid0(SALU_CYCLE_1)
	s_lshl_b64 s[4:5], s[14:15], 2
	s_waitcnt lgkmcnt(0)
	s_add_u32 s2, s2, s4
	s_addc_u32 s3, s3, s5
	s_lshl_b32 s29, s12, 9
	s_load_b32 s28, s[2:3], 0x0
	s_waitcnt lgkmcnt(0)
	s_cmp_ge_i32 s29, s28
	s_cbranch_scc1 .LBB62_237
; %bb.1:
	s_clause 0x1
	s_load_b32 s15, s[0:1], 0x90
	s_load_b64 s[2:3], s[0:1], 0x30
	v_mov_b32_e32 v68, v0
	s_mov_b32 s24, s13
	s_mov_b32 s30, 0
	s_waitcnt lgkmcnt(0)
	s_abs_i32 s7, s15
	s_abs_i32 s4, s2
	s_xor_b32 s2, s15, s2
	v_cvt_f32_u32_e32 v0, s4
	s_sub_i32 s6, 0, s4
	s_ashr_i32 s2, s2, 31
	s_delay_alu instid0(VALU_DEP_1) | instskip(SKIP_2) | instid1(VALU_DEP_1)
	v_rcp_iflag_f32_e32 v0, v0
	s_waitcnt_depctr 0xfff
	v_mul_f32_e32 v0, 0x4f7ffffe, v0
	v_cvt_u32_f32_e32 v0, v0
	s_delay_alu instid0(VALU_DEP_1) | instskip(NEXT) | instid1(VALU_DEP_1)
	v_readfirstlane_b32 s5, v0
	s_mul_i32 s6, s6, s5
	s_delay_alu instid0(SALU_CYCLE_1) | instskip(NEXT) | instid1(SALU_CYCLE_1)
	s_mul_hi_u32 s6, s5, s6
	s_add_i32 s5, s5, s6
	s_delay_alu instid0(SALU_CYCLE_1) | instskip(NEXT) | instid1(SALU_CYCLE_1)
	s_mul_hi_u32 s5, s7, s5
	s_mul_i32 s6, s5, s4
	s_delay_alu instid0(SALU_CYCLE_1)
	s_sub_i32 s6, s7, s6
	s_add_i32 s7, s5, 1
	s_sub_i32 s8, s6, s4
	s_cmp_ge_u32 s6, s4
	s_cselect_b32 s5, s7, s5
	s_cselect_b32 s6, s8, s6
	s_add_i32 s7, s5, 1
	s_cmp_ge_u32 s6, s4
	s_cselect_b32 s4, s7, s5
	s_abs_i32 s23, s13
	s_xor_b32 s4, s4, s2
	s_delay_alu instid0(SALU_CYCLE_1) | instskip(SKIP_2) | instid1(SALU_CYCLE_1)
	s_sub_i32 s8, s4, s2
	s_load_b64 s[4:5], s[0:1], 0x50
	s_abs_i32 s2, s8
	v_cvt_f32_u32_e32 v0, s2
	s_sub_i32 s7, 0, s2
	s_delay_alu instid0(VALU_DEP_1) | instskip(SKIP_2) | instid1(VALU_DEP_1)
	v_rcp_iflag_f32_e32 v0, v0
	s_waitcnt_depctr 0xfff
	v_mul_f32_e32 v0, 0x4f7ffffe, v0
	v_cvt_u32_f32_e32 v0, v0
	s_delay_alu instid0(VALU_DEP_1) | instskip(NEXT) | instid1(VALU_DEP_1)
	v_readfirstlane_b32 s6, v0
	s_mul_i32 s7, s7, s6
	s_delay_alu instid0(SALU_CYCLE_1) | instskip(NEXT) | instid1(SALU_CYCLE_1)
	s_mul_hi_u32 s7, s6, s7
	s_add_i32 s6, s6, s7
	s_waitcnt lgkmcnt(0)
	s_cmp_eq_u64 s[4:5], 0
	s_mul_hi_u32 s22, s23, s6
	s_cbranch_scc1 .LBB62_3
; %bb.2:
	s_ashr_i32 s25, s24, 31
	s_delay_alu instid0(SALU_CYCLE_1) | instskip(NEXT) | instid1(SALU_CYCLE_1)
	s_lshl_b64 s[6:7], s[24:25], 2
	s_add_u32 s4, s4, s6
	s_addc_u32 s5, s5, s7
	s_load_b32 s30, s[4:5], 0x0
.LBB62_3:
	s_clause 0x1
	s_load_b64 s[20:21], s[0:1], 0x38
	s_load_b128 s[4:7], s[0:1], 0x58
	s_waitcnt lgkmcnt(0)
	s_ashr_i32 s7, s24, 31
	s_ashr_i32 s31, s8, 31
	s_mul_i32 s16, s24, 0xc0
	s_mov_b32 s8, exec_lo
	v_cmpx_gt_u32_e32 48, v68
	s_cbranch_execz .LBB62_5
; %bb.4:
	s_load_b64 s[10:11], s[0:1], 0x18
	s_mul_i32 s18, s14, s4
	v_lshlrev_b32_e32 v4, 4, v68
	s_ashr_i32 s19, s18, 31
	s_delay_alu instid0(SALU_CYCLE_1) | instskip(SKIP_4) | instid1(SALU_CYCLE_1)
	s_lshl_b64 s[18:19], s[18:19], 2
	s_waitcnt lgkmcnt(0)
	s_add_u32 s4, s10, s18
	s_addc_u32 s9, s11, s19
	s_ashr_i32 s17, s16, 31
	s_lshl_b64 s[10:11], s[16:17], 2
	s_delay_alu instid0(SALU_CYCLE_1)
	s_add_u32 s10, s4, s10
	s_addc_u32 s11, s9, s11
	global_load_b128 v[0:3], v4, s[10:11]
	s_waitcnt vmcnt(0)
	ds_store_b128 v4, v[0:3]
.LBB62_5:
	s_or_b32 exec_lo, exec_lo, s8
	s_add_i32 s4, s28, 31
	s_clause 0x1
	s_load_b128 s[8:11], s[0:1], 0x0
	s_load_b64 s[18:19], s[0:1], 0x10
	s_ashr_i32 s13, s4, 31
	s_mul_i32 s34, s22, s2
	s_lshr_b32 s17, s13, 27
	s_lshl_b32 s13, s12, 4
	s_add_i32 s4, s4, s17
	s_load_b64 s[26:27], s[0:1], 0x28
	s_ashr_i32 s25, s4, 5
	s_clause 0x1
	s_load_b32 s4, s[0:1], 0x98
	s_load_b32 s33, s[0:1], 0x48
	s_add_i32 s17, s13, 16
	s_sub_i32 s23, s23, s34
	s_min_i32 s17, s17, s25
	s_xor_b32 s7, s7, s31
	s_add_i32 s31, s22, 1
	s_sub_i32 s34, s23, s2
	s_cmp_ge_u32 s23, s2
	v_lshrrev_b32_e32 v189, 5, v68
	s_cselect_b32 s22, s31, s22
	s_cselect_b32 s23, s34, s23
	s_add_i32 s31, s22, 1
	s_cmp_ge_u32 s23, s2
	v_dual_mov_b32 v7, 0xff7fffff :: v_dual_add_nc_u32 v12, s13, v189
	v_and_b32_e32 v190, 31, v68
	s_cselect_b32 s2, s31, s22
	s_waitcnt lgkmcnt(0)
	s_xor_b32 s2, s2, s7
	v_ashrrev_i32_e32 v13, 31, v12
	s_sub_i32 s7, s2, s7
	v_cmp_gt_i32_e64 s2, s17, v12
	v_lshlrev_b32_e32 v9, 2, v190
	s_mul_i32 s22, s14, s33
	s_mul_i32 s6, s7, s6
	s_ashr_i32 s23, s22, 31
	s_barrier
	buffer_gl0_inv
	s_mov_b32 s31, exec_lo
	s_delay_alu instid0(SALU_CYCLE_1)
	s_and_b32 s7, s31, s2
	s_clause 0x2
	scratch_store_b32 off, v68, off offset:464
	scratch_store_b32 off, v189, off offset:468
	;; [unrolled: 1-line block ×3, first 2 shown]
	s_mov_b32 exec_lo, s7
	s_cbranch_execz .LBB62_9
; %bb.6:
	s_load_b64 s[0:1], s[0:1], 0x20
	v_dual_mov_b32 v1, 0 :: v_dual_lshlrev_b32 v0, 4, v190
	s_ashr_i32 s7, s6, 31
	v_cmp_neq_f32_e64 vcc_lo, s30, 0
	s_lshl_b64 s[34:35], s[6:7], 2
	v_mov_b32_e32 v8, v12
	ds_load_b128 v[2:5], v1
	s_mov_b32 s33, s5
	s_mov_b32 s7, 0
	v_mov_b32_e32 v7, 0xff7fffff
	s_waitcnt lgkmcnt(0)
	s_add_u32 s0, s0, s34
	s_addc_u32 s1, s1, s35
	v_add_co_u32 v0, s0, s0, v0
	s_sub_i32 s34, 1, s28
	s_clause 0x1
	scratch_store_b32 off, v0, off
	scratch_store_b128 off, v[2:5], off offset:32
	ds_load_b128 v[2:5], v1 offset:16
	v_add_co_ci_u32_e64 v0, null, s1, 0, s0
	s_lshl_b64 s[0:1], s[22:23], 2
	s_delay_alu instid0(SALU_CYCLE_1) | instskip(SKIP_3) | instid1(VALU_DEP_1)
	s_add_u32 s0, s20, s0
	scratch_store_b32 off, v0, off offset:16 ; 4-byte Folded Spill
	v_lshlrev_b32_e32 v0, 5, v189
	s_addc_u32 s1, s21, s1
	v_add3_u32 v191, s29, v0, v190
	v_lshl_or_b32 v0, v189, 7, v9
	s_delay_alu instid0(VALU_DEP_1)
	v_add_nc_u32_e32 v0, 0x320, v0
	s_waitcnt lgkmcnt(0)
	scratch_store_b128 off, v[2:5], off offset:56 ; 16-byte Folded Spill
	ds_load_b128 v[2:5], v1 offset:32
	s_waitcnt lgkmcnt(0)
	scratch_store_b128 off, v[2:5], off offset:72 ; 16-byte Folded Spill
	ds_load_b128 v[2:5], v1 offset:48
	;; [unrolled: 3-line block ×4, first 2 shown]
	ds_load_b128 v[25:28], v1 offset:96
	ds_load_b128 v[29:32], v1 offset:112
	ds_load_b128 v[33:36], v1 offset:128
	ds_load_b128 v[37:40], v1 offset:144
	ds_load_b128 v[41:44], v1 offset:160
	ds_load_b128 v[45:48], v1 offset:176
	ds_load_b128 v[49:52], v1 offset:192
	ds_load_b128 v[53:56], v1 offset:208
	ds_load_b128 v[57:60], v1 offset:224
	ds_load_b128 v[61:64], v1 offset:240
	ds_load_b128 v[65:68], v1 offset:256
	ds_load_b128 v[69:72], v1 offset:272
	ds_load_b128 v[73:76], v1 offset:288
	ds_load_b128 v[77:80], v1 offset:304
	ds_load_b128 v[81:84], v1 offset:320
	ds_load_b128 v[85:88], v1 offset:336
	ds_load_b128 v[89:92], v1 offset:352
	ds_load_b128 v[93:96], v1 offset:368
	ds_load_b128 v[97:100], v1 offset:384
	ds_load_b128 v[101:104], v1 offset:400
	ds_load_b128 v[105:108], v1 offset:416
	ds_load_b128 v[109:112], v1 offset:432
	ds_load_b128 v[113:116], v1 offset:448
	ds_load_b128 v[117:120], v1 offset:464
	ds_load_b128 v[121:124], v1 offset:480
	ds_load_b128 v[125:128], v1 offset:496
	ds_load_b128 v[129:132], v1 offset:512
	ds_load_b128 v[133:136], v1 offset:528
	ds_load_b128 v[137:140], v1 offset:544
	ds_load_b128 v[141:144], v1 offset:560
	ds_load_b128 v[145:148], v1 offset:576
	ds_load_b128 v[149:152], v1 offset:592
	ds_load_b128 v[153:156], v1 offset:608
	ds_load_b128 v[157:160], v1 offset:624
	ds_load_b128 v[161:164], v1 offset:640
	ds_load_b128 v[165:168], v1 offset:656
	ds_load_b128 v[169:172], v1 offset:672
	ds_load_b128 v[173:176], v1 offset:688
	ds_load_b128 v[177:180], v1 offset:704
	ds_load_b128 v[181:184], v1 offset:720
	ds_load_b128 v[185:188], v1 offset:736
	ds_load_b128 v[1:4], v1 offset:752
	v_lshlrev_b64 v[5:6], 2, v[12:13]
	s_clause 0x1
	scratch_store_b32 off, v9, off offset:120
	scratch_store_b64 off, v[12:13], off offset:48
	v_add_co_u32 v189, s0, s0, v5
	s_delay_alu instid0(VALU_DEP_1)
	v_add_co_ci_u32_e64 v190, s0, s1, v6, s0
.LBB62_7:                               ; =>This Inner Loop Header: Depth=1
	global_load_b32 v9, v[189:190], off
	v_add_nc_u32_e32 v8, 4, v8
	s_delay_alu instid0(VALU_DEP_1) | instskip(NEXT) | instid1(VALU_DEP_1)
	v_cmp_le_i32_e64 s1, s17, v8
	s_or_b32 s7, s1, s7
	s_waitcnt vmcnt(0)
	v_mad_i64_i32 v[5:6], null, v9, s33, 0
	scratch_load_b32 v9, off, off           ; 4-byte Folded Reload
	v_lshlrev_b64 v[5:6], 2, v[5:6]
	s_waitcnt vmcnt(0)
	s_delay_alu instid0(VALU_DEP_1)
	v_add_co_u32 v5, s0, v9, v5
	scratch_load_b32 v9, off, off offset:16 ; 4-byte Folded Reload
	s_waitcnt vmcnt(0)
	v_add_co_ci_u32_e64 v6, s0, v9, v6, s0
	global_load_b128 v[9:12], v[5:6], off offset:512
	scratch_load_b128 v[13:16], off, off offset:56 ; 16-byte Folded Reload
	s_waitcnt vmcnt(0)
	v_dual_mul_f32 v9, v13, v9 :: v_dual_mul_f32 v10, v14, v10
	v_dual_mul_f32 v11, v15, v11 :: v_dual_mul_f32 v12, v16, v12
	global_load_b128 v[13:16], v[5:6], off
	scratch_load_b128 v[17:20], off, off offset:32 ; 16-byte Folded Reload
	s_waitcnt vmcnt(0)
	v_dual_fmac_f32 v9, v17, v13 :: v_dual_fmac_f32 v10, v18, v14
	v_dual_fmac_f32 v11, v19, v15 :: v_dual_fmac_f32 v12, v20, v16
	global_load_b128 v[13:16], v[5:6], off offset:1024
	scratch_load_b128 v[17:20], off, off offset:72 ; 16-byte Folded Reload
	s_waitcnt vmcnt(0)
	v_dual_fmac_f32 v9, v17, v13 :: v_dual_fmac_f32 v10, v18, v14
	v_dual_fmac_f32 v11, v19, v15 :: v_dual_fmac_f32 v12, v20, v16
	global_load_b128 v[13:16], v[5:6], off offset:1536
	;; [unrolled: 5-line block ×4, first 2 shown]
	v_add_co_u32 v17, s0, v5, 0x2000
	s_delay_alu instid0(VALU_DEP_1) | instskip(SKIP_1) | instid1(VALU_DEP_1)
	v_add_co_ci_u32_e64 v18, s0, 0, v6, s0
	v_add_co_u32 v19, s0, 0x1000, v5
	v_add_co_ci_u32_e64 v20, s0, 0, v6, s0
	s_waitcnt vmcnt(0) lgkmcnt(42)
	v_dual_fmac_f32 v9, v21, v13 :: v_dual_fmac_f32 v10, v22, v14
	v_dual_fmac_f32 v11, v23, v15 :: v_dual_fmac_f32 v12, v24, v16
	global_load_b128 v[13:16], v[5:6], off offset:3072
	s_waitcnt vmcnt(0) lgkmcnt(41)
	v_dual_fmac_f32 v9, v25, v13 :: v_dual_fmac_f32 v10, v26, v14
	v_dual_fmac_f32 v11, v27, v15 :: v_dual_fmac_f32 v12, v28, v16
	global_load_b128 v[13:16], v[5:6], off offset:3584
	s_waitcnt vmcnt(0) lgkmcnt(40)
	v_dual_fmac_f32 v9, v29, v13 :: v_dual_fmac_f32 v10, v30, v14
	v_dual_fmac_f32 v11, v31, v15 :: v_dual_fmac_f32 v12, v32, v16
	global_load_b128 v[13:16], v[17:18], off offset:-4096
	s_waitcnt vmcnt(0) lgkmcnt(39)
	v_dual_fmac_f32 v9, v33, v13 :: v_dual_fmac_f32 v10, v34, v14
	v_dual_fmac_f32 v11, v35, v15 :: v_dual_fmac_f32 v12, v36, v16
	global_load_b128 v[13:16], v[19:20], off offset:512
	s_waitcnt vmcnt(0) lgkmcnt(38)
	v_dual_fmac_f32 v9, v37, v13 :: v_dual_fmac_f32 v10, v38, v14
	v_dual_fmac_f32 v11, v39, v15 :: v_dual_fmac_f32 v12, v40, v16
	global_load_b128 v[13:16], v[19:20], off offset:1024
	s_waitcnt vmcnt(0) lgkmcnt(37)
	v_dual_fmac_f32 v9, v41, v13 :: v_dual_fmac_f32 v10, v42, v14
	v_dual_fmac_f32 v11, v43, v15 :: v_dual_fmac_f32 v12, v44, v16
	global_load_b128 v[13:16], v[19:20], off offset:1536
	s_waitcnt vmcnt(0) lgkmcnt(36)
	v_dual_fmac_f32 v9, v45, v13 :: v_dual_fmac_f32 v10, v46, v14
	v_dual_fmac_f32 v11, v47, v15 :: v_dual_fmac_f32 v12, v48, v16
	global_load_b128 v[13:16], v[19:20], off offset:2048
	s_waitcnt vmcnt(0) lgkmcnt(35)
	v_dual_fmac_f32 v9, v49, v13 :: v_dual_fmac_f32 v10, v50, v14
	v_dual_fmac_f32 v11, v51, v15 :: v_dual_fmac_f32 v12, v52, v16
	global_load_b128 v[13:16], v[19:20], off offset:2560
	s_waitcnt vmcnt(0) lgkmcnt(34)
	v_dual_fmac_f32 v9, v53, v13 :: v_dual_fmac_f32 v10, v54, v14
	v_dual_fmac_f32 v11, v55, v15 :: v_dual_fmac_f32 v12, v56, v16
	global_load_b128 v[13:16], v[19:20], off offset:3072
	s_waitcnt vmcnt(0) lgkmcnt(33)
	v_dual_fmac_f32 v9, v57, v13 :: v_dual_fmac_f32 v10, v58, v14
	v_dual_fmac_f32 v11, v59, v15 :: v_dual_fmac_f32 v12, v60, v16
	global_load_b128 v[13:16], v[19:20], off offset:3584
	s_waitcnt vmcnt(0) lgkmcnt(32)
	v_dual_fmac_f32 v9, v61, v13 :: v_dual_fmac_f32 v10, v62, v14
	v_dual_fmac_f32 v11, v63, v15 :: v_dual_fmac_f32 v12, v64, v16
	global_load_b128 v[13:16], v[17:18], off
	v_add_co_u32 v17, s0, 0x2000, v5
	s_delay_alu instid0(VALU_DEP_1)
	v_add_co_ci_u32_e64 v18, s0, 0, v6, s0
	s_waitcnt vmcnt(0) lgkmcnt(31)
	v_dual_fmac_f32 v9, v65, v13 :: v_dual_fmac_f32 v10, v66, v14
	v_dual_fmac_f32 v11, v67, v15 :: v_dual_fmac_f32 v12, v68, v16
	global_load_b128 v[13:16], v[17:18], off offset:512
	s_waitcnt vmcnt(0) lgkmcnt(30)
	v_dual_fmac_f32 v9, v69, v13 :: v_dual_fmac_f32 v10, v70, v14
	v_dual_fmac_f32 v11, v71, v15 :: v_dual_fmac_f32 v12, v72, v16
	global_load_b128 v[13:16], v[17:18], off offset:1024
	;; [unrolled: 4-line block ×7, first 2 shown]
	v_add_co_u32 v17, s0, v5, 0x4000
	s_delay_alu instid0(VALU_DEP_1) | instskip(SKIP_1) | instid1(VALU_DEP_1)
	v_add_co_ci_u32_e64 v18, s0, 0, v6, s0
	v_add_co_u32 v19, s0, 0x3000, v5
	v_add_co_ci_u32_e64 v20, s0, 0, v6, s0
	s_waitcnt vmcnt(0) lgkmcnt(24)
	v_dual_fmac_f32 v9, v93, v13 :: v_dual_fmac_f32 v10, v94, v14
	v_dual_fmac_f32 v11, v95, v15 :: v_dual_fmac_f32 v12, v96, v16
	global_load_b128 v[13:16], v[17:18], off offset:-4096
	s_waitcnt vmcnt(0) lgkmcnt(23)
	v_dual_fmac_f32 v9, v97, v13 :: v_dual_fmac_f32 v10, v98, v14
	v_dual_fmac_f32 v11, v99, v15 :: v_dual_fmac_f32 v12, v100, v16
	global_load_b128 v[13:16], v[19:20], off offset:512
	s_waitcnt vmcnt(0) lgkmcnt(22)
	v_dual_fmac_f32 v9, v101, v13 :: v_dual_fmac_f32 v10, v102, v14
	v_dual_fmac_f32 v11, v103, v15 :: v_dual_fmac_f32 v12, v104, v16
	global_load_b128 v[13:16], v[19:20], off offset:1024
	;; [unrolled: 4-line block ×7, first 2 shown]
	s_waitcnt vmcnt(0) lgkmcnt(16)
	v_dual_fmac_f32 v9, v125, v13 :: v_dual_fmac_f32 v10, v126, v14
	v_dual_fmac_f32 v11, v127, v15 :: v_dual_fmac_f32 v12, v128, v16
	global_load_b128 v[13:16], v[17:18], off
	v_add_co_u32 v17, s0, 0x4000, v5
	s_delay_alu instid0(VALU_DEP_1) | instskip(SKIP_1) | instid1(VALU_DEP_1)
	v_add_co_ci_u32_e64 v18, s0, 0, v6, s0
	v_add_co_u32 v5, s0, 0x5000, v5
	v_add_co_ci_u32_e64 v6, s0, 0, v6, s0
	v_cmp_gt_i32_e64 s0, s28, v191
	s_waitcnt vmcnt(0) lgkmcnt(15)
	v_dual_fmac_f32 v9, v129, v13 :: v_dual_fmac_f32 v10, v130, v14
	v_dual_fmac_f32 v11, v131, v15 :: v_dual_fmac_f32 v12, v132, v16
	global_load_b128 v[13:16], v[17:18], off offset:512
	s_waitcnt vmcnt(0) lgkmcnt(14)
	v_dual_fmac_f32 v9, v133, v13 :: v_dual_fmac_f32 v10, v134, v14
	v_dual_fmac_f32 v11, v135, v15 :: v_dual_fmac_f32 v12, v136, v16
	global_load_b128 v[13:16], v[17:18], off offset:1024
	;; [unrolled: 4-line block ×7, first 2 shown]
	s_waitcnt vmcnt(0) lgkmcnt(8)
	v_dual_fmac_f32 v9, v157, v13 :: v_dual_fmac_f32 v10, v158, v14
	v_dual_fmac_f32 v11, v159, v15 :: v_dual_fmac_f32 v12, v160, v16
	global_load_b128 v[13:16], v[5:6], off
	s_waitcnt vmcnt(0) lgkmcnt(7)
	v_dual_fmac_f32 v9, v161, v13 :: v_dual_fmac_f32 v10, v162, v14
	v_dual_fmac_f32 v11, v163, v15 :: v_dual_fmac_f32 v12, v164, v16
	global_load_b128 v[13:16], v[5:6], off offset:512
	s_waitcnt vmcnt(0) lgkmcnt(6)
	v_dual_fmac_f32 v9, v165, v13 :: v_dual_fmac_f32 v10, v166, v14
	v_dual_fmac_f32 v11, v167, v15 :: v_dual_fmac_f32 v12, v168, v16
	global_load_b128 v[13:16], v[5:6], off offset:1024
	s_waitcnt vmcnt(0) lgkmcnt(5)
	v_dual_fmac_f32 v9, v169, v13 :: v_dual_fmac_f32 v10, v170, v14
	v_dual_fmac_f32 v11, v171, v15 :: v_dual_fmac_f32 v12, v172, v16
	global_load_b128 v[13:16], v[5:6], off offset:1536
	s_waitcnt vmcnt(0) lgkmcnt(4)
	v_dual_fmac_f32 v9, v173, v13 :: v_dual_fmac_f32 v10, v174, v14
	v_dual_fmac_f32 v11, v175, v15 :: v_dual_fmac_f32 v12, v176, v16
	global_load_b128 v[13:16], v[5:6], off offset:2048
	s_waitcnt vmcnt(0) lgkmcnt(3)
	v_dual_fmac_f32 v9, v177, v13 :: v_dual_fmac_f32 v10, v178, v14
	v_dual_fmac_f32 v11, v179, v15 :: v_dual_fmac_f32 v12, v180, v16
	global_load_b128 v[13:16], v[5:6], off offset:2560
	s_waitcnt vmcnt(0) lgkmcnt(2)
	v_dual_fmac_f32 v9, v181, v13 :: v_dual_fmac_f32 v10, v182, v14
	v_dual_fmac_f32 v11, v183, v15 :: v_dual_fmac_f32 v12, v184, v16
	global_load_b128 v[13:16], v[5:6], off offset:3072
	s_waitcnt vmcnt(0) lgkmcnt(1)
	v_dual_fmac_f32 v9, v185, v13 :: v_dual_fmac_f32 v10, v186, v14
	v_dual_fmac_f32 v11, v187, v15 :: v_dual_fmac_f32 v12, v188, v16
	global_load_b128 v[13:16], v[5:6], off offset:3584
	v_add_nc_u32_e32 v6, s34, v191
	v_add_nc_u32_e32 v191, 0x80, v191
	s_delay_alu instid0(VALU_DEP_2) | instskip(NEXT) | instid1(VALU_DEP_1)
	v_cvt_f32_i32_e32 v6, v6
	v_mul_f32_e32 v6, s30, v6
	s_waitcnt vmcnt(0) lgkmcnt(0)
	s_delay_alu instid0(VALU_DEP_1) | instskip(SKIP_1) | instid1(VALU_DEP_1)
	v_dual_cndmask_b32 v6, 0, v6 :: v_dual_fmac_f32 v9, v1, v13
	v_dual_fmac_f32 v10, v2, v14 :: v_dual_fmac_f32 v11, v3, v15
	v_dual_fmac_f32 v12, v4, v16 :: v_dual_add_f32 v5, v9, v10
	s_delay_alu instid0(VALU_DEP_1) | instskip(NEXT) | instid1(VALU_DEP_1)
	v_add_f32_e32 v5, v11, v5
	v_add_f32_e32 v5, v12, v5
	s_delay_alu instid0(VALU_DEP_1) | instskip(NEXT) | instid1(VALU_DEP_1)
	v_dual_fmac_f32 v6, s3, v5 :: v_dual_max_f32 v5, v7, v7
	v_max_f32_e32 v5, v5, v6
	s_delay_alu instid0(VALU_DEP_1) | instskip(SKIP_2) | instid1(VALU_DEP_1)
	v_cndmask_b32_e64 v7, v7, v5, s0
	v_cndmask_b32_e64 v5, 0, v6, s0
	v_add_co_u32 v189, s0, v189, 16
	v_add_co_ci_u32_e64 v190, s0, 0, v190, s0
	ds_store_b32 v0, v5
	v_add_nc_u32_e32 v0, 0x200, v0
	s_and_not1_b32 exec_lo, exec_lo, s7
	s_cbranch_execnz .LBB62_7
; %bb.8:
	s_or_b32 exec_lo, exec_lo, s7
	s_clause 0x4
	scratch_load_b32 v68, off, off offset:464
	scratch_load_b32 v189, off, off offset:468
	;; [unrolled: 1-line block ×3, first 2 shown]
	scratch_load_b64 v[12:13], off, off offset:48
	scratch_load_b32 v9, off, off offset:120
.LBB62_9:
	s_or_b32 exec_lo, exec_lo, s31
	v_mbcnt_lo_u32_b32 v0, -1, 0
	v_max_f32_e32 v4, v7, v7
	s_delay_alu instid0(VALU_DEP_2) | instskip(SKIP_1) | instid1(VALU_DEP_2)
	v_xor_b32_e32 v1, 16, v0
	v_xor_b32_e32 v3, 8, v0
	v_cmp_gt_i32_e32 vcc_lo, 32, v1
	v_cndmask_b32_e32 v1, v0, v1, vcc_lo
	s_delay_alu instid0(VALU_DEP_3) | instskip(NEXT) | instid1(VALU_DEP_2)
	v_cmp_gt_i32_e32 vcc_lo, 32, v3
	v_lshlrev_b32_e32 v1, 2, v1
	v_cndmask_b32_e32 v3, v0, v3, vcc_lo
	ds_bpermute_b32 v2, v1, v7
	s_waitcnt lgkmcnt(0)
	v_dual_max_f32 v5, v2, v2 :: v_dual_lshlrev_b32 v2, 2, v3
	s_delay_alu instid0(VALU_DEP_1) | instskip(SKIP_4) | instid1(VALU_DEP_1)
	v_max_f32_e32 v3, v4, v5
	v_xor_b32_e32 v5, 4, v0
	ds_bpermute_b32 v4, v2, v3
	v_cmp_gt_i32_e32 vcc_lo, 32, v5
	v_cndmask_b32_e32 v5, v0, v5, vcc_lo
	v_lshlrev_b32_e32 v58, 2, v5
	v_xor_b32_e32 v5, 2, v0
	s_delay_alu instid0(VALU_DEP_1) | instskip(SKIP_3) | instid1(VALU_DEP_1)
	v_cmp_gt_i32_e32 vcc_lo, 32, v5
	s_waitcnt lgkmcnt(0)
	v_max_f32_e32 v4, v4, v4
	v_cndmask_b32_e32 v5, v0, v5, vcc_lo
	v_dual_max_f32 v3, v3, v4 :: v_dual_lshlrev_b32 v62, 2, v5
	v_xor_b32_e32 v5, 1, v0
	ds_bpermute_b32 v4, v58, v3
	v_cmp_gt_i32_e32 vcc_lo, 32, v5
	v_cndmask_b32_e32 v5, v0, v5, vcc_lo
	s_waitcnt vmcnt(2)
	v_cmp_eq_u32_e32 vcc_lo, 0, v190
	s_waitcnt lgkmcnt(0)
	s_delay_alu instid0(VALU_DEP_2) | instskip(NEXT) | instid1(VALU_DEP_1)
	v_dual_max_f32 v4, v4, v4 :: v_dual_lshlrev_b32 v69, 2, v5
	v_max_f32_e32 v3, v3, v4
	ds_bpermute_b32 v4, v62, v3
	s_waitcnt lgkmcnt(0)
	v_max_f32_e32 v4, v4, v4
	s_delay_alu instid0(VALU_DEP_1)
	v_max_f32_e32 v0, v3, v4
	v_lshlrev_b32_e32 v4, 2, v189
	ds_bpermute_b32 v3, v69, v0
	s_and_saveexec_b32 s0, vcc_lo
	s_cbranch_execz .LBB62_11
; %bb.10:
	s_waitcnt lgkmcnt(0)
	v_dual_max_f32 v3, v3, v3 :: v_dual_max_f32 v0, v0, v0
	s_delay_alu instid0(VALU_DEP_1)
	v_max_f32_e32 v0, v0, v3
	ds_store_b32 v4, v0 offset:768
.LBB62_11:
	s_or_b32 exec_lo, exec_lo, s0
	v_cmp_gt_u32_e64 s0, 4, v190
	v_mov_b32_e32 v0, 0xff7fffff
	s_waitcnt vmcnt(0) lgkmcnt(0)
	s_waitcnt_vscnt null, 0x0
	s_barrier
	buffer_gl0_inv
	s_and_saveexec_b32 s1, s0
	s_cbranch_execz .LBB62_13
; %bb.12:
	ds_load_b32 v0, v9 offset:768
.LBB62_13:
	s_or_b32 exec_lo, exec_lo, s1
	s_waitcnt lgkmcnt(0)
	ds_bpermute_b32 v3, v62, v0
	v_max_f32_e32 v0, v0, v0
	s_sub_i32 s1, s17, s13
	v_mov_b32_e32 v5, 0
	s_lshl_b32 s1, s1, 5
	s_delay_alu instid0(SALU_CYCLE_1) | instskip(NEXT) | instid1(SALU_CYCLE_1)
	s_add_i32 s1, s1, s29
	s_min_i32 s1, s1, s28
	s_delay_alu instid0(SALU_CYCLE_1) | instskip(NEXT) | instid1(SALU_CYCLE_1)
	s_sub_i32 s7, s1, s29
	v_cmp_gt_i32_e64 s1, s7, v68
	s_waitcnt lgkmcnt(0)
	v_max_f32_e32 v3, v3, v3
	s_delay_alu instid0(VALU_DEP_1) | instskip(SKIP_3) | instid1(VALU_DEP_1)
	v_max_f32_e32 v0, v0, v3
	ds_bpermute_b32 v3, v69, v0
	s_waitcnt lgkmcnt(0)
	v_max_f32_e32 v3, v3, v3
	v_max_f32_e32 v0, v0, v3
	v_lshl_add_u32 v3, v68, 2, 0x320
	ds_bpermute_b32 v0, v5, v0
	s_and_saveexec_b32 s13, s1
	s_cbranch_execz .LBB62_17
; %bb.14:
	v_lshl_add_u32 v6, v68, 2, 0x320
	v_mov_b32_e32 v5, 0
	v_mov_b32_e32 v7, v68
	s_mov_b32 s30, 0
	.p2align	6
.LBB62_15:                              ; =>This Inner Loop Header: Depth=1
	ds_load_b32 v8, v6
	v_add_nc_u32_e32 v7, 0x80, v7
	s_delay_alu instid0(VALU_DEP_1) | instskip(NEXT) | instid1(VALU_DEP_1)
	v_cmp_le_i32_e64 s3, s7, v7
	s_or_b32 s30, s3, s30
	s_waitcnt lgkmcnt(0)
	v_sub_f32_e32 v8, v8, v0
	s_delay_alu instid0(VALU_DEP_1) | instskip(NEXT) | instid1(VALU_DEP_1)
	v_mul_f32_e32 v8, 0x3fb8aa3b, v8
	v_exp_f32_e32 v8, v8
	ds_store_b32 v6, v8
	v_dual_add_f32 v5, v5, v8 :: v_dual_add_nc_u32 v6, 0x200, v6
	s_and_not1_b32 exec_lo, exec_lo, s30
	s_cbranch_execnz .LBB62_15
; %bb.16:
	s_or_b32 exec_lo, exec_lo, s30
.LBB62_17:
	s_delay_alu instid0(SALU_CYCLE_1)
	s_or_b32 exec_lo, exec_lo, s13
	ds_bpermute_b32 v1, v1, v5
	s_waitcnt lgkmcnt(0)
	v_add_f32_e32 v1, v5, v1
	ds_bpermute_b32 v2, v2, v1
	s_waitcnt lgkmcnt(0)
	v_add_f32_e32 v1, v1, v2
	;; [unrolled: 3-line block ×5, first 2 shown]
	s_and_saveexec_b32 s3, vcc_lo
	s_cbranch_execz .LBB62_19
; %bb.18:
	ds_store_b32 v4, v1 offset:784
.LBB62_19:
	s_or_b32 exec_lo, exec_lo, s3
	s_waitcnt lgkmcnt(0)
	s_barrier
	buffer_gl0_inv
	s_and_saveexec_b32 s3, s0
	s_cbranch_execz .LBB62_21
; %bb.20:
	ds_load_b32 v1, v9 offset:784
.LBB62_21:
	s_or_b32 exec_lo, exec_lo, s3
	s_waitcnt lgkmcnt(0)
	ds_bpermute_b32 v2, v62, v1
	s_waitcnt lgkmcnt(0)
	v_add_f32_e32 v1, v1, v2
	ds_bpermute_b32 v2, v69, v1
	s_waitcnt lgkmcnt(0)
	v_dual_add_f32 v1, v1, v2 :: v_dual_mov_b32 v2, 0
	ds_bpermute_b32 v1, v2, v1
	s_and_saveexec_b32 s0, s1
	s_cbranch_execz .LBB62_24
; %bb.22:
	s_waitcnt lgkmcnt(0)
	v_add_f32_e32 v2, 0x358637bd, v1
	s_mov_b32 s1, 0
	s_delay_alu instid0(VALU_DEP_1) | instskip(SKIP_1) | instid1(VALU_DEP_2)
	v_div_scale_f32 v4, null, v2, v2, 1.0
	v_div_scale_f32 v7, vcc_lo, 1.0, v2, 1.0
	v_rcp_f32_e32 v5, v4
	s_waitcnt_depctr 0xfff
	v_fma_f32 v6, -v4, v5, 1.0
	s_delay_alu instid0(VALU_DEP_1) | instskip(NEXT) | instid1(VALU_DEP_1)
	v_fmac_f32_e32 v5, v6, v5
	v_mul_f32_e32 v6, v7, v5
	s_delay_alu instid0(VALU_DEP_1) | instskip(NEXT) | instid1(VALU_DEP_1)
	v_fma_f32 v8, -v4, v6, v7
	v_fmac_f32_e32 v6, v8, v5
	s_delay_alu instid0(VALU_DEP_1) | instskip(NEXT) | instid1(VALU_DEP_1)
	v_fma_f32 v4, -v4, v6, v7
	v_div_fmas_f32 v4, v4, v5, v6
	s_delay_alu instid0(VALU_DEP_1)
	v_div_fixup_f32 v2, v4, v2, 1.0
	v_mov_b32_e32 v4, v68
.LBB62_23:                              ; =>This Inner Loop Header: Depth=1
	ds_load_b32 v5, v3
	s_waitcnt lgkmcnt(0)
	v_dual_mul_f32 v5, v2, v5 :: v_dual_add_nc_u32 v4, 0x80, v4
	s_delay_alu instid0(VALU_DEP_1) | instskip(SKIP_3) | instid1(SALU_CYCLE_1)
	v_cmp_le_i32_e32 vcc_lo, s7, v4
	ds_store_b32 v3, v5
	v_add_nc_u32_e32 v3, 0x200, v3
	s_or_b32 s1, vcc_lo, s1
	s_and_not1_b32 exec_lo, exec_lo, s1
	s_cbranch_execnz .LBB62_23
.LBB62_24:
	s_or_b32 exec_lo, exec_lo, s0
	s_delay_alu instid0(SALU_CYCLE_1)
	s_mov_b32 s0, exec_lo
	s_waitcnt lgkmcnt(0)
	s_barrier
	buffer_gl0_inv
	v_cmpx_eq_u32_e32 0, v68
	s_cbranch_execz .LBB62_26
; %bb.25:
	s_mul_i32 s1, s4, s14
	s_mul_i32 s34, s4, s24
	;; [unrolled: 1-line block ×3, first 2 shown]
	v_mov_b32_e32 v2, 0
	s_ashr_i32 s31, s30, 31
	s_delay_alu instid0(SALU_CYCLE_1) | instskip(NEXT) | instid1(SALU_CYCLE_1)
	s_lshl_b64 s[30:31], s[30:31], 2
	s_add_u32 s1, s10, s30
	s_addc_u32 s3, s11, s31
	s_ashr_i32 s35, s34, 31
	s_delay_alu instid0(SALU_CYCLE_1) | instskip(NEXT) | instid1(SALU_CYCLE_1)
	s_lshl_b64 s[10:11], s[34:35], 2
	s_add_u32 s1, s1, s10
	s_addc_u32 s3, s3, s11
	;; [unrolled: 5-line block ×3, first 2 shown]
	s_add_u32 s1, s8, s30
	s_addc_u32 s3, s9, s31
	s_add_u32 s1, s1, s10
	s_addc_u32 s3, s3, s11
	;; [unrolled: 2-line block ×3, first 2 shown]
	s_clause 0x1
	global_store_b32 v2, v0, s[36:37]
	global_store_b32 v2, v1, s[8:9]
.LBB62_26:
	s_or_b32 exec_lo, exec_lo, s0
	v_dual_mov_b32 v24, 0 :: v_dual_mov_b32 v25, 0
	v_dual_mov_b32 v23, 0 :: v_dual_and_b32 v70, 7, v68
	v_dual_mov_b32 v26, 0 :: v_dual_mov_b32 v5, 0
	v_dual_mov_b32 v22, 0 :: v_dual_mov_b32 v15, 0
	;; [unrolled: 1-line block ×22, first 2 shown]
	v_mov_b32_e32 v59, 0
	s_and_saveexec_b32 s1, s2
	s_cbranch_execz .LBB62_126
; %bb.27:
	v_dual_mov_b32 v1, 0 :: v_dual_lshlrev_b32 v0, 2, v68
	s_clause 0x2
	scratch_store_b32 off, v58, off offset:484
	scratch_store_b32 off, v62, off offset:480
	;; [unrolled: 1-line block ×3, first 2 shown]
	v_lshl_add_u32 v40, v189, 5, s29
	s_ashr_i32 s7, s6, 31
	v_mov_b32_e32 v46, v13
	s_clause 0x1
	scratch_store_b32 off, v1, off offset:56
	scratch_store_b32 off, v70, off offset:488
	v_and_b32_e32 v1, 28, v0
	v_dual_mov_b32 v45, v12 :: v_dual_and_b32 v2, 0x7c, v0
	v_or_b32_e32 v26, 0xf80, v0
	v_lshlrev_b32_e32 v0, 4, v70
	s_lshl_b64 s[2:3], s[6:7], 2
	s_delay_alu instid0(VALU_DEP_3)
	v_or_b32_e32 v3, 0x400, v2
	s_add_u32 s2, s26, s2
	s_addc_u32 s3, s27, s3
	v_lshl_or_b32 v43, v189, 7, v0
	v_add3_u32 v189, v40, v1, 3
	v_lshlrev_b64 v[0:1], 2, v[45:46]
	s_lshl_b64 s[8:9], s[22:23], 2
	s_add_i32 s6, s25, -1
	s_add_u32 s0, s20, s8
	v_or_b32_e32 v4, 0x480, v2
	v_or_b32_e32 v5, 0x500, v2
	v_add_co_u32 v190, vcc_lo, s0, v0
	v_lshlrev_b32_e32 v0, 2, v2
	v_or_b32_e32 v6, 0x580, v2
	v_or_b32_e32 v7, 0x600, v2
	v_or_b32_e32 v8, 0x680, v2
	v_or_b32_e32 v9, 0x700, v2
	scratch_store_b32 off, v0, off offset:300 ; 4-byte Folded Spill
	v_lshlrev_b32_e32 v0, 2, v3
	v_or_b32_e32 v10, 0x780, v2
	v_or_b32_e32 v11, 0x800, v2
	v_or_b32_e32 v12, 0x880, v2
	v_or_b32_e32 v13, 0x900, v2
	scratch_store_b32 off, v0, off offset:304 ; 4-byte Folded Spill
	;; [unrolled: 6-line block ×3, first 2 shown]
	v_dual_mov_b32 v5, 0 :: v_dual_lshlrev_b32 v0, 2, v5
	v_or_b32_e32 v18, 0xb80, v2
	v_or_b32_e32 v19, 0xc00, v2
	v_or_b32_e32 v20, 0xc80, v2
	scratch_store_b32 off, v0, off offset:312 ; 4-byte Folded Spill
	v_lshlrev_b32_e32 v0, 2, v6
	v_or_b32_e32 v21, 0xd00, v2
	v_or_b32_e32 v22, 0xd80, v2
	v_or_b32_e32 v23, 0xe00, v2
	v_or_b32_e32 v24, 0xe80, v2
	scratch_store_b32 off, v0, off offset:316 ; 4-byte Folded Spill
	v_lshlrev_b32_e32 v0, 2, v7
	v_or_b32_e32 v25, 0xf00, v2
	;; [unrolled: 6-line block ×6, first 2 shown]
	v_dual_mov_b32 v7, v45 :: v_dual_add_nc_u32 v40, 0x320, v43
	s_addc_u32 s7, s21, s9
	scratch_store_b32 off, v0, off offset:336 ; 4-byte Folded Spill
	v_lshlrev_b32_e32 v0, 2, v12
	v_add_co_ci_u32_e32 v191, vcc_lo, s7, v1, vcc_lo
	v_dual_mov_b32 v3, v40 :: v_dual_mov_b32 v6, 0
	scratch_store_b32 off, v0, off offset:340 ; 4-byte Folded Spill
	v_lshlrev_b32_e32 v0, 2, v13
	s_mov_b32 s7, s5
	s_mov_b32 s5, 0
	scratch_store_b32 off, v0, off offset:344 ; 4-byte Folded Spill
	v_lshlrev_b32_e32 v0, 2, v14
	scratch_store_b32 off, v0, off offset:348 ; 4-byte Folded Spill
	v_lshlrev_b32_e32 v0, 2, v15
	scratch_store_b32 off, v0, off offset:352 ; 4-byte Folded Spill
	v_lshlrev_b32_e32 v0, 2, v16
	scratch_store_b32 off, v0, off offset:356 ; 4-byte Folded Spill
	v_lshlrev_b32_e32 v0, 2, v17
	scratch_store_b32 off, v0, off offset:360 ; 4-byte Folded Spill
	v_lshlrev_b32_e32 v0, 2, v18
	scratch_store_b32 off, v0, off offset:364 ; 4-byte Folded Spill
	v_lshlrev_b32_e32 v0, 2, v19
	scratch_store_b32 off, v0, off offset:368 ; 4-byte Folded Spill
	v_lshlrev_b32_e32 v0, 2, v20
	scratch_store_b32 off, v0, off offset:372 ; 4-byte Folded Spill
	v_lshlrev_b32_e32 v0, 2, v21
	scratch_store_b32 off, v0, off offset:376 ; 4-byte Folded Spill
	v_lshlrev_b32_e32 v0, 2, v22
	scratch_store_b32 off, v0, off offset:380 ; 4-byte Folded Spill
	v_lshlrev_b32_e32 v0, 2, v23
	scratch_store_b32 off, v0, off offset:384 ; 4-byte Folded Spill
	v_lshlrev_b32_e32 v0, 2, v24
	scratch_store_b32 off, v0, off offset:388 ; 4-byte Folded Spill
	v_lshlrev_b32_e32 v0, 2, v25
	scratch_store_b32 off, v0, off offset:392 ; 4-byte Folded Spill
	v_lshlrev_b32_e32 v0, 2, v26
	scratch_store_b32 off, v0, off offset:396 ; 4-byte Folded Spill
	v_lshlrev_b32_e32 v0, 2, v27
	scratch_store_b32 off, v0, off offset:400 ; 4-byte Folded Spill
	v_lshlrev_b32_e32 v0, 2, v28
	scratch_store_b32 off, v0, off offset:404 ; 4-byte Folded Spill
	v_lshlrev_b32_e32 v0, 2, v29
	scratch_store_b32 off, v0, off offset:408 ; 4-byte Folded Spill
	v_lshlrev_b32_e32 v0, 2, v30
	scratch_store_b32 off, v0, off offset:412 ; 4-byte Folded Spill
	v_lshlrev_b32_e32 v0, 2, v31
	scratch_store_b32 off, v0, off offset:416 ; 4-byte Folded Spill
	v_lshlrev_b32_e32 v0, 2, v32
	scratch_store_b32 off, v0, off offset:420 ; 4-byte Folded Spill
	v_lshlrev_b32_e32 v0, 2, v33
	scratch_store_b32 off, v0, off offset:424 ; 4-byte Folded Spill
	v_lshlrev_b32_e32 v0, 2, v34
	scratch_store_b32 off, v0, off offset:428 ; 4-byte Folded Spill
	v_lshlrev_b32_e32 v0, 2, v35
	scratch_store_b32 off, v0, off offset:432 ; 4-byte Folded Spill
	v_lshlrev_b32_e32 v0, 2, v36
	scratch_store_b32 off, v0, off offset:436 ; 4-byte Folded Spill
	v_lshlrev_b32_e32 v0, 2, v37
	scratch_store_b32 off, v0, off offset:440 ; 4-byte Folded Spill
	v_lshlrev_b32_e32 v0, 2, v38
	scratch_store_b32 off, v0, off offset:444 ; 4-byte Folded Spill
	v_lshlrev_b32_e32 v0, 2, v39
	scratch_store_b32 off, v0, off offset:448 ; 4-byte Folded Spill
	v_lshlrev_b32_e32 v0, 2, v41
	scratch_store_b32 off, v0, off offset:452 ; 4-byte Folded Spill
	v_lshlrev_b32_e32 v0, 2, v42
	scratch_store_b32 off, v0, off offset:456 ; 4-byte Folded Spill
	v_lshlrev_b32_e32 v0, 2, v44
	scratch_store_b32 off, v0, off offset:460 ; 4-byte Folded Spill
	v_mov_b32_e32 v0, 0
	scratch_store_b32 off, v0, off offset:72 ; 4-byte Folded Spill
	v_mov_b32_e32 v0, 0
	;; [unrolled: 2-line block ×45, first 2 shown]
	scratch_store_b32 off, v0, off offset:276 ; 4-byte Folded Spill
	s_branch .LBB62_29
.LBB62_28:                              ;   in Loop: Header=BB62_29 Depth=1
	s_or_b32 exec_lo, exec_lo, s0
	s_waitcnt lgkmcnt(0)
	v_mul_f32_e32 v0, v2, v10
	v_add_co_u32 v190, vcc_lo, v190, 16
	v_add_co_ci_u32_e32 v191, vcc_lo, 0, v191, vcc_lo
	s_delay_alu instid0(VALU_DEP_3) | instskip(SKIP_2) | instid1(VALU_DEP_1)
	v_fmac_f32_e32 v0, v1, v9
	scratch_load_b32 v9, off, off offset:72 ; 4-byte Folded Reload
	v_dual_fmac_f32 v0, v3, v11 :: v_dual_add_nc_u32 v189, 0x80, v189
	v_fmac_f32_e32 v0, v4, v12
	s_waitcnt vmcnt(0)
	s_delay_alu instid0(VALU_DEP_1)
	v_dual_add_f32 v9, v9, v0 :: v_dual_mul_f32 v0, v2, v6
	scratch_load_b32 v6, off, off offset:288 ; 4-byte Folded Reload
	v_fmac_f32_e32 v0, v1, v5
	scratch_load_b32 v5, off, off offset:88 ; 4-byte Folded Reload
	v_fmac_f32_e32 v0, v3, v7
	;; [unrolled: 2-line block ×3, first 2 shown]
	s_waitcnt vmcnt(1)
	s_delay_alu instid0(VALU_DEP_1)
	v_dual_add_f32 v5, v5, v0 :: v_dual_mul_f32 v0, v2, v186
	s_clause 0x1
	scratch_store_b32 off, v9, off offset:72
	scratch_store_b32 off, v5, off offset:88
	scratch_load_b32 v5, off, off offset:104 ; 4-byte Folded Reload
	v_fmac_f32_e32 v0, v1, v185
	s_delay_alu instid0(VALU_DEP_1) | instskip(NEXT) | instid1(VALU_DEP_1)
	v_fmac_f32_e32 v0, v3, v187
	v_fmac_f32_e32 v0, v4, v188
	s_waitcnt vmcnt(0)
	s_delay_alu instid0(VALU_DEP_1) | instskip(SKIP_3) | instid1(VALU_DEP_1)
	v_dual_add_f32 v5, v5, v0 :: v_dual_mul_f32 v0, v2, v182
	scratch_store_b32 off, v5, off offset:104 ; 4-byte Folded Spill
	scratch_load_b32 v5, off, off offset:120 ; 4-byte Folded Reload
	v_fmac_f32_e32 v0, v1, v181
	v_fmac_f32_e32 v0, v3, v183
	s_delay_alu instid0(VALU_DEP_1) | instskip(SKIP_1) | instid1(VALU_DEP_1)
	v_fmac_f32_e32 v0, v4, v184
	s_waitcnt vmcnt(0)
	v_dual_add_f32 v5, v5, v0 :: v_dual_mul_f32 v0, v2, v178
	scratch_store_b32 off, v5, off offset:120 ; 4-byte Folded Spill
	scratch_load_b32 v5, off, off offset:124 ; 4-byte Folded Reload
	v_fmac_f32_e32 v0, v1, v177
	s_delay_alu instid0(VALU_DEP_1) | instskip(NEXT) | instid1(VALU_DEP_1)
	v_fmac_f32_e32 v0, v3, v179
	v_fmac_f32_e32 v0, v4, v180
	s_waitcnt vmcnt(0)
	s_delay_alu instid0(VALU_DEP_1) | instskip(SKIP_3) | instid1(VALU_DEP_1)
	v_dual_add_f32 v5, v5, v0 :: v_dual_mul_f32 v0, v2, v174
	scratch_store_b32 off, v5, off offset:124 ; 4-byte Folded Spill
	scratch_load_b32 v5, off, off offset:128 ; 4-byte Folded Reload
	v_fmac_f32_e32 v0, v1, v173
	v_fmac_f32_e32 v0, v3, v175
	s_delay_alu instid0(VALU_DEP_1) | instskip(SKIP_1) | instid1(VALU_DEP_1)
	v_fmac_f32_e32 v0, v4, v176
	s_waitcnt vmcnt(0)
	v_dual_add_f32 v5, v5, v0 :: v_dual_mul_f32 v0, v2, v170
	scratch_store_b32 off, v5, off offset:128 ; 4-byte Folded Spill
	;; [unrolled: 17-line block ×19, first 2 shown]
	scratch_load_b32 v5, off, off offset:292 ; 4-byte Folded Reload
	v_fmac_f32_e32 v0, v1, v29
	s_delay_alu instid0(VALU_DEP_1) | instskip(NEXT) | instid1(VALU_DEP_1)
	v_fmac_f32_e32 v0, v3, v31
	v_fmac_f32_e32 v0, v4, v32
	s_delay_alu instid0(VALU_DEP_1) | instskip(SKIP_1) | instid1(VALU_DEP_1)
	v_add_f32_e32 v6, v6, v0
	v_mul_f32_e32 v0, v2, v26
	v_fmac_f32_e32 v0, v1, v25
	s_delay_alu instid0(VALU_DEP_1) | instskip(NEXT) | instid1(VALU_DEP_1)
	v_fmac_f32_e32 v0, v3, v27
	v_fmac_f32_e32 v0, v4, v28
	s_waitcnt vmcnt(0)
	s_delay_alu instid0(VALU_DEP_1) | instskip(NEXT) | instid1(VALU_DEP_1)
	v_dual_add_f32 v5, v5, v0 :: v_dual_mul_f32 v0, v2, v22
	v_fmac_f32_e32 v0, v1, v21
	s_delay_alu instid0(VALU_DEP_1) | instskip(NEXT) | instid1(VALU_DEP_1)
	v_fmac_f32_e32 v0, v3, v23
	v_fmac_f32_e32 v0, v4, v24
	s_delay_alu instid0(VALU_DEP_1) | instskip(SKIP_3) | instid1(VALU_DEP_1)
	v_dual_add_f32 v7, v7, v0 :: v_dual_mul_f32 v0, v2, v18
	scratch_store_b32 off, v7, off offset:268 ; 4-byte Folded Spill
	scratch_load_b32 v7, off, off offset:272 ; 4-byte Folded Reload
	v_fmac_f32_e32 v0, v1, v17
	v_fmac_f32_e32 v0, v3, v19
	s_delay_alu instid0(VALU_DEP_1) | instskip(SKIP_1) | instid1(VALU_DEP_1)
	v_fmac_f32_e32 v0, v4, v20
	s_waitcnt vmcnt(0)
	v_add_f32_e32 v7, v7, v0
	scratch_store_b32 off, v7, off offset:272 ; 4-byte Folded Spill
	scratch_load_b128 v[7:10], off, off offset:32 ; 16-byte Folded Reload
	s_waitcnt vmcnt(0)
	v_mul_f32_e32 v0, v2, v8
	s_delay_alu instid0(VALU_DEP_1) | instskip(SKIP_2) | instid1(VALU_DEP_1)
	v_fmac_f32_e32 v0, v1, v7
	scratch_load_b32 v7, off, off offset:280 ; 4-byte Folded Reload
	v_fmac_f32_e32 v0, v3, v9
	v_fmac_f32_e32 v0, v4, v10
	s_waitcnt vmcnt(0)
	s_delay_alu instid0(VALU_DEP_1) | instskip(SKIP_4) | instid1(VALU_DEP_1)
	v_add_f32_e32 v7, v7, v0
	scratch_store_b32 off, v7, off offset:280 ; 4-byte Folded Spill
	scratch_load_b128 v[7:10], off, off offset:16 ; 16-byte Folded Reload
	s_waitcnt vmcnt(0)
	v_mul_f32_e32 v0, v2, v8
	v_fmac_f32_e32 v0, v1, v7
	scratch_load_b32 v7, off, off offset:284 ; 4-byte Folded Reload
	v_fmac_f32_e32 v0, v3, v9
	s_delay_alu instid0(VALU_DEP_1) | instskip(SKIP_1) | instid1(VALU_DEP_1)
	v_fmac_f32_e32 v0, v4, v10
	s_waitcnt vmcnt(0)
	v_add_f32_e32 v7, v7, v0
	scratch_store_b32 off, v7, off offset:284 ; 4-byte Folded Spill
	scratch_load_b128 v[7:10], off, off     ; 16-byte Folded Reload
	s_waitcnt vmcnt(0)
	v_mul_f32_e32 v0, v2, v8
	s_delay_alu instid0(VALU_DEP_1) | instskip(SKIP_2) | instid1(VALU_DEP_1)
	v_fmac_f32_e32 v0, v1, v7
	scratch_load_b32 v7, off, off offset:276 ; 4-byte Folded Reload
	v_fmac_f32_e32 v0, v3, v9
	v_fmac_f32_e32 v0, v4, v10
	s_waitcnt vmcnt(0)
	s_delay_alu instid0(VALU_DEP_1)
	v_dual_add_f32 v7, v7, v0 :: v_dual_mul_f32 v0, v2, v142
	scratch_store_b32 off, v7, off offset:276 ; 4-byte Folded Spill
	v_fmac_f32_e32 v0, v1, v141
	scratch_load_b32 v1, off, off offset:56 ; 4-byte Folded Reload
	v_fmac_f32_e32 v0, v3, v143
	s_clause 0x1
	scratch_load_b32 v3, off, off offset:296
	scratch_load_b64 v[7:8], off, off offset:48
	v_fmac_f32_e32 v0, v4, v144
	s_waitcnt vmcnt(2)
	s_delay_alu instid0(VALU_DEP_1)
	v_add_f32_e32 v1, v1, v0
	s_waitcnt vmcnt(1)
	v_add_nc_u32_e32 v3, 0x200, v3
	s_waitcnt vmcnt(0)
	v_add_nc_u32_e32 v7, 4, v7
	scratch_store_b32 off, v1, off offset:56 ; 4-byte Folded Spill
	v_cmp_le_i32_e32 vcc_lo, s17, v7
	s_or_b32 s5, vcc_lo, s5
	s_delay_alu instid0(SALU_CYCLE_1)
	s_and_not1_b32 exec_lo, exec_lo, s5
	s_cbranch_execz .LBB62_125
.LBB62_29:                              ; =>This Inner Loop Header: Depth=1
	s_clause 0x1
	scratch_store_b32 off, v5, off offset:292
	scratch_store_b32 off, v6, off offset:288
	global_load_b32 v2, v[190:191], off
	v_add_nc_u32_e32 v14, -2, v189
	v_add_nc_u32_e32 v13, -1, v189
	s_waitcnt vmcnt(0)
	v_mad_i64_i32 v[0:1], null, v2, s7, 0
	s_delay_alu instid0(VALU_DEP_1) | instskip(NEXT) | instid1(VALU_DEP_1)
	v_lshlrev_b64 v[0:1], 2, v[0:1]
	v_add_co_u32 v15, vcc_lo, s2, v0
	scratch_load_b32 v0, off, off offset:300 ; 4-byte Folded Reload
	v_add_co_ci_u32_e32 v16, vcc_lo, s3, v1, vcc_lo
	s_waitcnt vmcnt(0)
	v_add_co_u32 v5, vcc_lo, v15, v0
	s_delay_alu instid0(VALU_DEP_2)
	v_add_co_ci_u32_e32 v6, vcc_lo, 0, v16, vcc_lo
	v_add_nc_u32_e32 v0, -3, v189
	v_cmp_eq_u32_e32 vcc_lo, s6, v7
	global_load_b128 v[8:11], v[5:6], off
	s_waitcnt vmcnt(0)
	s_clause 0x1
	scratch_store_b128 off, v[8:11], off
	scratch_store_b32 off, v3, off offset:296
	ds_load_b128 v[1:4], v3
	v_mov_b32_e32 v8, v7
	scratch_store_b64 off, v[8:9], off offset:48 ; 8-byte Folded Spill
	s_and_saveexec_b32 s8, vcc_lo
	s_cbranch_execz .LBB62_31
; %bb.30:                               ;   in Loop: Header=BB62_29 Depth=1
	scratch_load_b128 v[7:10], off, off     ; 16-byte Folded Reload
	v_cmp_gt_i32_e64 s0, s28, v0
	s_waitcnt vmcnt(0)
	s_delay_alu instid0(VALU_DEP_1) | instskip(SKIP_1) | instid1(VALU_DEP_1)
	v_cndmask_b32_e64 v7, 0, v7, s0
	v_cmp_gt_i32_e64 s0, s28, v14
	v_cndmask_b32_e64 v8, 0, v8, s0
	v_cmp_gt_i32_e64 s0, s28, v13
	s_delay_alu instid0(VALU_DEP_1) | instskip(SKIP_1) | instid1(VALU_DEP_1)
	v_cndmask_b32_e64 v9, 0, v9, s0
	v_cmp_gt_i32_e64 s0, s28, v189
	v_cndmask_b32_e64 v10, 0, v10, s0
	scratch_store_b128 off, v[7:10], off    ; 16-byte Folded Spill
.LBB62_31:                              ;   in Loop: Header=BB62_29 Depth=1
	s_or_b32 exec_lo, exec_lo, s8
	global_load_b128 v[7:10], v[5:6], off offset:512
	s_waitcnt vmcnt(0)
	scratch_store_b128 off, v[7:10], off offset:16 ; 16-byte Folded Spill
	s_and_saveexec_b32 s8, vcc_lo
	s_cbranch_execz .LBB62_33
; %bb.32:                               ;   in Loop: Header=BB62_29 Depth=1
	scratch_load_b128 v[7:10], off, off offset:16 ; 16-byte Folded Reload
	v_cmp_gt_i32_e64 s0, s28, v0
	s_waitcnt vmcnt(0)
	s_delay_alu instid0(VALU_DEP_1) | instskip(SKIP_1) | instid1(VALU_DEP_1)
	v_cndmask_b32_e64 v7, 0, v7, s0
	v_cmp_gt_i32_e64 s0, s28, v14
	v_cndmask_b32_e64 v8, 0, v8, s0
	v_cmp_gt_i32_e64 s0, s28, v13
	s_delay_alu instid0(VALU_DEP_1) | instskip(SKIP_1) | instid1(VALU_DEP_1)
	v_cndmask_b32_e64 v9, 0, v9, s0
	v_cmp_gt_i32_e64 s0, s28, v189
	v_cndmask_b32_e64 v10, 0, v10, s0
	scratch_store_b128 off, v[7:10], off offset:16 ; 16-byte Folded Spill
.LBB62_33:                              ;   in Loop: Header=BB62_29 Depth=1
	s_or_b32 exec_lo, exec_lo, s8
	global_load_b128 v[7:10], v[5:6], off offset:1024
	s_waitcnt vmcnt(0)
	scratch_store_b128 off, v[7:10], off offset:32 ; 16-byte Folded Spill
	s_and_saveexec_b32 s8, vcc_lo
	s_cbranch_execnz .LBB62_120
; %bb.34:                               ;   in Loop: Header=BB62_29 Depth=1
	s_or_b32 exec_lo, exec_lo, s8
	global_load_b128 v[17:20], v[5:6], off offset:1536
	s_and_saveexec_b32 s8, vcc_lo
	s_cbranch_execnz .LBB62_121
.LBB62_35:                              ;   in Loop: Header=BB62_29 Depth=1
	s_or_b32 exec_lo, exec_lo, s8
	global_load_b128 v[21:24], v[5:6], off offset:2048
	s_and_saveexec_b32 s8, vcc_lo
	s_cbranch_execnz .LBB62_122
.LBB62_36:                              ;   in Loop: Header=BB62_29 Depth=1
	s_or_b32 exec_lo, exec_lo, s8
	global_load_b128 v[25:28], v[5:6], off offset:2560
	s_and_saveexec_b32 s8, vcc_lo
	s_cbranch_execnz .LBB62_123
.LBB62_37:                              ;   in Loop: Header=BB62_29 Depth=1
	s_or_b32 exec_lo, exec_lo, s8
	global_load_b128 v[29:32], v[5:6], off offset:3072
	s_and_saveexec_b32 s8, vcc_lo
	s_cbranch_execnz .LBB62_124
.LBB62_38:                              ;   in Loop: Header=BB62_29 Depth=1
	s_or_b32 exec_lo, exec_lo, s8
	global_load_b128 v[33:36], v[5:6], off offset:3584
	s_and_saveexec_b32 s8, vcc_lo
	s_cbranch_execz .LBB62_40
.LBB62_39:                              ;   in Loop: Header=BB62_29 Depth=1
	v_cmp_gt_i32_e64 s0, s28, v0
	s_waitcnt vmcnt(0)
	s_delay_alu instid0(VALU_DEP_1) | instskip(SKIP_1) | instid1(VALU_DEP_1)
	v_cndmask_b32_e64 v33, 0, v33, s0
	v_cmp_gt_i32_e64 s0, s28, v14
	v_cndmask_b32_e64 v34, 0, v34, s0
	v_cmp_gt_i32_e64 s0, s28, v13
	s_delay_alu instid0(VALU_DEP_1) | instskip(SKIP_1) | instid1(VALU_DEP_1)
	v_cndmask_b32_e64 v35, 0, v35, s0
	v_cmp_gt_i32_e64 s0, s28, v189
	v_cndmask_b32_e64 v36, 0, v36, s0
.LBB62_40:                              ;   in Loop: Header=BB62_29 Depth=1
	s_or_b32 exec_lo, exec_lo, s8
	scratch_load_b32 v5, off, off offset:304 ; 4-byte Folded Reload
	s_waitcnt vmcnt(0)
	v_add_co_u32 v5, s0, v15, v5
	s_delay_alu instid0(VALU_DEP_1)
	v_add_co_ci_u32_e64 v6, s0, 0, v16, s0
	global_load_b128 v[37:40], v[5:6], off
	s_and_saveexec_b32 s8, vcc_lo
	s_cbranch_execz .LBB62_42
; %bb.41:                               ;   in Loop: Header=BB62_29 Depth=1
	v_cmp_gt_i32_e64 s0, s28, v0
	s_waitcnt vmcnt(0)
	s_delay_alu instid0(VALU_DEP_1) | instskip(SKIP_1) | instid1(VALU_DEP_1)
	v_cndmask_b32_e64 v37, 0, v37, s0
	v_cmp_gt_i32_e64 s0, s28, v14
	v_cndmask_b32_e64 v38, 0, v38, s0
	v_cmp_gt_i32_e64 s0, s28, v13
	s_delay_alu instid0(VALU_DEP_1) | instskip(SKIP_1) | instid1(VALU_DEP_1)
	v_cndmask_b32_e64 v39, 0, v39, s0
	v_cmp_gt_i32_e64 s0, s28, v189
	v_cndmask_b32_e64 v40, 0, v40, s0
.LBB62_42:                              ;   in Loop: Header=BB62_29 Depth=1
	s_or_b32 exec_lo, exec_lo, s8
	scratch_load_b32 v5, off, off offset:308 ; 4-byte Folded Reload
	s_waitcnt vmcnt(0)
	v_add_co_u32 v5, s0, v15, v5
	s_delay_alu instid0(VALU_DEP_1)
	v_add_co_ci_u32_e64 v6, s0, 0, v16, s0
	global_load_b128 v[41:44], v[5:6], off
	s_and_saveexec_b32 s8, vcc_lo
	s_cbranch_execz .LBB62_44
; %bb.43:                               ;   in Loop: Header=BB62_29 Depth=1
	v_cmp_gt_i32_e64 s0, s28, v0
	s_waitcnt vmcnt(0)
	s_delay_alu instid0(VALU_DEP_1) | instskip(SKIP_1) | instid1(VALU_DEP_1)
	v_cndmask_b32_e64 v41, 0, v41, s0
	v_cmp_gt_i32_e64 s0, s28, v14
	v_cndmask_b32_e64 v42, 0, v42, s0
	v_cmp_gt_i32_e64 s0, s28, v13
	s_delay_alu instid0(VALU_DEP_1) | instskip(SKIP_1) | instid1(VALU_DEP_1)
	v_cndmask_b32_e64 v43, 0, v43, s0
	v_cmp_gt_i32_e64 s0, s28, v189
	v_cndmask_b32_e64 v44, 0, v44, s0
.LBB62_44:                              ;   in Loop: Header=BB62_29 Depth=1
	;; [unrolled: 22-line block ×29, first 2 shown]
	s_or_b32 exec_lo, exec_lo, s8
	scratch_load_b32 v5, off, off offset:420 ; 4-byte Folded Reload
	s_waitcnt vmcnt(0)
	v_add_co_u32 v5, s0, v15, v5
	s_delay_alu instid0(VALU_DEP_1)
	v_add_co_ci_u32_e64 v6, s0, 0, v16, s0
	global_load_b128 v[157:160], v[5:6], off
	s_and_saveexec_b32 s8, vcc_lo
	s_cbranch_execz .LBB62_100
; %bb.99:                               ;   in Loop: Header=BB62_29 Depth=1
	v_cmp_gt_i32_e64 s0, s28, v0
	s_waitcnt vmcnt(0)
	s_delay_alu instid0(VALU_DEP_1) | instskip(SKIP_1) | instid1(VALU_DEP_1)
	v_cndmask_b32_e64 v157, 0, v157, s0
	v_cmp_gt_i32_e64 s0, s28, v14
	v_cndmask_b32_e64 v158, 0, v158, s0
	v_cmp_gt_i32_e64 s0, s28, v13
	s_delay_alu instid0(VALU_DEP_1) | instskip(SKIP_1) | instid1(VALU_DEP_1)
	v_cndmask_b32_e64 v159, 0, v159, s0
	v_cmp_gt_i32_e64 s0, s28, v189
	v_cndmask_b32_e64 v160, 0, v160, s0
.LBB62_100:                             ;   in Loop: Header=BB62_29 Depth=1
	s_or_b32 exec_lo, exec_lo, s8
	scratch_load_b32 v5, off, off offset:424 ; 4-byte Folded Reload
	s_waitcnt vmcnt(0)
	v_add_co_u32 v5, s0, v15, v5
	s_delay_alu instid0(VALU_DEP_1)
	v_add_co_ci_u32_e64 v6, s0, 0, v16, s0
	global_load_b128 v[161:164], v[5:6], off
	s_and_saveexec_b32 s8, vcc_lo
	s_cbranch_execz .LBB62_102
; %bb.101:                              ;   in Loop: Header=BB62_29 Depth=1
	v_cmp_gt_i32_e64 s0, s28, v0
	s_waitcnt vmcnt(0)
	s_delay_alu instid0(VALU_DEP_1) | instskip(SKIP_1) | instid1(VALU_DEP_1)
	v_cndmask_b32_e64 v161, 0, v161, s0
	v_cmp_gt_i32_e64 s0, s28, v14
	v_cndmask_b32_e64 v162, 0, v162, s0
	v_cmp_gt_i32_e64 s0, s28, v13
	s_delay_alu instid0(VALU_DEP_1) | instskip(SKIP_1) | instid1(VALU_DEP_1)
	v_cndmask_b32_e64 v163, 0, v163, s0
	v_cmp_gt_i32_e64 s0, s28, v189
	v_cndmask_b32_e64 v164, 0, v164, s0
.LBB62_102:                             ;   in Loop: Header=BB62_29 Depth=1
	s_or_b32 exec_lo, exec_lo, s8
	scratch_load_b32 v5, off, off offset:428 ; 4-byte Folded Reload
	s_waitcnt vmcnt(0)
	v_add_co_u32 v5, s0, v15, v5
	s_delay_alu instid0(VALU_DEP_1)
	v_add_co_ci_u32_e64 v6, s0, 0, v16, s0
	global_load_b128 v[165:168], v[5:6], off
	s_and_saveexec_b32 s8, vcc_lo
	s_cbranch_execz .LBB62_104
; %bb.103:                              ;   in Loop: Header=BB62_29 Depth=1
	v_cmp_gt_i32_e64 s0, s28, v0
	s_waitcnt vmcnt(0)
	s_delay_alu instid0(VALU_DEP_1) | instskip(SKIP_1) | instid1(VALU_DEP_1)
	v_cndmask_b32_e64 v165, 0, v165, s0
	v_cmp_gt_i32_e64 s0, s28, v14
	v_cndmask_b32_e64 v166, 0, v166, s0
	v_cmp_gt_i32_e64 s0, s28, v13
	s_delay_alu instid0(VALU_DEP_1) | instskip(SKIP_1) | instid1(VALU_DEP_1)
	v_cndmask_b32_e64 v167, 0, v167, s0
	v_cmp_gt_i32_e64 s0, s28, v189
	v_cndmask_b32_e64 v168, 0, v168, s0
.LBB62_104:                             ;   in Loop: Header=BB62_29 Depth=1
	;; [unrolled: 22-line block ×9, first 2 shown]
	s_or_b32 exec_lo, exec_lo, s8
	scratch_load_b32 v141, off, off offset:460 ; 4-byte Folded Reload
	s_waitcnt vmcnt(0)
	v_add_co_u32 v15, s0, v15, v141
	s_delay_alu instid0(VALU_DEP_1)
	v_add_co_ci_u32_e64 v16, s0, 0, v16, s0
	global_load_b128 v[141:144], v[15:16], off
	s_and_saveexec_b32 s0, vcc_lo
	s_cbranch_execz .LBB62_28
; %bb.119:                              ;   in Loop: Header=BB62_29 Depth=1
	v_cmp_gt_i32_e32 vcc_lo, s28, v0
	s_waitcnt vmcnt(0)
	v_cndmask_b32_e32 v141, 0, v141, vcc_lo
	v_cmp_gt_i32_e32 vcc_lo, s28, v14
	v_cndmask_b32_e32 v142, 0, v142, vcc_lo
	v_cmp_gt_i32_e32 vcc_lo, s28, v13
	;; [unrolled: 2-line block ×3, first 2 shown]
	v_cndmask_b32_e32 v144, 0, v144, vcc_lo
	s_branch .LBB62_28
.LBB62_120:                             ;   in Loop: Header=BB62_29 Depth=1
	scratch_load_b128 v[7:10], off, off offset:32 ; 16-byte Folded Reload
	v_cmp_gt_i32_e64 s0, s28, v0
	s_waitcnt vmcnt(0)
	s_delay_alu instid0(VALU_DEP_1) | instskip(SKIP_1) | instid1(VALU_DEP_1)
	v_cndmask_b32_e64 v7, 0, v7, s0
	v_cmp_gt_i32_e64 s0, s28, v14
	v_cndmask_b32_e64 v8, 0, v8, s0
	v_cmp_gt_i32_e64 s0, s28, v13
	s_delay_alu instid0(VALU_DEP_1) | instskip(SKIP_1) | instid1(VALU_DEP_1)
	v_cndmask_b32_e64 v9, 0, v9, s0
	v_cmp_gt_i32_e64 s0, s28, v189
	v_cndmask_b32_e64 v10, 0, v10, s0
	scratch_store_b128 off, v[7:10], off offset:32 ; 16-byte Folded Spill
	s_or_b32 exec_lo, exec_lo, s8
	global_load_b128 v[17:20], v[5:6], off offset:1536
	s_and_saveexec_b32 s8, vcc_lo
	s_cbranch_execz .LBB62_35
.LBB62_121:                             ;   in Loop: Header=BB62_29 Depth=1
	v_cmp_gt_i32_e64 s0, s28, v0
	s_waitcnt vmcnt(0)
	s_delay_alu instid0(VALU_DEP_1) | instskip(SKIP_1) | instid1(VALU_DEP_1)
	v_cndmask_b32_e64 v17, 0, v17, s0
	v_cmp_gt_i32_e64 s0, s28, v14
	v_cndmask_b32_e64 v18, 0, v18, s0
	v_cmp_gt_i32_e64 s0, s28, v13
	s_delay_alu instid0(VALU_DEP_1) | instskip(SKIP_1) | instid1(VALU_DEP_1)
	v_cndmask_b32_e64 v19, 0, v19, s0
	v_cmp_gt_i32_e64 s0, s28, v189
	v_cndmask_b32_e64 v20, 0, v20, s0
	s_or_b32 exec_lo, exec_lo, s8
	global_load_b128 v[21:24], v[5:6], off offset:2048
	s_and_saveexec_b32 s8, vcc_lo
	s_cbranch_execz .LBB62_36
.LBB62_122:                             ;   in Loop: Header=BB62_29 Depth=1
	v_cmp_gt_i32_e64 s0, s28, v0
	s_waitcnt vmcnt(0)
	s_delay_alu instid0(VALU_DEP_1) | instskip(SKIP_1) | instid1(VALU_DEP_1)
	v_cndmask_b32_e64 v21, 0, v21, s0
	v_cmp_gt_i32_e64 s0, s28, v14
	v_cndmask_b32_e64 v22, 0, v22, s0
	v_cmp_gt_i32_e64 s0, s28, v13
	s_delay_alu instid0(VALU_DEP_1) | instskip(SKIP_1) | instid1(VALU_DEP_1)
	v_cndmask_b32_e64 v23, 0, v23, s0
	v_cmp_gt_i32_e64 s0, s28, v189
	v_cndmask_b32_e64 v24, 0, v24, s0
	s_or_b32 exec_lo, exec_lo, s8
	global_load_b128 v[25:28], v[5:6], off offset:2560
	s_and_saveexec_b32 s8, vcc_lo
	s_cbranch_execz .LBB62_37
.LBB62_123:                             ;   in Loop: Header=BB62_29 Depth=1
	v_cmp_gt_i32_e64 s0, s28, v0
	s_waitcnt vmcnt(0)
	s_delay_alu instid0(VALU_DEP_1) | instskip(SKIP_1) | instid1(VALU_DEP_1)
	v_cndmask_b32_e64 v25, 0, v25, s0
	v_cmp_gt_i32_e64 s0, s28, v14
	v_cndmask_b32_e64 v26, 0, v26, s0
	v_cmp_gt_i32_e64 s0, s28, v13
	s_delay_alu instid0(VALU_DEP_1) | instskip(SKIP_1) | instid1(VALU_DEP_1)
	v_cndmask_b32_e64 v27, 0, v27, s0
	v_cmp_gt_i32_e64 s0, s28, v189
	v_cndmask_b32_e64 v28, 0, v28, s0
	s_or_b32 exec_lo, exec_lo, s8
	global_load_b128 v[29:32], v[5:6], off offset:3072
	s_and_saveexec_b32 s8, vcc_lo
	s_cbranch_execz .LBB62_38
.LBB62_124:                             ;   in Loop: Header=BB62_29 Depth=1
	v_cmp_gt_i32_e64 s0, s28, v0
	s_waitcnt vmcnt(0)
	s_delay_alu instid0(VALU_DEP_1) | instskip(SKIP_1) | instid1(VALU_DEP_1)
	v_cndmask_b32_e64 v29, 0, v29, s0
	v_cmp_gt_i32_e64 s0, s28, v14
	v_cndmask_b32_e64 v30, 0, v30, s0
	v_cmp_gt_i32_e64 s0, s28, v13
	s_delay_alu instid0(VALU_DEP_1) | instskip(SKIP_1) | instid1(VALU_DEP_1)
	v_cndmask_b32_e64 v31, 0, v31, s0
	v_cmp_gt_i32_e64 s0, s28, v189
	v_cndmask_b32_e64 v32, 0, v32, s0
	s_or_b32 exec_lo, exec_lo, s8
	global_load_b128 v[33:36], v[5:6], off offset:3584
	s_and_saveexec_b32 s8, vcc_lo
	s_cbranch_execnz .LBB62_39
	s_branch .LBB62_40
.LBB62_125:
	s_or_b32 exec_lo, exec_lo, s5
	s_clause 0x1f
	scratch_load_b32 v68, off, off offset:464
	scratch_load_b32 v189, off, off offset:468
	;; [unrolled: 1-line block ×32, first 2 shown]
	s_clause 0x14
	scratch_load_b32 v35, off, off offset:204
	scratch_load_b32 v36, off, off offset:208
	;; [unrolled: 1-line block ×21, first 2 shown]
.LBB62_126:
	s_or_b32 exec_lo, exec_lo, s1
	s_waitcnt vmcnt(2)
	ds_bpermute_b32 v0, v58, v24
	s_waitcnt vmcnt(0)
	ds_bpermute_b32 v1, v58, v26
	ds_bpermute_b32 v2, v58, v25
	;; [unrolled: 1-line block ×3, first 2 shown]
	v_dual_mov_b32 v21, v5 :: v_dual_mov_b32 v16, v6
	ds_bpermute_b32 v6, v58, v6
	ds_bpermute_b32 v7, v58, v15
	;; [unrolled: 1-line block ×14, first 2 shown]
	s_waitcnt lgkmcnt(16)
	v_dual_add_f32 v0, v24, v0 :: v_dual_add_f32 v1, v26, v1
	s_waitcnt lgkmcnt(14)
	v_dual_add_f32 v2, v25, v2 :: v_dual_add_f32 v3, v23, v3
	ds_bpermute_b32 v53, v58, v77
	ds_bpermute_b32 v56, v58, v74
	s_waitcnt lgkmcnt(14)
	v_dual_add_f32 v6, v16, v6 :: v_dual_add_f32 v7, v15, v7
	s_waitcnt lgkmcnt(12)
	v_dual_add_f32 v8, v14, v8 :: v_dual_add_f32 v9, v17, v9
	ds_bpermute_b32 v14, v62, v0
	ds_bpermute_b32 v15, v62, v1
	ds_bpermute_b32 v16, v62, v2
	ds_bpermute_b32 v17, v62, v3
	s_waitcnt lgkmcnt(14)
	v_dual_add_f32 v4, v22, v4 :: v_dual_add_f32 v5, v21, v5
	s_waitcnt lgkmcnt(12)
	v_dual_add_f32 v10, v20, v10 :: v_dual_add_f32 v11, v19, v11
	s_waitcnt lgkmcnt(11)
	v_add_f32_e32 v12, v18, v12
	ds_bpermute_b32 v18, v62, v4
	ds_bpermute_b32 v19, v62, v5
	;; [unrolled: 1-line block ×8, first 2 shown]
	s_waitcnt lgkmcnt(18)
	v_add_f32_e32 v13, v39, v13
	ds_bpermute_b32 v55, v58, v75
	ds_bpermute_b32 v57, v58, v73
	s_waitcnt lgkmcnt(12)
	v_dual_add_f32 v0, v0, v14 :: v_dual_add_f32 v1, v1, v15
	ds_bpermute_b32 v26, v62, v12
	s_waitcnt lgkmcnt(11)
	v_dual_add_f32 v3, v3, v17 :: v_dual_add_f32 v2, v2, v16
	ds_bpermute_b32 v15, v69, v0
	ds_bpermute_b32 v16, v69, v1
	;; [unrolled: 1-line block ×3, first 2 shown]
	s_movk_i32 s0, 0x300
	s_waitcnt lgkmcnt(12)
	v_dual_add_f32 v4, v4, v18 :: v_dual_add_f32 v5, v5, v19
	ds_bpermute_b32 v17, v69, v2
	s_waitcnt lgkmcnt(10)
	v_dual_add_f32 v8, v8, v22 :: v_dual_add_f32 v11, v11, v25
	v_add_f32_e32 v10, v10, v24
	s_waitcnt lgkmcnt(7)
	v_dual_add_f32 v6, v6, v20 :: v_dual_add_f32 v9, v9, v23
	v_add_f32_e32 v7, v7, v21
	ds_bpermute_b32 v19, v69, v4
	ds_bpermute_b32 v20, v69, v5
	;; [unrolled: 1-line block ×4, first 2 shown]
	s_waitcnt lgkmcnt(8)
	v_add_f32_e32 v12, v12, v26
	v_add_f32_e32 v26, v32, v28
	ds_bpermute_b32 v21, v69, v6
	s_waitcnt lgkmcnt(7)
	v_dual_add_f32 v0, v0, v15 :: v_dual_add_f32 v1, v1, v16
	ds_bpermute_b32 v15, v69, v11
	ds_bpermute_b32 v16, v69, v12
	;; [unrolled: 1-line block ×4, first 2 shown]
	s_waitcnt lgkmcnt(9)
	v_add_f32_e32 v2, v2, v17
	v_add_f32_e32 v17, v38, v27
	v_dual_add_f32 v27, v31, v29 :: v_dual_add_f32 v14, v30, v14
	ds_bpermute_b32 v28, v62, v13
	ds_bpermute_b32 v30, v62, v26
	ds_bpermute_b32 v29, v62, v17
	ds_bpermute_b32 v31, v62, v27
	s_waitcnt lgkmcnt(11)
	v_add_f32_e32 v5, v5, v20
	ds_bpermute_b32 v32, v62, v14
	v_add_f32_e32 v4, v4, v19
	s_waitcnt lgkmcnt(11)
	v_add_f32_e32 v10, v10, v25
	ds_bpermute_b32 v19, v58, v36
	ds_bpermute_b32 v24, v69, v9
	s_waitcnt lgkmcnt(12)
	v_add_f32_e32 v3, v3, v18
	ds_bpermute_b32 v18, v58, v37
	s_waitcnt lgkmcnt(10)
	v_dual_add_f32 v11, v11, v15 :: v_dual_add_f32 v12, v12, v16
	ds_bpermute_b32 v15, v58, v33
	ds_bpermute_b32 v16, v58, v34
	;; [unrolled: 1-line block ×3, first 2 shown]
	s_waitcnt lgkmcnt(12)
	v_dual_add_f32 v6, v6, v21 :: v_dual_add_f32 v7, v7, v22
	s_waitcnt lgkmcnt(10)
	v_dual_add_f32 v8, v8, v23 :: v_dual_add_f32 v13, v13, v28
	s_waitcnt lgkmcnt(9)
	v_add_f32_e32 v21, v26, v30
	s_waitcnt lgkmcnt(7)
	v_dual_add_f32 v17, v17, v29 :: v_dual_add_f32 v22, v27, v31
	ds_bpermute_b32 v29, v58, v43
	s_waitcnt lgkmcnt(7)
	v_add_f32_e32 v23, v14, v32
	ds_bpermute_b32 v14, v69, v13
	ds_bpermute_b32 v25, v69, v21
	;; [unrolled: 1-line block ×4, first 2 shown]
	s_waitcnt lgkmcnt(10)
	v_add_f32_e32 v19, v36, v19
	s_waitcnt lgkmcnt(9)
	v_add_f32_e32 v9, v9, v24
	ds_bpermute_b32 v24, v69, v17
	ds_bpermute_b32 v28, v58, v44
	s_waitcnt lgkmcnt(8)
	v_dual_add_f32 v33, v33, v15 :: v_dual_add_f32 v34, v34, v16
	ds_bpermute_b32 v30, v58, v42
	ds_bpermute_b32 v31, v58, v41
	v_add_f32_e32 v18, v37, v18
	ds_bpermute_b32 v27, v69, v23
	s_waitcnt lgkmcnt(10)
	v_add_f32_e32 v20, v35, v20
	ds_bpermute_b32 v35, v62, v33
	ds_bpermute_b32 v36, v62, v34
	;; [unrolled: 1-line block ×5, first 2 shown]
	s_waitcnt lgkmcnt(13)
	v_add_f32_e32 v13, v13, v14
	s_waitcnt lgkmcnt(11)
	v_dual_add_f32 v15, v21, v25 :: v_dual_add_f32 v16, v22, v26
	s_waitcnt lgkmcnt(10)
	v_dual_add_f32 v22, v43, v29 :: v_dual_add_f32 v25, v40, v32
	v_cmp_eq_u32_e32 vcc_lo, 0, v70
	s_waitcnt lgkmcnt(9)
	v_add_f32_e32 v14, v17, v24
	s_waitcnt lgkmcnt(8)
	v_add_f32_e32 v21, v44, v28
	s_mov_b32 s1, exec_lo
	s_waitcnt lgkmcnt(0)
	s_waitcnt_vscnt null, 0x0
	s_barrier
	v_add_f32_e32 v24, v41, v31
	ds_bpermute_b32 v26, v62, v21
	v_add_f32_e32 v17, v23, v27
	ds_bpermute_b32 v27, v62, v22
	v_dual_add_f32 v31, v33, v35 :: v_dual_add_f32 v32, v34, v36
	v_add_f32_e32 v34, v19, v38
	ds_bpermute_b32 v36, v58, v49
	v_add_f32_e32 v23, v42, v30
	ds_bpermute_b32 v30, v62, v25
	ds_bpermute_b32 v29, v62, v24
	v_add_f32_e32 v33, v18, v37
	ds_bpermute_b32 v18, v58, v45
	ds_bpermute_b32 v19, v58, v46
	;; [unrolled: 1-line block ×5, first 2 shown]
	s_waitcnt lgkmcnt(0)
	buffer_gl0_inv
	v_add_f32_e32 v26, v21, v26
	ds_bpermute_b32 v40, v69, v33
	v_dual_add_f32 v27, v22, v27 :: v_dual_add_f32 v36, v49, v36
	ds_bpermute_b32 v28, v62, v23
	v_dual_add_f32 v30, v25, v30 :: v_dual_add_f32 v29, v24, v29
	ds_bpermute_b32 v24, v69, v27
	v_add_f32_e32 v35, v20, v39
	ds_bpermute_b32 v39, v69, v32
	ds_bpermute_b32 v44, v69, v30
	;; [unrolled: 1-line block ×3, first 2 shown]
	v_add_f32_e32 v45, v45, v18
	ds_bpermute_b32 v51, v62, v36
	v_add_f32_e32 v46, v46, v19
	ds_bpermute_b32 v43, v69, v29
	v_dual_add_f32 v37, v48, v37 :: v_dual_add_f32 v18, v31, v38
	ds_bpermute_b32 v49, v62, v46
	ds_bpermute_b32 v52, v62, v37
	s_waitcnt lgkmcnt(8)
	v_add_f32_e32 v28, v23, v28
	ds_bpermute_b32 v42, v69, v35
	s_waitcnt lgkmcnt(8)
	v_dual_add_f32 v21, v34, v41 :: v_dual_add_f32 v24, v27, v24
	v_add_f32_e32 v34, v76, v54
	ds_bpermute_b32 v23, v69, v26
	s_waitcnt lgkmcnt(7)
	v_add_f32_e32 v27, v30, v44
	v_add_f32_e32 v19, v32, v39
	s_waitcnt lgkmcnt(6)
	v_add_f32_e32 v47, v47, v20
	ds_bpermute_b32 v39, v62, v34
	s_waitcnt lgkmcnt(6)
	v_dual_add_f32 v20, v33, v40 :: v_dual_add_f32 v31, v36, v51
	v_dual_add_f32 v36, v74, v56 :: v_dual_add_f32 v33, v77, v53
	ds_bpermute_b32 v25, v69, v28
	ds_bpermute_b32 v48, v62, v45
	;; [unrolled: 1-line block ×4, first 2 shown]
	s_waitcnt lgkmcnt(7)
	v_add_f32_e32 v32, v37, v52
	ds_bpermute_b32 v44, v58, v71
	ds_bpermute_b32 v53, v58, v64
	s_waitcnt lgkmcnt(8)
	v_add_f32_e32 v22, v35, v42
	v_add_f32_e32 v35, v75, v55
	ds_bpermute_b32 v55, v58, v61
	ds_bpermute_b32 v54, v58, v63
	s_waitcnt lgkmcnt(9)
	v_add_f32_e32 v23, v26, v23
	;; [unrolled: 5-line block ×3, first 2 shown]
	ds_bpermute_b32 v38, v62, v33
	v_add_f32_e32 v29, v46, v49
	v_add_f32_e32 v37, v73, v57
	ds_bpermute_b32 v46, v58, v66
	s_waitcnt lgkmcnt(10)
	v_dual_add_f32 v25, v28, v25 :: v_dual_add_f32 v28, v45, v48
	ds_bpermute_b32 v45, v58, v67
	s_waitcnt lgkmcnt(9)
	v_add_f32_e32 v36, v36, v41
	ds_bpermute_b32 v40, v62, v35
	ds_bpermute_b32 v57, v58, v59
	s_waitcnt lgkmcnt(9)
	v_add_f32_e32 v53, v64, v53
	ds_bpermute_b32 v48, v69, v28
	ds_bpermute_b32 v52, v69, v32
	;; [unrolled: 1-line block ×3, first 2 shown]
	s_waitcnt lgkmcnt(10)
	v_add_f32_e32 v54, v63, v54
	ds_bpermute_b32 v49, v69, v29
	ds_bpermute_b32 v51, v69, v31
	s_waitcnt lgkmcnt(11)
	v_add_f32_e32 v30, v47, v50
	ds_bpermute_b32 v47, v58, v65
	ds_bpermute_b32 v58, v62, v53
	s_waitcnt lgkmcnt(11)
	v_dual_add_f32 v33, v33, v38 :: v_dual_add_f32 v38, v72, v43
	ds_bpermute_b32 v42, v62, v37
	ds_bpermute_b32 v50, v69, v30
	v_dual_add_f32 v56, v60, v56 :: v_dual_add_f32 v55, v61, v55
	ds_bpermute_b32 v43, v62, v38
	v_add_f32_e32 v39, v71, v44
	s_waitcnt lgkmcnt(11)
	v_add_f32_e32 v35, v35, v40
	v_add_f32_e32 v40, v67, v45
	ds_bpermute_b32 v61, v62, v56
	ds_bpermute_b32 v63, v69, v33
	s_waitcnt lgkmcnt(10)
	v_add_f32_e32 v32, v32, v52
	v_add_f32_e32 v28, v28, v48
	ds_bpermute_b32 v45, v62, v40
	v_add_f32_e32 v41, v66, v46
	ds_bpermute_b32 v66, v69, v36
	s_waitcnt lgkmcnt(10)
	v_add_f32_e32 v29, v29, v49
	v_lshrrev_b32_e32 v48, 3, v190
	s_waitcnt lgkmcnt(7)
	v_add_f32_e32 v53, v53, v58
	v_mad_u32_u24 v49, v189, s0, 0x320
	s_waitcnt lgkmcnt(6)
	v_dual_add_f32 v34, v34, v64 :: v_dual_add_f32 v37, v37, v42
	v_add_f32_e32 v42, v65, v47
	ds_bpermute_b32 v65, v69, v35
	ds_bpermute_b32 v58, v69, v53
	s_waitcnt lgkmcnt(6)
	v_add_f32_e32 v38, v38, v43
	ds_bpermute_b32 v44, v62, v39
	ds_bpermute_b32 v47, v62, v42
	v_add_f32_e32 v57, v59, v57
	ds_bpermute_b32 v59, v62, v54
	s_waitcnt lgkmcnt(8)
	v_add_f32_e32 v56, v56, v61
	ds_bpermute_b32 v60, v62, v55
	ds_bpermute_b32 v67, v69, v37
	s_waitcnt lgkmcnt(8)
	v_add_f32_e32 v40, v40, v45
	ds_bpermute_b32 v46, v62, v41
	ds_bpermute_b32 v43, v69, v38
	;; [unrolled: 1-line block ×3, first 2 shown]
	v_add_f32_e32 v30, v30, v50
	ds_bpermute_b32 v45, v69, v40
	v_add_f32_e32 v31, v31, v51
	s_waitcnt lgkmcnt(11)
	v_dual_add_f32 v33, v33, v63 :: v_dual_add_f32 v36, v36, v66
	s_waitcnt lgkmcnt(10)
	v_dual_add_f32 v35, v35, v65 :: v_dual_and_b32 v50, 0x3c0, v68
	s_waitcnt lgkmcnt(7)
	v_dual_add_f32 v39, v39, v44 :: v_dual_add_f32 v42, v42, v47
	ds_bpermute_b32 v62, v62, v57
	s_waitcnt lgkmcnt(6)
	v_dual_add_f32 v54, v54, v59 :: v_dual_add_f32 v55, v55, v60
	ds_bpermute_b32 v44, v69, v39
	ds_bpermute_b32 v47, v69, v42
	s_waitcnt lgkmcnt(6)
	v_add_f32_e32 v41, v41, v46
	ds_bpermute_b32 v59, v69, v54
	ds_bpermute_b32 v60, v69, v55
	v_add_f32_e32 v37, v37, v67
	s_waitcnt lgkmcnt(7)
	v_add_f32_e32 v38, v38, v43
	ds_bpermute_b32 v46, v69, v41
	s_waitcnt lgkmcnt(6)
	v_dual_add_f32 v40, v40, v45 :: v_dual_add_f32 v43, v53, v58
	s_waitcnt lgkmcnt(5)
	v_add_f32_e32 v57, v57, v62
	s_waitcnt lgkmcnt(3)
	v_dual_add_f32 v39, v39, v44 :: v_dual_add_f32 v42, v42, v47
	ds_bpermute_b32 v62, v69, v57
	s_waitcnt lgkmcnt(2)
	v_dual_add_f32 v44, v54, v59 :: v_dual_add_f32 v45, v55, v60
	s_waitcnt lgkmcnt(1)
	v_dual_add_f32 v41, v41, v46 :: v_dual_add_f32 v46, v56, v61
	s_waitcnt lgkmcnt(0)
	v_add_f32_e32 v47, v57, v62
	v_cmpx_eq_u32_e32 64, v50
	s_cbranch_execz .LBB62_129
; %bb.127:
	s_and_b32 exec_lo, exec_lo, vcc_lo
	s_cbranch_execz .LBB62_129
; %bb.128:
	v_lshlrev_b32_e32 v50, 2, v48
	s_delay_alu instid0(VALU_DEP_1)
	v_add3_u32 v50, v49, v50, 0xfffffa00
	ds_store_2addr_b32 v50, v0, v1 offset1:4
	ds_store_2addr_b32 v50, v2, v3 offset0:8 offset1:12
	ds_store_2addr_b32 v50, v4, v5 offset0:16 offset1:20
	ds_store_2addr_b32 v50, v6, v7 offset0:24 offset1:28
	ds_store_2addr_b32 v50, v8, v9 offset0:32 offset1:36
	ds_store_2addr_b32 v50, v10, v11 offset0:40 offset1:44
	ds_store_2addr_b32 v50, v12, v13 offset0:48 offset1:52
	ds_store_2addr_b32 v50, v14, v15 offset0:56 offset1:60
	ds_store_2addr_b32 v50, v16, v17 offset0:64 offset1:68
	ds_store_2addr_b32 v50, v18, v19 offset0:72 offset1:76
	ds_store_2addr_b32 v50, v20, v21 offset0:80 offset1:84
	ds_store_2addr_b32 v50, v22, v23 offset0:88 offset1:92
	ds_store_2addr_b32 v50, v24, v25 offset0:96 offset1:100
	ds_store_2addr_b32 v50, v26, v27 offset0:104 offset1:108
	ds_store_2addr_b32 v50, v28, v29 offset0:112 offset1:116
	ds_store_2addr_b32 v50, v30, v31 offset0:120 offset1:124
	ds_store_2addr_b32 v50, v32, v33 offset0:128 offset1:132
	ds_store_2addr_b32 v50, v34, v35 offset0:136 offset1:140
	ds_store_2addr_b32 v50, v36, v37 offset0:144 offset1:148
	ds_store_2addr_b32 v50, v38, v39 offset0:152 offset1:156
	ds_store_2addr_b32 v50, v40, v41 offset0:160 offset1:164
	ds_store_2addr_b32 v50, v42, v43 offset0:168 offset1:172
	ds_store_2addr_b32 v50, v44, v45 offset0:176 offset1:180
	ds_store_2addr_b32 v50, v46, v47 offset0:184 offset1:188
.LBB62_129:
	s_or_b32 exec_lo, exec_lo, s1
	s_delay_alu instid0(SALU_CYCLE_1)
	s_mov_b32 s1, exec_lo
	s_waitcnt lgkmcnt(0)
	s_barrier
	buffer_gl0_inv
	v_cmpx_gt_u32_e32 64, v68
	s_cbranch_execz .LBB62_180
; %bb.130:
	s_and_saveexec_b32 s0, vcc_lo
	s_cbranch_execnz .LBB62_238
; %bb.131:
	s_or_b32 exec_lo, exec_lo, s0
	s_and_saveexec_b32 s0, vcc_lo
	s_cbranch_execnz .LBB62_239
.LBB62_132:
	s_or_b32 exec_lo, exec_lo, s0
	s_and_saveexec_b32 s0, vcc_lo
	s_cbranch_execnz .LBB62_240
.LBB62_133:
	s_or_b32 exec_lo, exec_lo, s0
	s_and_saveexec_b32 s0, vcc_lo
	s_cbranch_execnz .LBB62_241
.LBB62_134:
	s_or_b32 exec_lo, exec_lo, s0
	s_and_saveexec_b32 s0, vcc_lo
	s_cbranch_execnz .LBB62_242
.LBB62_135:
	s_or_b32 exec_lo, exec_lo, s0
	s_and_saveexec_b32 s0, vcc_lo
	s_cbranch_execnz .LBB62_243
.LBB62_136:
	s_or_b32 exec_lo, exec_lo, s0
	s_and_saveexec_b32 s0, vcc_lo
	s_cbranch_execnz .LBB62_244
.LBB62_137:
	s_or_b32 exec_lo, exec_lo, s0
	s_and_saveexec_b32 s0, vcc_lo
	s_cbranch_execnz .LBB62_245
.LBB62_138:
	s_or_b32 exec_lo, exec_lo, s0
	s_and_saveexec_b32 s0, vcc_lo
	s_cbranch_execnz .LBB62_246
.LBB62_139:
	s_or_b32 exec_lo, exec_lo, s0
	s_and_saveexec_b32 s0, vcc_lo
	s_cbranch_execnz .LBB62_247
.LBB62_140:
	s_or_b32 exec_lo, exec_lo, s0
	s_and_saveexec_b32 s0, vcc_lo
	s_cbranch_execnz .LBB62_248
.LBB62_141:
	s_or_b32 exec_lo, exec_lo, s0
	s_and_saveexec_b32 s0, vcc_lo
	s_cbranch_execnz .LBB62_249
.LBB62_142:
	s_or_b32 exec_lo, exec_lo, s0
	s_and_saveexec_b32 s0, vcc_lo
	s_cbranch_execnz .LBB62_250
.LBB62_143:
	s_or_b32 exec_lo, exec_lo, s0
	s_and_saveexec_b32 s0, vcc_lo
	s_cbranch_execnz .LBB62_251
.LBB62_144:
	s_or_b32 exec_lo, exec_lo, s0
	s_and_saveexec_b32 s0, vcc_lo
	s_cbranch_execnz .LBB62_252
.LBB62_145:
	s_or_b32 exec_lo, exec_lo, s0
	s_and_saveexec_b32 s0, vcc_lo
	s_cbranch_execnz .LBB62_253
.LBB62_146:
	s_or_b32 exec_lo, exec_lo, s0
	s_and_saveexec_b32 s0, vcc_lo
	s_cbranch_execnz .LBB62_254
.LBB62_147:
	s_or_b32 exec_lo, exec_lo, s0
	s_and_saveexec_b32 s0, vcc_lo
	s_cbranch_execnz .LBB62_255
.LBB62_148:
	s_or_b32 exec_lo, exec_lo, s0
	s_and_saveexec_b32 s0, vcc_lo
	s_cbranch_execnz .LBB62_256
.LBB62_149:
	s_or_b32 exec_lo, exec_lo, s0
	s_and_saveexec_b32 s0, vcc_lo
	s_cbranch_execnz .LBB62_257
.LBB62_150:
	s_or_b32 exec_lo, exec_lo, s0
	s_and_saveexec_b32 s0, vcc_lo
	s_cbranch_execnz .LBB62_258
.LBB62_151:
	s_or_b32 exec_lo, exec_lo, s0
	s_and_saveexec_b32 s0, vcc_lo
	s_cbranch_execnz .LBB62_259
.LBB62_152:
	s_or_b32 exec_lo, exec_lo, s0
	s_and_saveexec_b32 s0, vcc_lo
	s_cbranch_execnz .LBB62_260
.LBB62_153:
	s_or_b32 exec_lo, exec_lo, s0
	s_and_saveexec_b32 s0, vcc_lo
	s_cbranch_execnz .LBB62_261
.LBB62_154:
	s_or_b32 exec_lo, exec_lo, s0
	s_and_saveexec_b32 s0, vcc_lo
	s_cbranch_execnz .LBB62_262
.LBB62_155:
	s_or_b32 exec_lo, exec_lo, s0
	s_and_saveexec_b32 s0, vcc_lo
	s_cbranch_execnz .LBB62_263
.LBB62_156:
	s_or_b32 exec_lo, exec_lo, s0
	s_and_saveexec_b32 s0, vcc_lo
	s_cbranch_execnz .LBB62_264
.LBB62_157:
	s_or_b32 exec_lo, exec_lo, s0
	s_and_saveexec_b32 s0, vcc_lo
	s_cbranch_execnz .LBB62_265
.LBB62_158:
	s_or_b32 exec_lo, exec_lo, s0
	s_and_saveexec_b32 s0, vcc_lo
	s_cbranch_execnz .LBB62_266
.LBB62_159:
	s_or_b32 exec_lo, exec_lo, s0
	s_and_saveexec_b32 s0, vcc_lo
	s_cbranch_execnz .LBB62_267
.LBB62_160:
	s_or_b32 exec_lo, exec_lo, s0
	s_and_saveexec_b32 s0, vcc_lo
	s_cbranch_execnz .LBB62_268
.LBB62_161:
	s_or_b32 exec_lo, exec_lo, s0
	s_and_saveexec_b32 s0, vcc_lo
	s_cbranch_execnz .LBB62_269
.LBB62_162:
	s_or_b32 exec_lo, exec_lo, s0
	s_and_saveexec_b32 s0, vcc_lo
	s_cbranch_execnz .LBB62_270
.LBB62_163:
	s_or_b32 exec_lo, exec_lo, s0
	s_and_saveexec_b32 s0, vcc_lo
	s_cbranch_execnz .LBB62_271
.LBB62_164:
	s_or_b32 exec_lo, exec_lo, s0
	s_and_saveexec_b32 s0, vcc_lo
	s_cbranch_execnz .LBB62_272
.LBB62_165:
	s_or_b32 exec_lo, exec_lo, s0
	s_and_saveexec_b32 s0, vcc_lo
	s_cbranch_execnz .LBB62_273
.LBB62_166:
	s_or_b32 exec_lo, exec_lo, s0
	s_and_saveexec_b32 s0, vcc_lo
	s_cbranch_execnz .LBB62_274
.LBB62_167:
	s_or_b32 exec_lo, exec_lo, s0
	s_and_saveexec_b32 s0, vcc_lo
	s_cbranch_execnz .LBB62_275
.LBB62_168:
	s_or_b32 exec_lo, exec_lo, s0
	s_and_saveexec_b32 s0, vcc_lo
	s_cbranch_execnz .LBB62_276
.LBB62_169:
	s_or_b32 exec_lo, exec_lo, s0
	s_and_saveexec_b32 s0, vcc_lo
	s_cbranch_execnz .LBB62_277
.LBB62_170:
	s_or_b32 exec_lo, exec_lo, s0
	s_and_saveexec_b32 s0, vcc_lo
	s_cbranch_execnz .LBB62_278
.LBB62_171:
	s_or_b32 exec_lo, exec_lo, s0
	s_and_saveexec_b32 s0, vcc_lo
	s_cbranch_execnz .LBB62_279
.LBB62_172:
	s_or_b32 exec_lo, exec_lo, s0
	s_and_saveexec_b32 s0, vcc_lo
	s_cbranch_execnz .LBB62_280
.LBB62_173:
	s_or_b32 exec_lo, exec_lo, s0
	s_and_saveexec_b32 s0, vcc_lo
	s_cbranch_execnz .LBB62_281
.LBB62_174:
	s_or_b32 exec_lo, exec_lo, s0
	s_and_saveexec_b32 s0, vcc_lo
	s_cbranch_execnz .LBB62_282
.LBB62_175:
	s_or_b32 exec_lo, exec_lo, s0
	s_and_saveexec_b32 s0, vcc_lo
	s_cbranch_execnz .LBB62_283
.LBB62_176:
	s_or_b32 exec_lo, exec_lo, s0
	s_and_saveexec_b32 s0, vcc_lo
	s_cbranch_execnz .LBB62_284
.LBB62_177:
	s_or_b32 exec_lo, exec_lo, s0
	s_and_saveexec_b32 s0, vcc_lo
	s_cbranch_execz .LBB62_179
.LBB62_178:
	v_lshl_add_u32 v50, v48, 2, v49
	ds_load_b32 v50, v50 offset:752
	s_waitcnt lgkmcnt(0)
	v_add_f32_e32 v47, v47, v50
.LBB62_179:
	s_or_b32 exec_lo, exec_lo, s0
.LBB62_180:
	s_delay_alu instid0(SALU_CYCLE_1)
	s_or_b32 exec_lo, exec_lo, s1
	v_and_b32_e32 v50, 0x3e0, v68
	s_mov_b32 s1, exec_lo
	s_barrier
	buffer_gl0_inv
	v_cmpx_eq_u32_e32 32, v50
	s_cbranch_execz .LBB62_183
; %bb.181:
	s_and_b32 exec_lo, exec_lo, vcc_lo
	s_cbranch_execz .LBB62_183
; %bb.182:
	v_lshlrev_b32_e32 v50, 2, v48
	s_delay_alu instid0(VALU_DEP_1)
	v_add3_u32 v50, v49, v50, 0xfffffd00
	ds_store_2addr_b32 v50, v0, v1 offset1:4
	ds_store_2addr_b32 v50, v2, v3 offset0:8 offset1:12
	ds_store_2addr_b32 v50, v4, v5 offset0:16 offset1:20
	;; [unrolled: 1-line block ×23, first 2 shown]
.LBB62_183:
	s_or_b32 exec_lo, exec_lo, s1
	v_cmp_gt_u32_e64 s0, 32, v68
	s_waitcnt lgkmcnt(0)
	s_barrier
	buffer_gl0_inv
	s_and_saveexec_b32 s1, s0
	s_cbranch_execz .LBB62_234
; %bb.184:
	v_lshl_add_u32 v48, v48, 2, v49
	s_and_saveexec_b32 s2, vcc_lo
	s_cbranch_execnz .LBB62_285
; %bb.185:
	s_or_b32 exec_lo, exec_lo, s2
	s_and_saveexec_b32 s2, vcc_lo
	s_cbranch_execnz .LBB62_286
.LBB62_186:
	s_or_b32 exec_lo, exec_lo, s2
	s_and_saveexec_b32 s2, vcc_lo
	s_cbranch_execnz .LBB62_287
.LBB62_187:
	s_or_b32 exec_lo, exec_lo, s2
	s_and_saveexec_b32 s2, vcc_lo
	s_cbranch_execnz .LBB62_288
.LBB62_188:
	s_or_b32 exec_lo, exec_lo, s2
	s_and_saveexec_b32 s2, vcc_lo
	s_cbranch_execnz .LBB62_289
.LBB62_189:
	s_or_b32 exec_lo, exec_lo, s2
	s_and_saveexec_b32 s2, vcc_lo
	s_cbranch_execnz .LBB62_290
.LBB62_190:
	s_or_b32 exec_lo, exec_lo, s2
	s_and_saveexec_b32 s2, vcc_lo
	s_cbranch_execnz .LBB62_291
.LBB62_191:
	s_or_b32 exec_lo, exec_lo, s2
	s_and_saveexec_b32 s2, vcc_lo
	s_cbranch_execnz .LBB62_292
.LBB62_192:
	s_or_b32 exec_lo, exec_lo, s2
	s_and_saveexec_b32 s2, vcc_lo
	s_cbranch_execnz .LBB62_293
.LBB62_193:
	s_or_b32 exec_lo, exec_lo, s2
	s_and_saveexec_b32 s2, vcc_lo
	s_cbranch_execnz .LBB62_294
.LBB62_194:
	s_or_b32 exec_lo, exec_lo, s2
	s_and_saveexec_b32 s2, vcc_lo
	s_cbranch_execnz .LBB62_295
.LBB62_195:
	s_or_b32 exec_lo, exec_lo, s2
	s_and_saveexec_b32 s2, vcc_lo
	s_cbranch_execnz .LBB62_296
.LBB62_196:
	s_or_b32 exec_lo, exec_lo, s2
	s_and_saveexec_b32 s2, vcc_lo
	s_cbranch_execnz .LBB62_297
.LBB62_197:
	s_or_b32 exec_lo, exec_lo, s2
	s_and_saveexec_b32 s2, vcc_lo
	s_cbranch_execnz .LBB62_298
.LBB62_198:
	s_or_b32 exec_lo, exec_lo, s2
	s_and_saveexec_b32 s2, vcc_lo
	s_cbranch_execnz .LBB62_299
.LBB62_199:
	s_or_b32 exec_lo, exec_lo, s2
	s_and_saveexec_b32 s2, vcc_lo
	s_cbranch_execnz .LBB62_300
.LBB62_200:
	s_or_b32 exec_lo, exec_lo, s2
	s_and_saveexec_b32 s2, vcc_lo
	s_cbranch_execnz .LBB62_301
.LBB62_201:
	s_or_b32 exec_lo, exec_lo, s2
	s_and_saveexec_b32 s2, vcc_lo
	s_cbranch_execnz .LBB62_302
.LBB62_202:
	s_or_b32 exec_lo, exec_lo, s2
	s_and_saveexec_b32 s2, vcc_lo
	s_cbranch_execnz .LBB62_303
.LBB62_203:
	s_or_b32 exec_lo, exec_lo, s2
	s_and_saveexec_b32 s2, vcc_lo
	s_cbranch_execnz .LBB62_304
.LBB62_204:
	s_or_b32 exec_lo, exec_lo, s2
	s_and_saveexec_b32 s2, vcc_lo
	s_cbranch_execnz .LBB62_305
.LBB62_205:
	s_or_b32 exec_lo, exec_lo, s2
	s_and_saveexec_b32 s2, vcc_lo
	s_cbranch_execnz .LBB62_306
.LBB62_206:
	s_or_b32 exec_lo, exec_lo, s2
	s_and_saveexec_b32 s2, vcc_lo
	s_cbranch_execnz .LBB62_307
.LBB62_207:
	s_or_b32 exec_lo, exec_lo, s2
	s_and_saveexec_b32 s2, vcc_lo
	s_cbranch_execnz .LBB62_308
.LBB62_208:
	s_or_b32 exec_lo, exec_lo, s2
	s_and_saveexec_b32 s2, vcc_lo
	s_cbranch_execnz .LBB62_309
.LBB62_209:
	s_or_b32 exec_lo, exec_lo, s2
	s_and_saveexec_b32 s2, vcc_lo
	s_cbranch_execnz .LBB62_310
.LBB62_210:
	s_or_b32 exec_lo, exec_lo, s2
	s_and_saveexec_b32 s2, vcc_lo
	s_cbranch_execnz .LBB62_311
.LBB62_211:
	s_or_b32 exec_lo, exec_lo, s2
	s_and_saveexec_b32 s2, vcc_lo
	s_cbranch_execnz .LBB62_312
.LBB62_212:
	s_or_b32 exec_lo, exec_lo, s2
	s_and_saveexec_b32 s2, vcc_lo
	s_cbranch_execnz .LBB62_313
.LBB62_213:
	s_or_b32 exec_lo, exec_lo, s2
	s_and_saveexec_b32 s2, vcc_lo
	s_cbranch_execnz .LBB62_314
.LBB62_214:
	s_or_b32 exec_lo, exec_lo, s2
	s_and_saveexec_b32 s2, vcc_lo
	s_cbranch_execnz .LBB62_315
.LBB62_215:
	s_or_b32 exec_lo, exec_lo, s2
	s_and_saveexec_b32 s2, vcc_lo
	s_cbranch_execnz .LBB62_316
.LBB62_216:
	s_or_b32 exec_lo, exec_lo, s2
	s_and_saveexec_b32 s2, vcc_lo
	s_cbranch_execnz .LBB62_317
.LBB62_217:
	s_or_b32 exec_lo, exec_lo, s2
	s_and_saveexec_b32 s2, vcc_lo
	s_cbranch_execnz .LBB62_318
.LBB62_218:
	s_or_b32 exec_lo, exec_lo, s2
	s_and_saveexec_b32 s2, vcc_lo
	s_cbranch_execnz .LBB62_319
.LBB62_219:
	s_or_b32 exec_lo, exec_lo, s2
	s_and_saveexec_b32 s2, vcc_lo
	s_cbranch_execnz .LBB62_320
.LBB62_220:
	s_or_b32 exec_lo, exec_lo, s2
	s_and_saveexec_b32 s2, vcc_lo
	s_cbranch_execnz .LBB62_321
.LBB62_221:
	s_or_b32 exec_lo, exec_lo, s2
	s_and_saveexec_b32 s2, vcc_lo
	s_cbranch_execnz .LBB62_322
.LBB62_222:
	s_or_b32 exec_lo, exec_lo, s2
	s_and_saveexec_b32 s2, vcc_lo
	s_cbranch_execnz .LBB62_323
.LBB62_223:
	s_or_b32 exec_lo, exec_lo, s2
	s_and_saveexec_b32 s2, vcc_lo
	s_cbranch_execnz .LBB62_324
.LBB62_224:
	s_or_b32 exec_lo, exec_lo, s2
	s_and_saveexec_b32 s2, vcc_lo
	s_cbranch_execnz .LBB62_325
.LBB62_225:
	s_or_b32 exec_lo, exec_lo, s2
	s_and_saveexec_b32 s2, vcc_lo
	s_cbranch_execnz .LBB62_326
.LBB62_226:
	s_or_b32 exec_lo, exec_lo, s2
	s_and_saveexec_b32 s2, vcc_lo
	s_cbranch_execnz .LBB62_327
.LBB62_227:
	s_or_b32 exec_lo, exec_lo, s2
	s_and_saveexec_b32 s2, vcc_lo
	s_cbranch_execnz .LBB62_328
.LBB62_228:
	s_or_b32 exec_lo, exec_lo, s2
	s_and_saveexec_b32 s2, vcc_lo
	s_cbranch_execnz .LBB62_329
.LBB62_229:
	s_or_b32 exec_lo, exec_lo, s2
	s_and_saveexec_b32 s2, vcc_lo
	s_cbranch_execnz .LBB62_330
.LBB62_230:
	s_or_b32 exec_lo, exec_lo, s2
	s_and_saveexec_b32 s2, vcc_lo
	s_cbranch_execnz .LBB62_331
.LBB62_231:
	s_or_b32 exec_lo, exec_lo, s2
	s_and_saveexec_b32 s2, vcc_lo
	s_cbranch_execz .LBB62_233
.LBB62_232:
	ds_load_b32 v48, v48 offset:752
	s_waitcnt lgkmcnt(0)
	v_add_f32_e32 v47, v47, v48
.LBB62_233:
	s_or_b32 exec_lo, exec_lo, s2
.LBB62_234:
	s_delay_alu instid0(SALU_CYCLE_1)
	s_or_b32 exec_lo, exec_lo, s1
	s_barrier
	buffer_gl0_inv
	s_and_saveexec_b32 s1, s0
	s_cbranch_execz .LBB62_237
; %bb.235:
	s_and_b32 exec_lo, exec_lo, vcc_lo
	s_cbranch_execz .LBB62_237
; %bb.236:
	s_mul_i32 s0, s4, s14
	s_mul_i32 s2, s4, s16
	;; [unrolled: 1-line block ×3, first 2 shown]
	v_lshrrev_b32_e32 v48, 1, v68
	s_mulk_i32 s0, 0xc0
	s_delay_alu instid0(SALU_CYCLE_1) | instskip(NEXT) | instid1(VALU_DEP_1)
	s_ashr_i32 s1, s0, 31
	v_and_b32_e32 v48, 0x1fc, v48
	s_lshl_b64 s[0:1], s[0:1], 2
	s_delay_alu instid0(SALU_CYCLE_1) | instskip(SKIP_2) | instid1(SALU_CYCLE_1)
	s_add_u32 s4, s18, s0
	s_addc_u32 s5, s19, s1
	s_ashr_i32 s3, s2, 31
	s_lshl_b64 s[0:1], s[2:3], 2
	s_mul_i32 s2, s12, 0xc0
	s_add_u32 s4, s4, s0
	s_addc_u32 s5, s5, s1
	s_ashr_i32 s3, s2, 31
	s_delay_alu instid0(SALU_CYCLE_1) | instskip(NEXT) | instid1(SALU_CYCLE_1)
	s_lshl_b64 s[0:1], s[2:3], 2
	s_add_u32 s0, s4, s0
	s_addc_u32 s1, s5, s1
	s_clause 0x1f
	global_store_b32 v48, v0, s[0:1]
	global_store_b32 v48, v1, s[0:1] offset:16
	global_store_b32 v48, v2, s[0:1] offset:32
	;; [unrolled: 1-line block ×31, first 2 shown]
	s_clause 0xf
	global_store_b32 v48, v32, s[0:1] offset:512
	global_store_b32 v48, v33, s[0:1] offset:528
	;; [unrolled: 1-line block ×16, first 2 shown]
.LBB62_237:
	s_nop 0
	s_sendmsg sendmsg(MSG_DEALLOC_VGPRS)
	s_endpgm
.LBB62_238:
	v_lshl_add_u32 v50, v48, 2, v49
	ds_load_b32 v50, v50
	s_waitcnt lgkmcnt(0)
	v_add_f32_e32 v0, v0, v50
	s_or_b32 exec_lo, exec_lo, s0
	s_and_saveexec_b32 s0, vcc_lo
	s_cbranch_execz .LBB62_132
.LBB62_239:
	v_lshl_add_u32 v50, v48, 2, v49
	ds_load_b32 v50, v50 offset:16
	s_waitcnt lgkmcnt(0)
	v_add_f32_e32 v1, v1, v50
	s_or_b32 exec_lo, exec_lo, s0
	s_and_saveexec_b32 s0, vcc_lo
	s_cbranch_execz .LBB62_133
.LBB62_240:
	v_lshl_add_u32 v50, v48, 2, v49
	ds_load_b32 v50, v50 offset:32
	s_waitcnt lgkmcnt(0)
	v_add_f32_e32 v2, v2, v50
	s_or_b32 exec_lo, exec_lo, s0
	s_and_saveexec_b32 s0, vcc_lo
	s_cbranch_execz .LBB62_134
.LBB62_241:
	v_lshl_add_u32 v50, v48, 2, v49
	ds_load_b32 v50, v50 offset:48
	s_waitcnt lgkmcnt(0)
	v_add_f32_e32 v3, v3, v50
	s_or_b32 exec_lo, exec_lo, s0
	s_and_saveexec_b32 s0, vcc_lo
	s_cbranch_execz .LBB62_135
.LBB62_242:
	v_lshl_add_u32 v50, v48, 2, v49
	ds_load_b32 v50, v50 offset:64
	s_waitcnt lgkmcnt(0)
	v_add_f32_e32 v4, v4, v50
	s_or_b32 exec_lo, exec_lo, s0
	s_and_saveexec_b32 s0, vcc_lo
	s_cbranch_execz .LBB62_136
.LBB62_243:
	v_lshl_add_u32 v50, v48, 2, v49
	ds_load_b32 v50, v50 offset:80
	s_waitcnt lgkmcnt(0)
	v_add_f32_e32 v5, v5, v50
	s_or_b32 exec_lo, exec_lo, s0
	s_and_saveexec_b32 s0, vcc_lo
	s_cbranch_execz .LBB62_137
.LBB62_244:
	v_lshl_add_u32 v50, v48, 2, v49
	ds_load_b32 v50, v50 offset:96
	s_waitcnt lgkmcnt(0)
	v_add_f32_e32 v6, v6, v50
	s_or_b32 exec_lo, exec_lo, s0
	s_and_saveexec_b32 s0, vcc_lo
	s_cbranch_execz .LBB62_138
.LBB62_245:
	v_lshl_add_u32 v50, v48, 2, v49
	ds_load_b32 v50, v50 offset:112
	s_waitcnt lgkmcnt(0)
	v_add_f32_e32 v7, v7, v50
	s_or_b32 exec_lo, exec_lo, s0
	s_and_saveexec_b32 s0, vcc_lo
	s_cbranch_execz .LBB62_139
.LBB62_246:
	v_lshl_add_u32 v50, v48, 2, v49
	ds_load_b32 v50, v50 offset:128
	s_waitcnt lgkmcnt(0)
	v_add_f32_e32 v8, v8, v50
	s_or_b32 exec_lo, exec_lo, s0
	s_and_saveexec_b32 s0, vcc_lo
	s_cbranch_execz .LBB62_140
.LBB62_247:
	v_lshl_add_u32 v50, v48, 2, v49
	ds_load_b32 v50, v50 offset:144
	s_waitcnt lgkmcnt(0)
	v_add_f32_e32 v9, v9, v50
	s_or_b32 exec_lo, exec_lo, s0
	s_and_saveexec_b32 s0, vcc_lo
	s_cbranch_execz .LBB62_141
.LBB62_248:
	v_lshl_add_u32 v50, v48, 2, v49
	ds_load_b32 v50, v50 offset:160
	s_waitcnt lgkmcnt(0)
	v_add_f32_e32 v10, v10, v50
	s_or_b32 exec_lo, exec_lo, s0
	s_and_saveexec_b32 s0, vcc_lo
	s_cbranch_execz .LBB62_142
.LBB62_249:
	v_lshl_add_u32 v50, v48, 2, v49
	ds_load_b32 v50, v50 offset:176
	s_waitcnt lgkmcnt(0)
	v_add_f32_e32 v11, v11, v50
	s_or_b32 exec_lo, exec_lo, s0
	s_and_saveexec_b32 s0, vcc_lo
	s_cbranch_execz .LBB62_143
.LBB62_250:
	v_lshl_add_u32 v50, v48, 2, v49
	ds_load_b32 v50, v50 offset:192
	s_waitcnt lgkmcnt(0)
	v_add_f32_e32 v12, v12, v50
	s_or_b32 exec_lo, exec_lo, s0
	s_and_saveexec_b32 s0, vcc_lo
	s_cbranch_execz .LBB62_144
.LBB62_251:
	v_lshl_add_u32 v50, v48, 2, v49
	ds_load_b32 v50, v50 offset:208
	s_waitcnt lgkmcnt(0)
	v_add_f32_e32 v13, v13, v50
	s_or_b32 exec_lo, exec_lo, s0
	s_and_saveexec_b32 s0, vcc_lo
	s_cbranch_execz .LBB62_145
.LBB62_252:
	v_lshl_add_u32 v50, v48, 2, v49
	ds_load_b32 v50, v50 offset:224
	s_waitcnt lgkmcnt(0)
	v_add_f32_e32 v14, v14, v50
	s_or_b32 exec_lo, exec_lo, s0
	s_and_saveexec_b32 s0, vcc_lo
	s_cbranch_execz .LBB62_146
.LBB62_253:
	v_lshl_add_u32 v50, v48, 2, v49
	ds_load_b32 v50, v50 offset:240
	s_waitcnt lgkmcnt(0)
	v_add_f32_e32 v15, v15, v50
	s_or_b32 exec_lo, exec_lo, s0
	s_and_saveexec_b32 s0, vcc_lo
	s_cbranch_execz .LBB62_147
.LBB62_254:
	v_lshl_add_u32 v50, v48, 2, v49
	ds_load_b32 v50, v50 offset:256
	s_waitcnt lgkmcnt(0)
	v_add_f32_e32 v16, v16, v50
	s_or_b32 exec_lo, exec_lo, s0
	s_and_saveexec_b32 s0, vcc_lo
	s_cbranch_execz .LBB62_148
.LBB62_255:
	v_lshl_add_u32 v50, v48, 2, v49
	ds_load_b32 v50, v50 offset:272
	s_waitcnt lgkmcnt(0)
	v_add_f32_e32 v17, v17, v50
	s_or_b32 exec_lo, exec_lo, s0
	s_and_saveexec_b32 s0, vcc_lo
	s_cbranch_execz .LBB62_149
.LBB62_256:
	v_lshl_add_u32 v50, v48, 2, v49
	ds_load_b32 v50, v50 offset:288
	s_waitcnt lgkmcnt(0)
	v_add_f32_e32 v18, v18, v50
	s_or_b32 exec_lo, exec_lo, s0
	s_and_saveexec_b32 s0, vcc_lo
	s_cbranch_execz .LBB62_150
.LBB62_257:
	v_lshl_add_u32 v50, v48, 2, v49
	ds_load_b32 v50, v50 offset:304
	s_waitcnt lgkmcnt(0)
	v_add_f32_e32 v19, v19, v50
	s_or_b32 exec_lo, exec_lo, s0
	s_and_saveexec_b32 s0, vcc_lo
	s_cbranch_execz .LBB62_151
.LBB62_258:
	v_lshl_add_u32 v50, v48, 2, v49
	ds_load_b32 v50, v50 offset:320
	s_waitcnt lgkmcnt(0)
	v_add_f32_e32 v20, v20, v50
	s_or_b32 exec_lo, exec_lo, s0
	s_and_saveexec_b32 s0, vcc_lo
	s_cbranch_execz .LBB62_152
.LBB62_259:
	v_lshl_add_u32 v50, v48, 2, v49
	ds_load_b32 v50, v50 offset:336
	s_waitcnt lgkmcnt(0)
	v_add_f32_e32 v21, v21, v50
	s_or_b32 exec_lo, exec_lo, s0
	s_and_saveexec_b32 s0, vcc_lo
	s_cbranch_execz .LBB62_153
.LBB62_260:
	v_lshl_add_u32 v50, v48, 2, v49
	ds_load_b32 v50, v50 offset:352
	s_waitcnt lgkmcnt(0)
	v_add_f32_e32 v22, v22, v50
	s_or_b32 exec_lo, exec_lo, s0
	s_and_saveexec_b32 s0, vcc_lo
	s_cbranch_execz .LBB62_154
.LBB62_261:
	v_lshl_add_u32 v50, v48, 2, v49
	ds_load_b32 v50, v50 offset:368
	s_waitcnt lgkmcnt(0)
	v_add_f32_e32 v23, v23, v50
	s_or_b32 exec_lo, exec_lo, s0
	s_and_saveexec_b32 s0, vcc_lo
	s_cbranch_execz .LBB62_155
.LBB62_262:
	v_lshl_add_u32 v50, v48, 2, v49
	ds_load_b32 v50, v50 offset:384
	s_waitcnt lgkmcnt(0)
	v_add_f32_e32 v24, v24, v50
	s_or_b32 exec_lo, exec_lo, s0
	s_and_saveexec_b32 s0, vcc_lo
	s_cbranch_execz .LBB62_156
.LBB62_263:
	v_lshl_add_u32 v50, v48, 2, v49
	ds_load_b32 v50, v50 offset:400
	s_waitcnt lgkmcnt(0)
	v_add_f32_e32 v25, v25, v50
	s_or_b32 exec_lo, exec_lo, s0
	s_and_saveexec_b32 s0, vcc_lo
	s_cbranch_execz .LBB62_157
.LBB62_264:
	v_lshl_add_u32 v50, v48, 2, v49
	ds_load_b32 v50, v50 offset:416
	s_waitcnt lgkmcnt(0)
	v_add_f32_e32 v26, v26, v50
	s_or_b32 exec_lo, exec_lo, s0
	s_and_saveexec_b32 s0, vcc_lo
	s_cbranch_execz .LBB62_158
.LBB62_265:
	v_lshl_add_u32 v50, v48, 2, v49
	ds_load_b32 v50, v50 offset:432
	s_waitcnt lgkmcnt(0)
	v_add_f32_e32 v27, v27, v50
	s_or_b32 exec_lo, exec_lo, s0
	s_and_saveexec_b32 s0, vcc_lo
	s_cbranch_execz .LBB62_159
.LBB62_266:
	v_lshl_add_u32 v50, v48, 2, v49
	ds_load_b32 v50, v50 offset:448
	s_waitcnt lgkmcnt(0)
	v_add_f32_e32 v28, v28, v50
	s_or_b32 exec_lo, exec_lo, s0
	s_and_saveexec_b32 s0, vcc_lo
	s_cbranch_execz .LBB62_160
.LBB62_267:
	v_lshl_add_u32 v50, v48, 2, v49
	ds_load_b32 v50, v50 offset:464
	s_waitcnt lgkmcnt(0)
	v_add_f32_e32 v29, v29, v50
	s_or_b32 exec_lo, exec_lo, s0
	s_and_saveexec_b32 s0, vcc_lo
	s_cbranch_execz .LBB62_161
.LBB62_268:
	v_lshl_add_u32 v50, v48, 2, v49
	ds_load_b32 v50, v50 offset:480
	s_waitcnt lgkmcnt(0)
	v_add_f32_e32 v30, v30, v50
	s_or_b32 exec_lo, exec_lo, s0
	s_and_saveexec_b32 s0, vcc_lo
	s_cbranch_execz .LBB62_162
.LBB62_269:
	v_lshl_add_u32 v50, v48, 2, v49
	ds_load_b32 v50, v50 offset:496
	s_waitcnt lgkmcnt(0)
	v_add_f32_e32 v31, v31, v50
	s_or_b32 exec_lo, exec_lo, s0
	s_and_saveexec_b32 s0, vcc_lo
	s_cbranch_execz .LBB62_163
.LBB62_270:
	v_lshl_add_u32 v50, v48, 2, v49
	ds_load_b32 v50, v50 offset:512
	s_waitcnt lgkmcnt(0)
	v_add_f32_e32 v32, v32, v50
	s_or_b32 exec_lo, exec_lo, s0
	s_and_saveexec_b32 s0, vcc_lo
	s_cbranch_execz .LBB62_164
.LBB62_271:
	v_lshl_add_u32 v50, v48, 2, v49
	ds_load_b32 v50, v50 offset:528
	s_waitcnt lgkmcnt(0)
	v_add_f32_e32 v33, v33, v50
	s_or_b32 exec_lo, exec_lo, s0
	s_and_saveexec_b32 s0, vcc_lo
	s_cbranch_execz .LBB62_165
.LBB62_272:
	v_lshl_add_u32 v50, v48, 2, v49
	ds_load_b32 v50, v50 offset:544
	s_waitcnt lgkmcnt(0)
	v_add_f32_e32 v34, v34, v50
	s_or_b32 exec_lo, exec_lo, s0
	s_and_saveexec_b32 s0, vcc_lo
	s_cbranch_execz .LBB62_166
.LBB62_273:
	v_lshl_add_u32 v50, v48, 2, v49
	ds_load_b32 v50, v50 offset:560
	s_waitcnt lgkmcnt(0)
	v_add_f32_e32 v35, v35, v50
	s_or_b32 exec_lo, exec_lo, s0
	s_and_saveexec_b32 s0, vcc_lo
	s_cbranch_execz .LBB62_167
.LBB62_274:
	v_lshl_add_u32 v50, v48, 2, v49
	ds_load_b32 v50, v50 offset:576
	s_waitcnt lgkmcnt(0)
	v_add_f32_e32 v36, v36, v50
	s_or_b32 exec_lo, exec_lo, s0
	s_and_saveexec_b32 s0, vcc_lo
	s_cbranch_execz .LBB62_168
.LBB62_275:
	v_lshl_add_u32 v50, v48, 2, v49
	ds_load_b32 v50, v50 offset:592
	s_waitcnt lgkmcnt(0)
	v_add_f32_e32 v37, v37, v50
	s_or_b32 exec_lo, exec_lo, s0
	s_and_saveexec_b32 s0, vcc_lo
	s_cbranch_execz .LBB62_169
.LBB62_276:
	v_lshl_add_u32 v50, v48, 2, v49
	ds_load_b32 v50, v50 offset:608
	s_waitcnt lgkmcnt(0)
	v_add_f32_e32 v38, v38, v50
	s_or_b32 exec_lo, exec_lo, s0
	s_and_saveexec_b32 s0, vcc_lo
	s_cbranch_execz .LBB62_170
.LBB62_277:
	v_lshl_add_u32 v50, v48, 2, v49
	ds_load_b32 v50, v50 offset:624
	s_waitcnt lgkmcnt(0)
	v_add_f32_e32 v39, v39, v50
	s_or_b32 exec_lo, exec_lo, s0
	s_and_saveexec_b32 s0, vcc_lo
	s_cbranch_execz .LBB62_171
.LBB62_278:
	v_lshl_add_u32 v50, v48, 2, v49
	ds_load_b32 v50, v50 offset:640
	s_waitcnt lgkmcnt(0)
	v_add_f32_e32 v40, v40, v50
	s_or_b32 exec_lo, exec_lo, s0
	s_and_saveexec_b32 s0, vcc_lo
	s_cbranch_execz .LBB62_172
.LBB62_279:
	v_lshl_add_u32 v50, v48, 2, v49
	ds_load_b32 v50, v50 offset:656
	s_waitcnt lgkmcnt(0)
	v_add_f32_e32 v41, v41, v50
	s_or_b32 exec_lo, exec_lo, s0
	s_and_saveexec_b32 s0, vcc_lo
	s_cbranch_execz .LBB62_173
.LBB62_280:
	v_lshl_add_u32 v50, v48, 2, v49
	ds_load_b32 v50, v50 offset:672
	s_waitcnt lgkmcnt(0)
	v_add_f32_e32 v42, v42, v50
	s_or_b32 exec_lo, exec_lo, s0
	s_and_saveexec_b32 s0, vcc_lo
	s_cbranch_execz .LBB62_174
.LBB62_281:
	v_lshl_add_u32 v50, v48, 2, v49
	ds_load_b32 v50, v50 offset:688
	s_waitcnt lgkmcnt(0)
	v_add_f32_e32 v43, v43, v50
	s_or_b32 exec_lo, exec_lo, s0
	s_and_saveexec_b32 s0, vcc_lo
	s_cbranch_execz .LBB62_175
.LBB62_282:
	v_lshl_add_u32 v50, v48, 2, v49
	ds_load_b32 v50, v50 offset:704
	s_waitcnt lgkmcnt(0)
	v_add_f32_e32 v44, v44, v50
	s_or_b32 exec_lo, exec_lo, s0
	s_and_saveexec_b32 s0, vcc_lo
	s_cbranch_execz .LBB62_176
.LBB62_283:
	v_lshl_add_u32 v50, v48, 2, v49
	ds_load_b32 v50, v50 offset:720
	s_waitcnt lgkmcnt(0)
	v_add_f32_e32 v45, v45, v50
	s_or_b32 exec_lo, exec_lo, s0
	s_and_saveexec_b32 s0, vcc_lo
	s_cbranch_execz .LBB62_177
.LBB62_284:
	v_lshl_add_u32 v50, v48, 2, v49
	ds_load_b32 v50, v50 offset:736
	s_waitcnt lgkmcnt(0)
	v_add_f32_e32 v46, v46, v50
	s_or_b32 exec_lo, exec_lo, s0
	s_and_saveexec_b32 s0, vcc_lo
	s_cbranch_execnz .LBB62_178
	s_branch .LBB62_179
.LBB62_285:
	ds_load_b32 v49, v48
	s_waitcnt lgkmcnt(0)
	v_add_f32_e32 v0, v0, v49
	s_or_b32 exec_lo, exec_lo, s2
	s_and_saveexec_b32 s2, vcc_lo
	s_cbranch_execz .LBB62_186
.LBB62_286:
	ds_load_b32 v49, v48 offset:16
	s_waitcnt lgkmcnt(0)
	v_add_f32_e32 v1, v1, v49
	s_or_b32 exec_lo, exec_lo, s2
	s_and_saveexec_b32 s2, vcc_lo
	s_cbranch_execz .LBB62_187
.LBB62_287:
	ds_load_b32 v49, v48 offset:32
	s_waitcnt lgkmcnt(0)
	v_add_f32_e32 v2, v2, v49
	s_or_b32 exec_lo, exec_lo, s2
	s_and_saveexec_b32 s2, vcc_lo
	s_cbranch_execz .LBB62_188
.LBB62_288:
	ds_load_b32 v49, v48 offset:48
	s_waitcnt lgkmcnt(0)
	v_add_f32_e32 v3, v3, v49
	s_or_b32 exec_lo, exec_lo, s2
	s_and_saveexec_b32 s2, vcc_lo
	s_cbranch_execz .LBB62_189
.LBB62_289:
	ds_load_b32 v49, v48 offset:64
	s_waitcnt lgkmcnt(0)
	v_add_f32_e32 v4, v4, v49
	s_or_b32 exec_lo, exec_lo, s2
	s_and_saveexec_b32 s2, vcc_lo
	s_cbranch_execz .LBB62_190
.LBB62_290:
	ds_load_b32 v49, v48 offset:80
	s_waitcnt lgkmcnt(0)
	v_add_f32_e32 v5, v5, v49
	s_or_b32 exec_lo, exec_lo, s2
	s_and_saveexec_b32 s2, vcc_lo
	s_cbranch_execz .LBB62_191
.LBB62_291:
	ds_load_b32 v49, v48 offset:96
	s_waitcnt lgkmcnt(0)
	v_add_f32_e32 v6, v6, v49
	s_or_b32 exec_lo, exec_lo, s2
	s_and_saveexec_b32 s2, vcc_lo
	s_cbranch_execz .LBB62_192
.LBB62_292:
	ds_load_b32 v49, v48 offset:112
	s_waitcnt lgkmcnt(0)
	v_add_f32_e32 v7, v7, v49
	s_or_b32 exec_lo, exec_lo, s2
	s_and_saveexec_b32 s2, vcc_lo
	s_cbranch_execz .LBB62_193
.LBB62_293:
	ds_load_b32 v49, v48 offset:128
	s_waitcnt lgkmcnt(0)
	v_add_f32_e32 v8, v8, v49
	s_or_b32 exec_lo, exec_lo, s2
	s_and_saveexec_b32 s2, vcc_lo
	s_cbranch_execz .LBB62_194
.LBB62_294:
	ds_load_b32 v49, v48 offset:144
	s_waitcnt lgkmcnt(0)
	v_add_f32_e32 v9, v9, v49
	s_or_b32 exec_lo, exec_lo, s2
	s_and_saveexec_b32 s2, vcc_lo
	s_cbranch_execz .LBB62_195
.LBB62_295:
	ds_load_b32 v49, v48 offset:160
	s_waitcnt lgkmcnt(0)
	v_add_f32_e32 v10, v10, v49
	s_or_b32 exec_lo, exec_lo, s2
	s_and_saveexec_b32 s2, vcc_lo
	s_cbranch_execz .LBB62_196
.LBB62_296:
	ds_load_b32 v49, v48 offset:176
	s_waitcnt lgkmcnt(0)
	v_add_f32_e32 v11, v11, v49
	s_or_b32 exec_lo, exec_lo, s2
	s_and_saveexec_b32 s2, vcc_lo
	s_cbranch_execz .LBB62_197
.LBB62_297:
	ds_load_b32 v49, v48 offset:192
	s_waitcnt lgkmcnt(0)
	v_add_f32_e32 v12, v12, v49
	s_or_b32 exec_lo, exec_lo, s2
	s_and_saveexec_b32 s2, vcc_lo
	s_cbranch_execz .LBB62_198
.LBB62_298:
	ds_load_b32 v49, v48 offset:208
	s_waitcnt lgkmcnt(0)
	v_add_f32_e32 v13, v13, v49
	s_or_b32 exec_lo, exec_lo, s2
	s_and_saveexec_b32 s2, vcc_lo
	s_cbranch_execz .LBB62_199
.LBB62_299:
	ds_load_b32 v49, v48 offset:224
	s_waitcnt lgkmcnt(0)
	v_add_f32_e32 v14, v14, v49
	s_or_b32 exec_lo, exec_lo, s2
	s_and_saveexec_b32 s2, vcc_lo
	s_cbranch_execz .LBB62_200
.LBB62_300:
	ds_load_b32 v49, v48 offset:240
	s_waitcnt lgkmcnt(0)
	v_add_f32_e32 v15, v15, v49
	s_or_b32 exec_lo, exec_lo, s2
	s_and_saveexec_b32 s2, vcc_lo
	s_cbranch_execz .LBB62_201
.LBB62_301:
	ds_load_b32 v49, v48 offset:256
	s_waitcnt lgkmcnt(0)
	v_add_f32_e32 v16, v16, v49
	s_or_b32 exec_lo, exec_lo, s2
	s_and_saveexec_b32 s2, vcc_lo
	s_cbranch_execz .LBB62_202
.LBB62_302:
	ds_load_b32 v49, v48 offset:272
	s_waitcnt lgkmcnt(0)
	v_add_f32_e32 v17, v17, v49
	s_or_b32 exec_lo, exec_lo, s2
	s_and_saveexec_b32 s2, vcc_lo
	s_cbranch_execz .LBB62_203
.LBB62_303:
	ds_load_b32 v49, v48 offset:288
	s_waitcnt lgkmcnt(0)
	v_add_f32_e32 v18, v18, v49
	s_or_b32 exec_lo, exec_lo, s2
	s_and_saveexec_b32 s2, vcc_lo
	s_cbranch_execz .LBB62_204
.LBB62_304:
	ds_load_b32 v49, v48 offset:304
	s_waitcnt lgkmcnt(0)
	v_add_f32_e32 v19, v19, v49
	s_or_b32 exec_lo, exec_lo, s2
	s_and_saveexec_b32 s2, vcc_lo
	s_cbranch_execz .LBB62_205
.LBB62_305:
	ds_load_b32 v49, v48 offset:320
	s_waitcnt lgkmcnt(0)
	v_add_f32_e32 v20, v20, v49
	s_or_b32 exec_lo, exec_lo, s2
	s_and_saveexec_b32 s2, vcc_lo
	s_cbranch_execz .LBB62_206
.LBB62_306:
	ds_load_b32 v49, v48 offset:336
	s_waitcnt lgkmcnt(0)
	v_add_f32_e32 v21, v21, v49
	s_or_b32 exec_lo, exec_lo, s2
	s_and_saveexec_b32 s2, vcc_lo
	s_cbranch_execz .LBB62_207
.LBB62_307:
	ds_load_b32 v49, v48 offset:352
	s_waitcnt lgkmcnt(0)
	v_add_f32_e32 v22, v22, v49
	s_or_b32 exec_lo, exec_lo, s2
	s_and_saveexec_b32 s2, vcc_lo
	s_cbranch_execz .LBB62_208
.LBB62_308:
	ds_load_b32 v49, v48 offset:368
	s_waitcnt lgkmcnt(0)
	v_add_f32_e32 v23, v23, v49
	s_or_b32 exec_lo, exec_lo, s2
	s_and_saveexec_b32 s2, vcc_lo
	s_cbranch_execz .LBB62_209
.LBB62_309:
	ds_load_b32 v49, v48 offset:384
	s_waitcnt lgkmcnt(0)
	v_add_f32_e32 v24, v24, v49
	s_or_b32 exec_lo, exec_lo, s2
	s_and_saveexec_b32 s2, vcc_lo
	s_cbranch_execz .LBB62_210
.LBB62_310:
	ds_load_b32 v49, v48 offset:400
	s_waitcnt lgkmcnt(0)
	v_add_f32_e32 v25, v25, v49
	s_or_b32 exec_lo, exec_lo, s2
	s_and_saveexec_b32 s2, vcc_lo
	s_cbranch_execz .LBB62_211
.LBB62_311:
	ds_load_b32 v49, v48 offset:416
	s_waitcnt lgkmcnt(0)
	v_add_f32_e32 v26, v26, v49
	s_or_b32 exec_lo, exec_lo, s2
	s_and_saveexec_b32 s2, vcc_lo
	s_cbranch_execz .LBB62_212
.LBB62_312:
	ds_load_b32 v49, v48 offset:432
	s_waitcnt lgkmcnt(0)
	v_add_f32_e32 v27, v27, v49
	s_or_b32 exec_lo, exec_lo, s2
	s_and_saveexec_b32 s2, vcc_lo
	s_cbranch_execz .LBB62_213
.LBB62_313:
	ds_load_b32 v49, v48 offset:448
	s_waitcnt lgkmcnt(0)
	v_add_f32_e32 v28, v28, v49
	s_or_b32 exec_lo, exec_lo, s2
	s_and_saveexec_b32 s2, vcc_lo
	s_cbranch_execz .LBB62_214
.LBB62_314:
	ds_load_b32 v49, v48 offset:464
	s_waitcnt lgkmcnt(0)
	v_add_f32_e32 v29, v29, v49
	s_or_b32 exec_lo, exec_lo, s2
	s_and_saveexec_b32 s2, vcc_lo
	s_cbranch_execz .LBB62_215
.LBB62_315:
	ds_load_b32 v49, v48 offset:480
	s_waitcnt lgkmcnt(0)
	v_add_f32_e32 v30, v30, v49
	s_or_b32 exec_lo, exec_lo, s2
	s_and_saveexec_b32 s2, vcc_lo
	s_cbranch_execz .LBB62_216
.LBB62_316:
	ds_load_b32 v49, v48 offset:496
	s_waitcnt lgkmcnt(0)
	v_add_f32_e32 v31, v31, v49
	s_or_b32 exec_lo, exec_lo, s2
	s_and_saveexec_b32 s2, vcc_lo
	s_cbranch_execz .LBB62_217
.LBB62_317:
	ds_load_b32 v49, v48 offset:512
	s_waitcnt lgkmcnt(0)
	v_add_f32_e32 v32, v32, v49
	s_or_b32 exec_lo, exec_lo, s2
	s_and_saveexec_b32 s2, vcc_lo
	s_cbranch_execz .LBB62_218
.LBB62_318:
	ds_load_b32 v49, v48 offset:528
	s_waitcnt lgkmcnt(0)
	v_add_f32_e32 v33, v33, v49
	s_or_b32 exec_lo, exec_lo, s2
	s_and_saveexec_b32 s2, vcc_lo
	s_cbranch_execz .LBB62_219
.LBB62_319:
	ds_load_b32 v49, v48 offset:544
	s_waitcnt lgkmcnt(0)
	v_add_f32_e32 v34, v34, v49
	s_or_b32 exec_lo, exec_lo, s2
	s_and_saveexec_b32 s2, vcc_lo
	s_cbranch_execz .LBB62_220
.LBB62_320:
	ds_load_b32 v49, v48 offset:560
	s_waitcnt lgkmcnt(0)
	v_add_f32_e32 v35, v35, v49
	s_or_b32 exec_lo, exec_lo, s2
	s_and_saveexec_b32 s2, vcc_lo
	s_cbranch_execz .LBB62_221
.LBB62_321:
	ds_load_b32 v49, v48 offset:576
	s_waitcnt lgkmcnt(0)
	v_add_f32_e32 v36, v36, v49
	s_or_b32 exec_lo, exec_lo, s2
	s_and_saveexec_b32 s2, vcc_lo
	s_cbranch_execz .LBB62_222
.LBB62_322:
	ds_load_b32 v49, v48 offset:592
	s_waitcnt lgkmcnt(0)
	v_add_f32_e32 v37, v37, v49
	s_or_b32 exec_lo, exec_lo, s2
	s_and_saveexec_b32 s2, vcc_lo
	s_cbranch_execz .LBB62_223
.LBB62_323:
	ds_load_b32 v49, v48 offset:608
	s_waitcnt lgkmcnt(0)
	v_add_f32_e32 v38, v38, v49
	s_or_b32 exec_lo, exec_lo, s2
	s_and_saveexec_b32 s2, vcc_lo
	s_cbranch_execz .LBB62_224
.LBB62_324:
	ds_load_b32 v49, v48 offset:624
	s_waitcnt lgkmcnt(0)
	v_add_f32_e32 v39, v39, v49
	s_or_b32 exec_lo, exec_lo, s2
	s_and_saveexec_b32 s2, vcc_lo
	s_cbranch_execz .LBB62_225
.LBB62_325:
	ds_load_b32 v49, v48 offset:640
	s_waitcnt lgkmcnt(0)
	v_add_f32_e32 v40, v40, v49
	s_or_b32 exec_lo, exec_lo, s2
	s_and_saveexec_b32 s2, vcc_lo
	s_cbranch_execz .LBB62_226
.LBB62_326:
	ds_load_b32 v49, v48 offset:656
	s_waitcnt lgkmcnt(0)
	v_add_f32_e32 v41, v41, v49
	s_or_b32 exec_lo, exec_lo, s2
	s_and_saveexec_b32 s2, vcc_lo
	s_cbranch_execz .LBB62_227
.LBB62_327:
	ds_load_b32 v49, v48 offset:672
	s_waitcnt lgkmcnt(0)
	v_add_f32_e32 v42, v42, v49
	s_or_b32 exec_lo, exec_lo, s2
	s_and_saveexec_b32 s2, vcc_lo
	s_cbranch_execz .LBB62_228
.LBB62_328:
	ds_load_b32 v49, v48 offset:688
	s_waitcnt lgkmcnt(0)
	v_add_f32_e32 v43, v43, v49
	s_or_b32 exec_lo, exec_lo, s2
	s_and_saveexec_b32 s2, vcc_lo
	s_cbranch_execz .LBB62_229
.LBB62_329:
	ds_load_b32 v49, v48 offset:704
	s_waitcnt lgkmcnt(0)
	v_add_f32_e32 v44, v44, v49
	s_or_b32 exec_lo, exec_lo, s2
	s_and_saveexec_b32 s2, vcc_lo
	s_cbranch_execz .LBB62_230
.LBB62_330:
	ds_load_b32 v49, v48 offset:720
	s_waitcnt lgkmcnt(0)
	v_add_f32_e32 v45, v45, v49
	s_or_b32 exec_lo, exec_lo, s2
	s_and_saveexec_b32 s2, vcc_lo
	s_cbranch_execz .LBB62_231
.LBB62_331:
	ds_load_b32 v49, v48 offset:736
	s_waitcnt lgkmcnt(0)
	v_add_f32_e32 v46, v46, v49
	s_or_b32 exec_lo, exec_lo, s2
	s_and_saveexec_b32 s2, vcc_lo
	s_cbranch_execnz .LBB62_232
	s_branch .LBB62_233
	.section	.rodata,"a",@progbits
	.p2align	6, 0x0
	.amdhsa_kernel _ZN4vllm25paged_attention_v2_kernelIffLi192ELi32ELi128ELNS_18Fp8KVCacheDataTypeE0ELb0ELi512EEEvPfS2_PT_PKS3_PKT0_S9_ifPKiSB_iPKfiiiSD_SD_iiiii
		.amdhsa_group_segment_fixed_size 800
		.amdhsa_private_segment_fixed_size 496
		.amdhsa_kernarg_size 400
		.amdhsa_user_sgpr_count 13
		.amdhsa_user_sgpr_dispatch_ptr 0
		.amdhsa_user_sgpr_queue_ptr 0
		.amdhsa_user_sgpr_kernarg_segment_ptr 1
		.amdhsa_user_sgpr_dispatch_id 0
		.amdhsa_user_sgpr_private_segment_size 0
		.amdhsa_wavefront_size32 1
		.amdhsa_uses_dynamic_stack 0
		.amdhsa_enable_private_segment 1
		.amdhsa_system_sgpr_workgroup_id_x 1
		.amdhsa_system_sgpr_workgroup_id_y 1
		.amdhsa_system_sgpr_workgroup_id_z 1
		.amdhsa_system_sgpr_workgroup_info 0
		.amdhsa_system_vgpr_workitem_id 0
		.amdhsa_next_free_vgpr 192
		.amdhsa_next_free_sgpr 38
		.amdhsa_reserve_vcc 1
		.amdhsa_float_round_mode_32 0
		.amdhsa_float_round_mode_16_64 0
		.amdhsa_float_denorm_mode_32 3
		.amdhsa_float_denorm_mode_16_64 3
		.amdhsa_dx10_clamp 1
		.amdhsa_ieee_mode 1
		.amdhsa_fp16_overflow 0
		.amdhsa_workgroup_processor_mode 1
		.amdhsa_memory_ordered 1
		.amdhsa_forward_progress 0
		.amdhsa_shared_vgpr_count 0
		.amdhsa_exception_fp_ieee_invalid_op 0
		.amdhsa_exception_fp_denorm_src 0
		.amdhsa_exception_fp_ieee_div_zero 0
		.amdhsa_exception_fp_ieee_overflow 0
		.amdhsa_exception_fp_ieee_underflow 0
		.amdhsa_exception_fp_ieee_inexact 0
		.amdhsa_exception_int_div_zero 0
	.end_amdhsa_kernel
	.section	.text._ZN4vllm25paged_attention_v2_kernelIffLi192ELi32ELi128ELNS_18Fp8KVCacheDataTypeE0ELb0ELi512EEEvPfS2_PT_PKS3_PKT0_S9_ifPKiSB_iPKfiiiSD_SD_iiiii,"axG",@progbits,_ZN4vllm25paged_attention_v2_kernelIffLi192ELi32ELi128ELNS_18Fp8KVCacheDataTypeE0ELb0ELi512EEEvPfS2_PT_PKS3_PKT0_S9_ifPKiSB_iPKfiiiSD_SD_iiiii,comdat
.Lfunc_end62:
	.size	_ZN4vllm25paged_attention_v2_kernelIffLi192ELi32ELi128ELNS_18Fp8KVCacheDataTypeE0ELb0ELi512EEEvPfS2_PT_PKS3_PKT0_S9_ifPKiSB_iPKfiiiSD_SD_iiiii, .Lfunc_end62-_ZN4vllm25paged_attention_v2_kernelIffLi192ELi32ELi128ELNS_18Fp8KVCacheDataTypeE0ELb0ELi512EEEvPfS2_PT_PKS3_PKT0_S9_ifPKiSB_iPKfiiiSD_SD_iiiii
                                        ; -- End function
	.section	.AMDGPU.csdata,"",@progbits
; Kernel info:
; codeLenInByte = 22340
; NumSgprs: 40
; NumVgprs: 192
; ScratchSize: 496
; MemoryBound: 0
; FloatMode: 240
; IeeeMode: 1
; LDSByteSize: 800 bytes/workgroup (compile time only)
; SGPRBlocks: 4
; VGPRBlocks: 23
; NumSGPRsForWavesPerEU: 40
; NumVGPRsForWavesPerEU: 192
; Occupancy: 8
; WaveLimiterHint : 1
; COMPUTE_PGM_RSRC2:SCRATCH_EN: 1
; COMPUTE_PGM_RSRC2:USER_SGPR: 13
; COMPUTE_PGM_RSRC2:TRAP_HANDLER: 0
; COMPUTE_PGM_RSRC2:TGID_X_EN: 1
; COMPUTE_PGM_RSRC2:TGID_Y_EN: 1
; COMPUTE_PGM_RSRC2:TGID_Z_EN: 1
; COMPUTE_PGM_RSRC2:TIDIG_COMP_CNT: 0
	.text
	.p2align	2                               ; -- Begin function _ZN4vllm22paged_attention_kernelIffLi256ELi32ELi128ELNS_18Fp8KVCacheDataTypeE0ELb0ELi512EEEvPfS2_PT_PKS3_PKT0_S9_ifPKiSB_iPKfiiiSD_SD_iiiii
	.type	_ZN4vllm22paged_attention_kernelIffLi256ELi32ELi128ELNS_18Fp8KVCacheDataTypeE0ELb0ELi512EEEvPfS2_PT_PKS3_PKT0_S9_ifPKiSB_iPKfiiiSD_SD_iiiii,@function
_ZN4vllm22paged_attention_kernelIffLi256ELi32ELi128ELNS_18Fp8KVCacheDataTypeE0ELb0ELi512EEEvPfS2_PT_PKS3_PKT0_S9_ifPKiSB_iPKfiiiSD_SD_iiiii: ; @_ZN4vllm22paged_attention_kernelIffLi256ELi32ELi128ELNS_18Fp8KVCacheDataTypeE0ELb0ELi512EEEvPfS2_PT_PKS3_PKT0_S9_ifPKiSB_iPKfiiiSD_SD_iiiii
; %bb.0:
	s_waitcnt vmcnt(0) expcnt(0) lgkmcnt(0)
	s_clause 0x1f
	scratch_store_b32 off, v40, s32 offset:316
	; meta instruction
	scratch_store_b32 off, v41, s32 offset:312
	; meta instruction
	;; [unrolled: 2-line block ×31, first 2 shown]
	scratch_store_b32 off, v95, s32 offset:192
	s_clause 0x1f
	scratch_store_b32 off, v104, s32 offset:188
	; meta instruction
	scratch_store_b32 off, v105, s32 offset:184
	; meta instruction
	;; [unrolled: 2-line block ×31, first 2 shown]
	scratch_store_b32 off, v159, s32 offset:64
	s_clause 0xf
	scratch_store_b32 off, v168, s32 offset:60
	; meta instruction
	scratch_store_b32 off, v169, s32 offset:56
	; meta instruction
	;; [unrolled: 2-line block ×15, first 2 shown]
	scratch_store_b32 off, v191, s32
	s_mov_b32 s6, s13
	s_ashr_i32 s7, s13, 31
	v_dual_mov_b32 v24, v1 :: v_dual_mov_b32 v25, v0
	s_lshl_b64 s[0:1], s[6:7], 2
	s_clause 0x2
	scratch_store_b32 off, v22, s32 offset:956
	scratch_store_b32 off, v5, s32 offset:1224
	;; [unrolled: 1-line block ×3, first 2 shown]
	v_add_co_u32 v0, vcc_lo, v16, s0
	v_add_co_ci_u32_e32 v1, vcc_lo, s1, v17, vcc_lo
	v_dual_mov_b32 v26, v3 :: v_dual_mov_b32 v27, v2
	s_lshl_b32 s18, s14, 9
	flat_load_b32 v47, v[0:1]
	s_mov_b32 s5, exec_lo
	s_waitcnt vmcnt(0) lgkmcnt(0)
	v_cmpx_lt_i32_e64 s18, v47
	s_cbranch_execz .LBB63_302
; %bb.1:
	v_sub_nc_u32_e32 v0, 0, v12
	s_clause 0x1
	s_load_b32 s0, s[8:9], 0x10
	s_load_b32 s1, s[8:9], 0x0
	s_mov_b32 s16, s15
	v_mov_b32_e32 v132, 0
	v_max_i32_e32 v0, v12, v0
	s_delay_alu instid0(VALU_DEP_1) | instskip(SKIP_1) | instid1(VALU_DEP_2)
	v_cvt_f32_u32_e32 v1, v0
	v_sub_nc_u32_e32 v2, 0, v0
	v_rcp_iflag_f32_e32 v1, v1
	s_waitcnt lgkmcnt(0)
	s_lshr_b32 s0, s0, 16
	s_delay_alu instid0(SALU_CYCLE_1) | instskip(SKIP_3) | instid1(SALU_CYCLE_1)
	s_cmp_lg_u32 s0, 0
	s_waitcnt_depctr 0xfff
	v_mul_f32_e32 v1, 0x4f7ffffe, v1
	s_cselect_b32 s0, -1, 0
	s_cmp_lg_u32 s0, 0
	s_delay_alu instid0(VALU_DEP_1) | instskip(SKIP_3) | instid1(VALU_DEP_1)
	v_cvt_u32_f32_e32 v1, v1
	s_addc_u32 s7, s1, 0
	s_abs_i32 s1, s12
	s_abs_i32 s0, s7
	v_mul_lo_u32 v2, v2, v1
	s_delay_alu instid0(VALU_DEP_1) | instskip(NEXT) | instid1(VALU_DEP_1)
	v_mul_hi_u32 v2, v1, v2
	v_add_nc_u32_e32 v1, v1, v2
	s_delay_alu instid0(VALU_DEP_1) | instskip(NEXT) | instid1(VALU_DEP_1)
	v_mul_hi_u32 v1, s0, v1
	v_mul_lo_u32 v2, v1, v0
	v_add_nc_u32_e32 v3, 1, v1
	s_delay_alu instid0(VALU_DEP_2) | instskip(SKIP_1) | instid1(VALU_DEP_1)
	v_sub_nc_u32_e32 v2, s0, v2
	s_mov_b32 s0, exec_lo
	v_sub_nc_u32_e32 v4, v2, v0
	v_cmp_ge_u32_e32 vcc_lo, v2, v0
	s_delay_alu instid0(VALU_DEP_2) | instskip(SKIP_1) | instid1(VALU_DEP_2)
	v_dual_cndmask_b32 v1, v1, v3 :: v_dual_cndmask_b32 v2, v2, v4
	v_xor_b32_e32 v3, s7, v12
	v_add_nc_u32_e32 v4, 1, v1
	s_delay_alu instid0(VALU_DEP_3) | instskip(NEXT) | instid1(VALU_DEP_3)
	v_cmp_ge_u32_e32 vcc_lo, v2, v0
	v_ashrrev_i32_e32 v3, 31, v3
	s_delay_alu instid0(VALU_DEP_3) | instskip(NEXT) | instid1(VALU_DEP_1)
	v_cndmask_b32_e32 v0, v1, v4, vcc_lo
	v_xor_b32_e32 v0, v0, v3
	s_delay_alu instid0(VALU_DEP_1) | instskip(NEXT) | instid1(VALU_DEP_1)
	v_sub_nc_u32_e32 v3, v0, v3
	v_sub_nc_u32_e32 v0, 0, v3
	s_delay_alu instid0(VALU_DEP_1) | instskip(NEXT) | instid1(VALU_DEP_1)
	v_max_i32_e32 v2, v3, v0
	v_cvt_f32_u32_e32 v0, v2
	v_sub_nc_u32_e32 v1, 0, v2
	s_delay_alu instid0(VALU_DEP_2) | instskip(SKIP_2) | instid1(VALU_DEP_1)
	v_rcp_iflag_f32_e32 v0, v0
	s_waitcnt_depctr 0xfff
	v_mul_f32_e32 v0, 0x4f7ffffe, v0
	v_cvt_u32_f32_e32 v0, v0
	s_delay_alu instid0(VALU_DEP_1) | instskip(NEXT) | instid1(VALU_DEP_1)
	v_mul_lo_u32 v1, v1, v0
	v_mul_hi_u32 v1, v0, v1
	s_delay_alu instid0(VALU_DEP_1) | instskip(NEXT) | instid1(VALU_DEP_1)
	v_add_nc_u32_e32 v4, v0, v1
	v_mad_u64_u32 v[0:1], null, s1, v4, 0
	v_cmpx_ne_u64_e32 0, v[19:20]
	s_cbranch_execz .LBB63_3
; %bb.2:
	s_ashr_i32 s13, s12, 31
	s_delay_alu instid0(SALU_CYCLE_1) | instskip(NEXT) | instid1(SALU_CYCLE_1)
	s_lshl_b64 s[2:3], s[12:13], 2
	v_add_co_u32 v4, vcc_lo, v19, s2
	v_add_co_ci_u32_e32 v5, vcc_lo, s3, v20, vcc_lo
	flat_load_b32 v132, v[4:5]
.LBB63_3:
	s_or_b32 exec_lo, exec_lo, s0
	v_and_b32_e32 v12, 0x3ff, v31
	v_ashrrev_i32_e32 v0, 31, v3
	s_ashr_i32 s2, s12, 31
	s_lshl_b32 s10, s12, 8
	s_delay_alu instid0(VALU_DEP_2) | instskip(NEXT) | instid1(VALU_DEP_1)
	v_cmp_gt_u32_e64 s0, 64, v12
	s_and_saveexec_b32 s3, s0
	s_cbranch_execz .LBB63_5
; %bb.4:
	v_mul_lo_u32 v3, s6, v21
	s_ashr_i32 s11, s10, 31
	v_lshlrev_b32_e32 v16, 4, v12
	s_lshl_b64 s[20:21], s[10:11], 2
	s_delay_alu instid0(VALU_DEP_2) | instskip(NEXT) | instid1(VALU_DEP_1)
	v_ashrrev_i32_e32 v4, 31, v3
	v_lshlrev_b64 v[3:4], 2, v[3:4]
	s_delay_alu instid0(VALU_DEP_1) | instskip(NEXT) | instid1(VALU_DEP_2)
	v_add_co_u32 v3, vcc_lo, v6, v3
	v_add_co_ci_u32_e32 v4, vcc_lo, v7, v4, vcc_lo
	s_delay_alu instid0(VALU_DEP_2) | instskip(NEXT) | instid1(VALU_DEP_2)
	v_add_co_u32 v3, vcc_lo, v3, s20
	v_add_co_ci_u32_e32 v4, vcc_lo, s21, v4, vcc_lo
	s_delay_alu instid0(VALU_DEP_2) | instskip(NEXT) | instid1(VALU_DEP_2)
	v_add_co_u32 v3, vcc_lo, v3, v16
	v_add_co_ci_u32_e32 v4, vcc_lo, 0, v4, vcc_lo
	flat_load_b128 v[3:6], v[3:4]
	s_waitcnt vmcnt(0) lgkmcnt(0)
	ds_store_b128 v16, v[3:6]
.LBB63_5:
	s_or_b32 exec_lo, exec_lo, s3
	v_mul_lo_u32 v3, v1, v2
	v_dual_mov_b32 v22, 0xff7fffff :: v_dual_add_nc_u32 v5, 31, v47
	v_xor_b32_e32 v7, s2, v0
	s_clause 0x1
	s_load_b32 s11, s[8:9], 0x14
	s_load_b32 s8, s[8:9], 0x8
	v_mul_lo_u32 v0, s6, v18
	s_lshl_b32 s4, s14, 4
	v_and_b32_e32 v20, 31, v12
	v_sub_nc_u32_e32 v3, s1, v3
	s_add_i32 s1, s4, 16
	s_delay_alu instid0(VALU_DEP_2) | instskip(NEXT) | instid1(VALU_DEP_2)
	v_lshlrev_b32_e32 v135, 2, v20
	v_sub_nc_u32_e32 v6, v3, v2
	v_cmp_ge_u32_e32 vcc_lo, v3, v2
	s_delay_alu instid0(VALU_DEP_2) | instskip(NEXT) | instid1(VALU_DEP_1)
	v_dual_cndmask_b32 v3, v3, v6 :: v_dual_add_nc_u32 v4, 1, v1
	v_cndmask_b32_e32 v1, v1, v4, vcc_lo
	v_ashrrev_i32_e32 v4, 31, v5
	s_delay_alu instid0(VALU_DEP_3) | instskip(NEXT) | instid1(VALU_DEP_3)
	v_cmp_ge_u32_e32 vcc_lo, v3, v2
	v_add_nc_u32_e32 v6, 1, v1
	s_delay_alu instid0(VALU_DEP_3) | instskip(NEXT) | instid1(VALU_DEP_2)
	v_lshrrev_b32_e32 v4, 27, v4
	v_cndmask_b32_e32 v1, v1, v6, vcc_lo
	s_delay_alu instid0(VALU_DEP_2) | instskip(SKIP_1) | instid1(VALU_DEP_3)
	v_add_nc_u32_e32 v2, v5, v4
	v_lshrrev_b32_e32 v4, 5, v12
	v_xor_b32_e32 v1, v1, v7
	s_delay_alu instid0(VALU_DEP_3) | instskip(NEXT) | instid1(VALU_DEP_3)
	v_ashrrev_i32_e32 v16, 5, v2
	v_add_nc_u32_e32 v133, s4, v4
	s_delay_alu instid0(VALU_DEP_3) | instskip(SKIP_1) | instid1(VALU_DEP_4)
	v_sub_nc_u32_e32 v3, v1, v7
	v_ashrrev_i32_e32 v1, 31, v0
	v_min_i32_e32 v2, s1, v16
	scratch_store_b32 off, v4, s32 offset:1212 ; 4-byte Folded Spill
	v_mul_lo_u32 v17, v3, v23
	v_lshlrev_b64 v[148:149], 2, v[0:1]
	scratch_store_b32 off, v2, s32 offset:724 ; 4-byte Folded Spill
	v_cmp_ge_i32_e64 s1, v133, v2
	v_cmp_lt_i32_e32 vcc_lo, v133, v2
	s_waitcnt vmcnt(0) lgkmcnt(0)
	s_waitcnt_vscnt null, 0x0
	s_barrier
	buffer_gl0_inv
	v_ashrrev_i32_e32 v18, 31, v17
	s_mov_b32 s9, exec_lo
	s_delay_alu instid0(SALU_CYCLE_1)
	s_and_b32 s2, s9, vcc_lo
	s_clause 0x1
	scratch_store_b32 off, v12, s32 offset:1216
	scratch_store_b32 off, v20, s32 offset:1220
	s_mov_b32 exec_lo, s2
	s_cbranch_execz .LBB63_9
; %bb.6:
	v_lshlrev_b64 v[0:1], 2, v[17:18]
	v_lshlrev_b32_e32 v2, 4, v20
	s_clause 0x7
	scratch_store_b32 off, v16, s32 offset:756
	scratch_store_b32 off, v27, s32 offset:752
	scratch_store_b32 off, v26, s32 offset:748
	scratch_store_b32 off, v25, s32 offset:744
	scratch_store_b32 off, v24, s32 offset:740
	scratch_store_b32 off, v10, s32 offset:728
	scratch_store_b32 off, v11, s32 offset:720
	scratch_store_b64 off, v[17:18], s32 offset:760
	v_mov_b32_e32 v4, 0
	s_ashr_i32 s17, s16, 31
	v_ashrrev_i32_e32 v134, 31, v133
	v_add_co_u32 v0, vcc_lo, v8, v0
	v_add_co_ci_u32_e32 v1, vcc_lo, v9, v1, vcc_lo
	s_lshl_b64 s[2:3], s[16:17], 2
	s_delay_alu instid0(VALU_DEP_2)
	v_add_co_u32 v0, vcc_lo, v0, v2
	s_getpc_b64 s[20:21]
	s_add_u32 s20, s20, llvm.amdgcn.dynlds.offset.table@rel32@lo+4
	s_addc_u32 s21, s21, llvm.amdgcn.dynlds.offset.table@rel32@hi+12
	s_add_u32 s2, s2, s20
	s_addc_u32 s3, s3, s21
	scratch_store_b32 off, v0, s32 offset:320 ; 4-byte Folded Spill
	v_add_co_ci_u32_e32 v0, vcc_lo, 0, v1, vcc_lo
	v_mov_b32_e32 v12, v20
	v_cmp_neq_f32_e32 vcc_lo, 0, v132
	v_mov_b32_e32 v22, 0xff7fffff
	scratch_store_b32 off, v0, s32 offset:336 ; 4-byte Folded Spill
	ds_load_b128 v[0:3], v4
	s_mov_b32 s13, 0
	s_waitcnt lgkmcnt(0)
	scratch_store_b128 off, v[0:3], s32 offset:352 ; 16-byte Folded Spill
	ds_load_b128 v[0:3], v4 offset:16
	s_waitcnt lgkmcnt(0)
	scratch_store_b128 off, v[0:3], s32 offset:368 ; 16-byte Folded Spill
	ds_load_b128 v[0:3], v4 offset:32
	;; [unrolled: 3-line block ×23, first 2 shown]
	ds_load_b128 v[39:42], v4 offset:384
	ds_load_b128 v[43:46], v4 offset:400
	;; [unrolled: 1-line block ×39, first 2 shown]
	s_clause 0x1
	scratch_load_b32 v21, off, s32 offset:956
	scratch_load_b32 v11, off, s32 offset:1212
	s_load_b32 s3, s[2:3], 0x0
	ds_load_b128 v[128:131], v4 offset:1008
	v_lshlrev_b64 v[4:5], 2, v[133:134]
	s_clause 0x3
	scratch_store_b64 off, v[148:149], s32 offset:768
	scratch_store_b32 off, v135, s32 offset:776
	scratch_store_b32 off, v14, s32 offset:736
	;; [unrolled: 1-line block ×3, first 2 shown]
	v_mov_b32_e32 v134, v133
	v_add_co_u32 v4, s2, v148, v4
	s_delay_alu instid0(VALU_DEP_1) | instskip(NEXT) | instid1(VALU_DEP_2)
	v_add_co_ci_u32_e64 v5, s2, v149, v5, s2
	v_add_co_u32 v4, s2, v14, v4
	s_delay_alu instid0(VALU_DEP_1) | instskip(SKIP_3) | instid1(VALU_DEP_2)
	v_add_co_ci_u32_e64 v5, s2, v15, v5, s2
	s_waitcnt vmcnt(0)
	v_dual_mov_b32 v15, v13 :: v_dual_lshlrev_b32 v10, 5, v11
	v_lshl_or_b32 v11, v11, 7, v135
	v_add3_u32 v10, s18, v10, v12
	s_waitcnt lgkmcnt(0)
	s_delay_alu instid0(VALU_DEP_2)
	v_dual_mov_b32 v11, v133 :: v_dual_add_nc_u32 v14, s3, v11
.LBB63_7:                               ; =>This Inner Loop Header: Depth=1
	v_mov_b32_e32 v20, v132
	flat_load_b32 v132, v[4:5]
	v_add_nc_u32_e32 v134, 4, v134
	s_waitcnt vmcnt(0) lgkmcnt(0)
	v_mad_i64_i32 v[12:13], null, v132, v21, 0
	scratch_load_b32 v132, off, s32 offset:320 ; 4-byte Folded Reload
	v_lshlrev_b64 v[12:13], 2, v[12:13]
	s_waitcnt vmcnt(0)
	s_delay_alu instid0(VALU_DEP_1)
	v_add_co_u32 v132, s2, v132, v12
	scratch_load_b32 v12, off, s32 offset:336 ; 4-byte Folded Reload
	s_waitcnt vmcnt(0)
	v_add_co_ci_u32_e64 v133, s2, v12, v13, s2
	flat_load_b128 v[148:151], v[132:133] offset:512
	scratch_load_b128 v[160:163], off, s32 offset:368 ; 16-byte Folded Reload
	s_waitcnt vmcnt(0) lgkmcnt(0)
	v_mul_f32_e32 v135, v161, v149
	v_dual_mul_f32 v13, v160, v148 :: v_dual_mul_f32 v12, v162, v150
	v_mul_f32_e32 v148, v163, v151
	flat_load_b128 v[160:163], v[132:133]
	scratch_load_b128 v[176:179], off, s32 offset:352 ; 16-byte Folded Reload
	v_add_co_u32 v149, s2, 0x1000, v132
	s_delay_alu instid0(VALU_DEP_1)
	v_add_co_ci_u32_e64 v150, s2, 0, v133, s2
	s_waitcnt vmcnt(0) lgkmcnt(0)
	v_fmac_f32_e32 v13, v176, v160
	v_dual_fmac_f32 v135, v177, v161 :: v_dual_fmac_f32 v12, v178, v162
	v_fmac_f32_e32 v148, v179, v163
	flat_load_b128 v[160:163], v[132:133] offset:1024
	scratch_load_b128 v[176:179], off, s32 offset:384 ; 16-byte Folded Reload
	s_waitcnt vmcnt(0) lgkmcnt(0)
	v_fmac_f32_e32 v13, v176, v160
	v_dual_fmac_f32 v135, v177, v161 :: v_dual_fmac_f32 v12, v178, v162
	v_fmac_f32_e32 v148, v179, v163
	flat_load_b128 v[160:163], v[132:133] offset:1536
	scratch_load_b128 v[176:179], off, s32 offset:400 ; 16-byte Folded Reload
	;; [unrolled: 6-line block ×6, first 2 shown]
	s_waitcnt vmcnt(0) lgkmcnt(0)
	v_fmac_f32_e32 v13, v176, v160
	v_dual_fmac_f32 v135, v177, v161 :: v_dual_fmac_f32 v12, v178, v162
	v_fmac_f32_e32 v148, v179, v163
	flat_load_b128 v[160:163], v[149:150]
	scratch_load_b128 v[176:179], off, s32 offset:480 ; 16-byte Folded Reload
	s_waitcnt vmcnt(0) lgkmcnt(0)
	v_fmac_f32_e32 v13, v176, v160
	v_dual_fmac_f32 v135, v177, v161 :: v_dual_fmac_f32 v12, v178, v162
	v_fmac_f32_e32 v148, v179, v163
	flat_load_b128 v[160:163], v[149:150] offset:512
	scratch_load_b128 v[176:179], off, s32 offset:496 ; 16-byte Folded Reload
	s_waitcnt vmcnt(0) lgkmcnt(0)
	v_fmac_f32_e32 v13, v176, v160
	v_dual_fmac_f32 v135, v177, v161 :: v_dual_fmac_f32 v12, v178, v162
	v_fmac_f32_e32 v148, v179, v163
	flat_load_b128 v[160:163], v[149:150] offset:1024
	;; [unrolled: 6-line block ×7, first 2 shown]
	scratch_load_b128 v[176:179], off, s32 offset:592 ; 16-byte Folded Reload
	v_add_co_u32 v149, s2, 0x2000, v132
	s_delay_alu instid0(VALU_DEP_1)
	v_add_co_ci_u32_e64 v150, s2, 0, v133, s2
	s_waitcnt vmcnt(0) lgkmcnt(0)
	v_fmac_f32_e32 v13, v176, v160
	v_dual_fmac_f32 v135, v177, v161 :: v_dual_fmac_f32 v12, v178, v162
	v_fmac_f32_e32 v148, v179, v163
	flat_load_b128 v[160:163], v[149:150]
	scratch_load_b128 v[176:179], off, s32 offset:608 ; 16-byte Folded Reload
	s_waitcnt vmcnt(0) lgkmcnt(0)
	v_fmac_f32_e32 v13, v176, v160
	v_dual_fmac_f32 v135, v177, v161 :: v_dual_fmac_f32 v12, v178, v162
	v_fmac_f32_e32 v148, v179, v163
	flat_load_b128 v[160:163], v[149:150] offset:512
	scratch_load_b128 v[176:179], off, s32 offset:624 ; 16-byte Folded Reload
	s_waitcnt vmcnt(0) lgkmcnt(0)
	v_fmac_f32_e32 v13, v176, v160
	v_dual_fmac_f32 v135, v177, v161 :: v_dual_fmac_f32 v12, v178, v162
	v_fmac_f32_e32 v148, v179, v163
	flat_load_b128 v[160:163], v[149:150] offset:1024
	;; [unrolled: 6-line block ×7, first 2 shown]
	v_add_co_u32 v149, s2, 0x3000, v132
	s_delay_alu instid0(VALU_DEP_1)
	v_add_co_ci_u32_e64 v150, s2, 0, v133, s2
	s_waitcnt vmcnt(0) lgkmcnt(0)
	v_fmac_f32_e32 v13, v180, v160
	v_dual_fmac_f32 v135, v181, v161 :: v_dual_fmac_f32 v12, v182, v162
	v_fmac_f32_e32 v148, v183, v163
	flat_load_b128 v[160:163], v[149:150]
	s_waitcnt vmcnt(0) lgkmcnt(0)
	v_fmac_f32_e32 v135, v40, v161
	v_dual_fmac_f32 v13, v39, v160 :: v_dual_fmac_f32 v12, v41, v162
	v_fmac_f32_e32 v148, v42, v163
	flat_load_b128 v[160:163], v[149:150] offset:512
	s_waitcnt vmcnt(0) lgkmcnt(0)
	v_fmac_f32_e32 v13, v43, v160
	v_dual_fmac_f32 v135, v44, v161 :: v_dual_fmac_f32 v12, v45, v162
	v_fmac_f32_e32 v148, v46, v163
	flat_load_b128 v[160:163], v[149:150] offset:1024
	s_waitcnt vmcnt(0) lgkmcnt(0)
	v_fmac_f32_e32 v13, v56, v160
	v_dual_fmac_f32 v135, v57, v161 :: v_dual_fmac_f32 v12, v58, v162
	v_fmac_f32_e32 v148, v59, v163
	flat_load_b128 v[160:163], v[149:150] offset:1536
	s_waitcnt vmcnt(0) lgkmcnt(0)
	v_fmac_f32_e32 v13, v60, v160
	v_dual_fmac_f32 v135, v61, v161 :: v_dual_fmac_f32 v12, v62, v162
	v_fmac_f32_e32 v148, v63, v163
	flat_load_b128 v[160:163], v[149:150] offset:2048
	s_waitcnt vmcnt(0) lgkmcnt(0)
	v_fmac_f32_e32 v13, v72, v160
	v_dual_fmac_f32 v135, v73, v161 :: v_dual_fmac_f32 v12, v74, v162
	v_fmac_f32_e32 v148, v75, v163
	flat_load_b128 v[160:163], v[149:150] offset:2560
	s_waitcnt vmcnt(0) lgkmcnt(0)
	v_fmac_f32_e32 v13, v76, v160
	v_dual_fmac_f32 v135, v77, v161 :: v_dual_fmac_f32 v12, v78, v162
	v_fmac_f32_e32 v148, v79, v163
	flat_load_b128 v[160:163], v[149:150] offset:3072
	s_waitcnt vmcnt(0) lgkmcnt(0)
	v_fmac_f32_e32 v13, v88, v160
	v_dual_fmac_f32 v135, v89, v161 :: v_dual_fmac_f32 v12, v90, v162
	v_fmac_f32_e32 v148, v91, v163
	flat_load_b128 v[160:163], v[149:150] offset:3584
	v_add_co_u32 v149, s2, 0x4000, v132
	s_delay_alu instid0(VALU_DEP_1)
	v_add_co_ci_u32_e64 v150, s2, 0, v133, s2
	s_waitcnt vmcnt(0) lgkmcnt(0)
	v_fmac_f32_e32 v13, v92, v160
	v_dual_fmac_f32 v135, v93, v161 :: v_dual_fmac_f32 v12, v94, v162
	v_fmac_f32_e32 v148, v95, v163
	flat_load_b128 v[160:163], v[149:150]
	s_waitcnt vmcnt(0) lgkmcnt(0)
	v_fmac_f32_e32 v13, v104, v160
	v_dual_fmac_f32 v135, v105, v161 :: v_dual_fmac_f32 v12, v106, v162
	v_fmac_f32_e32 v148, v107, v163
	flat_load_b128 v[160:163], v[149:150] offset:512
	s_waitcnt vmcnt(0) lgkmcnt(0)
	v_fmac_f32_e32 v13, v108, v160
	v_dual_fmac_f32 v135, v109, v161 :: v_dual_fmac_f32 v12, v110, v162
	v_fmac_f32_e32 v148, v111, v163
	flat_load_b128 v[160:163], v[149:150] offset:1024
	s_waitcnt vmcnt(0) lgkmcnt(0)
	v_fmac_f32_e32 v13, v120, v160
	v_dual_fmac_f32 v135, v121, v161 :: v_dual_fmac_f32 v12, v122, v162
	v_fmac_f32_e32 v148, v123, v163
	flat_load_b128 v[160:163], v[149:150] offset:1536
	s_waitcnt vmcnt(0) lgkmcnt(0)
	v_fmac_f32_e32 v13, v124, v160
	v_dual_fmac_f32 v135, v125, v161 :: v_dual_fmac_f32 v12, v126, v162
	v_fmac_f32_e32 v148, v127, v163
	flat_load_b128 v[160:163], v[149:150] offset:2048
	s_waitcnt vmcnt(0) lgkmcnt(0)
	v_fmac_f32_e32 v13, v136, v160
	v_dual_fmac_f32 v135, v137, v161 :: v_dual_fmac_f32 v12, v138, v162
	v_fmac_f32_e32 v148, v139, v163
	flat_load_b128 v[160:163], v[149:150] offset:2560
	s_waitcnt vmcnt(0) lgkmcnt(0)
	v_fmac_f32_e32 v13, v140, v160
	v_dual_fmac_f32 v135, v141, v161 :: v_dual_fmac_f32 v12, v142, v162
	v_fmac_f32_e32 v148, v143, v163
	flat_load_b128 v[160:163], v[149:150] offset:3072
	s_waitcnt vmcnt(0) lgkmcnt(0)
	v_fmac_f32_e32 v13, v152, v160
	v_dual_fmac_f32 v135, v153, v161 :: v_dual_fmac_f32 v12, v154, v162
	v_fmac_f32_e32 v148, v155, v163
	flat_load_b128 v[160:163], v[149:150] offset:3584
	;; [unrolled: 43-line block ×3, first 2 shown]
	v_add_co_u32 v149, s2, 0x6000, v132
	s_delay_alu instid0(VALU_DEP_1) | instskip(SKIP_1) | instid1(VALU_DEP_1)
	v_add_co_ci_u32_e64 v150, s2, 0, v133, s2
	v_add_co_u32 v132, s2, 0x7000, v132
	v_add_co_ci_u32_e64 v133, s2, 0, v133, s2
	v_cmp_lt_i32_e64 s2, v10, v47
	s_waitcnt vmcnt(0) lgkmcnt(0)
	v_fmac_f32_e32 v13, v16, v160
	v_dual_fmac_f32 v135, v17, v161 :: v_dual_fmac_f32 v12, v18, v162
	v_fmac_f32_e32 v148, v19, v163
	flat_load_b128 v[160:163], v[149:150]
	s_waitcnt vmcnt(0) lgkmcnt(0)
	v_fmac_f32_e32 v13, v164, v160
	v_dual_fmac_f32 v135, v165, v161 :: v_dual_fmac_f32 v12, v166, v162
	v_fmac_f32_e32 v148, v167, v163
	flat_load_b128 v[160:163], v[149:150] offset:512
	s_waitcnt vmcnt(0) lgkmcnt(0)
	v_fmac_f32_e32 v135, v24, v161
	v_dual_fmac_f32 v13, v23, v160 :: v_dual_fmac_f32 v12, v25, v162
	v_fmac_f32_e32 v148, v26, v163
	flat_load_b128 v[160:163], v[149:150] offset:1024
	;; [unrolled: 5-line block ×7, first 2 shown]
	s_waitcnt vmcnt(0) lgkmcnt(0)
	v_fmac_f32_e32 v13, v64, v160
	v_dual_fmac_f32 v135, v65, v161 :: v_dual_fmac_f32 v12, v66, v162
	v_fmac_f32_e32 v148, v67, v163
	flat_load_b128 v[160:163], v[132:133]
	s_waitcnt vmcnt(0) lgkmcnt(0)
	v_fmac_f32_e32 v13, v68, v160
	v_dual_fmac_f32 v135, v69, v161 :: v_dual_fmac_f32 v12, v70, v162
	v_fmac_f32_e32 v148, v71, v163
	flat_load_b128 v[160:163], v[132:133] offset:512
	s_waitcnt vmcnt(0) lgkmcnt(0)
	v_fmac_f32_e32 v13, v80, v160
	v_dual_fmac_f32 v135, v81, v161 :: v_dual_fmac_f32 v12, v82, v162
	v_fmac_f32_e32 v148, v83, v163
	flat_load_b128 v[160:163], v[132:133] offset:1024
	;; [unrolled: 5-line block ×7, first 2 shown]
	v_mov_b32_e32 v132, v20
	scratch_load_b32 v20, off, s32 offset:724 ; 4-byte Folded Reload
	s_waitcnt vmcnt(1) lgkmcnt(0)
	v_fmac_f32_e32 v135, v129, v161
	v_dual_fmac_f32 v13, v128, v160 :: v_dual_fmac_f32 v12, v130, v162
	s_waitcnt vmcnt(0)
	v_cmp_ge_i32_e64 s3, v134, v20
	s_delay_alu instid0(VALU_DEP_2) | instskip(NEXT) | instid1(VALU_DEP_2)
	v_add_f32_e32 v13, v13, v135
	s_or_b32 s13, s3, s13
	s_delay_alu instid0(VALU_DEP_1) | instskip(SKIP_1) | instid1(VALU_DEP_1)
	v_add_f32_e32 v12, v12, v13
	v_sub_nc_u32_e32 v13, 1, v47
	v_dual_fmac_f32 v148, v131, v163 :: v_dual_add_nc_u32 v13, v13, v10
	v_add_nc_u32_e32 v10, 0x80, v10
	s_delay_alu instid0(VALU_DEP_2) | instskip(NEXT) | instid1(VALU_DEP_1)
	v_cvt_f32_i32_e32 v13, v13
	v_mul_f32_e32 v13, v132, v13
	s_delay_alu instid0(VALU_DEP_1) | instskip(NEXT) | instid1(VALU_DEP_1)
	v_dual_add_f32 v12, v148, v12 :: v_dual_cndmask_b32 v13, 0, v13
	v_dual_fmac_f32 v13, v12, v15 :: v_dual_max_f32 v12, v22, v22
	s_delay_alu instid0(VALU_DEP_1) | instskip(NEXT) | instid1(VALU_DEP_1)
	v_max_f32_e32 v12, v12, v13
	v_cndmask_b32_e64 v22, v22, v12, s2
	v_cndmask_b32_e64 v12, 0, v13, s2
	v_add_co_u32 v4, s2, v4, 16
	s_delay_alu instid0(VALU_DEP_1)
	v_add_co_ci_u32_e64 v5, s2, 0, v5, s2
	ds_store_b32 v14, v12
	v_add_nc_u32_e32 v14, 0x200, v14
	s_and_not1_b32 exec_lo, exec_lo, s13
	s_cbranch_execnz .LBB63_7
; %bb.8:
	s_or_b32 exec_lo, exec_lo, s13
	s_clause 0x1
	scratch_load_b32 v12, off, s32 offset:1216
	scratch_load_b32 v20, off, s32 offset:1220
	v_mov_b32_e32 v133, v11
	s_clause 0xb
	scratch_load_b32 v11, off, s32 offset:720
	scratch_load_b32 v10, off, s32 offset:728
	;; [unrolled: 1-line block ×9, first 2 shown]
	scratch_load_b64 v[17:18], off, s32 offset:760
	scratch_load_b64 v[148:149], off, s32 offset:768
	scratch_load_b32 v135, off, s32 offset:776
.LBB63_9:
	s_or_b32 exec_lo, exec_lo, s9
	v_mbcnt_lo_u32_b32 v0, -1, 0
	s_lshr_b32 s9, s11, 16
	v_max_f32_e32 v4, v22, v22
	s_delay_alu instid0(VALU_DEP_2) | instskip(SKIP_2) | instid1(VALU_DEP_3)
	v_xor_b32_e32 v1, 16, v0
	v_xor_b32_e32 v3, 8, v0
	;; [unrolled: 1-line block ×3, first 2 shown]
	v_cmp_gt_i32_e32 vcc_lo, 32, v1
	v_cndmask_b32_e32 v1, v0, v1, vcc_lo
	s_delay_alu instid0(VALU_DEP_4) | instskip(NEXT) | instid1(VALU_DEP_2)
	v_cmp_gt_i32_e32 vcc_lo, 32, v3
	v_dual_cndmask_b32 v3, v0, v3 :: v_dual_lshlrev_b32 v2, 2, v1
	v_cmp_gt_i32_e32 vcc_lo, 32, v5
	ds_bpermute_b32 v1, v2, v22
	v_lshlrev_b32_e32 v3, 2, v3
	v_cndmask_b32_e32 v5, v0, v5, vcc_lo
	s_waitcnt lgkmcnt(0)
	v_max_f32_e32 v1, v1, v1
	s_delay_alu instid0(VALU_DEP_1)
	v_max_f32_e32 v1, v4, v1
	ds_bpermute_b32 v4, v3, v1
	s_waitcnt lgkmcnt(0)
	v_max_f32_e32 v4, v4, v4
	v_lshlrev_b32_e32 v114, 2, v5
	v_xor_b32_e32 v5, 2, v0
	s_delay_alu instid0(VALU_DEP_3) | instskip(NEXT) | instid1(VALU_DEP_2)
	v_max_f32_e32 v1, v1, v4
	v_cmp_gt_i32_e32 vcc_lo, 32, v5
	ds_bpermute_b32 v4, v114, v1
	v_cndmask_b32_e32 v5, v0, v5, vcc_lo
	s_waitcnt lgkmcnt(0)
	v_max_f32_e32 v4, v4, v4
	s_delay_alu instid0(VALU_DEP_2) | instskip(SKIP_1) | instid1(VALU_DEP_3)
	v_lshlrev_b32_e32 v132, 2, v5
	v_xor_b32_e32 v5, 1, v0
	v_max_f32_e32 v1, v1, v4
	s_delay_alu instid0(VALU_DEP_2) | instskip(SKIP_4) | instid1(VALU_DEP_2)
	v_cmp_gt_i32_e32 vcc_lo, 32, v5
	ds_bpermute_b32 v4, v132, v1
	v_cndmask_b32_e32 v5, v0, v5, vcc_lo
	s_waitcnt vmcnt(12)
	v_cmp_eq_u32_e32 vcc_lo, 0, v20
	v_lshlrev_b32_e32 v30, 2, v5
	s_waitcnt lgkmcnt(0)
	v_max_f32_e32 v4, v4, v4
	s_delay_alu instid0(VALU_DEP_1)
	v_max_f32_e32 v0, v1, v4
	scratch_load_b32 v4, off, s32 offset:1212 ; 4-byte Folded Reload
	ds_bpermute_b32 v1, v30, v0
	s_waitcnt vmcnt(0)
	v_lshlrev_b32_e32 v4, 2, v4
	s_and_saveexec_b32 s2, vcc_lo
	s_cbranch_execz .LBB63_11
; %bb.10:
	s_waitcnt lgkmcnt(0)
	v_dual_max_f32 v1, v1, v1 :: v_dual_max_f32 v0, v0, v0
	s_delay_alu instid0(VALU_DEP_1)
	v_max_f32_e32 v0, v0, v1
	ds_store_b32 v4, v0 offset:1024
.LBB63_11:
	s_or_b32 exec_lo, exec_lo, s2
	v_cmp_gt_u32_e64 s2, 4, v20
	v_mov_b32_e32 v0, 0xff7fffff
	s_waitcnt lgkmcnt(0)
	s_waitcnt_vscnt null, 0x0
	s_barrier
	buffer_gl0_inv
	s_and_saveexec_b32 s3, s2
	s_cbranch_execz .LBB63_13
; %bb.12:
	ds_load_b32 v0, v135 offset:1024
.LBB63_13:
	s_or_b32 exec_lo, exec_lo, s3
	scratch_load_b32 v5, off, s32 offset:724 ; 4-byte Folded Reload
	s_waitcnt lgkmcnt(0)
	ds_bpermute_b32 v1, v132, v0
	s_waitcnt lgkmcnt(0)
	v_dual_max_f32 v0, v0, v0 :: v_dual_max_f32 v1, v1, v1
	s_delay_alu instid0(VALU_DEP_1)
	v_max_f32_e32 v0, v0, v1
	s_waitcnt vmcnt(0)
	v_subrev_nc_u32_e32 v6, s4, v5
	v_mov_b32_e32 v5, 0
	ds_bpermute_b32 v1, v30, v0
	s_waitcnt lgkmcnt(0)
	v_max_f32_e32 v1, v1, v1
	s_delay_alu instid0(VALU_DEP_1) | instskip(SKIP_3) | instid1(VALU_DEP_1)
	v_max_f32_e32 v0, v0, v1
	v_lshl_add_u32 v1, v6, 5, s18
	ds_bpermute_b32 v0, v5, v0
	v_min_i32_e32 v1, v1, v47
	v_subrev_nc_u32_e32 v1, s18, v1
	s_delay_alu instid0(VALU_DEP_1) | instskip(NEXT) | instid1(VALU_DEP_1)
	v_cmp_lt_i32_e64 s3, v12, v1
	s_and_saveexec_b32 s11, s3
	s_cbranch_execz .LBB63_17
; %bb.14:
	s_getpc_b64 s[20:21]
	s_add_u32 s20, s20, llvm.amdgcn.dynlds.offset.table@rel32@lo+4
	s_addc_u32 s21, s21, llvm.amdgcn.dynlds.offset.table@rel32@hi+12
	s_ashr_i32 s17, s16, 31
	v_mov_b32_e32 v5, 0
	s_lshl_b64 s[22:23], s[16:17], 2
	v_mov_b32_e32 v7, v12
	s_add_u32 s20, s22, s20
	s_addc_u32 s21, s23, s21
	s_mov_b32 s13, 0
	s_load_b32 s4, s[20:21], 0x0
	s_waitcnt lgkmcnt(0)
	v_lshl_add_u32 v6, v12, 2, s4
	.p2align	6
.LBB63_15:                              ; =>This Inner Loop Header: Depth=1
	ds_load_b32 v8, v6
	v_add_nc_u32_e32 v7, 0x80, v7
	s_delay_alu instid0(VALU_DEP_1) | instskip(NEXT) | instid1(VALU_DEP_1)
	v_cmp_ge_i32_e64 s4, v7, v1
	s_or_b32 s13, s4, s13
	s_waitcnt lgkmcnt(0)
	v_sub_f32_e32 v8, v8, v0
	s_delay_alu instid0(VALU_DEP_1) | instskip(NEXT) | instid1(VALU_DEP_1)
	v_mul_f32_e32 v8, 0x3fb8aa3b, v8
	v_exp_f32_e32 v8, v8
	ds_store_b32 v6, v8
	v_dual_add_f32 v5, v5, v8 :: v_dual_add_nc_u32 v6, 0x200, v6
	s_and_not1_b32 exec_lo, exec_lo, s13
	s_cbranch_execnz .LBB63_15
; %bb.16:
	s_or_b32 exec_lo, exec_lo, s13
.LBB63_17:
	s_delay_alu instid0(SALU_CYCLE_1)
	s_or_b32 exec_lo, exec_lo, s11
	ds_bpermute_b32 v2, v2, v5
	s_waitcnt lgkmcnt(0)
	v_add_f32_e32 v2, v5, v2
	ds_bpermute_b32 v3, v3, v2
	s_waitcnt lgkmcnt(0)
	v_add_f32_e32 v2, v2, v3
	;; [unrolled: 3-line block ×5, first 2 shown]
	s_and_saveexec_b32 s4, vcc_lo
	s_cbranch_execz .LBB63_19
; %bb.18:
	ds_store_b32 v4, v2 offset:1040
.LBB63_19:
	s_or_b32 exec_lo, exec_lo, s4
	s_waitcnt lgkmcnt(0)
	s_barrier
	buffer_gl0_inv
	s_and_saveexec_b32 s4, s2
	s_cbranch_execz .LBB63_21
; %bb.20:
	ds_load_b32 v2, v135 offset:1040
.LBB63_21:
	s_or_b32 exec_lo, exec_lo, s4
	s_waitcnt lgkmcnt(0)
	ds_bpermute_b32 v3, v132, v2
	s_waitcnt lgkmcnt(0)
	v_add_f32_e32 v2, v2, v3
	ds_bpermute_b32 v3, v30, v2
	s_waitcnt lgkmcnt(0)
	v_dual_add_f32 v2, v2, v3 :: v_dual_mov_b32 v3, 0
	ds_bpermute_b32 v2, v3, v2
	s_and_saveexec_b32 s2, s3
	s_cbranch_execz .LBB63_24
; %bb.22:
	s_waitcnt lgkmcnt(0)
	v_add_f32_e32 v4, 0x358637bd, v2
	s_getpc_b64 s[20:21]
	s_add_u32 s20, s20, llvm.amdgcn.dynlds.offset.table@rel32@lo+4
	s_addc_u32 s21, s21, llvm.amdgcn.dynlds.offset.table@rel32@hi+12
	s_ashr_i32 s17, s16, 31
	s_delay_alu instid0(SALU_CYCLE_1) | instskip(SKIP_4) | instid1(VALU_DEP_1)
	s_lshl_b64 s[22:23], s[16:17], 2
	v_div_scale_f32 v3, null, v4, v4, 1.0
	s_add_u32 s20, s22, s20
	s_addc_u32 s21, s23, s21
	s_load_b32 s3, s[20:21], 0x0
	v_rcp_f32_e32 v5, v3
	s_waitcnt_depctr 0xfff
	v_fma_f32 v6, -v3, v5, 1.0
	s_delay_alu instid0(VALU_DEP_1) | instskip(SKIP_1) | instid1(VALU_DEP_1)
	v_fmac_f32_e32 v5, v6, v5
	v_div_scale_f32 v7, vcc_lo, 1.0, v4, 1.0
	v_mul_f32_e32 v6, v7, v5
	s_delay_alu instid0(VALU_DEP_1) | instskip(NEXT) | instid1(VALU_DEP_1)
	v_fma_f32 v8, -v3, v6, v7
	v_fmac_f32_e32 v6, v8, v5
	s_delay_alu instid0(VALU_DEP_1) | instskip(NEXT) | instid1(VALU_DEP_1)
	v_fma_f32 v3, -v3, v6, v7
	v_div_fmas_f32 v5, v3, v5, v6
	s_waitcnt lgkmcnt(0)
	v_lshl_add_u32 v3, v12, 2, s3
	s_mov_b32 s3, 0
	s_delay_alu instid0(VALU_DEP_2)
	v_div_fixup_f32 v4, v5, v4, 1.0
	v_mov_b32_e32 v5, v12
.LBB63_23:                              ; =>This Inner Loop Header: Depth=1
	ds_load_b32 v6, v3
	s_waitcnt lgkmcnt(0)
	v_dual_mul_f32 v6, v4, v6 :: v_dual_add_nc_u32 v5, 0x80, v5
	s_delay_alu instid0(VALU_DEP_1) | instskip(SKIP_3) | instid1(SALU_CYCLE_1)
	v_cmp_ge_i32_e32 vcc_lo, v5, v1
	ds_store_b32 v3, v6
	v_add_nc_u32_e32 v3, 0x200, v3
	s_or_b32 s3, vcc_lo, s3
	s_and_not1_b32 exec_lo, exec_lo, s3
	s_cbranch_execnz .LBB63_23
.LBB63_24:
	s_or_b32 exec_lo, exec_lo, s2
	v_cmp_ne_u16_e64 s2, s9, 0
	s_mov_b32 s3, exec_lo
	s_waitcnt lgkmcnt(0)
	s_barrier
	buffer_gl0_inv
	s_cmp_lg_u32 s2, 0
	s_addc_u32 s2, s8, 0
	v_cmpx_eq_u32_e32 0, v12
	s_cbranch_execz .LBB63_26
; %bb.25:
	s_mul_i32 s4, s2, s6
	s_mul_i32 s8, s2, s12
	;; [unrolled: 1-line block ×3, first 2 shown]
	s_ashr_i32 s9, s8, 31
	s_ashr_i32 s15, s14, 31
	;; [unrolled: 1-line block ×3, first 2 shown]
	s_lshl_b64 s[8:9], s[8:9], 2
	s_lshl_b64 s[20:21], s[14:15], 2
	;; [unrolled: 1-line block ×3, first 2 shown]
	s_add_u32 s4, s20, s8
	s_addc_u32 s8, s21, s9
	s_add_u32 s4, s4, s12
	s_addc_u32 s8, s8, s13
	v_add_co_u32 v3, vcc_lo, s4, v27
	v_add_co_ci_u32_e32 v4, vcc_lo, s8, v26, vcc_lo
	v_add_co_u32 v5, vcc_lo, s4, v25
	v_add_co_ci_u32_e32 v6, vcc_lo, s8, v24, vcc_lo
	flat_store_b32 v[3:4], v0
	flat_store_b32 v[5:6], v2
.LBB63_26:
	s_or_b32 exec_lo, exec_lo, s3
                                        ; implicit-def: $sgpr4
	s_and_saveexec_b32 s3, s1
	s_delay_alu instid0(SALU_CYCLE_1)
	s_xor_b32 s1, exec_lo, s3
; %bb.27:
	s_ashr_i32 s17, s16, 31
	s_mov_b32 s4, 0
                                        ; implicit-def: $vgpr0
                                        ; implicit-def: $vgpr47
                                        ; implicit-def: $vgpr16
                                        ; kill: killed $vgpr0
                                        ; implicit-def: $vgpr133
                                        ; implicit-def: $vgpr10
                                        ; implicit-def: $vgpr11
                                        ; implicit-def: $vgpr14
                                        ; implicit-def: $vgpr15
                                        ; implicit-def: $vgpr0
                                        ; kill: killed $vgpr0
                                        ; implicit-def: $vgpr17
                                        ; implicit-def: $vgpr148_vgpr149
; %bb.28:
	s_or_saveexec_b32 s3, s1
	v_dual_mov_b32 v0, s16 :: v_dual_mov_b32 v99, s4
	v_dual_mov_b32 v8, s4 :: v_dual_mov_b32 v1, s17
	;; [unrolled: 1-line block ×28, first 2 shown]
	v_mov_b32_e32 v117, s4
	v_mov_b32_e32 v115, s4
	;; [unrolled: 1-line block ×4, first 2 shown]
	s_clause 0x5
	scratch_store_b32 off, v8, s32 offset:720
	scratch_store_b32 off, v8, s32 offset:704
	;; [unrolled: 1-line block ×6, first 2 shown]
	s_xor_b32 exec_lo, exec_lo, s3
	s_cbranch_execz .LBB63_160
; %bb.29:
	v_dual_mov_b32 v113, 0 :: v_dual_lshlrev_b32 v2, 2, v12
	v_add_co_u32 v0, vcc_lo, v14, v148
	s_clause 0x2
	scratch_store_b32 off, v114, s32 offset:1240
	scratch_store_b32 off, v132, s32 offset:1236
	;; [unrolled: 1-line block ×3, first 2 shown]
	v_and_b32_e32 v3, 28, v2
	v_or_b32_e32 v25, 0xf80, v2
	scratch_store_b32 off, v0, s32 offset:960 ; 4-byte Folded Spill
	v_add_co_ci_u32_e32 v0, vcc_lo, v15, v149, vcc_lo
	s_ashr_i32 s17, s16, 31
	v_mov_b32_e32 v116, 0
	s_lshl_b64 s[8:9], s[16:17], 2
	scratch_store_b32 off, v0, s32 offset:964 ; 4-byte Folded Spill
	v_lshlrev_b64 v[0:1], 2, v[17:18]
	s_getpc_b64 s[12:13]
	s_add_u32 s12, s12, llvm.amdgcn.dynlds.offset.table@rel32@lo+4
	s_addc_u32 s13, s13, llvm.amdgcn.dynlds.offset.table@rel32@hi+12
	v_mov_b32_e32 v22, 0
	s_add_u32 s8, s8, s12
	s_addc_u32 s9, s9, s13
	v_mov_b32_e32 v118, 0
	v_add_co_u32 v0, vcc_lo, v10, v0
	scratch_store_b32 off, v3, s32 offset:968 ; 4-byte Folded Spill
	v_and_b32_e32 v3, 0x7c, v2
	v_or_b32_e32 v2, 0x1f80, v2
	scratch_store_b32 off, v0, s32 offset:972 ; 4-byte Folded Spill
	v_add_co_ci_u32_e32 v0, vcc_lo, v11, v1, vcc_lo
	v_or_b32_e32 v1, 0x480, v3
	v_or_b32_e32 v4, 0x500, v3
	;; [unrolled: 1-line block ×3, first 2 shown]
	scratch_store_b32 off, v0, s32 offset:976 ; 4-byte Folded Spill
	v_add_nc_u32_e32 v0, -1, v16
	v_or_b32_e32 v6, 0x600, v3
	v_or_b32_e32 v7, 0x680, v3
	v_or_b32_e32 v8, 0x700, v3
	v_mov_b32_e32 v115, 0
	scratch_store_b32 off, v0, s32 offset:980 ; 4-byte Folded Spill
	v_or_b32_e32 v0, 0x400, v3
	v_or_b32_e32 v9, 0x780, v3
	;; [unrolled: 1-line block ×3, first 2 shown]
	v_mov_b32_e32 v117, 0
	v_or_b32_e32 v11, 0x880, v3
	v_lshlrev_b32_e32 v0, 2, v0
	v_or_b32_e32 v12, 0x900, v3
	v_or_b32_e32 v13, 0x980, v3
	v_mov_b32_e32 v119, 0
	v_or_b32_e32 v14, 0xa00, v3
	scratch_store_b32 off, v0, s32 offset:988 ; 4-byte Folded Spill
	v_lshlrev_b32_e32 v0, 2, v1
	v_or_b32_e32 v15, 0xa80, v3
	v_mov_b32_e32 v129, 0
	v_or_b32_e32 v16, 0xb00, v3
	v_or_b32_e32 v17, 0xb80, v3
	scratch_store_b32 off, v0, s32 offset:992 ; 4-byte Folded Spill
	v_dual_mov_b32 v97, 0 :: v_dual_lshlrev_b32 v0, 2, v4
	v_or_b32_e32 v18, 0xc00, v3
	v_or_b32_e32 v19, 0xc80, v3
	v_or_b32_e32 v20, 0xd00, v3
	scratch_store_b32 off, v0, s32 offset:996 ; 4-byte Folded Spill
	v_dual_mov_b32 v5, 0 :: v_dual_lshlrev_b32 v0, 2, v5
	v_or_b32_e32 v21, 0xd80, v3
	;; [unrolled: 5-line block ×3, first 2 shown]
	v_or_b32_e32 v26, 0x1000, v3
	v_or_b32_e32 v27, 0x1080, v3
	scratch_store_b32 off, v0, s32 offset:1004 ; 4-byte Folded Spill
	v_lshlrev_b32_e32 v0, 2, v7
	v_or_b32_e32 v28, 0x1100, v3
	v_or_b32_e32 v29, 0x1180, v3
	;; [unrolled: 1-line block ×4, first 2 shown]
	scratch_store_b32 off, v0, s32 offset:1008 ; 4-byte Folded Spill
	v_lshlrev_b32_e32 v0, 2, v8
	v_or_b32_e32 v32, 0x1300, v3
	v_or_b32_e32 v33, 0x1380, v3
	;; [unrolled: 1-line block ×4, first 2 shown]
	scratch_store_b32 off, v0, s32 offset:1012 ; 4-byte Folded Spill
	v_dual_mov_b32 v7, 0 :: v_dual_lshlrev_b32 v0, 2, v9
	v_or_b32_e32 v36, 0x1500, v3
	v_or_b32_e32 v37, 0x1580, v3
	v_or_b32_e32 v38, 0x1600, v3
	scratch_store_b32 off, v0, s32 offset:1016 ; 4-byte Folded Spill
	v_lshlrev_b32_e32 v0, 2, v10
	v_or_b32_e32 v39, 0x1680, v3
	v_or_b32_e32 v48, 0x1700, v3
	v_or_b32_e32 v49, 0x1780, v3
	v_or_b32_e32 v50, 0x1800, v3
	scratch_store_b32 off, v0, s32 offset:1020 ; 4-byte Folded Spill
	v_lshlrev_b32_e32 v0, 2, v11
	v_or_b32_e32 v51, 0x1880, v3
	;; [unrolled: 6-line block ×5, first 2 shown]
	v_or_b32_e32 v80, 0x1f00, v3
	v_lshlrev_b32_e32 v3, 2, v3
	s_load_b32 s1, s[8:9], 0x0
	scratch_store_b32 off, v0, s32 offset:1036 ; 4-byte Folded Spill
	v_lshlrev_b32_e32 v0, 2, v15
	v_mov_b32_e32 v8, 0
	v_mov_b32_e32 v4, 0
	;; [unrolled: 1-line block ×4, first 2 shown]
	scratch_store_b32 off, v0, s32 offset:1040 ; 4-byte Folded Spill
	v_lshlrev_b32_e32 v0, 2, v16
	s_lshl_b32 s4, s18, 2
	scratch_store_b32 off, v0, s32 offset:1044 ; 4-byte Folded Spill
	v_lshlrev_b32_e32 v0, 2, v17
	scratch_store_b32 off, v0, s32 offset:1048 ; 4-byte Folded Spill
	v_lshlrev_b32_e32 v0, 2, v18
	s_waitcnt lgkmcnt(0)
	s_sub_i32 s8, s1, s4
	s_mov_b32 s4, 0
	scratch_store_b32 off, v0, s32 offset:1052 ; 4-byte Folded Spill
	v_lshlrev_b32_e32 v0, 2, v19
	scratch_store_b32 off, v0, s32 offset:1056 ; 4-byte Folded Spill
	v_lshlrev_b32_e32 v0, 2, v20
	scratch_store_b32 off, v0, s32 offset:1060 ; 4-byte Folded Spill
	v_dual_mov_b32 v21, 0 :: v_dual_lshlrev_b32 v0, 2, v21
	scratch_store_b32 off, v0, s32 offset:1064 ; 4-byte Folded Spill
	v_lshlrev_b32_e32 v0, 2, v81
	scratch_store_b32 off, v0, s32 offset:1068 ; 4-byte Folded Spill
	v_dual_mov_b32 v23, 0 :: v_dual_lshlrev_b32 v0, 2, v23
	scratch_store_b32 off, v0, s32 offset:1072 ; 4-byte Folded Spill
	v_lshlrev_b32_e32 v0, 2, v24
	scratch_store_b32 off, v0, s32 offset:1076 ; 4-byte Folded Spill
	v_lshlrev_b32_e32 v0, 2, v25
	;; [unrolled: 2-line block ×11, first 2 shown]
	v_mov_b32_e32 v34, 0
	scratch_store_b32 off, v0, s32 offset:1116 ; 4-byte Folded Spill
	v_dual_mov_b32 v35, 0 :: v_dual_lshlrev_b32 v0, 2, v35
	scratch_store_b32 off, v0, s32 offset:1120 ; 4-byte Folded Spill
	v_lshlrev_b32_e32 v0, 2, v36
	v_mov_b32_e32 v36, 0
	scratch_store_b32 off, v0, s32 offset:1124 ; 4-byte Folded Spill
	v_dual_mov_b32 v37, 0 :: v_dual_lshlrev_b32 v0, 2, v37
	scratch_store_b32 off, v0, s32 offset:1128 ; 4-byte Folded Spill
	v_lshlrev_b32_e32 v0, 2, v38
	;; [unrolled: 5-line block ×3, first 2 shown]
	v_mov_b32_e32 v48, 0
	scratch_store_b32 off, v0, s32 offset:1140 ; 4-byte Folded Spill
	v_lshlrev_b32_e32 v0, 2, v49
	scratch_store_b32 off, v0, s32 offset:1144 ; 4-byte Folded Spill
	v_lshlrev_b32_e32 v0, 2, v50
	;; [unrolled: 2-line block ×17, first 2 shown]
	v_mov_b32_e32 v2, 0
	scratch_store_b32 off, v0, s32 offset:1208 ; 4-byte Folded Spill
	v_mov_b32_e32 v0, 0
	scratch_store_b32 off, v0, s32 offset:728 ; 4-byte Folded Spill
	;; [unrolled: 2-line block ×39, first 2 shown]
	s_branch .LBB63_31
.LBB63_30:                              ;   in Loop: Header=BB63_31 Depth=1
	s_or_b32 exec_lo, exec_lo, s1
	s_waitcnt lgkmcnt(3)
	v_mul_f32_e32 v38, v1, v101
	s_waitcnt lgkmcnt(2)
	v_mul_f32_e32 v37, v1, v113
	v_mul_f32_e32 v9, v1, v9
	;; [unrolled: 1-line block ×3, first 2 shown]
	v_dual_mul_f32 v17, v1, v17 :: v_dual_fmac_f32 v38, v0, v100
	s_waitcnt lgkmcnt(1)
	v_dual_mul_f32 v36, v1, v117 :: v_dual_fmac_f32 v37, v0, v112
	v_fmac_f32_e32 v9, v0, v8
	v_fmac_f32_e32 v13, v0, v12
	;; [unrolled: 1-line block ×3, first 2 shown]
	s_delay_alu instid0(VALU_DEP_4) | instskip(NEXT) | instid1(VALU_DEP_4)
	v_dual_fmac_f32 v36, v0, v116 :: v_dual_fmac_f32 v37, v2, v114
	v_fmac_f32_e32 v9, v2, v10
	s_delay_alu instid0(VALU_DEP_4) | instskip(NEXT) | instid1(VALU_DEP_4)
	v_fmac_f32_e32 v13, v2, v14
	v_fmac_f32_e32 v17, v2, v18
	s_delay_alu instid0(VALU_DEP_4) | instskip(SKIP_3) | instid1(VALU_DEP_4)
	v_dual_fmac_f32 v36, v2, v118 :: v_dual_fmac_f32 v37, v3, v115
	v_mul_f32_e32 v25, v1, v25
	v_mul_f32_e32 v97, v1, v97
	;; [unrolled: 1-line block ×3, first 2 shown]
	v_dual_fmac_f32 v36, v3, v119 :: v_dual_mul_f32 v81, v1, v81
	s_delay_alu instid0(VALU_DEP_4) | instskip(NEXT) | instid1(VALU_DEP_4)
	v_fmac_f32_e32 v25, v0, v24
	v_fmac_f32_e32 v97, v0, v96
	s_delay_alu instid0(VALU_DEP_4) | instskip(NEXT) | instid1(VALU_DEP_4)
	v_dual_mul_f32 v85, v1, v85 :: v_dual_fmac_f32 v8, v0, v188
	v_add_f32_e32 v22, v22, v36
	s_delay_alu instid0(VALU_DEP_4) | instskip(NEXT) | instid1(VALU_DEP_4)
	v_fmac_f32_e32 v25, v2, v26
	v_fmac_f32_e32 v97, v2, v98
	s_delay_alu instid0(VALU_DEP_4) | instskip(SKIP_1) | instid1(VALU_DEP_3)
	v_dual_fmac_f32 v38, v2, v102 :: v_dual_fmac_f32 v85, v0, v84
	v_fmac_f32_e32 v8, v2, v190
	v_dual_mul_f32 v10, v1, v185 :: v_dual_fmac_f32 v97, v3, v99
	scratch_load_b128 v[98:101], off, s32 offset:624 ; 16-byte Folded Reload
	v_dual_fmac_f32 v38, v3, v103 :: v_dual_fmac_f32 v85, v2, v86
	v_dual_fmac_f32 v8, v3, v191 :: v_dual_mul_f32 v69, v1, v69
	v_fmac_f32_e32 v10, v0, v184
	v_fmac_f32_e32 v81, v0, v80
	s_delay_alu instid0(VALU_DEP_4) | instskip(NEXT) | instid1(VALU_DEP_3)
	v_dual_fmac_f32 v85, v3, v87 :: v_dual_mul_f32 v12, v1, v169
	v_dual_mul_f32 v65, v1, v65 :: v_dual_fmac_f32 v10, v2, v186
	s_delay_alu instid0(VALU_DEP_3) | instskip(NEXT) | instid1(VALU_DEP_3)
	v_dual_fmac_f32 v81, v2, v82 :: v_dual_mul_f32 v14, v1, v157
	v_fmac_f32_e32 v12, v0, v168
	s_delay_alu instid0(VALU_DEP_3) | instskip(NEXT) | instid1(VALU_DEP_3)
	v_dual_fmac_f32 v69, v0, v68 :: v_dual_fmac_f32 v10, v3, v187
	v_fmac_f32_e32 v81, v3, v83
	s_delay_alu instid0(VALU_DEP_4) | instskip(NEXT) | instid1(VALU_DEP_4)
	v_dual_mul_f32 v53, v1, v53 :: v_dual_fmac_f32 v14, v0, v156
	v_fmac_f32_e32 v12, v2, v170
	s_delay_alu instid0(VALU_DEP_4) | instskip(SKIP_1) | instid1(VALU_DEP_4)
	v_fmac_f32_e32 v69, v2, v70
	v_dual_fmac_f32 v65, v0, v64 :: v_dual_mul_f32 v16, v1, v141
	v_fmac_f32_e32 v14, v2, v158
	s_delay_alu instid0(VALU_DEP_4) | instskip(NEXT) | instid1(VALU_DEP_4)
	v_fmac_f32_e32 v12, v3, v171
	v_fmac_f32_e32 v69, v3, v71
	s_delay_alu instid0(VALU_DEP_4) | instskip(SKIP_2) | instid1(VALU_DEP_3)
	v_fmac_f32_e32 v65, v2, v66
	v_dual_mul_f32 v49, v1, v49 :: v_dual_fmac_f32 v16, v0, v140
	v_dual_fmac_f32 v14, v3, v159 :: v_dual_fmac_f32 v53, v0, v52
	v_dual_fmac_f32 v65, v3, v67 :: v_dual_mul_f32 v18, v1, v137
	s_delay_alu instid0(VALU_DEP_3) | instskip(NEXT) | instid1(VALU_DEP_3)
	v_dual_fmac_f32 v16, v2, v142 :: v_dual_mul_f32 v33, v1, v33
	v_dual_fmac_f32 v53, v2, v54 :: v_dual_mul_f32 v20, v1, v121
	s_delay_alu instid0(VALU_DEP_3) | instskip(NEXT) | instid1(VALU_DEP_3)
	v_fmac_f32_e32 v18, v0, v136
	v_dual_fmac_f32 v16, v3, v143 :: v_dual_fmac_f32 v49, v0, v48
	s_delay_alu instid0(VALU_DEP_3) | instskip(NEXT) | instid1(VALU_DEP_4)
	v_fmac_f32_e32 v53, v3, v55
	v_dual_mul_f32 v29, v1, v29 :: v_dual_fmac_f32 v20, v0, v120
	s_delay_alu instid0(VALU_DEP_4) | instskip(NEXT) | instid1(VALU_DEP_4)
	v_fmac_f32_e32 v18, v2, v138
	v_fmac_f32_e32 v49, v2, v50
	v_dual_fmac_f32 v33, v0, v32 :: v_dual_mul_f32 v24, v1, v93
	s_delay_alu instid0(VALU_DEP_4) | instskip(NEXT) | instid1(VALU_DEP_4)
	v_fmac_f32_e32 v20, v2, v122
	v_fmac_f32_e32 v18, v3, v139
	s_delay_alu instid0(VALU_DEP_4) | instskip(NEXT) | instid1(VALU_DEP_4)
	v_fmac_f32_e32 v49, v3, v51
	v_dual_fmac_f32 v33, v2, v34 :: v_dual_fmac_f32 v24, v0, v92
	s_delay_alu instid0(VALU_DEP_4) | instskip(NEXT) | instid1(VALU_DEP_2)
	v_dual_fmac_f32 v20, v3, v123 :: v_dual_fmac_f32 v29, v0, v28
	v_dual_mul_f32 v26, v1, v89 :: v_dual_fmac_f32 v33, v3, v35
	s_delay_alu instid0(VALU_DEP_3) | instskip(NEXT) | instid1(VALU_DEP_3)
	v_fmac_f32_e32 v24, v2, v94
	v_dual_mul_f32 v28, v1, v73 :: v_dual_fmac_f32 v29, v2, v30
	s_delay_alu instid0(VALU_DEP_3) | instskip(NEXT) | instid1(VALU_DEP_3)
	v_dual_fmac_f32 v26, v0, v88 :: v_dual_fmac_f32 v25, v3, v27
	v_fmac_f32_e32 v24, v3, v95
	s_delay_alu instid0(VALU_DEP_3) | instskip(NEXT) | instid1(VALU_DEP_3)
	v_dual_fmac_f32 v28, v0, v72 :: v_dual_fmac_f32 v29, v3, v31
	v_fmac_f32_e32 v26, v2, v90
	v_mul_f32_e32 v21, v1, v130
	v_mul_f32_e32 v30, v1, v61
	s_delay_alu instid0(VALU_DEP_4) | instskip(SKIP_1) | instid1(VALU_DEP_4)
	v_fmac_f32_e32 v28, v2, v74
	v_mul_f32_e32 v32, v1, v44
	v_dual_fmac_f32 v26, v3, v91 :: v_dual_fmac_f32 v21, v0, v129
	s_delay_alu instid0(VALU_DEP_4) | instskip(NEXT) | instid1(VALU_DEP_4)
	v_dual_fmac_f32 v30, v0, v60 :: v_dual_fmac_f32 v17, v3, v19
	v_fmac_f32_e32 v28, v3, v75
	s_delay_alu instid0(VALU_DEP_4) | instskip(NEXT) | instid1(VALU_DEP_4)
	v_fmac_f32_e32 v32, v0, v43
	v_fmac_f32_e32 v21, v2, v131
	v_dual_fmac_f32 v13, v3, v15 :: v_dual_mul_f32 v34, v1, v40
	v_fmac_f32_e32 v30, v2, v62
	v_mul_f32_e32 v48, v1, v165
	v_mul_f32_e32 v15, v1, v153
	v_fmac_f32_e32 v32, v2, v45
	v_fmac_f32_e32 v34, v0, v39
	;; [unrolled: 1-line block ×7, first 2 shown]
	v_dual_mul_f32 v11, v1, v173 :: v_dual_fmac_f32 v32, v3, v46
	v_mul_f32_e32 v50, v1, v161
	s_delay_alu instid0(VALU_DEP_4) | instskip(NEXT) | instid1(VALU_DEP_3)
	v_fmac_f32_e32 v48, v2, v166
	v_dual_fmac_f32 v34, v3, v42 :: v_dual_fmac_f32 v11, v0, v172
	s_delay_alu instid0(VALU_DEP_3) | instskip(NEXT) | instid1(VALU_DEP_3)
	v_dual_mul_f32 v19, v1, v125 :: v_dual_fmac_f32 v50, v0, v160
	v_dual_fmac_f32 v48, v3, v167 :: v_dual_fmac_f32 v15, v0, v152
	s_delay_alu instid0(VALU_DEP_3) | instskip(NEXT) | instid1(VALU_DEP_3)
	v_dual_fmac_f32 v11, v2, v174 :: v_dual_mul_f32 v52, v1, v145
	v_dual_fmac_f32 v50, v2, v162 :: v_dual_mul_f32 v103, v1, v109
	s_delay_alu instid0(VALU_DEP_3) | instskip(NEXT) | instid1(VALU_DEP_3)
	v_fmac_f32_e32 v15, v2, v154
	v_dual_fmac_f32 v11, v3, v175 :: v_dual_fmac_f32 v52, v0, v144
	s_delay_alu instid0(VALU_DEP_3) | instskip(NEXT) | instid1(VALU_DEP_3)
	v_dual_fmac_f32 v50, v3, v163 :: v_dual_fmac_f32 v19, v0, v124
	v_fmac_f32_e32 v15, v3, v155
	s_delay_alu instid0(VALU_DEP_3)
	v_dual_fmac_f32 v103, v0, v108 :: v_dual_fmac_f32 v52, v2, v146
	scratch_load_b32 v36, off, s32 offset:928 ; 4-byte Folded Reload
	v_fmac_f32_e32 v19, v2, v126
	s_clause 0x1
	scratch_load_b32 v129, off, s32 offset:900
	scratch_load_b32 v128, off, s32 offset:896
	v_fmac_f32_e32 v52, v3, v147
	s_clause 0x4
	scratch_load_b32 v119, off, s32 offset:892
	scratch_load_b128 v[112:115], off, s32 offset:368
	scratch_load_b32 v118, off, s32 offset:888
	scratch_load_b32 v117, off, s32 offset:884
	;; [unrolled: 1-line block ×3, first 2 shown]
	s_waitcnt vmcnt(8)
	v_dual_mul_f32 v54, v1, v99 :: v_dual_add_nc_u32 v133, 4, v133
	s_delay_alu instid0(VALU_DEP_1) | instskip(NEXT) | instid1(VALU_DEP_1)
	v_dual_fmac_f32 v19, v3, v127 :: v_dual_fmac_f32 v54, v0, v98
	v_dual_mul_f32 v23, v1, v105 :: v_dual_fmac_f32 v54, v2, v100
	s_delay_alu instid0(VALU_DEP_1)
	v_dual_fmac_f32 v103, v2, v110 :: v_dual_fmac_f32 v54, v3, v101
	scratch_load_b128 v[98:101], off, s32 offset:608 ; 16-byte Folded Reload
	s_waitcnt vmcnt(8)
	v_add_f32_e32 v36, v36, v34
	scratch_load_b32 v34, off, s32 offset:932 ; 4-byte Folded Reload
	s_waitcnt vmcnt(7)
	v_add_f32_e32 v128, v128, v33
	s_waitcnt vmcnt(4)
	v_add_f32_e32 v118, v118, v53
	s_waitcnt vmcnt(1)
	v_dual_add_f32 v116, v116, v69 :: v_dual_mul_f32 v55, v1, v99
	s_delay_alu instid0(VALU_DEP_1) | instskip(NEXT) | instid1(VALU_DEP_1)
	v_fmac_f32_e32 v55, v0, v98
	v_fmac_f32_e32 v55, v2, v100
	s_delay_alu instid0(VALU_DEP_1) | instskip(SKIP_3) | instid1(VALU_DEP_1)
	v_fmac_f32_e32 v55, v3, v101
	scratch_load_b128 v[98:101], off, s32 offset:592 ; 16-byte Folded Reload
	s_waitcnt vmcnt(0)
	v_dual_fmac_f32 v23, v0, v104 :: v_dual_mul_f32 v64, v1, v99
	v_dual_fmac_f32 v103, v3, v111 :: v_dual_fmac_f32 v64, v0, v98
	s_delay_alu instid0(VALU_DEP_1) | instskip(NEXT) | instid1(VALU_DEP_1)
	v_dual_mul_f32 v27, v1, v77 :: v_dual_fmac_f32 v64, v2, v100
	v_dual_fmac_f32 v23, v2, v106 :: v_dual_fmac_f32 v64, v3, v101
	scratch_load_b128 v[98:101], off, s32 offset:576 ; 16-byte Folded Reload
	s_waitcnt vmcnt(0)
	v_dual_fmac_f32 v27, v0, v76 :: v_dual_mul_f32 v66, v1, v99
	s_delay_alu instid0(VALU_DEP_1) | instskip(NEXT) | instid1(VALU_DEP_1)
	v_dual_fmac_f32 v23, v3, v107 :: v_dual_fmac_f32 v66, v0, v98
	v_dual_mul_f32 v31, v1, v57 :: v_dual_fmac_f32 v66, v2, v100
	s_delay_alu instid0(VALU_DEP_1) | instskip(SKIP_3) | instid1(VALU_DEP_1)
	v_dual_fmac_f32 v27, v2, v78 :: v_dual_fmac_f32 v66, v3, v101
	scratch_load_b128 v[98:101], off, s32 offset:560 ; 16-byte Folded Reload
	s_waitcnt vmcnt(0)
	v_mul_f32_e32 v67, v1, v99
	v_fmac_f32_e32 v67, v0, v98
	s_delay_alu instid0(VALU_DEP_1) | instskip(NEXT) | instid1(VALU_DEP_1)
	v_fmac_f32_e32 v67, v2, v100
	v_fmac_f32_e32 v67, v3, v101
	scratch_load_b128 v[98:101], off, s32 offset:544 ; 16-byte Folded Reload
	s_waitcnt vmcnt(0)
	v_dual_fmac_f32 v31, v0, v56 :: v_dual_mul_f32 v68, v1, v99
	s_delay_alu instid0(VALU_DEP_1) | instskip(NEXT) | instid1(VALU_DEP_1)
	v_dual_fmac_f32 v27, v3, v79 :: v_dual_fmac_f32 v68, v0, v98
	v_dual_mul_f32 v35, v1, v181 :: v_dual_fmac_f32 v68, v2, v100
	s_delay_alu instid0(VALU_DEP_1) | instskip(SKIP_3) | instid1(VALU_DEP_1)
	v_dual_fmac_f32 v31, v2, v58 :: v_dual_fmac_f32 v68, v3, v101
	scratch_load_b128 v[98:101], off, s32 offset:528 ; 16-byte Folded Reload
	s_waitcnt vmcnt(0)
	v_dual_fmac_f32 v35, v0, v180 :: v_dual_mul_f32 v70, v1, v99
	v_dual_fmac_f32 v31, v3, v59 :: v_dual_fmac_f32 v70, v0, v98
	s_delay_alu instid0(VALU_DEP_1) | instskip(NEXT) | instid1(VALU_DEP_1)
	v_dual_mul_f32 v39, v1, v177 :: v_dual_fmac_f32 v70, v2, v100
	v_dual_fmac_f32 v35, v2, v182 :: v_dual_fmac_f32 v70, v3, v101
	scratch_load_b128 v[98:101], off, s32 offset:512 ; 16-byte Folded Reload
	s_waitcnt vmcnt(0)
	v_mul_f32_e32 v71, v1, v99
	s_delay_alu instid0(VALU_DEP_1) | instskip(NEXT) | instid1(VALU_DEP_1)
	v_fmac_f32_e32 v71, v0, v98
	v_fmac_f32_e32 v71, v2, v100
	s_delay_alu instid0(VALU_DEP_1) | instskip(SKIP_3) | instid1(VALU_DEP_1)
	v_fmac_f32_e32 v71, v3, v101
	scratch_load_b128 v[98:101], off, s32 offset:496 ; 16-byte Folded Reload
	s_waitcnt vmcnt(0)
	v_dual_fmac_f32 v39, v0, v176 :: v_dual_mul_f32 v80, v1, v99
	v_dual_fmac_f32 v35, v3, v183 :: v_dual_fmac_f32 v80, v0, v98
	s_delay_alu instid0(VALU_DEP_1) | instskip(NEXT) | instid1(VALU_DEP_1)
	v_dual_mul_f32 v51, v1, v149 :: v_dual_fmac_f32 v80, v2, v100
	v_dual_fmac_f32 v39, v2, v178 :: v_dual_fmac_f32 v80, v3, v101
	scratch_load_b128 v[98:101], off, s32 offset:480 ; 16-byte Folded Reload
	s_waitcnt vmcnt(0)
	v_dual_fmac_f32 v51, v0, v148 :: v_dual_mul_f32 v82, v1, v99
	s_delay_alu instid0(VALU_DEP_1) | instskip(NEXT) | instid1(VALU_DEP_1)
	v_dual_fmac_f32 v39, v3, v179 :: v_dual_fmac_f32 v82, v0, v98
	v_fmac_f32_e32 v82, v2, v100
	s_delay_alu instid0(VALU_DEP_1) | instskip(SKIP_3) | instid1(VALU_DEP_1)
	v_dual_fmac_f32 v51, v2, v150 :: v_dual_fmac_f32 v82, v3, v101
	scratch_load_b128 v[98:101], off, s32 offset:464 ; 16-byte Folded Reload
	s_waitcnt vmcnt(0)
	v_mul_f32_e32 v83, v1, v99
	v_fmac_f32_e32 v83, v0, v98
	s_delay_alu instid0(VALU_DEP_1) | instskip(NEXT) | instid1(VALU_DEP_1)
	v_fmac_f32_e32 v83, v2, v100
	v_fmac_f32_e32 v83, v3, v101
	scratch_load_b128 v[98:101], off, s32 offset:448 ; 16-byte Folded Reload
	s_waitcnt vmcnt(0)
	v_mul_f32_e32 v84, v1, v99
	s_delay_alu instid0(VALU_DEP_1) | instskip(NEXT) | instid1(VALU_DEP_1)
	v_dual_fmac_f32 v51, v3, v151 :: v_dual_fmac_f32 v84, v0, v98
	v_add_f32_e32 v34, v34, v51
	s_delay_alu instid0(VALU_DEP_2) | instskip(NEXT) | instid1(VALU_DEP_1)
	v_fmac_f32_e32 v84, v2, v100
	v_fmac_f32_e32 v84, v3, v101
	scratch_load_b128 v[98:101], off, s32 offset:432 ; 16-byte Folded Reload
	s_waitcnt vmcnt(0)
	v_mul_f32_e32 v86, v1, v99
	s_delay_alu instid0(VALU_DEP_1) | instskip(NEXT) | instid1(VALU_DEP_1)
	v_fmac_f32_e32 v86, v0, v98
	v_fmac_f32_e32 v86, v2, v100
	s_delay_alu instid0(VALU_DEP_1) | instskip(SKIP_3) | instid1(VALU_DEP_1)
	v_fmac_f32_e32 v86, v3, v101
	scratch_load_b128 v[98:101], off, s32 offset:416 ; 16-byte Folded Reload
	s_waitcnt vmcnt(0)
	v_mul_f32_e32 v87, v1, v99
	v_fmac_f32_e32 v87, v0, v98
	s_delay_alu instid0(VALU_DEP_1) | instskip(NEXT) | instid1(VALU_DEP_1)
	v_fmac_f32_e32 v87, v2, v100
	v_fmac_f32_e32 v87, v3, v101
	scratch_load_b128 v[98:101], off, s32 offset:400 ; 16-byte Folded Reload
	s_waitcnt vmcnt(0)
	v_mul_f32_e32 v96, v1, v99
	s_delay_alu instid0(VALU_DEP_1) | instskip(NEXT) | instid1(VALU_DEP_1)
	v_fmac_f32_e32 v96, v0, v98
	v_fmac_f32_e32 v96, v2, v100
	s_delay_alu instid0(VALU_DEP_1) | instskip(SKIP_3) | instid1(VALU_DEP_1)
	v_fmac_f32_e32 v96, v3, v101
	scratch_load_b128 v[99:102], off, s32 offset:384 ; 16-byte Folded Reload
	s_waitcnt vmcnt(0)
	v_mul_f32_e32 v98, v1, v100
	v_dual_fmac_f32 v98, v0, v99 :: v_dual_mul_f32 v99, v1, v113
	s_delay_alu instid0(VALU_DEP_1) | instskip(NEXT) | instid1(VALU_DEP_1)
	v_dual_fmac_f32 v98, v2, v101 :: v_dual_fmac_f32 v99, v0, v112
	v_fmac_f32_e32 v98, v3, v102
	s_delay_alu instid0(VALU_DEP_2) | instskip(NEXT) | instid1(VALU_DEP_1)
	v_fmac_f32_e32 v99, v2, v114
	v_fmac_f32_e32 v99, v3, v115
	scratch_load_b128 v[112:115], off, s32 offset:352 ; 16-byte Folded Reload
	s_waitcnt vmcnt(0)
	v_mul_f32_e32 v100, v1, v113
	s_delay_alu instid0(VALU_DEP_1) | instskip(NEXT) | instid1(VALU_DEP_1)
	v_fmac_f32_e32 v100, v0, v112
	v_fmac_f32_e32 v100, v2, v114
	s_delay_alu instid0(VALU_DEP_1) | instskip(SKIP_3) | instid1(VALU_DEP_1)
	v_fmac_f32_e32 v100, v3, v115
	scratch_load_b128 v[112:115], off, s32 offset:336 ; 16-byte Folded Reload
	s_waitcnt vmcnt(0)
	v_mul_f32_e32 v101, v1, v113
	v_fmac_f32_e32 v101, v0, v112
	s_delay_alu instid0(VALU_DEP_1) | instskip(NEXT) | instid1(VALU_DEP_1)
	v_fmac_f32_e32 v101, v2, v114
	v_fmac_f32_e32 v101, v3, v115
	scratch_load_b128 v[112:115], off, s32 offset:320 ; 16-byte Folded Reload
	s_waitcnt vmcnt(0)
	v_mul_f32_e32 v102, v1, v113
	s_waitcnt lgkmcnt(0)
	v_mul_f32_e32 v1, v1, v5
	s_clause 0x1
	scratch_load_b32 v113, off, s32 offset:860
	scratch_load_b32 v5, off, s32 offset:908
	v_fmac_f32_e32 v102, v0, v112
	v_fmac_f32_e32 v1, v0, v4
	s_clause 0x1
	scratch_load_b32 v0, off, s32 offset:728
	scratch_load_b32 v4, off, s32 offset:872
	v_fmac_f32_e32 v102, v2, v114
	v_fmac_f32_e32 v1, v2, v6
	;; [unrolled: 5-line block ×3, first 2 shown]
	s_clause 0x2
	scratch_load_b32 v7, off, s32 offset:948
	scratch_load_b32 v3, off, s32 offset:868
	;; [unrolled: 1-line block ×3, first 2 shown]
	s_waitcnt vmcnt(6)
	v_add_f32_e32 v0, v0, v13
	scratch_store_b32 off, v0, s32 offset:728 ; 4-byte Folded Spill
	scratch_load_b32 v0, off, s32 offset:732 ; 4-byte Folded Reload
	s_waitcnt vmcnt(3)
	v_dual_add_f32 v6, v6, v14 :: v_dual_add_f32 v7, v7, v64
	s_waitcnt vmcnt(0)
	v_add_f32_e32 v0, v0, v9
	scratch_store_b32 off, v0, s32 offset:732 ; 4-byte Folded Spill
	scratch_load_b32 v0, off, s32 offset:736 ; 4-byte Folded Reload
	s_waitcnt vmcnt(0)
	v_add_f32_e32 v0, v0, v8
	scratch_load_b32 v8, off, s32 offset:952 ; 4-byte Folded Reload
	scratch_store_b32 off, v0, s32 offset:736 ; 4-byte Folded Spill
	scratch_load_b32 v0, off, s32 offset:740 ; 4-byte Folded Reload
	v_add_f32_e32 v117, v117, v65
	s_waitcnt vmcnt(1)
	v_add_f32_e32 v8, v8, v1
	s_waitcnt vmcnt(0)
	v_add_f32_e32 v0, v0, v10
	scratch_store_b32 off, v0, s32 offset:740 ; 4-byte Folded Spill
	scratch_load_b32 v0, off, s32 offset:744 ; 4-byte Folded Reload
	s_waitcnt vmcnt(0)
	v_dual_add_f32 v119, v119, v49 :: v_dual_add_f32 v0, v0, v11
	scratch_store_b32 off, v0, s32 offset:744 ; 4-byte Folded Spill
	scratch_load_b32 v0, off, s32 offset:748 ; 4-byte Folded Reload
	s_waitcnt vmcnt(0)
	v_dual_add_f32 v129, v129, v29 :: v_dual_add_f32 v0, v0, v12
	scratch_store_b32 off, v0, s32 offset:748 ; 4-byte Folded Spill
	scratch_load_b32 v0, off, s32 offset:752 ; 4-byte Folded Reload
	s_waitcnt vmcnt(0)
	v_add_f32_e32 v0, v0, v15
	scratch_store_b32 off, v0, s32 offset:752 ; 4-byte Folded Spill
	scratch_load_b32 v0, off, s32 offset:756 ; 4-byte Folded Reload
	s_waitcnt vmcnt(0)
	v_add_f32_e32 v0, v0, v16
	;; [unrolled: 4-line block ×6, first 2 shown]
	scratch_store_b32 off, v0, s32 offset:780 ; 4-byte Folded Spill
	scratch_load_b32 v0, off, s32 offset:784 ; 4-byte Folded Reload
	s_waitcnt vmcnt(0)
	v_dual_add_f32 v0, v0, v23 :: v_dual_mov_b32 v23, v134
	scratch_store_b32 off, v0, s32 offset:784 ; 4-byte Folded Spill
	scratch_load_b32 v0, off, s32 offset:788 ; 4-byte Folded Reload
	s_waitcnt vmcnt(0)
	v_dual_add_f32 v23, v23, v66 :: v_dual_add_f32 v0, v0, v24
	scratch_store_b32 off, v0, s32 offset:788 ; 4-byte Folded Spill
	scratch_load_b32 v0, off, s32 offset:792 ; 4-byte Folded Reload
	s_waitcnt vmcnt(0)
	v_add_f32_e32 v0, v0, v26
	scratch_store_b32 off, v0, s32 offset:792 ; 4-byte Folded Spill
	scratch_load_b32 v0, off, s32 offset:796 ; 4-byte Folded Reload
	s_waitcnt vmcnt(0)
	v_add_f32_e32 v0, v0, v27
	scratch_store_b32 off, v0, s32 offset:796 ; 4-byte Folded Spill
	scratch_load_b32 v0, off, s32 offset:800 ; 4-byte Folded Reload
	s_waitcnt vmcnt(0)
	v_add_f32_e32 v0, v0, v28
	scratch_store_b32 off, v0, s32 offset:800 ; 4-byte Folded Spill
	scratch_load_b32 v0, off, s32 offset:804 ; 4-byte Folded Reload
	s_waitcnt vmcnt(0)
	v_add_f32_e32 v0, v0, v30
	scratch_store_b32 off, v0, s32 offset:804 ; 4-byte Folded Spill
	scratch_load_b32 v0, off, s32 offset:808 ; 4-byte Folded Reload
	s_waitcnt vmcnt(0)
	v_add_f32_e32 v0, v0, v35
	scratch_load_b32 v35, off, s32 offset:936 ; 4-byte Folded Reload
	scratch_store_b32 off, v0, s32 offset:808 ; 4-byte Folded Spill
	scratch_load_b32 v0, off, s32 offset:812 ; 4-byte Folded Reload
	s_waitcnt vmcnt(0)
	v_dual_add_f32 v35, v35, v52 :: v_dual_add_f32 v0, v0, v39
	scratch_load_b32 v39, off, s32 offset:940 ; 4-byte Folded Reload
	scratch_store_b32 off, v0, s32 offset:812 ; 4-byte Folded Spill
	scratch_load_b32 v0, off, s32 offset:816 ; 4-byte Folded Reload
	s_waitcnt vmcnt(0)
	v_dual_add_f32 v39, v39, v54 :: v_dual_add_f32 v0, v0, v48
	scratch_load_b32 v48, off, s32 offset:944 ; 4-byte Folded Reload
	scratch_store_b32 off, v0, s32 offset:816 ; 4-byte Folded Spill
	scratch_load_b32 v0, off, s32 offset:820 ; 4-byte Folded Reload
	s_waitcnt vmcnt(1)
	v_add_f32_e32 v48, v48, v55
	s_waitcnt vmcnt(0)
	v_add_f32_e32 v0, v0, v50
	scratch_store_b32 off, v0, s32 offset:820 ; 4-byte Folded Spill
	scratch_load_b32 v0, off, s32 offset:824 ; 4-byte Folded Reload
	s_waitcnt vmcnt(0)
	v_add_f32_e32 v0, v0, v68
	scratch_store_b32 off, v0, s32 offset:824 ; 4-byte Folded Spill
	scratch_load_b32 v0, off, s32 offset:828 ; 4-byte Folded Reload
	;; [unrolled: 4-line block ×10, first 2 shown]
	v_add_f32_e32 v113, v113, v37
	scratch_load_b32 v37, off, s32 offset:924 ; 4-byte Folded Reload
	s_waitcnt vmcnt(1)
	v_add_f32_e32 v0, v0, v96
	s_waitcnt vmcnt(0)
	v_add_f32_e32 v37, v37, v32
	scratch_store_b32 off, v0, s32 offset:640 ; 4-byte Folded Spill
	scratch_load_b32 v0, off, s32 offset:656 ; 4-byte Folded Reload
	v_add_f32_e32 v2, v2, v38
	scratch_load_b32 v38, off, s32 offset:920 ; 4-byte Folded Reload
	s_waitcnt vmcnt(1)
	v_add_f32_e32 v0, v0, v98
	s_waitcnt vmcnt(0)
	v_add_f32_e32 v38, v38, v31
	scratch_store_b32 off, v0, s32 offset:656 ; 4-byte Folded Spill
	scratch_load_b32 v0, off, s32 offset:672 ; 4-byte Folded Reload
	v_add_f32_e32 v3, v3, v97
	scratch_load_b32 v97, off, s32 offset:904 ; 4-byte Folded Reload
	s_waitcnt vmcnt(1)
	v_add_f32_e32 v0, v0, v99
	scratch_store_b32 off, v0, s32 offset:672 ; 4-byte Folded Spill
	scratch_load_b32 v0, off, s32 offset:704 ; 4-byte Folded Reload
	s_waitcnt vmcnt(0)
	v_dual_add_f32 v115, v115, v81 :: v_dual_add_f32 v0, v0, v100
	scratch_store_b32 off, v0, s32 offset:704 ; 4-byte Folded Spill
	scratch_load_b32 v0, off, s32 offset:720 ; 4-byte Folded Reload
	v_add_f32_e32 v97, v97, v25
	s_waitcnt vmcnt(0)
	v_add_f32_e32 v0, v0, v101
	scratch_store_b32 off, v0, s32 offset:720 ; 4-byte Folded Spill
	scratch_load_b32 v0, off, s32 offset:688 ; 4-byte Folded Reload
	v_add_f32_e32 v4, v4, v85
	scratch_load_b32 v85, off, s32 offset:912 ; 4-byte Folded Reload
	s_waitcnt vmcnt(0)
	v_dual_add_f32 v0, v0, v102 :: v_dual_add_f32 v85, v85, v17
	scratch_store_b32 off, v0, s32 offset:688 ; 4-byte Folded Spill
	scratch_load_b32 v0, off, s32 offset:724 ; 4-byte Folded Reload
	v_add_f32_e32 v5, v5, v21
	v_mov_b32_e32 v21, v135
	s_delay_alu instid0(VALU_DEP_1) | instskip(SKIP_3) | instid1(SALU_CYCLE_1)
	v_add_f32_e32 v21, v21, v67
	s_waitcnt vmcnt(0)
	v_cmp_ge_i32_e32 vcc_lo, v133, v0
	s_or_b32 s4, vcc_lo, s4
	s_and_not1_b32 exec_lo, exec_lo, s4
	s_cbranch_execz .LBB63_159
.LBB63_31:                              ; =>This Inner Loop Header: Depth=1
	s_clause 0x16
	scratch_store_b32 off, v7, s32 offset:948
	scratch_store_b32 off, v48, s32 offset:944
	scratch_store_b32 off, v39, s32 offset:940
	scratch_store_b32 off, v35, s32 offset:936
	scratch_store_b32 off, v34, s32 offset:932
	scratch_store_b32 off, v36, s32 offset:928
	scratch_store_b32 off, v37, s32 offset:924
	scratch_store_b32 off, v38, s32 offset:920
	scratch_store_b32 off, v6, s32 offset:916
	scratch_store_b32 off, v85, s32 offset:912
	scratch_store_b32 off, v5, s32 offset:908
	scratch_store_b32 off, v97, s32 offset:904
	scratch_store_b32 off, v129, s32 offset:900
	scratch_store_b32 off, v128, s32 offset:896
	scratch_store_b32 off, v119, s32 offset:892
	scratch_store_b32 off, v118, s32 offset:888
	scratch_store_b32 off, v117, s32 offset:884
	scratch_store_b32 off, v116, s32 offset:880
	scratch_store_b32 off, v115, s32 offset:876
	scratch_store_b32 off, v4, s32 offset:872
	scratch_store_b32 off, v3, s32 offset:868
	scratch_store_b32 off, v2, s32 offset:864
	scratch_store_b32 off, v113, s32 offset:860
	scratch_load_b32 v2, off, s32 offset:960 ; 4-byte Folded Reload
	v_ashrrev_i32_e32 v134, 31, v133
	s_delay_alu instid0(VALU_DEP_1) | instskip(SKIP_1) | instid1(VALU_DEP_1)
	v_lshlrev_b64 v[0:1], 2, v[133:134]
	s_waitcnt vmcnt(0)
	v_add_co_u32 v0, vcc_lo, v2, v0
	scratch_load_b32 v2, off, s32 offset:964 ; 4-byte Folded Reload
	s_waitcnt vmcnt(0)
	v_add_co_ci_u32_e32 v1, vcc_lo, v2, v1, vcc_lo
	flat_load_b32 v2, v[0:1]
	s_clause 0x1
	scratch_load_b32 v3, off, s32 offset:956
	scratch_load_b32 v9, off, s32 offset:980
	s_waitcnt vmcnt(1) lgkmcnt(0)
	v_mad_i64_i32 v[0:1], null, v2, v3, 0
	scratch_load_b32 v2, off, s32 offset:972 ; 4-byte Folded Reload
	v_lshlrev_b64 v[0:1], 2, v[0:1]
	s_waitcnt vmcnt(0)
	s_delay_alu instid0(VALU_DEP_1)
	v_add_co_u32 v6, vcc_lo, v2, v0
	scratch_load_b32 v0, off, s32 offset:976 ; 4-byte Folded Reload
	s_waitcnt vmcnt(0)
	v_add_co_ci_u32_e32 v7, vcc_lo, v0, v1, vcc_lo
	scratch_load_b32 v0, off, s32 offset:984 ; 4-byte Folded Reload
	s_waitcnt vmcnt(0)
	v_add_co_u32 v4, vcc_lo, v6, v0
	v_add_co_ci_u32_e32 v5, vcc_lo, 0, v7, vcc_lo
	v_cmp_eq_u32_e32 vcc_lo, v133, v9
	flat_load_b128 v[0:3], v[4:5]
	s_waitcnt vmcnt(0) lgkmcnt(0)
	scratch_store_b128 off, v[0:3], s32 offset:320 ; 16-byte Folded Spill
	scratch_load_b32 v0, off, s32 offset:968 ; 4-byte Folded Reload
	s_waitcnt vmcnt(0)
	v_lshl_or_b32 v37, v133, 5, v0
	s_delay_alu instid0(VALU_DEP_1)
	v_lshl_add_u32 v0, v37, 2, s8
	v_or_b32_e32 v128, 1, v37
	v_or_b32_e32 v38, 2, v37
	;; [unrolled: 1-line block ×3, first 2 shown]
	ds_load_b128 v[0:3], v0
	s_and_saveexec_b32 s9, vcc_lo
	s_cbranch_execz .LBB63_33
; %bb.32:                               ;   in Loop: Header=BB63_31 Depth=1
	scratch_load_b128 v[9:12], off, s32 offset:320 ; 16-byte Folded Reload
	v_cmp_lt_i32_e64 s1, v37, v47
	s_waitcnt vmcnt(0)
	s_delay_alu instid0(VALU_DEP_1) | instskip(SKIP_1) | instid1(VALU_DEP_1)
	v_cndmask_b32_e64 v9, 0, v9, s1
	v_cmp_lt_i32_e64 s1, v128, v47
	v_cndmask_b32_e64 v10, 0, v10, s1
	v_cmp_lt_i32_e64 s1, v38, v47
	s_delay_alu instid0(VALU_DEP_1) | instskip(SKIP_1) | instid1(VALU_DEP_1)
	v_cndmask_b32_e64 v11, 0, v11, s1
	v_cmp_lt_i32_e64 s1, v36, v47
	v_cndmask_b32_e64 v12, 0, v12, s1
	scratch_store_b128 off, v[9:12], s32 offset:320 ; 16-byte Folded Spill
.LBB63_33:                              ;   in Loop: Header=BB63_31 Depth=1
	s_or_b32 exec_lo, exec_lo, s9
	flat_load_b128 v[9:12], v[4:5] offset:512
	s_waitcnt vmcnt(0) lgkmcnt(0)
	scratch_store_b128 off, v[9:12], s32 offset:336 ; 16-byte Folded Spill
	s_and_saveexec_b32 s9, vcc_lo
	s_cbranch_execz .LBB63_35
; %bb.34:                               ;   in Loop: Header=BB63_31 Depth=1
	scratch_load_b128 v[9:12], off, s32 offset:336 ; 16-byte Folded Reload
	v_cmp_lt_i32_e64 s1, v37, v47
	s_waitcnt vmcnt(0)
	s_delay_alu instid0(VALU_DEP_1) | instskip(SKIP_1) | instid1(VALU_DEP_1)
	v_cndmask_b32_e64 v9, 0, v9, s1
	v_cmp_lt_i32_e64 s1, v128, v47
	v_cndmask_b32_e64 v10, 0, v10, s1
	v_cmp_lt_i32_e64 s1, v38, v47
	s_delay_alu instid0(VALU_DEP_1) | instskip(SKIP_1) | instid1(VALU_DEP_1)
	v_cndmask_b32_e64 v11, 0, v11, s1
	v_cmp_lt_i32_e64 s1, v36, v47
	v_cndmask_b32_e64 v12, 0, v12, s1
	scratch_store_b128 off, v[9:12], s32 offset:336 ; 16-byte Folded Spill
.LBB63_35:                              ;   in Loop: Header=BB63_31 Depth=1
	s_or_b32 exec_lo, exec_lo, s9
	flat_load_b128 v[9:12], v[4:5] offset:1024
	s_waitcnt vmcnt(0) lgkmcnt(0)
	scratch_store_b128 off, v[9:12], s32 offset:352 ; 16-byte Folded Spill
	s_mov_b32 s9, exec_lo
	v_mov_b32_e32 v20, v8
	s_and_b32 s1, s9, vcc_lo
	s_delay_alu instid0(SALU_CYCLE_1)
	s_mov_b32 exec_lo, s1
	s_cbranch_execz .LBB63_37
; %bb.36:                               ;   in Loop: Header=BB63_31 Depth=1
	scratch_load_b128 v[8:11], off, s32 offset:352 ; 16-byte Folded Reload
	v_cmp_lt_i32_e64 s1, v37, v47
	s_waitcnt vmcnt(0)
	s_delay_alu instid0(VALU_DEP_1) | instskip(SKIP_1) | instid1(VALU_DEP_1)
	v_cndmask_b32_e64 v8, 0, v8, s1
	v_cmp_lt_i32_e64 s1, v128, v47
	v_cndmask_b32_e64 v9, 0, v9, s1
	v_cmp_lt_i32_e64 s1, v38, v47
	s_delay_alu instid0(VALU_DEP_1) | instskip(SKIP_1) | instid1(VALU_DEP_1)
	v_cndmask_b32_e64 v10, 0, v10, s1
	v_cmp_lt_i32_e64 s1, v36, v47
	v_cndmask_b32_e64 v11, 0, v11, s1
	scratch_store_b128 off, v[8:11], s32 offset:352 ; 16-byte Folded Spill
.LBB63_37:                              ;   in Loop: Header=BB63_31 Depth=1
	s_or_b32 exec_lo, exec_lo, s9
	flat_load_b128 v[8:11], v[4:5] offset:1536
	s_waitcnt vmcnt(0) lgkmcnt(0)
	scratch_store_b128 off, v[8:11], s32 offset:368 ; 16-byte Folded Spill
	s_and_saveexec_b32 s9, vcc_lo
	s_cbranch_execz .LBB63_39
; %bb.38:                               ;   in Loop: Header=BB63_31 Depth=1
	scratch_load_b128 v[8:11], off, s32 offset:368 ; 16-byte Folded Reload
	v_cmp_lt_i32_e64 s1, v37, v47
	s_waitcnt vmcnt(0)
	s_delay_alu instid0(VALU_DEP_1) | instskip(SKIP_1) | instid1(VALU_DEP_1)
	v_cndmask_b32_e64 v8, 0, v8, s1
	v_cmp_lt_i32_e64 s1, v128, v47
	v_cndmask_b32_e64 v9, 0, v9, s1
	v_cmp_lt_i32_e64 s1, v38, v47
	s_delay_alu instid0(VALU_DEP_1) | instskip(SKIP_1) | instid1(VALU_DEP_1)
	v_cndmask_b32_e64 v10, 0, v10, s1
	v_cmp_lt_i32_e64 s1, v36, v47
	v_cndmask_b32_e64 v11, 0, v11, s1
	scratch_store_b128 off, v[8:11], s32 offset:368 ; 16-byte Folded Spill
.LBB63_39:                              ;   in Loop: Header=BB63_31 Depth=1
	s_or_b32 exec_lo, exec_lo, s9
	flat_load_b128 v[8:11], v[4:5] offset:2048
	s_waitcnt vmcnt(0) lgkmcnt(0)
	scratch_store_b128 off, v[8:11], s32 offset:384 ; 16-byte Folded Spill
	s_and_saveexec_b32 s9, vcc_lo
	;; [unrolled: 21-line block ×5, first 2 shown]
	s_cbranch_execz .LBB63_47
; %bb.46:                               ;   in Loop: Header=BB63_31 Depth=1
	scratch_load_b128 v[8:11], off, s32 offset:432 ; 16-byte Folded Reload
	v_cmp_lt_i32_e64 s1, v37, v47
	s_waitcnt vmcnt(0)
	s_delay_alu instid0(VALU_DEP_1) | instskip(SKIP_1) | instid1(VALU_DEP_1)
	v_cndmask_b32_e64 v8, 0, v8, s1
	v_cmp_lt_i32_e64 s1, v128, v47
	v_cndmask_b32_e64 v9, 0, v9, s1
	v_cmp_lt_i32_e64 s1, v38, v47
	s_delay_alu instid0(VALU_DEP_1) | instskip(SKIP_1) | instid1(VALU_DEP_1)
	v_cndmask_b32_e64 v10, 0, v10, s1
	v_cmp_lt_i32_e64 s1, v36, v47
	v_cndmask_b32_e64 v11, 0, v11, s1
	scratch_store_b128 off, v[8:11], s32 offset:432 ; 16-byte Folded Spill
.LBB63_47:                              ;   in Loop: Header=BB63_31 Depth=1
	s_or_b32 exec_lo, exec_lo, s9
	scratch_load_b32 v4, off, s32 offset:988 ; 4-byte Folded Reload
	s_waitcnt vmcnt(0)
	v_add_co_u32 v4, s1, v6, v4
	s_delay_alu instid0(VALU_DEP_1)
	v_add_co_ci_u32_e64 v5, s1, 0, v7, s1
	flat_load_b128 v[8:11], v[4:5]
	s_waitcnt vmcnt(0) lgkmcnt(0)
	scratch_store_b128 off, v[8:11], s32 offset:448 ; 16-byte Folded Spill
	s_and_saveexec_b32 s9, vcc_lo
	s_cbranch_execz .LBB63_49
; %bb.48:                               ;   in Loop: Header=BB63_31 Depth=1
	scratch_load_b128 v[8:11], off, s32 offset:448 ; 16-byte Folded Reload
	v_cmp_lt_i32_e64 s1, v37, v47
	s_waitcnt vmcnt(0)
	s_delay_alu instid0(VALU_DEP_1) | instskip(SKIP_1) | instid1(VALU_DEP_1)
	v_cndmask_b32_e64 v8, 0, v8, s1
	v_cmp_lt_i32_e64 s1, v128, v47
	v_cndmask_b32_e64 v9, 0, v9, s1
	v_cmp_lt_i32_e64 s1, v38, v47
	s_delay_alu instid0(VALU_DEP_1) | instskip(SKIP_1) | instid1(VALU_DEP_1)
	v_cndmask_b32_e64 v10, 0, v10, s1
	v_cmp_lt_i32_e64 s1, v36, v47
	v_cndmask_b32_e64 v11, 0, v11, s1
	scratch_store_b128 off, v[8:11], s32 offset:448 ; 16-byte Folded Spill
.LBB63_49:                              ;   in Loop: Header=BB63_31 Depth=1
	s_or_b32 exec_lo, exec_lo, s9
	scratch_load_b32 v4, off, s32 offset:992 ; 4-byte Folded Reload
	s_waitcnt vmcnt(0)
	v_add_co_u32 v4, s1, v6, v4
	s_delay_alu instid0(VALU_DEP_1)
	v_add_co_ci_u32_e64 v5, s1, 0, v7, s1
	flat_load_b128 v[8:11], v[4:5]
	s_waitcnt vmcnt(0) lgkmcnt(0)
	scratch_store_b128 off, v[8:11], s32 offset:464 ; 16-byte Folded Spill
	s_and_saveexec_b32 s9, vcc_lo
	s_cbranch_execz .LBB63_51
; %bb.50:                               ;   in Loop: Header=BB63_31 Depth=1
	scratch_load_b128 v[8:11], off, s32 offset:464 ; 16-byte Folded Reload
	v_cmp_lt_i32_e64 s1, v37, v47
	s_waitcnt vmcnt(0)
	s_delay_alu instid0(VALU_DEP_1) | instskip(SKIP_1) | instid1(VALU_DEP_1)
	v_cndmask_b32_e64 v8, 0, v8, s1
	v_cmp_lt_i32_e64 s1, v128, v47
	v_cndmask_b32_e64 v9, 0, v9, s1
	v_cmp_lt_i32_e64 s1, v38, v47
	s_delay_alu instid0(VALU_DEP_1) | instskip(SKIP_1) | instid1(VALU_DEP_1)
	v_cndmask_b32_e64 v10, 0, v10, s1
	v_cmp_lt_i32_e64 s1, v36, v47
	v_cndmask_b32_e64 v11, 0, v11, s1
	scratch_store_b128 off, v[8:11], s32 offset:464 ; 16-byte Folded Spill
.LBB63_51:                              ;   in Loop: Header=BB63_31 Depth=1
	s_or_b32 exec_lo, exec_lo, s9
	scratch_load_b32 v4, off, s32 offset:996 ; 4-byte Folded Reload
	s_waitcnt vmcnt(0)
	v_add_co_u32 v4, s1, v6, v4
	s_delay_alu instid0(VALU_DEP_1)
	v_add_co_ci_u32_e64 v5, s1, 0, v7, s1
	flat_load_b128 v[8:11], v[4:5]
	s_waitcnt vmcnt(0) lgkmcnt(0)
	scratch_store_b128 off, v[8:11], s32 offset:480 ; 16-byte Folded Spill
	s_and_saveexec_b32 s9, vcc_lo
	s_cbranch_execz .LBB63_53
; %bb.52:                               ;   in Loop: Header=BB63_31 Depth=1
	scratch_load_b128 v[8:11], off, s32 offset:480 ; 16-byte Folded Reload
	v_cmp_lt_i32_e64 s1, v37, v47
	s_waitcnt vmcnt(0)
	s_delay_alu instid0(VALU_DEP_1) | instskip(SKIP_1) | instid1(VALU_DEP_1)
	v_cndmask_b32_e64 v8, 0, v8, s1
	v_cmp_lt_i32_e64 s1, v128, v47
	v_cndmask_b32_e64 v9, 0, v9, s1
	v_cmp_lt_i32_e64 s1, v38, v47
	s_delay_alu instid0(VALU_DEP_1) | instskip(SKIP_1) | instid1(VALU_DEP_1)
	v_cndmask_b32_e64 v10, 0, v10, s1
	v_cmp_lt_i32_e64 s1, v36, v47
	v_cndmask_b32_e64 v11, 0, v11, s1
	scratch_store_b128 off, v[8:11], s32 offset:480 ; 16-byte Folded Spill
.LBB63_53:                              ;   in Loop: Header=BB63_31 Depth=1
	s_or_b32 exec_lo, exec_lo, s9
	scratch_load_b32 v4, off, s32 offset:1000 ; 4-byte Folded Reload
	s_waitcnt vmcnt(0)
	v_add_co_u32 v4, s1, v6, v4
	s_delay_alu instid0(VALU_DEP_1)
	v_add_co_ci_u32_e64 v5, s1, 0, v7, s1
	flat_load_b128 v[8:11], v[4:5]
	s_waitcnt vmcnt(0) lgkmcnt(0)
	scratch_store_b128 off, v[8:11], s32 offset:496 ; 16-byte Folded Spill
	s_and_saveexec_b32 s9, vcc_lo
	s_cbranch_execz .LBB63_55
; %bb.54:                               ;   in Loop: Header=BB63_31 Depth=1
	scratch_load_b128 v[8:11], off, s32 offset:496 ; 16-byte Folded Reload
	v_cmp_lt_i32_e64 s1, v37, v47
	s_waitcnt vmcnt(0)
	s_delay_alu instid0(VALU_DEP_1) | instskip(SKIP_1) | instid1(VALU_DEP_1)
	v_cndmask_b32_e64 v8, 0, v8, s1
	v_cmp_lt_i32_e64 s1, v128, v47
	v_cndmask_b32_e64 v9, 0, v9, s1
	v_cmp_lt_i32_e64 s1, v38, v47
	s_delay_alu instid0(VALU_DEP_1) | instskip(SKIP_1) | instid1(VALU_DEP_1)
	v_cndmask_b32_e64 v10, 0, v10, s1
	v_cmp_lt_i32_e64 s1, v36, v47
	v_cndmask_b32_e64 v11, 0, v11, s1
	scratch_store_b128 off, v[8:11], s32 offset:496 ; 16-byte Folded Spill
.LBB63_55:                              ;   in Loop: Header=BB63_31 Depth=1
	s_or_b32 exec_lo, exec_lo, s9
	scratch_load_b32 v4, off, s32 offset:1004 ; 4-byte Folded Reload
	s_waitcnt vmcnt(0)
	v_add_co_u32 v4, s1, v6, v4
	s_delay_alu instid0(VALU_DEP_1)
	v_add_co_ci_u32_e64 v5, s1, 0, v7, s1
	flat_load_b128 v[8:11], v[4:5]
	s_waitcnt vmcnt(0) lgkmcnt(0)
	scratch_store_b128 off, v[8:11], s32 offset:512 ; 16-byte Folded Spill
	s_and_saveexec_b32 s9, vcc_lo
	s_cbranch_execz .LBB63_57
; %bb.56:                               ;   in Loop: Header=BB63_31 Depth=1
	scratch_load_b128 v[8:11], off, s32 offset:512 ; 16-byte Folded Reload
	v_cmp_lt_i32_e64 s1, v37, v47
	s_waitcnt vmcnt(0)
	s_delay_alu instid0(VALU_DEP_1) | instskip(SKIP_1) | instid1(VALU_DEP_1)
	v_cndmask_b32_e64 v8, 0, v8, s1
	v_cmp_lt_i32_e64 s1, v128, v47
	v_cndmask_b32_e64 v9, 0, v9, s1
	v_cmp_lt_i32_e64 s1, v38, v47
	s_delay_alu instid0(VALU_DEP_1) | instskip(SKIP_1) | instid1(VALU_DEP_1)
	v_cndmask_b32_e64 v10, 0, v10, s1
	v_cmp_lt_i32_e64 s1, v36, v47
	v_cndmask_b32_e64 v11, 0, v11, s1
	scratch_store_b128 off, v[8:11], s32 offset:512 ; 16-byte Folded Spill
.LBB63_57:                              ;   in Loop: Header=BB63_31 Depth=1
	s_or_b32 exec_lo, exec_lo, s9
	scratch_load_b32 v4, off, s32 offset:1008 ; 4-byte Folded Reload
	s_waitcnt vmcnt(0)
	v_add_co_u32 v4, s1, v6, v4
	s_delay_alu instid0(VALU_DEP_1)
	v_add_co_ci_u32_e64 v5, s1, 0, v7, s1
	flat_load_b128 v[8:11], v[4:5]
	s_waitcnt vmcnt(0) lgkmcnt(0)
	scratch_store_b128 off, v[8:11], s32 offset:528 ; 16-byte Folded Spill
	s_and_saveexec_b32 s9, vcc_lo
	s_cbranch_execz .LBB63_59
; %bb.58:                               ;   in Loop: Header=BB63_31 Depth=1
	scratch_load_b128 v[8:11], off, s32 offset:528 ; 16-byte Folded Reload
	v_cmp_lt_i32_e64 s1, v37, v47
	s_waitcnt vmcnt(0)
	s_delay_alu instid0(VALU_DEP_1) | instskip(SKIP_1) | instid1(VALU_DEP_1)
	v_cndmask_b32_e64 v8, 0, v8, s1
	v_cmp_lt_i32_e64 s1, v128, v47
	v_cndmask_b32_e64 v9, 0, v9, s1
	v_cmp_lt_i32_e64 s1, v38, v47
	s_delay_alu instid0(VALU_DEP_1) | instskip(SKIP_1) | instid1(VALU_DEP_1)
	v_cndmask_b32_e64 v10, 0, v10, s1
	v_cmp_lt_i32_e64 s1, v36, v47
	v_cndmask_b32_e64 v11, 0, v11, s1
	scratch_store_b128 off, v[8:11], s32 offset:528 ; 16-byte Folded Spill
.LBB63_59:                              ;   in Loop: Header=BB63_31 Depth=1
	s_or_b32 exec_lo, exec_lo, s9
	scratch_load_b32 v4, off, s32 offset:1012 ; 4-byte Folded Reload
	s_waitcnt vmcnt(0)
	v_add_co_u32 v4, s1, v6, v4
	s_delay_alu instid0(VALU_DEP_1)
	v_add_co_ci_u32_e64 v5, s1, 0, v7, s1
	flat_load_b128 v[8:11], v[4:5]
	s_waitcnt vmcnt(0) lgkmcnt(0)
	scratch_store_b128 off, v[8:11], s32 offset:544 ; 16-byte Folded Spill
	s_and_saveexec_b32 s9, vcc_lo
	s_cbranch_execz .LBB63_61
; %bb.60:                               ;   in Loop: Header=BB63_31 Depth=1
	scratch_load_b128 v[8:11], off, s32 offset:544 ; 16-byte Folded Reload
	v_cmp_lt_i32_e64 s1, v37, v47
	s_waitcnt vmcnt(0)
	s_delay_alu instid0(VALU_DEP_1) | instskip(SKIP_1) | instid1(VALU_DEP_1)
	v_cndmask_b32_e64 v8, 0, v8, s1
	v_cmp_lt_i32_e64 s1, v128, v47
	v_cndmask_b32_e64 v9, 0, v9, s1
	v_cmp_lt_i32_e64 s1, v38, v47
	s_delay_alu instid0(VALU_DEP_1) | instskip(SKIP_1) | instid1(VALU_DEP_1)
	v_cndmask_b32_e64 v10, 0, v10, s1
	v_cmp_lt_i32_e64 s1, v36, v47
	v_cndmask_b32_e64 v11, 0, v11, s1
	scratch_store_b128 off, v[8:11], s32 offset:544 ; 16-byte Folded Spill
.LBB63_61:                              ;   in Loop: Header=BB63_31 Depth=1
	s_or_b32 exec_lo, exec_lo, s9
	scratch_load_b32 v4, off, s32 offset:1016 ; 4-byte Folded Reload
	s_waitcnt vmcnt(0)
	v_add_co_u32 v4, s1, v6, v4
	s_delay_alu instid0(VALU_DEP_1)
	v_add_co_ci_u32_e64 v5, s1, 0, v7, s1
	flat_load_b128 v[8:11], v[4:5]
	s_waitcnt vmcnt(0) lgkmcnt(0)
	scratch_store_b128 off, v[8:11], s32 offset:560 ; 16-byte Folded Spill
	s_and_saveexec_b32 s9, vcc_lo
	s_cbranch_execz .LBB63_63
; %bb.62:                               ;   in Loop: Header=BB63_31 Depth=1
	scratch_load_b128 v[8:11], off, s32 offset:560 ; 16-byte Folded Reload
	v_cmp_lt_i32_e64 s1, v37, v47
	s_waitcnt vmcnt(0)
	s_delay_alu instid0(VALU_DEP_1) | instskip(SKIP_1) | instid1(VALU_DEP_1)
	v_cndmask_b32_e64 v8, 0, v8, s1
	v_cmp_lt_i32_e64 s1, v128, v47
	v_cndmask_b32_e64 v9, 0, v9, s1
	v_cmp_lt_i32_e64 s1, v38, v47
	s_delay_alu instid0(VALU_DEP_1) | instskip(SKIP_1) | instid1(VALU_DEP_1)
	v_cndmask_b32_e64 v10, 0, v10, s1
	v_cmp_lt_i32_e64 s1, v36, v47
	v_cndmask_b32_e64 v11, 0, v11, s1
	scratch_store_b128 off, v[8:11], s32 offset:560 ; 16-byte Folded Spill
.LBB63_63:                              ;   in Loop: Header=BB63_31 Depth=1
	s_or_b32 exec_lo, exec_lo, s9
	scratch_load_b32 v4, off, s32 offset:1020 ; 4-byte Folded Reload
	s_waitcnt vmcnt(0)
	v_add_co_u32 v4, s1, v6, v4
	s_delay_alu instid0(VALU_DEP_1)
	v_add_co_ci_u32_e64 v5, s1, 0, v7, s1
	flat_load_b128 v[8:11], v[4:5]
	s_waitcnt vmcnt(0) lgkmcnt(0)
	scratch_store_b128 off, v[8:11], s32 offset:576 ; 16-byte Folded Spill
	s_and_saveexec_b32 s9, vcc_lo
	s_cbranch_execz .LBB63_65
; %bb.64:                               ;   in Loop: Header=BB63_31 Depth=1
	scratch_load_b128 v[8:11], off, s32 offset:576 ; 16-byte Folded Reload
	v_cmp_lt_i32_e64 s1, v37, v47
	s_waitcnt vmcnt(0)
	s_delay_alu instid0(VALU_DEP_1) | instskip(SKIP_1) | instid1(VALU_DEP_1)
	v_cndmask_b32_e64 v8, 0, v8, s1
	v_cmp_lt_i32_e64 s1, v128, v47
	v_cndmask_b32_e64 v9, 0, v9, s1
	v_cmp_lt_i32_e64 s1, v38, v47
	s_delay_alu instid0(VALU_DEP_1) | instskip(SKIP_1) | instid1(VALU_DEP_1)
	v_cndmask_b32_e64 v10, 0, v10, s1
	v_cmp_lt_i32_e64 s1, v36, v47
	v_cndmask_b32_e64 v11, 0, v11, s1
	scratch_store_b128 off, v[8:11], s32 offset:576 ; 16-byte Folded Spill
.LBB63_65:                              ;   in Loop: Header=BB63_31 Depth=1
	s_or_b32 exec_lo, exec_lo, s9
	scratch_load_b32 v4, off, s32 offset:1024 ; 4-byte Folded Reload
	s_waitcnt vmcnt(0)
	v_add_co_u32 v4, s1, v6, v4
	s_delay_alu instid0(VALU_DEP_1)
	v_add_co_ci_u32_e64 v5, s1, 0, v7, s1
	flat_load_b128 v[8:11], v[4:5]
	s_waitcnt vmcnt(0) lgkmcnt(0)
	scratch_store_b128 off, v[8:11], s32 offset:592 ; 16-byte Folded Spill
	s_and_saveexec_b32 s9, vcc_lo
	s_cbranch_execz .LBB63_67
; %bb.66:                               ;   in Loop: Header=BB63_31 Depth=1
	scratch_load_b128 v[8:11], off, s32 offset:592 ; 16-byte Folded Reload
	v_cmp_lt_i32_e64 s1, v37, v47
	s_waitcnt vmcnt(0)
	s_delay_alu instid0(VALU_DEP_1) | instskip(SKIP_1) | instid1(VALU_DEP_1)
	v_cndmask_b32_e64 v8, 0, v8, s1
	v_cmp_lt_i32_e64 s1, v128, v47
	v_cndmask_b32_e64 v9, 0, v9, s1
	v_cmp_lt_i32_e64 s1, v38, v47
	s_delay_alu instid0(VALU_DEP_1) | instskip(SKIP_1) | instid1(VALU_DEP_1)
	v_cndmask_b32_e64 v10, 0, v10, s1
	v_cmp_lt_i32_e64 s1, v36, v47
	v_cndmask_b32_e64 v11, 0, v11, s1
	scratch_store_b128 off, v[8:11], s32 offset:592 ; 16-byte Folded Spill
.LBB63_67:                              ;   in Loop: Header=BB63_31 Depth=1
	s_or_b32 exec_lo, exec_lo, s9
	scratch_load_b32 v4, off, s32 offset:1028 ; 4-byte Folded Reload
	s_waitcnt vmcnt(0)
	v_add_co_u32 v4, s1, v6, v4
	s_delay_alu instid0(VALU_DEP_1)
	v_add_co_ci_u32_e64 v5, s1, 0, v7, s1
	flat_load_b128 v[8:11], v[4:5]
	s_waitcnt vmcnt(0) lgkmcnt(0)
	scratch_store_b128 off, v[8:11], s32 offset:608 ; 16-byte Folded Spill
	s_and_saveexec_b32 s9, vcc_lo
	s_cbranch_execz .LBB63_69
; %bb.68:                               ;   in Loop: Header=BB63_31 Depth=1
	scratch_load_b128 v[8:11], off, s32 offset:608 ; 16-byte Folded Reload
	v_cmp_lt_i32_e64 s1, v37, v47
	s_waitcnt vmcnt(0)
	s_delay_alu instid0(VALU_DEP_1) | instskip(SKIP_1) | instid1(VALU_DEP_1)
	v_cndmask_b32_e64 v8, 0, v8, s1
	v_cmp_lt_i32_e64 s1, v128, v47
	v_cndmask_b32_e64 v9, 0, v9, s1
	v_cmp_lt_i32_e64 s1, v38, v47
	s_delay_alu instid0(VALU_DEP_1) | instskip(SKIP_1) | instid1(VALU_DEP_1)
	v_cndmask_b32_e64 v10, 0, v10, s1
	v_cmp_lt_i32_e64 s1, v36, v47
	v_cndmask_b32_e64 v11, 0, v11, s1
	scratch_store_b128 off, v[8:11], s32 offset:608 ; 16-byte Folded Spill
.LBB63_69:                              ;   in Loop: Header=BB63_31 Depth=1
	s_or_b32 exec_lo, exec_lo, s9
	scratch_load_b32 v4, off, s32 offset:1032 ; 4-byte Folded Reload
	s_waitcnt vmcnt(0)
	v_add_co_u32 v4, s1, v6, v4
	s_delay_alu instid0(VALU_DEP_1)
	v_add_co_ci_u32_e64 v5, s1, 0, v7, s1
	flat_load_b128 v[8:11], v[4:5]
	s_waitcnt vmcnt(0) lgkmcnt(0)
	scratch_store_b128 off, v[8:11], s32 offset:624 ; 16-byte Folded Spill
	s_and_saveexec_b32 s9, vcc_lo
	s_cbranch_execz .LBB63_71
; %bb.70:                               ;   in Loop: Header=BB63_31 Depth=1
	scratch_load_b128 v[8:11], off, s32 offset:624 ; 16-byte Folded Reload
	v_cmp_lt_i32_e64 s1, v37, v47
	s_waitcnt vmcnt(0)
	s_delay_alu instid0(VALU_DEP_1) | instskip(SKIP_1) | instid1(VALU_DEP_1)
	v_cndmask_b32_e64 v8, 0, v8, s1
	v_cmp_lt_i32_e64 s1, v128, v47
	v_cndmask_b32_e64 v9, 0, v9, s1
	v_cmp_lt_i32_e64 s1, v38, v47
	s_delay_alu instid0(VALU_DEP_1) | instskip(SKIP_1) | instid1(VALU_DEP_1)
	v_cndmask_b32_e64 v10, 0, v10, s1
	v_cmp_lt_i32_e64 s1, v36, v47
	v_cndmask_b32_e64 v11, 0, v11, s1
	scratch_store_b128 off, v[8:11], s32 offset:624 ; 16-byte Folded Spill
.LBB63_71:                              ;   in Loop: Header=BB63_31 Depth=1
	s_or_b32 exec_lo, exec_lo, s9
	scratch_load_b32 v4, off, s32 offset:1036 ; 4-byte Folded Reload
	s_waitcnt vmcnt(0)
	v_add_co_u32 v4, s1, v6, v4
	s_delay_alu instid0(VALU_DEP_1)
	v_add_co_ci_u32_e64 v5, s1, 0, v7, s1
	flat_load_b128 v[144:147], v[4:5]
	s_and_saveexec_b32 s9, vcc_lo
	s_cbranch_execz .LBB63_73
; %bb.72:                               ;   in Loop: Header=BB63_31 Depth=1
	v_cmp_lt_i32_e64 s1, v37, v47
	s_waitcnt vmcnt(0) lgkmcnt(0)
	s_delay_alu instid0(VALU_DEP_1) | instskip(SKIP_1) | instid1(VALU_DEP_1)
	v_cndmask_b32_e64 v144, 0, v144, s1
	v_cmp_lt_i32_e64 s1, v128, v47
	v_cndmask_b32_e64 v145, 0, v145, s1
	v_cmp_lt_i32_e64 s1, v38, v47
	s_delay_alu instid0(VALU_DEP_1) | instskip(SKIP_1) | instid1(VALU_DEP_1)
	v_cndmask_b32_e64 v146, 0, v146, s1
	v_cmp_lt_i32_e64 s1, v36, v47
	v_cndmask_b32_e64 v147, 0, v147, s1
.LBB63_73:                              ;   in Loop: Header=BB63_31 Depth=1
	s_or_b32 exec_lo, exec_lo, s9
	scratch_load_b32 v4, off, s32 offset:1040 ; 4-byte Folded Reload
	s_waitcnt vmcnt(0)
	v_add_co_u32 v4, s1, v6, v4
	s_delay_alu instid0(VALU_DEP_1)
	v_add_co_ci_u32_e64 v5, s1, 0, v7, s1
	flat_load_b128 v[148:151], v[4:5]
	s_and_saveexec_b32 s9, vcc_lo
	s_cbranch_execz .LBB63_75
; %bb.74:                               ;   in Loop: Header=BB63_31 Depth=1
	v_cmp_lt_i32_e64 s1, v37, v47
	s_waitcnt vmcnt(0) lgkmcnt(0)
	s_delay_alu instid0(VALU_DEP_1) | instskip(SKIP_1) | instid1(VALU_DEP_1)
	v_cndmask_b32_e64 v148, 0, v148, s1
	v_cmp_lt_i32_e64 s1, v128, v47
	v_cndmask_b32_e64 v149, 0, v149, s1
	v_cmp_lt_i32_e64 s1, v38, v47
	s_delay_alu instid0(VALU_DEP_1) | instskip(SKIP_1) | instid1(VALU_DEP_1)
	v_cndmask_b32_e64 v150, 0, v150, s1
	v_cmp_lt_i32_e64 s1, v36, v47
	v_cndmask_b32_e64 v151, 0, v151, s1
.LBB63_75:                              ;   in Loop: Header=BB63_31 Depth=1
	;; [unrolled: 22-line block ×14, first 2 shown]
	s_or_b32 exec_lo, exec_lo, s9
	scratch_load_b32 v4, off, s32 offset:1092 ; 4-byte Folded Reload
	s_waitcnt vmcnt(0)
	v_add_co_u32 v4, s1, v6, v4
	s_delay_alu instid0(VALU_DEP_1)
	v_add_co_ci_u32_e64 v5, s1, 0, v7, s1
	flat_load_b128 v[104:107], v[4:5]
	s_and_saveexec_b32 s9, vcc_lo
	s_cbranch_execz .LBB63_101
; %bb.100:                              ;   in Loop: Header=BB63_31 Depth=1
	v_cmp_lt_i32_e64 s1, v37, v47
	s_waitcnt vmcnt(0) lgkmcnt(0)
	s_delay_alu instid0(VALU_DEP_1) | instskip(SKIP_1) | instid1(VALU_DEP_1)
	v_cndmask_b32_e64 v104, 0, v104, s1
	v_cmp_lt_i32_e64 s1, v128, v47
	v_cndmask_b32_e64 v105, 0, v105, s1
	v_cmp_lt_i32_e64 s1, v38, v47
	s_delay_alu instid0(VALU_DEP_1) | instskip(SKIP_1) | instid1(VALU_DEP_1)
	v_cndmask_b32_e64 v106, 0, v106, s1
	v_cmp_lt_i32_e64 s1, v36, v47
	v_cndmask_b32_e64 v107, 0, v107, s1
.LBB63_101:                             ;   in Loop: Header=BB63_31 Depth=1
	s_or_b32 exec_lo, exec_lo, s9
	scratch_load_b32 v4, off, s32 offset:1096 ; 4-byte Folded Reload
	s_waitcnt vmcnt(0)
	v_add_co_u32 v4, s1, v6, v4
	s_delay_alu instid0(VALU_DEP_1)
	v_add_co_ci_u32_e64 v5, s1, 0, v7, s1
	flat_load_b128 v[108:111], v[4:5]
	s_and_saveexec_b32 s9, vcc_lo
	s_cbranch_execz .LBB63_103
; %bb.102:                              ;   in Loop: Header=BB63_31 Depth=1
	v_cmp_lt_i32_e64 s1, v37, v47
	s_waitcnt vmcnt(0) lgkmcnt(0)
	s_delay_alu instid0(VALU_DEP_1) | instskip(SKIP_1) | instid1(VALU_DEP_1)
	v_cndmask_b32_e64 v108, 0, v108, s1
	v_cmp_lt_i32_e64 s1, v128, v47
	v_cndmask_b32_e64 v109, 0, v109, s1
	v_cmp_lt_i32_e64 s1, v38, v47
	s_delay_alu instid0(VALU_DEP_1) | instskip(SKIP_1) | instid1(VALU_DEP_1)
	v_cndmask_b32_e64 v110, 0, v110, s1
	v_cmp_lt_i32_e64 s1, v36, v47
	v_cndmask_b32_e64 v111, 0, v111, s1
.LBB63_103:                             ;   in Loop: Header=BB63_31 Depth=1
	;; [unrolled: 22-line block ×29, first 2 shown]
	s_or_b32 exec_lo, exec_lo, s9
	scratch_load_b32 v4, off, s32 offset:1208 ; 4-byte Folded Reload
	v_dual_mov_b32 v135, v21 :: v_dual_mov_b32 v134, v23
	scratch_store_b32 off, v20, s32 offset:952 ; 4-byte Folded Spill
	s_waitcnt vmcnt(0)
	v_add_co_u32 v4, s1, v6, v4
	s_delay_alu instid0(VALU_DEP_1)
	v_add_co_ci_u32_e64 v5, s1, 0, v7, s1
	flat_load_b128 v[4:7], v[4:5]
	s_and_saveexec_b32 s1, vcc_lo
	s_cbranch_execz .LBB63_30
; %bb.158:                              ;   in Loop: Header=BB63_31 Depth=1
	v_cmp_lt_i32_e32 vcc_lo, v37, v47
	s_waitcnt vmcnt(0) lgkmcnt(0)
	v_cndmask_b32_e32 v4, 0, v4, vcc_lo
	v_cmp_lt_i32_e32 vcc_lo, v128, v47
	v_cndmask_b32_e32 v5, 0, v5, vcc_lo
	v_cmp_lt_i32_e32 vcc_lo, v38, v47
	;; [unrolled: 2-line block ×3, first 2 shown]
	v_cndmask_b32_e32 v7, 0, v7, vcc_lo
	s_branch .LBB63_30
.LBB63_159:
	s_or_b32 exec_lo, exec_lo, s4
	s_clause 0x1f
	scratch_load_b32 v30, off, s32 offset:1232
	scratch_load_b32 v132, off, s32 offset:1236
	;; [unrolled: 1-line block ×32, first 2 shown]
	s_clause 0x1
	scratch_load_b32 v29, off, s32 offset:852
	scratch_load_b32 v99, off, s32 offset:856
	v_dual_mov_b32 v0, s16 :: v_dual_mov_b32 v1, s17
.LBB63_160:
	s_or_b32 exec_lo, exec_lo, s3
	v_dual_mov_b32 v25, v21 :: v_dual_mov_b32 v134, v8
	s_clause 0x5
	scratch_load_b32 v19, off, s32 offset:688
	scratch_load_b32 v20, off, s32 offset:704
	;; [unrolled: 1-line block ×6, first 2 shown]
	v_dual_mov_b32 v24, v7 :: v_dual_mov_b32 v103, v2
	v_dual_mov_b32 v68, v6 :: v_dual_mov_b32 v101, v3
	v_mov_b32_e32 v84, v5
	s_waitcnt vmcnt(7)
	ds_bpermute_b32 v9, v114, v29
	ds_bpermute_b32 v11, v114, v27
	s_waitcnt vmcnt(6)
	ds_bpermute_b32 v8, v114, v99
	ds_bpermute_b32 v10, v114, v28
	;; [unrolled: 1-line block ×5, first 2 shown]
	v_mov_b32_e32 v50, v23
	v_dual_mov_b32 v112, v22 :: v_dual_mov_b32 v51, v25
	ds_bpermute_b32 v22, v114, v25
	ds_bpermute_b32 v14, v114, v32
	;; [unrolled: 1-line block ×4, first 2 shown]
	s_waitcnt vmcnt(0) lgkmcnt(0)
	s_waitcnt_vscnt null, 0x0
	s_barrier
	buffer_gl0_inv
	v_lshlrev_b64 v[0:1], 2, v[0:1]
	s_getpc_b64 s[8:9]
	s_add_u32 s8, s8, llvm.amdgcn.dynlds.offset.table@rel32@lo+4
	s_addc_u32 s9, s9, llvm.amdgcn.dynlds.offset.table@rel32@hi+12
	s_mov_b32 s3, exec_lo
	v_add_f32_e32 v9, v29, v9
	v_mov_b32_e32 v49, v24
	v_add_f32_e32 v11, v27, v11
	v_dual_add_f32 v8, v99, v8 :: v_dual_add_f32 v13, v33, v13
	ds_bpermute_b32 v27, v132, v9
	ds_bpermute_b32 v24, v114, v24
	v_add_co_u32 v0, vcc_lo, v0, s8
	v_add_co_ci_u32_e32 v1, vcc_lo, s9, v1, vcc_lo
	ds_bpermute_b32 v29, v132, v11
	v_dual_add_f32 v14, v32, v14 :: v_dual_add_f32 v15, v31, v15
	ds_bpermute_b32 v31, v132, v13
	global_load_b32 v99, v[0:1], off
	v_add_f32_e32 v23, v50, v23
	ds_bpermute_b32 v33, v132, v15
	s_waitcnt lgkmcnt(4)
	v_add_f32_e32 v9, v9, v27
	s_waitcnt lgkmcnt(2)
	v_add_f32_e32 v11, v11, v29
	ds_bpermute_b32 v32, v132, v14
	s_waitcnt lgkmcnt(2)
	v_add_f32_e32 v13, v13, v31
	s_waitcnt lgkmcnt(1)
	v_add_f32_e32 v15, v15, v33
	ds_bpermute_b32 v33, v132, v23
	s_waitcnt lgkmcnt(0)
	v_add_f32_e32 v23, v23, v33
	ds_bpermute_b32 v33, v114, v36
	ds_bpermute_b32 v2, v114, v19
	;; [unrolled: 1-line block ×5, first 2 shown]
	v_mov_b32_e32 v102, v4
	ds_bpermute_b32 v4, v114, v20
	ds_bpermute_b32 v7, v114, v133
	s_waitcnt lgkmcnt(4)
	v_dual_add_f32 v2, v19, v2 :: v_dual_add_f32 v3, v21, v3
	s_waitcnt lgkmcnt(2)
	v_dual_add_f32 v5, v18, v5 :: v_dual_add_f32 v6, v17, v6
	ds_bpermute_b32 v17, v132, v2
	s_waitcnt lgkmcnt(1)
	v_dual_add_f32 v4, v20, v4 :: v_dual_add_f32 v7, v133, v7
	ds_bpermute_b32 v18, v132, v3
	ds_bpermute_b32 v20, v132, v5
	ds_bpermute_b32 v21, v132, v6
	ds_bpermute_b32 v19, v132, v4
	ds_bpermute_b32 v25, v132, v7
	v_add_f32_e32 v10, v28, v10
	v_add_f32_e32 v12, v26, v12
	ds_bpermute_b32 v26, v132, v8
	s_waitcnt lgkmcnt(6)
	v_dual_mov_b32 v133, v85 :: v_dual_add_f32 v2, v2, v17
	s_waitcnt lgkmcnt(5)
	v_add_f32_e32 v3, v3, v18
	s_waitcnt lgkmcnt(4)
	v_add_f32_e32 v5, v5, v20
	ds_bpermute_b32 v28, v132, v10
	s_waitcnt lgkmcnt(4)
	v_add_f32_e32 v6, v6, v21
	s_waitcnt lgkmcnt(2)
	v_dual_add_f32 v4, v4, v19 :: v_dual_add_f32 v7, v7, v25
	ds_bpermute_b32 v17, v30, v2
	ds_bpermute_b32 v18, v30, v3
	;; [unrolled: 1-line block ×5, first 2 shown]
	v_mov_b32_e32 v146, v30
	ds_bpermute_b32 v30, v132, v12
	s_waitcnt lgkmcnt(7)
	v_add_f32_e32 v8, v8, v26
	s_waitcnt lgkmcnt(4)
	v_dual_add_f32 v10, v10, v28 :: v_dual_add_f32 v3, v3, v18
	s_waitcnt lgkmcnt(3)
	v_add_f32_e32 v5, v5, v20
	ds_bpermute_b32 v18, v146, v9
	v_add_f32_e32 v2, v2, v17
	ds_bpermute_b32 v17, v114, v48
	ds_bpermute_b32 v20, v146, v11
	s_waitcnt lgkmcnt(5)
	v_add_f32_e32 v6, v6, v21
	ds_bpermute_b32 v21, v114, v39
	ds_bpermute_b32 v28, v146, v13
	;; [unrolled: 1-line block ×3, first 2 shown]
	s_waitcnt lgkmcnt(7)
	v_add_f32_e32 v4, v4, v19
	ds_bpermute_b32 v19, v146, v10
	s_waitcnt lgkmcnt(7)
	v_add_f32_e32 v12, v12, v30
	v_add_f32_e32 v14, v14, v32
	;; [unrolled: 1-line block ×5, first 2 shown]
	ds_bpermute_b32 v27, v146, v12
	ds_bpermute_b32 v26, v146, v8
	;; [unrolled: 1-line block ×3, first 2 shown]
	v_mov_b32_e32 v51, v37
	ds_bpermute_b32 v37, v114, v37
	s_waitcnt lgkmcnt(10)
	v_add_f32_e32 v9, v9, v18
	s_waitcnt lgkmcnt(9)
	v_add_f32_e32 v17, v48, v17
	ds_bpermute_b32 v29, v146, v14
	s_waitcnt lgkmcnt(9)
	v_add_f32_e32 v11, v11, v20
	s_waitcnt lgkmcnt(8)
	v_add_f32_e32 v21, v39, v21
	;; [unrolled: 2-line block ×3, first 2 shown]
	ds_bpermute_b32 v32, v132, v22
	s_waitcnt lgkmcnt(7)
	v_add_f32_e32 v7, v7, v25
	ds_bpermute_b32 v31, v132, v16
	s_waitcnt lgkmcnt(7)
	v_add_f32_e32 v10, v10, v19
	ds_bpermute_b32 v19, v132, v21
	ds_bpermute_b32 v18, v132, v24
	;; [unrolled: 1-line block ×4, first 2 shown]
	s_waitcnt lgkmcnt(10)
	v_add_f32_e32 v12, v12, v27
	ds_bpermute_b32 v27, v114, v135
	s_waitcnt lgkmcnt(10)
	v_dual_add_f32 v8, v8, v26 :: v_dual_mov_b32 v39, v34
	ds_bpermute_b32 v26, v114, v34
	v_mov_b32_e32 v48, v35
	ds_bpermute_b32 v28, v114, v55
	s_waitcnt lgkmcnt(9)
	v_dual_add_f32 v15, v15, v30 :: v_dual_add_f32 v14, v14, v29
	ds_bpermute_b32 v29, v114, v54
	s_waitcnt lgkmcnt(9)
	v_add_f32_e32 v22, v22, v32
	ds_bpermute_b32 v32, v114, v52
	s_waitcnt lgkmcnt(9)
	v_add_f32_e32 v16, v16, v31
	s_waitcnt lgkmcnt(8)
	v_add_f32_e32 v21, v21, v19
	v_mov_b32_e32 v19, v36
	ds_bpermute_b32 v31, v146, v22
	s_waitcnt lgkmcnt(7)
	v_dual_add_f32 v24, v24, v18 :: v_dual_add_f32 v25, v17, v25
	s_waitcnt lgkmcnt(5)
	v_add_f32_e32 v27, v135, v27
	ds_bpermute_b32 v30, v146, v16
	v_add_f32_e32 v36, v48, v20
	ds_bpermute_b32 v34, v146, v24
	ds_bpermute_b32 v35, v146, v25
	;; [unrolled: 1-line block ×3, first 2 shown]
	s_waitcnt lgkmcnt(8)
	v_add_f32_e32 v26, v39, v26
	s_waitcnt lgkmcnt(6)
	v_dual_add_f32 v28, v55, v28 :: v_dual_add_f32 v29, v54, v29
	v_dual_mov_b32 v50, v38 :: v_dual_add_f32 v33, v19, v33
	ds_bpermute_b32 v38, v114, v38
	ds_bpermute_b32 v48, v132, v36
	;; [unrolled: 1-line block ×3, first 2 shown]
	s_waitcnt lgkmcnt(8)
	v_dual_add_f32 v32, v52, v32 :: v_dual_mov_b32 v135, v118
	s_waitcnt lgkmcnt(7)
	v_add_f32_e32 v17, v22, v31
	ds_bpermute_b32 v31, v132, v29
	ds_bpermute_b32 v49, v132, v26
	;; [unrolled: 1-line block ×3, first 2 shown]
	s_waitcnt lgkmcnt(9)
	v_add_f32_e32 v16, v16, v30
	s_waitcnt lgkmcnt(8)
	v_add_f32_e32 v19, v24, v34
	ds_bpermute_b32 v30, v132, v28
	s_waitcnt lgkmcnt(8)
	v_dual_add_f32 v20, v25, v35 :: v_dual_add_f32 v25, v51, v37
	s_waitcnt lgkmcnt(7)
	v_add_f32_e32 v18, v23, v18
	ds_bpermute_b32 v24, v132, v33
	ds_bpermute_b32 v35, v114, v53
	;; [unrolled: 1-line block ×3, first 2 shown]
	s_waitcnt lgkmcnt(9)
	v_add_f32_e32 v34, v50, v38
	s_waitcnt lgkmcnt(8)
	v_add_f32_e32 v36, v36, v48
	ds_bpermute_b32 v48, v114, v64
	s_waitcnt lgkmcnt(8)
	v_add_f32_e32 v21, v21, v39
	ds_bpermute_b32 v23, v132, v32
	;; [unrolled: 3-line block ×3, first 2 shown]
	s_waitcnt lgkmcnt(7)
	v_dual_add_f32 v26, v26, v49 :: v_dual_add_f32 v27, v27, v22
	ds_bpermute_b32 v22, v114, v66
	ds_bpermute_b32 v52, v146, v29
	s_waitcnt lgkmcnt(8)
	v_add_f32_e32 v28, v28, v30
	ds_bpermute_b32 v30, v114, v130
	ds_bpermute_b32 v50, v146, v27
	s_waitcnt lgkmcnt(9)
	v_add_f32_e32 v33, v33, v24
	ds_bpermute_b32 v38, v132, v34
	s_waitcnt lgkmcnt(9)
	v_add_f32_e32 v35, v53, v35
	s_waitcnt lgkmcnt(8)
	v_add_f32_e32 v37, v25, v37
	ds_bpermute_b32 v39, v146, v36
	ds_bpermute_b32 v51, v146, v28
	;; [unrolled: 1-line block ×4, first 2 shown]
	s_waitcnt lgkmcnt(10)
	v_add_f32_e32 v32, v32, v23
	s_waitcnt lgkmcnt(9)
	v_add_f32_e32 v31, v67, v31
	ds_bpermute_b32 v49, v146, v26
	v_add_f32_e32 v48, v64, v48
	s_waitcnt lgkmcnt(9)
	v_add_f32_e32 v66, v66, v22
	ds_bpermute_b32 v64, v146, v37
	s_waitcnt lgkmcnt(6)
	v_add_f32_e32 v34, v34, v38
	ds_bpermute_b32 v38, v132, v35
	s_waitcnt lgkmcnt(6)
	v_add_f32_e32 v22, v36, v39
	s_waitcnt lgkmcnt(5)
	v_add_f32_e32 v25, v28, v51
	;; [unrolled: 2-line block ×3, first 2 shown]
	ds_bpermute_b32 v67, v132, v66
	v_add_f32_e32 v39, v130, v30
	ds_bpermute_b32 v54, v146, v32
	ds_bpermute_b32 v65, v146, v34
	;; [unrolled: 1-line block ×3, first 2 shown]
	s_waitcnt lgkmcnt(6)
	v_add_f32_e32 v23, v26, v49
	ds_bpermute_b32 v36, v132, v48
	v_add_f32_e32 v24, v27, v50
	ds_bpermute_b32 v49, v132, v39
	ds_bpermute_b32 v50, v132, v31
	v_add_f32_e32 v26, v29, v52
	s_waitcnt lgkmcnt(8)
	v_add_f32_e32 v29, v37, v64
	ds_bpermute_b32 v37, v114, v83
	v_add_f32_e32 v28, v33, v55
	ds_bpermute_b32 v33, v114, v70
	ds_bpermute_b32 v52, v114, v82
	v_mov_b32_e32 v130, v68
	s_waitcnt lgkmcnt(8)
	v_add_f32_e32 v27, v32, v54
	ds_bpermute_b32 v54, v114, v81
	s_waitcnt lgkmcnt(8)
	v_add_f32_e32 v30, v34, v65
	s_waitcnt lgkmcnt(6)
	v_dual_add_f32 v53, v69, v53 :: v_dual_add_f32 v36, v48, v36
	s_waitcnt lgkmcnt(5)
	v_dual_add_f32 v48, v66, v67 :: v_dual_add_f32 v39, v39, v49
	s_waitcnt lgkmcnt(4)
	v_add_f32_e32 v49, v31, v50
	ds_bpermute_b32 v66, v114, v68
	ds_bpermute_b32 v68, v114, v131
	;; [unrolled: 1-line block ×3, first 2 shown]
	v_add_f32_e32 v32, v35, v38
	ds_bpermute_b32 v35, v132, v51
	ds_bpermute_b32 v38, v114, v80
	;; [unrolled: 1-line block ×3, first 2 shown]
	s_waitcnt lgkmcnt(9)
	v_add_f32_e32 v37, v83, v37
	ds_bpermute_b32 v67, v132, v53
	ds_bpermute_b32 v69, v114, v98
	s_waitcnt lgkmcnt(10)
	v_add_f32_e32 v70, v70, v33
	ds_bpermute_b32 v64, v146, v39
	s_waitcnt lgkmcnt(9)
	v_add_f32_e32 v54, v81, v54
	ds_bpermute_b32 v81, v132, v37
	s_waitcnt lgkmcnt(7)
	v_dual_add_f32 v52, v82, v52 :: v_dual_add_f32 v33, v48, v55
	ds_bpermute_b32 v34, v146, v32
	s_waitcnt lgkmcnt(7)
	v_add_f32_e32 v51, v51, v35
	ds_bpermute_b32 v50, v146, v36
	s_waitcnt lgkmcnt(6)
	v_dual_add_f32 v38, v80, v38 :: v_dual_add_f32 v35, v49, v65
	v_add_f32_e32 v49, v131, v68
	ds_bpermute_b32 v71, v146, v51
	ds_bpermute_b32 v80, v132, v70
	;; [unrolled: 1-line block ×3, first 2 shown]
	s_waitcnt lgkmcnt(8)
	v_dual_add_f32 v48, v53, v67 :: v_dual_mov_b32 v131, v84
	s_waitcnt lgkmcnt(7)
	v_add_f32_e32 v53, v98, v69
	ds_bpermute_b32 v83, v132, v54
	s_waitcnt lgkmcnt(6)
	v_add_f32_e32 v69, v37, v81
	ds_bpermute_b32 v37, v114, v96
	ds_bpermute_b32 v68, v114, v86
	;; [unrolled: 1-line block ×4, first 2 shown]
	s_waitcnt lgkmcnt(9)
	v_dual_add_f32 v31, v32, v34 :: v_dual_add_f32 v34, v39, v64
	v_add_f32_e32 v39, v130, v66
	s_waitcnt lgkmcnt(8)
	v_add_f32_e32 v32, v36, v50
	ds_bpermute_b32 v50, v132, v52
	ds_bpermute_b32 v64, v114, v87
	s_waitcnt lgkmcnt(9)
	v_add_f32_e32 v36, v51, v71
	ds_bpermute_b32 v55, v132, v39
	ds_bpermute_b32 v51, v132, v49
	s_waitcnt lgkmcnt(10)
	v_add_f32_e32 v67, v70, v80
	s_waitcnt lgkmcnt(9)
	v_add_f32_e32 v70, v38, v82
	ds_bpermute_b32 v38, v114, v100
	ds_bpermute_b32 v66, v146, v48
	;; [unrolled: 1-line block ×3, first 2 shown]
	s_waitcnt lgkmcnt(8)
	v_dual_add_f32 v68, v86, v68 :: v_dual_add_f32 v53, v53, v65
	s_waitcnt lgkmcnt(6)
	v_add_f32_e32 v50, v52, v50
	v_add_f32_e32 v52, v54, v83
	ds_bpermute_b32 v54, v146, v67
	ds_bpermute_b32 v83, v114, v85
	s_waitcnt lgkmcnt(6)
	v_add_f32_e32 v55, v39, v55
	s_waitcnt lgkmcnt(5)
	v_add_f32_e32 v85, v49, v51
	ds_bpermute_b32 v81, v146, v50
	ds_bpermute_b32 v80, v146, v70
	v_add_f32_e32 v64, v87, v64
	ds_bpermute_b32 v51, v146, v55
	ds_bpermute_b32 v87, v146, v53
	v_add_f32_e32 v96, v96, v37
	s_waitcnt lgkmcnt(8)
	v_add_f32_e32 v100, v100, v38
	v_mov_b32_e32 v130, v97
	ds_bpermute_b32 v97, v114, v97
	s_waitcnt lgkmcnt(8)
	v_add_f32_e32 v37, v48, v66
	ds_bpermute_b32 v65, v132, v64
	s_waitcnt lgkmcnt(8)
	v_add_f32_e32 v39, v69, v71
	ds_bpermute_b32 v82, v146, v52
	ds_bpermute_b32 v69, v114, v129
	;; [unrolled: 1-line block ×4, first 2 shown]
	s_waitcnt lgkmcnt(10)
	v_dual_add_f32 v38, v67, v54 :: v_dual_add_f32 v67, v133, v83
	ds_bpermute_b32 v83, v114, v119
	ds_bpermute_b32 v66, v132, v96
	s_waitcnt lgkmcnt(11)
	v_add_f32_e32 v49, v50, v81
	ds_bpermute_b32 v81, v114, v128
	ds_bpermute_b32 v71, v132, v67
	s_waitcnt lgkmcnt(12)
	v_add_f32_e32 v48, v70, v80
	v_add_f32_e32 v70, v131, v84
	s_waitcnt lgkmcnt(11)
	v_add_f32_e32 v51, v55, v51
	ds_bpermute_b32 v54, v132, v100
	v_mov_b32_e32 v133, v117
	s_waitcnt lgkmcnt(10)
	v_dual_add_f32 v55, v130, v97 :: v_dual_mov_b32 v130, v119
	s_waitcnt lgkmcnt(9)
	v_add_f32_e32 v64, v64, v65
	ds_bpermute_b32 v65, v132, v70
	s_waitcnt lgkmcnt(9)
	v_add_f32_e32 v50, v52, v82
	ds_bpermute_b32 v82, v132, v55
	ds_bpermute_b32 v97, v114, v115
	s_waitcnt lgkmcnt(9)
	v_add_f32_e32 v52, v85, v86
	s_waitcnt lgkmcnt(8)
	v_dual_add_f32 v68, v68, v98 :: v_dual_mov_b32 v119, v102
	s_waitcnt lgkmcnt(6)
	v_dual_mov_b32 v131, v113 :: v_dual_add_f32 v66, v96, v66
	ds_bpermute_b32 v80, v146, v64
	s_waitcnt lgkmcnt(6)
	v_add_f32_e32 v81, v128, v81
	s_waitcnt lgkmcnt(5)
	v_add_f32_e32 v67, v67, v71
	ds_bpermute_b32 v71, v114, v117
	v_mov_b32_e32 v128, v103
	ds_bpermute_b32 v103, v114, v103
	s_waitcnt lgkmcnt(6)
	v_add_f32_e32 v84, v100, v54
	ds_bpermute_b32 v100, v114, v102
	v_mov_b32_e32 v117, v115
	ds_bpermute_b32 v85, v146, v68
	ds_bpermute_b32 v86, v146, v66
	s_waitcnt lgkmcnt(8)
	v_add_f32_e32 v70, v70, v65
	ds_bpermute_b32 v65, v114, v116
	ds_bpermute_b32 v98, v146, v67
	s_waitcnt lgkmcnt(8)
	v_add_f32_e32 v97, v117, v97
	v_add_f32_e32 v53, v53, v87
	ds_bpermute_b32 v102, v146, v70
	s_waitcnt lgkmcnt(7)
	v_add_f32_e32 v71, v133, v71
	s_waitcnt lgkmcnt(6)
	v_dual_add_f32 v54, v129, v69 :: v_dual_add_f32 v103, v128, v103
	ds_bpermute_b32 v69, v114, v118
	v_mov_b32_e32 v118, v101
	ds_bpermute_b32 v101, v114, v101
	v_dual_mov_b32 v129, v116 :: v_dual_add_f32 v82, v55, v82
	v_add_f32_e32 v55, v130, v83
	ds_bpermute_b32 v83, v114, v113
	v_mov_b32_e32 v130, v112
	ds_bpermute_b32 v112, v114, v112
	ds_bpermute_b32 v114, v114, v134
	;; [unrolled: 1-line block ×5, first 2 shown]
	s_waitcnt lgkmcnt(10)
	v_add_f32_e32 v65, v129, v65
	ds_bpermute_b32 v113, v132, v81
	ds_bpermute_b32 v115, v146, v82
	;; [unrolled: 1-line block ×3, first 2 shown]
	s_waitcnt lgkmcnt(10)
	v_add_f32_e32 v69, v135, v69
	s_waitcnt lgkmcnt(9)
	v_dual_add_f32 v100, v119, v100 :: v_dual_add_f32 v101, v118, v101
	ds_bpermute_b32 v118, v132, v65
	ds_bpermute_b32 v119, v132, v97
	;; [unrolled: 1-line block ×4, first 2 shown]
	s_waitcnt lgkmcnt(10)
	v_dual_add_f32 v83, v131, v83 :: v_dual_add_f32 v114, v134, v114
	s_waitcnt lgkmcnt(9)
	v_add_f32_e32 v96, v54, v96
	ds_bpermute_b32 v54, v132, v69
	s_waitcnt lgkmcnt(9)
	v_add_f32_e32 v116, v55, v116
	s_waitcnt lgkmcnt(8)
	v_add_f32_e32 v117, v71, v117
	ds_bpermute_b32 v55, v132, v114
	s_waitcnt lgkmcnt(8)
	v_dual_add_f32 v112, v130, v112 :: v_dual_add_f32 v81, v81, v113
	ds_bpermute_b32 v130, v132, v103
	ds_bpermute_b32 v113, v132, v83
	;; [unrolled: 1-line block ×4, first 2 shown]
	s_waitcnt lgkmcnt(9)
	v_add_f32_e32 v118, v65, v118
	s_waitcnt lgkmcnt(8)
	v_add_f32_e32 v97, v97, v119
	ds_bpermute_b32 v71, v146, v116
	s_waitcnt lgkmcnt(7)
	v_dual_add_f32 v100, v100, v128 :: v_dual_add_f32 v101, v101, v129
	ds_bpermute_b32 v119, v146, v117
	ds_bpermute_b32 v129, v146, v97
	s_waitcnt lgkmcnt(8)
	v_dual_add_f32 v65, v84, v87 :: v_dual_add_f32 v132, v69, v54
	ds_bpermute_b32 v69, v146, v96
	;; [unrolled: 4-line block ×3, first 2 shown]
	v_add_f32_e32 v68, v82, v115
	v_add_f32_e32 v54, v64, v80
	;; [unrolled: 1-line block ×5, first 2 shown]
	scratch_load_b32 v102, off, s32 offset:1212 ; 4-byte Folded Reload
	s_waitcnt lgkmcnt(7)
	v_dual_add_f32 v103, v103, v130 :: v_dual_add_f32 v112, v112, v131
	v_add_f32_e32 v113, v83, v113
	ds_bpermute_b32 v134, v146, v132
	ds_bpermute_b32 v130, v146, v100
	;; [unrolled: 1-line block ×5, first 2 shown]
	s_waitcnt lgkmcnt(10)
	v_add_f32_e32 v71, v116, v71
	s_waitcnt lgkmcnt(7)
	v_add_f32_e32 v69, v96, v69
	s_waitcnt lgkmcnt(6)
	v_add_f32_e32 v85, v101, v135
	scratch_load_b32 v101, off, s32 offset:1216 ; 4-byte Folded Reload
	ds_bpermute_b32 v146, v146, v114
	s_waitcnt lgkmcnt(6)
	v_add_f32_e32 v82, v118, v128
	v_add_f32_e32 v70, v81, v133
	;; [unrolled: 1-line block ×3, first 2 shown]
	s_waitcnt lgkmcnt(5)
	v_dual_add_f32 v83, v97, v129 :: v_dual_add_f32 v80, v132, v134
	s_waitcnt lgkmcnt(4)
	v_add_f32_e32 v84, v100, v130
	s_waitcnt lgkmcnt(3)
	v_add_f32_e32 v86, v103, v131
	s_waitcnt lgkmcnt(1)
	v_dual_add_f32 v96, v112, v145 :: v_dual_add_f32 v87, v113, v144
	s_waitcnt lgkmcnt(0)
	v_add_f32_e32 v97, v114, v146
	s_waitcnt vmcnt(1)
	v_lshl_add_u32 v99, v102, 10, v99
	s_waitcnt vmcnt(0)
	v_and_b32_e32 v98, 7, v101
	v_and_b32_e32 v100, 0x3c0, v101
	s_delay_alu instid0(VALU_DEP_2)
	v_cmp_eq_u32_e32 vcc_lo, 0, v98
	scratch_load_b32 v98, off, s32 offset:1220 ; 4-byte Folded Reload
	s_waitcnt vmcnt(0)
	v_lshrrev_b32_e32 v98, 3, v98
	v_cmpx_eq_u32_e32 64, v100
	s_cbranch_execz .LBB63_163
; %bb.161:
	s_and_b32 exec_lo, exec_lo, vcc_lo
	s_cbranch_execz .LBB63_163
; %bb.162:
	v_lshlrev_b32_e32 v100, 2, v98
	s_delay_alu instid0(VALU_DEP_1)
	v_add3_u32 v100, v99, v100, 0xfffff800
	ds_store_2addr_b32 v100, v2, v3 offset1:4
	ds_store_2addr_b32 v100, v4, v5 offset0:8 offset1:12
	ds_store_2addr_b32 v100, v6, v7 offset0:16 offset1:20
	;; [unrolled: 1-line block ×31, first 2 shown]
.LBB63_163:
	s_or_b32 exec_lo, exec_lo, s3
	s_waitcnt lgkmcnt(0)
	s_barrier
	buffer_gl0_inv
	s_and_saveexec_b32 s1, s0
	s_cbranch_execz .LBB63_230
; %bb.164:
	s_and_saveexec_b32 s0, vcc_lo
	s_cbranch_execnz .LBB63_303
; %bb.165:
	s_or_b32 exec_lo, exec_lo, s0
	s_and_saveexec_b32 s0, vcc_lo
	s_cbranch_execnz .LBB63_304
.LBB63_166:
	s_or_b32 exec_lo, exec_lo, s0
	s_and_saveexec_b32 s0, vcc_lo
	s_cbranch_execnz .LBB63_305
.LBB63_167:
	s_or_b32 exec_lo, exec_lo, s0
	s_and_saveexec_b32 s0, vcc_lo
	s_cbranch_execnz .LBB63_306
.LBB63_168:
	s_or_b32 exec_lo, exec_lo, s0
	s_and_saveexec_b32 s0, vcc_lo
	s_cbranch_execnz .LBB63_307
.LBB63_169:
	s_or_b32 exec_lo, exec_lo, s0
	s_and_saveexec_b32 s0, vcc_lo
	s_cbranch_execnz .LBB63_308
.LBB63_170:
	s_or_b32 exec_lo, exec_lo, s0
	s_and_saveexec_b32 s0, vcc_lo
	s_cbranch_execnz .LBB63_309
.LBB63_171:
	s_or_b32 exec_lo, exec_lo, s0
	s_and_saveexec_b32 s0, vcc_lo
	s_cbranch_execnz .LBB63_310
.LBB63_172:
	s_or_b32 exec_lo, exec_lo, s0
	s_and_saveexec_b32 s0, vcc_lo
	s_cbranch_execnz .LBB63_311
.LBB63_173:
	s_or_b32 exec_lo, exec_lo, s0
	s_and_saveexec_b32 s0, vcc_lo
	s_cbranch_execnz .LBB63_312
.LBB63_174:
	s_or_b32 exec_lo, exec_lo, s0
	s_and_saveexec_b32 s0, vcc_lo
	s_cbranch_execnz .LBB63_313
.LBB63_175:
	s_or_b32 exec_lo, exec_lo, s0
	s_and_saveexec_b32 s0, vcc_lo
	s_cbranch_execnz .LBB63_314
.LBB63_176:
	s_or_b32 exec_lo, exec_lo, s0
	s_and_saveexec_b32 s0, vcc_lo
	s_cbranch_execnz .LBB63_315
.LBB63_177:
	s_or_b32 exec_lo, exec_lo, s0
	s_and_saveexec_b32 s0, vcc_lo
	s_cbranch_execnz .LBB63_316
.LBB63_178:
	s_or_b32 exec_lo, exec_lo, s0
	s_and_saveexec_b32 s0, vcc_lo
	s_cbranch_execnz .LBB63_317
.LBB63_179:
	s_or_b32 exec_lo, exec_lo, s0
	s_and_saveexec_b32 s0, vcc_lo
	s_cbranch_execnz .LBB63_318
.LBB63_180:
	s_or_b32 exec_lo, exec_lo, s0
	s_and_saveexec_b32 s0, vcc_lo
	s_cbranch_execnz .LBB63_319
.LBB63_181:
	s_or_b32 exec_lo, exec_lo, s0
	s_and_saveexec_b32 s0, vcc_lo
	s_cbranch_execnz .LBB63_320
.LBB63_182:
	s_or_b32 exec_lo, exec_lo, s0
	s_and_saveexec_b32 s0, vcc_lo
	s_cbranch_execnz .LBB63_321
.LBB63_183:
	s_or_b32 exec_lo, exec_lo, s0
	s_and_saveexec_b32 s0, vcc_lo
	s_cbranch_execnz .LBB63_322
.LBB63_184:
	s_or_b32 exec_lo, exec_lo, s0
	s_and_saveexec_b32 s0, vcc_lo
	s_cbranch_execnz .LBB63_323
.LBB63_185:
	s_or_b32 exec_lo, exec_lo, s0
	s_and_saveexec_b32 s0, vcc_lo
	s_cbranch_execnz .LBB63_324
.LBB63_186:
	s_or_b32 exec_lo, exec_lo, s0
	s_and_saveexec_b32 s0, vcc_lo
	s_cbranch_execnz .LBB63_325
.LBB63_187:
	s_or_b32 exec_lo, exec_lo, s0
	s_and_saveexec_b32 s0, vcc_lo
	s_cbranch_execnz .LBB63_326
.LBB63_188:
	s_or_b32 exec_lo, exec_lo, s0
	s_and_saveexec_b32 s0, vcc_lo
	s_cbranch_execnz .LBB63_327
.LBB63_189:
	s_or_b32 exec_lo, exec_lo, s0
	s_and_saveexec_b32 s0, vcc_lo
	s_cbranch_execnz .LBB63_328
.LBB63_190:
	s_or_b32 exec_lo, exec_lo, s0
	s_and_saveexec_b32 s0, vcc_lo
	s_cbranch_execnz .LBB63_329
.LBB63_191:
	s_or_b32 exec_lo, exec_lo, s0
	s_and_saveexec_b32 s0, vcc_lo
	s_cbranch_execnz .LBB63_330
.LBB63_192:
	s_or_b32 exec_lo, exec_lo, s0
	s_and_saveexec_b32 s0, vcc_lo
	s_cbranch_execnz .LBB63_331
.LBB63_193:
	s_or_b32 exec_lo, exec_lo, s0
	s_and_saveexec_b32 s0, vcc_lo
	s_cbranch_execnz .LBB63_332
.LBB63_194:
	s_or_b32 exec_lo, exec_lo, s0
	s_and_saveexec_b32 s0, vcc_lo
	s_cbranch_execnz .LBB63_333
.LBB63_195:
	s_or_b32 exec_lo, exec_lo, s0
	s_and_saveexec_b32 s0, vcc_lo
	s_cbranch_execnz .LBB63_334
.LBB63_196:
	s_or_b32 exec_lo, exec_lo, s0
	s_and_saveexec_b32 s0, vcc_lo
	s_cbranch_execnz .LBB63_335
.LBB63_197:
	s_or_b32 exec_lo, exec_lo, s0
	s_and_saveexec_b32 s0, vcc_lo
	s_cbranch_execnz .LBB63_336
.LBB63_198:
	s_or_b32 exec_lo, exec_lo, s0
	s_and_saveexec_b32 s0, vcc_lo
	s_cbranch_execnz .LBB63_337
.LBB63_199:
	s_or_b32 exec_lo, exec_lo, s0
	s_and_saveexec_b32 s0, vcc_lo
	s_cbranch_execnz .LBB63_338
.LBB63_200:
	s_or_b32 exec_lo, exec_lo, s0
	s_and_saveexec_b32 s0, vcc_lo
	s_cbranch_execnz .LBB63_339
.LBB63_201:
	s_or_b32 exec_lo, exec_lo, s0
	s_and_saveexec_b32 s0, vcc_lo
	s_cbranch_execnz .LBB63_340
.LBB63_202:
	s_or_b32 exec_lo, exec_lo, s0
	s_and_saveexec_b32 s0, vcc_lo
	s_cbranch_execnz .LBB63_341
.LBB63_203:
	s_or_b32 exec_lo, exec_lo, s0
	s_and_saveexec_b32 s0, vcc_lo
	s_cbranch_execnz .LBB63_342
.LBB63_204:
	s_or_b32 exec_lo, exec_lo, s0
	s_and_saveexec_b32 s0, vcc_lo
	s_cbranch_execnz .LBB63_343
.LBB63_205:
	s_or_b32 exec_lo, exec_lo, s0
	s_and_saveexec_b32 s0, vcc_lo
	s_cbranch_execnz .LBB63_344
.LBB63_206:
	s_or_b32 exec_lo, exec_lo, s0
	s_and_saveexec_b32 s0, vcc_lo
	s_cbranch_execnz .LBB63_345
.LBB63_207:
	s_or_b32 exec_lo, exec_lo, s0
	s_and_saveexec_b32 s0, vcc_lo
	s_cbranch_execnz .LBB63_346
.LBB63_208:
	s_or_b32 exec_lo, exec_lo, s0
	s_and_saveexec_b32 s0, vcc_lo
	s_cbranch_execnz .LBB63_347
.LBB63_209:
	s_or_b32 exec_lo, exec_lo, s0
	s_and_saveexec_b32 s0, vcc_lo
	s_cbranch_execnz .LBB63_348
.LBB63_210:
	s_or_b32 exec_lo, exec_lo, s0
	s_and_saveexec_b32 s0, vcc_lo
	s_cbranch_execnz .LBB63_349
.LBB63_211:
	s_or_b32 exec_lo, exec_lo, s0
	s_and_saveexec_b32 s0, vcc_lo
	s_cbranch_execnz .LBB63_350
.LBB63_212:
	s_or_b32 exec_lo, exec_lo, s0
	s_and_saveexec_b32 s0, vcc_lo
	s_cbranch_execnz .LBB63_351
.LBB63_213:
	s_or_b32 exec_lo, exec_lo, s0
	s_and_saveexec_b32 s0, vcc_lo
	s_cbranch_execnz .LBB63_352
.LBB63_214:
	s_or_b32 exec_lo, exec_lo, s0
	s_and_saveexec_b32 s0, vcc_lo
	s_cbranch_execnz .LBB63_353
.LBB63_215:
	s_or_b32 exec_lo, exec_lo, s0
	s_and_saveexec_b32 s0, vcc_lo
	s_cbranch_execnz .LBB63_354
.LBB63_216:
	s_or_b32 exec_lo, exec_lo, s0
	s_and_saveexec_b32 s0, vcc_lo
	s_cbranch_execnz .LBB63_355
.LBB63_217:
	s_or_b32 exec_lo, exec_lo, s0
	s_and_saveexec_b32 s0, vcc_lo
	s_cbranch_execnz .LBB63_356
.LBB63_218:
	s_or_b32 exec_lo, exec_lo, s0
	s_and_saveexec_b32 s0, vcc_lo
	s_cbranch_execnz .LBB63_357
.LBB63_219:
	s_or_b32 exec_lo, exec_lo, s0
	s_and_saveexec_b32 s0, vcc_lo
	s_cbranch_execnz .LBB63_358
.LBB63_220:
	s_or_b32 exec_lo, exec_lo, s0
	s_and_saveexec_b32 s0, vcc_lo
	s_cbranch_execnz .LBB63_359
.LBB63_221:
	s_or_b32 exec_lo, exec_lo, s0
	s_and_saveexec_b32 s0, vcc_lo
	s_cbranch_execnz .LBB63_360
.LBB63_222:
	s_or_b32 exec_lo, exec_lo, s0
	s_and_saveexec_b32 s0, vcc_lo
	s_cbranch_execnz .LBB63_361
.LBB63_223:
	s_or_b32 exec_lo, exec_lo, s0
	s_and_saveexec_b32 s0, vcc_lo
	s_cbranch_execnz .LBB63_362
.LBB63_224:
	s_or_b32 exec_lo, exec_lo, s0
	s_and_saveexec_b32 s0, vcc_lo
	s_cbranch_execnz .LBB63_363
.LBB63_225:
	s_or_b32 exec_lo, exec_lo, s0
	s_and_saveexec_b32 s0, vcc_lo
	s_cbranch_execnz .LBB63_364
.LBB63_226:
	s_or_b32 exec_lo, exec_lo, s0
	s_and_saveexec_b32 s0, vcc_lo
	s_cbranch_execnz .LBB63_365
.LBB63_227:
	s_or_b32 exec_lo, exec_lo, s0
	s_and_saveexec_b32 s0, vcc_lo
	s_cbranch_execz .LBB63_229
.LBB63_228:
	v_lshl_add_u32 v100, v98, 2, v99
	ds_load_b32 v100, v100 offset:1008
	s_waitcnt lgkmcnt(0)
	v_add_f32_e32 v97, v100, v97
.LBB63_229:
	s_or_b32 exec_lo, exec_lo, s0
.LBB63_230:
	s_delay_alu instid0(SALU_CYCLE_1)
	s_or_b32 exec_lo, exec_lo, s1
	v_and_b32_e32 v100, 0x3e7, v101
	s_mov_b32 s1, exec_lo
	s_barrier
	buffer_gl0_inv
	v_cmpx_eq_u32_e32 32, v100
	s_cbranch_execz .LBB63_232
; %bb.231:
	global_load_b32 v0, v[0:1], off
	s_waitcnt vmcnt(0)
	v_lshl_add_u32 v0, v98, 2, v0
	ds_store_2addr_b32 v0, v2, v3 offset1:4
	ds_store_2addr_b32 v0, v4, v5 offset0:8 offset1:12
	ds_store_2addr_b32 v0, v6, v7 offset0:16 offset1:20
	;; [unrolled: 1-line block ×31, first 2 shown]
.LBB63_232:
	s_or_b32 exec_lo, exec_lo, s1
	v_cmp_gt_u32_e64 s0, 32, v101
	s_waitcnt lgkmcnt(0)
	s_barrier
	buffer_gl0_inv
	s_and_saveexec_b32 s1, s0
	s_cbranch_execz .LBB63_299
; %bb.233:
	v_lshl_add_u32 v0, v98, 2, v99
	s_and_saveexec_b32 s3, vcc_lo
	s_cbranch_execnz .LBB63_366
; %bb.234:
	s_or_b32 exec_lo, exec_lo, s3
	s_and_saveexec_b32 s3, vcc_lo
	s_cbranch_execnz .LBB63_367
.LBB63_235:
	s_or_b32 exec_lo, exec_lo, s3
	s_and_saveexec_b32 s3, vcc_lo
	s_cbranch_execnz .LBB63_368
.LBB63_236:
	s_or_b32 exec_lo, exec_lo, s3
	s_and_saveexec_b32 s3, vcc_lo
	s_cbranch_execnz .LBB63_369
.LBB63_237:
	s_or_b32 exec_lo, exec_lo, s3
	s_and_saveexec_b32 s3, vcc_lo
	s_cbranch_execnz .LBB63_370
.LBB63_238:
	s_or_b32 exec_lo, exec_lo, s3
	s_and_saveexec_b32 s3, vcc_lo
	s_cbranch_execnz .LBB63_371
.LBB63_239:
	s_or_b32 exec_lo, exec_lo, s3
	s_and_saveexec_b32 s3, vcc_lo
	s_cbranch_execnz .LBB63_372
.LBB63_240:
	s_or_b32 exec_lo, exec_lo, s3
	s_and_saveexec_b32 s3, vcc_lo
	s_cbranch_execnz .LBB63_373
.LBB63_241:
	s_or_b32 exec_lo, exec_lo, s3
	s_and_saveexec_b32 s3, vcc_lo
	s_cbranch_execnz .LBB63_374
.LBB63_242:
	s_or_b32 exec_lo, exec_lo, s3
	s_and_saveexec_b32 s3, vcc_lo
	s_cbranch_execnz .LBB63_375
.LBB63_243:
	s_or_b32 exec_lo, exec_lo, s3
	s_and_saveexec_b32 s3, vcc_lo
	s_cbranch_execnz .LBB63_376
.LBB63_244:
	s_or_b32 exec_lo, exec_lo, s3
	s_and_saveexec_b32 s3, vcc_lo
	s_cbranch_execnz .LBB63_377
.LBB63_245:
	s_or_b32 exec_lo, exec_lo, s3
	s_and_saveexec_b32 s3, vcc_lo
	s_cbranch_execnz .LBB63_378
.LBB63_246:
	s_or_b32 exec_lo, exec_lo, s3
	s_and_saveexec_b32 s3, vcc_lo
	s_cbranch_execnz .LBB63_379
.LBB63_247:
	s_or_b32 exec_lo, exec_lo, s3
	s_and_saveexec_b32 s3, vcc_lo
	s_cbranch_execnz .LBB63_380
.LBB63_248:
	s_or_b32 exec_lo, exec_lo, s3
	s_and_saveexec_b32 s3, vcc_lo
	s_cbranch_execnz .LBB63_381
.LBB63_249:
	s_or_b32 exec_lo, exec_lo, s3
	s_and_saveexec_b32 s3, vcc_lo
	s_cbranch_execnz .LBB63_382
.LBB63_250:
	s_or_b32 exec_lo, exec_lo, s3
	s_and_saveexec_b32 s3, vcc_lo
	s_cbranch_execnz .LBB63_383
.LBB63_251:
	s_or_b32 exec_lo, exec_lo, s3
	s_and_saveexec_b32 s3, vcc_lo
	s_cbranch_execnz .LBB63_384
.LBB63_252:
	s_or_b32 exec_lo, exec_lo, s3
	s_and_saveexec_b32 s3, vcc_lo
	s_cbranch_execnz .LBB63_385
.LBB63_253:
	s_or_b32 exec_lo, exec_lo, s3
	s_and_saveexec_b32 s3, vcc_lo
	s_cbranch_execnz .LBB63_386
.LBB63_254:
	s_or_b32 exec_lo, exec_lo, s3
	s_and_saveexec_b32 s3, vcc_lo
	s_cbranch_execnz .LBB63_387
.LBB63_255:
	s_or_b32 exec_lo, exec_lo, s3
	s_and_saveexec_b32 s3, vcc_lo
	s_cbranch_execnz .LBB63_388
.LBB63_256:
	s_or_b32 exec_lo, exec_lo, s3
	s_and_saveexec_b32 s3, vcc_lo
	s_cbranch_execnz .LBB63_389
.LBB63_257:
	s_or_b32 exec_lo, exec_lo, s3
	s_and_saveexec_b32 s3, vcc_lo
	s_cbranch_execnz .LBB63_390
.LBB63_258:
	s_or_b32 exec_lo, exec_lo, s3
	s_and_saveexec_b32 s3, vcc_lo
	s_cbranch_execnz .LBB63_391
.LBB63_259:
	s_or_b32 exec_lo, exec_lo, s3
	s_and_saveexec_b32 s3, vcc_lo
	s_cbranch_execnz .LBB63_392
.LBB63_260:
	s_or_b32 exec_lo, exec_lo, s3
	s_and_saveexec_b32 s3, vcc_lo
	s_cbranch_execnz .LBB63_393
.LBB63_261:
	s_or_b32 exec_lo, exec_lo, s3
	s_and_saveexec_b32 s3, vcc_lo
	s_cbranch_execnz .LBB63_394
.LBB63_262:
	s_or_b32 exec_lo, exec_lo, s3
	s_and_saveexec_b32 s3, vcc_lo
	s_cbranch_execnz .LBB63_395
.LBB63_263:
	s_or_b32 exec_lo, exec_lo, s3
	s_and_saveexec_b32 s3, vcc_lo
	s_cbranch_execnz .LBB63_396
.LBB63_264:
	s_or_b32 exec_lo, exec_lo, s3
	s_and_saveexec_b32 s3, vcc_lo
	s_cbranch_execnz .LBB63_397
.LBB63_265:
	s_or_b32 exec_lo, exec_lo, s3
	s_and_saveexec_b32 s3, vcc_lo
	s_cbranch_execnz .LBB63_398
.LBB63_266:
	s_or_b32 exec_lo, exec_lo, s3
	s_and_saveexec_b32 s3, vcc_lo
	s_cbranch_execnz .LBB63_399
.LBB63_267:
	s_or_b32 exec_lo, exec_lo, s3
	s_and_saveexec_b32 s3, vcc_lo
	s_cbranch_execnz .LBB63_400
.LBB63_268:
	s_or_b32 exec_lo, exec_lo, s3
	s_and_saveexec_b32 s3, vcc_lo
	s_cbranch_execnz .LBB63_401
.LBB63_269:
	s_or_b32 exec_lo, exec_lo, s3
	s_and_saveexec_b32 s3, vcc_lo
	s_cbranch_execnz .LBB63_402
.LBB63_270:
	s_or_b32 exec_lo, exec_lo, s3
	s_and_saveexec_b32 s3, vcc_lo
	s_cbranch_execnz .LBB63_403
.LBB63_271:
	s_or_b32 exec_lo, exec_lo, s3
	s_and_saveexec_b32 s3, vcc_lo
	s_cbranch_execnz .LBB63_404
.LBB63_272:
	s_or_b32 exec_lo, exec_lo, s3
	s_and_saveexec_b32 s3, vcc_lo
	s_cbranch_execnz .LBB63_405
.LBB63_273:
	s_or_b32 exec_lo, exec_lo, s3
	s_and_saveexec_b32 s3, vcc_lo
	s_cbranch_execnz .LBB63_406
.LBB63_274:
	s_or_b32 exec_lo, exec_lo, s3
	s_and_saveexec_b32 s3, vcc_lo
	s_cbranch_execnz .LBB63_407
.LBB63_275:
	s_or_b32 exec_lo, exec_lo, s3
	s_and_saveexec_b32 s3, vcc_lo
	s_cbranch_execnz .LBB63_408
.LBB63_276:
	s_or_b32 exec_lo, exec_lo, s3
	s_and_saveexec_b32 s3, vcc_lo
	s_cbranch_execnz .LBB63_409
.LBB63_277:
	s_or_b32 exec_lo, exec_lo, s3
	s_and_saveexec_b32 s3, vcc_lo
	s_cbranch_execnz .LBB63_410
.LBB63_278:
	s_or_b32 exec_lo, exec_lo, s3
	s_and_saveexec_b32 s3, vcc_lo
	s_cbranch_execnz .LBB63_411
.LBB63_279:
	s_or_b32 exec_lo, exec_lo, s3
	s_and_saveexec_b32 s3, vcc_lo
	s_cbranch_execnz .LBB63_412
.LBB63_280:
	s_or_b32 exec_lo, exec_lo, s3
	s_and_saveexec_b32 s3, vcc_lo
	s_cbranch_execnz .LBB63_413
.LBB63_281:
	s_or_b32 exec_lo, exec_lo, s3
	s_and_saveexec_b32 s3, vcc_lo
	s_cbranch_execnz .LBB63_414
.LBB63_282:
	s_or_b32 exec_lo, exec_lo, s3
	s_and_saveexec_b32 s3, vcc_lo
	s_cbranch_execnz .LBB63_415
.LBB63_283:
	s_or_b32 exec_lo, exec_lo, s3
	s_and_saveexec_b32 s3, vcc_lo
	s_cbranch_execnz .LBB63_416
.LBB63_284:
	s_or_b32 exec_lo, exec_lo, s3
	s_and_saveexec_b32 s3, vcc_lo
	s_cbranch_execnz .LBB63_417
.LBB63_285:
	s_or_b32 exec_lo, exec_lo, s3
	s_and_saveexec_b32 s3, vcc_lo
	s_cbranch_execnz .LBB63_418
.LBB63_286:
	s_or_b32 exec_lo, exec_lo, s3
	s_and_saveexec_b32 s3, vcc_lo
	s_cbranch_execnz .LBB63_419
.LBB63_287:
	s_or_b32 exec_lo, exec_lo, s3
	s_and_saveexec_b32 s3, vcc_lo
	s_cbranch_execnz .LBB63_420
.LBB63_288:
	s_or_b32 exec_lo, exec_lo, s3
	s_and_saveexec_b32 s3, vcc_lo
	s_cbranch_execnz .LBB63_421
.LBB63_289:
	s_or_b32 exec_lo, exec_lo, s3
	s_and_saveexec_b32 s3, vcc_lo
	s_cbranch_execnz .LBB63_422
.LBB63_290:
	s_or_b32 exec_lo, exec_lo, s3
	s_and_saveexec_b32 s3, vcc_lo
	s_cbranch_execnz .LBB63_423
.LBB63_291:
	s_or_b32 exec_lo, exec_lo, s3
	s_and_saveexec_b32 s3, vcc_lo
	s_cbranch_execnz .LBB63_424
.LBB63_292:
	s_or_b32 exec_lo, exec_lo, s3
	s_and_saveexec_b32 s3, vcc_lo
	s_cbranch_execnz .LBB63_425
.LBB63_293:
	s_or_b32 exec_lo, exec_lo, s3
	s_and_saveexec_b32 s3, vcc_lo
	s_cbranch_execnz .LBB63_426
.LBB63_294:
	s_or_b32 exec_lo, exec_lo, s3
	s_and_saveexec_b32 s3, vcc_lo
	s_cbranch_execnz .LBB63_427
.LBB63_295:
	s_or_b32 exec_lo, exec_lo, s3
	s_and_saveexec_b32 s3, vcc_lo
	s_cbranch_execnz .LBB63_428
.LBB63_296:
	s_or_b32 exec_lo, exec_lo, s3
	s_and_saveexec_b32 s3, vcc_lo
	s_cbranch_execz .LBB63_298
.LBB63_297:
	ds_load_b32 v0, v0 offset:1008
	s_waitcnt lgkmcnt(0)
	v_add_f32_e32 v97, v0, v97
.LBB63_298:
	s_or_b32 exec_lo, exec_lo, s3
.LBB63_299:
	s_delay_alu instid0(SALU_CYCLE_1)
	s_or_b32 exec_lo, exec_lo, s1
	s_barrier
	buffer_gl0_inv
	s_and_b32 exec_lo, exec_lo, s0
	s_cbranch_execz .LBB63_302
; %bb.300:
	s_and_b32 exec_lo, exec_lo, vcc_lo
	s_cbranch_execz .LBB63_302
; %bb.301:
	s_clause 0x1
	scratch_load_b32 v1, off, s32 offset:1228
	scratch_load_b32 v98, off, s32 offset:1224
	s_mul_i32 s1, s2, s6
	s_mul_i32 s0, s10, s2
	;; [unrolled: 1-line block ×3, first 2 shown]
	s_lshl_b32 s2, s14, 8
	s_lshl_b32 s6, s1, 8
	s_ashr_i32 s1, s0, 31
	s_ashr_i32 s3, s2, 31
	;; [unrolled: 1-line block ×3, first 2 shown]
	s_lshl_b64 s[0:1], s[0:1], 2
	s_lshl_b64 s[2:3], s[2:3], 2
	;; [unrolled: 1-line block ×3, first 2 shown]
	v_lshrrev_b32_e32 v0, 1, v101
	s_add_u32 s0, s2, s0
	s_addc_u32 s1, s3, s1
	s_add_u32 s0, s0, s6
	s_addc_u32 s1, s1, s7
	v_and_b32_e32 v0, 0x1fc, v0
	s_waitcnt vmcnt(1)
	v_add_co_u32 v1, vcc_lo, s0, v1
	s_waitcnt vmcnt(0)
	v_add_co_ci_u32_e32 v98, vcc_lo, s1, v98, vcc_lo
	s_delay_alu instid0(VALU_DEP_2) | instskip(NEXT) | instid1(VALU_DEP_2)
	v_add_co_u32 v0, vcc_lo, v1, v0
	v_add_co_ci_u32_e32 v1, vcc_lo, 0, v98, vcc_lo
	s_clause 0x1f
	flat_store_b32 v[0:1], v2
	flat_store_b32 v[0:1], v3 offset:16
	flat_store_b32 v[0:1], v4 offset:32
	;; [unrolled: 1-line block ×31, first 2 shown]
	s_clause 0x1f
	flat_store_b32 v[0:1], v34 offset:512
	flat_store_b32 v[0:1], v35 offset:528
	;; [unrolled: 1-line block ×32, first 2 shown]
.LBB63_302:
	s_or_b32 exec_lo, exec_lo, s5
	s_clause 0x1f
	scratch_load_b32 v191, off, s32
	scratch_load_b32 v190, off, s32 offset:4
	scratch_load_b32 v189, off, s32 offset:8
	;; [unrolled: 1-line block ×31, first 2 shown]
	s_clause 0x1f
	scratch_load_b32 v127, off, s32 offset:128
	scratch_load_b32 v126, off, s32 offset:132
	;; [unrolled: 1-line block ×32, first 2 shown]
	s_clause 0xf
	scratch_load_b32 v63, off, s32 offset:256
	scratch_load_b32 v62, off, s32 offset:260
	;; [unrolled: 1-line block ×16, first 2 shown]
	s_waitcnt vmcnt(0) lgkmcnt(0)
	s_setpc_b64 s[30:31]
.LBB63_303:
	v_lshl_add_u32 v100, v98, 2, v99
	ds_load_b32 v100, v100
	s_waitcnt lgkmcnt(0)
	v_add_f32_e32 v2, v100, v2
	s_or_b32 exec_lo, exec_lo, s0
	s_and_saveexec_b32 s0, vcc_lo
	s_cbranch_execz .LBB63_166
.LBB63_304:
	v_lshl_add_u32 v100, v98, 2, v99
	ds_load_b32 v100, v100 offset:16
	s_waitcnt lgkmcnt(0)
	v_add_f32_e32 v3, v100, v3
	s_or_b32 exec_lo, exec_lo, s0
	s_and_saveexec_b32 s0, vcc_lo
	s_cbranch_execz .LBB63_167
.LBB63_305:
	v_lshl_add_u32 v100, v98, 2, v99
	ds_load_b32 v100, v100 offset:32
	s_waitcnt lgkmcnt(0)
	v_add_f32_e32 v4, v100, v4
	s_or_b32 exec_lo, exec_lo, s0
	s_and_saveexec_b32 s0, vcc_lo
	s_cbranch_execz .LBB63_168
.LBB63_306:
	v_lshl_add_u32 v100, v98, 2, v99
	ds_load_b32 v100, v100 offset:48
	s_waitcnt lgkmcnt(0)
	v_add_f32_e32 v5, v100, v5
	s_or_b32 exec_lo, exec_lo, s0
	s_and_saveexec_b32 s0, vcc_lo
	s_cbranch_execz .LBB63_169
.LBB63_307:
	v_lshl_add_u32 v100, v98, 2, v99
	ds_load_b32 v100, v100 offset:64
	s_waitcnt lgkmcnt(0)
	v_add_f32_e32 v6, v100, v6
	s_or_b32 exec_lo, exec_lo, s0
	s_and_saveexec_b32 s0, vcc_lo
	s_cbranch_execz .LBB63_170
.LBB63_308:
	v_lshl_add_u32 v100, v98, 2, v99
	ds_load_b32 v100, v100 offset:80
	s_waitcnt lgkmcnt(0)
	v_add_f32_e32 v7, v100, v7
	s_or_b32 exec_lo, exec_lo, s0
	s_and_saveexec_b32 s0, vcc_lo
	s_cbranch_execz .LBB63_171
.LBB63_309:
	v_lshl_add_u32 v100, v98, 2, v99
	ds_load_b32 v100, v100 offset:96
	s_waitcnt lgkmcnt(0)
	v_add_f32_e32 v8, v100, v8
	s_or_b32 exec_lo, exec_lo, s0
	s_and_saveexec_b32 s0, vcc_lo
	s_cbranch_execz .LBB63_172
.LBB63_310:
	v_lshl_add_u32 v100, v98, 2, v99
	ds_load_b32 v100, v100 offset:112
	s_waitcnt lgkmcnt(0)
	v_add_f32_e32 v9, v100, v9
	s_or_b32 exec_lo, exec_lo, s0
	s_and_saveexec_b32 s0, vcc_lo
	s_cbranch_execz .LBB63_173
.LBB63_311:
	v_lshl_add_u32 v100, v98, 2, v99
	ds_load_b32 v100, v100 offset:128
	s_waitcnt lgkmcnt(0)
	v_add_f32_e32 v10, v100, v10
	s_or_b32 exec_lo, exec_lo, s0
	s_and_saveexec_b32 s0, vcc_lo
	s_cbranch_execz .LBB63_174
.LBB63_312:
	v_lshl_add_u32 v100, v98, 2, v99
	ds_load_b32 v100, v100 offset:144
	s_waitcnt lgkmcnt(0)
	v_add_f32_e32 v11, v100, v11
	s_or_b32 exec_lo, exec_lo, s0
	s_and_saveexec_b32 s0, vcc_lo
	s_cbranch_execz .LBB63_175
.LBB63_313:
	v_lshl_add_u32 v100, v98, 2, v99
	ds_load_b32 v100, v100 offset:160
	s_waitcnt lgkmcnt(0)
	v_add_f32_e32 v12, v100, v12
	s_or_b32 exec_lo, exec_lo, s0
	s_and_saveexec_b32 s0, vcc_lo
	s_cbranch_execz .LBB63_176
.LBB63_314:
	v_lshl_add_u32 v100, v98, 2, v99
	ds_load_b32 v100, v100 offset:176
	s_waitcnt lgkmcnt(0)
	v_add_f32_e32 v13, v100, v13
	s_or_b32 exec_lo, exec_lo, s0
	s_and_saveexec_b32 s0, vcc_lo
	s_cbranch_execz .LBB63_177
.LBB63_315:
	v_lshl_add_u32 v100, v98, 2, v99
	ds_load_b32 v100, v100 offset:192
	s_waitcnt lgkmcnt(0)
	v_add_f32_e32 v14, v100, v14
	s_or_b32 exec_lo, exec_lo, s0
	s_and_saveexec_b32 s0, vcc_lo
	s_cbranch_execz .LBB63_178
.LBB63_316:
	v_lshl_add_u32 v100, v98, 2, v99
	ds_load_b32 v100, v100 offset:208
	s_waitcnt lgkmcnt(0)
	v_add_f32_e32 v15, v100, v15
	s_or_b32 exec_lo, exec_lo, s0
	s_and_saveexec_b32 s0, vcc_lo
	s_cbranch_execz .LBB63_179
.LBB63_317:
	v_lshl_add_u32 v100, v98, 2, v99
	ds_load_b32 v100, v100 offset:224
	s_waitcnt lgkmcnt(0)
	v_add_f32_e32 v16, v100, v16
	s_or_b32 exec_lo, exec_lo, s0
	s_and_saveexec_b32 s0, vcc_lo
	s_cbranch_execz .LBB63_180
.LBB63_318:
	v_lshl_add_u32 v100, v98, 2, v99
	ds_load_b32 v100, v100 offset:240
	s_waitcnt lgkmcnt(0)
	v_add_f32_e32 v17, v100, v17
	s_or_b32 exec_lo, exec_lo, s0
	s_and_saveexec_b32 s0, vcc_lo
	s_cbranch_execz .LBB63_181
.LBB63_319:
	v_lshl_add_u32 v100, v98, 2, v99
	ds_load_b32 v100, v100 offset:256
	s_waitcnt lgkmcnt(0)
	v_add_f32_e32 v18, v100, v18
	s_or_b32 exec_lo, exec_lo, s0
	s_and_saveexec_b32 s0, vcc_lo
	s_cbranch_execz .LBB63_182
.LBB63_320:
	v_lshl_add_u32 v100, v98, 2, v99
	ds_load_b32 v100, v100 offset:272
	s_waitcnt lgkmcnt(0)
	v_add_f32_e32 v19, v100, v19
	s_or_b32 exec_lo, exec_lo, s0
	s_and_saveexec_b32 s0, vcc_lo
	s_cbranch_execz .LBB63_183
.LBB63_321:
	v_lshl_add_u32 v100, v98, 2, v99
	ds_load_b32 v100, v100 offset:288
	s_waitcnt lgkmcnt(0)
	v_add_f32_e32 v20, v100, v20
	s_or_b32 exec_lo, exec_lo, s0
	s_and_saveexec_b32 s0, vcc_lo
	s_cbranch_execz .LBB63_184
.LBB63_322:
	v_lshl_add_u32 v100, v98, 2, v99
	ds_load_b32 v100, v100 offset:304
	s_waitcnt lgkmcnt(0)
	v_add_f32_e32 v21, v100, v21
	s_or_b32 exec_lo, exec_lo, s0
	s_and_saveexec_b32 s0, vcc_lo
	s_cbranch_execz .LBB63_185
.LBB63_323:
	v_lshl_add_u32 v100, v98, 2, v99
	ds_load_b32 v100, v100 offset:320
	s_waitcnt lgkmcnt(0)
	v_add_f32_e32 v22, v100, v22
	s_or_b32 exec_lo, exec_lo, s0
	s_and_saveexec_b32 s0, vcc_lo
	s_cbranch_execz .LBB63_186
.LBB63_324:
	v_lshl_add_u32 v100, v98, 2, v99
	ds_load_b32 v100, v100 offset:336
	s_waitcnt lgkmcnt(0)
	v_add_f32_e32 v23, v100, v23
	s_or_b32 exec_lo, exec_lo, s0
	s_and_saveexec_b32 s0, vcc_lo
	s_cbranch_execz .LBB63_187
.LBB63_325:
	v_lshl_add_u32 v100, v98, 2, v99
	ds_load_b32 v100, v100 offset:352
	s_waitcnt lgkmcnt(0)
	v_add_f32_e32 v24, v100, v24
	s_or_b32 exec_lo, exec_lo, s0
	s_and_saveexec_b32 s0, vcc_lo
	s_cbranch_execz .LBB63_188
.LBB63_326:
	v_lshl_add_u32 v100, v98, 2, v99
	ds_load_b32 v100, v100 offset:368
	s_waitcnt lgkmcnt(0)
	v_add_f32_e32 v25, v100, v25
	s_or_b32 exec_lo, exec_lo, s0
	s_and_saveexec_b32 s0, vcc_lo
	s_cbranch_execz .LBB63_189
.LBB63_327:
	v_lshl_add_u32 v100, v98, 2, v99
	ds_load_b32 v100, v100 offset:384
	s_waitcnt lgkmcnt(0)
	v_add_f32_e32 v26, v100, v26
	s_or_b32 exec_lo, exec_lo, s0
	s_and_saveexec_b32 s0, vcc_lo
	s_cbranch_execz .LBB63_190
.LBB63_328:
	v_lshl_add_u32 v100, v98, 2, v99
	ds_load_b32 v100, v100 offset:400
	s_waitcnt lgkmcnt(0)
	v_add_f32_e32 v27, v100, v27
	s_or_b32 exec_lo, exec_lo, s0
	s_and_saveexec_b32 s0, vcc_lo
	s_cbranch_execz .LBB63_191
.LBB63_329:
	v_lshl_add_u32 v100, v98, 2, v99
	ds_load_b32 v100, v100 offset:416
	s_waitcnt lgkmcnt(0)
	v_add_f32_e32 v28, v100, v28
	s_or_b32 exec_lo, exec_lo, s0
	s_and_saveexec_b32 s0, vcc_lo
	s_cbranch_execz .LBB63_192
.LBB63_330:
	v_lshl_add_u32 v100, v98, 2, v99
	ds_load_b32 v100, v100 offset:432
	s_waitcnt lgkmcnt(0)
	v_add_f32_e32 v29, v100, v29
	s_or_b32 exec_lo, exec_lo, s0
	s_and_saveexec_b32 s0, vcc_lo
	s_cbranch_execz .LBB63_193
.LBB63_331:
	v_lshl_add_u32 v100, v98, 2, v99
	ds_load_b32 v100, v100 offset:448
	s_waitcnt lgkmcnt(0)
	v_add_f32_e32 v30, v100, v30
	s_or_b32 exec_lo, exec_lo, s0
	s_and_saveexec_b32 s0, vcc_lo
	s_cbranch_execz .LBB63_194
.LBB63_332:
	v_lshl_add_u32 v100, v98, 2, v99
	ds_load_b32 v100, v100 offset:464
	s_waitcnt lgkmcnt(0)
	v_add_f32_e32 v31, v100, v31
	s_or_b32 exec_lo, exec_lo, s0
	s_and_saveexec_b32 s0, vcc_lo
	s_cbranch_execz .LBB63_195
.LBB63_333:
	v_lshl_add_u32 v100, v98, 2, v99
	ds_load_b32 v100, v100 offset:480
	s_waitcnt lgkmcnt(0)
	v_add_f32_e32 v32, v100, v32
	s_or_b32 exec_lo, exec_lo, s0
	s_and_saveexec_b32 s0, vcc_lo
	s_cbranch_execz .LBB63_196
.LBB63_334:
	v_lshl_add_u32 v100, v98, 2, v99
	ds_load_b32 v100, v100 offset:496
	s_waitcnt lgkmcnt(0)
	v_add_f32_e32 v33, v100, v33
	s_or_b32 exec_lo, exec_lo, s0
	s_and_saveexec_b32 s0, vcc_lo
	s_cbranch_execz .LBB63_197
.LBB63_335:
	v_lshl_add_u32 v100, v98, 2, v99
	ds_load_b32 v100, v100 offset:512
	s_waitcnt lgkmcnt(0)
	v_add_f32_e32 v34, v100, v34
	s_or_b32 exec_lo, exec_lo, s0
	s_and_saveexec_b32 s0, vcc_lo
	s_cbranch_execz .LBB63_198
.LBB63_336:
	v_lshl_add_u32 v100, v98, 2, v99
	ds_load_b32 v100, v100 offset:528
	s_waitcnt lgkmcnt(0)
	v_add_f32_e32 v35, v100, v35
	s_or_b32 exec_lo, exec_lo, s0
	s_and_saveexec_b32 s0, vcc_lo
	s_cbranch_execz .LBB63_199
.LBB63_337:
	v_lshl_add_u32 v100, v98, 2, v99
	ds_load_b32 v100, v100 offset:544
	s_waitcnt lgkmcnt(0)
	v_add_f32_e32 v36, v100, v36
	s_or_b32 exec_lo, exec_lo, s0
	s_and_saveexec_b32 s0, vcc_lo
	s_cbranch_execz .LBB63_200
.LBB63_338:
	v_lshl_add_u32 v100, v98, 2, v99
	ds_load_b32 v100, v100 offset:560
	s_waitcnt lgkmcnt(0)
	v_add_f32_e32 v37, v100, v37
	s_or_b32 exec_lo, exec_lo, s0
	s_and_saveexec_b32 s0, vcc_lo
	s_cbranch_execz .LBB63_201
.LBB63_339:
	v_lshl_add_u32 v100, v98, 2, v99
	ds_load_b32 v100, v100 offset:576
	s_waitcnt lgkmcnt(0)
	v_add_f32_e32 v38, v100, v38
	s_or_b32 exec_lo, exec_lo, s0
	s_and_saveexec_b32 s0, vcc_lo
	s_cbranch_execz .LBB63_202
.LBB63_340:
	v_lshl_add_u32 v100, v98, 2, v99
	ds_load_b32 v100, v100 offset:592
	s_waitcnt lgkmcnt(0)
	v_add_f32_e32 v39, v100, v39
	s_or_b32 exec_lo, exec_lo, s0
	s_and_saveexec_b32 s0, vcc_lo
	s_cbranch_execz .LBB63_203
.LBB63_341:
	v_lshl_add_u32 v100, v98, 2, v99
	ds_load_b32 v100, v100 offset:608
	s_waitcnt lgkmcnt(0)
	v_add_f32_e32 v48, v100, v48
	s_or_b32 exec_lo, exec_lo, s0
	s_and_saveexec_b32 s0, vcc_lo
	s_cbranch_execz .LBB63_204
.LBB63_342:
	v_lshl_add_u32 v100, v98, 2, v99
	ds_load_b32 v100, v100 offset:624
	s_waitcnt lgkmcnt(0)
	v_add_f32_e32 v49, v100, v49
	s_or_b32 exec_lo, exec_lo, s0
	s_and_saveexec_b32 s0, vcc_lo
	s_cbranch_execz .LBB63_205
.LBB63_343:
	v_lshl_add_u32 v100, v98, 2, v99
	ds_load_b32 v100, v100 offset:640
	s_waitcnt lgkmcnt(0)
	v_add_f32_e32 v50, v100, v50
	s_or_b32 exec_lo, exec_lo, s0
	s_and_saveexec_b32 s0, vcc_lo
	s_cbranch_execz .LBB63_206
.LBB63_344:
	v_lshl_add_u32 v100, v98, 2, v99
	ds_load_b32 v100, v100 offset:656
	s_waitcnt lgkmcnt(0)
	v_add_f32_e32 v51, v100, v51
	s_or_b32 exec_lo, exec_lo, s0
	s_and_saveexec_b32 s0, vcc_lo
	s_cbranch_execz .LBB63_207
.LBB63_345:
	v_lshl_add_u32 v100, v98, 2, v99
	ds_load_b32 v100, v100 offset:672
	s_waitcnt lgkmcnt(0)
	v_add_f32_e32 v52, v100, v52
	s_or_b32 exec_lo, exec_lo, s0
	s_and_saveexec_b32 s0, vcc_lo
	s_cbranch_execz .LBB63_208
.LBB63_346:
	v_lshl_add_u32 v100, v98, 2, v99
	ds_load_b32 v100, v100 offset:688
	s_waitcnt lgkmcnt(0)
	v_add_f32_e32 v53, v100, v53
	s_or_b32 exec_lo, exec_lo, s0
	s_and_saveexec_b32 s0, vcc_lo
	s_cbranch_execz .LBB63_209
.LBB63_347:
	v_lshl_add_u32 v100, v98, 2, v99
	ds_load_b32 v100, v100 offset:704
	s_waitcnt lgkmcnt(0)
	v_add_f32_e32 v54, v100, v54
	s_or_b32 exec_lo, exec_lo, s0
	s_and_saveexec_b32 s0, vcc_lo
	s_cbranch_execz .LBB63_210
.LBB63_348:
	v_lshl_add_u32 v100, v98, 2, v99
	ds_load_b32 v100, v100 offset:720
	s_waitcnt lgkmcnt(0)
	v_add_f32_e32 v55, v100, v55
	s_or_b32 exec_lo, exec_lo, s0
	s_and_saveexec_b32 s0, vcc_lo
	s_cbranch_execz .LBB63_211
.LBB63_349:
	v_lshl_add_u32 v100, v98, 2, v99
	ds_load_b32 v100, v100 offset:736
	s_waitcnt lgkmcnt(0)
	v_add_f32_e32 v64, v100, v64
	s_or_b32 exec_lo, exec_lo, s0
	s_and_saveexec_b32 s0, vcc_lo
	s_cbranch_execz .LBB63_212
.LBB63_350:
	v_lshl_add_u32 v100, v98, 2, v99
	ds_load_b32 v100, v100 offset:752
	s_waitcnt lgkmcnt(0)
	v_add_f32_e32 v65, v100, v65
	s_or_b32 exec_lo, exec_lo, s0
	s_and_saveexec_b32 s0, vcc_lo
	s_cbranch_execz .LBB63_213
.LBB63_351:
	v_lshl_add_u32 v100, v98, 2, v99
	ds_load_b32 v100, v100 offset:768
	s_waitcnt lgkmcnt(0)
	v_add_f32_e32 v66, v100, v66
	s_or_b32 exec_lo, exec_lo, s0
	s_and_saveexec_b32 s0, vcc_lo
	s_cbranch_execz .LBB63_214
.LBB63_352:
	v_lshl_add_u32 v100, v98, 2, v99
	ds_load_b32 v100, v100 offset:784
	s_waitcnt lgkmcnt(0)
	v_add_f32_e32 v67, v100, v67
	s_or_b32 exec_lo, exec_lo, s0
	s_and_saveexec_b32 s0, vcc_lo
	s_cbranch_execz .LBB63_215
.LBB63_353:
	v_lshl_add_u32 v100, v98, 2, v99
	ds_load_b32 v100, v100 offset:800
	s_waitcnt lgkmcnt(0)
	v_add_f32_e32 v68, v100, v68
	s_or_b32 exec_lo, exec_lo, s0
	s_and_saveexec_b32 s0, vcc_lo
	s_cbranch_execz .LBB63_216
.LBB63_354:
	v_lshl_add_u32 v100, v98, 2, v99
	ds_load_b32 v100, v100 offset:816
	s_waitcnt lgkmcnt(0)
	v_add_f32_e32 v69, v100, v69
	s_or_b32 exec_lo, exec_lo, s0
	s_and_saveexec_b32 s0, vcc_lo
	s_cbranch_execz .LBB63_217
.LBB63_355:
	v_lshl_add_u32 v100, v98, 2, v99
	ds_load_b32 v100, v100 offset:832
	s_waitcnt lgkmcnt(0)
	v_add_f32_e32 v70, v100, v70
	s_or_b32 exec_lo, exec_lo, s0
	s_and_saveexec_b32 s0, vcc_lo
	s_cbranch_execz .LBB63_218
.LBB63_356:
	v_lshl_add_u32 v100, v98, 2, v99
	ds_load_b32 v100, v100 offset:848
	s_waitcnt lgkmcnt(0)
	v_add_f32_e32 v71, v100, v71
	s_or_b32 exec_lo, exec_lo, s0
	s_and_saveexec_b32 s0, vcc_lo
	s_cbranch_execz .LBB63_219
.LBB63_357:
	v_lshl_add_u32 v100, v98, 2, v99
	ds_load_b32 v100, v100 offset:864
	s_waitcnt lgkmcnt(0)
	v_add_f32_e32 v80, v100, v80
	s_or_b32 exec_lo, exec_lo, s0
	s_and_saveexec_b32 s0, vcc_lo
	s_cbranch_execz .LBB63_220
.LBB63_358:
	v_lshl_add_u32 v100, v98, 2, v99
	ds_load_b32 v100, v100 offset:880
	s_waitcnt lgkmcnt(0)
	v_add_f32_e32 v81, v100, v81
	s_or_b32 exec_lo, exec_lo, s0
	s_and_saveexec_b32 s0, vcc_lo
	s_cbranch_execz .LBB63_221
.LBB63_359:
	v_lshl_add_u32 v100, v98, 2, v99
	ds_load_b32 v100, v100 offset:896
	s_waitcnt lgkmcnt(0)
	v_add_f32_e32 v82, v100, v82
	s_or_b32 exec_lo, exec_lo, s0
	s_and_saveexec_b32 s0, vcc_lo
	s_cbranch_execz .LBB63_222
.LBB63_360:
	v_lshl_add_u32 v100, v98, 2, v99
	ds_load_b32 v100, v100 offset:912
	s_waitcnt lgkmcnt(0)
	v_add_f32_e32 v83, v100, v83
	s_or_b32 exec_lo, exec_lo, s0
	s_and_saveexec_b32 s0, vcc_lo
	s_cbranch_execz .LBB63_223
.LBB63_361:
	v_lshl_add_u32 v100, v98, 2, v99
	ds_load_b32 v100, v100 offset:928
	s_waitcnt lgkmcnt(0)
	v_add_f32_e32 v84, v100, v84
	s_or_b32 exec_lo, exec_lo, s0
	s_and_saveexec_b32 s0, vcc_lo
	s_cbranch_execz .LBB63_224
.LBB63_362:
	v_lshl_add_u32 v100, v98, 2, v99
	ds_load_b32 v100, v100 offset:944
	s_waitcnt lgkmcnt(0)
	v_add_f32_e32 v85, v100, v85
	s_or_b32 exec_lo, exec_lo, s0
	s_and_saveexec_b32 s0, vcc_lo
	s_cbranch_execz .LBB63_225
.LBB63_363:
	v_lshl_add_u32 v100, v98, 2, v99
	ds_load_b32 v100, v100 offset:960
	s_waitcnt lgkmcnt(0)
	v_add_f32_e32 v86, v100, v86
	s_or_b32 exec_lo, exec_lo, s0
	s_and_saveexec_b32 s0, vcc_lo
	s_cbranch_execz .LBB63_226
.LBB63_364:
	v_lshl_add_u32 v100, v98, 2, v99
	ds_load_b32 v100, v100 offset:976
	s_waitcnt lgkmcnt(0)
	v_add_f32_e32 v87, v100, v87
	s_or_b32 exec_lo, exec_lo, s0
	s_and_saveexec_b32 s0, vcc_lo
	s_cbranch_execz .LBB63_227
.LBB63_365:
	v_lshl_add_u32 v100, v98, 2, v99
	ds_load_b32 v100, v100 offset:992
	s_waitcnt lgkmcnt(0)
	v_add_f32_e32 v96, v100, v96
	s_or_b32 exec_lo, exec_lo, s0
	s_and_saveexec_b32 s0, vcc_lo
	s_cbranch_execnz .LBB63_228
	s_branch .LBB63_229
.LBB63_366:
	ds_load_b32 v1, v0
	s_waitcnt lgkmcnt(0)
	v_add_f32_e32 v2, v1, v2
	s_or_b32 exec_lo, exec_lo, s3
	s_and_saveexec_b32 s3, vcc_lo
	s_cbranch_execz .LBB63_235
.LBB63_367:
	ds_load_b32 v1, v0 offset:16
	s_waitcnt lgkmcnt(0)
	v_add_f32_e32 v3, v1, v3
	s_or_b32 exec_lo, exec_lo, s3
	s_and_saveexec_b32 s3, vcc_lo
	s_cbranch_execz .LBB63_236
.LBB63_368:
	ds_load_b32 v1, v0 offset:32
	s_waitcnt lgkmcnt(0)
	v_add_f32_e32 v4, v1, v4
	s_or_b32 exec_lo, exec_lo, s3
	s_and_saveexec_b32 s3, vcc_lo
	s_cbranch_execz .LBB63_237
.LBB63_369:
	ds_load_b32 v1, v0 offset:48
	s_waitcnt lgkmcnt(0)
	v_add_f32_e32 v5, v1, v5
	s_or_b32 exec_lo, exec_lo, s3
	s_and_saveexec_b32 s3, vcc_lo
	s_cbranch_execz .LBB63_238
.LBB63_370:
	ds_load_b32 v1, v0 offset:64
	s_waitcnt lgkmcnt(0)
	v_add_f32_e32 v6, v1, v6
	s_or_b32 exec_lo, exec_lo, s3
	s_and_saveexec_b32 s3, vcc_lo
	s_cbranch_execz .LBB63_239
.LBB63_371:
	ds_load_b32 v1, v0 offset:80
	s_waitcnt lgkmcnt(0)
	v_add_f32_e32 v7, v1, v7
	s_or_b32 exec_lo, exec_lo, s3
	s_and_saveexec_b32 s3, vcc_lo
	s_cbranch_execz .LBB63_240
.LBB63_372:
	ds_load_b32 v1, v0 offset:96
	s_waitcnt lgkmcnt(0)
	v_add_f32_e32 v8, v1, v8
	s_or_b32 exec_lo, exec_lo, s3
	s_and_saveexec_b32 s3, vcc_lo
	s_cbranch_execz .LBB63_241
.LBB63_373:
	ds_load_b32 v1, v0 offset:112
	s_waitcnt lgkmcnt(0)
	v_add_f32_e32 v9, v1, v9
	s_or_b32 exec_lo, exec_lo, s3
	s_and_saveexec_b32 s3, vcc_lo
	s_cbranch_execz .LBB63_242
.LBB63_374:
	ds_load_b32 v1, v0 offset:128
	s_waitcnt lgkmcnt(0)
	v_add_f32_e32 v10, v1, v10
	s_or_b32 exec_lo, exec_lo, s3
	s_and_saveexec_b32 s3, vcc_lo
	s_cbranch_execz .LBB63_243
.LBB63_375:
	ds_load_b32 v1, v0 offset:144
	s_waitcnt lgkmcnt(0)
	v_add_f32_e32 v11, v1, v11
	s_or_b32 exec_lo, exec_lo, s3
	s_and_saveexec_b32 s3, vcc_lo
	s_cbranch_execz .LBB63_244
.LBB63_376:
	ds_load_b32 v1, v0 offset:160
	s_waitcnt lgkmcnt(0)
	v_add_f32_e32 v12, v1, v12
	s_or_b32 exec_lo, exec_lo, s3
	s_and_saveexec_b32 s3, vcc_lo
	s_cbranch_execz .LBB63_245
.LBB63_377:
	ds_load_b32 v1, v0 offset:176
	s_waitcnt lgkmcnt(0)
	v_add_f32_e32 v13, v1, v13
	s_or_b32 exec_lo, exec_lo, s3
	s_and_saveexec_b32 s3, vcc_lo
	s_cbranch_execz .LBB63_246
.LBB63_378:
	ds_load_b32 v1, v0 offset:192
	s_waitcnt lgkmcnt(0)
	v_add_f32_e32 v14, v1, v14
	s_or_b32 exec_lo, exec_lo, s3
	s_and_saveexec_b32 s3, vcc_lo
	s_cbranch_execz .LBB63_247
.LBB63_379:
	ds_load_b32 v1, v0 offset:208
	s_waitcnt lgkmcnt(0)
	v_add_f32_e32 v15, v1, v15
	s_or_b32 exec_lo, exec_lo, s3
	s_and_saveexec_b32 s3, vcc_lo
	s_cbranch_execz .LBB63_248
.LBB63_380:
	ds_load_b32 v1, v0 offset:224
	s_waitcnt lgkmcnt(0)
	v_add_f32_e32 v16, v1, v16
	s_or_b32 exec_lo, exec_lo, s3
	s_and_saveexec_b32 s3, vcc_lo
	s_cbranch_execz .LBB63_249
.LBB63_381:
	ds_load_b32 v1, v0 offset:240
	s_waitcnt lgkmcnt(0)
	v_add_f32_e32 v17, v1, v17
	s_or_b32 exec_lo, exec_lo, s3
	s_and_saveexec_b32 s3, vcc_lo
	s_cbranch_execz .LBB63_250
.LBB63_382:
	ds_load_b32 v1, v0 offset:256
	s_waitcnt lgkmcnt(0)
	v_add_f32_e32 v18, v1, v18
	s_or_b32 exec_lo, exec_lo, s3
	s_and_saveexec_b32 s3, vcc_lo
	s_cbranch_execz .LBB63_251
.LBB63_383:
	ds_load_b32 v1, v0 offset:272
	s_waitcnt lgkmcnt(0)
	v_add_f32_e32 v19, v1, v19
	s_or_b32 exec_lo, exec_lo, s3
	s_and_saveexec_b32 s3, vcc_lo
	s_cbranch_execz .LBB63_252
.LBB63_384:
	ds_load_b32 v1, v0 offset:288
	s_waitcnt lgkmcnt(0)
	v_add_f32_e32 v20, v1, v20
	s_or_b32 exec_lo, exec_lo, s3
	s_and_saveexec_b32 s3, vcc_lo
	s_cbranch_execz .LBB63_253
.LBB63_385:
	ds_load_b32 v1, v0 offset:304
	s_waitcnt lgkmcnt(0)
	v_add_f32_e32 v21, v1, v21
	s_or_b32 exec_lo, exec_lo, s3
	s_and_saveexec_b32 s3, vcc_lo
	s_cbranch_execz .LBB63_254
.LBB63_386:
	ds_load_b32 v1, v0 offset:320
	s_waitcnt lgkmcnt(0)
	v_add_f32_e32 v22, v1, v22
	s_or_b32 exec_lo, exec_lo, s3
	s_and_saveexec_b32 s3, vcc_lo
	s_cbranch_execz .LBB63_255
.LBB63_387:
	ds_load_b32 v1, v0 offset:336
	s_waitcnt lgkmcnt(0)
	v_add_f32_e32 v23, v1, v23
	s_or_b32 exec_lo, exec_lo, s3
	s_and_saveexec_b32 s3, vcc_lo
	s_cbranch_execz .LBB63_256
.LBB63_388:
	ds_load_b32 v1, v0 offset:352
	s_waitcnt lgkmcnt(0)
	v_add_f32_e32 v24, v1, v24
	s_or_b32 exec_lo, exec_lo, s3
	s_and_saveexec_b32 s3, vcc_lo
	s_cbranch_execz .LBB63_257
.LBB63_389:
	ds_load_b32 v1, v0 offset:368
	s_waitcnt lgkmcnt(0)
	v_add_f32_e32 v25, v1, v25
	s_or_b32 exec_lo, exec_lo, s3
	s_and_saveexec_b32 s3, vcc_lo
	s_cbranch_execz .LBB63_258
.LBB63_390:
	ds_load_b32 v1, v0 offset:384
	s_waitcnt lgkmcnt(0)
	v_add_f32_e32 v26, v1, v26
	s_or_b32 exec_lo, exec_lo, s3
	s_and_saveexec_b32 s3, vcc_lo
	s_cbranch_execz .LBB63_259
.LBB63_391:
	ds_load_b32 v1, v0 offset:400
	s_waitcnt lgkmcnt(0)
	v_add_f32_e32 v27, v1, v27
	s_or_b32 exec_lo, exec_lo, s3
	s_and_saveexec_b32 s3, vcc_lo
	s_cbranch_execz .LBB63_260
.LBB63_392:
	ds_load_b32 v1, v0 offset:416
	s_waitcnt lgkmcnt(0)
	v_add_f32_e32 v28, v1, v28
	s_or_b32 exec_lo, exec_lo, s3
	s_and_saveexec_b32 s3, vcc_lo
	s_cbranch_execz .LBB63_261
.LBB63_393:
	ds_load_b32 v1, v0 offset:432
	s_waitcnt lgkmcnt(0)
	v_add_f32_e32 v29, v1, v29
	s_or_b32 exec_lo, exec_lo, s3
	s_and_saveexec_b32 s3, vcc_lo
	s_cbranch_execz .LBB63_262
.LBB63_394:
	ds_load_b32 v1, v0 offset:448
	s_waitcnt lgkmcnt(0)
	v_add_f32_e32 v30, v1, v30
	s_or_b32 exec_lo, exec_lo, s3
	s_and_saveexec_b32 s3, vcc_lo
	s_cbranch_execz .LBB63_263
.LBB63_395:
	ds_load_b32 v1, v0 offset:464
	s_waitcnt lgkmcnt(0)
	v_add_f32_e32 v31, v1, v31
	s_or_b32 exec_lo, exec_lo, s3
	s_and_saveexec_b32 s3, vcc_lo
	s_cbranch_execz .LBB63_264
.LBB63_396:
	ds_load_b32 v1, v0 offset:480
	s_waitcnt lgkmcnt(0)
	v_add_f32_e32 v32, v1, v32
	s_or_b32 exec_lo, exec_lo, s3
	s_and_saveexec_b32 s3, vcc_lo
	s_cbranch_execz .LBB63_265
.LBB63_397:
	ds_load_b32 v1, v0 offset:496
	s_waitcnt lgkmcnt(0)
	v_add_f32_e32 v33, v1, v33
	s_or_b32 exec_lo, exec_lo, s3
	s_and_saveexec_b32 s3, vcc_lo
	s_cbranch_execz .LBB63_266
.LBB63_398:
	ds_load_b32 v1, v0 offset:512
	s_waitcnt lgkmcnt(0)
	v_add_f32_e32 v34, v1, v34
	s_or_b32 exec_lo, exec_lo, s3
	s_and_saveexec_b32 s3, vcc_lo
	s_cbranch_execz .LBB63_267
.LBB63_399:
	ds_load_b32 v1, v0 offset:528
	s_waitcnt lgkmcnt(0)
	v_add_f32_e32 v35, v1, v35
	s_or_b32 exec_lo, exec_lo, s3
	s_and_saveexec_b32 s3, vcc_lo
	s_cbranch_execz .LBB63_268
.LBB63_400:
	ds_load_b32 v1, v0 offset:544
	s_waitcnt lgkmcnt(0)
	v_add_f32_e32 v36, v1, v36
	s_or_b32 exec_lo, exec_lo, s3
	s_and_saveexec_b32 s3, vcc_lo
	s_cbranch_execz .LBB63_269
.LBB63_401:
	ds_load_b32 v1, v0 offset:560
	s_waitcnt lgkmcnt(0)
	v_add_f32_e32 v37, v1, v37
	s_or_b32 exec_lo, exec_lo, s3
	s_and_saveexec_b32 s3, vcc_lo
	s_cbranch_execz .LBB63_270
.LBB63_402:
	ds_load_b32 v1, v0 offset:576
	s_waitcnt lgkmcnt(0)
	v_add_f32_e32 v38, v1, v38
	s_or_b32 exec_lo, exec_lo, s3
	s_and_saveexec_b32 s3, vcc_lo
	s_cbranch_execz .LBB63_271
.LBB63_403:
	ds_load_b32 v1, v0 offset:592
	s_waitcnt lgkmcnt(0)
	v_add_f32_e32 v39, v1, v39
	s_or_b32 exec_lo, exec_lo, s3
	s_and_saveexec_b32 s3, vcc_lo
	s_cbranch_execz .LBB63_272
.LBB63_404:
	ds_load_b32 v1, v0 offset:608
	s_waitcnt lgkmcnt(0)
	v_add_f32_e32 v48, v1, v48
	s_or_b32 exec_lo, exec_lo, s3
	s_and_saveexec_b32 s3, vcc_lo
	s_cbranch_execz .LBB63_273
.LBB63_405:
	ds_load_b32 v1, v0 offset:624
	s_waitcnt lgkmcnt(0)
	v_add_f32_e32 v49, v1, v49
	s_or_b32 exec_lo, exec_lo, s3
	s_and_saveexec_b32 s3, vcc_lo
	s_cbranch_execz .LBB63_274
.LBB63_406:
	ds_load_b32 v1, v0 offset:640
	s_waitcnt lgkmcnt(0)
	v_add_f32_e32 v50, v1, v50
	s_or_b32 exec_lo, exec_lo, s3
	s_and_saveexec_b32 s3, vcc_lo
	s_cbranch_execz .LBB63_275
.LBB63_407:
	ds_load_b32 v1, v0 offset:656
	s_waitcnt lgkmcnt(0)
	v_add_f32_e32 v51, v1, v51
	s_or_b32 exec_lo, exec_lo, s3
	s_and_saveexec_b32 s3, vcc_lo
	s_cbranch_execz .LBB63_276
.LBB63_408:
	ds_load_b32 v1, v0 offset:672
	s_waitcnt lgkmcnt(0)
	v_add_f32_e32 v52, v1, v52
	s_or_b32 exec_lo, exec_lo, s3
	s_and_saveexec_b32 s3, vcc_lo
	s_cbranch_execz .LBB63_277
.LBB63_409:
	ds_load_b32 v1, v0 offset:688
	s_waitcnt lgkmcnt(0)
	v_add_f32_e32 v53, v1, v53
	s_or_b32 exec_lo, exec_lo, s3
	s_and_saveexec_b32 s3, vcc_lo
	s_cbranch_execz .LBB63_278
.LBB63_410:
	ds_load_b32 v1, v0 offset:704
	s_waitcnt lgkmcnt(0)
	v_add_f32_e32 v54, v1, v54
	s_or_b32 exec_lo, exec_lo, s3
	s_and_saveexec_b32 s3, vcc_lo
	s_cbranch_execz .LBB63_279
.LBB63_411:
	ds_load_b32 v1, v0 offset:720
	s_waitcnt lgkmcnt(0)
	v_add_f32_e32 v55, v1, v55
	s_or_b32 exec_lo, exec_lo, s3
	s_and_saveexec_b32 s3, vcc_lo
	s_cbranch_execz .LBB63_280
.LBB63_412:
	ds_load_b32 v1, v0 offset:736
	s_waitcnt lgkmcnt(0)
	v_add_f32_e32 v64, v1, v64
	s_or_b32 exec_lo, exec_lo, s3
	s_and_saveexec_b32 s3, vcc_lo
	s_cbranch_execz .LBB63_281
.LBB63_413:
	ds_load_b32 v1, v0 offset:752
	s_waitcnt lgkmcnt(0)
	v_add_f32_e32 v65, v1, v65
	s_or_b32 exec_lo, exec_lo, s3
	s_and_saveexec_b32 s3, vcc_lo
	s_cbranch_execz .LBB63_282
.LBB63_414:
	ds_load_b32 v1, v0 offset:768
	s_waitcnt lgkmcnt(0)
	v_add_f32_e32 v66, v1, v66
	s_or_b32 exec_lo, exec_lo, s3
	s_and_saveexec_b32 s3, vcc_lo
	s_cbranch_execz .LBB63_283
.LBB63_415:
	ds_load_b32 v1, v0 offset:784
	s_waitcnt lgkmcnt(0)
	v_add_f32_e32 v67, v1, v67
	s_or_b32 exec_lo, exec_lo, s3
	s_and_saveexec_b32 s3, vcc_lo
	s_cbranch_execz .LBB63_284
.LBB63_416:
	ds_load_b32 v1, v0 offset:800
	s_waitcnt lgkmcnt(0)
	v_add_f32_e32 v68, v1, v68
	s_or_b32 exec_lo, exec_lo, s3
	s_and_saveexec_b32 s3, vcc_lo
	s_cbranch_execz .LBB63_285
.LBB63_417:
	ds_load_b32 v1, v0 offset:816
	s_waitcnt lgkmcnt(0)
	v_add_f32_e32 v69, v1, v69
	s_or_b32 exec_lo, exec_lo, s3
	s_and_saveexec_b32 s3, vcc_lo
	s_cbranch_execz .LBB63_286
.LBB63_418:
	ds_load_b32 v1, v0 offset:832
	s_waitcnt lgkmcnt(0)
	v_add_f32_e32 v70, v1, v70
	s_or_b32 exec_lo, exec_lo, s3
	s_and_saveexec_b32 s3, vcc_lo
	s_cbranch_execz .LBB63_287
.LBB63_419:
	ds_load_b32 v1, v0 offset:848
	s_waitcnt lgkmcnt(0)
	v_add_f32_e32 v71, v1, v71
	s_or_b32 exec_lo, exec_lo, s3
	s_and_saveexec_b32 s3, vcc_lo
	s_cbranch_execz .LBB63_288
.LBB63_420:
	ds_load_b32 v1, v0 offset:864
	s_waitcnt lgkmcnt(0)
	v_add_f32_e32 v80, v1, v80
	s_or_b32 exec_lo, exec_lo, s3
	s_and_saveexec_b32 s3, vcc_lo
	s_cbranch_execz .LBB63_289
.LBB63_421:
	ds_load_b32 v1, v0 offset:880
	s_waitcnt lgkmcnt(0)
	v_add_f32_e32 v81, v1, v81
	s_or_b32 exec_lo, exec_lo, s3
	s_and_saveexec_b32 s3, vcc_lo
	s_cbranch_execz .LBB63_290
.LBB63_422:
	ds_load_b32 v1, v0 offset:896
	s_waitcnt lgkmcnt(0)
	v_add_f32_e32 v82, v1, v82
	s_or_b32 exec_lo, exec_lo, s3
	s_and_saveexec_b32 s3, vcc_lo
	s_cbranch_execz .LBB63_291
.LBB63_423:
	ds_load_b32 v1, v0 offset:912
	s_waitcnt lgkmcnt(0)
	v_add_f32_e32 v83, v1, v83
	s_or_b32 exec_lo, exec_lo, s3
	s_and_saveexec_b32 s3, vcc_lo
	s_cbranch_execz .LBB63_292
.LBB63_424:
	ds_load_b32 v1, v0 offset:928
	s_waitcnt lgkmcnt(0)
	v_add_f32_e32 v84, v1, v84
	s_or_b32 exec_lo, exec_lo, s3
	s_and_saveexec_b32 s3, vcc_lo
	s_cbranch_execz .LBB63_293
.LBB63_425:
	ds_load_b32 v1, v0 offset:944
	s_waitcnt lgkmcnt(0)
	v_add_f32_e32 v85, v1, v85
	s_or_b32 exec_lo, exec_lo, s3
	s_and_saveexec_b32 s3, vcc_lo
	s_cbranch_execz .LBB63_294
.LBB63_426:
	ds_load_b32 v1, v0 offset:960
	s_waitcnt lgkmcnt(0)
	v_add_f32_e32 v86, v1, v86
	s_or_b32 exec_lo, exec_lo, s3
	s_and_saveexec_b32 s3, vcc_lo
	s_cbranch_execz .LBB63_295
.LBB63_427:
	ds_load_b32 v1, v0 offset:976
	s_waitcnt lgkmcnt(0)
	v_add_f32_e32 v87, v1, v87
	s_or_b32 exec_lo, exec_lo, s3
	s_and_saveexec_b32 s3, vcc_lo
	s_cbranch_execz .LBB63_296
.LBB63_428:
	ds_load_b32 v1, v0 offset:992
	s_waitcnt lgkmcnt(0)
	v_add_f32_e32 v96, v1, v96
	s_or_b32 exec_lo, exec_lo, s3
	s_and_saveexec_b32 s3, vcc_lo
	s_cbranch_execnz .LBB63_297
	s_branch .LBB63_298
.Lfunc_end63:
	.size	_ZN4vllm22paged_attention_kernelIffLi256ELi32ELi128ELNS_18Fp8KVCacheDataTypeE0ELb0ELi512EEEvPfS2_PT_PKS3_PKT0_S9_ifPKiSB_iPKfiiiSD_SD_iiiii, .Lfunc_end63-_ZN4vllm22paged_attention_kernelIffLi256ELi32ELi128ELNS_18Fp8KVCacheDataTypeE0ELb0ELi512EEEvPfS2_PT_PKS3_PKT0_S9_ifPKiSB_iPKfiiiSD_SD_iiiii
                                        ; -- End function
	.section	.AMDGPU.csdata,"",@progbits
; Function info:
; codeLenInByte = 31364
; NumSgprs: 35
; NumVgprs: 192
; ScratchSize: 1248
; MemoryBound: 0
	.section	.text._ZN4vllm25paged_attention_v2_kernelIffLi256ELi32ELi128ELNS_18Fp8KVCacheDataTypeE0ELb0ELi512EEEvPfS2_PT_PKS3_PKT0_S9_ifPKiSB_iPKfiiiSD_SD_iiiii,"axG",@progbits,_ZN4vllm25paged_attention_v2_kernelIffLi256ELi32ELi128ELNS_18Fp8KVCacheDataTypeE0ELb0ELi512EEEvPfS2_PT_PKS3_PKT0_S9_ifPKiSB_iPKfiiiSD_SD_iiiii,comdat
	.protected	_ZN4vllm25paged_attention_v2_kernelIffLi256ELi32ELi128ELNS_18Fp8KVCacheDataTypeE0ELb0ELi512EEEvPfS2_PT_PKS3_PKT0_S9_ifPKiSB_iPKfiiiSD_SD_iiiii ; -- Begin function _ZN4vllm25paged_attention_v2_kernelIffLi256ELi32ELi128ELNS_18Fp8KVCacheDataTypeE0ELb0ELi512EEEvPfS2_PT_PKS3_PKT0_S9_ifPKiSB_iPKfiiiSD_SD_iiiii
	.globl	_ZN4vllm25paged_attention_v2_kernelIffLi256ELi32ELi128ELNS_18Fp8KVCacheDataTypeE0ELb0ELi512EEEvPfS2_PT_PKS3_PKT0_S9_ifPKiSB_iPKfiiiSD_SD_iiiii
	.p2align	8
	.type	_ZN4vllm25paged_attention_v2_kernelIffLi256ELi32ELi128ELNS_18Fp8KVCacheDataTypeE0ELb0ELi512EEEvPfS2_PT_PKS3_PKT0_S9_ifPKiSB_iPKfiiiSD_SD_iiiii,@function
_ZN4vllm25paged_attention_v2_kernelIffLi256ELi32ELi128ELNS_18Fp8KVCacheDataTypeE0ELb0ELi512EEEvPfS2_PT_PKS3_PKT0_S9_ifPKiSB_iPKfiiiSD_SD_iiiii: ; @_ZN4vllm25paged_attention_v2_kernelIffLi256ELi32ELi128ELNS_18Fp8KVCacheDataTypeE0ELb0ELi512EEEvPfS2_PT_PKS3_PKT0_S9_ifPKiSB_iPKfiiiSD_SD_iiiii
; %bb.0:
	s_mov_b32 s12, s13
	s_clause 0x5
	s_load_b256 s[24:31], s[0:1], 0x0
	s_load_b256 s[16:23], s[0:1], 0x20
	s_load_b64 s[2:3], s[0:1], 0x40
	s_load_b64 s[10:11], s[0:1], 0x50
	s_load_b32 s13, s[0:1], 0x48
	s_load_b128 s[4:7], s[0:1], 0x58
	v_mov_b32_e32 v31, v0
	s_add_u32 s8, s0, 0x90
	s_addc_u32 s9, s1, 0
	s_mov_b32 s32, 0
	s_getpc_b64 s[0:1]
	s_add_u32 s0, s0, _ZN4vllm22paged_attention_kernelIffLi256ELi32ELi128ELNS_18Fp8KVCacheDataTypeE0ELb0ELi512EEEvPfS2_PT_PKS3_PKT0_S9_ifPKiSB_iPKfiiiSD_SD_iiiii@rel32@lo+4
	s_addc_u32 s1, s1, _ZN4vllm22paged_attention_kernelIffLi256ELi32ELi128ELNS_18Fp8KVCacheDataTypeE0ELb0ELi512EEEvPfS2_PT_PKS3_PKT0_S9_ifPKiSB_iPKfiiiSD_SD_iiiii@rel32@hi+12
	s_waitcnt lgkmcnt(0)
	v_dual_mov_b32 v0, s24 :: v_dual_mov_b32 v1, s25
	v_dual_mov_b32 v2, s26 :: v_dual_mov_b32 v3, s27
	;; [unrolled: 1-line block ×12, first 2 shown]
	s_mov_b32 s13, s14
	s_mov_b32 s14, s15
	;; [unrolled: 1-line block ×3, first 2 shown]
	s_swappc_b64 s[30:31], s[0:1]
	s_endpgm
	.section	.rodata,"a",@progbits
	.p2align	6, 0x0
	.amdhsa_kernel _ZN4vllm25paged_attention_v2_kernelIffLi256ELi32ELi128ELNS_18Fp8KVCacheDataTypeE0ELb0ELi512EEEvPfS2_PT_PKS3_PKT0_S9_ifPKiSB_iPKfiiiSD_SD_iiiii
		.amdhsa_group_segment_fixed_size 1056
		.amdhsa_private_segment_fixed_size 1248
		.amdhsa_kernarg_size 400
		.amdhsa_user_sgpr_count 13
		.amdhsa_user_sgpr_dispatch_ptr 0
		.amdhsa_user_sgpr_queue_ptr 0
		.amdhsa_user_sgpr_kernarg_segment_ptr 1
		.amdhsa_user_sgpr_dispatch_id 0
		.amdhsa_user_sgpr_private_segment_size 0
		.amdhsa_wavefront_size32 1
		.amdhsa_uses_dynamic_stack 0
		.amdhsa_enable_private_segment 1
		.amdhsa_system_sgpr_workgroup_id_x 1
		.amdhsa_system_sgpr_workgroup_id_y 1
		.amdhsa_system_sgpr_workgroup_id_z 1
		.amdhsa_system_sgpr_workgroup_info 0
		.amdhsa_system_vgpr_workitem_id 0
		.amdhsa_next_free_vgpr 192
		.amdhsa_next_free_sgpr 33
		.amdhsa_reserve_vcc 1
		.amdhsa_float_round_mode_32 0
		.amdhsa_float_round_mode_16_64 0
		.amdhsa_float_denorm_mode_32 3
		.amdhsa_float_denorm_mode_16_64 3
		.amdhsa_dx10_clamp 1
		.amdhsa_ieee_mode 1
		.amdhsa_fp16_overflow 0
		.amdhsa_workgroup_processor_mode 1
		.amdhsa_memory_ordered 1
		.amdhsa_forward_progress 0
		.amdhsa_shared_vgpr_count 0
		.amdhsa_exception_fp_ieee_invalid_op 0
		.amdhsa_exception_fp_denorm_src 0
		.amdhsa_exception_fp_ieee_div_zero 0
		.amdhsa_exception_fp_ieee_overflow 0
		.amdhsa_exception_fp_ieee_underflow 0
		.amdhsa_exception_fp_ieee_inexact 0
		.amdhsa_exception_int_div_zero 0
	.end_amdhsa_kernel
	.section	.text._ZN4vllm25paged_attention_v2_kernelIffLi256ELi32ELi128ELNS_18Fp8KVCacheDataTypeE0ELb0ELi512EEEvPfS2_PT_PKS3_PKT0_S9_ifPKiSB_iPKfiiiSD_SD_iiiii,"axG",@progbits,_ZN4vllm25paged_attention_v2_kernelIffLi256ELi32ELi128ELNS_18Fp8KVCacheDataTypeE0ELb0ELi512EEEvPfS2_PT_PKS3_PKT0_S9_ifPKiSB_iPKfiiiSD_SD_iiiii,comdat
.Lfunc_end64:
	.size	_ZN4vllm25paged_attention_v2_kernelIffLi256ELi32ELi128ELNS_18Fp8KVCacheDataTypeE0ELb0ELi512EEEvPfS2_PT_PKS3_PKT0_S9_ifPKiSB_iPKfiiiSD_SD_iiiii, .Lfunc_end64-_ZN4vllm25paged_attention_v2_kernelIffLi256ELi32ELi128ELNS_18Fp8KVCacheDataTypeE0ELb0ELi512EEEvPfS2_PT_PKS3_PKT0_S9_ifPKiSB_iPKfiiiSD_SD_iiiii
                                        ; -- End function
	.section	.AMDGPU.csdata,"",@progbits
; Kernel info:
; codeLenInByte = 216
; NumSgprs: 35
; NumVgprs: 192
; ScratchSize: 1248
; MemoryBound: 0
; FloatMode: 240
; IeeeMode: 1
; LDSByteSize: 1056 bytes/workgroup (compile time only)
; SGPRBlocks: 4
; VGPRBlocks: 23
; NumSGPRsForWavesPerEU: 35
; NumVGPRsForWavesPerEU: 192
; Occupancy: 8
; WaveLimiterHint : 1
; COMPUTE_PGM_RSRC2:SCRATCH_EN: 1
; COMPUTE_PGM_RSRC2:USER_SGPR: 13
; COMPUTE_PGM_RSRC2:TRAP_HANDLER: 0
; COMPUTE_PGM_RSRC2:TGID_X_EN: 1
; COMPUTE_PGM_RSRC2:TGID_Y_EN: 1
; COMPUTE_PGM_RSRC2:TGID_Z_EN: 1
; COMPUTE_PGM_RSRC2:TIDIG_COMP_CNT: 0
	.section	.text._ZN4vllm25paged_attention_v2_kernelIttLi32ELi8ELi128ELNS_18Fp8KVCacheDataTypeE0ELb1ELi512EEEvPfS2_PT_PKS3_PKT0_S9_ifPKiSB_iPKfiiiSD_SD_iiiii,"axG",@progbits,_ZN4vllm25paged_attention_v2_kernelIttLi32ELi8ELi128ELNS_18Fp8KVCacheDataTypeE0ELb1ELi512EEEvPfS2_PT_PKS3_PKT0_S9_ifPKiSB_iPKfiiiSD_SD_iiiii,comdat
	.protected	_ZN4vllm25paged_attention_v2_kernelIttLi32ELi8ELi128ELNS_18Fp8KVCacheDataTypeE0ELb1ELi512EEEvPfS2_PT_PKS3_PKT0_S9_ifPKiSB_iPKfiiiSD_SD_iiiii ; -- Begin function _ZN4vllm25paged_attention_v2_kernelIttLi32ELi8ELi128ELNS_18Fp8KVCacheDataTypeE0ELb1ELi512EEEvPfS2_PT_PKS3_PKT0_S9_ifPKiSB_iPKfiiiSD_SD_iiiii
	.globl	_ZN4vllm25paged_attention_v2_kernelIttLi32ELi8ELi128ELNS_18Fp8KVCacheDataTypeE0ELb1ELi512EEEvPfS2_PT_PKS3_PKT0_S9_ifPKiSB_iPKfiiiSD_SD_iiiii
	.p2align	8
	.type	_ZN4vllm25paged_attention_v2_kernelIttLi32ELi8ELi128ELNS_18Fp8KVCacheDataTypeE0ELb1ELi512EEEvPfS2_PT_PKS3_PKT0_S9_ifPKiSB_iPKfiiiSD_SD_iiiii,@function
_ZN4vllm25paged_attention_v2_kernelIttLi32ELi8ELi128ELNS_18Fp8KVCacheDataTypeE0ELb1ELi512EEEvPfS2_PT_PKS3_PKT0_S9_ifPKiSB_iPKfiiiSD_SD_iiiii: ; @_ZN4vllm25paged_attention_v2_kernelIttLi32ELi8ELi128ELNS_18Fp8KVCacheDataTypeE0ELb1ELi512EEEvPfS2_PT_PKS3_PKT0_S9_ifPKiSB_iPKfiiiSD_SD_iiiii
; %bb.0:
	s_load_b64 s[2:3], s[0:1], 0x40
	s_mov_b32 s12, s15
	s_ashr_i32 s15, s14, 31
	s_delay_alu instid0(SALU_CYCLE_1)
	s_lshl_b64 s[4:5], s[14:15], 2
	s_waitcnt lgkmcnt(0)
	s_add_u32 s2, s2, s4
	s_addc_u32 s3, s3, s5
	s_lshl_b32 s15, s12, 9
	s_load_b32 s33, s[2:3], 0x0
	s_waitcnt lgkmcnt(0)
	s_cmp_ge_i32 s15, s33
	s_cbranch_scc1 .LBB65_54
; %bb.1:
	s_mov_b32 s24, s13
	s_clause 0x1
	s_load_b32 s13, s[0:1], 0x90
	s_load_b64 s[34:35], s[0:1], 0x30
	s_mov_b32 s38, 0
	s_waitcnt lgkmcnt(0)
	s_abs_i32 s5, s13
	s_abs_i32 s2, s34
	s_delay_alu instid0(SALU_CYCLE_1) | instskip(SKIP_1) | instid1(VALU_DEP_1)
	v_cvt_f32_u32_e32 v1, s2
	s_sub_i32 s4, 0, s2
	v_rcp_iflag_f32_e32 v1, v1
	s_waitcnt_depctr 0xfff
	v_mul_f32_e32 v1, 0x4f7ffffe, v1
	s_delay_alu instid0(VALU_DEP_1) | instskip(NEXT) | instid1(VALU_DEP_1)
	v_cvt_u32_f32_e32 v1, v1
	v_readfirstlane_b32 s3, v1
	s_delay_alu instid0(VALU_DEP_1) | instskip(NEXT) | instid1(SALU_CYCLE_1)
	s_mul_i32 s4, s4, s3
	s_mul_hi_u32 s4, s3, s4
	s_delay_alu instid0(SALU_CYCLE_1) | instskip(SKIP_4) | instid1(SALU_CYCLE_1)
	s_add_i32 s3, s3, s4
	s_xor_b32 s4, s13, s34
	s_mul_hi_u32 s3, s5, s3
	s_ashr_i32 s4, s4, 31
	s_mul_i32 s6, s3, s2
	s_sub_i32 s5, s5, s6
	s_add_i32 s6, s3, 1
	s_sub_i32 s7, s5, s2
	s_cmp_ge_u32 s5, s2
	s_cselect_b32 s3, s6, s3
	s_cselect_b32 s5, s7, s5
	s_add_i32 s6, s3, 1
	s_cmp_ge_u32 s5, s2
	s_cselect_b32 s2, s6, s3
	s_abs_i32 s17, s24
	s_xor_b32 s2, s2, s4
	s_delay_alu instid0(SALU_CYCLE_1) | instskip(SKIP_2) | instid1(SALU_CYCLE_1)
	s_sub_i32 s8, s2, s4
	s_load_b64 s[2:3], s[0:1], 0x50
	s_abs_i32 s16, s8
	v_cvt_f32_u32_e32 v1, s16
	s_sub_i32 s5, 0, s16
	s_delay_alu instid0(VALU_DEP_1) | instskip(SKIP_2) | instid1(VALU_DEP_1)
	v_rcp_iflag_f32_e32 v1, v1
	s_waitcnt_depctr 0xfff
	v_mul_f32_e32 v1, 0x4f7ffffe, v1
	v_cvt_u32_f32_e32 v1, v1
	s_delay_alu instid0(VALU_DEP_1) | instskip(NEXT) | instid1(VALU_DEP_1)
	v_readfirstlane_b32 s4, v1
	s_mul_i32 s5, s5, s4
	s_delay_alu instid0(SALU_CYCLE_1) | instskip(NEXT) | instid1(SALU_CYCLE_1)
	s_mul_hi_u32 s5, s4, s5
	s_add_i32 s4, s4, s5
	s_waitcnt lgkmcnt(0)
	s_cmp_eq_u64 s[2:3], 0
	s_mul_hi_u32 s18, s17, s4
	s_cbranch_scc1 .LBB65_3
; %bb.2:
	s_ashr_i32 s25, s24, 31
	s_delay_alu instid0(SALU_CYCLE_1) | instskip(NEXT) | instid1(SALU_CYCLE_1)
	s_lshl_b64 s[4:5], s[24:25], 2
	s_add_u32 s2, s2, s4
	s_addc_u32 s3, s3, s5
	s_load_b32 s38, s[2:3], 0x0
.LBB65_3:
	s_load_b128 s[4:7], s[0:1], 0x58
	v_and_b32_e32 v1, 3, v0
	v_lshlrev_b32_e32 v2, 2, v0
	s_ashr_i32 s2, s24, 31
	s_ashr_i32 s3, s8, 31
	s_lshl_b32 s20, s24, 5
	s_waitcnt lgkmcnt(0)
	s_mov_b32 s7, exec_lo
	v_cmpx_gt_u32_e32 16, v0
	s_cbranch_execz .LBB65_5
; %bb.4:
	s_load_b64 s[8:9], s[0:1], 0x18
	s_mul_i32 s10, s14, s4
	v_and_b32_e32 v4, 0x3fc, v0
	s_ashr_i32 s11, s10, 31
	s_delay_alu instid0(SALU_CYCLE_1) | instskip(NEXT) | instid1(VALU_DEP_1)
	s_lshl_b64 s[10:11], s[10:11], 1
	v_lshl_add_u32 v4, v1, 4, v4
	s_waitcnt lgkmcnt(0)
	s_add_u32 s4, s8, s10
	s_addc_u32 s10, s9, s11
	s_ashr_i32 s21, s20, 31
	s_delay_alu instid0(SALU_CYCLE_1) | instskip(NEXT) | instid1(SALU_CYCLE_1)
	s_lshl_b64 s[8:9], s[20:21], 1
	s_add_u32 s8, s4, s8
	s_addc_u32 s9, s10, s9
	global_load_b32 v3, v2, s[8:9]
	s_waitcnt vmcnt(0)
	ds_store_b32 v4, v3
.LBB65_5:
	s_or_b32 exec_lo, exec_lo, s7
	s_load_b128 s[8:11], s[0:1], 0x78
	s_mul_i32 s4, s18, s16
	s_xor_b32 s2, s2, s3
	s_sub_i32 s3, s17, s4
	s_add_i32 s4, s18, 1
	s_sub_i32 s7, s3, s16
	s_cmp_ge_u32 s3, s16
	s_mov_b32 s17, -1
	s_cselect_b32 s4, s4, s18
	s_cselect_b32 s3, s7, s3
	s_add_i32 s7, s4, 1
	s_cmp_ge_u32 s3, s16
	s_waitcnt lgkmcnt(0)
	s_cselect_b32 s3, s7, s4
	s_load_b32 s4, s[0:1], 0x88
	s_xor_b32 s3, s3, s2
	s_add_i32 s16, s33, -1
	s_sub_i32 s3, s3, s2
	s_abs_i32 s7, s16
	s_waitcnt lgkmcnt(0)
	s_barrier
	s_abs_i32 s21, s11
	buffer_gl0_inv
	v_cvt_f32_u32_e32 v3, s21
	s_sub_i32 s2, 0, s21
                                        ; implicit-def: $sgpr36
	s_delay_alu instid0(VALU_DEP_1) | instskip(SKIP_2) | instid1(VALU_DEP_1)
	v_rcp_iflag_f32_e32 v3, v3
	s_waitcnt_depctr 0xfff
	v_mul_f32_e32 v3, 0x4f7ffffe, v3
	v_cvt_u32_f32_e32 v3, v3
	s_delay_alu instid0(VALU_DEP_1) | instskip(NEXT) | instid1(VALU_DEP_1)
	v_readfirstlane_b32 s25, v3
	s_mul_i32 s2, s2, s25
	s_delay_alu instid0(SALU_CYCLE_1) | instskip(NEXT) | instid1(SALU_CYCLE_1)
	s_mul_hi_u32 s2, s25, s2
	s_add_i32 s25, s25, s2
	s_cmp_lt_i32 s4, 0
	s_mul_hi_u32 s2, s7, s25
	s_cbranch_scc0 .LBB65_7
; %bb.6:
	s_mul_i32 s17, s8, s34
	s_delay_alu instid0(SALU_CYCLE_1) | instskip(NEXT) | instid1(SALU_CYCLE_1)
	s_add_i32 s17, s3, s17
	s_mul_i32 s17, s17, s4
	s_delay_alu instid0(SALU_CYCLE_1)
	s_sub_i32 s36, 1, s17
	s_mov_b32 s17, 0
.LBB65_7:
	s_load_b64 s[26:27], s[0:1], 0x38
	s_ashr_i32 s28, s16, 31
	s_and_not1_b32 vcc_lo, exec_lo, s17
	s_ashr_i32 s11, s11, 31
	s_cbranch_vccnz .LBB65_9
; %bb.8:
	s_mul_i32 s8, s13, s8
	s_delay_alu instid0(SALU_CYCLE_1) | instskip(NEXT) | instid1(SALU_CYCLE_1)
	s_add_i32 s8, s8, s24
	s_mul_i32 s4, s8, s4
	s_delay_alu instid0(SALU_CYCLE_1)
	s_add_i32 s36, s4, 1
.LBB65_9:
	s_clause 0x4
	s_load_b32 s8, s[0:1], 0x48
	s_load_b64 s[30:31], s[0:1], 0x28
	s_load_b32 s4, s[0:1], 0x98
	s_load_b128 s[16:19], s[0:1], 0x0
	s_load_b64 s[22:23], s[0:1], 0x10
	s_xor_b32 s37, s28, s11
	s_mul_i32 s28, s2, s21
	s_add_i32 s34, s2, 1
	s_sub_i32 s7, s7, s28
	v_lshrrev_b32_e32 v8, 5, v0
	v_mov_b32_e32 v4, 0xff7fffff
	v_mbcnt_lo_u32_b32 v3, -1, 0
	s_mul_i32 s6, s3, s6
	s_delay_alu instid0(VALU_DEP_3)
	v_lshl_add_u32 v9, v8, 3, s15
	s_waitcnt lgkmcnt(0)
	s_mul_i32 s28, s14, s8
	s_sub_i32 s8, s7, s21
	s_ashr_i32 s29, s28, 31
	s_cmp_ge_u32 s7, s21
	s_cselect_b32 s2, s34, s2
	s_cselect_b32 s7, s8, s7
	s_add_i32 s8, s2, 1
	s_cmp_ge_u32 s7, s21
	s_cselect_b32 s2, s8, s2
	s_add_i32 s7, s33, 7
	s_lshl_b32 s39, s12, 6
	s_ashr_i32 s8, s7, 31
	v_or_b32_e32 v5, s39, v8
	s_lshr_b32 s8, s8, 29
	s_delay_alu instid0(SALU_CYCLE_1)
	s_add_i32 s7, s7, s8
	s_add_i32 s8, s39, 64
	s_ashr_i32 s34, s7, 3
	s_xor_b32 s7, s2, s37
	s_min_i32 s8, s8, s34
	v_ashrrev_i32_e32 v6, 31, v5
	v_cmp_gt_i32_e64 s2, s8, v5
	s_sub_i32 s37, s7, s37
	s_delay_alu instid0(VALU_DEP_1)
	s_and_saveexec_b32 s40, s2
	s_cbranch_execz .LBB65_19
; %bb.10:
	s_load_b64 s[0:1], s[0:1], 0x20
	s_ashr_i32 s7, s6, 31
	v_bfe_u32 v7, v0, 2, 3
	s_lshl_b64 s[42:43], s[6:7], 1
	s_sub_i32 s7, s37, s9
	v_cmp_eq_u32_e32 vcc_lo, 0, v1
	v_dual_mov_b32 v12, 0xff7fffff :: v_dual_and_b32 v17, 12, v2
	v_subrev_nc_u32_e32 v18, s33, v7
	v_lshlrev_b32_e32 v10, 4, v1
	v_lshlrev_b64 v[1:2], 2, v[5:6]
	v_lshl_add_u32 v11, v8, 3, s15
	v_xor_b32_e32 v13, 2, v3
	v_xor_b32_e32 v14, 1, v3
	v_lshlrev_b32_e32 v21, 4, v7
	s_waitcnt lgkmcnt(0)
	s_add_u32 s3, s0, s42
	s_addc_u32 s1, s1, s43
	s_abs_i32 s41, s10
	v_cmp_neq_f32_e64 s0, s38, 0
	v_cvt_f32_u32_e32 v4, s41
	s_sub_i32 s42, 0, s41
	s_delay_alu instid0(VALU_DEP_1) | instskip(SKIP_2) | instid1(VALU_DEP_1)
	v_rcp_iflag_f32_e32 v4, v4
	s_waitcnt_depctr 0xfff
	v_dual_mul_f32 v16, 0x4f7ffffe, v4 :: v_dual_lshlrev_b32 v15, 2, v7
	v_lshl_or_b32 v19, v8, 5, v15
	v_dual_mov_b32 v4, 0xff7fffff :: v_dual_add_nc_u32 v15, 1, v18
	s_delay_alu instid0(VALU_DEP_3) | instskip(NEXT) | instid1(VALU_DEP_3)
	v_cvt_u32_f32_e32 v20, v16
	v_add_nc_u32_e32 v16, 0x60, v19
	v_add_co_u32 v19, s3, s3, v21
	s_delay_alu instid0(VALU_DEP_1) | instskip(NEXT) | instid1(VALU_DEP_4)
	v_add_co_ci_u32_e64 v21, null, s1, 0, s3
	v_mul_lo_u32 v18, s42, v20
	s_lshl_b64 s[42:43], s[28:29], 2
	s_delay_alu instid0(SALU_CYCLE_1) | instskip(SKIP_2) | instid1(VALU_DEP_1)
	s_add_u32 s1, s26, s42
	s_addc_u32 s3, s27, s43
	v_add_co_u32 v1, s1, s1, v1
	v_add_co_ci_u32_e64 v2, s1, s3, v2, s1
	s_delay_alu instid0(VALU_DEP_3) | instskip(SKIP_1) | instid1(VALU_DEP_1)
	v_mul_hi_u32 v22, v20, v18
	v_add_co_u32 v17, s1, v19, v17
	v_add_co_ci_u32_e64 v18, s1, 0, v21, s1
	s_mov_b32 s42, 0
	s_mov_b32 s43, s5
	s_delay_alu instid0(VALU_DEP_3)
	v_dual_mov_b32 v20, v5 :: v_dual_add_nc_u32 v19, v20, v22
	s_branch .LBB65_13
.LBB65_11:                              ;   in Loop: Header=BB65_13 Depth=1
	s_or_b32 exec_lo, exec_lo, s44
.LBB65_12:                              ;   in Loop: Header=BB65_13 Depth=1
	s_delay_alu instid0(SALU_CYCLE_1) | instskip(SKIP_2) | instid1(VALU_DEP_1)
	s_or_b32 exec_lo, exec_lo, s3
	v_add_nc_u32_e32 v20, 4, v20
	v_add_co_u32 v1, s3, v1, 16
	v_add_co_ci_u32_e64 v2, s3, 0, v2, s3
	s_delay_alu instid0(VALU_DEP_3) | instskip(SKIP_2) | instid1(VALU_DEP_3)
	v_cmp_le_i32_e64 s1, s8, v20
	v_add_nc_u32_e32 v11, 32, v11
	v_add_nc_u32_e32 v16, 0x80, v16
	s_or_b32 s42, s1, s42
	s_delay_alu instid0(SALU_CYCLE_1)
	s_and_not1_b32 exec_lo, exec_lo, s42
	s_cbranch_execz .LBB65_18
.LBB65_13:                              ; =>This Inner Loop Header: Depth=1
	v_sub_nc_u32_e32 v21, 0, v11
	s_delay_alu instid0(VALU_DEP_1) | instskip(SKIP_1) | instid1(VALU_DEP_1)
	v_max_i32_e32 v21, v11, v21
	s_waitcnt lgkmcnt(0)
	v_mul_hi_u32 v22, v21, s25
	s_delay_alu instid0(VALU_DEP_1) | instskip(NEXT) | instid1(VALU_DEP_1)
	v_mul_lo_u32 v23, v22, s21
	v_sub_nc_u32_e32 v21, v21, v23
	v_add_nc_u32_e32 v23, 1, v22
	s_delay_alu instid0(VALU_DEP_2) | instskip(SKIP_1) | instid1(VALU_DEP_1)
	v_subrev_nc_u32_e32 v24, s21, v21
	v_cmp_le_u32_e64 s1, s21, v21
	v_cndmask_b32_e64 v22, v22, v23, s1
	s_delay_alu instid0(VALU_DEP_3) | instskip(SKIP_1) | instid1(VALU_DEP_3)
	v_cndmask_b32_e64 v21, v21, v24, s1
	v_ashrrev_i32_e32 v23, 31, v11
	v_add_nc_u32_e32 v24, 1, v22
	s_delay_alu instid0(VALU_DEP_3) | instskip(NEXT) | instid1(VALU_DEP_3)
	v_cmp_le_u32_e64 s1, s21, v21
	v_xor_b32_e32 v23, s11, v23
	s_delay_alu instid0(VALU_DEP_2) | instskip(NEXT) | instid1(VALU_DEP_1)
	v_cndmask_b32_e64 v21, v22, v24, s1
	v_xor_b32_e32 v21, v21, v23
	s_delay_alu instid0(VALU_DEP_1) | instskip(NEXT) | instid1(VALU_DEP_1)
	v_sub_nc_u32_e32 v21, v21, v23
	v_add_nc_u32_e32 v22, s36, v21
	v_cmp_ge_i32_e64 s3, s7, v21
	s_delay_alu instid0(VALU_DEP_2) | instskip(NEXT) | instid1(VALU_DEP_1)
	v_sub_nc_u32_e32 v23, 0, v22
	v_max_i32_e32 v23, v22, v23
	v_ashrrev_i32_e32 v22, 31, v22
	s_delay_alu instid0(VALU_DEP_2) | instskip(NEXT) | instid1(VALU_DEP_1)
	v_mul_hi_u32 v24, v23, v19
	v_mul_lo_u32 v24, v24, s41
	s_delay_alu instid0(VALU_DEP_1) | instskip(NEXT) | instid1(VALU_DEP_1)
	v_sub_nc_u32_e32 v23, v23, v24
	v_subrev_nc_u32_e32 v24, s41, v23
	v_cmp_le_u32_e64 s1, s41, v23
	s_delay_alu instid0(VALU_DEP_1) | instskip(NEXT) | instid1(VALU_DEP_1)
	v_cndmask_b32_e64 v23, v23, v24, s1
	v_subrev_nc_u32_e32 v24, s41, v23
	v_cmp_le_u32_e64 s1, s41, v23
	s_delay_alu instid0(VALU_DEP_1) | instskip(NEXT) | instid1(VALU_DEP_1)
	v_cndmask_b32_e64 v23, v23, v24, s1
	v_xor_b32_e32 v23, v23, v22
	s_delay_alu instid0(VALU_DEP_1) | instskip(NEXT) | instid1(VALU_DEP_1)
	v_sub_nc_u32_e32 v22, v23, v22
	v_cmp_ne_u32_e64 s1, 0, v22
	s_delay_alu instid0(VALU_DEP_1) | instskip(NEXT) | instid1(SALU_CYCLE_1)
	s_and_b32 s1, s1, s3
	s_and_b32 s44, vcc_lo, s1
	s_delay_alu instid0(SALU_CYCLE_1)
	s_and_saveexec_b32 s3, s44
	s_cbranch_execz .LBB65_15
; %bb.14:                               ;   in Loop: Header=BB65_13 Depth=1
	ds_store_b32 v16, v12
.LBB65_15:                              ;   in Loop: Header=BB65_13 Depth=1
	s_or_b32 exec_lo, exec_lo, s3
	s_xor_b32 s1, s1, -1
	s_delay_alu instid0(SALU_CYCLE_1)
	s_and_saveexec_b32 s3, s1
	s_cbranch_execz .LBB65_12
; %bb.16:                               ;   in Loop: Header=BB65_13 Depth=1
	global_load_b32 v23, v[1:2], off
	s_waitcnt vmcnt(0)
	v_mad_i64_i32 v[21:22], null, v23, s43, 0
	s_delay_alu instid0(VALU_DEP_1) | instskip(NEXT) | instid1(VALU_DEP_1)
	v_lshlrev_b64 v[21:22], 1, v[21:22]
	v_add_co_u32 v21, s1, v17, v21
	s_delay_alu instid0(VALU_DEP_1)
	v_add_co_ci_u32_e64 v22, s1, v18, v22, s1
	v_cmp_gt_i32_e64 s1, 32, v13
	s_clause 0x3
	global_load_b32 v23, v[21:22], off
	global_load_b32 v24, v[21:22], off offset:128
	global_load_b32 v25, v[21:22], off offset:256
	;; [unrolled: 1-line block ×3, first 2 shown]
	ds_load_b32 v22, v10
	s_waitcnt lgkmcnt(0)
	v_and_b32_e32 v26, 0xffff, v22
	v_lshrrev_b32_e32 v22, 16, v22
	;;#ASMSTART
	v_cvt_f32_f16 v26, v26;
	;;#ASMEND
	;;#ASMSTART
	v_cvt_f32_f16 v22, v22;
	;;#ASMEND
	s_waitcnt vmcnt(3)
	v_and_b32_e32 v27, 0xffff, v23
	v_lshrrev_b32_e32 v23, 16, v23
	;;#ASMSTART
	v_cvt_f32_f16 v27, v27;
	;;#ASMEND
	;;#ASMSTART
	v_cvt_f32_f16 v23, v23;
	;;#ASMEND
	ds_load_b32 v28, v10 offset:4
	s_waitcnt vmcnt(2)
	v_and_b32_e32 v30, 0xffff, v24
	v_lshrrev_b32_e32 v24, 16, v24
	s_waitcnt vmcnt(1)
	v_and_b32_e32 v33, 0xffff, v25
	v_lshrrev_b32_e32 v25, 16, v25
	s_waitcnt lgkmcnt(0)
	v_and_b32_e32 v29, 0xffff, v28
	v_lshrrev_b32_e32 v28, 16, v28
	;;#ASMSTART
	v_cvt_f32_f16 v29, v29;
	;;#ASMEND
	;;#ASMSTART
	v_cvt_f32_f16 v28, v28;
	;;#ASMEND
	;; [unrolled: 3-line block ×4, first 2 shown]
	ds_load_b32 v31, v10 offset:8
	v_mul_f32_e32 v24, v28, v24
	v_cndmask_b32_e64 v28, v3, v13, s1
	v_cmp_gt_i32_e64 s1, 32, v14
	v_mul_f32_e32 v29, v29, v30
	s_waitcnt vmcnt(0)
	v_lshrrev_b32_e32 v30, 16, v21
	v_dual_fmac_f32 v24, v22, v23 :: v_dual_and_b32 v21, 0xffff, v21
	s_delay_alu instid0(VALU_DEP_3)
	v_fmac_f32_e32 v29, v26, v27
	s_waitcnt lgkmcnt(0)
	v_and_b32_e32 v32, 0xffff, v31
	v_lshrrev_b32_e32 v31, 16, v31
	;;#ASMSTART
	v_cvt_f32_f16 v32, v32;
	;;#ASMEND
	;;#ASMSTART
	v_cvt_f32_f16 v31, v31;
	;;#ASMEND
	;; [unrolled: 3-line block ×4, first 2 shown]
	ds_load_b32 v34, v10 offset:12
	v_fmac_f32_e32 v29, v32, v33
	v_fmac_f32_e32 v24, v31, v25
	s_waitcnt lgkmcnt(0)
	v_and_b32_e32 v22, 0xffff, v34
	v_lshrrev_b32_e32 v23, 16, v34
	;;#ASMSTART
	v_cvt_f32_f16 v22, v22;
	;;#ASMEND
	;;#ASMSTART
	v_cvt_f32_f16 v23, v23;
	;;#ASMEND
	;; [unrolled: 3-line block ×4, first 2 shown]
	v_fmac_f32_e32 v29, v22, v21
	v_dual_fmac_f32 v24, v23, v25 :: v_dual_lshlrev_b32 v21, 2, v28
	v_cndmask_b32_e64 v23, v3, v14, s1
	s_delay_alu instid0(VALU_DEP_2)
	v_add_f32_e32 v22, v29, v24
	ds_bpermute_b32 v21, v21, v22
	s_waitcnt lgkmcnt(0)
	v_dual_add_f32 v21, v22, v21 :: v_dual_lshlrev_b32 v22, 2, v23
	ds_bpermute_b32 v22, v22, v21
	s_and_saveexec_b32 s44, vcc_lo
	s_cbranch_execz .LBB65_11
; %bb.17:                               ;   in Loop: Header=BB65_13 Depth=1
	s_waitcnt lgkmcnt(0)
	v_add_f32_e32 v21, v21, v22
	v_add_nc_u32_e32 v23, v15, v11
	s_delay_alu instid0(VALU_DEP_1) | instskip(NEXT) | instid1(VALU_DEP_1)
	v_cvt_f32_i32_e32 v23, v23
	v_mul_f32_e32 v23, s38, v23
	s_delay_alu instid0(VALU_DEP_1) | instskip(NEXT) | instid1(VALU_DEP_1)
	v_cndmask_b32_e64 v22, 0, v23, s0
	v_dual_max_f32 v23, v4, v4 :: v_dual_fmac_f32 v22, s35, v21
	v_add_nc_u32_e32 v21, v7, v11
	s_delay_alu instid0(VALU_DEP_2) | instskip(NEXT) | instid1(VALU_DEP_2)
	v_max_f32_e32 v23, v23, v22
	v_cmp_gt_i32_e64 s1, s33, v21
	s_delay_alu instid0(VALU_DEP_1) | instskip(NEXT) | instid1(VALU_DEP_3)
	v_cndmask_b32_e64 v21, 0, v22, s1
	v_cndmask_b32_e64 v4, v4, v23, s1
	ds_store_b32 v16, v21
	s_branch .LBB65_11
.LBB65_18:
	s_or_b32 exec_lo, exec_lo, s42
.LBB65_19:
	s_delay_alu instid0(SALU_CYCLE_1) | instskip(SKIP_3) | instid1(VALU_DEP_3)
	s_or_b32 exec_lo, exec_lo, s40
	v_xor_b32_e32 v1, 16, v3
	v_xor_b32_e32 v7, 8, v3
	v_max_f32_e32 v10, v4, v4
	v_cmp_gt_i32_e32 vcc_lo, 32, v1
	v_cndmask_b32_e32 v1, v3, v1, vcc_lo
	s_delay_alu instid0(VALU_DEP_4) | instskip(NEXT) | instid1(VALU_DEP_2)
	v_cmp_gt_i32_e32 vcc_lo, 32, v7
	v_lshlrev_b32_e32 v2, 2, v1
	ds_bpermute_b32 v1, v2, v4
	s_waitcnt lgkmcnt(0)
	v_dual_cndmask_b32 v4, v3, v7 :: v_dual_max_f32 v1, v1, v1
	s_delay_alu instid0(VALU_DEP_1)
	v_dual_max_f32 v1, v10, v1 :: v_dual_lshlrev_b32 v4, 2, v4
	v_xor_b32_e32 v10, 4, v3
	ds_bpermute_b32 v7, v4, v1
	v_cmp_gt_i32_e32 vcc_lo, 32, v10
	s_waitcnt lgkmcnt(0)
	v_max_f32_e32 v7, v7, v7
	s_delay_alu instid0(VALU_DEP_1) | instskip(NEXT) | instid1(VALU_DEP_1)
	v_dual_cndmask_b32 v10, v3, v10 :: v_dual_max_f32 v1, v1, v7
	v_lshlrev_b32_e32 v12, 2, v10
	v_and_b32_e32 v10, 31, v0
	v_lshlrev_b32_e32 v7, 2, v8
	ds_bpermute_b32 v11, v12, v1
	v_cmp_eq_u32_e32 vcc_lo, 0, v10
	s_and_saveexec_b32 s0, vcc_lo
	s_cbranch_execz .LBB65_21
; %bb.20:
	s_waitcnt lgkmcnt(0)
	v_max_f32_e32 v11, v11, v11
	v_max_f32_e32 v1, v1, v1
	s_delay_alu instid0(VALU_DEP_1)
	v_max_f32_e32 v1, v1, v11
	ds_store_b32 v7, v1 offset:64
.LBB65_21:
	s_or_b32 exec_lo, exec_lo, s0
	v_cmp_gt_u32_e64 s0, 4, v10
	v_mov_b32_e32 v1, 0xff7fffff
	s_waitcnt lgkmcnt(0)
	v_lshlrev_b32_e32 v11, 2, v10
	s_barrier
	buffer_gl0_inv
	s_and_saveexec_b32 s1, s0
	s_cbranch_execz .LBB65_23
; %bb.22:
	ds_load_b32 v1, v11 offset:64
.LBB65_23:
	s_or_b32 exec_lo, exec_lo, s1
	v_xor_b32_e32 v13, 2, v3
	v_xor_b32_e32 v15, 1, v3
	s_delay_alu instid0(VALU_DEP_2) | instskip(NEXT) | instid1(VALU_DEP_1)
	v_cmp_gt_i32_e64 s1, 32, v13
	v_cndmask_b32_e64 v13, v3, v13, s1
	s_delay_alu instid0(VALU_DEP_3) | instskip(NEXT) | instid1(VALU_DEP_2)
	v_cmp_gt_i32_e64 s1, 32, v15
	v_lshlrev_b32_e32 v13, 2, v13
	s_delay_alu instid0(VALU_DEP_2) | instskip(SKIP_1) | instid1(SALU_CYCLE_1)
	v_cndmask_b32_e64 v3, v3, v15, s1
	s_sub_i32 s1, s8, s39
	s_lshl_b32 s1, s1, 3
	s_waitcnt lgkmcnt(0)
	ds_bpermute_b32 v14, v13, v1
	v_max_f32_e32 v1, v1, v1
	s_add_i32 s1, s1, s15
	s_delay_alu instid0(SALU_CYCLE_1) | instskip(NEXT) | instid1(SALU_CYCLE_1)
	s_min_i32 s1, s1, s33
	s_sub_i32 s7, s1, s15
	s_delay_alu instid0(SALU_CYCLE_1) | instskip(SKIP_2) | instid1(VALU_DEP_1)
	v_cmp_gt_i32_e64 s1, s7, v0
	s_waitcnt lgkmcnt(0)
	v_dual_max_f32 v15, v14, v14 :: v_dual_lshlrev_b32 v14, 2, v3
	v_max_f32_e32 v1, v1, v15
	v_mov_b32_e32 v15, 0
	ds_bpermute_b32 v3, v14, v1
	s_waitcnt lgkmcnt(0)
	v_max_f32_e32 v3, v3, v3
	s_delay_alu instid0(VALU_DEP_1)
	v_max_f32_e32 v1, v1, v3
	v_lshl_add_u32 v3, v0, 2, 0x60
	ds_bpermute_b32 v1, v15, v1
	s_and_saveexec_b32 s15, s1
	s_cbranch_execz .LBB65_27
; %bb.24:
	v_lshl_add_u32 v16, v0, 2, 0x60
	v_mov_b32_e32 v15, 0
	v_mov_b32_e32 v17, v0
	s_mov_b32 s35, 0
	.p2align	6
.LBB65_25:                              ; =>This Inner Loop Header: Depth=1
	ds_load_b32 v18, v16
	v_add_nc_u32_e32 v17, 0x80, v17
	s_delay_alu instid0(VALU_DEP_1) | instskip(NEXT) | instid1(VALU_DEP_1)
	v_cmp_le_i32_e64 s3, s7, v17
	s_or_b32 s35, s3, s35
	s_waitcnt lgkmcnt(0)
	v_sub_f32_e32 v18, v18, v1
	s_delay_alu instid0(VALU_DEP_1) | instskip(NEXT) | instid1(VALU_DEP_1)
	v_mul_f32_e32 v18, 0x3fb8aa3b, v18
	v_exp_f32_e32 v18, v18
	ds_store_b32 v16, v18
	v_dual_add_f32 v15, v15, v18 :: v_dual_add_nc_u32 v16, 0x200, v16
	s_and_not1_b32 exec_lo, exec_lo, s35
	s_cbranch_execnz .LBB65_25
; %bb.26:
	s_or_b32 exec_lo, exec_lo, s35
.LBB65_27:
	s_delay_alu instid0(SALU_CYCLE_1)
	s_or_b32 exec_lo, exec_lo, s15
	ds_bpermute_b32 v2, v2, v15
	s_waitcnt lgkmcnt(0)
	v_add_f32_e32 v2, v15, v2
	ds_bpermute_b32 v4, v4, v2
	s_waitcnt lgkmcnt(0)
	v_add_f32_e32 v2, v2, v4
	;; [unrolled: 3-line block ×5, first 2 shown]
	s_and_saveexec_b32 s3, vcc_lo
	s_cbranch_execz .LBB65_29
; %bb.28:
	ds_store_b32 v7, v2 offset:80
.LBB65_29:
	s_or_b32 exec_lo, exec_lo, s3
	s_waitcnt lgkmcnt(0)
	s_barrier
	buffer_gl0_inv
	s_and_saveexec_b32 s3, s0
	s_cbranch_execz .LBB65_31
; %bb.30:
	ds_load_b32 v2, v11 offset:80
.LBB65_31:
	s_or_b32 exec_lo, exec_lo, s3
	s_waitcnt lgkmcnt(0)
	ds_bpermute_b32 v4, v13, v2
	s_waitcnt lgkmcnt(0)
	v_add_f32_e32 v2, v2, v4
	ds_bpermute_b32 v4, v14, v2
	s_waitcnt lgkmcnt(0)
	v_add_f32_e32 v2, v2, v4
	v_mov_b32_e32 v4, 0
	ds_bpermute_b32 v2, v4, v2
	s_and_saveexec_b32 s0, s1
	s_cbranch_execz .LBB65_34
; %bb.32:
	s_waitcnt lgkmcnt(0)
	v_add_f32_e32 v4, 0x358637bd, v2
	s_mov_b32 s1, 0
	s_delay_alu instid0(VALU_DEP_1) | instskip(NEXT) | instid1(VALU_DEP_1)
	v_div_scale_f32 v7, null, v4, v4, 1.0
	v_rcp_f32_e32 v11, v7
	s_waitcnt_depctr 0xfff
	v_fma_f32 v12, -v7, v11, 1.0
	s_delay_alu instid0(VALU_DEP_1) | instskip(SKIP_1) | instid1(VALU_DEP_1)
	v_fmac_f32_e32 v11, v12, v11
	v_div_scale_f32 v13, vcc_lo, 1.0, v4, 1.0
	v_mul_f32_e32 v12, v13, v11
	s_delay_alu instid0(VALU_DEP_1) | instskip(NEXT) | instid1(VALU_DEP_1)
	v_fma_f32 v14, -v7, v12, v13
	v_fmac_f32_e32 v12, v14, v11
	s_delay_alu instid0(VALU_DEP_1) | instskip(NEXT) | instid1(VALU_DEP_1)
	v_fma_f32 v7, -v7, v12, v13
	v_div_fmas_f32 v7, v7, v11, v12
	s_delay_alu instid0(VALU_DEP_1)
	v_div_fixup_f32 v4, v7, v4, 1.0
	v_mov_b32_e32 v7, v0
.LBB65_33:                              ; =>This Inner Loop Header: Depth=1
	ds_load_b32 v11, v3
	v_add_nc_u32_e32 v7, 0x80, v7
	s_delay_alu instid0(VALU_DEP_1)
	v_cmp_le_i32_e32 vcc_lo, s7, v7
	s_or_b32 s1, vcc_lo, s1
	s_waitcnt lgkmcnt(0)
	v_mul_f32_e32 v11, v4, v11
	ds_store_b32 v3, v11
	v_add_nc_u32_e32 v3, 0x200, v3
	s_and_not1_b32 exec_lo, exec_lo, s1
	s_cbranch_execnz .LBB65_33
.LBB65_34:
	s_or_b32 exec_lo, exec_lo, s0
	s_mul_i32 s0, s4, s14
	s_waitcnt lgkmcnt(0)
	s_mul_i32 s14, s0, s13
	s_mov_b32 s0, exec_lo
	s_barrier
	buffer_gl0_inv
	v_cmpx_eq_u32_e32 0, v0
	s_cbranch_execz .LBB65_36
; %bb.35:
	s_ashr_i32 s15, s14, 31
	s_mul_i32 s40, s4, s24
	s_lshl_b64 s[38:39], s[14:15], 2
	v_mov_b32_e32 v3, 0
	s_add_u32 s1, s18, s38
	s_addc_u32 s3, s19, s39
	s_ashr_i32 s41, s40, 31
	s_delay_alu instid0(SALU_CYCLE_1) | instskip(NEXT) | instid1(SALU_CYCLE_1)
	s_lshl_b64 s[18:19], s[40:41], 2
	s_add_u32 s1, s1, s18
	s_addc_u32 s3, s3, s19
	s_ashr_i32 s13, s12, 31
	s_delay_alu instid0(SALU_CYCLE_1) | instskip(NEXT) | instid1(SALU_CYCLE_1)
	s_lshl_b64 s[40:41], s[12:13], 2
	s_add_u32 s42, s1, s40
	s_addc_u32 s43, s3, s41
	s_add_u32 s1, s16, s38
	s_addc_u32 s3, s17, s39
	;; [unrolled: 2-line block ×4, first 2 shown]
	s_clause 0x1
	global_store_b32 v3, v1, s[42:43]
	global_store_b32 v3, v2, s[16:17]
.LBB65_36:
	s_or_b32 exec_lo, exec_lo, s0
	v_mov_b32_e32 v11, 0
	s_and_saveexec_b32 s1, s2
	s_cbranch_execz .LBB65_44
; %bb.37:
	s_ashr_i32 s7, s6, 31
	s_sub_i32 s2, s37, s9
	s_lshl_b64 s[6:7], s[6:7], 1
	v_lshl_add_u32 v12, v8, 5, 0x60
	s_add_u32 s0, s30, s6
	s_addc_u32 s15, s31, s7
	s_abs_i32 s3, s10
	s_lshl_b64 s[16:17], s[28:29], 2
	v_cvt_f32_u32_e32 v1, s3
	s_sub_i32 s9, 0, s3
	s_add_i32 s34, s34, -1
	s_mov_b32 s6, 0
	s_mov_b32 s7, s33
	v_rcp_iflag_f32_e32 v1, v1
	s_mov_b32 s10, s33
	s_mov_b32 s13, s33
	v_lshlrev_b32_e32 v4, 4, v10
	s_delay_alu instid0(VALU_DEP_1)
	v_add_co_u32 v13, s0, s0, v4
	s_waitcnt_depctr 0xfff
	v_mul_f32_e32 v1, 0x4f7ffffe, v1
	v_add_co_ci_u32_e64 v14, null, s15, 0, s0
	s_add_u32 s0, s26, s16
	s_mov_b32 s16, s33
	s_delay_alu instid0(VALU_DEP_2) | instskip(SKIP_3) | instid1(VALU_DEP_2)
	v_cvt_u32_f32_e32 v3, v1
	v_lshlrev_b64 v[1:2], 2, v[5:6]
	s_addc_u32 s15, s27, s17
	s_mov_b32 s17, s33
	v_mul_lo_u32 v7, s9, v3
	s_mov_b32 s9, s33
	s_delay_alu instid0(VALU_DEP_2) | instskip(NEXT) | instid1(VALU_DEP_2)
	v_add_co_u32 v6, vcc_lo, s0, v1
	v_mul_hi_u32 v11, v3, v7
	v_add_co_ci_u32_e32 v7, vcc_lo, s15, v2, vcc_lo
	s_mov_b32 s15, s33
	s_delay_alu instid0(VALU_DEP_2)
	v_add_nc_u32_e32 v15, v3, v11
	v_mov_b32_e32 v11, 0
	s_branch .LBB65_40
.LBB65_38:                              ;   in Loop: Header=BB65_40 Depth=1
	s_or_b32 exec_lo, exec_lo, s18
	v_and_b32_e32 v20, 0xffff, v20
	v_and_b32_e32 v21, 0xffff, v21
	;; [unrolled: 1-line block ×4, first 2 shown]
	s_delay_alu instid0(VALU_DEP_4)
	v_lshl_or_b32 v16, v16, 16, v20
	s_waitcnt vmcnt(0)
	;;#ASMSTART
	v_pk_mul_f16 v1, v16, v1;

	;;#ASMEND
	v_lshl_or_b32 v17, v17, 16, v21
	v_lshl_or_b32 v18, v18, 16, v22
	;; [unrolled: 1-line block ×3, first 2 shown]
	;;#ASMSTART
	v_pk_mul_f16 v2, v17, v2;

	;;#ASMEND
	;;#ASMSTART
	v_pk_mul_f16 v3, v18, v3;

	;;#ASMEND
	;; [unrolled: 4-line block ×3, first 2 shown]
	;;#ASMSTART
	v_pk_add_f16 v1, v1, v2;

	;;#ASMEND
	;;#ASMSTART
	v_pk_add_f16 v1, v1, v3;

	;;#ASMEND
	;; [unrolled: 4-line block ×3, first 2 shown]
	v_and_b32_e32 v2, 0xffff, v1
	v_lshrrev_b32_e32 v1, 16, v1
	;;#ASMSTART
	v_cvt_f32_f16 v2, v2;
	;;#ASMEND
	;;#ASMSTART
	v_cvt_f32_f16 v1, v1;
	;;#ASMEND
	s_delay_alu instid0(VALU_DEP_1) | instskip(NEXT) | instid1(VALU_DEP_1)
	v_add_f32_e32 v1, v2, v1
	v_add_f32_e32 v11, v11, v1
.LBB65_39:                              ;   in Loop: Header=BB65_40 Depth=1
	s_or_b32 exec_lo, exec_lo, s0
	v_add_nc_u32_e32 v5, 4, v5
	v_add_co_u32 v6, s0, v6, 16
	s_delay_alu instid0(VALU_DEP_1) | instskip(NEXT) | instid1(VALU_DEP_3)
	v_add_co_ci_u32_e64 v7, s0, 0, v7, s0
	v_cmp_le_i32_e32 vcc_lo, s8, v5
	v_add_nc_u32_e32 v9, 32, v9
	v_add_nc_u32_e32 v12, 0x80, v12
	s_or_b32 s6, vcc_lo, s6
	s_delay_alu instid0(SALU_CYCLE_1)
	s_and_not1_b32 exec_lo, exec_lo, s6
	s_cbranch_execz .LBB65_43
.LBB65_40:                              ; =>This Inner Loop Header: Depth=1
	v_sub_nc_u32_e32 v1, 0, v9
	s_delay_alu instid0(VALU_DEP_1) | instskip(NEXT) | instid1(VALU_DEP_1)
	v_max_i32_e32 v1, v9, v1
	v_mul_hi_u32 v2, v1, s25
	s_delay_alu instid0(VALU_DEP_1) | instskip(NEXT) | instid1(VALU_DEP_1)
	v_mul_lo_u32 v3, v2, s21
	v_sub_nc_u32_e32 v1, v1, v3
	v_add_nc_u32_e32 v3, 1, v2
	s_delay_alu instid0(VALU_DEP_2) | instskip(SKIP_1) | instid1(VALU_DEP_2)
	v_subrev_nc_u32_e32 v4, s21, v1
	v_cmp_le_u32_e32 vcc_lo, s21, v1
	v_dual_cndmask_b32 v2, v2, v3 :: v_dual_cndmask_b32 v1, v1, v4
	v_ashrrev_i32_e32 v3, 31, v9
	s_delay_alu instid0(VALU_DEP_2) | instskip(NEXT) | instid1(VALU_DEP_3)
	v_add_nc_u32_e32 v4, 1, v2
	v_cmp_le_u32_e32 vcc_lo, s21, v1
	s_delay_alu instid0(VALU_DEP_3) | instskip(NEXT) | instid1(VALU_DEP_3)
	v_xor_b32_e32 v3, s11, v3
	v_cndmask_b32_e32 v1, v2, v4, vcc_lo
	s_delay_alu instid0(VALU_DEP_1) | instskip(NEXT) | instid1(VALU_DEP_1)
	v_xor_b32_e32 v1, v1, v3
	v_sub_nc_u32_e32 v1, v1, v3
	s_delay_alu instid0(VALU_DEP_1) | instskip(SKIP_1) | instid1(VALU_DEP_2)
	v_add_nc_u32_e32 v2, s36, v1
	v_cmp_lt_i32_e64 s0, s2, v1
	v_sub_nc_u32_e32 v3, 0, v2
	s_delay_alu instid0(VALU_DEP_1) | instskip(NEXT) | instid1(VALU_DEP_1)
	v_max_i32_e32 v3, v2, v3
	v_mul_hi_u32 v4, v3, v15
	s_delay_alu instid0(VALU_DEP_1) | instskip(NEXT) | instid1(VALU_DEP_1)
	v_mul_lo_u32 v4, v4, s3
	v_sub_nc_u32_e32 v3, v3, v4
	s_delay_alu instid0(VALU_DEP_1) | instskip(SKIP_1) | instid1(VALU_DEP_2)
	v_subrev_nc_u32_e32 v4, s3, v3
	v_cmp_le_u32_e32 vcc_lo, s3, v3
	v_cndmask_b32_e32 v3, v3, v4, vcc_lo
	v_ashrrev_i32_e32 v2, 31, v2
	s_delay_alu instid0(VALU_DEP_2) | instskip(SKIP_1) | instid1(VALU_DEP_2)
	v_subrev_nc_u32_e32 v4, s3, v3
	v_cmp_le_u32_e32 vcc_lo, s3, v3
	v_cndmask_b32_e32 v3, v3, v4, vcc_lo
	s_delay_alu instid0(VALU_DEP_1) | instskip(NEXT) | instid1(VALU_DEP_1)
	v_xor_b32_e32 v3, v3, v2
	v_sub_nc_u32_e32 v2, v3, v2
	s_delay_alu instid0(VALU_DEP_1) | instskip(SKIP_1) | instid1(SALU_CYCLE_1)
	v_cmp_eq_u32_e32 vcc_lo, 0, v2
	s_or_b32 s18, vcc_lo, s0
	s_and_saveexec_b32 s0, s18
	s_cbranch_execz .LBB65_39
; %bb.41:                               ;   in Loop: Header=BB65_40 Depth=1
	global_load_b32 v18, v[6:7], off
	ds_load_2addr_b64 v[1:4], v12 offset1:1
	ds_load_2addr_b64 v[22:25], v12 offset0:2 offset1:3
	s_mov_b32 s18, exec_lo
	s_waitcnt lgkmcnt(1)
	;;#ASMSTART
	v_cvt_f16_f32 v20, v1;

	;;#ASMEND
	s_waitcnt vmcnt(0)
	v_mad_i64_i32 v[16:17], null, v18, s5, 0
	s_delay_alu instid0(VALU_DEP_1)
	v_lshlrev_b64 v[18:19], 1, v[16:17]
	;;#ASMSTART
	v_cvt_f16_f32 v16, v2;

	;;#ASMEND
	;;#ASMSTART
	v_cvt_f16_f32 v21, v3;

	;;#ASMEND
	;; [unrolled: 4-line block ×3, first 2 shown]
	s_waitcnt lgkmcnt(0)
	;;#ASMSTART
	v_cvt_f16_f32 v22, v22;

	;;#ASMEND
	v_add_co_u32 v1, vcc_lo, v13, v18
	v_add_co_ci_u32_e32 v2, vcc_lo, v14, v19, vcc_lo
	;;#ASMSTART
	v_cvt_f16_f32 v18, v23;

	;;#ASMEND
	;;#ASMSTART
	v_cvt_f16_f32 v23, v24;

	;;#ASMEND
	;; [unrolled: 4-line block ×3, first 2 shown]
	global_load_b128 v[1:4], v[1:2], off
	v_cmpx_eq_u32_e64 s34, v5
	s_cbranch_execz .LBB65_38
; %bb.42:                               ;   in Loop: Header=BB65_40 Depth=1
	v_or_b32_e32 v28, 7, v9
	s_waitcnt vmcnt(0)
	v_lshrrev_b32_e32 v29, 16, v4
	v_or_b32_e32 v30, 6, v9
	v_or_b32_e32 v27, 5, v9
	;; [unrolled: 1-line block ×3, first 2 shown]
	v_cmp_gt_i32_e32 vcc_lo, s17, v28
	v_lshrrev_b32_e32 v32, 16, v3
	v_or_b32_e32 v25, 3, v9
	v_or_b32_e32 v26, 2, v9
	v_cndmask_b32_e32 v28, 0, v29, vcc_lo
	v_cmp_gt_i32_e32 vcc_lo, s16, v30
	v_lshrrev_b32_e32 v29, 16, v2
	v_lshrrev_b32_e32 v30, 16, v1
	v_cndmask_b32_e32 v4, 0, v4, vcc_lo
	v_cmp_gt_i32_e32 vcc_lo, s15, v27
	v_dual_cndmask_b32 v27, 0, v32 :: v_dual_add_nc_u32 v24, 1, v9
	v_cmp_gt_i32_e32 vcc_lo, s13, v31
	v_cndmask_b32_e32 v3, 0, v3, vcc_lo
	v_cmp_gt_i32_e32 vcc_lo, s10, v25
	s_delay_alu instid0(VALU_DEP_2)
	v_perm_b32 v3, v27, v3, 0x5040100
	v_cndmask_b32_e32 v25, 0, v29, vcc_lo
	v_cmp_gt_i32_e32 vcc_lo, s9, v26
	v_perm_b32 v4, v28, v4, 0x5040100
	v_cndmask_b32_e32 v2, 0, v2, vcc_lo
	v_cmp_gt_i32_e32 vcc_lo, s7, v24
	v_cndmask_b32_e32 v24, 0, v30, vcc_lo
	v_cmp_gt_i32_e32 vcc_lo, s33, v9
	v_cndmask_b32_e32 v1, 0, v1, vcc_lo
	v_perm_b32 v2, v25, v2, 0x5040100
	s_delay_alu instid0(VALU_DEP_2)
	v_perm_b32 v1, v24, v1, 0x5040100
	s_branch .LBB65_38
.LBB65_43:
	s_or_b32 exec_lo, exec_lo, s6
.LBB65_44:
	s_delay_alu instid0(SALU_CYCLE_1)
	s_or_b32 exec_lo, exec_lo, s1
	v_and_b32_e32 v2, 0x3c0, v0
	v_lshl_add_u32 v1, v10, 2, 0x60
	s_mov_b32 s0, exec_lo
	s_waitcnt_vscnt null, 0x0
	s_barrier
	buffer_gl0_inv
	v_cmpx_eq_u32_e32 64, v2
	s_cbranch_execz .LBB65_46
; %bb.45:
	v_lshlrev_b32_e32 v2, 7, v8
	s_delay_alu instid0(VALU_DEP_1)
	v_add3_u32 v2, v1, v2, 0xffffff00
	ds_store_b32 v2, v11
.LBB65_46:
	s_or_b32 exec_lo, exec_lo, s0
	v_and_b32_e32 v3, 0x3e0, v0
	s_mov_b32 s0, exec_lo
	s_waitcnt lgkmcnt(0)
	s_barrier
	buffer_gl0_inv
	v_lshl_add_u32 v2, v3, 2, v1
	v_cmpx_gt_u32_e32 64, v0
	s_cbranch_execz .LBB65_48
; %bb.47:
	ds_load_b32 v4, v2
	s_waitcnt lgkmcnt(0)
	v_add_f32_e32 v11, v11, v4
.LBB65_48:
	s_or_b32 exec_lo, exec_lo, s0
	s_delay_alu instid0(SALU_CYCLE_1)
	s_mov_b32 s0, exec_lo
	s_barrier
	buffer_gl0_inv
	v_cmpx_eq_u32_e32 32, v3
	s_cbranch_execz .LBB65_50
; %bb.49:
	ds_store_b32 v1, v11
.LBB65_50:
	s_or_b32 exec_lo, exec_lo, s0
	v_cmp_gt_u32_e32 vcc_lo, 32, v0
	s_waitcnt lgkmcnt(0)
	s_barrier
	buffer_gl0_inv
	s_and_saveexec_b32 s0, vcc_lo
	s_cbranch_execz .LBB65_52
; %bb.51:
	ds_load_b32 v0, v2
	s_waitcnt lgkmcnt(0)
	v_add_f32_e32 v11, v11, v0
.LBB65_52:
	s_or_b32 exec_lo, exec_lo, s0
	s_barrier
	buffer_gl0_inv
	s_and_saveexec_b32 s0, vcc_lo
	s_cbranch_execz .LBB65_54
; %bb.53:
	s_lshl_b32 s0, s14, 5
	s_mul_i32 s2, s4, s20
	s_ashr_i32 s1, s0, 31
	v_lshlrev_b32_e32 v0, 1, v10
	s_lshl_b64 s[0:1], s[0:1], 1
	;;#ASMSTART
	v_cvt_f16_f32 v1, v11;

	;;#ASMEND
	s_add_u32 s4, s22, s0
	s_addc_u32 s5, s23, s1
	s_ashr_i32 s3, s2, 31
	s_delay_alu instid0(SALU_CYCLE_1) | instskip(NEXT) | instid1(SALU_CYCLE_1)
	s_lshl_b64 s[0:1], s[2:3], 1
	s_add_u32 s2, s4, s0
	s_addc_u32 s3, s5, s1
	s_lshl_b32 s0, s12, 5
	s_delay_alu instid0(SALU_CYCLE_1) | instskip(NEXT) | instid1(SALU_CYCLE_1)
	s_ashr_i32 s1, s0, 31
	s_lshl_b64 s[0:1], s[0:1], 1
	s_delay_alu instid0(SALU_CYCLE_1)
	s_add_u32 s0, s2, s0
	s_addc_u32 s1, s3, s1
	global_store_b16 v0, v1, s[0:1]
.LBB65_54:
	s_nop 0
	s_sendmsg sendmsg(MSG_DEALLOC_VGPRS)
	s_endpgm
	.section	.rodata,"a",@progbits
	.p2align	6, 0x0
	.amdhsa_kernel _ZN4vllm25paged_attention_v2_kernelIttLi32ELi8ELi128ELNS_18Fp8KVCacheDataTypeE0ELb1ELi512EEEvPfS2_PT_PKS3_PKT0_S9_ifPKiSB_iPKfiiiSD_SD_iiiii
		.amdhsa_group_segment_fixed_size 96
		.amdhsa_private_segment_fixed_size 0
		.amdhsa_kernarg_size 400
		.amdhsa_user_sgpr_count 13
		.amdhsa_user_sgpr_dispatch_ptr 0
		.amdhsa_user_sgpr_queue_ptr 0
		.amdhsa_user_sgpr_kernarg_segment_ptr 1
		.amdhsa_user_sgpr_dispatch_id 0
		.amdhsa_user_sgpr_private_segment_size 0
		.amdhsa_wavefront_size32 1
		.amdhsa_uses_dynamic_stack 0
		.amdhsa_enable_private_segment 0
		.amdhsa_system_sgpr_workgroup_id_x 1
		.amdhsa_system_sgpr_workgroup_id_y 1
		.amdhsa_system_sgpr_workgroup_id_z 1
		.amdhsa_system_sgpr_workgroup_info 0
		.amdhsa_system_vgpr_workitem_id 0
		.amdhsa_next_free_vgpr 35
		.amdhsa_next_free_sgpr 45
		.amdhsa_reserve_vcc 1
		.amdhsa_float_round_mode_32 0
		.amdhsa_float_round_mode_16_64 0
		.amdhsa_float_denorm_mode_32 3
		.amdhsa_float_denorm_mode_16_64 3
		.amdhsa_dx10_clamp 1
		.amdhsa_ieee_mode 1
		.amdhsa_fp16_overflow 0
		.amdhsa_workgroup_processor_mode 1
		.amdhsa_memory_ordered 1
		.amdhsa_forward_progress 0
		.amdhsa_shared_vgpr_count 0
		.amdhsa_exception_fp_ieee_invalid_op 0
		.amdhsa_exception_fp_denorm_src 0
		.amdhsa_exception_fp_ieee_div_zero 0
		.amdhsa_exception_fp_ieee_overflow 0
		.amdhsa_exception_fp_ieee_underflow 0
		.amdhsa_exception_fp_ieee_inexact 0
		.amdhsa_exception_int_div_zero 0
	.end_amdhsa_kernel
	.section	.text._ZN4vllm25paged_attention_v2_kernelIttLi32ELi8ELi128ELNS_18Fp8KVCacheDataTypeE0ELb1ELi512EEEvPfS2_PT_PKS3_PKT0_S9_ifPKiSB_iPKfiiiSD_SD_iiiii,"axG",@progbits,_ZN4vllm25paged_attention_v2_kernelIttLi32ELi8ELi128ELNS_18Fp8KVCacheDataTypeE0ELb1ELi512EEEvPfS2_PT_PKS3_PKT0_S9_ifPKiSB_iPKfiiiSD_SD_iiiii,comdat
.Lfunc_end65:
	.size	_ZN4vllm25paged_attention_v2_kernelIttLi32ELi8ELi128ELNS_18Fp8KVCacheDataTypeE0ELb1ELi512EEEvPfS2_PT_PKS3_PKT0_S9_ifPKiSB_iPKfiiiSD_SD_iiiii, .Lfunc_end65-_ZN4vllm25paged_attention_v2_kernelIttLi32ELi8ELi128ELNS_18Fp8KVCacheDataTypeE0ELb1ELi512EEEvPfS2_PT_PKS3_PKT0_S9_ifPKiSB_iPKfiiiSD_SD_iiiii
                                        ; -- End function
	.section	.AMDGPU.csdata,"",@progbits
; Kernel info:
; codeLenInByte = 5000
; NumSgprs: 47
; NumVgprs: 35
; ScratchSize: 0
; MemoryBound: 0
; FloatMode: 240
; IeeeMode: 1
; LDSByteSize: 96 bytes/workgroup (compile time only)
; SGPRBlocks: 5
; VGPRBlocks: 4
; NumSGPRsForWavesPerEU: 47
; NumVGPRsForWavesPerEU: 35
; Occupancy: 16
; WaveLimiterHint : 1
; COMPUTE_PGM_RSRC2:SCRATCH_EN: 0
; COMPUTE_PGM_RSRC2:USER_SGPR: 13
; COMPUTE_PGM_RSRC2:TRAP_HANDLER: 0
; COMPUTE_PGM_RSRC2:TGID_X_EN: 1
; COMPUTE_PGM_RSRC2:TGID_Y_EN: 1
; COMPUTE_PGM_RSRC2:TGID_Z_EN: 1
; COMPUTE_PGM_RSRC2:TIDIG_COMP_CNT: 0
	.section	.text._ZN4vllm32paged_attention_v2_reduce_kernelItLi32ELi128ELi512EEEvPT_PKfS4_PKS1_PKii,"axG",@progbits,_ZN4vllm32paged_attention_v2_reduce_kernelItLi32ELi128ELi512EEEvPT_PKfS4_PKS1_PKii,comdat
	.protected	_ZN4vllm32paged_attention_v2_reduce_kernelItLi32ELi128ELi512EEEvPT_PKfS4_PKS1_PKii ; -- Begin function _ZN4vllm32paged_attention_v2_reduce_kernelItLi32ELi128ELi512EEEvPT_PKfS4_PKS1_PKii
	.globl	_ZN4vllm32paged_attention_v2_reduce_kernelItLi32ELi128ELi512EEEvPT_PKfS4_PKS1_PKii
	.p2align	8
	.type	_ZN4vllm32paged_attention_v2_reduce_kernelItLi32ELi128ELi512EEEvPT_PKfS4_PKS1_PKii,@function
_ZN4vllm32paged_attention_v2_reduce_kernelItLi32ELi128ELi512EEEvPT_PKfS4_PKS1_PKii: ; @_ZN4vllm32paged_attention_v2_reduce_kernelItLi32ELi128ELi512EEEvPT_PKfS4_PKS1_PKii
; %bb.0:
	s_load_b128 s[4:7], s[0:1], 0x18
	s_add_u32 s8, s0, 48
	s_mov_b32 s10, s15
	s_addc_u32 s9, s1, 0
	s_ashr_i32 s11, s15, 31
	s_delay_alu instid0(SALU_CYCLE_1)
	s_lshl_b64 s[2:3], s[10:11], 2
	s_waitcnt lgkmcnt(0)
	s_add_u32 s2, s6, s2
	s_addc_u32 s3, s7, s3
	s_load_b32 s20, s[2:3], 0x0
	s_clause 0x2
	s_load_b64 s[6:7], s[0:1], 0x0
	s_load_b32 s11, s[0:1], 0x28
	s_load_b32 s15, s[0:1], 0x30
	s_waitcnt lgkmcnt(0)
	s_add_i32 s2, s20, -1
	s_delay_alu instid0(SALU_CYCLE_1)
	s_cmpk_gt_u32 s2, 0x1ff
	s_mov_b32 s2, -1
	s_cbranch_scc0 .LBB66_26
; %bb.1:
	s_load_b64 s[2:3], s[0:1], 0x8
	s_add_i32 s12, s20, 0x1ff
	s_mul_i32 s18, s15, s10
	s_ashr_i32 s13, s12, 31
	v_dual_mov_b32 v4, 0xff7fffff :: v_dual_lshlrev_b32 v3, 2, v0
	s_lshr_b32 s13, s13, 23
	s_mul_i32 s16, s14, s11
	s_add_i32 s12, s12, s13
	s_ashr_i32 s17, s16, 31
	s_ashr_i32 s19, s12, 9
	s_mul_i32 s12, s18, s11
	v_cmp_gt_i32_e32 vcc_lo, s19, v0
	s_ashr_i32 s13, s12, 31
	s_and_saveexec_b32 s21, vcc_lo
	s_cbranch_execz .LBB66_5
; %bb.2:
	s_load_b32 s28, s[8:9], 0xc
	s_load_b64 s[22:23], s[0:1], 0x10
	s_lshl_b64 s[24:25], s[12:13], 2
	s_lshl_b64 s[26:27], s[16:17], 2
	v_dual_mov_b32 v4, 0xff7fffff :: v_dual_add_nc_u32 v5, 32, v3
	v_mov_b32_e32 v6, v0
	s_waitcnt lgkmcnt(0)
	s_and_b32 s1, s28, 0xffff
	s_add_u32 s0, s24, s26
	s_addc_u32 s24, s25, s27
	s_add_u32 s0, s22, s0
	s_addc_u32 s22, s23, s24
	v_add_co_u32 v1, s0, s0, v3
	s_delay_alu instid0(VALU_DEP_1)
	v_add_co_ci_u32_e64 v2, null, s22, 0, s0
	s_mov_b32 s22, 0
	s_lshl_b32 s23, s1, 2
	.p2align	6
.LBB66_3:                               ; =>This Inner Loop Header: Depth=1
	global_load_b32 v7, v[1:2], off
	v_add_nc_u32_e32 v6, s1, v6
	v_max_f32_e32 v4, v4, v4
	v_add_co_u32 v1, s0, v1, s23
	s_delay_alu instid0(VALU_DEP_1) | instskip(NEXT) | instid1(VALU_DEP_4)
	v_add_co_ci_u32_e64 v2, s0, 0, v2, s0
	v_cmp_le_i32_e64 s0, s19, v6
	s_delay_alu instid0(VALU_DEP_1)
	s_or_b32 s22, s0, s22
	s_waitcnt vmcnt(0)
	v_max_f32_e32 v8, v7, v7
	ds_store_b32 v5, v7
	v_dual_max_f32 v4, v4, v8 :: v_dual_add_nc_u32 v5, s23, v5
	s_and_not1_b32 exec_lo, exec_lo, s22
	s_cbranch_execnz .LBB66_3
; %bb.4:
	s_or_b32 exec_lo, exec_lo, s22
.LBB66_5:
	s_delay_alu instid0(SALU_CYCLE_1)
	s_or_b32 exec_lo, exec_lo, s21
	v_mbcnt_lo_u32_b32 v1, -1, 0
	s_waitcnt lgkmcnt(0)
	s_barrier
	buffer_gl0_inv
	v_xor_b32_e32 v2, 16, v1
	v_xor_b32_e32 v5, 8, v1
	s_delay_alu instid0(VALU_DEP_2) | instskip(NEXT) | instid1(VALU_DEP_1)
	v_cmp_gt_i32_e64 s0, 32, v2
	v_cndmask_b32_e64 v2, v1, v2, s0
	s_delay_alu instid0(VALU_DEP_3) | instskip(NEXT) | instid1(VALU_DEP_2)
	v_cmp_gt_i32_e64 s0, 32, v5
	v_lshlrev_b32_e32 v6, 2, v2
	s_delay_alu instid0(VALU_DEP_2) | instskip(SKIP_3) | instid1(VALU_DEP_1)
	v_cndmask_b32_e64 v5, v1, v5, s0
	ds_bpermute_b32 v2, v6, v4
	v_dual_max_f32 v4, v4, v4 :: v_dual_lshlrev_b32 v7, 2, v5
	v_xor_b32_e32 v5, 4, v1
	v_cmp_gt_i32_e64 s0, 32, v5
	s_delay_alu instid0(VALU_DEP_1) | instskip(NEXT) | instid1(VALU_DEP_1)
	v_cndmask_b32_e64 v5, v1, v5, s0
	v_lshlrev_b32_e32 v8, 2, v5
	v_xor_b32_e32 v5, 2, v1
	s_waitcnt lgkmcnt(0)
	v_max_f32_e32 v2, v2, v2
	s_delay_alu instid0(VALU_DEP_2) | instskip(NEXT) | instid1(VALU_DEP_2)
	v_cmp_gt_i32_e64 s0, 32, v5
	v_max_f32_e32 v2, v4, v2
	s_delay_alu instid0(VALU_DEP_2) | instskip(SKIP_3) | instid1(VALU_DEP_1)
	v_cndmask_b32_e64 v5, v1, v5, s0
	ds_bpermute_b32 v4, v7, v2
	s_waitcnt lgkmcnt(0)
	v_max_f32_e32 v4, v4, v4
	v_max_f32_e32 v2, v2, v4
	ds_bpermute_b32 v4, v8, v2
	s_waitcnt lgkmcnt(0)
	v_dual_max_f32 v9, v4, v4 :: v_dual_lshlrev_b32 v4, 2, v5
	s_delay_alu instid0(VALU_DEP_1) | instskip(SKIP_3) | instid1(VALU_DEP_1)
	v_max_f32_e32 v2, v2, v9
	v_xor_b32_e32 v9, 1, v1
	ds_bpermute_b32 v5, v4, v2
	v_cmp_gt_i32_e64 s0, 32, v9
	v_cndmask_b32_e64 v1, v1, v9, s0
	v_lshrrev_b32_e32 v9, 5, v0
	s_delay_alu instid0(VALU_DEP_1) | instskip(SKIP_2) | instid1(VALU_DEP_1)
	v_lshlrev_b32_e32 v9, 2, v9
	s_waitcnt lgkmcnt(0)
	v_max_f32_e32 v5, v5, v5
	v_max_f32_e32 v2, v2, v5
	v_lshlrev_b32_e32 v5, 2, v1
	v_and_b32_e32 v1, 31, v0
	ds_bpermute_b32 v10, v5, v2
	v_cmp_eq_u32_e64 s0, 0, v1
	s_delay_alu instid0(VALU_DEP_1)
	s_and_saveexec_b32 s1, s0
	s_cbranch_execz .LBB66_7
; %bb.6:
	s_waitcnt lgkmcnt(0)
	v_max_f32_e32 v10, v10, v10
	v_max_f32_e32 v2, v2, v2
	s_delay_alu instid0(VALU_DEP_1)
	v_max_f32_e32 v2, v2, v10
	ds_store_b32 v9, v2
.LBB66_7:
	s_or_b32 exec_lo, exec_lo, s1
	v_cmp_gt_u32_e64 s1, 4, v1
	v_mov_b32_e32 v2, 0xff7fffff
	s_waitcnt lgkmcnt(0)
	v_lshlrev_b32_e32 v10, 2, v1
	s_barrier
	buffer_gl0_inv
	s_and_saveexec_b32 s21, s1
	s_cbranch_execz .LBB66_9
; %bb.8:
	ds_load_b32 v2, v10
.LBB66_9:
	s_or_b32 exec_lo, exec_lo, s21
	s_waitcnt lgkmcnt(0)
	ds_bpermute_b32 v1, v4, v2
	v_max_f32_e32 v2, v2, v2
	s_lshl_b32 s21, s19, 2
	s_waitcnt lgkmcnt(0)
	v_dual_mov_b32 v12, 0 :: v_dual_max_f32 v1, v1, v1
	s_delay_alu instid0(VALU_DEP_1) | instskip(SKIP_3) | instid1(VALU_DEP_1)
	v_max_f32_e32 v1, v2, v1
	ds_bpermute_b32 v2, v5, v1
	s_waitcnt lgkmcnt(0)
	v_max_f32_e32 v2, v2, v2
	v_max_f32_e32 v1, v1, v2
	ds_bpermute_b32 v11, v12, v1
	s_and_saveexec_b32 s22, vcc_lo
	s_cbranch_execz .LBB66_13
; %bb.10:
	s_load_b32 s23, s[8:9], 0xc
	s_lshl_b64 s[24:25], s[12:13], 2
	s_lshl_b64 s[26:27], s[16:17], 2
	v_dual_mov_b32 v12, 0 :: v_dual_add_nc_u32 v13, 32, v3
	s_waitcnt lgkmcnt(0)
	s_and_b32 s13, s23, 0xffff
	s_add_u32 s17, s24, s26
	s_addc_u32 s23, s25, s27
	s_add_u32 s2, s2, s17
	s_addc_u32 s3, s3, s23
	v_add_co_u32 v1, s2, s2, v3
	s_delay_alu instid0(VALU_DEP_1)
	v_add_co_ci_u32_e64 v2, null, s3, 0, s2
	v_mov_b32_e32 v3, v0
	s_mov_b32 s3, 0
	s_lshl_b32 s17, s13, 2
	s_set_inst_prefetch_distance 0x1
	.p2align	6
.LBB66_11:                              ; =>This Inner Loop Header: Depth=1
	global_load_b32 v14, v[1:2], off
	ds_load_b32 v15, v13
	v_add_nc_u32_e32 v3, s13, v3
	s_waitcnt lgkmcnt(0)
	v_sub_f32_e32 v15, v15, v11
	s_delay_alu instid0(VALU_DEP_1) | instskip(NEXT) | instid1(VALU_DEP_1)
	v_mul_f32_e32 v16, 0x3fb8aa3b, v15
	v_fma_f32 v17, 0x3fb8aa3b, v15, -v16
	v_rndne_f32_e32 v18, v16
	s_delay_alu instid0(VALU_DEP_1) | instskip(SKIP_1) | instid1(VALU_DEP_4)
	v_sub_f32_e32 v16, v16, v18
	v_cmp_ngt_f32_e32 vcc_lo, 0xc2ce8ed0, v15
	v_fmac_f32_e32 v17, 0x32a5705f, v15
	v_cmp_nlt_f32_e64 s2, 0x42b17218, v15
	s_delay_alu instid0(VALU_DEP_2) | instskip(SKIP_1) | instid1(VALU_DEP_2)
	v_add_f32_e32 v16, v16, v17
	v_cvt_i32_f32_e32 v17, v18
	v_exp_f32_e32 v16, v16
	s_waitcnt_depctr 0xfff
	v_ldexp_f32 v16, v16, v17
	s_delay_alu instid0(VALU_DEP_1) | instskip(SKIP_2) | instid1(VALU_DEP_3)
	v_dual_cndmask_b32 v16, 0, v16 :: v_dual_add_nc_u32 v17, s21, v13
	v_add_co_u32 v1, vcc_lo, v1, s17
	v_add_co_ci_u32_e32 v2, vcc_lo, 0, v2, vcc_lo
	v_cndmask_b32_e64 v15, 0x7f800000, v16, s2
	v_cmp_le_i32_e32 vcc_lo, s19, v3
	v_add_nc_u32_e32 v13, s17, v13
	s_or_b32 s3, vcc_lo, s3
	s_waitcnt vmcnt(0)
	v_mul_f32_e32 v16, v14, v15
	v_fmac_f32_e32 v12, v14, v15
	ds_store_b32 v17, v16
	s_and_not1_b32 exec_lo, exec_lo, s3
	s_cbranch_execnz .LBB66_11
; %bb.12:
	s_set_inst_prefetch_distance 0x2
	s_or_b32 exec_lo, exec_lo, s3
.LBB66_13:
	s_delay_alu instid0(SALU_CYCLE_1)
	s_or_b32 exec_lo, exec_lo, s22
	ds_bpermute_b32 v1, v6, v12
	s_waitcnt lgkmcnt(0)
	s_barrier
	buffer_gl0_inv
	v_add_f32_e32 v1, v12, v1
	ds_bpermute_b32 v2, v7, v1
	s_waitcnt lgkmcnt(0)
	v_add_f32_e32 v1, v1, v2
	ds_bpermute_b32 v2, v8, v1
	s_waitcnt lgkmcnt(0)
	;; [unrolled: 3-line block ×4, first 2 shown]
	v_add_f32_e32 v1, v1, v2
	s_and_saveexec_b32 s2, s0
	s_cbranch_execz .LBB66_15
; %bb.14:
	ds_store_b32 v9, v1 offset:16
.LBB66_15:
	s_or_b32 exec_lo, exec_lo, s2
	s_waitcnt lgkmcnt(0)
	s_barrier
	buffer_gl0_inv
	s_and_saveexec_b32 s0, s1
	s_cbranch_execz .LBB66_17
; %bb.16:
	ds_load_b32 v1, v10 offset:16
.LBB66_17:
	s_or_b32 exec_lo, exec_lo, s0
	s_waitcnt lgkmcnt(0)
	ds_bpermute_b32 v2, v4, v1
	s_mov_b32 s0, exec_lo
	s_waitcnt lgkmcnt(0)
	v_add_f32_e32 v1, v1, v2
	ds_bpermute_b32 v2, v5, v1
	s_waitcnt lgkmcnt(0)
	v_dual_add_f32 v1, v1, v2 :: v_dual_mov_b32 v2, 0
	ds_bpermute_b32 v2, v2, v1
	v_cmpx_gt_u32_e32 32, v0
	s_cbranch_execz .LBB66_25
; %bb.18:
	s_cmp_gt_i32 s20, 0
	s_mov_b32 s1, 0
	s_cbranch_scc1 .LBB66_20
; %bb.19:
	v_mov_b32_e32 v1, 0
	s_branch .LBB66_21
.LBB66_20:
	s_mov_b32 s1, -1
.LBB66_21:
	s_delay_alu instid0(SALU_CYCLE_1) | instskip(SKIP_1) | instid1(VALU_DEP_2)
	v_cndmask_b32_e64 v3, 0, 1, s1
	v_mov_b32_e32 v4, s1
	v_cmp_ne_u32_e32 vcc_lo, 1, v3
	s_cbranch_vccnz .LBB66_24
; %bb.22:
	s_waitcnt lgkmcnt(0)
	v_add_f32_e32 v4, 0x358637bd, v2
	s_lshl_b32 s12, s12, 5
	s_lshl_b32 s16, s16, 5
	s_ashr_i32 s13, s12, 31
	s_ashr_i32 s17, s16, 31
	v_div_scale_f32 v2, null, v4, v4, 1.0
	s_lshl_b64 s[12:13], s[12:13], 1
	s_lshl_b64 s[16:17], s[16:17], 1
	s_max_i32 s1, s19, 1
	s_delay_alu instid0(VALU_DEP_1)
	v_rcp_f32_e32 v3, v2
	s_add_i32 s2, s21, 32
	s_add_u32 s3, s12, s16
	s_addc_u32 s12, s13, s17
	s_add_u32 s3, s4, s3
	s_addc_u32 s12, s5, s12
	s_waitcnt_depctr 0xfff
	v_fma_f32 v1, -v2, v3, 1.0
	s_delay_alu instid0(VALU_DEP_1) | instskip(SKIP_1) | instid1(VALU_DEP_1)
	v_fmac_f32_e32 v3, v1, v3
	v_div_scale_f32 v5, vcc_lo, 1.0, v4, 1.0
	v_dual_mov_b32 v1, 0 :: v_dual_mul_f32 v6, v5, v3
	s_delay_alu instid0(VALU_DEP_1) | instskip(NEXT) | instid1(VALU_DEP_1)
	v_fma_f32 v7, -v2, v6, v5
	v_dual_fmac_f32 v6, v7, v3 :: v_dual_lshlrev_b32 v7, 1, v0
	s_delay_alu instid0(VALU_DEP_1) | instskip(NEXT) | instid1(VALU_DEP_1)
	v_fma_f32 v2, -v2, v6, v5
	v_div_fmas_f32 v5, v2, v3, v6
	s_delay_alu instid0(VALU_DEP_3) | instskip(NEXT) | instid1(VALU_DEP_1)
	v_add_co_u32 v2, s3, s3, v7
	v_add_co_ci_u32_e64 v3, null, s12, 0, s3
	s_delay_alu instid0(VALU_DEP_3)
	v_div_fixup_f32 v5, v5, v4, 1.0
	v_mov_b32_e32 v4, v1
	.p2align	6
.LBB66_23:                              ; =>This Inner Loop Header: Depth=1
	v_mov_b32_e32 v7, s2
	global_load_u16 v6, v[2:3], off
	s_waitcnt vmcnt(0)
	;;#ASMSTART
	v_cvt_f32_f16 v6, v6;
	;;#ASMEND
	v_add_co_u32 v2, vcc_lo, v2, 64
	ds_load_b32 v7, v7
	v_add_co_ci_u32_e32 v3, vcc_lo, 0, v3, vcc_lo
	s_add_i32 s1, s1, -1
	s_add_i32 s2, s2, 4
	s_cmp_eq_u32 s1, 0
	s_waitcnt lgkmcnt(0)
	v_mul_f32_e32 v6, v6, v7
	s_delay_alu instid0(VALU_DEP_1)
	v_fmac_f32_e32 v4, v5, v6
	s_cbranch_scc0 .LBB66_23
.LBB66_24:
	s_lshl_b32 s2, s18, 5
	s_waitcnt lgkmcnt(0)
	v_lshlrev_b64 v[1:2], 1, v[0:1]
	s_ashr_i32 s3, s2, 31
	;;#ASMSTART
	v_cvt_f16_f32 v3, v4;

	;;#ASMEND
	s_lshl_b64 s[2:3], s[2:3], 1
	s_delay_alu instid0(SALU_CYCLE_1) | instskip(SKIP_2) | instid1(SALU_CYCLE_1)
	s_add_u32 s1, s6, s2
	s_addc_u32 s12, s7, s3
	s_lshl_b32 s2, s14, 5
	s_ashr_i32 s3, s2, 31
	s_delay_alu instid0(SALU_CYCLE_1) | instskip(NEXT) | instid1(SALU_CYCLE_1)
	s_lshl_b64 s[2:3], s[2:3], 1
	s_add_u32 s1, s1, s2
	s_addc_u32 s2, s12, s3
	v_add_co_u32 v1, vcc_lo, s1, v1
	v_add_co_ci_u32_e32 v2, vcc_lo, s2, v2, vcc_lo
	global_store_b16 v[1:2], v3, off
.LBB66_25:
	s_or_b32 exec_lo, exec_lo, s0
	s_mov_b32 s2, 0
.LBB66_26:
	s_delay_alu instid0(SALU_CYCLE_1)
	s_and_b32 vcc_lo, exec_lo, s2
	s_cbranch_vccz .LBB66_35
; %bb.27:
	s_mov_b32 s0, exec_lo
	v_cmpx_gt_u32_e32 32, v0
	s_cbranch_execz .LBB66_35
; %bb.28:
	s_mul_i32 s15, s15, s10
	s_load_b32 s8, s[8:9], 0xc
	s_lshl_b32 s0, s15, 5
	s_delay_alu instid0(SALU_CYCLE_1) | instskip(NEXT) | instid1(SALU_CYCLE_1)
	s_ashr_i32 s1, s0, 31
	s_lshl_b64 s[0:1], s[0:1], 1
	s_delay_alu instid0(SALU_CYCLE_1) | instskip(SKIP_4) | instid1(SALU_CYCLE_1)
	s_add_u32 s6, s6, s0
	s_addc_u32 s7, s7, s1
	s_lshl_b32 s0, s14, 5
	s_mul_i32 s14, s14, s11
	s_ashr_i32 s1, s0, 31
	s_lshl_b64 s[2:3], s[0:1], 1
	s_mul_i32 s0, s11, s15
	s_add_u32 s1, s6, s2
	s_addc_u32 s2, s7, s3
	s_lshl_b32 s6, s0, 5
	s_delay_alu instid0(SALU_CYCLE_1) | instskip(NEXT) | instid1(SALU_CYCLE_1)
	s_ashr_i32 s7, s6, 31
	s_lshl_b64 s[6:7], s[6:7], 1
	s_delay_alu instid0(SALU_CYCLE_1) | instskip(SKIP_4) | instid1(SALU_CYCLE_1)
	s_add_u32 s0, s4, s6
	s_addc_u32 s6, s5, s7
	s_lshl_b32 s4, s14, 5
	s_mov_b32 s7, 0
	s_ashr_i32 s5, s4, 31
	s_lshl_b64 s[4:5], s[4:5], 1
	s_delay_alu instid0(SALU_CYCLE_1) | instskip(SKIP_3) | instid1(SALU_CYCLE_1)
	s_add_u32 s3, s0, s4
	s_addc_u32 s4, s6, s5
	s_waitcnt lgkmcnt(0)
	s_and_b32 s5, s8, 0xffff
	v_cvt_f32_u32_e32 v1, s5
	s_cmp_eq_u32 s5, 1
	v_add_nc_u32_e32 v3, s5, v0
	s_cselect_b32 s6, -1, 0
	s_sub_i32 s0, 0, s5
	v_rcp_iflag_f32_e32 v1, v1
	s_delay_alu instid0(VALU_DEP_1) | instskip(SKIP_3) | instid1(VALU_DEP_1)
	v_cmp_gt_u32_e32 vcc_lo, 32, v3
	v_max_u32_e32 v4, 32, v3
	s_waitcnt_depctr 0xfff
	v_mul_f32_e32 v1, 0x4f7ffffe, v1
	v_cvt_u32_f32_e32 v1, v1
	s_delay_alu instid0(VALU_DEP_1) | instskip(SKIP_1) | instid1(VALU_DEP_1)
	v_mul_lo_u32 v2, s0, v1
	v_add_co_ci_u32_e64 v3, s0, s5, v0, vcc_lo
	v_sub_nc_u32_e32 v3, v4, v3
	s_delay_alu instid0(VALU_DEP_3) | instskip(NEXT) | instid1(VALU_DEP_1)
	v_mul_hi_u32 v2, v1, v2
	v_add_nc_u32_e32 v1, v1, v2
	s_delay_alu instid0(VALU_DEP_1) | instskip(NEXT) | instid1(VALU_DEP_1)
	v_mul_hi_u32 v1, v3, v1
	v_mul_lo_u32 v2, v1, s5
	s_delay_alu instid0(VALU_DEP_1) | instskip(SKIP_1) | instid1(VALU_DEP_2)
	v_sub_nc_u32_e32 v2, v3, v2
	v_add_nc_u32_e32 v3, 1, v1
	v_subrev_nc_u32_e32 v4, s5, v2
	v_cmp_le_u32_e64 s0, s5, v2
	s_delay_alu instid0(VALU_DEP_1) | instskip(NEXT) | instid1(VALU_DEP_3)
	v_cndmask_b32_e64 v1, v1, v3, s0
	v_cndmask_b32_e64 v2, v2, v4, s0
	s_delay_alu instid0(VALU_DEP_2) | instskip(NEXT) | instid1(VALU_DEP_2)
	v_add_nc_u32_e32 v3, 1, v1
	v_cmp_le_u32_e64 s0, s5, v2
	s_delay_alu instid0(VALU_DEP_1) | instskip(SKIP_1) | instid1(VALU_DEP_1)
	v_cndmask_b32_e64 v1, v1, v3, s0
	s_mov_b32 s0, -1
	v_add_co_ci_u32_e32 v3, vcc_lo, 1, v1, vcc_lo
	s_delay_alu instid0(VALU_DEP_1) | instskip(SKIP_1) | instid1(SALU_CYCLE_1)
	v_cmp_lt_u32_e32 vcc_lo, 3, v3
	s_and_b32 s8, vcc_lo, s6
	s_and_saveexec_b32 s6, s8
	s_cbranch_execz .LBB66_32
; %bb.29:
	v_dual_mov_b32 v1, v0 :: v_dual_and_b32 v4, -4, v3
	s_delay_alu instid0(VALU_DEP_1)
	v_dual_mov_b32 v2, 0 :: v_dual_mov_b32 v5, v4
	.p2align	6
.LBB66_30:                              ; =>This Inner Loop Header: Depth=1
	s_delay_alu instid0(VALU_DEP_1) | instskip(NEXT) | instid1(VALU_DEP_2)
	v_lshlrev_b64 v[6:7], 1, v[1:2]
	v_add_nc_u32_e32 v5, -4, v5
	v_add_nc_u32_e32 v1, 4, v1
	s_delay_alu instid0(VALU_DEP_3) | instskip(NEXT) | instid1(VALU_DEP_4)
	v_add_co_u32 v8, vcc_lo, s3, v6
	v_add_co_ci_u32_e32 v9, vcc_lo, s4, v7, vcc_lo
	s_delay_alu instid0(VALU_DEP_4)
	v_cmp_eq_u32_e32 vcc_lo, 0, v5
	v_add_co_u32 v6, s0, s1, v6
	global_load_b64 v[8:9], v[8:9], off
	v_add_co_ci_u32_e64 v7, s0, s2, v7, s0
	s_or_b32 s7, vcc_lo, s7
	s_waitcnt vmcnt(0)
	global_store_b64 v[6:7], v[8:9], off
	s_and_not1_b32 exec_lo, exec_lo, s7
	s_cbranch_execnz .LBB66_30
; %bb.31:
	s_or_b32 exec_lo, exec_lo, s7
	v_cmp_ne_u32_e32 vcc_lo, v3, v4
	v_add_nc_u32_e32 v0, v0, v4
	s_or_not1_b32 s0, vcc_lo, exec_lo
.LBB66_32:
	s_or_b32 exec_lo, exec_lo, s6
	s_delay_alu instid0(SALU_CYCLE_1)
	s_and_b32 exec_lo, exec_lo, s0
	s_cbranch_execz .LBB66_35
; %bb.33:
	v_mov_b32_e32 v1, 0
	s_mov_b32 s6, 0
	s_lshl_b32 s7, s5, 1
	s_delay_alu instid0(VALU_DEP_1)
	v_lshlrev_b64 v[1:2], 1, v[0:1]
	.p2align	6
.LBB66_34:                              ; =>This Inner Loop Header: Depth=1
	s_delay_alu instid0(VALU_DEP_1) | instskip(NEXT) | instid1(VALU_DEP_2)
	v_add_co_u32 v3, vcc_lo, s3, v1
	v_add_co_ci_u32_e32 v4, vcc_lo, s4, v2, vcc_lo
	v_add_nc_u32_e32 v0, s5, v0
	global_load_u16 v5, v[3:4], off
	v_add_co_u32 v3, vcc_lo, s1, v1
	v_add_co_ci_u32_e32 v4, vcc_lo, s2, v2, vcc_lo
	v_cmp_lt_u32_e32 vcc_lo, 31, v0
	v_add_co_u32 v1, s0, v1, s7
	s_delay_alu instid0(VALU_DEP_1)
	v_add_co_ci_u32_e64 v2, s0, 0, v2, s0
	s_or_b32 s6, vcc_lo, s6
	s_waitcnt vmcnt(0)
	global_store_b16 v[3:4], v5, off
	s_and_not1_b32 exec_lo, exec_lo, s6
	s_cbranch_execnz .LBB66_34
.LBB66_35:
	s_nop 0
	s_sendmsg sendmsg(MSG_DEALLOC_VGPRS)
	s_endpgm
	.section	.rodata,"a",@progbits
	.p2align	6, 0x0
	.amdhsa_kernel _ZN4vllm32paged_attention_v2_reduce_kernelItLi32ELi128ELi512EEEvPT_PKfS4_PKS1_PKii
		.amdhsa_group_segment_fixed_size 32
		.amdhsa_private_segment_fixed_size 0
		.amdhsa_kernarg_size 304
		.amdhsa_user_sgpr_count 14
		.amdhsa_user_sgpr_dispatch_ptr 0
		.amdhsa_user_sgpr_queue_ptr 0
		.amdhsa_user_sgpr_kernarg_segment_ptr 1
		.amdhsa_user_sgpr_dispatch_id 0
		.amdhsa_user_sgpr_private_segment_size 0
		.amdhsa_wavefront_size32 1
		.amdhsa_uses_dynamic_stack 0
		.amdhsa_enable_private_segment 0
		.amdhsa_system_sgpr_workgroup_id_x 1
		.amdhsa_system_sgpr_workgroup_id_y 1
		.amdhsa_system_sgpr_workgroup_id_z 0
		.amdhsa_system_sgpr_workgroup_info 0
		.amdhsa_system_vgpr_workitem_id 0
		.amdhsa_next_free_vgpr 19
		.amdhsa_next_free_sgpr 29
		.amdhsa_reserve_vcc 1
		.amdhsa_float_round_mode_32 0
		.amdhsa_float_round_mode_16_64 0
		.amdhsa_float_denorm_mode_32 3
		.amdhsa_float_denorm_mode_16_64 3
		.amdhsa_dx10_clamp 1
		.amdhsa_ieee_mode 1
		.amdhsa_fp16_overflow 0
		.amdhsa_workgroup_processor_mode 1
		.amdhsa_memory_ordered 1
		.amdhsa_forward_progress 0
		.amdhsa_shared_vgpr_count 0
		.amdhsa_exception_fp_ieee_invalid_op 0
		.amdhsa_exception_fp_denorm_src 0
		.amdhsa_exception_fp_ieee_div_zero 0
		.amdhsa_exception_fp_ieee_overflow 0
		.amdhsa_exception_fp_ieee_underflow 0
		.amdhsa_exception_fp_ieee_inexact 0
		.amdhsa_exception_int_div_zero 0
	.end_amdhsa_kernel
	.section	.text._ZN4vllm32paged_attention_v2_reduce_kernelItLi32ELi128ELi512EEEvPT_PKfS4_PKS1_PKii,"axG",@progbits,_ZN4vllm32paged_attention_v2_reduce_kernelItLi32ELi128ELi512EEEvPT_PKfS4_PKS1_PKii,comdat
.Lfunc_end66:
	.size	_ZN4vllm32paged_attention_v2_reduce_kernelItLi32ELi128ELi512EEEvPT_PKfS4_PKS1_PKii, .Lfunc_end66-_ZN4vllm32paged_attention_v2_reduce_kernelItLi32ELi128ELi512EEEvPT_PKfS4_PKS1_PKii
                                        ; -- End function
	.section	.AMDGPU.csdata,"",@progbits
; Kernel info:
; codeLenInByte = 2416
; NumSgprs: 31
; NumVgprs: 19
; ScratchSize: 0
; MemoryBound: 0
; FloatMode: 240
; IeeeMode: 1
; LDSByteSize: 32 bytes/workgroup (compile time only)
; SGPRBlocks: 3
; VGPRBlocks: 2
; NumSGPRsForWavesPerEU: 31
; NumVGPRsForWavesPerEU: 19
; Occupancy: 16
; WaveLimiterHint : 0
; COMPUTE_PGM_RSRC2:SCRATCH_EN: 0
; COMPUTE_PGM_RSRC2:USER_SGPR: 14
; COMPUTE_PGM_RSRC2:TRAP_HANDLER: 0
; COMPUTE_PGM_RSRC2:TGID_X_EN: 1
; COMPUTE_PGM_RSRC2:TGID_Y_EN: 1
; COMPUTE_PGM_RSRC2:TGID_Z_EN: 0
; COMPUTE_PGM_RSRC2:TIDIG_COMP_CNT: 0
	.section	.text._ZN4vllm25paged_attention_v2_kernelIttLi64ELi8ELi128ELNS_18Fp8KVCacheDataTypeE0ELb1ELi512EEEvPfS2_PT_PKS3_PKT0_S9_ifPKiSB_iPKfiiiSD_SD_iiiii,"axG",@progbits,_ZN4vllm25paged_attention_v2_kernelIttLi64ELi8ELi128ELNS_18Fp8KVCacheDataTypeE0ELb1ELi512EEEvPfS2_PT_PKS3_PKT0_S9_ifPKiSB_iPKfiiiSD_SD_iiiii,comdat
	.protected	_ZN4vllm25paged_attention_v2_kernelIttLi64ELi8ELi128ELNS_18Fp8KVCacheDataTypeE0ELb1ELi512EEEvPfS2_PT_PKS3_PKT0_S9_ifPKiSB_iPKfiiiSD_SD_iiiii ; -- Begin function _ZN4vllm25paged_attention_v2_kernelIttLi64ELi8ELi128ELNS_18Fp8KVCacheDataTypeE0ELb1ELi512EEEvPfS2_PT_PKS3_PKT0_S9_ifPKiSB_iPKfiiiSD_SD_iiiii
	.globl	_ZN4vllm25paged_attention_v2_kernelIttLi64ELi8ELi128ELNS_18Fp8KVCacheDataTypeE0ELb1ELi512EEEvPfS2_PT_PKS3_PKT0_S9_ifPKiSB_iPKfiiiSD_SD_iiiii
	.p2align	8
	.type	_ZN4vllm25paged_attention_v2_kernelIttLi64ELi8ELi128ELNS_18Fp8KVCacheDataTypeE0ELb1ELi512EEEvPfS2_PT_PKS3_PKT0_S9_ifPKiSB_iPKfiiiSD_SD_iiiii,@function
_ZN4vllm25paged_attention_v2_kernelIttLi64ELi8ELi128ELNS_18Fp8KVCacheDataTypeE0ELb1ELi512EEEvPfS2_PT_PKS3_PKT0_S9_ifPKiSB_iPKfiiiSD_SD_iiiii: ; @_ZN4vllm25paged_attention_v2_kernelIttLi64ELi8ELi128ELNS_18Fp8KVCacheDataTypeE0ELb1ELi512EEEvPfS2_PT_PKS3_PKT0_S9_ifPKiSB_iPKfiiiSD_SD_iiiii
; %bb.0:
	s_load_b64 s[2:3], s[0:1], 0x40
	s_mov_b32 s22, s15
	s_ashr_i32 s15, s14, 31
	s_delay_alu instid0(SALU_CYCLE_1)
	s_lshl_b64 s[4:5], s[14:15], 2
	s_waitcnt lgkmcnt(0)
	s_add_u32 s2, s2, s4
	s_addc_u32 s3, s3, s5
	s_lshl_b32 s23, s22, 9
	s_load_b32 s33, s[2:3], 0x0
	s_waitcnt lgkmcnt(0)
	s_cmp_ge_i32 s23, s33
	s_cbranch_scc1 .LBB67_56
; %bb.1:
	s_clause 0x1
	s_load_b32 s15, s[0:1], 0x90
	s_load_b64 s[34:35], s[0:1], 0x30
	s_mov_b32 s24, s13
	s_mov_b32 s40, 0
	s_waitcnt lgkmcnt(0)
	s_abs_i32 s5, s15
	s_abs_i32 s2, s34
	s_delay_alu instid0(SALU_CYCLE_1) | instskip(SKIP_1) | instid1(VALU_DEP_1)
	v_cvt_f32_u32_e32 v1, s2
	s_sub_i32 s4, 0, s2
	v_rcp_iflag_f32_e32 v1, v1
	s_waitcnt_depctr 0xfff
	v_mul_f32_e32 v1, 0x4f7ffffe, v1
	s_delay_alu instid0(VALU_DEP_1) | instskip(NEXT) | instid1(VALU_DEP_1)
	v_cvt_u32_f32_e32 v1, v1
	v_readfirstlane_b32 s3, v1
	s_delay_alu instid0(VALU_DEP_1) | instskip(NEXT) | instid1(SALU_CYCLE_1)
	s_mul_i32 s4, s4, s3
	s_mul_hi_u32 s4, s3, s4
	s_delay_alu instid0(SALU_CYCLE_1) | instskip(SKIP_4) | instid1(SALU_CYCLE_1)
	s_add_i32 s3, s3, s4
	s_xor_b32 s4, s15, s34
	s_mul_hi_u32 s3, s5, s3
	s_ashr_i32 s4, s4, 31
	s_mul_i32 s6, s3, s2
	s_sub_i32 s5, s5, s6
	s_add_i32 s6, s3, 1
	s_sub_i32 s7, s5, s2
	s_cmp_ge_u32 s5, s2
	s_cselect_b32 s3, s6, s3
	s_cselect_b32 s5, s7, s5
	s_add_i32 s6, s3, 1
	s_cmp_ge_u32 s5, s2
	s_cselect_b32 s2, s6, s3
	s_abs_i32 s17, s13
	s_xor_b32 s2, s2, s4
	s_delay_alu instid0(SALU_CYCLE_1) | instskip(SKIP_2) | instid1(SALU_CYCLE_1)
	s_sub_i32 s8, s2, s4
	s_load_b64 s[2:3], s[0:1], 0x50
	s_abs_i32 s16, s8
	v_cvt_f32_u32_e32 v1, s16
	s_sub_i32 s5, 0, s16
	s_delay_alu instid0(VALU_DEP_1) | instskip(SKIP_2) | instid1(VALU_DEP_1)
	v_rcp_iflag_f32_e32 v1, v1
	s_waitcnt_depctr 0xfff
	v_mul_f32_e32 v1, 0x4f7ffffe, v1
	v_cvt_u32_f32_e32 v1, v1
	s_delay_alu instid0(VALU_DEP_1) | instskip(NEXT) | instid1(VALU_DEP_1)
	v_readfirstlane_b32 s4, v1
	s_mul_i32 s5, s5, s4
	s_delay_alu instid0(SALU_CYCLE_1) | instskip(NEXT) | instid1(SALU_CYCLE_1)
	s_mul_hi_u32 s5, s4, s5
	s_add_i32 s4, s4, s5
	s_waitcnt lgkmcnt(0)
	s_cmp_eq_u64 s[2:3], 0
	s_mul_hi_u32 s18, s17, s4
	s_cbranch_scc1 .LBB67_3
; %bb.2:
	s_ashr_i32 s25, s24, 31
	s_delay_alu instid0(SALU_CYCLE_1) | instskip(NEXT) | instid1(SALU_CYCLE_1)
	s_lshl_b64 s[4:5], s[24:25], 2
	s_add_u32 s2, s2, s4
	s_addc_u32 s3, s3, s5
	s_load_b32 s40, s[2:3], 0x0
.LBB67_3:
	s_load_b128 s[4:7], s[0:1], 0x58
	v_and_b32_e32 v1, 3, v0
	v_cmp_gt_u32_e64 s2, 32, v0
	v_lshlrev_b32_e32 v2, 2, v0
	s_ashr_i32 s3, s24, 31
	s_waitcnt lgkmcnt(0)
	s_ashr_i32 s7, s8, 31
	s_lshl_b32 s12, s24, 6
	s_and_saveexec_b32 s8, s2
	s_cbranch_execz .LBB67_5
; %bb.4:
	s_load_b64 s[10:11], s[0:1], 0x18
	s_mul_i32 s20, s14, s4
	v_and_b32_e32 v4, 0x3fc, v0
	s_ashr_i32 s21, s20, 31
	s_delay_alu instid0(SALU_CYCLE_1) | instskip(NEXT) | instid1(VALU_DEP_1)
	s_lshl_b64 s[20:21], s[20:21], 1
	v_lshl_add_u32 v4, v1, 5, v4
	s_waitcnt lgkmcnt(0)
	s_add_u32 s4, s10, s20
	s_addc_u32 s9, s11, s21
	s_ashr_i32 s13, s12, 31
	s_delay_alu instid0(SALU_CYCLE_1) | instskip(NEXT) | instid1(SALU_CYCLE_1)
	s_lshl_b64 s[10:11], s[12:13], 1
	s_add_u32 s10, s4, s10
	s_addc_u32 s11, s9, s11
	global_load_b32 v3, v2, s[10:11]
	s_waitcnt vmcnt(0)
	ds_store_b32 v4, v3
.LBB67_5:
	s_or_b32 exec_lo, exec_lo, s8
	s_load_b128 s[8:11], s[0:1], 0x78
	s_mul_i32 s4, s18, s16
	s_xor_b32 s3, s3, s7
	s_sub_i32 s4, s17, s4
	s_add_i32 s7, s18, 1
	s_sub_i32 s13, s4, s16
	s_cmp_ge_u32 s4, s16
	s_waitcnt lgkmcnt(0)
	s_cselect_b32 s7, s7, s18
	s_cselect_b32 s4, s13, s4
	s_add_i32 s13, s7, 1
	s_cmp_ge_u32 s4, s16
	s_load_b32 s16, s[0:1], 0x88
	s_cselect_b32 s4, s13, s7
	s_add_i32 s17, s33, -1
	s_xor_b32 s4, s4, s3
	s_abs_i32 s7, s17
	s_sub_i32 s4, s4, s3
	s_mov_b32 s18, -1
	s_waitcnt lgkmcnt(0)
	s_barrier
	s_abs_i32 s13, s11
	buffer_gl0_inv
	v_cvt_f32_u32_e32 v3, s13
	s_sub_i32 s3, 0, s13
                                        ; implicit-def: $sgpr36
	s_delay_alu instid0(VALU_DEP_1) | instskip(SKIP_2) | instid1(VALU_DEP_1)
	v_rcp_iflag_f32_e32 v3, v3
	s_waitcnt_depctr 0xfff
	v_mul_f32_e32 v3, 0x4f7ffffe, v3
	v_cvt_u32_f32_e32 v3, v3
	s_delay_alu instid0(VALU_DEP_1) | instskip(NEXT) | instid1(VALU_DEP_1)
	v_readfirstlane_b32 s25, v3
	s_mul_i32 s3, s3, s25
	s_delay_alu instid0(SALU_CYCLE_1) | instskip(NEXT) | instid1(SALU_CYCLE_1)
	s_mul_hi_u32 s3, s25, s3
	s_add_i32 s25, s25, s3
	s_cmp_lt_i32 s16, 0
	s_mul_hi_u32 s3, s7, s25
	s_cbranch_scc0 .LBB67_7
; %bb.6:
	s_mul_i32 s18, s8, s34
	s_delay_alu instid0(SALU_CYCLE_1) | instskip(NEXT) | instid1(SALU_CYCLE_1)
	s_add_i32 s18, s4, s18
	s_mul_i32 s18, s18, s16
	s_delay_alu instid0(SALU_CYCLE_1)
	s_sub_i32 s36, 1, s18
	s_mov_b32 s18, 0
.LBB67_7:
	s_load_b64 s[26:27], s[0:1], 0x38
	s_ashr_i32 s28, s17, 31
	s_and_not1_b32 vcc_lo, exec_lo, s18
	s_ashr_i32 s34, s11, 31
	s_cbranch_vccnz .LBB67_9
; %bb.8:
	s_mul_i32 s8, s15, s8
	s_delay_alu instid0(SALU_CYCLE_1) | instskip(NEXT) | instid1(SALU_CYCLE_1)
	s_add_i32 s8, s8, s24
	s_mul_i32 s8, s8, s16
	s_delay_alu instid0(SALU_CYCLE_1)
	s_add_i32 s36, s8, 1
.LBB67_9:
	s_clause 0x4
	s_load_b32 s8, s[0:1], 0x48
	s_load_b64 s[30:31], s[0:1], 0x28
	s_load_b32 s11, s[0:1], 0x98
	s_load_b128 s[16:19], s[0:1], 0x0
	s_load_b64 s[20:21], s[0:1], 0x10
	s_xor_b32 s39, s28, s34
	s_mul_i32 s28, s3, s13
	s_add_i32 s37, s3, 1
	s_sub_i32 s7, s7, s28
	v_lshrrev_b32_e32 v10, 5, v0
	v_mov_b32_e32 v4, 0xff7fffff
	v_mbcnt_lo_u32_b32 v3, -1, 0
	s_mul_i32 s6, s4, s6
	s_delay_alu instid0(VALU_DEP_3)
	v_lshl_add_u32 v11, v10, 3, s23
	s_waitcnt lgkmcnt(0)
	s_mul_i32 s28, s14, s8
	s_sub_i32 s8, s7, s13
	s_ashr_i32 s29, s28, 31
	s_cmp_ge_u32 s7, s13
	s_cselect_b32 s3, s37, s3
	s_cselect_b32 s7, s8, s7
	s_add_i32 s8, s3, 1
	s_cmp_ge_u32 s7, s13
	s_cselect_b32 s3, s8, s3
	s_add_i32 s7, s33, 7
	s_lshl_b32 s8, s22, 6
	s_ashr_i32 s37, s7, 31
	v_or_b32_e32 v5, s8, v10
	s_lshr_b32 s37, s37, 29
	s_delay_alu instid0(SALU_CYCLE_1)
	s_add_i32 s7, s7, s37
	s_add_i32 s37, s8, 64
	s_ashr_i32 s38, s7, 3
	s_xor_b32 s7, s3, s39
	s_min_i32 s37, s37, s38
	v_ashrrev_i32_e32 v6, 31, v5
	v_cmp_gt_i32_e64 s3, s37, v5
	s_sub_i32 s39, s7, s39
	s_delay_alu instid0(VALU_DEP_1)
	s_and_saveexec_b32 s41, s3
	s_cbranch_execz .LBB67_19
; %bb.10:
	s_load_b64 s[0:1], s[0:1], 0x20
	s_ashr_i32 s7, s6, 31
	v_bfe_u32 v7, v0, 2, 3
	s_lshl_b64 s[42:43], s[6:7], 1
	s_sub_i32 s7, s39, s9
	v_cmp_eq_u32_e32 vcc_lo, 0, v1
	v_dual_mov_b32 v12, 0xff7fffff :: v_dual_and_b32 v17, 12, v2
	v_subrev_nc_u32_e32 v18, s33, v7
	v_lshlrev_b32_e32 v8, 5, v1
	v_lshlrev_b64 v[1:2], 2, v[5:6]
	v_lshl_add_u32 v9, v10, 3, s23
	v_xor_b32_e32 v13, 2, v3
	v_xor_b32_e32 v14, 1, v3
	v_lshlrev_b32_e32 v21, 4, v7
	s_waitcnt lgkmcnt(0)
	s_add_u32 s4, s0, s42
	s_addc_u32 s1, s1, s43
	s_abs_i32 s42, s10
	s_lshl_b64 s[44:45], s[28:29], 2
	v_cvt_f32_u32_e32 v4, s42
	s_sub_i32 s43, 0, s42
	v_cmp_neq_f32_e64 s0, s40, 0
	s_delay_alu instid0(VALU_DEP_2) | instskip(SKIP_2) | instid1(VALU_DEP_1)
	v_rcp_iflag_f32_e32 v4, v4
	s_waitcnt_depctr 0xfff
	v_dual_mul_f32 v16, 0x4f7ffffe, v4 :: v_dual_lshlrev_b32 v15, 2, v7
	v_lshl_or_b32 v19, v10, 5, v15
	v_dual_mov_b32 v4, 0xff7fffff :: v_dual_add_nc_u32 v15, 1, v18
	s_delay_alu instid0(VALU_DEP_3) | instskip(NEXT) | instid1(VALU_DEP_3)
	v_cvt_u32_f32_e32 v20, v16
	v_add_nc_u32_e32 v16, 0xa0, v19
	v_add_co_u32 v19, s4, s4, v21
	s_delay_alu instid0(VALU_DEP_1) | instskip(NEXT) | instid1(VALU_DEP_4)
	v_add_co_ci_u32_e64 v21, null, s1, 0, s4
	v_mul_lo_u32 v18, s43, v20
	s_add_u32 s1, s26, s44
	s_addc_u32 s4, s27, s45
	v_add_co_u32 v1, s1, s1, v1
	s_delay_alu instid0(VALU_DEP_1) | instskip(SKIP_1) | instid1(VALU_DEP_4)
	v_add_co_ci_u32_e64 v2, s1, s4, v2, s1
	v_add_co_u32 v17, s1, v19, v17
	v_mul_hi_u32 v22, v20, v18
	v_add_co_ci_u32_e64 v18, s1, 0, v21, s1
	s_mov_b32 s43, 0
	s_mov_b32 s44, s5
	s_delay_alu instid0(VALU_DEP_2)
	v_dual_mov_b32 v20, v5 :: v_dual_add_nc_u32 v19, v20, v22
	s_branch .LBB67_13
.LBB67_11:                              ;   in Loop: Header=BB67_13 Depth=1
	s_or_b32 exec_lo, exec_lo, s45
.LBB67_12:                              ;   in Loop: Header=BB67_13 Depth=1
	s_delay_alu instid0(SALU_CYCLE_1) | instskip(SKIP_2) | instid1(VALU_DEP_1)
	s_or_b32 exec_lo, exec_lo, s4
	v_add_nc_u32_e32 v20, 4, v20
	v_add_co_u32 v1, s4, v1, 16
	v_add_co_ci_u32_e64 v2, s4, 0, v2, s4
	s_delay_alu instid0(VALU_DEP_3) | instskip(SKIP_2) | instid1(VALU_DEP_3)
	v_cmp_le_i32_e64 s1, s37, v20
	v_add_nc_u32_e32 v9, 32, v9
	v_add_nc_u32_e32 v16, 0x80, v16
	s_or_b32 s43, s1, s43
	s_delay_alu instid0(SALU_CYCLE_1)
	s_and_not1_b32 exec_lo, exec_lo, s43
	s_cbranch_execz .LBB67_18
.LBB67_13:                              ; =>This Inner Loop Header: Depth=1
	v_sub_nc_u32_e32 v21, 0, v9
	s_delay_alu instid0(VALU_DEP_1) | instskip(SKIP_1) | instid1(VALU_DEP_1)
	v_max_i32_e32 v21, v9, v21
	s_waitcnt lgkmcnt(0)
	v_mul_hi_u32 v22, v21, s25
	s_delay_alu instid0(VALU_DEP_1) | instskip(NEXT) | instid1(VALU_DEP_1)
	v_mul_lo_u32 v23, v22, s13
	v_sub_nc_u32_e32 v21, v21, v23
	v_add_nc_u32_e32 v23, 1, v22
	s_delay_alu instid0(VALU_DEP_2) | instskip(SKIP_1) | instid1(VALU_DEP_1)
	v_subrev_nc_u32_e32 v24, s13, v21
	v_cmp_le_u32_e64 s1, s13, v21
	v_cndmask_b32_e64 v22, v22, v23, s1
	s_delay_alu instid0(VALU_DEP_3) | instskip(SKIP_1) | instid1(VALU_DEP_3)
	v_cndmask_b32_e64 v21, v21, v24, s1
	v_ashrrev_i32_e32 v23, 31, v9
	v_add_nc_u32_e32 v24, 1, v22
	s_delay_alu instid0(VALU_DEP_3) | instskip(NEXT) | instid1(VALU_DEP_3)
	v_cmp_le_u32_e64 s1, s13, v21
	v_xor_b32_e32 v23, s34, v23
	s_delay_alu instid0(VALU_DEP_2) | instskip(NEXT) | instid1(VALU_DEP_1)
	v_cndmask_b32_e64 v21, v22, v24, s1
	v_xor_b32_e32 v21, v21, v23
	s_delay_alu instid0(VALU_DEP_1) | instskip(NEXT) | instid1(VALU_DEP_1)
	v_sub_nc_u32_e32 v21, v21, v23
	v_add_nc_u32_e32 v22, s36, v21
	v_cmp_ge_i32_e64 s4, s7, v21
	s_delay_alu instid0(VALU_DEP_2) | instskip(NEXT) | instid1(VALU_DEP_1)
	v_sub_nc_u32_e32 v23, 0, v22
	v_max_i32_e32 v23, v22, v23
	v_ashrrev_i32_e32 v22, 31, v22
	s_delay_alu instid0(VALU_DEP_2) | instskip(NEXT) | instid1(VALU_DEP_1)
	v_mul_hi_u32 v24, v23, v19
	v_mul_lo_u32 v24, v24, s42
	s_delay_alu instid0(VALU_DEP_1) | instskip(NEXT) | instid1(VALU_DEP_1)
	v_sub_nc_u32_e32 v23, v23, v24
	v_subrev_nc_u32_e32 v24, s42, v23
	v_cmp_le_u32_e64 s1, s42, v23
	s_delay_alu instid0(VALU_DEP_1) | instskip(NEXT) | instid1(VALU_DEP_1)
	v_cndmask_b32_e64 v23, v23, v24, s1
	v_subrev_nc_u32_e32 v24, s42, v23
	v_cmp_le_u32_e64 s1, s42, v23
	s_delay_alu instid0(VALU_DEP_1) | instskip(NEXT) | instid1(VALU_DEP_1)
	v_cndmask_b32_e64 v23, v23, v24, s1
	v_xor_b32_e32 v23, v23, v22
	s_delay_alu instid0(VALU_DEP_1) | instskip(NEXT) | instid1(VALU_DEP_1)
	v_sub_nc_u32_e32 v22, v23, v22
	v_cmp_ne_u32_e64 s1, 0, v22
	s_delay_alu instid0(VALU_DEP_1) | instskip(NEXT) | instid1(SALU_CYCLE_1)
	s_and_b32 s1, s1, s4
	s_and_b32 s45, vcc_lo, s1
	s_delay_alu instid0(SALU_CYCLE_1)
	s_and_saveexec_b32 s4, s45
	s_cbranch_execz .LBB67_15
; %bb.14:                               ;   in Loop: Header=BB67_13 Depth=1
	ds_store_b32 v16, v12
.LBB67_15:                              ;   in Loop: Header=BB67_13 Depth=1
	s_or_b32 exec_lo, exec_lo, s4
	s_xor_b32 s1, s1, -1
	s_delay_alu instid0(SALU_CYCLE_1)
	s_and_saveexec_b32 s4, s1
	s_cbranch_execz .LBB67_12
; %bb.16:                               ;   in Loop: Header=BB67_13 Depth=1
	global_load_b32 v23, v[1:2], off
	s_waitcnt vmcnt(0)
	v_mad_i64_i32 v[21:22], null, v23, s44, 0
	s_delay_alu instid0(VALU_DEP_1) | instskip(NEXT) | instid1(VALU_DEP_1)
	v_lshlrev_b64 v[21:22], 1, v[21:22]
	v_add_co_u32 v21, s1, v17, v21
	s_delay_alu instid0(VALU_DEP_1)
	v_add_co_ci_u32_e64 v22, s1, v18, v22, s1
	v_cmp_gt_i32_e64 s1, 32, v13
	s_clause 0x7
	global_load_b32 v23, v[21:22], off
	global_load_b32 v24, v[21:22], off offset:128
	global_load_b32 v25, v[21:22], off offset:256
	global_load_b32 v26, v[21:22], off offset:384
	global_load_b32 v27, v[21:22], off offset:512
	global_load_b32 v28, v[21:22], off offset:640
	global_load_b32 v29, v[21:22], off offset:768
	global_load_b32 v21, v[21:22], off offset:896
	ds_load_b32 v22, v8
	s_waitcnt lgkmcnt(0)
	v_and_b32_e32 v30, 0xffff, v22
	v_lshrrev_b32_e32 v22, 16, v22
	;;#ASMSTART
	v_cvt_f32_f16 v30, v30;
	;;#ASMEND
	;;#ASMSTART
	v_cvt_f32_f16 v22, v22;
	;;#ASMEND
	s_waitcnt vmcnt(7)
	v_and_b32_e32 v31, 0xffff, v23
	v_lshrrev_b32_e32 v23, 16, v23
	;;#ASMSTART
	v_cvt_f32_f16 v31, v31;
	;;#ASMEND
	;;#ASMSTART
	v_cvt_f32_f16 v23, v23;
	;;#ASMEND
	ds_load_b32 v32, v8 offset:4
	s_waitcnt vmcnt(6)
	v_and_b32_e32 v34, 0xffff, v24
	v_lshrrev_b32_e32 v24, 16, v24
	s_waitcnt vmcnt(5)
	v_and_b32_e32 v37, 0xffff, v25
	v_lshrrev_b32_e32 v25, 16, v25
	;; [unrolled: 3-line block ×5, first 2 shown]
	s_waitcnt vmcnt(1)
	v_lshrrev_b32_e32 v48, 16, v29
	s_waitcnt lgkmcnt(0)
	v_and_b32_e32 v33, 0xffff, v32
	v_lshrrev_b32_e32 v32, 16, v32
	;;#ASMSTART
	v_cvt_f32_f16 v33, v33;
	;;#ASMEND
	;;#ASMSTART
	v_cvt_f32_f16 v32, v32;
	;;#ASMEND
	;; [unrolled: 3-line block ×4, first 2 shown]
	ds_load_b32 v35, v8 offset:8
	v_dual_mul_f32 v24, v32, v24 :: v_dual_mul_f32 v33, v33, v34
	s_delay_alu instid0(VALU_DEP_1) | instskip(NEXT) | instid1(VALU_DEP_2)
	v_fmac_f32_e32 v24, v22, v23
	v_fmac_f32_e32 v33, v30, v31
	s_waitcnt lgkmcnt(0)
	v_and_b32_e32 v36, 0xffff, v35
	v_lshrrev_b32_e32 v35, 16, v35
	;;#ASMSTART
	v_cvt_f32_f16 v36, v36;
	;;#ASMEND
	;;#ASMSTART
	v_cvt_f32_f16 v35, v35;
	;;#ASMEND
	;; [unrolled: 3-line block ×4, first 2 shown]
	ds_load_b32 v38, v8 offset:12
	v_fmac_f32_e32 v33, v36, v37
	v_fmac_f32_e32 v24, v35, v25
	v_cndmask_b32_e64 v25, v3, v13, s1
	v_cmp_gt_i32_e64 s1, 32, v14
	s_waitcnt lgkmcnt(0)
	v_and_b32_e32 v39, 0xffff, v38
	v_lshrrev_b32_e32 v38, 16, v38
	;;#ASMSTART
	v_cvt_f32_f16 v39, v39;
	;;#ASMEND
	;;#ASMSTART
	v_cvt_f32_f16 v38, v38;
	;;#ASMEND
	;; [unrolled: 3-line block ×4, first 2 shown]
	ds_load_b32 v41, v8 offset:16
	v_dual_fmac_f32 v24, v38, v26 :: v_dual_fmac_f32 v33, v39, v40
	s_waitcnt vmcnt(0)
	v_lshrrev_b32_e32 v26, 16, v21
	v_and_b32_e32 v21, 0xffff, v21
	s_waitcnt lgkmcnt(0)
	v_and_b32_e32 v42, 0xffff, v41
	v_lshrrev_b32_e32 v41, 16, v41
	;;#ASMSTART
	v_cvt_f32_f16 v42, v42;
	;;#ASMEND
	;;#ASMSTART
	v_cvt_f32_f16 v41, v41;
	;;#ASMEND
	;; [unrolled: 3-line block ×4, first 2 shown]
	ds_load_b32 v44, v8 offset:20
	v_fmac_f32_e32 v24, v41, v27
	v_fmac_f32_e32 v33, v42, v43
	s_waitcnt lgkmcnt(0)
	v_and_b32_e32 v45, 0xffff, v44
	v_lshrrev_b32_e32 v44, 16, v44
	;;#ASMSTART
	v_cvt_f32_f16 v45, v45;
	;;#ASMEND
	;;#ASMSTART
	v_cvt_f32_f16 v44, v44;
	;;#ASMEND
	;;#ASMSTART
	v_cvt_f32_f16 v46, v46;
	;;#ASMEND
	;;#ASMSTART
	v_cvt_f32_f16 v28, v28;
	;;#ASMEND
	ds_load_b32 v47, v8 offset:24
	v_dual_fmac_f32 v33, v45, v46 :: v_dual_fmac_f32 v24, v44, v28
	s_waitcnt lgkmcnt(0)
	v_and_b32_e32 v32, 0xffff, v47
	v_lshrrev_b32_e32 v34, 16, v47
	;;#ASMSTART
	v_cvt_f32_f16 v22, v32;
	;;#ASMEND
	;;#ASMSTART
	v_cvt_f32_f16 v23, v34;
	;;#ASMEND
	v_and_b32_e32 v29, 0xffff, v29
	;;#ASMSTART
	v_cvt_f32_f16 v29, v29;
	;;#ASMEND
	;;#ASMSTART
	v_cvt_f32_f16 v30, v48;
	;;#ASMEND
	v_fmac_f32_e32 v24, v23, v30
	ds_load_b32 v31, v8 offset:28
	v_fmac_f32_e32 v33, v22, v29
	s_waitcnt lgkmcnt(0)
	v_and_b32_e32 v27, 0xffff, v31
	v_lshrrev_b32_e32 v28, 16, v31
	;;#ASMSTART
	v_cvt_f32_f16 v22, v27;
	;;#ASMEND
	;;#ASMSTART
	v_cvt_f32_f16 v23, v28;
	;;#ASMEND
	;; [unrolled: 3-line block ×4, first 2 shown]
	v_fmac_f32_e32 v24, v23, v26
	v_cndmask_b32_e64 v23, v3, v14, s1
	v_fmac_f32_e32 v33, v22, v21
	s_delay_alu instid0(VALU_DEP_1)
	v_dual_add_f32 v22, v33, v24 :: v_dual_lshlrev_b32 v21, 2, v25
	ds_bpermute_b32 v21, v21, v22
	s_waitcnt lgkmcnt(0)
	v_dual_add_f32 v21, v22, v21 :: v_dual_lshlrev_b32 v22, 2, v23
	ds_bpermute_b32 v22, v22, v21
	s_and_saveexec_b32 s45, vcc_lo
	s_cbranch_execz .LBB67_11
; %bb.17:                               ;   in Loop: Header=BB67_13 Depth=1
	v_add_nc_u32_e32 v23, v15, v9
	s_waitcnt lgkmcnt(0)
	v_add_f32_e32 v21, v21, v22
	s_delay_alu instid0(VALU_DEP_2) | instskip(NEXT) | instid1(VALU_DEP_1)
	v_cvt_f32_i32_e32 v23, v23
	v_mul_f32_e32 v23, s40, v23
	s_delay_alu instid0(VALU_DEP_1) | instskip(NEXT) | instid1(VALU_DEP_1)
	v_cndmask_b32_e64 v22, 0, v23, s0
	v_dual_max_f32 v23, v4, v4 :: v_dual_fmac_f32 v22, s35, v21
	v_add_nc_u32_e32 v21, v7, v9
	s_delay_alu instid0(VALU_DEP_2) | instskip(NEXT) | instid1(VALU_DEP_2)
	v_max_f32_e32 v23, v23, v22
	v_cmp_gt_i32_e64 s1, s33, v21
	s_delay_alu instid0(VALU_DEP_1) | instskip(NEXT) | instid1(VALU_DEP_3)
	v_cndmask_b32_e64 v21, 0, v22, s1
	v_cndmask_b32_e64 v4, v4, v23, s1
	ds_store_b32 v16, v21
	s_branch .LBB67_11
.LBB67_18:
	s_or_b32 exec_lo, exec_lo, s43
.LBB67_19:
	s_delay_alu instid0(SALU_CYCLE_1) | instskip(SKIP_4) | instid1(VALU_DEP_4)
	s_or_b32 exec_lo, exec_lo, s41
	v_xor_b32_e32 v1, 16, v3
	v_xor_b32_e32 v7, 8, v3
	v_and_b32_e32 v12, 31, v0
	v_max_f32_e32 v8, v4, v4
	v_cmp_gt_i32_e32 vcc_lo, 32, v1
	v_cndmask_b32_e32 v1, v3, v1, vcc_lo
	v_cmp_gt_i32_e32 vcc_lo, 32, v7
	s_delay_alu instid0(VALU_DEP_2) | instskip(SKIP_3) | instid1(VALU_DEP_1)
	v_lshlrev_b32_e32 v2, 2, v1
	ds_bpermute_b32 v1, v2, v4
	s_waitcnt lgkmcnt(0)
	v_dual_cndmask_b32 v4, v3, v7 :: v_dual_max_f32 v1, v1, v1
	v_dual_max_f32 v1, v8, v1 :: v_dual_lshlrev_b32 v4, 2, v4
	v_xor_b32_e32 v8, 4, v3
	ds_bpermute_b32 v7, v4, v1
	v_cmp_gt_i32_e32 vcc_lo, 32, v8
	s_waitcnt lgkmcnt(0)
	v_max_f32_e32 v7, v7, v7
	v_cndmask_b32_e32 v8, v3, v8, vcc_lo
	v_cmp_eq_u32_e32 vcc_lo, 0, v12
	s_delay_alu instid0(VALU_DEP_2)
	v_dual_max_f32 v1, v1, v7 :: v_dual_lshlrev_b32 v8, 2, v8
	v_lshlrev_b32_e32 v7, 2, v10
	ds_bpermute_b32 v9, v8, v1
	s_and_saveexec_b32 s0, vcc_lo
	s_cbranch_execz .LBB67_21
; %bb.20:
	s_waitcnt lgkmcnt(0)
	v_max_f32_e32 v9, v9, v9
	v_max_f32_e32 v1, v1, v1
	s_delay_alu instid0(VALU_DEP_1)
	v_max_f32_e32 v1, v1, v9
	ds_store_b32 v7, v1 offset:128
.LBB67_21:
	s_or_b32 exec_lo, exec_lo, s0
	v_cmp_gt_u32_e64 s0, 4, v12
	v_dual_mov_b32 v1, 0xff7fffff :: v_dual_lshlrev_b32 v14, 2, v12
	s_waitcnt lgkmcnt(0)
	s_barrier
	buffer_gl0_inv
	s_and_saveexec_b32 s1, s0
	s_cbranch_execz .LBB67_23
; %bb.22:
	ds_load_b32 v1, v14 offset:128
.LBB67_23:
	s_or_b32 exec_lo, exec_lo, s1
	v_xor_b32_e32 v9, 2, v3
	v_xor_b32_e32 v15, 1, v3
	s_delay_alu instid0(VALU_DEP_2) | instskip(NEXT) | instid1(VALU_DEP_1)
	v_cmp_gt_i32_e64 s1, 32, v9
	v_cndmask_b32_e64 v9, v3, v9, s1
	s_delay_alu instid0(VALU_DEP_3) | instskip(NEXT) | instid1(VALU_DEP_2)
	v_cmp_gt_i32_e64 s1, 32, v15
	v_lshlrev_b32_e32 v9, 2, v9
	s_delay_alu instid0(VALU_DEP_2) | instskip(SKIP_2) | instid1(SALU_CYCLE_1)
	v_cndmask_b32_e64 v3, v3, v15, s1
	v_mov_b32_e32 v15, 0
	s_sub_i32 s1, s37, s8
	s_lshl_b32 s1, s1, 3
	s_waitcnt lgkmcnt(0)
	ds_bpermute_b32 v13, v9, v1
	v_max_f32_e32 v1, v1, v1
	v_lshlrev_b32_e32 v3, 2, v3
	s_add_i32 s1, s1, s23
	s_delay_alu instid0(SALU_CYCLE_1) | instskip(NEXT) | instid1(SALU_CYCLE_1)
	s_min_i32 s1, s1, s33
	s_sub_i32 s7, s1, s23
	s_delay_alu instid0(SALU_CYCLE_1) | instskip(SKIP_2) | instid1(VALU_DEP_1)
	v_cmp_gt_i32_e64 s1, s7, v0
	s_waitcnt lgkmcnt(0)
	v_max_f32_e32 v13, v13, v13
	v_max_f32_e32 v1, v1, v13
	ds_bpermute_b32 v13, v3, v1
	s_waitcnt lgkmcnt(0)
	v_max_f32_e32 v13, v13, v13
	s_delay_alu instid0(VALU_DEP_1)
	v_max_f32_e32 v1, v1, v13
	v_lshl_add_u32 v13, v0, 2, 0xa0
	ds_bpermute_b32 v1, v15, v1
	s_and_saveexec_b32 s23, s1
	s_cbranch_execz .LBB67_27
; %bb.24:
	v_lshl_add_u32 v16, v0, 2, 0xa0
	v_mov_b32_e32 v15, 0
	v_mov_b32_e32 v17, v0
	s_mov_b32 s35, 0
	.p2align	6
.LBB67_25:                              ; =>This Inner Loop Header: Depth=1
	ds_load_b32 v18, v16
	v_add_nc_u32_e32 v17, 0x80, v17
	s_delay_alu instid0(VALU_DEP_1) | instskip(NEXT) | instid1(VALU_DEP_1)
	v_cmp_le_i32_e64 s4, s7, v17
	s_or_b32 s35, s4, s35
	s_waitcnt lgkmcnt(0)
	v_sub_f32_e32 v18, v18, v1
	s_delay_alu instid0(VALU_DEP_1) | instskip(NEXT) | instid1(VALU_DEP_1)
	v_mul_f32_e32 v18, 0x3fb8aa3b, v18
	v_exp_f32_e32 v18, v18
	ds_store_b32 v16, v18
	v_dual_add_f32 v15, v15, v18 :: v_dual_add_nc_u32 v16, 0x200, v16
	s_and_not1_b32 exec_lo, exec_lo, s35
	s_cbranch_execnz .LBB67_25
; %bb.26:
	s_or_b32 exec_lo, exec_lo, s35
.LBB67_27:
	s_delay_alu instid0(SALU_CYCLE_1)
	s_or_b32 exec_lo, exec_lo, s23
	ds_bpermute_b32 v2, v2, v15
	s_waitcnt lgkmcnt(0)
	v_add_f32_e32 v2, v15, v2
	ds_bpermute_b32 v4, v4, v2
	s_waitcnt lgkmcnt(0)
	v_add_f32_e32 v2, v2, v4
	;; [unrolled: 3-line block ×5, first 2 shown]
	s_and_saveexec_b32 s4, vcc_lo
	s_cbranch_execz .LBB67_29
; %bb.28:
	ds_store_b32 v7, v2 offset:144
.LBB67_29:
	s_or_b32 exec_lo, exec_lo, s4
	s_waitcnt lgkmcnt(0)
	s_barrier
	buffer_gl0_inv
	s_and_saveexec_b32 s4, s0
	s_cbranch_execz .LBB67_31
; %bb.30:
	ds_load_b32 v2, v14 offset:144
.LBB67_31:
	s_or_b32 exec_lo, exec_lo, s4
	s_waitcnt lgkmcnt(0)
	ds_bpermute_b32 v4, v9, v2
	s_waitcnt lgkmcnt(0)
	v_add_f32_e32 v2, v2, v4
	ds_bpermute_b32 v3, v3, v2
	s_waitcnt lgkmcnt(0)
	v_dual_add_f32 v2, v2, v3 :: v_dual_mov_b32 v3, 0
	ds_bpermute_b32 v2, v3, v2
	s_and_saveexec_b32 s0, s1
	s_cbranch_execz .LBB67_34
; %bb.32:
	s_waitcnt lgkmcnt(0)
	v_add_f32_e32 v4, 0x358637bd, v2
	s_mov_b32 s1, 0
	s_delay_alu instid0(VALU_DEP_1) | instskip(NEXT) | instid1(VALU_DEP_1)
	v_div_scale_f32 v3, null, v4, v4, 1.0
	v_rcp_f32_e32 v7, v3
	s_waitcnt_depctr 0xfff
	v_fma_f32 v8, -v3, v7, 1.0
	s_delay_alu instid0(VALU_DEP_1) | instskip(SKIP_1) | instid1(VALU_DEP_1)
	v_fmac_f32_e32 v7, v8, v7
	v_div_scale_f32 v9, vcc_lo, 1.0, v4, 1.0
	v_mul_f32_e32 v8, v9, v7
	s_delay_alu instid0(VALU_DEP_1) | instskip(NEXT) | instid1(VALU_DEP_1)
	v_fma_f32 v15, -v3, v8, v9
	v_fmac_f32_e32 v8, v15, v7
	s_delay_alu instid0(VALU_DEP_1) | instskip(NEXT) | instid1(VALU_DEP_1)
	v_fma_f32 v3, -v3, v8, v9
	v_div_fmas_f32 v7, v3, v7, v8
	v_mov_b32_e32 v3, v13
	s_delay_alu instid0(VALU_DEP_2)
	v_div_fixup_f32 v4, v7, v4, 1.0
	v_mov_b32_e32 v7, v0
.LBB67_33:                              ; =>This Inner Loop Header: Depth=1
	ds_load_b32 v8, v3
	s_waitcnt lgkmcnt(0)
	v_dual_mul_f32 v8, v4, v8 :: v_dual_add_nc_u32 v7, 0x80, v7
	s_delay_alu instid0(VALU_DEP_1) | instskip(SKIP_3) | instid1(SALU_CYCLE_1)
	v_cmp_le_i32_e32 vcc_lo, s7, v7
	ds_store_b32 v3, v8
	v_add_nc_u32_e32 v3, 0x200, v3
	s_or_b32 s1, vcc_lo, s1
	s_and_not1_b32 exec_lo, exec_lo, s1
	s_cbranch_execnz .LBB67_33
.LBB67_34:
	s_or_b32 exec_lo, exec_lo, s0
	s_mul_i32 s0, s11, s14
	s_waitcnt lgkmcnt(0)
	s_mul_i32 s14, s0, s15
	s_mov_b32 s0, exec_lo
	s_barrier
	buffer_gl0_inv
	v_cmpx_eq_u32_e32 0, v0
	s_cbranch_execz .LBB67_36
; %bb.35:
	s_ashr_i32 s15, s14, 31
	s_mul_i32 s42, s11, s24
	s_lshl_b64 s[40:41], s[14:15], 2
	v_mov_b32_e32 v3, 0
	s_add_u32 s1, s18, s40
	s_addc_u32 s4, s19, s41
	s_ashr_i32 s43, s42, 31
	s_delay_alu instid0(SALU_CYCLE_1) | instskip(NEXT) | instid1(SALU_CYCLE_1)
	s_lshl_b64 s[18:19], s[42:43], 2
	s_add_u32 s1, s1, s18
	s_addc_u32 s4, s4, s19
	s_ashr_i32 s23, s22, 31
	s_delay_alu instid0(SALU_CYCLE_1) | instskip(NEXT) | instid1(SALU_CYCLE_1)
	s_lshl_b64 s[22:23], s[22:23], 2
	s_add_u32 s42, s1, s22
	s_addc_u32 s43, s4, s23
	s_add_u32 s1, s16, s40
	s_addc_u32 s4, s17, s41
	;; [unrolled: 2-line block ×4, first 2 shown]
	s_clause 0x1
	global_store_b32 v3, v1, s[42:43]
	global_store_b32 v3, v2, s[16:17]
.LBB67_36:
	s_or_b32 exec_lo, exec_lo, s0
	v_dual_mov_b32 v16, 0 :: v_dual_mov_b32 v15, 0
	s_mov_b32 s4, 0
	s_and_saveexec_b32 s1, s3
	s_cbranch_execz .LBB67_46
; %bb.37:
	s_ashr_i32 s7, s6, 31
	s_sub_i32 s3, s39, s9
	s_lshl_b64 s[6:7], s[6:7], 1
	v_dual_mov_b32 v16, 0 :: v_dual_lshlrev_b32 v7, 4, v12
	s_add_u32 s0, s30, s6
	s_addc_u32 s18, s31, s7
	s_abs_i32 s6, s10
	s_lshl_b64 s[16:17], s[28:29], 2
	v_cvt_f32_u32_e32 v1, s6
	s_sub_i32 s15, 0, s6
	v_add_co_u32 v18, s0, s0, v7
	s_add_i32 s38, s38, -1
	s_delay_alu instid0(VALU_DEP_2)
	v_rcp_iflag_f32_e32 v1, v1
	v_add_co_ci_u32_e64 v19, null, s18, 0, s0
	s_add_u32 s0, s26, s16
	s_addc_u32 s16, s27, s17
	v_lshl_add_u32 v17, v10, 5, 0xa0
	v_mov_b32_e32 v15, 0
	s_mov_b32 s7, s33
	s_mov_b32 s9, s33
	s_mov_b32 s10, s33
	s_waitcnt_depctr 0xfff
	v_mul_f32_e32 v1, 0x4f7ffffe, v1
	s_mov_b32 s17, s33
	s_mov_b32 s18, s33
	s_delay_alu instid0(VALU_DEP_1) | instskip(SKIP_1) | instid1(VALU_DEP_2)
	v_cvt_u32_f32_e32 v3, v1
	v_lshlrev_b64 v[1:2], 2, v[5:6]
	v_mul_lo_u32 v4, s15, v3
	s_mov_b32 s15, s33
	s_delay_alu instid0(VALU_DEP_2) | instskip(NEXT) | instid1(VALU_DEP_3)
	v_add_co_u32 v6, vcc_lo, s0, v1
	v_add_co_ci_u32_e32 v7, vcc_lo, s16, v2, vcc_lo
	s_mov_b32 s16, s33
	s_delay_alu instid0(VALU_DEP_3) | instskip(NEXT) | instid1(VALU_DEP_1)
	v_mul_hi_u32 v4, v3, v4
	v_add_nc_u32_e32 v20, v3, v4
	s_branch .LBB67_40
.LBB67_38:                              ;   in Loop: Header=BB67_40 Depth=1
	s_or_b32 exec_lo, exec_lo, s0
	s_waitcnt vmcnt(0)
	;;#ASMSTART
	v_pk_mul_f16 v1, v33, v1;

	;;#ASMEND
	;;#ASMSTART
	v_pk_mul_f16 v2, v32, v2;

	;;#ASMEND
	;; [unrolled: 4-line block ×4, first 2 shown]
	;;#ASMSTART
	v_pk_add_f16 v1, v1, v2;

	;;#ASMEND
	;;#ASMSTART
	v_pk_add_f16 v1, v1, v3;

	;;#ASMEND
	;; [unrolled: 4-line block ×3, first 2 shown]
	v_dual_add_f32 v3, v29, v31 :: v_dual_and_b32 v2, 0xffff, v1
	v_lshrrev_b32_e32 v1, 16, v1
	;;#ASMSTART
	v_cvt_f32_f16 v2, v2;
	;;#ASMEND
	;;#ASMSTART
	v_cvt_f32_f16 v1, v1;
	;;#ASMEND
	s_delay_alu instid0(VALU_DEP_1) | instskip(NEXT) | instid1(VALU_DEP_1)
	v_dual_add_f32 v1, v2, v1 :: v_dual_add_f32 v16, v16, v3
	v_add_f32_e32 v15, v15, v1
.LBB67_39:                              ;   in Loop: Header=BB67_40 Depth=1
	s_or_b32 exec_lo, exec_lo, s19
	v_add_nc_u32_e32 v5, 4, v5
	v_add_co_u32 v6, s0, v6, 16
	s_delay_alu instid0(VALU_DEP_1) | instskip(NEXT) | instid1(VALU_DEP_3)
	v_add_co_ci_u32_e64 v7, s0, 0, v7, s0
	v_cmp_le_i32_e32 vcc_lo, s37, v5
	v_add_nc_u32_e32 v11, 32, v11
	v_add_nc_u32_e32 v17, 0x80, v17
	s_or_b32 s4, vcc_lo, s4
	s_delay_alu instid0(SALU_CYCLE_1)
	s_and_not1_b32 exec_lo, exec_lo, s4
	s_cbranch_execz .LBB67_45
.LBB67_40:                              ; =>This Inner Loop Header: Depth=1
	v_sub_nc_u32_e32 v1, 0, v11
	s_delay_alu instid0(VALU_DEP_1) | instskip(NEXT) | instid1(VALU_DEP_1)
	v_max_i32_e32 v1, v11, v1
	v_mul_hi_u32 v2, v1, s25
	s_delay_alu instid0(VALU_DEP_1) | instskip(NEXT) | instid1(VALU_DEP_1)
	v_mul_lo_u32 v3, v2, s13
	v_sub_nc_u32_e32 v1, v1, v3
	v_add_nc_u32_e32 v3, 1, v2
	s_delay_alu instid0(VALU_DEP_2) | instskip(SKIP_1) | instid1(VALU_DEP_2)
	v_subrev_nc_u32_e32 v4, s13, v1
	v_cmp_le_u32_e32 vcc_lo, s13, v1
	v_dual_cndmask_b32 v2, v2, v3 :: v_dual_cndmask_b32 v1, v1, v4
	v_ashrrev_i32_e32 v3, 31, v11
	s_delay_alu instid0(VALU_DEP_2) | instskip(NEXT) | instid1(VALU_DEP_3)
	v_add_nc_u32_e32 v4, 1, v2
	v_cmp_le_u32_e32 vcc_lo, s13, v1
	s_delay_alu instid0(VALU_DEP_3) | instskip(NEXT) | instid1(VALU_DEP_3)
	v_xor_b32_e32 v3, s34, v3
	v_cndmask_b32_e32 v1, v2, v4, vcc_lo
	s_delay_alu instid0(VALU_DEP_1) | instskip(NEXT) | instid1(VALU_DEP_1)
	v_xor_b32_e32 v1, v1, v3
	v_sub_nc_u32_e32 v1, v1, v3
	s_delay_alu instid0(VALU_DEP_1) | instskip(SKIP_1) | instid1(VALU_DEP_2)
	v_add_nc_u32_e32 v2, s36, v1
	v_cmp_lt_i32_e64 s0, s3, v1
	v_sub_nc_u32_e32 v3, 0, v2
	s_delay_alu instid0(VALU_DEP_1) | instskip(NEXT) | instid1(VALU_DEP_1)
	v_max_i32_e32 v3, v2, v3
	v_mul_hi_u32 v4, v3, v20
	s_delay_alu instid0(VALU_DEP_1) | instskip(NEXT) | instid1(VALU_DEP_1)
	v_mul_lo_u32 v4, v4, s6
	v_sub_nc_u32_e32 v3, v3, v4
	s_delay_alu instid0(VALU_DEP_1) | instskip(SKIP_1) | instid1(VALU_DEP_2)
	v_subrev_nc_u32_e32 v4, s6, v3
	v_cmp_le_u32_e32 vcc_lo, s6, v3
	v_cndmask_b32_e32 v3, v3, v4, vcc_lo
	v_ashrrev_i32_e32 v2, 31, v2
	s_delay_alu instid0(VALU_DEP_2) | instskip(SKIP_1) | instid1(VALU_DEP_2)
	v_subrev_nc_u32_e32 v4, s6, v3
	v_cmp_le_u32_e32 vcc_lo, s6, v3
	v_cndmask_b32_e32 v3, v3, v4, vcc_lo
	s_delay_alu instid0(VALU_DEP_1) | instskip(NEXT) | instid1(VALU_DEP_1)
	v_xor_b32_e32 v3, v3, v2
	v_sub_nc_u32_e32 v2, v3, v2
	s_delay_alu instid0(VALU_DEP_1) | instskip(SKIP_1) | instid1(SALU_CYCLE_1)
	v_cmp_eq_u32_e32 vcc_lo, 0, v2
	s_or_b32 s0, vcc_lo, s0
	s_and_saveexec_b32 s19, s0
	s_cbranch_execz .LBB67_39
; %bb.41:                               ;   in Loop: Header=BB67_40 Depth=1
	global_load_b32 v25, v[6:7], off
	ds_load_2addr_b64 v[1:4], v17 offset1:1
	ds_load_2addr_b64 v[21:24], v17 offset0:2 offset1:3
	v_or_b32_e32 v26, 7, v11
	v_or_b32_e32 v27, 6, v11
	s_waitcnt lgkmcnt(1)
	;;#ASMSTART
	v_cvt_f16_f32 v32, v1;

	;;#ASMEND
	;;#ASMSTART
	v_cvt_f16_f32 v28, v2;

	;;#ASMEND
	;; [unrolled: 4-line block ×4, first 2 shown]
	s_waitcnt lgkmcnt(0)
	;;#ASMSTART
	v_cvt_f16_f32 v34, v21;

	;;#ASMEND
	;;#ASMSTART
	v_cvt_f16_f32 v30, v22;

	;;#ASMEND
	;; [unrolled: 4-line block ×4, first 2 shown]
	v_add_nc_u32_e32 v21, 1, v11
	v_or_b32_e32 v23, 3, v11
	v_or_b32_e32 v22, 2, v11
	;; [unrolled: 1-line block ×3, first 2 shown]
	s_waitcnt vmcnt(0)
	v_mad_i64_i32 v[8:9], null, v25, s5, 0
	v_or_b32_e32 v25, 5, v11
	s_delay_alu instid0(VALU_DEP_2) | instskip(NEXT) | instid1(VALU_DEP_1)
	v_lshlrev_b64 v[8:9], 1, v[8:9]
	v_add_co_u32 v8, vcc_lo, v18, v8
	s_delay_alu instid0(VALU_DEP_2)
	v_add_co_ci_u32_e32 v9, vcc_lo, v19, v9, vcc_lo
	v_cmp_eq_u32_e32 vcc_lo, s38, v5
	global_load_b128 v[1:4], v[8:9], off
	s_and_saveexec_b32 s22, vcc_lo
	s_cbranch_execz .LBB67_43
; %bb.42:                               ;   in Loop: Header=BB67_40 Depth=1
	v_cmp_gt_i32_e64 s0, s17, v27
	s_waitcnt vmcnt(0)
	v_lshrrev_b32_e32 v36, 16, v4
	v_lshrrev_b32_e32 v37, 16, v3
	;; [unrolled: 1-line block ×4, first 2 shown]
	v_cndmask_b32_e64 v4, 0, v4, s0
	v_cmp_gt_i32_e64 s0, s18, v26
	s_delay_alu instid0(VALU_DEP_1) | instskip(SKIP_1) | instid1(VALU_DEP_2)
	v_cndmask_b32_e64 v36, 0, v36, s0
	v_cmp_gt_i32_e64 s0, s16, v25
	v_perm_b32 v4, v36, v4, 0x5040100
	s_delay_alu instid0(VALU_DEP_2) | instskip(SKIP_1) | instid1(VALU_DEP_1)
	v_cndmask_b32_e64 v37, 0, v37, s0
	v_cmp_gt_i32_e64 s0, s15, v24
	v_cndmask_b32_e64 v3, 0, v3, s0
	v_cmp_gt_i32_e64 s0, s10, v23
	s_delay_alu instid0(VALU_DEP_2) | instskip(NEXT) | instid1(VALU_DEP_2)
	v_perm_b32 v3, v37, v3, 0x5040100
	v_cndmask_b32_e64 v38, 0, v38, s0
	v_cmp_gt_i32_e64 s0, s9, v22
	s_delay_alu instid0(VALU_DEP_1) | instskip(SKIP_1) | instid1(VALU_DEP_2)
	v_cndmask_b32_e64 v2, 0, v2, s0
	v_cmp_gt_i32_e64 s0, s7, v21
	v_perm_b32 v2, v38, v2, 0x5040100
	s_delay_alu instid0(VALU_DEP_2) | instskip(SKIP_1) | instid1(VALU_DEP_1)
	v_cndmask_b32_e64 v39, 0, v39, s0
	v_cmp_gt_i32_e64 s0, s33, v11
	v_cndmask_b32_e64 v1, 0, v1, s0
	s_delay_alu instid0(VALU_DEP_1)
	v_perm_b32 v1, v39, v1, 0x5040100
.LBB67_43:                              ;   in Loop: Header=BB67_40 Depth=1
	s_or_b32 exec_lo, exec_lo, s22
	v_and_b32_e32 v32, 0xffff, v32
	v_and_b32_e32 v36, 0xffff, v33
	;; [unrolled: 1-line block ×4, first 2 shown]
	s_delay_alu instid0(VALU_DEP_4)
	v_lshl_or_b32 v33, v28, 16, v32
	s_waitcnt vmcnt(0)
	;;#ASMSTART
	v_pk_mul_f16 v1, v33, v1;

	;;#ASMEND
	v_lshl_or_b32 v32, v29, 16, v36
	v_lshl_or_b32 v30, v30, 16, v34
	;; [unrolled: 1-line block ×3, first 2 shown]
	;;#ASMSTART
	v_pk_mul_f16 v2, v32, v2;

	;;#ASMEND
	;;#ASMSTART
	v_pk_mul_f16 v3, v30, v3;

	;;#ASMEND
	;;#ASMSTART
	v_pk_mul_f16 v4, v28, v4;

	;;#ASMEND
	;;#ASMSTART
	v_pk_add_f16 v1, v1, v2;

	;;#ASMEND
	;;#ASMSTART
	v_pk_add_f16 v1, v1, v3;

	;;#ASMEND
	;; [unrolled: 4-line block ×3, first 2 shown]
	v_and_b32_e32 v2, 0xffff, v1
	v_lshrrev_b32_e32 v1, 16, v1
	;;#ASMSTART
	v_cvt_f32_f16 v29, v2;
	;;#ASMEND
	;;#ASMSTART
	v_cvt_f32_f16 v31, v1;
	;;#ASMEND
	global_load_b128 v[1:4], v[8:9], off offset:512
	s_and_saveexec_b32 s0, vcc_lo
	s_cbranch_execz .LBB67_38
; %bb.44:                               ;   in Loop: Header=BB67_40 Depth=1
	v_cmp_gt_i32_e32 vcc_lo, s17, v27
	s_waitcnt vmcnt(0)
	v_lshrrev_b32_e32 v8, 16, v4
	v_lshrrev_b32_e32 v9, 16, v3
	v_cndmask_b32_e32 v4, 0, v4, vcc_lo
	v_cmp_gt_i32_e32 vcc_lo, s18, v26
	s_delay_alu instid0(VALU_DEP_4)
	v_cndmask_b32_e32 v8, 0, v8, vcc_lo
	v_cmp_gt_i32_e32 vcc_lo, s16, v25
	v_lshrrev_b32_e32 v25, 16, v2
	v_cndmask_b32_e32 v9, 0, v9, vcc_lo
	v_cmp_gt_i32_e32 vcc_lo, s15, v24
	v_lshrrev_b32_e32 v24, 16, v1
	v_cndmask_b32_e32 v3, 0, v3, vcc_lo
	v_cmp_gt_i32_e32 vcc_lo, s10, v23
	v_perm_b32 v4, v8, v4, 0x5040100
	s_delay_alu instid0(VALU_DEP_3) | instskip(SKIP_4) | instid1(VALU_DEP_2)
	v_perm_b32 v3, v9, v3, 0x5040100
	v_cndmask_b32_e32 v23, 0, v25, vcc_lo
	v_cmp_gt_i32_e32 vcc_lo, s9, v22
	v_cndmask_b32_e32 v2, 0, v2, vcc_lo
	v_cmp_gt_i32_e32 vcc_lo, s7, v21
	v_perm_b32 v2, v23, v2, 0x5040100
	v_cndmask_b32_e32 v21, 0, v24, vcc_lo
	v_cmp_gt_i32_e32 vcc_lo, s33, v11
	v_cndmask_b32_e32 v1, 0, v1, vcc_lo
	s_delay_alu instid0(VALU_DEP_1)
	v_perm_b32 v1, v21, v1, 0x5040100
	s_branch .LBB67_38
.LBB67_45:
	s_or_b32 exec_lo, exec_lo, s4
.LBB67_46:
	s_delay_alu instid0(SALU_CYCLE_1)
	s_or_b32 exec_lo, exec_lo, s1
	v_and_b32_e32 v2, 0x3c0, v0
	v_lshl_add_u32 v1, v10, 8, 0xa0
	s_mov_b32 s0, exec_lo
	s_waitcnt_vscnt null, 0x0
	s_barrier
	buffer_gl0_inv
	v_cmpx_eq_u32_e32 64, v2
	s_cbranch_execz .LBB67_48
; %bb.47:
	v_add3_u32 v2, v1, v14, 0xfffffe00
	ds_store_2addr_b32 v2, v16, v15 offset1:32
.LBB67_48:
	s_or_b32 exec_lo, exec_lo, s0
	v_lshl_add_u32 v2, v12, 2, v1
	s_mov_b32 s0, exec_lo
	s_waitcnt lgkmcnt(0)
	s_barrier
	buffer_gl0_inv
	v_cmpx_gt_u32_e32 64, v0
	s_cbranch_execz .LBB67_50
; %bb.49:
	v_lshl_or_b32 v3, v0, 2, 0x80
	s_delay_alu instid0(VALU_DEP_1)
	v_add_nc_u32_e32 v3, v1, v3
	ds_load_b32 v4, v2
	ds_load_b32 v3, v3
	s_waitcnt lgkmcnt(0)
	v_dual_add_f32 v16, v16, v4 :: v_dual_add_f32 v15, v15, v3
.LBB67_50:
	s_or_b32 exec_lo, exec_lo, s0
	v_and_b32_e32 v3, 0x3e0, v0
	s_mov_b32 s0, exec_lo
	s_barrier
	buffer_gl0_inv
	v_cmpx_eq_u32_e32 32, v3
	s_cbranch_execz .LBB67_52
; %bb.51:
	v_lshl_add_u32 v3, v12, 2, 0xa0
	ds_store_b32 v3, v16
	ds_store_b32 v13, v15
.LBB67_52:
	s_or_b32 exec_lo, exec_lo, s0
	s_waitcnt lgkmcnt(0)
	s_barrier
	buffer_gl0_inv
	s_and_saveexec_b32 s0, s2
	s_cbranch_execz .LBB67_54
; %bb.53:
	v_lshl_add_u32 v1, v0, 2, v1
	ds_load_b32 v2, v2
	ds_load_b32 v1, v1 offset:128
	s_waitcnt lgkmcnt(0)
	v_dual_add_f32 v16, v16, v2 :: v_dual_add_f32 v15, v15, v1
.LBB67_54:
	s_or_b32 exec_lo, exec_lo, s0
	s_barrier
	buffer_gl0_inv
	s_and_saveexec_b32 s0, s2
	s_cbranch_execz .LBB67_56
; %bb.55:
	s_lshl_b32 s0, s14, 6
	s_mul_i32 s2, s11, s12
	s_ashr_i32 s1, s0, 31
	v_lshlrev_b32_e32 v0, 1, v0
	s_lshl_b64 s[0:1], s[0:1], 1
	;;#ASMSTART
	v_cvt_f16_f32 v1, v16;

	;;#ASMEND
	s_add_u32 s4, s20, s0
	s_addc_u32 s5, s21, s1
	s_ashr_i32 s3, s2, 31
	s_delay_alu instid0(SALU_CYCLE_1) | instskip(NEXT) | instid1(SALU_CYCLE_1)
	s_lshl_b64 s[0:1], s[2:3], 1
	s_add_u32 s2, s4, s0
	s_addc_u32 s3, s5, s1
	s_ashr_i32 s9, s8, 31
	s_delay_alu instid0(SALU_CYCLE_1) | instskip(NEXT) | instid1(SALU_CYCLE_1)
	s_lshl_b64 s[0:1], s[8:9], 1
	s_add_u32 s0, s2, s0
	s_addc_u32 s1, s3, s1
	global_store_b16 v0, v1, s[0:1]
	;;#ASMSTART
	v_cvt_f16_f32 v1, v15;

	;;#ASMEND
	global_store_b16 v0, v1, s[0:1] offset:64
.LBB67_56:
	s_nop 0
	s_sendmsg sendmsg(MSG_DEALLOC_VGPRS)
	s_endpgm
	.section	.rodata,"a",@progbits
	.p2align	6, 0x0
	.amdhsa_kernel _ZN4vllm25paged_attention_v2_kernelIttLi64ELi8ELi128ELNS_18Fp8KVCacheDataTypeE0ELb1ELi512EEEvPfS2_PT_PKS3_PKT0_S9_ifPKiSB_iPKfiiiSD_SD_iiiii
		.amdhsa_group_segment_fixed_size 160
		.amdhsa_private_segment_fixed_size 0
		.amdhsa_kernarg_size 400
		.amdhsa_user_sgpr_count 13
		.amdhsa_user_sgpr_dispatch_ptr 0
		.amdhsa_user_sgpr_queue_ptr 0
		.amdhsa_user_sgpr_kernarg_segment_ptr 1
		.amdhsa_user_sgpr_dispatch_id 0
		.amdhsa_user_sgpr_private_segment_size 0
		.amdhsa_wavefront_size32 1
		.amdhsa_uses_dynamic_stack 0
		.amdhsa_enable_private_segment 0
		.amdhsa_system_sgpr_workgroup_id_x 1
		.amdhsa_system_sgpr_workgroup_id_y 1
		.amdhsa_system_sgpr_workgroup_id_z 1
		.amdhsa_system_sgpr_workgroup_info 0
		.amdhsa_system_vgpr_workitem_id 0
		.amdhsa_next_free_vgpr 49
		.amdhsa_next_free_sgpr 46
		.amdhsa_reserve_vcc 1
		.amdhsa_float_round_mode_32 0
		.amdhsa_float_round_mode_16_64 0
		.amdhsa_float_denorm_mode_32 3
		.amdhsa_float_denorm_mode_16_64 3
		.amdhsa_dx10_clamp 1
		.amdhsa_ieee_mode 1
		.amdhsa_fp16_overflow 0
		.amdhsa_workgroup_processor_mode 1
		.amdhsa_memory_ordered 1
		.amdhsa_forward_progress 0
		.amdhsa_shared_vgpr_count 0
		.amdhsa_exception_fp_ieee_invalid_op 0
		.amdhsa_exception_fp_denorm_src 0
		.amdhsa_exception_fp_ieee_div_zero 0
		.amdhsa_exception_fp_ieee_overflow 0
		.amdhsa_exception_fp_ieee_underflow 0
		.amdhsa_exception_fp_ieee_inexact 0
		.amdhsa_exception_int_div_zero 0
	.end_amdhsa_kernel
	.section	.text._ZN4vllm25paged_attention_v2_kernelIttLi64ELi8ELi128ELNS_18Fp8KVCacheDataTypeE0ELb1ELi512EEEvPfS2_PT_PKS3_PKT0_S9_ifPKiSB_iPKfiiiSD_SD_iiiii,"axG",@progbits,_ZN4vllm25paged_attention_v2_kernelIttLi64ELi8ELi128ELNS_18Fp8KVCacheDataTypeE0ELb1ELi512EEEvPfS2_PT_PKS3_PKT0_S9_ifPKiSB_iPKfiiiSD_SD_iiiii,comdat
.Lfunc_end67:
	.size	_ZN4vllm25paged_attention_v2_kernelIttLi64ELi8ELi128ELNS_18Fp8KVCacheDataTypeE0ELb1ELi512EEEvPfS2_PT_PKS3_PKT0_S9_ifPKiSB_iPKfiiiSD_SD_iiiii, .Lfunc_end67-_ZN4vllm25paged_attention_v2_kernelIttLi64ELi8ELi128ELNS_18Fp8KVCacheDataTypeE0ELb1ELi512EEEvPfS2_PT_PKS3_PKT0_S9_ifPKiSB_iPKfiiiSD_SD_iiiii
                                        ; -- End function
	.section	.AMDGPU.csdata,"",@progbits
; Kernel info:
; codeLenInByte = 6076
; NumSgprs: 48
; NumVgprs: 49
; ScratchSize: 0
; MemoryBound: 0
; FloatMode: 240
; IeeeMode: 1
; LDSByteSize: 160 bytes/workgroup (compile time only)
; SGPRBlocks: 5
; VGPRBlocks: 6
; NumSGPRsForWavesPerEU: 48
; NumVGPRsForWavesPerEU: 49
; Occupancy: 16
; WaveLimiterHint : 1
; COMPUTE_PGM_RSRC2:SCRATCH_EN: 0
; COMPUTE_PGM_RSRC2:USER_SGPR: 13
; COMPUTE_PGM_RSRC2:TRAP_HANDLER: 0
; COMPUTE_PGM_RSRC2:TGID_X_EN: 1
; COMPUTE_PGM_RSRC2:TGID_Y_EN: 1
; COMPUTE_PGM_RSRC2:TGID_Z_EN: 1
; COMPUTE_PGM_RSRC2:TIDIG_COMP_CNT: 0
	.section	.text._ZN4vllm32paged_attention_v2_reduce_kernelItLi64ELi128ELi512EEEvPT_PKfS4_PKS1_PKii,"axG",@progbits,_ZN4vllm32paged_attention_v2_reduce_kernelItLi64ELi128ELi512EEEvPT_PKfS4_PKS1_PKii,comdat
	.protected	_ZN4vllm32paged_attention_v2_reduce_kernelItLi64ELi128ELi512EEEvPT_PKfS4_PKS1_PKii ; -- Begin function _ZN4vllm32paged_attention_v2_reduce_kernelItLi64ELi128ELi512EEEvPT_PKfS4_PKS1_PKii
	.globl	_ZN4vllm32paged_attention_v2_reduce_kernelItLi64ELi128ELi512EEEvPT_PKfS4_PKS1_PKii
	.p2align	8
	.type	_ZN4vllm32paged_attention_v2_reduce_kernelItLi64ELi128ELi512EEEvPT_PKfS4_PKS1_PKii,@function
_ZN4vllm32paged_attention_v2_reduce_kernelItLi64ELi128ELi512EEEvPT_PKfS4_PKS1_PKii: ; @_ZN4vllm32paged_attention_v2_reduce_kernelItLi64ELi128ELi512EEEvPT_PKfS4_PKS1_PKii
; %bb.0:
	s_load_b128 s[4:7], s[0:1], 0x18
	s_add_u32 s8, s0, 48
	s_mov_b32 s10, s15
	s_addc_u32 s9, s1, 0
	s_ashr_i32 s11, s15, 31
	s_delay_alu instid0(SALU_CYCLE_1)
	s_lshl_b64 s[2:3], s[10:11], 2
	s_waitcnt lgkmcnt(0)
	s_add_u32 s2, s6, s2
	s_addc_u32 s3, s7, s3
	s_load_b32 s20, s[2:3], 0x0
	s_clause 0x2
	s_load_b64 s[6:7], s[0:1], 0x0
	s_load_b32 s11, s[0:1], 0x28
	s_load_b32 s15, s[0:1], 0x30
	s_waitcnt lgkmcnt(0)
	s_add_i32 s2, s20, -1
	s_delay_alu instid0(SALU_CYCLE_1)
	s_cmpk_gt_u32 s2, 0x1ff
	s_mov_b32 s2, -1
	s_cbranch_scc0 .LBB68_26
; %bb.1:
	s_load_b64 s[2:3], s[0:1], 0x8
	s_add_i32 s12, s20, 0x1ff
	s_mul_i32 s18, s15, s10
	s_ashr_i32 s13, s12, 31
	v_dual_mov_b32 v4, 0xff7fffff :: v_dual_lshlrev_b32 v3, 2, v0
	s_lshr_b32 s13, s13, 23
	s_mul_i32 s16, s14, s11
	s_add_i32 s12, s12, s13
	s_ashr_i32 s17, s16, 31
	s_ashr_i32 s19, s12, 9
	s_mul_i32 s12, s18, s11
	v_cmp_gt_i32_e32 vcc_lo, s19, v0
	s_ashr_i32 s13, s12, 31
	s_and_saveexec_b32 s21, vcc_lo
	s_cbranch_execz .LBB68_5
; %bb.2:
	s_load_b32 s28, s[8:9], 0xc
	s_load_b64 s[22:23], s[0:1], 0x10
	s_lshl_b64 s[24:25], s[12:13], 2
	s_lshl_b64 s[26:27], s[16:17], 2
	v_dual_mov_b32 v4, 0xff7fffff :: v_dual_add_nc_u32 v5, 32, v3
	v_mov_b32_e32 v6, v0
	s_waitcnt lgkmcnt(0)
	s_and_b32 s1, s28, 0xffff
	s_add_u32 s0, s24, s26
	s_addc_u32 s24, s25, s27
	s_add_u32 s0, s22, s0
	s_addc_u32 s22, s23, s24
	v_add_co_u32 v1, s0, s0, v3
	s_delay_alu instid0(VALU_DEP_1)
	v_add_co_ci_u32_e64 v2, null, s22, 0, s0
	s_mov_b32 s22, 0
	s_lshl_b32 s23, s1, 2
	.p2align	6
.LBB68_3:                               ; =>This Inner Loop Header: Depth=1
	global_load_b32 v7, v[1:2], off
	v_add_nc_u32_e32 v6, s1, v6
	v_max_f32_e32 v4, v4, v4
	v_add_co_u32 v1, s0, v1, s23
	s_delay_alu instid0(VALU_DEP_1) | instskip(NEXT) | instid1(VALU_DEP_4)
	v_add_co_ci_u32_e64 v2, s0, 0, v2, s0
	v_cmp_le_i32_e64 s0, s19, v6
	s_delay_alu instid0(VALU_DEP_1)
	s_or_b32 s22, s0, s22
	s_waitcnt vmcnt(0)
	v_max_f32_e32 v8, v7, v7
	ds_store_b32 v5, v7
	v_dual_max_f32 v4, v4, v8 :: v_dual_add_nc_u32 v5, s23, v5
	s_and_not1_b32 exec_lo, exec_lo, s22
	s_cbranch_execnz .LBB68_3
; %bb.4:
	s_or_b32 exec_lo, exec_lo, s22
.LBB68_5:
	s_delay_alu instid0(SALU_CYCLE_1)
	s_or_b32 exec_lo, exec_lo, s21
	v_mbcnt_lo_u32_b32 v1, -1, 0
	s_waitcnt lgkmcnt(0)
	s_barrier
	buffer_gl0_inv
	v_xor_b32_e32 v2, 16, v1
	v_xor_b32_e32 v5, 8, v1
	s_delay_alu instid0(VALU_DEP_2) | instskip(NEXT) | instid1(VALU_DEP_1)
	v_cmp_gt_i32_e64 s0, 32, v2
	v_cndmask_b32_e64 v2, v1, v2, s0
	s_delay_alu instid0(VALU_DEP_3) | instskip(NEXT) | instid1(VALU_DEP_2)
	v_cmp_gt_i32_e64 s0, 32, v5
	v_lshlrev_b32_e32 v6, 2, v2
	s_delay_alu instid0(VALU_DEP_2) | instskip(SKIP_3) | instid1(VALU_DEP_1)
	v_cndmask_b32_e64 v5, v1, v5, s0
	ds_bpermute_b32 v2, v6, v4
	v_dual_max_f32 v4, v4, v4 :: v_dual_lshlrev_b32 v7, 2, v5
	v_xor_b32_e32 v5, 4, v1
	v_cmp_gt_i32_e64 s0, 32, v5
	s_delay_alu instid0(VALU_DEP_1) | instskip(NEXT) | instid1(VALU_DEP_1)
	v_cndmask_b32_e64 v5, v1, v5, s0
	v_lshlrev_b32_e32 v8, 2, v5
	v_xor_b32_e32 v5, 2, v1
	s_waitcnt lgkmcnt(0)
	v_max_f32_e32 v2, v2, v2
	s_delay_alu instid0(VALU_DEP_2) | instskip(NEXT) | instid1(VALU_DEP_2)
	v_cmp_gt_i32_e64 s0, 32, v5
	v_max_f32_e32 v2, v4, v2
	s_delay_alu instid0(VALU_DEP_2) | instskip(SKIP_3) | instid1(VALU_DEP_1)
	v_cndmask_b32_e64 v5, v1, v5, s0
	ds_bpermute_b32 v4, v7, v2
	s_waitcnt lgkmcnt(0)
	v_max_f32_e32 v4, v4, v4
	v_max_f32_e32 v2, v2, v4
	ds_bpermute_b32 v4, v8, v2
	s_waitcnt lgkmcnt(0)
	v_dual_max_f32 v9, v4, v4 :: v_dual_lshlrev_b32 v4, 2, v5
	s_delay_alu instid0(VALU_DEP_1) | instskip(SKIP_3) | instid1(VALU_DEP_1)
	v_max_f32_e32 v2, v2, v9
	v_xor_b32_e32 v9, 1, v1
	ds_bpermute_b32 v5, v4, v2
	v_cmp_gt_i32_e64 s0, 32, v9
	v_cndmask_b32_e64 v1, v1, v9, s0
	v_lshrrev_b32_e32 v9, 5, v0
	s_delay_alu instid0(VALU_DEP_1) | instskip(SKIP_2) | instid1(VALU_DEP_1)
	v_lshlrev_b32_e32 v9, 2, v9
	s_waitcnt lgkmcnt(0)
	v_max_f32_e32 v5, v5, v5
	v_max_f32_e32 v2, v2, v5
	v_lshlrev_b32_e32 v5, 2, v1
	v_and_b32_e32 v1, 31, v0
	ds_bpermute_b32 v10, v5, v2
	v_cmp_eq_u32_e64 s0, 0, v1
	s_delay_alu instid0(VALU_DEP_1)
	s_and_saveexec_b32 s1, s0
	s_cbranch_execz .LBB68_7
; %bb.6:
	s_waitcnt lgkmcnt(0)
	v_max_f32_e32 v10, v10, v10
	v_max_f32_e32 v2, v2, v2
	s_delay_alu instid0(VALU_DEP_1)
	v_max_f32_e32 v2, v2, v10
	ds_store_b32 v9, v2
.LBB68_7:
	s_or_b32 exec_lo, exec_lo, s1
	v_cmp_gt_u32_e64 s1, 4, v1
	v_mov_b32_e32 v2, 0xff7fffff
	s_waitcnt lgkmcnt(0)
	v_lshlrev_b32_e32 v10, 2, v1
	s_barrier
	buffer_gl0_inv
	s_and_saveexec_b32 s21, s1
	s_cbranch_execz .LBB68_9
; %bb.8:
	ds_load_b32 v2, v10
.LBB68_9:
	s_or_b32 exec_lo, exec_lo, s21
	s_waitcnt lgkmcnt(0)
	ds_bpermute_b32 v1, v4, v2
	v_max_f32_e32 v2, v2, v2
	s_lshl_b32 s21, s19, 2
	s_waitcnt lgkmcnt(0)
	v_dual_mov_b32 v12, 0 :: v_dual_max_f32 v1, v1, v1
	s_delay_alu instid0(VALU_DEP_1) | instskip(SKIP_3) | instid1(VALU_DEP_1)
	v_max_f32_e32 v1, v2, v1
	ds_bpermute_b32 v2, v5, v1
	s_waitcnt lgkmcnt(0)
	v_max_f32_e32 v2, v2, v2
	v_max_f32_e32 v1, v1, v2
	ds_bpermute_b32 v11, v12, v1
	s_and_saveexec_b32 s22, vcc_lo
	s_cbranch_execz .LBB68_13
; %bb.10:
	s_load_b32 s23, s[8:9], 0xc
	s_lshl_b64 s[24:25], s[12:13], 2
	s_lshl_b64 s[26:27], s[16:17], 2
	v_dual_mov_b32 v12, 0 :: v_dual_add_nc_u32 v13, 32, v3
	s_waitcnt lgkmcnt(0)
	s_and_b32 s13, s23, 0xffff
	s_add_u32 s17, s24, s26
	s_addc_u32 s23, s25, s27
	s_add_u32 s2, s2, s17
	s_addc_u32 s3, s3, s23
	v_add_co_u32 v1, s2, s2, v3
	s_delay_alu instid0(VALU_DEP_1)
	v_add_co_ci_u32_e64 v2, null, s3, 0, s2
	v_mov_b32_e32 v3, v0
	s_mov_b32 s3, 0
	s_lshl_b32 s17, s13, 2
	s_set_inst_prefetch_distance 0x1
	.p2align	6
.LBB68_11:                              ; =>This Inner Loop Header: Depth=1
	global_load_b32 v14, v[1:2], off
	ds_load_b32 v15, v13
	v_add_nc_u32_e32 v3, s13, v3
	s_waitcnt lgkmcnt(0)
	v_sub_f32_e32 v15, v15, v11
	s_delay_alu instid0(VALU_DEP_1) | instskip(NEXT) | instid1(VALU_DEP_1)
	v_mul_f32_e32 v16, 0x3fb8aa3b, v15
	v_fma_f32 v17, 0x3fb8aa3b, v15, -v16
	v_rndne_f32_e32 v18, v16
	s_delay_alu instid0(VALU_DEP_1) | instskip(SKIP_1) | instid1(VALU_DEP_4)
	v_sub_f32_e32 v16, v16, v18
	v_cmp_ngt_f32_e32 vcc_lo, 0xc2ce8ed0, v15
	v_fmac_f32_e32 v17, 0x32a5705f, v15
	v_cmp_nlt_f32_e64 s2, 0x42b17218, v15
	s_delay_alu instid0(VALU_DEP_2) | instskip(SKIP_1) | instid1(VALU_DEP_2)
	v_add_f32_e32 v16, v16, v17
	v_cvt_i32_f32_e32 v17, v18
	v_exp_f32_e32 v16, v16
	s_waitcnt_depctr 0xfff
	v_ldexp_f32 v16, v16, v17
	s_delay_alu instid0(VALU_DEP_1) | instskip(SKIP_2) | instid1(VALU_DEP_3)
	v_dual_cndmask_b32 v16, 0, v16 :: v_dual_add_nc_u32 v17, s21, v13
	v_add_co_u32 v1, vcc_lo, v1, s17
	v_add_co_ci_u32_e32 v2, vcc_lo, 0, v2, vcc_lo
	v_cndmask_b32_e64 v15, 0x7f800000, v16, s2
	v_cmp_le_i32_e32 vcc_lo, s19, v3
	v_add_nc_u32_e32 v13, s17, v13
	s_or_b32 s3, vcc_lo, s3
	s_waitcnt vmcnt(0)
	v_mul_f32_e32 v16, v14, v15
	v_fmac_f32_e32 v12, v14, v15
	ds_store_b32 v17, v16
	s_and_not1_b32 exec_lo, exec_lo, s3
	s_cbranch_execnz .LBB68_11
; %bb.12:
	s_set_inst_prefetch_distance 0x2
	s_or_b32 exec_lo, exec_lo, s3
.LBB68_13:
	s_delay_alu instid0(SALU_CYCLE_1)
	s_or_b32 exec_lo, exec_lo, s22
	ds_bpermute_b32 v1, v6, v12
	s_waitcnt lgkmcnt(0)
	s_barrier
	buffer_gl0_inv
	v_add_f32_e32 v1, v12, v1
	ds_bpermute_b32 v2, v7, v1
	s_waitcnt lgkmcnt(0)
	v_add_f32_e32 v1, v1, v2
	ds_bpermute_b32 v2, v8, v1
	s_waitcnt lgkmcnt(0)
	;; [unrolled: 3-line block ×4, first 2 shown]
	v_add_f32_e32 v1, v1, v2
	s_and_saveexec_b32 s2, s0
	s_cbranch_execz .LBB68_15
; %bb.14:
	ds_store_b32 v9, v1 offset:16
.LBB68_15:
	s_or_b32 exec_lo, exec_lo, s2
	s_waitcnt lgkmcnt(0)
	s_barrier
	buffer_gl0_inv
	s_and_saveexec_b32 s0, s1
	s_cbranch_execz .LBB68_17
; %bb.16:
	ds_load_b32 v1, v10 offset:16
.LBB68_17:
	s_or_b32 exec_lo, exec_lo, s0
	s_waitcnt lgkmcnt(0)
	ds_bpermute_b32 v2, v4, v1
	s_mov_b32 s0, exec_lo
	s_waitcnt lgkmcnt(0)
	v_add_f32_e32 v1, v1, v2
	ds_bpermute_b32 v2, v5, v1
	s_waitcnt lgkmcnt(0)
	v_dual_add_f32 v1, v1, v2 :: v_dual_mov_b32 v2, 0
	ds_bpermute_b32 v2, v2, v1
	v_cmpx_gt_u32_e32 64, v0
	s_cbranch_execz .LBB68_25
; %bb.18:
	s_cmp_gt_i32 s20, 0
	s_mov_b32 s1, 0
	s_cbranch_scc1 .LBB68_20
; %bb.19:
	v_mov_b32_e32 v1, 0
	s_branch .LBB68_21
.LBB68_20:
	s_mov_b32 s1, -1
.LBB68_21:
	s_delay_alu instid0(SALU_CYCLE_1) | instskip(SKIP_1) | instid1(VALU_DEP_2)
	v_cndmask_b32_e64 v3, 0, 1, s1
	v_mov_b32_e32 v4, s1
	v_cmp_ne_u32_e32 vcc_lo, 1, v3
	s_cbranch_vccnz .LBB68_24
; %bb.22:
	s_waitcnt lgkmcnt(0)
	v_add_f32_e32 v4, 0x358637bd, v2
	s_lshl_b32 s12, s12, 6
	s_lshl_b32 s16, s16, 6
	s_ashr_i32 s13, s12, 31
	s_ashr_i32 s17, s16, 31
	v_div_scale_f32 v2, null, v4, v4, 1.0
	s_lshl_b64 s[12:13], s[12:13], 1
	s_lshl_b64 s[16:17], s[16:17], 1
	s_max_i32 s1, s19, 1
	s_delay_alu instid0(VALU_DEP_1)
	v_rcp_f32_e32 v3, v2
	s_add_i32 s2, s21, 32
	s_add_u32 s3, s12, s16
	s_addc_u32 s12, s13, s17
	s_add_u32 s3, s4, s3
	s_addc_u32 s12, s5, s12
	s_waitcnt_depctr 0xfff
	v_fma_f32 v1, -v2, v3, 1.0
	s_delay_alu instid0(VALU_DEP_1) | instskip(SKIP_1) | instid1(VALU_DEP_1)
	v_fmac_f32_e32 v3, v1, v3
	v_div_scale_f32 v5, vcc_lo, 1.0, v4, 1.0
	v_dual_mov_b32 v1, 0 :: v_dual_mul_f32 v6, v5, v3
	s_delay_alu instid0(VALU_DEP_1) | instskip(NEXT) | instid1(VALU_DEP_1)
	v_fma_f32 v7, -v2, v6, v5
	v_dual_fmac_f32 v6, v7, v3 :: v_dual_lshlrev_b32 v7, 1, v0
	s_delay_alu instid0(VALU_DEP_1) | instskip(NEXT) | instid1(VALU_DEP_1)
	v_fma_f32 v2, -v2, v6, v5
	v_div_fmas_f32 v5, v2, v3, v6
	s_delay_alu instid0(VALU_DEP_3) | instskip(NEXT) | instid1(VALU_DEP_1)
	v_add_co_u32 v2, s3, s3, v7
	v_add_co_ci_u32_e64 v3, null, s12, 0, s3
	s_delay_alu instid0(VALU_DEP_3)
	v_div_fixup_f32 v5, v5, v4, 1.0
	v_mov_b32_e32 v4, v1
	.p2align	6
.LBB68_23:                              ; =>This Inner Loop Header: Depth=1
	v_mov_b32_e32 v7, s2
	global_load_u16 v6, v[2:3], off
	s_waitcnt vmcnt(0)
	;;#ASMSTART
	v_cvt_f32_f16 v6, v6;
	;;#ASMEND
	v_add_co_u32 v2, vcc_lo, 0x80, v2
	ds_load_b32 v7, v7
	v_add_co_ci_u32_e32 v3, vcc_lo, 0, v3, vcc_lo
	s_add_i32 s1, s1, -1
	s_add_i32 s2, s2, 4
	s_cmp_eq_u32 s1, 0
	s_waitcnt lgkmcnt(0)
	v_mul_f32_e32 v6, v6, v7
	s_delay_alu instid0(VALU_DEP_1)
	v_fmac_f32_e32 v4, v5, v6
	s_cbranch_scc0 .LBB68_23
.LBB68_24:
	s_lshl_b32 s2, s18, 6
	s_waitcnt lgkmcnt(0)
	v_lshlrev_b64 v[1:2], 1, v[0:1]
	s_ashr_i32 s3, s2, 31
	;;#ASMSTART
	v_cvt_f16_f32 v3, v4;

	;;#ASMEND
	s_lshl_b64 s[2:3], s[2:3], 1
	s_delay_alu instid0(SALU_CYCLE_1) | instskip(SKIP_2) | instid1(SALU_CYCLE_1)
	s_add_u32 s1, s6, s2
	s_addc_u32 s12, s7, s3
	s_lshl_b32 s2, s14, 6
	s_ashr_i32 s3, s2, 31
	s_delay_alu instid0(SALU_CYCLE_1) | instskip(NEXT) | instid1(SALU_CYCLE_1)
	s_lshl_b64 s[2:3], s[2:3], 1
	s_add_u32 s1, s1, s2
	s_addc_u32 s2, s12, s3
	v_add_co_u32 v1, vcc_lo, s1, v1
	v_add_co_ci_u32_e32 v2, vcc_lo, s2, v2, vcc_lo
	global_store_b16 v[1:2], v3, off
.LBB68_25:
	s_or_b32 exec_lo, exec_lo, s0
	s_mov_b32 s2, 0
.LBB68_26:
	s_delay_alu instid0(SALU_CYCLE_1)
	s_and_b32 vcc_lo, exec_lo, s2
	s_cbranch_vccz .LBB68_35
; %bb.27:
	s_mov_b32 s0, exec_lo
	v_cmpx_gt_u32_e32 64, v0
	s_cbranch_execz .LBB68_35
; %bb.28:
	s_mul_i32 s15, s15, s10
	s_load_b32 s8, s[8:9], 0xc
	s_lshl_b32 s0, s15, 6
	s_delay_alu instid0(SALU_CYCLE_1) | instskip(NEXT) | instid1(SALU_CYCLE_1)
	s_ashr_i32 s1, s0, 31
	s_lshl_b64 s[0:1], s[0:1], 1
	s_delay_alu instid0(SALU_CYCLE_1) | instskip(SKIP_4) | instid1(SALU_CYCLE_1)
	s_add_u32 s6, s6, s0
	s_addc_u32 s7, s7, s1
	s_lshl_b32 s0, s14, 6
	s_mul_i32 s14, s14, s11
	s_ashr_i32 s1, s0, 31
	s_lshl_b64 s[2:3], s[0:1], 1
	s_mul_i32 s0, s11, s15
	s_add_u32 s1, s6, s2
	s_addc_u32 s2, s7, s3
	s_lshl_b32 s6, s0, 6
	s_delay_alu instid0(SALU_CYCLE_1) | instskip(NEXT) | instid1(SALU_CYCLE_1)
	s_ashr_i32 s7, s6, 31
	s_lshl_b64 s[6:7], s[6:7], 1
	s_delay_alu instid0(SALU_CYCLE_1) | instskip(SKIP_4) | instid1(SALU_CYCLE_1)
	s_add_u32 s0, s4, s6
	s_addc_u32 s6, s5, s7
	s_lshl_b32 s4, s14, 6
	s_mov_b32 s7, 0
	s_ashr_i32 s5, s4, 31
	s_lshl_b64 s[4:5], s[4:5], 1
	s_delay_alu instid0(SALU_CYCLE_1) | instskip(SKIP_3) | instid1(SALU_CYCLE_1)
	s_add_u32 s3, s0, s4
	s_addc_u32 s4, s6, s5
	s_waitcnt lgkmcnt(0)
	s_and_b32 s5, s8, 0xffff
	v_cvt_f32_u32_e32 v1, s5
	s_cmp_eq_u32 s5, 1
	v_add_nc_u32_e32 v3, s5, v0
	s_cselect_b32 s6, -1, 0
	s_sub_i32 s0, 0, s5
	v_rcp_iflag_f32_e32 v1, v1
	s_delay_alu instid0(VALU_DEP_1) | instskip(SKIP_3) | instid1(VALU_DEP_1)
	v_cmp_gt_u32_e32 vcc_lo, 64, v3
	v_max_u32_e32 v4, 64, v3
	s_waitcnt_depctr 0xfff
	v_mul_f32_e32 v1, 0x4f7ffffe, v1
	v_cvt_u32_f32_e32 v1, v1
	s_delay_alu instid0(VALU_DEP_1) | instskip(SKIP_1) | instid1(VALU_DEP_1)
	v_mul_lo_u32 v2, s0, v1
	v_add_co_ci_u32_e64 v3, s0, s5, v0, vcc_lo
	v_sub_nc_u32_e32 v3, v4, v3
	s_delay_alu instid0(VALU_DEP_3) | instskip(NEXT) | instid1(VALU_DEP_1)
	v_mul_hi_u32 v2, v1, v2
	v_add_nc_u32_e32 v1, v1, v2
	s_delay_alu instid0(VALU_DEP_1) | instskip(NEXT) | instid1(VALU_DEP_1)
	v_mul_hi_u32 v1, v3, v1
	v_mul_lo_u32 v2, v1, s5
	s_delay_alu instid0(VALU_DEP_1) | instskip(SKIP_1) | instid1(VALU_DEP_2)
	v_sub_nc_u32_e32 v2, v3, v2
	v_add_nc_u32_e32 v3, 1, v1
	v_subrev_nc_u32_e32 v4, s5, v2
	v_cmp_le_u32_e64 s0, s5, v2
	s_delay_alu instid0(VALU_DEP_1) | instskip(NEXT) | instid1(VALU_DEP_3)
	v_cndmask_b32_e64 v1, v1, v3, s0
	v_cndmask_b32_e64 v2, v2, v4, s0
	s_delay_alu instid0(VALU_DEP_2) | instskip(NEXT) | instid1(VALU_DEP_2)
	v_add_nc_u32_e32 v3, 1, v1
	v_cmp_le_u32_e64 s0, s5, v2
	s_delay_alu instid0(VALU_DEP_1) | instskip(SKIP_1) | instid1(VALU_DEP_1)
	v_cndmask_b32_e64 v1, v1, v3, s0
	s_mov_b32 s0, -1
	v_add_co_ci_u32_e32 v3, vcc_lo, 1, v1, vcc_lo
	s_delay_alu instid0(VALU_DEP_1) | instskip(SKIP_1) | instid1(SALU_CYCLE_1)
	v_cmp_lt_u32_e32 vcc_lo, 3, v3
	s_and_b32 s8, vcc_lo, s6
	s_and_saveexec_b32 s6, s8
	s_cbranch_execz .LBB68_32
; %bb.29:
	v_dual_mov_b32 v1, v0 :: v_dual_and_b32 v4, -4, v3
	s_delay_alu instid0(VALU_DEP_1)
	v_dual_mov_b32 v2, 0 :: v_dual_mov_b32 v5, v4
	.p2align	6
.LBB68_30:                              ; =>This Inner Loop Header: Depth=1
	s_delay_alu instid0(VALU_DEP_1) | instskip(NEXT) | instid1(VALU_DEP_2)
	v_lshlrev_b64 v[6:7], 1, v[1:2]
	v_add_nc_u32_e32 v5, -4, v5
	v_add_nc_u32_e32 v1, 4, v1
	s_delay_alu instid0(VALU_DEP_3) | instskip(NEXT) | instid1(VALU_DEP_4)
	v_add_co_u32 v8, vcc_lo, s3, v6
	v_add_co_ci_u32_e32 v9, vcc_lo, s4, v7, vcc_lo
	s_delay_alu instid0(VALU_DEP_4)
	v_cmp_eq_u32_e32 vcc_lo, 0, v5
	v_add_co_u32 v6, s0, s1, v6
	global_load_b64 v[8:9], v[8:9], off
	v_add_co_ci_u32_e64 v7, s0, s2, v7, s0
	s_or_b32 s7, vcc_lo, s7
	s_waitcnt vmcnt(0)
	global_store_b64 v[6:7], v[8:9], off
	s_and_not1_b32 exec_lo, exec_lo, s7
	s_cbranch_execnz .LBB68_30
; %bb.31:
	s_or_b32 exec_lo, exec_lo, s7
	v_cmp_ne_u32_e32 vcc_lo, v3, v4
	v_add_nc_u32_e32 v0, v0, v4
	s_or_not1_b32 s0, vcc_lo, exec_lo
.LBB68_32:
	s_or_b32 exec_lo, exec_lo, s6
	s_delay_alu instid0(SALU_CYCLE_1)
	s_and_b32 exec_lo, exec_lo, s0
	s_cbranch_execz .LBB68_35
; %bb.33:
	v_mov_b32_e32 v1, 0
	s_mov_b32 s6, 0
	s_lshl_b32 s7, s5, 1
	s_delay_alu instid0(VALU_DEP_1)
	v_lshlrev_b64 v[1:2], 1, v[0:1]
	.p2align	6
.LBB68_34:                              ; =>This Inner Loop Header: Depth=1
	s_delay_alu instid0(VALU_DEP_1) | instskip(NEXT) | instid1(VALU_DEP_2)
	v_add_co_u32 v3, vcc_lo, s3, v1
	v_add_co_ci_u32_e32 v4, vcc_lo, s4, v2, vcc_lo
	v_add_nc_u32_e32 v0, s5, v0
	global_load_u16 v5, v[3:4], off
	v_add_co_u32 v3, vcc_lo, s1, v1
	v_add_co_ci_u32_e32 v4, vcc_lo, s2, v2, vcc_lo
	v_cmp_lt_u32_e32 vcc_lo, 63, v0
	v_add_co_u32 v1, s0, v1, s7
	s_delay_alu instid0(VALU_DEP_1)
	v_add_co_ci_u32_e64 v2, s0, 0, v2, s0
	s_or_b32 s6, vcc_lo, s6
	s_waitcnt vmcnt(0)
	global_store_b16 v[3:4], v5, off
	s_and_not1_b32 exec_lo, exec_lo, s6
	s_cbranch_execnz .LBB68_34
.LBB68_35:
	s_nop 0
	s_sendmsg sendmsg(MSG_DEALLOC_VGPRS)
	s_endpgm
	.section	.rodata,"a",@progbits
	.p2align	6, 0x0
	.amdhsa_kernel _ZN4vllm32paged_attention_v2_reduce_kernelItLi64ELi128ELi512EEEvPT_PKfS4_PKS1_PKii
		.amdhsa_group_segment_fixed_size 32
		.amdhsa_private_segment_fixed_size 0
		.amdhsa_kernarg_size 304
		.amdhsa_user_sgpr_count 14
		.amdhsa_user_sgpr_dispatch_ptr 0
		.amdhsa_user_sgpr_queue_ptr 0
		.amdhsa_user_sgpr_kernarg_segment_ptr 1
		.amdhsa_user_sgpr_dispatch_id 0
		.amdhsa_user_sgpr_private_segment_size 0
		.amdhsa_wavefront_size32 1
		.amdhsa_uses_dynamic_stack 0
		.amdhsa_enable_private_segment 0
		.amdhsa_system_sgpr_workgroup_id_x 1
		.amdhsa_system_sgpr_workgroup_id_y 1
		.amdhsa_system_sgpr_workgroup_id_z 0
		.amdhsa_system_sgpr_workgroup_info 0
		.amdhsa_system_vgpr_workitem_id 0
		.amdhsa_next_free_vgpr 19
		.amdhsa_next_free_sgpr 29
		.amdhsa_reserve_vcc 1
		.amdhsa_float_round_mode_32 0
		.amdhsa_float_round_mode_16_64 0
		.amdhsa_float_denorm_mode_32 3
		.amdhsa_float_denorm_mode_16_64 3
		.amdhsa_dx10_clamp 1
		.amdhsa_ieee_mode 1
		.amdhsa_fp16_overflow 0
		.amdhsa_workgroup_processor_mode 1
		.amdhsa_memory_ordered 1
		.amdhsa_forward_progress 0
		.amdhsa_shared_vgpr_count 0
		.amdhsa_exception_fp_ieee_invalid_op 0
		.amdhsa_exception_fp_denorm_src 0
		.amdhsa_exception_fp_ieee_div_zero 0
		.amdhsa_exception_fp_ieee_overflow 0
		.amdhsa_exception_fp_ieee_underflow 0
		.amdhsa_exception_fp_ieee_inexact 0
		.amdhsa_exception_int_div_zero 0
	.end_amdhsa_kernel
	.section	.text._ZN4vllm32paged_attention_v2_reduce_kernelItLi64ELi128ELi512EEEvPT_PKfS4_PKS1_PKii,"axG",@progbits,_ZN4vllm32paged_attention_v2_reduce_kernelItLi64ELi128ELi512EEEvPT_PKfS4_PKS1_PKii,comdat
.Lfunc_end68:
	.size	_ZN4vllm32paged_attention_v2_reduce_kernelItLi64ELi128ELi512EEEvPT_PKfS4_PKS1_PKii, .Lfunc_end68-_ZN4vllm32paged_attention_v2_reduce_kernelItLi64ELi128ELi512EEEvPT_PKfS4_PKS1_PKii
                                        ; -- End function
	.section	.AMDGPU.csdata,"",@progbits
; Kernel info:
; codeLenInByte = 2420
; NumSgprs: 31
; NumVgprs: 19
; ScratchSize: 0
; MemoryBound: 0
; FloatMode: 240
; IeeeMode: 1
; LDSByteSize: 32 bytes/workgroup (compile time only)
; SGPRBlocks: 3
; VGPRBlocks: 2
; NumSGPRsForWavesPerEU: 31
; NumVGPRsForWavesPerEU: 19
; Occupancy: 16
; WaveLimiterHint : 0
; COMPUTE_PGM_RSRC2:SCRATCH_EN: 0
; COMPUTE_PGM_RSRC2:USER_SGPR: 14
; COMPUTE_PGM_RSRC2:TRAP_HANDLER: 0
; COMPUTE_PGM_RSRC2:TGID_X_EN: 1
; COMPUTE_PGM_RSRC2:TGID_Y_EN: 1
; COMPUTE_PGM_RSRC2:TGID_Z_EN: 0
; COMPUTE_PGM_RSRC2:TIDIG_COMP_CNT: 0
	.section	.text._ZN4vllm25paged_attention_v2_kernelIttLi80ELi8ELi128ELNS_18Fp8KVCacheDataTypeE0ELb1ELi512EEEvPfS2_PT_PKS3_PKT0_S9_ifPKiSB_iPKfiiiSD_SD_iiiii,"axG",@progbits,_ZN4vllm25paged_attention_v2_kernelIttLi80ELi8ELi128ELNS_18Fp8KVCacheDataTypeE0ELb1ELi512EEEvPfS2_PT_PKS3_PKT0_S9_ifPKiSB_iPKfiiiSD_SD_iiiii,comdat
	.protected	_ZN4vllm25paged_attention_v2_kernelIttLi80ELi8ELi128ELNS_18Fp8KVCacheDataTypeE0ELb1ELi512EEEvPfS2_PT_PKS3_PKT0_S9_ifPKiSB_iPKfiiiSD_SD_iiiii ; -- Begin function _ZN4vllm25paged_attention_v2_kernelIttLi80ELi8ELi128ELNS_18Fp8KVCacheDataTypeE0ELb1ELi512EEEvPfS2_PT_PKS3_PKT0_S9_ifPKiSB_iPKfiiiSD_SD_iiiii
	.globl	_ZN4vllm25paged_attention_v2_kernelIttLi80ELi8ELi128ELNS_18Fp8KVCacheDataTypeE0ELb1ELi512EEEvPfS2_PT_PKS3_PKT0_S9_ifPKiSB_iPKfiiiSD_SD_iiiii
	.p2align	8
	.type	_ZN4vllm25paged_attention_v2_kernelIttLi80ELi8ELi128ELNS_18Fp8KVCacheDataTypeE0ELb1ELi512EEEvPfS2_PT_PKS3_PKT0_S9_ifPKiSB_iPKfiiiSD_SD_iiiii,@function
_ZN4vllm25paged_attention_v2_kernelIttLi80ELi8ELi128ELNS_18Fp8KVCacheDataTypeE0ELb1ELi512EEEvPfS2_PT_PKS3_PKT0_S9_ifPKiSB_iPKfiiiSD_SD_iiiii: ; @_ZN4vllm25paged_attention_v2_kernelIttLi80ELi8ELi128ELNS_18Fp8KVCacheDataTypeE0ELb1ELi512EEEvPfS2_PT_PKS3_PKT0_S9_ifPKiSB_iPKfiiiSD_SD_iiiii
; %bb.0:
	s_load_b64 s[2:3], s[0:1], 0x40
	s_mov_b32 s20, s15
	s_ashr_i32 s15, s14, 31
	s_delay_alu instid0(SALU_CYCLE_1)
	s_lshl_b64 s[4:5], s[14:15], 2
	s_waitcnt lgkmcnt(0)
	s_add_u32 s2, s2, s4
	s_addc_u32 s3, s3, s5
	s_lshl_b32 s36, s20, 9
	s_load_b32 s15, s[2:3], 0x0
	s_waitcnt lgkmcnt(0)
	s_cmp_ge_i32 s36, s15
	s_cbranch_scc1 .LBB69_67
; %bb.1:
	s_mov_b32 s26, s13
	s_clause 0x1
	s_load_b32 s21, s[0:1], 0x90
	s_load_b64 s[12:13], s[0:1], 0x30
	s_mov_b32 s37, 0
	s_waitcnt lgkmcnt(0)
	s_abs_i32 s5, s21
	s_abs_i32 s2, s12
	s_delay_alu instid0(SALU_CYCLE_1) | instskip(SKIP_1) | instid1(VALU_DEP_1)
	v_cvt_f32_u32_e32 v1, s2
	s_sub_i32 s4, 0, s2
	v_rcp_iflag_f32_e32 v1, v1
	s_waitcnt_depctr 0xfff
	v_mul_f32_e32 v1, 0x4f7ffffe, v1
	s_delay_alu instid0(VALU_DEP_1) | instskip(NEXT) | instid1(VALU_DEP_1)
	v_cvt_u32_f32_e32 v1, v1
	v_readfirstlane_b32 s3, v1
	s_delay_alu instid0(VALU_DEP_1) | instskip(NEXT) | instid1(SALU_CYCLE_1)
	s_mul_i32 s4, s4, s3
	s_mul_hi_u32 s4, s3, s4
	s_delay_alu instid0(SALU_CYCLE_1) | instskip(SKIP_4) | instid1(SALU_CYCLE_1)
	s_add_i32 s3, s3, s4
	s_xor_b32 s4, s21, s12
	s_mul_hi_u32 s3, s5, s3
	s_ashr_i32 s4, s4, 31
	s_mul_i32 s6, s3, s2
	s_sub_i32 s5, s5, s6
	s_add_i32 s6, s3, 1
	s_sub_i32 s7, s5, s2
	s_cmp_ge_u32 s5, s2
	s_cselect_b32 s3, s6, s3
	s_cselect_b32 s5, s7, s5
	s_add_i32 s6, s3, 1
	s_cmp_ge_u32 s5, s2
	s_cselect_b32 s2, s6, s3
	s_abs_i32 s17, s26
	s_xor_b32 s2, s2, s4
	s_delay_alu instid0(SALU_CYCLE_1) | instskip(SKIP_2) | instid1(SALU_CYCLE_1)
	s_sub_i32 s8, s2, s4
	s_load_b64 s[2:3], s[0:1], 0x50
	s_abs_i32 s16, s8
	v_cvt_f32_u32_e32 v1, s16
	s_sub_i32 s5, 0, s16
	s_delay_alu instid0(VALU_DEP_1) | instskip(SKIP_2) | instid1(VALU_DEP_1)
	v_rcp_iflag_f32_e32 v1, v1
	s_waitcnt_depctr 0xfff
	v_mul_f32_e32 v1, 0x4f7ffffe, v1
	v_cvt_u32_f32_e32 v1, v1
	s_delay_alu instid0(VALU_DEP_1) | instskip(NEXT) | instid1(VALU_DEP_1)
	v_readfirstlane_b32 s4, v1
	s_mul_i32 s5, s5, s4
	s_delay_alu instid0(SALU_CYCLE_1) | instskip(NEXT) | instid1(SALU_CYCLE_1)
	s_mul_hi_u32 s5, s4, s5
	s_add_i32 s4, s4, s5
	s_waitcnt lgkmcnt(0)
	s_cmp_eq_u64 s[2:3], 0
	s_mul_hi_u32 s18, s17, s4
	s_cbranch_scc1 .LBB69_3
; %bb.2:
	s_ashr_i32 s27, s26, 31
	s_delay_alu instid0(SALU_CYCLE_1) | instskip(NEXT) | instid1(SALU_CYCLE_1)
	s_lshl_b64 s[4:5], s[26:27], 2
	s_add_u32 s2, s2, s4
	s_addc_u32 s3, s3, s5
	s_load_b32 s37, s[2:3], 0x0
.LBB69_3:
	s_load_b128 s[4:7], s[0:1], 0x58
	v_and_b32_e32 v1, 3, v0
	v_lshlrev_b32_e32 v2, 2, v0
	s_ashr_i32 s2, s26, 31
	s_ashr_i32 s3, s8, 31
	s_mul_i32 s22, s26, 0x50
	s_waitcnt lgkmcnt(0)
	s_mov_b32 s7, exec_lo
	v_cmpx_gt_u32_e32 40, v0
	s_cbranch_execz .LBB69_5
; %bb.4:
	s_load_b64 s[8:9], s[0:1], 0x18
	s_mul_i32 s10, s14, s4
	v_and_b32_e32 v4, 0x3fc, v0
	s_ashr_i32 s11, s10, 31
	s_delay_alu instid0(SALU_CYCLE_1) | instskip(NEXT) | instid1(VALU_DEP_1)
	s_lshl_b64 s[10:11], s[10:11], 1
	v_mad_u32_u24 v4, v1, 40, v4
	s_waitcnt lgkmcnt(0)
	s_add_u32 s4, s8, s10
	s_addc_u32 s10, s9, s11
	s_ashr_i32 s23, s22, 31
	s_delay_alu instid0(SALU_CYCLE_1) | instskip(NEXT) | instid1(SALU_CYCLE_1)
	s_lshl_b64 s[8:9], s[22:23], 1
	s_add_u32 s8, s4, s8
	s_addc_u32 s9, s10, s9
	global_load_b32 v3, v2, s[8:9]
	s_waitcnt vmcnt(0)
	ds_store_b32 v4, v3
.LBB69_5:
	s_or_b32 exec_lo, exec_lo, s7
	s_load_b128 s[8:11], s[0:1], 0x78
	s_mul_i32 s4, s18, s16
	s_xor_b32 s2, s2, s3
	s_sub_i32 s3, s17, s4
	s_add_i32 s4, s18, 1
	s_sub_i32 s7, s3, s16
	s_cmp_ge_u32 s3, s16
	s_mov_b32 s17, -1
	s_cselect_b32 s4, s4, s18
	s_cselect_b32 s3, s7, s3
	s_add_i32 s7, s4, 1
	s_cmp_ge_u32 s3, s16
	s_waitcnt lgkmcnt(0)
	s_cselect_b32 s3, s7, s4
	s_load_b32 s7, s[0:1], 0x88
	s_xor_b32 s3, s3, s2
	s_add_i32 s16, s15, -1
	s_sub_i32 s3, s3, s2
	s_abs_i32 s4, s16
	s_waitcnt lgkmcnt(0)
	s_barrier
	s_abs_i32 s23, s11
	buffer_gl0_inv
	v_cvt_f32_u32_e32 v3, s23
	s_sub_i32 s2, 0, s23
                                        ; implicit-def: $sgpr33
	s_delay_alu instid0(VALU_DEP_1) | instskip(SKIP_2) | instid1(VALU_DEP_1)
	v_rcp_iflag_f32_e32 v3, v3
	s_waitcnt_depctr 0xfff
	v_mul_f32_e32 v3, 0x4f7ffffe, v3
	v_cvt_u32_f32_e32 v3, v3
	s_delay_alu instid0(VALU_DEP_1) | instskip(NEXT) | instid1(VALU_DEP_1)
	v_readfirstlane_b32 s27, v3
	s_mul_i32 s2, s2, s27
	s_delay_alu instid0(SALU_CYCLE_1) | instskip(NEXT) | instid1(SALU_CYCLE_1)
	s_mul_hi_u32 s2, s27, s2
	s_add_i32 s27, s27, s2
	s_cmp_lt_i32 s7, 0
	s_mul_hi_u32 s2, s4, s27
	s_cbranch_scc0 .LBB69_7
; %bb.6:
	s_mul_i32 s12, s8, s12
	s_mov_b32 s17, 0
	s_add_i32 s12, s3, s12
	s_delay_alu instid0(SALU_CYCLE_1) | instskip(NEXT) | instid1(SALU_CYCLE_1)
	s_mul_i32 s12, s12, s7
	s_sub_i32 s33, 1, s12
.LBB69_7:
	s_load_b64 s[28:29], s[0:1], 0x38
	s_ashr_i32 s12, s16, 31
	s_and_not1_b32 vcc_lo, exec_lo, s17
	s_ashr_i32 s11, s11, 31
	s_cbranch_vccnz .LBB69_9
; %bb.8:
	s_mul_i32 s8, s21, s8
	s_delay_alu instid0(SALU_CYCLE_1) | instskip(NEXT) | instid1(SALU_CYCLE_1)
	s_add_i32 s8, s8, s26
	s_mul_i32 s7, s8, s7
	s_delay_alu instid0(SALU_CYCLE_1)
	s_add_i32 s33, s7, 1
.LBB69_9:
	s_clause 0x4
	s_load_b32 s7, s[0:1], 0x48
	s_load_b64 s[34:35], s[0:1], 0x28
	s_load_b32 s8, s[0:1], 0x98
	s_load_b128 s[16:19], s[0:1], 0x0
	s_load_b64 s[24:25], s[0:1], 0x10
	s_xor_b32 s40, s12, s11
	s_mul_i32 s12, s2, s23
	s_add_i32 s38, s2, 1
	s_sub_i32 s4, s4, s12
	v_lshrrev_b32_e32 v13, 5, v0
	v_mov_b32_e32 v4, 0xff7fffff
	v_mbcnt_lo_u32_b32 v3, -1, 0
	s_mul_i32 s6, s3, s6
	s_delay_alu instid0(VALU_DEP_3)
	v_lshl_add_u32 v14, v13, 3, s36
	s_waitcnt lgkmcnt(0)
	s_mul_i32 s30, s14, s7
	s_sub_i32 s7, s4, s23
	s_ashr_i32 s31, s30, 31
	s_cmp_ge_u32 s4, s23
	s_cselect_b32 s2, s38, s2
	s_cselect_b32 s4, s7, s4
	s_add_i32 s7, s2, 1
	s_cmp_ge_u32 s4, s23
	s_cselect_b32 s2, s7, s2
	s_add_i32 s4, s15, 7
	s_lshl_b32 s12, s20, 6
	s_ashr_i32 s7, s4, 31
	v_or_b32_e32 v8, s12, v13
	s_lshr_b32 s7, s7, 29
	s_delay_alu instid0(SALU_CYCLE_1)
	s_add_i32 s4, s4, s7
	s_add_i32 s7, s12, 64
	s_ashr_i32 s39, s4, 3
	s_xor_b32 s4, s2, s40
	s_min_i32 s38, s7, s39
	v_ashrrev_i32_e32 v9, 31, v8
	v_cmp_gt_i32_e64 s2, s38, v8
	s_sub_i32 s4, s4, s40
	s_delay_alu instid0(VALU_DEP_1)
	s_and_saveexec_b32 s40, s2
	s_cbranch_execz .LBB69_19
; %bb.10:
	s_load_b64 s[0:1], s[0:1], 0x20
	s_ashr_i32 s7, s6, 31
	v_bfe_u32 v5, v0, 2, 3
	s_lshl_b64 s[42:43], s[6:7], 1
	s_sub_i32 s7, s4, s9
	v_cmp_eq_u32_e32 vcc_lo, 0, v1
	v_dual_mov_b32 v10, 0xff7fffff :: v_dual_and_b32 v17, 12, v2
	v_subrev_nc_u32_e32 v18, s15, v5
	v_mul_u32_u24_e32 v6, 40, v1
	v_lshlrev_b64 v[1:2], 2, v[8:9]
	v_lshl_add_u32 v7, v13, 3, s36
	v_xor_b32_e32 v11, 2, v3
	v_xor_b32_e32 v12, 1, v3
	v_lshlrev_b32_e32 v21, 4, v5
	s_waitcnt lgkmcnt(0)
	s_add_u32 s3, s0, s42
	s_addc_u32 s1, s1, s43
	s_abs_i32 s41, s10
	v_cmp_neq_f32_e64 s0, s37, 0
	v_cvt_f32_u32_e32 v4, s41
	s_sub_i32 s42, 0, s41
	s_delay_alu instid0(VALU_DEP_1) | instskip(SKIP_2) | instid1(VALU_DEP_1)
	v_rcp_iflag_f32_e32 v4, v4
	s_waitcnt_depctr 0xfff
	v_dual_mul_f32 v16, 0x4f7ffffe, v4 :: v_dual_lshlrev_b32 v15, 2, v5
	v_lshl_or_b32 v19, v13, 5, v15
	v_dual_mov_b32 v4, 0xff7fffff :: v_dual_add_nc_u32 v15, 1, v18
	s_delay_alu instid0(VALU_DEP_3) | instskip(NEXT) | instid1(VALU_DEP_3)
	v_cvt_u32_f32_e32 v20, v16
	v_add_nc_u32_e32 v16, 0xc0, v19
	v_add_co_u32 v19, s3, s3, v21
	s_delay_alu instid0(VALU_DEP_1) | instskip(NEXT) | instid1(VALU_DEP_4)
	v_add_co_ci_u32_e64 v21, null, s1, 0, s3
	v_mul_lo_u32 v18, s42, v20
	s_lshl_b64 s[42:43], s[30:31], 2
	s_delay_alu instid0(SALU_CYCLE_1) | instskip(SKIP_2) | instid1(VALU_DEP_1)
	s_add_u32 s1, s28, s42
	s_addc_u32 s3, s29, s43
	v_add_co_u32 v1, s1, s1, v1
	v_add_co_ci_u32_e64 v2, s1, s3, v2, s1
	s_delay_alu instid0(VALU_DEP_3) | instskip(SKIP_1) | instid1(VALU_DEP_1)
	v_mul_hi_u32 v22, v20, v18
	v_add_co_u32 v17, s1, v19, v17
	v_add_co_ci_u32_e64 v18, s1, 0, v21, s1
	s_mov_b32 s42, 0
	s_mov_b32 s43, s5
	s_delay_alu instid0(VALU_DEP_3)
	v_add_nc_u32_e32 v19, v20, v22
	v_mov_b32_e32 v20, v8
	s_branch .LBB69_13
.LBB69_11:                              ;   in Loop: Header=BB69_13 Depth=1
	s_or_b32 exec_lo, exec_lo, s44
.LBB69_12:                              ;   in Loop: Header=BB69_13 Depth=1
	s_delay_alu instid0(SALU_CYCLE_1) | instskip(SKIP_2) | instid1(VALU_DEP_1)
	s_or_b32 exec_lo, exec_lo, s3
	v_add_nc_u32_e32 v20, 4, v20
	v_add_co_u32 v1, s3, v1, 16
	v_add_co_ci_u32_e64 v2, s3, 0, v2, s3
	s_delay_alu instid0(VALU_DEP_3) | instskip(SKIP_2) | instid1(VALU_DEP_3)
	v_cmp_le_i32_e64 s1, s38, v20
	v_add_nc_u32_e32 v7, 32, v7
	v_add_nc_u32_e32 v16, 0x80, v16
	s_or_b32 s42, s1, s42
	s_delay_alu instid0(SALU_CYCLE_1)
	s_and_not1_b32 exec_lo, exec_lo, s42
	s_cbranch_execz .LBB69_18
.LBB69_13:                              ; =>This Inner Loop Header: Depth=1
	v_sub_nc_u32_e32 v21, 0, v7
	s_delay_alu instid0(VALU_DEP_1) | instskip(SKIP_1) | instid1(VALU_DEP_1)
	v_max_i32_e32 v21, v7, v21
	s_waitcnt lgkmcnt(0)
	v_mul_hi_u32 v22, v21, s27
	s_delay_alu instid0(VALU_DEP_1) | instskip(NEXT) | instid1(VALU_DEP_1)
	v_mul_lo_u32 v23, v22, s23
	v_sub_nc_u32_e32 v21, v21, v23
	v_add_nc_u32_e32 v23, 1, v22
	s_delay_alu instid0(VALU_DEP_2) | instskip(SKIP_1) | instid1(VALU_DEP_1)
	v_subrev_nc_u32_e32 v24, s23, v21
	v_cmp_le_u32_e64 s1, s23, v21
	v_cndmask_b32_e64 v22, v22, v23, s1
	s_delay_alu instid0(VALU_DEP_3) | instskip(SKIP_1) | instid1(VALU_DEP_3)
	v_cndmask_b32_e64 v21, v21, v24, s1
	v_ashrrev_i32_e32 v23, 31, v7
	v_add_nc_u32_e32 v24, 1, v22
	s_delay_alu instid0(VALU_DEP_3) | instskip(NEXT) | instid1(VALU_DEP_3)
	v_cmp_le_u32_e64 s1, s23, v21
	v_xor_b32_e32 v23, s11, v23
	s_delay_alu instid0(VALU_DEP_2) | instskip(NEXT) | instid1(VALU_DEP_1)
	v_cndmask_b32_e64 v21, v22, v24, s1
	v_xor_b32_e32 v21, v21, v23
	s_delay_alu instid0(VALU_DEP_1) | instskip(NEXT) | instid1(VALU_DEP_1)
	v_sub_nc_u32_e32 v21, v21, v23
	v_add_nc_u32_e32 v22, s33, v21
	v_cmp_ge_i32_e64 s3, s7, v21
	s_delay_alu instid0(VALU_DEP_2) | instskip(NEXT) | instid1(VALU_DEP_1)
	v_sub_nc_u32_e32 v23, 0, v22
	v_max_i32_e32 v23, v22, v23
	v_ashrrev_i32_e32 v22, 31, v22
	s_delay_alu instid0(VALU_DEP_2) | instskip(NEXT) | instid1(VALU_DEP_1)
	v_mul_hi_u32 v24, v23, v19
	v_mul_lo_u32 v24, v24, s41
	s_delay_alu instid0(VALU_DEP_1) | instskip(NEXT) | instid1(VALU_DEP_1)
	v_sub_nc_u32_e32 v23, v23, v24
	v_subrev_nc_u32_e32 v24, s41, v23
	v_cmp_le_u32_e64 s1, s41, v23
	s_delay_alu instid0(VALU_DEP_1) | instskip(NEXT) | instid1(VALU_DEP_1)
	v_cndmask_b32_e64 v23, v23, v24, s1
	v_subrev_nc_u32_e32 v24, s41, v23
	v_cmp_le_u32_e64 s1, s41, v23
	s_delay_alu instid0(VALU_DEP_1) | instskip(NEXT) | instid1(VALU_DEP_1)
	v_cndmask_b32_e64 v23, v23, v24, s1
	v_xor_b32_e32 v23, v23, v22
	s_delay_alu instid0(VALU_DEP_1) | instskip(NEXT) | instid1(VALU_DEP_1)
	v_sub_nc_u32_e32 v22, v23, v22
	v_cmp_ne_u32_e64 s1, 0, v22
	s_delay_alu instid0(VALU_DEP_1) | instskip(NEXT) | instid1(SALU_CYCLE_1)
	s_and_b32 s1, s1, s3
	s_and_b32 s44, vcc_lo, s1
	s_delay_alu instid0(SALU_CYCLE_1)
	s_and_saveexec_b32 s3, s44
	s_cbranch_execz .LBB69_15
; %bb.14:                               ;   in Loop: Header=BB69_13 Depth=1
	ds_store_b32 v16, v10
.LBB69_15:                              ;   in Loop: Header=BB69_13 Depth=1
	s_or_b32 exec_lo, exec_lo, s3
	s_xor_b32 s1, s1, -1
	s_delay_alu instid0(SALU_CYCLE_1)
	s_and_saveexec_b32 s3, s1
	s_cbranch_execz .LBB69_12
; %bb.16:                               ;   in Loop: Header=BB69_13 Depth=1
	global_load_b32 v23, v[1:2], off
	s_waitcnt vmcnt(0)
	v_mad_i64_i32 v[21:22], null, v23, s43, 0
	s_delay_alu instid0(VALU_DEP_1) | instskip(NEXT) | instid1(VALU_DEP_1)
	v_lshlrev_b64 v[21:22], 1, v[21:22]
	v_add_co_u32 v21, s1, v17, v21
	s_delay_alu instid0(VALU_DEP_1)
	v_add_co_ci_u32_e64 v22, s1, v18, v22, s1
	v_cmp_gt_i32_e64 s1, 32, v11
	s_clause 0x9
	global_load_b32 v23, v[21:22], off
	global_load_b32 v24, v[21:22], off offset:128
	global_load_b32 v25, v[21:22], off offset:256
	global_load_b32 v26, v[21:22], off offset:384
	global_load_b32 v27, v[21:22], off offset:512
	global_load_b32 v28, v[21:22], off offset:640
	global_load_b32 v29, v[21:22], off offset:768
	global_load_b32 v30, v[21:22], off offset:896
	global_load_b32 v31, v[21:22], off offset:1024
	global_load_b32 v21, v[21:22], off offset:1152
	ds_load_b32 v22, v6
	s_waitcnt lgkmcnt(0)
	v_and_b32_e32 v32, 0xffff, v22
	v_lshrrev_b32_e32 v22, 16, v22
	;;#ASMSTART
	v_cvt_f32_f16 v32, v32;
	;;#ASMEND
	;;#ASMSTART
	v_cvt_f32_f16 v22, v22;
	;;#ASMEND
	s_waitcnt vmcnt(9)
	v_and_b32_e32 v33, 0xffff, v23
	v_lshrrev_b32_e32 v23, 16, v23
	;;#ASMSTART
	v_cvt_f32_f16 v33, v33;
	;;#ASMEND
	;;#ASMSTART
	v_cvt_f32_f16 v23, v23;
	;;#ASMEND
	ds_load_b32 v34, v6 offset:4
	s_waitcnt vmcnt(8)
	v_and_b32_e32 v36, 0xffff, v24
	v_lshrrev_b32_e32 v24, 16, v24
	s_waitcnt vmcnt(7)
	v_and_b32_e32 v39, 0xffff, v25
	v_lshrrev_b32_e32 v25, 16, v25
	;; [unrolled: 3-line block ×4, first 2 shown]
	s_waitcnt lgkmcnt(0)
	v_and_b32_e32 v35, 0xffff, v34
	v_lshrrev_b32_e32 v34, 16, v34
	;;#ASMSTART
	v_cvt_f32_f16 v35, v35;
	;;#ASMEND
	;;#ASMSTART
	v_cvt_f32_f16 v34, v34;
	;;#ASMEND
	;; [unrolled: 3-line block ×4, first 2 shown]
	ds_load_b32 v37, v6 offset:8
	v_mul_f32_e32 v35, v35, v36
	s_delay_alu instid0(VALU_DEP_1) | instskip(NEXT) | instid1(VALU_DEP_1)
	v_dual_mul_f32 v24, v34, v24 :: v_dual_fmac_f32 v35, v32, v33
	v_fmac_f32_e32 v24, v22, v23
	s_waitcnt vmcnt(1)
	v_lshrrev_b32_e32 v22, 16, v31
	v_and_b32_e32 v31, 0xffff, v31
	s_waitcnt lgkmcnt(0)
	v_and_b32_e32 v38, 0xffff, v37
	v_lshrrev_b32_e32 v37, 16, v37
	;;#ASMSTART
	v_cvt_f32_f16 v38, v38;
	;;#ASMEND
	;;#ASMSTART
	v_cvt_f32_f16 v37, v37;
	;;#ASMEND
	;; [unrolled: 3-line block ×4, first 2 shown]
	ds_load_b32 v40, v6 offset:12
	v_dual_fmac_f32 v35, v38, v39 :: v_dual_and_b32 v42, 0xffff, v26
	v_lshrrev_b32_e32 v26, 16, v26
	s_waitcnt lgkmcnt(0)
	v_dual_fmac_f32 v24, v37, v25 :: v_dual_and_b32 v41, 0xffff, v40
	v_lshrrev_b32_e32 v40, 16, v40
	;;#ASMSTART
	v_cvt_f32_f16 v41, v41;
	;;#ASMEND
	;;#ASMSTART
	v_cvt_f32_f16 v40, v40;
	;;#ASMEND
	;; [unrolled: 3-line block ×4, first 2 shown]
	ds_load_b32 v43, v6 offset:16
	v_fmac_f32_e32 v35, v41, v42
	v_fmac_f32_e32 v24, v40, v26
	s_waitcnt lgkmcnt(0)
	v_and_b32_e32 v44, 0xffff, v43
	v_lshrrev_b32_e32 v43, 16, v43
	;;#ASMSTART
	v_cvt_f32_f16 v44, v44;
	;;#ASMEND
	;;#ASMSTART
	v_cvt_f32_f16 v43, v43;
	;;#ASMEND
	;; [unrolled: 3-line block ×4, first 2 shown]
	ds_load_b32 v46, v6 offset:20
	v_dual_fmac_f32 v35, v44, v45 :: v_dual_and_b32 v48, 0xffff, v28
	v_lshrrev_b32_e32 v28, 16, v28
	v_fmac_f32_e32 v24, v43, v27
	v_cndmask_b32_e64 v27, v3, v11, s1
	v_cmp_gt_i32_e64 s1, 32, v12
	s_waitcnt lgkmcnt(0)
	v_and_b32_e32 v47, 0xffff, v46
	v_lshrrev_b32_e32 v46, 16, v46
	;;#ASMSTART
	v_cvt_f32_f16 v47, v47;
	;;#ASMEND
	;;#ASMSTART
	v_cvt_f32_f16 v46, v46;
	;;#ASMEND
	;; [unrolled: 3-line block ×4, first 2 shown]
	ds_load_b32 v49, v6 offset:24
	v_fmac_f32_e32 v35, v47, v48
	v_fmac_f32_e32 v24, v46, v28
	s_waitcnt vmcnt(0)
	v_lshrrev_b32_e32 v28, 16, v21
	v_and_b32_e32 v21, 0xffff, v21
	s_waitcnt lgkmcnt(0)
	v_and_b32_e32 v50, 0xffff, v49
	v_lshrrev_b32_e32 v49, 16, v49
	;;#ASMSTART
	v_cvt_f32_f16 v50, v50;
	;;#ASMEND
	;;#ASMSTART
	v_cvt_f32_f16 v49, v49;
	;;#ASMEND
	;;#ASMSTART
	v_cvt_f32_f16 v51, v51;
	;;#ASMEND
	;;#ASMSTART
	v_cvt_f32_f16 v29, v29;
	;;#ASMEND
	ds_load_b32 v52, v6 offset:28
	v_dual_fmac_f32 v35, v50, v51 :: v_dual_and_b32 v54, 0xffff, v30
	v_lshrrev_b32_e32 v30, 16, v30
	s_waitcnt lgkmcnt(0)
	v_dual_fmac_f32 v24, v49, v29 :: v_dual_and_b32 v53, 0xffff, v52
	v_lshrrev_b32_e32 v52, 16, v52
	;;#ASMSTART
	v_cvt_f32_f16 v53, v53;
	;;#ASMEND
	;;#ASMSTART
	v_cvt_f32_f16 v52, v52;
	;;#ASMEND
	;; [unrolled: 3-line block ×4, first 2 shown]
	ds_load_b32 v55, v6 offset:32
	v_fmac_f32_e32 v24, v52, v30
	v_fmac_f32_e32 v35, v53, v54
	s_waitcnt lgkmcnt(0)
	v_and_b32_e32 v23, 0xffff, v55
	v_lshrrev_b32_e32 v25, 16, v55
	;;#ASMSTART
	v_cvt_f32_f16 v23, v23;
	;;#ASMEND
	;;#ASMSTART
	v_cvt_f32_f16 v25, v25;
	;;#ASMEND
	;; [unrolled: 3-line block ×4, first 2 shown]
	v_fmac_f32_e32 v24, v25, v22
	ds_load_b32 v31, v6 offset:36
	v_fmac_f32_e32 v35, v23, v26
	s_waitcnt lgkmcnt(0)
	v_and_b32_e32 v29, 0xffff, v31
	v_lshrrev_b32_e32 v30, 16, v31
	;;#ASMSTART
	v_cvt_f32_f16 v22, v29;
	;;#ASMEND
	;;#ASMSTART
	v_cvt_f32_f16 v23, v30;
	;;#ASMEND
	;; [unrolled: 3-line block ×4, first 2 shown]
	v_fmac_f32_e32 v35, v22, v21
	v_dual_fmac_f32 v24, v23, v25 :: v_dual_lshlrev_b32 v21, 2, v27
	v_cndmask_b32_e64 v23, v3, v12, s1
	s_delay_alu instid0(VALU_DEP_2)
	v_add_f32_e32 v22, v35, v24
	ds_bpermute_b32 v21, v21, v22
	s_waitcnt lgkmcnt(0)
	v_dual_add_f32 v21, v22, v21 :: v_dual_lshlrev_b32 v22, 2, v23
	ds_bpermute_b32 v22, v22, v21
	s_and_saveexec_b32 s44, vcc_lo
	s_cbranch_execz .LBB69_11
; %bb.17:                               ;   in Loop: Header=BB69_13 Depth=1
	s_waitcnt lgkmcnt(0)
	v_add_f32_e32 v21, v21, v22
	v_add_nc_u32_e32 v23, v15, v7
	s_delay_alu instid0(VALU_DEP_1) | instskip(NEXT) | instid1(VALU_DEP_1)
	v_cvt_f32_i32_e32 v23, v23
	v_mul_f32_e32 v23, s37, v23
	s_delay_alu instid0(VALU_DEP_1) | instskip(NEXT) | instid1(VALU_DEP_1)
	v_cndmask_b32_e64 v22, 0, v23, s0
	v_dual_max_f32 v23, v4, v4 :: v_dual_fmac_f32 v22, s13, v21
	v_add_nc_u32_e32 v21, v5, v7
	s_delay_alu instid0(VALU_DEP_2) | instskip(NEXT) | instid1(VALU_DEP_2)
	v_max_f32_e32 v23, v23, v22
	v_cmp_gt_i32_e64 s1, s15, v21
	s_delay_alu instid0(VALU_DEP_1) | instskip(NEXT) | instid1(VALU_DEP_3)
	v_cndmask_b32_e64 v21, 0, v22, s1
	v_cndmask_b32_e64 v4, v4, v23, s1
	ds_store_b32 v16, v21
	s_branch .LBB69_11
.LBB69_18:
	s_or_b32 exec_lo, exec_lo, s42
.LBB69_19:
	s_delay_alu instid0(SALU_CYCLE_1) | instskip(SKIP_4) | instid1(VALU_DEP_4)
	s_or_b32 exec_lo, exec_lo, s40
	v_xor_b32_e32 v1, 16, v3
	v_xor_b32_e32 v5, 8, v3
	v_max_f32_e32 v6, v4, v4
	v_and_b32_e32 v15, 31, v0
	v_cmp_gt_i32_e32 vcc_lo, 32, v1
	v_cndmask_b32_e32 v1, v3, v1, vcc_lo
	v_cmp_gt_i32_e32 vcc_lo, 32, v5
	s_delay_alu instid0(VALU_DEP_2) | instskip(SKIP_3) | instid1(VALU_DEP_1)
	v_lshlrev_b32_e32 v2, 2, v1
	ds_bpermute_b32 v1, v2, v4
	v_cndmask_b32_e32 v4, v3, v5, vcc_lo
	s_waitcnt lgkmcnt(0)
	v_dual_max_f32 v1, v1, v1 :: v_dual_lshlrev_b32 v4, 2, v4
	s_delay_alu instid0(VALU_DEP_1) | instskip(SKIP_1) | instid1(VALU_DEP_1)
	v_max_f32_e32 v1, v6, v1
	v_xor_b32_e32 v6, 4, v3
	v_cmp_gt_i32_e32 vcc_lo, 32, v6
	v_cndmask_b32_e32 v6, v3, v6, vcc_lo
	ds_bpermute_b32 v5, v4, v1
	v_cmp_eq_u32_e32 vcc_lo, 0, v15
	s_waitcnt lgkmcnt(0)
	v_dual_max_f32 v5, v5, v5 :: v_dual_lshlrev_b32 v6, 2, v6
	s_delay_alu instid0(VALU_DEP_1)
	v_max_f32_e32 v1, v1, v5
	v_lshlrev_b32_e32 v5, 2, v13
	ds_bpermute_b32 v7, v6, v1
	s_and_saveexec_b32 s0, vcc_lo
	s_cbranch_execz .LBB69_21
; %bb.20:
	s_waitcnt lgkmcnt(0)
	v_max_f32_e32 v7, v7, v7
	v_max_f32_e32 v1, v1, v1
	s_delay_alu instid0(VALU_DEP_1)
	v_max_f32_e32 v1, v1, v7
	ds_store_b32 v5, v1 offset:160
.LBB69_21:
	s_or_b32 exec_lo, exec_lo, s0
	v_cmp_gt_u32_e64 s0, 4, v15
	v_dual_mov_b32 v1, 0xff7fffff :: v_dual_lshlrev_b32 v16, 2, v15
	s_waitcnt lgkmcnt(0)
	s_barrier
	buffer_gl0_inv
	s_and_saveexec_b32 s1, s0
	s_cbranch_execz .LBB69_23
; %bb.22:
	ds_load_b32 v1, v16 offset:160
.LBB69_23:
	s_or_b32 exec_lo, exec_lo, s1
	v_xor_b32_e32 v7, 2, v3
	v_xor_b32_e32 v11, 1, v3
	s_delay_alu instid0(VALU_DEP_2) | instskip(NEXT) | instid1(VALU_DEP_1)
	v_cmp_gt_i32_e64 s1, 32, v7
	v_cndmask_b32_e64 v7, v3, v7, s1
	s_delay_alu instid0(VALU_DEP_3) | instskip(NEXT) | instid1(VALU_DEP_2)
	v_cmp_gt_i32_e64 s1, 32, v11
	v_lshlrev_b32_e32 v7, 2, v7
	s_delay_alu instid0(VALU_DEP_2) | instskip(SKIP_1) | instid1(SALU_CYCLE_1)
	v_cndmask_b32_e64 v3, v3, v11, s1
	s_sub_i32 s1, s38, s12
	s_lshl_b32 s1, s1, 3
	s_waitcnt lgkmcnt(0)
	ds_bpermute_b32 v10, v7, v1
	v_max_f32_e32 v1, v1, v1
	s_add_i32 s1, s1, s36
	s_delay_alu instid0(SALU_CYCLE_1) | instskip(NEXT) | instid1(SALU_CYCLE_1)
	s_min_i32 s1, s1, s15
	s_sub_i32 s7, s1, s36
	s_delay_alu instid0(SALU_CYCLE_1) | instskip(SKIP_2) | instid1(VALU_DEP_1)
	v_cmp_gt_i32_e64 s1, s7, v0
	s_waitcnt lgkmcnt(0)
	v_dual_max_f32 v11, v10, v10 :: v_dual_lshlrev_b32 v10, 2, v3
	v_max_f32_e32 v1, v1, v11
	v_mov_b32_e32 v11, 0
	ds_bpermute_b32 v3, v10, v1
	s_waitcnt lgkmcnt(0)
	v_max_f32_e32 v3, v3, v3
	s_delay_alu instid0(VALU_DEP_1)
	v_max_f32_e32 v1, v1, v3
	v_lshl_add_u32 v3, v0, 2, 0xc0
	ds_bpermute_b32 v1, v11, v1
	s_and_saveexec_b32 s12, s1
	s_cbranch_execz .LBB69_27
; %bb.24:
	v_lshl_add_u32 v12, v0, 2, 0xc0
	v_mov_b32_e32 v11, 0
	v_mov_b32_e32 v17, v0
	s_mov_b32 s13, 0
	.p2align	6
.LBB69_25:                              ; =>This Inner Loop Header: Depth=1
	ds_load_b32 v18, v12
	v_add_nc_u32_e32 v17, 0x80, v17
	s_delay_alu instid0(VALU_DEP_1) | instskip(NEXT) | instid1(VALU_DEP_1)
	v_cmp_le_i32_e64 s3, s7, v17
	s_or_b32 s13, s3, s13
	s_waitcnt lgkmcnt(0)
	v_sub_f32_e32 v18, v18, v1
	s_delay_alu instid0(VALU_DEP_1) | instskip(NEXT) | instid1(VALU_DEP_1)
	v_mul_f32_e32 v18, 0x3fb8aa3b, v18
	v_exp_f32_e32 v18, v18
	ds_store_b32 v12, v18
	v_dual_add_f32 v11, v11, v18 :: v_dual_add_nc_u32 v12, 0x200, v12
	s_and_not1_b32 exec_lo, exec_lo, s13
	s_cbranch_execnz .LBB69_25
; %bb.26:
	s_or_b32 exec_lo, exec_lo, s13
.LBB69_27:
	s_delay_alu instid0(SALU_CYCLE_1)
	s_or_b32 exec_lo, exec_lo, s12
	ds_bpermute_b32 v2, v2, v11
	s_waitcnt lgkmcnt(0)
	v_add_f32_e32 v2, v11, v2
	ds_bpermute_b32 v4, v4, v2
	s_waitcnt lgkmcnt(0)
	v_add_f32_e32 v2, v2, v4
	;; [unrolled: 3-line block ×5, first 2 shown]
	s_and_saveexec_b32 s3, vcc_lo
	s_cbranch_execz .LBB69_29
; %bb.28:
	ds_store_b32 v5, v2 offset:176
.LBB69_29:
	s_or_b32 exec_lo, exec_lo, s3
	s_waitcnt lgkmcnt(0)
	s_barrier
	buffer_gl0_inv
	s_and_saveexec_b32 s3, s0
	s_cbranch_execz .LBB69_31
; %bb.30:
	ds_load_b32 v2, v16 offset:176
.LBB69_31:
	s_or_b32 exec_lo, exec_lo, s3
	s_waitcnt lgkmcnt(0)
	ds_bpermute_b32 v4, v7, v2
	s_waitcnt lgkmcnt(0)
	v_add_f32_e32 v2, v2, v4
	ds_bpermute_b32 v4, v10, v2
	s_waitcnt lgkmcnt(0)
	v_add_f32_e32 v2, v2, v4
	v_mov_b32_e32 v4, 0
	ds_bpermute_b32 v2, v4, v2
	s_and_saveexec_b32 s0, s1
	s_cbranch_execz .LBB69_34
; %bb.32:
	s_waitcnt lgkmcnt(0)
	v_add_f32_e32 v4, 0x358637bd, v2
	s_mov_b32 s1, 0
	s_delay_alu instid0(VALU_DEP_1) | instskip(SKIP_1) | instid1(VALU_DEP_2)
	v_div_scale_f32 v5, null, v4, v4, 1.0
	v_div_scale_f32 v10, vcc_lo, 1.0, v4, 1.0
	v_rcp_f32_e32 v6, v5
	s_waitcnt_depctr 0xfff
	v_fma_f32 v7, -v5, v6, 1.0
	s_delay_alu instid0(VALU_DEP_1) | instskip(NEXT) | instid1(VALU_DEP_1)
	v_fmac_f32_e32 v6, v7, v6
	v_mul_f32_e32 v7, v10, v6
	s_delay_alu instid0(VALU_DEP_1) | instskip(NEXT) | instid1(VALU_DEP_1)
	v_fma_f32 v11, -v5, v7, v10
	v_fmac_f32_e32 v7, v11, v6
	s_delay_alu instid0(VALU_DEP_1) | instskip(NEXT) | instid1(VALU_DEP_1)
	v_fma_f32 v5, -v5, v7, v10
	v_div_fmas_f32 v5, v5, v6, v7
	s_delay_alu instid0(VALU_DEP_1)
	v_div_fixup_f32 v4, v5, v4, 1.0
	v_mov_b32_e32 v5, v0
.LBB69_33:                              ; =>This Inner Loop Header: Depth=1
	ds_load_b32 v6, v3
	s_waitcnt lgkmcnt(0)
	v_dual_mul_f32 v6, v4, v6 :: v_dual_add_nc_u32 v5, 0x80, v5
	s_delay_alu instid0(VALU_DEP_1) | instskip(SKIP_3) | instid1(SALU_CYCLE_1)
	v_cmp_le_i32_e32 vcc_lo, s7, v5
	ds_store_b32 v3, v6
	v_add_nc_u32_e32 v3, 0x200, v3
	s_or_b32 s1, vcc_lo, s1
	s_and_not1_b32 exec_lo, exec_lo, s1
	s_cbranch_execnz .LBB69_33
.LBB69_34:
	s_or_b32 exec_lo, exec_lo, s0
	s_mul_i32 s0, s8, s14
	s_mov_b32 s12, 0
	s_mul_i32 s36, s0, s21
	s_mov_b32 s0, exec_lo
	s_waitcnt lgkmcnt(0)
	s_barrier
	buffer_gl0_inv
	v_cmpx_eq_u32_e32 0, v0
	s_cbranch_execz .LBB69_36
; %bb.35:
	s_ashr_i32 s37, s36, 31
	s_mul_i32 s42, s8, s26
	s_lshl_b64 s[40:41], s[36:37], 2
	v_mov_b32_e32 v3, 0
	s_add_u32 s1, s18, s40
	s_addc_u32 s3, s19, s41
	s_ashr_i32 s43, s42, 31
	s_delay_alu instid0(SALU_CYCLE_1) | instskip(NEXT) | instid1(SALU_CYCLE_1)
	s_lshl_b64 s[18:19], s[42:43], 2
	s_add_u32 s1, s1, s18
	s_addc_u32 s3, s3, s19
	s_ashr_i32 s21, s20, 31
	s_delay_alu instid0(SALU_CYCLE_1) | instskip(NEXT) | instid1(SALU_CYCLE_1)
	s_lshl_b64 s[42:43], s[20:21], 2
	s_add_u32 s44, s1, s42
	s_addc_u32 s45, s3, s43
	s_add_u32 s1, s16, s40
	s_addc_u32 s3, s17, s41
	;; [unrolled: 2-line block ×4, first 2 shown]
	s_clause 0x1
	global_store_b32 v3, v1, s[44:45]
	global_store_b32 v3, v2, s[16:17]
.LBB69_36:
	s_or_b32 exec_lo, exec_lo, s0
	s_mov_b32 s13, s12
	s_mov_b32 s14, s12
	v_dual_mov_b32 v5, s12 :: v_dual_mov_b32 v6, s13
	v_mov_b32_e32 v7, s14
	v_or_b32_e32 v17, 64, v15
	s_and_saveexec_b32 s3, s2
	s_cbranch_execz .LBB69_50
; %bb.37:
	s_ashr_i32 s7, s6, 31
	s_sub_i32 s2, s4, s9
	s_lshl_b64 s[0:1], s[6:7], 1
	s_mov_b32 s4, 0
	s_add_u32 s7, s34, s0
	s_addc_u32 s9, s35, s1
	s_abs_i32 s10, s10
	s_mov_b32 s12, s5
	v_cvt_f32_u32_e32 v1, s10
	s_sub_i32 s0, 0, s10
	s_mov_b32 s5, s4
	s_mov_b32 s6, s4
	v_lshlrev_b32_e32 v3, 3, v15
	v_rcp_iflag_f32_e32 v1, v1
	v_dual_mov_b32 v7, s6 :: v_dual_lshlrev_b32 v4, 3, v17
	s_add_i32 s39, s39, -1
	v_cmp_gt_u32_e32 vcc_lo, 0x50, v17
	v_lshl_add_u32 v18, v13, 5, 0xc0
	v_dual_mov_b32 v6, s5 :: v_dual_mov_b32 v5, s4
	v_lshlrev_b32_e32 v19, 1, v3
	v_lshlrev_b32_e32 v21, 1, v4
	s_delay_alu instid0(TRANS32_DEP_1)
	v_mul_f32_e32 v1, 0x4f7ffffe, v1
	s_mov_b32 s13, s15
	s_mov_b32 s14, s15
	;; [unrolled: 1-line block ×4, first 2 shown]
	v_cvt_u32_f32_e32 v11, v1
	v_lshlrev_b64 v[1:2], 2, v[8:9]
	s_mov_b32 s5, s15
	s_mov_b32 s6, s15
	;; [unrolled: 1-line block ×3, first 2 shown]
	v_mul_lo_u32 v10, s0, v11
	s_lshl_b64 s[0:1], s[30:31], 2
	s_delay_alu instid0(SALU_CYCLE_1) | instskip(SKIP_2) | instid1(VALU_DEP_2)
	s_add_u32 s0, s28, s0
	s_addc_u32 s1, s29, s1
	v_add_co_u32 v9, s0, s0, v1
	v_mul_hi_u32 v12, v11, v10
	v_add_co_ci_u32_e64 v10, s0, s1, v2, s0
	s_delay_alu instid0(VALU_DEP_2)
	v_add_nc_u32_e32 v20, v11, v12
	s_branch .LBB69_41
.LBB69_38:                              ;   in Loop: Header=BB69_41 Depth=1
	s_or_b32 exec_lo, exec_lo, s1
	s_waitcnt vmcnt(0)
	;;#ASMSTART
	v_pk_mul_f16 v1, v27, v1;

	;;#ASMEND
	;;#ASMSTART
	v_pk_mul_f16 v2, v26, v2;

	;;#ASMEND
	;;#ASMSTART
	v_pk_mul_f16 v3, v25, v3;

	;;#ASMEND
	;;#ASMSTART
	v_pk_mul_f16 v4, v24, v4;

	;;#ASMEND
	;;#ASMSTART
	v_pk_add_f16 v1, v1, v2;

	;;#ASMEND
	;;#ASMSTART
	v_pk_add_f16 v1, v1, v3;

	;;#ASMEND
	;; [unrolled: 4-line block ×3, first 2 shown]
	v_and_b32_e32 v2, 0xffff, v1
	v_lshrrev_b32_e32 v1, 16, v1
	;;#ASMSTART
	v_cvt_f32_f16 v2, v2;
	;;#ASMEND
	;;#ASMSTART
	v_cvt_f32_f16 v1, v1;
	;;#ASMEND
	s_delay_alu instid0(VALU_DEP_1) | instskip(NEXT) | instid1(VALU_DEP_1)
	v_add_f32_e32 v1, v2, v1
	v_add_f32_e32 v7, v7, v1
.LBB69_39:                              ;   in Loop: Header=BB69_41 Depth=1
	s_or_b32 exec_lo, exec_lo, s21
.LBB69_40:                              ;   in Loop: Header=BB69_41 Depth=1
	s_delay_alu instid0(SALU_CYCLE_1) | instskip(SKIP_2) | instid1(VALU_DEP_1)
	s_or_b32 exec_lo, exec_lo, s19
	v_add_nc_u32_e32 v8, 4, v8
	v_add_co_u32 v9, s1, v9, 16
	v_add_co_ci_u32_e64 v10, s1, 0, v10, s1
	s_delay_alu instid0(VALU_DEP_3) | instskip(SKIP_2) | instid1(VALU_DEP_3)
	v_cmp_le_i32_e64 s0, s38, v8
	v_add_nc_u32_e32 v14, 32, v14
	v_add_nc_u32_e32 v18, 0x80, v18
	s_or_b32 s4, s0, s4
	s_delay_alu instid0(SALU_CYCLE_1)
	s_and_not1_b32 exec_lo, exec_lo, s4
	s_cbranch_execz .LBB69_49
.LBB69_41:                              ; =>This Inner Loop Header: Depth=1
	v_sub_nc_u32_e32 v1, 0, v14
	s_delay_alu instid0(VALU_DEP_1) | instskip(NEXT) | instid1(VALU_DEP_1)
	v_max_i32_e32 v1, v14, v1
	v_mul_hi_u32 v2, v1, s27
	s_delay_alu instid0(VALU_DEP_1) | instskip(NEXT) | instid1(VALU_DEP_1)
	v_mul_lo_u32 v3, v2, s23
	v_sub_nc_u32_e32 v1, v1, v3
	v_add_nc_u32_e32 v3, 1, v2
	s_delay_alu instid0(VALU_DEP_2) | instskip(SKIP_1) | instid1(VALU_DEP_1)
	v_subrev_nc_u32_e32 v4, s23, v1
	v_cmp_le_u32_e64 s0, s23, v1
	v_cndmask_b32_e64 v2, v2, v3, s0
	s_delay_alu instid0(VALU_DEP_3) | instskip(SKIP_1) | instid1(VALU_DEP_3)
	v_cndmask_b32_e64 v1, v1, v4, s0
	v_ashrrev_i32_e32 v3, 31, v14
	v_add_nc_u32_e32 v4, 1, v2
	s_delay_alu instid0(VALU_DEP_3) | instskip(NEXT) | instid1(VALU_DEP_3)
	v_cmp_le_u32_e64 s0, s23, v1
	v_xor_b32_e32 v3, s11, v3
	s_delay_alu instid0(VALU_DEP_2) | instskip(NEXT) | instid1(VALU_DEP_1)
	v_cndmask_b32_e64 v1, v2, v4, s0
	v_xor_b32_e32 v1, v1, v3
	s_delay_alu instid0(VALU_DEP_1) | instskip(NEXT) | instid1(VALU_DEP_1)
	v_sub_nc_u32_e32 v1, v1, v3
	v_add_nc_u32_e32 v2, s33, v1
	v_cmp_lt_i32_e64 s1, s2, v1
	s_delay_alu instid0(VALU_DEP_2) | instskip(NEXT) | instid1(VALU_DEP_1)
	v_sub_nc_u32_e32 v3, 0, v2
	v_max_i32_e32 v3, v2, v3
	v_ashrrev_i32_e32 v2, 31, v2
	s_delay_alu instid0(VALU_DEP_2) | instskip(NEXT) | instid1(VALU_DEP_1)
	v_mul_hi_u32 v4, v3, v20
	v_mul_lo_u32 v4, v4, s10
	s_delay_alu instid0(VALU_DEP_1) | instskip(NEXT) | instid1(VALU_DEP_1)
	v_sub_nc_u32_e32 v3, v3, v4
	v_subrev_nc_u32_e32 v4, s10, v3
	v_cmp_le_u32_e64 s0, s10, v3
	s_delay_alu instid0(VALU_DEP_1) | instskip(NEXT) | instid1(VALU_DEP_1)
	v_cndmask_b32_e64 v3, v3, v4, s0
	v_subrev_nc_u32_e32 v4, s10, v3
	v_cmp_le_u32_e64 s0, s10, v3
	s_delay_alu instid0(VALU_DEP_1) | instskip(NEXT) | instid1(VALU_DEP_1)
	v_cndmask_b32_e64 v3, v3, v4, s0
	v_xor_b32_e32 v3, v3, v2
	s_delay_alu instid0(VALU_DEP_1) | instskip(NEXT) | instid1(VALU_DEP_1)
	v_sub_nc_u32_e32 v2, v3, v2
	v_cmp_eq_u32_e64 s0, 0, v2
	s_delay_alu instid0(VALU_DEP_1) | instskip(NEXT) | instid1(SALU_CYCLE_1)
	s_or_b32 s0, s0, s1
	s_and_saveexec_b32 s19, s0
	s_cbranch_execz .LBB69_40
; %bb.42:                               ;   in Loop: Header=BB69_41 Depth=1
	global_load_b32 v22, v[9:10], off
	ds_load_2addr_b64 v[1:4], v18 offset1:1
	ds_load_2addr_b64 v[30:33], v18 offset0:2 offset1:3
	s_waitcnt lgkmcnt(1)
	;;#ASMSTART
	v_cvt_f16_f32 v26, v1;

	;;#ASMEND
	;;#ASMSTART
	v_cvt_f16_f32 v24, v2;

	;;#ASMEND
	;; [unrolled: 4-line block ×4, first 2 shown]
	s_waitcnt lgkmcnt(0)
	;;#ASMSTART
	v_cvt_f16_f32 v30, v30;

	;;#ASMEND
	;;#ASMSTART
	v_cvt_f16_f32 v28, v31;

	;;#ASMEND
	;; [unrolled: 4-line block ×4, first 2 shown]
	s_waitcnt vmcnt(0)
	v_mad_i64_i32 v[11:12], null, v22, s12, 0
	s_delay_alu instid0(VALU_DEP_1) | instskip(NEXT) | instid1(VALU_DEP_1)
	v_lshlrev_b64 v[11:12], 1, v[11:12]
	v_add_co_u32 v22, s0, s7, v11
	s_delay_alu instid0(VALU_DEP_1) | instskip(NEXT) | instid1(VALU_DEP_2)
	v_add_co_ci_u32_e64 v23, s0, s9, v12, s0
	v_add_co_u32 v11, s0, v22, v19
	s_delay_alu instid0(VALU_DEP_1)
	v_add_co_ci_u32_e64 v12, s0, 0, v23, s0
	v_cmp_eq_u32_e64 s0, s39, v8
	global_load_b128 v[1:4], v[11:12], off
	s_and_saveexec_b32 s21, s0
	s_cbranch_execz .LBB69_44
; %bb.43:                               ;   in Loop: Header=BB69_41 Depth=1
	v_or_b32_e32 v36, 7, v14
	s_waitcnt vmcnt(0)
	v_lshrrev_b32_e32 v37, 16, v4
	v_or_b32_e32 v38, 6, v14
	v_or_b32_e32 v35, 5, v14
	;; [unrolled: 1-line block ×3, first 2 shown]
	v_cmp_gt_i32_e64 s1, s18, v36
	v_lshrrev_b32_e32 v40, 16, v3
	v_or_b32_e32 v33, 3, v14
	v_or_b32_e32 v34, 2, v14
	v_add_nc_u32_e32 v32, 1, v14
	v_cndmask_b32_e64 v36, 0, v37, s1
	v_cmp_gt_i32_e64 s1, s6, v38
	v_lshrrev_b32_e32 v37, 16, v2
	v_lshrrev_b32_e32 v38, 16, v1
	s_delay_alu instid0(VALU_DEP_3) | instskip(SKIP_1) | instid1(VALU_DEP_2)
	v_cndmask_b32_e64 v4, 0, v4, s1
	v_cmp_gt_i32_e64 s1, s5, v35
	v_perm_b32 v4, v36, v4, 0x5040100
	s_delay_alu instid0(VALU_DEP_2) | instskip(SKIP_1) | instid1(VALU_DEP_1)
	v_cndmask_b32_e64 v35, 0, v40, s1
	v_cmp_gt_i32_e64 s1, s17, v39
	v_cndmask_b32_e64 v3, 0, v3, s1
	v_cmp_gt_i32_e64 s1, s16, v33
	s_delay_alu instid0(VALU_DEP_2) | instskip(NEXT) | instid1(VALU_DEP_2)
	v_perm_b32 v3, v35, v3, 0x5040100
	v_cndmask_b32_e64 v33, 0, v37, s1
	v_cmp_gt_i32_e64 s1, s14, v34
	s_delay_alu instid0(VALU_DEP_1) | instskip(SKIP_1) | instid1(VALU_DEP_2)
	v_cndmask_b32_e64 v2, 0, v2, s1
	v_cmp_gt_i32_e64 s1, s13, v32
	v_perm_b32 v2, v33, v2, 0x5040100
	s_delay_alu instid0(VALU_DEP_2) | instskip(SKIP_1) | instid1(VALU_DEP_1)
	v_cndmask_b32_e64 v32, 0, v38, s1
	v_cmp_gt_i32_e64 s1, s15, v14
	v_cndmask_b32_e64 v1, 0, v1, s1
	s_delay_alu instid0(VALU_DEP_1)
	v_perm_b32 v1, v32, v1, 0x5040100
.LBB69_44:                              ;   in Loop: Header=BB69_41 Depth=1
	s_or_b32 exec_lo, exec_lo, s21
	v_and_b32_e32 v26, 0xffff, v26
	v_and_b32_e32 v32, 0xffff, v27
	;; [unrolled: 1-line block ×4, first 2 shown]
	s_delay_alu instid0(VALU_DEP_4)
	v_lshl_or_b32 v27, v24, 16, v26
	s_waitcnt vmcnt(0)
	;;#ASMSTART
	v_pk_mul_f16 v1, v27, v1;

	;;#ASMEND
	v_lshl_or_b32 v26, v25, 16, v32
	v_lshl_or_b32 v25, v28, 16, v30
	;; [unrolled: 1-line block ×3, first 2 shown]
	;;#ASMSTART
	v_pk_mul_f16 v2, v26, v2;

	;;#ASMEND
	;;#ASMSTART
	v_pk_mul_f16 v3, v25, v3;

	;;#ASMEND
	;; [unrolled: 4-line block ×3, first 2 shown]
	;;#ASMSTART
	v_pk_add_f16 v1, v1, v2;

	;;#ASMEND
	;;#ASMSTART
	v_pk_add_f16 v1, v1, v3;

	;;#ASMEND
	;; [unrolled: 4-line block ×3, first 2 shown]
	v_and_b32_e32 v2, 0xffff, v1
	v_lshrrev_b32_e32 v1, 16, v1
	;;#ASMSTART
	v_cvt_f32_f16 v28, v2;
	;;#ASMEND
	;;#ASMSTART
	v_cvt_f32_f16 v29, v1;
	;;#ASMEND
	global_load_b128 v[1:4], v[11:12], off offset:512
	s_and_saveexec_b32 s21, s0
	s_cbranch_execz .LBB69_46
; %bb.45:                               ;   in Loop: Header=BB69_41 Depth=1
	v_or_b32_e32 v32, 7, v14
	s_waitcnt vmcnt(0)
	v_lshrrev_b32_e32 v33, 16, v4
	v_or_b32_e32 v34, 6, v14
	v_or_b32_e32 v31, 5, v14
	;; [unrolled: 1-line block ×3, first 2 shown]
	v_cmp_gt_i32_e64 s1, s18, v32
	v_lshrrev_b32_e32 v36, 16, v3
	v_or_b32_e32 v12, 3, v14
	v_or_b32_e32 v30, 2, v14
	v_add_nc_u32_e32 v11, 1, v14
	v_cndmask_b32_e64 v32, 0, v33, s1
	v_cmp_gt_i32_e64 s1, s6, v34
	v_lshrrev_b32_e32 v33, 16, v2
	v_lshrrev_b32_e32 v34, 16, v1
	s_delay_alu instid0(VALU_DEP_3) | instskip(SKIP_1) | instid1(VALU_DEP_2)
	v_cndmask_b32_e64 v4, 0, v4, s1
	v_cmp_gt_i32_e64 s1, s5, v31
	v_perm_b32 v4, v32, v4, 0x5040100
	s_delay_alu instid0(VALU_DEP_2) | instskip(SKIP_1) | instid1(VALU_DEP_1)
	v_cndmask_b32_e64 v31, 0, v36, s1
	v_cmp_gt_i32_e64 s1, s17, v35
	v_cndmask_b32_e64 v3, 0, v3, s1
	v_cmp_gt_i32_e64 s1, s16, v12
	s_delay_alu instid0(VALU_DEP_2) | instskip(NEXT) | instid1(VALU_DEP_2)
	v_perm_b32 v3, v31, v3, 0x5040100
	v_cndmask_b32_e64 v12, 0, v33, s1
	v_cmp_gt_i32_e64 s1, s14, v30
	s_delay_alu instid0(VALU_DEP_1) | instskip(SKIP_1) | instid1(VALU_DEP_2)
	v_cndmask_b32_e64 v2, 0, v2, s1
	v_cmp_gt_i32_e64 s1, s13, v11
	v_perm_b32 v2, v12, v2, 0x5040100
	s_delay_alu instid0(VALU_DEP_2) | instskip(SKIP_1) | instid1(VALU_DEP_1)
	v_cndmask_b32_e64 v11, 0, v34, s1
	v_cmp_gt_i32_e64 s1, s15, v14
	v_cndmask_b32_e64 v1, 0, v1, s1
	s_delay_alu instid0(VALU_DEP_1)
	v_perm_b32 v1, v11, v1, 0x5040100
.LBB69_46:                              ;   in Loop: Header=BB69_41 Depth=1
	s_or_b32 exec_lo, exec_lo, s21
	s_waitcnt vmcnt(0)
	;;#ASMSTART
	v_pk_mul_f16 v1, v27, v1;

	;;#ASMEND
	;;#ASMSTART
	v_pk_mul_f16 v2, v26, v2;

	;;#ASMEND
	;; [unrolled: 4-line block ×4, first 2 shown]
	;;#ASMSTART
	v_pk_add_f16 v1, v1, v2;

	;;#ASMEND
	;;#ASMSTART
	v_pk_add_f16 v1, v1, v3;

	;;#ASMEND
	v_add_f32_e32 v3, v28, v29
	;;#ASMSTART
	v_pk_add_f16 v1, v1, v4;

	;;#ASMEND
	v_and_b32_e32 v2, 0xffff, v1
	v_lshrrev_b32_e32 v1, 16, v1
	s_delay_alu instid0(VALU_DEP_3) | instskip(SKIP_2) | instid1(VALU_DEP_2)
	v_add_f32_e32 v5, v5, v3
	;;#ASMSTART
	v_cvt_f32_f16 v2, v2;
	;;#ASMEND
	;;#ASMSTART
	v_cvt_f32_f16 v1, v1;
	;;#ASMEND
	v_add_f32_e32 v1, v2, v1
	s_delay_alu instid0(VALU_DEP_1)
	v_add_f32_e32 v6, v6, v1
	s_and_saveexec_b32 s21, vcc_lo
	s_cbranch_execz .LBB69_39
; %bb.47:                               ;   in Loop: Header=BB69_41 Depth=1
	v_add_co_u32 v1, s1, v22, v21
	s_delay_alu instid0(VALU_DEP_1)
	v_add_co_ci_u32_e64 v2, s1, 0, v23, s1
	global_load_b128 v[1:4], v[1:2], off
	s_and_saveexec_b32 s1, s0
	s_cbranch_execz .LBB69_38
; %bb.48:                               ;   in Loop: Header=BB69_41 Depth=1
	v_or_b32_e32 v28, 7, v14
	s_waitcnt vmcnt(0)
	v_lshrrev_b32_e32 v29, 16, v4
	v_or_b32_e32 v30, 6, v14
	v_or_b32_e32 v23, 5, v14
	;; [unrolled: 1-line block ×3, first 2 shown]
	v_cmp_gt_i32_e64 s0, s18, v28
	v_lshrrev_b32_e32 v32, 16, v3
	v_or_b32_e32 v12, 3, v14
	v_or_b32_e32 v22, 2, v14
	v_add_nc_u32_e32 v11, 1, v14
	v_cndmask_b32_e64 v28, 0, v29, s0
	v_cmp_gt_i32_e64 s0, s6, v30
	v_lshrrev_b32_e32 v29, 16, v2
	v_lshrrev_b32_e32 v30, 16, v1
	s_delay_alu instid0(VALU_DEP_3) | instskip(SKIP_1) | instid1(VALU_DEP_2)
	v_cndmask_b32_e64 v4, 0, v4, s0
	v_cmp_gt_i32_e64 s0, s5, v23
	v_perm_b32 v4, v28, v4, 0x5040100
	s_delay_alu instid0(VALU_DEP_2) | instskip(SKIP_1) | instid1(VALU_DEP_1)
	v_cndmask_b32_e64 v23, 0, v32, s0
	v_cmp_gt_i32_e64 s0, s17, v31
	v_cndmask_b32_e64 v3, 0, v3, s0
	v_cmp_gt_i32_e64 s0, s16, v12
	s_delay_alu instid0(VALU_DEP_2) | instskip(NEXT) | instid1(VALU_DEP_2)
	v_perm_b32 v3, v23, v3, 0x5040100
	v_cndmask_b32_e64 v12, 0, v29, s0
	v_cmp_gt_i32_e64 s0, s14, v22
	s_delay_alu instid0(VALU_DEP_1) | instskip(SKIP_1) | instid1(VALU_DEP_2)
	v_cndmask_b32_e64 v2, 0, v2, s0
	v_cmp_gt_i32_e64 s0, s13, v11
	v_perm_b32 v2, v12, v2, 0x5040100
	s_delay_alu instid0(VALU_DEP_2) | instskip(SKIP_1) | instid1(VALU_DEP_1)
	v_cndmask_b32_e64 v11, 0, v30, s0
	v_cmp_gt_i32_e64 s0, s15, v14
	v_cndmask_b32_e64 v1, 0, v1, s0
	s_delay_alu instid0(VALU_DEP_1)
	v_perm_b32 v1, v11, v1, 0x5040100
	s_branch .LBB69_38
.LBB69_49:
	s_or_b32 exec_lo, exec_lo, s4
.LBB69_50:
	s_delay_alu instid0(SALU_CYCLE_1)
	s_or_b32 exec_lo, exec_lo, s3
	s_movk_i32 s0, 0x140
	v_and_b32_e32 v2, 0x3c0, v0
	v_mad_u32_u24 v1, v13, s0, 0xc0
	s_mov_b32 s0, exec_lo
	s_waitcnt_vscnt null, 0x0
	s_barrier
	buffer_gl0_inv
	v_cmpx_eq_u32_e32 64, v2
	s_cbranch_execz .LBB69_53
; %bb.51:
	v_add3_u32 v2, v1, v16, 0xfffffd80
	v_cmp_gt_u32_e32 vcc_lo, 0x50, v17
	ds_store_2addr_b32 v2, v5, v6 offset1:32
	s_and_b32 exec_lo, exec_lo, vcc_lo
	s_cbranch_execz .LBB69_53
; %bb.52:
	ds_store_b32 v2, v7 offset:256
.LBB69_53:
	s_or_b32 exec_lo, exec_lo, s0
	v_lshl_add_u32 v2, v15, 2, v1
	s_mov_b32 s0, exec_lo
	s_waitcnt lgkmcnt(0)
	s_barrier
	buffer_gl0_inv
	v_cmpx_gt_u32_e32 64, v0
	s_cbranch_execz .LBB69_57
; %bb.54:
	v_lshl_or_b32 v3, v0, 2, 0x80
	s_mov_b32 s1, exec_lo
	s_delay_alu instid0(VALU_DEP_1)
	v_add_nc_u32_e32 v3, v1, v3
	ds_load_b32 v4, v2
	ds_load_b32 v3, v3
	s_waitcnt lgkmcnt(0)
	v_dual_add_f32 v5, v5, v4 :: v_dual_add_f32 v6, v6, v3
	v_cmpx_gt_u32_e32 0x50, v17
	s_cbranch_execz .LBB69_56
; %bb.55:
	ds_load_b32 v3, v2 offset:256
	s_waitcnt lgkmcnt(0)
	v_add_f32_e32 v7, v7, v3
.LBB69_56:
	s_or_b32 exec_lo, exec_lo, s1
.LBB69_57:
	s_delay_alu instid0(SALU_CYCLE_1)
	s_or_b32 exec_lo, exec_lo, s0
	v_and_b32_e32 v3, 0x3e0, v0
	s_mov_b32 s0, exec_lo
	s_barrier
	buffer_gl0_inv
	v_cmpx_eq_u32_e32 32, v3
	s_cbranch_execz .LBB69_60
; %bb.58:
	v_add_nc_u32_e32 v4, 0xfffffec0, v1
	v_cmp_gt_u32_e32 vcc_lo, 0x50, v17
	s_delay_alu instid0(VALU_DEP_2)
	v_lshl_add_u32 v3, v15, 2, v4
	v_lshl_add_u32 v4, v0, 2, v4
	ds_store_b32 v3, v5
	ds_store_b32 v4, v6
	s_and_b32 exec_lo, exec_lo, vcc_lo
	s_cbranch_execz .LBB69_60
; %bb.59:
	ds_store_b32 v3, v7 offset:256
.LBB69_60:
	s_or_b32 exec_lo, exec_lo, s0
	v_cmp_gt_u32_e32 vcc_lo, 32, v0
	v_or_b32_e32 v3, 64, v0
	s_waitcnt lgkmcnt(0)
	s_barrier
	buffer_gl0_inv
	s_and_saveexec_b32 s1, vcc_lo
	s_cbranch_execz .LBB69_64
; %bb.61:
	v_lshl_add_u32 v1, v0, 2, v1
	s_mov_b32 s2, exec_lo
	ds_load_b32 v2, v2
	ds_load_b32 v4, v1 offset:128
	s_waitcnt lgkmcnt(0)
	v_dual_add_f32 v5, v5, v2 :: v_dual_add_f32 v6, v6, v4
	v_cmpx_gt_u32_e32 0x50, v3
	s_cbranch_execz .LBB69_63
; %bb.62:
	ds_load_b32 v1, v1 offset:256
	s_waitcnt lgkmcnt(0)
	v_add_f32_e32 v7, v7, v1
.LBB69_63:
	s_or_b32 exec_lo, exec_lo, s2
.LBB69_64:
	s_delay_alu instid0(SALU_CYCLE_1)
	s_or_b32 exec_lo, exec_lo, s1
	s_barrier
	buffer_gl0_inv
	s_and_saveexec_b32 s0, vcc_lo
	s_cbranch_execz .LBB69_67
; %bb.65:
	s_mul_i32 s0, s36, 0x50
	s_mul_i32 s2, s8, s22
	s_ashr_i32 s1, s0, 31
	v_lshlrev_b32_e32 v0, 1, v0
	s_lshl_b64 s[0:1], s[0:1], 1
	v_cmp_gt_u32_e32 vcc_lo, 0x50, v3
	s_add_u32 s4, s24, s0
	s_addc_u32 s5, s25, s1
	s_ashr_i32 s3, s2, 31
	;;#ASMSTART
	v_cvt_f16_f32 v1, v5;

	;;#ASMEND
	s_lshl_b64 s[0:1], s[2:3], 1
	s_mul_i32 s2, s20, 0x50
	s_add_u32 s4, s4, s0
	s_addc_u32 s5, s5, s1
	s_ashr_i32 s3, s2, 31
	s_delay_alu instid0(SALU_CYCLE_1) | instskip(NEXT) | instid1(SALU_CYCLE_1)
	s_lshl_b64 s[0:1], s[2:3], 1
	s_add_u32 s0, s4, s0
	s_addc_u32 s1, s5, s1
	global_store_b16 v0, v1, s[0:1]
	;;#ASMSTART
	v_cvt_f16_f32 v1, v6;

	;;#ASMEND
	global_store_b16 v0, v1, s[0:1] offset:64
	s_and_b32 exec_lo, exec_lo, vcc_lo
	s_cbranch_execz .LBB69_67
; %bb.66:
	v_add_co_u32 v0, s0, s0, v0
	s_delay_alu instid0(VALU_DEP_1)
	v_add_co_ci_u32_e64 v1, null, s1, 0, s0
	;;#ASMSTART
	v_cvt_f16_f32 v2, v7;

	;;#ASMEND
	global_store_b16 v[0:1], v2, off offset:128
.LBB69_67:
	s_nop 0
	s_sendmsg sendmsg(MSG_DEALLOC_VGPRS)
	s_endpgm
	.section	.rodata,"a",@progbits
	.p2align	6, 0x0
	.amdhsa_kernel _ZN4vllm25paged_attention_v2_kernelIttLi80ELi8ELi128ELNS_18Fp8KVCacheDataTypeE0ELb1ELi512EEEvPfS2_PT_PKS3_PKT0_S9_ifPKiSB_iPKfiiiSD_SD_iiiii
		.amdhsa_group_segment_fixed_size 192
		.amdhsa_private_segment_fixed_size 0
		.amdhsa_kernarg_size 400
		.amdhsa_user_sgpr_count 13
		.amdhsa_user_sgpr_dispatch_ptr 0
		.amdhsa_user_sgpr_queue_ptr 0
		.amdhsa_user_sgpr_kernarg_segment_ptr 1
		.amdhsa_user_sgpr_dispatch_id 0
		.amdhsa_user_sgpr_private_segment_size 0
		.amdhsa_wavefront_size32 1
		.amdhsa_uses_dynamic_stack 0
		.amdhsa_enable_private_segment 0
		.amdhsa_system_sgpr_workgroup_id_x 1
		.amdhsa_system_sgpr_workgroup_id_y 1
		.amdhsa_system_sgpr_workgroup_id_z 1
		.amdhsa_system_sgpr_workgroup_info 0
		.amdhsa_system_vgpr_workitem_id 0
		.amdhsa_next_free_vgpr 56
		.amdhsa_next_free_sgpr 46
		.amdhsa_reserve_vcc 1
		.amdhsa_float_round_mode_32 0
		.amdhsa_float_round_mode_16_64 0
		.amdhsa_float_denorm_mode_32 3
		.amdhsa_float_denorm_mode_16_64 3
		.amdhsa_dx10_clamp 1
		.amdhsa_ieee_mode 1
		.amdhsa_fp16_overflow 0
		.amdhsa_workgroup_processor_mode 1
		.amdhsa_memory_ordered 1
		.amdhsa_forward_progress 0
		.amdhsa_shared_vgpr_count 0
		.amdhsa_exception_fp_ieee_invalid_op 0
		.amdhsa_exception_fp_denorm_src 0
		.amdhsa_exception_fp_ieee_div_zero 0
		.amdhsa_exception_fp_ieee_overflow 0
		.amdhsa_exception_fp_ieee_underflow 0
		.amdhsa_exception_fp_ieee_inexact 0
		.amdhsa_exception_int_div_zero 0
	.end_amdhsa_kernel
	.section	.text._ZN4vllm25paged_attention_v2_kernelIttLi80ELi8ELi128ELNS_18Fp8KVCacheDataTypeE0ELb1ELi512EEEvPfS2_PT_PKS3_PKT0_S9_ifPKiSB_iPKfiiiSD_SD_iiiii,"axG",@progbits,_ZN4vllm25paged_attention_v2_kernelIttLi80ELi8ELi128ELNS_18Fp8KVCacheDataTypeE0ELb1ELi512EEEvPfS2_PT_PKS3_PKT0_S9_ifPKiSB_iPKfiiiSD_SD_iiiii,comdat
.Lfunc_end69:
	.size	_ZN4vllm25paged_attention_v2_kernelIttLi80ELi8ELi128ELNS_18Fp8KVCacheDataTypeE0ELb1ELi512EEEvPfS2_PT_PKS3_PKT0_S9_ifPKiSB_iPKfiiiSD_SD_iiiii, .Lfunc_end69-_ZN4vllm25paged_attention_v2_kernelIttLi80ELi8ELi128ELNS_18Fp8KVCacheDataTypeE0ELb1ELi512EEEvPfS2_PT_PKS3_PKT0_S9_ifPKiSB_iPKfiiiSD_SD_iiiii
                                        ; -- End function
	.section	.AMDGPU.csdata,"",@progbits
; Kernel info:
; codeLenInByte = 7296
; NumSgprs: 48
; NumVgprs: 56
; ScratchSize: 0
; MemoryBound: 0
; FloatMode: 240
; IeeeMode: 1
; LDSByteSize: 192 bytes/workgroup (compile time only)
; SGPRBlocks: 5
; VGPRBlocks: 6
; NumSGPRsForWavesPerEU: 48
; NumVGPRsForWavesPerEU: 56
; Occupancy: 16
; WaveLimiterHint : 1
; COMPUTE_PGM_RSRC2:SCRATCH_EN: 0
; COMPUTE_PGM_RSRC2:USER_SGPR: 13
; COMPUTE_PGM_RSRC2:TRAP_HANDLER: 0
; COMPUTE_PGM_RSRC2:TGID_X_EN: 1
; COMPUTE_PGM_RSRC2:TGID_Y_EN: 1
; COMPUTE_PGM_RSRC2:TGID_Z_EN: 1
; COMPUTE_PGM_RSRC2:TIDIG_COMP_CNT: 0
	.section	.text._ZN4vllm32paged_attention_v2_reduce_kernelItLi80ELi128ELi512EEEvPT_PKfS4_PKS1_PKii,"axG",@progbits,_ZN4vllm32paged_attention_v2_reduce_kernelItLi80ELi128ELi512EEEvPT_PKfS4_PKS1_PKii,comdat
	.protected	_ZN4vllm32paged_attention_v2_reduce_kernelItLi80ELi128ELi512EEEvPT_PKfS4_PKS1_PKii ; -- Begin function _ZN4vllm32paged_attention_v2_reduce_kernelItLi80ELi128ELi512EEEvPT_PKfS4_PKS1_PKii
	.globl	_ZN4vllm32paged_attention_v2_reduce_kernelItLi80ELi128ELi512EEEvPT_PKfS4_PKS1_PKii
	.p2align	8
	.type	_ZN4vllm32paged_attention_v2_reduce_kernelItLi80ELi128ELi512EEEvPT_PKfS4_PKS1_PKii,@function
_ZN4vllm32paged_attention_v2_reduce_kernelItLi80ELi128ELi512EEEvPT_PKfS4_PKS1_PKii: ; @_ZN4vllm32paged_attention_v2_reduce_kernelItLi80ELi128ELi512EEEvPT_PKfS4_PKS1_PKii
; %bb.0:
	s_load_b128 s[4:7], s[0:1], 0x18
	s_add_u32 s8, s0, 48
	s_mov_b32 s10, s15
	s_addc_u32 s9, s1, 0
	s_ashr_i32 s11, s15, 31
	s_delay_alu instid0(SALU_CYCLE_1)
	s_lshl_b64 s[2:3], s[10:11], 2
	s_waitcnt lgkmcnt(0)
	s_add_u32 s2, s6, s2
	s_addc_u32 s3, s7, s3
	s_load_b32 s20, s[2:3], 0x0
	s_clause 0x2
	s_load_b64 s[6:7], s[0:1], 0x0
	s_load_b32 s11, s[0:1], 0x28
	s_load_b32 s15, s[0:1], 0x30
	s_waitcnt lgkmcnt(0)
	s_add_i32 s2, s20, -1
	s_delay_alu instid0(SALU_CYCLE_1)
	s_cmpk_gt_u32 s2, 0x1ff
	s_mov_b32 s2, -1
	s_cbranch_scc0 .LBB70_26
; %bb.1:
	s_load_b64 s[2:3], s[0:1], 0x8
	s_add_i32 s12, s20, 0x1ff
	s_mul_i32 s18, s15, s10
	s_ashr_i32 s13, s12, 31
	v_dual_mov_b32 v4, 0xff7fffff :: v_dual_lshlrev_b32 v3, 2, v0
	s_lshr_b32 s13, s13, 23
	s_mul_i32 s16, s14, s11
	s_add_i32 s12, s12, s13
	s_ashr_i32 s17, s16, 31
	s_ashr_i32 s19, s12, 9
	s_mul_i32 s12, s18, s11
	v_cmp_gt_i32_e32 vcc_lo, s19, v0
	s_ashr_i32 s13, s12, 31
	s_and_saveexec_b32 s21, vcc_lo
	s_cbranch_execz .LBB70_5
; %bb.2:
	s_load_b32 s28, s[8:9], 0xc
	s_load_b64 s[22:23], s[0:1], 0x10
	s_lshl_b64 s[24:25], s[12:13], 2
	s_lshl_b64 s[26:27], s[16:17], 2
	v_dual_mov_b32 v4, 0xff7fffff :: v_dual_add_nc_u32 v5, 32, v3
	v_mov_b32_e32 v6, v0
	s_waitcnt lgkmcnt(0)
	s_and_b32 s1, s28, 0xffff
	s_add_u32 s0, s24, s26
	s_addc_u32 s24, s25, s27
	s_add_u32 s0, s22, s0
	s_addc_u32 s22, s23, s24
	v_add_co_u32 v1, s0, s0, v3
	s_delay_alu instid0(VALU_DEP_1)
	v_add_co_ci_u32_e64 v2, null, s22, 0, s0
	s_mov_b32 s22, 0
	s_lshl_b32 s23, s1, 2
	.p2align	6
.LBB70_3:                               ; =>This Inner Loop Header: Depth=1
	global_load_b32 v7, v[1:2], off
	v_add_nc_u32_e32 v6, s1, v6
	v_max_f32_e32 v4, v4, v4
	v_add_co_u32 v1, s0, v1, s23
	s_delay_alu instid0(VALU_DEP_1) | instskip(NEXT) | instid1(VALU_DEP_4)
	v_add_co_ci_u32_e64 v2, s0, 0, v2, s0
	v_cmp_le_i32_e64 s0, s19, v6
	s_delay_alu instid0(VALU_DEP_1)
	s_or_b32 s22, s0, s22
	s_waitcnt vmcnt(0)
	v_max_f32_e32 v8, v7, v7
	ds_store_b32 v5, v7
	v_dual_max_f32 v4, v4, v8 :: v_dual_add_nc_u32 v5, s23, v5
	s_and_not1_b32 exec_lo, exec_lo, s22
	s_cbranch_execnz .LBB70_3
; %bb.4:
	s_or_b32 exec_lo, exec_lo, s22
.LBB70_5:
	s_delay_alu instid0(SALU_CYCLE_1)
	s_or_b32 exec_lo, exec_lo, s21
	v_mbcnt_lo_u32_b32 v1, -1, 0
	s_waitcnt lgkmcnt(0)
	s_barrier
	buffer_gl0_inv
	v_xor_b32_e32 v2, 16, v1
	v_xor_b32_e32 v5, 8, v1
	s_delay_alu instid0(VALU_DEP_2) | instskip(NEXT) | instid1(VALU_DEP_1)
	v_cmp_gt_i32_e64 s0, 32, v2
	v_cndmask_b32_e64 v2, v1, v2, s0
	s_delay_alu instid0(VALU_DEP_3) | instskip(NEXT) | instid1(VALU_DEP_2)
	v_cmp_gt_i32_e64 s0, 32, v5
	v_lshlrev_b32_e32 v6, 2, v2
	s_delay_alu instid0(VALU_DEP_2) | instskip(SKIP_3) | instid1(VALU_DEP_1)
	v_cndmask_b32_e64 v5, v1, v5, s0
	ds_bpermute_b32 v2, v6, v4
	v_dual_max_f32 v4, v4, v4 :: v_dual_lshlrev_b32 v7, 2, v5
	v_xor_b32_e32 v5, 4, v1
	v_cmp_gt_i32_e64 s0, 32, v5
	s_delay_alu instid0(VALU_DEP_1) | instskip(NEXT) | instid1(VALU_DEP_1)
	v_cndmask_b32_e64 v5, v1, v5, s0
	v_lshlrev_b32_e32 v8, 2, v5
	v_xor_b32_e32 v5, 2, v1
	s_waitcnt lgkmcnt(0)
	v_max_f32_e32 v2, v2, v2
	s_delay_alu instid0(VALU_DEP_2) | instskip(NEXT) | instid1(VALU_DEP_2)
	v_cmp_gt_i32_e64 s0, 32, v5
	v_max_f32_e32 v2, v4, v2
	s_delay_alu instid0(VALU_DEP_2) | instskip(SKIP_3) | instid1(VALU_DEP_1)
	v_cndmask_b32_e64 v5, v1, v5, s0
	ds_bpermute_b32 v4, v7, v2
	s_waitcnt lgkmcnt(0)
	v_max_f32_e32 v4, v4, v4
	v_max_f32_e32 v2, v2, v4
	ds_bpermute_b32 v4, v8, v2
	s_waitcnt lgkmcnt(0)
	v_dual_max_f32 v9, v4, v4 :: v_dual_lshlrev_b32 v4, 2, v5
	s_delay_alu instid0(VALU_DEP_1) | instskip(SKIP_3) | instid1(VALU_DEP_1)
	v_max_f32_e32 v2, v2, v9
	v_xor_b32_e32 v9, 1, v1
	ds_bpermute_b32 v5, v4, v2
	v_cmp_gt_i32_e64 s0, 32, v9
	v_cndmask_b32_e64 v1, v1, v9, s0
	v_lshrrev_b32_e32 v9, 5, v0
	s_delay_alu instid0(VALU_DEP_1) | instskip(SKIP_2) | instid1(VALU_DEP_1)
	v_lshlrev_b32_e32 v9, 2, v9
	s_waitcnt lgkmcnt(0)
	v_max_f32_e32 v5, v5, v5
	v_max_f32_e32 v2, v2, v5
	v_lshlrev_b32_e32 v5, 2, v1
	v_and_b32_e32 v1, 31, v0
	ds_bpermute_b32 v10, v5, v2
	v_cmp_eq_u32_e64 s0, 0, v1
	s_delay_alu instid0(VALU_DEP_1)
	s_and_saveexec_b32 s1, s0
	s_cbranch_execz .LBB70_7
; %bb.6:
	s_waitcnt lgkmcnt(0)
	v_max_f32_e32 v10, v10, v10
	v_max_f32_e32 v2, v2, v2
	s_delay_alu instid0(VALU_DEP_1)
	v_max_f32_e32 v2, v2, v10
	ds_store_b32 v9, v2
.LBB70_7:
	s_or_b32 exec_lo, exec_lo, s1
	v_cmp_gt_u32_e64 s1, 4, v1
	v_mov_b32_e32 v2, 0xff7fffff
	s_waitcnt lgkmcnt(0)
	v_lshlrev_b32_e32 v10, 2, v1
	s_barrier
	buffer_gl0_inv
	s_and_saveexec_b32 s21, s1
	s_cbranch_execz .LBB70_9
; %bb.8:
	ds_load_b32 v2, v10
.LBB70_9:
	s_or_b32 exec_lo, exec_lo, s21
	s_waitcnt lgkmcnt(0)
	ds_bpermute_b32 v1, v4, v2
	v_max_f32_e32 v2, v2, v2
	s_lshl_b32 s21, s19, 2
	s_waitcnt lgkmcnt(0)
	v_dual_mov_b32 v12, 0 :: v_dual_max_f32 v1, v1, v1
	s_delay_alu instid0(VALU_DEP_1) | instskip(SKIP_3) | instid1(VALU_DEP_1)
	v_max_f32_e32 v1, v2, v1
	ds_bpermute_b32 v2, v5, v1
	s_waitcnt lgkmcnt(0)
	v_max_f32_e32 v2, v2, v2
	v_max_f32_e32 v1, v1, v2
	ds_bpermute_b32 v11, v12, v1
	s_and_saveexec_b32 s22, vcc_lo
	s_cbranch_execz .LBB70_13
; %bb.10:
	s_load_b32 s23, s[8:9], 0xc
	s_lshl_b64 s[24:25], s[12:13], 2
	s_lshl_b64 s[26:27], s[16:17], 2
	v_dual_mov_b32 v12, 0 :: v_dual_add_nc_u32 v13, 32, v3
	s_waitcnt lgkmcnt(0)
	s_and_b32 s13, s23, 0xffff
	s_add_u32 s17, s24, s26
	s_addc_u32 s23, s25, s27
	s_add_u32 s2, s2, s17
	s_addc_u32 s3, s3, s23
	v_add_co_u32 v1, s2, s2, v3
	s_delay_alu instid0(VALU_DEP_1)
	v_add_co_ci_u32_e64 v2, null, s3, 0, s2
	v_mov_b32_e32 v3, v0
	s_mov_b32 s3, 0
	s_lshl_b32 s17, s13, 2
	s_set_inst_prefetch_distance 0x1
	.p2align	6
.LBB70_11:                              ; =>This Inner Loop Header: Depth=1
	global_load_b32 v14, v[1:2], off
	ds_load_b32 v15, v13
	v_add_nc_u32_e32 v3, s13, v3
	s_waitcnt lgkmcnt(0)
	v_sub_f32_e32 v15, v15, v11
	s_delay_alu instid0(VALU_DEP_1) | instskip(NEXT) | instid1(VALU_DEP_1)
	v_mul_f32_e32 v16, 0x3fb8aa3b, v15
	v_fma_f32 v17, 0x3fb8aa3b, v15, -v16
	v_rndne_f32_e32 v18, v16
	s_delay_alu instid0(VALU_DEP_1) | instskip(SKIP_1) | instid1(VALU_DEP_4)
	v_sub_f32_e32 v16, v16, v18
	v_cmp_ngt_f32_e32 vcc_lo, 0xc2ce8ed0, v15
	v_fmac_f32_e32 v17, 0x32a5705f, v15
	v_cmp_nlt_f32_e64 s2, 0x42b17218, v15
	s_delay_alu instid0(VALU_DEP_2) | instskip(SKIP_1) | instid1(VALU_DEP_2)
	v_add_f32_e32 v16, v16, v17
	v_cvt_i32_f32_e32 v17, v18
	v_exp_f32_e32 v16, v16
	s_waitcnt_depctr 0xfff
	v_ldexp_f32 v16, v16, v17
	s_delay_alu instid0(VALU_DEP_1) | instskip(SKIP_2) | instid1(VALU_DEP_3)
	v_dual_cndmask_b32 v16, 0, v16 :: v_dual_add_nc_u32 v17, s21, v13
	v_add_co_u32 v1, vcc_lo, v1, s17
	v_add_co_ci_u32_e32 v2, vcc_lo, 0, v2, vcc_lo
	v_cndmask_b32_e64 v15, 0x7f800000, v16, s2
	v_cmp_le_i32_e32 vcc_lo, s19, v3
	v_add_nc_u32_e32 v13, s17, v13
	s_or_b32 s3, vcc_lo, s3
	s_waitcnt vmcnt(0)
	v_mul_f32_e32 v16, v14, v15
	v_fmac_f32_e32 v12, v14, v15
	ds_store_b32 v17, v16
	s_and_not1_b32 exec_lo, exec_lo, s3
	s_cbranch_execnz .LBB70_11
; %bb.12:
	s_set_inst_prefetch_distance 0x2
	s_or_b32 exec_lo, exec_lo, s3
.LBB70_13:
	s_delay_alu instid0(SALU_CYCLE_1)
	s_or_b32 exec_lo, exec_lo, s22
	ds_bpermute_b32 v1, v6, v12
	s_waitcnt lgkmcnt(0)
	s_barrier
	buffer_gl0_inv
	v_add_f32_e32 v1, v12, v1
	ds_bpermute_b32 v2, v7, v1
	s_waitcnt lgkmcnt(0)
	v_add_f32_e32 v1, v1, v2
	ds_bpermute_b32 v2, v8, v1
	s_waitcnt lgkmcnt(0)
	;; [unrolled: 3-line block ×4, first 2 shown]
	v_add_f32_e32 v1, v1, v2
	s_and_saveexec_b32 s2, s0
	s_cbranch_execz .LBB70_15
; %bb.14:
	ds_store_b32 v9, v1 offset:16
.LBB70_15:
	s_or_b32 exec_lo, exec_lo, s2
	s_waitcnt lgkmcnt(0)
	s_barrier
	buffer_gl0_inv
	s_and_saveexec_b32 s0, s1
	s_cbranch_execz .LBB70_17
; %bb.16:
	ds_load_b32 v1, v10 offset:16
.LBB70_17:
	s_or_b32 exec_lo, exec_lo, s0
	s_waitcnt lgkmcnt(0)
	ds_bpermute_b32 v2, v4, v1
	s_mov_b32 s0, exec_lo
	s_waitcnt lgkmcnt(0)
	v_add_f32_e32 v1, v1, v2
	ds_bpermute_b32 v2, v5, v1
	s_waitcnt lgkmcnt(0)
	v_dual_add_f32 v1, v1, v2 :: v_dual_mov_b32 v2, 0
	ds_bpermute_b32 v2, v2, v1
	v_cmpx_gt_u32_e32 0x50, v0
	s_cbranch_execz .LBB70_25
; %bb.18:
	s_cmp_gt_i32 s20, 0
	s_mov_b32 s1, 0
	s_cbranch_scc1 .LBB70_20
; %bb.19:
	v_mov_b32_e32 v1, 0
	s_branch .LBB70_21
.LBB70_20:
	s_mov_b32 s1, -1
.LBB70_21:
	s_delay_alu instid0(SALU_CYCLE_1) | instskip(SKIP_1) | instid1(VALU_DEP_2)
	v_cndmask_b32_e64 v3, 0, 1, s1
	v_mov_b32_e32 v4, s1
	v_cmp_ne_u32_e32 vcc_lo, 1, v3
	s_cbranch_vccnz .LBB70_24
; %bb.22:
	s_waitcnt lgkmcnt(0)
	v_add_f32_e32 v4, 0x358637bd, v2
	s_mulk_i32 s12, 0x50
	s_mulk_i32 s16, 0x50
	s_ashr_i32 s13, s12, 31
	s_ashr_i32 s17, s16, 31
	v_div_scale_f32 v2, null, v4, v4, 1.0
	s_lshl_b64 s[12:13], s[12:13], 1
	s_lshl_b64 s[16:17], s[16:17], 1
	s_max_i32 s1, s19, 1
	s_delay_alu instid0(VALU_DEP_1)
	v_rcp_f32_e32 v3, v2
	s_add_i32 s2, s21, 32
	s_add_u32 s3, s12, s16
	s_addc_u32 s12, s13, s17
	s_add_u32 s3, s4, s3
	s_addc_u32 s12, s5, s12
	s_waitcnt_depctr 0xfff
	v_fma_f32 v1, -v2, v3, 1.0
	s_delay_alu instid0(VALU_DEP_1) | instskip(SKIP_1) | instid1(VALU_DEP_1)
	v_fmac_f32_e32 v3, v1, v3
	v_div_scale_f32 v5, vcc_lo, 1.0, v4, 1.0
	v_dual_mov_b32 v1, 0 :: v_dual_mul_f32 v6, v5, v3
	s_delay_alu instid0(VALU_DEP_1) | instskip(NEXT) | instid1(VALU_DEP_1)
	v_fma_f32 v7, -v2, v6, v5
	v_dual_fmac_f32 v6, v7, v3 :: v_dual_lshlrev_b32 v7, 1, v0
	s_delay_alu instid0(VALU_DEP_1) | instskip(NEXT) | instid1(VALU_DEP_1)
	v_fma_f32 v2, -v2, v6, v5
	v_div_fmas_f32 v5, v2, v3, v6
	s_delay_alu instid0(VALU_DEP_3) | instskip(NEXT) | instid1(VALU_DEP_1)
	v_add_co_u32 v2, s3, s3, v7
	v_add_co_ci_u32_e64 v3, null, s12, 0, s3
	s_delay_alu instid0(VALU_DEP_3)
	v_div_fixup_f32 v5, v5, v4, 1.0
	v_mov_b32_e32 v4, v1
	.p2align	6
.LBB70_23:                              ; =>This Inner Loop Header: Depth=1
	v_mov_b32_e32 v7, s2
	global_load_u16 v6, v[2:3], off
	s_waitcnt vmcnt(0)
	;;#ASMSTART
	v_cvt_f32_f16 v6, v6;
	;;#ASMEND
	v_add_co_u32 v2, vcc_lo, 0xa0, v2
	ds_load_b32 v7, v7
	v_add_co_ci_u32_e32 v3, vcc_lo, 0, v3, vcc_lo
	s_add_i32 s1, s1, -1
	s_add_i32 s2, s2, 4
	s_cmp_eq_u32 s1, 0
	s_waitcnt lgkmcnt(0)
	v_mul_f32_e32 v6, v6, v7
	s_delay_alu instid0(VALU_DEP_1)
	v_fmac_f32_e32 v4, v5, v6
	s_cbranch_scc0 .LBB70_23
.LBB70_24:
	s_mul_i32 s2, s18, 0x50
	s_mul_i32 s12, s14, 0x50
	s_ashr_i32 s3, s2, 31
	s_waitcnt lgkmcnt(0)
	v_lshlrev_b64 v[1:2], 1, v[0:1]
	s_lshl_b64 s[2:3], s[2:3], 1
	;;#ASMSTART
	v_cvt_f16_f32 v3, v4;

	;;#ASMEND
	s_add_u32 s1, s6, s2
	s_addc_u32 s16, s7, s3
	s_ashr_i32 s13, s12, 31
	s_delay_alu instid0(SALU_CYCLE_1) | instskip(NEXT) | instid1(SALU_CYCLE_1)
	s_lshl_b64 s[2:3], s[12:13], 1
	s_add_u32 s1, s1, s2
	s_addc_u32 s2, s16, s3
	v_add_co_u32 v1, vcc_lo, s1, v1
	v_add_co_ci_u32_e32 v2, vcc_lo, s2, v2, vcc_lo
	global_store_b16 v[1:2], v3, off
.LBB70_25:
	s_or_b32 exec_lo, exec_lo, s0
	s_mov_b32 s2, 0
.LBB70_26:
	s_delay_alu instid0(SALU_CYCLE_1)
	s_and_b32 vcc_lo, exec_lo, s2
	s_cbranch_vccz .LBB70_35
; %bb.27:
	s_mov_b32 s0, exec_lo
	v_cmpx_gt_u32_e32 0x50, v0
	s_cbranch_execz .LBB70_35
; %bb.28:
	s_mul_i32 s0, s15, s10
	s_load_b32 s10, s[8:9], 0xc
	s_mulk_i32 s0, 0x50
	s_mul_i32 s12, s14, 0x50
	s_ashr_i32 s1, s0, 31
	s_mul_i32 s8, s12, s11
	s_lshl_b64 s[2:3], s[0:1], 1
	s_delay_alu instid0(SALU_CYCLE_1) | instskip(SKIP_4) | instid1(SALU_CYCLE_1)
	s_add_u32 s1, s6, s2
	s_addc_u32 s7, s7, s3
	s_ashr_i32 s13, s12, 31
	s_mul_i32 s6, s0, s11
	s_lshl_b64 s[2:3], s[12:13], 1
	s_add_u32 s1, s1, s2
	s_addc_u32 s2, s7, s3
	s_ashr_i32 s7, s6, 31
	s_delay_alu instid0(SALU_CYCLE_1) | instskip(NEXT) | instid1(SALU_CYCLE_1)
	s_lshl_b64 s[6:7], s[6:7], 1
	s_add_u32 s0, s4, s6
	s_addc_u32 s6, s5, s7
	s_ashr_i32 s9, s8, 31
	s_mov_b32 s7, 0
	s_lshl_b64 s[4:5], s[8:9], 1
	s_delay_alu instid0(SALU_CYCLE_1) | instskip(SKIP_3) | instid1(SALU_CYCLE_1)
	s_add_u32 s3, s0, s4
	s_addc_u32 s4, s6, s5
	s_waitcnt lgkmcnt(0)
	s_and_b32 s5, s10, 0xffff
	v_cvt_f32_u32_e32 v1, s5
	s_cmp_eq_u32 s5, 1
	v_add_nc_u32_e32 v3, s5, v0
	s_cselect_b32 s6, -1, 0
	s_sub_i32 s0, 0, s5
	v_rcp_iflag_f32_e32 v1, v1
	s_delay_alu instid0(VALU_DEP_1) | instskip(SKIP_3) | instid1(VALU_DEP_1)
	v_cmp_gt_u32_e32 vcc_lo, 0x50, v3
	v_max_u32_e32 v4, 0x50, v3
	s_waitcnt_depctr 0xfff
	v_mul_f32_e32 v1, 0x4f7ffffe, v1
	v_cvt_u32_f32_e32 v1, v1
	s_delay_alu instid0(VALU_DEP_1) | instskip(SKIP_1) | instid1(VALU_DEP_1)
	v_mul_lo_u32 v2, s0, v1
	v_add_co_ci_u32_e64 v3, s0, s5, v0, vcc_lo
	v_sub_nc_u32_e32 v3, v4, v3
	s_delay_alu instid0(VALU_DEP_3) | instskip(NEXT) | instid1(VALU_DEP_1)
	v_mul_hi_u32 v2, v1, v2
	v_add_nc_u32_e32 v1, v1, v2
	s_delay_alu instid0(VALU_DEP_1) | instskip(NEXT) | instid1(VALU_DEP_1)
	v_mul_hi_u32 v1, v3, v1
	v_mul_lo_u32 v2, v1, s5
	s_delay_alu instid0(VALU_DEP_1) | instskip(SKIP_1) | instid1(VALU_DEP_2)
	v_sub_nc_u32_e32 v2, v3, v2
	v_add_nc_u32_e32 v3, 1, v1
	v_subrev_nc_u32_e32 v4, s5, v2
	v_cmp_le_u32_e64 s0, s5, v2
	s_delay_alu instid0(VALU_DEP_1) | instskip(NEXT) | instid1(VALU_DEP_3)
	v_cndmask_b32_e64 v1, v1, v3, s0
	v_cndmask_b32_e64 v2, v2, v4, s0
	s_delay_alu instid0(VALU_DEP_2) | instskip(NEXT) | instid1(VALU_DEP_2)
	v_add_nc_u32_e32 v3, 1, v1
	v_cmp_le_u32_e64 s0, s5, v2
	s_delay_alu instid0(VALU_DEP_1) | instskip(SKIP_1) | instid1(VALU_DEP_1)
	v_cndmask_b32_e64 v1, v1, v3, s0
	s_mov_b32 s0, -1
	v_add_co_ci_u32_e32 v3, vcc_lo, 1, v1, vcc_lo
	s_delay_alu instid0(VALU_DEP_1) | instskip(SKIP_1) | instid1(SALU_CYCLE_1)
	v_cmp_lt_u32_e32 vcc_lo, 3, v3
	s_and_b32 s8, vcc_lo, s6
	s_and_saveexec_b32 s6, s8
	s_cbranch_execz .LBB70_32
; %bb.29:
	v_dual_mov_b32 v1, v0 :: v_dual_and_b32 v4, -4, v3
	s_delay_alu instid0(VALU_DEP_1)
	v_dual_mov_b32 v2, 0 :: v_dual_mov_b32 v5, v4
	.p2align	6
.LBB70_30:                              ; =>This Inner Loop Header: Depth=1
	s_delay_alu instid0(VALU_DEP_1) | instskip(NEXT) | instid1(VALU_DEP_2)
	v_lshlrev_b64 v[6:7], 1, v[1:2]
	v_add_nc_u32_e32 v5, -4, v5
	v_add_nc_u32_e32 v1, 4, v1
	s_delay_alu instid0(VALU_DEP_3) | instskip(NEXT) | instid1(VALU_DEP_4)
	v_add_co_u32 v8, vcc_lo, s3, v6
	v_add_co_ci_u32_e32 v9, vcc_lo, s4, v7, vcc_lo
	s_delay_alu instid0(VALU_DEP_4)
	v_cmp_eq_u32_e32 vcc_lo, 0, v5
	v_add_co_u32 v6, s0, s1, v6
	global_load_b64 v[8:9], v[8:9], off
	v_add_co_ci_u32_e64 v7, s0, s2, v7, s0
	s_or_b32 s7, vcc_lo, s7
	s_waitcnt vmcnt(0)
	global_store_b64 v[6:7], v[8:9], off
	s_and_not1_b32 exec_lo, exec_lo, s7
	s_cbranch_execnz .LBB70_30
; %bb.31:
	s_or_b32 exec_lo, exec_lo, s7
	v_cmp_ne_u32_e32 vcc_lo, v3, v4
	v_add_nc_u32_e32 v0, v0, v4
	s_or_not1_b32 s0, vcc_lo, exec_lo
.LBB70_32:
	s_or_b32 exec_lo, exec_lo, s6
	s_delay_alu instid0(SALU_CYCLE_1)
	s_and_b32 exec_lo, exec_lo, s0
	s_cbranch_execz .LBB70_35
; %bb.33:
	v_mov_b32_e32 v1, 0
	s_mov_b32 s6, 0
	s_lshl_b32 s7, s5, 1
	s_delay_alu instid0(VALU_DEP_1)
	v_lshlrev_b64 v[1:2], 1, v[0:1]
	.p2align	6
.LBB70_34:                              ; =>This Inner Loop Header: Depth=1
	s_delay_alu instid0(VALU_DEP_1) | instskip(NEXT) | instid1(VALU_DEP_2)
	v_add_co_u32 v3, vcc_lo, s3, v1
	v_add_co_ci_u32_e32 v4, vcc_lo, s4, v2, vcc_lo
	v_add_nc_u32_e32 v0, s5, v0
	global_load_u16 v5, v[3:4], off
	v_add_co_u32 v3, vcc_lo, s1, v1
	v_add_co_ci_u32_e32 v4, vcc_lo, s2, v2, vcc_lo
	v_cmp_lt_u32_e32 vcc_lo, 0x4f, v0
	v_add_co_u32 v1, s0, v1, s7
	s_delay_alu instid0(VALU_DEP_1)
	v_add_co_ci_u32_e64 v2, s0, 0, v2, s0
	s_or_b32 s6, vcc_lo, s6
	s_waitcnt vmcnt(0)
	global_store_b16 v[3:4], v5, off
	s_and_not1_b32 exec_lo, exec_lo, s6
	s_cbranch_execnz .LBB70_34
.LBB70_35:
	s_nop 0
	s_sendmsg sendmsg(MSG_DEALLOC_VGPRS)
	s_endpgm
	.section	.rodata,"a",@progbits
	.p2align	6, 0x0
	.amdhsa_kernel _ZN4vllm32paged_attention_v2_reduce_kernelItLi80ELi128ELi512EEEvPT_PKfS4_PKS1_PKii
		.amdhsa_group_segment_fixed_size 32
		.amdhsa_private_segment_fixed_size 0
		.amdhsa_kernarg_size 304
		.amdhsa_user_sgpr_count 14
		.amdhsa_user_sgpr_dispatch_ptr 0
		.amdhsa_user_sgpr_queue_ptr 0
		.amdhsa_user_sgpr_kernarg_segment_ptr 1
		.amdhsa_user_sgpr_dispatch_id 0
		.amdhsa_user_sgpr_private_segment_size 0
		.amdhsa_wavefront_size32 1
		.amdhsa_uses_dynamic_stack 0
		.amdhsa_enable_private_segment 0
		.amdhsa_system_sgpr_workgroup_id_x 1
		.amdhsa_system_sgpr_workgroup_id_y 1
		.amdhsa_system_sgpr_workgroup_id_z 0
		.amdhsa_system_sgpr_workgroup_info 0
		.amdhsa_system_vgpr_workitem_id 0
		.amdhsa_next_free_vgpr 19
		.amdhsa_next_free_sgpr 29
		.amdhsa_reserve_vcc 1
		.amdhsa_float_round_mode_32 0
		.amdhsa_float_round_mode_16_64 0
		.amdhsa_float_denorm_mode_32 3
		.amdhsa_float_denorm_mode_16_64 3
		.amdhsa_dx10_clamp 1
		.amdhsa_ieee_mode 1
		.amdhsa_fp16_overflow 0
		.amdhsa_workgroup_processor_mode 1
		.amdhsa_memory_ordered 1
		.amdhsa_forward_progress 0
		.amdhsa_shared_vgpr_count 0
		.amdhsa_exception_fp_ieee_invalid_op 0
		.amdhsa_exception_fp_denorm_src 0
		.amdhsa_exception_fp_ieee_div_zero 0
		.amdhsa_exception_fp_ieee_overflow 0
		.amdhsa_exception_fp_ieee_underflow 0
		.amdhsa_exception_fp_ieee_inexact 0
		.amdhsa_exception_int_div_zero 0
	.end_amdhsa_kernel
	.section	.text._ZN4vllm32paged_attention_v2_reduce_kernelItLi80ELi128ELi512EEEvPT_PKfS4_PKS1_PKii,"axG",@progbits,_ZN4vllm32paged_attention_v2_reduce_kernelItLi80ELi128ELi512EEEvPT_PKfS4_PKS1_PKii,comdat
.Lfunc_end70:
	.size	_ZN4vllm32paged_attention_v2_reduce_kernelItLi80ELi128ELi512EEEvPT_PKfS4_PKS1_PKii, .Lfunc_end70-_ZN4vllm32paged_attention_v2_reduce_kernelItLi80ELi128ELi512EEEvPT_PKfS4_PKS1_PKii
                                        ; -- End function
	.section	.AMDGPU.csdata,"",@progbits
; Kernel info:
; codeLenInByte = 2432
; NumSgprs: 31
; NumVgprs: 19
; ScratchSize: 0
; MemoryBound: 0
; FloatMode: 240
; IeeeMode: 1
; LDSByteSize: 32 bytes/workgroup (compile time only)
; SGPRBlocks: 3
; VGPRBlocks: 2
; NumSGPRsForWavesPerEU: 31
; NumVGPRsForWavesPerEU: 19
; Occupancy: 16
; WaveLimiterHint : 0
; COMPUTE_PGM_RSRC2:SCRATCH_EN: 0
; COMPUTE_PGM_RSRC2:USER_SGPR: 14
; COMPUTE_PGM_RSRC2:TRAP_HANDLER: 0
; COMPUTE_PGM_RSRC2:TGID_X_EN: 1
; COMPUTE_PGM_RSRC2:TGID_Y_EN: 1
; COMPUTE_PGM_RSRC2:TGID_Z_EN: 0
; COMPUTE_PGM_RSRC2:TIDIG_COMP_CNT: 0
	.section	.text._ZN4vllm25paged_attention_v2_kernelIttLi96ELi8ELi128ELNS_18Fp8KVCacheDataTypeE0ELb1ELi512EEEvPfS2_PT_PKS3_PKT0_S9_ifPKiSB_iPKfiiiSD_SD_iiiii,"axG",@progbits,_ZN4vllm25paged_attention_v2_kernelIttLi96ELi8ELi128ELNS_18Fp8KVCacheDataTypeE0ELb1ELi512EEEvPfS2_PT_PKS3_PKT0_S9_ifPKiSB_iPKfiiiSD_SD_iiiii,comdat
	.protected	_ZN4vllm25paged_attention_v2_kernelIttLi96ELi8ELi128ELNS_18Fp8KVCacheDataTypeE0ELb1ELi512EEEvPfS2_PT_PKS3_PKT0_S9_ifPKiSB_iPKfiiiSD_SD_iiiii ; -- Begin function _ZN4vllm25paged_attention_v2_kernelIttLi96ELi8ELi128ELNS_18Fp8KVCacheDataTypeE0ELb1ELi512EEEvPfS2_PT_PKS3_PKT0_S9_ifPKiSB_iPKfiiiSD_SD_iiiii
	.globl	_ZN4vllm25paged_attention_v2_kernelIttLi96ELi8ELi128ELNS_18Fp8KVCacheDataTypeE0ELb1ELi512EEEvPfS2_PT_PKS3_PKT0_S9_ifPKiSB_iPKfiiiSD_SD_iiiii
	.p2align	8
	.type	_ZN4vllm25paged_attention_v2_kernelIttLi96ELi8ELi128ELNS_18Fp8KVCacheDataTypeE0ELb1ELi512EEEvPfS2_PT_PKS3_PKT0_S9_ifPKiSB_iPKfiiiSD_SD_iiiii,@function
_ZN4vllm25paged_attention_v2_kernelIttLi96ELi8ELi128ELNS_18Fp8KVCacheDataTypeE0ELb1ELi512EEEvPfS2_PT_PKS3_PKT0_S9_ifPKiSB_iPKfiiiSD_SD_iiiii: ; @_ZN4vllm25paged_attention_v2_kernelIttLi96ELi8ELi128ELNS_18Fp8KVCacheDataTypeE0ELb1ELi512EEEvPfS2_PT_PKS3_PKT0_S9_ifPKiSB_iPKfiiiSD_SD_iiiii
; %bb.0:
	s_load_b64 s[2:3], s[0:1], 0x40
	s_mov_b32 s12, s15
	s_ashr_i32 s15, s14, 31
	s_delay_alu instid0(SALU_CYCLE_1)
	s_lshl_b64 s[4:5], s[14:15], 2
	s_waitcnt lgkmcnt(0)
	s_add_u32 s2, s2, s4
	s_addc_u32 s3, s3, s5
	s_lshl_b32 s15, s12, 9
	s_load_b32 s33, s[2:3], 0x0
	s_waitcnt lgkmcnt(0)
	s_cmp_ge_i32 s15, s33
	s_cbranch_scc1 .LBB71_58
; %bb.1:
	s_mov_b32 s24, s13
	s_clause 0x1
	s_load_b32 s13, s[0:1], 0x90
	s_load_b64 s[34:35], s[0:1], 0x30
	s_mov_b32 s38, 0
	s_waitcnt lgkmcnt(0)
	s_abs_i32 s5, s13
	s_abs_i32 s2, s34
	s_delay_alu instid0(SALU_CYCLE_1) | instskip(SKIP_1) | instid1(VALU_DEP_1)
	v_cvt_f32_u32_e32 v1, s2
	s_sub_i32 s4, 0, s2
	v_rcp_iflag_f32_e32 v1, v1
	s_waitcnt_depctr 0xfff
	v_mul_f32_e32 v1, 0x4f7ffffe, v1
	s_delay_alu instid0(VALU_DEP_1) | instskip(NEXT) | instid1(VALU_DEP_1)
	v_cvt_u32_f32_e32 v1, v1
	v_readfirstlane_b32 s3, v1
	s_delay_alu instid0(VALU_DEP_1) | instskip(NEXT) | instid1(SALU_CYCLE_1)
	s_mul_i32 s4, s4, s3
	s_mul_hi_u32 s4, s3, s4
	s_delay_alu instid0(SALU_CYCLE_1) | instskip(SKIP_4) | instid1(SALU_CYCLE_1)
	s_add_i32 s3, s3, s4
	s_xor_b32 s4, s13, s34
	s_mul_hi_u32 s3, s5, s3
	s_ashr_i32 s4, s4, 31
	s_mul_i32 s6, s3, s2
	s_sub_i32 s5, s5, s6
	s_add_i32 s6, s3, 1
	s_sub_i32 s7, s5, s2
	s_cmp_ge_u32 s5, s2
	s_cselect_b32 s3, s6, s3
	s_cselect_b32 s5, s7, s5
	s_add_i32 s6, s3, 1
	s_cmp_ge_u32 s5, s2
	s_cselect_b32 s2, s6, s3
	s_abs_i32 s17, s24
	s_xor_b32 s2, s2, s4
	s_delay_alu instid0(SALU_CYCLE_1) | instskip(SKIP_2) | instid1(SALU_CYCLE_1)
	s_sub_i32 s8, s2, s4
	s_load_b64 s[2:3], s[0:1], 0x50
	s_abs_i32 s16, s8
	v_cvt_f32_u32_e32 v1, s16
	s_sub_i32 s5, 0, s16
	s_delay_alu instid0(VALU_DEP_1) | instskip(SKIP_2) | instid1(VALU_DEP_1)
	v_rcp_iflag_f32_e32 v1, v1
	s_waitcnt_depctr 0xfff
	v_mul_f32_e32 v1, 0x4f7ffffe, v1
	v_cvt_u32_f32_e32 v1, v1
	s_delay_alu instid0(VALU_DEP_1) | instskip(NEXT) | instid1(VALU_DEP_1)
	v_readfirstlane_b32 s4, v1
	s_mul_i32 s5, s5, s4
	s_delay_alu instid0(SALU_CYCLE_1) | instskip(NEXT) | instid1(SALU_CYCLE_1)
	s_mul_hi_u32 s5, s4, s5
	s_add_i32 s4, s4, s5
	s_waitcnt lgkmcnt(0)
	s_cmp_eq_u64 s[2:3], 0
	s_mul_hi_u32 s18, s17, s4
	s_cbranch_scc1 .LBB71_3
; %bb.2:
	s_ashr_i32 s25, s24, 31
	s_delay_alu instid0(SALU_CYCLE_1) | instskip(NEXT) | instid1(SALU_CYCLE_1)
	s_lshl_b64 s[4:5], s[24:25], 2
	s_add_u32 s2, s2, s4
	s_addc_u32 s3, s3, s5
	s_load_b32 s38, s[2:3], 0x0
.LBB71_3:
	s_load_b128 s[4:7], s[0:1], 0x58
	v_and_b32_e32 v1, 3, v0
	v_lshlrev_b32_e32 v2, 2, v0
	s_ashr_i32 s2, s24, 31
	s_ashr_i32 s3, s8, 31
	s_mul_i32 s20, s24, 0x60
	s_waitcnt lgkmcnt(0)
	s_mov_b32 s7, exec_lo
	v_cmpx_gt_u32_e32 48, v0
	s_cbranch_execz .LBB71_5
; %bb.4:
	s_load_b64 s[8:9], s[0:1], 0x18
	s_mul_i32 s10, s14, s4
	v_and_b32_e32 v4, 0x3fc, v0
	s_ashr_i32 s11, s10, 31
	s_delay_alu instid0(SALU_CYCLE_1) | instskip(NEXT) | instid1(VALU_DEP_1)
	s_lshl_b64 s[10:11], s[10:11], 1
	v_mad_u32_u24 v4, v1, 48, v4
	s_waitcnt lgkmcnt(0)
	s_add_u32 s4, s8, s10
	s_addc_u32 s10, s9, s11
	s_ashr_i32 s21, s20, 31
	s_delay_alu instid0(SALU_CYCLE_1) | instskip(NEXT) | instid1(SALU_CYCLE_1)
	s_lshl_b64 s[8:9], s[20:21], 1
	s_add_u32 s8, s4, s8
	s_addc_u32 s9, s10, s9
	global_load_b32 v3, v2, s[8:9]
	s_waitcnt vmcnt(0)
	ds_store_b32 v4, v3
.LBB71_5:
	s_or_b32 exec_lo, exec_lo, s7
	s_load_b128 s[8:11], s[0:1], 0x78
	s_mul_i32 s4, s18, s16
	s_xor_b32 s2, s2, s3
	s_sub_i32 s3, s17, s4
	s_add_i32 s4, s18, 1
	s_sub_i32 s7, s3, s16
	s_cmp_ge_u32 s3, s16
	s_mov_b32 s17, -1
	s_cselect_b32 s4, s4, s18
	s_cselect_b32 s3, s7, s3
	s_add_i32 s7, s4, 1
	s_cmp_ge_u32 s3, s16
	s_waitcnt lgkmcnt(0)
	s_cselect_b32 s3, s7, s4
	s_load_b32 s4, s[0:1], 0x88
	s_xor_b32 s3, s3, s2
	s_add_i32 s16, s33, -1
	s_sub_i32 s3, s3, s2
	s_abs_i32 s7, s16
	s_waitcnt lgkmcnt(0)
	s_barrier
	s_abs_i32 s21, s11
	buffer_gl0_inv
	v_cvt_f32_u32_e32 v3, s21
	s_sub_i32 s2, 0, s21
                                        ; implicit-def: $sgpr36
	s_delay_alu instid0(VALU_DEP_1) | instskip(SKIP_2) | instid1(VALU_DEP_1)
	v_rcp_iflag_f32_e32 v3, v3
	s_waitcnt_depctr 0xfff
	v_mul_f32_e32 v3, 0x4f7ffffe, v3
	v_cvt_u32_f32_e32 v3, v3
	s_delay_alu instid0(VALU_DEP_1) | instskip(NEXT) | instid1(VALU_DEP_1)
	v_readfirstlane_b32 s25, v3
	s_mul_i32 s2, s2, s25
	s_delay_alu instid0(SALU_CYCLE_1) | instskip(NEXT) | instid1(SALU_CYCLE_1)
	s_mul_hi_u32 s2, s25, s2
	s_add_i32 s25, s25, s2
	s_cmp_lt_i32 s4, 0
	s_mul_hi_u32 s2, s7, s25
	s_cbranch_scc0 .LBB71_7
; %bb.6:
	s_mul_i32 s17, s8, s34
	s_delay_alu instid0(SALU_CYCLE_1) | instskip(NEXT) | instid1(SALU_CYCLE_1)
	s_add_i32 s17, s3, s17
	s_mul_i32 s17, s17, s4
	s_delay_alu instid0(SALU_CYCLE_1)
	s_sub_i32 s36, 1, s17
	s_mov_b32 s17, 0
.LBB71_7:
	s_load_b64 s[26:27], s[0:1], 0x38
	s_ashr_i32 s28, s16, 31
	s_and_not1_b32 vcc_lo, exec_lo, s17
	s_ashr_i32 s11, s11, 31
	s_cbranch_vccnz .LBB71_9
; %bb.8:
	s_mul_i32 s8, s13, s8
	s_delay_alu instid0(SALU_CYCLE_1) | instskip(NEXT) | instid1(SALU_CYCLE_1)
	s_add_i32 s8, s8, s24
	s_mul_i32 s4, s8, s4
	s_delay_alu instid0(SALU_CYCLE_1)
	s_add_i32 s36, s4, 1
.LBB71_9:
	s_clause 0x4
	s_load_b32 s8, s[0:1], 0x48
	s_load_b64 s[30:31], s[0:1], 0x28
	s_load_b32 s4, s[0:1], 0x98
	s_load_b128 s[16:19], s[0:1], 0x0
	s_load_b64 s[22:23], s[0:1], 0x10
	s_xor_b32 s37, s28, s11
	s_mul_i32 s28, s2, s21
	s_add_i32 s34, s2, 1
	s_sub_i32 s7, s7, s28
	v_lshrrev_b32_e32 v10, 5, v0
	v_mov_b32_e32 v4, 0xff7fffff
	v_mbcnt_lo_u32_b32 v3, -1, 0
	s_mul_i32 s6, s3, s6
	s_delay_alu instid0(VALU_DEP_3)
	v_lshl_add_u32 v11, v10, 3, s15
	s_waitcnt lgkmcnt(0)
	s_mul_i32 s28, s14, s8
	s_sub_i32 s8, s7, s21
	s_ashr_i32 s29, s28, 31
	s_cmp_ge_u32 s7, s21
	s_cselect_b32 s2, s34, s2
	s_cselect_b32 s7, s8, s7
	s_add_i32 s8, s2, 1
	s_cmp_ge_u32 s7, s21
	s_cselect_b32 s2, s8, s2
	s_add_i32 s7, s33, 7
	s_lshl_b32 s39, s12, 6
	s_ashr_i32 s8, s7, 31
	v_or_b32_e32 v5, s39, v10
	s_lshr_b32 s8, s8, 29
	s_delay_alu instid0(SALU_CYCLE_1)
	s_add_i32 s7, s7, s8
	s_add_i32 s8, s39, 64
	s_ashr_i32 s34, s7, 3
	s_xor_b32 s7, s2, s37
	s_min_i32 s8, s8, s34
	v_ashrrev_i32_e32 v6, 31, v5
	v_cmp_gt_i32_e64 s2, s8, v5
	s_sub_i32 s37, s7, s37
	s_delay_alu instid0(VALU_DEP_1)
	s_and_saveexec_b32 s40, s2
	s_cbranch_execz .LBB71_19
; %bb.10:
	s_load_b64 s[0:1], s[0:1], 0x20
	s_ashr_i32 s7, s6, 31
	v_bfe_u32 v7, v0, 2, 3
	s_lshl_b64 s[42:43], s[6:7], 1
	s_sub_i32 s7, s37, s9
	v_cmp_eq_u32_e32 vcc_lo, 0, v1
	v_dual_mov_b32 v12, 0xff7fffff :: v_dual_and_b32 v17, 12, v2
	v_subrev_nc_u32_e32 v18, s33, v7
	v_mul_u32_u24_e32 v8, 48, v1
	v_lshlrev_b64 v[1:2], 2, v[5:6]
	v_lshl_add_u32 v9, v10, 3, s15
	v_xor_b32_e32 v13, 2, v3
	v_xor_b32_e32 v14, 1, v3
	v_lshlrev_b32_e32 v21, 4, v7
	s_waitcnt lgkmcnt(0)
	s_add_u32 s3, s0, s42
	s_addc_u32 s1, s1, s43
	s_abs_i32 s41, s10
	v_cmp_neq_f32_e64 s0, s38, 0
	v_cvt_f32_u32_e32 v4, s41
	s_sub_i32 s42, 0, s41
	s_delay_alu instid0(VALU_DEP_1) | instskip(SKIP_2) | instid1(VALU_DEP_1)
	v_rcp_iflag_f32_e32 v4, v4
	s_waitcnt_depctr 0xfff
	v_dual_mul_f32 v16, 0x4f7ffffe, v4 :: v_dual_lshlrev_b32 v15, 2, v7
	v_lshl_or_b32 v19, v10, 5, v15
	v_dual_mov_b32 v4, 0xff7fffff :: v_dual_add_nc_u32 v15, 1, v18
	s_delay_alu instid0(VALU_DEP_3) | instskip(NEXT) | instid1(VALU_DEP_3)
	v_cvt_u32_f32_e32 v20, v16
	v_add_nc_u32_e32 v16, 0xe0, v19
	v_add_co_u32 v19, s3, s3, v21
	s_delay_alu instid0(VALU_DEP_1) | instskip(NEXT) | instid1(VALU_DEP_4)
	v_add_co_ci_u32_e64 v21, null, s1, 0, s3
	v_mul_lo_u32 v18, s42, v20
	s_lshl_b64 s[42:43], s[28:29], 2
	s_delay_alu instid0(SALU_CYCLE_1) | instskip(SKIP_2) | instid1(VALU_DEP_1)
	s_add_u32 s1, s26, s42
	s_addc_u32 s3, s27, s43
	v_add_co_u32 v1, s1, s1, v1
	v_add_co_ci_u32_e64 v2, s1, s3, v2, s1
	s_delay_alu instid0(VALU_DEP_3) | instskip(SKIP_1) | instid1(VALU_DEP_1)
	v_mul_hi_u32 v22, v20, v18
	v_add_co_u32 v17, s1, v19, v17
	v_add_co_ci_u32_e64 v18, s1, 0, v21, s1
	s_mov_b32 s42, 0
	s_mov_b32 s43, s5
	s_delay_alu instid0(VALU_DEP_3)
	v_dual_mov_b32 v20, v5 :: v_dual_add_nc_u32 v19, v20, v22
	s_branch .LBB71_13
.LBB71_11:                              ;   in Loop: Header=BB71_13 Depth=1
	s_or_b32 exec_lo, exec_lo, s44
.LBB71_12:                              ;   in Loop: Header=BB71_13 Depth=1
	s_delay_alu instid0(SALU_CYCLE_1) | instskip(SKIP_2) | instid1(VALU_DEP_1)
	s_or_b32 exec_lo, exec_lo, s3
	v_add_nc_u32_e32 v20, 4, v20
	v_add_co_u32 v1, s3, v1, 16
	v_add_co_ci_u32_e64 v2, s3, 0, v2, s3
	s_delay_alu instid0(VALU_DEP_3) | instskip(SKIP_2) | instid1(VALU_DEP_3)
	v_cmp_le_i32_e64 s1, s8, v20
	v_add_nc_u32_e32 v9, 32, v9
	v_add_nc_u32_e32 v16, 0x80, v16
	s_or_b32 s42, s1, s42
	s_delay_alu instid0(SALU_CYCLE_1)
	s_and_not1_b32 exec_lo, exec_lo, s42
	s_cbranch_execz .LBB71_18
.LBB71_13:                              ; =>This Inner Loop Header: Depth=1
	v_sub_nc_u32_e32 v21, 0, v9
	s_delay_alu instid0(VALU_DEP_1) | instskip(SKIP_1) | instid1(VALU_DEP_1)
	v_max_i32_e32 v21, v9, v21
	s_waitcnt lgkmcnt(0)
	v_mul_hi_u32 v22, v21, s25
	s_delay_alu instid0(VALU_DEP_1) | instskip(NEXT) | instid1(VALU_DEP_1)
	v_mul_lo_u32 v23, v22, s21
	v_sub_nc_u32_e32 v21, v21, v23
	v_add_nc_u32_e32 v23, 1, v22
	s_delay_alu instid0(VALU_DEP_2) | instskip(SKIP_1) | instid1(VALU_DEP_1)
	v_subrev_nc_u32_e32 v24, s21, v21
	v_cmp_le_u32_e64 s1, s21, v21
	v_cndmask_b32_e64 v22, v22, v23, s1
	s_delay_alu instid0(VALU_DEP_3) | instskip(SKIP_1) | instid1(VALU_DEP_3)
	v_cndmask_b32_e64 v21, v21, v24, s1
	v_ashrrev_i32_e32 v23, 31, v9
	v_add_nc_u32_e32 v24, 1, v22
	s_delay_alu instid0(VALU_DEP_3) | instskip(NEXT) | instid1(VALU_DEP_3)
	v_cmp_le_u32_e64 s1, s21, v21
	v_xor_b32_e32 v23, s11, v23
	s_delay_alu instid0(VALU_DEP_2) | instskip(NEXT) | instid1(VALU_DEP_1)
	v_cndmask_b32_e64 v21, v22, v24, s1
	v_xor_b32_e32 v21, v21, v23
	s_delay_alu instid0(VALU_DEP_1) | instskip(NEXT) | instid1(VALU_DEP_1)
	v_sub_nc_u32_e32 v21, v21, v23
	v_add_nc_u32_e32 v22, s36, v21
	v_cmp_ge_i32_e64 s3, s7, v21
	s_delay_alu instid0(VALU_DEP_2) | instskip(NEXT) | instid1(VALU_DEP_1)
	v_sub_nc_u32_e32 v23, 0, v22
	v_max_i32_e32 v23, v22, v23
	v_ashrrev_i32_e32 v22, 31, v22
	s_delay_alu instid0(VALU_DEP_2) | instskip(NEXT) | instid1(VALU_DEP_1)
	v_mul_hi_u32 v24, v23, v19
	v_mul_lo_u32 v24, v24, s41
	s_delay_alu instid0(VALU_DEP_1) | instskip(NEXT) | instid1(VALU_DEP_1)
	v_sub_nc_u32_e32 v23, v23, v24
	v_subrev_nc_u32_e32 v24, s41, v23
	v_cmp_le_u32_e64 s1, s41, v23
	s_delay_alu instid0(VALU_DEP_1) | instskip(NEXT) | instid1(VALU_DEP_1)
	v_cndmask_b32_e64 v23, v23, v24, s1
	v_subrev_nc_u32_e32 v24, s41, v23
	v_cmp_le_u32_e64 s1, s41, v23
	s_delay_alu instid0(VALU_DEP_1) | instskip(NEXT) | instid1(VALU_DEP_1)
	v_cndmask_b32_e64 v23, v23, v24, s1
	v_xor_b32_e32 v23, v23, v22
	s_delay_alu instid0(VALU_DEP_1) | instskip(NEXT) | instid1(VALU_DEP_1)
	v_sub_nc_u32_e32 v22, v23, v22
	v_cmp_ne_u32_e64 s1, 0, v22
	s_delay_alu instid0(VALU_DEP_1) | instskip(NEXT) | instid1(SALU_CYCLE_1)
	s_and_b32 s1, s1, s3
	s_and_b32 s44, vcc_lo, s1
	s_delay_alu instid0(SALU_CYCLE_1)
	s_and_saveexec_b32 s3, s44
	s_cbranch_execz .LBB71_15
; %bb.14:                               ;   in Loop: Header=BB71_13 Depth=1
	ds_store_b32 v16, v12
.LBB71_15:                              ;   in Loop: Header=BB71_13 Depth=1
	s_or_b32 exec_lo, exec_lo, s3
	s_xor_b32 s1, s1, -1
	s_delay_alu instid0(SALU_CYCLE_1)
	s_and_saveexec_b32 s3, s1
	s_cbranch_execz .LBB71_12
; %bb.16:                               ;   in Loop: Header=BB71_13 Depth=1
	global_load_b32 v23, v[1:2], off
	s_waitcnt vmcnt(0)
	v_mad_i64_i32 v[21:22], null, v23, s43, 0
	s_delay_alu instid0(VALU_DEP_1) | instskip(NEXT) | instid1(VALU_DEP_1)
	v_lshlrev_b64 v[21:22], 1, v[21:22]
	v_add_co_u32 v21, s1, v17, v21
	s_delay_alu instid0(VALU_DEP_1)
	v_add_co_ci_u32_e64 v22, s1, v18, v22, s1
	v_cmp_gt_i32_e64 s1, 32, v13
	s_clause 0xb
	global_load_b32 v23, v[21:22], off
	global_load_b32 v24, v[21:22], off offset:128
	global_load_b32 v25, v[21:22], off offset:256
	;; [unrolled: 1-line block ×11, first 2 shown]
	ds_load_b32 v34, v8
	s_waitcnt lgkmcnt(0)
	v_and_b32_e32 v22, 0xffff, v34
	v_lshrrev_b32_e32 v34, 16, v34
	;;#ASMSTART
	v_cvt_f32_f16 v22, v22;
	;;#ASMEND
	;;#ASMSTART
	v_cvt_f32_f16 v34, v34;
	;;#ASMEND
	s_waitcnt vmcnt(11)
	v_and_b32_e32 v35, 0xffff, v23
	v_lshrrev_b32_e32 v23, 16, v23
	;;#ASMSTART
	v_cvt_f32_f16 v35, v35;
	;;#ASMEND
	;;#ASMSTART
	v_cvt_f32_f16 v23, v23;
	;;#ASMEND
	ds_load_b32 v36, v8 offset:4
	s_waitcnt vmcnt(10)
	v_and_b32_e32 v38, 0xffff, v24
	v_lshrrev_b32_e32 v24, 16, v24
	s_waitcnt vmcnt(9)
	v_and_b32_e32 v41, 0xffff, v25
	v_lshrrev_b32_e32 v25, 16, v25
	;; [unrolled: 3-line block ×8, first 2 shown]
	s_waitcnt vmcnt(2)
	v_lshrrev_b32_e32 v61, 16, v32
	v_and_b32_e32 v32, 0xffff, v32
	s_waitcnt lgkmcnt(0)
	v_and_b32_e32 v37, 0xffff, v36
	v_lshrrev_b32_e32 v36, 16, v36
	;;#ASMSTART
	v_cvt_f32_f16 v37, v37;
	;;#ASMEND
	;;#ASMSTART
	v_cvt_f32_f16 v36, v36;
	;;#ASMEND
	;; [unrolled: 3-line block ×4, first 2 shown]
	ds_load_b32 v39, v8 offset:8
	v_dual_mul_f32 v24, v36, v24 :: v_dual_mul_f32 v37, v37, v38
	s_delay_alu instid0(VALU_DEP_1) | instskip(NEXT) | instid1(VALU_DEP_2)
	v_fmac_f32_e32 v24, v34, v23
	v_fmac_f32_e32 v37, v22, v35
	s_waitcnt vmcnt(1)
	v_lshrrev_b32_e32 v22, 16, v33
	s_waitcnt lgkmcnt(0)
	v_and_b32_e32 v40, 0xffff, v39
	v_lshrrev_b32_e32 v39, 16, v39
	;;#ASMSTART
	v_cvt_f32_f16 v40, v40;
	;;#ASMEND
	;;#ASMSTART
	v_cvt_f32_f16 v39, v39;
	;;#ASMEND
	;; [unrolled: 3-line block ×4, first 2 shown]
	ds_load_b32 v42, v8 offset:12
	v_fmac_f32_e32 v37, v40, v41
	s_waitcnt lgkmcnt(0)
	v_dual_fmac_f32 v24, v39, v25 :: v_dual_and_b32 v43, 0xffff, v42
	v_lshrrev_b32_e32 v42, 16, v42
	;;#ASMSTART
	v_cvt_f32_f16 v43, v43;
	;;#ASMEND
	;;#ASMSTART
	v_cvt_f32_f16 v42, v42;
	;;#ASMEND
	;; [unrolled: 3-line block ×4, first 2 shown]
	ds_load_b32 v45, v8 offset:16
	v_dual_fmac_f32 v24, v42, v26 :: v_dual_fmac_f32 v37, v43, v44
	s_waitcnt lgkmcnt(0)
	v_and_b32_e32 v46, 0xffff, v45
	v_lshrrev_b32_e32 v45, 16, v45
	;;#ASMSTART
	v_cvt_f32_f16 v46, v46;
	;;#ASMEND
	;;#ASMSTART
	v_cvt_f32_f16 v45, v45;
	;;#ASMEND
	;; [unrolled: 3-line block ×4, first 2 shown]
	ds_load_b32 v48, v8 offset:20
	v_fmac_f32_e32 v24, v45, v27
	v_fmac_f32_e32 v37, v46, v47
	s_waitcnt lgkmcnt(0)
	v_and_b32_e32 v49, 0xffff, v48
	v_lshrrev_b32_e32 v48, 16, v48
	;;#ASMSTART
	v_cvt_f32_f16 v49, v49;
	;;#ASMEND
	;;#ASMSTART
	v_cvt_f32_f16 v48, v48;
	;;#ASMEND
	;; [unrolled: 3-line block ×4, first 2 shown]
	ds_load_b32 v51, v8 offset:24
	v_dual_fmac_f32 v37, v49, v50 :: v_dual_fmac_f32 v24, v48, v28
	v_cndmask_b32_e64 v28, v3, v13, s1
	v_cmp_gt_i32_e64 s1, 32, v14
	s_waitcnt lgkmcnt(0)
	v_and_b32_e32 v52, 0xffff, v51
	v_lshrrev_b32_e32 v51, 16, v51
	;;#ASMSTART
	v_cvt_f32_f16 v52, v52;
	;;#ASMEND
	;;#ASMSTART
	v_cvt_f32_f16 v51, v51;
	;;#ASMEND
	;; [unrolled: 3-line block ×4, first 2 shown]
	ds_load_b32 v54, v8 offset:28
	v_fmac_f32_e32 v24, v51, v29
	v_fmac_f32_e32 v37, v52, v53
	s_waitcnt vmcnt(0)
	v_lshrrev_b32_e32 v29, 16, v21
	s_waitcnt lgkmcnt(0)
	v_and_b32_e32 v55, 0xffff, v54
	v_lshrrev_b32_e32 v54, 16, v54
	;;#ASMSTART
	v_cvt_f32_f16 v55, v55;
	;;#ASMEND
	;;#ASMSTART
	v_cvt_f32_f16 v54, v54;
	;;#ASMEND
	;; [unrolled: 3-line block ×4, first 2 shown]
	ds_load_b32 v57, v8 offset:32
	v_dual_fmac_f32 v37, v55, v56 :: v_dual_fmac_f32 v24, v54, v30
	s_waitcnt lgkmcnt(0)
	v_and_b32_e32 v58, 0xffff, v57
	v_lshrrev_b32_e32 v57, 16, v57
	;;#ASMSTART
	v_cvt_f32_f16 v58, v58;
	;;#ASMEND
	;;#ASMSTART
	v_cvt_f32_f16 v57, v57;
	;;#ASMEND
	;; [unrolled: 3-line block ×4, first 2 shown]
	ds_load_b32 v60, v8 offset:36
	v_fmac_f32_e32 v37, v58, v59
	v_fmac_f32_e32 v24, v57, v31
	s_waitcnt lgkmcnt(0)
	v_and_b32_e32 v62, 0xffff, v60
	v_lshrrev_b32_e32 v60, 16, v60
	;;#ASMSTART
	v_cvt_f32_f16 v36, v62;
	;;#ASMEND
	;;#ASMSTART
	v_cvt_f32_f16 v38, v60;
	;;#ASMEND
	;;#ASMSTART
	v_cvt_f32_f16 v32, v32;
	;;#ASMEND
	;;#ASMSTART
	v_cvt_f32_f16 v60, v61;
	;;#ASMEND
	ds_load_b32 v61, v8 offset:40
	v_dual_fmac_f32 v37, v36, v32 :: v_dual_and_b32 v26, 0xffff, v33
	s_waitcnt lgkmcnt(0)
	v_dual_fmac_f32 v24, v38, v60 :: v_dual_and_b32 v23, 0xffff, v61
	v_lshrrev_b32_e32 v25, 16, v61
	;;#ASMSTART
	v_cvt_f32_f16 v23, v23;
	;;#ASMEND
	;;#ASMSTART
	v_cvt_f32_f16 v25, v25;
	;;#ASMEND
	;; [unrolled: 3-line block ×4, first 2 shown]
	ds_load_b32 v27, v8 offset:44
	v_dual_fmac_f32 v24, v25, v22 :: v_dual_and_b32 v21, 0xffff, v21
	s_waitcnt lgkmcnt(0)
	v_dual_fmac_f32 v37, v23, v26 :: v_dual_and_b32 v30, 0xffff, v27
	v_lshrrev_b32_e32 v27, 16, v27
	;;#ASMSTART
	v_cvt_f32_f16 v22, v30;
	;;#ASMEND
	;;#ASMSTART
	v_cvt_f32_f16 v23, v27;
	;;#ASMEND
	;;#ASMSTART
	v_cvt_f32_f16 v21, v21;
	;;#ASMEND
	;;#ASMSTART
	v_cvt_f32_f16 v25, v29;
	;;#ASMEND
	v_fmac_f32_e32 v37, v22, v21
	v_dual_fmac_f32 v24, v23, v25 :: v_dual_lshlrev_b32 v21, 2, v28
	v_cndmask_b32_e64 v23, v3, v14, s1
	s_delay_alu instid0(VALU_DEP_2)
	v_add_f32_e32 v22, v37, v24
	ds_bpermute_b32 v21, v21, v22
	s_waitcnt lgkmcnt(0)
	v_dual_add_f32 v21, v22, v21 :: v_dual_lshlrev_b32 v22, 2, v23
	ds_bpermute_b32 v22, v22, v21
	s_and_saveexec_b32 s44, vcc_lo
	s_cbranch_execz .LBB71_11
; %bb.17:                               ;   in Loop: Header=BB71_13 Depth=1
	v_add_nc_u32_e32 v23, v15, v9
	s_waitcnt lgkmcnt(0)
	v_add_f32_e32 v21, v21, v22
	s_delay_alu instid0(VALU_DEP_2) | instskip(NEXT) | instid1(VALU_DEP_1)
	v_cvt_f32_i32_e32 v23, v23
	v_mul_f32_e32 v23, s38, v23
	s_delay_alu instid0(VALU_DEP_1) | instskip(NEXT) | instid1(VALU_DEP_1)
	v_cndmask_b32_e64 v22, 0, v23, s0
	v_dual_max_f32 v23, v4, v4 :: v_dual_fmac_f32 v22, s35, v21
	v_add_nc_u32_e32 v21, v7, v9
	s_delay_alu instid0(VALU_DEP_2) | instskip(NEXT) | instid1(VALU_DEP_2)
	v_max_f32_e32 v23, v23, v22
	v_cmp_gt_i32_e64 s1, s33, v21
	s_delay_alu instid0(VALU_DEP_1) | instskip(NEXT) | instid1(VALU_DEP_3)
	v_cndmask_b32_e64 v21, 0, v22, s1
	v_cndmask_b32_e64 v4, v4, v23, s1
	ds_store_b32 v16, v21
	s_branch .LBB71_11
.LBB71_18:
	s_or_b32 exec_lo, exec_lo, s42
.LBB71_19:
	s_delay_alu instid0(SALU_CYCLE_1) | instskip(SKIP_4) | instid1(VALU_DEP_4)
	s_or_b32 exec_lo, exec_lo, s40
	v_xor_b32_e32 v1, 16, v3
	v_xor_b32_e32 v7, 8, v3
	v_and_b32_e32 v12, 31, v0
	v_max_f32_e32 v8, v4, v4
	v_cmp_gt_i32_e32 vcc_lo, 32, v1
	v_cndmask_b32_e32 v1, v3, v1, vcc_lo
	v_cmp_gt_i32_e32 vcc_lo, 32, v7
	s_delay_alu instid0(VALU_DEP_2) | instskip(SKIP_3) | instid1(VALU_DEP_1)
	v_lshlrev_b32_e32 v2, 2, v1
	ds_bpermute_b32 v1, v2, v4
	s_waitcnt lgkmcnt(0)
	v_dual_cndmask_b32 v4, v3, v7 :: v_dual_max_f32 v1, v1, v1
	v_dual_max_f32 v1, v8, v1 :: v_dual_lshlrev_b32 v4, 2, v4
	v_xor_b32_e32 v8, 4, v3
	ds_bpermute_b32 v7, v4, v1
	v_cmp_gt_i32_e32 vcc_lo, 32, v8
	s_waitcnt lgkmcnt(0)
	v_max_f32_e32 v7, v7, v7
	v_cndmask_b32_e32 v8, v3, v8, vcc_lo
	v_cmp_eq_u32_e32 vcc_lo, 0, v12
	s_delay_alu instid0(VALU_DEP_2)
	v_dual_max_f32 v1, v1, v7 :: v_dual_lshlrev_b32 v8, 2, v8
	v_lshlrev_b32_e32 v7, 2, v10
	ds_bpermute_b32 v9, v8, v1
	s_and_saveexec_b32 s0, vcc_lo
	s_cbranch_execz .LBB71_21
; %bb.20:
	s_waitcnt lgkmcnt(0)
	v_max_f32_e32 v9, v9, v9
	v_max_f32_e32 v1, v1, v1
	s_delay_alu instid0(VALU_DEP_1)
	v_max_f32_e32 v1, v1, v9
	ds_store_b32 v7, v1 offset:192
.LBB71_21:
	s_or_b32 exec_lo, exec_lo, s0
	v_cmp_gt_u32_e64 s0, 4, v12
	v_mov_b32_e32 v1, 0xff7fffff
	v_lshlrev_b32_e32 v13, 2, v12
	s_waitcnt lgkmcnt(0)
	s_barrier
	buffer_gl0_inv
	s_and_saveexec_b32 s1, s0
	s_cbranch_execz .LBB71_23
; %bb.22:
	ds_load_b32 v1, v13 offset:192
.LBB71_23:
	s_or_b32 exec_lo, exec_lo, s1
	v_xor_b32_e32 v9, 2, v3
	v_xor_b32_e32 v15, 1, v3
	s_delay_alu instid0(VALU_DEP_2) | instskip(NEXT) | instid1(VALU_DEP_1)
	v_cmp_gt_i32_e64 s1, 32, v9
	v_cndmask_b32_e64 v9, v3, v9, s1
	s_delay_alu instid0(VALU_DEP_3) | instskip(NEXT) | instid1(VALU_DEP_2)
	v_cmp_gt_i32_e64 s1, 32, v15
	v_lshlrev_b32_e32 v9, 2, v9
	s_delay_alu instid0(VALU_DEP_2) | instskip(SKIP_1) | instid1(SALU_CYCLE_1)
	v_cndmask_b32_e64 v3, v3, v15, s1
	s_sub_i32 s1, s8, s39
	s_lshl_b32 s1, s1, 3
	s_waitcnt lgkmcnt(0)
	ds_bpermute_b32 v14, v9, v1
	v_max_f32_e32 v1, v1, v1
	s_add_i32 s1, s1, s15
	s_delay_alu instid0(SALU_CYCLE_1) | instskip(NEXT) | instid1(SALU_CYCLE_1)
	s_min_i32 s1, s1, s33
	s_sub_i32 s7, s1, s15
	s_delay_alu instid0(SALU_CYCLE_1) | instskip(SKIP_2) | instid1(VALU_DEP_1)
	v_cmp_gt_i32_e64 s1, s7, v0
	s_waitcnt lgkmcnt(0)
	v_dual_max_f32 v15, v14, v14 :: v_dual_lshlrev_b32 v14, 2, v3
	v_max_f32_e32 v1, v1, v15
	v_mov_b32_e32 v15, 0
	ds_bpermute_b32 v3, v14, v1
	s_waitcnt lgkmcnt(0)
	v_max_f32_e32 v3, v3, v3
	s_delay_alu instid0(VALU_DEP_1)
	v_max_f32_e32 v1, v1, v3
	v_lshl_add_u32 v3, v0, 2, 0xe0
	ds_bpermute_b32 v1, v15, v1
	s_and_saveexec_b32 s15, s1
	s_cbranch_execz .LBB71_27
; %bb.24:
	v_lshl_add_u32 v16, v0, 2, 0xe0
	v_mov_b32_e32 v15, 0
	v_mov_b32_e32 v17, v0
	s_mov_b32 s35, 0
	.p2align	6
.LBB71_25:                              ; =>This Inner Loop Header: Depth=1
	ds_load_b32 v18, v16
	v_add_nc_u32_e32 v17, 0x80, v17
	s_delay_alu instid0(VALU_DEP_1) | instskip(NEXT) | instid1(VALU_DEP_1)
	v_cmp_le_i32_e64 s3, s7, v17
	s_or_b32 s35, s3, s35
	s_waitcnt lgkmcnt(0)
	v_sub_f32_e32 v18, v18, v1
	s_delay_alu instid0(VALU_DEP_1) | instskip(NEXT) | instid1(VALU_DEP_1)
	v_mul_f32_e32 v18, 0x3fb8aa3b, v18
	v_exp_f32_e32 v18, v18
	ds_store_b32 v16, v18
	v_dual_add_f32 v15, v15, v18 :: v_dual_add_nc_u32 v16, 0x200, v16
	s_and_not1_b32 exec_lo, exec_lo, s35
	s_cbranch_execnz .LBB71_25
; %bb.26:
	s_or_b32 exec_lo, exec_lo, s35
.LBB71_27:
	s_delay_alu instid0(SALU_CYCLE_1)
	s_or_b32 exec_lo, exec_lo, s15
	ds_bpermute_b32 v2, v2, v15
	s_waitcnt lgkmcnt(0)
	v_add_f32_e32 v2, v15, v2
	ds_bpermute_b32 v4, v4, v2
	s_waitcnt lgkmcnt(0)
	v_add_f32_e32 v2, v2, v4
	;; [unrolled: 3-line block ×5, first 2 shown]
	s_and_saveexec_b32 s3, vcc_lo
	s_cbranch_execz .LBB71_29
; %bb.28:
	ds_store_b32 v7, v2 offset:208
.LBB71_29:
	s_or_b32 exec_lo, exec_lo, s3
	s_waitcnt lgkmcnt(0)
	s_barrier
	buffer_gl0_inv
	s_and_saveexec_b32 s3, s0
	s_cbranch_execz .LBB71_31
; %bb.30:
	ds_load_b32 v2, v13 offset:208
.LBB71_31:
	s_or_b32 exec_lo, exec_lo, s3
	s_waitcnt lgkmcnt(0)
	ds_bpermute_b32 v4, v9, v2
	s_waitcnt lgkmcnt(0)
	v_add_f32_e32 v2, v2, v4
	ds_bpermute_b32 v4, v14, v2
	s_waitcnt lgkmcnt(0)
	v_add_f32_e32 v2, v2, v4
	v_mov_b32_e32 v4, 0
	ds_bpermute_b32 v2, v4, v2
	s_and_saveexec_b32 s0, s1
	s_cbranch_execz .LBB71_34
; %bb.32:
	s_waitcnt lgkmcnt(0)
	v_add_f32_e32 v4, 0x358637bd, v2
	s_mov_b32 s1, 0
	s_delay_alu instid0(VALU_DEP_1) | instskip(SKIP_1) | instid1(VALU_DEP_2)
	v_div_scale_f32 v7, null, v4, v4, 1.0
	v_div_scale_f32 v14, vcc_lo, 1.0, v4, 1.0
	v_rcp_f32_e32 v8, v7
	s_waitcnt_depctr 0xfff
	v_fma_f32 v9, -v7, v8, 1.0
	s_delay_alu instid0(VALU_DEP_1) | instskip(NEXT) | instid1(VALU_DEP_1)
	v_fmac_f32_e32 v8, v9, v8
	v_mul_f32_e32 v9, v14, v8
	s_delay_alu instid0(VALU_DEP_1) | instskip(NEXT) | instid1(VALU_DEP_1)
	v_fma_f32 v15, -v7, v9, v14
	v_fmac_f32_e32 v9, v15, v8
	s_delay_alu instid0(VALU_DEP_1) | instskip(NEXT) | instid1(VALU_DEP_1)
	v_fma_f32 v7, -v7, v9, v14
	v_div_fmas_f32 v7, v7, v8, v9
	s_delay_alu instid0(VALU_DEP_1)
	v_div_fixup_f32 v4, v7, v4, 1.0
	v_mov_b32_e32 v7, v0
.LBB71_33:                              ; =>This Inner Loop Header: Depth=1
	ds_load_b32 v8, v3
	s_waitcnt lgkmcnt(0)
	v_dual_mul_f32 v8, v4, v8 :: v_dual_add_nc_u32 v7, 0x80, v7
	s_delay_alu instid0(VALU_DEP_1) | instskip(SKIP_3) | instid1(SALU_CYCLE_1)
	v_cmp_le_i32_e32 vcc_lo, s7, v7
	ds_store_b32 v3, v8
	v_add_nc_u32_e32 v3, 0x200, v3
	s_or_b32 s1, vcc_lo, s1
	s_and_not1_b32 exec_lo, exec_lo, s1
	s_cbranch_execnz .LBB71_33
.LBB71_34:
	s_or_b32 exec_lo, exec_lo, s0
	s_mul_i32 s0, s4, s14
	s_waitcnt lgkmcnt(0)
	s_mul_i32 s14, s0, s13
	s_mov_b32 s0, exec_lo
	s_barrier
	buffer_gl0_inv
	v_cmpx_eq_u32_e32 0, v0
	s_cbranch_execz .LBB71_36
; %bb.35:
	s_ashr_i32 s15, s14, 31
	s_mul_i32 s40, s4, s24
	s_lshl_b64 s[38:39], s[14:15], 2
	v_mov_b32_e32 v3, 0
	s_add_u32 s1, s18, s38
	s_addc_u32 s3, s19, s39
	s_ashr_i32 s41, s40, 31
	s_delay_alu instid0(SALU_CYCLE_1) | instskip(NEXT) | instid1(SALU_CYCLE_1)
	s_lshl_b64 s[18:19], s[40:41], 2
	s_add_u32 s1, s1, s18
	s_addc_u32 s3, s3, s19
	s_ashr_i32 s13, s12, 31
	s_delay_alu instid0(SALU_CYCLE_1) | instskip(NEXT) | instid1(SALU_CYCLE_1)
	s_lshl_b64 s[40:41], s[12:13], 2
	s_add_u32 s42, s1, s40
	s_addc_u32 s43, s3, s41
	s_add_u32 s1, s16, s38
	s_addc_u32 s3, s17, s39
	;; [unrolled: 2-line block ×4, first 2 shown]
	s_clause 0x1
	global_store_b32 v3, v1, s[42:43]
	global_store_b32 v3, v2, s[16:17]
.LBB71_36:
	s_or_b32 exec_lo, exec_lo, s0
	v_dual_mov_b32 v16, 0 :: v_dual_mov_b32 v15, 0
	v_mov_b32_e32 v14, 0
	s_mov_b32 s3, 0
	s_and_saveexec_b32 s1, s2
	s_cbranch_execz .LBB71_48
; %bb.37:
	s_ashr_i32 s7, s6, 31
	s_sub_i32 s2, s37, s9
	s_lshl_b64 s[6:7], s[6:7], 1
	v_dual_mov_b32 v16, 0 :: v_dual_lshlrev_b32 v7, 4, v12
	s_add_u32 s0, s30, s6
	s_addc_u32 s15, s31, s7
	s_abs_i32 s6, s10
	s_delay_alu instid0(VALU_DEP_1) | instskip(SKIP_4) | instid1(VALU_DEP_2)
	v_add_co_u32 v18, s0, s0, v7
	v_cvt_f32_u32_e32 v1, s6
	s_sub_i32 s16, 0, s6
	s_add_i32 s34, s34, -1
	v_add_co_ci_u32_e64 v19, null, s15, 0, s0
	v_rcp_iflag_f32_e32 v1, v1
	v_lshl_add_u32 v17, v10, 5, 0xe0
	s_mov_b32 s7, s33
	s_mov_b32 s9, s33
	s_mov_b32 s10, s33
	s_mov_b32 s13, s33
	s_waitcnt_depctr 0xfff
	v_dual_mov_b32 v14, 0 :: v_dual_mul_f32 v1, 0x4f7ffffe, v1
	s_delay_alu instid0(VALU_DEP_1) | instskip(SKIP_1) | instid1(VALU_DEP_2)
	v_cvt_u32_f32_e32 v3, v1
	v_lshlrev_b64 v[1:2], 2, v[5:6]
	v_mul_lo_u32 v4, s16, v3
	s_lshl_b64 s[16:17], s[28:29], 2
	s_delay_alu instid0(SALU_CYCLE_1) | instskip(SKIP_1) | instid1(VALU_DEP_2)
	s_add_u32 s0, s26, s16
	s_addc_u32 s15, s27, s17
	v_add_co_u32 v6, vcc_lo, s0, v1
	v_add_co_ci_u32_e32 v7, vcc_lo, s15, v2, vcc_lo
	s_delay_alu instid0(VALU_DEP_3) | instskip(SKIP_4) | instid1(VALU_DEP_2)
	v_mul_hi_u32 v4, v3, v4
	v_mov_b32_e32 v15, 0
	s_mov_b32 s15, s33
	s_mov_b32 s16, s33
	;; [unrolled: 1-line block ×3, first 2 shown]
	v_add_nc_u32_e32 v20, v3, v4
	s_branch .LBB71_40
.LBB71_38:                              ;   in Loop: Header=BB71_40 Depth=1
	s_or_b32 exec_lo, exec_lo, s0
	s_waitcnt vmcnt(0)
	;;#ASMSTART
	v_pk_mul_f16 v1, v33, v1;

	;;#ASMEND
	;;#ASMSTART
	v_pk_mul_f16 v2, v32, v2;

	;;#ASMEND
	;; [unrolled: 4-line block ×4, first 2 shown]
	;;#ASMSTART
	v_pk_add_f16 v1, v1, v2;

	;;#ASMEND
	;;#ASMSTART
	v_pk_add_f16 v1, v1, v3;

	;;#ASMEND
	;; [unrolled: 4-line block ×3, first 2 shown]
	v_dual_add_f32 v3, v34, v35 :: v_dual_and_b32 v2, 0xffff, v1
	v_lshrrev_b32_e32 v1, 16, v1
	;;#ASMSTART
	v_cvt_f32_f16 v2, v2;
	;;#ASMEND
	;;#ASMSTART
	v_cvt_f32_f16 v1, v1;
	;;#ASMEND
	s_delay_alu instid0(VALU_DEP_1) | instskip(NEXT) | instid1(VALU_DEP_1)
	v_dual_add_f32 v4, v29, v30 :: v_dual_add_f32 v1, v2, v1
	v_dual_add_f32 v15, v15, v3 :: v_dual_add_f32 v14, v14, v4
	s_delay_alu instid0(VALU_DEP_2)
	v_add_f32_e32 v16, v16, v1
.LBB71_39:                              ;   in Loop: Header=BB71_40 Depth=1
	s_or_b32 exec_lo, exec_lo, s18
	v_add_nc_u32_e32 v5, 4, v5
	v_add_co_u32 v6, s0, v6, 16
	s_delay_alu instid0(VALU_DEP_1) | instskip(NEXT) | instid1(VALU_DEP_3)
	v_add_co_ci_u32_e64 v7, s0, 0, v7, s0
	v_cmp_le_i32_e32 vcc_lo, s8, v5
	v_add_nc_u32_e32 v11, 32, v11
	v_add_nc_u32_e32 v17, 0x80, v17
	s_or_b32 s3, vcc_lo, s3
	s_delay_alu instid0(SALU_CYCLE_1)
	s_and_not1_b32 exec_lo, exec_lo, s3
	s_cbranch_execz .LBB71_47
.LBB71_40:                              ; =>This Inner Loop Header: Depth=1
	v_sub_nc_u32_e32 v1, 0, v11
	s_delay_alu instid0(VALU_DEP_1) | instskip(NEXT) | instid1(VALU_DEP_1)
	v_max_i32_e32 v1, v11, v1
	v_mul_hi_u32 v2, v1, s25
	s_delay_alu instid0(VALU_DEP_1) | instskip(NEXT) | instid1(VALU_DEP_1)
	v_mul_lo_u32 v3, v2, s21
	v_sub_nc_u32_e32 v1, v1, v3
	v_add_nc_u32_e32 v3, 1, v2
	s_delay_alu instid0(VALU_DEP_2) | instskip(SKIP_1) | instid1(VALU_DEP_2)
	v_subrev_nc_u32_e32 v4, s21, v1
	v_cmp_le_u32_e32 vcc_lo, s21, v1
	v_dual_cndmask_b32 v2, v2, v3 :: v_dual_cndmask_b32 v1, v1, v4
	v_ashrrev_i32_e32 v3, 31, v11
	s_delay_alu instid0(VALU_DEP_2) | instskip(NEXT) | instid1(VALU_DEP_3)
	v_add_nc_u32_e32 v4, 1, v2
	v_cmp_le_u32_e32 vcc_lo, s21, v1
	s_delay_alu instid0(VALU_DEP_3) | instskip(NEXT) | instid1(VALU_DEP_3)
	v_xor_b32_e32 v3, s11, v3
	v_cndmask_b32_e32 v1, v2, v4, vcc_lo
	s_delay_alu instid0(VALU_DEP_1) | instskip(NEXT) | instid1(VALU_DEP_1)
	v_xor_b32_e32 v1, v1, v3
	v_sub_nc_u32_e32 v1, v1, v3
	s_delay_alu instid0(VALU_DEP_1) | instskip(SKIP_1) | instid1(VALU_DEP_2)
	v_add_nc_u32_e32 v2, s36, v1
	v_cmp_lt_i32_e64 s0, s2, v1
	v_sub_nc_u32_e32 v3, 0, v2
	s_delay_alu instid0(VALU_DEP_1) | instskip(NEXT) | instid1(VALU_DEP_1)
	v_max_i32_e32 v3, v2, v3
	v_mul_hi_u32 v4, v3, v20
	s_delay_alu instid0(VALU_DEP_1) | instskip(NEXT) | instid1(VALU_DEP_1)
	v_mul_lo_u32 v4, v4, s6
	v_sub_nc_u32_e32 v3, v3, v4
	s_delay_alu instid0(VALU_DEP_1) | instskip(SKIP_1) | instid1(VALU_DEP_2)
	v_subrev_nc_u32_e32 v4, s6, v3
	v_cmp_le_u32_e32 vcc_lo, s6, v3
	v_cndmask_b32_e32 v3, v3, v4, vcc_lo
	v_ashrrev_i32_e32 v2, 31, v2
	s_delay_alu instid0(VALU_DEP_2) | instskip(SKIP_1) | instid1(VALU_DEP_2)
	v_subrev_nc_u32_e32 v4, s6, v3
	v_cmp_le_u32_e32 vcc_lo, s6, v3
	v_cndmask_b32_e32 v3, v3, v4, vcc_lo
	s_delay_alu instid0(VALU_DEP_1) | instskip(NEXT) | instid1(VALU_DEP_1)
	v_xor_b32_e32 v3, v3, v2
	v_sub_nc_u32_e32 v2, v3, v2
	s_delay_alu instid0(VALU_DEP_1) | instskip(SKIP_1) | instid1(SALU_CYCLE_1)
	v_cmp_eq_u32_e32 vcc_lo, 0, v2
	s_or_b32 s0, vcc_lo, s0
	s_and_saveexec_b32 s18, s0
	s_cbranch_execz .LBB71_39
; %bb.41:                               ;   in Loop: Header=BB71_40 Depth=1
	global_load_b32 v25, v[6:7], off
	ds_load_2addr_b64 v[1:4], v17 offset1:1
	ds_load_2addr_b64 v[21:24], v17 offset0:2 offset1:3
	v_or_b32_e32 v26, 7, v11
	v_or_b32_e32 v27, 6, v11
	s_waitcnt lgkmcnt(1)
	;;#ASMSTART
	v_cvt_f16_f32 v31, v1;

	;;#ASMEND
	;;#ASMSTART
	v_cvt_f16_f32 v28, v2;

	;;#ASMEND
	;; [unrolled: 4-line block ×4, first 2 shown]
	s_waitcnt lgkmcnt(0)
	;;#ASMSTART
	v_cvt_f16_f32 v33, v21;

	;;#ASMEND
	;;#ASMSTART
	v_cvt_f16_f32 v30, v22;

	;;#ASMEND
	;; [unrolled: 4-line block ×4, first 2 shown]
	v_add_nc_u32_e32 v21, 1, v11
	v_or_b32_e32 v23, 3, v11
	v_or_b32_e32 v22, 2, v11
	;; [unrolled: 1-line block ×3, first 2 shown]
	s_waitcnt vmcnt(0)
	v_mad_i64_i32 v[8:9], null, v25, s5, 0
	v_or_b32_e32 v25, 5, v11
	s_delay_alu instid0(VALU_DEP_2) | instskip(NEXT) | instid1(VALU_DEP_1)
	v_lshlrev_b64 v[8:9], 1, v[8:9]
	v_add_co_u32 v8, vcc_lo, v18, v8
	s_delay_alu instid0(VALU_DEP_2)
	v_add_co_ci_u32_e32 v9, vcc_lo, v19, v9, vcc_lo
	v_cmp_eq_u32_e32 vcc_lo, s34, v5
	global_load_b128 v[1:4], v[8:9], off
	s_and_saveexec_b32 s19, vcc_lo
	s_cbranch_execz .LBB71_43
; %bb.42:                               ;   in Loop: Header=BB71_40 Depth=1
	v_cmp_gt_i32_e64 s0, s16, v27
	s_waitcnt vmcnt(0)
	v_lshrrev_b32_e32 v36, 16, v4
	v_lshrrev_b32_e32 v37, 16, v3
	;; [unrolled: 1-line block ×4, first 2 shown]
	v_cndmask_b32_e64 v4, 0, v4, s0
	v_cmp_gt_i32_e64 s0, s17, v26
	s_delay_alu instid0(VALU_DEP_1) | instskip(SKIP_1) | instid1(VALU_DEP_2)
	v_cndmask_b32_e64 v36, 0, v36, s0
	v_cmp_gt_i32_e64 s0, s15, v25
	v_perm_b32 v4, v36, v4, 0x5040100
	s_delay_alu instid0(VALU_DEP_2) | instskip(SKIP_1) | instid1(VALU_DEP_1)
	v_cndmask_b32_e64 v37, 0, v37, s0
	v_cmp_gt_i32_e64 s0, s13, v24
	v_cndmask_b32_e64 v3, 0, v3, s0
	v_cmp_gt_i32_e64 s0, s10, v23
	s_delay_alu instid0(VALU_DEP_2) | instskip(NEXT) | instid1(VALU_DEP_2)
	v_perm_b32 v3, v37, v3, 0x5040100
	v_cndmask_b32_e64 v38, 0, v38, s0
	v_cmp_gt_i32_e64 s0, s9, v22
	s_delay_alu instid0(VALU_DEP_1) | instskip(SKIP_1) | instid1(VALU_DEP_2)
	v_cndmask_b32_e64 v2, 0, v2, s0
	v_cmp_gt_i32_e64 s0, s7, v21
	v_perm_b32 v2, v38, v2, 0x5040100
	s_delay_alu instid0(VALU_DEP_2) | instskip(SKIP_1) | instid1(VALU_DEP_1)
	v_cndmask_b32_e64 v39, 0, v39, s0
	v_cmp_gt_i32_e64 s0, s33, v11
	v_cndmask_b32_e64 v1, 0, v1, s0
	s_delay_alu instid0(VALU_DEP_1)
	v_perm_b32 v1, v39, v1, 0x5040100
.LBB71_43:                              ;   in Loop: Header=BB71_40 Depth=1
	s_or_b32 exec_lo, exec_lo, s19
	v_and_b32_e32 v31, 0xffff, v31
	v_and_b32_e32 v32, 0xffff, v32
	;; [unrolled: 1-line block ×4, first 2 shown]
	s_delay_alu instid0(VALU_DEP_4)
	v_lshl_or_b32 v33, v28, 16, v31
	s_waitcnt vmcnt(0)
	;;#ASMSTART
	v_pk_mul_f16 v1, v33, v1;

	;;#ASMEND
	v_lshl_or_b32 v32, v29, 16, v32
	v_lshl_or_b32 v31, v30, 16, v36
	;; [unrolled: 1-line block ×3, first 2 shown]
	;;#ASMSTART
	v_pk_mul_f16 v2, v32, v2;

	;;#ASMEND
	;;#ASMSTART
	v_pk_mul_f16 v3, v31, v3;

	;;#ASMEND
	;; [unrolled: 4-line block ×3, first 2 shown]
	;;#ASMSTART
	v_pk_add_f16 v1, v1, v2;

	;;#ASMEND
	;;#ASMSTART
	v_pk_add_f16 v1, v1, v3;

	;;#ASMEND
	;; [unrolled: 4-line block ×3, first 2 shown]
	v_and_b32_e32 v2, 0xffff, v1
	v_lshrrev_b32_e32 v1, 16, v1
	;;#ASMSTART
	v_cvt_f32_f16 v29, v2;
	;;#ASMEND
	;;#ASMSTART
	v_cvt_f32_f16 v30, v1;
	;;#ASMEND
	global_load_b128 v[1:4], v[8:9], off offset:512
	s_and_saveexec_b32 s19, vcc_lo
	s_cbranch_execz .LBB71_45
; %bb.44:                               ;   in Loop: Header=BB71_40 Depth=1
	v_cmp_gt_i32_e64 s0, s16, v27
	s_waitcnt vmcnt(0)
	v_lshrrev_b32_e32 v34, 16, v4
	v_lshrrev_b32_e32 v35, 16, v3
	;; [unrolled: 1-line block ×4, first 2 shown]
	v_cndmask_b32_e64 v4, 0, v4, s0
	v_cmp_gt_i32_e64 s0, s17, v26
	s_delay_alu instid0(VALU_DEP_1) | instskip(SKIP_1) | instid1(VALU_DEP_2)
	v_cndmask_b32_e64 v34, 0, v34, s0
	v_cmp_gt_i32_e64 s0, s15, v25
	v_perm_b32 v4, v34, v4, 0x5040100
	s_delay_alu instid0(VALU_DEP_2) | instskip(SKIP_1) | instid1(VALU_DEP_1)
	v_cndmask_b32_e64 v35, 0, v35, s0
	v_cmp_gt_i32_e64 s0, s13, v24
	v_cndmask_b32_e64 v3, 0, v3, s0
	v_cmp_gt_i32_e64 s0, s10, v23
	s_delay_alu instid0(VALU_DEP_2) | instskip(NEXT) | instid1(VALU_DEP_2)
	v_perm_b32 v3, v35, v3, 0x5040100
	v_cndmask_b32_e64 v36, 0, v36, s0
	v_cmp_gt_i32_e64 s0, s9, v22
	s_delay_alu instid0(VALU_DEP_1) | instskip(SKIP_1) | instid1(VALU_DEP_2)
	v_cndmask_b32_e64 v2, 0, v2, s0
	v_cmp_gt_i32_e64 s0, s7, v21
	v_perm_b32 v2, v36, v2, 0x5040100
	s_delay_alu instid0(VALU_DEP_2) | instskip(SKIP_1) | instid1(VALU_DEP_1)
	v_cndmask_b32_e64 v37, 0, v37, s0
	v_cmp_gt_i32_e64 s0, s33, v11
	v_cndmask_b32_e64 v1, 0, v1, s0
	s_delay_alu instid0(VALU_DEP_1)
	v_perm_b32 v1, v37, v1, 0x5040100
.LBB71_45:                              ;   in Loop: Header=BB71_40 Depth=1
	s_or_b32 exec_lo, exec_lo, s19
	s_waitcnt vmcnt(0)
	;;#ASMSTART
	v_pk_mul_f16 v1, v33, v1;

	;;#ASMEND
	;;#ASMSTART
	v_pk_mul_f16 v2, v32, v2;

	;;#ASMEND
	;; [unrolled: 4-line block ×4, first 2 shown]
	;;#ASMSTART
	v_pk_add_f16 v1, v1, v2;

	;;#ASMEND
	;;#ASMSTART
	v_pk_add_f16 v1, v1, v3;

	;;#ASMEND
	;; [unrolled: 4-line block ×3, first 2 shown]
	v_and_b32_e32 v2, 0xffff, v1
	v_lshrrev_b32_e32 v1, 16, v1
	;;#ASMSTART
	v_cvt_f32_f16 v34, v2;
	;;#ASMEND
	;;#ASMSTART
	v_cvt_f32_f16 v35, v1;
	;;#ASMEND
	global_load_b128 v[1:4], v[8:9], off offset:1024
	s_and_saveexec_b32 s0, vcc_lo
	s_cbranch_execz .LBB71_38
; %bb.46:                               ;   in Loop: Header=BB71_40 Depth=1
	v_cmp_gt_i32_e32 vcc_lo, s16, v27
	s_waitcnt vmcnt(0)
	v_lshrrev_b32_e32 v8, 16, v4
	v_lshrrev_b32_e32 v9, 16, v3
	v_cndmask_b32_e32 v4, 0, v4, vcc_lo
	v_cmp_gt_i32_e32 vcc_lo, s17, v26
	s_delay_alu instid0(VALU_DEP_4)
	v_cndmask_b32_e32 v8, 0, v8, vcc_lo
	v_cmp_gt_i32_e32 vcc_lo, s15, v25
	v_lshrrev_b32_e32 v25, 16, v2
	v_cndmask_b32_e32 v9, 0, v9, vcc_lo
	v_cmp_gt_i32_e32 vcc_lo, s13, v24
	v_lshrrev_b32_e32 v24, 16, v1
	v_cndmask_b32_e32 v3, 0, v3, vcc_lo
	v_cmp_gt_i32_e32 vcc_lo, s10, v23
	v_perm_b32 v4, v8, v4, 0x5040100
	s_delay_alu instid0(VALU_DEP_3) | instskip(SKIP_4) | instid1(VALU_DEP_2)
	v_perm_b32 v3, v9, v3, 0x5040100
	v_cndmask_b32_e32 v23, 0, v25, vcc_lo
	v_cmp_gt_i32_e32 vcc_lo, s9, v22
	v_cndmask_b32_e32 v2, 0, v2, vcc_lo
	v_cmp_gt_i32_e32 vcc_lo, s7, v21
	v_perm_b32 v2, v23, v2, 0x5040100
	v_cndmask_b32_e32 v21, 0, v24, vcc_lo
	v_cmp_gt_i32_e32 vcc_lo, s33, v11
	v_cndmask_b32_e32 v1, 0, v1, vcc_lo
	s_delay_alu instid0(VALU_DEP_1)
	v_perm_b32 v1, v21, v1, 0x5040100
	s_branch .LBB71_38
.LBB71_47:
	s_or_b32 exec_lo, exec_lo, s3
.LBB71_48:
	s_delay_alu instid0(SALU_CYCLE_1)
	s_or_b32 exec_lo, exec_lo, s1
	s_movk_i32 s0, 0x180
	v_and_b32_e32 v2, 0x3c0, v0
	v_mad_u32_u24 v1, v10, s0, 0xe0
	s_mov_b32 s0, exec_lo
	s_waitcnt_vscnt null, 0x0
	s_barrier
	buffer_gl0_inv
	v_cmpx_eq_u32_e32 64, v2
	s_cbranch_execz .LBB71_50
; %bb.49:
	v_add3_u32 v2, v1, v13, 0xfffffd00
	ds_store_2addr_b32 v2, v14, v15 offset1:32
	ds_store_b32 v2, v16 offset:256
.LBB71_50:
	s_or_b32 exec_lo, exec_lo, s0
	v_lshl_add_u32 v2, v12, 2, v1
	s_mov_b32 s0, exec_lo
	s_waitcnt lgkmcnt(0)
	s_barrier
	buffer_gl0_inv
	v_cmpx_gt_u32_e32 64, v0
	s_cbranch_execz .LBB71_52
; %bb.51:
	v_lshl_or_b32 v3, v0, 2, 0x80
	s_delay_alu instid0(VALU_DEP_1)
	v_add_nc_u32_e32 v5, v1, v3
	ds_load_2addr_stride64_b32 v[3:4], v2 offset1:1
	ds_load_b32 v5, v5
	s_waitcnt lgkmcnt(1)
	v_add_f32_e32 v16, v16, v4
	s_waitcnt lgkmcnt(0)
	v_dual_add_f32 v14, v14, v3 :: v_dual_add_f32 v15, v15, v5
.LBB71_52:
	s_or_b32 exec_lo, exec_lo, s0
	v_and_b32_e32 v3, 0x3e0, v0
	s_mov_b32 s0, exec_lo
	s_barrier
	buffer_gl0_inv
	v_cmpx_eq_u32_e32 32, v3
	s_cbranch_execz .LBB71_54
; %bb.53:
	v_add_nc_u32_e32 v3, 0xfffffe80, v1
	s_delay_alu instid0(VALU_DEP_1)
	v_lshl_add_u32 v4, v12, 2, v3
	v_lshl_add_u32 v3, v0, 2, v3
	ds_store_b32 v4, v14
	ds_store_b32 v3, v15
	ds_store_b32 v4, v16 offset:256
.LBB71_54:
	s_or_b32 exec_lo, exec_lo, s0
	v_cmp_gt_u32_e32 vcc_lo, 32, v0
	s_waitcnt lgkmcnt(0)
	s_barrier
	buffer_gl0_inv
	s_and_saveexec_b32 s0, vcc_lo
	s_cbranch_execz .LBB71_56
; %bb.55:
	v_lshl_add_u32 v1, v0, 2, v1
	ds_load_b32 v3, v2
	ds_load_2addr_b32 v[1:2], v1 offset0:32 offset1:64
	s_waitcnt lgkmcnt(0)
	v_dual_add_f32 v14, v14, v3 :: v_dual_add_f32 v15, v15, v1
	v_add_f32_e32 v16, v16, v2
.LBB71_56:
	s_or_b32 exec_lo, exec_lo, s0
	s_barrier
	buffer_gl0_inv
	s_and_saveexec_b32 s0, vcc_lo
	s_cbranch_execz .LBB71_58
; %bb.57:
	s_mul_i32 s0, s14, 0x60
	s_mul_i32 s2, s4, s20
	s_ashr_i32 s1, s0, 31
	v_lshlrev_b32_e32 v0, 1, v0
	s_lshl_b64 s[0:1], s[0:1], 1
	;;#ASMSTART
	v_cvt_f16_f32 v1, v14;

	;;#ASMEND
	s_add_u32 s4, s22, s0
	s_addc_u32 s5, s23, s1
	s_ashr_i32 s3, s2, 31
	s_delay_alu instid0(SALU_CYCLE_1) | instskip(SKIP_4) | instid1(SALU_CYCLE_1)
	s_lshl_b64 s[0:1], s[2:3], 1
	s_mul_i32 s2, s12, 0x60
	s_add_u32 s4, s4, s0
	s_addc_u32 s5, s5, s1
	s_ashr_i32 s3, s2, 31
	s_lshl_b64 s[0:1], s[2:3], 1
	s_delay_alu instid0(SALU_CYCLE_1)
	s_add_u32 s0, s4, s0
	s_addc_u32 s1, s5, s1
	global_store_b16 v0, v1, s[0:1]
	;;#ASMSTART
	v_cvt_f16_f32 v1, v15;

	;;#ASMEND
	global_store_b16 v0, v1, s[0:1] offset:64
	;;#ASMSTART
	v_cvt_f16_f32 v1, v16;

	;;#ASMEND
	global_store_b16 v0, v1, s[0:1] offset:128
.LBB71_58:
	s_nop 0
	s_sendmsg sendmsg(MSG_DEALLOC_VGPRS)
	s_endpgm
	.section	.rodata,"a",@progbits
	.p2align	6, 0x0
	.amdhsa_kernel _ZN4vllm25paged_attention_v2_kernelIttLi96ELi8ELi128ELNS_18Fp8KVCacheDataTypeE0ELb1ELi512EEEvPfS2_PT_PKS3_PKT0_S9_ifPKiSB_iPKfiiiSD_SD_iiiii
		.amdhsa_group_segment_fixed_size 224
		.amdhsa_private_segment_fixed_size 0
		.amdhsa_kernarg_size 400
		.amdhsa_user_sgpr_count 13
		.amdhsa_user_sgpr_dispatch_ptr 0
		.amdhsa_user_sgpr_queue_ptr 0
		.amdhsa_user_sgpr_kernarg_segment_ptr 1
		.amdhsa_user_sgpr_dispatch_id 0
		.amdhsa_user_sgpr_private_segment_size 0
		.amdhsa_wavefront_size32 1
		.amdhsa_uses_dynamic_stack 0
		.amdhsa_enable_private_segment 0
		.amdhsa_system_sgpr_workgroup_id_x 1
		.amdhsa_system_sgpr_workgroup_id_y 1
		.amdhsa_system_sgpr_workgroup_id_z 1
		.amdhsa_system_sgpr_workgroup_info 0
		.amdhsa_system_vgpr_workitem_id 0
		.amdhsa_next_free_vgpr 63
		.amdhsa_next_free_sgpr 45
		.amdhsa_reserve_vcc 1
		.amdhsa_float_round_mode_32 0
		.amdhsa_float_round_mode_16_64 0
		.amdhsa_float_denorm_mode_32 3
		.amdhsa_float_denorm_mode_16_64 3
		.amdhsa_dx10_clamp 1
		.amdhsa_ieee_mode 1
		.amdhsa_fp16_overflow 0
		.amdhsa_workgroup_processor_mode 1
		.amdhsa_memory_ordered 1
		.amdhsa_forward_progress 0
		.amdhsa_shared_vgpr_count 0
		.amdhsa_exception_fp_ieee_invalid_op 0
		.amdhsa_exception_fp_denorm_src 0
		.amdhsa_exception_fp_ieee_div_zero 0
		.amdhsa_exception_fp_ieee_overflow 0
		.amdhsa_exception_fp_ieee_underflow 0
		.amdhsa_exception_fp_ieee_inexact 0
		.amdhsa_exception_int_div_zero 0
	.end_amdhsa_kernel
	.section	.text._ZN4vllm25paged_attention_v2_kernelIttLi96ELi8ELi128ELNS_18Fp8KVCacheDataTypeE0ELb1ELi512EEEvPfS2_PT_PKS3_PKT0_S9_ifPKiSB_iPKfiiiSD_SD_iiiii,"axG",@progbits,_ZN4vllm25paged_attention_v2_kernelIttLi96ELi8ELi128ELNS_18Fp8KVCacheDataTypeE0ELb1ELi512EEEvPfS2_PT_PKS3_PKT0_S9_ifPKiSB_iPKfiiiSD_SD_iiiii,comdat
.Lfunc_end71:
	.size	_ZN4vllm25paged_attention_v2_kernelIttLi96ELi8ELi128ELNS_18Fp8KVCacheDataTypeE0ELb1ELi512EEEvPfS2_PT_PKS3_PKT0_S9_ifPKiSB_iPKfiiiSD_SD_iiiii, .Lfunc_end71-_ZN4vllm25paged_attention_v2_kernelIttLi96ELi8ELi128ELNS_18Fp8KVCacheDataTypeE0ELb1ELi512EEEvPfS2_PT_PKS3_PKT0_S9_ifPKiSB_iPKfiiiSD_SD_iiiii
                                        ; -- End function
	.section	.AMDGPU.csdata,"",@progbits
; Kernel info:
; codeLenInByte = 7168
; NumSgprs: 47
; NumVgprs: 63
; ScratchSize: 0
; MemoryBound: 0
; FloatMode: 240
; IeeeMode: 1
; LDSByteSize: 224 bytes/workgroup (compile time only)
; SGPRBlocks: 5
; VGPRBlocks: 7
; NumSGPRsForWavesPerEU: 47
; NumVGPRsForWavesPerEU: 63
; Occupancy: 16
; WaveLimiterHint : 1
; COMPUTE_PGM_RSRC2:SCRATCH_EN: 0
; COMPUTE_PGM_RSRC2:USER_SGPR: 13
; COMPUTE_PGM_RSRC2:TRAP_HANDLER: 0
; COMPUTE_PGM_RSRC2:TGID_X_EN: 1
; COMPUTE_PGM_RSRC2:TGID_Y_EN: 1
; COMPUTE_PGM_RSRC2:TGID_Z_EN: 1
; COMPUTE_PGM_RSRC2:TIDIG_COMP_CNT: 0
	.section	.text._ZN4vllm32paged_attention_v2_reduce_kernelItLi96ELi128ELi512EEEvPT_PKfS4_PKS1_PKii,"axG",@progbits,_ZN4vllm32paged_attention_v2_reduce_kernelItLi96ELi128ELi512EEEvPT_PKfS4_PKS1_PKii,comdat
	.protected	_ZN4vllm32paged_attention_v2_reduce_kernelItLi96ELi128ELi512EEEvPT_PKfS4_PKS1_PKii ; -- Begin function _ZN4vllm32paged_attention_v2_reduce_kernelItLi96ELi128ELi512EEEvPT_PKfS4_PKS1_PKii
	.globl	_ZN4vllm32paged_attention_v2_reduce_kernelItLi96ELi128ELi512EEEvPT_PKfS4_PKS1_PKii
	.p2align	8
	.type	_ZN4vllm32paged_attention_v2_reduce_kernelItLi96ELi128ELi512EEEvPT_PKfS4_PKS1_PKii,@function
_ZN4vllm32paged_attention_v2_reduce_kernelItLi96ELi128ELi512EEEvPT_PKfS4_PKS1_PKii: ; @_ZN4vllm32paged_attention_v2_reduce_kernelItLi96ELi128ELi512EEEvPT_PKfS4_PKS1_PKii
; %bb.0:
	s_load_b128 s[4:7], s[0:1], 0x18
	s_add_u32 s8, s0, 48
	s_mov_b32 s10, s15
	s_addc_u32 s9, s1, 0
	s_ashr_i32 s11, s15, 31
	s_delay_alu instid0(SALU_CYCLE_1)
	s_lshl_b64 s[2:3], s[10:11], 2
	s_waitcnt lgkmcnt(0)
	s_add_u32 s2, s6, s2
	s_addc_u32 s3, s7, s3
	s_load_b32 s20, s[2:3], 0x0
	s_clause 0x2
	s_load_b64 s[6:7], s[0:1], 0x0
	s_load_b32 s11, s[0:1], 0x28
	s_load_b32 s15, s[0:1], 0x30
	s_waitcnt lgkmcnt(0)
	s_add_i32 s2, s20, -1
	s_delay_alu instid0(SALU_CYCLE_1)
	s_cmpk_gt_u32 s2, 0x1ff
	s_mov_b32 s2, -1
	s_cbranch_scc0 .LBB72_26
; %bb.1:
	s_load_b64 s[2:3], s[0:1], 0x8
	s_add_i32 s12, s20, 0x1ff
	s_mul_i32 s18, s15, s10
	s_ashr_i32 s13, s12, 31
	v_dual_mov_b32 v4, 0xff7fffff :: v_dual_lshlrev_b32 v3, 2, v0
	s_lshr_b32 s13, s13, 23
	s_mul_i32 s16, s14, s11
	s_add_i32 s12, s12, s13
	s_ashr_i32 s17, s16, 31
	s_ashr_i32 s19, s12, 9
	s_mul_i32 s12, s18, s11
	v_cmp_gt_i32_e32 vcc_lo, s19, v0
	s_ashr_i32 s13, s12, 31
	s_and_saveexec_b32 s21, vcc_lo
	s_cbranch_execz .LBB72_5
; %bb.2:
	s_load_b32 s28, s[8:9], 0xc
	s_load_b64 s[22:23], s[0:1], 0x10
	s_lshl_b64 s[24:25], s[12:13], 2
	s_lshl_b64 s[26:27], s[16:17], 2
	v_dual_mov_b32 v4, 0xff7fffff :: v_dual_add_nc_u32 v5, 32, v3
	v_mov_b32_e32 v6, v0
	s_waitcnt lgkmcnt(0)
	s_and_b32 s1, s28, 0xffff
	s_add_u32 s0, s24, s26
	s_addc_u32 s24, s25, s27
	s_add_u32 s0, s22, s0
	s_addc_u32 s22, s23, s24
	v_add_co_u32 v1, s0, s0, v3
	s_delay_alu instid0(VALU_DEP_1)
	v_add_co_ci_u32_e64 v2, null, s22, 0, s0
	s_mov_b32 s22, 0
	s_lshl_b32 s23, s1, 2
	.p2align	6
.LBB72_3:                               ; =>This Inner Loop Header: Depth=1
	global_load_b32 v7, v[1:2], off
	v_add_nc_u32_e32 v6, s1, v6
	v_max_f32_e32 v4, v4, v4
	v_add_co_u32 v1, s0, v1, s23
	s_delay_alu instid0(VALU_DEP_1) | instskip(NEXT) | instid1(VALU_DEP_4)
	v_add_co_ci_u32_e64 v2, s0, 0, v2, s0
	v_cmp_le_i32_e64 s0, s19, v6
	s_delay_alu instid0(VALU_DEP_1)
	s_or_b32 s22, s0, s22
	s_waitcnt vmcnt(0)
	v_max_f32_e32 v8, v7, v7
	ds_store_b32 v5, v7
	v_dual_max_f32 v4, v4, v8 :: v_dual_add_nc_u32 v5, s23, v5
	s_and_not1_b32 exec_lo, exec_lo, s22
	s_cbranch_execnz .LBB72_3
; %bb.4:
	s_or_b32 exec_lo, exec_lo, s22
.LBB72_5:
	s_delay_alu instid0(SALU_CYCLE_1)
	s_or_b32 exec_lo, exec_lo, s21
	v_mbcnt_lo_u32_b32 v1, -1, 0
	s_waitcnt lgkmcnt(0)
	s_barrier
	buffer_gl0_inv
	v_xor_b32_e32 v2, 16, v1
	v_xor_b32_e32 v5, 8, v1
	s_delay_alu instid0(VALU_DEP_2) | instskip(NEXT) | instid1(VALU_DEP_1)
	v_cmp_gt_i32_e64 s0, 32, v2
	v_cndmask_b32_e64 v2, v1, v2, s0
	s_delay_alu instid0(VALU_DEP_3) | instskip(NEXT) | instid1(VALU_DEP_2)
	v_cmp_gt_i32_e64 s0, 32, v5
	v_lshlrev_b32_e32 v6, 2, v2
	s_delay_alu instid0(VALU_DEP_2) | instskip(SKIP_3) | instid1(VALU_DEP_1)
	v_cndmask_b32_e64 v5, v1, v5, s0
	ds_bpermute_b32 v2, v6, v4
	v_dual_max_f32 v4, v4, v4 :: v_dual_lshlrev_b32 v7, 2, v5
	v_xor_b32_e32 v5, 4, v1
	v_cmp_gt_i32_e64 s0, 32, v5
	s_delay_alu instid0(VALU_DEP_1) | instskip(NEXT) | instid1(VALU_DEP_1)
	v_cndmask_b32_e64 v5, v1, v5, s0
	v_lshlrev_b32_e32 v8, 2, v5
	v_xor_b32_e32 v5, 2, v1
	s_waitcnt lgkmcnt(0)
	v_max_f32_e32 v2, v2, v2
	s_delay_alu instid0(VALU_DEP_2) | instskip(NEXT) | instid1(VALU_DEP_2)
	v_cmp_gt_i32_e64 s0, 32, v5
	v_max_f32_e32 v2, v4, v2
	s_delay_alu instid0(VALU_DEP_2) | instskip(SKIP_3) | instid1(VALU_DEP_1)
	v_cndmask_b32_e64 v5, v1, v5, s0
	ds_bpermute_b32 v4, v7, v2
	s_waitcnt lgkmcnt(0)
	v_max_f32_e32 v4, v4, v4
	v_max_f32_e32 v2, v2, v4
	ds_bpermute_b32 v4, v8, v2
	s_waitcnt lgkmcnt(0)
	v_dual_max_f32 v9, v4, v4 :: v_dual_lshlrev_b32 v4, 2, v5
	s_delay_alu instid0(VALU_DEP_1) | instskip(SKIP_3) | instid1(VALU_DEP_1)
	v_max_f32_e32 v2, v2, v9
	v_xor_b32_e32 v9, 1, v1
	ds_bpermute_b32 v5, v4, v2
	v_cmp_gt_i32_e64 s0, 32, v9
	v_cndmask_b32_e64 v1, v1, v9, s0
	v_lshrrev_b32_e32 v9, 5, v0
	s_delay_alu instid0(VALU_DEP_1) | instskip(SKIP_2) | instid1(VALU_DEP_1)
	v_lshlrev_b32_e32 v9, 2, v9
	s_waitcnt lgkmcnt(0)
	v_max_f32_e32 v5, v5, v5
	v_max_f32_e32 v2, v2, v5
	v_lshlrev_b32_e32 v5, 2, v1
	v_and_b32_e32 v1, 31, v0
	ds_bpermute_b32 v10, v5, v2
	v_cmp_eq_u32_e64 s0, 0, v1
	s_delay_alu instid0(VALU_DEP_1)
	s_and_saveexec_b32 s1, s0
	s_cbranch_execz .LBB72_7
; %bb.6:
	s_waitcnt lgkmcnt(0)
	v_max_f32_e32 v10, v10, v10
	v_max_f32_e32 v2, v2, v2
	s_delay_alu instid0(VALU_DEP_1)
	v_max_f32_e32 v2, v2, v10
	ds_store_b32 v9, v2
.LBB72_7:
	s_or_b32 exec_lo, exec_lo, s1
	v_cmp_gt_u32_e64 s1, 4, v1
	v_mov_b32_e32 v2, 0xff7fffff
	s_waitcnt lgkmcnt(0)
	v_lshlrev_b32_e32 v10, 2, v1
	s_barrier
	buffer_gl0_inv
	s_and_saveexec_b32 s21, s1
	s_cbranch_execz .LBB72_9
; %bb.8:
	ds_load_b32 v2, v10
.LBB72_9:
	s_or_b32 exec_lo, exec_lo, s21
	s_waitcnt lgkmcnt(0)
	ds_bpermute_b32 v1, v4, v2
	v_max_f32_e32 v2, v2, v2
	s_lshl_b32 s21, s19, 2
	s_waitcnt lgkmcnt(0)
	v_dual_mov_b32 v12, 0 :: v_dual_max_f32 v1, v1, v1
	s_delay_alu instid0(VALU_DEP_1) | instskip(SKIP_3) | instid1(VALU_DEP_1)
	v_max_f32_e32 v1, v2, v1
	ds_bpermute_b32 v2, v5, v1
	s_waitcnt lgkmcnt(0)
	v_max_f32_e32 v2, v2, v2
	v_max_f32_e32 v1, v1, v2
	ds_bpermute_b32 v11, v12, v1
	s_and_saveexec_b32 s22, vcc_lo
	s_cbranch_execz .LBB72_13
; %bb.10:
	s_load_b32 s23, s[8:9], 0xc
	s_lshl_b64 s[24:25], s[12:13], 2
	s_lshl_b64 s[26:27], s[16:17], 2
	v_dual_mov_b32 v12, 0 :: v_dual_add_nc_u32 v13, 32, v3
	s_waitcnt lgkmcnt(0)
	s_and_b32 s13, s23, 0xffff
	s_add_u32 s17, s24, s26
	s_addc_u32 s23, s25, s27
	s_add_u32 s2, s2, s17
	s_addc_u32 s3, s3, s23
	v_add_co_u32 v1, s2, s2, v3
	s_delay_alu instid0(VALU_DEP_1)
	v_add_co_ci_u32_e64 v2, null, s3, 0, s2
	v_mov_b32_e32 v3, v0
	s_mov_b32 s3, 0
	s_lshl_b32 s17, s13, 2
	s_set_inst_prefetch_distance 0x1
	.p2align	6
.LBB72_11:                              ; =>This Inner Loop Header: Depth=1
	global_load_b32 v14, v[1:2], off
	ds_load_b32 v15, v13
	v_add_nc_u32_e32 v3, s13, v3
	s_waitcnt lgkmcnt(0)
	v_sub_f32_e32 v15, v15, v11
	s_delay_alu instid0(VALU_DEP_1) | instskip(NEXT) | instid1(VALU_DEP_1)
	v_mul_f32_e32 v16, 0x3fb8aa3b, v15
	v_fma_f32 v17, 0x3fb8aa3b, v15, -v16
	v_rndne_f32_e32 v18, v16
	s_delay_alu instid0(VALU_DEP_1) | instskip(SKIP_1) | instid1(VALU_DEP_4)
	v_sub_f32_e32 v16, v16, v18
	v_cmp_ngt_f32_e32 vcc_lo, 0xc2ce8ed0, v15
	v_fmac_f32_e32 v17, 0x32a5705f, v15
	v_cmp_nlt_f32_e64 s2, 0x42b17218, v15
	s_delay_alu instid0(VALU_DEP_2) | instskip(SKIP_1) | instid1(VALU_DEP_2)
	v_add_f32_e32 v16, v16, v17
	v_cvt_i32_f32_e32 v17, v18
	v_exp_f32_e32 v16, v16
	s_waitcnt_depctr 0xfff
	v_ldexp_f32 v16, v16, v17
	s_delay_alu instid0(VALU_DEP_1) | instskip(SKIP_2) | instid1(VALU_DEP_3)
	v_dual_cndmask_b32 v16, 0, v16 :: v_dual_add_nc_u32 v17, s21, v13
	v_add_co_u32 v1, vcc_lo, v1, s17
	v_add_co_ci_u32_e32 v2, vcc_lo, 0, v2, vcc_lo
	v_cndmask_b32_e64 v15, 0x7f800000, v16, s2
	v_cmp_le_i32_e32 vcc_lo, s19, v3
	v_add_nc_u32_e32 v13, s17, v13
	s_or_b32 s3, vcc_lo, s3
	s_waitcnt vmcnt(0)
	v_mul_f32_e32 v16, v14, v15
	v_fmac_f32_e32 v12, v14, v15
	ds_store_b32 v17, v16
	s_and_not1_b32 exec_lo, exec_lo, s3
	s_cbranch_execnz .LBB72_11
; %bb.12:
	s_set_inst_prefetch_distance 0x2
	s_or_b32 exec_lo, exec_lo, s3
.LBB72_13:
	s_delay_alu instid0(SALU_CYCLE_1)
	s_or_b32 exec_lo, exec_lo, s22
	ds_bpermute_b32 v1, v6, v12
	s_waitcnt lgkmcnt(0)
	s_barrier
	buffer_gl0_inv
	v_add_f32_e32 v1, v12, v1
	ds_bpermute_b32 v2, v7, v1
	s_waitcnt lgkmcnt(0)
	v_add_f32_e32 v1, v1, v2
	ds_bpermute_b32 v2, v8, v1
	s_waitcnt lgkmcnt(0)
	;; [unrolled: 3-line block ×4, first 2 shown]
	v_add_f32_e32 v1, v1, v2
	s_and_saveexec_b32 s2, s0
	s_cbranch_execz .LBB72_15
; %bb.14:
	ds_store_b32 v9, v1 offset:16
.LBB72_15:
	s_or_b32 exec_lo, exec_lo, s2
	s_waitcnt lgkmcnt(0)
	s_barrier
	buffer_gl0_inv
	s_and_saveexec_b32 s0, s1
	s_cbranch_execz .LBB72_17
; %bb.16:
	ds_load_b32 v1, v10 offset:16
.LBB72_17:
	s_or_b32 exec_lo, exec_lo, s0
	s_waitcnt lgkmcnt(0)
	ds_bpermute_b32 v2, v4, v1
	s_mov_b32 s0, exec_lo
	s_waitcnt lgkmcnt(0)
	v_add_f32_e32 v1, v1, v2
	ds_bpermute_b32 v2, v5, v1
	s_waitcnt lgkmcnt(0)
	v_dual_add_f32 v1, v1, v2 :: v_dual_mov_b32 v2, 0
	ds_bpermute_b32 v2, v2, v1
	v_cmpx_gt_u32_e32 0x60, v0
	s_cbranch_execz .LBB72_25
; %bb.18:
	s_cmp_gt_i32 s20, 0
	s_mov_b32 s1, 0
	s_cbranch_scc1 .LBB72_20
; %bb.19:
	v_mov_b32_e32 v1, 0
	s_branch .LBB72_21
.LBB72_20:
	s_mov_b32 s1, -1
.LBB72_21:
	s_delay_alu instid0(SALU_CYCLE_1) | instskip(SKIP_1) | instid1(VALU_DEP_2)
	v_cndmask_b32_e64 v3, 0, 1, s1
	v_mov_b32_e32 v4, s1
	v_cmp_ne_u32_e32 vcc_lo, 1, v3
	s_cbranch_vccnz .LBB72_24
; %bb.22:
	s_waitcnt lgkmcnt(0)
	v_add_f32_e32 v4, 0x358637bd, v2
	s_mulk_i32 s12, 0x60
	s_mulk_i32 s16, 0x60
	s_ashr_i32 s13, s12, 31
	s_ashr_i32 s17, s16, 31
	v_div_scale_f32 v2, null, v4, v4, 1.0
	s_lshl_b64 s[12:13], s[12:13], 1
	s_lshl_b64 s[16:17], s[16:17], 1
	s_max_i32 s1, s19, 1
	s_delay_alu instid0(VALU_DEP_1)
	v_rcp_f32_e32 v3, v2
	s_add_i32 s2, s21, 32
	s_add_u32 s3, s12, s16
	s_addc_u32 s12, s13, s17
	s_add_u32 s3, s4, s3
	s_addc_u32 s12, s5, s12
	s_waitcnt_depctr 0xfff
	v_fma_f32 v1, -v2, v3, 1.0
	s_delay_alu instid0(VALU_DEP_1) | instskip(SKIP_1) | instid1(VALU_DEP_1)
	v_fmac_f32_e32 v3, v1, v3
	v_div_scale_f32 v5, vcc_lo, 1.0, v4, 1.0
	v_dual_mov_b32 v1, 0 :: v_dual_mul_f32 v6, v5, v3
	s_delay_alu instid0(VALU_DEP_1) | instskip(NEXT) | instid1(VALU_DEP_1)
	v_fma_f32 v7, -v2, v6, v5
	v_dual_fmac_f32 v6, v7, v3 :: v_dual_lshlrev_b32 v7, 1, v0
	s_delay_alu instid0(VALU_DEP_1) | instskip(NEXT) | instid1(VALU_DEP_1)
	v_fma_f32 v2, -v2, v6, v5
	v_div_fmas_f32 v5, v2, v3, v6
	s_delay_alu instid0(VALU_DEP_3) | instskip(NEXT) | instid1(VALU_DEP_1)
	v_add_co_u32 v2, s3, s3, v7
	v_add_co_ci_u32_e64 v3, null, s12, 0, s3
	s_delay_alu instid0(VALU_DEP_3)
	v_div_fixup_f32 v5, v5, v4, 1.0
	v_mov_b32_e32 v4, v1
	.p2align	6
.LBB72_23:                              ; =>This Inner Loop Header: Depth=1
	v_mov_b32_e32 v7, s2
	global_load_u16 v6, v[2:3], off
	s_waitcnt vmcnt(0)
	;;#ASMSTART
	v_cvt_f32_f16 v6, v6;
	;;#ASMEND
	v_add_co_u32 v2, vcc_lo, 0xc0, v2
	ds_load_b32 v7, v7
	v_add_co_ci_u32_e32 v3, vcc_lo, 0, v3, vcc_lo
	s_add_i32 s1, s1, -1
	s_add_i32 s2, s2, 4
	s_cmp_eq_u32 s1, 0
	s_waitcnt lgkmcnt(0)
	v_mul_f32_e32 v6, v6, v7
	s_delay_alu instid0(VALU_DEP_1)
	v_fmac_f32_e32 v4, v5, v6
	s_cbranch_scc0 .LBB72_23
.LBB72_24:
	s_mul_i32 s2, s18, 0x60
	s_mul_i32 s12, s14, 0x60
	s_ashr_i32 s3, s2, 31
	s_waitcnt lgkmcnt(0)
	v_lshlrev_b64 v[1:2], 1, v[0:1]
	s_lshl_b64 s[2:3], s[2:3], 1
	;;#ASMSTART
	v_cvt_f16_f32 v3, v4;

	;;#ASMEND
	s_add_u32 s1, s6, s2
	s_addc_u32 s16, s7, s3
	s_ashr_i32 s13, s12, 31
	s_delay_alu instid0(SALU_CYCLE_1) | instskip(NEXT) | instid1(SALU_CYCLE_1)
	s_lshl_b64 s[2:3], s[12:13], 1
	s_add_u32 s1, s1, s2
	s_addc_u32 s2, s16, s3
	v_add_co_u32 v1, vcc_lo, s1, v1
	v_add_co_ci_u32_e32 v2, vcc_lo, s2, v2, vcc_lo
	global_store_b16 v[1:2], v3, off
.LBB72_25:
	s_or_b32 exec_lo, exec_lo, s0
	s_mov_b32 s2, 0
.LBB72_26:
	s_delay_alu instid0(SALU_CYCLE_1)
	s_and_b32 vcc_lo, exec_lo, s2
	s_cbranch_vccz .LBB72_35
; %bb.27:
	s_mov_b32 s0, exec_lo
	v_cmpx_gt_u32_e32 0x60, v0
	s_cbranch_execz .LBB72_35
; %bb.28:
	s_mul_i32 s0, s15, s10
	s_load_b32 s10, s[8:9], 0xc
	s_mulk_i32 s0, 0x60
	s_mul_i32 s12, s14, 0x60
	s_ashr_i32 s1, s0, 31
	s_mul_i32 s8, s12, s11
	s_lshl_b64 s[2:3], s[0:1], 1
	s_delay_alu instid0(SALU_CYCLE_1) | instskip(SKIP_4) | instid1(SALU_CYCLE_1)
	s_add_u32 s1, s6, s2
	s_addc_u32 s7, s7, s3
	s_ashr_i32 s13, s12, 31
	s_mul_i32 s6, s0, s11
	s_lshl_b64 s[2:3], s[12:13], 1
	s_add_u32 s1, s1, s2
	s_addc_u32 s2, s7, s3
	s_ashr_i32 s7, s6, 31
	s_delay_alu instid0(SALU_CYCLE_1) | instskip(NEXT) | instid1(SALU_CYCLE_1)
	s_lshl_b64 s[6:7], s[6:7], 1
	s_add_u32 s0, s4, s6
	s_addc_u32 s6, s5, s7
	s_ashr_i32 s9, s8, 31
	s_mov_b32 s7, 0
	s_lshl_b64 s[4:5], s[8:9], 1
	s_delay_alu instid0(SALU_CYCLE_1) | instskip(SKIP_3) | instid1(SALU_CYCLE_1)
	s_add_u32 s3, s0, s4
	s_addc_u32 s4, s6, s5
	s_waitcnt lgkmcnt(0)
	s_and_b32 s5, s10, 0xffff
	v_cvt_f32_u32_e32 v1, s5
	s_cmp_eq_u32 s5, 1
	v_add_nc_u32_e32 v3, s5, v0
	s_cselect_b32 s6, -1, 0
	s_sub_i32 s0, 0, s5
	v_rcp_iflag_f32_e32 v1, v1
	s_delay_alu instid0(VALU_DEP_1) | instskip(SKIP_3) | instid1(VALU_DEP_1)
	v_cmp_gt_u32_e32 vcc_lo, 0x60, v3
	v_max_u32_e32 v4, 0x60, v3
	s_waitcnt_depctr 0xfff
	v_mul_f32_e32 v1, 0x4f7ffffe, v1
	v_cvt_u32_f32_e32 v1, v1
	s_delay_alu instid0(VALU_DEP_1) | instskip(SKIP_1) | instid1(VALU_DEP_1)
	v_mul_lo_u32 v2, s0, v1
	v_add_co_ci_u32_e64 v3, s0, s5, v0, vcc_lo
	v_sub_nc_u32_e32 v3, v4, v3
	s_delay_alu instid0(VALU_DEP_3) | instskip(NEXT) | instid1(VALU_DEP_1)
	v_mul_hi_u32 v2, v1, v2
	v_add_nc_u32_e32 v1, v1, v2
	s_delay_alu instid0(VALU_DEP_1) | instskip(NEXT) | instid1(VALU_DEP_1)
	v_mul_hi_u32 v1, v3, v1
	v_mul_lo_u32 v2, v1, s5
	s_delay_alu instid0(VALU_DEP_1) | instskip(SKIP_1) | instid1(VALU_DEP_2)
	v_sub_nc_u32_e32 v2, v3, v2
	v_add_nc_u32_e32 v3, 1, v1
	v_subrev_nc_u32_e32 v4, s5, v2
	v_cmp_le_u32_e64 s0, s5, v2
	s_delay_alu instid0(VALU_DEP_1) | instskip(NEXT) | instid1(VALU_DEP_3)
	v_cndmask_b32_e64 v1, v1, v3, s0
	v_cndmask_b32_e64 v2, v2, v4, s0
	s_delay_alu instid0(VALU_DEP_2) | instskip(NEXT) | instid1(VALU_DEP_2)
	v_add_nc_u32_e32 v3, 1, v1
	v_cmp_le_u32_e64 s0, s5, v2
	s_delay_alu instid0(VALU_DEP_1) | instskip(SKIP_1) | instid1(VALU_DEP_1)
	v_cndmask_b32_e64 v1, v1, v3, s0
	s_mov_b32 s0, -1
	v_add_co_ci_u32_e32 v3, vcc_lo, 1, v1, vcc_lo
	s_delay_alu instid0(VALU_DEP_1) | instskip(SKIP_1) | instid1(SALU_CYCLE_1)
	v_cmp_lt_u32_e32 vcc_lo, 3, v3
	s_and_b32 s8, vcc_lo, s6
	s_and_saveexec_b32 s6, s8
	s_cbranch_execz .LBB72_32
; %bb.29:
	v_dual_mov_b32 v1, v0 :: v_dual_and_b32 v4, -4, v3
	s_delay_alu instid0(VALU_DEP_1)
	v_dual_mov_b32 v2, 0 :: v_dual_mov_b32 v5, v4
	.p2align	6
.LBB72_30:                              ; =>This Inner Loop Header: Depth=1
	s_delay_alu instid0(VALU_DEP_1) | instskip(NEXT) | instid1(VALU_DEP_2)
	v_lshlrev_b64 v[6:7], 1, v[1:2]
	v_add_nc_u32_e32 v5, -4, v5
	v_add_nc_u32_e32 v1, 4, v1
	s_delay_alu instid0(VALU_DEP_3) | instskip(NEXT) | instid1(VALU_DEP_4)
	v_add_co_u32 v8, vcc_lo, s3, v6
	v_add_co_ci_u32_e32 v9, vcc_lo, s4, v7, vcc_lo
	s_delay_alu instid0(VALU_DEP_4)
	v_cmp_eq_u32_e32 vcc_lo, 0, v5
	v_add_co_u32 v6, s0, s1, v6
	global_load_b64 v[8:9], v[8:9], off
	v_add_co_ci_u32_e64 v7, s0, s2, v7, s0
	s_or_b32 s7, vcc_lo, s7
	s_waitcnt vmcnt(0)
	global_store_b64 v[6:7], v[8:9], off
	s_and_not1_b32 exec_lo, exec_lo, s7
	s_cbranch_execnz .LBB72_30
; %bb.31:
	s_or_b32 exec_lo, exec_lo, s7
	v_cmp_ne_u32_e32 vcc_lo, v3, v4
	v_add_nc_u32_e32 v0, v0, v4
	s_or_not1_b32 s0, vcc_lo, exec_lo
.LBB72_32:
	s_or_b32 exec_lo, exec_lo, s6
	s_delay_alu instid0(SALU_CYCLE_1)
	s_and_b32 exec_lo, exec_lo, s0
	s_cbranch_execz .LBB72_35
; %bb.33:
	v_mov_b32_e32 v1, 0
	s_mov_b32 s6, 0
	s_lshl_b32 s7, s5, 1
	s_delay_alu instid0(VALU_DEP_1)
	v_lshlrev_b64 v[1:2], 1, v[0:1]
	.p2align	6
.LBB72_34:                              ; =>This Inner Loop Header: Depth=1
	s_delay_alu instid0(VALU_DEP_1) | instskip(NEXT) | instid1(VALU_DEP_2)
	v_add_co_u32 v3, vcc_lo, s3, v1
	v_add_co_ci_u32_e32 v4, vcc_lo, s4, v2, vcc_lo
	v_add_nc_u32_e32 v0, s5, v0
	global_load_u16 v5, v[3:4], off
	v_add_co_u32 v3, vcc_lo, s1, v1
	v_add_co_ci_u32_e32 v4, vcc_lo, s2, v2, vcc_lo
	v_cmp_lt_u32_e32 vcc_lo, 0x5f, v0
	v_add_co_u32 v1, s0, v1, s7
	s_delay_alu instid0(VALU_DEP_1)
	v_add_co_ci_u32_e64 v2, s0, 0, v2, s0
	s_or_b32 s6, vcc_lo, s6
	s_waitcnt vmcnt(0)
	global_store_b16 v[3:4], v5, off
	s_and_not1_b32 exec_lo, exec_lo, s6
	s_cbranch_execnz .LBB72_34
.LBB72_35:
	s_nop 0
	s_sendmsg sendmsg(MSG_DEALLOC_VGPRS)
	s_endpgm
	.section	.rodata,"a",@progbits
	.p2align	6, 0x0
	.amdhsa_kernel _ZN4vllm32paged_attention_v2_reduce_kernelItLi96ELi128ELi512EEEvPT_PKfS4_PKS1_PKii
		.amdhsa_group_segment_fixed_size 32
		.amdhsa_private_segment_fixed_size 0
		.amdhsa_kernarg_size 304
		.amdhsa_user_sgpr_count 14
		.amdhsa_user_sgpr_dispatch_ptr 0
		.amdhsa_user_sgpr_queue_ptr 0
		.amdhsa_user_sgpr_kernarg_segment_ptr 1
		.amdhsa_user_sgpr_dispatch_id 0
		.amdhsa_user_sgpr_private_segment_size 0
		.amdhsa_wavefront_size32 1
		.amdhsa_uses_dynamic_stack 0
		.amdhsa_enable_private_segment 0
		.amdhsa_system_sgpr_workgroup_id_x 1
		.amdhsa_system_sgpr_workgroup_id_y 1
		.amdhsa_system_sgpr_workgroup_id_z 0
		.amdhsa_system_sgpr_workgroup_info 0
		.amdhsa_system_vgpr_workitem_id 0
		.amdhsa_next_free_vgpr 19
		.amdhsa_next_free_sgpr 29
		.amdhsa_reserve_vcc 1
		.amdhsa_float_round_mode_32 0
		.amdhsa_float_round_mode_16_64 0
		.amdhsa_float_denorm_mode_32 3
		.amdhsa_float_denorm_mode_16_64 3
		.amdhsa_dx10_clamp 1
		.amdhsa_ieee_mode 1
		.amdhsa_fp16_overflow 0
		.amdhsa_workgroup_processor_mode 1
		.amdhsa_memory_ordered 1
		.amdhsa_forward_progress 0
		.amdhsa_shared_vgpr_count 0
		.amdhsa_exception_fp_ieee_invalid_op 0
		.amdhsa_exception_fp_denorm_src 0
		.amdhsa_exception_fp_ieee_div_zero 0
		.amdhsa_exception_fp_ieee_overflow 0
		.amdhsa_exception_fp_ieee_underflow 0
		.amdhsa_exception_fp_ieee_inexact 0
		.amdhsa_exception_int_div_zero 0
	.end_amdhsa_kernel
	.section	.text._ZN4vllm32paged_attention_v2_reduce_kernelItLi96ELi128ELi512EEEvPT_PKfS4_PKS1_PKii,"axG",@progbits,_ZN4vllm32paged_attention_v2_reduce_kernelItLi96ELi128ELi512EEEvPT_PKfS4_PKS1_PKii,comdat
.Lfunc_end72:
	.size	_ZN4vllm32paged_attention_v2_reduce_kernelItLi96ELi128ELi512EEEvPT_PKfS4_PKS1_PKii, .Lfunc_end72-_ZN4vllm32paged_attention_v2_reduce_kernelItLi96ELi128ELi512EEEvPT_PKfS4_PKS1_PKii
                                        ; -- End function
	.section	.AMDGPU.csdata,"",@progbits
; Kernel info:
; codeLenInByte = 2432
; NumSgprs: 31
; NumVgprs: 19
; ScratchSize: 0
; MemoryBound: 0
; FloatMode: 240
; IeeeMode: 1
; LDSByteSize: 32 bytes/workgroup (compile time only)
; SGPRBlocks: 3
; VGPRBlocks: 2
; NumSGPRsForWavesPerEU: 31
; NumVGPRsForWavesPerEU: 19
; Occupancy: 16
; WaveLimiterHint : 0
; COMPUTE_PGM_RSRC2:SCRATCH_EN: 0
; COMPUTE_PGM_RSRC2:USER_SGPR: 14
; COMPUTE_PGM_RSRC2:TRAP_HANDLER: 0
; COMPUTE_PGM_RSRC2:TGID_X_EN: 1
; COMPUTE_PGM_RSRC2:TGID_Y_EN: 1
; COMPUTE_PGM_RSRC2:TGID_Z_EN: 0
; COMPUTE_PGM_RSRC2:TIDIG_COMP_CNT: 0
	.section	.text._ZN4vllm25paged_attention_v2_kernelIttLi112ELi8ELi128ELNS_18Fp8KVCacheDataTypeE0ELb1ELi512EEEvPfS2_PT_PKS3_PKT0_S9_ifPKiSB_iPKfiiiSD_SD_iiiii,"axG",@progbits,_ZN4vllm25paged_attention_v2_kernelIttLi112ELi8ELi128ELNS_18Fp8KVCacheDataTypeE0ELb1ELi512EEEvPfS2_PT_PKS3_PKT0_S9_ifPKiSB_iPKfiiiSD_SD_iiiii,comdat
	.protected	_ZN4vllm25paged_attention_v2_kernelIttLi112ELi8ELi128ELNS_18Fp8KVCacheDataTypeE0ELb1ELi512EEEvPfS2_PT_PKS3_PKT0_S9_ifPKiSB_iPKfiiiSD_SD_iiiii ; -- Begin function _ZN4vllm25paged_attention_v2_kernelIttLi112ELi8ELi128ELNS_18Fp8KVCacheDataTypeE0ELb1ELi512EEEvPfS2_PT_PKS3_PKT0_S9_ifPKiSB_iPKfiiiSD_SD_iiiii
	.globl	_ZN4vllm25paged_attention_v2_kernelIttLi112ELi8ELi128ELNS_18Fp8KVCacheDataTypeE0ELb1ELi512EEEvPfS2_PT_PKS3_PKT0_S9_ifPKiSB_iPKfiiiSD_SD_iiiii
	.p2align	8
	.type	_ZN4vllm25paged_attention_v2_kernelIttLi112ELi8ELi128ELNS_18Fp8KVCacheDataTypeE0ELb1ELi512EEEvPfS2_PT_PKS3_PKT0_S9_ifPKiSB_iPKfiiiSD_SD_iiiii,@function
_ZN4vllm25paged_attention_v2_kernelIttLi112ELi8ELi128ELNS_18Fp8KVCacheDataTypeE0ELb1ELi512EEEvPfS2_PT_PKS3_PKT0_S9_ifPKiSB_iPKfiiiSD_SD_iiiii: ; @_ZN4vllm25paged_attention_v2_kernelIttLi112ELi8ELi128ELNS_18Fp8KVCacheDataTypeE0ELb1ELi512EEEvPfS2_PT_PKS3_PKT0_S9_ifPKiSB_iPKfiiiSD_SD_iiiii
; %bb.0:
	s_load_b64 s[2:3], s[0:1], 0x40
	s_mov_b32 s20, s15
	s_ashr_i32 s15, s14, 31
	s_delay_alu instid0(SALU_CYCLE_1)
	s_lshl_b64 s[4:5], s[14:15], 2
	s_waitcnt lgkmcnt(0)
	s_add_u32 s2, s2, s4
	s_addc_u32 s3, s3, s5
	s_lshl_b32 s21, s20, 9
	s_load_b32 s33, s[2:3], 0x0
	s_waitcnt lgkmcnt(0)
	s_cmp_ge_i32 s21, s33
	s_cbranch_scc1 .LBB73_69
; %bb.1:
	s_mov_b32 s26, s13
	s_clause 0x1
	s_load_b32 s15, s[0:1], 0x90
	s_load_b64 s[12:13], s[0:1], 0x30
	s_mov_b32 s36, 0
	s_waitcnt lgkmcnt(0)
	s_abs_i32 s5, s15
	s_abs_i32 s2, s12
	s_delay_alu instid0(SALU_CYCLE_1) | instskip(SKIP_1) | instid1(VALU_DEP_1)
	v_cvt_f32_u32_e32 v1, s2
	s_sub_i32 s4, 0, s2
	v_rcp_iflag_f32_e32 v1, v1
	s_waitcnt_depctr 0xfff
	v_mul_f32_e32 v1, 0x4f7ffffe, v1
	s_delay_alu instid0(VALU_DEP_1) | instskip(NEXT) | instid1(VALU_DEP_1)
	v_cvt_u32_f32_e32 v1, v1
	v_readfirstlane_b32 s3, v1
	s_delay_alu instid0(VALU_DEP_1) | instskip(NEXT) | instid1(SALU_CYCLE_1)
	s_mul_i32 s4, s4, s3
	s_mul_hi_u32 s4, s3, s4
	s_delay_alu instid0(SALU_CYCLE_1) | instskip(SKIP_4) | instid1(SALU_CYCLE_1)
	s_add_i32 s3, s3, s4
	s_xor_b32 s4, s15, s12
	s_mul_hi_u32 s3, s5, s3
	s_ashr_i32 s4, s4, 31
	s_mul_i32 s6, s3, s2
	s_sub_i32 s5, s5, s6
	s_add_i32 s6, s3, 1
	s_sub_i32 s7, s5, s2
	s_cmp_ge_u32 s5, s2
	s_cselect_b32 s3, s6, s3
	s_cselect_b32 s5, s7, s5
	s_add_i32 s6, s3, 1
	s_cmp_ge_u32 s5, s2
	s_cselect_b32 s2, s6, s3
	s_abs_i32 s17, s26
	s_xor_b32 s2, s2, s4
	s_delay_alu instid0(SALU_CYCLE_1) | instskip(SKIP_2) | instid1(SALU_CYCLE_1)
	s_sub_i32 s8, s2, s4
	s_load_b64 s[2:3], s[0:1], 0x50
	s_abs_i32 s16, s8
	v_cvt_f32_u32_e32 v1, s16
	s_sub_i32 s5, 0, s16
	s_delay_alu instid0(VALU_DEP_1) | instskip(SKIP_2) | instid1(VALU_DEP_1)
	v_rcp_iflag_f32_e32 v1, v1
	s_waitcnt_depctr 0xfff
	v_mul_f32_e32 v1, 0x4f7ffffe, v1
	v_cvt_u32_f32_e32 v1, v1
	s_delay_alu instid0(VALU_DEP_1) | instskip(NEXT) | instid1(VALU_DEP_1)
	v_readfirstlane_b32 s4, v1
	s_mul_i32 s5, s5, s4
	s_delay_alu instid0(SALU_CYCLE_1) | instskip(NEXT) | instid1(SALU_CYCLE_1)
	s_mul_hi_u32 s5, s4, s5
	s_add_i32 s4, s4, s5
	s_waitcnt lgkmcnt(0)
	s_cmp_eq_u64 s[2:3], 0
	s_mul_hi_u32 s18, s17, s4
	s_cbranch_scc1 .LBB73_3
; %bb.2:
	s_ashr_i32 s27, s26, 31
	s_delay_alu instid0(SALU_CYCLE_1) | instskip(NEXT) | instid1(SALU_CYCLE_1)
	s_lshl_b64 s[4:5], s[26:27], 2
	s_add_u32 s2, s2, s4
	s_addc_u32 s3, s3, s5
	s_load_b32 s36, s[2:3], 0x0
.LBB73_3:
	s_load_b128 s[4:7], s[0:1], 0x58
	v_and_b32_e32 v1, 3, v0
	v_lshlrev_b32_e32 v2, 2, v0
	s_ashr_i32 s2, s26, 31
	s_ashr_i32 s3, s8, 31
	s_mul_i32 s22, s26, 0x70
	s_waitcnt lgkmcnt(0)
	s_mov_b32 s7, exec_lo
	v_cmpx_gt_u32_e32 56, v0
	s_cbranch_execz .LBB73_5
; %bb.4:
	s_load_b64 s[8:9], s[0:1], 0x18
	s_mul_i32 s10, s14, s4
	v_and_b32_e32 v4, 0x3fc, v0
	s_ashr_i32 s11, s10, 31
	s_delay_alu instid0(SALU_CYCLE_1) | instskip(NEXT) | instid1(VALU_DEP_1)
	s_lshl_b64 s[10:11], s[10:11], 1
	v_mad_u32_u24 v4, v1, 56, v4
	s_waitcnt lgkmcnt(0)
	s_add_u32 s4, s8, s10
	s_addc_u32 s10, s9, s11
	s_ashr_i32 s23, s22, 31
	s_delay_alu instid0(SALU_CYCLE_1) | instskip(NEXT) | instid1(SALU_CYCLE_1)
	s_lshl_b64 s[8:9], s[22:23], 1
	s_add_u32 s8, s4, s8
	s_addc_u32 s9, s10, s9
	global_load_b32 v3, v2, s[8:9]
	s_waitcnt vmcnt(0)
	ds_store_b32 v4, v3
.LBB73_5:
	s_or_b32 exec_lo, exec_lo, s7
	s_load_b128 s[8:11], s[0:1], 0x78
	s_mul_i32 s4, s18, s16
	s_xor_b32 s2, s2, s3
	s_sub_i32 s3, s17, s4
	s_add_i32 s4, s18, 1
	s_sub_i32 s7, s3, s16
	s_cmp_ge_u32 s3, s16
	s_mov_b32 s17, -1
	s_cselect_b32 s4, s4, s18
	s_cselect_b32 s3, s7, s3
	s_add_i32 s7, s4, 1
	s_cmp_ge_u32 s3, s16
	s_waitcnt lgkmcnt(0)
	s_cselect_b32 s3, s7, s4
	s_load_b32 s7, s[0:1], 0x88
	s_xor_b32 s3, s3, s2
	s_add_i32 s16, s33, -1
	s_sub_i32 s3, s3, s2
	s_abs_i32 s4, s16
	s_waitcnt lgkmcnt(0)
	s_barrier
	s_abs_i32 s23, s11
	buffer_gl0_inv
	v_cvt_f32_u32_e32 v3, s23
	s_sub_i32 s2, 0, s23
                                        ; implicit-def: $sgpr38
	s_delay_alu instid0(VALU_DEP_1) | instskip(SKIP_2) | instid1(VALU_DEP_1)
	v_rcp_iflag_f32_e32 v3, v3
	s_waitcnt_depctr 0xfff
	v_mul_f32_e32 v3, 0x4f7ffffe, v3
	v_cvt_u32_f32_e32 v3, v3
	s_delay_alu instid0(VALU_DEP_1) | instskip(NEXT) | instid1(VALU_DEP_1)
	v_readfirstlane_b32 s27, v3
	s_mul_i32 s2, s2, s27
	s_delay_alu instid0(SALU_CYCLE_1) | instskip(NEXT) | instid1(SALU_CYCLE_1)
	s_mul_hi_u32 s2, s27, s2
	s_add_i32 s27, s27, s2
	s_cmp_lt_i32 s7, 0
	s_mul_hi_u32 s2, s4, s27
	s_cbranch_scc0 .LBB73_7
; %bb.6:
	s_mul_i32 s12, s8, s12
	s_mov_b32 s17, 0
	s_add_i32 s12, s3, s12
	s_delay_alu instid0(SALU_CYCLE_1) | instskip(NEXT) | instid1(SALU_CYCLE_1)
	s_mul_i32 s12, s12, s7
	s_sub_i32 s38, 1, s12
.LBB73_7:
	s_load_b64 s[28:29], s[0:1], 0x38
	s_ashr_i32 s12, s16, 31
	s_and_not1_b32 vcc_lo, exec_lo, s17
	s_ashr_i32 s11, s11, 31
	s_cbranch_vccnz .LBB73_9
; %bb.8:
	s_mul_i32 s8, s15, s8
	s_delay_alu instid0(SALU_CYCLE_1) | instskip(NEXT) | instid1(SALU_CYCLE_1)
	s_add_i32 s8, s8, s26
	s_mul_i32 s7, s8, s7
	s_delay_alu instid0(SALU_CYCLE_1)
	s_add_i32 s38, s7, 1
.LBB73_9:
	s_clause 0x4
	s_load_b32 s7, s[0:1], 0x48
	s_load_b64 s[34:35], s[0:1], 0x28
	s_load_b32 s8, s[0:1], 0x98
	s_load_b128 s[16:19], s[0:1], 0x0
	s_load_b64 s[24:25], s[0:1], 0x10
	s_xor_b32 s37, s12, s11
	s_mul_i32 s12, s2, s23
	s_add_i32 s39, s2, 1
	s_sub_i32 s4, s4, s12
	v_lshrrev_b32_e32 v14, 5, v0
	v_mov_b32_e32 v4, 0xff7fffff
	v_mbcnt_lo_u32_b32 v3, -1, 0
	s_mul_i32 s6, s3, s6
	s_delay_alu instid0(VALU_DEP_3)
	v_lshl_add_u32 v15, v14, 3, s21
	s_waitcnt lgkmcnt(0)
	s_mul_i32 s30, s14, s7
	s_sub_i32 s7, s4, s23
	s_ashr_i32 s31, s30, 31
	s_cmp_ge_u32 s4, s23
	s_cselect_b32 s2, s39, s2
	s_cselect_b32 s4, s7, s4
	s_add_i32 s7, s2, 1
	s_cmp_ge_u32 s4, s23
	s_cselect_b32 s2, s7, s2
	s_add_i32 s4, s33, 7
	s_lshl_b32 s12, s20, 6
	s_ashr_i32 s7, s4, 31
	v_or_b32_e32 v9, s12, v14
	s_lshr_b32 s7, s7, 29
	s_delay_alu instid0(SALU_CYCLE_1)
	s_add_i32 s4, s4, s7
	s_add_i32 s7, s12, 64
	s_ashr_i32 s40, s4, 3
	s_xor_b32 s4, s2, s37
	s_min_i32 s39, s7, s40
	v_ashrrev_i32_e32 v10, 31, v9
	v_cmp_gt_i32_e64 s2, s39, v9
	s_sub_i32 s4, s4, s37
	s_delay_alu instid0(VALU_DEP_1)
	s_and_saveexec_b32 s37, s2
	s_cbranch_execz .LBB73_19
; %bb.10:
	s_load_b64 s[0:1], s[0:1], 0x20
	s_ashr_i32 s7, s6, 31
	v_bfe_u32 v5, v0, 2, 3
	s_lshl_b64 s[42:43], s[6:7], 1
	s_sub_i32 s7, s4, s9
	v_cmp_eq_u32_e32 vcc_lo, 0, v1
	v_dual_mov_b32 v8, 0xff7fffff :: v_dual_and_b32 v17, 12, v2
	v_subrev_nc_u32_e32 v18, s33, v5
	v_mul_u32_u24_e32 v6, 56, v1
	v_lshlrev_b64 v[1:2], 2, v[9:10]
	v_lshl_add_u32 v7, v14, 3, s21
	v_xor_b32_e32 v11, 2, v3
	v_xor_b32_e32 v12, 1, v3
	v_lshlrev_b32_e32 v21, 4, v5
	s_waitcnt lgkmcnt(0)
	s_add_u32 s3, s0, s42
	s_addc_u32 s1, s1, s43
	s_abs_i32 s41, s10
	v_cmp_neq_f32_e64 s0, s36, 0
	v_cvt_f32_u32_e32 v4, s41
	s_sub_i32 s42, 0, s41
	s_delay_alu instid0(VALU_DEP_1) | instskip(SKIP_2) | instid1(VALU_DEP_1)
	v_rcp_iflag_f32_e32 v4, v4
	s_waitcnt_depctr 0xfff
	v_dual_mul_f32 v16, 0x4f7ffffe, v4 :: v_dual_lshlrev_b32 v13, 2, v5
	v_lshl_or_b32 v19, v14, 5, v13
	v_dual_mov_b32 v4, 0xff7fffff :: v_dual_add_nc_u32 v13, 1, v18
	s_delay_alu instid0(VALU_DEP_3) | instskip(NEXT) | instid1(VALU_DEP_3)
	v_cvt_u32_f32_e32 v20, v16
	v_add_nc_u32_e32 v16, 0x100, v19
	v_add_co_u32 v19, s3, s3, v21
	s_delay_alu instid0(VALU_DEP_1) | instskip(NEXT) | instid1(VALU_DEP_4)
	v_add_co_ci_u32_e64 v21, null, s1, 0, s3
	v_mul_lo_u32 v18, s42, v20
	s_lshl_b64 s[42:43], s[30:31], 2
	s_delay_alu instid0(SALU_CYCLE_1) | instskip(SKIP_2) | instid1(VALU_DEP_1)
	s_add_u32 s1, s28, s42
	s_addc_u32 s3, s29, s43
	v_add_co_u32 v1, s1, s1, v1
	v_add_co_ci_u32_e64 v2, s1, s3, v2, s1
	s_delay_alu instid0(VALU_DEP_3) | instskip(SKIP_1) | instid1(VALU_DEP_1)
	v_mul_hi_u32 v22, v20, v18
	v_add_co_u32 v17, s1, v19, v17
	v_add_co_ci_u32_e64 v18, s1, 0, v21, s1
	s_mov_b32 s42, 0
	s_mov_b32 s43, s5
	s_delay_alu instid0(VALU_DEP_3)
	v_dual_mov_b32 v20, v9 :: v_dual_add_nc_u32 v19, v20, v22
	s_branch .LBB73_13
.LBB73_11:                              ;   in Loop: Header=BB73_13 Depth=1
	s_or_b32 exec_lo, exec_lo, s44
.LBB73_12:                              ;   in Loop: Header=BB73_13 Depth=1
	s_delay_alu instid0(SALU_CYCLE_1) | instskip(SKIP_2) | instid1(VALU_DEP_1)
	s_or_b32 exec_lo, exec_lo, s3
	v_add_nc_u32_e32 v20, 4, v20
	v_add_co_u32 v1, s3, v1, 16
	v_add_co_ci_u32_e64 v2, s3, 0, v2, s3
	s_delay_alu instid0(VALU_DEP_3) | instskip(SKIP_2) | instid1(VALU_DEP_3)
	v_cmp_le_i32_e64 s1, s39, v20
	v_add_nc_u32_e32 v7, 32, v7
	v_add_nc_u32_e32 v16, 0x80, v16
	s_or_b32 s42, s1, s42
	s_delay_alu instid0(SALU_CYCLE_1)
	s_and_not1_b32 exec_lo, exec_lo, s42
	s_cbranch_execz .LBB73_18
.LBB73_13:                              ; =>This Inner Loop Header: Depth=1
	v_sub_nc_u32_e32 v21, 0, v7
	s_delay_alu instid0(VALU_DEP_1) | instskip(SKIP_1) | instid1(VALU_DEP_1)
	v_max_i32_e32 v21, v7, v21
	s_waitcnt lgkmcnt(0)
	v_mul_hi_u32 v22, v21, s27
	s_delay_alu instid0(VALU_DEP_1) | instskip(NEXT) | instid1(VALU_DEP_1)
	v_mul_lo_u32 v23, v22, s23
	v_sub_nc_u32_e32 v21, v21, v23
	v_add_nc_u32_e32 v23, 1, v22
	s_delay_alu instid0(VALU_DEP_2) | instskip(SKIP_1) | instid1(VALU_DEP_1)
	v_subrev_nc_u32_e32 v24, s23, v21
	v_cmp_le_u32_e64 s1, s23, v21
	v_cndmask_b32_e64 v22, v22, v23, s1
	s_delay_alu instid0(VALU_DEP_3) | instskip(SKIP_1) | instid1(VALU_DEP_3)
	v_cndmask_b32_e64 v21, v21, v24, s1
	v_ashrrev_i32_e32 v23, 31, v7
	v_add_nc_u32_e32 v24, 1, v22
	s_delay_alu instid0(VALU_DEP_3) | instskip(NEXT) | instid1(VALU_DEP_3)
	v_cmp_le_u32_e64 s1, s23, v21
	v_xor_b32_e32 v23, s11, v23
	s_delay_alu instid0(VALU_DEP_2) | instskip(NEXT) | instid1(VALU_DEP_1)
	v_cndmask_b32_e64 v21, v22, v24, s1
	v_xor_b32_e32 v21, v21, v23
	s_delay_alu instid0(VALU_DEP_1) | instskip(NEXT) | instid1(VALU_DEP_1)
	v_sub_nc_u32_e32 v21, v21, v23
	v_add_nc_u32_e32 v22, s38, v21
	v_cmp_ge_i32_e64 s3, s7, v21
	s_delay_alu instid0(VALU_DEP_2) | instskip(NEXT) | instid1(VALU_DEP_1)
	v_sub_nc_u32_e32 v23, 0, v22
	v_max_i32_e32 v23, v22, v23
	v_ashrrev_i32_e32 v22, 31, v22
	s_delay_alu instid0(VALU_DEP_2) | instskip(NEXT) | instid1(VALU_DEP_1)
	v_mul_hi_u32 v24, v23, v19
	v_mul_lo_u32 v24, v24, s41
	s_delay_alu instid0(VALU_DEP_1) | instskip(NEXT) | instid1(VALU_DEP_1)
	v_sub_nc_u32_e32 v23, v23, v24
	v_subrev_nc_u32_e32 v24, s41, v23
	v_cmp_le_u32_e64 s1, s41, v23
	s_delay_alu instid0(VALU_DEP_1) | instskip(NEXT) | instid1(VALU_DEP_1)
	v_cndmask_b32_e64 v23, v23, v24, s1
	v_subrev_nc_u32_e32 v24, s41, v23
	v_cmp_le_u32_e64 s1, s41, v23
	s_delay_alu instid0(VALU_DEP_1) | instskip(NEXT) | instid1(VALU_DEP_1)
	v_cndmask_b32_e64 v23, v23, v24, s1
	v_xor_b32_e32 v23, v23, v22
	s_delay_alu instid0(VALU_DEP_1) | instskip(NEXT) | instid1(VALU_DEP_1)
	v_sub_nc_u32_e32 v22, v23, v22
	v_cmp_ne_u32_e64 s1, 0, v22
	s_delay_alu instid0(VALU_DEP_1) | instskip(NEXT) | instid1(SALU_CYCLE_1)
	s_and_b32 s1, s1, s3
	s_and_b32 s44, vcc_lo, s1
	s_delay_alu instid0(SALU_CYCLE_1)
	s_and_saveexec_b32 s3, s44
	s_cbranch_execz .LBB73_15
; %bb.14:                               ;   in Loop: Header=BB73_13 Depth=1
	ds_store_b32 v16, v8
.LBB73_15:                              ;   in Loop: Header=BB73_13 Depth=1
	s_or_b32 exec_lo, exec_lo, s3
	s_xor_b32 s1, s1, -1
	s_delay_alu instid0(SALU_CYCLE_1)
	s_and_saveexec_b32 s3, s1
	s_cbranch_execz .LBB73_12
; %bb.16:                               ;   in Loop: Header=BB73_13 Depth=1
	global_load_b32 v23, v[1:2], off
	s_waitcnt vmcnt(0)
	v_mad_i64_i32 v[21:22], null, v23, s43, 0
	s_delay_alu instid0(VALU_DEP_1) | instskip(NEXT) | instid1(VALU_DEP_1)
	v_lshlrev_b64 v[21:22], 1, v[21:22]
	v_add_co_u32 v21, s1, v17, v21
	s_delay_alu instid0(VALU_DEP_1)
	v_add_co_ci_u32_e64 v22, s1, v18, v22, s1
	v_cmp_gt_i32_e64 s1, 32, v11
	s_clause 0xb
	global_load_b32 v23, v[21:22], off
	global_load_b32 v24, v[21:22], off offset:128
	global_load_b32 v25, v[21:22], off offset:256
	;; [unrolled: 1-line block ×11, first 2 shown]
	ds_load_b32 v34, v6
	s_clause 0x1
	global_load_b32 v38, v[21:22], off offset:1536
	global_load_b32 v21, v[21:22], off offset:1664
	s_waitcnt lgkmcnt(0)
	v_lshrrev_b32_e32 v36, 16, v34
	v_and_b32_e32 v34, 0xffff, v34
	;;#ASMSTART
	v_cvt_f32_f16 v22, v34;
	;;#ASMEND
	;;#ASMSTART
	v_cvt_f32_f16 v34, v36;
	;;#ASMEND
	s_waitcnt vmcnt(13)
	v_lshrrev_b32_e32 v37, 16, v23
	v_and_b32_e32 v23, 0xffff, v23
	;;#ASMSTART
	v_cvt_f32_f16 v23, v23;
	;;#ASMEND
	;;#ASMSTART
	v_cvt_f32_f16 v36, v37;
	;;#ASMEND
	ds_load_b32 v37, v6 offset:4
	s_waitcnt vmcnt(12)
	v_and_b32_e32 v40, 0xffff, v24
	v_lshrrev_b32_e32 v24, 16, v24
	s_waitcnt vmcnt(11)
	v_and_b32_e32 v43, 0xffff, v25
	v_lshrrev_b32_e32 v25, 16, v25
	;; [unrolled: 3-line block ×6, first 2 shown]
	s_waitcnt lgkmcnt(0)
	v_and_b32_e32 v39, 0xffff, v37
	v_lshrrev_b32_e32 v37, 16, v37
	;;#ASMSTART
	v_cvt_f32_f16 v39, v39;
	;;#ASMEND
	;;#ASMSTART
	v_cvt_f32_f16 v37, v37;
	;;#ASMEND
	;; [unrolled: 3-line block ×4, first 2 shown]
	ds_load_b32 v41, v6 offset:8
	v_mul_f32_e32 v39, v39, v40
	v_mul_f32_e32 v24, v37, v24
	s_waitcnt vmcnt(2)
	v_lshrrev_b32_e32 v37, 16, v35
	s_delay_alu instid0(VALU_DEP_3) | instskip(NEXT) | instid1(VALU_DEP_3)
	v_fmac_f32_e32 v39, v22, v23
	v_fmac_f32_e32 v24, v34, v36
	s_waitcnt lgkmcnt(0)
	v_and_b32_e32 v42, 0xffff, v41
	v_lshrrev_b32_e32 v41, 16, v41
	;;#ASMSTART
	v_cvt_f32_f16 v42, v42;
	;;#ASMEND
	;;#ASMSTART
	v_cvt_f32_f16 v41, v41;
	;;#ASMEND
	;; [unrolled: 3-line block ×4, first 2 shown]
	ds_load_b32 v44, v6 offset:12
	v_dual_fmac_f32 v39, v42, v43 :: v_dual_and_b32 v46, 0xffff, v26
	v_lshrrev_b32_e32 v26, 16, v26
	s_waitcnt lgkmcnt(0)
	v_dual_fmac_f32 v24, v41, v25 :: v_dual_and_b32 v45, 0xffff, v44
	v_lshrrev_b32_e32 v44, 16, v44
	;;#ASMSTART
	v_cvt_f32_f16 v45, v45;
	;;#ASMEND
	;;#ASMSTART
	v_cvt_f32_f16 v44, v44;
	;;#ASMEND
	;; [unrolled: 3-line block ×4, first 2 shown]
	ds_load_b32 v47, v6 offset:16
	v_fmac_f32_e32 v39, v45, v46
	v_fmac_f32_e32 v24, v44, v26
	s_waitcnt vmcnt(1)
	v_lshrrev_b32_e32 v26, 16, v38
	s_waitcnt lgkmcnt(0)
	v_and_b32_e32 v48, 0xffff, v47
	v_lshrrev_b32_e32 v47, 16, v47
	;;#ASMSTART
	v_cvt_f32_f16 v48, v48;
	;;#ASMEND
	;;#ASMSTART
	v_cvt_f32_f16 v47, v47;
	;;#ASMEND
	;; [unrolled: 3-line block ×4, first 2 shown]
	ds_load_b32 v50, v6 offset:20
	v_dual_fmac_f32 v39, v48, v49 :: v_dual_and_b32 v52, 0xffff, v28
	v_lshrrev_b32_e32 v28, 16, v28
	s_waitcnt lgkmcnt(0)
	v_dual_fmac_f32 v24, v47, v27 :: v_dual_and_b32 v51, 0xffff, v50
	v_lshrrev_b32_e32 v50, 16, v50
	;;#ASMSTART
	v_cvt_f32_f16 v51, v51;
	;;#ASMEND
	;;#ASMSTART
	v_cvt_f32_f16 v50, v50;
	;;#ASMEND
	;; [unrolled: 3-line block ×4, first 2 shown]
	ds_load_b32 v53, v6 offset:24
	v_fmac_f32_e32 v39, v51, v52
	v_fmac_f32_e32 v24, v50, v28
	s_waitcnt lgkmcnt(0)
	v_and_b32_e32 v54, 0xffff, v53
	v_lshrrev_b32_e32 v53, 16, v53
	;;#ASMSTART
	v_cvt_f32_f16 v54, v54;
	;;#ASMEND
	;;#ASMSTART
	v_cvt_f32_f16 v53, v53;
	;;#ASMEND
	;; [unrolled: 3-line block ×4, first 2 shown]
	ds_load_b32 v56, v6 offset:28
	v_dual_fmac_f32 v39, v54, v55 :: v_dual_and_b32 v58, 0xffff, v30
	v_lshrrev_b32_e32 v30, 16, v30
	v_dual_fmac_f32 v24, v53, v29 :: v_dual_and_b32 v29, 0xffff, v38
	s_waitcnt lgkmcnt(0)
	v_and_b32_e32 v57, 0xffff, v56
	v_lshrrev_b32_e32 v56, 16, v56
	;;#ASMSTART
	v_cvt_f32_f16 v57, v57;
	;;#ASMEND
	;;#ASMSTART
	v_cvt_f32_f16 v56, v56;
	;;#ASMEND
	;; [unrolled: 3-line block ×4, first 2 shown]
	ds_load_b32 v59, v6 offset:32
	v_fmac_f32_e32 v39, v57, v58
	v_fmac_f32_e32 v24, v56, v30
	s_waitcnt lgkmcnt(0)
	v_and_b32_e32 v60, 0xffff, v59
	v_lshrrev_b32_e32 v59, 16, v59
	;;#ASMSTART
	v_cvt_f32_f16 v60, v60;
	;;#ASMEND
	;;#ASMSTART
	v_cvt_f32_f16 v59, v59;
	;;#ASMEND
	;; [unrolled: 3-line block ×4, first 2 shown]
	ds_load_b32 v62, v6 offset:36
	v_dual_fmac_f32 v39, v60, v61 :: v_dual_and_b32 v64, 0xffff, v32
	v_lshrrev_b32_e32 v32, 16, v32
	v_fmac_f32_e32 v24, v59, v31
	v_cndmask_b32_e64 v31, v3, v11, s1
	v_cmp_gt_i32_e64 s1, 32, v12
	s_waitcnt lgkmcnt(0)
	v_and_b32_e32 v63, 0xffff, v62
	v_lshrrev_b32_e32 v62, 16, v62
	;;#ASMSTART
	v_cvt_f32_f16 v63, v63;
	;;#ASMEND
	;;#ASMSTART
	v_cvt_f32_f16 v62, v62;
	;;#ASMEND
	;; [unrolled: 3-line block ×4, first 2 shown]
	ds_load_b32 v65, v6 offset:40
	v_fmac_f32_e32 v39, v63, v64
	v_fmac_f32_e32 v24, v62, v32
	s_waitcnt vmcnt(0)
	v_lshrrev_b32_e32 v32, 16, v21
	s_waitcnt lgkmcnt(0)
	v_and_b32_e32 v66, 0xffff, v65
	v_lshrrev_b32_e32 v65, 16, v65
	;;#ASMSTART
	v_cvt_f32_f16 v66, v66;
	;;#ASMEND
	;;#ASMSTART
	v_cvt_f32_f16 v65, v65;
	;;#ASMEND
	;; [unrolled: 3-line block ×4, first 2 shown]
	ds_load_b32 v68, v6 offset:44
	v_dual_fmac_f32 v39, v66, v67 :: v_dual_fmac_f32 v24, v65, v33
	s_waitcnt lgkmcnt(0)
	v_and_b32_e32 v22, 0xffff, v68
	v_lshrrev_b32_e32 v23, 16, v68
	;;#ASMSTART
	v_cvt_f32_f16 v22, v22;
	;;#ASMEND
	v_and_b32_e32 v34, 0xffff, v35
	;;#ASMSTART
	v_cvt_f32_f16 v23, v23;
	;;#ASMEND
	;;#ASMSTART
	v_cvt_f32_f16 v25, v34;
	;;#ASMEND
	v_fmac_f32_e32 v39, v22, v25
	;;#ASMSTART
	v_cvt_f32_f16 v34, v37;
	;;#ASMEND
	ds_load_b32 v35, v6 offset:48
	s_waitcnt lgkmcnt(0)
	v_dual_fmac_f32 v24, v23, v34 :: v_dual_and_b32 v27, 0xffff, v35
	v_lshrrev_b32_e32 v28, 16, v35
	;;#ASMSTART
	v_cvt_f32_f16 v27, v27;
	;;#ASMEND
	;;#ASMSTART
	v_cvt_f32_f16 v28, v28;
	;;#ASMEND
	;; [unrolled: 3-line block ×4, first 2 shown]
	ds_load_b32 v30, v6 offset:52
	v_dual_fmac_f32 v24, v28, v26 :: v_dual_and_b32 v21, 0xffff, v21
	s_waitcnt lgkmcnt(0)
	v_dual_fmac_f32 v39, v27, v29 :: v_dual_and_b32 v22, 0xffff, v30
	v_lshrrev_b32_e32 v23, 16, v30
	;;#ASMSTART
	v_cvt_f32_f16 v22, v22;
	;;#ASMEND
	;;#ASMSTART
	v_cvt_f32_f16 v23, v23;
	;;#ASMEND
	;; [unrolled: 3-line block ×4, first 2 shown]
	v_fmac_f32_e32 v24, v23, v25
	v_cndmask_b32_e64 v23, v3, v12, s1
	v_fmac_f32_e32 v39, v22, v21
	s_delay_alu instid0(VALU_DEP_1)
	v_dual_add_f32 v22, v39, v24 :: v_dual_lshlrev_b32 v21, 2, v31
	ds_bpermute_b32 v21, v21, v22
	s_waitcnt lgkmcnt(0)
	v_dual_add_f32 v21, v22, v21 :: v_dual_lshlrev_b32 v22, 2, v23
	ds_bpermute_b32 v22, v22, v21
	s_and_saveexec_b32 s44, vcc_lo
	s_cbranch_execz .LBB73_11
; %bb.17:                               ;   in Loop: Header=BB73_13 Depth=1
	s_waitcnt lgkmcnt(0)
	v_add_f32_e32 v21, v21, v22
	v_add_nc_u32_e32 v23, v13, v7
	s_delay_alu instid0(VALU_DEP_1) | instskip(NEXT) | instid1(VALU_DEP_1)
	v_cvt_f32_i32_e32 v23, v23
	v_mul_f32_e32 v23, s36, v23
	s_delay_alu instid0(VALU_DEP_1) | instskip(NEXT) | instid1(VALU_DEP_1)
	v_cndmask_b32_e64 v22, 0, v23, s0
	v_dual_max_f32 v23, v4, v4 :: v_dual_fmac_f32 v22, s13, v21
	v_add_nc_u32_e32 v21, v5, v7
	s_delay_alu instid0(VALU_DEP_2) | instskip(NEXT) | instid1(VALU_DEP_2)
	v_max_f32_e32 v23, v23, v22
	v_cmp_gt_i32_e64 s1, s33, v21
	s_delay_alu instid0(VALU_DEP_1) | instskip(NEXT) | instid1(VALU_DEP_3)
	v_cndmask_b32_e64 v21, 0, v22, s1
	v_cndmask_b32_e64 v4, v4, v23, s1
	ds_store_b32 v16, v21
	s_branch .LBB73_11
.LBB73_18:
	s_or_b32 exec_lo, exec_lo, s42
.LBB73_19:
	s_delay_alu instid0(SALU_CYCLE_1) | instskip(SKIP_4) | instid1(VALU_DEP_4)
	s_or_b32 exec_lo, exec_lo, s37
	v_xor_b32_e32 v1, 16, v3
	v_xor_b32_e32 v5, 8, v3
	v_max_f32_e32 v6, v4, v4
	v_and_b32_e32 v16, 31, v0
	v_cmp_gt_i32_e32 vcc_lo, 32, v1
	v_cndmask_b32_e32 v1, v3, v1, vcc_lo
	v_cmp_gt_i32_e32 vcc_lo, 32, v5
	s_delay_alu instid0(VALU_DEP_2) | instskip(SKIP_4) | instid1(VALU_DEP_1)
	v_lshlrev_b32_e32 v2, 2, v1
	ds_bpermute_b32 v1, v2, v4
	v_cndmask_b32_e32 v4, v3, v5, vcc_lo
	s_waitcnt lgkmcnt(0)
	v_max_f32_e32 v1, v1, v1
	v_max_f32_e32 v1, v6, v1
	v_xor_b32_e32 v6, 4, v3
	s_delay_alu instid0(VALU_DEP_1) | instskip(SKIP_2) | instid1(VALU_DEP_2)
	v_cmp_gt_i32_e32 vcc_lo, 32, v6
	v_cndmask_b32_e32 v6, v3, v6, vcc_lo
	v_cmp_eq_u32_e32 vcc_lo, 0, v16
	v_lshlrev_b32_e32 v7, 2, v6
	v_lshlrev_b32_e32 v4, 2, v4
	ds_bpermute_b32 v5, v4, v1
	s_waitcnt lgkmcnt(0)
	v_max_f32_e32 v5, v5, v5
	s_delay_alu instid0(VALU_DEP_1)
	v_max_f32_e32 v1, v1, v5
	v_lshlrev_b32_e32 v5, 2, v14
	ds_bpermute_b32 v6, v7, v1
	s_and_saveexec_b32 s0, vcc_lo
	s_cbranch_execz .LBB73_21
; %bb.20:
	s_waitcnt lgkmcnt(0)
	v_dual_max_f32 v6, v6, v6 :: v_dual_max_f32 v1, v1, v1
	s_delay_alu instid0(VALU_DEP_1)
	v_max_f32_e32 v1, v1, v6
	ds_store_b32 v5, v1 offset:224
.LBB73_21:
	s_or_b32 exec_lo, exec_lo, s0
	v_cmp_gt_u32_e64 s0, 4, v16
	s_waitcnt lgkmcnt(0)
	v_dual_mov_b32 v1, 0xff7fffff :: v_dual_lshlrev_b32 v6, 2, v16
	s_barrier
	buffer_gl0_inv
	s_and_saveexec_b32 s1, s0
	s_cbranch_execz .LBB73_23
; %bb.22:
	ds_load_b32 v1, v6 offset:224
.LBB73_23:
	s_or_b32 exec_lo, exec_lo, s1
	v_xor_b32_e32 v8, 2, v3
	v_xor_b32_e32 v12, 1, v3
	s_delay_alu instid0(VALU_DEP_2) | instskip(NEXT) | instid1(VALU_DEP_1)
	v_cmp_gt_i32_e64 s1, 32, v8
	v_cndmask_b32_e64 v8, v3, v8, s1
	s_delay_alu instid0(VALU_DEP_3) | instskip(NEXT) | instid1(VALU_DEP_2)
	v_cmp_gt_i32_e64 s1, 32, v12
	v_lshlrev_b32_e32 v8, 2, v8
	s_delay_alu instid0(VALU_DEP_2) | instskip(SKIP_1) | instid1(SALU_CYCLE_1)
	v_cndmask_b32_e64 v3, v3, v12, s1
	s_sub_i32 s1, s39, s12
	s_lshl_b32 s1, s1, 3
	s_waitcnt lgkmcnt(0)
	ds_bpermute_b32 v11, v8, v1
	v_max_f32_e32 v1, v1, v1
	s_add_i32 s1, s1, s21
	s_delay_alu instid0(SALU_CYCLE_1) | instskip(NEXT) | instid1(SALU_CYCLE_1)
	s_min_i32 s1, s1, s33
	s_sub_i32 s7, s1, s21
	s_delay_alu instid0(SALU_CYCLE_1) | instskip(SKIP_3) | instid1(VALU_DEP_2)
	v_cmp_gt_i32_e64 s1, s7, v0
	s_waitcnt lgkmcnt(0)
	v_max_f32_e32 v12, v11, v11
	v_lshlrev_b32_e32 v11, 2, v3
	v_dual_max_f32 v1, v1, v12 :: v_dual_mov_b32 v12, 0
	ds_bpermute_b32 v3, v11, v1
	s_waitcnt lgkmcnt(0)
	v_max_f32_e32 v3, v3, v3
	s_delay_alu instid0(VALU_DEP_1)
	v_max_f32_e32 v1, v1, v3
	v_lshl_add_u32 v3, v0, 2, 0x100
	ds_bpermute_b32 v1, v12, v1
	s_and_saveexec_b32 s12, s1
	s_cbranch_execz .LBB73_27
; %bb.24:
	v_lshl_add_u32 v13, v0, 2, 0x100
	v_dual_mov_b32 v12, 0 :: v_dual_mov_b32 v17, v0
	s_mov_b32 s13, 0
	.p2align	6
.LBB73_25:                              ; =>This Inner Loop Header: Depth=1
	ds_load_b32 v18, v13
	s_waitcnt lgkmcnt(0)
	v_sub_f32_e32 v18, v18, v1
	s_delay_alu instid0(VALU_DEP_1) | instskip(NEXT) | instid1(VALU_DEP_1)
	v_mul_f32_e32 v18, 0x3fb8aa3b, v18
	v_exp_f32_e32 v18, v18
	s_waitcnt_depctr 0xfff
	v_dual_add_f32 v12, v12, v18 :: v_dual_add_nc_u32 v17, 0x80, v17
	s_delay_alu instid0(VALU_DEP_1) | instskip(SKIP_3) | instid1(SALU_CYCLE_1)
	v_cmp_le_i32_e64 s3, s7, v17
	ds_store_b32 v13, v18
	v_add_nc_u32_e32 v13, 0x200, v13
	s_or_b32 s13, s3, s13
	s_and_not1_b32 exec_lo, exec_lo, s13
	s_cbranch_execnz .LBB73_25
; %bb.26:
	s_or_b32 exec_lo, exec_lo, s13
.LBB73_27:
	s_delay_alu instid0(SALU_CYCLE_1)
	s_or_b32 exec_lo, exec_lo, s12
	ds_bpermute_b32 v2, v2, v12
	s_waitcnt lgkmcnt(0)
	v_add_f32_e32 v2, v12, v2
	ds_bpermute_b32 v4, v4, v2
	s_waitcnt lgkmcnt(0)
	v_add_f32_e32 v2, v2, v4
	;; [unrolled: 3-line block ×5, first 2 shown]
	s_and_saveexec_b32 s3, vcc_lo
	s_cbranch_execz .LBB73_29
; %bb.28:
	ds_store_b32 v5, v2 offset:240
.LBB73_29:
	s_or_b32 exec_lo, exec_lo, s3
	s_waitcnt lgkmcnt(0)
	s_barrier
	buffer_gl0_inv
	s_and_saveexec_b32 s3, s0
	s_cbranch_execz .LBB73_31
; %bb.30:
	ds_load_b32 v2, v6 offset:240
.LBB73_31:
	s_or_b32 exec_lo, exec_lo, s3
	s_waitcnt lgkmcnt(0)
	ds_bpermute_b32 v4, v8, v2
	s_waitcnt lgkmcnt(0)
	v_add_f32_e32 v2, v2, v4
	ds_bpermute_b32 v4, v11, v2
	s_waitcnt lgkmcnt(0)
	v_add_f32_e32 v2, v2, v4
	v_mov_b32_e32 v4, 0
	ds_bpermute_b32 v2, v4, v2
	s_and_saveexec_b32 s0, s1
	s_cbranch_execz .LBB73_34
; %bb.32:
	s_waitcnt lgkmcnt(0)
	v_add_f32_e32 v4, 0x358637bd, v2
	s_mov_b32 s1, 0
	s_delay_alu instid0(VALU_DEP_1) | instskip(SKIP_1) | instid1(VALU_DEP_2)
	v_div_scale_f32 v5, null, v4, v4, 1.0
	v_div_scale_f32 v8, vcc_lo, 1.0, v4, 1.0
	v_rcp_f32_e32 v6, v5
	s_waitcnt_depctr 0xfff
	v_fma_f32 v7, -v5, v6, 1.0
	s_delay_alu instid0(VALU_DEP_1) | instskip(NEXT) | instid1(VALU_DEP_1)
	v_fmac_f32_e32 v6, v7, v6
	v_mul_f32_e32 v7, v8, v6
	s_delay_alu instid0(VALU_DEP_1) | instskip(NEXT) | instid1(VALU_DEP_1)
	v_fma_f32 v11, -v5, v7, v8
	v_fmac_f32_e32 v7, v11, v6
	s_delay_alu instid0(VALU_DEP_1) | instskip(NEXT) | instid1(VALU_DEP_1)
	v_fma_f32 v5, -v5, v7, v8
	v_div_fmas_f32 v5, v5, v6, v7
	s_delay_alu instid0(VALU_DEP_1)
	v_div_fixup_f32 v4, v5, v4, 1.0
	v_mov_b32_e32 v5, v0
.LBB73_33:                              ; =>This Inner Loop Header: Depth=1
	ds_load_b32 v6, v3
	s_waitcnt lgkmcnt(0)
	v_dual_mul_f32 v6, v4, v6 :: v_dual_add_nc_u32 v5, 0x80, v5
	s_delay_alu instid0(VALU_DEP_1) | instskip(SKIP_3) | instid1(SALU_CYCLE_1)
	v_cmp_le_i32_e32 vcc_lo, s7, v5
	ds_store_b32 v3, v6
	v_add_nc_u32_e32 v3, 0x200, v3
	s_or_b32 s1, vcc_lo, s1
	s_and_not1_b32 exec_lo, exec_lo, s1
	s_cbranch_execnz .LBB73_33
.LBB73_34:
	s_or_b32 exec_lo, exec_lo, s0
	s_mul_i32 s0, s8, s14
	s_mov_b32 s12, 0
	s_mul_i32 s36, s0, s15
	s_mov_b32 s0, exec_lo
	s_waitcnt lgkmcnt(0)
	s_barrier
	buffer_gl0_inv
	v_cmpx_eq_u32_e32 0, v0
	s_cbranch_execz .LBB73_36
; %bb.35:
	s_ashr_i32 s37, s36, 31
	s_mul_i32 s42, s8, s26
	s_lshl_b64 s[14:15], s[36:37], 2
	v_mov_b32_e32 v3, 0
	s_add_u32 s1, s18, s14
	s_addc_u32 s3, s19, s15
	s_ashr_i32 s43, s42, 31
	s_delay_alu instid0(SALU_CYCLE_1) | instskip(NEXT) | instid1(SALU_CYCLE_1)
	s_lshl_b64 s[18:19], s[42:43], 2
	s_add_u32 s1, s1, s18
	s_addc_u32 s3, s3, s19
	s_ashr_i32 s21, s20, 31
	s_delay_alu instid0(SALU_CYCLE_1) | instskip(NEXT) | instid1(SALU_CYCLE_1)
	s_lshl_b64 s[42:43], s[20:21], 2
	s_add_u32 s44, s1, s42
	s_addc_u32 s45, s3, s43
	s_add_u32 s1, s16, s14
	s_addc_u32 s3, s17, s15
	;; [unrolled: 2-line block ×4, first 2 shown]
	s_clause 0x1
	global_store_b32 v3, v1, s[44:45]
	global_store_b32 v3, v2, s[14:15]
.LBB73_36:
	s_or_b32 exec_lo, exec_lo, s0
	s_mov_b32 s13, s12
	s_mov_b32 s14, s12
	;; [unrolled: 1-line block ×3, first 2 shown]
	v_dual_mov_b32 v1, s12 :: v_dual_mov_b32 v2, s13
	v_dual_mov_b32 v3, s14 :: v_dual_mov_b32 v4, s15
	s_and_saveexec_b32 s3, s2
	s_cbranch_execz .LBB73_52
; %bb.37:
	s_ashr_i32 s7, s6, 31
	s_sub_i32 s2, s4, s9
	s_lshl_b64 s[0:1], s[6:7], 1
	s_mov_b32 s4, 0
	s_add_u32 s9, s34, s0
	s_addc_u32 s12, s35, s1
	s_abs_i32 s10, s10
	s_mov_b32 s13, s5
	v_cvt_f32_u32_e32 v1, s10
	s_mov_b32 s5, s4
	s_mov_b32 s6, s4
	;; [unrolled: 1-line block ×3, first 2 shown]
	s_sub_i32 s0, 0, s10
	v_rcp_iflag_f32_e32 v1, v1
	v_lshlrev_b64 v[5:6], 2, v[9:10]
	v_or_b32_e32 v8, 0x60, v16
	v_lshlrev_b32_e32 v7, 3, v16
	s_add_i32 s40, s40, -1
	v_lshl_add_u32 v17, v14, 5, 0x100
	s_mov_b32 s14, s33
	v_cmp_gt_u32_e32 vcc_lo, 0x70, v8
	s_mov_b32 s15, s33
	s_mov_b32 s16, s33
	s_waitcnt_depctr 0xfff
	v_mul_f32_e32 v1, 0x4f7ffffe, v1
	s_mov_b32 s17, s33
	v_lshlrev_b32_e32 v8, 3, v8
	s_delay_alu instid0(VALU_DEP_2) | instskip(SKIP_2) | instid1(VALU_DEP_3)
	v_cvt_u32_f32_e32 v12, v1
	v_dual_mov_b32 v1, s4 :: v_dual_mov_b32 v2, s5
	v_dual_mov_b32 v3, s6 :: v_dual_lshlrev_b32 v18, 1, v7
	v_mul_lo_u32 v10, s0, v12
	s_lshl_b64 s[0:1], s[30:31], 2
	v_mov_b32_e32 v4, s7
	s_add_u32 s0, s28, s0
	s_addc_u32 s1, s29, s1
	v_lshlrev_b32_e32 v20, 1, v8
	s_mov_b32 s5, s33
	s_mov_b32 s6, s33
	v_mul_hi_u32 v13, v12, v10
	v_add_co_u32 v10, s0, s0, v5
	s_delay_alu instid0(VALU_DEP_1) | instskip(SKIP_1) | instid1(VALU_DEP_3)
	v_add_co_ci_u32_e64 v11, s0, s1, v6, s0
	s_mov_b32 s7, s33
	v_add_nc_u32_e32 v19, v12, v13
	s_branch .LBB73_41
.LBB73_38:                              ;   in Loop: Header=BB73_41 Depth=1
	s_or_b32 exec_lo, exec_lo, s1
	s_waitcnt vmcnt(0)
	;;#ASMSTART
	v_pk_mul_f16 v5, v26, v5;

	;;#ASMEND
	;;#ASMSTART
	v_pk_mul_f16 v6, v25, v6;

	;;#ASMEND
	;;#ASMSTART
	v_pk_mul_f16 v7, v24, v7;

	;;#ASMEND
	;;#ASMSTART
	v_pk_mul_f16 v8, v23, v8;

	;;#ASMEND
	;;#ASMSTART
	v_pk_add_f16 v5, v5, v6;

	;;#ASMEND
	;;#ASMSTART
	v_pk_add_f16 v5, v5, v7;

	;;#ASMEND
	;; [unrolled: 4-line block ×3, first 2 shown]
	v_and_b32_e32 v6, 0xffff, v5
	v_lshrrev_b32_e32 v5, 16, v5
	;;#ASMSTART
	v_cvt_f32_f16 v6, v6;
	;;#ASMEND
	;;#ASMSTART
	v_cvt_f32_f16 v5, v5;
	;;#ASMEND
	s_delay_alu instid0(VALU_DEP_1) | instskip(NEXT) | instid1(VALU_DEP_1)
	v_add_f32_e32 v5, v6, v5
	v_add_f32_e32 v4, v4, v5
.LBB73_39:                              ;   in Loop: Header=BB73_41 Depth=1
	s_or_b32 exec_lo, exec_lo, s19
.LBB73_40:                              ;   in Loop: Header=BB73_41 Depth=1
	s_delay_alu instid0(SALU_CYCLE_1) | instskip(SKIP_2) | instid1(VALU_DEP_1)
	s_or_b32 exec_lo, exec_lo, s18
	v_add_nc_u32_e32 v9, 4, v9
	v_add_co_u32 v10, s1, v10, 16
	v_add_co_ci_u32_e64 v11, s1, 0, v11, s1
	s_delay_alu instid0(VALU_DEP_3) | instskip(SKIP_2) | instid1(VALU_DEP_3)
	v_cmp_le_i32_e64 s0, s39, v9
	v_add_nc_u32_e32 v15, 32, v15
	v_add_nc_u32_e32 v17, 0x80, v17
	s_or_b32 s4, s0, s4
	s_delay_alu instid0(SALU_CYCLE_1)
	s_and_not1_b32 exec_lo, exec_lo, s4
	s_cbranch_execz .LBB73_51
.LBB73_41:                              ; =>This Inner Loop Header: Depth=1
	v_sub_nc_u32_e32 v5, 0, v15
	s_delay_alu instid0(VALU_DEP_1) | instskip(NEXT) | instid1(VALU_DEP_1)
	v_max_i32_e32 v5, v15, v5
	v_mul_hi_u32 v6, v5, s27
	s_delay_alu instid0(VALU_DEP_1) | instskip(NEXT) | instid1(VALU_DEP_1)
	v_mul_lo_u32 v7, v6, s23
	v_sub_nc_u32_e32 v5, v5, v7
	v_add_nc_u32_e32 v7, 1, v6
	s_delay_alu instid0(VALU_DEP_2) | instskip(SKIP_1) | instid1(VALU_DEP_1)
	v_subrev_nc_u32_e32 v8, s23, v5
	v_cmp_le_u32_e64 s0, s23, v5
	v_cndmask_b32_e64 v6, v6, v7, s0
	s_delay_alu instid0(VALU_DEP_3) | instskip(SKIP_1) | instid1(VALU_DEP_3)
	v_cndmask_b32_e64 v5, v5, v8, s0
	v_ashrrev_i32_e32 v7, 31, v15
	v_add_nc_u32_e32 v8, 1, v6
	s_delay_alu instid0(VALU_DEP_3) | instskip(NEXT) | instid1(VALU_DEP_3)
	v_cmp_le_u32_e64 s0, s23, v5
	v_xor_b32_e32 v7, s11, v7
	s_delay_alu instid0(VALU_DEP_2) | instskip(NEXT) | instid1(VALU_DEP_1)
	v_cndmask_b32_e64 v5, v6, v8, s0
	v_xor_b32_e32 v5, v5, v7
	s_delay_alu instid0(VALU_DEP_1) | instskip(NEXT) | instid1(VALU_DEP_1)
	v_sub_nc_u32_e32 v5, v5, v7
	v_add_nc_u32_e32 v6, s38, v5
	v_cmp_lt_i32_e64 s1, s2, v5
	s_delay_alu instid0(VALU_DEP_2) | instskip(NEXT) | instid1(VALU_DEP_1)
	v_sub_nc_u32_e32 v7, 0, v6
	v_max_i32_e32 v7, v6, v7
	v_ashrrev_i32_e32 v6, 31, v6
	s_delay_alu instid0(VALU_DEP_2) | instskip(NEXT) | instid1(VALU_DEP_1)
	v_mul_hi_u32 v8, v7, v19
	v_mul_lo_u32 v8, v8, s10
	s_delay_alu instid0(VALU_DEP_1) | instskip(NEXT) | instid1(VALU_DEP_1)
	v_sub_nc_u32_e32 v7, v7, v8
	v_subrev_nc_u32_e32 v8, s10, v7
	v_cmp_le_u32_e64 s0, s10, v7
	s_delay_alu instid0(VALU_DEP_1) | instskip(NEXT) | instid1(VALU_DEP_1)
	v_cndmask_b32_e64 v7, v7, v8, s0
	v_subrev_nc_u32_e32 v8, s10, v7
	v_cmp_le_u32_e64 s0, s10, v7
	s_delay_alu instid0(VALU_DEP_1) | instskip(NEXT) | instid1(VALU_DEP_1)
	v_cndmask_b32_e64 v7, v7, v8, s0
	v_xor_b32_e32 v7, v7, v6
	s_delay_alu instid0(VALU_DEP_1) | instskip(NEXT) | instid1(VALU_DEP_1)
	v_sub_nc_u32_e32 v6, v7, v6
	v_cmp_eq_u32_e64 s0, 0, v6
	s_delay_alu instid0(VALU_DEP_1) | instskip(NEXT) | instid1(SALU_CYCLE_1)
	s_or_b32 s0, s0, s1
	s_and_saveexec_b32 s18, s0
	s_cbranch_execz .LBB73_40
; %bb.42:                               ;   in Loop: Header=BB73_41 Depth=1
	global_load_b32 v21, v[10:11], off
	ds_load_2addr_b64 v[5:8], v17 offset1:1
	ds_load_2addr_b64 v[29:32], v17 offset0:2 offset1:3
	s_waitcnt lgkmcnt(1)
	;;#ASMSTART
	v_cvt_f16_f32 v25, v5;

	;;#ASMEND
	;;#ASMSTART
	v_cvt_f16_f32 v23, v6;

	;;#ASMEND
	;;#ASMSTART
	v_cvt_f16_f32 v26, v7;

	;;#ASMEND
	;;#ASMSTART
	v_cvt_f16_f32 v24, v8;

	;;#ASMEND
	s_waitcnt lgkmcnt(0)
	;;#ASMSTART
	v_cvt_f16_f32 v29, v29;

	;;#ASMEND
	;;#ASMSTART
	v_cvt_f16_f32 v27, v30;

	;;#ASMEND
	;; [unrolled: 4-line block ×4, first 2 shown]
	s_waitcnt vmcnt(0)
	v_mad_i64_i32 v[12:13], null, v21, s13, 0
	s_delay_alu instid0(VALU_DEP_1) | instskip(NEXT) | instid1(VALU_DEP_1)
	v_lshlrev_b64 v[12:13], 1, v[12:13]
	v_add_co_u32 v21, s0, s9, v12
	s_delay_alu instid0(VALU_DEP_1) | instskip(NEXT) | instid1(VALU_DEP_2)
	v_add_co_ci_u32_e64 v22, s0, s12, v13, s0
	v_add_co_u32 v12, s0, v21, v18
	s_delay_alu instid0(VALU_DEP_1)
	v_add_co_ci_u32_e64 v13, s0, 0, v22, s0
	v_cmp_eq_u32_e64 s0, s40, v9
	global_load_b128 v[5:8], v[12:13], off
	s_and_saveexec_b32 s19, s0
	s_cbranch_execz .LBB73_44
; %bb.43:                               ;   in Loop: Header=BB73_41 Depth=1
	v_or_b32_e32 v35, 7, v15
	s_waitcnt vmcnt(0)
	v_lshrrev_b32_e32 v36, 16, v8
	v_or_b32_e32 v37, 6, v15
	v_or_b32_e32 v34, 5, v15
	;; [unrolled: 1-line block ×3, first 2 shown]
	v_cmp_gt_i32_e64 s1, s7, v35
	v_lshrrev_b32_e32 v39, 16, v7
	v_or_b32_e32 v32, 3, v15
	v_or_b32_e32 v33, 2, v15
	v_add_nc_u32_e32 v31, 1, v15
	v_cndmask_b32_e64 v35, 0, v36, s1
	v_cmp_gt_i32_e64 s1, s6, v37
	v_lshrrev_b32_e32 v36, 16, v6
	v_lshrrev_b32_e32 v37, 16, v5
	s_delay_alu instid0(VALU_DEP_3) | instskip(SKIP_1) | instid1(VALU_DEP_2)
	v_cndmask_b32_e64 v8, 0, v8, s1
	v_cmp_gt_i32_e64 s1, s5, v34
	v_perm_b32 v8, v35, v8, 0x5040100
	s_delay_alu instid0(VALU_DEP_2) | instskip(SKIP_1) | instid1(VALU_DEP_1)
	v_cndmask_b32_e64 v34, 0, v39, s1
	v_cmp_gt_i32_e64 s1, s17, v38
	v_cndmask_b32_e64 v7, 0, v7, s1
	v_cmp_gt_i32_e64 s1, s16, v32
	s_delay_alu instid0(VALU_DEP_2) | instskip(NEXT) | instid1(VALU_DEP_2)
	v_perm_b32 v7, v34, v7, 0x5040100
	v_cndmask_b32_e64 v32, 0, v36, s1
	v_cmp_gt_i32_e64 s1, s15, v33
	s_delay_alu instid0(VALU_DEP_1) | instskip(SKIP_1) | instid1(VALU_DEP_2)
	v_cndmask_b32_e64 v6, 0, v6, s1
	v_cmp_gt_i32_e64 s1, s14, v31
	v_perm_b32 v6, v32, v6, 0x5040100
	s_delay_alu instid0(VALU_DEP_2) | instskip(SKIP_1) | instid1(VALU_DEP_1)
	v_cndmask_b32_e64 v31, 0, v37, s1
	v_cmp_gt_i32_e64 s1, s33, v15
	v_cndmask_b32_e64 v5, 0, v5, s1
	s_delay_alu instid0(VALU_DEP_1)
	v_perm_b32 v5, v31, v5, 0x5040100
.LBB73_44:                              ;   in Loop: Header=BB73_41 Depth=1
	s_or_b32 exec_lo, exec_lo, s19
	v_and_b32_e32 v25, 0xffff, v25
	v_and_b32_e32 v31, 0xffff, v26
	;; [unrolled: 1-line block ×4, first 2 shown]
	s_delay_alu instid0(VALU_DEP_4)
	v_lshl_or_b32 v26, v23, 16, v25
	s_waitcnt vmcnt(0)
	;;#ASMSTART
	v_pk_mul_f16 v5, v26, v5;

	;;#ASMEND
	v_lshl_or_b32 v25, v24, 16, v31
	v_lshl_or_b32 v24, v27, 16, v29
	;; [unrolled: 1-line block ×3, first 2 shown]
	;;#ASMSTART
	v_pk_mul_f16 v6, v25, v6;

	;;#ASMEND
	;;#ASMSTART
	v_pk_mul_f16 v7, v24, v7;

	;;#ASMEND
	;; [unrolled: 4-line block ×3, first 2 shown]
	;;#ASMSTART
	v_pk_add_f16 v5, v5, v6;

	;;#ASMEND
	;;#ASMSTART
	v_pk_add_f16 v5, v5, v7;

	;;#ASMEND
	;; [unrolled: 4-line block ×3, first 2 shown]
	v_and_b32_e32 v6, 0xffff, v5
	v_lshrrev_b32_e32 v5, 16, v5
	;;#ASMSTART
	v_cvt_f32_f16 v27, v6;
	;;#ASMEND
	;;#ASMSTART
	v_cvt_f32_f16 v28, v5;
	;;#ASMEND
	global_load_b128 v[5:8], v[12:13], off offset:512
	s_and_saveexec_b32 s19, s0
	s_cbranch_execz .LBB73_46
; %bb.45:                               ;   in Loop: Header=BB73_41 Depth=1
	v_or_b32_e32 v33, 7, v15
	s_waitcnt vmcnt(0)
	v_lshrrev_b32_e32 v34, 16, v8
	v_or_b32_e32 v35, 6, v15
	v_or_b32_e32 v32, 5, v15
	v_or_b32_e32 v36, 4, v15
	v_cmp_gt_i32_e64 s1, s7, v33
	v_lshrrev_b32_e32 v37, 16, v7
	v_or_b32_e32 v30, 3, v15
	v_or_b32_e32 v31, 2, v15
	v_add_nc_u32_e32 v29, 1, v15
	v_cndmask_b32_e64 v33, 0, v34, s1
	v_cmp_gt_i32_e64 s1, s6, v35
	v_lshrrev_b32_e32 v34, 16, v6
	v_lshrrev_b32_e32 v35, 16, v5
	s_delay_alu instid0(VALU_DEP_3) | instskip(SKIP_1) | instid1(VALU_DEP_2)
	v_cndmask_b32_e64 v8, 0, v8, s1
	v_cmp_gt_i32_e64 s1, s5, v32
	v_perm_b32 v8, v33, v8, 0x5040100
	s_delay_alu instid0(VALU_DEP_2) | instskip(SKIP_1) | instid1(VALU_DEP_1)
	v_cndmask_b32_e64 v32, 0, v37, s1
	v_cmp_gt_i32_e64 s1, s17, v36
	v_cndmask_b32_e64 v7, 0, v7, s1
	v_cmp_gt_i32_e64 s1, s16, v30
	s_delay_alu instid0(VALU_DEP_2) | instskip(NEXT) | instid1(VALU_DEP_2)
	v_perm_b32 v7, v32, v7, 0x5040100
	v_cndmask_b32_e64 v30, 0, v34, s1
	v_cmp_gt_i32_e64 s1, s15, v31
	s_delay_alu instid0(VALU_DEP_1) | instskip(SKIP_1) | instid1(VALU_DEP_2)
	v_cndmask_b32_e64 v6, 0, v6, s1
	v_cmp_gt_i32_e64 s1, s14, v29
	v_perm_b32 v6, v30, v6, 0x5040100
	s_delay_alu instid0(VALU_DEP_2) | instskip(SKIP_1) | instid1(VALU_DEP_1)
	v_cndmask_b32_e64 v29, 0, v35, s1
	v_cmp_gt_i32_e64 s1, s33, v15
	v_cndmask_b32_e64 v5, 0, v5, s1
	s_delay_alu instid0(VALU_DEP_1)
	v_perm_b32 v5, v29, v5, 0x5040100
.LBB73_46:                              ;   in Loop: Header=BB73_41 Depth=1
	s_or_b32 exec_lo, exec_lo, s19
	s_waitcnt vmcnt(0)
	;;#ASMSTART
	v_pk_mul_f16 v5, v26, v5;

	;;#ASMEND
	;;#ASMSTART
	v_pk_mul_f16 v6, v25, v6;

	;;#ASMEND
	;; [unrolled: 4-line block ×4, first 2 shown]
	;;#ASMSTART
	v_pk_add_f16 v5, v5, v6;

	;;#ASMEND
	;;#ASMSTART
	v_pk_add_f16 v5, v5, v7;

	;;#ASMEND
	;; [unrolled: 4-line block ×3, first 2 shown]
	v_and_b32_e32 v6, 0xffff, v5
	v_lshrrev_b32_e32 v5, 16, v5
	;;#ASMSTART
	v_cvt_f32_f16 v29, v6;
	;;#ASMEND
	;;#ASMSTART
	v_cvt_f32_f16 v30, v5;
	;;#ASMEND
	global_load_b128 v[5:8], v[12:13], off offset:1024
	s_and_saveexec_b32 s19, s0
	s_cbranch_execz .LBB73_48
; %bb.47:                               ;   in Loop: Header=BB73_41 Depth=1
	v_or_b32_e32 v33, 7, v15
	s_waitcnt vmcnt(0)
	v_lshrrev_b32_e32 v34, 16, v8
	v_or_b32_e32 v35, 6, v15
	v_or_b32_e32 v32, 5, v15
	;; [unrolled: 1-line block ×3, first 2 shown]
	v_cmp_gt_i32_e64 s1, s7, v33
	v_lshrrev_b32_e32 v37, 16, v7
	v_or_b32_e32 v13, 3, v15
	v_or_b32_e32 v31, 2, v15
	v_add_nc_u32_e32 v12, 1, v15
	v_cndmask_b32_e64 v33, 0, v34, s1
	v_cmp_gt_i32_e64 s1, s6, v35
	v_lshrrev_b32_e32 v34, 16, v6
	v_lshrrev_b32_e32 v35, 16, v5
	s_delay_alu instid0(VALU_DEP_3) | instskip(SKIP_1) | instid1(VALU_DEP_2)
	v_cndmask_b32_e64 v8, 0, v8, s1
	v_cmp_gt_i32_e64 s1, s5, v32
	v_perm_b32 v8, v33, v8, 0x5040100
	s_delay_alu instid0(VALU_DEP_2) | instskip(SKIP_1) | instid1(VALU_DEP_1)
	v_cndmask_b32_e64 v32, 0, v37, s1
	v_cmp_gt_i32_e64 s1, s17, v36
	v_cndmask_b32_e64 v7, 0, v7, s1
	v_cmp_gt_i32_e64 s1, s16, v13
	s_delay_alu instid0(VALU_DEP_2) | instskip(NEXT) | instid1(VALU_DEP_2)
	v_perm_b32 v7, v32, v7, 0x5040100
	v_cndmask_b32_e64 v13, 0, v34, s1
	v_cmp_gt_i32_e64 s1, s15, v31
	s_delay_alu instid0(VALU_DEP_1) | instskip(SKIP_1) | instid1(VALU_DEP_2)
	v_cndmask_b32_e64 v6, 0, v6, s1
	v_cmp_gt_i32_e64 s1, s14, v12
	v_perm_b32 v6, v13, v6, 0x5040100
	s_delay_alu instid0(VALU_DEP_2) | instskip(SKIP_1) | instid1(VALU_DEP_1)
	v_cndmask_b32_e64 v12, 0, v35, s1
	v_cmp_gt_i32_e64 s1, s33, v15
	v_cndmask_b32_e64 v5, 0, v5, s1
	s_delay_alu instid0(VALU_DEP_1)
	v_perm_b32 v5, v12, v5, 0x5040100
.LBB73_48:                              ;   in Loop: Header=BB73_41 Depth=1
	s_or_b32 exec_lo, exec_lo, s19
	s_waitcnt vmcnt(0)
	;;#ASMSTART
	v_pk_mul_f16 v5, v26, v5;

	;;#ASMEND
	;;#ASMSTART
	v_pk_mul_f16 v6, v25, v6;

	;;#ASMEND
	;; [unrolled: 4-line block ×4, first 2 shown]
	;;#ASMSTART
	v_pk_add_f16 v5, v5, v6;

	;;#ASMEND
	;;#ASMSTART
	v_pk_add_f16 v5, v5, v7;

	;;#ASMEND
	;; [unrolled: 4-line block ×3, first 2 shown]
	v_dual_add_f32 v7, v27, v28 :: v_dual_and_b32 v6, 0xffff, v5
	v_lshrrev_b32_e32 v5, 16, v5
	;;#ASMSTART
	v_cvt_f32_f16 v6, v6;
	;;#ASMEND
	;;#ASMSTART
	v_cvt_f32_f16 v5, v5;
	;;#ASMEND
	s_delay_alu instid0(VALU_DEP_1) | instskip(NEXT) | instid1(VALU_DEP_1)
	v_dual_add_f32 v8, v29, v30 :: v_dual_add_f32 v5, v6, v5
	v_dual_add_f32 v1, v1, v7 :: v_dual_add_f32 v2, v2, v8
	s_delay_alu instid0(VALU_DEP_2)
	v_add_f32_e32 v3, v3, v5
	s_and_saveexec_b32 s19, vcc_lo
	s_cbranch_execz .LBB73_39
; %bb.49:                               ;   in Loop: Header=BB73_41 Depth=1
	v_add_co_u32 v5, s1, v21, v20
	s_delay_alu instid0(VALU_DEP_1)
	v_add_co_ci_u32_e64 v6, s1, 0, v22, s1
	global_load_b128 v[5:8], v[5:6], off
	s_and_saveexec_b32 s1, s0
	s_cbranch_execz .LBB73_38
; %bb.50:                               ;   in Loop: Header=BB73_41 Depth=1
	v_or_b32_e32 v27, 7, v15
	s_waitcnt vmcnt(0)
	v_lshrrev_b32_e32 v28, 16, v8
	v_or_b32_e32 v29, 6, v15
	v_or_b32_e32 v22, 5, v15
	;; [unrolled: 1-line block ×3, first 2 shown]
	v_cmp_gt_i32_e64 s0, s7, v27
	v_lshrrev_b32_e32 v31, 16, v7
	v_or_b32_e32 v13, 3, v15
	v_or_b32_e32 v21, 2, v15
	v_add_nc_u32_e32 v12, 1, v15
	v_cndmask_b32_e64 v27, 0, v28, s0
	v_cmp_gt_i32_e64 s0, s6, v29
	v_lshrrev_b32_e32 v28, 16, v6
	v_lshrrev_b32_e32 v29, 16, v5
	s_delay_alu instid0(VALU_DEP_3) | instskip(SKIP_1) | instid1(VALU_DEP_2)
	v_cndmask_b32_e64 v8, 0, v8, s0
	v_cmp_gt_i32_e64 s0, s5, v22
	v_perm_b32 v8, v27, v8, 0x5040100
	s_delay_alu instid0(VALU_DEP_2) | instskip(SKIP_1) | instid1(VALU_DEP_1)
	v_cndmask_b32_e64 v22, 0, v31, s0
	v_cmp_gt_i32_e64 s0, s17, v30
	v_cndmask_b32_e64 v7, 0, v7, s0
	v_cmp_gt_i32_e64 s0, s16, v13
	s_delay_alu instid0(VALU_DEP_2) | instskip(NEXT) | instid1(VALU_DEP_2)
	v_perm_b32 v7, v22, v7, 0x5040100
	v_cndmask_b32_e64 v13, 0, v28, s0
	v_cmp_gt_i32_e64 s0, s15, v21
	s_delay_alu instid0(VALU_DEP_1) | instskip(SKIP_1) | instid1(VALU_DEP_2)
	v_cndmask_b32_e64 v6, 0, v6, s0
	v_cmp_gt_i32_e64 s0, s14, v12
	v_perm_b32 v6, v13, v6, 0x5040100
	s_delay_alu instid0(VALU_DEP_2) | instskip(SKIP_1) | instid1(VALU_DEP_1)
	v_cndmask_b32_e64 v12, 0, v29, s0
	v_cmp_gt_i32_e64 s0, s33, v15
	v_cndmask_b32_e64 v5, 0, v5, s0
	s_delay_alu instid0(VALU_DEP_1)
	v_perm_b32 v5, v12, v5, 0x5040100
	s_branch .LBB73_38
.LBB73_51:
	s_or_b32 exec_lo, exec_lo, s4
.LBB73_52:
	s_delay_alu instid0(SALU_CYCLE_1)
	s_or_b32 exec_lo, exec_lo, s3
	v_and_b32_e32 v5, 0x3c0, v0
	s_movk_i32 s0, 0x1c0
	s_waitcnt_vscnt null, 0x0
	v_mad_u32_u24 v6, v14, s0, 0x100
	s_barrier
	v_cmp_eq_u32_e32 vcc_lo, 64, v5
	v_or_b32_e32 v5, 0x60, v0
	buffer_gl0_inv
	s_and_saveexec_b32 s0, vcc_lo
	s_cbranch_execz .LBB73_55
; %bb.53:
	v_add_nc_u32_e32 v7, 0xfffffc80, v6
	v_cmp_gt_u32_e32 vcc_lo, 0x70, v5
	s_delay_alu instid0(VALU_DEP_2)
	v_lshl_add_u32 v8, v16, 2, v7
	ds_store_2addr_b32 v8, v1, v2 offset1:32
	ds_store_b32 v8, v3 offset:256
	s_and_b32 exec_lo, exec_lo, vcc_lo
	s_cbranch_execz .LBB73_55
; %bb.54:
	v_lshl_add_u32 v7, v5, 2, v7
	ds_store_b32 v7, v4
.LBB73_55:
	s_or_b32 exec_lo, exec_lo, s0
	v_lshl_add_u32 v7, v16, 2, v6
	s_mov_b32 s0, exec_lo
	s_waitcnt lgkmcnt(0)
	s_barrier
	buffer_gl0_inv
	v_cmpx_gt_u32_e32 64, v0
	s_cbranch_execz .LBB73_59
; %bb.56:
	v_lshl_or_b32 v8, v0, 2, 0x80
	s_mov_b32 s1, exec_lo
	s_delay_alu instid0(VALU_DEP_1)
	v_add_nc_u32_e32 v10, v6, v8
	ds_load_2addr_stride64_b32 v[8:9], v7 offset1:1
	ds_load_b32 v10, v10
	s_waitcnt lgkmcnt(1)
	v_add_f32_e32 v3, v3, v9
	s_waitcnt lgkmcnt(0)
	v_dual_add_f32 v1, v1, v8 :: v_dual_add_f32 v2, v2, v10
	v_cmpx_gt_u32_e32 0x70, v5
	s_cbranch_execz .LBB73_58
; %bb.57:
	v_lshl_add_u32 v8, v5, 2, v6
	ds_load_b32 v8, v8
	s_waitcnt lgkmcnt(0)
	v_add_f32_e32 v4, v4, v8
.LBB73_58:
	s_or_b32 exec_lo, exec_lo, s1
.LBB73_59:
	s_delay_alu instid0(SALU_CYCLE_1)
	s_or_b32 exec_lo, exec_lo, s0
	v_and_b32_e32 v8, 0x3e0, v0
	s_mov_b32 s0, exec_lo
	s_barrier
	buffer_gl0_inv
	v_cmpx_eq_u32_e32 32, v8
	s_cbranch_execz .LBB73_62
; %bb.60:
	v_add_nc_u32_e32 v8, 0xfffffe40, v6
	v_cmp_gt_u32_e32 vcc_lo, 0x70, v5
	s_delay_alu instid0(VALU_DEP_2)
	v_lshl_add_u32 v9, v16, 2, v8
	v_lshl_add_u32 v10, v0, 2, v8
	ds_store_b32 v9, v1
	ds_store_b32 v10, v2
	ds_store_b32 v9, v3 offset:256
	s_and_b32 exec_lo, exec_lo, vcc_lo
	s_cbranch_execz .LBB73_62
; %bb.61:
	v_lshl_add_u32 v8, v5, 2, v8
	ds_store_b32 v8, v4
.LBB73_62:
	s_or_b32 exec_lo, exec_lo, s0
	v_cmp_gt_u32_e32 vcc_lo, 32, v0
	s_waitcnt lgkmcnt(0)
	s_barrier
	buffer_gl0_inv
	s_and_saveexec_b32 s1, vcc_lo
	s_cbranch_execz .LBB73_66
; %bb.63:
	v_lshl_add_u32 v6, v0, 2, v6
	s_mov_b32 s2, exec_lo
	ds_load_b32 v9, v7
	ds_load_2addr_b32 v[7:8], v6 offset0:32 offset1:64
	s_waitcnt lgkmcnt(0)
	v_dual_add_f32 v1, v1, v9 :: v_dual_add_f32 v2, v2, v7
	v_add_f32_e32 v3, v3, v8
	v_cmpx_gt_u32_e32 0x70, v5
	s_cbranch_execz .LBB73_65
; %bb.64:
	ds_load_b32 v6, v6 offset:384
	s_waitcnt lgkmcnt(0)
	v_add_f32_e32 v4, v4, v6
.LBB73_65:
	s_or_b32 exec_lo, exec_lo, s2
.LBB73_66:
	s_delay_alu instid0(SALU_CYCLE_1)
	s_or_b32 exec_lo, exec_lo, s1
	s_barrier
	buffer_gl0_inv
	s_and_saveexec_b32 s0, vcc_lo
	s_cbranch_execz .LBB73_69
; %bb.67:
	s_mul_i32 s0, s36, 0x70
	s_mul_i32 s2, s8, s22
	s_ashr_i32 s1, s0, 31
	v_lshlrev_b32_e32 v0, 1, v0
	s_lshl_b64 s[0:1], s[0:1], 1
	v_cmp_gt_u32_e32 vcc_lo, 0x70, v5
	s_add_u32 s4, s24, s0
	s_addc_u32 s5, s25, s1
	s_ashr_i32 s3, s2, 31
	;;#ASMSTART
	v_cvt_f16_f32 v1, v1;

	;;#ASMEND
	s_lshl_b64 s[0:1], s[2:3], 1
	s_mul_i32 s2, s20, 0x70
	s_add_u32 s4, s4, s0
	s_addc_u32 s5, s5, s1
	s_ashr_i32 s3, s2, 31
	s_delay_alu instid0(SALU_CYCLE_1) | instskip(NEXT) | instid1(SALU_CYCLE_1)
	s_lshl_b64 s[0:1], s[2:3], 1
	s_add_u32 s0, s4, s0
	s_addc_u32 s1, s5, s1
	global_store_b16 v0, v1, s[0:1]
	;;#ASMSTART
	v_cvt_f16_f32 v1, v2;

	;;#ASMEND
	global_store_b16 v0, v1, s[0:1] offset:64
	;;#ASMSTART
	v_cvt_f16_f32 v1, v3;

	;;#ASMEND
	global_store_b16 v0, v1, s[0:1] offset:128
	s_and_b32 exec_lo, exec_lo, vcc_lo
	s_cbranch_execz .LBB73_69
; %bb.68:
	v_add_co_u32 v0, s0, s0, v0
	s_delay_alu instid0(VALU_DEP_1)
	v_add_co_ci_u32_e64 v1, null, s1, 0, s0
	;;#ASMSTART
	v_cvt_f16_f32 v2, v4;

	;;#ASMEND
	global_store_b16 v[0:1], v2, off offset:192
.LBB73_69:
	s_nop 0
	s_sendmsg sendmsg(MSG_DEALLOC_VGPRS)
	s_endpgm
	.section	.rodata,"a",@progbits
	.p2align	6, 0x0
	.amdhsa_kernel _ZN4vllm25paged_attention_v2_kernelIttLi112ELi8ELi128ELNS_18Fp8KVCacheDataTypeE0ELb1ELi512EEEvPfS2_PT_PKS3_PKT0_S9_ifPKiSB_iPKfiiiSD_SD_iiiii
		.amdhsa_group_segment_fixed_size 256
		.amdhsa_private_segment_fixed_size 0
		.amdhsa_kernarg_size 400
		.amdhsa_user_sgpr_count 13
		.amdhsa_user_sgpr_dispatch_ptr 0
		.amdhsa_user_sgpr_queue_ptr 0
		.amdhsa_user_sgpr_kernarg_segment_ptr 1
		.amdhsa_user_sgpr_dispatch_id 0
		.amdhsa_user_sgpr_private_segment_size 0
		.amdhsa_wavefront_size32 1
		.amdhsa_uses_dynamic_stack 0
		.amdhsa_enable_private_segment 0
		.amdhsa_system_sgpr_workgroup_id_x 1
		.amdhsa_system_sgpr_workgroup_id_y 1
		.amdhsa_system_sgpr_workgroup_id_z 1
		.amdhsa_system_sgpr_workgroup_info 0
		.amdhsa_system_vgpr_workitem_id 0
		.amdhsa_next_free_vgpr 69
		.amdhsa_next_free_sgpr 46
		.amdhsa_reserve_vcc 1
		.amdhsa_float_round_mode_32 0
		.amdhsa_float_round_mode_16_64 0
		.amdhsa_float_denorm_mode_32 3
		.amdhsa_float_denorm_mode_16_64 3
		.amdhsa_dx10_clamp 1
		.amdhsa_ieee_mode 1
		.amdhsa_fp16_overflow 0
		.amdhsa_workgroup_processor_mode 1
		.amdhsa_memory_ordered 1
		.amdhsa_forward_progress 0
		.amdhsa_shared_vgpr_count 0
		.amdhsa_exception_fp_ieee_invalid_op 0
		.amdhsa_exception_fp_denorm_src 0
		.amdhsa_exception_fp_ieee_div_zero 0
		.amdhsa_exception_fp_ieee_overflow 0
		.amdhsa_exception_fp_ieee_underflow 0
		.amdhsa_exception_fp_ieee_inexact 0
		.amdhsa_exception_int_div_zero 0
	.end_amdhsa_kernel
	.section	.text._ZN4vllm25paged_attention_v2_kernelIttLi112ELi8ELi128ELNS_18Fp8KVCacheDataTypeE0ELb1ELi512EEEvPfS2_PT_PKS3_PKT0_S9_ifPKiSB_iPKfiiiSD_SD_iiiii,"axG",@progbits,_ZN4vllm25paged_attention_v2_kernelIttLi112ELi8ELi128ELNS_18Fp8KVCacheDataTypeE0ELb1ELi512EEEvPfS2_PT_PKS3_PKT0_S9_ifPKiSB_iPKfiiiSD_SD_iiiii,comdat
.Lfunc_end73:
	.size	_ZN4vllm25paged_attention_v2_kernelIttLi112ELi8ELi128ELNS_18Fp8KVCacheDataTypeE0ELb1ELi512EEEvPfS2_PT_PKS3_PKT0_S9_ifPKiSB_iPKfiiiSD_SD_iiiii, .Lfunc_end73-_ZN4vllm25paged_attention_v2_kernelIttLi112ELi8ELi128ELNS_18Fp8KVCacheDataTypeE0ELb1ELi512EEEvPfS2_PT_PKS3_PKT0_S9_ifPKiSB_iPKfiiiSD_SD_iiiii
                                        ; -- End function
	.section	.AMDGPU.csdata,"",@progbits
; Kernel info:
; codeLenInByte = 8428
; NumSgprs: 48
; NumVgprs: 69
; ScratchSize: 0
; MemoryBound: 0
; FloatMode: 240
; IeeeMode: 1
; LDSByteSize: 256 bytes/workgroup (compile time only)
; SGPRBlocks: 5
; VGPRBlocks: 8
; NumSGPRsForWavesPerEU: 48
; NumVGPRsForWavesPerEU: 69
; Occupancy: 16
; WaveLimiterHint : 1
; COMPUTE_PGM_RSRC2:SCRATCH_EN: 0
; COMPUTE_PGM_RSRC2:USER_SGPR: 13
; COMPUTE_PGM_RSRC2:TRAP_HANDLER: 0
; COMPUTE_PGM_RSRC2:TGID_X_EN: 1
; COMPUTE_PGM_RSRC2:TGID_Y_EN: 1
; COMPUTE_PGM_RSRC2:TGID_Z_EN: 1
; COMPUTE_PGM_RSRC2:TIDIG_COMP_CNT: 0
	.section	.text._ZN4vllm32paged_attention_v2_reduce_kernelItLi112ELi128ELi512EEEvPT_PKfS4_PKS1_PKii,"axG",@progbits,_ZN4vllm32paged_attention_v2_reduce_kernelItLi112ELi128ELi512EEEvPT_PKfS4_PKS1_PKii,comdat
	.protected	_ZN4vllm32paged_attention_v2_reduce_kernelItLi112ELi128ELi512EEEvPT_PKfS4_PKS1_PKii ; -- Begin function _ZN4vllm32paged_attention_v2_reduce_kernelItLi112ELi128ELi512EEEvPT_PKfS4_PKS1_PKii
	.globl	_ZN4vllm32paged_attention_v2_reduce_kernelItLi112ELi128ELi512EEEvPT_PKfS4_PKS1_PKii
	.p2align	8
	.type	_ZN4vllm32paged_attention_v2_reduce_kernelItLi112ELi128ELi512EEEvPT_PKfS4_PKS1_PKii,@function
_ZN4vllm32paged_attention_v2_reduce_kernelItLi112ELi128ELi512EEEvPT_PKfS4_PKS1_PKii: ; @_ZN4vllm32paged_attention_v2_reduce_kernelItLi112ELi128ELi512EEEvPT_PKfS4_PKS1_PKii
; %bb.0:
	s_load_b128 s[4:7], s[0:1], 0x18
	s_add_u32 s8, s0, 48
	s_mov_b32 s10, s15
	s_addc_u32 s9, s1, 0
	s_ashr_i32 s11, s15, 31
	s_delay_alu instid0(SALU_CYCLE_1)
	s_lshl_b64 s[2:3], s[10:11], 2
	s_waitcnt lgkmcnt(0)
	s_add_u32 s2, s6, s2
	s_addc_u32 s3, s7, s3
	s_load_b32 s20, s[2:3], 0x0
	s_clause 0x2
	s_load_b64 s[6:7], s[0:1], 0x0
	s_load_b32 s11, s[0:1], 0x28
	s_load_b32 s15, s[0:1], 0x30
	s_waitcnt lgkmcnt(0)
	s_add_i32 s2, s20, -1
	s_delay_alu instid0(SALU_CYCLE_1)
	s_cmpk_gt_u32 s2, 0x1ff
	s_mov_b32 s2, -1
	s_cbranch_scc0 .LBB74_26
; %bb.1:
	s_load_b64 s[2:3], s[0:1], 0x8
	s_add_i32 s12, s20, 0x1ff
	s_mul_i32 s18, s15, s10
	s_ashr_i32 s13, s12, 31
	v_dual_mov_b32 v4, 0xff7fffff :: v_dual_lshlrev_b32 v3, 2, v0
	s_lshr_b32 s13, s13, 23
	s_mul_i32 s16, s14, s11
	s_add_i32 s12, s12, s13
	s_ashr_i32 s17, s16, 31
	s_ashr_i32 s19, s12, 9
	s_mul_i32 s12, s18, s11
	v_cmp_gt_i32_e32 vcc_lo, s19, v0
	s_ashr_i32 s13, s12, 31
	s_and_saveexec_b32 s21, vcc_lo
	s_cbranch_execz .LBB74_5
; %bb.2:
	s_load_b32 s28, s[8:9], 0xc
	s_load_b64 s[22:23], s[0:1], 0x10
	s_lshl_b64 s[24:25], s[12:13], 2
	s_lshl_b64 s[26:27], s[16:17], 2
	v_dual_mov_b32 v4, 0xff7fffff :: v_dual_add_nc_u32 v5, 32, v3
	v_mov_b32_e32 v6, v0
	s_waitcnt lgkmcnt(0)
	s_and_b32 s1, s28, 0xffff
	s_add_u32 s0, s24, s26
	s_addc_u32 s24, s25, s27
	s_add_u32 s0, s22, s0
	s_addc_u32 s22, s23, s24
	v_add_co_u32 v1, s0, s0, v3
	s_delay_alu instid0(VALU_DEP_1)
	v_add_co_ci_u32_e64 v2, null, s22, 0, s0
	s_mov_b32 s22, 0
	s_lshl_b32 s23, s1, 2
	.p2align	6
.LBB74_3:                               ; =>This Inner Loop Header: Depth=1
	global_load_b32 v7, v[1:2], off
	v_add_nc_u32_e32 v6, s1, v6
	v_max_f32_e32 v4, v4, v4
	v_add_co_u32 v1, s0, v1, s23
	s_delay_alu instid0(VALU_DEP_1) | instskip(NEXT) | instid1(VALU_DEP_4)
	v_add_co_ci_u32_e64 v2, s0, 0, v2, s0
	v_cmp_le_i32_e64 s0, s19, v6
	s_delay_alu instid0(VALU_DEP_1)
	s_or_b32 s22, s0, s22
	s_waitcnt vmcnt(0)
	v_max_f32_e32 v8, v7, v7
	ds_store_b32 v5, v7
	v_dual_max_f32 v4, v4, v8 :: v_dual_add_nc_u32 v5, s23, v5
	s_and_not1_b32 exec_lo, exec_lo, s22
	s_cbranch_execnz .LBB74_3
; %bb.4:
	s_or_b32 exec_lo, exec_lo, s22
.LBB74_5:
	s_delay_alu instid0(SALU_CYCLE_1)
	s_or_b32 exec_lo, exec_lo, s21
	v_mbcnt_lo_u32_b32 v1, -1, 0
	s_waitcnt lgkmcnt(0)
	s_barrier
	buffer_gl0_inv
	v_xor_b32_e32 v2, 16, v1
	v_xor_b32_e32 v5, 8, v1
	s_delay_alu instid0(VALU_DEP_2) | instskip(NEXT) | instid1(VALU_DEP_1)
	v_cmp_gt_i32_e64 s0, 32, v2
	v_cndmask_b32_e64 v2, v1, v2, s0
	s_delay_alu instid0(VALU_DEP_3) | instskip(NEXT) | instid1(VALU_DEP_2)
	v_cmp_gt_i32_e64 s0, 32, v5
	v_lshlrev_b32_e32 v6, 2, v2
	s_delay_alu instid0(VALU_DEP_2) | instskip(SKIP_3) | instid1(VALU_DEP_1)
	v_cndmask_b32_e64 v5, v1, v5, s0
	ds_bpermute_b32 v2, v6, v4
	v_dual_max_f32 v4, v4, v4 :: v_dual_lshlrev_b32 v7, 2, v5
	v_xor_b32_e32 v5, 4, v1
	v_cmp_gt_i32_e64 s0, 32, v5
	s_delay_alu instid0(VALU_DEP_1) | instskip(NEXT) | instid1(VALU_DEP_1)
	v_cndmask_b32_e64 v5, v1, v5, s0
	v_lshlrev_b32_e32 v8, 2, v5
	v_xor_b32_e32 v5, 2, v1
	s_waitcnt lgkmcnt(0)
	v_max_f32_e32 v2, v2, v2
	s_delay_alu instid0(VALU_DEP_2) | instskip(NEXT) | instid1(VALU_DEP_2)
	v_cmp_gt_i32_e64 s0, 32, v5
	v_max_f32_e32 v2, v4, v2
	s_delay_alu instid0(VALU_DEP_2) | instskip(SKIP_3) | instid1(VALU_DEP_1)
	v_cndmask_b32_e64 v5, v1, v5, s0
	ds_bpermute_b32 v4, v7, v2
	s_waitcnt lgkmcnt(0)
	v_max_f32_e32 v4, v4, v4
	v_max_f32_e32 v2, v2, v4
	ds_bpermute_b32 v4, v8, v2
	s_waitcnt lgkmcnt(0)
	v_dual_max_f32 v9, v4, v4 :: v_dual_lshlrev_b32 v4, 2, v5
	s_delay_alu instid0(VALU_DEP_1) | instskip(SKIP_3) | instid1(VALU_DEP_1)
	v_max_f32_e32 v2, v2, v9
	v_xor_b32_e32 v9, 1, v1
	ds_bpermute_b32 v5, v4, v2
	v_cmp_gt_i32_e64 s0, 32, v9
	v_cndmask_b32_e64 v1, v1, v9, s0
	v_lshrrev_b32_e32 v9, 5, v0
	s_delay_alu instid0(VALU_DEP_1) | instskip(SKIP_2) | instid1(VALU_DEP_1)
	v_lshlrev_b32_e32 v9, 2, v9
	s_waitcnt lgkmcnt(0)
	v_max_f32_e32 v5, v5, v5
	v_max_f32_e32 v2, v2, v5
	v_lshlrev_b32_e32 v5, 2, v1
	v_and_b32_e32 v1, 31, v0
	ds_bpermute_b32 v10, v5, v2
	v_cmp_eq_u32_e64 s0, 0, v1
	s_delay_alu instid0(VALU_DEP_1)
	s_and_saveexec_b32 s1, s0
	s_cbranch_execz .LBB74_7
; %bb.6:
	s_waitcnt lgkmcnt(0)
	v_max_f32_e32 v10, v10, v10
	v_max_f32_e32 v2, v2, v2
	s_delay_alu instid0(VALU_DEP_1)
	v_max_f32_e32 v2, v2, v10
	ds_store_b32 v9, v2
.LBB74_7:
	s_or_b32 exec_lo, exec_lo, s1
	v_cmp_gt_u32_e64 s1, 4, v1
	v_mov_b32_e32 v2, 0xff7fffff
	s_waitcnt lgkmcnt(0)
	v_lshlrev_b32_e32 v10, 2, v1
	s_barrier
	buffer_gl0_inv
	s_and_saveexec_b32 s21, s1
	s_cbranch_execz .LBB74_9
; %bb.8:
	ds_load_b32 v2, v10
.LBB74_9:
	s_or_b32 exec_lo, exec_lo, s21
	s_waitcnt lgkmcnt(0)
	ds_bpermute_b32 v1, v4, v2
	v_max_f32_e32 v2, v2, v2
	s_lshl_b32 s21, s19, 2
	s_waitcnt lgkmcnt(0)
	v_dual_mov_b32 v12, 0 :: v_dual_max_f32 v1, v1, v1
	s_delay_alu instid0(VALU_DEP_1) | instskip(SKIP_3) | instid1(VALU_DEP_1)
	v_max_f32_e32 v1, v2, v1
	ds_bpermute_b32 v2, v5, v1
	s_waitcnt lgkmcnt(0)
	v_max_f32_e32 v2, v2, v2
	v_max_f32_e32 v1, v1, v2
	ds_bpermute_b32 v11, v12, v1
	s_and_saveexec_b32 s22, vcc_lo
	s_cbranch_execz .LBB74_13
; %bb.10:
	s_load_b32 s23, s[8:9], 0xc
	s_lshl_b64 s[24:25], s[12:13], 2
	s_lshl_b64 s[26:27], s[16:17], 2
	v_dual_mov_b32 v12, 0 :: v_dual_add_nc_u32 v13, 32, v3
	s_waitcnt lgkmcnt(0)
	s_and_b32 s13, s23, 0xffff
	s_add_u32 s17, s24, s26
	s_addc_u32 s23, s25, s27
	s_add_u32 s2, s2, s17
	s_addc_u32 s3, s3, s23
	v_add_co_u32 v1, s2, s2, v3
	s_delay_alu instid0(VALU_DEP_1)
	v_add_co_ci_u32_e64 v2, null, s3, 0, s2
	v_mov_b32_e32 v3, v0
	s_mov_b32 s3, 0
	s_lshl_b32 s17, s13, 2
	s_set_inst_prefetch_distance 0x1
	.p2align	6
.LBB74_11:                              ; =>This Inner Loop Header: Depth=1
	global_load_b32 v14, v[1:2], off
	ds_load_b32 v15, v13
	v_add_nc_u32_e32 v3, s13, v3
	s_waitcnt lgkmcnt(0)
	v_sub_f32_e32 v15, v15, v11
	s_delay_alu instid0(VALU_DEP_1) | instskip(NEXT) | instid1(VALU_DEP_1)
	v_mul_f32_e32 v16, 0x3fb8aa3b, v15
	v_fma_f32 v17, 0x3fb8aa3b, v15, -v16
	v_rndne_f32_e32 v18, v16
	s_delay_alu instid0(VALU_DEP_1) | instskip(SKIP_1) | instid1(VALU_DEP_4)
	v_sub_f32_e32 v16, v16, v18
	v_cmp_ngt_f32_e32 vcc_lo, 0xc2ce8ed0, v15
	v_fmac_f32_e32 v17, 0x32a5705f, v15
	v_cmp_nlt_f32_e64 s2, 0x42b17218, v15
	s_delay_alu instid0(VALU_DEP_2) | instskip(SKIP_1) | instid1(VALU_DEP_2)
	v_add_f32_e32 v16, v16, v17
	v_cvt_i32_f32_e32 v17, v18
	v_exp_f32_e32 v16, v16
	s_waitcnt_depctr 0xfff
	v_ldexp_f32 v16, v16, v17
	s_delay_alu instid0(VALU_DEP_1) | instskip(SKIP_2) | instid1(VALU_DEP_3)
	v_dual_cndmask_b32 v16, 0, v16 :: v_dual_add_nc_u32 v17, s21, v13
	v_add_co_u32 v1, vcc_lo, v1, s17
	v_add_co_ci_u32_e32 v2, vcc_lo, 0, v2, vcc_lo
	v_cndmask_b32_e64 v15, 0x7f800000, v16, s2
	v_cmp_le_i32_e32 vcc_lo, s19, v3
	v_add_nc_u32_e32 v13, s17, v13
	s_or_b32 s3, vcc_lo, s3
	s_waitcnt vmcnt(0)
	v_mul_f32_e32 v16, v14, v15
	v_fmac_f32_e32 v12, v14, v15
	ds_store_b32 v17, v16
	s_and_not1_b32 exec_lo, exec_lo, s3
	s_cbranch_execnz .LBB74_11
; %bb.12:
	s_set_inst_prefetch_distance 0x2
	s_or_b32 exec_lo, exec_lo, s3
.LBB74_13:
	s_delay_alu instid0(SALU_CYCLE_1)
	s_or_b32 exec_lo, exec_lo, s22
	ds_bpermute_b32 v1, v6, v12
	s_waitcnt lgkmcnt(0)
	s_barrier
	buffer_gl0_inv
	v_add_f32_e32 v1, v12, v1
	ds_bpermute_b32 v2, v7, v1
	s_waitcnt lgkmcnt(0)
	v_add_f32_e32 v1, v1, v2
	ds_bpermute_b32 v2, v8, v1
	s_waitcnt lgkmcnt(0)
	;; [unrolled: 3-line block ×4, first 2 shown]
	v_add_f32_e32 v1, v1, v2
	s_and_saveexec_b32 s2, s0
	s_cbranch_execz .LBB74_15
; %bb.14:
	ds_store_b32 v9, v1 offset:16
.LBB74_15:
	s_or_b32 exec_lo, exec_lo, s2
	s_waitcnt lgkmcnt(0)
	s_barrier
	buffer_gl0_inv
	s_and_saveexec_b32 s0, s1
	s_cbranch_execz .LBB74_17
; %bb.16:
	ds_load_b32 v1, v10 offset:16
.LBB74_17:
	s_or_b32 exec_lo, exec_lo, s0
	s_waitcnt lgkmcnt(0)
	ds_bpermute_b32 v2, v4, v1
	s_mov_b32 s0, exec_lo
	s_waitcnt lgkmcnt(0)
	v_add_f32_e32 v1, v1, v2
	ds_bpermute_b32 v2, v5, v1
	s_waitcnt lgkmcnt(0)
	v_dual_add_f32 v1, v1, v2 :: v_dual_mov_b32 v2, 0
	ds_bpermute_b32 v2, v2, v1
	v_cmpx_gt_u32_e32 0x70, v0
	s_cbranch_execz .LBB74_25
; %bb.18:
	s_cmp_gt_i32 s20, 0
	s_mov_b32 s1, 0
	s_cbranch_scc1 .LBB74_20
; %bb.19:
	v_mov_b32_e32 v1, 0
	s_branch .LBB74_21
.LBB74_20:
	s_mov_b32 s1, -1
.LBB74_21:
	s_delay_alu instid0(SALU_CYCLE_1) | instskip(SKIP_1) | instid1(VALU_DEP_2)
	v_cndmask_b32_e64 v3, 0, 1, s1
	v_mov_b32_e32 v4, s1
	v_cmp_ne_u32_e32 vcc_lo, 1, v3
	s_cbranch_vccnz .LBB74_24
; %bb.22:
	s_waitcnt lgkmcnt(0)
	v_add_f32_e32 v4, 0x358637bd, v2
	s_mulk_i32 s12, 0x70
	s_mulk_i32 s16, 0x70
	s_ashr_i32 s13, s12, 31
	s_ashr_i32 s17, s16, 31
	v_div_scale_f32 v2, null, v4, v4, 1.0
	s_lshl_b64 s[12:13], s[12:13], 1
	s_lshl_b64 s[16:17], s[16:17], 1
	s_max_i32 s1, s19, 1
	s_delay_alu instid0(VALU_DEP_1)
	v_rcp_f32_e32 v3, v2
	s_add_i32 s2, s21, 32
	s_add_u32 s3, s12, s16
	s_addc_u32 s12, s13, s17
	s_add_u32 s3, s4, s3
	s_addc_u32 s12, s5, s12
	s_waitcnt_depctr 0xfff
	v_fma_f32 v1, -v2, v3, 1.0
	s_delay_alu instid0(VALU_DEP_1) | instskip(SKIP_1) | instid1(VALU_DEP_1)
	v_fmac_f32_e32 v3, v1, v3
	v_div_scale_f32 v5, vcc_lo, 1.0, v4, 1.0
	v_dual_mov_b32 v1, 0 :: v_dual_mul_f32 v6, v5, v3
	s_delay_alu instid0(VALU_DEP_1) | instskip(NEXT) | instid1(VALU_DEP_1)
	v_fma_f32 v7, -v2, v6, v5
	v_dual_fmac_f32 v6, v7, v3 :: v_dual_lshlrev_b32 v7, 1, v0
	s_delay_alu instid0(VALU_DEP_1) | instskip(NEXT) | instid1(VALU_DEP_1)
	v_fma_f32 v2, -v2, v6, v5
	v_div_fmas_f32 v5, v2, v3, v6
	s_delay_alu instid0(VALU_DEP_3) | instskip(NEXT) | instid1(VALU_DEP_1)
	v_add_co_u32 v2, s3, s3, v7
	v_add_co_ci_u32_e64 v3, null, s12, 0, s3
	s_delay_alu instid0(VALU_DEP_3)
	v_div_fixup_f32 v5, v5, v4, 1.0
	v_mov_b32_e32 v4, v1
	.p2align	6
.LBB74_23:                              ; =>This Inner Loop Header: Depth=1
	v_mov_b32_e32 v7, s2
	global_load_u16 v6, v[2:3], off
	s_waitcnt vmcnt(0)
	;;#ASMSTART
	v_cvt_f32_f16 v6, v6;
	;;#ASMEND
	v_add_co_u32 v2, vcc_lo, 0xe0, v2
	ds_load_b32 v7, v7
	v_add_co_ci_u32_e32 v3, vcc_lo, 0, v3, vcc_lo
	s_add_i32 s1, s1, -1
	s_add_i32 s2, s2, 4
	s_cmp_eq_u32 s1, 0
	s_waitcnt lgkmcnt(0)
	v_mul_f32_e32 v6, v6, v7
	s_delay_alu instid0(VALU_DEP_1)
	v_fmac_f32_e32 v4, v5, v6
	s_cbranch_scc0 .LBB74_23
.LBB74_24:
	s_mul_i32 s2, s18, 0x70
	s_mul_i32 s12, s14, 0x70
	s_ashr_i32 s3, s2, 31
	s_waitcnt lgkmcnt(0)
	v_lshlrev_b64 v[1:2], 1, v[0:1]
	s_lshl_b64 s[2:3], s[2:3], 1
	;;#ASMSTART
	v_cvt_f16_f32 v3, v4;

	;;#ASMEND
	s_add_u32 s1, s6, s2
	s_addc_u32 s16, s7, s3
	s_ashr_i32 s13, s12, 31
	s_delay_alu instid0(SALU_CYCLE_1) | instskip(NEXT) | instid1(SALU_CYCLE_1)
	s_lshl_b64 s[2:3], s[12:13], 1
	s_add_u32 s1, s1, s2
	s_addc_u32 s2, s16, s3
	v_add_co_u32 v1, vcc_lo, s1, v1
	v_add_co_ci_u32_e32 v2, vcc_lo, s2, v2, vcc_lo
	global_store_b16 v[1:2], v3, off
.LBB74_25:
	s_or_b32 exec_lo, exec_lo, s0
	s_mov_b32 s2, 0
.LBB74_26:
	s_delay_alu instid0(SALU_CYCLE_1)
	s_and_b32 vcc_lo, exec_lo, s2
	s_cbranch_vccz .LBB74_35
; %bb.27:
	s_mov_b32 s0, exec_lo
	v_cmpx_gt_u32_e32 0x70, v0
	s_cbranch_execz .LBB74_35
; %bb.28:
	s_mul_i32 s0, s15, s10
	s_load_b32 s10, s[8:9], 0xc
	s_mulk_i32 s0, 0x70
	s_mul_i32 s12, s14, 0x70
	s_ashr_i32 s1, s0, 31
	s_mul_i32 s8, s12, s11
	s_lshl_b64 s[2:3], s[0:1], 1
	s_delay_alu instid0(SALU_CYCLE_1) | instskip(SKIP_4) | instid1(SALU_CYCLE_1)
	s_add_u32 s1, s6, s2
	s_addc_u32 s7, s7, s3
	s_ashr_i32 s13, s12, 31
	s_mul_i32 s6, s0, s11
	s_lshl_b64 s[2:3], s[12:13], 1
	s_add_u32 s1, s1, s2
	s_addc_u32 s2, s7, s3
	s_ashr_i32 s7, s6, 31
	s_delay_alu instid0(SALU_CYCLE_1) | instskip(NEXT) | instid1(SALU_CYCLE_1)
	s_lshl_b64 s[6:7], s[6:7], 1
	s_add_u32 s0, s4, s6
	s_addc_u32 s6, s5, s7
	s_ashr_i32 s9, s8, 31
	s_mov_b32 s7, 0
	s_lshl_b64 s[4:5], s[8:9], 1
	s_delay_alu instid0(SALU_CYCLE_1) | instskip(SKIP_3) | instid1(SALU_CYCLE_1)
	s_add_u32 s3, s0, s4
	s_addc_u32 s4, s6, s5
	s_waitcnt lgkmcnt(0)
	s_and_b32 s5, s10, 0xffff
	v_cvt_f32_u32_e32 v1, s5
	s_cmp_eq_u32 s5, 1
	v_add_nc_u32_e32 v3, s5, v0
	s_cselect_b32 s6, -1, 0
	s_sub_i32 s0, 0, s5
	v_rcp_iflag_f32_e32 v1, v1
	s_delay_alu instid0(VALU_DEP_1) | instskip(SKIP_3) | instid1(VALU_DEP_1)
	v_cmp_gt_u32_e32 vcc_lo, 0x70, v3
	v_max_u32_e32 v4, 0x70, v3
	s_waitcnt_depctr 0xfff
	v_mul_f32_e32 v1, 0x4f7ffffe, v1
	v_cvt_u32_f32_e32 v1, v1
	s_delay_alu instid0(VALU_DEP_1) | instskip(SKIP_1) | instid1(VALU_DEP_1)
	v_mul_lo_u32 v2, s0, v1
	v_add_co_ci_u32_e64 v3, s0, s5, v0, vcc_lo
	v_sub_nc_u32_e32 v3, v4, v3
	s_delay_alu instid0(VALU_DEP_3) | instskip(NEXT) | instid1(VALU_DEP_1)
	v_mul_hi_u32 v2, v1, v2
	v_add_nc_u32_e32 v1, v1, v2
	s_delay_alu instid0(VALU_DEP_1) | instskip(NEXT) | instid1(VALU_DEP_1)
	v_mul_hi_u32 v1, v3, v1
	v_mul_lo_u32 v2, v1, s5
	s_delay_alu instid0(VALU_DEP_1) | instskip(SKIP_1) | instid1(VALU_DEP_2)
	v_sub_nc_u32_e32 v2, v3, v2
	v_add_nc_u32_e32 v3, 1, v1
	v_subrev_nc_u32_e32 v4, s5, v2
	v_cmp_le_u32_e64 s0, s5, v2
	s_delay_alu instid0(VALU_DEP_1) | instskip(NEXT) | instid1(VALU_DEP_3)
	v_cndmask_b32_e64 v1, v1, v3, s0
	v_cndmask_b32_e64 v2, v2, v4, s0
	s_delay_alu instid0(VALU_DEP_2) | instskip(NEXT) | instid1(VALU_DEP_2)
	v_add_nc_u32_e32 v3, 1, v1
	v_cmp_le_u32_e64 s0, s5, v2
	s_delay_alu instid0(VALU_DEP_1) | instskip(SKIP_1) | instid1(VALU_DEP_1)
	v_cndmask_b32_e64 v1, v1, v3, s0
	s_mov_b32 s0, -1
	v_add_co_ci_u32_e32 v3, vcc_lo, 1, v1, vcc_lo
	s_delay_alu instid0(VALU_DEP_1) | instskip(SKIP_1) | instid1(SALU_CYCLE_1)
	v_cmp_lt_u32_e32 vcc_lo, 3, v3
	s_and_b32 s8, vcc_lo, s6
	s_and_saveexec_b32 s6, s8
	s_cbranch_execz .LBB74_32
; %bb.29:
	v_dual_mov_b32 v1, v0 :: v_dual_and_b32 v4, -4, v3
	s_delay_alu instid0(VALU_DEP_1)
	v_dual_mov_b32 v2, 0 :: v_dual_mov_b32 v5, v4
	.p2align	6
.LBB74_30:                              ; =>This Inner Loop Header: Depth=1
	s_delay_alu instid0(VALU_DEP_1) | instskip(NEXT) | instid1(VALU_DEP_2)
	v_lshlrev_b64 v[6:7], 1, v[1:2]
	v_add_nc_u32_e32 v5, -4, v5
	v_add_nc_u32_e32 v1, 4, v1
	s_delay_alu instid0(VALU_DEP_3) | instskip(NEXT) | instid1(VALU_DEP_4)
	v_add_co_u32 v8, vcc_lo, s3, v6
	v_add_co_ci_u32_e32 v9, vcc_lo, s4, v7, vcc_lo
	s_delay_alu instid0(VALU_DEP_4)
	v_cmp_eq_u32_e32 vcc_lo, 0, v5
	v_add_co_u32 v6, s0, s1, v6
	global_load_b64 v[8:9], v[8:9], off
	v_add_co_ci_u32_e64 v7, s0, s2, v7, s0
	s_or_b32 s7, vcc_lo, s7
	s_waitcnt vmcnt(0)
	global_store_b64 v[6:7], v[8:9], off
	s_and_not1_b32 exec_lo, exec_lo, s7
	s_cbranch_execnz .LBB74_30
; %bb.31:
	s_or_b32 exec_lo, exec_lo, s7
	v_cmp_ne_u32_e32 vcc_lo, v3, v4
	v_add_nc_u32_e32 v0, v0, v4
	s_or_not1_b32 s0, vcc_lo, exec_lo
.LBB74_32:
	s_or_b32 exec_lo, exec_lo, s6
	s_delay_alu instid0(SALU_CYCLE_1)
	s_and_b32 exec_lo, exec_lo, s0
	s_cbranch_execz .LBB74_35
; %bb.33:
	v_mov_b32_e32 v1, 0
	s_mov_b32 s6, 0
	s_lshl_b32 s7, s5, 1
	s_delay_alu instid0(VALU_DEP_1)
	v_lshlrev_b64 v[1:2], 1, v[0:1]
	.p2align	6
.LBB74_34:                              ; =>This Inner Loop Header: Depth=1
	s_delay_alu instid0(VALU_DEP_1) | instskip(NEXT) | instid1(VALU_DEP_2)
	v_add_co_u32 v3, vcc_lo, s3, v1
	v_add_co_ci_u32_e32 v4, vcc_lo, s4, v2, vcc_lo
	v_add_nc_u32_e32 v0, s5, v0
	global_load_u16 v5, v[3:4], off
	v_add_co_u32 v3, vcc_lo, s1, v1
	v_add_co_ci_u32_e32 v4, vcc_lo, s2, v2, vcc_lo
	v_cmp_lt_u32_e32 vcc_lo, 0x6f, v0
	v_add_co_u32 v1, s0, v1, s7
	s_delay_alu instid0(VALU_DEP_1)
	v_add_co_ci_u32_e64 v2, s0, 0, v2, s0
	s_or_b32 s6, vcc_lo, s6
	s_waitcnt vmcnt(0)
	global_store_b16 v[3:4], v5, off
	s_and_not1_b32 exec_lo, exec_lo, s6
	s_cbranch_execnz .LBB74_34
.LBB74_35:
	s_nop 0
	s_sendmsg sendmsg(MSG_DEALLOC_VGPRS)
	s_endpgm
	.section	.rodata,"a",@progbits
	.p2align	6, 0x0
	.amdhsa_kernel _ZN4vllm32paged_attention_v2_reduce_kernelItLi112ELi128ELi512EEEvPT_PKfS4_PKS1_PKii
		.amdhsa_group_segment_fixed_size 32
		.amdhsa_private_segment_fixed_size 0
		.amdhsa_kernarg_size 304
		.amdhsa_user_sgpr_count 14
		.amdhsa_user_sgpr_dispatch_ptr 0
		.amdhsa_user_sgpr_queue_ptr 0
		.amdhsa_user_sgpr_kernarg_segment_ptr 1
		.amdhsa_user_sgpr_dispatch_id 0
		.amdhsa_user_sgpr_private_segment_size 0
		.amdhsa_wavefront_size32 1
		.amdhsa_uses_dynamic_stack 0
		.amdhsa_enable_private_segment 0
		.amdhsa_system_sgpr_workgroup_id_x 1
		.amdhsa_system_sgpr_workgroup_id_y 1
		.amdhsa_system_sgpr_workgroup_id_z 0
		.amdhsa_system_sgpr_workgroup_info 0
		.amdhsa_system_vgpr_workitem_id 0
		.amdhsa_next_free_vgpr 19
		.amdhsa_next_free_sgpr 29
		.amdhsa_reserve_vcc 1
		.amdhsa_float_round_mode_32 0
		.amdhsa_float_round_mode_16_64 0
		.amdhsa_float_denorm_mode_32 3
		.amdhsa_float_denorm_mode_16_64 3
		.amdhsa_dx10_clamp 1
		.amdhsa_ieee_mode 1
		.amdhsa_fp16_overflow 0
		.amdhsa_workgroup_processor_mode 1
		.amdhsa_memory_ordered 1
		.amdhsa_forward_progress 0
		.amdhsa_shared_vgpr_count 0
		.amdhsa_exception_fp_ieee_invalid_op 0
		.amdhsa_exception_fp_denorm_src 0
		.amdhsa_exception_fp_ieee_div_zero 0
		.amdhsa_exception_fp_ieee_overflow 0
		.amdhsa_exception_fp_ieee_underflow 0
		.amdhsa_exception_fp_ieee_inexact 0
		.amdhsa_exception_int_div_zero 0
	.end_amdhsa_kernel
	.section	.text._ZN4vllm32paged_attention_v2_reduce_kernelItLi112ELi128ELi512EEEvPT_PKfS4_PKS1_PKii,"axG",@progbits,_ZN4vllm32paged_attention_v2_reduce_kernelItLi112ELi128ELi512EEEvPT_PKfS4_PKS1_PKii,comdat
.Lfunc_end74:
	.size	_ZN4vllm32paged_attention_v2_reduce_kernelItLi112ELi128ELi512EEEvPT_PKfS4_PKS1_PKii, .Lfunc_end74-_ZN4vllm32paged_attention_v2_reduce_kernelItLi112ELi128ELi512EEEvPT_PKfS4_PKS1_PKii
                                        ; -- End function
	.section	.AMDGPU.csdata,"",@progbits
; Kernel info:
; codeLenInByte = 2432
; NumSgprs: 31
; NumVgprs: 19
; ScratchSize: 0
; MemoryBound: 0
; FloatMode: 240
; IeeeMode: 1
; LDSByteSize: 32 bytes/workgroup (compile time only)
; SGPRBlocks: 3
; VGPRBlocks: 2
; NumSGPRsForWavesPerEU: 31
; NumVGPRsForWavesPerEU: 19
; Occupancy: 16
; WaveLimiterHint : 0
; COMPUTE_PGM_RSRC2:SCRATCH_EN: 0
; COMPUTE_PGM_RSRC2:USER_SGPR: 14
; COMPUTE_PGM_RSRC2:TRAP_HANDLER: 0
; COMPUTE_PGM_RSRC2:TGID_X_EN: 1
; COMPUTE_PGM_RSRC2:TGID_Y_EN: 1
; COMPUTE_PGM_RSRC2:TGID_Z_EN: 0
; COMPUTE_PGM_RSRC2:TIDIG_COMP_CNT: 0
	.section	.text._ZN4vllm25paged_attention_v2_kernelIttLi120ELi8ELi128ELNS_18Fp8KVCacheDataTypeE0ELb1ELi512EEEvPfS2_PT_PKS3_PKT0_S9_ifPKiSB_iPKfiiiSD_SD_iiiii,"axG",@progbits,_ZN4vllm25paged_attention_v2_kernelIttLi120ELi8ELi128ELNS_18Fp8KVCacheDataTypeE0ELb1ELi512EEEvPfS2_PT_PKS3_PKT0_S9_ifPKiSB_iPKfiiiSD_SD_iiiii,comdat
	.protected	_ZN4vllm25paged_attention_v2_kernelIttLi120ELi8ELi128ELNS_18Fp8KVCacheDataTypeE0ELb1ELi512EEEvPfS2_PT_PKS3_PKT0_S9_ifPKiSB_iPKfiiiSD_SD_iiiii ; -- Begin function _ZN4vllm25paged_attention_v2_kernelIttLi120ELi8ELi128ELNS_18Fp8KVCacheDataTypeE0ELb1ELi512EEEvPfS2_PT_PKS3_PKT0_S9_ifPKiSB_iPKfiiiSD_SD_iiiii
	.globl	_ZN4vllm25paged_attention_v2_kernelIttLi120ELi8ELi128ELNS_18Fp8KVCacheDataTypeE0ELb1ELi512EEEvPfS2_PT_PKS3_PKT0_S9_ifPKiSB_iPKfiiiSD_SD_iiiii
	.p2align	8
	.type	_ZN4vllm25paged_attention_v2_kernelIttLi120ELi8ELi128ELNS_18Fp8KVCacheDataTypeE0ELb1ELi512EEEvPfS2_PT_PKS3_PKT0_S9_ifPKiSB_iPKfiiiSD_SD_iiiii,@function
_ZN4vllm25paged_attention_v2_kernelIttLi120ELi8ELi128ELNS_18Fp8KVCacheDataTypeE0ELb1ELi512EEEvPfS2_PT_PKS3_PKT0_S9_ifPKiSB_iPKfiiiSD_SD_iiiii: ; @_ZN4vllm25paged_attention_v2_kernelIttLi120ELi8ELi128ELNS_18Fp8KVCacheDataTypeE0ELb1ELi512EEEvPfS2_PT_PKS3_PKT0_S9_ifPKiSB_iPKfiiiSD_SD_iiiii
; %bb.0:
	s_load_b64 s[2:3], s[0:1], 0x40
	s_mov_b32 s20, s15
	s_ashr_i32 s15, s14, 31
	s_delay_alu instid0(SALU_CYCLE_1)
	s_lshl_b64 s[4:5], s[14:15], 2
	s_waitcnt lgkmcnt(0)
	s_add_u32 s2, s2, s4
	s_addc_u32 s3, s3, s5
	s_lshl_b32 s21, s20, 9
	s_load_b32 s33, s[2:3], 0x0
	s_waitcnt lgkmcnt(0)
	s_cmp_ge_i32 s21, s33
	s_cbranch_scc1 .LBB75_69
; %bb.1:
	s_mov_b32 s26, s13
	s_clause 0x1
	s_load_b32 s15, s[0:1], 0x90
	s_load_b64 s[12:13], s[0:1], 0x30
	s_mov_b32 s36, 0
	s_waitcnt lgkmcnt(0)
	s_abs_i32 s5, s15
	s_abs_i32 s2, s12
	s_delay_alu instid0(SALU_CYCLE_1) | instskip(SKIP_1) | instid1(VALU_DEP_1)
	v_cvt_f32_u32_e32 v1, s2
	s_sub_i32 s4, 0, s2
	v_rcp_iflag_f32_e32 v1, v1
	s_waitcnt_depctr 0xfff
	v_mul_f32_e32 v1, 0x4f7ffffe, v1
	s_delay_alu instid0(VALU_DEP_1) | instskip(NEXT) | instid1(VALU_DEP_1)
	v_cvt_u32_f32_e32 v1, v1
	v_readfirstlane_b32 s3, v1
	s_delay_alu instid0(VALU_DEP_1) | instskip(NEXT) | instid1(SALU_CYCLE_1)
	s_mul_i32 s4, s4, s3
	s_mul_hi_u32 s4, s3, s4
	s_delay_alu instid0(SALU_CYCLE_1) | instskip(SKIP_4) | instid1(SALU_CYCLE_1)
	s_add_i32 s3, s3, s4
	s_xor_b32 s4, s15, s12
	s_mul_hi_u32 s3, s5, s3
	s_ashr_i32 s4, s4, 31
	s_mul_i32 s6, s3, s2
	s_sub_i32 s5, s5, s6
	s_add_i32 s6, s3, 1
	s_sub_i32 s7, s5, s2
	s_cmp_ge_u32 s5, s2
	s_cselect_b32 s3, s6, s3
	s_cselect_b32 s5, s7, s5
	s_add_i32 s6, s3, 1
	s_cmp_ge_u32 s5, s2
	s_cselect_b32 s2, s6, s3
	s_abs_i32 s17, s26
	s_xor_b32 s2, s2, s4
	s_delay_alu instid0(SALU_CYCLE_1) | instskip(SKIP_2) | instid1(SALU_CYCLE_1)
	s_sub_i32 s8, s2, s4
	s_load_b64 s[2:3], s[0:1], 0x50
	s_abs_i32 s16, s8
	v_cvt_f32_u32_e32 v1, s16
	s_sub_i32 s5, 0, s16
	s_delay_alu instid0(VALU_DEP_1) | instskip(SKIP_2) | instid1(VALU_DEP_1)
	v_rcp_iflag_f32_e32 v1, v1
	s_waitcnt_depctr 0xfff
	v_mul_f32_e32 v1, 0x4f7ffffe, v1
	v_cvt_u32_f32_e32 v1, v1
	s_delay_alu instid0(VALU_DEP_1) | instskip(NEXT) | instid1(VALU_DEP_1)
	v_readfirstlane_b32 s4, v1
	s_mul_i32 s5, s5, s4
	s_delay_alu instid0(SALU_CYCLE_1) | instskip(NEXT) | instid1(SALU_CYCLE_1)
	s_mul_hi_u32 s5, s4, s5
	s_add_i32 s4, s4, s5
	s_waitcnt lgkmcnt(0)
	s_cmp_eq_u64 s[2:3], 0
	s_mul_hi_u32 s18, s17, s4
	s_cbranch_scc1 .LBB75_3
; %bb.2:
	s_ashr_i32 s27, s26, 31
	s_delay_alu instid0(SALU_CYCLE_1) | instskip(NEXT) | instid1(SALU_CYCLE_1)
	s_lshl_b64 s[4:5], s[26:27], 2
	s_add_u32 s2, s2, s4
	s_addc_u32 s3, s3, s5
	s_load_b32 s36, s[2:3], 0x0
.LBB75_3:
	s_load_b128 s[4:7], s[0:1], 0x58
	v_and_b32_e32 v1, 3, v0
	v_lshlrev_b32_e32 v2, 2, v0
	s_ashr_i32 s2, s26, 31
	s_ashr_i32 s3, s8, 31
	s_mul_i32 s22, s26, 0x78
	s_waitcnt lgkmcnt(0)
	s_mov_b32 s7, exec_lo
	v_cmpx_gt_u32_e32 60, v0
	s_cbranch_execz .LBB75_5
; %bb.4:
	s_load_b64 s[8:9], s[0:1], 0x18
	s_mul_i32 s10, s14, s4
	v_and_b32_e32 v4, 0x3fc, v0
	s_ashr_i32 s11, s10, 31
	s_delay_alu instid0(SALU_CYCLE_1) | instskip(NEXT) | instid1(VALU_DEP_1)
	s_lshl_b64 s[10:11], s[10:11], 1
	v_mad_u32_u24 v4, v1, 60, v4
	s_waitcnt lgkmcnt(0)
	s_add_u32 s4, s8, s10
	s_addc_u32 s10, s9, s11
	s_ashr_i32 s23, s22, 31
	s_delay_alu instid0(SALU_CYCLE_1) | instskip(NEXT) | instid1(SALU_CYCLE_1)
	s_lshl_b64 s[8:9], s[22:23], 1
	s_add_u32 s8, s4, s8
	s_addc_u32 s9, s10, s9
	global_load_b32 v3, v2, s[8:9]
	s_waitcnt vmcnt(0)
	ds_store_b32 v4, v3
.LBB75_5:
	s_or_b32 exec_lo, exec_lo, s7
	s_load_b128 s[8:11], s[0:1], 0x78
	s_mul_i32 s4, s18, s16
	s_xor_b32 s2, s2, s3
	s_sub_i32 s3, s17, s4
	s_add_i32 s4, s18, 1
	s_sub_i32 s7, s3, s16
	s_cmp_ge_u32 s3, s16
	s_mov_b32 s17, -1
	s_cselect_b32 s4, s4, s18
	s_cselect_b32 s3, s7, s3
	s_add_i32 s7, s4, 1
	s_cmp_ge_u32 s3, s16
	s_waitcnt lgkmcnt(0)
	s_cselect_b32 s3, s7, s4
	s_load_b32 s7, s[0:1], 0x88
	s_xor_b32 s3, s3, s2
	s_add_i32 s16, s33, -1
	s_sub_i32 s3, s3, s2
	s_abs_i32 s4, s16
	s_waitcnt lgkmcnt(0)
	s_barrier
	s_abs_i32 s23, s11
	buffer_gl0_inv
	v_cvt_f32_u32_e32 v3, s23
	s_sub_i32 s2, 0, s23
                                        ; implicit-def: $sgpr38
	s_delay_alu instid0(VALU_DEP_1) | instskip(SKIP_2) | instid1(VALU_DEP_1)
	v_rcp_iflag_f32_e32 v3, v3
	s_waitcnt_depctr 0xfff
	v_mul_f32_e32 v3, 0x4f7ffffe, v3
	v_cvt_u32_f32_e32 v3, v3
	s_delay_alu instid0(VALU_DEP_1) | instskip(NEXT) | instid1(VALU_DEP_1)
	v_readfirstlane_b32 s27, v3
	s_mul_i32 s2, s2, s27
	s_delay_alu instid0(SALU_CYCLE_1) | instskip(NEXT) | instid1(SALU_CYCLE_1)
	s_mul_hi_u32 s2, s27, s2
	s_add_i32 s27, s27, s2
	s_cmp_lt_i32 s7, 0
	s_mul_hi_u32 s2, s4, s27
	s_cbranch_scc0 .LBB75_7
; %bb.6:
	s_mul_i32 s12, s8, s12
	s_mov_b32 s17, 0
	s_add_i32 s12, s3, s12
	s_delay_alu instid0(SALU_CYCLE_1) | instskip(NEXT) | instid1(SALU_CYCLE_1)
	s_mul_i32 s12, s12, s7
	s_sub_i32 s38, 1, s12
.LBB75_7:
	s_load_b64 s[28:29], s[0:1], 0x38
	s_ashr_i32 s12, s16, 31
	s_and_not1_b32 vcc_lo, exec_lo, s17
	s_ashr_i32 s11, s11, 31
	s_cbranch_vccnz .LBB75_9
; %bb.8:
	s_mul_i32 s8, s15, s8
	s_delay_alu instid0(SALU_CYCLE_1) | instskip(NEXT) | instid1(SALU_CYCLE_1)
	s_add_i32 s8, s8, s26
	s_mul_i32 s7, s8, s7
	s_delay_alu instid0(SALU_CYCLE_1)
	s_add_i32 s38, s7, 1
.LBB75_9:
	s_clause 0x4
	s_load_b32 s7, s[0:1], 0x48
	s_load_b64 s[34:35], s[0:1], 0x28
	s_load_b32 s8, s[0:1], 0x98
	s_load_b128 s[16:19], s[0:1], 0x0
	s_load_b64 s[24:25], s[0:1], 0x10
	s_xor_b32 s37, s12, s11
	s_mul_i32 s12, s2, s23
	s_add_i32 s39, s2, 1
	s_sub_i32 s4, s4, s12
	v_lshrrev_b32_e32 v14, 5, v0
	v_mov_b32_e32 v4, 0xff7fffff
	v_mbcnt_lo_u32_b32 v3, -1, 0
	s_mul_i32 s6, s3, s6
	s_delay_alu instid0(VALU_DEP_3)
	v_lshl_add_u32 v15, v14, 3, s21
	s_waitcnt lgkmcnt(0)
	s_mul_i32 s30, s14, s7
	s_sub_i32 s7, s4, s23
	s_ashr_i32 s31, s30, 31
	s_cmp_ge_u32 s4, s23
	s_cselect_b32 s2, s39, s2
	s_cselect_b32 s4, s7, s4
	s_add_i32 s7, s2, 1
	s_cmp_ge_u32 s4, s23
	s_cselect_b32 s2, s7, s2
	s_add_i32 s4, s33, 7
	s_lshl_b32 s12, s20, 6
	s_ashr_i32 s7, s4, 31
	v_or_b32_e32 v9, s12, v14
	s_lshr_b32 s7, s7, 29
	s_delay_alu instid0(SALU_CYCLE_1)
	s_add_i32 s4, s4, s7
	s_add_i32 s7, s12, 64
	s_ashr_i32 s40, s4, 3
	s_xor_b32 s4, s2, s37
	s_min_i32 s39, s7, s40
	v_ashrrev_i32_e32 v10, 31, v9
	v_cmp_gt_i32_e64 s2, s39, v9
	s_sub_i32 s4, s4, s37
	s_delay_alu instid0(VALU_DEP_1)
	s_and_saveexec_b32 s37, s2
	s_cbranch_execz .LBB75_19
; %bb.10:
	s_load_b64 s[0:1], s[0:1], 0x20
	s_ashr_i32 s7, s6, 31
	v_bfe_u32 v5, v0, 2, 3
	s_lshl_b64 s[42:43], s[6:7], 1
	s_sub_i32 s7, s4, s9
	v_cmp_eq_u32_e32 vcc_lo, 0, v1
	v_dual_mov_b32 v8, 0xff7fffff :: v_dual_and_b32 v17, 12, v2
	v_subrev_nc_u32_e32 v18, s33, v5
	v_mul_u32_u24_e32 v6, 60, v1
	v_lshlrev_b64 v[1:2], 2, v[9:10]
	v_lshl_add_u32 v7, v14, 3, s21
	v_xor_b32_e32 v11, 2, v3
	v_xor_b32_e32 v12, 1, v3
	v_lshlrev_b32_e32 v21, 4, v5
	s_waitcnt lgkmcnt(0)
	s_add_u32 s3, s0, s42
	s_addc_u32 s1, s1, s43
	s_abs_i32 s41, s10
	v_cmp_neq_f32_e64 s0, s36, 0
	v_cvt_f32_u32_e32 v4, s41
	s_sub_i32 s42, 0, s41
	s_delay_alu instid0(VALU_DEP_1) | instskip(SKIP_2) | instid1(VALU_DEP_1)
	v_rcp_iflag_f32_e32 v4, v4
	s_waitcnt_depctr 0xfff
	v_dual_mul_f32 v16, 0x4f7ffffe, v4 :: v_dual_lshlrev_b32 v13, 2, v5
	v_lshl_or_b32 v19, v14, 5, v13
	v_dual_mov_b32 v4, 0xff7fffff :: v_dual_add_nc_u32 v13, 1, v18
	s_delay_alu instid0(VALU_DEP_3) | instskip(NEXT) | instid1(VALU_DEP_3)
	v_cvt_u32_f32_e32 v20, v16
	v_add_nc_u32_e32 v16, 0x110, v19
	v_add_co_u32 v19, s3, s3, v21
	s_delay_alu instid0(VALU_DEP_1) | instskip(NEXT) | instid1(VALU_DEP_4)
	v_add_co_ci_u32_e64 v21, null, s1, 0, s3
	v_mul_lo_u32 v18, s42, v20
	s_lshl_b64 s[42:43], s[30:31], 2
	s_delay_alu instid0(SALU_CYCLE_1) | instskip(SKIP_2) | instid1(VALU_DEP_1)
	s_add_u32 s1, s28, s42
	s_addc_u32 s3, s29, s43
	v_add_co_u32 v1, s1, s1, v1
	v_add_co_ci_u32_e64 v2, s1, s3, v2, s1
	s_delay_alu instid0(VALU_DEP_3) | instskip(SKIP_1) | instid1(VALU_DEP_1)
	v_mul_hi_u32 v22, v20, v18
	v_add_co_u32 v17, s1, v19, v17
	v_add_co_ci_u32_e64 v18, s1, 0, v21, s1
	s_mov_b32 s42, 0
	s_mov_b32 s43, s5
	s_delay_alu instid0(VALU_DEP_3)
	v_dual_mov_b32 v20, v9 :: v_dual_add_nc_u32 v19, v20, v22
	s_branch .LBB75_13
.LBB75_11:                              ;   in Loop: Header=BB75_13 Depth=1
	s_or_b32 exec_lo, exec_lo, s44
.LBB75_12:                              ;   in Loop: Header=BB75_13 Depth=1
	s_delay_alu instid0(SALU_CYCLE_1) | instskip(SKIP_2) | instid1(VALU_DEP_1)
	s_or_b32 exec_lo, exec_lo, s3
	v_add_nc_u32_e32 v20, 4, v20
	v_add_co_u32 v1, s3, v1, 16
	v_add_co_ci_u32_e64 v2, s3, 0, v2, s3
	s_delay_alu instid0(VALU_DEP_3) | instskip(SKIP_2) | instid1(VALU_DEP_3)
	v_cmp_le_i32_e64 s1, s39, v20
	v_add_nc_u32_e32 v7, 32, v7
	v_add_nc_u32_e32 v16, 0x80, v16
	s_or_b32 s42, s1, s42
	s_delay_alu instid0(SALU_CYCLE_1)
	s_and_not1_b32 exec_lo, exec_lo, s42
	s_cbranch_execz .LBB75_18
.LBB75_13:                              ; =>This Inner Loop Header: Depth=1
	v_sub_nc_u32_e32 v21, 0, v7
	s_delay_alu instid0(VALU_DEP_1) | instskip(SKIP_1) | instid1(VALU_DEP_1)
	v_max_i32_e32 v21, v7, v21
	s_waitcnt lgkmcnt(0)
	v_mul_hi_u32 v22, v21, s27
	s_delay_alu instid0(VALU_DEP_1) | instskip(NEXT) | instid1(VALU_DEP_1)
	v_mul_lo_u32 v23, v22, s23
	v_sub_nc_u32_e32 v21, v21, v23
	v_add_nc_u32_e32 v23, 1, v22
	s_delay_alu instid0(VALU_DEP_2) | instskip(SKIP_1) | instid1(VALU_DEP_1)
	v_subrev_nc_u32_e32 v24, s23, v21
	v_cmp_le_u32_e64 s1, s23, v21
	v_cndmask_b32_e64 v22, v22, v23, s1
	s_delay_alu instid0(VALU_DEP_3) | instskip(SKIP_1) | instid1(VALU_DEP_3)
	v_cndmask_b32_e64 v21, v21, v24, s1
	v_ashrrev_i32_e32 v23, 31, v7
	v_add_nc_u32_e32 v24, 1, v22
	s_delay_alu instid0(VALU_DEP_3) | instskip(NEXT) | instid1(VALU_DEP_3)
	v_cmp_le_u32_e64 s1, s23, v21
	v_xor_b32_e32 v23, s11, v23
	s_delay_alu instid0(VALU_DEP_2) | instskip(NEXT) | instid1(VALU_DEP_1)
	v_cndmask_b32_e64 v21, v22, v24, s1
	v_xor_b32_e32 v21, v21, v23
	s_delay_alu instid0(VALU_DEP_1) | instskip(NEXT) | instid1(VALU_DEP_1)
	v_sub_nc_u32_e32 v21, v21, v23
	v_add_nc_u32_e32 v22, s38, v21
	v_cmp_ge_i32_e64 s3, s7, v21
	s_delay_alu instid0(VALU_DEP_2) | instskip(NEXT) | instid1(VALU_DEP_1)
	v_sub_nc_u32_e32 v23, 0, v22
	v_max_i32_e32 v23, v22, v23
	v_ashrrev_i32_e32 v22, 31, v22
	s_delay_alu instid0(VALU_DEP_2) | instskip(NEXT) | instid1(VALU_DEP_1)
	v_mul_hi_u32 v24, v23, v19
	v_mul_lo_u32 v24, v24, s41
	s_delay_alu instid0(VALU_DEP_1) | instskip(NEXT) | instid1(VALU_DEP_1)
	v_sub_nc_u32_e32 v23, v23, v24
	v_subrev_nc_u32_e32 v24, s41, v23
	v_cmp_le_u32_e64 s1, s41, v23
	s_delay_alu instid0(VALU_DEP_1) | instskip(NEXT) | instid1(VALU_DEP_1)
	v_cndmask_b32_e64 v23, v23, v24, s1
	v_subrev_nc_u32_e32 v24, s41, v23
	v_cmp_le_u32_e64 s1, s41, v23
	s_delay_alu instid0(VALU_DEP_1) | instskip(NEXT) | instid1(VALU_DEP_1)
	v_cndmask_b32_e64 v23, v23, v24, s1
	v_xor_b32_e32 v23, v23, v22
	s_delay_alu instid0(VALU_DEP_1) | instskip(NEXT) | instid1(VALU_DEP_1)
	v_sub_nc_u32_e32 v22, v23, v22
	v_cmp_ne_u32_e64 s1, 0, v22
	s_delay_alu instid0(VALU_DEP_1) | instskip(NEXT) | instid1(SALU_CYCLE_1)
	s_and_b32 s1, s1, s3
	s_and_b32 s44, vcc_lo, s1
	s_delay_alu instid0(SALU_CYCLE_1)
	s_and_saveexec_b32 s3, s44
	s_cbranch_execz .LBB75_15
; %bb.14:                               ;   in Loop: Header=BB75_13 Depth=1
	ds_store_b32 v16, v8
.LBB75_15:                              ;   in Loop: Header=BB75_13 Depth=1
	s_or_b32 exec_lo, exec_lo, s3
	s_xor_b32 s1, s1, -1
	s_delay_alu instid0(SALU_CYCLE_1)
	s_and_saveexec_b32 s3, s1
	s_cbranch_execz .LBB75_12
; %bb.16:                               ;   in Loop: Header=BB75_13 Depth=1
	global_load_b32 v23, v[1:2], off
	s_waitcnt vmcnt(0)
	v_mad_i64_i32 v[21:22], null, v23, s43, 0
	s_delay_alu instid0(VALU_DEP_1) | instskip(NEXT) | instid1(VALU_DEP_1)
	v_lshlrev_b64 v[21:22], 1, v[21:22]
	v_add_co_u32 v21, s1, v17, v21
	s_delay_alu instid0(VALU_DEP_1)
	v_add_co_ci_u32_e64 v22, s1, v18, v22, s1
	v_cmp_gt_i32_e64 s1, 32, v11
	s_clause 0xa
	global_load_b32 v23, v[21:22], off
	global_load_b32 v24, v[21:22], off offset:128
	global_load_b32 v25, v[21:22], off offset:256
	;; [unrolled: 1-line block ×10, first 2 shown]
	ds_load_b32 v34, v6
	s_clause 0x3
	global_load_b32 v37, v[21:22], off offset:1408
	global_load_b32 v38, v[21:22], off offset:1536
	;; [unrolled: 1-line block ×4, first 2 shown]
	s_waitcnt lgkmcnt(0)
	v_lshrrev_b32_e32 v35, 16, v34
	v_and_b32_e32 v34, 0xffff, v34
	;;#ASMSTART
	v_cvt_f32_f16 v22, v34;
	;;#ASMEND
	;;#ASMSTART
	v_cvt_f32_f16 v34, v35;
	;;#ASMEND
	s_waitcnt vmcnt(14)
	v_lshrrev_b32_e32 v36, 16, v23
	v_and_b32_e32 v23, 0xffff, v23
	;;#ASMSTART
	v_cvt_f32_f16 v23, v23;
	;;#ASMEND
	;;#ASMSTART
	v_cvt_f32_f16 v35, v36;
	;;#ASMEND
	ds_load_b32 v36, v6 offset:4
	s_waitcnt vmcnt(13)
	v_and_b32_e32 v41, 0xffff, v24
	v_lshrrev_b32_e32 v24, 16, v24
	s_waitcnt vmcnt(12)
	v_and_b32_e32 v44, 0xffff, v25
	v_lshrrev_b32_e32 v25, 16, v25
	;; [unrolled: 3-line block ×6, first 2 shown]
	s_waitcnt lgkmcnt(0)
	v_and_b32_e32 v40, 0xffff, v36
	v_lshrrev_b32_e32 v36, 16, v36
	;;#ASMSTART
	v_cvt_f32_f16 v40, v40;
	;;#ASMEND
	;;#ASMSTART
	v_cvt_f32_f16 v36, v36;
	;;#ASMEND
	;; [unrolled: 3-line block ×4, first 2 shown]
	ds_load_b32 v42, v6 offset:8
	v_mul_f32_e32 v40, v40, v41
	v_dual_mul_f32 v24, v36, v24 :: v_dual_and_b32 v47, 0xffff, v26
	v_lshrrev_b32_e32 v26, 16, v26
	s_delay_alu instid0(VALU_DEP_3) | instskip(NEXT) | instid1(VALU_DEP_3)
	v_fmac_f32_e32 v40, v22, v23
	v_fmac_f32_e32 v24, v34, v35
	s_waitcnt vmcnt(2)
	v_lshrrev_b32_e32 v22, 16, v38
	v_and_b32_e32 v34, 0xffff, v38
	s_waitcnt lgkmcnt(0)
	v_and_b32_e32 v43, 0xffff, v42
	v_lshrrev_b32_e32 v42, 16, v42
	;;#ASMSTART
	v_cvt_f32_f16 v43, v43;
	;;#ASMEND
	;;#ASMSTART
	v_cvt_f32_f16 v42, v42;
	;;#ASMEND
	;; [unrolled: 3-line block ×4, first 2 shown]
	ds_load_b32 v45, v6 offset:12
	v_dual_fmac_f32 v40, v43, v44 :: v_dual_and_b32 v59, 0xffff, v30
	v_lshrrev_b32_e32 v30, 16, v30
	v_fmac_f32_e32 v24, v42, v25
	s_waitcnt lgkmcnt(0)
	v_and_b32_e32 v46, 0xffff, v45
	v_lshrrev_b32_e32 v45, 16, v45
	;;#ASMSTART
	v_cvt_f32_f16 v46, v46;
	;;#ASMEND
	;;#ASMSTART
	v_cvt_f32_f16 v45, v45;
	;;#ASMEND
	;; [unrolled: 3-line block ×4, first 2 shown]
	ds_load_b32 v48, v6 offset:16
	v_dual_fmac_f32 v40, v46, v47 :: v_dual_and_b32 v53, 0xffff, v28
	v_lshrrev_b32_e32 v28, 16, v28
	v_dual_fmac_f32 v24, v45, v26 :: v_dual_and_b32 v65, 0xffff, v32
	v_lshrrev_b32_e32 v32, 16, v32
	s_waitcnt lgkmcnt(0)
	v_and_b32_e32 v49, 0xffff, v48
	v_lshrrev_b32_e32 v48, 16, v48
	;;#ASMSTART
	v_cvt_f32_f16 v49, v49;
	;;#ASMEND
	;;#ASMSTART
	v_cvt_f32_f16 v48, v48;
	;;#ASMEND
	;; [unrolled: 3-line block ×4, first 2 shown]
	ds_load_b32 v51, v6 offset:20
	v_fmac_f32_e32 v24, v48, v27
	s_waitcnt vmcnt(1)
	v_lshrrev_b32_e32 v27, 16, v39
	v_fmac_f32_e32 v40, v49, v50
	s_waitcnt lgkmcnt(0)
	v_and_b32_e32 v52, 0xffff, v51
	v_lshrrev_b32_e32 v51, 16, v51
	;;#ASMSTART
	v_cvt_f32_f16 v52, v52;
	;;#ASMEND
	;;#ASMSTART
	v_cvt_f32_f16 v51, v51;
	;;#ASMEND
	;; [unrolled: 3-line block ×4, first 2 shown]
	ds_load_b32 v54, v6 offset:24
	v_dual_fmac_f32 v24, v51, v28 :: v_dual_and_b32 v71, 0xffff, v37
	v_lshrrev_b32_e32 v37, 16, v37
	s_waitcnt lgkmcnt(0)
	v_dual_fmac_f32 v40, v52, v53 :: v_dual_and_b32 v55, 0xffff, v54
	v_lshrrev_b32_e32 v54, 16, v54
	;;#ASMSTART
	v_cvt_f32_f16 v55, v55;
	;;#ASMEND
	;;#ASMSTART
	v_cvt_f32_f16 v54, v54;
	;;#ASMEND
	;; [unrolled: 3-line block ×4, first 2 shown]
	ds_load_b32 v57, v6 offset:28
	v_fmac_f32_e32 v40, v55, v56
	v_fmac_f32_e32 v24, v54, v29
	s_waitcnt lgkmcnt(0)
	v_and_b32_e32 v58, 0xffff, v57
	v_lshrrev_b32_e32 v57, 16, v57
	;;#ASMSTART
	v_cvt_f32_f16 v58, v58;
	;;#ASMEND
	;;#ASMSTART
	v_cvt_f32_f16 v57, v57;
	;;#ASMEND
	;; [unrolled: 3-line block ×4, first 2 shown]
	ds_load_b32 v60, v6 offset:32
	v_fmac_f32_e32 v24, v57, v30
	v_and_b32_e32 v30, 0xffff, v39
	s_waitcnt lgkmcnt(0)
	v_and_b32_e32 v61, 0xffff, v60
	v_lshrrev_b32_e32 v60, 16, v60
	;;#ASMSTART
	v_cvt_f32_f16 v61, v61;
	;;#ASMEND
	;;#ASMSTART
	v_cvt_f32_f16 v60, v60;
	;;#ASMEND
	;; [unrolled: 3-line block ×4, first 2 shown]
	ds_load_b32 v63, v6 offset:36
	v_fmac_f32_e32 v24, v60, v31
	s_waitcnt lgkmcnt(0)
	v_and_b32_e32 v64, 0xffff, v63
	v_lshrrev_b32_e32 v63, 16, v63
	;;#ASMSTART
	v_cvt_f32_f16 v64, v64;
	;;#ASMEND
	;;#ASMSTART
	v_cvt_f32_f16 v63, v63;
	;;#ASMEND
	;; [unrolled: 3-line block ×4, first 2 shown]
	ds_load_b32 v66, v6 offset:40
	v_fmac_f32_e32 v24, v63, v32
	v_cndmask_b32_e64 v32, v3, v11, s1
	v_cmp_gt_i32_e64 s1, 32, v12
	s_waitcnt lgkmcnt(0)
	v_and_b32_e32 v67, 0xffff, v66
	v_lshrrev_b32_e32 v66, 16, v66
	;;#ASMSTART
	v_cvt_f32_f16 v67, v67;
	;;#ASMEND
	;;#ASMSTART
	v_cvt_f32_f16 v66, v66;
	;;#ASMEND
	;; [unrolled: 3-line block ×4, first 2 shown]
	ds_load_b32 v69, v6 offset:44
	v_fmac_f32_e32 v24, v66, v33
	s_waitcnt vmcnt(0)
	v_lshrrev_b32_e32 v33, 16, v21
	v_dual_fmac_f32 v40, v58, v59 :: v_dual_and_b32 v21, 0xffff, v21
	s_delay_alu instid0(VALU_DEP_1) | instskip(NEXT) | instid1(VALU_DEP_1)
	v_fmac_f32_e32 v40, v61, v62
	v_fmac_f32_e32 v40, v64, v65
	s_delay_alu instid0(VALU_DEP_1)
	v_fmac_f32_e32 v40, v67, v68
	s_waitcnt lgkmcnt(0)
	v_and_b32_e32 v70, 0xffff, v69
	v_lshrrev_b32_e32 v69, 16, v69
	;;#ASMSTART
	v_cvt_f32_f16 v70, v70;
	;;#ASMEND
	;;#ASMSTART
	v_cvt_f32_f16 v69, v69;
	;;#ASMEND
	;; [unrolled: 3-line block ×4, first 2 shown]
	ds_load_b32 v72, v6 offset:48
	v_fmac_f32_e32 v24, v69, v37
	s_waitcnt lgkmcnt(0)
	v_dual_fmac_f32 v40, v70, v71 :: v_dual_and_b32 v23, 0xffff, v72
	v_lshrrev_b32_e32 v25, 16, v72
	;;#ASMSTART
	v_cvt_f32_f16 v23, v23;
	;;#ASMEND
	;;#ASMSTART
	v_cvt_f32_f16 v25, v25;
	;;#ASMEND
	;;#ASMSTART
	v_cvt_f32_f16 v26, v34;
	;;#ASMEND
	;;#ASMSTART
	v_cvt_f32_f16 v22, v22;
	;;#ASMEND
	ds_load_b32 v34, v6 offset:52
	v_fmac_f32_e32 v40, v23, v26
	v_fmac_f32_e32 v24, v25, v22
	s_waitcnt lgkmcnt(0)
	v_and_b32_e32 v28, 0xffff, v34
	v_lshrrev_b32_e32 v29, 16, v34
	;;#ASMSTART
	v_cvt_f32_f16 v28, v28;
	;;#ASMEND
	;;#ASMSTART
	v_cvt_f32_f16 v29, v29;
	;;#ASMEND
	;; [unrolled: 3-line block ×4, first 2 shown]
	ds_load_b32 v31, v6 offset:56
	v_fmac_f32_e32 v40, v28, v30
	v_fmac_f32_e32 v24, v29, v27
	s_waitcnt lgkmcnt(0)
	v_and_b32_e32 v22, 0xffff, v31
	v_lshrrev_b32_e32 v23, 16, v31
	;;#ASMSTART
	v_cvt_f32_f16 v22, v22;
	;;#ASMEND
	;;#ASMSTART
	v_cvt_f32_f16 v23, v23;
	;;#ASMEND
	;;#ASMSTART
	v_cvt_f32_f16 v21, v21;
	;;#ASMEND
	;;#ASMSTART
	v_cvt_f32_f16 v25, v33;
	;;#ASMEND
	v_fmac_f32_e32 v40, v22, v21
	v_dual_fmac_f32 v24, v23, v25 :: v_dual_lshlrev_b32 v21, 2, v32
	v_cndmask_b32_e64 v23, v3, v12, s1
	s_delay_alu instid0(VALU_DEP_2)
	v_add_f32_e32 v22, v40, v24
	ds_bpermute_b32 v21, v21, v22
	s_waitcnt lgkmcnt(0)
	v_dual_add_f32 v21, v22, v21 :: v_dual_lshlrev_b32 v22, 2, v23
	ds_bpermute_b32 v22, v22, v21
	s_and_saveexec_b32 s44, vcc_lo
	s_cbranch_execz .LBB75_11
; %bb.17:                               ;   in Loop: Header=BB75_13 Depth=1
	s_waitcnt lgkmcnt(0)
	v_add_f32_e32 v21, v21, v22
	v_add_nc_u32_e32 v23, v13, v7
	s_delay_alu instid0(VALU_DEP_1) | instskip(NEXT) | instid1(VALU_DEP_1)
	v_cvt_f32_i32_e32 v23, v23
	v_mul_f32_e32 v23, s36, v23
	s_delay_alu instid0(VALU_DEP_1) | instskip(NEXT) | instid1(VALU_DEP_1)
	v_cndmask_b32_e64 v22, 0, v23, s0
	v_dual_max_f32 v23, v4, v4 :: v_dual_fmac_f32 v22, s13, v21
	v_add_nc_u32_e32 v21, v5, v7
	s_delay_alu instid0(VALU_DEP_2) | instskip(NEXT) | instid1(VALU_DEP_2)
	v_max_f32_e32 v23, v23, v22
	v_cmp_gt_i32_e64 s1, s33, v21
	s_delay_alu instid0(VALU_DEP_1) | instskip(NEXT) | instid1(VALU_DEP_3)
	v_cndmask_b32_e64 v21, 0, v22, s1
	v_cndmask_b32_e64 v4, v4, v23, s1
	ds_store_b32 v16, v21
	s_branch .LBB75_11
.LBB75_18:
	s_or_b32 exec_lo, exec_lo, s42
.LBB75_19:
	s_delay_alu instid0(SALU_CYCLE_1) | instskip(SKIP_4) | instid1(VALU_DEP_4)
	s_or_b32 exec_lo, exec_lo, s37
	v_xor_b32_e32 v1, 16, v3
	v_xor_b32_e32 v5, 8, v3
	v_max_f32_e32 v6, v4, v4
	v_and_b32_e32 v16, 31, v0
	v_cmp_gt_i32_e32 vcc_lo, 32, v1
	v_cndmask_b32_e32 v1, v3, v1, vcc_lo
	v_cmp_gt_i32_e32 vcc_lo, 32, v5
	s_delay_alu instid0(VALU_DEP_2) | instskip(SKIP_4) | instid1(VALU_DEP_1)
	v_lshlrev_b32_e32 v2, 2, v1
	ds_bpermute_b32 v1, v2, v4
	v_cndmask_b32_e32 v4, v3, v5, vcc_lo
	s_waitcnt lgkmcnt(0)
	v_max_f32_e32 v1, v1, v1
	v_max_f32_e32 v1, v6, v1
	v_xor_b32_e32 v6, 4, v3
	s_delay_alu instid0(VALU_DEP_1) | instskip(SKIP_2) | instid1(VALU_DEP_2)
	v_cmp_gt_i32_e32 vcc_lo, 32, v6
	v_cndmask_b32_e32 v6, v3, v6, vcc_lo
	v_cmp_eq_u32_e32 vcc_lo, 0, v16
	v_lshlrev_b32_e32 v7, 2, v6
	v_lshlrev_b32_e32 v4, 2, v4
	ds_bpermute_b32 v5, v4, v1
	s_waitcnt lgkmcnt(0)
	v_max_f32_e32 v5, v5, v5
	s_delay_alu instid0(VALU_DEP_1)
	v_max_f32_e32 v1, v1, v5
	v_lshlrev_b32_e32 v5, 2, v14
	ds_bpermute_b32 v6, v7, v1
	s_and_saveexec_b32 s0, vcc_lo
	s_cbranch_execz .LBB75_21
; %bb.20:
	s_waitcnt lgkmcnt(0)
	v_dual_max_f32 v6, v6, v6 :: v_dual_max_f32 v1, v1, v1
	s_delay_alu instid0(VALU_DEP_1)
	v_max_f32_e32 v1, v1, v6
	ds_store_b32 v5, v1 offset:240
.LBB75_21:
	s_or_b32 exec_lo, exec_lo, s0
	v_cmp_gt_u32_e64 s0, 4, v16
	s_waitcnt lgkmcnt(0)
	v_dual_mov_b32 v1, 0xff7fffff :: v_dual_lshlrev_b32 v6, 2, v16
	s_barrier
	buffer_gl0_inv
	s_and_saveexec_b32 s1, s0
	s_cbranch_execz .LBB75_23
; %bb.22:
	ds_load_b32 v1, v6 offset:240
.LBB75_23:
	s_or_b32 exec_lo, exec_lo, s1
	v_xor_b32_e32 v8, 2, v3
	v_xor_b32_e32 v12, 1, v3
	s_delay_alu instid0(VALU_DEP_2) | instskip(NEXT) | instid1(VALU_DEP_1)
	v_cmp_gt_i32_e64 s1, 32, v8
	v_cndmask_b32_e64 v8, v3, v8, s1
	s_delay_alu instid0(VALU_DEP_3) | instskip(NEXT) | instid1(VALU_DEP_2)
	v_cmp_gt_i32_e64 s1, 32, v12
	v_lshlrev_b32_e32 v8, 2, v8
	s_delay_alu instid0(VALU_DEP_2) | instskip(SKIP_1) | instid1(SALU_CYCLE_1)
	v_cndmask_b32_e64 v3, v3, v12, s1
	s_sub_i32 s1, s39, s12
	s_lshl_b32 s1, s1, 3
	s_waitcnt lgkmcnt(0)
	ds_bpermute_b32 v11, v8, v1
	v_max_f32_e32 v1, v1, v1
	s_add_i32 s1, s1, s21
	s_delay_alu instid0(SALU_CYCLE_1) | instskip(NEXT) | instid1(SALU_CYCLE_1)
	s_min_i32 s1, s1, s33
	s_sub_i32 s7, s1, s21
	s_delay_alu instid0(SALU_CYCLE_1) | instskip(SKIP_3) | instid1(VALU_DEP_2)
	v_cmp_gt_i32_e64 s1, s7, v0
	s_waitcnt lgkmcnt(0)
	v_max_f32_e32 v12, v11, v11
	v_lshlrev_b32_e32 v11, 2, v3
	v_dual_max_f32 v1, v1, v12 :: v_dual_mov_b32 v12, 0
	ds_bpermute_b32 v3, v11, v1
	s_waitcnt lgkmcnt(0)
	v_max_f32_e32 v3, v3, v3
	s_delay_alu instid0(VALU_DEP_1)
	v_max_f32_e32 v1, v1, v3
	v_lshl_add_u32 v3, v0, 2, 0x110
	ds_bpermute_b32 v1, v12, v1
	s_and_saveexec_b32 s12, s1
	s_cbranch_execz .LBB75_27
; %bb.24:
	v_lshl_add_u32 v13, v0, 2, 0x110
	v_dual_mov_b32 v12, 0 :: v_dual_mov_b32 v17, v0
	s_mov_b32 s13, 0
	.p2align	6
.LBB75_25:                              ; =>This Inner Loop Header: Depth=1
	ds_load_b32 v18, v13
	s_waitcnt lgkmcnt(0)
	v_sub_f32_e32 v18, v18, v1
	s_delay_alu instid0(VALU_DEP_1) | instskip(NEXT) | instid1(VALU_DEP_1)
	v_mul_f32_e32 v18, 0x3fb8aa3b, v18
	v_exp_f32_e32 v18, v18
	s_waitcnt_depctr 0xfff
	v_dual_add_f32 v12, v12, v18 :: v_dual_add_nc_u32 v17, 0x80, v17
	s_delay_alu instid0(VALU_DEP_1) | instskip(SKIP_3) | instid1(SALU_CYCLE_1)
	v_cmp_le_i32_e64 s3, s7, v17
	ds_store_b32 v13, v18
	v_add_nc_u32_e32 v13, 0x200, v13
	s_or_b32 s13, s3, s13
	s_and_not1_b32 exec_lo, exec_lo, s13
	s_cbranch_execnz .LBB75_25
; %bb.26:
	s_or_b32 exec_lo, exec_lo, s13
.LBB75_27:
	s_delay_alu instid0(SALU_CYCLE_1)
	s_or_b32 exec_lo, exec_lo, s12
	ds_bpermute_b32 v2, v2, v12
	s_waitcnt lgkmcnt(0)
	v_add_f32_e32 v2, v12, v2
	ds_bpermute_b32 v4, v4, v2
	s_waitcnt lgkmcnt(0)
	v_add_f32_e32 v2, v2, v4
	ds_bpermute_b32 v4, v7, v2
	s_waitcnt lgkmcnt(0)
	v_add_f32_e32 v2, v2, v4
	ds_bpermute_b32 v4, v8, v2
	s_waitcnt lgkmcnt(0)
	v_add_f32_e32 v2, v2, v4
	ds_bpermute_b32 v4, v11, v2
	s_waitcnt lgkmcnt(0)
	v_add_f32_e32 v2, v2, v4
	s_and_saveexec_b32 s3, vcc_lo
	s_cbranch_execz .LBB75_29
; %bb.28:
	ds_store_b32 v5, v2 offset:256
.LBB75_29:
	s_or_b32 exec_lo, exec_lo, s3
	s_waitcnt lgkmcnt(0)
	s_barrier
	buffer_gl0_inv
	s_and_saveexec_b32 s3, s0
	s_cbranch_execz .LBB75_31
; %bb.30:
	ds_load_b32 v2, v6 offset:256
.LBB75_31:
	s_or_b32 exec_lo, exec_lo, s3
	s_waitcnt lgkmcnt(0)
	ds_bpermute_b32 v4, v8, v2
	s_waitcnt lgkmcnt(0)
	v_add_f32_e32 v2, v2, v4
	ds_bpermute_b32 v4, v11, v2
	s_waitcnt lgkmcnt(0)
	v_add_f32_e32 v2, v2, v4
	v_mov_b32_e32 v4, 0
	ds_bpermute_b32 v2, v4, v2
	s_and_saveexec_b32 s0, s1
	s_cbranch_execz .LBB75_34
; %bb.32:
	s_waitcnt lgkmcnt(0)
	v_add_f32_e32 v4, 0x358637bd, v2
	s_mov_b32 s1, 0
	s_delay_alu instid0(VALU_DEP_1) | instskip(SKIP_1) | instid1(VALU_DEP_2)
	v_div_scale_f32 v5, null, v4, v4, 1.0
	v_div_scale_f32 v8, vcc_lo, 1.0, v4, 1.0
	v_rcp_f32_e32 v6, v5
	s_waitcnt_depctr 0xfff
	v_fma_f32 v7, -v5, v6, 1.0
	s_delay_alu instid0(VALU_DEP_1) | instskip(NEXT) | instid1(VALU_DEP_1)
	v_fmac_f32_e32 v6, v7, v6
	v_mul_f32_e32 v7, v8, v6
	s_delay_alu instid0(VALU_DEP_1) | instskip(NEXT) | instid1(VALU_DEP_1)
	v_fma_f32 v11, -v5, v7, v8
	v_fmac_f32_e32 v7, v11, v6
	s_delay_alu instid0(VALU_DEP_1) | instskip(NEXT) | instid1(VALU_DEP_1)
	v_fma_f32 v5, -v5, v7, v8
	v_div_fmas_f32 v5, v5, v6, v7
	s_delay_alu instid0(VALU_DEP_1)
	v_div_fixup_f32 v4, v5, v4, 1.0
	v_mov_b32_e32 v5, v0
.LBB75_33:                              ; =>This Inner Loop Header: Depth=1
	ds_load_b32 v6, v3
	s_waitcnt lgkmcnt(0)
	v_dual_mul_f32 v6, v4, v6 :: v_dual_add_nc_u32 v5, 0x80, v5
	s_delay_alu instid0(VALU_DEP_1) | instskip(SKIP_3) | instid1(SALU_CYCLE_1)
	v_cmp_le_i32_e32 vcc_lo, s7, v5
	ds_store_b32 v3, v6
	v_add_nc_u32_e32 v3, 0x200, v3
	s_or_b32 s1, vcc_lo, s1
	s_and_not1_b32 exec_lo, exec_lo, s1
	s_cbranch_execnz .LBB75_33
.LBB75_34:
	s_or_b32 exec_lo, exec_lo, s0
	s_mul_i32 s0, s8, s14
	s_mov_b32 s12, 0
	s_mul_i32 s36, s0, s15
	s_mov_b32 s0, exec_lo
	s_waitcnt lgkmcnt(0)
	s_barrier
	buffer_gl0_inv
	v_cmpx_eq_u32_e32 0, v0
	s_cbranch_execz .LBB75_36
; %bb.35:
	s_ashr_i32 s37, s36, 31
	s_mul_i32 s42, s8, s26
	s_lshl_b64 s[14:15], s[36:37], 2
	v_mov_b32_e32 v3, 0
	s_add_u32 s1, s18, s14
	s_addc_u32 s3, s19, s15
	s_ashr_i32 s43, s42, 31
	s_delay_alu instid0(SALU_CYCLE_1) | instskip(NEXT) | instid1(SALU_CYCLE_1)
	s_lshl_b64 s[18:19], s[42:43], 2
	s_add_u32 s1, s1, s18
	s_addc_u32 s3, s3, s19
	s_ashr_i32 s21, s20, 31
	s_delay_alu instid0(SALU_CYCLE_1) | instskip(NEXT) | instid1(SALU_CYCLE_1)
	s_lshl_b64 s[42:43], s[20:21], 2
	s_add_u32 s44, s1, s42
	s_addc_u32 s45, s3, s43
	s_add_u32 s1, s16, s14
	s_addc_u32 s3, s17, s15
	;; [unrolled: 2-line block ×4, first 2 shown]
	s_clause 0x1
	global_store_b32 v3, v1, s[44:45]
	global_store_b32 v3, v2, s[14:15]
.LBB75_36:
	s_or_b32 exec_lo, exec_lo, s0
	s_mov_b32 s13, s12
	s_mov_b32 s14, s12
	;; [unrolled: 1-line block ×3, first 2 shown]
	v_dual_mov_b32 v1, s12 :: v_dual_mov_b32 v2, s13
	v_dual_mov_b32 v3, s14 :: v_dual_mov_b32 v4, s15
	s_and_saveexec_b32 s3, s2
	s_cbranch_execz .LBB75_52
; %bb.37:
	s_ashr_i32 s7, s6, 31
	s_sub_i32 s2, s4, s9
	s_lshl_b64 s[0:1], s[6:7], 1
	s_mov_b32 s4, 0
	s_add_u32 s9, s34, s0
	s_addc_u32 s12, s35, s1
	s_abs_i32 s10, s10
	s_mov_b32 s13, s5
	v_cvt_f32_u32_e32 v1, s10
	s_mov_b32 s5, s4
	s_mov_b32 s6, s4
	;; [unrolled: 1-line block ×3, first 2 shown]
	s_sub_i32 s0, 0, s10
	v_rcp_iflag_f32_e32 v1, v1
	v_lshlrev_b64 v[5:6], 2, v[9:10]
	v_or_b32_e32 v8, 0x60, v16
	v_lshlrev_b32_e32 v7, 3, v16
	s_add_i32 s40, s40, -1
	v_lshl_add_u32 v17, v14, 5, 0x110
	s_mov_b32 s14, s33
	v_cmp_gt_u32_e32 vcc_lo, 0x78, v8
	s_mov_b32 s15, s33
	s_mov_b32 s16, s33
	s_waitcnt_depctr 0xfff
	v_mul_f32_e32 v1, 0x4f7ffffe, v1
	s_mov_b32 s17, s33
	v_lshlrev_b32_e32 v8, 3, v8
	s_delay_alu instid0(VALU_DEP_2) | instskip(SKIP_2) | instid1(VALU_DEP_3)
	v_cvt_u32_f32_e32 v12, v1
	v_dual_mov_b32 v1, s4 :: v_dual_mov_b32 v2, s5
	v_dual_mov_b32 v3, s6 :: v_dual_lshlrev_b32 v18, 1, v7
	v_mul_lo_u32 v10, s0, v12
	s_lshl_b64 s[0:1], s[30:31], 2
	v_mov_b32_e32 v4, s7
	s_add_u32 s0, s28, s0
	s_addc_u32 s1, s29, s1
	v_lshlrev_b32_e32 v20, 1, v8
	s_mov_b32 s5, s33
	s_mov_b32 s6, s33
	v_mul_hi_u32 v13, v12, v10
	v_add_co_u32 v10, s0, s0, v5
	s_delay_alu instid0(VALU_DEP_1) | instskip(SKIP_1) | instid1(VALU_DEP_3)
	v_add_co_ci_u32_e64 v11, s0, s1, v6, s0
	s_mov_b32 s7, s33
	v_add_nc_u32_e32 v19, v12, v13
	s_branch .LBB75_41
.LBB75_38:                              ;   in Loop: Header=BB75_41 Depth=1
	s_or_b32 exec_lo, exec_lo, s1
	s_waitcnt vmcnt(0)
	;;#ASMSTART
	v_pk_mul_f16 v5, v26, v5;

	;;#ASMEND
	;;#ASMSTART
	v_pk_mul_f16 v6, v25, v6;

	;;#ASMEND
	;; [unrolled: 4-line block ×4, first 2 shown]
	;;#ASMSTART
	v_pk_add_f16 v5, v5, v6;

	;;#ASMEND
	;;#ASMSTART
	v_pk_add_f16 v5, v5, v7;

	;;#ASMEND
	;; [unrolled: 4-line block ×3, first 2 shown]
	v_and_b32_e32 v6, 0xffff, v5
	v_lshrrev_b32_e32 v5, 16, v5
	;;#ASMSTART
	v_cvt_f32_f16 v6, v6;
	;;#ASMEND
	;;#ASMSTART
	v_cvt_f32_f16 v5, v5;
	;;#ASMEND
	s_delay_alu instid0(VALU_DEP_1) | instskip(NEXT) | instid1(VALU_DEP_1)
	v_add_f32_e32 v5, v6, v5
	v_add_f32_e32 v4, v4, v5
.LBB75_39:                              ;   in Loop: Header=BB75_41 Depth=1
	s_or_b32 exec_lo, exec_lo, s19
.LBB75_40:                              ;   in Loop: Header=BB75_41 Depth=1
	s_delay_alu instid0(SALU_CYCLE_1) | instskip(SKIP_2) | instid1(VALU_DEP_1)
	s_or_b32 exec_lo, exec_lo, s18
	v_add_nc_u32_e32 v9, 4, v9
	v_add_co_u32 v10, s1, v10, 16
	v_add_co_ci_u32_e64 v11, s1, 0, v11, s1
	s_delay_alu instid0(VALU_DEP_3) | instskip(SKIP_2) | instid1(VALU_DEP_3)
	v_cmp_le_i32_e64 s0, s39, v9
	v_add_nc_u32_e32 v15, 32, v15
	v_add_nc_u32_e32 v17, 0x80, v17
	s_or_b32 s4, s0, s4
	s_delay_alu instid0(SALU_CYCLE_1)
	s_and_not1_b32 exec_lo, exec_lo, s4
	s_cbranch_execz .LBB75_51
.LBB75_41:                              ; =>This Inner Loop Header: Depth=1
	v_sub_nc_u32_e32 v5, 0, v15
	s_delay_alu instid0(VALU_DEP_1) | instskip(NEXT) | instid1(VALU_DEP_1)
	v_max_i32_e32 v5, v15, v5
	v_mul_hi_u32 v6, v5, s27
	s_delay_alu instid0(VALU_DEP_1) | instskip(NEXT) | instid1(VALU_DEP_1)
	v_mul_lo_u32 v7, v6, s23
	v_sub_nc_u32_e32 v5, v5, v7
	v_add_nc_u32_e32 v7, 1, v6
	s_delay_alu instid0(VALU_DEP_2) | instskip(SKIP_1) | instid1(VALU_DEP_1)
	v_subrev_nc_u32_e32 v8, s23, v5
	v_cmp_le_u32_e64 s0, s23, v5
	v_cndmask_b32_e64 v6, v6, v7, s0
	s_delay_alu instid0(VALU_DEP_3) | instskip(SKIP_1) | instid1(VALU_DEP_3)
	v_cndmask_b32_e64 v5, v5, v8, s0
	v_ashrrev_i32_e32 v7, 31, v15
	v_add_nc_u32_e32 v8, 1, v6
	s_delay_alu instid0(VALU_DEP_3) | instskip(NEXT) | instid1(VALU_DEP_3)
	v_cmp_le_u32_e64 s0, s23, v5
	v_xor_b32_e32 v7, s11, v7
	s_delay_alu instid0(VALU_DEP_2) | instskip(NEXT) | instid1(VALU_DEP_1)
	v_cndmask_b32_e64 v5, v6, v8, s0
	v_xor_b32_e32 v5, v5, v7
	s_delay_alu instid0(VALU_DEP_1) | instskip(NEXT) | instid1(VALU_DEP_1)
	v_sub_nc_u32_e32 v5, v5, v7
	v_add_nc_u32_e32 v6, s38, v5
	v_cmp_lt_i32_e64 s1, s2, v5
	s_delay_alu instid0(VALU_DEP_2) | instskip(NEXT) | instid1(VALU_DEP_1)
	v_sub_nc_u32_e32 v7, 0, v6
	v_max_i32_e32 v7, v6, v7
	v_ashrrev_i32_e32 v6, 31, v6
	s_delay_alu instid0(VALU_DEP_2) | instskip(NEXT) | instid1(VALU_DEP_1)
	v_mul_hi_u32 v8, v7, v19
	v_mul_lo_u32 v8, v8, s10
	s_delay_alu instid0(VALU_DEP_1) | instskip(NEXT) | instid1(VALU_DEP_1)
	v_sub_nc_u32_e32 v7, v7, v8
	v_subrev_nc_u32_e32 v8, s10, v7
	v_cmp_le_u32_e64 s0, s10, v7
	s_delay_alu instid0(VALU_DEP_1) | instskip(NEXT) | instid1(VALU_DEP_1)
	v_cndmask_b32_e64 v7, v7, v8, s0
	v_subrev_nc_u32_e32 v8, s10, v7
	v_cmp_le_u32_e64 s0, s10, v7
	s_delay_alu instid0(VALU_DEP_1) | instskip(NEXT) | instid1(VALU_DEP_1)
	v_cndmask_b32_e64 v7, v7, v8, s0
	v_xor_b32_e32 v7, v7, v6
	s_delay_alu instid0(VALU_DEP_1) | instskip(NEXT) | instid1(VALU_DEP_1)
	v_sub_nc_u32_e32 v6, v7, v6
	v_cmp_eq_u32_e64 s0, 0, v6
	s_delay_alu instid0(VALU_DEP_1) | instskip(NEXT) | instid1(SALU_CYCLE_1)
	s_or_b32 s0, s0, s1
	s_and_saveexec_b32 s18, s0
	s_cbranch_execz .LBB75_40
; %bb.42:                               ;   in Loop: Header=BB75_41 Depth=1
	global_load_b32 v21, v[10:11], off
	ds_load_2addr_b64 v[5:8], v17 offset1:1
	ds_load_2addr_b64 v[29:32], v17 offset0:2 offset1:3
	s_waitcnt lgkmcnt(1)
	;;#ASMSTART
	v_cvt_f16_f32 v25, v5;

	;;#ASMEND
	;;#ASMSTART
	v_cvt_f16_f32 v23, v6;

	;;#ASMEND
	;;#ASMSTART
	v_cvt_f16_f32 v26, v7;

	;;#ASMEND
	;;#ASMSTART
	v_cvt_f16_f32 v24, v8;

	;;#ASMEND
	s_waitcnt lgkmcnt(0)
	;;#ASMSTART
	v_cvt_f16_f32 v29, v29;

	;;#ASMEND
	;;#ASMSTART
	v_cvt_f16_f32 v27, v30;

	;;#ASMEND
	;; [unrolled: 4-line block ×4, first 2 shown]
	s_waitcnt vmcnt(0)
	v_mad_i64_i32 v[12:13], null, v21, s13, 0
	s_delay_alu instid0(VALU_DEP_1) | instskip(NEXT) | instid1(VALU_DEP_1)
	v_lshlrev_b64 v[12:13], 1, v[12:13]
	v_add_co_u32 v21, s0, s9, v12
	s_delay_alu instid0(VALU_DEP_1) | instskip(NEXT) | instid1(VALU_DEP_2)
	v_add_co_ci_u32_e64 v22, s0, s12, v13, s0
	v_add_co_u32 v12, s0, v21, v18
	s_delay_alu instid0(VALU_DEP_1)
	v_add_co_ci_u32_e64 v13, s0, 0, v22, s0
	v_cmp_eq_u32_e64 s0, s40, v9
	global_load_b128 v[5:8], v[12:13], off
	s_and_saveexec_b32 s19, s0
	s_cbranch_execz .LBB75_44
; %bb.43:                               ;   in Loop: Header=BB75_41 Depth=1
	v_or_b32_e32 v35, 7, v15
	s_waitcnt vmcnt(0)
	v_lshrrev_b32_e32 v36, 16, v8
	v_or_b32_e32 v37, 6, v15
	v_or_b32_e32 v34, 5, v15
	;; [unrolled: 1-line block ×3, first 2 shown]
	v_cmp_gt_i32_e64 s1, s7, v35
	v_lshrrev_b32_e32 v39, 16, v7
	v_or_b32_e32 v32, 3, v15
	v_or_b32_e32 v33, 2, v15
	v_add_nc_u32_e32 v31, 1, v15
	v_cndmask_b32_e64 v35, 0, v36, s1
	v_cmp_gt_i32_e64 s1, s6, v37
	v_lshrrev_b32_e32 v36, 16, v6
	v_lshrrev_b32_e32 v37, 16, v5
	s_delay_alu instid0(VALU_DEP_3) | instskip(SKIP_1) | instid1(VALU_DEP_2)
	v_cndmask_b32_e64 v8, 0, v8, s1
	v_cmp_gt_i32_e64 s1, s5, v34
	v_perm_b32 v8, v35, v8, 0x5040100
	s_delay_alu instid0(VALU_DEP_2) | instskip(SKIP_1) | instid1(VALU_DEP_1)
	v_cndmask_b32_e64 v34, 0, v39, s1
	v_cmp_gt_i32_e64 s1, s17, v38
	v_cndmask_b32_e64 v7, 0, v7, s1
	v_cmp_gt_i32_e64 s1, s16, v32
	s_delay_alu instid0(VALU_DEP_2) | instskip(NEXT) | instid1(VALU_DEP_2)
	v_perm_b32 v7, v34, v7, 0x5040100
	v_cndmask_b32_e64 v32, 0, v36, s1
	v_cmp_gt_i32_e64 s1, s15, v33
	s_delay_alu instid0(VALU_DEP_1) | instskip(SKIP_1) | instid1(VALU_DEP_2)
	v_cndmask_b32_e64 v6, 0, v6, s1
	v_cmp_gt_i32_e64 s1, s14, v31
	v_perm_b32 v6, v32, v6, 0x5040100
	s_delay_alu instid0(VALU_DEP_2) | instskip(SKIP_1) | instid1(VALU_DEP_1)
	v_cndmask_b32_e64 v31, 0, v37, s1
	v_cmp_gt_i32_e64 s1, s33, v15
	v_cndmask_b32_e64 v5, 0, v5, s1
	s_delay_alu instid0(VALU_DEP_1)
	v_perm_b32 v5, v31, v5, 0x5040100
.LBB75_44:                              ;   in Loop: Header=BB75_41 Depth=1
	s_or_b32 exec_lo, exec_lo, s19
	v_and_b32_e32 v25, 0xffff, v25
	v_and_b32_e32 v31, 0xffff, v26
	;; [unrolled: 1-line block ×4, first 2 shown]
	s_delay_alu instid0(VALU_DEP_4)
	v_lshl_or_b32 v26, v23, 16, v25
	s_waitcnt vmcnt(0)
	;;#ASMSTART
	v_pk_mul_f16 v5, v26, v5;

	;;#ASMEND
	v_lshl_or_b32 v25, v24, 16, v31
	v_lshl_or_b32 v24, v27, 16, v29
	v_lshl_or_b32 v23, v28, 16, v30
	;;#ASMSTART
	v_pk_mul_f16 v6, v25, v6;

	;;#ASMEND
	;;#ASMSTART
	v_pk_mul_f16 v7, v24, v7;

	;;#ASMEND
	;; [unrolled: 4-line block ×3, first 2 shown]
	;;#ASMSTART
	v_pk_add_f16 v5, v5, v6;

	;;#ASMEND
	;;#ASMSTART
	v_pk_add_f16 v5, v5, v7;

	;;#ASMEND
	;; [unrolled: 4-line block ×3, first 2 shown]
	v_and_b32_e32 v6, 0xffff, v5
	v_lshrrev_b32_e32 v5, 16, v5
	;;#ASMSTART
	v_cvt_f32_f16 v27, v6;
	;;#ASMEND
	;;#ASMSTART
	v_cvt_f32_f16 v28, v5;
	;;#ASMEND
	global_load_b128 v[5:8], v[12:13], off offset:512
	s_and_saveexec_b32 s19, s0
	s_cbranch_execz .LBB75_46
; %bb.45:                               ;   in Loop: Header=BB75_41 Depth=1
	v_or_b32_e32 v33, 7, v15
	s_waitcnt vmcnt(0)
	v_lshrrev_b32_e32 v34, 16, v8
	v_or_b32_e32 v35, 6, v15
	v_or_b32_e32 v32, 5, v15
	;; [unrolled: 1-line block ×3, first 2 shown]
	v_cmp_gt_i32_e64 s1, s7, v33
	v_lshrrev_b32_e32 v37, 16, v7
	v_or_b32_e32 v30, 3, v15
	v_or_b32_e32 v31, 2, v15
	v_add_nc_u32_e32 v29, 1, v15
	v_cndmask_b32_e64 v33, 0, v34, s1
	v_cmp_gt_i32_e64 s1, s6, v35
	v_lshrrev_b32_e32 v34, 16, v6
	v_lshrrev_b32_e32 v35, 16, v5
	s_delay_alu instid0(VALU_DEP_3) | instskip(SKIP_1) | instid1(VALU_DEP_2)
	v_cndmask_b32_e64 v8, 0, v8, s1
	v_cmp_gt_i32_e64 s1, s5, v32
	v_perm_b32 v8, v33, v8, 0x5040100
	s_delay_alu instid0(VALU_DEP_2) | instskip(SKIP_1) | instid1(VALU_DEP_1)
	v_cndmask_b32_e64 v32, 0, v37, s1
	v_cmp_gt_i32_e64 s1, s17, v36
	v_cndmask_b32_e64 v7, 0, v7, s1
	v_cmp_gt_i32_e64 s1, s16, v30
	s_delay_alu instid0(VALU_DEP_2) | instskip(NEXT) | instid1(VALU_DEP_2)
	v_perm_b32 v7, v32, v7, 0x5040100
	v_cndmask_b32_e64 v30, 0, v34, s1
	v_cmp_gt_i32_e64 s1, s15, v31
	s_delay_alu instid0(VALU_DEP_1) | instskip(SKIP_1) | instid1(VALU_DEP_2)
	v_cndmask_b32_e64 v6, 0, v6, s1
	v_cmp_gt_i32_e64 s1, s14, v29
	v_perm_b32 v6, v30, v6, 0x5040100
	s_delay_alu instid0(VALU_DEP_2) | instskip(SKIP_1) | instid1(VALU_DEP_1)
	v_cndmask_b32_e64 v29, 0, v35, s1
	v_cmp_gt_i32_e64 s1, s33, v15
	v_cndmask_b32_e64 v5, 0, v5, s1
	s_delay_alu instid0(VALU_DEP_1)
	v_perm_b32 v5, v29, v5, 0x5040100
.LBB75_46:                              ;   in Loop: Header=BB75_41 Depth=1
	s_or_b32 exec_lo, exec_lo, s19
	s_waitcnt vmcnt(0)
	;;#ASMSTART
	v_pk_mul_f16 v5, v26, v5;

	;;#ASMEND
	;;#ASMSTART
	v_pk_mul_f16 v6, v25, v6;

	;;#ASMEND
	;; [unrolled: 4-line block ×4, first 2 shown]
	;;#ASMSTART
	v_pk_add_f16 v5, v5, v6;

	;;#ASMEND
	;;#ASMSTART
	v_pk_add_f16 v5, v5, v7;

	;;#ASMEND
	;; [unrolled: 4-line block ×3, first 2 shown]
	v_and_b32_e32 v6, 0xffff, v5
	v_lshrrev_b32_e32 v5, 16, v5
	;;#ASMSTART
	v_cvt_f32_f16 v29, v6;
	;;#ASMEND
	;;#ASMSTART
	v_cvt_f32_f16 v30, v5;
	;;#ASMEND
	global_load_b128 v[5:8], v[12:13], off offset:1024
	s_and_saveexec_b32 s19, s0
	s_cbranch_execz .LBB75_48
; %bb.47:                               ;   in Loop: Header=BB75_41 Depth=1
	v_or_b32_e32 v33, 7, v15
	s_waitcnt vmcnt(0)
	v_lshrrev_b32_e32 v34, 16, v8
	v_or_b32_e32 v35, 6, v15
	v_or_b32_e32 v32, 5, v15
	;; [unrolled: 1-line block ×3, first 2 shown]
	v_cmp_gt_i32_e64 s1, s7, v33
	v_lshrrev_b32_e32 v37, 16, v7
	v_or_b32_e32 v13, 3, v15
	v_or_b32_e32 v31, 2, v15
	v_add_nc_u32_e32 v12, 1, v15
	v_cndmask_b32_e64 v33, 0, v34, s1
	v_cmp_gt_i32_e64 s1, s6, v35
	v_lshrrev_b32_e32 v34, 16, v6
	v_lshrrev_b32_e32 v35, 16, v5
	s_delay_alu instid0(VALU_DEP_3) | instskip(SKIP_1) | instid1(VALU_DEP_2)
	v_cndmask_b32_e64 v8, 0, v8, s1
	v_cmp_gt_i32_e64 s1, s5, v32
	v_perm_b32 v8, v33, v8, 0x5040100
	s_delay_alu instid0(VALU_DEP_2) | instskip(SKIP_1) | instid1(VALU_DEP_1)
	v_cndmask_b32_e64 v32, 0, v37, s1
	v_cmp_gt_i32_e64 s1, s17, v36
	v_cndmask_b32_e64 v7, 0, v7, s1
	v_cmp_gt_i32_e64 s1, s16, v13
	s_delay_alu instid0(VALU_DEP_2) | instskip(NEXT) | instid1(VALU_DEP_2)
	v_perm_b32 v7, v32, v7, 0x5040100
	v_cndmask_b32_e64 v13, 0, v34, s1
	v_cmp_gt_i32_e64 s1, s15, v31
	s_delay_alu instid0(VALU_DEP_1) | instskip(SKIP_1) | instid1(VALU_DEP_2)
	v_cndmask_b32_e64 v6, 0, v6, s1
	v_cmp_gt_i32_e64 s1, s14, v12
	v_perm_b32 v6, v13, v6, 0x5040100
	s_delay_alu instid0(VALU_DEP_2) | instskip(SKIP_1) | instid1(VALU_DEP_1)
	v_cndmask_b32_e64 v12, 0, v35, s1
	v_cmp_gt_i32_e64 s1, s33, v15
	v_cndmask_b32_e64 v5, 0, v5, s1
	s_delay_alu instid0(VALU_DEP_1)
	v_perm_b32 v5, v12, v5, 0x5040100
.LBB75_48:                              ;   in Loop: Header=BB75_41 Depth=1
	s_or_b32 exec_lo, exec_lo, s19
	s_waitcnt vmcnt(0)
	;;#ASMSTART
	v_pk_mul_f16 v5, v26, v5;

	;;#ASMEND
	;;#ASMSTART
	v_pk_mul_f16 v6, v25, v6;

	;;#ASMEND
	;; [unrolled: 4-line block ×4, first 2 shown]
	;;#ASMSTART
	v_pk_add_f16 v5, v5, v6;

	;;#ASMEND
	;;#ASMSTART
	v_pk_add_f16 v5, v5, v7;

	;;#ASMEND
	;; [unrolled: 4-line block ×3, first 2 shown]
	v_dual_add_f32 v7, v27, v28 :: v_dual_and_b32 v6, 0xffff, v5
	v_lshrrev_b32_e32 v5, 16, v5
	;;#ASMSTART
	v_cvt_f32_f16 v6, v6;
	;;#ASMEND
	;;#ASMSTART
	v_cvt_f32_f16 v5, v5;
	;;#ASMEND
	s_delay_alu instid0(VALU_DEP_1) | instskip(NEXT) | instid1(VALU_DEP_1)
	v_dual_add_f32 v8, v29, v30 :: v_dual_add_f32 v5, v6, v5
	v_dual_add_f32 v1, v1, v7 :: v_dual_add_f32 v2, v2, v8
	s_delay_alu instid0(VALU_DEP_2)
	v_add_f32_e32 v3, v3, v5
	s_and_saveexec_b32 s19, vcc_lo
	s_cbranch_execz .LBB75_39
; %bb.49:                               ;   in Loop: Header=BB75_41 Depth=1
	v_add_co_u32 v5, s1, v21, v20
	s_delay_alu instid0(VALU_DEP_1)
	v_add_co_ci_u32_e64 v6, s1, 0, v22, s1
	global_load_b128 v[5:8], v[5:6], off
	s_and_saveexec_b32 s1, s0
	s_cbranch_execz .LBB75_38
; %bb.50:                               ;   in Loop: Header=BB75_41 Depth=1
	v_or_b32_e32 v27, 7, v15
	s_waitcnt vmcnt(0)
	v_lshrrev_b32_e32 v28, 16, v8
	v_or_b32_e32 v29, 6, v15
	v_or_b32_e32 v22, 5, v15
	;; [unrolled: 1-line block ×3, first 2 shown]
	v_cmp_gt_i32_e64 s0, s7, v27
	v_lshrrev_b32_e32 v31, 16, v7
	v_or_b32_e32 v13, 3, v15
	v_or_b32_e32 v21, 2, v15
	v_add_nc_u32_e32 v12, 1, v15
	v_cndmask_b32_e64 v27, 0, v28, s0
	v_cmp_gt_i32_e64 s0, s6, v29
	v_lshrrev_b32_e32 v28, 16, v6
	v_lshrrev_b32_e32 v29, 16, v5
	s_delay_alu instid0(VALU_DEP_3) | instskip(SKIP_1) | instid1(VALU_DEP_2)
	v_cndmask_b32_e64 v8, 0, v8, s0
	v_cmp_gt_i32_e64 s0, s5, v22
	v_perm_b32 v8, v27, v8, 0x5040100
	s_delay_alu instid0(VALU_DEP_2) | instskip(SKIP_1) | instid1(VALU_DEP_1)
	v_cndmask_b32_e64 v22, 0, v31, s0
	v_cmp_gt_i32_e64 s0, s17, v30
	v_cndmask_b32_e64 v7, 0, v7, s0
	v_cmp_gt_i32_e64 s0, s16, v13
	s_delay_alu instid0(VALU_DEP_2) | instskip(NEXT) | instid1(VALU_DEP_2)
	v_perm_b32 v7, v22, v7, 0x5040100
	v_cndmask_b32_e64 v13, 0, v28, s0
	v_cmp_gt_i32_e64 s0, s15, v21
	s_delay_alu instid0(VALU_DEP_1) | instskip(SKIP_1) | instid1(VALU_DEP_2)
	v_cndmask_b32_e64 v6, 0, v6, s0
	v_cmp_gt_i32_e64 s0, s14, v12
	v_perm_b32 v6, v13, v6, 0x5040100
	s_delay_alu instid0(VALU_DEP_2) | instskip(SKIP_1) | instid1(VALU_DEP_1)
	v_cndmask_b32_e64 v12, 0, v29, s0
	v_cmp_gt_i32_e64 s0, s33, v15
	v_cndmask_b32_e64 v5, 0, v5, s0
	s_delay_alu instid0(VALU_DEP_1)
	v_perm_b32 v5, v12, v5, 0x5040100
	s_branch .LBB75_38
.LBB75_51:
	s_or_b32 exec_lo, exec_lo, s4
.LBB75_52:
	s_delay_alu instid0(SALU_CYCLE_1)
	s_or_b32 exec_lo, exec_lo, s3
	v_and_b32_e32 v5, 0x3c0, v0
	s_movk_i32 s0, 0x1e0
	s_waitcnt_vscnt null, 0x0
	v_mad_u32_u24 v6, v14, s0, 0x110
	s_barrier
	v_cmp_eq_u32_e32 vcc_lo, 64, v5
	v_or_b32_e32 v5, 0x60, v0
	buffer_gl0_inv
	s_and_saveexec_b32 s0, vcc_lo
	s_cbranch_execz .LBB75_55
; %bb.53:
	v_add_nc_u32_e32 v7, 0xfffffc40, v6
	v_cmp_gt_u32_e32 vcc_lo, 0x78, v5
	s_delay_alu instid0(VALU_DEP_2)
	v_lshl_add_u32 v8, v16, 2, v7
	ds_store_2addr_b32 v8, v1, v2 offset1:32
	ds_store_b32 v8, v3 offset:256
	s_and_b32 exec_lo, exec_lo, vcc_lo
	s_cbranch_execz .LBB75_55
; %bb.54:
	v_lshl_add_u32 v7, v5, 2, v7
	ds_store_b32 v7, v4
.LBB75_55:
	s_or_b32 exec_lo, exec_lo, s0
	v_lshl_add_u32 v7, v16, 2, v6
	s_mov_b32 s0, exec_lo
	s_waitcnt lgkmcnt(0)
	s_barrier
	buffer_gl0_inv
	v_cmpx_gt_u32_e32 64, v0
	s_cbranch_execz .LBB75_59
; %bb.56:
	v_lshl_or_b32 v8, v0, 2, 0x80
	s_mov_b32 s1, exec_lo
	s_delay_alu instid0(VALU_DEP_1)
	v_add_nc_u32_e32 v10, v6, v8
	ds_load_2addr_stride64_b32 v[8:9], v7 offset1:1
	ds_load_b32 v10, v10
	s_waitcnt lgkmcnt(1)
	v_add_f32_e32 v3, v3, v9
	s_waitcnt lgkmcnt(0)
	v_dual_add_f32 v1, v1, v8 :: v_dual_add_f32 v2, v2, v10
	v_cmpx_gt_u32_e32 0x78, v5
	s_cbranch_execz .LBB75_58
; %bb.57:
	v_lshl_add_u32 v8, v5, 2, v6
	ds_load_b32 v8, v8
	s_waitcnt lgkmcnt(0)
	v_add_f32_e32 v4, v4, v8
.LBB75_58:
	s_or_b32 exec_lo, exec_lo, s1
.LBB75_59:
	s_delay_alu instid0(SALU_CYCLE_1)
	s_or_b32 exec_lo, exec_lo, s0
	v_and_b32_e32 v8, 0x3e0, v0
	s_mov_b32 s0, exec_lo
	s_barrier
	buffer_gl0_inv
	v_cmpx_eq_u32_e32 32, v8
	s_cbranch_execz .LBB75_62
; %bb.60:
	v_add_nc_u32_e32 v8, 0xfffffe20, v6
	v_cmp_gt_u32_e32 vcc_lo, 0x78, v5
	s_delay_alu instid0(VALU_DEP_2)
	v_lshl_add_u32 v9, v16, 2, v8
	v_lshl_add_u32 v10, v0, 2, v8
	ds_store_b32 v9, v1
	ds_store_b32 v10, v2
	ds_store_b32 v9, v3 offset:256
	s_and_b32 exec_lo, exec_lo, vcc_lo
	s_cbranch_execz .LBB75_62
; %bb.61:
	v_lshl_add_u32 v8, v5, 2, v8
	ds_store_b32 v8, v4
.LBB75_62:
	s_or_b32 exec_lo, exec_lo, s0
	v_cmp_gt_u32_e32 vcc_lo, 32, v0
	s_waitcnt lgkmcnt(0)
	s_barrier
	buffer_gl0_inv
	s_and_saveexec_b32 s1, vcc_lo
	s_cbranch_execz .LBB75_66
; %bb.63:
	v_lshl_add_u32 v6, v0, 2, v6
	s_mov_b32 s2, exec_lo
	ds_load_b32 v9, v7
	ds_load_2addr_b32 v[7:8], v6 offset0:32 offset1:64
	s_waitcnt lgkmcnt(0)
	v_dual_add_f32 v1, v1, v9 :: v_dual_add_f32 v2, v2, v7
	v_add_f32_e32 v3, v3, v8
	v_cmpx_gt_u32_e32 0x78, v5
	s_cbranch_execz .LBB75_65
; %bb.64:
	ds_load_b32 v6, v6 offset:384
	s_waitcnt lgkmcnt(0)
	v_add_f32_e32 v4, v4, v6
.LBB75_65:
	s_or_b32 exec_lo, exec_lo, s2
.LBB75_66:
	s_delay_alu instid0(SALU_CYCLE_1)
	s_or_b32 exec_lo, exec_lo, s1
	s_barrier
	buffer_gl0_inv
	s_and_saveexec_b32 s0, vcc_lo
	s_cbranch_execz .LBB75_69
; %bb.67:
	s_mul_i32 s0, s36, 0x78
	s_mul_i32 s2, s8, s22
	s_ashr_i32 s1, s0, 31
	v_lshlrev_b32_e32 v0, 1, v0
	s_lshl_b64 s[0:1], s[0:1], 1
	v_cmp_gt_u32_e32 vcc_lo, 0x78, v5
	s_add_u32 s4, s24, s0
	s_addc_u32 s5, s25, s1
	s_ashr_i32 s3, s2, 31
	;;#ASMSTART
	v_cvt_f16_f32 v1, v1;

	;;#ASMEND
	s_lshl_b64 s[0:1], s[2:3], 1
	s_mul_i32 s2, s20, 0x78
	s_add_u32 s4, s4, s0
	s_addc_u32 s5, s5, s1
	s_ashr_i32 s3, s2, 31
	s_delay_alu instid0(SALU_CYCLE_1) | instskip(NEXT) | instid1(SALU_CYCLE_1)
	s_lshl_b64 s[0:1], s[2:3], 1
	s_add_u32 s0, s4, s0
	s_addc_u32 s1, s5, s1
	global_store_b16 v0, v1, s[0:1]
	;;#ASMSTART
	v_cvt_f16_f32 v1, v2;

	;;#ASMEND
	global_store_b16 v0, v1, s[0:1] offset:64
	;;#ASMSTART
	v_cvt_f16_f32 v1, v3;

	;;#ASMEND
	global_store_b16 v0, v1, s[0:1] offset:128
	s_and_b32 exec_lo, exec_lo, vcc_lo
	s_cbranch_execz .LBB75_69
; %bb.68:
	v_add_co_u32 v0, s0, s0, v0
	s_delay_alu instid0(VALU_DEP_1)
	v_add_co_ci_u32_e64 v1, null, s1, 0, s0
	;;#ASMSTART
	v_cvt_f16_f32 v2, v4;

	;;#ASMEND
	global_store_b16 v[0:1], v2, off offset:192
.LBB75_69:
	s_nop 0
	s_sendmsg sendmsg(MSG_DEALLOC_VGPRS)
	s_endpgm
	.section	.rodata,"a",@progbits
	.p2align	6, 0x0
	.amdhsa_kernel _ZN4vllm25paged_attention_v2_kernelIttLi120ELi8ELi128ELNS_18Fp8KVCacheDataTypeE0ELb1ELi512EEEvPfS2_PT_PKS3_PKT0_S9_ifPKiSB_iPKfiiiSD_SD_iiiii
		.amdhsa_group_segment_fixed_size 272
		.amdhsa_private_segment_fixed_size 0
		.amdhsa_kernarg_size 400
		.amdhsa_user_sgpr_count 13
		.amdhsa_user_sgpr_dispatch_ptr 0
		.amdhsa_user_sgpr_queue_ptr 0
		.amdhsa_user_sgpr_kernarg_segment_ptr 1
		.amdhsa_user_sgpr_dispatch_id 0
		.amdhsa_user_sgpr_private_segment_size 0
		.amdhsa_wavefront_size32 1
		.amdhsa_uses_dynamic_stack 0
		.amdhsa_enable_private_segment 0
		.amdhsa_system_sgpr_workgroup_id_x 1
		.amdhsa_system_sgpr_workgroup_id_y 1
		.amdhsa_system_sgpr_workgroup_id_z 1
		.amdhsa_system_sgpr_workgroup_info 0
		.amdhsa_system_vgpr_workitem_id 0
		.amdhsa_next_free_vgpr 73
		.amdhsa_next_free_sgpr 46
		.amdhsa_reserve_vcc 1
		.amdhsa_float_round_mode_32 0
		.amdhsa_float_round_mode_16_64 0
		.amdhsa_float_denorm_mode_32 3
		.amdhsa_float_denorm_mode_16_64 3
		.amdhsa_dx10_clamp 1
		.amdhsa_ieee_mode 1
		.amdhsa_fp16_overflow 0
		.amdhsa_workgroup_processor_mode 1
		.amdhsa_memory_ordered 1
		.amdhsa_forward_progress 0
		.amdhsa_shared_vgpr_count 0
		.amdhsa_exception_fp_ieee_invalid_op 0
		.amdhsa_exception_fp_denorm_src 0
		.amdhsa_exception_fp_ieee_div_zero 0
		.amdhsa_exception_fp_ieee_overflow 0
		.amdhsa_exception_fp_ieee_underflow 0
		.amdhsa_exception_fp_ieee_inexact 0
		.amdhsa_exception_int_div_zero 0
	.end_amdhsa_kernel
	.section	.text._ZN4vllm25paged_attention_v2_kernelIttLi120ELi8ELi128ELNS_18Fp8KVCacheDataTypeE0ELb1ELi512EEEvPfS2_PT_PKS3_PKT0_S9_ifPKiSB_iPKfiiiSD_SD_iiiii,"axG",@progbits,_ZN4vllm25paged_attention_v2_kernelIttLi120ELi8ELi128ELNS_18Fp8KVCacheDataTypeE0ELb1ELi512EEEvPfS2_PT_PKS3_PKT0_S9_ifPKiSB_iPKfiiiSD_SD_iiiii,comdat
.Lfunc_end75:
	.size	_ZN4vllm25paged_attention_v2_kernelIttLi120ELi8ELi128ELNS_18Fp8KVCacheDataTypeE0ELb1ELi512EEEvPfS2_PT_PKS3_PKT0_S9_ifPKiSB_iPKfiiiSD_SD_iiiii, .Lfunc_end75-_ZN4vllm25paged_attention_v2_kernelIttLi120ELi8ELi128ELNS_18Fp8KVCacheDataTypeE0ELb1ELi512EEEvPfS2_PT_PKS3_PKT0_S9_ifPKiSB_iPKfiiiSD_SD_iiiii
                                        ; -- End function
	.section	.AMDGPU.csdata,"",@progbits
; Kernel info:
; codeLenInByte = 8568
; NumSgprs: 48
; NumVgprs: 73
; ScratchSize: 0
; MemoryBound: 0
; FloatMode: 240
; IeeeMode: 1
; LDSByteSize: 272 bytes/workgroup (compile time only)
; SGPRBlocks: 5
; VGPRBlocks: 9
; NumSGPRsForWavesPerEU: 48
; NumVGPRsForWavesPerEU: 73
; Occupancy: 16
; WaveLimiterHint : 1
; COMPUTE_PGM_RSRC2:SCRATCH_EN: 0
; COMPUTE_PGM_RSRC2:USER_SGPR: 13
; COMPUTE_PGM_RSRC2:TRAP_HANDLER: 0
; COMPUTE_PGM_RSRC2:TGID_X_EN: 1
; COMPUTE_PGM_RSRC2:TGID_Y_EN: 1
; COMPUTE_PGM_RSRC2:TGID_Z_EN: 1
; COMPUTE_PGM_RSRC2:TIDIG_COMP_CNT: 0
	.section	.text._ZN4vllm32paged_attention_v2_reduce_kernelItLi120ELi128ELi512EEEvPT_PKfS4_PKS1_PKii,"axG",@progbits,_ZN4vllm32paged_attention_v2_reduce_kernelItLi120ELi128ELi512EEEvPT_PKfS4_PKS1_PKii,comdat
	.protected	_ZN4vllm32paged_attention_v2_reduce_kernelItLi120ELi128ELi512EEEvPT_PKfS4_PKS1_PKii ; -- Begin function _ZN4vllm32paged_attention_v2_reduce_kernelItLi120ELi128ELi512EEEvPT_PKfS4_PKS1_PKii
	.globl	_ZN4vllm32paged_attention_v2_reduce_kernelItLi120ELi128ELi512EEEvPT_PKfS4_PKS1_PKii
	.p2align	8
	.type	_ZN4vllm32paged_attention_v2_reduce_kernelItLi120ELi128ELi512EEEvPT_PKfS4_PKS1_PKii,@function
_ZN4vllm32paged_attention_v2_reduce_kernelItLi120ELi128ELi512EEEvPT_PKfS4_PKS1_PKii: ; @_ZN4vllm32paged_attention_v2_reduce_kernelItLi120ELi128ELi512EEEvPT_PKfS4_PKS1_PKii
; %bb.0:
	s_load_b128 s[4:7], s[0:1], 0x18
	s_add_u32 s8, s0, 48
	s_mov_b32 s10, s15
	s_addc_u32 s9, s1, 0
	s_ashr_i32 s11, s15, 31
	s_delay_alu instid0(SALU_CYCLE_1)
	s_lshl_b64 s[2:3], s[10:11], 2
	s_waitcnt lgkmcnt(0)
	s_add_u32 s2, s6, s2
	s_addc_u32 s3, s7, s3
	s_load_b32 s20, s[2:3], 0x0
	s_clause 0x2
	s_load_b64 s[6:7], s[0:1], 0x0
	s_load_b32 s11, s[0:1], 0x28
	s_load_b32 s15, s[0:1], 0x30
	s_waitcnt lgkmcnt(0)
	s_add_i32 s2, s20, -1
	s_delay_alu instid0(SALU_CYCLE_1)
	s_cmpk_gt_u32 s2, 0x1ff
	s_mov_b32 s2, -1
	s_cbranch_scc0 .LBB76_26
; %bb.1:
	s_load_b64 s[2:3], s[0:1], 0x8
	s_add_i32 s12, s20, 0x1ff
	s_mul_i32 s18, s15, s10
	s_ashr_i32 s13, s12, 31
	v_dual_mov_b32 v4, 0xff7fffff :: v_dual_lshlrev_b32 v3, 2, v0
	s_lshr_b32 s13, s13, 23
	s_mul_i32 s16, s14, s11
	s_add_i32 s12, s12, s13
	s_ashr_i32 s17, s16, 31
	s_ashr_i32 s19, s12, 9
	s_mul_i32 s12, s18, s11
	v_cmp_gt_i32_e32 vcc_lo, s19, v0
	s_ashr_i32 s13, s12, 31
	s_and_saveexec_b32 s21, vcc_lo
	s_cbranch_execz .LBB76_5
; %bb.2:
	s_load_b32 s28, s[8:9], 0xc
	s_load_b64 s[22:23], s[0:1], 0x10
	s_lshl_b64 s[24:25], s[12:13], 2
	s_lshl_b64 s[26:27], s[16:17], 2
	v_dual_mov_b32 v4, 0xff7fffff :: v_dual_add_nc_u32 v5, 32, v3
	v_mov_b32_e32 v6, v0
	s_waitcnt lgkmcnt(0)
	s_and_b32 s1, s28, 0xffff
	s_add_u32 s0, s24, s26
	s_addc_u32 s24, s25, s27
	s_add_u32 s0, s22, s0
	s_addc_u32 s22, s23, s24
	v_add_co_u32 v1, s0, s0, v3
	s_delay_alu instid0(VALU_DEP_1)
	v_add_co_ci_u32_e64 v2, null, s22, 0, s0
	s_mov_b32 s22, 0
	s_lshl_b32 s23, s1, 2
	.p2align	6
.LBB76_3:                               ; =>This Inner Loop Header: Depth=1
	global_load_b32 v7, v[1:2], off
	v_add_nc_u32_e32 v6, s1, v6
	v_max_f32_e32 v4, v4, v4
	v_add_co_u32 v1, s0, v1, s23
	s_delay_alu instid0(VALU_DEP_1) | instskip(NEXT) | instid1(VALU_DEP_4)
	v_add_co_ci_u32_e64 v2, s0, 0, v2, s0
	v_cmp_le_i32_e64 s0, s19, v6
	s_delay_alu instid0(VALU_DEP_1)
	s_or_b32 s22, s0, s22
	s_waitcnt vmcnt(0)
	v_max_f32_e32 v8, v7, v7
	ds_store_b32 v5, v7
	v_dual_max_f32 v4, v4, v8 :: v_dual_add_nc_u32 v5, s23, v5
	s_and_not1_b32 exec_lo, exec_lo, s22
	s_cbranch_execnz .LBB76_3
; %bb.4:
	s_or_b32 exec_lo, exec_lo, s22
.LBB76_5:
	s_delay_alu instid0(SALU_CYCLE_1)
	s_or_b32 exec_lo, exec_lo, s21
	v_mbcnt_lo_u32_b32 v1, -1, 0
	s_waitcnt lgkmcnt(0)
	s_barrier
	buffer_gl0_inv
	v_xor_b32_e32 v2, 16, v1
	v_xor_b32_e32 v5, 8, v1
	s_delay_alu instid0(VALU_DEP_2) | instskip(NEXT) | instid1(VALU_DEP_1)
	v_cmp_gt_i32_e64 s0, 32, v2
	v_cndmask_b32_e64 v2, v1, v2, s0
	s_delay_alu instid0(VALU_DEP_3) | instskip(NEXT) | instid1(VALU_DEP_2)
	v_cmp_gt_i32_e64 s0, 32, v5
	v_lshlrev_b32_e32 v6, 2, v2
	s_delay_alu instid0(VALU_DEP_2) | instskip(SKIP_3) | instid1(VALU_DEP_1)
	v_cndmask_b32_e64 v5, v1, v5, s0
	ds_bpermute_b32 v2, v6, v4
	v_dual_max_f32 v4, v4, v4 :: v_dual_lshlrev_b32 v7, 2, v5
	v_xor_b32_e32 v5, 4, v1
	v_cmp_gt_i32_e64 s0, 32, v5
	s_delay_alu instid0(VALU_DEP_1) | instskip(NEXT) | instid1(VALU_DEP_1)
	v_cndmask_b32_e64 v5, v1, v5, s0
	v_lshlrev_b32_e32 v8, 2, v5
	v_xor_b32_e32 v5, 2, v1
	s_waitcnt lgkmcnt(0)
	v_max_f32_e32 v2, v2, v2
	s_delay_alu instid0(VALU_DEP_2) | instskip(NEXT) | instid1(VALU_DEP_2)
	v_cmp_gt_i32_e64 s0, 32, v5
	v_max_f32_e32 v2, v4, v2
	s_delay_alu instid0(VALU_DEP_2) | instskip(SKIP_3) | instid1(VALU_DEP_1)
	v_cndmask_b32_e64 v5, v1, v5, s0
	ds_bpermute_b32 v4, v7, v2
	s_waitcnt lgkmcnt(0)
	v_max_f32_e32 v4, v4, v4
	v_max_f32_e32 v2, v2, v4
	ds_bpermute_b32 v4, v8, v2
	s_waitcnt lgkmcnt(0)
	v_dual_max_f32 v9, v4, v4 :: v_dual_lshlrev_b32 v4, 2, v5
	s_delay_alu instid0(VALU_DEP_1) | instskip(SKIP_3) | instid1(VALU_DEP_1)
	v_max_f32_e32 v2, v2, v9
	v_xor_b32_e32 v9, 1, v1
	ds_bpermute_b32 v5, v4, v2
	v_cmp_gt_i32_e64 s0, 32, v9
	v_cndmask_b32_e64 v1, v1, v9, s0
	v_lshrrev_b32_e32 v9, 5, v0
	s_delay_alu instid0(VALU_DEP_1) | instskip(SKIP_2) | instid1(VALU_DEP_1)
	v_lshlrev_b32_e32 v9, 2, v9
	s_waitcnt lgkmcnt(0)
	v_max_f32_e32 v5, v5, v5
	v_max_f32_e32 v2, v2, v5
	v_lshlrev_b32_e32 v5, 2, v1
	v_and_b32_e32 v1, 31, v0
	ds_bpermute_b32 v10, v5, v2
	v_cmp_eq_u32_e64 s0, 0, v1
	s_delay_alu instid0(VALU_DEP_1)
	s_and_saveexec_b32 s1, s0
	s_cbranch_execz .LBB76_7
; %bb.6:
	s_waitcnt lgkmcnt(0)
	v_max_f32_e32 v10, v10, v10
	v_max_f32_e32 v2, v2, v2
	s_delay_alu instid0(VALU_DEP_1)
	v_max_f32_e32 v2, v2, v10
	ds_store_b32 v9, v2
.LBB76_7:
	s_or_b32 exec_lo, exec_lo, s1
	v_cmp_gt_u32_e64 s1, 4, v1
	v_mov_b32_e32 v2, 0xff7fffff
	s_waitcnt lgkmcnt(0)
	v_lshlrev_b32_e32 v10, 2, v1
	s_barrier
	buffer_gl0_inv
	s_and_saveexec_b32 s21, s1
	s_cbranch_execz .LBB76_9
; %bb.8:
	ds_load_b32 v2, v10
.LBB76_9:
	s_or_b32 exec_lo, exec_lo, s21
	s_waitcnt lgkmcnt(0)
	ds_bpermute_b32 v1, v4, v2
	v_max_f32_e32 v2, v2, v2
	s_lshl_b32 s21, s19, 2
	s_waitcnt lgkmcnt(0)
	v_dual_mov_b32 v12, 0 :: v_dual_max_f32 v1, v1, v1
	s_delay_alu instid0(VALU_DEP_1) | instskip(SKIP_3) | instid1(VALU_DEP_1)
	v_max_f32_e32 v1, v2, v1
	ds_bpermute_b32 v2, v5, v1
	s_waitcnt lgkmcnt(0)
	v_max_f32_e32 v2, v2, v2
	v_max_f32_e32 v1, v1, v2
	ds_bpermute_b32 v11, v12, v1
	s_and_saveexec_b32 s22, vcc_lo
	s_cbranch_execz .LBB76_13
; %bb.10:
	s_load_b32 s23, s[8:9], 0xc
	s_lshl_b64 s[24:25], s[12:13], 2
	s_lshl_b64 s[26:27], s[16:17], 2
	v_dual_mov_b32 v12, 0 :: v_dual_add_nc_u32 v13, 32, v3
	s_waitcnt lgkmcnt(0)
	s_and_b32 s13, s23, 0xffff
	s_add_u32 s17, s24, s26
	s_addc_u32 s23, s25, s27
	s_add_u32 s2, s2, s17
	s_addc_u32 s3, s3, s23
	v_add_co_u32 v1, s2, s2, v3
	s_delay_alu instid0(VALU_DEP_1)
	v_add_co_ci_u32_e64 v2, null, s3, 0, s2
	v_mov_b32_e32 v3, v0
	s_mov_b32 s3, 0
	s_lshl_b32 s17, s13, 2
	s_set_inst_prefetch_distance 0x1
	.p2align	6
.LBB76_11:                              ; =>This Inner Loop Header: Depth=1
	global_load_b32 v14, v[1:2], off
	ds_load_b32 v15, v13
	v_add_nc_u32_e32 v3, s13, v3
	s_waitcnt lgkmcnt(0)
	v_sub_f32_e32 v15, v15, v11
	s_delay_alu instid0(VALU_DEP_1) | instskip(NEXT) | instid1(VALU_DEP_1)
	v_mul_f32_e32 v16, 0x3fb8aa3b, v15
	v_fma_f32 v17, 0x3fb8aa3b, v15, -v16
	v_rndne_f32_e32 v18, v16
	s_delay_alu instid0(VALU_DEP_1) | instskip(SKIP_1) | instid1(VALU_DEP_4)
	v_sub_f32_e32 v16, v16, v18
	v_cmp_ngt_f32_e32 vcc_lo, 0xc2ce8ed0, v15
	v_fmac_f32_e32 v17, 0x32a5705f, v15
	v_cmp_nlt_f32_e64 s2, 0x42b17218, v15
	s_delay_alu instid0(VALU_DEP_2) | instskip(SKIP_1) | instid1(VALU_DEP_2)
	v_add_f32_e32 v16, v16, v17
	v_cvt_i32_f32_e32 v17, v18
	v_exp_f32_e32 v16, v16
	s_waitcnt_depctr 0xfff
	v_ldexp_f32 v16, v16, v17
	s_delay_alu instid0(VALU_DEP_1) | instskip(SKIP_2) | instid1(VALU_DEP_3)
	v_dual_cndmask_b32 v16, 0, v16 :: v_dual_add_nc_u32 v17, s21, v13
	v_add_co_u32 v1, vcc_lo, v1, s17
	v_add_co_ci_u32_e32 v2, vcc_lo, 0, v2, vcc_lo
	v_cndmask_b32_e64 v15, 0x7f800000, v16, s2
	v_cmp_le_i32_e32 vcc_lo, s19, v3
	v_add_nc_u32_e32 v13, s17, v13
	s_or_b32 s3, vcc_lo, s3
	s_waitcnt vmcnt(0)
	v_mul_f32_e32 v16, v14, v15
	v_fmac_f32_e32 v12, v14, v15
	ds_store_b32 v17, v16
	s_and_not1_b32 exec_lo, exec_lo, s3
	s_cbranch_execnz .LBB76_11
; %bb.12:
	s_set_inst_prefetch_distance 0x2
	s_or_b32 exec_lo, exec_lo, s3
.LBB76_13:
	s_delay_alu instid0(SALU_CYCLE_1)
	s_or_b32 exec_lo, exec_lo, s22
	ds_bpermute_b32 v1, v6, v12
	s_waitcnt lgkmcnt(0)
	s_barrier
	buffer_gl0_inv
	v_add_f32_e32 v1, v12, v1
	ds_bpermute_b32 v2, v7, v1
	s_waitcnt lgkmcnt(0)
	v_add_f32_e32 v1, v1, v2
	ds_bpermute_b32 v2, v8, v1
	s_waitcnt lgkmcnt(0)
	;; [unrolled: 3-line block ×4, first 2 shown]
	v_add_f32_e32 v1, v1, v2
	s_and_saveexec_b32 s2, s0
	s_cbranch_execz .LBB76_15
; %bb.14:
	ds_store_b32 v9, v1 offset:16
.LBB76_15:
	s_or_b32 exec_lo, exec_lo, s2
	s_waitcnt lgkmcnt(0)
	s_barrier
	buffer_gl0_inv
	s_and_saveexec_b32 s0, s1
	s_cbranch_execz .LBB76_17
; %bb.16:
	ds_load_b32 v1, v10 offset:16
.LBB76_17:
	s_or_b32 exec_lo, exec_lo, s0
	s_waitcnt lgkmcnt(0)
	ds_bpermute_b32 v2, v4, v1
	s_mov_b32 s0, exec_lo
	s_waitcnt lgkmcnt(0)
	v_add_f32_e32 v1, v1, v2
	ds_bpermute_b32 v2, v5, v1
	s_waitcnt lgkmcnt(0)
	v_dual_add_f32 v1, v1, v2 :: v_dual_mov_b32 v2, 0
	ds_bpermute_b32 v2, v2, v1
	v_cmpx_gt_u32_e32 0x78, v0
	s_cbranch_execz .LBB76_25
; %bb.18:
	s_cmp_gt_i32 s20, 0
	s_mov_b32 s1, 0
	s_cbranch_scc1 .LBB76_20
; %bb.19:
	v_mov_b32_e32 v1, 0
	s_branch .LBB76_21
.LBB76_20:
	s_mov_b32 s1, -1
.LBB76_21:
	s_delay_alu instid0(SALU_CYCLE_1) | instskip(SKIP_1) | instid1(VALU_DEP_2)
	v_cndmask_b32_e64 v3, 0, 1, s1
	v_mov_b32_e32 v4, s1
	v_cmp_ne_u32_e32 vcc_lo, 1, v3
	s_cbranch_vccnz .LBB76_24
; %bb.22:
	s_waitcnt lgkmcnt(0)
	v_add_f32_e32 v4, 0x358637bd, v2
	s_mulk_i32 s12, 0x78
	s_mulk_i32 s16, 0x78
	s_ashr_i32 s13, s12, 31
	s_ashr_i32 s17, s16, 31
	v_div_scale_f32 v2, null, v4, v4, 1.0
	s_lshl_b64 s[12:13], s[12:13], 1
	s_lshl_b64 s[16:17], s[16:17], 1
	s_max_i32 s1, s19, 1
	s_delay_alu instid0(VALU_DEP_1)
	v_rcp_f32_e32 v3, v2
	s_add_i32 s2, s21, 32
	s_add_u32 s3, s12, s16
	s_addc_u32 s12, s13, s17
	s_add_u32 s3, s4, s3
	s_addc_u32 s12, s5, s12
	s_waitcnt_depctr 0xfff
	v_fma_f32 v1, -v2, v3, 1.0
	s_delay_alu instid0(VALU_DEP_1) | instskip(SKIP_1) | instid1(VALU_DEP_1)
	v_fmac_f32_e32 v3, v1, v3
	v_div_scale_f32 v5, vcc_lo, 1.0, v4, 1.0
	v_dual_mov_b32 v1, 0 :: v_dual_mul_f32 v6, v5, v3
	s_delay_alu instid0(VALU_DEP_1) | instskip(NEXT) | instid1(VALU_DEP_1)
	v_fma_f32 v7, -v2, v6, v5
	v_dual_fmac_f32 v6, v7, v3 :: v_dual_lshlrev_b32 v7, 1, v0
	s_delay_alu instid0(VALU_DEP_1) | instskip(NEXT) | instid1(VALU_DEP_1)
	v_fma_f32 v2, -v2, v6, v5
	v_div_fmas_f32 v5, v2, v3, v6
	s_delay_alu instid0(VALU_DEP_3) | instskip(NEXT) | instid1(VALU_DEP_1)
	v_add_co_u32 v2, s3, s3, v7
	v_add_co_ci_u32_e64 v3, null, s12, 0, s3
	s_delay_alu instid0(VALU_DEP_3)
	v_div_fixup_f32 v5, v5, v4, 1.0
	v_mov_b32_e32 v4, v1
	.p2align	6
.LBB76_23:                              ; =>This Inner Loop Header: Depth=1
	v_mov_b32_e32 v7, s2
	global_load_u16 v6, v[2:3], off
	s_waitcnt vmcnt(0)
	;;#ASMSTART
	v_cvt_f32_f16 v6, v6;
	;;#ASMEND
	v_add_co_u32 v2, vcc_lo, 0xf0, v2
	ds_load_b32 v7, v7
	v_add_co_ci_u32_e32 v3, vcc_lo, 0, v3, vcc_lo
	s_add_i32 s1, s1, -1
	s_add_i32 s2, s2, 4
	s_cmp_eq_u32 s1, 0
	s_waitcnt lgkmcnt(0)
	v_mul_f32_e32 v6, v6, v7
	s_delay_alu instid0(VALU_DEP_1)
	v_fmac_f32_e32 v4, v5, v6
	s_cbranch_scc0 .LBB76_23
.LBB76_24:
	s_mul_i32 s2, s18, 0x78
	s_mul_i32 s12, s14, 0x78
	s_ashr_i32 s3, s2, 31
	s_waitcnt lgkmcnt(0)
	v_lshlrev_b64 v[1:2], 1, v[0:1]
	s_lshl_b64 s[2:3], s[2:3], 1
	;;#ASMSTART
	v_cvt_f16_f32 v3, v4;

	;;#ASMEND
	s_add_u32 s1, s6, s2
	s_addc_u32 s16, s7, s3
	s_ashr_i32 s13, s12, 31
	s_delay_alu instid0(SALU_CYCLE_1) | instskip(NEXT) | instid1(SALU_CYCLE_1)
	s_lshl_b64 s[2:3], s[12:13], 1
	s_add_u32 s1, s1, s2
	s_addc_u32 s2, s16, s3
	v_add_co_u32 v1, vcc_lo, s1, v1
	v_add_co_ci_u32_e32 v2, vcc_lo, s2, v2, vcc_lo
	global_store_b16 v[1:2], v3, off
.LBB76_25:
	s_or_b32 exec_lo, exec_lo, s0
	s_mov_b32 s2, 0
.LBB76_26:
	s_delay_alu instid0(SALU_CYCLE_1)
	s_and_b32 vcc_lo, exec_lo, s2
	s_cbranch_vccz .LBB76_35
; %bb.27:
	s_mov_b32 s0, exec_lo
	v_cmpx_gt_u32_e32 0x78, v0
	s_cbranch_execz .LBB76_35
; %bb.28:
	s_mul_i32 s0, s15, s10
	s_load_b32 s10, s[8:9], 0xc
	s_mulk_i32 s0, 0x78
	s_mul_i32 s12, s14, 0x78
	s_ashr_i32 s1, s0, 31
	s_mul_i32 s8, s12, s11
	s_lshl_b64 s[2:3], s[0:1], 1
	s_delay_alu instid0(SALU_CYCLE_1) | instskip(SKIP_4) | instid1(SALU_CYCLE_1)
	s_add_u32 s1, s6, s2
	s_addc_u32 s7, s7, s3
	s_ashr_i32 s13, s12, 31
	s_mul_i32 s6, s0, s11
	s_lshl_b64 s[2:3], s[12:13], 1
	s_add_u32 s1, s1, s2
	s_addc_u32 s2, s7, s3
	s_ashr_i32 s7, s6, 31
	s_delay_alu instid0(SALU_CYCLE_1) | instskip(NEXT) | instid1(SALU_CYCLE_1)
	s_lshl_b64 s[6:7], s[6:7], 1
	s_add_u32 s0, s4, s6
	s_addc_u32 s6, s5, s7
	s_ashr_i32 s9, s8, 31
	s_mov_b32 s7, 0
	s_lshl_b64 s[4:5], s[8:9], 1
	s_delay_alu instid0(SALU_CYCLE_1) | instskip(SKIP_3) | instid1(SALU_CYCLE_1)
	s_add_u32 s3, s0, s4
	s_addc_u32 s4, s6, s5
	s_waitcnt lgkmcnt(0)
	s_and_b32 s5, s10, 0xffff
	v_cvt_f32_u32_e32 v1, s5
	s_cmp_eq_u32 s5, 1
	v_add_nc_u32_e32 v3, s5, v0
	s_cselect_b32 s6, -1, 0
	s_sub_i32 s0, 0, s5
	v_rcp_iflag_f32_e32 v1, v1
	s_delay_alu instid0(VALU_DEP_1) | instskip(SKIP_3) | instid1(VALU_DEP_1)
	v_cmp_gt_u32_e32 vcc_lo, 0x78, v3
	v_max_u32_e32 v4, 0x78, v3
	s_waitcnt_depctr 0xfff
	v_mul_f32_e32 v1, 0x4f7ffffe, v1
	v_cvt_u32_f32_e32 v1, v1
	s_delay_alu instid0(VALU_DEP_1) | instskip(SKIP_1) | instid1(VALU_DEP_1)
	v_mul_lo_u32 v2, s0, v1
	v_add_co_ci_u32_e64 v3, s0, s5, v0, vcc_lo
	v_sub_nc_u32_e32 v3, v4, v3
	s_delay_alu instid0(VALU_DEP_3) | instskip(NEXT) | instid1(VALU_DEP_1)
	v_mul_hi_u32 v2, v1, v2
	v_add_nc_u32_e32 v1, v1, v2
	s_delay_alu instid0(VALU_DEP_1) | instskip(NEXT) | instid1(VALU_DEP_1)
	v_mul_hi_u32 v1, v3, v1
	v_mul_lo_u32 v2, v1, s5
	s_delay_alu instid0(VALU_DEP_1) | instskip(SKIP_1) | instid1(VALU_DEP_2)
	v_sub_nc_u32_e32 v2, v3, v2
	v_add_nc_u32_e32 v3, 1, v1
	v_subrev_nc_u32_e32 v4, s5, v2
	v_cmp_le_u32_e64 s0, s5, v2
	s_delay_alu instid0(VALU_DEP_1) | instskip(NEXT) | instid1(VALU_DEP_3)
	v_cndmask_b32_e64 v1, v1, v3, s0
	v_cndmask_b32_e64 v2, v2, v4, s0
	s_delay_alu instid0(VALU_DEP_2) | instskip(NEXT) | instid1(VALU_DEP_2)
	v_add_nc_u32_e32 v3, 1, v1
	v_cmp_le_u32_e64 s0, s5, v2
	s_delay_alu instid0(VALU_DEP_1) | instskip(SKIP_1) | instid1(VALU_DEP_1)
	v_cndmask_b32_e64 v1, v1, v3, s0
	s_mov_b32 s0, -1
	v_add_co_ci_u32_e32 v3, vcc_lo, 1, v1, vcc_lo
	s_delay_alu instid0(VALU_DEP_1) | instskip(SKIP_1) | instid1(SALU_CYCLE_1)
	v_cmp_lt_u32_e32 vcc_lo, 3, v3
	s_and_b32 s8, vcc_lo, s6
	s_and_saveexec_b32 s6, s8
	s_cbranch_execz .LBB76_32
; %bb.29:
	v_dual_mov_b32 v1, v0 :: v_dual_and_b32 v4, -4, v3
	s_delay_alu instid0(VALU_DEP_1)
	v_dual_mov_b32 v2, 0 :: v_dual_mov_b32 v5, v4
	.p2align	6
.LBB76_30:                              ; =>This Inner Loop Header: Depth=1
	s_delay_alu instid0(VALU_DEP_1) | instskip(NEXT) | instid1(VALU_DEP_2)
	v_lshlrev_b64 v[6:7], 1, v[1:2]
	v_add_nc_u32_e32 v5, -4, v5
	v_add_nc_u32_e32 v1, 4, v1
	s_delay_alu instid0(VALU_DEP_3) | instskip(NEXT) | instid1(VALU_DEP_4)
	v_add_co_u32 v8, vcc_lo, s3, v6
	v_add_co_ci_u32_e32 v9, vcc_lo, s4, v7, vcc_lo
	s_delay_alu instid0(VALU_DEP_4)
	v_cmp_eq_u32_e32 vcc_lo, 0, v5
	v_add_co_u32 v6, s0, s1, v6
	global_load_b64 v[8:9], v[8:9], off
	v_add_co_ci_u32_e64 v7, s0, s2, v7, s0
	s_or_b32 s7, vcc_lo, s7
	s_waitcnt vmcnt(0)
	global_store_b64 v[6:7], v[8:9], off
	s_and_not1_b32 exec_lo, exec_lo, s7
	s_cbranch_execnz .LBB76_30
; %bb.31:
	s_or_b32 exec_lo, exec_lo, s7
	v_cmp_ne_u32_e32 vcc_lo, v3, v4
	v_add_nc_u32_e32 v0, v0, v4
	s_or_not1_b32 s0, vcc_lo, exec_lo
.LBB76_32:
	s_or_b32 exec_lo, exec_lo, s6
	s_delay_alu instid0(SALU_CYCLE_1)
	s_and_b32 exec_lo, exec_lo, s0
	s_cbranch_execz .LBB76_35
; %bb.33:
	v_mov_b32_e32 v1, 0
	s_mov_b32 s6, 0
	s_lshl_b32 s7, s5, 1
	s_delay_alu instid0(VALU_DEP_1)
	v_lshlrev_b64 v[1:2], 1, v[0:1]
	.p2align	6
.LBB76_34:                              ; =>This Inner Loop Header: Depth=1
	s_delay_alu instid0(VALU_DEP_1) | instskip(NEXT) | instid1(VALU_DEP_2)
	v_add_co_u32 v3, vcc_lo, s3, v1
	v_add_co_ci_u32_e32 v4, vcc_lo, s4, v2, vcc_lo
	v_add_nc_u32_e32 v0, s5, v0
	global_load_u16 v5, v[3:4], off
	v_add_co_u32 v3, vcc_lo, s1, v1
	v_add_co_ci_u32_e32 v4, vcc_lo, s2, v2, vcc_lo
	v_cmp_lt_u32_e32 vcc_lo, 0x77, v0
	v_add_co_u32 v1, s0, v1, s7
	s_delay_alu instid0(VALU_DEP_1)
	v_add_co_ci_u32_e64 v2, s0, 0, v2, s0
	s_or_b32 s6, vcc_lo, s6
	s_waitcnt vmcnt(0)
	global_store_b16 v[3:4], v5, off
	s_and_not1_b32 exec_lo, exec_lo, s6
	s_cbranch_execnz .LBB76_34
.LBB76_35:
	s_nop 0
	s_sendmsg sendmsg(MSG_DEALLOC_VGPRS)
	s_endpgm
	.section	.rodata,"a",@progbits
	.p2align	6, 0x0
	.amdhsa_kernel _ZN4vllm32paged_attention_v2_reduce_kernelItLi120ELi128ELi512EEEvPT_PKfS4_PKS1_PKii
		.amdhsa_group_segment_fixed_size 32
		.amdhsa_private_segment_fixed_size 0
		.amdhsa_kernarg_size 304
		.amdhsa_user_sgpr_count 14
		.amdhsa_user_sgpr_dispatch_ptr 0
		.amdhsa_user_sgpr_queue_ptr 0
		.amdhsa_user_sgpr_kernarg_segment_ptr 1
		.amdhsa_user_sgpr_dispatch_id 0
		.amdhsa_user_sgpr_private_segment_size 0
		.amdhsa_wavefront_size32 1
		.amdhsa_uses_dynamic_stack 0
		.amdhsa_enable_private_segment 0
		.amdhsa_system_sgpr_workgroup_id_x 1
		.amdhsa_system_sgpr_workgroup_id_y 1
		.amdhsa_system_sgpr_workgroup_id_z 0
		.amdhsa_system_sgpr_workgroup_info 0
		.amdhsa_system_vgpr_workitem_id 0
		.amdhsa_next_free_vgpr 19
		.amdhsa_next_free_sgpr 29
		.amdhsa_reserve_vcc 1
		.amdhsa_float_round_mode_32 0
		.amdhsa_float_round_mode_16_64 0
		.amdhsa_float_denorm_mode_32 3
		.amdhsa_float_denorm_mode_16_64 3
		.amdhsa_dx10_clamp 1
		.amdhsa_ieee_mode 1
		.amdhsa_fp16_overflow 0
		.amdhsa_workgroup_processor_mode 1
		.amdhsa_memory_ordered 1
		.amdhsa_forward_progress 0
		.amdhsa_shared_vgpr_count 0
		.amdhsa_exception_fp_ieee_invalid_op 0
		.amdhsa_exception_fp_denorm_src 0
		.amdhsa_exception_fp_ieee_div_zero 0
		.amdhsa_exception_fp_ieee_overflow 0
		.amdhsa_exception_fp_ieee_underflow 0
		.amdhsa_exception_fp_ieee_inexact 0
		.amdhsa_exception_int_div_zero 0
	.end_amdhsa_kernel
	.section	.text._ZN4vllm32paged_attention_v2_reduce_kernelItLi120ELi128ELi512EEEvPT_PKfS4_PKS1_PKii,"axG",@progbits,_ZN4vllm32paged_attention_v2_reduce_kernelItLi120ELi128ELi512EEEvPT_PKfS4_PKS1_PKii,comdat
.Lfunc_end76:
	.size	_ZN4vllm32paged_attention_v2_reduce_kernelItLi120ELi128ELi512EEEvPT_PKfS4_PKS1_PKii, .Lfunc_end76-_ZN4vllm32paged_attention_v2_reduce_kernelItLi120ELi128ELi512EEEvPT_PKfS4_PKS1_PKii
                                        ; -- End function
	.section	.AMDGPU.csdata,"",@progbits
; Kernel info:
; codeLenInByte = 2432
; NumSgprs: 31
; NumVgprs: 19
; ScratchSize: 0
; MemoryBound: 0
; FloatMode: 240
; IeeeMode: 1
; LDSByteSize: 32 bytes/workgroup (compile time only)
; SGPRBlocks: 3
; VGPRBlocks: 2
; NumSGPRsForWavesPerEU: 31
; NumVGPRsForWavesPerEU: 19
; Occupancy: 16
; WaveLimiterHint : 0
; COMPUTE_PGM_RSRC2:SCRATCH_EN: 0
; COMPUTE_PGM_RSRC2:USER_SGPR: 14
; COMPUTE_PGM_RSRC2:TRAP_HANDLER: 0
; COMPUTE_PGM_RSRC2:TGID_X_EN: 1
; COMPUTE_PGM_RSRC2:TGID_Y_EN: 1
; COMPUTE_PGM_RSRC2:TGID_Z_EN: 0
; COMPUTE_PGM_RSRC2:TIDIG_COMP_CNT: 0
	.section	.text._ZN4vllm25paged_attention_v2_kernelIttLi128ELi8ELi128ELNS_18Fp8KVCacheDataTypeE0ELb1ELi512EEEvPfS2_PT_PKS3_PKT0_S9_ifPKiSB_iPKfiiiSD_SD_iiiii,"axG",@progbits,_ZN4vllm25paged_attention_v2_kernelIttLi128ELi8ELi128ELNS_18Fp8KVCacheDataTypeE0ELb1ELi512EEEvPfS2_PT_PKS3_PKT0_S9_ifPKiSB_iPKfiiiSD_SD_iiiii,comdat
	.protected	_ZN4vllm25paged_attention_v2_kernelIttLi128ELi8ELi128ELNS_18Fp8KVCacheDataTypeE0ELb1ELi512EEEvPfS2_PT_PKS3_PKT0_S9_ifPKiSB_iPKfiiiSD_SD_iiiii ; -- Begin function _ZN4vllm25paged_attention_v2_kernelIttLi128ELi8ELi128ELNS_18Fp8KVCacheDataTypeE0ELb1ELi512EEEvPfS2_PT_PKS3_PKT0_S9_ifPKiSB_iPKfiiiSD_SD_iiiii
	.globl	_ZN4vllm25paged_attention_v2_kernelIttLi128ELi8ELi128ELNS_18Fp8KVCacheDataTypeE0ELb1ELi512EEEvPfS2_PT_PKS3_PKT0_S9_ifPKiSB_iPKfiiiSD_SD_iiiii
	.p2align	8
	.type	_ZN4vllm25paged_attention_v2_kernelIttLi128ELi8ELi128ELNS_18Fp8KVCacheDataTypeE0ELb1ELi512EEEvPfS2_PT_PKS3_PKT0_S9_ifPKiSB_iPKfiiiSD_SD_iiiii,@function
_ZN4vllm25paged_attention_v2_kernelIttLi128ELi8ELi128ELNS_18Fp8KVCacheDataTypeE0ELb1ELi512EEEvPfS2_PT_PKS3_PKT0_S9_ifPKiSB_iPKfiiiSD_SD_iiiii: ; @_ZN4vllm25paged_attention_v2_kernelIttLi128ELi8ELi128ELNS_18Fp8KVCacheDataTypeE0ELb1ELi512EEEvPfS2_PT_PKS3_PKT0_S9_ifPKiSB_iPKfiiiSD_SD_iiiii
; %bb.0:
	s_load_b64 s[2:3], s[0:1], 0x40
	s_mov_b32 s12, s15
	s_ashr_i32 s15, s14, 31
	s_delay_alu instid0(SALU_CYCLE_1)
	s_lshl_b64 s[4:5], s[14:15], 2
	s_waitcnt lgkmcnt(0)
	s_add_u32 s2, s2, s4
	s_addc_u32 s3, s3, s5
	s_lshl_b32 s15, s12, 9
	s_load_b32 s33, s[2:3], 0x0
	s_waitcnt lgkmcnt(0)
	s_cmp_ge_i32 s15, s33
	s_cbranch_scc1 .LBB77_60
; %bb.1:
	s_mov_b32 s24, s13
	s_clause 0x1
	s_load_b32 s13, s[0:1], 0x90
	s_load_b64 s[34:35], s[0:1], 0x30
	s_mov_b32 s39, 0
	s_waitcnt lgkmcnt(0)
	s_abs_i32 s5, s13
	s_abs_i32 s2, s34
	s_delay_alu instid0(SALU_CYCLE_1) | instskip(SKIP_1) | instid1(VALU_DEP_1)
	v_cvt_f32_u32_e32 v1, s2
	s_sub_i32 s4, 0, s2
	v_rcp_iflag_f32_e32 v1, v1
	s_waitcnt_depctr 0xfff
	v_mul_f32_e32 v1, 0x4f7ffffe, v1
	s_delay_alu instid0(VALU_DEP_1) | instskip(NEXT) | instid1(VALU_DEP_1)
	v_cvt_u32_f32_e32 v1, v1
	v_readfirstlane_b32 s3, v1
	s_delay_alu instid0(VALU_DEP_1) | instskip(NEXT) | instid1(SALU_CYCLE_1)
	s_mul_i32 s4, s4, s3
	s_mul_hi_u32 s4, s3, s4
	s_delay_alu instid0(SALU_CYCLE_1) | instskip(SKIP_4) | instid1(SALU_CYCLE_1)
	s_add_i32 s3, s3, s4
	s_xor_b32 s4, s13, s34
	s_mul_hi_u32 s3, s5, s3
	s_ashr_i32 s4, s4, 31
	s_mul_i32 s6, s3, s2
	s_sub_i32 s5, s5, s6
	s_add_i32 s6, s3, 1
	s_sub_i32 s7, s5, s2
	s_cmp_ge_u32 s5, s2
	s_cselect_b32 s3, s6, s3
	s_cselect_b32 s5, s7, s5
	s_add_i32 s6, s3, 1
	s_cmp_ge_u32 s5, s2
	s_cselect_b32 s2, s6, s3
	s_abs_i32 s17, s24
	s_xor_b32 s2, s2, s4
	s_delay_alu instid0(SALU_CYCLE_1) | instskip(SKIP_2) | instid1(SALU_CYCLE_1)
	s_sub_i32 s8, s2, s4
	s_load_b64 s[2:3], s[0:1], 0x50
	s_abs_i32 s16, s8
	v_cvt_f32_u32_e32 v1, s16
	s_sub_i32 s5, 0, s16
	s_delay_alu instid0(VALU_DEP_1) | instskip(SKIP_2) | instid1(VALU_DEP_1)
	v_rcp_iflag_f32_e32 v1, v1
	s_waitcnt_depctr 0xfff
	v_mul_f32_e32 v1, 0x4f7ffffe, v1
	v_cvt_u32_f32_e32 v1, v1
	s_delay_alu instid0(VALU_DEP_1) | instskip(NEXT) | instid1(VALU_DEP_1)
	v_readfirstlane_b32 s4, v1
	s_mul_i32 s5, s5, s4
	s_delay_alu instid0(SALU_CYCLE_1) | instskip(NEXT) | instid1(SALU_CYCLE_1)
	s_mul_hi_u32 s5, s4, s5
	s_add_i32 s4, s4, s5
	s_waitcnt lgkmcnt(0)
	s_cmp_eq_u64 s[2:3], 0
	s_mul_hi_u32 s18, s17, s4
	s_cbranch_scc1 .LBB77_3
; %bb.2:
	s_ashr_i32 s25, s24, 31
	s_delay_alu instid0(SALU_CYCLE_1) | instskip(NEXT) | instid1(SALU_CYCLE_1)
	s_lshl_b64 s[4:5], s[24:25], 2
	s_add_u32 s2, s2, s4
	s_addc_u32 s3, s3, s5
	s_load_b32 s39, s[2:3], 0x0
.LBB77_3:
	s_load_b128 s[4:7], s[0:1], 0x58
	v_and_b32_e32 v1, 3, v0
	v_cmp_gt_u32_e64 s2, 64, v0
	v_lshlrev_b32_e32 v10, 2, v0
	s_ashr_i32 s3, s24, 31
	s_waitcnt lgkmcnt(0)
	s_ashr_i32 s7, s8, 31
	s_lshl_b32 s20, s24, 7
	s_and_saveexec_b32 s8, s2
	s_cbranch_execz .LBB77_5
; %bb.4:
	s_load_b64 s[10:11], s[0:1], 0x18
	s_mul_i32 s22, s14, s4
	v_and_b32_e32 v3, 0x3fc, v0
	s_ashr_i32 s23, s22, 31
	s_delay_alu instid0(SALU_CYCLE_1) | instskip(NEXT) | instid1(VALU_DEP_1)
	s_lshl_b64 s[22:23], s[22:23], 1
	v_lshl_add_u32 v3, v1, 6, v3
	s_waitcnt lgkmcnt(0)
	s_add_u32 s4, s10, s22
	s_addc_u32 s9, s11, s23
	s_ashr_i32 s21, s20, 31
	s_delay_alu instid0(SALU_CYCLE_1) | instskip(NEXT) | instid1(SALU_CYCLE_1)
	s_lshl_b64 s[10:11], s[20:21], 1
	s_add_u32 s10, s4, s10
	s_addc_u32 s11, s9, s11
	global_load_b32 v2, v10, s[10:11]
	s_waitcnt vmcnt(0)
	ds_store_b32 v3, v2
.LBB77_5:
	s_or_b32 exec_lo, exec_lo, s8
	s_load_b128 s[8:11], s[0:1], 0x78
	s_mul_i32 s4, s18, s16
	s_xor_b32 s3, s3, s7
	s_sub_i32 s4, s17, s4
	s_add_i32 s7, s18, 1
	s_sub_i32 s17, s4, s16
	s_cmp_ge_u32 s4, s16
	s_waitcnt lgkmcnt(0)
	s_cselect_b32 s7, s7, s18
	s_cselect_b32 s4, s17, s4
	s_add_i32 s17, s7, 1
	s_cmp_ge_u32 s4, s16
	s_load_b32 s16, s[0:1], 0x88
	s_cselect_b32 s4, s17, s7
	s_add_i32 s17, s33, -1
	s_xor_b32 s4, s4, s3
	s_abs_i32 s7, s17
	s_sub_i32 s4, s4, s3
	s_mov_b32 s18, -1
	s_waitcnt lgkmcnt(0)
	s_barrier
	s_abs_i32 s21, s11
	buffer_gl0_inv
	v_cvt_f32_u32_e32 v2, s21
	s_sub_i32 s3, 0, s21
                                        ; implicit-def: $sgpr36
	s_delay_alu instid0(VALU_DEP_1) | instskip(SKIP_2) | instid1(VALU_DEP_1)
	v_rcp_iflag_f32_e32 v2, v2
	s_waitcnt_depctr 0xfff
	v_mul_f32_e32 v2, 0x4f7ffffe, v2
	v_cvt_u32_f32_e32 v2, v2
	s_delay_alu instid0(VALU_DEP_1) | instskip(NEXT) | instid1(VALU_DEP_1)
	v_readfirstlane_b32 s25, v2
	s_mul_i32 s3, s3, s25
	s_delay_alu instid0(SALU_CYCLE_1) | instskip(NEXT) | instid1(SALU_CYCLE_1)
	s_mul_hi_u32 s3, s25, s3
	s_add_i32 s25, s25, s3
	s_cmp_lt_i32 s16, 0
	s_mul_hi_u32 s3, s7, s25
	s_cbranch_scc0 .LBB77_7
; %bb.6:
	s_mul_i32 s18, s8, s34
	s_delay_alu instid0(SALU_CYCLE_1) | instskip(NEXT) | instid1(SALU_CYCLE_1)
	s_add_i32 s18, s4, s18
	s_mul_i32 s18, s18, s16
	s_delay_alu instid0(SALU_CYCLE_1)
	s_sub_i32 s36, 1, s18
	s_mov_b32 s18, 0
.LBB77_7:
	s_load_b64 s[26:27], s[0:1], 0x38
	s_ashr_i32 s28, s17, 31
	s_and_not1_b32 vcc_lo, exec_lo, s18
	s_ashr_i32 s11, s11, 31
	s_cbranch_vccnz .LBB77_9
; %bb.8:
	s_mul_i32 s8, s13, s8
	s_delay_alu instid0(SALU_CYCLE_1) | instskip(NEXT) | instid1(SALU_CYCLE_1)
	s_add_i32 s8, s8, s24
	s_mul_i32 s8, s8, s16
	s_delay_alu instid0(SALU_CYCLE_1)
	s_add_i32 s36, s8, 1
.LBB77_9:
	s_clause 0x4
	s_load_b32 s29, s[0:1], 0x48
	s_load_b64 s[30:31], s[0:1], 0x28
	s_load_b32 s8, s[0:1], 0x98
	s_load_b128 s[16:19], s[0:1], 0x0
	s_load_b64 s[22:23], s[0:1], 0x10
	s_xor_b32 s38, s28, s11
	s_mul_i32 s28, s3, s21
	s_add_i32 s34, s3, 1
	s_sub_i32 s7, s7, s28
	v_lshrrev_b32_e32 v11, 5, v0
	s_sub_i32 s37, s7, s21
	v_mov_b32_e32 v4, 0xff7fffff
	v_mbcnt_lo_u32_b32 v3, -1, 0
	s_mul_i32 s6, s4, s6
	v_lshl_add_u32 v12, v11, 3, s15
	s_waitcnt lgkmcnt(0)
	s_mul_i32 s28, s14, s29
	s_delay_alu instid0(SALU_CYCLE_1)
	s_ashr_i32 s29, s28, 31
	s_cmp_ge_u32 s7, s21
	s_cselect_b32 s3, s34, s3
	s_cselect_b32 s7, s37, s7
	s_add_i32 s34, s3, 1
	s_cmp_ge_u32 s7, s21
	s_cselect_b32 s3, s34, s3
	s_add_i32 s7, s33, 7
	s_lshl_b32 s40, s12, 6
	s_ashr_i32 s34, s7, 31
	v_or_b32_e32 v5, s40, v11
	s_lshr_b32 s34, s34, 29
	s_delay_alu instid0(SALU_CYCLE_1)
	s_add_i32 s7, s7, s34
	s_add_i32 s34, s40, 64
	s_ashr_i32 s37, s7, 3
	s_xor_b32 s7, s3, s38
	s_min_i32 s34, s34, s37
	v_ashrrev_i32_e32 v6, 31, v5
	v_cmp_gt_i32_e64 s3, s34, v5
	s_sub_i32 s38, s7, s38
	s_delay_alu instid0(VALU_DEP_1)
	s_and_saveexec_b32 s41, s3
	s_cbranch_execz .LBB77_19
; %bb.10:
	s_load_b64 s[0:1], s[0:1], 0x20
	s_ashr_i32 s7, s6, 31
	v_bfe_u32 v7, v0, 2, 3
	s_lshl_b64 s[42:43], s[6:7], 1
	s_sub_i32 s7, s38, s9
	v_cmp_eq_u32_e32 vcc_lo, 0, v1
	v_dual_mov_b32 v13, 0xff7fffff :: v_dual_and_b32 v18, 12, v10
	v_lshlrev_b32_e32 v16, 2, v7
	v_subrev_nc_u32_e32 v19, s33, v7
	v_lshlrev_b32_e32 v22, 4, v7
	v_lshl_add_u32 v9, v11, 3, s15
	v_xor_b32_e32 v14, 2, v3
	v_lshl_or_b32 v20, v11, 5, v16
	v_add_nc_u32_e32 v16, 1, v19
	v_xor_b32_e32 v15, 1, v3
	s_waitcnt lgkmcnt(0)
	s_add_u32 s4, s0, s42
	s_addc_u32 s1, s1, s43
	s_abs_i32 s42, s10
	s_lshl_b64 s[44:45], s[28:29], 2
	v_cvt_f32_u32_e32 v2, s42
	s_sub_i32 s43, 0, s42
	v_cmp_neq_f32_e64 s0, s39, 0
	s_delay_alu instid0(VALU_DEP_2)
	v_rcp_iflag_f32_e32 v4, v2
	v_lshlrev_b32_e32 v8, 6, v1
	v_lshlrev_b64 v[1:2], 2, v[5:6]
	s_waitcnt_depctr 0xfff
	v_mul_f32_e32 v17, 0x4f7ffffe, v4
	v_mov_b32_e32 v4, 0xff7fffff
	s_delay_alu instid0(VALU_DEP_2) | instskip(SKIP_2) | instid1(VALU_DEP_1)
	v_cvt_u32_f32_e32 v21, v17
	v_add_nc_u32_e32 v17, 0x120, v20
	v_add_co_u32 v20, s4, s4, v22
	v_add_co_ci_u32_e64 v22, null, s1, 0, s4
	s_delay_alu instid0(VALU_DEP_4) | instskip(SKIP_3) | instid1(VALU_DEP_1)
	v_mul_lo_u32 v19, s43, v21
	s_add_u32 s1, s26, s44
	s_addc_u32 s4, s27, s45
	v_add_co_u32 v1, s1, s1, v1
	v_add_co_ci_u32_e64 v2, s1, s4, v2, s1
	v_add_co_u32 v18, s1, v20, v18
	s_delay_alu instid0(VALU_DEP_4) | instskip(SKIP_3) | instid1(VALU_DEP_2)
	v_mul_hi_u32 v23, v21, v19
	v_add_co_ci_u32_e64 v19, s1, 0, v22, s1
	s_mov_b32 s43, 0
	s_mov_b32 s44, s5
	v_add_nc_u32_e32 v20, v21, v23
	v_mov_b32_e32 v21, v5
	s_branch .LBB77_13
.LBB77_11:                              ;   in Loop: Header=BB77_13 Depth=1
	s_or_b32 exec_lo, exec_lo, s45
.LBB77_12:                              ;   in Loop: Header=BB77_13 Depth=1
	s_delay_alu instid0(SALU_CYCLE_1) | instskip(SKIP_2) | instid1(VALU_DEP_1)
	s_or_b32 exec_lo, exec_lo, s4
	v_add_nc_u32_e32 v21, 4, v21
	v_add_co_u32 v1, s4, v1, 16
	v_add_co_ci_u32_e64 v2, s4, 0, v2, s4
	s_delay_alu instid0(VALU_DEP_3) | instskip(SKIP_2) | instid1(VALU_DEP_3)
	v_cmp_le_i32_e64 s1, s34, v21
	v_add_nc_u32_e32 v9, 32, v9
	v_add_nc_u32_e32 v17, 0x80, v17
	s_or_b32 s43, s1, s43
	s_delay_alu instid0(SALU_CYCLE_1)
	s_and_not1_b32 exec_lo, exec_lo, s43
	s_cbranch_execz .LBB77_18
.LBB77_13:                              ; =>This Inner Loop Header: Depth=1
	v_sub_nc_u32_e32 v22, 0, v9
	s_delay_alu instid0(VALU_DEP_1) | instskip(SKIP_1) | instid1(VALU_DEP_1)
	v_max_i32_e32 v22, v9, v22
	s_waitcnt lgkmcnt(0)
	v_mul_hi_u32 v23, v22, s25
	s_delay_alu instid0(VALU_DEP_1) | instskip(NEXT) | instid1(VALU_DEP_1)
	v_mul_lo_u32 v24, v23, s21
	v_sub_nc_u32_e32 v22, v22, v24
	v_add_nc_u32_e32 v24, 1, v23
	s_delay_alu instid0(VALU_DEP_2) | instskip(SKIP_1) | instid1(VALU_DEP_1)
	v_subrev_nc_u32_e32 v25, s21, v22
	v_cmp_le_u32_e64 s1, s21, v22
	v_cndmask_b32_e64 v23, v23, v24, s1
	s_delay_alu instid0(VALU_DEP_3) | instskip(SKIP_1) | instid1(VALU_DEP_3)
	v_cndmask_b32_e64 v22, v22, v25, s1
	v_ashrrev_i32_e32 v24, 31, v9
	v_add_nc_u32_e32 v25, 1, v23
	s_delay_alu instid0(VALU_DEP_3) | instskip(NEXT) | instid1(VALU_DEP_3)
	v_cmp_le_u32_e64 s1, s21, v22
	v_xor_b32_e32 v24, s11, v24
	s_delay_alu instid0(VALU_DEP_2) | instskip(NEXT) | instid1(VALU_DEP_1)
	v_cndmask_b32_e64 v22, v23, v25, s1
	v_xor_b32_e32 v22, v22, v24
	s_delay_alu instid0(VALU_DEP_1) | instskip(NEXT) | instid1(VALU_DEP_1)
	v_sub_nc_u32_e32 v22, v22, v24
	v_add_nc_u32_e32 v23, s36, v22
	v_cmp_ge_i32_e64 s4, s7, v22
	s_delay_alu instid0(VALU_DEP_2) | instskip(NEXT) | instid1(VALU_DEP_1)
	v_sub_nc_u32_e32 v24, 0, v23
	v_max_i32_e32 v24, v23, v24
	v_ashrrev_i32_e32 v23, 31, v23
	s_delay_alu instid0(VALU_DEP_2) | instskip(NEXT) | instid1(VALU_DEP_1)
	v_mul_hi_u32 v25, v24, v20
	v_mul_lo_u32 v25, v25, s42
	s_delay_alu instid0(VALU_DEP_1) | instskip(NEXT) | instid1(VALU_DEP_1)
	v_sub_nc_u32_e32 v24, v24, v25
	v_subrev_nc_u32_e32 v25, s42, v24
	v_cmp_le_u32_e64 s1, s42, v24
	s_delay_alu instid0(VALU_DEP_1) | instskip(NEXT) | instid1(VALU_DEP_1)
	v_cndmask_b32_e64 v24, v24, v25, s1
	v_subrev_nc_u32_e32 v25, s42, v24
	v_cmp_le_u32_e64 s1, s42, v24
	s_delay_alu instid0(VALU_DEP_1) | instskip(NEXT) | instid1(VALU_DEP_1)
	v_cndmask_b32_e64 v24, v24, v25, s1
	v_xor_b32_e32 v24, v24, v23
	s_delay_alu instid0(VALU_DEP_1) | instskip(NEXT) | instid1(VALU_DEP_1)
	v_sub_nc_u32_e32 v23, v24, v23
	v_cmp_ne_u32_e64 s1, 0, v23
	s_delay_alu instid0(VALU_DEP_1) | instskip(NEXT) | instid1(SALU_CYCLE_1)
	s_and_b32 s1, s1, s4
	s_and_b32 s45, vcc_lo, s1
	s_delay_alu instid0(SALU_CYCLE_1)
	s_and_saveexec_b32 s4, s45
	s_cbranch_execz .LBB77_15
; %bb.14:                               ;   in Loop: Header=BB77_13 Depth=1
	ds_store_b32 v17, v13
.LBB77_15:                              ;   in Loop: Header=BB77_13 Depth=1
	s_or_b32 exec_lo, exec_lo, s4
	s_xor_b32 s1, s1, -1
	s_delay_alu instid0(SALU_CYCLE_1)
	s_and_saveexec_b32 s4, s1
	s_cbranch_execz .LBB77_12
; %bb.16:                               ;   in Loop: Header=BB77_13 Depth=1
	global_load_b32 v24, v[1:2], off
	s_waitcnt vmcnt(0)
	v_mad_i64_i32 v[22:23], null, v24, s44, 0
	s_delay_alu instid0(VALU_DEP_1) | instskip(NEXT) | instid1(VALU_DEP_1)
	v_lshlrev_b64 v[22:23], 1, v[22:23]
	v_add_co_u32 v22, s1, v18, v22
	s_delay_alu instid0(VALU_DEP_1)
	v_add_co_ci_u32_e64 v23, s1, v19, v23, s1
	v_cmp_gt_i32_e64 s1, 32, v14
	s_clause 0xa
	global_load_b32 v24, v[22:23], off
	global_load_b32 v25, v[22:23], off offset:128
	global_load_b32 v26, v[22:23], off offset:256
	;; [unrolled: 1-line block ×10, first 2 shown]
	ds_load_b32 v35, v8
	s_clause 0x4
	global_load_b32 v38, v[22:23], off offset:1408
	global_load_b32 v39, v[22:23], off offset:1536
	;; [unrolled: 1-line block ×5, first 2 shown]
	s_waitcnt lgkmcnt(0)
	v_lshrrev_b32_e32 v36, 16, v35
	v_and_b32_e32 v35, 0xffff, v35
	;;#ASMSTART
	v_cvt_f32_f16 v23, v35;
	;;#ASMEND
	;;#ASMSTART
	v_cvt_f32_f16 v35, v36;
	;;#ASMEND
	s_waitcnt vmcnt(15)
	v_lshrrev_b32_e32 v37, 16, v24
	v_and_b32_e32 v24, 0xffff, v24
	;;#ASMSTART
	v_cvt_f32_f16 v24, v24;
	;;#ASMEND
	;;#ASMSTART
	v_cvt_f32_f16 v36, v37;
	;;#ASMEND
	ds_load_b32 v37, v8 offset:4
	s_waitcnt vmcnt(14)
	v_and_b32_e32 v43, 0xffff, v25
	v_lshrrev_b32_e32 v25, 16, v25
	s_waitcnt vmcnt(13)
	v_and_b32_e32 v46, 0xffff, v26
	v_lshrrev_b32_e32 v26, 16, v26
	;; [unrolled: 3-line block ×9, first 2 shown]
	s_waitcnt vmcnt(5)
	v_and_b32_e32 v70, 0xffff, v34
	s_waitcnt lgkmcnt(0)
	v_and_b32_e32 v42, 0xffff, v37
	v_lshrrev_b32_e32 v37, 16, v37
	;;#ASMSTART
	v_cvt_f32_f16 v42, v42;
	;;#ASMEND
	;;#ASMSTART
	v_cvt_f32_f16 v37, v37;
	;;#ASMEND
	;; [unrolled: 3-line block ×4, first 2 shown]
	ds_load_b32 v44, v8 offset:8
	v_mul_f32_e32 v25, v37, v25
	v_lshrrev_b32_e32 v34, 16, v34
	s_waitcnt vmcnt(4)
	v_and_b32_e32 v73, 0xffff, v38
	v_lshrrev_b32_e32 v38, 16, v38
	v_dual_mul_f32 v42, v42, v43 :: v_dual_fmac_f32 v25, v35, v36
	s_delay_alu instid0(VALU_DEP_1)
	v_fmac_f32_e32 v42, v23, v24
	s_waitcnt vmcnt(2)
	v_lshrrev_b32_e32 v23, 16, v40
	s_waitcnt lgkmcnt(0)
	v_and_b32_e32 v45, 0xffff, v44
	v_lshrrev_b32_e32 v44, 16, v44
	;;#ASMSTART
	v_cvt_f32_f16 v45, v45;
	;;#ASMEND
	;;#ASMSTART
	v_cvt_f32_f16 v44, v44;
	;;#ASMEND
	;; [unrolled: 3-line block ×4, first 2 shown]
	ds_load_b32 v47, v8 offset:12
	v_fmac_f32_e32 v42, v45, v46
	s_waitcnt lgkmcnt(0)
	v_dual_fmac_f32 v25, v44, v26 :: v_dual_and_b32 v48, 0xffff, v47
	v_lshrrev_b32_e32 v47, 16, v47
	;;#ASMSTART
	v_cvt_f32_f16 v48, v48;
	;;#ASMEND
	;;#ASMSTART
	v_cvt_f32_f16 v47, v47;
	;;#ASMEND
	;;#ASMSTART
	v_cvt_f32_f16 v49, v49;
	;;#ASMEND
	;;#ASMSTART
	v_cvt_f32_f16 v27, v27;
	;;#ASMEND
	ds_load_b32 v50, v8 offset:16
	v_dual_fmac_f32 v25, v47, v27 :: v_dual_fmac_f32 v42, v48, v49
	v_and_b32_e32 v27, 0xffff, v40
	s_waitcnt lgkmcnt(0)
	v_and_b32_e32 v51, 0xffff, v50
	v_lshrrev_b32_e32 v50, 16, v50
	;;#ASMSTART
	v_cvt_f32_f16 v51, v51;
	;;#ASMEND
	;;#ASMSTART
	v_cvt_f32_f16 v50, v50;
	;;#ASMEND
	;; [unrolled: 3-line block ×4, first 2 shown]
	ds_load_b32 v53, v8 offset:20
	v_fmac_f32_e32 v25, v50, v28
	v_fmac_f32_e32 v42, v51, v52
	s_waitcnt lgkmcnt(0)
	v_and_b32_e32 v54, 0xffff, v53
	v_lshrrev_b32_e32 v53, 16, v53
	;;#ASMSTART
	v_cvt_f32_f16 v54, v54;
	;;#ASMEND
	;;#ASMSTART
	v_cvt_f32_f16 v53, v53;
	;;#ASMEND
	;; [unrolled: 3-line block ×4, first 2 shown]
	ds_load_b32 v56, v8 offset:24
	v_dual_fmac_f32 v42, v54, v55 :: v_dual_fmac_f32 v25, v53, v29
	s_waitcnt vmcnt(1)
	v_lshrrev_b32_e32 v29, 16, v41
	s_waitcnt lgkmcnt(0)
	v_and_b32_e32 v57, 0xffff, v56
	v_lshrrev_b32_e32 v56, 16, v56
	;;#ASMSTART
	v_cvt_f32_f16 v57, v57;
	;;#ASMEND
	;;#ASMSTART
	v_cvt_f32_f16 v56, v56;
	;;#ASMEND
	;; [unrolled: 3-line block ×4, first 2 shown]
	ds_load_b32 v59, v8 offset:28
	v_fmac_f32_e32 v25, v56, v30
	v_fmac_f32_e32 v42, v57, v58
	s_waitcnt lgkmcnt(0)
	v_and_b32_e32 v60, 0xffff, v59
	v_lshrrev_b32_e32 v59, 16, v59
	;;#ASMSTART
	v_cvt_f32_f16 v60, v60;
	;;#ASMEND
	;;#ASMSTART
	v_cvt_f32_f16 v59, v59;
	;;#ASMEND
	;; [unrolled: 3-line block ×4, first 2 shown]
	ds_load_b32 v62, v8 offset:32
	v_dual_fmac_f32 v42, v60, v61 :: v_dual_fmac_f32 v25, v59, v31
	s_waitcnt lgkmcnt(0)
	v_and_b32_e32 v63, 0xffff, v62
	v_lshrrev_b32_e32 v62, 16, v62
	;;#ASMSTART
	v_cvt_f32_f16 v63, v63;
	;;#ASMEND
	;;#ASMSTART
	v_cvt_f32_f16 v62, v62;
	;;#ASMEND
	;; [unrolled: 3-line block ×4, first 2 shown]
	ds_load_b32 v65, v8 offset:36
	v_fmac_f32_e32 v25, v62, v32
	v_fmac_f32_e32 v42, v63, v64
	s_waitcnt lgkmcnt(0)
	v_and_b32_e32 v66, 0xffff, v65
	v_lshrrev_b32_e32 v65, 16, v65
	;;#ASMSTART
	v_cvt_f32_f16 v66, v66;
	;;#ASMEND
	;;#ASMSTART
	v_cvt_f32_f16 v65, v65;
	;;#ASMEND
	;;#ASMSTART
	v_cvt_f32_f16 v67, v67;
	;;#ASMEND
	;;#ASMSTART
	v_cvt_f32_f16 v33, v33;
	;;#ASMEND
	ds_load_b32 v68, v8 offset:40
	v_dual_fmac_f32 v42, v66, v67 :: v_dual_fmac_f32 v25, v65, v33
	v_cndmask_b32_e64 v33, v3, v14, s1
	v_cmp_gt_i32_e64 s1, 32, v15
	s_waitcnt lgkmcnt(0)
	v_and_b32_e32 v69, 0xffff, v68
	v_lshrrev_b32_e32 v68, 16, v68
	;;#ASMSTART
	v_cvt_f32_f16 v69, v69;
	;;#ASMEND
	;;#ASMSTART
	v_cvt_f32_f16 v68, v68;
	;;#ASMEND
	;; [unrolled: 3-line block ×4, first 2 shown]
	ds_load_b32 v71, v8 offset:44
	v_fmac_f32_e32 v25, v68, v34
	v_fmac_f32_e32 v42, v69, v70
	s_waitcnt vmcnt(0)
	v_lshrrev_b32_e32 v34, 16, v22
	v_and_b32_e32 v22, 0xffff, v22
	s_waitcnt lgkmcnt(0)
	v_and_b32_e32 v72, 0xffff, v71
	v_lshrrev_b32_e32 v71, 16, v71
	;;#ASMSTART
	v_cvt_f32_f16 v72, v72;
	;;#ASMEND
	;;#ASMSTART
	v_cvt_f32_f16 v71, v71;
	;;#ASMEND
	;; [unrolled: 3-line block ×4, first 2 shown]
	ds_load_b32 v74, v8 offset:48
	v_dual_fmac_f32 v25, v71, v38 :: v_dual_and_b32 v76, 0xffff, v39
	v_lshrrev_b32_e32 v39, 16, v39
	s_waitcnt lgkmcnt(0)
	v_dual_fmac_f32 v42, v72, v73 :: v_dual_and_b32 v75, 0xffff, v74
	v_lshrrev_b32_e32 v74, 16, v74
	;;#ASMSTART
	v_cvt_f32_f16 v75, v75;
	;;#ASMEND
	;;#ASMSTART
	v_cvt_f32_f16 v74, v74;
	;;#ASMEND
	;; [unrolled: 3-line block ×4, first 2 shown]
	ds_load_b32 v77, v8 offset:52
	v_dual_fmac_f32 v25, v74, v39 :: v_dual_fmac_f32 v42, v75, v76
	s_waitcnt lgkmcnt(0)
	v_and_b32_e32 v24, 0xffff, v77
	v_lshrrev_b32_e32 v26, 16, v77
	;;#ASMSTART
	v_cvt_f32_f16 v24, v24;
	;;#ASMEND
	;;#ASMSTART
	v_cvt_f32_f16 v26, v26;
	;;#ASMEND
	;; [unrolled: 3-line block ×4, first 2 shown]
	v_fmac_f32_e32 v25, v26, v23
	ds_load_b32 v28, v8 offset:56
	v_dual_fmac_f32 v42, v24, v27 :: v_dual_and_b32 v31, 0xffff, v41
	s_waitcnt lgkmcnt(0)
	v_and_b32_e32 v30, 0xffff, v28
	v_lshrrev_b32_e32 v28, 16, v28
	;;#ASMSTART
	v_cvt_f32_f16 v30, v30;
	;;#ASMEND
	;;#ASMSTART
	v_cvt_f32_f16 v28, v28;
	;;#ASMEND
	;; [unrolled: 3-line block ×4, first 2 shown]
	v_fmac_f32_e32 v25, v28, v29
	ds_load_b32 v32, v8 offset:60
	s_waitcnt lgkmcnt(0)
	v_dual_fmac_f32 v42, v30, v31 :: v_dual_and_b32 v23, 0xffff, v32
	v_lshrrev_b32_e32 v24, 16, v32
	;;#ASMSTART
	v_cvt_f32_f16 v23, v23;
	;;#ASMEND
	;;#ASMSTART
	v_cvt_f32_f16 v24, v24;
	;;#ASMEND
	;; [unrolled: 3-line block ×4, first 2 shown]
	v_fmac_f32_e32 v25, v24, v26
	v_cndmask_b32_e64 v24, v3, v15, s1
	v_fmac_f32_e32 v42, v23, v22
	v_lshlrev_b32_e32 v22, 2, v33
	s_delay_alu instid0(VALU_DEP_2)
	v_add_f32_e32 v23, v42, v25
	ds_bpermute_b32 v22, v22, v23
	s_waitcnt lgkmcnt(0)
	v_dual_add_f32 v22, v23, v22 :: v_dual_lshlrev_b32 v23, 2, v24
	ds_bpermute_b32 v23, v23, v22
	s_and_saveexec_b32 s45, vcc_lo
	s_cbranch_execz .LBB77_11
; %bb.17:                               ;   in Loop: Header=BB77_13 Depth=1
	s_waitcnt lgkmcnt(0)
	v_add_f32_e32 v22, v22, v23
	v_add_nc_u32_e32 v24, v16, v9
	s_delay_alu instid0(VALU_DEP_1) | instskip(NEXT) | instid1(VALU_DEP_1)
	v_cvt_f32_i32_e32 v24, v24
	v_mul_f32_e32 v24, s39, v24
	s_delay_alu instid0(VALU_DEP_1) | instskip(NEXT) | instid1(VALU_DEP_1)
	v_cndmask_b32_e64 v23, 0, v24, s0
	v_dual_max_f32 v24, v4, v4 :: v_dual_fmac_f32 v23, s35, v22
	v_add_nc_u32_e32 v22, v7, v9
	s_delay_alu instid0(VALU_DEP_2) | instskip(NEXT) | instid1(VALU_DEP_2)
	v_max_f32_e32 v24, v24, v23
	v_cmp_gt_i32_e64 s1, s33, v22
	s_delay_alu instid0(VALU_DEP_1) | instskip(NEXT) | instid1(VALU_DEP_3)
	v_cndmask_b32_e64 v22, 0, v23, s1
	v_cndmask_b32_e64 v4, v4, v24, s1
	ds_store_b32 v17, v22
	s_branch .LBB77_11
.LBB77_18:
	s_or_b32 exec_lo, exec_lo, s43
.LBB77_19:
	s_delay_alu instid0(SALU_CYCLE_1) | instskip(SKIP_4) | instid1(VALU_DEP_4)
	s_or_b32 exec_lo, exec_lo, s41
	v_xor_b32_e32 v1, 16, v3
	v_xor_b32_e32 v7, 8, v3
	v_and_b32_e32 v13, 31, v0
	v_max_f32_e32 v8, v4, v4
	v_cmp_gt_i32_e32 vcc_lo, 32, v1
	v_cndmask_b32_e32 v1, v3, v1, vcc_lo
	v_cmp_gt_i32_e32 vcc_lo, 32, v7
	s_delay_alu instid0(VALU_DEP_2) | instskip(SKIP_3) | instid1(VALU_DEP_1)
	v_lshlrev_b32_e32 v2, 2, v1
	ds_bpermute_b32 v1, v2, v4
	s_waitcnt lgkmcnt(0)
	v_dual_cndmask_b32 v4, v3, v7 :: v_dual_max_f32 v1, v1, v1
	v_dual_max_f32 v1, v8, v1 :: v_dual_lshlrev_b32 v4, 2, v4
	v_xor_b32_e32 v8, 4, v3
	ds_bpermute_b32 v7, v4, v1
	v_cmp_gt_i32_e32 vcc_lo, 32, v8
	s_waitcnt lgkmcnt(0)
	v_max_f32_e32 v7, v7, v7
	v_cndmask_b32_e32 v8, v3, v8, vcc_lo
	v_cmp_eq_u32_e32 vcc_lo, 0, v13
	s_delay_alu instid0(VALU_DEP_3) | instskip(NEXT) | instid1(VALU_DEP_3)
	v_max_f32_e32 v1, v1, v7
	v_lshlrev_b32_e32 v9, 2, v8
	v_lshlrev_b32_e32 v7, 2, v11
	ds_bpermute_b32 v8, v9, v1
	s_and_saveexec_b32 s0, vcc_lo
	s_cbranch_execz .LBB77_21
; %bb.20:
	s_waitcnt lgkmcnt(0)
	v_dual_max_f32 v8, v8, v8 :: v_dual_max_f32 v1, v1, v1
	s_delay_alu instid0(VALU_DEP_1)
	v_max_f32_e32 v1, v1, v8
	ds_store_b32 v7, v1 offset:256
.LBB77_21:
	s_or_b32 exec_lo, exec_lo, s0
	v_cmp_gt_u32_e64 s0, 4, v13
	s_waitcnt lgkmcnt(0)
	v_dual_mov_b32 v1, 0xff7fffff :: v_dual_lshlrev_b32 v8, 2, v13
	s_barrier
	buffer_gl0_inv
	s_and_saveexec_b32 s1, s0
	s_cbranch_execz .LBB77_23
; %bb.22:
	ds_load_b32 v1, v8 offset:256
.LBB77_23:
	s_or_b32 exec_lo, exec_lo, s1
	v_xor_b32_e32 v14, 2, v3
	v_xor_b32_e32 v16, 1, v3
	s_delay_alu instid0(VALU_DEP_2) | instskip(NEXT) | instid1(VALU_DEP_1)
	v_cmp_gt_i32_e64 s1, 32, v14
	v_cndmask_b32_e64 v14, v3, v14, s1
	s_delay_alu instid0(VALU_DEP_3) | instskip(NEXT) | instid1(VALU_DEP_2)
	v_cmp_gt_i32_e64 s1, 32, v16
	v_lshlrev_b32_e32 v14, 2, v14
	s_delay_alu instid0(VALU_DEP_2) | instskip(SKIP_1) | instid1(SALU_CYCLE_1)
	v_cndmask_b32_e64 v3, v3, v16, s1
	s_sub_i32 s1, s34, s40
	s_lshl_b32 s1, s1, 3
	s_waitcnt lgkmcnt(0)
	ds_bpermute_b32 v15, v14, v1
	v_max_f32_e32 v1, v1, v1
	s_add_i32 s1, s1, s15
	s_delay_alu instid0(SALU_CYCLE_1) | instskip(NEXT) | instid1(SALU_CYCLE_1)
	s_min_i32 s1, s1, s33
	s_sub_i32 s7, s1, s15
	s_delay_alu instid0(SALU_CYCLE_1) | instskip(SKIP_3) | instid1(VALU_DEP_2)
	v_cmp_gt_i32_e64 s1, s7, v0
	s_waitcnt lgkmcnt(0)
	v_max_f32_e32 v16, v15, v15
	v_lshlrev_b32_e32 v15, 2, v3
	v_dual_max_f32 v1, v1, v16 :: v_dual_mov_b32 v16, 0
	ds_bpermute_b32 v3, v15, v1
	s_waitcnt lgkmcnt(0)
	v_max_f32_e32 v3, v3, v3
	s_delay_alu instid0(VALU_DEP_1)
	v_max_f32_e32 v1, v1, v3
	v_lshl_add_u32 v3, v0, 2, 0x120
	ds_bpermute_b32 v1, v16, v1
	s_and_saveexec_b32 s15, s1
	s_cbranch_execz .LBB77_27
; %bb.24:
	v_lshl_add_u32 v17, v0, 2, 0x120
	v_mov_b32_e32 v16, 0
	v_mov_b32_e32 v18, v0
	s_mov_b32 s35, 0
	.p2align	6
.LBB77_25:                              ; =>This Inner Loop Header: Depth=1
	ds_load_b32 v19, v17
	v_add_nc_u32_e32 v18, 0x80, v18
	s_delay_alu instid0(VALU_DEP_1) | instskip(NEXT) | instid1(VALU_DEP_1)
	v_cmp_le_i32_e64 s4, s7, v18
	s_or_b32 s35, s4, s35
	s_waitcnt lgkmcnt(0)
	v_sub_f32_e32 v19, v19, v1
	s_delay_alu instid0(VALU_DEP_1) | instskip(NEXT) | instid1(VALU_DEP_1)
	v_mul_f32_e32 v19, 0x3fb8aa3b, v19
	v_exp_f32_e32 v19, v19
	ds_store_b32 v17, v19
	v_dual_add_f32 v16, v16, v19 :: v_dual_add_nc_u32 v17, 0x200, v17
	s_and_not1_b32 exec_lo, exec_lo, s35
	s_cbranch_execnz .LBB77_25
; %bb.26:
	s_or_b32 exec_lo, exec_lo, s35
.LBB77_27:
	s_delay_alu instid0(SALU_CYCLE_1)
	s_or_b32 exec_lo, exec_lo, s15
	ds_bpermute_b32 v2, v2, v16
	s_waitcnt lgkmcnt(0)
	v_add_f32_e32 v2, v16, v2
	ds_bpermute_b32 v4, v4, v2
	s_waitcnt lgkmcnt(0)
	v_add_f32_e32 v2, v2, v4
	;; [unrolled: 3-line block ×5, first 2 shown]
	s_and_saveexec_b32 s4, vcc_lo
	s_cbranch_execz .LBB77_29
; %bb.28:
	ds_store_b32 v7, v2 offset:272
.LBB77_29:
	s_or_b32 exec_lo, exec_lo, s4
	s_waitcnt lgkmcnt(0)
	s_barrier
	buffer_gl0_inv
	s_and_saveexec_b32 s4, s0
	s_cbranch_execz .LBB77_31
; %bb.30:
	ds_load_b32 v2, v8 offset:272
.LBB77_31:
	s_or_b32 exec_lo, exec_lo, s4
	s_waitcnt lgkmcnt(0)
	ds_bpermute_b32 v4, v14, v2
	s_waitcnt lgkmcnt(0)
	v_add_f32_e32 v2, v2, v4
	ds_bpermute_b32 v4, v15, v2
	s_waitcnt lgkmcnt(0)
	v_add_f32_e32 v2, v2, v4
	v_mov_b32_e32 v4, 0
	ds_bpermute_b32 v2, v4, v2
	s_and_saveexec_b32 s0, s1
	s_cbranch_execz .LBB77_34
; %bb.32:
	s_waitcnt lgkmcnt(0)
	v_add_f32_e32 v4, 0x358637bd, v2
	s_mov_b32 s1, 0
	s_delay_alu instid0(VALU_DEP_1) | instskip(SKIP_1) | instid1(VALU_DEP_2)
	v_div_scale_f32 v7, null, v4, v4, 1.0
	v_div_scale_f32 v14, vcc_lo, 1.0, v4, 1.0
	v_rcp_f32_e32 v8, v7
	s_waitcnt_depctr 0xfff
	v_fma_f32 v9, -v7, v8, 1.0
	s_delay_alu instid0(VALU_DEP_1) | instskip(NEXT) | instid1(VALU_DEP_1)
	v_fmac_f32_e32 v8, v9, v8
	v_mul_f32_e32 v9, v14, v8
	s_delay_alu instid0(VALU_DEP_1) | instskip(NEXT) | instid1(VALU_DEP_1)
	v_fma_f32 v15, -v7, v9, v14
	v_fmac_f32_e32 v9, v15, v8
	s_delay_alu instid0(VALU_DEP_1) | instskip(NEXT) | instid1(VALU_DEP_1)
	v_fma_f32 v7, -v7, v9, v14
	v_div_fmas_f32 v7, v7, v8, v9
	s_delay_alu instid0(VALU_DEP_1)
	v_div_fixup_f32 v4, v7, v4, 1.0
	v_mov_b32_e32 v7, v0
.LBB77_33:                              ; =>This Inner Loop Header: Depth=1
	ds_load_b32 v8, v3
	s_waitcnt lgkmcnt(0)
	v_dual_mul_f32 v8, v4, v8 :: v_dual_add_nc_u32 v7, 0x80, v7
	s_delay_alu instid0(VALU_DEP_1) | instskip(SKIP_3) | instid1(SALU_CYCLE_1)
	v_cmp_le_i32_e32 vcc_lo, s7, v7
	ds_store_b32 v3, v8
	v_add_nc_u32_e32 v3, 0x200, v3
	s_or_b32 s1, vcc_lo, s1
	s_and_not1_b32 exec_lo, exec_lo, s1
	s_cbranch_execnz .LBB77_33
.LBB77_34:
	s_or_b32 exec_lo, exec_lo, s0
	s_mul_i32 s0, s8, s14
	s_waitcnt lgkmcnt(0)
	s_mul_i32 s14, s0, s13
	s_mov_b32 s0, exec_lo
	s_barrier
	buffer_gl0_inv
	v_cmpx_eq_u32_e32 0, v0
	s_cbranch_execz .LBB77_36
; %bb.35:
	s_ashr_i32 s15, s14, 31
	s_mul_i32 s42, s8, s24
	s_lshl_b64 s[40:41], s[14:15], 2
	v_mov_b32_e32 v3, 0
	s_add_u32 s1, s18, s40
	s_addc_u32 s4, s19, s41
	s_ashr_i32 s43, s42, 31
	s_delay_alu instid0(SALU_CYCLE_1) | instskip(NEXT) | instid1(SALU_CYCLE_1)
	s_lshl_b64 s[18:19], s[42:43], 2
	s_add_u32 s1, s1, s18
	s_addc_u32 s4, s4, s19
	s_ashr_i32 s13, s12, 31
	s_delay_alu instid0(SALU_CYCLE_1) | instskip(NEXT) | instid1(SALU_CYCLE_1)
	s_lshl_b64 s[42:43], s[12:13], 2
	s_add_u32 s44, s1, s42
	s_addc_u32 s45, s4, s43
	s_add_u32 s1, s16, s40
	s_addc_u32 s4, s17, s41
	;; [unrolled: 2-line block ×4, first 2 shown]
	s_clause 0x1
	global_store_b32 v3, v1, s[44:45]
	global_store_b32 v3, v2, s[16:17]
.LBB77_36:
	s_or_b32 exec_lo, exec_lo, s0
	v_dual_mov_b32 v17, 0 :: v_dual_mov_b32 v16, 0
	v_dual_mov_b32 v15, 0 :: v_dual_mov_b32 v14, 0
	s_mov_b32 s4, 0
	s_and_saveexec_b32 s1, s3
	s_cbranch_execz .LBB77_50
; %bb.37:
	s_ashr_i32 s7, s6, 31
	s_sub_i32 s3, s38, s9
	s_lshl_b64 s[6:7], s[6:7], 1
	v_dual_mov_b32 v15, 0 :: v_dual_lshlrev_b32 v4, 4, v13
	s_add_u32 s0, s30, s6
	s_addc_u32 s15, s31, s7
	s_abs_i32 s6, s10
	s_delay_alu instid0(VALU_DEP_1) | instskip(SKIP_4) | instid1(VALU_DEP_2)
	v_add_co_u32 v19, s0, s0, v4
	v_cvt_f32_u32_e32 v1, s6
	s_sub_i32 s16, 0, s6
	s_add_i32 s37, s37, -1
	v_add_co_ci_u32_e64 v20, null, s15, 0, s0
	v_rcp_iflag_f32_e32 v1, v1
	v_lshl_add_u32 v18, v11, 5, 0x120
	v_mov_b32_e32 v17, 0
	s_mov_b32 s7, s33
	s_mov_b32 s9, s33
	;; [unrolled: 1-line block ×4, first 2 shown]
	s_waitcnt_depctr 0xfff
	v_dual_mov_b32 v14, 0 :: v_dual_mul_f32 v1, 0x4f7ffffe, v1
	s_delay_alu instid0(VALU_DEP_1) | instskip(SKIP_1) | instid1(VALU_DEP_2)
	v_cvt_u32_f32_e32 v3, v1
	v_lshlrev_b64 v[1:2], 2, v[5:6]
	v_mul_lo_u32 v7, s16, v3
	s_lshl_b64 s[16:17], s[28:29], 2
	s_delay_alu instid0(SALU_CYCLE_1) | instskip(SKIP_1) | instid1(VALU_DEP_2)
	s_add_u32 s0, s26, s16
	s_addc_u32 s15, s27, s17
	v_add_co_u32 v6, vcc_lo, s0, v1
	s_mov_b32 s16, s33
	s_delay_alu instid0(VALU_DEP_2) | instskip(SKIP_4) | instid1(VALU_DEP_3)
	v_mul_hi_u32 v8, v3, v7
	v_mov_b32_e32 v16, 0
	v_add_co_ci_u32_e32 v7, vcc_lo, s15, v2, vcc_lo
	s_mov_b32 s15, s33
	s_mov_b32 s17, s33
	v_add_nc_u32_e32 v21, v3, v8
	s_branch .LBB77_40
.LBB77_38:                              ;   in Loop: Header=BB77_40 Depth=1
	s_or_b32 exec_lo, exec_lo, s0
	s_waitcnt vmcnt(0)
	;;#ASMSTART
	v_pk_mul_f16 v1, v34, v1;

	;;#ASMEND
	;;#ASMSTART
	v_pk_mul_f16 v2, v33, v2;

	;;#ASMEND
	;; [unrolled: 4-line block ×4, first 2 shown]
	;;#ASMSTART
	v_pk_add_f16 v1, v1, v2;

	;;#ASMEND
	;;#ASMSTART
	v_pk_add_f16 v1, v1, v3;

	;;#ASMEND
	;; [unrolled: 4-line block ×3, first 2 shown]
	v_dual_add_f32 v3, v37, v38 :: v_dual_and_b32 v2, 0xffff, v1
	v_lshrrev_b32_e32 v1, 16, v1
	;;#ASMSTART
	v_cvt_f32_f16 v2, v2;
	;;#ASMEND
	;;#ASMSTART
	v_cvt_f32_f16 v1, v1;
	;;#ASMEND
	s_delay_alu instid0(VALU_DEP_1) | instskip(SKIP_1) | instid1(VALU_DEP_2)
	v_dual_add_f32 v4, v35, v36 :: v_dual_add_f32 v1, v2, v1
	v_add_f32_e32 v8, v29, v31
	v_dual_add_f32 v15, v15, v3 :: v_dual_add_f32 v16, v16, v4
	s_delay_alu instid0(VALU_DEP_2)
	v_dual_add_f32 v17, v17, v1 :: v_dual_add_f32 v14, v14, v8
.LBB77_39:                              ;   in Loop: Header=BB77_40 Depth=1
	s_or_b32 exec_lo, exec_lo, s18
	v_add_nc_u32_e32 v5, 4, v5
	v_add_co_u32 v6, s0, v6, 16
	s_delay_alu instid0(VALU_DEP_1) | instskip(NEXT) | instid1(VALU_DEP_3)
	v_add_co_ci_u32_e64 v7, s0, 0, v7, s0
	v_cmp_le_i32_e32 vcc_lo, s34, v5
	v_add_nc_u32_e32 v12, 32, v12
	v_add_nc_u32_e32 v18, 0x80, v18
	s_or_b32 s4, vcc_lo, s4
	s_delay_alu instid0(SALU_CYCLE_1)
	s_and_not1_b32 exec_lo, exec_lo, s4
	s_cbranch_execz .LBB77_49
.LBB77_40:                              ; =>This Inner Loop Header: Depth=1
	v_sub_nc_u32_e32 v1, 0, v12
	s_delay_alu instid0(VALU_DEP_1) | instskip(NEXT) | instid1(VALU_DEP_1)
	v_max_i32_e32 v1, v12, v1
	v_mul_hi_u32 v2, v1, s25
	s_delay_alu instid0(VALU_DEP_1) | instskip(NEXT) | instid1(VALU_DEP_1)
	v_mul_lo_u32 v3, v2, s21
	v_sub_nc_u32_e32 v1, v1, v3
	v_add_nc_u32_e32 v3, 1, v2
	s_delay_alu instid0(VALU_DEP_2) | instskip(SKIP_1) | instid1(VALU_DEP_2)
	v_subrev_nc_u32_e32 v4, s21, v1
	v_cmp_le_u32_e32 vcc_lo, s21, v1
	v_dual_cndmask_b32 v2, v2, v3 :: v_dual_cndmask_b32 v1, v1, v4
	v_ashrrev_i32_e32 v3, 31, v12
	s_delay_alu instid0(VALU_DEP_2) | instskip(NEXT) | instid1(VALU_DEP_3)
	v_add_nc_u32_e32 v4, 1, v2
	v_cmp_le_u32_e32 vcc_lo, s21, v1
	s_delay_alu instid0(VALU_DEP_3) | instskip(NEXT) | instid1(VALU_DEP_3)
	v_xor_b32_e32 v3, s11, v3
	v_cndmask_b32_e32 v1, v2, v4, vcc_lo
	s_delay_alu instid0(VALU_DEP_1) | instskip(NEXT) | instid1(VALU_DEP_1)
	v_xor_b32_e32 v1, v1, v3
	v_sub_nc_u32_e32 v1, v1, v3
	s_delay_alu instid0(VALU_DEP_1) | instskip(SKIP_1) | instid1(VALU_DEP_2)
	v_add_nc_u32_e32 v2, s36, v1
	v_cmp_lt_i32_e64 s0, s3, v1
	v_sub_nc_u32_e32 v3, 0, v2
	s_delay_alu instid0(VALU_DEP_1) | instskip(NEXT) | instid1(VALU_DEP_1)
	v_max_i32_e32 v3, v2, v3
	v_mul_hi_u32 v4, v3, v21
	s_delay_alu instid0(VALU_DEP_1) | instskip(NEXT) | instid1(VALU_DEP_1)
	v_mul_lo_u32 v4, v4, s6
	v_sub_nc_u32_e32 v3, v3, v4
	s_delay_alu instid0(VALU_DEP_1) | instskip(SKIP_1) | instid1(VALU_DEP_2)
	v_subrev_nc_u32_e32 v4, s6, v3
	v_cmp_le_u32_e32 vcc_lo, s6, v3
	v_cndmask_b32_e32 v3, v3, v4, vcc_lo
	v_ashrrev_i32_e32 v2, 31, v2
	s_delay_alu instid0(VALU_DEP_2) | instskip(SKIP_1) | instid1(VALU_DEP_2)
	v_subrev_nc_u32_e32 v4, s6, v3
	v_cmp_le_u32_e32 vcc_lo, s6, v3
	v_cndmask_b32_e32 v3, v3, v4, vcc_lo
	s_delay_alu instid0(VALU_DEP_1) | instskip(NEXT) | instid1(VALU_DEP_1)
	v_xor_b32_e32 v3, v3, v2
	v_sub_nc_u32_e32 v2, v3, v2
	s_delay_alu instid0(VALU_DEP_1) | instskip(SKIP_1) | instid1(SALU_CYCLE_1)
	v_cmp_eq_u32_e32 vcc_lo, 0, v2
	s_or_b32 s0, vcc_lo, s0
	s_and_saveexec_b32 s18, s0
	s_cbranch_execz .LBB77_39
; %bb.41:                               ;   in Loop: Header=BB77_40 Depth=1
	global_load_b32 v26, v[6:7], off
	ds_load_2addr_b64 v[1:4], v18 offset1:1
	ds_load_2addr_b64 v[22:25], v18 offset0:2 offset1:3
	v_or_b32_e32 v27, 7, v12
	v_or_b32_e32 v28, 6, v12
	s_waitcnt lgkmcnt(1)
	;;#ASMSTART
	v_cvt_f16_f32 v32, v1;

	;;#ASMEND
	;;#ASMSTART
	v_cvt_f16_f32 v29, v2;

	;;#ASMEND
	;; [unrolled: 4-line block ×4, first 2 shown]
	s_waitcnt lgkmcnt(0)
	;;#ASMSTART
	v_cvt_f16_f32 v34, v22;

	;;#ASMEND
	;;#ASMSTART
	v_cvt_f16_f32 v31, v23;

	;;#ASMEND
	;; [unrolled: 4-line block ×4, first 2 shown]
	v_add_nc_u32_e32 v22, 1, v12
	v_or_b32_e32 v24, 3, v12
	v_or_b32_e32 v23, 2, v12
	v_or_b32_e32 v25, 4, v12
	s_waitcnt vmcnt(0)
	v_mad_i64_i32 v[8:9], null, v26, s5, 0
	v_or_b32_e32 v26, 5, v12
	s_delay_alu instid0(VALU_DEP_2) | instskip(NEXT) | instid1(VALU_DEP_1)
	v_lshlrev_b64 v[8:9], 1, v[8:9]
	v_add_co_u32 v8, vcc_lo, v19, v8
	s_delay_alu instid0(VALU_DEP_2)
	v_add_co_ci_u32_e32 v9, vcc_lo, v20, v9, vcc_lo
	v_cmp_eq_u32_e32 vcc_lo, s37, v5
	global_load_b128 v[1:4], v[8:9], off
	s_and_saveexec_b32 s19, vcc_lo
	s_cbranch_execz .LBB77_43
; %bb.42:                               ;   in Loop: Header=BB77_40 Depth=1
	v_cmp_gt_i32_e64 s0, s16, v28
	s_waitcnt vmcnt(0)
	v_lshrrev_b32_e32 v37, 16, v4
	v_lshrrev_b32_e32 v38, 16, v3
	;; [unrolled: 1-line block ×4, first 2 shown]
	v_cndmask_b32_e64 v4, 0, v4, s0
	v_cmp_gt_i32_e64 s0, s17, v27
	s_delay_alu instid0(VALU_DEP_1) | instskip(SKIP_1) | instid1(VALU_DEP_2)
	v_cndmask_b32_e64 v37, 0, v37, s0
	v_cmp_gt_i32_e64 s0, s15, v26
	v_perm_b32 v4, v37, v4, 0x5040100
	s_delay_alu instid0(VALU_DEP_2) | instskip(SKIP_1) | instid1(VALU_DEP_1)
	v_cndmask_b32_e64 v38, 0, v38, s0
	v_cmp_gt_i32_e64 s0, s13, v25
	v_cndmask_b32_e64 v3, 0, v3, s0
	v_cmp_gt_i32_e64 s0, s10, v24
	s_delay_alu instid0(VALU_DEP_2) | instskip(NEXT) | instid1(VALU_DEP_2)
	v_perm_b32 v3, v38, v3, 0x5040100
	v_cndmask_b32_e64 v39, 0, v39, s0
	v_cmp_gt_i32_e64 s0, s9, v23
	s_delay_alu instid0(VALU_DEP_1) | instskip(SKIP_1) | instid1(VALU_DEP_2)
	v_cndmask_b32_e64 v2, 0, v2, s0
	v_cmp_gt_i32_e64 s0, s7, v22
	v_perm_b32 v2, v39, v2, 0x5040100
	s_delay_alu instid0(VALU_DEP_2) | instskip(SKIP_1) | instid1(VALU_DEP_1)
	v_cndmask_b32_e64 v40, 0, v40, s0
	v_cmp_gt_i32_e64 s0, s33, v12
	v_cndmask_b32_e64 v1, 0, v1, s0
	s_delay_alu instid0(VALU_DEP_1)
	v_perm_b32 v1, v40, v1, 0x5040100
.LBB77_43:                              ;   in Loop: Header=BB77_40 Depth=1
	s_or_b32 exec_lo, exec_lo, s19
	v_and_b32_e32 v32, 0xffff, v32
	v_and_b32_e32 v33, 0xffff, v33
	;; [unrolled: 1-line block ×4, first 2 shown]
	s_delay_alu instid0(VALU_DEP_4)
	v_lshl_or_b32 v34, v29, 16, v32
	s_waitcnt vmcnt(0)
	;;#ASMSTART
	v_pk_mul_f16 v1, v34, v1;

	;;#ASMEND
	v_lshl_or_b32 v33, v30, 16, v33
	v_lshl_or_b32 v32, v31, 16, v37
	;; [unrolled: 1-line block ×3, first 2 shown]
	;;#ASMSTART
	v_pk_mul_f16 v2, v33, v2;

	;;#ASMEND
	;;#ASMSTART
	v_pk_mul_f16 v3, v32, v3;

	;;#ASMEND
	;; [unrolled: 4-line block ×3, first 2 shown]
	;;#ASMSTART
	v_pk_add_f16 v1, v1, v2;

	;;#ASMEND
	;;#ASMSTART
	v_pk_add_f16 v1, v1, v3;

	;;#ASMEND
	;;#ASMSTART
	v_pk_add_f16 v1, v1, v4;

	;;#ASMEND
	v_and_b32_e32 v2, 0xffff, v1
	v_lshrrev_b32_e32 v1, 16, v1
	;;#ASMSTART
	v_cvt_f32_f16 v29, v2;
	;;#ASMEND
	;;#ASMSTART
	v_cvt_f32_f16 v31, v1;
	;;#ASMEND
	global_load_b128 v[1:4], v[8:9], off offset:512
	s_and_saveexec_b32 s19, vcc_lo
	s_cbranch_execz .LBB77_45
; %bb.44:                               ;   in Loop: Header=BB77_40 Depth=1
	v_cmp_gt_i32_e64 s0, s16, v28
	s_waitcnt vmcnt(0)
	v_lshrrev_b32_e32 v35, 16, v4
	v_lshrrev_b32_e32 v36, 16, v3
	;; [unrolled: 1-line block ×4, first 2 shown]
	v_cndmask_b32_e64 v4, 0, v4, s0
	v_cmp_gt_i32_e64 s0, s17, v27
	s_delay_alu instid0(VALU_DEP_1) | instskip(SKIP_1) | instid1(VALU_DEP_2)
	v_cndmask_b32_e64 v35, 0, v35, s0
	v_cmp_gt_i32_e64 s0, s15, v26
	v_perm_b32 v4, v35, v4, 0x5040100
	s_delay_alu instid0(VALU_DEP_2) | instskip(SKIP_1) | instid1(VALU_DEP_1)
	v_cndmask_b32_e64 v36, 0, v36, s0
	v_cmp_gt_i32_e64 s0, s13, v25
	v_cndmask_b32_e64 v3, 0, v3, s0
	v_cmp_gt_i32_e64 s0, s10, v24
	s_delay_alu instid0(VALU_DEP_2) | instskip(NEXT) | instid1(VALU_DEP_2)
	v_perm_b32 v3, v36, v3, 0x5040100
	v_cndmask_b32_e64 v37, 0, v37, s0
	v_cmp_gt_i32_e64 s0, s9, v23
	s_delay_alu instid0(VALU_DEP_1) | instskip(SKIP_1) | instid1(VALU_DEP_2)
	v_cndmask_b32_e64 v2, 0, v2, s0
	v_cmp_gt_i32_e64 s0, s7, v22
	v_perm_b32 v2, v37, v2, 0x5040100
	s_delay_alu instid0(VALU_DEP_2) | instskip(SKIP_1) | instid1(VALU_DEP_1)
	v_cndmask_b32_e64 v38, 0, v38, s0
	v_cmp_gt_i32_e64 s0, s33, v12
	v_cndmask_b32_e64 v1, 0, v1, s0
	s_delay_alu instid0(VALU_DEP_1)
	v_perm_b32 v1, v38, v1, 0x5040100
.LBB77_45:                              ;   in Loop: Header=BB77_40 Depth=1
	s_or_b32 exec_lo, exec_lo, s19
	s_waitcnt vmcnt(0)
	;;#ASMSTART
	v_pk_mul_f16 v1, v34, v1;

	;;#ASMEND
	;;#ASMSTART
	v_pk_mul_f16 v2, v33, v2;

	;;#ASMEND
	;; [unrolled: 4-line block ×4, first 2 shown]
	;;#ASMSTART
	v_pk_add_f16 v1, v1, v2;

	;;#ASMEND
	;;#ASMSTART
	v_pk_add_f16 v1, v1, v3;

	;;#ASMEND
	;; [unrolled: 4-line block ×3, first 2 shown]
	v_and_b32_e32 v2, 0xffff, v1
	v_lshrrev_b32_e32 v1, 16, v1
	;;#ASMSTART
	v_cvt_f32_f16 v35, v2;
	;;#ASMEND
	;;#ASMSTART
	v_cvt_f32_f16 v36, v1;
	;;#ASMEND
	global_load_b128 v[1:4], v[8:9], off offset:1024
	s_and_saveexec_b32 s19, vcc_lo
	s_cbranch_execz .LBB77_47
; %bb.46:                               ;   in Loop: Header=BB77_40 Depth=1
	v_cmp_gt_i32_e64 s0, s16, v28
	s_waitcnt vmcnt(0)
	v_lshrrev_b32_e32 v37, 16, v4
	v_lshrrev_b32_e32 v38, 16, v3
	;; [unrolled: 1-line block ×4, first 2 shown]
	v_cndmask_b32_e64 v4, 0, v4, s0
	v_cmp_gt_i32_e64 s0, s17, v27
	s_delay_alu instid0(VALU_DEP_1) | instskip(SKIP_1) | instid1(VALU_DEP_2)
	v_cndmask_b32_e64 v37, 0, v37, s0
	v_cmp_gt_i32_e64 s0, s15, v26
	v_perm_b32 v4, v37, v4, 0x5040100
	s_delay_alu instid0(VALU_DEP_2) | instskip(SKIP_1) | instid1(VALU_DEP_1)
	v_cndmask_b32_e64 v38, 0, v38, s0
	v_cmp_gt_i32_e64 s0, s13, v25
	v_cndmask_b32_e64 v3, 0, v3, s0
	v_cmp_gt_i32_e64 s0, s10, v24
	s_delay_alu instid0(VALU_DEP_2) | instskip(NEXT) | instid1(VALU_DEP_2)
	v_perm_b32 v3, v38, v3, 0x5040100
	v_cndmask_b32_e64 v39, 0, v39, s0
	v_cmp_gt_i32_e64 s0, s9, v23
	s_delay_alu instid0(VALU_DEP_1) | instskip(SKIP_1) | instid1(VALU_DEP_2)
	v_cndmask_b32_e64 v2, 0, v2, s0
	v_cmp_gt_i32_e64 s0, s7, v22
	v_perm_b32 v2, v39, v2, 0x5040100
	s_delay_alu instid0(VALU_DEP_2) | instskip(SKIP_1) | instid1(VALU_DEP_1)
	v_cndmask_b32_e64 v40, 0, v40, s0
	v_cmp_gt_i32_e64 s0, s33, v12
	v_cndmask_b32_e64 v1, 0, v1, s0
	s_delay_alu instid0(VALU_DEP_1)
	v_perm_b32 v1, v40, v1, 0x5040100
.LBB77_47:                              ;   in Loop: Header=BB77_40 Depth=1
	s_or_b32 exec_lo, exec_lo, s19
	s_waitcnt vmcnt(0)
	;;#ASMSTART
	v_pk_mul_f16 v1, v34, v1;

	;;#ASMEND
	;;#ASMSTART
	v_pk_mul_f16 v2, v33, v2;

	;;#ASMEND
	;; [unrolled: 4-line block ×4, first 2 shown]
	;;#ASMSTART
	v_pk_add_f16 v1, v1, v2;

	;;#ASMEND
	;;#ASMSTART
	v_pk_add_f16 v1, v1, v3;

	;;#ASMEND
	;; [unrolled: 4-line block ×3, first 2 shown]
	v_and_b32_e32 v2, 0xffff, v1
	v_lshrrev_b32_e32 v1, 16, v1
	;;#ASMSTART
	v_cvt_f32_f16 v37, v2;
	;;#ASMEND
	;;#ASMSTART
	v_cvt_f32_f16 v38, v1;
	;;#ASMEND
	global_load_b128 v[1:4], v[8:9], off offset:1536
	s_and_saveexec_b32 s0, vcc_lo
	s_cbranch_execz .LBB77_38
; %bb.48:                               ;   in Loop: Header=BB77_40 Depth=1
	v_cmp_gt_i32_e32 vcc_lo, s16, v28
	s_waitcnt vmcnt(0)
	v_lshrrev_b32_e32 v8, 16, v4
	v_lshrrev_b32_e32 v9, 16, v3
	v_cndmask_b32_e32 v4, 0, v4, vcc_lo
	v_cmp_gt_i32_e32 vcc_lo, s17, v27
	s_delay_alu instid0(VALU_DEP_4)
	v_cndmask_b32_e32 v8, 0, v8, vcc_lo
	v_cmp_gt_i32_e32 vcc_lo, s15, v26
	v_lshrrev_b32_e32 v26, 16, v2
	v_cndmask_b32_e32 v9, 0, v9, vcc_lo
	v_cmp_gt_i32_e32 vcc_lo, s13, v25
	v_lshrrev_b32_e32 v25, 16, v1
	v_cndmask_b32_e32 v3, 0, v3, vcc_lo
	v_cmp_gt_i32_e32 vcc_lo, s10, v24
	v_perm_b32 v4, v8, v4, 0x5040100
	s_delay_alu instid0(VALU_DEP_3)
	v_perm_b32 v3, v9, v3, 0x5040100
	v_cndmask_b32_e32 v24, 0, v26, vcc_lo
	v_cmp_gt_i32_e32 vcc_lo, s9, v23
	v_cndmask_b32_e32 v2, 0, v2, vcc_lo
	v_cmp_gt_i32_e32 vcc_lo, s7, v22
	;; [unrolled: 2-line block ×3, first 2 shown]
	v_cndmask_b32_e32 v1, 0, v1, vcc_lo
	v_perm_b32 v2, v24, v2, 0x5040100
	s_delay_alu instid0(VALU_DEP_2)
	v_perm_b32 v1, v22, v1, 0x5040100
	s_branch .LBB77_38
.LBB77_49:
	s_or_b32 exec_lo, exec_lo, s4
.LBB77_50:
	s_delay_alu instid0(SALU_CYCLE_1)
	s_or_b32 exec_lo, exec_lo, s1
	v_and_b32_e32 v2, 0x3c0, v0
	v_lshl_add_u32 v1, v11, 9, 0x120
	s_mov_b32 s0, exec_lo
	s_waitcnt_vscnt null, 0x0
	s_barrier
	buffer_gl0_inv
	v_cmpx_eq_u32_e32 64, v2
	s_cbranch_execz .LBB77_52
; %bb.51:
	v_add_nc_u32_e32 v2, 0xfffffc00, v1
	v_lshl_or_b32 v3, v0, 2, 0x180
	s_delay_alu instid0(VALU_DEP_2) | instskip(NEXT) | instid1(VALU_DEP_2)
	v_lshl_add_u32 v4, v13, 2, v2
	v_add_nc_u32_e32 v2, v2, v3
	ds_store_2addr_b32 v4, v14, v16 offset1:32
	ds_store_b32 v4, v15 offset:256
	ds_store_b32 v2, v17
.LBB77_52:
	s_or_b32 exec_lo, exec_lo, s0
	v_lshl_add_u32 v2, v13, 2, v1
	s_waitcnt lgkmcnt(0)
	s_barrier
	buffer_gl0_inv
	s_and_saveexec_b32 s0, s2
	s_cbranch_execz .LBB77_54
; %bb.53:
	v_or_b32_e32 v3, 0x80, v10
	v_or_b32_e32 v4, 0x180, v10
	s_delay_alu instid0(VALU_DEP_2) | instskip(NEXT) | instid1(VALU_DEP_2)
	v_add_nc_u32_e32 v5, v1, v3
	v_add_nc_u32_e32 v6, v1, v4
	ds_load_2addr_stride64_b32 v[3:4], v2 offset1:1
	ds_load_b32 v5, v5
	ds_load_b32 v6, v6
	s_waitcnt lgkmcnt(2)
	v_dual_add_f32 v14, v14, v3 :: v_dual_add_f32 v15, v15, v4
	s_waitcnt lgkmcnt(0)
	v_dual_add_f32 v16, v16, v5 :: v_dual_add_f32 v17, v17, v6
.LBB77_54:
	s_or_b32 exec_lo, exec_lo, s0
	v_and_b32_e32 v3, 0x3e0, v0
	s_mov_b32 s0, exec_lo
	s_barrier
	buffer_gl0_inv
	v_cmpx_eq_u32_e32 32, v3
	s_cbranch_execz .LBB77_56
; %bb.55:
	v_or_b32_e32 v3, 0x180, v10
	v_lshl_add_u32 v4, v13, 2, 0x120
	v_add_nc_u32_e32 v5, 0x120, v10
	s_delay_alu instid0(VALU_DEP_3)
	v_add_nc_u32_e32 v3, 0x120, v3
	ds_store_b32 v4, v14
	ds_store_b32 v5, v16
	ds_store_b32 v4, v15 offset:256
	ds_store_b32 v3, v17
.LBB77_56:
	s_or_b32 exec_lo, exec_lo, s0
	v_cmp_gt_u32_e32 vcc_lo, 32, v0
	s_waitcnt lgkmcnt(0)
	s_barrier
	buffer_gl0_inv
	s_and_saveexec_b32 s0, vcc_lo
	s_cbranch_execz .LBB77_58
; %bb.57:
	v_lshl_add_u32 v3, v0, 2, v1
	ds_load_b32 v4, v2
	ds_load_2addr_b32 v[1:2], v3 offset0:32 offset1:64
	ds_load_b32 v3, v3 offset:384
	s_waitcnt lgkmcnt(1)
	v_dual_add_f32 v14, v14, v4 :: v_dual_add_f32 v15, v15, v2
	s_waitcnt lgkmcnt(0)
	v_dual_add_f32 v16, v16, v1 :: v_dual_add_f32 v17, v17, v3
.LBB77_58:
	s_or_b32 exec_lo, exec_lo, s0
	s_barrier
	buffer_gl0_inv
	s_and_saveexec_b32 s0, vcc_lo
	s_cbranch_execz .LBB77_60
; %bb.59:
	s_lshl_b32 s0, s14, 7
	s_mul_i32 s2, s8, s20
	s_ashr_i32 s1, s0, 31
	v_lshlrev_b32_e32 v0, 1, v0
	s_lshl_b64 s[0:1], s[0:1], 1
	;;#ASMSTART
	v_cvt_f16_f32 v1, v14;

	;;#ASMEND
	s_add_u32 s4, s22, s0
	s_addc_u32 s5, s23, s1
	s_ashr_i32 s3, s2, 31
	s_delay_alu instid0(SALU_CYCLE_1) | instskip(NEXT) | instid1(SALU_CYCLE_1)
	s_lshl_b64 s[0:1], s[2:3], 1
	s_add_u32 s2, s4, s0
	s_addc_u32 s3, s5, s1
	s_lshl_b32 s0, s12, 7
	s_delay_alu instid0(SALU_CYCLE_1) | instskip(NEXT) | instid1(SALU_CYCLE_1)
	s_ashr_i32 s1, s0, 31
	s_lshl_b64 s[0:1], s[0:1], 1
	s_delay_alu instid0(SALU_CYCLE_1)
	s_add_u32 s0, s2, s0
	s_addc_u32 s1, s3, s1
	global_store_b16 v0, v1, s[0:1]
	;;#ASMSTART
	v_cvt_f16_f32 v1, v16;

	;;#ASMEND
	global_store_b16 v0, v1, s[0:1] offset:64
	;;#ASMSTART
	v_cvt_f16_f32 v1, v15;

	;;#ASMEND
	global_store_b16 v0, v1, s[0:1] offset:128
	;; [unrolled: 5-line block ×3, first 2 shown]
.LBB77_60:
	s_nop 0
	s_sendmsg sendmsg(MSG_DEALLOC_VGPRS)
	s_endpgm
	.section	.rodata,"a",@progbits
	.p2align	6, 0x0
	.amdhsa_kernel _ZN4vllm25paged_attention_v2_kernelIttLi128ELi8ELi128ELNS_18Fp8KVCacheDataTypeE0ELb1ELi512EEEvPfS2_PT_PKS3_PKT0_S9_ifPKiSB_iPKfiiiSD_SD_iiiii
		.amdhsa_group_segment_fixed_size 288
		.amdhsa_private_segment_fixed_size 0
		.amdhsa_kernarg_size 400
		.amdhsa_user_sgpr_count 13
		.amdhsa_user_sgpr_dispatch_ptr 0
		.amdhsa_user_sgpr_queue_ptr 0
		.amdhsa_user_sgpr_kernarg_segment_ptr 1
		.amdhsa_user_sgpr_dispatch_id 0
		.amdhsa_user_sgpr_private_segment_size 0
		.amdhsa_wavefront_size32 1
		.amdhsa_uses_dynamic_stack 0
		.amdhsa_enable_private_segment 0
		.amdhsa_system_sgpr_workgroup_id_x 1
		.amdhsa_system_sgpr_workgroup_id_y 1
		.amdhsa_system_sgpr_workgroup_id_z 1
		.amdhsa_system_sgpr_workgroup_info 0
		.amdhsa_system_vgpr_workitem_id 0
		.amdhsa_next_free_vgpr 78
		.amdhsa_next_free_sgpr 46
		.amdhsa_reserve_vcc 1
		.amdhsa_float_round_mode_32 0
		.amdhsa_float_round_mode_16_64 0
		.amdhsa_float_denorm_mode_32 3
		.amdhsa_float_denorm_mode_16_64 3
		.amdhsa_dx10_clamp 1
		.amdhsa_ieee_mode 1
		.amdhsa_fp16_overflow 0
		.amdhsa_workgroup_processor_mode 1
		.amdhsa_memory_ordered 1
		.amdhsa_forward_progress 0
		.amdhsa_shared_vgpr_count 0
		.amdhsa_exception_fp_ieee_invalid_op 0
		.amdhsa_exception_fp_denorm_src 0
		.amdhsa_exception_fp_ieee_div_zero 0
		.amdhsa_exception_fp_ieee_overflow 0
		.amdhsa_exception_fp_ieee_underflow 0
		.amdhsa_exception_fp_ieee_inexact 0
		.amdhsa_exception_int_div_zero 0
	.end_amdhsa_kernel
	.section	.text._ZN4vllm25paged_attention_v2_kernelIttLi128ELi8ELi128ELNS_18Fp8KVCacheDataTypeE0ELb1ELi512EEEvPfS2_PT_PKS3_PKT0_S9_ifPKiSB_iPKfiiiSD_SD_iiiii,"axG",@progbits,_ZN4vllm25paged_attention_v2_kernelIttLi128ELi8ELi128ELNS_18Fp8KVCacheDataTypeE0ELb1ELi512EEEvPfS2_PT_PKS3_PKT0_S9_ifPKiSB_iPKfiiiSD_SD_iiiii,comdat
.Lfunc_end77:
	.size	_ZN4vllm25paged_attention_v2_kernelIttLi128ELi8ELi128ELNS_18Fp8KVCacheDataTypeE0ELb1ELi512EEEvPfS2_PT_PKS3_PKT0_S9_ifPKiSB_iPKfiiiSD_SD_iiiii, .Lfunc_end77-_ZN4vllm25paged_attention_v2_kernelIttLi128ELi8ELi128ELNS_18Fp8KVCacheDataTypeE0ELb1ELi512EEEvPfS2_PT_PKS3_PKT0_S9_ifPKiSB_iPKfiiiSD_SD_iiiii
                                        ; -- End function
	.section	.AMDGPU.csdata,"",@progbits
; Kernel info:
; codeLenInByte = 8260
; NumSgprs: 48
; NumVgprs: 78
; ScratchSize: 0
; MemoryBound: 0
; FloatMode: 240
; IeeeMode: 1
; LDSByteSize: 288 bytes/workgroup (compile time only)
; SGPRBlocks: 5
; VGPRBlocks: 9
; NumSGPRsForWavesPerEU: 48
; NumVGPRsForWavesPerEU: 78
; Occupancy: 16
; WaveLimiterHint : 1
; COMPUTE_PGM_RSRC2:SCRATCH_EN: 0
; COMPUTE_PGM_RSRC2:USER_SGPR: 13
; COMPUTE_PGM_RSRC2:TRAP_HANDLER: 0
; COMPUTE_PGM_RSRC2:TGID_X_EN: 1
; COMPUTE_PGM_RSRC2:TGID_Y_EN: 1
; COMPUTE_PGM_RSRC2:TGID_Z_EN: 1
; COMPUTE_PGM_RSRC2:TIDIG_COMP_CNT: 0
	.section	.text._ZN4vllm32paged_attention_v2_reduce_kernelItLi128ELi128ELi512EEEvPT_PKfS4_PKS1_PKii,"axG",@progbits,_ZN4vllm32paged_attention_v2_reduce_kernelItLi128ELi128ELi512EEEvPT_PKfS4_PKS1_PKii,comdat
	.protected	_ZN4vllm32paged_attention_v2_reduce_kernelItLi128ELi128ELi512EEEvPT_PKfS4_PKS1_PKii ; -- Begin function _ZN4vllm32paged_attention_v2_reduce_kernelItLi128ELi128ELi512EEEvPT_PKfS4_PKS1_PKii
	.globl	_ZN4vllm32paged_attention_v2_reduce_kernelItLi128ELi128ELi512EEEvPT_PKfS4_PKS1_PKii
	.p2align	8
	.type	_ZN4vllm32paged_attention_v2_reduce_kernelItLi128ELi128ELi512EEEvPT_PKfS4_PKS1_PKii,@function
_ZN4vllm32paged_attention_v2_reduce_kernelItLi128ELi128ELi512EEEvPT_PKfS4_PKS1_PKii: ; @_ZN4vllm32paged_attention_v2_reduce_kernelItLi128ELi128ELi512EEEvPT_PKfS4_PKS1_PKii
; %bb.0:
	s_load_b128 s[4:7], s[0:1], 0x18
	s_add_u32 s8, s0, 48
	s_mov_b32 s10, s15
	s_addc_u32 s9, s1, 0
	s_ashr_i32 s11, s15, 31
	s_delay_alu instid0(SALU_CYCLE_1)
	s_lshl_b64 s[2:3], s[10:11], 2
	s_waitcnt lgkmcnt(0)
	s_add_u32 s2, s6, s2
	s_addc_u32 s3, s7, s3
	s_load_b32 s20, s[2:3], 0x0
	s_clause 0x2
	s_load_b64 s[6:7], s[0:1], 0x0
	s_load_b32 s11, s[0:1], 0x28
	s_load_b32 s15, s[0:1], 0x30
	s_waitcnt lgkmcnt(0)
	s_add_i32 s2, s20, -1
	s_delay_alu instid0(SALU_CYCLE_1)
	s_cmpk_gt_u32 s2, 0x1ff
	s_mov_b32 s2, -1
	s_cbranch_scc0 .LBB78_26
; %bb.1:
	s_load_b64 s[2:3], s[0:1], 0x8
	s_add_i32 s12, s20, 0x1ff
	s_mul_i32 s18, s15, s10
	s_ashr_i32 s13, s12, 31
	v_dual_mov_b32 v4, 0xff7fffff :: v_dual_lshlrev_b32 v3, 2, v0
	s_lshr_b32 s13, s13, 23
	s_mul_i32 s16, s14, s11
	s_add_i32 s12, s12, s13
	s_ashr_i32 s17, s16, 31
	s_ashr_i32 s19, s12, 9
	s_mul_i32 s12, s18, s11
	v_cmp_gt_i32_e32 vcc_lo, s19, v0
	s_ashr_i32 s13, s12, 31
	s_and_saveexec_b32 s21, vcc_lo
	s_cbranch_execz .LBB78_5
; %bb.2:
	s_load_b32 s28, s[8:9], 0xc
	s_load_b64 s[22:23], s[0:1], 0x10
	s_lshl_b64 s[24:25], s[12:13], 2
	s_lshl_b64 s[26:27], s[16:17], 2
	v_dual_mov_b32 v4, 0xff7fffff :: v_dual_add_nc_u32 v5, 32, v3
	v_mov_b32_e32 v6, v0
	s_waitcnt lgkmcnt(0)
	s_and_b32 s1, s28, 0xffff
	s_add_u32 s0, s24, s26
	s_addc_u32 s24, s25, s27
	s_add_u32 s0, s22, s0
	s_addc_u32 s22, s23, s24
	v_add_co_u32 v1, s0, s0, v3
	s_delay_alu instid0(VALU_DEP_1)
	v_add_co_ci_u32_e64 v2, null, s22, 0, s0
	s_mov_b32 s22, 0
	s_lshl_b32 s23, s1, 2
	.p2align	6
.LBB78_3:                               ; =>This Inner Loop Header: Depth=1
	global_load_b32 v7, v[1:2], off
	v_add_nc_u32_e32 v6, s1, v6
	v_max_f32_e32 v4, v4, v4
	v_add_co_u32 v1, s0, v1, s23
	s_delay_alu instid0(VALU_DEP_1) | instskip(NEXT) | instid1(VALU_DEP_4)
	v_add_co_ci_u32_e64 v2, s0, 0, v2, s0
	v_cmp_le_i32_e64 s0, s19, v6
	s_delay_alu instid0(VALU_DEP_1)
	s_or_b32 s22, s0, s22
	s_waitcnt vmcnt(0)
	v_max_f32_e32 v8, v7, v7
	ds_store_b32 v5, v7
	v_dual_max_f32 v4, v4, v8 :: v_dual_add_nc_u32 v5, s23, v5
	s_and_not1_b32 exec_lo, exec_lo, s22
	s_cbranch_execnz .LBB78_3
; %bb.4:
	s_or_b32 exec_lo, exec_lo, s22
.LBB78_5:
	s_delay_alu instid0(SALU_CYCLE_1)
	s_or_b32 exec_lo, exec_lo, s21
	v_mbcnt_lo_u32_b32 v1, -1, 0
	s_waitcnt lgkmcnt(0)
	s_barrier
	buffer_gl0_inv
	v_xor_b32_e32 v2, 16, v1
	v_xor_b32_e32 v5, 8, v1
	s_delay_alu instid0(VALU_DEP_2) | instskip(NEXT) | instid1(VALU_DEP_1)
	v_cmp_gt_i32_e64 s0, 32, v2
	v_cndmask_b32_e64 v2, v1, v2, s0
	s_delay_alu instid0(VALU_DEP_3) | instskip(NEXT) | instid1(VALU_DEP_2)
	v_cmp_gt_i32_e64 s0, 32, v5
	v_lshlrev_b32_e32 v6, 2, v2
	s_delay_alu instid0(VALU_DEP_2) | instskip(SKIP_3) | instid1(VALU_DEP_1)
	v_cndmask_b32_e64 v5, v1, v5, s0
	ds_bpermute_b32 v2, v6, v4
	v_dual_max_f32 v4, v4, v4 :: v_dual_lshlrev_b32 v7, 2, v5
	v_xor_b32_e32 v5, 4, v1
	v_cmp_gt_i32_e64 s0, 32, v5
	s_delay_alu instid0(VALU_DEP_1) | instskip(NEXT) | instid1(VALU_DEP_1)
	v_cndmask_b32_e64 v5, v1, v5, s0
	v_lshlrev_b32_e32 v8, 2, v5
	v_xor_b32_e32 v5, 2, v1
	s_waitcnt lgkmcnt(0)
	v_max_f32_e32 v2, v2, v2
	s_delay_alu instid0(VALU_DEP_2) | instskip(NEXT) | instid1(VALU_DEP_2)
	v_cmp_gt_i32_e64 s0, 32, v5
	v_max_f32_e32 v2, v4, v2
	s_delay_alu instid0(VALU_DEP_2) | instskip(SKIP_3) | instid1(VALU_DEP_1)
	v_cndmask_b32_e64 v5, v1, v5, s0
	ds_bpermute_b32 v4, v7, v2
	s_waitcnt lgkmcnt(0)
	v_max_f32_e32 v4, v4, v4
	v_max_f32_e32 v2, v2, v4
	ds_bpermute_b32 v4, v8, v2
	s_waitcnt lgkmcnt(0)
	v_dual_max_f32 v9, v4, v4 :: v_dual_lshlrev_b32 v4, 2, v5
	s_delay_alu instid0(VALU_DEP_1) | instskip(SKIP_3) | instid1(VALU_DEP_1)
	v_max_f32_e32 v2, v2, v9
	v_xor_b32_e32 v9, 1, v1
	ds_bpermute_b32 v5, v4, v2
	v_cmp_gt_i32_e64 s0, 32, v9
	v_cndmask_b32_e64 v1, v1, v9, s0
	v_lshrrev_b32_e32 v9, 5, v0
	s_delay_alu instid0(VALU_DEP_1) | instskip(SKIP_2) | instid1(VALU_DEP_1)
	v_lshlrev_b32_e32 v9, 2, v9
	s_waitcnt lgkmcnt(0)
	v_max_f32_e32 v5, v5, v5
	v_max_f32_e32 v2, v2, v5
	v_lshlrev_b32_e32 v5, 2, v1
	v_and_b32_e32 v1, 31, v0
	ds_bpermute_b32 v10, v5, v2
	v_cmp_eq_u32_e64 s0, 0, v1
	s_delay_alu instid0(VALU_DEP_1)
	s_and_saveexec_b32 s1, s0
	s_cbranch_execz .LBB78_7
; %bb.6:
	s_waitcnt lgkmcnt(0)
	v_max_f32_e32 v10, v10, v10
	v_max_f32_e32 v2, v2, v2
	s_delay_alu instid0(VALU_DEP_1)
	v_max_f32_e32 v2, v2, v10
	ds_store_b32 v9, v2
.LBB78_7:
	s_or_b32 exec_lo, exec_lo, s1
	v_cmp_gt_u32_e64 s1, 4, v1
	v_mov_b32_e32 v2, 0xff7fffff
	s_waitcnt lgkmcnt(0)
	v_lshlrev_b32_e32 v10, 2, v1
	s_barrier
	buffer_gl0_inv
	s_and_saveexec_b32 s21, s1
	s_cbranch_execz .LBB78_9
; %bb.8:
	ds_load_b32 v2, v10
.LBB78_9:
	s_or_b32 exec_lo, exec_lo, s21
	s_waitcnt lgkmcnt(0)
	ds_bpermute_b32 v1, v4, v2
	v_max_f32_e32 v2, v2, v2
	s_lshl_b32 s21, s19, 2
	s_waitcnt lgkmcnt(0)
	v_dual_mov_b32 v12, 0 :: v_dual_max_f32 v1, v1, v1
	s_delay_alu instid0(VALU_DEP_1) | instskip(SKIP_3) | instid1(VALU_DEP_1)
	v_max_f32_e32 v1, v2, v1
	ds_bpermute_b32 v2, v5, v1
	s_waitcnt lgkmcnt(0)
	v_max_f32_e32 v2, v2, v2
	v_max_f32_e32 v1, v1, v2
	ds_bpermute_b32 v11, v12, v1
	s_and_saveexec_b32 s22, vcc_lo
	s_cbranch_execz .LBB78_13
; %bb.10:
	s_load_b32 s23, s[8:9], 0xc
	s_lshl_b64 s[24:25], s[12:13], 2
	s_lshl_b64 s[26:27], s[16:17], 2
	v_dual_mov_b32 v12, 0 :: v_dual_add_nc_u32 v13, 32, v3
	s_waitcnt lgkmcnt(0)
	s_and_b32 s13, s23, 0xffff
	s_add_u32 s17, s24, s26
	s_addc_u32 s23, s25, s27
	s_add_u32 s2, s2, s17
	s_addc_u32 s3, s3, s23
	v_add_co_u32 v1, s2, s2, v3
	s_delay_alu instid0(VALU_DEP_1)
	v_add_co_ci_u32_e64 v2, null, s3, 0, s2
	v_mov_b32_e32 v3, v0
	s_mov_b32 s3, 0
	s_lshl_b32 s17, s13, 2
	s_set_inst_prefetch_distance 0x1
	.p2align	6
.LBB78_11:                              ; =>This Inner Loop Header: Depth=1
	global_load_b32 v14, v[1:2], off
	ds_load_b32 v15, v13
	v_add_nc_u32_e32 v3, s13, v3
	s_waitcnt lgkmcnt(0)
	v_sub_f32_e32 v15, v15, v11
	s_delay_alu instid0(VALU_DEP_1) | instskip(NEXT) | instid1(VALU_DEP_1)
	v_mul_f32_e32 v16, 0x3fb8aa3b, v15
	v_fma_f32 v17, 0x3fb8aa3b, v15, -v16
	v_rndne_f32_e32 v18, v16
	s_delay_alu instid0(VALU_DEP_1) | instskip(SKIP_1) | instid1(VALU_DEP_4)
	v_sub_f32_e32 v16, v16, v18
	v_cmp_ngt_f32_e32 vcc_lo, 0xc2ce8ed0, v15
	v_fmac_f32_e32 v17, 0x32a5705f, v15
	v_cmp_nlt_f32_e64 s2, 0x42b17218, v15
	s_delay_alu instid0(VALU_DEP_2) | instskip(SKIP_1) | instid1(VALU_DEP_2)
	v_add_f32_e32 v16, v16, v17
	v_cvt_i32_f32_e32 v17, v18
	v_exp_f32_e32 v16, v16
	s_waitcnt_depctr 0xfff
	v_ldexp_f32 v16, v16, v17
	s_delay_alu instid0(VALU_DEP_1) | instskip(SKIP_2) | instid1(VALU_DEP_3)
	v_dual_cndmask_b32 v16, 0, v16 :: v_dual_add_nc_u32 v17, s21, v13
	v_add_co_u32 v1, vcc_lo, v1, s17
	v_add_co_ci_u32_e32 v2, vcc_lo, 0, v2, vcc_lo
	v_cndmask_b32_e64 v15, 0x7f800000, v16, s2
	v_cmp_le_i32_e32 vcc_lo, s19, v3
	v_add_nc_u32_e32 v13, s17, v13
	s_or_b32 s3, vcc_lo, s3
	s_waitcnt vmcnt(0)
	v_mul_f32_e32 v16, v14, v15
	v_fmac_f32_e32 v12, v14, v15
	ds_store_b32 v17, v16
	s_and_not1_b32 exec_lo, exec_lo, s3
	s_cbranch_execnz .LBB78_11
; %bb.12:
	s_set_inst_prefetch_distance 0x2
	s_or_b32 exec_lo, exec_lo, s3
.LBB78_13:
	s_delay_alu instid0(SALU_CYCLE_1)
	s_or_b32 exec_lo, exec_lo, s22
	ds_bpermute_b32 v1, v6, v12
	s_waitcnt lgkmcnt(0)
	s_barrier
	buffer_gl0_inv
	v_add_f32_e32 v1, v12, v1
	ds_bpermute_b32 v2, v7, v1
	s_waitcnt lgkmcnt(0)
	v_add_f32_e32 v1, v1, v2
	ds_bpermute_b32 v2, v8, v1
	s_waitcnt lgkmcnt(0)
	;; [unrolled: 3-line block ×4, first 2 shown]
	v_add_f32_e32 v1, v1, v2
	s_and_saveexec_b32 s2, s0
	s_cbranch_execz .LBB78_15
; %bb.14:
	ds_store_b32 v9, v1 offset:16
.LBB78_15:
	s_or_b32 exec_lo, exec_lo, s2
	s_waitcnt lgkmcnt(0)
	s_barrier
	buffer_gl0_inv
	s_and_saveexec_b32 s0, s1
	s_cbranch_execz .LBB78_17
; %bb.16:
	ds_load_b32 v1, v10 offset:16
.LBB78_17:
	s_or_b32 exec_lo, exec_lo, s0
	s_waitcnt lgkmcnt(0)
	ds_bpermute_b32 v2, v4, v1
	s_mov_b32 s0, exec_lo
	s_waitcnt lgkmcnt(0)
	v_add_f32_e32 v1, v1, v2
	ds_bpermute_b32 v2, v5, v1
	s_waitcnt lgkmcnt(0)
	v_dual_add_f32 v1, v1, v2 :: v_dual_mov_b32 v2, 0
	ds_bpermute_b32 v2, v2, v1
	v_cmpx_gt_u32_e32 0x80, v0
	s_cbranch_execz .LBB78_25
; %bb.18:
	s_cmp_gt_i32 s20, 0
	s_mov_b32 s1, 0
	s_cbranch_scc1 .LBB78_20
; %bb.19:
	v_mov_b32_e32 v1, 0
	s_branch .LBB78_21
.LBB78_20:
	s_mov_b32 s1, -1
.LBB78_21:
	s_delay_alu instid0(SALU_CYCLE_1) | instskip(SKIP_1) | instid1(VALU_DEP_2)
	v_cndmask_b32_e64 v3, 0, 1, s1
	v_mov_b32_e32 v4, s1
	v_cmp_ne_u32_e32 vcc_lo, 1, v3
	s_cbranch_vccnz .LBB78_24
; %bb.22:
	s_waitcnt lgkmcnt(0)
	v_add_f32_e32 v4, 0x358637bd, v2
	s_lshl_b32 s12, s12, 7
	s_lshl_b32 s16, s16, 7
	s_ashr_i32 s13, s12, 31
	s_ashr_i32 s17, s16, 31
	v_div_scale_f32 v2, null, v4, v4, 1.0
	s_lshl_b64 s[12:13], s[12:13], 1
	s_lshl_b64 s[16:17], s[16:17], 1
	s_max_i32 s1, s19, 1
	s_delay_alu instid0(VALU_DEP_1)
	v_rcp_f32_e32 v3, v2
	s_add_i32 s2, s21, 32
	s_add_u32 s3, s12, s16
	s_addc_u32 s12, s13, s17
	s_add_u32 s3, s4, s3
	s_addc_u32 s12, s5, s12
	s_waitcnt_depctr 0xfff
	v_fma_f32 v1, -v2, v3, 1.0
	s_delay_alu instid0(VALU_DEP_1) | instskip(SKIP_1) | instid1(VALU_DEP_1)
	v_fmac_f32_e32 v3, v1, v3
	v_div_scale_f32 v5, vcc_lo, 1.0, v4, 1.0
	v_dual_mov_b32 v1, 0 :: v_dual_mul_f32 v6, v5, v3
	s_delay_alu instid0(VALU_DEP_1) | instskip(NEXT) | instid1(VALU_DEP_1)
	v_fma_f32 v7, -v2, v6, v5
	v_dual_fmac_f32 v6, v7, v3 :: v_dual_lshlrev_b32 v7, 1, v0
	s_delay_alu instid0(VALU_DEP_1) | instskip(NEXT) | instid1(VALU_DEP_1)
	v_fma_f32 v2, -v2, v6, v5
	v_div_fmas_f32 v5, v2, v3, v6
	s_delay_alu instid0(VALU_DEP_3) | instskip(NEXT) | instid1(VALU_DEP_1)
	v_add_co_u32 v2, s3, s3, v7
	v_add_co_ci_u32_e64 v3, null, s12, 0, s3
	s_delay_alu instid0(VALU_DEP_3)
	v_div_fixup_f32 v5, v5, v4, 1.0
	v_mov_b32_e32 v4, v1
	.p2align	6
.LBB78_23:                              ; =>This Inner Loop Header: Depth=1
	v_mov_b32_e32 v7, s2
	global_load_u16 v6, v[2:3], off
	s_waitcnt vmcnt(0)
	;;#ASMSTART
	v_cvt_f32_f16 v6, v6;
	;;#ASMEND
	v_add_co_u32 v2, vcc_lo, 0x100, v2
	ds_load_b32 v7, v7
	v_add_co_ci_u32_e32 v3, vcc_lo, 0, v3, vcc_lo
	s_add_i32 s1, s1, -1
	s_add_i32 s2, s2, 4
	s_cmp_eq_u32 s1, 0
	s_waitcnt lgkmcnt(0)
	v_mul_f32_e32 v6, v6, v7
	s_delay_alu instid0(VALU_DEP_1)
	v_fmac_f32_e32 v4, v5, v6
	s_cbranch_scc0 .LBB78_23
.LBB78_24:
	s_lshl_b32 s2, s18, 7
	s_waitcnt lgkmcnt(0)
	v_lshlrev_b64 v[1:2], 1, v[0:1]
	s_ashr_i32 s3, s2, 31
	;;#ASMSTART
	v_cvt_f16_f32 v3, v4;

	;;#ASMEND
	s_lshl_b64 s[2:3], s[2:3], 1
	s_delay_alu instid0(SALU_CYCLE_1) | instskip(SKIP_2) | instid1(SALU_CYCLE_1)
	s_add_u32 s1, s6, s2
	s_addc_u32 s12, s7, s3
	s_lshl_b32 s2, s14, 7
	s_ashr_i32 s3, s2, 31
	s_delay_alu instid0(SALU_CYCLE_1) | instskip(NEXT) | instid1(SALU_CYCLE_1)
	s_lshl_b64 s[2:3], s[2:3], 1
	s_add_u32 s1, s1, s2
	s_addc_u32 s2, s12, s3
	v_add_co_u32 v1, vcc_lo, s1, v1
	v_add_co_ci_u32_e32 v2, vcc_lo, s2, v2, vcc_lo
	global_store_b16 v[1:2], v3, off
.LBB78_25:
	s_or_b32 exec_lo, exec_lo, s0
	s_mov_b32 s2, 0
.LBB78_26:
	s_delay_alu instid0(SALU_CYCLE_1)
	s_and_b32 vcc_lo, exec_lo, s2
	s_cbranch_vccz .LBB78_35
; %bb.27:
	s_mov_b32 s0, exec_lo
	v_cmpx_gt_u32_e32 0x80, v0
	s_cbranch_execz .LBB78_35
; %bb.28:
	s_mul_i32 s15, s15, s10
	s_load_b32 s8, s[8:9], 0xc
	s_lshl_b32 s0, s15, 7
	s_delay_alu instid0(SALU_CYCLE_1) | instskip(NEXT) | instid1(SALU_CYCLE_1)
	s_ashr_i32 s1, s0, 31
	s_lshl_b64 s[0:1], s[0:1], 1
	s_delay_alu instid0(SALU_CYCLE_1) | instskip(SKIP_4) | instid1(SALU_CYCLE_1)
	s_add_u32 s6, s6, s0
	s_addc_u32 s7, s7, s1
	s_lshl_b32 s0, s14, 7
	s_mul_i32 s14, s14, s11
	s_ashr_i32 s1, s0, 31
	s_lshl_b64 s[2:3], s[0:1], 1
	s_mul_i32 s0, s11, s15
	s_add_u32 s1, s6, s2
	s_addc_u32 s2, s7, s3
	s_lshl_b32 s6, s0, 7
	s_delay_alu instid0(SALU_CYCLE_1) | instskip(NEXT) | instid1(SALU_CYCLE_1)
	s_ashr_i32 s7, s6, 31
	s_lshl_b64 s[6:7], s[6:7], 1
	s_delay_alu instid0(SALU_CYCLE_1) | instskip(SKIP_4) | instid1(SALU_CYCLE_1)
	s_add_u32 s0, s4, s6
	s_addc_u32 s6, s5, s7
	s_lshl_b32 s4, s14, 7
	s_mov_b32 s7, 0
	s_ashr_i32 s5, s4, 31
	s_lshl_b64 s[4:5], s[4:5], 1
	s_delay_alu instid0(SALU_CYCLE_1) | instskip(SKIP_3) | instid1(SALU_CYCLE_1)
	s_add_u32 s3, s0, s4
	s_addc_u32 s4, s6, s5
	s_waitcnt lgkmcnt(0)
	s_and_b32 s5, s8, 0xffff
	v_cvt_f32_u32_e32 v1, s5
	s_cmp_eq_u32 s5, 1
	v_add_nc_u32_e32 v3, s5, v0
	s_cselect_b32 s6, -1, 0
	s_sub_i32 s0, 0, s5
	v_rcp_iflag_f32_e32 v1, v1
	s_delay_alu instid0(VALU_DEP_1) | instskip(SKIP_3) | instid1(VALU_DEP_1)
	v_cmp_gt_u32_e32 vcc_lo, 0x80, v3
	v_max_u32_e32 v4, 0x80, v3
	s_waitcnt_depctr 0xfff
	v_mul_f32_e32 v1, 0x4f7ffffe, v1
	v_cvt_u32_f32_e32 v1, v1
	s_delay_alu instid0(VALU_DEP_1) | instskip(SKIP_1) | instid1(VALU_DEP_1)
	v_mul_lo_u32 v2, s0, v1
	v_add_co_ci_u32_e64 v3, s0, s5, v0, vcc_lo
	v_sub_nc_u32_e32 v3, v4, v3
	s_delay_alu instid0(VALU_DEP_3) | instskip(NEXT) | instid1(VALU_DEP_1)
	v_mul_hi_u32 v2, v1, v2
	v_add_nc_u32_e32 v1, v1, v2
	s_delay_alu instid0(VALU_DEP_1) | instskip(NEXT) | instid1(VALU_DEP_1)
	v_mul_hi_u32 v1, v3, v1
	v_mul_lo_u32 v2, v1, s5
	s_delay_alu instid0(VALU_DEP_1) | instskip(SKIP_1) | instid1(VALU_DEP_2)
	v_sub_nc_u32_e32 v2, v3, v2
	v_add_nc_u32_e32 v3, 1, v1
	v_subrev_nc_u32_e32 v4, s5, v2
	v_cmp_le_u32_e64 s0, s5, v2
	s_delay_alu instid0(VALU_DEP_1) | instskip(NEXT) | instid1(VALU_DEP_3)
	v_cndmask_b32_e64 v1, v1, v3, s0
	v_cndmask_b32_e64 v2, v2, v4, s0
	s_delay_alu instid0(VALU_DEP_2) | instskip(NEXT) | instid1(VALU_DEP_2)
	v_add_nc_u32_e32 v3, 1, v1
	v_cmp_le_u32_e64 s0, s5, v2
	s_delay_alu instid0(VALU_DEP_1) | instskip(SKIP_1) | instid1(VALU_DEP_1)
	v_cndmask_b32_e64 v1, v1, v3, s0
	s_mov_b32 s0, -1
	v_add_co_ci_u32_e32 v3, vcc_lo, 1, v1, vcc_lo
	s_delay_alu instid0(VALU_DEP_1) | instskip(SKIP_1) | instid1(SALU_CYCLE_1)
	v_cmp_lt_u32_e32 vcc_lo, 3, v3
	s_and_b32 s8, vcc_lo, s6
	s_and_saveexec_b32 s6, s8
	s_cbranch_execz .LBB78_32
; %bb.29:
	v_dual_mov_b32 v1, v0 :: v_dual_and_b32 v4, -4, v3
	s_delay_alu instid0(VALU_DEP_1)
	v_dual_mov_b32 v2, 0 :: v_dual_mov_b32 v5, v4
	.p2align	6
.LBB78_30:                              ; =>This Inner Loop Header: Depth=1
	s_delay_alu instid0(VALU_DEP_1) | instskip(NEXT) | instid1(VALU_DEP_2)
	v_lshlrev_b64 v[6:7], 1, v[1:2]
	v_add_nc_u32_e32 v5, -4, v5
	v_add_nc_u32_e32 v1, 4, v1
	s_delay_alu instid0(VALU_DEP_3) | instskip(NEXT) | instid1(VALU_DEP_4)
	v_add_co_u32 v8, vcc_lo, s3, v6
	v_add_co_ci_u32_e32 v9, vcc_lo, s4, v7, vcc_lo
	s_delay_alu instid0(VALU_DEP_4)
	v_cmp_eq_u32_e32 vcc_lo, 0, v5
	v_add_co_u32 v6, s0, s1, v6
	global_load_b64 v[8:9], v[8:9], off
	v_add_co_ci_u32_e64 v7, s0, s2, v7, s0
	s_or_b32 s7, vcc_lo, s7
	s_waitcnt vmcnt(0)
	global_store_b64 v[6:7], v[8:9], off
	s_and_not1_b32 exec_lo, exec_lo, s7
	s_cbranch_execnz .LBB78_30
; %bb.31:
	s_or_b32 exec_lo, exec_lo, s7
	v_cmp_ne_u32_e32 vcc_lo, v3, v4
	v_add_nc_u32_e32 v0, v0, v4
	s_or_not1_b32 s0, vcc_lo, exec_lo
.LBB78_32:
	s_or_b32 exec_lo, exec_lo, s6
	s_delay_alu instid0(SALU_CYCLE_1)
	s_and_b32 exec_lo, exec_lo, s0
	s_cbranch_execz .LBB78_35
; %bb.33:
	v_mov_b32_e32 v1, 0
	s_mov_b32 s6, 0
	s_lshl_b32 s7, s5, 1
	s_delay_alu instid0(VALU_DEP_1)
	v_lshlrev_b64 v[1:2], 1, v[0:1]
	.p2align	6
.LBB78_34:                              ; =>This Inner Loop Header: Depth=1
	s_delay_alu instid0(VALU_DEP_1) | instskip(NEXT) | instid1(VALU_DEP_2)
	v_add_co_u32 v3, vcc_lo, s3, v1
	v_add_co_ci_u32_e32 v4, vcc_lo, s4, v2, vcc_lo
	v_add_nc_u32_e32 v0, s5, v0
	global_load_u16 v5, v[3:4], off
	v_add_co_u32 v3, vcc_lo, s1, v1
	v_add_co_ci_u32_e32 v4, vcc_lo, s2, v2, vcc_lo
	v_cmp_lt_u32_e32 vcc_lo, 0x7f, v0
	v_add_co_u32 v1, s0, v1, s7
	s_delay_alu instid0(VALU_DEP_1)
	v_add_co_ci_u32_e64 v2, s0, 0, v2, s0
	s_or_b32 s6, vcc_lo, s6
	s_waitcnt vmcnt(0)
	global_store_b16 v[3:4], v5, off
	s_and_not1_b32 exec_lo, exec_lo, s6
	s_cbranch_execnz .LBB78_34
.LBB78_35:
	s_nop 0
	s_sendmsg sendmsg(MSG_DEALLOC_VGPRS)
	s_endpgm
	.section	.rodata,"a",@progbits
	.p2align	6, 0x0
	.amdhsa_kernel _ZN4vllm32paged_attention_v2_reduce_kernelItLi128ELi128ELi512EEEvPT_PKfS4_PKS1_PKii
		.amdhsa_group_segment_fixed_size 32
		.amdhsa_private_segment_fixed_size 0
		.amdhsa_kernarg_size 304
		.amdhsa_user_sgpr_count 14
		.amdhsa_user_sgpr_dispatch_ptr 0
		.amdhsa_user_sgpr_queue_ptr 0
		.amdhsa_user_sgpr_kernarg_segment_ptr 1
		.amdhsa_user_sgpr_dispatch_id 0
		.amdhsa_user_sgpr_private_segment_size 0
		.amdhsa_wavefront_size32 1
		.amdhsa_uses_dynamic_stack 0
		.amdhsa_enable_private_segment 0
		.amdhsa_system_sgpr_workgroup_id_x 1
		.amdhsa_system_sgpr_workgroup_id_y 1
		.amdhsa_system_sgpr_workgroup_id_z 0
		.amdhsa_system_sgpr_workgroup_info 0
		.amdhsa_system_vgpr_workitem_id 0
		.amdhsa_next_free_vgpr 19
		.amdhsa_next_free_sgpr 29
		.amdhsa_reserve_vcc 1
		.amdhsa_float_round_mode_32 0
		.amdhsa_float_round_mode_16_64 0
		.amdhsa_float_denorm_mode_32 3
		.amdhsa_float_denorm_mode_16_64 3
		.amdhsa_dx10_clamp 1
		.amdhsa_ieee_mode 1
		.amdhsa_fp16_overflow 0
		.amdhsa_workgroup_processor_mode 1
		.amdhsa_memory_ordered 1
		.amdhsa_forward_progress 0
		.amdhsa_shared_vgpr_count 0
		.amdhsa_exception_fp_ieee_invalid_op 0
		.amdhsa_exception_fp_denorm_src 0
		.amdhsa_exception_fp_ieee_div_zero 0
		.amdhsa_exception_fp_ieee_overflow 0
		.amdhsa_exception_fp_ieee_underflow 0
		.amdhsa_exception_fp_ieee_inexact 0
		.amdhsa_exception_int_div_zero 0
	.end_amdhsa_kernel
	.section	.text._ZN4vllm32paged_attention_v2_reduce_kernelItLi128ELi128ELi512EEEvPT_PKfS4_PKS1_PKii,"axG",@progbits,_ZN4vllm32paged_attention_v2_reduce_kernelItLi128ELi128ELi512EEEvPT_PKfS4_PKS1_PKii,comdat
.Lfunc_end78:
	.size	_ZN4vllm32paged_attention_v2_reduce_kernelItLi128ELi128ELi512EEEvPT_PKfS4_PKS1_PKii, .Lfunc_end78-_ZN4vllm32paged_attention_v2_reduce_kernelItLi128ELi128ELi512EEEvPT_PKfS4_PKS1_PKii
                                        ; -- End function
	.section	.AMDGPU.csdata,"",@progbits
; Kernel info:
; codeLenInByte = 2440
; NumSgprs: 31
; NumVgprs: 19
; ScratchSize: 0
; MemoryBound: 0
; FloatMode: 240
; IeeeMode: 1
; LDSByteSize: 32 bytes/workgroup (compile time only)
; SGPRBlocks: 3
; VGPRBlocks: 2
; NumSGPRsForWavesPerEU: 31
; NumVGPRsForWavesPerEU: 19
; Occupancy: 16
; WaveLimiterHint : 0
; COMPUTE_PGM_RSRC2:SCRATCH_EN: 0
; COMPUTE_PGM_RSRC2:USER_SGPR: 14
; COMPUTE_PGM_RSRC2:TRAP_HANDLER: 0
; COMPUTE_PGM_RSRC2:TGID_X_EN: 1
; COMPUTE_PGM_RSRC2:TGID_Y_EN: 1
; COMPUTE_PGM_RSRC2:TGID_Z_EN: 0
; COMPUTE_PGM_RSRC2:TIDIG_COMP_CNT: 0
	.section	.text._ZN4vllm25paged_attention_v2_kernelIttLi192ELi8ELi128ELNS_18Fp8KVCacheDataTypeE0ELb1ELi512EEEvPfS2_PT_PKS3_PKT0_S9_ifPKiSB_iPKfiiiSD_SD_iiiii,"axG",@progbits,_ZN4vllm25paged_attention_v2_kernelIttLi192ELi8ELi128ELNS_18Fp8KVCacheDataTypeE0ELb1ELi512EEEvPfS2_PT_PKS3_PKT0_S9_ifPKiSB_iPKfiiiSD_SD_iiiii,comdat
	.protected	_ZN4vllm25paged_attention_v2_kernelIttLi192ELi8ELi128ELNS_18Fp8KVCacheDataTypeE0ELb1ELi512EEEvPfS2_PT_PKS3_PKT0_S9_ifPKiSB_iPKfiiiSD_SD_iiiii ; -- Begin function _ZN4vllm25paged_attention_v2_kernelIttLi192ELi8ELi128ELNS_18Fp8KVCacheDataTypeE0ELb1ELi512EEEvPfS2_PT_PKS3_PKT0_S9_ifPKiSB_iPKfiiiSD_SD_iiiii
	.globl	_ZN4vllm25paged_attention_v2_kernelIttLi192ELi8ELi128ELNS_18Fp8KVCacheDataTypeE0ELb1ELi512EEEvPfS2_PT_PKS3_PKT0_S9_ifPKiSB_iPKfiiiSD_SD_iiiii
	.p2align	8
	.type	_ZN4vllm25paged_attention_v2_kernelIttLi192ELi8ELi128ELNS_18Fp8KVCacheDataTypeE0ELb1ELi512EEEvPfS2_PT_PKS3_PKT0_S9_ifPKiSB_iPKfiiiSD_SD_iiiii,@function
_ZN4vllm25paged_attention_v2_kernelIttLi192ELi8ELi128ELNS_18Fp8KVCacheDataTypeE0ELb1ELi512EEEvPfS2_PT_PKS3_PKT0_S9_ifPKiSB_iPKfiiiSD_SD_iiiii: ; @_ZN4vllm25paged_attention_v2_kernelIttLi192ELi8ELi128ELNS_18Fp8KVCacheDataTypeE0ELb1ELi512EEEvPfS2_PT_PKS3_PKT0_S9_ifPKiSB_iPKfiiiSD_SD_iiiii
; %bb.0:
	s_load_b64 s[2:3], s[0:1], 0x40
	s_mov_b32 s12, s15
	s_ashr_i32 s15, s14, 31
	s_delay_alu instid0(SALU_CYCLE_1)
	s_lshl_b64 s[4:5], s[14:15], 2
	s_waitcnt lgkmcnt(0)
	s_add_u32 s2, s2, s4
	s_addc_u32 s3, s3, s5
	s_lshl_b32 s15, s12, 9
	s_load_b32 s33, s[2:3], 0x0
	s_waitcnt lgkmcnt(0)
	s_cmp_ge_i32 s15, s33
	s_cbranch_scc1 .LBB79_64
; %bb.1:
	s_mov_b32 s24, s13
	s_clause 0x1
	s_load_b32 s13, s[0:1], 0x90
	s_load_b64 s[34:35], s[0:1], 0x30
	s_mov_b32 s38, 0
	s_waitcnt lgkmcnt(0)
	s_abs_i32 s5, s13
	s_abs_i32 s2, s34
	s_delay_alu instid0(SALU_CYCLE_1) | instskip(SKIP_1) | instid1(VALU_DEP_1)
	v_cvt_f32_u32_e32 v1, s2
	s_sub_i32 s4, 0, s2
	v_rcp_iflag_f32_e32 v1, v1
	s_waitcnt_depctr 0xfff
	v_mul_f32_e32 v1, 0x4f7ffffe, v1
	s_delay_alu instid0(VALU_DEP_1) | instskip(NEXT) | instid1(VALU_DEP_1)
	v_cvt_u32_f32_e32 v1, v1
	v_readfirstlane_b32 s3, v1
	s_delay_alu instid0(VALU_DEP_1) | instskip(NEXT) | instid1(SALU_CYCLE_1)
	s_mul_i32 s4, s4, s3
	s_mul_hi_u32 s4, s3, s4
	s_delay_alu instid0(SALU_CYCLE_1) | instskip(SKIP_4) | instid1(SALU_CYCLE_1)
	s_add_i32 s3, s3, s4
	s_xor_b32 s4, s13, s34
	s_mul_hi_u32 s3, s5, s3
	s_ashr_i32 s4, s4, 31
	s_mul_i32 s6, s3, s2
	s_sub_i32 s5, s5, s6
	s_add_i32 s6, s3, 1
	s_sub_i32 s7, s5, s2
	s_cmp_ge_u32 s5, s2
	s_cselect_b32 s3, s6, s3
	s_cselect_b32 s5, s7, s5
	s_add_i32 s6, s3, 1
	s_cmp_ge_u32 s5, s2
	s_cselect_b32 s2, s6, s3
	s_abs_i32 s17, s24
	s_xor_b32 s2, s2, s4
	s_delay_alu instid0(SALU_CYCLE_1) | instskip(SKIP_2) | instid1(SALU_CYCLE_1)
	s_sub_i32 s8, s2, s4
	s_load_b64 s[2:3], s[0:1], 0x50
	s_abs_i32 s16, s8
	v_cvt_f32_u32_e32 v1, s16
	s_sub_i32 s5, 0, s16
	s_delay_alu instid0(VALU_DEP_1) | instskip(SKIP_2) | instid1(VALU_DEP_1)
	v_rcp_iflag_f32_e32 v1, v1
	s_waitcnt_depctr 0xfff
	v_mul_f32_e32 v1, 0x4f7ffffe, v1
	v_cvt_u32_f32_e32 v1, v1
	s_delay_alu instid0(VALU_DEP_1) | instskip(NEXT) | instid1(VALU_DEP_1)
	v_readfirstlane_b32 s4, v1
	s_mul_i32 s5, s5, s4
	s_delay_alu instid0(SALU_CYCLE_1) | instskip(NEXT) | instid1(SALU_CYCLE_1)
	s_mul_hi_u32 s5, s4, s5
	s_add_i32 s4, s4, s5
	s_waitcnt lgkmcnt(0)
	s_cmp_eq_u64 s[2:3], 0
	s_mul_hi_u32 s18, s17, s4
	s_cbranch_scc1 .LBB79_3
; %bb.2:
	s_ashr_i32 s25, s24, 31
	s_delay_alu instid0(SALU_CYCLE_1) | instskip(NEXT) | instid1(SALU_CYCLE_1)
	s_lshl_b64 s[4:5], s[24:25], 2
	s_add_u32 s2, s2, s4
	s_addc_u32 s3, s3, s5
	s_load_b32 s38, s[2:3], 0x0
.LBB79_3:
	s_load_b128 s[4:7], s[0:1], 0x58
	v_and_b32_e32 v1, 3, v0
	v_lshlrev_b32_e32 v10, 2, v0
	s_ashr_i32 s2, s24, 31
	s_ashr_i32 s3, s8, 31
	s_mul_i32 s20, s24, 0xc0
	s_waitcnt lgkmcnt(0)
	s_mov_b32 s7, exec_lo
	v_cmpx_gt_u32_e32 0x60, v0
	s_cbranch_execz .LBB79_5
; %bb.4:
	s_load_b64 s[8:9], s[0:1], 0x18
	s_mul_i32 s10, s14, s4
	v_and_b32_e32 v3, 0x3fc, v0
	s_ashr_i32 s11, s10, 31
	s_delay_alu instid0(SALU_CYCLE_1) | instskip(NEXT) | instid1(VALU_DEP_1)
	s_lshl_b64 s[10:11], s[10:11], 1
	v_mad_u32_u24 v3, 0x60, v1, v3
	s_waitcnt lgkmcnt(0)
	s_add_u32 s4, s8, s10
	s_addc_u32 s10, s9, s11
	s_ashr_i32 s21, s20, 31
	s_delay_alu instid0(SALU_CYCLE_1) | instskip(NEXT) | instid1(SALU_CYCLE_1)
	s_lshl_b64 s[8:9], s[20:21], 1
	s_add_u32 s8, s4, s8
	s_addc_u32 s9, s10, s9
	global_load_b32 v2, v10, s[8:9]
	s_waitcnt vmcnt(0)
	ds_store_b32 v3, v2
.LBB79_5:
	s_or_b32 exec_lo, exec_lo, s7
	s_load_b128 s[8:11], s[0:1], 0x78
	s_mul_i32 s4, s18, s16
	s_xor_b32 s2, s2, s3
	s_sub_i32 s3, s17, s4
	s_add_i32 s4, s18, 1
	s_sub_i32 s7, s3, s16
	s_cmp_ge_u32 s3, s16
	s_mov_b32 s17, -1
	s_cselect_b32 s4, s4, s18
	s_cselect_b32 s3, s7, s3
	s_add_i32 s7, s4, 1
	s_cmp_ge_u32 s3, s16
	s_waitcnt lgkmcnt(0)
	s_cselect_b32 s3, s7, s4
	s_load_b32 s4, s[0:1], 0x88
	s_xor_b32 s3, s3, s2
	s_add_i32 s16, s33, -1
	s_sub_i32 s3, s3, s2
	s_abs_i32 s7, s16
	s_waitcnt lgkmcnt(0)
	s_barrier
	s_abs_i32 s21, s11
	buffer_gl0_inv
	v_cvt_f32_u32_e32 v2, s21
	s_sub_i32 s2, 0, s21
                                        ; implicit-def: $sgpr36
	s_delay_alu instid0(VALU_DEP_1) | instskip(SKIP_2) | instid1(VALU_DEP_1)
	v_rcp_iflag_f32_e32 v2, v2
	s_waitcnt_depctr 0xfff
	v_mul_f32_e32 v2, 0x4f7ffffe, v2
	v_cvt_u32_f32_e32 v2, v2
	s_delay_alu instid0(VALU_DEP_1) | instskip(NEXT) | instid1(VALU_DEP_1)
	v_readfirstlane_b32 s25, v2
	s_mul_i32 s2, s2, s25
	s_delay_alu instid0(SALU_CYCLE_1) | instskip(NEXT) | instid1(SALU_CYCLE_1)
	s_mul_hi_u32 s2, s25, s2
	s_add_i32 s25, s25, s2
	s_cmp_lt_i32 s4, 0
	s_mul_hi_u32 s2, s7, s25
	s_cbranch_scc0 .LBB79_7
; %bb.6:
	s_mul_i32 s17, s8, s34
	s_delay_alu instid0(SALU_CYCLE_1) | instskip(NEXT) | instid1(SALU_CYCLE_1)
	s_add_i32 s17, s3, s17
	s_mul_i32 s17, s17, s4
	s_delay_alu instid0(SALU_CYCLE_1)
	s_sub_i32 s36, 1, s17
	s_mov_b32 s17, 0
.LBB79_7:
	s_load_b64 s[26:27], s[0:1], 0x38
	s_ashr_i32 s28, s16, 31
	s_and_not1_b32 vcc_lo, exec_lo, s17
	s_ashr_i32 s11, s11, 31
	s_cbranch_vccnz .LBB79_9
; %bb.8:
	s_mul_i32 s8, s13, s8
	s_delay_alu instid0(SALU_CYCLE_1) | instskip(NEXT) | instid1(SALU_CYCLE_1)
	s_add_i32 s8, s8, s24
	s_mul_i32 s4, s8, s4
	s_delay_alu instid0(SALU_CYCLE_1)
	s_add_i32 s36, s4, 1
.LBB79_9:
	s_clause 0x4
	s_load_b32 s8, s[0:1], 0x48
	s_load_b64 s[30:31], s[0:1], 0x28
	s_load_b32 s4, s[0:1], 0x98
	s_load_b128 s[16:19], s[0:1], 0x0
	s_load_b64 s[22:23], s[0:1], 0x10
	s_xor_b32 s37, s28, s11
	s_mul_i32 s28, s2, s21
	s_add_i32 s34, s2, 1
	s_sub_i32 s7, s7, s28
	v_lshrrev_b32_e32 v11, 5, v0
	v_mov_b32_e32 v4, 0xff7fffff
	v_mbcnt_lo_u32_b32 v3, -1, 0
	s_mul_i32 s6, s3, s6
	s_delay_alu instid0(VALU_DEP_3)
	v_lshl_add_u32 v12, v11, 3, s15
	s_waitcnt lgkmcnt(0)
	s_mul_i32 s28, s14, s8
	s_sub_i32 s8, s7, s21
	s_ashr_i32 s29, s28, 31
	s_cmp_ge_u32 s7, s21
	s_cselect_b32 s2, s34, s2
	s_cselect_b32 s7, s8, s7
	s_add_i32 s8, s2, 1
	s_cmp_ge_u32 s7, s21
	s_cselect_b32 s2, s8, s2
	s_add_i32 s7, s33, 7
	s_lshl_b32 s39, s12, 6
	s_ashr_i32 s8, s7, 31
	v_or_b32_e32 v5, s39, v11
	s_lshr_b32 s8, s8, 29
	s_delay_alu instid0(SALU_CYCLE_1)
	s_add_i32 s7, s7, s8
	s_add_i32 s8, s39, 64
	s_ashr_i32 s34, s7, 3
	s_xor_b32 s7, s2, s37
	s_min_i32 s8, s8, s34
	v_ashrrev_i32_e32 v6, 31, v5
	v_cmp_gt_i32_e64 s2, s8, v5
	s_sub_i32 s37, s7, s37
	s_delay_alu instid0(VALU_DEP_1)
	s_and_saveexec_b32 s40, s2
	s_cbranch_execz .LBB79_19
; %bb.10:
	s_load_b64 s[0:1], s[0:1], 0x20
	s_ashr_i32 s7, s6, 31
	v_bfe_u32 v7, v0, 2, 3
	s_lshl_b64 s[42:43], s[6:7], 1
	s_sub_i32 s7, s37, s9
	v_cmp_eq_u32_e32 vcc_lo, 0, v1
	v_mul_u32_u24_e32 v8, 0x60, v1
	v_subrev_nc_u32_e32 v19, s33, v7
	v_lshlrev_b32_e32 v22, 4, v7
	v_dual_mov_b32 v13, 0xff7fffff :: v_dual_and_b32 v18, 12, v10
	v_lshl_add_u32 v9, v11, 3, s15
	v_xor_b32_e32 v14, 2, v3
	v_xor_b32_e32 v15, 1, v3
	s_waitcnt lgkmcnt(0)
	s_add_u32 s3, s0, s42
	s_addc_u32 s1, s1, s43
	s_abs_i32 s41, s10
	v_cmp_neq_f32_e64 s0, s38, 0
	v_cvt_f32_u32_e32 v2, s41
	s_sub_i32 s42, 0, s41
	s_delay_alu instid0(VALU_DEP_1)
	v_rcp_iflag_f32_e32 v4, v2
	v_lshlrev_b32_e32 v16, 2, v7
	v_lshlrev_b64 v[1:2], 2, v[5:6]
	s_waitcnt_depctr 0xfff
	v_mul_f32_e32 v17, 0x4f7ffffe, v4
	v_lshl_or_b32 v20, v11, 5, v16
	v_add_nc_u32_e32 v16, 1, v19
	v_mov_b32_e32 v4, 0xff7fffff
	s_delay_alu instid0(VALU_DEP_4) | instskip(NEXT) | instid1(VALU_DEP_4)
	v_cvt_u32_f32_e32 v21, v17
	v_add_nc_u32_e32 v17, 0x1a0, v20
	v_add_co_u32 v20, s3, s3, v22
	s_delay_alu instid0(VALU_DEP_1) | instskip(NEXT) | instid1(VALU_DEP_4)
	v_add_co_ci_u32_e64 v22, null, s1, 0, s3
	v_mul_lo_u32 v19, s42, v21
	s_lshl_b64 s[42:43], s[28:29], 2
	s_delay_alu instid0(SALU_CYCLE_1) | instskip(SKIP_2) | instid1(VALU_DEP_1)
	s_add_u32 s1, s26, s42
	s_addc_u32 s3, s27, s43
	v_add_co_u32 v1, s1, s1, v1
	v_add_co_ci_u32_e64 v2, s1, s3, v2, s1
	s_delay_alu instid0(VALU_DEP_3) | instskip(SKIP_1) | instid1(VALU_DEP_1)
	v_mul_hi_u32 v23, v21, v19
	v_add_co_u32 v18, s1, v20, v18
	v_add_co_ci_u32_e64 v19, s1, 0, v22, s1
	s_mov_b32 s42, 0
	s_mov_b32 s43, s5
	s_delay_alu instid0(VALU_DEP_3)
	v_add_nc_u32_e32 v20, v21, v23
	v_mov_b32_e32 v21, v5
	s_branch .LBB79_13
.LBB79_11:                              ;   in Loop: Header=BB79_13 Depth=1
	s_or_b32 exec_lo, exec_lo, s44
.LBB79_12:                              ;   in Loop: Header=BB79_13 Depth=1
	s_delay_alu instid0(SALU_CYCLE_1) | instskip(SKIP_2) | instid1(VALU_DEP_1)
	s_or_b32 exec_lo, exec_lo, s3
	v_add_nc_u32_e32 v21, 4, v21
	v_add_co_u32 v1, s3, v1, 16
	v_add_co_ci_u32_e64 v2, s3, 0, v2, s3
	s_delay_alu instid0(VALU_DEP_3) | instskip(SKIP_2) | instid1(VALU_DEP_3)
	v_cmp_le_i32_e64 s1, s8, v21
	v_add_nc_u32_e32 v9, 32, v9
	v_add_nc_u32_e32 v17, 0x80, v17
	s_or_b32 s42, s1, s42
	s_delay_alu instid0(SALU_CYCLE_1)
	s_and_not1_b32 exec_lo, exec_lo, s42
	s_cbranch_execz .LBB79_18
.LBB79_13:                              ; =>This Inner Loop Header: Depth=1
	v_sub_nc_u32_e32 v22, 0, v9
	s_delay_alu instid0(VALU_DEP_1) | instskip(SKIP_1) | instid1(VALU_DEP_1)
	v_max_i32_e32 v22, v9, v22
	s_waitcnt lgkmcnt(0)
	v_mul_hi_u32 v23, v22, s25
	s_delay_alu instid0(VALU_DEP_1) | instskip(NEXT) | instid1(VALU_DEP_1)
	v_mul_lo_u32 v24, v23, s21
	v_sub_nc_u32_e32 v22, v22, v24
	v_add_nc_u32_e32 v24, 1, v23
	s_delay_alu instid0(VALU_DEP_2) | instskip(SKIP_1) | instid1(VALU_DEP_1)
	v_subrev_nc_u32_e32 v25, s21, v22
	v_cmp_le_u32_e64 s1, s21, v22
	v_cndmask_b32_e64 v23, v23, v24, s1
	s_delay_alu instid0(VALU_DEP_3) | instskip(SKIP_1) | instid1(VALU_DEP_3)
	v_cndmask_b32_e64 v22, v22, v25, s1
	v_ashrrev_i32_e32 v24, 31, v9
	v_add_nc_u32_e32 v25, 1, v23
	s_delay_alu instid0(VALU_DEP_3) | instskip(NEXT) | instid1(VALU_DEP_3)
	v_cmp_le_u32_e64 s1, s21, v22
	v_xor_b32_e32 v24, s11, v24
	s_delay_alu instid0(VALU_DEP_2) | instskip(NEXT) | instid1(VALU_DEP_1)
	v_cndmask_b32_e64 v22, v23, v25, s1
	v_xor_b32_e32 v22, v22, v24
	s_delay_alu instid0(VALU_DEP_1) | instskip(NEXT) | instid1(VALU_DEP_1)
	v_sub_nc_u32_e32 v22, v22, v24
	v_add_nc_u32_e32 v23, s36, v22
	v_cmp_ge_i32_e64 s3, s7, v22
	s_delay_alu instid0(VALU_DEP_2) | instskip(NEXT) | instid1(VALU_DEP_1)
	v_sub_nc_u32_e32 v24, 0, v23
	v_max_i32_e32 v24, v23, v24
	v_ashrrev_i32_e32 v23, 31, v23
	s_delay_alu instid0(VALU_DEP_2) | instskip(NEXT) | instid1(VALU_DEP_1)
	v_mul_hi_u32 v25, v24, v20
	v_mul_lo_u32 v25, v25, s41
	s_delay_alu instid0(VALU_DEP_1) | instskip(NEXT) | instid1(VALU_DEP_1)
	v_sub_nc_u32_e32 v24, v24, v25
	v_subrev_nc_u32_e32 v25, s41, v24
	v_cmp_le_u32_e64 s1, s41, v24
	s_delay_alu instid0(VALU_DEP_1) | instskip(NEXT) | instid1(VALU_DEP_1)
	v_cndmask_b32_e64 v24, v24, v25, s1
	v_subrev_nc_u32_e32 v25, s41, v24
	v_cmp_le_u32_e64 s1, s41, v24
	s_delay_alu instid0(VALU_DEP_1) | instskip(NEXT) | instid1(VALU_DEP_1)
	v_cndmask_b32_e64 v24, v24, v25, s1
	v_xor_b32_e32 v24, v24, v23
	s_delay_alu instid0(VALU_DEP_1) | instskip(NEXT) | instid1(VALU_DEP_1)
	v_sub_nc_u32_e32 v23, v24, v23
	v_cmp_ne_u32_e64 s1, 0, v23
	s_delay_alu instid0(VALU_DEP_1) | instskip(NEXT) | instid1(SALU_CYCLE_1)
	s_and_b32 s1, s1, s3
	s_and_b32 s44, vcc_lo, s1
	s_delay_alu instid0(SALU_CYCLE_1)
	s_and_saveexec_b32 s3, s44
	s_cbranch_execz .LBB79_15
; %bb.14:                               ;   in Loop: Header=BB79_13 Depth=1
	ds_store_b32 v17, v13
.LBB79_15:                              ;   in Loop: Header=BB79_13 Depth=1
	s_or_b32 exec_lo, exec_lo, s3
	s_xor_b32 s1, s1, -1
	s_delay_alu instid0(SALU_CYCLE_1)
	s_and_saveexec_b32 s3, s1
	s_cbranch_execz .LBB79_12
; %bb.16:                               ;   in Loop: Header=BB79_13 Depth=1
	global_load_b32 v24, v[1:2], off
	s_waitcnt vmcnt(0)
	v_mad_i64_i32 v[22:23], null, v24, s43, 0
	s_delay_alu instid0(VALU_DEP_1) | instskip(NEXT) | instid1(VALU_DEP_1)
	v_lshlrev_b64 v[22:23], 1, v[22:23]
	v_add_co_u32 v24, s1, v18, v22
	s_delay_alu instid0(VALU_DEP_1)
	v_add_co_ci_u32_e64 v25, s1, v19, v23, s1
	v_cmp_gt_i32_e64 s1, 32, v14
	s_clause 0xa
	global_load_b32 v22, v[24:25], off
	global_load_b32 v26, v[24:25], off offset:128
	global_load_b32 v27, v[24:25], off offset:256
	;; [unrolled: 1-line block ×10, first 2 shown]
	ds_load_b32 v23, v8
	s_clause 0x4
	global_load_b32 v38, v[24:25], off offset:1408
	global_load_b32 v39, v[24:25], off offset:1536
	;; [unrolled: 1-line block ×5, first 2 shown]
	s_waitcnt lgkmcnt(0)
	v_lshrrev_b32_e32 v36, 16, v23
	v_and_b32_e32 v37, 0xffff, v23
	s_waitcnt vmcnt(15)
	v_lshrrev_b32_e32 v43, 16, v22
	v_and_b32_e32 v44, 0xffff, v22
	s_clause 0x7
	global_load_b32 v45, v[24:25], off offset:2048
	global_load_b32 v46, v[24:25], off offset:2176
	;; [unrolled: 1-line block ×8, first 2 shown]
	;;#ASMSTART
	v_cvt_f32_f16 v24, v37;
	;;#ASMEND
	;;#ASMSTART
	v_cvt_f32_f16 v25, v36;
	;;#ASMEND
	;; [unrolled: 3-line block ×4, first 2 shown]
	ds_load_b32 v43, v8 offset:4
	s_waitcnt vmcnt(22)
	v_and_b32_e32 v51, 0xffff, v26
	v_lshrrev_b32_e32 v26, 16, v26
	s_waitcnt vmcnt(21)
	v_and_b32_e32 v54, 0xffff, v27
	v_lshrrev_b32_e32 v27, 16, v27
	;; [unrolled: 3-line block ×8, first 2 shown]
	s_waitcnt lgkmcnt(0)
	v_and_b32_e32 v44, 0xffff, v43
	v_lshrrev_b32_e32 v43, 16, v43
	;;#ASMSTART
	v_cvt_f32_f16 v44, v44;
	;;#ASMEND
	;;#ASMSTART
	v_cvt_f32_f16 v43, v43;
	;;#ASMEND
	;; [unrolled: 3-line block ×4, first 2 shown]
	ds_load_b32 v52, v8 offset:8
	v_dual_mul_f32 v26, v43, v26 :: v_dual_and_b32 v57, 0xffff, v28
	v_lshrrev_b32_e32 v28, 16, v28
	v_mul_f32_e32 v44, v44, v51
	s_delay_alu instid0(VALU_DEP_3) | instskip(NEXT) | instid1(VALU_DEP_2)
	v_fmac_f32_e32 v26, v25, v37
	v_fmac_f32_e32 v44, v24, v36
	s_waitcnt lgkmcnt(0)
	v_and_b32_e32 v53, 0xffff, v52
	v_lshrrev_b32_e32 v52, 16, v52
	;;#ASMSTART
	v_cvt_f32_f16 v53, v53;
	;;#ASMEND
	;;#ASMSTART
	v_cvt_f32_f16 v52, v52;
	;;#ASMEND
	;; [unrolled: 3-line block ×4, first 2 shown]
	ds_load_b32 v55, v8 offset:12
	v_dual_fmac_f32 v44, v53, v54 :: v_dual_and_b32 v69, 0xffff, v32
	v_lshrrev_b32_e32 v32, 16, v32
	v_fmac_f32_e32 v26, v52, v27
	s_waitcnt lgkmcnt(0)
	v_and_b32_e32 v56, 0xffff, v55
	v_lshrrev_b32_e32 v55, 16, v55
	;;#ASMSTART
	v_cvt_f32_f16 v56, v56;
	;;#ASMEND
	;;#ASMSTART
	v_cvt_f32_f16 v55, v55;
	;;#ASMEND
	;; [unrolled: 3-line block ×4, first 2 shown]
	ds_load_b32 v58, v8 offset:16
	v_dual_fmac_f32 v44, v56, v57 :: v_dual_and_b32 v63, 0xffff, v30
	v_lshrrev_b32_e32 v30, 16, v30
	v_dual_fmac_f32 v26, v55, v28 :: v_dual_and_b32 v75, 0xffff, v34
	v_lshrrev_b32_e32 v34, 16, v34
	s_waitcnt lgkmcnt(0)
	v_and_b32_e32 v59, 0xffff, v58
	v_lshrrev_b32_e32 v58, 16, v58
	;;#ASMSTART
	v_cvt_f32_f16 v59, v59;
	;;#ASMEND
	;;#ASMSTART
	v_cvt_f32_f16 v58, v58;
	;;#ASMEND
	;; [unrolled: 3-line block ×4, first 2 shown]
	ds_load_b32 v61, v8 offset:20
	v_fmac_f32_e32 v26, v58, v29
	v_fmac_f32_e32 v44, v59, v60
	s_waitcnt lgkmcnt(0)
	v_and_b32_e32 v62, 0xffff, v61
	v_lshrrev_b32_e32 v61, 16, v61
	;;#ASMSTART
	v_cvt_f32_f16 v62, v62;
	;;#ASMEND
	;;#ASMSTART
	v_cvt_f32_f16 v61, v61;
	;;#ASMEND
	;; [unrolled: 3-line block ×4, first 2 shown]
	ds_load_b32 v64, v8 offset:24
	v_dual_fmac_f32 v26, v61, v30 :: v_dual_and_b32 v87, 0xffff, v40
	v_lshrrev_b32_e32 v40, 16, v40
	s_waitcnt lgkmcnt(0)
	v_dual_fmac_f32 v44, v62, v63 :: v_dual_and_b32 v65, 0xffff, v64
	v_lshrrev_b32_e32 v64, 16, v64
	;;#ASMSTART
	v_cvt_f32_f16 v65, v65;
	;;#ASMEND
	;;#ASMSTART
	v_cvt_f32_f16 v64, v64;
	;;#ASMEND
	;; [unrolled: 3-line block ×4, first 2 shown]
	ds_load_b32 v67, v8 offset:28
	v_dual_fmac_f32 v26, v64, v31 :: v_dual_and_b32 v81, 0xffff, v38
	v_lshrrev_b32_e32 v38, 16, v38
	v_fmac_f32_e32 v44, v65, v66
	s_waitcnt lgkmcnt(0)
	v_and_b32_e32 v68, 0xffff, v67
	v_lshrrev_b32_e32 v67, 16, v67
	;;#ASMSTART
	v_cvt_f32_f16 v68, v68;
	;;#ASMEND
	;;#ASMSTART
	v_cvt_f32_f16 v67, v67;
	;;#ASMEND
	;; [unrolled: 3-line block ×4, first 2 shown]
	ds_load_b32 v70, v8 offset:32
	s_waitcnt vmcnt(8)
	v_dual_fmac_f32 v26, v67, v32 :: v_dual_and_b32 v93, 0xffff, v42
	v_lshrrev_b32_e32 v42, 16, v42
	s_waitcnt lgkmcnt(0)
	v_dual_fmac_f32 v44, v68, v69 :: v_dual_and_b32 v71, 0xffff, v70
	v_lshrrev_b32_e32 v70, 16, v70
	;;#ASMSTART
	v_cvt_f32_f16 v71, v71;
	;;#ASMEND
	;;#ASMSTART
	v_cvt_f32_f16 v70, v70;
	;;#ASMEND
	;; [unrolled: 3-line block ×4, first 2 shown]
	ds_load_b32 v73, v8 offset:36
	v_fmac_f32_e32 v26, v70, v33
	v_fmac_f32_e32 v44, v71, v72
	s_waitcnt lgkmcnt(0)
	v_and_b32_e32 v74, 0xffff, v73
	v_lshrrev_b32_e32 v73, 16, v73
	;;#ASMSTART
	v_cvt_f32_f16 v74, v74;
	;;#ASMEND
	;;#ASMSTART
	v_cvt_f32_f16 v73, v73;
	;;#ASMEND
	;; [unrolled: 3-line block ×4, first 2 shown]
	ds_load_b32 v76, v8 offset:40
	v_fmac_f32_e32 v44, v74, v75
	s_waitcnt lgkmcnt(0)
	v_dual_fmac_f32 v26, v73, v34 :: v_dual_and_b32 v77, 0xffff, v76
	v_lshrrev_b32_e32 v76, 16, v76
	;;#ASMSTART
	v_cvt_f32_f16 v77, v77;
	;;#ASMEND
	;;#ASMSTART
	v_cvt_f32_f16 v76, v76;
	;;#ASMEND
	;; [unrolled: 3-line block ×4, first 2 shown]
	ds_load_b32 v79, v8 offset:44
	v_fmac_f32_e32 v44, v77, v78
	v_fmac_f32_e32 v26, v76, v35
	s_waitcnt lgkmcnt(0)
	v_and_b32_e32 v80, 0xffff, v79
	v_lshrrev_b32_e32 v79, 16, v79
	;;#ASMSTART
	v_cvt_f32_f16 v80, v80;
	;;#ASMEND
	;;#ASMSTART
	v_cvt_f32_f16 v79, v79;
	;;#ASMEND
	;; [unrolled: 3-line block ×4, first 2 shown]
	ds_load_b32 v82, v8 offset:48
	s_waitcnt lgkmcnt(0)
	v_dual_fmac_f32 v44, v80, v81 :: v_dual_and_b32 v83, 0xffff, v82
	v_lshrrev_b32_e32 v82, 16, v82
	;;#ASMSTART
	v_cvt_f32_f16 v83, v83;
	;;#ASMEND
	;;#ASMSTART
	v_cvt_f32_f16 v82, v82;
	;;#ASMEND
	;; [unrolled: 3-line block ×4, first 2 shown]
	ds_load_b32 v85, v8 offset:52
	s_waitcnt vmcnt(7)
	v_and_b32_e32 v96, 0xffff, v45
	v_lshrrev_b32_e32 v45, 16, v45
	s_waitcnt vmcnt(6)
	v_and_b32_e32 v99, 0xffff, v46
	v_lshrrev_b32_e32 v46, 16, v46
	;; [unrolled: 3-line block ×4, first 2 shown]
	s_waitcnt vmcnt(3)
	v_lshrrev_b32_e32 v28, 16, v49
	v_and_b32_e32 v31, 0xffff, v49
	s_waitcnt vmcnt(2)
	v_lshrrev_b32_e32 v33, 16, v50
	v_and_b32_e32 v35, 0xffff, v50
	s_waitcnt lgkmcnt(0)
	v_and_b32_e32 v86, 0xffff, v85
	v_lshrrev_b32_e32 v85, 16, v85
	;;#ASMSTART
	v_cvt_f32_f16 v86, v86;
	;;#ASMEND
	;;#ASMSTART
	v_cvt_f32_f16 v85, v85;
	;;#ASMEND
	;;#ASMSTART
	v_cvt_f32_f16 v87, v87;
	;;#ASMEND
	;;#ASMSTART
	v_cvt_f32_f16 v40, v40;
	;;#ASMEND
	ds_load_b32 v88, v8 offset:56
	s_waitcnt lgkmcnt(0)
	v_and_b32_e32 v89, 0xffff, v88
	v_lshrrev_b32_e32 v88, 16, v88
	;;#ASMSTART
	v_cvt_f32_f16 v89, v89;
	;;#ASMEND
	;;#ASMSTART
	v_cvt_f32_f16 v88, v88;
	;;#ASMEND
	;;#ASMSTART
	v_cvt_f32_f16 v90, v90;
	;;#ASMEND
	;;#ASMSTART
	v_cvt_f32_f16 v41, v41;
	;;#ASMEND
	ds_load_b32 v91, v8 offset:60
	;; [unrolled: 16-line block ×9, first 2 shown]
	v_fmac_f32_e32 v26, v79, v38
	s_waitcnt vmcnt(1)
	v_lshrrev_b32_e32 v38, 16, v23
	v_dual_fmac_f32 v44, v83, v84 :: v_dual_and_b32 v23, 0xffff, v23
	s_delay_alu instid0(VALU_DEP_3) | instskip(NEXT) | instid1(VALU_DEP_2)
	v_fmac_f32_e32 v26, v82, v39
	v_fmac_f32_e32 v44, v86, v87
	s_delay_alu instid0(VALU_DEP_2) | instskip(NEXT) | instid1(VALU_DEP_2)
	v_fmac_f32_e32 v26, v85, v40
	v_fmac_f32_e32 v44, v89, v90
	s_delay_alu instid0(VALU_DEP_2) | instskip(NEXT) | instid1(VALU_DEP_2)
	v_fmac_f32_e32 v26, v88, v41
	v_fmac_f32_e32 v44, v92, v93
	s_waitcnt lgkmcnt(0)
	s_delay_alu instid0(VALU_DEP_2)
	v_dual_fmac_f32 v26, v91, v42 :: v_dual_and_b32 v39, 0xffff, v37
	v_lshrrev_b32_e32 v37, 16, v37
	;;#ASMSTART
	v_cvt_f32_f16 v39, v39;
	;;#ASMEND
	v_fmac_f32_e32 v44, v95, v96
	;;#ASMSTART
	v_cvt_f32_f16 v37, v37;
	;;#ASMEND
	v_fmac_f32_e32 v26, v94, v45
	;;#ASMSTART
	v_cvt_f32_f16 v23, v23;
	;;#ASMEND
	;;#ASMSTART
	v_cvt_f32_f16 v38, v38;
	;;#ASMEND
	v_fmac_f32_e32 v44, v98, v99
	ds_load_b32 v40, v8 offset:92
	v_fmac_f32_e32 v26, v97, v46
	v_fmac_f32_e32 v44, v101, v102
	s_delay_alu instid0(VALU_DEP_2) | instskip(NEXT) | instid1(VALU_DEP_2)
	v_fmac_f32_e32 v26, v100, v47
	v_fmac_f32_e32 v44, v24, v27
	v_cndmask_b32_e64 v24, v3, v14, s1
	s_delay_alu instid0(VALU_DEP_3)
	v_fmac_f32_e32 v26, v25, v36
	s_waitcnt vmcnt(0)
	v_lshrrev_b32_e32 v25, 16, v22
	v_and_b32_e32 v22, 0xffff, v22
	v_fmac_f32_e32 v44, v29, v31
	v_cmp_gt_i32_e64 s1, 32, v15
	v_fmac_f32_e32 v26, v30, v28
	s_waitcnt lgkmcnt(0)
	s_delay_alu instid0(VALU_DEP_3) | instskip(NEXT) | instid1(VALU_DEP_2)
	v_dual_fmac_f32 v44, v34, v35 :: v_dual_and_b32 v27, 0xffff, v40
	v_fmac_f32_e32 v26, v32, v33
	v_lshrrev_b32_e32 v28, 16, v40
	s_delay_alu instid0(VALU_DEP_3) | instskip(SKIP_1) | instid1(VALU_DEP_3)
	v_fmac_f32_e32 v44, v39, v23
	;;#ASMSTART
	v_cvt_f32_f16 v23, v27;
	;;#ASMEND
	v_fmac_f32_e32 v26, v37, v38
	;;#ASMSTART
	v_cvt_f32_f16 v27, v28;
	;;#ASMEND
	;;#ASMSTART
	v_cvt_f32_f16 v22, v22;
	;;#ASMEND
	;; [unrolled: 3-line block ×3, first 2 shown]
	v_fmac_f32_e32 v44, v23, v22
	v_fmac_f32_e32 v26, v27, v25
	v_lshlrev_b32_e32 v22, 2, v24
	v_cndmask_b32_e64 v24, v3, v15, s1
	s_delay_alu instid0(VALU_DEP_3)
	v_add_f32_e32 v23, v44, v26
	ds_bpermute_b32 v22, v22, v23
	s_waitcnt lgkmcnt(0)
	v_dual_add_f32 v22, v23, v22 :: v_dual_lshlrev_b32 v23, 2, v24
	ds_bpermute_b32 v23, v23, v22
	s_and_saveexec_b32 s44, vcc_lo
	s_cbranch_execz .LBB79_11
; %bb.17:                               ;   in Loop: Header=BB79_13 Depth=1
	s_waitcnt lgkmcnt(0)
	v_add_f32_e32 v22, v22, v23
	v_add_nc_u32_e32 v24, v16, v9
	s_delay_alu instid0(VALU_DEP_1) | instskip(NEXT) | instid1(VALU_DEP_1)
	v_cvt_f32_i32_e32 v24, v24
	v_mul_f32_e32 v24, s38, v24
	s_delay_alu instid0(VALU_DEP_1) | instskip(NEXT) | instid1(VALU_DEP_1)
	v_cndmask_b32_e64 v23, 0, v24, s0
	v_dual_max_f32 v24, v4, v4 :: v_dual_fmac_f32 v23, s35, v22
	v_add_nc_u32_e32 v22, v7, v9
	s_delay_alu instid0(VALU_DEP_2) | instskip(NEXT) | instid1(VALU_DEP_2)
	v_max_f32_e32 v24, v24, v23
	v_cmp_gt_i32_e64 s1, s33, v22
	s_delay_alu instid0(VALU_DEP_1) | instskip(NEXT) | instid1(VALU_DEP_3)
	v_cndmask_b32_e64 v22, 0, v23, s1
	v_cndmask_b32_e64 v4, v4, v24, s1
	ds_store_b32 v17, v22
	s_branch .LBB79_11
.LBB79_18:
	s_or_b32 exec_lo, exec_lo, s42
.LBB79_19:
	s_delay_alu instid0(SALU_CYCLE_1) | instskip(SKIP_4) | instid1(VALU_DEP_4)
	s_or_b32 exec_lo, exec_lo, s40
	v_xor_b32_e32 v1, 16, v3
	v_xor_b32_e32 v7, 8, v3
	v_and_b32_e32 v13, 31, v0
	v_max_f32_e32 v8, v4, v4
	v_cmp_gt_i32_e32 vcc_lo, 32, v1
	v_cndmask_b32_e32 v1, v3, v1, vcc_lo
	v_cmp_gt_i32_e32 vcc_lo, 32, v7
	s_delay_alu instid0(VALU_DEP_2) | instskip(SKIP_3) | instid1(VALU_DEP_1)
	v_lshlrev_b32_e32 v2, 2, v1
	ds_bpermute_b32 v1, v2, v4
	s_waitcnt lgkmcnt(0)
	v_dual_cndmask_b32 v4, v3, v7 :: v_dual_max_f32 v1, v1, v1
	v_dual_max_f32 v1, v8, v1 :: v_dual_lshlrev_b32 v4, 2, v4
	v_xor_b32_e32 v8, 4, v3
	ds_bpermute_b32 v7, v4, v1
	v_cmp_gt_i32_e32 vcc_lo, 32, v8
	s_waitcnt lgkmcnt(0)
	v_max_f32_e32 v7, v7, v7
	v_cndmask_b32_e32 v8, v3, v8, vcc_lo
	v_cmp_eq_u32_e32 vcc_lo, 0, v13
	s_delay_alu instid0(VALU_DEP_3) | instskip(NEXT) | instid1(VALU_DEP_3)
	v_max_f32_e32 v1, v1, v7
	v_lshlrev_b32_e32 v9, 2, v8
	v_lshlrev_b32_e32 v7, 2, v11
	ds_bpermute_b32 v8, v9, v1
	s_and_saveexec_b32 s0, vcc_lo
	s_cbranch_execz .LBB79_21
; %bb.20:
	s_waitcnt lgkmcnt(0)
	v_dual_max_f32 v8, v8, v8 :: v_dual_max_f32 v1, v1, v1
	s_delay_alu instid0(VALU_DEP_1)
	v_max_f32_e32 v1, v1, v8
	ds_store_b32 v7, v1 offset:384
.LBB79_21:
	s_or_b32 exec_lo, exec_lo, s0
	v_cmp_gt_u32_e64 s0, 4, v13
	s_waitcnt lgkmcnt(0)
	v_dual_mov_b32 v1, 0xff7fffff :: v_dual_lshlrev_b32 v8, 2, v13
	s_barrier
	buffer_gl0_inv
	s_and_saveexec_b32 s1, s0
	s_cbranch_execz .LBB79_23
; %bb.22:
	ds_load_b32 v1, v8 offset:384
.LBB79_23:
	s_or_b32 exec_lo, exec_lo, s1
	v_xor_b32_e32 v14, 2, v3
	v_xor_b32_e32 v16, 1, v3
	s_delay_alu instid0(VALU_DEP_2) | instskip(NEXT) | instid1(VALU_DEP_1)
	v_cmp_gt_i32_e64 s1, 32, v14
	v_cndmask_b32_e64 v14, v3, v14, s1
	s_delay_alu instid0(VALU_DEP_3) | instskip(NEXT) | instid1(VALU_DEP_2)
	v_cmp_gt_i32_e64 s1, 32, v16
	v_lshlrev_b32_e32 v14, 2, v14
	s_delay_alu instid0(VALU_DEP_2) | instskip(SKIP_1) | instid1(SALU_CYCLE_1)
	v_cndmask_b32_e64 v3, v3, v16, s1
	s_sub_i32 s1, s8, s39
	s_lshl_b32 s1, s1, 3
	s_waitcnt lgkmcnt(0)
	ds_bpermute_b32 v15, v14, v1
	v_max_f32_e32 v1, v1, v1
	s_add_i32 s1, s1, s15
	s_delay_alu instid0(SALU_CYCLE_1) | instskip(NEXT) | instid1(SALU_CYCLE_1)
	s_min_i32 s1, s1, s33
	s_sub_i32 s7, s1, s15
	s_delay_alu instid0(SALU_CYCLE_1) | instskip(SKIP_3) | instid1(VALU_DEP_2)
	v_cmp_gt_i32_e64 s1, s7, v0
	s_waitcnt lgkmcnt(0)
	v_max_f32_e32 v16, v15, v15
	v_lshlrev_b32_e32 v15, 2, v3
	v_dual_max_f32 v1, v1, v16 :: v_dual_mov_b32 v16, 0
	ds_bpermute_b32 v3, v15, v1
	s_waitcnt lgkmcnt(0)
	v_max_f32_e32 v3, v3, v3
	s_delay_alu instid0(VALU_DEP_1)
	v_max_f32_e32 v1, v1, v3
	v_lshl_add_u32 v3, v0, 2, 0x1a0
	ds_bpermute_b32 v1, v16, v1
	s_and_saveexec_b32 s15, s1
	s_cbranch_execz .LBB79_27
; %bb.24:
	v_lshl_add_u32 v17, v0, 2, 0x1a0
	v_mov_b32_e32 v16, 0
	v_mov_b32_e32 v18, v0
	s_mov_b32 s35, 0
	.p2align	6
.LBB79_25:                              ; =>This Inner Loop Header: Depth=1
	ds_load_b32 v19, v17
	v_add_nc_u32_e32 v18, 0x80, v18
	s_delay_alu instid0(VALU_DEP_1) | instskip(NEXT) | instid1(VALU_DEP_1)
	v_cmp_le_i32_e64 s3, s7, v18
	s_or_b32 s35, s3, s35
	s_waitcnt lgkmcnt(0)
	v_sub_f32_e32 v19, v19, v1
	s_delay_alu instid0(VALU_DEP_1) | instskip(NEXT) | instid1(VALU_DEP_1)
	v_mul_f32_e32 v19, 0x3fb8aa3b, v19
	v_exp_f32_e32 v19, v19
	ds_store_b32 v17, v19
	v_dual_add_f32 v16, v16, v19 :: v_dual_add_nc_u32 v17, 0x200, v17
	s_and_not1_b32 exec_lo, exec_lo, s35
	s_cbranch_execnz .LBB79_25
; %bb.26:
	s_or_b32 exec_lo, exec_lo, s35
.LBB79_27:
	s_delay_alu instid0(SALU_CYCLE_1)
	s_or_b32 exec_lo, exec_lo, s15
	ds_bpermute_b32 v2, v2, v16
	s_waitcnt lgkmcnt(0)
	v_add_f32_e32 v2, v16, v2
	ds_bpermute_b32 v4, v4, v2
	s_waitcnt lgkmcnt(0)
	v_add_f32_e32 v2, v2, v4
	;; [unrolled: 3-line block ×5, first 2 shown]
	s_and_saveexec_b32 s3, vcc_lo
	s_cbranch_execz .LBB79_29
; %bb.28:
	ds_store_b32 v7, v2 offset:400
.LBB79_29:
	s_or_b32 exec_lo, exec_lo, s3
	s_waitcnt lgkmcnt(0)
	s_barrier
	buffer_gl0_inv
	s_and_saveexec_b32 s3, s0
	s_cbranch_execz .LBB79_31
; %bb.30:
	ds_load_b32 v2, v8 offset:400
.LBB79_31:
	s_or_b32 exec_lo, exec_lo, s3
	s_waitcnt lgkmcnt(0)
	ds_bpermute_b32 v4, v14, v2
	s_waitcnt lgkmcnt(0)
	v_add_f32_e32 v2, v2, v4
	ds_bpermute_b32 v4, v15, v2
	s_waitcnt lgkmcnt(0)
	v_add_f32_e32 v2, v2, v4
	v_mov_b32_e32 v4, 0
	ds_bpermute_b32 v2, v4, v2
	s_and_saveexec_b32 s0, s1
	s_cbranch_execz .LBB79_34
; %bb.32:
	s_waitcnt lgkmcnt(0)
	v_add_f32_e32 v4, 0x358637bd, v2
	s_mov_b32 s1, 0
	s_delay_alu instid0(VALU_DEP_1) | instskip(SKIP_1) | instid1(VALU_DEP_2)
	v_div_scale_f32 v7, null, v4, v4, 1.0
	v_div_scale_f32 v14, vcc_lo, 1.0, v4, 1.0
	v_rcp_f32_e32 v8, v7
	s_waitcnt_depctr 0xfff
	v_fma_f32 v9, -v7, v8, 1.0
	s_delay_alu instid0(VALU_DEP_1) | instskip(NEXT) | instid1(VALU_DEP_1)
	v_fmac_f32_e32 v8, v9, v8
	v_mul_f32_e32 v9, v14, v8
	s_delay_alu instid0(VALU_DEP_1) | instskip(NEXT) | instid1(VALU_DEP_1)
	v_fma_f32 v15, -v7, v9, v14
	v_fmac_f32_e32 v9, v15, v8
	s_delay_alu instid0(VALU_DEP_1) | instskip(NEXT) | instid1(VALU_DEP_1)
	v_fma_f32 v7, -v7, v9, v14
	v_div_fmas_f32 v7, v7, v8, v9
	s_delay_alu instid0(VALU_DEP_1)
	v_div_fixup_f32 v4, v7, v4, 1.0
	v_mov_b32_e32 v7, v0
.LBB79_33:                              ; =>This Inner Loop Header: Depth=1
	ds_load_b32 v8, v3
	s_waitcnt lgkmcnt(0)
	v_dual_mul_f32 v8, v4, v8 :: v_dual_add_nc_u32 v7, 0x80, v7
	s_delay_alu instid0(VALU_DEP_1) | instskip(SKIP_3) | instid1(SALU_CYCLE_1)
	v_cmp_le_i32_e32 vcc_lo, s7, v7
	ds_store_b32 v3, v8
	v_add_nc_u32_e32 v3, 0x200, v3
	s_or_b32 s1, vcc_lo, s1
	s_and_not1_b32 exec_lo, exec_lo, s1
	s_cbranch_execnz .LBB79_33
.LBB79_34:
	s_or_b32 exec_lo, exec_lo, s0
	s_mul_i32 s0, s4, s14
	s_waitcnt lgkmcnt(0)
	s_mul_i32 s14, s0, s13
	s_mov_b32 s0, exec_lo
	s_barrier
	buffer_gl0_inv
	v_cmpx_eq_u32_e32 0, v0
	s_cbranch_execz .LBB79_36
; %bb.35:
	s_ashr_i32 s15, s14, 31
	s_mul_i32 s40, s4, s24
	s_lshl_b64 s[38:39], s[14:15], 2
	v_mov_b32_e32 v3, 0
	s_add_u32 s1, s18, s38
	s_addc_u32 s3, s19, s39
	s_ashr_i32 s41, s40, 31
	s_delay_alu instid0(SALU_CYCLE_1) | instskip(NEXT) | instid1(SALU_CYCLE_1)
	s_lshl_b64 s[18:19], s[40:41], 2
	s_add_u32 s1, s1, s18
	s_addc_u32 s3, s3, s19
	s_ashr_i32 s13, s12, 31
	s_delay_alu instid0(SALU_CYCLE_1) | instskip(NEXT) | instid1(SALU_CYCLE_1)
	s_lshl_b64 s[40:41], s[12:13], 2
	s_add_u32 s42, s1, s40
	s_addc_u32 s43, s3, s41
	s_add_u32 s1, s16, s38
	s_addc_u32 s3, s17, s39
	;; [unrolled: 2-line block ×4, first 2 shown]
	s_clause 0x1
	global_store_b32 v3, v1, s[42:43]
	global_store_b32 v3, v2, s[16:17]
.LBB79_36:
	s_or_b32 exec_lo, exec_lo, s0
	v_dual_mov_b32 v18, 0 :: v_dual_mov_b32 v15, 0
	v_dual_mov_b32 v14, 0 :: v_dual_mov_b32 v17, 0
	;; [unrolled: 1-line block ×3, first 2 shown]
	s_mov_b32 s3, 0
	s_and_saveexec_b32 s1, s2
	s_cbranch_execz .LBB79_54
; %bb.37:
	s_ashr_i32 s7, s6, 31
	s_sub_i32 s2, s37, s9
	s_lshl_b64 s[6:7], s[6:7], 1
	v_dual_mov_b32 v19, 0 :: v_dual_lshlrev_b32 v4, 4, v13
	s_add_u32 s0, s30, s6
	s_addc_u32 s15, s31, s7
	s_abs_i32 s6, s10
	s_delay_alu instid0(VALU_DEP_1) | instskip(SKIP_4) | instid1(VALU_DEP_2)
	v_add_co_u32 v21, s0, s0, v4
	v_cvt_f32_u32_e32 v1, s6
	s_sub_i32 s16, 0, s6
	s_add_i32 s34, s34, -1
	v_add_co_ci_u32_e64 v22, null, s15, 0, s0
	v_rcp_iflag_f32_e32 v1, v1
	v_lshl_add_u32 v20, v11, 5, 0x1a0
	v_dual_mov_b32 v17, 0 :: v_dual_mov_b32 v14, 0
	v_dual_mov_b32 v15, 0 :: v_dual_mov_b32 v18, 0
	s_mov_b32 s7, s33
	v_mov_b32_e32 v16, 0
	s_mov_b32 s9, s33
	s_mov_b32 s10, s33
	s_waitcnt_depctr 0xfff
	v_mul_f32_e32 v1, 0x4f7ffffe, v1
	s_mov_b32 s13, s33
	s_delay_alu instid0(VALU_DEP_1) | instskip(SKIP_1) | instid1(VALU_DEP_2)
	v_cvt_u32_f32_e32 v3, v1
	v_lshlrev_b64 v[1:2], 2, v[5:6]
	v_mul_lo_u32 v6, s16, v3
	s_lshl_b64 s[16:17], s[28:29], 2
	s_delay_alu instid0(SALU_CYCLE_1) | instskip(SKIP_3) | instid1(VALU_DEP_1)
	s_add_u32 s0, s26, s16
	s_addc_u32 s15, s27, s17
	s_mov_b32 s16, s33
	s_mov_b32 s17, s33
	v_mul_hi_u32 v8, v3, v6
	v_add_co_u32 v6, vcc_lo, s0, v1
	v_add_co_ci_u32_e32 v7, vcc_lo, s15, v2, vcc_lo
	s_mov_b32 s15, s33
	s_delay_alu instid0(VALU_DEP_3)
	v_add_nc_u32_e32 v23, v3, v8
	s_branch .LBB79_40
.LBB79_38:                              ;   in Loop: Header=BB79_40 Depth=1
	s_or_b32 exec_lo, exec_lo, s0
	s_waitcnt vmcnt(0)
	;;#ASMSTART
	v_pk_mul_f16 v1, v36, v1;

	;;#ASMEND
	v_dual_add_f32 v8, v43, v44 :: v_dual_add_f32 v9, v41, v42
	;;#ASMSTART
	v_pk_mul_f16 v2, v35, v2;

	;;#ASMEND
	;;#ASMSTART
	v_pk_mul_f16 v3, v34, v3;

	;;#ASMEND
	;; [unrolled: 4-line block ×3, first 2 shown]
	;;#ASMSTART
	v_pk_add_f16 v1, v1, v2;

	;;#ASMEND
	;;#ASMSTART
	v_pk_add_f16 v1, v1, v3;

	;;#ASMEND
	;; [unrolled: 4-line block ×3, first 2 shown]
	v_dual_add_f32 v3, v39, v40 :: v_dual_and_b32 v2, 0xffff, v1
	v_lshrrev_b32_e32 v1, 16, v1
	;;#ASMSTART
	v_cvt_f32_f16 v2, v2;
	;;#ASMEND
	;;#ASMSTART
	v_cvt_f32_f16 v1, v1;
	;;#ASMEND
	v_dual_add_f32 v14, v14, v8 :: v_dual_add_f32 v15, v15, v9
	s_delay_alu instid0(VALU_DEP_2) | instskip(SKIP_1) | instid1(VALU_DEP_2)
	v_dual_add_f32 v4, v37, v38 :: v_dual_add_f32 v1, v2, v1
	v_dual_add_f32 v8, v31, v33 :: v_dual_add_f32 v17, v17, v3
	;; [unrolled: 1-line block ×3, first 2 shown]
	s_delay_alu instid0(VALU_DEP_2)
	v_add_f32_e32 v16, v16, v8
.LBB79_39:                              ;   in Loop: Header=BB79_40 Depth=1
	s_or_b32 exec_lo, exec_lo, s18
	v_add_nc_u32_e32 v5, 4, v5
	v_add_co_u32 v6, s0, v6, 16
	s_delay_alu instid0(VALU_DEP_1) | instskip(NEXT) | instid1(VALU_DEP_3)
	v_add_co_ci_u32_e64 v7, s0, 0, v7, s0
	v_cmp_le_i32_e32 vcc_lo, s8, v5
	v_add_nc_u32_e32 v12, 32, v12
	v_add_nc_u32_e32 v20, 0x80, v20
	s_or_b32 s3, vcc_lo, s3
	s_delay_alu instid0(SALU_CYCLE_1)
	s_and_not1_b32 exec_lo, exec_lo, s3
	s_cbranch_execz .LBB79_53
.LBB79_40:                              ; =>This Inner Loop Header: Depth=1
	v_sub_nc_u32_e32 v1, 0, v12
	s_delay_alu instid0(VALU_DEP_1) | instskip(NEXT) | instid1(VALU_DEP_1)
	v_max_i32_e32 v1, v12, v1
	v_mul_hi_u32 v2, v1, s25
	s_delay_alu instid0(VALU_DEP_1) | instskip(NEXT) | instid1(VALU_DEP_1)
	v_mul_lo_u32 v3, v2, s21
	v_sub_nc_u32_e32 v1, v1, v3
	v_add_nc_u32_e32 v3, 1, v2
	s_delay_alu instid0(VALU_DEP_2) | instskip(SKIP_1) | instid1(VALU_DEP_2)
	v_subrev_nc_u32_e32 v4, s21, v1
	v_cmp_le_u32_e32 vcc_lo, s21, v1
	v_dual_cndmask_b32 v2, v2, v3 :: v_dual_cndmask_b32 v1, v1, v4
	v_ashrrev_i32_e32 v3, 31, v12
	s_delay_alu instid0(VALU_DEP_2) | instskip(NEXT) | instid1(VALU_DEP_3)
	v_add_nc_u32_e32 v4, 1, v2
	v_cmp_le_u32_e32 vcc_lo, s21, v1
	s_delay_alu instid0(VALU_DEP_3) | instskip(NEXT) | instid1(VALU_DEP_3)
	v_xor_b32_e32 v3, s11, v3
	v_cndmask_b32_e32 v1, v2, v4, vcc_lo
	s_delay_alu instid0(VALU_DEP_1) | instskip(NEXT) | instid1(VALU_DEP_1)
	v_xor_b32_e32 v1, v1, v3
	v_sub_nc_u32_e32 v1, v1, v3
	s_delay_alu instid0(VALU_DEP_1) | instskip(SKIP_1) | instid1(VALU_DEP_2)
	v_add_nc_u32_e32 v2, s36, v1
	v_cmp_lt_i32_e64 s0, s2, v1
	v_sub_nc_u32_e32 v3, 0, v2
	s_delay_alu instid0(VALU_DEP_1) | instskip(NEXT) | instid1(VALU_DEP_1)
	v_max_i32_e32 v3, v2, v3
	v_mul_hi_u32 v4, v3, v23
	s_delay_alu instid0(VALU_DEP_1) | instskip(NEXT) | instid1(VALU_DEP_1)
	v_mul_lo_u32 v4, v4, s6
	v_sub_nc_u32_e32 v3, v3, v4
	s_delay_alu instid0(VALU_DEP_1) | instskip(SKIP_1) | instid1(VALU_DEP_2)
	v_subrev_nc_u32_e32 v4, s6, v3
	v_cmp_le_u32_e32 vcc_lo, s6, v3
	v_cndmask_b32_e32 v3, v3, v4, vcc_lo
	v_ashrrev_i32_e32 v2, 31, v2
	s_delay_alu instid0(VALU_DEP_2) | instskip(SKIP_1) | instid1(VALU_DEP_2)
	v_subrev_nc_u32_e32 v4, s6, v3
	v_cmp_le_u32_e32 vcc_lo, s6, v3
	v_cndmask_b32_e32 v3, v3, v4, vcc_lo
	s_delay_alu instid0(VALU_DEP_1) | instskip(NEXT) | instid1(VALU_DEP_1)
	v_xor_b32_e32 v3, v3, v2
	v_sub_nc_u32_e32 v2, v3, v2
	s_delay_alu instid0(VALU_DEP_1) | instskip(SKIP_1) | instid1(SALU_CYCLE_1)
	v_cmp_eq_u32_e32 vcc_lo, 0, v2
	s_or_b32 s0, vcc_lo, s0
	s_and_saveexec_b32 s18, s0
	s_cbranch_execz .LBB79_39
; %bb.41:                               ;   in Loop: Header=BB79_40 Depth=1
	global_load_b32 v28, v[6:7], off
	ds_load_2addr_b64 v[1:4], v20 offset1:1
	ds_load_2addr_b64 v[24:27], v20 offset0:2 offset1:3
	v_or_b32_e32 v29, 7, v12
	v_or_b32_e32 v30, 6, v12
	s_waitcnt lgkmcnt(1)
	;;#ASMSTART
	v_cvt_f16_f32 v34, v1;

	;;#ASMEND
	;;#ASMSTART
	v_cvt_f16_f32 v31, v2;

	;;#ASMEND
	;; [unrolled: 4-line block ×4, first 2 shown]
	s_waitcnt lgkmcnt(0)
	;;#ASMSTART
	v_cvt_f16_f32 v36, v24;

	;;#ASMEND
	;;#ASMSTART
	v_cvt_f16_f32 v33, v25;

	;;#ASMEND
	;; [unrolled: 4-line block ×4, first 2 shown]
	v_add_nc_u32_e32 v24, 1, v12
	v_or_b32_e32 v26, 3, v12
	v_or_b32_e32 v25, 2, v12
	;; [unrolled: 1-line block ×3, first 2 shown]
	s_waitcnt vmcnt(0)
	v_mad_i64_i32 v[8:9], null, v28, s5, 0
	v_or_b32_e32 v28, 5, v12
	s_delay_alu instid0(VALU_DEP_2) | instskip(NEXT) | instid1(VALU_DEP_1)
	v_lshlrev_b64 v[8:9], 1, v[8:9]
	v_add_co_u32 v8, vcc_lo, v21, v8
	s_delay_alu instid0(VALU_DEP_2)
	v_add_co_ci_u32_e32 v9, vcc_lo, v22, v9, vcc_lo
	v_cmp_eq_u32_e32 vcc_lo, s34, v5
	global_load_b128 v[1:4], v[8:9], off
	s_and_saveexec_b32 s19, vcc_lo
	s_cbranch_execz .LBB79_43
; %bb.42:                               ;   in Loop: Header=BB79_40 Depth=1
	v_cmp_gt_i32_e64 s0, s16, v30
	s_waitcnt vmcnt(0)
	v_lshrrev_b32_e32 v39, 16, v4
	v_lshrrev_b32_e32 v40, 16, v3
	;; [unrolled: 1-line block ×4, first 2 shown]
	v_cndmask_b32_e64 v4, 0, v4, s0
	v_cmp_gt_i32_e64 s0, s17, v29
	s_delay_alu instid0(VALU_DEP_1) | instskip(SKIP_1) | instid1(VALU_DEP_2)
	v_cndmask_b32_e64 v39, 0, v39, s0
	v_cmp_gt_i32_e64 s0, s15, v28
	v_perm_b32 v4, v39, v4, 0x5040100
	s_delay_alu instid0(VALU_DEP_2) | instskip(SKIP_1) | instid1(VALU_DEP_1)
	v_cndmask_b32_e64 v40, 0, v40, s0
	v_cmp_gt_i32_e64 s0, s13, v27
	v_cndmask_b32_e64 v3, 0, v3, s0
	v_cmp_gt_i32_e64 s0, s10, v26
	s_delay_alu instid0(VALU_DEP_2) | instskip(NEXT) | instid1(VALU_DEP_2)
	v_perm_b32 v3, v40, v3, 0x5040100
	v_cndmask_b32_e64 v41, 0, v41, s0
	v_cmp_gt_i32_e64 s0, s9, v25
	s_delay_alu instid0(VALU_DEP_1) | instskip(SKIP_1) | instid1(VALU_DEP_2)
	v_cndmask_b32_e64 v2, 0, v2, s0
	v_cmp_gt_i32_e64 s0, s7, v24
	v_perm_b32 v2, v41, v2, 0x5040100
	s_delay_alu instid0(VALU_DEP_2) | instskip(SKIP_1) | instid1(VALU_DEP_1)
	v_cndmask_b32_e64 v42, 0, v42, s0
	v_cmp_gt_i32_e64 s0, s33, v12
	v_cndmask_b32_e64 v1, 0, v1, s0
	s_delay_alu instid0(VALU_DEP_1)
	v_perm_b32 v1, v42, v1, 0x5040100
.LBB79_43:                              ;   in Loop: Header=BB79_40 Depth=1
	s_or_b32 exec_lo, exec_lo, s19
	v_and_b32_e32 v34, 0xffff, v34
	v_and_b32_e32 v35, 0xffff, v35
	;; [unrolled: 1-line block ×4, first 2 shown]
	s_delay_alu instid0(VALU_DEP_4)
	v_lshl_or_b32 v36, v31, 16, v34
	s_waitcnt vmcnt(0)
	;;#ASMSTART
	v_pk_mul_f16 v1, v36, v1;

	;;#ASMEND
	v_lshl_or_b32 v35, v32, 16, v35
	v_lshl_or_b32 v34, v33, 16, v39
	;; [unrolled: 1-line block ×3, first 2 shown]
	;;#ASMSTART
	v_pk_mul_f16 v2, v35, v2;

	;;#ASMEND
	;;#ASMSTART
	v_pk_mul_f16 v3, v34, v3;

	;;#ASMEND
	;; [unrolled: 4-line block ×3, first 2 shown]
	;;#ASMSTART
	v_pk_add_f16 v1, v1, v2;

	;;#ASMEND
	;;#ASMSTART
	v_pk_add_f16 v1, v1, v3;

	;;#ASMEND
	;;#ASMSTART
	v_pk_add_f16 v1, v1, v4;

	;;#ASMEND
	v_and_b32_e32 v2, 0xffff, v1
	v_lshrrev_b32_e32 v1, 16, v1
	;;#ASMSTART
	v_cvt_f32_f16 v31, v2;
	;;#ASMEND
	;;#ASMSTART
	v_cvt_f32_f16 v33, v1;
	;;#ASMEND
	global_load_b128 v[1:4], v[8:9], off offset:512
	s_and_saveexec_b32 s19, vcc_lo
	s_cbranch_execz .LBB79_45
; %bb.44:                               ;   in Loop: Header=BB79_40 Depth=1
	v_cmp_gt_i32_e64 s0, s16, v30
	s_waitcnt vmcnt(0)
	v_lshrrev_b32_e32 v37, 16, v4
	v_lshrrev_b32_e32 v38, 16, v3
	v_lshrrev_b32_e32 v39, 16, v2
	v_lshrrev_b32_e32 v40, 16, v1
	v_cndmask_b32_e64 v4, 0, v4, s0
	v_cmp_gt_i32_e64 s0, s17, v29
	s_delay_alu instid0(VALU_DEP_1) | instskip(SKIP_1) | instid1(VALU_DEP_2)
	v_cndmask_b32_e64 v37, 0, v37, s0
	v_cmp_gt_i32_e64 s0, s15, v28
	v_perm_b32 v4, v37, v4, 0x5040100
	s_delay_alu instid0(VALU_DEP_2) | instskip(SKIP_1) | instid1(VALU_DEP_1)
	v_cndmask_b32_e64 v38, 0, v38, s0
	v_cmp_gt_i32_e64 s0, s13, v27
	v_cndmask_b32_e64 v3, 0, v3, s0
	v_cmp_gt_i32_e64 s0, s10, v26
	s_delay_alu instid0(VALU_DEP_2) | instskip(NEXT) | instid1(VALU_DEP_2)
	v_perm_b32 v3, v38, v3, 0x5040100
	v_cndmask_b32_e64 v39, 0, v39, s0
	v_cmp_gt_i32_e64 s0, s9, v25
	s_delay_alu instid0(VALU_DEP_1) | instskip(SKIP_1) | instid1(VALU_DEP_2)
	v_cndmask_b32_e64 v2, 0, v2, s0
	v_cmp_gt_i32_e64 s0, s7, v24
	v_perm_b32 v2, v39, v2, 0x5040100
	s_delay_alu instid0(VALU_DEP_2) | instskip(SKIP_1) | instid1(VALU_DEP_1)
	v_cndmask_b32_e64 v40, 0, v40, s0
	v_cmp_gt_i32_e64 s0, s33, v12
	v_cndmask_b32_e64 v1, 0, v1, s0
	s_delay_alu instid0(VALU_DEP_1)
	v_perm_b32 v1, v40, v1, 0x5040100
.LBB79_45:                              ;   in Loop: Header=BB79_40 Depth=1
	s_or_b32 exec_lo, exec_lo, s19
	s_waitcnt vmcnt(0)
	;;#ASMSTART
	v_pk_mul_f16 v1, v36, v1;

	;;#ASMEND
	;;#ASMSTART
	v_pk_mul_f16 v2, v35, v2;

	;;#ASMEND
	;; [unrolled: 4-line block ×4, first 2 shown]
	;;#ASMSTART
	v_pk_add_f16 v1, v1, v2;

	;;#ASMEND
	;;#ASMSTART
	v_pk_add_f16 v1, v1, v3;

	;;#ASMEND
	;; [unrolled: 4-line block ×3, first 2 shown]
	v_and_b32_e32 v2, 0xffff, v1
	v_lshrrev_b32_e32 v1, 16, v1
	;;#ASMSTART
	v_cvt_f32_f16 v37, v2;
	;;#ASMEND
	;;#ASMSTART
	v_cvt_f32_f16 v38, v1;
	;;#ASMEND
	global_load_b128 v[1:4], v[8:9], off offset:1024
	s_and_saveexec_b32 s19, vcc_lo
	s_cbranch_execz .LBB79_47
; %bb.46:                               ;   in Loop: Header=BB79_40 Depth=1
	v_cmp_gt_i32_e64 s0, s16, v30
	s_waitcnt vmcnt(0)
	v_lshrrev_b32_e32 v39, 16, v4
	v_lshrrev_b32_e32 v40, 16, v3
	;; [unrolled: 1-line block ×4, first 2 shown]
	v_cndmask_b32_e64 v4, 0, v4, s0
	v_cmp_gt_i32_e64 s0, s17, v29
	s_delay_alu instid0(VALU_DEP_1) | instskip(SKIP_1) | instid1(VALU_DEP_2)
	v_cndmask_b32_e64 v39, 0, v39, s0
	v_cmp_gt_i32_e64 s0, s15, v28
	v_perm_b32 v4, v39, v4, 0x5040100
	s_delay_alu instid0(VALU_DEP_2) | instskip(SKIP_1) | instid1(VALU_DEP_1)
	v_cndmask_b32_e64 v40, 0, v40, s0
	v_cmp_gt_i32_e64 s0, s13, v27
	v_cndmask_b32_e64 v3, 0, v3, s0
	v_cmp_gt_i32_e64 s0, s10, v26
	s_delay_alu instid0(VALU_DEP_2) | instskip(NEXT) | instid1(VALU_DEP_2)
	v_perm_b32 v3, v40, v3, 0x5040100
	v_cndmask_b32_e64 v41, 0, v41, s0
	v_cmp_gt_i32_e64 s0, s9, v25
	s_delay_alu instid0(VALU_DEP_1) | instskip(SKIP_1) | instid1(VALU_DEP_2)
	v_cndmask_b32_e64 v2, 0, v2, s0
	v_cmp_gt_i32_e64 s0, s7, v24
	v_perm_b32 v2, v41, v2, 0x5040100
	s_delay_alu instid0(VALU_DEP_2) | instskip(SKIP_1) | instid1(VALU_DEP_1)
	v_cndmask_b32_e64 v42, 0, v42, s0
	v_cmp_gt_i32_e64 s0, s33, v12
	v_cndmask_b32_e64 v1, 0, v1, s0
	s_delay_alu instid0(VALU_DEP_1)
	v_perm_b32 v1, v42, v1, 0x5040100
.LBB79_47:                              ;   in Loop: Header=BB79_40 Depth=1
	s_or_b32 exec_lo, exec_lo, s19
	s_waitcnt vmcnt(0)
	;;#ASMSTART
	v_pk_mul_f16 v1, v36, v1;

	;;#ASMEND
	;;#ASMSTART
	v_pk_mul_f16 v2, v35, v2;

	;;#ASMEND
	;;#ASMSTART
	v_pk_mul_f16 v3, v34, v3;

	;;#ASMEND
	;;#ASMSTART
	v_pk_mul_f16 v4, v32, v4;

	;;#ASMEND
	;;#ASMSTART
	v_pk_add_f16 v1, v1, v2;

	;;#ASMEND
	;;#ASMSTART
	v_pk_add_f16 v1, v1, v3;

	;;#ASMEND
	;; [unrolled: 4-line block ×3, first 2 shown]
	v_and_b32_e32 v2, 0xffff, v1
	v_lshrrev_b32_e32 v1, 16, v1
	;;#ASMSTART
	v_cvt_f32_f16 v39, v2;
	;;#ASMEND
	;;#ASMSTART
	v_cvt_f32_f16 v40, v1;
	;;#ASMEND
	global_load_b128 v[1:4], v[8:9], off offset:1536
	s_and_saveexec_b32 s19, vcc_lo
	s_cbranch_execz .LBB79_49
; %bb.48:                               ;   in Loop: Header=BB79_40 Depth=1
	v_cmp_gt_i32_e64 s0, s16, v30
	s_waitcnt vmcnt(0)
	v_lshrrev_b32_e32 v41, 16, v4
	v_lshrrev_b32_e32 v42, 16, v3
	v_lshrrev_b32_e32 v43, 16, v2
	v_lshrrev_b32_e32 v44, 16, v1
	v_cndmask_b32_e64 v4, 0, v4, s0
	v_cmp_gt_i32_e64 s0, s17, v29
	s_delay_alu instid0(VALU_DEP_1) | instskip(SKIP_1) | instid1(VALU_DEP_2)
	v_cndmask_b32_e64 v41, 0, v41, s0
	v_cmp_gt_i32_e64 s0, s15, v28
	v_perm_b32 v4, v41, v4, 0x5040100
	s_delay_alu instid0(VALU_DEP_2) | instskip(SKIP_1) | instid1(VALU_DEP_1)
	v_cndmask_b32_e64 v42, 0, v42, s0
	v_cmp_gt_i32_e64 s0, s13, v27
	v_cndmask_b32_e64 v3, 0, v3, s0
	v_cmp_gt_i32_e64 s0, s10, v26
	s_delay_alu instid0(VALU_DEP_2) | instskip(NEXT) | instid1(VALU_DEP_2)
	v_perm_b32 v3, v42, v3, 0x5040100
	v_cndmask_b32_e64 v43, 0, v43, s0
	v_cmp_gt_i32_e64 s0, s9, v25
	s_delay_alu instid0(VALU_DEP_1) | instskip(SKIP_1) | instid1(VALU_DEP_2)
	v_cndmask_b32_e64 v2, 0, v2, s0
	v_cmp_gt_i32_e64 s0, s7, v24
	v_perm_b32 v2, v43, v2, 0x5040100
	s_delay_alu instid0(VALU_DEP_2) | instskip(SKIP_1) | instid1(VALU_DEP_1)
	v_cndmask_b32_e64 v44, 0, v44, s0
	v_cmp_gt_i32_e64 s0, s33, v12
	v_cndmask_b32_e64 v1, 0, v1, s0
	s_delay_alu instid0(VALU_DEP_1)
	v_perm_b32 v1, v44, v1, 0x5040100
.LBB79_49:                              ;   in Loop: Header=BB79_40 Depth=1
	s_or_b32 exec_lo, exec_lo, s19
	s_waitcnt vmcnt(0)
	;;#ASMSTART
	v_pk_mul_f16 v1, v36, v1;

	;;#ASMEND
	;;#ASMSTART
	v_pk_mul_f16 v2, v35, v2;

	;;#ASMEND
	;; [unrolled: 4-line block ×4, first 2 shown]
	;;#ASMSTART
	v_pk_add_f16 v1, v1, v2;

	;;#ASMEND
	;;#ASMSTART
	v_pk_add_f16 v1, v1, v3;

	;;#ASMEND
	;; [unrolled: 4-line block ×3, first 2 shown]
	v_and_b32_e32 v2, 0xffff, v1
	v_lshrrev_b32_e32 v1, 16, v1
	;;#ASMSTART
	v_cvt_f32_f16 v41, v2;
	;;#ASMEND
	;;#ASMSTART
	v_cvt_f32_f16 v42, v1;
	;;#ASMEND
	global_load_b128 v[1:4], v[8:9], off offset:2048
	s_and_saveexec_b32 s19, vcc_lo
	s_cbranch_execz .LBB79_51
; %bb.50:                               ;   in Loop: Header=BB79_40 Depth=1
	v_cmp_gt_i32_e64 s0, s16, v30
	s_waitcnt vmcnt(0)
	v_lshrrev_b32_e32 v43, 16, v4
	v_lshrrev_b32_e32 v44, 16, v3
	v_lshrrev_b32_e32 v45, 16, v2
	v_lshrrev_b32_e32 v46, 16, v1
	v_cndmask_b32_e64 v4, 0, v4, s0
	v_cmp_gt_i32_e64 s0, s17, v29
	s_delay_alu instid0(VALU_DEP_1) | instskip(SKIP_1) | instid1(VALU_DEP_2)
	v_cndmask_b32_e64 v43, 0, v43, s0
	v_cmp_gt_i32_e64 s0, s15, v28
	v_perm_b32 v4, v43, v4, 0x5040100
	s_delay_alu instid0(VALU_DEP_2) | instskip(SKIP_1) | instid1(VALU_DEP_1)
	v_cndmask_b32_e64 v44, 0, v44, s0
	v_cmp_gt_i32_e64 s0, s13, v27
	v_cndmask_b32_e64 v3, 0, v3, s0
	v_cmp_gt_i32_e64 s0, s10, v26
	s_delay_alu instid0(VALU_DEP_2) | instskip(NEXT) | instid1(VALU_DEP_2)
	v_perm_b32 v3, v44, v3, 0x5040100
	v_cndmask_b32_e64 v45, 0, v45, s0
	v_cmp_gt_i32_e64 s0, s9, v25
	s_delay_alu instid0(VALU_DEP_1) | instskip(SKIP_1) | instid1(VALU_DEP_2)
	v_cndmask_b32_e64 v2, 0, v2, s0
	v_cmp_gt_i32_e64 s0, s7, v24
	v_perm_b32 v2, v45, v2, 0x5040100
	s_delay_alu instid0(VALU_DEP_2) | instskip(SKIP_1) | instid1(VALU_DEP_1)
	v_cndmask_b32_e64 v46, 0, v46, s0
	v_cmp_gt_i32_e64 s0, s33, v12
	v_cndmask_b32_e64 v1, 0, v1, s0
	s_delay_alu instid0(VALU_DEP_1)
	v_perm_b32 v1, v46, v1, 0x5040100
.LBB79_51:                              ;   in Loop: Header=BB79_40 Depth=1
	s_or_b32 exec_lo, exec_lo, s19
	s_waitcnt vmcnt(0)
	;;#ASMSTART
	v_pk_mul_f16 v1, v36, v1;

	;;#ASMEND
	;;#ASMSTART
	v_pk_mul_f16 v2, v35, v2;

	;;#ASMEND
	;; [unrolled: 4-line block ×4, first 2 shown]
	;;#ASMSTART
	v_pk_add_f16 v1, v1, v2;

	;;#ASMEND
	;;#ASMSTART
	v_pk_add_f16 v1, v1, v3;

	;;#ASMEND
	;; [unrolled: 4-line block ×3, first 2 shown]
	v_and_b32_e32 v2, 0xffff, v1
	v_lshrrev_b32_e32 v1, 16, v1
	;;#ASMSTART
	v_cvt_f32_f16 v43, v2;
	;;#ASMEND
	;;#ASMSTART
	v_cvt_f32_f16 v44, v1;
	;;#ASMEND
	global_load_b128 v[1:4], v[8:9], off offset:2560
	s_and_saveexec_b32 s0, vcc_lo
	s_cbranch_execz .LBB79_38
; %bb.52:                               ;   in Loop: Header=BB79_40 Depth=1
	v_cmp_gt_i32_e32 vcc_lo, s16, v30
	s_waitcnt vmcnt(0)
	v_lshrrev_b32_e32 v8, 16, v4
	v_lshrrev_b32_e32 v9, 16, v3
	v_cndmask_b32_e32 v4, 0, v4, vcc_lo
	v_cmp_gt_i32_e32 vcc_lo, s17, v29
	s_delay_alu instid0(VALU_DEP_4)
	v_cndmask_b32_e32 v8, 0, v8, vcc_lo
	v_cmp_gt_i32_e32 vcc_lo, s15, v28
	v_lshrrev_b32_e32 v28, 16, v2
	v_cndmask_b32_e32 v9, 0, v9, vcc_lo
	v_cmp_gt_i32_e32 vcc_lo, s13, v27
	v_lshrrev_b32_e32 v27, 16, v1
	v_cndmask_b32_e32 v3, 0, v3, vcc_lo
	v_cmp_gt_i32_e32 vcc_lo, s10, v26
	v_perm_b32 v4, v8, v4, 0x5040100
	s_delay_alu instid0(VALU_DEP_3)
	v_perm_b32 v3, v9, v3, 0x5040100
	v_cndmask_b32_e32 v26, 0, v28, vcc_lo
	v_cmp_gt_i32_e32 vcc_lo, s9, v25
	v_cndmask_b32_e32 v2, 0, v2, vcc_lo
	v_cmp_gt_i32_e32 vcc_lo, s7, v24
	;; [unrolled: 2-line block ×3, first 2 shown]
	v_cndmask_b32_e32 v1, 0, v1, vcc_lo
	v_perm_b32 v2, v26, v2, 0x5040100
	s_delay_alu instid0(VALU_DEP_2)
	v_perm_b32 v1, v24, v1, 0x5040100
	s_branch .LBB79_38
.LBB79_53:
	s_or_b32 exec_lo, exec_lo, s3
.LBB79_54:
	s_delay_alu instid0(SALU_CYCLE_1)
	s_or_b32 exec_lo, exec_lo, s1
	s_movk_i32 s0, 0x300
	v_and_b32_e32 v2, 0x3c0, v0
	v_mad_u32_u24 v1, v11, s0, 0x1a0
	s_mov_b32 s0, exec_lo
	s_waitcnt_vscnt null, 0x0
	s_barrier
	buffer_gl0_inv
	v_cmpx_eq_u32_e32 64, v2
	s_cbranch_execz .LBB79_56
; %bb.55:
	v_add_nc_u32_e32 v2, 0xfffffa00, v1
	v_lshl_or_b32 v3, v0, 2, 0x180
	s_delay_alu instid0(VALU_DEP_2) | instskip(NEXT) | instid1(VALU_DEP_2)
	v_lshl_add_u32 v4, v13, 2, v2
	v_add_nc_u32_e32 v2, v2, v3
	ds_store_2addr_b32 v4, v16, v19 offset1:32
	ds_store_b32 v2, v15
	ds_store_2addr_stride64_b32 v4, v17, v14 offset0:1 offset1:2
	ds_store_b32 v4, v18 offset:640
.LBB79_56:
	s_or_b32 exec_lo, exec_lo, s0
	v_lshl_add_u32 v2, v13, 2, v1
	s_mov_b32 s0, exec_lo
	s_waitcnt lgkmcnt(0)
	s_barrier
	buffer_gl0_inv
	v_cmpx_gt_u32_e32 64, v0
	s_cbranch_execz .LBB79_58
; %bb.57:
	v_or_b32_e32 v3, 0x80, v10
	v_or_b32_e32 v4, 0x180, v10
	;; [unrolled: 1-line block ×3, first 2 shown]
	s_delay_alu instid0(VALU_DEP_3) | instskip(NEXT) | instid1(VALU_DEP_3)
	v_add_nc_u32_e32 v6, v1, v3
	v_add_nc_u32_e32 v7, v1, v4
	s_delay_alu instid0(VALU_DEP_3)
	v_add_nc_u32_e32 v5, v1, v5
	ds_load_2addr_stride64_b32 v[3:4], v2 offset1:1
	ds_load_b32 v8, v2 offset:512
	ds_load_b32 v6, v6
	ds_load_b32 v7, v7
	;; [unrolled: 1-line block ×3, first 2 shown]
	s_waitcnt lgkmcnt(4)
	v_add_f32_e32 v16, v16, v3
	s_waitcnt lgkmcnt(3)
	v_add_f32_e32 v14, v14, v8
	v_add_f32_e32 v17, v17, v4
	s_waitcnt lgkmcnt(0)
	v_dual_add_f32 v19, v19, v6 :: v_dual_add_f32 v18, v18, v5
	v_add_f32_e32 v15, v15, v7
.LBB79_58:
	s_or_b32 exec_lo, exec_lo, s0
	v_and_b32_e32 v3, 0x3e0, v0
	s_mov_b32 s0, exec_lo
	s_barrier
	buffer_gl0_inv
	v_cmpx_eq_u32_e32 32, v3
	s_cbranch_execz .LBB79_60
; %bb.59:
	v_add_nc_u32_e32 v3, 0xfffffd00, v1
	v_or_b32_e32 v4, 0x180, v10
	v_or_b32_e32 v5, 0x280, v10
	s_delay_alu instid0(VALU_DEP_3) | instskip(SKIP_1) | instid1(VALU_DEP_4)
	v_lshl_add_u32 v6, v13, 2, v3
	v_add_nc_u32_e32 v7, v3, v10
	v_add_nc_u32_e32 v4, v3, v4
	s_delay_alu instid0(VALU_DEP_4)
	v_add_nc_u32_e32 v3, v3, v5
	ds_store_b32 v6, v16
	ds_store_b32 v7, v19
	;; [unrolled: 1-line block ×3, first 2 shown]
	ds_store_2addr_stride64_b32 v6, v17, v14 offset0:1 offset1:2
	ds_store_b32 v3, v18
.LBB79_60:
	s_or_b32 exec_lo, exec_lo, s0
	v_cmp_gt_u32_e32 vcc_lo, 32, v0
	s_waitcnt lgkmcnt(0)
	s_barrier
	buffer_gl0_inv
	s_and_saveexec_b32 s0, vcc_lo
	s_cbranch_execz .LBB79_62
; %bb.61:
	v_lshl_add_u32 v5, v0, 2, v1
	ds_load_b32 v6, v2
	ds_load_2addr_b32 v[1:2], v5 offset0:32 offset1:64
	ds_load_2addr_b32 v[3:4], v5 offset0:96 offset1:128
	ds_load_b32 v5, v5 offset:640
	s_waitcnt lgkmcnt(2)
	v_dual_add_f32 v16, v16, v6 :: v_dual_add_f32 v19, v19, v1
	s_waitcnt lgkmcnt(1)
	v_dual_add_f32 v17, v17, v2 :: v_dual_add_f32 v14, v14, v4
	;; [unrolled: 2-line block ×3, first 2 shown]
.LBB79_62:
	s_or_b32 exec_lo, exec_lo, s0
	s_barrier
	buffer_gl0_inv
	s_and_saveexec_b32 s0, vcc_lo
	s_cbranch_execz .LBB79_64
; %bb.63:
	s_mul_i32 s0, s14, 0xc0
	s_mul_i32 s2, s4, s20
	s_ashr_i32 s1, s0, 31
	v_lshlrev_b32_e32 v0, 1, v0
	s_lshl_b64 s[0:1], s[0:1], 1
	;;#ASMSTART
	v_cvt_f16_f32 v1, v16;

	;;#ASMEND
	s_add_u32 s4, s22, s0
	s_addc_u32 s5, s23, s1
	s_ashr_i32 s3, s2, 31
	s_delay_alu instid0(SALU_CYCLE_1) | instskip(SKIP_4) | instid1(SALU_CYCLE_1)
	s_lshl_b64 s[0:1], s[2:3], 1
	s_mul_i32 s2, s12, 0xc0
	s_add_u32 s4, s4, s0
	s_addc_u32 s5, s5, s1
	s_ashr_i32 s3, s2, 31
	s_lshl_b64 s[0:1], s[2:3], 1
	s_delay_alu instid0(SALU_CYCLE_1)
	s_add_u32 s0, s4, s0
	s_addc_u32 s1, s5, s1
	global_store_b16 v0, v1, s[0:1]
	;;#ASMSTART
	v_cvt_f16_f32 v1, v19;

	;;#ASMEND
	global_store_b16 v0, v1, s[0:1] offset:64
	;;#ASMSTART
	v_cvt_f16_f32 v1, v17;

	;;#ASMEND
	global_store_b16 v0, v1, s[0:1] offset:128
	;; [unrolled: 5-line block ×5, first 2 shown]
.LBB79_64:
	s_nop 0
	s_sendmsg sendmsg(MSG_DEALLOC_VGPRS)
	s_endpgm
	.section	.rodata,"a",@progbits
	.p2align	6, 0x0
	.amdhsa_kernel _ZN4vllm25paged_attention_v2_kernelIttLi192ELi8ELi128ELNS_18Fp8KVCacheDataTypeE0ELb1ELi512EEEvPfS2_PT_PKS3_PKT0_S9_ifPKiSB_iPKfiiiSD_SD_iiiii
		.amdhsa_group_segment_fixed_size 416
		.amdhsa_private_segment_fixed_size 0
		.amdhsa_kernarg_size 400
		.amdhsa_user_sgpr_count 13
		.amdhsa_user_sgpr_dispatch_ptr 0
		.amdhsa_user_sgpr_queue_ptr 0
		.amdhsa_user_sgpr_kernarg_segment_ptr 1
		.amdhsa_user_sgpr_dispatch_id 0
		.amdhsa_user_sgpr_private_segment_size 0
		.amdhsa_wavefront_size32 1
		.amdhsa_uses_dynamic_stack 0
		.amdhsa_enable_private_segment 0
		.amdhsa_system_sgpr_workgroup_id_x 1
		.amdhsa_system_sgpr_workgroup_id_y 1
		.amdhsa_system_sgpr_workgroup_id_z 1
		.amdhsa_system_sgpr_workgroup_info 0
		.amdhsa_system_vgpr_workitem_id 0
		.amdhsa_next_free_vgpr 104
		.amdhsa_next_free_sgpr 45
		.amdhsa_reserve_vcc 1
		.amdhsa_float_round_mode_32 0
		.amdhsa_float_round_mode_16_64 0
		.amdhsa_float_denorm_mode_32 3
		.amdhsa_float_denorm_mode_16_64 3
		.amdhsa_dx10_clamp 1
		.amdhsa_ieee_mode 1
		.amdhsa_fp16_overflow 0
		.amdhsa_workgroup_processor_mode 1
		.amdhsa_memory_ordered 1
		.amdhsa_forward_progress 0
		.amdhsa_shared_vgpr_count 0
		.amdhsa_exception_fp_ieee_invalid_op 0
		.amdhsa_exception_fp_denorm_src 0
		.amdhsa_exception_fp_ieee_div_zero 0
		.amdhsa_exception_fp_ieee_overflow 0
		.amdhsa_exception_fp_ieee_underflow 0
		.amdhsa_exception_fp_ieee_inexact 0
		.amdhsa_exception_int_div_zero 0
	.end_amdhsa_kernel
	.section	.text._ZN4vllm25paged_attention_v2_kernelIttLi192ELi8ELi128ELNS_18Fp8KVCacheDataTypeE0ELb1ELi512EEEvPfS2_PT_PKS3_PKT0_S9_ifPKiSB_iPKfiiiSD_SD_iiiii,"axG",@progbits,_ZN4vllm25paged_attention_v2_kernelIttLi192ELi8ELi128ELNS_18Fp8KVCacheDataTypeE0ELb1ELi512EEEvPfS2_PT_PKS3_PKT0_S9_ifPKiSB_iPKfiiiSD_SD_iiiii,comdat
.Lfunc_end79:
	.size	_ZN4vllm25paged_attention_v2_kernelIttLi192ELi8ELi128ELNS_18Fp8KVCacheDataTypeE0ELb1ELi512EEEvPfS2_PT_PKS3_PKT0_S9_ifPKiSB_iPKfiiiSD_SD_iiiii, .Lfunc_end79-_ZN4vllm25paged_attention_v2_kernelIttLi192ELi8ELi128ELNS_18Fp8KVCacheDataTypeE0ELb1ELi512EEEvPfS2_PT_PKS3_PKT0_S9_ifPKiSB_iPKfiiiSD_SD_iiiii
                                        ; -- End function
	.section	.AMDGPU.csdata,"",@progbits
; Kernel info:
; codeLenInByte = 10448
; NumSgprs: 47
; NumVgprs: 104
; ScratchSize: 0
; MemoryBound: 0
; FloatMode: 240
; IeeeMode: 1
; LDSByteSize: 416 bytes/workgroup (compile time only)
; SGPRBlocks: 5
; VGPRBlocks: 12
; NumSGPRsForWavesPerEU: 47
; NumVGPRsForWavesPerEU: 104
; Occupancy: 12
; WaveLimiterHint : 1
; COMPUTE_PGM_RSRC2:SCRATCH_EN: 0
; COMPUTE_PGM_RSRC2:USER_SGPR: 13
; COMPUTE_PGM_RSRC2:TRAP_HANDLER: 0
; COMPUTE_PGM_RSRC2:TGID_X_EN: 1
; COMPUTE_PGM_RSRC2:TGID_Y_EN: 1
; COMPUTE_PGM_RSRC2:TGID_Z_EN: 1
; COMPUTE_PGM_RSRC2:TIDIG_COMP_CNT: 0
	.section	.text._ZN4vllm32paged_attention_v2_reduce_kernelItLi192ELi128ELi512EEEvPT_PKfS4_PKS1_PKii,"axG",@progbits,_ZN4vllm32paged_attention_v2_reduce_kernelItLi192ELi128ELi512EEEvPT_PKfS4_PKS1_PKii,comdat
	.protected	_ZN4vllm32paged_attention_v2_reduce_kernelItLi192ELi128ELi512EEEvPT_PKfS4_PKS1_PKii ; -- Begin function _ZN4vllm32paged_attention_v2_reduce_kernelItLi192ELi128ELi512EEEvPT_PKfS4_PKS1_PKii
	.globl	_ZN4vllm32paged_attention_v2_reduce_kernelItLi192ELi128ELi512EEEvPT_PKfS4_PKS1_PKii
	.p2align	8
	.type	_ZN4vllm32paged_attention_v2_reduce_kernelItLi192ELi128ELi512EEEvPT_PKfS4_PKS1_PKii,@function
_ZN4vllm32paged_attention_v2_reduce_kernelItLi192ELi128ELi512EEEvPT_PKfS4_PKS1_PKii: ; @_ZN4vllm32paged_attention_v2_reduce_kernelItLi192ELi128ELi512EEEvPT_PKfS4_PKS1_PKii
; %bb.0:
	s_load_b128 s[4:7], s[0:1], 0x18
	s_add_u32 s8, s0, 48
	s_mov_b32 s10, s15
	s_addc_u32 s9, s1, 0
	s_ashr_i32 s11, s15, 31
	s_delay_alu instid0(SALU_CYCLE_1)
	s_lshl_b64 s[2:3], s[10:11], 2
	s_waitcnt lgkmcnt(0)
	s_add_u32 s2, s6, s2
	s_addc_u32 s3, s7, s3
	s_load_b32 s18, s[2:3], 0x0
	s_clause 0x2
	s_load_b64 s[6:7], s[0:1], 0x0
	s_load_b32 s11, s[0:1], 0x28
	s_load_b32 s15, s[0:1], 0x30
	s_waitcnt lgkmcnt(0)
	s_add_i32 s2, s18, -1
	s_delay_alu instid0(SALU_CYCLE_1)
	s_cmpk_gt_u32 s2, 0x1ff
	s_mov_b32 s2, -1
	s_cbranch_scc0 .LBB80_24
; %bb.1:
	s_load_b64 s[2:3], s[0:1], 0x8
	s_add_i32 s12, s18, 0x1ff
	s_mul_i32 s20, s15, s10
	s_ashr_i32 s13, s12, 31
	v_mov_b32_e32 v3, 0xff7fffff
	s_lshr_b32 s13, s13, 23
	s_mul_i32 s16, s14, s11
	s_add_i32 s12, s12, s13
	s_ashr_i32 s17, s16, 31
	s_ashr_i32 s19, s12, 9
	s_mul_i32 s12, s20, s11
	v_cmp_gt_i32_e32 vcc_lo, s19, v0
	s_ashr_i32 s13, s12, 31
	s_and_saveexec_b32 s21, vcc_lo
	s_cbranch_execz .LBB80_5
; %bb.2:
	s_load_b32 s28, s[8:9], 0xc
	s_load_b64 s[22:23], s[0:1], 0x10
	s_lshl_b64 s[24:25], s[12:13], 2
	s_lshl_b64 s[26:27], s[16:17], 2
	v_lshlrev_b32_e32 v1, 2, v0
	v_mov_b32_e32 v3, 0xff7fffff
	s_delay_alu instid0(VALU_DEP_2)
	v_dual_mov_b32 v5, v0 :: v_dual_add_nc_u32 v4, 32, v1
	s_waitcnt lgkmcnt(0)
	s_and_b32 s1, s28, 0xffff
	s_add_u32 s0, s24, s26
	s_addc_u32 s24, s25, s27
	s_add_u32 s0, s22, s0
	s_addc_u32 s22, s23, s24
	v_add_co_u32 v1, s0, s0, v1
	s_delay_alu instid0(VALU_DEP_1)
	v_add_co_ci_u32_e64 v2, null, s22, 0, s0
	s_mov_b32 s22, 0
	s_lshl_b32 s23, s1, 2
	.p2align	6
.LBB80_3:                               ; =>This Inner Loop Header: Depth=1
	global_load_b32 v6, v[1:2], off
	v_add_nc_u32_e32 v5, s1, v5
	v_max_f32_e32 v3, v3, v3
	v_add_co_u32 v1, s0, v1, s23
	s_delay_alu instid0(VALU_DEP_1) | instskip(NEXT) | instid1(VALU_DEP_4)
	v_add_co_ci_u32_e64 v2, s0, 0, v2, s0
	v_cmp_le_i32_e64 s0, s19, v5
	s_delay_alu instid0(VALU_DEP_1)
	s_or_b32 s22, s0, s22
	s_waitcnt vmcnt(0)
	v_max_f32_e32 v7, v6, v6
	ds_store_b32 v4, v6
	v_dual_max_f32 v3, v3, v7 :: v_dual_add_nc_u32 v4, s23, v4
	s_and_not1_b32 exec_lo, exec_lo, s22
	s_cbranch_execnz .LBB80_3
; %bb.4:
	s_or_b32 exec_lo, exec_lo, s22
.LBB80_5:
	s_delay_alu instid0(SALU_CYCLE_1)
	s_or_b32 exec_lo, exec_lo, s21
	v_mbcnt_lo_u32_b32 v1, -1, 0
	v_lshrrev_b32_e32 v9, 5, v0
	s_waitcnt lgkmcnt(0)
	s_barrier
	buffer_gl0_inv
	v_xor_b32_e32 v2, 16, v1
	v_xor_b32_e32 v4, 8, v1
	s_delay_alu instid0(VALU_DEP_2) | instskip(NEXT) | instid1(VALU_DEP_1)
	v_cmp_gt_i32_e64 s0, 32, v2
	v_cndmask_b32_e64 v2, v1, v2, s0
	s_delay_alu instid0(VALU_DEP_3) | instskip(NEXT) | instid1(VALU_DEP_2)
	v_cmp_gt_i32_e64 s0, 32, v4
	v_lshlrev_b32_e32 v5, 2, v2
	s_delay_alu instid0(VALU_DEP_2)
	v_cndmask_b32_e64 v4, v1, v4, s0
	ds_bpermute_b32 v2, v5, v3
	s_waitcnt lgkmcnt(0)
	v_dual_max_f32 v3, v3, v3 :: v_dual_max_f32 v2, v2, v2
	v_lshlrev_b32_e32 v7, 2, v4
	v_xor_b32_e32 v4, 4, v1
	s_delay_alu instid0(VALU_DEP_3) | instskip(NEXT) | instid1(VALU_DEP_2)
	v_max_f32_e32 v2, v3, v2
	v_cmp_gt_i32_e64 s0, 32, v4
	ds_bpermute_b32 v3, v7, v2
	v_cndmask_b32_e64 v4, v1, v4, s0
	s_delay_alu instid0(VALU_DEP_1) | instskip(SKIP_1) | instid1(VALU_DEP_1)
	v_lshlrev_b32_e32 v8, 2, v4
	v_xor_b32_e32 v4, 2, v1
	v_cmp_gt_i32_e64 s0, 32, v4
	s_delay_alu instid0(VALU_DEP_1) | instskip(SKIP_2) | instid1(VALU_DEP_1)
	v_cndmask_b32_e64 v4, v1, v4, s0
	s_waitcnt lgkmcnt(0)
	v_max_f32_e32 v3, v3, v3
	v_max_f32_e32 v2, v2, v3
	ds_bpermute_b32 v3, v8, v2
	s_waitcnt lgkmcnt(0)
	v_dual_max_f32 v6, v3, v3 :: v_dual_lshlrev_b32 v3, 2, v4
	s_delay_alu instid0(VALU_DEP_1) | instskip(SKIP_3) | instid1(VALU_DEP_1)
	v_max_f32_e32 v2, v2, v6
	v_xor_b32_e32 v6, 1, v1
	ds_bpermute_b32 v4, v3, v2
	v_cmp_gt_i32_e64 s0, 32, v6
	v_cndmask_b32_e64 v6, v1, v6, s0
	s_waitcnt lgkmcnt(0)
	v_max_f32_e32 v4, v4, v4
	s_delay_alu instid0(VALU_DEP_1) | instskip(SKIP_3) | instid1(VALU_DEP_1)
	v_dual_max_f32 v1, v2, v4 :: v_dual_lshlrev_b32 v4, 2, v6
	v_and_b32_e32 v6, 31, v0
	ds_bpermute_b32 v2, v4, v1
	v_cmp_eq_u32_e64 s0, 0, v6
	s_and_saveexec_b32 s1, s0
	s_cbranch_execz .LBB80_7
; %bb.6:
	s_waitcnt lgkmcnt(0)
	v_dual_max_f32 v2, v2, v2 :: v_dual_max_f32 v1, v1, v1
	s_delay_alu instid0(VALU_DEP_1)
	v_dual_max_f32 v1, v1, v2 :: v_dual_lshlrev_b32 v2, 2, v9
	ds_store_b32 v2, v1
.LBB80_7:
	s_or_b32 exec_lo, exec_lo, s1
	v_cmp_gt_u32_e64 s1, 4, v6
	v_mov_b32_e32 v1, 0xff7fffff
	s_waitcnt lgkmcnt(0)
	s_barrier
	buffer_gl0_inv
	s_and_saveexec_b32 s21, s1
	s_cbranch_execz .LBB80_9
; %bb.8:
	v_lshlrev_b32_e32 v1, 2, v6
	ds_load_b32 v1, v1
.LBB80_9:
	s_or_b32 exec_lo, exec_lo, s21
	s_waitcnt lgkmcnt(0)
	ds_bpermute_b32 v2, v3, v1
	v_max_f32_e32 v1, v1, v1
	s_lshl_b32 s21, s19, 2
	s_waitcnt lgkmcnt(0)
	v_dual_mov_b32 v11, 0 :: v_dual_max_f32 v2, v2, v2
	s_delay_alu instid0(VALU_DEP_1) | instskip(SKIP_3) | instid1(VALU_DEP_1)
	v_max_f32_e32 v1, v1, v2
	ds_bpermute_b32 v2, v4, v1
	s_waitcnt lgkmcnt(0)
	v_max_f32_e32 v2, v2, v2
	v_max_f32_e32 v1, v1, v2
	ds_bpermute_b32 v10, v11, v1
	s_and_saveexec_b32 s22, vcc_lo
	s_cbranch_execz .LBB80_13
; %bb.10:
	s_load_b32 s23, s[8:9], 0xc
	s_lshl_b64 s[24:25], s[12:13], 2
	s_lshl_b64 s[26:27], s[16:17], 2
	v_lshlrev_b32_e32 v1, 2, v0
	v_mov_b32_e32 v11, 0
	s_delay_alu instid0(VALU_DEP_2)
	v_dual_mov_b32 v13, v0 :: v_dual_add_nc_u32 v12, 32, v1
	s_waitcnt lgkmcnt(0)
	s_and_b32 s13, s23, 0xffff
	s_add_u32 s17, s24, s26
	s_addc_u32 s23, s25, s27
	s_add_u32 s2, s2, s17
	s_addc_u32 s3, s3, s23
	v_add_co_u32 v1, s2, s2, v1
	s_delay_alu instid0(VALU_DEP_1)
	v_add_co_ci_u32_e64 v2, null, s3, 0, s2
	s_mov_b32 s3, 0
	s_lshl_b32 s17, s13, 2
	s_set_inst_prefetch_distance 0x1
	.p2align	6
.LBB80_11:                              ; =>This Inner Loop Header: Depth=1
	global_load_b32 v14, v[1:2], off
	ds_load_b32 v15, v12
	v_add_nc_u32_e32 v13, s13, v13
	s_waitcnt lgkmcnt(0)
	v_sub_f32_e32 v15, v15, v10
	s_delay_alu instid0(VALU_DEP_1) | instskip(NEXT) | instid1(VALU_DEP_1)
	v_mul_f32_e32 v16, 0x3fb8aa3b, v15
	v_fma_f32 v17, 0x3fb8aa3b, v15, -v16
	v_rndne_f32_e32 v18, v16
	s_delay_alu instid0(VALU_DEP_1) | instskip(NEXT) | instid1(VALU_DEP_1)
	v_dual_fmac_f32 v17, 0x32a5705f, v15 :: v_dual_sub_f32 v16, v16, v18
	v_add_f32_e32 v16, v16, v17
	v_cvt_i32_f32_e32 v17, v18
	v_cmp_ngt_f32_e32 vcc_lo, 0xc2ce8ed0, v15
	v_cmp_nlt_f32_e64 s2, 0x42b17218, v15
	s_delay_alu instid0(VALU_DEP_4) | instskip(SKIP_3) | instid1(VALU_DEP_2)
	v_exp_f32_e32 v16, v16
	s_waitcnt_depctr 0xfff
	v_ldexp_f32 v16, v16, v17
	v_add_nc_u32_e32 v17, s21, v12
	v_cndmask_b32_e32 v16, 0, v16, vcc_lo
	v_add_co_u32 v1, vcc_lo, v1, s17
	v_add_co_ci_u32_e32 v2, vcc_lo, 0, v2, vcc_lo
	s_delay_alu instid0(VALU_DEP_3)
	v_cndmask_b32_e64 v15, 0x7f800000, v16, s2
	v_cmp_le_i32_e32 vcc_lo, s19, v13
	v_add_nc_u32_e32 v12, s17, v12
	s_or_b32 s3, vcc_lo, s3
	s_waitcnt vmcnt(0)
	v_fmac_f32_e32 v11, v14, v15
	v_mul_f32_e32 v16, v14, v15
	ds_store_b32 v17, v16
	s_and_not1_b32 exec_lo, exec_lo, s3
	s_cbranch_execnz .LBB80_11
; %bb.12:
	s_set_inst_prefetch_distance 0x2
	s_or_b32 exec_lo, exec_lo, s3
.LBB80_13:
	s_delay_alu instid0(SALU_CYCLE_1)
	s_or_b32 exec_lo, exec_lo, s22
	ds_bpermute_b32 v1, v5, v11
	s_waitcnt lgkmcnt(0)
	s_barrier
	buffer_gl0_inv
	v_add_f32_e32 v1, v11, v1
	ds_bpermute_b32 v2, v7, v1
	s_waitcnt lgkmcnt(0)
	v_add_f32_e32 v1, v1, v2
	ds_bpermute_b32 v2, v8, v1
	s_waitcnt lgkmcnt(0)
	;; [unrolled: 3-line block ×4, first 2 shown]
	v_add_f32_e32 v1, v1, v2
	s_and_saveexec_b32 s2, s0
	s_cbranch_execz .LBB80_15
; %bb.14:
	v_lshlrev_b32_e32 v2, 2, v9
	ds_store_b32 v2, v1 offset:16
.LBB80_15:
	s_or_b32 exec_lo, exec_lo, s2
	s_waitcnt lgkmcnt(0)
	s_barrier
	buffer_gl0_inv
	s_and_saveexec_b32 s0, s1
	s_cbranch_execz .LBB80_17
; %bb.16:
	v_lshlrev_b32_e32 v1, 2, v6
	ds_load_b32 v1, v1 offset:16
.LBB80_17:
	s_or_b32 exec_lo, exec_lo, s0
	s_waitcnt lgkmcnt(0)
	ds_bpermute_b32 v2, v3, v1
	s_mov_b32 s1, exec_lo
	s_waitcnt lgkmcnt(0)
	v_add_f32_e32 v1, v1, v2
	ds_bpermute_b32 v2, v4, v1
	s_waitcnt lgkmcnt(0)
	v_dual_add_f32 v1, v1, v2 :: v_dual_mov_b32 v2, 0
	ds_bpermute_b32 v1, v2, v1
	v_cmpx_gt_u32_e32 0xc0, v0
	s_cbranch_execz .LBB80_23
; %bb.18:
	s_waitcnt lgkmcnt(0)
	v_add_f32_e32 v1, 0x358637bd, v1
	s_mul_i32 s2, s20, 0xc0
	s_mul_i32 s22, s12, 0xc0
	s_ashr_i32 s3, s2, 31
	s_mul_i32 s24, s16, 0xc0
	v_div_scale_f32 v3, null, v1, v1, 1.0
	s_lshl_b64 s[2:3], s[2:3], 1
	s_mul_i32 s12, s14, 0xc0
	s_ashr_i32 s23, s22, 31
	s_delay_alu instid0(VALU_DEP_1)
	v_rcp_f32_e32 v4, v3
	s_ashr_i32 s25, s24, 31
	s_add_u32 s0, s6, s2
	s_addc_u32 s16, s7, s3
	s_ashr_i32 s13, s12, 31
	v_lshlrev_b32_e32 v8, 1, v0
	s_lshl_b64 s[2:3], s[12:13], 1
	s_delay_alu instid0(SALU_CYCLE_1)
	s_add_u32 s2, s0, s2
	s_addc_u32 s3, s16, s3
	s_waitcnt_depctr 0xfff
	v_fma_f32 v5, -v3, v4, 1.0
	s_add_i32 s12, s21, 32
	s_cmp_gt_i32 s18, 0
	s_cselect_b32 s13, -1, 0
	s_delay_alu instid0(VALU_DEP_1) | instskip(SKIP_4) | instid1(VALU_DEP_1)
	v_fmac_f32_e32 v4, v5, v4
	v_div_scale_f32 v6, vcc_lo, 1.0, v1, 1.0
	s_max_i32 s16, s19, 1
	s_lshl_b64 s[18:19], s[22:23], 1
	s_lshl_b64 s[20:21], s[24:25], 1
	v_mul_f32_e32 v5, v6, v4
	s_add_u32 s0, s18, s20
	s_addc_u32 s17, s19, s21
	s_add_u32 s0, s4, s0
	s_addc_u32 s17, s5, s17
	v_fma_f32 v7, -v3, v5, v6
	s_delay_alu instid0(VALU_DEP_1) | instskip(NEXT) | instid1(VALU_DEP_1)
	v_fmac_f32_e32 v5, v7, v4
	v_fma_f32 v3, -v3, v5, v6
	s_delay_alu instid0(VALU_DEP_1) | instskip(NEXT) | instid1(VALU_DEP_1)
	v_div_fmas_f32 v5, v3, v4, v5
	v_div_fixup_f32 v7, v5, v1, 1.0
	v_mov_b32_e32 v1, v0
	v_add_co_u32 v3, s0, s0, v8
	s_delay_alu instid0(VALU_DEP_1)
	v_add_co_ci_u32_e64 v4, null, s17, 0, s0
	s_mov_b32 s17, 0
	s_branch .LBB80_20
.LBB80_19:                              ;   in Loop: Header=BB80_20 Depth=1
	v_lshlrev_b64 v[5:6], 1, v[1:2]
	v_add_nc_u32_e32 v9, 0x80, v1
	v_cmp_lt_u32_e32 vcc_lo, 63, v1
	;;#ASMSTART
	v_cvt_f16_f32 v8, v8;

	;;#ASMEND
	s_delay_alu instid0(VALU_DEP_2) | instskip(NEXT) | instid1(VALU_DEP_4)
	v_mov_b32_e32 v1, v9
	v_add_co_u32 v5, s0, s2, v5
	s_delay_alu instid0(VALU_DEP_1) | instskip(SKIP_1) | instid1(VALU_DEP_1)
	v_add_co_ci_u32_e64 v6, s0, s3, v6, s0
	v_add_co_u32 v3, s0, 0x100, v3
	v_add_co_ci_u32_e64 v4, s0, 0, v4, s0
	s_or_b32 s17, vcc_lo, s17
	global_store_b16 v[5:6], v8, off
	s_and_not1_b32 exec_lo, exec_lo, s17
	s_cbranch_execz .LBB80_23
.LBB80_20:                              ; =>This Loop Header: Depth=1
                                        ;     Child Loop BB80_22 Depth 2
	v_mov_b32_e32 v8, 0
	s_and_not1_b32 vcc_lo, exec_lo, s13
	s_cbranch_vccnz .LBB80_19
; %bb.21:                               ;   in Loop: Header=BB80_20 Depth=1
	v_dual_mov_b32 v6, v4 :: v_dual_mov_b32 v5, v3
	s_mov_b32 s0, s12
	s_mov_b32 s18, s16
	.p2align	6
.LBB80_22:                              ;   Parent Loop BB80_20 Depth=1
                                        ; =>  This Inner Loop Header: Depth=2
	v_mov_b32_e32 v10, s0
	global_load_u16 v9, v[5:6], off
	s_waitcnt vmcnt(0)
	;;#ASMSTART
	v_cvt_f32_f16 v9, v9;
	;;#ASMEND
	v_add_co_u32 v5, vcc_lo, 0x180, v5
	ds_load_b32 v10, v10
	v_add_co_ci_u32_e32 v6, vcc_lo, 0, v6, vcc_lo
	s_add_i32 s18, s18, -1
	s_add_i32 s0, s0, 4
	s_cmp_eq_u32 s18, 0
	s_waitcnt lgkmcnt(0)
	v_mul_f32_e32 v9, v9, v10
	s_delay_alu instid0(VALU_DEP_1)
	v_fmac_f32_e32 v8, v7, v9
	s_cbranch_scc0 .LBB80_22
	s_branch .LBB80_19
.LBB80_23:
	s_or_b32 exec_lo, exec_lo, s1
	s_mov_b32 s2, 0
.LBB80_24:
	s_delay_alu instid0(SALU_CYCLE_1)
	s_and_b32 vcc_lo, exec_lo, s2
	s_cbranch_vccz .LBB80_33
; %bb.25:
	s_mov_b32 s0, exec_lo
	v_cmpx_gt_u32_e32 0xc0, v0
	s_cbranch_execz .LBB80_33
; %bb.26:
	s_mul_i32 s0, s15, s10
	s_load_b32 s10, s[8:9], 0xc
	s_mulk_i32 s0, 0xc0
	s_mul_i32 s12, s14, 0xc0
	s_ashr_i32 s1, s0, 31
	s_mul_i32 s8, s12, s11
	s_lshl_b64 s[2:3], s[0:1], 1
	s_delay_alu instid0(SALU_CYCLE_1) | instskip(SKIP_4) | instid1(SALU_CYCLE_1)
	s_add_u32 s1, s6, s2
	s_addc_u32 s7, s7, s3
	s_ashr_i32 s13, s12, 31
	s_mul_i32 s6, s0, s11
	s_lshl_b64 s[2:3], s[12:13], 1
	s_add_u32 s1, s1, s2
	s_addc_u32 s2, s7, s3
	s_ashr_i32 s7, s6, 31
	s_delay_alu instid0(SALU_CYCLE_1) | instskip(NEXT) | instid1(SALU_CYCLE_1)
	s_lshl_b64 s[6:7], s[6:7], 1
	s_add_u32 s0, s4, s6
	s_addc_u32 s6, s5, s7
	s_ashr_i32 s9, s8, 31
	s_mov_b32 s7, 0
	s_lshl_b64 s[4:5], s[8:9], 1
	s_delay_alu instid0(SALU_CYCLE_1) | instskip(SKIP_3) | instid1(SALU_CYCLE_1)
	s_add_u32 s3, s0, s4
	s_addc_u32 s4, s6, s5
	s_waitcnt lgkmcnt(0)
	s_and_b32 s5, s10, 0xffff
	v_cvt_f32_u32_e32 v1, s5
	s_cmp_eq_u32 s5, 1
	v_add_nc_u32_e32 v3, s5, v0
	s_cselect_b32 s6, -1, 0
	s_sub_i32 s0, 0, s5
	v_rcp_iflag_f32_e32 v1, v1
	s_delay_alu instid0(VALU_DEP_1) | instskip(SKIP_3) | instid1(VALU_DEP_1)
	v_cmp_gt_u32_e32 vcc_lo, 0xc0, v3
	v_max_u32_e32 v4, 0xc0, v3
	s_waitcnt_depctr 0xfff
	v_mul_f32_e32 v1, 0x4f7ffffe, v1
	v_cvt_u32_f32_e32 v1, v1
	s_delay_alu instid0(VALU_DEP_1) | instskip(SKIP_1) | instid1(VALU_DEP_1)
	v_mul_lo_u32 v2, s0, v1
	v_add_co_ci_u32_e64 v3, s0, s5, v0, vcc_lo
	v_sub_nc_u32_e32 v3, v4, v3
	s_delay_alu instid0(VALU_DEP_3) | instskip(NEXT) | instid1(VALU_DEP_1)
	v_mul_hi_u32 v2, v1, v2
	v_add_nc_u32_e32 v1, v1, v2
	s_delay_alu instid0(VALU_DEP_1) | instskip(NEXT) | instid1(VALU_DEP_1)
	v_mul_hi_u32 v1, v3, v1
	v_mul_lo_u32 v2, v1, s5
	s_delay_alu instid0(VALU_DEP_1) | instskip(SKIP_1) | instid1(VALU_DEP_2)
	v_sub_nc_u32_e32 v2, v3, v2
	v_add_nc_u32_e32 v3, 1, v1
	v_subrev_nc_u32_e32 v4, s5, v2
	v_cmp_le_u32_e64 s0, s5, v2
	s_delay_alu instid0(VALU_DEP_1) | instskip(NEXT) | instid1(VALU_DEP_3)
	v_cndmask_b32_e64 v1, v1, v3, s0
	v_cndmask_b32_e64 v2, v2, v4, s0
	s_delay_alu instid0(VALU_DEP_2) | instskip(NEXT) | instid1(VALU_DEP_2)
	v_add_nc_u32_e32 v3, 1, v1
	v_cmp_le_u32_e64 s0, s5, v2
	s_delay_alu instid0(VALU_DEP_1) | instskip(SKIP_1) | instid1(VALU_DEP_1)
	v_cndmask_b32_e64 v1, v1, v3, s0
	s_mov_b32 s0, -1
	v_add_co_ci_u32_e32 v3, vcc_lo, 1, v1, vcc_lo
	s_delay_alu instid0(VALU_DEP_1) | instskip(SKIP_1) | instid1(SALU_CYCLE_1)
	v_cmp_lt_u32_e32 vcc_lo, 3, v3
	s_and_b32 s8, vcc_lo, s6
	s_and_saveexec_b32 s6, s8
	s_cbranch_execz .LBB80_30
; %bb.27:
	v_dual_mov_b32 v1, v0 :: v_dual_and_b32 v4, -4, v3
	s_delay_alu instid0(VALU_DEP_1)
	v_dual_mov_b32 v2, 0 :: v_dual_mov_b32 v5, v4
	.p2align	6
.LBB80_28:                              ; =>This Inner Loop Header: Depth=1
	s_delay_alu instid0(VALU_DEP_1) | instskip(NEXT) | instid1(VALU_DEP_2)
	v_lshlrev_b64 v[6:7], 1, v[1:2]
	v_add_nc_u32_e32 v5, -4, v5
	v_add_nc_u32_e32 v1, 4, v1
	s_delay_alu instid0(VALU_DEP_3) | instskip(NEXT) | instid1(VALU_DEP_4)
	v_add_co_u32 v8, vcc_lo, s3, v6
	v_add_co_ci_u32_e32 v9, vcc_lo, s4, v7, vcc_lo
	s_delay_alu instid0(VALU_DEP_4)
	v_cmp_eq_u32_e32 vcc_lo, 0, v5
	v_add_co_u32 v6, s0, s1, v6
	global_load_b64 v[8:9], v[8:9], off
	v_add_co_ci_u32_e64 v7, s0, s2, v7, s0
	s_or_b32 s7, vcc_lo, s7
	s_waitcnt vmcnt(0)
	global_store_b64 v[6:7], v[8:9], off
	s_and_not1_b32 exec_lo, exec_lo, s7
	s_cbranch_execnz .LBB80_28
; %bb.29:
	s_or_b32 exec_lo, exec_lo, s7
	v_cmp_ne_u32_e32 vcc_lo, v3, v4
	v_add_nc_u32_e32 v0, v0, v4
	s_or_not1_b32 s0, vcc_lo, exec_lo
.LBB80_30:
	s_or_b32 exec_lo, exec_lo, s6
	s_delay_alu instid0(SALU_CYCLE_1)
	s_and_b32 exec_lo, exec_lo, s0
	s_cbranch_execz .LBB80_33
; %bb.31:
	v_mov_b32_e32 v1, 0
	s_mov_b32 s6, 0
	s_lshl_b32 s7, s5, 1
	s_delay_alu instid0(VALU_DEP_1)
	v_lshlrev_b64 v[1:2], 1, v[0:1]
	.p2align	6
.LBB80_32:                              ; =>This Inner Loop Header: Depth=1
	s_delay_alu instid0(VALU_DEP_1) | instskip(NEXT) | instid1(VALU_DEP_2)
	v_add_co_u32 v3, vcc_lo, s3, v1
	v_add_co_ci_u32_e32 v4, vcc_lo, s4, v2, vcc_lo
	v_add_nc_u32_e32 v0, s5, v0
	global_load_u16 v5, v[3:4], off
	v_add_co_u32 v3, vcc_lo, s1, v1
	v_add_co_ci_u32_e32 v4, vcc_lo, s2, v2, vcc_lo
	v_cmp_lt_u32_e32 vcc_lo, 0xbf, v0
	v_add_co_u32 v1, s0, v1, s7
	s_delay_alu instid0(VALU_DEP_1)
	v_add_co_ci_u32_e64 v2, s0, 0, v2, s0
	s_or_b32 s6, vcc_lo, s6
	s_waitcnt vmcnt(0)
	global_store_b16 v[3:4], v5, off
	s_and_not1_b32 exec_lo, exec_lo, s6
	s_cbranch_execnz .LBB80_32
.LBB80_33:
	s_nop 0
	s_sendmsg sendmsg(MSG_DEALLOC_VGPRS)
	s_endpgm
	.section	.rodata,"a",@progbits
	.p2align	6, 0x0
	.amdhsa_kernel _ZN4vllm32paged_attention_v2_reduce_kernelItLi192ELi128ELi512EEEvPT_PKfS4_PKS1_PKii
		.amdhsa_group_segment_fixed_size 32
		.amdhsa_private_segment_fixed_size 0
		.amdhsa_kernarg_size 304
		.amdhsa_user_sgpr_count 14
		.amdhsa_user_sgpr_dispatch_ptr 0
		.amdhsa_user_sgpr_queue_ptr 0
		.amdhsa_user_sgpr_kernarg_segment_ptr 1
		.amdhsa_user_sgpr_dispatch_id 0
		.amdhsa_user_sgpr_private_segment_size 0
		.amdhsa_wavefront_size32 1
		.amdhsa_uses_dynamic_stack 0
		.amdhsa_enable_private_segment 0
		.amdhsa_system_sgpr_workgroup_id_x 1
		.amdhsa_system_sgpr_workgroup_id_y 1
		.amdhsa_system_sgpr_workgroup_id_z 0
		.amdhsa_system_sgpr_workgroup_info 0
		.amdhsa_system_vgpr_workitem_id 0
		.amdhsa_next_free_vgpr 19
		.amdhsa_next_free_sgpr 29
		.amdhsa_reserve_vcc 1
		.amdhsa_float_round_mode_32 0
		.amdhsa_float_round_mode_16_64 0
		.amdhsa_float_denorm_mode_32 3
		.amdhsa_float_denorm_mode_16_64 3
		.amdhsa_dx10_clamp 1
		.amdhsa_ieee_mode 1
		.amdhsa_fp16_overflow 0
		.amdhsa_workgroup_processor_mode 1
		.amdhsa_memory_ordered 1
		.amdhsa_forward_progress 0
		.amdhsa_shared_vgpr_count 0
		.amdhsa_exception_fp_ieee_invalid_op 0
		.amdhsa_exception_fp_denorm_src 0
		.amdhsa_exception_fp_ieee_div_zero 0
		.amdhsa_exception_fp_ieee_overflow 0
		.amdhsa_exception_fp_ieee_underflow 0
		.amdhsa_exception_fp_ieee_inexact 0
		.amdhsa_exception_int_div_zero 0
	.end_amdhsa_kernel
	.section	.text._ZN4vllm32paged_attention_v2_reduce_kernelItLi192ELi128ELi512EEEvPT_PKfS4_PKS1_PKii,"axG",@progbits,_ZN4vllm32paged_attention_v2_reduce_kernelItLi192ELi128ELi512EEEvPT_PKfS4_PKS1_PKii,comdat
.Lfunc_end80:
	.size	_ZN4vllm32paged_attention_v2_reduce_kernelItLi192ELi128ELi512EEEvPT_PKfS4_PKS1_PKii, .Lfunc_end80-_ZN4vllm32paged_attention_v2_reduce_kernelItLi192ELi128ELi512EEEvPT_PKfS4_PKS1_PKii
                                        ; -- End function
	.section	.AMDGPU.csdata,"",@progbits
; Kernel info:
; codeLenInByte = 2504
; NumSgprs: 31
; NumVgprs: 19
; ScratchSize: 0
; MemoryBound: 0
; FloatMode: 240
; IeeeMode: 1
; LDSByteSize: 32 bytes/workgroup (compile time only)
; SGPRBlocks: 3
; VGPRBlocks: 2
; NumSGPRsForWavesPerEU: 31
; NumVGPRsForWavesPerEU: 19
; Occupancy: 16
; WaveLimiterHint : 0
; COMPUTE_PGM_RSRC2:SCRATCH_EN: 0
; COMPUTE_PGM_RSRC2:USER_SGPR: 14
; COMPUTE_PGM_RSRC2:TRAP_HANDLER: 0
; COMPUTE_PGM_RSRC2:TGID_X_EN: 1
; COMPUTE_PGM_RSRC2:TGID_Y_EN: 1
; COMPUTE_PGM_RSRC2:TGID_Z_EN: 0
; COMPUTE_PGM_RSRC2:TIDIG_COMP_CNT: 0
	.section	.text._ZN4vllm25paged_attention_v2_kernelIttLi256ELi8ELi128ELNS_18Fp8KVCacheDataTypeE0ELb1ELi512EEEvPfS2_PT_PKS3_PKT0_S9_ifPKiSB_iPKfiiiSD_SD_iiiii,"axG",@progbits,_ZN4vllm25paged_attention_v2_kernelIttLi256ELi8ELi128ELNS_18Fp8KVCacheDataTypeE0ELb1ELi512EEEvPfS2_PT_PKS3_PKT0_S9_ifPKiSB_iPKfiiiSD_SD_iiiii,comdat
	.protected	_ZN4vllm25paged_attention_v2_kernelIttLi256ELi8ELi128ELNS_18Fp8KVCacheDataTypeE0ELb1ELi512EEEvPfS2_PT_PKS3_PKT0_S9_ifPKiSB_iPKfiiiSD_SD_iiiii ; -- Begin function _ZN4vllm25paged_attention_v2_kernelIttLi256ELi8ELi128ELNS_18Fp8KVCacheDataTypeE0ELb1ELi512EEEvPfS2_PT_PKS3_PKT0_S9_ifPKiSB_iPKfiiiSD_SD_iiiii
	.globl	_ZN4vllm25paged_attention_v2_kernelIttLi256ELi8ELi128ELNS_18Fp8KVCacheDataTypeE0ELb1ELi512EEEvPfS2_PT_PKS3_PKT0_S9_ifPKiSB_iPKfiiiSD_SD_iiiii
	.p2align	8
	.type	_ZN4vllm25paged_attention_v2_kernelIttLi256ELi8ELi128ELNS_18Fp8KVCacheDataTypeE0ELb1ELi512EEEvPfS2_PT_PKS3_PKT0_S9_ifPKiSB_iPKfiiiSD_SD_iiiii,@function
_ZN4vllm25paged_attention_v2_kernelIttLi256ELi8ELi128ELNS_18Fp8KVCacheDataTypeE0ELb1ELi512EEEvPfS2_PT_PKS3_PKT0_S9_ifPKiSB_iPKfiiiSD_SD_iiiii: ; @_ZN4vllm25paged_attention_v2_kernelIttLi256ELi8ELi128ELNS_18Fp8KVCacheDataTypeE0ELb1ELi512EEEvPfS2_PT_PKS3_PKT0_S9_ifPKiSB_iPKfiiiSD_SD_iiiii
; %bb.0:
	s_load_b64 s[2:3], s[0:1], 0x40
	s_mov_b32 s12, s15
	s_ashr_i32 s15, s14, 31
	s_delay_alu instid0(SALU_CYCLE_1)
	s_lshl_b64 s[4:5], s[14:15], 2
	s_waitcnt lgkmcnt(0)
	s_add_u32 s2, s2, s4
	s_addc_u32 s3, s3, s5
	s_lshl_b32 s15, s12, 9
	s_load_b32 s33, s[2:3], 0x0
	s_waitcnt lgkmcnt(0)
	s_cmp_ge_i32 s15, s33
	s_cbranch_scc1 .LBB81_68
; %bb.1:
	s_mov_b32 s24, s13
	s_clause 0x1
	s_load_b32 s13, s[0:1], 0x90
	s_load_b64 s[34:35], s[0:1], 0x30
	s_mov_b32 s38, 0
	s_waitcnt lgkmcnt(0)
	s_abs_i32 s5, s13
	s_abs_i32 s2, s34
	s_delay_alu instid0(SALU_CYCLE_1) | instskip(SKIP_1) | instid1(VALU_DEP_1)
	v_cvt_f32_u32_e32 v1, s2
	s_sub_i32 s4, 0, s2
	v_rcp_iflag_f32_e32 v1, v1
	s_waitcnt_depctr 0xfff
	v_mul_f32_e32 v1, 0x4f7ffffe, v1
	s_delay_alu instid0(VALU_DEP_1) | instskip(NEXT) | instid1(VALU_DEP_1)
	v_cvt_u32_f32_e32 v1, v1
	v_readfirstlane_b32 s3, v1
	s_delay_alu instid0(VALU_DEP_1) | instskip(NEXT) | instid1(SALU_CYCLE_1)
	s_mul_i32 s4, s4, s3
	s_mul_hi_u32 s4, s3, s4
	s_delay_alu instid0(SALU_CYCLE_1) | instskip(SKIP_4) | instid1(SALU_CYCLE_1)
	s_add_i32 s3, s3, s4
	s_xor_b32 s4, s13, s34
	s_mul_hi_u32 s3, s5, s3
	s_ashr_i32 s4, s4, 31
	s_mul_i32 s6, s3, s2
	s_sub_i32 s5, s5, s6
	s_add_i32 s6, s3, 1
	s_sub_i32 s7, s5, s2
	s_cmp_ge_u32 s5, s2
	s_cselect_b32 s3, s6, s3
	s_cselect_b32 s5, s7, s5
	s_add_i32 s6, s3, 1
	s_cmp_ge_u32 s5, s2
	s_cselect_b32 s2, s6, s3
	s_abs_i32 s17, s24
	s_xor_b32 s2, s2, s4
	s_delay_alu instid0(SALU_CYCLE_1) | instskip(SKIP_2) | instid1(SALU_CYCLE_1)
	s_sub_i32 s8, s2, s4
	s_load_b64 s[2:3], s[0:1], 0x50
	s_abs_i32 s16, s8
	v_cvt_f32_u32_e32 v1, s16
	s_sub_i32 s5, 0, s16
	s_delay_alu instid0(VALU_DEP_1) | instskip(SKIP_2) | instid1(VALU_DEP_1)
	v_rcp_iflag_f32_e32 v1, v1
	s_waitcnt_depctr 0xfff
	v_mul_f32_e32 v1, 0x4f7ffffe, v1
	v_cvt_u32_f32_e32 v1, v1
	s_delay_alu instid0(VALU_DEP_1) | instskip(NEXT) | instid1(VALU_DEP_1)
	v_readfirstlane_b32 s4, v1
	s_mul_i32 s5, s5, s4
	s_delay_alu instid0(SALU_CYCLE_1) | instskip(NEXT) | instid1(SALU_CYCLE_1)
	s_mul_hi_u32 s5, s4, s5
	s_add_i32 s4, s4, s5
	s_waitcnt lgkmcnt(0)
	s_cmp_eq_u64 s[2:3], 0
	s_mul_hi_u32 s18, s17, s4
	s_cbranch_scc1 .LBB81_3
; %bb.2:
	s_ashr_i32 s25, s24, 31
	s_delay_alu instid0(SALU_CYCLE_1) | instskip(NEXT) | instid1(SALU_CYCLE_1)
	s_lshl_b64 s[4:5], s[24:25], 2
	s_add_u32 s2, s2, s4
	s_addc_u32 s3, s3, s5
	s_load_b32 s38, s[2:3], 0x0
.LBB81_3:
	s_load_b128 s[4:7], s[0:1], 0x58
	v_and_b32_e32 v1, 3, v0
	v_lshlrev_b32_e32 v10, 2, v0
	s_ashr_i32 s2, s24, 31
	s_ashr_i32 s3, s8, 31
	s_lshl_b32 s20, s24, 8
	s_waitcnt lgkmcnt(0)
	s_mov_b32 s7, exec_lo
	v_cmpx_gt_u32_e32 0x80, v0
	s_cbranch_execz .LBB81_5
; %bb.4:
	s_load_b64 s[8:9], s[0:1], 0x18
	s_mul_i32 s10, s14, s4
	v_and_b32_e32 v3, 0x3fc, v0
	s_ashr_i32 s11, s10, 31
	s_delay_alu instid0(SALU_CYCLE_1) | instskip(NEXT) | instid1(VALU_DEP_1)
	s_lshl_b64 s[10:11], s[10:11], 1
	v_lshl_add_u32 v3, v1, 7, v3
	s_waitcnt lgkmcnt(0)
	s_add_u32 s4, s8, s10
	s_addc_u32 s10, s9, s11
	s_ashr_i32 s21, s20, 31
	s_delay_alu instid0(SALU_CYCLE_1) | instskip(NEXT) | instid1(SALU_CYCLE_1)
	s_lshl_b64 s[8:9], s[20:21], 1
	s_add_u32 s8, s4, s8
	s_addc_u32 s9, s10, s9
	global_load_b32 v2, v10, s[8:9]
	s_waitcnt vmcnt(0)
	ds_store_b32 v3, v2
.LBB81_5:
	s_or_b32 exec_lo, exec_lo, s7
	s_load_b128 s[8:11], s[0:1], 0x78
	s_mul_i32 s4, s18, s16
	s_xor_b32 s2, s2, s3
	s_sub_i32 s3, s17, s4
	s_add_i32 s4, s18, 1
	s_sub_i32 s7, s3, s16
	s_cmp_ge_u32 s3, s16
	s_mov_b32 s17, -1
	s_cselect_b32 s4, s4, s18
	s_cselect_b32 s3, s7, s3
	s_add_i32 s7, s4, 1
	s_cmp_ge_u32 s3, s16
	s_waitcnt lgkmcnt(0)
	s_cselect_b32 s3, s7, s4
	s_load_b32 s4, s[0:1], 0x88
	s_xor_b32 s3, s3, s2
	s_add_i32 s16, s33, -1
	s_sub_i32 s3, s3, s2
	s_abs_i32 s7, s16
	s_waitcnt lgkmcnt(0)
	s_barrier
	s_abs_i32 s21, s11
	buffer_gl0_inv
	v_cvt_f32_u32_e32 v2, s21
	s_sub_i32 s2, 0, s21
                                        ; implicit-def: $sgpr36
	s_delay_alu instid0(VALU_DEP_1) | instskip(SKIP_2) | instid1(VALU_DEP_1)
	v_rcp_iflag_f32_e32 v2, v2
	s_waitcnt_depctr 0xfff
	v_mul_f32_e32 v2, 0x4f7ffffe, v2
	v_cvt_u32_f32_e32 v2, v2
	s_delay_alu instid0(VALU_DEP_1) | instskip(NEXT) | instid1(VALU_DEP_1)
	v_readfirstlane_b32 s25, v2
	s_mul_i32 s2, s2, s25
	s_delay_alu instid0(SALU_CYCLE_1) | instskip(NEXT) | instid1(SALU_CYCLE_1)
	s_mul_hi_u32 s2, s25, s2
	s_add_i32 s25, s25, s2
	s_cmp_lt_i32 s4, 0
	s_mul_hi_u32 s2, s7, s25
	s_cbranch_scc0 .LBB81_7
; %bb.6:
	s_mul_i32 s17, s8, s34
	s_delay_alu instid0(SALU_CYCLE_1) | instskip(NEXT) | instid1(SALU_CYCLE_1)
	s_add_i32 s17, s3, s17
	s_mul_i32 s17, s17, s4
	s_delay_alu instid0(SALU_CYCLE_1)
	s_sub_i32 s36, 1, s17
	s_mov_b32 s17, 0
.LBB81_7:
	s_load_b64 s[26:27], s[0:1], 0x38
	s_ashr_i32 s28, s16, 31
	s_and_not1_b32 vcc_lo, exec_lo, s17
	s_ashr_i32 s11, s11, 31
	s_cbranch_vccnz .LBB81_9
; %bb.8:
	s_mul_i32 s8, s13, s8
	s_delay_alu instid0(SALU_CYCLE_1) | instskip(NEXT) | instid1(SALU_CYCLE_1)
	s_add_i32 s8, s8, s24
	s_mul_i32 s4, s8, s4
	s_delay_alu instid0(SALU_CYCLE_1)
	s_add_i32 s36, s4, 1
.LBB81_9:
	s_clause 0x4
	s_load_b32 s8, s[0:1], 0x48
	s_load_b64 s[30:31], s[0:1], 0x28
	s_load_b32 s4, s[0:1], 0x98
	s_load_b128 s[16:19], s[0:1], 0x0
	s_load_b64 s[22:23], s[0:1], 0x10
	s_xor_b32 s37, s28, s11
	s_mul_i32 s28, s2, s21
	s_add_i32 s34, s2, 1
	s_sub_i32 s7, s7, s28
	v_lshrrev_b32_e32 v11, 5, v0
	v_mov_b32_e32 v4, 0xff7fffff
	v_mbcnt_lo_u32_b32 v3, -1, 0
	s_mul_i32 s6, s3, s6
	s_delay_alu instid0(VALU_DEP_3)
	v_lshl_add_u32 v12, v11, 3, s15
	s_waitcnt lgkmcnt(0)
	s_mul_i32 s28, s14, s8
	s_sub_i32 s8, s7, s21
	s_ashr_i32 s29, s28, 31
	s_cmp_ge_u32 s7, s21
	s_cselect_b32 s2, s34, s2
	s_cselect_b32 s7, s8, s7
	s_add_i32 s8, s2, 1
	s_cmp_ge_u32 s7, s21
	s_cselect_b32 s2, s8, s2
	s_add_i32 s7, s33, 7
	s_lshl_b32 s39, s12, 6
	s_ashr_i32 s8, s7, 31
	v_or_b32_e32 v5, s39, v11
	s_lshr_b32 s8, s8, 29
	s_delay_alu instid0(SALU_CYCLE_1)
	s_add_i32 s7, s7, s8
	s_add_i32 s8, s39, 64
	s_ashr_i32 s34, s7, 3
	s_xor_b32 s7, s2, s37
	s_min_i32 s8, s8, s34
	v_ashrrev_i32_e32 v6, 31, v5
	v_cmp_gt_i32_e64 s2, s8, v5
	s_sub_i32 s37, s7, s37
	s_delay_alu instid0(VALU_DEP_1)
	s_and_saveexec_b32 s40, s2
	s_cbranch_execz .LBB81_19
; %bb.10:
	s_load_b64 s[0:1], s[0:1], 0x20
	s_ashr_i32 s7, s6, 31
	v_bfe_u32 v7, v0, 2, 3
	s_lshl_b64 s[42:43], s[6:7], 1
	s_sub_i32 s7, s37, s9
	v_cmp_eq_u32_e32 vcc_lo, 0, v1
	v_dual_mov_b32 v13, 0xff7fffff :: v_dual_and_b32 v18, 12, v10
	v_lshlrev_b32_e32 v16, 2, v7
	v_subrev_nc_u32_e32 v19, s33, v7
	v_lshlrev_b32_e32 v22, 4, v7
	v_lshl_add_u32 v9, v11, 3, s15
	v_xor_b32_e32 v14, 2, v3
	v_lshl_or_b32 v20, v11, 5, v16
	v_add_nc_u32_e32 v16, 1, v19
	v_xor_b32_e32 v15, 1, v3
	s_waitcnt lgkmcnt(0)
	s_add_u32 s3, s0, s42
	s_addc_u32 s1, s1, s43
	s_abs_i32 s41, s10
	v_cmp_neq_f32_e64 s0, s38, 0
	v_cvt_f32_u32_e32 v2, s41
	s_sub_i32 s42, 0, s41
	s_delay_alu instid0(VALU_DEP_1)
	v_rcp_iflag_f32_e32 v4, v2
	v_lshlrev_b32_e32 v8, 7, v1
	v_lshlrev_b64 v[1:2], 2, v[5:6]
	s_waitcnt_depctr 0xfff
	v_mul_f32_e32 v17, 0x4f7ffffe, v4
	v_mov_b32_e32 v4, 0xff7fffff
	s_delay_alu instid0(VALU_DEP_2) | instskip(SKIP_2) | instid1(VALU_DEP_1)
	v_cvt_u32_f32_e32 v21, v17
	v_add_nc_u32_e32 v17, 0x220, v20
	v_add_co_u32 v20, s3, s3, v22
	v_add_co_ci_u32_e64 v22, null, s1, 0, s3
	s_delay_alu instid0(VALU_DEP_4) | instskip(SKIP_1) | instid1(SALU_CYCLE_1)
	v_mul_lo_u32 v19, s42, v21
	s_lshl_b64 s[42:43], s[28:29], 2
	s_add_u32 s1, s26, s42
	s_addc_u32 s3, s27, s43
	v_add_co_u32 v1, s1, s1, v1
	s_delay_alu instid0(VALU_DEP_1) | instskip(NEXT) | instid1(VALU_DEP_3)
	v_add_co_ci_u32_e64 v2, s1, s3, v2, s1
	v_mul_hi_u32 v23, v21, v19
	v_add_co_u32 v18, s1, v20, v18
	s_delay_alu instid0(VALU_DEP_1) | instskip(SKIP_2) | instid1(VALU_DEP_3)
	v_add_co_ci_u32_e64 v19, s1, 0, v22, s1
	s_mov_b32 s42, 0
	s_mov_b32 s43, s5
	v_add_nc_u32_e32 v20, v21, v23
	v_mov_b32_e32 v21, v5
	s_branch .LBB81_13
.LBB81_11:                              ;   in Loop: Header=BB81_13 Depth=1
	s_or_b32 exec_lo, exec_lo, s44
.LBB81_12:                              ;   in Loop: Header=BB81_13 Depth=1
	s_delay_alu instid0(SALU_CYCLE_1) | instskip(SKIP_2) | instid1(VALU_DEP_1)
	s_or_b32 exec_lo, exec_lo, s3
	v_add_nc_u32_e32 v21, 4, v21
	v_add_co_u32 v1, s3, v1, 16
	v_add_co_ci_u32_e64 v2, s3, 0, v2, s3
	s_delay_alu instid0(VALU_DEP_3) | instskip(SKIP_2) | instid1(VALU_DEP_3)
	v_cmp_le_i32_e64 s1, s8, v21
	v_add_nc_u32_e32 v9, 32, v9
	v_add_nc_u32_e32 v17, 0x80, v17
	s_or_b32 s42, s1, s42
	s_delay_alu instid0(SALU_CYCLE_1)
	s_and_not1_b32 exec_lo, exec_lo, s42
	s_cbranch_execz .LBB81_18
.LBB81_13:                              ; =>This Inner Loop Header: Depth=1
	v_sub_nc_u32_e32 v22, 0, v9
	s_delay_alu instid0(VALU_DEP_1) | instskip(SKIP_1) | instid1(VALU_DEP_1)
	v_max_i32_e32 v22, v9, v22
	s_waitcnt lgkmcnt(0)
	v_mul_hi_u32 v23, v22, s25
	s_delay_alu instid0(VALU_DEP_1) | instskip(NEXT) | instid1(VALU_DEP_1)
	v_mul_lo_u32 v24, v23, s21
	v_sub_nc_u32_e32 v22, v22, v24
	v_add_nc_u32_e32 v24, 1, v23
	s_delay_alu instid0(VALU_DEP_2) | instskip(SKIP_1) | instid1(VALU_DEP_1)
	v_subrev_nc_u32_e32 v25, s21, v22
	v_cmp_le_u32_e64 s1, s21, v22
	v_cndmask_b32_e64 v23, v23, v24, s1
	s_delay_alu instid0(VALU_DEP_3) | instskip(SKIP_1) | instid1(VALU_DEP_3)
	v_cndmask_b32_e64 v22, v22, v25, s1
	v_ashrrev_i32_e32 v24, 31, v9
	v_add_nc_u32_e32 v25, 1, v23
	s_delay_alu instid0(VALU_DEP_3) | instskip(NEXT) | instid1(VALU_DEP_3)
	v_cmp_le_u32_e64 s1, s21, v22
	v_xor_b32_e32 v24, s11, v24
	s_delay_alu instid0(VALU_DEP_2) | instskip(NEXT) | instid1(VALU_DEP_1)
	v_cndmask_b32_e64 v22, v23, v25, s1
	v_xor_b32_e32 v22, v22, v24
	s_delay_alu instid0(VALU_DEP_1) | instskip(NEXT) | instid1(VALU_DEP_1)
	v_sub_nc_u32_e32 v22, v22, v24
	v_add_nc_u32_e32 v23, s36, v22
	v_cmp_ge_i32_e64 s3, s7, v22
	s_delay_alu instid0(VALU_DEP_2) | instskip(NEXT) | instid1(VALU_DEP_1)
	v_sub_nc_u32_e32 v24, 0, v23
	v_max_i32_e32 v24, v23, v24
	v_ashrrev_i32_e32 v23, 31, v23
	s_delay_alu instid0(VALU_DEP_2) | instskip(NEXT) | instid1(VALU_DEP_1)
	v_mul_hi_u32 v25, v24, v20
	v_mul_lo_u32 v25, v25, s41
	s_delay_alu instid0(VALU_DEP_1) | instskip(NEXT) | instid1(VALU_DEP_1)
	v_sub_nc_u32_e32 v24, v24, v25
	v_subrev_nc_u32_e32 v25, s41, v24
	v_cmp_le_u32_e64 s1, s41, v24
	s_delay_alu instid0(VALU_DEP_1) | instskip(NEXT) | instid1(VALU_DEP_1)
	v_cndmask_b32_e64 v24, v24, v25, s1
	v_subrev_nc_u32_e32 v25, s41, v24
	v_cmp_le_u32_e64 s1, s41, v24
	s_delay_alu instid0(VALU_DEP_1) | instskip(NEXT) | instid1(VALU_DEP_1)
	v_cndmask_b32_e64 v24, v24, v25, s1
	v_xor_b32_e32 v24, v24, v23
	s_delay_alu instid0(VALU_DEP_1) | instskip(NEXT) | instid1(VALU_DEP_1)
	v_sub_nc_u32_e32 v23, v24, v23
	v_cmp_ne_u32_e64 s1, 0, v23
	s_delay_alu instid0(VALU_DEP_1) | instskip(NEXT) | instid1(SALU_CYCLE_1)
	s_and_b32 s1, s1, s3
	s_and_b32 s44, vcc_lo, s1
	s_delay_alu instid0(SALU_CYCLE_1)
	s_and_saveexec_b32 s3, s44
	s_cbranch_execz .LBB81_15
; %bb.14:                               ;   in Loop: Header=BB81_13 Depth=1
	ds_store_b32 v17, v13
.LBB81_15:                              ;   in Loop: Header=BB81_13 Depth=1
	s_or_b32 exec_lo, exec_lo, s3
	s_xor_b32 s1, s1, -1
	s_delay_alu instid0(SALU_CYCLE_1)
	s_and_saveexec_b32 s3, s1
	s_cbranch_execz .LBB81_12
; %bb.16:                               ;   in Loop: Header=BB81_13 Depth=1
	global_load_b32 v24, v[1:2], off
	s_waitcnt vmcnt(0)
	v_mad_i64_i32 v[22:23], null, v24, s43, 0
	s_delay_alu instid0(VALU_DEP_1) | instskip(NEXT) | instid1(VALU_DEP_1)
	v_lshlrev_b64 v[22:23], 1, v[22:23]
	v_add_co_u32 v29, s1, v18, v22
	s_delay_alu instid0(VALU_DEP_1)
	v_add_co_ci_u32_e64 v30, s1, v19, v23, s1
	v_cmp_gt_i32_e64 s1, 32, v14
	s_clause 0xa
	global_load_b32 v22, v[29:30], off
	global_load_b32 v33, v[29:30], off offset:128
	global_load_b32 v38, v[29:30], off offset:256
	;; [unrolled: 1-line block ×10, first 2 shown]
	ds_load_b32 v23, v8
	s_clause 0xc
	global_load_b32 v78, v[29:30], off offset:1408
	global_load_b32 v83, v[29:30], off offset:1536
	;; [unrolled: 1-line block ×13, first 2 shown]
	s_waitcnt lgkmcnt(0)
	v_lshrrev_b32_e32 v32, 16, v23
	v_and_b32_e32 v31, 0xffff, v23
	s_waitcnt vmcnt(12)
	v_lshrrev_b32_e32 v84, 16, v78
	v_and_b32_e32 v34, 0xffff, v22
	v_lshrrev_b32_e32 v35, 16, v22
	s_clause 0x7
	global_load_b32 v37, v[29:30], off offset:3072
	global_load_b32 v28, v[29:30], off offset:3200
	;; [unrolled: 1-line block ×8, first 2 shown]
	;;#ASMSTART
	v_cvt_f32_f16 v31, v31;
	;;#ASMEND
	;;#ASMSTART
	v_cvt_f32_f16 v29, v32;
	;;#ASMEND
	;; [unrolled: 3-line block ×4, first 2 shown]
	ds_load_b32 v34, v8 offset:4
	v_and_b32_e32 v36, 0xffff, v33
	v_lshrrev_b32_e32 v39, 16, v33
	v_and_b32_e32 v41, 0xffff, v38
	v_lshrrev_b32_e32 v44, 16, v38
	v_lshrrev_b32_e32 v48, 16, v43
	;; [unrolled: 1-line block ×8, first 2 shown]
	v_and_b32_e32 v77, 0xffff, v74
	v_lshrrev_b32_e32 v79, 16, v74
	s_waitcnt vmcnt(19)
	v_lshrrev_b32_e32 v88, 16, v83
	s_waitcnt vmcnt(18)
	;; [unrolled: 2-line block ×3, first 2 shown]
	v_and_b32_e32 v98, 0xffff, v92
	v_lshrrev_b32_e32 v92, 16, v92
	s_waitcnt vmcnt(15)
	v_and_b32_e32 v104, 0xffff, v94
	v_lshrrev_b32_e32 v94, 16, v94
	s_waitcnt lgkmcnt(0)
	v_and_b32_e32 v35, 0xffff, v34
	v_lshrrev_b32_e32 v34, 16, v34
	;;#ASMSTART
	v_cvt_f32_f16 v33, v35;
	;;#ASMEND
	;;#ASMSTART
	v_cvt_f32_f16 v34, v34;
	;;#ASMEND
	;; [unrolled: 3-line block ×4, first 2 shown]
	ds_load_b32 v39, v8 offset:8
	v_dual_mul_f32 v33, v33, v35 :: v_dual_mul_f32 v34, v34, v36
	s_waitcnt vmcnt(13)
	v_and_b32_e32 v110, 0xffff, v91
	v_lshrrev_b32_e32 v91, 16, v91
	s_waitcnt vmcnt(12)
	v_and_b32_e32 v113, 0xffff, v82
	v_fmac_f32_e32 v33, v31, v32
	v_lshrrev_b32_e32 v82, 16, v82
	s_waitcnt vmcnt(11)
	v_and_b32_e32 v116, 0xffff, v73
	v_lshrrev_b32_e32 v73, 16, v73
	s_waitcnt vmcnt(9)
	v_and_b32_e32 v122, 0xffff, v55
	;; [unrolled: 3-line block ×3, first 2 shown]
	v_lshrrev_b32_e32 v42, 16, v42
	v_fmac_f32_e32 v34, v29, v30
	s_waitcnt lgkmcnt(0)
	v_and_b32_e32 v40, 0xffff, v39
	v_lshrrev_b32_e32 v39, 16, v39
	;;#ASMSTART
	v_cvt_f32_f16 v38, v40;
	;;#ASMEND
	;;#ASMSTART
	v_cvt_f32_f16 v39, v39;
	;;#ASMEND
	;;#ASMSTART
	v_cvt_f32_f16 v40, v41;
	;;#ASMEND
	;;#ASMSTART
	v_cvt_f32_f16 v41, v44;
	;;#ASMEND
	ds_load_b32 v44, v8 offset:12
	v_dual_fmac_f32 v33, v38, v40 :: v_dual_and_b32 v46, 0xffff, v43
	s_waitcnt lgkmcnt(0)
	v_dual_fmac_f32 v34, v39, v41 :: v_dual_and_b32 v45, 0xffff, v44
	v_lshrrev_b32_e32 v44, 16, v44
	;;#ASMSTART
	v_cvt_f32_f16 v43, v45;
	;;#ASMEND
	;;#ASMSTART
	v_cvt_f32_f16 v44, v44;
	;;#ASMEND
	;;#ASMSTART
	v_cvt_f32_f16 v45, v46;
	;;#ASMEND
	;;#ASMSTART
	v_cvt_f32_f16 v46, v48;
	;;#ASMEND
	ds_load_b32 v48, v8 offset:16
	v_dual_fmac_f32 v33, v43, v45 :: v_dual_and_b32 v50, 0xffff, v47
	s_waitcnt lgkmcnt(0)
	v_dual_fmac_f32 v34, v44, v46 :: v_dual_and_b32 v49, 0xffff, v48
	;; [unrolled: 17-line block ×3, first 2 shown]
	v_lshrrev_b32_e32 v52, 16, v52
	;;#ASMSTART
	v_cvt_f32_f16 v51, v53;
	;;#ASMEND
	;;#ASMSTART
	v_cvt_f32_f16 v52, v52;
	;;#ASMEND
	;; [unrolled: 3-line block ×4, first 2 shown]
	ds_load_b32 v57, v8 offset:24
	v_dual_fmac_f32 v34, v52, v54 :: v_dual_and_b32 v59, 0xffff, v56
	v_fmac_f32_e32 v33, v51, v53
	s_waitcnt lgkmcnt(0)
	v_and_b32_e32 v58, 0xffff, v57
	v_lshrrev_b32_e32 v57, 16, v57
	;;#ASMSTART
	v_cvt_f32_f16 v56, v58;
	;;#ASMEND
	;;#ASMSTART
	v_cvt_f32_f16 v57, v57;
	;;#ASMEND
	;; [unrolled: 3-line block ×4, first 2 shown]
	ds_load_b32 v62, v8 offset:28
	v_dual_fmac_f32 v33, v56, v58 :: v_dual_and_b32 v64, 0xffff, v61
	s_waitcnt lgkmcnt(0)
	v_dual_fmac_f32 v34, v57, v59 :: v_dual_and_b32 v63, 0xffff, v62
	v_lshrrev_b32_e32 v62, 16, v62
	;;#ASMSTART
	v_cvt_f32_f16 v61, v63;
	;;#ASMEND
	;;#ASMSTART
	v_cvt_f32_f16 v62, v62;
	;;#ASMEND
	;; [unrolled: 3-line block ×4, first 2 shown]
	v_fmac_f32_e32 v34, v62, v64
	ds_load_b32 v66, v8 offset:32
	v_dual_fmac_f32 v33, v61, v63 :: v_dual_and_b32 v68, 0xffff, v65
	s_waitcnt lgkmcnt(0)
	v_and_b32_e32 v67, 0xffff, v66
	v_lshrrev_b32_e32 v66, 16, v66
	;;#ASMSTART
	v_cvt_f32_f16 v65, v67;
	;;#ASMEND
	;;#ASMSTART
	v_cvt_f32_f16 v66, v66;
	;;#ASMEND
	;; [unrolled: 3-line block ×4, first 2 shown]
	v_fmac_f32_e32 v34, v66, v68
	ds_load_b32 v70, v8 offset:36
	v_dual_fmac_f32 v33, v65, v67 :: v_dual_and_b32 v72, 0xffff, v69
	s_waitcnt lgkmcnt(0)
	v_and_b32_e32 v71, 0xffff, v70
	v_lshrrev_b32_e32 v70, 16, v70
	;;#ASMSTART
	v_cvt_f32_f16 v69, v71;
	;;#ASMEND
	;;#ASMSTART
	v_cvt_f32_f16 v70, v70;
	;;#ASMEND
	;; [unrolled: 3-line block ×4, first 2 shown]
	v_fmac_f32_e32 v34, v70, v72
	ds_load_b32 v75, v8 offset:40
	v_fmac_f32_e32 v33, v69, v71
	s_waitcnt lgkmcnt(0)
	v_and_b32_e32 v76, 0xffff, v75
	v_lshrrev_b32_e32 v75, 16, v75
	;;#ASMSTART
	v_cvt_f32_f16 v74, v76;
	;;#ASMEND
	;;#ASMSTART
	v_cvt_f32_f16 v75, v75;
	;;#ASMEND
	;; [unrolled: 3-line block ×4, first 2 shown]
	ds_load_b32 v79, v8 offset:44
	v_dual_fmac_f32 v34, v75, v77 :: v_dual_and_b32 v81, 0xffff, v78
	s_waitcnt lgkmcnt(0)
	v_dual_fmac_f32 v33, v74, v76 :: v_dual_and_b32 v80, 0xffff, v79
	v_lshrrev_b32_e32 v79, 16, v79
	;;#ASMSTART
	v_cvt_f32_f16 v78, v80;
	;;#ASMEND
	;;#ASMSTART
	v_cvt_f32_f16 v79, v79;
	;;#ASMEND
	;;#ASMSTART
	v_cvt_f32_f16 v80, v81;
	;;#ASMEND
	;;#ASMSTART
	v_cvt_f32_f16 v81, v84;
	;;#ASMEND
	ds_load_b32 v84, v8 offset:48
	v_dual_fmac_f32 v33, v78, v80 :: v_dual_and_b32 v86, 0xffff, v83
	v_fmac_f32_e32 v34, v79, v81
	s_waitcnt vmcnt(7)
	v_and_b32_e32 v128, 0xffff, v37
	s_waitcnt lgkmcnt(0)
	v_and_b32_e32 v85, 0xffff, v84
	v_lshrrev_b32_e32 v84, 16, v84
	;;#ASMSTART
	v_cvt_f32_f16 v83, v85;
	;;#ASMEND
	;;#ASMSTART
	v_cvt_f32_f16 v84, v84;
	;;#ASMEND
	;; [unrolled: 3-line block ×4, first 2 shown]
	v_fmac_f32_e32 v34, v84, v86
	ds_load_b32 v88, v8 offset:52
	v_dual_fmac_f32 v33, v83, v85 :: v_dual_and_b32 v90, 0xffff, v87
	v_lshrrev_b32_e32 v37, 16, v37
	s_waitcnt vmcnt(5)
	v_and_b32_e32 v29, 0xffff, v27
	v_lshrrev_b32_e32 v27, 16, v27
	s_waitcnt vmcnt(4)
	v_and_b32_e32 v39, 0xffff, v26
	v_lshrrev_b32_e32 v26, 16, v26
	s_waitcnt vmcnt(3)
	v_lshrrev_b32_e32 v43, 16, v25
	v_and_b32_e32 v25, 0xffff, v25
	s_waitcnt vmcnt(2)
	v_lshrrev_b32_e32 v46, 16, v24
	s_waitcnt lgkmcnt(0)
	v_and_b32_e32 v89, 0xffff, v88
	v_lshrrev_b32_e32 v88, 16, v88
	;;#ASMSTART
	v_cvt_f32_f16 v87, v89;
	;;#ASMEND
	;;#ASMSTART
	v_cvt_f32_f16 v88, v88;
	;;#ASMEND
	;; [unrolled: 3-line block ×4, first 2 shown]
	v_fmac_f32_e32 v34, v88, v90
	ds_load_b32 v96, v8 offset:56
	v_fmac_f32_e32 v33, v87, v89
	s_waitcnt lgkmcnt(0)
	v_and_b32_e32 v97, 0xffff, v96
	v_lshrrev_b32_e32 v96, 16, v96
	;;#ASMSTART
	v_cvt_f32_f16 v97, v97;
	;;#ASMEND
	;;#ASMSTART
	v_cvt_f32_f16 v96, v96;
	;;#ASMEND
	;; [unrolled: 3-line block ×4, first 2 shown]
	ds_load_b32 v99, v8 offset:60
	v_dual_fmac_f32 v34, v96, v92 :: v_dual_and_b32 v101, 0xffff, v93
	v_lshrrev_b32_e32 v93, 16, v93
	s_waitcnt lgkmcnt(0)
	v_dual_fmac_f32 v33, v97, v98 :: v_dual_and_b32 v100, 0xffff, v99
	v_lshrrev_b32_e32 v99, 16, v99
	;;#ASMSTART
	v_cvt_f32_f16 v100, v100;
	;;#ASMEND
	;;#ASMSTART
	v_cvt_f32_f16 v99, v99;
	;;#ASMEND
	;; [unrolled: 3-line block ×4, first 2 shown]
	ds_load_b32 v102, v8 offset:64
	v_fmac_f32_e32 v33, v100, v101
	s_waitcnt lgkmcnt(0)
	v_dual_fmac_f32 v34, v99, v93 :: v_dual_and_b32 v103, 0xffff, v102
	v_lshrrev_b32_e32 v102, 16, v102
	;;#ASMSTART
	v_cvt_f32_f16 v103, v103;
	;;#ASMEND
	;;#ASMSTART
	v_cvt_f32_f16 v102, v102;
	;;#ASMEND
	;;#ASMSTART
	v_cvt_f32_f16 v104, v104;
	;;#ASMEND
	;;#ASMSTART
	v_cvt_f32_f16 v94, v94;
	;;#ASMEND
	ds_load_b32 v105, v8 offset:68
	v_dual_fmac_f32 v34, v102, v94 :: v_dual_and_b32 v107, 0xffff, v95
	v_lshrrev_b32_e32 v95, 16, v95
	s_waitcnt lgkmcnt(0)
	v_dual_fmac_f32 v33, v103, v104 :: v_dual_and_b32 v106, 0xffff, v105
	v_lshrrev_b32_e32 v105, 16, v105
	;;#ASMSTART
	v_cvt_f32_f16 v106, v106;
	;;#ASMEND
	;;#ASMSTART
	v_cvt_f32_f16 v105, v105;
	;;#ASMEND
	;; [unrolled: 3-line block ×4, first 2 shown]
	ds_load_b32 v108, v8 offset:72
	v_fmac_f32_e32 v34, v105, v95
	v_fmac_f32_e32 v33, v106, v107
	s_waitcnt lgkmcnt(0)
	v_and_b32_e32 v109, 0xffff, v108
	v_lshrrev_b32_e32 v108, 16, v108
	;;#ASMSTART
	v_cvt_f32_f16 v109, v109;
	;;#ASMEND
	;;#ASMSTART
	v_cvt_f32_f16 v108, v108;
	;;#ASMEND
	;;#ASMSTART
	v_cvt_f32_f16 v110, v110;
	;;#ASMEND
	;;#ASMSTART
	v_cvt_f32_f16 v91, v91;
	;;#ASMEND
	v_fmac_f32_e32 v34, v108, v91
	ds_load_b32 v111, v8 offset:76
	s_waitcnt lgkmcnt(0)
	v_dual_fmac_f32 v33, v109, v110 :: v_dual_and_b32 v112, 0xffff, v111
	v_lshrrev_b32_e32 v111, 16, v111
	;;#ASMSTART
	v_cvt_f32_f16 v112, v112;
	;;#ASMEND
	;;#ASMSTART
	v_cvt_f32_f16 v111, v111;
	;;#ASMEND
	;;#ASMSTART
	v_cvt_f32_f16 v113, v113;
	;;#ASMEND
	;;#ASMSTART
	v_cvt_f32_f16 v82, v82;
	;;#ASMEND
	ds_load_b32 v114, v8 offset:80
	v_fmac_f32_e32 v33, v112, v113
	v_dual_fmac_f32 v34, v111, v82 :: v_dual_and_b32 v119, 0xffff, v60
	v_lshrrev_b32_e32 v60, 16, v60
	s_waitcnt lgkmcnt(0)
	v_and_b32_e32 v115, 0xffff, v114
	v_lshrrev_b32_e32 v114, 16, v114
	;;#ASMSTART
	v_cvt_f32_f16 v115, v115;
	;;#ASMEND
	;;#ASMSTART
	v_cvt_f32_f16 v114, v114;
	;;#ASMEND
	;; [unrolled: 3-line block ×4, first 2 shown]
	ds_load_b32 v117, v8 offset:84
	v_dual_fmac_f32 v33, v115, v116 :: v_dual_fmac_f32 v34, v114, v73
	s_waitcnt lgkmcnt(0)
	v_and_b32_e32 v118, 0xffff, v117
	v_lshrrev_b32_e32 v117, 16, v117
	;;#ASMSTART
	v_cvt_f32_f16 v118, v118;
	;;#ASMEND
	;;#ASMSTART
	v_cvt_f32_f16 v117, v117;
	;;#ASMEND
	;; [unrolled: 3-line block ×4, first 2 shown]
	ds_load_b32 v120, v8 offset:88
	v_dual_fmac_f32 v34, v117, v60 :: v_dual_fmac_f32 v33, v118, v119
	s_waitcnt lgkmcnt(0)
	v_and_b32_e32 v121, 0xffff, v120
	v_lshrrev_b32_e32 v120, 16, v120
	;;#ASMSTART
	v_cvt_f32_f16 v121, v121;
	;;#ASMEND
	;;#ASMSTART
	v_cvt_f32_f16 v120, v120;
	;;#ASMEND
	;; [unrolled: 3-line block ×4, first 2 shown]
	v_fmac_f32_e32 v34, v120, v55
	ds_load_b32 v123, v8 offset:92
	s_waitcnt lgkmcnt(0)
	v_dual_fmac_f32 v33, v121, v122 :: v_dual_and_b32 v124, 0xffff, v123
	v_lshrrev_b32_e32 v123, 16, v123
	;;#ASMSTART
	v_cvt_f32_f16 v124, v124;
	;;#ASMEND
	;;#ASMSTART
	v_cvt_f32_f16 v123, v123;
	;;#ASMEND
	;; [unrolled: 3-line block ×4, first 2 shown]
	ds_load_b32 v126, v8 offset:96
	v_dual_fmac_f32 v34, v123, v42 :: v_dual_fmac_f32 v33, v124, v125
	s_waitcnt vmcnt(1)
	v_lshrrev_b32_e32 v42, 16, v23
	v_and_b32_e32 v23, 0xffff, v23
	s_waitcnt lgkmcnt(0)
	v_and_b32_e32 v127, 0xffff, v126
	v_lshrrev_b32_e32 v126, 16, v126
	;;#ASMSTART
	v_cvt_f32_f16 v127, v127;
	;;#ASMEND
	;;#ASMSTART
	v_cvt_f32_f16 v126, v126;
	;;#ASMEND
	;; [unrolled: 3-line block ×4, first 2 shown]
	ds_load_b32 v129, v8 offset:100
	v_dual_fmac_f32 v33, v127, v128 :: v_dual_fmac_f32 v34, v126, v37
	s_waitcnt lgkmcnt(0)
	v_and_b32_e32 v35, 0xffff, v129
	v_lshrrev_b32_e32 v36, 16, v129
	v_and_b32_e32 v129, 0xffff, v28
	v_lshrrev_b32_e32 v28, 16, v28
	;;#ASMSTART
	v_cvt_f32_f16 v31, v35;
	;;#ASMEND
	;;#ASMSTART
	v_cvt_f32_f16 v32, v36;
	;;#ASMEND
	;; [unrolled: 3-line block ×4, first 2 shown]
	ds_load_b32 v36, v8 offset:104
	v_dual_fmac_f32 v33, v31, v35 :: v_dual_fmac_f32 v34, v32, v28
	s_waitcnt lgkmcnt(0)
	v_and_b32_e32 v30, 0xffff, v36
	v_lshrrev_b32_e32 v36, 16, v36
	;;#ASMSTART
	v_cvt_f32_f16 v30, v30;
	;;#ASMEND
	;;#ASMSTART
	v_cvt_f32_f16 v36, v36;
	;;#ASMEND
	;; [unrolled: 3-line block ×4, first 2 shown]
	ds_load_b32 v38, v8 offset:108
	v_dual_fmac_f32 v33, v30, v29 :: v_dual_and_b32 v24, 0xffff, v24
	v_fmac_f32_e32 v34, v36, v27
	s_waitcnt lgkmcnt(0)
	v_and_b32_e32 v40, 0xffff, v38
	v_lshrrev_b32_e32 v38, 16, v38
	;;#ASMSTART
	v_cvt_f32_f16 v40, v40;
	;;#ASMEND
	;;#ASMSTART
	v_cvt_f32_f16 v38, v38;
	;;#ASMEND
	;; [unrolled: 3-line block ×4, first 2 shown]
	ds_load_b32 v41, v8 offset:112
	v_dual_fmac_f32 v33, v40, v39 :: v_dual_fmac_f32 v34, v38, v26
	s_waitcnt vmcnt(0)
	v_lshrrev_b32_e32 v26, 16, v22
	s_waitcnt lgkmcnt(0)
	v_and_b32_e32 v44, 0xffff, v41
	v_lshrrev_b32_e32 v41, 16, v41
	;;#ASMSTART
	v_cvt_f32_f16 v44, v44;
	;;#ASMEND
	;;#ASMSTART
	v_cvt_f32_f16 v41, v41;
	;;#ASMEND
	;; [unrolled: 3-line block ×4, first 2 shown]
	ds_load_b32 v45, v8 offset:116
	s_waitcnt lgkmcnt(0)
	v_dual_fmac_f32 v34, v41, v43 :: v_dual_and_b32 v47, 0xffff, v45
	v_lshrrev_b32_e32 v45, 16, v45
	;;#ASMSTART
	v_cvt_f32_f16 v47, v47;
	;;#ASMEND
	;;#ASMSTART
	v_cvt_f32_f16 v45, v45;
	;;#ASMEND
	;; [unrolled: 3-line block ×4, first 2 shown]
	ds_load_b32 v48, v8 offset:120
	s_waitcnt lgkmcnt(0)
	v_dual_fmac_f32 v34, v45, v46 :: v_dual_and_b32 v37, 0xffff, v48
	v_lshrrev_b32_e32 v48, 16, v48
	;;#ASMSTART
	v_cvt_f32_f16 v28, v37;
	;;#ASMEND
	;;#ASMSTART
	v_cvt_f32_f16 v31, v48;
	;;#ASMEND
	;; [unrolled: 3-line block ×4, first 2 shown]
	ds_load_b32 v35, v8 offset:124
	v_dual_fmac_f32 v33, v44, v25 :: v_dual_fmac_f32 v34, v31, v32
	v_cndmask_b32_e64 v25, v3, v14, s1
	v_cmp_gt_i32_e64 s1, 32, v15
	s_delay_alu instid0(VALU_DEP_3) | instskip(NEXT) | instid1(VALU_DEP_1)
	v_dual_fmac_f32 v33, v47, v24 :: v_dual_and_b32 v22, 0xffff, v22
	v_fmac_f32_e32 v33, v28, v23
	s_waitcnt lgkmcnt(0)
	v_and_b32_e32 v24, 0xffff, v35
	v_lshrrev_b32_e32 v27, 16, v35
	;;#ASMSTART
	v_cvt_f32_f16 v23, v24;
	;;#ASMEND
	;;#ASMSTART
	v_cvt_f32_f16 v24, v27;
	;;#ASMEND
	;; [unrolled: 3-line block ×4, first 2 shown]
	v_dual_fmac_f32 v33, v23, v22 :: v_dual_lshlrev_b32 v22, 2, v25
	v_fmac_f32_e32 v34, v24, v26
	v_cndmask_b32_e64 v24, v3, v15, s1
	s_delay_alu instid0(VALU_DEP_2)
	v_add_f32_e32 v23, v33, v34
	ds_bpermute_b32 v22, v22, v23
	s_waitcnt lgkmcnt(0)
	v_dual_add_f32 v22, v23, v22 :: v_dual_lshlrev_b32 v23, 2, v24
	ds_bpermute_b32 v23, v23, v22
	s_and_saveexec_b32 s44, vcc_lo
	s_cbranch_execz .LBB81_11
; %bb.17:                               ;   in Loop: Header=BB81_13 Depth=1
	s_waitcnt lgkmcnt(0)
	v_add_f32_e32 v22, v22, v23
	v_add_nc_u32_e32 v24, v16, v9
	s_delay_alu instid0(VALU_DEP_1) | instskip(NEXT) | instid1(VALU_DEP_1)
	v_cvt_f32_i32_e32 v24, v24
	v_mul_f32_e32 v24, s38, v24
	s_delay_alu instid0(VALU_DEP_1) | instskip(NEXT) | instid1(VALU_DEP_1)
	v_cndmask_b32_e64 v23, 0, v24, s0
	v_dual_max_f32 v24, v4, v4 :: v_dual_fmac_f32 v23, s35, v22
	v_add_nc_u32_e32 v22, v7, v9
	s_delay_alu instid0(VALU_DEP_2) | instskip(NEXT) | instid1(VALU_DEP_2)
	v_max_f32_e32 v24, v24, v23
	v_cmp_gt_i32_e64 s1, s33, v22
	s_delay_alu instid0(VALU_DEP_1) | instskip(NEXT) | instid1(VALU_DEP_3)
	v_cndmask_b32_e64 v22, 0, v23, s1
	v_cndmask_b32_e64 v4, v4, v24, s1
	ds_store_b32 v17, v22
	s_branch .LBB81_11
.LBB81_18:
	s_or_b32 exec_lo, exec_lo, s42
.LBB81_19:
	s_delay_alu instid0(SALU_CYCLE_1) | instskip(SKIP_4) | instid1(VALU_DEP_4)
	s_or_b32 exec_lo, exec_lo, s40
	v_xor_b32_e32 v1, 16, v3
	v_xor_b32_e32 v7, 8, v3
	v_and_b32_e32 v13, 31, v0
	v_max_f32_e32 v8, v4, v4
	v_cmp_gt_i32_e32 vcc_lo, 32, v1
	v_cndmask_b32_e32 v1, v3, v1, vcc_lo
	v_cmp_gt_i32_e32 vcc_lo, 32, v7
	s_delay_alu instid0(VALU_DEP_2) | instskip(SKIP_3) | instid1(VALU_DEP_1)
	v_lshlrev_b32_e32 v2, 2, v1
	ds_bpermute_b32 v1, v2, v4
	s_waitcnt lgkmcnt(0)
	v_dual_cndmask_b32 v4, v3, v7 :: v_dual_max_f32 v1, v1, v1
	v_dual_max_f32 v1, v8, v1 :: v_dual_lshlrev_b32 v4, 2, v4
	v_xor_b32_e32 v8, 4, v3
	ds_bpermute_b32 v7, v4, v1
	v_cmp_gt_i32_e32 vcc_lo, 32, v8
	s_waitcnt lgkmcnt(0)
	v_max_f32_e32 v7, v7, v7
	v_cndmask_b32_e32 v8, v3, v8, vcc_lo
	v_cmp_eq_u32_e32 vcc_lo, 0, v13
	s_delay_alu instid0(VALU_DEP_3) | instskip(NEXT) | instid1(VALU_DEP_3)
	v_max_f32_e32 v1, v1, v7
	v_lshlrev_b32_e32 v9, 2, v8
	v_lshlrev_b32_e32 v7, 2, v11
	ds_bpermute_b32 v8, v9, v1
	s_and_saveexec_b32 s0, vcc_lo
	s_cbranch_execz .LBB81_21
; %bb.20:
	s_waitcnt lgkmcnt(0)
	v_dual_max_f32 v8, v8, v8 :: v_dual_max_f32 v1, v1, v1
	s_delay_alu instid0(VALU_DEP_1)
	v_max_f32_e32 v1, v1, v8
	ds_store_b32 v7, v1 offset:512
.LBB81_21:
	s_or_b32 exec_lo, exec_lo, s0
	v_cmp_gt_u32_e64 s0, 4, v13
	s_waitcnt lgkmcnt(0)
	v_dual_mov_b32 v1, 0xff7fffff :: v_dual_lshlrev_b32 v8, 2, v13
	s_barrier
	buffer_gl0_inv
	s_and_saveexec_b32 s1, s0
	s_cbranch_execz .LBB81_23
; %bb.22:
	ds_load_b32 v1, v8 offset:512
.LBB81_23:
	s_or_b32 exec_lo, exec_lo, s1
	v_xor_b32_e32 v14, 2, v3
	v_xor_b32_e32 v16, 1, v3
	s_delay_alu instid0(VALU_DEP_2) | instskip(NEXT) | instid1(VALU_DEP_1)
	v_cmp_gt_i32_e64 s1, 32, v14
	v_cndmask_b32_e64 v14, v3, v14, s1
	s_delay_alu instid0(VALU_DEP_3) | instskip(NEXT) | instid1(VALU_DEP_2)
	v_cmp_gt_i32_e64 s1, 32, v16
	v_lshlrev_b32_e32 v14, 2, v14
	s_delay_alu instid0(VALU_DEP_2) | instskip(SKIP_1) | instid1(SALU_CYCLE_1)
	v_cndmask_b32_e64 v3, v3, v16, s1
	s_sub_i32 s1, s8, s39
	s_lshl_b32 s1, s1, 3
	s_waitcnt lgkmcnt(0)
	ds_bpermute_b32 v15, v14, v1
	v_max_f32_e32 v1, v1, v1
	s_add_i32 s1, s1, s15
	s_delay_alu instid0(SALU_CYCLE_1) | instskip(NEXT) | instid1(SALU_CYCLE_1)
	s_min_i32 s1, s1, s33
	s_sub_i32 s7, s1, s15
	s_delay_alu instid0(SALU_CYCLE_1) | instskip(SKIP_3) | instid1(VALU_DEP_2)
	v_cmp_gt_i32_e64 s1, s7, v0
	s_waitcnt lgkmcnt(0)
	v_max_f32_e32 v16, v15, v15
	v_lshlrev_b32_e32 v15, 2, v3
	v_dual_max_f32 v1, v1, v16 :: v_dual_mov_b32 v16, 0
	ds_bpermute_b32 v3, v15, v1
	s_waitcnt lgkmcnt(0)
	v_max_f32_e32 v3, v3, v3
	s_delay_alu instid0(VALU_DEP_1)
	v_max_f32_e32 v1, v1, v3
	v_lshl_add_u32 v3, v0, 2, 0x220
	ds_bpermute_b32 v1, v16, v1
	s_and_saveexec_b32 s15, s1
	s_cbranch_execz .LBB81_27
; %bb.24:
	v_lshl_add_u32 v17, v0, 2, 0x220
	v_mov_b32_e32 v16, 0
	v_mov_b32_e32 v18, v0
	s_mov_b32 s35, 0
	.p2align	6
.LBB81_25:                              ; =>This Inner Loop Header: Depth=1
	ds_load_b32 v19, v17
	v_add_nc_u32_e32 v18, 0x80, v18
	s_delay_alu instid0(VALU_DEP_1) | instskip(NEXT) | instid1(VALU_DEP_1)
	v_cmp_le_i32_e64 s3, s7, v18
	s_or_b32 s35, s3, s35
	s_waitcnt lgkmcnt(0)
	v_sub_f32_e32 v19, v19, v1
	s_delay_alu instid0(VALU_DEP_1) | instskip(NEXT) | instid1(VALU_DEP_1)
	v_mul_f32_e32 v19, 0x3fb8aa3b, v19
	v_exp_f32_e32 v19, v19
	ds_store_b32 v17, v19
	v_dual_add_f32 v16, v16, v19 :: v_dual_add_nc_u32 v17, 0x200, v17
	s_and_not1_b32 exec_lo, exec_lo, s35
	s_cbranch_execnz .LBB81_25
; %bb.26:
	s_or_b32 exec_lo, exec_lo, s35
.LBB81_27:
	s_delay_alu instid0(SALU_CYCLE_1)
	s_or_b32 exec_lo, exec_lo, s15
	ds_bpermute_b32 v2, v2, v16
	s_waitcnt lgkmcnt(0)
	v_add_f32_e32 v2, v16, v2
	ds_bpermute_b32 v4, v4, v2
	s_waitcnt lgkmcnt(0)
	v_add_f32_e32 v2, v2, v4
	;; [unrolled: 3-line block ×5, first 2 shown]
	s_and_saveexec_b32 s3, vcc_lo
	s_cbranch_execz .LBB81_29
; %bb.28:
	ds_store_b32 v7, v2 offset:528
.LBB81_29:
	s_or_b32 exec_lo, exec_lo, s3
	s_waitcnt lgkmcnt(0)
	s_barrier
	buffer_gl0_inv
	s_and_saveexec_b32 s3, s0
	s_cbranch_execz .LBB81_31
; %bb.30:
	ds_load_b32 v2, v8 offset:528
.LBB81_31:
	s_or_b32 exec_lo, exec_lo, s3
	s_waitcnt lgkmcnt(0)
	ds_bpermute_b32 v4, v14, v2
	s_waitcnt lgkmcnt(0)
	v_add_f32_e32 v2, v2, v4
	ds_bpermute_b32 v4, v15, v2
	s_waitcnt lgkmcnt(0)
	v_add_f32_e32 v2, v2, v4
	v_mov_b32_e32 v4, 0
	ds_bpermute_b32 v2, v4, v2
	s_and_saveexec_b32 s0, s1
	s_cbranch_execz .LBB81_34
; %bb.32:
	s_waitcnt lgkmcnt(0)
	v_add_f32_e32 v4, 0x358637bd, v2
	s_mov_b32 s1, 0
	s_delay_alu instid0(VALU_DEP_1) | instskip(SKIP_1) | instid1(VALU_DEP_2)
	v_div_scale_f32 v7, null, v4, v4, 1.0
	v_div_scale_f32 v14, vcc_lo, 1.0, v4, 1.0
	v_rcp_f32_e32 v8, v7
	s_waitcnt_depctr 0xfff
	v_fma_f32 v9, -v7, v8, 1.0
	s_delay_alu instid0(VALU_DEP_1) | instskip(NEXT) | instid1(VALU_DEP_1)
	v_fmac_f32_e32 v8, v9, v8
	v_mul_f32_e32 v9, v14, v8
	s_delay_alu instid0(VALU_DEP_1) | instskip(NEXT) | instid1(VALU_DEP_1)
	v_fma_f32 v15, -v7, v9, v14
	v_fmac_f32_e32 v9, v15, v8
	s_delay_alu instid0(VALU_DEP_1) | instskip(NEXT) | instid1(VALU_DEP_1)
	v_fma_f32 v7, -v7, v9, v14
	v_div_fmas_f32 v7, v7, v8, v9
	s_delay_alu instid0(VALU_DEP_1)
	v_div_fixup_f32 v4, v7, v4, 1.0
	v_mov_b32_e32 v7, v0
.LBB81_33:                              ; =>This Inner Loop Header: Depth=1
	ds_load_b32 v8, v3
	s_waitcnt lgkmcnt(0)
	v_dual_mul_f32 v8, v4, v8 :: v_dual_add_nc_u32 v7, 0x80, v7
	s_delay_alu instid0(VALU_DEP_1) | instskip(SKIP_3) | instid1(SALU_CYCLE_1)
	v_cmp_le_i32_e32 vcc_lo, s7, v7
	ds_store_b32 v3, v8
	v_add_nc_u32_e32 v3, 0x200, v3
	s_or_b32 s1, vcc_lo, s1
	s_and_not1_b32 exec_lo, exec_lo, s1
	s_cbranch_execnz .LBB81_33
.LBB81_34:
	s_or_b32 exec_lo, exec_lo, s0
	s_mul_i32 s0, s4, s14
	s_waitcnt lgkmcnt(0)
	s_mul_i32 s14, s0, s13
	s_mov_b32 s0, exec_lo
	s_barrier
	buffer_gl0_inv
	v_cmpx_eq_u32_e32 0, v0
	s_cbranch_execz .LBB81_36
; %bb.35:
	s_ashr_i32 s15, s14, 31
	s_mul_i32 s40, s4, s24
	s_lshl_b64 s[38:39], s[14:15], 2
	v_mov_b32_e32 v3, 0
	s_add_u32 s1, s18, s38
	s_addc_u32 s3, s19, s39
	s_ashr_i32 s41, s40, 31
	s_delay_alu instid0(SALU_CYCLE_1) | instskip(NEXT) | instid1(SALU_CYCLE_1)
	s_lshl_b64 s[18:19], s[40:41], 2
	s_add_u32 s1, s1, s18
	s_addc_u32 s3, s3, s19
	s_ashr_i32 s13, s12, 31
	s_delay_alu instid0(SALU_CYCLE_1) | instskip(NEXT) | instid1(SALU_CYCLE_1)
	s_lshl_b64 s[40:41], s[12:13], 2
	s_add_u32 s42, s1, s40
	s_addc_u32 s43, s3, s41
	s_add_u32 s1, s16, s38
	s_addc_u32 s3, s17, s39
	;; [unrolled: 2-line block ×4, first 2 shown]
	s_clause 0x1
	global_store_b32 v3, v1, s[42:43]
	global_store_b32 v3, v2, s[16:17]
.LBB81_36:
	s_or_b32 exec_lo, exec_lo, s0
	v_dual_mov_b32 v17, 0 :: v_dual_mov_b32 v14, 0
	v_dual_mov_b32 v15, 0 :: v_dual_mov_b32 v16, 0
	;; [unrolled: 1-line block ×4, first 2 shown]
	s_mov_b32 s3, 0
	s_and_saveexec_b32 s1, s2
	s_cbranch_execz .LBB81_58
; %bb.37:
	s_ashr_i32 s7, s6, 31
	s_sub_i32 s2, s37, s9
	s_lshl_b64 s[6:7], s[6:7], 1
	v_dual_mov_b32 v19, 0 :: v_dual_lshlrev_b32 v4, 4, v13
	s_add_u32 s0, s30, s6
	s_addc_u32 s15, s31, s7
	s_abs_i32 s6, s10
	s_delay_alu instid0(VALU_DEP_1) | instskip(SKIP_4) | instid1(VALU_DEP_2)
	v_add_co_u32 v23, s0, s0, v4
	v_cvt_f32_u32_e32 v1, s6
	s_sub_i32 s16, 0, s6
	s_add_i32 s34, s34, -1
	v_add_co_ci_u32_e64 v24, null, s15, 0, s0
	v_rcp_iflag_f32_e32 v1, v1
	v_lshl_add_u32 v22, v11, 5, 0x220
	v_dual_mov_b32 v21, 0 :: v_dual_mov_b32 v18, 0
	v_dual_mov_b32 v16, 0 :: v_dual_mov_b32 v15, 0
	;; [unrolled: 1-line block ×3, first 2 shown]
	s_mov_b32 s7, s33
	s_mov_b32 s9, s33
	s_waitcnt_depctr 0xfff
	v_mul_f32_e32 v3, 0x4f7ffffe, v1
	v_lshlrev_b64 v[1:2], 2, v[5:6]
	s_mov_b32 s10, s33
	s_mov_b32 s13, s33
	s_delay_alu instid0(VALU_DEP_2) | instskip(NEXT) | instid1(VALU_DEP_1)
	v_cvt_u32_f32_e32 v3, v3
	v_mul_lo_u32 v6, s16, v3
	s_lshl_b64 s[16:17], s[28:29], 2
	s_delay_alu instid0(SALU_CYCLE_1) | instskip(SKIP_3) | instid1(VALU_DEP_1)
	s_add_u32 s0, s26, s16
	s_addc_u32 s15, s27, s17
	s_mov_b32 s16, s33
	s_mov_b32 s17, s33
	v_mul_hi_u32 v8, v3, v6
	v_add_co_u32 v6, vcc_lo, s0, v1
	v_mov_b32_e32 v14, 0
	v_add_co_ci_u32_e32 v7, vcc_lo, s15, v2, vcc_lo
	s_mov_b32 s15, s33
	s_delay_alu instid0(VALU_DEP_4)
	v_add_nc_u32_e32 v25, v3, v8
	s_branch .LBB81_40
.LBB81_38:                              ;   in Loop: Header=BB81_40 Depth=1
	s_or_b32 exec_lo, exec_lo, s0
	s_waitcnt vmcnt(0)
	;;#ASMSTART
	v_pk_mul_f16 v1, v38, v1;

	;;#ASMEND
	;;#ASMSTART
	v_pk_mul_f16 v2, v37, v2;

	;;#ASMEND
	;; [unrolled: 4-line block ×4, first 2 shown]
	;;#ASMSTART
	v_pk_add_f16 v1, v1, v2;

	;;#ASMEND
	;;#ASMSTART
	v_pk_add_f16 v1, v1, v3;

	;;#ASMEND
	;; [unrolled: 4-line block ×3, first 2 shown]
	v_add_f32_e32 v4, v39, v40
	v_dual_add_f32 v8, v49, v50 :: v_dual_add_f32 v9, v47, v48
	v_add_f32_e32 v26, v45, v46
	s_delay_alu instid0(VALU_DEP_3)
	v_dual_add_f32 v21, v21, v4 :: v_dual_and_b32 v2, 0xffff, v1
	v_lshrrev_b32_e32 v1, 16, v1
	;;#ASMSTART
	v_cvt_f32_f16 v2, v2;
	;;#ASMEND
	;;#ASMSTART
	v_cvt_f32_f16 v1, v1;
	;;#ASMEND
	v_dual_add_f32 v14, v14, v8 :: v_dual_add_f32 v3, v41, v42
	v_dual_add_f32 v15, v15, v9 :: v_dual_add_f32 v16, v16, v26
	;; [unrolled: 1-line block ×3, first 2 shown]
	s_delay_alu instid0(VALU_DEP_3) | instskip(NEXT) | instid1(VALU_DEP_2)
	v_dual_add_f32 v1, v2, v1 :: v_dual_add_f32 v20, v20, v3
	v_dual_add_f32 v19, v19, v9 :: v_dual_add_f32 v18, v18, v8
	s_delay_alu instid0(VALU_DEP_2)
	v_add_f32_e32 v17, v17, v1
.LBB81_39:                              ;   in Loop: Header=BB81_40 Depth=1
	s_or_b32 exec_lo, exec_lo, s18
	v_add_nc_u32_e32 v5, 4, v5
	v_add_co_u32 v6, s0, v6, 16
	s_delay_alu instid0(VALU_DEP_1) | instskip(NEXT) | instid1(VALU_DEP_3)
	v_add_co_ci_u32_e64 v7, s0, 0, v7, s0
	v_cmp_le_i32_e32 vcc_lo, s8, v5
	v_add_nc_u32_e32 v12, 32, v12
	v_add_nc_u32_e32 v22, 0x80, v22
	s_or_b32 s3, vcc_lo, s3
	s_delay_alu instid0(SALU_CYCLE_1)
	s_and_not1_b32 exec_lo, exec_lo, s3
	s_cbranch_execz .LBB81_57
.LBB81_40:                              ; =>This Inner Loop Header: Depth=1
	v_sub_nc_u32_e32 v1, 0, v12
	s_delay_alu instid0(VALU_DEP_1) | instskip(NEXT) | instid1(VALU_DEP_1)
	v_max_i32_e32 v1, v12, v1
	v_mul_hi_u32 v2, v1, s25
	s_delay_alu instid0(VALU_DEP_1) | instskip(NEXT) | instid1(VALU_DEP_1)
	v_mul_lo_u32 v3, v2, s21
	v_sub_nc_u32_e32 v1, v1, v3
	v_add_nc_u32_e32 v3, 1, v2
	s_delay_alu instid0(VALU_DEP_2) | instskip(SKIP_1) | instid1(VALU_DEP_2)
	v_subrev_nc_u32_e32 v4, s21, v1
	v_cmp_le_u32_e32 vcc_lo, s21, v1
	v_dual_cndmask_b32 v2, v2, v3 :: v_dual_cndmask_b32 v1, v1, v4
	v_ashrrev_i32_e32 v3, 31, v12
	s_delay_alu instid0(VALU_DEP_2) | instskip(NEXT) | instid1(VALU_DEP_3)
	v_add_nc_u32_e32 v4, 1, v2
	v_cmp_le_u32_e32 vcc_lo, s21, v1
	s_delay_alu instid0(VALU_DEP_3) | instskip(NEXT) | instid1(VALU_DEP_3)
	v_xor_b32_e32 v3, s11, v3
	v_cndmask_b32_e32 v1, v2, v4, vcc_lo
	s_delay_alu instid0(VALU_DEP_1) | instskip(NEXT) | instid1(VALU_DEP_1)
	v_xor_b32_e32 v1, v1, v3
	v_sub_nc_u32_e32 v1, v1, v3
	s_delay_alu instid0(VALU_DEP_1) | instskip(SKIP_1) | instid1(VALU_DEP_2)
	v_add_nc_u32_e32 v2, s36, v1
	v_cmp_lt_i32_e64 s0, s2, v1
	v_sub_nc_u32_e32 v3, 0, v2
	s_delay_alu instid0(VALU_DEP_1) | instskip(NEXT) | instid1(VALU_DEP_1)
	v_max_i32_e32 v3, v2, v3
	v_mul_hi_u32 v4, v3, v25
	s_delay_alu instid0(VALU_DEP_1) | instskip(NEXT) | instid1(VALU_DEP_1)
	v_mul_lo_u32 v4, v4, s6
	v_sub_nc_u32_e32 v3, v3, v4
	s_delay_alu instid0(VALU_DEP_1) | instskip(SKIP_1) | instid1(VALU_DEP_2)
	v_subrev_nc_u32_e32 v4, s6, v3
	v_cmp_le_u32_e32 vcc_lo, s6, v3
	v_cndmask_b32_e32 v3, v3, v4, vcc_lo
	v_ashrrev_i32_e32 v2, 31, v2
	s_delay_alu instid0(VALU_DEP_2) | instskip(SKIP_1) | instid1(VALU_DEP_2)
	v_subrev_nc_u32_e32 v4, s6, v3
	v_cmp_le_u32_e32 vcc_lo, s6, v3
	v_cndmask_b32_e32 v3, v3, v4, vcc_lo
	s_delay_alu instid0(VALU_DEP_1) | instskip(NEXT) | instid1(VALU_DEP_1)
	v_xor_b32_e32 v3, v3, v2
	v_sub_nc_u32_e32 v2, v3, v2
	s_delay_alu instid0(VALU_DEP_1) | instskip(SKIP_1) | instid1(SALU_CYCLE_1)
	v_cmp_eq_u32_e32 vcc_lo, 0, v2
	s_or_b32 s0, vcc_lo, s0
	s_and_saveexec_b32 s18, s0
	s_cbranch_execz .LBB81_39
; %bb.41:                               ;   in Loop: Header=BB81_40 Depth=1
	global_load_b32 v30, v[6:7], off
	ds_load_2addr_b64 v[1:4], v22 offset1:1
	ds_load_2addr_b64 v[26:29], v22 offset0:2 offset1:3
	v_or_b32_e32 v31, 7, v12
	v_or_b32_e32 v32, 6, v12
	s_waitcnt lgkmcnt(1)
	;;#ASMSTART
	v_cvt_f16_f32 v36, v1;

	;;#ASMEND
	;;#ASMSTART
	v_cvt_f16_f32 v33, v2;

	;;#ASMEND
	;; [unrolled: 4-line block ×4, first 2 shown]
	s_waitcnt lgkmcnt(0)
	;;#ASMSTART
	v_cvt_f16_f32 v38, v26;

	;;#ASMEND
	;;#ASMSTART
	v_cvt_f16_f32 v35, v27;

	;;#ASMEND
	;; [unrolled: 4-line block ×4, first 2 shown]
	v_add_nc_u32_e32 v26, 1, v12
	v_or_b32_e32 v28, 3, v12
	v_or_b32_e32 v27, 2, v12
	;; [unrolled: 1-line block ×3, first 2 shown]
	s_waitcnt vmcnt(0)
	v_mad_i64_i32 v[8:9], null, v30, s5, 0
	v_or_b32_e32 v30, 5, v12
	s_delay_alu instid0(VALU_DEP_2) | instskip(NEXT) | instid1(VALU_DEP_1)
	v_lshlrev_b64 v[8:9], 1, v[8:9]
	v_add_co_u32 v8, vcc_lo, v23, v8
	s_delay_alu instid0(VALU_DEP_2)
	v_add_co_ci_u32_e32 v9, vcc_lo, v24, v9, vcc_lo
	v_cmp_eq_u32_e32 vcc_lo, s34, v5
	global_load_b128 v[1:4], v[8:9], off
	s_and_saveexec_b32 s19, vcc_lo
	s_cbranch_execz .LBB81_43
; %bb.42:                               ;   in Loop: Header=BB81_40 Depth=1
	v_cmp_gt_i32_e64 s0, s16, v32
	s_waitcnt vmcnt(0)
	v_lshrrev_b32_e32 v41, 16, v4
	v_lshrrev_b32_e32 v42, 16, v3
	;; [unrolled: 1-line block ×4, first 2 shown]
	v_cndmask_b32_e64 v4, 0, v4, s0
	v_cmp_gt_i32_e64 s0, s17, v31
	s_delay_alu instid0(VALU_DEP_1) | instskip(SKIP_1) | instid1(VALU_DEP_2)
	v_cndmask_b32_e64 v41, 0, v41, s0
	v_cmp_gt_i32_e64 s0, s15, v30
	v_perm_b32 v4, v41, v4, 0x5040100
	s_delay_alu instid0(VALU_DEP_2) | instskip(SKIP_1) | instid1(VALU_DEP_1)
	v_cndmask_b32_e64 v42, 0, v42, s0
	v_cmp_gt_i32_e64 s0, s13, v29
	v_cndmask_b32_e64 v3, 0, v3, s0
	v_cmp_gt_i32_e64 s0, s10, v28
	s_delay_alu instid0(VALU_DEP_2) | instskip(NEXT) | instid1(VALU_DEP_2)
	v_perm_b32 v3, v42, v3, 0x5040100
	v_cndmask_b32_e64 v43, 0, v43, s0
	v_cmp_gt_i32_e64 s0, s9, v27
	s_delay_alu instid0(VALU_DEP_1) | instskip(SKIP_1) | instid1(VALU_DEP_2)
	v_cndmask_b32_e64 v2, 0, v2, s0
	v_cmp_gt_i32_e64 s0, s7, v26
	v_perm_b32 v2, v43, v2, 0x5040100
	s_delay_alu instid0(VALU_DEP_2) | instskip(SKIP_1) | instid1(VALU_DEP_1)
	v_cndmask_b32_e64 v44, 0, v44, s0
	v_cmp_gt_i32_e64 s0, s33, v12
	v_cndmask_b32_e64 v1, 0, v1, s0
	s_delay_alu instid0(VALU_DEP_1)
	v_perm_b32 v1, v44, v1, 0x5040100
.LBB81_43:                              ;   in Loop: Header=BB81_40 Depth=1
	s_or_b32 exec_lo, exec_lo, s19
	v_and_b32_e32 v36, 0xffff, v36
	v_and_b32_e32 v37, 0xffff, v37
	;; [unrolled: 1-line block ×4, first 2 shown]
	s_delay_alu instid0(VALU_DEP_4)
	v_lshl_or_b32 v38, v33, 16, v36
	s_waitcnt vmcnt(0)
	;;#ASMSTART
	v_pk_mul_f16 v1, v38, v1;

	;;#ASMEND
	v_lshl_or_b32 v37, v34, 16, v37
	v_lshl_or_b32 v36, v35, 16, v41
	v_lshl_or_b32 v34, v39, 16, v40
	;;#ASMSTART
	v_pk_mul_f16 v2, v37, v2;

	;;#ASMEND
	;;#ASMSTART
	v_pk_mul_f16 v3, v36, v3;

	;;#ASMEND
	;; [unrolled: 4-line block ×3, first 2 shown]
	;;#ASMSTART
	v_pk_add_f16 v1, v1, v2;

	;;#ASMEND
	;;#ASMSTART
	v_pk_add_f16 v1, v1, v3;

	;;#ASMEND
	;; [unrolled: 4-line block ×3, first 2 shown]
	v_and_b32_e32 v2, 0xffff, v1
	v_lshrrev_b32_e32 v1, 16, v1
	;;#ASMSTART
	v_cvt_f32_f16 v33, v2;
	;;#ASMEND
	;;#ASMSTART
	v_cvt_f32_f16 v35, v1;
	;;#ASMEND
	global_load_b128 v[1:4], v[8:9], off offset:512
	s_and_saveexec_b32 s19, vcc_lo
	s_cbranch_execz .LBB81_45
; %bb.44:                               ;   in Loop: Header=BB81_40 Depth=1
	v_cmp_gt_i32_e64 s0, s16, v32
	s_waitcnt vmcnt(0)
	v_lshrrev_b32_e32 v39, 16, v4
	v_lshrrev_b32_e32 v40, 16, v3
	;; [unrolled: 1-line block ×4, first 2 shown]
	v_cndmask_b32_e64 v4, 0, v4, s0
	v_cmp_gt_i32_e64 s0, s17, v31
	s_delay_alu instid0(VALU_DEP_1) | instskip(SKIP_1) | instid1(VALU_DEP_2)
	v_cndmask_b32_e64 v39, 0, v39, s0
	v_cmp_gt_i32_e64 s0, s15, v30
	v_perm_b32 v4, v39, v4, 0x5040100
	s_delay_alu instid0(VALU_DEP_2) | instskip(SKIP_1) | instid1(VALU_DEP_1)
	v_cndmask_b32_e64 v40, 0, v40, s0
	v_cmp_gt_i32_e64 s0, s13, v29
	v_cndmask_b32_e64 v3, 0, v3, s0
	v_cmp_gt_i32_e64 s0, s10, v28
	s_delay_alu instid0(VALU_DEP_2) | instskip(NEXT) | instid1(VALU_DEP_2)
	v_perm_b32 v3, v40, v3, 0x5040100
	v_cndmask_b32_e64 v41, 0, v41, s0
	v_cmp_gt_i32_e64 s0, s9, v27
	s_delay_alu instid0(VALU_DEP_1) | instskip(SKIP_1) | instid1(VALU_DEP_2)
	v_cndmask_b32_e64 v2, 0, v2, s0
	v_cmp_gt_i32_e64 s0, s7, v26
	v_perm_b32 v2, v41, v2, 0x5040100
	s_delay_alu instid0(VALU_DEP_2) | instskip(SKIP_1) | instid1(VALU_DEP_1)
	v_cndmask_b32_e64 v42, 0, v42, s0
	v_cmp_gt_i32_e64 s0, s33, v12
	v_cndmask_b32_e64 v1, 0, v1, s0
	s_delay_alu instid0(VALU_DEP_1)
	v_perm_b32 v1, v42, v1, 0x5040100
.LBB81_45:                              ;   in Loop: Header=BB81_40 Depth=1
	s_or_b32 exec_lo, exec_lo, s19
	s_waitcnt vmcnt(0)
	;;#ASMSTART
	v_pk_mul_f16 v1, v38, v1;

	;;#ASMEND
	;;#ASMSTART
	v_pk_mul_f16 v2, v37, v2;

	;;#ASMEND
	;; [unrolled: 4-line block ×4, first 2 shown]
	;;#ASMSTART
	v_pk_add_f16 v1, v1, v2;

	;;#ASMEND
	;;#ASMSTART
	v_pk_add_f16 v1, v1, v3;

	;;#ASMEND
	;;#ASMSTART
	v_pk_add_f16 v1, v1, v4;

	;;#ASMEND
	v_and_b32_e32 v2, 0xffff, v1
	v_lshrrev_b32_e32 v1, 16, v1
	;;#ASMSTART
	v_cvt_f32_f16 v39, v2;
	;;#ASMEND
	;;#ASMSTART
	v_cvt_f32_f16 v40, v1;
	;;#ASMEND
	global_load_b128 v[1:4], v[8:9], off offset:1024
	s_and_saveexec_b32 s19, vcc_lo
	s_cbranch_execz .LBB81_47
; %bb.46:                               ;   in Loop: Header=BB81_40 Depth=1
	v_cmp_gt_i32_e64 s0, s16, v32
	s_waitcnt vmcnt(0)
	v_lshrrev_b32_e32 v41, 16, v4
	v_lshrrev_b32_e32 v42, 16, v3
	;; [unrolled: 1-line block ×4, first 2 shown]
	v_cndmask_b32_e64 v4, 0, v4, s0
	v_cmp_gt_i32_e64 s0, s17, v31
	s_delay_alu instid0(VALU_DEP_1) | instskip(SKIP_1) | instid1(VALU_DEP_2)
	v_cndmask_b32_e64 v41, 0, v41, s0
	v_cmp_gt_i32_e64 s0, s15, v30
	v_perm_b32 v4, v41, v4, 0x5040100
	s_delay_alu instid0(VALU_DEP_2) | instskip(SKIP_1) | instid1(VALU_DEP_1)
	v_cndmask_b32_e64 v42, 0, v42, s0
	v_cmp_gt_i32_e64 s0, s13, v29
	v_cndmask_b32_e64 v3, 0, v3, s0
	v_cmp_gt_i32_e64 s0, s10, v28
	s_delay_alu instid0(VALU_DEP_2) | instskip(NEXT) | instid1(VALU_DEP_2)
	v_perm_b32 v3, v42, v3, 0x5040100
	v_cndmask_b32_e64 v43, 0, v43, s0
	v_cmp_gt_i32_e64 s0, s9, v27
	s_delay_alu instid0(VALU_DEP_1) | instskip(SKIP_1) | instid1(VALU_DEP_2)
	v_cndmask_b32_e64 v2, 0, v2, s0
	v_cmp_gt_i32_e64 s0, s7, v26
	v_perm_b32 v2, v43, v2, 0x5040100
	s_delay_alu instid0(VALU_DEP_2) | instskip(SKIP_1) | instid1(VALU_DEP_1)
	v_cndmask_b32_e64 v44, 0, v44, s0
	v_cmp_gt_i32_e64 s0, s33, v12
	v_cndmask_b32_e64 v1, 0, v1, s0
	s_delay_alu instid0(VALU_DEP_1)
	v_perm_b32 v1, v44, v1, 0x5040100
.LBB81_47:                              ;   in Loop: Header=BB81_40 Depth=1
	s_or_b32 exec_lo, exec_lo, s19
	s_waitcnt vmcnt(0)
	;;#ASMSTART
	v_pk_mul_f16 v1, v38, v1;

	;;#ASMEND
	;;#ASMSTART
	v_pk_mul_f16 v2, v37, v2;

	;;#ASMEND
	;; [unrolled: 4-line block ×4, first 2 shown]
	;;#ASMSTART
	v_pk_add_f16 v1, v1, v2;

	;;#ASMEND
	;;#ASMSTART
	v_pk_add_f16 v1, v1, v3;

	;;#ASMEND
	;; [unrolled: 4-line block ×3, first 2 shown]
	v_and_b32_e32 v2, 0xffff, v1
	v_lshrrev_b32_e32 v1, 16, v1
	;;#ASMSTART
	v_cvt_f32_f16 v41, v2;
	;;#ASMEND
	;;#ASMSTART
	v_cvt_f32_f16 v42, v1;
	;;#ASMEND
	global_load_b128 v[1:4], v[8:9], off offset:1536
	s_and_saveexec_b32 s19, vcc_lo
	s_cbranch_execz .LBB81_49
; %bb.48:                               ;   in Loop: Header=BB81_40 Depth=1
	v_cmp_gt_i32_e64 s0, s16, v32
	s_waitcnt vmcnt(0)
	v_lshrrev_b32_e32 v43, 16, v4
	v_lshrrev_b32_e32 v44, 16, v3
	;; [unrolled: 1-line block ×4, first 2 shown]
	v_cndmask_b32_e64 v4, 0, v4, s0
	v_cmp_gt_i32_e64 s0, s17, v31
	s_delay_alu instid0(VALU_DEP_1) | instskip(SKIP_1) | instid1(VALU_DEP_2)
	v_cndmask_b32_e64 v43, 0, v43, s0
	v_cmp_gt_i32_e64 s0, s15, v30
	v_perm_b32 v4, v43, v4, 0x5040100
	s_delay_alu instid0(VALU_DEP_2) | instskip(SKIP_1) | instid1(VALU_DEP_1)
	v_cndmask_b32_e64 v44, 0, v44, s0
	v_cmp_gt_i32_e64 s0, s13, v29
	v_cndmask_b32_e64 v3, 0, v3, s0
	v_cmp_gt_i32_e64 s0, s10, v28
	s_delay_alu instid0(VALU_DEP_2) | instskip(NEXT) | instid1(VALU_DEP_2)
	v_perm_b32 v3, v44, v3, 0x5040100
	v_cndmask_b32_e64 v45, 0, v45, s0
	v_cmp_gt_i32_e64 s0, s9, v27
	s_delay_alu instid0(VALU_DEP_1) | instskip(SKIP_1) | instid1(VALU_DEP_2)
	v_cndmask_b32_e64 v2, 0, v2, s0
	v_cmp_gt_i32_e64 s0, s7, v26
	v_perm_b32 v2, v45, v2, 0x5040100
	s_delay_alu instid0(VALU_DEP_2) | instskip(SKIP_1) | instid1(VALU_DEP_1)
	v_cndmask_b32_e64 v46, 0, v46, s0
	v_cmp_gt_i32_e64 s0, s33, v12
	v_cndmask_b32_e64 v1, 0, v1, s0
	s_delay_alu instid0(VALU_DEP_1)
	v_perm_b32 v1, v46, v1, 0x5040100
.LBB81_49:                              ;   in Loop: Header=BB81_40 Depth=1
	s_or_b32 exec_lo, exec_lo, s19
	s_waitcnt vmcnt(0)
	;;#ASMSTART
	v_pk_mul_f16 v1, v38, v1;

	;;#ASMEND
	;;#ASMSTART
	v_pk_mul_f16 v2, v37, v2;

	;;#ASMEND
	;; [unrolled: 4-line block ×4, first 2 shown]
	;;#ASMSTART
	v_pk_add_f16 v1, v1, v2;

	;;#ASMEND
	;;#ASMSTART
	v_pk_add_f16 v1, v1, v3;

	;;#ASMEND
	;; [unrolled: 4-line block ×3, first 2 shown]
	v_and_b32_e32 v2, 0xffff, v1
	v_lshrrev_b32_e32 v1, 16, v1
	;;#ASMSTART
	v_cvt_f32_f16 v43, v2;
	;;#ASMEND
	;;#ASMSTART
	v_cvt_f32_f16 v44, v1;
	;;#ASMEND
	global_load_b128 v[1:4], v[8:9], off offset:2048
	s_and_saveexec_b32 s19, vcc_lo
	s_cbranch_execz .LBB81_51
; %bb.50:                               ;   in Loop: Header=BB81_40 Depth=1
	v_cmp_gt_i32_e64 s0, s16, v32
	s_waitcnt vmcnt(0)
	v_lshrrev_b32_e32 v45, 16, v4
	v_lshrrev_b32_e32 v46, 16, v3
	;; [unrolled: 1-line block ×4, first 2 shown]
	v_cndmask_b32_e64 v4, 0, v4, s0
	v_cmp_gt_i32_e64 s0, s17, v31
	s_delay_alu instid0(VALU_DEP_1) | instskip(SKIP_1) | instid1(VALU_DEP_2)
	v_cndmask_b32_e64 v45, 0, v45, s0
	v_cmp_gt_i32_e64 s0, s15, v30
	v_perm_b32 v4, v45, v4, 0x5040100
	s_delay_alu instid0(VALU_DEP_2) | instskip(SKIP_1) | instid1(VALU_DEP_1)
	v_cndmask_b32_e64 v46, 0, v46, s0
	v_cmp_gt_i32_e64 s0, s13, v29
	v_cndmask_b32_e64 v3, 0, v3, s0
	v_cmp_gt_i32_e64 s0, s10, v28
	s_delay_alu instid0(VALU_DEP_2) | instskip(NEXT) | instid1(VALU_DEP_2)
	v_perm_b32 v3, v46, v3, 0x5040100
	v_cndmask_b32_e64 v47, 0, v47, s0
	v_cmp_gt_i32_e64 s0, s9, v27
	s_delay_alu instid0(VALU_DEP_1) | instskip(SKIP_1) | instid1(VALU_DEP_2)
	v_cndmask_b32_e64 v2, 0, v2, s0
	v_cmp_gt_i32_e64 s0, s7, v26
	v_perm_b32 v2, v47, v2, 0x5040100
	s_delay_alu instid0(VALU_DEP_2) | instskip(SKIP_1) | instid1(VALU_DEP_1)
	v_cndmask_b32_e64 v48, 0, v48, s0
	v_cmp_gt_i32_e64 s0, s33, v12
	v_cndmask_b32_e64 v1, 0, v1, s0
	s_delay_alu instid0(VALU_DEP_1)
	v_perm_b32 v1, v48, v1, 0x5040100
.LBB81_51:                              ;   in Loop: Header=BB81_40 Depth=1
	s_or_b32 exec_lo, exec_lo, s19
	s_waitcnt vmcnt(0)
	;;#ASMSTART
	v_pk_mul_f16 v1, v38, v1;

	;;#ASMEND
	;;#ASMSTART
	v_pk_mul_f16 v2, v37, v2;

	;;#ASMEND
	;; [unrolled: 4-line block ×4, first 2 shown]
	;;#ASMSTART
	v_pk_add_f16 v1, v1, v2;

	;;#ASMEND
	;;#ASMSTART
	v_pk_add_f16 v1, v1, v3;

	;;#ASMEND
	;; [unrolled: 4-line block ×3, first 2 shown]
	v_and_b32_e32 v2, 0xffff, v1
	v_lshrrev_b32_e32 v1, 16, v1
	;;#ASMSTART
	v_cvt_f32_f16 v45, v2;
	;;#ASMEND
	;;#ASMSTART
	v_cvt_f32_f16 v46, v1;
	;;#ASMEND
	global_load_b128 v[1:4], v[8:9], off offset:2560
	s_and_saveexec_b32 s19, vcc_lo
	s_cbranch_execz .LBB81_53
; %bb.52:                               ;   in Loop: Header=BB81_40 Depth=1
	v_cmp_gt_i32_e64 s0, s16, v32
	s_waitcnt vmcnt(0)
	v_lshrrev_b32_e32 v47, 16, v4
	v_lshrrev_b32_e32 v48, 16, v3
	;; [unrolled: 1-line block ×4, first 2 shown]
	v_cndmask_b32_e64 v4, 0, v4, s0
	v_cmp_gt_i32_e64 s0, s17, v31
	s_delay_alu instid0(VALU_DEP_1) | instskip(SKIP_1) | instid1(VALU_DEP_2)
	v_cndmask_b32_e64 v47, 0, v47, s0
	v_cmp_gt_i32_e64 s0, s15, v30
	v_perm_b32 v4, v47, v4, 0x5040100
	s_delay_alu instid0(VALU_DEP_2) | instskip(SKIP_1) | instid1(VALU_DEP_1)
	v_cndmask_b32_e64 v48, 0, v48, s0
	v_cmp_gt_i32_e64 s0, s13, v29
	v_cndmask_b32_e64 v3, 0, v3, s0
	v_cmp_gt_i32_e64 s0, s10, v28
	s_delay_alu instid0(VALU_DEP_2) | instskip(NEXT) | instid1(VALU_DEP_2)
	v_perm_b32 v3, v48, v3, 0x5040100
	v_cndmask_b32_e64 v49, 0, v49, s0
	v_cmp_gt_i32_e64 s0, s9, v27
	s_delay_alu instid0(VALU_DEP_1) | instskip(SKIP_1) | instid1(VALU_DEP_2)
	v_cndmask_b32_e64 v2, 0, v2, s0
	v_cmp_gt_i32_e64 s0, s7, v26
	v_perm_b32 v2, v49, v2, 0x5040100
	s_delay_alu instid0(VALU_DEP_2) | instskip(SKIP_1) | instid1(VALU_DEP_1)
	v_cndmask_b32_e64 v50, 0, v50, s0
	v_cmp_gt_i32_e64 s0, s33, v12
	v_cndmask_b32_e64 v1, 0, v1, s0
	s_delay_alu instid0(VALU_DEP_1)
	v_perm_b32 v1, v50, v1, 0x5040100
.LBB81_53:                              ;   in Loop: Header=BB81_40 Depth=1
	s_or_b32 exec_lo, exec_lo, s19
	s_waitcnt vmcnt(0)
	;;#ASMSTART
	v_pk_mul_f16 v1, v38, v1;

	;;#ASMEND
	;;#ASMSTART
	v_pk_mul_f16 v2, v37, v2;

	;;#ASMEND
	;; [unrolled: 4-line block ×4, first 2 shown]
	;;#ASMSTART
	v_pk_add_f16 v1, v1, v2;

	;;#ASMEND
	;;#ASMSTART
	v_pk_add_f16 v1, v1, v3;

	;;#ASMEND
	;; [unrolled: 4-line block ×3, first 2 shown]
	v_and_b32_e32 v2, 0xffff, v1
	v_lshrrev_b32_e32 v1, 16, v1
	;;#ASMSTART
	v_cvt_f32_f16 v47, v2;
	;;#ASMEND
	;;#ASMSTART
	v_cvt_f32_f16 v48, v1;
	;;#ASMEND
	global_load_b128 v[1:4], v[8:9], off offset:3072
	s_and_saveexec_b32 s19, vcc_lo
	s_cbranch_execz .LBB81_55
; %bb.54:                               ;   in Loop: Header=BB81_40 Depth=1
	v_cmp_gt_i32_e64 s0, s16, v32
	s_waitcnt vmcnt(0)
	v_lshrrev_b32_e32 v49, 16, v4
	v_lshrrev_b32_e32 v50, 16, v3
	;; [unrolled: 1-line block ×4, first 2 shown]
	v_cndmask_b32_e64 v4, 0, v4, s0
	v_cmp_gt_i32_e64 s0, s17, v31
	s_delay_alu instid0(VALU_DEP_1) | instskip(SKIP_1) | instid1(VALU_DEP_2)
	v_cndmask_b32_e64 v49, 0, v49, s0
	v_cmp_gt_i32_e64 s0, s15, v30
	v_perm_b32 v4, v49, v4, 0x5040100
	s_delay_alu instid0(VALU_DEP_2) | instskip(SKIP_1) | instid1(VALU_DEP_1)
	v_cndmask_b32_e64 v50, 0, v50, s0
	v_cmp_gt_i32_e64 s0, s13, v29
	v_cndmask_b32_e64 v3, 0, v3, s0
	v_cmp_gt_i32_e64 s0, s10, v28
	s_delay_alu instid0(VALU_DEP_2) | instskip(NEXT) | instid1(VALU_DEP_2)
	v_perm_b32 v3, v50, v3, 0x5040100
	v_cndmask_b32_e64 v51, 0, v51, s0
	v_cmp_gt_i32_e64 s0, s9, v27
	s_delay_alu instid0(VALU_DEP_1) | instskip(SKIP_1) | instid1(VALU_DEP_2)
	v_cndmask_b32_e64 v2, 0, v2, s0
	v_cmp_gt_i32_e64 s0, s7, v26
	v_perm_b32 v2, v51, v2, 0x5040100
	s_delay_alu instid0(VALU_DEP_2) | instskip(SKIP_1) | instid1(VALU_DEP_1)
	v_cndmask_b32_e64 v52, 0, v52, s0
	v_cmp_gt_i32_e64 s0, s33, v12
	v_cndmask_b32_e64 v1, 0, v1, s0
	s_delay_alu instid0(VALU_DEP_1)
	v_perm_b32 v1, v52, v1, 0x5040100
.LBB81_55:                              ;   in Loop: Header=BB81_40 Depth=1
	s_or_b32 exec_lo, exec_lo, s19
	s_waitcnt vmcnt(0)
	;;#ASMSTART
	v_pk_mul_f16 v1, v38, v1;

	;;#ASMEND
	;;#ASMSTART
	v_pk_mul_f16 v2, v37, v2;

	;;#ASMEND
	;; [unrolled: 4-line block ×4, first 2 shown]
	;;#ASMSTART
	v_pk_add_f16 v1, v1, v2;

	;;#ASMEND
	;;#ASMSTART
	v_pk_add_f16 v1, v1, v3;

	;;#ASMEND
	;; [unrolled: 4-line block ×3, first 2 shown]
	v_and_b32_e32 v2, 0xffff, v1
	v_lshrrev_b32_e32 v1, 16, v1
	;;#ASMSTART
	v_cvt_f32_f16 v49, v2;
	;;#ASMEND
	;;#ASMSTART
	v_cvt_f32_f16 v50, v1;
	;;#ASMEND
	global_load_b128 v[1:4], v[8:9], off offset:3584
	s_and_saveexec_b32 s0, vcc_lo
	s_cbranch_execz .LBB81_38
; %bb.56:                               ;   in Loop: Header=BB81_40 Depth=1
	v_cmp_gt_i32_e32 vcc_lo, s16, v32
	s_waitcnt vmcnt(0)
	v_lshrrev_b32_e32 v8, 16, v4
	v_lshrrev_b32_e32 v9, 16, v3
	v_cndmask_b32_e32 v4, 0, v4, vcc_lo
	v_cmp_gt_i32_e32 vcc_lo, s17, v31
	s_delay_alu instid0(VALU_DEP_4)
	v_cndmask_b32_e32 v8, 0, v8, vcc_lo
	v_cmp_gt_i32_e32 vcc_lo, s15, v30
	v_lshrrev_b32_e32 v30, 16, v2
	v_cndmask_b32_e32 v9, 0, v9, vcc_lo
	v_cmp_gt_i32_e32 vcc_lo, s13, v29
	v_lshrrev_b32_e32 v29, 16, v1
	v_cndmask_b32_e32 v3, 0, v3, vcc_lo
	v_cmp_gt_i32_e32 vcc_lo, s10, v28
	v_perm_b32 v4, v8, v4, 0x5040100
	s_delay_alu instid0(VALU_DEP_3)
	v_perm_b32 v3, v9, v3, 0x5040100
	v_cndmask_b32_e32 v28, 0, v30, vcc_lo
	v_cmp_gt_i32_e32 vcc_lo, s9, v27
	v_cndmask_b32_e32 v2, 0, v2, vcc_lo
	v_cmp_gt_i32_e32 vcc_lo, s7, v26
	;; [unrolled: 2-line block ×3, first 2 shown]
	v_cndmask_b32_e32 v1, 0, v1, vcc_lo
	v_perm_b32 v2, v28, v2, 0x5040100
	s_delay_alu instid0(VALU_DEP_2)
	v_perm_b32 v1, v26, v1, 0x5040100
	s_branch .LBB81_38
.LBB81_57:
	s_or_b32 exec_lo, exec_lo, s3
.LBB81_58:
	s_delay_alu instid0(SALU_CYCLE_1)
	s_or_b32 exec_lo, exec_lo, s1
	v_and_b32_e32 v2, 0x3c0, v0
	v_lshl_add_u32 v1, v11, 10, 0x220
	s_mov_b32 s0, exec_lo
	s_waitcnt_vscnt null, 0x0
	s_barrier
	buffer_gl0_inv
	v_cmpx_eq_u32_e32 64, v2
	s_cbranch_execz .LBB81_60
; %bb.59:
	v_add_nc_u32_e32 v2, 0xfffff800, v1
	v_or_b32_e32 v3, 0x180, v10
	v_or_b32_e32 v4, 0x380, v10
	s_delay_alu instid0(VALU_DEP_3) | instskip(NEXT) | instid1(VALU_DEP_3)
	v_lshl_add_u32 v5, v13, 2, v2
	v_add_nc_u32_e32 v3, v2, v3
	s_delay_alu instid0(VALU_DEP_3)
	v_add_nc_u32_e32 v2, v2, v4
	ds_store_2addr_b32 v5, v19, v21 offset1:32
	ds_store_b32 v3, v18
	ds_store_2addr_stride64_b32 v5, v20, v16 offset0:1 offset1:2
	ds_store_2addr_b32 v5, v15, v14 offset0:160 offset1:192
	ds_store_b32 v2, v17
.LBB81_60:
	s_or_b32 exec_lo, exec_lo, s0
	v_lshl_add_u32 v2, v13, 2, v1
	s_mov_b32 s0, exec_lo
	s_waitcnt lgkmcnt(0)
	s_barrier
	buffer_gl0_inv
	v_cmpx_gt_u32_e32 64, v0
	s_cbranch_execz .LBB81_62
; %bb.61:
	v_or_b32_e32 v3, 0x80, v10
	v_or_b32_e32 v4, 0x180, v10
	v_or_b32_e32 v5, 0x280, v10
	v_or_b32_e32 v6, 0x380, v10
	s_delay_alu instid0(VALU_DEP_4) | instskip(NEXT) | instid1(VALU_DEP_4)
	v_add_nc_u32_e32 v7, v1, v3
	v_add_nc_u32_e32 v8, v1, v4
	ds_load_2addr_stride64_b32 v[3:4], v2 offset1:1
	v_add_nc_u32_e32 v9, v1, v5
	v_add_nc_u32_e32 v11, v1, v6
	s_waitcnt lgkmcnt(0)
	v_dual_add_f32 v19, v19, v3 :: v_dual_add_f32 v20, v20, v4
	ds_load_2addr_stride64_b32 v[5:6], v2 offset0:2 offset1:3
	ds_load_b32 v7, v7
	ds_load_b32 v8, v8
	;; [unrolled: 1-line block ×4, first 2 shown]
	s_waitcnt lgkmcnt(4)
	v_add_f32_e32 v16, v16, v5
	s_waitcnt lgkmcnt(3)
	v_dual_add_f32 v14, v14, v6 :: v_dual_add_f32 v21, v21, v7
	s_waitcnt lgkmcnt(1)
	v_dual_add_f32 v18, v18, v8 :: v_dual_add_f32 v15, v15, v9
	s_waitcnt lgkmcnt(0)
	v_add_f32_e32 v17, v17, v11
.LBB81_62:
	s_or_b32 exec_lo, exec_lo, s0
	v_and_b32_e32 v3, 0x3e0, v0
	s_mov_b32 s0, exec_lo
	s_barrier
	buffer_gl0_inv
	v_cmpx_eq_u32_e32 32, v3
	s_cbranch_execz .LBB81_64
; %bb.63:
	v_or_b32_e32 v3, 0x180, v10
	v_or_b32_e32 v4, 0x280, v10
	v_lshl_add_u32 v5, v13, 2, 0x220
	v_or_b32_e32 v7, 0x380, v10
	v_add_nc_u32_e32 v6, 0x220, v10
	v_add_nc_u32_e32 v3, 0x220, v3
	;; [unrolled: 1-line block ×3, first 2 shown]
	ds_store_b32 v5, v19
	ds_store_b32 v6, v21
	v_add_nc_u32_e32 v6, 0x220, v7
	ds_store_b32 v3, v18
	ds_store_b32 v4, v15
	ds_store_2addr_stride64_b32 v5, v20, v16 offset0:1 offset1:2
	ds_store_b32 v5, v14 offset:768
	ds_store_b32 v6, v17
.LBB81_64:
	s_or_b32 exec_lo, exec_lo, s0
	v_cmp_gt_u32_e32 vcc_lo, 32, v0
	s_waitcnt lgkmcnt(0)
	s_barrier
	buffer_gl0_inv
	s_and_saveexec_b32 s0, vcc_lo
	s_cbranch_execz .LBB81_66
; %bb.65:
	v_lshl_add_u32 v7, v0, 2, v1
	ds_load_b32 v8, v2
	ds_load_2addr_b32 v[1:2], v7 offset0:32 offset1:64
	ds_load_2addr_b32 v[3:4], v7 offset0:96 offset1:128
	;; [unrolled: 1-line block ×3, first 2 shown]
	ds_load_b32 v7, v7 offset:896
	s_waitcnt lgkmcnt(3)
	v_dual_add_f32 v19, v19, v8 :: v_dual_add_f32 v20, v20, v2
	s_waitcnt lgkmcnt(2)
	v_dual_add_f32 v21, v21, v1 :: v_dual_add_f32 v18, v18, v3
	;; [unrolled: 2-line block ×4, first 2 shown]
.LBB81_66:
	s_or_b32 exec_lo, exec_lo, s0
	s_barrier
	buffer_gl0_inv
	s_and_saveexec_b32 s0, vcc_lo
	s_cbranch_execz .LBB81_68
; %bb.67:
	s_lshl_b32 s0, s14, 8
	s_mul_i32 s2, s4, s20
	s_ashr_i32 s1, s0, 31
	v_lshlrev_b32_e32 v0, 1, v0
	s_lshl_b64 s[0:1], s[0:1], 1
	;;#ASMSTART
	v_cvt_f16_f32 v1, v19;

	;;#ASMEND
	s_add_u32 s4, s22, s0
	s_addc_u32 s5, s23, s1
	s_ashr_i32 s3, s2, 31
	s_delay_alu instid0(SALU_CYCLE_1) | instskip(NEXT) | instid1(SALU_CYCLE_1)
	s_lshl_b64 s[0:1], s[2:3], 1
	s_add_u32 s2, s4, s0
	s_addc_u32 s3, s5, s1
	s_lshl_b32 s0, s12, 8
	s_delay_alu instid0(SALU_CYCLE_1) | instskip(NEXT) | instid1(SALU_CYCLE_1)
	s_ashr_i32 s1, s0, 31
	s_lshl_b64 s[0:1], s[0:1], 1
	s_delay_alu instid0(SALU_CYCLE_1)
	s_add_u32 s0, s2, s0
	s_addc_u32 s1, s3, s1
	global_store_b16 v0, v1, s[0:1]
	;;#ASMSTART
	v_cvt_f16_f32 v1, v21;

	;;#ASMEND
	global_store_b16 v0, v1, s[0:1] offset:64
	;;#ASMSTART
	v_cvt_f16_f32 v1, v20;

	;;#ASMEND
	global_store_b16 v0, v1, s[0:1] offset:128
	;; [unrolled: 5-line block ×7, first 2 shown]
.LBB81_68:
	s_nop 0
	s_sendmsg sendmsg(MSG_DEALLOC_VGPRS)
	s_endpgm
	.section	.rodata,"a",@progbits
	.p2align	6, 0x0
	.amdhsa_kernel _ZN4vllm25paged_attention_v2_kernelIttLi256ELi8ELi128ELNS_18Fp8KVCacheDataTypeE0ELb1ELi512EEEvPfS2_PT_PKS3_PKT0_S9_ifPKiSB_iPKfiiiSD_SD_iiiii
		.amdhsa_group_segment_fixed_size 544
		.amdhsa_private_segment_fixed_size 0
		.amdhsa_kernarg_size 400
		.amdhsa_user_sgpr_count 13
		.amdhsa_user_sgpr_dispatch_ptr 0
		.amdhsa_user_sgpr_queue_ptr 0
		.amdhsa_user_sgpr_kernarg_segment_ptr 1
		.amdhsa_user_sgpr_dispatch_id 0
		.amdhsa_user_sgpr_private_segment_size 0
		.amdhsa_wavefront_size32 1
		.amdhsa_uses_dynamic_stack 0
		.amdhsa_enable_private_segment 0
		.amdhsa_system_sgpr_workgroup_id_x 1
		.amdhsa_system_sgpr_workgroup_id_y 1
		.amdhsa_system_sgpr_workgroup_id_z 1
		.amdhsa_system_sgpr_workgroup_info 0
		.amdhsa_system_vgpr_workitem_id 0
		.amdhsa_next_free_vgpr 130
		.amdhsa_next_free_sgpr 45
		.amdhsa_reserve_vcc 1
		.amdhsa_float_round_mode_32 0
		.amdhsa_float_round_mode_16_64 0
		.amdhsa_float_denorm_mode_32 3
		.amdhsa_float_denorm_mode_16_64 3
		.amdhsa_dx10_clamp 1
		.amdhsa_ieee_mode 1
		.amdhsa_fp16_overflow 0
		.amdhsa_workgroup_processor_mode 1
		.amdhsa_memory_ordered 1
		.amdhsa_forward_progress 0
		.amdhsa_shared_vgpr_count 0
		.amdhsa_exception_fp_ieee_invalid_op 0
		.amdhsa_exception_fp_denorm_src 0
		.amdhsa_exception_fp_ieee_div_zero 0
		.amdhsa_exception_fp_ieee_overflow 0
		.amdhsa_exception_fp_ieee_underflow 0
		.amdhsa_exception_fp_ieee_inexact 0
		.amdhsa_exception_int_div_zero 0
	.end_amdhsa_kernel
	.section	.text._ZN4vllm25paged_attention_v2_kernelIttLi256ELi8ELi128ELNS_18Fp8KVCacheDataTypeE0ELb1ELi512EEEvPfS2_PT_PKS3_PKT0_S9_ifPKiSB_iPKfiiiSD_SD_iiiii,"axG",@progbits,_ZN4vllm25paged_attention_v2_kernelIttLi256ELi8ELi128ELNS_18Fp8KVCacheDataTypeE0ELb1ELi512EEEvPfS2_PT_PKS3_PKT0_S9_ifPKiSB_iPKfiiiSD_SD_iiiii,comdat
.Lfunc_end81:
	.size	_ZN4vllm25paged_attention_v2_kernelIttLi256ELi8ELi128ELNS_18Fp8KVCacheDataTypeE0ELb1ELi512EEEvPfS2_PT_PKS3_PKT0_S9_ifPKiSB_iPKfiiiSD_SD_iiiii, .Lfunc_end81-_ZN4vllm25paged_attention_v2_kernelIttLi256ELi8ELi128ELNS_18Fp8KVCacheDataTypeE0ELb1ELi512EEEvPfS2_PT_PKS3_PKT0_S9_ifPKiSB_iPKfiiiSD_SD_iiiii
                                        ; -- End function
	.section	.AMDGPU.csdata,"",@progbits
; Kernel info:
; codeLenInByte = 12512
; NumSgprs: 47
; NumVgprs: 130
; ScratchSize: 0
; MemoryBound: 0
; FloatMode: 240
; IeeeMode: 1
; LDSByteSize: 544 bytes/workgroup (compile time only)
; SGPRBlocks: 5
; VGPRBlocks: 16
; NumSGPRsForWavesPerEU: 47
; NumVGPRsForWavesPerEU: 130
; Occupancy: 10
; WaveLimiterHint : 1
; COMPUTE_PGM_RSRC2:SCRATCH_EN: 0
; COMPUTE_PGM_RSRC2:USER_SGPR: 13
; COMPUTE_PGM_RSRC2:TRAP_HANDLER: 0
; COMPUTE_PGM_RSRC2:TGID_X_EN: 1
; COMPUTE_PGM_RSRC2:TGID_Y_EN: 1
; COMPUTE_PGM_RSRC2:TGID_Z_EN: 1
; COMPUTE_PGM_RSRC2:TIDIG_COMP_CNT: 0
	.section	.text._ZN4vllm32paged_attention_v2_reduce_kernelItLi256ELi128ELi512EEEvPT_PKfS4_PKS1_PKii,"axG",@progbits,_ZN4vllm32paged_attention_v2_reduce_kernelItLi256ELi128ELi512EEEvPT_PKfS4_PKS1_PKii,comdat
	.protected	_ZN4vllm32paged_attention_v2_reduce_kernelItLi256ELi128ELi512EEEvPT_PKfS4_PKS1_PKii ; -- Begin function _ZN4vllm32paged_attention_v2_reduce_kernelItLi256ELi128ELi512EEEvPT_PKfS4_PKS1_PKii
	.globl	_ZN4vllm32paged_attention_v2_reduce_kernelItLi256ELi128ELi512EEEvPT_PKfS4_PKS1_PKii
	.p2align	8
	.type	_ZN4vllm32paged_attention_v2_reduce_kernelItLi256ELi128ELi512EEEvPT_PKfS4_PKS1_PKii,@function
_ZN4vllm32paged_attention_v2_reduce_kernelItLi256ELi128ELi512EEEvPT_PKfS4_PKS1_PKii: ; @_ZN4vllm32paged_attention_v2_reduce_kernelItLi256ELi128ELi512EEEvPT_PKfS4_PKS1_PKii
; %bb.0:
	s_load_b128 s[4:7], s[0:1], 0x18
	s_add_u32 s8, s0, 48
	s_mov_b32 s10, s15
	s_addc_u32 s9, s1, 0
	s_ashr_i32 s11, s15, 31
	s_delay_alu instid0(SALU_CYCLE_1)
	s_lshl_b64 s[2:3], s[10:11], 2
	s_waitcnt lgkmcnt(0)
	s_add_u32 s2, s6, s2
	s_addc_u32 s3, s7, s3
	s_load_b32 s18, s[2:3], 0x0
	s_clause 0x2
	s_load_b64 s[6:7], s[0:1], 0x0
	s_load_b32 s11, s[0:1], 0x28
	s_load_b32 s15, s[0:1], 0x30
	s_waitcnt lgkmcnt(0)
	s_add_i32 s2, s18, -1
	s_delay_alu instid0(SALU_CYCLE_1)
	s_cmpk_gt_u32 s2, 0x1ff
	s_mov_b32 s2, -1
	s_cbranch_scc0 .LBB82_24
; %bb.1:
	s_load_b64 s[2:3], s[0:1], 0x8
	s_add_i32 s12, s18, 0x1ff
	s_mul_i32 s20, s15, s10
	s_ashr_i32 s13, s12, 31
	v_mov_b32_e32 v3, 0xff7fffff
	s_lshr_b32 s13, s13, 23
	s_mul_i32 s16, s14, s11
	s_add_i32 s12, s12, s13
	s_ashr_i32 s17, s16, 31
	s_ashr_i32 s19, s12, 9
	s_mul_i32 s12, s20, s11
	v_cmp_gt_i32_e32 vcc_lo, s19, v0
	s_ashr_i32 s13, s12, 31
	s_and_saveexec_b32 s21, vcc_lo
	s_cbranch_execz .LBB82_5
; %bb.2:
	s_load_b32 s28, s[8:9], 0xc
	s_load_b64 s[22:23], s[0:1], 0x10
	s_lshl_b64 s[24:25], s[12:13], 2
	s_lshl_b64 s[26:27], s[16:17], 2
	v_lshlrev_b32_e32 v1, 2, v0
	v_mov_b32_e32 v3, 0xff7fffff
	s_delay_alu instid0(VALU_DEP_2)
	v_dual_mov_b32 v5, v0 :: v_dual_add_nc_u32 v4, 32, v1
	s_waitcnt lgkmcnt(0)
	s_and_b32 s1, s28, 0xffff
	s_add_u32 s0, s24, s26
	s_addc_u32 s24, s25, s27
	s_add_u32 s0, s22, s0
	s_addc_u32 s22, s23, s24
	v_add_co_u32 v1, s0, s0, v1
	s_delay_alu instid0(VALU_DEP_1)
	v_add_co_ci_u32_e64 v2, null, s22, 0, s0
	s_mov_b32 s22, 0
	s_lshl_b32 s23, s1, 2
	.p2align	6
.LBB82_3:                               ; =>This Inner Loop Header: Depth=1
	global_load_b32 v6, v[1:2], off
	v_add_nc_u32_e32 v5, s1, v5
	v_max_f32_e32 v3, v3, v3
	v_add_co_u32 v1, s0, v1, s23
	s_delay_alu instid0(VALU_DEP_1) | instskip(NEXT) | instid1(VALU_DEP_4)
	v_add_co_ci_u32_e64 v2, s0, 0, v2, s0
	v_cmp_le_i32_e64 s0, s19, v5
	s_delay_alu instid0(VALU_DEP_1)
	s_or_b32 s22, s0, s22
	s_waitcnt vmcnt(0)
	v_max_f32_e32 v7, v6, v6
	ds_store_b32 v4, v6
	v_dual_max_f32 v3, v3, v7 :: v_dual_add_nc_u32 v4, s23, v4
	s_and_not1_b32 exec_lo, exec_lo, s22
	s_cbranch_execnz .LBB82_3
; %bb.4:
	s_or_b32 exec_lo, exec_lo, s22
.LBB82_5:
	s_delay_alu instid0(SALU_CYCLE_1)
	s_or_b32 exec_lo, exec_lo, s21
	v_mbcnt_lo_u32_b32 v1, -1, 0
	v_lshrrev_b32_e32 v9, 5, v0
	s_waitcnt lgkmcnt(0)
	s_barrier
	buffer_gl0_inv
	v_xor_b32_e32 v2, 16, v1
	v_xor_b32_e32 v4, 8, v1
	s_delay_alu instid0(VALU_DEP_2) | instskip(NEXT) | instid1(VALU_DEP_1)
	v_cmp_gt_i32_e64 s0, 32, v2
	v_cndmask_b32_e64 v2, v1, v2, s0
	s_delay_alu instid0(VALU_DEP_3) | instskip(NEXT) | instid1(VALU_DEP_2)
	v_cmp_gt_i32_e64 s0, 32, v4
	v_lshlrev_b32_e32 v5, 2, v2
	s_delay_alu instid0(VALU_DEP_2)
	v_cndmask_b32_e64 v4, v1, v4, s0
	ds_bpermute_b32 v2, v5, v3
	s_waitcnt lgkmcnt(0)
	v_dual_max_f32 v3, v3, v3 :: v_dual_max_f32 v2, v2, v2
	v_lshlrev_b32_e32 v7, 2, v4
	v_xor_b32_e32 v4, 4, v1
	s_delay_alu instid0(VALU_DEP_3) | instskip(NEXT) | instid1(VALU_DEP_2)
	v_max_f32_e32 v2, v3, v2
	v_cmp_gt_i32_e64 s0, 32, v4
	ds_bpermute_b32 v3, v7, v2
	v_cndmask_b32_e64 v4, v1, v4, s0
	s_delay_alu instid0(VALU_DEP_1) | instskip(SKIP_1) | instid1(VALU_DEP_1)
	v_lshlrev_b32_e32 v8, 2, v4
	v_xor_b32_e32 v4, 2, v1
	v_cmp_gt_i32_e64 s0, 32, v4
	s_delay_alu instid0(VALU_DEP_1) | instskip(SKIP_2) | instid1(VALU_DEP_1)
	v_cndmask_b32_e64 v4, v1, v4, s0
	s_waitcnt lgkmcnt(0)
	v_max_f32_e32 v3, v3, v3
	v_max_f32_e32 v2, v2, v3
	ds_bpermute_b32 v3, v8, v2
	s_waitcnt lgkmcnt(0)
	v_dual_max_f32 v6, v3, v3 :: v_dual_lshlrev_b32 v3, 2, v4
	s_delay_alu instid0(VALU_DEP_1) | instskip(SKIP_3) | instid1(VALU_DEP_1)
	v_max_f32_e32 v2, v2, v6
	v_xor_b32_e32 v6, 1, v1
	ds_bpermute_b32 v4, v3, v2
	v_cmp_gt_i32_e64 s0, 32, v6
	v_cndmask_b32_e64 v6, v1, v6, s0
	s_waitcnt lgkmcnt(0)
	v_max_f32_e32 v4, v4, v4
	s_delay_alu instid0(VALU_DEP_1) | instskip(SKIP_3) | instid1(VALU_DEP_1)
	v_dual_max_f32 v1, v2, v4 :: v_dual_lshlrev_b32 v4, 2, v6
	v_and_b32_e32 v6, 31, v0
	ds_bpermute_b32 v2, v4, v1
	v_cmp_eq_u32_e64 s0, 0, v6
	s_and_saveexec_b32 s1, s0
	s_cbranch_execz .LBB82_7
; %bb.6:
	s_waitcnt lgkmcnt(0)
	v_dual_max_f32 v2, v2, v2 :: v_dual_max_f32 v1, v1, v1
	s_delay_alu instid0(VALU_DEP_1)
	v_dual_max_f32 v1, v1, v2 :: v_dual_lshlrev_b32 v2, 2, v9
	ds_store_b32 v2, v1
.LBB82_7:
	s_or_b32 exec_lo, exec_lo, s1
	v_cmp_gt_u32_e64 s1, 4, v6
	v_mov_b32_e32 v1, 0xff7fffff
	s_waitcnt lgkmcnt(0)
	s_barrier
	buffer_gl0_inv
	s_and_saveexec_b32 s21, s1
	s_cbranch_execz .LBB82_9
; %bb.8:
	v_lshlrev_b32_e32 v1, 2, v6
	ds_load_b32 v1, v1
.LBB82_9:
	s_or_b32 exec_lo, exec_lo, s21
	s_waitcnt lgkmcnt(0)
	ds_bpermute_b32 v2, v3, v1
	v_max_f32_e32 v1, v1, v1
	s_lshl_b32 s21, s19, 2
	s_waitcnt lgkmcnt(0)
	v_dual_mov_b32 v11, 0 :: v_dual_max_f32 v2, v2, v2
	s_delay_alu instid0(VALU_DEP_1) | instskip(SKIP_3) | instid1(VALU_DEP_1)
	v_max_f32_e32 v1, v1, v2
	ds_bpermute_b32 v2, v4, v1
	s_waitcnt lgkmcnt(0)
	v_max_f32_e32 v2, v2, v2
	v_max_f32_e32 v1, v1, v2
	ds_bpermute_b32 v10, v11, v1
	s_and_saveexec_b32 s22, vcc_lo
	s_cbranch_execz .LBB82_13
; %bb.10:
	s_load_b32 s23, s[8:9], 0xc
	s_lshl_b64 s[24:25], s[12:13], 2
	s_lshl_b64 s[26:27], s[16:17], 2
	v_lshlrev_b32_e32 v1, 2, v0
	v_mov_b32_e32 v11, 0
	s_delay_alu instid0(VALU_DEP_2)
	v_dual_mov_b32 v13, v0 :: v_dual_add_nc_u32 v12, 32, v1
	s_waitcnt lgkmcnt(0)
	s_and_b32 s13, s23, 0xffff
	s_add_u32 s17, s24, s26
	s_addc_u32 s23, s25, s27
	s_add_u32 s2, s2, s17
	s_addc_u32 s3, s3, s23
	v_add_co_u32 v1, s2, s2, v1
	s_delay_alu instid0(VALU_DEP_1)
	v_add_co_ci_u32_e64 v2, null, s3, 0, s2
	s_mov_b32 s3, 0
	s_lshl_b32 s17, s13, 2
	s_set_inst_prefetch_distance 0x1
	.p2align	6
.LBB82_11:                              ; =>This Inner Loop Header: Depth=1
	global_load_b32 v14, v[1:2], off
	ds_load_b32 v15, v12
	v_add_nc_u32_e32 v13, s13, v13
	s_waitcnt lgkmcnt(0)
	v_sub_f32_e32 v15, v15, v10
	s_delay_alu instid0(VALU_DEP_1) | instskip(NEXT) | instid1(VALU_DEP_1)
	v_mul_f32_e32 v16, 0x3fb8aa3b, v15
	v_fma_f32 v17, 0x3fb8aa3b, v15, -v16
	v_rndne_f32_e32 v18, v16
	s_delay_alu instid0(VALU_DEP_1) | instskip(NEXT) | instid1(VALU_DEP_1)
	v_dual_fmac_f32 v17, 0x32a5705f, v15 :: v_dual_sub_f32 v16, v16, v18
	v_add_f32_e32 v16, v16, v17
	v_cvt_i32_f32_e32 v17, v18
	v_cmp_ngt_f32_e32 vcc_lo, 0xc2ce8ed0, v15
	v_cmp_nlt_f32_e64 s2, 0x42b17218, v15
	s_delay_alu instid0(VALU_DEP_4) | instskip(SKIP_3) | instid1(VALU_DEP_2)
	v_exp_f32_e32 v16, v16
	s_waitcnt_depctr 0xfff
	v_ldexp_f32 v16, v16, v17
	v_add_nc_u32_e32 v17, s21, v12
	v_cndmask_b32_e32 v16, 0, v16, vcc_lo
	v_add_co_u32 v1, vcc_lo, v1, s17
	v_add_co_ci_u32_e32 v2, vcc_lo, 0, v2, vcc_lo
	s_delay_alu instid0(VALU_DEP_3)
	v_cndmask_b32_e64 v15, 0x7f800000, v16, s2
	v_cmp_le_i32_e32 vcc_lo, s19, v13
	v_add_nc_u32_e32 v12, s17, v12
	s_or_b32 s3, vcc_lo, s3
	s_waitcnt vmcnt(0)
	v_fmac_f32_e32 v11, v14, v15
	v_mul_f32_e32 v16, v14, v15
	ds_store_b32 v17, v16
	s_and_not1_b32 exec_lo, exec_lo, s3
	s_cbranch_execnz .LBB82_11
; %bb.12:
	s_set_inst_prefetch_distance 0x2
	s_or_b32 exec_lo, exec_lo, s3
.LBB82_13:
	s_delay_alu instid0(SALU_CYCLE_1)
	s_or_b32 exec_lo, exec_lo, s22
	ds_bpermute_b32 v1, v5, v11
	s_waitcnt lgkmcnt(0)
	s_barrier
	buffer_gl0_inv
	v_add_f32_e32 v1, v11, v1
	ds_bpermute_b32 v2, v7, v1
	s_waitcnt lgkmcnt(0)
	v_add_f32_e32 v1, v1, v2
	ds_bpermute_b32 v2, v8, v1
	s_waitcnt lgkmcnt(0)
	;; [unrolled: 3-line block ×4, first 2 shown]
	v_add_f32_e32 v1, v1, v2
	s_and_saveexec_b32 s2, s0
	s_cbranch_execz .LBB82_15
; %bb.14:
	v_lshlrev_b32_e32 v2, 2, v9
	ds_store_b32 v2, v1 offset:16
.LBB82_15:
	s_or_b32 exec_lo, exec_lo, s2
	s_waitcnt lgkmcnt(0)
	s_barrier
	buffer_gl0_inv
	s_and_saveexec_b32 s0, s1
	s_cbranch_execz .LBB82_17
; %bb.16:
	v_lshlrev_b32_e32 v1, 2, v6
	ds_load_b32 v1, v1 offset:16
.LBB82_17:
	s_or_b32 exec_lo, exec_lo, s0
	s_waitcnt lgkmcnt(0)
	ds_bpermute_b32 v2, v3, v1
	s_mov_b32 s1, exec_lo
	s_waitcnt lgkmcnt(0)
	v_add_f32_e32 v1, v1, v2
	ds_bpermute_b32 v2, v4, v1
	s_waitcnt lgkmcnt(0)
	v_dual_add_f32 v1, v1, v2 :: v_dual_mov_b32 v2, 0
	ds_bpermute_b32 v1, v2, v1
	v_cmpx_gt_u32_e32 0x100, v0
	s_cbranch_execz .LBB82_23
; %bb.18:
	s_waitcnt lgkmcnt(0)
	v_add_f32_e32 v1, 0x358637bd, v1
	s_lshl_b32 s2, s20, 8
	s_lshl_b32 s22, s12, 8
	s_ashr_i32 s3, s2, 31
	s_lshl_b32 s24, s16, 8
	v_div_scale_f32 v3, null, v1, v1, 1.0
	s_lshl_b64 s[2:3], s[2:3], 1
	s_ashr_i32 s23, s22, 31
	s_ashr_i32 s25, s24, 31
	s_delay_alu instid0(VALU_DEP_1)
	v_rcp_f32_e32 v4, v3
	s_add_u32 s0, s6, s2
	s_addc_u32 s12, s7, s3
	s_lshl_b32 s2, s14, 8
	v_lshlrev_b32_e32 v8, 1, v0
	s_ashr_i32 s3, s2, 31
	s_delay_alu instid0(SALU_CYCLE_1) | instskip(NEXT) | instid1(SALU_CYCLE_1)
	s_lshl_b64 s[2:3], s[2:3], 1
	s_add_u32 s2, s0, s2
	s_waitcnt_depctr 0xfff
	v_fma_f32 v5, -v3, v4, 1.0
	s_addc_u32 s3, s12, s3
	s_add_i32 s12, s21, 32
	s_cmp_gt_i32 s18, 0
	s_cselect_b32 s13, -1, 0
	v_fmac_f32_e32 v4, v5, v4
	v_div_scale_f32 v6, vcc_lo, 1.0, v1, 1.0
	s_max_i32 s16, s19, 1
	s_lshl_b64 s[18:19], s[22:23], 1
	s_lshl_b64 s[20:21], s[24:25], 1
	s_delay_alu instid0(VALU_DEP_1)
	v_mul_f32_e32 v5, v6, v4
	s_add_u32 s0, s18, s20
	s_addc_u32 s17, s19, s21
	s_add_u32 s0, s4, s0
	s_addc_u32 s17, s5, s17
	v_fma_f32 v7, -v3, v5, v6
	s_delay_alu instid0(VALU_DEP_1) | instskip(NEXT) | instid1(VALU_DEP_1)
	v_fmac_f32_e32 v5, v7, v4
	v_fma_f32 v3, -v3, v5, v6
	s_delay_alu instid0(VALU_DEP_1) | instskip(NEXT) | instid1(VALU_DEP_1)
	v_div_fmas_f32 v5, v3, v4, v5
	v_div_fixup_f32 v7, v5, v1, 1.0
	v_mov_b32_e32 v1, v0
	v_add_co_u32 v3, s0, s0, v8
	s_delay_alu instid0(VALU_DEP_1)
	v_add_co_ci_u32_e64 v4, null, s17, 0, s0
	s_mov_b32 s17, 0
	s_branch .LBB82_20
.LBB82_19:                              ;   in Loop: Header=BB82_20 Depth=1
	v_lshlrev_b64 v[5:6], 1, v[1:2]
	v_add_nc_u32_e32 v9, 0x80, v1
	v_cmp_lt_u32_e32 vcc_lo, 0x7f, v1
	;;#ASMSTART
	v_cvt_f16_f32 v8, v8;

	;;#ASMEND
	s_delay_alu instid0(VALU_DEP_2) | instskip(NEXT) | instid1(VALU_DEP_4)
	v_mov_b32_e32 v1, v9
	v_add_co_u32 v5, s0, s2, v5
	s_delay_alu instid0(VALU_DEP_1) | instskip(SKIP_1) | instid1(VALU_DEP_1)
	v_add_co_ci_u32_e64 v6, s0, s3, v6, s0
	v_add_co_u32 v3, s0, 0x100, v3
	v_add_co_ci_u32_e64 v4, s0, 0, v4, s0
	s_or_b32 s17, vcc_lo, s17
	global_store_b16 v[5:6], v8, off
	s_and_not1_b32 exec_lo, exec_lo, s17
	s_cbranch_execz .LBB82_23
.LBB82_20:                              ; =>This Loop Header: Depth=1
                                        ;     Child Loop BB82_22 Depth 2
	v_mov_b32_e32 v8, 0
	s_and_not1_b32 vcc_lo, exec_lo, s13
	s_cbranch_vccnz .LBB82_19
; %bb.21:                               ;   in Loop: Header=BB82_20 Depth=1
	v_dual_mov_b32 v6, v4 :: v_dual_mov_b32 v5, v3
	s_mov_b32 s0, s12
	s_mov_b32 s18, s16
	.p2align	6
.LBB82_22:                              ;   Parent Loop BB82_20 Depth=1
                                        ; =>  This Inner Loop Header: Depth=2
	v_mov_b32_e32 v10, s0
	global_load_u16 v9, v[5:6], off
	s_waitcnt vmcnt(0)
	;;#ASMSTART
	v_cvt_f32_f16 v9, v9;
	;;#ASMEND
	v_add_co_u32 v5, vcc_lo, 0x200, v5
	ds_load_b32 v10, v10
	v_add_co_ci_u32_e32 v6, vcc_lo, 0, v6, vcc_lo
	s_add_i32 s18, s18, -1
	s_add_i32 s0, s0, 4
	s_cmp_eq_u32 s18, 0
	s_waitcnt lgkmcnt(0)
	v_mul_f32_e32 v9, v9, v10
	s_delay_alu instid0(VALU_DEP_1)
	v_fmac_f32_e32 v8, v7, v9
	s_cbranch_scc0 .LBB82_22
	s_branch .LBB82_19
.LBB82_23:
	s_or_b32 exec_lo, exec_lo, s1
	s_mov_b32 s2, 0
.LBB82_24:
	s_delay_alu instid0(SALU_CYCLE_1)
	s_and_b32 vcc_lo, exec_lo, s2
	s_cbranch_vccz .LBB82_33
; %bb.25:
	s_mov_b32 s0, exec_lo
	v_cmpx_gt_u32_e32 0x100, v0
	s_cbranch_execz .LBB82_33
; %bb.26:
	s_mul_i32 s15, s15, s10
	s_load_b32 s8, s[8:9], 0xc
	s_lshl_b32 s0, s15, 8
	s_delay_alu instid0(SALU_CYCLE_1) | instskip(NEXT) | instid1(SALU_CYCLE_1)
	s_ashr_i32 s1, s0, 31
	s_lshl_b64 s[0:1], s[0:1], 1
	s_delay_alu instid0(SALU_CYCLE_1) | instskip(SKIP_4) | instid1(SALU_CYCLE_1)
	s_add_u32 s6, s6, s0
	s_addc_u32 s7, s7, s1
	s_lshl_b32 s0, s14, 8
	s_mul_i32 s14, s14, s11
	s_ashr_i32 s1, s0, 31
	s_lshl_b64 s[2:3], s[0:1], 1
	s_mul_i32 s0, s11, s15
	s_add_u32 s1, s6, s2
	s_addc_u32 s2, s7, s3
	s_lshl_b32 s6, s0, 8
	s_delay_alu instid0(SALU_CYCLE_1) | instskip(NEXT) | instid1(SALU_CYCLE_1)
	s_ashr_i32 s7, s6, 31
	s_lshl_b64 s[6:7], s[6:7], 1
	s_delay_alu instid0(SALU_CYCLE_1) | instskip(SKIP_4) | instid1(SALU_CYCLE_1)
	s_add_u32 s0, s4, s6
	s_addc_u32 s6, s5, s7
	s_lshl_b32 s4, s14, 8
	s_mov_b32 s7, 0
	s_ashr_i32 s5, s4, 31
	s_lshl_b64 s[4:5], s[4:5], 1
	s_delay_alu instid0(SALU_CYCLE_1) | instskip(SKIP_3) | instid1(SALU_CYCLE_1)
	s_add_u32 s3, s0, s4
	s_addc_u32 s4, s6, s5
	s_waitcnt lgkmcnt(0)
	s_and_b32 s5, s8, 0xffff
	v_cvt_f32_u32_e32 v1, s5
	s_cmp_eq_u32 s5, 1
	v_add_nc_u32_e32 v3, s5, v0
	s_cselect_b32 s6, -1, 0
	s_sub_i32 s0, 0, s5
	v_rcp_iflag_f32_e32 v1, v1
	s_delay_alu instid0(VALU_DEP_1) | instskip(SKIP_3) | instid1(VALU_DEP_1)
	v_cmp_gt_u32_e32 vcc_lo, 0x100, v3
	v_max_u32_e32 v4, 0x100, v3
	s_waitcnt_depctr 0xfff
	v_mul_f32_e32 v1, 0x4f7ffffe, v1
	v_cvt_u32_f32_e32 v1, v1
	s_delay_alu instid0(VALU_DEP_1) | instskip(SKIP_1) | instid1(VALU_DEP_1)
	v_mul_lo_u32 v2, s0, v1
	v_add_co_ci_u32_e64 v3, s0, s5, v0, vcc_lo
	v_sub_nc_u32_e32 v3, v4, v3
	s_delay_alu instid0(VALU_DEP_3) | instskip(NEXT) | instid1(VALU_DEP_1)
	v_mul_hi_u32 v2, v1, v2
	v_add_nc_u32_e32 v1, v1, v2
	s_delay_alu instid0(VALU_DEP_1) | instskip(NEXT) | instid1(VALU_DEP_1)
	v_mul_hi_u32 v1, v3, v1
	v_mul_lo_u32 v2, v1, s5
	s_delay_alu instid0(VALU_DEP_1) | instskip(SKIP_1) | instid1(VALU_DEP_2)
	v_sub_nc_u32_e32 v2, v3, v2
	v_add_nc_u32_e32 v3, 1, v1
	v_subrev_nc_u32_e32 v4, s5, v2
	v_cmp_le_u32_e64 s0, s5, v2
	s_delay_alu instid0(VALU_DEP_1) | instskip(NEXT) | instid1(VALU_DEP_3)
	v_cndmask_b32_e64 v1, v1, v3, s0
	v_cndmask_b32_e64 v2, v2, v4, s0
	s_delay_alu instid0(VALU_DEP_2) | instskip(NEXT) | instid1(VALU_DEP_2)
	v_add_nc_u32_e32 v3, 1, v1
	v_cmp_le_u32_e64 s0, s5, v2
	s_delay_alu instid0(VALU_DEP_1) | instskip(SKIP_1) | instid1(VALU_DEP_1)
	v_cndmask_b32_e64 v1, v1, v3, s0
	s_mov_b32 s0, -1
	v_add_co_ci_u32_e32 v3, vcc_lo, 1, v1, vcc_lo
	s_delay_alu instid0(VALU_DEP_1) | instskip(SKIP_1) | instid1(SALU_CYCLE_1)
	v_cmp_lt_u32_e32 vcc_lo, 3, v3
	s_and_b32 s8, vcc_lo, s6
	s_and_saveexec_b32 s6, s8
	s_cbranch_execz .LBB82_30
; %bb.27:
	v_dual_mov_b32 v1, v0 :: v_dual_and_b32 v4, -4, v3
	s_delay_alu instid0(VALU_DEP_1)
	v_dual_mov_b32 v2, 0 :: v_dual_mov_b32 v5, v4
	.p2align	6
.LBB82_28:                              ; =>This Inner Loop Header: Depth=1
	s_delay_alu instid0(VALU_DEP_1) | instskip(NEXT) | instid1(VALU_DEP_2)
	v_lshlrev_b64 v[6:7], 1, v[1:2]
	v_add_nc_u32_e32 v5, -4, v5
	v_add_nc_u32_e32 v1, 4, v1
	s_delay_alu instid0(VALU_DEP_3) | instskip(NEXT) | instid1(VALU_DEP_4)
	v_add_co_u32 v8, vcc_lo, s3, v6
	v_add_co_ci_u32_e32 v9, vcc_lo, s4, v7, vcc_lo
	s_delay_alu instid0(VALU_DEP_4)
	v_cmp_eq_u32_e32 vcc_lo, 0, v5
	v_add_co_u32 v6, s0, s1, v6
	global_load_b64 v[8:9], v[8:9], off
	v_add_co_ci_u32_e64 v7, s0, s2, v7, s0
	s_or_b32 s7, vcc_lo, s7
	s_waitcnt vmcnt(0)
	global_store_b64 v[6:7], v[8:9], off
	s_and_not1_b32 exec_lo, exec_lo, s7
	s_cbranch_execnz .LBB82_28
; %bb.29:
	s_or_b32 exec_lo, exec_lo, s7
	v_cmp_ne_u32_e32 vcc_lo, v3, v4
	v_add_nc_u32_e32 v0, v0, v4
	s_or_not1_b32 s0, vcc_lo, exec_lo
.LBB82_30:
	s_or_b32 exec_lo, exec_lo, s6
	s_delay_alu instid0(SALU_CYCLE_1)
	s_and_b32 exec_lo, exec_lo, s0
	s_cbranch_execz .LBB82_33
; %bb.31:
	v_mov_b32_e32 v1, 0
	s_mov_b32 s6, 0
	s_lshl_b32 s7, s5, 1
	s_delay_alu instid0(VALU_DEP_1)
	v_lshlrev_b64 v[1:2], 1, v[0:1]
	.p2align	6
.LBB82_32:                              ; =>This Inner Loop Header: Depth=1
	s_delay_alu instid0(VALU_DEP_1) | instskip(NEXT) | instid1(VALU_DEP_2)
	v_add_co_u32 v3, vcc_lo, s3, v1
	v_add_co_ci_u32_e32 v4, vcc_lo, s4, v2, vcc_lo
	v_add_nc_u32_e32 v0, s5, v0
	global_load_u16 v5, v[3:4], off
	v_add_co_u32 v3, vcc_lo, s1, v1
	v_add_co_ci_u32_e32 v4, vcc_lo, s2, v2, vcc_lo
	v_cmp_lt_u32_e32 vcc_lo, 0xff, v0
	v_add_co_u32 v1, s0, v1, s7
	s_delay_alu instid0(VALU_DEP_1)
	v_add_co_ci_u32_e64 v2, s0, 0, v2, s0
	s_or_b32 s6, vcc_lo, s6
	s_waitcnt vmcnt(0)
	global_store_b16 v[3:4], v5, off
	s_and_not1_b32 exec_lo, exec_lo, s6
	s_cbranch_execnz .LBB82_32
.LBB82_33:
	s_nop 0
	s_sendmsg sendmsg(MSG_DEALLOC_VGPRS)
	s_endpgm
	.section	.rodata,"a",@progbits
	.p2align	6, 0x0
	.amdhsa_kernel _ZN4vllm32paged_attention_v2_reduce_kernelItLi256ELi128ELi512EEEvPT_PKfS4_PKS1_PKii
		.amdhsa_group_segment_fixed_size 32
		.amdhsa_private_segment_fixed_size 0
		.amdhsa_kernarg_size 304
		.amdhsa_user_sgpr_count 14
		.amdhsa_user_sgpr_dispatch_ptr 0
		.amdhsa_user_sgpr_queue_ptr 0
		.amdhsa_user_sgpr_kernarg_segment_ptr 1
		.amdhsa_user_sgpr_dispatch_id 0
		.amdhsa_user_sgpr_private_segment_size 0
		.amdhsa_wavefront_size32 1
		.amdhsa_uses_dynamic_stack 0
		.amdhsa_enable_private_segment 0
		.amdhsa_system_sgpr_workgroup_id_x 1
		.amdhsa_system_sgpr_workgroup_id_y 1
		.amdhsa_system_sgpr_workgroup_id_z 0
		.amdhsa_system_sgpr_workgroup_info 0
		.amdhsa_system_vgpr_workitem_id 0
		.amdhsa_next_free_vgpr 19
		.amdhsa_next_free_sgpr 29
		.amdhsa_reserve_vcc 1
		.amdhsa_float_round_mode_32 0
		.amdhsa_float_round_mode_16_64 0
		.amdhsa_float_denorm_mode_32 3
		.amdhsa_float_denorm_mode_16_64 3
		.amdhsa_dx10_clamp 1
		.amdhsa_ieee_mode 1
		.amdhsa_fp16_overflow 0
		.amdhsa_workgroup_processor_mode 1
		.amdhsa_memory_ordered 1
		.amdhsa_forward_progress 0
		.amdhsa_shared_vgpr_count 0
		.amdhsa_exception_fp_ieee_invalid_op 0
		.amdhsa_exception_fp_denorm_src 0
		.amdhsa_exception_fp_ieee_div_zero 0
		.amdhsa_exception_fp_ieee_overflow 0
		.amdhsa_exception_fp_ieee_underflow 0
		.amdhsa_exception_fp_ieee_inexact 0
		.amdhsa_exception_int_div_zero 0
	.end_amdhsa_kernel
	.section	.text._ZN4vllm32paged_attention_v2_reduce_kernelItLi256ELi128ELi512EEEvPT_PKfS4_PKS1_PKii,"axG",@progbits,_ZN4vllm32paged_attention_v2_reduce_kernelItLi256ELi128ELi512EEEvPT_PKfS4_PKS1_PKii,comdat
.Lfunc_end82:
	.size	_ZN4vllm32paged_attention_v2_reduce_kernelItLi256ELi128ELi512EEEvPT_PKfS4_PKS1_PKii, .Lfunc_end82-_ZN4vllm32paged_attention_v2_reduce_kernelItLi256ELi128ELi512EEEvPT_PKfS4_PKS1_PKii
                                        ; -- End function
	.section	.AMDGPU.csdata,"",@progbits
; Kernel info:
; codeLenInByte = 2504
; NumSgprs: 31
; NumVgprs: 19
; ScratchSize: 0
; MemoryBound: 0
; FloatMode: 240
; IeeeMode: 1
; LDSByteSize: 32 bytes/workgroup (compile time only)
; SGPRBlocks: 3
; VGPRBlocks: 2
; NumSGPRsForWavesPerEU: 31
; NumVGPRsForWavesPerEU: 19
; Occupancy: 16
; WaveLimiterHint : 0
; COMPUTE_PGM_RSRC2:SCRATCH_EN: 0
; COMPUTE_PGM_RSRC2:USER_SGPR: 14
; COMPUTE_PGM_RSRC2:TRAP_HANDLER: 0
; COMPUTE_PGM_RSRC2:TGID_X_EN: 1
; COMPUTE_PGM_RSRC2:TGID_Y_EN: 1
; COMPUTE_PGM_RSRC2:TGID_Z_EN: 0
; COMPUTE_PGM_RSRC2:TIDIG_COMP_CNT: 0
	.section	.text._ZN4vllm25paged_attention_v2_kernelIttLi32ELi8ELi128ELNS_18Fp8KVCacheDataTypeE0ELb0ELi512EEEvPfS2_PT_PKS3_PKT0_S9_ifPKiSB_iPKfiiiSD_SD_iiiii,"axG",@progbits,_ZN4vllm25paged_attention_v2_kernelIttLi32ELi8ELi128ELNS_18Fp8KVCacheDataTypeE0ELb0ELi512EEEvPfS2_PT_PKS3_PKT0_S9_ifPKiSB_iPKfiiiSD_SD_iiiii,comdat
	.protected	_ZN4vllm25paged_attention_v2_kernelIttLi32ELi8ELi128ELNS_18Fp8KVCacheDataTypeE0ELb0ELi512EEEvPfS2_PT_PKS3_PKT0_S9_ifPKiSB_iPKfiiiSD_SD_iiiii ; -- Begin function _ZN4vllm25paged_attention_v2_kernelIttLi32ELi8ELi128ELNS_18Fp8KVCacheDataTypeE0ELb0ELi512EEEvPfS2_PT_PKS3_PKT0_S9_ifPKiSB_iPKfiiiSD_SD_iiiii
	.globl	_ZN4vllm25paged_attention_v2_kernelIttLi32ELi8ELi128ELNS_18Fp8KVCacheDataTypeE0ELb0ELi512EEEvPfS2_PT_PKS3_PKT0_S9_ifPKiSB_iPKfiiiSD_SD_iiiii
	.p2align	8
	.type	_ZN4vllm25paged_attention_v2_kernelIttLi32ELi8ELi128ELNS_18Fp8KVCacheDataTypeE0ELb0ELi512EEEvPfS2_PT_PKS3_PKT0_S9_ifPKiSB_iPKfiiiSD_SD_iiiii,@function
_ZN4vllm25paged_attention_v2_kernelIttLi32ELi8ELi128ELNS_18Fp8KVCacheDataTypeE0ELb0ELi512EEEvPfS2_PT_PKS3_PKT0_S9_ifPKiSB_iPKfiiiSD_SD_iiiii: ; @_ZN4vllm25paged_attention_v2_kernelIttLi32ELi8ELi128ELNS_18Fp8KVCacheDataTypeE0ELb0ELi512EEEvPfS2_PT_PKS3_PKT0_S9_ifPKiSB_iPKfiiiSD_SD_iiiii
; %bb.0:
	s_load_b64 s[2:3], s[0:1], 0x40
	s_mov_b32 s12, s15
	s_ashr_i32 s15, s14, 31
	s_delay_alu instid0(SALU_CYCLE_1)
	s_lshl_b64 s[4:5], s[14:15], 2
	s_waitcnt lgkmcnt(0)
	s_add_u32 s2, s2, s4
	s_addc_u32 s3, s3, s5
	s_lshl_b32 s31, s12, 9
	s_load_b32 s30, s[2:3], 0x0
	s_waitcnt lgkmcnt(0)
	s_cmp_ge_i32 s31, s30
	s_cbranch_scc1 .LBB83_46
; %bb.1:
	s_mov_b32 s20, s13
	s_clause 0x1
	s_load_b32 s13, s[0:1], 0x90
	s_load_b64 s[28:29], s[0:1], 0x30
	s_waitcnt lgkmcnt(0)
	s_abs_i32 s5, s13
	s_abs_i32 s2, s28
	s_delay_alu instid0(SALU_CYCLE_1) | instskip(SKIP_1) | instid1(VALU_DEP_1)
	v_cvt_f32_u32_e32 v1, s2
	s_sub_i32 s4, 0, s2
	v_rcp_iflag_f32_e32 v1, v1
	s_waitcnt_depctr 0xfff
	v_mul_f32_e32 v1, 0x4f7ffffe, v1
	s_delay_alu instid0(VALU_DEP_1) | instskip(NEXT) | instid1(VALU_DEP_1)
	v_cvt_u32_f32_e32 v1, v1
	v_readfirstlane_b32 s3, v1
	s_delay_alu instid0(VALU_DEP_1) | instskip(NEXT) | instid1(SALU_CYCLE_1)
	s_mul_i32 s4, s4, s3
	s_mul_hi_u32 s4, s3, s4
	s_delay_alu instid0(SALU_CYCLE_1)
	s_add_i32 s3, s3, s4
	s_xor_b32 s4, s13, s28
	s_mul_hi_u32 s3, s5, s3
	s_ashr_i32 s4, s4, 31
	s_mul_i32 s6, s3, s2
	s_mov_b32 s28, 0
	s_sub_i32 s5, s5, s6
	s_add_i32 s6, s3, 1
	s_sub_i32 s7, s5, s2
	s_cmp_ge_u32 s5, s2
	s_cselect_b32 s3, s6, s3
	s_cselect_b32 s5, s7, s5
	s_add_i32 s6, s3, 1
	s_cmp_ge_u32 s5, s2
	s_cselect_b32 s2, s6, s3
	s_abs_i32 s10, s20
	s_xor_b32 s2, s2, s4
	s_delay_alu instid0(SALU_CYCLE_1) | instskip(SKIP_2) | instid1(SALU_CYCLE_1)
	s_sub_i32 s11, s2, s4
	s_load_b64 s[2:3], s[0:1], 0x50
	s_abs_i32 s8, s11
	v_cvt_f32_u32_e32 v1, s8
	s_sub_i32 s5, 0, s8
	s_delay_alu instid0(VALU_DEP_1) | instskip(SKIP_2) | instid1(VALU_DEP_1)
	v_rcp_iflag_f32_e32 v1, v1
	s_waitcnt_depctr 0xfff
	v_mul_f32_e32 v1, 0x4f7ffffe, v1
	v_cvt_u32_f32_e32 v1, v1
	s_delay_alu instid0(VALU_DEP_1) | instskip(NEXT) | instid1(VALU_DEP_1)
	v_readfirstlane_b32 s4, v1
	s_mul_i32 s5, s5, s4
	s_delay_alu instid0(SALU_CYCLE_1) | instskip(NEXT) | instid1(SALU_CYCLE_1)
	s_mul_hi_u32 s5, s4, s5
	s_add_i32 s4, s4, s5
	s_waitcnt lgkmcnt(0)
	s_cmp_eq_u64 s[2:3], 0
	s_mul_hi_u32 s9, s10, s4
	s_cbranch_scc1 .LBB83_3
; %bb.2:
	s_ashr_i32 s21, s20, 31
	s_delay_alu instid0(SALU_CYCLE_1) | instskip(NEXT) | instid1(SALU_CYCLE_1)
	s_lshl_b64 s[4:5], s[20:21], 2
	s_add_u32 s2, s2, s4
	s_addc_u32 s3, s3, s5
	s_load_b32 s28, s[2:3], 0x0
.LBB83_3:
	s_load_b128 s[4:7], s[0:1], 0x58
	v_and_b32_e32 v1, 3, v0
	v_lshlrev_b32_e32 v2, 2, v0
	s_ashr_i32 s2, s20, 31
	s_ashr_i32 s3, s11, 31
	s_lshl_b32 s16, s20, 5
	s_waitcnt lgkmcnt(0)
	s_mov_b32 s7, exec_lo
	v_cmpx_gt_u32_e32 16, v0
	s_cbranch_execz .LBB83_5
; %bb.4:
	s_load_b64 s[18:19], s[0:1], 0x18
	s_mul_i32 s22, s14, s4
	v_and_b32_e32 v4, 0x3fc, v0
	s_ashr_i32 s23, s22, 31
	s_delay_alu instid0(SALU_CYCLE_1) | instskip(NEXT) | instid1(VALU_DEP_1)
	s_lshl_b64 s[22:23], s[22:23], 1
	v_lshl_add_u32 v4, v1, 4, v4
	s_waitcnt lgkmcnt(0)
	s_add_u32 s4, s18, s22
	s_addc_u32 s11, s19, s23
	s_ashr_i32 s17, s16, 31
	s_delay_alu instid0(SALU_CYCLE_1) | instskip(NEXT) | instid1(SALU_CYCLE_1)
	s_lshl_b64 s[18:19], s[16:17], 1
	s_add_u32 s18, s4, s18
	s_addc_u32 s19, s11, s19
	global_load_b32 v3, v2, s[18:19]
	s_waitcnt vmcnt(0)
	ds_store_b32 v4, v3
.LBB83_5:
	s_or_b32 exec_lo, exec_lo, s7
	s_add_i32 s4, s30, 7
	s_lshl_b32 s15, s12, 6
	s_ashr_i32 s7, s4, 31
	s_xor_b32 s2, s2, s3
	s_lshr_b32 s7, s7, 29
	s_add_i32 s3, s15, 64
	s_add_i32 s4, s4, s7
	s_clause 0x1
	s_load_b64 s[22:23], s[0:1], 0x38
	s_load_b32 s7, s[0:1], 0x48
	s_ashr_i32 s21, s4, 3
	s_mul_i32 s4, s9, s8
	s_min_i32 s17, s3, s21
	s_sub_i32 s3, s10, s4
	s_add_i32 s4, s9, 1
	s_sub_i32 s10, s3, s8
	s_cmp_ge_u32 s3, s8
	v_lshrrev_b32_e32 v8, 5, v0
	s_cselect_b32 s4, s4, s9
	s_cselect_b32 s3, s10, s3
	s_add_i32 s9, s4, 1
	s_cmp_ge_u32 s3, s8
	v_or_b32_e32 v5, s15, v8
	s_cselect_b32 s3, s9, s4
	v_mbcnt_lo_u32_b32 v3, -1, 0
	s_xor_b32 s3, s3, s2
	s_mov_b32 s4, exec_lo
	s_sub_i32 s3, s3, s2
	v_cmp_gt_i32_e64 s2, s17, v5
	s_waitcnt lgkmcnt(0)
	s_mul_i32 s24, s14, s7
	s_delay_alu instid0(SALU_CYCLE_1)
	s_ashr_i32 s25, s24, 31
	s_barrier
	buffer_gl0_inv
                                        ; implicit-def: $sgpr7
                                        ; implicit-def: $vgpr4
	v_cmpx_le_i32_e64 s17, v5
	s_xor_b32 s4, exec_lo, s4
; %bb.6:
	v_mbcnt_lo_u32_b32 v3, -1, 0
	v_mov_b32_e32 v4, 32
	s_mov_b32 s7, 0xff7fffff
                                        ; implicit-def: $vgpr2
                                        ; implicit-def: $vgpr1
; %bb.7:
	s_or_saveexec_b32 s33, s4
	s_clause 0x3
	s_load_b128 s[8:11], s[0:1], 0x0
	s_load_b64 s[18:19], s[0:1], 0x10
	s_load_b64 s[26:27], s[0:1], 0x28
	s_load_b32 s4, s[0:1], 0x98
	v_mov_b32_e32 v7, s7
	v_ashrrev_i32_e32 v6, 31, v5
	s_mul_i32 s6, s3, s6
	s_xor_b32 exec_lo, exec_lo, s33
	s_cbranch_execz .LBB83_13
; %bb.8:
	s_load_b64 s[34:35], s[0:1], 0x20
	v_bfe_u32 v4, v0, 2, 3
	s_ashr_i32 s7, s6, 31
	v_lshlrev_b32_e32 v10, 3, v8
	s_lshl_b64 s[36:37], s[6:7], 1
	v_and_b32_e32 v7, 12, v2
	v_lshlrev_b32_e32 v12, 4, v4
	v_lshlrev_b32_e32 v2, 2, v4
	v_add3_u32 v10, s31, v10, v4
	v_dual_mov_b32 v16, v5 :: v_dual_lshlrev_b32 v9, 4, v1
	v_cmp_eq_u32_e32 vcc_lo, 0, v1
	v_cmp_neq_f32_e64 s0, s28, 0
	v_xor_b32_e32 v14, 2, v3
	v_xor_b32_e32 v15, 1, v3
	s_waitcnt lgkmcnt(0)
	s_add_u32 s1, s34, s36
	s_addc_u32 s3, s35, s37
	v_add_co_u32 v4, s1, s1, v12
	s_delay_alu instid0(VALU_DEP_1) | instskip(SKIP_1) | instid1(VALU_DEP_2)
	v_add_co_ci_u32_e64 v13, null, s3, 0, s1
	s_lshl_b64 s[34:35], s[24:25], 2
	v_add_co_u32 v12, s1, v4, v7
	v_mov_b32_e32 v7, 0xff7fffff
	v_lshl_or_b32 v11, v8, 5, v2
	v_lshlrev_b64 v[1:2], 2, v[5:6]
	s_sub_i32 s7, 1, s30
	s_add_u32 s3, s22, s34
	v_add_co_ci_u32_e64 v13, s1, 0, v13, s1
	s_addc_u32 s34, s23, s35
	s_delay_alu instid0(VALU_DEP_2)
	v_add_co_u32 v1, s1, s3, v1
	v_add_nc_u32_e32 v11, 0x60, v11
	v_add_co_ci_u32_e64 v2, s1, s34, v2, s1
	v_mov_b32_e32 v4, 32
	s_mov_b32 s35, s5
	s_mov_b32 s34, 0
	s_branch .LBB83_10
.LBB83_9:                               ;   in Loop: Header=BB83_10 Depth=1
	s_or_b32 exec_lo, exec_lo, s3
	v_add_nc_u32_e32 v16, 4, v16
	v_add_co_u32 v1, s3, v1, 16
	v_add_nc_u32_e32 v10, 32, v10
	v_add_nc_u32_e32 v11, 0x80, v11
	s_delay_alu instid0(VALU_DEP_4) | instskip(SKIP_1) | instid1(VALU_DEP_2)
	v_cmp_le_i32_e64 s1, s17, v16
	v_add_co_ci_u32_e64 v2, s3, 0, v2, s3
	s_or_b32 s34, s1, s34
	s_delay_alu instid0(SALU_CYCLE_1)
	s_and_not1_b32 exec_lo, exec_lo, s34
	s_cbranch_execz .LBB83_12
.LBB83_10:                              ; =>This Inner Loop Header: Depth=1
	global_load_b32 v19, v[1:2], off
	s_waitcnt vmcnt(0) lgkmcnt(0)
	v_mad_i64_i32 v[17:18], null, v19, s35, 0
	s_delay_alu instid0(VALU_DEP_1) | instskip(NEXT) | instid1(VALU_DEP_1)
	v_lshlrev_b64 v[17:18], 1, v[17:18]
	v_add_co_u32 v17, s1, v12, v17
	s_delay_alu instid0(VALU_DEP_1)
	v_add_co_ci_u32_e64 v18, s1, v13, v18, s1
	v_cmp_gt_i32_e64 s1, 32, v14
	s_clause 0x3
	global_load_b32 v19, v[17:18], off
	global_load_b32 v20, v[17:18], off offset:128
	global_load_b32 v21, v[17:18], off offset:256
	;; [unrolled: 1-line block ×3, first 2 shown]
	ds_load_b32 v18, v9
	s_waitcnt lgkmcnt(0)
	v_and_b32_e32 v22, 0xffff, v18
	v_lshrrev_b32_e32 v18, 16, v18
	;;#ASMSTART
	v_cvt_f32_f16 v22, v22;
	;;#ASMEND
	;;#ASMSTART
	v_cvt_f32_f16 v18, v18;
	;;#ASMEND
	s_waitcnt vmcnt(3)
	v_and_b32_e32 v23, 0xffff, v19
	v_lshrrev_b32_e32 v19, 16, v19
	;;#ASMSTART
	v_cvt_f32_f16 v23, v23;
	;;#ASMEND
	;;#ASMSTART
	v_cvt_f32_f16 v19, v19;
	;;#ASMEND
	ds_load_b32 v24, v9 offset:4
	s_waitcnt vmcnt(2)
	v_and_b32_e32 v26, 0xffff, v20
	v_lshrrev_b32_e32 v20, 16, v20
	s_waitcnt vmcnt(1)
	v_and_b32_e32 v29, 0xffff, v21
	v_lshrrev_b32_e32 v21, 16, v21
	s_waitcnt lgkmcnt(0)
	v_and_b32_e32 v25, 0xffff, v24
	v_lshrrev_b32_e32 v24, 16, v24
	;;#ASMSTART
	v_cvt_f32_f16 v25, v25;
	;;#ASMEND
	;;#ASMSTART
	v_cvt_f32_f16 v24, v24;
	;;#ASMEND
	;; [unrolled: 3-line block ×4, first 2 shown]
	ds_load_b32 v27, v9 offset:8
	v_mul_f32_e32 v20, v24, v20
	v_cndmask_b32_e64 v24, v3, v14, s1
	v_cmp_gt_i32_e64 s1, 32, v15
	v_mul_f32_e32 v25, v25, v26
	s_waitcnt vmcnt(0)
	v_lshrrev_b32_e32 v26, 16, v17
	v_dual_fmac_f32 v20, v18, v19 :: v_dual_and_b32 v17, 0xffff, v17
	s_delay_alu instid0(VALU_DEP_3)
	v_fmac_f32_e32 v25, v22, v23
	s_waitcnt lgkmcnt(0)
	v_and_b32_e32 v28, 0xffff, v27
	v_lshrrev_b32_e32 v27, 16, v27
	;;#ASMSTART
	v_cvt_f32_f16 v28, v28;
	;;#ASMEND
	;;#ASMSTART
	v_cvt_f32_f16 v27, v27;
	;;#ASMEND
	;; [unrolled: 3-line block ×4, first 2 shown]
	ds_load_b32 v30, v9 offset:12
	v_fmac_f32_e32 v25, v28, v29
	v_fmac_f32_e32 v20, v27, v21
	s_waitcnt lgkmcnt(0)
	v_and_b32_e32 v18, 0xffff, v30
	v_lshrrev_b32_e32 v19, 16, v30
	;;#ASMSTART
	v_cvt_f32_f16 v18, v18;
	;;#ASMEND
	;;#ASMSTART
	v_cvt_f32_f16 v19, v19;
	;;#ASMEND
	;; [unrolled: 3-line block ×4, first 2 shown]
	v_fmac_f32_e32 v25, v18, v17
	v_dual_fmac_f32 v20, v19, v21 :: v_dual_lshlrev_b32 v17, 2, v24
	v_cndmask_b32_e64 v19, v3, v15, s1
	s_delay_alu instid0(VALU_DEP_2)
	v_add_f32_e32 v18, v25, v20
	ds_bpermute_b32 v17, v17, v18
	s_waitcnt lgkmcnt(0)
	v_dual_add_f32 v17, v18, v17 :: v_dual_lshlrev_b32 v18, 2, v19
	ds_bpermute_b32 v18, v18, v17
	s_and_saveexec_b32 s3, vcc_lo
	s_cbranch_execz .LBB83_9
; %bb.11:                               ;   in Loop: Header=BB83_10 Depth=1
	s_waitcnt lgkmcnt(0)
	v_add_f32_e32 v17, v17, v18
	v_add_nc_u32_e32 v19, s7, v10
	v_cmp_gt_i32_e64 s1, s30, v10
	s_delay_alu instid0(VALU_DEP_2) | instskip(NEXT) | instid1(VALU_DEP_1)
	v_cvt_f32_i32_e32 v19, v19
	v_mul_f32_e32 v19, s28, v19
	s_delay_alu instid0(VALU_DEP_1) | instskip(NEXT) | instid1(VALU_DEP_1)
	v_cndmask_b32_e64 v18, 0, v19, s0
	v_dual_max_f32 v19, v7, v7 :: v_dual_fmac_f32 v18, s29, v17
	s_delay_alu instid0(VALU_DEP_1) | instskip(SKIP_1) | instid1(VALU_DEP_2)
	v_max_f32_e32 v17, v19, v18
	v_cndmask_b32_e64 v18, 0, v18, s1
	v_cndmask_b32_e64 v7, v7, v17, s1
	ds_store_b32 v11, v18
	s_branch .LBB83_9
.LBB83_12:
	s_or_b32 exec_lo, exec_lo, s34
.LBB83_13:
	s_delay_alu instid0(SALU_CYCLE_1) | instskip(SKIP_2) | instid1(VALU_DEP_2)
	s_or_b32 exec_lo, exec_lo, s33
	v_xor_b32_e32 v1, 16, v3
	v_xor_b32_e32 v9, 8, v3
	v_cmp_lt_i32_e32 vcc_lo, v1, v4
	v_cndmask_b32_e32 v1, v3, v1, vcc_lo
	s_delay_alu instid0(VALU_DEP_3) | instskip(NEXT) | instid1(VALU_DEP_2)
	v_cmp_lt_i32_e32 vcc_lo, v9, v4
	v_lshlrev_b32_e32 v2, 2, v1
	ds_bpermute_b32 v1, v2, v7
	v_max_f32_e32 v10, v7, v7
	v_cndmask_b32_e32 v7, v3, v9, vcc_lo
	s_waitcnt lgkmcnt(0)
	v_max_f32_e32 v1, v1, v1
	s_delay_alu instid0(VALU_DEP_1) | instskip(SKIP_1) | instid1(VALU_DEP_1)
	v_max_f32_e32 v1, v10, v1
	v_xor_b32_e32 v10, 4, v3
	v_cmp_lt_i32_e32 vcc_lo, v10, v4
	v_cndmask_b32_e32 v10, v3, v10, vcc_lo
	s_delay_alu instid0(VALU_DEP_1)
	v_lshlrev_b32_e32 v12, 2, v10
	v_lshlrev_b32_e32 v10, 2, v8
	;; [unrolled: 1-line block ×3, first 2 shown]
	ds_bpermute_b32 v9, v7, v1
	s_waitcnt lgkmcnt(0)
	v_max_f32_e32 v9, v9, v9
	s_delay_alu instid0(VALU_DEP_1)
	v_max_f32_e32 v1, v1, v9
	v_and_b32_e32 v9, 31, v0
	ds_bpermute_b32 v11, v12, v1
	v_cmp_eq_u32_e32 vcc_lo, 0, v9
	s_and_saveexec_b32 s0, vcc_lo
	s_cbranch_execz .LBB83_15
; %bb.14:
	s_waitcnt lgkmcnt(0)
	v_max_f32_e32 v11, v11, v11
	v_max_f32_e32 v1, v1, v1
	s_delay_alu instid0(VALU_DEP_1)
	v_max_f32_e32 v1, v1, v11
	ds_store_b32 v10, v1 offset:64
.LBB83_15:
	s_or_b32 exec_lo, exec_lo, s0
	v_cmp_gt_u32_e64 s0, 4, v9
	v_mov_b32_e32 v1, 0xff7fffff
	s_waitcnt lgkmcnt(0)
	v_lshlrev_b32_e32 v11, 2, v9
	s_barrier
	buffer_gl0_inv
	s_and_saveexec_b32 s1, s0
	s_cbranch_execz .LBB83_17
; %bb.16:
	ds_load_b32 v1, v11 offset:64
.LBB83_17:
	s_or_b32 exec_lo, exec_lo, s1
	v_xor_b32_e32 v13, 2, v3
	v_xor_b32_e32 v15, 1, v3
	s_delay_alu instid0(VALU_DEP_2) | instskip(NEXT) | instid1(VALU_DEP_1)
	v_cmp_lt_i32_e64 s1, v13, v4
	v_cndmask_b32_e64 v13, v3, v13, s1
	s_delay_alu instid0(VALU_DEP_3) | instskip(NEXT) | instid1(VALU_DEP_2)
	v_cmp_lt_i32_e64 s1, v15, v4
	v_lshlrev_b32_e32 v13, 2, v13
	s_delay_alu instid0(VALU_DEP_2)
	v_cndmask_b32_e64 v4, v3, v15, s1
	v_lshlrev_b32_e32 v3, 2, v3
	s_sub_i32 s1, s17, s15
	v_mov_b32_e32 v15, 0
	s_waitcnt lgkmcnt(0)
	ds_bpermute_b32 v14, v13, v1
	v_dual_max_f32 v1, v1, v1 :: v_dual_lshlrev_b32 v4, 2, v4
	s_lshl_b32 s1, s1, 3
	s_delay_alu instid0(SALU_CYCLE_1) | instskip(NEXT) | instid1(SALU_CYCLE_1)
	s_add_i32 s1, s1, s31
	s_min_i32 s1, s1, s30
	s_delay_alu instid0(SALU_CYCLE_1) | instskip(NEXT) | instid1(SALU_CYCLE_1)
	s_sub_i32 s7, s1, s31
	v_cmp_gt_i32_e64 s1, s7, v0
	s_waitcnt lgkmcnt(0)
	v_max_f32_e32 v14, v14, v14
	s_delay_alu instid0(VALU_DEP_1) | instskip(SKIP_3) | instid1(VALU_DEP_1)
	v_max_f32_e32 v1, v1, v14
	ds_bpermute_b32 v14, v4, v1
	s_waitcnt lgkmcnt(0)
	v_max_f32_e32 v14, v14, v14
	v_dual_max_f32 v1, v1, v14 :: v_dual_and_b32 v14, 0xffffff80, v3
	v_lshl_add_u32 v3, v0, 2, 0x60
	ds_bpermute_b32 v1, v14, v1
	s_and_saveexec_b32 s15, s1
	s_cbranch_execz .LBB83_21
; %bb.18:
	v_lshl_add_u32 v16, v0, 2, 0x60
	v_mov_b32_e32 v15, 0
	v_mov_b32_e32 v17, v0
	s_mov_b32 s28, 0
	.p2align	6
.LBB83_19:                              ; =>This Inner Loop Header: Depth=1
	ds_load_b32 v18, v16
	v_add_nc_u32_e32 v17, 0x80, v17
	s_delay_alu instid0(VALU_DEP_1) | instskip(NEXT) | instid1(VALU_DEP_1)
	v_cmp_le_i32_e64 s3, s7, v17
	s_or_b32 s28, s3, s28
	s_waitcnt lgkmcnt(0)
	v_sub_f32_e32 v18, v18, v1
	s_delay_alu instid0(VALU_DEP_1) | instskip(NEXT) | instid1(VALU_DEP_1)
	v_mul_f32_e32 v18, 0x3fb8aa3b, v18
	v_exp_f32_e32 v18, v18
	ds_store_b32 v16, v18
	v_dual_add_f32 v15, v15, v18 :: v_dual_add_nc_u32 v16, 0x200, v16
	s_and_not1_b32 exec_lo, exec_lo, s28
	s_cbranch_execnz .LBB83_19
; %bb.20:
	s_or_b32 exec_lo, exec_lo, s28
.LBB83_21:
	s_delay_alu instid0(SALU_CYCLE_1)
	s_or_b32 exec_lo, exec_lo, s15
	ds_bpermute_b32 v2, v2, v15
	s_waitcnt lgkmcnt(0)
	v_add_f32_e32 v2, v15, v2
	ds_bpermute_b32 v7, v7, v2
	s_waitcnt lgkmcnt(0)
	v_add_f32_e32 v2, v2, v7
	;; [unrolled: 3-line block ×5, first 2 shown]
	s_and_saveexec_b32 s3, vcc_lo
	s_cbranch_execz .LBB83_23
; %bb.22:
	ds_store_b32 v10, v2 offset:80
.LBB83_23:
	s_or_b32 exec_lo, exec_lo, s3
	s_waitcnt lgkmcnt(0)
	s_barrier
	buffer_gl0_inv
	s_and_saveexec_b32 s3, s0
	s_cbranch_execz .LBB83_25
; %bb.24:
	ds_load_b32 v2, v11 offset:80
.LBB83_25:
	s_or_b32 exec_lo, exec_lo, s3
	s_waitcnt lgkmcnt(0)
	ds_bpermute_b32 v7, v13, v2
	s_waitcnt lgkmcnt(0)
	v_add_f32_e32 v2, v2, v7
	ds_bpermute_b32 v4, v4, v2
	s_waitcnt lgkmcnt(0)
	v_add_f32_e32 v2, v2, v4
	ds_bpermute_b32 v2, v14, v2
	s_and_saveexec_b32 s0, s1
	s_cbranch_execz .LBB83_28
; %bb.26:
	s_waitcnt lgkmcnt(0)
	v_add_f32_e32 v4, 0x358637bd, v2
	s_mov_b32 s1, 0
	s_delay_alu instid0(VALU_DEP_1) | instskip(SKIP_1) | instid1(VALU_DEP_2)
	v_div_scale_f32 v7, null, v4, v4, 1.0
	v_div_scale_f32 v12, vcc_lo, 1.0, v4, 1.0
	v_rcp_f32_e32 v10, v7
	s_waitcnt_depctr 0xfff
	v_fma_f32 v11, -v7, v10, 1.0
	s_delay_alu instid0(VALU_DEP_1) | instskip(NEXT) | instid1(VALU_DEP_1)
	v_fmac_f32_e32 v10, v11, v10
	v_mul_f32_e32 v11, v12, v10
	s_delay_alu instid0(VALU_DEP_1) | instskip(NEXT) | instid1(VALU_DEP_1)
	v_fma_f32 v13, -v7, v11, v12
	v_fmac_f32_e32 v11, v13, v10
	s_delay_alu instid0(VALU_DEP_1) | instskip(NEXT) | instid1(VALU_DEP_1)
	v_fma_f32 v7, -v7, v11, v12
	v_div_fmas_f32 v7, v7, v10, v11
	s_delay_alu instid0(VALU_DEP_1)
	v_div_fixup_f32 v4, v7, v4, 1.0
	v_mov_b32_e32 v7, v0
.LBB83_27:                              ; =>This Inner Loop Header: Depth=1
	ds_load_b32 v10, v3
	s_waitcnt lgkmcnt(0)
	v_dual_mul_f32 v10, v4, v10 :: v_dual_add_nc_u32 v7, 0x80, v7
	s_delay_alu instid0(VALU_DEP_1) | instskip(SKIP_3) | instid1(SALU_CYCLE_1)
	v_cmp_le_i32_e32 vcc_lo, s7, v7
	ds_store_b32 v3, v10
	v_add_nc_u32_e32 v3, 0x200, v3
	s_or_b32 s1, vcc_lo, s1
	s_and_not1_b32 exec_lo, exec_lo, s1
	s_cbranch_execnz .LBB83_27
.LBB83_28:
	s_or_b32 exec_lo, exec_lo, s0
	s_mul_i32 s0, s4, s14
	s_waitcnt lgkmcnt(0)
	s_mul_i32 s14, s0, s13
	s_mov_b32 s0, exec_lo
	s_barrier
	buffer_gl0_inv
	v_cmpx_eq_u32_e32 0, v0
	s_cbranch_execz .LBB83_30
; %bb.29:
	s_ashr_i32 s15, s14, 31
	s_mul_i32 s34, s4, s20
	s_lshl_b64 s[28:29], s[14:15], 2
	v_mov_b32_e32 v3, 0
	s_add_u32 s1, s10, s28
	s_addc_u32 s3, s11, s29
	s_ashr_i32 s35, s34, 31
	s_delay_alu instid0(SALU_CYCLE_1) | instskip(NEXT) | instid1(SALU_CYCLE_1)
	s_lshl_b64 s[10:11], s[34:35], 2
	s_add_u32 s1, s1, s10
	s_addc_u32 s3, s3, s11
	s_ashr_i32 s13, s12, 31
	s_delay_alu instid0(SALU_CYCLE_1) | instskip(NEXT) | instid1(SALU_CYCLE_1)
	s_lshl_b64 s[34:35], s[12:13], 2
	s_add_u32 s36, s1, s34
	s_addc_u32 s37, s3, s35
	s_add_u32 s1, s8, s28
	s_addc_u32 s3, s9, s29
	s_add_u32 s1, s1, s10
	s_addc_u32 s3, s3, s11
	s_add_u32 s8, s1, s34
	s_addc_u32 s9, s3, s35
	s_clause 0x1
	global_store_b32 v3, v1, s[36:37]
	global_store_b32 v3, v2, s[8:9]
.LBB83_30:
	s_or_b32 exec_lo, exec_lo, s0
	v_mov_b32_e32 v10, 0
	s_and_saveexec_b32 s1, s2
	s_cbranch_execz .LBB83_36
; %bb.31:
	s_ashr_i32 s7, s6, 31
	v_dual_mov_b32 v10, 0 :: v_dual_lshlrev_b32 v1, 4, v9
	s_lshl_b64 s[6:7], s[6:7], 1
	v_lshl_add_u32 v13, v8, 3, s31
	s_add_u32 s0, s26, s6
	s_addc_u32 s3, s27, s7
	v_add_co_u32 v11, s0, s0, v1
	v_lshlrev_b64 v[1:2], 2, v[5:6]
	s_lshl_b64 s[10:11], s[24:25], 2
	s_add_i32 s21, s21, -1
	v_add_co_ci_u32_e64 v12, null, s3, 0, s0
	s_add_u32 s0, s22, s10
	s_addc_u32 s9, s23, s11
	v_add_co_u32 v6, vcc_lo, s0, v1
	v_lshl_add_u32 v14, v8, 5, 0x60
	v_add_co_ci_u32_e32 v7, vcc_lo, s9, v2, vcc_lo
	s_mov_b32 s2, s5
	s_mov_b32 s3, s30
	;; [unrolled: 1-line block ×9, first 2 shown]
	s_branch .LBB83_33
.LBB83_32:                              ;   in Loop: Header=BB83_33 Depth=1
	s_or_b32 exec_lo, exec_lo, s0
	v_and_b32_e32 v19, 0xffff, v19
	v_and_b32_e32 v20, 0xffff, v20
	;; [unrolled: 1-line block ×4, first 2 shown]
	v_add_nc_u32_e32 v5, 4, v5
	v_lshl_or_b32 v15, v15, 16, v19
	s_waitcnt vmcnt(0)
	;;#ASMSTART
	v_pk_mul_f16 v1, v15, v1;

	;;#ASMEND
	v_lshl_or_b32 v16, v16, 16, v20
	v_lshl_or_b32 v17, v17, 16, v21
	;; [unrolled: 1-line block ×3, first 2 shown]
	;;#ASMSTART
	v_pk_mul_f16 v2, v16, v2;

	;;#ASMEND
	;;#ASMSTART
	v_pk_mul_f16 v3, v17, v3;

	;;#ASMEND
	;; [unrolled: 4-line block ×3, first 2 shown]
	;;#ASMSTART
	v_pk_add_f16 v1, v1, v2;

	;;#ASMEND
	;;#ASMSTART
	v_pk_add_f16 v1, v1, v3;

	;;#ASMEND
	;; [unrolled: 4-line block ×3, first 2 shown]
	v_and_b32_e32 v2, 0xffff, v1
	v_lshrrev_b32_e32 v1, 16, v1
	;;#ASMSTART
	v_cvt_f32_f16 v2, v2;
	;;#ASMEND
	;;#ASMSTART
	v_cvt_f32_f16 v1, v1;
	;;#ASMEND
	s_delay_alu instid0(VALU_DEP_1)
	v_add_f32_e32 v1, v2, v1
	v_cmp_le_i32_e32 vcc_lo, s17, v5
	v_add_co_u32 v6, s0, v6, 16
	v_add_nc_u32_e32 v13, 32, v13
	v_add_nc_u32_e32 v14, 0x80, v14
	v_add_f32_e32 v10, v10, v1
	v_add_co_ci_u32_e64 v7, s0, 0, v7, s0
	s_or_b32 s11, vcc_lo, s11
	s_delay_alu instid0(SALU_CYCLE_1)
	s_and_not1_b32 exec_lo, exec_lo, s11
	s_cbranch_execz .LBB83_35
.LBB83_33:                              ; =>This Inner Loop Header: Depth=1
	global_load_b32 v17, v[6:7], off
	ds_load_2addr_b64 v[1:4], v14 offset1:1
	ds_load_2addr_b64 v[21:24], v14 offset0:2 offset1:3
	s_mov_b32 s0, exec_lo
	s_waitcnt lgkmcnt(1)
	;;#ASMSTART
	v_cvt_f16_f32 v19, v1;

	;;#ASMEND
	s_waitcnt vmcnt(0)
	v_mad_i64_i32 v[15:16], null, v17, s2, 0
	s_delay_alu instid0(VALU_DEP_1)
	v_lshlrev_b64 v[17:18], 1, v[15:16]
	;;#ASMSTART
	v_cvt_f16_f32 v15, v2;

	;;#ASMEND
	;;#ASMSTART
	v_cvt_f16_f32 v20, v3;

	;;#ASMEND
	;; [unrolled: 4-line block ×3, first 2 shown]
	s_waitcnt lgkmcnt(0)
	;;#ASMSTART
	v_cvt_f16_f32 v21, v21;

	;;#ASMEND
	v_add_co_u32 v1, vcc_lo, v11, v17
	v_add_co_ci_u32_e32 v2, vcc_lo, v12, v18, vcc_lo
	;;#ASMSTART
	v_cvt_f16_f32 v17, v22;

	;;#ASMEND
	;;#ASMSTART
	v_cvt_f16_f32 v22, v23;

	;;#ASMEND
	;; [unrolled: 4-line block ×3, first 2 shown]
	global_load_b128 v[1:4], v[1:2], off
	v_cmpx_eq_u32_e64 s21, v5
	s_cbranch_execz .LBB83_32
; %bb.34:                               ;   in Loop: Header=BB83_33 Depth=1
	v_or_b32_e32 v27, 7, v13
	s_waitcnt vmcnt(0)
	v_lshrrev_b32_e32 v28, 16, v4
	v_or_b32_e32 v29, 6, v13
	v_or_b32_e32 v26, 5, v13
	v_lshrrev_b32_e32 v31, 16, v3
	v_cmp_gt_i32_e32 vcc_lo, s10, v27
	v_or_b32_e32 v30, 4, v13
	v_or_b32_e32 v24, 3, v13
	;; [unrolled: 1-line block ×3, first 2 shown]
	v_cndmask_b32_e32 v27, 0, v28, vcc_lo
	v_cmp_gt_i32_e32 vcc_lo, s9, v29
	v_add_nc_u32_e32 v23, 1, v13
	v_lshrrev_b32_e32 v28, 16, v2
	v_lshrrev_b32_e32 v29, 16, v1
	v_cndmask_b32_e32 v4, 0, v4, vcc_lo
	v_cmp_gt_i32_e32 vcc_lo, s8, v26
	v_cndmask_b32_e32 v26, 0, v31, vcc_lo
	v_cmp_gt_i32_e32 vcc_lo, s7, v30
	s_delay_alu instid0(VALU_DEP_4) | instskip(SKIP_4) | instid1(VALU_DEP_4)
	v_perm_b32 v4, v27, v4, 0x5040100
	v_cndmask_b32_e32 v3, 0, v3, vcc_lo
	v_cmp_gt_i32_e32 vcc_lo, s6, v24
	v_cndmask_b32_e32 v24, 0, v28, vcc_lo
	v_cmp_gt_i32_e32 vcc_lo, s5, v25
	v_perm_b32 v3, v26, v3, 0x5040100
	v_cndmask_b32_e32 v2, 0, v2, vcc_lo
	v_cmp_gt_i32_e32 vcc_lo, s3, v23
	v_cndmask_b32_e32 v23, 0, v29, vcc_lo
	v_cmp_gt_i32_e32 vcc_lo, s30, v13
	s_delay_alu instid0(VALU_DEP_4) | instskip(SKIP_1) | instid1(VALU_DEP_1)
	v_perm_b32 v2, v24, v2, 0x5040100
	v_cndmask_b32_e32 v1, 0, v1, vcc_lo
	v_perm_b32 v1, v23, v1, 0x5040100
	s_branch .LBB83_32
.LBB83_35:
	s_or_b32 exec_lo, exec_lo, s11
.LBB83_36:
	s_delay_alu instid0(SALU_CYCLE_1)
	s_or_b32 exec_lo, exec_lo, s1
	v_and_b32_e32 v2, 0x3c0, v0
	v_lshl_add_u32 v1, v9, 2, 0x60
	s_mov_b32 s0, exec_lo
	s_waitcnt_vscnt null, 0x0
	s_barrier
	buffer_gl0_inv
	v_cmpx_eq_u32_e32 64, v2
	s_cbranch_execz .LBB83_38
; %bb.37:
	v_lshlrev_b32_e32 v2, 7, v8
	s_delay_alu instid0(VALU_DEP_1)
	v_add3_u32 v2, v1, v2, 0xffffff00
	ds_store_b32 v2, v10
.LBB83_38:
	s_or_b32 exec_lo, exec_lo, s0
	v_and_b32_e32 v3, 0x3e0, v0
	s_mov_b32 s0, exec_lo
	s_waitcnt lgkmcnt(0)
	s_barrier
	buffer_gl0_inv
	v_lshl_add_u32 v2, v3, 2, v1
	v_cmpx_gt_u32_e32 64, v0
	s_cbranch_execz .LBB83_40
; %bb.39:
	ds_load_b32 v4, v2
	s_waitcnt lgkmcnt(0)
	v_add_f32_e32 v10, v10, v4
.LBB83_40:
	s_or_b32 exec_lo, exec_lo, s0
	s_delay_alu instid0(SALU_CYCLE_1)
	s_mov_b32 s0, exec_lo
	s_barrier
	buffer_gl0_inv
	v_cmpx_eq_u32_e32 32, v3
	s_cbranch_execz .LBB83_42
; %bb.41:
	ds_store_b32 v1, v10
.LBB83_42:
	s_or_b32 exec_lo, exec_lo, s0
	v_cmp_gt_u32_e32 vcc_lo, 32, v0
	s_waitcnt lgkmcnt(0)
	s_barrier
	buffer_gl0_inv
	s_and_saveexec_b32 s0, vcc_lo
	s_cbranch_execz .LBB83_44
; %bb.43:
	ds_load_b32 v0, v2
	s_waitcnt lgkmcnt(0)
	v_add_f32_e32 v10, v10, v0
.LBB83_44:
	s_or_b32 exec_lo, exec_lo, s0
	s_barrier
	buffer_gl0_inv
	s_and_saveexec_b32 s0, vcc_lo
	s_cbranch_execz .LBB83_46
; %bb.45:
	s_lshl_b32 s0, s14, 5
	s_mul_i32 s2, s4, s16
	s_ashr_i32 s1, s0, 31
	v_lshlrev_b32_e32 v0, 1, v9
	s_lshl_b64 s[0:1], s[0:1], 1
	;;#ASMSTART
	v_cvt_f16_f32 v1, v10;

	;;#ASMEND
	s_add_u32 s4, s18, s0
	s_addc_u32 s5, s19, s1
	s_ashr_i32 s3, s2, 31
	s_delay_alu instid0(SALU_CYCLE_1) | instskip(NEXT) | instid1(SALU_CYCLE_1)
	s_lshl_b64 s[0:1], s[2:3], 1
	s_add_u32 s2, s4, s0
	s_addc_u32 s3, s5, s1
	s_lshl_b32 s0, s12, 5
	s_delay_alu instid0(SALU_CYCLE_1) | instskip(NEXT) | instid1(SALU_CYCLE_1)
	s_ashr_i32 s1, s0, 31
	s_lshl_b64 s[0:1], s[0:1], 1
	s_delay_alu instid0(SALU_CYCLE_1)
	s_add_u32 s0, s2, s0
	s_addc_u32 s1, s3, s1
	global_store_b16 v0, v1, s[0:1]
.LBB83_46:
	s_nop 0
	s_sendmsg sendmsg(MSG_DEALLOC_VGPRS)
	s_endpgm
	.section	.rodata,"a",@progbits
	.p2align	6, 0x0
	.amdhsa_kernel _ZN4vllm25paged_attention_v2_kernelIttLi32ELi8ELi128ELNS_18Fp8KVCacheDataTypeE0ELb0ELi512EEEvPfS2_PT_PKS3_PKT0_S9_ifPKiSB_iPKfiiiSD_SD_iiiii
		.amdhsa_group_segment_fixed_size 96
		.amdhsa_private_segment_fixed_size 0
		.amdhsa_kernarg_size 400
		.amdhsa_user_sgpr_count 13
		.amdhsa_user_sgpr_dispatch_ptr 0
		.amdhsa_user_sgpr_queue_ptr 0
		.amdhsa_user_sgpr_kernarg_segment_ptr 1
		.amdhsa_user_sgpr_dispatch_id 0
		.amdhsa_user_sgpr_private_segment_size 0
		.amdhsa_wavefront_size32 1
		.amdhsa_uses_dynamic_stack 0
		.amdhsa_enable_private_segment 0
		.amdhsa_system_sgpr_workgroup_id_x 1
		.amdhsa_system_sgpr_workgroup_id_y 1
		.amdhsa_system_sgpr_workgroup_id_z 1
		.amdhsa_system_sgpr_workgroup_info 0
		.amdhsa_system_vgpr_workitem_id 0
		.amdhsa_next_free_vgpr 32
		.amdhsa_next_free_sgpr 38
		.amdhsa_reserve_vcc 1
		.amdhsa_float_round_mode_32 0
		.amdhsa_float_round_mode_16_64 0
		.amdhsa_float_denorm_mode_32 3
		.amdhsa_float_denorm_mode_16_64 3
		.amdhsa_dx10_clamp 1
		.amdhsa_ieee_mode 1
		.amdhsa_fp16_overflow 0
		.amdhsa_workgroup_processor_mode 1
		.amdhsa_memory_ordered 1
		.amdhsa_forward_progress 0
		.amdhsa_shared_vgpr_count 0
		.amdhsa_exception_fp_ieee_invalid_op 0
		.amdhsa_exception_fp_denorm_src 0
		.amdhsa_exception_fp_ieee_div_zero 0
		.amdhsa_exception_fp_ieee_overflow 0
		.amdhsa_exception_fp_ieee_underflow 0
		.amdhsa_exception_fp_ieee_inexact 0
		.amdhsa_exception_int_div_zero 0
	.end_amdhsa_kernel
	.section	.text._ZN4vllm25paged_attention_v2_kernelIttLi32ELi8ELi128ELNS_18Fp8KVCacheDataTypeE0ELb0ELi512EEEvPfS2_PT_PKS3_PKT0_S9_ifPKiSB_iPKfiiiSD_SD_iiiii,"axG",@progbits,_ZN4vllm25paged_attention_v2_kernelIttLi32ELi8ELi128ELNS_18Fp8KVCacheDataTypeE0ELb0ELi512EEEvPfS2_PT_PKS3_PKT0_S9_ifPKiSB_iPKfiiiSD_SD_iiiii,comdat
.Lfunc_end83:
	.size	_ZN4vllm25paged_attention_v2_kernelIttLi32ELi8ELi128ELNS_18Fp8KVCacheDataTypeE0ELb0ELi512EEEvPfS2_PT_PKS3_PKT0_S9_ifPKiSB_iPKfiiiSD_SD_iiiii, .Lfunc_end83-_ZN4vllm25paged_attention_v2_kernelIttLi32ELi8ELi128ELNS_18Fp8KVCacheDataTypeE0ELb0ELi512EEEvPfS2_PT_PKS3_PKT0_S9_ifPKiSB_iPKfiiiSD_SD_iiiii
                                        ; -- End function
	.section	.AMDGPU.csdata,"",@progbits
; Kernel info:
; codeLenInByte = 4120
; NumSgprs: 40
; NumVgprs: 32
; ScratchSize: 0
; MemoryBound: 0
; FloatMode: 240
; IeeeMode: 1
; LDSByteSize: 96 bytes/workgroup (compile time only)
; SGPRBlocks: 4
; VGPRBlocks: 3
; NumSGPRsForWavesPerEU: 40
; NumVGPRsForWavesPerEU: 32
; Occupancy: 16
; WaveLimiterHint : 1
; COMPUTE_PGM_RSRC2:SCRATCH_EN: 0
; COMPUTE_PGM_RSRC2:USER_SGPR: 13
; COMPUTE_PGM_RSRC2:TRAP_HANDLER: 0
; COMPUTE_PGM_RSRC2:TGID_X_EN: 1
; COMPUTE_PGM_RSRC2:TGID_Y_EN: 1
; COMPUTE_PGM_RSRC2:TGID_Z_EN: 1
; COMPUTE_PGM_RSRC2:TIDIG_COMP_CNT: 0
	.section	.text._ZN4vllm25paged_attention_v2_kernelIttLi64ELi8ELi128ELNS_18Fp8KVCacheDataTypeE0ELb0ELi512EEEvPfS2_PT_PKS3_PKT0_S9_ifPKiSB_iPKfiiiSD_SD_iiiii,"axG",@progbits,_ZN4vllm25paged_attention_v2_kernelIttLi64ELi8ELi128ELNS_18Fp8KVCacheDataTypeE0ELb0ELi512EEEvPfS2_PT_PKS3_PKT0_S9_ifPKiSB_iPKfiiiSD_SD_iiiii,comdat
	.protected	_ZN4vllm25paged_attention_v2_kernelIttLi64ELi8ELi128ELNS_18Fp8KVCacheDataTypeE0ELb0ELi512EEEvPfS2_PT_PKS3_PKT0_S9_ifPKiSB_iPKfiiiSD_SD_iiiii ; -- Begin function _ZN4vllm25paged_attention_v2_kernelIttLi64ELi8ELi128ELNS_18Fp8KVCacheDataTypeE0ELb0ELi512EEEvPfS2_PT_PKS3_PKT0_S9_ifPKiSB_iPKfiiiSD_SD_iiiii
	.globl	_ZN4vllm25paged_attention_v2_kernelIttLi64ELi8ELi128ELNS_18Fp8KVCacheDataTypeE0ELb0ELi512EEEvPfS2_PT_PKS3_PKT0_S9_ifPKiSB_iPKfiiiSD_SD_iiiii
	.p2align	8
	.type	_ZN4vllm25paged_attention_v2_kernelIttLi64ELi8ELi128ELNS_18Fp8KVCacheDataTypeE0ELb0ELi512EEEvPfS2_PT_PKS3_PKT0_S9_ifPKiSB_iPKfiiiSD_SD_iiiii,@function
_ZN4vllm25paged_attention_v2_kernelIttLi64ELi8ELi128ELNS_18Fp8KVCacheDataTypeE0ELb0ELi512EEEvPfS2_PT_PKS3_PKT0_S9_ifPKiSB_iPKfiiiSD_SD_iiiii: ; @_ZN4vllm25paged_attention_v2_kernelIttLi64ELi8ELi128ELNS_18Fp8KVCacheDataTypeE0ELb0ELi512EEEvPfS2_PT_PKS3_PKT0_S9_ifPKiSB_iPKfiiiSD_SD_iiiii
; %bb.0:
	s_load_b64 s[2:3], s[0:1], 0x40
	s_mov_b32 s20, s15
	s_ashr_i32 s15, s14, 31
	s_delay_alu instid0(SALU_CYCLE_1)
	s_lshl_b64 s[4:5], s[14:15], 2
	s_waitcnt lgkmcnt(0)
	s_add_u32 s2, s2, s4
	s_addc_u32 s3, s3, s5
	s_lshl_b32 s31, s20, 9
	s_load_b32 s30, s[2:3], 0x0
	s_waitcnt lgkmcnt(0)
	s_cmp_ge_i32 s31, s30
	s_cbranch_scc1 .LBB84_48
; %bb.1:
	s_clause 0x1
	s_load_b32 s15, s[0:1], 0x90
	s_load_b64 s[16:17], s[0:1], 0x30
	s_mov_b32 s22, s13
	s_mov_b32 s21, 0
	s_waitcnt lgkmcnt(0)
	s_abs_i32 s5, s15
	s_abs_i32 s2, s16
	s_delay_alu instid0(SALU_CYCLE_1) | instskip(SKIP_1) | instid1(VALU_DEP_1)
	v_cvt_f32_u32_e32 v1, s2
	s_sub_i32 s4, 0, s2
	v_rcp_iflag_f32_e32 v1, v1
	s_waitcnt_depctr 0xfff
	v_mul_f32_e32 v1, 0x4f7ffffe, v1
	s_delay_alu instid0(VALU_DEP_1) | instskip(NEXT) | instid1(VALU_DEP_1)
	v_cvt_u32_f32_e32 v1, v1
	v_readfirstlane_b32 s3, v1
	s_delay_alu instid0(VALU_DEP_1) | instskip(NEXT) | instid1(SALU_CYCLE_1)
	s_mul_i32 s4, s4, s3
	s_mul_hi_u32 s4, s3, s4
	s_delay_alu instid0(SALU_CYCLE_1) | instskip(SKIP_4) | instid1(SALU_CYCLE_1)
	s_add_i32 s3, s3, s4
	s_xor_b32 s4, s15, s16
	s_mul_hi_u32 s3, s5, s3
	s_ashr_i32 s4, s4, 31
	s_mul_i32 s6, s3, s2
	s_sub_i32 s5, s5, s6
	s_add_i32 s6, s3, 1
	s_sub_i32 s7, s5, s2
	s_cmp_ge_u32 s5, s2
	s_cselect_b32 s3, s6, s3
	s_cselect_b32 s5, s7, s5
	s_add_i32 s6, s3, 1
	s_cmp_ge_u32 s5, s2
	s_cselect_b32 s2, s6, s3
	s_abs_i32 s10, s13
	s_xor_b32 s2, s2, s4
	s_delay_alu instid0(SALU_CYCLE_1) | instskip(SKIP_2) | instid1(SALU_CYCLE_1)
	s_sub_i32 s11, s2, s4
	s_load_b64 s[2:3], s[0:1], 0x50
	s_abs_i32 s8, s11
	v_cvt_f32_u32_e32 v1, s8
	s_sub_i32 s5, 0, s8
	s_delay_alu instid0(VALU_DEP_1) | instskip(SKIP_2) | instid1(VALU_DEP_1)
	v_rcp_iflag_f32_e32 v1, v1
	s_waitcnt_depctr 0xfff
	v_mul_f32_e32 v1, 0x4f7ffffe, v1
	v_cvt_u32_f32_e32 v1, v1
	s_delay_alu instid0(VALU_DEP_1) | instskip(NEXT) | instid1(VALU_DEP_1)
	v_readfirstlane_b32 s4, v1
	s_mul_i32 s5, s5, s4
	s_delay_alu instid0(SALU_CYCLE_1) | instskip(NEXT) | instid1(SALU_CYCLE_1)
	s_mul_hi_u32 s5, s4, s5
	s_add_i32 s4, s4, s5
	s_waitcnt lgkmcnt(0)
	s_cmp_eq_u64 s[2:3], 0
	s_mul_hi_u32 s9, s10, s4
	s_cbranch_scc1 .LBB84_3
; %bb.2:
	s_ashr_i32 s23, s22, 31
	s_delay_alu instid0(SALU_CYCLE_1) | instskip(NEXT) | instid1(SALU_CYCLE_1)
	s_lshl_b64 s[4:5], s[22:23], 2
	s_add_u32 s2, s2, s4
	s_addc_u32 s3, s3, s5
	s_load_b32 s21, s[2:3], 0x0
.LBB84_3:
	s_load_b128 s[4:7], s[0:1], 0x58
	v_and_b32_e32 v1, 3, v0
	v_cmp_gt_u32_e64 s2, 32, v0
	v_lshlrev_b32_e32 v2, 2, v0
	s_ashr_i32 s3, s22, 31
	s_waitcnt lgkmcnt(0)
	s_ashr_i32 s7, s11, 31
	s_lshl_b32 s12, s22, 6
	s_and_saveexec_b32 s11, s2
	s_cbranch_execz .LBB84_5
; %bb.4:
	s_load_b64 s[18:19], s[0:1], 0x18
	s_mul_i32 s24, s14, s4
	v_and_b32_e32 v4, 0x3fc, v0
	s_ashr_i32 s25, s24, 31
	s_delay_alu instid0(SALU_CYCLE_1) | instskip(NEXT) | instid1(VALU_DEP_1)
	s_lshl_b64 s[24:25], s[24:25], 1
	v_lshl_add_u32 v4, v1, 5, v4
	s_waitcnt lgkmcnt(0)
	s_add_u32 s4, s18, s24
	s_addc_u32 s16, s19, s25
	s_ashr_i32 s13, s12, 31
	s_delay_alu instid0(SALU_CYCLE_1) | instskip(NEXT) | instid1(SALU_CYCLE_1)
	s_lshl_b64 s[18:19], s[12:13], 1
	s_add_u32 s18, s4, s18
	s_addc_u32 s19, s16, s19
	global_load_b32 v3, v2, s[18:19]
	s_waitcnt vmcnt(0)
	ds_store_b32 v4, v3
.LBB84_5:
	s_or_b32 exec_lo, exec_lo, s11
	s_add_i32 s4, s30, 7
	s_lshl_b32 s16, s20, 6
	s_ashr_i32 s11, s4, 31
	s_xor_b32 s3, s3, s7
	s_lshr_b32 s11, s11, 29
	s_add_i32 s7, s16, 64
	s_add_i32 s4, s4, s11
	v_lshrrev_b32_e32 v10, 5, v0
	s_ashr_i32 s33, s4, 3
	s_mul_i32 s4, s9, s8
	s_min_i32 s23, s7, s33
	s_clause 0x1
	s_load_b64 s[24:25], s[0:1], 0x38
	s_load_b32 s7, s[0:1], 0x48
	s_sub_i32 s4, s10, s4
	s_add_i32 s10, s9, 1
	s_sub_i32 s11, s4, s8
	s_cmp_ge_u32 s4, s8
	v_or_b32_e32 v5, s16, v10
	s_cselect_b32 s9, s10, s9
	s_cselect_b32 s4, s11, s4
	s_add_i32 s10, s9, 1
	s_cmp_ge_u32 s4, s8
	v_mbcnt_lo_u32_b32 v3, -1, 0
	s_cselect_b32 s4, s10, s9
	s_mov_b32 s8, exec_lo
	s_xor_b32 s4, s4, s3
	s_waitcnt lgkmcnt(0)
	s_sub_i32 s4, s4, s3
	v_cmp_gt_i32_e64 s3, s23, v5
	s_barrier
	buffer_gl0_inv
                                        ; implicit-def: $vgpr4
	s_mul_i32 s26, s14, s7
                                        ; implicit-def: $sgpr7
	s_delay_alu instid0(SALU_CYCLE_1)
	s_ashr_i32 s27, s26, 31
	v_cmpx_le_i32_e64 s23, v5
	s_xor_b32 s8, exec_lo, s8
; %bb.6:
	v_mbcnt_lo_u32_b32 v3, -1, 0
	v_mov_b32_e32 v4, 32
	s_mov_b32 s7, 0xff7fffff
                                        ; implicit-def: $vgpr2
                                        ; implicit-def: $vgpr1
; %bb.7:
	s_or_saveexec_b32 s34, s8
	s_clause 0x3
	s_load_b128 s[8:11], s[0:1], 0x0
	s_load_b64 s[18:19], s[0:1], 0x10
	s_load_b64 s[28:29], s[0:1], 0x28
	s_load_b32 s13, s[0:1], 0x98
	v_mov_b32_e32 v7, s7
	v_ashrrev_i32_e32 v6, 31, v5
	s_mul_i32 s6, s4, s6
	s_xor_b32 exec_lo, exec_lo, s34
	s_cbranch_execz .LBB84_13
; %bb.8:
	s_load_b64 s[36:37], s[0:1], 0x20
	v_bfe_u32 v4, v0, 2, 3
	s_ashr_i32 s7, s6, 31
	v_dual_mov_b32 v16, v5 :: v_dual_lshlrev_b32 v9, 3, v10
	s_lshl_b64 s[38:39], s[6:7], 1
	s_delay_alu instid0(VALU_DEP_2)
	v_lshlrev_b32_e32 v12, 4, v4
	v_and_b32_e32 v7, 12, v2
	v_lshlrev_b32_e32 v2, 2, v4
	v_add3_u32 v9, s31, v9, v4
	v_lshlrev_b32_e32 v8, 5, v1
	v_cmp_eq_u32_e32 vcc_lo, 0, v1
	v_cmp_neq_f32_e64 s0, s21, 0
	v_xor_b32_e32 v14, 2, v3
	v_xor_b32_e32 v15, 1, v3
	s_waitcnt lgkmcnt(0)
	s_add_u32 s1, s36, s38
	s_addc_u32 s4, s37, s39
	v_add_co_u32 v4, s1, s1, v12
	s_delay_alu instid0(VALU_DEP_1) | instskip(SKIP_1) | instid1(VALU_DEP_2)
	v_add_co_ci_u32_e64 v13, null, s4, 0, s1
	s_lshl_b64 s[36:37], s[26:27], 2
	v_add_co_u32 v12, s1, v4, v7
	v_mov_b32_e32 v7, 0xff7fffff
	v_lshl_or_b32 v11, v10, 5, v2
	v_lshlrev_b64 v[1:2], 2, v[5:6]
	s_sub_i32 s7, 1, s30
	s_add_u32 s4, s24, s36
	v_add_co_ci_u32_e64 v13, s1, 0, v13, s1
	s_addc_u32 s35, s25, s37
	s_delay_alu instid0(VALU_DEP_2)
	v_add_co_u32 v1, s1, s4, v1
	v_add_nc_u32_e32 v11, 0xa0, v11
	v_add_co_ci_u32_e64 v2, s1, s35, v2, s1
	v_mov_b32_e32 v4, 32
	s_mov_b32 s36, s5
	s_mov_b32 s35, 0
	s_branch .LBB84_10
.LBB84_9:                               ;   in Loop: Header=BB84_10 Depth=1
	s_or_b32 exec_lo, exec_lo, s4
	v_add_nc_u32_e32 v16, 4, v16
	v_add_co_u32 v1, s4, v1, 16
	v_add_nc_u32_e32 v9, 32, v9
	v_add_nc_u32_e32 v11, 0x80, v11
	s_delay_alu instid0(VALU_DEP_4) | instskip(SKIP_1) | instid1(VALU_DEP_2)
	v_cmp_le_i32_e64 s1, s23, v16
	v_add_co_ci_u32_e64 v2, s4, 0, v2, s4
	s_or_b32 s35, s1, s35
	s_delay_alu instid0(SALU_CYCLE_1)
	s_and_not1_b32 exec_lo, exec_lo, s35
	s_cbranch_execz .LBB84_12
.LBB84_10:                              ; =>This Inner Loop Header: Depth=1
	global_load_b32 v19, v[1:2], off
	s_waitcnt vmcnt(0) lgkmcnt(0)
	v_mad_i64_i32 v[17:18], null, v19, s36, 0
	s_delay_alu instid0(VALU_DEP_1) | instskip(NEXT) | instid1(VALU_DEP_1)
	v_lshlrev_b64 v[17:18], 1, v[17:18]
	v_add_co_u32 v17, s1, v12, v17
	s_delay_alu instid0(VALU_DEP_1)
	v_add_co_ci_u32_e64 v18, s1, v13, v18, s1
	v_cmp_gt_i32_e64 s1, 32, v14
	s_clause 0x7
	global_load_b32 v19, v[17:18], off
	global_load_b32 v20, v[17:18], off offset:128
	global_load_b32 v21, v[17:18], off offset:256
	;; [unrolled: 1-line block ×7, first 2 shown]
	ds_load_b32 v18, v8
	s_waitcnt lgkmcnt(0)
	v_and_b32_e32 v26, 0xffff, v18
	v_lshrrev_b32_e32 v18, 16, v18
	;;#ASMSTART
	v_cvt_f32_f16 v26, v26;
	;;#ASMEND
	;;#ASMSTART
	v_cvt_f32_f16 v18, v18;
	;;#ASMEND
	s_waitcnt vmcnt(7)
	v_and_b32_e32 v27, 0xffff, v19
	v_lshrrev_b32_e32 v19, 16, v19
	;;#ASMSTART
	v_cvt_f32_f16 v27, v27;
	;;#ASMEND
	;;#ASMSTART
	v_cvt_f32_f16 v19, v19;
	;;#ASMEND
	ds_load_b32 v28, v8 offset:4
	s_waitcnt vmcnt(6)
	v_and_b32_e32 v30, 0xffff, v20
	v_lshrrev_b32_e32 v20, 16, v20
	s_waitcnt vmcnt(5)
	v_and_b32_e32 v33, 0xffff, v21
	v_lshrrev_b32_e32 v21, 16, v21
	;; [unrolled: 3-line block ×5, first 2 shown]
	s_waitcnt vmcnt(1)
	v_lshrrev_b32_e32 v44, 16, v25
	s_waitcnt lgkmcnt(0)
	v_and_b32_e32 v29, 0xffff, v28
	v_lshrrev_b32_e32 v28, 16, v28
	;;#ASMSTART
	v_cvt_f32_f16 v29, v29;
	;;#ASMEND
	;;#ASMSTART
	v_cvt_f32_f16 v28, v28;
	;;#ASMEND
	;;#ASMSTART
	v_cvt_f32_f16 v30, v30;
	;;#ASMEND
	;;#ASMSTART
	v_cvt_f32_f16 v20, v20;
	;;#ASMEND
	ds_load_b32 v31, v8 offset:8
	v_dual_mul_f32 v20, v28, v20 :: v_dual_mul_f32 v29, v29, v30
	s_delay_alu instid0(VALU_DEP_1) | instskip(NEXT) | instid1(VALU_DEP_2)
	v_fmac_f32_e32 v20, v18, v19
	v_fmac_f32_e32 v29, v26, v27
	s_waitcnt lgkmcnt(0)
	v_and_b32_e32 v32, 0xffff, v31
	v_lshrrev_b32_e32 v31, 16, v31
	;;#ASMSTART
	v_cvt_f32_f16 v32, v32;
	;;#ASMEND
	;;#ASMSTART
	v_cvt_f32_f16 v31, v31;
	;;#ASMEND
	;; [unrolled: 3-line block ×4, first 2 shown]
	ds_load_b32 v34, v8 offset:12
	v_fmac_f32_e32 v29, v32, v33
	v_fmac_f32_e32 v20, v31, v21
	v_cndmask_b32_e64 v21, v3, v14, s1
	v_cmp_gt_i32_e64 s1, 32, v15
	s_waitcnt lgkmcnt(0)
	v_and_b32_e32 v35, 0xffff, v34
	v_lshrrev_b32_e32 v34, 16, v34
	;;#ASMSTART
	v_cvt_f32_f16 v35, v35;
	;;#ASMEND
	;;#ASMSTART
	v_cvt_f32_f16 v34, v34;
	;;#ASMEND
	;; [unrolled: 3-line block ×4, first 2 shown]
	ds_load_b32 v37, v8 offset:16
	v_dual_fmac_f32 v20, v34, v22 :: v_dual_fmac_f32 v29, v35, v36
	s_waitcnt vmcnt(0)
	v_lshrrev_b32_e32 v22, 16, v17
	v_and_b32_e32 v17, 0xffff, v17
	s_waitcnt lgkmcnt(0)
	v_and_b32_e32 v38, 0xffff, v37
	v_lshrrev_b32_e32 v37, 16, v37
	;;#ASMSTART
	v_cvt_f32_f16 v38, v38;
	;;#ASMEND
	;;#ASMSTART
	v_cvt_f32_f16 v37, v37;
	;;#ASMEND
	;; [unrolled: 3-line block ×4, first 2 shown]
	ds_load_b32 v40, v8 offset:20
	v_fmac_f32_e32 v20, v37, v23
	v_fmac_f32_e32 v29, v38, v39
	s_waitcnt lgkmcnt(0)
	v_and_b32_e32 v41, 0xffff, v40
	v_lshrrev_b32_e32 v40, 16, v40
	;;#ASMSTART
	v_cvt_f32_f16 v41, v41;
	;;#ASMEND
	;;#ASMSTART
	v_cvt_f32_f16 v40, v40;
	;;#ASMEND
	;;#ASMSTART
	v_cvt_f32_f16 v42, v42;
	;;#ASMEND
	;;#ASMSTART
	v_cvt_f32_f16 v24, v24;
	;;#ASMEND
	ds_load_b32 v43, v8 offset:24
	v_dual_fmac_f32 v29, v41, v42 :: v_dual_fmac_f32 v20, v40, v24
	s_waitcnt lgkmcnt(0)
	v_and_b32_e32 v28, 0xffff, v43
	v_lshrrev_b32_e32 v30, 16, v43
	;;#ASMSTART
	v_cvt_f32_f16 v18, v28;
	;;#ASMEND
	;;#ASMSTART
	v_cvt_f32_f16 v19, v30;
	;;#ASMEND
	v_and_b32_e32 v25, 0xffff, v25
	;;#ASMSTART
	v_cvt_f32_f16 v25, v25;
	;;#ASMEND
	;;#ASMSTART
	v_cvt_f32_f16 v26, v44;
	;;#ASMEND
	v_fmac_f32_e32 v20, v19, v26
	ds_load_b32 v27, v8 offset:28
	v_fmac_f32_e32 v29, v18, v25
	s_waitcnt lgkmcnt(0)
	v_and_b32_e32 v23, 0xffff, v27
	v_lshrrev_b32_e32 v24, 16, v27
	;;#ASMSTART
	v_cvt_f32_f16 v18, v23;
	;;#ASMEND
	;;#ASMSTART
	v_cvt_f32_f16 v19, v24;
	;;#ASMEND
	;; [unrolled: 3-line block ×4, first 2 shown]
	v_fmac_f32_e32 v20, v19, v22
	v_cndmask_b32_e64 v19, v3, v15, s1
	v_fmac_f32_e32 v29, v18, v17
	s_delay_alu instid0(VALU_DEP_1)
	v_dual_add_f32 v18, v29, v20 :: v_dual_lshlrev_b32 v17, 2, v21
	ds_bpermute_b32 v17, v17, v18
	s_waitcnt lgkmcnt(0)
	v_dual_add_f32 v17, v18, v17 :: v_dual_lshlrev_b32 v18, 2, v19
	ds_bpermute_b32 v18, v18, v17
	s_and_saveexec_b32 s4, vcc_lo
	s_cbranch_execz .LBB84_9
; %bb.11:                               ;   in Loop: Header=BB84_10 Depth=1
	v_add_nc_u32_e32 v19, s7, v9
	s_waitcnt lgkmcnt(0)
	v_add_f32_e32 v17, v17, v18
	v_cmp_gt_i32_e64 s1, s30, v9
	s_delay_alu instid0(VALU_DEP_3) | instskip(NEXT) | instid1(VALU_DEP_1)
	v_cvt_f32_i32_e32 v19, v19
	v_mul_f32_e32 v19, s21, v19
	s_delay_alu instid0(VALU_DEP_1) | instskip(NEXT) | instid1(VALU_DEP_1)
	v_cndmask_b32_e64 v18, 0, v19, s0
	v_dual_max_f32 v19, v7, v7 :: v_dual_fmac_f32 v18, s17, v17
	s_delay_alu instid0(VALU_DEP_1) | instskip(SKIP_1) | instid1(VALU_DEP_2)
	v_max_f32_e32 v17, v19, v18
	v_cndmask_b32_e64 v18, 0, v18, s1
	v_cndmask_b32_e64 v7, v7, v17, s1
	ds_store_b32 v11, v18
	s_branch .LBB84_9
.LBB84_12:
	s_or_b32 exec_lo, exec_lo, s35
.LBB84_13:
	s_delay_alu instid0(SALU_CYCLE_1) | instskip(SKIP_4) | instid1(VALU_DEP_4)
	s_or_b32 exec_lo, exec_lo, s34
	v_xor_b32_e32 v1, 16, v3
	v_xor_b32_e32 v8, 8, v3
	v_and_b32_e32 v11, 31, v0
	v_max_f32_e32 v9, v7, v7
	v_cmp_lt_i32_e32 vcc_lo, v1, v4
	v_cndmask_b32_e32 v1, v3, v1, vcc_lo
	v_cmp_lt_i32_e32 vcc_lo, v8, v4
	s_delay_alu instid0(VALU_DEP_2) | instskip(SKIP_2) | instid1(VALU_DEP_1)
	v_lshlrev_b32_e32 v2, 2, v1
	ds_bpermute_b32 v1, v2, v7
	v_cndmask_b32_e32 v7, v3, v8, vcc_lo
	v_lshlrev_b32_e32 v7, 2, v7
	s_waitcnt lgkmcnt(0)
	v_max_f32_e32 v1, v1, v1
	s_delay_alu instid0(VALU_DEP_1)
	v_max_f32_e32 v1, v9, v1
	v_xor_b32_e32 v9, 4, v3
	ds_bpermute_b32 v8, v7, v1
	v_cmp_lt_i32_e32 vcc_lo, v9, v4
	v_cndmask_b32_e32 v9, v3, v9, vcc_lo
	v_cmp_eq_u32_e32 vcc_lo, 0, v11
	s_waitcnt lgkmcnt(0)
	s_delay_alu instid0(VALU_DEP_2) | instskip(NEXT) | instid1(VALU_DEP_1)
	v_dual_max_f32 v8, v8, v8 :: v_dual_lshlrev_b32 v9, 2, v9
	v_dual_max_f32 v1, v1, v8 :: v_dual_lshlrev_b32 v8, 2, v10
	ds_bpermute_b32 v12, v9, v1
	s_and_saveexec_b32 s0, vcc_lo
	s_cbranch_execz .LBB84_15
; %bb.14:
	s_waitcnt lgkmcnt(0)
	v_dual_max_f32 v12, v12, v12 :: v_dual_max_f32 v1, v1, v1
	s_delay_alu instid0(VALU_DEP_1)
	v_max_f32_e32 v1, v1, v12
	ds_store_b32 v8, v1 offset:128
.LBB84_15:
	s_or_b32 exec_lo, exec_lo, s0
	v_cmp_gt_u32_e64 s0, 4, v11
	s_waitcnt lgkmcnt(0)
	v_dual_mov_b32 v1, 0xff7fffff :: v_dual_lshlrev_b32 v12, 2, v11
	s_barrier
	buffer_gl0_inv
	s_and_saveexec_b32 s1, s0
	s_cbranch_execz .LBB84_17
; %bb.16:
	ds_load_b32 v1, v12 offset:128
.LBB84_17:
	s_or_b32 exec_lo, exec_lo, s1
	v_xor_b32_e32 v13, 2, v3
	v_xor_b32_e32 v15, 1, v3
	s_delay_alu instid0(VALU_DEP_2) | instskip(NEXT) | instid1(VALU_DEP_1)
	v_cmp_lt_i32_e64 s1, v13, v4
	v_cndmask_b32_e64 v13, v3, v13, s1
	s_delay_alu instid0(VALU_DEP_3) | instskip(NEXT) | instid1(VALU_DEP_2)
	v_cmp_lt_i32_e64 s1, v15, v4
	v_lshlrev_b32_e32 v14, 2, v13
	s_delay_alu instid0(VALU_DEP_2)
	v_cndmask_b32_e64 v4, v3, v15, s1
	v_mov_b32_e32 v15, 0
	v_lshlrev_b32_e32 v3, 2, v3
	s_sub_i32 s1, s23, s16
	s_waitcnt lgkmcnt(0)
	ds_bpermute_b32 v13, v14, v1
	v_dual_max_f32 v1, v1, v1 :: v_dual_lshlrev_b32 v4, 2, v4
	v_and_b32_e32 v3, 0xffffff80, v3
	s_lshl_b32 s1, s1, 3
	s_delay_alu instid0(SALU_CYCLE_1) | instskip(NEXT) | instid1(SALU_CYCLE_1)
	s_add_i32 s1, s1, s31
	s_min_i32 s1, s1, s30
	s_delay_alu instid0(SALU_CYCLE_1) | instskip(NEXT) | instid1(SALU_CYCLE_1)
	s_sub_i32 s7, s1, s31
	v_cmp_gt_i32_e64 s1, s7, v0
	s_waitcnt lgkmcnt(0)
	v_max_f32_e32 v13, v13, v13
	s_delay_alu instid0(VALU_DEP_1) | instskip(SKIP_3) | instid1(VALU_DEP_1)
	v_max_f32_e32 v1, v1, v13
	ds_bpermute_b32 v13, v4, v1
	s_waitcnt lgkmcnt(0)
	v_max_f32_e32 v13, v13, v13
	v_max_f32_e32 v1, v1, v13
	v_lshl_add_u32 v13, v0, 2, 0xa0
	ds_bpermute_b32 v1, v3, v1
	s_and_saveexec_b32 s17, s1
	s_cbranch_execz .LBB84_21
; %bb.18:
	v_lshl_add_u32 v16, v0, 2, 0xa0
	v_mov_b32_e32 v15, 0
	v_mov_b32_e32 v17, v0
	s_mov_b32 s21, 0
	.p2align	6
.LBB84_19:                              ; =>This Inner Loop Header: Depth=1
	ds_load_b32 v18, v16
	v_add_nc_u32_e32 v17, 0x80, v17
	s_delay_alu instid0(VALU_DEP_1) | instskip(NEXT) | instid1(VALU_DEP_1)
	v_cmp_le_i32_e64 s4, s7, v17
	s_or_b32 s21, s4, s21
	s_waitcnt lgkmcnt(0)
	v_sub_f32_e32 v18, v18, v1
	s_delay_alu instid0(VALU_DEP_1) | instskip(NEXT) | instid1(VALU_DEP_1)
	v_mul_f32_e32 v18, 0x3fb8aa3b, v18
	v_exp_f32_e32 v18, v18
	ds_store_b32 v16, v18
	v_dual_add_f32 v15, v15, v18 :: v_dual_add_nc_u32 v16, 0x200, v16
	s_and_not1_b32 exec_lo, exec_lo, s21
	s_cbranch_execnz .LBB84_19
; %bb.20:
	s_or_b32 exec_lo, exec_lo, s21
.LBB84_21:
	s_delay_alu instid0(SALU_CYCLE_1)
	s_or_b32 exec_lo, exec_lo, s17
	ds_bpermute_b32 v2, v2, v15
	s_waitcnt lgkmcnt(0)
	v_add_f32_e32 v2, v15, v2
	ds_bpermute_b32 v7, v7, v2
	s_waitcnt lgkmcnt(0)
	v_add_f32_e32 v2, v2, v7
	;; [unrolled: 3-line block ×5, first 2 shown]
	s_and_saveexec_b32 s4, vcc_lo
	s_cbranch_execz .LBB84_23
; %bb.22:
	ds_store_b32 v8, v2 offset:144
.LBB84_23:
	s_or_b32 exec_lo, exec_lo, s4
	s_waitcnt lgkmcnt(0)
	s_barrier
	buffer_gl0_inv
	s_and_saveexec_b32 s4, s0
	s_cbranch_execz .LBB84_25
; %bb.24:
	ds_load_b32 v2, v12 offset:144
.LBB84_25:
	s_or_b32 exec_lo, exec_lo, s4
	s_waitcnt lgkmcnt(0)
	ds_bpermute_b32 v7, v14, v2
	s_waitcnt lgkmcnt(0)
	v_add_f32_e32 v2, v2, v7
	ds_bpermute_b32 v4, v4, v2
	s_waitcnt lgkmcnt(0)
	v_add_f32_e32 v2, v2, v4
	ds_bpermute_b32 v2, v3, v2
	s_and_saveexec_b32 s0, s1
	s_cbranch_execz .LBB84_28
; %bb.26:
	s_waitcnt lgkmcnt(0)
	v_add_f32_e32 v4, 0x358637bd, v2
	s_mov_b32 s1, 0
	s_delay_alu instid0(VALU_DEP_1) | instskip(NEXT) | instid1(VALU_DEP_1)
	v_div_scale_f32 v3, null, v4, v4, 1.0
	v_rcp_f32_e32 v7, v3
	s_waitcnt_depctr 0xfff
	v_fma_f32 v8, -v3, v7, 1.0
	s_delay_alu instid0(VALU_DEP_1) | instskip(SKIP_1) | instid1(VALU_DEP_1)
	v_fmac_f32_e32 v7, v8, v7
	v_div_scale_f32 v9, vcc_lo, 1.0, v4, 1.0
	v_mul_f32_e32 v8, v9, v7
	s_delay_alu instid0(VALU_DEP_1) | instskip(NEXT) | instid1(VALU_DEP_1)
	v_fma_f32 v14, -v3, v8, v9
	v_fmac_f32_e32 v8, v14, v7
	s_delay_alu instid0(VALU_DEP_1) | instskip(NEXT) | instid1(VALU_DEP_1)
	v_fma_f32 v3, -v3, v8, v9
	v_div_fmas_f32 v7, v3, v7, v8
	v_mov_b32_e32 v3, v13
	s_delay_alu instid0(VALU_DEP_2)
	v_div_fixup_f32 v4, v7, v4, 1.0
	v_mov_b32_e32 v7, v0
.LBB84_27:                              ; =>This Inner Loop Header: Depth=1
	ds_load_b32 v8, v3
	s_waitcnt lgkmcnt(0)
	v_dual_mul_f32 v8, v4, v8 :: v_dual_add_nc_u32 v7, 0x80, v7
	s_delay_alu instid0(VALU_DEP_1) | instskip(SKIP_3) | instid1(SALU_CYCLE_1)
	v_cmp_le_i32_e32 vcc_lo, s7, v7
	ds_store_b32 v3, v8
	v_add_nc_u32_e32 v3, 0x200, v3
	s_or_b32 s1, vcc_lo, s1
	s_and_not1_b32 exec_lo, exec_lo, s1
	s_cbranch_execnz .LBB84_27
.LBB84_28:
	s_or_b32 exec_lo, exec_lo, s0
	s_mul_i32 s0, s13, s14
	s_waitcnt lgkmcnt(0)
	s_mul_i32 s14, s0, s15
	s_mov_b32 s0, exec_lo
	s_barrier
	buffer_gl0_inv
	v_cmpx_eq_u32_e32 0, v0
	s_cbranch_execz .LBB84_30
; %bb.29:
	s_ashr_i32 s15, s14, 31
	s_mul_i32 s36, s13, s22
	s_lshl_b64 s[34:35], s[14:15], 2
	v_mov_b32_e32 v3, 0
	s_add_u32 s1, s10, s34
	s_addc_u32 s4, s11, s35
	s_ashr_i32 s37, s36, 31
	s_delay_alu instid0(SALU_CYCLE_1) | instskip(NEXT) | instid1(SALU_CYCLE_1)
	s_lshl_b64 s[10:11], s[36:37], 2
	s_add_u32 s1, s1, s10
	s_addc_u32 s4, s4, s11
	s_ashr_i32 s21, s20, 31
	s_delay_alu instid0(SALU_CYCLE_1) | instskip(NEXT) | instid1(SALU_CYCLE_1)
	s_lshl_b64 s[20:21], s[20:21], 2
	s_add_u32 s36, s1, s20
	s_addc_u32 s37, s4, s21
	s_add_u32 s1, s8, s34
	s_addc_u32 s4, s9, s35
	;; [unrolled: 2-line block ×4, first 2 shown]
	s_clause 0x1
	global_store_b32 v3, v1, s[36:37]
	global_store_b32 v3, v2, s[8:9]
.LBB84_30:
	s_or_b32 exec_lo, exec_lo, s0
	v_dual_mov_b32 v15, 0 :: v_dual_mov_b32 v14, 0
	s_mov_b32 s4, 0
	s_and_saveexec_b32 s1, s3
	s_cbranch_execz .LBB84_38
; %bb.31:
	s_ashr_i32 s7, s6, 31
	v_dual_mov_b32 v14, 0 :: v_dual_lshlrev_b32 v1, 4, v11
	s_lshl_b64 s[6:7], s[6:7], 1
	v_lshl_add_u32 v18, v10, 3, s31
	s_add_u32 s0, s28, s6
	s_addc_u32 s9, s29, s7
	v_add_co_u32 v16, s0, s0, v1
	v_lshlrev_b64 v[1:2], 2, v[5:6]
	s_lshl_b64 s[10:11], s[26:27], 2
	s_add_i32 s33, s33, -1
	v_add_co_ci_u32_e64 v17, null, s9, 0, s0
	s_add_u32 s0, s24, s10
	s_addc_u32 s9, s25, s11
	v_add_co_u32 v6, vcc_lo, s0, v1
	v_lshl_add_u32 v19, v10, 5, 0xa0
	v_add_co_ci_u32_e32 v7, vcc_lo, s9, v2, vcc_lo
	v_mov_b32_e32 v15, 0
	s_mov_b32 s3, s5
	s_mov_b32 s5, s30
	;; [unrolled: 1-line block ×8, first 2 shown]
	s_branch .LBB84_33
.LBB84_32:                              ;   in Loop: Header=BB84_33 Depth=1
	s_or_b32 exec_lo, exec_lo, s0
	s_waitcnt vmcnt(0)
	;;#ASMSTART
	v_pk_mul_f16 v1, v30, v1;

	;;#ASMEND
	;;#ASMSTART
	v_pk_mul_f16 v2, v29, v2;

	;;#ASMEND
	;; [unrolled: 4-line block ×4, first 2 shown]
	;;#ASMSTART
	v_pk_add_f16 v1, v1, v2;

	;;#ASMEND
	;;#ASMSTART
	v_pk_add_f16 v1, v1, v3;

	;;#ASMEND
	;; [unrolled: 4-line block ×3, first 2 shown]
	v_dual_add_f32 v3, v31, v32 :: v_dual_and_b32 v2, 0xffff, v1
	v_lshrrev_b32_e32 v1, 16, v1
	v_add_nc_u32_e32 v5, 4, v5
	;;#ASMSTART
	v_cvt_f32_f16 v2, v2;
	;;#ASMEND
	;;#ASMSTART
	v_cvt_f32_f16 v1, v1;
	;;#ASMEND
	s_delay_alu instid0(VALU_DEP_2) | instskip(NEXT) | instid1(VALU_DEP_2)
	v_dual_add_f32 v1, v2, v1 :: v_dual_add_nc_u32 v18, 32, v18
	v_cmp_le_i32_e32 vcc_lo, s23, v5
	v_add_co_u32 v6, s0, v6, 16
	s_delay_alu instid0(VALU_DEP_3) | instskip(SKIP_3) | instid1(SALU_CYCLE_1)
	v_dual_add_f32 v15, v15, v3 :: v_dual_add_f32 v14, v14, v1
	v_add_nc_u32_e32 v19, 0x80, v19
	v_add_co_ci_u32_e64 v7, s0, 0, v7, s0
	s_or_b32 s4, vcc_lo, s4
	s_and_not1_b32 exec_lo, exec_lo, s4
	s_cbranch_execz .LBB84_37
.LBB84_33:                              ; =>This Inner Loop Header: Depth=1
	global_load_b32 v24, v[6:7], off
	ds_load_2addr_b64 v[1:4], v19 offset1:1
	ds_load_2addr_b64 v[20:23], v19 offset0:2 offset1:3
	v_or_b32_e32 v25, 7, v18
	v_or_b32_e32 v26, 6, v18
	s_waitcnt lgkmcnt(1)
	;;#ASMSTART
	v_cvt_f16_f32 v29, v1;

	;;#ASMEND
	;;#ASMSTART
	v_cvt_f16_f32 v27, v2;

	;;#ASMEND
	;; [unrolled: 4-line block ×4, first 2 shown]
	s_waitcnt lgkmcnt(0)
	;;#ASMSTART
	v_cvt_f16_f32 v33, v20;

	;;#ASMEND
	;;#ASMSTART
	v_cvt_f16_f32 v31, v21;

	;;#ASMEND
	;;#ASMSTART
	v_cvt_f16_f32 v34, v22;

	;;#ASMEND
	;;#ASMSTART
	v_cvt_f16_f32 v32, v23;

	;;#ASMEND
	v_add_nc_u32_e32 v20, 1, v18
	v_or_b32_e32 v22, 3, v18
	v_or_b32_e32 v21, 2, v18
	;; [unrolled: 1-line block ×3, first 2 shown]
	s_waitcnt vmcnt(0)
	v_mad_i64_i32 v[8:9], null, v24, s3, 0
	v_or_b32_e32 v24, 5, v18
	s_delay_alu instid0(VALU_DEP_2) | instskip(NEXT) | instid1(VALU_DEP_1)
	v_lshlrev_b64 v[8:9], 1, v[8:9]
	v_add_co_u32 v8, vcc_lo, v16, v8
	s_delay_alu instid0(VALU_DEP_2)
	v_add_co_ci_u32_e32 v9, vcc_lo, v17, v9, vcc_lo
	v_cmp_eq_u32_e32 vcc_lo, s33, v5
	global_load_b128 v[1:4], v[8:9], off
	s_and_saveexec_b32 s15, vcc_lo
	s_cbranch_execz .LBB84_35
; %bb.34:                               ;   in Loop: Header=BB84_33 Depth=1
	v_cmp_gt_i32_e64 s0, s10, v26
	s_waitcnt vmcnt(0)
	v_lshrrev_b32_e32 v35, 16, v4
	v_lshrrev_b32_e32 v36, 16, v3
	;; [unrolled: 1-line block ×4, first 2 shown]
	v_cndmask_b32_e64 v4, 0, v4, s0
	v_cmp_gt_i32_e64 s0, s11, v25
	s_delay_alu instid0(VALU_DEP_1) | instskip(SKIP_1) | instid1(VALU_DEP_2)
	v_cndmask_b32_e64 v35, 0, v35, s0
	v_cmp_gt_i32_e64 s0, s9, v24
	v_perm_b32 v4, v35, v4, 0x5040100
	s_delay_alu instid0(VALU_DEP_2) | instskip(SKIP_1) | instid1(VALU_DEP_1)
	v_cndmask_b32_e64 v36, 0, v36, s0
	v_cmp_gt_i32_e64 s0, s8, v23
	v_cndmask_b32_e64 v3, 0, v3, s0
	v_cmp_gt_i32_e64 s0, s7, v22
	s_delay_alu instid0(VALU_DEP_2) | instskip(NEXT) | instid1(VALU_DEP_2)
	v_perm_b32 v3, v36, v3, 0x5040100
	v_cndmask_b32_e64 v37, 0, v37, s0
	v_cmp_gt_i32_e64 s0, s6, v21
	s_delay_alu instid0(VALU_DEP_1) | instskip(SKIP_1) | instid1(VALU_DEP_2)
	v_cndmask_b32_e64 v2, 0, v2, s0
	v_cmp_gt_i32_e64 s0, s5, v20
	v_perm_b32 v2, v37, v2, 0x5040100
	s_delay_alu instid0(VALU_DEP_2) | instskip(SKIP_1) | instid1(VALU_DEP_1)
	v_cndmask_b32_e64 v38, 0, v38, s0
	v_cmp_gt_i32_e64 s0, s30, v18
	v_cndmask_b32_e64 v1, 0, v1, s0
	s_delay_alu instid0(VALU_DEP_1)
	v_perm_b32 v1, v38, v1, 0x5040100
.LBB84_35:                              ;   in Loop: Header=BB84_33 Depth=1
	s_or_b32 exec_lo, exec_lo, s15
	v_and_b32_e32 v29, 0xffff, v29
	v_and_b32_e32 v35, 0xffff, v30
	;; [unrolled: 1-line block ×4, first 2 shown]
	s_delay_alu instid0(VALU_DEP_4)
	v_lshl_or_b32 v30, v27, 16, v29
	s_waitcnt vmcnt(0)
	;;#ASMSTART
	v_pk_mul_f16 v1, v30, v1;

	;;#ASMEND
	v_lshl_or_b32 v29, v28, 16, v35
	v_lshl_or_b32 v28, v31, 16, v33
	;; [unrolled: 1-line block ×3, first 2 shown]
	;;#ASMSTART
	v_pk_mul_f16 v2, v29, v2;

	;;#ASMEND
	;;#ASMSTART
	v_pk_mul_f16 v3, v28, v3;

	;;#ASMEND
	;; [unrolled: 4-line block ×3, first 2 shown]
	;;#ASMSTART
	v_pk_add_f16 v1, v1, v2;

	;;#ASMEND
	;;#ASMSTART
	v_pk_add_f16 v1, v1, v3;

	;;#ASMEND
	;;#ASMSTART
	v_pk_add_f16 v1, v1, v4;

	;;#ASMEND
	v_and_b32_e32 v2, 0xffff, v1
	v_lshrrev_b32_e32 v1, 16, v1
	;;#ASMSTART
	v_cvt_f32_f16 v31, v2;
	;;#ASMEND
	;;#ASMSTART
	v_cvt_f32_f16 v32, v1;
	;;#ASMEND
	global_load_b128 v[1:4], v[8:9], off offset:512
	s_and_saveexec_b32 s0, vcc_lo
	s_cbranch_execz .LBB84_32
; %bb.36:                               ;   in Loop: Header=BB84_33 Depth=1
	v_cmp_gt_i32_e32 vcc_lo, s10, v26
	s_waitcnt vmcnt(0)
	v_lshrrev_b32_e32 v8, 16, v4
	v_lshrrev_b32_e32 v9, 16, v3
	v_cndmask_b32_e32 v4, 0, v4, vcc_lo
	v_cmp_gt_i32_e32 vcc_lo, s11, v25
	s_delay_alu instid0(VALU_DEP_4)
	v_cndmask_b32_e32 v8, 0, v8, vcc_lo
	v_cmp_gt_i32_e32 vcc_lo, s9, v24
	v_lshrrev_b32_e32 v24, 16, v2
	v_cndmask_b32_e32 v9, 0, v9, vcc_lo
	v_cmp_gt_i32_e32 vcc_lo, s8, v23
	v_lshrrev_b32_e32 v23, 16, v1
	v_cndmask_b32_e32 v3, 0, v3, vcc_lo
	v_cmp_gt_i32_e32 vcc_lo, s7, v22
	v_perm_b32 v4, v8, v4, 0x5040100
	s_delay_alu instid0(VALU_DEP_3)
	v_perm_b32 v3, v9, v3, 0x5040100
	v_cndmask_b32_e32 v22, 0, v24, vcc_lo
	v_cmp_gt_i32_e32 vcc_lo, s6, v21
	v_cndmask_b32_e32 v2, 0, v2, vcc_lo
	v_cmp_gt_i32_e32 vcc_lo, s5, v20
	;; [unrolled: 2-line block ×3, first 2 shown]
	v_cndmask_b32_e32 v1, 0, v1, vcc_lo
	v_perm_b32 v2, v22, v2, 0x5040100
	s_delay_alu instid0(VALU_DEP_2)
	v_perm_b32 v1, v20, v1, 0x5040100
	s_branch .LBB84_32
.LBB84_37:
	s_or_b32 exec_lo, exec_lo, s4
.LBB84_38:
	s_delay_alu instid0(SALU_CYCLE_1)
	s_or_b32 exec_lo, exec_lo, s1
	v_and_b32_e32 v2, 0x3c0, v0
	v_lshl_add_u32 v1, v10, 8, 0xa0
	s_mov_b32 s0, exec_lo
	s_waitcnt_vscnt null, 0x0
	s_barrier
	buffer_gl0_inv
	v_cmpx_eq_u32_e32 64, v2
	s_cbranch_execz .LBB84_40
; %bb.39:
	v_add3_u32 v2, v1, v12, 0xfffffe00
	ds_store_2addr_b32 v2, v15, v14 offset1:32
.LBB84_40:
	s_or_b32 exec_lo, exec_lo, s0
	v_lshl_add_u32 v2, v11, 2, v1
	s_mov_b32 s0, exec_lo
	s_waitcnt lgkmcnt(0)
	s_barrier
	buffer_gl0_inv
	v_cmpx_gt_u32_e32 64, v0
	s_cbranch_execz .LBB84_42
; %bb.41:
	v_lshl_or_b32 v3, v0, 2, 0x80
	s_delay_alu instid0(VALU_DEP_1)
	v_add_nc_u32_e32 v3, v1, v3
	ds_load_b32 v4, v2
	ds_load_b32 v3, v3
	s_waitcnt lgkmcnt(0)
	v_dual_add_f32 v15, v15, v4 :: v_dual_add_f32 v14, v14, v3
.LBB84_42:
	s_or_b32 exec_lo, exec_lo, s0
	v_and_b32_e32 v3, 0x3e0, v0
	s_mov_b32 s0, exec_lo
	s_barrier
	buffer_gl0_inv
	v_cmpx_eq_u32_e32 32, v3
	s_cbranch_execz .LBB84_44
; %bb.43:
	v_lshl_add_u32 v3, v11, 2, 0xa0
	ds_store_b32 v3, v15
	ds_store_b32 v13, v14
.LBB84_44:
	s_or_b32 exec_lo, exec_lo, s0
	s_waitcnt lgkmcnt(0)
	s_barrier
	buffer_gl0_inv
	s_and_saveexec_b32 s0, s2
	s_cbranch_execz .LBB84_46
; %bb.45:
	v_lshl_add_u32 v1, v0, 2, v1
	ds_load_b32 v2, v2
	ds_load_b32 v1, v1 offset:128
	s_waitcnt lgkmcnt(0)
	v_dual_add_f32 v15, v15, v2 :: v_dual_add_f32 v14, v14, v1
.LBB84_46:
	s_or_b32 exec_lo, exec_lo, s0
	s_barrier
	buffer_gl0_inv
	s_and_saveexec_b32 s0, s2
	s_cbranch_execz .LBB84_48
; %bb.47:
	s_lshl_b32 s0, s14, 6
	s_mul_i32 s2, s13, s12
	s_ashr_i32 s1, s0, 31
	v_lshlrev_b32_e32 v0, 1, v0
	s_lshl_b64 s[0:1], s[0:1], 1
	;;#ASMSTART
	v_cvt_f16_f32 v1, v15;

	;;#ASMEND
	s_add_u32 s4, s18, s0
	s_addc_u32 s5, s19, s1
	s_ashr_i32 s3, s2, 31
	s_delay_alu instid0(SALU_CYCLE_1) | instskip(NEXT) | instid1(SALU_CYCLE_1)
	s_lshl_b64 s[0:1], s[2:3], 1
	s_add_u32 s2, s4, s0
	s_addc_u32 s3, s5, s1
	s_ashr_i32 s17, s16, 31
	s_delay_alu instid0(SALU_CYCLE_1) | instskip(NEXT) | instid1(SALU_CYCLE_1)
	s_lshl_b64 s[0:1], s[16:17], 1
	s_add_u32 s0, s2, s0
	s_addc_u32 s1, s3, s1
	global_store_b16 v0, v1, s[0:1]
	;;#ASMSTART
	v_cvt_f16_f32 v1, v14;

	;;#ASMEND
	global_store_b16 v0, v1, s[0:1] offset:64
.LBB84_48:
	s_nop 0
	s_sendmsg sendmsg(MSG_DEALLOC_VGPRS)
	s_endpgm
	.section	.rodata,"a",@progbits
	.p2align	6, 0x0
	.amdhsa_kernel _ZN4vllm25paged_attention_v2_kernelIttLi64ELi8ELi128ELNS_18Fp8KVCacheDataTypeE0ELb0ELi512EEEvPfS2_PT_PKS3_PKT0_S9_ifPKiSB_iPKfiiiSD_SD_iiiii
		.amdhsa_group_segment_fixed_size 160
		.amdhsa_private_segment_fixed_size 0
		.amdhsa_kernarg_size 400
		.amdhsa_user_sgpr_count 13
		.amdhsa_user_sgpr_dispatch_ptr 0
		.amdhsa_user_sgpr_queue_ptr 0
		.amdhsa_user_sgpr_kernarg_segment_ptr 1
		.amdhsa_user_sgpr_dispatch_id 0
		.amdhsa_user_sgpr_private_segment_size 0
		.amdhsa_wavefront_size32 1
		.amdhsa_uses_dynamic_stack 0
		.amdhsa_enable_private_segment 0
		.amdhsa_system_sgpr_workgroup_id_x 1
		.amdhsa_system_sgpr_workgroup_id_y 1
		.amdhsa_system_sgpr_workgroup_id_z 1
		.amdhsa_system_sgpr_workgroup_info 0
		.amdhsa_system_vgpr_workitem_id 0
		.amdhsa_next_free_vgpr 45
		.amdhsa_next_free_sgpr 40
		.amdhsa_reserve_vcc 1
		.amdhsa_float_round_mode_32 0
		.amdhsa_float_round_mode_16_64 0
		.amdhsa_float_denorm_mode_32 3
		.amdhsa_float_denorm_mode_16_64 3
		.amdhsa_dx10_clamp 1
		.amdhsa_ieee_mode 1
		.amdhsa_fp16_overflow 0
		.amdhsa_workgroup_processor_mode 1
		.amdhsa_memory_ordered 1
		.amdhsa_forward_progress 0
		.amdhsa_shared_vgpr_count 0
		.amdhsa_exception_fp_ieee_invalid_op 0
		.amdhsa_exception_fp_denorm_src 0
		.amdhsa_exception_fp_ieee_div_zero 0
		.amdhsa_exception_fp_ieee_overflow 0
		.amdhsa_exception_fp_ieee_underflow 0
		.amdhsa_exception_fp_ieee_inexact 0
		.amdhsa_exception_int_div_zero 0
	.end_amdhsa_kernel
	.section	.text._ZN4vllm25paged_attention_v2_kernelIttLi64ELi8ELi128ELNS_18Fp8KVCacheDataTypeE0ELb0ELi512EEEvPfS2_PT_PKS3_PKT0_S9_ifPKiSB_iPKfiiiSD_SD_iiiii,"axG",@progbits,_ZN4vllm25paged_attention_v2_kernelIttLi64ELi8ELi128ELNS_18Fp8KVCacheDataTypeE0ELb0ELi512EEEvPfS2_PT_PKS3_PKT0_S9_ifPKiSB_iPKfiiiSD_SD_iiiii,comdat
.Lfunc_end84:
	.size	_ZN4vllm25paged_attention_v2_kernelIttLi64ELi8ELi128ELNS_18Fp8KVCacheDataTypeE0ELb0ELi512EEEvPfS2_PT_PKS3_PKT0_S9_ifPKiSB_iPKfiiiSD_SD_iiiii, .Lfunc_end84-_ZN4vllm25paged_attention_v2_kernelIttLi64ELi8ELi128ELNS_18Fp8KVCacheDataTypeE0ELb0ELi512EEEvPfS2_PT_PKS3_PKT0_S9_ifPKiSB_iPKfiiiSD_SD_iiiii
                                        ; -- End function
	.section	.AMDGPU.csdata,"",@progbits
; Kernel info:
; codeLenInByte = 5208
; NumSgprs: 42
; NumVgprs: 45
; ScratchSize: 0
; MemoryBound: 0
; FloatMode: 240
; IeeeMode: 1
; LDSByteSize: 160 bytes/workgroup (compile time only)
; SGPRBlocks: 5
; VGPRBlocks: 5
; NumSGPRsForWavesPerEU: 42
; NumVGPRsForWavesPerEU: 45
; Occupancy: 16
; WaveLimiterHint : 1
; COMPUTE_PGM_RSRC2:SCRATCH_EN: 0
; COMPUTE_PGM_RSRC2:USER_SGPR: 13
; COMPUTE_PGM_RSRC2:TRAP_HANDLER: 0
; COMPUTE_PGM_RSRC2:TGID_X_EN: 1
; COMPUTE_PGM_RSRC2:TGID_Y_EN: 1
; COMPUTE_PGM_RSRC2:TGID_Z_EN: 1
; COMPUTE_PGM_RSRC2:TIDIG_COMP_CNT: 0
	.section	.text._ZN4vllm25paged_attention_v2_kernelIttLi80ELi8ELi128ELNS_18Fp8KVCacheDataTypeE0ELb0ELi512EEEvPfS2_PT_PKS3_PKT0_S9_ifPKiSB_iPKfiiiSD_SD_iiiii,"axG",@progbits,_ZN4vllm25paged_attention_v2_kernelIttLi80ELi8ELi128ELNS_18Fp8KVCacheDataTypeE0ELb0ELi512EEEvPfS2_PT_PKS3_PKT0_S9_ifPKiSB_iPKfiiiSD_SD_iiiii,comdat
	.protected	_ZN4vllm25paged_attention_v2_kernelIttLi80ELi8ELi128ELNS_18Fp8KVCacheDataTypeE0ELb0ELi512EEEvPfS2_PT_PKS3_PKT0_S9_ifPKiSB_iPKfiiiSD_SD_iiiii ; -- Begin function _ZN4vllm25paged_attention_v2_kernelIttLi80ELi8ELi128ELNS_18Fp8KVCacheDataTypeE0ELb0ELi512EEEvPfS2_PT_PKS3_PKT0_S9_ifPKiSB_iPKfiiiSD_SD_iiiii
	.globl	_ZN4vllm25paged_attention_v2_kernelIttLi80ELi8ELi128ELNS_18Fp8KVCacheDataTypeE0ELb0ELi512EEEvPfS2_PT_PKS3_PKT0_S9_ifPKiSB_iPKfiiiSD_SD_iiiii
	.p2align	8
	.type	_ZN4vllm25paged_attention_v2_kernelIttLi80ELi8ELi128ELNS_18Fp8KVCacheDataTypeE0ELb0ELi512EEEvPfS2_PT_PKS3_PKT0_S9_ifPKiSB_iPKfiiiSD_SD_iiiii,@function
_ZN4vllm25paged_attention_v2_kernelIttLi80ELi8ELi128ELNS_18Fp8KVCacheDataTypeE0ELb0ELi512EEEvPfS2_PT_PKS3_PKT0_S9_ifPKiSB_iPKfiiiSD_SD_iiiii: ; @_ZN4vllm25paged_attention_v2_kernelIttLi80ELi8ELi128ELNS_18Fp8KVCacheDataTypeE0ELb0ELi512EEEvPfS2_PT_PKS3_PKT0_S9_ifPKiSB_iPKfiiiSD_SD_iiiii
; %bb.0:
	s_load_b64 s[2:3], s[0:1], 0x40
	s_mov_b32 s16, s15
	s_ashr_i32 s15, s14, 31
	s_delay_alu instid0(SALU_CYCLE_1)
	s_lshl_b64 s[4:5], s[14:15], 2
	s_waitcnt lgkmcnt(0)
	s_add_u32 s2, s2, s4
	s_addc_u32 s3, s3, s5
	s_lshl_b32 s33, s16, 9
	s_load_b32 s15, s[2:3], 0x0
	s_waitcnt lgkmcnt(0)
	s_cmp_ge_i32 s33, s15
	s_cbranch_scc1 .LBB85_59
; %bb.1:
	s_mov_b32 s22, s13
	s_clause 0x1
	s_load_b32 s17, s[0:1], 0x90
	s_load_b64 s[12:13], s[0:1], 0x30
	s_mov_b32 s30, 0
	s_waitcnt lgkmcnt(0)
	s_abs_i32 s5, s17
	s_abs_i32 s2, s12
	s_delay_alu instid0(SALU_CYCLE_1) | instskip(SKIP_1) | instid1(VALU_DEP_1)
	v_cvt_f32_u32_e32 v1, s2
	s_sub_i32 s4, 0, s2
	v_rcp_iflag_f32_e32 v1, v1
	s_waitcnt_depctr 0xfff
	v_mul_f32_e32 v1, 0x4f7ffffe, v1
	s_delay_alu instid0(VALU_DEP_1) | instskip(NEXT) | instid1(VALU_DEP_1)
	v_cvt_u32_f32_e32 v1, v1
	v_readfirstlane_b32 s3, v1
	s_delay_alu instid0(VALU_DEP_1) | instskip(NEXT) | instid1(SALU_CYCLE_1)
	s_mul_i32 s4, s4, s3
	s_mul_hi_u32 s4, s3, s4
	s_delay_alu instid0(SALU_CYCLE_1) | instskip(SKIP_4) | instid1(SALU_CYCLE_1)
	s_add_i32 s3, s3, s4
	s_xor_b32 s4, s17, s12
	s_mul_hi_u32 s3, s5, s3
	s_ashr_i32 s4, s4, 31
	s_mul_i32 s6, s3, s2
	s_sub_i32 s5, s5, s6
	s_add_i32 s6, s3, 1
	s_sub_i32 s7, s5, s2
	s_cmp_ge_u32 s5, s2
	s_cselect_b32 s3, s6, s3
	s_cselect_b32 s5, s7, s5
	s_add_i32 s6, s3, 1
	s_cmp_ge_u32 s5, s2
	s_cselect_b32 s2, s6, s3
	s_abs_i32 s10, s22
	s_xor_b32 s2, s2, s4
	s_delay_alu instid0(SALU_CYCLE_1) | instskip(SKIP_2) | instid1(SALU_CYCLE_1)
	s_sub_i32 s11, s2, s4
	s_load_b64 s[2:3], s[0:1], 0x50
	s_abs_i32 s8, s11
	v_cvt_f32_u32_e32 v1, s8
	s_sub_i32 s5, 0, s8
	s_delay_alu instid0(VALU_DEP_1) | instskip(SKIP_2) | instid1(VALU_DEP_1)
	v_rcp_iflag_f32_e32 v1, v1
	s_waitcnt_depctr 0xfff
	v_mul_f32_e32 v1, 0x4f7ffffe, v1
	v_cvt_u32_f32_e32 v1, v1
	s_delay_alu instid0(VALU_DEP_1) | instskip(NEXT) | instid1(VALU_DEP_1)
	v_readfirstlane_b32 s4, v1
	s_mul_i32 s5, s5, s4
	s_delay_alu instid0(SALU_CYCLE_1) | instskip(NEXT) | instid1(SALU_CYCLE_1)
	s_mul_hi_u32 s5, s4, s5
	s_add_i32 s4, s4, s5
	s_waitcnt lgkmcnt(0)
	s_cmp_eq_u64 s[2:3], 0
	s_mul_hi_u32 s9, s10, s4
	s_cbranch_scc1 .LBB85_3
; %bb.2:
	s_ashr_i32 s23, s22, 31
	s_delay_alu instid0(SALU_CYCLE_1) | instskip(NEXT) | instid1(SALU_CYCLE_1)
	s_lshl_b64 s[4:5], s[22:23], 2
	s_add_u32 s2, s2, s4
	s_addc_u32 s3, s3, s5
	s_load_b32 s30, s[2:3], 0x0
.LBB85_3:
	s_load_b128 s[4:7], s[0:1], 0x58
	v_and_b32_e32 v1, 3, v0
	v_lshlrev_b32_e32 v2, 2, v0
	s_ashr_i32 s2, s22, 31
	s_ashr_i32 s3, s11, 31
	s_mul_i32 s18, s22, 0x50
	s_waitcnt lgkmcnt(0)
	s_mov_b32 s7, exec_lo
	v_cmpx_gt_u32_e32 40, v0
	s_cbranch_execz .LBB85_5
; %bb.4:
	s_load_b64 s[20:21], s[0:1], 0x18
	s_mul_i32 s24, s14, s4
	v_and_b32_e32 v4, 0x3fc, v0
	s_ashr_i32 s25, s24, 31
	s_delay_alu instid0(SALU_CYCLE_1) | instskip(NEXT) | instid1(VALU_DEP_1)
	s_lshl_b64 s[24:25], s[24:25], 1
	v_mad_u32_u24 v4, v1, 40, v4
	s_waitcnt lgkmcnt(0)
	s_add_u32 s4, s20, s24
	s_addc_u32 s11, s21, s25
	s_ashr_i32 s19, s18, 31
	s_delay_alu instid0(SALU_CYCLE_1) | instskip(NEXT) | instid1(SALU_CYCLE_1)
	s_lshl_b64 s[20:21], s[18:19], 1
	s_add_u32 s20, s4, s20
	s_addc_u32 s21, s11, s21
	global_load_b32 v3, v2, s[20:21]
	s_waitcnt vmcnt(0)
	ds_store_b32 v4, v3
.LBB85_5:
	s_or_b32 exec_lo, exec_lo, s7
	s_add_i32 s4, s15, 7
	s_clause 0x1
	s_load_b64 s[24:25], s[0:1], 0x38
	s_load_b32 s11, s[0:1], 0x48
	s_ashr_i32 s7, s4, 31
	s_lshl_b32 s12, s16, 6
	s_lshr_b32 s7, s7, 29
	s_xor_b32 s2, s2, s3
	s_add_i32 s4, s4, s7
	s_add_i32 s3, s12, 64
	s_ashr_i32 s4, s4, 3
	s_mul_i32 s7, s9, s8
	s_min_i32 s23, s3, s4
	s_sub_i32 s3, s10, s7
	s_add_i32 s7, s9, 1
	s_sub_i32 s10, s3, s8
	s_cmp_ge_u32 s3, s8
	v_lshrrev_b32_e32 v13, 5, v0
	s_cselect_b32 s7, s7, s9
	s_cselect_b32 s3, s10, s3
	s_add_i32 s9, s7, 1
	s_cmp_ge_u32 s3, s8
	v_or_b32_e32 v8, s12, v13
	s_cselect_b32 s3, s9, s7
	v_mbcnt_lo_u32_b32 v3, -1, 0
	s_xor_b32 s3, s3, s2
	s_waitcnt lgkmcnt(0)
	s_mul_i32 s26, s14, s11
	s_sub_i32 s3, s3, s2
	v_cmp_gt_i32_e64 s2, s23, v8
	s_ashr_i32 s27, s26, 31
	s_mov_b32 s8, exec_lo
	s_barrier
	buffer_gl0_inv
                                        ; implicit-def: $sgpr7
                                        ; implicit-def: $vgpr4
	v_cmpx_le_i32_e64 s23, v8
	s_xor_b32 s8, exec_lo, s8
; %bb.6:
	v_mbcnt_lo_u32_b32 v3, -1, 0
	v_mov_b32_e32 v4, 32
	s_mov_b32 s7, 0xff7fffff
                                        ; implicit-def: $vgpr2
                                        ; implicit-def: $vgpr1
; %bb.7:
	s_or_saveexec_b32 s31, s8
	s_clause 0x3
	s_load_b128 s[8:11], s[0:1], 0x0
	s_load_b64 s[20:21], s[0:1], 0x10
	s_load_b64 s[28:29], s[0:1], 0x28
	s_load_b32 s19, s[0:1], 0x98
	v_mov_b32_e32 v5, s7
	v_ashrrev_i32_e32 v9, 31, v8
	s_mul_i32 s6, s3, s6
	s_xor_b32 exec_lo, exec_lo, s31
	s_cbranch_execz .LBB85_13
; %bb.8:
	s_load_b64 s[34:35], s[0:1], 0x20
	v_bfe_u32 v4, v0, 2, 3
	s_ashr_i32 s7, s6, 31
	v_dual_mov_b32 v16, v8 :: v_dual_lshlrev_b32 v7, 3, v13
	s_lshl_b64 s[36:37], s[6:7], 1
	s_delay_alu instid0(VALU_DEP_2)
	v_lshlrev_b32_e32 v11, 4, v4
	v_and_b32_e32 v5, 12, v2
	v_lshlrev_b32_e32 v2, 2, v4
	v_add3_u32 v7, s33, v7, v4
	v_mul_u32_u24_e32 v6, 40, v1
	v_cmp_eq_u32_e32 vcc_lo, 0, v1
	v_cmp_neq_f32_e64 s0, s30, 0
	v_xor_b32_e32 v14, 2, v3
	v_xor_b32_e32 v15, 1, v3
	s_waitcnt lgkmcnt(0)
	s_add_u32 s1, s34, s36
	s_addc_u32 s3, s35, s37
	v_add_co_u32 v4, s1, s1, v11
	s_delay_alu instid0(VALU_DEP_1) | instskip(SKIP_1) | instid1(VALU_DEP_2)
	v_add_co_ci_u32_e64 v12, null, s3, 0, s1
	s_lshl_b64 s[34:35], s[26:27], 2
	v_add_co_u32 v11, s1, v4, v5
	v_mov_b32_e32 v5, 0xff7fffff
	v_lshl_or_b32 v10, v13, 5, v2
	v_lshlrev_b64 v[1:2], 2, v[8:9]
	s_sub_i32 s7, 1, s15
	s_add_u32 s3, s24, s34
	v_add_co_ci_u32_e64 v12, s1, 0, v12, s1
	s_addc_u32 s34, s25, s35
	s_delay_alu instid0(VALU_DEP_2)
	v_add_co_u32 v1, s1, s3, v1
	v_add_nc_u32_e32 v10, 0xc0, v10
	v_add_co_ci_u32_e64 v2, s1, s34, v2, s1
	v_mov_b32_e32 v4, 32
	s_mov_b32 s35, s5
	s_mov_b32 s34, 0
	s_branch .LBB85_10
.LBB85_9:                               ;   in Loop: Header=BB85_10 Depth=1
	s_or_b32 exec_lo, exec_lo, s3
	v_add_nc_u32_e32 v16, 4, v16
	v_add_co_u32 v1, s3, v1, 16
	v_add_nc_u32_e32 v7, 32, v7
	v_add_nc_u32_e32 v10, 0x80, v10
	s_delay_alu instid0(VALU_DEP_4) | instskip(SKIP_1) | instid1(VALU_DEP_2)
	v_cmp_le_i32_e64 s1, s23, v16
	v_add_co_ci_u32_e64 v2, s3, 0, v2, s3
	s_or_b32 s34, s1, s34
	s_delay_alu instid0(SALU_CYCLE_1)
	s_and_not1_b32 exec_lo, exec_lo, s34
	s_cbranch_execz .LBB85_12
.LBB85_10:                              ; =>This Inner Loop Header: Depth=1
	global_load_b32 v19, v[1:2], off
	s_waitcnt vmcnt(0) lgkmcnt(0)
	v_mad_i64_i32 v[17:18], null, v19, s35, 0
	s_delay_alu instid0(VALU_DEP_1) | instskip(NEXT) | instid1(VALU_DEP_1)
	v_lshlrev_b64 v[17:18], 1, v[17:18]
	v_add_co_u32 v17, s1, v11, v17
	s_delay_alu instid0(VALU_DEP_1)
	v_add_co_ci_u32_e64 v18, s1, v12, v18, s1
	v_cmp_gt_i32_e64 s1, 32, v14
	s_clause 0x9
	global_load_b32 v19, v[17:18], off
	global_load_b32 v20, v[17:18], off offset:128
	global_load_b32 v21, v[17:18], off offset:256
	;; [unrolled: 1-line block ×9, first 2 shown]
	ds_load_b32 v18, v6
	s_waitcnt lgkmcnt(0)
	v_and_b32_e32 v28, 0xffff, v18
	v_lshrrev_b32_e32 v18, 16, v18
	;;#ASMSTART
	v_cvt_f32_f16 v28, v28;
	;;#ASMEND
	;;#ASMSTART
	v_cvt_f32_f16 v18, v18;
	;;#ASMEND
	s_waitcnt vmcnt(9)
	v_and_b32_e32 v29, 0xffff, v19
	v_lshrrev_b32_e32 v19, 16, v19
	;;#ASMSTART
	v_cvt_f32_f16 v29, v29;
	;;#ASMEND
	;;#ASMSTART
	v_cvt_f32_f16 v19, v19;
	;;#ASMEND
	ds_load_b32 v30, v6 offset:4
	s_waitcnt vmcnt(8)
	v_and_b32_e32 v32, 0xffff, v20
	v_lshrrev_b32_e32 v20, 16, v20
	s_waitcnt vmcnt(7)
	v_and_b32_e32 v35, 0xffff, v21
	v_lshrrev_b32_e32 v21, 16, v21
	;; [unrolled: 3-line block ×4, first 2 shown]
	s_waitcnt lgkmcnt(0)
	v_and_b32_e32 v31, 0xffff, v30
	v_lshrrev_b32_e32 v30, 16, v30
	;;#ASMSTART
	v_cvt_f32_f16 v31, v31;
	;;#ASMEND
	;;#ASMSTART
	v_cvt_f32_f16 v30, v30;
	;;#ASMEND
	;; [unrolled: 3-line block ×4, first 2 shown]
	ds_load_b32 v33, v6 offset:8
	v_mul_f32_e32 v31, v31, v32
	s_delay_alu instid0(VALU_DEP_1) | instskip(NEXT) | instid1(VALU_DEP_1)
	v_dual_mul_f32 v20, v30, v20 :: v_dual_fmac_f32 v31, v28, v29
	v_fmac_f32_e32 v20, v18, v19
	s_waitcnt vmcnt(1)
	v_lshrrev_b32_e32 v18, 16, v27
	v_and_b32_e32 v27, 0xffff, v27
	s_waitcnt lgkmcnt(0)
	v_and_b32_e32 v34, 0xffff, v33
	v_lshrrev_b32_e32 v33, 16, v33
	;;#ASMSTART
	v_cvt_f32_f16 v34, v34;
	;;#ASMEND
	;;#ASMSTART
	v_cvt_f32_f16 v33, v33;
	;;#ASMEND
	;; [unrolled: 3-line block ×4, first 2 shown]
	ds_load_b32 v36, v6 offset:12
	v_dual_fmac_f32 v31, v34, v35 :: v_dual_and_b32 v38, 0xffff, v22
	v_lshrrev_b32_e32 v22, 16, v22
	s_waitcnt lgkmcnt(0)
	v_dual_fmac_f32 v20, v33, v21 :: v_dual_and_b32 v37, 0xffff, v36
	v_lshrrev_b32_e32 v36, 16, v36
	;;#ASMSTART
	v_cvt_f32_f16 v37, v37;
	;;#ASMEND
	;;#ASMSTART
	v_cvt_f32_f16 v36, v36;
	;;#ASMEND
	;; [unrolled: 3-line block ×4, first 2 shown]
	ds_load_b32 v39, v6 offset:16
	v_fmac_f32_e32 v31, v37, v38
	v_fmac_f32_e32 v20, v36, v22
	s_waitcnt lgkmcnt(0)
	v_and_b32_e32 v40, 0xffff, v39
	v_lshrrev_b32_e32 v39, 16, v39
	;;#ASMSTART
	v_cvt_f32_f16 v40, v40;
	;;#ASMEND
	;;#ASMSTART
	v_cvt_f32_f16 v39, v39;
	;;#ASMEND
	;; [unrolled: 3-line block ×4, first 2 shown]
	ds_load_b32 v42, v6 offset:20
	v_dual_fmac_f32 v31, v40, v41 :: v_dual_and_b32 v44, 0xffff, v24
	v_lshrrev_b32_e32 v24, 16, v24
	v_fmac_f32_e32 v20, v39, v23
	v_cndmask_b32_e64 v23, v3, v14, s1
	v_cmp_gt_i32_e64 s1, 32, v15
	s_waitcnt lgkmcnt(0)
	v_and_b32_e32 v43, 0xffff, v42
	v_lshrrev_b32_e32 v42, 16, v42
	;;#ASMSTART
	v_cvt_f32_f16 v43, v43;
	;;#ASMEND
	;;#ASMSTART
	v_cvt_f32_f16 v42, v42;
	;;#ASMEND
	;; [unrolled: 3-line block ×4, first 2 shown]
	ds_load_b32 v45, v6 offset:24
	v_fmac_f32_e32 v31, v43, v44
	v_fmac_f32_e32 v20, v42, v24
	s_waitcnt vmcnt(0)
	v_lshrrev_b32_e32 v24, 16, v17
	v_and_b32_e32 v17, 0xffff, v17
	s_waitcnt lgkmcnt(0)
	v_and_b32_e32 v46, 0xffff, v45
	v_lshrrev_b32_e32 v45, 16, v45
	;;#ASMSTART
	v_cvt_f32_f16 v46, v46;
	;;#ASMEND
	;;#ASMSTART
	v_cvt_f32_f16 v45, v45;
	;;#ASMEND
	;; [unrolled: 3-line block ×4, first 2 shown]
	ds_load_b32 v48, v6 offset:28
	v_dual_fmac_f32 v31, v46, v47 :: v_dual_and_b32 v50, 0xffff, v26
	v_lshrrev_b32_e32 v26, 16, v26
	s_waitcnt lgkmcnt(0)
	v_dual_fmac_f32 v20, v45, v25 :: v_dual_and_b32 v49, 0xffff, v48
	v_lshrrev_b32_e32 v48, 16, v48
	;;#ASMSTART
	v_cvt_f32_f16 v49, v49;
	;;#ASMEND
	;;#ASMSTART
	v_cvt_f32_f16 v48, v48;
	;;#ASMEND
	;; [unrolled: 3-line block ×4, first 2 shown]
	ds_load_b32 v51, v6 offset:32
	v_fmac_f32_e32 v20, v48, v26
	v_fmac_f32_e32 v31, v49, v50
	s_waitcnt lgkmcnt(0)
	v_and_b32_e32 v19, 0xffff, v51
	v_lshrrev_b32_e32 v21, 16, v51
	;;#ASMSTART
	v_cvt_f32_f16 v19, v19;
	;;#ASMEND
	;;#ASMSTART
	v_cvt_f32_f16 v21, v21;
	;;#ASMEND
	;; [unrolled: 3-line block ×4, first 2 shown]
	v_fmac_f32_e32 v20, v21, v18
	ds_load_b32 v27, v6 offset:36
	v_fmac_f32_e32 v31, v19, v22
	s_waitcnt lgkmcnt(0)
	v_and_b32_e32 v25, 0xffff, v27
	v_lshrrev_b32_e32 v26, 16, v27
	;;#ASMSTART
	v_cvt_f32_f16 v18, v25;
	;;#ASMEND
	;;#ASMSTART
	v_cvt_f32_f16 v19, v26;
	;;#ASMEND
	;; [unrolled: 3-line block ×4, first 2 shown]
	v_fmac_f32_e32 v31, v18, v17
	v_dual_fmac_f32 v20, v19, v21 :: v_dual_lshlrev_b32 v17, 2, v23
	v_cndmask_b32_e64 v19, v3, v15, s1
	s_delay_alu instid0(VALU_DEP_2)
	v_add_f32_e32 v18, v31, v20
	ds_bpermute_b32 v17, v17, v18
	s_waitcnt lgkmcnt(0)
	v_dual_add_f32 v17, v18, v17 :: v_dual_lshlrev_b32 v18, 2, v19
	ds_bpermute_b32 v18, v18, v17
	s_and_saveexec_b32 s3, vcc_lo
	s_cbranch_execz .LBB85_9
; %bb.11:                               ;   in Loop: Header=BB85_10 Depth=1
	s_waitcnt lgkmcnt(0)
	v_add_f32_e32 v17, v17, v18
	v_add_nc_u32_e32 v19, s7, v7
	v_cmp_gt_i32_e64 s1, s15, v7
	s_delay_alu instid0(VALU_DEP_2) | instskip(NEXT) | instid1(VALU_DEP_1)
	v_cvt_f32_i32_e32 v19, v19
	v_mul_f32_e32 v19, s30, v19
	s_delay_alu instid0(VALU_DEP_1) | instskip(SKIP_1) | instid1(VALU_DEP_2)
	v_cndmask_b32_e64 v18, 0, v19, s0
	v_max_f32_e32 v19, v5, v5
	v_fmac_f32_e32 v18, s13, v17
	s_delay_alu instid0(VALU_DEP_1) | instskip(SKIP_1) | instid1(VALU_DEP_2)
	v_max_f32_e32 v17, v19, v18
	v_cndmask_b32_e64 v18, 0, v18, s1
	v_cndmask_b32_e64 v5, v5, v17, s1
	ds_store_b32 v10, v18
	s_branch .LBB85_9
.LBB85_12:
	s_or_b32 exec_lo, exec_lo, s34
.LBB85_13:
	s_delay_alu instid0(SALU_CYCLE_1) | instskip(SKIP_3) | instid1(VALU_DEP_3)
	s_or_b32 exec_lo, exec_lo, s31
	v_xor_b32_e32 v1, 16, v3
	v_xor_b32_e32 v6, 8, v3
	v_dual_max_f32 v7, v5, v5 :: v_dual_and_b32 v14, 31, v0
	v_cmp_lt_i32_e32 vcc_lo, v1, v4
	v_cndmask_b32_e32 v1, v3, v1, vcc_lo
	s_delay_alu instid0(VALU_DEP_4) | instskip(NEXT) | instid1(VALU_DEP_2)
	v_cmp_lt_i32_e32 vcc_lo, v6, v4
	v_lshlrev_b32_e32 v2, 2, v1
	ds_bpermute_b32 v1, v2, v5
	v_cndmask_b32_e32 v5, v3, v6, vcc_lo
	s_delay_alu instid0(VALU_DEP_1) | instskip(SKIP_2) | instid1(VALU_DEP_1)
	v_lshlrev_b32_e32 v5, 2, v5
	s_waitcnt lgkmcnt(0)
	v_max_f32_e32 v1, v1, v1
	v_max_f32_e32 v1, v7, v1
	v_xor_b32_e32 v7, 4, v3
	ds_bpermute_b32 v6, v5, v1
	v_cmp_lt_i32_e32 vcc_lo, v7, v4
	v_cndmask_b32_e32 v7, v3, v7, vcc_lo
	v_cmp_eq_u32_e32 vcc_lo, 0, v14
	s_waitcnt lgkmcnt(0)
	v_max_f32_e32 v6, v6, v6
	s_delay_alu instid0(VALU_DEP_1)
	v_dual_max_f32 v1, v1, v6 :: v_dual_lshlrev_b32 v6, 2, v13
	v_lshlrev_b32_e32 v7, 2, v7
	ds_bpermute_b32 v10, v7, v1
	s_and_saveexec_b32 s0, vcc_lo
	s_cbranch_execz .LBB85_15
; %bb.14:
	s_waitcnt lgkmcnt(0)
	v_dual_max_f32 v10, v10, v10 :: v_dual_max_f32 v1, v1, v1
	s_delay_alu instid0(VALU_DEP_1)
	v_max_f32_e32 v1, v1, v10
	ds_store_b32 v6, v1 offset:160
.LBB85_15:
	s_or_b32 exec_lo, exec_lo, s0
	v_cmp_gt_u32_e64 s0, 4, v14
	v_mov_b32_e32 v1, 0xff7fffff
	v_lshlrev_b32_e32 v15, 2, v14
	s_waitcnt lgkmcnt(0)
	s_barrier
	buffer_gl0_inv
	s_and_saveexec_b32 s1, s0
	s_cbranch_execz .LBB85_17
; %bb.16:
	ds_load_b32 v1, v15 offset:160
.LBB85_17:
	s_or_b32 exec_lo, exec_lo, s1
	v_xor_b32_e32 v10, 2, v3
	v_xor_b32_e32 v12, 1, v3
	s_delay_alu instid0(VALU_DEP_2) | instskip(NEXT) | instid1(VALU_DEP_1)
	v_cmp_lt_i32_e64 s1, v10, v4
	v_cndmask_b32_e64 v10, v3, v10, s1
	s_delay_alu instid0(VALU_DEP_3) | instskip(NEXT) | instid1(VALU_DEP_2)
	v_cmp_lt_i32_e64 s1, v12, v4
	v_lshlrev_b32_e32 v10, 2, v10
	s_delay_alu instid0(VALU_DEP_2)
	v_cndmask_b32_e64 v4, v3, v12, s1
	v_lshlrev_b32_e32 v3, 2, v3
	s_sub_i32 s1, s23, s12
	v_mov_b32_e32 v12, 0
	s_waitcnt lgkmcnt(0)
	ds_bpermute_b32 v11, v10, v1
	v_dual_max_f32 v1, v1, v1 :: v_dual_lshlrev_b32 v4, 2, v4
	s_lshl_b32 s1, s1, 3
	s_delay_alu instid0(SALU_CYCLE_1) | instskip(NEXT) | instid1(SALU_CYCLE_1)
	s_add_i32 s1, s1, s33
	s_min_i32 s1, s1, s15
	s_delay_alu instid0(SALU_CYCLE_1) | instskip(NEXT) | instid1(SALU_CYCLE_1)
	s_sub_i32 s7, s1, s33
	v_cmp_gt_i32_e64 s1, s7, v0
	s_waitcnt lgkmcnt(0)
	v_max_f32_e32 v11, v11, v11
	s_delay_alu instid0(VALU_DEP_1) | instskip(SKIP_3) | instid1(VALU_DEP_1)
	v_max_f32_e32 v1, v1, v11
	ds_bpermute_b32 v11, v4, v1
	s_waitcnt lgkmcnt(0)
	v_max_f32_e32 v11, v11, v11
	v_max_f32_e32 v1, v1, v11
	v_and_b32_e32 v11, 0xffffff80, v3
	v_lshl_add_u32 v3, v0, 2, 0xc0
	ds_bpermute_b32 v1, v11, v1
	s_and_saveexec_b32 s12, s1
	s_cbranch_execz .LBB85_21
; %bb.18:
	v_lshl_add_u32 v16, v0, 2, 0xc0
	v_dual_mov_b32 v12, 0 :: v_dual_mov_b32 v17, v0
	s_mov_b32 s13, 0
	.p2align	6
.LBB85_19:                              ; =>This Inner Loop Header: Depth=1
	ds_load_b32 v18, v16
	s_waitcnt lgkmcnt(0)
	v_sub_f32_e32 v18, v18, v1
	s_delay_alu instid0(VALU_DEP_1) | instskip(NEXT) | instid1(VALU_DEP_1)
	v_mul_f32_e32 v18, 0x3fb8aa3b, v18
	v_exp_f32_e32 v18, v18
	s_waitcnt_depctr 0xfff
	v_dual_add_f32 v12, v12, v18 :: v_dual_add_nc_u32 v17, 0x80, v17
	s_delay_alu instid0(VALU_DEP_1) | instskip(SKIP_3) | instid1(SALU_CYCLE_1)
	v_cmp_le_i32_e64 s3, s7, v17
	ds_store_b32 v16, v18
	v_add_nc_u32_e32 v16, 0x200, v16
	s_or_b32 s13, s3, s13
	s_and_not1_b32 exec_lo, exec_lo, s13
	s_cbranch_execnz .LBB85_19
; %bb.20:
	s_or_b32 exec_lo, exec_lo, s13
.LBB85_21:
	s_delay_alu instid0(SALU_CYCLE_1)
	s_or_b32 exec_lo, exec_lo, s12
	ds_bpermute_b32 v2, v2, v12
	s_waitcnt lgkmcnt(0)
	v_add_f32_e32 v2, v12, v2
	ds_bpermute_b32 v5, v5, v2
	s_waitcnt lgkmcnt(0)
	v_add_f32_e32 v2, v2, v5
	;; [unrolled: 3-line block ×5, first 2 shown]
	s_and_saveexec_b32 s3, vcc_lo
	s_cbranch_execz .LBB85_23
; %bb.22:
	ds_store_b32 v6, v2 offset:176
.LBB85_23:
	s_or_b32 exec_lo, exec_lo, s3
	s_waitcnt lgkmcnt(0)
	s_barrier
	buffer_gl0_inv
	s_and_saveexec_b32 s3, s0
	s_cbranch_execz .LBB85_25
; %bb.24:
	ds_load_b32 v2, v15 offset:176
.LBB85_25:
	s_or_b32 exec_lo, exec_lo, s3
	s_waitcnt lgkmcnt(0)
	ds_bpermute_b32 v5, v10, v2
	s_waitcnt lgkmcnt(0)
	v_add_f32_e32 v2, v2, v5
	ds_bpermute_b32 v4, v4, v2
	s_waitcnt lgkmcnt(0)
	v_add_f32_e32 v2, v2, v4
	ds_bpermute_b32 v2, v11, v2
	s_and_saveexec_b32 s0, s1
	s_cbranch_execz .LBB85_28
; %bb.26:
	s_waitcnt lgkmcnt(0)
	v_add_f32_e32 v4, 0x358637bd, v2
	s_mov_b32 s1, 0
	s_delay_alu instid0(VALU_DEP_1) | instskip(SKIP_1) | instid1(VALU_DEP_2)
	v_div_scale_f32 v5, null, v4, v4, 1.0
	v_div_scale_f32 v10, vcc_lo, 1.0, v4, 1.0
	v_rcp_f32_e32 v6, v5
	s_waitcnt_depctr 0xfff
	v_fma_f32 v7, -v5, v6, 1.0
	s_delay_alu instid0(VALU_DEP_1) | instskip(NEXT) | instid1(VALU_DEP_1)
	v_fmac_f32_e32 v6, v7, v6
	v_mul_f32_e32 v7, v10, v6
	s_delay_alu instid0(VALU_DEP_1) | instskip(NEXT) | instid1(VALU_DEP_1)
	v_fma_f32 v11, -v5, v7, v10
	v_fmac_f32_e32 v7, v11, v6
	s_delay_alu instid0(VALU_DEP_1) | instskip(NEXT) | instid1(VALU_DEP_1)
	v_fma_f32 v5, -v5, v7, v10
	v_div_fmas_f32 v5, v5, v6, v7
	s_delay_alu instid0(VALU_DEP_1)
	v_div_fixup_f32 v4, v5, v4, 1.0
	v_mov_b32_e32 v5, v0
.LBB85_27:                              ; =>This Inner Loop Header: Depth=1
	ds_load_b32 v6, v3
	s_waitcnt lgkmcnt(0)
	v_dual_mul_f32 v6, v4, v6 :: v_dual_add_nc_u32 v5, 0x80, v5
	s_delay_alu instid0(VALU_DEP_1) | instskip(SKIP_3) | instid1(SALU_CYCLE_1)
	v_cmp_le_i32_e32 vcc_lo, s7, v5
	ds_store_b32 v3, v6
	v_add_nc_u32_e32 v3, 0x200, v3
	s_or_b32 s1, vcc_lo, s1
	s_and_not1_b32 exec_lo, exec_lo, s1
	s_cbranch_execnz .LBB85_27
.LBB85_28:
	s_or_b32 exec_lo, exec_lo, s0
	s_mul_i32 s0, s19, s14
	s_mov_b32 s12, 0
	s_mul_i32 s30, s0, s17
	s_mov_b32 s0, exec_lo
	s_waitcnt lgkmcnt(0)
	s_barrier
	buffer_gl0_inv
	v_cmpx_eq_u32_e32 0, v0
	s_cbranch_execz .LBB85_30
; %bb.29:
	s_ashr_i32 s31, s30, 31
	s_mul_i32 s36, s19, s22
	s_lshl_b64 s[34:35], s[30:31], 2
	v_mov_b32_e32 v3, 0
	s_add_u32 s1, s10, s34
	s_addc_u32 s3, s11, s35
	s_ashr_i32 s37, s36, 31
	s_delay_alu instid0(SALU_CYCLE_1) | instskip(NEXT) | instid1(SALU_CYCLE_1)
	s_lshl_b64 s[10:11], s[36:37], 2
	s_add_u32 s1, s1, s10
	s_addc_u32 s3, s3, s11
	s_ashr_i32 s17, s16, 31
	s_delay_alu instid0(SALU_CYCLE_1) | instskip(NEXT) | instid1(SALU_CYCLE_1)
	s_lshl_b64 s[36:37], s[16:17], 2
	s_add_u32 s38, s1, s36
	s_addc_u32 s39, s3, s37
	s_add_u32 s1, s8, s34
	s_addc_u32 s3, s9, s35
	;; [unrolled: 2-line block ×4, first 2 shown]
	s_clause 0x1
	global_store_b32 v3, v1, s[38:39]
	global_store_b32 v3, v2, s[8:9]
.LBB85_30:
	s_or_b32 exec_lo, exec_lo, s0
	s_mov_b32 s13, s12
	s_mov_b32 s14, s12
	v_dual_mov_b32 v5, s12 :: v_dual_mov_b32 v6, s13
	v_mov_b32_e32 v7, s14
	v_or_b32_e32 v16, 64, v14
	s_and_saveexec_b32 s3, s2
	s_cbranch_execz .LBB85_42
; %bb.31:
	s_ashr_i32 s7, s6, 31
	v_lshlrev_b64 v[1:2], 2, v[8:9]
	s_lshl_b64 s[0:1], s[6:7], 1
	s_mov_b32 s2, s5
	s_add_u32 s7, s28, s0
	s_addc_u32 s8, s29, s1
	s_add_i32 s9, s4, -1
	s_mov_b32 s4, 0
	s_lshl_b64 s[0:1], s[26:27], 2
	s_mov_b32 s5, s4
	s_mov_b32 s6, s4
	v_lshlrev_b32_e32 v3, 3, v14
	v_dual_mov_b32 v7, s6 :: v_dual_lshlrev_b32 v4, 3, v16
	s_add_u32 s0, s24, s0
	s_addc_u32 s1, s25, s1
	v_add_co_u32 v9, s0, s0, v1
	v_cmp_gt_u32_e32 vcc_lo, 0x50, v16
	v_lshl_add_u32 v17, v13, 3, s33
	v_lshl_add_u32 v18, v13, 5, 0xc0
	v_add_co_ci_u32_e64 v10, s0, s1, v2, s0
	v_dual_mov_b32 v6, s5 :: v_dual_mov_b32 v5, s4
	v_lshlrev_b32_e32 v20, 1, v4
	v_lshlrev_b32_e32 v19, 1, v3
	s_mov_b32 s10, s15
	s_mov_b32 s11, s15
	;; [unrolled: 1-line block ×7, first 2 shown]
	s_branch .LBB85_34
.LBB85_32:                              ;   in Loop: Header=BB85_34 Depth=1
	s_or_b32 exec_lo, exec_lo, s1
	s_waitcnt vmcnt(0)
	;;#ASMSTART
	v_pk_mul_f16 v1, v26, v1;

	;;#ASMEND
	;;#ASMSTART
	v_pk_mul_f16 v2, v25, v2;

	;;#ASMEND
	;; [unrolled: 4-line block ×4, first 2 shown]
	;;#ASMSTART
	v_pk_add_f16 v1, v1, v2;

	;;#ASMEND
	;;#ASMSTART
	v_pk_add_f16 v1, v1, v3;

	;;#ASMEND
	;; [unrolled: 4-line block ×3, first 2 shown]
	v_and_b32_e32 v2, 0xffff, v1
	v_lshrrev_b32_e32 v1, 16, v1
	;;#ASMSTART
	v_cvt_f32_f16 v2, v2;
	;;#ASMEND
	;;#ASMSTART
	v_cvt_f32_f16 v1, v1;
	;;#ASMEND
	s_delay_alu instid0(VALU_DEP_1) | instskip(NEXT) | instid1(VALU_DEP_1)
	v_add_f32_e32 v1, v2, v1
	v_add_f32_e32 v7, v7, v1
.LBB85_33:                              ;   in Loop: Header=BB85_34 Depth=1
	s_or_b32 exec_lo, exec_lo, s17
	v_add_nc_u32_e32 v8, 4, v8
	v_add_co_u32 v9, s1, v9, 16
	v_add_nc_u32_e32 v17, 32, v17
	v_add_nc_u32_e32 v18, 0x80, v18
	s_delay_alu instid0(VALU_DEP_4) | instskip(SKIP_1) | instid1(VALU_DEP_2)
	v_cmp_le_i32_e64 s0, s23, v8
	v_add_co_ci_u32_e64 v10, s1, 0, v10, s1
	s_or_b32 s4, s0, s4
	s_delay_alu instid0(SALU_CYCLE_1)
	s_and_not1_b32 exec_lo, exec_lo, s4
	s_cbranch_execz .LBB85_41
.LBB85_34:                              ; =>This Inner Loop Header: Depth=1
	global_load_b32 v21, v[9:10], off
	ds_load_2addr_b64 v[1:4], v18 offset1:1
	ds_load_2addr_b64 v[29:32], v18 offset0:2 offset1:3
	s_waitcnt lgkmcnt(1)
	;;#ASMSTART
	v_cvt_f16_f32 v25, v1;

	;;#ASMEND
	;;#ASMSTART
	v_cvt_f16_f32 v23, v2;

	;;#ASMEND
	;;#ASMSTART
	v_cvt_f16_f32 v26, v3;

	;;#ASMEND
	;;#ASMSTART
	v_cvt_f16_f32 v24, v4;

	;;#ASMEND
	s_waitcnt lgkmcnt(0)
	;;#ASMSTART
	v_cvt_f16_f32 v29, v29;

	;;#ASMEND
	;;#ASMSTART
	v_cvt_f16_f32 v27, v30;

	;;#ASMEND
	;;#ASMSTART
	v_cvt_f16_f32 v30, v31;

	;;#ASMEND
	;;#ASMSTART
	v_cvt_f16_f32 v28, v32;

	;;#ASMEND
	s_waitcnt vmcnt(0)
	v_mad_i64_i32 v[11:12], null, v21, s2, 0
	s_delay_alu instid0(VALU_DEP_1) | instskip(NEXT) | instid1(VALU_DEP_1)
	v_lshlrev_b64 v[11:12], 1, v[11:12]
	v_add_co_u32 v21, s0, s7, v11
	s_delay_alu instid0(VALU_DEP_1) | instskip(NEXT) | instid1(VALU_DEP_2)
	v_add_co_ci_u32_e64 v22, s0, s8, v12, s0
	v_add_co_u32 v11, s0, v21, v19
	s_delay_alu instid0(VALU_DEP_1)
	v_add_co_ci_u32_e64 v12, s0, 0, v22, s0
	v_cmp_eq_u32_e64 s0, s9, v8
	global_load_b128 v[1:4], v[11:12], off
	s_and_saveexec_b32 s17, s0
	s_cbranch_execz .LBB85_36
; %bb.35:                               ;   in Loop: Header=BB85_34 Depth=1
	v_or_b32_e32 v35, 7, v17
	s_waitcnt vmcnt(0)
	v_lshrrev_b32_e32 v36, 16, v4
	v_or_b32_e32 v37, 6, v17
	v_or_b32_e32 v34, 5, v17
	;; [unrolled: 1-line block ×3, first 2 shown]
	v_cmp_gt_i32_e64 s1, s14, v35
	v_lshrrev_b32_e32 v39, 16, v3
	v_or_b32_e32 v32, 3, v17
	v_or_b32_e32 v33, 2, v17
	v_add_nc_u32_e32 v31, 1, v17
	v_cndmask_b32_e64 v35, 0, v36, s1
	v_cmp_gt_i32_e64 s1, s6, v37
	v_lshrrev_b32_e32 v36, 16, v2
	v_lshrrev_b32_e32 v37, 16, v1
	s_delay_alu instid0(VALU_DEP_3) | instskip(SKIP_1) | instid1(VALU_DEP_2)
	v_cndmask_b32_e64 v4, 0, v4, s1
	v_cmp_gt_i32_e64 s1, s5, v34
	v_perm_b32 v4, v35, v4, 0x5040100
	s_delay_alu instid0(VALU_DEP_2) | instskip(SKIP_1) | instid1(VALU_DEP_1)
	v_cndmask_b32_e64 v34, 0, v39, s1
	v_cmp_gt_i32_e64 s1, s13, v38
	v_cndmask_b32_e64 v3, 0, v3, s1
	v_cmp_gt_i32_e64 s1, s12, v32
	s_delay_alu instid0(VALU_DEP_2) | instskip(NEXT) | instid1(VALU_DEP_2)
	v_perm_b32 v3, v34, v3, 0x5040100
	v_cndmask_b32_e64 v32, 0, v36, s1
	v_cmp_gt_i32_e64 s1, s11, v33
	s_delay_alu instid0(VALU_DEP_1) | instskip(SKIP_1) | instid1(VALU_DEP_2)
	v_cndmask_b32_e64 v2, 0, v2, s1
	v_cmp_gt_i32_e64 s1, s10, v31
	v_perm_b32 v2, v32, v2, 0x5040100
	s_delay_alu instid0(VALU_DEP_2) | instskip(SKIP_1) | instid1(VALU_DEP_1)
	v_cndmask_b32_e64 v31, 0, v37, s1
	v_cmp_gt_i32_e64 s1, s15, v17
	v_cndmask_b32_e64 v1, 0, v1, s1
	s_delay_alu instid0(VALU_DEP_1)
	v_perm_b32 v1, v31, v1, 0x5040100
.LBB85_36:                              ;   in Loop: Header=BB85_34 Depth=1
	s_or_b32 exec_lo, exec_lo, s17
	v_and_b32_e32 v25, 0xffff, v25
	v_and_b32_e32 v31, 0xffff, v26
	v_and_b32_e32 v29, 0xffff, v29
	v_and_b32_e32 v30, 0xffff, v30
	s_delay_alu instid0(VALU_DEP_4)
	v_lshl_or_b32 v26, v23, 16, v25
	s_waitcnt vmcnt(0)
	;;#ASMSTART
	v_pk_mul_f16 v1, v26, v1;

	;;#ASMEND
	v_lshl_or_b32 v25, v24, 16, v31
	v_lshl_or_b32 v24, v27, 16, v29
	;; [unrolled: 1-line block ×3, first 2 shown]
	;;#ASMSTART
	v_pk_mul_f16 v2, v25, v2;

	;;#ASMEND
	;;#ASMSTART
	v_pk_mul_f16 v3, v24, v3;

	;;#ASMEND
	;; [unrolled: 4-line block ×3, first 2 shown]
	;;#ASMSTART
	v_pk_add_f16 v1, v1, v2;

	;;#ASMEND
	;;#ASMSTART
	v_pk_add_f16 v1, v1, v3;

	;;#ASMEND
	;; [unrolled: 4-line block ×3, first 2 shown]
	v_and_b32_e32 v2, 0xffff, v1
	v_lshrrev_b32_e32 v1, 16, v1
	;;#ASMSTART
	v_cvt_f32_f16 v27, v2;
	;;#ASMEND
	;;#ASMSTART
	v_cvt_f32_f16 v28, v1;
	;;#ASMEND
	global_load_b128 v[1:4], v[11:12], off offset:512
	s_and_saveexec_b32 s17, s0
	s_cbranch_execz .LBB85_38
; %bb.37:                               ;   in Loop: Header=BB85_34 Depth=1
	v_or_b32_e32 v31, 7, v17
	s_waitcnt vmcnt(0)
	v_lshrrev_b32_e32 v32, 16, v4
	v_or_b32_e32 v33, 6, v17
	v_or_b32_e32 v30, 5, v17
	;; [unrolled: 1-line block ×3, first 2 shown]
	v_cmp_gt_i32_e64 s1, s14, v31
	v_lshrrev_b32_e32 v35, 16, v3
	v_or_b32_e32 v12, 3, v17
	v_or_b32_e32 v29, 2, v17
	v_add_nc_u32_e32 v11, 1, v17
	v_cndmask_b32_e64 v31, 0, v32, s1
	v_cmp_gt_i32_e64 s1, s6, v33
	v_lshrrev_b32_e32 v32, 16, v2
	v_lshrrev_b32_e32 v33, 16, v1
	s_delay_alu instid0(VALU_DEP_3) | instskip(SKIP_1) | instid1(VALU_DEP_2)
	v_cndmask_b32_e64 v4, 0, v4, s1
	v_cmp_gt_i32_e64 s1, s5, v30
	v_perm_b32 v4, v31, v4, 0x5040100
	s_delay_alu instid0(VALU_DEP_2) | instskip(SKIP_1) | instid1(VALU_DEP_1)
	v_cndmask_b32_e64 v30, 0, v35, s1
	v_cmp_gt_i32_e64 s1, s13, v34
	v_cndmask_b32_e64 v3, 0, v3, s1
	v_cmp_gt_i32_e64 s1, s12, v12
	s_delay_alu instid0(VALU_DEP_2) | instskip(NEXT) | instid1(VALU_DEP_2)
	v_perm_b32 v3, v30, v3, 0x5040100
	v_cndmask_b32_e64 v12, 0, v32, s1
	v_cmp_gt_i32_e64 s1, s11, v29
	s_delay_alu instid0(VALU_DEP_1) | instskip(SKIP_1) | instid1(VALU_DEP_2)
	v_cndmask_b32_e64 v2, 0, v2, s1
	v_cmp_gt_i32_e64 s1, s10, v11
	v_perm_b32 v2, v12, v2, 0x5040100
	s_delay_alu instid0(VALU_DEP_2) | instskip(SKIP_1) | instid1(VALU_DEP_1)
	v_cndmask_b32_e64 v11, 0, v33, s1
	v_cmp_gt_i32_e64 s1, s15, v17
	v_cndmask_b32_e64 v1, 0, v1, s1
	s_delay_alu instid0(VALU_DEP_1)
	v_perm_b32 v1, v11, v1, 0x5040100
.LBB85_38:                              ;   in Loop: Header=BB85_34 Depth=1
	s_or_b32 exec_lo, exec_lo, s17
	s_waitcnt vmcnt(0)
	;;#ASMSTART
	v_pk_mul_f16 v1, v26, v1;

	;;#ASMEND
	;;#ASMSTART
	v_pk_mul_f16 v2, v25, v2;

	;;#ASMEND
	;; [unrolled: 4-line block ×4, first 2 shown]
	;;#ASMSTART
	v_pk_add_f16 v1, v1, v2;

	;;#ASMEND
	;;#ASMSTART
	v_pk_add_f16 v1, v1, v3;

	;;#ASMEND
	;; [unrolled: 4-line block ×3, first 2 shown]
	v_dual_add_f32 v3, v27, v28 :: v_dual_and_b32 v2, 0xffff, v1
	v_lshrrev_b32_e32 v1, 16, v1
	;;#ASMSTART
	v_cvt_f32_f16 v2, v2;
	;;#ASMEND
	;;#ASMSTART
	v_cvt_f32_f16 v1, v1;
	;;#ASMEND
	s_delay_alu instid0(VALU_DEP_1) | instskip(NEXT) | instid1(VALU_DEP_1)
	v_add_f32_e32 v1, v2, v1
	v_dual_add_f32 v5, v5, v3 :: v_dual_add_f32 v6, v6, v1
	s_and_saveexec_b32 s17, vcc_lo
	s_cbranch_execz .LBB85_33
; %bb.39:                               ;   in Loop: Header=BB85_34 Depth=1
	v_add_co_u32 v1, s1, v21, v20
	s_delay_alu instid0(VALU_DEP_1)
	v_add_co_ci_u32_e64 v2, s1, 0, v22, s1
	global_load_b128 v[1:4], v[1:2], off
	s_and_saveexec_b32 s1, s0
	s_cbranch_execz .LBB85_32
; %bb.40:                               ;   in Loop: Header=BB85_34 Depth=1
	v_or_b32_e32 v27, 7, v17
	s_waitcnt vmcnt(0)
	v_lshrrev_b32_e32 v28, 16, v4
	v_or_b32_e32 v29, 6, v17
	v_or_b32_e32 v22, 5, v17
	;; [unrolled: 1-line block ×3, first 2 shown]
	v_cmp_gt_i32_e64 s0, s14, v27
	v_lshrrev_b32_e32 v31, 16, v3
	v_or_b32_e32 v12, 3, v17
	v_or_b32_e32 v21, 2, v17
	v_add_nc_u32_e32 v11, 1, v17
	v_cndmask_b32_e64 v27, 0, v28, s0
	v_cmp_gt_i32_e64 s0, s6, v29
	v_lshrrev_b32_e32 v28, 16, v2
	v_lshrrev_b32_e32 v29, 16, v1
	s_delay_alu instid0(VALU_DEP_3) | instskip(SKIP_1) | instid1(VALU_DEP_2)
	v_cndmask_b32_e64 v4, 0, v4, s0
	v_cmp_gt_i32_e64 s0, s5, v22
	v_perm_b32 v4, v27, v4, 0x5040100
	s_delay_alu instid0(VALU_DEP_2) | instskip(SKIP_1) | instid1(VALU_DEP_1)
	v_cndmask_b32_e64 v22, 0, v31, s0
	v_cmp_gt_i32_e64 s0, s13, v30
	v_cndmask_b32_e64 v3, 0, v3, s0
	v_cmp_gt_i32_e64 s0, s12, v12
	s_delay_alu instid0(VALU_DEP_2) | instskip(NEXT) | instid1(VALU_DEP_2)
	v_perm_b32 v3, v22, v3, 0x5040100
	v_cndmask_b32_e64 v12, 0, v28, s0
	v_cmp_gt_i32_e64 s0, s11, v21
	s_delay_alu instid0(VALU_DEP_1) | instskip(SKIP_1) | instid1(VALU_DEP_2)
	v_cndmask_b32_e64 v2, 0, v2, s0
	v_cmp_gt_i32_e64 s0, s10, v11
	v_perm_b32 v2, v12, v2, 0x5040100
	s_delay_alu instid0(VALU_DEP_2) | instskip(SKIP_1) | instid1(VALU_DEP_1)
	v_cndmask_b32_e64 v11, 0, v29, s0
	v_cmp_gt_i32_e64 s0, s15, v17
	v_cndmask_b32_e64 v1, 0, v1, s0
	s_delay_alu instid0(VALU_DEP_1)
	v_perm_b32 v1, v11, v1, 0x5040100
	s_branch .LBB85_32
.LBB85_41:
	s_or_b32 exec_lo, exec_lo, s4
.LBB85_42:
	s_delay_alu instid0(SALU_CYCLE_1)
	s_or_b32 exec_lo, exec_lo, s3
	s_movk_i32 s0, 0x140
	v_and_b32_e32 v2, 0x3c0, v0
	v_mad_u32_u24 v1, v13, s0, 0xc0
	s_mov_b32 s0, exec_lo
	s_waitcnt_vscnt null, 0x0
	s_barrier
	buffer_gl0_inv
	v_cmpx_eq_u32_e32 64, v2
	s_cbranch_execz .LBB85_45
; %bb.43:
	v_add3_u32 v2, v1, v15, 0xfffffd80
	v_cmp_gt_u32_e32 vcc_lo, 0x50, v16
	ds_store_2addr_b32 v2, v5, v6 offset1:32
	s_and_b32 exec_lo, exec_lo, vcc_lo
	s_cbranch_execz .LBB85_45
; %bb.44:
	ds_store_b32 v2, v7 offset:256
.LBB85_45:
	s_or_b32 exec_lo, exec_lo, s0
	v_lshl_add_u32 v2, v14, 2, v1
	s_mov_b32 s0, exec_lo
	s_waitcnt lgkmcnt(0)
	s_barrier
	buffer_gl0_inv
	v_cmpx_gt_u32_e32 64, v0
	s_cbranch_execz .LBB85_49
; %bb.46:
	v_lshl_or_b32 v3, v0, 2, 0x80
	s_mov_b32 s1, exec_lo
	s_delay_alu instid0(VALU_DEP_1)
	v_add_nc_u32_e32 v3, v1, v3
	ds_load_b32 v4, v2
	ds_load_b32 v3, v3
	s_waitcnt lgkmcnt(0)
	v_dual_add_f32 v5, v5, v4 :: v_dual_add_f32 v6, v6, v3
	v_cmpx_gt_u32_e32 0x50, v16
	s_cbranch_execz .LBB85_48
; %bb.47:
	ds_load_b32 v3, v2 offset:256
	s_waitcnt lgkmcnt(0)
	v_add_f32_e32 v7, v7, v3
.LBB85_48:
	s_or_b32 exec_lo, exec_lo, s1
.LBB85_49:
	s_delay_alu instid0(SALU_CYCLE_1)
	s_or_b32 exec_lo, exec_lo, s0
	v_and_b32_e32 v3, 0x3e0, v0
	s_mov_b32 s0, exec_lo
	s_barrier
	buffer_gl0_inv
	v_cmpx_eq_u32_e32 32, v3
	s_cbranch_execz .LBB85_52
; %bb.50:
	v_add_nc_u32_e32 v4, 0xfffffec0, v1
	v_cmp_gt_u32_e32 vcc_lo, 0x50, v16
	s_delay_alu instid0(VALU_DEP_2)
	v_lshl_add_u32 v3, v14, 2, v4
	v_lshl_add_u32 v4, v0, 2, v4
	ds_store_b32 v3, v5
	ds_store_b32 v4, v6
	s_and_b32 exec_lo, exec_lo, vcc_lo
	s_cbranch_execz .LBB85_52
; %bb.51:
	ds_store_b32 v3, v7 offset:256
.LBB85_52:
	s_or_b32 exec_lo, exec_lo, s0
	v_cmp_gt_u32_e32 vcc_lo, 32, v0
	v_or_b32_e32 v3, 64, v0
	s_waitcnt lgkmcnt(0)
	s_barrier
	buffer_gl0_inv
	s_and_saveexec_b32 s1, vcc_lo
	s_cbranch_execz .LBB85_56
; %bb.53:
	v_lshl_add_u32 v1, v0, 2, v1
	s_mov_b32 s2, exec_lo
	ds_load_b32 v2, v2
	ds_load_b32 v4, v1 offset:128
	s_waitcnt lgkmcnt(0)
	v_dual_add_f32 v5, v5, v2 :: v_dual_add_f32 v6, v6, v4
	v_cmpx_gt_u32_e32 0x50, v3
	s_cbranch_execz .LBB85_55
; %bb.54:
	ds_load_b32 v1, v1 offset:256
	s_waitcnt lgkmcnt(0)
	v_add_f32_e32 v7, v7, v1
.LBB85_55:
	s_or_b32 exec_lo, exec_lo, s2
.LBB85_56:
	s_delay_alu instid0(SALU_CYCLE_1)
	s_or_b32 exec_lo, exec_lo, s1
	s_barrier
	buffer_gl0_inv
	s_and_saveexec_b32 s0, vcc_lo
	s_cbranch_execz .LBB85_59
; %bb.57:
	s_mul_i32 s0, s30, 0x50
	s_mul_i32 s2, s19, s18
	s_ashr_i32 s1, s0, 31
	v_lshlrev_b32_e32 v0, 1, v0
	s_lshl_b64 s[0:1], s[0:1], 1
	v_cmp_gt_u32_e32 vcc_lo, 0x50, v3
	s_add_u32 s4, s20, s0
	s_addc_u32 s5, s21, s1
	s_ashr_i32 s3, s2, 31
	;;#ASMSTART
	v_cvt_f16_f32 v1, v5;

	;;#ASMEND
	s_lshl_b64 s[0:1], s[2:3], 1
	s_mul_i32 s2, s16, 0x50
	s_add_u32 s4, s4, s0
	s_addc_u32 s5, s5, s1
	s_ashr_i32 s3, s2, 31
	s_delay_alu instid0(SALU_CYCLE_1) | instskip(NEXT) | instid1(SALU_CYCLE_1)
	s_lshl_b64 s[0:1], s[2:3], 1
	s_add_u32 s0, s4, s0
	s_addc_u32 s1, s5, s1
	global_store_b16 v0, v1, s[0:1]
	;;#ASMSTART
	v_cvt_f16_f32 v1, v6;

	;;#ASMEND
	global_store_b16 v0, v1, s[0:1] offset:64
	s_and_b32 exec_lo, exec_lo, vcc_lo
	s_cbranch_execz .LBB85_59
; %bb.58:
	v_add_co_u32 v0, s0, s0, v0
	s_delay_alu instid0(VALU_DEP_1)
	v_add_co_ci_u32_e64 v1, null, s1, 0, s0
	;;#ASMSTART
	v_cvt_f16_f32 v2, v7;

	;;#ASMEND
	global_store_b16 v[0:1], v2, off offset:128
.LBB85_59:
	s_nop 0
	s_sendmsg sendmsg(MSG_DEALLOC_VGPRS)
	s_endpgm
	.section	.rodata,"a",@progbits
	.p2align	6, 0x0
	.amdhsa_kernel _ZN4vllm25paged_attention_v2_kernelIttLi80ELi8ELi128ELNS_18Fp8KVCacheDataTypeE0ELb0ELi512EEEvPfS2_PT_PKS3_PKT0_S9_ifPKiSB_iPKfiiiSD_SD_iiiii
		.amdhsa_group_segment_fixed_size 192
		.amdhsa_private_segment_fixed_size 0
		.amdhsa_kernarg_size 400
		.amdhsa_user_sgpr_count 13
		.amdhsa_user_sgpr_dispatch_ptr 0
		.amdhsa_user_sgpr_queue_ptr 0
		.amdhsa_user_sgpr_kernarg_segment_ptr 1
		.amdhsa_user_sgpr_dispatch_id 0
		.amdhsa_user_sgpr_private_segment_size 0
		.amdhsa_wavefront_size32 1
		.amdhsa_uses_dynamic_stack 0
		.amdhsa_enable_private_segment 0
		.amdhsa_system_sgpr_workgroup_id_x 1
		.amdhsa_system_sgpr_workgroup_id_y 1
		.amdhsa_system_sgpr_workgroup_id_z 1
		.amdhsa_system_sgpr_workgroup_info 0
		.amdhsa_system_vgpr_workitem_id 0
		.amdhsa_next_free_vgpr 52
		.amdhsa_next_free_sgpr 40
		.amdhsa_reserve_vcc 1
		.amdhsa_float_round_mode_32 0
		.amdhsa_float_round_mode_16_64 0
		.amdhsa_float_denorm_mode_32 3
		.amdhsa_float_denorm_mode_16_64 3
		.amdhsa_dx10_clamp 1
		.amdhsa_ieee_mode 1
		.amdhsa_fp16_overflow 0
		.amdhsa_workgroup_processor_mode 1
		.amdhsa_memory_ordered 1
		.amdhsa_forward_progress 0
		.amdhsa_shared_vgpr_count 0
		.amdhsa_exception_fp_ieee_invalid_op 0
		.amdhsa_exception_fp_denorm_src 0
		.amdhsa_exception_fp_ieee_div_zero 0
		.amdhsa_exception_fp_ieee_overflow 0
		.amdhsa_exception_fp_ieee_underflow 0
		.amdhsa_exception_fp_ieee_inexact 0
		.amdhsa_exception_int_div_zero 0
	.end_amdhsa_kernel
	.section	.text._ZN4vllm25paged_attention_v2_kernelIttLi80ELi8ELi128ELNS_18Fp8KVCacheDataTypeE0ELb0ELi512EEEvPfS2_PT_PKS3_PKT0_S9_ifPKiSB_iPKfiiiSD_SD_iiiii,"axG",@progbits,_ZN4vllm25paged_attention_v2_kernelIttLi80ELi8ELi128ELNS_18Fp8KVCacheDataTypeE0ELb0ELi512EEEvPfS2_PT_PKS3_PKT0_S9_ifPKiSB_iPKfiiiSD_SD_iiiii,comdat
.Lfunc_end85:
	.size	_ZN4vllm25paged_attention_v2_kernelIttLi80ELi8ELi128ELNS_18Fp8KVCacheDataTypeE0ELb0ELi512EEEvPfS2_PT_PKS3_PKT0_S9_ifPKiSB_iPKfiiiSD_SD_iiiii, .Lfunc_end85-_ZN4vllm25paged_attention_v2_kernelIttLi80ELi8ELi128ELNS_18Fp8KVCacheDataTypeE0ELb0ELi512EEEvPfS2_PT_PKS3_PKT0_S9_ifPKiSB_iPKfiiiSD_SD_iiiii
                                        ; -- End function
	.section	.AMDGPU.csdata,"",@progbits
; Kernel info:
; codeLenInByte = 6380
; NumSgprs: 42
; NumVgprs: 52
; ScratchSize: 0
; MemoryBound: 0
; FloatMode: 240
; IeeeMode: 1
; LDSByteSize: 192 bytes/workgroup (compile time only)
; SGPRBlocks: 5
; VGPRBlocks: 6
; NumSGPRsForWavesPerEU: 42
; NumVGPRsForWavesPerEU: 52
; Occupancy: 16
; WaveLimiterHint : 1
; COMPUTE_PGM_RSRC2:SCRATCH_EN: 0
; COMPUTE_PGM_RSRC2:USER_SGPR: 13
; COMPUTE_PGM_RSRC2:TRAP_HANDLER: 0
; COMPUTE_PGM_RSRC2:TGID_X_EN: 1
; COMPUTE_PGM_RSRC2:TGID_Y_EN: 1
; COMPUTE_PGM_RSRC2:TGID_Z_EN: 1
; COMPUTE_PGM_RSRC2:TIDIG_COMP_CNT: 0
	.section	.text._ZN4vllm25paged_attention_v2_kernelIttLi96ELi8ELi128ELNS_18Fp8KVCacheDataTypeE0ELb0ELi512EEEvPfS2_PT_PKS3_PKT0_S9_ifPKiSB_iPKfiiiSD_SD_iiiii,"axG",@progbits,_ZN4vllm25paged_attention_v2_kernelIttLi96ELi8ELi128ELNS_18Fp8KVCacheDataTypeE0ELb0ELi512EEEvPfS2_PT_PKS3_PKT0_S9_ifPKiSB_iPKfiiiSD_SD_iiiii,comdat
	.protected	_ZN4vllm25paged_attention_v2_kernelIttLi96ELi8ELi128ELNS_18Fp8KVCacheDataTypeE0ELb0ELi512EEEvPfS2_PT_PKS3_PKT0_S9_ifPKiSB_iPKfiiiSD_SD_iiiii ; -- Begin function _ZN4vllm25paged_attention_v2_kernelIttLi96ELi8ELi128ELNS_18Fp8KVCacheDataTypeE0ELb0ELi512EEEvPfS2_PT_PKS3_PKT0_S9_ifPKiSB_iPKfiiiSD_SD_iiiii
	.globl	_ZN4vllm25paged_attention_v2_kernelIttLi96ELi8ELi128ELNS_18Fp8KVCacheDataTypeE0ELb0ELi512EEEvPfS2_PT_PKS3_PKT0_S9_ifPKiSB_iPKfiiiSD_SD_iiiii
	.p2align	8
	.type	_ZN4vllm25paged_attention_v2_kernelIttLi96ELi8ELi128ELNS_18Fp8KVCacheDataTypeE0ELb0ELi512EEEvPfS2_PT_PKS3_PKT0_S9_ifPKiSB_iPKfiiiSD_SD_iiiii,@function
_ZN4vllm25paged_attention_v2_kernelIttLi96ELi8ELi128ELNS_18Fp8KVCacheDataTypeE0ELb0ELi512EEEvPfS2_PT_PKS3_PKT0_S9_ifPKiSB_iPKfiiiSD_SD_iiiii: ; @_ZN4vllm25paged_attention_v2_kernelIttLi96ELi8ELi128ELNS_18Fp8KVCacheDataTypeE0ELb0ELi512EEEvPfS2_PT_PKS3_PKT0_S9_ifPKiSB_iPKfiiiSD_SD_iiiii
; %bb.0:
	s_load_b64 s[2:3], s[0:1], 0x40
	s_mov_b32 s12, s15
	s_ashr_i32 s15, s14, 31
	s_delay_alu instid0(SALU_CYCLE_1)
	s_lshl_b64 s[4:5], s[14:15], 2
	s_waitcnt lgkmcnt(0)
	s_add_u32 s2, s2, s4
	s_addc_u32 s3, s3, s5
	s_lshl_b32 s31, s12, 9
	s_load_b32 s30, s[2:3], 0x0
	s_waitcnt lgkmcnt(0)
	s_cmp_ge_i32 s31, s30
	s_cbranch_scc1 .LBB86_50
; %bb.1:
	s_mov_b32 s20, s13
	s_clause 0x1
	s_load_b32 s13, s[0:1], 0x90
	s_load_b64 s[28:29], s[0:1], 0x30
	s_waitcnt lgkmcnt(0)
	s_abs_i32 s5, s13
	s_abs_i32 s2, s28
	s_delay_alu instid0(SALU_CYCLE_1) | instskip(SKIP_1) | instid1(VALU_DEP_1)
	v_cvt_f32_u32_e32 v1, s2
	s_sub_i32 s4, 0, s2
	v_rcp_iflag_f32_e32 v1, v1
	s_waitcnt_depctr 0xfff
	v_mul_f32_e32 v1, 0x4f7ffffe, v1
	s_delay_alu instid0(VALU_DEP_1) | instskip(NEXT) | instid1(VALU_DEP_1)
	v_cvt_u32_f32_e32 v1, v1
	v_readfirstlane_b32 s3, v1
	s_delay_alu instid0(VALU_DEP_1) | instskip(NEXT) | instid1(SALU_CYCLE_1)
	s_mul_i32 s4, s4, s3
	s_mul_hi_u32 s4, s3, s4
	s_delay_alu instid0(SALU_CYCLE_1)
	s_add_i32 s3, s3, s4
	s_xor_b32 s4, s13, s28
	s_mul_hi_u32 s3, s5, s3
	s_ashr_i32 s4, s4, 31
	s_mul_i32 s6, s3, s2
	s_mov_b32 s28, 0
	s_sub_i32 s5, s5, s6
	s_add_i32 s6, s3, 1
	s_sub_i32 s7, s5, s2
	s_cmp_ge_u32 s5, s2
	s_cselect_b32 s3, s6, s3
	s_cselect_b32 s5, s7, s5
	s_add_i32 s6, s3, 1
	s_cmp_ge_u32 s5, s2
	s_cselect_b32 s2, s6, s3
	s_abs_i32 s10, s20
	s_xor_b32 s2, s2, s4
	s_delay_alu instid0(SALU_CYCLE_1) | instskip(SKIP_2) | instid1(SALU_CYCLE_1)
	s_sub_i32 s11, s2, s4
	s_load_b64 s[2:3], s[0:1], 0x50
	s_abs_i32 s8, s11
	v_cvt_f32_u32_e32 v1, s8
	s_sub_i32 s5, 0, s8
	s_delay_alu instid0(VALU_DEP_1) | instskip(SKIP_2) | instid1(VALU_DEP_1)
	v_rcp_iflag_f32_e32 v1, v1
	s_waitcnt_depctr 0xfff
	v_mul_f32_e32 v1, 0x4f7ffffe, v1
	v_cvt_u32_f32_e32 v1, v1
	s_delay_alu instid0(VALU_DEP_1) | instskip(NEXT) | instid1(VALU_DEP_1)
	v_readfirstlane_b32 s4, v1
	s_mul_i32 s5, s5, s4
	s_delay_alu instid0(SALU_CYCLE_1) | instskip(NEXT) | instid1(SALU_CYCLE_1)
	s_mul_hi_u32 s5, s4, s5
	s_add_i32 s4, s4, s5
	s_waitcnt lgkmcnt(0)
	s_cmp_eq_u64 s[2:3], 0
	s_mul_hi_u32 s9, s10, s4
	s_cbranch_scc1 .LBB86_3
; %bb.2:
	s_ashr_i32 s21, s20, 31
	s_delay_alu instid0(SALU_CYCLE_1) | instskip(NEXT) | instid1(SALU_CYCLE_1)
	s_lshl_b64 s[4:5], s[20:21], 2
	s_add_u32 s2, s2, s4
	s_addc_u32 s3, s3, s5
	s_load_b32 s28, s[2:3], 0x0
.LBB86_3:
	s_load_b128 s[4:7], s[0:1], 0x58
	v_and_b32_e32 v1, 3, v0
	v_lshlrev_b32_e32 v2, 2, v0
	s_ashr_i32 s2, s20, 31
	s_ashr_i32 s3, s11, 31
	s_mul_i32 s16, s20, 0x60
	s_waitcnt lgkmcnt(0)
	s_mov_b32 s7, exec_lo
	v_cmpx_gt_u32_e32 48, v0
	s_cbranch_execz .LBB86_5
; %bb.4:
	s_load_b64 s[18:19], s[0:1], 0x18
	s_mul_i32 s22, s14, s4
	v_and_b32_e32 v4, 0x3fc, v0
	s_ashr_i32 s23, s22, 31
	s_delay_alu instid0(SALU_CYCLE_1) | instskip(NEXT) | instid1(VALU_DEP_1)
	s_lshl_b64 s[22:23], s[22:23], 1
	v_mad_u32_u24 v4, v1, 48, v4
	s_waitcnt lgkmcnt(0)
	s_add_u32 s4, s18, s22
	s_addc_u32 s11, s19, s23
	s_ashr_i32 s17, s16, 31
	s_delay_alu instid0(SALU_CYCLE_1) | instskip(NEXT) | instid1(SALU_CYCLE_1)
	s_lshl_b64 s[18:19], s[16:17], 1
	s_add_u32 s18, s4, s18
	s_addc_u32 s19, s11, s19
	global_load_b32 v3, v2, s[18:19]
	s_waitcnt vmcnt(0)
	ds_store_b32 v4, v3
.LBB86_5:
	s_or_b32 exec_lo, exec_lo, s7
	s_add_i32 s4, s30, 7
	s_lshl_b32 s15, s12, 6
	s_ashr_i32 s7, s4, 31
	s_xor_b32 s2, s2, s3
	s_lshr_b32 s7, s7, 29
	s_add_i32 s3, s15, 64
	s_add_i32 s4, s4, s7
	s_clause 0x1
	s_load_b64 s[22:23], s[0:1], 0x38
	s_load_b32 s7, s[0:1], 0x48
	s_ashr_i32 s21, s4, 3
	s_mul_i32 s4, s9, s8
	s_min_i32 s17, s3, s21
	s_sub_i32 s3, s10, s4
	s_add_i32 s4, s9, 1
	s_sub_i32 s10, s3, s8
	s_cmp_ge_u32 s3, s8
	v_lshrrev_b32_e32 v10, 5, v0
	s_cselect_b32 s4, s4, s9
	s_cselect_b32 s3, s10, s3
	s_add_i32 s9, s4, 1
	s_cmp_ge_u32 s3, s8
	v_or_b32_e32 v5, s15, v10
	s_cselect_b32 s3, s9, s4
	v_mbcnt_lo_u32_b32 v3, -1, 0
	s_xor_b32 s3, s3, s2
	s_mov_b32 s4, exec_lo
	s_sub_i32 s3, s3, s2
	v_cmp_gt_i32_e64 s2, s17, v5
	s_waitcnt lgkmcnt(0)
	s_mul_i32 s24, s14, s7
	s_delay_alu instid0(SALU_CYCLE_1)
	s_ashr_i32 s25, s24, 31
	s_barrier
	buffer_gl0_inv
                                        ; implicit-def: $sgpr7
                                        ; implicit-def: $vgpr4
	v_cmpx_le_i32_e64 s17, v5
	s_xor_b32 s4, exec_lo, s4
; %bb.6:
	v_mbcnt_lo_u32_b32 v3, -1, 0
	v_mov_b32_e32 v4, 32
	s_mov_b32 s7, 0xff7fffff
                                        ; implicit-def: $vgpr2
                                        ; implicit-def: $vgpr1
; %bb.7:
	s_or_saveexec_b32 s33, s4
	s_clause 0x3
	s_load_b128 s[8:11], s[0:1], 0x0
	s_load_b64 s[18:19], s[0:1], 0x10
	s_load_b64 s[26:27], s[0:1], 0x28
	s_load_b32 s4, s[0:1], 0x98
	v_mov_b32_e32 v7, s7
	v_ashrrev_i32_e32 v6, 31, v5
	s_mul_i32 s6, s3, s6
	s_xor_b32 exec_lo, exec_lo, s33
	s_cbranch_execz .LBB86_13
; %bb.8:
	s_load_b64 s[34:35], s[0:1], 0x20
	v_bfe_u32 v4, v0, 2, 3
	s_ashr_i32 s7, s6, 31
	v_dual_mov_b32 v16, v5 :: v_dual_lshlrev_b32 v9, 3, v10
	s_lshl_b64 s[36:37], s[6:7], 1
	s_delay_alu instid0(VALU_DEP_2)
	v_lshlrev_b32_e32 v12, 4, v4
	v_and_b32_e32 v7, 12, v2
	v_lshlrev_b32_e32 v2, 2, v4
	v_add3_u32 v9, s31, v9, v4
	v_mul_u32_u24_e32 v8, 48, v1
	v_cmp_eq_u32_e32 vcc_lo, 0, v1
	v_cmp_neq_f32_e64 s0, s28, 0
	v_xor_b32_e32 v14, 2, v3
	v_xor_b32_e32 v15, 1, v3
	s_waitcnt lgkmcnt(0)
	s_add_u32 s1, s34, s36
	s_addc_u32 s3, s35, s37
	v_add_co_u32 v4, s1, s1, v12
	s_delay_alu instid0(VALU_DEP_1) | instskip(SKIP_1) | instid1(VALU_DEP_2)
	v_add_co_ci_u32_e64 v13, null, s3, 0, s1
	s_lshl_b64 s[34:35], s[24:25], 2
	v_add_co_u32 v12, s1, v4, v7
	v_mov_b32_e32 v7, 0xff7fffff
	v_lshl_or_b32 v11, v10, 5, v2
	v_lshlrev_b64 v[1:2], 2, v[5:6]
	s_sub_i32 s7, 1, s30
	s_add_u32 s3, s22, s34
	v_add_co_ci_u32_e64 v13, s1, 0, v13, s1
	s_addc_u32 s34, s23, s35
	s_delay_alu instid0(VALU_DEP_2)
	v_add_co_u32 v1, s1, s3, v1
	v_add_nc_u32_e32 v11, 0xe0, v11
	v_add_co_ci_u32_e64 v2, s1, s34, v2, s1
	v_mov_b32_e32 v4, 32
	s_mov_b32 s35, s5
	s_mov_b32 s34, 0
	s_branch .LBB86_10
.LBB86_9:                               ;   in Loop: Header=BB86_10 Depth=1
	s_or_b32 exec_lo, exec_lo, s3
	v_add_nc_u32_e32 v16, 4, v16
	v_add_co_u32 v1, s3, v1, 16
	v_add_nc_u32_e32 v9, 32, v9
	v_add_nc_u32_e32 v11, 0x80, v11
	s_delay_alu instid0(VALU_DEP_4) | instskip(SKIP_1) | instid1(VALU_DEP_2)
	v_cmp_le_i32_e64 s1, s17, v16
	v_add_co_ci_u32_e64 v2, s3, 0, v2, s3
	s_or_b32 s34, s1, s34
	s_delay_alu instid0(SALU_CYCLE_1)
	s_and_not1_b32 exec_lo, exec_lo, s34
	s_cbranch_execz .LBB86_12
.LBB86_10:                              ; =>This Inner Loop Header: Depth=1
	global_load_b32 v19, v[1:2], off
	s_waitcnt vmcnt(0) lgkmcnt(0)
	v_mad_i64_i32 v[17:18], null, v19, s35, 0
	s_delay_alu instid0(VALU_DEP_1) | instskip(NEXT) | instid1(VALU_DEP_1)
	v_lshlrev_b64 v[17:18], 1, v[17:18]
	v_add_co_u32 v17, s1, v12, v17
	s_delay_alu instid0(VALU_DEP_1)
	v_add_co_ci_u32_e64 v18, s1, v13, v18, s1
	v_cmp_gt_i32_e64 s1, 32, v14
	s_clause 0xb
	global_load_b32 v19, v[17:18], off
	global_load_b32 v20, v[17:18], off offset:128
	global_load_b32 v21, v[17:18], off offset:256
	global_load_b32 v22, v[17:18], off offset:384
	global_load_b32 v23, v[17:18], off offset:512
	global_load_b32 v24, v[17:18], off offset:640
	global_load_b32 v25, v[17:18], off offset:768
	global_load_b32 v26, v[17:18], off offset:896
	global_load_b32 v27, v[17:18], off offset:1024
	global_load_b32 v28, v[17:18], off offset:1152
	global_load_b32 v29, v[17:18], off offset:1280
	global_load_b32 v17, v[17:18], off offset:1408
	ds_load_b32 v30, v8
	s_waitcnt lgkmcnt(0)
	v_and_b32_e32 v18, 0xffff, v30
	v_lshrrev_b32_e32 v30, 16, v30
	;;#ASMSTART
	v_cvt_f32_f16 v18, v18;
	;;#ASMEND
	;;#ASMSTART
	v_cvt_f32_f16 v30, v30;
	;;#ASMEND
	s_waitcnt vmcnt(11)
	v_and_b32_e32 v31, 0xffff, v19
	v_lshrrev_b32_e32 v19, 16, v19
	;;#ASMSTART
	v_cvt_f32_f16 v31, v31;
	;;#ASMEND
	;;#ASMSTART
	v_cvt_f32_f16 v19, v19;
	;;#ASMEND
	ds_load_b32 v32, v8 offset:4
	s_waitcnt vmcnt(10)
	v_and_b32_e32 v34, 0xffff, v20
	v_lshrrev_b32_e32 v20, 16, v20
	s_waitcnt vmcnt(9)
	v_and_b32_e32 v37, 0xffff, v21
	v_lshrrev_b32_e32 v21, 16, v21
	;; [unrolled: 3-line block ×8, first 2 shown]
	s_waitcnt vmcnt(2)
	v_lshrrev_b32_e32 v57, 16, v28
	v_and_b32_e32 v28, 0xffff, v28
	s_waitcnt lgkmcnt(0)
	v_and_b32_e32 v33, 0xffff, v32
	v_lshrrev_b32_e32 v32, 16, v32
	;;#ASMSTART
	v_cvt_f32_f16 v33, v33;
	;;#ASMEND
	;;#ASMSTART
	v_cvt_f32_f16 v32, v32;
	;;#ASMEND
	;;#ASMSTART
	v_cvt_f32_f16 v34, v34;
	;;#ASMEND
	;;#ASMSTART
	v_cvt_f32_f16 v20, v20;
	;;#ASMEND
	ds_load_b32 v35, v8 offset:8
	v_dual_mul_f32 v20, v32, v20 :: v_dual_mul_f32 v33, v33, v34
	s_delay_alu instid0(VALU_DEP_1) | instskip(NEXT) | instid1(VALU_DEP_2)
	v_fmac_f32_e32 v20, v30, v19
	v_fmac_f32_e32 v33, v18, v31
	s_waitcnt vmcnt(1)
	v_lshrrev_b32_e32 v18, 16, v29
	s_waitcnt lgkmcnt(0)
	v_and_b32_e32 v36, 0xffff, v35
	v_lshrrev_b32_e32 v35, 16, v35
	;;#ASMSTART
	v_cvt_f32_f16 v36, v36;
	;;#ASMEND
	;;#ASMSTART
	v_cvt_f32_f16 v35, v35;
	;;#ASMEND
	;; [unrolled: 3-line block ×4, first 2 shown]
	ds_load_b32 v38, v8 offset:12
	v_fmac_f32_e32 v33, v36, v37
	s_waitcnt lgkmcnt(0)
	v_dual_fmac_f32 v20, v35, v21 :: v_dual_and_b32 v39, 0xffff, v38
	v_lshrrev_b32_e32 v38, 16, v38
	;;#ASMSTART
	v_cvt_f32_f16 v39, v39;
	;;#ASMEND
	;;#ASMSTART
	v_cvt_f32_f16 v38, v38;
	;;#ASMEND
	;; [unrolled: 3-line block ×4, first 2 shown]
	ds_load_b32 v41, v8 offset:16
	v_dual_fmac_f32 v20, v38, v22 :: v_dual_fmac_f32 v33, v39, v40
	s_waitcnt lgkmcnt(0)
	v_and_b32_e32 v42, 0xffff, v41
	v_lshrrev_b32_e32 v41, 16, v41
	;;#ASMSTART
	v_cvt_f32_f16 v42, v42;
	;;#ASMEND
	;;#ASMSTART
	v_cvt_f32_f16 v41, v41;
	;;#ASMEND
	;; [unrolled: 3-line block ×4, first 2 shown]
	ds_load_b32 v44, v8 offset:20
	v_fmac_f32_e32 v20, v41, v23
	v_fmac_f32_e32 v33, v42, v43
	s_waitcnt lgkmcnt(0)
	v_and_b32_e32 v45, 0xffff, v44
	v_lshrrev_b32_e32 v44, 16, v44
	;;#ASMSTART
	v_cvt_f32_f16 v45, v45;
	;;#ASMEND
	;;#ASMSTART
	v_cvt_f32_f16 v44, v44;
	;;#ASMEND
	;; [unrolled: 3-line block ×4, first 2 shown]
	ds_load_b32 v47, v8 offset:24
	v_dual_fmac_f32 v33, v45, v46 :: v_dual_fmac_f32 v20, v44, v24
	v_cndmask_b32_e64 v24, v3, v14, s1
	v_cmp_gt_i32_e64 s1, 32, v15
	s_waitcnt lgkmcnt(0)
	v_and_b32_e32 v48, 0xffff, v47
	v_lshrrev_b32_e32 v47, 16, v47
	;;#ASMSTART
	v_cvt_f32_f16 v48, v48;
	;;#ASMEND
	;;#ASMSTART
	v_cvt_f32_f16 v47, v47;
	;;#ASMEND
	;; [unrolled: 3-line block ×4, first 2 shown]
	ds_load_b32 v50, v8 offset:28
	v_fmac_f32_e32 v20, v47, v25
	v_fmac_f32_e32 v33, v48, v49
	s_waitcnt vmcnt(0)
	v_lshrrev_b32_e32 v25, 16, v17
	s_waitcnt lgkmcnt(0)
	v_and_b32_e32 v51, 0xffff, v50
	v_lshrrev_b32_e32 v50, 16, v50
	;;#ASMSTART
	v_cvt_f32_f16 v51, v51;
	;;#ASMEND
	;;#ASMSTART
	v_cvt_f32_f16 v50, v50;
	;;#ASMEND
	;; [unrolled: 3-line block ×4, first 2 shown]
	ds_load_b32 v53, v8 offset:32
	v_dual_fmac_f32 v33, v51, v52 :: v_dual_fmac_f32 v20, v50, v26
	s_waitcnt lgkmcnt(0)
	v_and_b32_e32 v54, 0xffff, v53
	v_lshrrev_b32_e32 v53, 16, v53
	;;#ASMSTART
	v_cvt_f32_f16 v54, v54;
	;;#ASMEND
	;;#ASMSTART
	v_cvt_f32_f16 v53, v53;
	;;#ASMEND
	;; [unrolled: 3-line block ×4, first 2 shown]
	ds_load_b32 v56, v8 offset:36
	v_fmac_f32_e32 v33, v54, v55
	v_fmac_f32_e32 v20, v53, v27
	s_waitcnt lgkmcnt(0)
	v_and_b32_e32 v58, 0xffff, v56
	v_lshrrev_b32_e32 v56, 16, v56
	;;#ASMSTART
	v_cvt_f32_f16 v32, v58;
	;;#ASMEND
	;;#ASMSTART
	v_cvt_f32_f16 v34, v56;
	;;#ASMEND
	;; [unrolled: 3-line block ×4, first 2 shown]
	ds_load_b32 v57, v8 offset:40
	v_dual_fmac_f32 v33, v32, v28 :: v_dual_and_b32 v22, 0xffff, v29
	s_waitcnt lgkmcnt(0)
	v_dual_fmac_f32 v20, v34, v56 :: v_dual_and_b32 v19, 0xffff, v57
	v_lshrrev_b32_e32 v21, 16, v57
	;;#ASMSTART
	v_cvt_f32_f16 v19, v19;
	;;#ASMEND
	;;#ASMSTART
	v_cvt_f32_f16 v21, v21;
	;;#ASMEND
	;; [unrolled: 3-line block ×4, first 2 shown]
	ds_load_b32 v23, v8 offset:44
	v_dual_fmac_f32 v20, v21, v18 :: v_dual_and_b32 v17, 0xffff, v17
	s_waitcnt lgkmcnt(0)
	v_dual_fmac_f32 v33, v19, v22 :: v_dual_and_b32 v26, 0xffff, v23
	v_lshrrev_b32_e32 v23, 16, v23
	;;#ASMSTART
	v_cvt_f32_f16 v18, v26;
	;;#ASMEND
	;;#ASMSTART
	v_cvt_f32_f16 v19, v23;
	;;#ASMEND
	;; [unrolled: 3-line block ×4, first 2 shown]
	v_fmac_f32_e32 v33, v18, v17
	v_dual_fmac_f32 v20, v19, v21 :: v_dual_lshlrev_b32 v17, 2, v24
	v_cndmask_b32_e64 v19, v3, v15, s1
	s_delay_alu instid0(VALU_DEP_2)
	v_add_f32_e32 v18, v33, v20
	ds_bpermute_b32 v17, v17, v18
	s_waitcnt lgkmcnt(0)
	v_dual_add_f32 v17, v18, v17 :: v_dual_lshlrev_b32 v18, 2, v19
	ds_bpermute_b32 v18, v18, v17
	s_and_saveexec_b32 s3, vcc_lo
	s_cbranch_execz .LBB86_9
; %bb.11:                               ;   in Loop: Header=BB86_10 Depth=1
	v_add_nc_u32_e32 v19, s7, v9
	s_waitcnt lgkmcnt(0)
	v_add_f32_e32 v17, v17, v18
	v_cmp_gt_i32_e64 s1, s30, v9
	s_delay_alu instid0(VALU_DEP_3) | instskip(NEXT) | instid1(VALU_DEP_1)
	v_cvt_f32_i32_e32 v19, v19
	v_mul_f32_e32 v19, s28, v19
	s_delay_alu instid0(VALU_DEP_1) | instskip(NEXT) | instid1(VALU_DEP_1)
	v_cndmask_b32_e64 v18, 0, v19, s0
	v_dual_max_f32 v19, v7, v7 :: v_dual_fmac_f32 v18, s29, v17
	s_delay_alu instid0(VALU_DEP_1) | instskip(SKIP_1) | instid1(VALU_DEP_2)
	v_max_f32_e32 v17, v19, v18
	v_cndmask_b32_e64 v18, 0, v18, s1
	v_cndmask_b32_e64 v7, v7, v17, s1
	ds_store_b32 v11, v18
	s_branch .LBB86_9
.LBB86_12:
	s_or_b32 exec_lo, exec_lo, s34
.LBB86_13:
	s_delay_alu instid0(SALU_CYCLE_1) | instskip(SKIP_4) | instid1(VALU_DEP_4)
	s_or_b32 exec_lo, exec_lo, s33
	v_xor_b32_e32 v1, 16, v3
	v_xor_b32_e32 v8, 8, v3
	v_and_b32_e32 v11, 31, v0
	v_max_f32_e32 v9, v7, v7
	v_cmp_lt_i32_e32 vcc_lo, v1, v4
	v_cndmask_b32_e32 v1, v3, v1, vcc_lo
	v_cmp_lt_i32_e32 vcc_lo, v8, v4
	s_delay_alu instid0(VALU_DEP_2) | instskip(SKIP_2) | instid1(VALU_DEP_1)
	v_lshlrev_b32_e32 v2, 2, v1
	ds_bpermute_b32 v1, v2, v7
	v_cndmask_b32_e32 v7, v3, v8, vcc_lo
	v_lshlrev_b32_e32 v7, 2, v7
	s_waitcnt lgkmcnt(0)
	v_max_f32_e32 v1, v1, v1
	s_delay_alu instid0(VALU_DEP_1)
	v_max_f32_e32 v1, v9, v1
	v_xor_b32_e32 v9, 4, v3
	ds_bpermute_b32 v8, v7, v1
	v_cmp_lt_i32_e32 vcc_lo, v9, v4
	v_cndmask_b32_e32 v9, v3, v9, vcc_lo
	v_cmp_eq_u32_e32 vcc_lo, 0, v11
	s_waitcnt lgkmcnt(0)
	s_delay_alu instid0(VALU_DEP_2) | instskip(NEXT) | instid1(VALU_DEP_1)
	v_dual_max_f32 v8, v8, v8 :: v_dual_lshlrev_b32 v9, 2, v9
	v_dual_max_f32 v1, v1, v8 :: v_dual_lshlrev_b32 v8, 2, v10
	ds_bpermute_b32 v12, v9, v1
	s_and_saveexec_b32 s0, vcc_lo
	s_cbranch_execz .LBB86_15
; %bb.14:
	s_waitcnt lgkmcnt(0)
	v_dual_max_f32 v12, v12, v12 :: v_dual_max_f32 v1, v1, v1
	s_delay_alu instid0(VALU_DEP_1)
	v_max_f32_e32 v1, v1, v12
	ds_store_b32 v8, v1 offset:192
.LBB86_15:
	s_or_b32 exec_lo, exec_lo, s0
	v_cmp_gt_u32_e64 s0, 4, v11
	s_waitcnt lgkmcnt(0)
	v_dual_mov_b32 v1, 0xff7fffff :: v_dual_lshlrev_b32 v12, 2, v11
	s_barrier
	buffer_gl0_inv
	s_and_saveexec_b32 s1, s0
	s_cbranch_execz .LBB86_17
; %bb.16:
	ds_load_b32 v1, v12 offset:192
.LBB86_17:
	s_or_b32 exec_lo, exec_lo, s1
	v_xor_b32_e32 v13, 2, v3
	v_xor_b32_e32 v15, 1, v3
	s_delay_alu instid0(VALU_DEP_2) | instskip(NEXT) | instid1(VALU_DEP_1)
	v_cmp_lt_i32_e64 s1, v13, v4
	v_cndmask_b32_e64 v13, v3, v13, s1
	s_delay_alu instid0(VALU_DEP_3) | instskip(NEXT) | instid1(VALU_DEP_2)
	v_cmp_lt_i32_e64 s1, v15, v4
	v_lshlrev_b32_e32 v13, 2, v13
	s_delay_alu instid0(VALU_DEP_2)
	v_cndmask_b32_e64 v4, v3, v15, s1
	v_lshlrev_b32_e32 v3, 2, v3
	s_sub_i32 s1, s17, s15
	v_mov_b32_e32 v15, 0
	s_waitcnt lgkmcnt(0)
	ds_bpermute_b32 v14, v13, v1
	v_dual_max_f32 v1, v1, v1 :: v_dual_lshlrev_b32 v4, 2, v4
	s_lshl_b32 s1, s1, 3
	s_delay_alu instid0(SALU_CYCLE_1) | instskip(NEXT) | instid1(SALU_CYCLE_1)
	s_add_i32 s1, s1, s31
	s_min_i32 s1, s1, s30
	s_delay_alu instid0(SALU_CYCLE_1) | instskip(NEXT) | instid1(SALU_CYCLE_1)
	s_sub_i32 s7, s1, s31
	v_cmp_gt_i32_e64 s1, s7, v0
	s_waitcnt lgkmcnt(0)
	v_max_f32_e32 v14, v14, v14
	s_delay_alu instid0(VALU_DEP_1) | instskip(SKIP_3) | instid1(VALU_DEP_1)
	v_max_f32_e32 v1, v1, v14
	ds_bpermute_b32 v14, v4, v1
	s_waitcnt lgkmcnt(0)
	v_max_f32_e32 v14, v14, v14
	v_dual_max_f32 v1, v1, v14 :: v_dual_and_b32 v14, 0xffffff80, v3
	v_lshl_add_u32 v3, v0, 2, 0xe0
	ds_bpermute_b32 v1, v14, v1
	s_and_saveexec_b32 s15, s1
	s_cbranch_execz .LBB86_21
; %bb.18:
	v_lshl_add_u32 v16, v0, 2, 0xe0
	v_mov_b32_e32 v15, 0
	v_mov_b32_e32 v17, v0
	s_mov_b32 s28, 0
	.p2align	6
.LBB86_19:                              ; =>This Inner Loop Header: Depth=1
	ds_load_b32 v18, v16
	v_add_nc_u32_e32 v17, 0x80, v17
	s_delay_alu instid0(VALU_DEP_1) | instskip(NEXT) | instid1(VALU_DEP_1)
	v_cmp_le_i32_e64 s3, s7, v17
	s_or_b32 s28, s3, s28
	s_waitcnt lgkmcnt(0)
	v_sub_f32_e32 v18, v18, v1
	s_delay_alu instid0(VALU_DEP_1) | instskip(NEXT) | instid1(VALU_DEP_1)
	v_mul_f32_e32 v18, 0x3fb8aa3b, v18
	v_exp_f32_e32 v18, v18
	ds_store_b32 v16, v18
	v_dual_add_f32 v15, v15, v18 :: v_dual_add_nc_u32 v16, 0x200, v16
	s_and_not1_b32 exec_lo, exec_lo, s28
	s_cbranch_execnz .LBB86_19
; %bb.20:
	s_or_b32 exec_lo, exec_lo, s28
.LBB86_21:
	s_delay_alu instid0(SALU_CYCLE_1)
	s_or_b32 exec_lo, exec_lo, s15
	ds_bpermute_b32 v2, v2, v15
	s_waitcnt lgkmcnt(0)
	v_add_f32_e32 v2, v15, v2
	ds_bpermute_b32 v7, v7, v2
	s_waitcnt lgkmcnt(0)
	v_add_f32_e32 v2, v2, v7
	;; [unrolled: 3-line block ×5, first 2 shown]
	s_and_saveexec_b32 s3, vcc_lo
	s_cbranch_execz .LBB86_23
; %bb.22:
	ds_store_b32 v8, v2 offset:208
.LBB86_23:
	s_or_b32 exec_lo, exec_lo, s3
	s_waitcnt lgkmcnt(0)
	s_barrier
	buffer_gl0_inv
	s_and_saveexec_b32 s3, s0
	s_cbranch_execz .LBB86_25
; %bb.24:
	ds_load_b32 v2, v12 offset:208
.LBB86_25:
	s_or_b32 exec_lo, exec_lo, s3
	s_waitcnt lgkmcnt(0)
	ds_bpermute_b32 v7, v13, v2
	s_waitcnt lgkmcnt(0)
	v_add_f32_e32 v2, v2, v7
	ds_bpermute_b32 v4, v4, v2
	s_waitcnt lgkmcnt(0)
	v_add_f32_e32 v2, v2, v4
	ds_bpermute_b32 v2, v14, v2
	s_and_saveexec_b32 s0, s1
	s_cbranch_execz .LBB86_28
; %bb.26:
	s_waitcnt lgkmcnt(0)
	v_add_f32_e32 v4, 0x358637bd, v2
	s_mov_b32 s1, 0
	s_delay_alu instid0(VALU_DEP_1) | instskip(SKIP_1) | instid1(VALU_DEP_2)
	v_div_scale_f32 v7, null, v4, v4, 1.0
	v_div_scale_f32 v13, vcc_lo, 1.0, v4, 1.0
	v_rcp_f32_e32 v8, v7
	s_waitcnt_depctr 0xfff
	v_fma_f32 v9, -v7, v8, 1.0
	s_delay_alu instid0(VALU_DEP_1) | instskip(NEXT) | instid1(VALU_DEP_1)
	v_fmac_f32_e32 v8, v9, v8
	v_mul_f32_e32 v9, v13, v8
	s_delay_alu instid0(VALU_DEP_1) | instskip(NEXT) | instid1(VALU_DEP_1)
	v_fma_f32 v14, -v7, v9, v13
	v_fmac_f32_e32 v9, v14, v8
	s_delay_alu instid0(VALU_DEP_1) | instskip(NEXT) | instid1(VALU_DEP_1)
	v_fma_f32 v7, -v7, v9, v13
	v_div_fmas_f32 v7, v7, v8, v9
	s_delay_alu instid0(VALU_DEP_1)
	v_div_fixup_f32 v4, v7, v4, 1.0
	v_mov_b32_e32 v7, v0
.LBB86_27:                              ; =>This Inner Loop Header: Depth=1
	ds_load_b32 v8, v3
	s_waitcnt lgkmcnt(0)
	v_dual_mul_f32 v8, v4, v8 :: v_dual_add_nc_u32 v7, 0x80, v7
	s_delay_alu instid0(VALU_DEP_1) | instskip(SKIP_3) | instid1(SALU_CYCLE_1)
	v_cmp_le_i32_e32 vcc_lo, s7, v7
	ds_store_b32 v3, v8
	v_add_nc_u32_e32 v3, 0x200, v3
	s_or_b32 s1, vcc_lo, s1
	s_and_not1_b32 exec_lo, exec_lo, s1
	s_cbranch_execnz .LBB86_27
.LBB86_28:
	s_or_b32 exec_lo, exec_lo, s0
	s_mul_i32 s0, s4, s14
	s_waitcnt lgkmcnt(0)
	s_mul_i32 s14, s0, s13
	s_mov_b32 s0, exec_lo
	s_barrier
	buffer_gl0_inv
	v_cmpx_eq_u32_e32 0, v0
	s_cbranch_execz .LBB86_30
; %bb.29:
	s_ashr_i32 s15, s14, 31
	s_mul_i32 s34, s4, s20
	s_lshl_b64 s[28:29], s[14:15], 2
	v_mov_b32_e32 v3, 0
	s_add_u32 s1, s10, s28
	s_addc_u32 s3, s11, s29
	s_ashr_i32 s35, s34, 31
	s_delay_alu instid0(SALU_CYCLE_1) | instskip(NEXT) | instid1(SALU_CYCLE_1)
	s_lshl_b64 s[10:11], s[34:35], 2
	s_add_u32 s1, s1, s10
	s_addc_u32 s3, s3, s11
	s_ashr_i32 s13, s12, 31
	s_delay_alu instid0(SALU_CYCLE_1) | instskip(NEXT) | instid1(SALU_CYCLE_1)
	s_lshl_b64 s[34:35], s[12:13], 2
	s_add_u32 s36, s1, s34
	s_addc_u32 s37, s3, s35
	s_add_u32 s1, s8, s28
	s_addc_u32 s3, s9, s29
	s_add_u32 s1, s1, s10
	s_addc_u32 s3, s3, s11
	s_add_u32 s8, s1, s34
	s_addc_u32 s9, s3, s35
	s_clause 0x1
	global_store_b32 v3, v1, s[36:37]
	global_store_b32 v3, v2, s[8:9]
.LBB86_30:
	s_or_b32 exec_lo, exec_lo, s0
	v_dual_mov_b32 v13, 0 :: v_dual_mov_b32 v14, 0
	v_mov_b32_e32 v15, 0
	s_mov_b32 s3, 0
	s_and_saveexec_b32 s1, s2
	s_cbranch_execz .LBB86_40
; %bb.31:
	s_ashr_i32 s7, s6, 31
	v_dual_mov_b32 v14, 0 :: v_dual_lshlrev_b32 v1, 4, v11
	s_lshl_b64 s[6:7], s[6:7], 1
	v_lshl_add_u32 v18, v10, 3, s31
	s_add_u32 s0, s26, s6
	s_addc_u32 s9, s27, s7
	v_add_co_u32 v16, s0, s0, v1
	v_lshlrev_b64 v[1:2], 2, v[5:6]
	s_lshl_b64 s[10:11], s[24:25], 2
	s_add_i32 s21, s21, -1
	v_add_co_ci_u32_e64 v17, null, s9, 0, s0
	s_add_u32 s0, s22, s10
	s_addc_u32 s9, s23, s11
	v_add_co_u32 v6, vcc_lo, s0, v1
	v_lshl_add_u32 v19, v10, 5, 0xe0
	v_add_co_ci_u32_e32 v7, vcc_lo, s9, v2, vcc_lo
	v_mov_b32_e32 v15, 0
	v_mov_b32_e32 v13, 0
	s_mov_b32 s2, s5
	s_mov_b32 s5, s30
	;; [unrolled: 1-line block ×8, first 2 shown]
	s_branch .LBB86_33
.LBB86_32:                              ;   in Loop: Header=BB86_33 Depth=1
	s_or_b32 exec_lo, exec_lo, s0
	s_waitcnt vmcnt(0)
	;;#ASMSTART
	v_pk_mul_f16 v1, v30, v1;

	;;#ASMEND
	;;#ASMSTART
	v_pk_mul_f16 v2, v29, v2;

	;;#ASMEND
	;; [unrolled: 4-line block ×4, first 2 shown]
	;;#ASMSTART
	v_pk_add_f16 v1, v1, v2;

	;;#ASMEND
	;;#ASMSTART
	v_pk_add_f16 v1, v1, v3;

	;;#ASMEND
	;;#ASMSTART
	v_pk_add_f16 v1, v1, v4;

	;;#ASMEND
	v_dual_add_f32 v3, v31, v32 :: v_dual_and_b32 v2, 0xffff, v1
	v_lshrrev_b32_e32 v1, 16, v1
	v_add_nc_u32_e32 v5, 4, v5
	;;#ASMSTART
	v_cvt_f32_f16 v2, v2;
	;;#ASMEND
	;;#ASMSTART
	v_cvt_f32_f16 v1, v1;
	;;#ASMEND
	v_add_f32_e32 v14, v14, v3
	v_dual_add_f32 v4, v33, v34 :: v_dual_add_f32 v1, v2, v1
	v_cmp_le_i32_e32 vcc_lo, s17, v5
	v_add_co_u32 v6, s0, v6, 16
	s_delay_alu instid0(VALU_DEP_3) | instskip(NEXT) | instid1(VALU_DEP_4)
	v_dual_add_f32 v15, v15, v4 :: v_dual_add_nc_u32 v18, 32, v18
	v_add_f32_e32 v13, v13, v1
	v_add_nc_u32_e32 v19, 0x80, v19
	v_add_co_ci_u32_e64 v7, s0, 0, v7, s0
	s_or_b32 s3, vcc_lo, s3
	s_delay_alu instid0(SALU_CYCLE_1)
	s_and_not1_b32 exec_lo, exec_lo, s3
	s_cbranch_execz .LBB86_39
.LBB86_33:                              ; =>This Inner Loop Header: Depth=1
	global_load_b32 v24, v[6:7], off
	ds_load_2addr_b64 v[1:4], v19 offset1:1
	ds_load_2addr_b64 v[20:23], v19 offset0:2 offset1:3
	v_or_b32_e32 v25, 7, v18
	v_or_b32_e32 v26, 6, v18
	s_waitcnt lgkmcnt(1)
	;;#ASMSTART
	v_cvt_f16_f32 v29, v1;

	;;#ASMEND
	;;#ASMSTART
	v_cvt_f16_f32 v27, v2;

	;;#ASMEND
	;; [unrolled: 4-line block ×4, first 2 shown]
	s_waitcnt lgkmcnt(0)
	;;#ASMSTART
	v_cvt_f16_f32 v33, v20;

	;;#ASMEND
	;;#ASMSTART
	v_cvt_f16_f32 v31, v21;

	;;#ASMEND
	;; [unrolled: 4-line block ×4, first 2 shown]
	v_add_nc_u32_e32 v20, 1, v18
	v_or_b32_e32 v22, 3, v18
	v_or_b32_e32 v21, 2, v18
	;; [unrolled: 1-line block ×3, first 2 shown]
	s_waitcnt vmcnt(0)
	v_mad_i64_i32 v[8:9], null, v24, s2, 0
	v_or_b32_e32 v24, 5, v18
	s_delay_alu instid0(VALU_DEP_2) | instskip(NEXT) | instid1(VALU_DEP_1)
	v_lshlrev_b64 v[8:9], 1, v[8:9]
	v_add_co_u32 v8, vcc_lo, v16, v8
	s_delay_alu instid0(VALU_DEP_2)
	v_add_co_ci_u32_e32 v9, vcc_lo, v17, v9, vcc_lo
	v_cmp_eq_u32_e32 vcc_lo, s21, v5
	global_load_b128 v[1:4], v[8:9], off
	s_and_saveexec_b32 s13, vcc_lo
	s_cbranch_execz .LBB86_35
; %bb.34:                               ;   in Loop: Header=BB86_33 Depth=1
	v_cmp_gt_i32_e64 s0, s10, v26
	s_waitcnt vmcnt(0)
	v_lshrrev_b32_e32 v35, 16, v4
	v_lshrrev_b32_e32 v36, 16, v3
	;; [unrolled: 1-line block ×4, first 2 shown]
	v_cndmask_b32_e64 v4, 0, v4, s0
	v_cmp_gt_i32_e64 s0, s11, v25
	s_delay_alu instid0(VALU_DEP_1) | instskip(SKIP_1) | instid1(VALU_DEP_2)
	v_cndmask_b32_e64 v35, 0, v35, s0
	v_cmp_gt_i32_e64 s0, s9, v24
	v_perm_b32 v4, v35, v4, 0x5040100
	s_delay_alu instid0(VALU_DEP_2) | instskip(SKIP_1) | instid1(VALU_DEP_1)
	v_cndmask_b32_e64 v36, 0, v36, s0
	v_cmp_gt_i32_e64 s0, s8, v23
	v_cndmask_b32_e64 v3, 0, v3, s0
	v_cmp_gt_i32_e64 s0, s7, v22
	s_delay_alu instid0(VALU_DEP_2) | instskip(NEXT) | instid1(VALU_DEP_2)
	v_perm_b32 v3, v36, v3, 0x5040100
	v_cndmask_b32_e64 v37, 0, v37, s0
	v_cmp_gt_i32_e64 s0, s6, v21
	s_delay_alu instid0(VALU_DEP_1) | instskip(SKIP_1) | instid1(VALU_DEP_2)
	v_cndmask_b32_e64 v2, 0, v2, s0
	v_cmp_gt_i32_e64 s0, s5, v20
	v_perm_b32 v2, v37, v2, 0x5040100
	s_delay_alu instid0(VALU_DEP_2) | instskip(SKIP_1) | instid1(VALU_DEP_1)
	v_cndmask_b32_e64 v38, 0, v38, s0
	v_cmp_gt_i32_e64 s0, s30, v18
	v_cndmask_b32_e64 v1, 0, v1, s0
	s_delay_alu instid0(VALU_DEP_1)
	v_perm_b32 v1, v38, v1, 0x5040100
.LBB86_35:                              ;   in Loop: Header=BB86_33 Depth=1
	s_or_b32 exec_lo, exec_lo, s13
	v_and_b32_e32 v29, 0xffff, v29
	v_and_b32_e32 v35, 0xffff, v30
	v_and_b32_e32 v33, 0xffff, v33
	v_and_b32_e32 v34, 0xffff, v34
	s_delay_alu instid0(VALU_DEP_4)
	v_lshl_or_b32 v30, v27, 16, v29
	s_waitcnt vmcnt(0)
	;;#ASMSTART
	v_pk_mul_f16 v1, v30, v1;

	;;#ASMEND
	v_lshl_or_b32 v29, v28, 16, v35
	v_lshl_or_b32 v28, v31, 16, v33
	;; [unrolled: 1-line block ×3, first 2 shown]
	;;#ASMSTART
	v_pk_mul_f16 v2, v29, v2;

	;;#ASMEND
	;;#ASMSTART
	v_pk_mul_f16 v3, v28, v3;

	;;#ASMEND
	;; [unrolled: 4-line block ×3, first 2 shown]
	;;#ASMSTART
	v_pk_add_f16 v1, v1, v2;

	;;#ASMEND
	;;#ASMSTART
	v_pk_add_f16 v1, v1, v3;

	;;#ASMEND
	;; [unrolled: 4-line block ×3, first 2 shown]
	v_and_b32_e32 v2, 0xffff, v1
	v_lshrrev_b32_e32 v1, 16, v1
	;;#ASMSTART
	v_cvt_f32_f16 v31, v2;
	;;#ASMEND
	;;#ASMSTART
	v_cvt_f32_f16 v32, v1;
	;;#ASMEND
	global_load_b128 v[1:4], v[8:9], off offset:512
	s_and_saveexec_b32 s13, vcc_lo
	s_cbranch_execz .LBB86_37
; %bb.36:                               ;   in Loop: Header=BB86_33 Depth=1
	v_cmp_gt_i32_e64 s0, s10, v26
	s_waitcnt vmcnt(0)
	v_lshrrev_b32_e32 v33, 16, v4
	v_lshrrev_b32_e32 v34, 16, v3
	;; [unrolled: 1-line block ×4, first 2 shown]
	v_cndmask_b32_e64 v4, 0, v4, s0
	v_cmp_gt_i32_e64 s0, s11, v25
	s_delay_alu instid0(VALU_DEP_1) | instskip(SKIP_1) | instid1(VALU_DEP_2)
	v_cndmask_b32_e64 v33, 0, v33, s0
	v_cmp_gt_i32_e64 s0, s9, v24
	v_perm_b32 v4, v33, v4, 0x5040100
	s_delay_alu instid0(VALU_DEP_2) | instskip(SKIP_1) | instid1(VALU_DEP_1)
	v_cndmask_b32_e64 v34, 0, v34, s0
	v_cmp_gt_i32_e64 s0, s8, v23
	v_cndmask_b32_e64 v3, 0, v3, s0
	v_cmp_gt_i32_e64 s0, s7, v22
	s_delay_alu instid0(VALU_DEP_2) | instskip(NEXT) | instid1(VALU_DEP_2)
	v_perm_b32 v3, v34, v3, 0x5040100
	v_cndmask_b32_e64 v35, 0, v35, s0
	v_cmp_gt_i32_e64 s0, s6, v21
	s_delay_alu instid0(VALU_DEP_1) | instskip(SKIP_1) | instid1(VALU_DEP_2)
	v_cndmask_b32_e64 v2, 0, v2, s0
	v_cmp_gt_i32_e64 s0, s5, v20
	v_perm_b32 v2, v35, v2, 0x5040100
	s_delay_alu instid0(VALU_DEP_2) | instskip(SKIP_1) | instid1(VALU_DEP_1)
	v_cndmask_b32_e64 v36, 0, v36, s0
	v_cmp_gt_i32_e64 s0, s30, v18
	v_cndmask_b32_e64 v1, 0, v1, s0
	s_delay_alu instid0(VALU_DEP_1)
	v_perm_b32 v1, v36, v1, 0x5040100
.LBB86_37:                              ;   in Loop: Header=BB86_33 Depth=1
	s_or_b32 exec_lo, exec_lo, s13
	s_waitcnt vmcnt(0)
	;;#ASMSTART
	v_pk_mul_f16 v1, v30, v1;

	;;#ASMEND
	;;#ASMSTART
	v_pk_mul_f16 v2, v29, v2;

	;;#ASMEND
	;; [unrolled: 4-line block ×4, first 2 shown]
	;;#ASMSTART
	v_pk_add_f16 v1, v1, v2;

	;;#ASMEND
	;;#ASMSTART
	v_pk_add_f16 v1, v1, v3;

	;;#ASMEND
	;; [unrolled: 4-line block ×3, first 2 shown]
	v_and_b32_e32 v2, 0xffff, v1
	v_lshrrev_b32_e32 v1, 16, v1
	;;#ASMSTART
	v_cvt_f32_f16 v33, v2;
	;;#ASMEND
	;;#ASMSTART
	v_cvt_f32_f16 v34, v1;
	;;#ASMEND
	global_load_b128 v[1:4], v[8:9], off offset:1024
	s_and_saveexec_b32 s0, vcc_lo
	s_cbranch_execz .LBB86_32
; %bb.38:                               ;   in Loop: Header=BB86_33 Depth=1
	v_cmp_gt_i32_e32 vcc_lo, s10, v26
	s_waitcnt vmcnt(0)
	v_lshrrev_b32_e32 v8, 16, v4
	v_lshrrev_b32_e32 v9, 16, v3
	v_cndmask_b32_e32 v4, 0, v4, vcc_lo
	v_cmp_gt_i32_e32 vcc_lo, s11, v25
	s_delay_alu instid0(VALU_DEP_4)
	v_cndmask_b32_e32 v8, 0, v8, vcc_lo
	v_cmp_gt_i32_e32 vcc_lo, s9, v24
	v_lshrrev_b32_e32 v24, 16, v2
	v_cndmask_b32_e32 v9, 0, v9, vcc_lo
	v_cmp_gt_i32_e32 vcc_lo, s8, v23
	v_lshrrev_b32_e32 v23, 16, v1
	v_cndmask_b32_e32 v3, 0, v3, vcc_lo
	v_cmp_gt_i32_e32 vcc_lo, s7, v22
	v_perm_b32 v4, v8, v4, 0x5040100
	s_delay_alu instid0(VALU_DEP_3)
	v_perm_b32 v3, v9, v3, 0x5040100
	v_cndmask_b32_e32 v22, 0, v24, vcc_lo
	v_cmp_gt_i32_e32 vcc_lo, s6, v21
	v_cndmask_b32_e32 v2, 0, v2, vcc_lo
	v_cmp_gt_i32_e32 vcc_lo, s5, v20
	;; [unrolled: 2-line block ×3, first 2 shown]
	v_cndmask_b32_e32 v1, 0, v1, vcc_lo
	v_perm_b32 v2, v22, v2, 0x5040100
	s_delay_alu instid0(VALU_DEP_2)
	v_perm_b32 v1, v20, v1, 0x5040100
	s_branch .LBB86_32
.LBB86_39:
	s_or_b32 exec_lo, exec_lo, s3
.LBB86_40:
	s_delay_alu instid0(SALU_CYCLE_1)
	s_or_b32 exec_lo, exec_lo, s1
	s_movk_i32 s0, 0x180
	v_and_b32_e32 v2, 0x3c0, v0
	v_mad_u32_u24 v1, v10, s0, 0xe0
	s_mov_b32 s0, exec_lo
	s_waitcnt_vscnt null, 0x0
	s_barrier
	buffer_gl0_inv
	v_cmpx_eq_u32_e32 64, v2
	s_cbranch_execz .LBB86_42
; %bb.41:
	v_add3_u32 v2, v1, v12, 0xfffffd00
	ds_store_2addr_b32 v2, v14, v15 offset1:32
	ds_store_b32 v2, v13 offset:256
.LBB86_42:
	s_or_b32 exec_lo, exec_lo, s0
	v_lshl_add_u32 v2, v11, 2, v1
	s_mov_b32 s0, exec_lo
	s_waitcnt lgkmcnt(0)
	s_barrier
	buffer_gl0_inv
	v_cmpx_gt_u32_e32 64, v0
	s_cbranch_execz .LBB86_44
; %bb.43:
	v_lshl_or_b32 v3, v0, 2, 0x80
	s_delay_alu instid0(VALU_DEP_1)
	v_add_nc_u32_e32 v5, v1, v3
	ds_load_2addr_stride64_b32 v[3:4], v2 offset1:1
	ds_load_b32 v5, v5
	s_waitcnt lgkmcnt(0)
	v_dual_add_f32 v14, v14, v3 :: v_dual_add_f32 v15, v15, v5
	v_add_f32_e32 v13, v13, v4
.LBB86_44:
	s_or_b32 exec_lo, exec_lo, s0
	v_and_b32_e32 v3, 0x3e0, v0
	s_mov_b32 s0, exec_lo
	s_barrier
	buffer_gl0_inv
	v_cmpx_eq_u32_e32 32, v3
	s_cbranch_execz .LBB86_46
; %bb.45:
	v_add_nc_u32_e32 v3, 0xfffffe80, v1
	s_delay_alu instid0(VALU_DEP_1)
	v_lshl_add_u32 v4, v11, 2, v3
	v_lshl_add_u32 v3, v0, 2, v3
	ds_store_b32 v4, v14
	ds_store_b32 v3, v15
	ds_store_b32 v4, v13 offset:256
.LBB86_46:
	s_or_b32 exec_lo, exec_lo, s0
	v_cmp_gt_u32_e32 vcc_lo, 32, v0
	s_waitcnt lgkmcnt(0)
	s_barrier
	buffer_gl0_inv
	s_and_saveexec_b32 s0, vcc_lo
	s_cbranch_execz .LBB86_48
; %bb.47:
	v_lshl_add_u32 v1, v0, 2, v1
	ds_load_b32 v3, v2
	ds_load_2addr_b32 v[1:2], v1 offset0:32 offset1:64
	s_waitcnt lgkmcnt(0)
	v_dual_add_f32 v14, v14, v3 :: v_dual_add_f32 v15, v15, v1
	v_add_f32_e32 v13, v13, v2
.LBB86_48:
	s_or_b32 exec_lo, exec_lo, s0
	s_barrier
	buffer_gl0_inv
	s_and_saveexec_b32 s0, vcc_lo
	s_cbranch_execz .LBB86_50
; %bb.49:
	s_mul_i32 s0, s14, 0x60
	s_mul_i32 s2, s4, s16
	s_ashr_i32 s1, s0, 31
	v_lshlrev_b32_e32 v0, 1, v0
	s_lshl_b64 s[0:1], s[0:1], 1
	;;#ASMSTART
	v_cvt_f16_f32 v1, v14;

	;;#ASMEND
	s_add_u32 s4, s18, s0
	s_addc_u32 s5, s19, s1
	s_ashr_i32 s3, s2, 31
	s_delay_alu instid0(SALU_CYCLE_1) | instskip(SKIP_4) | instid1(SALU_CYCLE_1)
	s_lshl_b64 s[0:1], s[2:3], 1
	s_mul_i32 s2, s12, 0x60
	s_add_u32 s4, s4, s0
	s_addc_u32 s5, s5, s1
	s_ashr_i32 s3, s2, 31
	s_lshl_b64 s[0:1], s[2:3], 1
	s_delay_alu instid0(SALU_CYCLE_1)
	s_add_u32 s0, s4, s0
	s_addc_u32 s1, s5, s1
	global_store_b16 v0, v1, s[0:1]
	;;#ASMSTART
	v_cvt_f16_f32 v1, v15;

	;;#ASMEND
	global_store_b16 v0, v1, s[0:1] offset:64
	;;#ASMSTART
	v_cvt_f16_f32 v1, v13;

	;;#ASMEND
	global_store_b16 v0, v1, s[0:1] offset:128
.LBB86_50:
	s_nop 0
	s_sendmsg sendmsg(MSG_DEALLOC_VGPRS)
	s_endpgm
	.section	.rodata,"a",@progbits
	.p2align	6, 0x0
	.amdhsa_kernel _ZN4vllm25paged_attention_v2_kernelIttLi96ELi8ELi128ELNS_18Fp8KVCacheDataTypeE0ELb0ELi512EEEvPfS2_PT_PKS3_PKT0_S9_ifPKiSB_iPKfiiiSD_SD_iiiii
		.amdhsa_group_segment_fixed_size 224
		.amdhsa_private_segment_fixed_size 0
		.amdhsa_kernarg_size 400
		.amdhsa_user_sgpr_count 13
		.amdhsa_user_sgpr_dispatch_ptr 0
		.amdhsa_user_sgpr_queue_ptr 0
		.amdhsa_user_sgpr_kernarg_segment_ptr 1
		.amdhsa_user_sgpr_dispatch_id 0
		.amdhsa_user_sgpr_private_segment_size 0
		.amdhsa_wavefront_size32 1
		.amdhsa_uses_dynamic_stack 0
		.amdhsa_enable_private_segment 0
		.amdhsa_system_sgpr_workgroup_id_x 1
		.amdhsa_system_sgpr_workgroup_id_y 1
		.amdhsa_system_sgpr_workgroup_id_z 1
		.amdhsa_system_sgpr_workgroup_info 0
		.amdhsa_system_vgpr_workitem_id 0
		.amdhsa_next_free_vgpr 59
		.amdhsa_next_free_sgpr 38
		.amdhsa_reserve_vcc 1
		.amdhsa_float_round_mode_32 0
		.amdhsa_float_round_mode_16_64 0
		.amdhsa_float_denorm_mode_32 3
		.amdhsa_float_denorm_mode_16_64 3
		.amdhsa_dx10_clamp 1
		.amdhsa_ieee_mode 1
		.amdhsa_fp16_overflow 0
		.amdhsa_workgroup_processor_mode 1
		.amdhsa_memory_ordered 1
		.amdhsa_forward_progress 0
		.amdhsa_shared_vgpr_count 0
		.amdhsa_exception_fp_ieee_invalid_op 0
		.amdhsa_exception_fp_denorm_src 0
		.amdhsa_exception_fp_ieee_div_zero 0
		.amdhsa_exception_fp_ieee_overflow 0
		.amdhsa_exception_fp_ieee_underflow 0
		.amdhsa_exception_fp_ieee_inexact 0
		.amdhsa_exception_int_div_zero 0
	.end_amdhsa_kernel
	.section	.text._ZN4vllm25paged_attention_v2_kernelIttLi96ELi8ELi128ELNS_18Fp8KVCacheDataTypeE0ELb0ELi512EEEvPfS2_PT_PKS3_PKT0_S9_ifPKiSB_iPKfiiiSD_SD_iiiii,"axG",@progbits,_ZN4vllm25paged_attention_v2_kernelIttLi96ELi8ELi128ELNS_18Fp8KVCacheDataTypeE0ELb0ELi512EEEvPfS2_PT_PKS3_PKT0_S9_ifPKiSB_iPKfiiiSD_SD_iiiii,comdat
.Lfunc_end86:
	.size	_ZN4vllm25paged_attention_v2_kernelIttLi96ELi8ELi128ELNS_18Fp8KVCacheDataTypeE0ELb0ELi512EEEvPfS2_PT_PKS3_PKT0_S9_ifPKiSB_iPKfiiiSD_SD_iiiii, .Lfunc_end86-_ZN4vllm25paged_attention_v2_kernelIttLi96ELi8ELi128ELNS_18Fp8KVCacheDataTypeE0ELb0ELi512EEEvPfS2_PT_PKS3_PKT0_S9_ifPKiSB_iPKfiiiSD_SD_iiiii
                                        ; -- End function
	.section	.AMDGPU.csdata,"",@progbits
; Kernel info:
; codeLenInByte = 6288
; NumSgprs: 40
; NumVgprs: 59
; ScratchSize: 0
; MemoryBound: 0
; FloatMode: 240
; IeeeMode: 1
; LDSByteSize: 224 bytes/workgroup (compile time only)
; SGPRBlocks: 4
; VGPRBlocks: 7
; NumSGPRsForWavesPerEU: 40
; NumVGPRsForWavesPerEU: 59
; Occupancy: 16
; WaveLimiterHint : 1
; COMPUTE_PGM_RSRC2:SCRATCH_EN: 0
; COMPUTE_PGM_RSRC2:USER_SGPR: 13
; COMPUTE_PGM_RSRC2:TRAP_HANDLER: 0
; COMPUTE_PGM_RSRC2:TGID_X_EN: 1
; COMPUTE_PGM_RSRC2:TGID_Y_EN: 1
; COMPUTE_PGM_RSRC2:TGID_Z_EN: 1
; COMPUTE_PGM_RSRC2:TIDIG_COMP_CNT: 0
	.section	.text._ZN4vllm25paged_attention_v2_kernelIttLi112ELi8ELi128ELNS_18Fp8KVCacheDataTypeE0ELb0ELi512EEEvPfS2_PT_PKS3_PKT0_S9_ifPKiSB_iPKfiiiSD_SD_iiiii,"axG",@progbits,_ZN4vllm25paged_attention_v2_kernelIttLi112ELi8ELi128ELNS_18Fp8KVCacheDataTypeE0ELb0ELi512EEEvPfS2_PT_PKS3_PKT0_S9_ifPKiSB_iPKfiiiSD_SD_iiiii,comdat
	.protected	_ZN4vllm25paged_attention_v2_kernelIttLi112ELi8ELi128ELNS_18Fp8KVCacheDataTypeE0ELb0ELi512EEEvPfS2_PT_PKS3_PKT0_S9_ifPKiSB_iPKfiiiSD_SD_iiiii ; -- Begin function _ZN4vllm25paged_attention_v2_kernelIttLi112ELi8ELi128ELNS_18Fp8KVCacheDataTypeE0ELb0ELi512EEEvPfS2_PT_PKS3_PKT0_S9_ifPKiSB_iPKfiiiSD_SD_iiiii
	.globl	_ZN4vllm25paged_attention_v2_kernelIttLi112ELi8ELi128ELNS_18Fp8KVCacheDataTypeE0ELb0ELi512EEEvPfS2_PT_PKS3_PKT0_S9_ifPKiSB_iPKfiiiSD_SD_iiiii
	.p2align	8
	.type	_ZN4vllm25paged_attention_v2_kernelIttLi112ELi8ELi128ELNS_18Fp8KVCacheDataTypeE0ELb0ELi512EEEvPfS2_PT_PKS3_PKT0_S9_ifPKiSB_iPKfiiiSD_SD_iiiii,@function
_ZN4vllm25paged_attention_v2_kernelIttLi112ELi8ELi128ELNS_18Fp8KVCacheDataTypeE0ELb0ELi512EEEvPfS2_PT_PKS3_PKT0_S9_ifPKiSB_iPKfiiiSD_SD_iiiii: ; @_ZN4vllm25paged_attention_v2_kernelIttLi112ELi8ELi128ELNS_18Fp8KVCacheDataTypeE0ELb0ELi512EEEvPfS2_PT_PKS3_PKT0_S9_ifPKiSB_iPKfiiiSD_SD_iiiii
; %bb.0:
	s_load_b64 s[2:3], s[0:1], 0x40
	s_mov_b32 s16, s15
	s_ashr_i32 s15, s14, 31
	s_delay_alu instid0(SALU_CYCLE_1)
	s_lshl_b64 s[4:5], s[14:15], 2
	s_waitcnt lgkmcnt(0)
	s_add_u32 s2, s2, s4
	s_addc_u32 s3, s3, s5
	s_lshl_b32 s34, s16, 9
	s_load_b32 s33, s[2:3], 0x0
	s_waitcnt lgkmcnt(0)
	s_cmp_ge_i32 s34, s33
	s_cbranch_scc1 .LBB87_61
; %bb.1:
	s_mov_b32 s22, s13
	s_clause 0x1
	s_load_b32 s15, s[0:1], 0x90
	s_load_b64 s[12:13], s[0:1], 0x30
	s_mov_b32 s17, 0
	s_waitcnt lgkmcnt(0)
	s_abs_i32 s5, s15
	s_abs_i32 s2, s12
	s_delay_alu instid0(SALU_CYCLE_1) | instskip(SKIP_1) | instid1(VALU_DEP_1)
	v_cvt_f32_u32_e32 v1, s2
	s_sub_i32 s4, 0, s2
	v_rcp_iflag_f32_e32 v1, v1
	s_waitcnt_depctr 0xfff
	v_mul_f32_e32 v1, 0x4f7ffffe, v1
	s_delay_alu instid0(VALU_DEP_1) | instskip(NEXT) | instid1(VALU_DEP_1)
	v_cvt_u32_f32_e32 v1, v1
	v_readfirstlane_b32 s3, v1
	s_delay_alu instid0(VALU_DEP_1) | instskip(NEXT) | instid1(SALU_CYCLE_1)
	s_mul_i32 s4, s4, s3
	s_mul_hi_u32 s4, s3, s4
	s_delay_alu instid0(SALU_CYCLE_1) | instskip(SKIP_4) | instid1(SALU_CYCLE_1)
	s_add_i32 s3, s3, s4
	s_xor_b32 s4, s15, s12
	s_mul_hi_u32 s3, s5, s3
	s_ashr_i32 s4, s4, 31
	s_mul_i32 s6, s3, s2
	s_sub_i32 s5, s5, s6
	s_add_i32 s6, s3, 1
	s_sub_i32 s7, s5, s2
	s_cmp_ge_u32 s5, s2
	s_cselect_b32 s3, s6, s3
	s_cselect_b32 s5, s7, s5
	s_add_i32 s6, s3, 1
	s_cmp_ge_u32 s5, s2
	s_cselect_b32 s2, s6, s3
	s_abs_i32 s10, s22
	s_xor_b32 s2, s2, s4
	s_delay_alu instid0(SALU_CYCLE_1) | instskip(SKIP_2) | instid1(SALU_CYCLE_1)
	s_sub_i32 s11, s2, s4
	s_load_b64 s[2:3], s[0:1], 0x50
	s_abs_i32 s8, s11
	v_cvt_f32_u32_e32 v1, s8
	s_sub_i32 s5, 0, s8
	s_delay_alu instid0(VALU_DEP_1) | instskip(SKIP_2) | instid1(VALU_DEP_1)
	v_rcp_iflag_f32_e32 v1, v1
	s_waitcnt_depctr 0xfff
	v_mul_f32_e32 v1, 0x4f7ffffe, v1
	v_cvt_u32_f32_e32 v1, v1
	s_delay_alu instid0(VALU_DEP_1) | instskip(NEXT) | instid1(VALU_DEP_1)
	v_readfirstlane_b32 s4, v1
	s_mul_i32 s5, s5, s4
	s_delay_alu instid0(SALU_CYCLE_1) | instskip(NEXT) | instid1(SALU_CYCLE_1)
	s_mul_hi_u32 s5, s4, s5
	s_add_i32 s4, s4, s5
	s_waitcnt lgkmcnt(0)
	s_cmp_eq_u64 s[2:3], 0
	s_mul_hi_u32 s9, s10, s4
	s_cbranch_scc1 .LBB87_3
; %bb.2:
	s_ashr_i32 s23, s22, 31
	s_delay_alu instid0(SALU_CYCLE_1) | instskip(NEXT) | instid1(SALU_CYCLE_1)
	s_lshl_b64 s[4:5], s[22:23], 2
	s_add_u32 s2, s2, s4
	s_addc_u32 s3, s3, s5
	s_load_b32 s17, s[2:3], 0x0
.LBB87_3:
	s_load_b128 s[4:7], s[0:1], 0x58
	v_and_b32_e32 v1, 3, v0
	v_lshlrev_b32_e32 v2, 2, v0
	s_ashr_i32 s2, s22, 31
	s_ashr_i32 s3, s11, 31
	s_mul_i32 s18, s22, 0x70
	s_waitcnt lgkmcnt(0)
	s_mov_b32 s7, exec_lo
	v_cmpx_gt_u32_e32 56, v0
	s_cbranch_execz .LBB87_5
; %bb.4:
	s_load_b64 s[20:21], s[0:1], 0x18
	s_mul_i32 s24, s14, s4
	v_and_b32_e32 v4, 0x3fc, v0
	s_ashr_i32 s25, s24, 31
	s_delay_alu instid0(SALU_CYCLE_1) | instskip(NEXT) | instid1(VALU_DEP_1)
	s_lshl_b64 s[24:25], s[24:25], 1
	v_mad_u32_u24 v4, v1, 56, v4
	s_waitcnt lgkmcnt(0)
	s_add_u32 s4, s20, s24
	s_addc_u32 s11, s21, s25
	s_ashr_i32 s19, s18, 31
	s_delay_alu instid0(SALU_CYCLE_1) | instskip(NEXT) | instid1(SALU_CYCLE_1)
	s_lshl_b64 s[20:21], s[18:19], 1
	s_add_u32 s20, s4, s20
	s_addc_u32 s21, s11, s21
	global_load_b32 v3, v2, s[20:21]
	s_waitcnt vmcnt(0)
	ds_store_b32 v4, v3
.LBB87_5:
	s_or_b32 exec_lo, exec_lo, s7
	s_add_i32 s4, s33, 7
	s_clause 0x1
	s_load_b64 s[24:25], s[0:1], 0x38
	s_load_b32 s11, s[0:1], 0x48
	s_ashr_i32 s7, s4, 31
	s_lshl_b32 s12, s16, 6
	s_lshr_b32 s7, s7, 29
	s_xor_b32 s2, s2, s3
	s_add_i32 s4, s4, s7
	s_add_i32 s3, s12, 64
	s_ashr_i32 s4, s4, 3
	s_mul_i32 s7, s9, s8
	s_min_i32 s23, s3, s4
	s_sub_i32 s3, s10, s7
	s_add_i32 s7, s9, 1
	s_sub_i32 s10, s3, s8
	s_cmp_ge_u32 s3, s8
	v_lshrrev_b32_e32 v14, 5, v0
	s_cselect_b32 s7, s7, s9
	s_cselect_b32 s3, s10, s3
	s_add_i32 s9, s7, 1
	s_cmp_ge_u32 s3, s8
	v_or_b32_e32 v9, s12, v14
	s_cselect_b32 s3, s9, s7
	v_mbcnt_lo_u32_b32 v3, -1, 0
	s_xor_b32 s3, s3, s2
	s_waitcnt lgkmcnt(0)
	s_mul_i32 s26, s14, s11
	s_sub_i32 s3, s3, s2
	v_cmp_gt_i32_e64 s2, s23, v9
	s_ashr_i32 s27, s26, 31
	s_mov_b32 s8, exec_lo
	s_barrier
	buffer_gl0_inv
                                        ; implicit-def: $sgpr7
                                        ; implicit-def: $vgpr4
	v_cmpx_le_i32_e64 s23, v9
	s_xor_b32 s8, exec_lo, s8
; %bb.6:
	v_mbcnt_lo_u32_b32 v3, -1, 0
	v_mov_b32_e32 v4, 32
	s_mov_b32 s7, 0xff7fffff
                                        ; implicit-def: $vgpr2
                                        ; implicit-def: $vgpr1
; %bb.7:
	s_or_saveexec_b32 s30, s8
	s_clause 0x3
	s_load_b128 s[8:11], s[0:1], 0x0
	s_load_b64 s[20:21], s[0:1], 0x10
	s_load_b64 s[28:29], s[0:1], 0x28
	s_load_b32 s19, s[0:1], 0x98
	v_mov_b32_e32 v5, s7
	v_ashrrev_i32_e32 v10, 31, v9
	s_mul_i32 s6, s3, s6
	s_xor_b32 exec_lo, exec_lo, s30
	s_cbranch_execz .LBB87_13
; %bb.8:
	s_load_b64 s[36:37], s[0:1], 0x20
	v_bfe_u32 v4, v0, 2, 3
	s_ashr_i32 s7, s6, 31
	v_dual_mov_b32 v16, v9 :: v_dual_lshlrev_b32 v7, 3, v14
	s_lshl_b64 s[38:39], s[6:7], 1
	s_delay_alu instid0(VALU_DEP_2)
	v_lshlrev_b32_e32 v11, 4, v4
	v_and_b32_e32 v5, 12, v2
	v_lshlrev_b32_e32 v2, 2, v4
	v_add3_u32 v7, s34, v7, v4
	v_mul_u32_u24_e32 v6, 56, v1
	v_cmp_eq_u32_e32 vcc_lo, 0, v1
	v_cmp_neq_f32_e64 s0, s17, 0
	v_xor_b32_e32 v13, 2, v3
	v_xor_b32_e32 v15, 1, v3
	s_mov_b32 s35, s5
	s_waitcnt lgkmcnt(0)
	s_add_u32 s1, s36, s38
	s_addc_u32 s3, s37, s39
	v_add_co_u32 v4, s1, s1, v11
	s_delay_alu instid0(VALU_DEP_1) | instskip(SKIP_1) | instid1(VALU_DEP_2)
	v_add_co_ci_u32_e64 v12, null, s3, 0, s1
	s_lshl_b64 s[36:37], s[26:27], 2
	v_add_co_u32 v11, s1, v4, v5
	v_mov_b32_e32 v5, 0xff7fffff
	v_lshl_or_b32 v8, v14, 5, v2
	v_lshlrev_b64 v[1:2], 2, v[9:10]
	s_sub_i32 s7, 1, s33
	s_add_u32 s3, s24, s36
	v_add_co_ci_u32_e64 v12, s1, 0, v12, s1
	s_addc_u32 s31, s25, s37
	s_delay_alu instid0(VALU_DEP_2)
	v_add_co_u32 v1, s1, s3, v1
	v_add_nc_u32_e32 v8, 0x100, v8
	v_add_co_ci_u32_e64 v2, s1, s31, v2, s1
	v_mov_b32_e32 v4, 32
	s_mov_b32 s31, 0
	s_branch .LBB87_10
.LBB87_9:                               ;   in Loop: Header=BB87_10 Depth=1
	s_or_b32 exec_lo, exec_lo, s3
	v_add_nc_u32_e32 v16, 4, v16
	v_add_co_u32 v1, s3, v1, 16
	v_add_nc_u32_e32 v7, 32, v7
	v_add_nc_u32_e32 v8, 0x80, v8
	s_delay_alu instid0(VALU_DEP_4) | instskip(SKIP_1) | instid1(VALU_DEP_2)
	v_cmp_le_i32_e64 s1, s23, v16
	v_add_co_ci_u32_e64 v2, s3, 0, v2, s3
	s_or_b32 s31, s1, s31
	s_delay_alu instid0(SALU_CYCLE_1)
	s_and_not1_b32 exec_lo, exec_lo, s31
	s_cbranch_execz .LBB87_12
.LBB87_10:                              ; =>This Inner Loop Header: Depth=1
	global_load_b32 v19, v[1:2], off
	s_waitcnt vmcnt(0) lgkmcnt(0)
	v_mad_i64_i32 v[17:18], null, v19, s35, 0
	s_delay_alu instid0(VALU_DEP_1) | instskip(NEXT) | instid1(VALU_DEP_1)
	v_lshlrev_b64 v[17:18], 1, v[17:18]
	v_add_co_u32 v17, s1, v11, v17
	s_delay_alu instid0(VALU_DEP_1)
	v_add_co_ci_u32_e64 v18, s1, v12, v18, s1
	v_cmp_gt_i32_e64 s1, 32, v13
	s_clause 0xb
	global_load_b32 v19, v[17:18], off
	global_load_b32 v20, v[17:18], off offset:128
	global_load_b32 v21, v[17:18], off offset:256
	;; [unrolled: 1-line block ×11, first 2 shown]
	ds_load_b32 v30, v6
	s_clause 0x1
	global_load_b32 v34, v[17:18], off offset:1536
	global_load_b32 v17, v[17:18], off offset:1664
	s_waitcnt lgkmcnt(0)
	v_lshrrev_b32_e32 v32, 16, v30
	v_and_b32_e32 v30, 0xffff, v30
	;;#ASMSTART
	v_cvt_f32_f16 v18, v30;
	;;#ASMEND
	;;#ASMSTART
	v_cvt_f32_f16 v30, v32;
	;;#ASMEND
	s_waitcnt vmcnt(13)
	v_lshrrev_b32_e32 v33, 16, v19
	v_and_b32_e32 v19, 0xffff, v19
	;;#ASMSTART
	v_cvt_f32_f16 v19, v19;
	;;#ASMEND
	;;#ASMSTART
	v_cvt_f32_f16 v32, v33;
	;;#ASMEND
	ds_load_b32 v33, v6 offset:4
	s_waitcnt vmcnt(12)
	v_and_b32_e32 v36, 0xffff, v20
	v_lshrrev_b32_e32 v20, 16, v20
	s_waitcnt vmcnt(11)
	v_and_b32_e32 v39, 0xffff, v21
	v_lshrrev_b32_e32 v21, 16, v21
	;; [unrolled: 3-line block ×6, first 2 shown]
	s_waitcnt lgkmcnt(0)
	v_and_b32_e32 v35, 0xffff, v33
	v_lshrrev_b32_e32 v33, 16, v33
	;;#ASMSTART
	v_cvt_f32_f16 v35, v35;
	;;#ASMEND
	;;#ASMSTART
	v_cvt_f32_f16 v33, v33;
	;;#ASMEND
	;; [unrolled: 3-line block ×4, first 2 shown]
	ds_load_b32 v37, v6 offset:8
	v_mul_f32_e32 v35, v35, v36
	v_mul_f32_e32 v20, v33, v20
	s_waitcnt vmcnt(2)
	v_lshrrev_b32_e32 v33, 16, v31
	s_delay_alu instid0(VALU_DEP_3) | instskip(NEXT) | instid1(VALU_DEP_3)
	v_fmac_f32_e32 v35, v18, v19
	v_fmac_f32_e32 v20, v30, v32
	s_waitcnt lgkmcnt(0)
	v_and_b32_e32 v38, 0xffff, v37
	v_lshrrev_b32_e32 v37, 16, v37
	;;#ASMSTART
	v_cvt_f32_f16 v38, v38;
	;;#ASMEND
	;;#ASMSTART
	v_cvt_f32_f16 v37, v37;
	;;#ASMEND
	;; [unrolled: 3-line block ×4, first 2 shown]
	ds_load_b32 v40, v6 offset:12
	v_dual_fmac_f32 v35, v38, v39 :: v_dual_and_b32 v42, 0xffff, v22
	v_lshrrev_b32_e32 v22, 16, v22
	s_waitcnt lgkmcnt(0)
	v_dual_fmac_f32 v20, v37, v21 :: v_dual_and_b32 v41, 0xffff, v40
	v_lshrrev_b32_e32 v40, 16, v40
	;;#ASMSTART
	v_cvt_f32_f16 v41, v41;
	;;#ASMEND
	;;#ASMSTART
	v_cvt_f32_f16 v40, v40;
	;;#ASMEND
	;;#ASMSTART
	v_cvt_f32_f16 v42, v42;
	;;#ASMEND
	;;#ASMSTART
	v_cvt_f32_f16 v22, v22;
	;;#ASMEND
	ds_load_b32 v43, v6 offset:16
	v_fmac_f32_e32 v35, v41, v42
	v_fmac_f32_e32 v20, v40, v22
	s_waitcnt vmcnt(1)
	v_lshrrev_b32_e32 v22, 16, v34
	s_waitcnt lgkmcnt(0)
	v_and_b32_e32 v44, 0xffff, v43
	v_lshrrev_b32_e32 v43, 16, v43
	;;#ASMSTART
	v_cvt_f32_f16 v44, v44;
	;;#ASMEND
	;;#ASMSTART
	v_cvt_f32_f16 v43, v43;
	;;#ASMEND
	;; [unrolled: 3-line block ×4, first 2 shown]
	ds_load_b32 v46, v6 offset:20
	v_dual_fmac_f32 v35, v44, v45 :: v_dual_and_b32 v48, 0xffff, v24
	v_lshrrev_b32_e32 v24, 16, v24
	s_waitcnt lgkmcnt(0)
	v_dual_fmac_f32 v20, v43, v23 :: v_dual_and_b32 v47, 0xffff, v46
	v_lshrrev_b32_e32 v46, 16, v46
	;;#ASMSTART
	v_cvt_f32_f16 v47, v47;
	;;#ASMEND
	;;#ASMSTART
	v_cvt_f32_f16 v46, v46;
	;;#ASMEND
	;; [unrolled: 3-line block ×4, first 2 shown]
	ds_load_b32 v49, v6 offset:24
	v_fmac_f32_e32 v35, v47, v48
	v_fmac_f32_e32 v20, v46, v24
	s_waitcnt lgkmcnt(0)
	v_and_b32_e32 v50, 0xffff, v49
	v_lshrrev_b32_e32 v49, 16, v49
	;;#ASMSTART
	v_cvt_f32_f16 v50, v50;
	;;#ASMEND
	;;#ASMSTART
	v_cvt_f32_f16 v49, v49;
	;;#ASMEND
	;; [unrolled: 3-line block ×4, first 2 shown]
	ds_load_b32 v52, v6 offset:28
	v_dual_fmac_f32 v35, v50, v51 :: v_dual_and_b32 v54, 0xffff, v26
	v_lshrrev_b32_e32 v26, 16, v26
	v_dual_fmac_f32 v20, v49, v25 :: v_dual_and_b32 v25, 0xffff, v34
	s_waitcnt lgkmcnt(0)
	v_and_b32_e32 v53, 0xffff, v52
	v_lshrrev_b32_e32 v52, 16, v52
	;;#ASMSTART
	v_cvt_f32_f16 v53, v53;
	;;#ASMEND
	;;#ASMSTART
	v_cvt_f32_f16 v52, v52;
	;;#ASMEND
	;; [unrolled: 3-line block ×4, first 2 shown]
	ds_load_b32 v55, v6 offset:32
	v_fmac_f32_e32 v35, v53, v54
	v_fmac_f32_e32 v20, v52, v26
	s_waitcnt lgkmcnt(0)
	v_and_b32_e32 v56, 0xffff, v55
	v_lshrrev_b32_e32 v55, 16, v55
	;;#ASMSTART
	v_cvt_f32_f16 v56, v56;
	;;#ASMEND
	;;#ASMSTART
	v_cvt_f32_f16 v55, v55;
	;;#ASMEND
	;; [unrolled: 3-line block ×4, first 2 shown]
	ds_load_b32 v58, v6 offset:36
	v_dual_fmac_f32 v35, v56, v57 :: v_dual_and_b32 v60, 0xffff, v28
	v_lshrrev_b32_e32 v28, 16, v28
	v_fmac_f32_e32 v20, v55, v27
	v_cndmask_b32_e64 v27, v3, v13, s1
	v_cmp_gt_i32_e64 s1, 32, v15
	s_waitcnt lgkmcnt(0)
	v_and_b32_e32 v59, 0xffff, v58
	v_lshrrev_b32_e32 v58, 16, v58
	;;#ASMSTART
	v_cvt_f32_f16 v59, v59;
	;;#ASMEND
	;;#ASMSTART
	v_cvt_f32_f16 v58, v58;
	;;#ASMEND
	;; [unrolled: 3-line block ×4, first 2 shown]
	ds_load_b32 v61, v6 offset:40
	v_fmac_f32_e32 v35, v59, v60
	v_fmac_f32_e32 v20, v58, v28
	s_waitcnt vmcnt(0)
	v_lshrrev_b32_e32 v28, 16, v17
	s_waitcnt lgkmcnt(0)
	v_and_b32_e32 v62, 0xffff, v61
	v_lshrrev_b32_e32 v61, 16, v61
	;;#ASMSTART
	v_cvt_f32_f16 v62, v62;
	;;#ASMEND
	;;#ASMSTART
	v_cvt_f32_f16 v61, v61;
	;;#ASMEND
	;; [unrolled: 3-line block ×4, first 2 shown]
	ds_load_b32 v64, v6 offset:44
	v_dual_fmac_f32 v35, v62, v63 :: v_dual_fmac_f32 v20, v61, v29
	s_waitcnt lgkmcnt(0)
	v_and_b32_e32 v18, 0xffff, v64
	v_lshrrev_b32_e32 v19, 16, v64
	;;#ASMSTART
	v_cvt_f32_f16 v18, v18;
	;;#ASMEND
	v_and_b32_e32 v30, 0xffff, v31
	;;#ASMSTART
	v_cvt_f32_f16 v19, v19;
	;;#ASMEND
	;;#ASMSTART
	v_cvt_f32_f16 v21, v30;
	;;#ASMEND
	v_fmac_f32_e32 v35, v18, v21
	;;#ASMSTART
	v_cvt_f32_f16 v30, v33;
	;;#ASMEND
	ds_load_b32 v31, v6 offset:48
	s_waitcnt lgkmcnt(0)
	v_dual_fmac_f32 v20, v19, v30 :: v_dual_and_b32 v23, 0xffff, v31
	v_lshrrev_b32_e32 v24, 16, v31
	;;#ASMSTART
	v_cvt_f32_f16 v23, v23;
	;;#ASMEND
	;;#ASMSTART
	v_cvt_f32_f16 v24, v24;
	;;#ASMEND
	;; [unrolled: 3-line block ×4, first 2 shown]
	ds_load_b32 v26, v6 offset:52
	v_dual_fmac_f32 v20, v24, v22 :: v_dual_and_b32 v17, 0xffff, v17
	s_waitcnt lgkmcnt(0)
	v_dual_fmac_f32 v35, v23, v25 :: v_dual_and_b32 v18, 0xffff, v26
	v_lshrrev_b32_e32 v19, 16, v26
	;;#ASMSTART
	v_cvt_f32_f16 v18, v18;
	;;#ASMEND
	;;#ASMSTART
	v_cvt_f32_f16 v19, v19;
	;;#ASMEND
	;; [unrolled: 3-line block ×4, first 2 shown]
	v_fmac_f32_e32 v20, v19, v21
	v_cndmask_b32_e64 v19, v3, v15, s1
	v_fmac_f32_e32 v35, v18, v17
	s_delay_alu instid0(VALU_DEP_1)
	v_dual_add_f32 v18, v35, v20 :: v_dual_lshlrev_b32 v17, 2, v27
	ds_bpermute_b32 v17, v17, v18
	s_waitcnt lgkmcnt(0)
	v_dual_add_f32 v17, v18, v17 :: v_dual_lshlrev_b32 v18, 2, v19
	ds_bpermute_b32 v18, v18, v17
	s_and_saveexec_b32 s3, vcc_lo
	s_cbranch_execz .LBB87_9
; %bb.11:                               ;   in Loop: Header=BB87_10 Depth=1
	s_waitcnt lgkmcnt(0)
	v_add_f32_e32 v17, v17, v18
	v_add_nc_u32_e32 v19, s7, v7
	v_cmp_gt_i32_e64 s1, s33, v7
	s_delay_alu instid0(VALU_DEP_2) | instskip(NEXT) | instid1(VALU_DEP_1)
	v_cvt_f32_i32_e32 v19, v19
	v_mul_f32_e32 v19, s17, v19
	s_delay_alu instid0(VALU_DEP_1) | instskip(SKIP_1) | instid1(VALU_DEP_2)
	v_cndmask_b32_e64 v18, 0, v19, s0
	v_max_f32_e32 v19, v5, v5
	v_fmac_f32_e32 v18, s13, v17
	s_delay_alu instid0(VALU_DEP_1) | instskip(SKIP_1) | instid1(VALU_DEP_2)
	v_max_f32_e32 v17, v19, v18
	v_cndmask_b32_e64 v18, 0, v18, s1
	v_cndmask_b32_e64 v5, v5, v17, s1
	ds_store_b32 v8, v18
	s_branch .LBB87_9
.LBB87_12:
	s_or_b32 exec_lo, exec_lo, s31
.LBB87_13:
	s_delay_alu instid0(SALU_CYCLE_1) | instskip(SKIP_4) | instid1(VALU_DEP_4)
	s_or_b32 exec_lo, exec_lo, s30
	v_xor_b32_e32 v1, 16, v3
	v_xor_b32_e32 v6, 8, v3
	v_max_f32_e32 v7, v5, v5
	v_and_b32_e32 v15, 31, v0
	v_cmp_lt_i32_e32 vcc_lo, v1, v4
	v_cndmask_b32_e32 v1, v3, v1, vcc_lo
	v_cmp_lt_i32_e32 vcc_lo, v6, v4
	s_delay_alu instid0(VALU_DEP_2) | instskip(SKIP_2) | instid1(VALU_DEP_1)
	v_lshlrev_b32_e32 v2, 2, v1
	ds_bpermute_b32 v1, v2, v5
	v_cndmask_b32_e32 v5, v3, v6, vcc_lo
	v_lshlrev_b32_e32 v5, 2, v5
	s_waitcnt lgkmcnt(0)
	v_max_f32_e32 v1, v1, v1
	s_delay_alu instid0(VALU_DEP_1)
	v_max_f32_e32 v1, v7, v1
	v_xor_b32_e32 v7, 4, v3
	ds_bpermute_b32 v6, v5, v1
	v_cmp_lt_i32_e32 vcc_lo, v7, v4
	v_cndmask_b32_e32 v7, v3, v7, vcc_lo
	v_cmp_eq_u32_e32 vcc_lo, 0, v15
	s_delay_alu instid0(VALU_DEP_2) | instskip(SKIP_2) | instid1(VALU_DEP_1)
	v_lshlrev_b32_e32 v8, 2, v7
	s_waitcnt lgkmcnt(0)
	v_max_f32_e32 v6, v6, v6
	v_max_f32_e32 v1, v1, v6
	v_lshlrev_b32_e32 v6, 2, v14
	ds_bpermute_b32 v7, v8, v1
	s_and_saveexec_b32 s0, vcc_lo
	s_cbranch_execz .LBB87_15
; %bb.14:
	s_waitcnt lgkmcnt(0)
	v_max_f32_e32 v7, v7, v7
	v_max_f32_e32 v1, v1, v1
	s_delay_alu instid0(VALU_DEP_1)
	v_max_f32_e32 v1, v1, v7
	ds_store_b32 v6, v1 offset:224
.LBB87_15:
	s_or_b32 exec_lo, exec_lo, s0
	v_cmp_gt_u32_e64 s0, 4, v15
	v_mov_b32_e32 v1, 0xff7fffff
	s_waitcnt lgkmcnt(0)
	v_lshlrev_b32_e32 v7, 2, v15
	s_barrier
	buffer_gl0_inv
	s_and_saveexec_b32 s1, s0
	s_cbranch_execz .LBB87_17
; %bb.16:
	ds_load_b32 v1, v7 offset:224
.LBB87_17:
	s_or_b32 exec_lo, exec_lo, s1
	v_xor_b32_e32 v11, 2, v3
	v_xor_b32_e32 v13, 1, v3
	s_delay_alu instid0(VALU_DEP_2) | instskip(NEXT) | instid1(VALU_DEP_1)
	v_cmp_lt_i32_e64 s1, v11, v4
	v_cndmask_b32_e64 v11, v3, v11, s1
	s_delay_alu instid0(VALU_DEP_3) | instskip(NEXT) | instid1(VALU_DEP_2)
	v_cmp_lt_i32_e64 s1, v13, v4
	v_lshlrev_b32_e32 v11, 2, v11
	s_delay_alu instid0(VALU_DEP_2)
	v_cndmask_b32_e64 v4, v3, v13, s1
	v_lshlrev_b32_e32 v3, 2, v3
	s_sub_i32 s1, s23, s12
	v_mov_b32_e32 v13, 0
	s_waitcnt lgkmcnt(0)
	ds_bpermute_b32 v12, v11, v1
	v_dual_max_f32 v1, v1, v1 :: v_dual_lshlrev_b32 v4, 2, v4
	s_lshl_b32 s1, s1, 3
	s_delay_alu instid0(SALU_CYCLE_1) | instskip(NEXT) | instid1(SALU_CYCLE_1)
	s_add_i32 s1, s1, s34
	s_min_i32 s1, s1, s33
	s_delay_alu instid0(SALU_CYCLE_1) | instskip(NEXT) | instid1(SALU_CYCLE_1)
	s_sub_i32 s7, s1, s34
	v_cmp_gt_i32_e64 s1, s7, v0
	s_waitcnt lgkmcnt(0)
	v_max_f32_e32 v12, v12, v12
	s_delay_alu instid0(VALU_DEP_1) | instskip(SKIP_3) | instid1(VALU_DEP_1)
	v_max_f32_e32 v1, v1, v12
	ds_bpermute_b32 v12, v4, v1
	s_waitcnt lgkmcnt(0)
	v_max_f32_e32 v12, v12, v12
	v_dual_max_f32 v1, v1, v12 :: v_dual_and_b32 v12, 0xffffff80, v3
	v_lshl_add_u32 v3, v0, 2, 0x100
	ds_bpermute_b32 v1, v12, v1
	s_and_saveexec_b32 s12, s1
	s_cbranch_execz .LBB87_21
; %bb.18:
	v_lshl_add_u32 v16, v0, 2, 0x100
	v_mov_b32_e32 v13, 0
	v_mov_b32_e32 v17, v0
	s_mov_b32 s13, 0
	.p2align	6
.LBB87_19:                              ; =>This Inner Loop Header: Depth=1
	ds_load_b32 v18, v16
	v_add_nc_u32_e32 v17, 0x80, v17
	s_delay_alu instid0(VALU_DEP_1) | instskip(NEXT) | instid1(VALU_DEP_1)
	v_cmp_le_i32_e64 s3, s7, v17
	s_or_b32 s13, s3, s13
	s_waitcnt lgkmcnt(0)
	v_sub_f32_e32 v18, v18, v1
	s_delay_alu instid0(VALU_DEP_1) | instskip(NEXT) | instid1(VALU_DEP_1)
	v_mul_f32_e32 v18, 0x3fb8aa3b, v18
	v_exp_f32_e32 v18, v18
	ds_store_b32 v16, v18
	v_dual_add_f32 v13, v13, v18 :: v_dual_add_nc_u32 v16, 0x200, v16
	s_and_not1_b32 exec_lo, exec_lo, s13
	s_cbranch_execnz .LBB87_19
; %bb.20:
	s_or_b32 exec_lo, exec_lo, s13
.LBB87_21:
	s_delay_alu instid0(SALU_CYCLE_1)
	s_or_b32 exec_lo, exec_lo, s12
	ds_bpermute_b32 v2, v2, v13
	s_waitcnt lgkmcnt(0)
	v_add_f32_e32 v2, v13, v2
	ds_bpermute_b32 v5, v5, v2
	s_waitcnt lgkmcnt(0)
	v_add_f32_e32 v2, v2, v5
	;; [unrolled: 3-line block ×5, first 2 shown]
	s_and_saveexec_b32 s3, vcc_lo
	s_cbranch_execz .LBB87_23
; %bb.22:
	ds_store_b32 v6, v2 offset:240
.LBB87_23:
	s_or_b32 exec_lo, exec_lo, s3
	s_waitcnt lgkmcnt(0)
	s_barrier
	buffer_gl0_inv
	s_and_saveexec_b32 s3, s0
	s_cbranch_execz .LBB87_25
; %bb.24:
	ds_load_b32 v2, v7 offset:240
.LBB87_25:
	s_or_b32 exec_lo, exec_lo, s3
	s_waitcnt lgkmcnt(0)
	ds_bpermute_b32 v5, v11, v2
	s_waitcnt lgkmcnt(0)
	v_add_f32_e32 v2, v2, v5
	ds_bpermute_b32 v4, v4, v2
	s_waitcnt lgkmcnt(0)
	v_add_f32_e32 v2, v2, v4
	ds_bpermute_b32 v2, v12, v2
	s_and_saveexec_b32 s0, s1
	s_cbranch_execz .LBB87_28
; %bb.26:
	s_waitcnt lgkmcnt(0)
	v_add_f32_e32 v4, 0x358637bd, v2
	s_mov_b32 s1, 0
	s_delay_alu instid0(VALU_DEP_1) | instskip(SKIP_1) | instid1(VALU_DEP_2)
	v_div_scale_f32 v5, null, v4, v4, 1.0
	v_div_scale_f32 v8, vcc_lo, 1.0, v4, 1.0
	v_rcp_f32_e32 v6, v5
	s_waitcnt_depctr 0xfff
	v_fma_f32 v7, -v5, v6, 1.0
	s_delay_alu instid0(VALU_DEP_1) | instskip(NEXT) | instid1(VALU_DEP_1)
	v_fmac_f32_e32 v6, v7, v6
	v_mul_f32_e32 v7, v8, v6
	s_delay_alu instid0(VALU_DEP_1) | instskip(NEXT) | instid1(VALU_DEP_1)
	v_fma_f32 v11, -v5, v7, v8
	v_fmac_f32_e32 v7, v11, v6
	s_delay_alu instid0(VALU_DEP_1) | instskip(NEXT) | instid1(VALU_DEP_1)
	v_fma_f32 v5, -v5, v7, v8
	v_div_fmas_f32 v5, v5, v6, v7
	s_delay_alu instid0(VALU_DEP_1)
	v_div_fixup_f32 v4, v5, v4, 1.0
	v_mov_b32_e32 v5, v0
.LBB87_27:                              ; =>This Inner Loop Header: Depth=1
	ds_load_b32 v6, v3
	s_waitcnt lgkmcnt(0)
	v_dual_mul_f32 v6, v4, v6 :: v_dual_add_nc_u32 v5, 0x80, v5
	s_delay_alu instid0(VALU_DEP_1) | instskip(SKIP_3) | instid1(SALU_CYCLE_1)
	v_cmp_le_i32_e32 vcc_lo, s7, v5
	ds_store_b32 v3, v6
	v_add_nc_u32_e32 v3, 0x200, v3
	s_or_b32 s1, vcc_lo, s1
	s_and_not1_b32 exec_lo, exec_lo, s1
	s_cbranch_execnz .LBB87_27
.LBB87_28:
	s_or_b32 exec_lo, exec_lo, s0
	s_mul_i32 s0, s19, s14
	s_mov_b32 s12, 0
	s_mul_i32 s30, s0, s15
	s_mov_b32 s0, exec_lo
	s_waitcnt lgkmcnt(0)
	s_barrier
	buffer_gl0_inv
	v_cmpx_eq_u32_e32 0, v0
	s_cbranch_execz .LBB87_30
; %bb.29:
	s_ashr_i32 s31, s30, 31
	s_mul_i32 s36, s19, s22
	s_lshl_b64 s[14:15], s[30:31], 2
	v_mov_b32_e32 v3, 0
	s_add_u32 s1, s10, s14
	s_addc_u32 s3, s11, s15
	s_ashr_i32 s37, s36, 31
	s_delay_alu instid0(SALU_CYCLE_1) | instskip(NEXT) | instid1(SALU_CYCLE_1)
	s_lshl_b64 s[10:11], s[36:37], 2
	s_add_u32 s1, s1, s10
	s_addc_u32 s3, s3, s11
	s_ashr_i32 s17, s16, 31
	s_delay_alu instid0(SALU_CYCLE_1) | instskip(NEXT) | instid1(SALU_CYCLE_1)
	s_lshl_b64 s[36:37], s[16:17], 2
	s_add_u32 s38, s1, s36
	s_addc_u32 s39, s3, s37
	s_add_u32 s1, s8, s14
	s_addc_u32 s3, s9, s15
	;; [unrolled: 2-line block ×4, first 2 shown]
	s_clause 0x1
	global_store_b32 v3, v1, s[38:39]
	global_store_b32 v3, v2, s[8:9]
.LBB87_30:
	s_or_b32 exec_lo, exec_lo, s0
	s_mov_b32 s13, s12
	s_mov_b32 s14, s12
	;; [unrolled: 1-line block ×3, first 2 shown]
	v_dual_mov_b32 v1, s12 :: v_dual_mov_b32 v2, s13
	v_dual_mov_b32 v3, s14 :: v_dual_mov_b32 v4, s15
	s_and_saveexec_b32 s3, s2
	s_cbranch_execz .LBB87_44
; %bb.31:
	s_ashr_i32 s7, s6, 31
	v_or_b32_e32 v1, 0x60, v15
	s_lshl_b64 s[0:1], s[6:7], 1
	s_mov_b32 s2, s5
	s_add_u32 s8, s28, s0
	s_addc_u32 s9, s29, s1
	s_add_i32 s10, s4, -1
	s_mov_b32 s4, 0
	v_cmp_gt_u32_e32 vcc_lo, 0x70, v1
	s_mov_b32 s5, s4
	s_mov_b32 s6, s4
	;; [unrolled: 1-line block ×3, first 2 shown]
	v_lshlrev_b32_e32 v6, 3, v1
	v_lshlrev_b64 v[1:2], 2, v[9:10]
	s_lshl_b64 s[0:1], s[26:27], 2
	v_lshlrev_b32_e32 v5, 3, v15
	s_add_u32 s0, s24, s0
	s_addc_u32 s1, s25, s1
	v_lshl_add_u32 v16, v14, 3, s34
	v_add_co_u32 v10, s0, s0, v1
	s_delay_alu instid0(VALU_DEP_1)
	v_add_co_ci_u32_e64 v11, s0, s1, v2, s0
	v_dual_mov_b32 v1, s4 :: v_dual_mov_b32 v2, s5
	v_lshl_add_u32 v17, v14, 5, 0x100
	v_dual_mov_b32 v3, s6 :: v_dual_mov_b32 v4, s7
	v_lshlrev_b32_e32 v18, 1, v5
	v_lshlrev_b32_e32 v19, 1, v6
	s_mov_b32 s11, s33
	s_mov_b32 s12, s33
	;; [unrolled: 1-line block ×7, first 2 shown]
	s_branch .LBB87_34
.LBB87_32:                              ;   in Loop: Header=BB87_34 Depth=1
	s_or_b32 exec_lo, exec_lo, s1
	s_waitcnt vmcnt(0)
	;;#ASMSTART
	v_pk_mul_f16 v5, v25, v5;

	;;#ASMEND
	;;#ASMSTART
	v_pk_mul_f16 v6, v24, v6;

	;;#ASMEND
	;; [unrolled: 4-line block ×4, first 2 shown]
	;;#ASMSTART
	v_pk_add_f16 v5, v5, v6;

	;;#ASMEND
	;;#ASMSTART
	v_pk_add_f16 v5, v5, v7;

	;;#ASMEND
	;; [unrolled: 4-line block ×3, first 2 shown]
	v_and_b32_e32 v6, 0xffff, v5
	v_lshrrev_b32_e32 v5, 16, v5
	;;#ASMSTART
	v_cvt_f32_f16 v6, v6;
	;;#ASMEND
	;;#ASMSTART
	v_cvt_f32_f16 v5, v5;
	;;#ASMEND
	s_delay_alu instid0(VALU_DEP_1) | instskip(NEXT) | instid1(VALU_DEP_1)
	v_add_f32_e32 v5, v6, v5
	v_add_f32_e32 v4, v4, v5
.LBB87_33:                              ;   in Loop: Header=BB87_34 Depth=1
	s_or_b32 exec_lo, exec_lo, s15
	v_add_nc_u32_e32 v9, 4, v9
	v_add_co_u32 v10, s1, v10, 16
	v_add_nc_u32_e32 v16, 32, v16
	v_add_nc_u32_e32 v17, 0x80, v17
	s_delay_alu instid0(VALU_DEP_4) | instskip(SKIP_1) | instid1(VALU_DEP_2)
	v_cmp_le_i32_e64 s0, s23, v9
	v_add_co_ci_u32_e64 v11, s1, 0, v11, s1
	s_or_b32 s4, s0, s4
	s_delay_alu instid0(SALU_CYCLE_1)
	s_and_not1_b32 exec_lo, exec_lo, s4
	s_cbranch_execz .LBB87_43
.LBB87_34:                              ; =>This Inner Loop Header: Depth=1
	global_load_b32 v20, v[10:11], off
	ds_load_2addr_b64 v[5:8], v17 offset1:1
	ds_load_2addr_b64 v[28:31], v17 offset0:2 offset1:3
	s_waitcnt lgkmcnt(1)
	;;#ASMSTART
	v_cvt_f16_f32 v24, v5;

	;;#ASMEND
	;;#ASMSTART
	v_cvt_f16_f32 v22, v6;

	;;#ASMEND
	;;#ASMSTART
	v_cvt_f16_f32 v25, v7;

	;;#ASMEND
	;;#ASMSTART
	v_cvt_f16_f32 v23, v8;

	;;#ASMEND
	s_waitcnt lgkmcnt(0)
	;;#ASMSTART
	v_cvt_f16_f32 v28, v28;

	;;#ASMEND
	;;#ASMSTART
	v_cvt_f16_f32 v26, v29;

	;;#ASMEND
	;; [unrolled: 4-line block ×4, first 2 shown]
	s_waitcnt vmcnt(0)
	v_mad_i64_i32 v[12:13], null, v20, s2, 0
	s_delay_alu instid0(VALU_DEP_1) | instskip(NEXT) | instid1(VALU_DEP_1)
	v_lshlrev_b64 v[12:13], 1, v[12:13]
	v_add_co_u32 v20, s0, s8, v12
	s_delay_alu instid0(VALU_DEP_1) | instskip(NEXT) | instid1(VALU_DEP_2)
	v_add_co_ci_u32_e64 v21, s0, s9, v13, s0
	v_add_co_u32 v12, s0, v20, v18
	s_delay_alu instid0(VALU_DEP_1)
	v_add_co_ci_u32_e64 v13, s0, 0, v21, s0
	v_cmp_eq_u32_e64 s0, s10, v9
	global_load_b128 v[5:8], v[12:13], off
	s_and_saveexec_b32 s15, s0
	s_cbranch_execz .LBB87_36
; %bb.35:                               ;   in Loop: Header=BB87_34 Depth=1
	v_or_b32_e32 v34, 7, v16
	s_waitcnt vmcnt(0)
	v_lshrrev_b32_e32 v35, 16, v8
	v_or_b32_e32 v36, 6, v16
	v_or_b32_e32 v33, 5, v16
	;; [unrolled: 1-line block ×3, first 2 shown]
	v_cmp_gt_i32_e64 s1, s7, v34
	v_lshrrev_b32_e32 v38, 16, v7
	v_or_b32_e32 v31, 3, v16
	v_or_b32_e32 v32, 2, v16
	v_add_nc_u32_e32 v30, 1, v16
	v_cndmask_b32_e64 v34, 0, v35, s1
	v_cmp_gt_i32_e64 s1, s6, v36
	v_lshrrev_b32_e32 v35, 16, v6
	v_lshrrev_b32_e32 v36, 16, v5
	s_delay_alu instid0(VALU_DEP_3) | instskip(SKIP_1) | instid1(VALU_DEP_2)
	v_cndmask_b32_e64 v8, 0, v8, s1
	v_cmp_gt_i32_e64 s1, s5, v33
	v_perm_b32 v8, v34, v8, 0x5040100
	s_delay_alu instid0(VALU_DEP_2) | instskip(SKIP_1) | instid1(VALU_DEP_1)
	v_cndmask_b32_e64 v33, 0, v38, s1
	v_cmp_gt_i32_e64 s1, s14, v37
	v_cndmask_b32_e64 v7, 0, v7, s1
	v_cmp_gt_i32_e64 s1, s13, v31
	s_delay_alu instid0(VALU_DEP_2) | instskip(NEXT) | instid1(VALU_DEP_2)
	v_perm_b32 v7, v33, v7, 0x5040100
	v_cndmask_b32_e64 v31, 0, v35, s1
	v_cmp_gt_i32_e64 s1, s12, v32
	s_delay_alu instid0(VALU_DEP_1) | instskip(SKIP_1) | instid1(VALU_DEP_2)
	v_cndmask_b32_e64 v6, 0, v6, s1
	v_cmp_gt_i32_e64 s1, s11, v30
	v_perm_b32 v6, v31, v6, 0x5040100
	s_delay_alu instid0(VALU_DEP_2) | instskip(SKIP_1) | instid1(VALU_DEP_1)
	v_cndmask_b32_e64 v30, 0, v36, s1
	v_cmp_gt_i32_e64 s1, s33, v16
	v_cndmask_b32_e64 v5, 0, v5, s1
	s_delay_alu instid0(VALU_DEP_1)
	v_perm_b32 v5, v30, v5, 0x5040100
.LBB87_36:                              ;   in Loop: Header=BB87_34 Depth=1
	s_or_b32 exec_lo, exec_lo, s15
	v_and_b32_e32 v24, 0xffff, v24
	v_and_b32_e32 v30, 0xffff, v25
	;; [unrolled: 1-line block ×4, first 2 shown]
	s_delay_alu instid0(VALU_DEP_4)
	v_lshl_or_b32 v25, v22, 16, v24
	s_waitcnt vmcnt(0)
	;;#ASMSTART
	v_pk_mul_f16 v5, v25, v5;

	;;#ASMEND
	v_lshl_or_b32 v24, v23, 16, v30
	v_lshl_or_b32 v23, v26, 16, v28
	;; [unrolled: 1-line block ×3, first 2 shown]
	;;#ASMSTART
	v_pk_mul_f16 v6, v24, v6;

	;;#ASMEND
	;;#ASMSTART
	v_pk_mul_f16 v7, v23, v7;

	;;#ASMEND
	;; [unrolled: 4-line block ×3, first 2 shown]
	;;#ASMSTART
	v_pk_add_f16 v5, v5, v6;

	;;#ASMEND
	;;#ASMSTART
	v_pk_add_f16 v5, v5, v7;

	;;#ASMEND
	;; [unrolled: 4-line block ×3, first 2 shown]
	v_and_b32_e32 v6, 0xffff, v5
	v_lshrrev_b32_e32 v5, 16, v5
	;;#ASMSTART
	v_cvt_f32_f16 v26, v6;
	;;#ASMEND
	;;#ASMSTART
	v_cvt_f32_f16 v27, v5;
	;;#ASMEND
	global_load_b128 v[5:8], v[12:13], off offset:512
	s_and_saveexec_b32 s15, s0
	s_cbranch_execz .LBB87_38
; %bb.37:                               ;   in Loop: Header=BB87_34 Depth=1
	v_or_b32_e32 v32, 7, v16
	s_waitcnt vmcnt(0)
	v_lshrrev_b32_e32 v33, 16, v8
	v_or_b32_e32 v34, 6, v16
	v_or_b32_e32 v31, 5, v16
	;; [unrolled: 1-line block ×3, first 2 shown]
	v_cmp_gt_i32_e64 s1, s7, v32
	v_lshrrev_b32_e32 v36, 16, v7
	v_or_b32_e32 v29, 3, v16
	v_or_b32_e32 v30, 2, v16
	v_add_nc_u32_e32 v28, 1, v16
	v_cndmask_b32_e64 v32, 0, v33, s1
	v_cmp_gt_i32_e64 s1, s6, v34
	v_lshrrev_b32_e32 v33, 16, v6
	v_lshrrev_b32_e32 v34, 16, v5
	s_delay_alu instid0(VALU_DEP_3) | instskip(SKIP_1) | instid1(VALU_DEP_2)
	v_cndmask_b32_e64 v8, 0, v8, s1
	v_cmp_gt_i32_e64 s1, s5, v31
	v_perm_b32 v8, v32, v8, 0x5040100
	s_delay_alu instid0(VALU_DEP_2) | instskip(SKIP_1) | instid1(VALU_DEP_1)
	v_cndmask_b32_e64 v31, 0, v36, s1
	v_cmp_gt_i32_e64 s1, s14, v35
	v_cndmask_b32_e64 v7, 0, v7, s1
	v_cmp_gt_i32_e64 s1, s13, v29
	s_delay_alu instid0(VALU_DEP_2) | instskip(NEXT) | instid1(VALU_DEP_2)
	v_perm_b32 v7, v31, v7, 0x5040100
	v_cndmask_b32_e64 v29, 0, v33, s1
	v_cmp_gt_i32_e64 s1, s12, v30
	s_delay_alu instid0(VALU_DEP_1) | instskip(SKIP_1) | instid1(VALU_DEP_2)
	v_cndmask_b32_e64 v6, 0, v6, s1
	v_cmp_gt_i32_e64 s1, s11, v28
	v_perm_b32 v6, v29, v6, 0x5040100
	s_delay_alu instid0(VALU_DEP_2) | instskip(SKIP_1) | instid1(VALU_DEP_1)
	v_cndmask_b32_e64 v28, 0, v34, s1
	v_cmp_gt_i32_e64 s1, s33, v16
	v_cndmask_b32_e64 v5, 0, v5, s1
	s_delay_alu instid0(VALU_DEP_1)
	v_perm_b32 v5, v28, v5, 0x5040100
.LBB87_38:                              ;   in Loop: Header=BB87_34 Depth=1
	s_or_b32 exec_lo, exec_lo, s15
	s_waitcnt vmcnt(0)
	;;#ASMSTART
	v_pk_mul_f16 v5, v25, v5;

	;;#ASMEND
	;;#ASMSTART
	v_pk_mul_f16 v6, v24, v6;

	;;#ASMEND
	;;#ASMSTART
	v_pk_mul_f16 v7, v23, v7;

	;;#ASMEND
	;;#ASMSTART
	v_pk_mul_f16 v8, v22, v8;

	;;#ASMEND
	;;#ASMSTART
	v_pk_add_f16 v5, v5, v6;

	;;#ASMEND
	;;#ASMSTART
	v_pk_add_f16 v5, v5, v7;

	;;#ASMEND
	;; [unrolled: 4-line block ×3, first 2 shown]
	v_and_b32_e32 v6, 0xffff, v5
	v_lshrrev_b32_e32 v5, 16, v5
	;;#ASMSTART
	v_cvt_f32_f16 v28, v6;
	;;#ASMEND
	;;#ASMSTART
	v_cvt_f32_f16 v29, v5;
	;;#ASMEND
	global_load_b128 v[5:8], v[12:13], off offset:1024
	s_and_saveexec_b32 s15, s0
	s_cbranch_execz .LBB87_40
; %bb.39:                               ;   in Loop: Header=BB87_34 Depth=1
	v_or_b32_e32 v32, 7, v16
	s_waitcnt vmcnt(0)
	v_lshrrev_b32_e32 v33, 16, v8
	v_or_b32_e32 v34, 6, v16
	v_or_b32_e32 v31, 5, v16
	;; [unrolled: 1-line block ×3, first 2 shown]
	v_cmp_gt_i32_e64 s1, s7, v32
	v_lshrrev_b32_e32 v36, 16, v7
	v_or_b32_e32 v13, 3, v16
	v_or_b32_e32 v30, 2, v16
	v_add_nc_u32_e32 v12, 1, v16
	v_cndmask_b32_e64 v32, 0, v33, s1
	v_cmp_gt_i32_e64 s1, s6, v34
	v_lshrrev_b32_e32 v33, 16, v6
	v_lshrrev_b32_e32 v34, 16, v5
	s_delay_alu instid0(VALU_DEP_3) | instskip(SKIP_1) | instid1(VALU_DEP_2)
	v_cndmask_b32_e64 v8, 0, v8, s1
	v_cmp_gt_i32_e64 s1, s5, v31
	v_perm_b32 v8, v32, v8, 0x5040100
	s_delay_alu instid0(VALU_DEP_2) | instskip(SKIP_1) | instid1(VALU_DEP_1)
	v_cndmask_b32_e64 v31, 0, v36, s1
	v_cmp_gt_i32_e64 s1, s14, v35
	v_cndmask_b32_e64 v7, 0, v7, s1
	v_cmp_gt_i32_e64 s1, s13, v13
	s_delay_alu instid0(VALU_DEP_2) | instskip(NEXT) | instid1(VALU_DEP_2)
	v_perm_b32 v7, v31, v7, 0x5040100
	v_cndmask_b32_e64 v13, 0, v33, s1
	v_cmp_gt_i32_e64 s1, s12, v30
	s_delay_alu instid0(VALU_DEP_1) | instskip(SKIP_1) | instid1(VALU_DEP_2)
	v_cndmask_b32_e64 v6, 0, v6, s1
	v_cmp_gt_i32_e64 s1, s11, v12
	v_perm_b32 v6, v13, v6, 0x5040100
	s_delay_alu instid0(VALU_DEP_2) | instskip(SKIP_1) | instid1(VALU_DEP_1)
	v_cndmask_b32_e64 v12, 0, v34, s1
	v_cmp_gt_i32_e64 s1, s33, v16
	v_cndmask_b32_e64 v5, 0, v5, s1
	s_delay_alu instid0(VALU_DEP_1)
	v_perm_b32 v5, v12, v5, 0x5040100
.LBB87_40:                              ;   in Loop: Header=BB87_34 Depth=1
	s_or_b32 exec_lo, exec_lo, s15
	s_waitcnt vmcnt(0)
	;;#ASMSTART
	v_pk_mul_f16 v5, v25, v5;

	;;#ASMEND
	;;#ASMSTART
	v_pk_mul_f16 v6, v24, v6;

	;;#ASMEND
	;; [unrolled: 4-line block ×4, first 2 shown]
	;;#ASMSTART
	v_pk_add_f16 v5, v5, v6;

	;;#ASMEND
	;;#ASMSTART
	v_pk_add_f16 v5, v5, v7;

	;;#ASMEND
	;; [unrolled: 4-line block ×3, first 2 shown]
	v_dual_add_f32 v7, v26, v27 :: v_dual_and_b32 v6, 0xffff, v5
	v_lshrrev_b32_e32 v5, 16, v5
	;;#ASMSTART
	v_cvt_f32_f16 v6, v6;
	;;#ASMEND
	;;#ASMSTART
	v_cvt_f32_f16 v5, v5;
	;;#ASMEND
	s_delay_alu instid0(VALU_DEP_2) | instskip(NEXT) | instid1(VALU_DEP_2)
	v_dual_add_f32 v8, v28, v29 :: v_dual_add_f32 v1, v1, v7
	v_add_f32_e32 v5, v6, v5
	s_delay_alu instid0(VALU_DEP_1)
	v_dual_add_f32 v2, v2, v8 :: v_dual_add_f32 v3, v3, v5
	s_and_saveexec_b32 s15, vcc_lo
	s_cbranch_execz .LBB87_33
; %bb.41:                               ;   in Loop: Header=BB87_34 Depth=1
	v_add_co_u32 v5, s1, v20, v19
	s_delay_alu instid0(VALU_DEP_1)
	v_add_co_ci_u32_e64 v6, s1, 0, v21, s1
	global_load_b128 v[5:8], v[5:6], off
	s_and_saveexec_b32 s1, s0
	s_cbranch_execz .LBB87_32
; %bb.42:                               ;   in Loop: Header=BB87_34 Depth=1
	v_or_b32_e32 v26, 7, v16
	s_waitcnt vmcnt(0)
	v_lshrrev_b32_e32 v27, 16, v8
	v_or_b32_e32 v28, 6, v16
	v_or_b32_e32 v21, 5, v16
	v_or_b32_e32 v29, 4, v16
	v_cmp_gt_i32_e64 s0, s7, v26
	v_lshrrev_b32_e32 v30, 16, v7
	v_or_b32_e32 v13, 3, v16
	v_or_b32_e32 v20, 2, v16
	v_add_nc_u32_e32 v12, 1, v16
	v_cndmask_b32_e64 v26, 0, v27, s0
	v_cmp_gt_i32_e64 s0, s6, v28
	v_lshrrev_b32_e32 v27, 16, v6
	v_lshrrev_b32_e32 v28, 16, v5
	s_delay_alu instid0(VALU_DEP_3) | instskip(SKIP_1) | instid1(VALU_DEP_2)
	v_cndmask_b32_e64 v8, 0, v8, s0
	v_cmp_gt_i32_e64 s0, s5, v21
	v_perm_b32 v8, v26, v8, 0x5040100
	s_delay_alu instid0(VALU_DEP_2) | instskip(SKIP_1) | instid1(VALU_DEP_1)
	v_cndmask_b32_e64 v21, 0, v30, s0
	v_cmp_gt_i32_e64 s0, s14, v29
	v_cndmask_b32_e64 v7, 0, v7, s0
	v_cmp_gt_i32_e64 s0, s13, v13
	s_delay_alu instid0(VALU_DEP_2) | instskip(NEXT) | instid1(VALU_DEP_2)
	v_perm_b32 v7, v21, v7, 0x5040100
	v_cndmask_b32_e64 v13, 0, v27, s0
	v_cmp_gt_i32_e64 s0, s12, v20
	s_delay_alu instid0(VALU_DEP_1) | instskip(SKIP_1) | instid1(VALU_DEP_2)
	v_cndmask_b32_e64 v6, 0, v6, s0
	v_cmp_gt_i32_e64 s0, s11, v12
	v_perm_b32 v6, v13, v6, 0x5040100
	s_delay_alu instid0(VALU_DEP_2) | instskip(SKIP_1) | instid1(VALU_DEP_1)
	v_cndmask_b32_e64 v12, 0, v28, s0
	v_cmp_gt_i32_e64 s0, s33, v16
	v_cndmask_b32_e64 v5, 0, v5, s0
	s_delay_alu instid0(VALU_DEP_1)
	v_perm_b32 v5, v12, v5, 0x5040100
	s_branch .LBB87_32
.LBB87_43:
	s_or_b32 exec_lo, exec_lo, s4
.LBB87_44:
	s_delay_alu instid0(SALU_CYCLE_1)
	s_or_b32 exec_lo, exec_lo, s3
	v_and_b32_e32 v5, 0x3c0, v0
	s_movk_i32 s0, 0x1c0
	s_waitcnt_vscnt null, 0x0
	v_mad_u32_u24 v6, v14, s0, 0x100
	s_barrier
	v_cmp_eq_u32_e32 vcc_lo, 64, v5
	v_or_b32_e32 v5, 0x60, v0
	buffer_gl0_inv
	s_and_saveexec_b32 s0, vcc_lo
	s_cbranch_execz .LBB87_47
; %bb.45:
	v_add_nc_u32_e32 v7, 0xfffffc80, v6
	v_cmp_gt_u32_e32 vcc_lo, 0x70, v5
	s_delay_alu instid0(VALU_DEP_2)
	v_lshl_add_u32 v8, v15, 2, v7
	ds_store_2addr_b32 v8, v1, v2 offset1:32
	ds_store_b32 v8, v3 offset:256
	s_and_b32 exec_lo, exec_lo, vcc_lo
	s_cbranch_execz .LBB87_47
; %bb.46:
	v_lshl_add_u32 v7, v5, 2, v7
	ds_store_b32 v7, v4
.LBB87_47:
	s_or_b32 exec_lo, exec_lo, s0
	v_lshl_add_u32 v7, v15, 2, v6
	s_mov_b32 s0, exec_lo
	s_waitcnt lgkmcnt(0)
	s_barrier
	buffer_gl0_inv
	v_cmpx_gt_u32_e32 64, v0
	s_cbranch_execz .LBB87_51
; %bb.48:
	v_lshl_or_b32 v8, v0, 2, 0x80
	s_mov_b32 s1, exec_lo
	s_delay_alu instid0(VALU_DEP_1)
	v_add_nc_u32_e32 v10, v6, v8
	ds_load_2addr_stride64_b32 v[8:9], v7 offset1:1
	ds_load_b32 v10, v10
	s_waitcnt lgkmcnt(1)
	v_add_f32_e32 v3, v3, v9
	s_waitcnt lgkmcnt(0)
	v_dual_add_f32 v1, v1, v8 :: v_dual_add_f32 v2, v2, v10
	v_cmpx_gt_u32_e32 0x70, v5
	s_cbranch_execz .LBB87_50
; %bb.49:
	v_lshl_add_u32 v8, v5, 2, v6
	ds_load_b32 v8, v8
	s_waitcnt lgkmcnt(0)
	v_add_f32_e32 v4, v4, v8
.LBB87_50:
	s_or_b32 exec_lo, exec_lo, s1
.LBB87_51:
	s_delay_alu instid0(SALU_CYCLE_1)
	s_or_b32 exec_lo, exec_lo, s0
	v_and_b32_e32 v8, 0x3e0, v0
	s_mov_b32 s0, exec_lo
	s_barrier
	buffer_gl0_inv
	v_cmpx_eq_u32_e32 32, v8
	s_cbranch_execz .LBB87_54
; %bb.52:
	v_add_nc_u32_e32 v8, 0xfffffe40, v6
	v_cmp_gt_u32_e32 vcc_lo, 0x70, v5
	s_delay_alu instid0(VALU_DEP_2)
	v_lshl_add_u32 v9, v15, 2, v8
	v_lshl_add_u32 v10, v0, 2, v8
	ds_store_b32 v9, v1
	ds_store_b32 v10, v2
	ds_store_b32 v9, v3 offset:256
	s_and_b32 exec_lo, exec_lo, vcc_lo
	s_cbranch_execz .LBB87_54
; %bb.53:
	v_lshl_add_u32 v8, v5, 2, v8
	ds_store_b32 v8, v4
.LBB87_54:
	s_or_b32 exec_lo, exec_lo, s0
	v_cmp_gt_u32_e32 vcc_lo, 32, v0
	s_waitcnt lgkmcnt(0)
	s_barrier
	buffer_gl0_inv
	s_and_saveexec_b32 s1, vcc_lo
	s_cbranch_execz .LBB87_58
; %bb.55:
	v_lshl_add_u32 v6, v0, 2, v6
	s_mov_b32 s2, exec_lo
	ds_load_b32 v9, v7
	ds_load_2addr_b32 v[7:8], v6 offset0:32 offset1:64
	s_waitcnt lgkmcnt(0)
	v_dual_add_f32 v1, v1, v9 :: v_dual_add_f32 v2, v2, v7
	v_add_f32_e32 v3, v3, v8
	v_cmpx_gt_u32_e32 0x70, v5
	s_cbranch_execz .LBB87_57
; %bb.56:
	ds_load_b32 v6, v6 offset:384
	s_waitcnt lgkmcnt(0)
	v_add_f32_e32 v4, v4, v6
.LBB87_57:
	s_or_b32 exec_lo, exec_lo, s2
.LBB87_58:
	s_delay_alu instid0(SALU_CYCLE_1)
	s_or_b32 exec_lo, exec_lo, s1
	s_barrier
	buffer_gl0_inv
	s_and_saveexec_b32 s0, vcc_lo
	s_cbranch_execz .LBB87_61
; %bb.59:
	s_mul_i32 s0, s30, 0x70
	s_mul_i32 s2, s19, s18
	s_ashr_i32 s1, s0, 31
	v_lshlrev_b32_e32 v0, 1, v0
	s_lshl_b64 s[0:1], s[0:1], 1
	v_cmp_gt_u32_e32 vcc_lo, 0x70, v5
	s_add_u32 s4, s20, s0
	s_addc_u32 s5, s21, s1
	s_ashr_i32 s3, s2, 31
	;;#ASMSTART
	v_cvt_f16_f32 v1, v1;

	;;#ASMEND
	s_lshl_b64 s[0:1], s[2:3], 1
	s_mul_i32 s2, s16, 0x70
	s_add_u32 s4, s4, s0
	s_addc_u32 s5, s5, s1
	s_ashr_i32 s3, s2, 31
	s_delay_alu instid0(SALU_CYCLE_1) | instskip(NEXT) | instid1(SALU_CYCLE_1)
	s_lshl_b64 s[0:1], s[2:3], 1
	s_add_u32 s0, s4, s0
	s_addc_u32 s1, s5, s1
	global_store_b16 v0, v1, s[0:1]
	;;#ASMSTART
	v_cvt_f16_f32 v1, v2;

	;;#ASMEND
	global_store_b16 v0, v1, s[0:1] offset:64
	;;#ASMSTART
	v_cvt_f16_f32 v1, v3;

	;;#ASMEND
	global_store_b16 v0, v1, s[0:1] offset:128
	s_and_b32 exec_lo, exec_lo, vcc_lo
	s_cbranch_execz .LBB87_61
; %bb.60:
	v_add_co_u32 v0, s0, s0, v0
	s_delay_alu instid0(VALU_DEP_1)
	v_add_co_ci_u32_e64 v1, null, s1, 0, s0
	;;#ASMSTART
	v_cvt_f16_f32 v2, v4;

	;;#ASMEND
	global_store_b16 v[0:1], v2, off offset:192
.LBB87_61:
	s_nop 0
	s_sendmsg sendmsg(MSG_DEALLOC_VGPRS)
	s_endpgm
	.section	.rodata,"a",@progbits
	.p2align	6, 0x0
	.amdhsa_kernel _ZN4vllm25paged_attention_v2_kernelIttLi112ELi8ELi128ELNS_18Fp8KVCacheDataTypeE0ELb0ELi512EEEvPfS2_PT_PKS3_PKT0_S9_ifPKiSB_iPKfiiiSD_SD_iiiii
		.amdhsa_group_segment_fixed_size 256
		.amdhsa_private_segment_fixed_size 0
		.amdhsa_kernarg_size 400
		.amdhsa_user_sgpr_count 13
		.amdhsa_user_sgpr_dispatch_ptr 0
		.amdhsa_user_sgpr_queue_ptr 0
		.amdhsa_user_sgpr_kernarg_segment_ptr 1
		.amdhsa_user_sgpr_dispatch_id 0
		.amdhsa_user_sgpr_private_segment_size 0
		.amdhsa_wavefront_size32 1
		.amdhsa_uses_dynamic_stack 0
		.amdhsa_enable_private_segment 0
		.amdhsa_system_sgpr_workgroup_id_x 1
		.amdhsa_system_sgpr_workgroup_id_y 1
		.amdhsa_system_sgpr_workgroup_id_z 1
		.amdhsa_system_sgpr_workgroup_info 0
		.amdhsa_system_vgpr_workitem_id 0
		.amdhsa_next_free_vgpr 65
		.amdhsa_next_free_sgpr 40
		.amdhsa_reserve_vcc 1
		.amdhsa_float_round_mode_32 0
		.amdhsa_float_round_mode_16_64 0
		.amdhsa_float_denorm_mode_32 3
		.amdhsa_float_denorm_mode_16_64 3
		.amdhsa_dx10_clamp 1
		.amdhsa_ieee_mode 1
		.amdhsa_fp16_overflow 0
		.amdhsa_workgroup_processor_mode 1
		.amdhsa_memory_ordered 1
		.amdhsa_forward_progress 0
		.amdhsa_shared_vgpr_count 0
		.amdhsa_exception_fp_ieee_invalid_op 0
		.amdhsa_exception_fp_denorm_src 0
		.amdhsa_exception_fp_ieee_div_zero 0
		.amdhsa_exception_fp_ieee_overflow 0
		.amdhsa_exception_fp_ieee_underflow 0
		.amdhsa_exception_fp_ieee_inexact 0
		.amdhsa_exception_int_div_zero 0
	.end_amdhsa_kernel
	.section	.text._ZN4vllm25paged_attention_v2_kernelIttLi112ELi8ELi128ELNS_18Fp8KVCacheDataTypeE0ELb0ELi512EEEvPfS2_PT_PKS3_PKT0_S9_ifPKiSB_iPKfiiiSD_SD_iiiii,"axG",@progbits,_ZN4vllm25paged_attention_v2_kernelIttLi112ELi8ELi128ELNS_18Fp8KVCacheDataTypeE0ELb0ELi512EEEvPfS2_PT_PKS3_PKT0_S9_ifPKiSB_iPKfiiiSD_SD_iiiii,comdat
.Lfunc_end87:
	.size	_ZN4vllm25paged_attention_v2_kernelIttLi112ELi8ELi128ELNS_18Fp8KVCacheDataTypeE0ELb0ELi512EEEvPfS2_PT_PKS3_PKT0_S9_ifPKiSB_iPKfiiiSD_SD_iiiii, .Lfunc_end87-_ZN4vllm25paged_attention_v2_kernelIttLi112ELi8ELi128ELNS_18Fp8KVCacheDataTypeE0ELb0ELi512EEEvPfS2_PT_PKS3_PKT0_S9_ifPKiSB_iPKfiiiSD_SD_iiiii
                                        ; -- End function
	.section	.AMDGPU.csdata,"",@progbits
; Kernel info:
; codeLenInByte = 7512
; NumSgprs: 42
; NumVgprs: 65
; ScratchSize: 0
; MemoryBound: 0
; FloatMode: 240
; IeeeMode: 1
; LDSByteSize: 256 bytes/workgroup (compile time only)
; SGPRBlocks: 5
; VGPRBlocks: 8
; NumSGPRsForWavesPerEU: 42
; NumVGPRsForWavesPerEU: 65
; Occupancy: 16
; WaveLimiterHint : 1
; COMPUTE_PGM_RSRC2:SCRATCH_EN: 0
; COMPUTE_PGM_RSRC2:USER_SGPR: 13
; COMPUTE_PGM_RSRC2:TRAP_HANDLER: 0
; COMPUTE_PGM_RSRC2:TGID_X_EN: 1
; COMPUTE_PGM_RSRC2:TGID_Y_EN: 1
; COMPUTE_PGM_RSRC2:TGID_Z_EN: 1
; COMPUTE_PGM_RSRC2:TIDIG_COMP_CNT: 0
	.section	.text._ZN4vllm25paged_attention_v2_kernelIttLi120ELi8ELi128ELNS_18Fp8KVCacheDataTypeE0ELb0ELi512EEEvPfS2_PT_PKS3_PKT0_S9_ifPKiSB_iPKfiiiSD_SD_iiiii,"axG",@progbits,_ZN4vllm25paged_attention_v2_kernelIttLi120ELi8ELi128ELNS_18Fp8KVCacheDataTypeE0ELb0ELi512EEEvPfS2_PT_PKS3_PKT0_S9_ifPKiSB_iPKfiiiSD_SD_iiiii,comdat
	.protected	_ZN4vllm25paged_attention_v2_kernelIttLi120ELi8ELi128ELNS_18Fp8KVCacheDataTypeE0ELb0ELi512EEEvPfS2_PT_PKS3_PKT0_S9_ifPKiSB_iPKfiiiSD_SD_iiiii ; -- Begin function _ZN4vllm25paged_attention_v2_kernelIttLi120ELi8ELi128ELNS_18Fp8KVCacheDataTypeE0ELb0ELi512EEEvPfS2_PT_PKS3_PKT0_S9_ifPKiSB_iPKfiiiSD_SD_iiiii
	.globl	_ZN4vllm25paged_attention_v2_kernelIttLi120ELi8ELi128ELNS_18Fp8KVCacheDataTypeE0ELb0ELi512EEEvPfS2_PT_PKS3_PKT0_S9_ifPKiSB_iPKfiiiSD_SD_iiiii
	.p2align	8
	.type	_ZN4vllm25paged_attention_v2_kernelIttLi120ELi8ELi128ELNS_18Fp8KVCacheDataTypeE0ELb0ELi512EEEvPfS2_PT_PKS3_PKT0_S9_ifPKiSB_iPKfiiiSD_SD_iiiii,@function
_ZN4vllm25paged_attention_v2_kernelIttLi120ELi8ELi128ELNS_18Fp8KVCacheDataTypeE0ELb0ELi512EEEvPfS2_PT_PKS3_PKT0_S9_ifPKiSB_iPKfiiiSD_SD_iiiii: ; @_ZN4vllm25paged_attention_v2_kernelIttLi120ELi8ELi128ELNS_18Fp8KVCacheDataTypeE0ELb0ELi512EEEvPfS2_PT_PKS3_PKT0_S9_ifPKiSB_iPKfiiiSD_SD_iiiii
; %bb.0:
	s_load_b64 s[2:3], s[0:1], 0x40
	s_mov_b32 s16, s15
	s_ashr_i32 s15, s14, 31
	s_delay_alu instid0(SALU_CYCLE_1)
	s_lshl_b64 s[4:5], s[14:15], 2
	s_waitcnt lgkmcnt(0)
	s_add_u32 s2, s2, s4
	s_addc_u32 s3, s3, s5
	s_lshl_b32 s34, s16, 9
	s_load_b32 s33, s[2:3], 0x0
	s_waitcnt lgkmcnt(0)
	s_cmp_ge_i32 s34, s33
	s_cbranch_scc1 .LBB88_61
; %bb.1:
	s_mov_b32 s22, s13
	s_clause 0x1
	s_load_b32 s15, s[0:1], 0x90
	s_load_b64 s[12:13], s[0:1], 0x30
	s_mov_b32 s17, 0
	s_waitcnt lgkmcnt(0)
	s_abs_i32 s5, s15
	s_abs_i32 s2, s12
	s_delay_alu instid0(SALU_CYCLE_1) | instskip(SKIP_1) | instid1(VALU_DEP_1)
	v_cvt_f32_u32_e32 v1, s2
	s_sub_i32 s4, 0, s2
	v_rcp_iflag_f32_e32 v1, v1
	s_waitcnt_depctr 0xfff
	v_mul_f32_e32 v1, 0x4f7ffffe, v1
	s_delay_alu instid0(VALU_DEP_1) | instskip(NEXT) | instid1(VALU_DEP_1)
	v_cvt_u32_f32_e32 v1, v1
	v_readfirstlane_b32 s3, v1
	s_delay_alu instid0(VALU_DEP_1) | instskip(NEXT) | instid1(SALU_CYCLE_1)
	s_mul_i32 s4, s4, s3
	s_mul_hi_u32 s4, s3, s4
	s_delay_alu instid0(SALU_CYCLE_1) | instskip(SKIP_4) | instid1(SALU_CYCLE_1)
	s_add_i32 s3, s3, s4
	s_xor_b32 s4, s15, s12
	s_mul_hi_u32 s3, s5, s3
	s_ashr_i32 s4, s4, 31
	s_mul_i32 s6, s3, s2
	s_sub_i32 s5, s5, s6
	s_add_i32 s6, s3, 1
	s_sub_i32 s7, s5, s2
	s_cmp_ge_u32 s5, s2
	s_cselect_b32 s3, s6, s3
	s_cselect_b32 s5, s7, s5
	s_add_i32 s6, s3, 1
	s_cmp_ge_u32 s5, s2
	s_cselect_b32 s2, s6, s3
	s_abs_i32 s10, s22
	s_xor_b32 s2, s2, s4
	s_delay_alu instid0(SALU_CYCLE_1) | instskip(SKIP_2) | instid1(SALU_CYCLE_1)
	s_sub_i32 s11, s2, s4
	s_load_b64 s[2:3], s[0:1], 0x50
	s_abs_i32 s8, s11
	v_cvt_f32_u32_e32 v1, s8
	s_sub_i32 s5, 0, s8
	s_delay_alu instid0(VALU_DEP_1) | instskip(SKIP_2) | instid1(VALU_DEP_1)
	v_rcp_iflag_f32_e32 v1, v1
	s_waitcnt_depctr 0xfff
	v_mul_f32_e32 v1, 0x4f7ffffe, v1
	v_cvt_u32_f32_e32 v1, v1
	s_delay_alu instid0(VALU_DEP_1) | instskip(NEXT) | instid1(VALU_DEP_1)
	v_readfirstlane_b32 s4, v1
	s_mul_i32 s5, s5, s4
	s_delay_alu instid0(SALU_CYCLE_1) | instskip(NEXT) | instid1(SALU_CYCLE_1)
	s_mul_hi_u32 s5, s4, s5
	s_add_i32 s4, s4, s5
	s_waitcnt lgkmcnt(0)
	s_cmp_eq_u64 s[2:3], 0
	s_mul_hi_u32 s9, s10, s4
	s_cbranch_scc1 .LBB88_3
; %bb.2:
	s_ashr_i32 s23, s22, 31
	s_delay_alu instid0(SALU_CYCLE_1) | instskip(NEXT) | instid1(SALU_CYCLE_1)
	s_lshl_b64 s[4:5], s[22:23], 2
	s_add_u32 s2, s2, s4
	s_addc_u32 s3, s3, s5
	s_load_b32 s17, s[2:3], 0x0
.LBB88_3:
	s_load_b128 s[4:7], s[0:1], 0x58
	v_and_b32_e32 v1, 3, v0
	v_lshlrev_b32_e32 v2, 2, v0
	s_ashr_i32 s2, s22, 31
	s_ashr_i32 s3, s11, 31
	s_mul_i32 s18, s22, 0x78
	s_waitcnt lgkmcnt(0)
	s_mov_b32 s7, exec_lo
	v_cmpx_gt_u32_e32 60, v0
	s_cbranch_execz .LBB88_5
; %bb.4:
	s_load_b64 s[20:21], s[0:1], 0x18
	s_mul_i32 s24, s14, s4
	v_and_b32_e32 v4, 0x3fc, v0
	s_ashr_i32 s25, s24, 31
	s_delay_alu instid0(SALU_CYCLE_1) | instskip(NEXT) | instid1(VALU_DEP_1)
	s_lshl_b64 s[24:25], s[24:25], 1
	v_mad_u32_u24 v4, v1, 60, v4
	s_waitcnt lgkmcnt(0)
	s_add_u32 s4, s20, s24
	s_addc_u32 s11, s21, s25
	s_ashr_i32 s19, s18, 31
	s_delay_alu instid0(SALU_CYCLE_1) | instskip(NEXT) | instid1(SALU_CYCLE_1)
	s_lshl_b64 s[20:21], s[18:19], 1
	s_add_u32 s20, s4, s20
	s_addc_u32 s21, s11, s21
	global_load_b32 v3, v2, s[20:21]
	s_waitcnt vmcnt(0)
	ds_store_b32 v4, v3
.LBB88_5:
	s_or_b32 exec_lo, exec_lo, s7
	s_add_i32 s4, s33, 7
	s_clause 0x1
	s_load_b64 s[24:25], s[0:1], 0x38
	s_load_b32 s11, s[0:1], 0x48
	s_ashr_i32 s7, s4, 31
	s_lshl_b32 s12, s16, 6
	s_lshr_b32 s7, s7, 29
	s_xor_b32 s2, s2, s3
	s_add_i32 s4, s4, s7
	s_add_i32 s3, s12, 64
	s_ashr_i32 s4, s4, 3
	s_mul_i32 s7, s9, s8
	s_min_i32 s23, s3, s4
	s_sub_i32 s3, s10, s7
	s_add_i32 s7, s9, 1
	s_sub_i32 s10, s3, s8
	s_cmp_ge_u32 s3, s8
	v_lshrrev_b32_e32 v14, 5, v0
	s_cselect_b32 s7, s7, s9
	s_cselect_b32 s3, s10, s3
	s_add_i32 s9, s7, 1
	s_cmp_ge_u32 s3, s8
	v_or_b32_e32 v9, s12, v14
	s_cselect_b32 s3, s9, s7
	v_mbcnt_lo_u32_b32 v3, -1, 0
	s_xor_b32 s3, s3, s2
	s_waitcnt lgkmcnt(0)
	s_mul_i32 s26, s14, s11
	s_sub_i32 s3, s3, s2
	v_cmp_gt_i32_e64 s2, s23, v9
	s_ashr_i32 s27, s26, 31
	s_mov_b32 s8, exec_lo
	s_barrier
	buffer_gl0_inv
                                        ; implicit-def: $sgpr7
                                        ; implicit-def: $vgpr4
	v_cmpx_le_i32_e64 s23, v9
	s_xor_b32 s8, exec_lo, s8
; %bb.6:
	v_mbcnt_lo_u32_b32 v3, -1, 0
	v_mov_b32_e32 v4, 32
	s_mov_b32 s7, 0xff7fffff
                                        ; implicit-def: $vgpr2
                                        ; implicit-def: $vgpr1
; %bb.7:
	s_or_saveexec_b32 s30, s8
	s_clause 0x3
	s_load_b128 s[8:11], s[0:1], 0x0
	s_load_b64 s[20:21], s[0:1], 0x10
	s_load_b64 s[28:29], s[0:1], 0x28
	s_load_b32 s19, s[0:1], 0x98
	v_mov_b32_e32 v5, s7
	v_ashrrev_i32_e32 v10, 31, v9
	s_mul_i32 s6, s3, s6
	s_xor_b32 exec_lo, exec_lo, s30
	s_cbranch_execz .LBB88_13
; %bb.8:
	s_load_b64 s[36:37], s[0:1], 0x20
	v_bfe_u32 v4, v0, 2, 3
	s_ashr_i32 s7, s6, 31
	v_dual_mov_b32 v16, v9 :: v_dual_lshlrev_b32 v7, 3, v14
	s_lshl_b64 s[38:39], s[6:7], 1
	s_delay_alu instid0(VALU_DEP_2)
	v_lshlrev_b32_e32 v11, 4, v4
	v_and_b32_e32 v5, 12, v2
	v_lshlrev_b32_e32 v2, 2, v4
	v_add3_u32 v7, s34, v7, v4
	v_mul_u32_u24_e32 v6, 60, v1
	v_cmp_eq_u32_e32 vcc_lo, 0, v1
	v_cmp_neq_f32_e64 s0, s17, 0
	v_xor_b32_e32 v13, 2, v3
	v_xor_b32_e32 v15, 1, v3
	s_mov_b32 s35, s5
	s_waitcnt lgkmcnt(0)
	s_add_u32 s1, s36, s38
	s_addc_u32 s3, s37, s39
	v_add_co_u32 v4, s1, s1, v11
	s_delay_alu instid0(VALU_DEP_1) | instskip(SKIP_1) | instid1(VALU_DEP_2)
	v_add_co_ci_u32_e64 v12, null, s3, 0, s1
	s_lshl_b64 s[36:37], s[26:27], 2
	v_add_co_u32 v11, s1, v4, v5
	v_mov_b32_e32 v5, 0xff7fffff
	v_lshl_or_b32 v8, v14, 5, v2
	v_lshlrev_b64 v[1:2], 2, v[9:10]
	s_sub_i32 s7, 1, s33
	s_add_u32 s3, s24, s36
	v_add_co_ci_u32_e64 v12, s1, 0, v12, s1
	s_addc_u32 s31, s25, s37
	s_delay_alu instid0(VALU_DEP_2)
	v_add_co_u32 v1, s1, s3, v1
	v_add_nc_u32_e32 v8, 0x110, v8
	v_add_co_ci_u32_e64 v2, s1, s31, v2, s1
	v_mov_b32_e32 v4, 32
	s_mov_b32 s31, 0
	s_branch .LBB88_10
.LBB88_9:                               ;   in Loop: Header=BB88_10 Depth=1
	s_or_b32 exec_lo, exec_lo, s3
	v_add_nc_u32_e32 v16, 4, v16
	v_add_co_u32 v1, s3, v1, 16
	v_add_nc_u32_e32 v7, 32, v7
	v_add_nc_u32_e32 v8, 0x80, v8
	s_delay_alu instid0(VALU_DEP_4) | instskip(SKIP_1) | instid1(VALU_DEP_2)
	v_cmp_le_i32_e64 s1, s23, v16
	v_add_co_ci_u32_e64 v2, s3, 0, v2, s3
	s_or_b32 s31, s1, s31
	s_delay_alu instid0(SALU_CYCLE_1)
	s_and_not1_b32 exec_lo, exec_lo, s31
	s_cbranch_execz .LBB88_12
.LBB88_10:                              ; =>This Inner Loop Header: Depth=1
	global_load_b32 v19, v[1:2], off
	s_waitcnt vmcnt(0) lgkmcnt(0)
	v_mad_i64_i32 v[17:18], null, v19, s35, 0
	s_delay_alu instid0(VALU_DEP_1) | instskip(NEXT) | instid1(VALU_DEP_1)
	v_lshlrev_b64 v[17:18], 1, v[17:18]
	v_add_co_u32 v17, s1, v11, v17
	s_delay_alu instid0(VALU_DEP_1)
	v_add_co_ci_u32_e64 v18, s1, v12, v18, s1
	v_cmp_gt_i32_e64 s1, 32, v13
	s_clause 0xa
	global_load_b32 v19, v[17:18], off
	global_load_b32 v20, v[17:18], off offset:128
	global_load_b32 v21, v[17:18], off offset:256
	;; [unrolled: 1-line block ×10, first 2 shown]
	ds_load_b32 v30, v6
	s_clause 0x3
	global_load_b32 v33, v[17:18], off offset:1408
	global_load_b32 v34, v[17:18], off offset:1536
	;; [unrolled: 1-line block ×4, first 2 shown]
	s_waitcnt lgkmcnt(0)
	v_lshrrev_b32_e32 v31, 16, v30
	v_and_b32_e32 v30, 0xffff, v30
	;;#ASMSTART
	v_cvt_f32_f16 v18, v30;
	;;#ASMEND
	;;#ASMSTART
	v_cvt_f32_f16 v30, v31;
	;;#ASMEND
	s_waitcnt vmcnt(14)
	v_lshrrev_b32_e32 v32, 16, v19
	v_and_b32_e32 v19, 0xffff, v19
	;;#ASMSTART
	v_cvt_f32_f16 v19, v19;
	;;#ASMEND
	;;#ASMSTART
	v_cvt_f32_f16 v31, v32;
	;;#ASMEND
	ds_load_b32 v32, v6 offset:4
	s_waitcnt vmcnt(13)
	v_and_b32_e32 v37, 0xffff, v20
	v_lshrrev_b32_e32 v20, 16, v20
	s_waitcnt vmcnt(12)
	v_and_b32_e32 v40, 0xffff, v21
	v_lshrrev_b32_e32 v21, 16, v21
	;; [unrolled: 3-line block ×6, first 2 shown]
	s_waitcnt lgkmcnt(0)
	v_and_b32_e32 v36, 0xffff, v32
	v_lshrrev_b32_e32 v32, 16, v32
	;;#ASMSTART
	v_cvt_f32_f16 v36, v36;
	;;#ASMEND
	;;#ASMSTART
	v_cvt_f32_f16 v32, v32;
	;;#ASMEND
	;; [unrolled: 3-line block ×4, first 2 shown]
	ds_load_b32 v38, v6 offset:8
	v_mul_f32_e32 v36, v36, v37
	v_dual_mul_f32 v20, v32, v20 :: v_dual_and_b32 v43, 0xffff, v22
	v_lshrrev_b32_e32 v22, 16, v22
	s_delay_alu instid0(VALU_DEP_3) | instskip(NEXT) | instid1(VALU_DEP_3)
	v_fmac_f32_e32 v36, v18, v19
	v_fmac_f32_e32 v20, v30, v31
	s_waitcnt vmcnt(2)
	v_lshrrev_b32_e32 v18, 16, v34
	v_and_b32_e32 v30, 0xffff, v34
	s_waitcnt lgkmcnt(0)
	v_and_b32_e32 v39, 0xffff, v38
	v_lshrrev_b32_e32 v38, 16, v38
	;;#ASMSTART
	v_cvt_f32_f16 v39, v39;
	;;#ASMEND
	;;#ASMSTART
	v_cvt_f32_f16 v38, v38;
	;;#ASMEND
	;; [unrolled: 3-line block ×4, first 2 shown]
	ds_load_b32 v41, v6 offset:12
	v_dual_fmac_f32 v36, v39, v40 :: v_dual_and_b32 v55, 0xffff, v26
	v_lshrrev_b32_e32 v26, 16, v26
	v_fmac_f32_e32 v20, v38, v21
	s_waitcnt lgkmcnt(0)
	v_and_b32_e32 v42, 0xffff, v41
	v_lshrrev_b32_e32 v41, 16, v41
	;;#ASMSTART
	v_cvt_f32_f16 v42, v42;
	;;#ASMEND
	;;#ASMSTART
	v_cvt_f32_f16 v41, v41;
	;;#ASMEND
	;;#ASMSTART
	v_cvt_f32_f16 v43, v43;
	;;#ASMEND
	;;#ASMSTART
	v_cvt_f32_f16 v22, v22;
	;;#ASMEND
	ds_load_b32 v44, v6 offset:16
	v_dual_fmac_f32 v36, v42, v43 :: v_dual_and_b32 v49, 0xffff, v24
	v_lshrrev_b32_e32 v24, 16, v24
	v_dual_fmac_f32 v20, v41, v22 :: v_dual_and_b32 v61, 0xffff, v28
	v_lshrrev_b32_e32 v28, 16, v28
	s_waitcnt lgkmcnt(0)
	v_and_b32_e32 v45, 0xffff, v44
	v_lshrrev_b32_e32 v44, 16, v44
	;;#ASMSTART
	v_cvt_f32_f16 v45, v45;
	;;#ASMEND
	;;#ASMSTART
	v_cvt_f32_f16 v44, v44;
	;;#ASMEND
	;; [unrolled: 3-line block ×4, first 2 shown]
	ds_load_b32 v47, v6 offset:20
	v_fmac_f32_e32 v20, v44, v23
	s_waitcnt vmcnt(1)
	v_lshrrev_b32_e32 v23, 16, v35
	v_fmac_f32_e32 v36, v45, v46
	s_waitcnt lgkmcnt(0)
	v_and_b32_e32 v48, 0xffff, v47
	v_lshrrev_b32_e32 v47, 16, v47
	;;#ASMSTART
	v_cvt_f32_f16 v48, v48;
	;;#ASMEND
	;;#ASMSTART
	v_cvt_f32_f16 v47, v47;
	;;#ASMEND
	;; [unrolled: 3-line block ×4, first 2 shown]
	ds_load_b32 v50, v6 offset:24
	v_dual_fmac_f32 v20, v47, v24 :: v_dual_and_b32 v67, 0xffff, v33
	v_lshrrev_b32_e32 v33, 16, v33
	s_waitcnt lgkmcnt(0)
	v_dual_fmac_f32 v36, v48, v49 :: v_dual_and_b32 v51, 0xffff, v50
	v_lshrrev_b32_e32 v50, 16, v50
	;;#ASMSTART
	v_cvt_f32_f16 v51, v51;
	;;#ASMEND
	;;#ASMSTART
	v_cvt_f32_f16 v50, v50;
	;;#ASMEND
	;; [unrolled: 3-line block ×4, first 2 shown]
	ds_load_b32 v53, v6 offset:28
	v_fmac_f32_e32 v36, v51, v52
	v_fmac_f32_e32 v20, v50, v25
	s_waitcnt lgkmcnt(0)
	v_and_b32_e32 v54, 0xffff, v53
	v_lshrrev_b32_e32 v53, 16, v53
	;;#ASMSTART
	v_cvt_f32_f16 v54, v54;
	;;#ASMEND
	;;#ASMSTART
	v_cvt_f32_f16 v53, v53;
	;;#ASMEND
	;; [unrolled: 3-line block ×4, first 2 shown]
	ds_load_b32 v56, v6 offset:32
	v_fmac_f32_e32 v20, v53, v26
	v_and_b32_e32 v26, 0xffff, v35
	s_waitcnt lgkmcnt(0)
	v_and_b32_e32 v57, 0xffff, v56
	v_lshrrev_b32_e32 v56, 16, v56
	;;#ASMSTART
	v_cvt_f32_f16 v57, v57;
	;;#ASMEND
	;;#ASMSTART
	v_cvt_f32_f16 v56, v56;
	;;#ASMEND
	;; [unrolled: 3-line block ×4, first 2 shown]
	ds_load_b32 v59, v6 offset:36
	v_fmac_f32_e32 v20, v56, v27
	s_waitcnt lgkmcnt(0)
	v_and_b32_e32 v60, 0xffff, v59
	v_lshrrev_b32_e32 v59, 16, v59
	;;#ASMSTART
	v_cvt_f32_f16 v60, v60;
	;;#ASMEND
	;;#ASMSTART
	v_cvt_f32_f16 v59, v59;
	;;#ASMEND
	;; [unrolled: 3-line block ×4, first 2 shown]
	ds_load_b32 v62, v6 offset:40
	v_fmac_f32_e32 v20, v59, v28
	v_cndmask_b32_e64 v28, v3, v13, s1
	v_cmp_gt_i32_e64 s1, 32, v15
	s_waitcnt lgkmcnt(0)
	v_and_b32_e32 v63, 0xffff, v62
	v_lshrrev_b32_e32 v62, 16, v62
	;;#ASMSTART
	v_cvt_f32_f16 v63, v63;
	;;#ASMEND
	;;#ASMSTART
	v_cvt_f32_f16 v62, v62;
	;;#ASMEND
	;; [unrolled: 3-line block ×4, first 2 shown]
	ds_load_b32 v65, v6 offset:44
	v_fmac_f32_e32 v20, v62, v29
	s_waitcnt vmcnt(0)
	v_lshrrev_b32_e32 v29, 16, v17
	v_dual_fmac_f32 v36, v54, v55 :: v_dual_and_b32 v17, 0xffff, v17
	s_delay_alu instid0(VALU_DEP_1) | instskip(NEXT) | instid1(VALU_DEP_1)
	v_fmac_f32_e32 v36, v57, v58
	v_fmac_f32_e32 v36, v60, v61
	s_delay_alu instid0(VALU_DEP_1)
	v_fmac_f32_e32 v36, v63, v64
	s_waitcnt lgkmcnt(0)
	v_and_b32_e32 v66, 0xffff, v65
	v_lshrrev_b32_e32 v65, 16, v65
	;;#ASMSTART
	v_cvt_f32_f16 v66, v66;
	;;#ASMEND
	;;#ASMSTART
	v_cvt_f32_f16 v65, v65;
	;;#ASMEND
	;; [unrolled: 3-line block ×4, first 2 shown]
	ds_load_b32 v68, v6 offset:48
	v_fmac_f32_e32 v20, v65, v33
	s_waitcnt lgkmcnt(0)
	v_dual_fmac_f32 v36, v66, v67 :: v_dual_and_b32 v19, 0xffff, v68
	v_lshrrev_b32_e32 v21, 16, v68
	;;#ASMSTART
	v_cvt_f32_f16 v19, v19;
	;;#ASMEND
	;;#ASMSTART
	v_cvt_f32_f16 v21, v21;
	;;#ASMEND
	;; [unrolled: 3-line block ×4, first 2 shown]
	ds_load_b32 v30, v6 offset:52
	v_fmac_f32_e32 v36, v19, v22
	v_fmac_f32_e32 v20, v21, v18
	s_waitcnt lgkmcnt(0)
	v_and_b32_e32 v24, 0xffff, v30
	v_lshrrev_b32_e32 v25, 16, v30
	;;#ASMSTART
	v_cvt_f32_f16 v24, v24;
	;;#ASMEND
	;;#ASMSTART
	v_cvt_f32_f16 v25, v25;
	;;#ASMEND
	;; [unrolled: 3-line block ×4, first 2 shown]
	ds_load_b32 v27, v6 offset:56
	v_fmac_f32_e32 v36, v24, v26
	v_fmac_f32_e32 v20, v25, v23
	s_waitcnt lgkmcnt(0)
	v_and_b32_e32 v18, 0xffff, v27
	v_lshrrev_b32_e32 v19, 16, v27
	;;#ASMSTART
	v_cvt_f32_f16 v18, v18;
	;;#ASMEND
	;;#ASMSTART
	v_cvt_f32_f16 v19, v19;
	;;#ASMEND
	;;#ASMSTART
	v_cvt_f32_f16 v17, v17;
	;;#ASMEND
	;;#ASMSTART
	v_cvt_f32_f16 v21, v29;
	;;#ASMEND
	v_fmac_f32_e32 v36, v18, v17
	v_dual_fmac_f32 v20, v19, v21 :: v_dual_lshlrev_b32 v17, 2, v28
	v_cndmask_b32_e64 v19, v3, v15, s1
	s_delay_alu instid0(VALU_DEP_2)
	v_add_f32_e32 v18, v36, v20
	ds_bpermute_b32 v17, v17, v18
	s_waitcnt lgkmcnt(0)
	v_dual_add_f32 v17, v18, v17 :: v_dual_lshlrev_b32 v18, 2, v19
	ds_bpermute_b32 v18, v18, v17
	s_and_saveexec_b32 s3, vcc_lo
	s_cbranch_execz .LBB88_9
; %bb.11:                               ;   in Loop: Header=BB88_10 Depth=1
	s_waitcnt lgkmcnt(0)
	v_add_f32_e32 v17, v17, v18
	v_add_nc_u32_e32 v19, s7, v7
	v_cmp_gt_i32_e64 s1, s33, v7
	s_delay_alu instid0(VALU_DEP_2) | instskip(NEXT) | instid1(VALU_DEP_1)
	v_cvt_f32_i32_e32 v19, v19
	v_mul_f32_e32 v19, s17, v19
	s_delay_alu instid0(VALU_DEP_1) | instskip(SKIP_1) | instid1(VALU_DEP_2)
	v_cndmask_b32_e64 v18, 0, v19, s0
	v_max_f32_e32 v19, v5, v5
	v_fmac_f32_e32 v18, s13, v17
	s_delay_alu instid0(VALU_DEP_1) | instskip(SKIP_1) | instid1(VALU_DEP_2)
	v_max_f32_e32 v17, v19, v18
	v_cndmask_b32_e64 v18, 0, v18, s1
	v_cndmask_b32_e64 v5, v5, v17, s1
	ds_store_b32 v8, v18
	s_branch .LBB88_9
.LBB88_12:
	s_or_b32 exec_lo, exec_lo, s31
.LBB88_13:
	s_delay_alu instid0(SALU_CYCLE_1) | instskip(SKIP_4) | instid1(VALU_DEP_4)
	s_or_b32 exec_lo, exec_lo, s30
	v_xor_b32_e32 v1, 16, v3
	v_xor_b32_e32 v6, 8, v3
	v_max_f32_e32 v7, v5, v5
	v_and_b32_e32 v15, 31, v0
	v_cmp_lt_i32_e32 vcc_lo, v1, v4
	v_cndmask_b32_e32 v1, v3, v1, vcc_lo
	v_cmp_lt_i32_e32 vcc_lo, v6, v4
	s_delay_alu instid0(VALU_DEP_2) | instskip(SKIP_2) | instid1(VALU_DEP_1)
	v_lshlrev_b32_e32 v2, 2, v1
	ds_bpermute_b32 v1, v2, v5
	v_cndmask_b32_e32 v5, v3, v6, vcc_lo
	v_lshlrev_b32_e32 v5, 2, v5
	s_waitcnt lgkmcnt(0)
	v_max_f32_e32 v1, v1, v1
	s_delay_alu instid0(VALU_DEP_1)
	v_max_f32_e32 v1, v7, v1
	v_xor_b32_e32 v7, 4, v3
	ds_bpermute_b32 v6, v5, v1
	v_cmp_lt_i32_e32 vcc_lo, v7, v4
	v_cndmask_b32_e32 v7, v3, v7, vcc_lo
	v_cmp_eq_u32_e32 vcc_lo, 0, v15
	s_delay_alu instid0(VALU_DEP_2) | instskip(SKIP_2) | instid1(VALU_DEP_1)
	v_lshlrev_b32_e32 v8, 2, v7
	s_waitcnt lgkmcnt(0)
	v_max_f32_e32 v6, v6, v6
	v_max_f32_e32 v1, v1, v6
	v_lshlrev_b32_e32 v6, 2, v14
	ds_bpermute_b32 v7, v8, v1
	s_and_saveexec_b32 s0, vcc_lo
	s_cbranch_execz .LBB88_15
; %bb.14:
	s_waitcnt lgkmcnt(0)
	v_max_f32_e32 v7, v7, v7
	v_max_f32_e32 v1, v1, v1
	s_delay_alu instid0(VALU_DEP_1)
	v_max_f32_e32 v1, v1, v7
	ds_store_b32 v6, v1 offset:240
.LBB88_15:
	s_or_b32 exec_lo, exec_lo, s0
	v_cmp_gt_u32_e64 s0, 4, v15
	v_mov_b32_e32 v1, 0xff7fffff
	s_waitcnt lgkmcnt(0)
	v_lshlrev_b32_e32 v7, 2, v15
	s_barrier
	buffer_gl0_inv
	s_and_saveexec_b32 s1, s0
	s_cbranch_execz .LBB88_17
; %bb.16:
	ds_load_b32 v1, v7 offset:240
.LBB88_17:
	s_or_b32 exec_lo, exec_lo, s1
	v_xor_b32_e32 v11, 2, v3
	v_xor_b32_e32 v13, 1, v3
	s_delay_alu instid0(VALU_DEP_2) | instskip(NEXT) | instid1(VALU_DEP_1)
	v_cmp_lt_i32_e64 s1, v11, v4
	v_cndmask_b32_e64 v11, v3, v11, s1
	s_delay_alu instid0(VALU_DEP_3) | instskip(NEXT) | instid1(VALU_DEP_2)
	v_cmp_lt_i32_e64 s1, v13, v4
	v_lshlrev_b32_e32 v11, 2, v11
	s_delay_alu instid0(VALU_DEP_2)
	v_cndmask_b32_e64 v4, v3, v13, s1
	v_lshlrev_b32_e32 v3, 2, v3
	s_sub_i32 s1, s23, s12
	v_mov_b32_e32 v13, 0
	s_waitcnt lgkmcnt(0)
	ds_bpermute_b32 v12, v11, v1
	v_dual_max_f32 v1, v1, v1 :: v_dual_lshlrev_b32 v4, 2, v4
	s_lshl_b32 s1, s1, 3
	s_delay_alu instid0(SALU_CYCLE_1) | instskip(NEXT) | instid1(SALU_CYCLE_1)
	s_add_i32 s1, s1, s34
	s_min_i32 s1, s1, s33
	s_delay_alu instid0(SALU_CYCLE_1) | instskip(NEXT) | instid1(SALU_CYCLE_1)
	s_sub_i32 s7, s1, s34
	v_cmp_gt_i32_e64 s1, s7, v0
	s_waitcnt lgkmcnt(0)
	v_max_f32_e32 v12, v12, v12
	s_delay_alu instid0(VALU_DEP_1) | instskip(SKIP_3) | instid1(VALU_DEP_1)
	v_max_f32_e32 v1, v1, v12
	ds_bpermute_b32 v12, v4, v1
	s_waitcnt lgkmcnt(0)
	v_max_f32_e32 v12, v12, v12
	v_dual_max_f32 v1, v1, v12 :: v_dual_and_b32 v12, 0xffffff80, v3
	v_lshl_add_u32 v3, v0, 2, 0x110
	ds_bpermute_b32 v1, v12, v1
	s_and_saveexec_b32 s12, s1
	s_cbranch_execz .LBB88_21
; %bb.18:
	v_lshl_add_u32 v16, v0, 2, 0x110
	v_mov_b32_e32 v13, 0
	v_mov_b32_e32 v17, v0
	s_mov_b32 s13, 0
	.p2align	6
.LBB88_19:                              ; =>This Inner Loop Header: Depth=1
	ds_load_b32 v18, v16
	v_add_nc_u32_e32 v17, 0x80, v17
	s_delay_alu instid0(VALU_DEP_1) | instskip(NEXT) | instid1(VALU_DEP_1)
	v_cmp_le_i32_e64 s3, s7, v17
	s_or_b32 s13, s3, s13
	s_waitcnt lgkmcnt(0)
	v_sub_f32_e32 v18, v18, v1
	s_delay_alu instid0(VALU_DEP_1) | instskip(NEXT) | instid1(VALU_DEP_1)
	v_mul_f32_e32 v18, 0x3fb8aa3b, v18
	v_exp_f32_e32 v18, v18
	ds_store_b32 v16, v18
	v_dual_add_f32 v13, v13, v18 :: v_dual_add_nc_u32 v16, 0x200, v16
	s_and_not1_b32 exec_lo, exec_lo, s13
	s_cbranch_execnz .LBB88_19
; %bb.20:
	s_or_b32 exec_lo, exec_lo, s13
.LBB88_21:
	s_delay_alu instid0(SALU_CYCLE_1)
	s_or_b32 exec_lo, exec_lo, s12
	ds_bpermute_b32 v2, v2, v13
	s_waitcnt lgkmcnt(0)
	v_add_f32_e32 v2, v13, v2
	ds_bpermute_b32 v5, v5, v2
	s_waitcnt lgkmcnt(0)
	v_add_f32_e32 v2, v2, v5
	;; [unrolled: 3-line block ×5, first 2 shown]
	s_and_saveexec_b32 s3, vcc_lo
	s_cbranch_execz .LBB88_23
; %bb.22:
	ds_store_b32 v6, v2 offset:256
.LBB88_23:
	s_or_b32 exec_lo, exec_lo, s3
	s_waitcnt lgkmcnt(0)
	s_barrier
	buffer_gl0_inv
	s_and_saveexec_b32 s3, s0
	s_cbranch_execz .LBB88_25
; %bb.24:
	ds_load_b32 v2, v7 offset:256
.LBB88_25:
	s_or_b32 exec_lo, exec_lo, s3
	s_waitcnt lgkmcnt(0)
	ds_bpermute_b32 v5, v11, v2
	s_waitcnt lgkmcnt(0)
	v_add_f32_e32 v2, v2, v5
	ds_bpermute_b32 v4, v4, v2
	s_waitcnt lgkmcnt(0)
	v_add_f32_e32 v2, v2, v4
	ds_bpermute_b32 v2, v12, v2
	s_and_saveexec_b32 s0, s1
	s_cbranch_execz .LBB88_28
; %bb.26:
	s_waitcnt lgkmcnt(0)
	v_add_f32_e32 v4, 0x358637bd, v2
	s_mov_b32 s1, 0
	s_delay_alu instid0(VALU_DEP_1) | instskip(SKIP_1) | instid1(VALU_DEP_2)
	v_div_scale_f32 v5, null, v4, v4, 1.0
	v_div_scale_f32 v8, vcc_lo, 1.0, v4, 1.0
	v_rcp_f32_e32 v6, v5
	s_waitcnt_depctr 0xfff
	v_fma_f32 v7, -v5, v6, 1.0
	s_delay_alu instid0(VALU_DEP_1) | instskip(NEXT) | instid1(VALU_DEP_1)
	v_fmac_f32_e32 v6, v7, v6
	v_mul_f32_e32 v7, v8, v6
	s_delay_alu instid0(VALU_DEP_1) | instskip(NEXT) | instid1(VALU_DEP_1)
	v_fma_f32 v11, -v5, v7, v8
	v_fmac_f32_e32 v7, v11, v6
	s_delay_alu instid0(VALU_DEP_1) | instskip(NEXT) | instid1(VALU_DEP_1)
	v_fma_f32 v5, -v5, v7, v8
	v_div_fmas_f32 v5, v5, v6, v7
	s_delay_alu instid0(VALU_DEP_1)
	v_div_fixup_f32 v4, v5, v4, 1.0
	v_mov_b32_e32 v5, v0
.LBB88_27:                              ; =>This Inner Loop Header: Depth=1
	ds_load_b32 v6, v3
	s_waitcnt lgkmcnt(0)
	v_dual_mul_f32 v6, v4, v6 :: v_dual_add_nc_u32 v5, 0x80, v5
	s_delay_alu instid0(VALU_DEP_1) | instskip(SKIP_3) | instid1(SALU_CYCLE_1)
	v_cmp_le_i32_e32 vcc_lo, s7, v5
	ds_store_b32 v3, v6
	v_add_nc_u32_e32 v3, 0x200, v3
	s_or_b32 s1, vcc_lo, s1
	s_and_not1_b32 exec_lo, exec_lo, s1
	s_cbranch_execnz .LBB88_27
.LBB88_28:
	s_or_b32 exec_lo, exec_lo, s0
	s_mul_i32 s0, s19, s14
	s_mov_b32 s12, 0
	s_mul_i32 s30, s0, s15
	s_mov_b32 s0, exec_lo
	s_waitcnt lgkmcnt(0)
	s_barrier
	buffer_gl0_inv
	v_cmpx_eq_u32_e32 0, v0
	s_cbranch_execz .LBB88_30
; %bb.29:
	s_ashr_i32 s31, s30, 31
	s_mul_i32 s36, s19, s22
	s_lshl_b64 s[14:15], s[30:31], 2
	v_mov_b32_e32 v3, 0
	s_add_u32 s1, s10, s14
	s_addc_u32 s3, s11, s15
	s_ashr_i32 s37, s36, 31
	s_delay_alu instid0(SALU_CYCLE_1) | instskip(NEXT) | instid1(SALU_CYCLE_1)
	s_lshl_b64 s[10:11], s[36:37], 2
	s_add_u32 s1, s1, s10
	s_addc_u32 s3, s3, s11
	s_ashr_i32 s17, s16, 31
	s_delay_alu instid0(SALU_CYCLE_1) | instskip(NEXT) | instid1(SALU_CYCLE_1)
	s_lshl_b64 s[36:37], s[16:17], 2
	s_add_u32 s38, s1, s36
	s_addc_u32 s39, s3, s37
	s_add_u32 s1, s8, s14
	s_addc_u32 s3, s9, s15
	;; [unrolled: 2-line block ×4, first 2 shown]
	s_clause 0x1
	global_store_b32 v3, v1, s[38:39]
	global_store_b32 v3, v2, s[8:9]
.LBB88_30:
	s_or_b32 exec_lo, exec_lo, s0
	s_mov_b32 s13, s12
	s_mov_b32 s14, s12
	;; [unrolled: 1-line block ×3, first 2 shown]
	v_dual_mov_b32 v1, s12 :: v_dual_mov_b32 v2, s13
	v_dual_mov_b32 v3, s14 :: v_dual_mov_b32 v4, s15
	s_and_saveexec_b32 s3, s2
	s_cbranch_execz .LBB88_44
; %bb.31:
	s_ashr_i32 s7, s6, 31
	v_or_b32_e32 v1, 0x60, v15
	s_lshl_b64 s[0:1], s[6:7], 1
	s_mov_b32 s2, s5
	s_add_u32 s8, s28, s0
	s_addc_u32 s9, s29, s1
	s_add_i32 s10, s4, -1
	s_mov_b32 s4, 0
	v_cmp_gt_u32_e32 vcc_lo, 0x78, v1
	s_mov_b32 s5, s4
	s_mov_b32 s6, s4
	;; [unrolled: 1-line block ×3, first 2 shown]
	v_lshlrev_b32_e32 v6, 3, v1
	v_lshlrev_b64 v[1:2], 2, v[9:10]
	s_lshl_b64 s[0:1], s[26:27], 2
	v_lshlrev_b32_e32 v5, 3, v15
	s_add_u32 s0, s24, s0
	s_addc_u32 s1, s25, s1
	v_lshl_add_u32 v16, v14, 3, s34
	v_add_co_u32 v10, s0, s0, v1
	s_delay_alu instid0(VALU_DEP_1)
	v_add_co_ci_u32_e64 v11, s0, s1, v2, s0
	v_dual_mov_b32 v1, s4 :: v_dual_mov_b32 v2, s5
	v_lshl_add_u32 v17, v14, 5, 0x110
	v_dual_mov_b32 v3, s6 :: v_dual_mov_b32 v4, s7
	v_lshlrev_b32_e32 v18, 1, v5
	v_lshlrev_b32_e32 v19, 1, v6
	s_mov_b32 s11, s33
	s_mov_b32 s12, s33
	;; [unrolled: 1-line block ×7, first 2 shown]
	s_branch .LBB88_34
.LBB88_32:                              ;   in Loop: Header=BB88_34 Depth=1
	s_or_b32 exec_lo, exec_lo, s1
	s_waitcnt vmcnt(0)
	;;#ASMSTART
	v_pk_mul_f16 v5, v25, v5;

	;;#ASMEND
	;;#ASMSTART
	v_pk_mul_f16 v6, v24, v6;

	;;#ASMEND
	;; [unrolled: 4-line block ×4, first 2 shown]
	;;#ASMSTART
	v_pk_add_f16 v5, v5, v6;

	;;#ASMEND
	;;#ASMSTART
	v_pk_add_f16 v5, v5, v7;

	;;#ASMEND
	;; [unrolled: 4-line block ×3, first 2 shown]
	v_and_b32_e32 v6, 0xffff, v5
	v_lshrrev_b32_e32 v5, 16, v5
	;;#ASMSTART
	v_cvt_f32_f16 v6, v6;
	;;#ASMEND
	;;#ASMSTART
	v_cvt_f32_f16 v5, v5;
	;;#ASMEND
	s_delay_alu instid0(VALU_DEP_1) | instskip(NEXT) | instid1(VALU_DEP_1)
	v_add_f32_e32 v5, v6, v5
	v_add_f32_e32 v4, v4, v5
.LBB88_33:                              ;   in Loop: Header=BB88_34 Depth=1
	s_or_b32 exec_lo, exec_lo, s15
	v_add_nc_u32_e32 v9, 4, v9
	v_add_co_u32 v10, s1, v10, 16
	v_add_nc_u32_e32 v16, 32, v16
	v_add_nc_u32_e32 v17, 0x80, v17
	s_delay_alu instid0(VALU_DEP_4) | instskip(SKIP_1) | instid1(VALU_DEP_2)
	v_cmp_le_i32_e64 s0, s23, v9
	v_add_co_ci_u32_e64 v11, s1, 0, v11, s1
	s_or_b32 s4, s0, s4
	s_delay_alu instid0(SALU_CYCLE_1)
	s_and_not1_b32 exec_lo, exec_lo, s4
	s_cbranch_execz .LBB88_43
.LBB88_34:                              ; =>This Inner Loop Header: Depth=1
	global_load_b32 v20, v[10:11], off
	ds_load_2addr_b64 v[5:8], v17 offset1:1
	ds_load_2addr_b64 v[28:31], v17 offset0:2 offset1:3
	s_waitcnt lgkmcnt(1)
	;;#ASMSTART
	v_cvt_f16_f32 v24, v5;

	;;#ASMEND
	;;#ASMSTART
	v_cvt_f16_f32 v22, v6;

	;;#ASMEND
	;; [unrolled: 4-line block ×4, first 2 shown]
	s_waitcnt lgkmcnt(0)
	;;#ASMSTART
	v_cvt_f16_f32 v28, v28;

	;;#ASMEND
	;;#ASMSTART
	v_cvt_f16_f32 v26, v29;

	;;#ASMEND
	;; [unrolled: 4-line block ×4, first 2 shown]
	s_waitcnt vmcnt(0)
	v_mad_i64_i32 v[12:13], null, v20, s2, 0
	s_delay_alu instid0(VALU_DEP_1) | instskip(NEXT) | instid1(VALU_DEP_1)
	v_lshlrev_b64 v[12:13], 1, v[12:13]
	v_add_co_u32 v20, s0, s8, v12
	s_delay_alu instid0(VALU_DEP_1) | instskip(NEXT) | instid1(VALU_DEP_2)
	v_add_co_ci_u32_e64 v21, s0, s9, v13, s0
	v_add_co_u32 v12, s0, v20, v18
	s_delay_alu instid0(VALU_DEP_1)
	v_add_co_ci_u32_e64 v13, s0, 0, v21, s0
	v_cmp_eq_u32_e64 s0, s10, v9
	global_load_b128 v[5:8], v[12:13], off
	s_and_saveexec_b32 s15, s0
	s_cbranch_execz .LBB88_36
; %bb.35:                               ;   in Loop: Header=BB88_34 Depth=1
	v_or_b32_e32 v34, 7, v16
	s_waitcnt vmcnt(0)
	v_lshrrev_b32_e32 v35, 16, v8
	v_or_b32_e32 v36, 6, v16
	v_or_b32_e32 v33, 5, v16
	;; [unrolled: 1-line block ×3, first 2 shown]
	v_cmp_gt_i32_e64 s1, s7, v34
	v_lshrrev_b32_e32 v38, 16, v7
	v_or_b32_e32 v31, 3, v16
	v_or_b32_e32 v32, 2, v16
	v_add_nc_u32_e32 v30, 1, v16
	v_cndmask_b32_e64 v34, 0, v35, s1
	v_cmp_gt_i32_e64 s1, s6, v36
	v_lshrrev_b32_e32 v35, 16, v6
	v_lshrrev_b32_e32 v36, 16, v5
	s_delay_alu instid0(VALU_DEP_3) | instskip(SKIP_1) | instid1(VALU_DEP_2)
	v_cndmask_b32_e64 v8, 0, v8, s1
	v_cmp_gt_i32_e64 s1, s5, v33
	v_perm_b32 v8, v34, v8, 0x5040100
	s_delay_alu instid0(VALU_DEP_2) | instskip(SKIP_1) | instid1(VALU_DEP_1)
	v_cndmask_b32_e64 v33, 0, v38, s1
	v_cmp_gt_i32_e64 s1, s14, v37
	v_cndmask_b32_e64 v7, 0, v7, s1
	v_cmp_gt_i32_e64 s1, s13, v31
	s_delay_alu instid0(VALU_DEP_2) | instskip(NEXT) | instid1(VALU_DEP_2)
	v_perm_b32 v7, v33, v7, 0x5040100
	v_cndmask_b32_e64 v31, 0, v35, s1
	v_cmp_gt_i32_e64 s1, s12, v32
	s_delay_alu instid0(VALU_DEP_1) | instskip(SKIP_1) | instid1(VALU_DEP_2)
	v_cndmask_b32_e64 v6, 0, v6, s1
	v_cmp_gt_i32_e64 s1, s11, v30
	v_perm_b32 v6, v31, v6, 0x5040100
	s_delay_alu instid0(VALU_DEP_2) | instskip(SKIP_1) | instid1(VALU_DEP_1)
	v_cndmask_b32_e64 v30, 0, v36, s1
	v_cmp_gt_i32_e64 s1, s33, v16
	v_cndmask_b32_e64 v5, 0, v5, s1
	s_delay_alu instid0(VALU_DEP_1)
	v_perm_b32 v5, v30, v5, 0x5040100
.LBB88_36:                              ;   in Loop: Header=BB88_34 Depth=1
	s_or_b32 exec_lo, exec_lo, s15
	v_and_b32_e32 v24, 0xffff, v24
	v_and_b32_e32 v30, 0xffff, v25
	;; [unrolled: 1-line block ×4, first 2 shown]
	s_delay_alu instid0(VALU_DEP_4)
	v_lshl_or_b32 v25, v22, 16, v24
	s_waitcnt vmcnt(0)
	;;#ASMSTART
	v_pk_mul_f16 v5, v25, v5;

	;;#ASMEND
	v_lshl_or_b32 v24, v23, 16, v30
	v_lshl_or_b32 v23, v26, 16, v28
	;; [unrolled: 1-line block ×3, first 2 shown]
	;;#ASMSTART
	v_pk_mul_f16 v6, v24, v6;

	;;#ASMEND
	;;#ASMSTART
	v_pk_mul_f16 v7, v23, v7;

	;;#ASMEND
	;; [unrolled: 4-line block ×3, first 2 shown]
	;;#ASMSTART
	v_pk_add_f16 v5, v5, v6;

	;;#ASMEND
	;;#ASMSTART
	v_pk_add_f16 v5, v5, v7;

	;;#ASMEND
	;; [unrolled: 4-line block ×3, first 2 shown]
	v_and_b32_e32 v6, 0xffff, v5
	v_lshrrev_b32_e32 v5, 16, v5
	;;#ASMSTART
	v_cvt_f32_f16 v26, v6;
	;;#ASMEND
	;;#ASMSTART
	v_cvt_f32_f16 v27, v5;
	;;#ASMEND
	global_load_b128 v[5:8], v[12:13], off offset:512
	s_and_saveexec_b32 s15, s0
	s_cbranch_execz .LBB88_38
; %bb.37:                               ;   in Loop: Header=BB88_34 Depth=1
	v_or_b32_e32 v32, 7, v16
	s_waitcnt vmcnt(0)
	v_lshrrev_b32_e32 v33, 16, v8
	v_or_b32_e32 v34, 6, v16
	v_or_b32_e32 v31, 5, v16
	;; [unrolled: 1-line block ×3, first 2 shown]
	v_cmp_gt_i32_e64 s1, s7, v32
	v_lshrrev_b32_e32 v36, 16, v7
	v_or_b32_e32 v29, 3, v16
	v_or_b32_e32 v30, 2, v16
	v_add_nc_u32_e32 v28, 1, v16
	v_cndmask_b32_e64 v32, 0, v33, s1
	v_cmp_gt_i32_e64 s1, s6, v34
	v_lshrrev_b32_e32 v33, 16, v6
	v_lshrrev_b32_e32 v34, 16, v5
	s_delay_alu instid0(VALU_DEP_3) | instskip(SKIP_1) | instid1(VALU_DEP_2)
	v_cndmask_b32_e64 v8, 0, v8, s1
	v_cmp_gt_i32_e64 s1, s5, v31
	v_perm_b32 v8, v32, v8, 0x5040100
	s_delay_alu instid0(VALU_DEP_2) | instskip(SKIP_1) | instid1(VALU_DEP_1)
	v_cndmask_b32_e64 v31, 0, v36, s1
	v_cmp_gt_i32_e64 s1, s14, v35
	v_cndmask_b32_e64 v7, 0, v7, s1
	v_cmp_gt_i32_e64 s1, s13, v29
	s_delay_alu instid0(VALU_DEP_2) | instskip(NEXT) | instid1(VALU_DEP_2)
	v_perm_b32 v7, v31, v7, 0x5040100
	v_cndmask_b32_e64 v29, 0, v33, s1
	v_cmp_gt_i32_e64 s1, s12, v30
	s_delay_alu instid0(VALU_DEP_1) | instskip(SKIP_1) | instid1(VALU_DEP_2)
	v_cndmask_b32_e64 v6, 0, v6, s1
	v_cmp_gt_i32_e64 s1, s11, v28
	v_perm_b32 v6, v29, v6, 0x5040100
	s_delay_alu instid0(VALU_DEP_2) | instskip(SKIP_1) | instid1(VALU_DEP_1)
	v_cndmask_b32_e64 v28, 0, v34, s1
	v_cmp_gt_i32_e64 s1, s33, v16
	v_cndmask_b32_e64 v5, 0, v5, s1
	s_delay_alu instid0(VALU_DEP_1)
	v_perm_b32 v5, v28, v5, 0x5040100
.LBB88_38:                              ;   in Loop: Header=BB88_34 Depth=1
	s_or_b32 exec_lo, exec_lo, s15
	s_waitcnt vmcnt(0)
	;;#ASMSTART
	v_pk_mul_f16 v5, v25, v5;

	;;#ASMEND
	;;#ASMSTART
	v_pk_mul_f16 v6, v24, v6;

	;;#ASMEND
	;; [unrolled: 4-line block ×4, first 2 shown]
	;;#ASMSTART
	v_pk_add_f16 v5, v5, v6;

	;;#ASMEND
	;;#ASMSTART
	v_pk_add_f16 v5, v5, v7;

	;;#ASMEND
	;; [unrolled: 4-line block ×3, first 2 shown]
	v_and_b32_e32 v6, 0xffff, v5
	v_lshrrev_b32_e32 v5, 16, v5
	;;#ASMSTART
	v_cvt_f32_f16 v28, v6;
	;;#ASMEND
	;;#ASMSTART
	v_cvt_f32_f16 v29, v5;
	;;#ASMEND
	global_load_b128 v[5:8], v[12:13], off offset:1024
	s_and_saveexec_b32 s15, s0
	s_cbranch_execz .LBB88_40
; %bb.39:                               ;   in Loop: Header=BB88_34 Depth=1
	v_or_b32_e32 v32, 7, v16
	s_waitcnt vmcnt(0)
	v_lshrrev_b32_e32 v33, 16, v8
	v_or_b32_e32 v34, 6, v16
	v_or_b32_e32 v31, 5, v16
	;; [unrolled: 1-line block ×3, first 2 shown]
	v_cmp_gt_i32_e64 s1, s7, v32
	v_lshrrev_b32_e32 v36, 16, v7
	v_or_b32_e32 v13, 3, v16
	v_or_b32_e32 v30, 2, v16
	v_add_nc_u32_e32 v12, 1, v16
	v_cndmask_b32_e64 v32, 0, v33, s1
	v_cmp_gt_i32_e64 s1, s6, v34
	v_lshrrev_b32_e32 v33, 16, v6
	v_lshrrev_b32_e32 v34, 16, v5
	s_delay_alu instid0(VALU_DEP_3) | instskip(SKIP_1) | instid1(VALU_DEP_2)
	v_cndmask_b32_e64 v8, 0, v8, s1
	v_cmp_gt_i32_e64 s1, s5, v31
	v_perm_b32 v8, v32, v8, 0x5040100
	s_delay_alu instid0(VALU_DEP_2) | instskip(SKIP_1) | instid1(VALU_DEP_1)
	v_cndmask_b32_e64 v31, 0, v36, s1
	v_cmp_gt_i32_e64 s1, s14, v35
	v_cndmask_b32_e64 v7, 0, v7, s1
	v_cmp_gt_i32_e64 s1, s13, v13
	s_delay_alu instid0(VALU_DEP_2) | instskip(NEXT) | instid1(VALU_DEP_2)
	v_perm_b32 v7, v31, v7, 0x5040100
	v_cndmask_b32_e64 v13, 0, v33, s1
	v_cmp_gt_i32_e64 s1, s12, v30
	s_delay_alu instid0(VALU_DEP_1) | instskip(SKIP_1) | instid1(VALU_DEP_2)
	v_cndmask_b32_e64 v6, 0, v6, s1
	v_cmp_gt_i32_e64 s1, s11, v12
	v_perm_b32 v6, v13, v6, 0x5040100
	s_delay_alu instid0(VALU_DEP_2) | instskip(SKIP_1) | instid1(VALU_DEP_1)
	v_cndmask_b32_e64 v12, 0, v34, s1
	v_cmp_gt_i32_e64 s1, s33, v16
	v_cndmask_b32_e64 v5, 0, v5, s1
	s_delay_alu instid0(VALU_DEP_1)
	v_perm_b32 v5, v12, v5, 0x5040100
.LBB88_40:                              ;   in Loop: Header=BB88_34 Depth=1
	s_or_b32 exec_lo, exec_lo, s15
	s_waitcnt vmcnt(0)
	;;#ASMSTART
	v_pk_mul_f16 v5, v25, v5;

	;;#ASMEND
	;;#ASMSTART
	v_pk_mul_f16 v6, v24, v6;

	;;#ASMEND
	;; [unrolled: 4-line block ×4, first 2 shown]
	;;#ASMSTART
	v_pk_add_f16 v5, v5, v6;

	;;#ASMEND
	;;#ASMSTART
	v_pk_add_f16 v5, v5, v7;

	;;#ASMEND
	;; [unrolled: 4-line block ×3, first 2 shown]
	v_dual_add_f32 v7, v26, v27 :: v_dual_and_b32 v6, 0xffff, v5
	v_lshrrev_b32_e32 v5, 16, v5
	;;#ASMSTART
	v_cvt_f32_f16 v6, v6;
	;;#ASMEND
	;;#ASMSTART
	v_cvt_f32_f16 v5, v5;
	;;#ASMEND
	s_delay_alu instid0(VALU_DEP_2) | instskip(NEXT) | instid1(VALU_DEP_2)
	v_dual_add_f32 v8, v28, v29 :: v_dual_add_f32 v1, v1, v7
	v_add_f32_e32 v5, v6, v5
	s_delay_alu instid0(VALU_DEP_1)
	v_dual_add_f32 v2, v2, v8 :: v_dual_add_f32 v3, v3, v5
	s_and_saveexec_b32 s15, vcc_lo
	s_cbranch_execz .LBB88_33
; %bb.41:                               ;   in Loop: Header=BB88_34 Depth=1
	v_add_co_u32 v5, s1, v20, v19
	s_delay_alu instid0(VALU_DEP_1)
	v_add_co_ci_u32_e64 v6, s1, 0, v21, s1
	global_load_b128 v[5:8], v[5:6], off
	s_and_saveexec_b32 s1, s0
	s_cbranch_execz .LBB88_32
; %bb.42:                               ;   in Loop: Header=BB88_34 Depth=1
	v_or_b32_e32 v26, 7, v16
	s_waitcnt vmcnt(0)
	v_lshrrev_b32_e32 v27, 16, v8
	v_or_b32_e32 v28, 6, v16
	v_or_b32_e32 v21, 5, v16
	;; [unrolled: 1-line block ×3, first 2 shown]
	v_cmp_gt_i32_e64 s0, s7, v26
	v_lshrrev_b32_e32 v30, 16, v7
	v_or_b32_e32 v13, 3, v16
	v_or_b32_e32 v20, 2, v16
	v_add_nc_u32_e32 v12, 1, v16
	v_cndmask_b32_e64 v26, 0, v27, s0
	v_cmp_gt_i32_e64 s0, s6, v28
	v_lshrrev_b32_e32 v27, 16, v6
	v_lshrrev_b32_e32 v28, 16, v5
	s_delay_alu instid0(VALU_DEP_3) | instskip(SKIP_1) | instid1(VALU_DEP_2)
	v_cndmask_b32_e64 v8, 0, v8, s0
	v_cmp_gt_i32_e64 s0, s5, v21
	v_perm_b32 v8, v26, v8, 0x5040100
	s_delay_alu instid0(VALU_DEP_2) | instskip(SKIP_1) | instid1(VALU_DEP_1)
	v_cndmask_b32_e64 v21, 0, v30, s0
	v_cmp_gt_i32_e64 s0, s14, v29
	v_cndmask_b32_e64 v7, 0, v7, s0
	v_cmp_gt_i32_e64 s0, s13, v13
	s_delay_alu instid0(VALU_DEP_2) | instskip(NEXT) | instid1(VALU_DEP_2)
	v_perm_b32 v7, v21, v7, 0x5040100
	v_cndmask_b32_e64 v13, 0, v27, s0
	v_cmp_gt_i32_e64 s0, s12, v20
	s_delay_alu instid0(VALU_DEP_1) | instskip(SKIP_1) | instid1(VALU_DEP_2)
	v_cndmask_b32_e64 v6, 0, v6, s0
	v_cmp_gt_i32_e64 s0, s11, v12
	v_perm_b32 v6, v13, v6, 0x5040100
	s_delay_alu instid0(VALU_DEP_2) | instskip(SKIP_1) | instid1(VALU_DEP_1)
	v_cndmask_b32_e64 v12, 0, v28, s0
	v_cmp_gt_i32_e64 s0, s33, v16
	v_cndmask_b32_e64 v5, 0, v5, s0
	s_delay_alu instid0(VALU_DEP_1)
	v_perm_b32 v5, v12, v5, 0x5040100
	s_branch .LBB88_32
.LBB88_43:
	s_or_b32 exec_lo, exec_lo, s4
.LBB88_44:
	s_delay_alu instid0(SALU_CYCLE_1)
	s_or_b32 exec_lo, exec_lo, s3
	v_and_b32_e32 v5, 0x3c0, v0
	s_movk_i32 s0, 0x1e0
	s_waitcnt_vscnt null, 0x0
	v_mad_u32_u24 v6, v14, s0, 0x110
	s_barrier
	v_cmp_eq_u32_e32 vcc_lo, 64, v5
	v_or_b32_e32 v5, 0x60, v0
	buffer_gl0_inv
	s_and_saveexec_b32 s0, vcc_lo
	s_cbranch_execz .LBB88_47
; %bb.45:
	v_add_nc_u32_e32 v7, 0xfffffc40, v6
	v_cmp_gt_u32_e32 vcc_lo, 0x78, v5
	s_delay_alu instid0(VALU_DEP_2)
	v_lshl_add_u32 v8, v15, 2, v7
	ds_store_2addr_b32 v8, v1, v2 offset1:32
	ds_store_b32 v8, v3 offset:256
	s_and_b32 exec_lo, exec_lo, vcc_lo
	s_cbranch_execz .LBB88_47
; %bb.46:
	v_lshl_add_u32 v7, v5, 2, v7
	ds_store_b32 v7, v4
.LBB88_47:
	s_or_b32 exec_lo, exec_lo, s0
	v_lshl_add_u32 v7, v15, 2, v6
	s_mov_b32 s0, exec_lo
	s_waitcnt lgkmcnt(0)
	s_barrier
	buffer_gl0_inv
	v_cmpx_gt_u32_e32 64, v0
	s_cbranch_execz .LBB88_51
; %bb.48:
	v_lshl_or_b32 v8, v0, 2, 0x80
	s_mov_b32 s1, exec_lo
	s_delay_alu instid0(VALU_DEP_1)
	v_add_nc_u32_e32 v10, v6, v8
	ds_load_2addr_stride64_b32 v[8:9], v7 offset1:1
	ds_load_b32 v10, v10
	s_waitcnt lgkmcnt(1)
	v_add_f32_e32 v3, v3, v9
	s_waitcnt lgkmcnt(0)
	v_dual_add_f32 v1, v1, v8 :: v_dual_add_f32 v2, v2, v10
	v_cmpx_gt_u32_e32 0x78, v5
	s_cbranch_execz .LBB88_50
; %bb.49:
	v_lshl_add_u32 v8, v5, 2, v6
	ds_load_b32 v8, v8
	s_waitcnt lgkmcnt(0)
	v_add_f32_e32 v4, v4, v8
.LBB88_50:
	s_or_b32 exec_lo, exec_lo, s1
.LBB88_51:
	s_delay_alu instid0(SALU_CYCLE_1)
	s_or_b32 exec_lo, exec_lo, s0
	v_and_b32_e32 v8, 0x3e0, v0
	s_mov_b32 s0, exec_lo
	s_barrier
	buffer_gl0_inv
	v_cmpx_eq_u32_e32 32, v8
	s_cbranch_execz .LBB88_54
; %bb.52:
	v_add_nc_u32_e32 v8, 0xfffffe20, v6
	v_cmp_gt_u32_e32 vcc_lo, 0x78, v5
	s_delay_alu instid0(VALU_DEP_2)
	v_lshl_add_u32 v9, v15, 2, v8
	v_lshl_add_u32 v10, v0, 2, v8
	ds_store_b32 v9, v1
	ds_store_b32 v10, v2
	ds_store_b32 v9, v3 offset:256
	s_and_b32 exec_lo, exec_lo, vcc_lo
	s_cbranch_execz .LBB88_54
; %bb.53:
	v_lshl_add_u32 v8, v5, 2, v8
	ds_store_b32 v8, v4
.LBB88_54:
	s_or_b32 exec_lo, exec_lo, s0
	v_cmp_gt_u32_e32 vcc_lo, 32, v0
	s_waitcnt lgkmcnt(0)
	s_barrier
	buffer_gl0_inv
	s_and_saveexec_b32 s1, vcc_lo
	s_cbranch_execz .LBB88_58
; %bb.55:
	v_lshl_add_u32 v6, v0, 2, v6
	s_mov_b32 s2, exec_lo
	ds_load_b32 v9, v7
	ds_load_2addr_b32 v[7:8], v6 offset0:32 offset1:64
	s_waitcnt lgkmcnt(0)
	v_dual_add_f32 v1, v1, v9 :: v_dual_add_f32 v2, v2, v7
	v_add_f32_e32 v3, v3, v8
	v_cmpx_gt_u32_e32 0x78, v5
	s_cbranch_execz .LBB88_57
; %bb.56:
	ds_load_b32 v6, v6 offset:384
	s_waitcnt lgkmcnt(0)
	v_add_f32_e32 v4, v4, v6
.LBB88_57:
	s_or_b32 exec_lo, exec_lo, s2
.LBB88_58:
	s_delay_alu instid0(SALU_CYCLE_1)
	s_or_b32 exec_lo, exec_lo, s1
	s_barrier
	buffer_gl0_inv
	s_and_saveexec_b32 s0, vcc_lo
	s_cbranch_execz .LBB88_61
; %bb.59:
	s_mul_i32 s0, s30, 0x78
	s_mul_i32 s2, s19, s18
	s_ashr_i32 s1, s0, 31
	v_lshlrev_b32_e32 v0, 1, v0
	s_lshl_b64 s[0:1], s[0:1], 1
	v_cmp_gt_u32_e32 vcc_lo, 0x78, v5
	s_add_u32 s4, s20, s0
	s_addc_u32 s5, s21, s1
	s_ashr_i32 s3, s2, 31
	;;#ASMSTART
	v_cvt_f16_f32 v1, v1;

	;;#ASMEND
	s_lshl_b64 s[0:1], s[2:3], 1
	s_mul_i32 s2, s16, 0x78
	s_add_u32 s4, s4, s0
	s_addc_u32 s5, s5, s1
	s_ashr_i32 s3, s2, 31
	s_delay_alu instid0(SALU_CYCLE_1) | instskip(NEXT) | instid1(SALU_CYCLE_1)
	s_lshl_b64 s[0:1], s[2:3], 1
	s_add_u32 s0, s4, s0
	s_addc_u32 s1, s5, s1
	global_store_b16 v0, v1, s[0:1]
	;;#ASMSTART
	v_cvt_f16_f32 v1, v2;

	;;#ASMEND
	global_store_b16 v0, v1, s[0:1] offset:64
	;;#ASMSTART
	v_cvt_f16_f32 v1, v3;

	;;#ASMEND
	global_store_b16 v0, v1, s[0:1] offset:128
	s_and_b32 exec_lo, exec_lo, vcc_lo
	s_cbranch_execz .LBB88_61
; %bb.60:
	v_add_co_u32 v0, s0, s0, v0
	s_delay_alu instid0(VALU_DEP_1)
	v_add_co_ci_u32_e64 v1, null, s1, 0, s0
	;;#ASMSTART
	v_cvt_f16_f32 v2, v4;

	;;#ASMEND
	global_store_b16 v[0:1], v2, off offset:192
.LBB88_61:
	s_nop 0
	s_sendmsg sendmsg(MSG_DEALLOC_VGPRS)
	s_endpgm
	.section	.rodata,"a",@progbits
	.p2align	6, 0x0
	.amdhsa_kernel _ZN4vllm25paged_attention_v2_kernelIttLi120ELi8ELi128ELNS_18Fp8KVCacheDataTypeE0ELb0ELi512EEEvPfS2_PT_PKS3_PKT0_S9_ifPKiSB_iPKfiiiSD_SD_iiiii
		.amdhsa_group_segment_fixed_size 272
		.amdhsa_private_segment_fixed_size 0
		.amdhsa_kernarg_size 400
		.amdhsa_user_sgpr_count 13
		.amdhsa_user_sgpr_dispatch_ptr 0
		.amdhsa_user_sgpr_queue_ptr 0
		.amdhsa_user_sgpr_kernarg_segment_ptr 1
		.amdhsa_user_sgpr_dispatch_id 0
		.amdhsa_user_sgpr_private_segment_size 0
		.amdhsa_wavefront_size32 1
		.amdhsa_uses_dynamic_stack 0
		.amdhsa_enable_private_segment 0
		.amdhsa_system_sgpr_workgroup_id_x 1
		.amdhsa_system_sgpr_workgroup_id_y 1
		.amdhsa_system_sgpr_workgroup_id_z 1
		.amdhsa_system_sgpr_workgroup_info 0
		.amdhsa_system_vgpr_workitem_id 0
		.amdhsa_next_free_vgpr 69
		.amdhsa_next_free_sgpr 40
		.amdhsa_reserve_vcc 1
		.amdhsa_float_round_mode_32 0
		.amdhsa_float_round_mode_16_64 0
		.amdhsa_float_denorm_mode_32 3
		.amdhsa_float_denorm_mode_16_64 3
		.amdhsa_dx10_clamp 1
		.amdhsa_ieee_mode 1
		.amdhsa_fp16_overflow 0
		.amdhsa_workgroup_processor_mode 1
		.amdhsa_memory_ordered 1
		.amdhsa_forward_progress 0
		.amdhsa_shared_vgpr_count 0
		.amdhsa_exception_fp_ieee_invalid_op 0
		.amdhsa_exception_fp_denorm_src 0
		.amdhsa_exception_fp_ieee_div_zero 0
		.amdhsa_exception_fp_ieee_overflow 0
		.amdhsa_exception_fp_ieee_underflow 0
		.amdhsa_exception_fp_ieee_inexact 0
		.amdhsa_exception_int_div_zero 0
	.end_amdhsa_kernel
	.section	.text._ZN4vllm25paged_attention_v2_kernelIttLi120ELi8ELi128ELNS_18Fp8KVCacheDataTypeE0ELb0ELi512EEEvPfS2_PT_PKS3_PKT0_S9_ifPKiSB_iPKfiiiSD_SD_iiiii,"axG",@progbits,_ZN4vllm25paged_attention_v2_kernelIttLi120ELi8ELi128ELNS_18Fp8KVCacheDataTypeE0ELb0ELi512EEEvPfS2_PT_PKS3_PKT0_S9_ifPKiSB_iPKfiiiSD_SD_iiiii,comdat
.Lfunc_end88:
	.size	_ZN4vllm25paged_attention_v2_kernelIttLi120ELi8ELi128ELNS_18Fp8KVCacheDataTypeE0ELb0ELi512EEEvPfS2_PT_PKS3_PKT0_S9_ifPKiSB_iPKfiiiSD_SD_iiiii, .Lfunc_end88-_ZN4vllm25paged_attention_v2_kernelIttLi120ELi8ELi128ELNS_18Fp8KVCacheDataTypeE0ELb0ELi512EEEvPfS2_PT_PKS3_PKT0_S9_ifPKiSB_iPKfiiiSD_SD_iiiii
                                        ; -- End function
	.section	.AMDGPU.csdata,"",@progbits
; Kernel info:
; codeLenInByte = 7652
; NumSgprs: 42
; NumVgprs: 69
; ScratchSize: 0
; MemoryBound: 0
; FloatMode: 240
; IeeeMode: 1
; LDSByteSize: 272 bytes/workgroup (compile time only)
; SGPRBlocks: 5
; VGPRBlocks: 8
; NumSGPRsForWavesPerEU: 42
; NumVGPRsForWavesPerEU: 69
; Occupancy: 16
; WaveLimiterHint : 1
; COMPUTE_PGM_RSRC2:SCRATCH_EN: 0
; COMPUTE_PGM_RSRC2:USER_SGPR: 13
; COMPUTE_PGM_RSRC2:TRAP_HANDLER: 0
; COMPUTE_PGM_RSRC2:TGID_X_EN: 1
; COMPUTE_PGM_RSRC2:TGID_Y_EN: 1
; COMPUTE_PGM_RSRC2:TGID_Z_EN: 1
; COMPUTE_PGM_RSRC2:TIDIG_COMP_CNT: 0
	.section	.text._ZN4vllm25paged_attention_v2_kernelIttLi128ELi8ELi128ELNS_18Fp8KVCacheDataTypeE0ELb0ELi512EEEvPfS2_PT_PKS3_PKT0_S9_ifPKiSB_iPKfiiiSD_SD_iiiii,"axG",@progbits,_ZN4vllm25paged_attention_v2_kernelIttLi128ELi8ELi128ELNS_18Fp8KVCacheDataTypeE0ELb0ELi512EEEvPfS2_PT_PKS3_PKT0_S9_ifPKiSB_iPKfiiiSD_SD_iiiii,comdat
	.protected	_ZN4vllm25paged_attention_v2_kernelIttLi128ELi8ELi128ELNS_18Fp8KVCacheDataTypeE0ELb0ELi512EEEvPfS2_PT_PKS3_PKT0_S9_ifPKiSB_iPKfiiiSD_SD_iiiii ; -- Begin function _ZN4vllm25paged_attention_v2_kernelIttLi128ELi8ELi128ELNS_18Fp8KVCacheDataTypeE0ELb0ELi512EEEvPfS2_PT_PKS3_PKT0_S9_ifPKiSB_iPKfiiiSD_SD_iiiii
	.globl	_ZN4vllm25paged_attention_v2_kernelIttLi128ELi8ELi128ELNS_18Fp8KVCacheDataTypeE0ELb0ELi512EEEvPfS2_PT_PKS3_PKT0_S9_ifPKiSB_iPKfiiiSD_SD_iiiii
	.p2align	8
	.type	_ZN4vllm25paged_attention_v2_kernelIttLi128ELi8ELi128ELNS_18Fp8KVCacheDataTypeE0ELb0ELi512EEEvPfS2_PT_PKS3_PKT0_S9_ifPKiSB_iPKfiiiSD_SD_iiiii,@function
_ZN4vllm25paged_attention_v2_kernelIttLi128ELi8ELi128ELNS_18Fp8KVCacheDataTypeE0ELb0ELi512EEEvPfS2_PT_PKS3_PKT0_S9_ifPKiSB_iPKfiiiSD_SD_iiiii: ; @_ZN4vllm25paged_attention_v2_kernelIttLi128ELi8ELi128ELNS_18Fp8KVCacheDataTypeE0ELb0ELi512EEEvPfS2_PT_PKS3_PKT0_S9_ifPKiSB_iPKfiiiSD_SD_iiiii
; %bb.0:
	s_load_b64 s[2:3], s[0:1], 0x40
	s_mov_b32 s12, s15
	s_ashr_i32 s15, s14, 31
	s_delay_alu instid0(SALU_CYCLE_1)
	s_lshl_b64 s[4:5], s[14:15], 2
	s_waitcnt lgkmcnt(0)
	s_add_u32 s2, s2, s4
	s_addc_u32 s3, s3, s5
	s_lshl_b32 s31, s12, 9
	s_load_b32 s30, s[2:3], 0x0
	s_waitcnt lgkmcnt(0)
	s_cmp_ge_i32 s31, s30
	s_cbranch_scc1 .LBB89_52
; %bb.1:
	s_mov_b32 s20, s13
	s_clause 0x1
	s_load_b32 s13, s[0:1], 0x90
	s_load_b64 s[28:29], s[0:1], 0x30
	s_mov_b32 s33, 0
	s_waitcnt lgkmcnt(0)
	s_abs_i32 s5, s13
	s_abs_i32 s2, s28
	s_delay_alu instid0(SALU_CYCLE_1) | instskip(SKIP_1) | instid1(VALU_DEP_1)
	v_cvt_f32_u32_e32 v1, s2
	s_sub_i32 s4, 0, s2
	v_rcp_iflag_f32_e32 v1, v1
	s_waitcnt_depctr 0xfff
	v_mul_f32_e32 v1, 0x4f7ffffe, v1
	s_delay_alu instid0(VALU_DEP_1) | instskip(NEXT) | instid1(VALU_DEP_1)
	v_cvt_u32_f32_e32 v1, v1
	v_readfirstlane_b32 s3, v1
	s_delay_alu instid0(VALU_DEP_1) | instskip(NEXT) | instid1(SALU_CYCLE_1)
	s_mul_i32 s4, s4, s3
	s_mul_hi_u32 s4, s3, s4
	s_delay_alu instid0(SALU_CYCLE_1) | instskip(SKIP_4) | instid1(SALU_CYCLE_1)
	s_add_i32 s3, s3, s4
	s_xor_b32 s4, s13, s28
	s_mul_hi_u32 s3, s5, s3
	s_ashr_i32 s4, s4, 31
	s_mul_i32 s6, s3, s2
	s_sub_i32 s5, s5, s6
	s_add_i32 s6, s3, 1
	s_sub_i32 s7, s5, s2
	s_cmp_ge_u32 s5, s2
	s_cselect_b32 s3, s6, s3
	s_cselect_b32 s5, s7, s5
	s_add_i32 s6, s3, 1
	s_cmp_ge_u32 s5, s2
	s_cselect_b32 s2, s6, s3
	s_abs_i32 s10, s20
	s_xor_b32 s2, s2, s4
	s_delay_alu instid0(SALU_CYCLE_1) | instskip(SKIP_2) | instid1(SALU_CYCLE_1)
	s_sub_i32 s11, s2, s4
	s_load_b64 s[2:3], s[0:1], 0x50
	s_abs_i32 s8, s11
	v_cvt_f32_u32_e32 v1, s8
	s_sub_i32 s5, 0, s8
	s_delay_alu instid0(VALU_DEP_1) | instskip(SKIP_2) | instid1(VALU_DEP_1)
	v_rcp_iflag_f32_e32 v1, v1
	s_waitcnt_depctr 0xfff
	v_mul_f32_e32 v1, 0x4f7ffffe, v1
	v_cvt_u32_f32_e32 v1, v1
	s_delay_alu instid0(VALU_DEP_1) | instskip(NEXT) | instid1(VALU_DEP_1)
	v_readfirstlane_b32 s4, v1
	s_mul_i32 s5, s5, s4
	s_delay_alu instid0(SALU_CYCLE_1) | instskip(NEXT) | instid1(SALU_CYCLE_1)
	s_mul_hi_u32 s5, s4, s5
	s_add_i32 s4, s4, s5
	s_waitcnt lgkmcnt(0)
	s_cmp_eq_u64 s[2:3], 0
	s_mul_hi_u32 s9, s10, s4
	s_cbranch_scc1 .LBB89_3
; %bb.2:
	s_ashr_i32 s21, s20, 31
	s_delay_alu instid0(SALU_CYCLE_1) | instskip(NEXT) | instid1(SALU_CYCLE_1)
	s_lshl_b64 s[4:5], s[20:21], 2
	s_add_u32 s2, s2, s4
	s_addc_u32 s3, s3, s5
	s_load_b32 s33, s[2:3], 0x0
.LBB89_3:
	s_load_b128 s[4:7], s[0:1], 0x58
	v_and_b32_e32 v1, 3, v0
	v_cmp_gt_u32_e64 s2, 64, v0
	v_lshlrev_b32_e32 v10, 2, v0
	s_ashr_i32 s3, s20, 31
	s_waitcnt lgkmcnt(0)
	s_ashr_i32 s7, s11, 31
	s_lshl_b32 s16, s20, 7
	s_and_saveexec_b32 s11, s2
	s_cbranch_execz .LBB89_5
; %bb.4:
	s_load_b64 s[18:19], s[0:1], 0x18
	s_mul_i32 s22, s14, s4
	v_and_b32_e32 v3, 0x3fc, v0
	s_ashr_i32 s23, s22, 31
	s_delay_alu instid0(SALU_CYCLE_1) | instskip(NEXT) | instid1(VALU_DEP_1)
	s_lshl_b64 s[22:23], s[22:23], 1
	v_lshl_add_u32 v3, v1, 6, v3
	s_waitcnt lgkmcnt(0)
	s_add_u32 s4, s18, s22
	s_addc_u32 s15, s19, s23
	s_ashr_i32 s17, s16, 31
	s_delay_alu instid0(SALU_CYCLE_1) | instskip(NEXT) | instid1(SALU_CYCLE_1)
	s_lshl_b64 s[18:19], s[16:17], 1
	s_add_u32 s18, s4, s18
	s_addc_u32 s19, s15, s19
	global_load_b32 v2, v10, s[18:19]
	s_waitcnt vmcnt(0)
	ds_store_b32 v3, v2
.LBB89_5:
	s_or_b32 exec_lo, exec_lo, s11
	s_add_i32 s4, s30, 7
	s_lshl_b32 s15, s12, 6
	s_ashr_i32 s11, s4, 31
	s_xor_b32 s3, s3, s7
	s_lshr_b32 s11, s11, 29
	s_add_i32 s7, s15, 64
	s_add_i32 s4, s4, s11
	v_lshrrev_b32_e32 v11, 5, v0
	s_ashr_i32 s28, s4, 3
	s_mul_i32 s4, s9, s8
	s_min_i32 s21, s7, s28
	s_clause 0x1
	s_load_b64 s[22:23], s[0:1], 0x38
	s_load_b32 s7, s[0:1], 0x48
	s_sub_i32 s4, s10, s4
	s_add_i32 s10, s9, 1
	s_sub_i32 s11, s4, s8
	s_cmp_ge_u32 s4, s8
	v_or_b32_e32 v5, s15, v11
	s_cselect_b32 s9, s10, s9
	s_cselect_b32 s4, s11, s4
	s_add_i32 s10, s9, 1
	s_cmp_ge_u32 s4, s8
	v_mbcnt_lo_u32_b32 v3, -1, 0
	s_cselect_b32 s4, s10, s9
	s_mov_b32 s8, exec_lo
	s_xor_b32 s4, s4, s3
	s_waitcnt lgkmcnt(0)
	s_sub_i32 s4, s4, s3
	v_cmp_gt_i32_e64 s3, s21, v5
	s_barrier
	buffer_gl0_inv
                                        ; implicit-def: $vgpr4
	s_mul_i32 s24, s14, s7
                                        ; implicit-def: $sgpr7
	s_delay_alu instid0(SALU_CYCLE_1)
	s_ashr_i32 s25, s24, 31
	v_cmpx_le_i32_e64 s21, v5
	s_xor_b32 s8, exec_lo, s8
; %bb.6:
	v_mbcnt_lo_u32_b32 v3, -1, 0
	v_mov_b32_e32 v4, 32
	s_mov_b32 s7, 0xff7fffff
                                        ; implicit-def: $vgpr1
; %bb.7:
	s_or_saveexec_b32 s34, s8
	s_clause 0x3
	s_load_b128 s[8:11], s[0:1], 0x0
	s_load_b64 s[18:19], s[0:1], 0x10
	s_load_b64 s[26:27], s[0:1], 0x28
	s_load_b32 s17, s[0:1], 0x98
	v_mov_b32_e32 v7, s7
	v_ashrrev_i32_e32 v6, 31, v5
	s_mul_i32 s6, s4, s6
	s_xor_b32 exec_lo, exec_lo, s34
	s_cbranch_execz .LBB89_13
; %bb.8:
	s_load_b64 s[36:37], s[0:1], 0x20
	v_bfe_u32 v4, v0, 2, 3
	s_ashr_i32 s7, s6, 31
	v_lshlrev_b32_e32 v9, 3, v11
	s_lshl_b64 s[38:39], s[6:7], 1
	v_and_b32_e32 v7, 12, v10
	v_lshlrev_b32_e32 v13, 4, v4
	v_lshlrev_b32_e32 v2, 2, v4
	v_add3_u32 v9, s31, v9, v4
	v_dual_mov_b32 v17, v5 :: v_dual_lshlrev_b32 v8, 6, v1
	v_cmp_eq_u32_e32 vcc_lo, 0, v1
	v_cmp_neq_f32_e64 s0, s33, 0
	v_xor_b32_e32 v15, 2, v3
	v_xor_b32_e32 v16, 1, v3
	s_waitcnt lgkmcnt(0)
	s_add_u32 s1, s36, s38
	s_addc_u32 s4, s37, s39
	v_add_co_u32 v4, s1, s1, v13
	s_delay_alu instid0(VALU_DEP_1) | instskip(SKIP_1) | instid1(VALU_DEP_2)
	v_add_co_ci_u32_e64 v14, null, s4, 0, s1
	s_lshl_b64 s[36:37], s[24:25], 2
	v_add_co_u32 v13, s1, v4, v7
	v_mov_b32_e32 v7, 0xff7fffff
	v_lshl_or_b32 v12, v11, 5, v2
	v_lshlrev_b64 v[1:2], 2, v[5:6]
	s_sub_i32 s7, 1, s30
	s_add_u32 s4, s22, s36
	v_add_co_ci_u32_e64 v14, s1, 0, v14, s1
	s_addc_u32 s35, s23, s37
	s_delay_alu instid0(VALU_DEP_2)
	v_add_co_u32 v1, s1, s4, v1
	v_add_nc_u32_e32 v12, 0x120, v12
	v_add_co_ci_u32_e64 v2, s1, s35, v2, s1
	v_mov_b32_e32 v4, 32
	s_mov_b32 s36, s5
	s_mov_b32 s35, 0
	s_branch .LBB89_10
.LBB89_9:                               ;   in Loop: Header=BB89_10 Depth=1
	s_or_b32 exec_lo, exec_lo, s4
	v_add_nc_u32_e32 v17, 4, v17
	v_add_co_u32 v1, s4, v1, 16
	v_add_nc_u32_e32 v9, 32, v9
	v_add_nc_u32_e32 v12, 0x80, v12
	s_delay_alu instid0(VALU_DEP_4) | instskip(SKIP_1) | instid1(VALU_DEP_2)
	v_cmp_le_i32_e64 s1, s21, v17
	v_add_co_ci_u32_e64 v2, s4, 0, v2, s4
	s_or_b32 s35, s1, s35
	s_delay_alu instid0(SALU_CYCLE_1)
	s_and_not1_b32 exec_lo, exec_lo, s35
	s_cbranch_execz .LBB89_12
.LBB89_10:                              ; =>This Inner Loop Header: Depth=1
	global_load_b32 v20, v[1:2], off
	s_waitcnt vmcnt(0) lgkmcnt(0)
	v_mad_i64_i32 v[18:19], null, v20, s36, 0
	s_delay_alu instid0(VALU_DEP_1) | instskip(NEXT) | instid1(VALU_DEP_1)
	v_lshlrev_b64 v[18:19], 1, v[18:19]
	v_add_co_u32 v18, s1, v13, v18
	s_delay_alu instid0(VALU_DEP_1)
	v_add_co_ci_u32_e64 v19, s1, v14, v19, s1
	v_cmp_gt_i32_e64 s1, 32, v15
	s_clause 0xa
	global_load_b32 v20, v[18:19], off
	global_load_b32 v21, v[18:19], off offset:128
	global_load_b32 v22, v[18:19], off offset:256
	;; [unrolled: 1-line block ×10, first 2 shown]
	ds_load_b32 v31, v8
	s_clause 0x4
	global_load_b32 v34, v[18:19], off offset:1408
	global_load_b32 v35, v[18:19], off offset:1536
	;; [unrolled: 1-line block ×5, first 2 shown]
	s_waitcnt lgkmcnt(0)
	v_lshrrev_b32_e32 v32, 16, v31
	v_and_b32_e32 v31, 0xffff, v31
	;;#ASMSTART
	v_cvt_f32_f16 v19, v31;
	;;#ASMEND
	;;#ASMSTART
	v_cvt_f32_f16 v31, v32;
	;;#ASMEND
	s_waitcnt vmcnt(15)
	v_lshrrev_b32_e32 v33, 16, v20
	v_and_b32_e32 v20, 0xffff, v20
	;;#ASMSTART
	v_cvt_f32_f16 v20, v20;
	;;#ASMEND
	;;#ASMSTART
	v_cvt_f32_f16 v32, v33;
	;;#ASMEND
	ds_load_b32 v33, v8 offset:4
	s_waitcnt vmcnt(14)
	v_and_b32_e32 v39, 0xffff, v21
	v_lshrrev_b32_e32 v21, 16, v21
	s_waitcnt vmcnt(13)
	v_and_b32_e32 v42, 0xffff, v22
	v_lshrrev_b32_e32 v22, 16, v22
	;; [unrolled: 3-line block ×9, first 2 shown]
	s_waitcnt vmcnt(5)
	v_and_b32_e32 v66, 0xffff, v30
	s_waitcnt lgkmcnt(0)
	v_and_b32_e32 v38, 0xffff, v33
	v_lshrrev_b32_e32 v33, 16, v33
	;;#ASMSTART
	v_cvt_f32_f16 v38, v38;
	;;#ASMEND
	;;#ASMSTART
	v_cvt_f32_f16 v33, v33;
	;;#ASMEND
	;; [unrolled: 3-line block ×4, first 2 shown]
	ds_load_b32 v40, v8 offset:8
	v_mul_f32_e32 v21, v33, v21
	v_lshrrev_b32_e32 v30, 16, v30
	s_waitcnt vmcnt(4)
	v_and_b32_e32 v69, 0xffff, v34
	v_lshrrev_b32_e32 v34, 16, v34
	v_dual_mul_f32 v38, v38, v39 :: v_dual_fmac_f32 v21, v31, v32
	s_delay_alu instid0(VALU_DEP_1)
	v_fmac_f32_e32 v38, v19, v20
	s_waitcnt vmcnt(2)
	v_lshrrev_b32_e32 v19, 16, v36
	s_waitcnt lgkmcnt(0)
	v_and_b32_e32 v41, 0xffff, v40
	v_lshrrev_b32_e32 v40, 16, v40
	;;#ASMSTART
	v_cvt_f32_f16 v41, v41;
	;;#ASMEND
	;;#ASMSTART
	v_cvt_f32_f16 v40, v40;
	;;#ASMEND
	;; [unrolled: 3-line block ×4, first 2 shown]
	ds_load_b32 v43, v8 offset:12
	v_fmac_f32_e32 v38, v41, v42
	s_waitcnt lgkmcnt(0)
	v_dual_fmac_f32 v21, v40, v22 :: v_dual_and_b32 v44, 0xffff, v43
	v_lshrrev_b32_e32 v43, 16, v43
	;;#ASMSTART
	v_cvt_f32_f16 v44, v44;
	;;#ASMEND
	;;#ASMSTART
	v_cvt_f32_f16 v43, v43;
	;;#ASMEND
	;;#ASMSTART
	v_cvt_f32_f16 v45, v45;
	;;#ASMEND
	;;#ASMSTART
	v_cvt_f32_f16 v23, v23;
	;;#ASMEND
	ds_load_b32 v46, v8 offset:16
	v_dual_fmac_f32 v21, v43, v23 :: v_dual_fmac_f32 v38, v44, v45
	v_and_b32_e32 v23, 0xffff, v36
	s_waitcnt lgkmcnt(0)
	v_and_b32_e32 v47, 0xffff, v46
	v_lshrrev_b32_e32 v46, 16, v46
	;;#ASMSTART
	v_cvt_f32_f16 v47, v47;
	;;#ASMEND
	;;#ASMSTART
	v_cvt_f32_f16 v46, v46;
	;;#ASMEND
	;; [unrolled: 3-line block ×4, first 2 shown]
	ds_load_b32 v49, v8 offset:20
	v_fmac_f32_e32 v21, v46, v24
	v_fmac_f32_e32 v38, v47, v48
	s_waitcnt lgkmcnt(0)
	v_and_b32_e32 v50, 0xffff, v49
	v_lshrrev_b32_e32 v49, 16, v49
	;;#ASMSTART
	v_cvt_f32_f16 v50, v50;
	;;#ASMEND
	;;#ASMSTART
	v_cvt_f32_f16 v49, v49;
	;;#ASMEND
	;; [unrolled: 3-line block ×4, first 2 shown]
	ds_load_b32 v52, v8 offset:24
	v_dual_fmac_f32 v38, v50, v51 :: v_dual_fmac_f32 v21, v49, v25
	s_waitcnt vmcnt(1)
	v_lshrrev_b32_e32 v25, 16, v37
	s_waitcnt lgkmcnt(0)
	v_and_b32_e32 v53, 0xffff, v52
	v_lshrrev_b32_e32 v52, 16, v52
	;;#ASMSTART
	v_cvt_f32_f16 v53, v53;
	;;#ASMEND
	;;#ASMSTART
	v_cvt_f32_f16 v52, v52;
	;;#ASMEND
	;; [unrolled: 3-line block ×4, first 2 shown]
	ds_load_b32 v55, v8 offset:28
	v_fmac_f32_e32 v21, v52, v26
	v_fmac_f32_e32 v38, v53, v54
	s_waitcnt lgkmcnt(0)
	v_and_b32_e32 v56, 0xffff, v55
	v_lshrrev_b32_e32 v55, 16, v55
	;;#ASMSTART
	v_cvt_f32_f16 v56, v56;
	;;#ASMEND
	;;#ASMSTART
	v_cvt_f32_f16 v55, v55;
	;;#ASMEND
	;; [unrolled: 3-line block ×4, first 2 shown]
	ds_load_b32 v58, v8 offset:32
	v_dual_fmac_f32 v38, v56, v57 :: v_dual_fmac_f32 v21, v55, v27
	s_waitcnt lgkmcnt(0)
	v_and_b32_e32 v59, 0xffff, v58
	v_lshrrev_b32_e32 v58, 16, v58
	;;#ASMSTART
	v_cvt_f32_f16 v59, v59;
	;;#ASMEND
	;;#ASMSTART
	v_cvt_f32_f16 v58, v58;
	;;#ASMEND
	;; [unrolled: 3-line block ×4, first 2 shown]
	ds_load_b32 v61, v8 offset:36
	v_fmac_f32_e32 v21, v58, v28
	v_fmac_f32_e32 v38, v59, v60
	s_waitcnt lgkmcnt(0)
	v_and_b32_e32 v62, 0xffff, v61
	v_lshrrev_b32_e32 v61, 16, v61
	;;#ASMSTART
	v_cvt_f32_f16 v62, v62;
	;;#ASMEND
	;;#ASMSTART
	v_cvt_f32_f16 v61, v61;
	;;#ASMEND
	;; [unrolled: 3-line block ×4, first 2 shown]
	ds_load_b32 v64, v8 offset:40
	v_dual_fmac_f32 v38, v62, v63 :: v_dual_fmac_f32 v21, v61, v29
	v_cndmask_b32_e64 v29, v3, v15, s1
	v_cmp_gt_i32_e64 s1, 32, v16
	s_waitcnt lgkmcnt(0)
	v_and_b32_e32 v65, 0xffff, v64
	v_lshrrev_b32_e32 v64, 16, v64
	;;#ASMSTART
	v_cvt_f32_f16 v65, v65;
	;;#ASMEND
	;;#ASMSTART
	v_cvt_f32_f16 v64, v64;
	;;#ASMEND
	;; [unrolled: 3-line block ×4, first 2 shown]
	ds_load_b32 v67, v8 offset:44
	v_fmac_f32_e32 v21, v64, v30
	v_fmac_f32_e32 v38, v65, v66
	s_waitcnt vmcnt(0)
	v_lshrrev_b32_e32 v30, 16, v18
	v_and_b32_e32 v18, 0xffff, v18
	s_waitcnt lgkmcnt(0)
	v_and_b32_e32 v68, 0xffff, v67
	v_lshrrev_b32_e32 v67, 16, v67
	;;#ASMSTART
	v_cvt_f32_f16 v68, v68;
	;;#ASMEND
	;;#ASMSTART
	v_cvt_f32_f16 v67, v67;
	;;#ASMEND
	;; [unrolled: 3-line block ×4, first 2 shown]
	ds_load_b32 v70, v8 offset:48
	v_dual_fmac_f32 v21, v67, v34 :: v_dual_and_b32 v72, 0xffff, v35
	v_lshrrev_b32_e32 v35, 16, v35
	s_waitcnt lgkmcnt(0)
	v_dual_fmac_f32 v38, v68, v69 :: v_dual_and_b32 v71, 0xffff, v70
	v_lshrrev_b32_e32 v70, 16, v70
	;;#ASMSTART
	v_cvt_f32_f16 v71, v71;
	;;#ASMEND
	;;#ASMSTART
	v_cvt_f32_f16 v70, v70;
	;;#ASMEND
	;; [unrolled: 3-line block ×4, first 2 shown]
	ds_load_b32 v73, v8 offset:52
	v_dual_fmac_f32 v21, v70, v35 :: v_dual_fmac_f32 v38, v71, v72
	s_waitcnt lgkmcnt(0)
	v_and_b32_e32 v20, 0xffff, v73
	v_lshrrev_b32_e32 v22, 16, v73
	;;#ASMSTART
	v_cvt_f32_f16 v20, v20;
	;;#ASMEND
	;;#ASMSTART
	v_cvt_f32_f16 v22, v22;
	;;#ASMEND
	;; [unrolled: 3-line block ×4, first 2 shown]
	v_fmac_f32_e32 v21, v22, v19
	ds_load_b32 v24, v8 offset:56
	v_dual_fmac_f32 v38, v20, v23 :: v_dual_and_b32 v27, 0xffff, v37
	s_waitcnt lgkmcnt(0)
	v_and_b32_e32 v26, 0xffff, v24
	v_lshrrev_b32_e32 v24, 16, v24
	;;#ASMSTART
	v_cvt_f32_f16 v26, v26;
	;;#ASMEND
	;;#ASMSTART
	v_cvt_f32_f16 v24, v24;
	;;#ASMEND
	;; [unrolled: 3-line block ×4, first 2 shown]
	v_fmac_f32_e32 v21, v24, v25
	ds_load_b32 v28, v8 offset:60
	s_waitcnt lgkmcnt(0)
	v_dual_fmac_f32 v38, v26, v27 :: v_dual_and_b32 v19, 0xffff, v28
	v_lshrrev_b32_e32 v20, 16, v28
	;;#ASMSTART
	v_cvt_f32_f16 v19, v19;
	;;#ASMEND
	;;#ASMSTART
	v_cvt_f32_f16 v20, v20;
	;;#ASMEND
	;; [unrolled: 3-line block ×4, first 2 shown]
	v_fmac_f32_e32 v21, v20, v22
	v_cndmask_b32_e64 v20, v3, v16, s1
	v_fmac_f32_e32 v38, v19, v18
	v_lshlrev_b32_e32 v18, 2, v29
	s_delay_alu instid0(VALU_DEP_2)
	v_add_f32_e32 v19, v38, v21
	ds_bpermute_b32 v18, v18, v19
	s_waitcnt lgkmcnt(0)
	v_dual_add_f32 v18, v19, v18 :: v_dual_lshlrev_b32 v19, 2, v20
	ds_bpermute_b32 v19, v19, v18
	s_and_saveexec_b32 s4, vcc_lo
	s_cbranch_execz .LBB89_9
; %bb.11:                               ;   in Loop: Header=BB89_10 Depth=1
	s_waitcnt lgkmcnt(0)
	v_add_f32_e32 v18, v18, v19
	v_add_nc_u32_e32 v20, s7, v9
	v_cmp_gt_i32_e64 s1, s30, v9
	s_delay_alu instid0(VALU_DEP_2) | instskip(NEXT) | instid1(VALU_DEP_1)
	v_cvt_f32_i32_e32 v20, v20
	v_mul_f32_e32 v20, s33, v20
	s_delay_alu instid0(VALU_DEP_1) | instskip(NEXT) | instid1(VALU_DEP_1)
	v_cndmask_b32_e64 v19, 0, v20, s0
	v_dual_max_f32 v20, v7, v7 :: v_dual_fmac_f32 v19, s29, v18
	s_delay_alu instid0(VALU_DEP_1) | instskip(SKIP_1) | instid1(VALU_DEP_2)
	v_max_f32_e32 v18, v20, v19
	v_cndmask_b32_e64 v19, 0, v19, s1
	v_cndmask_b32_e64 v7, v7, v18, s1
	ds_store_b32 v12, v19
	s_branch .LBB89_9
.LBB89_12:
	s_or_b32 exec_lo, exec_lo, s35
.LBB89_13:
	s_delay_alu instid0(SALU_CYCLE_1) | instskip(SKIP_3) | instid1(VALU_DEP_3)
	s_or_b32 exec_lo, exec_lo, s34
	v_xor_b32_e32 v1, 16, v3
	v_xor_b32_e32 v8, 8, v3
	v_dual_max_f32 v9, v7, v7 :: v_dual_and_b32 v12, 31, v0
	v_cmp_lt_i32_e32 vcc_lo, v1, v4
	v_cndmask_b32_e32 v1, v3, v1, vcc_lo
	s_delay_alu instid0(VALU_DEP_4) | instskip(NEXT) | instid1(VALU_DEP_2)
	v_cmp_lt_i32_e32 vcc_lo, v8, v4
	v_lshlrev_b32_e32 v2, 2, v1
	ds_bpermute_b32 v1, v2, v7
	v_cndmask_b32_e32 v7, v3, v8, vcc_lo
	s_delay_alu instid0(VALU_DEP_1) | instskip(SKIP_2) | instid1(VALU_DEP_1)
	v_lshlrev_b32_e32 v7, 2, v7
	s_waitcnt lgkmcnt(0)
	v_max_f32_e32 v1, v1, v1
	v_max_f32_e32 v1, v9, v1
	v_xor_b32_e32 v9, 4, v3
	ds_bpermute_b32 v8, v7, v1
	v_cmp_lt_i32_e32 vcc_lo, v9, v4
	v_cndmask_b32_e32 v9, v3, v9, vcc_lo
	v_cmp_eq_u32_e32 vcc_lo, 0, v12
	s_waitcnt lgkmcnt(0)
	s_delay_alu instid0(VALU_DEP_2) | instskip(NEXT) | instid1(VALU_DEP_1)
	v_dual_max_f32 v8, v8, v8 :: v_dual_lshlrev_b32 v13, 2, v9
	v_dual_max_f32 v1, v1, v8 :: v_dual_lshlrev_b32 v8, 2, v11
	ds_bpermute_b32 v9, v13, v1
	s_and_saveexec_b32 s0, vcc_lo
	s_cbranch_execz .LBB89_15
; %bb.14:
	s_waitcnt lgkmcnt(0)
	v_max_f32_e32 v9, v9, v9
	v_max_f32_e32 v1, v1, v1
	s_delay_alu instid0(VALU_DEP_1)
	v_max_f32_e32 v1, v1, v9
	ds_store_b32 v8, v1 offset:256
.LBB89_15:
	s_or_b32 exec_lo, exec_lo, s0
	v_cmp_gt_u32_e64 s0, 4, v12
	v_mov_b32_e32 v1, 0xff7fffff
	s_waitcnt lgkmcnt(0)
	v_lshlrev_b32_e32 v9, 2, v12
	s_barrier
	buffer_gl0_inv
	s_and_saveexec_b32 s1, s0
	s_cbranch_execz .LBB89_17
; %bb.16:
	ds_load_b32 v1, v9 offset:256
.LBB89_17:
	s_or_b32 exec_lo, exec_lo, s1
	v_xor_b32_e32 v14, 2, v3
	v_xor_b32_e32 v16, 1, v3
	s_delay_alu instid0(VALU_DEP_2) | instskip(NEXT) | instid1(VALU_DEP_1)
	v_cmp_lt_i32_e64 s1, v14, v4
	v_cndmask_b32_e64 v14, v3, v14, s1
	s_delay_alu instid0(VALU_DEP_3) | instskip(NEXT) | instid1(VALU_DEP_2)
	v_cmp_lt_i32_e64 s1, v16, v4
	v_lshlrev_b32_e32 v14, 2, v14
	s_delay_alu instid0(VALU_DEP_2)
	v_cndmask_b32_e64 v4, v3, v16, s1
	v_lshlrev_b32_e32 v3, 2, v3
	s_sub_i32 s1, s21, s15
	v_mov_b32_e32 v16, 0
	s_waitcnt lgkmcnt(0)
	ds_bpermute_b32 v15, v14, v1
	v_dual_max_f32 v1, v1, v1 :: v_dual_lshlrev_b32 v4, 2, v4
	s_lshl_b32 s1, s1, 3
	s_delay_alu instid0(SALU_CYCLE_1) | instskip(NEXT) | instid1(SALU_CYCLE_1)
	s_add_i32 s1, s1, s31
	s_min_i32 s1, s1, s30
	s_delay_alu instid0(SALU_CYCLE_1) | instskip(NEXT) | instid1(SALU_CYCLE_1)
	s_sub_i32 s7, s1, s31
	v_cmp_gt_i32_e64 s1, s7, v0
	s_waitcnt lgkmcnt(0)
	v_max_f32_e32 v15, v15, v15
	s_delay_alu instid0(VALU_DEP_1) | instskip(SKIP_3) | instid1(VALU_DEP_1)
	v_max_f32_e32 v1, v1, v15
	ds_bpermute_b32 v15, v4, v1
	s_waitcnt lgkmcnt(0)
	v_max_f32_e32 v15, v15, v15
	v_max_f32_e32 v1, v1, v15
	v_and_b32_e32 v15, 0xffffff80, v3
	v_lshl_add_u32 v3, v0, 2, 0x120
	ds_bpermute_b32 v1, v15, v1
	s_and_saveexec_b32 s15, s1
	s_cbranch_execz .LBB89_21
; %bb.18:
	v_lshl_add_u32 v17, v0, 2, 0x120
	v_mov_b32_e32 v16, 0
	v_mov_b32_e32 v18, v0
	s_mov_b32 s29, 0
	.p2align	6
.LBB89_19:                              ; =>This Inner Loop Header: Depth=1
	ds_load_b32 v19, v17
	v_add_nc_u32_e32 v18, 0x80, v18
	s_delay_alu instid0(VALU_DEP_1) | instskip(NEXT) | instid1(VALU_DEP_1)
	v_cmp_le_i32_e64 s4, s7, v18
	s_or_b32 s29, s4, s29
	s_waitcnt lgkmcnt(0)
	v_sub_f32_e32 v19, v19, v1
	s_delay_alu instid0(VALU_DEP_1) | instskip(NEXT) | instid1(VALU_DEP_1)
	v_mul_f32_e32 v19, 0x3fb8aa3b, v19
	v_exp_f32_e32 v19, v19
	ds_store_b32 v17, v19
	v_dual_add_f32 v16, v16, v19 :: v_dual_add_nc_u32 v17, 0x200, v17
	s_and_not1_b32 exec_lo, exec_lo, s29
	s_cbranch_execnz .LBB89_19
; %bb.20:
	s_or_b32 exec_lo, exec_lo, s29
.LBB89_21:
	s_delay_alu instid0(SALU_CYCLE_1)
	s_or_b32 exec_lo, exec_lo, s15
	ds_bpermute_b32 v2, v2, v16
	s_waitcnt lgkmcnt(0)
	v_add_f32_e32 v2, v16, v2
	ds_bpermute_b32 v7, v7, v2
	s_waitcnt lgkmcnt(0)
	v_add_f32_e32 v2, v2, v7
	;; [unrolled: 3-line block ×5, first 2 shown]
	s_and_saveexec_b32 s4, vcc_lo
	s_cbranch_execz .LBB89_23
; %bb.22:
	ds_store_b32 v8, v2 offset:272
.LBB89_23:
	s_or_b32 exec_lo, exec_lo, s4
	s_waitcnt lgkmcnt(0)
	s_barrier
	buffer_gl0_inv
	s_and_saveexec_b32 s4, s0
	s_cbranch_execz .LBB89_25
; %bb.24:
	ds_load_b32 v2, v9 offset:272
.LBB89_25:
	s_or_b32 exec_lo, exec_lo, s4
	s_waitcnt lgkmcnt(0)
	ds_bpermute_b32 v7, v14, v2
	s_waitcnt lgkmcnt(0)
	v_add_f32_e32 v2, v2, v7
	ds_bpermute_b32 v4, v4, v2
	s_waitcnt lgkmcnt(0)
	v_add_f32_e32 v2, v2, v4
	ds_bpermute_b32 v2, v15, v2
	s_and_saveexec_b32 s0, s1
	s_cbranch_execz .LBB89_28
; %bb.26:
	s_waitcnt lgkmcnt(0)
	v_add_f32_e32 v4, 0x358637bd, v2
	s_mov_b32 s1, 0
	s_delay_alu instid0(VALU_DEP_1) | instskip(SKIP_1) | instid1(VALU_DEP_2)
	v_div_scale_f32 v7, null, v4, v4, 1.0
	v_div_scale_f32 v13, vcc_lo, 1.0, v4, 1.0
	v_rcp_f32_e32 v8, v7
	s_waitcnt_depctr 0xfff
	v_fma_f32 v9, -v7, v8, 1.0
	s_delay_alu instid0(VALU_DEP_1) | instskip(NEXT) | instid1(VALU_DEP_1)
	v_fmac_f32_e32 v8, v9, v8
	v_mul_f32_e32 v9, v13, v8
	s_delay_alu instid0(VALU_DEP_1) | instskip(NEXT) | instid1(VALU_DEP_1)
	v_fma_f32 v14, -v7, v9, v13
	v_fmac_f32_e32 v9, v14, v8
	s_delay_alu instid0(VALU_DEP_1) | instskip(NEXT) | instid1(VALU_DEP_1)
	v_fma_f32 v7, -v7, v9, v13
	v_div_fmas_f32 v7, v7, v8, v9
	s_delay_alu instid0(VALU_DEP_1)
	v_div_fixup_f32 v4, v7, v4, 1.0
	v_mov_b32_e32 v7, v0
.LBB89_27:                              ; =>This Inner Loop Header: Depth=1
	ds_load_b32 v8, v3
	s_waitcnt lgkmcnt(0)
	v_dual_mul_f32 v8, v4, v8 :: v_dual_add_nc_u32 v7, 0x80, v7
	s_delay_alu instid0(VALU_DEP_1) | instskip(SKIP_3) | instid1(SALU_CYCLE_1)
	v_cmp_le_i32_e32 vcc_lo, s7, v7
	ds_store_b32 v3, v8
	v_add_nc_u32_e32 v3, 0x200, v3
	s_or_b32 s1, vcc_lo, s1
	s_and_not1_b32 exec_lo, exec_lo, s1
	s_cbranch_execnz .LBB89_27
.LBB89_28:
	s_or_b32 exec_lo, exec_lo, s0
	s_mul_i32 s0, s17, s14
	s_waitcnt lgkmcnt(0)
	s_mul_i32 s14, s0, s13
	s_mov_b32 s0, exec_lo
	s_barrier
	buffer_gl0_inv
	v_cmpx_eq_u32_e32 0, v0
	s_cbranch_execz .LBB89_30
; %bb.29:
	s_ashr_i32 s15, s14, 31
	s_mul_i32 s36, s17, s20
	s_lshl_b64 s[34:35], s[14:15], 2
	v_mov_b32_e32 v3, 0
	s_add_u32 s1, s10, s34
	s_addc_u32 s4, s11, s35
	s_ashr_i32 s37, s36, 31
	s_delay_alu instid0(SALU_CYCLE_1) | instskip(NEXT) | instid1(SALU_CYCLE_1)
	s_lshl_b64 s[10:11], s[36:37], 2
	s_add_u32 s1, s1, s10
	s_addc_u32 s4, s4, s11
	s_ashr_i32 s13, s12, 31
	s_delay_alu instid0(SALU_CYCLE_1) | instskip(NEXT) | instid1(SALU_CYCLE_1)
	s_lshl_b64 s[36:37], s[12:13], 2
	s_add_u32 s38, s1, s36
	s_addc_u32 s39, s4, s37
	s_add_u32 s1, s8, s34
	s_addc_u32 s4, s9, s35
	;; [unrolled: 2-line block ×4, first 2 shown]
	s_clause 0x1
	global_store_b32 v3, v1, s[38:39]
	global_store_b32 v3, v2, s[8:9]
.LBB89_30:
	s_or_b32 exec_lo, exec_lo, s0
	v_dual_mov_b32 v13, 0 :: v_dual_mov_b32 v16, 0
	v_dual_mov_b32 v15, 0 :: v_dual_mov_b32 v14, 0
	s_mov_b32 s4, 0
	s_and_saveexec_b32 s1, s3
	s_cbranch_execz .LBB89_42
; %bb.31:
	s_ashr_i32 s7, s6, 31
	v_dual_mov_b32 v14, 0 :: v_dual_lshlrev_b32 v1, 4, v12
	s_lshl_b64 s[6:7], s[6:7], 1
	v_lshl_add_u32 v19, v11, 3, s31
	s_add_u32 s0, s26, s6
	s_addc_u32 s9, s27, s7
	v_add_co_u32 v17, s0, s0, v1
	v_lshlrev_b64 v[1:2], 2, v[5:6]
	s_lshl_b64 s[10:11], s[24:25], 2
	s_add_i32 s28, s28, -1
	v_add_co_ci_u32_e64 v18, null, s9, 0, s0
	s_add_u32 s0, s22, s10
	s_addc_u32 s9, s23, s11
	v_add_co_u32 v6, vcc_lo, s0, v1
	v_lshl_add_u32 v20, v11, 5, 0x120
	v_add_co_ci_u32_e32 v7, vcc_lo, s9, v2, vcc_lo
	v_dual_mov_b32 v16, 0 :: v_dual_mov_b32 v15, 0
	v_mov_b32_e32 v13, 0
	s_mov_b32 s3, s5
	s_mov_b32 s5, s30
	;; [unrolled: 1-line block ×8, first 2 shown]
	s_branch .LBB89_33
.LBB89_32:                              ;   in Loop: Header=BB89_33 Depth=1
	s_or_b32 exec_lo, exec_lo, s0
	s_waitcnt vmcnt(0)
	;;#ASMSTART
	v_pk_mul_f16 v1, v31, v1;

	;;#ASMEND
	;;#ASMSTART
	v_pk_mul_f16 v2, v30, v2;

	;;#ASMEND
	;; [unrolled: 4-line block ×4, first 2 shown]
	;;#ASMSTART
	v_pk_add_f16 v1, v1, v2;

	;;#ASMEND
	;;#ASMSTART
	v_pk_add_f16 v1, v1, v3;

	;;#ASMEND
	v_add_f32_e32 v3, v32, v33
	v_dual_add_f32 v8, v36, v37 :: v_dual_add_nc_u32 v19, 32, v19
	;;#ASMSTART
	v_pk_add_f16 v1, v1, v4;

	;;#ASMEND
	v_and_b32_e32 v2, 0xffff, v1
	v_lshrrev_b32_e32 v1, 16, v1
	s_delay_alu instid0(VALU_DEP_3) | instskip(SKIP_3) | instid1(VALU_DEP_2)
	v_dual_add_f32 v15, v15, v8 :: v_dual_add_f32 v4, v34, v35
	v_dual_add_f32 v14, v14, v3 :: v_dual_add_nc_u32 v5, 4, v5
	;;#ASMSTART
	v_cvt_f32_f16 v2, v2;
	;;#ASMEND
	;;#ASMSTART
	v_cvt_f32_f16 v1, v1;
	;;#ASMEND
	v_dual_add_f32 v1, v2, v1 :: v_dual_add_f32 v16, v16, v4
	s_delay_alu instid0(VALU_DEP_2) | instskip(SKIP_1) | instid1(VALU_DEP_3)
	v_cmp_le_i32_e32 vcc_lo, s21, v5
	v_add_co_u32 v6, s0, v6, 16
	v_dual_add_f32 v13, v13, v1 :: v_dual_add_nc_u32 v20, 0x80, v20
	v_add_co_ci_u32_e64 v7, s0, 0, v7, s0
	s_or_b32 s4, vcc_lo, s4
	s_delay_alu instid0(SALU_CYCLE_1)
	s_and_not1_b32 exec_lo, exec_lo, s4
	s_cbranch_execz .LBB89_41
.LBB89_33:                              ; =>This Inner Loop Header: Depth=1
	global_load_b32 v25, v[6:7], off
	ds_load_2addr_b64 v[1:4], v20 offset1:1
	ds_load_2addr_b64 v[21:24], v20 offset0:2 offset1:3
	v_or_b32_e32 v26, 7, v19
	v_or_b32_e32 v27, 6, v19
	s_waitcnt lgkmcnt(1)
	;;#ASMSTART
	v_cvt_f16_f32 v30, v1;

	;;#ASMEND
	;;#ASMSTART
	v_cvt_f16_f32 v28, v2;

	;;#ASMEND
	;;#ASMSTART
	v_cvt_f16_f32 v31, v3;

	;;#ASMEND
	;;#ASMSTART
	v_cvt_f16_f32 v29, v4;

	;;#ASMEND
	s_waitcnt lgkmcnt(0)
	;;#ASMSTART
	v_cvt_f16_f32 v34, v21;

	;;#ASMEND
	;;#ASMSTART
	v_cvt_f16_f32 v32, v22;

	;;#ASMEND
	;; [unrolled: 4-line block ×4, first 2 shown]
	v_add_nc_u32_e32 v21, 1, v19
	v_or_b32_e32 v23, 3, v19
	v_or_b32_e32 v22, 2, v19
	;; [unrolled: 1-line block ×3, first 2 shown]
	s_waitcnt vmcnt(0)
	v_mad_i64_i32 v[8:9], null, v25, s3, 0
	v_or_b32_e32 v25, 5, v19
	s_delay_alu instid0(VALU_DEP_2) | instskip(NEXT) | instid1(VALU_DEP_1)
	v_lshlrev_b64 v[8:9], 1, v[8:9]
	v_add_co_u32 v8, vcc_lo, v17, v8
	s_delay_alu instid0(VALU_DEP_2)
	v_add_co_ci_u32_e32 v9, vcc_lo, v18, v9, vcc_lo
	v_cmp_eq_u32_e32 vcc_lo, s28, v5
	global_load_b128 v[1:4], v[8:9], off
	s_and_saveexec_b32 s13, vcc_lo
	s_cbranch_execz .LBB89_35
; %bb.34:                               ;   in Loop: Header=BB89_33 Depth=1
	v_cmp_gt_i32_e64 s0, s10, v27
	s_waitcnt vmcnt(0)
	v_lshrrev_b32_e32 v36, 16, v4
	v_lshrrev_b32_e32 v37, 16, v3
	;; [unrolled: 1-line block ×4, first 2 shown]
	v_cndmask_b32_e64 v4, 0, v4, s0
	v_cmp_gt_i32_e64 s0, s11, v26
	s_delay_alu instid0(VALU_DEP_1) | instskip(SKIP_1) | instid1(VALU_DEP_2)
	v_cndmask_b32_e64 v36, 0, v36, s0
	v_cmp_gt_i32_e64 s0, s9, v25
	v_perm_b32 v4, v36, v4, 0x5040100
	s_delay_alu instid0(VALU_DEP_2) | instskip(SKIP_1) | instid1(VALU_DEP_1)
	v_cndmask_b32_e64 v37, 0, v37, s0
	v_cmp_gt_i32_e64 s0, s8, v24
	v_cndmask_b32_e64 v3, 0, v3, s0
	v_cmp_gt_i32_e64 s0, s7, v23
	s_delay_alu instid0(VALU_DEP_2) | instskip(NEXT) | instid1(VALU_DEP_2)
	v_perm_b32 v3, v37, v3, 0x5040100
	v_cndmask_b32_e64 v38, 0, v38, s0
	v_cmp_gt_i32_e64 s0, s6, v22
	s_delay_alu instid0(VALU_DEP_1) | instskip(SKIP_1) | instid1(VALU_DEP_2)
	v_cndmask_b32_e64 v2, 0, v2, s0
	v_cmp_gt_i32_e64 s0, s5, v21
	v_perm_b32 v2, v38, v2, 0x5040100
	s_delay_alu instid0(VALU_DEP_2) | instskip(SKIP_1) | instid1(VALU_DEP_1)
	v_cndmask_b32_e64 v39, 0, v39, s0
	v_cmp_gt_i32_e64 s0, s30, v19
	v_cndmask_b32_e64 v1, 0, v1, s0
	s_delay_alu instid0(VALU_DEP_1)
	v_perm_b32 v1, v39, v1, 0x5040100
.LBB89_35:                              ;   in Loop: Header=BB89_33 Depth=1
	s_or_b32 exec_lo, exec_lo, s13
	v_and_b32_e32 v30, 0xffff, v30
	v_and_b32_e32 v36, 0xffff, v31
	;; [unrolled: 1-line block ×4, first 2 shown]
	s_delay_alu instid0(VALU_DEP_4)
	v_lshl_or_b32 v31, v28, 16, v30
	s_waitcnt vmcnt(0)
	;;#ASMSTART
	v_pk_mul_f16 v1, v31, v1;

	;;#ASMEND
	v_lshl_or_b32 v30, v29, 16, v36
	v_lshl_or_b32 v29, v32, 16, v34
	;; [unrolled: 1-line block ×3, first 2 shown]
	;;#ASMSTART
	v_pk_mul_f16 v2, v30, v2;

	;;#ASMEND
	;;#ASMSTART
	v_pk_mul_f16 v3, v29, v3;

	;;#ASMEND
	;; [unrolled: 4-line block ×3, first 2 shown]
	;;#ASMSTART
	v_pk_add_f16 v1, v1, v2;

	;;#ASMEND
	;;#ASMSTART
	v_pk_add_f16 v1, v1, v3;

	;;#ASMEND
	;; [unrolled: 4-line block ×3, first 2 shown]
	v_and_b32_e32 v2, 0xffff, v1
	v_lshrrev_b32_e32 v1, 16, v1
	;;#ASMSTART
	v_cvt_f32_f16 v32, v2;
	;;#ASMEND
	;;#ASMSTART
	v_cvt_f32_f16 v33, v1;
	;;#ASMEND
	global_load_b128 v[1:4], v[8:9], off offset:512
	s_and_saveexec_b32 s13, vcc_lo
	s_cbranch_execz .LBB89_37
; %bb.36:                               ;   in Loop: Header=BB89_33 Depth=1
	v_cmp_gt_i32_e64 s0, s10, v27
	s_waitcnt vmcnt(0)
	v_lshrrev_b32_e32 v34, 16, v4
	v_lshrrev_b32_e32 v35, 16, v3
	;; [unrolled: 1-line block ×4, first 2 shown]
	v_cndmask_b32_e64 v4, 0, v4, s0
	v_cmp_gt_i32_e64 s0, s11, v26
	s_delay_alu instid0(VALU_DEP_1) | instskip(SKIP_1) | instid1(VALU_DEP_2)
	v_cndmask_b32_e64 v34, 0, v34, s0
	v_cmp_gt_i32_e64 s0, s9, v25
	v_perm_b32 v4, v34, v4, 0x5040100
	s_delay_alu instid0(VALU_DEP_2) | instskip(SKIP_1) | instid1(VALU_DEP_1)
	v_cndmask_b32_e64 v35, 0, v35, s0
	v_cmp_gt_i32_e64 s0, s8, v24
	v_cndmask_b32_e64 v3, 0, v3, s0
	v_cmp_gt_i32_e64 s0, s7, v23
	s_delay_alu instid0(VALU_DEP_2) | instskip(NEXT) | instid1(VALU_DEP_2)
	v_perm_b32 v3, v35, v3, 0x5040100
	v_cndmask_b32_e64 v36, 0, v36, s0
	v_cmp_gt_i32_e64 s0, s6, v22
	s_delay_alu instid0(VALU_DEP_1) | instskip(SKIP_1) | instid1(VALU_DEP_2)
	v_cndmask_b32_e64 v2, 0, v2, s0
	v_cmp_gt_i32_e64 s0, s5, v21
	v_perm_b32 v2, v36, v2, 0x5040100
	s_delay_alu instid0(VALU_DEP_2) | instskip(SKIP_1) | instid1(VALU_DEP_1)
	v_cndmask_b32_e64 v37, 0, v37, s0
	v_cmp_gt_i32_e64 s0, s30, v19
	v_cndmask_b32_e64 v1, 0, v1, s0
	s_delay_alu instid0(VALU_DEP_1)
	v_perm_b32 v1, v37, v1, 0x5040100
.LBB89_37:                              ;   in Loop: Header=BB89_33 Depth=1
	s_or_b32 exec_lo, exec_lo, s13
	s_waitcnt vmcnt(0)
	;;#ASMSTART
	v_pk_mul_f16 v1, v31, v1;

	;;#ASMEND
	;;#ASMSTART
	v_pk_mul_f16 v2, v30, v2;

	;;#ASMEND
	;; [unrolled: 4-line block ×4, first 2 shown]
	;;#ASMSTART
	v_pk_add_f16 v1, v1, v2;

	;;#ASMEND
	;;#ASMSTART
	v_pk_add_f16 v1, v1, v3;

	;;#ASMEND
	;; [unrolled: 4-line block ×3, first 2 shown]
	v_and_b32_e32 v2, 0xffff, v1
	v_lshrrev_b32_e32 v1, 16, v1
	;;#ASMSTART
	v_cvt_f32_f16 v34, v2;
	;;#ASMEND
	;;#ASMSTART
	v_cvt_f32_f16 v35, v1;
	;;#ASMEND
	global_load_b128 v[1:4], v[8:9], off offset:1024
	s_and_saveexec_b32 s13, vcc_lo
	s_cbranch_execz .LBB89_39
; %bb.38:                               ;   in Loop: Header=BB89_33 Depth=1
	v_cmp_gt_i32_e64 s0, s10, v27
	s_waitcnt vmcnt(0)
	v_lshrrev_b32_e32 v36, 16, v4
	v_lshrrev_b32_e32 v37, 16, v3
	;; [unrolled: 1-line block ×4, first 2 shown]
	v_cndmask_b32_e64 v4, 0, v4, s0
	v_cmp_gt_i32_e64 s0, s11, v26
	s_delay_alu instid0(VALU_DEP_1) | instskip(SKIP_1) | instid1(VALU_DEP_2)
	v_cndmask_b32_e64 v36, 0, v36, s0
	v_cmp_gt_i32_e64 s0, s9, v25
	v_perm_b32 v4, v36, v4, 0x5040100
	s_delay_alu instid0(VALU_DEP_2) | instskip(SKIP_1) | instid1(VALU_DEP_1)
	v_cndmask_b32_e64 v37, 0, v37, s0
	v_cmp_gt_i32_e64 s0, s8, v24
	v_cndmask_b32_e64 v3, 0, v3, s0
	v_cmp_gt_i32_e64 s0, s7, v23
	s_delay_alu instid0(VALU_DEP_2) | instskip(NEXT) | instid1(VALU_DEP_2)
	v_perm_b32 v3, v37, v3, 0x5040100
	v_cndmask_b32_e64 v38, 0, v38, s0
	v_cmp_gt_i32_e64 s0, s6, v22
	s_delay_alu instid0(VALU_DEP_1) | instskip(SKIP_1) | instid1(VALU_DEP_2)
	v_cndmask_b32_e64 v2, 0, v2, s0
	v_cmp_gt_i32_e64 s0, s5, v21
	v_perm_b32 v2, v38, v2, 0x5040100
	s_delay_alu instid0(VALU_DEP_2) | instskip(SKIP_1) | instid1(VALU_DEP_1)
	v_cndmask_b32_e64 v39, 0, v39, s0
	v_cmp_gt_i32_e64 s0, s30, v19
	v_cndmask_b32_e64 v1, 0, v1, s0
	s_delay_alu instid0(VALU_DEP_1)
	v_perm_b32 v1, v39, v1, 0x5040100
.LBB89_39:                              ;   in Loop: Header=BB89_33 Depth=1
	s_or_b32 exec_lo, exec_lo, s13
	s_waitcnt vmcnt(0)
	;;#ASMSTART
	v_pk_mul_f16 v1, v31, v1;

	;;#ASMEND
	;;#ASMSTART
	v_pk_mul_f16 v2, v30, v2;

	;;#ASMEND
	;; [unrolled: 4-line block ×4, first 2 shown]
	;;#ASMSTART
	v_pk_add_f16 v1, v1, v2;

	;;#ASMEND
	;;#ASMSTART
	v_pk_add_f16 v1, v1, v3;

	;;#ASMEND
	;; [unrolled: 4-line block ×3, first 2 shown]
	v_and_b32_e32 v2, 0xffff, v1
	v_lshrrev_b32_e32 v1, 16, v1
	;;#ASMSTART
	v_cvt_f32_f16 v36, v2;
	;;#ASMEND
	;;#ASMSTART
	v_cvt_f32_f16 v37, v1;
	;;#ASMEND
	global_load_b128 v[1:4], v[8:9], off offset:1536
	s_and_saveexec_b32 s0, vcc_lo
	s_cbranch_execz .LBB89_32
; %bb.40:                               ;   in Loop: Header=BB89_33 Depth=1
	v_cmp_gt_i32_e32 vcc_lo, s10, v27
	s_waitcnt vmcnt(0)
	v_lshrrev_b32_e32 v8, 16, v4
	v_lshrrev_b32_e32 v9, 16, v3
	v_cndmask_b32_e32 v4, 0, v4, vcc_lo
	v_cmp_gt_i32_e32 vcc_lo, s11, v26
	s_delay_alu instid0(VALU_DEP_4)
	v_cndmask_b32_e32 v8, 0, v8, vcc_lo
	v_cmp_gt_i32_e32 vcc_lo, s9, v25
	v_lshrrev_b32_e32 v25, 16, v2
	v_cndmask_b32_e32 v9, 0, v9, vcc_lo
	v_cmp_gt_i32_e32 vcc_lo, s8, v24
	v_lshrrev_b32_e32 v24, 16, v1
	v_cndmask_b32_e32 v3, 0, v3, vcc_lo
	v_cmp_gt_i32_e32 vcc_lo, s7, v23
	v_perm_b32 v4, v8, v4, 0x5040100
	s_delay_alu instid0(VALU_DEP_3) | instskip(SKIP_4) | instid1(VALU_DEP_2)
	v_perm_b32 v3, v9, v3, 0x5040100
	v_cndmask_b32_e32 v23, 0, v25, vcc_lo
	v_cmp_gt_i32_e32 vcc_lo, s6, v22
	v_cndmask_b32_e32 v2, 0, v2, vcc_lo
	v_cmp_gt_i32_e32 vcc_lo, s5, v21
	v_perm_b32 v2, v23, v2, 0x5040100
	v_cndmask_b32_e32 v21, 0, v24, vcc_lo
	v_cmp_gt_i32_e32 vcc_lo, s30, v19
	v_cndmask_b32_e32 v1, 0, v1, vcc_lo
	s_delay_alu instid0(VALU_DEP_1)
	v_perm_b32 v1, v21, v1, 0x5040100
	s_branch .LBB89_32
.LBB89_41:
	s_or_b32 exec_lo, exec_lo, s4
.LBB89_42:
	s_delay_alu instid0(SALU_CYCLE_1)
	s_or_b32 exec_lo, exec_lo, s1
	v_and_b32_e32 v2, 0x3c0, v0
	v_lshl_add_u32 v1, v11, 9, 0x120
	s_mov_b32 s0, exec_lo
	s_waitcnt_vscnt null, 0x0
	s_barrier
	buffer_gl0_inv
	v_cmpx_eq_u32_e32 64, v2
	s_cbranch_execz .LBB89_44
; %bb.43:
	v_add_nc_u32_e32 v2, 0xfffffc00, v1
	v_lshl_or_b32 v3, v0, 2, 0x180
	s_delay_alu instid0(VALU_DEP_2) | instskip(NEXT) | instid1(VALU_DEP_2)
	v_lshl_add_u32 v4, v12, 2, v2
	v_add_nc_u32_e32 v2, v2, v3
	ds_store_2addr_b32 v4, v14, v16 offset1:32
	ds_store_b32 v4, v15 offset:256
	ds_store_b32 v2, v13
.LBB89_44:
	s_or_b32 exec_lo, exec_lo, s0
	v_lshl_add_u32 v2, v12, 2, v1
	s_waitcnt lgkmcnt(0)
	s_barrier
	buffer_gl0_inv
	s_and_saveexec_b32 s0, s2
	s_cbranch_execz .LBB89_46
; %bb.45:
	v_or_b32_e32 v3, 0x80, v10
	v_or_b32_e32 v4, 0x180, v10
	s_delay_alu instid0(VALU_DEP_2) | instskip(NEXT) | instid1(VALU_DEP_2)
	v_add_nc_u32_e32 v5, v1, v3
	v_add_nc_u32_e32 v6, v1, v4
	ds_load_2addr_stride64_b32 v[3:4], v2 offset1:1
	ds_load_b32 v5, v5
	ds_load_b32 v6, v6
	s_waitcnt lgkmcnt(2)
	v_dual_add_f32 v14, v14, v3 :: v_dual_add_f32 v15, v15, v4
	s_waitcnt lgkmcnt(0)
	v_dual_add_f32 v16, v16, v5 :: v_dual_add_f32 v13, v13, v6
.LBB89_46:
	s_or_b32 exec_lo, exec_lo, s0
	v_and_b32_e32 v3, 0x3e0, v0
	s_mov_b32 s0, exec_lo
	s_barrier
	buffer_gl0_inv
	v_cmpx_eq_u32_e32 32, v3
	s_cbranch_execz .LBB89_48
; %bb.47:
	v_or_b32_e32 v3, 0x180, v10
	v_lshl_add_u32 v4, v12, 2, 0x120
	v_add_nc_u32_e32 v5, 0x120, v10
	s_delay_alu instid0(VALU_DEP_3)
	v_add_nc_u32_e32 v3, 0x120, v3
	ds_store_b32 v4, v14
	ds_store_b32 v5, v16
	ds_store_b32 v4, v15 offset:256
	ds_store_b32 v3, v13
.LBB89_48:
	s_or_b32 exec_lo, exec_lo, s0
	v_cmp_gt_u32_e32 vcc_lo, 32, v0
	s_waitcnt lgkmcnt(0)
	s_barrier
	buffer_gl0_inv
	s_and_saveexec_b32 s0, vcc_lo
	s_cbranch_execz .LBB89_50
; %bb.49:
	v_lshl_add_u32 v3, v0, 2, v1
	ds_load_b32 v4, v2
	ds_load_2addr_b32 v[1:2], v3 offset0:32 offset1:64
	ds_load_b32 v3, v3 offset:384
	s_waitcnt lgkmcnt(1)
	v_dual_add_f32 v14, v14, v4 :: v_dual_add_f32 v15, v15, v2
	s_waitcnt lgkmcnt(0)
	v_dual_add_f32 v16, v16, v1 :: v_dual_add_f32 v13, v13, v3
.LBB89_50:
	s_or_b32 exec_lo, exec_lo, s0
	s_barrier
	buffer_gl0_inv
	s_and_saveexec_b32 s0, vcc_lo
	s_cbranch_execz .LBB89_52
; %bb.51:
	s_lshl_b32 s0, s14, 7
	s_mul_i32 s2, s17, s16
	s_ashr_i32 s1, s0, 31
	v_lshlrev_b32_e32 v0, 1, v0
	s_lshl_b64 s[0:1], s[0:1], 1
	;;#ASMSTART
	v_cvt_f16_f32 v1, v14;

	;;#ASMEND
	s_add_u32 s4, s18, s0
	s_addc_u32 s5, s19, s1
	s_ashr_i32 s3, s2, 31
	s_delay_alu instid0(SALU_CYCLE_1) | instskip(NEXT) | instid1(SALU_CYCLE_1)
	s_lshl_b64 s[0:1], s[2:3], 1
	s_add_u32 s2, s4, s0
	s_addc_u32 s3, s5, s1
	s_lshl_b32 s0, s12, 7
	s_delay_alu instid0(SALU_CYCLE_1) | instskip(NEXT) | instid1(SALU_CYCLE_1)
	s_ashr_i32 s1, s0, 31
	s_lshl_b64 s[0:1], s[0:1], 1
	s_delay_alu instid0(SALU_CYCLE_1)
	s_add_u32 s0, s2, s0
	s_addc_u32 s1, s3, s1
	global_store_b16 v0, v1, s[0:1]
	;;#ASMSTART
	v_cvt_f16_f32 v1, v16;

	;;#ASMEND
	global_store_b16 v0, v1, s[0:1] offset:64
	;;#ASMSTART
	v_cvt_f16_f32 v1, v15;

	;;#ASMEND
	global_store_b16 v0, v1, s[0:1] offset:128
	;; [unrolled: 5-line block ×3, first 2 shown]
.LBB89_52:
	s_nop 0
	s_sendmsg sendmsg(MSG_DEALLOC_VGPRS)
	s_endpgm
	.section	.rodata,"a",@progbits
	.p2align	6, 0x0
	.amdhsa_kernel _ZN4vllm25paged_attention_v2_kernelIttLi128ELi8ELi128ELNS_18Fp8KVCacheDataTypeE0ELb0ELi512EEEvPfS2_PT_PKS3_PKT0_S9_ifPKiSB_iPKfiiiSD_SD_iiiii
		.amdhsa_group_segment_fixed_size 288
		.amdhsa_private_segment_fixed_size 0
		.amdhsa_kernarg_size 400
		.amdhsa_user_sgpr_count 13
		.amdhsa_user_sgpr_dispatch_ptr 0
		.amdhsa_user_sgpr_queue_ptr 0
		.amdhsa_user_sgpr_kernarg_segment_ptr 1
		.amdhsa_user_sgpr_dispatch_id 0
		.amdhsa_user_sgpr_private_segment_size 0
		.amdhsa_wavefront_size32 1
		.amdhsa_uses_dynamic_stack 0
		.amdhsa_enable_private_segment 0
		.amdhsa_system_sgpr_workgroup_id_x 1
		.amdhsa_system_sgpr_workgroup_id_y 1
		.amdhsa_system_sgpr_workgroup_id_z 1
		.amdhsa_system_sgpr_workgroup_info 0
		.amdhsa_system_vgpr_workitem_id 0
		.amdhsa_next_free_vgpr 74
		.amdhsa_next_free_sgpr 40
		.amdhsa_reserve_vcc 1
		.amdhsa_float_round_mode_32 0
		.amdhsa_float_round_mode_16_64 0
		.amdhsa_float_denorm_mode_32 3
		.amdhsa_float_denorm_mode_16_64 3
		.amdhsa_dx10_clamp 1
		.amdhsa_ieee_mode 1
		.amdhsa_fp16_overflow 0
		.amdhsa_workgroup_processor_mode 1
		.amdhsa_memory_ordered 1
		.amdhsa_forward_progress 0
		.amdhsa_shared_vgpr_count 0
		.amdhsa_exception_fp_ieee_invalid_op 0
		.amdhsa_exception_fp_denorm_src 0
		.amdhsa_exception_fp_ieee_div_zero 0
		.amdhsa_exception_fp_ieee_overflow 0
		.amdhsa_exception_fp_ieee_underflow 0
		.amdhsa_exception_fp_ieee_inexact 0
		.amdhsa_exception_int_div_zero 0
	.end_amdhsa_kernel
	.section	.text._ZN4vllm25paged_attention_v2_kernelIttLi128ELi8ELi128ELNS_18Fp8KVCacheDataTypeE0ELb0ELi512EEEvPfS2_PT_PKS3_PKT0_S9_ifPKiSB_iPKfiiiSD_SD_iiiii,"axG",@progbits,_ZN4vllm25paged_attention_v2_kernelIttLi128ELi8ELi128ELNS_18Fp8KVCacheDataTypeE0ELb0ELi512EEEvPfS2_PT_PKS3_PKT0_S9_ifPKiSB_iPKfiiiSD_SD_iiiii,comdat
.Lfunc_end89:
	.size	_ZN4vllm25paged_attention_v2_kernelIttLi128ELi8ELi128ELNS_18Fp8KVCacheDataTypeE0ELb0ELi512EEEvPfS2_PT_PKS3_PKT0_S9_ifPKiSB_iPKfiiiSD_SD_iiiii, .Lfunc_end89-_ZN4vllm25paged_attention_v2_kernelIttLi128ELi8ELi128ELNS_18Fp8KVCacheDataTypeE0ELb0ELi512EEEvPfS2_PT_PKS3_PKT0_S9_ifPKiSB_iPKfiiiSD_SD_iiiii
                                        ; -- End function
	.section	.AMDGPU.csdata,"",@progbits
; Kernel info:
; codeLenInByte = 7392
; NumSgprs: 42
; NumVgprs: 74
; ScratchSize: 0
; MemoryBound: 0
; FloatMode: 240
; IeeeMode: 1
; LDSByteSize: 288 bytes/workgroup (compile time only)
; SGPRBlocks: 5
; VGPRBlocks: 9
; NumSGPRsForWavesPerEU: 42
; NumVGPRsForWavesPerEU: 74
; Occupancy: 16
; WaveLimiterHint : 1
; COMPUTE_PGM_RSRC2:SCRATCH_EN: 0
; COMPUTE_PGM_RSRC2:USER_SGPR: 13
; COMPUTE_PGM_RSRC2:TRAP_HANDLER: 0
; COMPUTE_PGM_RSRC2:TGID_X_EN: 1
; COMPUTE_PGM_RSRC2:TGID_Y_EN: 1
; COMPUTE_PGM_RSRC2:TGID_Z_EN: 1
; COMPUTE_PGM_RSRC2:TIDIG_COMP_CNT: 0
	.section	.text._ZN4vllm25paged_attention_v2_kernelIttLi192ELi8ELi128ELNS_18Fp8KVCacheDataTypeE0ELb0ELi512EEEvPfS2_PT_PKS3_PKT0_S9_ifPKiSB_iPKfiiiSD_SD_iiiii,"axG",@progbits,_ZN4vllm25paged_attention_v2_kernelIttLi192ELi8ELi128ELNS_18Fp8KVCacheDataTypeE0ELb0ELi512EEEvPfS2_PT_PKS3_PKT0_S9_ifPKiSB_iPKfiiiSD_SD_iiiii,comdat
	.protected	_ZN4vllm25paged_attention_v2_kernelIttLi192ELi8ELi128ELNS_18Fp8KVCacheDataTypeE0ELb0ELi512EEEvPfS2_PT_PKS3_PKT0_S9_ifPKiSB_iPKfiiiSD_SD_iiiii ; -- Begin function _ZN4vllm25paged_attention_v2_kernelIttLi192ELi8ELi128ELNS_18Fp8KVCacheDataTypeE0ELb0ELi512EEEvPfS2_PT_PKS3_PKT0_S9_ifPKiSB_iPKfiiiSD_SD_iiiii
	.globl	_ZN4vllm25paged_attention_v2_kernelIttLi192ELi8ELi128ELNS_18Fp8KVCacheDataTypeE0ELb0ELi512EEEvPfS2_PT_PKS3_PKT0_S9_ifPKiSB_iPKfiiiSD_SD_iiiii
	.p2align	8
	.type	_ZN4vllm25paged_attention_v2_kernelIttLi192ELi8ELi128ELNS_18Fp8KVCacheDataTypeE0ELb0ELi512EEEvPfS2_PT_PKS3_PKT0_S9_ifPKiSB_iPKfiiiSD_SD_iiiii,@function
_ZN4vllm25paged_attention_v2_kernelIttLi192ELi8ELi128ELNS_18Fp8KVCacheDataTypeE0ELb0ELi512EEEvPfS2_PT_PKS3_PKT0_S9_ifPKiSB_iPKfiiiSD_SD_iiiii: ; @_ZN4vllm25paged_attention_v2_kernelIttLi192ELi8ELi128ELNS_18Fp8KVCacheDataTypeE0ELb0ELi512EEEvPfS2_PT_PKS3_PKT0_S9_ifPKiSB_iPKfiiiSD_SD_iiiii
; %bb.0:
	s_load_b64 s[2:3], s[0:1], 0x40
	s_mov_b32 s12, s15
	s_ashr_i32 s15, s14, 31
	s_delay_alu instid0(SALU_CYCLE_1)
	s_lshl_b64 s[4:5], s[14:15], 2
	s_waitcnt lgkmcnt(0)
	s_add_u32 s2, s2, s4
	s_addc_u32 s3, s3, s5
	s_lshl_b32 s31, s12, 9
	s_load_b32 s30, s[2:3], 0x0
	s_waitcnt lgkmcnt(0)
	s_cmp_ge_i32 s31, s30
	s_cbranch_scc1 .LBB90_56
; %bb.1:
	s_mov_b32 s20, s13
	s_clause 0x1
	s_load_b32 s13, s[0:1], 0x90
	s_load_b64 s[28:29], s[0:1], 0x30
	s_waitcnt lgkmcnt(0)
	s_abs_i32 s5, s13
	s_abs_i32 s2, s28
	s_delay_alu instid0(SALU_CYCLE_1) | instskip(SKIP_1) | instid1(VALU_DEP_1)
	v_cvt_f32_u32_e32 v1, s2
	s_sub_i32 s4, 0, s2
	v_rcp_iflag_f32_e32 v1, v1
	s_waitcnt_depctr 0xfff
	v_mul_f32_e32 v1, 0x4f7ffffe, v1
	s_delay_alu instid0(VALU_DEP_1) | instskip(NEXT) | instid1(VALU_DEP_1)
	v_cvt_u32_f32_e32 v1, v1
	v_readfirstlane_b32 s3, v1
	s_delay_alu instid0(VALU_DEP_1) | instskip(NEXT) | instid1(SALU_CYCLE_1)
	s_mul_i32 s4, s4, s3
	s_mul_hi_u32 s4, s3, s4
	s_delay_alu instid0(SALU_CYCLE_1)
	s_add_i32 s3, s3, s4
	s_xor_b32 s4, s13, s28
	s_mul_hi_u32 s3, s5, s3
	s_ashr_i32 s4, s4, 31
	s_mul_i32 s6, s3, s2
	s_mov_b32 s28, 0
	s_sub_i32 s5, s5, s6
	s_add_i32 s6, s3, 1
	s_sub_i32 s7, s5, s2
	s_cmp_ge_u32 s5, s2
	s_cselect_b32 s3, s6, s3
	s_cselect_b32 s5, s7, s5
	s_add_i32 s6, s3, 1
	s_cmp_ge_u32 s5, s2
	s_cselect_b32 s2, s6, s3
	s_abs_i32 s10, s20
	s_xor_b32 s2, s2, s4
	s_delay_alu instid0(SALU_CYCLE_1) | instskip(SKIP_2) | instid1(SALU_CYCLE_1)
	s_sub_i32 s11, s2, s4
	s_load_b64 s[2:3], s[0:1], 0x50
	s_abs_i32 s8, s11
	v_cvt_f32_u32_e32 v1, s8
	s_sub_i32 s5, 0, s8
	s_delay_alu instid0(VALU_DEP_1) | instskip(SKIP_2) | instid1(VALU_DEP_1)
	v_rcp_iflag_f32_e32 v1, v1
	s_waitcnt_depctr 0xfff
	v_mul_f32_e32 v1, 0x4f7ffffe, v1
	v_cvt_u32_f32_e32 v1, v1
	s_delay_alu instid0(VALU_DEP_1) | instskip(NEXT) | instid1(VALU_DEP_1)
	v_readfirstlane_b32 s4, v1
	s_mul_i32 s5, s5, s4
	s_delay_alu instid0(SALU_CYCLE_1) | instskip(NEXT) | instid1(SALU_CYCLE_1)
	s_mul_hi_u32 s5, s4, s5
	s_add_i32 s4, s4, s5
	s_waitcnt lgkmcnt(0)
	s_cmp_eq_u64 s[2:3], 0
	s_mul_hi_u32 s9, s10, s4
	s_cbranch_scc1 .LBB90_3
; %bb.2:
	s_ashr_i32 s21, s20, 31
	s_delay_alu instid0(SALU_CYCLE_1) | instskip(NEXT) | instid1(SALU_CYCLE_1)
	s_lshl_b64 s[4:5], s[20:21], 2
	s_add_u32 s2, s2, s4
	s_addc_u32 s3, s3, s5
	s_load_b32 s28, s[2:3], 0x0
.LBB90_3:
	s_load_b128 s[4:7], s[0:1], 0x58
	v_and_b32_e32 v1, 3, v0
	v_lshlrev_b32_e32 v10, 2, v0
	s_ashr_i32 s2, s20, 31
	s_ashr_i32 s3, s11, 31
	s_mul_i32 s16, s20, 0xc0
	s_waitcnt lgkmcnt(0)
	s_mov_b32 s7, exec_lo
	v_cmpx_gt_u32_e32 0x60, v0
	s_cbranch_execz .LBB90_5
; %bb.4:
	s_load_b64 s[18:19], s[0:1], 0x18
	s_mul_i32 s22, s14, s4
	v_and_b32_e32 v3, 0x3fc, v0
	s_ashr_i32 s23, s22, 31
	s_delay_alu instid0(SALU_CYCLE_1) | instskip(NEXT) | instid1(VALU_DEP_1)
	s_lshl_b64 s[22:23], s[22:23], 1
	v_mad_u32_u24 v3, 0x60, v1, v3
	s_waitcnt lgkmcnt(0)
	s_add_u32 s4, s18, s22
	s_addc_u32 s11, s19, s23
	s_ashr_i32 s17, s16, 31
	s_delay_alu instid0(SALU_CYCLE_1) | instskip(NEXT) | instid1(SALU_CYCLE_1)
	s_lshl_b64 s[18:19], s[16:17], 1
	s_add_u32 s18, s4, s18
	s_addc_u32 s19, s11, s19
	global_load_b32 v2, v10, s[18:19]
	s_waitcnt vmcnt(0)
	ds_store_b32 v3, v2
.LBB90_5:
	s_or_b32 exec_lo, exec_lo, s7
	s_add_i32 s4, s30, 7
	s_lshl_b32 s15, s12, 6
	s_ashr_i32 s7, s4, 31
	s_xor_b32 s2, s2, s3
	s_lshr_b32 s7, s7, 29
	s_add_i32 s3, s15, 64
	s_add_i32 s4, s4, s7
	s_clause 0x1
	s_load_b64 s[22:23], s[0:1], 0x38
	s_load_b32 s7, s[0:1], 0x48
	s_ashr_i32 s21, s4, 3
	s_mul_i32 s4, s9, s8
	s_min_i32 s17, s3, s21
	s_sub_i32 s3, s10, s4
	s_add_i32 s4, s9, 1
	s_sub_i32 s10, s3, s8
	s_cmp_ge_u32 s3, s8
	v_lshrrev_b32_e32 v11, 5, v0
	s_cselect_b32 s4, s4, s9
	s_cselect_b32 s3, s10, s3
	s_add_i32 s9, s4, 1
	s_cmp_ge_u32 s3, s8
	v_or_b32_e32 v5, s15, v11
	s_cselect_b32 s3, s9, s4
	v_mbcnt_lo_u32_b32 v3, -1, 0
	s_xor_b32 s3, s3, s2
	s_mov_b32 s4, exec_lo
	s_sub_i32 s3, s3, s2
	v_cmp_gt_i32_e64 s2, s17, v5
	s_waitcnt lgkmcnt(0)
	s_mul_i32 s24, s14, s7
	s_delay_alu instid0(SALU_CYCLE_1)
	s_ashr_i32 s25, s24, 31
	s_barrier
	buffer_gl0_inv
                                        ; implicit-def: $sgpr7
                                        ; implicit-def: $vgpr4
	v_cmpx_le_i32_e64 s17, v5
	s_xor_b32 s4, exec_lo, s4
; %bb.6:
	v_mbcnt_lo_u32_b32 v3, -1, 0
	v_mov_b32_e32 v4, 32
	s_mov_b32 s7, 0xff7fffff
                                        ; implicit-def: $vgpr1
; %bb.7:
	s_or_saveexec_b32 s33, s4
	s_clause 0x3
	s_load_b128 s[8:11], s[0:1], 0x0
	s_load_b64 s[18:19], s[0:1], 0x10
	s_load_b64 s[26:27], s[0:1], 0x28
	s_load_b32 s4, s[0:1], 0x98
	v_mov_b32_e32 v7, s7
	v_ashrrev_i32_e32 v6, 31, v5
	s_mul_i32 s6, s3, s6
	s_xor_b32 exec_lo, exec_lo, s33
	s_cbranch_execz .LBB90_13
; %bb.8:
	s_load_b64 s[34:35], s[0:1], 0x20
	v_bfe_u32 v4, v0, 2, 3
	s_ashr_i32 s7, s6, 31
	v_lshlrev_b32_e32 v9, 3, v11
	s_lshl_b64 s[36:37], s[6:7], 1
	v_and_b32_e32 v7, 12, v10
	v_lshlrev_b32_e32 v13, 4, v4
	v_lshlrev_b32_e32 v2, 2, v4
	v_add3_u32 v9, s31, v9, v4
	v_mul_u32_u24_e32 v8, 0x60, v1
	v_cmp_eq_u32_e32 vcc_lo, 0, v1
	v_cmp_neq_f32_e64 s0, s28, 0
	v_xor_b32_e32 v15, 2, v3
	v_xor_b32_e32 v16, 1, v3
	v_mov_b32_e32 v17, v5
	s_waitcnt lgkmcnt(0)
	s_add_u32 s1, s34, s36
	s_addc_u32 s3, s35, s37
	v_add_co_u32 v4, s1, s1, v13
	s_delay_alu instid0(VALU_DEP_1) | instskip(SKIP_1) | instid1(VALU_DEP_2)
	v_add_co_ci_u32_e64 v14, null, s3, 0, s1
	s_lshl_b64 s[34:35], s[24:25], 2
	v_add_co_u32 v13, s1, v4, v7
	v_mov_b32_e32 v7, 0xff7fffff
	v_lshl_or_b32 v12, v11, 5, v2
	v_lshlrev_b64 v[1:2], 2, v[5:6]
	s_sub_i32 s7, 1, s30
	s_add_u32 s3, s22, s34
	v_add_co_ci_u32_e64 v14, s1, 0, v14, s1
	s_addc_u32 s34, s23, s35
	s_delay_alu instid0(VALU_DEP_2)
	v_add_co_u32 v1, s1, s3, v1
	v_add_nc_u32_e32 v12, 0x1a0, v12
	v_add_co_ci_u32_e64 v2, s1, s34, v2, s1
	v_mov_b32_e32 v4, 32
	s_mov_b32 s35, s5
	s_mov_b32 s34, 0
	s_branch .LBB90_10
.LBB90_9:                               ;   in Loop: Header=BB90_10 Depth=1
	s_or_b32 exec_lo, exec_lo, s3
	v_add_nc_u32_e32 v17, 4, v17
	v_add_co_u32 v1, s3, v1, 16
	v_add_nc_u32_e32 v9, 32, v9
	v_add_nc_u32_e32 v12, 0x80, v12
	s_delay_alu instid0(VALU_DEP_4) | instskip(SKIP_1) | instid1(VALU_DEP_2)
	v_cmp_le_i32_e64 s1, s17, v17
	v_add_co_ci_u32_e64 v2, s3, 0, v2, s3
	s_or_b32 s34, s1, s34
	s_delay_alu instid0(SALU_CYCLE_1)
	s_and_not1_b32 exec_lo, exec_lo, s34
	s_cbranch_execz .LBB90_12
.LBB90_10:                              ; =>This Inner Loop Header: Depth=1
	global_load_b32 v20, v[1:2], off
	s_waitcnt vmcnt(0) lgkmcnt(0)
	v_mad_i64_i32 v[18:19], null, v20, s35, 0
	s_delay_alu instid0(VALU_DEP_1) | instskip(NEXT) | instid1(VALU_DEP_1)
	v_lshlrev_b64 v[18:19], 1, v[18:19]
	v_add_co_u32 v20, s1, v13, v18
	s_delay_alu instid0(VALU_DEP_1)
	v_add_co_ci_u32_e64 v21, s1, v14, v19, s1
	v_cmp_gt_i32_e64 s1, 32, v15
	s_clause 0xa
	global_load_b32 v18, v[20:21], off
	global_load_b32 v22, v[20:21], off offset:128
	global_load_b32 v23, v[20:21], off offset:256
	global_load_b32 v24, v[20:21], off offset:384
	global_load_b32 v25, v[20:21], off offset:512
	global_load_b32 v26, v[20:21], off offset:640
	global_load_b32 v27, v[20:21], off offset:768
	global_load_b32 v28, v[20:21], off offset:896
	global_load_b32 v29, v[20:21], off offset:1024
	global_load_b32 v30, v[20:21], off offset:1152
	global_load_b32 v31, v[20:21], off offset:1280
	ds_load_b32 v19, v8
	s_clause 0x4
	global_load_b32 v34, v[20:21], off offset:1408
	global_load_b32 v35, v[20:21], off offset:1536
	;; [unrolled: 1-line block ×5, first 2 shown]
	s_waitcnt lgkmcnt(0)
	v_lshrrev_b32_e32 v32, 16, v19
	v_and_b32_e32 v33, 0xffff, v19
	s_waitcnt vmcnt(15)
	v_lshrrev_b32_e32 v39, 16, v18
	v_and_b32_e32 v40, 0xffff, v18
	s_clause 0x7
	global_load_b32 v41, v[20:21], off offset:2048
	global_load_b32 v42, v[20:21], off offset:2176
	global_load_b32 v43, v[20:21], off offset:2304
	global_load_b32 v44, v[20:21], off offset:2432
	global_load_b32 v45, v[20:21], off offset:2560
	global_load_b32 v46, v[20:21], off offset:2688
	global_load_b32 v19, v[20:21], off offset:2816
	global_load_b32 v18, v[20:21], off offset:2944
	;;#ASMSTART
	v_cvt_f32_f16 v20, v33;
	;;#ASMEND
	;;#ASMSTART
	v_cvt_f32_f16 v21, v32;
	;;#ASMEND
	;; [unrolled: 3-line block ×4, first 2 shown]
	ds_load_b32 v39, v8 offset:4
	s_waitcnt vmcnt(22)
	v_and_b32_e32 v47, 0xffff, v22
	v_lshrrev_b32_e32 v22, 16, v22
	s_waitcnt vmcnt(21)
	v_and_b32_e32 v50, 0xffff, v23
	v_lshrrev_b32_e32 v23, 16, v23
	;; [unrolled: 3-line block ×8, first 2 shown]
	s_waitcnt lgkmcnt(0)
	v_and_b32_e32 v40, 0xffff, v39
	v_lshrrev_b32_e32 v39, 16, v39
	;;#ASMSTART
	v_cvt_f32_f16 v40, v40;
	;;#ASMEND
	;;#ASMSTART
	v_cvt_f32_f16 v39, v39;
	;;#ASMEND
	;; [unrolled: 3-line block ×4, first 2 shown]
	ds_load_b32 v48, v8 offset:8
	v_dual_mul_f32 v22, v39, v22 :: v_dual_and_b32 v53, 0xffff, v24
	v_lshrrev_b32_e32 v24, 16, v24
	v_mul_f32_e32 v40, v40, v47
	s_delay_alu instid0(VALU_DEP_3) | instskip(NEXT) | instid1(VALU_DEP_2)
	v_fmac_f32_e32 v22, v21, v33
	v_fmac_f32_e32 v40, v20, v32
	s_waitcnt lgkmcnt(0)
	v_and_b32_e32 v49, 0xffff, v48
	v_lshrrev_b32_e32 v48, 16, v48
	;;#ASMSTART
	v_cvt_f32_f16 v49, v49;
	;;#ASMEND
	;;#ASMSTART
	v_cvt_f32_f16 v48, v48;
	;;#ASMEND
	;; [unrolled: 3-line block ×4, first 2 shown]
	ds_load_b32 v51, v8 offset:12
	v_dual_fmac_f32 v40, v49, v50 :: v_dual_and_b32 v65, 0xffff, v28
	v_lshrrev_b32_e32 v28, 16, v28
	v_fmac_f32_e32 v22, v48, v23
	s_waitcnt lgkmcnt(0)
	v_and_b32_e32 v52, 0xffff, v51
	v_lshrrev_b32_e32 v51, 16, v51
	;;#ASMSTART
	v_cvt_f32_f16 v52, v52;
	;;#ASMEND
	;;#ASMSTART
	v_cvt_f32_f16 v51, v51;
	;;#ASMEND
	;; [unrolled: 3-line block ×4, first 2 shown]
	ds_load_b32 v54, v8 offset:16
	v_dual_fmac_f32 v40, v52, v53 :: v_dual_and_b32 v59, 0xffff, v26
	v_lshrrev_b32_e32 v26, 16, v26
	v_dual_fmac_f32 v22, v51, v24 :: v_dual_and_b32 v71, 0xffff, v30
	v_lshrrev_b32_e32 v30, 16, v30
	s_waitcnt lgkmcnt(0)
	v_and_b32_e32 v55, 0xffff, v54
	v_lshrrev_b32_e32 v54, 16, v54
	;;#ASMSTART
	v_cvt_f32_f16 v55, v55;
	;;#ASMEND
	;;#ASMSTART
	v_cvt_f32_f16 v54, v54;
	;;#ASMEND
	;; [unrolled: 3-line block ×4, first 2 shown]
	ds_load_b32 v57, v8 offset:20
	v_fmac_f32_e32 v22, v54, v25
	v_fmac_f32_e32 v40, v55, v56
	s_waitcnt lgkmcnt(0)
	v_and_b32_e32 v58, 0xffff, v57
	v_lshrrev_b32_e32 v57, 16, v57
	;;#ASMSTART
	v_cvt_f32_f16 v58, v58;
	;;#ASMEND
	;;#ASMSTART
	v_cvt_f32_f16 v57, v57;
	;;#ASMEND
	;; [unrolled: 3-line block ×4, first 2 shown]
	ds_load_b32 v60, v8 offset:24
	v_dual_fmac_f32 v22, v57, v26 :: v_dual_and_b32 v83, 0xffff, v36
	v_lshrrev_b32_e32 v36, 16, v36
	s_waitcnt lgkmcnt(0)
	v_dual_fmac_f32 v40, v58, v59 :: v_dual_and_b32 v61, 0xffff, v60
	v_lshrrev_b32_e32 v60, 16, v60
	;;#ASMSTART
	v_cvt_f32_f16 v61, v61;
	;;#ASMEND
	;;#ASMSTART
	v_cvt_f32_f16 v60, v60;
	;;#ASMEND
	;; [unrolled: 3-line block ×4, first 2 shown]
	ds_load_b32 v63, v8 offset:28
	v_dual_fmac_f32 v22, v60, v27 :: v_dual_and_b32 v77, 0xffff, v34
	v_lshrrev_b32_e32 v34, 16, v34
	v_fmac_f32_e32 v40, v61, v62
	s_waitcnt lgkmcnt(0)
	v_and_b32_e32 v64, 0xffff, v63
	v_lshrrev_b32_e32 v63, 16, v63
	;;#ASMSTART
	v_cvt_f32_f16 v64, v64;
	;;#ASMEND
	;;#ASMSTART
	v_cvt_f32_f16 v63, v63;
	;;#ASMEND
	;; [unrolled: 3-line block ×4, first 2 shown]
	ds_load_b32 v66, v8 offset:32
	s_waitcnt vmcnt(8)
	v_dual_fmac_f32 v22, v63, v28 :: v_dual_and_b32 v89, 0xffff, v38
	v_lshrrev_b32_e32 v38, 16, v38
	s_waitcnt lgkmcnt(0)
	v_dual_fmac_f32 v40, v64, v65 :: v_dual_and_b32 v67, 0xffff, v66
	v_lshrrev_b32_e32 v66, 16, v66
	;;#ASMSTART
	v_cvt_f32_f16 v67, v67;
	;;#ASMEND
	;;#ASMSTART
	v_cvt_f32_f16 v66, v66;
	;;#ASMEND
	;; [unrolled: 3-line block ×4, first 2 shown]
	ds_load_b32 v69, v8 offset:36
	v_fmac_f32_e32 v22, v66, v29
	v_fmac_f32_e32 v40, v67, v68
	s_waitcnt lgkmcnt(0)
	v_and_b32_e32 v70, 0xffff, v69
	v_lshrrev_b32_e32 v69, 16, v69
	;;#ASMSTART
	v_cvt_f32_f16 v70, v70;
	;;#ASMEND
	;;#ASMSTART
	v_cvt_f32_f16 v69, v69;
	;;#ASMEND
	;; [unrolled: 3-line block ×4, first 2 shown]
	ds_load_b32 v72, v8 offset:40
	v_fmac_f32_e32 v40, v70, v71
	s_waitcnt lgkmcnt(0)
	v_dual_fmac_f32 v22, v69, v30 :: v_dual_and_b32 v73, 0xffff, v72
	v_lshrrev_b32_e32 v72, 16, v72
	;;#ASMSTART
	v_cvt_f32_f16 v73, v73;
	;;#ASMEND
	;;#ASMSTART
	v_cvt_f32_f16 v72, v72;
	;;#ASMEND
	;; [unrolled: 3-line block ×4, first 2 shown]
	ds_load_b32 v75, v8 offset:44
	v_fmac_f32_e32 v40, v73, v74
	v_fmac_f32_e32 v22, v72, v31
	s_waitcnt lgkmcnt(0)
	v_and_b32_e32 v76, 0xffff, v75
	v_lshrrev_b32_e32 v75, 16, v75
	;;#ASMSTART
	v_cvt_f32_f16 v76, v76;
	;;#ASMEND
	;;#ASMSTART
	v_cvt_f32_f16 v75, v75;
	;;#ASMEND
	;; [unrolled: 3-line block ×4, first 2 shown]
	ds_load_b32 v78, v8 offset:48
	s_waitcnt lgkmcnt(0)
	v_dual_fmac_f32 v40, v76, v77 :: v_dual_and_b32 v79, 0xffff, v78
	v_lshrrev_b32_e32 v78, 16, v78
	;;#ASMSTART
	v_cvt_f32_f16 v79, v79;
	;;#ASMEND
	;;#ASMSTART
	v_cvt_f32_f16 v78, v78;
	;;#ASMEND
	;; [unrolled: 3-line block ×4, first 2 shown]
	ds_load_b32 v81, v8 offset:52
	s_waitcnt vmcnt(7)
	v_and_b32_e32 v92, 0xffff, v41
	v_lshrrev_b32_e32 v41, 16, v41
	s_waitcnt vmcnt(6)
	v_and_b32_e32 v95, 0xffff, v42
	v_lshrrev_b32_e32 v42, 16, v42
	;; [unrolled: 3-line block ×4, first 2 shown]
	s_waitcnt vmcnt(3)
	v_lshrrev_b32_e32 v24, 16, v45
	v_and_b32_e32 v27, 0xffff, v45
	s_waitcnt vmcnt(2)
	v_lshrrev_b32_e32 v29, 16, v46
	v_and_b32_e32 v31, 0xffff, v46
	s_waitcnt lgkmcnt(0)
	v_and_b32_e32 v82, 0xffff, v81
	v_lshrrev_b32_e32 v81, 16, v81
	;;#ASMSTART
	v_cvt_f32_f16 v82, v82;
	;;#ASMEND
	;;#ASMSTART
	v_cvt_f32_f16 v81, v81;
	;;#ASMEND
	;;#ASMSTART
	v_cvt_f32_f16 v83, v83;
	;;#ASMEND
	;;#ASMSTART
	v_cvt_f32_f16 v36, v36;
	;;#ASMEND
	ds_load_b32 v84, v8 offset:56
	s_waitcnt lgkmcnt(0)
	v_and_b32_e32 v85, 0xffff, v84
	v_lshrrev_b32_e32 v84, 16, v84
	;;#ASMSTART
	v_cvt_f32_f16 v85, v85;
	;;#ASMEND
	;;#ASMSTART
	v_cvt_f32_f16 v84, v84;
	;;#ASMEND
	;;#ASMSTART
	v_cvt_f32_f16 v86, v86;
	;;#ASMEND
	;;#ASMSTART
	v_cvt_f32_f16 v37, v37;
	;;#ASMEND
	ds_load_b32 v87, v8 offset:60
	;; [unrolled: 16-line block ×9, first 2 shown]
	v_fmac_f32_e32 v22, v75, v34
	s_waitcnt vmcnt(1)
	v_lshrrev_b32_e32 v34, 16, v19
	v_dual_fmac_f32 v40, v79, v80 :: v_dual_and_b32 v19, 0xffff, v19
	s_delay_alu instid0(VALU_DEP_3) | instskip(NEXT) | instid1(VALU_DEP_2)
	v_fmac_f32_e32 v22, v78, v35
	v_fmac_f32_e32 v40, v82, v83
	s_delay_alu instid0(VALU_DEP_2) | instskip(NEXT) | instid1(VALU_DEP_2)
	v_fmac_f32_e32 v22, v81, v36
	v_fmac_f32_e32 v40, v85, v86
	s_delay_alu instid0(VALU_DEP_2) | instskip(NEXT) | instid1(VALU_DEP_2)
	v_fmac_f32_e32 v22, v84, v37
	v_fmac_f32_e32 v40, v88, v89
	s_waitcnt lgkmcnt(0)
	s_delay_alu instid0(VALU_DEP_2)
	v_dual_fmac_f32 v22, v87, v38 :: v_dual_and_b32 v35, 0xffff, v33
	v_lshrrev_b32_e32 v33, 16, v33
	;;#ASMSTART
	v_cvt_f32_f16 v35, v35;
	;;#ASMEND
	v_fmac_f32_e32 v40, v91, v92
	;;#ASMSTART
	v_cvt_f32_f16 v33, v33;
	;;#ASMEND
	v_fmac_f32_e32 v22, v90, v41
	;;#ASMSTART
	v_cvt_f32_f16 v19, v19;
	;;#ASMEND
	;;#ASMSTART
	v_cvt_f32_f16 v34, v34;
	;;#ASMEND
	v_fmac_f32_e32 v40, v94, v95
	ds_load_b32 v36, v8 offset:92
	v_fmac_f32_e32 v22, v93, v42
	v_fmac_f32_e32 v40, v97, v98
	s_delay_alu instid0(VALU_DEP_2) | instskip(NEXT) | instid1(VALU_DEP_2)
	v_fmac_f32_e32 v22, v96, v43
	v_fmac_f32_e32 v40, v20, v23
	v_cndmask_b32_e64 v20, v3, v15, s1
	s_delay_alu instid0(VALU_DEP_3)
	v_fmac_f32_e32 v22, v21, v32
	s_waitcnt vmcnt(0)
	v_lshrrev_b32_e32 v21, 16, v18
	v_and_b32_e32 v18, 0xffff, v18
	v_fmac_f32_e32 v40, v25, v27
	v_cmp_gt_i32_e64 s1, 32, v16
	v_fmac_f32_e32 v22, v26, v24
	s_waitcnt lgkmcnt(0)
	s_delay_alu instid0(VALU_DEP_3) | instskip(NEXT) | instid1(VALU_DEP_2)
	v_dual_fmac_f32 v40, v30, v31 :: v_dual_and_b32 v23, 0xffff, v36
	v_fmac_f32_e32 v22, v28, v29
	v_lshrrev_b32_e32 v24, 16, v36
	s_delay_alu instid0(VALU_DEP_3) | instskip(SKIP_1) | instid1(VALU_DEP_3)
	v_fmac_f32_e32 v40, v35, v19
	;;#ASMSTART
	v_cvt_f32_f16 v19, v23;
	;;#ASMEND
	v_fmac_f32_e32 v22, v33, v34
	;;#ASMSTART
	v_cvt_f32_f16 v23, v24;
	;;#ASMEND
	;;#ASMSTART
	v_cvt_f32_f16 v18, v18;
	;;#ASMEND
	;; [unrolled: 3-line block ×3, first 2 shown]
	v_fmac_f32_e32 v40, v19, v18
	v_fmac_f32_e32 v22, v23, v21
	v_lshlrev_b32_e32 v18, 2, v20
	v_cndmask_b32_e64 v20, v3, v16, s1
	s_delay_alu instid0(VALU_DEP_3)
	v_add_f32_e32 v19, v40, v22
	ds_bpermute_b32 v18, v18, v19
	s_waitcnt lgkmcnt(0)
	v_dual_add_f32 v18, v19, v18 :: v_dual_lshlrev_b32 v19, 2, v20
	ds_bpermute_b32 v19, v19, v18
	s_and_saveexec_b32 s3, vcc_lo
	s_cbranch_execz .LBB90_9
; %bb.11:                               ;   in Loop: Header=BB90_10 Depth=1
	s_waitcnt lgkmcnt(0)
	v_add_f32_e32 v18, v18, v19
	v_add_nc_u32_e32 v20, s7, v9
	v_cmp_gt_i32_e64 s1, s30, v9
	s_delay_alu instid0(VALU_DEP_2) | instskip(NEXT) | instid1(VALU_DEP_1)
	v_cvt_f32_i32_e32 v20, v20
	v_mul_f32_e32 v20, s28, v20
	s_delay_alu instid0(VALU_DEP_1) | instskip(NEXT) | instid1(VALU_DEP_1)
	v_cndmask_b32_e64 v19, 0, v20, s0
	v_dual_max_f32 v20, v7, v7 :: v_dual_fmac_f32 v19, s29, v18
	s_delay_alu instid0(VALU_DEP_1) | instskip(SKIP_1) | instid1(VALU_DEP_2)
	v_max_f32_e32 v18, v20, v19
	v_cndmask_b32_e64 v19, 0, v19, s1
	v_cndmask_b32_e64 v7, v7, v18, s1
	ds_store_b32 v12, v19
	s_branch .LBB90_9
.LBB90_12:
	s_or_b32 exec_lo, exec_lo, s34
.LBB90_13:
	s_delay_alu instid0(SALU_CYCLE_1) | instskip(SKIP_3) | instid1(VALU_DEP_3)
	s_or_b32 exec_lo, exec_lo, s33
	v_xor_b32_e32 v1, 16, v3
	v_xor_b32_e32 v8, 8, v3
	v_dual_max_f32 v9, v7, v7 :: v_dual_and_b32 v12, 31, v0
	v_cmp_lt_i32_e32 vcc_lo, v1, v4
	v_cndmask_b32_e32 v1, v3, v1, vcc_lo
	s_delay_alu instid0(VALU_DEP_4) | instskip(NEXT) | instid1(VALU_DEP_2)
	v_cmp_lt_i32_e32 vcc_lo, v8, v4
	v_lshlrev_b32_e32 v2, 2, v1
	ds_bpermute_b32 v1, v2, v7
	v_cndmask_b32_e32 v7, v3, v8, vcc_lo
	s_delay_alu instid0(VALU_DEP_1) | instskip(SKIP_2) | instid1(VALU_DEP_1)
	v_lshlrev_b32_e32 v7, 2, v7
	s_waitcnt lgkmcnt(0)
	v_max_f32_e32 v1, v1, v1
	v_max_f32_e32 v1, v9, v1
	v_xor_b32_e32 v9, 4, v3
	ds_bpermute_b32 v8, v7, v1
	v_cmp_lt_i32_e32 vcc_lo, v9, v4
	v_cndmask_b32_e32 v9, v3, v9, vcc_lo
	v_cmp_eq_u32_e32 vcc_lo, 0, v12
	s_waitcnt lgkmcnt(0)
	s_delay_alu instid0(VALU_DEP_2) | instskip(NEXT) | instid1(VALU_DEP_1)
	v_dual_max_f32 v8, v8, v8 :: v_dual_lshlrev_b32 v13, 2, v9
	v_dual_max_f32 v1, v1, v8 :: v_dual_lshlrev_b32 v8, 2, v11
	ds_bpermute_b32 v9, v13, v1
	s_and_saveexec_b32 s0, vcc_lo
	s_cbranch_execz .LBB90_15
; %bb.14:
	s_waitcnt lgkmcnt(0)
	v_max_f32_e32 v9, v9, v9
	v_max_f32_e32 v1, v1, v1
	s_delay_alu instid0(VALU_DEP_1)
	v_max_f32_e32 v1, v1, v9
	ds_store_b32 v8, v1 offset:384
.LBB90_15:
	s_or_b32 exec_lo, exec_lo, s0
	v_cmp_gt_u32_e64 s0, 4, v12
	v_mov_b32_e32 v1, 0xff7fffff
	s_waitcnt lgkmcnt(0)
	v_lshlrev_b32_e32 v9, 2, v12
	s_barrier
	buffer_gl0_inv
	s_and_saveexec_b32 s1, s0
	s_cbranch_execz .LBB90_17
; %bb.16:
	ds_load_b32 v1, v9 offset:384
.LBB90_17:
	s_or_b32 exec_lo, exec_lo, s1
	v_xor_b32_e32 v14, 2, v3
	v_xor_b32_e32 v16, 1, v3
	s_delay_alu instid0(VALU_DEP_2) | instskip(NEXT) | instid1(VALU_DEP_1)
	v_cmp_lt_i32_e64 s1, v14, v4
	v_cndmask_b32_e64 v14, v3, v14, s1
	s_delay_alu instid0(VALU_DEP_3) | instskip(NEXT) | instid1(VALU_DEP_2)
	v_cmp_lt_i32_e64 s1, v16, v4
	v_lshlrev_b32_e32 v14, 2, v14
	s_delay_alu instid0(VALU_DEP_2)
	v_cndmask_b32_e64 v4, v3, v16, s1
	v_lshlrev_b32_e32 v3, 2, v3
	s_sub_i32 s1, s17, s15
	v_mov_b32_e32 v16, 0
	s_waitcnt lgkmcnt(0)
	ds_bpermute_b32 v15, v14, v1
	v_dual_max_f32 v1, v1, v1 :: v_dual_lshlrev_b32 v4, 2, v4
	s_lshl_b32 s1, s1, 3
	s_delay_alu instid0(SALU_CYCLE_1) | instskip(NEXT) | instid1(SALU_CYCLE_1)
	s_add_i32 s1, s1, s31
	s_min_i32 s1, s1, s30
	s_delay_alu instid0(SALU_CYCLE_1) | instskip(NEXT) | instid1(SALU_CYCLE_1)
	s_sub_i32 s7, s1, s31
	v_cmp_gt_i32_e64 s1, s7, v0
	s_waitcnt lgkmcnt(0)
	v_max_f32_e32 v15, v15, v15
	s_delay_alu instid0(VALU_DEP_1) | instskip(SKIP_3) | instid1(VALU_DEP_1)
	v_max_f32_e32 v1, v1, v15
	ds_bpermute_b32 v15, v4, v1
	s_waitcnt lgkmcnt(0)
	v_max_f32_e32 v15, v15, v15
	v_max_f32_e32 v1, v1, v15
	v_and_b32_e32 v15, 0xffffff80, v3
	v_lshl_add_u32 v3, v0, 2, 0x1a0
	ds_bpermute_b32 v1, v15, v1
	s_and_saveexec_b32 s15, s1
	s_cbranch_execz .LBB90_21
; %bb.18:
	v_lshl_add_u32 v17, v0, 2, 0x1a0
	v_mov_b32_e32 v16, 0
	v_mov_b32_e32 v18, v0
	s_mov_b32 s28, 0
	.p2align	6
.LBB90_19:                              ; =>This Inner Loop Header: Depth=1
	ds_load_b32 v19, v17
	v_add_nc_u32_e32 v18, 0x80, v18
	s_delay_alu instid0(VALU_DEP_1) | instskip(NEXT) | instid1(VALU_DEP_1)
	v_cmp_le_i32_e64 s3, s7, v18
	s_or_b32 s28, s3, s28
	s_waitcnt lgkmcnt(0)
	v_sub_f32_e32 v19, v19, v1
	s_delay_alu instid0(VALU_DEP_1) | instskip(NEXT) | instid1(VALU_DEP_1)
	v_mul_f32_e32 v19, 0x3fb8aa3b, v19
	v_exp_f32_e32 v19, v19
	ds_store_b32 v17, v19
	v_dual_add_f32 v16, v16, v19 :: v_dual_add_nc_u32 v17, 0x200, v17
	s_and_not1_b32 exec_lo, exec_lo, s28
	s_cbranch_execnz .LBB90_19
; %bb.20:
	s_or_b32 exec_lo, exec_lo, s28
.LBB90_21:
	s_delay_alu instid0(SALU_CYCLE_1)
	s_or_b32 exec_lo, exec_lo, s15
	ds_bpermute_b32 v2, v2, v16
	s_waitcnt lgkmcnt(0)
	v_add_f32_e32 v2, v16, v2
	ds_bpermute_b32 v7, v7, v2
	s_waitcnt lgkmcnt(0)
	v_add_f32_e32 v2, v2, v7
	;; [unrolled: 3-line block ×5, first 2 shown]
	s_and_saveexec_b32 s3, vcc_lo
	s_cbranch_execz .LBB90_23
; %bb.22:
	ds_store_b32 v8, v2 offset:400
.LBB90_23:
	s_or_b32 exec_lo, exec_lo, s3
	s_waitcnt lgkmcnt(0)
	s_barrier
	buffer_gl0_inv
	s_and_saveexec_b32 s3, s0
	s_cbranch_execz .LBB90_25
; %bb.24:
	ds_load_b32 v2, v9 offset:400
.LBB90_25:
	s_or_b32 exec_lo, exec_lo, s3
	s_waitcnt lgkmcnt(0)
	ds_bpermute_b32 v7, v14, v2
	s_waitcnt lgkmcnt(0)
	v_add_f32_e32 v2, v2, v7
	ds_bpermute_b32 v4, v4, v2
	s_waitcnt lgkmcnt(0)
	v_add_f32_e32 v2, v2, v4
	ds_bpermute_b32 v2, v15, v2
	s_and_saveexec_b32 s0, s1
	s_cbranch_execz .LBB90_28
; %bb.26:
	s_waitcnt lgkmcnt(0)
	v_add_f32_e32 v4, 0x358637bd, v2
	s_mov_b32 s1, 0
	s_delay_alu instid0(VALU_DEP_1) | instskip(SKIP_1) | instid1(VALU_DEP_2)
	v_div_scale_f32 v7, null, v4, v4, 1.0
	v_div_scale_f32 v13, vcc_lo, 1.0, v4, 1.0
	v_rcp_f32_e32 v8, v7
	s_waitcnt_depctr 0xfff
	v_fma_f32 v9, -v7, v8, 1.0
	s_delay_alu instid0(VALU_DEP_1) | instskip(NEXT) | instid1(VALU_DEP_1)
	v_fmac_f32_e32 v8, v9, v8
	v_mul_f32_e32 v9, v13, v8
	s_delay_alu instid0(VALU_DEP_1) | instskip(NEXT) | instid1(VALU_DEP_1)
	v_fma_f32 v14, -v7, v9, v13
	v_fmac_f32_e32 v9, v14, v8
	s_delay_alu instid0(VALU_DEP_1) | instskip(NEXT) | instid1(VALU_DEP_1)
	v_fma_f32 v7, -v7, v9, v13
	v_div_fmas_f32 v7, v7, v8, v9
	s_delay_alu instid0(VALU_DEP_1)
	v_div_fixup_f32 v4, v7, v4, 1.0
	v_mov_b32_e32 v7, v0
.LBB90_27:                              ; =>This Inner Loop Header: Depth=1
	ds_load_b32 v8, v3
	s_waitcnt lgkmcnt(0)
	v_dual_mul_f32 v8, v4, v8 :: v_dual_add_nc_u32 v7, 0x80, v7
	s_delay_alu instid0(VALU_DEP_1) | instskip(SKIP_3) | instid1(SALU_CYCLE_1)
	v_cmp_le_i32_e32 vcc_lo, s7, v7
	ds_store_b32 v3, v8
	v_add_nc_u32_e32 v3, 0x200, v3
	s_or_b32 s1, vcc_lo, s1
	s_and_not1_b32 exec_lo, exec_lo, s1
	s_cbranch_execnz .LBB90_27
.LBB90_28:
	s_or_b32 exec_lo, exec_lo, s0
	s_mul_i32 s0, s4, s14
	s_waitcnt lgkmcnt(0)
	s_mul_i32 s14, s0, s13
	s_mov_b32 s0, exec_lo
	s_barrier
	buffer_gl0_inv
	v_cmpx_eq_u32_e32 0, v0
	s_cbranch_execz .LBB90_30
; %bb.29:
	s_ashr_i32 s15, s14, 31
	s_mul_i32 s34, s4, s20
	s_lshl_b64 s[28:29], s[14:15], 2
	v_mov_b32_e32 v3, 0
	s_add_u32 s1, s10, s28
	s_addc_u32 s3, s11, s29
	s_ashr_i32 s35, s34, 31
	s_delay_alu instid0(SALU_CYCLE_1) | instskip(NEXT) | instid1(SALU_CYCLE_1)
	s_lshl_b64 s[10:11], s[34:35], 2
	s_add_u32 s1, s1, s10
	s_addc_u32 s3, s3, s11
	s_ashr_i32 s13, s12, 31
	s_delay_alu instid0(SALU_CYCLE_1) | instskip(NEXT) | instid1(SALU_CYCLE_1)
	s_lshl_b64 s[34:35], s[12:13], 2
	s_add_u32 s36, s1, s34
	s_addc_u32 s37, s3, s35
	s_add_u32 s1, s8, s28
	s_addc_u32 s3, s9, s29
	;; [unrolled: 2-line block ×4, first 2 shown]
	s_clause 0x1
	global_store_b32 v3, v1, s[36:37]
	global_store_b32 v3, v2, s[8:9]
.LBB90_30:
	s_or_b32 exec_lo, exec_lo, s0
	v_dual_mov_b32 v13, 0 :: v_dual_mov_b32 v14, 0
	v_dual_mov_b32 v15, 0 :: v_dual_mov_b32 v18, 0
	v_dual_mov_b32 v17, 0 :: v_dual_mov_b32 v16, 0
	s_mov_b32 s3, 0
	s_and_saveexec_b32 s1, s2
	s_cbranch_execz .LBB90_46
; %bb.31:
	s_ashr_i32 s7, s6, 31
	v_dual_mov_b32 v16, 0 :: v_dual_lshlrev_b32 v1, 4, v12
	s_lshl_b64 s[6:7], s[6:7], 1
	v_lshl_add_u32 v21, v11, 3, s31
	s_add_u32 s0, s26, s6
	s_addc_u32 s9, s27, s7
	v_add_co_u32 v19, s0, s0, v1
	v_lshlrev_b64 v[1:2], 2, v[5:6]
	s_lshl_b64 s[10:11], s[24:25], 2
	s_add_i32 s21, s21, -1
	v_add_co_ci_u32_e64 v20, null, s9, 0, s0
	s_add_u32 s0, s22, s10
	s_addc_u32 s9, s23, s11
	v_add_co_u32 v6, vcc_lo, s0, v1
	v_lshl_add_u32 v22, v11, 5, 0x1a0
	v_add_co_ci_u32_e32 v7, vcc_lo, s9, v2, vcc_lo
	v_dual_mov_b32 v18, 0 :: v_dual_mov_b32 v17, 0
	v_dual_mov_b32 v15, 0 :: v_dual_mov_b32 v14, 0
	v_mov_b32_e32 v13, 0
	s_mov_b32 s2, s5
	s_mov_b32 s5, s30
	;; [unrolled: 1-line block ×8, first 2 shown]
	s_branch .LBB90_33
.LBB90_32:                              ;   in Loop: Header=BB90_33 Depth=1
	s_or_b32 exec_lo, exec_lo, s0
	s_waitcnt vmcnt(0)
	;;#ASMSTART
	v_pk_mul_f16 v1, v33, v1;

	;;#ASMEND
	;;#ASMSTART
	v_pk_mul_f16 v2, v32, v2;

	;;#ASMEND
	;; [unrolled: 4-line block ×4, first 2 shown]
	;;#ASMSTART
	v_pk_add_f16 v1, v1, v2;

	;;#ASMEND
	v_dual_add_f32 v8, v34, v35 :: v_dual_add_f32 v9, v36, v37
	;;#ASMSTART
	v_pk_add_f16 v1, v1, v3;

	;;#ASMEND
	;;#ASMSTART
	v_pk_add_f16 v1, v1, v4;

	;;#ASMEND
	v_add_f32_e32 v4, v40, v41
	s_delay_alu instid0(VALU_DEP_2) | instskip(SKIP_2) | instid1(VALU_DEP_4)
	v_dual_add_f32 v16, v16, v8 :: v_dual_add_f32 v3, v38, v39
	v_and_b32_e32 v2, 0xffff, v1
	v_lshrrev_b32_e32 v1, 16, v1
	v_dual_add_f32 v15, v15, v4 :: v_dual_add_f32 v8, v42, v43
	v_add_nc_u32_e32 v5, 4, v5
	;;#ASMSTART
	v_cvt_f32_f16 v2, v2;
	;;#ASMEND
	;;#ASMSTART
	v_cvt_f32_f16 v1, v1;
	;;#ASMEND
	v_dual_add_f32 v1, v2, v1 :: v_dual_add_nc_u32 v22, 0x80, v22
	s_delay_alu instid0(VALU_DEP_2) | instskip(SKIP_2) | instid1(VALU_DEP_4)
	v_cmp_le_i32_e32 vcc_lo, s17, v5
	v_add_co_u32 v6, s0, v6, 16
	v_dual_add_f32 v18, v18, v9 :: v_dual_add_f32 v17, v17, v3
	v_dual_add_f32 v14, v14, v8 :: v_dual_add_f32 v13, v13, v1
	v_add_nc_u32_e32 v21, 32, v21
	v_add_co_ci_u32_e64 v7, s0, 0, v7, s0
	s_or_b32 s3, vcc_lo, s3
	s_delay_alu instid0(SALU_CYCLE_1)
	s_and_not1_b32 exec_lo, exec_lo, s3
	s_cbranch_execz .LBB90_45
.LBB90_33:                              ; =>This Inner Loop Header: Depth=1
	global_load_b32 v27, v[6:7], off
	ds_load_2addr_b64 v[1:4], v22 offset1:1
	ds_load_2addr_b64 v[23:26], v22 offset0:2 offset1:3
	v_or_b32_e32 v28, 7, v21
	v_or_b32_e32 v29, 6, v21
	s_waitcnt lgkmcnt(1)
	;;#ASMSTART
	v_cvt_f16_f32 v32, v1;

	;;#ASMEND
	;;#ASMSTART
	v_cvt_f16_f32 v30, v2;

	;;#ASMEND
	;; [unrolled: 4-line block ×4, first 2 shown]
	s_waitcnt lgkmcnt(0)
	;;#ASMSTART
	v_cvt_f16_f32 v36, v23;

	;;#ASMEND
	;;#ASMSTART
	v_cvt_f16_f32 v34, v24;

	;;#ASMEND
	;; [unrolled: 4-line block ×4, first 2 shown]
	v_add_nc_u32_e32 v23, 1, v21
	v_or_b32_e32 v25, 3, v21
	v_or_b32_e32 v24, 2, v21
	;; [unrolled: 1-line block ×3, first 2 shown]
	s_waitcnt vmcnt(0)
	v_mad_i64_i32 v[8:9], null, v27, s2, 0
	v_or_b32_e32 v27, 5, v21
	s_delay_alu instid0(VALU_DEP_2) | instskip(NEXT) | instid1(VALU_DEP_1)
	v_lshlrev_b64 v[8:9], 1, v[8:9]
	v_add_co_u32 v8, vcc_lo, v19, v8
	s_delay_alu instid0(VALU_DEP_2)
	v_add_co_ci_u32_e32 v9, vcc_lo, v20, v9, vcc_lo
	v_cmp_eq_u32_e32 vcc_lo, s21, v5
	global_load_b128 v[1:4], v[8:9], off
	s_and_saveexec_b32 s13, vcc_lo
	s_cbranch_execz .LBB90_35
; %bb.34:                               ;   in Loop: Header=BB90_33 Depth=1
	v_cmp_gt_i32_e64 s0, s10, v29
	s_waitcnt vmcnt(0)
	v_lshrrev_b32_e32 v38, 16, v4
	v_lshrrev_b32_e32 v39, 16, v3
	;; [unrolled: 1-line block ×4, first 2 shown]
	v_cndmask_b32_e64 v4, 0, v4, s0
	v_cmp_gt_i32_e64 s0, s11, v28
	s_delay_alu instid0(VALU_DEP_1) | instskip(SKIP_1) | instid1(VALU_DEP_2)
	v_cndmask_b32_e64 v38, 0, v38, s0
	v_cmp_gt_i32_e64 s0, s9, v27
	v_perm_b32 v4, v38, v4, 0x5040100
	s_delay_alu instid0(VALU_DEP_2) | instskip(SKIP_1) | instid1(VALU_DEP_1)
	v_cndmask_b32_e64 v39, 0, v39, s0
	v_cmp_gt_i32_e64 s0, s8, v26
	v_cndmask_b32_e64 v3, 0, v3, s0
	v_cmp_gt_i32_e64 s0, s7, v25
	s_delay_alu instid0(VALU_DEP_2) | instskip(NEXT) | instid1(VALU_DEP_2)
	v_perm_b32 v3, v39, v3, 0x5040100
	v_cndmask_b32_e64 v40, 0, v40, s0
	v_cmp_gt_i32_e64 s0, s6, v24
	s_delay_alu instid0(VALU_DEP_1) | instskip(SKIP_1) | instid1(VALU_DEP_2)
	v_cndmask_b32_e64 v2, 0, v2, s0
	v_cmp_gt_i32_e64 s0, s5, v23
	v_perm_b32 v2, v40, v2, 0x5040100
	s_delay_alu instid0(VALU_DEP_2) | instskip(SKIP_1) | instid1(VALU_DEP_1)
	v_cndmask_b32_e64 v41, 0, v41, s0
	v_cmp_gt_i32_e64 s0, s30, v21
	v_cndmask_b32_e64 v1, 0, v1, s0
	s_delay_alu instid0(VALU_DEP_1)
	v_perm_b32 v1, v41, v1, 0x5040100
.LBB90_35:                              ;   in Loop: Header=BB90_33 Depth=1
	s_or_b32 exec_lo, exec_lo, s13
	v_and_b32_e32 v32, 0xffff, v32
	v_and_b32_e32 v38, 0xffff, v33
	;; [unrolled: 1-line block ×4, first 2 shown]
	s_delay_alu instid0(VALU_DEP_4)
	v_lshl_or_b32 v33, v30, 16, v32
	s_waitcnt vmcnt(0)
	;;#ASMSTART
	v_pk_mul_f16 v1, v33, v1;

	;;#ASMEND
	v_lshl_or_b32 v32, v31, 16, v38
	v_lshl_or_b32 v31, v34, 16, v36
	;; [unrolled: 1-line block ×3, first 2 shown]
	;;#ASMSTART
	v_pk_mul_f16 v2, v32, v2;

	;;#ASMEND
	;;#ASMSTART
	v_pk_mul_f16 v3, v31, v3;

	;;#ASMEND
	;; [unrolled: 4-line block ×3, first 2 shown]
	;;#ASMSTART
	v_pk_add_f16 v1, v1, v2;

	;;#ASMEND
	;;#ASMSTART
	v_pk_add_f16 v1, v1, v3;

	;;#ASMEND
	;; [unrolled: 4-line block ×3, first 2 shown]
	v_and_b32_e32 v2, 0xffff, v1
	v_lshrrev_b32_e32 v1, 16, v1
	;;#ASMSTART
	v_cvt_f32_f16 v34, v2;
	;;#ASMEND
	;;#ASMSTART
	v_cvt_f32_f16 v35, v1;
	;;#ASMEND
	global_load_b128 v[1:4], v[8:9], off offset:512
	s_and_saveexec_b32 s13, vcc_lo
	s_cbranch_execz .LBB90_37
; %bb.36:                               ;   in Loop: Header=BB90_33 Depth=1
	v_cmp_gt_i32_e64 s0, s10, v29
	s_waitcnt vmcnt(0)
	v_lshrrev_b32_e32 v36, 16, v4
	v_lshrrev_b32_e32 v37, 16, v3
	v_lshrrev_b32_e32 v38, 16, v2
	v_lshrrev_b32_e32 v39, 16, v1
	v_cndmask_b32_e64 v4, 0, v4, s0
	v_cmp_gt_i32_e64 s0, s11, v28
	s_delay_alu instid0(VALU_DEP_1) | instskip(SKIP_1) | instid1(VALU_DEP_2)
	v_cndmask_b32_e64 v36, 0, v36, s0
	v_cmp_gt_i32_e64 s0, s9, v27
	v_perm_b32 v4, v36, v4, 0x5040100
	s_delay_alu instid0(VALU_DEP_2) | instskip(SKIP_1) | instid1(VALU_DEP_1)
	v_cndmask_b32_e64 v37, 0, v37, s0
	v_cmp_gt_i32_e64 s0, s8, v26
	v_cndmask_b32_e64 v3, 0, v3, s0
	v_cmp_gt_i32_e64 s0, s7, v25
	s_delay_alu instid0(VALU_DEP_2) | instskip(NEXT) | instid1(VALU_DEP_2)
	v_perm_b32 v3, v37, v3, 0x5040100
	v_cndmask_b32_e64 v38, 0, v38, s0
	v_cmp_gt_i32_e64 s0, s6, v24
	s_delay_alu instid0(VALU_DEP_1) | instskip(SKIP_1) | instid1(VALU_DEP_2)
	v_cndmask_b32_e64 v2, 0, v2, s0
	v_cmp_gt_i32_e64 s0, s5, v23
	v_perm_b32 v2, v38, v2, 0x5040100
	s_delay_alu instid0(VALU_DEP_2) | instskip(SKIP_1) | instid1(VALU_DEP_1)
	v_cndmask_b32_e64 v39, 0, v39, s0
	v_cmp_gt_i32_e64 s0, s30, v21
	v_cndmask_b32_e64 v1, 0, v1, s0
	s_delay_alu instid0(VALU_DEP_1)
	v_perm_b32 v1, v39, v1, 0x5040100
.LBB90_37:                              ;   in Loop: Header=BB90_33 Depth=1
	s_or_b32 exec_lo, exec_lo, s13
	s_waitcnt vmcnt(0)
	;;#ASMSTART
	v_pk_mul_f16 v1, v33, v1;

	;;#ASMEND
	;;#ASMSTART
	v_pk_mul_f16 v2, v32, v2;

	;;#ASMEND
	;; [unrolled: 4-line block ×4, first 2 shown]
	;;#ASMSTART
	v_pk_add_f16 v1, v1, v2;

	;;#ASMEND
	;;#ASMSTART
	v_pk_add_f16 v1, v1, v3;

	;;#ASMEND
	;; [unrolled: 4-line block ×3, first 2 shown]
	v_and_b32_e32 v2, 0xffff, v1
	v_lshrrev_b32_e32 v1, 16, v1
	;;#ASMSTART
	v_cvt_f32_f16 v36, v2;
	;;#ASMEND
	;;#ASMSTART
	v_cvt_f32_f16 v37, v1;
	;;#ASMEND
	global_load_b128 v[1:4], v[8:9], off offset:1024
	s_and_saveexec_b32 s13, vcc_lo
	s_cbranch_execz .LBB90_39
; %bb.38:                               ;   in Loop: Header=BB90_33 Depth=1
	v_cmp_gt_i32_e64 s0, s10, v29
	s_waitcnt vmcnt(0)
	v_lshrrev_b32_e32 v38, 16, v4
	v_lshrrev_b32_e32 v39, 16, v3
	;; [unrolled: 1-line block ×4, first 2 shown]
	v_cndmask_b32_e64 v4, 0, v4, s0
	v_cmp_gt_i32_e64 s0, s11, v28
	s_delay_alu instid0(VALU_DEP_1) | instskip(SKIP_1) | instid1(VALU_DEP_2)
	v_cndmask_b32_e64 v38, 0, v38, s0
	v_cmp_gt_i32_e64 s0, s9, v27
	v_perm_b32 v4, v38, v4, 0x5040100
	s_delay_alu instid0(VALU_DEP_2) | instskip(SKIP_1) | instid1(VALU_DEP_1)
	v_cndmask_b32_e64 v39, 0, v39, s0
	v_cmp_gt_i32_e64 s0, s8, v26
	v_cndmask_b32_e64 v3, 0, v3, s0
	v_cmp_gt_i32_e64 s0, s7, v25
	s_delay_alu instid0(VALU_DEP_2) | instskip(NEXT) | instid1(VALU_DEP_2)
	v_perm_b32 v3, v39, v3, 0x5040100
	v_cndmask_b32_e64 v40, 0, v40, s0
	v_cmp_gt_i32_e64 s0, s6, v24
	s_delay_alu instid0(VALU_DEP_1) | instskip(SKIP_1) | instid1(VALU_DEP_2)
	v_cndmask_b32_e64 v2, 0, v2, s0
	v_cmp_gt_i32_e64 s0, s5, v23
	v_perm_b32 v2, v40, v2, 0x5040100
	s_delay_alu instid0(VALU_DEP_2) | instskip(SKIP_1) | instid1(VALU_DEP_1)
	v_cndmask_b32_e64 v41, 0, v41, s0
	v_cmp_gt_i32_e64 s0, s30, v21
	v_cndmask_b32_e64 v1, 0, v1, s0
	s_delay_alu instid0(VALU_DEP_1)
	v_perm_b32 v1, v41, v1, 0x5040100
.LBB90_39:                              ;   in Loop: Header=BB90_33 Depth=1
	s_or_b32 exec_lo, exec_lo, s13
	s_waitcnt vmcnt(0)
	;;#ASMSTART
	v_pk_mul_f16 v1, v33, v1;

	;;#ASMEND
	;;#ASMSTART
	v_pk_mul_f16 v2, v32, v2;

	;;#ASMEND
	;; [unrolled: 4-line block ×4, first 2 shown]
	;;#ASMSTART
	v_pk_add_f16 v1, v1, v2;

	;;#ASMEND
	;;#ASMSTART
	v_pk_add_f16 v1, v1, v3;

	;;#ASMEND
	;; [unrolled: 4-line block ×3, first 2 shown]
	v_and_b32_e32 v2, 0xffff, v1
	v_lshrrev_b32_e32 v1, 16, v1
	;;#ASMSTART
	v_cvt_f32_f16 v38, v2;
	;;#ASMEND
	;;#ASMSTART
	v_cvt_f32_f16 v39, v1;
	;;#ASMEND
	global_load_b128 v[1:4], v[8:9], off offset:1536
	s_and_saveexec_b32 s13, vcc_lo
	s_cbranch_execz .LBB90_41
; %bb.40:                               ;   in Loop: Header=BB90_33 Depth=1
	v_cmp_gt_i32_e64 s0, s10, v29
	s_waitcnt vmcnt(0)
	v_lshrrev_b32_e32 v40, 16, v4
	v_lshrrev_b32_e32 v41, 16, v3
	;; [unrolled: 1-line block ×4, first 2 shown]
	v_cndmask_b32_e64 v4, 0, v4, s0
	v_cmp_gt_i32_e64 s0, s11, v28
	s_delay_alu instid0(VALU_DEP_1) | instskip(SKIP_1) | instid1(VALU_DEP_2)
	v_cndmask_b32_e64 v40, 0, v40, s0
	v_cmp_gt_i32_e64 s0, s9, v27
	v_perm_b32 v4, v40, v4, 0x5040100
	s_delay_alu instid0(VALU_DEP_2) | instskip(SKIP_1) | instid1(VALU_DEP_1)
	v_cndmask_b32_e64 v41, 0, v41, s0
	v_cmp_gt_i32_e64 s0, s8, v26
	v_cndmask_b32_e64 v3, 0, v3, s0
	v_cmp_gt_i32_e64 s0, s7, v25
	s_delay_alu instid0(VALU_DEP_2) | instskip(NEXT) | instid1(VALU_DEP_2)
	v_perm_b32 v3, v41, v3, 0x5040100
	v_cndmask_b32_e64 v42, 0, v42, s0
	v_cmp_gt_i32_e64 s0, s6, v24
	s_delay_alu instid0(VALU_DEP_1) | instskip(SKIP_1) | instid1(VALU_DEP_2)
	v_cndmask_b32_e64 v2, 0, v2, s0
	v_cmp_gt_i32_e64 s0, s5, v23
	v_perm_b32 v2, v42, v2, 0x5040100
	s_delay_alu instid0(VALU_DEP_2) | instskip(SKIP_1) | instid1(VALU_DEP_1)
	v_cndmask_b32_e64 v43, 0, v43, s0
	v_cmp_gt_i32_e64 s0, s30, v21
	v_cndmask_b32_e64 v1, 0, v1, s0
	s_delay_alu instid0(VALU_DEP_1)
	v_perm_b32 v1, v43, v1, 0x5040100
.LBB90_41:                              ;   in Loop: Header=BB90_33 Depth=1
	s_or_b32 exec_lo, exec_lo, s13
	s_waitcnt vmcnt(0)
	;;#ASMSTART
	v_pk_mul_f16 v1, v33, v1;

	;;#ASMEND
	;;#ASMSTART
	v_pk_mul_f16 v2, v32, v2;

	;;#ASMEND
	;;#ASMSTART
	v_pk_mul_f16 v3, v31, v3;

	;;#ASMEND
	;;#ASMSTART
	v_pk_mul_f16 v4, v30, v4;

	;;#ASMEND
	;;#ASMSTART
	v_pk_add_f16 v1, v1, v2;

	;;#ASMEND
	;;#ASMSTART
	v_pk_add_f16 v1, v1, v3;

	;;#ASMEND
	;; [unrolled: 4-line block ×3, first 2 shown]
	v_and_b32_e32 v2, 0xffff, v1
	v_lshrrev_b32_e32 v1, 16, v1
	;;#ASMSTART
	v_cvt_f32_f16 v40, v2;
	;;#ASMEND
	;;#ASMSTART
	v_cvt_f32_f16 v41, v1;
	;;#ASMEND
	global_load_b128 v[1:4], v[8:9], off offset:2048
	s_and_saveexec_b32 s13, vcc_lo
	s_cbranch_execz .LBB90_43
; %bb.42:                               ;   in Loop: Header=BB90_33 Depth=1
	v_cmp_gt_i32_e64 s0, s10, v29
	s_waitcnt vmcnt(0)
	v_lshrrev_b32_e32 v42, 16, v4
	v_lshrrev_b32_e32 v43, 16, v3
	;; [unrolled: 1-line block ×4, first 2 shown]
	v_cndmask_b32_e64 v4, 0, v4, s0
	v_cmp_gt_i32_e64 s0, s11, v28
	s_delay_alu instid0(VALU_DEP_1) | instskip(SKIP_1) | instid1(VALU_DEP_2)
	v_cndmask_b32_e64 v42, 0, v42, s0
	v_cmp_gt_i32_e64 s0, s9, v27
	v_perm_b32 v4, v42, v4, 0x5040100
	s_delay_alu instid0(VALU_DEP_2) | instskip(SKIP_1) | instid1(VALU_DEP_1)
	v_cndmask_b32_e64 v43, 0, v43, s0
	v_cmp_gt_i32_e64 s0, s8, v26
	v_cndmask_b32_e64 v3, 0, v3, s0
	v_cmp_gt_i32_e64 s0, s7, v25
	s_delay_alu instid0(VALU_DEP_2) | instskip(NEXT) | instid1(VALU_DEP_2)
	v_perm_b32 v3, v43, v3, 0x5040100
	v_cndmask_b32_e64 v44, 0, v44, s0
	v_cmp_gt_i32_e64 s0, s6, v24
	s_delay_alu instid0(VALU_DEP_1) | instskip(SKIP_1) | instid1(VALU_DEP_2)
	v_cndmask_b32_e64 v2, 0, v2, s0
	v_cmp_gt_i32_e64 s0, s5, v23
	v_perm_b32 v2, v44, v2, 0x5040100
	s_delay_alu instid0(VALU_DEP_2) | instskip(SKIP_1) | instid1(VALU_DEP_1)
	v_cndmask_b32_e64 v45, 0, v45, s0
	v_cmp_gt_i32_e64 s0, s30, v21
	v_cndmask_b32_e64 v1, 0, v1, s0
	s_delay_alu instid0(VALU_DEP_1)
	v_perm_b32 v1, v45, v1, 0x5040100
.LBB90_43:                              ;   in Loop: Header=BB90_33 Depth=1
	s_or_b32 exec_lo, exec_lo, s13
	s_waitcnt vmcnt(0)
	;;#ASMSTART
	v_pk_mul_f16 v1, v33, v1;

	;;#ASMEND
	;;#ASMSTART
	v_pk_mul_f16 v2, v32, v2;

	;;#ASMEND
	;; [unrolled: 4-line block ×4, first 2 shown]
	;;#ASMSTART
	v_pk_add_f16 v1, v1, v2;

	;;#ASMEND
	;;#ASMSTART
	v_pk_add_f16 v1, v1, v3;

	;;#ASMEND
	;; [unrolled: 4-line block ×3, first 2 shown]
	v_and_b32_e32 v2, 0xffff, v1
	v_lshrrev_b32_e32 v1, 16, v1
	;;#ASMSTART
	v_cvt_f32_f16 v42, v2;
	;;#ASMEND
	;;#ASMSTART
	v_cvt_f32_f16 v43, v1;
	;;#ASMEND
	global_load_b128 v[1:4], v[8:9], off offset:2560
	s_and_saveexec_b32 s0, vcc_lo
	s_cbranch_execz .LBB90_32
; %bb.44:                               ;   in Loop: Header=BB90_33 Depth=1
	v_cmp_gt_i32_e32 vcc_lo, s10, v29
	s_waitcnt vmcnt(0)
	v_lshrrev_b32_e32 v8, 16, v4
	v_lshrrev_b32_e32 v9, 16, v3
	v_cndmask_b32_e32 v4, 0, v4, vcc_lo
	v_cmp_gt_i32_e32 vcc_lo, s11, v28
	s_delay_alu instid0(VALU_DEP_4)
	v_cndmask_b32_e32 v8, 0, v8, vcc_lo
	v_cmp_gt_i32_e32 vcc_lo, s9, v27
	v_lshrrev_b32_e32 v27, 16, v2
	v_cndmask_b32_e32 v9, 0, v9, vcc_lo
	v_cmp_gt_i32_e32 vcc_lo, s8, v26
	v_lshrrev_b32_e32 v26, 16, v1
	v_cndmask_b32_e32 v3, 0, v3, vcc_lo
	v_cmp_gt_i32_e32 vcc_lo, s7, v25
	v_perm_b32 v4, v8, v4, 0x5040100
	s_delay_alu instid0(VALU_DEP_3) | instskip(SKIP_4) | instid1(VALU_DEP_2)
	v_perm_b32 v3, v9, v3, 0x5040100
	v_cndmask_b32_e32 v25, 0, v27, vcc_lo
	v_cmp_gt_i32_e32 vcc_lo, s6, v24
	v_cndmask_b32_e32 v2, 0, v2, vcc_lo
	v_cmp_gt_i32_e32 vcc_lo, s5, v23
	v_perm_b32 v2, v25, v2, 0x5040100
	v_cndmask_b32_e32 v23, 0, v26, vcc_lo
	v_cmp_gt_i32_e32 vcc_lo, s30, v21
	v_cndmask_b32_e32 v1, 0, v1, vcc_lo
	s_delay_alu instid0(VALU_DEP_1)
	v_perm_b32 v1, v23, v1, 0x5040100
	s_branch .LBB90_32
.LBB90_45:
	s_or_b32 exec_lo, exec_lo, s3
.LBB90_46:
	s_delay_alu instid0(SALU_CYCLE_1)
	s_or_b32 exec_lo, exec_lo, s1
	s_movk_i32 s0, 0x300
	v_and_b32_e32 v2, 0x3c0, v0
	v_mad_u32_u24 v1, v11, s0, 0x1a0
	s_mov_b32 s0, exec_lo
	s_waitcnt_vscnt null, 0x0
	s_barrier
	buffer_gl0_inv
	v_cmpx_eq_u32_e32 64, v2
	s_cbranch_execz .LBB90_48
; %bb.47:
	v_add_nc_u32_e32 v2, 0xfffffa00, v1
	v_lshl_or_b32 v3, v0, 2, 0x180
	s_delay_alu instid0(VALU_DEP_2) | instskip(NEXT) | instid1(VALU_DEP_2)
	v_lshl_add_u32 v4, v12, 2, v2
	v_add_nc_u32_e32 v2, v2, v3
	ds_store_2addr_b32 v4, v16, v18 offset1:32
	ds_store_b32 v2, v15
	ds_store_2addr_stride64_b32 v4, v17, v14 offset0:1 offset1:2
	ds_store_b32 v4, v13 offset:640
.LBB90_48:
	s_or_b32 exec_lo, exec_lo, s0
	v_lshl_add_u32 v2, v12, 2, v1
	s_mov_b32 s0, exec_lo
	s_waitcnt lgkmcnt(0)
	s_barrier
	buffer_gl0_inv
	v_cmpx_gt_u32_e32 64, v0
	s_cbranch_execz .LBB90_50
; %bb.49:
	v_or_b32_e32 v3, 0x80, v10
	v_or_b32_e32 v4, 0x180, v10
	;; [unrolled: 1-line block ×3, first 2 shown]
	s_delay_alu instid0(VALU_DEP_3) | instskip(NEXT) | instid1(VALU_DEP_3)
	v_add_nc_u32_e32 v6, v1, v3
	v_add_nc_u32_e32 v7, v1, v4
	s_delay_alu instid0(VALU_DEP_3)
	v_add_nc_u32_e32 v5, v1, v5
	ds_load_2addr_stride64_b32 v[3:4], v2 offset1:1
	ds_load_b32 v8, v2 offset:512
	ds_load_b32 v6, v6
	ds_load_b32 v7, v7
	;; [unrolled: 1-line block ×3, first 2 shown]
	s_waitcnt lgkmcnt(4)
	v_add_f32_e32 v16, v16, v3
	s_waitcnt lgkmcnt(3)
	v_add_f32_e32 v14, v14, v8
	s_waitcnt lgkmcnt(2)
	v_dual_add_f32 v17, v17, v4 :: v_dual_add_f32 v18, v18, v6
	s_waitcnt lgkmcnt(1)
	v_add_f32_e32 v15, v15, v7
	s_waitcnt lgkmcnt(0)
	v_add_f32_e32 v13, v13, v5
.LBB90_50:
	s_or_b32 exec_lo, exec_lo, s0
	v_and_b32_e32 v3, 0x3e0, v0
	s_mov_b32 s0, exec_lo
	s_barrier
	buffer_gl0_inv
	v_cmpx_eq_u32_e32 32, v3
	s_cbranch_execz .LBB90_52
; %bb.51:
	v_add_nc_u32_e32 v3, 0xfffffd00, v1
	v_or_b32_e32 v4, 0x180, v10
	v_or_b32_e32 v5, 0x280, v10
	s_delay_alu instid0(VALU_DEP_3) | instskip(SKIP_1) | instid1(VALU_DEP_4)
	v_lshl_add_u32 v6, v12, 2, v3
	v_add_nc_u32_e32 v7, v3, v10
	v_add_nc_u32_e32 v4, v3, v4
	s_delay_alu instid0(VALU_DEP_4)
	v_add_nc_u32_e32 v3, v3, v5
	ds_store_b32 v6, v16
	ds_store_b32 v7, v18
	;; [unrolled: 1-line block ×3, first 2 shown]
	ds_store_2addr_stride64_b32 v6, v17, v14 offset0:1 offset1:2
	ds_store_b32 v3, v13
.LBB90_52:
	s_or_b32 exec_lo, exec_lo, s0
	v_cmp_gt_u32_e32 vcc_lo, 32, v0
	s_waitcnt lgkmcnt(0)
	s_barrier
	buffer_gl0_inv
	s_and_saveexec_b32 s0, vcc_lo
	s_cbranch_execz .LBB90_54
; %bb.53:
	v_lshl_add_u32 v5, v0, 2, v1
	ds_load_b32 v6, v2
	ds_load_2addr_b32 v[1:2], v5 offset0:32 offset1:64
	ds_load_2addr_b32 v[3:4], v5 offset0:96 offset1:128
	ds_load_b32 v5, v5 offset:640
	s_waitcnt lgkmcnt(3)
	v_add_f32_e32 v16, v16, v6
	s_waitcnt lgkmcnt(2)
	v_dual_add_f32 v18, v18, v1 :: v_dual_add_f32 v17, v17, v2
	s_waitcnt lgkmcnt(1)
	v_dual_add_f32 v15, v15, v3 :: v_dual_add_f32 v14, v14, v4
	s_waitcnt lgkmcnt(0)
	v_add_f32_e32 v13, v13, v5
.LBB90_54:
	s_or_b32 exec_lo, exec_lo, s0
	s_barrier
	buffer_gl0_inv
	s_and_saveexec_b32 s0, vcc_lo
	s_cbranch_execz .LBB90_56
; %bb.55:
	s_mul_i32 s0, s14, 0xc0
	s_mul_i32 s2, s4, s16
	s_ashr_i32 s1, s0, 31
	v_lshlrev_b32_e32 v0, 1, v0
	s_lshl_b64 s[0:1], s[0:1], 1
	;;#ASMSTART
	v_cvt_f16_f32 v1, v16;

	;;#ASMEND
	s_add_u32 s4, s18, s0
	s_addc_u32 s5, s19, s1
	s_ashr_i32 s3, s2, 31
	s_delay_alu instid0(SALU_CYCLE_1) | instskip(SKIP_4) | instid1(SALU_CYCLE_1)
	s_lshl_b64 s[0:1], s[2:3], 1
	s_mul_i32 s2, s12, 0xc0
	s_add_u32 s4, s4, s0
	s_addc_u32 s5, s5, s1
	s_ashr_i32 s3, s2, 31
	s_lshl_b64 s[0:1], s[2:3], 1
	s_delay_alu instid0(SALU_CYCLE_1)
	s_add_u32 s0, s4, s0
	s_addc_u32 s1, s5, s1
	global_store_b16 v0, v1, s[0:1]
	;;#ASMSTART
	v_cvt_f16_f32 v1, v18;

	;;#ASMEND
	global_store_b16 v0, v1, s[0:1] offset:64
	;;#ASMSTART
	v_cvt_f16_f32 v1, v17;

	;;#ASMEND
	global_store_b16 v0, v1, s[0:1] offset:128
	;; [unrolled: 5-line block ×5, first 2 shown]
.LBB90_56:
	s_nop 0
	s_sendmsg sendmsg(MSG_DEALLOC_VGPRS)
	s_endpgm
	.section	.rodata,"a",@progbits
	.p2align	6, 0x0
	.amdhsa_kernel _ZN4vllm25paged_attention_v2_kernelIttLi192ELi8ELi128ELNS_18Fp8KVCacheDataTypeE0ELb0ELi512EEEvPfS2_PT_PKS3_PKT0_S9_ifPKiSB_iPKfiiiSD_SD_iiiii
		.amdhsa_group_segment_fixed_size 416
		.amdhsa_private_segment_fixed_size 0
		.amdhsa_kernarg_size 400
		.amdhsa_user_sgpr_count 13
		.amdhsa_user_sgpr_dispatch_ptr 0
		.amdhsa_user_sgpr_queue_ptr 0
		.amdhsa_user_sgpr_kernarg_segment_ptr 1
		.amdhsa_user_sgpr_dispatch_id 0
		.amdhsa_user_sgpr_private_segment_size 0
		.amdhsa_wavefront_size32 1
		.amdhsa_uses_dynamic_stack 0
		.amdhsa_enable_private_segment 0
		.amdhsa_system_sgpr_workgroup_id_x 1
		.amdhsa_system_sgpr_workgroup_id_y 1
		.amdhsa_system_sgpr_workgroup_id_z 1
		.amdhsa_system_sgpr_workgroup_info 0
		.amdhsa_system_vgpr_workitem_id 0
		.amdhsa_next_free_vgpr 100
		.amdhsa_next_free_sgpr 38
		.amdhsa_reserve_vcc 1
		.amdhsa_float_round_mode_32 0
		.amdhsa_float_round_mode_16_64 0
		.amdhsa_float_denorm_mode_32 3
		.amdhsa_float_denorm_mode_16_64 3
		.amdhsa_dx10_clamp 1
		.amdhsa_ieee_mode 1
		.amdhsa_fp16_overflow 0
		.amdhsa_workgroup_processor_mode 1
		.amdhsa_memory_ordered 1
		.amdhsa_forward_progress 0
		.amdhsa_shared_vgpr_count 0
		.amdhsa_exception_fp_ieee_invalid_op 0
		.amdhsa_exception_fp_denorm_src 0
		.amdhsa_exception_fp_ieee_div_zero 0
		.amdhsa_exception_fp_ieee_overflow 0
		.amdhsa_exception_fp_ieee_underflow 0
		.amdhsa_exception_fp_ieee_inexact 0
		.amdhsa_exception_int_div_zero 0
	.end_amdhsa_kernel
	.section	.text._ZN4vllm25paged_attention_v2_kernelIttLi192ELi8ELi128ELNS_18Fp8KVCacheDataTypeE0ELb0ELi512EEEvPfS2_PT_PKS3_PKT0_S9_ifPKiSB_iPKfiiiSD_SD_iiiii,"axG",@progbits,_ZN4vllm25paged_attention_v2_kernelIttLi192ELi8ELi128ELNS_18Fp8KVCacheDataTypeE0ELb0ELi512EEEvPfS2_PT_PKS3_PKT0_S9_ifPKiSB_iPKfiiiSD_SD_iiiii,comdat
.Lfunc_end90:
	.size	_ZN4vllm25paged_attention_v2_kernelIttLi192ELi8ELi128ELNS_18Fp8KVCacheDataTypeE0ELb0ELi512EEEvPfS2_PT_PKS3_PKT0_S9_ifPKiSB_iPKfiiiSD_SD_iiiii, .Lfunc_end90-_ZN4vllm25paged_attention_v2_kernelIttLi192ELi8ELi128ELNS_18Fp8KVCacheDataTypeE0ELb0ELi512EEEvPfS2_PT_PKS3_PKT0_S9_ifPKiSB_iPKfiiiSD_SD_iiiii
                                        ; -- End function
	.section	.AMDGPU.csdata,"",@progbits
; Kernel info:
; codeLenInByte = 9584
; NumSgprs: 40
; NumVgprs: 100
; ScratchSize: 0
; MemoryBound: 0
; FloatMode: 240
; IeeeMode: 1
; LDSByteSize: 416 bytes/workgroup (compile time only)
; SGPRBlocks: 4
; VGPRBlocks: 12
; NumSGPRsForWavesPerEU: 40
; NumVGPRsForWavesPerEU: 100
; Occupancy: 12
; WaveLimiterHint : 1
; COMPUTE_PGM_RSRC2:SCRATCH_EN: 0
; COMPUTE_PGM_RSRC2:USER_SGPR: 13
; COMPUTE_PGM_RSRC2:TRAP_HANDLER: 0
; COMPUTE_PGM_RSRC2:TGID_X_EN: 1
; COMPUTE_PGM_RSRC2:TGID_Y_EN: 1
; COMPUTE_PGM_RSRC2:TGID_Z_EN: 1
; COMPUTE_PGM_RSRC2:TIDIG_COMP_CNT: 0
	.section	.text._ZN4vllm25paged_attention_v2_kernelIttLi256ELi8ELi128ELNS_18Fp8KVCacheDataTypeE0ELb0ELi512EEEvPfS2_PT_PKS3_PKT0_S9_ifPKiSB_iPKfiiiSD_SD_iiiii,"axG",@progbits,_ZN4vllm25paged_attention_v2_kernelIttLi256ELi8ELi128ELNS_18Fp8KVCacheDataTypeE0ELb0ELi512EEEvPfS2_PT_PKS3_PKT0_S9_ifPKiSB_iPKfiiiSD_SD_iiiii,comdat
	.protected	_ZN4vllm25paged_attention_v2_kernelIttLi256ELi8ELi128ELNS_18Fp8KVCacheDataTypeE0ELb0ELi512EEEvPfS2_PT_PKS3_PKT0_S9_ifPKiSB_iPKfiiiSD_SD_iiiii ; -- Begin function _ZN4vllm25paged_attention_v2_kernelIttLi256ELi8ELi128ELNS_18Fp8KVCacheDataTypeE0ELb0ELi512EEEvPfS2_PT_PKS3_PKT0_S9_ifPKiSB_iPKfiiiSD_SD_iiiii
	.globl	_ZN4vllm25paged_attention_v2_kernelIttLi256ELi8ELi128ELNS_18Fp8KVCacheDataTypeE0ELb0ELi512EEEvPfS2_PT_PKS3_PKT0_S9_ifPKiSB_iPKfiiiSD_SD_iiiii
	.p2align	8
	.type	_ZN4vllm25paged_attention_v2_kernelIttLi256ELi8ELi128ELNS_18Fp8KVCacheDataTypeE0ELb0ELi512EEEvPfS2_PT_PKS3_PKT0_S9_ifPKiSB_iPKfiiiSD_SD_iiiii,@function
_ZN4vllm25paged_attention_v2_kernelIttLi256ELi8ELi128ELNS_18Fp8KVCacheDataTypeE0ELb0ELi512EEEvPfS2_PT_PKS3_PKT0_S9_ifPKiSB_iPKfiiiSD_SD_iiiii: ; @_ZN4vllm25paged_attention_v2_kernelIttLi256ELi8ELi128ELNS_18Fp8KVCacheDataTypeE0ELb0ELi512EEEvPfS2_PT_PKS3_PKT0_S9_ifPKiSB_iPKfiiiSD_SD_iiiii
; %bb.0:
	s_load_b64 s[2:3], s[0:1], 0x40
	s_mov_b32 s12, s15
	s_ashr_i32 s15, s14, 31
	s_delay_alu instid0(SALU_CYCLE_1)
	s_lshl_b64 s[4:5], s[14:15], 2
	s_waitcnt lgkmcnt(0)
	s_add_u32 s2, s2, s4
	s_addc_u32 s3, s3, s5
	s_lshl_b32 s31, s12, 9
	s_load_b32 s30, s[2:3], 0x0
	s_waitcnt lgkmcnt(0)
	s_cmp_ge_i32 s31, s30
	s_cbranch_scc1 .LBB91_60
; %bb.1:
	s_mov_b32 s20, s13
	s_clause 0x1
	s_load_b32 s13, s[0:1], 0x90
	s_load_b64 s[28:29], s[0:1], 0x30
	s_waitcnt lgkmcnt(0)
	s_abs_i32 s5, s13
	s_abs_i32 s2, s28
	s_delay_alu instid0(SALU_CYCLE_1) | instskip(SKIP_1) | instid1(VALU_DEP_1)
	v_cvt_f32_u32_e32 v1, s2
	s_sub_i32 s4, 0, s2
	v_rcp_iflag_f32_e32 v1, v1
	s_waitcnt_depctr 0xfff
	v_mul_f32_e32 v1, 0x4f7ffffe, v1
	s_delay_alu instid0(VALU_DEP_1) | instskip(NEXT) | instid1(VALU_DEP_1)
	v_cvt_u32_f32_e32 v1, v1
	v_readfirstlane_b32 s3, v1
	s_delay_alu instid0(VALU_DEP_1) | instskip(NEXT) | instid1(SALU_CYCLE_1)
	s_mul_i32 s4, s4, s3
	s_mul_hi_u32 s4, s3, s4
	s_delay_alu instid0(SALU_CYCLE_1)
	s_add_i32 s3, s3, s4
	s_xor_b32 s4, s13, s28
	s_mul_hi_u32 s3, s5, s3
	s_ashr_i32 s4, s4, 31
	s_mul_i32 s6, s3, s2
	s_mov_b32 s28, 0
	s_sub_i32 s5, s5, s6
	s_add_i32 s6, s3, 1
	s_sub_i32 s7, s5, s2
	s_cmp_ge_u32 s5, s2
	s_cselect_b32 s3, s6, s3
	s_cselect_b32 s5, s7, s5
	s_add_i32 s6, s3, 1
	s_cmp_ge_u32 s5, s2
	s_cselect_b32 s2, s6, s3
	s_abs_i32 s10, s20
	s_xor_b32 s2, s2, s4
	s_delay_alu instid0(SALU_CYCLE_1) | instskip(SKIP_2) | instid1(SALU_CYCLE_1)
	s_sub_i32 s11, s2, s4
	s_load_b64 s[2:3], s[0:1], 0x50
	s_abs_i32 s8, s11
	v_cvt_f32_u32_e32 v1, s8
	s_sub_i32 s5, 0, s8
	s_delay_alu instid0(VALU_DEP_1) | instskip(SKIP_2) | instid1(VALU_DEP_1)
	v_rcp_iflag_f32_e32 v1, v1
	s_waitcnt_depctr 0xfff
	v_mul_f32_e32 v1, 0x4f7ffffe, v1
	v_cvt_u32_f32_e32 v1, v1
	s_delay_alu instid0(VALU_DEP_1) | instskip(NEXT) | instid1(VALU_DEP_1)
	v_readfirstlane_b32 s4, v1
	s_mul_i32 s5, s5, s4
	s_delay_alu instid0(SALU_CYCLE_1) | instskip(NEXT) | instid1(SALU_CYCLE_1)
	s_mul_hi_u32 s5, s4, s5
	s_add_i32 s4, s4, s5
	s_waitcnt lgkmcnt(0)
	s_cmp_eq_u64 s[2:3], 0
	s_mul_hi_u32 s9, s10, s4
	s_cbranch_scc1 .LBB91_3
; %bb.2:
	s_ashr_i32 s21, s20, 31
	s_delay_alu instid0(SALU_CYCLE_1) | instskip(NEXT) | instid1(SALU_CYCLE_1)
	s_lshl_b64 s[4:5], s[20:21], 2
	s_add_u32 s2, s2, s4
	s_addc_u32 s3, s3, s5
	s_load_b32 s28, s[2:3], 0x0
.LBB91_3:
	s_load_b128 s[4:7], s[0:1], 0x58
	v_and_b32_e32 v1, 3, v0
	v_lshlrev_b32_e32 v10, 2, v0
	s_ashr_i32 s2, s20, 31
	s_ashr_i32 s3, s11, 31
	s_lshl_b32 s16, s20, 8
	s_waitcnt lgkmcnt(0)
	s_mov_b32 s7, exec_lo
	v_cmpx_gt_u32_e32 0x80, v0
	s_cbranch_execz .LBB91_5
; %bb.4:
	s_load_b64 s[18:19], s[0:1], 0x18
	s_mul_i32 s22, s14, s4
	v_and_b32_e32 v3, 0x3fc, v0
	s_ashr_i32 s23, s22, 31
	s_delay_alu instid0(SALU_CYCLE_1) | instskip(NEXT) | instid1(VALU_DEP_1)
	s_lshl_b64 s[22:23], s[22:23], 1
	v_lshl_add_u32 v3, v1, 7, v3
	s_waitcnt lgkmcnt(0)
	s_add_u32 s4, s18, s22
	s_addc_u32 s11, s19, s23
	s_ashr_i32 s17, s16, 31
	s_delay_alu instid0(SALU_CYCLE_1) | instskip(NEXT) | instid1(SALU_CYCLE_1)
	s_lshl_b64 s[18:19], s[16:17], 1
	s_add_u32 s18, s4, s18
	s_addc_u32 s19, s11, s19
	global_load_b32 v2, v10, s[18:19]
	s_waitcnt vmcnt(0)
	ds_store_b32 v3, v2
.LBB91_5:
	s_or_b32 exec_lo, exec_lo, s7
	s_add_i32 s4, s30, 7
	s_lshl_b32 s15, s12, 6
	s_ashr_i32 s7, s4, 31
	s_xor_b32 s2, s2, s3
	s_lshr_b32 s7, s7, 29
	s_add_i32 s3, s15, 64
	s_add_i32 s4, s4, s7
	s_clause 0x1
	s_load_b64 s[22:23], s[0:1], 0x38
	s_load_b32 s7, s[0:1], 0x48
	s_ashr_i32 s21, s4, 3
	s_mul_i32 s4, s9, s8
	s_min_i32 s17, s3, s21
	s_sub_i32 s3, s10, s4
	s_add_i32 s4, s9, 1
	s_sub_i32 s10, s3, s8
	s_cmp_ge_u32 s3, s8
	v_lshrrev_b32_e32 v11, 5, v0
	s_cselect_b32 s4, s4, s9
	s_cselect_b32 s3, s10, s3
	s_add_i32 s9, s4, 1
	s_cmp_ge_u32 s3, s8
	v_or_b32_e32 v5, s15, v11
	s_cselect_b32 s3, s9, s4
	v_mbcnt_lo_u32_b32 v3, -1, 0
	s_xor_b32 s3, s3, s2
	s_mov_b32 s4, exec_lo
	s_sub_i32 s3, s3, s2
	v_cmp_gt_i32_e64 s2, s17, v5
	s_waitcnt lgkmcnt(0)
	s_mul_i32 s24, s14, s7
	s_delay_alu instid0(SALU_CYCLE_1)
	s_ashr_i32 s25, s24, 31
	s_barrier
	buffer_gl0_inv
                                        ; implicit-def: $sgpr7
                                        ; implicit-def: $vgpr4
	v_cmpx_le_i32_e64 s17, v5
	s_xor_b32 s4, exec_lo, s4
; %bb.6:
	v_mbcnt_lo_u32_b32 v3, -1, 0
	v_mov_b32_e32 v4, 32
	s_mov_b32 s7, 0xff7fffff
                                        ; implicit-def: $vgpr1
; %bb.7:
	s_or_saveexec_b32 s33, s4
	s_clause 0x3
	s_load_b128 s[8:11], s[0:1], 0x0
	s_load_b64 s[18:19], s[0:1], 0x10
	s_load_b64 s[26:27], s[0:1], 0x28
	s_load_b32 s4, s[0:1], 0x98
	v_mov_b32_e32 v7, s7
	v_ashrrev_i32_e32 v6, 31, v5
	s_mul_i32 s6, s3, s6
	s_xor_b32 exec_lo, exec_lo, s33
	s_cbranch_execz .LBB91_13
; %bb.8:
	s_load_b64 s[34:35], s[0:1], 0x20
	v_bfe_u32 v4, v0, 2, 3
	s_ashr_i32 s7, s6, 31
	v_lshlrev_b32_e32 v9, 3, v11
	s_lshl_b64 s[36:37], s[6:7], 1
	v_and_b32_e32 v7, 12, v10
	v_lshlrev_b32_e32 v13, 4, v4
	v_lshlrev_b32_e32 v2, 2, v4
	v_add3_u32 v9, s31, v9, v4
	v_dual_mov_b32 v17, v5 :: v_dual_lshlrev_b32 v8, 7, v1
	v_cmp_eq_u32_e32 vcc_lo, 0, v1
	v_cmp_neq_f32_e64 s0, s28, 0
	v_xor_b32_e32 v15, 2, v3
	v_xor_b32_e32 v16, 1, v3
	s_waitcnt lgkmcnt(0)
	s_add_u32 s1, s34, s36
	s_addc_u32 s3, s35, s37
	v_add_co_u32 v4, s1, s1, v13
	s_delay_alu instid0(VALU_DEP_1) | instskip(SKIP_1) | instid1(VALU_DEP_2)
	v_add_co_ci_u32_e64 v14, null, s3, 0, s1
	s_lshl_b64 s[34:35], s[24:25], 2
	v_add_co_u32 v13, s1, v4, v7
	v_mov_b32_e32 v7, 0xff7fffff
	v_lshl_or_b32 v12, v11, 5, v2
	v_lshlrev_b64 v[1:2], 2, v[5:6]
	s_sub_i32 s7, 1, s30
	s_add_u32 s3, s22, s34
	v_add_co_ci_u32_e64 v14, s1, 0, v14, s1
	s_addc_u32 s34, s23, s35
	s_delay_alu instid0(VALU_DEP_2)
	v_add_co_u32 v1, s1, s3, v1
	v_add_nc_u32_e32 v12, 0x220, v12
	v_add_co_ci_u32_e64 v2, s1, s34, v2, s1
	v_mov_b32_e32 v4, 32
	s_mov_b32 s35, s5
	s_mov_b32 s34, 0
	s_branch .LBB91_10
.LBB91_9:                               ;   in Loop: Header=BB91_10 Depth=1
	s_or_b32 exec_lo, exec_lo, s3
	v_add_nc_u32_e32 v17, 4, v17
	v_add_co_u32 v1, s3, v1, 16
	v_add_nc_u32_e32 v9, 32, v9
	v_add_nc_u32_e32 v12, 0x80, v12
	s_delay_alu instid0(VALU_DEP_4) | instskip(SKIP_1) | instid1(VALU_DEP_2)
	v_cmp_le_i32_e64 s1, s17, v17
	v_add_co_ci_u32_e64 v2, s3, 0, v2, s3
	s_or_b32 s34, s1, s34
	s_delay_alu instid0(SALU_CYCLE_1)
	s_and_not1_b32 exec_lo, exec_lo, s34
	s_cbranch_execz .LBB91_12
.LBB91_10:                              ; =>This Inner Loop Header: Depth=1
	global_load_b32 v20, v[1:2], off
	s_waitcnt vmcnt(0) lgkmcnt(0)
	v_mad_i64_i32 v[18:19], null, v20, s35, 0
	s_delay_alu instid0(VALU_DEP_1) | instskip(NEXT) | instid1(VALU_DEP_1)
	v_lshlrev_b64 v[18:19], 1, v[18:19]
	v_add_co_u32 v29, s1, v13, v18
	s_delay_alu instid0(VALU_DEP_1)
	v_add_co_ci_u32_e64 v30, s1, v14, v19, s1
	v_cmp_gt_i32_e64 s1, 32, v15
	s_clause 0xa
	global_load_b32 v18, v[29:30], off
	global_load_b32 v31, v[29:30], off offset:128
	global_load_b32 v32, v[29:30], off offset:256
	;; [unrolled: 1-line block ×10, first 2 shown]
	ds_load_b32 v19, v8
	s_clause 0xc
	global_load_b32 v50, v[29:30], off offset:1408
	global_load_b32 v59, v[29:30], off offset:1536
	;; [unrolled: 1-line block ×13, first 2 shown]
	s_waitcnt lgkmcnt(0)
	v_lshrrev_b32_e32 v38, 16, v19
	v_and_b32_e32 v41, 0xffff, v19
	s_waitcnt vmcnt(12)
	v_and_b32_e32 v53, 0xffff, v50
	v_and_b32_e32 v42, 0xffff, v18
	v_lshrrev_b32_e32 v45, 16, v18
	s_clause 0x7
	global_load_b32 v25, v[29:30], off offset:3072
	global_load_b32 v24, v[29:30], off offset:3200
	;; [unrolled: 1-line block ×8, first 2 shown]
	;;#ASMSTART
	v_cvt_f32_f16 v78, v41;
	;;#ASMEND
	;;#ASMSTART
	v_cvt_f32_f16 v79, v38;
	;;#ASMEND
	;; [unrolled: 3-line block ×4, first 2 shown]
	ds_load_b32 v29, v8 offset:4
	v_and_b32_e32 v38, 0xffff, v31
	v_lshrrev_b32_e32 v31, 16, v31
	v_lshrrev_b32_e32 v46, 16, v40
	;; [unrolled: 1-line block ×4, first 2 shown]
	s_waitcnt vmcnt(19)
	v_and_b32_e32 v62, 0xffff, v59
	v_lshrrev_b32_e32 v64, 16, v59
	s_waitcnt vmcnt(18)
	v_lshrrev_b32_e32 v92, 16, v63
	s_waitcnt vmcnt(15)
	v_and_b32_e32 v100, 0xffff, v76
	v_lshrrev_b32_e32 v76, 16, v76
	s_waitcnt lgkmcnt(0)
	v_and_b32_e32 v30, 0xffff, v29
	v_lshrrev_b32_e32 v29, 16, v29
	;;#ASMSTART
	v_cvt_f32_f16 v82, v30;
	;;#ASMEND
	;;#ASMSTART
	v_cvt_f32_f16 v83, v29;
	;;#ASMEND
	;;#ASMSTART
	v_cvt_f32_f16 v84, v38;
	;;#ASMEND
	;;#ASMSTART
	v_cvt_f32_f16 v85, v31;
	;;#ASMEND
	ds_load_b32 v29, v8 offset:8
	v_and_b32_e32 v31, 0xffff, v32
	v_lshrrev_b32_e32 v32, 16, v32
	s_waitcnt lgkmcnt(0)
	v_and_b32_e32 v30, 0xffff, v29
	v_lshrrev_b32_e32 v29, 16, v29
	;;#ASMSTART
	v_cvt_f32_f16 v86, v30;
	;;#ASMEND
	;;#ASMSTART
	v_cvt_f32_f16 v87, v29;
	;;#ASMEND
	;;#ASMSTART
	v_cvt_f32_f16 v88, v31;
	;;#ASMEND
	;;#ASMSTART
	v_cvt_f32_f16 v89, v32;
	;;#ASMEND
	ds_load_b32 v29, v8 offset:12
	;; [unrolled: 18-line block ×4, first 2 shown]
	v_and_b32_e32 v31, 0xffff, v35
	v_lshrrev_b32_e32 v32, 16, v35
	v_lshrrev_b32_e32 v35, 16, v37
	s_waitcnt lgkmcnt(0)
	v_and_b32_e32 v30, 0xffff, v29
	v_lshrrev_b32_e32 v29, 16, v29
	;;#ASMSTART
	v_cvt_f32_f16 v57, v30;
	;;#ASMEND
	;;#ASMSTART
	v_cvt_f32_f16 v48, v29;
	;;#ASMEND
	;; [unrolled: 3-line block ×4, first 2 shown]
	ds_load_b32 v29, v8 offset:24
	v_and_b32_e32 v31, 0xffff, v36
	v_lshrrev_b32_e32 v32, 16, v36
	s_waitcnt lgkmcnt(0)
	v_and_b32_e32 v30, 0xffff, v29
	v_lshrrev_b32_e32 v29, 16, v29
	;;#ASMSTART
	v_cvt_f32_f16 v55, v30;
	;;#ASMEND
	;;#ASMSTART
	v_cvt_f32_f16 v29, v29;
	;;#ASMEND
	;; [unrolled: 3-line block ×4, first 2 shown]
	ds_load_b32 v31, v8 offset:28
	v_and_b32_e32 v34, 0xffff, v37
	s_waitcnt lgkmcnt(0)
	v_and_b32_e32 v32, 0xffff, v31
	v_lshrrev_b32_e32 v31, 16, v31
	;;#ASMSTART
	v_cvt_f32_f16 v37, v32;
	;;#ASMEND
	;;#ASMSTART
	v_cvt_f32_f16 v33, v31;
	;;#ASMEND
	;; [unrolled: 3-line block ×4, first 2 shown]
	ds_load_b32 v31, v8 offset:32
	v_and_b32_e32 v35, 0xffff, v39
	v_lshrrev_b32_e32 v39, 16, v39
	s_waitcnt lgkmcnt(0)
	v_and_b32_e32 v32, 0xffff, v31
	v_lshrrev_b32_e32 v34, 16, v31
	;;#ASMSTART
	v_cvt_f32_f16 v31, v32;
	;;#ASMEND
	;;#ASMSTART
	v_cvt_f32_f16 v32, v34;
	;;#ASMEND
	;; [unrolled: 3-line block ×4, first 2 shown]
	ds_load_b32 v39, v8 offset:36
	v_and_b32_e32 v45, 0xffff, v40
	s_waitcnt lgkmcnt(0)
	v_and_b32_e32 v41, 0xffff, v39
	v_lshrrev_b32_e32 v42, 16, v39
	;;#ASMSTART
	v_cvt_f32_f16 v39, v41;
	;;#ASMEND
	;;#ASMSTART
	v_cvt_f32_f16 v40, v42;
	;;#ASMEND
	;; [unrolled: 3-line block ×4, first 2 shown]
	ds_load_b32 v45, v8 offset:40
	v_and_b32_e32 v47, 0xffff, v44
	s_waitcnt lgkmcnt(0)
	v_and_b32_e32 v46, 0xffff, v45
	v_lshrrev_b32_e32 v45, 16, v45
	;;#ASMSTART
	v_cvt_f32_f16 v44, v46;
	;;#ASMEND
	;;#ASMSTART
	v_cvt_f32_f16 v45, v45;
	;;#ASMEND
	;;#ASMSTART
	v_cvt_f32_f16 v46, v47;
	;;#ASMEND
	;;#ASMSTART
	v_cvt_f32_f16 v47, v51;
	;;#ASMEND
	ds_load_b32 v51, v8 offset:44
	s_waitcnt lgkmcnt(0)
	v_and_b32_e32 v52, 0xffff, v51
	v_lshrrev_b32_e32 v51, 16, v51
	;;#ASMSTART
	v_cvt_f32_f16 v50, v52;
	;;#ASMEND
	;;#ASMSTART
	v_cvt_f32_f16 v51, v51;
	;;#ASMEND
	;;#ASMSTART
	v_cvt_f32_f16 v52, v53;
	;;#ASMEND
	;;#ASMSTART
	v_cvt_f32_f16 v53, v60;
	;;#ASMEND
	ds_load_b32 v60, v8 offset:48
	;; [unrolled: 16-line block ×3, first 2 shown]
	v_and_b32_e32 v67, 0xffff, v63
	s_waitcnt lgkmcnt(0)
	v_and_b32_e32 v66, 0xffff, v64
	v_lshrrev_b32_e32 v64, 16, v64
	;;#ASMSTART
	v_cvt_f32_f16 v63, v66;
	;;#ASMEND
	;;#ASMSTART
	v_cvt_f32_f16 v64, v64;
	;;#ASMEND
	;; [unrolled: 3-line block ×4, first 2 shown]
	ds_load_b32 v92, v8 offset:56
	s_waitcnt lgkmcnt(0)
	v_and_b32_e32 v93, 0xffff, v92
	v_lshrrev_b32_e32 v92, 16, v92
	;;#ASMSTART
	v_cvt_f32_f16 v93, v93;
	;;#ASMEND
	;;#ASMSTART
	v_cvt_f32_f16 v92, v92;
	;;#ASMEND
	v_and_b32_e32 v94, 0xffff, v70
	v_lshrrev_b32_e32 v70, 16, v70
	;;#ASMSTART
	v_cvt_f32_f16 v94, v94;
	;;#ASMEND
	;;#ASMSTART
	v_cvt_f32_f16 v95, v70;
	;;#ASMEND
	ds_load_b32 v70, v8 offset:60
	v_and_b32_e32 v97, 0xffff, v75
	v_lshrrev_b32_e32 v75, 16, v75
	s_waitcnt lgkmcnt(0)
	v_and_b32_e32 v96, 0xffff, v70
	v_lshrrev_b32_e32 v70, 16, v70
	;;#ASMSTART
	v_cvt_f32_f16 v96, v96;
	;;#ASMEND
	;;#ASMSTART
	v_cvt_f32_f16 v98, v70;
	;;#ASMEND
	;; [unrolled: 3-line block ×4, first 2 shown]
	ds_load_b32 v70, v8 offset:64
	s_waitcnt lgkmcnt(0)
	v_and_b32_e32 v75, 0xffff, v70
	v_lshrrev_b32_e32 v70, 16, v70
	;;#ASMSTART
	v_cvt_f32_f16 v101, v75;
	;;#ASMEND
	;;#ASMSTART
	v_cvt_f32_f16 v102, v70;
	;;#ASMEND
	v_mul_f32_e32 v70, v82, v84
	;;#ASMSTART
	v_cvt_f32_f16 v100, v100;
	;;#ASMEND
	;;#ASMSTART
	v_cvt_f32_f16 v76, v76;
	;;#ASMEND
	ds_load_b32 v75, v8 offset:68
	v_fmac_f32_e32 v70, v78, v80
	s_waitcnt vmcnt(14)
	v_and_b32_e32 v80, 0xffff, v77
	v_lshrrev_b32_e32 v77, 16, v77
	s_delay_alu instid0(VALU_DEP_3) | instskip(SKIP_3) | instid1(VALU_DEP_3)
	v_fmac_f32_e32 v70, v86, v88
	s_waitcnt vmcnt(12)
	v_and_b32_e32 v86, 0xffff, v54
	v_lshrrev_b32_e32 v54, 16, v54
	v_fmac_f32_e32 v70, v90, v91
	s_delay_alu instid0(VALU_DEP_1) | instskip(SKIP_3) | instid1(VALU_DEP_3)
	v_fmac_f32_e32 v70, v72, v73
	s_waitcnt lgkmcnt(0)
	v_and_b32_e32 v78, 0xffff, v75
	v_lshrrev_b32_e32 v75, 16, v75
	v_fmac_f32_e32 v70, v57, v58
	;;#ASMSTART
	v_cvt_f32_f16 v78, v78;
	;;#ASMEND
	;;#ASMSTART
	v_cvt_f32_f16 v82, v75;
	;;#ASMEND
	;; [unrolled: 3-line block ×4, first 2 shown]
	v_fmac_f32_e32 v70, v55, v56
	ds_load_b32 v84, v8 offset:72
	v_dual_mul_f32 v75, v83, v85 :: v_dual_fmac_f32 v70, v37, v38
	s_delay_alu instid0(VALU_DEP_1) | instskip(NEXT) | instid1(VALU_DEP_2)
	v_fmac_f32_e32 v75, v79, v81
	v_fmac_f32_e32 v70, v31, v34
	s_waitcnt vmcnt(4)
	v_and_b32_e32 v31, 0xffff, v22
	s_delay_alu instid0(VALU_DEP_3) | instskip(SKIP_4) | instid1(VALU_DEP_2)
	v_fmac_f32_e32 v75, v87, v89
	v_lshrrev_b32_e32 v22, 16, v22
	v_fmac_f32_e32 v70, v39, v41
	s_waitcnt vmcnt(3)
	v_lshrrev_b32_e32 v39, 16, v21
	v_dual_fmac_f32 v75, v69, v71 :: v_dual_fmac_f32 v70, v44, v46
	s_waitcnt lgkmcnt(0)
	v_and_b32_e32 v79, 0xffff, v84
	v_lshrrev_b32_e32 v81, 16, v84
	;;#ASMSTART
	v_cvt_f32_f16 v79, v79;
	;;#ASMEND
	;;#ASMSTART
	v_cvt_f32_f16 v81, v81;
	;;#ASMEND
	v_fmac_f32_e32 v70, v50, v52
	s_delay_alu instid0(VALU_DEP_1) | instskip(NEXT) | instid1(VALU_DEP_1)
	v_dual_fmac_f32 v75, v65, v68 :: v_dual_fmac_f32 v70, v59, v61
	v_dual_fmac_f32 v75, v48, v49 :: v_dual_fmac_f32 v70, v63, v66
	s_delay_alu instid0(VALU_DEP_1) | instskip(NEXT) | instid1(VALU_DEP_2)
	v_fmac_f32_e32 v75, v29, v30
	v_fmac_f32_e32 v70, v93, v94
	s_delay_alu instid0(VALU_DEP_1) | instskip(SKIP_2) | instid1(VALU_DEP_3)
	v_dual_fmac_f32 v75, v33, v36 :: v_dual_fmac_f32 v70, v96, v97
	v_and_b32_e32 v83, 0xffff, v74
	v_lshrrev_b32_e32 v74, 16, v74
	v_dual_fmac_f32 v75, v32, v35 :: v_dual_fmac_f32 v70, v101, v100
	;;#ASMSTART
	v_cvt_f32_f16 v83, v83;
	;;#ASMEND
	;;#ASMSTART
	v_cvt_f32_f16 v74, v74;
	;;#ASMEND
	ds_load_b32 v84, v8 offset:76
	v_dual_fmac_f32 v70, v78, v80 :: v_dual_and_b32 v89, 0xffff, v43
	v_lshrrev_b32_e32 v43, 16, v43
	v_fmac_f32_e32 v75, v40, v42
	s_waitcnt vmcnt(2)
	v_lshrrev_b32_e32 v42, 16, v20
	v_and_b32_e32 v20, 0xffff, v20
	v_fmac_f32_e32 v70, v79, v83
	v_fmac_f32_e32 v75, v45, v47
	s_delay_alu instid0(VALU_DEP_1) | instskip(NEXT) | instid1(VALU_DEP_1)
	v_fmac_f32_e32 v75, v51, v53
	v_fmac_f32_e32 v75, v60, v62
	s_waitcnt lgkmcnt(0)
	v_and_b32_e32 v85, 0xffff, v84
	v_lshrrev_b32_e32 v84, 16, v84
	;;#ASMSTART
	v_cvt_f32_f16 v85, v85;
	;;#ASMEND
	;;#ASMSTART
	v_cvt_f32_f16 v84, v84;
	;;#ASMEND
	;; [unrolled: 3-line block ×4, first 2 shown]
	ds_load_b32 v87, v8 offset:80
	v_dual_fmac_f32 v70, v85, v86 :: v_dual_fmac_f32 v75, v64, v67
	s_delay_alu instid0(VALU_DEP_1) | instskip(NEXT) | instid1(VALU_DEP_1)
	v_fmac_f32_e32 v75, v92, v95
	v_fmac_f32_e32 v75, v98, v99
	s_waitcnt lgkmcnt(0)
	s_delay_alu instid0(VALU_DEP_1)
	v_dual_fmac_f32 v75, v102, v76 :: v_dual_and_b32 v88, 0xffff, v87
	v_lshrrev_b32_e32 v87, 16, v87
	;;#ASMSTART
	v_cvt_f32_f16 v88, v88;
	;;#ASMEND
	;;#ASMSTART
	v_cvt_f32_f16 v87, v87;
	;;#ASMEND
	;; [unrolled: 3-line block ×4, first 2 shown]
	ds_load_b32 v90, v8 offset:84
	v_fmac_f32_e32 v70, v88, v89
	v_fmac_f32_e32 v75, v82, v77
	s_delay_alu instid0(VALU_DEP_1) | instskip(NEXT) | instid1(VALU_DEP_1)
	v_fmac_f32_e32 v75, v81, v74
	v_fmac_f32_e32 v75, v84, v54
	s_delay_alu instid0(VALU_DEP_1)
	v_fmac_f32_e32 v75, v87, v43
	s_waitcnt lgkmcnt(0)
	v_and_b32_e32 v69, 0xffff, v90
	v_lshrrev_b32_e32 v71, 16, v90
	v_and_b32_e32 v90, 0xffff, v28
	v_lshrrev_b32_e32 v28, 16, v28
	;;#ASMSTART
	v_cvt_f32_f16 v69, v69;
	;;#ASMEND
	;;#ASMSTART
	v_cvt_f32_f16 v71, v71;
	;;#ASMEND
	;; [unrolled: 3-line block ×4, first 2 shown]
	ds_load_b32 v73, v8 offset:88
	v_fmac_f32_e32 v70, v69, v72
	v_fmac_f32_e32 v75, v71, v28
	s_waitcnt lgkmcnt(0)
	v_and_b32_e32 v65, 0xffff, v73
	v_lshrrev_b32_e32 v68, 16, v73
	v_and_b32_e32 v73, 0xffff, v27
	v_lshrrev_b32_e32 v27, 16, v27
	;;#ASMSTART
	v_cvt_f32_f16 v65, v65;
	;;#ASMEND
	;;#ASMSTART
	v_cvt_f32_f16 v68, v68;
	;;#ASMEND
	;; [unrolled: 3-line block ×4, first 2 shown]
	ds_load_b32 v90, v8 offset:92
	v_dual_fmac_f32 v70, v65, v73 :: v_dual_fmac_f32 v75, v68, v27
	s_waitcnt lgkmcnt(0)
	v_and_b32_e32 v57, 0xffff, v90
	v_lshrrev_b32_e32 v58, 16, v90
	v_and_b32_e32 v90, 0xffff, v26
	v_lshrrev_b32_e32 v26, 16, v26
	;;#ASMSTART
	v_cvt_f32_f16 v48, v57;
	;;#ASMEND
	;;#ASMSTART
	v_cvt_f32_f16 v49, v58;
	;;#ASMEND
	;; [unrolled: 3-line block ×4, first 2 shown]
	ds_load_b32 v58, v8 offset:96
	v_dual_fmac_f32 v75, v49, v26 :: v_dual_fmac_f32 v70, v48, v57
	s_waitcnt vmcnt(1)
	v_lshrrev_b32_e32 v26, 16, v19
	v_and_b32_e32 v19, 0xffff, v19
	s_waitcnt lgkmcnt(0)
	v_and_b32_e32 v55, 0xffff, v58
	v_lshrrev_b32_e32 v56, 16, v58
	v_and_b32_e32 v58, 0xffff, v25
	v_lshrrev_b32_e32 v25, 16, v25
	;;#ASMSTART
	v_cvt_f32_f16 v55, v55;
	;;#ASMEND
	;;#ASMSTART
	v_cvt_f32_f16 v56, v56;
	;;#ASMEND
	;; [unrolled: 3-line block ×4, first 2 shown]
	ds_load_b32 v90, v8 offset:100
	v_fmac_f32_e32 v75, v56, v25
	v_dual_fmac_f32 v70, v55, v58 :: v_dual_and_b32 v21, 0xffff, v21
	s_waitcnt lgkmcnt(0)
	v_and_b32_e32 v29, 0xffff, v90
	v_lshrrev_b32_e32 v30, 16, v90
	v_and_b32_e32 v90, 0xffff, v24
	v_lshrrev_b32_e32 v24, 16, v24
	;;#ASMSTART
	v_cvt_f32_f16 v29, v29;
	;;#ASMEND
	;;#ASMSTART
	v_cvt_f32_f16 v30, v30;
	;;#ASMEND
	;; [unrolled: 3-line block ×4, first 2 shown]
	ds_load_b32 v38, v8 offset:104
	v_dual_fmac_f32 v75, v30, v24 :: v_dual_fmac_f32 v70, v29, v37
	s_waitcnt lgkmcnt(0)
	v_and_b32_e32 v33, 0xffff, v38
	v_lshrrev_b32_e32 v36, 16, v38
	v_and_b32_e32 v38, 0xffff, v23
	v_lshrrev_b32_e32 v23, 16, v23
	;;#ASMSTART
	v_cvt_f32_f16 v33, v33;
	;;#ASMEND
	;;#ASMSTART
	v_cvt_f32_f16 v36, v36;
	;;#ASMEND
	;; [unrolled: 3-line block ×4, first 2 shown]
	ds_load_b32 v90, v8 offset:108
	v_dual_fmac_f32 v75, v36, v23 :: v_dual_fmac_f32 v70, v33, v38
	s_waitcnt lgkmcnt(0)
	v_and_b32_e32 v32, 0xffff, v90
	v_lshrrev_b32_e32 v34, 16, v90
	;;#ASMSTART
	v_cvt_f32_f16 v32, v32;
	;;#ASMEND
	;;#ASMSTART
	v_cvt_f32_f16 v34, v34;
	;;#ASMEND
	;; [unrolled: 3-line block ×4, first 2 shown]
	ds_load_b32 v35, v8 offset:112
	v_dual_fmac_f32 v75, v34, v22 :: v_dual_fmac_f32 v70, v32, v31
	s_waitcnt vmcnt(0)
	v_lshrrev_b32_e32 v22, 16, v18
	v_and_b32_e32 v18, 0xffff, v18
	s_waitcnt lgkmcnt(0)
	v_and_b32_e32 v40, 0xffff, v35
	v_lshrrev_b32_e32 v35, 16, v35
	;;#ASMSTART
	v_cvt_f32_f16 v40, v40;
	;;#ASMEND
	;;#ASMSTART
	v_cvt_f32_f16 v35, v35;
	;;#ASMEND
	;; [unrolled: 3-line block ×4, first 2 shown]
	ds_load_b32 v41, v8 offset:116
	v_dual_fmac_f32 v75, v35, v39 :: v_dual_fmac_f32 v70, v40, v21
	v_cndmask_b32_e64 v21, v3, v15, s1
	v_cmp_gt_i32_e64 s1, 32, v16
	s_waitcnt lgkmcnt(0)
	v_and_b32_e32 v44, 0xffff, v41
	v_lshrrev_b32_e32 v41, 16, v41
	;;#ASMSTART
	v_cvt_f32_f16 v43, v44;
	;;#ASMEND
	;;#ASMSTART
	v_cvt_f32_f16 v41, v41;
	;;#ASMEND
	;; [unrolled: 3-line block ×4, first 2 shown]
	v_fmac_f32_e32 v75, v41, v42
	ds_load_b32 v44, v8 offset:120
	v_fmac_f32_e32 v70, v43, v20
	s_waitcnt lgkmcnt(0)
	v_and_b32_e32 v25, 0xffff, v44
	v_lshrrev_b32_e32 v27, 16, v44
	;;#ASMSTART
	v_cvt_f32_f16 v24, v25;
	;;#ASMEND
	;;#ASMSTART
	v_cvt_f32_f16 v25, v27;
	;;#ASMEND
	;; [unrolled: 3-line block ×4, first 2 shown]
	ds_load_b32 v27, v8 offset:124
	v_dual_fmac_f32 v70, v24, v19 :: v_dual_fmac_f32 v75, v25, v26
	s_waitcnt lgkmcnt(0)
	v_and_b32_e32 v20, 0xffff, v27
	v_lshrrev_b32_e32 v23, 16, v27
	;;#ASMSTART
	v_cvt_f32_f16 v19, v20;
	;;#ASMEND
	;;#ASMSTART
	v_cvt_f32_f16 v20, v23;
	;;#ASMEND
	;;#ASMSTART
	v_cvt_f32_f16 v18, v18;
	;;#ASMEND
	;;#ASMSTART
	v_cvt_f32_f16 v22, v22;
	;;#ASMEND
	v_fmac_f32_e32 v70, v19, v18
	v_dual_fmac_f32 v75, v20, v22 :: v_dual_lshlrev_b32 v18, 2, v21
	v_cndmask_b32_e64 v20, v3, v16, s1
	s_delay_alu instid0(VALU_DEP_2)
	v_add_f32_e32 v19, v70, v75
	ds_bpermute_b32 v18, v18, v19
	s_waitcnt lgkmcnt(0)
	v_dual_add_f32 v18, v19, v18 :: v_dual_lshlrev_b32 v19, 2, v20
	ds_bpermute_b32 v19, v19, v18
	s_and_saveexec_b32 s3, vcc_lo
	s_cbranch_execz .LBB91_9
; %bb.11:                               ;   in Loop: Header=BB91_10 Depth=1
	s_waitcnt lgkmcnt(0)
	v_add_f32_e32 v18, v18, v19
	v_add_nc_u32_e32 v20, s7, v9
	v_cmp_gt_i32_e64 s1, s30, v9
	s_delay_alu instid0(VALU_DEP_2) | instskip(NEXT) | instid1(VALU_DEP_1)
	v_cvt_f32_i32_e32 v20, v20
	v_mul_f32_e32 v20, s28, v20
	s_delay_alu instid0(VALU_DEP_1) | instskip(NEXT) | instid1(VALU_DEP_1)
	v_cndmask_b32_e64 v19, 0, v20, s0
	v_dual_max_f32 v20, v7, v7 :: v_dual_fmac_f32 v19, s29, v18
	s_delay_alu instid0(VALU_DEP_1) | instskip(SKIP_1) | instid1(VALU_DEP_2)
	v_max_f32_e32 v18, v20, v19
	v_cndmask_b32_e64 v19, 0, v19, s1
	v_cndmask_b32_e64 v7, v7, v18, s1
	ds_store_b32 v12, v19
	s_branch .LBB91_9
.LBB91_12:
	s_or_b32 exec_lo, exec_lo, s34
.LBB91_13:
	s_delay_alu instid0(SALU_CYCLE_1) | instskip(SKIP_3) | instid1(VALU_DEP_3)
	s_or_b32 exec_lo, exec_lo, s33
	v_xor_b32_e32 v1, 16, v3
	v_xor_b32_e32 v8, 8, v3
	v_dual_max_f32 v9, v7, v7 :: v_dual_and_b32 v12, 31, v0
	v_cmp_lt_i32_e32 vcc_lo, v1, v4
	v_cndmask_b32_e32 v1, v3, v1, vcc_lo
	s_delay_alu instid0(VALU_DEP_4) | instskip(NEXT) | instid1(VALU_DEP_2)
	v_cmp_lt_i32_e32 vcc_lo, v8, v4
	v_lshlrev_b32_e32 v2, 2, v1
	ds_bpermute_b32 v1, v2, v7
	v_cndmask_b32_e32 v7, v3, v8, vcc_lo
	s_delay_alu instid0(VALU_DEP_1) | instskip(SKIP_2) | instid1(VALU_DEP_1)
	v_lshlrev_b32_e32 v7, 2, v7
	s_waitcnt lgkmcnt(0)
	v_max_f32_e32 v1, v1, v1
	v_max_f32_e32 v1, v9, v1
	v_xor_b32_e32 v9, 4, v3
	ds_bpermute_b32 v8, v7, v1
	v_cmp_lt_i32_e32 vcc_lo, v9, v4
	v_cndmask_b32_e32 v9, v3, v9, vcc_lo
	v_cmp_eq_u32_e32 vcc_lo, 0, v12
	s_waitcnt lgkmcnt(0)
	s_delay_alu instid0(VALU_DEP_2) | instskip(NEXT) | instid1(VALU_DEP_1)
	v_dual_max_f32 v8, v8, v8 :: v_dual_lshlrev_b32 v13, 2, v9
	v_dual_max_f32 v1, v1, v8 :: v_dual_lshlrev_b32 v8, 2, v11
	ds_bpermute_b32 v9, v13, v1
	s_and_saveexec_b32 s0, vcc_lo
	s_cbranch_execz .LBB91_15
; %bb.14:
	s_waitcnt lgkmcnt(0)
	v_max_f32_e32 v9, v9, v9
	v_max_f32_e32 v1, v1, v1
	s_delay_alu instid0(VALU_DEP_1)
	v_max_f32_e32 v1, v1, v9
	ds_store_b32 v8, v1 offset:512
.LBB91_15:
	s_or_b32 exec_lo, exec_lo, s0
	v_cmp_gt_u32_e64 s0, 4, v12
	v_mov_b32_e32 v1, 0xff7fffff
	s_waitcnt lgkmcnt(0)
	v_lshlrev_b32_e32 v9, 2, v12
	s_barrier
	buffer_gl0_inv
	s_and_saveexec_b32 s1, s0
	s_cbranch_execz .LBB91_17
; %bb.16:
	ds_load_b32 v1, v9 offset:512
.LBB91_17:
	s_or_b32 exec_lo, exec_lo, s1
	v_xor_b32_e32 v14, 2, v3
	v_xor_b32_e32 v16, 1, v3
	s_delay_alu instid0(VALU_DEP_2) | instskip(NEXT) | instid1(VALU_DEP_1)
	v_cmp_lt_i32_e64 s1, v14, v4
	v_cndmask_b32_e64 v14, v3, v14, s1
	s_delay_alu instid0(VALU_DEP_3) | instskip(NEXT) | instid1(VALU_DEP_2)
	v_cmp_lt_i32_e64 s1, v16, v4
	v_lshlrev_b32_e32 v14, 2, v14
	s_delay_alu instid0(VALU_DEP_2)
	v_cndmask_b32_e64 v4, v3, v16, s1
	v_lshlrev_b32_e32 v3, 2, v3
	s_sub_i32 s1, s17, s15
	v_mov_b32_e32 v16, 0
	s_waitcnt lgkmcnt(0)
	ds_bpermute_b32 v15, v14, v1
	v_dual_max_f32 v1, v1, v1 :: v_dual_lshlrev_b32 v4, 2, v4
	s_lshl_b32 s1, s1, 3
	s_delay_alu instid0(SALU_CYCLE_1) | instskip(NEXT) | instid1(SALU_CYCLE_1)
	s_add_i32 s1, s1, s31
	s_min_i32 s1, s1, s30
	s_delay_alu instid0(SALU_CYCLE_1) | instskip(NEXT) | instid1(SALU_CYCLE_1)
	s_sub_i32 s7, s1, s31
	v_cmp_gt_i32_e64 s1, s7, v0
	s_waitcnt lgkmcnt(0)
	v_max_f32_e32 v15, v15, v15
	s_delay_alu instid0(VALU_DEP_1) | instskip(SKIP_3) | instid1(VALU_DEP_1)
	v_max_f32_e32 v1, v1, v15
	ds_bpermute_b32 v15, v4, v1
	s_waitcnt lgkmcnt(0)
	v_max_f32_e32 v15, v15, v15
	v_max_f32_e32 v1, v1, v15
	v_and_b32_e32 v15, 0xffffff80, v3
	v_lshl_add_u32 v3, v0, 2, 0x220
	ds_bpermute_b32 v1, v15, v1
	s_and_saveexec_b32 s15, s1
	s_cbranch_execz .LBB91_21
; %bb.18:
	v_lshl_add_u32 v17, v0, 2, 0x220
	v_mov_b32_e32 v16, 0
	v_mov_b32_e32 v18, v0
	s_mov_b32 s28, 0
	.p2align	6
.LBB91_19:                              ; =>This Inner Loop Header: Depth=1
	ds_load_b32 v19, v17
	v_add_nc_u32_e32 v18, 0x80, v18
	s_delay_alu instid0(VALU_DEP_1) | instskip(NEXT) | instid1(VALU_DEP_1)
	v_cmp_le_i32_e64 s3, s7, v18
	s_or_b32 s28, s3, s28
	s_waitcnt lgkmcnt(0)
	v_sub_f32_e32 v19, v19, v1
	s_delay_alu instid0(VALU_DEP_1) | instskip(NEXT) | instid1(VALU_DEP_1)
	v_mul_f32_e32 v19, 0x3fb8aa3b, v19
	v_exp_f32_e32 v19, v19
	ds_store_b32 v17, v19
	v_dual_add_f32 v16, v16, v19 :: v_dual_add_nc_u32 v17, 0x200, v17
	s_and_not1_b32 exec_lo, exec_lo, s28
	s_cbranch_execnz .LBB91_19
; %bb.20:
	s_or_b32 exec_lo, exec_lo, s28
.LBB91_21:
	s_delay_alu instid0(SALU_CYCLE_1)
	s_or_b32 exec_lo, exec_lo, s15
	ds_bpermute_b32 v2, v2, v16
	s_waitcnt lgkmcnt(0)
	v_add_f32_e32 v2, v16, v2
	ds_bpermute_b32 v7, v7, v2
	s_waitcnt lgkmcnt(0)
	v_add_f32_e32 v2, v2, v7
	ds_bpermute_b32 v7, v13, v2
	s_waitcnt lgkmcnt(0)
	v_add_f32_e32 v2, v2, v7
	ds_bpermute_b32 v7, v14, v2
	s_waitcnt lgkmcnt(0)
	v_add_f32_e32 v2, v2, v7
	ds_bpermute_b32 v7, v4, v2
	s_waitcnt lgkmcnt(0)
	v_add_f32_e32 v2, v2, v7
	s_and_saveexec_b32 s3, vcc_lo
	s_cbranch_execz .LBB91_23
; %bb.22:
	ds_store_b32 v8, v2 offset:528
.LBB91_23:
	s_or_b32 exec_lo, exec_lo, s3
	s_waitcnt lgkmcnt(0)
	s_barrier
	buffer_gl0_inv
	s_and_saveexec_b32 s3, s0
	s_cbranch_execz .LBB91_25
; %bb.24:
	ds_load_b32 v2, v9 offset:528
.LBB91_25:
	s_or_b32 exec_lo, exec_lo, s3
	s_waitcnt lgkmcnt(0)
	ds_bpermute_b32 v7, v14, v2
	s_waitcnt lgkmcnt(0)
	v_add_f32_e32 v2, v2, v7
	ds_bpermute_b32 v4, v4, v2
	s_waitcnt lgkmcnt(0)
	v_add_f32_e32 v2, v2, v4
	ds_bpermute_b32 v2, v15, v2
	s_and_saveexec_b32 s0, s1
	s_cbranch_execz .LBB91_28
; %bb.26:
	s_waitcnt lgkmcnt(0)
	v_add_f32_e32 v4, 0x358637bd, v2
	s_mov_b32 s1, 0
	s_delay_alu instid0(VALU_DEP_1) | instskip(SKIP_1) | instid1(VALU_DEP_2)
	v_div_scale_f32 v7, null, v4, v4, 1.0
	v_div_scale_f32 v13, vcc_lo, 1.0, v4, 1.0
	v_rcp_f32_e32 v8, v7
	s_waitcnt_depctr 0xfff
	v_fma_f32 v9, -v7, v8, 1.0
	s_delay_alu instid0(VALU_DEP_1) | instskip(NEXT) | instid1(VALU_DEP_1)
	v_fmac_f32_e32 v8, v9, v8
	v_mul_f32_e32 v9, v13, v8
	s_delay_alu instid0(VALU_DEP_1) | instskip(NEXT) | instid1(VALU_DEP_1)
	v_fma_f32 v14, -v7, v9, v13
	v_fmac_f32_e32 v9, v14, v8
	s_delay_alu instid0(VALU_DEP_1) | instskip(NEXT) | instid1(VALU_DEP_1)
	v_fma_f32 v7, -v7, v9, v13
	v_div_fmas_f32 v7, v7, v8, v9
	s_delay_alu instid0(VALU_DEP_1)
	v_div_fixup_f32 v4, v7, v4, 1.0
	v_mov_b32_e32 v7, v0
.LBB91_27:                              ; =>This Inner Loop Header: Depth=1
	ds_load_b32 v8, v3
	s_waitcnt lgkmcnt(0)
	v_dual_mul_f32 v8, v4, v8 :: v_dual_add_nc_u32 v7, 0x80, v7
	s_delay_alu instid0(VALU_DEP_1) | instskip(SKIP_3) | instid1(SALU_CYCLE_1)
	v_cmp_le_i32_e32 vcc_lo, s7, v7
	ds_store_b32 v3, v8
	v_add_nc_u32_e32 v3, 0x200, v3
	s_or_b32 s1, vcc_lo, s1
	s_and_not1_b32 exec_lo, exec_lo, s1
	s_cbranch_execnz .LBB91_27
.LBB91_28:
	s_or_b32 exec_lo, exec_lo, s0
	s_mul_i32 s0, s4, s14
	s_waitcnt lgkmcnt(0)
	s_mul_i32 s14, s0, s13
	s_mov_b32 s0, exec_lo
	s_barrier
	buffer_gl0_inv
	v_cmpx_eq_u32_e32 0, v0
	s_cbranch_execz .LBB91_30
; %bb.29:
	s_ashr_i32 s15, s14, 31
	s_mul_i32 s34, s4, s20
	s_lshl_b64 s[28:29], s[14:15], 2
	v_mov_b32_e32 v3, 0
	s_add_u32 s1, s10, s28
	s_addc_u32 s3, s11, s29
	s_ashr_i32 s35, s34, 31
	s_delay_alu instid0(SALU_CYCLE_1) | instskip(NEXT) | instid1(SALU_CYCLE_1)
	s_lshl_b64 s[10:11], s[34:35], 2
	s_add_u32 s1, s1, s10
	s_addc_u32 s3, s3, s11
	s_ashr_i32 s13, s12, 31
	s_delay_alu instid0(SALU_CYCLE_1) | instskip(NEXT) | instid1(SALU_CYCLE_1)
	s_lshl_b64 s[34:35], s[12:13], 2
	s_add_u32 s36, s1, s34
	s_addc_u32 s37, s3, s35
	s_add_u32 s1, s8, s28
	s_addc_u32 s3, s9, s29
	;; [unrolled: 2-line block ×4, first 2 shown]
	s_clause 0x1
	global_store_b32 v3, v1, s[36:37]
	global_store_b32 v3, v2, s[8:9]
.LBB91_30:
	s_or_b32 exec_lo, exec_lo, s0
	v_dual_mov_b32 v13, 0 :: v_dual_mov_b32 v14, 0
	v_dual_mov_b32 v15, 0 :: v_dual_mov_b32 v16, 0
	;; [unrolled: 1-line block ×4, first 2 shown]
	s_mov_b32 s3, 0
	s_and_saveexec_b32 s1, s2
	s_cbranch_execz .LBB91_50
; %bb.31:
	s_ashr_i32 s7, s6, 31
	v_dual_mov_b32 v18, 0 :: v_dual_lshlrev_b32 v1, 4, v12
	s_lshl_b64 s[6:7], s[6:7], 1
	v_lshl_add_u32 v23, v11, 3, s31
	s_add_u32 s0, s26, s6
	s_addc_u32 s9, s27, s7
	v_add_co_u32 v21, s0, s0, v1
	v_lshlrev_b64 v[1:2], 2, v[5:6]
	s_lshl_b64 s[10:11], s[24:25], 2
	s_add_i32 s21, s21, -1
	v_add_co_ci_u32_e64 v22, null, s9, 0, s0
	s_add_u32 s0, s22, s10
	s_addc_u32 s9, s23, s11
	v_add_co_u32 v6, vcc_lo, s0, v1
	v_lshl_add_u32 v24, v11, 5, 0x220
	v_add_co_ci_u32_e32 v7, vcc_lo, s9, v2, vcc_lo
	v_dual_mov_b32 v20, 0 :: v_dual_mov_b32 v19, 0
	v_dual_mov_b32 v17, 0 :: v_dual_mov_b32 v16, 0
	;; [unrolled: 1-line block ×3, first 2 shown]
	v_mov_b32_e32 v13, 0
	s_mov_b32 s2, s5
	s_mov_b32 s5, s30
	;; [unrolled: 1-line block ×8, first 2 shown]
	s_branch .LBB91_33
.LBB91_32:                              ;   in Loop: Header=BB91_33 Depth=1
	s_or_b32 exec_lo, exec_lo, s0
	s_waitcnt vmcnt(0)
	;;#ASMSTART
	v_pk_mul_f16 v1, v35, v1;

	;;#ASMEND
	;;#ASMSTART
	v_pk_mul_f16 v2, v34, v2;

	;;#ASMEND
	;; [unrolled: 4-line block ×4, first 2 shown]
	;;#ASMSTART
	v_pk_add_f16 v1, v1, v2;

	;;#ASMEND
	v_dual_add_f32 v8, v36, v37 :: v_dual_add_f32 v9, v38, v39
	;;#ASMSTART
	v_pk_add_f16 v1, v1, v3;

	;;#ASMEND
	;;#ASMSTART
	v_pk_add_f16 v1, v1, v4;

	;;#ASMEND
	v_dual_add_f32 v3, v44, v45 :: v_dual_add_f32 v4, v46, v47
	v_dual_add_f32 v25, v40, v41 :: v_dual_add_f32 v26, v42, v43
	v_add_f32_e32 v18, v18, v8
	s_delay_alu instid0(VALU_DEP_3)
	v_dual_add_f32 v15, v15, v4 :: v_dual_and_b32 v2, 0xffff, v1
	v_lshrrev_b32_e32 v1, 16, v1
	v_dual_add_f32 v8, v48, v49 :: v_dual_add_nc_u32 v23, 32, v23
	v_add_nc_u32_e32 v5, 4, v5
	;;#ASMSTART
	v_cvt_f32_f16 v2, v2;
	;;#ASMEND
	;;#ASMSTART
	v_cvt_f32_f16 v1, v1;
	;;#ASMEND
	s_delay_alu instid0(VALU_DEP_2)
	v_add_f32_e32 v14, v14, v8
	v_dual_add_f32 v1, v2, v1 :: v_dual_add_f32 v16, v16, v3
	v_cmp_le_i32_e32 vcc_lo, s17, v5
	v_add_co_u32 v6, s0, v6, 16
	v_dual_add_f32 v20, v20, v9 :: v_dual_add_f32 v17, v17, v26
	v_add_f32_e32 v19, v19, v25
	v_dual_add_f32 v13, v13, v1 :: v_dual_add_nc_u32 v24, 0x80, v24
	v_add_co_ci_u32_e64 v7, s0, 0, v7, s0
	s_or_b32 s3, vcc_lo, s3
	s_delay_alu instid0(SALU_CYCLE_1)
	s_and_not1_b32 exec_lo, exec_lo, s3
	s_cbranch_execz .LBB91_49
.LBB91_33:                              ; =>This Inner Loop Header: Depth=1
	global_load_b32 v29, v[6:7], off
	ds_load_2addr_b64 v[1:4], v24 offset1:1
	ds_load_2addr_b64 v[25:28], v24 offset0:2 offset1:3
	v_or_b32_e32 v30, 7, v23
	v_or_b32_e32 v31, 6, v23
	s_waitcnt lgkmcnt(1)
	;;#ASMSTART
	v_cvt_f16_f32 v34, v1;

	;;#ASMEND
	;;#ASMSTART
	v_cvt_f16_f32 v32, v2;

	;;#ASMEND
	;;#ASMSTART
	v_cvt_f16_f32 v35, v3;

	;;#ASMEND
	;;#ASMSTART
	v_cvt_f16_f32 v33, v4;

	;;#ASMEND
	s_waitcnt lgkmcnt(0)
	;;#ASMSTART
	v_cvt_f16_f32 v38, v25;

	;;#ASMEND
	;;#ASMSTART
	v_cvt_f16_f32 v36, v26;

	;;#ASMEND
	;; [unrolled: 4-line block ×4, first 2 shown]
	v_add_nc_u32_e32 v25, 1, v23
	v_or_b32_e32 v27, 3, v23
	v_or_b32_e32 v26, 2, v23
	;; [unrolled: 1-line block ×3, first 2 shown]
	s_waitcnt vmcnt(0)
	v_mad_i64_i32 v[8:9], null, v29, s2, 0
	v_or_b32_e32 v29, 5, v23
	s_delay_alu instid0(VALU_DEP_2) | instskip(NEXT) | instid1(VALU_DEP_1)
	v_lshlrev_b64 v[8:9], 1, v[8:9]
	v_add_co_u32 v8, vcc_lo, v21, v8
	s_delay_alu instid0(VALU_DEP_2)
	v_add_co_ci_u32_e32 v9, vcc_lo, v22, v9, vcc_lo
	v_cmp_eq_u32_e32 vcc_lo, s21, v5
	global_load_b128 v[1:4], v[8:9], off
	s_and_saveexec_b32 s13, vcc_lo
	s_cbranch_execz .LBB91_35
; %bb.34:                               ;   in Loop: Header=BB91_33 Depth=1
	v_cmp_gt_i32_e64 s0, s10, v31
	s_waitcnt vmcnt(0)
	v_lshrrev_b32_e32 v40, 16, v4
	v_lshrrev_b32_e32 v41, 16, v3
	;; [unrolled: 1-line block ×4, first 2 shown]
	v_cndmask_b32_e64 v4, 0, v4, s0
	v_cmp_gt_i32_e64 s0, s11, v30
	s_delay_alu instid0(VALU_DEP_1) | instskip(SKIP_1) | instid1(VALU_DEP_2)
	v_cndmask_b32_e64 v40, 0, v40, s0
	v_cmp_gt_i32_e64 s0, s9, v29
	v_perm_b32 v4, v40, v4, 0x5040100
	s_delay_alu instid0(VALU_DEP_2) | instskip(SKIP_1) | instid1(VALU_DEP_1)
	v_cndmask_b32_e64 v41, 0, v41, s0
	v_cmp_gt_i32_e64 s0, s8, v28
	v_cndmask_b32_e64 v3, 0, v3, s0
	v_cmp_gt_i32_e64 s0, s7, v27
	s_delay_alu instid0(VALU_DEP_2) | instskip(NEXT) | instid1(VALU_DEP_2)
	v_perm_b32 v3, v41, v3, 0x5040100
	v_cndmask_b32_e64 v42, 0, v42, s0
	v_cmp_gt_i32_e64 s0, s6, v26
	s_delay_alu instid0(VALU_DEP_1) | instskip(SKIP_1) | instid1(VALU_DEP_2)
	v_cndmask_b32_e64 v2, 0, v2, s0
	v_cmp_gt_i32_e64 s0, s5, v25
	v_perm_b32 v2, v42, v2, 0x5040100
	s_delay_alu instid0(VALU_DEP_2) | instskip(SKIP_1) | instid1(VALU_DEP_1)
	v_cndmask_b32_e64 v43, 0, v43, s0
	v_cmp_gt_i32_e64 s0, s30, v23
	v_cndmask_b32_e64 v1, 0, v1, s0
	s_delay_alu instid0(VALU_DEP_1)
	v_perm_b32 v1, v43, v1, 0x5040100
.LBB91_35:                              ;   in Loop: Header=BB91_33 Depth=1
	s_or_b32 exec_lo, exec_lo, s13
	v_and_b32_e32 v34, 0xffff, v34
	v_and_b32_e32 v40, 0xffff, v35
	;; [unrolled: 1-line block ×4, first 2 shown]
	s_delay_alu instid0(VALU_DEP_4)
	v_lshl_or_b32 v35, v32, 16, v34
	s_waitcnt vmcnt(0)
	;;#ASMSTART
	v_pk_mul_f16 v1, v35, v1;

	;;#ASMEND
	v_lshl_or_b32 v34, v33, 16, v40
	v_lshl_or_b32 v33, v36, 16, v38
	;; [unrolled: 1-line block ×3, first 2 shown]
	;;#ASMSTART
	v_pk_mul_f16 v2, v34, v2;

	;;#ASMEND
	;;#ASMSTART
	v_pk_mul_f16 v3, v33, v3;

	;;#ASMEND
	;; [unrolled: 4-line block ×3, first 2 shown]
	;;#ASMSTART
	v_pk_add_f16 v1, v1, v2;

	;;#ASMEND
	;;#ASMSTART
	v_pk_add_f16 v1, v1, v3;

	;;#ASMEND
	;; [unrolled: 4-line block ×3, first 2 shown]
	v_and_b32_e32 v2, 0xffff, v1
	v_lshrrev_b32_e32 v1, 16, v1
	;;#ASMSTART
	v_cvt_f32_f16 v36, v2;
	;;#ASMEND
	;;#ASMSTART
	v_cvt_f32_f16 v37, v1;
	;;#ASMEND
	global_load_b128 v[1:4], v[8:9], off offset:512
	s_and_saveexec_b32 s13, vcc_lo
	s_cbranch_execz .LBB91_37
; %bb.36:                               ;   in Loop: Header=BB91_33 Depth=1
	v_cmp_gt_i32_e64 s0, s10, v31
	s_waitcnt vmcnt(0)
	v_lshrrev_b32_e32 v38, 16, v4
	v_lshrrev_b32_e32 v39, 16, v3
	;; [unrolled: 1-line block ×4, first 2 shown]
	v_cndmask_b32_e64 v4, 0, v4, s0
	v_cmp_gt_i32_e64 s0, s11, v30
	s_delay_alu instid0(VALU_DEP_1) | instskip(SKIP_1) | instid1(VALU_DEP_2)
	v_cndmask_b32_e64 v38, 0, v38, s0
	v_cmp_gt_i32_e64 s0, s9, v29
	v_perm_b32 v4, v38, v4, 0x5040100
	s_delay_alu instid0(VALU_DEP_2) | instskip(SKIP_1) | instid1(VALU_DEP_1)
	v_cndmask_b32_e64 v39, 0, v39, s0
	v_cmp_gt_i32_e64 s0, s8, v28
	v_cndmask_b32_e64 v3, 0, v3, s0
	v_cmp_gt_i32_e64 s0, s7, v27
	s_delay_alu instid0(VALU_DEP_2) | instskip(NEXT) | instid1(VALU_DEP_2)
	v_perm_b32 v3, v39, v3, 0x5040100
	v_cndmask_b32_e64 v40, 0, v40, s0
	v_cmp_gt_i32_e64 s0, s6, v26
	s_delay_alu instid0(VALU_DEP_1) | instskip(SKIP_1) | instid1(VALU_DEP_2)
	v_cndmask_b32_e64 v2, 0, v2, s0
	v_cmp_gt_i32_e64 s0, s5, v25
	v_perm_b32 v2, v40, v2, 0x5040100
	s_delay_alu instid0(VALU_DEP_2) | instskip(SKIP_1) | instid1(VALU_DEP_1)
	v_cndmask_b32_e64 v41, 0, v41, s0
	v_cmp_gt_i32_e64 s0, s30, v23
	v_cndmask_b32_e64 v1, 0, v1, s0
	s_delay_alu instid0(VALU_DEP_1)
	v_perm_b32 v1, v41, v1, 0x5040100
.LBB91_37:                              ;   in Loop: Header=BB91_33 Depth=1
	s_or_b32 exec_lo, exec_lo, s13
	s_waitcnt vmcnt(0)
	;;#ASMSTART
	v_pk_mul_f16 v1, v35, v1;

	;;#ASMEND
	;;#ASMSTART
	v_pk_mul_f16 v2, v34, v2;

	;;#ASMEND
	;; [unrolled: 4-line block ×4, first 2 shown]
	;;#ASMSTART
	v_pk_add_f16 v1, v1, v2;

	;;#ASMEND
	;;#ASMSTART
	v_pk_add_f16 v1, v1, v3;

	;;#ASMEND
	;; [unrolled: 4-line block ×3, first 2 shown]
	v_and_b32_e32 v2, 0xffff, v1
	v_lshrrev_b32_e32 v1, 16, v1
	;;#ASMSTART
	v_cvt_f32_f16 v38, v2;
	;;#ASMEND
	;;#ASMSTART
	v_cvt_f32_f16 v39, v1;
	;;#ASMEND
	global_load_b128 v[1:4], v[8:9], off offset:1024
	s_and_saveexec_b32 s13, vcc_lo
	s_cbranch_execz .LBB91_39
; %bb.38:                               ;   in Loop: Header=BB91_33 Depth=1
	v_cmp_gt_i32_e64 s0, s10, v31
	s_waitcnt vmcnt(0)
	v_lshrrev_b32_e32 v40, 16, v4
	v_lshrrev_b32_e32 v41, 16, v3
	;; [unrolled: 1-line block ×4, first 2 shown]
	v_cndmask_b32_e64 v4, 0, v4, s0
	v_cmp_gt_i32_e64 s0, s11, v30
	s_delay_alu instid0(VALU_DEP_1) | instskip(SKIP_1) | instid1(VALU_DEP_2)
	v_cndmask_b32_e64 v40, 0, v40, s0
	v_cmp_gt_i32_e64 s0, s9, v29
	v_perm_b32 v4, v40, v4, 0x5040100
	s_delay_alu instid0(VALU_DEP_2) | instskip(SKIP_1) | instid1(VALU_DEP_1)
	v_cndmask_b32_e64 v41, 0, v41, s0
	v_cmp_gt_i32_e64 s0, s8, v28
	v_cndmask_b32_e64 v3, 0, v3, s0
	v_cmp_gt_i32_e64 s0, s7, v27
	s_delay_alu instid0(VALU_DEP_2) | instskip(NEXT) | instid1(VALU_DEP_2)
	v_perm_b32 v3, v41, v3, 0x5040100
	v_cndmask_b32_e64 v42, 0, v42, s0
	v_cmp_gt_i32_e64 s0, s6, v26
	s_delay_alu instid0(VALU_DEP_1) | instskip(SKIP_1) | instid1(VALU_DEP_2)
	v_cndmask_b32_e64 v2, 0, v2, s0
	v_cmp_gt_i32_e64 s0, s5, v25
	v_perm_b32 v2, v42, v2, 0x5040100
	s_delay_alu instid0(VALU_DEP_2) | instskip(SKIP_1) | instid1(VALU_DEP_1)
	v_cndmask_b32_e64 v43, 0, v43, s0
	v_cmp_gt_i32_e64 s0, s30, v23
	v_cndmask_b32_e64 v1, 0, v1, s0
	s_delay_alu instid0(VALU_DEP_1)
	v_perm_b32 v1, v43, v1, 0x5040100
.LBB91_39:                              ;   in Loop: Header=BB91_33 Depth=1
	s_or_b32 exec_lo, exec_lo, s13
	s_waitcnt vmcnt(0)
	;;#ASMSTART
	v_pk_mul_f16 v1, v35, v1;

	;;#ASMEND
	;;#ASMSTART
	v_pk_mul_f16 v2, v34, v2;

	;;#ASMEND
	;; [unrolled: 4-line block ×4, first 2 shown]
	;;#ASMSTART
	v_pk_add_f16 v1, v1, v2;

	;;#ASMEND
	;;#ASMSTART
	v_pk_add_f16 v1, v1, v3;

	;;#ASMEND
	;; [unrolled: 4-line block ×3, first 2 shown]
	v_and_b32_e32 v2, 0xffff, v1
	v_lshrrev_b32_e32 v1, 16, v1
	;;#ASMSTART
	v_cvt_f32_f16 v40, v2;
	;;#ASMEND
	;;#ASMSTART
	v_cvt_f32_f16 v41, v1;
	;;#ASMEND
	global_load_b128 v[1:4], v[8:9], off offset:1536
	s_and_saveexec_b32 s13, vcc_lo
	s_cbranch_execz .LBB91_41
; %bb.40:                               ;   in Loop: Header=BB91_33 Depth=1
	v_cmp_gt_i32_e64 s0, s10, v31
	s_waitcnt vmcnt(0)
	v_lshrrev_b32_e32 v42, 16, v4
	v_lshrrev_b32_e32 v43, 16, v3
	;; [unrolled: 1-line block ×4, first 2 shown]
	v_cndmask_b32_e64 v4, 0, v4, s0
	v_cmp_gt_i32_e64 s0, s11, v30
	s_delay_alu instid0(VALU_DEP_1) | instskip(SKIP_1) | instid1(VALU_DEP_2)
	v_cndmask_b32_e64 v42, 0, v42, s0
	v_cmp_gt_i32_e64 s0, s9, v29
	v_perm_b32 v4, v42, v4, 0x5040100
	s_delay_alu instid0(VALU_DEP_2) | instskip(SKIP_1) | instid1(VALU_DEP_1)
	v_cndmask_b32_e64 v43, 0, v43, s0
	v_cmp_gt_i32_e64 s0, s8, v28
	v_cndmask_b32_e64 v3, 0, v3, s0
	v_cmp_gt_i32_e64 s0, s7, v27
	s_delay_alu instid0(VALU_DEP_2) | instskip(NEXT) | instid1(VALU_DEP_2)
	v_perm_b32 v3, v43, v3, 0x5040100
	v_cndmask_b32_e64 v44, 0, v44, s0
	v_cmp_gt_i32_e64 s0, s6, v26
	s_delay_alu instid0(VALU_DEP_1) | instskip(SKIP_1) | instid1(VALU_DEP_2)
	v_cndmask_b32_e64 v2, 0, v2, s0
	v_cmp_gt_i32_e64 s0, s5, v25
	v_perm_b32 v2, v44, v2, 0x5040100
	s_delay_alu instid0(VALU_DEP_2) | instskip(SKIP_1) | instid1(VALU_DEP_1)
	v_cndmask_b32_e64 v45, 0, v45, s0
	v_cmp_gt_i32_e64 s0, s30, v23
	v_cndmask_b32_e64 v1, 0, v1, s0
	s_delay_alu instid0(VALU_DEP_1)
	v_perm_b32 v1, v45, v1, 0x5040100
.LBB91_41:                              ;   in Loop: Header=BB91_33 Depth=1
	s_or_b32 exec_lo, exec_lo, s13
	s_waitcnt vmcnt(0)
	;;#ASMSTART
	v_pk_mul_f16 v1, v35, v1;

	;;#ASMEND
	;;#ASMSTART
	v_pk_mul_f16 v2, v34, v2;

	;;#ASMEND
	;;#ASMSTART
	v_pk_mul_f16 v3, v33, v3;

	;;#ASMEND
	;;#ASMSTART
	v_pk_mul_f16 v4, v32, v4;

	;;#ASMEND
	;;#ASMSTART
	v_pk_add_f16 v1, v1, v2;

	;;#ASMEND
	;;#ASMSTART
	v_pk_add_f16 v1, v1, v3;

	;;#ASMEND
	;; [unrolled: 4-line block ×3, first 2 shown]
	v_and_b32_e32 v2, 0xffff, v1
	v_lshrrev_b32_e32 v1, 16, v1
	;;#ASMSTART
	v_cvt_f32_f16 v42, v2;
	;;#ASMEND
	;;#ASMSTART
	v_cvt_f32_f16 v43, v1;
	;;#ASMEND
	global_load_b128 v[1:4], v[8:9], off offset:2048
	s_and_saveexec_b32 s13, vcc_lo
	s_cbranch_execz .LBB91_43
; %bb.42:                               ;   in Loop: Header=BB91_33 Depth=1
	v_cmp_gt_i32_e64 s0, s10, v31
	s_waitcnt vmcnt(0)
	v_lshrrev_b32_e32 v44, 16, v4
	v_lshrrev_b32_e32 v45, 16, v3
	;; [unrolled: 1-line block ×4, first 2 shown]
	v_cndmask_b32_e64 v4, 0, v4, s0
	v_cmp_gt_i32_e64 s0, s11, v30
	s_delay_alu instid0(VALU_DEP_1) | instskip(SKIP_1) | instid1(VALU_DEP_2)
	v_cndmask_b32_e64 v44, 0, v44, s0
	v_cmp_gt_i32_e64 s0, s9, v29
	v_perm_b32 v4, v44, v4, 0x5040100
	s_delay_alu instid0(VALU_DEP_2) | instskip(SKIP_1) | instid1(VALU_DEP_1)
	v_cndmask_b32_e64 v45, 0, v45, s0
	v_cmp_gt_i32_e64 s0, s8, v28
	v_cndmask_b32_e64 v3, 0, v3, s0
	v_cmp_gt_i32_e64 s0, s7, v27
	s_delay_alu instid0(VALU_DEP_2) | instskip(NEXT) | instid1(VALU_DEP_2)
	v_perm_b32 v3, v45, v3, 0x5040100
	v_cndmask_b32_e64 v46, 0, v46, s0
	v_cmp_gt_i32_e64 s0, s6, v26
	s_delay_alu instid0(VALU_DEP_1) | instskip(SKIP_1) | instid1(VALU_DEP_2)
	v_cndmask_b32_e64 v2, 0, v2, s0
	v_cmp_gt_i32_e64 s0, s5, v25
	v_perm_b32 v2, v46, v2, 0x5040100
	s_delay_alu instid0(VALU_DEP_2) | instskip(SKIP_1) | instid1(VALU_DEP_1)
	v_cndmask_b32_e64 v47, 0, v47, s0
	v_cmp_gt_i32_e64 s0, s30, v23
	v_cndmask_b32_e64 v1, 0, v1, s0
	s_delay_alu instid0(VALU_DEP_1)
	v_perm_b32 v1, v47, v1, 0x5040100
.LBB91_43:                              ;   in Loop: Header=BB91_33 Depth=1
	s_or_b32 exec_lo, exec_lo, s13
	s_waitcnt vmcnt(0)
	;;#ASMSTART
	v_pk_mul_f16 v1, v35, v1;

	;;#ASMEND
	;;#ASMSTART
	v_pk_mul_f16 v2, v34, v2;

	;;#ASMEND
	;; [unrolled: 4-line block ×4, first 2 shown]
	;;#ASMSTART
	v_pk_add_f16 v1, v1, v2;

	;;#ASMEND
	;;#ASMSTART
	v_pk_add_f16 v1, v1, v3;

	;;#ASMEND
	;; [unrolled: 4-line block ×3, first 2 shown]
	v_and_b32_e32 v2, 0xffff, v1
	v_lshrrev_b32_e32 v1, 16, v1
	;;#ASMSTART
	v_cvt_f32_f16 v44, v2;
	;;#ASMEND
	;;#ASMSTART
	v_cvt_f32_f16 v45, v1;
	;;#ASMEND
	global_load_b128 v[1:4], v[8:9], off offset:2560
	s_and_saveexec_b32 s13, vcc_lo
	s_cbranch_execz .LBB91_45
; %bb.44:                               ;   in Loop: Header=BB91_33 Depth=1
	v_cmp_gt_i32_e64 s0, s10, v31
	s_waitcnt vmcnt(0)
	v_lshrrev_b32_e32 v46, 16, v4
	v_lshrrev_b32_e32 v47, 16, v3
	;; [unrolled: 1-line block ×4, first 2 shown]
	v_cndmask_b32_e64 v4, 0, v4, s0
	v_cmp_gt_i32_e64 s0, s11, v30
	s_delay_alu instid0(VALU_DEP_1) | instskip(SKIP_1) | instid1(VALU_DEP_2)
	v_cndmask_b32_e64 v46, 0, v46, s0
	v_cmp_gt_i32_e64 s0, s9, v29
	v_perm_b32 v4, v46, v4, 0x5040100
	s_delay_alu instid0(VALU_DEP_2) | instskip(SKIP_1) | instid1(VALU_DEP_1)
	v_cndmask_b32_e64 v47, 0, v47, s0
	v_cmp_gt_i32_e64 s0, s8, v28
	v_cndmask_b32_e64 v3, 0, v3, s0
	v_cmp_gt_i32_e64 s0, s7, v27
	s_delay_alu instid0(VALU_DEP_2) | instskip(NEXT) | instid1(VALU_DEP_2)
	v_perm_b32 v3, v47, v3, 0x5040100
	v_cndmask_b32_e64 v48, 0, v48, s0
	v_cmp_gt_i32_e64 s0, s6, v26
	s_delay_alu instid0(VALU_DEP_1) | instskip(SKIP_1) | instid1(VALU_DEP_2)
	v_cndmask_b32_e64 v2, 0, v2, s0
	v_cmp_gt_i32_e64 s0, s5, v25
	v_perm_b32 v2, v48, v2, 0x5040100
	s_delay_alu instid0(VALU_DEP_2) | instskip(SKIP_1) | instid1(VALU_DEP_1)
	v_cndmask_b32_e64 v49, 0, v49, s0
	v_cmp_gt_i32_e64 s0, s30, v23
	v_cndmask_b32_e64 v1, 0, v1, s0
	s_delay_alu instid0(VALU_DEP_1)
	v_perm_b32 v1, v49, v1, 0x5040100
.LBB91_45:                              ;   in Loop: Header=BB91_33 Depth=1
	s_or_b32 exec_lo, exec_lo, s13
	s_waitcnt vmcnt(0)
	;;#ASMSTART
	v_pk_mul_f16 v1, v35, v1;

	;;#ASMEND
	;;#ASMSTART
	v_pk_mul_f16 v2, v34, v2;

	;;#ASMEND
	;; [unrolled: 4-line block ×4, first 2 shown]
	;;#ASMSTART
	v_pk_add_f16 v1, v1, v2;

	;;#ASMEND
	;;#ASMSTART
	v_pk_add_f16 v1, v1, v3;

	;;#ASMEND
	;; [unrolled: 4-line block ×3, first 2 shown]
	v_and_b32_e32 v2, 0xffff, v1
	v_lshrrev_b32_e32 v1, 16, v1
	;;#ASMSTART
	v_cvt_f32_f16 v46, v2;
	;;#ASMEND
	;;#ASMSTART
	v_cvt_f32_f16 v47, v1;
	;;#ASMEND
	global_load_b128 v[1:4], v[8:9], off offset:3072
	s_and_saveexec_b32 s13, vcc_lo
	s_cbranch_execz .LBB91_47
; %bb.46:                               ;   in Loop: Header=BB91_33 Depth=1
	v_cmp_gt_i32_e64 s0, s10, v31
	s_waitcnt vmcnt(0)
	v_lshrrev_b32_e32 v48, 16, v4
	v_lshrrev_b32_e32 v49, 16, v3
	;; [unrolled: 1-line block ×4, first 2 shown]
	v_cndmask_b32_e64 v4, 0, v4, s0
	v_cmp_gt_i32_e64 s0, s11, v30
	s_delay_alu instid0(VALU_DEP_1) | instskip(SKIP_1) | instid1(VALU_DEP_2)
	v_cndmask_b32_e64 v48, 0, v48, s0
	v_cmp_gt_i32_e64 s0, s9, v29
	v_perm_b32 v4, v48, v4, 0x5040100
	s_delay_alu instid0(VALU_DEP_2) | instskip(SKIP_1) | instid1(VALU_DEP_1)
	v_cndmask_b32_e64 v49, 0, v49, s0
	v_cmp_gt_i32_e64 s0, s8, v28
	v_cndmask_b32_e64 v3, 0, v3, s0
	v_cmp_gt_i32_e64 s0, s7, v27
	s_delay_alu instid0(VALU_DEP_2) | instskip(NEXT) | instid1(VALU_DEP_2)
	v_perm_b32 v3, v49, v3, 0x5040100
	v_cndmask_b32_e64 v50, 0, v50, s0
	v_cmp_gt_i32_e64 s0, s6, v26
	s_delay_alu instid0(VALU_DEP_1) | instskip(SKIP_1) | instid1(VALU_DEP_2)
	v_cndmask_b32_e64 v2, 0, v2, s0
	v_cmp_gt_i32_e64 s0, s5, v25
	v_perm_b32 v2, v50, v2, 0x5040100
	s_delay_alu instid0(VALU_DEP_2) | instskip(SKIP_1) | instid1(VALU_DEP_1)
	v_cndmask_b32_e64 v51, 0, v51, s0
	v_cmp_gt_i32_e64 s0, s30, v23
	v_cndmask_b32_e64 v1, 0, v1, s0
	s_delay_alu instid0(VALU_DEP_1)
	v_perm_b32 v1, v51, v1, 0x5040100
.LBB91_47:                              ;   in Loop: Header=BB91_33 Depth=1
	s_or_b32 exec_lo, exec_lo, s13
	s_waitcnt vmcnt(0)
	;;#ASMSTART
	v_pk_mul_f16 v1, v35, v1;

	;;#ASMEND
	;;#ASMSTART
	v_pk_mul_f16 v2, v34, v2;

	;;#ASMEND
	;; [unrolled: 4-line block ×4, first 2 shown]
	;;#ASMSTART
	v_pk_add_f16 v1, v1, v2;

	;;#ASMEND
	;;#ASMSTART
	v_pk_add_f16 v1, v1, v3;

	;;#ASMEND
	;;#ASMSTART
	v_pk_add_f16 v1, v1, v4;

	;;#ASMEND
	v_and_b32_e32 v2, 0xffff, v1
	v_lshrrev_b32_e32 v1, 16, v1
	;;#ASMSTART
	v_cvt_f32_f16 v48, v2;
	;;#ASMEND
	;;#ASMSTART
	v_cvt_f32_f16 v49, v1;
	;;#ASMEND
	global_load_b128 v[1:4], v[8:9], off offset:3584
	s_and_saveexec_b32 s0, vcc_lo
	s_cbranch_execz .LBB91_32
; %bb.48:                               ;   in Loop: Header=BB91_33 Depth=1
	v_cmp_gt_i32_e32 vcc_lo, s10, v31
	s_waitcnt vmcnt(0)
	v_lshrrev_b32_e32 v8, 16, v4
	v_lshrrev_b32_e32 v9, 16, v3
	v_cndmask_b32_e32 v4, 0, v4, vcc_lo
	v_cmp_gt_i32_e32 vcc_lo, s11, v30
	s_delay_alu instid0(VALU_DEP_4)
	v_cndmask_b32_e32 v8, 0, v8, vcc_lo
	v_cmp_gt_i32_e32 vcc_lo, s9, v29
	v_lshrrev_b32_e32 v29, 16, v2
	v_cndmask_b32_e32 v9, 0, v9, vcc_lo
	v_cmp_gt_i32_e32 vcc_lo, s8, v28
	v_lshrrev_b32_e32 v28, 16, v1
	v_cndmask_b32_e32 v3, 0, v3, vcc_lo
	v_cmp_gt_i32_e32 vcc_lo, s7, v27
	v_perm_b32 v4, v8, v4, 0x5040100
	s_delay_alu instid0(VALU_DEP_3) | instskip(SKIP_4) | instid1(VALU_DEP_2)
	v_perm_b32 v3, v9, v3, 0x5040100
	v_cndmask_b32_e32 v27, 0, v29, vcc_lo
	v_cmp_gt_i32_e32 vcc_lo, s6, v26
	v_cndmask_b32_e32 v2, 0, v2, vcc_lo
	v_cmp_gt_i32_e32 vcc_lo, s5, v25
	v_perm_b32 v2, v27, v2, 0x5040100
	v_cndmask_b32_e32 v25, 0, v28, vcc_lo
	v_cmp_gt_i32_e32 vcc_lo, s30, v23
	v_cndmask_b32_e32 v1, 0, v1, vcc_lo
	s_delay_alu instid0(VALU_DEP_1)
	v_perm_b32 v1, v25, v1, 0x5040100
	s_branch .LBB91_32
.LBB91_49:
	s_or_b32 exec_lo, exec_lo, s3
.LBB91_50:
	s_delay_alu instid0(SALU_CYCLE_1)
	s_or_b32 exec_lo, exec_lo, s1
	v_and_b32_e32 v2, 0x3c0, v0
	v_lshl_add_u32 v1, v11, 10, 0x220
	s_mov_b32 s0, exec_lo
	s_waitcnt_vscnt null, 0x0
	s_barrier
	buffer_gl0_inv
	v_cmpx_eq_u32_e32 64, v2
	s_cbranch_execz .LBB91_52
; %bb.51:
	v_add_nc_u32_e32 v2, 0xfffff800, v1
	v_or_b32_e32 v3, 0x180, v10
	v_or_b32_e32 v4, 0x380, v10
	s_delay_alu instid0(VALU_DEP_3) | instskip(NEXT) | instid1(VALU_DEP_3)
	v_lshl_add_u32 v5, v12, 2, v2
	v_add_nc_u32_e32 v3, v2, v3
	s_delay_alu instid0(VALU_DEP_3)
	v_add_nc_u32_e32 v2, v2, v4
	ds_store_2addr_b32 v5, v18, v20 offset1:32
	ds_store_b32 v3, v17
	ds_store_2addr_stride64_b32 v5, v19, v16 offset0:1 offset1:2
	ds_store_2addr_b32 v5, v15, v14 offset0:160 offset1:192
	ds_store_b32 v2, v13
.LBB91_52:
	s_or_b32 exec_lo, exec_lo, s0
	v_lshl_add_u32 v2, v12, 2, v1
	s_mov_b32 s0, exec_lo
	s_waitcnt lgkmcnt(0)
	s_barrier
	buffer_gl0_inv
	v_cmpx_gt_u32_e32 64, v0
	s_cbranch_execz .LBB91_54
; %bb.53:
	v_or_b32_e32 v3, 0x80, v10
	v_or_b32_e32 v4, 0x180, v10
	;; [unrolled: 1-line block ×4, first 2 shown]
	s_delay_alu instid0(VALU_DEP_4) | instskip(NEXT) | instid1(VALU_DEP_4)
	v_add_nc_u32_e32 v7, v1, v3
	v_add_nc_u32_e32 v8, v1, v4
	ds_load_2addr_stride64_b32 v[3:4], v2 offset1:1
	v_add_nc_u32_e32 v9, v1, v5
	s_waitcnt lgkmcnt(0)
	v_dual_add_f32 v18, v18, v3 :: v_dual_add_nc_u32 v11, v1, v6
	ds_load_2addr_stride64_b32 v[5:6], v2 offset0:2 offset1:3
	ds_load_b32 v7, v7
	ds_load_b32 v8, v8
	;; [unrolled: 1-line block ×4, first 2 shown]
	s_waitcnt lgkmcnt(4)
	v_dual_add_f32 v19, v19, v4 :: v_dual_add_f32 v14, v14, v6
	v_add_f32_e32 v16, v16, v5
	s_waitcnt lgkmcnt(2)
	v_dual_add_f32 v20, v20, v7 :: v_dual_add_f32 v17, v17, v8
	s_waitcnt lgkmcnt(1)
	v_add_f32_e32 v15, v15, v9
	s_waitcnt lgkmcnt(0)
	v_add_f32_e32 v13, v13, v11
.LBB91_54:
	s_or_b32 exec_lo, exec_lo, s0
	v_and_b32_e32 v3, 0x3e0, v0
	s_mov_b32 s0, exec_lo
	s_barrier
	buffer_gl0_inv
	v_cmpx_eq_u32_e32 32, v3
	s_cbranch_execz .LBB91_56
; %bb.55:
	v_or_b32_e32 v3, 0x180, v10
	v_or_b32_e32 v4, 0x280, v10
	v_lshl_add_u32 v5, v12, 2, 0x220
	v_or_b32_e32 v7, 0x380, v10
	v_add_nc_u32_e32 v6, 0x220, v10
	v_add_nc_u32_e32 v3, 0x220, v3
	;; [unrolled: 1-line block ×3, first 2 shown]
	ds_store_b32 v5, v18
	ds_store_b32 v6, v20
	v_add_nc_u32_e32 v6, 0x220, v7
	ds_store_b32 v3, v17
	ds_store_b32 v4, v15
	ds_store_2addr_stride64_b32 v5, v19, v16 offset0:1 offset1:2
	ds_store_b32 v5, v14 offset:768
	ds_store_b32 v6, v13
.LBB91_56:
	s_or_b32 exec_lo, exec_lo, s0
	v_cmp_gt_u32_e32 vcc_lo, 32, v0
	s_waitcnt lgkmcnt(0)
	s_barrier
	buffer_gl0_inv
	s_and_saveexec_b32 s0, vcc_lo
	s_cbranch_execz .LBB91_58
; %bb.57:
	v_lshl_add_u32 v7, v0, 2, v1
	ds_load_b32 v8, v2
	ds_load_2addr_b32 v[1:2], v7 offset0:32 offset1:64
	ds_load_2addr_b32 v[3:4], v7 offset0:96 offset1:128
	;; [unrolled: 1-line block ×3, first 2 shown]
	ds_load_b32 v7, v7 offset:896
	s_waitcnt lgkmcnt(3)
	v_dual_add_f32 v18, v18, v8 :: v_dual_add_f32 v19, v19, v2
	s_waitcnt lgkmcnt(2)
	v_dual_add_f32 v20, v20, v1 :: v_dual_add_f32 v17, v17, v3
	;; [unrolled: 2-line block ×4, first 2 shown]
.LBB91_58:
	s_or_b32 exec_lo, exec_lo, s0
	s_barrier
	buffer_gl0_inv
	s_and_saveexec_b32 s0, vcc_lo
	s_cbranch_execz .LBB91_60
; %bb.59:
	s_lshl_b32 s0, s14, 8
	s_mul_i32 s2, s4, s16
	s_ashr_i32 s1, s0, 31
	v_lshlrev_b32_e32 v0, 1, v0
	s_lshl_b64 s[0:1], s[0:1], 1
	;;#ASMSTART
	v_cvt_f16_f32 v1, v18;

	;;#ASMEND
	s_add_u32 s4, s18, s0
	s_addc_u32 s5, s19, s1
	s_ashr_i32 s3, s2, 31
	s_delay_alu instid0(SALU_CYCLE_1) | instskip(NEXT) | instid1(SALU_CYCLE_1)
	s_lshl_b64 s[0:1], s[2:3], 1
	s_add_u32 s2, s4, s0
	s_addc_u32 s3, s5, s1
	s_lshl_b32 s0, s12, 8
	s_delay_alu instid0(SALU_CYCLE_1) | instskip(NEXT) | instid1(SALU_CYCLE_1)
	s_ashr_i32 s1, s0, 31
	s_lshl_b64 s[0:1], s[0:1], 1
	s_delay_alu instid0(SALU_CYCLE_1)
	s_add_u32 s0, s2, s0
	s_addc_u32 s1, s3, s1
	global_store_b16 v0, v1, s[0:1]
	;;#ASMSTART
	v_cvt_f16_f32 v1, v20;

	;;#ASMEND
	global_store_b16 v0, v1, s[0:1] offset:64
	;;#ASMSTART
	v_cvt_f16_f32 v1, v19;

	;;#ASMEND
	global_store_b16 v0, v1, s[0:1] offset:128
	;;#ASMSTART
	v_cvt_f16_f32 v1, v17;

	;;#ASMEND
	global_store_b16 v0, v1, s[0:1] offset:192
	;;#ASMSTART
	v_cvt_f16_f32 v1, v16;

	;;#ASMEND
	global_store_b16 v0, v1, s[0:1] offset:256
	;;#ASMSTART
	v_cvt_f16_f32 v1, v15;

	;;#ASMEND
	global_store_b16 v0, v1, s[0:1] offset:320
	;;#ASMSTART
	v_cvt_f16_f32 v1, v14;

	;;#ASMEND
	global_store_b16 v0, v1, s[0:1] offset:384
	;;#ASMSTART
	v_cvt_f16_f32 v1, v13;

	;;#ASMEND
	global_store_b16 v0, v1, s[0:1] offset:448
.LBB91_60:
	s_nop 0
	s_sendmsg sendmsg(MSG_DEALLOC_VGPRS)
	s_endpgm
	.section	.rodata,"a",@progbits
	.p2align	6, 0x0
	.amdhsa_kernel _ZN4vllm25paged_attention_v2_kernelIttLi256ELi8ELi128ELNS_18Fp8KVCacheDataTypeE0ELb0ELi512EEEvPfS2_PT_PKS3_PKT0_S9_ifPKiSB_iPKfiiiSD_SD_iiiii
		.amdhsa_group_segment_fixed_size 544
		.amdhsa_private_segment_fixed_size 0
		.amdhsa_kernarg_size 400
		.amdhsa_user_sgpr_count 13
		.amdhsa_user_sgpr_dispatch_ptr 0
		.amdhsa_user_sgpr_queue_ptr 0
		.amdhsa_user_sgpr_kernarg_segment_ptr 1
		.amdhsa_user_sgpr_dispatch_id 0
		.amdhsa_user_sgpr_private_segment_size 0
		.amdhsa_wavefront_size32 1
		.amdhsa_uses_dynamic_stack 0
		.amdhsa_enable_private_segment 0
		.amdhsa_system_sgpr_workgroup_id_x 1
		.amdhsa_system_sgpr_workgroup_id_y 1
		.amdhsa_system_sgpr_workgroup_id_z 1
		.amdhsa_system_sgpr_workgroup_info 0
		.amdhsa_system_vgpr_workitem_id 0
		.amdhsa_next_free_vgpr 103
		.amdhsa_next_free_sgpr 38
		.amdhsa_reserve_vcc 1
		.amdhsa_float_round_mode_32 0
		.amdhsa_float_round_mode_16_64 0
		.amdhsa_float_denorm_mode_32 3
		.amdhsa_float_denorm_mode_16_64 3
		.amdhsa_dx10_clamp 1
		.amdhsa_ieee_mode 1
		.amdhsa_fp16_overflow 0
		.amdhsa_workgroup_processor_mode 1
		.amdhsa_memory_ordered 1
		.amdhsa_forward_progress 0
		.amdhsa_shared_vgpr_count 0
		.amdhsa_exception_fp_ieee_invalid_op 0
		.amdhsa_exception_fp_denorm_src 0
		.amdhsa_exception_fp_ieee_div_zero 0
		.amdhsa_exception_fp_ieee_overflow 0
		.amdhsa_exception_fp_ieee_underflow 0
		.amdhsa_exception_fp_ieee_inexact 0
		.amdhsa_exception_int_div_zero 0
	.end_amdhsa_kernel
	.section	.text._ZN4vllm25paged_attention_v2_kernelIttLi256ELi8ELi128ELNS_18Fp8KVCacheDataTypeE0ELb0ELi512EEEvPfS2_PT_PKS3_PKT0_S9_ifPKiSB_iPKfiiiSD_SD_iiiii,"axG",@progbits,_ZN4vllm25paged_attention_v2_kernelIttLi256ELi8ELi128ELNS_18Fp8KVCacheDataTypeE0ELb0ELi512EEEvPfS2_PT_PKS3_PKT0_S9_ifPKiSB_iPKfiiiSD_SD_iiiii,comdat
.Lfunc_end91:
	.size	_ZN4vllm25paged_attention_v2_kernelIttLi256ELi8ELi128ELNS_18Fp8KVCacheDataTypeE0ELb0ELi512EEEvPfS2_PT_PKS3_PKT0_S9_ifPKiSB_iPKfiiiSD_SD_iiiii, .Lfunc_end91-_ZN4vllm25paged_attention_v2_kernelIttLi256ELi8ELi128ELNS_18Fp8KVCacheDataTypeE0ELb0ELi512EEEvPfS2_PT_PKS3_PKT0_S9_ifPKiSB_iPKfiiiSD_SD_iiiii
                                        ; -- End function
	.section	.AMDGPU.csdata,"",@progbits
; Kernel info:
; codeLenInByte = 11656
; NumSgprs: 40
; NumVgprs: 103
; ScratchSize: 0
; MemoryBound: 0
; FloatMode: 240
; IeeeMode: 1
; LDSByteSize: 544 bytes/workgroup (compile time only)
; SGPRBlocks: 4
; VGPRBlocks: 12
; NumSGPRsForWavesPerEU: 40
; NumVGPRsForWavesPerEU: 103
; Occupancy: 12
; WaveLimiterHint : 1
; COMPUTE_PGM_RSRC2:SCRATCH_EN: 0
; COMPUTE_PGM_RSRC2:USER_SGPR: 13
; COMPUTE_PGM_RSRC2:TRAP_HANDLER: 0
; COMPUTE_PGM_RSRC2:TGID_X_EN: 1
; COMPUTE_PGM_RSRC2:TGID_Y_EN: 1
; COMPUTE_PGM_RSRC2:TGID_Z_EN: 1
; COMPUTE_PGM_RSRC2:TIDIG_COMP_CNT: 0
	.section	.text._ZN4vllm25paged_attention_v2_kernelIttLi32ELi16ELi128ELNS_18Fp8KVCacheDataTypeE0ELb1ELi512EEEvPfS2_PT_PKS3_PKT0_S9_ifPKiSB_iPKfiiiSD_SD_iiiii,"axG",@progbits,_ZN4vllm25paged_attention_v2_kernelIttLi32ELi16ELi128ELNS_18Fp8KVCacheDataTypeE0ELb1ELi512EEEvPfS2_PT_PKS3_PKT0_S9_ifPKiSB_iPKfiiiSD_SD_iiiii,comdat
	.protected	_ZN4vllm25paged_attention_v2_kernelIttLi32ELi16ELi128ELNS_18Fp8KVCacheDataTypeE0ELb1ELi512EEEvPfS2_PT_PKS3_PKT0_S9_ifPKiSB_iPKfiiiSD_SD_iiiii ; -- Begin function _ZN4vllm25paged_attention_v2_kernelIttLi32ELi16ELi128ELNS_18Fp8KVCacheDataTypeE0ELb1ELi512EEEvPfS2_PT_PKS3_PKT0_S9_ifPKiSB_iPKfiiiSD_SD_iiiii
	.globl	_ZN4vllm25paged_attention_v2_kernelIttLi32ELi16ELi128ELNS_18Fp8KVCacheDataTypeE0ELb1ELi512EEEvPfS2_PT_PKS3_PKT0_S9_ifPKiSB_iPKfiiiSD_SD_iiiii
	.p2align	8
	.type	_ZN4vllm25paged_attention_v2_kernelIttLi32ELi16ELi128ELNS_18Fp8KVCacheDataTypeE0ELb1ELi512EEEvPfS2_PT_PKS3_PKT0_S9_ifPKiSB_iPKfiiiSD_SD_iiiii,@function
_ZN4vllm25paged_attention_v2_kernelIttLi32ELi16ELi128ELNS_18Fp8KVCacheDataTypeE0ELb1ELi512EEEvPfS2_PT_PKS3_PKT0_S9_ifPKiSB_iPKfiiiSD_SD_iiiii: ; @_ZN4vllm25paged_attention_v2_kernelIttLi32ELi16ELi128ELNS_18Fp8KVCacheDataTypeE0ELb1ELi512EEEvPfS2_PT_PKS3_PKT0_S9_ifPKiSB_iPKfiiiSD_SD_iiiii
; %bb.0:
	s_load_b64 s[2:3], s[0:1], 0x40
	s_mov_b32 s22, s15
	s_ashr_i32 s15, s14, 31
	s_delay_alu instid0(SALU_CYCLE_1)
	s_lshl_b64 s[4:5], s[14:15], 2
	s_waitcnt lgkmcnt(0)
	s_add_u32 s2, s2, s4
	s_addc_u32 s3, s3, s5
	s_lshl_b32 s23, s22, 9
	s_load_b32 s33, s[2:3], 0x0
	s_waitcnt lgkmcnt(0)
	s_cmp_ge_i32 s23, s33
	s_cbranch_scc1 .LBB92_64
; %bb.1:
	s_clause 0x1
	s_load_b32 s15, s[0:1], 0x90
	s_load_b64 s[34:35], s[0:1], 0x30
	s_mov_b32 s24, s13
	s_mov_b32 s39, 0
	s_waitcnt lgkmcnt(0)
	s_abs_i32 s5, s15
	s_abs_i32 s2, s34
	s_delay_alu instid0(SALU_CYCLE_1) | instskip(SKIP_1) | instid1(VALU_DEP_1)
	v_cvt_f32_u32_e32 v1, s2
	s_sub_i32 s4, 0, s2
	v_rcp_iflag_f32_e32 v1, v1
	s_waitcnt_depctr 0xfff
	v_mul_f32_e32 v1, 0x4f7ffffe, v1
	s_delay_alu instid0(VALU_DEP_1) | instskip(NEXT) | instid1(VALU_DEP_1)
	v_cvt_u32_f32_e32 v1, v1
	v_readfirstlane_b32 s3, v1
	s_delay_alu instid0(VALU_DEP_1) | instskip(NEXT) | instid1(SALU_CYCLE_1)
	s_mul_i32 s4, s4, s3
	s_mul_hi_u32 s4, s3, s4
	s_delay_alu instid0(SALU_CYCLE_1) | instskip(SKIP_4) | instid1(SALU_CYCLE_1)
	s_add_i32 s3, s3, s4
	s_xor_b32 s4, s15, s34
	s_mul_hi_u32 s3, s5, s3
	s_ashr_i32 s4, s4, 31
	s_mul_i32 s6, s3, s2
	s_sub_i32 s5, s5, s6
	s_add_i32 s6, s3, 1
	s_sub_i32 s7, s5, s2
	s_cmp_ge_u32 s5, s2
	s_cselect_b32 s3, s6, s3
	s_cselect_b32 s5, s7, s5
	s_add_i32 s6, s3, 1
	s_cmp_ge_u32 s5, s2
	s_cselect_b32 s2, s6, s3
	s_abs_i32 s17, s13
	s_xor_b32 s2, s2, s4
	s_delay_alu instid0(SALU_CYCLE_1) | instskip(SKIP_2) | instid1(SALU_CYCLE_1)
	s_sub_i32 s8, s2, s4
	s_load_b64 s[2:3], s[0:1], 0x50
	s_abs_i32 s16, s8
	v_cvt_f32_u32_e32 v1, s16
	s_sub_i32 s5, 0, s16
	s_delay_alu instid0(VALU_DEP_1) | instskip(SKIP_2) | instid1(VALU_DEP_1)
	v_rcp_iflag_f32_e32 v1, v1
	s_waitcnt_depctr 0xfff
	v_mul_f32_e32 v1, 0x4f7ffffe, v1
	v_cvt_u32_f32_e32 v1, v1
	s_delay_alu instid0(VALU_DEP_1) | instskip(NEXT) | instid1(VALU_DEP_1)
	v_readfirstlane_b32 s4, v1
	s_mul_i32 s5, s5, s4
	s_delay_alu instid0(SALU_CYCLE_1) | instskip(NEXT) | instid1(SALU_CYCLE_1)
	s_mul_hi_u32 s5, s4, s5
	s_add_i32 s4, s4, s5
	s_waitcnt lgkmcnt(0)
	s_cmp_eq_u64 s[2:3], 0
	s_mul_hi_u32 s18, s17, s4
	s_cbranch_scc1 .LBB92_3
; %bb.2:
	s_ashr_i32 s25, s24, 31
	s_delay_alu instid0(SALU_CYCLE_1) | instskip(NEXT) | instid1(SALU_CYCLE_1)
	s_lshl_b64 s[4:5], s[24:25], 2
	s_add_u32 s2, s2, s4
	s_addc_u32 s3, s3, s5
	s_load_b32 s39, s[2:3], 0x0
.LBB92_3:
	s_load_b128 s[4:7], s[0:1], 0x58
	v_lshrrev_b32_e32 v13, 1, v0
	v_and_b32_e32 v14, 1, v0
	v_lshlrev_b32_e32 v3, 3, v0
	s_ashr_i32 s2, s24, 31
	s_ashr_i32 s3, s8, 31
	s_lshl_b32 s12, s24, 5
	s_waitcnt lgkmcnt(0)
	s_mov_b32 s7, exec_lo
	v_cmpx_gt_u32_e32 8, v0
	s_cbranch_execz .LBB92_5
; %bb.4:
	s_load_b64 s[8:9], s[0:1], 0x18
	s_mul_i32 s10, s14, s4
	v_lshlrev_b32_e32 v4, 3, v13
	s_ashr_i32 s11, s10, 31
	s_delay_alu instid0(SALU_CYCLE_1) | instskip(NEXT) | instid1(VALU_DEP_1)
	s_lshl_b64 s[10:11], s[10:11], 1
	v_lshl_add_u32 v4, v14, 5, v4
	s_waitcnt lgkmcnt(0)
	s_add_u32 s4, s8, s10
	s_addc_u32 s10, s9, s11
	s_ashr_i32 s13, s12, 31
	s_delay_alu instid0(SALU_CYCLE_1) | instskip(NEXT) | instid1(SALU_CYCLE_1)
	s_lshl_b64 s[8:9], s[12:13], 1
	s_add_u32 s8, s4, s8
	s_addc_u32 s9, s10, s9
	global_load_b64 v[1:2], v3, s[8:9]
	s_waitcnt vmcnt(0)
	ds_store_b64 v4, v[1:2]
.LBB92_5:
	s_or_b32 exec_lo, exec_lo, s7
	s_load_b128 s[8:11], s[0:1], 0x78
	s_mul_i32 s4, s18, s16
	s_xor_b32 s2, s2, s3
	s_sub_i32 s3, s17, s4
	s_add_i32 s4, s18, 1
	s_sub_i32 s7, s3, s16
	s_cmp_ge_u32 s3, s16
	s_mov_b32 s17, -1
	s_cselect_b32 s4, s4, s18
	s_cselect_b32 s3, s7, s3
	s_add_i32 s7, s4, 1
	s_cmp_ge_u32 s3, s16
	s_waitcnt lgkmcnt(0)
	s_cselect_b32 s3, s7, s4
	s_load_b32 s7, s[0:1], 0x88
	s_xor_b32 s3, s3, s2
	s_add_i32 s16, s33, -1
	s_sub_i32 s3, s3, s2
	s_abs_i32 s4, s16
	s_waitcnt lgkmcnt(0)
	s_barrier
	s_abs_i32 s13, s11
	buffer_gl0_inv
	v_cvt_f32_u32_e32 v1, s13
	s_sub_i32 s2, 0, s13
                                        ; implicit-def: $sgpr36
	s_delay_alu instid0(VALU_DEP_1) | instskip(SKIP_2) | instid1(VALU_DEP_1)
	v_rcp_iflag_f32_e32 v1, v1
	s_waitcnt_depctr 0xfff
	v_mul_f32_e32 v1, 0x4f7ffffe, v1
	v_cvt_u32_f32_e32 v1, v1
	s_delay_alu instid0(VALU_DEP_1) | instskip(NEXT) | instid1(VALU_DEP_1)
	v_readfirstlane_b32 s25, v1
	s_mul_i32 s2, s2, s25
	s_delay_alu instid0(SALU_CYCLE_1) | instskip(NEXT) | instid1(SALU_CYCLE_1)
	s_mul_hi_u32 s2, s25, s2
	s_add_i32 s25, s25, s2
	s_cmp_lt_i32 s7, 0
	s_mul_hi_u32 s2, s4, s25
	s_cbranch_scc0 .LBB92_7
; %bb.6:
	s_mul_i32 s17, s8, s34
	s_delay_alu instid0(SALU_CYCLE_1) | instskip(NEXT) | instid1(SALU_CYCLE_1)
	s_add_i32 s17, s3, s17
	s_mul_i32 s17, s17, s7
	s_delay_alu instid0(SALU_CYCLE_1)
	s_sub_i32 s36, 1, s17
	s_mov_b32 s17, 0
.LBB92_7:
	s_load_b64 s[26:27], s[0:1], 0x38
	s_ashr_i32 s28, s16, 31
	s_and_not1_b32 vcc_lo, exec_lo, s17
	s_ashr_i32 s11, s11, 31
	s_cbranch_vccnz .LBB92_9
; %bb.8:
	s_mul_i32 s8, s15, s8
	s_delay_alu instid0(SALU_CYCLE_1) | instskip(NEXT) | instid1(SALU_CYCLE_1)
	s_add_i32 s8, s8, s24
	s_mul_i32 s7, s8, s7
	s_delay_alu instid0(SALU_CYCLE_1)
	s_add_i32 s36, s7, 1
.LBB92_9:
	s_clause 0x4
	s_load_b32 s7, s[0:1], 0x48
	s_load_b64 s[30:31], s[0:1], 0x28
	s_load_b32 s8, s[0:1], 0x98
	s_load_b128 s[16:19], s[0:1], 0x0
	s_load_b64 s[20:21], s[0:1], 0x10
	s_xor_b32 s38, s28, s11
	s_mul_i32 s28, s2, s13
	s_add_i32 s34, s2, 1
	s_sub_i32 s4, s4, s28
	v_lshrrev_b32_e32 v15, 5, v0
	v_mov_b32_e32 v7, 0xff7fffff
	v_mbcnt_lo_u32_b32 v4, -1, 0
	s_mul_i32 s6, s3, s6
	s_delay_alu instid0(VALU_DEP_3)
	v_lshl_add_u32 v16, v15, 4, s23
	s_waitcnt lgkmcnt(0)
	s_mul_i32 s28, s14, s7
	s_sub_i32 s7, s4, s13
	s_ashr_i32 s29, s28, 31
	s_cmp_ge_u32 s4, s13
	s_cselect_b32 s2, s34, s2
	s_cselect_b32 s4, s7, s4
	s_add_i32 s7, s2, 1
	s_cmp_ge_u32 s4, s13
	s_cselect_b32 s2, s7, s2
	s_add_i32 s7, s33, 15
	s_lshl_b32 s4, s22, 5
	s_ashr_i32 s34, s7, 31
	v_or_b32_e32 v5, s4, v15
	s_lshr_b32 s34, s34, 28
	s_delay_alu instid0(SALU_CYCLE_1)
	s_add_i32 s7, s7, s34
	s_add_i32 s34, s4, 32
	s_ashr_i32 s37, s7, 4
	s_xor_b32 s7, s2, s38
	s_min_i32 s34, s34, s37
	v_ashrrev_i32_e32 v6, 31, v5
	v_cmp_gt_i32_e64 s2, s34, v5
	s_sub_i32 s38, s7, s38
	s_delay_alu instid0(VALU_DEP_1)
	s_and_saveexec_b32 s40, s2
	s_cbranch_execz .LBB92_19
; %bb.10:
	s_load_b64 s[0:1], s[0:1], 0x20
	s_ashr_i32 s7, s6, 31
	v_bfe_u32 v8, v0, 1, 4
	s_lshl_b64 s[42:43], s[6:7], 1
	s_sub_i32 s7, s38, s9
	v_and_b32_e32 v19, 8, v3
	v_cmp_eq_u32_e32 vcc_lo, 0, v14
	v_lshlrev_b32_e32 v17, 2, v8
	v_subrev_nc_u32_e32 v20, s33, v8
	v_lshlrev_b32_e32 v23, 4, v8
	v_lshl_add_u32 v10, v15, 4, s23
	v_mov_b32_e32 v11, 0xff7fffff
	v_lshl_or_b32 v21, v15, 6, v17
	v_add_nc_u32_e32 v17, 1, v20
	v_xor_b32_e32 v12, 1, v4
	s_waitcnt lgkmcnt(0)
	s_add_u32 s3, s0, s42
	s_addc_u32 s1, s1, s43
	s_abs_i32 s41, s10
	v_cmp_neq_f32_e64 s0, s39, 0
	v_cvt_f32_u32_e32 v1, s41
	s_sub_i32 s42, 0, s41
	s_delay_alu instid0(VALU_DEP_1)
	v_rcp_iflag_f32_e32 v7, v1
	v_lshlrev_b32_e32 v9, 5, v14
	v_lshlrev_b64 v[1:2], 2, v[5:6]
	s_waitcnt_depctr 0xfff
	v_mul_f32_e32 v18, 0x4f7ffffe, v7
	v_mov_b32_e32 v7, 0xff7fffff
	s_delay_alu instid0(VALU_DEP_2) | instskip(SKIP_2) | instid1(VALU_DEP_1)
	v_cvt_u32_f32_e32 v22, v18
	v_add_nc_u32_e32 v18, 0x60, v21
	v_add_co_u32 v21, s3, s3, v23
	v_add_co_ci_u32_e64 v23, null, s1, 0, s3
	s_delay_alu instid0(VALU_DEP_4) | instskip(SKIP_1) | instid1(SALU_CYCLE_1)
	v_mul_lo_u32 v20, s42, v22
	s_lshl_b64 s[42:43], s[28:29], 2
	s_add_u32 s1, s26, s42
	s_addc_u32 s3, s27, s43
	v_add_co_u32 v1, s1, s1, v1
	s_delay_alu instid0(VALU_DEP_1) | instskip(NEXT) | instid1(VALU_DEP_3)
	v_add_co_ci_u32_e64 v2, s1, s3, v2, s1
	v_mul_hi_u32 v24, v22, v20
	v_add_co_u32 v19, s1, v21, v19
	s_delay_alu instid0(VALU_DEP_1) | instskip(SKIP_2) | instid1(VALU_DEP_3)
	v_add_co_ci_u32_e64 v20, s1, 0, v23, s1
	s_mov_b32 s42, 0
	s_mov_b32 s43, s5
	v_dual_mov_b32 v22, v5 :: v_dual_add_nc_u32 v21, v22, v24
	s_branch .LBB92_13
.LBB92_11:                              ;   in Loop: Header=BB92_13 Depth=1
	s_or_b32 exec_lo, exec_lo, s44
.LBB92_12:                              ;   in Loop: Header=BB92_13 Depth=1
	s_delay_alu instid0(SALU_CYCLE_1) | instskip(SKIP_2) | instid1(VALU_DEP_1)
	s_or_b32 exec_lo, exec_lo, s3
	v_add_nc_u32_e32 v22, 4, v22
	v_add_co_u32 v1, s3, v1, 16
	v_add_co_ci_u32_e64 v2, s3, 0, v2, s3
	s_delay_alu instid0(VALU_DEP_3) | instskip(SKIP_2) | instid1(VALU_DEP_3)
	v_cmp_le_i32_e64 s1, s34, v22
	v_add_nc_u32_e32 v10, 64, v10
	v_add_nc_u32_e32 v18, 0x100, v18
	s_or_b32 s42, s1, s42
	s_delay_alu instid0(SALU_CYCLE_1)
	s_and_not1_b32 exec_lo, exec_lo, s42
	s_cbranch_execz .LBB92_18
.LBB92_13:                              ; =>This Inner Loop Header: Depth=1
	v_sub_nc_u32_e32 v23, 0, v10
	s_delay_alu instid0(VALU_DEP_1) | instskip(SKIP_1) | instid1(VALU_DEP_1)
	v_max_i32_e32 v23, v10, v23
	s_waitcnt lgkmcnt(0)
	v_mul_hi_u32 v24, v23, s25
	s_delay_alu instid0(VALU_DEP_1) | instskip(NEXT) | instid1(VALU_DEP_1)
	v_mul_lo_u32 v25, v24, s13
	v_sub_nc_u32_e32 v23, v23, v25
	v_add_nc_u32_e32 v25, 1, v24
	s_delay_alu instid0(VALU_DEP_2) | instskip(SKIP_1) | instid1(VALU_DEP_1)
	v_subrev_nc_u32_e32 v26, s13, v23
	v_cmp_le_u32_e64 s1, s13, v23
	v_cndmask_b32_e64 v24, v24, v25, s1
	s_delay_alu instid0(VALU_DEP_3) | instskip(SKIP_1) | instid1(VALU_DEP_3)
	v_cndmask_b32_e64 v23, v23, v26, s1
	v_ashrrev_i32_e32 v25, 31, v10
	v_add_nc_u32_e32 v26, 1, v24
	s_delay_alu instid0(VALU_DEP_3) | instskip(NEXT) | instid1(VALU_DEP_3)
	v_cmp_le_u32_e64 s1, s13, v23
	v_xor_b32_e32 v25, s11, v25
	s_delay_alu instid0(VALU_DEP_2) | instskip(NEXT) | instid1(VALU_DEP_1)
	v_cndmask_b32_e64 v23, v24, v26, s1
	v_xor_b32_e32 v23, v23, v25
	s_delay_alu instid0(VALU_DEP_1) | instskip(NEXT) | instid1(VALU_DEP_1)
	v_sub_nc_u32_e32 v23, v23, v25
	v_add_nc_u32_e32 v24, s36, v23
	v_cmp_ge_i32_e64 s3, s7, v23
	s_delay_alu instid0(VALU_DEP_2) | instskip(NEXT) | instid1(VALU_DEP_1)
	v_sub_nc_u32_e32 v25, 0, v24
	v_max_i32_e32 v25, v24, v25
	v_ashrrev_i32_e32 v24, 31, v24
	s_delay_alu instid0(VALU_DEP_2) | instskip(NEXT) | instid1(VALU_DEP_1)
	v_mul_hi_u32 v26, v25, v21
	v_mul_lo_u32 v26, v26, s41
	s_delay_alu instid0(VALU_DEP_1) | instskip(NEXT) | instid1(VALU_DEP_1)
	v_sub_nc_u32_e32 v25, v25, v26
	v_subrev_nc_u32_e32 v26, s41, v25
	v_cmp_le_u32_e64 s1, s41, v25
	s_delay_alu instid0(VALU_DEP_1) | instskip(NEXT) | instid1(VALU_DEP_1)
	v_cndmask_b32_e64 v25, v25, v26, s1
	v_subrev_nc_u32_e32 v26, s41, v25
	v_cmp_le_u32_e64 s1, s41, v25
	s_delay_alu instid0(VALU_DEP_1) | instskip(NEXT) | instid1(VALU_DEP_1)
	v_cndmask_b32_e64 v25, v25, v26, s1
	v_xor_b32_e32 v25, v25, v24
	s_delay_alu instid0(VALU_DEP_1) | instskip(NEXT) | instid1(VALU_DEP_1)
	v_sub_nc_u32_e32 v24, v25, v24
	v_cmp_ne_u32_e64 s1, 0, v24
	s_delay_alu instid0(VALU_DEP_1) | instskip(NEXT) | instid1(SALU_CYCLE_1)
	s_and_b32 s1, s1, s3
	s_and_b32 s44, vcc_lo, s1
	s_delay_alu instid0(SALU_CYCLE_1)
	s_and_saveexec_b32 s3, s44
	s_cbranch_execz .LBB92_15
; %bb.14:                               ;   in Loop: Header=BB92_13 Depth=1
	ds_store_b32 v18, v11
.LBB92_15:                              ;   in Loop: Header=BB92_13 Depth=1
	s_or_b32 exec_lo, exec_lo, s3
	s_xor_b32 s1, s1, -1
	s_delay_alu instid0(SALU_CYCLE_1)
	s_and_saveexec_b32 s3, s1
	s_cbranch_execz .LBB92_12
; %bb.16:                               ;   in Loop: Header=BB92_13 Depth=1
	global_load_b32 v25, v[1:2], off
	s_waitcnt vmcnt(0)
	v_mad_i64_i32 v[23:24], null, v25, s43, 0
	s_delay_alu instid0(VALU_DEP_1) | instskip(NEXT) | instid1(VALU_DEP_1)
	v_lshlrev_b64 v[23:24], 1, v[23:24]
	v_add_co_u32 v23, s1, v19, v23
	s_delay_alu instid0(VALU_DEP_1)
	v_add_co_ci_u32_e64 v24, s1, v20, v24, s1
	v_cmp_gt_i32_e64 s1, 32, v12
	s_clause 0x3
	global_load_b64 v[25:26], v[23:24], off
	global_load_b64 v[27:28], v[23:24], off offset:256
	global_load_b64 v[29:30], v[23:24], off offset:512
	;; [unrolled: 1-line block ×3, first 2 shown]
	ds_load_b64 v[31:32], v9
	s_waitcnt lgkmcnt(0)
	v_and_b32_e32 v33, 0xffff, v31
	v_lshrrev_b32_e32 v31, 16, v31
	v_lshrrev_b32_e32 v34, 16, v32
	v_and_b32_e32 v32, 0xffff, v32
	;;#ASMSTART
	v_cvt_f32_f16 v33, v33;
	;;#ASMEND
	;;#ASMSTART
	v_cvt_f32_f16 v31, v31;
	;;#ASMEND
	s_waitcnt vmcnt(3)
	v_and_b32_e32 v35, 0xffff, v25
	v_lshrrev_b32_e32 v25, 16, v25
	v_lshrrev_b32_e32 v36, 16, v26
	v_and_b32_e32 v26, 0xffff, v26
	;;#ASMSTART
	v_cvt_f32_f16 v35, v35;
	;;#ASMEND
	;;#ASMSTART
	v_cvt_f32_f16 v37, v25;
	;;#ASMEND
	;; [unrolled: 3-line block ×6, first 2 shown]
	ds_load_b64 v[25:26], v9 offset:8
	s_waitcnt vmcnt(2)
	v_lshrrev_b32_e32 v39, 16, v27
	v_and_b32_e32 v27, 0xffff, v27
	v_lshrrev_b32_e32 v40, 16, v28
	s_waitcnt vmcnt(1)
	v_lshrrev_b32_e32 v45, 16, v29
	v_lshrrev_b32_e32 v46, 16, v30
	s_waitcnt vmcnt(0)
	v_lshrrev_b32_e32 v51, 16, v23
	s_waitcnt lgkmcnt(0)
	v_and_b32_e32 v41, 0xffff, v25
	v_lshrrev_b32_e32 v25, 16, v25
	;;#ASMSTART
	v_cvt_f32_f16 v41, v41;
	;;#ASMEND
	;;#ASMSTART
	v_cvt_f32_f16 v43, v25;
	;;#ASMEND
	;; [unrolled: 3-line block ×4, first 2 shown]
	v_mul_f32_e32 v27, v41, v27
	v_dual_mul_f32 v39, v43, v39 :: v_dual_and_b32 v28, 0xffff, v28
	v_lshrrev_b32_e32 v42, 16, v26
	s_delay_alu instid0(VALU_DEP_3) | instskip(NEXT) | instid1(VALU_DEP_3)
	v_dual_fmac_f32 v27, v33, v35 :: v_dual_and_b32 v26, 0xffff, v26
	v_fmac_f32_e32 v39, v31, v37
	;;#ASMSTART
	v_cvt_f32_f16 v44, v26;
	;;#ASMEND
	;;#ASMSTART
	v_cvt_f32_f16 v42, v42;
	;;#ASMEND
	;; [unrolled: 3-line block ×4, first 2 shown]
	ds_load_b64 v[25:26], v9 offset:16
	v_mul_f32_e32 v28, v44, v28
	v_mul_f32_e32 v40, v42, v40
	v_lshrrev_b32_e32 v41, 16, v24
	s_delay_alu instid0(VALU_DEP_3) | instskip(SKIP_1) | instid1(VALU_DEP_3)
	v_dual_fmac_f32 v28, v32, v38 :: v_dual_and_b32 v29, 0xffff, v29
	s_waitcnt lgkmcnt(0)
	v_dual_fmac_f32 v40, v34, v36 :: v_dual_and_b32 v47, 0xffff, v25
	v_lshrrev_b32_e32 v25, 16, v25
	v_lshrrev_b32_e32 v48, 16, v26
	;;#ASMSTART
	v_cvt_f32_f16 v47, v47;
	;;#ASMEND
	;;#ASMSTART
	v_cvt_f32_f16 v49, v25;
	;;#ASMEND
	;;#ASMSTART
	v_cvt_f32_f16 v29, v29;
	;;#ASMEND
	v_dual_fmac_f32 v27, v47, v29 :: v_dual_and_b32 v30, 0xffff, v30
	;;#ASMSTART
	v_cvt_f32_f16 v45, v45;
	;;#ASMEND
	v_dual_fmac_f32 v39, v49, v45 :: v_dual_and_b32 v26, 0xffff, v26
	;;#ASMSTART
	v_cvt_f32_f16 v50, v26;
	;;#ASMEND
	;;#ASMSTART
	v_cvt_f32_f16 v48, v48;
	;;#ASMEND
	;; [unrolled: 3-line block ×4, first 2 shown]
	ds_load_b64 v[25:26], v9 offset:24
	v_fmac_f32_e32 v28, v50, v30
	v_dual_fmac_f32 v40, v48, v46 :: v_dual_and_b32 v23, 0xffff, v23
	s_waitcnt lgkmcnt(0)
	v_and_b32_e32 v29, 0xffff, v25
	v_lshrrev_b32_e32 v25, 16, v25
	v_lshrrev_b32_e32 v30, 16, v26
	;;#ASMSTART
	v_cvt_f32_f16 v29, v29;
	;;#ASMEND
	;;#ASMSTART
	v_cvt_f32_f16 v25, v25;
	;;#ASMEND
	;; [unrolled: 3-line block ×3, first 2 shown]
	v_dual_fmac_f32 v27, v29, v23 :: v_dual_and_b32 v24, 0xffff, v24
	;;#ASMSTART
	v_cvt_f32_f16 v31, v51;
	;;#ASMEND
	v_dual_fmac_f32 v39, v25, v31 :: v_dual_and_b32 v26, 0xffff, v26
	;;#ASMSTART
	v_cvt_f32_f16 v23, v26;
	;;#ASMEND
	;;#ASMSTART
	v_cvt_f32_f16 v25, v30;
	;;#ASMEND
	;; [unrolled: 3-line block ×3, first 2 shown]
	v_fmac_f32_e32 v28, v23, v24
	;;#ASMSTART
	v_cvt_f32_f16 v24, v41;
	;;#ASMEND
	v_fmac_f32_e32 v40, v25, v24
	v_cndmask_b32_e64 v24, v4, v12, s1
	s_delay_alu instid0(VALU_DEP_1) | instskip(NEXT) | instid1(VALU_DEP_1)
	v_dual_add_f32 v23, v27, v39 :: v_dual_lshlrev_b32 v24, 2, v24
	v_add_f32_e32 v23, v23, v28
	s_delay_alu instid0(VALU_DEP_1)
	v_add_f32_e32 v23, v40, v23
	ds_bpermute_b32 v24, v24, v23
	s_and_saveexec_b32 s44, vcc_lo
	s_cbranch_execz .LBB92_11
; %bb.17:                               ;   in Loop: Header=BB92_13 Depth=1
	s_waitcnt lgkmcnt(0)
	v_add_f32_e32 v23, v23, v24
	v_add_nc_u32_e32 v25, v17, v10
	s_delay_alu instid0(VALU_DEP_1) | instskip(NEXT) | instid1(VALU_DEP_1)
	v_cvt_f32_i32_e32 v25, v25
	v_mul_f32_e32 v25, s39, v25
	s_delay_alu instid0(VALU_DEP_1) | instskip(SKIP_1) | instid1(VALU_DEP_2)
	v_cndmask_b32_e64 v24, 0, v25, s0
	v_max_f32_e32 v25, v7, v7
	v_dual_fmac_f32 v24, s35, v23 :: v_dual_add_nc_u32 v23, v8, v10
	s_delay_alu instid0(VALU_DEP_1) | instskip(NEXT) | instid1(VALU_DEP_2)
	v_max_f32_e32 v25, v25, v24
	v_cmp_gt_i32_e64 s1, s33, v23
	s_delay_alu instid0(VALU_DEP_1) | instskip(NEXT) | instid1(VALU_DEP_3)
	v_cndmask_b32_e64 v23, 0, v24, s1
	v_cndmask_b32_e64 v7, v7, v25, s1
	ds_store_b32 v18, v23
	s_branch .LBB92_11
.LBB92_18:
	s_or_b32 exec_lo, exec_lo, s42
.LBB92_19:
	s_delay_alu instid0(SALU_CYCLE_1)
	s_or_b32 exec_lo, exec_lo, s40
	v_xor_b32_e32 v1, 16, v4
	v_xor_b32_e32 v2, 8, v4
	;; [unrolled: 1-line block ×3, first 2 shown]
	v_and_b32_e32 v17, 31, v0
	v_max_f32_e32 v9, v7, v7
	v_cmp_gt_i32_e32 vcc_lo, 32, v1
	v_cndmask_b32_e32 v1, v4, v1, vcc_lo
	v_cmp_gt_i32_e32 vcc_lo, 32, v2
	s_delay_alu instid0(VALU_DEP_2) | instskip(SKIP_3) | instid1(VALU_DEP_1)
	v_lshlrev_b32_e32 v8, 2, v1
	ds_bpermute_b32 v1, v8, v7
	s_waitcnt lgkmcnt(0)
	v_dual_cndmask_b32 v2, v4, v2 :: v_dual_max_f32 v1, v1, v1
	v_lshlrev_b32_e32 v7, 2, v2
	s_delay_alu instid0(VALU_DEP_2)
	v_max_f32_e32 v1, v9, v1
	v_xor_b32_e32 v9, 4, v4
	ds_bpermute_b32 v2, v7, v1
	v_cmp_gt_i32_e32 vcc_lo, 32, v9
	v_cndmask_b32_e32 v9, v4, v9, vcc_lo
	v_cmp_gt_i32_e32 vcc_lo, 32, v10
	s_delay_alu instid0(VALU_DEP_2) | instskip(SKIP_3) | instid1(VALU_DEP_1)
	v_dual_cndmask_b32 v10, v4, v10 :: v_dual_lshlrev_b32 v9, 2, v9
	v_cmp_eq_u32_e32 vcc_lo, 0, v17
	s_waitcnt lgkmcnt(0)
	v_max_f32_e32 v2, v2, v2
	v_max_f32_e32 v1, v1, v2
	ds_bpermute_b32 v2, v9, v1
	s_waitcnt lgkmcnt(0)
	v_max_f32_e32 v2, v2, v2
	s_delay_alu instid0(VALU_DEP_1)
	v_max_f32_e32 v1, v1, v2
	v_lshlrev_b32_e32 v2, 2, v10
	v_lshlrev_b32_e32 v10, 2, v15
	ds_bpermute_b32 v11, v2, v1
	s_and_saveexec_b32 s0, vcc_lo
	s_cbranch_execz .LBB92_21
; %bb.20:
	s_waitcnt lgkmcnt(0)
	v_max_f32_e32 v11, v11, v11
	v_max_f32_e32 v1, v1, v1
	s_delay_alu instid0(VALU_DEP_1)
	v_max_f32_e32 v1, v1, v11
	ds_store_b32 v10, v1 offset:64
.LBB92_21:
	s_or_b32 exec_lo, exec_lo, s0
	v_cmp_gt_u32_e64 s0, 4, v17
	v_mov_b32_e32 v1, 0xff7fffff
	s_waitcnt lgkmcnt(0)
	v_lshlrev_b32_e32 v11, 2, v17
	s_barrier
	buffer_gl0_inv
	s_and_saveexec_b32 s1, s0
	s_cbranch_execz .LBB92_23
; %bb.22:
	ds_load_b32 v1, v11 offset:64
.LBB92_23:
	s_or_b32 exec_lo, exec_lo, s1
	s_waitcnt lgkmcnt(0)
	ds_bpermute_b32 v12, v2, v1
	v_xor_b32_e32 v18, 1, v4
	v_max_f32_e32 v1, v1, v1
	s_delay_alu instid0(VALU_DEP_2) | instskip(NEXT) | instid1(VALU_DEP_1)
	v_cmp_gt_i32_e64 s1, 32, v18
	v_cndmask_b32_e64 v4, v4, v18, s1
	s_sub_i32 s1, s34, s4
	s_delay_alu instid0(SALU_CYCLE_1) | instskip(NEXT) | instid1(VALU_DEP_1)
	s_lshl_b32 s1, s1, 4
	v_lshlrev_b32_e32 v18, 2, v4
	s_add_i32 s1, s1, s23
	s_delay_alu instid0(SALU_CYCLE_1) | instskip(SKIP_3) | instid1(SALU_CYCLE_1)
	s_min_i32 s1, s1, s33
	s_waitcnt lgkmcnt(0)
	v_max_f32_e32 v12, v12, v12
	s_sub_i32 s7, s1, s23
	v_cmp_gt_i32_e64 s1, s7, v0
	s_delay_alu instid0(VALU_DEP_2) | instskip(SKIP_3) | instid1(VALU_DEP_1)
	v_dual_max_f32 v1, v1, v12 :: v_dual_mov_b32 v12, 0
	ds_bpermute_b32 v4, v18, v1
	s_waitcnt lgkmcnt(0)
	v_max_f32_e32 v4, v4, v4
	v_max_f32_e32 v1, v1, v4
	v_lshl_add_u32 v4, v0, 2, 0x60
	ds_bpermute_b32 v1, v12, v1
	s_and_saveexec_b32 s23, s1
	s_cbranch_execz .LBB92_27
; %bb.24:
	v_lshl_add_u32 v19, v0, 2, 0x60
	v_mov_b32_e32 v12, 0
	v_mov_b32_e32 v20, v0
	s_mov_b32 s35, 0
	.p2align	6
.LBB92_25:                              ; =>This Inner Loop Header: Depth=1
	ds_load_b32 v21, v19
	v_add_nc_u32_e32 v20, 0x80, v20
	s_delay_alu instid0(VALU_DEP_1) | instskip(NEXT) | instid1(VALU_DEP_1)
	v_cmp_le_i32_e64 s3, s7, v20
	s_or_b32 s35, s3, s35
	s_waitcnt lgkmcnt(0)
	v_sub_f32_e32 v21, v21, v1
	s_delay_alu instid0(VALU_DEP_1) | instskip(NEXT) | instid1(VALU_DEP_1)
	v_mul_f32_e32 v21, 0x3fb8aa3b, v21
	v_exp_f32_e32 v21, v21
	ds_store_b32 v19, v21
	v_dual_add_f32 v12, v12, v21 :: v_dual_add_nc_u32 v19, 0x200, v19
	s_and_not1_b32 exec_lo, exec_lo, s35
	s_cbranch_execnz .LBB92_25
; %bb.26:
	s_or_b32 exec_lo, exec_lo, s35
.LBB92_27:
	s_delay_alu instid0(SALU_CYCLE_1)
	s_or_b32 exec_lo, exec_lo, s23
	ds_bpermute_b32 v8, v8, v12
	s_waitcnt lgkmcnt(0)
	v_add_f32_e32 v8, v12, v8
	ds_bpermute_b32 v7, v7, v8
	s_waitcnt lgkmcnt(0)
	v_add_f32_e32 v7, v8, v7
	;; [unrolled: 3-line block ×5, first 2 shown]
	s_and_saveexec_b32 s3, vcc_lo
	s_cbranch_execz .LBB92_29
; %bb.28:
	ds_store_b32 v10, v7 offset:80
.LBB92_29:
	s_or_b32 exec_lo, exec_lo, s3
	s_waitcnt lgkmcnt(0)
	s_barrier
	buffer_gl0_inv
	s_and_saveexec_b32 s3, s0
	s_cbranch_execz .LBB92_31
; %bb.30:
	ds_load_b32 v7, v11 offset:80
.LBB92_31:
	s_or_b32 exec_lo, exec_lo, s3
	s_waitcnt lgkmcnt(0)
	ds_bpermute_b32 v2, v2, v7
	s_waitcnt lgkmcnt(0)
	v_add_f32_e32 v2, v7, v2
	ds_bpermute_b32 v7, v18, v2
	s_waitcnt lgkmcnt(0)
	v_dual_add_f32 v2, v2, v7 :: v_dual_mov_b32 v7, 0
	ds_bpermute_b32 v2, v7, v2
	s_and_saveexec_b32 s0, s1
	s_cbranch_execz .LBB92_34
; %bb.32:
	s_waitcnt lgkmcnt(0)
	v_add_f32_e32 v7, 0x358637bd, v2
	s_mov_b32 s1, 0
	s_delay_alu instid0(VALU_DEP_1) | instskip(SKIP_1) | instid1(VALU_DEP_2)
	v_div_scale_f32 v8, null, v7, v7, 1.0
	v_div_scale_f32 v11, vcc_lo, 1.0, v7, 1.0
	v_rcp_f32_e32 v9, v8
	s_waitcnt_depctr 0xfff
	v_fma_f32 v10, -v8, v9, 1.0
	s_delay_alu instid0(VALU_DEP_1) | instskip(NEXT) | instid1(VALU_DEP_1)
	v_fmac_f32_e32 v9, v10, v9
	v_mul_f32_e32 v10, v11, v9
	s_delay_alu instid0(VALU_DEP_1) | instskip(NEXT) | instid1(VALU_DEP_1)
	v_fma_f32 v12, -v8, v10, v11
	v_fmac_f32_e32 v10, v12, v9
	s_delay_alu instid0(VALU_DEP_1) | instskip(NEXT) | instid1(VALU_DEP_1)
	v_fma_f32 v8, -v8, v10, v11
	v_div_fmas_f32 v8, v8, v9, v10
	s_delay_alu instid0(VALU_DEP_1)
	v_div_fixup_f32 v7, v8, v7, 1.0
	v_mov_b32_e32 v8, v0
.LBB92_33:                              ; =>This Inner Loop Header: Depth=1
	ds_load_b32 v9, v4
	s_waitcnt lgkmcnt(0)
	v_dual_mul_f32 v9, v7, v9 :: v_dual_add_nc_u32 v8, 0x80, v8
	s_delay_alu instid0(VALU_DEP_1) | instskip(SKIP_3) | instid1(SALU_CYCLE_1)
	v_cmp_le_i32_e32 vcc_lo, s7, v8
	ds_store_b32 v4, v9
	v_add_nc_u32_e32 v4, 0x200, v4
	s_or_b32 s1, vcc_lo, s1
	s_and_not1_b32 exec_lo, exec_lo, s1
	s_cbranch_execnz .LBB92_33
.LBB92_34:
	s_or_b32 exec_lo, exec_lo, s0
	s_mul_i32 s0, s8, s14
	s_waitcnt lgkmcnt(0)
	s_mul_i32 s14, s0, s15
	s_mov_b32 s0, exec_lo
	s_barrier
	buffer_gl0_inv
	v_cmpx_eq_u32_e32 0, v0
	s_cbranch_execz .LBB92_36
; %bb.35:
	s_ashr_i32 s15, s14, 31
	s_mul_i32 s42, s8, s24
	s_lshl_b64 s[40:41], s[14:15], 2
	v_mov_b32_e32 v4, 0
	s_add_u32 s1, s18, s40
	s_addc_u32 s3, s19, s41
	s_ashr_i32 s43, s42, 31
	s_delay_alu instid0(SALU_CYCLE_1) | instskip(NEXT) | instid1(SALU_CYCLE_1)
	s_lshl_b64 s[18:19], s[42:43], 2
	s_add_u32 s1, s1, s18
	s_addc_u32 s3, s3, s19
	s_ashr_i32 s23, s22, 31
	s_delay_alu instid0(SALU_CYCLE_1) | instskip(NEXT) | instid1(SALU_CYCLE_1)
	s_lshl_b64 s[22:23], s[22:23], 2
	s_add_u32 s42, s1, s22
	s_addc_u32 s43, s3, s23
	s_add_u32 s1, s16, s40
	s_addc_u32 s3, s17, s41
	;; [unrolled: 2-line block ×4, first 2 shown]
	s_clause 0x1
	global_store_b32 v4, v1, s[42:43]
	global_store_b32 v4, v2, s[16:17]
.LBB92_36:
	s_or_b32 exec_lo, exec_lo, s0
	v_dual_mov_b32 v8, 0 :: v_dual_mov_b32 v7, 0
	s_mov_b32 s3, 0
	s_and_saveexec_b32 s1, s2
	s_cbranch_execz .LBB92_46
; %bb.37:
	s_ashr_i32 s7, s6, 31
	s_sub_i32 s2, s38, s9
	s_lshl_b64 s[6:7], s[6:7], 1
	s_mov_b32 s16, 0
	s_add_u32 s0, s30, s6
	s_addc_u32 s22, s31, s7
	s_abs_i32 s6, s10
	v_and_b32_e32 v19, 8, v3
	v_cvt_f32_u32_e32 v1, s6
	s_sub_i32 s17, 0, s6
	s_lshl_b64 s[18:19], s[28:29], 2
	s_add_i32 s37, s37, -1
	s_add_u32 s18, s26, s18
	v_rcp_iflag_f32_e32 v1, v1
	s_addc_u32 s19, s27, s19
	s_mov_b32 s7, s33
	s_mov_b32 s9, s33
	;; [unrolled: 1-line block ×4, first 2 shown]
	s_waitcnt_depctr 0xfff
	v_dual_mul_f32 v1, 0x4f7ffffe, v1 :: v_dual_lshlrev_b32 v4, 4, v0
	s_delay_alu instid0(VALU_DEP_1) | instskip(NEXT) | instid1(VALU_DEP_2)
	v_and_b32_e32 v4, 0x1f0, v4
	v_cvt_u32_f32_e32 v3, v1
	v_lshlrev_b64 v[1:2], 2, v[5:6]
	s_delay_alu instid0(VALU_DEP_2) | instskip(SKIP_2) | instid1(VALU_DEP_3)
	v_mul_lo_u32 v7, s17, v3
	s_mov_b32 s17, s16
	v_lshlrev_b32_e32 v6, 5, v14
	v_add_co_u32 v9, vcc_lo, s18, v1
	s_delay_alu instid0(VALU_DEP_4) | instskip(NEXT) | instid1(VALU_DEP_3)
	v_add_co_ci_u32_e32 v10, vcc_lo, s19, v2, vcc_lo
	v_lshl_or_b32 v8, v15, 6, v6
	v_mul_hi_u32 v7, v3, v7
	v_add_co_u32 v6, s0, s0, v4
	s_delay_alu instid0(VALU_DEP_1) | instskip(NEXT) | instid1(VALU_DEP_4)
	v_add_co_ci_u32_e64 v20, null, s22, 0, s0
	v_add_nc_u32_e32 v21, 0x60, v8
	s_mov_b32 s18, s33
	s_delay_alu instid0(VALU_DEP_4)
	v_dual_mov_b32 v7, s16 :: v_dual_add_nc_u32 v22, v3, v7
	v_mov_b32_e32 v8, s17
	s_mov_b32 s16, s33
	s_mov_b32 s17, s33
	s_branch .LBB92_40
.LBB92_38:                              ;   in Loop: Header=BB92_40 Depth=1
	s_or_b32 exec_lo, exec_lo, s0
	s_waitcnt vmcnt(0)
	;;#ASMSTART
	v_pk_mul_f16 v1, v36, v1;

	;;#ASMEND
	;;#ASMSTART
	v_pk_mul_f16 v2, v35, v2;

	;;#ASMEND
	;; [unrolled: 4-line block ×4, first 2 shown]
	;;#ASMSTART
	v_pk_add_f16 v1, v1, v2;

	;;#ASMEND
	;;#ASMSTART
	v_pk_add_f16 v1, v1, v3;

	;;#ASMEND
	;; [unrolled: 4-line block ×3, first 2 shown]
	v_dual_add_f32 v3, v32, v34 :: v_dual_and_b32 v2, 0xffff, v1
	v_lshrrev_b32_e32 v1, 16, v1
	;;#ASMSTART
	v_cvt_f32_f16 v2, v2;
	;;#ASMEND
	;;#ASMSTART
	v_cvt_f32_f16 v1, v1;
	;;#ASMEND
	s_delay_alu instid0(VALU_DEP_1) | instskip(NEXT) | instid1(VALU_DEP_1)
	v_add_f32_e32 v1, v2, v1
	v_dual_add_f32 v7, v7, v3 :: v_dual_add_f32 v8, v8, v1
.LBB92_39:                              ;   in Loop: Header=BB92_40 Depth=1
	s_or_b32 exec_lo, exec_lo, s19
	v_add_nc_u32_e32 v5, 4, v5
	v_add_co_u32 v9, s0, v9, 16
	s_delay_alu instid0(VALU_DEP_1) | instskip(NEXT) | instid1(VALU_DEP_3)
	v_add_co_ci_u32_e64 v10, s0, 0, v10, s0
	v_cmp_le_i32_e32 vcc_lo, s34, v5
	v_add_nc_u32_e32 v16, 64, v16
	v_add_nc_u32_e32 v21, 0x100, v21
	s_or_b32 s3, vcc_lo, s3
	s_delay_alu instid0(SALU_CYCLE_1)
	s_and_not1_b32 exec_lo, exec_lo, s3
	s_cbranch_execz .LBB92_45
.LBB92_40:                              ; =>This Inner Loop Header: Depth=1
	v_sub_nc_u32_e32 v1, 0, v16
	s_delay_alu instid0(VALU_DEP_1) | instskip(NEXT) | instid1(VALU_DEP_1)
	v_max_i32_e32 v1, v16, v1
	v_mul_hi_u32 v2, v1, s25
	s_delay_alu instid0(VALU_DEP_1) | instskip(NEXT) | instid1(VALU_DEP_1)
	v_mul_lo_u32 v3, v2, s13
	v_sub_nc_u32_e32 v1, v1, v3
	v_add_nc_u32_e32 v3, 1, v2
	s_delay_alu instid0(VALU_DEP_2) | instskip(SKIP_1) | instid1(VALU_DEP_2)
	v_subrev_nc_u32_e32 v4, s13, v1
	v_cmp_le_u32_e32 vcc_lo, s13, v1
	v_dual_cndmask_b32 v2, v2, v3 :: v_dual_cndmask_b32 v1, v1, v4
	v_ashrrev_i32_e32 v3, 31, v16
	s_delay_alu instid0(VALU_DEP_2) | instskip(NEXT) | instid1(VALU_DEP_3)
	v_add_nc_u32_e32 v4, 1, v2
	v_cmp_le_u32_e32 vcc_lo, s13, v1
	s_delay_alu instid0(VALU_DEP_3) | instskip(NEXT) | instid1(VALU_DEP_3)
	v_xor_b32_e32 v3, s11, v3
	v_cndmask_b32_e32 v1, v2, v4, vcc_lo
	s_delay_alu instid0(VALU_DEP_1) | instskip(NEXT) | instid1(VALU_DEP_1)
	v_xor_b32_e32 v1, v1, v3
	v_sub_nc_u32_e32 v1, v1, v3
	s_delay_alu instid0(VALU_DEP_1) | instskip(SKIP_1) | instid1(VALU_DEP_2)
	v_add_nc_u32_e32 v2, s36, v1
	v_cmp_lt_i32_e64 s0, s2, v1
	v_sub_nc_u32_e32 v3, 0, v2
	s_delay_alu instid0(VALU_DEP_1) | instskip(NEXT) | instid1(VALU_DEP_1)
	v_max_i32_e32 v3, v2, v3
	v_mul_hi_u32 v4, v3, v22
	s_delay_alu instid0(VALU_DEP_1) | instskip(NEXT) | instid1(VALU_DEP_1)
	v_mul_lo_u32 v4, v4, s6
	v_sub_nc_u32_e32 v3, v3, v4
	s_delay_alu instid0(VALU_DEP_1) | instskip(SKIP_1) | instid1(VALU_DEP_2)
	v_subrev_nc_u32_e32 v4, s6, v3
	v_cmp_le_u32_e32 vcc_lo, s6, v3
	v_cndmask_b32_e32 v3, v3, v4, vcc_lo
	v_ashrrev_i32_e32 v2, 31, v2
	s_delay_alu instid0(VALU_DEP_2) | instskip(SKIP_1) | instid1(VALU_DEP_2)
	v_subrev_nc_u32_e32 v4, s6, v3
	v_cmp_le_u32_e32 vcc_lo, s6, v3
	v_cndmask_b32_e32 v3, v3, v4, vcc_lo
	s_delay_alu instid0(VALU_DEP_1) | instskip(NEXT) | instid1(VALU_DEP_1)
	v_xor_b32_e32 v3, v3, v2
	v_sub_nc_u32_e32 v2, v3, v2
	s_delay_alu instid0(VALU_DEP_1) | instskip(SKIP_1) | instid1(SALU_CYCLE_1)
	v_cmp_eq_u32_e32 vcc_lo, 0, v2
	s_or_b32 s0, vcc_lo, s0
	s_and_saveexec_b32 s19, s0
	s_cbranch_execz .LBB92_39
; %bb.41:                               ;   in Loop: Header=BB92_40 Depth=1
	global_load_b32 v27, v[9:10], off
	ds_load_2addr_b64 v[1:4], v21 offset1:1
	ds_load_2addr_b64 v[23:26], v21 offset0:2 offset1:3
	s_waitcnt lgkmcnt(1)
	;;#ASMSTART
	v_cvt_f16_f32 v35, v1;

	;;#ASMEND
	;;#ASMSTART
	v_cvt_f16_f32 v31, v2;

	;;#ASMEND
	;; [unrolled: 4-line block ×4, first 2 shown]
	s_waitcnt lgkmcnt(0)
	;;#ASMSTART
	v_cvt_f16_f32 v37, v23;

	;;#ASMEND
	;;#ASMSTART
	v_cvt_f16_f32 v33, v24;

	;;#ASMEND
	;; [unrolled: 4-line block ×4, first 2 shown]
	v_add_nc_u32_e32 v23, v19, v16
	s_delay_alu instid0(VALU_DEP_1)
	v_add_nc_u32_e32 v24, 1, v23
	v_or_b32_e32 v26, 3, v23
	v_or_b32_e32 v25, 2, v23
	;; [unrolled: 1-line block ×5, first 2 shown]
	s_waitcnt vmcnt(0)
	v_mad_i64_i32 v[11:12], null, v27, s5, 0
	v_or_b32_e32 v27, 4, v23
	s_delay_alu instid0(VALU_DEP_2) | instskip(NEXT) | instid1(VALU_DEP_1)
	v_lshlrev_b64 v[11:12], 1, v[11:12]
	v_add_co_u32 v11, vcc_lo, v6, v11
	s_delay_alu instid0(VALU_DEP_2)
	v_add_co_ci_u32_e32 v12, vcc_lo, v20, v12, vcc_lo
	v_cmp_eq_u32_e32 vcc_lo, s37, v5
	global_load_b128 v[1:4], v[11:12], off
	s_and_saveexec_b32 s22, vcc_lo
	s_cbranch_execz .LBB92_43
; %bb.42:                               ;   in Loop: Header=BB92_40 Depth=1
	v_cmp_gt_i32_e64 s0, s17, v30
	s_waitcnt vmcnt(0)
	v_lshrrev_b32_e32 v39, 16, v4
	v_lshrrev_b32_e32 v40, 16, v3
	;; [unrolled: 1-line block ×4, first 2 shown]
	v_cndmask_b32_e64 v4, 0, v4, s0
	v_cmp_gt_i32_e64 s0, s18, v29
	s_delay_alu instid0(VALU_DEP_1) | instskip(SKIP_1) | instid1(VALU_DEP_2)
	v_cndmask_b32_e64 v39, 0, v39, s0
	v_cmp_gt_i32_e64 s0, s16, v28
	v_perm_b32 v4, v39, v4, 0x5040100
	s_delay_alu instid0(VALU_DEP_2) | instskip(SKIP_1) | instid1(VALU_DEP_1)
	v_cndmask_b32_e64 v40, 0, v40, s0
	v_cmp_gt_i32_e64 s0, s15, v27
	v_cndmask_b32_e64 v3, 0, v3, s0
	v_cmp_gt_i32_e64 s0, s10, v26
	s_delay_alu instid0(VALU_DEP_2) | instskip(NEXT) | instid1(VALU_DEP_2)
	v_perm_b32 v3, v40, v3, 0x5040100
	v_cndmask_b32_e64 v41, 0, v41, s0
	v_cmp_gt_i32_e64 s0, s9, v25
	s_delay_alu instid0(VALU_DEP_1) | instskip(SKIP_1) | instid1(VALU_DEP_2)
	v_cndmask_b32_e64 v2, 0, v2, s0
	v_cmp_gt_i32_e64 s0, s7, v24
	v_perm_b32 v2, v41, v2, 0x5040100
	s_delay_alu instid0(VALU_DEP_2) | instskip(SKIP_1) | instid1(VALU_DEP_1)
	v_cndmask_b32_e64 v42, 0, v42, s0
	v_cmp_gt_i32_e64 s0, s33, v23
	v_cndmask_b32_e64 v1, 0, v1, s0
	s_delay_alu instid0(VALU_DEP_1)
	v_perm_b32 v1, v42, v1, 0x5040100
.LBB92_43:                              ;   in Loop: Header=BB92_40 Depth=1
	s_or_b32 exec_lo, exec_lo, s22
	v_and_b32_e32 v35, 0xffff, v35
	v_and_b32_e32 v39, 0xffff, v36
	;; [unrolled: 1-line block ×4, first 2 shown]
	s_delay_alu instid0(VALU_DEP_4)
	v_lshl_or_b32 v36, v31, 16, v35
	s_waitcnt vmcnt(0)
	;;#ASMSTART
	v_pk_mul_f16 v1, v36, v1;

	;;#ASMEND
	v_lshl_or_b32 v35, v32, 16, v39
	v_lshl_or_b32 v33, v33, 16, v37
	;; [unrolled: 1-line block ×3, first 2 shown]
	;;#ASMSTART
	v_pk_mul_f16 v2, v35, v2;

	;;#ASMEND
	;;#ASMSTART
	v_pk_mul_f16 v3, v33, v3;

	;;#ASMEND
	;; [unrolled: 4-line block ×3, first 2 shown]
	;;#ASMSTART
	v_pk_add_f16 v1, v1, v2;

	;;#ASMEND
	;;#ASMSTART
	v_pk_add_f16 v1, v1, v3;

	;;#ASMEND
	;; [unrolled: 4-line block ×3, first 2 shown]
	v_and_b32_e32 v2, 0xffff, v1
	v_lshrrev_b32_e32 v1, 16, v1
	;;#ASMSTART
	v_cvt_f32_f16 v32, v2;
	;;#ASMEND
	;;#ASMSTART
	v_cvt_f32_f16 v34, v1;
	;;#ASMEND
	global_load_b128 v[1:4], v[11:12], off offset:512
	s_and_saveexec_b32 s0, vcc_lo
	s_cbranch_execz .LBB92_38
; %bb.44:                               ;   in Loop: Header=BB92_40 Depth=1
	v_cmp_gt_i32_e32 vcc_lo, s17, v30
	s_waitcnt vmcnt(0)
	v_lshrrev_b32_e32 v11, 16, v4
	v_lshrrev_b32_e32 v12, 16, v3
	v_cndmask_b32_e32 v4, 0, v4, vcc_lo
	v_cmp_gt_i32_e32 vcc_lo, s18, v29
	s_delay_alu instid0(VALU_DEP_4) | instskip(SKIP_2) | instid1(VALU_DEP_3)
	v_cndmask_b32_e32 v11, 0, v11, vcc_lo
	v_cmp_gt_i32_e32 vcc_lo, s16, v28
	v_lshrrev_b32_e32 v28, 16, v2
	v_perm_b32 v4, v11, v4, 0x5040100
	v_cndmask_b32_e32 v12, 0, v12, vcc_lo
	v_cmp_gt_i32_e32 vcc_lo, s15, v27
	v_lshrrev_b32_e32 v27, 16, v1
	v_cndmask_b32_e32 v3, 0, v3, vcc_lo
	v_cmp_gt_i32_e32 vcc_lo, s10, v26
	s_delay_alu instid0(VALU_DEP_2)
	v_perm_b32 v3, v12, v3, 0x5040100
	v_cndmask_b32_e32 v26, 0, v28, vcc_lo
	v_cmp_gt_i32_e32 vcc_lo, s9, v25
	v_cndmask_b32_e32 v2, 0, v2, vcc_lo
	v_cmp_gt_i32_e32 vcc_lo, s7, v24
	v_cndmask_b32_e32 v24, 0, v27, vcc_lo
	v_cmp_gt_i32_e32 vcc_lo, s33, v23
	v_cndmask_b32_e32 v1, 0, v1, vcc_lo
	v_perm_b32 v2, v26, v2, 0x5040100
	s_delay_alu instid0(VALU_DEP_2)
	v_perm_b32 v1, v24, v1, 0x5040100
	s_branch .LBB92_38
.LBB92_45:
	s_or_b32 exec_lo, exec_lo, s3
.LBB92_46:
	s_delay_alu instid0(SALU_CYCLE_1)
	s_or_b32 exec_lo, exec_lo, s1
	ds_bpermute_b32 v1, v18, v7
	ds_bpermute_b32 v4, v18, v8
	v_and_b32_e32 v5, 0x3c1, v0
	v_lshrrev_b32_e32 v3, 1, v17
	s_mov_b32 s0, exec_lo
	s_waitcnt lgkmcnt(0)
	s_waitcnt_vscnt null, 0x0
	s_barrier
	buffer_gl0_inv
	v_dual_add_f32 v2, v7, v1 :: v_dual_add_f32 v1, v8, v4
	v_cmpx_eq_u32_e32 64, v5
	s_cbranch_execz .LBB92_48
; %bb.47:
	v_lshl_add_u32 v4, v15, 7, 0x60
	v_lshlrev_b32_e32 v5, 2, v3
	s_delay_alu instid0(VALU_DEP_1)
	v_add3_u32 v4, v4, v5, 0xffffff00
	ds_store_2addr_b32 v4, v2, v1 offset1:16
.LBB92_48:
	s_or_b32 exec_lo, exec_lo, s0
	v_and_b32_e32 v4, 0x3e0, v0
	v_cmp_eq_u32_e32 vcc_lo, 0, v14
	s_mov_b32 s1, exec_lo
	s_waitcnt lgkmcnt(0)
	s_barrier
	v_lshl_add_u32 v4, v4, 2, 0x60
	buffer_gl0_inv
	v_cmpx_gt_u32_e32 64, v0
	s_cbranch_execz .LBB92_54
; %bb.49:
	s_and_saveexec_b32 s0, vcc_lo
	s_cbranch_execz .LBB92_51
; %bb.50:
	v_lshl_add_u32 v5, v3, 2, v4
	ds_load_b32 v5, v5
	s_waitcnt lgkmcnt(0)
	v_add_f32_e32 v2, v2, v5
.LBB92_51:
	s_or_b32 exec_lo, exec_lo, s0
	s_and_saveexec_b32 s0, vcc_lo
	s_cbranch_execz .LBB92_53
; %bb.52:
	v_lshl_add_u32 v5, v3, 2, v4
	ds_load_b32 v5, v5 offset:64
	s_waitcnt lgkmcnt(0)
	v_add_f32_e32 v1, v1, v5
.LBB92_53:
	s_or_b32 exec_lo, exec_lo, s0
.LBB92_54:
	s_delay_alu instid0(SALU_CYCLE_1)
	s_or_b32 exec_lo, exec_lo, s1
	v_and_b32_e32 v5, 0x3e1, v0
	s_mov_b32 s1, exec_lo
	s_barrier
	buffer_gl0_inv
	v_cmpx_eq_u32_e32 32, v5
	s_cbranch_execz .LBB92_56
; %bb.55:
	v_lshl_add_u32 v6, v3, 2, 0x60
	ds_store_2addr_b32 v6, v2, v1 offset1:16
.LBB92_56:
	s_or_b32 exec_lo, exec_lo, s1
	s_delay_alu instid0(SALU_CYCLE_1)
	s_mov_b32 s1, exec_lo
	s_waitcnt lgkmcnt(0)
	s_barrier
	buffer_gl0_inv
	v_cmpx_gt_u32_e32 32, v0
	s_cbranch_execz .LBB92_62
; %bb.57:
	v_lshl_add_u32 v0, v3, 2, v4
	s_and_saveexec_b32 s0, vcc_lo
	s_cbranch_execz .LBB92_59
; %bb.58:
	ds_load_b32 v3, v0
	s_waitcnt lgkmcnt(0)
	v_add_f32_e32 v2, v2, v3
.LBB92_59:
	s_or_b32 exec_lo, exec_lo, s0
	s_and_saveexec_b32 s0, vcc_lo
	s_cbranch_execz .LBB92_61
; %bb.60:
	ds_load_b32 v0, v0 offset:64
	s_waitcnt lgkmcnt(0)
	v_add_f32_e32 v1, v1, v0
.LBB92_61:
	s_or_b32 exec_lo, exec_lo, s0
.LBB92_62:
	s_delay_alu instid0(SALU_CYCLE_1)
	s_or_b32 exec_lo, exec_lo, s1
	s_barrier
	buffer_gl0_inv
	s_mov_b32 s0, exec_lo
	v_cmpx_eq_u32_e32 0, v5
	s_cbranch_execz .LBB92_64
; %bb.63:
	s_lshl_b32 s0, s14, 5
	s_mul_i32 s2, s8, s12
	s_ashr_i32 s1, s0, 31
	v_lshlrev_b32_e32 v0, 1, v13
	s_lshl_b64 s[0:1], s[0:1], 1
	;;#ASMSTART
	v_cvt_f16_f32 v2, v2;

	;;#ASMEND
	s_add_u32 s5, s20, s0
	s_addc_u32 s6, s21, s1
	s_ashr_i32 s3, s2, 31
	s_delay_alu instid0(SALU_CYCLE_1) | instskip(NEXT) | instid1(SALU_CYCLE_1)
	s_lshl_b64 s[0:1], s[2:3], 1
	s_add_u32 s2, s5, s0
	s_addc_u32 s3, s6, s1
	s_ashr_i32 s5, s4, 31
	s_delay_alu instid0(SALU_CYCLE_1) | instskip(NEXT) | instid1(SALU_CYCLE_1)
	s_lshl_b64 s[0:1], s[4:5], 1
	s_add_u32 s0, s2, s0
	s_addc_u32 s1, s3, s1
	global_store_b16 v0, v2, s[0:1]
	;;#ASMSTART
	v_cvt_f16_f32 v1, v1;

	;;#ASMEND
	global_store_b16 v0, v1, s[0:1] offset:32
.LBB92_64:
	s_nop 0
	s_sendmsg sendmsg(MSG_DEALLOC_VGPRS)
	s_endpgm
	.section	.rodata,"a",@progbits
	.p2align	6, 0x0
	.amdhsa_kernel _ZN4vllm25paged_attention_v2_kernelIttLi32ELi16ELi128ELNS_18Fp8KVCacheDataTypeE0ELb1ELi512EEEvPfS2_PT_PKS3_PKT0_S9_ifPKiSB_iPKfiiiSD_SD_iiiii
		.amdhsa_group_segment_fixed_size 96
		.amdhsa_private_segment_fixed_size 0
		.amdhsa_kernarg_size 400
		.amdhsa_user_sgpr_count 13
		.amdhsa_user_sgpr_dispatch_ptr 0
		.amdhsa_user_sgpr_queue_ptr 0
		.amdhsa_user_sgpr_kernarg_segment_ptr 1
		.amdhsa_user_sgpr_dispatch_id 0
		.amdhsa_user_sgpr_private_segment_size 0
		.amdhsa_wavefront_size32 1
		.amdhsa_uses_dynamic_stack 0
		.amdhsa_enable_private_segment 0
		.amdhsa_system_sgpr_workgroup_id_x 1
		.amdhsa_system_sgpr_workgroup_id_y 1
		.amdhsa_system_sgpr_workgroup_id_z 1
		.amdhsa_system_sgpr_workgroup_info 0
		.amdhsa_system_vgpr_workitem_id 0
		.amdhsa_next_free_vgpr 52
		.amdhsa_next_free_sgpr 45
		.amdhsa_reserve_vcc 1
		.amdhsa_float_round_mode_32 0
		.amdhsa_float_round_mode_16_64 0
		.amdhsa_float_denorm_mode_32 3
		.amdhsa_float_denorm_mode_16_64 3
		.amdhsa_dx10_clamp 1
		.amdhsa_ieee_mode 1
		.amdhsa_fp16_overflow 0
		.amdhsa_workgroup_processor_mode 1
		.amdhsa_memory_ordered 1
		.amdhsa_forward_progress 0
		.amdhsa_shared_vgpr_count 0
		.amdhsa_exception_fp_ieee_invalid_op 0
		.amdhsa_exception_fp_denorm_src 0
		.amdhsa_exception_fp_ieee_div_zero 0
		.amdhsa_exception_fp_ieee_overflow 0
		.amdhsa_exception_fp_ieee_underflow 0
		.amdhsa_exception_fp_ieee_inexact 0
		.amdhsa_exception_int_div_zero 0
	.end_amdhsa_kernel
	.section	.text._ZN4vllm25paged_attention_v2_kernelIttLi32ELi16ELi128ELNS_18Fp8KVCacheDataTypeE0ELb1ELi512EEEvPfS2_PT_PKS3_PKT0_S9_ifPKiSB_iPKfiiiSD_SD_iiiii,"axG",@progbits,_ZN4vllm25paged_attention_v2_kernelIttLi32ELi16ELi128ELNS_18Fp8KVCacheDataTypeE0ELb1ELi512EEEvPfS2_PT_PKS3_PKT0_S9_ifPKiSB_iPKfiiiSD_SD_iiiii,comdat
.Lfunc_end92:
	.size	_ZN4vllm25paged_attention_v2_kernelIttLi32ELi16ELi128ELNS_18Fp8KVCacheDataTypeE0ELb1ELi512EEEvPfS2_PT_PKS3_PKT0_S9_ifPKiSB_iPKfiiiSD_SD_iiiii, .Lfunc_end92-_ZN4vllm25paged_attention_v2_kernelIttLi32ELi16ELi128ELNS_18Fp8KVCacheDataTypeE0ELb1ELi512EEEvPfS2_PT_PKS3_PKT0_S9_ifPKiSB_iPKfiiiSD_SD_iiiii
                                        ; -- End function
	.section	.AMDGPU.csdata,"",@progbits
; Kernel info:
; codeLenInByte = 6120
; NumSgprs: 47
; NumVgprs: 52
; ScratchSize: 0
; MemoryBound: 0
; FloatMode: 240
; IeeeMode: 1
; LDSByteSize: 96 bytes/workgroup (compile time only)
; SGPRBlocks: 5
; VGPRBlocks: 6
; NumSGPRsForWavesPerEU: 47
; NumVGPRsForWavesPerEU: 52
; Occupancy: 16
; WaveLimiterHint : 1
; COMPUTE_PGM_RSRC2:SCRATCH_EN: 0
; COMPUTE_PGM_RSRC2:USER_SGPR: 13
; COMPUTE_PGM_RSRC2:TRAP_HANDLER: 0
; COMPUTE_PGM_RSRC2:TGID_X_EN: 1
; COMPUTE_PGM_RSRC2:TGID_Y_EN: 1
; COMPUTE_PGM_RSRC2:TGID_Z_EN: 1
; COMPUTE_PGM_RSRC2:TIDIG_COMP_CNT: 0
	.section	.text._ZN4vllm25paged_attention_v2_kernelIttLi64ELi16ELi128ELNS_18Fp8KVCacheDataTypeE0ELb1ELi512EEEvPfS2_PT_PKS3_PKT0_S9_ifPKiSB_iPKfiiiSD_SD_iiiii,"axG",@progbits,_ZN4vllm25paged_attention_v2_kernelIttLi64ELi16ELi128ELNS_18Fp8KVCacheDataTypeE0ELb1ELi512EEEvPfS2_PT_PKS3_PKT0_S9_ifPKiSB_iPKfiiiSD_SD_iiiii,comdat
	.protected	_ZN4vllm25paged_attention_v2_kernelIttLi64ELi16ELi128ELNS_18Fp8KVCacheDataTypeE0ELb1ELi512EEEvPfS2_PT_PKS3_PKT0_S9_ifPKiSB_iPKfiiiSD_SD_iiiii ; -- Begin function _ZN4vllm25paged_attention_v2_kernelIttLi64ELi16ELi128ELNS_18Fp8KVCacheDataTypeE0ELb1ELi512EEEvPfS2_PT_PKS3_PKT0_S9_ifPKiSB_iPKfiiiSD_SD_iiiii
	.globl	_ZN4vllm25paged_attention_v2_kernelIttLi64ELi16ELi128ELNS_18Fp8KVCacheDataTypeE0ELb1ELi512EEEvPfS2_PT_PKS3_PKT0_S9_ifPKiSB_iPKfiiiSD_SD_iiiii
	.p2align	8
	.type	_ZN4vllm25paged_attention_v2_kernelIttLi64ELi16ELi128ELNS_18Fp8KVCacheDataTypeE0ELb1ELi512EEEvPfS2_PT_PKS3_PKT0_S9_ifPKiSB_iPKfiiiSD_SD_iiiii,@function
_ZN4vllm25paged_attention_v2_kernelIttLi64ELi16ELi128ELNS_18Fp8KVCacheDataTypeE0ELb1ELi512EEEvPfS2_PT_PKS3_PKT0_S9_ifPKiSB_iPKfiiiSD_SD_iiiii: ; @_ZN4vllm25paged_attention_v2_kernelIttLi64ELi16ELi128ELNS_18Fp8KVCacheDataTypeE0ELb1ELi512EEEvPfS2_PT_PKS3_PKT0_S9_ifPKiSB_iPKfiiiSD_SD_iiiii
; %bb.0:
	s_load_b64 s[2:3], s[0:1], 0x40
	s_mov_b32 s12, s15
	s_ashr_i32 s15, s14, 31
	s_delay_alu instid0(SALU_CYCLE_1)
	s_lshl_b64 s[4:5], s[14:15], 2
	s_waitcnt lgkmcnt(0)
	s_add_u32 s2, s2, s4
	s_addc_u32 s3, s3, s5
	s_lshl_b32 s38, s12, 9
	s_load_b32 s15, s[2:3], 0x0
	s_waitcnt lgkmcnt(0)
	s_cmp_ge_i32 s38, s15
	s_cbranch_scc1 .LBB93_70
; %bb.1:
	s_mov_b32 s24, s13
	s_clause 0x1
	s_load_b32 s13, s[0:1], 0x90
	s_load_b64 s[36:37], s[0:1], 0x30
	s_mov_b32 s40, 0
	s_waitcnt lgkmcnt(0)
	s_abs_i32 s5, s13
	s_abs_i32 s2, s36
	s_delay_alu instid0(SALU_CYCLE_1) | instskip(SKIP_1) | instid1(VALU_DEP_1)
	v_cvt_f32_u32_e32 v1, s2
	s_sub_i32 s4, 0, s2
	v_rcp_iflag_f32_e32 v1, v1
	s_waitcnt_depctr 0xfff
	v_mul_f32_e32 v1, 0x4f7ffffe, v1
	s_delay_alu instid0(VALU_DEP_1) | instskip(NEXT) | instid1(VALU_DEP_1)
	v_cvt_u32_f32_e32 v1, v1
	v_readfirstlane_b32 s3, v1
	s_delay_alu instid0(VALU_DEP_1) | instskip(NEXT) | instid1(SALU_CYCLE_1)
	s_mul_i32 s4, s4, s3
	s_mul_hi_u32 s4, s3, s4
	s_delay_alu instid0(SALU_CYCLE_1) | instskip(SKIP_4) | instid1(SALU_CYCLE_1)
	s_add_i32 s3, s3, s4
	s_xor_b32 s4, s13, s36
	s_mul_hi_u32 s3, s5, s3
	s_ashr_i32 s4, s4, 31
	s_mul_i32 s6, s3, s2
	s_sub_i32 s5, s5, s6
	s_add_i32 s6, s3, 1
	s_sub_i32 s7, s5, s2
	s_cmp_ge_u32 s5, s2
	s_cselect_b32 s3, s6, s3
	s_cselect_b32 s5, s7, s5
	s_add_i32 s6, s3, 1
	s_cmp_ge_u32 s5, s2
	s_cselect_b32 s2, s6, s3
	s_abs_i32 s17, s24
	s_xor_b32 s2, s2, s4
	s_delay_alu instid0(SALU_CYCLE_1) | instskip(SKIP_2) | instid1(SALU_CYCLE_1)
	s_sub_i32 s8, s2, s4
	s_load_b64 s[2:3], s[0:1], 0x50
	s_abs_i32 s16, s8
	v_cvt_f32_u32_e32 v1, s16
	s_sub_i32 s5, 0, s16
	s_delay_alu instid0(VALU_DEP_1) | instskip(SKIP_2) | instid1(VALU_DEP_1)
	v_rcp_iflag_f32_e32 v1, v1
	s_waitcnt_depctr 0xfff
	v_mul_f32_e32 v1, 0x4f7ffffe, v1
	v_cvt_u32_f32_e32 v1, v1
	s_delay_alu instid0(VALU_DEP_1) | instskip(NEXT) | instid1(VALU_DEP_1)
	v_readfirstlane_b32 s4, v1
	s_mul_i32 s5, s5, s4
	s_delay_alu instid0(SALU_CYCLE_1) | instskip(NEXT) | instid1(SALU_CYCLE_1)
	s_mul_hi_u32 s5, s4, s5
	s_add_i32 s4, s4, s5
	s_waitcnt lgkmcnt(0)
	s_cmp_eq_u64 s[2:3], 0
	s_mul_hi_u32 s18, s17, s4
	s_cbranch_scc1 .LBB93_3
; %bb.2:
	s_ashr_i32 s25, s24, 31
	s_delay_alu instid0(SALU_CYCLE_1) | instskip(NEXT) | instid1(SALU_CYCLE_1)
	s_lshl_b64 s[4:5], s[24:25], 2
	s_add_u32 s2, s2, s4
	s_addc_u32 s3, s3, s5
	s_load_b32 s40, s[2:3], 0x0
.LBB93_3:
	s_load_b128 s[4:7], s[0:1], 0x58
	v_lshrrev_b32_e32 v14, 1, v0
	v_and_b32_e32 v15, 1, v0
	v_lshlrev_b32_e32 v5, 3, v0
	s_ashr_i32 s2, s24, 31
	s_ashr_i32 s3, s8, 31
	s_lshl_b32 s20, s24, 6
	s_waitcnt lgkmcnt(0)
	s_mov_b32 s7, exec_lo
	v_cmpx_gt_u32_e32 16, v0
	s_cbranch_execz .LBB93_5
; %bb.4:
	s_load_b64 s[8:9], s[0:1], 0x18
	s_mul_i32 s10, s14, s4
	v_lshlrev_b32_e32 v3, 3, v14
	s_ashr_i32 s11, s10, 31
	s_delay_alu instid0(SALU_CYCLE_1) | instskip(NEXT) | instid1(VALU_DEP_1)
	s_lshl_b64 s[10:11], s[10:11], 1
	v_lshl_add_u32 v3, v15, 6, v3
	s_waitcnt lgkmcnt(0)
	s_add_u32 s4, s8, s10
	s_addc_u32 s10, s9, s11
	s_ashr_i32 s21, s20, 31
	s_delay_alu instid0(SALU_CYCLE_1) | instskip(NEXT) | instid1(SALU_CYCLE_1)
	s_lshl_b64 s[8:9], s[20:21], 1
	s_add_u32 s8, s4, s8
	s_addc_u32 s9, s10, s9
	global_load_b64 v[1:2], v5, s[8:9]
	s_waitcnt vmcnt(0)
	ds_store_b64 v3, v[1:2]
.LBB93_5:
	s_or_b32 exec_lo, exec_lo, s7
	s_load_b128 s[8:11], s[0:1], 0x78
	s_mul_i32 s4, s18, s16
	s_xor_b32 s2, s2, s3
	s_sub_i32 s3, s17, s4
	s_add_i32 s4, s18, 1
	s_sub_i32 s7, s3, s16
	s_cmp_ge_u32 s3, s16
	s_mov_b32 s17, -1
	s_cselect_b32 s4, s4, s18
	s_cselect_b32 s3, s7, s3
	s_add_i32 s7, s4, 1
	s_cmp_ge_u32 s3, s16
	s_waitcnt lgkmcnt(0)
	s_cselect_b32 s3, s7, s4
	s_load_b32 s4, s[0:1], 0x88
	s_xor_b32 s3, s3, s2
	s_add_i32 s16, s15, -1
	s_sub_i32 s3, s3, s2
	s_abs_i32 s7, s16
	s_waitcnt lgkmcnt(0)
	s_barrier
	s_abs_i32 s21, s11
	buffer_gl0_inv
	v_cvt_f32_u32_e32 v1, s21
	s_sub_i32 s2, 0, s21
                                        ; implicit-def: $sgpr33
	s_delay_alu instid0(VALU_DEP_1) | instskip(SKIP_2) | instid1(VALU_DEP_1)
	v_rcp_iflag_f32_e32 v1, v1
	s_waitcnt_depctr 0xfff
	v_mul_f32_e32 v1, 0x4f7ffffe, v1
	v_cvt_u32_f32_e32 v1, v1
	s_delay_alu instid0(VALU_DEP_1) | instskip(NEXT) | instid1(VALU_DEP_1)
	v_readfirstlane_b32 s25, v1
	s_mul_i32 s2, s2, s25
	s_delay_alu instid0(SALU_CYCLE_1) | instskip(NEXT) | instid1(SALU_CYCLE_1)
	s_mul_hi_u32 s2, s25, s2
	s_add_i32 s25, s25, s2
	s_cmp_lt_i32 s4, 0
	s_mul_hi_u32 s2, s7, s25
	s_cbranch_scc0 .LBB93_7
; %bb.6:
	s_mul_i32 s17, s8, s36
	s_delay_alu instid0(SALU_CYCLE_1) | instskip(NEXT) | instid1(SALU_CYCLE_1)
	s_add_i32 s17, s3, s17
	s_mul_i32 s17, s17, s4
	s_delay_alu instid0(SALU_CYCLE_1)
	s_sub_i32 s33, 1, s17
	s_mov_b32 s17, 0
.LBB93_7:
	s_load_b64 s[26:27], s[0:1], 0x38
	s_ashr_i32 s28, s16, 31
	s_and_not1_b32 vcc_lo, exec_lo, s17
	s_ashr_i32 s11, s11, 31
	s_cbranch_vccnz .LBB93_9
; %bb.8:
	s_mul_i32 s8, s13, s8
	s_delay_alu instid0(SALU_CYCLE_1) | instskip(NEXT) | instid1(SALU_CYCLE_1)
	s_add_i32 s8, s8, s24
	s_mul_i32 s4, s8, s4
	s_delay_alu instid0(SALU_CYCLE_1)
	s_add_i32 s33, s4, 1
.LBB93_9:
	s_clause 0x4
	s_load_b32 s8, s[0:1], 0x48
	s_load_b64 s[30:31], s[0:1], 0x28
	s_load_b32 s4, s[0:1], 0x98
	s_load_b128 s[16:19], s[0:1], 0x0
	s_load_b64 s[22:23], s[0:1], 0x10
	s_xor_b32 s34, s28, s11
	s_mul_i32 s28, s2, s21
	s_add_i32 s35, s2, 1
	s_sub_i32 s7, s7, s28
	v_lshrrev_b32_e32 v16, 5, v0
	v_mov_b32_e32 v4, 0xff7fffff
	v_mbcnt_lo_u32_b32 v3, -1, 0
	s_delay_alu instid0(VALU_DEP_3)
	v_lshl_add_u32 v17, v16, 4, s38
	s_waitcnt lgkmcnt(0)
	s_mul_i32 s28, s14, s8
	s_sub_i32 s8, s7, s21
	s_ashr_i32 s29, s28, 31
	s_cmp_ge_u32 s7, s21
	s_cselect_b32 s2, s35, s2
	s_cselect_b32 s7, s8, s7
	s_add_i32 s8, s2, 1
	s_cmp_ge_u32 s7, s21
	s_cselect_b32 s2, s8, s2
	s_add_i32 s8, s15, 15
	s_lshl_b32 s7, s12, 5
	s_ashr_i32 s35, s8, 31
	v_or_b32_e32 v9, s7, v16
	s_lshr_b32 s35, s35, 28
	s_xor_b32 s39, s2, s34
	s_add_i32 s8, s8, s35
	s_add_i32 s35, s7, 32
	s_ashr_i32 s36, s8, 4
	v_ashrrev_i32_e32 v10, 31, v9
	s_min_i32 s8, s35, s36
	s_sub_i32 s39, s39, s34
	v_cmp_gt_i32_e64 s2, s8, v9
	s_mul_i32 s34, s3, s6
	s_delay_alu instid0(VALU_DEP_1)
	s_and_saveexec_b32 s6, s2
	s_cbranch_execz .LBB93_19
; %bb.10:
	s_load_b64 s[0:1], s[0:1], 0x20
	s_ashr_i32 s35, s34, 31
	v_bfe_u32 v6, v0, 1, 4
	s_lshl_b64 s[42:43], s[34:35], 1
	s_sub_i32 s35, s39, s9
	v_cmp_eq_u32_e32 vcc_lo, 0, v15
	v_lshlrev_b32_e32 v7, 6, v15
	v_lshlrev_b32_e32 v13, 2, v6
	v_subrev_nc_u32_e32 v20, s15, v6
	v_lshlrev_b32_e32 v23, 4, v6
	v_lshl_add_u32 v8, v16, 4, s38
	v_mov_b32_e32 v11, 0xff7fffff
	v_lshl_or_b32 v21, v16, 6, v13
	v_add_nc_u32_e32 v13, 1, v20
	v_xor_b32_e32 v12, 1, v3
	s_waitcnt lgkmcnt(0)
	s_add_u32 s3, s0, s42
	s_addc_u32 s1, s1, s43
	s_abs_i32 s41, s10
	v_cmp_neq_f32_e64 s0, s40, 0
	v_cvt_f32_u32_e32 v1, s41
	s_sub_i32 s42, 0, s41
	s_delay_alu instid0(VALU_DEP_1)
	v_rcp_iflag_f32_e32 v4, v1
	v_and_b32_e32 v19, 8, v5
	v_lshlrev_b64 v[1:2], 2, v[9:10]
	s_waitcnt_depctr 0xfff
	v_mul_f32_e32 v18, 0x4f7ffffe, v4
	v_mov_b32_e32 v4, 0xff7fffff
	s_delay_alu instid0(VALU_DEP_2) | instskip(SKIP_2) | instid1(VALU_DEP_1)
	v_cvt_u32_f32_e32 v22, v18
	v_add_nc_u32_e32 v18, 0xa0, v21
	v_add_co_u32 v21, s3, s3, v23
	v_add_co_ci_u32_e64 v23, null, s1, 0, s3
	s_delay_alu instid0(VALU_DEP_4) | instskip(SKIP_1) | instid1(SALU_CYCLE_1)
	v_mul_lo_u32 v20, s42, v22
	s_lshl_b64 s[42:43], s[28:29], 2
	s_add_u32 s1, s26, s42
	s_addc_u32 s3, s27, s43
	v_add_co_u32 v1, s1, s1, v1
	s_delay_alu instid0(VALU_DEP_1) | instskip(NEXT) | instid1(VALU_DEP_3)
	v_add_co_ci_u32_e64 v2, s1, s3, v2, s1
	v_mul_hi_u32 v24, v22, v20
	v_add_co_u32 v19, s1, v21, v19
	s_delay_alu instid0(VALU_DEP_1) | instskip(SKIP_2) | instid1(VALU_DEP_3)
	v_add_co_ci_u32_e64 v20, s1, 0, v23, s1
	s_mov_b32 s42, 0
	s_mov_b32 s43, s5
	v_dual_mov_b32 v22, v9 :: v_dual_add_nc_u32 v21, v22, v24
	s_branch .LBB93_13
.LBB93_11:                              ;   in Loop: Header=BB93_13 Depth=1
	s_or_b32 exec_lo, exec_lo, s44
.LBB93_12:                              ;   in Loop: Header=BB93_13 Depth=1
	s_delay_alu instid0(SALU_CYCLE_1) | instskip(SKIP_2) | instid1(VALU_DEP_1)
	s_or_b32 exec_lo, exec_lo, s3
	v_add_nc_u32_e32 v22, 4, v22
	v_add_co_u32 v1, s3, v1, 16
	v_add_co_ci_u32_e64 v2, s3, 0, v2, s3
	s_delay_alu instid0(VALU_DEP_3) | instskip(SKIP_2) | instid1(VALU_DEP_3)
	v_cmp_le_i32_e64 s1, s8, v22
	v_add_nc_u32_e32 v8, 64, v8
	v_add_nc_u32_e32 v18, 0x100, v18
	s_or_b32 s42, s1, s42
	s_delay_alu instid0(SALU_CYCLE_1)
	s_and_not1_b32 exec_lo, exec_lo, s42
	s_cbranch_execz .LBB93_18
.LBB93_13:                              ; =>This Inner Loop Header: Depth=1
	v_sub_nc_u32_e32 v23, 0, v8
	s_delay_alu instid0(VALU_DEP_1) | instskip(SKIP_1) | instid1(VALU_DEP_1)
	v_max_i32_e32 v23, v8, v23
	s_waitcnt lgkmcnt(0)
	v_mul_hi_u32 v24, v23, s25
	s_delay_alu instid0(VALU_DEP_1) | instskip(NEXT) | instid1(VALU_DEP_1)
	v_mul_lo_u32 v25, v24, s21
	v_sub_nc_u32_e32 v23, v23, v25
	v_add_nc_u32_e32 v25, 1, v24
	s_delay_alu instid0(VALU_DEP_2) | instskip(SKIP_1) | instid1(VALU_DEP_1)
	v_subrev_nc_u32_e32 v26, s21, v23
	v_cmp_le_u32_e64 s1, s21, v23
	v_cndmask_b32_e64 v24, v24, v25, s1
	s_delay_alu instid0(VALU_DEP_3) | instskip(SKIP_1) | instid1(VALU_DEP_3)
	v_cndmask_b32_e64 v23, v23, v26, s1
	v_ashrrev_i32_e32 v25, 31, v8
	v_add_nc_u32_e32 v26, 1, v24
	s_delay_alu instid0(VALU_DEP_3) | instskip(NEXT) | instid1(VALU_DEP_3)
	v_cmp_le_u32_e64 s1, s21, v23
	v_xor_b32_e32 v25, s11, v25
	s_delay_alu instid0(VALU_DEP_2) | instskip(NEXT) | instid1(VALU_DEP_1)
	v_cndmask_b32_e64 v23, v24, v26, s1
	v_xor_b32_e32 v23, v23, v25
	s_delay_alu instid0(VALU_DEP_1) | instskip(NEXT) | instid1(VALU_DEP_1)
	v_sub_nc_u32_e32 v23, v23, v25
	v_add_nc_u32_e32 v24, s33, v23
	v_cmp_ge_i32_e64 s3, s35, v23
	s_delay_alu instid0(VALU_DEP_2) | instskip(NEXT) | instid1(VALU_DEP_1)
	v_sub_nc_u32_e32 v25, 0, v24
	v_max_i32_e32 v25, v24, v25
	v_ashrrev_i32_e32 v24, 31, v24
	s_delay_alu instid0(VALU_DEP_2) | instskip(NEXT) | instid1(VALU_DEP_1)
	v_mul_hi_u32 v26, v25, v21
	v_mul_lo_u32 v26, v26, s41
	s_delay_alu instid0(VALU_DEP_1) | instskip(NEXT) | instid1(VALU_DEP_1)
	v_sub_nc_u32_e32 v25, v25, v26
	v_subrev_nc_u32_e32 v26, s41, v25
	v_cmp_le_u32_e64 s1, s41, v25
	s_delay_alu instid0(VALU_DEP_1) | instskip(NEXT) | instid1(VALU_DEP_1)
	v_cndmask_b32_e64 v25, v25, v26, s1
	v_subrev_nc_u32_e32 v26, s41, v25
	v_cmp_le_u32_e64 s1, s41, v25
	s_delay_alu instid0(VALU_DEP_1) | instskip(NEXT) | instid1(VALU_DEP_1)
	v_cndmask_b32_e64 v25, v25, v26, s1
	v_xor_b32_e32 v25, v25, v24
	s_delay_alu instid0(VALU_DEP_1) | instskip(NEXT) | instid1(VALU_DEP_1)
	v_sub_nc_u32_e32 v24, v25, v24
	v_cmp_ne_u32_e64 s1, 0, v24
	s_delay_alu instid0(VALU_DEP_1) | instskip(NEXT) | instid1(SALU_CYCLE_1)
	s_and_b32 s1, s1, s3
	s_and_b32 s44, vcc_lo, s1
	s_delay_alu instid0(SALU_CYCLE_1)
	s_and_saveexec_b32 s3, s44
	s_cbranch_execz .LBB93_15
; %bb.14:                               ;   in Loop: Header=BB93_13 Depth=1
	ds_store_b32 v18, v11
.LBB93_15:                              ;   in Loop: Header=BB93_13 Depth=1
	s_or_b32 exec_lo, exec_lo, s3
	s_xor_b32 s1, s1, -1
	s_delay_alu instid0(SALU_CYCLE_1)
	s_and_saveexec_b32 s3, s1
	s_cbranch_execz .LBB93_12
; %bb.16:                               ;   in Loop: Header=BB93_13 Depth=1
	global_load_b32 v25, v[1:2], off
	s_waitcnt vmcnt(0)
	v_mad_i64_i32 v[23:24], null, v25, s43, 0
	s_delay_alu instid0(VALU_DEP_1) | instskip(NEXT) | instid1(VALU_DEP_1)
	v_lshlrev_b64 v[23:24], 1, v[23:24]
	v_add_co_u32 v23, s1, v19, v23
	s_delay_alu instid0(VALU_DEP_1)
	v_add_co_ci_u32_e64 v24, s1, v20, v24, s1
	v_cmp_gt_i32_e64 s1, 32, v12
	s_clause 0x7
	global_load_b64 v[25:26], v[23:24], off
	global_load_b64 v[27:28], v[23:24], off offset:256
	global_load_b64 v[29:30], v[23:24], off offset:512
	;; [unrolled: 1-line block ×7, first 2 shown]
	ds_load_b64 v[39:40], v7
	s_waitcnt lgkmcnt(0)
	v_and_b32_e32 v41, 0xffff, v39
	v_lshrrev_b32_e32 v39, 16, v39
	v_lshrrev_b32_e32 v42, 16, v40
	v_and_b32_e32 v40, 0xffff, v40
	;;#ASMSTART
	v_cvt_f32_f16 v41, v41;
	;;#ASMEND
	;;#ASMSTART
	v_cvt_f32_f16 v39, v39;
	;;#ASMEND
	s_waitcnt vmcnt(7)
	v_and_b32_e32 v43, 0xffff, v25
	v_lshrrev_b32_e32 v25, 16, v25
	v_lshrrev_b32_e32 v44, 16, v26
	v_and_b32_e32 v26, 0xffff, v26
	;;#ASMSTART
	v_cvt_f32_f16 v43, v43;
	;;#ASMEND
	;;#ASMSTART
	v_cvt_f32_f16 v45, v25;
	;;#ASMEND
	;;#ASMSTART
	v_cvt_f32_f16 v40, v40;
	;;#ASMEND
	;;#ASMSTART
	v_cvt_f32_f16 v42, v42;
	;;#ASMEND
	;;#ASMSTART
	v_cvt_f32_f16 v46, v26;
	;;#ASMEND
	;;#ASMSTART
	v_cvt_f32_f16 v44, v44;
	;;#ASMEND
	ds_load_b64 v[25:26], v7 offset:8
	s_waitcnt vmcnt(6)
	v_lshrrev_b32_e32 v47, 16, v27
	v_and_b32_e32 v27, 0xffff, v27
	v_lshrrev_b32_e32 v48, 16, v28
	s_waitcnt vmcnt(5)
	v_lshrrev_b32_e32 v53, 16, v29
	v_lshrrev_b32_e32 v54, 16, v30
	s_waitcnt vmcnt(4)
	v_lshrrev_b32_e32 v59, 16, v31
	;; [unrolled: 3-line block ×5, first 2 shown]
	v_lshrrev_b32_e32 v78, 16, v38
	s_waitcnt lgkmcnt(0)
	v_and_b32_e32 v49, 0xffff, v25
	v_lshrrev_b32_e32 v25, 16, v25
	;;#ASMSTART
	v_cvt_f32_f16 v49, v49;
	;;#ASMEND
	;;#ASMSTART
	v_cvt_f32_f16 v51, v25;
	;;#ASMEND
	;; [unrolled: 3-line block ×4, first 2 shown]
	v_mul_f32_e32 v27, v49, v27
	v_dual_mul_f32 v47, v51, v47 :: v_dual_and_b32 v28, 0xffff, v28
	v_lshrrev_b32_e32 v50, 16, v26
	s_delay_alu instid0(VALU_DEP_3) | instskip(NEXT) | instid1(VALU_DEP_3)
	v_dual_fmac_f32 v27, v41, v43 :: v_dual_and_b32 v26, 0xffff, v26
	v_fmac_f32_e32 v47, v39, v45
	;;#ASMSTART
	v_cvt_f32_f16 v52, v26;
	;;#ASMEND
	;;#ASMSTART
	v_cvt_f32_f16 v50, v50;
	;;#ASMEND
	;;#ASMSTART
	v_cvt_f32_f16 v28, v28;
	;;#ASMEND
	;;#ASMSTART
	v_cvt_f32_f16 v48, v48;
	;;#ASMEND
	ds_load_b64 v[25:26], v7 offset:16
	v_mul_f32_e32 v28, v52, v28
	v_mul_f32_e32 v48, v50, v48
	s_waitcnt vmcnt(0)
	v_lshrrev_b32_e32 v39, 16, v23
	s_delay_alu instid0(VALU_DEP_3)
	v_dual_fmac_f32 v28, v40, v46 :: v_dual_and_b32 v29, 0xffff, v29
	s_waitcnt lgkmcnt(0)
	v_dual_fmac_f32 v48, v42, v44 :: v_dual_and_b32 v55, 0xffff, v25
	v_lshrrev_b32_e32 v25, 16, v25
	v_lshrrev_b32_e32 v56, 16, v26
	;;#ASMSTART
	v_cvt_f32_f16 v55, v55;
	;;#ASMEND
	;;#ASMSTART
	v_cvt_f32_f16 v57, v25;
	;;#ASMEND
	;; [unrolled: 3-line block ×3, first 2 shown]
	v_dual_fmac_f32 v27, v55, v29 :: v_dual_and_b32 v30, 0xffff, v30
	;;#ASMSTART
	v_cvt_f32_f16 v53, v53;
	;;#ASMEND
	v_dual_fmac_f32 v47, v57, v53 :: v_dual_and_b32 v26, 0xffff, v26
	;;#ASMSTART
	v_cvt_f32_f16 v58, v26;
	;;#ASMEND
	;;#ASMSTART
	v_cvt_f32_f16 v56, v56;
	;;#ASMEND
	;;#ASMSTART
	v_cvt_f32_f16 v30, v30;
	;;#ASMEND
	;;#ASMSTART
	v_cvt_f32_f16 v54, v54;
	;;#ASMEND
	ds_load_b64 v[25:26], v7 offset:24
	v_dual_fmac_f32 v28, v58, v30 :: v_dual_and_b32 v31, 0xffff, v31
	s_waitcnt lgkmcnt(0)
	v_dual_fmac_f32 v48, v56, v54 :: v_dual_and_b32 v61, 0xffff, v25
	v_lshrrev_b32_e32 v25, 16, v25
	v_lshrrev_b32_e32 v62, 16, v26
	;;#ASMSTART
	v_cvt_f32_f16 v61, v61;
	;;#ASMEND
	;;#ASMSTART
	v_cvt_f32_f16 v63, v25;
	;;#ASMEND
	;;#ASMSTART
	v_cvt_f32_f16 v31, v31;
	;;#ASMEND
	v_dual_fmac_f32 v27, v61, v31 :: v_dual_and_b32 v32, 0xffff, v32
	;;#ASMSTART
	v_cvt_f32_f16 v59, v59;
	;;#ASMEND
	v_dual_fmac_f32 v47, v63, v59 :: v_dual_and_b32 v26, 0xffff, v26
	;;#ASMSTART
	v_cvt_f32_f16 v64, v26;
	;;#ASMEND
	;;#ASMSTART
	v_cvt_f32_f16 v62, v62;
	;;#ASMEND
	;; [unrolled: 3-line block ×4, first 2 shown]
	ds_load_b64 v[25:26], v7 offset:32
	v_dual_fmac_f32 v28, v64, v32 :: v_dual_and_b32 v33, 0xffff, v33
	v_fmac_f32_e32 v48, v62, v60
	v_lshrrev_b32_e32 v31, 16, v24
	s_waitcnt lgkmcnt(0)
	v_and_b32_e32 v67, 0xffff, v25
	v_lshrrev_b32_e32 v25, 16, v25
	v_lshrrev_b32_e32 v68, 16, v26
	;;#ASMSTART
	v_cvt_f32_f16 v67, v67;
	;;#ASMEND
	;;#ASMSTART
	v_cvt_f32_f16 v69, v25;
	;;#ASMEND
	;; [unrolled: 3-line block ×3, first 2 shown]
	v_dual_fmac_f32 v27, v67, v33 :: v_dual_and_b32 v34, 0xffff, v34
	;;#ASMSTART
	v_cvt_f32_f16 v65, v65;
	;;#ASMEND
	v_dual_fmac_f32 v47, v69, v65 :: v_dual_and_b32 v26, 0xffff, v26
	;;#ASMSTART
	v_cvt_f32_f16 v70, v26;
	;;#ASMEND
	;;#ASMSTART
	v_cvt_f32_f16 v68, v68;
	;;#ASMEND
	;; [unrolled: 3-line block ×4, first 2 shown]
	ds_load_b64 v[25:26], v7 offset:40
	v_dual_fmac_f32 v28, v70, v34 :: v_dual_and_b32 v35, 0xffff, v35
	s_waitcnt lgkmcnt(0)
	v_dual_fmac_f32 v48, v68, v66 :: v_dual_and_b32 v73, 0xffff, v25
	v_lshrrev_b32_e32 v25, 16, v25
	v_lshrrev_b32_e32 v74, 16, v26
	;;#ASMSTART
	v_cvt_f32_f16 v73, v73;
	;;#ASMEND
	;;#ASMSTART
	v_cvt_f32_f16 v75, v25;
	;;#ASMEND
	;; [unrolled: 3-line block ×3, first 2 shown]
	v_dual_fmac_f32 v27, v73, v35 :: v_dual_and_b32 v36, 0xffff, v36
	;;#ASMSTART
	v_cvt_f32_f16 v71, v71;
	;;#ASMEND
	v_dual_fmac_f32 v47, v75, v71 :: v_dual_and_b32 v26, 0xffff, v26
	;;#ASMSTART
	v_cvt_f32_f16 v76, v26;
	;;#ASMEND
	;;#ASMSTART
	v_cvt_f32_f16 v74, v74;
	;;#ASMEND
	;; [unrolled: 3-line block ×4, first 2 shown]
	ds_load_b64 v[25:26], v7 offset:48
	v_dual_fmac_f32 v28, v76, v36 :: v_dual_and_b32 v37, 0xffff, v37
	s_waitcnt lgkmcnt(0)
	v_dual_fmac_f32 v48, v74, v72 :: v_dual_and_b32 v29, 0xffff, v25
	v_lshrrev_b32_e32 v25, 16, v25
	v_lshrrev_b32_e32 v30, 16, v26
	;;#ASMSTART
	v_cvt_f32_f16 v29, v29;
	;;#ASMEND
	;;#ASMSTART
	v_cvt_f32_f16 v40, v25;
	;;#ASMEND
	;; [unrolled: 3-line block ×3, first 2 shown]
	v_dual_fmac_f32 v27, v29, v37 :: v_dual_and_b32 v38, 0xffff, v38
	;;#ASMSTART
	v_cvt_f32_f16 v41, v77;
	;;#ASMEND
	v_dual_fmac_f32 v47, v40, v41 :: v_dual_and_b32 v26, 0xffff, v26
	;;#ASMSTART
	v_cvt_f32_f16 v42, v26;
	;;#ASMEND
	;;#ASMSTART
	v_cvt_f32_f16 v30, v30;
	;;#ASMEND
	;; [unrolled: 3-line block ×4, first 2 shown]
	ds_load_b64 v[25:26], v7 offset:56
	v_fmac_f32_e32 v28, v42, v38
	v_fmac_f32_e32 v48, v30, v43
	v_and_b32_e32 v23, 0xffff, v23
	s_waitcnt lgkmcnt(0)
	v_and_b32_e32 v29, 0xffff, v25
	v_lshrrev_b32_e32 v25, 16, v25
	v_lshrrev_b32_e32 v30, 16, v26
	;;#ASMSTART
	v_cvt_f32_f16 v29, v29;
	;;#ASMEND
	;;#ASMSTART
	v_cvt_f32_f16 v25, v25;
	;;#ASMEND
	;; [unrolled: 3-line block ×3, first 2 shown]
	v_dual_fmac_f32 v27, v29, v23 :: v_dual_and_b32 v24, 0xffff, v24
	;;#ASMSTART
	v_cvt_f32_f16 v32, v39;
	;;#ASMEND
	v_dual_fmac_f32 v47, v25, v32 :: v_dual_and_b32 v26, 0xffff, v26
	;;#ASMSTART
	v_cvt_f32_f16 v23, v26;
	;;#ASMEND
	;;#ASMSTART
	v_cvt_f32_f16 v25, v30;
	;;#ASMEND
	;; [unrolled: 3-line block ×3, first 2 shown]
	v_fmac_f32_e32 v28, v23, v24
	;;#ASMSTART
	v_cvt_f32_f16 v24, v31;
	;;#ASMEND
	v_fmac_f32_e32 v48, v25, v24
	v_cndmask_b32_e64 v24, v3, v12, s1
	s_delay_alu instid0(VALU_DEP_1) | instskip(NEXT) | instid1(VALU_DEP_1)
	v_dual_add_f32 v23, v27, v47 :: v_dual_lshlrev_b32 v24, 2, v24
	v_add_f32_e32 v23, v23, v28
	s_delay_alu instid0(VALU_DEP_1)
	v_add_f32_e32 v23, v48, v23
	ds_bpermute_b32 v24, v24, v23
	s_and_saveexec_b32 s44, vcc_lo
	s_cbranch_execz .LBB93_11
; %bb.17:                               ;   in Loop: Header=BB93_13 Depth=1
	s_waitcnt lgkmcnt(0)
	v_add_f32_e32 v23, v23, v24
	v_add_nc_u32_e32 v25, v13, v8
	s_delay_alu instid0(VALU_DEP_1) | instskip(NEXT) | instid1(VALU_DEP_1)
	v_cvt_f32_i32_e32 v25, v25
	v_mul_f32_e32 v25, s40, v25
	s_delay_alu instid0(VALU_DEP_1) | instskip(NEXT) | instid1(VALU_DEP_1)
	v_cndmask_b32_e64 v24, 0, v25, s0
	v_dual_max_f32 v25, v4, v4 :: v_dual_fmac_f32 v24, s37, v23
	v_add_nc_u32_e32 v23, v6, v8
	s_delay_alu instid0(VALU_DEP_2) | instskip(NEXT) | instid1(VALU_DEP_2)
	v_max_f32_e32 v25, v25, v24
	v_cmp_gt_i32_e64 s1, s15, v23
	s_delay_alu instid0(VALU_DEP_1) | instskip(NEXT) | instid1(VALU_DEP_3)
	v_cndmask_b32_e64 v23, 0, v24, s1
	v_cndmask_b32_e64 v4, v4, v25, s1
	ds_store_b32 v18, v23
	s_branch .LBB93_11
.LBB93_18:
	s_or_b32 exec_lo, exec_lo, s42
.LBB93_19:
	s_delay_alu instid0(SALU_CYCLE_1)
	s_or_b32 exec_lo, exec_lo, s6
	v_xor_b32_e32 v1, 16, v3
	v_xor_b32_e32 v2, 8, v3
	;; [unrolled: 1-line block ×3, first 2 shown]
	v_max_f32_e32 v7, v4, v4
	v_and_b32_e32 v18, 31, v0
	v_cmp_gt_i32_e32 vcc_lo, 32, v1
	v_cndmask_b32_e32 v1, v3, v1, vcc_lo
	v_cmp_gt_i32_e32 vcc_lo, 32, v2
	s_delay_alu instid0(VALU_DEP_2) | instskip(SKIP_3) | instid1(VALU_DEP_1)
	v_lshlrev_b32_e32 v6, 2, v1
	ds_bpermute_b32 v1, v6, v4
	s_waitcnt lgkmcnt(0)
	v_dual_cndmask_b32 v2, v3, v2 :: v_dual_max_f32 v1, v1, v1
	v_dual_max_f32 v1, v7, v1 :: v_dual_lshlrev_b32 v4, 2, v2
	v_xor_b32_e32 v7, 4, v3
	ds_bpermute_b32 v2, v4, v1
	v_cmp_gt_i32_e32 vcc_lo, 32, v7
	v_cndmask_b32_e32 v7, v3, v7, vcc_lo
	v_cmp_gt_i32_e32 vcc_lo, 32, v8
	s_delay_alu instid0(VALU_DEP_2) | instskip(SKIP_3) | instid1(VALU_DEP_1)
	v_dual_cndmask_b32 v8, v3, v8 :: v_dual_lshlrev_b32 v7, 2, v7
	v_cmp_eq_u32_e32 vcc_lo, 0, v18
	s_waitcnt lgkmcnt(0)
	v_max_f32_e32 v2, v2, v2
	v_max_f32_e32 v1, v1, v2
	ds_bpermute_b32 v2, v7, v1
	s_waitcnt lgkmcnt(0)
	v_max_f32_e32 v2, v2, v2
	s_delay_alu instid0(VALU_DEP_1)
	v_dual_max_f32 v1, v1, v2 :: v_dual_lshlrev_b32 v2, 2, v8
	v_lshlrev_b32_e32 v8, 2, v16
	ds_bpermute_b32 v11, v2, v1
	s_and_saveexec_b32 s0, vcc_lo
	s_cbranch_execz .LBB93_21
; %bb.20:
	s_waitcnt lgkmcnt(0)
	v_max_f32_e32 v11, v11, v11
	v_max_f32_e32 v1, v1, v1
	s_delay_alu instid0(VALU_DEP_1)
	v_max_f32_e32 v1, v1, v11
	ds_store_b32 v8, v1 offset:128
.LBB93_21:
	s_or_b32 exec_lo, exec_lo, s0
	v_cmp_gt_u32_e64 s0, 4, v18
	v_mov_b32_e32 v1, 0xff7fffff
	s_waitcnt lgkmcnt(0)
	v_lshlrev_b32_e32 v11, 2, v18
	s_barrier
	buffer_gl0_inv
	s_and_saveexec_b32 s1, s0
	s_cbranch_execz .LBB93_23
; %bb.22:
	ds_load_b32 v1, v11 offset:128
.LBB93_23:
	s_or_b32 exec_lo, exec_lo, s1
	s_waitcnt lgkmcnt(0)
	ds_bpermute_b32 v12, v2, v1
	v_xor_b32_e32 v13, 1, v3
	v_max_f32_e32 v1, v1, v1
	s_delay_alu instid0(VALU_DEP_2) | instskip(NEXT) | instid1(VALU_DEP_1)
	v_cmp_gt_i32_e64 s1, 32, v13
	v_cndmask_b32_e64 v3, v3, v13, s1
	s_sub_i32 s1, s8, s7
	s_delay_alu instid0(SALU_CYCLE_1) | instskip(NEXT) | instid1(VALU_DEP_1)
	s_lshl_b32 s1, s1, 4
	v_lshlrev_b32_e32 v19, 2, v3
	s_add_i32 s1, s1, s38
	s_delay_alu instid0(SALU_CYCLE_1) | instskip(SKIP_3) | instid1(SALU_CYCLE_1)
	s_min_i32 s1, s1, s15
	s_waitcnt lgkmcnt(0)
	v_max_f32_e32 v12, v12, v12
	s_sub_i32 s6, s1, s38
	v_cmp_gt_i32_e64 s1, s6, v0
	s_delay_alu instid0(VALU_DEP_2) | instskip(SKIP_3) | instid1(VALU_DEP_1)
	v_dual_max_f32 v1, v1, v12 :: v_dual_mov_b32 v12, 0
	ds_bpermute_b32 v3, v19, v1
	s_waitcnt lgkmcnt(0)
	v_max_f32_e32 v3, v3, v3
	v_max_f32_e32 v1, v1, v3
	v_lshl_add_u32 v3, v0, 2, 0xa0
	ds_bpermute_b32 v1, v12, v1
	s_and_saveexec_b32 s7, s1
	s_cbranch_execz .LBB93_27
; %bb.24:
	v_lshl_add_u32 v13, v0, 2, 0xa0
	v_mov_b32_e32 v12, 0
	v_mov_b32_e32 v20, v0
	s_mov_b32 s35, 0
	.p2align	6
.LBB93_25:                              ; =>This Inner Loop Header: Depth=1
	ds_load_b32 v21, v13
	v_add_nc_u32_e32 v20, 0x80, v20
	s_delay_alu instid0(VALU_DEP_1) | instskip(NEXT) | instid1(VALU_DEP_1)
	v_cmp_le_i32_e64 s3, s6, v20
	s_or_b32 s35, s3, s35
	s_waitcnt lgkmcnt(0)
	v_sub_f32_e32 v21, v21, v1
	s_delay_alu instid0(VALU_DEP_1) | instskip(NEXT) | instid1(VALU_DEP_1)
	v_mul_f32_e32 v21, 0x3fb8aa3b, v21
	v_exp_f32_e32 v21, v21
	ds_store_b32 v13, v21
	v_add_f32_e32 v12, v12, v21
	v_add_nc_u32_e32 v13, 0x200, v13
	s_and_not1_b32 exec_lo, exec_lo, s35
	s_cbranch_execnz .LBB93_25
; %bb.26:
	s_or_b32 exec_lo, exec_lo, s35
.LBB93_27:
	s_delay_alu instid0(SALU_CYCLE_1)
	s_or_b32 exec_lo, exec_lo, s7
	ds_bpermute_b32 v6, v6, v12
	s_waitcnt lgkmcnt(0)
	v_add_f32_e32 v6, v12, v6
	ds_bpermute_b32 v4, v4, v6
	s_waitcnt lgkmcnt(0)
	v_add_f32_e32 v4, v6, v4
	;; [unrolled: 3-line block ×5, first 2 shown]
	s_and_saveexec_b32 s3, vcc_lo
	s_cbranch_execz .LBB93_29
; %bb.28:
	ds_store_b32 v8, v4 offset:144
.LBB93_29:
	s_or_b32 exec_lo, exec_lo, s3
	s_waitcnt lgkmcnt(0)
	s_barrier
	buffer_gl0_inv
	s_and_saveexec_b32 s3, s0
	s_cbranch_execz .LBB93_31
; %bb.30:
	ds_load_b32 v4, v11 offset:144
.LBB93_31:
	s_or_b32 exec_lo, exec_lo, s3
	s_waitcnt lgkmcnt(0)
	ds_bpermute_b32 v2, v2, v4
	s_waitcnt lgkmcnt(0)
	v_add_f32_e32 v2, v4, v2
	ds_bpermute_b32 v4, v19, v2
	s_waitcnt lgkmcnt(0)
	v_add_f32_e32 v2, v2, v4
	v_mov_b32_e32 v4, 0
	ds_bpermute_b32 v2, v4, v2
	s_and_saveexec_b32 s0, s1
	s_cbranch_execz .LBB93_34
; %bb.32:
	s_waitcnt lgkmcnt(0)
	v_add_f32_e32 v4, 0x358637bd, v2
	s_mov_b32 s1, 0
	s_delay_alu instid0(VALU_DEP_1) | instskip(NEXT) | instid1(VALU_DEP_1)
	v_div_scale_f32 v6, null, v4, v4, 1.0
	v_rcp_f32_e32 v7, v6
	s_waitcnt_depctr 0xfff
	v_fma_f32 v8, -v6, v7, 1.0
	s_delay_alu instid0(VALU_DEP_1) | instskip(SKIP_1) | instid1(VALU_DEP_1)
	v_fmac_f32_e32 v7, v8, v7
	v_div_scale_f32 v11, vcc_lo, 1.0, v4, 1.0
	v_mul_f32_e32 v8, v11, v7
	s_delay_alu instid0(VALU_DEP_1) | instskip(NEXT) | instid1(VALU_DEP_1)
	v_fma_f32 v12, -v6, v8, v11
	v_fmac_f32_e32 v8, v12, v7
	s_delay_alu instid0(VALU_DEP_1) | instskip(NEXT) | instid1(VALU_DEP_1)
	v_fma_f32 v6, -v6, v8, v11
	v_div_fmas_f32 v6, v6, v7, v8
	s_delay_alu instid0(VALU_DEP_1)
	v_div_fixup_f32 v4, v6, v4, 1.0
	v_mov_b32_e32 v6, v0
.LBB93_33:                              ; =>This Inner Loop Header: Depth=1
	ds_load_b32 v7, v3
	s_waitcnt lgkmcnt(0)
	v_dual_mul_f32 v7, v4, v7 :: v_dual_add_nc_u32 v6, 0x80, v6
	s_delay_alu instid0(VALU_DEP_1) | instskip(SKIP_3) | instid1(SALU_CYCLE_1)
	v_cmp_le_i32_e32 vcc_lo, s6, v6
	ds_store_b32 v3, v7
	v_add_nc_u32_e32 v3, 0x200, v3
	s_or_b32 s1, vcc_lo, s1
	s_and_not1_b32 exec_lo, exec_lo, s1
	s_cbranch_execnz .LBB93_33
.LBB93_34:
	s_or_b32 exec_lo, exec_lo, s0
	s_mul_i32 s0, s4, s14
	s_waitcnt lgkmcnt(0)
	s_mul_i32 s6, s0, s13
	s_mov_b32 s0, exec_lo
	s_barrier
	buffer_gl0_inv
	v_cmpx_eq_u32_e32 0, v0
	s_cbranch_execz .LBB93_36
; %bb.35:
	s_ashr_i32 s7, s6, 31
	s_mul_i32 s42, s4, s24
	s_lshl_b64 s[40:41], s[6:7], 2
	v_mov_b32_e32 v3, 0
	s_add_u32 s1, s18, s40
	s_addc_u32 s3, s19, s41
	s_ashr_i32 s43, s42, 31
	s_delay_alu instid0(SALU_CYCLE_1) | instskip(NEXT) | instid1(SALU_CYCLE_1)
	s_lshl_b64 s[18:19], s[42:43], 2
	s_add_u32 s1, s1, s18
	s_addc_u32 s3, s3, s19
	s_ashr_i32 s13, s12, 31
	s_delay_alu instid0(SALU_CYCLE_1) | instskip(NEXT) | instid1(SALU_CYCLE_1)
	s_lshl_b64 s[42:43], s[12:13], 2
	s_add_u32 s44, s1, s42
	s_addc_u32 s45, s3, s43
	s_add_u32 s1, s16, s40
	s_addc_u32 s3, s17, s41
	;; [unrolled: 2-line block ×4, first 2 shown]
	s_clause 0x1
	global_store_b32 v3, v1, s[44:45]
	global_store_b32 v3, v2, s[16:17]
.LBB93_36:
	s_or_b32 exec_lo, exec_lo, s0
	v_dual_mov_b32 v4, 0 :: v_dual_mov_b32 v3, 0
	v_dual_mov_b32 v2, 0 :: v_dual_mov_b32 v1, 0
	s_mov_b32 s3, 0
	s_and_saveexec_b32 s1, s2
	s_cbranch_execz .LBB93_50
; %bb.37:
	s_ashr_i32 s35, s34, 31
	s_sub_i32 s2, s39, s9
	s_lshl_b64 s[16:17], s[34:35], 1
	s_mov_b32 s9, s15
	s_add_u32 s0, s30, s16
	s_addc_u32 s24, s31, s17
	s_abs_i32 s7, s10
	s_mov_b32 s16, 0
	v_cvt_f32_u32_e32 v1, s7
	s_sub_i32 s19, 0, s7
	s_lshl_b64 s[28:29], s[28:29], 2
	s_mov_b32 s17, s16
	s_mov_b32 s18, s16
	v_rcp_iflag_f32_e32 v1, v1
	s_add_i32 s36, s36, -1
	s_add_u32 s26, s26, s28
	s_addc_u32 s27, s27, s29
	s_mov_b32 s10, s15
	s_mov_b32 s13, s15
	;; [unrolled: 1-line block ×3, first 2 shown]
	s_waitcnt_depctr 0xfff
	v_dual_mul_f32 v3, 0x4f7ffffe, v1 :: v_dual_lshlrev_b32 v4, 4, v0
	v_lshlrev_b64 v[1:2], 2, v[9:10]
	s_delay_alu instid0(VALU_DEP_2) | instskip(NEXT) | instid1(VALU_DEP_2)
	v_cvt_u32_f32_e32 v3, v3
	v_add_co_u32 v10, vcc_lo, s26, v1
	s_delay_alu instid0(VALU_DEP_3) | instskip(NEXT) | instid1(VALU_DEP_3)
	v_add_co_ci_u32_e32 v11, vcc_lo, s27, v2, vcc_lo
	v_mul_lo_u32 v6, s19, v3
	s_mov_b32 s19, s16
	v_and_b32_e32 v4, 0x1f0, v4
	v_and_b32_e32 v20, 8, v5
	v_lshlrev_b32_e32 v5, 5, v15
	s_delay_alu instid0(VALU_DEP_3) | instskip(SKIP_2) | instid1(VALU_DEP_2)
	v_add_co_u32 v21, s0, s0, v4
	v_mul_hi_u32 v6, v3, v6
	v_add_co_ci_u32_e64 v22, null, s24, 0, s0
	v_dual_mov_b32 v1, s16 :: v_dual_add_nc_u32 v24, v3, v6
	v_mov_b32_e32 v2, s17
	v_lshl_or_b32 v5, v16, 6, v5
	v_dual_mov_b32 v3, s18 :: v_dual_mov_b32 v4, s19
	s_mov_b32 s16, s15
	s_mov_b32 s17, s15
	s_delay_alu instid0(VALU_DEP_2)
	v_add_nc_u32_e32 v23, 0xa0, v5
	s_mov_b32 s18, s15
	s_branch .LBB93_40
.LBB93_38:                              ;   in Loop: Header=BB93_40 Depth=1
	s_or_b32 exec_lo, exec_lo, s0
	s_waitcnt vmcnt(0)
	;;#ASMSTART
	v_pk_mul_f16 v5, v38, v5;

	;;#ASMEND
	;;#ASMSTART
	v_pk_mul_f16 v6, v37, v6;

	;;#ASMEND
	;; [unrolled: 4-line block ×4, first 2 shown]
	;;#ASMSTART
	v_pk_add_f16 v5, v5, v6;

	;;#ASMEND
	;;#ASMSTART
	v_pk_add_f16 v5, v5, v7;

	;;#ASMEND
	;; [unrolled: 4-line block ×3, first 2 shown]
	v_dual_add_f32 v7, v34, v36 :: v_dual_and_b32 v6, 0xffff, v5
	v_lshrrev_b32_e32 v5, 16, v5
	;;#ASMSTART
	v_cvt_f32_f16 v6, v6;
	;;#ASMEND
	;;#ASMSTART
	v_cvt_f32_f16 v5, v5;
	;;#ASMEND
	s_delay_alu instid0(VALU_DEP_1) | instskip(SKIP_1) | instid1(VALU_DEP_2)
	v_dual_add_f32 v8, v39, v40 :: v_dual_add_f32 v5, v6, v5
	v_add_f32_e32 v12, v41, v42
	v_dual_add_f32 v1, v1, v7 :: v_dual_add_f32 v2, v2, v8
	s_delay_alu instid0(VALU_DEP_2)
	v_dual_add_f32 v4, v4, v5 :: v_dual_add_f32 v3, v3, v12
.LBB93_39:                              ;   in Loop: Header=BB93_40 Depth=1
	s_or_b32 exec_lo, exec_lo, s19
	v_add_nc_u32_e32 v9, 4, v9
	v_add_co_u32 v10, s0, v10, 16
	s_delay_alu instid0(VALU_DEP_1) | instskip(NEXT) | instid1(VALU_DEP_3)
	v_add_co_ci_u32_e64 v11, s0, 0, v11, s0
	v_cmp_le_i32_e32 vcc_lo, s8, v9
	v_add_nc_u32_e32 v17, 64, v17
	v_add_nc_u32_e32 v23, 0x100, v23
	s_or_b32 s3, vcc_lo, s3
	s_delay_alu instid0(SALU_CYCLE_1)
	s_and_not1_b32 exec_lo, exec_lo, s3
	s_cbranch_execz .LBB93_49
.LBB93_40:                              ; =>This Inner Loop Header: Depth=1
	v_sub_nc_u32_e32 v5, 0, v17
	s_delay_alu instid0(VALU_DEP_1) | instskip(NEXT) | instid1(VALU_DEP_1)
	v_max_i32_e32 v5, v17, v5
	v_mul_hi_u32 v6, v5, s25
	s_delay_alu instid0(VALU_DEP_1) | instskip(NEXT) | instid1(VALU_DEP_1)
	v_mul_lo_u32 v7, v6, s21
	v_sub_nc_u32_e32 v5, v5, v7
	v_add_nc_u32_e32 v7, 1, v6
	s_delay_alu instid0(VALU_DEP_2) | instskip(SKIP_1) | instid1(VALU_DEP_2)
	v_subrev_nc_u32_e32 v8, s21, v5
	v_cmp_le_u32_e32 vcc_lo, s21, v5
	v_dual_cndmask_b32 v6, v6, v7 :: v_dual_cndmask_b32 v5, v5, v8
	v_ashrrev_i32_e32 v7, 31, v17
	s_delay_alu instid0(VALU_DEP_2) | instskip(NEXT) | instid1(VALU_DEP_3)
	v_add_nc_u32_e32 v8, 1, v6
	v_cmp_le_u32_e32 vcc_lo, s21, v5
	s_delay_alu instid0(VALU_DEP_3) | instskip(NEXT) | instid1(VALU_DEP_3)
	v_xor_b32_e32 v7, s11, v7
	v_cndmask_b32_e32 v5, v6, v8, vcc_lo
	s_delay_alu instid0(VALU_DEP_1) | instskip(NEXT) | instid1(VALU_DEP_1)
	v_xor_b32_e32 v5, v5, v7
	v_sub_nc_u32_e32 v5, v5, v7
	s_delay_alu instid0(VALU_DEP_1) | instskip(SKIP_1) | instid1(VALU_DEP_2)
	v_add_nc_u32_e32 v6, s33, v5
	v_cmp_lt_i32_e64 s0, s2, v5
	v_sub_nc_u32_e32 v7, 0, v6
	s_delay_alu instid0(VALU_DEP_1) | instskip(NEXT) | instid1(VALU_DEP_1)
	v_max_i32_e32 v7, v6, v7
	v_mul_hi_u32 v8, v7, v24
	s_delay_alu instid0(VALU_DEP_1) | instskip(NEXT) | instid1(VALU_DEP_1)
	v_mul_lo_u32 v8, v8, s7
	v_sub_nc_u32_e32 v7, v7, v8
	s_delay_alu instid0(VALU_DEP_1) | instskip(SKIP_1) | instid1(VALU_DEP_2)
	v_subrev_nc_u32_e32 v8, s7, v7
	v_cmp_le_u32_e32 vcc_lo, s7, v7
	v_cndmask_b32_e32 v7, v7, v8, vcc_lo
	v_ashrrev_i32_e32 v6, 31, v6
	s_delay_alu instid0(VALU_DEP_2) | instskip(SKIP_1) | instid1(VALU_DEP_2)
	v_subrev_nc_u32_e32 v8, s7, v7
	v_cmp_le_u32_e32 vcc_lo, s7, v7
	v_cndmask_b32_e32 v7, v7, v8, vcc_lo
	s_delay_alu instid0(VALU_DEP_1) | instskip(NEXT) | instid1(VALU_DEP_1)
	v_xor_b32_e32 v7, v7, v6
	v_sub_nc_u32_e32 v6, v7, v6
	s_delay_alu instid0(VALU_DEP_1) | instskip(SKIP_1) | instid1(SALU_CYCLE_1)
	v_cmp_eq_u32_e32 vcc_lo, 0, v6
	s_or_b32 s0, vcc_lo, s0
	s_and_saveexec_b32 s19, s0
	s_cbranch_execz .LBB93_39
; %bb.41:                               ;   in Loop: Header=BB93_40 Depth=1
	global_load_b32 v29, v[10:11], off
	ds_load_2addr_b64 v[5:8], v23 offset1:1
	ds_load_2addr_b64 v[25:28], v23 offset0:2 offset1:3
	s_waitcnt lgkmcnt(1)
	;;#ASMSTART
	v_cvt_f16_f32 v37, v5;

	;;#ASMEND
	;;#ASMSTART
	v_cvt_f16_f32 v33, v6;

	;;#ASMEND
	;; [unrolled: 4-line block ×4, first 2 shown]
	s_waitcnt lgkmcnt(0)
	;;#ASMSTART
	v_cvt_f16_f32 v39, v25;

	;;#ASMEND
	;;#ASMSTART
	v_cvt_f16_f32 v35, v26;

	;;#ASMEND
	;; [unrolled: 4-line block ×4, first 2 shown]
	v_add_nc_u32_e32 v25, v20, v17
	s_delay_alu instid0(VALU_DEP_1)
	v_add_nc_u32_e32 v26, 1, v25
	v_or_b32_e32 v28, 3, v25
	v_or_b32_e32 v27, 2, v25
	;; [unrolled: 1-line block ×5, first 2 shown]
	s_waitcnt vmcnt(0)
	v_mad_i64_i32 v[12:13], null, v29, s5, 0
	v_or_b32_e32 v29, 4, v25
	s_delay_alu instid0(VALU_DEP_2) | instskip(NEXT) | instid1(VALU_DEP_1)
	v_lshlrev_b64 v[12:13], 1, v[12:13]
	v_add_co_u32 v12, vcc_lo, v21, v12
	s_delay_alu instid0(VALU_DEP_2)
	v_add_co_ci_u32_e32 v13, vcc_lo, v22, v13, vcc_lo
	v_cmp_eq_u32_e32 vcc_lo, s36, v9
	global_load_b128 v[5:8], v[12:13], off
	s_and_saveexec_b32 s24, vcc_lo
	s_cbranch_execz .LBB93_43
; %bb.42:                               ;   in Loop: Header=BB93_40 Depth=1
	v_cmp_gt_i32_e64 s0, s17, v32
	s_waitcnt vmcnt(0)
	v_lshrrev_b32_e32 v41, 16, v8
	v_lshrrev_b32_e32 v42, 16, v7
	;; [unrolled: 1-line block ×4, first 2 shown]
	v_cndmask_b32_e64 v8, 0, v8, s0
	v_cmp_gt_i32_e64 s0, s18, v31
	s_delay_alu instid0(VALU_DEP_1) | instskip(SKIP_1) | instid1(VALU_DEP_2)
	v_cndmask_b32_e64 v41, 0, v41, s0
	v_cmp_gt_i32_e64 s0, s16, v30
	v_perm_b32 v8, v41, v8, 0x5040100
	s_delay_alu instid0(VALU_DEP_2) | instskip(SKIP_1) | instid1(VALU_DEP_1)
	v_cndmask_b32_e64 v42, 0, v42, s0
	v_cmp_gt_i32_e64 s0, s14, v29
	v_cndmask_b32_e64 v7, 0, v7, s0
	v_cmp_gt_i32_e64 s0, s13, v28
	s_delay_alu instid0(VALU_DEP_2) | instskip(NEXT) | instid1(VALU_DEP_2)
	v_perm_b32 v7, v42, v7, 0x5040100
	v_cndmask_b32_e64 v43, 0, v43, s0
	v_cmp_gt_i32_e64 s0, s10, v27
	s_delay_alu instid0(VALU_DEP_1) | instskip(SKIP_1) | instid1(VALU_DEP_2)
	v_cndmask_b32_e64 v6, 0, v6, s0
	v_cmp_gt_i32_e64 s0, s9, v26
	v_perm_b32 v6, v43, v6, 0x5040100
	s_delay_alu instid0(VALU_DEP_2) | instskip(SKIP_1) | instid1(VALU_DEP_1)
	v_cndmask_b32_e64 v44, 0, v44, s0
	v_cmp_gt_i32_e64 s0, s15, v25
	v_cndmask_b32_e64 v5, 0, v5, s0
	s_delay_alu instid0(VALU_DEP_1)
	v_perm_b32 v5, v44, v5, 0x5040100
.LBB93_43:                              ;   in Loop: Header=BB93_40 Depth=1
	s_or_b32 exec_lo, exec_lo, s24
	v_and_b32_e32 v37, 0xffff, v37
	v_and_b32_e32 v41, 0xffff, v38
	;; [unrolled: 1-line block ×4, first 2 shown]
	s_delay_alu instid0(VALU_DEP_4)
	v_lshl_or_b32 v38, v33, 16, v37
	s_waitcnt vmcnt(0)
	;;#ASMSTART
	v_pk_mul_f16 v5, v38, v5;

	;;#ASMEND
	v_lshl_or_b32 v37, v34, 16, v41
	v_lshl_or_b32 v35, v35, 16, v39
	v_lshl_or_b32 v33, v36, 16, v40
	;;#ASMSTART
	v_pk_mul_f16 v6, v37, v6;

	;;#ASMEND
	;;#ASMSTART
	v_pk_mul_f16 v7, v35, v7;

	;;#ASMEND
	;; [unrolled: 4-line block ×3, first 2 shown]
	;;#ASMSTART
	v_pk_add_f16 v5, v5, v6;

	;;#ASMEND
	;;#ASMSTART
	v_pk_add_f16 v5, v5, v7;

	;;#ASMEND
	;; [unrolled: 4-line block ×3, first 2 shown]
	v_and_b32_e32 v6, 0xffff, v5
	v_lshrrev_b32_e32 v5, 16, v5
	;;#ASMSTART
	v_cvt_f32_f16 v34, v6;
	;;#ASMEND
	;;#ASMSTART
	v_cvt_f32_f16 v36, v5;
	;;#ASMEND
	global_load_b128 v[5:8], v[12:13], off offset:512
	s_and_saveexec_b32 s24, vcc_lo
	s_cbranch_execz .LBB93_45
; %bb.44:                               ;   in Loop: Header=BB93_40 Depth=1
	v_cmp_gt_i32_e64 s0, s17, v32
	s_waitcnt vmcnt(0)
	v_lshrrev_b32_e32 v39, 16, v8
	v_lshrrev_b32_e32 v40, 16, v7
	;; [unrolled: 1-line block ×4, first 2 shown]
	v_cndmask_b32_e64 v8, 0, v8, s0
	v_cmp_gt_i32_e64 s0, s18, v31
	s_delay_alu instid0(VALU_DEP_1) | instskip(SKIP_1) | instid1(VALU_DEP_2)
	v_cndmask_b32_e64 v39, 0, v39, s0
	v_cmp_gt_i32_e64 s0, s16, v30
	v_perm_b32 v8, v39, v8, 0x5040100
	s_delay_alu instid0(VALU_DEP_2) | instskip(SKIP_1) | instid1(VALU_DEP_1)
	v_cndmask_b32_e64 v40, 0, v40, s0
	v_cmp_gt_i32_e64 s0, s14, v29
	v_cndmask_b32_e64 v7, 0, v7, s0
	v_cmp_gt_i32_e64 s0, s13, v28
	s_delay_alu instid0(VALU_DEP_2) | instskip(NEXT) | instid1(VALU_DEP_2)
	v_perm_b32 v7, v40, v7, 0x5040100
	v_cndmask_b32_e64 v41, 0, v41, s0
	v_cmp_gt_i32_e64 s0, s10, v27
	s_delay_alu instid0(VALU_DEP_1) | instskip(SKIP_1) | instid1(VALU_DEP_2)
	v_cndmask_b32_e64 v6, 0, v6, s0
	v_cmp_gt_i32_e64 s0, s9, v26
	v_perm_b32 v6, v41, v6, 0x5040100
	s_delay_alu instid0(VALU_DEP_2) | instskip(SKIP_1) | instid1(VALU_DEP_1)
	v_cndmask_b32_e64 v42, 0, v42, s0
	v_cmp_gt_i32_e64 s0, s15, v25
	v_cndmask_b32_e64 v5, 0, v5, s0
	s_delay_alu instid0(VALU_DEP_1)
	v_perm_b32 v5, v42, v5, 0x5040100
.LBB93_45:                              ;   in Loop: Header=BB93_40 Depth=1
	s_or_b32 exec_lo, exec_lo, s24
	s_waitcnt vmcnt(0)
	;;#ASMSTART
	v_pk_mul_f16 v5, v38, v5;

	;;#ASMEND
	;;#ASMSTART
	v_pk_mul_f16 v6, v37, v6;

	;;#ASMEND
	;; [unrolled: 4-line block ×4, first 2 shown]
	;;#ASMSTART
	v_pk_add_f16 v5, v5, v6;

	;;#ASMEND
	;;#ASMSTART
	v_pk_add_f16 v5, v5, v7;

	;;#ASMEND
	;; [unrolled: 4-line block ×3, first 2 shown]
	v_and_b32_e32 v6, 0xffff, v5
	v_lshrrev_b32_e32 v5, 16, v5
	;;#ASMSTART
	v_cvt_f32_f16 v39, v6;
	;;#ASMEND
	;;#ASMSTART
	v_cvt_f32_f16 v40, v5;
	;;#ASMEND
	global_load_b128 v[5:8], v[12:13], off offset:1024
	s_and_saveexec_b32 s24, vcc_lo
	s_cbranch_execz .LBB93_47
; %bb.46:                               ;   in Loop: Header=BB93_40 Depth=1
	v_cmp_gt_i32_e64 s0, s17, v32
	s_waitcnt vmcnt(0)
	v_lshrrev_b32_e32 v41, 16, v8
	v_lshrrev_b32_e32 v42, 16, v7
	;; [unrolled: 1-line block ×4, first 2 shown]
	v_cndmask_b32_e64 v8, 0, v8, s0
	v_cmp_gt_i32_e64 s0, s18, v31
	s_delay_alu instid0(VALU_DEP_1) | instskip(SKIP_1) | instid1(VALU_DEP_2)
	v_cndmask_b32_e64 v41, 0, v41, s0
	v_cmp_gt_i32_e64 s0, s16, v30
	v_perm_b32 v8, v41, v8, 0x5040100
	s_delay_alu instid0(VALU_DEP_2) | instskip(SKIP_1) | instid1(VALU_DEP_1)
	v_cndmask_b32_e64 v42, 0, v42, s0
	v_cmp_gt_i32_e64 s0, s14, v29
	v_cndmask_b32_e64 v7, 0, v7, s0
	v_cmp_gt_i32_e64 s0, s13, v28
	s_delay_alu instid0(VALU_DEP_2) | instskip(NEXT) | instid1(VALU_DEP_2)
	v_perm_b32 v7, v42, v7, 0x5040100
	v_cndmask_b32_e64 v43, 0, v43, s0
	v_cmp_gt_i32_e64 s0, s10, v27
	s_delay_alu instid0(VALU_DEP_1) | instskip(SKIP_1) | instid1(VALU_DEP_2)
	v_cndmask_b32_e64 v6, 0, v6, s0
	v_cmp_gt_i32_e64 s0, s9, v26
	v_perm_b32 v6, v43, v6, 0x5040100
	s_delay_alu instid0(VALU_DEP_2) | instskip(SKIP_1) | instid1(VALU_DEP_1)
	v_cndmask_b32_e64 v44, 0, v44, s0
	v_cmp_gt_i32_e64 s0, s15, v25
	v_cndmask_b32_e64 v5, 0, v5, s0
	s_delay_alu instid0(VALU_DEP_1)
	v_perm_b32 v5, v44, v5, 0x5040100
.LBB93_47:                              ;   in Loop: Header=BB93_40 Depth=1
	s_or_b32 exec_lo, exec_lo, s24
	s_waitcnt vmcnt(0)
	;;#ASMSTART
	v_pk_mul_f16 v5, v38, v5;

	;;#ASMEND
	;;#ASMSTART
	v_pk_mul_f16 v6, v37, v6;

	;;#ASMEND
	;; [unrolled: 4-line block ×4, first 2 shown]
	;;#ASMSTART
	v_pk_add_f16 v5, v5, v6;

	;;#ASMEND
	;;#ASMSTART
	v_pk_add_f16 v5, v5, v7;

	;;#ASMEND
	;; [unrolled: 4-line block ×3, first 2 shown]
	v_and_b32_e32 v6, 0xffff, v5
	v_lshrrev_b32_e32 v5, 16, v5
	;;#ASMSTART
	v_cvt_f32_f16 v41, v6;
	;;#ASMEND
	;;#ASMSTART
	v_cvt_f32_f16 v42, v5;
	;;#ASMEND
	global_load_b128 v[5:8], v[12:13], off offset:1536
	s_and_saveexec_b32 s0, vcc_lo
	s_cbranch_execz .LBB93_38
; %bb.48:                               ;   in Loop: Header=BB93_40 Depth=1
	v_cmp_gt_i32_e32 vcc_lo, s17, v32
	s_waitcnt vmcnt(0)
	v_lshrrev_b32_e32 v12, 16, v8
	v_lshrrev_b32_e32 v13, 16, v7
	v_cndmask_b32_e32 v8, 0, v8, vcc_lo
	v_cmp_gt_i32_e32 vcc_lo, s18, v31
	s_delay_alu instid0(VALU_DEP_4)
	v_cndmask_b32_e32 v12, 0, v12, vcc_lo
	v_cmp_gt_i32_e32 vcc_lo, s16, v30
	v_lshrrev_b32_e32 v30, 16, v6
	v_cndmask_b32_e32 v13, 0, v13, vcc_lo
	v_cmp_gt_i32_e32 vcc_lo, s14, v29
	v_lshrrev_b32_e32 v29, 16, v5
	v_cndmask_b32_e32 v7, 0, v7, vcc_lo
	v_cmp_gt_i32_e32 vcc_lo, s13, v28
	v_perm_b32 v8, v12, v8, 0x5040100
	s_delay_alu instid0(VALU_DEP_3)
	v_perm_b32 v7, v13, v7, 0x5040100
	v_cndmask_b32_e32 v28, 0, v30, vcc_lo
	v_cmp_gt_i32_e32 vcc_lo, s10, v27
	v_cndmask_b32_e32 v6, 0, v6, vcc_lo
	v_cmp_gt_i32_e32 vcc_lo, s9, v26
	;; [unrolled: 2-line block ×3, first 2 shown]
	v_cndmask_b32_e32 v5, 0, v5, vcc_lo
	v_perm_b32 v6, v28, v6, 0x5040100
	s_delay_alu instid0(VALU_DEP_2)
	v_perm_b32 v5, v26, v5, 0x5040100
	s_branch .LBB93_38
.LBB93_49:
	s_or_b32 exec_lo, exec_lo, s3
.LBB93_50:
	s_delay_alu instid0(SALU_CYCLE_1)
	s_or_b32 exec_lo, exec_lo, s1
	ds_bpermute_b32 v5, v19, v1
	ds_bpermute_b32 v9, v19, v2
	;; [unrolled: 1-line block ×4, first 2 shown]
	v_lshrrev_b32_e32 v7, 1, v18
	v_lshl_add_u32 v8, v16, 8, 0xa0
	v_and_b32_e32 v12, 0x3c1, v0
	s_mov_b32 s0, exec_lo
	s_waitcnt lgkmcnt(0)
	s_waitcnt_vscnt null, 0x0
	s_barrier
	buffer_gl0_inv
	v_add_f32_e32 v6, v1, v5
	v_dual_add_f32 v5, v2, v9 :: v_dual_add_f32 v2, v3, v10
	v_add_f32_e32 v1, v4, v11
	v_cmpx_eq_u32_e32 64, v12
	s_cbranch_execz .LBB93_52
; %bb.51:
	v_lshlrev_b32_e32 v3, 2, v7
	s_delay_alu instid0(VALU_DEP_1)
	v_add3_u32 v3, v8, v3, 0xfffffe00
	ds_store_2addr_b32 v3, v6, v5 offset1:16
	ds_store_2addr_b32 v3, v2, v1 offset0:32 offset1:48
.LBB93_52:
	s_or_b32 exec_lo, exec_lo, s0
	v_cmp_eq_u32_e32 vcc_lo, 0, v15
	s_mov_b32 s1, exec_lo
	s_waitcnt lgkmcnt(0)
	s_barrier
	buffer_gl0_inv
	v_cmpx_gt_u32_e32 64, v0
	s_cbranch_execz .LBB93_59
; %bb.53:
	s_and_saveexec_b32 s0, vcc_lo
	s_cbranch_execnz .LBB93_71
; %bb.54:
	s_or_b32 exec_lo, exec_lo, s0
	s_and_saveexec_b32 s0, vcc_lo
	s_cbranch_execnz .LBB93_72
.LBB93_55:
	s_or_b32 exec_lo, exec_lo, s0
	s_and_saveexec_b32 s0, vcc_lo
	s_cbranch_execnz .LBB93_73
.LBB93_56:
	s_or_b32 exec_lo, exec_lo, s0
	s_and_saveexec_b32 s0, vcc_lo
	s_cbranch_execz .LBB93_58
.LBB93_57:
	v_lshl_add_u32 v3, v7, 2, v8
	ds_load_b32 v3, v3 offset:192
	s_waitcnt lgkmcnt(0)
	v_add_f32_e32 v1, v1, v3
.LBB93_58:
	s_or_b32 exec_lo, exec_lo, s0
.LBB93_59:
	s_delay_alu instid0(SALU_CYCLE_1)
	s_or_b32 exec_lo, exec_lo, s1
	v_and_b32_e32 v3, 0x3e1, v0
	s_mov_b32 s1, exec_lo
	s_barrier
	buffer_gl0_inv
	v_cmpx_eq_u32_e32 32, v3
	s_cbranch_execz .LBB93_61
; %bb.60:
	v_lshl_add_u32 v4, v7, 2, 0xa0
	ds_store_2addr_b32 v4, v6, v5 offset1:16
	ds_store_2addr_b32 v4, v2, v1 offset0:32 offset1:48
.LBB93_61:
	s_or_b32 exec_lo, exec_lo, s1
	s_delay_alu instid0(SALU_CYCLE_1)
	s_mov_b32 s1, exec_lo
	s_waitcnt lgkmcnt(0)
	s_barrier
	buffer_gl0_inv
	v_cmpx_gt_u32_e32 32, v0
	s_cbranch_execz .LBB93_68
; %bb.62:
	v_lshl_add_u32 v0, v7, 2, v8
	s_and_saveexec_b32 s0, vcc_lo
	s_cbranch_execnz .LBB93_74
; %bb.63:
	s_or_b32 exec_lo, exec_lo, s0
	s_and_saveexec_b32 s0, vcc_lo
	s_cbranch_execnz .LBB93_75
.LBB93_64:
	s_or_b32 exec_lo, exec_lo, s0
	s_and_saveexec_b32 s0, vcc_lo
	s_cbranch_execnz .LBB93_76
.LBB93_65:
	s_or_b32 exec_lo, exec_lo, s0
	s_and_saveexec_b32 s0, vcc_lo
	s_cbranch_execz .LBB93_67
.LBB93_66:
	ds_load_b32 v0, v0 offset:192
	s_waitcnt lgkmcnt(0)
	v_add_f32_e32 v1, v1, v0
.LBB93_67:
	s_or_b32 exec_lo, exec_lo, s0
.LBB93_68:
	s_delay_alu instid0(SALU_CYCLE_1)
	s_or_b32 exec_lo, exec_lo, s1
	s_barrier
	buffer_gl0_inv
	s_mov_b32 s0, exec_lo
	v_cmpx_eq_u32_e32 0, v3
	s_cbranch_execz .LBB93_70
; %bb.69:
	s_lshl_b32 s0, s6, 6
	s_mul_i32 s2, s4, s20
	s_ashr_i32 s1, s0, 31
	v_lshlrev_b32_e32 v0, 1, v14
	s_lshl_b64 s[0:1], s[0:1], 1
	;;#ASMSTART
	v_cvt_f16_f32 v3, v6;

	;;#ASMEND
	s_add_u32 s4, s22, s0
	s_addc_u32 s5, s23, s1
	s_ashr_i32 s3, s2, 31
	s_delay_alu instid0(SALU_CYCLE_1) | instskip(NEXT) | instid1(SALU_CYCLE_1)
	s_lshl_b64 s[0:1], s[2:3], 1
	s_add_u32 s2, s4, s0
	s_addc_u32 s3, s5, s1
	s_lshl_b32 s0, s12, 6
	s_delay_alu instid0(SALU_CYCLE_1) | instskip(NEXT) | instid1(SALU_CYCLE_1)
	s_ashr_i32 s1, s0, 31
	s_lshl_b64 s[0:1], s[0:1], 1
	s_delay_alu instid0(SALU_CYCLE_1)
	s_add_u32 s0, s2, s0
	s_addc_u32 s1, s3, s1
	global_store_b16 v0, v3, s[0:1]
	;;#ASMSTART
	v_cvt_f16_f32 v3, v5;

	;;#ASMEND
	global_store_b16 v0, v3, s[0:1] offset:32
	;;#ASMSTART
	v_cvt_f16_f32 v2, v2;

	;;#ASMEND
	global_store_b16 v0, v2, s[0:1] offset:64
	;; [unrolled: 5-line block ×3, first 2 shown]
.LBB93_70:
	s_nop 0
	s_sendmsg sendmsg(MSG_DEALLOC_VGPRS)
	s_endpgm
.LBB93_71:
	v_lshl_add_u32 v3, v7, 2, v8
	ds_load_b32 v3, v3
	s_waitcnt lgkmcnt(0)
	v_add_f32_e32 v6, v6, v3
	s_or_b32 exec_lo, exec_lo, s0
	s_and_saveexec_b32 s0, vcc_lo
	s_cbranch_execz .LBB93_55
.LBB93_72:
	v_lshl_add_u32 v3, v7, 2, v8
	ds_load_b32 v3, v3 offset:64
	s_waitcnt lgkmcnt(0)
	v_add_f32_e32 v5, v5, v3
	s_or_b32 exec_lo, exec_lo, s0
	s_and_saveexec_b32 s0, vcc_lo
	s_cbranch_execz .LBB93_56
.LBB93_73:
	v_lshl_add_u32 v3, v7, 2, v8
	ds_load_b32 v3, v3 offset:128
	s_waitcnt lgkmcnt(0)
	v_add_f32_e32 v2, v2, v3
	s_or_b32 exec_lo, exec_lo, s0
	s_and_saveexec_b32 s0, vcc_lo
	s_cbranch_execnz .LBB93_57
	s_branch .LBB93_58
.LBB93_74:
	ds_load_b32 v4, v0
	s_waitcnt lgkmcnt(0)
	v_add_f32_e32 v6, v6, v4
	s_or_b32 exec_lo, exec_lo, s0
	s_and_saveexec_b32 s0, vcc_lo
	s_cbranch_execz .LBB93_64
.LBB93_75:
	ds_load_b32 v4, v0 offset:64
	s_waitcnt lgkmcnt(0)
	v_add_f32_e32 v5, v5, v4
	s_or_b32 exec_lo, exec_lo, s0
	s_and_saveexec_b32 s0, vcc_lo
	s_cbranch_execz .LBB93_65
.LBB93_76:
	ds_load_b32 v4, v0 offset:128
	s_waitcnt lgkmcnt(0)
	v_add_f32_e32 v2, v2, v4
	s_or_b32 exec_lo, exec_lo, s0
	s_and_saveexec_b32 s0, vcc_lo
	s_cbranch_execnz .LBB93_66
	s_branch .LBB93_67
	.section	.rodata,"a",@progbits
	.p2align	6, 0x0
	.amdhsa_kernel _ZN4vllm25paged_attention_v2_kernelIttLi64ELi16ELi128ELNS_18Fp8KVCacheDataTypeE0ELb1ELi512EEEvPfS2_PT_PKS3_PKT0_S9_ifPKiSB_iPKfiiiSD_SD_iiiii
		.amdhsa_group_segment_fixed_size 160
		.amdhsa_private_segment_fixed_size 0
		.amdhsa_kernarg_size 400
		.amdhsa_user_sgpr_count 13
		.amdhsa_user_sgpr_dispatch_ptr 0
		.amdhsa_user_sgpr_queue_ptr 0
		.amdhsa_user_sgpr_kernarg_segment_ptr 1
		.amdhsa_user_sgpr_dispatch_id 0
		.amdhsa_user_sgpr_private_segment_size 0
		.amdhsa_wavefront_size32 1
		.amdhsa_uses_dynamic_stack 0
		.amdhsa_enable_private_segment 0
		.amdhsa_system_sgpr_workgroup_id_x 1
		.amdhsa_system_sgpr_workgroup_id_y 1
		.amdhsa_system_sgpr_workgroup_id_z 1
		.amdhsa_system_sgpr_workgroup_info 0
		.amdhsa_system_vgpr_workitem_id 0
		.amdhsa_next_free_vgpr 79
		.amdhsa_next_free_sgpr 46
		.amdhsa_reserve_vcc 1
		.amdhsa_float_round_mode_32 0
		.amdhsa_float_round_mode_16_64 0
		.amdhsa_float_denorm_mode_32 3
		.amdhsa_float_denorm_mode_16_64 3
		.amdhsa_dx10_clamp 1
		.amdhsa_ieee_mode 1
		.amdhsa_fp16_overflow 0
		.amdhsa_workgroup_processor_mode 1
		.amdhsa_memory_ordered 1
		.amdhsa_forward_progress 0
		.amdhsa_shared_vgpr_count 0
		.amdhsa_exception_fp_ieee_invalid_op 0
		.amdhsa_exception_fp_denorm_src 0
		.amdhsa_exception_fp_ieee_div_zero 0
		.amdhsa_exception_fp_ieee_overflow 0
		.amdhsa_exception_fp_ieee_underflow 0
		.amdhsa_exception_fp_ieee_inexact 0
		.amdhsa_exception_int_div_zero 0
	.end_amdhsa_kernel
	.section	.text._ZN4vllm25paged_attention_v2_kernelIttLi64ELi16ELi128ELNS_18Fp8KVCacheDataTypeE0ELb1ELi512EEEvPfS2_PT_PKS3_PKT0_S9_ifPKiSB_iPKfiiiSD_SD_iiiii,"axG",@progbits,_ZN4vllm25paged_attention_v2_kernelIttLi64ELi16ELi128ELNS_18Fp8KVCacheDataTypeE0ELb1ELi512EEEvPfS2_PT_PKS3_PKT0_S9_ifPKiSB_iPKfiiiSD_SD_iiiii,comdat
.Lfunc_end93:
	.size	_ZN4vllm25paged_attention_v2_kernelIttLi64ELi16ELi128ELNS_18Fp8KVCacheDataTypeE0ELb1ELi512EEEvPfS2_PT_PKS3_PKT0_S9_ifPKiSB_iPKfiiiSD_SD_iiiii, .Lfunc_end93-_ZN4vllm25paged_attention_v2_kernelIttLi64ELi16ELi128ELNS_18Fp8KVCacheDataTypeE0ELb1ELi512EEEvPfS2_PT_PKS3_PKT0_S9_ifPKiSB_iPKfiiiSD_SD_iiiii
                                        ; -- End function
	.section	.AMDGPU.csdata,"",@progbits
; Kernel info:
; codeLenInByte = 8308
; NumSgprs: 48
; NumVgprs: 79
; ScratchSize: 0
; MemoryBound: 0
; FloatMode: 240
; IeeeMode: 1
; LDSByteSize: 160 bytes/workgroup (compile time only)
; SGPRBlocks: 5
; VGPRBlocks: 9
; NumSGPRsForWavesPerEU: 48
; NumVGPRsForWavesPerEU: 79
; Occupancy: 16
; WaveLimiterHint : 1
; COMPUTE_PGM_RSRC2:SCRATCH_EN: 0
; COMPUTE_PGM_RSRC2:USER_SGPR: 13
; COMPUTE_PGM_RSRC2:TRAP_HANDLER: 0
; COMPUTE_PGM_RSRC2:TGID_X_EN: 1
; COMPUTE_PGM_RSRC2:TGID_Y_EN: 1
; COMPUTE_PGM_RSRC2:TGID_Z_EN: 1
; COMPUTE_PGM_RSRC2:TIDIG_COMP_CNT: 0
	.section	.text._ZN4vllm25paged_attention_v2_kernelIttLi80ELi16ELi128ELNS_18Fp8KVCacheDataTypeE0ELb1ELi512EEEvPfS2_PT_PKS3_PKT0_S9_ifPKiSB_iPKfiiiSD_SD_iiiii,"axG",@progbits,_ZN4vllm25paged_attention_v2_kernelIttLi80ELi16ELi128ELNS_18Fp8KVCacheDataTypeE0ELb1ELi512EEEvPfS2_PT_PKS3_PKT0_S9_ifPKiSB_iPKfiiiSD_SD_iiiii,comdat
	.protected	_ZN4vllm25paged_attention_v2_kernelIttLi80ELi16ELi128ELNS_18Fp8KVCacheDataTypeE0ELb1ELi512EEEvPfS2_PT_PKS3_PKT0_S9_ifPKiSB_iPKfiiiSD_SD_iiiii ; -- Begin function _ZN4vllm25paged_attention_v2_kernelIttLi80ELi16ELi128ELNS_18Fp8KVCacheDataTypeE0ELb1ELi512EEEvPfS2_PT_PKS3_PKT0_S9_ifPKiSB_iPKfiiiSD_SD_iiiii
	.globl	_ZN4vllm25paged_attention_v2_kernelIttLi80ELi16ELi128ELNS_18Fp8KVCacheDataTypeE0ELb1ELi512EEEvPfS2_PT_PKS3_PKT0_S9_ifPKiSB_iPKfiiiSD_SD_iiiii
	.p2align	8
	.type	_ZN4vllm25paged_attention_v2_kernelIttLi80ELi16ELi128ELNS_18Fp8KVCacheDataTypeE0ELb1ELi512EEEvPfS2_PT_PKS3_PKT0_S9_ifPKiSB_iPKfiiiSD_SD_iiiii,@function
_ZN4vllm25paged_attention_v2_kernelIttLi80ELi16ELi128ELNS_18Fp8KVCacheDataTypeE0ELb1ELi512EEEvPfS2_PT_PKS3_PKT0_S9_ifPKiSB_iPKfiiiSD_SD_iiiii: ; @_ZN4vllm25paged_attention_v2_kernelIttLi80ELi16ELi128ELNS_18Fp8KVCacheDataTypeE0ELb1ELi512EEEvPfS2_PT_PKS3_PKT0_S9_ifPKiSB_iPKfiiiSD_SD_iiiii
; %bb.0:
	s_load_b64 s[2:3], s[0:1], 0x40
	s_mov_b32 s12, s15
	s_ashr_i32 s15, s14, 31
	s_delay_alu instid0(SALU_CYCLE_1)
	s_lshl_b64 s[4:5], s[14:15], 2
	s_waitcnt lgkmcnt(0)
	s_add_u32 s2, s2, s4
	s_addc_u32 s3, s3, s5
	s_lshl_b32 s38, s12, 9
	s_load_b32 s15, s[2:3], 0x0
	s_waitcnt lgkmcnt(0)
	s_cmp_ge_i32 s38, s15
	s_cbranch_scc1 .LBB94_74
; %bb.1:
	s_mov_b32 s24, s13
	s_clause 0x1
	s_load_b32 s13, s[0:1], 0x90
	s_load_b64 s[36:37], s[0:1], 0x30
	s_mov_b32 s40, 0
	s_waitcnt lgkmcnt(0)
	s_abs_i32 s5, s13
	s_abs_i32 s2, s36
	s_delay_alu instid0(SALU_CYCLE_1) | instskip(SKIP_1) | instid1(VALU_DEP_1)
	v_cvt_f32_u32_e32 v1, s2
	s_sub_i32 s4, 0, s2
	v_rcp_iflag_f32_e32 v1, v1
	s_waitcnt_depctr 0xfff
	v_mul_f32_e32 v1, 0x4f7ffffe, v1
	s_delay_alu instid0(VALU_DEP_1) | instskip(NEXT) | instid1(VALU_DEP_1)
	v_cvt_u32_f32_e32 v1, v1
	v_readfirstlane_b32 s3, v1
	s_delay_alu instid0(VALU_DEP_1) | instskip(NEXT) | instid1(SALU_CYCLE_1)
	s_mul_i32 s4, s4, s3
	s_mul_hi_u32 s4, s3, s4
	s_delay_alu instid0(SALU_CYCLE_1) | instskip(SKIP_4) | instid1(SALU_CYCLE_1)
	s_add_i32 s3, s3, s4
	s_xor_b32 s4, s13, s36
	s_mul_hi_u32 s3, s5, s3
	s_ashr_i32 s4, s4, 31
	s_mul_i32 s6, s3, s2
	s_sub_i32 s5, s5, s6
	s_add_i32 s6, s3, 1
	s_sub_i32 s7, s5, s2
	s_cmp_ge_u32 s5, s2
	s_cselect_b32 s3, s6, s3
	s_cselect_b32 s5, s7, s5
	s_add_i32 s6, s3, 1
	s_cmp_ge_u32 s5, s2
	s_cselect_b32 s2, s6, s3
	s_abs_i32 s17, s24
	s_xor_b32 s2, s2, s4
	s_delay_alu instid0(SALU_CYCLE_1) | instskip(SKIP_2) | instid1(SALU_CYCLE_1)
	s_sub_i32 s8, s2, s4
	s_load_b64 s[2:3], s[0:1], 0x50
	s_abs_i32 s16, s8
	v_cvt_f32_u32_e32 v1, s16
	s_sub_i32 s5, 0, s16
	s_delay_alu instid0(VALU_DEP_1) | instskip(SKIP_2) | instid1(VALU_DEP_1)
	v_rcp_iflag_f32_e32 v1, v1
	s_waitcnt_depctr 0xfff
	v_mul_f32_e32 v1, 0x4f7ffffe, v1
	v_cvt_u32_f32_e32 v1, v1
	s_delay_alu instid0(VALU_DEP_1) | instskip(NEXT) | instid1(VALU_DEP_1)
	v_readfirstlane_b32 s4, v1
	s_mul_i32 s5, s5, s4
	s_delay_alu instid0(SALU_CYCLE_1) | instskip(NEXT) | instid1(SALU_CYCLE_1)
	s_mul_hi_u32 s5, s4, s5
	s_add_i32 s4, s4, s5
	s_waitcnt lgkmcnt(0)
	s_cmp_eq_u64 s[2:3], 0
	s_mul_hi_u32 s18, s17, s4
	s_cbranch_scc1 .LBB94_3
; %bb.2:
	s_ashr_i32 s25, s24, 31
	s_delay_alu instid0(SALU_CYCLE_1) | instskip(NEXT) | instid1(SALU_CYCLE_1)
	s_lshl_b64 s[4:5], s[24:25], 2
	s_add_u32 s2, s2, s4
	s_addc_u32 s3, s3, s5
	s_load_b32 s40, s[2:3], 0x0
.LBB94_3:
	s_load_b128 s[4:7], s[0:1], 0x58
	v_lshrrev_b32_e32 v15, 1, v0
	v_and_b32_e32 v16, 1, v0
	v_lshlrev_b32_e32 v6, 3, v0
	s_ashr_i32 s2, s24, 31
	s_ashr_i32 s3, s8, 31
	s_mul_i32 s20, s24, 0x50
	s_waitcnt lgkmcnt(0)
	s_mov_b32 s7, exec_lo
	v_cmpx_gt_u32_e32 20, v0
	s_cbranch_execz .LBB94_5
; %bb.4:
	s_load_b64 s[8:9], s[0:1], 0x18
	s_mul_i32 s10, s14, s4
	v_lshlrev_b32_e32 v3, 3, v15
	s_ashr_i32 s11, s10, 31
	s_delay_alu instid0(SALU_CYCLE_1) | instskip(NEXT) | instid1(VALU_DEP_1)
	s_lshl_b64 s[10:11], s[10:11], 1
	v_mad_u32_u24 v3, 0x50, v16, v3
	s_waitcnt lgkmcnt(0)
	s_add_u32 s4, s8, s10
	s_addc_u32 s10, s9, s11
	s_ashr_i32 s21, s20, 31
	s_delay_alu instid0(SALU_CYCLE_1) | instskip(NEXT) | instid1(SALU_CYCLE_1)
	s_lshl_b64 s[8:9], s[20:21], 1
	s_add_u32 s8, s4, s8
	s_addc_u32 s9, s10, s9
	global_load_b64 v[1:2], v6, s[8:9]
	s_waitcnt vmcnt(0)
	ds_store_b64 v3, v[1:2]
.LBB94_5:
	s_or_b32 exec_lo, exec_lo, s7
	s_load_b128 s[8:11], s[0:1], 0x78
	s_mul_i32 s4, s18, s16
	s_xor_b32 s2, s2, s3
	s_sub_i32 s3, s17, s4
	s_add_i32 s4, s18, 1
	s_sub_i32 s7, s3, s16
	s_cmp_ge_u32 s3, s16
	s_mov_b32 s17, -1
	s_cselect_b32 s4, s4, s18
	s_cselect_b32 s3, s7, s3
	s_add_i32 s7, s4, 1
	s_cmp_ge_u32 s3, s16
	s_waitcnt lgkmcnt(0)
	s_cselect_b32 s3, s7, s4
	s_load_b32 s4, s[0:1], 0x88
	s_xor_b32 s3, s3, s2
	s_add_i32 s16, s15, -1
	s_sub_i32 s3, s3, s2
	s_abs_i32 s7, s16
	s_waitcnt lgkmcnt(0)
	s_barrier
	s_abs_i32 s21, s11
	buffer_gl0_inv
	v_cvt_f32_u32_e32 v1, s21
	s_sub_i32 s2, 0, s21
                                        ; implicit-def: $sgpr33
	s_delay_alu instid0(VALU_DEP_1) | instskip(SKIP_2) | instid1(VALU_DEP_1)
	v_rcp_iflag_f32_e32 v1, v1
	s_waitcnt_depctr 0xfff
	v_mul_f32_e32 v1, 0x4f7ffffe, v1
	v_cvt_u32_f32_e32 v1, v1
	s_delay_alu instid0(VALU_DEP_1) | instskip(NEXT) | instid1(VALU_DEP_1)
	v_readfirstlane_b32 s25, v1
	s_mul_i32 s2, s2, s25
	s_delay_alu instid0(SALU_CYCLE_1) | instskip(NEXT) | instid1(SALU_CYCLE_1)
	s_mul_hi_u32 s2, s25, s2
	s_add_i32 s25, s25, s2
	s_cmp_lt_i32 s4, 0
	s_mul_hi_u32 s2, s7, s25
	s_cbranch_scc0 .LBB94_7
; %bb.6:
	s_mul_i32 s17, s8, s36
	s_delay_alu instid0(SALU_CYCLE_1) | instskip(NEXT) | instid1(SALU_CYCLE_1)
	s_add_i32 s17, s3, s17
	s_mul_i32 s17, s17, s4
	s_delay_alu instid0(SALU_CYCLE_1)
	s_sub_i32 s33, 1, s17
	s_mov_b32 s17, 0
.LBB94_7:
	s_load_b64 s[26:27], s[0:1], 0x38
	s_ashr_i32 s28, s16, 31
	s_and_not1_b32 vcc_lo, exec_lo, s17
	s_ashr_i32 s11, s11, 31
	s_cbranch_vccnz .LBB94_9
; %bb.8:
	s_mul_i32 s8, s13, s8
	s_delay_alu instid0(SALU_CYCLE_1) | instskip(NEXT) | instid1(SALU_CYCLE_1)
	s_add_i32 s8, s8, s24
	s_mul_i32 s4, s8, s4
	s_delay_alu instid0(SALU_CYCLE_1)
	s_add_i32 s33, s4, 1
.LBB94_9:
	s_clause 0x4
	s_load_b32 s8, s[0:1], 0x48
	s_load_b64 s[30:31], s[0:1], 0x28
	s_load_b32 s4, s[0:1], 0x98
	s_load_b128 s[16:19], s[0:1], 0x0
	s_load_b64 s[22:23], s[0:1], 0x10
	s_xor_b32 s34, s28, s11
	s_mul_i32 s28, s2, s21
	s_add_i32 s35, s2, 1
	s_sub_i32 s7, s7, s28
	v_lshrrev_b32_e32 v17, 5, v0
	v_mov_b32_e32 v4, 0xff7fffff
	v_mbcnt_lo_u32_b32 v3, -1, 0
	s_delay_alu instid0(VALU_DEP_3)
	v_lshl_add_u32 v18, v17, 4, s38
	s_waitcnt lgkmcnt(0)
	s_mul_i32 s28, s14, s8
	s_sub_i32 s8, s7, s21
	s_ashr_i32 s29, s28, 31
	s_cmp_ge_u32 s7, s21
	s_cselect_b32 s2, s35, s2
	s_cselect_b32 s7, s8, s7
	s_add_i32 s8, s2, 1
	s_cmp_ge_u32 s7, s21
	s_cselect_b32 s2, s8, s2
	s_add_i32 s8, s15, 15
	s_lshl_b32 s7, s12, 5
	s_ashr_i32 s35, s8, 31
	v_or_b32_e32 v10, s7, v17
	s_lshr_b32 s35, s35, 28
	s_xor_b32 s39, s2, s34
	s_add_i32 s8, s8, s35
	s_add_i32 s35, s7, 32
	s_ashr_i32 s36, s8, 4
	v_ashrrev_i32_e32 v11, 31, v10
	s_min_i32 s8, s35, s36
	s_sub_i32 s39, s39, s34
	v_cmp_gt_i32_e64 s2, s8, v10
	s_mul_i32 s34, s3, s6
	s_delay_alu instid0(VALU_DEP_1)
	s_and_saveexec_b32 s6, s2
	s_cbranch_execz .LBB94_19
; %bb.10:
	s_load_b64 s[0:1], s[0:1], 0x20
	s_ashr_i32 s35, s34, 31
	v_bfe_u32 v5, v0, 1, 4
	s_lshl_b64 s[42:43], s[34:35], 1
	s_sub_i32 s35, s39, s9
	v_cmp_eq_u32_e32 vcc_lo, 0, v16
	v_mul_u32_u24_e32 v7, 0x50, v16
	v_lshlrev_b32_e32 v13, 2, v5
	v_subrev_nc_u32_e32 v20, s15, v5
	v_lshlrev_b32_e32 v23, 4, v5
	v_lshl_add_u32 v8, v17, 4, s38
	v_mov_b32_e32 v9, 0xff7fffff
	v_lshl_or_b32 v21, v17, 6, v13
	v_add_nc_u32_e32 v13, 1, v20
	v_xor_b32_e32 v12, 1, v3
	s_waitcnt lgkmcnt(0)
	s_add_u32 s3, s0, s42
	s_addc_u32 s1, s1, s43
	s_abs_i32 s41, s10
	v_cmp_neq_f32_e64 s0, s40, 0
	v_cvt_f32_u32_e32 v1, s41
	s_sub_i32 s42, 0, s41
	s_delay_alu instid0(VALU_DEP_1)
	v_rcp_iflag_f32_e32 v4, v1
	v_and_b32_e32 v19, 8, v6
	v_lshlrev_b64 v[1:2], 2, v[10:11]
	s_waitcnt_depctr 0xfff
	v_mul_f32_e32 v14, 0x4f7ffffe, v4
	v_mov_b32_e32 v4, 0xff7fffff
	s_delay_alu instid0(VALU_DEP_2) | instskip(SKIP_2) | instid1(VALU_DEP_1)
	v_cvt_u32_f32_e32 v22, v14
	v_add_nc_u32_e32 v14, 0xc0, v21
	v_add_co_u32 v21, s3, s3, v23
	v_add_co_ci_u32_e64 v23, null, s1, 0, s3
	s_delay_alu instid0(VALU_DEP_4) | instskip(SKIP_1) | instid1(SALU_CYCLE_1)
	v_mul_lo_u32 v20, s42, v22
	s_lshl_b64 s[42:43], s[28:29], 2
	s_add_u32 s1, s26, s42
	s_addc_u32 s3, s27, s43
	v_add_co_u32 v1, s1, s1, v1
	s_delay_alu instid0(VALU_DEP_1) | instskip(NEXT) | instid1(VALU_DEP_3)
	v_add_co_ci_u32_e64 v2, s1, s3, v2, s1
	v_mul_hi_u32 v24, v22, v20
	v_add_co_u32 v19, s1, v21, v19
	s_delay_alu instid0(VALU_DEP_1) | instskip(SKIP_2) | instid1(VALU_DEP_3)
	v_add_co_ci_u32_e64 v20, s1, 0, v23, s1
	s_mov_b32 s42, 0
	s_mov_b32 s43, s5
	v_add_nc_u32_e32 v21, v22, v24
	v_mov_b32_e32 v22, v10
	s_branch .LBB94_13
.LBB94_11:                              ;   in Loop: Header=BB94_13 Depth=1
	s_or_b32 exec_lo, exec_lo, s44
.LBB94_12:                              ;   in Loop: Header=BB94_13 Depth=1
	s_delay_alu instid0(SALU_CYCLE_1) | instskip(SKIP_2) | instid1(VALU_DEP_1)
	s_or_b32 exec_lo, exec_lo, s3
	v_add_nc_u32_e32 v22, 4, v22
	v_add_co_u32 v1, s3, v1, 16
	v_add_co_ci_u32_e64 v2, s3, 0, v2, s3
	s_delay_alu instid0(VALU_DEP_3) | instskip(SKIP_2) | instid1(VALU_DEP_3)
	v_cmp_le_i32_e64 s1, s8, v22
	v_add_nc_u32_e32 v8, 64, v8
	v_add_nc_u32_e32 v14, 0x100, v14
	s_or_b32 s42, s1, s42
	s_delay_alu instid0(SALU_CYCLE_1)
	s_and_not1_b32 exec_lo, exec_lo, s42
	s_cbranch_execz .LBB94_18
.LBB94_13:                              ; =>This Inner Loop Header: Depth=1
	v_sub_nc_u32_e32 v23, 0, v8
	s_delay_alu instid0(VALU_DEP_1) | instskip(SKIP_1) | instid1(VALU_DEP_1)
	v_max_i32_e32 v23, v8, v23
	s_waitcnt lgkmcnt(0)
	v_mul_hi_u32 v24, v23, s25
	s_delay_alu instid0(VALU_DEP_1) | instskip(NEXT) | instid1(VALU_DEP_1)
	v_mul_lo_u32 v25, v24, s21
	v_sub_nc_u32_e32 v23, v23, v25
	v_add_nc_u32_e32 v25, 1, v24
	s_delay_alu instid0(VALU_DEP_2) | instskip(SKIP_1) | instid1(VALU_DEP_1)
	v_subrev_nc_u32_e32 v26, s21, v23
	v_cmp_le_u32_e64 s1, s21, v23
	v_cndmask_b32_e64 v24, v24, v25, s1
	s_delay_alu instid0(VALU_DEP_3) | instskip(SKIP_1) | instid1(VALU_DEP_3)
	v_cndmask_b32_e64 v23, v23, v26, s1
	v_ashrrev_i32_e32 v25, 31, v8
	v_add_nc_u32_e32 v26, 1, v24
	s_delay_alu instid0(VALU_DEP_3) | instskip(NEXT) | instid1(VALU_DEP_3)
	v_cmp_le_u32_e64 s1, s21, v23
	v_xor_b32_e32 v25, s11, v25
	s_delay_alu instid0(VALU_DEP_2) | instskip(NEXT) | instid1(VALU_DEP_1)
	v_cndmask_b32_e64 v23, v24, v26, s1
	v_xor_b32_e32 v23, v23, v25
	s_delay_alu instid0(VALU_DEP_1) | instskip(NEXT) | instid1(VALU_DEP_1)
	v_sub_nc_u32_e32 v23, v23, v25
	v_add_nc_u32_e32 v24, s33, v23
	v_cmp_ge_i32_e64 s3, s35, v23
	s_delay_alu instid0(VALU_DEP_2) | instskip(NEXT) | instid1(VALU_DEP_1)
	v_sub_nc_u32_e32 v25, 0, v24
	v_max_i32_e32 v25, v24, v25
	v_ashrrev_i32_e32 v24, 31, v24
	s_delay_alu instid0(VALU_DEP_2) | instskip(NEXT) | instid1(VALU_DEP_1)
	v_mul_hi_u32 v26, v25, v21
	v_mul_lo_u32 v26, v26, s41
	s_delay_alu instid0(VALU_DEP_1) | instskip(NEXT) | instid1(VALU_DEP_1)
	v_sub_nc_u32_e32 v25, v25, v26
	v_subrev_nc_u32_e32 v26, s41, v25
	v_cmp_le_u32_e64 s1, s41, v25
	s_delay_alu instid0(VALU_DEP_1) | instskip(NEXT) | instid1(VALU_DEP_1)
	v_cndmask_b32_e64 v25, v25, v26, s1
	v_subrev_nc_u32_e32 v26, s41, v25
	v_cmp_le_u32_e64 s1, s41, v25
	s_delay_alu instid0(VALU_DEP_1) | instskip(NEXT) | instid1(VALU_DEP_1)
	v_cndmask_b32_e64 v25, v25, v26, s1
	v_xor_b32_e32 v25, v25, v24
	s_delay_alu instid0(VALU_DEP_1) | instskip(NEXT) | instid1(VALU_DEP_1)
	v_sub_nc_u32_e32 v24, v25, v24
	v_cmp_ne_u32_e64 s1, 0, v24
	s_delay_alu instid0(VALU_DEP_1) | instskip(NEXT) | instid1(SALU_CYCLE_1)
	s_and_b32 s1, s1, s3
	s_and_b32 s44, vcc_lo, s1
	s_delay_alu instid0(SALU_CYCLE_1)
	s_and_saveexec_b32 s3, s44
	s_cbranch_execz .LBB94_15
; %bb.14:                               ;   in Loop: Header=BB94_13 Depth=1
	ds_store_b32 v14, v9
.LBB94_15:                              ;   in Loop: Header=BB94_13 Depth=1
	s_or_b32 exec_lo, exec_lo, s3
	s_xor_b32 s1, s1, -1
	s_delay_alu instid0(SALU_CYCLE_1)
	s_and_saveexec_b32 s3, s1
	s_cbranch_execz .LBB94_12
; %bb.16:                               ;   in Loop: Header=BB94_13 Depth=1
	global_load_b32 v25, v[1:2], off
	s_waitcnt vmcnt(0)
	v_mad_i64_i32 v[23:24], null, v25, s43, 0
	s_delay_alu instid0(VALU_DEP_1) | instskip(NEXT) | instid1(VALU_DEP_1)
	v_lshlrev_b64 v[23:24], 1, v[23:24]
	v_add_co_u32 v23, s1, v19, v23
	s_delay_alu instid0(VALU_DEP_1)
	v_add_co_ci_u32_e64 v24, s1, v20, v24, s1
	v_cmp_gt_i32_e64 s1, 32, v12
	s_clause 0x9
	global_load_b64 v[25:26], v[23:24], off
	global_load_b64 v[27:28], v[23:24], off offset:256
	global_load_b64 v[29:30], v[23:24], off offset:512
	;; [unrolled: 1-line block ×9, first 2 shown]
	ds_load_b64 v[43:44], v7
	s_waitcnt lgkmcnt(0)
	v_and_b32_e32 v45, 0xffff, v43
	v_lshrrev_b32_e32 v43, 16, v43
	v_lshrrev_b32_e32 v46, 16, v44
	v_and_b32_e32 v44, 0xffff, v44
	;;#ASMSTART
	v_cvt_f32_f16 v45, v45;
	;;#ASMEND
	;;#ASMSTART
	v_cvt_f32_f16 v43, v43;
	;;#ASMEND
	s_waitcnt vmcnt(9)
	v_and_b32_e32 v47, 0xffff, v25
	v_lshrrev_b32_e32 v25, 16, v25
	v_lshrrev_b32_e32 v48, 16, v26
	v_and_b32_e32 v26, 0xffff, v26
	;;#ASMSTART
	v_cvt_f32_f16 v47, v47;
	;;#ASMEND
	;;#ASMSTART
	v_cvt_f32_f16 v49, v25;
	;;#ASMEND
	;; [unrolled: 3-line block ×6, first 2 shown]
	ds_load_b64 v[25:26], v7 offset:8
	s_waitcnt vmcnt(8)
	v_lshrrev_b32_e32 v51, 16, v27
	v_and_b32_e32 v27, 0xffff, v27
	v_lshrrev_b32_e32 v52, 16, v28
	s_waitcnt vmcnt(7)
	v_lshrrev_b32_e32 v57, 16, v29
	v_lshrrev_b32_e32 v58, 16, v30
	s_waitcnt vmcnt(6)
	v_lshrrev_b32_e32 v63, 16, v31
	v_lshrrev_b32_e32 v64, 16, v32
	s_waitcnt vmcnt(5)
	v_lshrrev_b32_e32 v69, 16, v33
	v_lshrrev_b32_e32 v70, 16, v34
	s_waitcnt vmcnt(4)
	v_lshrrev_b32_e32 v75, 16, v35
	v_lshrrev_b32_e32 v76, 16, v36
	s_waitcnt vmcnt(3)
	v_lshrrev_b32_e32 v81, 16, v37
	v_lshrrev_b32_e32 v82, 16, v38
	s_waitcnt vmcnt(2)
	v_lshrrev_b32_e32 v87, 16, v39
	v_lshrrev_b32_e32 v88, 16, v40
	s_waitcnt vmcnt(1)
	v_lshrrev_b32_e32 v89, 16, v41
	s_waitcnt lgkmcnt(0)
	v_and_b32_e32 v53, 0xffff, v25
	v_lshrrev_b32_e32 v25, 16, v25
	;;#ASMSTART
	v_cvt_f32_f16 v53, v53;
	;;#ASMEND
	;;#ASMSTART
	v_cvt_f32_f16 v55, v25;
	;;#ASMEND
	;; [unrolled: 3-line block ×4, first 2 shown]
	v_mul_f32_e32 v27, v53, v27
	v_dual_mul_f32 v51, v55, v51 :: v_dual_and_b32 v28, 0xffff, v28
	v_lshrrev_b32_e32 v54, 16, v26
	s_delay_alu instid0(VALU_DEP_3) | instskip(NEXT) | instid1(VALU_DEP_3)
	v_dual_fmac_f32 v27, v45, v47 :: v_dual_and_b32 v26, 0xffff, v26
	v_fmac_f32_e32 v51, v43, v49
	;;#ASMSTART
	v_cvt_f32_f16 v56, v26;
	;;#ASMEND
	;;#ASMSTART
	v_cvt_f32_f16 v54, v54;
	;;#ASMEND
	;; [unrolled: 3-line block ×4, first 2 shown]
	ds_load_b64 v[25:26], v7 offset:16
	v_mul_f32_e32 v28, v56, v28
	v_mul_f32_e32 v52, v54, v52
	v_lshrrev_b32_e32 v43, 16, v42
	s_delay_alu instid0(VALU_DEP_3) | instskip(SKIP_1) | instid1(VALU_DEP_3)
	v_dual_fmac_f32 v28, v44, v50 :: v_dual_and_b32 v29, 0xffff, v29
	s_waitcnt lgkmcnt(0)
	v_dual_fmac_f32 v52, v46, v48 :: v_dual_and_b32 v59, 0xffff, v25
	v_lshrrev_b32_e32 v25, 16, v25
	v_lshrrev_b32_e32 v60, 16, v26
	;;#ASMSTART
	v_cvt_f32_f16 v59, v59;
	;;#ASMEND
	;;#ASMSTART
	v_cvt_f32_f16 v61, v25;
	;;#ASMEND
	;; [unrolled: 3-line block ×3, first 2 shown]
	v_dual_fmac_f32 v27, v59, v29 :: v_dual_and_b32 v30, 0xffff, v30
	;;#ASMSTART
	v_cvt_f32_f16 v57, v57;
	;;#ASMEND
	v_dual_fmac_f32 v51, v61, v57 :: v_dual_and_b32 v26, 0xffff, v26
	;;#ASMSTART
	v_cvt_f32_f16 v62, v26;
	;;#ASMEND
	;;#ASMSTART
	v_cvt_f32_f16 v60, v60;
	;;#ASMEND
	;; [unrolled: 3-line block ×4, first 2 shown]
	ds_load_b64 v[25:26], v7 offset:24
	v_dual_fmac_f32 v28, v62, v30 :: v_dual_and_b32 v31, 0xffff, v31
	v_fmac_f32_e32 v52, v60, v58
	v_and_b32_e32 v29, 0xffff, v42
	s_waitcnt vmcnt(0)
	v_lshrrev_b32_e32 v30, 16, v23
	s_waitcnt lgkmcnt(0)
	v_and_b32_e32 v65, 0xffff, v25
	v_lshrrev_b32_e32 v25, 16, v25
	v_lshrrev_b32_e32 v66, 16, v26
	;;#ASMSTART
	v_cvt_f32_f16 v65, v65;
	;;#ASMEND
	;;#ASMSTART
	v_cvt_f32_f16 v67, v25;
	;;#ASMEND
	;; [unrolled: 3-line block ×3, first 2 shown]
	v_dual_fmac_f32 v27, v65, v31 :: v_dual_and_b32 v32, 0xffff, v32
	;;#ASMSTART
	v_cvt_f32_f16 v63, v63;
	;;#ASMEND
	v_dual_fmac_f32 v51, v67, v63 :: v_dual_and_b32 v26, 0xffff, v26
	;;#ASMSTART
	v_cvt_f32_f16 v68, v26;
	;;#ASMEND
	;;#ASMSTART
	v_cvt_f32_f16 v66, v66;
	;;#ASMEND
	;;#ASMSTART
	v_cvt_f32_f16 v32, v32;
	;;#ASMEND
	;;#ASMSTART
	v_cvt_f32_f16 v64, v64;
	;;#ASMEND
	ds_load_b64 v[25:26], v7 offset:32
	v_dual_fmac_f32 v28, v68, v32 :: v_dual_and_b32 v33, 0xffff, v33
	s_waitcnt lgkmcnt(0)
	v_dual_fmac_f32 v52, v66, v64 :: v_dual_and_b32 v71, 0xffff, v25
	v_lshrrev_b32_e32 v25, 16, v25
	v_lshrrev_b32_e32 v72, 16, v26
	;;#ASMSTART
	v_cvt_f32_f16 v71, v71;
	;;#ASMEND
	;;#ASMSTART
	v_cvt_f32_f16 v73, v25;
	;;#ASMEND
	;; [unrolled: 3-line block ×3, first 2 shown]
	v_dual_fmac_f32 v27, v71, v33 :: v_dual_and_b32 v34, 0xffff, v34
	;;#ASMSTART
	v_cvt_f32_f16 v69, v69;
	;;#ASMEND
	v_dual_fmac_f32 v51, v73, v69 :: v_dual_and_b32 v26, 0xffff, v26
	;;#ASMSTART
	v_cvt_f32_f16 v74, v26;
	;;#ASMEND
	;;#ASMSTART
	v_cvt_f32_f16 v72, v72;
	;;#ASMEND
	;; [unrolled: 3-line block ×4, first 2 shown]
	ds_load_b64 v[25:26], v7 offset:40
	v_dual_fmac_f32 v28, v74, v34 :: v_dual_and_b32 v35, 0xffff, v35
	s_waitcnt lgkmcnt(0)
	v_dual_fmac_f32 v52, v72, v70 :: v_dual_and_b32 v77, 0xffff, v25
	v_lshrrev_b32_e32 v25, 16, v25
	v_lshrrev_b32_e32 v78, 16, v26
	;;#ASMSTART
	v_cvt_f32_f16 v77, v77;
	;;#ASMEND
	;;#ASMSTART
	v_cvt_f32_f16 v79, v25;
	;;#ASMEND
	;; [unrolled: 3-line block ×3, first 2 shown]
	v_dual_fmac_f32 v27, v77, v35 :: v_dual_and_b32 v36, 0xffff, v36
	;;#ASMSTART
	v_cvt_f32_f16 v75, v75;
	;;#ASMEND
	v_dual_fmac_f32 v51, v79, v75 :: v_dual_and_b32 v26, 0xffff, v26
	;;#ASMSTART
	v_cvt_f32_f16 v80, v26;
	;;#ASMEND
	;;#ASMSTART
	v_cvt_f32_f16 v78, v78;
	;;#ASMEND
	;; [unrolled: 3-line block ×4, first 2 shown]
	ds_load_b64 v[25:26], v7 offset:48
	v_dual_fmac_f32 v28, v80, v36 :: v_dual_and_b32 v37, 0xffff, v37
	v_fmac_f32_e32 v52, v78, v76
	v_lshrrev_b32_e32 v35, 16, v24
	s_waitcnt lgkmcnt(0)
	v_and_b32_e32 v83, 0xffff, v25
	v_lshrrev_b32_e32 v25, 16, v25
	v_lshrrev_b32_e32 v84, 16, v26
	;;#ASMSTART
	v_cvt_f32_f16 v83, v83;
	;;#ASMEND
	;;#ASMSTART
	v_cvt_f32_f16 v85, v25;
	;;#ASMEND
	;; [unrolled: 3-line block ×3, first 2 shown]
	v_dual_fmac_f32 v27, v83, v37 :: v_dual_and_b32 v38, 0xffff, v38
	;;#ASMSTART
	v_cvt_f32_f16 v81, v81;
	;;#ASMEND
	v_dual_fmac_f32 v51, v85, v81 :: v_dual_and_b32 v26, 0xffff, v26
	;;#ASMSTART
	v_cvt_f32_f16 v86, v26;
	;;#ASMEND
	;;#ASMSTART
	v_cvt_f32_f16 v84, v84;
	;;#ASMEND
	;; [unrolled: 3-line block ×4, first 2 shown]
	ds_load_b64 v[25:26], v7 offset:56
	v_dual_fmac_f32 v28, v86, v38 :: v_dual_and_b32 v39, 0xffff, v39
	s_waitcnt lgkmcnt(0)
	v_dual_fmac_f32 v52, v84, v82 :: v_dual_and_b32 v53, 0xffff, v25
	v_lshrrev_b32_e32 v25, 16, v25
	v_lshrrev_b32_e32 v55, 16, v26
	;;#ASMSTART
	v_cvt_f32_f16 v53, v53;
	;;#ASMEND
	;;#ASMSTART
	v_cvt_f32_f16 v90, v25;
	;;#ASMEND
	;;#ASMSTART
	v_cvt_f32_f16 v39, v39;
	;;#ASMEND
	v_dual_fmac_f32 v27, v53, v39 :: v_dual_and_b32 v40, 0xffff, v40
	;;#ASMSTART
	v_cvt_f32_f16 v87, v87;
	;;#ASMEND
	v_dual_fmac_f32 v51, v90, v87 :: v_dual_and_b32 v26, 0xffff, v26
	;;#ASMSTART
	v_cvt_f32_f16 v91, v26;
	;;#ASMEND
	;;#ASMSTART
	v_cvt_f32_f16 v55, v55;
	;;#ASMEND
	;; [unrolled: 3-line block ×4, first 2 shown]
	ds_load_b64 v[25:26], v7 offset:64
	v_dual_fmac_f32 v52, v55, v88 :: v_dual_and_b32 v41, 0xffff, v41
	s_waitcnt lgkmcnt(0)
	v_dual_fmac_f32 v28, v91, v40 :: v_dual_and_b32 v31, 0xffff, v25
	v_lshrrev_b32_e32 v25, 16, v25
	v_lshrrev_b32_e32 v32, 16, v26
	;;#ASMSTART
	v_cvt_f32_f16 v31, v31;
	;;#ASMEND
	;;#ASMSTART
	v_cvt_f32_f16 v33, v25;
	;;#ASMEND
	;; [unrolled: 3-line block ×4, first 2 shown]
	v_dual_fmac_f32 v51, v33, v41 :: v_dual_and_b32 v26, 0xffff, v26
	;;#ASMSTART
	v_cvt_f32_f16 v42, v26;
	;;#ASMEND
	;;#ASMSTART
	v_cvt_f32_f16 v32, v32;
	;;#ASMEND
	;; [unrolled: 3-line block ×4, first 2 shown]
	ds_load_b64 v[25:26], v7 offset:72
	v_dual_fmac_f32 v27, v31, v34 :: v_dual_and_b32 v24, 0xffff, v24
	v_dual_fmac_f32 v28, v42, v29 :: v_dual_and_b32 v23, 0xffff, v23
	s_waitcnt lgkmcnt(0)
	v_dual_fmac_f32 v52, v32, v43 :: v_dual_and_b32 v29, 0xffff, v25
	v_lshrrev_b32_e32 v25, 16, v25
	;;#ASMSTART
	v_cvt_f32_f16 v29, v29;
	;;#ASMEND
	;;#ASMSTART
	v_cvt_f32_f16 v25, v25;
	;;#ASMEND
	;; [unrolled: 3-line block ×3, first 2 shown]
	v_lshrrev_b32_e32 v31, 16, v26
	v_dual_fmac_f32 v27, v29, v23 :: v_dual_and_b32 v26, 0xffff, v26
	;;#ASMSTART
	v_cvt_f32_f16 v30, v30;
	;;#ASMEND
	v_fmac_f32_e32 v51, v25, v30
	;;#ASMSTART
	v_cvt_f32_f16 v23, v26;
	;;#ASMEND
	;;#ASMSTART
	v_cvt_f32_f16 v25, v31;
	;;#ASMEND
	;; [unrolled: 3-line block ×3, first 2 shown]
	v_fmac_f32_e32 v28, v23, v24
	;;#ASMSTART
	v_cvt_f32_f16 v24, v35;
	;;#ASMEND
	v_fmac_f32_e32 v52, v25, v24
	v_cndmask_b32_e64 v24, v3, v12, s1
	s_delay_alu instid0(VALU_DEP_1) | instskip(NEXT) | instid1(VALU_DEP_1)
	v_dual_add_f32 v23, v27, v51 :: v_dual_lshlrev_b32 v24, 2, v24
	v_add_f32_e32 v23, v23, v28
	s_delay_alu instid0(VALU_DEP_1)
	v_add_f32_e32 v23, v52, v23
	ds_bpermute_b32 v24, v24, v23
	s_and_saveexec_b32 s44, vcc_lo
	s_cbranch_execz .LBB94_11
; %bb.17:                               ;   in Loop: Header=BB94_13 Depth=1
	s_waitcnt lgkmcnt(0)
	v_add_f32_e32 v23, v23, v24
	v_add_nc_u32_e32 v25, v13, v8
	s_delay_alu instid0(VALU_DEP_1) | instskip(NEXT) | instid1(VALU_DEP_1)
	v_cvt_f32_i32_e32 v25, v25
	v_mul_f32_e32 v25, s40, v25
	s_delay_alu instid0(VALU_DEP_1) | instskip(NEXT) | instid1(VALU_DEP_1)
	v_cndmask_b32_e64 v24, 0, v25, s0
	v_dual_max_f32 v25, v4, v4 :: v_dual_fmac_f32 v24, s37, v23
	v_add_nc_u32_e32 v23, v5, v8
	s_delay_alu instid0(VALU_DEP_2) | instskip(NEXT) | instid1(VALU_DEP_2)
	v_max_f32_e32 v25, v25, v24
	v_cmp_gt_i32_e64 s1, s15, v23
	s_delay_alu instid0(VALU_DEP_1) | instskip(NEXT) | instid1(VALU_DEP_3)
	v_cndmask_b32_e64 v23, 0, v24, s1
	v_cndmask_b32_e64 v4, v4, v25, s1
	ds_store_b32 v14, v23
	s_branch .LBB94_11
.LBB94_18:
	s_or_b32 exec_lo, exec_lo, s42
.LBB94_19:
	s_delay_alu instid0(SALU_CYCLE_1)
	s_or_b32 exec_lo, exec_lo, s6
	v_xor_b32_e32 v1, 16, v3
	v_xor_b32_e32 v2, 8, v3
	v_max_f32_e32 v7, v4, v4
	v_xor_b32_e32 v8, 2, v3
	v_and_b32_e32 v19, 31, v0
	v_cmp_gt_i32_e32 vcc_lo, 32, v1
	v_cndmask_b32_e32 v1, v3, v1, vcc_lo
	v_cmp_gt_i32_e32 vcc_lo, 32, v2
	s_delay_alu instid0(VALU_DEP_2) | instskip(SKIP_3) | instid1(VALU_DEP_1)
	v_dual_cndmask_b32 v2, v3, v2 :: v_dual_lshlrev_b32 v5, 2, v1
	ds_bpermute_b32 v1, v5, v4
	s_waitcnt lgkmcnt(0)
	v_dual_max_f32 v1, v1, v1 :: v_dual_lshlrev_b32 v4, 2, v2
	v_max_f32_e32 v1, v7, v1
	v_xor_b32_e32 v7, 4, v3
	ds_bpermute_b32 v2, v4, v1
	v_cmp_gt_i32_e32 vcc_lo, 32, v7
	v_cndmask_b32_e32 v7, v3, v7, vcc_lo
	v_cmp_gt_i32_e32 vcc_lo, 32, v8
	s_delay_alu instid0(VALU_DEP_2) | instskip(SKIP_3) | instid1(VALU_DEP_1)
	v_dual_cndmask_b32 v8, v3, v8 :: v_dual_lshlrev_b32 v7, 2, v7
	v_cmp_eq_u32_e32 vcc_lo, 0, v19
	s_waitcnt lgkmcnt(0)
	v_max_f32_e32 v2, v2, v2
	v_max_f32_e32 v1, v1, v2
	ds_bpermute_b32 v2, v7, v1
	s_waitcnt lgkmcnt(0)
	v_max_f32_e32 v2, v2, v2
	s_delay_alu instid0(VALU_DEP_1)
	v_dual_max_f32 v1, v1, v2 :: v_dual_lshlrev_b32 v2, 2, v8
	v_lshlrev_b32_e32 v8, 2, v17
	ds_bpermute_b32 v9, v2, v1
	s_and_saveexec_b32 s0, vcc_lo
	s_cbranch_execz .LBB94_21
; %bb.20:
	s_waitcnt lgkmcnt(0)
	v_max_f32_e32 v9, v9, v9
	v_max_f32_e32 v1, v1, v1
	s_delay_alu instid0(VALU_DEP_1)
	v_max_f32_e32 v1, v1, v9
	ds_store_b32 v8, v1 offset:160
.LBB94_21:
	s_or_b32 exec_lo, exec_lo, s0
	v_cmp_gt_u32_e64 s0, 4, v19
	v_mov_b32_e32 v1, 0xff7fffff
	s_waitcnt lgkmcnt(0)
	v_lshlrev_b32_e32 v9, 2, v19
	s_barrier
	buffer_gl0_inv
	s_and_saveexec_b32 s1, s0
	s_cbranch_execz .LBB94_23
; %bb.22:
	ds_load_b32 v1, v9 offset:160
.LBB94_23:
	s_or_b32 exec_lo, exec_lo, s1
	s_waitcnt lgkmcnt(0)
	ds_bpermute_b32 v12, v2, v1
	v_xor_b32_e32 v13, 1, v3
	v_max_f32_e32 v1, v1, v1
	s_delay_alu instid0(VALU_DEP_2) | instskip(NEXT) | instid1(VALU_DEP_1)
	v_cmp_gt_i32_e64 s1, 32, v13
	v_cndmask_b32_e64 v3, v3, v13, s1
	s_sub_i32 s1, s8, s7
	s_delay_alu instid0(SALU_CYCLE_1) | instskip(NEXT) | instid1(SALU_CYCLE_1)
	s_lshl_b32 s1, s1, 4
	s_add_i32 s1, s1, s38
	s_delay_alu instid0(SALU_CYCLE_1) | instskip(SKIP_4) | instid1(SALU_CYCLE_1)
	s_min_i32 s1, s1, s15
	s_waitcnt lgkmcnt(0)
	v_max_f32_e32 v12, v12, v12
	v_lshlrev_b32_e32 v20, 2, v3
	s_sub_i32 s6, s1, s38
	v_cmp_gt_i32_e64 s1, s6, v0
	s_delay_alu instid0(VALU_DEP_3) | instskip(SKIP_3) | instid1(VALU_DEP_1)
	v_dual_max_f32 v1, v1, v12 :: v_dual_mov_b32 v12, 0
	ds_bpermute_b32 v3, v20, v1
	s_waitcnt lgkmcnt(0)
	v_max_f32_e32 v3, v3, v3
	v_max_f32_e32 v1, v1, v3
	v_lshl_add_u32 v3, v0, 2, 0xc0
	ds_bpermute_b32 v1, v12, v1
	s_and_saveexec_b32 s7, s1
	s_cbranch_execz .LBB94_27
; %bb.24:
	v_lshl_add_u32 v13, v0, 2, 0xc0
	v_mov_b32_e32 v12, 0
	v_mov_b32_e32 v14, v0
	s_mov_b32 s35, 0
	.p2align	6
.LBB94_25:                              ; =>This Inner Loop Header: Depth=1
	ds_load_b32 v21, v13
	v_add_nc_u32_e32 v14, 0x80, v14
	s_delay_alu instid0(VALU_DEP_1) | instskip(NEXT) | instid1(VALU_DEP_1)
	v_cmp_le_i32_e64 s3, s6, v14
	s_or_b32 s35, s3, s35
	s_waitcnt lgkmcnt(0)
	v_sub_f32_e32 v21, v21, v1
	s_delay_alu instid0(VALU_DEP_1) | instskip(NEXT) | instid1(VALU_DEP_1)
	v_mul_f32_e32 v21, 0x3fb8aa3b, v21
	v_exp_f32_e32 v21, v21
	ds_store_b32 v13, v21
	v_add_f32_e32 v12, v12, v21
	v_add_nc_u32_e32 v13, 0x200, v13
	s_and_not1_b32 exec_lo, exec_lo, s35
	s_cbranch_execnz .LBB94_25
; %bb.26:
	s_or_b32 exec_lo, exec_lo, s35
.LBB94_27:
	s_delay_alu instid0(SALU_CYCLE_1)
	s_or_b32 exec_lo, exec_lo, s7
	ds_bpermute_b32 v5, v5, v12
	s_waitcnt lgkmcnt(0)
	v_add_f32_e32 v5, v12, v5
	ds_bpermute_b32 v4, v4, v5
	s_waitcnt lgkmcnt(0)
	v_add_f32_e32 v4, v5, v4
	;; [unrolled: 3-line block ×5, first 2 shown]
	s_and_saveexec_b32 s3, vcc_lo
	s_cbranch_execz .LBB94_29
; %bb.28:
	ds_store_b32 v8, v4 offset:176
.LBB94_29:
	s_or_b32 exec_lo, exec_lo, s3
	s_waitcnt lgkmcnt(0)
	s_barrier
	buffer_gl0_inv
	s_and_saveexec_b32 s3, s0
	s_cbranch_execz .LBB94_31
; %bb.30:
	ds_load_b32 v4, v9 offset:176
.LBB94_31:
	s_or_b32 exec_lo, exec_lo, s3
	s_waitcnt lgkmcnt(0)
	ds_bpermute_b32 v2, v2, v4
	s_waitcnt lgkmcnt(0)
	v_add_f32_e32 v2, v4, v2
	ds_bpermute_b32 v4, v20, v2
	s_waitcnt lgkmcnt(0)
	v_add_f32_e32 v2, v2, v4
	v_mov_b32_e32 v4, 0
	ds_bpermute_b32 v2, v4, v2
	s_and_saveexec_b32 s0, s1
	s_cbranch_execz .LBB94_34
; %bb.32:
	s_waitcnt lgkmcnt(0)
	v_add_f32_e32 v4, 0x358637bd, v2
	s_mov_b32 s1, 0
	s_delay_alu instid0(VALU_DEP_1) | instskip(NEXT) | instid1(VALU_DEP_1)
	v_div_scale_f32 v5, null, v4, v4, 1.0
	v_rcp_f32_e32 v7, v5
	s_waitcnt_depctr 0xfff
	v_fma_f32 v8, -v5, v7, 1.0
	s_delay_alu instid0(VALU_DEP_1) | instskip(SKIP_1) | instid1(VALU_DEP_1)
	v_fmac_f32_e32 v7, v8, v7
	v_div_scale_f32 v9, vcc_lo, 1.0, v4, 1.0
	v_mul_f32_e32 v8, v9, v7
	s_delay_alu instid0(VALU_DEP_1) | instskip(NEXT) | instid1(VALU_DEP_1)
	v_fma_f32 v12, -v5, v8, v9
	v_fmac_f32_e32 v8, v12, v7
	s_delay_alu instid0(VALU_DEP_1) | instskip(NEXT) | instid1(VALU_DEP_1)
	v_fma_f32 v5, -v5, v8, v9
	v_div_fmas_f32 v5, v5, v7, v8
	s_delay_alu instid0(VALU_DEP_1)
	v_div_fixup_f32 v4, v5, v4, 1.0
	v_mov_b32_e32 v5, v0
.LBB94_33:                              ; =>This Inner Loop Header: Depth=1
	ds_load_b32 v7, v3
	v_add_nc_u32_e32 v5, 0x80, v5
	s_delay_alu instid0(VALU_DEP_1)
	v_cmp_le_i32_e32 vcc_lo, s6, v5
	s_or_b32 s1, vcc_lo, s1
	s_waitcnt lgkmcnt(0)
	v_mul_f32_e32 v7, v4, v7
	ds_store_b32 v3, v7
	v_add_nc_u32_e32 v3, 0x200, v3
	s_and_not1_b32 exec_lo, exec_lo, s1
	s_cbranch_execnz .LBB94_33
.LBB94_34:
	s_or_b32 exec_lo, exec_lo, s0
	s_mul_i32 s0, s4, s14
	s_waitcnt lgkmcnt(0)
	s_mul_i32 s6, s0, s13
	s_mov_b32 s0, exec_lo
	s_barrier
	buffer_gl0_inv
	v_cmpx_eq_u32_e32 0, v0
	s_cbranch_execz .LBB94_36
; %bb.35:
	s_ashr_i32 s7, s6, 31
	s_mul_i32 s42, s4, s24
	s_lshl_b64 s[40:41], s[6:7], 2
	v_mov_b32_e32 v3, 0
	s_add_u32 s1, s18, s40
	s_addc_u32 s3, s19, s41
	s_ashr_i32 s43, s42, 31
	s_delay_alu instid0(SALU_CYCLE_1) | instskip(NEXT) | instid1(SALU_CYCLE_1)
	s_lshl_b64 s[18:19], s[42:43], 2
	s_add_u32 s1, s1, s18
	s_addc_u32 s3, s3, s19
	s_ashr_i32 s13, s12, 31
	s_delay_alu instid0(SALU_CYCLE_1) | instskip(NEXT) | instid1(SALU_CYCLE_1)
	s_lshl_b64 s[42:43], s[12:13], 2
	s_add_u32 s44, s1, s42
	s_addc_u32 s45, s3, s43
	s_add_u32 s1, s16, s40
	s_addc_u32 s3, s17, s41
	;; [unrolled: 2-line block ×4, first 2 shown]
	s_clause 0x1
	global_store_b32 v3, v1, s[44:45]
	global_store_b32 v3, v2, s[16:17]
.LBB94_36:
	s_or_b32 exec_lo, exec_lo, s0
	v_dual_mov_b32 v5, 0 :: v_dual_mov_b32 v4, 0
	v_dual_mov_b32 v3, 0 :: v_dual_mov_b32 v2, 0
	v_mov_b32_e32 v1, 0
	s_mov_b32 s3, 0
	s_and_saveexec_b32 s1, s2
	s_cbranch_execz .LBB94_52
; %bb.37:
	s_ashr_i32 s35, s34, 31
	s_sub_i32 s2, s39, s9
	s_lshl_b64 s[16:17], s[34:35], 1
	s_mov_b32 s40, 0
	s_add_u32 s0, s30, s16
	s_addc_u32 s18, s31, s17
	s_abs_i32 s7, s10
	s_mov_b32 s41, s40
	v_cvt_f32_u32_e32 v1, s7
	s_sub_i32 s16, 0, s7
	s_mov_b32 s42, s40
	s_mov_b32 s43, s40
	;; [unrolled: 1-line block ×3, first 2 shown]
	v_rcp_iflag_f32_e32 v1, v1
	v_and_b32_e32 v21, 8, v6
	v_lshlrev_b32_e32 v5, 5, v16
	s_add_i32 s36, s36, -1
	s_mov_b32 s9, s15
	s_mov_b32 s10, s15
	;; [unrolled: 1-line block ×3, first 2 shown]
	v_lshl_or_b32 v5, v17, 6, v5
	s_mov_b32 s14, s15
	s_waitcnt_depctr 0xfff
	v_dual_mul_f32 v3, 0x4f7ffffe, v1 :: v_dual_lshlrev_b32 v4, 4, v0
	v_lshlrev_b64 v[1:2], 2, v[10:11]
	v_add_nc_u32_e32 v24, 0xc0, v5
	s_delay_alu instid0(VALU_DEP_3) | instskip(NEXT) | instid1(VALU_DEP_4)
	v_and_b32_e32 v4, 0x1f0, v4
	v_cvt_u32_f32_e32 v3, v3
	s_delay_alu instid0(VALU_DEP_2) | instskip(NEXT) | instid1(VALU_DEP_2)
	v_add_co_u32 v22, s0, s0, v4
	v_mul_lo_u32 v6, s16, v3
	s_lshl_b64 s[16:17], s[28:29], 2
	v_add_co_ci_u32_e64 v23, null, s18, 0, s0
	s_add_u32 s16, s26, s16
	s_addc_u32 s17, s27, s17
	v_add_co_u32 v11, vcc_lo, s16, v1
	s_delay_alu instid0(VALU_DEP_3) | instskip(SKIP_4) | instid1(VALU_DEP_2)
	v_mul_hi_u32 v6, v3, v6
	v_add_co_ci_u32_e32 v12, vcc_lo, s17, v2, vcc_lo
	s_mov_b32 s16, s15
	s_mov_b32 s17, s15
	;; [unrolled: 1-line block ×3, first 2 shown]
	v_add_nc_u32_e32 v25, v3, v6
	v_mov_b32_e32 v1, s40
	v_dual_mov_b32 v3, s42 :: v_dual_mov_b32 v2, s41
	v_dual_mov_b32 v4, s43 :: v_dual_mov_b32 v5, s44
	s_branch .LBB94_40
.LBB94_38:                              ;   in Loop: Header=BB94_40 Depth=1
	s_or_b32 exec_lo, exec_lo, s0
	s_waitcnt vmcnt(0)
	;;#ASMSTART
	v_pk_mul_f16 v6, v37, v6;

	;;#ASMEND
	;;#ASMSTART
	v_pk_mul_f16 v7, v36, v7;

	;;#ASMEND
	;; [unrolled: 4-line block ×4, first 2 shown]
	;;#ASMSTART
	v_pk_add_f16 v6, v6, v7;

	;;#ASMEND
	;;#ASMSTART
	v_pk_add_f16 v6, v6, v8;

	;;#ASMEND
	;; [unrolled: 4-line block ×3, first 2 shown]
	v_dual_add_f32 v14, v44, v45 :: v_dual_and_b32 v7, 0xffff, v6
	v_lshrrev_b32_e32 v6, 16, v6
	;;#ASMSTART
	v_cvt_f32_f16 v7, v7;
	;;#ASMEND
	;;#ASMSTART
	v_cvt_f32_f16 v6, v6;
	;;#ASMEND
	v_dual_add_f32 v13, v38, v39 :: v_dual_add_f32 v8, v40, v41
	s_delay_alu instid0(VALU_DEP_2) | instskip(NEXT) | instid1(VALU_DEP_2)
	v_dual_add_f32 v9, v42, v43 :: v_dual_add_f32 v6, v7, v6
	v_dual_add_f32 v4, v4, v14 :: v_dual_add_f32 v1, v1, v13
	s_delay_alu instid0(VALU_DEP_2) | instskip(NEXT) | instid1(VALU_DEP_3)
	v_dual_add_f32 v2, v2, v8 :: v_dual_add_f32 v3, v3, v9
	v_add_f32_e32 v5, v5, v6
.LBB94_39:                              ;   in Loop: Header=BB94_40 Depth=1
	s_or_b32 exec_lo, exec_lo, s19
	v_add_nc_u32_e32 v10, 4, v10
	v_add_co_u32 v11, s0, v11, 16
	s_delay_alu instid0(VALU_DEP_1) | instskip(NEXT) | instid1(VALU_DEP_3)
	v_add_co_ci_u32_e64 v12, s0, 0, v12, s0
	v_cmp_le_i32_e32 vcc_lo, s8, v10
	v_add_nc_u32_e32 v18, 64, v18
	v_add_nc_u32_e32 v24, 0x100, v24
	s_or_b32 s3, vcc_lo, s3
	s_delay_alu instid0(SALU_CYCLE_1)
	s_and_not1_b32 exec_lo, exec_lo, s3
	s_cbranch_execz .LBB94_51
.LBB94_40:                              ; =>This Inner Loop Header: Depth=1
	v_sub_nc_u32_e32 v6, 0, v18
	s_delay_alu instid0(VALU_DEP_1) | instskip(NEXT) | instid1(VALU_DEP_1)
	v_max_i32_e32 v6, v18, v6
	v_mul_hi_u32 v7, v6, s25
	s_delay_alu instid0(VALU_DEP_1) | instskip(NEXT) | instid1(VALU_DEP_1)
	v_mul_lo_u32 v8, v7, s21
	v_sub_nc_u32_e32 v6, v6, v8
	v_add_nc_u32_e32 v8, 1, v7
	s_delay_alu instid0(VALU_DEP_2) | instskip(SKIP_1) | instid1(VALU_DEP_2)
	v_subrev_nc_u32_e32 v9, s21, v6
	v_cmp_le_u32_e32 vcc_lo, s21, v6
	v_dual_cndmask_b32 v7, v7, v8 :: v_dual_cndmask_b32 v6, v6, v9
	v_ashrrev_i32_e32 v8, 31, v18
	s_delay_alu instid0(VALU_DEP_2) | instskip(NEXT) | instid1(VALU_DEP_3)
	v_add_nc_u32_e32 v9, 1, v7
	v_cmp_le_u32_e32 vcc_lo, s21, v6
	s_delay_alu instid0(VALU_DEP_3) | instskip(NEXT) | instid1(VALU_DEP_3)
	v_xor_b32_e32 v8, s11, v8
	v_cndmask_b32_e32 v6, v7, v9, vcc_lo
	s_delay_alu instid0(VALU_DEP_1) | instskip(NEXT) | instid1(VALU_DEP_1)
	v_xor_b32_e32 v6, v6, v8
	v_sub_nc_u32_e32 v6, v6, v8
	s_delay_alu instid0(VALU_DEP_1) | instskip(SKIP_1) | instid1(VALU_DEP_2)
	v_add_nc_u32_e32 v7, s33, v6
	v_cmp_lt_i32_e64 s0, s2, v6
	v_sub_nc_u32_e32 v8, 0, v7
	s_delay_alu instid0(VALU_DEP_1) | instskip(NEXT) | instid1(VALU_DEP_1)
	v_max_i32_e32 v8, v7, v8
	v_mul_hi_u32 v9, v8, v25
	s_delay_alu instid0(VALU_DEP_1) | instskip(NEXT) | instid1(VALU_DEP_1)
	v_mul_lo_u32 v9, v9, s7
	v_sub_nc_u32_e32 v8, v8, v9
	s_delay_alu instid0(VALU_DEP_1) | instskip(SKIP_1) | instid1(VALU_DEP_2)
	v_subrev_nc_u32_e32 v9, s7, v8
	v_cmp_le_u32_e32 vcc_lo, s7, v8
	v_cndmask_b32_e32 v8, v8, v9, vcc_lo
	v_ashrrev_i32_e32 v7, 31, v7
	s_delay_alu instid0(VALU_DEP_2) | instskip(SKIP_1) | instid1(VALU_DEP_2)
	v_subrev_nc_u32_e32 v9, s7, v8
	v_cmp_le_u32_e32 vcc_lo, s7, v8
	v_cndmask_b32_e32 v8, v8, v9, vcc_lo
	s_delay_alu instid0(VALU_DEP_1) | instskip(NEXT) | instid1(VALU_DEP_1)
	v_xor_b32_e32 v8, v8, v7
	v_sub_nc_u32_e32 v7, v8, v7
	s_delay_alu instid0(VALU_DEP_1) | instskip(SKIP_1) | instid1(SALU_CYCLE_1)
	v_cmp_eq_u32_e32 vcc_lo, 0, v7
	s_or_b32 s0, vcc_lo, s0
	s_and_saveexec_b32 s19, s0
	s_cbranch_execz .LBB94_39
; %bb.41:                               ;   in Loop: Header=BB94_40 Depth=1
	global_load_b32 v30, v[11:12], off
	ds_load_2addr_b64 v[6:9], v24 offset1:1
	ds_load_2addr_b64 v[26:29], v24 offset0:2 offset1:3
	s_waitcnt lgkmcnt(1)
	;;#ASMSTART
	v_cvt_f16_f32 v36, v6;

	;;#ASMEND
	;;#ASMSTART
	v_cvt_f16_f32 v34, v7;

	;;#ASMEND
	;; [unrolled: 4-line block ×4, first 2 shown]
	s_waitcnt lgkmcnt(0)
	;;#ASMSTART
	v_cvt_f16_f32 v40, v26;

	;;#ASMEND
	;;#ASMSTART
	v_cvt_f16_f32 v38, v27;

	;;#ASMEND
	;; [unrolled: 4-line block ×4, first 2 shown]
	v_add_nc_u32_e32 v26, v21, v18
	s_delay_alu instid0(VALU_DEP_1)
	v_add_nc_u32_e32 v27, 1, v26
	v_or_b32_e32 v29, 3, v26
	v_or_b32_e32 v28, 2, v26
	;; [unrolled: 1-line block ×5, first 2 shown]
	s_waitcnt vmcnt(0)
	v_mad_i64_i32 v[13:14], null, v30, s5, 0
	v_or_b32_e32 v30, 4, v26
	s_delay_alu instid0(VALU_DEP_2) | instskip(NEXT) | instid1(VALU_DEP_1)
	v_lshlrev_b64 v[13:14], 1, v[13:14]
	v_add_co_u32 v13, vcc_lo, v22, v13
	s_delay_alu instid0(VALU_DEP_2)
	v_add_co_ci_u32_e32 v14, vcc_lo, v23, v14, vcc_lo
	v_cmp_eq_u32_e32 vcc_lo, s36, v10
	global_load_b128 v[6:9], v[13:14], off
	s_and_saveexec_b32 s24, vcc_lo
	s_cbranch_execz .LBB94_43
; %bb.42:                               ;   in Loop: Header=BB94_40 Depth=1
	v_cmp_gt_i32_e64 s0, s17, v33
	s_waitcnt vmcnt(0)
	v_lshrrev_b32_e32 v42, 16, v9
	v_lshrrev_b32_e32 v43, 16, v8
	;; [unrolled: 1-line block ×4, first 2 shown]
	v_cndmask_b32_e64 v9, 0, v9, s0
	v_cmp_gt_i32_e64 s0, s18, v32
	s_delay_alu instid0(VALU_DEP_1) | instskip(SKIP_1) | instid1(VALU_DEP_2)
	v_cndmask_b32_e64 v42, 0, v42, s0
	v_cmp_gt_i32_e64 s0, s16, v31
	v_perm_b32 v9, v42, v9, 0x5040100
	s_delay_alu instid0(VALU_DEP_2) | instskip(SKIP_1) | instid1(VALU_DEP_1)
	v_cndmask_b32_e64 v43, 0, v43, s0
	v_cmp_gt_i32_e64 s0, s14, v30
	v_cndmask_b32_e64 v8, 0, v8, s0
	v_cmp_gt_i32_e64 s0, s13, v29
	s_delay_alu instid0(VALU_DEP_2) | instskip(NEXT) | instid1(VALU_DEP_2)
	v_perm_b32 v8, v43, v8, 0x5040100
	v_cndmask_b32_e64 v44, 0, v44, s0
	v_cmp_gt_i32_e64 s0, s10, v28
	s_delay_alu instid0(VALU_DEP_1) | instskip(SKIP_1) | instid1(VALU_DEP_2)
	v_cndmask_b32_e64 v7, 0, v7, s0
	v_cmp_gt_i32_e64 s0, s9, v27
	v_perm_b32 v7, v44, v7, 0x5040100
	s_delay_alu instid0(VALU_DEP_2) | instskip(SKIP_1) | instid1(VALU_DEP_1)
	v_cndmask_b32_e64 v45, 0, v45, s0
	v_cmp_gt_i32_e64 s0, s15, v26
	v_cndmask_b32_e64 v6, 0, v6, s0
	s_delay_alu instid0(VALU_DEP_1)
	v_perm_b32 v6, v45, v6, 0x5040100
.LBB94_43:                              ;   in Loop: Header=BB94_40 Depth=1
	s_or_b32 exec_lo, exec_lo, s24
	v_and_b32_e32 v36, 0xffff, v36
	v_and_b32_e32 v42, 0xffff, v37
	;; [unrolled: 1-line block ×4, first 2 shown]
	s_delay_alu instid0(VALU_DEP_4)
	v_lshl_or_b32 v37, v34, 16, v36
	s_waitcnt vmcnt(0)
	;;#ASMSTART
	v_pk_mul_f16 v6, v37, v6;

	;;#ASMEND
	v_lshl_or_b32 v36, v35, 16, v42
	v_lshl_or_b32 v35, v38, 16, v40
	v_lshl_or_b32 v34, v39, 16, v41
	;;#ASMSTART
	v_pk_mul_f16 v7, v36, v7;

	;;#ASMEND
	;;#ASMSTART
	v_pk_mul_f16 v8, v35, v8;

	;;#ASMEND
	;; [unrolled: 4-line block ×3, first 2 shown]
	;;#ASMSTART
	v_pk_add_f16 v6, v6, v7;

	;;#ASMEND
	;;#ASMSTART
	v_pk_add_f16 v6, v6, v8;

	;;#ASMEND
	;; [unrolled: 4-line block ×3, first 2 shown]
	v_and_b32_e32 v7, 0xffff, v6
	v_lshrrev_b32_e32 v6, 16, v6
	;;#ASMSTART
	v_cvt_f32_f16 v38, v7;
	;;#ASMEND
	;;#ASMSTART
	v_cvt_f32_f16 v39, v6;
	;;#ASMEND
	global_load_b128 v[6:9], v[13:14], off offset:512
	s_and_saveexec_b32 s24, vcc_lo
	s_cbranch_execz .LBB94_45
; %bb.44:                               ;   in Loop: Header=BB94_40 Depth=1
	v_cmp_gt_i32_e64 s0, s17, v33
	s_waitcnt vmcnt(0)
	v_lshrrev_b32_e32 v40, 16, v9
	v_lshrrev_b32_e32 v41, 16, v8
	;; [unrolled: 1-line block ×4, first 2 shown]
	v_cndmask_b32_e64 v9, 0, v9, s0
	v_cmp_gt_i32_e64 s0, s18, v32
	s_delay_alu instid0(VALU_DEP_1) | instskip(SKIP_1) | instid1(VALU_DEP_2)
	v_cndmask_b32_e64 v40, 0, v40, s0
	v_cmp_gt_i32_e64 s0, s16, v31
	v_perm_b32 v9, v40, v9, 0x5040100
	s_delay_alu instid0(VALU_DEP_2) | instskip(SKIP_1) | instid1(VALU_DEP_1)
	v_cndmask_b32_e64 v41, 0, v41, s0
	v_cmp_gt_i32_e64 s0, s14, v30
	v_cndmask_b32_e64 v8, 0, v8, s0
	v_cmp_gt_i32_e64 s0, s13, v29
	s_delay_alu instid0(VALU_DEP_2) | instskip(NEXT) | instid1(VALU_DEP_2)
	v_perm_b32 v8, v41, v8, 0x5040100
	v_cndmask_b32_e64 v42, 0, v42, s0
	v_cmp_gt_i32_e64 s0, s10, v28
	s_delay_alu instid0(VALU_DEP_1) | instskip(SKIP_1) | instid1(VALU_DEP_2)
	v_cndmask_b32_e64 v7, 0, v7, s0
	v_cmp_gt_i32_e64 s0, s9, v27
	v_perm_b32 v7, v42, v7, 0x5040100
	s_delay_alu instid0(VALU_DEP_2) | instskip(SKIP_1) | instid1(VALU_DEP_1)
	v_cndmask_b32_e64 v43, 0, v43, s0
	v_cmp_gt_i32_e64 s0, s15, v26
	v_cndmask_b32_e64 v6, 0, v6, s0
	s_delay_alu instid0(VALU_DEP_1)
	v_perm_b32 v6, v43, v6, 0x5040100
.LBB94_45:                              ;   in Loop: Header=BB94_40 Depth=1
	s_or_b32 exec_lo, exec_lo, s24
	s_waitcnt vmcnt(0)
	;;#ASMSTART
	v_pk_mul_f16 v6, v37, v6;

	;;#ASMEND
	;;#ASMSTART
	v_pk_mul_f16 v7, v36, v7;

	;;#ASMEND
	;; [unrolled: 4-line block ×4, first 2 shown]
	;;#ASMSTART
	v_pk_add_f16 v6, v6, v7;

	;;#ASMEND
	;;#ASMSTART
	v_pk_add_f16 v6, v6, v8;

	;;#ASMEND
	;; [unrolled: 4-line block ×3, first 2 shown]
	v_and_b32_e32 v7, 0xffff, v6
	v_lshrrev_b32_e32 v6, 16, v6
	;;#ASMSTART
	v_cvt_f32_f16 v40, v7;
	;;#ASMEND
	;;#ASMSTART
	v_cvt_f32_f16 v41, v6;
	;;#ASMEND
	global_load_b128 v[6:9], v[13:14], off offset:1024
	s_and_saveexec_b32 s24, vcc_lo
	s_cbranch_execz .LBB94_47
; %bb.46:                               ;   in Loop: Header=BB94_40 Depth=1
	v_cmp_gt_i32_e64 s0, s17, v33
	s_waitcnt vmcnt(0)
	v_lshrrev_b32_e32 v42, 16, v9
	v_lshrrev_b32_e32 v43, 16, v8
	;; [unrolled: 1-line block ×4, first 2 shown]
	v_cndmask_b32_e64 v9, 0, v9, s0
	v_cmp_gt_i32_e64 s0, s18, v32
	s_delay_alu instid0(VALU_DEP_1) | instskip(SKIP_1) | instid1(VALU_DEP_2)
	v_cndmask_b32_e64 v42, 0, v42, s0
	v_cmp_gt_i32_e64 s0, s16, v31
	v_perm_b32 v9, v42, v9, 0x5040100
	s_delay_alu instid0(VALU_DEP_2) | instskip(SKIP_1) | instid1(VALU_DEP_1)
	v_cndmask_b32_e64 v43, 0, v43, s0
	v_cmp_gt_i32_e64 s0, s14, v30
	v_cndmask_b32_e64 v8, 0, v8, s0
	v_cmp_gt_i32_e64 s0, s13, v29
	s_delay_alu instid0(VALU_DEP_2) | instskip(NEXT) | instid1(VALU_DEP_2)
	v_perm_b32 v8, v43, v8, 0x5040100
	v_cndmask_b32_e64 v44, 0, v44, s0
	v_cmp_gt_i32_e64 s0, s10, v28
	s_delay_alu instid0(VALU_DEP_1) | instskip(SKIP_1) | instid1(VALU_DEP_2)
	v_cndmask_b32_e64 v7, 0, v7, s0
	v_cmp_gt_i32_e64 s0, s9, v27
	v_perm_b32 v7, v44, v7, 0x5040100
	s_delay_alu instid0(VALU_DEP_2) | instskip(SKIP_1) | instid1(VALU_DEP_1)
	v_cndmask_b32_e64 v45, 0, v45, s0
	v_cmp_gt_i32_e64 s0, s15, v26
	v_cndmask_b32_e64 v6, 0, v6, s0
	s_delay_alu instid0(VALU_DEP_1)
	v_perm_b32 v6, v45, v6, 0x5040100
.LBB94_47:                              ;   in Loop: Header=BB94_40 Depth=1
	s_or_b32 exec_lo, exec_lo, s24
	s_waitcnt vmcnt(0)
	;;#ASMSTART
	v_pk_mul_f16 v6, v37, v6;

	;;#ASMEND
	;;#ASMSTART
	v_pk_mul_f16 v7, v36, v7;

	;;#ASMEND
	;; [unrolled: 4-line block ×4, first 2 shown]
	;;#ASMSTART
	v_pk_add_f16 v6, v6, v7;

	;;#ASMEND
	;;#ASMSTART
	v_pk_add_f16 v6, v6, v8;

	;;#ASMEND
	;; [unrolled: 4-line block ×3, first 2 shown]
	v_and_b32_e32 v7, 0xffff, v6
	v_lshrrev_b32_e32 v6, 16, v6
	;;#ASMSTART
	v_cvt_f32_f16 v42, v7;
	;;#ASMEND
	;;#ASMSTART
	v_cvt_f32_f16 v43, v6;
	;;#ASMEND
	global_load_b128 v[6:9], v[13:14], off offset:1536
	s_and_saveexec_b32 s24, vcc_lo
	s_cbranch_execz .LBB94_49
; %bb.48:                               ;   in Loop: Header=BB94_40 Depth=1
	v_cmp_gt_i32_e64 s0, s17, v33
	s_waitcnt vmcnt(0)
	v_lshrrev_b32_e32 v44, 16, v9
	v_lshrrev_b32_e32 v45, 16, v8
	;; [unrolled: 1-line block ×4, first 2 shown]
	v_cndmask_b32_e64 v9, 0, v9, s0
	v_cmp_gt_i32_e64 s0, s18, v32
	s_delay_alu instid0(VALU_DEP_1) | instskip(SKIP_1) | instid1(VALU_DEP_2)
	v_cndmask_b32_e64 v44, 0, v44, s0
	v_cmp_gt_i32_e64 s0, s16, v31
	v_perm_b32 v9, v44, v9, 0x5040100
	s_delay_alu instid0(VALU_DEP_2) | instskip(SKIP_1) | instid1(VALU_DEP_1)
	v_cndmask_b32_e64 v45, 0, v45, s0
	v_cmp_gt_i32_e64 s0, s14, v30
	v_cndmask_b32_e64 v8, 0, v8, s0
	v_cmp_gt_i32_e64 s0, s13, v29
	s_delay_alu instid0(VALU_DEP_2) | instskip(NEXT) | instid1(VALU_DEP_2)
	v_perm_b32 v8, v45, v8, 0x5040100
	v_cndmask_b32_e64 v46, 0, v46, s0
	v_cmp_gt_i32_e64 s0, s10, v28
	s_delay_alu instid0(VALU_DEP_1) | instskip(SKIP_1) | instid1(VALU_DEP_2)
	v_cndmask_b32_e64 v7, 0, v7, s0
	v_cmp_gt_i32_e64 s0, s9, v27
	v_perm_b32 v7, v46, v7, 0x5040100
	s_delay_alu instid0(VALU_DEP_2) | instskip(SKIP_1) | instid1(VALU_DEP_1)
	v_cndmask_b32_e64 v47, 0, v47, s0
	v_cmp_gt_i32_e64 s0, s15, v26
	v_cndmask_b32_e64 v6, 0, v6, s0
	s_delay_alu instid0(VALU_DEP_1)
	v_perm_b32 v6, v47, v6, 0x5040100
.LBB94_49:                              ;   in Loop: Header=BB94_40 Depth=1
	s_or_b32 exec_lo, exec_lo, s24
	s_waitcnt vmcnt(0)
	;;#ASMSTART
	v_pk_mul_f16 v6, v37, v6;

	;;#ASMEND
	;;#ASMSTART
	v_pk_mul_f16 v7, v36, v7;

	;;#ASMEND
	;; [unrolled: 4-line block ×4, first 2 shown]
	;;#ASMSTART
	v_pk_add_f16 v6, v6, v7;

	;;#ASMEND
	;;#ASMSTART
	v_pk_add_f16 v6, v6, v8;

	;;#ASMEND
	;; [unrolled: 4-line block ×3, first 2 shown]
	v_and_b32_e32 v7, 0xffff, v6
	v_lshrrev_b32_e32 v6, 16, v6
	;;#ASMSTART
	v_cvt_f32_f16 v44, v7;
	;;#ASMEND
	;;#ASMSTART
	v_cvt_f32_f16 v45, v6;
	;;#ASMEND
	global_load_b128 v[6:9], v[13:14], off offset:2048
	s_and_saveexec_b32 s0, vcc_lo
	s_cbranch_execz .LBB94_38
; %bb.50:                               ;   in Loop: Header=BB94_40 Depth=1
	v_cmp_gt_i32_e32 vcc_lo, s17, v33
	s_waitcnt vmcnt(0)
	v_lshrrev_b32_e32 v13, 16, v9
	v_lshrrev_b32_e32 v14, 16, v8
	v_cndmask_b32_e32 v9, 0, v9, vcc_lo
	v_cmp_gt_i32_e32 vcc_lo, s18, v32
	s_delay_alu instid0(VALU_DEP_4)
	v_cndmask_b32_e32 v13, 0, v13, vcc_lo
	v_cmp_gt_i32_e32 vcc_lo, s16, v31
	v_lshrrev_b32_e32 v31, 16, v7
	v_cndmask_b32_e32 v14, 0, v14, vcc_lo
	v_cmp_gt_i32_e32 vcc_lo, s14, v30
	v_lshrrev_b32_e32 v30, 16, v6
	v_cndmask_b32_e32 v8, 0, v8, vcc_lo
	v_cmp_gt_i32_e32 vcc_lo, s13, v29
	v_perm_b32 v9, v13, v9, 0x5040100
	s_delay_alu instid0(VALU_DEP_3)
	v_perm_b32 v8, v14, v8, 0x5040100
	v_cndmask_b32_e32 v29, 0, v31, vcc_lo
	v_cmp_gt_i32_e32 vcc_lo, s10, v28
	v_cndmask_b32_e32 v7, 0, v7, vcc_lo
	v_cmp_gt_i32_e32 vcc_lo, s9, v27
	;; [unrolled: 2-line block ×3, first 2 shown]
	v_cndmask_b32_e32 v6, 0, v6, vcc_lo
	v_perm_b32 v7, v29, v7, 0x5040100
	s_delay_alu instid0(VALU_DEP_2)
	v_perm_b32 v6, v27, v6, 0x5040100
	s_branch .LBB94_38
.LBB94_51:
	s_or_b32 exec_lo, exec_lo, s3
.LBB94_52:
	s_delay_alu instid0(SALU_CYCLE_1)
	s_or_b32 exec_lo, exec_lo, s1
	ds_bpermute_b32 v6, v20, v1
	ds_bpermute_b32 v10, v20, v2
	;; [unrolled: 1-line block ×5, first 2 shown]
	v_and_b32_e32 v7, 0x3c1, v0
	v_lshrrev_b32_e32 v8, 1, v19
	s_movk_i32 s0, 0x140
	s_waitcnt lgkmcnt(0)
	s_waitcnt_vscnt null, 0x0
	v_mad_u32_u24 v9, v17, s0, 0xc0
	v_cmp_eq_u32_e32 vcc_lo, 64, v7
	s_barrier
	buffer_gl0_inv
	v_add_f32_e32 v7, v1, v6
	v_dual_add_f32 v6, v2, v10 :: v_dual_add_f32 v3, v3, v11
	v_add_f32_e32 v2, v4, v12
	v_dual_add_f32 v1, v5, v13 :: v_dual_lshlrev_b32 v4, 2, v8
	s_and_saveexec_b32 s0, vcc_lo
	s_cbranch_execz .LBB94_54
; %bb.53:
	s_delay_alu instid0(VALU_DEP_1)
	v_add3_u32 v5, v9, v4, 0xfffffd80
	ds_store_2addr_b32 v5, v7, v6 offset1:16
	ds_store_2addr_b32 v5, v3, v2 offset0:32 offset1:48
	ds_store_b32 v5, v1 offset:256
.LBB94_54:
	s_or_b32 exec_lo, exec_lo, s0
	v_cmp_eq_u32_e32 vcc_lo, 0, v16
	s_mov_b32 s1, exec_lo
	s_waitcnt lgkmcnt(0)
	s_barrier
	buffer_gl0_inv
	v_cmpx_gt_u32_e32 64, v0
	s_cbranch_execz .LBB94_62
; %bb.55:
	s_and_saveexec_b32 s0, vcc_lo
	s_cbranch_execnz .LBB94_75
; %bb.56:
	s_or_b32 exec_lo, exec_lo, s0
	s_and_saveexec_b32 s0, vcc_lo
	s_cbranch_execnz .LBB94_76
.LBB94_57:
	s_or_b32 exec_lo, exec_lo, s0
	s_and_saveexec_b32 s0, vcc_lo
	s_cbranch_execnz .LBB94_77
.LBB94_58:
	s_or_b32 exec_lo, exec_lo, s0
	s_and_saveexec_b32 s0, vcc_lo
	s_cbranch_execnz .LBB94_78
.LBB94_59:
	s_or_b32 exec_lo, exec_lo, s0
	s_and_saveexec_b32 s0, vcc_lo
	s_cbranch_execz .LBB94_61
.LBB94_60:
	v_lshl_add_u32 v5, v8, 2, v9
	ds_load_b32 v5, v5 offset:256
	s_waitcnt lgkmcnt(0)
	v_add_f32_e32 v1, v1, v5
.LBB94_61:
	s_or_b32 exec_lo, exec_lo, s0
.LBB94_62:
	s_delay_alu instid0(SALU_CYCLE_1)
	s_or_b32 exec_lo, exec_lo, s1
	v_and_b32_e32 v5, 0x3e1, v0
	s_mov_b32 s1, exec_lo
	s_barrier
	buffer_gl0_inv
	v_cmpx_eq_u32_e32 32, v5
	s_cbranch_execz .LBB94_64
; %bb.63:
	v_add3_u32 v4, v9, v4, 0xfffffec0
	ds_store_2addr_b32 v4, v7, v6 offset1:16
	ds_store_2addr_b32 v4, v3, v2 offset0:32 offset1:48
	ds_store_b32 v4, v1 offset:256
.LBB94_64:
	s_or_b32 exec_lo, exec_lo, s1
	s_delay_alu instid0(SALU_CYCLE_1)
	s_mov_b32 s1, exec_lo
	s_waitcnt lgkmcnt(0)
	s_barrier
	buffer_gl0_inv
	v_cmpx_gt_u32_e32 32, v0
	s_cbranch_execz .LBB94_72
; %bb.65:
	v_lshl_add_u32 v0, v8, 2, v9
	s_and_saveexec_b32 s0, vcc_lo
	s_cbranch_execnz .LBB94_79
; %bb.66:
	s_or_b32 exec_lo, exec_lo, s0
	s_and_saveexec_b32 s0, vcc_lo
	s_cbranch_execnz .LBB94_80
.LBB94_67:
	s_or_b32 exec_lo, exec_lo, s0
	s_and_saveexec_b32 s0, vcc_lo
	s_cbranch_execnz .LBB94_81
.LBB94_68:
	s_or_b32 exec_lo, exec_lo, s0
	s_and_saveexec_b32 s0, vcc_lo
	s_cbranch_execnz .LBB94_82
.LBB94_69:
	s_or_b32 exec_lo, exec_lo, s0
	s_and_saveexec_b32 s0, vcc_lo
	s_cbranch_execz .LBB94_71
.LBB94_70:
	ds_load_b32 v0, v0 offset:256
	s_waitcnt lgkmcnt(0)
	v_add_f32_e32 v1, v1, v0
.LBB94_71:
	s_or_b32 exec_lo, exec_lo, s0
.LBB94_72:
	s_delay_alu instid0(SALU_CYCLE_1)
	s_or_b32 exec_lo, exec_lo, s1
	s_barrier
	buffer_gl0_inv
	s_mov_b32 s0, exec_lo
	v_cmpx_eq_u32_e32 0, v5
	s_cbranch_execz .LBB94_74
; %bb.73:
	s_mul_i32 s0, s6, 0x50
	s_mul_i32 s2, s4, s20
	s_ashr_i32 s1, s0, 31
	v_lshlrev_b32_e32 v0, 1, v15
	s_lshl_b64 s[0:1], s[0:1], 1
	;;#ASMSTART
	v_cvt_f16_f32 v4, v7;

	;;#ASMEND
	s_add_u32 s4, s22, s0
	s_addc_u32 s5, s23, s1
	s_ashr_i32 s3, s2, 31
	s_delay_alu instid0(SALU_CYCLE_1) | instskip(SKIP_4) | instid1(SALU_CYCLE_1)
	s_lshl_b64 s[0:1], s[2:3], 1
	s_mul_i32 s2, s12, 0x50
	s_add_u32 s4, s4, s0
	s_addc_u32 s5, s5, s1
	s_ashr_i32 s3, s2, 31
	s_lshl_b64 s[0:1], s[2:3], 1
	s_delay_alu instid0(SALU_CYCLE_1)
	s_add_u32 s0, s4, s0
	s_addc_u32 s1, s5, s1
	global_store_b16 v0, v4, s[0:1]
	;;#ASMSTART
	v_cvt_f16_f32 v4, v6;

	;;#ASMEND
	global_store_b16 v0, v4, s[0:1] offset:32
	;;#ASMSTART
	v_cvt_f16_f32 v3, v3;

	;;#ASMEND
	global_store_b16 v0, v3, s[0:1] offset:64
	;; [unrolled: 5-line block ×4, first 2 shown]
.LBB94_74:
	s_nop 0
	s_sendmsg sendmsg(MSG_DEALLOC_VGPRS)
	s_endpgm
.LBB94_75:
	v_lshl_add_u32 v5, v8, 2, v9
	ds_load_b32 v5, v5
	s_waitcnt lgkmcnt(0)
	v_add_f32_e32 v7, v7, v5
	s_or_b32 exec_lo, exec_lo, s0
	s_and_saveexec_b32 s0, vcc_lo
	s_cbranch_execz .LBB94_57
.LBB94_76:
	v_lshl_add_u32 v5, v8, 2, v9
	ds_load_b32 v5, v5 offset:64
	s_waitcnt lgkmcnt(0)
	v_add_f32_e32 v6, v6, v5
	s_or_b32 exec_lo, exec_lo, s0
	s_and_saveexec_b32 s0, vcc_lo
	s_cbranch_execz .LBB94_58
.LBB94_77:
	v_lshl_add_u32 v5, v8, 2, v9
	ds_load_b32 v5, v5 offset:128
	s_waitcnt lgkmcnt(0)
	v_add_f32_e32 v3, v3, v5
	s_or_b32 exec_lo, exec_lo, s0
	s_and_saveexec_b32 s0, vcc_lo
	s_cbranch_execz .LBB94_59
.LBB94_78:
	v_lshl_add_u32 v5, v8, 2, v9
	ds_load_b32 v5, v5 offset:192
	s_waitcnt lgkmcnt(0)
	v_add_f32_e32 v2, v2, v5
	s_or_b32 exec_lo, exec_lo, s0
	s_and_saveexec_b32 s0, vcc_lo
	s_cbranch_execnz .LBB94_60
	s_branch .LBB94_61
.LBB94_79:
	ds_load_b32 v4, v0
	s_waitcnt lgkmcnt(0)
	v_add_f32_e32 v7, v7, v4
	s_or_b32 exec_lo, exec_lo, s0
	s_and_saveexec_b32 s0, vcc_lo
	s_cbranch_execz .LBB94_67
.LBB94_80:
	ds_load_b32 v4, v0 offset:64
	s_waitcnt lgkmcnt(0)
	v_add_f32_e32 v6, v6, v4
	s_or_b32 exec_lo, exec_lo, s0
	s_and_saveexec_b32 s0, vcc_lo
	s_cbranch_execz .LBB94_68
.LBB94_81:
	ds_load_b32 v4, v0 offset:128
	s_waitcnt lgkmcnt(0)
	v_add_f32_e32 v3, v3, v4
	s_or_b32 exec_lo, exec_lo, s0
	s_and_saveexec_b32 s0, vcc_lo
	s_cbranch_execz .LBB94_69
.LBB94_82:
	ds_load_b32 v4, v0 offset:192
	s_waitcnt lgkmcnt(0)
	v_add_f32_e32 v2, v2, v4
	s_or_b32 exec_lo, exec_lo, s0
	s_and_saveexec_b32 s0, vcc_lo
	s_cbranch_execnz .LBB94_70
	s_branch .LBB94_71
	.section	.rodata,"a",@progbits
	.p2align	6, 0x0
	.amdhsa_kernel _ZN4vllm25paged_attention_v2_kernelIttLi80ELi16ELi128ELNS_18Fp8KVCacheDataTypeE0ELb1ELi512EEEvPfS2_PT_PKS3_PKT0_S9_ifPKiSB_iPKfiiiSD_SD_iiiii
		.amdhsa_group_segment_fixed_size 192
		.amdhsa_private_segment_fixed_size 0
		.amdhsa_kernarg_size 400
		.amdhsa_user_sgpr_count 13
		.amdhsa_user_sgpr_dispatch_ptr 0
		.amdhsa_user_sgpr_queue_ptr 0
		.amdhsa_user_sgpr_kernarg_segment_ptr 1
		.amdhsa_user_sgpr_dispatch_id 0
		.amdhsa_user_sgpr_private_segment_size 0
		.amdhsa_wavefront_size32 1
		.amdhsa_uses_dynamic_stack 0
		.amdhsa_enable_private_segment 0
		.amdhsa_system_sgpr_workgroup_id_x 1
		.amdhsa_system_sgpr_workgroup_id_y 1
		.amdhsa_system_sgpr_workgroup_id_z 1
		.amdhsa_system_sgpr_workgroup_info 0
		.amdhsa_system_vgpr_workitem_id 0
		.amdhsa_next_free_vgpr 92
		.amdhsa_next_free_sgpr 46
		.amdhsa_reserve_vcc 1
		.amdhsa_float_round_mode_32 0
		.amdhsa_float_round_mode_16_64 0
		.amdhsa_float_denorm_mode_32 3
		.amdhsa_float_denorm_mode_16_64 3
		.amdhsa_dx10_clamp 1
		.amdhsa_ieee_mode 1
		.amdhsa_fp16_overflow 0
		.amdhsa_workgroup_processor_mode 1
		.amdhsa_memory_ordered 1
		.amdhsa_forward_progress 0
		.amdhsa_shared_vgpr_count 0
		.amdhsa_exception_fp_ieee_invalid_op 0
		.amdhsa_exception_fp_denorm_src 0
		.amdhsa_exception_fp_ieee_div_zero 0
		.amdhsa_exception_fp_ieee_overflow 0
		.amdhsa_exception_fp_ieee_underflow 0
		.amdhsa_exception_fp_ieee_inexact 0
		.amdhsa_exception_int_div_zero 0
	.end_amdhsa_kernel
	.section	.text._ZN4vllm25paged_attention_v2_kernelIttLi80ELi16ELi128ELNS_18Fp8KVCacheDataTypeE0ELb1ELi512EEEvPfS2_PT_PKS3_PKT0_S9_ifPKiSB_iPKfiiiSD_SD_iiiii,"axG",@progbits,_ZN4vllm25paged_attention_v2_kernelIttLi80ELi16ELi128ELNS_18Fp8KVCacheDataTypeE0ELb1ELi512EEEvPfS2_PT_PKS3_PKT0_S9_ifPKiSB_iPKfiiiSD_SD_iiiii,comdat
.Lfunc_end94:
	.size	_ZN4vllm25paged_attention_v2_kernelIttLi80ELi16ELi128ELNS_18Fp8KVCacheDataTypeE0ELb1ELi512EEEvPfS2_PT_PKS3_PKT0_S9_ifPKiSB_iPKfiiiSD_SD_iiiii, .Lfunc_end94-_ZN4vllm25paged_attention_v2_kernelIttLi80ELi16ELi128ELNS_18Fp8KVCacheDataTypeE0ELb1ELi512EEEvPfS2_PT_PKS3_PKT0_S9_ifPKiSB_iPKfiiiSD_SD_iiiii
                                        ; -- End function
	.section	.AMDGPU.csdata,"",@progbits
; Kernel info:
; codeLenInByte = 9420
; NumSgprs: 48
; NumVgprs: 92
; ScratchSize: 0
; MemoryBound: 0
; FloatMode: 240
; IeeeMode: 1
; LDSByteSize: 192 bytes/workgroup (compile time only)
; SGPRBlocks: 5
; VGPRBlocks: 11
; NumSGPRsForWavesPerEU: 48
; NumVGPRsForWavesPerEU: 92
; Occupancy: 16
; WaveLimiterHint : 1
; COMPUTE_PGM_RSRC2:SCRATCH_EN: 0
; COMPUTE_PGM_RSRC2:USER_SGPR: 13
; COMPUTE_PGM_RSRC2:TRAP_HANDLER: 0
; COMPUTE_PGM_RSRC2:TGID_X_EN: 1
; COMPUTE_PGM_RSRC2:TGID_Y_EN: 1
; COMPUTE_PGM_RSRC2:TGID_Z_EN: 1
; COMPUTE_PGM_RSRC2:TIDIG_COMP_CNT: 0
	.section	.text._ZN4vllm25paged_attention_v2_kernelIttLi96ELi16ELi128ELNS_18Fp8KVCacheDataTypeE0ELb1ELi512EEEvPfS2_PT_PKS3_PKT0_S9_ifPKiSB_iPKfiiiSD_SD_iiiii,"axG",@progbits,_ZN4vllm25paged_attention_v2_kernelIttLi96ELi16ELi128ELNS_18Fp8KVCacheDataTypeE0ELb1ELi512EEEvPfS2_PT_PKS3_PKT0_S9_ifPKiSB_iPKfiiiSD_SD_iiiii,comdat
	.protected	_ZN4vllm25paged_attention_v2_kernelIttLi96ELi16ELi128ELNS_18Fp8KVCacheDataTypeE0ELb1ELi512EEEvPfS2_PT_PKS3_PKT0_S9_ifPKiSB_iPKfiiiSD_SD_iiiii ; -- Begin function _ZN4vllm25paged_attention_v2_kernelIttLi96ELi16ELi128ELNS_18Fp8KVCacheDataTypeE0ELb1ELi512EEEvPfS2_PT_PKS3_PKT0_S9_ifPKiSB_iPKfiiiSD_SD_iiiii
	.globl	_ZN4vllm25paged_attention_v2_kernelIttLi96ELi16ELi128ELNS_18Fp8KVCacheDataTypeE0ELb1ELi512EEEvPfS2_PT_PKS3_PKT0_S9_ifPKiSB_iPKfiiiSD_SD_iiiii
	.p2align	8
	.type	_ZN4vllm25paged_attention_v2_kernelIttLi96ELi16ELi128ELNS_18Fp8KVCacheDataTypeE0ELb1ELi512EEEvPfS2_PT_PKS3_PKT0_S9_ifPKiSB_iPKfiiiSD_SD_iiiii,@function
_ZN4vllm25paged_attention_v2_kernelIttLi96ELi16ELi128ELNS_18Fp8KVCacheDataTypeE0ELb1ELi512EEEvPfS2_PT_PKS3_PKT0_S9_ifPKiSB_iPKfiiiSD_SD_iiiii: ; @_ZN4vllm25paged_attention_v2_kernelIttLi96ELi16ELi128ELNS_18Fp8KVCacheDataTypeE0ELb1ELi512EEEvPfS2_PT_PKS3_PKT0_S9_ifPKiSB_iPKfiiiSD_SD_iiiii
; %bb.0:
	s_load_b64 s[2:3], s[0:1], 0x40
	s_mov_b32 s12, s15
	s_ashr_i32 s15, s14, 31
	s_delay_alu instid0(SALU_CYCLE_1)
	s_lshl_b64 s[4:5], s[14:15], 2
	s_waitcnt lgkmcnt(0)
	s_add_u32 s2, s2, s4
	s_addc_u32 s3, s3, s5
	s_lshl_b32 s38, s12, 9
	s_load_b32 s15, s[2:3], 0x0
	s_waitcnt lgkmcnt(0)
	s_cmp_ge_i32 s38, s15
	s_cbranch_scc1 .LBB95_78
; %bb.1:
	s_mov_b32 s24, s13
	s_clause 0x1
	s_load_b32 s13, s[0:1], 0x90
	s_load_b64 s[36:37], s[0:1], 0x30
	s_mov_b32 s40, 0
	s_waitcnt lgkmcnt(0)
	s_abs_i32 s5, s13
	s_abs_i32 s2, s36
	s_delay_alu instid0(SALU_CYCLE_1) | instskip(SKIP_1) | instid1(VALU_DEP_1)
	v_cvt_f32_u32_e32 v1, s2
	s_sub_i32 s4, 0, s2
	v_rcp_iflag_f32_e32 v1, v1
	s_waitcnt_depctr 0xfff
	v_mul_f32_e32 v1, 0x4f7ffffe, v1
	s_delay_alu instid0(VALU_DEP_1) | instskip(NEXT) | instid1(VALU_DEP_1)
	v_cvt_u32_f32_e32 v1, v1
	v_readfirstlane_b32 s3, v1
	s_delay_alu instid0(VALU_DEP_1) | instskip(NEXT) | instid1(SALU_CYCLE_1)
	s_mul_i32 s4, s4, s3
	s_mul_hi_u32 s4, s3, s4
	s_delay_alu instid0(SALU_CYCLE_1) | instskip(SKIP_4) | instid1(SALU_CYCLE_1)
	s_add_i32 s3, s3, s4
	s_xor_b32 s4, s13, s36
	s_mul_hi_u32 s3, s5, s3
	s_ashr_i32 s4, s4, 31
	s_mul_i32 s6, s3, s2
	s_sub_i32 s5, s5, s6
	s_add_i32 s6, s3, 1
	s_sub_i32 s7, s5, s2
	s_cmp_ge_u32 s5, s2
	s_cselect_b32 s3, s6, s3
	s_cselect_b32 s5, s7, s5
	s_add_i32 s6, s3, 1
	s_cmp_ge_u32 s5, s2
	s_cselect_b32 s2, s6, s3
	s_abs_i32 s17, s24
	s_xor_b32 s2, s2, s4
	s_delay_alu instid0(SALU_CYCLE_1) | instskip(SKIP_2) | instid1(SALU_CYCLE_1)
	s_sub_i32 s8, s2, s4
	s_load_b64 s[2:3], s[0:1], 0x50
	s_abs_i32 s16, s8
	v_cvt_f32_u32_e32 v1, s16
	s_sub_i32 s5, 0, s16
	s_delay_alu instid0(VALU_DEP_1) | instskip(SKIP_2) | instid1(VALU_DEP_1)
	v_rcp_iflag_f32_e32 v1, v1
	s_waitcnt_depctr 0xfff
	v_mul_f32_e32 v1, 0x4f7ffffe, v1
	v_cvt_u32_f32_e32 v1, v1
	s_delay_alu instid0(VALU_DEP_1) | instskip(NEXT) | instid1(VALU_DEP_1)
	v_readfirstlane_b32 s4, v1
	s_mul_i32 s5, s5, s4
	s_delay_alu instid0(SALU_CYCLE_1) | instskip(NEXT) | instid1(SALU_CYCLE_1)
	s_mul_hi_u32 s5, s4, s5
	s_add_i32 s4, s4, s5
	s_waitcnt lgkmcnt(0)
	s_cmp_eq_u64 s[2:3], 0
	s_mul_hi_u32 s18, s17, s4
	s_cbranch_scc1 .LBB95_3
; %bb.2:
	s_ashr_i32 s25, s24, 31
	s_delay_alu instid0(SALU_CYCLE_1) | instskip(NEXT) | instid1(SALU_CYCLE_1)
	s_lshl_b64 s[4:5], s[24:25], 2
	s_add_u32 s2, s2, s4
	s_addc_u32 s3, s3, s5
	s_load_b32 s40, s[2:3], 0x0
.LBB95_3:
	s_load_b128 s[4:7], s[0:1], 0x58
	v_lshrrev_b32_e32 v10, 1, v0
	v_and_b32_e32 v11, 1, v0
	v_lshlrev_b32_e32 v9, 3, v0
	s_ashr_i32 s2, s24, 31
	s_ashr_i32 s3, s8, 31
	s_mul_i32 s20, s24, 0x60
	s_waitcnt lgkmcnt(0)
	s_mov_b32 s7, exec_lo
	v_cmpx_gt_u32_e32 24, v0
	s_cbranch_execz .LBB95_5
; %bb.4:
	s_load_b64 s[8:9], s[0:1], 0x18
	s_mul_i32 s10, s14, s4
	v_lshlrev_b32_e32 v3, 3, v10
	s_ashr_i32 s11, s10, 31
	s_delay_alu instid0(SALU_CYCLE_1) | instskip(NEXT) | instid1(VALU_DEP_1)
	s_lshl_b64 s[10:11], s[10:11], 1
	v_mad_u32_u24 v3, 0x60, v11, v3
	s_waitcnt lgkmcnt(0)
	s_add_u32 s4, s8, s10
	s_addc_u32 s10, s9, s11
	s_ashr_i32 s21, s20, 31
	s_delay_alu instid0(SALU_CYCLE_1) | instskip(NEXT) | instid1(SALU_CYCLE_1)
	s_lshl_b64 s[8:9], s[20:21], 1
	s_add_u32 s8, s4, s8
	s_addc_u32 s9, s10, s9
	global_load_b64 v[1:2], v9, s[8:9]
	s_waitcnt vmcnt(0)
	ds_store_b64 v3, v[1:2]
.LBB95_5:
	s_or_b32 exec_lo, exec_lo, s7
	s_load_b128 s[8:11], s[0:1], 0x78
	s_mul_i32 s4, s18, s16
	s_xor_b32 s2, s2, s3
	s_sub_i32 s3, s17, s4
	s_add_i32 s4, s18, 1
	s_sub_i32 s7, s3, s16
	s_cmp_ge_u32 s3, s16
	s_mov_b32 s17, -1
	s_cselect_b32 s4, s4, s18
	s_cselect_b32 s3, s7, s3
	s_add_i32 s7, s4, 1
	s_cmp_ge_u32 s3, s16
	s_waitcnt lgkmcnt(0)
	s_cselect_b32 s3, s7, s4
	s_load_b32 s4, s[0:1], 0x88
	s_xor_b32 s3, s3, s2
	s_add_i32 s16, s15, -1
	s_sub_i32 s3, s3, s2
	s_abs_i32 s7, s16
	s_waitcnt lgkmcnt(0)
	s_barrier
	s_abs_i32 s21, s11
	buffer_gl0_inv
	v_cvt_f32_u32_e32 v1, s21
	s_sub_i32 s2, 0, s21
                                        ; implicit-def: $sgpr33
	s_delay_alu instid0(VALU_DEP_1) | instskip(SKIP_2) | instid1(VALU_DEP_1)
	v_rcp_iflag_f32_e32 v1, v1
	s_waitcnt_depctr 0xfff
	v_mul_f32_e32 v1, 0x4f7ffffe, v1
	v_cvt_u32_f32_e32 v1, v1
	s_delay_alu instid0(VALU_DEP_1) | instskip(NEXT) | instid1(VALU_DEP_1)
	v_readfirstlane_b32 s25, v1
	s_mul_i32 s2, s2, s25
	s_delay_alu instid0(SALU_CYCLE_1) | instskip(NEXT) | instid1(SALU_CYCLE_1)
	s_mul_hi_u32 s2, s25, s2
	s_add_i32 s25, s25, s2
	s_cmp_lt_i32 s4, 0
	s_mul_hi_u32 s2, s7, s25
	s_cbranch_scc0 .LBB95_7
; %bb.6:
	s_mul_i32 s17, s8, s36
	s_delay_alu instid0(SALU_CYCLE_1) | instskip(NEXT) | instid1(SALU_CYCLE_1)
	s_add_i32 s17, s3, s17
	s_mul_i32 s17, s17, s4
	s_delay_alu instid0(SALU_CYCLE_1)
	s_sub_i32 s33, 1, s17
	s_mov_b32 s17, 0
.LBB95_7:
	s_load_b64 s[26:27], s[0:1], 0x38
	s_ashr_i32 s28, s16, 31
	s_and_not1_b32 vcc_lo, exec_lo, s17
	s_ashr_i32 s11, s11, 31
	s_cbranch_vccnz .LBB95_9
; %bb.8:
	s_mul_i32 s8, s13, s8
	s_delay_alu instid0(SALU_CYCLE_1) | instskip(NEXT) | instid1(SALU_CYCLE_1)
	s_add_i32 s8, s8, s24
	s_mul_i32 s4, s8, s4
	s_delay_alu instid0(SALU_CYCLE_1)
	s_add_i32 s33, s4, 1
.LBB95_9:
	s_clause 0x4
	s_load_b32 s8, s[0:1], 0x48
	s_load_b64 s[30:31], s[0:1], 0x28
	s_load_b32 s4, s[0:1], 0x98
	s_load_b128 s[16:19], s[0:1], 0x0
	s_load_b64 s[22:23], s[0:1], 0x10
	s_xor_b32 s34, s28, s11
	s_mul_i32 s28, s2, s21
	s_add_i32 s35, s2, 1
	s_sub_i32 s7, s7, s28
	v_lshrrev_b32_e32 v12, 5, v0
	v_mov_b32_e32 v14, 0xff7fffff
	v_mbcnt_lo_u32_b32 v15, -1, 0
	s_delay_alu instid0(VALU_DEP_3)
	v_lshl_add_u32 v13, v12, 4, s38
	s_waitcnt lgkmcnt(0)
	s_mul_i32 s28, s14, s8
	s_sub_i32 s8, s7, s21
	s_ashr_i32 s29, s28, 31
	s_cmp_ge_u32 s7, s21
	s_cselect_b32 s2, s35, s2
	s_cselect_b32 s7, s8, s7
	s_add_i32 s8, s2, 1
	s_cmp_ge_u32 s7, s21
	s_cselect_b32 s2, s8, s2
	s_add_i32 s8, s15, 15
	s_lshl_b32 s7, s12, 5
	s_ashr_i32 s35, s8, 31
	v_or_b32_e32 v5, s7, v12
	s_lshr_b32 s35, s35, 28
	s_xor_b32 s39, s2, s34
	s_add_i32 s8, s8, s35
	s_add_i32 s35, s7, 32
	s_ashr_i32 s36, s8, 4
	v_ashrrev_i32_e32 v6, 31, v5
	s_min_i32 s8, s35, s36
	s_sub_i32 s39, s39, s34
	v_cmp_gt_i32_e64 s2, s8, v5
	s_mul_i32 s34, s3, s6
	s_delay_alu instid0(VALU_DEP_1)
	s_and_saveexec_b32 s6, s2
	s_cbranch_execz .LBB95_19
; %bb.10:
	s_load_b64 s[0:1], s[0:1], 0x20
	s_ashr_i32 s35, s34, 31
	v_bfe_u32 v16, v0, 1, 4
	s_lshl_b64 s[42:43], s[34:35], 1
	s_sub_i32 s35, s39, s9
	v_mov_b32_e32 v14, 0xff7fffff
	v_dual_mov_b32 v19, 0xff7fffff :: v_dual_and_b32 v4, 8, v9
	v_lshlrev_b32_e32 v7, 2, v16
	v_subrev_nc_u32_e32 v8, s15, v16
	v_lshlrev_b32_e32 v23, 4, v16
	v_cmp_eq_u32_e32 vcc_lo, 0, v11
	v_mul_u32_u24_e32 v17, 0x60, v11
	v_lshl_or_b32 v7, v12, 6, v7
	v_add_nc_u32_e32 v21, 1, v8
	v_lshl_add_u32 v18, v12, 4, s38
	v_xor_b32_e32 v20, 1, v15
	v_mov_b32_e32 v26, v5
	v_add_nc_u32_e32 v22, 0xe0, v7
	s_waitcnt lgkmcnt(0)
	s_add_u32 s3, s0, s42
	s_addc_u32 s1, s1, s43
	s_abs_i32 s41, s10
	v_add_co_u32 v8, s3, s3, v23
	v_cvt_f32_u32_e32 v1, s41
	s_sub_i32 s42, 0, s41
	v_add_co_ci_u32_e64 v24, null, s1, 0, s3
	v_cmp_neq_f32_e64 s0, s40, 0
	s_delay_alu instid0(VALU_DEP_3) | instskip(SKIP_3) | instid1(VALU_DEP_1)
	v_rcp_iflag_f32_e32 v3, v1
	v_lshlrev_b64 v[1:2], 2, v[5:6]
	s_waitcnt_depctr 0xfff
	v_mul_f32_e32 v3, 0x4f7ffffe, v3
	v_cvt_u32_f32_e32 v3, v3
	s_delay_alu instid0(VALU_DEP_1) | instskip(SKIP_1) | instid1(SALU_CYCLE_1)
	v_mul_lo_u32 v7, s42, v3
	s_lshl_b64 s[42:43], s[28:29], 2
	s_add_u32 s1, s26, s42
	s_addc_u32 s3, s27, s43
	v_add_co_u32 v1, s1, s1, v1
	s_delay_alu instid0(VALU_DEP_1) | instskip(NEXT) | instid1(VALU_DEP_3)
	v_add_co_ci_u32_e64 v2, s1, s3, v2, s1
	v_mul_hi_u32 v7, v3, v7
	v_add_co_u32 v23, s1, v8, v4
	s_delay_alu instid0(VALU_DEP_1) | instskip(SKIP_2) | instid1(VALU_DEP_3)
	v_add_co_ci_u32_e64 v24, s1, 0, v24, s1
	s_mov_b32 s42, 0
	s_mov_b32 s43, s5
	v_add_nc_u32_e32 v25, v3, v7
	s_branch .LBB95_13
.LBB95_11:                              ;   in Loop: Header=BB95_13 Depth=1
	s_or_b32 exec_lo, exec_lo, s44
.LBB95_12:                              ;   in Loop: Header=BB95_13 Depth=1
	s_delay_alu instid0(SALU_CYCLE_1) | instskip(SKIP_2) | instid1(VALU_DEP_1)
	s_or_b32 exec_lo, exec_lo, s3
	v_add_nc_u32_e32 v26, 4, v26
	v_add_co_u32 v1, s3, v1, 16
	v_add_co_ci_u32_e64 v2, s3, 0, v2, s3
	s_delay_alu instid0(VALU_DEP_3) | instskip(SKIP_2) | instid1(VALU_DEP_3)
	v_cmp_le_i32_e64 s1, s8, v26
	v_add_nc_u32_e32 v18, 64, v18
	v_add_nc_u32_e32 v22, 0x100, v22
	s_or_b32 s42, s1, s42
	s_delay_alu instid0(SALU_CYCLE_1)
	s_and_not1_b32 exec_lo, exec_lo, s42
	s_cbranch_execz .LBB95_18
.LBB95_13:                              ; =>This Inner Loop Header: Depth=1
	v_sub_nc_u32_e32 v3, 0, v18
	s_delay_alu instid0(VALU_DEP_1) | instskip(SKIP_1) | instid1(VALU_DEP_1)
	v_max_i32_e32 v3, v18, v3
	s_waitcnt lgkmcnt(0)
	v_mul_hi_u32 v4, v3, s25
	s_delay_alu instid0(VALU_DEP_1) | instskip(NEXT) | instid1(VALU_DEP_1)
	v_mul_lo_u32 v7, v4, s21
	v_sub_nc_u32_e32 v3, v3, v7
	v_add_nc_u32_e32 v7, 1, v4
	s_delay_alu instid0(VALU_DEP_2) | instskip(SKIP_1) | instid1(VALU_DEP_1)
	v_subrev_nc_u32_e32 v8, s21, v3
	v_cmp_le_u32_e64 s1, s21, v3
	v_cndmask_b32_e64 v4, v4, v7, s1
	s_delay_alu instid0(VALU_DEP_3) | instskip(SKIP_1) | instid1(VALU_DEP_3)
	v_cndmask_b32_e64 v3, v3, v8, s1
	v_ashrrev_i32_e32 v7, 31, v18
	v_add_nc_u32_e32 v8, 1, v4
	s_delay_alu instid0(VALU_DEP_3) | instskip(NEXT) | instid1(VALU_DEP_3)
	v_cmp_le_u32_e64 s1, s21, v3
	v_xor_b32_e32 v7, s11, v7
	s_delay_alu instid0(VALU_DEP_2) | instskip(NEXT) | instid1(VALU_DEP_1)
	v_cndmask_b32_e64 v3, v4, v8, s1
	v_xor_b32_e32 v3, v3, v7
	s_delay_alu instid0(VALU_DEP_1) | instskip(NEXT) | instid1(VALU_DEP_1)
	v_sub_nc_u32_e32 v3, v3, v7
	v_add_nc_u32_e32 v4, s33, v3
	v_cmp_ge_i32_e64 s3, s35, v3
	s_delay_alu instid0(VALU_DEP_2) | instskip(NEXT) | instid1(VALU_DEP_1)
	v_sub_nc_u32_e32 v7, 0, v4
	v_max_i32_e32 v7, v4, v7
	v_ashrrev_i32_e32 v4, 31, v4
	s_delay_alu instid0(VALU_DEP_2) | instskip(NEXT) | instid1(VALU_DEP_1)
	v_mul_hi_u32 v8, v7, v25
	v_mul_lo_u32 v8, v8, s41
	s_delay_alu instid0(VALU_DEP_1) | instskip(NEXT) | instid1(VALU_DEP_1)
	v_sub_nc_u32_e32 v7, v7, v8
	v_subrev_nc_u32_e32 v8, s41, v7
	v_cmp_le_u32_e64 s1, s41, v7
	s_delay_alu instid0(VALU_DEP_1) | instskip(NEXT) | instid1(VALU_DEP_1)
	v_cndmask_b32_e64 v7, v7, v8, s1
	v_subrev_nc_u32_e32 v8, s41, v7
	v_cmp_le_u32_e64 s1, s41, v7
	s_delay_alu instid0(VALU_DEP_1) | instskip(NEXT) | instid1(VALU_DEP_1)
	v_cndmask_b32_e64 v7, v7, v8, s1
	v_xor_b32_e32 v7, v7, v4
	s_delay_alu instid0(VALU_DEP_1) | instskip(NEXT) | instid1(VALU_DEP_1)
	v_sub_nc_u32_e32 v4, v7, v4
	v_cmp_ne_u32_e64 s1, 0, v4
	s_delay_alu instid0(VALU_DEP_1) | instskip(NEXT) | instid1(SALU_CYCLE_1)
	s_and_b32 s1, s1, s3
	s_and_b32 s44, vcc_lo, s1
	s_delay_alu instid0(SALU_CYCLE_1)
	s_and_saveexec_b32 s3, s44
	s_cbranch_execz .LBB95_15
; %bb.14:                               ;   in Loop: Header=BB95_13 Depth=1
	ds_store_b32 v22, v19
.LBB95_15:                              ;   in Loop: Header=BB95_13 Depth=1
	s_or_b32 exec_lo, exec_lo, s3
	s_xor_b32 s1, s1, -1
	s_delay_alu instid0(SALU_CYCLE_1)
	s_and_saveexec_b32 s3, s1
	s_cbranch_execz .LBB95_12
; %bb.16:                               ;   in Loop: Header=BB95_13 Depth=1
	global_load_b32 v7, v[1:2], off
	s_waitcnt vmcnt(0)
	v_mad_i64_i32 v[3:4], null, v7, s43, 0
	s_delay_alu instid0(VALU_DEP_1) | instskip(NEXT) | instid1(VALU_DEP_1)
	v_lshlrev_b64 v[3:4], 1, v[3:4]
	v_add_co_u32 v3, s1, v23, v3
	s_delay_alu instid0(VALU_DEP_1)
	v_add_co_ci_u32_e64 v4, s1, v24, v4, s1
	v_cmp_gt_i32_e64 s1, 32, v20
	s_clause 0xb
	global_load_b64 v[27:28], v[3:4], off
	global_load_b64 v[29:30], v[3:4], off offset:256
	global_load_b64 v[31:32], v[3:4], off offset:512
	global_load_b64 v[33:34], v[3:4], off offset:768
	global_load_b64 v[35:36], v[3:4], off offset:1024
	global_load_b64 v[37:38], v[3:4], off offset:1280
	global_load_b64 v[39:40], v[3:4], off offset:1536
	global_load_b64 v[41:42], v[3:4], off offset:1792
	global_load_b64 v[43:44], v[3:4], off offset:2048
	global_load_b64 v[45:46], v[3:4], off offset:2304
	global_load_b64 v[7:8], v[3:4], off offset:2560
	global_load_b64 v[3:4], v[3:4], off offset:2816
	ds_load_b64 v[47:48], v17
	s_waitcnt lgkmcnt(0)
	v_and_b32_e32 v49, 0xffff, v47
	v_lshrrev_b32_e32 v47, 16, v47
	v_lshrrev_b32_e32 v50, 16, v48
	v_and_b32_e32 v48, 0xffff, v48
	;;#ASMSTART
	v_cvt_f32_f16 v49, v49;
	;;#ASMEND
	;;#ASMSTART
	v_cvt_f32_f16 v47, v47;
	;;#ASMEND
	s_waitcnt vmcnt(11)
	v_and_b32_e32 v51, 0xffff, v27
	v_lshrrev_b32_e32 v27, 16, v27
	v_lshrrev_b32_e32 v52, 16, v28
	v_and_b32_e32 v28, 0xffff, v28
	;;#ASMSTART
	v_cvt_f32_f16 v51, v51;
	;;#ASMEND
	;;#ASMSTART
	v_cvt_f32_f16 v53, v27;
	;;#ASMEND
	;; [unrolled: 3-line block ×6, first 2 shown]
	ds_load_b64 v[27:28], v17 offset:8
	s_waitcnt vmcnt(10)
	v_lshrrev_b32_e32 v55, 16, v29
	v_and_b32_e32 v29, 0xffff, v29
	v_lshrrev_b32_e32 v56, 16, v30
	s_waitcnt vmcnt(9)
	v_lshrrev_b32_e32 v61, 16, v31
	v_lshrrev_b32_e32 v62, 16, v32
	s_waitcnt vmcnt(8)
	v_lshrrev_b32_e32 v67, 16, v33
	v_lshrrev_b32_e32 v68, 16, v34
	s_waitcnt vmcnt(7)
	v_lshrrev_b32_e32 v73, 16, v35
	v_lshrrev_b32_e32 v74, 16, v36
	s_waitcnt vmcnt(6)
	v_lshrrev_b32_e32 v79, 16, v37
	v_lshrrev_b32_e32 v80, 16, v38
	s_waitcnt vmcnt(5)
	v_lshrrev_b32_e32 v85, 16, v39
	v_lshrrev_b32_e32 v86, 16, v40
	s_waitcnt vmcnt(4)
	v_lshrrev_b32_e32 v91, 16, v41
	v_lshrrev_b32_e32 v92, 16, v42
	s_waitcnt vmcnt(3)
	v_lshrrev_b32_e32 v97, 16, v43
	v_lshrrev_b32_e32 v98, 16, v44
	s_waitcnt vmcnt(2)
	v_lshrrev_b32_e32 v103, 16, v45
	v_lshrrev_b32_e32 v104, 16, v46
	s_waitcnt lgkmcnt(0)
	v_and_b32_e32 v57, 0xffff, v27
	v_lshrrev_b32_e32 v27, 16, v27
	;;#ASMSTART
	v_cvt_f32_f16 v57, v57;
	;;#ASMEND
	;;#ASMSTART
	v_cvt_f32_f16 v59, v27;
	;;#ASMEND
	;; [unrolled: 3-line block ×4, first 2 shown]
	v_mul_f32_e32 v29, v57, v29
	v_dual_mul_f32 v55, v59, v55 :: v_dual_and_b32 v30, 0xffff, v30
	v_lshrrev_b32_e32 v58, 16, v28
	s_delay_alu instid0(VALU_DEP_3) | instskip(NEXT) | instid1(VALU_DEP_3)
	v_dual_fmac_f32 v29, v49, v51 :: v_dual_and_b32 v28, 0xffff, v28
	v_fmac_f32_e32 v55, v47, v53
	;;#ASMSTART
	v_cvt_f32_f16 v60, v28;
	;;#ASMEND
	;;#ASMSTART
	v_cvt_f32_f16 v58, v58;
	;;#ASMEND
	;; [unrolled: 3-line block ×4, first 2 shown]
	ds_load_b64 v[27:28], v17 offset:16
	v_mul_f32_e32 v30, v60, v30
	v_mul_f32_e32 v56, v58, v56
	s_waitcnt vmcnt(1)
	v_lshrrev_b32_e32 v57, 16, v7
	s_delay_alu instid0(VALU_DEP_3)
	v_dual_fmac_f32 v30, v48, v54 :: v_dual_and_b32 v31, 0xffff, v31
	s_waitcnt lgkmcnt(0)
	v_dual_fmac_f32 v56, v50, v52 :: v_dual_and_b32 v63, 0xffff, v27
	v_lshrrev_b32_e32 v27, 16, v27
	v_lshrrev_b32_e32 v64, 16, v28
	;;#ASMSTART
	v_cvt_f32_f16 v63, v63;
	;;#ASMEND
	;;#ASMSTART
	v_cvt_f32_f16 v65, v27;
	;;#ASMEND
	;; [unrolled: 3-line block ×3, first 2 shown]
	v_dual_fmac_f32 v29, v63, v31 :: v_dual_and_b32 v32, 0xffff, v32
	;;#ASMSTART
	v_cvt_f32_f16 v61, v61;
	;;#ASMEND
	v_dual_fmac_f32 v55, v65, v61 :: v_dual_and_b32 v28, 0xffff, v28
	;;#ASMSTART
	v_cvt_f32_f16 v66, v28;
	;;#ASMEND
	;;#ASMSTART
	v_cvt_f32_f16 v64, v64;
	;;#ASMEND
	;; [unrolled: 3-line block ×4, first 2 shown]
	ds_load_b64 v[27:28], v17 offset:24
	v_dual_fmac_f32 v30, v66, v32 :: v_dual_and_b32 v33, 0xffff, v33
	v_fmac_f32_e32 v56, v64, v62
	v_lshrrev_b32_e32 v32, 16, v8
	s_waitcnt lgkmcnt(0)
	v_and_b32_e32 v69, 0xffff, v27
	v_lshrrev_b32_e32 v27, 16, v27
	v_lshrrev_b32_e32 v70, 16, v28
	;;#ASMSTART
	v_cvt_f32_f16 v69, v69;
	;;#ASMEND
	;;#ASMSTART
	v_cvt_f32_f16 v71, v27;
	;;#ASMEND
	;; [unrolled: 3-line block ×3, first 2 shown]
	v_dual_fmac_f32 v29, v69, v33 :: v_dual_and_b32 v34, 0xffff, v34
	;;#ASMSTART
	v_cvt_f32_f16 v67, v67;
	;;#ASMEND
	v_dual_fmac_f32 v55, v71, v67 :: v_dual_and_b32 v28, 0xffff, v28
	;;#ASMSTART
	v_cvt_f32_f16 v72, v28;
	;;#ASMEND
	;;#ASMSTART
	v_cvt_f32_f16 v70, v70;
	;;#ASMEND
	;; [unrolled: 3-line block ×4, first 2 shown]
	ds_load_b64 v[27:28], v17 offset:32
	v_dual_fmac_f32 v30, v72, v34 :: v_dual_and_b32 v35, 0xffff, v35
	v_fmac_f32_e32 v56, v70, v68
	s_waitcnt vmcnt(0)
	v_lshrrev_b32_e32 v33, 16, v3
	s_waitcnt lgkmcnt(0)
	v_and_b32_e32 v75, 0xffff, v27
	v_lshrrev_b32_e32 v27, 16, v27
	v_lshrrev_b32_e32 v76, 16, v28
	;;#ASMSTART
	v_cvt_f32_f16 v75, v75;
	;;#ASMEND
	;;#ASMSTART
	v_cvt_f32_f16 v77, v27;
	;;#ASMEND
	;; [unrolled: 3-line block ×3, first 2 shown]
	v_dual_fmac_f32 v29, v75, v35 :: v_dual_and_b32 v36, 0xffff, v36
	;;#ASMSTART
	v_cvt_f32_f16 v73, v73;
	;;#ASMEND
	v_dual_fmac_f32 v55, v77, v73 :: v_dual_and_b32 v28, 0xffff, v28
	;;#ASMSTART
	v_cvt_f32_f16 v78, v28;
	;;#ASMEND
	;;#ASMSTART
	v_cvt_f32_f16 v76, v76;
	;;#ASMEND
	;; [unrolled: 3-line block ×4, first 2 shown]
	ds_load_b64 v[27:28], v17 offset:40
	v_dual_fmac_f32 v30, v78, v36 :: v_dual_and_b32 v37, 0xffff, v37
	s_waitcnt lgkmcnt(0)
	v_dual_fmac_f32 v56, v76, v74 :: v_dual_and_b32 v81, 0xffff, v27
	v_lshrrev_b32_e32 v27, 16, v27
	v_lshrrev_b32_e32 v82, 16, v28
	;;#ASMSTART
	v_cvt_f32_f16 v81, v81;
	;;#ASMEND
	;;#ASMSTART
	v_cvt_f32_f16 v83, v27;
	;;#ASMEND
	;;#ASMSTART
	v_cvt_f32_f16 v37, v37;
	;;#ASMEND
	v_dual_fmac_f32 v29, v81, v37 :: v_dual_and_b32 v38, 0xffff, v38
	;;#ASMSTART
	v_cvt_f32_f16 v79, v79;
	;;#ASMEND
	v_dual_fmac_f32 v55, v83, v79 :: v_dual_and_b32 v28, 0xffff, v28
	;;#ASMSTART
	v_cvt_f32_f16 v84, v28;
	;;#ASMEND
	;;#ASMSTART
	v_cvt_f32_f16 v82, v82;
	;;#ASMEND
	;; [unrolled: 3-line block ×4, first 2 shown]
	ds_load_b64 v[27:28], v17 offset:48
	v_dual_fmac_f32 v30, v84, v38 :: v_dual_and_b32 v39, 0xffff, v39
	s_waitcnt lgkmcnt(0)
	v_dual_fmac_f32 v56, v82, v80 :: v_dual_and_b32 v87, 0xffff, v27
	v_lshrrev_b32_e32 v27, 16, v27
	v_lshrrev_b32_e32 v88, 16, v28
	;;#ASMSTART
	v_cvt_f32_f16 v87, v87;
	;;#ASMEND
	;;#ASMSTART
	v_cvt_f32_f16 v89, v27;
	;;#ASMEND
	;; [unrolled: 3-line block ×3, first 2 shown]
	v_dual_fmac_f32 v29, v87, v39 :: v_dual_and_b32 v40, 0xffff, v40
	;;#ASMSTART
	v_cvt_f32_f16 v85, v85;
	;;#ASMEND
	v_dual_fmac_f32 v55, v89, v85 :: v_dual_and_b32 v28, 0xffff, v28
	;;#ASMSTART
	v_cvt_f32_f16 v90, v28;
	;;#ASMEND
	;;#ASMSTART
	v_cvt_f32_f16 v88, v88;
	;;#ASMEND
	;; [unrolled: 3-line block ×4, first 2 shown]
	ds_load_b64 v[27:28], v17 offset:56
	v_dual_fmac_f32 v30, v90, v40 :: v_dual_and_b32 v41, 0xffff, v41
	v_fmac_f32_e32 v56, v88, v86
	v_lshrrev_b32_e32 v39, 16, v4
	s_waitcnt lgkmcnt(0)
	v_and_b32_e32 v93, 0xffff, v27
	v_lshrrev_b32_e32 v27, 16, v27
	v_lshrrev_b32_e32 v94, 16, v28
	;;#ASMSTART
	v_cvt_f32_f16 v93, v93;
	;;#ASMEND
	;;#ASMSTART
	v_cvt_f32_f16 v95, v27;
	;;#ASMEND
	;;#ASMSTART
	v_cvt_f32_f16 v41, v41;
	;;#ASMEND
	v_dual_fmac_f32 v29, v93, v41 :: v_dual_and_b32 v42, 0xffff, v42
	;;#ASMSTART
	v_cvt_f32_f16 v91, v91;
	;;#ASMEND
	v_dual_fmac_f32 v55, v95, v91 :: v_dual_and_b32 v28, 0xffff, v28
	;;#ASMSTART
	v_cvt_f32_f16 v96, v28;
	;;#ASMEND
	;;#ASMSTART
	v_cvt_f32_f16 v94, v94;
	;;#ASMEND
	;; [unrolled: 3-line block ×4, first 2 shown]
	ds_load_b64 v[27:28], v17 offset:64
	v_dual_fmac_f32 v30, v96, v42 :: v_dual_and_b32 v43, 0xffff, v43
	s_waitcnt lgkmcnt(0)
	v_dual_fmac_f32 v56, v94, v92 :: v_dual_and_b32 v99, 0xffff, v27
	v_lshrrev_b32_e32 v27, 16, v27
	v_lshrrev_b32_e32 v100, 16, v28
	;;#ASMSTART
	v_cvt_f32_f16 v99, v99;
	;;#ASMEND
	;;#ASMSTART
	v_cvt_f32_f16 v101, v27;
	;;#ASMEND
	;; [unrolled: 3-line block ×3, first 2 shown]
	v_dual_fmac_f32 v29, v99, v43 :: v_dual_and_b32 v44, 0xffff, v44
	;;#ASMSTART
	v_cvt_f32_f16 v97, v97;
	;;#ASMEND
	v_dual_fmac_f32 v55, v101, v97 :: v_dual_and_b32 v28, 0xffff, v28
	;;#ASMSTART
	v_cvt_f32_f16 v102, v28;
	;;#ASMEND
	;;#ASMSTART
	v_cvt_f32_f16 v100, v100;
	;;#ASMEND
	;; [unrolled: 3-line block ×4, first 2 shown]
	ds_load_b64 v[27:28], v17 offset:72
	v_dual_fmac_f32 v30, v102, v44 :: v_dual_and_b32 v45, 0xffff, v45
	s_waitcnt lgkmcnt(0)
	v_dual_fmac_f32 v56, v100, v98 :: v_dual_and_b32 v31, 0xffff, v27
	v_lshrrev_b32_e32 v27, 16, v27
	v_lshrrev_b32_e32 v47, 16, v28
	;;#ASMSTART
	v_cvt_f32_f16 v31, v31;
	;;#ASMEND
	;;#ASMSTART
	v_cvt_f32_f16 v48, v27;
	;;#ASMEND
	;; [unrolled: 3-line block ×3, first 2 shown]
	v_dual_fmac_f32 v29, v31, v45 :: v_dual_and_b32 v46, 0xffff, v46
	;;#ASMSTART
	v_cvt_f32_f16 v49, v103;
	;;#ASMEND
	v_dual_fmac_f32 v55, v48, v49 :: v_dual_and_b32 v28, 0xffff, v28
	;;#ASMSTART
	v_cvt_f32_f16 v50, v28;
	;;#ASMEND
	;;#ASMSTART
	v_cvt_f32_f16 v47, v47;
	;;#ASMEND
	;; [unrolled: 3-line block ×4, first 2 shown]
	ds_load_b64 v[27:28], v17 offset:80
	v_dual_fmac_f32 v30, v50, v46 :: v_dual_and_b32 v7, 0xffff, v7
	s_waitcnt lgkmcnt(0)
	v_and_b32_e32 v34, 0xffff, v27
	v_lshrrev_b32_e32 v27, 16, v27
	v_lshrrev_b32_e32 v35, 16, v28
	;;#ASMSTART
	v_cvt_f32_f16 v34, v34;
	;;#ASMEND
	;;#ASMSTART
	v_cvt_f32_f16 v27, v27;
	;;#ASMEND
	;; [unrolled: 3-line block ×4, first 2 shown]
	v_dual_fmac_f32 v55, v27, v37 :: v_dual_and_b32 v8, 0xffff, v8
	v_dual_fmac_f32 v56, v47, v51 :: v_dual_fmac_f32 v29, v34, v36
	v_and_b32_e32 v28, 0xffff, v28
	;;#ASMSTART
	v_cvt_f32_f16 v28, v28;
	;;#ASMEND
	;;#ASMSTART
	v_cvt_f32_f16 v35, v35;
	;;#ASMEND
	;; [unrolled: 3-line block ×4, first 2 shown]
	ds_load_b64 v[7:8], v17 offset:88
	v_fmac_f32_e32 v30, v28, v38
	v_dual_fmac_f32 v56, v35, v32 :: v_dual_and_b32 v3, 0xffff, v3
	s_waitcnt lgkmcnt(0)
	v_and_b32_e32 v27, 0xffff, v7
	v_lshrrev_b32_e32 v7, 16, v7
	;;#ASMSTART
	v_cvt_f32_f16 v27, v27;
	;;#ASMEND
	;;#ASMSTART
	v_cvt_f32_f16 v7, v7;
	;;#ASMEND
	;;#ASMSTART
	v_cvt_f32_f16 v3, v3;
	;;#ASMEND
	;;#ASMSTART
	v_cvt_f32_f16 v31, v33;
	;;#ASMEND
	v_dual_fmac_f32 v55, v7, v31 :: v_dual_and_b32 v4, 0xffff, v4
	v_fmac_f32_e32 v29, v27, v3
	v_lshrrev_b32_e32 v28, 16, v8
	v_and_b32_e32 v8, 0xffff, v8
	;;#ASMSTART
	v_cvt_f32_f16 v3, v8;
	;;#ASMEND
	;;#ASMSTART
	v_cvt_f32_f16 v7, v28;
	;;#ASMEND
	;; [unrolled: 3-line block ×3, first 2 shown]
	v_dual_fmac_f32 v30, v3, v4 :: v_dual_add_f32 v3, v29, v55
	;;#ASMSTART
	v_cvt_f32_f16 v4, v39;
	;;#ASMEND
	v_fmac_f32_e32 v56, v7, v4
	v_cndmask_b32_e64 v4, v15, v20, s1
	s_delay_alu instid0(VALU_DEP_1) | instskip(NEXT) | instid1(VALU_DEP_1)
	v_dual_add_f32 v3, v3, v30 :: v_dual_lshlrev_b32 v4, 2, v4
	v_add_f32_e32 v3, v56, v3
	ds_bpermute_b32 v4, v4, v3
	s_and_saveexec_b32 s44, vcc_lo
	s_cbranch_execz .LBB95_11
; %bb.17:                               ;   in Loop: Header=BB95_13 Depth=1
	s_waitcnt lgkmcnt(0)
	v_add_f32_e32 v3, v3, v4
	v_add_nc_u32_e32 v7, v21, v18
	s_delay_alu instid0(VALU_DEP_1) | instskip(NEXT) | instid1(VALU_DEP_1)
	v_cvt_f32_i32_e32 v7, v7
	v_mul_f32_e32 v7, s40, v7
	s_delay_alu instid0(VALU_DEP_1) | instskip(NEXT) | instid1(VALU_DEP_1)
	v_cndmask_b32_e64 v4, 0, v7, s0
	v_dual_max_f32 v7, v14, v14 :: v_dual_fmac_f32 v4, s37, v3
	v_add_nc_u32_e32 v3, v16, v18
	s_delay_alu instid0(VALU_DEP_2) | instskip(NEXT) | instid1(VALU_DEP_2)
	v_max_f32_e32 v7, v7, v4
	v_cmp_gt_i32_e64 s1, s15, v3
	s_delay_alu instid0(VALU_DEP_1) | instskip(NEXT) | instid1(VALU_DEP_3)
	v_cndmask_b32_e64 v3, 0, v4, s1
	v_cndmask_b32_e64 v14, v14, v7, s1
	ds_store_b32 v22, v3
	s_branch .LBB95_11
.LBB95_18:
	s_or_b32 exec_lo, exec_lo, s42
.LBB95_19:
	s_delay_alu instid0(SALU_CYCLE_1)
	s_or_b32 exec_lo, exec_lo, s6
	v_xor_b32_e32 v1, 16, v15
	v_xor_b32_e32 v2, 8, v15
	v_lshlrev_b32_e32 v16, 2, v12
	s_waitcnt lgkmcnt(0)
	v_max_f32_e32 v4, v14, v14
	v_cmp_gt_i32_e32 vcc_lo, 32, v1
	v_cndmask_b32_e32 v1, v15, v1, vcc_lo
	v_cmp_gt_i32_e32 vcc_lo, 32, v2
	s_delay_alu instid0(VALU_DEP_2) | instskip(SKIP_3) | instid1(VALU_DEP_1)
	v_dual_cndmask_b32 v2, v15, v2 :: v_dual_lshlrev_b32 v3, 2, v1
	ds_bpermute_b32 v1, v3, v14
	s_waitcnt lgkmcnt(0)
	v_dual_max_f32 v1, v1, v1 :: v_dual_and_b32 v14, 31, v0
	v_max_f32_e32 v1, v4, v1
	v_xor_b32_e32 v4, 4, v15
	s_delay_alu instid0(VALU_DEP_1) | instskip(SKIP_1) | instid1(VALU_DEP_1)
	v_cmp_gt_i32_e32 vcc_lo, 32, v4
	v_cndmask_b32_e32 v4, v15, v4, vcc_lo
	v_lshlrev_b32_e32 v8, 2, v4
	v_xor_b32_e32 v4, 2, v15
	s_delay_alu instid0(VALU_DEP_1)
	v_cmp_gt_i32_e32 vcc_lo, 32, v4
	v_dual_cndmask_b32 v4, v15, v4 :: v_dual_lshlrev_b32 v7, 2, v2
	ds_bpermute_b32 v2, v7, v1
	v_cmp_eq_u32_e32 vcc_lo, 0, v14
	s_waitcnt lgkmcnt(0)
	v_max_f32_e32 v2, v2, v2
	s_delay_alu instid0(VALU_DEP_1) | instskip(SKIP_3) | instid1(VALU_DEP_1)
	v_max_f32_e32 v1, v1, v2
	ds_bpermute_b32 v2, v8, v1
	s_waitcnt lgkmcnt(0)
	v_max_f32_e32 v2, v2, v2
	v_dual_max_f32 v1, v1, v2 :: v_dual_lshlrev_b32 v2, 2, v4
	ds_bpermute_b32 v4, v2, v1
	s_and_saveexec_b32 s0, vcc_lo
	s_cbranch_execz .LBB95_21
; %bb.20:
	s_waitcnt lgkmcnt(0)
	v_dual_max_f32 v4, v4, v4 :: v_dual_max_f32 v1, v1, v1
	s_delay_alu instid0(VALU_DEP_1)
	v_max_f32_e32 v1, v1, v4
	ds_store_b32 v16, v1 offset:192
.LBB95_21:
	s_or_b32 exec_lo, exec_lo, s0
	v_cmp_gt_u32_e64 s0, 4, v14
	v_mov_b32_e32 v1, 0xff7fffff
	v_lshlrev_b32_e32 v17, 2, v14
	s_waitcnt lgkmcnt(0)
	s_barrier
	buffer_gl0_inv
	s_and_saveexec_b32 s1, s0
	s_cbranch_execz .LBB95_23
; %bb.22:
	ds_load_b32 v1, v17 offset:192
.LBB95_23:
	s_or_b32 exec_lo, exec_lo, s1
	s_waitcnt lgkmcnt(0)
	ds_bpermute_b32 v4, v2, v1
	v_xor_b32_e32 v18, 1, v15
	v_max_f32_e32 v1, v1, v1
	s_delay_alu instid0(VALU_DEP_2) | instskip(NEXT) | instid1(VALU_DEP_1)
	v_cmp_gt_i32_e64 s1, 32, v18
	v_cndmask_b32_e64 v15, v15, v18, s1
	s_sub_i32 s1, s8, s7
	v_mov_b32_e32 v18, 0
	s_lshl_b32 s1, s1, 4
	s_delay_alu instid0(VALU_DEP_2) | instskip(SKIP_1) | instid1(SALU_CYCLE_1)
	v_lshlrev_b32_e32 v15, 2, v15
	s_add_i32 s1, s1, s38
	s_min_i32 s1, s1, s15
	s_waitcnt lgkmcnt(0)
	v_max_f32_e32 v4, v4, v4
	s_sub_i32 s6, s1, s38
	s_delay_alu instid0(SALU_CYCLE_1) | instskip(NEXT) | instid1(VALU_DEP_2)
	v_cmp_gt_i32_e64 s1, s6, v0
	v_max_f32_e32 v1, v1, v4
	ds_bpermute_b32 v4, v15, v1
	s_waitcnt lgkmcnt(0)
	v_max_f32_e32 v4, v4, v4
	s_delay_alu instid0(VALU_DEP_1)
	v_max_f32_e32 v1, v1, v4
	v_lshl_add_u32 v4, v0, 2, 0xe0
	ds_bpermute_b32 v1, v18, v1
	s_and_saveexec_b32 s7, s1
	s_cbranch_execz .LBB95_27
; %bb.24:
	v_lshl_add_u32 v19, v0, 2, 0xe0
	v_mov_b32_e32 v18, 0
	v_mov_b32_e32 v20, v0
	s_mov_b32 s35, 0
	.p2align	6
.LBB95_25:                              ; =>This Inner Loop Header: Depth=1
	ds_load_b32 v21, v19
	v_add_nc_u32_e32 v20, 0x80, v20
	s_delay_alu instid0(VALU_DEP_1) | instskip(NEXT) | instid1(VALU_DEP_1)
	v_cmp_le_i32_e64 s3, s6, v20
	s_or_b32 s35, s3, s35
	s_waitcnt lgkmcnt(0)
	v_sub_f32_e32 v21, v21, v1
	s_delay_alu instid0(VALU_DEP_1) | instskip(NEXT) | instid1(VALU_DEP_1)
	v_mul_f32_e32 v21, 0x3fb8aa3b, v21
	v_exp_f32_e32 v21, v21
	ds_store_b32 v19, v21
	v_dual_add_f32 v18, v18, v21 :: v_dual_add_nc_u32 v19, 0x200, v19
	s_and_not1_b32 exec_lo, exec_lo, s35
	s_cbranch_execnz .LBB95_25
; %bb.26:
	s_or_b32 exec_lo, exec_lo, s35
.LBB95_27:
	s_delay_alu instid0(SALU_CYCLE_1)
	s_or_b32 exec_lo, exec_lo, s7
	ds_bpermute_b32 v3, v3, v18
	s_waitcnt lgkmcnt(0)
	v_add_f32_e32 v3, v18, v3
	ds_bpermute_b32 v7, v7, v3
	s_waitcnt lgkmcnt(0)
	v_add_f32_e32 v3, v3, v7
	;; [unrolled: 3-line block ×5, first 2 shown]
	s_and_saveexec_b32 s3, vcc_lo
	s_cbranch_execz .LBB95_29
; %bb.28:
	ds_store_b32 v16, v3 offset:208
.LBB95_29:
	s_or_b32 exec_lo, exec_lo, s3
	s_waitcnt lgkmcnt(0)
	s_barrier
	buffer_gl0_inv
	s_and_saveexec_b32 s3, s0
	s_cbranch_execz .LBB95_31
; %bb.30:
	ds_load_b32 v3, v17 offset:208
.LBB95_31:
	s_or_b32 exec_lo, exec_lo, s3
	s_waitcnt lgkmcnt(0)
	ds_bpermute_b32 v2, v2, v3
	s_waitcnt lgkmcnt(0)
	v_add_f32_e32 v2, v3, v2
	ds_bpermute_b32 v3, v15, v2
	s_waitcnt lgkmcnt(0)
	v_dual_add_f32 v2, v2, v3 :: v_dual_mov_b32 v3, 0
	ds_bpermute_b32 v2, v3, v2
	s_and_saveexec_b32 s0, s1
	s_cbranch_execz .LBB95_34
; %bb.32:
	s_waitcnt lgkmcnt(0)
	v_add_f32_e32 v3, 0x358637bd, v2
	s_mov_b32 s1, 0
	s_delay_alu instid0(VALU_DEP_1) | instskip(NEXT) | instid1(VALU_DEP_1)
	v_div_scale_f32 v7, null, v3, v3, 1.0
	v_rcp_f32_e32 v8, v7
	s_waitcnt_depctr 0xfff
	v_fma_f32 v16, -v7, v8, 1.0
	s_delay_alu instid0(VALU_DEP_1) | instskip(SKIP_1) | instid1(VALU_DEP_1)
	v_fmac_f32_e32 v8, v16, v8
	v_div_scale_f32 v17, vcc_lo, 1.0, v3, 1.0
	v_mul_f32_e32 v16, v17, v8
	s_delay_alu instid0(VALU_DEP_1) | instskip(NEXT) | instid1(VALU_DEP_1)
	v_fma_f32 v18, -v7, v16, v17
	v_fmac_f32_e32 v16, v18, v8
	s_delay_alu instid0(VALU_DEP_1) | instskip(NEXT) | instid1(VALU_DEP_1)
	v_fma_f32 v7, -v7, v16, v17
	v_div_fmas_f32 v7, v7, v8, v16
	s_delay_alu instid0(VALU_DEP_1)
	v_div_fixup_f32 v3, v7, v3, 1.0
	v_mov_b32_e32 v7, v0
.LBB95_33:                              ; =>This Inner Loop Header: Depth=1
	ds_load_b32 v8, v4
	s_waitcnt lgkmcnt(0)
	v_dual_mul_f32 v8, v3, v8 :: v_dual_add_nc_u32 v7, 0x80, v7
	s_delay_alu instid0(VALU_DEP_1) | instskip(SKIP_3) | instid1(SALU_CYCLE_1)
	v_cmp_le_i32_e32 vcc_lo, s6, v7
	ds_store_b32 v4, v8
	v_add_nc_u32_e32 v4, 0x200, v4
	s_or_b32 s1, vcc_lo, s1
	s_and_not1_b32 exec_lo, exec_lo, s1
	s_cbranch_execnz .LBB95_33
.LBB95_34:
	s_or_b32 exec_lo, exec_lo, s0
	s_mul_i32 s0, s4, s14
	s_waitcnt lgkmcnt(0)
	s_mul_i32 s6, s0, s13
	s_mov_b32 s0, exec_lo
	s_barrier
	buffer_gl0_inv
	v_cmpx_eq_u32_e32 0, v0
	s_cbranch_execz .LBB95_36
; %bb.35:
	s_ashr_i32 s7, s6, 31
	s_mul_i32 s42, s4, s24
	s_lshl_b64 s[40:41], s[6:7], 2
	v_mov_b32_e32 v3, 0
	s_add_u32 s1, s18, s40
	s_addc_u32 s3, s19, s41
	s_ashr_i32 s43, s42, 31
	s_delay_alu instid0(SALU_CYCLE_1) | instskip(NEXT) | instid1(SALU_CYCLE_1)
	s_lshl_b64 s[18:19], s[42:43], 2
	s_add_u32 s1, s1, s18
	s_addc_u32 s3, s3, s19
	s_ashr_i32 s13, s12, 31
	s_delay_alu instid0(SALU_CYCLE_1) | instskip(NEXT) | instid1(SALU_CYCLE_1)
	s_lshl_b64 s[42:43], s[12:13], 2
	s_add_u32 s44, s1, s42
	s_addc_u32 s45, s3, s43
	s_add_u32 s1, s16, s40
	s_addc_u32 s3, s17, s41
	;; [unrolled: 2-line block ×4, first 2 shown]
	s_clause 0x1
	global_store_b32 v3, v1, s[44:45]
	global_store_b32 v3, v2, s[16:17]
.LBB95_36:
	s_or_b32 exec_lo, exec_lo, s0
	v_dual_mov_b32 v21, 0 :: v_dual_mov_b32 v18, 0
	v_dual_mov_b32 v19, 0 :: v_dual_mov_b32 v20, 0
	v_dual_mov_b32 v17, 0 :: v_dual_mov_b32 v16, 0
	s_mov_b32 s3, 0
	s_and_saveexec_b32 s1, s2
	s_cbranch_execz .LBB95_54
; %bb.37:
	s_ashr_i32 s35, s34, 31
	s_sub_i32 s2, s39, s9
	s_lshl_b64 s[16:17], s[34:35], 1
	v_dual_mov_b32 v17, 0 :: v_dual_and_b32 v22, 8, v9
	s_add_u32 s0, s30, s16
	s_addc_u32 s18, s31, s17
	s_abs_i32 s7, s10
	s_add_i32 s36, s36, -1
	v_cvt_f32_u32_e32 v1, s7
	s_sub_i32 s16, 0, s7
	v_dual_mov_b32 v20, 0 :: v_dual_mov_b32 v21, 0
	v_mov_b32_e32 v18, 0
	s_delay_alu instid0(VALU_DEP_3)
	v_rcp_iflag_f32_e32 v1, v1
	s_mov_b32 s9, s15
	s_mov_b32 s10, s15
	;; [unrolled: 1-line block ×4, first 2 shown]
	v_dual_mov_b32 v19, 0 :: v_dual_lshlrev_b32 v4, 4, v0
	s_waitcnt_depctr 0xfff
	v_mul_f32_e32 v3, 0x4f7ffffe, v1
	v_lshlrev_b64 v[1:2], 2, v[5:6]
	v_lshlrev_b32_e32 v6, 5, v11
	v_and_b32_e32 v4, 0x1f0, v4
	s_delay_alu instid0(VALU_DEP_4) | instskip(NEXT) | instid1(VALU_DEP_3)
	v_cvt_u32_f32_e32 v3, v3
	v_lshl_or_b32 v6, v12, 6, v6
	v_mov_b32_e32 v16, 0
	s_delay_alu instid0(VALU_DEP_4) | instskip(NEXT) | instid1(VALU_DEP_4)
	v_add_co_u32 v23, s0, s0, v4
	v_mul_lo_u32 v7, s16, v3
	s_delay_alu instid0(VALU_DEP_4)
	v_add_nc_u32_e32 v25, 0xe0, v6
	s_lshl_b64 s[16:17], s[28:29], 2
	v_add_co_ci_u32_e64 v24, null, s18, 0, s0
	s_add_u32 s16, s26, s16
	s_addc_u32 s17, s27, s17
	v_add_co_u32 v6, vcc_lo, s16, v1
	s_delay_alu instid0(VALU_DEP_4) | instskip(SKIP_4) | instid1(VALU_DEP_2)
	v_mul_hi_u32 v8, v3, v7
	v_add_co_ci_u32_e32 v7, vcc_lo, s17, v2, vcc_lo
	s_mov_b32 s16, s15
	s_mov_b32 s17, s15
	;; [unrolled: 1-line block ×3, first 2 shown]
	v_add_nc_u32_e32 v26, v3, v8
	s_branch .LBB95_40
.LBB95_38:                              ;   in Loop: Header=BB95_40 Depth=1
	s_or_b32 exec_lo, exec_lo, s0
	v_dual_add_f32 v8, v47, v48 :: v_dual_add_f32 v9, v45, v46
	s_waitcnt vmcnt(0)
	;;#ASMSTART
	v_pk_mul_f16 v1, v40, v1;

	;;#ASMEND
	;;#ASMSTART
	v_pk_mul_f16 v2, v39, v2;

	;;#ASMEND
	;;#ASMSTART
	v_pk_mul_f16 v3, v38, v3;

	;;#ASMEND
	;;#ASMSTART
	v_pk_mul_f16 v4, v36, v4;

	;;#ASMEND
	;;#ASMSTART
	v_pk_add_f16 v1, v1, v2;

	;;#ASMEND
	;;#ASMSTART
	v_pk_add_f16 v1, v1, v3;

	;;#ASMEND
	;;#ASMSTART
	v_pk_add_f16 v1, v1, v4;

	;;#ASMEND
	v_dual_add_f32 v19, v19, v8 :: v_dual_and_b32 v2, 0xffff, v1
	v_lshrrev_b32_e32 v1, 16, v1
	;;#ASMSTART
	v_cvt_f32_f16 v2, v2;
	;;#ASMEND
	;;#ASMSTART
	v_cvt_f32_f16 v1, v1;
	;;#ASMEND
	v_dual_add_f32 v3, v43, v44 :: v_dual_add_f32 v4, v41, v42
	v_add_f32_e32 v8, v35, v37
	v_add_f32_e32 v1, v2, v1
	s_delay_alu instid0(VALU_DEP_3) | instskip(NEXT) | instid1(VALU_DEP_4)
	v_dual_add_f32 v18, v18, v9 :: v_dual_add_f32 v17, v17, v3
	v_add_f32_e32 v20, v20, v4
	s_delay_alu instid0(VALU_DEP_3)
	v_dual_add_f32 v16, v16, v8 :: v_dual_add_f32 v21, v21, v1
.LBB95_39:                              ;   in Loop: Header=BB95_40 Depth=1
	s_or_b32 exec_lo, exec_lo, s19
	v_add_nc_u32_e32 v5, 4, v5
	v_add_co_u32 v6, s0, v6, 16
	s_delay_alu instid0(VALU_DEP_1) | instskip(NEXT) | instid1(VALU_DEP_3)
	v_add_co_ci_u32_e64 v7, s0, 0, v7, s0
	v_cmp_le_i32_e32 vcc_lo, s8, v5
	v_add_nc_u32_e32 v13, 64, v13
	v_add_nc_u32_e32 v25, 0x100, v25
	s_or_b32 s3, vcc_lo, s3
	s_delay_alu instid0(SALU_CYCLE_1)
	s_and_not1_b32 exec_lo, exec_lo, s3
	s_cbranch_execz .LBB95_53
.LBB95_40:                              ; =>This Inner Loop Header: Depth=1
	v_sub_nc_u32_e32 v1, 0, v13
	s_delay_alu instid0(VALU_DEP_1) | instskip(NEXT) | instid1(VALU_DEP_1)
	v_max_i32_e32 v1, v13, v1
	v_mul_hi_u32 v2, v1, s25
	s_delay_alu instid0(VALU_DEP_1) | instskip(NEXT) | instid1(VALU_DEP_1)
	v_mul_lo_u32 v3, v2, s21
	v_sub_nc_u32_e32 v1, v1, v3
	v_add_nc_u32_e32 v3, 1, v2
	s_delay_alu instid0(VALU_DEP_2) | instskip(SKIP_1) | instid1(VALU_DEP_2)
	v_subrev_nc_u32_e32 v4, s21, v1
	v_cmp_le_u32_e32 vcc_lo, s21, v1
	v_dual_cndmask_b32 v2, v2, v3 :: v_dual_cndmask_b32 v1, v1, v4
	v_ashrrev_i32_e32 v3, 31, v13
	s_delay_alu instid0(VALU_DEP_2) | instskip(NEXT) | instid1(VALU_DEP_3)
	v_add_nc_u32_e32 v4, 1, v2
	v_cmp_le_u32_e32 vcc_lo, s21, v1
	s_delay_alu instid0(VALU_DEP_3) | instskip(NEXT) | instid1(VALU_DEP_3)
	v_xor_b32_e32 v3, s11, v3
	v_cndmask_b32_e32 v1, v2, v4, vcc_lo
	s_delay_alu instid0(VALU_DEP_1) | instskip(NEXT) | instid1(VALU_DEP_1)
	v_xor_b32_e32 v1, v1, v3
	v_sub_nc_u32_e32 v1, v1, v3
	s_delay_alu instid0(VALU_DEP_1) | instskip(SKIP_1) | instid1(VALU_DEP_2)
	v_add_nc_u32_e32 v2, s33, v1
	v_cmp_lt_i32_e64 s0, s2, v1
	v_sub_nc_u32_e32 v3, 0, v2
	s_delay_alu instid0(VALU_DEP_1) | instskip(NEXT) | instid1(VALU_DEP_1)
	v_max_i32_e32 v3, v2, v3
	v_mul_hi_u32 v4, v3, v26
	s_delay_alu instid0(VALU_DEP_1) | instskip(NEXT) | instid1(VALU_DEP_1)
	v_mul_lo_u32 v4, v4, s7
	v_sub_nc_u32_e32 v3, v3, v4
	s_delay_alu instid0(VALU_DEP_1) | instskip(SKIP_1) | instid1(VALU_DEP_2)
	v_subrev_nc_u32_e32 v4, s7, v3
	v_cmp_le_u32_e32 vcc_lo, s7, v3
	v_cndmask_b32_e32 v3, v3, v4, vcc_lo
	v_ashrrev_i32_e32 v2, 31, v2
	s_delay_alu instid0(VALU_DEP_2) | instskip(SKIP_1) | instid1(VALU_DEP_2)
	v_subrev_nc_u32_e32 v4, s7, v3
	v_cmp_le_u32_e32 vcc_lo, s7, v3
	v_cndmask_b32_e32 v3, v3, v4, vcc_lo
	s_delay_alu instid0(VALU_DEP_1) | instskip(NEXT) | instid1(VALU_DEP_1)
	v_xor_b32_e32 v3, v3, v2
	v_sub_nc_u32_e32 v2, v3, v2
	s_delay_alu instid0(VALU_DEP_1) | instskip(SKIP_1) | instid1(SALU_CYCLE_1)
	v_cmp_eq_u32_e32 vcc_lo, 0, v2
	s_or_b32 s0, vcc_lo, s0
	s_and_saveexec_b32 s19, s0
	s_cbranch_execz .LBB95_39
; %bb.41:                               ;   in Loop: Header=BB95_40 Depth=1
	global_load_b32 v31, v[6:7], off
	ds_load_2addr_b64 v[1:4], v25 offset1:1
	ds_load_2addr_b64 v[27:30], v25 offset0:2 offset1:3
	s_waitcnt lgkmcnt(1)
	;;#ASMSTART
	v_cvt_f16_f32 v38, v1;

	;;#ASMEND
	;;#ASMSTART
	v_cvt_f16_f32 v35, v2;

	;;#ASMEND
	;;#ASMSTART
	v_cvt_f16_f32 v39, v3;

	;;#ASMEND
	;;#ASMSTART
	v_cvt_f16_f32 v36, v4;

	;;#ASMEND
	s_waitcnt lgkmcnt(0)
	;;#ASMSTART
	v_cvt_f16_f32 v40, v27;

	;;#ASMEND
	;;#ASMSTART
	v_cvt_f16_f32 v37, v28;

	;;#ASMEND
	;;#ASMSTART
	v_cvt_f16_f32 v42, v29;

	;;#ASMEND
	;;#ASMSTART
	v_cvt_f16_f32 v41, v30;

	;;#ASMEND
	v_add_nc_u32_e32 v27, v22, v13
	s_delay_alu instid0(VALU_DEP_1)
	v_add_nc_u32_e32 v28, 1, v27
	v_or_b32_e32 v30, 3, v27
	v_or_b32_e32 v29, 2, v27
	;; [unrolled: 1-line block ×5, first 2 shown]
	s_waitcnt vmcnt(0)
	v_mad_i64_i32 v[8:9], null, v31, s5, 0
	v_or_b32_e32 v31, 4, v27
	s_delay_alu instid0(VALU_DEP_2) | instskip(NEXT) | instid1(VALU_DEP_1)
	v_lshlrev_b64 v[8:9], 1, v[8:9]
	v_add_co_u32 v8, vcc_lo, v23, v8
	s_delay_alu instid0(VALU_DEP_2)
	v_add_co_ci_u32_e32 v9, vcc_lo, v24, v9, vcc_lo
	v_cmp_eq_u32_e32 vcc_lo, s36, v5
	global_load_b128 v[1:4], v[8:9], off
	s_and_saveexec_b32 s24, vcc_lo
	s_cbranch_execz .LBB95_43
; %bb.42:                               ;   in Loop: Header=BB95_40 Depth=1
	v_cmp_gt_i32_e64 s0, s17, v34
	s_waitcnt vmcnt(0)
	v_lshrrev_b32_e32 v43, 16, v4
	v_lshrrev_b32_e32 v44, 16, v3
	v_lshrrev_b32_e32 v45, 16, v2
	v_lshrrev_b32_e32 v46, 16, v1
	v_cndmask_b32_e64 v4, 0, v4, s0
	v_cmp_gt_i32_e64 s0, s18, v33
	s_delay_alu instid0(VALU_DEP_1) | instskip(SKIP_1) | instid1(VALU_DEP_2)
	v_cndmask_b32_e64 v43, 0, v43, s0
	v_cmp_gt_i32_e64 s0, s16, v32
	v_perm_b32 v4, v43, v4, 0x5040100
	s_delay_alu instid0(VALU_DEP_2) | instskip(SKIP_1) | instid1(VALU_DEP_1)
	v_cndmask_b32_e64 v44, 0, v44, s0
	v_cmp_gt_i32_e64 s0, s14, v31
	v_cndmask_b32_e64 v3, 0, v3, s0
	v_cmp_gt_i32_e64 s0, s13, v30
	s_delay_alu instid0(VALU_DEP_2) | instskip(NEXT) | instid1(VALU_DEP_2)
	v_perm_b32 v3, v44, v3, 0x5040100
	v_cndmask_b32_e64 v45, 0, v45, s0
	v_cmp_gt_i32_e64 s0, s10, v29
	s_delay_alu instid0(VALU_DEP_1) | instskip(SKIP_1) | instid1(VALU_DEP_2)
	v_cndmask_b32_e64 v2, 0, v2, s0
	v_cmp_gt_i32_e64 s0, s9, v28
	v_perm_b32 v2, v45, v2, 0x5040100
	s_delay_alu instid0(VALU_DEP_2) | instskip(SKIP_1) | instid1(VALU_DEP_1)
	v_cndmask_b32_e64 v46, 0, v46, s0
	v_cmp_gt_i32_e64 s0, s15, v27
	v_cndmask_b32_e64 v1, 0, v1, s0
	s_delay_alu instid0(VALU_DEP_1)
	v_perm_b32 v1, v46, v1, 0x5040100
.LBB95_43:                              ;   in Loop: Header=BB95_40 Depth=1
	s_or_b32 exec_lo, exec_lo, s24
	v_and_b32_e32 v38, 0xffff, v38
	v_and_b32_e32 v39, 0xffff, v39
	;; [unrolled: 1-line block ×4, first 2 shown]
	s_delay_alu instid0(VALU_DEP_4)
	v_lshl_or_b32 v40, v35, 16, v38
	s_waitcnt vmcnt(0)
	;;#ASMSTART
	v_pk_mul_f16 v1, v40, v1;

	;;#ASMEND
	v_lshl_or_b32 v39, v36, 16, v39
	v_lshl_or_b32 v38, v37, 16, v43
	;; [unrolled: 1-line block ×3, first 2 shown]
	;;#ASMSTART
	v_pk_mul_f16 v2, v39, v2;

	;;#ASMEND
	;;#ASMSTART
	v_pk_mul_f16 v3, v38, v3;

	;;#ASMEND
	;; [unrolled: 4-line block ×3, first 2 shown]
	;;#ASMSTART
	v_pk_add_f16 v1, v1, v2;

	;;#ASMEND
	;;#ASMSTART
	v_pk_add_f16 v1, v1, v3;

	;;#ASMEND
	;; [unrolled: 4-line block ×3, first 2 shown]
	v_and_b32_e32 v2, 0xffff, v1
	v_lshrrev_b32_e32 v1, 16, v1
	;;#ASMSTART
	v_cvt_f32_f16 v35, v2;
	;;#ASMEND
	;;#ASMSTART
	v_cvt_f32_f16 v37, v1;
	;;#ASMEND
	global_load_b128 v[1:4], v[8:9], off offset:512
	s_and_saveexec_b32 s24, vcc_lo
	s_cbranch_execz .LBB95_45
; %bb.44:                               ;   in Loop: Header=BB95_40 Depth=1
	v_cmp_gt_i32_e64 s0, s17, v34
	s_waitcnt vmcnt(0)
	v_lshrrev_b32_e32 v41, 16, v4
	v_lshrrev_b32_e32 v42, 16, v3
	;; [unrolled: 1-line block ×4, first 2 shown]
	v_cndmask_b32_e64 v4, 0, v4, s0
	v_cmp_gt_i32_e64 s0, s18, v33
	s_delay_alu instid0(VALU_DEP_1) | instskip(SKIP_1) | instid1(VALU_DEP_2)
	v_cndmask_b32_e64 v41, 0, v41, s0
	v_cmp_gt_i32_e64 s0, s16, v32
	v_perm_b32 v4, v41, v4, 0x5040100
	s_delay_alu instid0(VALU_DEP_2) | instskip(SKIP_1) | instid1(VALU_DEP_1)
	v_cndmask_b32_e64 v42, 0, v42, s0
	v_cmp_gt_i32_e64 s0, s14, v31
	v_cndmask_b32_e64 v3, 0, v3, s0
	v_cmp_gt_i32_e64 s0, s13, v30
	s_delay_alu instid0(VALU_DEP_2) | instskip(NEXT) | instid1(VALU_DEP_2)
	v_perm_b32 v3, v42, v3, 0x5040100
	v_cndmask_b32_e64 v43, 0, v43, s0
	v_cmp_gt_i32_e64 s0, s10, v29
	s_delay_alu instid0(VALU_DEP_1) | instskip(SKIP_1) | instid1(VALU_DEP_2)
	v_cndmask_b32_e64 v2, 0, v2, s0
	v_cmp_gt_i32_e64 s0, s9, v28
	v_perm_b32 v2, v43, v2, 0x5040100
	s_delay_alu instid0(VALU_DEP_2) | instskip(SKIP_1) | instid1(VALU_DEP_1)
	v_cndmask_b32_e64 v44, 0, v44, s0
	v_cmp_gt_i32_e64 s0, s15, v27
	v_cndmask_b32_e64 v1, 0, v1, s0
	s_delay_alu instid0(VALU_DEP_1)
	v_perm_b32 v1, v44, v1, 0x5040100
.LBB95_45:                              ;   in Loop: Header=BB95_40 Depth=1
	s_or_b32 exec_lo, exec_lo, s24
	s_waitcnt vmcnt(0)
	;;#ASMSTART
	v_pk_mul_f16 v1, v40, v1;

	;;#ASMEND
	;;#ASMSTART
	v_pk_mul_f16 v2, v39, v2;

	;;#ASMEND
	;;#ASMSTART
	v_pk_mul_f16 v3, v38, v3;

	;;#ASMEND
	;;#ASMSTART
	v_pk_mul_f16 v4, v36, v4;

	;;#ASMEND
	;;#ASMSTART
	v_pk_add_f16 v1, v1, v2;

	;;#ASMEND
	;;#ASMSTART
	v_pk_add_f16 v1, v1, v3;

	;;#ASMEND
	;; [unrolled: 4-line block ×3, first 2 shown]
	v_and_b32_e32 v2, 0xffff, v1
	v_lshrrev_b32_e32 v1, 16, v1
	;;#ASMSTART
	v_cvt_f32_f16 v41, v2;
	;;#ASMEND
	;;#ASMSTART
	v_cvt_f32_f16 v42, v1;
	;;#ASMEND
	global_load_b128 v[1:4], v[8:9], off offset:1024
	s_and_saveexec_b32 s24, vcc_lo
	s_cbranch_execz .LBB95_47
; %bb.46:                               ;   in Loop: Header=BB95_40 Depth=1
	v_cmp_gt_i32_e64 s0, s17, v34
	s_waitcnt vmcnt(0)
	v_lshrrev_b32_e32 v43, 16, v4
	v_lshrrev_b32_e32 v44, 16, v3
	;; [unrolled: 1-line block ×4, first 2 shown]
	v_cndmask_b32_e64 v4, 0, v4, s0
	v_cmp_gt_i32_e64 s0, s18, v33
	s_delay_alu instid0(VALU_DEP_1) | instskip(SKIP_1) | instid1(VALU_DEP_2)
	v_cndmask_b32_e64 v43, 0, v43, s0
	v_cmp_gt_i32_e64 s0, s16, v32
	v_perm_b32 v4, v43, v4, 0x5040100
	s_delay_alu instid0(VALU_DEP_2) | instskip(SKIP_1) | instid1(VALU_DEP_1)
	v_cndmask_b32_e64 v44, 0, v44, s0
	v_cmp_gt_i32_e64 s0, s14, v31
	v_cndmask_b32_e64 v3, 0, v3, s0
	v_cmp_gt_i32_e64 s0, s13, v30
	s_delay_alu instid0(VALU_DEP_2) | instskip(NEXT) | instid1(VALU_DEP_2)
	v_perm_b32 v3, v44, v3, 0x5040100
	v_cndmask_b32_e64 v45, 0, v45, s0
	v_cmp_gt_i32_e64 s0, s10, v29
	s_delay_alu instid0(VALU_DEP_1) | instskip(SKIP_1) | instid1(VALU_DEP_2)
	v_cndmask_b32_e64 v2, 0, v2, s0
	v_cmp_gt_i32_e64 s0, s9, v28
	v_perm_b32 v2, v45, v2, 0x5040100
	s_delay_alu instid0(VALU_DEP_2) | instskip(SKIP_1) | instid1(VALU_DEP_1)
	v_cndmask_b32_e64 v46, 0, v46, s0
	v_cmp_gt_i32_e64 s0, s15, v27
	v_cndmask_b32_e64 v1, 0, v1, s0
	s_delay_alu instid0(VALU_DEP_1)
	v_perm_b32 v1, v46, v1, 0x5040100
.LBB95_47:                              ;   in Loop: Header=BB95_40 Depth=1
	s_or_b32 exec_lo, exec_lo, s24
	s_waitcnt vmcnt(0)
	;;#ASMSTART
	v_pk_mul_f16 v1, v40, v1;

	;;#ASMEND
	;;#ASMSTART
	v_pk_mul_f16 v2, v39, v2;

	;;#ASMEND
	;; [unrolled: 4-line block ×4, first 2 shown]
	;;#ASMSTART
	v_pk_add_f16 v1, v1, v2;

	;;#ASMEND
	;;#ASMSTART
	v_pk_add_f16 v1, v1, v3;

	;;#ASMEND
	;; [unrolled: 4-line block ×3, first 2 shown]
	v_and_b32_e32 v2, 0xffff, v1
	v_lshrrev_b32_e32 v1, 16, v1
	;;#ASMSTART
	v_cvt_f32_f16 v43, v2;
	;;#ASMEND
	;;#ASMSTART
	v_cvt_f32_f16 v44, v1;
	;;#ASMEND
	global_load_b128 v[1:4], v[8:9], off offset:1536
	s_and_saveexec_b32 s24, vcc_lo
	s_cbranch_execz .LBB95_49
; %bb.48:                               ;   in Loop: Header=BB95_40 Depth=1
	v_cmp_gt_i32_e64 s0, s17, v34
	s_waitcnt vmcnt(0)
	v_lshrrev_b32_e32 v45, 16, v4
	v_lshrrev_b32_e32 v46, 16, v3
	v_lshrrev_b32_e32 v47, 16, v2
	v_lshrrev_b32_e32 v48, 16, v1
	v_cndmask_b32_e64 v4, 0, v4, s0
	v_cmp_gt_i32_e64 s0, s18, v33
	s_delay_alu instid0(VALU_DEP_1) | instskip(SKIP_1) | instid1(VALU_DEP_2)
	v_cndmask_b32_e64 v45, 0, v45, s0
	v_cmp_gt_i32_e64 s0, s16, v32
	v_perm_b32 v4, v45, v4, 0x5040100
	s_delay_alu instid0(VALU_DEP_2) | instskip(SKIP_1) | instid1(VALU_DEP_1)
	v_cndmask_b32_e64 v46, 0, v46, s0
	v_cmp_gt_i32_e64 s0, s14, v31
	v_cndmask_b32_e64 v3, 0, v3, s0
	v_cmp_gt_i32_e64 s0, s13, v30
	s_delay_alu instid0(VALU_DEP_2) | instskip(NEXT) | instid1(VALU_DEP_2)
	v_perm_b32 v3, v46, v3, 0x5040100
	v_cndmask_b32_e64 v47, 0, v47, s0
	v_cmp_gt_i32_e64 s0, s10, v29
	s_delay_alu instid0(VALU_DEP_1) | instskip(SKIP_1) | instid1(VALU_DEP_2)
	v_cndmask_b32_e64 v2, 0, v2, s0
	v_cmp_gt_i32_e64 s0, s9, v28
	v_perm_b32 v2, v47, v2, 0x5040100
	s_delay_alu instid0(VALU_DEP_2) | instskip(SKIP_1) | instid1(VALU_DEP_1)
	v_cndmask_b32_e64 v48, 0, v48, s0
	v_cmp_gt_i32_e64 s0, s15, v27
	v_cndmask_b32_e64 v1, 0, v1, s0
	s_delay_alu instid0(VALU_DEP_1)
	v_perm_b32 v1, v48, v1, 0x5040100
.LBB95_49:                              ;   in Loop: Header=BB95_40 Depth=1
	s_or_b32 exec_lo, exec_lo, s24
	s_waitcnt vmcnt(0)
	;;#ASMSTART
	v_pk_mul_f16 v1, v40, v1;

	;;#ASMEND
	;;#ASMSTART
	v_pk_mul_f16 v2, v39, v2;

	;;#ASMEND
	;; [unrolled: 4-line block ×4, first 2 shown]
	;;#ASMSTART
	v_pk_add_f16 v1, v1, v2;

	;;#ASMEND
	;;#ASMSTART
	v_pk_add_f16 v1, v1, v3;

	;;#ASMEND
	;;#ASMSTART
	v_pk_add_f16 v1, v1, v4;

	;;#ASMEND
	v_and_b32_e32 v2, 0xffff, v1
	v_lshrrev_b32_e32 v1, 16, v1
	;;#ASMSTART
	v_cvt_f32_f16 v45, v2;
	;;#ASMEND
	;;#ASMSTART
	v_cvt_f32_f16 v46, v1;
	;;#ASMEND
	global_load_b128 v[1:4], v[8:9], off offset:2048
	s_and_saveexec_b32 s24, vcc_lo
	s_cbranch_execz .LBB95_51
; %bb.50:                               ;   in Loop: Header=BB95_40 Depth=1
	v_cmp_gt_i32_e64 s0, s17, v34
	s_waitcnt vmcnt(0)
	v_lshrrev_b32_e32 v47, 16, v4
	v_lshrrev_b32_e32 v48, 16, v3
	;; [unrolled: 1-line block ×4, first 2 shown]
	v_cndmask_b32_e64 v4, 0, v4, s0
	v_cmp_gt_i32_e64 s0, s18, v33
	s_delay_alu instid0(VALU_DEP_1) | instskip(SKIP_1) | instid1(VALU_DEP_2)
	v_cndmask_b32_e64 v47, 0, v47, s0
	v_cmp_gt_i32_e64 s0, s16, v32
	v_perm_b32 v4, v47, v4, 0x5040100
	s_delay_alu instid0(VALU_DEP_2) | instskip(SKIP_1) | instid1(VALU_DEP_1)
	v_cndmask_b32_e64 v48, 0, v48, s0
	v_cmp_gt_i32_e64 s0, s14, v31
	v_cndmask_b32_e64 v3, 0, v3, s0
	v_cmp_gt_i32_e64 s0, s13, v30
	s_delay_alu instid0(VALU_DEP_2) | instskip(NEXT) | instid1(VALU_DEP_2)
	v_perm_b32 v3, v48, v3, 0x5040100
	v_cndmask_b32_e64 v49, 0, v49, s0
	v_cmp_gt_i32_e64 s0, s10, v29
	s_delay_alu instid0(VALU_DEP_1) | instskip(SKIP_1) | instid1(VALU_DEP_2)
	v_cndmask_b32_e64 v2, 0, v2, s0
	v_cmp_gt_i32_e64 s0, s9, v28
	v_perm_b32 v2, v49, v2, 0x5040100
	s_delay_alu instid0(VALU_DEP_2) | instskip(SKIP_1) | instid1(VALU_DEP_1)
	v_cndmask_b32_e64 v50, 0, v50, s0
	v_cmp_gt_i32_e64 s0, s15, v27
	v_cndmask_b32_e64 v1, 0, v1, s0
	s_delay_alu instid0(VALU_DEP_1)
	v_perm_b32 v1, v50, v1, 0x5040100
.LBB95_51:                              ;   in Loop: Header=BB95_40 Depth=1
	s_or_b32 exec_lo, exec_lo, s24
	s_waitcnt vmcnt(0)
	;;#ASMSTART
	v_pk_mul_f16 v1, v40, v1;

	;;#ASMEND
	;;#ASMSTART
	v_pk_mul_f16 v2, v39, v2;

	;;#ASMEND
	;; [unrolled: 4-line block ×4, first 2 shown]
	;;#ASMSTART
	v_pk_add_f16 v1, v1, v2;

	;;#ASMEND
	;;#ASMSTART
	v_pk_add_f16 v1, v1, v3;

	;;#ASMEND
	;; [unrolled: 4-line block ×3, first 2 shown]
	v_and_b32_e32 v2, 0xffff, v1
	v_lshrrev_b32_e32 v1, 16, v1
	;;#ASMSTART
	v_cvt_f32_f16 v47, v2;
	;;#ASMEND
	;;#ASMSTART
	v_cvt_f32_f16 v48, v1;
	;;#ASMEND
	global_load_b128 v[1:4], v[8:9], off offset:2560
	s_and_saveexec_b32 s0, vcc_lo
	s_cbranch_execz .LBB95_38
; %bb.52:                               ;   in Loop: Header=BB95_40 Depth=1
	v_cmp_gt_i32_e32 vcc_lo, s17, v34
	s_waitcnt vmcnt(0)
	v_lshrrev_b32_e32 v8, 16, v4
	v_lshrrev_b32_e32 v9, 16, v3
	v_cndmask_b32_e32 v4, 0, v4, vcc_lo
	v_cmp_gt_i32_e32 vcc_lo, s18, v33
	s_delay_alu instid0(VALU_DEP_4)
	v_cndmask_b32_e32 v8, 0, v8, vcc_lo
	v_cmp_gt_i32_e32 vcc_lo, s16, v32
	v_lshrrev_b32_e32 v32, 16, v2
	v_cndmask_b32_e32 v9, 0, v9, vcc_lo
	v_cmp_gt_i32_e32 vcc_lo, s14, v31
	v_lshrrev_b32_e32 v31, 16, v1
	v_cndmask_b32_e32 v3, 0, v3, vcc_lo
	v_cmp_gt_i32_e32 vcc_lo, s13, v30
	v_perm_b32 v4, v8, v4, 0x5040100
	s_delay_alu instid0(VALU_DEP_3)
	v_perm_b32 v3, v9, v3, 0x5040100
	v_cndmask_b32_e32 v30, 0, v32, vcc_lo
	v_cmp_gt_i32_e32 vcc_lo, s10, v29
	v_cndmask_b32_e32 v2, 0, v2, vcc_lo
	v_cmp_gt_i32_e32 vcc_lo, s9, v28
	;; [unrolled: 2-line block ×3, first 2 shown]
	v_cndmask_b32_e32 v1, 0, v1, vcc_lo
	v_perm_b32 v2, v30, v2, 0x5040100
	s_delay_alu instid0(VALU_DEP_2)
	v_perm_b32 v1, v28, v1, 0x5040100
	s_branch .LBB95_38
.LBB95_53:
	s_or_b32 exec_lo, exec_lo, s3
.LBB95_54:
	s_delay_alu instid0(SALU_CYCLE_1)
	s_or_b32 exec_lo, exec_lo, s1
	ds_bpermute_b32 v1, v15, v16
	ds_bpermute_b32 v2, v15, v20
	;; [unrolled: 1-line block ×6, first 2 shown]
	v_and_b32_e32 v4, 0x3c1, v0
	v_lshrrev_b32_e32 v7, 1, v14
	s_movk_i32 s0, 0x180
	s_waitcnt lgkmcnt(0)
	s_waitcnt_vscnt null, 0x0
	v_mad_u32_u24 v8, v12, s0, 0xe0
	s_barrier
	buffer_gl0_inv
	v_add_f32_e32 v6, v16, v1
	v_add_f32_e32 v5, v20, v2
	v_cmp_eq_u32_e32 vcc_lo, 64, v4
	v_dual_add_f32 v4, v17, v3 :: v_dual_add_f32 v3, v18, v9
	v_dual_add_f32 v2, v19, v13 :: v_dual_lshlrev_b32 v9, 2, v7
	v_add_f32_e32 v1, v21, v15
	s_and_saveexec_b32 s0, vcc_lo
	s_cbranch_execz .LBB95_56
; %bb.55:
	s_delay_alu instid0(VALU_DEP_2)
	v_add3_u32 v12, v8, v9, 0xfffffd00
	ds_store_2addr_b32 v12, v6, v5 offset1:16
	ds_store_2addr_b32 v12, v4, v3 offset0:32 offset1:48
	ds_store_2addr_b32 v12, v2, v1 offset0:64 offset1:80
.LBB95_56:
	s_or_b32 exec_lo, exec_lo, s0
	v_cmp_eq_u32_e32 vcc_lo, 0, v11
	s_mov_b32 s1, exec_lo
	s_waitcnt lgkmcnt(0)
	s_barrier
	buffer_gl0_inv
	v_cmpx_gt_u32_e32 64, v0
	s_cbranch_execz .LBB95_65
; %bb.57:
	s_and_saveexec_b32 s0, vcc_lo
	s_cbranch_execnz .LBB95_79
; %bb.58:
	s_or_b32 exec_lo, exec_lo, s0
	s_and_saveexec_b32 s0, vcc_lo
	s_cbranch_execnz .LBB95_80
.LBB95_59:
	s_or_b32 exec_lo, exec_lo, s0
	s_and_saveexec_b32 s0, vcc_lo
	s_cbranch_execnz .LBB95_81
.LBB95_60:
	s_or_b32 exec_lo, exec_lo, s0
	s_and_saveexec_b32 s0, vcc_lo
	s_cbranch_execnz .LBB95_82
.LBB95_61:
	s_or_b32 exec_lo, exec_lo, s0
	s_and_saveexec_b32 s0, vcc_lo
	s_cbranch_execnz .LBB95_83
.LBB95_62:
	s_or_b32 exec_lo, exec_lo, s0
	s_and_saveexec_b32 s0, vcc_lo
	s_cbranch_execz .LBB95_64
.LBB95_63:
	v_lshl_add_u32 v11, v7, 2, v8
	ds_load_b32 v11, v11 offset:320
	s_waitcnt lgkmcnt(0)
	v_add_f32_e32 v1, v1, v11
.LBB95_64:
	s_or_b32 exec_lo, exec_lo, s0
.LBB95_65:
	s_delay_alu instid0(SALU_CYCLE_1)
	s_or_b32 exec_lo, exec_lo, s1
	v_and_b32_e32 v11, 0x3e1, v0
	s_mov_b32 s1, exec_lo
	s_barrier
	buffer_gl0_inv
	v_cmpx_eq_u32_e32 32, v11
	s_cbranch_execz .LBB95_67
; %bb.66:
	v_add3_u32 v9, v8, v9, 0xfffffe80
	ds_store_2addr_b32 v9, v6, v5 offset1:16
	ds_store_2addr_b32 v9, v4, v3 offset0:32 offset1:48
	ds_store_2addr_b32 v9, v2, v1 offset0:64 offset1:80
.LBB95_67:
	s_or_b32 exec_lo, exec_lo, s1
	s_delay_alu instid0(SALU_CYCLE_1)
	s_mov_b32 s1, exec_lo
	s_waitcnt lgkmcnt(0)
	s_barrier
	buffer_gl0_inv
	v_cmpx_gt_u32_e32 32, v0
	s_cbranch_execz .LBB95_76
; %bb.68:
	v_lshl_add_u32 v0, v7, 2, v8
	s_and_saveexec_b32 s0, vcc_lo
	s_cbranch_execnz .LBB95_84
; %bb.69:
	s_or_b32 exec_lo, exec_lo, s0
	s_and_saveexec_b32 s0, vcc_lo
	s_cbranch_execnz .LBB95_85
.LBB95_70:
	s_or_b32 exec_lo, exec_lo, s0
	s_and_saveexec_b32 s0, vcc_lo
	s_cbranch_execnz .LBB95_86
.LBB95_71:
	s_or_b32 exec_lo, exec_lo, s0
	s_and_saveexec_b32 s0, vcc_lo
	s_cbranch_execnz .LBB95_87
.LBB95_72:
	s_or_b32 exec_lo, exec_lo, s0
	s_and_saveexec_b32 s0, vcc_lo
	s_cbranch_execnz .LBB95_88
.LBB95_73:
	s_or_b32 exec_lo, exec_lo, s0
	s_and_saveexec_b32 s0, vcc_lo
	s_cbranch_execz .LBB95_75
.LBB95_74:
	ds_load_b32 v0, v0 offset:320
	s_waitcnt lgkmcnt(0)
	v_add_f32_e32 v1, v1, v0
.LBB95_75:
	s_or_b32 exec_lo, exec_lo, s0
.LBB95_76:
	s_delay_alu instid0(SALU_CYCLE_1)
	s_or_b32 exec_lo, exec_lo, s1
	s_barrier
	buffer_gl0_inv
	s_mov_b32 s0, exec_lo
	v_cmpx_eq_u32_e32 0, v11
	s_cbranch_execz .LBB95_78
; %bb.77:
	s_mul_i32 s0, s6, 0x60
	s_mul_i32 s2, s4, s20
	s_ashr_i32 s1, s0, 31
	v_lshlrev_b32_e32 v0, 1, v10
	s_lshl_b64 s[0:1], s[0:1], 1
	;;#ASMSTART
	v_cvt_f16_f32 v6, v6;

	;;#ASMEND
	s_add_u32 s4, s22, s0
	s_addc_u32 s5, s23, s1
	s_ashr_i32 s3, s2, 31
	s_delay_alu instid0(SALU_CYCLE_1) | instskip(SKIP_4) | instid1(SALU_CYCLE_1)
	s_lshl_b64 s[0:1], s[2:3], 1
	s_mul_i32 s2, s12, 0x60
	s_add_u32 s4, s4, s0
	s_addc_u32 s5, s5, s1
	s_ashr_i32 s3, s2, 31
	s_lshl_b64 s[0:1], s[2:3], 1
	s_delay_alu instid0(SALU_CYCLE_1)
	s_add_u32 s0, s4, s0
	s_addc_u32 s1, s5, s1
	global_store_b16 v0, v6, s[0:1]
	;;#ASMSTART
	v_cvt_f16_f32 v5, v5;

	;;#ASMEND
	global_store_b16 v0, v5, s[0:1] offset:32
	;;#ASMSTART
	v_cvt_f16_f32 v4, v4;

	;;#ASMEND
	global_store_b16 v0, v4, s[0:1] offset:64
	;; [unrolled: 5-line block ×5, first 2 shown]
.LBB95_78:
	s_nop 0
	s_sendmsg sendmsg(MSG_DEALLOC_VGPRS)
	s_endpgm
.LBB95_79:
	v_lshl_add_u32 v11, v7, 2, v8
	ds_load_b32 v11, v11
	s_waitcnt lgkmcnt(0)
	v_add_f32_e32 v6, v6, v11
	s_or_b32 exec_lo, exec_lo, s0
	s_and_saveexec_b32 s0, vcc_lo
	s_cbranch_execz .LBB95_59
.LBB95_80:
	v_lshl_add_u32 v11, v7, 2, v8
	ds_load_b32 v11, v11 offset:64
	s_waitcnt lgkmcnt(0)
	v_add_f32_e32 v5, v5, v11
	s_or_b32 exec_lo, exec_lo, s0
	s_and_saveexec_b32 s0, vcc_lo
	s_cbranch_execz .LBB95_60
.LBB95_81:
	v_lshl_add_u32 v11, v7, 2, v8
	ds_load_b32 v11, v11 offset:128
	s_waitcnt lgkmcnt(0)
	v_add_f32_e32 v4, v4, v11
	s_or_b32 exec_lo, exec_lo, s0
	s_and_saveexec_b32 s0, vcc_lo
	s_cbranch_execz .LBB95_61
.LBB95_82:
	v_lshl_add_u32 v11, v7, 2, v8
	ds_load_b32 v11, v11 offset:192
	s_waitcnt lgkmcnt(0)
	v_add_f32_e32 v3, v3, v11
	s_or_b32 exec_lo, exec_lo, s0
	s_and_saveexec_b32 s0, vcc_lo
	s_cbranch_execz .LBB95_62
.LBB95_83:
	v_lshl_add_u32 v11, v7, 2, v8
	ds_load_b32 v11, v11 offset:256
	s_waitcnt lgkmcnt(0)
	v_add_f32_e32 v2, v2, v11
	s_or_b32 exec_lo, exec_lo, s0
	s_and_saveexec_b32 s0, vcc_lo
	s_cbranch_execnz .LBB95_63
	s_branch .LBB95_64
.LBB95_84:
	ds_load_b32 v7, v0
	s_waitcnt lgkmcnt(0)
	v_add_f32_e32 v6, v6, v7
	s_or_b32 exec_lo, exec_lo, s0
	s_and_saveexec_b32 s0, vcc_lo
	s_cbranch_execz .LBB95_70
.LBB95_85:
	ds_load_b32 v7, v0 offset:64
	s_waitcnt lgkmcnt(0)
	v_add_f32_e32 v5, v5, v7
	s_or_b32 exec_lo, exec_lo, s0
	s_and_saveexec_b32 s0, vcc_lo
	s_cbranch_execz .LBB95_71
.LBB95_86:
	ds_load_b32 v7, v0 offset:128
	s_waitcnt lgkmcnt(0)
	v_add_f32_e32 v4, v4, v7
	s_or_b32 exec_lo, exec_lo, s0
	s_and_saveexec_b32 s0, vcc_lo
	s_cbranch_execz .LBB95_72
.LBB95_87:
	ds_load_b32 v7, v0 offset:192
	s_waitcnt lgkmcnt(0)
	v_add_f32_e32 v3, v3, v7
	s_or_b32 exec_lo, exec_lo, s0
	s_and_saveexec_b32 s0, vcc_lo
	s_cbranch_execz .LBB95_73
.LBB95_88:
	ds_load_b32 v7, v0 offset:256
	s_waitcnt lgkmcnt(0)
	v_add_f32_e32 v2, v2, v7
	s_or_b32 exec_lo, exec_lo, s0
	s_and_saveexec_b32 s0, vcc_lo
	s_cbranch_execnz .LBB95_74
	s_branch .LBB95_75
	.section	.rodata,"a",@progbits
	.p2align	6, 0x0
	.amdhsa_kernel _ZN4vllm25paged_attention_v2_kernelIttLi96ELi16ELi128ELNS_18Fp8KVCacheDataTypeE0ELb1ELi512EEEvPfS2_PT_PKS3_PKT0_S9_ifPKiSB_iPKfiiiSD_SD_iiiii
		.amdhsa_group_segment_fixed_size 224
		.amdhsa_private_segment_fixed_size 0
		.amdhsa_kernarg_size 400
		.amdhsa_user_sgpr_count 13
		.amdhsa_user_sgpr_dispatch_ptr 0
		.amdhsa_user_sgpr_queue_ptr 0
		.amdhsa_user_sgpr_kernarg_segment_ptr 1
		.amdhsa_user_sgpr_dispatch_id 0
		.amdhsa_user_sgpr_private_segment_size 0
		.amdhsa_wavefront_size32 1
		.amdhsa_uses_dynamic_stack 0
		.amdhsa_enable_private_segment 0
		.amdhsa_system_sgpr_workgroup_id_x 1
		.amdhsa_system_sgpr_workgroup_id_y 1
		.amdhsa_system_sgpr_workgroup_id_z 1
		.amdhsa_system_sgpr_workgroup_info 0
		.amdhsa_system_vgpr_workitem_id 0
		.amdhsa_next_free_vgpr 105
		.amdhsa_next_free_sgpr 46
		.amdhsa_reserve_vcc 1
		.amdhsa_float_round_mode_32 0
		.amdhsa_float_round_mode_16_64 0
		.amdhsa_float_denorm_mode_32 3
		.amdhsa_float_denorm_mode_16_64 3
		.amdhsa_dx10_clamp 1
		.amdhsa_ieee_mode 1
		.amdhsa_fp16_overflow 0
		.amdhsa_workgroup_processor_mode 1
		.amdhsa_memory_ordered 1
		.amdhsa_forward_progress 0
		.amdhsa_shared_vgpr_count 0
		.amdhsa_exception_fp_ieee_invalid_op 0
		.amdhsa_exception_fp_denorm_src 0
		.amdhsa_exception_fp_ieee_div_zero 0
		.amdhsa_exception_fp_ieee_overflow 0
		.amdhsa_exception_fp_ieee_underflow 0
		.amdhsa_exception_fp_ieee_inexact 0
		.amdhsa_exception_int_div_zero 0
	.end_amdhsa_kernel
	.section	.text._ZN4vllm25paged_attention_v2_kernelIttLi96ELi16ELi128ELNS_18Fp8KVCacheDataTypeE0ELb1ELi512EEEvPfS2_PT_PKS3_PKT0_S9_ifPKiSB_iPKfiiiSD_SD_iiiii,"axG",@progbits,_ZN4vllm25paged_attention_v2_kernelIttLi96ELi16ELi128ELNS_18Fp8KVCacheDataTypeE0ELb1ELi512EEEvPfS2_PT_PKS3_PKT0_S9_ifPKiSB_iPKfiiiSD_SD_iiiii,comdat
.Lfunc_end95:
	.size	_ZN4vllm25paged_attention_v2_kernelIttLi96ELi16ELi128ELNS_18Fp8KVCacheDataTypeE0ELb1ELi512EEEvPfS2_PT_PKS3_PKT0_S9_ifPKiSB_iPKfiiiSD_SD_iiiii, .Lfunc_end95-_ZN4vllm25paged_attention_v2_kernelIttLi96ELi16ELi128ELNS_18Fp8KVCacheDataTypeE0ELb1ELi512EEEvPfS2_PT_PKS3_PKT0_S9_ifPKiSB_iPKfiiiSD_SD_iiiii
                                        ; -- End function
	.section	.AMDGPU.csdata,"",@progbits
; Kernel info:
; codeLenInByte = 10484
; NumSgprs: 48
; NumVgprs: 105
; ScratchSize: 0
; MemoryBound: 0
; FloatMode: 240
; IeeeMode: 1
; LDSByteSize: 224 bytes/workgroup (compile time only)
; SGPRBlocks: 5
; VGPRBlocks: 13
; NumSGPRsForWavesPerEU: 48
; NumVGPRsForWavesPerEU: 105
; Occupancy: 12
; WaveLimiterHint : 1
; COMPUTE_PGM_RSRC2:SCRATCH_EN: 0
; COMPUTE_PGM_RSRC2:USER_SGPR: 13
; COMPUTE_PGM_RSRC2:TRAP_HANDLER: 0
; COMPUTE_PGM_RSRC2:TGID_X_EN: 1
; COMPUTE_PGM_RSRC2:TGID_Y_EN: 1
; COMPUTE_PGM_RSRC2:TGID_Z_EN: 1
; COMPUTE_PGM_RSRC2:TIDIG_COMP_CNT: 0
	.section	.text._ZN4vllm25paged_attention_v2_kernelIttLi112ELi16ELi128ELNS_18Fp8KVCacheDataTypeE0ELb1ELi512EEEvPfS2_PT_PKS3_PKT0_S9_ifPKiSB_iPKfiiiSD_SD_iiiii,"axG",@progbits,_ZN4vllm25paged_attention_v2_kernelIttLi112ELi16ELi128ELNS_18Fp8KVCacheDataTypeE0ELb1ELi512EEEvPfS2_PT_PKS3_PKT0_S9_ifPKiSB_iPKfiiiSD_SD_iiiii,comdat
	.protected	_ZN4vllm25paged_attention_v2_kernelIttLi112ELi16ELi128ELNS_18Fp8KVCacheDataTypeE0ELb1ELi512EEEvPfS2_PT_PKS3_PKT0_S9_ifPKiSB_iPKfiiiSD_SD_iiiii ; -- Begin function _ZN4vllm25paged_attention_v2_kernelIttLi112ELi16ELi128ELNS_18Fp8KVCacheDataTypeE0ELb1ELi512EEEvPfS2_PT_PKS3_PKT0_S9_ifPKiSB_iPKfiiiSD_SD_iiiii
	.globl	_ZN4vllm25paged_attention_v2_kernelIttLi112ELi16ELi128ELNS_18Fp8KVCacheDataTypeE0ELb1ELi512EEEvPfS2_PT_PKS3_PKT0_S9_ifPKiSB_iPKfiiiSD_SD_iiiii
	.p2align	8
	.type	_ZN4vllm25paged_attention_v2_kernelIttLi112ELi16ELi128ELNS_18Fp8KVCacheDataTypeE0ELb1ELi512EEEvPfS2_PT_PKS3_PKT0_S9_ifPKiSB_iPKfiiiSD_SD_iiiii,@function
_ZN4vllm25paged_attention_v2_kernelIttLi112ELi16ELi128ELNS_18Fp8KVCacheDataTypeE0ELb1ELi512EEEvPfS2_PT_PKS3_PKT0_S9_ifPKiSB_iPKfiiiSD_SD_iiiii: ; @_ZN4vllm25paged_attention_v2_kernelIttLi112ELi16ELi128ELNS_18Fp8KVCacheDataTypeE0ELb1ELi512EEEvPfS2_PT_PKS3_PKT0_S9_ifPKiSB_iPKfiiiSD_SD_iiiii
; %bb.0:
	s_load_b64 s[2:3], s[0:1], 0x40
	s_mov_b32 s12, s15
	s_ashr_i32 s15, s14, 31
	s_delay_alu instid0(SALU_CYCLE_1)
	s_lshl_b64 s[4:5], s[14:15], 2
	s_waitcnt lgkmcnt(0)
	s_add_u32 s2, s2, s4
	s_addc_u32 s3, s3, s5
	s_lshl_b32 s15, s12, 9
	s_load_b32 s33, s[2:3], 0x0
	s_waitcnt lgkmcnt(0)
	s_cmp_ge_i32 s15, s33
	s_cbranch_scc1 .LBB96_82
; %bb.1:
	s_mov_b32 s24, s13
	s_clause 0x1
	s_load_b32 s13, s[0:1], 0x90
	s_load_b64 s[34:35], s[0:1], 0x30
	s_mov_b32 s38, 0
	s_waitcnt lgkmcnt(0)
	s_abs_i32 s5, s13
	s_abs_i32 s2, s34
	s_delay_alu instid0(SALU_CYCLE_1) | instskip(SKIP_1) | instid1(VALU_DEP_1)
	v_cvt_f32_u32_e32 v1, s2
	s_sub_i32 s4, 0, s2
	v_rcp_iflag_f32_e32 v1, v1
	s_waitcnt_depctr 0xfff
	v_mul_f32_e32 v1, 0x4f7ffffe, v1
	s_delay_alu instid0(VALU_DEP_1) | instskip(NEXT) | instid1(VALU_DEP_1)
	v_cvt_u32_f32_e32 v1, v1
	v_readfirstlane_b32 s3, v1
	s_delay_alu instid0(VALU_DEP_1) | instskip(NEXT) | instid1(SALU_CYCLE_1)
	s_mul_i32 s4, s4, s3
	s_mul_hi_u32 s4, s3, s4
	s_delay_alu instid0(SALU_CYCLE_1) | instskip(SKIP_4) | instid1(SALU_CYCLE_1)
	s_add_i32 s3, s3, s4
	s_xor_b32 s4, s13, s34
	s_mul_hi_u32 s3, s5, s3
	s_ashr_i32 s4, s4, 31
	s_mul_i32 s6, s3, s2
	s_sub_i32 s5, s5, s6
	s_add_i32 s6, s3, 1
	s_sub_i32 s7, s5, s2
	s_cmp_ge_u32 s5, s2
	s_cselect_b32 s3, s6, s3
	s_cselect_b32 s5, s7, s5
	s_add_i32 s6, s3, 1
	s_cmp_ge_u32 s5, s2
	s_cselect_b32 s2, s6, s3
	s_abs_i32 s17, s24
	s_xor_b32 s2, s2, s4
	s_delay_alu instid0(SALU_CYCLE_1) | instskip(SKIP_2) | instid1(SALU_CYCLE_1)
	s_sub_i32 s8, s2, s4
	s_load_b64 s[2:3], s[0:1], 0x50
	s_abs_i32 s16, s8
	v_cvt_f32_u32_e32 v1, s16
	s_sub_i32 s5, 0, s16
	s_delay_alu instid0(VALU_DEP_1) | instskip(SKIP_2) | instid1(VALU_DEP_1)
	v_rcp_iflag_f32_e32 v1, v1
	s_waitcnt_depctr 0xfff
	v_mul_f32_e32 v1, 0x4f7ffffe, v1
	v_cvt_u32_f32_e32 v1, v1
	s_delay_alu instid0(VALU_DEP_1) | instskip(NEXT) | instid1(VALU_DEP_1)
	v_readfirstlane_b32 s4, v1
	s_mul_i32 s5, s5, s4
	s_delay_alu instid0(SALU_CYCLE_1) | instskip(NEXT) | instid1(SALU_CYCLE_1)
	s_mul_hi_u32 s5, s4, s5
	s_add_i32 s4, s4, s5
	s_waitcnt lgkmcnt(0)
	s_cmp_eq_u64 s[2:3], 0
	s_mul_hi_u32 s18, s17, s4
	s_cbranch_scc1 .LBB96_3
; %bb.2:
	s_ashr_i32 s25, s24, 31
	s_delay_alu instid0(SALU_CYCLE_1) | instskip(NEXT) | instid1(SALU_CYCLE_1)
	s_lshl_b64 s[4:5], s[24:25], 2
	s_add_u32 s2, s2, s4
	s_addc_u32 s3, s3, s5
	s_load_b32 s38, s[2:3], 0x0
.LBB96_3:
	s_load_b128 s[4:7], s[0:1], 0x58
	v_lshrrev_b32_e32 v23, 1, v0
	v_and_b32_e32 v24, 1, v0
	v_lshlrev_b32_e32 v27, 3, v0
	s_ashr_i32 s2, s24, 31
	s_ashr_i32 s3, s8, 31
	s_mul_i32 s20, s24, 0x70
	s_waitcnt lgkmcnt(0)
	s_mov_b32 s7, exec_lo
	v_cmpx_gt_u32_e32 28, v0
	s_cbranch_execz .LBB96_5
; %bb.4:
	s_load_b64 s[8:9], s[0:1], 0x18
	s_mul_i32 s10, s14, s4
	v_lshlrev_b32_e32 v3, 3, v23
	s_ashr_i32 s11, s10, 31
	s_delay_alu instid0(SALU_CYCLE_1) | instskip(NEXT) | instid1(VALU_DEP_1)
	s_lshl_b64 s[10:11], s[10:11], 1
	v_mad_u32_u24 v3, 0x70, v24, v3
	s_waitcnt lgkmcnt(0)
	s_add_u32 s4, s8, s10
	s_addc_u32 s10, s9, s11
	s_ashr_i32 s21, s20, 31
	s_delay_alu instid0(SALU_CYCLE_1) | instskip(NEXT) | instid1(SALU_CYCLE_1)
	s_lshl_b64 s[8:9], s[20:21], 1
	s_add_u32 s8, s4, s8
	s_addc_u32 s9, s10, s9
	global_load_b64 v[1:2], v27, s[8:9]
	s_waitcnt vmcnt(0)
	ds_store_b64 v3, v[1:2]
.LBB96_5:
	s_or_b32 exec_lo, exec_lo, s7
	s_load_b128 s[8:11], s[0:1], 0x78
	s_mul_i32 s4, s18, s16
	s_xor_b32 s2, s2, s3
	s_sub_i32 s3, s17, s4
	s_add_i32 s4, s18, 1
	s_sub_i32 s7, s3, s16
	s_cmp_ge_u32 s3, s16
	s_mov_b32 s17, -1
	s_cselect_b32 s4, s4, s18
	s_cselect_b32 s3, s7, s3
	s_add_i32 s7, s4, 1
	s_cmp_ge_u32 s3, s16
	s_waitcnt lgkmcnt(0)
	s_cselect_b32 s3, s7, s4
	s_load_b32 s4, s[0:1], 0x88
	s_xor_b32 s3, s3, s2
	s_add_i32 s16, s33, -1
	s_sub_i32 s3, s3, s2
	s_abs_i32 s7, s16
	s_waitcnt lgkmcnt(0)
	s_barrier
	s_abs_i32 s21, s11
	buffer_gl0_inv
	v_cvt_f32_u32_e32 v1, s21
	s_sub_i32 s2, 0, s21
                                        ; implicit-def: $sgpr36
	s_delay_alu instid0(VALU_DEP_1) | instskip(SKIP_2) | instid1(VALU_DEP_1)
	v_rcp_iflag_f32_e32 v1, v1
	s_waitcnt_depctr 0xfff
	v_mul_f32_e32 v1, 0x4f7ffffe, v1
	v_cvt_u32_f32_e32 v1, v1
	s_delay_alu instid0(VALU_DEP_1) | instskip(NEXT) | instid1(VALU_DEP_1)
	v_readfirstlane_b32 s25, v1
	s_mul_i32 s2, s2, s25
	s_delay_alu instid0(SALU_CYCLE_1) | instskip(NEXT) | instid1(SALU_CYCLE_1)
	s_mul_hi_u32 s2, s25, s2
	s_add_i32 s25, s25, s2
	s_cmp_lt_i32 s4, 0
	s_mul_hi_u32 s2, s7, s25
	s_cbranch_scc0 .LBB96_7
; %bb.6:
	s_mul_i32 s17, s8, s34
	s_delay_alu instid0(SALU_CYCLE_1) | instskip(NEXT) | instid1(SALU_CYCLE_1)
	s_add_i32 s17, s3, s17
	s_mul_i32 s17, s17, s4
	s_delay_alu instid0(SALU_CYCLE_1)
	s_sub_i32 s36, 1, s17
	s_mov_b32 s17, 0
.LBB96_7:
	s_load_b64 s[26:27], s[0:1], 0x38
	s_ashr_i32 s28, s16, 31
	s_and_not1_b32 vcc_lo, exec_lo, s17
	s_ashr_i32 s11, s11, 31
	s_cbranch_vccnz .LBB96_9
; %bb.8:
	s_mul_i32 s8, s13, s8
	s_delay_alu instid0(SALU_CYCLE_1) | instskip(NEXT) | instid1(SALU_CYCLE_1)
	s_add_i32 s8, s8, s24
	s_mul_i32 s4, s8, s4
	s_delay_alu instid0(SALU_CYCLE_1)
	s_add_i32 s36, s4, 1
.LBB96_9:
	s_clause 0x4
	s_load_b32 s8, s[0:1], 0x48
	s_load_b64 s[30:31], s[0:1], 0x28
	s_load_b32 s4, s[0:1], 0x98
	s_load_b128 s[16:19], s[0:1], 0x0
	s_load_b64 s[22:23], s[0:1], 0x10
	s_xor_b32 s37, s28, s11
	s_mul_i32 s28, s2, s21
	s_add_i32 s34, s2, 1
	s_sub_i32 s7, s7, s28
	v_lshrrev_b32_e32 v25, 5, v0
	v_mov_b32_e32 v29, 0xff7fffff
	v_mbcnt_lo_u32_b32 v28, -1, 0
	s_mul_i32 s6, s3, s6
	s_delay_alu instid0(VALU_DEP_3)
	v_lshl_add_u32 v26, v25, 4, s15
	s_waitcnt lgkmcnt(0)
	s_mul_i32 s28, s14, s8
	s_sub_i32 s8, s7, s21
	s_ashr_i32 s29, s28, 31
	s_cmp_ge_u32 s7, s21
	s_cselect_b32 s2, s34, s2
	s_cselect_b32 s7, s8, s7
	s_add_i32 s8, s2, 1
	s_cmp_ge_u32 s7, s21
	s_cselect_b32 s2, s8, s2
	s_add_i32 s7, s33, 15
	s_lshl_b32 s39, s12, 5
	s_ashr_i32 s8, s7, 31
	v_or_b32_e32 v5, s39, v25
	s_lshr_b32 s8, s8, 28
	s_delay_alu instid0(SALU_CYCLE_1)
	s_add_i32 s7, s7, s8
	s_add_i32 s8, s39, 32
	s_ashr_i32 s34, s7, 4
	s_xor_b32 s7, s2, s37
	s_min_i32 s8, s8, s34
	v_ashrrev_i32_e32 v6, 31, v5
	v_cmp_gt_i32_e64 s2, s8, v5
	s_sub_i32 s37, s7, s37
	s_delay_alu instid0(VALU_DEP_1)
	s_and_saveexec_b32 s40, s2
	s_cbranch_execz .LBB96_19
; %bb.10:
	s_load_b64 s[0:1], s[0:1], 0x20
	s_ashr_i32 s7, s6, 31
	v_bfe_u32 v30, v0, 1, 4
	s_lshl_b64 s[42:43], s[6:7], 1
	s_sub_i32 s7, s37, s9
	v_dual_mov_b32 v29, 0xff7fffff :: v_dual_and_b32 v4, 8, v27
	s_delay_alu instid0(VALU_DEP_2)
	v_lshlrev_b32_e32 v7, 2, v30
	v_subrev_nc_u32_e32 v8, s33, v30
	v_lshlrev_b32_e32 v9, 4, v30
	v_cmp_eq_u32_e32 vcc_lo, 0, v24
	v_mul_u32_u24_e32 v31, 0x70, v24
	v_lshl_or_b32 v7, v25, 6, v7
	v_lshl_add_u32 v32, v25, 4, s15
	v_xor_b32_e32 v33, 1, v28
	v_dual_mov_b32 v39, v5 :: v_dual_add_nc_u32 v34, 1, v8
	s_delay_alu instid0(VALU_DEP_4)
	v_add_nc_u32_e32 v35, 0x100, v7
	s_waitcnt lgkmcnt(0)
	s_add_u32 s3, s0, s42
	s_addc_u32 s1, s1, s43
	s_abs_i32 s41, s10
	v_add_co_u32 v8, s3, s3, v9
	v_cvt_f32_u32_e32 v1, s41
	s_sub_i32 s42, 0, s41
	v_add_co_ci_u32_e64 v9, null, s1, 0, s3
	v_cmp_neq_f32_e64 s0, s38, 0
	s_delay_alu instid0(VALU_DEP_3) | instskip(SKIP_3) | instid1(VALU_DEP_1)
	v_rcp_iflag_f32_e32 v3, v1
	v_lshlrev_b64 v[1:2], 2, v[5:6]
	s_waitcnt_depctr 0xfff
	v_mul_f32_e32 v3, 0x4f7ffffe, v3
	v_cvt_u32_f32_e32 v3, v3
	s_delay_alu instid0(VALU_DEP_1) | instskip(SKIP_1) | instid1(SALU_CYCLE_1)
	v_mul_lo_u32 v7, s42, v3
	s_lshl_b64 s[42:43], s[28:29], 2
	s_add_u32 s1, s26, s42
	s_addc_u32 s3, s27, s43
	v_add_co_u32 v1, s1, s1, v1
	s_delay_alu instid0(VALU_DEP_1) | instskip(NEXT) | instid1(VALU_DEP_3)
	v_add_co_ci_u32_e64 v2, s1, s3, v2, s1
	v_mul_hi_u32 v7, v3, v7
	v_add_co_u32 v36, s1, v8, v4
	s_delay_alu instid0(VALU_DEP_1) | instskip(SKIP_2) | instid1(VALU_DEP_3)
	v_add_co_ci_u32_e64 v37, s1, 0, v9, s1
	s_mov_b32 s42, 0
	s_mov_b32 s43, s5
	v_add_nc_u32_e32 v38, v3, v7
	s_branch .LBB96_13
.LBB96_11:                              ;   in Loop: Header=BB96_13 Depth=1
	s_or_b32 exec_lo, exec_lo, s44
.LBB96_12:                              ;   in Loop: Header=BB96_13 Depth=1
	s_delay_alu instid0(SALU_CYCLE_1) | instskip(SKIP_2) | instid1(VALU_DEP_1)
	s_or_b32 exec_lo, exec_lo, s3
	v_add_nc_u32_e32 v39, 4, v39
	v_add_co_u32 v1, s3, v1, 16
	v_add_co_ci_u32_e64 v2, s3, 0, v2, s3
	s_delay_alu instid0(VALU_DEP_3) | instskip(SKIP_2) | instid1(VALU_DEP_3)
	v_cmp_le_i32_e64 s1, s8, v39
	v_add_nc_u32_e32 v32, 64, v32
	v_add_nc_u32_e32 v35, 0x100, v35
	s_or_b32 s42, s1, s42
	s_delay_alu instid0(SALU_CYCLE_1)
	s_and_not1_b32 exec_lo, exec_lo, s42
	s_cbranch_execz .LBB96_18
.LBB96_13:                              ; =>This Inner Loop Header: Depth=1
	v_sub_nc_u32_e32 v3, 0, v32
	s_delay_alu instid0(VALU_DEP_1) | instskip(SKIP_1) | instid1(VALU_DEP_1)
	v_max_i32_e32 v3, v32, v3
	s_waitcnt lgkmcnt(0)
	v_mul_hi_u32 v4, v3, s25
	s_delay_alu instid0(VALU_DEP_1) | instskip(NEXT) | instid1(VALU_DEP_1)
	v_mul_lo_u32 v7, v4, s21
	v_sub_nc_u32_e32 v3, v3, v7
	v_add_nc_u32_e32 v7, 1, v4
	s_delay_alu instid0(VALU_DEP_2) | instskip(SKIP_1) | instid1(VALU_DEP_1)
	v_subrev_nc_u32_e32 v8, s21, v3
	v_cmp_le_u32_e64 s1, s21, v3
	v_cndmask_b32_e64 v4, v4, v7, s1
	s_delay_alu instid0(VALU_DEP_3) | instskip(SKIP_1) | instid1(VALU_DEP_3)
	v_cndmask_b32_e64 v3, v3, v8, s1
	v_ashrrev_i32_e32 v7, 31, v32
	v_add_nc_u32_e32 v8, 1, v4
	s_delay_alu instid0(VALU_DEP_3) | instskip(NEXT) | instid1(VALU_DEP_3)
	v_cmp_le_u32_e64 s1, s21, v3
	v_xor_b32_e32 v7, s11, v7
	s_delay_alu instid0(VALU_DEP_2) | instskip(NEXT) | instid1(VALU_DEP_1)
	v_cndmask_b32_e64 v3, v4, v8, s1
	v_xor_b32_e32 v3, v3, v7
	s_delay_alu instid0(VALU_DEP_1) | instskip(NEXT) | instid1(VALU_DEP_1)
	v_sub_nc_u32_e32 v3, v3, v7
	v_add_nc_u32_e32 v4, s36, v3
	v_cmp_ge_i32_e64 s3, s7, v3
	s_delay_alu instid0(VALU_DEP_2) | instskip(NEXT) | instid1(VALU_DEP_1)
	v_sub_nc_u32_e32 v7, 0, v4
	v_max_i32_e32 v7, v4, v7
	v_ashrrev_i32_e32 v4, 31, v4
	s_delay_alu instid0(VALU_DEP_2) | instskip(NEXT) | instid1(VALU_DEP_1)
	v_mul_hi_u32 v8, v7, v38
	v_mul_lo_u32 v8, v8, s41
	s_delay_alu instid0(VALU_DEP_1) | instskip(NEXT) | instid1(VALU_DEP_1)
	v_sub_nc_u32_e32 v7, v7, v8
	v_subrev_nc_u32_e32 v8, s41, v7
	v_cmp_le_u32_e64 s1, s41, v7
	s_delay_alu instid0(VALU_DEP_1) | instskip(NEXT) | instid1(VALU_DEP_1)
	v_cndmask_b32_e64 v7, v7, v8, s1
	v_subrev_nc_u32_e32 v8, s41, v7
	v_cmp_le_u32_e64 s1, s41, v7
	s_delay_alu instid0(VALU_DEP_1) | instskip(NEXT) | instid1(VALU_DEP_1)
	v_cndmask_b32_e64 v7, v7, v8, s1
	v_xor_b32_e32 v7, v7, v4
	s_delay_alu instid0(VALU_DEP_1) | instskip(NEXT) | instid1(VALU_DEP_1)
	v_sub_nc_u32_e32 v4, v7, v4
	v_cmp_ne_u32_e64 s1, 0, v4
	s_delay_alu instid0(VALU_DEP_1) | instskip(NEXT) | instid1(SALU_CYCLE_1)
	s_and_b32 s1, s1, s3
	s_and_b32 s44, vcc_lo, s1
	s_delay_alu instid0(SALU_CYCLE_1)
	s_and_saveexec_b32 s3, s44
	s_cbranch_execz .LBB96_15
; %bb.14:                               ;   in Loop: Header=BB96_13 Depth=1
	v_mov_b32_e32 v3, 0xff7fffff
	ds_store_b32 v35, v3
.LBB96_15:                              ;   in Loop: Header=BB96_13 Depth=1
	s_or_b32 exec_lo, exec_lo, s3
	s_xor_b32 s1, s1, -1
	s_delay_alu instid0(SALU_CYCLE_1)
	s_and_saveexec_b32 s3, s1
	s_cbranch_execz .LBB96_12
; %bb.16:                               ;   in Loop: Header=BB96_13 Depth=1
	global_load_b32 v7, v[1:2], off
	s_waitcnt vmcnt(0)
	v_mad_i64_i32 v[3:4], null, v7, s43, 0
	s_delay_alu instid0(VALU_DEP_1) | instskip(NEXT) | instid1(VALU_DEP_1)
	v_lshlrev_b64 v[3:4], 1, v[3:4]
	v_add_co_u32 v3, s1, v36, v3
	s_delay_alu instid0(VALU_DEP_1)
	v_add_co_ci_u32_e64 v4, s1, v37, v4, s1
	v_cmp_gt_i32_e64 s1, 32, v33
	s_clause 0x9
	global_load_b64 v[41:42], v[3:4], off
	global_load_b64 v[48:49], v[3:4], off offset:256
	global_load_b64 v[56:57], v[3:4], off offset:512
	;; [unrolled: 1-line block ×9, first 2 shown]
	ds_load_b64 v[7:8], v31
	s_waitcnt lgkmcnt(0)
	v_lshrrev_b32_e32 v43, 16, v7
	v_and_b32_e32 v40, 0xffff, v7
	v_lshrrev_b32_e32 v44, 16, v8
	v_and_b32_e32 v46, 0xffff, v8
	s_clause 0x3
	global_load_b64 v[11:12], v[3:4], off offset:2560
	global_load_b64 v[9:10], v[3:4], off offset:2816
	;; [unrolled: 1-line block ×4, first 2 shown]
	;;#ASMSTART
	v_cvt_f32_f16 v40, v40;
	;;#ASMEND
	s_waitcnt vmcnt(13)
	v_and_b32_e32 v45, 0xffff, v41
	v_lshrrev_b32_e32 v47, 16, v41
	v_lshrrev_b32_e32 v50, 16, v42
	v_and_b32_e32 v51, 0xffff, v42
	;;#ASMSTART
	v_cvt_f32_f16 v41, v43;
	;;#ASMEND
	;;#ASMSTART
	v_cvt_f32_f16 v45, v45;
	;;#ASMEND
	;; [unrolled: 3-line block ×7, first 2 shown]
	ds_load_b64 v[50:51], v31 offset:8
	s_waitcnt vmcnt(12)
	v_lshrrev_b32_e32 v52, 16, v48
	v_and_b32_e32 v53, 0xffff, v48
	v_lshrrev_b32_e32 v58, 16, v49
	v_and_b32_e32 v59, 0xffff, v49
	s_waitcnt vmcnt(11)
	v_lshrrev_b32_e32 v63, 16, v57
	s_waitcnt vmcnt(10)
	v_lshrrev_b32_e32 v68, 16, v64
	v_lshrrev_b32_e32 v71, 16, v65
	v_and_b32_e32 v70, 0xffff, v65
	s_waitcnt vmcnt(9)
	v_lshrrev_b32_e32 v76, 16, v72
	v_lshrrev_b32_e32 v77, 16, v73
	s_waitcnt vmcnt(8)
	v_lshrrev_b32_e32 v82, 16, v21
	v_lshrrev_b32_e32 v83, 16, v22
	v_and_b32_e32 v22, 0xffff, v22
	s_waitcnt vmcnt(7)
	v_lshrrev_b32_e32 v88, 16, v19
	v_lshrrev_b32_e32 v89, 16, v20
	v_and_b32_e32 v20, 0xffff, v20
	;; [unrolled: 4-line block ×3, first 2 shown]
	s_waitcnt lgkmcnt(0)
	v_and_b32_e32 v48, 0xffff, v50
	;;#ASMSTART
	v_cvt_f32_f16 v54, v48;
	;;#ASMEND
	v_lshrrev_b32_e32 v50, 16, v50
	;;#ASMSTART
	v_cvt_f32_f16 v48, v50;
	;;#ASMEND
	;;#ASMSTART
	v_cvt_f32_f16 v55, v53;
	;;#ASMEND
	v_mul_f32_e32 v54, v54, v55
	;;#ASMSTART
	v_cvt_f32_f16 v49, v52;
	;;#ASMEND
	v_mul_f32_e32 v48, v48, v49
	v_lshrrev_b32_e32 v60, 16, v51
	s_waitcnt vmcnt(5)
	v_lshrrev_b32_e32 v100, 16, v13
	v_dual_fmac_f32 v54, v40, v45 :: v_dual_and_b32 v51, 0xffff, v51
	;;#ASMSTART
	v_cvt_f32_f16 v50, v51;
	;;#ASMEND
	;;#ASMSTART
	v_cvt_f32_f16 v51, v60;
	;;#ASMEND
	v_fmac_f32_e32 v48, v41, v42
	;;#ASMSTART
	v_cvt_f32_f16 v52, v59;
	;;#ASMEND
	;;#ASMSTART
	v_cvt_f32_f16 v53, v58;
	;;#ASMEND
	ds_load_b64 v[58:59], v31 offset:16
	v_mul_f32_e32 v49, v50, v52
	v_lshrrev_b32_e32 v60, 16, v56
	v_dual_mul_f32 v50, v51, v53 :: v_dual_and_b32 v61, 0xffff, v56
	s_delay_alu instid0(VALU_DEP_3) | instskip(SKIP_2) | instid1(VALU_DEP_4)
	v_dual_fmac_f32 v49, v43, v46 :: v_dual_and_b32 v62, 0xffff, v57
	v_and_b32_e32 v69, 0xffff, v64
	v_lshrrev_b32_e32 v101, 16, v14
	v_fmac_f32_e32 v50, v44, v47
	v_and_b32_e32 v14, 0xffff, v14
	s_waitcnt vmcnt(4)
	v_lshrrev_b32_e32 v106, 16, v15
	v_lshrrev_b32_e32 v107, 16, v16
	v_and_b32_e32 v16, 0xffff, v16
	s_waitcnt vmcnt(3)
	v_lshrrev_b32_e32 v112, 16, v11
	v_lshrrev_b32_e32 v113, 16, v12
	;; [unrolled: 4-line block ×3, first 2 shown]
	v_and_b32_e32 v10, 0xffff, v10
	s_waitcnt lgkmcnt(0)
	v_and_b32_e32 v56, 0xffff, v58
	v_lshrrev_b32_e32 v58, 16, v58
	v_lshrrev_b32_e32 v66, 16, v59
	;;#ASMSTART
	v_cvt_f32_f16 v57, v56;
	;;#ASMEND
	;;#ASMSTART
	v_cvt_f32_f16 v56, v58;
	;;#ASMEND
	;; [unrolled: 3-line block ×4, first 2 shown]
	v_dual_fmac_f32 v48, v56, v58 :: v_dual_and_b32 v59, 0xffff, v59
	;;#ASMSTART
	v_cvt_f32_f16 v59, v59;
	;;#ASMEND
	;;#ASMSTART
	v_cvt_f32_f16 v60, v66;
	;;#ASMEND
	;; [unrolled: 3-line block ×4, first 2 shown]
	ds_load_b64 v[66:67], v31 offset:24
	v_dual_fmac_f32 v54, v57, v61 :: v_dual_fmac_f32 v49, v59, v62
	v_dual_fmac_f32 v50, v60, v63 :: v_dual_and_b32 v73, 0xffff, v73
	s_waitcnt vmcnt(1)
	v_lshrrev_b32_e32 v40, 16, v7
	v_lshrrev_b32_e32 v47, 16, v8
	v_and_b32_e32 v8, 0xffff, v8
	s_waitcnt lgkmcnt(0)
	v_and_b32_e32 v64, 0xffff, v66
	v_lshrrev_b32_e32 v66, 16, v66
	v_lshrrev_b32_e32 v74, 16, v67
	;;#ASMSTART
	v_cvt_f32_f16 v65, v64;
	;;#ASMEND
	;;#ASMSTART
	v_cvt_f32_f16 v64, v66;
	;;#ASMEND
	;; [unrolled: 3-line block ×3, first 2 shown]
	v_dual_fmac_f32 v54, v65, v69 :: v_dual_and_b32 v67, 0xffff, v67
	;;#ASMSTART
	v_cvt_f32_f16 v66, v68;
	;;#ASMEND
	;;#ASMSTART
	v_cvt_f32_f16 v67, v67;
	;;#ASMEND
	;; [unrolled: 3-line block ×5, first 2 shown]
	ds_load_b64 v[74:75], v31 offset:32
	v_dual_fmac_f32 v49, v67, v70 :: v_dual_and_b32 v72, 0xffff, v72
	v_dual_fmac_f32 v48, v64, v66 :: v_dual_and_b32 v21, 0xffff, v21
	v_fmac_f32_e32 v50, v68, v71
	s_waitcnt lgkmcnt(0)
	v_and_b32_e32 v78, 0xffff, v74
	v_lshrrev_b32_e32 v74, 16, v74
	v_lshrrev_b32_e32 v79, 16, v75
	v_and_b32_e32 v75, 0xffff, v75
	;;#ASMSTART
	v_cvt_f32_f16 v78, v78;
	;;#ASMEND
	;;#ASMSTART
	v_cvt_f32_f16 v74, v74;
	;;#ASMEND
	;; [unrolled: 3-line block ×8, first 2 shown]
	ds_load_b64 v[72:73], v31 offset:40
	v_dual_fmac_f32 v54, v78, v80 :: v_dual_and_b32 v19, 0xffff, v19
	v_dual_fmac_f32 v48, v74, v76 :: v_dual_and_b32 v15, 0xffff, v15
	v_fmac_f32_e32 v50, v79, v77
	s_waitcnt lgkmcnt(0)
	v_dual_fmac_f32 v49, v75, v81 :: v_dual_and_b32 v84, 0xffff, v72
	v_lshrrev_b32_e32 v72, 16, v72
	v_lshrrev_b32_e32 v85, 16, v73
	v_and_b32_e32 v73, 0xffff, v73
	;;#ASMSTART
	v_cvt_f32_f16 v84, v84;
	;;#ASMEND
	;;#ASMSTART
	v_cvt_f32_f16 v72, v72;
	;;#ASMEND
	;; [unrolled: 3-line block ×8, first 2 shown]
	ds_load_b64 v[21:22], v31 offset:48
	v_dual_fmac_f32 v54, v84, v86 :: v_dual_and_b32 v17, 0xffff, v17
	v_dual_fmac_f32 v48, v72, v82 :: v_dual_and_b32 v13, 0xffff, v13
	;; [unrolled: 1-line block ×3, first 2 shown]
	s_waitcnt lgkmcnt(0)
	v_dual_fmac_f32 v49, v73, v87 :: v_dual_and_b32 v90, 0xffff, v21
	v_lshrrev_b32_e32 v21, 16, v21
	v_lshrrev_b32_e32 v91, 16, v22
	v_and_b32_e32 v22, 0xffff, v22
	;;#ASMSTART
	v_cvt_f32_f16 v90, v90;
	;;#ASMEND
	;;#ASMSTART
	v_cvt_f32_f16 v21, v21;
	;;#ASMEND
	;; [unrolled: 3-line block ×8, first 2 shown]
	ds_load_b64 v[19:20], v31 offset:56
	v_dual_fmac_f32 v54, v90, v92 :: v_dual_and_b32 v11, 0xffff, v11
	v_dual_fmac_f32 v48, v21, v88 :: v_dual_and_b32 v7, 0xffff, v7
	v_fmac_f32_e32 v49, v22, v93
	v_fmac_f32_e32 v50, v91, v89
	s_waitcnt lgkmcnt(0)
	v_and_b32_e32 v96, 0xffff, v19
	v_lshrrev_b32_e32 v19, 16, v19
	v_lshrrev_b32_e32 v97, 16, v20
	v_and_b32_e32 v20, 0xffff, v20
	;;#ASMSTART
	v_cvt_f32_f16 v96, v96;
	;;#ASMEND
	;;#ASMSTART
	v_cvt_f32_f16 v19, v19;
	;;#ASMEND
	;; [unrolled: 3-line block ×8, first 2 shown]
	ds_load_b64 v[17:18], v31 offset:64
	v_dual_fmac_f32 v48, v19, v94 :: v_dual_fmac_f32 v49, v20, v99
	s_waitcnt vmcnt(0)
	v_lshrrev_b32_e32 v19, 16, v3
	v_and_b32_e32 v3, 0xffff, v3
	v_fmac_f32_e32 v50, v97, v95
	s_waitcnt lgkmcnt(0)
	v_and_b32_e32 v102, 0xffff, v17
	v_lshrrev_b32_e32 v17, 16, v17
	v_lshrrev_b32_e32 v103, 16, v18
	v_and_b32_e32 v18, 0xffff, v18
	;;#ASMSTART
	v_cvt_f32_f16 v102, v102;
	;;#ASMEND
	;;#ASMSTART
	v_cvt_f32_f16 v17, v17;
	;;#ASMEND
	;;#ASMSTART
	v_cvt_f32_f16 v104, v13;
	;;#ASMEND
	;;#ASMSTART
	v_cvt_f32_f16 v100, v100;
	;;#ASMEND
	;;#ASMSTART
	v_cvt_f32_f16 v18, v18;
	;;#ASMEND
	;;#ASMSTART
	v_cvt_f32_f16 v103, v103;
	;;#ASMEND
	;;#ASMSTART
	v_cvt_f32_f16 v105, v14;
	;;#ASMEND
	;;#ASMSTART
	v_cvt_f32_f16 v101, v101;
	;;#ASMEND
	ds_load_b64 v[13:14], v31 offset:72
	v_dual_fmac_f32 v48, v17, v100 :: v_dual_fmac_f32 v49, v18, v105
	v_fmac_f32_e32 v50, v103, v101
	s_waitcnt lgkmcnt(0)
	v_and_b32_e32 v108, 0xffff, v13
	v_lshrrev_b32_e32 v13, 16, v13
	v_lshrrev_b32_e32 v109, 16, v14
	v_and_b32_e32 v14, 0xffff, v14
	;;#ASMSTART
	v_cvt_f32_f16 v108, v108;
	;;#ASMEND
	;;#ASMSTART
	v_cvt_f32_f16 v110, v13;
	;;#ASMEND
	;;#ASMSTART
	v_cvt_f32_f16 v15, v15;
	;;#ASMEND
	;;#ASMSTART
	v_cvt_f32_f16 v106, v106;
	;;#ASMEND
	;;#ASMSTART
	v_cvt_f32_f16 v111, v14;
	;;#ASMEND
	;;#ASMSTART
	v_cvt_f32_f16 v109, v109;
	;;#ASMEND
	;;#ASMSTART
	v_cvt_f32_f16 v16, v16;
	;;#ASMEND
	;;#ASMSTART
	v_cvt_f32_f16 v107, v107;
	;;#ASMEND
	ds_load_b64 v[13:14], v31 offset:80
	v_dual_fmac_f32 v48, v110, v106 :: v_dual_fmac_f32 v49, v111, v16
	;; [unrolled: 32-line block ×3, first 2 shown]
	v_fmac_f32_e32 v50, v55, v113
	v_lshrrev_b32_e32 v13, 16, v4
	v_and_b32_e32 v4, 0xffff, v4
	s_waitcnt lgkmcnt(0)
	v_and_b32_e32 v41, 0xffff, v11
	v_lshrrev_b32_e32 v11, 16, v11
	v_lshrrev_b32_e32 v42, 16, v12
	v_and_b32_e32 v12, 0xffff, v12
	;;#ASMSTART
	v_cvt_f32_f16 v41, v41;
	;;#ASMEND
	;;#ASMSTART
	v_cvt_f32_f16 v11, v11;
	;;#ASMEND
	;; [unrolled: 3-line block ×8, first 2 shown]
	ds_load_b64 v[9:10], v31 offset:96
	v_fmac_f32_e32 v54, v96, v98
	v_dual_fmac_f32 v48, v11, v44 :: v_dual_fmac_f32 v49, v12, v45
	s_waitcnt lgkmcnt(0)
	v_dual_fmac_f32 v50, v42, v46 :: v_dual_and_b32 v17, 0xffff, v9
	v_lshrrev_b32_e32 v9, 16, v9
	v_lshrrev_b32_e32 v18, 16, v10
	v_and_b32_e32 v10, 0xffff, v10
	;;#ASMSTART
	v_cvt_f32_f16 v17, v17;
	;;#ASMEND
	;;#ASMSTART
	v_cvt_f32_f16 v9, v9;
	;;#ASMEND
	;; [unrolled: 3-line block ×8, first 2 shown]
	ds_load_b64 v[7:8], v31 offset:104
	v_fmac_f32_e32 v54, v102, v104
	v_dual_fmac_f32 v48, v9, v21 :: v_dual_fmac_f32 v49, v10, v22
	s_waitcnt lgkmcnt(0)
	v_dual_fmac_f32 v50, v18, v40 :: v_dual_and_b32 v9, 0xffff, v7
	s_delay_alu instid0(VALU_DEP_3)
	v_fmac_f32_e32 v54, v108, v15
	v_lshrrev_b32_e32 v7, 16, v7
	;;#ASMSTART
	v_cvt_f32_f16 v9, v9;
	;;#ASMEND
	;;#ASMSTART
	v_cvt_f32_f16 v7, v7;
	;;#ASMEND
	;;#ASMSTART
	v_cvt_f32_f16 v3, v3;
	;;#ASMEND
	v_fmac_f32_e32 v54, v116, v117
	;;#ASMSTART
	v_cvt_f32_f16 v11, v19;
	;;#ASMEND
	v_fmac_f32_e32 v48, v7, v11
	v_lshrrev_b32_e32 v10, 16, v8
	v_and_b32_e32 v8, 0xffff, v8
	v_fmac_f32_e32 v54, v41, v43
	s_delay_alu instid0(VALU_DEP_1) | instskip(NEXT) | instid1(VALU_DEP_1)
	v_fmac_f32_e32 v54, v17, v20
	v_fmac_f32_e32 v54, v9, v3
	;;#ASMSTART
	v_cvt_f32_f16 v3, v8;
	;;#ASMEND
	;;#ASMSTART
	v_cvt_f32_f16 v7, v10;
	;;#ASMEND
	;; [unrolled: 3-line block ×3, first 2 shown]
	v_fmac_f32_e32 v49, v3, v4
	v_add_f32_e32 v3, v54, v48
	;;#ASMSTART
	v_cvt_f32_f16 v4, v13;
	;;#ASMEND
	v_fmac_f32_e32 v50, v7, v4
	v_cndmask_b32_e64 v4, v28, v33, s1
	s_delay_alu instid0(VALU_DEP_1) | instskip(NEXT) | instid1(VALU_DEP_1)
	v_dual_add_f32 v3, v3, v49 :: v_dual_lshlrev_b32 v4, 2, v4
	v_add_f32_e32 v3, v50, v3
	ds_bpermute_b32 v4, v4, v3
	s_and_saveexec_b32 s44, vcc_lo
	s_cbranch_execz .LBB96_11
; %bb.17:                               ;   in Loop: Header=BB96_13 Depth=1
	s_waitcnt lgkmcnt(0)
	v_add_f32_e32 v3, v3, v4
	v_add_nc_u32_e32 v7, v34, v32
	s_delay_alu instid0(VALU_DEP_1) | instskip(NEXT) | instid1(VALU_DEP_1)
	v_cvt_f32_i32_e32 v7, v7
	v_mul_f32_e32 v7, s38, v7
	s_delay_alu instid0(VALU_DEP_1) | instskip(NEXT) | instid1(VALU_DEP_1)
	v_cndmask_b32_e64 v4, 0, v7, s0
	v_dual_max_f32 v7, v29, v29 :: v_dual_fmac_f32 v4, s35, v3
	v_add_nc_u32_e32 v3, v30, v32
	s_delay_alu instid0(VALU_DEP_2) | instskip(NEXT) | instid1(VALU_DEP_2)
	v_max_f32_e32 v7, v7, v4
	v_cmp_gt_i32_e64 s1, s33, v3
	s_delay_alu instid0(VALU_DEP_1) | instskip(NEXT) | instid1(VALU_DEP_3)
	v_cndmask_b32_e64 v3, 0, v4, s1
	v_cndmask_b32_e64 v29, v29, v7, s1
	ds_store_b32 v35, v3
	s_branch .LBB96_11
.LBB96_18:
	s_or_b32 exec_lo, exec_lo, s42
.LBB96_19:
	s_delay_alu instid0(SALU_CYCLE_1) | instskip(SKIP_4) | instid1(VALU_DEP_4)
	s_or_b32 exec_lo, exec_lo, s40
	v_xor_b32_e32 v1, 16, v28
	v_xor_b32_e32 v2, 8, v28
	v_and_b32_e32 v10, 31, v0
	v_lshlrev_b32_e32 v9, 2, v25
	v_cmp_gt_i32_e32 vcc_lo, 32, v1
	v_cndmask_b32_e32 v1, v28, v1, vcc_lo
	v_cmp_gt_i32_e32 vcc_lo, 32, v2
	s_delay_alu instid0(VALU_DEP_2)
	v_dual_cndmask_b32 v2, v28, v2 :: v_dual_lshlrev_b32 v3, 2, v1
	s_waitcnt lgkmcnt(0)
	v_max_f32_e32 v4, v29, v29
	ds_bpermute_b32 v1, v3, v29
	v_lshlrev_b32_e32 v7, 2, v2
	s_waitcnt lgkmcnt(0)
	v_max_f32_e32 v1, v1, v1
	s_delay_alu instid0(VALU_DEP_1) | instskip(SKIP_1) | instid1(VALU_DEP_1)
	v_max_f32_e32 v1, v4, v1
	v_xor_b32_e32 v4, 4, v28
	v_cmp_gt_i32_e32 vcc_lo, 32, v4
	v_cndmask_b32_e32 v4, v28, v4, vcc_lo
	s_delay_alu instid0(VALU_DEP_1) | instskip(SKIP_2) | instid1(VALU_DEP_1)
	v_lshlrev_b32_e32 v8, 2, v4
	ds_bpermute_b32 v2, v7, v1
	v_xor_b32_e32 v4, 2, v28
	v_cmp_gt_i32_e32 vcc_lo, 32, v4
	v_cndmask_b32_e32 v4, v28, v4, vcc_lo
	v_cmp_eq_u32_e32 vcc_lo, 0, v10
	s_waitcnt lgkmcnt(0)
	v_max_f32_e32 v2, v2, v2
	s_delay_alu instid0(VALU_DEP_1) | instskip(SKIP_3) | instid1(VALU_DEP_1)
	v_max_f32_e32 v1, v1, v2
	ds_bpermute_b32 v2, v8, v1
	s_waitcnt lgkmcnt(0)
	v_max_f32_e32 v2, v2, v2
	v_dual_max_f32 v1, v1, v2 :: v_dual_lshlrev_b32 v2, 2, v4
	ds_bpermute_b32 v4, v2, v1
	s_and_saveexec_b32 s0, vcc_lo
	s_cbranch_execz .LBB96_21
; %bb.20:
	s_waitcnt lgkmcnt(0)
	v_dual_max_f32 v4, v4, v4 :: v_dual_max_f32 v1, v1, v1
	s_delay_alu instid0(VALU_DEP_1)
	v_max_f32_e32 v1, v1, v4
	ds_store_b32 v9, v1 offset:224
.LBB96_21:
	s_or_b32 exec_lo, exec_lo, s0
	v_cmp_gt_u32_e64 s0, 4, v10
	v_dual_mov_b32 v1, 0xff7fffff :: v_dual_lshlrev_b32 v12, 2, v10
	s_waitcnt lgkmcnt(0)
	s_barrier
	buffer_gl0_inv
	s_and_saveexec_b32 s1, s0
	s_cbranch_execz .LBB96_23
; %bb.22:
	ds_load_b32 v1, v12 offset:224
.LBB96_23:
	s_or_b32 exec_lo, exec_lo, s1
	s_waitcnt lgkmcnt(0)
	ds_bpermute_b32 v4, v2, v1
	v_xor_b32_e32 v11, 1, v28
	v_max_f32_e32 v1, v1, v1
	v_mov_b32_e32 v13, 0
	s_delay_alu instid0(VALU_DEP_3) | instskip(NEXT) | instid1(VALU_DEP_1)
	v_cmp_gt_i32_e64 s1, 32, v11
	v_cndmask_b32_e64 v11, v28, v11, s1
	s_sub_i32 s1, s8, s39
	s_delay_alu instid0(SALU_CYCLE_1) | instskip(NEXT) | instid1(VALU_DEP_1)
	s_lshl_b32 s1, s1, 4
	v_lshlrev_b32_e32 v11, 2, v11
	s_add_i32 s1, s1, s15
	s_delay_alu instid0(SALU_CYCLE_1) | instskip(SKIP_3) | instid1(SALU_CYCLE_1)
	s_min_i32 s1, s1, s33
	s_waitcnt lgkmcnt(0)
	v_max_f32_e32 v4, v4, v4
	s_sub_i32 s7, s1, s15
	v_cmp_gt_i32_e64 s1, s7, v0
	s_delay_alu instid0(VALU_DEP_2) | instskip(SKIP_3) | instid1(VALU_DEP_1)
	v_max_f32_e32 v1, v1, v4
	ds_bpermute_b32 v4, v11, v1
	s_waitcnt lgkmcnt(0)
	v_max_f32_e32 v4, v4, v4
	v_max_f32_e32 v1, v1, v4
	v_lshl_add_u32 v4, v0, 2, 0x100
	ds_bpermute_b32 v1, v13, v1
	s_and_saveexec_b32 s15, s1
	s_cbranch_execz .LBB96_27
; %bb.24:
	v_lshl_add_u32 v14, v0, 2, 0x100
	v_mov_b32_e32 v13, 0
	v_mov_b32_e32 v15, v0
	s_mov_b32 s35, 0
	.p2align	6
.LBB96_25:                              ; =>This Inner Loop Header: Depth=1
	ds_load_b32 v16, v14
	v_add_nc_u32_e32 v15, 0x80, v15
	s_delay_alu instid0(VALU_DEP_1) | instskip(NEXT) | instid1(VALU_DEP_1)
	v_cmp_le_i32_e64 s3, s7, v15
	s_or_b32 s35, s3, s35
	s_waitcnt lgkmcnt(0)
	v_sub_f32_e32 v16, v16, v1
	s_delay_alu instid0(VALU_DEP_1) | instskip(NEXT) | instid1(VALU_DEP_1)
	v_mul_f32_e32 v16, 0x3fb8aa3b, v16
	v_exp_f32_e32 v16, v16
	ds_store_b32 v14, v16
	v_dual_add_f32 v13, v13, v16 :: v_dual_add_nc_u32 v14, 0x200, v14
	s_and_not1_b32 exec_lo, exec_lo, s35
	s_cbranch_execnz .LBB96_25
; %bb.26:
	s_or_b32 exec_lo, exec_lo, s35
.LBB96_27:
	s_delay_alu instid0(SALU_CYCLE_1)
	s_or_b32 exec_lo, exec_lo, s15
	ds_bpermute_b32 v3, v3, v13
	s_waitcnt lgkmcnt(0)
	v_add_f32_e32 v3, v13, v3
	ds_bpermute_b32 v7, v7, v3
	s_waitcnt lgkmcnt(0)
	v_add_f32_e32 v3, v3, v7
	;; [unrolled: 3-line block ×5, first 2 shown]
	s_and_saveexec_b32 s3, vcc_lo
	s_cbranch_execz .LBB96_29
; %bb.28:
	ds_store_b32 v9, v3 offset:240
.LBB96_29:
	s_or_b32 exec_lo, exec_lo, s3
	s_waitcnt lgkmcnt(0)
	s_barrier
	buffer_gl0_inv
	s_and_saveexec_b32 s3, s0
	s_cbranch_execz .LBB96_31
; %bb.30:
	ds_load_b32 v3, v12 offset:240
.LBB96_31:
	s_or_b32 exec_lo, exec_lo, s3
	s_waitcnt lgkmcnt(0)
	ds_bpermute_b32 v2, v2, v3
	s_waitcnt lgkmcnt(0)
	v_add_f32_e32 v2, v3, v2
	ds_bpermute_b32 v3, v11, v2
	s_waitcnt lgkmcnt(0)
	v_dual_add_f32 v2, v2, v3 :: v_dual_mov_b32 v3, 0
	ds_bpermute_b32 v2, v3, v2
	s_and_saveexec_b32 s0, s1
	s_cbranch_execz .LBB96_34
; %bb.32:
	s_waitcnt lgkmcnt(0)
	v_add_f32_e32 v3, 0x358637bd, v2
	s_mov_b32 s1, 0
	s_delay_alu instid0(VALU_DEP_1) | instskip(NEXT) | instid1(VALU_DEP_1)
	v_div_scale_f32 v7, null, v3, v3, 1.0
	v_rcp_f32_e32 v8, v7
	s_waitcnt_depctr 0xfff
	v_fma_f32 v9, -v7, v8, 1.0
	s_delay_alu instid0(VALU_DEP_1) | instskip(SKIP_1) | instid1(VALU_DEP_1)
	v_fmac_f32_e32 v8, v9, v8
	v_div_scale_f32 v12, vcc_lo, 1.0, v3, 1.0
	v_mul_f32_e32 v9, v12, v8
	s_delay_alu instid0(VALU_DEP_1) | instskip(NEXT) | instid1(VALU_DEP_1)
	v_fma_f32 v13, -v7, v9, v12
	v_fmac_f32_e32 v9, v13, v8
	s_delay_alu instid0(VALU_DEP_1) | instskip(NEXT) | instid1(VALU_DEP_1)
	v_fma_f32 v7, -v7, v9, v12
	v_div_fmas_f32 v7, v7, v8, v9
	s_delay_alu instid0(VALU_DEP_1)
	v_div_fixup_f32 v3, v7, v3, 1.0
	v_mov_b32_e32 v7, v0
.LBB96_33:                              ; =>This Inner Loop Header: Depth=1
	ds_load_b32 v8, v4
	s_waitcnt lgkmcnt(0)
	v_dual_mul_f32 v8, v3, v8 :: v_dual_add_nc_u32 v7, 0x80, v7
	s_delay_alu instid0(VALU_DEP_1) | instskip(SKIP_3) | instid1(SALU_CYCLE_1)
	v_cmp_le_i32_e32 vcc_lo, s7, v7
	ds_store_b32 v4, v8
	v_add_nc_u32_e32 v4, 0x200, v4
	s_or_b32 s1, vcc_lo, s1
	s_and_not1_b32 exec_lo, exec_lo, s1
	s_cbranch_execnz .LBB96_33
.LBB96_34:
	s_or_b32 exec_lo, exec_lo, s0
	s_mul_i32 s0, s4, s14
	s_waitcnt lgkmcnt(0)
	s_mul_i32 s14, s0, s13
	s_mov_b32 s0, exec_lo
	s_barrier
	buffer_gl0_inv
	v_cmpx_eq_u32_e32 0, v0
	s_cbranch_execz .LBB96_36
; %bb.35:
	s_ashr_i32 s15, s14, 31
	s_mul_i32 s40, s4, s24
	s_lshl_b64 s[38:39], s[14:15], 2
	v_mov_b32_e32 v3, 0
	s_add_u32 s1, s18, s38
	s_addc_u32 s3, s19, s39
	s_ashr_i32 s41, s40, 31
	s_delay_alu instid0(SALU_CYCLE_1) | instskip(NEXT) | instid1(SALU_CYCLE_1)
	s_lshl_b64 s[18:19], s[40:41], 2
	s_add_u32 s1, s1, s18
	s_addc_u32 s3, s3, s19
	s_ashr_i32 s13, s12, 31
	s_delay_alu instid0(SALU_CYCLE_1) | instskip(NEXT) | instid1(SALU_CYCLE_1)
	s_lshl_b64 s[40:41], s[12:13], 2
	s_add_u32 s42, s1, s40
	s_addc_u32 s43, s3, s41
	s_add_u32 s1, s16, s38
	s_addc_u32 s3, s17, s39
	;; [unrolled: 2-line block ×4, first 2 shown]
	s_clause 0x1
	global_store_b32 v3, v1, s[42:43]
	global_store_b32 v3, v2, s[16:17]
.LBB96_36:
	s_or_b32 exec_lo, exec_lo, s0
	v_dual_mov_b32 v18, 0 :: v_dual_mov_b32 v15, 0
	v_dual_mov_b32 v14, 0 :: v_dual_mov_b32 v13, 0
	;; [unrolled: 1-line block ×3, first 2 shown]
	v_mov_b32_e32 v12, 0
	s_mov_b32 s3, 0
	s_and_saveexec_b32 s1, s2
	s_cbranch_execz .LBB96_56
; %bb.37:
	s_ashr_i32 s7, s6, 31
	s_sub_i32 s2, s37, s9
	s_lshl_b64 s[6:7], s[6:7], 1
	v_dual_mov_b32 v12, 0 :: v_dual_lshlrev_b32 v3, 4, v0
	s_add_u32 s0, s30, s6
	s_addc_u32 s15, s31, s7
	s_abs_i32 s6, s10
	s_delay_alu instid0(VALU_DEP_1) | instskip(SKIP_3) | instid1(VALU_DEP_2)
	v_dual_mov_b32 v18, 0 :: v_dual_and_b32 v3, 0x1f0, v3
	v_cvt_f32_u32_e32 v1, s6
	s_sub_i32 s16, 0, s6
	s_add_i32 s34, s34, -1
	v_add_co_u32 v20, s0, s0, v3
	s_delay_alu instid0(VALU_DEP_2)
	v_rcp_iflag_f32_e32 v1, v1
	v_dual_mov_b32 v16, 0 :: v_dual_and_b32 v19, 8, v27
	v_dual_mov_b32 v13, 0 :: v_dual_mov_b32 v14, 0
	v_mov_b32_e32 v15, 0
	v_add_co_ci_u32_e64 v21, null, s15, 0, s0
	v_mov_b32_e32 v17, 0
	s_mov_b32 s7, s33
	s_waitcnt_depctr 0xfff
	v_mul_f32_e32 v4, 0x4f7ffffe, v1
	v_lshlrev_b64 v[1:2], 2, v[5:6]
	v_lshlrev_b32_e32 v6, 5, v24
	s_mov_b32 s9, s33
	s_mov_b32 s10, s33
	v_cvt_u32_f32_e32 v4, v4
	s_mov_b32 s13, s33
	v_lshl_or_b32 v6, v25, 6, v6
	s_mov_b32 s15, s33
	s_delay_alu instid0(VALU_DEP_2) | instskip(SKIP_1) | instid1(VALU_DEP_2)
	v_mul_lo_u32 v7, s16, v4
	s_lshl_b64 s[16:17], s[28:29], 2
	v_add_nc_u32_e32 v22, 0x100, v6
	s_add_u32 s16, s26, s16
	s_addc_u32 s17, s27, s17
	v_add_co_u32 v6, vcc_lo, s16, v1
	s_mov_b32 s16, s33
	s_delay_alu instid0(VALU_DEP_3) | instskip(SKIP_2) | instid1(VALU_DEP_2)
	v_mul_hi_u32 v8, v4, v7
	v_add_co_ci_u32_e32 v7, vcc_lo, s17, v2, vcc_lo
	s_mov_b32 s17, s33
	v_add_nc_u32_e32 v27, v4, v8
	s_branch .LBB96_40
.LBB96_38:                              ;   in Loop: Header=BB96_40 Depth=1
	s_or_b32 exec_lo, exec_lo, s0
	s_waitcnt vmcnt(0)
	;;#ASMSTART
	v_pk_mul_f16 v1, v41, v1;

	;;#ASMEND
	;;#ASMSTART
	v_pk_mul_f16 v2, v40, v2;

	;;#ASMEND
	;; [unrolled: 4-line block ×4, first 2 shown]
	;;#ASMSTART
	v_pk_add_f16 v1, v1, v2;

	;;#ASMEND
	;;#ASMSTART
	v_pk_add_f16 v1, v1, v3;

	;;#ASMEND
	v_dual_add_f32 v3, v44, v45 :: v_dual_add_f32 v8, v50, v51
	v_add_f32_e32 v9, v48, v49
	;;#ASMSTART
	v_pk_add_f16 v1, v1, v4;

	;;#ASMEND
	v_add_f32_e32 v4, v42, v43
	s_delay_alu instid0(VALU_DEP_3) | instskip(SKIP_4) | instid1(VALU_DEP_2)
	v_dual_add_f32 v17, v17, v3 :: v_dual_and_b32 v2, 0xffff, v1
	v_lshrrev_b32_e32 v1, 16, v1
	;;#ASMSTART
	v_cvt_f32_f16 v2, v2;
	;;#ASMEND
	;;#ASMSTART
	v_cvt_f32_f16 v1, v1;
	;;#ASMEND
	v_dual_add_f32 v28, v46, v47 :: v_dual_add_f32 v15, v15, v8
	v_dual_add_f32 v8, v36, v38 :: v_dual_add_f32 v1, v2, v1
	s_delay_alu instid0(VALU_DEP_2) | instskip(SKIP_1) | instid1(VALU_DEP_3)
	v_dual_add_f32 v14, v14, v9 :: v_dual_add_f32 v13, v13, v28
	v_add_f32_e32 v16, v16, v4
	v_add_f32_e32 v12, v12, v8
	s_delay_alu instid0(VALU_DEP_4)
	v_add_f32_e32 v18, v18, v1
.LBB96_39:                              ;   in Loop: Header=BB96_40 Depth=1
	s_or_b32 exec_lo, exec_lo, s18
	v_add_nc_u32_e32 v5, 4, v5
	v_add_co_u32 v6, s0, v6, 16
	s_delay_alu instid0(VALU_DEP_1) | instskip(NEXT) | instid1(VALU_DEP_3)
	v_add_co_ci_u32_e64 v7, s0, 0, v7, s0
	v_cmp_le_i32_e32 vcc_lo, s8, v5
	v_add_nc_u32_e32 v26, 64, v26
	v_add_nc_u32_e32 v22, 0x100, v22
	s_or_b32 s3, vcc_lo, s3
	s_delay_alu instid0(SALU_CYCLE_1)
	s_and_not1_b32 exec_lo, exec_lo, s3
	s_cbranch_execz .LBB96_55
.LBB96_40:                              ; =>This Inner Loop Header: Depth=1
	v_sub_nc_u32_e32 v1, 0, v26
	s_delay_alu instid0(VALU_DEP_1) | instskip(NEXT) | instid1(VALU_DEP_1)
	v_max_i32_e32 v1, v26, v1
	v_mul_hi_u32 v2, v1, s25
	s_delay_alu instid0(VALU_DEP_1) | instskip(NEXT) | instid1(VALU_DEP_1)
	v_mul_lo_u32 v3, v2, s21
	v_sub_nc_u32_e32 v1, v1, v3
	v_add_nc_u32_e32 v3, 1, v2
	s_delay_alu instid0(VALU_DEP_2) | instskip(SKIP_1) | instid1(VALU_DEP_2)
	v_subrev_nc_u32_e32 v4, s21, v1
	v_cmp_le_u32_e32 vcc_lo, s21, v1
	v_dual_cndmask_b32 v2, v2, v3 :: v_dual_cndmask_b32 v1, v1, v4
	v_ashrrev_i32_e32 v3, 31, v26
	s_delay_alu instid0(VALU_DEP_2) | instskip(NEXT) | instid1(VALU_DEP_3)
	v_add_nc_u32_e32 v4, 1, v2
	v_cmp_le_u32_e32 vcc_lo, s21, v1
	s_delay_alu instid0(VALU_DEP_3) | instskip(NEXT) | instid1(VALU_DEP_3)
	v_xor_b32_e32 v3, s11, v3
	v_cndmask_b32_e32 v1, v2, v4, vcc_lo
	s_delay_alu instid0(VALU_DEP_1) | instskip(NEXT) | instid1(VALU_DEP_1)
	v_xor_b32_e32 v1, v1, v3
	v_sub_nc_u32_e32 v1, v1, v3
	s_delay_alu instid0(VALU_DEP_1) | instskip(SKIP_1) | instid1(VALU_DEP_2)
	v_add_nc_u32_e32 v2, s36, v1
	v_cmp_lt_i32_e64 s0, s2, v1
	v_sub_nc_u32_e32 v3, 0, v2
	s_delay_alu instid0(VALU_DEP_1) | instskip(NEXT) | instid1(VALU_DEP_1)
	v_max_i32_e32 v3, v2, v3
	v_mul_hi_u32 v4, v3, v27
	s_delay_alu instid0(VALU_DEP_1) | instskip(NEXT) | instid1(VALU_DEP_1)
	v_mul_lo_u32 v4, v4, s6
	v_sub_nc_u32_e32 v3, v3, v4
	s_delay_alu instid0(VALU_DEP_1) | instskip(SKIP_1) | instid1(VALU_DEP_2)
	v_subrev_nc_u32_e32 v4, s6, v3
	v_cmp_le_u32_e32 vcc_lo, s6, v3
	v_cndmask_b32_e32 v3, v3, v4, vcc_lo
	v_ashrrev_i32_e32 v2, 31, v2
	s_delay_alu instid0(VALU_DEP_2) | instskip(SKIP_1) | instid1(VALU_DEP_2)
	v_subrev_nc_u32_e32 v4, s6, v3
	v_cmp_le_u32_e32 vcc_lo, s6, v3
	v_cndmask_b32_e32 v3, v3, v4, vcc_lo
	s_delay_alu instid0(VALU_DEP_1) | instskip(NEXT) | instid1(VALU_DEP_1)
	v_xor_b32_e32 v3, v3, v2
	v_sub_nc_u32_e32 v2, v3, v2
	s_delay_alu instid0(VALU_DEP_1) | instskip(SKIP_1) | instid1(SALU_CYCLE_1)
	v_cmp_eq_u32_e32 vcc_lo, 0, v2
	s_or_b32 s0, vcc_lo, s0
	s_and_saveexec_b32 s18, s0
	s_cbranch_execz .LBB96_39
; %bb.41:                               ;   in Loop: Header=BB96_40 Depth=1
	global_load_b32 v32, v[6:7], off
	ds_load_2addr_b64 v[1:4], v22 offset1:1
	ds_load_2addr_b64 v[28:31], v22 offset0:2 offset1:3
	s_waitcnt lgkmcnt(1)
	;;#ASMSTART
	v_cvt_f16_f32 v39, v1;

	;;#ASMEND
	;;#ASMSTART
	v_cvt_f16_f32 v36, v2;

	;;#ASMEND
	;; [unrolled: 4-line block ×4, first 2 shown]
	s_waitcnt lgkmcnt(0)
	;;#ASMSTART
	v_cvt_f16_f32 v41, v28;

	;;#ASMEND
	;;#ASMSTART
	v_cvt_f16_f32 v38, v29;

	;;#ASMEND
	;;#ASMSTART
	v_cvt_f16_f32 v43, v30;

	;;#ASMEND
	;;#ASMSTART
	v_cvt_f16_f32 v42, v31;

	;;#ASMEND
	v_add_nc_u32_e32 v28, v19, v26
	s_delay_alu instid0(VALU_DEP_1)
	v_add_nc_u32_e32 v29, 1, v28
	v_or_b32_e32 v31, 3, v28
	v_or_b32_e32 v30, 2, v28
	;; [unrolled: 1-line block ×5, first 2 shown]
	s_waitcnt vmcnt(0)
	v_mad_i64_i32 v[8:9], null, v32, s5, 0
	v_or_b32_e32 v32, 4, v28
	s_delay_alu instid0(VALU_DEP_2) | instskip(NEXT) | instid1(VALU_DEP_1)
	v_lshlrev_b64 v[8:9], 1, v[8:9]
	v_add_co_u32 v8, vcc_lo, v20, v8
	s_delay_alu instid0(VALU_DEP_2)
	v_add_co_ci_u32_e32 v9, vcc_lo, v21, v9, vcc_lo
	v_cmp_eq_u32_e32 vcc_lo, s34, v5
	global_load_b128 v[1:4], v[8:9], off
	s_and_saveexec_b32 s19, vcc_lo
	s_cbranch_execz .LBB96_43
; %bb.42:                               ;   in Loop: Header=BB96_40 Depth=1
	v_cmp_gt_i32_e64 s0, s16, v35
	s_waitcnt vmcnt(0)
	v_lshrrev_b32_e32 v44, 16, v4
	v_lshrrev_b32_e32 v45, 16, v3
	;; [unrolled: 1-line block ×4, first 2 shown]
	v_cndmask_b32_e64 v4, 0, v4, s0
	v_cmp_gt_i32_e64 s0, s17, v34
	s_delay_alu instid0(VALU_DEP_1) | instskip(SKIP_1) | instid1(VALU_DEP_2)
	v_cndmask_b32_e64 v44, 0, v44, s0
	v_cmp_gt_i32_e64 s0, s15, v33
	v_perm_b32 v4, v44, v4, 0x5040100
	s_delay_alu instid0(VALU_DEP_2) | instskip(SKIP_1) | instid1(VALU_DEP_1)
	v_cndmask_b32_e64 v45, 0, v45, s0
	v_cmp_gt_i32_e64 s0, s13, v32
	v_cndmask_b32_e64 v3, 0, v3, s0
	v_cmp_gt_i32_e64 s0, s10, v31
	s_delay_alu instid0(VALU_DEP_2) | instskip(NEXT) | instid1(VALU_DEP_2)
	v_perm_b32 v3, v45, v3, 0x5040100
	v_cndmask_b32_e64 v46, 0, v46, s0
	v_cmp_gt_i32_e64 s0, s9, v30
	s_delay_alu instid0(VALU_DEP_1) | instskip(SKIP_1) | instid1(VALU_DEP_2)
	v_cndmask_b32_e64 v2, 0, v2, s0
	v_cmp_gt_i32_e64 s0, s7, v29
	v_perm_b32 v2, v46, v2, 0x5040100
	s_delay_alu instid0(VALU_DEP_2) | instskip(SKIP_1) | instid1(VALU_DEP_1)
	v_cndmask_b32_e64 v47, 0, v47, s0
	v_cmp_gt_i32_e64 s0, s33, v28
	v_cndmask_b32_e64 v1, 0, v1, s0
	s_delay_alu instid0(VALU_DEP_1)
	v_perm_b32 v1, v47, v1, 0x5040100
.LBB96_43:                              ;   in Loop: Header=BB96_40 Depth=1
	s_or_b32 exec_lo, exec_lo, s19
	v_and_b32_e32 v39, 0xffff, v39
	v_and_b32_e32 v40, 0xffff, v40
	;; [unrolled: 1-line block ×4, first 2 shown]
	s_delay_alu instid0(VALU_DEP_4)
	v_lshl_or_b32 v41, v36, 16, v39
	s_waitcnt vmcnt(0)
	;;#ASMSTART
	v_pk_mul_f16 v1, v41, v1;

	;;#ASMEND
	v_lshl_or_b32 v40, v37, 16, v40
	v_lshl_or_b32 v39, v38, 16, v44
	;; [unrolled: 1-line block ×3, first 2 shown]
	;;#ASMSTART
	v_pk_mul_f16 v2, v40, v2;

	;;#ASMEND
	;;#ASMSTART
	v_pk_mul_f16 v3, v39, v3;

	;;#ASMEND
	;; [unrolled: 4-line block ×3, first 2 shown]
	;;#ASMSTART
	v_pk_add_f16 v1, v1, v2;

	;;#ASMEND
	;;#ASMSTART
	v_pk_add_f16 v1, v1, v3;

	;;#ASMEND
	;; [unrolled: 4-line block ×3, first 2 shown]
	v_and_b32_e32 v2, 0xffff, v1
	v_lshrrev_b32_e32 v1, 16, v1
	;;#ASMSTART
	v_cvt_f32_f16 v36, v2;
	;;#ASMEND
	;;#ASMSTART
	v_cvt_f32_f16 v38, v1;
	;;#ASMEND
	global_load_b128 v[1:4], v[8:9], off offset:512
	s_and_saveexec_b32 s19, vcc_lo
	s_cbranch_execz .LBB96_45
; %bb.44:                               ;   in Loop: Header=BB96_40 Depth=1
	v_cmp_gt_i32_e64 s0, s16, v35
	s_waitcnt vmcnt(0)
	v_lshrrev_b32_e32 v42, 16, v4
	v_lshrrev_b32_e32 v43, 16, v3
	;; [unrolled: 1-line block ×4, first 2 shown]
	v_cndmask_b32_e64 v4, 0, v4, s0
	v_cmp_gt_i32_e64 s0, s17, v34
	s_delay_alu instid0(VALU_DEP_1) | instskip(SKIP_1) | instid1(VALU_DEP_2)
	v_cndmask_b32_e64 v42, 0, v42, s0
	v_cmp_gt_i32_e64 s0, s15, v33
	v_perm_b32 v4, v42, v4, 0x5040100
	s_delay_alu instid0(VALU_DEP_2) | instskip(SKIP_1) | instid1(VALU_DEP_1)
	v_cndmask_b32_e64 v43, 0, v43, s0
	v_cmp_gt_i32_e64 s0, s13, v32
	v_cndmask_b32_e64 v3, 0, v3, s0
	v_cmp_gt_i32_e64 s0, s10, v31
	s_delay_alu instid0(VALU_DEP_2) | instskip(NEXT) | instid1(VALU_DEP_2)
	v_perm_b32 v3, v43, v3, 0x5040100
	v_cndmask_b32_e64 v44, 0, v44, s0
	v_cmp_gt_i32_e64 s0, s9, v30
	s_delay_alu instid0(VALU_DEP_1) | instskip(SKIP_1) | instid1(VALU_DEP_2)
	v_cndmask_b32_e64 v2, 0, v2, s0
	v_cmp_gt_i32_e64 s0, s7, v29
	v_perm_b32 v2, v44, v2, 0x5040100
	s_delay_alu instid0(VALU_DEP_2) | instskip(SKIP_1) | instid1(VALU_DEP_1)
	v_cndmask_b32_e64 v45, 0, v45, s0
	v_cmp_gt_i32_e64 s0, s33, v28
	v_cndmask_b32_e64 v1, 0, v1, s0
	s_delay_alu instid0(VALU_DEP_1)
	v_perm_b32 v1, v45, v1, 0x5040100
.LBB96_45:                              ;   in Loop: Header=BB96_40 Depth=1
	s_or_b32 exec_lo, exec_lo, s19
	s_waitcnt vmcnt(0)
	;;#ASMSTART
	v_pk_mul_f16 v1, v41, v1;

	;;#ASMEND
	;;#ASMSTART
	v_pk_mul_f16 v2, v40, v2;

	;;#ASMEND
	;; [unrolled: 4-line block ×4, first 2 shown]
	;;#ASMSTART
	v_pk_add_f16 v1, v1, v2;

	;;#ASMEND
	;;#ASMSTART
	v_pk_add_f16 v1, v1, v3;

	;;#ASMEND
	;; [unrolled: 4-line block ×3, first 2 shown]
	v_and_b32_e32 v2, 0xffff, v1
	v_lshrrev_b32_e32 v1, 16, v1
	;;#ASMSTART
	v_cvt_f32_f16 v42, v2;
	;;#ASMEND
	;;#ASMSTART
	v_cvt_f32_f16 v43, v1;
	;;#ASMEND
	global_load_b128 v[1:4], v[8:9], off offset:1024
	s_and_saveexec_b32 s19, vcc_lo
	s_cbranch_execz .LBB96_47
; %bb.46:                               ;   in Loop: Header=BB96_40 Depth=1
	v_cmp_gt_i32_e64 s0, s16, v35
	s_waitcnt vmcnt(0)
	v_lshrrev_b32_e32 v44, 16, v4
	v_lshrrev_b32_e32 v45, 16, v3
	;; [unrolled: 1-line block ×4, first 2 shown]
	v_cndmask_b32_e64 v4, 0, v4, s0
	v_cmp_gt_i32_e64 s0, s17, v34
	s_delay_alu instid0(VALU_DEP_1) | instskip(SKIP_1) | instid1(VALU_DEP_2)
	v_cndmask_b32_e64 v44, 0, v44, s0
	v_cmp_gt_i32_e64 s0, s15, v33
	v_perm_b32 v4, v44, v4, 0x5040100
	s_delay_alu instid0(VALU_DEP_2) | instskip(SKIP_1) | instid1(VALU_DEP_1)
	v_cndmask_b32_e64 v45, 0, v45, s0
	v_cmp_gt_i32_e64 s0, s13, v32
	v_cndmask_b32_e64 v3, 0, v3, s0
	v_cmp_gt_i32_e64 s0, s10, v31
	s_delay_alu instid0(VALU_DEP_2) | instskip(NEXT) | instid1(VALU_DEP_2)
	v_perm_b32 v3, v45, v3, 0x5040100
	v_cndmask_b32_e64 v46, 0, v46, s0
	v_cmp_gt_i32_e64 s0, s9, v30
	s_delay_alu instid0(VALU_DEP_1) | instskip(SKIP_1) | instid1(VALU_DEP_2)
	v_cndmask_b32_e64 v2, 0, v2, s0
	v_cmp_gt_i32_e64 s0, s7, v29
	v_perm_b32 v2, v46, v2, 0x5040100
	s_delay_alu instid0(VALU_DEP_2) | instskip(SKIP_1) | instid1(VALU_DEP_1)
	v_cndmask_b32_e64 v47, 0, v47, s0
	v_cmp_gt_i32_e64 s0, s33, v28
	v_cndmask_b32_e64 v1, 0, v1, s0
	s_delay_alu instid0(VALU_DEP_1)
	v_perm_b32 v1, v47, v1, 0x5040100
.LBB96_47:                              ;   in Loop: Header=BB96_40 Depth=1
	s_or_b32 exec_lo, exec_lo, s19
	s_waitcnt vmcnt(0)
	;;#ASMSTART
	v_pk_mul_f16 v1, v41, v1;

	;;#ASMEND
	;;#ASMSTART
	v_pk_mul_f16 v2, v40, v2;

	;;#ASMEND
	;; [unrolled: 4-line block ×4, first 2 shown]
	;;#ASMSTART
	v_pk_add_f16 v1, v1, v2;

	;;#ASMEND
	;;#ASMSTART
	v_pk_add_f16 v1, v1, v3;

	;;#ASMEND
	;; [unrolled: 4-line block ×3, first 2 shown]
	v_and_b32_e32 v2, 0xffff, v1
	v_lshrrev_b32_e32 v1, 16, v1
	;;#ASMSTART
	v_cvt_f32_f16 v44, v2;
	;;#ASMEND
	;;#ASMSTART
	v_cvt_f32_f16 v45, v1;
	;;#ASMEND
	global_load_b128 v[1:4], v[8:9], off offset:1536
	s_and_saveexec_b32 s19, vcc_lo
	s_cbranch_execz .LBB96_49
; %bb.48:                               ;   in Loop: Header=BB96_40 Depth=1
	v_cmp_gt_i32_e64 s0, s16, v35
	s_waitcnt vmcnt(0)
	v_lshrrev_b32_e32 v46, 16, v4
	v_lshrrev_b32_e32 v47, 16, v3
	;; [unrolled: 1-line block ×4, first 2 shown]
	v_cndmask_b32_e64 v4, 0, v4, s0
	v_cmp_gt_i32_e64 s0, s17, v34
	s_delay_alu instid0(VALU_DEP_1) | instskip(SKIP_1) | instid1(VALU_DEP_2)
	v_cndmask_b32_e64 v46, 0, v46, s0
	v_cmp_gt_i32_e64 s0, s15, v33
	v_perm_b32 v4, v46, v4, 0x5040100
	s_delay_alu instid0(VALU_DEP_2) | instskip(SKIP_1) | instid1(VALU_DEP_1)
	v_cndmask_b32_e64 v47, 0, v47, s0
	v_cmp_gt_i32_e64 s0, s13, v32
	v_cndmask_b32_e64 v3, 0, v3, s0
	v_cmp_gt_i32_e64 s0, s10, v31
	s_delay_alu instid0(VALU_DEP_2) | instskip(NEXT) | instid1(VALU_DEP_2)
	v_perm_b32 v3, v47, v3, 0x5040100
	v_cndmask_b32_e64 v48, 0, v48, s0
	v_cmp_gt_i32_e64 s0, s9, v30
	s_delay_alu instid0(VALU_DEP_1) | instskip(SKIP_1) | instid1(VALU_DEP_2)
	v_cndmask_b32_e64 v2, 0, v2, s0
	v_cmp_gt_i32_e64 s0, s7, v29
	v_perm_b32 v2, v48, v2, 0x5040100
	s_delay_alu instid0(VALU_DEP_2) | instskip(SKIP_1) | instid1(VALU_DEP_1)
	v_cndmask_b32_e64 v49, 0, v49, s0
	v_cmp_gt_i32_e64 s0, s33, v28
	v_cndmask_b32_e64 v1, 0, v1, s0
	s_delay_alu instid0(VALU_DEP_1)
	v_perm_b32 v1, v49, v1, 0x5040100
.LBB96_49:                              ;   in Loop: Header=BB96_40 Depth=1
	s_or_b32 exec_lo, exec_lo, s19
	s_waitcnt vmcnt(0)
	;;#ASMSTART
	v_pk_mul_f16 v1, v41, v1;

	;;#ASMEND
	;;#ASMSTART
	v_pk_mul_f16 v2, v40, v2;

	;;#ASMEND
	;; [unrolled: 4-line block ×4, first 2 shown]
	;;#ASMSTART
	v_pk_add_f16 v1, v1, v2;

	;;#ASMEND
	;;#ASMSTART
	v_pk_add_f16 v1, v1, v3;

	;;#ASMEND
	;; [unrolled: 4-line block ×3, first 2 shown]
	v_and_b32_e32 v2, 0xffff, v1
	v_lshrrev_b32_e32 v1, 16, v1
	;;#ASMSTART
	v_cvt_f32_f16 v46, v2;
	;;#ASMEND
	;;#ASMSTART
	v_cvt_f32_f16 v47, v1;
	;;#ASMEND
	global_load_b128 v[1:4], v[8:9], off offset:2048
	s_and_saveexec_b32 s19, vcc_lo
	s_cbranch_execz .LBB96_51
; %bb.50:                               ;   in Loop: Header=BB96_40 Depth=1
	v_cmp_gt_i32_e64 s0, s16, v35
	s_waitcnt vmcnt(0)
	v_lshrrev_b32_e32 v48, 16, v4
	v_lshrrev_b32_e32 v49, 16, v3
	;; [unrolled: 1-line block ×4, first 2 shown]
	v_cndmask_b32_e64 v4, 0, v4, s0
	v_cmp_gt_i32_e64 s0, s17, v34
	s_delay_alu instid0(VALU_DEP_1) | instskip(SKIP_1) | instid1(VALU_DEP_2)
	v_cndmask_b32_e64 v48, 0, v48, s0
	v_cmp_gt_i32_e64 s0, s15, v33
	v_perm_b32 v4, v48, v4, 0x5040100
	s_delay_alu instid0(VALU_DEP_2) | instskip(SKIP_1) | instid1(VALU_DEP_1)
	v_cndmask_b32_e64 v49, 0, v49, s0
	v_cmp_gt_i32_e64 s0, s13, v32
	v_cndmask_b32_e64 v3, 0, v3, s0
	v_cmp_gt_i32_e64 s0, s10, v31
	s_delay_alu instid0(VALU_DEP_2) | instskip(NEXT) | instid1(VALU_DEP_2)
	v_perm_b32 v3, v49, v3, 0x5040100
	v_cndmask_b32_e64 v50, 0, v50, s0
	v_cmp_gt_i32_e64 s0, s9, v30
	s_delay_alu instid0(VALU_DEP_1) | instskip(SKIP_1) | instid1(VALU_DEP_2)
	v_cndmask_b32_e64 v2, 0, v2, s0
	v_cmp_gt_i32_e64 s0, s7, v29
	v_perm_b32 v2, v50, v2, 0x5040100
	s_delay_alu instid0(VALU_DEP_2) | instskip(SKIP_1) | instid1(VALU_DEP_1)
	v_cndmask_b32_e64 v51, 0, v51, s0
	v_cmp_gt_i32_e64 s0, s33, v28
	v_cndmask_b32_e64 v1, 0, v1, s0
	s_delay_alu instid0(VALU_DEP_1)
	v_perm_b32 v1, v51, v1, 0x5040100
.LBB96_51:                              ;   in Loop: Header=BB96_40 Depth=1
	s_or_b32 exec_lo, exec_lo, s19
	s_waitcnt vmcnt(0)
	;;#ASMSTART
	v_pk_mul_f16 v1, v41, v1;

	;;#ASMEND
	;;#ASMSTART
	v_pk_mul_f16 v2, v40, v2;

	;;#ASMEND
	;; [unrolled: 4-line block ×4, first 2 shown]
	;;#ASMSTART
	v_pk_add_f16 v1, v1, v2;

	;;#ASMEND
	;;#ASMSTART
	v_pk_add_f16 v1, v1, v3;

	;;#ASMEND
	;; [unrolled: 4-line block ×3, first 2 shown]
	v_and_b32_e32 v2, 0xffff, v1
	v_lshrrev_b32_e32 v1, 16, v1
	;;#ASMSTART
	v_cvt_f32_f16 v48, v2;
	;;#ASMEND
	;;#ASMSTART
	v_cvt_f32_f16 v49, v1;
	;;#ASMEND
	global_load_b128 v[1:4], v[8:9], off offset:2560
	s_and_saveexec_b32 s19, vcc_lo
	s_cbranch_execz .LBB96_53
; %bb.52:                               ;   in Loop: Header=BB96_40 Depth=1
	v_cmp_gt_i32_e64 s0, s16, v35
	s_waitcnt vmcnt(0)
	v_lshrrev_b32_e32 v50, 16, v4
	v_lshrrev_b32_e32 v51, 16, v3
	;; [unrolled: 1-line block ×4, first 2 shown]
	v_cndmask_b32_e64 v4, 0, v4, s0
	v_cmp_gt_i32_e64 s0, s17, v34
	s_delay_alu instid0(VALU_DEP_1) | instskip(SKIP_1) | instid1(VALU_DEP_2)
	v_cndmask_b32_e64 v50, 0, v50, s0
	v_cmp_gt_i32_e64 s0, s15, v33
	v_perm_b32 v4, v50, v4, 0x5040100
	s_delay_alu instid0(VALU_DEP_2) | instskip(SKIP_1) | instid1(VALU_DEP_1)
	v_cndmask_b32_e64 v51, 0, v51, s0
	v_cmp_gt_i32_e64 s0, s13, v32
	v_cndmask_b32_e64 v3, 0, v3, s0
	v_cmp_gt_i32_e64 s0, s10, v31
	s_delay_alu instid0(VALU_DEP_2) | instskip(NEXT) | instid1(VALU_DEP_2)
	v_perm_b32 v3, v51, v3, 0x5040100
	v_cndmask_b32_e64 v52, 0, v52, s0
	v_cmp_gt_i32_e64 s0, s9, v30
	s_delay_alu instid0(VALU_DEP_1) | instskip(SKIP_1) | instid1(VALU_DEP_2)
	v_cndmask_b32_e64 v2, 0, v2, s0
	v_cmp_gt_i32_e64 s0, s7, v29
	v_perm_b32 v2, v52, v2, 0x5040100
	s_delay_alu instid0(VALU_DEP_2) | instskip(SKIP_1) | instid1(VALU_DEP_1)
	v_cndmask_b32_e64 v53, 0, v53, s0
	v_cmp_gt_i32_e64 s0, s33, v28
	v_cndmask_b32_e64 v1, 0, v1, s0
	s_delay_alu instid0(VALU_DEP_1)
	v_perm_b32 v1, v53, v1, 0x5040100
.LBB96_53:                              ;   in Loop: Header=BB96_40 Depth=1
	s_or_b32 exec_lo, exec_lo, s19
	s_waitcnt vmcnt(0)
	;;#ASMSTART
	v_pk_mul_f16 v1, v41, v1;

	;;#ASMEND
	;;#ASMSTART
	v_pk_mul_f16 v2, v40, v2;

	;;#ASMEND
	;; [unrolled: 4-line block ×4, first 2 shown]
	;;#ASMSTART
	v_pk_add_f16 v1, v1, v2;

	;;#ASMEND
	;;#ASMSTART
	v_pk_add_f16 v1, v1, v3;

	;;#ASMEND
	;;#ASMSTART
	v_pk_add_f16 v1, v1, v4;

	;;#ASMEND
	v_and_b32_e32 v2, 0xffff, v1
	v_lshrrev_b32_e32 v1, 16, v1
	;;#ASMSTART
	v_cvt_f32_f16 v50, v2;
	;;#ASMEND
	;;#ASMSTART
	v_cvt_f32_f16 v51, v1;
	;;#ASMEND
	global_load_b128 v[1:4], v[8:9], off offset:3072
	s_and_saveexec_b32 s0, vcc_lo
	s_cbranch_execz .LBB96_38
; %bb.54:                               ;   in Loop: Header=BB96_40 Depth=1
	v_cmp_gt_i32_e32 vcc_lo, s16, v35
	s_waitcnt vmcnt(0)
	v_lshrrev_b32_e32 v8, 16, v4
	v_lshrrev_b32_e32 v9, 16, v3
	v_cndmask_b32_e32 v4, 0, v4, vcc_lo
	v_cmp_gt_i32_e32 vcc_lo, s17, v34
	s_delay_alu instid0(VALU_DEP_4)
	v_cndmask_b32_e32 v8, 0, v8, vcc_lo
	v_cmp_gt_i32_e32 vcc_lo, s15, v33
	v_lshrrev_b32_e32 v33, 16, v2
	v_cndmask_b32_e32 v9, 0, v9, vcc_lo
	v_cmp_gt_i32_e32 vcc_lo, s13, v32
	v_lshrrev_b32_e32 v32, 16, v1
	v_cndmask_b32_e32 v3, 0, v3, vcc_lo
	v_cmp_gt_i32_e32 vcc_lo, s10, v31
	v_perm_b32 v4, v8, v4, 0x5040100
	s_delay_alu instid0(VALU_DEP_3) | instskip(SKIP_4) | instid1(VALU_DEP_2)
	v_perm_b32 v3, v9, v3, 0x5040100
	v_cndmask_b32_e32 v31, 0, v33, vcc_lo
	v_cmp_gt_i32_e32 vcc_lo, s9, v30
	v_cndmask_b32_e32 v2, 0, v2, vcc_lo
	v_cmp_gt_i32_e32 vcc_lo, s7, v29
	v_perm_b32 v2, v31, v2, 0x5040100
	v_cndmask_b32_e32 v29, 0, v32, vcc_lo
	v_cmp_gt_i32_e32 vcc_lo, s33, v28
	v_cndmask_b32_e32 v1, 0, v1, vcc_lo
	s_delay_alu instid0(VALU_DEP_1)
	v_perm_b32 v1, v29, v1, 0x5040100
	s_branch .LBB96_38
.LBB96_55:
	s_or_b32 exec_lo, exec_lo, s3
.LBB96_56:
	s_delay_alu instid0(SALU_CYCLE_1)
	s_or_b32 exec_lo, exec_lo, s1
	ds_bpermute_b32 v1, v11, v12
	ds_bpermute_b32 v2, v11, v16
	;; [unrolled: 1-line block ×7, first 2 shown]
	v_and_b32_e32 v5, 0x3c1, v0
	v_lshrrev_b32_e32 v8, 1, v10
	s_movk_i32 s0, 0x1c0
	s_waitcnt lgkmcnt(0)
	s_waitcnt_vscnt null, 0x0
	v_mad_u32_u24 v9, v25, s0, 0x100
	s_barrier
	buffer_gl0_inv
	v_dual_add_f32 v7, v12, v1 :: v_dual_lshlrev_b32 v10, 2, v8
	v_add_f32_e32 v6, v16, v2
	v_cmp_eq_u32_e32 vcc_lo, 64, v5
	v_add_f32_e32 v4, v13, v4
	v_dual_add_f32 v5, v17, v3 :: v_dual_add_f32 v2, v15, v20
	v_add_f32_e32 v3, v14, v19
	v_add_f32_e32 v1, v18, v11
	s_and_saveexec_b32 s0, vcc_lo
	s_cbranch_execz .LBB96_58
; %bb.57:
	v_add3_u32 v11, v9, v10, 0xfffffc80
	ds_store_2addr_b32 v11, v7, v6 offset1:16
	ds_store_2addr_b32 v11, v5, v4 offset0:32 offset1:48
	ds_store_2addr_b32 v11, v3, v2 offset0:64 offset1:80
	ds_store_b32 v11, v1 offset:384
.LBB96_58:
	s_or_b32 exec_lo, exec_lo, s0
	v_cmp_eq_u32_e32 vcc_lo, 0, v24
	s_mov_b32 s1, exec_lo
	s_waitcnt lgkmcnt(0)
	s_barrier
	buffer_gl0_inv
	v_cmpx_gt_u32_e32 64, v0
	s_cbranch_execz .LBB96_68
; %bb.59:
	s_and_saveexec_b32 s0, vcc_lo
	s_cbranch_execnz .LBB96_83
; %bb.60:
	s_or_b32 exec_lo, exec_lo, s0
	s_and_saveexec_b32 s0, vcc_lo
	s_cbranch_execnz .LBB96_84
.LBB96_61:
	s_or_b32 exec_lo, exec_lo, s0
	s_and_saveexec_b32 s0, vcc_lo
	s_cbranch_execnz .LBB96_85
.LBB96_62:
	s_or_b32 exec_lo, exec_lo, s0
	s_and_saveexec_b32 s0, vcc_lo
	s_cbranch_execnz .LBB96_86
.LBB96_63:
	s_or_b32 exec_lo, exec_lo, s0
	s_and_saveexec_b32 s0, vcc_lo
	s_cbranch_execnz .LBB96_87
.LBB96_64:
	s_or_b32 exec_lo, exec_lo, s0
	s_and_saveexec_b32 s0, vcc_lo
	s_cbranch_execnz .LBB96_88
.LBB96_65:
	s_or_b32 exec_lo, exec_lo, s0
	s_and_saveexec_b32 s0, vcc_lo
	s_cbranch_execz .LBB96_67
.LBB96_66:
	v_lshl_add_u32 v11, v8, 2, v9
	ds_load_b32 v11, v11 offset:384
	s_waitcnt lgkmcnt(0)
	v_add_f32_e32 v1, v1, v11
.LBB96_67:
	s_or_b32 exec_lo, exec_lo, s0
.LBB96_68:
	s_delay_alu instid0(SALU_CYCLE_1)
	s_or_b32 exec_lo, exec_lo, s1
	v_and_b32_e32 v11, 0x3e1, v0
	s_mov_b32 s1, exec_lo
	s_barrier
	buffer_gl0_inv
	v_cmpx_eq_u32_e32 32, v11
	s_cbranch_execz .LBB96_70
; %bb.69:
	v_add3_u32 v10, v9, v10, 0xfffffe40
	ds_store_2addr_b32 v10, v7, v6 offset1:16
	ds_store_2addr_b32 v10, v5, v4 offset0:32 offset1:48
	ds_store_2addr_b32 v10, v3, v2 offset0:64 offset1:80
	ds_store_b32 v10, v1 offset:384
.LBB96_70:
	s_or_b32 exec_lo, exec_lo, s1
	s_delay_alu instid0(SALU_CYCLE_1)
	s_mov_b32 s1, exec_lo
	s_waitcnt lgkmcnt(0)
	s_barrier
	buffer_gl0_inv
	v_cmpx_gt_u32_e32 32, v0
	s_cbranch_execz .LBB96_80
; %bb.71:
	v_lshl_add_u32 v0, v8, 2, v9
	s_and_saveexec_b32 s0, vcc_lo
	s_cbranch_execnz .LBB96_89
; %bb.72:
	s_or_b32 exec_lo, exec_lo, s0
	s_and_saveexec_b32 s0, vcc_lo
	s_cbranch_execnz .LBB96_90
.LBB96_73:
	s_or_b32 exec_lo, exec_lo, s0
	s_and_saveexec_b32 s0, vcc_lo
	s_cbranch_execnz .LBB96_91
.LBB96_74:
	s_or_b32 exec_lo, exec_lo, s0
	s_and_saveexec_b32 s0, vcc_lo
	s_cbranch_execnz .LBB96_92
.LBB96_75:
	s_or_b32 exec_lo, exec_lo, s0
	s_and_saveexec_b32 s0, vcc_lo
	s_cbranch_execnz .LBB96_93
.LBB96_76:
	s_or_b32 exec_lo, exec_lo, s0
	s_and_saveexec_b32 s0, vcc_lo
	s_cbranch_execnz .LBB96_94
.LBB96_77:
	s_or_b32 exec_lo, exec_lo, s0
	s_and_saveexec_b32 s0, vcc_lo
	s_cbranch_execz .LBB96_79
.LBB96_78:
	ds_load_b32 v0, v0 offset:384
	s_waitcnt lgkmcnt(0)
	v_add_f32_e32 v1, v1, v0
.LBB96_79:
	s_or_b32 exec_lo, exec_lo, s0
.LBB96_80:
	s_delay_alu instid0(SALU_CYCLE_1)
	s_or_b32 exec_lo, exec_lo, s1
	s_barrier
	buffer_gl0_inv
	s_mov_b32 s0, exec_lo
	v_cmpx_eq_u32_e32 0, v11
	s_cbranch_execz .LBB96_82
; %bb.81:
	s_mul_i32 s0, s14, 0x70
	s_mul_i32 s2, s4, s20
	s_ashr_i32 s1, s0, 31
	v_lshlrev_b32_e32 v0, 1, v23
	s_lshl_b64 s[0:1], s[0:1], 1
	;;#ASMSTART
	v_cvt_f16_f32 v7, v7;

	;;#ASMEND
	s_add_u32 s4, s22, s0
	s_addc_u32 s5, s23, s1
	s_ashr_i32 s3, s2, 31
	s_delay_alu instid0(SALU_CYCLE_1) | instskip(SKIP_4) | instid1(SALU_CYCLE_1)
	s_lshl_b64 s[0:1], s[2:3], 1
	s_mul_i32 s2, s12, 0x70
	s_add_u32 s4, s4, s0
	s_addc_u32 s5, s5, s1
	s_ashr_i32 s3, s2, 31
	s_lshl_b64 s[0:1], s[2:3], 1
	s_delay_alu instid0(SALU_CYCLE_1)
	s_add_u32 s0, s4, s0
	s_addc_u32 s1, s5, s1
	global_store_b16 v0, v7, s[0:1]
	;;#ASMSTART
	v_cvt_f16_f32 v6, v6;

	;;#ASMEND
	global_store_b16 v0, v6, s[0:1] offset:32
	;;#ASMSTART
	v_cvt_f16_f32 v5, v5;

	;;#ASMEND
	global_store_b16 v0, v5, s[0:1] offset:64
	;; [unrolled: 5-line block ×6, first 2 shown]
.LBB96_82:
	s_nop 0
	s_sendmsg sendmsg(MSG_DEALLOC_VGPRS)
	s_endpgm
.LBB96_83:
	v_lshl_add_u32 v11, v8, 2, v9
	ds_load_b32 v11, v11
	s_waitcnt lgkmcnt(0)
	v_add_f32_e32 v7, v7, v11
	s_or_b32 exec_lo, exec_lo, s0
	s_and_saveexec_b32 s0, vcc_lo
	s_cbranch_execz .LBB96_61
.LBB96_84:
	v_lshl_add_u32 v11, v8, 2, v9
	ds_load_b32 v11, v11 offset:64
	s_waitcnt lgkmcnt(0)
	v_add_f32_e32 v6, v6, v11
	s_or_b32 exec_lo, exec_lo, s0
	s_and_saveexec_b32 s0, vcc_lo
	s_cbranch_execz .LBB96_62
.LBB96_85:
	v_lshl_add_u32 v11, v8, 2, v9
	ds_load_b32 v11, v11 offset:128
	s_waitcnt lgkmcnt(0)
	v_add_f32_e32 v5, v5, v11
	s_or_b32 exec_lo, exec_lo, s0
	s_and_saveexec_b32 s0, vcc_lo
	s_cbranch_execz .LBB96_63
.LBB96_86:
	v_lshl_add_u32 v11, v8, 2, v9
	ds_load_b32 v11, v11 offset:192
	s_waitcnt lgkmcnt(0)
	v_add_f32_e32 v4, v4, v11
	s_or_b32 exec_lo, exec_lo, s0
	s_and_saveexec_b32 s0, vcc_lo
	s_cbranch_execz .LBB96_64
.LBB96_87:
	v_lshl_add_u32 v11, v8, 2, v9
	ds_load_b32 v11, v11 offset:256
	s_waitcnt lgkmcnt(0)
	v_add_f32_e32 v3, v3, v11
	s_or_b32 exec_lo, exec_lo, s0
	s_and_saveexec_b32 s0, vcc_lo
	s_cbranch_execz .LBB96_65
.LBB96_88:
	v_lshl_add_u32 v11, v8, 2, v9
	ds_load_b32 v11, v11 offset:320
	s_waitcnt lgkmcnt(0)
	v_add_f32_e32 v2, v2, v11
	s_or_b32 exec_lo, exec_lo, s0
	s_and_saveexec_b32 s0, vcc_lo
	s_cbranch_execnz .LBB96_66
	s_branch .LBB96_67
.LBB96_89:
	ds_load_b32 v8, v0
	s_waitcnt lgkmcnt(0)
	v_add_f32_e32 v7, v7, v8
	s_or_b32 exec_lo, exec_lo, s0
	s_and_saveexec_b32 s0, vcc_lo
	s_cbranch_execz .LBB96_73
.LBB96_90:
	ds_load_b32 v8, v0 offset:64
	s_waitcnt lgkmcnt(0)
	v_add_f32_e32 v6, v6, v8
	s_or_b32 exec_lo, exec_lo, s0
	s_and_saveexec_b32 s0, vcc_lo
	s_cbranch_execz .LBB96_74
.LBB96_91:
	ds_load_b32 v8, v0 offset:128
	s_waitcnt lgkmcnt(0)
	v_add_f32_e32 v5, v5, v8
	s_or_b32 exec_lo, exec_lo, s0
	s_and_saveexec_b32 s0, vcc_lo
	s_cbranch_execz .LBB96_75
.LBB96_92:
	ds_load_b32 v8, v0 offset:192
	s_waitcnt lgkmcnt(0)
	v_add_f32_e32 v4, v4, v8
	s_or_b32 exec_lo, exec_lo, s0
	s_and_saveexec_b32 s0, vcc_lo
	s_cbranch_execz .LBB96_76
.LBB96_93:
	ds_load_b32 v8, v0 offset:256
	s_waitcnt lgkmcnt(0)
	v_add_f32_e32 v3, v3, v8
	s_or_b32 exec_lo, exec_lo, s0
	s_and_saveexec_b32 s0, vcc_lo
	s_cbranch_execz .LBB96_77
.LBB96_94:
	ds_load_b32 v8, v0 offset:320
	s_waitcnt lgkmcnt(0)
	v_add_f32_e32 v2, v2, v8
	s_or_b32 exec_lo, exec_lo, s0
	s_and_saveexec_b32 s0, vcc_lo
	s_cbranch_execnz .LBB96_78
	s_branch .LBB96_79
	.section	.rodata,"a",@progbits
	.p2align	6, 0x0
	.amdhsa_kernel _ZN4vllm25paged_attention_v2_kernelIttLi112ELi16ELi128ELNS_18Fp8KVCacheDataTypeE0ELb1ELi512EEEvPfS2_PT_PKS3_PKT0_S9_ifPKiSB_iPKfiiiSD_SD_iiiii
		.amdhsa_group_segment_fixed_size 256
		.amdhsa_private_segment_fixed_size 0
		.amdhsa_kernarg_size 400
		.amdhsa_user_sgpr_count 13
		.amdhsa_user_sgpr_dispatch_ptr 0
		.amdhsa_user_sgpr_queue_ptr 0
		.amdhsa_user_sgpr_kernarg_segment_ptr 1
		.amdhsa_user_sgpr_dispatch_id 0
		.amdhsa_user_sgpr_private_segment_size 0
		.amdhsa_wavefront_size32 1
		.amdhsa_uses_dynamic_stack 0
		.amdhsa_enable_private_segment 0
		.amdhsa_system_sgpr_workgroup_id_x 1
		.amdhsa_system_sgpr_workgroup_id_y 1
		.amdhsa_system_sgpr_workgroup_id_z 1
		.amdhsa_system_sgpr_workgroup_info 0
		.amdhsa_system_vgpr_workitem_id 0
		.amdhsa_next_free_vgpr 119
		.amdhsa_next_free_sgpr 45
		.amdhsa_reserve_vcc 1
		.amdhsa_float_round_mode_32 0
		.amdhsa_float_round_mode_16_64 0
		.amdhsa_float_denorm_mode_32 3
		.amdhsa_float_denorm_mode_16_64 3
		.amdhsa_dx10_clamp 1
		.amdhsa_ieee_mode 1
		.amdhsa_fp16_overflow 0
		.amdhsa_workgroup_processor_mode 1
		.amdhsa_memory_ordered 1
		.amdhsa_forward_progress 0
		.amdhsa_shared_vgpr_count 0
		.amdhsa_exception_fp_ieee_invalid_op 0
		.amdhsa_exception_fp_denorm_src 0
		.amdhsa_exception_fp_ieee_div_zero 0
		.amdhsa_exception_fp_ieee_overflow 0
		.amdhsa_exception_fp_ieee_underflow 0
		.amdhsa_exception_fp_ieee_inexact 0
		.amdhsa_exception_int_div_zero 0
	.end_amdhsa_kernel
	.section	.text._ZN4vllm25paged_attention_v2_kernelIttLi112ELi16ELi128ELNS_18Fp8KVCacheDataTypeE0ELb1ELi512EEEvPfS2_PT_PKS3_PKT0_S9_ifPKiSB_iPKfiiiSD_SD_iiiii,"axG",@progbits,_ZN4vllm25paged_attention_v2_kernelIttLi112ELi16ELi128ELNS_18Fp8KVCacheDataTypeE0ELb1ELi512EEEvPfS2_PT_PKS3_PKT0_S9_ifPKiSB_iPKfiiiSD_SD_iiiii,comdat
.Lfunc_end96:
	.size	_ZN4vllm25paged_attention_v2_kernelIttLi112ELi16ELi128ELNS_18Fp8KVCacheDataTypeE0ELb1ELi512EEEvPfS2_PT_PKS3_PKT0_S9_ifPKiSB_iPKfiiiSD_SD_iiiii, .Lfunc_end96-_ZN4vllm25paged_attention_v2_kernelIttLi112ELi16ELi128ELNS_18Fp8KVCacheDataTypeE0ELb1ELi512EEEvPfS2_PT_PKS3_PKT0_S9_ifPKiSB_iPKfiiiSD_SD_iiiii
                                        ; -- End function
	.section	.AMDGPU.csdata,"",@progbits
; Kernel info:
; codeLenInByte = 11592
; NumSgprs: 47
; NumVgprs: 119
; ScratchSize: 0
; MemoryBound: 0
; FloatMode: 240
; IeeeMode: 1
; LDSByteSize: 256 bytes/workgroup (compile time only)
; SGPRBlocks: 5
; VGPRBlocks: 14
; NumSGPRsForWavesPerEU: 47
; NumVGPRsForWavesPerEU: 119
; Occupancy: 12
; WaveLimiterHint : 1
; COMPUTE_PGM_RSRC2:SCRATCH_EN: 0
; COMPUTE_PGM_RSRC2:USER_SGPR: 13
; COMPUTE_PGM_RSRC2:TRAP_HANDLER: 0
; COMPUTE_PGM_RSRC2:TGID_X_EN: 1
; COMPUTE_PGM_RSRC2:TGID_Y_EN: 1
; COMPUTE_PGM_RSRC2:TGID_Z_EN: 1
; COMPUTE_PGM_RSRC2:TIDIG_COMP_CNT: 0
	.section	.text._ZN4vllm25paged_attention_v2_kernelIttLi120ELi16ELi128ELNS_18Fp8KVCacheDataTypeE0ELb1ELi512EEEvPfS2_PT_PKS3_PKT0_S9_ifPKiSB_iPKfiiiSD_SD_iiiii,"axG",@progbits,_ZN4vllm25paged_attention_v2_kernelIttLi120ELi16ELi128ELNS_18Fp8KVCacheDataTypeE0ELb1ELi512EEEvPfS2_PT_PKS3_PKT0_S9_ifPKiSB_iPKfiiiSD_SD_iiiii,comdat
	.protected	_ZN4vllm25paged_attention_v2_kernelIttLi120ELi16ELi128ELNS_18Fp8KVCacheDataTypeE0ELb1ELi512EEEvPfS2_PT_PKS3_PKT0_S9_ifPKiSB_iPKfiiiSD_SD_iiiii ; -- Begin function _ZN4vllm25paged_attention_v2_kernelIttLi120ELi16ELi128ELNS_18Fp8KVCacheDataTypeE0ELb1ELi512EEEvPfS2_PT_PKS3_PKT0_S9_ifPKiSB_iPKfiiiSD_SD_iiiii
	.globl	_ZN4vllm25paged_attention_v2_kernelIttLi120ELi16ELi128ELNS_18Fp8KVCacheDataTypeE0ELb1ELi512EEEvPfS2_PT_PKS3_PKT0_S9_ifPKiSB_iPKfiiiSD_SD_iiiii
	.p2align	8
	.type	_ZN4vllm25paged_attention_v2_kernelIttLi120ELi16ELi128ELNS_18Fp8KVCacheDataTypeE0ELb1ELi512EEEvPfS2_PT_PKS3_PKT0_S9_ifPKiSB_iPKfiiiSD_SD_iiiii,@function
_ZN4vllm25paged_attention_v2_kernelIttLi120ELi16ELi128ELNS_18Fp8KVCacheDataTypeE0ELb1ELi512EEEvPfS2_PT_PKS3_PKT0_S9_ifPKiSB_iPKfiiiSD_SD_iiiii: ; @_ZN4vllm25paged_attention_v2_kernelIttLi120ELi16ELi128ELNS_18Fp8KVCacheDataTypeE0ELb1ELi512EEEvPfS2_PT_PKS3_PKT0_S9_ifPKiSB_iPKfiiiSD_SD_iiiii
; %bb.0:
	s_load_b64 s[2:3], s[0:1], 0x40
	s_mov_b32 s12, s15
	s_ashr_i32 s15, s14, 31
	s_delay_alu instid0(SALU_CYCLE_1)
	s_lshl_b64 s[4:5], s[14:15], 2
	s_waitcnt lgkmcnt(0)
	s_add_u32 s2, s2, s4
	s_addc_u32 s3, s3, s5
	s_lshl_b32 s38, s12, 9
	s_load_b32 s15, s[2:3], 0x0
	s_waitcnt lgkmcnt(0)
	s_cmp_ge_i32 s38, s15
	s_cbranch_scc1 .LBB97_113
; %bb.1:
	s_mov_b32 s24, s13
	s_clause 0x1
	s_load_b32 s13, s[0:1], 0x90
	s_load_b64 s[36:37], s[0:1], 0x30
	s_mov_b32 s40, 0
	s_waitcnt lgkmcnt(0)
	s_abs_i32 s5, s13
	s_abs_i32 s2, s36
	s_delay_alu instid0(SALU_CYCLE_1) | instskip(SKIP_1) | instid1(VALU_DEP_1)
	v_cvt_f32_u32_e32 v1, s2
	s_sub_i32 s4, 0, s2
	v_rcp_iflag_f32_e32 v1, v1
	s_waitcnt_depctr 0xfff
	v_mul_f32_e32 v1, 0x4f7ffffe, v1
	s_delay_alu instid0(VALU_DEP_1) | instskip(NEXT) | instid1(VALU_DEP_1)
	v_cvt_u32_f32_e32 v1, v1
	v_readfirstlane_b32 s3, v1
	s_delay_alu instid0(VALU_DEP_1) | instskip(NEXT) | instid1(SALU_CYCLE_1)
	s_mul_i32 s4, s4, s3
	s_mul_hi_u32 s4, s3, s4
	s_delay_alu instid0(SALU_CYCLE_1) | instskip(SKIP_4) | instid1(SALU_CYCLE_1)
	s_add_i32 s3, s3, s4
	s_xor_b32 s4, s13, s36
	s_mul_hi_u32 s3, s5, s3
	s_ashr_i32 s4, s4, 31
	s_mul_i32 s6, s3, s2
	s_sub_i32 s5, s5, s6
	s_add_i32 s6, s3, 1
	s_sub_i32 s7, s5, s2
	s_cmp_ge_u32 s5, s2
	s_cselect_b32 s3, s6, s3
	s_cselect_b32 s5, s7, s5
	s_add_i32 s6, s3, 1
	s_cmp_ge_u32 s5, s2
	s_cselect_b32 s2, s6, s3
	s_abs_i32 s17, s24
	s_xor_b32 s2, s2, s4
	s_delay_alu instid0(SALU_CYCLE_1) | instskip(SKIP_2) | instid1(SALU_CYCLE_1)
	s_sub_i32 s8, s2, s4
	s_load_b64 s[2:3], s[0:1], 0x50
	s_abs_i32 s16, s8
	v_cvt_f32_u32_e32 v1, s16
	s_sub_i32 s5, 0, s16
	s_delay_alu instid0(VALU_DEP_1) | instskip(SKIP_2) | instid1(VALU_DEP_1)
	v_rcp_iflag_f32_e32 v1, v1
	s_waitcnt_depctr 0xfff
	v_mul_f32_e32 v1, 0x4f7ffffe, v1
	v_cvt_u32_f32_e32 v1, v1
	s_delay_alu instid0(VALU_DEP_1) | instskip(NEXT) | instid1(VALU_DEP_1)
	v_readfirstlane_b32 s4, v1
	s_mul_i32 s5, s5, s4
	s_delay_alu instid0(SALU_CYCLE_1) | instskip(NEXT) | instid1(SALU_CYCLE_1)
	s_mul_hi_u32 s5, s4, s5
	s_add_i32 s4, s4, s5
	s_waitcnt lgkmcnt(0)
	s_cmp_eq_u64 s[2:3], 0
	s_mul_hi_u32 s18, s17, s4
	s_cbranch_scc1 .LBB97_3
; %bb.2:
	s_ashr_i32 s25, s24, 31
	s_delay_alu instid0(SALU_CYCLE_1) | instskip(NEXT) | instid1(SALU_CYCLE_1)
	s_lshl_b64 s[4:5], s[24:25], 2
	s_add_u32 s2, s2, s4
	s_addc_u32 s3, s3, s5
	s_load_b32 s40, s[2:3], 0x0
.LBB97_3:
	s_load_b128 s[4:7], s[0:1], 0x58
	v_lshrrev_b32_e32 v27, 1, v0
	v_and_b32_e32 v28, 1, v0
	v_lshlrev_b32_e32 v31, 3, v0
	s_ashr_i32 s2, s24, 31
	s_ashr_i32 s3, s8, 31
	s_mul_i32 s20, s24, 0x78
	s_waitcnt lgkmcnt(0)
	s_mov_b32 s7, exec_lo
	v_cmpx_gt_u32_e32 30, v0
	s_cbranch_execz .LBB97_5
; %bb.4:
	s_load_b64 s[8:9], s[0:1], 0x18
	s_mul_i32 s10, s14, s4
	v_lshlrev_b32_e32 v3, 3, v27
	s_ashr_i32 s11, s10, 31
	s_delay_alu instid0(SALU_CYCLE_1) | instskip(NEXT) | instid1(VALU_DEP_1)
	s_lshl_b64 s[10:11], s[10:11], 1
	v_mad_u32_u24 v3, 0x78, v28, v3
	s_waitcnt lgkmcnt(0)
	s_add_u32 s4, s8, s10
	s_addc_u32 s10, s9, s11
	s_ashr_i32 s21, s20, 31
	s_delay_alu instid0(SALU_CYCLE_1) | instskip(NEXT) | instid1(SALU_CYCLE_1)
	s_lshl_b64 s[8:9], s[20:21], 1
	s_add_u32 s8, s4, s8
	s_addc_u32 s9, s10, s9
	global_load_b64 v[1:2], v31, s[8:9]
	s_waitcnt vmcnt(0)
	ds_store_b64 v3, v[1:2]
.LBB97_5:
	s_or_b32 exec_lo, exec_lo, s7
	s_load_b128 s[8:11], s[0:1], 0x78
	s_mul_i32 s4, s18, s16
	s_xor_b32 s2, s2, s3
	s_sub_i32 s3, s17, s4
	s_add_i32 s4, s18, 1
	s_sub_i32 s7, s3, s16
	s_cmp_ge_u32 s3, s16
	s_mov_b32 s17, -1
	s_cselect_b32 s4, s4, s18
	s_cselect_b32 s3, s7, s3
	s_add_i32 s7, s4, 1
	s_cmp_ge_u32 s3, s16
	s_waitcnt lgkmcnt(0)
	s_cselect_b32 s3, s7, s4
	s_load_b32 s4, s[0:1], 0x88
	s_xor_b32 s3, s3, s2
	s_add_i32 s16, s15, -1
	s_sub_i32 s3, s3, s2
	s_abs_i32 s7, s16
	s_waitcnt lgkmcnt(0)
	s_barrier
	s_abs_i32 s21, s11
	buffer_gl0_inv
	v_cvt_f32_u32_e32 v1, s21
	s_sub_i32 s2, 0, s21
                                        ; implicit-def: $sgpr33
	s_delay_alu instid0(VALU_DEP_1) | instskip(SKIP_2) | instid1(VALU_DEP_1)
	v_rcp_iflag_f32_e32 v1, v1
	s_waitcnt_depctr 0xfff
	v_mul_f32_e32 v1, 0x4f7ffffe, v1
	v_cvt_u32_f32_e32 v1, v1
	s_delay_alu instid0(VALU_DEP_1) | instskip(NEXT) | instid1(VALU_DEP_1)
	v_readfirstlane_b32 s25, v1
	s_mul_i32 s2, s2, s25
	s_delay_alu instid0(SALU_CYCLE_1) | instskip(NEXT) | instid1(SALU_CYCLE_1)
	s_mul_hi_u32 s2, s25, s2
	s_add_i32 s25, s25, s2
	s_cmp_lt_i32 s4, 0
	s_mul_hi_u32 s2, s7, s25
	s_cbranch_scc0 .LBB97_7
; %bb.6:
	s_mul_i32 s17, s8, s36
	s_delay_alu instid0(SALU_CYCLE_1) | instskip(NEXT) | instid1(SALU_CYCLE_1)
	s_add_i32 s17, s3, s17
	s_mul_i32 s17, s17, s4
	s_delay_alu instid0(SALU_CYCLE_1)
	s_sub_i32 s33, 1, s17
	s_mov_b32 s17, 0
.LBB97_7:
	s_load_b64 s[26:27], s[0:1], 0x38
	s_ashr_i32 s28, s16, 31
	s_and_not1_b32 vcc_lo, exec_lo, s17
	s_ashr_i32 s11, s11, 31
	s_cbranch_vccnz .LBB97_9
; %bb.8:
	s_mul_i32 s8, s13, s8
	s_delay_alu instid0(SALU_CYCLE_1) | instskip(NEXT) | instid1(SALU_CYCLE_1)
	s_add_i32 s8, s8, s24
	s_mul_i32 s4, s8, s4
	s_delay_alu instid0(SALU_CYCLE_1)
	s_add_i32 s33, s4, 1
.LBB97_9:
	s_clause 0x4
	s_load_b32 s8, s[0:1], 0x48
	s_load_b64 s[30:31], s[0:1], 0x28
	s_load_b32 s4, s[0:1], 0x98
	s_load_b128 s[16:19], s[0:1], 0x0
	s_load_b64 s[22:23], s[0:1], 0x10
	s_xor_b32 s34, s28, s11
	s_mul_i32 s28, s2, s21
	s_add_i32 s35, s2, 1
	s_sub_i32 s7, s7, s28
	v_lshrrev_b32_e32 v29, 5, v0
	v_mov_b32_e32 v33, 0xff7fffff
	v_mbcnt_lo_u32_b32 v32, -1, 0
	s_delay_alu instid0(VALU_DEP_3)
	v_lshl_add_u32 v30, v29, 4, s38
	s_waitcnt lgkmcnt(0)
	s_mul_i32 s28, s14, s8
	s_sub_i32 s8, s7, s21
	s_ashr_i32 s29, s28, 31
	s_cmp_ge_u32 s7, s21
	s_cselect_b32 s2, s35, s2
	s_cselect_b32 s7, s8, s7
	s_add_i32 s8, s2, 1
	s_cmp_ge_u32 s7, s21
	s_cselect_b32 s2, s8, s2
	s_add_i32 s8, s15, 15
	s_lshl_b32 s7, s12, 5
	s_ashr_i32 s35, s8, 31
	v_or_b32_e32 v5, s7, v29
	s_lshr_b32 s35, s35, 28
	s_xor_b32 s39, s2, s34
	s_add_i32 s8, s8, s35
	s_add_i32 s35, s7, 32
	s_ashr_i32 s36, s8, 4
	v_ashrrev_i32_e32 v6, 31, v5
	s_min_i32 s8, s35, s36
	s_sub_i32 s39, s39, s34
	v_cmp_le_i32_e64 s2, s8, v5
	s_mul_i32 s34, s3, s6
	s_mov_b32 s6, exec_lo
	v_cmpx_gt_i32_e64 s8, v5
	s_cbranch_execz .LBB97_19
; %bb.10:
	s_load_b64 s[0:1], s[0:1], 0x20
	s_ashr_i32 s35, s34, 31
	v_bfe_u32 v34, v0, 1, 4
	s_lshl_b64 s[42:43], s[34:35], 1
	s_sub_i32 s35, s39, s9
	v_mov_b32_e32 v44, v5
	v_dual_mov_b32 v37, 0xff7fffff :: v_dual_and_b32 v4, 8, v31
	v_lshlrev_b32_e32 v7, 2, v34
	v_subrev_nc_u32_e32 v8, s15, v34
	v_lshlrev_b32_e32 v9, 4, v34
	v_cmp_eq_u32_e32 vcc_lo, 0, v28
	v_mul_u32_u24_e32 v35, 0x78, v28
	v_lshl_or_b32 v7, v29, 6, v7
	v_add_nc_u32_e32 v39, 1, v8
	v_lshl_add_u32 v36, v29, 4, s38
	v_xor_b32_e32 v38, 1, v32
	v_mov_b32_e32 v33, 0xff7fffff
	v_add_nc_u32_e32 v40, 0x110, v7
	s_waitcnt lgkmcnt(0)
	s_add_u32 s3, s0, s42
	s_addc_u32 s1, s1, s43
	s_abs_i32 s41, s10
	v_add_co_u32 v8, s3, s3, v9
	v_cvt_f32_u32_e32 v1, s41
	s_sub_i32 s42, 0, s41
	v_add_co_ci_u32_e64 v9, null, s1, 0, s3
	v_cmp_neq_f32_e64 s0, s40, 0
	s_delay_alu instid0(VALU_DEP_3) | instskip(SKIP_3) | instid1(VALU_DEP_1)
	v_rcp_iflag_f32_e32 v3, v1
	v_lshlrev_b64 v[1:2], 2, v[5:6]
	s_waitcnt_depctr 0xfff
	v_mul_f32_e32 v3, 0x4f7ffffe, v3
	v_cvt_u32_f32_e32 v3, v3
	s_delay_alu instid0(VALU_DEP_1) | instskip(SKIP_1) | instid1(SALU_CYCLE_1)
	v_mul_lo_u32 v7, s42, v3
	s_lshl_b64 s[42:43], s[28:29], 2
	s_add_u32 s1, s26, s42
	s_addc_u32 s3, s27, s43
	v_add_co_u32 v1, s1, s1, v1
	s_delay_alu instid0(VALU_DEP_1) | instskip(NEXT) | instid1(VALU_DEP_3)
	v_add_co_ci_u32_e64 v2, s1, s3, v2, s1
	v_mul_hi_u32 v7, v3, v7
	v_add_co_u32 v41, s1, v8, v4
	s_delay_alu instid0(VALU_DEP_1) | instskip(SKIP_2) | instid1(VALU_DEP_3)
	v_add_co_ci_u32_e64 v42, s1, 0, v9, s1
	s_mov_b32 s42, 0
	s_mov_b32 s43, s5
	v_add_nc_u32_e32 v43, v3, v7
	s_branch .LBB97_13
.LBB97_11:                              ;   in Loop: Header=BB97_13 Depth=1
	s_or_b32 exec_lo, exec_lo, s44
.LBB97_12:                              ;   in Loop: Header=BB97_13 Depth=1
	s_delay_alu instid0(SALU_CYCLE_1) | instskip(SKIP_2) | instid1(VALU_DEP_1)
	s_or_b32 exec_lo, exec_lo, s3
	v_add_nc_u32_e32 v44, 4, v44
	v_add_co_u32 v1, s3, v1, 16
	v_add_co_ci_u32_e64 v2, s3, 0, v2, s3
	s_delay_alu instid0(VALU_DEP_3) | instskip(SKIP_2) | instid1(VALU_DEP_3)
	v_cmp_le_i32_e64 s1, s8, v44
	v_add_nc_u32_e32 v36, 64, v36
	v_add_nc_u32_e32 v40, 0x100, v40
	s_or_b32 s42, s1, s42
	s_delay_alu instid0(SALU_CYCLE_1)
	s_and_not1_b32 exec_lo, exec_lo, s42
	s_cbranch_execz .LBB97_18
.LBB97_13:                              ; =>This Inner Loop Header: Depth=1
	v_sub_nc_u32_e32 v3, 0, v36
	s_delay_alu instid0(VALU_DEP_1) | instskip(SKIP_1) | instid1(VALU_DEP_1)
	v_max_i32_e32 v3, v36, v3
	s_waitcnt lgkmcnt(0)
	v_mul_hi_u32 v4, v3, s25
	s_delay_alu instid0(VALU_DEP_1) | instskip(NEXT) | instid1(VALU_DEP_1)
	v_mul_lo_u32 v7, v4, s21
	v_sub_nc_u32_e32 v3, v3, v7
	v_add_nc_u32_e32 v7, 1, v4
	s_delay_alu instid0(VALU_DEP_2) | instskip(SKIP_1) | instid1(VALU_DEP_1)
	v_subrev_nc_u32_e32 v8, s21, v3
	v_cmp_le_u32_e64 s1, s21, v3
	v_cndmask_b32_e64 v4, v4, v7, s1
	s_delay_alu instid0(VALU_DEP_3) | instskip(SKIP_1) | instid1(VALU_DEP_3)
	v_cndmask_b32_e64 v3, v3, v8, s1
	v_ashrrev_i32_e32 v7, 31, v36
	v_add_nc_u32_e32 v8, 1, v4
	s_delay_alu instid0(VALU_DEP_3) | instskip(NEXT) | instid1(VALU_DEP_3)
	v_cmp_le_u32_e64 s1, s21, v3
	v_xor_b32_e32 v7, s11, v7
	s_delay_alu instid0(VALU_DEP_2) | instskip(NEXT) | instid1(VALU_DEP_1)
	v_cndmask_b32_e64 v3, v4, v8, s1
	v_xor_b32_e32 v3, v3, v7
	s_delay_alu instid0(VALU_DEP_1) | instskip(NEXT) | instid1(VALU_DEP_1)
	v_sub_nc_u32_e32 v3, v3, v7
	v_add_nc_u32_e32 v4, s33, v3
	v_cmp_ge_i32_e64 s3, s35, v3
	s_delay_alu instid0(VALU_DEP_2) | instskip(NEXT) | instid1(VALU_DEP_1)
	v_sub_nc_u32_e32 v7, 0, v4
	v_max_i32_e32 v7, v4, v7
	v_ashrrev_i32_e32 v4, 31, v4
	s_delay_alu instid0(VALU_DEP_2) | instskip(NEXT) | instid1(VALU_DEP_1)
	v_mul_hi_u32 v8, v7, v43
	v_mul_lo_u32 v8, v8, s41
	s_delay_alu instid0(VALU_DEP_1) | instskip(NEXT) | instid1(VALU_DEP_1)
	v_sub_nc_u32_e32 v7, v7, v8
	v_subrev_nc_u32_e32 v8, s41, v7
	v_cmp_le_u32_e64 s1, s41, v7
	s_delay_alu instid0(VALU_DEP_1) | instskip(NEXT) | instid1(VALU_DEP_1)
	v_cndmask_b32_e64 v7, v7, v8, s1
	v_subrev_nc_u32_e32 v8, s41, v7
	v_cmp_le_u32_e64 s1, s41, v7
	s_delay_alu instid0(VALU_DEP_1) | instskip(NEXT) | instid1(VALU_DEP_1)
	v_cndmask_b32_e64 v7, v7, v8, s1
	v_xor_b32_e32 v7, v7, v4
	s_delay_alu instid0(VALU_DEP_1) | instskip(NEXT) | instid1(VALU_DEP_1)
	v_sub_nc_u32_e32 v4, v7, v4
	v_cmp_ne_u32_e64 s1, 0, v4
	s_delay_alu instid0(VALU_DEP_1) | instskip(NEXT) | instid1(SALU_CYCLE_1)
	s_and_b32 s1, s1, s3
	s_and_b32 s44, vcc_lo, s1
	s_delay_alu instid0(SALU_CYCLE_1)
	s_and_saveexec_b32 s3, s44
	s_cbranch_execz .LBB97_15
; %bb.14:                               ;   in Loop: Header=BB97_13 Depth=1
	ds_store_b32 v40, v37
.LBB97_15:                              ;   in Loop: Header=BB97_13 Depth=1
	s_or_b32 exec_lo, exec_lo, s3
	s_xor_b32 s1, s1, -1
	s_delay_alu instid0(SALU_CYCLE_1)
	s_and_saveexec_b32 s3, s1
	s_cbranch_execz .LBB97_12
; %bb.16:                               ;   in Loop: Header=BB97_13 Depth=1
	global_load_b32 v7, v[1:2], off
	s_waitcnt vmcnt(0)
	v_mad_i64_i32 v[3:4], null, v7, s43, 0
	s_delay_alu instid0(VALU_DEP_1) | instskip(NEXT) | instid1(VALU_DEP_1)
	v_lshlrev_b64 v[3:4], 1, v[3:4]
	v_add_co_u32 v3, s1, v41, v3
	s_delay_alu instid0(VALU_DEP_1)
	v_add_co_ci_u32_e64 v4, s1, v42, v4, s1
	v_cmp_gt_i32_e64 s1, 32, v38
	s_clause 0x9
	global_load_b64 v[45:46], v[3:4], off
	global_load_b64 v[53:54], v[3:4], off offset:256
	global_load_b64 v[61:62], v[3:4], off offset:512
	;; [unrolled: 1-line block ×9, first 2 shown]
	ds_load_b64 v[7:8], v35
	s_waitcnt lgkmcnt(0)
	v_lshrrev_b32_e32 v47, 16, v7
	v_and_b32_e32 v48, 0xffff, v7
	v_lshrrev_b32_e32 v49, 16, v8
	v_and_b32_e32 v50, 0xffff, v8
	s_clause 0x4
	global_load_b64 v[13:14], v[3:4], off offset:2560
	global_load_b64 v[11:12], v[3:4], off offset:2816
	;; [unrolled: 1-line block ×5, first 2 shown]
	;;#ASMSTART
	v_cvt_f32_f16 v51, v48;
	;;#ASMEND
	s_waitcnt vmcnt(14)
	v_and_b32_e32 v48, 0xffff, v45
	v_lshrrev_b32_e32 v55, 16, v45
	v_lshrrev_b32_e32 v56, 16, v46
	;;#ASMSTART
	v_cvt_f32_f16 v45, v47;
	;;#ASMEND
	v_and_b32_e32 v57, 0xffff, v46
	;;#ASMSTART
	v_cvt_f32_f16 v52, v48;
	;;#ASMEND
	;;#ASMSTART
	v_cvt_f32_f16 v46, v55;
	;;#ASMEND
	;;#ASMSTART
	v_cvt_f32_f16 v47, v50;
	;;#ASMEND
	;;#ASMSTART
	v_cvt_f32_f16 v48, v49;
	;;#ASMEND
	;;#ASMSTART
	v_cvt_f32_f16 v49, v57;
	;;#ASMEND
	;;#ASMSTART
	v_cvt_f32_f16 v50, v56;
	;;#ASMEND
	ds_load_b64 v[55:56], v35 offset:8
	s_waitcnt vmcnt(13)
	v_lshrrev_b32_e32 v57, 16, v53
	v_and_b32_e32 v58, 0xffff, v53
	v_lshrrev_b32_e32 v60, 16, v54
	v_and_b32_e32 v59, 0xffff, v54
	s_waitcnt vmcnt(12)
	v_lshrrev_b32_e32 v65, 16, v61
	v_lshrrev_b32_e32 v68, 16, v62
	s_waitcnt vmcnt(11)
	v_lshrrev_b32_e32 v73, 16, v69
	v_lshrrev_b32_e32 v74, 16, v70
	;; [unrolled: 3-line block ×7, first 2 shown]
	s_waitcnt vmcnt(5)
	v_lshrrev_b32_e32 v109, 16, v17
	s_waitcnt lgkmcnt(0)
	v_and_b32_e32 v53, 0xffff, v55
	v_lshrrev_b32_e32 v55, 16, v55
	v_lshrrev_b32_e32 v63, 16, v56
	v_and_b32_e32 v64, 0xffff, v56
	;;#ASMSTART
	v_cvt_f32_f16 v53, v53;
	;;#ASMEND
	;;#ASMSTART
	v_cvt_f32_f16 v54, v55;
	;;#ASMEND
	;; [unrolled: 3-line block ×8, first 2 shown]
	ds_load_b64 v[63:64], v35 offset:16
	v_mul_f32_e32 v53, v53, v55
	v_dual_mul_f32 v55, v57, v59 :: v_dual_mul_f32 v54, v54, v56
	v_dual_mul_f32 v56, v58, v60 :: v_dual_and_b32 v69, 0xffff, v69
	s_delay_alu instid0(VALU_DEP_3) | instskip(NEXT) | instid1(VALU_DEP_3)
	v_fmac_f32_e32 v53, v51, v52
	v_fmac_f32_e32 v55, v47, v49
	v_and_b32_e32 v66, 0xffff, v61
	v_fmac_f32_e32 v54, v45, v46
	v_fmac_f32_e32 v56, v48, v50
	v_and_b32_e32 v67, 0xffff, v62
	v_lshrrev_b32_e32 v110, 16, v18
	s_waitcnt vmcnt(4)
	v_lshrrev_b32_e32 v115, 16, v13
	v_lshrrev_b32_e32 v116, 16, v14
	s_waitcnt vmcnt(3)
	v_lshrrev_b32_e32 v121, 16, v11
	s_waitcnt vmcnt(2)
	v_lshrrev_b32_e32 v123, 16, v9
	v_lshrrev_b32_e32 v122, 16, v12
	;; [unrolled: 1-line block ×3, first 2 shown]
	s_waitcnt vmcnt(1)
	v_lshrrev_b32_e32 v45, 16, v7
	s_waitcnt lgkmcnt(0)
	v_and_b32_e32 v61, 0xffff, v63
	v_lshrrev_b32_e32 v63, 16, v63
	v_lshrrev_b32_e32 v71, 16, v64
	;;#ASMSTART
	v_cvt_f32_f16 v62, v61;
	;;#ASMEND
	;;#ASMSTART
	v_cvt_f32_f16 v61, v63;
	;;#ASMEND
	;; [unrolled: 3-line block ×3, first 2 shown]
	v_dual_fmac_f32 v53, v62, v66 :: v_dual_and_b32 v64, 0xffff, v64
	;;#ASMSTART
	v_cvt_f32_f16 v63, v65;
	;;#ASMEND
	;;#ASMSTART
	v_cvt_f32_f16 v64, v64;
	;;#ASMEND
	;; [unrolled: 3-line block ×5, first 2 shown]
	ds_load_b64 v[71:72], v35 offset:24
	v_fmac_f32_e32 v54, v61, v63
	v_dual_fmac_f32 v55, v64, v67 :: v_dual_fmac_f32 v56, v65, v68
	s_waitcnt lgkmcnt(0)
	v_and_b32_e32 v75, 0xffff, v71
	v_lshrrev_b32_e32 v71, 16, v71
	v_lshrrev_b32_e32 v76, 16, v72
	v_and_b32_e32 v72, 0xffff, v72
	;;#ASMSTART
	v_cvt_f32_f16 v75, v75;
	;;#ASMEND
	;;#ASMSTART
	v_cvt_f32_f16 v71, v71;
	;;#ASMEND
	;; [unrolled: 3-line block ×3, first 2 shown]
	v_dual_fmac_f32 v53, v75, v77 :: v_dual_and_b32 v70, 0xffff, v70
	;;#ASMSTART
	v_cvt_f32_f16 v73, v73;
	;;#ASMEND
	;;#ASMSTART
	v_cvt_f32_f16 v72, v72;
	;;#ASMEND
	;; [unrolled: 3-line block ×5, first 2 shown]
	ds_load_b64 v[69:70], v35 offset:32
	v_fmac_f32_e32 v54, v71, v73
	v_dual_fmac_f32 v56, v76, v74 :: v_dual_and_b32 v25, 0xffff, v25
	v_dual_fmac_f32 v55, v72, v78 :: v_dual_and_b32 v24, 0xffff, v24
	s_waitcnt lgkmcnt(0)
	v_and_b32_e32 v81, 0xffff, v69
	v_lshrrev_b32_e32 v69, 16, v69
	v_lshrrev_b32_e32 v82, 16, v70
	v_and_b32_e32 v70, 0xffff, v70
	;;#ASMSTART
	v_cvt_f32_f16 v81, v81;
	;;#ASMEND
	;;#ASMSTART
	v_cvt_f32_f16 v69, v69;
	;;#ASMEND
	;; [unrolled: 3-line block ×5, first 2 shown]
	v_and_b32_e32 v26, 0xffff, v26
	;;#ASMSTART
	v_cvt_f32_f16 v82, v82;
	;;#ASMEND
	;;#ASMSTART
	v_cvt_f32_f16 v84, v26;
	;;#ASMEND
	v_fmac_f32_e32 v55, v70, v84
	;;#ASMSTART
	v_cvt_f32_f16 v80, v80;
	;;#ASMEND
	ds_load_b64 v[25:26], v35 offset:40
	v_dual_fmac_f32 v56, v82, v80 :: v_dual_and_b32 v23, 0xffff, v23
	v_fmac_f32_e32 v53, v81, v83
	s_waitcnt lgkmcnt(0)
	v_dual_fmac_f32 v54, v69, v79 :: v_dual_and_b32 v87, 0xffff, v25
	v_lshrrev_b32_e32 v25, 16, v25
	v_lshrrev_b32_e32 v88, 16, v26
	v_and_b32_e32 v26, 0xffff, v26
	;;#ASMSTART
	v_cvt_f32_f16 v87, v87;
	;;#ASMEND
	;;#ASMSTART
	v_cvt_f32_f16 v25, v25;
	;;#ASMEND
	;; [unrolled: 3-line block ×8, first 2 shown]
	ds_load_b64 v[23:24], v35 offset:48
	v_fmac_f32_e32 v53, v87, v89
	v_dual_fmac_f32 v54, v25, v85 :: v_dual_fmac_f32 v55, v26, v90
	s_waitcnt lgkmcnt(0)
	v_dual_fmac_f32 v56, v88, v86 :: v_dual_and_b32 v93, 0xffff, v23
	v_lshrrev_b32_e32 v23, 16, v23
	v_lshrrev_b32_e32 v94, 16, v24
	v_and_b32_e32 v24, 0xffff, v24
	;;#ASMSTART
	v_cvt_f32_f16 v93, v93;
	;;#ASMEND
	;;#ASMSTART
	v_cvt_f32_f16 v23, v23;
	;;#ASMEND
	v_and_b32_e32 v21, 0xffff, v21
	;;#ASMSTART
	v_cvt_f32_f16 v95, v21;
	;;#ASMEND
	v_dual_fmac_f32 v53, v93, v95 :: v_dual_and_b32 v22, 0xffff, v22
	;;#ASMSTART
	v_cvt_f32_f16 v91, v91;
	;;#ASMEND
	;;#ASMSTART
	v_cvt_f32_f16 v24, v24;
	;;#ASMEND
	;;#ASMSTART
	v_cvt_f32_f16 v94, v94;
	;;#ASMEND
	;;#ASMSTART
	v_cvt_f32_f16 v96, v22;
	;;#ASMEND
	;;#ASMSTART
	v_cvt_f32_f16 v92, v92;
	;;#ASMEND
	ds_load_b64 v[21:22], v35 offset:56
	v_dual_fmac_f32 v56, v94, v92 :: v_dual_and_b32 v19, 0xffff, v19
	v_dual_fmac_f32 v55, v24, v96 :: v_dual_fmac_f32 v54, v23, v91
	v_lshrrev_b32_e32 v23, 16, v8
	s_waitcnt lgkmcnt(0)
	v_and_b32_e32 v99, 0xffff, v21
	v_lshrrev_b32_e32 v21, 16, v21
	v_lshrrev_b32_e32 v100, 16, v22
	;;#ASMSTART
	v_cvt_f32_f16 v99, v99;
	;;#ASMEND
	;;#ASMSTART
	v_cvt_f32_f16 v21, v21;
	;;#ASMEND
	;; [unrolled: 3-line block ×3, first 2 shown]
	v_dual_fmac_f32 v53, v99, v101 :: v_dual_and_b32 v22, 0xffff, v22
	;;#ASMSTART
	v_cvt_f32_f16 v97, v97;
	;;#ASMEND
	;;#ASMSTART
	v_cvt_f32_f16 v22, v22;
	;;#ASMEND
	v_and_b32_e32 v20, 0xffff, v20
	;;#ASMSTART
	v_cvt_f32_f16 v100, v100;
	;;#ASMEND
	;;#ASMSTART
	v_cvt_f32_f16 v102, v20;
	;;#ASMEND
	v_fmac_f32_e32 v55, v22, v102
	;;#ASMSTART
	v_cvt_f32_f16 v98, v98;
	;;#ASMEND
	ds_load_b64 v[19:20], v35 offset:64
	v_dual_fmac_f32 v56, v100, v98 :: v_dual_and_b32 v15, 0xffff, v15
	s_waitcnt lgkmcnt(0)
	v_dual_fmac_f32 v54, v21, v97 :: v_dual_and_b32 v105, 0xffff, v19
	v_lshrrev_b32_e32 v19, 16, v19
	v_lshrrev_b32_e32 v106, 16, v20
	v_and_b32_e32 v20, 0xffff, v20
	;;#ASMSTART
	v_cvt_f32_f16 v105, v105;
	;;#ASMEND
	;;#ASMSTART
	v_cvt_f32_f16 v19, v19;
	;;#ASMEND
	;; [unrolled: 3-line block ×3, first 2 shown]
	v_dual_fmac_f32 v53, v105, v107 :: v_dual_and_b32 v16, 0xffff, v16
	;;#ASMSTART
	v_cvt_f32_f16 v103, v103;
	;;#ASMEND
	;;#ASMSTART
	v_cvt_f32_f16 v20, v20;
	;;#ASMEND
	;; [unrolled: 3-line block ×5, first 2 shown]
	ds_load_b64 v[15:16], v35 offset:72
	v_dual_fmac_f32 v54, v19, v103 :: v_dual_and_b32 v17, 0xffff, v17
	v_dual_fmac_f32 v55, v20, v108 :: v_dual_and_b32 v18, 0xffff, v18
	v_fmac_f32_e32 v56, v106, v104
	s_waitcnt vmcnt(0)
	v_lshrrev_b32_e32 v19, 16, v3
	s_waitcnt lgkmcnt(0)
	v_and_b32_e32 v111, 0xffff, v15
	v_lshrrev_b32_e32 v15, 16, v15
	v_lshrrev_b32_e32 v112, 16, v16
	;;#ASMSTART
	v_cvt_f32_f16 v111, v111;
	;;#ASMEND
	;;#ASMSTART
	v_cvt_f32_f16 v113, v15;
	;;#ASMEND
	;; [unrolled: 3-line block ×3, first 2 shown]
	v_dual_fmac_f32 v53, v111, v17 :: v_dual_and_b32 v16, 0xffff, v16
	;;#ASMSTART
	v_cvt_f32_f16 v109, v109;
	;;#ASMEND
	;;#ASMSTART
	v_cvt_f32_f16 v114, v16;
	;;#ASMEND
	;;#ASMSTART
	v_cvt_f32_f16 v112, v112;
	;;#ASMEND
	;;#ASMSTART
	v_cvt_f32_f16 v18, v18;
	;;#ASMEND
	;;#ASMSTART
	v_cvt_f32_f16 v110, v110;
	;;#ASMEND
	ds_load_b64 v[15:16], v35 offset:80
	v_dual_fmac_f32 v56, v112, v110 :: v_dual_and_b32 v13, 0xffff, v13
	v_dual_fmac_f32 v55, v114, v18 :: v_dual_fmac_f32 v54, v113, v109
	s_waitcnt lgkmcnt(0)
	v_and_b32_e32 v117, 0xffff, v15
	v_lshrrev_b32_e32 v15, 16, v15
	v_lshrrev_b32_e32 v118, 16, v16
	;;#ASMSTART
	v_cvt_f32_f16 v117, v117;
	;;#ASMEND
	;;#ASMSTART
	v_cvt_f32_f16 v15, v15;
	;;#ASMEND
	;; [unrolled: 3-line block ×3, first 2 shown]
	v_dual_fmac_f32 v53, v117, v119 :: v_dual_and_b32 v16, 0xffff, v16
	;;#ASMSTART
	v_cvt_f32_f16 v115, v115;
	;;#ASMEND
	;;#ASMSTART
	v_cvt_f32_f16 v16, v16;
	;;#ASMEND
	v_and_b32_e32 v14, 0xffff, v14
	;;#ASMSTART
	v_cvt_f32_f16 v118, v118;
	;;#ASMEND
	;;#ASMSTART
	v_cvt_f32_f16 v120, v14;
	;;#ASMEND
	v_fmac_f32_e32 v55, v16, v120
	;;#ASMSTART
	v_cvt_f32_f16 v116, v116;
	;;#ASMEND
	ds_load_b64 v[13:14], v35 offset:88
	v_dual_fmac_f32 v56, v118, v116 :: v_dual_and_b32 v9, 0xffff, v9
	s_waitcnt lgkmcnt(0)
	v_dual_fmac_f32 v54, v15, v115 :: v_dual_and_b32 v57, 0xffff, v13
	v_lshrrev_b32_e32 v13, 16, v13
	v_lshrrev_b32_e32 v51, 16, v14
	;;#ASMSTART
	v_cvt_f32_f16 v52, v57;
	;;#ASMEND
	;;#ASMSTART
	v_cvt_f32_f16 v13, v13;
	;;#ASMEND
	v_and_b32_e32 v11, 0xffff, v11
	;;#ASMSTART
	v_cvt_f32_f16 v57, v11;
	;;#ASMEND
	v_dual_fmac_f32 v53, v52, v57 :: v_dual_and_b32 v14, 0xffff, v14
	;;#ASMSTART
	v_cvt_f32_f16 v58, v121;
	;;#ASMEND
	;;#ASMSTART
	v_cvt_f32_f16 v14, v14;
	;;#ASMEND
	v_and_b32_e32 v12, 0xffff, v12
	;;#ASMSTART
	v_cvt_f32_f16 v51, v51;
	;;#ASMEND
	;;#ASMSTART
	v_cvt_f32_f16 v59, v12;
	;;#ASMEND
	v_fmac_f32_e32 v55, v14, v59
	;;#ASMSTART
	v_cvt_f32_f16 v60, v122;
	;;#ASMEND
	ds_load_b64 v[11:12], v35 offset:96
	v_fmac_f32_e32 v54, v13, v58
	v_fmac_f32_e32 v56, v51, v60
	v_lshrrev_b32_e32 v13, 16, v4
	s_waitcnt lgkmcnt(0)
	v_and_b32_e32 v46, 0xffff, v11
	v_lshrrev_b32_e32 v11, 16, v11
	v_lshrrev_b32_e32 v25, 16, v12
	v_and_b32_e32 v12, 0xffff, v12
	;;#ASMSTART
	v_cvt_f32_f16 v46, v46;
	;;#ASMEND
	;;#ASMSTART
	v_cvt_f32_f16 v11, v11;
	;;#ASMEND
	;; [unrolled: 3-line block ×5, first 2 shown]
	v_and_b32_e32 v10, 0xffff, v10
	;;#ASMSTART
	v_cvt_f32_f16 v25, v25;
	;;#ASMEND
	;;#ASMSTART
	v_cvt_f32_f16 v49, v10;
	;;#ASMEND
	v_fmac_f32_e32 v55, v12, v49
	;;#ASMSTART
	v_cvt_f32_f16 v50, v124;
	;;#ASMEND
	ds_load_b64 v[9:10], v35 offset:104
	v_fmac_f32_e32 v53, v46, v47
	v_dual_fmac_f32 v54, v11, v48 :: v_dual_and_b32 v7, 0xffff, v7
	s_waitcnt lgkmcnt(0)
	v_dual_fmac_f32 v56, v25, v50 :: v_dual_and_b32 v17, 0xffff, v9
	v_lshrrev_b32_e32 v9, 16, v9
	v_lshrrev_b32_e32 v18, 16, v10
	v_and_b32_e32 v10, 0xffff, v10
	;;#ASMSTART
	v_cvt_f32_f16 v17, v17;
	;;#ASMEND
	;;#ASMSTART
	v_cvt_f32_f16 v9, v9;
	;;#ASMEND
	;; [unrolled: 3-line block ×3, first 2 shown]
	v_fmac_f32_e32 v53, v17, v20
	v_and_b32_e32 v8, 0xffff, v8
	;;#ASMSTART
	v_cvt_f32_f16 v21, v45;
	;;#ASMEND
	;;#ASMSTART
	v_cvt_f32_f16 v10, v10;
	;;#ASMEND
	;; [unrolled: 3-line block ×5, first 2 shown]
	ds_load_b64 v[7:8], v35 offset:112
	v_dual_fmac_f32 v54, v9, v21 :: v_dual_and_b32 v3, 0xffff, v3
	v_fmac_f32_e32 v56, v18, v23
	v_fmac_f32_e32 v55, v10, v22
	s_waitcnt lgkmcnt(0)
	v_and_b32_e32 v9, 0xffff, v7
	v_lshrrev_b32_e32 v7, 16, v7
	;;#ASMSTART
	v_cvt_f32_f16 v9, v9;
	;;#ASMEND
	;;#ASMSTART
	v_cvt_f32_f16 v7, v7;
	;;#ASMEND
	;; [unrolled: 3-line block ×4, first 2 shown]
	v_fmac_f32_e32 v53, v9, v3
	v_fmac_f32_e32 v54, v7, v11
	v_and_b32_e32 v4, 0xffff, v4
	v_lshrrev_b32_e32 v10, 16, v8
	v_and_b32_e32 v8, 0xffff, v8
	;;#ASMSTART
	v_cvt_f32_f16 v3, v8;
	;;#ASMEND
	;;#ASMSTART
	v_cvt_f32_f16 v7, v10;
	;;#ASMEND
	;; [unrolled: 3-line block ×3, first 2 shown]
	v_fmac_f32_e32 v55, v3, v4
	v_add_f32_e32 v3, v53, v54
	;;#ASMSTART
	v_cvt_f32_f16 v4, v13;
	;;#ASMEND
	v_fmac_f32_e32 v56, v7, v4
	v_cndmask_b32_e64 v4, v32, v38, s1
	s_delay_alu instid0(VALU_DEP_1) | instskip(NEXT) | instid1(VALU_DEP_1)
	v_dual_add_f32 v3, v3, v55 :: v_dual_lshlrev_b32 v4, 2, v4
	v_add_f32_e32 v3, v56, v3
	ds_bpermute_b32 v4, v4, v3
	s_and_saveexec_b32 s44, vcc_lo
	s_cbranch_execz .LBB97_11
; %bb.17:                               ;   in Loop: Header=BB97_13 Depth=1
	s_waitcnt lgkmcnt(0)
	v_add_f32_e32 v3, v3, v4
	v_add_nc_u32_e32 v7, v39, v36
	s_delay_alu instid0(VALU_DEP_1) | instskip(NEXT) | instid1(VALU_DEP_1)
	v_cvt_f32_i32_e32 v7, v7
	v_mul_f32_e32 v7, s40, v7
	s_delay_alu instid0(VALU_DEP_1) | instskip(NEXT) | instid1(VALU_DEP_1)
	v_cndmask_b32_e64 v4, 0, v7, s0
	v_dual_max_f32 v7, v33, v33 :: v_dual_fmac_f32 v4, s37, v3
	v_add_nc_u32_e32 v3, v34, v36
	s_delay_alu instid0(VALU_DEP_2) | instskip(NEXT) | instid1(VALU_DEP_2)
	v_max_f32_e32 v7, v7, v4
	v_cmp_gt_i32_e64 s1, s15, v3
	s_delay_alu instid0(VALU_DEP_1) | instskip(NEXT) | instid1(VALU_DEP_3)
	v_cndmask_b32_e64 v3, 0, v4, s1
	v_cndmask_b32_e64 v33, v33, v7, s1
	ds_store_b32 v40, v3
	s_branch .LBB97_11
.LBB97_18:
	s_or_b32 exec_lo, exec_lo, s42
.LBB97_19:
	s_delay_alu instid0(SALU_CYCLE_1) | instskip(SKIP_3) | instid1(VALU_DEP_3)
	s_or_b32 exec_lo, exec_lo, s6
	v_xor_b32_e32 v1, 16, v32
	v_xor_b32_e32 v2, 8, v32
	v_lshlrev_b32_e32 v10, 2, v29
	v_cmp_gt_i32_e32 vcc_lo, 32, v1
	v_cndmask_b32_e32 v1, v32, v1, vcc_lo
	s_delay_alu instid0(VALU_DEP_4) | instskip(SKIP_1) | instid1(VALU_DEP_1)
	v_cmp_gt_i32_e32 vcc_lo, 32, v2
	v_dual_max_f32 v3, v33, v33 :: v_dual_cndmask_b32 v2, v32, v2
	v_lshlrev_b32_e32 v8, 2, v2
	s_waitcnt lgkmcnt(0)
	v_lshlrev_b32_e32 v4, 2, v1
	ds_bpermute_b32 v1, v4, v33
	s_waitcnt lgkmcnt(0)
	v_max_f32_e32 v1, v1, v1
	s_delay_alu instid0(VALU_DEP_1)
	v_max_f32_e32 v1, v3, v1
	v_xor_b32_e32 v3, 4, v32
	ds_bpermute_b32 v2, v8, v1
	v_cmp_gt_i32_e32 vcc_lo, 32, v3
	s_waitcnt lgkmcnt(0)
	v_dual_cndmask_b32 v3, v32, v3 :: v_dual_max_f32 v2, v2, v2
	s_delay_alu instid0(VALU_DEP_1) | instskip(NEXT) | instid1(VALU_DEP_2)
	v_max_f32_e32 v1, v1, v2
	v_lshlrev_b32_e32 v9, 2, v3
	v_xor_b32_e32 v3, 2, v32
	ds_bpermute_b32 v2, v9, v1
	v_cmp_gt_i32_e32 vcc_lo, 32, v3
	v_cndmask_b32_e32 v3, v32, v3, vcc_lo
	s_waitcnt lgkmcnt(0)
	s_delay_alu instid0(VALU_DEP_1) | instskip(NEXT) | instid1(VALU_DEP_1)
	v_dual_max_f32 v2, v2, v2 :: v_dual_lshlrev_b32 v3, 2, v3
	v_dual_max_f32 v2, v1, v2 :: v_dual_and_b32 v1, 31, v0
	ds_bpermute_b32 v7, v3, v2
	v_cmp_eq_u32_e32 vcc_lo, 0, v1
	s_and_saveexec_b32 s0, vcc_lo
	s_cbranch_execz .LBB97_21
; %bb.20:
	s_waitcnt lgkmcnt(0)
	v_dual_max_f32 v7, v7, v7 :: v_dual_max_f32 v2, v2, v2
	s_delay_alu instid0(VALU_DEP_1)
	v_max_f32_e32 v2, v2, v7
	ds_store_b32 v10, v2 offset:240
.LBB97_21:
	s_or_b32 exec_lo, exec_lo, s0
	v_cmp_gt_u32_e64 s0, 4, v1
	v_mov_b32_e32 v2, 0xff7fffff
	v_lshlrev_b32_e32 v12, 2, v1
	s_waitcnt lgkmcnt(0)
	s_barrier
	buffer_gl0_inv
	s_and_saveexec_b32 s1, s0
	s_cbranch_execz .LBB97_23
; %bb.22:
	ds_load_b32 v2, v12 offset:240
.LBB97_23:
	s_or_b32 exec_lo, exec_lo, s1
	s_waitcnt lgkmcnt(0)
	ds_bpermute_b32 v7, v3, v2
	v_xor_b32_e32 v11, 1, v32
	v_dual_max_f32 v2, v2, v2 :: v_dual_mov_b32 v13, 0
	s_delay_alu instid0(VALU_DEP_2) | instskip(NEXT) | instid1(VALU_DEP_1)
	v_cmp_gt_i32_e64 s1, 32, v11
	v_cndmask_b32_e64 v11, v32, v11, s1
	s_sub_i32 s1, s8, s7
	s_delay_alu instid0(SALU_CYCLE_1) | instskip(NEXT) | instid1(VALU_DEP_1)
	s_lshl_b32 s1, s1, 4
	v_lshlrev_b32_e32 v11, 2, v11
	s_add_i32 s1, s1, s38
	s_delay_alu instid0(SALU_CYCLE_1) | instskip(SKIP_3) | instid1(SALU_CYCLE_1)
	s_min_i32 s1, s1, s15
	s_waitcnt lgkmcnt(0)
	v_max_f32_e32 v7, v7, v7
	s_sub_i32 s6, s1, s38
	v_cmp_gt_i32_e64 s1, s6, v0
	s_delay_alu instid0(VALU_DEP_2) | instskip(SKIP_3) | instid1(VALU_DEP_1)
	v_max_f32_e32 v2, v2, v7
	ds_bpermute_b32 v7, v11, v2
	s_waitcnt lgkmcnt(0)
	v_max_f32_e32 v7, v7, v7
	v_max_f32_e32 v2, v2, v7
	v_lshl_add_u32 v7, v0, 2, 0x110
	ds_bpermute_b32 v2, v13, v2
	s_and_saveexec_b32 s7, s1
	s_cbranch_execz .LBB97_27
; %bb.24:
	v_lshl_add_u32 v14, v0, 2, 0x110
	v_mov_b32_e32 v13, 0
	v_mov_b32_e32 v15, v0
	s_mov_b32 s35, 0
	.p2align	6
.LBB97_25:                              ; =>This Inner Loop Header: Depth=1
	ds_load_b32 v16, v14
	v_add_nc_u32_e32 v15, 0x80, v15
	s_delay_alu instid0(VALU_DEP_1) | instskip(NEXT) | instid1(VALU_DEP_1)
	v_cmp_le_i32_e64 s3, s6, v15
	s_or_b32 s35, s3, s35
	s_waitcnt lgkmcnt(0)
	v_sub_f32_e32 v16, v16, v2
	s_delay_alu instid0(VALU_DEP_1) | instskip(NEXT) | instid1(VALU_DEP_1)
	v_mul_f32_e32 v16, 0x3fb8aa3b, v16
	v_exp_f32_e32 v16, v16
	ds_store_b32 v14, v16
	v_dual_add_f32 v13, v13, v16 :: v_dual_add_nc_u32 v14, 0x200, v14
	s_and_not1_b32 exec_lo, exec_lo, s35
	s_cbranch_execnz .LBB97_25
; %bb.26:
	s_or_b32 exec_lo, exec_lo, s35
.LBB97_27:
	s_delay_alu instid0(SALU_CYCLE_1)
	s_or_b32 exec_lo, exec_lo, s7
	ds_bpermute_b32 v4, v4, v13
	s_waitcnt lgkmcnt(0)
	v_add_f32_e32 v4, v13, v4
	ds_bpermute_b32 v8, v8, v4
	s_waitcnt lgkmcnt(0)
	v_add_f32_e32 v4, v4, v8
	;; [unrolled: 3-line block ×5, first 2 shown]
	s_and_saveexec_b32 s3, vcc_lo
	s_cbranch_execz .LBB97_29
; %bb.28:
	ds_store_b32 v10, v4 offset:256
.LBB97_29:
	s_or_b32 exec_lo, exec_lo, s3
	s_waitcnt lgkmcnt(0)
	s_barrier
	buffer_gl0_inv
	s_and_saveexec_b32 s3, s0
	s_cbranch_execz .LBB97_31
; %bb.30:
	ds_load_b32 v4, v12 offset:256
.LBB97_31:
	s_or_b32 exec_lo, exec_lo, s3
	s_waitcnt lgkmcnt(0)
	ds_bpermute_b32 v3, v3, v4
	s_waitcnt lgkmcnt(0)
	v_add_f32_e32 v3, v4, v3
	ds_bpermute_b32 v4, v11, v3
	s_waitcnt lgkmcnt(0)
	v_dual_add_f32 v3, v3, v4 :: v_dual_mov_b32 v4, 0
	ds_bpermute_b32 v3, v4, v3
	s_and_saveexec_b32 s0, s1
	s_cbranch_execz .LBB97_34
; %bb.32:
	s_waitcnt lgkmcnt(0)
	v_add_f32_e32 v4, 0x358637bd, v3
	s_mov_b32 s1, 0
	s_delay_alu instid0(VALU_DEP_1) | instskip(NEXT) | instid1(VALU_DEP_1)
	v_div_scale_f32 v8, null, v4, v4, 1.0
	v_rcp_f32_e32 v9, v8
	s_waitcnt_depctr 0xfff
	v_fma_f32 v10, -v8, v9, 1.0
	s_delay_alu instid0(VALU_DEP_1) | instskip(SKIP_1) | instid1(VALU_DEP_1)
	v_fmac_f32_e32 v9, v10, v9
	v_div_scale_f32 v12, vcc_lo, 1.0, v4, 1.0
	v_mul_f32_e32 v10, v12, v9
	s_delay_alu instid0(VALU_DEP_1) | instskip(NEXT) | instid1(VALU_DEP_1)
	v_fma_f32 v13, -v8, v10, v12
	v_fmac_f32_e32 v10, v13, v9
	s_delay_alu instid0(VALU_DEP_1) | instskip(NEXT) | instid1(VALU_DEP_1)
	v_fma_f32 v8, -v8, v10, v12
	v_div_fmas_f32 v8, v8, v9, v10
	s_delay_alu instid0(VALU_DEP_1)
	v_div_fixup_f32 v4, v8, v4, 1.0
	v_mov_b32_e32 v8, v0
.LBB97_33:                              ; =>This Inner Loop Header: Depth=1
	ds_load_b32 v9, v7
	s_waitcnt lgkmcnt(0)
	v_dual_mul_f32 v9, v4, v9 :: v_dual_add_nc_u32 v8, 0x80, v8
	s_delay_alu instid0(VALU_DEP_1) | instskip(SKIP_3) | instid1(SALU_CYCLE_1)
	v_cmp_le_i32_e32 vcc_lo, s6, v8
	ds_store_b32 v7, v9
	v_add_nc_u32_e32 v7, 0x200, v7
	s_or_b32 s1, vcc_lo, s1
	s_and_not1_b32 exec_lo, exec_lo, s1
	s_cbranch_execnz .LBB97_33
.LBB97_34:
	s_or_b32 exec_lo, exec_lo, s0
	s_mul_i32 s0, s4, s14
	s_waitcnt lgkmcnt(0)
	s_mul_i32 s6, s0, s13
	s_mov_b32 s0, exec_lo
	s_barrier
	buffer_gl0_inv
	v_cmpx_eq_u32_e32 0, v0
	s_cbranch_execz .LBB97_36
; %bb.35:
	s_ashr_i32 s7, s6, 31
	s_mul_i32 s42, s4, s24
	s_lshl_b64 s[40:41], s[6:7], 2
	v_mov_b32_e32 v4, 0
	s_add_u32 s1, s18, s40
	s_addc_u32 s3, s19, s41
	s_ashr_i32 s43, s42, 31
	s_delay_alu instid0(SALU_CYCLE_1) | instskip(NEXT) | instid1(SALU_CYCLE_1)
	s_lshl_b64 s[18:19], s[42:43], 2
	s_add_u32 s1, s1, s18
	s_addc_u32 s3, s3, s19
	s_ashr_i32 s13, s12, 31
	s_delay_alu instid0(SALU_CYCLE_1) | instskip(NEXT) | instid1(SALU_CYCLE_1)
	s_lshl_b64 s[42:43], s[12:13], 2
	s_add_u32 s44, s1, s42
	s_addc_u32 s45, s3, s43
	s_add_u32 s1, s16, s40
	s_addc_u32 s3, s17, s41
	;; [unrolled: 2-line block ×4, first 2 shown]
	s_clause 0x1
	global_store_b32 v4, v2, s[44:45]
	global_store_b32 v4, v3, s[16:17]
.LBB97_36:
	s_or_b32 exec_lo, exec_lo, s0
	v_lshrrev_b32_e32 v10, 1, v1
                                        ; implicit-def: $sgpr0
	s_and_saveexec_b32 s1, s2
	s_delay_alu instid0(SALU_CYCLE_1)
	s_xor_b32 s1, exec_lo, s1
; %bb.37:
	v_lshrrev_b32_e32 v10, 1, v1
	s_mov_b32 s0, 0
                                        ; implicit-def: $vgpr30
                                        ; implicit-def: $vgpr5
                                        ; implicit-def: $vgpr31
; %bb.38:
	s_or_saveexec_b32 s2, s1
	v_dual_mov_b32 v19, s0 :: v_dual_mov_b32 v14, s0
	v_dual_mov_b32 v13, s0 :: v_dual_mov_b32 v16, s0
	;; [unrolled: 1-line block ×4, first 2 shown]
	s_xor_b32 exec_lo, exec_lo, s2
	s_cbranch_execz .LBB97_62
; %bb.39:
	s_ashr_i32 s35, s34, 31
	s_sub_i32 s3, s39, s9
	s_lshl_b64 s[0:1], s[34:35], 1
	v_dual_mov_b32 v17, 0 :: v_dual_and_b32 v20, 8, v31
	s_add_u32 s7, s30, s0
	s_addc_u32 s9, s31, s1
	s_abs_i32 s10, s10
	v_or_b32_e32 v4, 0x70, v10
	v_cvt_f32_u32_e32 v1, s10
	s_sub_i32 s0, 0, s10
	s_add_i32 s36, s36, -1
	v_mov_b32_e32 v15, 0
	v_lshl_or_b32 v8, v10, 4, v20
	v_rcp_iflag_f32_e32 v3, v1
	v_mov_b32_e32 v12, 0
	v_lshlrev_b64 v[1:2], 2, v[5:6]
	v_lshlrev_b32_e32 v6, 5, v28
	v_cmp_gt_u32_e32 vcc_lo, 0x78, v4
	v_lshl_or_b32 v4, v4, 4, v20
	v_dual_mov_b32 v18, 0 :: v_dual_mov_b32 v13, 0
	s_delay_alu instid0(VALU_DEP_4) | instskip(NEXT) | instid1(TRANS32_DEP_1)
	v_lshl_or_b32 v6, v29, 6, v6
	v_dual_mov_b32 v16, 0 :: v_dual_mul_f32 v3, 0x4f7ffffe, v3
	s_delay_alu instid0(VALU_DEP_4) | instskip(NEXT) | instid1(VALU_DEP_3)
	v_dual_mov_b32 v14, 0 :: v_dual_lshlrev_b32 v23, 1, v4
	v_add_nc_u32_e32 v21, 0x110, v6
	v_dual_mov_b32 v19, 0 :: v_dual_lshlrev_b32 v22, 1, v8
	s_delay_alu instid0(VALU_DEP_4)
	v_cvt_u32_f32_e32 v3, v3
	s_mov_b32 s13, 0
	s_mov_b32 s14, s15
	;; [unrolled: 1-line block ×4, first 2 shown]
	v_mul_lo_u32 v7, s0, v3
	s_lshl_b64 s[0:1], s[28:29], 2
	s_mov_b32 s18, s15
	s_add_u32 s0, s26, s0
	s_addc_u32 s1, s27, s1
	v_add_co_u32 v6, s0, s0, v1
	s_mov_b32 s19, s15
	s_delay_alu instid0(VALU_DEP_2) | instskip(SKIP_3) | instid1(VALU_DEP_2)
	v_mul_hi_u32 v9, v3, v7
	v_add_co_ci_u32_e64 v7, s0, s1, v2, s0
	s_mov_b32 s24, s15
	s_mov_b32 s26, s15
	v_add_nc_u32_e32 v24, v3, v9
	s_branch .LBB97_43
.LBB97_40:                              ;   in Loop: Header=BB97_43 Depth=1
	s_or_b32 exec_lo, exec_lo, s1
	s_waitcnt vmcnt(0)
	;;#ASMSTART
	v_pk_mul_f16 v1, v37, v1;

	;;#ASMEND
	;;#ASMSTART
	v_pk_mul_f16 v2, v36, v2;

	;;#ASMEND
	;; [unrolled: 4-line block ×4, first 2 shown]
	;;#ASMSTART
	v_pk_add_f16 v1, v1, v2;

	;;#ASMEND
	;;#ASMSTART
	v_pk_add_f16 v1, v1, v3;

	;;#ASMEND
	;; [unrolled: 4-line block ×3, first 2 shown]
	v_and_b32_e32 v2, 0xffff, v1
	v_lshrrev_b32_e32 v1, 16, v1
	;;#ASMSTART
	v_cvt_f32_f16 v2, v2;
	;;#ASMEND
	;;#ASMSTART
	v_cvt_f32_f16 v1, v1;
	;;#ASMEND
	s_delay_alu instid0(VALU_DEP_1) | instskip(NEXT) | instid1(VALU_DEP_1)
	v_add_f32_e32 v1, v2, v1
	v_add_f32_e32 v19, v19, v1
.LBB97_41:                              ;   in Loop: Header=BB97_43 Depth=1
	s_or_b32 exec_lo, exec_lo, s28
	v_dual_add_f32 v1, v32, v33 :: v_dual_add_f32 v2, v38, v39
	v_dual_add_f32 v3, v40, v41 :: v_dual_add_f32 v4, v42, v43
	v_add_f32_e32 v8, v8, v9
	s_delay_alu instid0(VALU_DEP_3) | instskip(NEXT) | instid1(VALU_DEP_4)
	v_add_f32_e32 v12, v12, v1
	v_dual_add_f32 v18, v18, v2 :: v_dual_add_f32 v1, v44, v45
	s_delay_alu instid0(VALU_DEP_3) | instskip(SKIP_1) | instid1(VALU_DEP_2)
	v_dual_add_f32 v2, v46, v47 :: v_dual_add_f32 v13, v13, v8
	v_dual_add_f32 v17, v17, v3 :: v_dual_add_f32 v16, v16, v4
	;; [unrolled: 1-line block ×3, first 2 shown]
.LBB97_42:                              ;   in Loop: Header=BB97_43 Depth=1
	s_or_b32 exec_lo, exec_lo, s27
	v_add_nc_u32_e32 v5, 4, v5
	v_add_co_u32 v6, s1, v6, 16
	s_delay_alu instid0(VALU_DEP_1) | instskip(NEXT) | instid1(VALU_DEP_3)
	v_add_co_ci_u32_e64 v7, s1, 0, v7, s1
	v_cmp_le_i32_e64 s0, s8, v5
	v_add_nc_u32_e32 v30, 64, v30
	v_add_nc_u32_e32 v21, 0x100, v21
	s_delay_alu instid0(VALU_DEP_3) | instskip(NEXT) | instid1(SALU_CYCLE_1)
	s_or_b32 s13, s0, s13
	s_and_not1_b32 exec_lo, exec_lo, s13
	s_cbranch_execz .LBB97_61
.LBB97_43:                              ; =>This Inner Loop Header: Depth=1
	v_sub_nc_u32_e32 v1, 0, v30
	s_delay_alu instid0(VALU_DEP_1) | instskip(NEXT) | instid1(VALU_DEP_1)
	v_max_i32_e32 v1, v30, v1
	v_mul_hi_u32 v2, v1, s25
	s_delay_alu instid0(VALU_DEP_1) | instskip(NEXT) | instid1(VALU_DEP_1)
	v_mul_lo_u32 v3, v2, s21
	v_sub_nc_u32_e32 v1, v1, v3
	v_add_nc_u32_e32 v3, 1, v2
	s_delay_alu instid0(VALU_DEP_2) | instskip(SKIP_1) | instid1(VALU_DEP_1)
	v_subrev_nc_u32_e32 v4, s21, v1
	v_cmp_le_u32_e64 s0, s21, v1
	v_cndmask_b32_e64 v2, v2, v3, s0
	s_delay_alu instid0(VALU_DEP_3) | instskip(SKIP_1) | instid1(VALU_DEP_3)
	v_cndmask_b32_e64 v1, v1, v4, s0
	v_ashrrev_i32_e32 v3, 31, v30
	v_add_nc_u32_e32 v4, 1, v2
	s_delay_alu instid0(VALU_DEP_3) | instskip(NEXT) | instid1(VALU_DEP_3)
	v_cmp_le_u32_e64 s0, s21, v1
	v_xor_b32_e32 v3, s11, v3
	s_delay_alu instid0(VALU_DEP_2) | instskip(NEXT) | instid1(VALU_DEP_1)
	v_cndmask_b32_e64 v1, v2, v4, s0
	v_xor_b32_e32 v1, v1, v3
	s_delay_alu instid0(VALU_DEP_1) | instskip(NEXT) | instid1(VALU_DEP_1)
	v_sub_nc_u32_e32 v1, v1, v3
	v_add_nc_u32_e32 v2, s33, v1
	v_cmp_lt_i32_e64 s1, s3, v1
	s_delay_alu instid0(VALU_DEP_2) | instskip(NEXT) | instid1(VALU_DEP_1)
	v_sub_nc_u32_e32 v3, 0, v2
	v_max_i32_e32 v3, v2, v3
	v_ashrrev_i32_e32 v2, 31, v2
	s_delay_alu instid0(VALU_DEP_2) | instskip(NEXT) | instid1(VALU_DEP_1)
	v_mul_hi_u32 v4, v3, v24
	v_mul_lo_u32 v4, v4, s10
	s_delay_alu instid0(VALU_DEP_1) | instskip(NEXT) | instid1(VALU_DEP_1)
	v_sub_nc_u32_e32 v3, v3, v4
	v_subrev_nc_u32_e32 v4, s10, v3
	v_cmp_le_u32_e64 s0, s10, v3
	s_delay_alu instid0(VALU_DEP_1) | instskip(NEXT) | instid1(VALU_DEP_1)
	v_cndmask_b32_e64 v3, v3, v4, s0
	v_subrev_nc_u32_e32 v4, s10, v3
	v_cmp_le_u32_e64 s0, s10, v3
	s_delay_alu instid0(VALU_DEP_1) | instskip(NEXT) | instid1(VALU_DEP_1)
	v_cndmask_b32_e64 v3, v3, v4, s0
	v_xor_b32_e32 v3, v3, v2
	s_delay_alu instid0(VALU_DEP_1) | instskip(NEXT) | instid1(VALU_DEP_1)
	v_sub_nc_u32_e32 v2, v3, v2
	v_cmp_eq_u32_e64 s0, 0, v2
	s_delay_alu instid0(VALU_DEP_1) | instskip(NEXT) | instid1(SALU_CYCLE_1)
	s_or_b32 s0, s0, s1
	s_and_saveexec_b32 s27, s0
	s_cbranch_execz .LBB97_42
; %bb.44:                               ;   in Loop: Header=BB97_43 Depth=1
	global_load_b32 v25, v[6:7], off
	ds_load_2addr_b64 v[1:4], v21 offset1:1
	ds_load_2addr_b64 v[37:40], v21 offset0:2 offset1:3
	s_waitcnt lgkmcnt(1)
	;;#ASMSTART
	v_cvt_f16_f32 v34, v1;

	;;#ASMEND
	;;#ASMSTART
	v_cvt_f16_f32 v32, v2;

	;;#ASMEND
	;; [unrolled: 4-line block ×4, first 2 shown]
	s_waitcnt lgkmcnt(0)
	;;#ASMSTART
	v_cvt_f16_f32 v36, v37;

	;;#ASMEND
	;;#ASMSTART
	v_cvt_f16_f32 v38, v38;

	;;#ASMEND
	;; [unrolled: 4-line block ×4, first 2 shown]
	s_waitcnt vmcnt(0)
	v_mad_i64_i32 v[8:9], null, v25, s5, 0
	v_add_nc_u32_e32 v25, v20, v30
	s_delay_alu instid0(VALU_DEP_2) | instskip(NEXT) | instid1(VALU_DEP_1)
	v_lshlrev_b64 v[8:9], 1, v[8:9]
	v_add_co_u32 v26, s0, s7, v8
	s_delay_alu instid0(VALU_DEP_1) | instskip(NEXT) | instid1(VALU_DEP_2)
	v_add_co_ci_u32_e64 v31, s0, s9, v9, s0
	v_add_co_u32 v8, s0, v26, v22
	s_delay_alu instid0(VALU_DEP_1)
	v_add_co_ci_u32_e64 v9, s0, 0, v31, s0
	v_cmp_eq_u32_e64 s0, s36, v5
	global_load_b128 v[1:4], v[8:9], off
	s_and_saveexec_b32 s28, s0
	s_cbranch_execz .LBB97_46
; %bb.45:                               ;   in Loop: Header=BB97_43 Depth=1
	v_or_b32_e32 v44, 7, v25
	s_waitcnt vmcnt(0)
	v_lshrrev_b32_e32 v45, 16, v4
	v_or_b32_e32 v46, 6, v25
	v_or_b32_e32 v43, 5, v25
	;; [unrolled: 1-line block ×3, first 2 shown]
	v_cmp_gt_i32_e64 s1, s26, v44
	v_lshrrev_b32_e32 v48, 16, v3
	v_or_b32_e32 v41, 3, v25
	v_or_b32_e32 v42, 2, v25
	v_add_nc_u32_e32 v40, 1, v25
	v_cndmask_b32_e64 v44, 0, v45, s1
	v_cmp_gt_i32_e64 s1, s24, v46
	v_lshrrev_b32_e32 v45, 16, v2
	v_lshrrev_b32_e32 v46, 16, v1
	s_delay_alu instid0(VALU_DEP_3) | instskip(SKIP_1) | instid1(VALU_DEP_2)
	v_cndmask_b32_e64 v4, 0, v4, s1
	v_cmp_gt_i32_e64 s1, s19, v43
	v_perm_b32 v4, v44, v4, 0x5040100
	s_delay_alu instid0(VALU_DEP_2) | instskip(SKIP_1) | instid1(VALU_DEP_1)
	v_cndmask_b32_e64 v43, 0, v48, s1
	v_cmp_gt_i32_e64 s1, s18, v47
	v_cndmask_b32_e64 v3, 0, v3, s1
	v_cmp_gt_i32_e64 s1, s17, v41
	s_delay_alu instid0(VALU_DEP_2) | instskip(NEXT) | instid1(VALU_DEP_2)
	v_perm_b32 v3, v43, v3, 0x5040100
	v_cndmask_b32_e64 v41, 0, v45, s1
	v_cmp_gt_i32_e64 s1, s16, v42
	s_delay_alu instid0(VALU_DEP_1) | instskip(SKIP_1) | instid1(VALU_DEP_2)
	v_cndmask_b32_e64 v2, 0, v2, s1
	v_cmp_gt_i32_e64 s1, s14, v40
	v_perm_b32 v2, v41, v2, 0x5040100
	s_delay_alu instid0(VALU_DEP_2) | instskip(SKIP_1) | instid1(VALU_DEP_1)
	v_cndmask_b32_e64 v40, 0, v46, s1
	v_cmp_gt_i32_e64 s1, s15, v25
	v_cndmask_b32_e64 v1, 0, v1, s1
	s_delay_alu instid0(VALU_DEP_1)
	v_perm_b32 v1, v40, v1, 0x5040100
.LBB97_46:                              ;   in Loop: Header=BB97_43 Depth=1
	s_or_b32 exec_lo, exec_lo, s28
	v_and_b32_e32 v34, 0xffff, v34
	v_and_b32_e32 v35, 0xffff, v35
	;; [unrolled: 1-line block ×4, first 2 shown]
	s_delay_alu instid0(VALU_DEP_4)
	v_lshl_or_b32 v37, v32, 16, v34
	s_waitcnt vmcnt(0)
	;;#ASMSTART
	v_pk_mul_f16 v1, v37, v1;

	;;#ASMEND
	v_lshl_or_b32 v36, v33, 16, v35
	v_lshl_or_b32 v35, v38, 16, v40
	;; [unrolled: 1-line block ×3, first 2 shown]
	;;#ASMSTART
	v_pk_mul_f16 v2, v36, v2;

	;;#ASMEND
	;;#ASMSTART
	v_pk_mul_f16 v3, v35, v3;

	;;#ASMEND
	;; [unrolled: 4-line block ×3, first 2 shown]
	;;#ASMSTART
	v_pk_add_f16 v1, v1, v2;

	;;#ASMEND
	;;#ASMSTART
	v_pk_add_f16 v1, v1, v3;

	;;#ASMEND
	;; [unrolled: 4-line block ×3, first 2 shown]
	v_and_b32_e32 v2, 0xffff, v1
	v_lshrrev_b32_e32 v1, 16, v1
	;;#ASMSTART
	v_cvt_f32_f16 v32, v2;
	;;#ASMEND
	;;#ASMSTART
	v_cvt_f32_f16 v33, v1;
	;;#ASMEND
	global_load_b128 v[1:4], v[8:9], off offset:512
	s_and_saveexec_b32 s28, s0
	s_cbranch_execz .LBB97_48
; %bb.47:                               ;   in Loop: Header=BB97_43 Depth=1
	v_or_b32_e32 v42, 7, v25
	s_waitcnt vmcnt(0)
	v_lshrrev_b32_e32 v43, 16, v4
	v_or_b32_e32 v44, 6, v25
	v_or_b32_e32 v41, 5, v25
	;; [unrolled: 1-line block ×3, first 2 shown]
	v_cmp_gt_i32_e64 s1, s26, v42
	v_lshrrev_b32_e32 v46, 16, v3
	v_or_b32_e32 v39, 3, v25
	v_or_b32_e32 v40, 2, v25
	v_add_nc_u32_e32 v38, 1, v25
	v_cndmask_b32_e64 v42, 0, v43, s1
	v_cmp_gt_i32_e64 s1, s24, v44
	v_lshrrev_b32_e32 v43, 16, v2
	v_lshrrev_b32_e32 v44, 16, v1
	s_delay_alu instid0(VALU_DEP_3) | instskip(SKIP_1) | instid1(VALU_DEP_2)
	v_cndmask_b32_e64 v4, 0, v4, s1
	v_cmp_gt_i32_e64 s1, s19, v41
	v_perm_b32 v4, v42, v4, 0x5040100
	s_delay_alu instid0(VALU_DEP_2) | instskip(SKIP_1) | instid1(VALU_DEP_1)
	v_cndmask_b32_e64 v41, 0, v46, s1
	v_cmp_gt_i32_e64 s1, s18, v45
	v_cndmask_b32_e64 v3, 0, v3, s1
	v_cmp_gt_i32_e64 s1, s17, v39
	s_delay_alu instid0(VALU_DEP_2) | instskip(NEXT) | instid1(VALU_DEP_2)
	v_perm_b32 v3, v41, v3, 0x5040100
	v_cndmask_b32_e64 v39, 0, v43, s1
	v_cmp_gt_i32_e64 s1, s16, v40
	s_delay_alu instid0(VALU_DEP_1) | instskip(SKIP_1) | instid1(VALU_DEP_2)
	v_cndmask_b32_e64 v2, 0, v2, s1
	v_cmp_gt_i32_e64 s1, s14, v38
	v_perm_b32 v2, v39, v2, 0x5040100
	s_delay_alu instid0(VALU_DEP_2) | instskip(SKIP_1) | instid1(VALU_DEP_1)
	v_cndmask_b32_e64 v38, 0, v44, s1
	v_cmp_gt_i32_e64 s1, s15, v25
	v_cndmask_b32_e64 v1, 0, v1, s1
	s_delay_alu instid0(VALU_DEP_1)
	v_perm_b32 v1, v38, v1, 0x5040100
.LBB97_48:                              ;   in Loop: Header=BB97_43 Depth=1
	s_or_b32 exec_lo, exec_lo, s28
	s_waitcnt vmcnt(0)
	;;#ASMSTART
	v_pk_mul_f16 v1, v37, v1;

	;;#ASMEND
	;;#ASMSTART
	v_pk_mul_f16 v2, v36, v2;

	;;#ASMEND
	;;#ASMSTART
	v_pk_mul_f16 v3, v35, v3;

	;;#ASMEND
	;;#ASMSTART
	v_pk_mul_f16 v4, v34, v4;

	;;#ASMEND
	;;#ASMSTART
	v_pk_add_f16 v1, v1, v2;

	;;#ASMEND
	;;#ASMSTART
	v_pk_add_f16 v1, v1, v3;

	;;#ASMEND
	;; [unrolled: 4-line block ×3, first 2 shown]
	v_and_b32_e32 v2, 0xffff, v1
	v_lshrrev_b32_e32 v1, 16, v1
	;;#ASMSTART
	v_cvt_f32_f16 v38, v2;
	;;#ASMEND
	;;#ASMSTART
	v_cvt_f32_f16 v39, v1;
	;;#ASMEND
	global_load_b128 v[1:4], v[8:9], off offset:1024
	s_and_saveexec_b32 s28, s0
	s_cbranch_execz .LBB97_50
; %bb.49:                               ;   in Loop: Header=BB97_43 Depth=1
	v_or_b32_e32 v44, 7, v25
	s_waitcnt vmcnt(0)
	v_lshrrev_b32_e32 v45, 16, v4
	v_or_b32_e32 v46, 6, v25
	v_or_b32_e32 v43, 5, v25
	;; [unrolled: 1-line block ×3, first 2 shown]
	v_cmp_gt_i32_e64 s1, s26, v44
	v_lshrrev_b32_e32 v48, 16, v3
	v_or_b32_e32 v41, 3, v25
	v_or_b32_e32 v42, 2, v25
	v_add_nc_u32_e32 v40, 1, v25
	v_cndmask_b32_e64 v44, 0, v45, s1
	v_cmp_gt_i32_e64 s1, s24, v46
	v_lshrrev_b32_e32 v45, 16, v2
	v_lshrrev_b32_e32 v46, 16, v1
	s_delay_alu instid0(VALU_DEP_3) | instskip(SKIP_1) | instid1(VALU_DEP_2)
	v_cndmask_b32_e64 v4, 0, v4, s1
	v_cmp_gt_i32_e64 s1, s19, v43
	v_perm_b32 v4, v44, v4, 0x5040100
	s_delay_alu instid0(VALU_DEP_2) | instskip(SKIP_1) | instid1(VALU_DEP_1)
	v_cndmask_b32_e64 v43, 0, v48, s1
	v_cmp_gt_i32_e64 s1, s18, v47
	v_cndmask_b32_e64 v3, 0, v3, s1
	v_cmp_gt_i32_e64 s1, s17, v41
	s_delay_alu instid0(VALU_DEP_2) | instskip(NEXT) | instid1(VALU_DEP_2)
	v_perm_b32 v3, v43, v3, 0x5040100
	v_cndmask_b32_e64 v41, 0, v45, s1
	v_cmp_gt_i32_e64 s1, s16, v42
	s_delay_alu instid0(VALU_DEP_1) | instskip(SKIP_1) | instid1(VALU_DEP_2)
	v_cndmask_b32_e64 v2, 0, v2, s1
	v_cmp_gt_i32_e64 s1, s14, v40
	v_perm_b32 v2, v41, v2, 0x5040100
	s_delay_alu instid0(VALU_DEP_2) | instskip(SKIP_1) | instid1(VALU_DEP_1)
	v_cndmask_b32_e64 v40, 0, v46, s1
	v_cmp_gt_i32_e64 s1, s15, v25
	v_cndmask_b32_e64 v1, 0, v1, s1
	s_delay_alu instid0(VALU_DEP_1)
	v_perm_b32 v1, v40, v1, 0x5040100
.LBB97_50:                              ;   in Loop: Header=BB97_43 Depth=1
	s_or_b32 exec_lo, exec_lo, s28
	s_waitcnt vmcnt(0)
	;;#ASMSTART
	v_pk_mul_f16 v1, v37, v1;

	;;#ASMEND
	;;#ASMSTART
	v_pk_mul_f16 v2, v36, v2;

	;;#ASMEND
	;; [unrolled: 4-line block ×4, first 2 shown]
	;;#ASMSTART
	v_pk_add_f16 v1, v1, v2;

	;;#ASMEND
	;;#ASMSTART
	v_pk_add_f16 v1, v1, v3;

	;;#ASMEND
	;; [unrolled: 4-line block ×3, first 2 shown]
	v_and_b32_e32 v2, 0xffff, v1
	v_lshrrev_b32_e32 v1, 16, v1
	;;#ASMSTART
	v_cvt_f32_f16 v40, v2;
	;;#ASMEND
	;;#ASMSTART
	v_cvt_f32_f16 v41, v1;
	;;#ASMEND
	global_load_b128 v[1:4], v[8:9], off offset:1536
	s_and_saveexec_b32 s28, s0
	s_cbranch_execz .LBB97_52
; %bb.51:                               ;   in Loop: Header=BB97_43 Depth=1
	v_or_b32_e32 v46, 7, v25
	s_waitcnt vmcnt(0)
	v_lshrrev_b32_e32 v47, 16, v4
	v_or_b32_e32 v48, 6, v25
	v_or_b32_e32 v45, 5, v25
	;; [unrolled: 1-line block ×3, first 2 shown]
	v_cmp_gt_i32_e64 s1, s26, v46
	v_lshrrev_b32_e32 v50, 16, v3
	v_or_b32_e32 v43, 3, v25
	v_or_b32_e32 v44, 2, v25
	v_add_nc_u32_e32 v42, 1, v25
	v_cndmask_b32_e64 v46, 0, v47, s1
	v_cmp_gt_i32_e64 s1, s24, v48
	v_lshrrev_b32_e32 v47, 16, v2
	v_lshrrev_b32_e32 v48, 16, v1
	s_delay_alu instid0(VALU_DEP_3) | instskip(SKIP_1) | instid1(VALU_DEP_2)
	v_cndmask_b32_e64 v4, 0, v4, s1
	v_cmp_gt_i32_e64 s1, s19, v45
	v_perm_b32 v4, v46, v4, 0x5040100
	s_delay_alu instid0(VALU_DEP_2) | instskip(SKIP_1) | instid1(VALU_DEP_1)
	v_cndmask_b32_e64 v45, 0, v50, s1
	v_cmp_gt_i32_e64 s1, s18, v49
	v_cndmask_b32_e64 v3, 0, v3, s1
	v_cmp_gt_i32_e64 s1, s17, v43
	s_delay_alu instid0(VALU_DEP_2) | instskip(NEXT) | instid1(VALU_DEP_2)
	v_perm_b32 v3, v45, v3, 0x5040100
	v_cndmask_b32_e64 v43, 0, v47, s1
	v_cmp_gt_i32_e64 s1, s16, v44
	s_delay_alu instid0(VALU_DEP_1) | instskip(SKIP_1) | instid1(VALU_DEP_2)
	v_cndmask_b32_e64 v2, 0, v2, s1
	v_cmp_gt_i32_e64 s1, s14, v42
	v_perm_b32 v2, v43, v2, 0x5040100
	s_delay_alu instid0(VALU_DEP_2) | instskip(SKIP_1) | instid1(VALU_DEP_1)
	v_cndmask_b32_e64 v42, 0, v48, s1
	v_cmp_gt_i32_e64 s1, s15, v25
	v_cndmask_b32_e64 v1, 0, v1, s1
	s_delay_alu instid0(VALU_DEP_1)
	v_perm_b32 v1, v42, v1, 0x5040100
.LBB97_52:                              ;   in Loop: Header=BB97_43 Depth=1
	s_or_b32 exec_lo, exec_lo, s28
	s_waitcnt vmcnt(0)
	;;#ASMSTART
	v_pk_mul_f16 v1, v37, v1;

	;;#ASMEND
	;;#ASMSTART
	v_pk_mul_f16 v2, v36, v2;

	;;#ASMEND
	;; [unrolled: 4-line block ×4, first 2 shown]
	;;#ASMSTART
	v_pk_add_f16 v1, v1, v2;

	;;#ASMEND
	;;#ASMSTART
	v_pk_add_f16 v1, v1, v3;

	;;#ASMEND
	;; [unrolled: 4-line block ×3, first 2 shown]
	v_and_b32_e32 v2, 0xffff, v1
	v_lshrrev_b32_e32 v1, 16, v1
	;;#ASMSTART
	v_cvt_f32_f16 v42, v2;
	;;#ASMEND
	;;#ASMSTART
	v_cvt_f32_f16 v43, v1;
	;;#ASMEND
	global_load_b128 v[1:4], v[8:9], off offset:2048
	s_and_saveexec_b32 s28, s0
	s_cbranch_execz .LBB97_54
; %bb.53:                               ;   in Loop: Header=BB97_43 Depth=1
	v_or_b32_e32 v48, 7, v25
	s_waitcnt vmcnt(0)
	v_lshrrev_b32_e32 v49, 16, v4
	v_or_b32_e32 v50, 6, v25
	v_or_b32_e32 v47, 5, v25
	;; [unrolled: 1-line block ×3, first 2 shown]
	v_cmp_gt_i32_e64 s1, s26, v48
	v_lshrrev_b32_e32 v52, 16, v3
	v_or_b32_e32 v45, 3, v25
	v_or_b32_e32 v46, 2, v25
	v_add_nc_u32_e32 v44, 1, v25
	v_cndmask_b32_e64 v48, 0, v49, s1
	v_cmp_gt_i32_e64 s1, s24, v50
	v_lshrrev_b32_e32 v49, 16, v2
	v_lshrrev_b32_e32 v50, 16, v1
	s_delay_alu instid0(VALU_DEP_3) | instskip(SKIP_1) | instid1(VALU_DEP_2)
	v_cndmask_b32_e64 v4, 0, v4, s1
	v_cmp_gt_i32_e64 s1, s19, v47
	v_perm_b32 v4, v48, v4, 0x5040100
	s_delay_alu instid0(VALU_DEP_2) | instskip(SKIP_1) | instid1(VALU_DEP_1)
	v_cndmask_b32_e64 v47, 0, v52, s1
	v_cmp_gt_i32_e64 s1, s18, v51
	v_cndmask_b32_e64 v3, 0, v3, s1
	v_cmp_gt_i32_e64 s1, s17, v45
	s_delay_alu instid0(VALU_DEP_2) | instskip(NEXT) | instid1(VALU_DEP_2)
	v_perm_b32 v3, v47, v3, 0x5040100
	v_cndmask_b32_e64 v45, 0, v49, s1
	v_cmp_gt_i32_e64 s1, s16, v46
	s_delay_alu instid0(VALU_DEP_1) | instskip(SKIP_1) | instid1(VALU_DEP_2)
	v_cndmask_b32_e64 v2, 0, v2, s1
	v_cmp_gt_i32_e64 s1, s14, v44
	v_perm_b32 v2, v45, v2, 0x5040100
	s_delay_alu instid0(VALU_DEP_2) | instskip(SKIP_1) | instid1(VALU_DEP_1)
	v_cndmask_b32_e64 v44, 0, v50, s1
	v_cmp_gt_i32_e64 s1, s15, v25
	v_cndmask_b32_e64 v1, 0, v1, s1
	s_delay_alu instid0(VALU_DEP_1)
	v_perm_b32 v1, v44, v1, 0x5040100
.LBB97_54:                              ;   in Loop: Header=BB97_43 Depth=1
	s_or_b32 exec_lo, exec_lo, s28
	s_waitcnt vmcnt(0)
	;;#ASMSTART
	v_pk_mul_f16 v1, v37, v1;

	;;#ASMEND
	;;#ASMSTART
	v_pk_mul_f16 v2, v36, v2;

	;;#ASMEND
	;; [unrolled: 4-line block ×4, first 2 shown]
	;;#ASMSTART
	v_pk_add_f16 v1, v1, v2;

	;;#ASMEND
	;;#ASMSTART
	v_pk_add_f16 v1, v1, v3;

	;;#ASMEND
	;; [unrolled: 4-line block ×3, first 2 shown]
	v_and_b32_e32 v2, 0xffff, v1
	v_lshrrev_b32_e32 v1, 16, v1
	;;#ASMSTART
	v_cvt_f32_f16 v44, v2;
	;;#ASMEND
	;;#ASMSTART
	v_cvt_f32_f16 v45, v1;
	;;#ASMEND
	global_load_b128 v[1:4], v[8:9], off offset:2560
	s_and_saveexec_b32 s28, s0
	s_cbranch_execz .LBB97_56
; %bb.55:                               ;   in Loop: Header=BB97_43 Depth=1
	v_or_b32_e32 v50, 7, v25
	s_waitcnt vmcnt(0)
	v_lshrrev_b32_e32 v51, 16, v4
	v_or_b32_e32 v52, 6, v25
	v_or_b32_e32 v49, 5, v25
	;; [unrolled: 1-line block ×3, first 2 shown]
	v_cmp_gt_i32_e64 s1, s26, v50
	v_lshrrev_b32_e32 v54, 16, v3
	v_or_b32_e32 v47, 3, v25
	v_or_b32_e32 v48, 2, v25
	v_add_nc_u32_e32 v46, 1, v25
	v_cndmask_b32_e64 v50, 0, v51, s1
	v_cmp_gt_i32_e64 s1, s24, v52
	v_lshrrev_b32_e32 v51, 16, v2
	v_lshrrev_b32_e32 v52, 16, v1
	s_delay_alu instid0(VALU_DEP_3) | instskip(SKIP_1) | instid1(VALU_DEP_2)
	v_cndmask_b32_e64 v4, 0, v4, s1
	v_cmp_gt_i32_e64 s1, s19, v49
	v_perm_b32 v4, v50, v4, 0x5040100
	s_delay_alu instid0(VALU_DEP_2) | instskip(SKIP_1) | instid1(VALU_DEP_1)
	v_cndmask_b32_e64 v49, 0, v54, s1
	v_cmp_gt_i32_e64 s1, s18, v53
	v_cndmask_b32_e64 v3, 0, v3, s1
	v_cmp_gt_i32_e64 s1, s17, v47
	s_delay_alu instid0(VALU_DEP_2) | instskip(NEXT) | instid1(VALU_DEP_2)
	v_perm_b32 v3, v49, v3, 0x5040100
	v_cndmask_b32_e64 v47, 0, v51, s1
	v_cmp_gt_i32_e64 s1, s16, v48
	s_delay_alu instid0(VALU_DEP_1) | instskip(SKIP_1) | instid1(VALU_DEP_2)
	v_cndmask_b32_e64 v2, 0, v2, s1
	v_cmp_gt_i32_e64 s1, s14, v46
	v_perm_b32 v2, v47, v2, 0x5040100
	s_delay_alu instid0(VALU_DEP_2) | instskip(SKIP_1) | instid1(VALU_DEP_1)
	v_cndmask_b32_e64 v46, 0, v52, s1
	v_cmp_gt_i32_e64 s1, s15, v25
	v_cndmask_b32_e64 v1, 0, v1, s1
	s_delay_alu instid0(VALU_DEP_1)
	v_perm_b32 v1, v46, v1, 0x5040100
.LBB97_56:                              ;   in Loop: Header=BB97_43 Depth=1
	s_or_b32 exec_lo, exec_lo, s28
	s_waitcnt vmcnt(0)
	;;#ASMSTART
	v_pk_mul_f16 v1, v37, v1;

	;;#ASMEND
	;;#ASMSTART
	v_pk_mul_f16 v2, v36, v2;

	;;#ASMEND
	;; [unrolled: 4-line block ×4, first 2 shown]
	;;#ASMSTART
	v_pk_add_f16 v1, v1, v2;

	;;#ASMEND
	;;#ASMSTART
	v_pk_add_f16 v1, v1, v3;

	;;#ASMEND
	;;#ASMSTART
	v_pk_add_f16 v1, v1, v4;

	;;#ASMEND
	v_and_b32_e32 v2, 0xffff, v1
	v_lshrrev_b32_e32 v1, 16, v1
	;;#ASMSTART
	v_cvt_f32_f16 v46, v2;
	;;#ASMEND
	;;#ASMSTART
	v_cvt_f32_f16 v47, v1;
	;;#ASMEND
	global_load_b128 v[1:4], v[8:9], off offset:3072
	s_and_saveexec_b32 s28, s0
	s_cbranch_execz .LBB97_58
; %bb.57:                               ;   in Loop: Header=BB97_43 Depth=1
	v_or_b32_e32 v50, 7, v25
	s_waitcnt vmcnt(0)
	v_lshrrev_b32_e32 v51, 16, v4
	v_or_b32_e32 v52, 6, v25
	v_or_b32_e32 v49, 5, v25
	;; [unrolled: 1-line block ×3, first 2 shown]
	v_cmp_gt_i32_e64 s1, s26, v50
	v_lshrrev_b32_e32 v54, 16, v3
	v_or_b32_e32 v9, 3, v25
	v_or_b32_e32 v48, 2, v25
	v_add_nc_u32_e32 v8, 1, v25
	v_cndmask_b32_e64 v50, 0, v51, s1
	v_cmp_gt_i32_e64 s1, s24, v52
	v_lshrrev_b32_e32 v51, 16, v2
	v_lshrrev_b32_e32 v52, 16, v1
	s_delay_alu instid0(VALU_DEP_3) | instskip(SKIP_1) | instid1(VALU_DEP_2)
	v_cndmask_b32_e64 v4, 0, v4, s1
	v_cmp_gt_i32_e64 s1, s19, v49
	v_perm_b32 v4, v50, v4, 0x5040100
	s_delay_alu instid0(VALU_DEP_2) | instskip(SKIP_1) | instid1(VALU_DEP_1)
	v_cndmask_b32_e64 v49, 0, v54, s1
	v_cmp_gt_i32_e64 s1, s18, v53
	v_cndmask_b32_e64 v3, 0, v3, s1
	v_cmp_gt_i32_e64 s1, s17, v9
	s_delay_alu instid0(VALU_DEP_2) | instskip(NEXT) | instid1(VALU_DEP_2)
	v_perm_b32 v3, v49, v3, 0x5040100
	v_cndmask_b32_e64 v9, 0, v51, s1
	v_cmp_gt_i32_e64 s1, s16, v48
	s_delay_alu instid0(VALU_DEP_1) | instskip(SKIP_1) | instid1(VALU_DEP_2)
	v_cndmask_b32_e64 v2, 0, v2, s1
	v_cmp_gt_i32_e64 s1, s14, v8
	v_perm_b32 v2, v9, v2, 0x5040100
	s_delay_alu instid0(VALU_DEP_2) | instskip(SKIP_1) | instid1(VALU_DEP_1)
	v_cndmask_b32_e64 v8, 0, v52, s1
	v_cmp_gt_i32_e64 s1, s15, v25
	v_cndmask_b32_e64 v1, 0, v1, s1
	s_delay_alu instid0(VALU_DEP_1)
	v_perm_b32 v1, v8, v1, 0x5040100
.LBB97_58:                              ;   in Loop: Header=BB97_43 Depth=1
	s_or_b32 exec_lo, exec_lo, s28
	s_waitcnt vmcnt(0)
	;;#ASMSTART
	v_pk_mul_f16 v1, v37, v1;

	;;#ASMEND
	;;#ASMSTART
	v_pk_mul_f16 v2, v36, v2;

	;;#ASMEND
	;; [unrolled: 4-line block ×4, first 2 shown]
	;;#ASMSTART
	v_pk_add_f16 v1, v1, v2;

	;;#ASMEND
	;;#ASMSTART
	v_pk_add_f16 v1, v1, v3;

	;;#ASMEND
	;;#ASMSTART
	v_pk_add_f16 v1, v1, v4;

	;;#ASMEND
	v_and_b32_e32 v2, 0xffff, v1
	v_lshrrev_b32_e32 v1, 16, v1
	;;#ASMSTART
	v_cvt_f32_f16 v8, v2;
	;;#ASMEND
	;;#ASMSTART
	v_cvt_f32_f16 v9, v1;
	;;#ASMEND
	s_and_saveexec_b32 s28, vcc_lo
	s_cbranch_execz .LBB97_41
; %bb.59:                               ;   in Loop: Header=BB97_43 Depth=1
	v_add_co_u32 v1, s1, v26, v23
	s_delay_alu instid0(VALU_DEP_1)
	v_add_co_ci_u32_e64 v2, s1, 0, v31, s1
	global_load_b128 v[1:4], v[1:2], off
	s_and_saveexec_b32 s1, s0
	s_cbranch_execz .LBB97_40
; %bb.60:                               ;   in Loop: Header=BB97_43 Depth=1
	v_or_b32_e32 v50, 7, v25
	s_waitcnt vmcnt(0)
	v_lshrrev_b32_e32 v51, 16, v4
	v_or_b32_e32 v52, 6, v25
	v_or_b32_e32 v49, 5, v25
	;; [unrolled: 1-line block ×3, first 2 shown]
	v_cmp_gt_i32_e64 s0, s26, v50
	v_lshrrev_b32_e32 v54, 16, v3
	v_or_b32_e32 v31, 3, v25
	v_or_b32_e32 v48, 2, v25
	v_add_nc_u32_e32 v26, 1, v25
	v_cndmask_b32_e64 v50, 0, v51, s0
	v_cmp_gt_i32_e64 s0, s24, v52
	v_lshrrev_b32_e32 v51, 16, v2
	v_lshrrev_b32_e32 v52, 16, v1
	s_delay_alu instid0(VALU_DEP_3) | instskip(SKIP_1) | instid1(VALU_DEP_2)
	v_cndmask_b32_e64 v4, 0, v4, s0
	v_cmp_gt_i32_e64 s0, s19, v49
	v_perm_b32 v4, v50, v4, 0x5040100
	s_delay_alu instid0(VALU_DEP_2) | instskip(SKIP_1) | instid1(VALU_DEP_1)
	v_cndmask_b32_e64 v49, 0, v54, s0
	v_cmp_gt_i32_e64 s0, s18, v53
	v_cndmask_b32_e64 v3, 0, v3, s0
	v_cmp_gt_i32_e64 s0, s17, v31
	s_delay_alu instid0(VALU_DEP_2) | instskip(NEXT) | instid1(VALU_DEP_2)
	v_perm_b32 v3, v49, v3, 0x5040100
	v_cndmask_b32_e64 v31, 0, v51, s0
	v_cmp_gt_i32_e64 s0, s16, v48
	s_delay_alu instid0(VALU_DEP_1) | instskip(SKIP_1) | instid1(VALU_DEP_2)
	v_cndmask_b32_e64 v2, 0, v2, s0
	v_cmp_gt_i32_e64 s0, s14, v26
	v_perm_b32 v2, v31, v2, 0x5040100
	s_delay_alu instid0(VALU_DEP_2) | instskip(SKIP_1) | instid1(VALU_DEP_1)
	v_cndmask_b32_e64 v26, 0, v52, s0
	v_cmp_gt_i32_e64 s0, s15, v25
	v_cndmask_b32_e64 v1, 0, v1, s0
	s_delay_alu instid0(VALU_DEP_1)
	v_perm_b32 v1, v26, v1, 0x5040100
	s_branch .LBB97_40
.LBB97_61:
	s_or_b32 exec_lo, exec_lo, s13
.LBB97_62:
	s_delay_alu instid0(SALU_CYCLE_1)
	s_or_b32 exec_lo, exec_lo, s2
	ds_bpermute_b32 v1, v11, v12
	ds_bpermute_b32 v2, v11, v18
	;; [unrolled: 1-line block ×8, first 2 shown]
	s_movk_i32 s0, 0x1e0
	v_cmp_eq_u32_e32 vcc_lo, 0, v28
	v_and_b32_e32 v23, 0x3c0, v0
	v_mad_u32_u24 v9, v29, s0, 0x110
	s_mov_b32 s1, exec_lo
	s_waitcnt lgkmcnt(0)
	s_waitcnt_vscnt null, 0x0
	s_barrier
	buffer_gl0_inv
	v_dual_add_f32 v8, v12, v1 :: v_dual_add_f32 v7, v18, v2
	v_dual_add_f32 v6, v17, v3 :: v_dual_add_f32 v5, v16, v4
	;; [unrolled: 1-line block ×4, first 2 shown]
	v_cmpx_eq_u32_e32 64, v23
	s_cbranch_execz .LBB97_67
; %bb.63:
	v_add_nc_u32_e32 v11, 0xfffffc40, v9
	s_delay_alu instid0(VALU_DEP_1)
	v_lshl_add_u32 v11, v10, 2, v11
	s_and_saveexec_b32 s0, vcc_lo
	s_cbranch_execz .LBB97_65
; %bb.64:
	ds_store_2addr_b32 v11, v8, v7 offset1:16
	ds_store_2addr_b32 v11, v6, v5 offset0:32 offset1:48
	ds_store_2addr_b32 v11, v4, v3 offset0:64 offset1:80
	ds_store_b32 v11, v2 offset:384
.LBB97_65:
	s_or_b32 exec_lo, exec_lo, s0
	v_or_b32_e32 v12, 0x70, v10
	s_delay_alu instid0(VALU_DEP_1) | instskip(NEXT) | instid1(VALU_DEP_1)
	v_cmp_gt_u32_e64 s0, 0x78, v12
	s_and_b32 s0, vcc_lo, s0
	s_delay_alu instid0(SALU_CYCLE_1)
	s_and_b32 exec_lo, exec_lo, s0
	s_cbranch_execz .LBB97_67
; %bb.66:
	ds_store_b32 v11, v1 offset:448
.LBB97_67:
	s_or_b32 exec_lo, exec_lo, s1
	s_delay_alu instid0(SALU_CYCLE_1)
	s_mov_b32 s1, exec_lo
	s_waitcnt lgkmcnt(0)
	s_barrier
	buffer_gl0_inv
	v_cmpx_gt_u32_e32 64, v0
	s_cbranch_execz .LBB97_79
; %bb.68:
	s_and_saveexec_b32 s0, vcc_lo
	s_cbranch_execnz .LBB97_114
; %bb.69:
	s_or_b32 exec_lo, exec_lo, s0
	s_and_saveexec_b32 s0, vcc_lo
	s_cbranch_execnz .LBB97_115
.LBB97_70:
	s_or_b32 exec_lo, exec_lo, s0
	s_and_saveexec_b32 s0, vcc_lo
	s_cbranch_execnz .LBB97_116
.LBB97_71:
	s_or_b32 exec_lo, exec_lo, s0
	s_and_saveexec_b32 s0, vcc_lo
	s_cbranch_execnz .LBB97_117
.LBB97_72:
	s_or_b32 exec_lo, exec_lo, s0
	s_and_saveexec_b32 s0, vcc_lo
	s_cbranch_execnz .LBB97_118
.LBB97_73:
	s_or_b32 exec_lo, exec_lo, s0
	s_and_saveexec_b32 s0, vcc_lo
	s_cbranch_execnz .LBB97_119
.LBB97_74:
	s_or_b32 exec_lo, exec_lo, s0
	s_and_saveexec_b32 s0, vcc_lo
	s_cbranch_execz .LBB97_76
.LBB97_75:
	v_lshl_add_u32 v11, v10, 2, v9
	ds_load_b32 v11, v11 offset:384
	s_waitcnt lgkmcnt(0)
	v_add_f32_e32 v2, v2, v11
.LBB97_76:
	s_or_b32 exec_lo, exec_lo, s0
	v_or_b32_e32 v11, 0x70, v10
	s_delay_alu instid0(VALU_DEP_1) | instskip(NEXT) | instid1(VALU_DEP_1)
	v_cmp_gt_u32_e64 s0, 0x78, v11
	s_and_b32 s2, vcc_lo, s0
	s_delay_alu instid0(SALU_CYCLE_1)
	s_and_saveexec_b32 s0, s2
	s_cbranch_execz .LBB97_78
; %bb.77:
	v_lshl_add_u32 v11, v10, 2, v9
	ds_load_b32 v11, v11 offset:448
	s_waitcnt lgkmcnt(0)
	v_add_f32_e32 v1, v1, v11
.LBB97_78:
	s_or_b32 exec_lo, exec_lo, s0
.LBB97_79:
	s_delay_alu instid0(SALU_CYCLE_1)
	s_or_b32 exec_lo, exec_lo, s1
	v_and_b32_e32 v11, 0x3e0, v0
	s_mov_b32 s1, exec_lo
	s_barrier
	buffer_gl0_inv
	v_cmpx_eq_u32_e32 32, v11
	s_cbranch_execz .LBB97_84
; %bb.80:
	v_add_nc_u32_e32 v11, 0xfffffe20, v9
	s_delay_alu instid0(VALU_DEP_1)
	v_lshl_add_u32 v11, v10, 2, v11
	s_and_saveexec_b32 s0, vcc_lo
	s_cbranch_execz .LBB97_82
; %bb.81:
	ds_store_2addr_b32 v11, v8, v7 offset1:16
	ds_store_2addr_b32 v11, v6, v5 offset0:32 offset1:48
	ds_store_2addr_b32 v11, v4, v3 offset0:64 offset1:80
	ds_store_b32 v11, v2 offset:384
.LBB97_82:
	s_or_b32 exec_lo, exec_lo, s0
	v_or_b32_e32 v12, 0x70, v10
	s_delay_alu instid0(VALU_DEP_1) | instskip(NEXT) | instid1(VALU_DEP_1)
	v_cmp_gt_u32_e64 s0, 0x78, v12
	s_and_b32 s0, vcc_lo, s0
	s_delay_alu instid0(SALU_CYCLE_1)
	s_and_b32 exec_lo, exec_lo, s0
	s_cbranch_execz .LBB97_84
; %bb.83:
	ds_store_b32 v11, v1 offset:448
.LBB97_84:
	s_or_b32 exec_lo, exec_lo, s1
	v_cmp_gt_u32_e64 s0, 32, v0
	s_waitcnt lgkmcnt(0)
	s_barrier
	buffer_gl0_inv
	s_and_saveexec_b32 s2, s0
	s_cbranch_execz .LBB97_96
; %bb.85:
	v_lshl_add_u32 v0, v10, 2, v9
	s_and_saveexec_b32 s1, vcc_lo
	s_cbranch_execnz .LBB97_120
; %bb.86:
	s_or_b32 exec_lo, exec_lo, s1
	s_and_saveexec_b32 s1, vcc_lo
	s_cbranch_execnz .LBB97_121
.LBB97_87:
	s_or_b32 exec_lo, exec_lo, s1
	s_and_saveexec_b32 s1, vcc_lo
	s_cbranch_execnz .LBB97_122
.LBB97_88:
	s_or_b32 exec_lo, exec_lo, s1
	s_and_saveexec_b32 s1, vcc_lo
	s_cbranch_execnz .LBB97_123
.LBB97_89:
	s_or_b32 exec_lo, exec_lo, s1
	s_and_saveexec_b32 s1, vcc_lo
	s_cbranch_execnz .LBB97_124
.LBB97_90:
	s_or_b32 exec_lo, exec_lo, s1
	s_and_saveexec_b32 s1, vcc_lo
	s_cbranch_execnz .LBB97_125
.LBB97_91:
	s_or_b32 exec_lo, exec_lo, s1
	s_and_saveexec_b32 s1, vcc_lo
	s_cbranch_execz .LBB97_93
.LBB97_92:
	ds_load_b32 v9, v0 offset:384
	s_waitcnt lgkmcnt(0)
	v_add_f32_e32 v2, v2, v9
.LBB97_93:
	s_or_b32 exec_lo, exec_lo, s1
	v_or_b32_e32 v9, 0x70, v10
	s_delay_alu instid0(VALU_DEP_1) | instskip(NEXT) | instid1(VALU_DEP_1)
	v_cmp_gt_u32_e64 s1, 0x78, v9
	s_and_b32 s3, vcc_lo, s1
	s_delay_alu instid0(SALU_CYCLE_1)
	s_and_saveexec_b32 s1, s3
	s_cbranch_execz .LBB97_95
; %bb.94:
	ds_load_b32 v0, v0 offset:448
	s_waitcnt lgkmcnt(0)
	v_add_f32_e32 v1, v1, v0
.LBB97_95:
	s_or_b32 exec_lo, exec_lo, s1
.LBB97_96:
	s_delay_alu instid0(SALU_CYCLE_1)
	s_or_b32 exec_lo, exec_lo, s2
	s_barrier
	buffer_gl0_inv
	s_and_saveexec_b32 s1, s0
	s_cbranch_execz .LBB97_113
; %bb.97:
	s_mul_i32 s0, s6, 0x78
	s_mul_i32 s2, s4, s20
	s_ashr_i32 s1, s0, 31
	v_lshlrev_b32_e32 v0, 1, v27
	s_lshl_b64 s[0:1], s[0:1], 1
	s_delay_alu instid0(SALU_CYCLE_1) | instskip(SKIP_2) | instid1(SALU_CYCLE_1)
	s_add_u32 s4, s22, s0
	s_addc_u32 s5, s23, s1
	s_ashr_i32 s3, s2, 31
	s_lshl_b64 s[0:1], s[2:3], 1
	s_mul_i32 s2, s12, 0x78
	s_add_u32 s4, s4, s0
	s_addc_u32 s5, s5, s1
	s_ashr_i32 s3, s2, 31
	s_delay_alu instid0(SALU_CYCLE_1) | instskip(NEXT) | instid1(SALU_CYCLE_1)
	s_lshl_b64 s[0:1], s[2:3], 1
	s_add_u32 s2, s4, s0
	s_addc_u32 s3, s5, s1
	s_and_saveexec_b32 s0, vcc_lo
	s_cbranch_execz .LBB97_99
; %bb.98:
	;;#ASMSTART
	v_cvt_f16_f32 v8, v8;

	;;#ASMEND
	global_store_b16 v0, v8, s[2:3]
.LBB97_99:
	s_or_b32 exec_lo, exec_lo, s0
	v_or_b32_e32 v8, 16, v27
	s_delay_alu instid0(VALU_DEP_1) | instskip(NEXT) | instid1(VALU_DEP_1)
	v_cmp_gt_u32_e64 s0, 0x78, v8
	s_and_b32 s1, vcc_lo, s0
	s_delay_alu instid0(SALU_CYCLE_1)
	s_and_saveexec_b32 s0, s1
	s_cbranch_execz .LBB97_101
; %bb.100:
	;;#ASMSTART
	v_cvt_f16_f32 v7, v7;

	;;#ASMEND
	global_store_b16 v0, v7, s[2:3] offset:32
.LBB97_101:
	s_or_b32 exec_lo, exec_lo, s0
	v_or_b32_e32 v7, 32, v27
	s_delay_alu instid0(VALU_DEP_1) | instskip(NEXT) | instid1(VALU_DEP_1)
	v_cmp_gt_u32_e64 s0, 0x78, v7
	s_and_b32 s1, vcc_lo, s0
	s_delay_alu instid0(SALU_CYCLE_1)
	s_and_saveexec_b32 s0, s1
	s_cbranch_execz .LBB97_103
; %bb.102:
	;;#ASMSTART
	v_cvt_f16_f32 v6, v6;

	;;#ASMEND
	global_store_b16 v0, v6, s[2:3] offset:64
.LBB97_103:
	s_or_b32 exec_lo, exec_lo, s0
	v_or_b32_e32 v6, 48, v27
	s_delay_alu instid0(VALU_DEP_1) | instskip(NEXT) | instid1(VALU_DEP_1)
	v_cmp_gt_u32_e64 s0, 0x78, v6
	s_and_b32 s1, vcc_lo, s0
	s_delay_alu instid0(SALU_CYCLE_1)
	s_and_saveexec_b32 s0, s1
	s_cbranch_execz .LBB97_105
; %bb.104:
	;;#ASMSTART
	v_cvt_f16_f32 v5, v5;

	;;#ASMEND
	global_store_b16 v0, v5, s[2:3] offset:96
.LBB97_105:
	s_or_b32 exec_lo, exec_lo, s0
	v_or_b32_e32 v5, 64, v27
	s_delay_alu instid0(VALU_DEP_1) | instskip(NEXT) | instid1(VALU_DEP_1)
	v_cmp_gt_u32_e64 s0, 0x78, v5
	s_and_b32 s1, vcc_lo, s0
	s_delay_alu instid0(SALU_CYCLE_1)
	s_and_saveexec_b32 s0, s1
	s_cbranch_execz .LBB97_107
; %bb.106:
	;;#ASMSTART
	v_cvt_f16_f32 v4, v4;

	;;#ASMEND
	global_store_b16 v0, v4, s[2:3] offset:128
.LBB97_107:
	s_or_b32 exec_lo, exec_lo, s0
	v_or_b32_e32 v4, 0x50, v27
	s_delay_alu instid0(VALU_DEP_1) | instskip(NEXT) | instid1(VALU_DEP_1)
	v_cmp_gt_u32_e64 s0, 0x78, v4
	s_and_b32 s1, vcc_lo, s0
	s_delay_alu instid0(SALU_CYCLE_1)
	s_and_saveexec_b32 s0, s1
	s_cbranch_execz .LBB97_109
; %bb.108:
	;;#ASMSTART
	v_cvt_f16_f32 v3, v3;

	;;#ASMEND
	global_store_b16 v0, v3, s[2:3] offset:160
.LBB97_109:
	s_or_b32 exec_lo, exec_lo, s0
	v_or_b32_e32 v3, 0x60, v27
	s_delay_alu instid0(VALU_DEP_1) | instskip(NEXT) | instid1(VALU_DEP_1)
	v_cmp_gt_u32_e64 s0, 0x78, v3
	s_and_b32 s1, vcc_lo, s0
	s_delay_alu instid0(SALU_CYCLE_1)
	s_and_saveexec_b32 s0, s1
	s_cbranch_execz .LBB97_111
; %bb.110:
	;;#ASMSTART
	v_cvt_f16_f32 v2, v2;

	;;#ASMEND
	global_store_b16 v0, v2, s[2:3] offset:192
.LBB97_111:
	s_or_b32 exec_lo, exec_lo, s0
	v_or_b32_e32 v2, 0x70, v27
	s_delay_alu instid0(VALU_DEP_1) | instskip(NEXT) | instid1(VALU_DEP_1)
	v_cmp_gt_u32_e64 s0, 0x78, v2
	s_and_b32 s0, vcc_lo, s0
	s_delay_alu instid0(SALU_CYCLE_1)
	s_and_b32 exec_lo, exec_lo, s0
	s_cbranch_execz .LBB97_113
; %bb.112:
	;;#ASMSTART
	v_cvt_f16_f32 v1, v1;

	;;#ASMEND
	global_store_b16 v0, v1, s[2:3] offset:224
.LBB97_113:
	s_nop 0
	s_sendmsg sendmsg(MSG_DEALLOC_VGPRS)
	s_endpgm
.LBB97_114:
	v_lshl_add_u32 v11, v10, 2, v9
	ds_load_b32 v11, v11
	s_waitcnt lgkmcnt(0)
	v_add_f32_e32 v8, v8, v11
	s_or_b32 exec_lo, exec_lo, s0
	s_and_saveexec_b32 s0, vcc_lo
	s_cbranch_execz .LBB97_70
.LBB97_115:
	v_lshl_add_u32 v11, v10, 2, v9
	ds_load_b32 v11, v11 offset:64
	s_waitcnt lgkmcnt(0)
	v_add_f32_e32 v7, v7, v11
	s_or_b32 exec_lo, exec_lo, s0
	s_and_saveexec_b32 s0, vcc_lo
	s_cbranch_execz .LBB97_71
.LBB97_116:
	v_lshl_add_u32 v11, v10, 2, v9
	ds_load_b32 v11, v11 offset:128
	s_waitcnt lgkmcnt(0)
	v_add_f32_e32 v6, v6, v11
	s_or_b32 exec_lo, exec_lo, s0
	s_and_saveexec_b32 s0, vcc_lo
	s_cbranch_execz .LBB97_72
.LBB97_117:
	v_lshl_add_u32 v11, v10, 2, v9
	ds_load_b32 v11, v11 offset:192
	s_waitcnt lgkmcnt(0)
	v_add_f32_e32 v5, v5, v11
	s_or_b32 exec_lo, exec_lo, s0
	s_and_saveexec_b32 s0, vcc_lo
	s_cbranch_execz .LBB97_73
.LBB97_118:
	v_lshl_add_u32 v11, v10, 2, v9
	ds_load_b32 v11, v11 offset:256
	s_waitcnt lgkmcnt(0)
	v_add_f32_e32 v4, v4, v11
	s_or_b32 exec_lo, exec_lo, s0
	s_and_saveexec_b32 s0, vcc_lo
	s_cbranch_execz .LBB97_74
.LBB97_119:
	v_lshl_add_u32 v11, v10, 2, v9
	ds_load_b32 v11, v11 offset:320
	s_waitcnt lgkmcnt(0)
	v_add_f32_e32 v3, v3, v11
	s_or_b32 exec_lo, exec_lo, s0
	s_and_saveexec_b32 s0, vcc_lo
	s_cbranch_execnz .LBB97_75
	s_branch .LBB97_76
.LBB97_120:
	ds_load_b32 v9, v0
	s_waitcnt lgkmcnt(0)
	v_add_f32_e32 v8, v8, v9
	s_or_b32 exec_lo, exec_lo, s1
	s_and_saveexec_b32 s1, vcc_lo
	s_cbranch_execz .LBB97_87
.LBB97_121:
	ds_load_b32 v9, v0 offset:64
	s_waitcnt lgkmcnt(0)
	v_add_f32_e32 v7, v7, v9
	s_or_b32 exec_lo, exec_lo, s1
	s_and_saveexec_b32 s1, vcc_lo
	s_cbranch_execz .LBB97_88
.LBB97_122:
	ds_load_b32 v9, v0 offset:128
	s_waitcnt lgkmcnt(0)
	v_add_f32_e32 v6, v6, v9
	s_or_b32 exec_lo, exec_lo, s1
	s_and_saveexec_b32 s1, vcc_lo
	s_cbranch_execz .LBB97_89
.LBB97_123:
	ds_load_b32 v9, v0 offset:192
	s_waitcnt lgkmcnt(0)
	v_add_f32_e32 v5, v5, v9
	s_or_b32 exec_lo, exec_lo, s1
	s_and_saveexec_b32 s1, vcc_lo
	s_cbranch_execz .LBB97_90
.LBB97_124:
	ds_load_b32 v9, v0 offset:256
	s_waitcnt lgkmcnt(0)
	v_add_f32_e32 v4, v4, v9
	s_or_b32 exec_lo, exec_lo, s1
	s_and_saveexec_b32 s1, vcc_lo
	s_cbranch_execz .LBB97_91
.LBB97_125:
	ds_load_b32 v9, v0 offset:320
	s_waitcnt lgkmcnt(0)
	v_add_f32_e32 v3, v3, v9
	s_or_b32 exec_lo, exec_lo, s1
	s_and_saveexec_b32 s1, vcc_lo
	s_cbranch_execnz .LBB97_92
	s_branch .LBB97_93
	.section	.rodata,"a",@progbits
	.p2align	6, 0x0
	.amdhsa_kernel _ZN4vllm25paged_attention_v2_kernelIttLi120ELi16ELi128ELNS_18Fp8KVCacheDataTypeE0ELb1ELi512EEEvPfS2_PT_PKS3_PKT0_S9_ifPKiSB_iPKfiiiSD_SD_iiiii
		.amdhsa_group_segment_fixed_size 272
		.amdhsa_private_segment_fixed_size 0
		.amdhsa_kernarg_size 400
		.amdhsa_user_sgpr_count 13
		.amdhsa_user_sgpr_dispatch_ptr 0
		.amdhsa_user_sgpr_queue_ptr 0
		.amdhsa_user_sgpr_kernarg_segment_ptr 1
		.amdhsa_user_sgpr_dispatch_id 0
		.amdhsa_user_sgpr_private_segment_size 0
		.amdhsa_wavefront_size32 1
		.amdhsa_uses_dynamic_stack 0
		.amdhsa_enable_private_segment 0
		.amdhsa_system_sgpr_workgroup_id_x 1
		.amdhsa_system_sgpr_workgroup_id_y 1
		.amdhsa_system_sgpr_workgroup_id_z 1
		.amdhsa_system_sgpr_workgroup_info 0
		.amdhsa_system_vgpr_workitem_id 0
		.amdhsa_next_free_vgpr 125
		.amdhsa_next_free_sgpr 46
		.amdhsa_reserve_vcc 1
		.amdhsa_float_round_mode_32 0
		.amdhsa_float_round_mode_16_64 0
		.amdhsa_float_denorm_mode_32 3
		.amdhsa_float_denorm_mode_16_64 3
		.amdhsa_dx10_clamp 1
		.amdhsa_ieee_mode 1
		.amdhsa_fp16_overflow 0
		.amdhsa_workgroup_processor_mode 1
		.amdhsa_memory_ordered 1
		.amdhsa_forward_progress 0
		.amdhsa_shared_vgpr_count 0
		.amdhsa_exception_fp_ieee_invalid_op 0
		.amdhsa_exception_fp_denorm_src 0
		.amdhsa_exception_fp_ieee_div_zero 0
		.amdhsa_exception_fp_ieee_overflow 0
		.amdhsa_exception_fp_ieee_underflow 0
		.amdhsa_exception_fp_ieee_inexact 0
		.amdhsa_exception_int_div_zero 0
	.end_amdhsa_kernel
	.section	.text._ZN4vllm25paged_attention_v2_kernelIttLi120ELi16ELi128ELNS_18Fp8KVCacheDataTypeE0ELb1ELi512EEEvPfS2_PT_PKS3_PKT0_S9_ifPKiSB_iPKfiiiSD_SD_iiiii,"axG",@progbits,_ZN4vllm25paged_attention_v2_kernelIttLi120ELi16ELi128ELNS_18Fp8KVCacheDataTypeE0ELb1ELi512EEEvPfS2_PT_PKS3_PKT0_S9_ifPKiSB_iPKfiiiSD_SD_iiiii,comdat
.Lfunc_end97:
	.size	_ZN4vllm25paged_attention_v2_kernelIttLi120ELi16ELi128ELNS_18Fp8KVCacheDataTypeE0ELb1ELi512EEEvPfS2_PT_PKS3_PKT0_S9_ifPKiSB_iPKfiiiSD_SD_iiiii, .Lfunc_end97-_ZN4vllm25paged_attention_v2_kernelIttLi120ELi16ELi128ELNS_18Fp8KVCacheDataTypeE0ELb1ELi512EEEvPfS2_PT_PKS3_PKT0_S9_ifPKiSB_iPKfiiiSD_SD_iiiii
                                        ; -- End function
	.section	.AMDGPU.csdata,"",@progbits
; Kernel info:
; codeLenInByte = 13288
; NumSgprs: 48
; NumVgprs: 125
; ScratchSize: 0
; MemoryBound: 0
; FloatMode: 240
; IeeeMode: 1
; LDSByteSize: 272 bytes/workgroup (compile time only)
; SGPRBlocks: 5
; VGPRBlocks: 15
; NumSGPRsForWavesPerEU: 48
; NumVGPRsForWavesPerEU: 125
; Occupancy: 10
; WaveLimiterHint : 1
; COMPUTE_PGM_RSRC2:SCRATCH_EN: 0
; COMPUTE_PGM_RSRC2:USER_SGPR: 13
; COMPUTE_PGM_RSRC2:TRAP_HANDLER: 0
; COMPUTE_PGM_RSRC2:TGID_X_EN: 1
; COMPUTE_PGM_RSRC2:TGID_Y_EN: 1
; COMPUTE_PGM_RSRC2:TGID_Z_EN: 1
; COMPUTE_PGM_RSRC2:TIDIG_COMP_CNT: 0
	.section	.text._ZN4vllm25paged_attention_v2_kernelIttLi128ELi16ELi128ELNS_18Fp8KVCacheDataTypeE0ELb1ELi512EEEvPfS2_PT_PKS3_PKT0_S9_ifPKiSB_iPKfiiiSD_SD_iiiii,"axG",@progbits,_ZN4vllm25paged_attention_v2_kernelIttLi128ELi16ELi128ELNS_18Fp8KVCacheDataTypeE0ELb1ELi512EEEvPfS2_PT_PKS3_PKT0_S9_ifPKiSB_iPKfiiiSD_SD_iiiii,comdat
	.protected	_ZN4vllm25paged_attention_v2_kernelIttLi128ELi16ELi128ELNS_18Fp8KVCacheDataTypeE0ELb1ELi512EEEvPfS2_PT_PKS3_PKT0_S9_ifPKiSB_iPKfiiiSD_SD_iiiii ; -- Begin function _ZN4vllm25paged_attention_v2_kernelIttLi128ELi16ELi128ELNS_18Fp8KVCacheDataTypeE0ELb1ELi512EEEvPfS2_PT_PKS3_PKT0_S9_ifPKiSB_iPKfiiiSD_SD_iiiii
	.globl	_ZN4vllm25paged_attention_v2_kernelIttLi128ELi16ELi128ELNS_18Fp8KVCacheDataTypeE0ELb1ELi512EEEvPfS2_PT_PKS3_PKT0_S9_ifPKiSB_iPKfiiiSD_SD_iiiii
	.p2align	8
	.type	_ZN4vllm25paged_attention_v2_kernelIttLi128ELi16ELi128ELNS_18Fp8KVCacheDataTypeE0ELb1ELi512EEEvPfS2_PT_PKS3_PKT0_S9_ifPKiSB_iPKfiiiSD_SD_iiiii,@function
_ZN4vllm25paged_attention_v2_kernelIttLi128ELi16ELi128ELNS_18Fp8KVCacheDataTypeE0ELb1ELi512EEEvPfS2_PT_PKS3_PKT0_S9_ifPKiSB_iPKfiiiSD_SD_iiiii: ; @_ZN4vllm25paged_attention_v2_kernelIttLi128ELi16ELi128ELNS_18Fp8KVCacheDataTypeE0ELb1ELi512EEEvPfS2_PT_PKS3_PKT0_S9_ifPKiSB_iPKfiiiSD_SD_iiiii
; %bb.0:
	s_load_b64 s[2:3], s[0:1], 0x40
	s_mov_b32 s12, s15
	s_ashr_i32 s15, s14, 31
	s_delay_alu instid0(SALU_CYCLE_1)
	s_lshl_b64 s[4:5], s[14:15], 2
	s_waitcnt lgkmcnt(0)
	s_add_u32 s2, s2, s4
	s_addc_u32 s3, s3, s5
	s_lshl_b32 s15, s12, 9
	s_load_b32 s33, s[2:3], 0x0
	s_waitcnt lgkmcnt(0)
	s_cmp_ge_i32 s15, s33
	s_cbranch_scc1 .LBB98_86
; %bb.1:
	s_mov_b32 s24, s13
	s_clause 0x1
	s_load_b32 s13, s[0:1], 0x90
	s_load_b64 s[34:35], s[0:1], 0x30
	s_mov_b32 s39, 0
	s_waitcnt lgkmcnt(0)
	s_abs_i32 s5, s13
	s_abs_i32 s2, s34
	s_delay_alu instid0(SALU_CYCLE_1) | instskip(SKIP_1) | instid1(VALU_DEP_1)
	v_cvt_f32_u32_e32 v1, s2
	s_sub_i32 s4, 0, s2
	v_rcp_iflag_f32_e32 v1, v1
	s_waitcnt_depctr 0xfff
	v_mul_f32_e32 v1, 0x4f7ffffe, v1
	s_delay_alu instid0(VALU_DEP_1) | instskip(NEXT) | instid1(VALU_DEP_1)
	v_cvt_u32_f32_e32 v1, v1
	v_readfirstlane_b32 s3, v1
	s_delay_alu instid0(VALU_DEP_1) | instskip(NEXT) | instid1(SALU_CYCLE_1)
	s_mul_i32 s4, s4, s3
	s_mul_hi_u32 s4, s3, s4
	s_delay_alu instid0(SALU_CYCLE_1) | instskip(SKIP_4) | instid1(SALU_CYCLE_1)
	s_add_i32 s3, s3, s4
	s_xor_b32 s4, s13, s34
	s_mul_hi_u32 s3, s5, s3
	s_ashr_i32 s4, s4, 31
	s_mul_i32 s6, s3, s2
	s_sub_i32 s5, s5, s6
	s_add_i32 s6, s3, 1
	s_sub_i32 s7, s5, s2
	s_cmp_ge_u32 s5, s2
	s_cselect_b32 s3, s6, s3
	s_cselect_b32 s5, s7, s5
	s_add_i32 s6, s3, 1
	s_cmp_ge_u32 s5, s2
	s_cselect_b32 s2, s6, s3
	s_abs_i32 s17, s24
	s_xor_b32 s2, s2, s4
	s_delay_alu instid0(SALU_CYCLE_1) | instskip(SKIP_2) | instid1(SALU_CYCLE_1)
	s_sub_i32 s8, s2, s4
	s_load_b64 s[2:3], s[0:1], 0x50
	s_abs_i32 s16, s8
	v_cvt_f32_u32_e32 v1, s16
	s_sub_i32 s5, 0, s16
	s_delay_alu instid0(VALU_DEP_1) | instskip(SKIP_2) | instid1(VALU_DEP_1)
	v_rcp_iflag_f32_e32 v1, v1
	s_waitcnt_depctr 0xfff
	v_mul_f32_e32 v1, 0x4f7ffffe, v1
	v_cvt_u32_f32_e32 v1, v1
	s_delay_alu instid0(VALU_DEP_1) | instskip(NEXT) | instid1(VALU_DEP_1)
	v_readfirstlane_b32 s4, v1
	s_mul_i32 s5, s5, s4
	s_delay_alu instid0(SALU_CYCLE_1) | instskip(NEXT) | instid1(SALU_CYCLE_1)
	s_mul_hi_u32 s5, s4, s5
	s_add_i32 s4, s4, s5
	s_waitcnt lgkmcnt(0)
	s_cmp_eq_u64 s[2:3], 0
	s_mul_hi_u32 s18, s17, s4
	s_cbranch_scc1 .LBB98_3
; %bb.2:
	s_ashr_i32 s25, s24, 31
	s_delay_alu instid0(SALU_CYCLE_1) | instskip(NEXT) | instid1(SALU_CYCLE_1)
	s_lshl_b64 s[4:5], s[24:25], 2
	s_add_u32 s2, s2, s4
	s_addc_u32 s3, s3, s5
	s_load_b32 s39, s[2:3], 0x0
.LBB98_3:
	s_load_b128 s[4:7], s[0:1], 0x58
	v_lshrrev_b32_e32 v31, 1, v0
	v_and_b32_e32 v32, 1, v0
	v_cmp_gt_u32_e64 s2, 32, v0
	v_lshlrev_b32_e32 v35, 3, v0
	s_ashr_i32 s3, s24, 31
	s_waitcnt lgkmcnt(0)
	s_ashr_i32 s7, s8, 31
	s_lshl_b32 s20, s24, 7
	s_and_saveexec_b32 s8, s2
	s_cbranch_execz .LBB98_5
; %bb.4:
	s_load_b64 s[10:11], s[0:1], 0x18
	s_mul_i32 s22, s14, s4
	v_lshlrev_b32_e32 v3, 3, v31
	s_ashr_i32 s23, s22, 31
	s_delay_alu instid0(SALU_CYCLE_1) | instskip(NEXT) | instid1(VALU_DEP_1)
	s_lshl_b64 s[22:23], s[22:23], 1
	v_lshl_add_u32 v3, v32, 7, v3
	s_waitcnt lgkmcnt(0)
	s_add_u32 s4, s10, s22
	s_addc_u32 s9, s11, s23
	s_ashr_i32 s21, s20, 31
	s_delay_alu instid0(SALU_CYCLE_1) | instskip(NEXT) | instid1(SALU_CYCLE_1)
	s_lshl_b64 s[10:11], s[20:21], 1
	s_add_u32 s10, s4, s10
	s_addc_u32 s11, s9, s11
	global_load_b64 v[1:2], v35, s[10:11]
	s_waitcnt vmcnt(0)
	ds_store_b64 v3, v[1:2]
.LBB98_5:
	s_or_b32 exec_lo, exec_lo, s8
	s_load_b128 s[8:11], s[0:1], 0x78
	s_mul_i32 s4, s18, s16
	s_xor_b32 s3, s3, s7
	s_sub_i32 s4, s17, s4
	s_add_i32 s7, s18, 1
	s_sub_i32 s17, s4, s16
	s_cmp_ge_u32 s4, s16
	s_waitcnt lgkmcnt(0)
	s_cselect_b32 s7, s7, s18
	s_cselect_b32 s4, s17, s4
	s_add_i32 s17, s7, 1
	s_cmp_ge_u32 s4, s16
	s_load_b32 s16, s[0:1], 0x88
	s_cselect_b32 s4, s17, s7
	s_add_i32 s17, s33, -1
	s_xor_b32 s4, s4, s3
	s_abs_i32 s7, s17
	s_sub_i32 s4, s4, s3
	s_mov_b32 s18, -1
	s_waitcnt lgkmcnt(0)
	s_barrier
	s_abs_i32 s21, s11
	buffer_gl0_inv
	v_cvt_f32_u32_e32 v1, s21
	s_sub_i32 s3, 0, s21
                                        ; implicit-def: $sgpr36
	s_delay_alu instid0(VALU_DEP_1) | instskip(SKIP_2) | instid1(VALU_DEP_1)
	v_rcp_iflag_f32_e32 v1, v1
	s_waitcnt_depctr 0xfff
	v_mul_f32_e32 v1, 0x4f7ffffe, v1
	v_cvt_u32_f32_e32 v1, v1
	s_delay_alu instid0(VALU_DEP_1) | instskip(NEXT) | instid1(VALU_DEP_1)
	v_readfirstlane_b32 s25, v1
	s_mul_i32 s3, s3, s25
	s_delay_alu instid0(SALU_CYCLE_1) | instskip(NEXT) | instid1(SALU_CYCLE_1)
	s_mul_hi_u32 s3, s25, s3
	s_add_i32 s25, s25, s3
	s_cmp_lt_i32 s16, 0
	s_mul_hi_u32 s3, s7, s25
	s_cbranch_scc0 .LBB98_7
; %bb.6:
	s_mul_i32 s18, s8, s34
	s_delay_alu instid0(SALU_CYCLE_1) | instskip(NEXT) | instid1(SALU_CYCLE_1)
	s_add_i32 s18, s4, s18
	s_mul_i32 s18, s18, s16
	s_delay_alu instid0(SALU_CYCLE_1)
	s_sub_i32 s36, 1, s18
	s_mov_b32 s18, 0
.LBB98_7:
	s_load_b64 s[26:27], s[0:1], 0x38
	s_ashr_i32 s28, s17, 31
	s_and_not1_b32 vcc_lo, exec_lo, s18
	s_ashr_i32 s11, s11, 31
	s_cbranch_vccnz .LBB98_9
; %bb.8:
	s_mul_i32 s8, s13, s8
	s_delay_alu instid0(SALU_CYCLE_1) | instskip(NEXT) | instid1(SALU_CYCLE_1)
	s_add_i32 s8, s8, s24
	s_mul_i32 s8, s8, s16
	s_delay_alu instid0(SALU_CYCLE_1)
	s_add_i32 s36, s8, 1
.LBB98_9:
	s_clause 0x4
	s_load_b32 s29, s[0:1], 0x48
	s_load_b64 s[30:31], s[0:1], 0x28
	s_load_b32 s8, s[0:1], 0x98
	s_load_b128 s[16:19], s[0:1], 0x0
	s_load_b64 s[22:23], s[0:1], 0x10
	s_xor_b32 s38, s28, s11
	s_mul_i32 s28, s3, s21
	s_add_i32 s34, s3, 1
	s_sub_i32 s7, s7, s28
	v_lshrrev_b32_e32 v33, 5, v0
	s_sub_i32 s37, s7, s21
	v_mov_b32_e32 v37, 0xff7fffff
	v_mbcnt_lo_u32_b32 v36, -1, 0
	s_mul_i32 s6, s4, s6
	v_lshl_add_u32 v34, v33, 4, s15
	s_waitcnt lgkmcnt(0)
	s_mul_i32 s28, s14, s29
	s_delay_alu instid0(SALU_CYCLE_1)
	s_ashr_i32 s29, s28, 31
	s_cmp_ge_u32 s7, s21
	s_cselect_b32 s3, s34, s3
	s_cselect_b32 s7, s37, s7
	s_add_i32 s34, s3, 1
	s_cmp_ge_u32 s7, s21
	s_cselect_b32 s3, s34, s3
	s_add_i32 s7, s33, 15
	s_lshl_b32 s40, s12, 5
	s_ashr_i32 s34, s7, 31
	v_or_b32_e32 v5, s40, v33
	s_lshr_b32 s34, s34, 28
	s_delay_alu instid0(SALU_CYCLE_1)
	s_add_i32 s7, s7, s34
	s_add_i32 s34, s40, 32
	s_ashr_i32 s37, s7, 4
	s_xor_b32 s7, s3, s38
	s_min_i32 s34, s34, s37
	v_ashrrev_i32_e32 v6, 31, v5
	v_cmp_gt_i32_e64 s3, s34, v5
	s_sub_i32 s38, s7, s38
	s_delay_alu instid0(VALU_DEP_1)
	s_and_saveexec_b32 s41, s3
	s_cbranch_execz .LBB98_19
; %bb.10:
	s_load_b64 s[0:1], s[0:1], 0x20
	s_ashr_i32 s7, s6, 31
	v_bfe_u32 v38, v0, 1, 4
	s_lshl_b64 s[42:43], s[6:7], 1
	s_sub_i32 s7, s38, s9
	v_dual_mov_b32 v41, 0xff7fffff :: v_dual_and_b32 v4, 8, v35
	s_delay_alu instid0(VALU_DEP_2)
	v_lshlrev_b32_e32 v7, 2, v38
	v_subrev_nc_u32_e32 v8, s33, v38
	v_lshlrev_b32_e32 v9, 4, v38
	v_cmp_eq_u32_e32 vcc_lo, 0, v32
	v_dual_mov_b32 v48, v5 :: v_dual_lshlrev_b32 v39, 7, v32
	v_lshl_or_b32 v7, v33, 6, v7
	v_add_nc_u32_e32 v43, 1, v8
	v_lshl_add_u32 v40, v33, 4, s15
	v_xor_b32_e32 v42, 1, v36
	v_mov_b32_e32 v37, 0xff7fffff
	v_add_nc_u32_e32 v44, 0x120, v7
	s_waitcnt lgkmcnt(0)
	s_add_u32 s4, s0, s42
	s_addc_u32 s1, s1, s43
	s_abs_i32 s42, s10
	s_lshl_b64 s[44:45], s[28:29], 2
	v_cvt_f32_u32_e32 v1, s42
	s_sub_i32 s43, 0, s42
	v_add_co_u32 v8, s4, s4, v9
	s_delay_alu instid0(VALU_DEP_1) | instskip(NEXT) | instid1(VALU_DEP_3)
	v_add_co_ci_u32_e64 v9, null, s1, 0, s4
	v_rcp_iflag_f32_e32 v3, v1
	v_lshlrev_b64 v[1:2], 2, v[5:6]
	s_add_u32 s1, s26, s44
	s_addc_u32 s4, s27, s45
	v_cmp_neq_f32_e64 s0, s39, 0
	s_mov_b32 s44, s5
	s_delay_alu instid0(VALU_DEP_2) | instskip(NEXT) | instid1(VALU_DEP_1)
	v_add_co_u32 v1, s1, s1, v1
	v_add_co_ci_u32_e64 v2, s1, s4, v2, s1
	s_waitcnt_depctr 0xfff
	v_mul_f32_e32 v3, 0x4f7ffffe, v3
	v_add_co_u32 v45, s1, v8, v4
	s_delay_alu instid0(VALU_DEP_1) | instskip(NEXT) | instid1(VALU_DEP_3)
	v_add_co_ci_u32_e64 v46, s1, 0, v9, s1
	v_cvt_u32_f32_e32 v3, v3
	s_delay_alu instid0(VALU_DEP_1) | instskip(SKIP_1) | instid1(VALU_DEP_1)
	v_mul_lo_u32 v7, s43, v3
	s_mov_b32 s43, 0
	v_mul_hi_u32 v7, v3, v7
	s_delay_alu instid0(VALU_DEP_1)
	v_add_nc_u32_e32 v47, v3, v7
	s_branch .LBB98_13
.LBB98_11:                              ;   in Loop: Header=BB98_13 Depth=1
	s_or_b32 exec_lo, exec_lo, s45
.LBB98_12:                              ;   in Loop: Header=BB98_13 Depth=1
	s_delay_alu instid0(SALU_CYCLE_1) | instskip(SKIP_2) | instid1(VALU_DEP_1)
	s_or_b32 exec_lo, exec_lo, s4
	v_add_nc_u32_e32 v48, 4, v48
	v_add_co_u32 v1, s4, v1, 16
	v_add_co_ci_u32_e64 v2, s4, 0, v2, s4
	s_delay_alu instid0(VALU_DEP_3) | instskip(SKIP_2) | instid1(VALU_DEP_3)
	v_cmp_le_i32_e64 s1, s34, v48
	v_add_nc_u32_e32 v40, 64, v40
	v_add_nc_u32_e32 v44, 0x100, v44
	s_or_b32 s43, s1, s43
	s_delay_alu instid0(SALU_CYCLE_1)
	s_and_not1_b32 exec_lo, exec_lo, s43
	s_cbranch_execz .LBB98_18
.LBB98_13:                              ; =>This Inner Loop Header: Depth=1
	v_sub_nc_u32_e32 v3, 0, v40
	s_delay_alu instid0(VALU_DEP_1) | instskip(SKIP_1) | instid1(VALU_DEP_1)
	v_max_i32_e32 v3, v40, v3
	s_waitcnt lgkmcnt(0)
	v_mul_hi_u32 v4, v3, s25
	s_delay_alu instid0(VALU_DEP_1) | instskip(NEXT) | instid1(VALU_DEP_1)
	v_mul_lo_u32 v7, v4, s21
	v_sub_nc_u32_e32 v3, v3, v7
	v_add_nc_u32_e32 v7, 1, v4
	s_delay_alu instid0(VALU_DEP_2) | instskip(SKIP_1) | instid1(VALU_DEP_1)
	v_subrev_nc_u32_e32 v8, s21, v3
	v_cmp_le_u32_e64 s1, s21, v3
	v_cndmask_b32_e64 v4, v4, v7, s1
	s_delay_alu instid0(VALU_DEP_3) | instskip(SKIP_1) | instid1(VALU_DEP_3)
	v_cndmask_b32_e64 v3, v3, v8, s1
	v_ashrrev_i32_e32 v7, 31, v40
	v_add_nc_u32_e32 v8, 1, v4
	s_delay_alu instid0(VALU_DEP_3) | instskip(NEXT) | instid1(VALU_DEP_3)
	v_cmp_le_u32_e64 s1, s21, v3
	v_xor_b32_e32 v7, s11, v7
	s_delay_alu instid0(VALU_DEP_2) | instskip(NEXT) | instid1(VALU_DEP_1)
	v_cndmask_b32_e64 v3, v4, v8, s1
	v_xor_b32_e32 v3, v3, v7
	s_delay_alu instid0(VALU_DEP_1) | instskip(NEXT) | instid1(VALU_DEP_1)
	v_sub_nc_u32_e32 v3, v3, v7
	v_add_nc_u32_e32 v4, s36, v3
	v_cmp_ge_i32_e64 s4, s7, v3
	s_delay_alu instid0(VALU_DEP_2) | instskip(NEXT) | instid1(VALU_DEP_1)
	v_sub_nc_u32_e32 v7, 0, v4
	v_max_i32_e32 v7, v4, v7
	v_ashrrev_i32_e32 v4, 31, v4
	s_delay_alu instid0(VALU_DEP_2) | instskip(NEXT) | instid1(VALU_DEP_1)
	v_mul_hi_u32 v8, v7, v47
	v_mul_lo_u32 v8, v8, s42
	s_delay_alu instid0(VALU_DEP_1) | instskip(NEXT) | instid1(VALU_DEP_1)
	v_sub_nc_u32_e32 v7, v7, v8
	v_subrev_nc_u32_e32 v8, s42, v7
	v_cmp_le_u32_e64 s1, s42, v7
	s_delay_alu instid0(VALU_DEP_1) | instskip(NEXT) | instid1(VALU_DEP_1)
	v_cndmask_b32_e64 v7, v7, v8, s1
	v_subrev_nc_u32_e32 v8, s42, v7
	v_cmp_le_u32_e64 s1, s42, v7
	s_delay_alu instid0(VALU_DEP_1) | instskip(NEXT) | instid1(VALU_DEP_1)
	v_cndmask_b32_e64 v7, v7, v8, s1
	v_xor_b32_e32 v7, v7, v4
	s_delay_alu instid0(VALU_DEP_1) | instskip(NEXT) | instid1(VALU_DEP_1)
	v_sub_nc_u32_e32 v4, v7, v4
	v_cmp_ne_u32_e64 s1, 0, v4
	s_delay_alu instid0(VALU_DEP_1) | instskip(NEXT) | instid1(SALU_CYCLE_1)
	s_and_b32 s1, s1, s4
	s_and_b32 s45, vcc_lo, s1
	s_delay_alu instid0(SALU_CYCLE_1)
	s_and_saveexec_b32 s4, s45
	s_cbranch_execz .LBB98_15
; %bb.14:                               ;   in Loop: Header=BB98_13 Depth=1
	ds_store_b32 v44, v41
.LBB98_15:                              ;   in Loop: Header=BB98_13 Depth=1
	s_or_b32 exec_lo, exec_lo, s4
	s_xor_b32 s1, s1, -1
	s_delay_alu instid0(SALU_CYCLE_1)
	s_and_saveexec_b32 s4, s1
	s_cbranch_execz .LBB98_12
; %bb.16:                               ;   in Loop: Header=BB98_13 Depth=1
	global_load_b32 v7, v[1:2], off
	s_waitcnt vmcnt(0)
	v_mad_i64_i32 v[3:4], null, v7, s44, 0
	s_delay_alu instid0(VALU_DEP_1) | instskip(NEXT) | instid1(VALU_DEP_1)
	v_lshlrev_b64 v[3:4], 1, v[3:4]
	v_add_co_u32 v3, s1, v45, v3
	s_delay_alu instid0(VALU_DEP_1)
	v_add_co_ci_u32_e64 v4, s1, v46, v4, s1
	v_cmp_gt_i32_e64 s1, 32, v42
	s_clause 0x9
	global_load_b64 v[50:51], v[3:4], off
	global_load_b64 v[57:58], v[3:4], off offset:256
	global_load_b64 v[65:66], v[3:4], off offset:512
	;; [unrolled: 1-line block ×9, first 2 shown]
	ds_load_b64 v[7:8], v39
	s_waitcnt lgkmcnt(0)
	v_lshrrev_b32_e32 v52, 16, v7
	v_and_b32_e32 v49, 0xffff, v7
	v_lshrrev_b32_e32 v54, 16, v8
	v_and_b32_e32 v53, 0xffff, v8
	s_clause 0x5
	global_load_b64 v[15:16], v[3:4], off offset:2560
	global_load_b64 v[13:14], v[3:4], off offset:2816
	;; [unrolled: 1-line block ×6, first 2 shown]
	;;#ASMSTART
	v_cvt_f32_f16 v49, v49;
	;;#ASMEND
	s_waitcnt vmcnt(15)
	v_and_b32_e32 v55, 0xffff, v50
	v_lshrrev_b32_e32 v56, 16, v50
	;;#ASMSTART
	v_cvt_f32_f16 v50, v52;
	;;#ASMEND
	v_lshrrev_b32_e32 v59, 16, v51
	v_and_b32_e32 v60, 0xffff, v51
	;;#ASMSTART
	v_cvt_f32_f16 v51, v55;
	;;#ASMEND
	;;#ASMSTART
	v_cvt_f32_f16 v52, v56;
	;;#ASMEND
	;; [unrolled: 3-line block ×6, first 2 shown]
	ds_load_b64 v[59:60], v39 offset:8
	s_waitcnt vmcnt(14)
	v_lshrrev_b32_e32 v61, 16, v57
	v_and_b32_e32 v62, 0xffff, v57
	v_lshrrev_b32_e32 v64, 16, v58
	v_and_b32_e32 v63, 0xffff, v58
	s_waitcnt vmcnt(13)
	v_lshrrev_b32_e32 v69, 16, v65
	v_lshrrev_b32_e32 v73, 16, v66
	s_waitcnt vmcnt(12)
	v_lshrrev_b32_e32 v76, 16, v30
	s_waitcnt vmcnt(11)
	v_lshrrev_b32_e32 v81, 16, v27
	v_lshrrev_b32_e32 v82, 16, v28
	s_waitcnt vmcnt(10)
	v_lshrrev_b32_e32 v87, 16, v25
	;; [unrolled: 3-line block ×6, first 2 shown]
	v_lshrrev_b32_e32 v112, 16, v20
	s_waitcnt lgkmcnt(0)
	v_and_b32_e32 v57, 0xffff, v59
	v_lshrrev_b32_e32 v59, 16, v59
	v_lshrrev_b32_e32 v67, 16, v60
	v_and_b32_e32 v60, 0xffff, v60
	;;#ASMSTART
	v_cvt_f32_f16 v58, v57;
	;;#ASMEND
	;;#ASMSTART
	v_cvt_f32_f16 v57, v59;
	;;#ASMEND
	;; [unrolled: 3-line block ×8, first 2 shown]
	ds_load_b64 v[67:68], v39 offset:16
	v_dual_mul_f32 v57, v57, v59 :: v_dual_and_b32 v70, 0xffff, v65
	v_dual_mul_f32 v59, v60, v63 :: v_dual_mul_f32 v60, v61, v64
	v_mul_f32_e32 v58, v58, v62
	s_delay_alu instid0(VALU_DEP_3)
	v_fmac_f32_e32 v57, v50, v52
	s_waitcnt vmcnt(5)
	v_lshrrev_b32_e32 v117, 16, v15
	v_dual_fmac_f32 v59, v53, v55 :: v_dual_fmac_f32 v60, v54, v56
	v_and_b32_e32 v74, 0xffff, v66
	v_fmac_f32_e32 v58, v49, v51
	v_lshrrev_b32_e32 v118, 16, v16
	s_waitcnt vmcnt(4)
	v_lshrrev_b32_e32 v123, 16, v13
	v_lshrrev_b32_e32 v124, 16, v14
	s_waitcnt vmcnt(3)
	v_lshrrev_b32_e32 v129, 16, v11
	;; [unrolled: 3-line block ×4, first 2 shown]
	s_waitcnt lgkmcnt(0)
	v_and_b32_e32 v65, 0xffff, v67
	v_lshrrev_b32_e32 v67, 16, v67
	v_lshrrev_b32_e32 v75, 16, v68
	;;#ASMSTART
	v_cvt_f32_f16 v71, v65;
	;;#ASMEND
	;;#ASMSTART
	v_cvt_f32_f16 v65, v67;
	;;#ASMEND
	;; [unrolled: 3-line block ×4, first 2 shown]
	v_dual_fmac_f32 v57, v65, v66 :: v_dual_and_b32 v68, 0xffff, v68
	;;#ASMSTART
	v_cvt_f32_f16 v67, v68;
	;;#ASMEND
	;;#ASMSTART
	v_cvt_f32_f16 v68, v75;
	;;#ASMEND
	;; [unrolled: 3-line block ×4, first 2 shown]
	ds_load_b64 v[73:74], v39 offset:24
	v_lshrrev_b32_e32 v75, 16, v29
	v_fmac_f32_e32 v60, v68, v70
	v_fmac_f32_e32 v58, v71, v72
	;; [unrolled: 1-line block ×3, first 2 shown]
	s_waitcnt lgkmcnt(0)
	v_and_b32_e32 v77, 0xffff, v73
	v_lshrrev_b32_e32 v73, 16, v73
	v_lshrrev_b32_e32 v78, 16, v74
	;;#ASMSTART
	v_cvt_f32_f16 v77, v77;
	;;#ASMEND
	v_and_b32_e32 v29, 0xffff, v29
	;;#ASMSTART
	v_cvt_f32_f16 v73, v73;
	;;#ASMEND
	;;#ASMSTART
	v_cvt_f32_f16 v79, v29;
	;;#ASMEND
	v_fmac_f32_e32 v58, v77, v79
	;;#ASMSTART
	v_cvt_f32_f16 v75, v75;
	;;#ASMEND
	v_dual_fmac_f32 v57, v73, v75 :: v_dual_and_b32 v30, 0xffff, v30
	v_and_b32_e32 v74, 0xffff, v74
	;;#ASMSTART
	v_cvt_f32_f16 v74, v74;
	;;#ASMEND
	;;#ASMSTART
	v_cvt_f32_f16 v78, v78;
	;;#ASMEND
	;; [unrolled: 3-line block ×4, first 2 shown]
	ds_load_b64 v[29:30], v39 offset:32
	v_fmac_f32_e32 v60, v78, v76
	v_fmac_f32_e32 v59, v74, v80
	s_waitcnt lgkmcnt(0)
	v_and_b32_e32 v83, 0xffff, v29
	v_lshrrev_b32_e32 v29, 16, v29
	v_lshrrev_b32_e32 v84, 16, v30
	v_and_b32_e32 v30, 0xffff, v30
	;;#ASMSTART
	v_cvt_f32_f16 v83, v83;
	;;#ASMEND
	v_and_b32_e32 v27, 0xffff, v27
	;;#ASMSTART
	v_cvt_f32_f16 v29, v29;
	;;#ASMEND
	;;#ASMSTART
	v_cvt_f32_f16 v85, v27;
	;;#ASMEND
	v_fmac_f32_e32 v58, v83, v85
	;;#ASMSTART
	v_cvt_f32_f16 v81, v81;
	;;#ASMEND
	;;#ASMSTART
	v_cvt_f32_f16 v30, v30;
	;;#ASMEND
	v_and_b32_e32 v28, 0xffff, v28
	;;#ASMSTART
	v_cvt_f32_f16 v84, v84;
	;;#ASMEND
	;;#ASMSTART
	v_cvt_f32_f16 v86, v28;
	;;#ASMEND
	v_fmac_f32_e32 v59, v30, v86
	;;#ASMSTART
	v_cvt_f32_f16 v82, v82;
	;;#ASMEND
	ds_load_b64 v[27:28], v39 offset:40
	v_dual_fmac_f32 v57, v29, v81 :: v_dual_fmac_f32 v60, v84, v82
	s_waitcnt lgkmcnt(0)
	v_and_b32_e32 v89, 0xffff, v27
	v_lshrrev_b32_e32 v27, 16, v27
	v_lshrrev_b32_e32 v90, 16, v28
	;;#ASMSTART
	v_cvt_f32_f16 v89, v89;
	;;#ASMEND
	v_and_b32_e32 v25, 0xffff, v25
	;;#ASMSTART
	v_cvt_f32_f16 v27, v27;
	;;#ASMEND
	;;#ASMSTART
	v_cvt_f32_f16 v91, v25;
	;;#ASMEND
	v_fmac_f32_e32 v58, v89, v91
	;;#ASMSTART
	v_cvt_f32_f16 v87, v87;
	;;#ASMEND
	v_dual_fmac_f32 v57, v27, v87 :: v_dual_and_b32 v26, 0xffff, v26
	v_and_b32_e32 v28, 0xffff, v28
	;;#ASMSTART
	v_cvt_f32_f16 v28, v28;
	;;#ASMEND
	;;#ASMSTART
	v_cvt_f32_f16 v90, v90;
	;;#ASMEND
	;; [unrolled: 3-line block ×4, first 2 shown]
	ds_load_b64 v[25:26], v39 offset:48
	v_fmac_f32_e32 v60, v90, v88
	v_fmac_f32_e32 v59, v28, v92
	s_waitcnt lgkmcnt(0)
	v_and_b32_e32 v95, 0xffff, v25
	v_lshrrev_b32_e32 v25, 16, v25
	v_lshrrev_b32_e32 v96, 16, v26
	v_and_b32_e32 v26, 0xffff, v26
	;;#ASMSTART
	v_cvt_f32_f16 v95, v95;
	;;#ASMEND
	v_and_b32_e32 v23, 0xffff, v23
	;;#ASMSTART
	v_cvt_f32_f16 v25, v25;
	;;#ASMEND
	;;#ASMSTART
	v_cvt_f32_f16 v97, v23;
	;;#ASMEND
	v_fmac_f32_e32 v58, v95, v97
	;;#ASMSTART
	v_cvt_f32_f16 v93, v93;
	;;#ASMEND
	;;#ASMSTART
	v_cvt_f32_f16 v26, v26;
	;;#ASMEND
	v_and_b32_e32 v24, 0xffff, v24
	;;#ASMSTART
	v_cvt_f32_f16 v96, v96;
	;;#ASMEND
	;;#ASMSTART
	v_cvt_f32_f16 v98, v24;
	;;#ASMEND
	v_fmac_f32_e32 v59, v26, v98
	;;#ASMSTART
	v_cvt_f32_f16 v94, v94;
	;;#ASMEND
	ds_load_b64 v[23:24], v39 offset:56
	v_dual_fmac_f32 v57, v25, v93 :: v_dual_fmac_f32 v60, v96, v94
	s_waitcnt lgkmcnt(0)
	v_and_b32_e32 v101, 0xffff, v23
	v_lshrrev_b32_e32 v23, 16, v23
	v_lshrrev_b32_e32 v102, 16, v24
	;;#ASMSTART
	v_cvt_f32_f16 v101, v101;
	;;#ASMEND
	v_and_b32_e32 v21, 0xffff, v21
	;;#ASMSTART
	v_cvt_f32_f16 v23, v23;
	;;#ASMEND
	;;#ASMSTART
	v_cvt_f32_f16 v103, v21;
	;;#ASMEND
	v_fmac_f32_e32 v58, v101, v103
	;;#ASMSTART
	v_cvt_f32_f16 v99, v99;
	;;#ASMEND
	v_dual_fmac_f32 v57, v23, v99 :: v_dual_and_b32 v22, 0xffff, v22
	v_and_b32_e32 v24, 0xffff, v24
	;;#ASMSTART
	v_cvt_f32_f16 v24, v24;
	;;#ASMEND
	;;#ASMSTART
	v_cvt_f32_f16 v102, v102;
	;;#ASMEND
	;; [unrolled: 3-line block ×4, first 2 shown]
	ds_load_b64 v[21:22], v39 offset:64
	v_dual_fmac_f32 v59, v24, v104 :: v_dual_and_b32 v18, 0xffff, v18
	v_dual_fmac_f32 v60, v102, v100 :: v_dual_and_b32 v17, 0xffff, v17
	v_lshrrev_b32_e32 v23, 16, v8
	s_waitcnt lgkmcnt(0)
	v_and_b32_e32 v107, 0xffff, v21
	v_lshrrev_b32_e32 v21, 16, v21
	v_lshrrev_b32_e32 v108, 16, v22
	;;#ASMSTART
	v_cvt_f32_f16 v107, v107;
	;;#ASMEND
	;;#ASMSTART
	v_cvt_f32_f16 v21, v21;
	;;#ASMEND
	;; [unrolled: 3-line block ×4, first 2 shown]
	v_dual_fmac_f32 v57, v21, v105 :: v_dual_and_b32 v22, 0xffff, v22
	;;#ASMSTART
	v_cvt_f32_f16 v22, v22;
	;;#ASMEND
	;;#ASMSTART
	v_cvt_f32_f16 v108, v108;
	;;#ASMEND
	;; [unrolled: 3-line block ×4, first 2 shown]
	ds_load_b64 v[17:18], v39 offset:72
	v_dual_fmac_f32 v58, v107, v109 :: v_dual_and_b32 v19, 0xffff, v19
	v_dual_fmac_f32 v59, v22, v110 :: v_dual_and_b32 v20, 0xffff, v20
	s_waitcnt lgkmcnt(0)
	v_dual_fmac_f32 v60, v108, v106 :: v_dual_and_b32 v113, 0xffff, v17
	v_lshrrev_b32_e32 v17, 16, v17
	v_lshrrev_b32_e32 v114, 16, v18
	v_and_b32_e32 v18, 0xffff, v18
	;;#ASMSTART
	v_cvt_f32_f16 v113, v113;
	;;#ASMEND
	;;#ASMSTART
	v_cvt_f32_f16 v115, v17;
	;;#ASMEND
	;; [unrolled: 3-line block ×7, first 2 shown]
	v_fmac_f32_e32 v59, v116, v20
	;;#ASMSTART
	v_cvt_f32_f16 v112, v112;
	;;#ASMEND
	ds_load_b64 v[17:18], v39 offset:80
	v_dual_fmac_f32 v57, v115, v111 :: v_dual_fmac_f32 v60, v114, v112
	v_fmac_f32_e32 v58, v113, v19
	s_waitcnt vmcnt(0)
	v_lshrrev_b32_e32 v19, 16, v3
	s_waitcnt lgkmcnt(0)
	v_and_b32_e32 v119, 0xffff, v17
	v_lshrrev_b32_e32 v17, 16, v17
	v_lshrrev_b32_e32 v120, 16, v18
	;;#ASMSTART
	v_cvt_f32_f16 v119, v119;
	;;#ASMEND
	v_and_b32_e32 v15, 0xffff, v15
	;;#ASMSTART
	v_cvt_f32_f16 v17, v17;
	;;#ASMEND
	;;#ASMSTART
	v_cvt_f32_f16 v121, v15;
	;;#ASMEND
	v_fmac_f32_e32 v58, v119, v121
	;;#ASMSTART
	v_cvt_f32_f16 v117, v117;
	;;#ASMEND
	v_dual_fmac_f32 v57, v17, v117 :: v_dual_and_b32 v16, 0xffff, v16
	v_and_b32_e32 v18, 0xffff, v18
	;;#ASMSTART
	v_cvt_f32_f16 v18, v18;
	;;#ASMEND
	;;#ASMSTART
	v_cvt_f32_f16 v120, v120;
	;;#ASMEND
	;; [unrolled: 3-line block ×4, first 2 shown]
	ds_load_b64 v[15:16], v39 offset:88
	v_fmac_f32_e32 v60, v120, v118
	v_fmac_f32_e32 v59, v18, v122
	s_waitcnt lgkmcnt(0)
	v_and_b32_e32 v125, 0xffff, v15
	v_lshrrev_b32_e32 v15, 16, v15
	v_lshrrev_b32_e32 v126, 16, v16
	v_and_b32_e32 v16, 0xffff, v16
	;;#ASMSTART
	v_cvt_f32_f16 v125, v125;
	;;#ASMEND
	v_and_b32_e32 v13, 0xffff, v13
	;;#ASMSTART
	v_cvt_f32_f16 v15, v15;
	;;#ASMEND
	;;#ASMSTART
	v_cvt_f32_f16 v127, v13;
	;;#ASMEND
	v_fmac_f32_e32 v58, v125, v127
	;;#ASMSTART
	v_cvt_f32_f16 v123, v123;
	;;#ASMEND
	;;#ASMSTART
	v_cvt_f32_f16 v16, v16;
	;;#ASMEND
	v_and_b32_e32 v14, 0xffff, v14
	;;#ASMSTART
	v_cvt_f32_f16 v126, v126;
	;;#ASMEND
	;;#ASMSTART
	v_cvt_f32_f16 v128, v14;
	;;#ASMEND
	v_fmac_f32_e32 v59, v16, v128
	;;#ASMSTART
	v_cvt_f32_f16 v124, v124;
	;;#ASMEND
	ds_load_b64 v[13:14], v39 offset:96
	v_dual_fmac_f32 v57, v15, v123 :: v_dual_fmac_f32 v60, v126, v124
	v_and_b32_e32 v11, 0xffff, v11
	s_waitcnt lgkmcnt(0)
	v_and_b32_e32 v49, 0xffff, v13
	v_lshrrev_b32_e32 v13, 16, v13
	v_lshrrev_b32_e32 v50, 16, v14
	;;#ASMSTART
	v_cvt_f32_f16 v49, v49;
	;;#ASMEND
	;;#ASMSTART
	v_cvt_f32_f16 v13, v13;
	;;#ASMEND
	;; [unrolled: 3-line block ×4, first 2 shown]
	v_dual_fmac_f32 v57, v13, v52 :: v_dual_and_b32 v14, 0xffff, v14
	;;#ASMSTART
	v_cvt_f32_f16 v14, v14;
	;;#ASMEND
	v_and_b32_e32 v12, 0xffff, v12
	;;#ASMSTART
	v_cvt_f32_f16 v50, v50;
	;;#ASMEND
	;;#ASMSTART
	v_cvt_f32_f16 v53, v12;
	;;#ASMEND
	v_fmac_f32_e32 v59, v14, v53
	;;#ASMSTART
	v_cvt_f32_f16 v54, v130;
	;;#ASMEND
	ds_load_b64 v[11:12], v39 offset:104
	v_dual_fmac_f32 v58, v49, v51 :: v_dual_and_b32 v9, 0xffff, v9
	v_fmac_f32_e32 v60, v50, v54
	v_lshrrev_b32_e32 v13, 16, v4
	s_waitcnt lgkmcnt(0)
	v_and_b32_e32 v27, 0xffff, v11
	v_lshrrev_b32_e32 v11, 16, v11
	v_lshrrev_b32_e32 v25, 16, v12
	;;#ASMSTART
	v_cvt_f32_f16 v27, v27;
	;;#ASMEND
	;;#ASMSTART
	v_cvt_f32_f16 v11, v11;
	;;#ASMEND
	;; [unrolled: 3-line block ×4, first 2 shown]
	v_dual_fmac_f32 v57, v11, v29 :: v_dual_and_b32 v10, 0xffff, v10
	v_and_b32_e32 v12, 0xffff, v12
	;;#ASMSTART
	v_cvt_f32_f16 v12, v12;
	;;#ASMEND
	;;#ASMSTART
	v_cvt_f32_f16 v25, v25;
	;;#ASMEND
	;; [unrolled: 3-line block ×4, first 2 shown]
	ds_load_b64 v[9:10], v39 offset:112
	v_dual_fmac_f32 v60, v25, v56 :: v_dual_and_b32 v7, 0xffff, v7
	v_dual_fmac_f32 v59, v12, v30 :: v_dual_and_b32 v8, 0xffff, v8
	s_waitcnt lgkmcnt(0)
	v_dual_fmac_f32 v58, v27, v28 :: v_dual_and_b32 v17, 0xffff, v9
	v_lshrrev_b32_e32 v9, 16, v9
	v_lshrrev_b32_e32 v18, 16, v10
	;;#ASMSTART
	v_cvt_f32_f16 v17, v17;
	;;#ASMEND
	;;#ASMSTART
	v_cvt_f32_f16 v9, v9;
	;;#ASMEND
	;; [unrolled: 3-line block ×4, first 2 shown]
	v_dual_fmac_f32 v57, v9, v21 :: v_dual_and_b32 v10, 0xffff, v10
	;;#ASMSTART
	v_cvt_f32_f16 v10, v10;
	;;#ASMEND
	;;#ASMSTART
	v_cvt_f32_f16 v18, v18;
	;;#ASMEND
	;; [unrolled: 3-line block ×4, first 2 shown]
	ds_load_b64 v[7:8], v39 offset:120
	v_fmac_f32_e32 v58, v17, v20
	v_fmac_f32_e32 v60, v18, v23
	v_and_b32_e32 v3, 0xffff, v3
	v_dual_fmac_f32 v59, v10, v22 :: v_dual_and_b32 v4, 0xffff, v4
	s_waitcnt lgkmcnt(0)
	v_and_b32_e32 v9, 0xffff, v7
	v_lshrrev_b32_e32 v7, 16, v7
	;;#ASMSTART
	v_cvt_f32_f16 v9, v9;
	;;#ASMEND
	;;#ASMSTART
	v_cvt_f32_f16 v7, v7;
	;;#ASMEND
	;;#ASMSTART
	v_cvt_f32_f16 v3, v3;
	;;#ASMEND
	;;#ASMSTART
	v_cvt_f32_f16 v11, v19;
	;;#ASMEND
	v_fmac_f32_e32 v58, v9, v3
	v_fmac_f32_e32 v57, v7, v11
	v_lshrrev_b32_e32 v10, 16, v8
	v_and_b32_e32 v8, 0xffff, v8
	;;#ASMSTART
	v_cvt_f32_f16 v3, v8;
	;;#ASMEND
	;;#ASMSTART
	v_cvt_f32_f16 v7, v10;
	;;#ASMEND
	;; [unrolled: 3-line block ×3, first 2 shown]
	v_fmac_f32_e32 v59, v3, v4
	v_add_f32_e32 v3, v58, v57
	;;#ASMSTART
	v_cvt_f32_f16 v4, v13;
	;;#ASMEND
	v_fmac_f32_e32 v60, v7, v4
	v_cndmask_b32_e64 v4, v36, v42, s1
	s_delay_alu instid0(VALU_DEP_1) | instskip(NEXT) | instid1(VALU_DEP_1)
	v_dual_add_f32 v3, v3, v59 :: v_dual_lshlrev_b32 v4, 2, v4
	v_add_f32_e32 v3, v60, v3
	ds_bpermute_b32 v4, v4, v3
	s_and_saveexec_b32 s45, vcc_lo
	s_cbranch_execz .LBB98_11
; %bb.17:                               ;   in Loop: Header=BB98_13 Depth=1
	s_waitcnt lgkmcnt(0)
	v_add_f32_e32 v3, v3, v4
	v_add_nc_u32_e32 v7, v43, v40
	s_delay_alu instid0(VALU_DEP_1) | instskip(NEXT) | instid1(VALU_DEP_1)
	v_cvt_f32_i32_e32 v7, v7
	v_mul_f32_e32 v7, s39, v7
	s_delay_alu instid0(VALU_DEP_1) | instskip(NEXT) | instid1(VALU_DEP_1)
	v_cndmask_b32_e64 v4, 0, v7, s0
	v_dual_max_f32 v7, v37, v37 :: v_dual_fmac_f32 v4, s35, v3
	v_add_nc_u32_e32 v3, v38, v40
	s_delay_alu instid0(VALU_DEP_2) | instskip(NEXT) | instid1(VALU_DEP_2)
	v_max_f32_e32 v7, v7, v4
	v_cmp_gt_i32_e64 s1, s33, v3
	s_delay_alu instid0(VALU_DEP_1) | instskip(NEXT) | instid1(VALU_DEP_3)
	v_cndmask_b32_e64 v3, 0, v4, s1
	v_cndmask_b32_e64 v37, v37, v7, s1
	ds_store_b32 v44, v3
	s_branch .LBB98_11
.LBB98_18:
	s_or_b32 exec_lo, exec_lo, s43
.LBB98_19:
	s_delay_alu instid0(SALU_CYCLE_1) | instskip(SKIP_4) | instid1(VALU_DEP_4)
	s_or_b32 exec_lo, exec_lo, s41
	v_xor_b32_e32 v1, 16, v36
	v_xor_b32_e32 v2, 8, v36
	v_and_b32_e32 v10, 31, v0
	v_lshlrev_b32_e32 v9, 2, v33
	v_cmp_gt_i32_e32 vcc_lo, 32, v1
	v_cndmask_b32_e32 v1, v36, v1, vcc_lo
	v_cmp_gt_i32_e32 vcc_lo, 32, v2
	s_delay_alu instid0(VALU_DEP_2)
	v_dual_cndmask_b32 v2, v36, v2 :: v_dual_lshlrev_b32 v3, 2, v1
	s_waitcnt lgkmcnt(0)
	v_max_f32_e32 v4, v37, v37
	ds_bpermute_b32 v1, v3, v37
	v_lshlrev_b32_e32 v7, 2, v2
	s_waitcnt lgkmcnt(0)
	v_max_f32_e32 v1, v1, v1
	s_delay_alu instid0(VALU_DEP_1) | instskip(SKIP_1) | instid1(VALU_DEP_1)
	v_max_f32_e32 v1, v4, v1
	v_xor_b32_e32 v4, 4, v36
	v_cmp_gt_i32_e32 vcc_lo, 32, v4
	v_cndmask_b32_e32 v4, v36, v4, vcc_lo
	s_delay_alu instid0(VALU_DEP_1) | instskip(SKIP_2) | instid1(VALU_DEP_1)
	v_lshlrev_b32_e32 v8, 2, v4
	ds_bpermute_b32 v2, v7, v1
	v_xor_b32_e32 v4, 2, v36
	v_cmp_gt_i32_e32 vcc_lo, 32, v4
	v_cndmask_b32_e32 v4, v36, v4, vcc_lo
	v_cmp_eq_u32_e32 vcc_lo, 0, v10
	s_waitcnt lgkmcnt(0)
	v_max_f32_e32 v2, v2, v2
	s_delay_alu instid0(VALU_DEP_1) | instskip(SKIP_3) | instid1(VALU_DEP_1)
	v_max_f32_e32 v1, v1, v2
	ds_bpermute_b32 v2, v8, v1
	s_waitcnt lgkmcnt(0)
	v_max_f32_e32 v2, v2, v2
	v_dual_max_f32 v1, v1, v2 :: v_dual_lshlrev_b32 v2, 2, v4
	ds_bpermute_b32 v4, v2, v1
	s_and_saveexec_b32 s0, vcc_lo
	s_cbranch_execz .LBB98_21
; %bb.20:
	s_waitcnt lgkmcnt(0)
	v_dual_max_f32 v4, v4, v4 :: v_dual_max_f32 v1, v1, v1
	s_delay_alu instid0(VALU_DEP_1)
	v_max_f32_e32 v1, v1, v4
	ds_store_b32 v9, v1 offset:256
.LBB98_21:
	s_or_b32 exec_lo, exec_lo, s0
	v_cmp_gt_u32_e64 s0, 4, v10
	v_dual_mov_b32 v1, 0xff7fffff :: v_dual_lshlrev_b32 v12, 2, v10
	s_waitcnt lgkmcnt(0)
	s_barrier
	buffer_gl0_inv
	s_and_saveexec_b32 s1, s0
	s_cbranch_execz .LBB98_23
; %bb.22:
	ds_load_b32 v1, v12 offset:256
.LBB98_23:
	s_or_b32 exec_lo, exec_lo, s1
	s_waitcnt lgkmcnt(0)
	ds_bpermute_b32 v4, v2, v1
	v_xor_b32_e32 v11, 1, v36
	v_max_f32_e32 v1, v1, v1
	v_mov_b32_e32 v13, 0
	s_delay_alu instid0(VALU_DEP_3) | instskip(NEXT) | instid1(VALU_DEP_1)
	v_cmp_gt_i32_e64 s1, 32, v11
	v_cndmask_b32_e64 v11, v36, v11, s1
	s_sub_i32 s1, s34, s40
	s_delay_alu instid0(SALU_CYCLE_1) | instskip(NEXT) | instid1(VALU_DEP_1)
	s_lshl_b32 s1, s1, 4
	v_lshlrev_b32_e32 v11, 2, v11
	s_add_i32 s1, s1, s15
	s_delay_alu instid0(SALU_CYCLE_1) | instskip(SKIP_3) | instid1(SALU_CYCLE_1)
	s_min_i32 s1, s1, s33
	s_waitcnt lgkmcnt(0)
	v_max_f32_e32 v4, v4, v4
	s_sub_i32 s7, s1, s15
	v_cmp_gt_i32_e64 s1, s7, v0
	s_delay_alu instid0(VALU_DEP_2) | instskip(SKIP_3) | instid1(VALU_DEP_1)
	v_max_f32_e32 v1, v1, v4
	ds_bpermute_b32 v4, v11, v1
	s_waitcnt lgkmcnt(0)
	v_max_f32_e32 v4, v4, v4
	v_max_f32_e32 v1, v1, v4
	v_lshl_add_u32 v4, v0, 2, 0x120
	ds_bpermute_b32 v1, v13, v1
	s_and_saveexec_b32 s15, s1
	s_cbranch_execz .LBB98_27
; %bb.24:
	v_lshl_add_u32 v14, v0, 2, 0x120
	v_mov_b32_e32 v13, 0
	v_mov_b32_e32 v15, v0
	s_mov_b32 s35, 0
	.p2align	6
.LBB98_25:                              ; =>This Inner Loop Header: Depth=1
	ds_load_b32 v16, v14
	v_add_nc_u32_e32 v15, 0x80, v15
	s_delay_alu instid0(VALU_DEP_1) | instskip(NEXT) | instid1(VALU_DEP_1)
	v_cmp_le_i32_e64 s4, s7, v15
	s_or_b32 s35, s4, s35
	s_waitcnt lgkmcnt(0)
	v_sub_f32_e32 v16, v16, v1
	s_delay_alu instid0(VALU_DEP_1) | instskip(NEXT) | instid1(VALU_DEP_1)
	v_mul_f32_e32 v16, 0x3fb8aa3b, v16
	v_exp_f32_e32 v16, v16
	ds_store_b32 v14, v16
	v_dual_add_f32 v13, v13, v16 :: v_dual_add_nc_u32 v14, 0x200, v14
	s_and_not1_b32 exec_lo, exec_lo, s35
	s_cbranch_execnz .LBB98_25
; %bb.26:
	s_or_b32 exec_lo, exec_lo, s35
.LBB98_27:
	s_delay_alu instid0(SALU_CYCLE_1)
	s_or_b32 exec_lo, exec_lo, s15
	ds_bpermute_b32 v3, v3, v13
	s_waitcnt lgkmcnt(0)
	v_add_f32_e32 v3, v13, v3
	ds_bpermute_b32 v7, v7, v3
	s_waitcnt lgkmcnt(0)
	v_add_f32_e32 v3, v3, v7
	;; [unrolled: 3-line block ×5, first 2 shown]
	s_and_saveexec_b32 s4, vcc_lo
	s_cbranch_execz .LBB98_29
; %bb.28:
	ds_store_b32 v9, v3 offset:272
.LBB98_29:
	s_or_b32 exec_lo, exec_lo, s4
	s_waitcnt lgkmcnt(0)
	s_barrier
	buffer_gl0_inv
	s_and_saveexec_b32 s4, s0
	s_cbranch_execz .LBB98_31
; %bb.30:
	ds_load_b32 v3, v12 offset:272
.LBB98_31:
	s_or_b32 exec_lo, exec_lo, s4
	s_waitcnt lgkmcnt(0)
	ds_bpermute_b32 v2, v2, v3
	s_waitcnt lgkmcnt(0)
	v_add_f32_e32 v2, v3, v2
	ds_bpermute_b32 v3, v11, v2
	s_waitcnt lgkmcnt(0)
	v_dual_add_f32 v2, v2, v3 :: v_dual_mov_b32 v3, 0
	ds_bpermute_b32 v2, v3, v2
	s_and_saveexec_b32 s0, s1
	s_cbranch_execz .LBB98_34
; %bb.32:
	s_waitcnt lgkmcnt(0)
	v_add_f32_e32 v3, 0x358637bd, v2
	s_mov_b32 s1, 0
	s_delay_alu instid0(VALU_DEP_1) | instskip(NEXT) | instid1(VALU_DEP_1)
	v_div_scale_f32 v7, null, v3, v3, 1.0
	v_rcp_f32_e32 v8, v7
	s_waitcnt_depctr 0xfff
	v_fma_f32 v9, -v7, v8, 1.0
	s_delay_alu instid0(VALU_DEP_1) | instskip(SKIP_1) | instid1(VALU_DEP_1)
	v_fmac_f32_e32 v8, v9, v8
	v_div_scale_f32 v12, vcc_lo, 1.0, v3, 1.0
	v_mul_f32_e32 v9, v12, v8
	s_delay_alu instid0(VALU_DEP_1) | instskip(NEXT) | instid1(VALU_DEP_1)
	v_fma_f32 v13, -v7, v9, v12
	v_fmac_f32_e32 v9, v13, v8
	s_delay_alu instid0(VALU_DEP_1) | instskip(NEXT) | instid1(VALU_DEP_1)
	v_fma_f32 v7, -v7, v9, v12
	v_div_fmas_f32 v7, v7, v8, v9
	s_delay_alu instid0(VALU_DEP_1)
	v_div_fixup_f32 v3, v7, v3, 1.0
	v_mov_b32_e32 v7, v0
.LBB98_33:                              ; =>This Inner Loop Header: Depth=1
	ds_load_b32 v8, v4
	s_waitcnt lgkmcnt(0)
	v_dual_mul_f32 v8, v3, v8 :: v_dual_add_nc_u32 v7, 0x80, v7
	s_delay_alu instid0(VALU_DEP_1) | instskip(SKIP_3) | instid1(SALU_CYCLE_1)
	v_cmp_le_i32_e32 vcc_lo, s7, v7
	ds_store_b32 v4, v8
	v_add_nc_u32_e32 v4, 0x200, v4
	s_or_b32 s1, vcc_lo, s1
	s_and_not1_b32 exec_lo, exec_lo, s1
	s_cbranch_execnz .LBB98_33
.LBB98_34:
	s_or_b32 exec_lo, exec_lo, s0
	s_mul_i32 s0, s8, s14
	s_waitcnt lgkmcnt(0)
	s_mul_i32 s14, s0, s13
	s_mov_b32 s0, exec_lo
	s_barrier
	buffer_gl0_inv
	v_cmpx_eq_u32_e32 0, v0
	s_cbranch_execz .LBB98_36
; %bb.35:
	s_ashr_i32 s15, s14, 31
	s_mul_i32 s42, s8, s24
	s_lshl_b64 s[40:41], s[14:15], 2
	v_mov_b32_e32 v3, 0
	s_add_u32 s1, s18, s40
	s_addc_u32 s4, s19, s41
	s_ashr_i32 s43, s42, 31
	s_delay_alu instid0(SALU_CYCLE_1) | instskip(NEXT) | instid1(SALU_CYCLE_1)
	s_lshl_b64 s[18:19], s[42:43], 2
	s_add_u32 s1, s1, s18
	s_addc_u32 s4, s4, s19
	s_ashr_i32 s13, s12, 31
	s_delay_alu instid0(SALU_CYCLE_1) | instskip(NEXT) | instid1(SALU_CYCLE_1)
	s_lshl_b64 s[42:43], s[12:13], 2
	s_add_u32 s44, s1, s42
	s_addc_u32 s45, s4, s43
	s_add_u32 s1, s16, s40
	s_addc_u32 s4, s17, s41
	;; [unrolled: 2-line block ×4, first 2 shown]
	s_clause 0x1
	global_store_b32 v3, v1, s[44:45]
	global_store_b32 v3, v2, s[16:17]
.LBB98_36:
	s_or_b32 exec_lo, exec_lo, s0
	v_dual_mov_b32 v19, 0 :: v_dual_mov_b32 v14, 0
	v_dual_mov_b32 v15, 0 :: v_dual_mov_b32 v16, 0
	;; [unrolled: 1-line block ×4, first 2 shown]
	s_mov_b32 s4, 0
	s_and_saveexec_b32 s1, s3
	s_cbranch_execz .LBB98_58
; %bb.37:
	s_ashr_i32 s7, s6, 31
	s_sub_i32 s3, s38, s9
	s_lshl_b64 s[6:7], s[6:7], 1
	v_dual_mov_b32 v17, 0 :: v_dual_and_b32 v20, 8, v35
	s_add_u32 s0, s30, s6
	s_addc_u32 s15, s31, s7
	s_abs_i32 s6, s10
	s_add_i32 s37, s37, -1
	v_cvt_f32_u32_e32 v1, s6
	s_sub_i32 s16, 0, s6
	v_dual_mov_b32 v12, 0 :: v_dual_mov_b32 v15, 0
	v_mov_b32_e32 v13, 0
	s_delay_alu instid0(VALU_DEP_3)
	v_rcp_iflag_f32_e32 v3, v1
	v_lshlrev_b32_e32 v4, 4, v0
	v_lshlrev_b64 v[1:2], 2, v[5:6]
	v_lshlrev_b32_e32 v6, 5, v32
	v_dual_mov_b32 v16, 0 :: v_dual_mov_b32 v19, 0
	v_mov_b32_e32 v14, 0
	s_mov_b32 s7, s33
	s_delay_alu instid0(VALU_DEP_3) | instskip(NEXT) | instid1(TRANS32_DEP_1)
	v_lshl_or_b32 v6, v33, 6, v6
	v_dual_mov_b32 v18, 0 :: v_dual_mul_f32 v3, 0x4f7ffffe, v3
	v_and_b32_e32 v4, 0x1f0, v4
	s_mov_b32 s9, s33
	s_delay_alu instid0(VALU_DEP_3) | instskip(SKIP_3) | instid1(VALU_DEP_1)
	v_add_nc_u32_e32 v23, 0x120, v6
	s_mov_b32 s10, s33
	v_cvt_u32_f32_e32 v3, v3
	v_add_co_u32 v21, s0, s0, v4
	v_add_co_ci_u32_e64 v22, null, s15, 0, s0
	s_delay_alu instid0(VALU_DEP_3)
	v_mul_lo_u32 v7, s16, v3
	s_lshl_b64 s[16:17], s[28:29], 2
	s_mov_b32 s13, s33
	s_add_u32 s16, s26, s16
	s_addc_u32 s17, s27, s17
	v_add_co_u32 v6, vcc_lo, s16, v1
	s_mov_b32 s15, s33
	s_delay_alu instid0(VALU_DEP_2) | instskip(SKIP_3) | instid1(VALU_DEP_2)
	v_mul_hi_u32 v8, v3, v7
	v_add_co_ci_u32_e32 v7, vcc_lo, s17, v2, vcc_lo
	s_mov_b32 s16, s33
	s_mov_b32 s17, s33
	v_add_nc_u32_e32 v24, v3, v8
	s_branch .LBB98_40
.LBB98_38:                              ;   in Loop: Header=BB98_40 Depth=1
	s_or_b32 exec_lo, exec_lo, s0
	v_dual_add_f32 v8, v53, v54 :: v_dual_add_f32 v9, v51, v52
	s_waitcnt vmcnt(0)
	;;#ASMSTART
	v_pk_mul_f16 v1, v42, v1;

	;;#ASMEND
	v_add_f32_e32 v25, v49, v50
	;;#ASMSTART
	v_pk_mul_f16 v2, v41, v2;

	;;#ASMEND
	;;#ASMSTART
	v_pk_mul_f16 v3, v40, v3;

	;;#ASMEND
	v_add_f32_e32 v14, v14, v9
	;;#ASMSTART
	v_pk_mul_f16 v4, v38, v4;

	;;#ASMEND
	;;#ASMSTART
	v_pk_add_f16 v1, v1, v2;

	;;#ASMEND
	;;#ASMSTART
	v_pk_add_f16 v1, v1, v3;
	;; [unrolled: 4-line block ×3, first 2 shown]

	;;#ASMEND
	v_dual_add_f32 v15, v15, v8 :: v_dual_and_b32 v2, 0xffff, v1
	v_lshrrev_b32_e32 v1, 16, v1
	;;#ASMSTART
	v_cvt_f32_f16 v2, v2;
	;;#ASMEND
	;;#ASMSTART
	v_cvt_f32_f16 v1, v1;
	;;#ASMEND
	v_dual_add_f32 v13, v13, v25 :: v_dual_add_f32 v8, v47, v48
	v_dual_add_f32 v3, v45, v46 :: v_dual_add_f32 v4, v43, v44
	v_add_f32_e32 v9, v37, v39
	s_delay_alu instid0(VALU_DEP_2) | instskip(NEXT) | instid1(VALU_DEP_3)
	v_dual_add_f32 v1, v2, v1 :: v_dual_add_f32 v16, v16, v3
	v_add_f32_e32 v18, v18, v4
	s_delay_alu instid0(VALU_DEP_3) | instskip(NEXT) | instid1(VALU_DEP_3)
	v_dual_add_f32 v17, v17, v8 :: v_dual_add_f32 v12, v12, v9
	v_add_f32_e32 v19, v19, v1
.LBB98_39:                              ;   in Loop: Header=BB98_40 Depth=1
	s_or_b32 exec_lo, exec_lo, s18
	v_add_nc_u32_e32 v5, 4, v5
	v_add_co_u32 v6, s0, v6, 16
	s_delay_alu instid0(VALU_DEP_1) | instskip(NEXT) | instid1(VALU_DEP_3)
	v_add_co_ci_u32_e64 v7, s0, 0, v7, s0
	v_cmp_le_i32_e32 vcc_lo, s34, v5
	v_add_nc_u32_e32 v34, 64, v34
	v_add_nc_u32_e32 v23, 0x100, v23
	s_or_b32 s4, vcc_lo, s4
	s_delay_alu instid0(SALU_CYCLE_1)
	s_and_not1_b32 exec_lo, exec_lo, s4
	s_cbranch_execz .LBB98_57
.LBB98_40:                              ; =>This Inner Loop Header: Depth=1
	v_sub_nc_u32_e32 v1, 0, v34
	s_delay_alu instid0(VALU_DEP_1) | instskip(NEXT) | instid1(VALU_DEP_1)
	v_max_i32_e32 v1, v34, v1
	v_mul_hi_u32 v2, v1, s25
	s_delay_alu instid0(VALU_DEP_1) | instskip(NEXT) | instid1(VALU_DEP_1)
	v_mul_lo_u32 v3, v2, s21
	v_sub_nc_u32_e32 v1, v1, v3
	v_add_nc_u32_e32 v3, 1, v2
	s_delay_alu instid0(VALU_DEP_2) | instskip(SKIP_1) | instid1(VALU_DEP_2)
	v_subrev_nc_u32_e32 v4, s21, v1
	v_cmp_le_u32_e32 vcc_lo, s21, v1
	v_dual_cndmask_b32 v2, v2, v3 :: v_dual_cndmask_b32 v1, v1, v4
	v_ashrrev_i32_e32 v3, 31, v34
	s_delay_alu instid0(VALU_DEP_2) | instskip(NEXT) | instid1(VALU_DEP_3)
	v_add_nc_u32_e32 v4, 1, v2
	v_cmp_le_u32_e32 vcc_lo, s21, v1
	s_delay_alu instid0(VALU_DEP_3) | instskip(NEXT) | instid1(VALU_DEP_3)
	v_xor_b32_e32 v3, s11, v3
	v_cndmask_b32_e32 v1, v2, v4, vcc_lo
	s_delay_alu instid0(VALU_DEP_1) | instskip(NEXT) | instid1(VALU_DEP_1)
	v_xor_b32_e32 v1, v1, v3
	v_sub_nc_u32_e32 v1, v1, v3
	s_delay_alu instid0(VALU_DEP_1) | instskip(SKIP_1) | instid1(VALU_DEP_2)
	v_add_nc_u32_e32 v2, s36, v1
	v_cmp_lt_i32_e64 s0, s3, v1
	v_sub_nc_u32_e32 v3, 0, v2
	s_delay_alu instid0(VALU_DEP_1) | instskip(NEXT) | instid1(VALU_DEP_1)
	v_max_i32_e32 v3, v2, v3
	v_mul_hi_u32 v4, v3, v24
	s_delay_alu instid0(VALU_DEP_1) | instskip(NEXT) | instid1(VALU_DEP_1)
	v_mul_lo_u32 v4, v4, s6
	v_sub_nc_u32_e32 v3, v3, v4
	s_delay_alu instid0(VALU_DEP_1) | instskip(SKIP_1) | instid1(VALU_DEP_2)
	v_subrev_nc_u32_e32 v4, s6, v3
	v_cmp_le_u32_e32 vcc_lo, s6, v3
	v_cndmask_b32_e32 v3, v3, v4, vcc_lo
	v_ashrrev_i32_e32 v2, 31, v2
	s_delay_alu instid0(VALU_DEP_2) | instskip(SKIP_1) | instid1(VALU_DEP_2)
	v_subrev_nc_u32_e32 v4, s6, v3
	v_cmp_le_u32_e32 vcc_lo, s6, v3
	v_cndmask_b32_e32 v3, v3, v4, vcc_lo
	s_delay_alu instid0(VALU_DEP_1) | instskip(NEXT) | instid1(VALU_DEP_1)
	v_xor_b32_e32 v3, v3, v2
	v_sub_nc_u32_e32 v2, v3, v2
	s_delay_alu instid0(VALU_DEP_1) | instskip(SKIP_1) | instid1(SALU_CYCLE_1)
	v_cmp_eq_u32_e32 vcc_lo, 0, v2
	s_or_b32 s0, vcc_lo, s0
	s_and_saveexec_b32 s18, s0
	s_cbranch_execz .LBB98_39
; %bb.41:                               ;   in Loop: Header=BB98_40 Depth=1
	global_load_b32 v29, v[6:7], off
	ds_load_2addr_b64 v[1:4], v23 offset1:1
	ds_load_2addr_b64 v[25:28], v23 offset0:2 offset1:3
	s_waitcnt lgkmcnt(1)
	;;#ASMSTART
	v_cvt_f16_f32 v40, v1;

	;;#ASMEND
	;;#ASMSTART
	v_cvt_f16_f32 v37, v2;

	;;#ASMEND
	;;#ASMSTART
	v_cvt_f16_f32 v41, v3;

	;;#ASMEND
	;;#ASMSTART
	v_cvt_f16_f32 v38, v4;

	;;#ASMEND
	s_waitcnt lgkmcnt(0)
	;;#ASMSTART
	v_cvt_f16_f32 v42, v25;

	;;#ASMEND
	;;#ASMSTART
	v_cvt_f16_f32 v39, v26;

	;;#ASMEND
	;; [unrolled: 4-line block ×4, first 2 shown]
	v_add_nc_u32_e32 v25, v20, v34
	s_delay_alu instid0(VALU_DEP_1)
	v_add_nc_u32_e32 v26, 1, v25
	v_or_b32_e32 v28, 3, v25
	v_or_b32_e32 v27, 2, v25
	;; [unrolled: 1-line block ×5, first 2 shown]
	s_waitcnt vmcnt(0)
	v_mad_i64_i32 v[8:9], null, v29, s5, 0
	v_or_b32_e32 v29, 4, v25
	s_delay_alu instid0(VALU_DEP_2) | instskip(NEXT) | instid1(VALU_DEP_1)
	v_lshlrev_b64 v[8:9], 1, v[8:9]
	v_add_co_u32 v8, vcc_lo, v21, v8
	s_delay_alu instid0(VALU_DEP_2)
	v_add_co_ci_u32_e32 v9, vcc_lo, v22, v9, vcc_lo
	v_cmp_eq_u32_e32 vcc_lo, s37, v5
	global_load_b128 v[1:4], v[8:9], off
	s_and_saveexec_b32 s19, vcc_lo
	s_cbranch_execz .LBB98_43
; %bb.42:                               ;   in Loop: Header=BB98_40 Depth=1
	v_cmp_gt_i32_e64 s0, s16, v36
	s_waitcnt vmcnt(0)
	v_lshrrev_b32_e32 v45, 16, v4
	v_lshrrev_b32_e32 v46, 16, v3
	;; [unrolled: 1-line block ×4, first 2 shown]
	v_cndmask_b32_e64 v4, 0, v4, s0
	v_cmp_gt_i32_e64 s0, s17, v35
	s_delay_alu instid0(VALU_DEP_1) | instskip(SKIP_1) | instid1(VALU_DEP_2)
	v_cndmask_b32_e64 v45, 0, v45, s0
	v_cmp_gt_i32_e64 s0, s15, v30
	v_perm_b32 v4, v45, v4, 0x5040100
	s_delay_alu instid0(VALU_DEP_2) | instskip(SKIP_1) | instid1(VALU_DEP_1)
	v_cndmask_b32_e64 v46, 0, v46, s0
	v_cmp_gt_i32_e64 s0, s13, v29
	v_cndmask_b32_e64 v3, 0, v3, s0
	v_cmp_gt_i32_e64 s0, s10, v28
	s_delay_alu instid0(VALU_DEP_2) | instskip(NEXT) | instid1(VALU_DEP_2)
	v_perm_b32 v3, v46, v3, 0x5040100
	v_cndmask_b32_e64 v47, 0, v47, s0
	v_cmp_gt_i32_e64 s0, s9, v27
	s_delay_alu instid0(VALU_DEP_1) | instskip(SKIP_1) | instid1(VALU_DEP_2)
	v_cndmask_b32_e64 v2, 0, v2, s0
	v_cmp_gt_i32_e64 s0, s7, v26
	v_perm_b32 v2, v47, v2, 0x5040100
	s_delay_alu instid0(VALU_DEP_2) | instskip(SKIP_1) | instid1(VALU_DEP_1)
	v_cndmask_b32_e64 v48, 0, v48, s0
	v_cmp_gt_i32_e64 s0, s33, v25
	v_cndmask_b32_e64 v1, 0, v1, s0
	s_delay_alu instid0(VALU_DEP_1)
	v_perm_b32 v1, v48, v1, 0x5040100
.LBB98_43:                              ;   in Loop: Header=BB98_40 Depth=1
	s_or_b32 exec_lo, exec_lo, s19
	v_and_b32_e32 v40, 0xffff, v40
	v_and_b32_e32 v41, 0xffff, v41
	;; [unrolled: 1-line block ×4, first 2 shown]
	s_delay_alu instid0(VALU_DEP_4)
	v_lshl_or_b32 v42, v37, 16, v40
	s_waitcnt vmcnt(0)
	;;#ASMSTART
	v_pk_mul_f16 v1, v42, v1;

	;;#ASMEND
	v_lshl_or_b32 v41, v38, 16, v41
	v_lshl_or_b32 v40, v39, 16, v45
	;; [unrolled: 1-line block ×3, first 2 shown]
	;;#ASMSTART
	v_pk_mul_f16 v2, v41, v2;

	;;#ASMEND
	;;#ASMSTART
	v_pk_mul_f16 v3, v40, v3;

	;;#ASMEND
	;; [unrolled: 4-line block ×3, first 2 shown]
	;;#ASMSTART
	v_pk_add_f16 v1, v1, v2;

	;;#ASMEND
	;;#ASMSTART
	v_pk_add_f16 v1, v1, v3;

	;;#ASMEND
	;; [unrolled: 4-line block ×3, first 2 shown]
	v_and_b32_e32 v2, 0xffff, v1
	v_lshrrev_b32_e32 v1, 16, v1
	;;#ASMSTART
	v_cvt_f32_f16 v37, v2;
	;;#ASMEND
	;;#ASMSTART
	v_cvt_f32_f16 v39, v1;
	;;#ASMEND
	global_load_b128 v[1:4], v[8:9], off offset:512
	s_and_saveexec_b32 s19, vcc_lo
	s_cbranch_execz .LBB98_45
; %bb.44:                               ;   in Loop: Header=BB98_40 Depth=1
	v_cmp_gt_i32_e64 s0, s16, v36
	s_waitcnt vmcnt(0)
	v_lshrrev_b32_e32 v43, 16, v4
	v_lshrrev_b32_e32 v44, 16, v3
	;; [unrolled: 1-line block ×4, first 2 shown]
	v_cndmask_b32_e64 v4, 0, v4, s0
	v_cmp_gt_i32_e64 s0, s17, v35
	s_delay_alu instid0(VALU_DEP_1) | instskip(SKIP_1) | instid1(VALU_DEP_2)
	v_cndmask_b32_e64 v43, 0, v43, s0
	v_cmp_gt_i32_e64 s0, s15, v30
	v_perm_b32 v4, v43, v4, 0x5040100
	s_delay_alu instid0(VALU_DEP_2) | instskip(SKIP_1) | instid1(VALU_DEP_1)
	v_cndmask_b32_e64 v44, 0, v44, s0
	v_cmp_gt_i32_e64 s0, s13, v29
	v_cndmask_b32_e64 v3, 0, v3, s0
	v_cmp_gt_i32_e64 s0, s10, v28
	s_delay_alu instid0(VALU_DEP_2) | instskip(NEXT) | instid1(VALU_DEP_2)
	v_perm_b32 v3, v44, v3, 0x5040100
	v_cndmask_b32_e64 v45, 0, v45, s0
	v_cmp_gt_i32_e64 s0, s9, v27
	s_delay_alu instid0(VALU_DEP_1) | instskip(SKIP_1) | instid1(VALU_DEP_2)
	v_cndmask_b32_e64 v2, 0, v2, s0
	v_cmp_gt_i32_e64 s0, s7, v26
	v_perm_b32 v2, v45, v2, 0x5040100
	s_delay_alu instid0(VALU_DEP_2) | instskip(SKIP_1) | instid1(VALU_DEP_1)
	v_cndmask_b32_e64 v46, 0, v46, s0
	v_cmp_gt_i32_e64 s0, s33, v25
	v_cndmask_b32_e64 v1, 0, v1, s0
	s_delay_alu instid0(VALU_DEP_1)
	v_perm_b32 v1, v46, v1, 0x5040100
.LBB98_45:                              ;   in Loop: Header=BB98_40 Depth=1
	s_or_b32 exec_lo, exec_lo, s19
	s_waitcnt vmcnt(0)
	;;#ASMSTART
	v_pk_mul_f16 v1, v42, v1;

	;;#ASMEND
	;;#ASMSTART
	v_pk_mul_f16 v2, v41, v2;

	;;#ASMEND
	;; [unrolled: 4-line block ×4, first 2 shown]
	;;#ASMSTART
	v_pk_add_f16 v1, v1, v2;

	;;#ASMEND
	;;#ASMSTART
	v_pk_add_f16 v1, v1, v3;

	;;#ASMEND
	;; [unrolled: 4-line block ×3, first 2 shown]
	v_and_b32_e32 v2, 0xffff, v1
	v_lshrrev_b32_e32 v1, 16, v1
	;;#ASMSTART
	v_cvt_f32_f16 v43, v2;
	;;#ASMEND
	;;#ASMSTART
	v_cvt_f32_f16 v44, v1;
	;;#ASMEND
	global_load_b128 v[1:4], v[8:9], off offset:1024
	s_and_saveexec_b32 s19, vcc_lo
	s_cbranch_execz .LBB98_47
; %bb.46:                               ;   in Loop: Header=BB98_40 Depth=1
	v_cmp_gt_i32_e64 s0, s16, v36
	s_waitcnt vmcnt(0)
	v_lshrrev_b32_e32 v45, 16, v4
	v_lshrrev_b32_e32 v46, 16, v3
	;; [unrolled: 1-line block ×4, first 2 shown]
	v_cndmask_b32_e64 v4, 0, v4, s0
	v_cmp_gt_i32_e64 s0, s17, v35
	s_delay_alu instid0(VALU_DEP_1) | instskip(SKIP_1) | instid1(VALU_DEP_2)
	v_cndmask_b32_e64 v45, 0, v45, s0
	v_cmp_gt_i32_e64 s0, s15, v30
	v_perm_b32 v4, v45, v4, 0x5040100
	s_delay_alu instid0(VALU_DEP_2) | instskip(SKIP_1) | instid1(VALU_DEP_1)
	v_cndmask_b32_e64 v46, 0, v46, s0
	v_cmp_gt_i32_e64 s0, s13, v29
	v_cndmask_b32_e64 v3, 0, v3, s0
	v_cmp_gt_i32_e64 s0, s10, v28
	s_delay_alu instid0(VALU_DEP_2) | instskip(NEXT) | instid1(VALU_DEP_2)
	v_perm_b32 v3, v46, v3, 0x5040100
	v_cndmask_b32_e64 v47, 0, v47, s0
	v_cmp_gt_i32_e64 s0, s9, v27
	s_delay_alu instid0(VALU_DEP_1) | instskip(SKIP_1) | instid1(VALU_DEP_2)
	v_cndmask_b32_e64 v2, 0, v2, s0
	v_cmp_gt_i32_e64 s0, s7, v26
	v_perm_b32 v2, v47, v2, 0x5040100
	s_delay_alu instid0(VALU_DEP_2) | instskip(SKIP_1) | instid1(VALU_DEP_1)
	v_cndmask_b32_e64 v48, 0, v48, s0
	v_cmp_gt_i32_e64 s0, s33, v25
	v_cndmask_b32_e64 v1, 0, v1, s0
	s_delay_alu instid0(VALU_DEP_1)
	v_perm_b32 v1, v48, v1, 0x5040100
.LBB98_47:                              ;   in Loop: Header=BB98_40 Depth=1
	s_or_b32 exec_lo, exec_lo, s19
	s_waitcnt vmcnt(0)
	;;#ASMSTART
	v_pk_mul_f16 v1, v42, v1;

	;;#ASMEND
	;;#ASMSTART
	v_pk_mul_f16 v2, v41, v2;

	;;#ASMEND
	;; [unrolled: 4-line block ×4, first 2 shown]
	;;#ASMSTART
	v_pk_add_f16 v1, v1, v2;

	;;#ASMEND
	;;#ASMSTART
	v_pk_add_f16 v1, v1, v3;

	;;#ASMEND
	;;#ASMSTART
	v_pk_add_f16 v1, v1, v4;

	;;#ASMEND
	v_and_b32_e32 v2, 0xffff, v1
	v_lshrrev_b32_e32 v1, 16, v1
	;;#ASMSTART
	v_cvt_f32_f16 v45, v2;
	;;#ASMEND
	;;#ASMSTART
	v_cvt_f32_f16 v46, v1;
	;;#ASMEND
	global_load_b128 v[1:4], v[8:9], off offset:1536
	s_and_saveexec_b32 s19, vcc_lo
	s_cbranch_execz .LBB98_49
; %bb.48:                               ;   in Loop: Header=BB98_40 Depth=1
	v_cmp_gt_i32_e64 s0, s16, v36
	s_waitcnt vmcnt(0)
	v_lshrrev_b32_e32 v47, 16, v4
	v_lshrrev_b32_e32 v48, 16, v3
	;; [unrolled: 1-line block ×4, first 2 shown]
	v_cndmask_b32_e64 v4, 0, v4, s0
	v_cmp_gt_i32_e64 s0, s17, v35
	s_delay_alu instid0(VALU_DEP_1) | instskip(SKIP_1) | instid1(VALU_DEP_2)
	v_cndmask_b32_e64 v47, 0, v47, s0
	v_cmp_gt_i32_e64 s0, s15, v30
	v_perm_b32 v4, v47, v4, 0x5040100
	s_delay_alu instid0(VALU_DEP_2) | instskip(SKIP_1) | instid1(VALU_DEP_1)
	v_cndmask_b32_e64 v48, 0, v48, s0
	v_cmp_gt_i32_e64 s0, s13, v29
	v_cndmask_b32_e64 v3, 0, v3, s0
	v_cmp_gt_i32_e64 s0, s10, v28
	s_delay_alu instid0(VALU_DEP_2) | instskip(NEXT) | instid1(VALU_DEP_2)
	v_perm_b32 v3, v48, v3, 0x5040100
	v_cndmask_b32_e64 v49, 0, v49, s0
	v_cmp_gt_i32_e64 s0, s9, v27
	s_delay_alu instid0(VALU_DEP_1) | instskip(SKIP_1) | instid1(VALU_DEP_2)
	v_cndmask_b32_e64 v2, 0, v2, s0
	v_cmp_gt_i32_e64 s0, s7, v26
	v_perm_b32 v2, v49, v2, 0x5040100
	s_delay_alu instid0(VALU_DEP_2) | instskip(SKIP_1) | instid1(VALU_DEP_1)
	v_cndmask_b32_e64 v50, 0, v50, s0
	v_cmp_gt_i32_e64 s0, s33, v25
	v_cndmask_b32_e64 v1, 0, v1, s0
	s_delay_alu instid0(VALU_DEP_1)
	v_perm_b32 v1, v50, v1, 0x5040100
.LBB98_49:                              ;   in Loop: Header=BB98_40 Depth=1
	s_or_b32 exec_lo, exec_lo, s19
	s_waitcnt vmcnt(0)
	;;#ASMSTART
	v_pk_mul_f16 v1, v42, v1;

	;;#ASMEND
	;;#ASMSTART
	v_pk_mul_f16 v2, v41, v2;

	;;#ASMEND
	;; [unrolled: 4-line block ×4, first 2 shown]
	;;#ASMSTART
	v_pk_add_f16 v1, v1, v2;

	;;#ASMEND
	;;#ASMSTART
	v_pk_add_f16 v1, v1, v3;

	;;#ASMEND
	;; [unrolled: 4-line block ×3, first 2 shown]
	v_and_b32_e32 v2, 0xffff, v1
	v_lshrrev_b32_e32 v1, 16, v1
	;;#ASMSTART
	v_cvt_f32_f16 v47, v2;
	;;#ASMEND
	;;#ASMSTART
	v_cvt_f32_f16 v48, v1;
	;;#ASMEND
	global_load_b128 v[1:4], v[8:9], off offset:2048
	s_and_saveexec_b32 s19, vcc_lo
	s_cbranch_execz .LBB98_51
; %bb.50:                               ;   in Loop: Header=BB98_40 Depth=1
	v_cmp_gt_i32_e64 s0, s16, v36
	s_waitcnt vmcnt(0)
	v_lshrrev_b32_e32 v49, 16, v4
	v_lshrrev_b32_e32 v50, 16, v3
	;; [unrolled: 1-line block ×4, first 2 shown]
	v_cndmask_b32_e64 v4, 0, v4, s0
	v_cmp_gt_i32_e64 s0, s17, v35
	s_delay_alu instid0(VALU_DEP_1) | instskip(SKIP_1) | instid1(VALU_DEP_2)
	v_cndmask_b32_e64 v49, 0, v49, s0
	v_cmp_gt_i32_e64 s0, s15, v30
	v_perm_b32 v4, v49, v4, 0x5040100
	s_delay_alu instid0(VALU_DEP_2) | instskip(SKIP_1) | instid1(VALU_DEP_1)
	v_cndmask_b32_e64 v50, 0, v50, s0
	v_cmp_gt_i32_e64 s0, s13, v29
	v_cndmask_b32_e64 v3, 0, v3, s0
	v_cmp_gt_i32_e64 s0, s10, v28
	s_delay_alu instid0(VALU_DEP_2) | instskip(NEXT) | instid1(VALU_DEP_2)
	v_perm_b32 v3, v50, v3, 0x5040100
	v_cndmask_b32_e64 v51, 0, v51, s0
	v_cmp_gt_i32_e64 s0, s9, v27
	s_delay_alu instid0(VALU_DEP_1) | instskip(SKIP_1) | instid1(VALU_DEP_2)
	v_cndmask_b32_e64 v2, 0, v2, s0
	v_cmp_gt_i32_e64 s0, s7, v26
	v_perm_b32 v2, v51, v2, 0x5040100
	s_delay_alu instid0(VALU_DEP_2) | instskip(SKIP_1) | instid1(VALU_DEP_1)
	v_cndmask_b32_e64 v52, 0, v52, s0
	v_cmp_gt_i32_e64 s0, s33, v25
	v_cndmask_b32_e64 v1, 0, v1, s0
	s_delay_alu instid0(VALU_DEP_1)
	v_perm_b32 v1, v52, v1, 0x5040100
.LBB98_51:                              ;   in Loop: Header=BB98_40 Depth=1
	s_or_b32 exec_lo, exec_lo, s19
	s_waitcnt vmcnt(0)
	;;#ASMSTART
	v_pk_mul_f16 v1, v42, v1;

	;;#ASMEND
	;;#ASMSTART
	v_pk_mul_f16 v2, v41, v2;

	;;#ASMEND
	;; [unrolled: 4-line block ×4, first 2 shown]
	;;#ASMSTART
	v_pk_add_f16 v1, v1, v2;

	;;#ASMEND
	;;#ASMSTART
	v_pk_add_f16 v1, v1, v3;

	;;#ASMEND
	;; [unrolled: 4-line block ×3, first 2 shown]
	v_and_b32_e32 v2, 0xffff, v1
	v_lshrrev_b32_e32 v1, 16, v1
	;;#ASMSTART
	v_cvt_f32_f16 v49, v2;
	;;#ASMEND
	;;#ASMSTART
	v_cvt_f32_f16 v50, v1;
	;;#ASMEND
	global_load_b128 v[1:4], v[8:9], off offset:2560
	s_and_saveexec_b32 s19, vcc_lo
	s_cbranch_execz .LBB98_53
; %bb.52:                               ;   in Loop: Header=BB98_40 Depth=1
	v_cmp_gt_i32_e64 s0, s16, v36
	s_waitcnt vmcnt(0)
	v_lshrrev_b32_e32 v51, 16, v4
	v_lshrrev_b32_e32 v52, 16, v3
	;; [unrolled: 1-line block ×4, first 2 shown]
	v_cndmask_b32_e64 v4, 0, v4, s0
	v_cmp_gt_i32_e64 s0, s17, v35
	s_delay_alu instid0(VALU_DEP_1) | instskip(SKIP_1) | instid1(VALU_DEP_2)
	v_cndmask_b32_e64 v51, 0, v51, s0
	v_cmp_gt_i32_e64 s0, s15, v30
	v_perm_b32 v4, v51, v4, 0x5040100
	s_delay_alu instid0(VALU_DEP_2) | instskip(SKIP_1) | instid1(VALU_DEP_1)
	v_cndmask_b32_e64 v52, 0, v52, s0
	v_cmp_gt_i32_e64 s0, s13, v29
	v_cndmask_b32_e64 v3, 0, v3, s0
	v_cmp_gt_i32_e64 s0, s10, v28
	s_delay_alu instid0(VALU_DEP_2) | instskip(NEXT) | instid1(VALU_DEP_2)
	v_perm_b32 v3, v52, v3, 0x5040100
	v_cndmask_b32_e64 v53, 0, v53, s0
	v_cmp_gt_i32_e64 s0, s9, v27
	s_delay_alu instid0(VALU_DEP_1) | instskip(SKIP_1) | instid1(VALU_DEP_2)
	v_cndmask_b32_e64 v2, 0, v2, s0
	v_cmp_gt_i32_e64 s0, s7, v26
	v_perm_b32 v2, v53, v2, 0x5040100
	s_delay_alu instid0(VALU_DEP_2) | instskip(SKIP_1) | instid1(VALU_DEP_1)
	v_cndmask_b32_e64 v54, 0, v54, s0
	v_cmp_gt_i32_e64 s0, s33, v25
	v_cndmask_b32_e64 v1, 0, v1, s0
	s_delay_alu instid0(VALU_DEP_1)
	v_perm_b32 v1, v54, v1, 0x5040100
.LBB98_53:                              ;   in Loop: Header=BB98_40 Depth=1
	s_or_b32 exec_lo, exec_lo, s19
	s_waitcnt vmcnt(0)
	;;#ASMSTART
	v_pk_mul_f16 v1, v42, v1;

	;;#ASMEND
	;;#ASMSTART
	v_pk_mul_f16 v2, v41, v2;

	;;#ASMEND
	;; [unrolled: 4-line block ×4, first 2 shown]
	;;#ASMSTART
	v_pk_add_f16 v1, v1, v2;

	;;#ASMEND
	;;#ASMSTART
	v_pk_add_f16 v1, v1, v3;

	;;#ASMEND
	;; [unrolled: 4-line block ×3, first 2 shown]
	v_and_b32_e32 v2, 0xffff, v1
	v_lshrrev_b32_e32 v1, 16, v1
	;;#ASMSTART
	v_cvt_f32_f16 v51, v2;
	;;#ASMEND
	;;#ASMSTART
	v_cvt_f32_f16 v52, v1;
	;;#ASMEND
	global_load_b128 v[1:4], v[8:9], off offset:3072
	s_and_saveexec_b32 s19, vcc_lo
	s_cbranch_execz .LBB98_55
; %bb.54:                               ;   in Loop: Header=BB98_40 Depth=1
	v_cmp_gt_i32_e64 s0, s16, v36
	s_waitcnt vmcnt(0)
	v_lshrrev_b32_e32 v53, 16, v4
	v_lshrrev_b32_e32 v54, 16, v3
	;; [unrolled: 1-line block ×4, first 2 shown]
	v_cndmask_b32_e64 v4, 0, v4, s0
	v_cmp_gt_i32_e64 s0, s17, v35
	s_delay_alu instid0(VALU_DEP_1) | instskip(SKIP_1) | instid1(VALU_DEP_2)
	v_cndmask_b32_e64 v53, 0, v53, s0
	v_cmp_gt_i32_e64 s0, s15, v30
	v_perm_b32 v4, v53, v4, 0x5040100
	s_delay_alu instid0(VALU_DEP_2) | instskip(SKIP_1) | instid1(VALU_DEP_1)
	v_cndmask_b32_e64 v54, 0, v54, s0
	v_cmp_gt_i32_e64 s0, s13, v29
	v_cndmask_b32_e64 v3, 0, v3, s0
	v_cmp_gt_i32_e64 s0, s10, v28
	s_delay_alu instid0(VALU_DEP_2) | instskip(NEXT) | instid1(VALU_DEP_2)
	v_perm_b32 v3, v54, v3, 0x5040100
	v_cndmask_b32_e64 v55, 0, v55, s0
	v_cmp_gt_i32_e64 s0, s9, v27
	s_delay_alu instid0(VALU_DEP_1) | instskip(SKIP_1) | instid1(VALU_DEP_2)
	v_cndmask_b32_e64 v2, 0, v2, s0
	v_cmp_gt_i32_e64 s0, s7, v26
	v_perm_b32 v2, v55, v2, 0x5040100
	s_delay_alu instid0(VALU_DEP_2) | instskip(SKIP_1) | instid1(VALU_DEP_1)
	v_cndmask_b32_e64 v56, 0, v56, s0
	v_cmp_gt_i32_e64 s0, s33, v25
	v_cndmask_b32_e64 v1, 0, v1, s0
	s_delay_alu instid0(VALU_DEP_1)
	v_perm_b32 v1, v56, v1, 0x5040100
.LBB98_55:                              ;   in Loop: Header=BB98_40 Depth=1
	s_or_b32 exec_lo, exec_lo, s19
	s_waitcnt vmcnt(0)
	;;#ASMSTART
	v_pk_mul_f16 v1, v42, v1;

	;;#ASMEND
	;;#ASMSTART
	v_pk_mul_f16 v2, v41, v2;

	;;#ASMEND
	;; [unrolled: 4-line block ×4, first 2 shown]
	;;#ASMSTART
	v_pk_add_f16 v1, v1, v2;

	;;#ASMEND
	;;#ASMSTART
	v_pk_add_f16 v1, v1, v3;

	;;#ASMEND
	;; [unrolled: 4-line block ×3, first 2 shown]
	v_and_b32_e32 v2, 0xffff, v1
	v_lshrrev_b32_e32 v1, 16, v1
	;;#ASMSTART
	v_cvt_f32_f16 v53, v2;
	;;#ASMEND
	;;#ASMSTART
	v_cvt_f32_f16 v54, v1;
	;;#ASMEND
	global_load_b128 v[1:4], v[8:9], off offset:3584
	s_and_saveexec_b32 s0, vcc_lo
	s_cbranch_execz .LBB98_38
; %bb.56:                               ;   in Loop: Header=BB98_40 Depth=1
	v_cmp_gt_i32_e32 vcc_lo, s16, v36
	s_waitcnt vmcnt(0)
	v_lshrrev_b32_e32 v8, 16, v4
	v_lshrrev_b32_e32 v9, 16, v3
	v_cndmask_b32_e32 v4, 0, v4, vcc_lo
	v_cmp_gt_i32_e32 vcc_lo, s17, v35
	s_delay_alu instid0(VALU_DEP_4)
	v_cndmask_b32_e32 v8, 0, v8, vcc_lo
	v_cmp_gt_i32_e32 vcc_lo, s15, v30
	v_lshrrev_b32_e32 v30, 16, v2
	v_cndmask_b32_e32 v9, 0, v9, vcc_lo
	v_cmp_gt_i32_e32 vcc_lo, s13, v29
	v_lshrrev_b32_e32 v29, 16, v1
	v_cndmask_b32_e32 v3, 0, v3, vcc_lo
	v_cmp_gt_i32_e32 vcc_lo, s10, v28
	v_perm_b32 v4, v8, v4, 0x5040100
	s_delay_alu instid0(VALU_DEP_3)
	v_perm_b32 v3, v9, v3, 0x5040100
	v_cndmask_b32_e32 v28, 0, v30, vcc_lo
	v_cmp_gt_i32_e32 vcc_lo, s9, v27
	v_cndmask_b32_e32 v2, 0, v2, vcc_lo
	v_cmp_gt_i32_e32 vcc_lo, s7, v26
	;; [unrolled: 2-line block ×3, first 2 shown]
	v_cndmask_b32_e32 v1, 0, v1, vcc_lo
	v_perm_b32 v2, v28, v2, 0x5040100
	s_delay_alu instid0(VALU_DEP_2)
	v_perm_b32 v1, v26, v1, 0x5040100
	s_branch .LBB98_38
.LBB98_57:
	s_or_b32 exec_lo, exec_lo, s4
.LBB98_58:
	s_delay_alu instid0(SALU_CYCLE_1)
	s_or_b32 exec_lo, exec_lo, s1
	ds_bpermute_b32 v1, v11, v12
	ds_bpermute_b32 v2, v11, v18
	;; [unrolled: 1-line block ×8, first 2 shown]
	v_lshrrev_b32_e32 v9, 1, v10
	v_lshl_add_u32 v10, v33, 9, 0x120
	v_and_b32_e32 v23, 0x3c1, v0
	s_mov_b32 s0, exec_lo
	s_waitcnt lgkmcnt(0)
	s_waitcnt_vscnt null, 0x0
	s_barrier
	buffer_gl0_inv
	v_dual_add_f32 v8, v12, v1 :: v_dual_add_f32 v7, v18, v2
	v_dual_add_f32 v6, v16, v3 :: v_dual_add_f32 v5, v17, v4
	;; [unrolled: 1-line block ×3, first 2 shown]
	v_add_f32_e32 v2, v15, v22
	v_add_f32_e32 v1, v19, v11
	v_cmpx_eq_u32_e32 64, v23
	s_cbranch_execz .LBB98_60
; %bb.59:
	v_lshlrev_b32_e32 v11, 2, v9
	s_delay_alu instid0(VALU_DEP_1)
	v_add3_u32 v11, v10, v11, 0xfffffc00
	ds_store_2addr_b32 v11, v8, v7 offset1:16
	ds_store_2addr_b32 v11, v6, v5 offset0:32 offset1:48
	ds_store_2addr_b32 v11, v4, v3 offset0:64 offset1:80
	;; [unrolled: 1-line block ×3, first 2 shown]
.LBB98_60:
	s_or_b32 exec_lo, exec_lo, s0
	v_cmp_eq_u32_e32 vcc_lo, 0, v32
	s_mov_b32 s1, exec_lo
	s_waitcnt lgkmcnt(0)
	s_barrier
	buffer_gl0_inv
	v_cmpx_gt_u32_e32 64, v0
	s_cbranch_execz .LBB98_71
; %bb.61:
	s_and_saveexec_b32 s0, vcc_lo
	s_cbranch_execnz .LBB98_87
; %bb.62:
	s_or_b32 exec_lo, exec_lo, s0
	s_and_saveexec_b32 s0, vcc_lo
	s_cbranch_execnz .LBB98_88
.LBB98_63:
	s_or_b32 exec_lo, exec_lo, s0
	s_and_saveexec_b32 s0, vcc_lo
	s_cbranch_execnz .LBB98_89
.LBB98_64:
	s_or_b32 exec_lo, exec_lo, s0
	s_and_saveexec_b32 s0, vcc_lo
	s_cbranch_execnz .LBB98_90
.LBB98_65:
	s_or_b32 exec_lo, exec_lo, s0
	s_and_saveexec_b32 s0, vcc_lo
	s_cbranch_execnz .LBB98_91
.LBB98_66:
	s_or_b32 exec_lo, exec_lo, s0
	s_and_saveexec_b32 s0, vcc_lo
	s_cbranch_execnz .LBB98_92
.LBB98_67:
	s_or_b32 exec_lo, exec_lo, s0
	s_and_saveexec_b32 s0, vcc_lo
	s_cbranch_execnz .LBB98_93
.LBB98_68:
	s_or_b32 exec_lo, exec_lo, s0
	s_and_saveexec_b32 s0, vcc_lo
	s_cbranch_execz .LBB98_70
.LBB98_69:
	v_lshl_add_u32 v11, v9, 2, v10
	ds_load_b32 v11, v11 offset:448
	s_waitcnt lgkmcnt(0)
	v_add_f32_e32 v1, v1, v11
.LBB98_70:
	s_or_b32 exec_lo, exec_lo, s0
.LBB98_71:
	s_delay_alu instid0(SALU_CYCLE_1)
	s_or_b32 exec_lo, exec_lo, s1
	v_and_b32_e32 v0, 0x3e1, v0
	s_mov_b32 s1, exec_lo
	s_barrier
	buffer_gl0_inv
	v_cmpx_eq_u32_e32 32, v0
	s_cbranch_execz .LBB98_73
; %bb.72:
	v_lshl_add_u32 v11, v9, 2, 0x120
	ds_store_2addr_b32 v11, v8, v7 offset1:16
	ds_store_2addr_b32 v11, v6, v5 offset0:32 offset1:48
	ds_store_2addr_b32 v11, v4, v3 offset0:64 offset1:80
	;; [unrolled: 1-line block ×3, first 2 shown]
.LBB98_73:
	s_or_b32 exec_lo, exec_lo, s1
	s_waitcnt lgkmcnt(0)
	s_barrier
	buffer_gl0_inv
	s_and_saveexec_b32 s0, s2
	s_cbranch_execz .LBB98_84
; %bb.74:
	v_lshl_add_u32 v9, v9, 2, v10
	s_and_saveexec_b32 s1, vcc_lo
	s_cbranch_execnz .LBB98_94
; %bb.75:
	s_or_b32 exec_lo, exec_lo, s1
	s_and_saveexec_b32 s1, vcc_lo
	s_cbranch_execnz .LBB98_95
.LBB98_76:
	s_or_b32 exec_lo, exec_lo, s1
	s_and_saveexec_b32 s1, vcc_lo
	s_cbranch_execnz .LBB98_96
.LBB98_77:
	s_or_b32 exec_lo, exec_lo, s1
	s_and_saveexec_b32 s1, vcc_lo
	s_cbranch_execnz .LBB98_97
.LBB98_78:
	s_or_b32 exec_lo, exec_lo, s1
	s_and_saveexec_b32 s1, vcc_lo
	s_cbranch_execnz .LBB98_98
.LBB98_79:
	s_or_b32 exec_lo, exec_lo, s1
	s_and_saveexec_b32 s1, vcc_lo
	s_cbranch_execnz .LBB98_99
.LBB98_80:
	s_or_b32 exec_lo, exec_lo, s1
	s_and_saveexec_b32 s1, vcc_lo
	s_cbranch_execnz .LBB98_100
.LBB98_81:
	s_or_b32 exec_lo, exec_lo, s1
	s_and_saveexec_b32 s1, vcc_lo
	s_cbranch_execz .LBB98_83
.LBB98_82:
	ds_load_b32 v9, v9 offset:448
	s_waitcnt lgkmcnt(0)
	v_add_f32_e32 v1, v1, v9
.LBB98_83:
	s_or_b32 exec_lo, exec_lo, s1
.LBB98_84:
	s_delay_alu instid0(SALU_CYCLE_1)
	s_or_b32 exec_lo, exec_lo, s0
	s_barrier
	buffer_gl0_inv
	s_mov_b32 s0, exec_lo
	v_cmpx_eq_u32_e32 0, v0
	s_cbranch_execz .LBB98_86
; %bb.85:
	s_lshl_b32 s0, s14, 7
	s_mul_i32 s2, s8, s20
	s_ashr_i32 s1, s0, 31
	v_lshlrev_b32_e32 v0, 1, v31
	s_lshl_b64 s[0:1], s[0:1], 1
	;;#ASMSTART
	v_cvt_f16_f32 v8, v8;

	;;#ASMEND
	s_add_u32 s4, s22, s0
	s_addc_u32 s5, s23, s1
	s_ashr_i32 s3, s2, 31
	s_delay_alu instid0(SALU_CYCLE_1) | instskip(NEXT) | instid1(SALU_CYCLE_1)
	s_lshl_b64 s[0:1], s[2:3], 1
	s_add_u32 s2, s4, s0
	s_addc_u32 s3, s5, s1
	s_lshl_b32 s0, s12, 7
	s_delay_alu instid0(SALU_CYCLE_1) | instskip(NEXT) | instid1(SALU_CYCLE_1)
	s_ashr_i32 s1, s0, 31
	s_lshl_b64 s[0:1], s[0:1], 1
	s_delay_alu instid0(SALU_CYCLE_1)
	s_add_u32 s0, s2, s0
	s_addc_u32 s1, s3, s1
	global_store_b16 v0, v8, s[0:1]
	;;#ASMSTART
	v_cvt_f16_f32 v7, v7;

	;;#ASMEND
	global_store_b16 v0, v7, s[0:1] offset:32
	;;#ASMSTART
	v_cvt_f16_f32 v6, v6;

	;;#ASMEND
	global_store_b16 v0, v6, s[0:1] offset:64
	;; [unrolled: 5-line block ×7, first 2 shown]
.LBB98_86:
	s_nop 0
	s_sendmsg sendmsg(MSG_DEALLOC_VGPRS)
	s_endpgm
.LBB98_87:
	v_lshl_add_u32 v11, v9, 2, v10
	ds_load_b32 v11, v11
	s_waitcnt lgkmcnt(0)
	v_add_f32_e32 v8, v8, v11
	s_or_b32 exec_lo, exec_lo, s0
	s_and_saveexec_b32 s0, vcc_lo
	s_cbranch_execz .LBB98_63
.LBB98_88:
	v_lshl_add_u32 v11, v9, 2, v10
	ds_load_b32 v11, v11 offset:64
	s_waitcnt lgkmcnt(0)
	v_add_f32_e32 v7, v7, v11
	s_or_b32 exec_lo, exec_lo, s0
	s_and_saveexec_b32 s0, vcc_lo
	s_cbranch_execz .LBB98_64
.LBB98_89:
	v_lshl_add_u32 v11, v9, 2, v10
	ds_load_b32 v11, v11 offset:128
	s_waitcnt lgkmcnt(0)
	v_add_f32_e32 v6, v6, v11
	s_or_b32 exec_lo, exec_lo, s0
	s_and_saveexec_b32 s0, vcc_lo
	s_cbranch_execz .LBB98_65
.LBB98_90:
	v_lshl_add_u32 v11, v9, 2, v10
	ds_load_b32 v11, v11 offset:192
	s_waitcnt lgkmcnt(0)
	v_add_f32_e32 v5, v5, v11
	s_or_b32 exec_lo, exec_lo, s0
	s_and_saveexec_b32 s0, vcc_lo
	s_cbranch_execz .LBB98_66
.LBB98_91:
	v_lshl_add_u32 v11, v9, 2, v10
	ds_load_b32 v11, v11 offset:256
	s_waitcnt lgkmcnt(0)
	v_add_f32_e32 v4, v4, v11
	s_or_b32 exec_lo, exec_lo, s0
	s_and_saveexec_b32 s0, vcc_lo
	s_cbranch_execz .LBB98_67
.LBB98_92:
	v_lshl_add_u32 v11, v9, 2, v10
	ds_load_b32 v11, v11 offset:320
	s_waitcnt lgkmcnt(0)
	v_add_f32_e32 v3, v3, v11
	s_or_b32 exec_lo, exec_lo, s0
	s_and_saveexec_b32 s0, vcc_lo
	s_cbranch_execz .LBB98_68
.LBB98_93:
	v_lshl_add_u32 v11, v9, 2, v10
	ds_load_b32 v11, v11 offset:384
	s_waitcnt lgkmcnt(0)
	v_add_f32_e32 v2, v2, v11
	s_or_b32 exec_lo, exec_lo, s0
	s_and_saveexec_b32 s0, vcc_lo
	s_cbranch_execnz .LBB98_69
	s_branch .LBB98_70
.LBB98_94:
	ds_load_b32 v10, v9
	s_waitcnt lgkmcnt(0)
	v_add_f32_e32 v8, v8, v10
	s_or_b32 exec_lo, exec_lo, s1
	s_and_saveexec_b32 s1, vcc_lo
	s_cbranch_execz .LBB98_76
.LBB98_95:
	ds_load_b32 v10, v9 offset:64
	s_waitcnt lgkmcnt(0)
	v_add_f32_e32 v7, v7, v10
	s_or_b32 exec_lo, exec_lo, s1
	s_and_saveexec_b32 s1, vcc_lo
	s_cbranch_execz .LBB98_77
.LBB98_96:
	ds_load_b32 v10, v9 offset:128
	s_waitcnt lgkmcnt(0)
	v_add_f32_e32 v6, v6, v10
	s_or_b32 exec_lo, exec_lo, s1
	s_and_saveexec_b32 s1, vcc_lo
	s_cbranch_execz .LBB98_78
.LBB98_97:
	ds_load_b32 v10, v9 offset:192
	s_waitcnt lgkmcnt(0)
	v_add_f32_e32 v5, v5, v10
	s_or_b32 exec_lo, exec_lo, s1
	s_and_saveexec_b32 s1, vcc_lo
	s_cbranch_execz .LBB98_79
.LBB98_98:
	ds_load_b32 v10, v9 offset:256
	s_waitcnt lgkmcnt(0)
	v_add_f32_e32 v4, v4, v10
	s_or_b32 exec_lo, exec_lo, s1
	s_and_saveexec_b32 s1, vcc_lo
	s_cbranch_execz .LBB98_80
.LBB98_99:
	ds_load_b32 v10, v9 offset:320
	s_waitcnt lgkmcnt(0)
	v_add_f32_e32 v3, v3, v10
	s_or_b32 exec_lo, exec_lo, s1
	s_and_saveexec_b32 s1, vcc_lo
	s_cbranch_execz .LBB98_81
.LBB98_100:
	ds_load_b32 v10, v9 offset:384
	s_waitcnt lgkmcnt(0)
	v_add_f32_e32 v2, v2, v10
	s_or_b32 exec_lo, exec_lo, s1
	s_and_saveexec_b32 s1, vcc_lo
	s_cbranch_execnz .LBB98_82
	s_branch .LBB98_83
	.section	.rodata,"a",@progbits
	.p2align	6, 0x0
	.amdhsa_kernel _ZN4vllm25paged_attention_v2_kernelIttLi128ELi16ELi128ELNS_18Fp8KVCacheDataTypeE0ELb1ELi512EEEvPfS2_PT_PKS3_PKT0_S9_ifPKiSB_iPKfiiiSD_SD_iiiii
		.amdhsa_group_segment_fixed_size 288
		.amdhsa_private_segment_fixed_size 0
		.amdhsa_kernarg_size 400
		.amdhsa_user_sgpr_count 13
		.amdhsa_user_sgpr_dispatch_ptr 0
		.amdhsa_user_sgpr_queue_ptr 0
		.amdhsa_user_sgpr_kernarg_segment_ptr 1
		.amdhsa_user_sgpr_dispatch_id 0
		.amdhsa_user_sgpr_private_segment_size 0
		.amdhsa_wavefront_size32 1
		.amdhsa_uses_dynamic_stack 0
		.amdhsa_enable_private_segment 0
		.amdhsa_system_sgpr_workgroup_id_x 1
		.amdhsa_system_sgpr_workgroup_id_y 1
		.amdhsa_system_sgpr_workgroup_id_z 1
		.amdhsa_system_sgpr_workgroup_info 0
		.amdhsa_system_vgpr_workitem_id 0
		.amdhsa_next_free_vgpr 132
		.amdhsa_next_free_sgpr 46
		.amdhsa_reserve_vcc 1
		.amdhsa_float_round_mode_32 0
		.amdhsa_float_round_mode_16_64 0
		.amdhsa_float_denorm_mode_32 3
		.amdhsa_float_denorm_mode_16_64 3
		.amdhsa_dx10_clamp 1
		.amdhsa_ieee_mode 1
		.amdhsa_fp16_overflow 0
		.amdhsa_workgroup_processor_mode 1
		.amdhsa_memory_ordered 1
		.amdhsa_forward_progress 0
		.amdhsa_shared_vgpr_count 0
		.amdhsa_exception_fp_ieee_invalid_op 0
		.amdhsa_exception_fp_denorm_src 0
		.amdhsa_exception_fp_ieee_div_zero 0
		.amdhsa_exception_fp_ieee_overflow 0
		.amdhsa_exception_fp_ieee_underflow 0
		.amdhsa_exception_fp_ieee_inexact 0
		.amdhsa_exception_int_div_zero 0
	.end_amdhsa_kernel
	.section	.text._ZN4vllm25paged_attention_v2_kernelIttLi128ELi16ELi128ELNS_18Fp8KVCacheDataTypeE0ELb1ELi512EEEvPfS2_PT_PKS3_PKT0_S9_ifPKiSB_iPKfiiiSD_SD_iiiii,"axG",@progbits,_ZN4vllm25paged_attention_v2_kernelIttLi128ELi16ELi128ELNS_18Fp8KVCacheDataTypeE0ELb1ELi512EEEvPfS2_PT_PKS3_PKT0_S9_ifPKiSB_iPKfiiiSD_SD_iiiii,comdat
.Lfunc_end98:
	.size	_ZN4vllm25paged_attention_v2_kernelIttLi128ELi16ELi128ELNS_18Fp8KVCacheDataTypeE0ELb1ELi512EEEvPfS2_PT_PKS3_PKT0_S9_ifPKiSB_iPKfiiiSD_SD_iiiii, .Lfunc_end98-_ZN4vllm25paged_attention_v2_kernelIttLi128ELi16ELi128ELNS_18Fp8KVCacheDataTypeE0ELb1ELi512EEEvPfS2_PT_PKS3_PKT0_S9_ifPKiSB_iPKfiiiSD_SD_iiiii
                                        ; -- End function
	.section	.AMDGPU.csdata,"",@progbits
; Kernel info:
; codeLenInByte = 12636
; NumSgprs: 48
; NumVgprs: 132
; ScratchSize: 0
; MemoryBound: 0
; FloatMode: 240
; IeeeMode: 1
; LDSByteSize: 288 bytes/workgroup (compile time only)
; SGPRBlocks: 5
; VGPRBlocks: 16
; NumSGPRsForWavesPerEU: 48
; NumVGPRsForWavesPerEU: 132
; Occupancy: 10
; WaveLimiterHint : 1
; COMPUTE_PGM_RSRC2:SCRATCH_EN: 0
; COMPUTE_PGM_RSRC2:USER_SGPR: 13
; COMPUTE_PGM_RSRC2:TRAP_HANDLER: 0
; COMPUTE_PGM_RSRC2:TGID_X_EN: 1
; COMPUTE_PGM_RSRC2:TGID_Y_EN: 1
; COMPUTE_PGM_RSRC2:TGID_Z_EN: 1
; COMPUTE_PGM_RSRC2:TIDIG_COMP_CNT: 0
	.section	.text._ZN4vllm25paged_attention_v2_kernelIttLi192ELi16ELi128ELNS_18Fp8KVCacheDataTypeE0ELb1ELi512EEEvPfS2_PT_PKS3_PKT0_S9_ifPKiSB_iPKfiiiSD_SD_iiiii,"axG",@progbits,_ZN4vllm25paged_attention_v2_kernelIttLi192ELi16ELi128ELNS_18Fp8KVCacheDataTypeE0ELb1ELi512EEEvPfS2_PT_PKS3_PKT0_S9_ifPKiSB_iPKfiiiSD_SD_iiiii,comdat
	.protected	_ZN4vllm25paged_attention_v2_kernelIttLi192ELi16ELi128ELNS_18Fp8KVCacheDataTypeE0ELb1ELi512EEEvPfS2_PT_PKS3_PKT0_S9_ifPKiSB_iPKfiiiSD_SD_iiiii ; -- Begin function _ZN4vllm25paged_attention_v2_kernelIttLi192ELi16ELi128ELNS_18Fp8KVCacheDataTypeE0ELb1ELi512EEEvPfS2_PT_PKS3_PKT0_S9_ifPKiSB_iPKfiiiSD_SD_iiiii
	.globl	_ZN4vllm25paged_attention_v2_kernelIttLi192ELi16ELi128ELNS_18Fp8KVCacheDataTypeE0ELb1ELi512EEEvPfS2_PT_PKS3_PKT0_S9_ifPKiSB_iPKfiiiSD_SD_iiiii
	.p2align	8
	.type	_ZN4vllm25paged_attention_v2_kernelIttLi192ELi16ELi128ELNS_18Fp8KVCacheDataTypeE0ELb1ELi512EEEvPfS2_PT_PKS3_PKT0_S9_ifPKiSB_iPKfiiiSD_SD_iiiii,@function
_ZN4vllm25paged_attention_v2_kernelIttLi192ELi16ELi128ELNS_18Fp8KVCacheDataTypeE0ELb1ELi512EEEvPfS2_PT_PKS3_PKT0_S9_ifPKiSB_iPKfiiiSD_SD_iiiii: ; @_ZN4vllm25paged_attention_v2_kernelIttLi192ELi16ELi128ELNS_18Fp8KVCacheDataTypeE0ELb1ELi512EEEvPfS2_PT_PKS3_PKT0_S9_ifPKiSB_iPKfiiiSD_SD_iiiii
; %bb.0:
	s_load_b64 s[2:3], s[0:1], 0x40
	s_mov_b32 s12, s15
	s_ashr_i32 s15, s14, 31
	s_delay_alu instid0(SALU_CYCLE_1)
	s_lshl_b64 s[4:5], s[14:15], 2
	s_waitcnt lgkmcnt(0)
	s_add_u32 s2, s2, s4
	s_addc_u32 s3, s3, s5
	s_lshl_b32 s15, s12, 9
	s_load_b32 s33, s[2:3], 0x0
	s_waitcnt lgkmcnt(0)
	s_cmp_ge_i32 s15, s33
	s_cbranch_scc1 .LBB99_102
; %bb.1:
	s_mov_b32 s24, s13
	s_clause 0x1
	s_load_b32 s13, s[0:1], 0x90
	s_load_b64 s[34:35], s[0:1], 0x30
	s_mov_b32 s38, 0
	s_waitcnt lgkmcnt(0)
	s_abs_i32 s5, s13
	s_abs_i32 s2, s34
	s_delay_alu instid0(SALU_CYCLE_1) | instskip(SKIP_1) | instid1(VALU_DEP_1)
	v_cvt_f32_u32_e32 v1, s2
	s_sub_i32 s4, 0, s2
	v_rcp_iflag_f32_e32 v1, v1
	s_waitcnt_depctr 0xfff
	v_mul_f32_e32 v1, 0x4f7ffffe, v1
	s_delay_alu instid0(VALU_DEP_1) | instskip(NEXT) | instid1(VALU_DEP_1)
	v_cvt_u32_f32_e32 v1, v1
	v_readfirstlane_b32 s3, v1
	s_delay_alu instid0(VALU_DEP_1) | instskip(NEXT) | instid1(SALU_CYCLE_1)
	s_mul_i32 s4, s4, s3
	s_mul_hi_u32 s4, s3, s4
	s_delay_alu instid0(SALU_CYCLE_1) | instskip(SKIP_4) | instid1(SALU_CYCLE_1)
	s_add_i32 s3, s3, s4
	s_xor_b32 s4, s13, s34
	s_mul_hi_u32 s3, s5, s3
	s_ashr_i32 s4, s4, 31
	s_mul_i32 s6, s3, s2
	s_sub_i32 s5, s5, s6
	s_add_i32 s6, s3, 1
	s_sub_i32 s7, s5, s2
	s_cmp_ge_u32 s5, s2
	s_cselect_b32 s3, s6, s3
	s_cselect_b32 s5, s7, s5
	s_add_i32 s6, s3, 1
	s_cmp_ge_u32 s5, s2
	s_cselect_b32 s2, s6, s3
	s_abs_i32 s17, s24
	s_xor_b32 s2, s2, s4
	s_delay_alu instid0(SALU_CYCLE_1) | instskip(SKIP_2) | instid1(SALU_CYCLE_1)
	s_sub_i32 s8, s2, s4
	s_load_b64 s[2:3], s[0:1], 0x50
	s_abs_i32 s16, s8
	v_cvt_f32_u32_e32 v1, s16
	s_sub_i32 s5, 0, s16
	s_delay_alu instid0(VALU_DEP_1) | instskip(SKIP_2) | instid1(VALU_DEP_1)
	v_rcp_iflag_f32_e32 v1, v1
	s_waitcnt_depctr 0xfff
	v_mul_f32_e32 v1, 0x4f7ffffe, v1
	v_cvt_u32_f32_e32 v1, v1
	s_delay_alu instid0(VALU_DEP_1) | instskip(NEXT) | instid1(VALU_DEP_1)
	v_readfirstlane_b32 s4, v1
	s_mul_i32 s5, s5, s4
	s_delay_alu instid0(SALU_CYCLE_1) | instskip(NEXT) | instid1(SALU_CYCLE_1)
	s_mul_hi_u32 s5, s4, s5
	s_add_i32 s4, s4, s5
	s_waitcnt lgkmcnt(0)
	s_cmp_eq_u64 s[2:3], 0
	s_mul_hi_u32 s18, s17, s4
	s_cbranch_scc1 .LBB99_3
; %bb.2:
	s_ashr_i32 s25, s24, 31
	s_delay_alu instid0(SALU_CYCLE_1) | instskip(NEXT) | instid1(SALU_CYCLE_1)
	s_lshl_b64 s[4:5], s[24:25], 2
	s_add_u32 s2, s2, s4
	s_addc_u32 s3, s3, s5
	s_load_b32 s38, s[2:3], 0x0
.LBB99_3:
	s_load_b128 s[4:7], s[0:1], 0x58
	v_lshrrev_b32_e32 v51, 1, v0
	v_and_b32_e32 v52, 1, v0
	v_lshlrev_b32_e32 v55, 3, v0
	s_ashr_i32 s2, s24, 31
	s_ashr_i32 s3, s8, 31
	s_mul_i32 s20, s24, 0xc0
	s_waitcnt lgkmcnt(0)
	s_mov_b32 s7, exec_lo
	v_cmpx_gt_u32_e32 48, v0
	s_cbranch_execz .LBB99_5
; %bb.4:
	s_load_b64 s[8:9], s[0:1], 0x18
	s_mul_i32 s10, s14, s4
	v_lshlrev_b32_e32 v3, 3, v51
	s_ashr_i32 s11, s10, 31
	s_delay_alu instid0(SALU_CYCLE_1) | instskip(NEXT) | instid1(VALU_DEP_1)
	s_lshl_b64 s[10:11], s[10:11], 1
	v_mad_u32_u24 v3, 0xc0, v52, v3
	s_waitcnt lgkmcnt(0)
	s_add_u32 s4, s8, s10
	s_addc_u32 s10, s9, s11
	s_ashr_i32 s21, s20, 31
	s_delay_alu instid0(SALU_CYCLE_1) | instskip(NEXT) | instid1(SALU_CYCLE_1)
	s_lshl_b64 s[8:9], s[20:21], 1
	s_add_u32 s8, s4, s8
	s_addc_u32 s9, s10, s9
	global_load_b64 v[1:2], v55, s[8:9]
	s_waitcnt vmcnt(0)
	ds_store_b64 v3, v[1:2]
.LBB99_5:
	s_or_b32 exec_lo, exec_lo, s7
	s_load_b128 s[8:11], s[0:1], 0x78
	s_mul_i32 s4, s18, s16
	s_xor_b32 s2, s2, s3
	s_sub_i32 s3, s17, s4
	s_add_i32 s4, s18, 1
	s_sub_i32 s7, s3, s16
	s_cmp_ge_u32 s3, s16
	s_mov_b32 s17, -1
	s_cselect_b32 s4, s4, s18
	s_cselect_b32 s3, s7, s3
	s_add_i32 s7, s4, 1
	s_cmp_ge_u32 s3, s16
	s_waitcnt lgkmcnt(0)
	s_cselect_b32 s3, s7, s4
	s_load_b32 s4, s[0:1], 0x88
	s_xor_b32 s3, s3, s2
	s_add_i32 s16, s33, -1
	s_sub_i32 s3, s3, s2
	s_abs_i32 s7, s16
	s_waitcnt lgkmcnt(0)
	s_barrier
	s_abs_i32 s21, s11
	buffer_gl0_inv
	v_cvt_f32_u32_e32 v1, s21
	s_sub_i32 s2, 0, s21
                                        ; implicit-def: $sgpr36
	s_delay_alu instid0(VALU_DEP_1) | instskip(SKIP_2) | instid1(VALU_DEP_1)
	v_rcp_iflag_f32_e32 v1, v1
	s_waitcnt_depctr 0xfff
	v_mul_f32_e32 v1, 0x4f7ffffe, v1
	v_cvt_u32_f32_e32 v1, v1
	s_delay_alu instid0(VALU_DEP_1) | instskip(NEXT) | instid1(VALU_DEP_1)
	v_readfirstlane_b32 s25, v1
	s_mul_i32 s2, s2, s25
	s_delay_alu instid0(SALU_CYCLE_1) | instskip(NEXT) | instid1(SALU_CYCLE_1)
	s_mul_hi_u32 s2, s25, s2
	s_add_i32 s25, s25, s2
	s_cmp_lt_i32 s4, 0
	s_mul_hi_u32 s2, s7, s25
	s_cbranch_scc0 .LBB99_7
; %bb.6:
	s_mul_i32 s17, s8, s34
	s_delay_alu instid0(SALU_CYCLE_1) | instskip(NEXT) | instid1(SALU_CYCLE_1)
	s_add_i32 s17, s3, s17
	s_mul_i32 s17, s17, s4
	s_delay_alu instid0(SALU_CYCLE_1)
	s_sub_i32 s36, 1, s17
	s_mov_b32 s17, 0
.LBB99_7:
	s_load_b64 s[26:27], s[0:1], 0x38
	s_ashr_i32 s28, s16, 31
	s_and_not1_b32 vcc_lo, exec_lo, s17
	s_ashr_i32 s11, s11, 31
	s_cbranch_vccnz .LBB99_9
; %bb.8:
	s_mul_i32 s8, s13, s8
	s_delay_alu instid0(SALU_CYCLE_1) | instskip(NEXT) | instid1(SALU_CYCLE_1)
	s_add_i32 s8, s8, s24
	s_mul_i32 s4, s8, s4
	s_delay_alu instid0(SALU_CYCLE_1)
	s_add_i32 s36, s4, 1
.LBB99_9:
	s_clause 0x4
	s_load_b32 s8, s[0:1], 0x48
	s_load_b64 s[30:31], s[0:1], 0x28
	s_load_b32 s4, s[0:1], 0x98
	s_load_b128 s[16:19], s[0:1], 0x0
	s_load_b64 s[22:23], s[0:1], 0x10
	s_xor_b32 s37, s28, s11
	s_mul_i32 s28, s2, s21
	s_add_i32 s34, s2, 1
	s_sub_i32 s7, s7, s28
	v_lshrrev_b32_e32 v53, 5, v0
	v_mov_b32_e32 v57, 0xff7fffff
	v_mbcnt_lo_u32_b32 v56, -1, 0
	s_mul_i32 s6, s3, s6
	s_delay_alu instid0(VALU_DEP_3)
	v_lshl_add_u32 v54, v53, 4, s15
	s_waitcnt lgkmcnt(0)
	s_mul_i32 s28, s14, s8
	s_sub_i32 s8, s7, s21
	s_ashr_i32 s29, s28, 31
	s_cmp_ge_u32 s7, s21
	s_cselect_b32 s2, s34, s2
	s_cselect_b32 s7, s8, s7
	s_add_i32 s8, s2, 1
	s_cmp_ge_u32 s7, s21
	s_cselect_b32 s2, s8, s2
	s_add_i32 s7, s33, 15
	s_lshl_b32 s39, s12, 5
	s_ashr_i32 s8, s7, 31
	v_or_b32_e32 v5, s39, v53
	s_lshr_b32 s8, s8, 28
	s_delay_alu instid0(SALU_CYCLE_1)
	s_add_i32 s7, s7, s8
	s_add_i32 s8, s39, 32
	s_ashr_i32 s34, s7, 4
	s_xor_b32 s7, s2, s37
	s_min_i32 s8, s8, s34
	v_ashrrev_i32_e32 v6, 31, v5
	v_cmp_gt_i32_e64 s2, s8, v5
	s_sub_i32 s37, s7, s37
	s_delay_alu instid0(VALU_DEP_1)
	s_and_saveexec_b32 s40, s2
	s_cbranch_execz .LBB99_19
; %bb.10:
	s_load_b64 s[0:1], s[0:1], 0x20
	s_ashr_i32 s7, s6, 31
	v_bfe_u32 v58, v0, 1, 4
	s_lshl_b64 s[42:43], s[6:7], 1
	s_sub_i32 s7, s37, s9
	v_mov_b32_e32 v68, v5
	v_dual_mov_b32 v61, 0xff7fffff :: v_dual_and_b32 v4, 8, v55
	v_lshlrev_b32_e32 v7, 2, v58
	v_subrev_nc_u32_e32 v8, s33, v58
	v_lshlrev_b32_e32 v9, 4, v58
	v_cmp_eq_u32_e32 vcc_lo, 0, v52
	v_mul_u32_u24_e32 v59, 0xc0, v52
	v_lshl_or_b32 v7, v53, 6, v7
	v_add_nc_u32_e32 v63, 1, v8
	v_lshl_add_u32 v60, v53, 4, s15
	v_xor_b32_e32 v62, 1, v56
	v_mov_b32_e32 v57, 0xff7fffff
	v_add_nc_u32_e32 v64, 0x1a0, v7
	s_waitcnt lgkmcnt(0)
	s_add_u32 s3, s0, s42
	s_addc_u32 s1, s1, s43
	s_abs_i32 s41, s10
	v_add_co_u32 v8, s3, s3, v9
	v_cvt_f32_u32_e32 v1, s41
	s_sub_i32 s42, 0, s41
	v_add_co_ci_u32_e64 v9, null, s1, 0, s3
	v_cmp_neq_f32_e64 s0, s38, 0
	s_delay_alu instid0(VALU_DEP_3) | instskip(SKIP_3) | instid1(VALU_DEP_1)
	v_rcp_iflag_f32_e32 v3, v1
	v_lshlrev_b64 v[1:2], 2, v[5:6]
	s_waitcnt_depctr 0xfff
	v_mul_f32_e32 v3, 0x4f7ffffe, v3
	v_cvt_u32_f32_e32 v3, v3
	s_delay_alu instid0(VALU_DEP_1) | instskip(SKIP_1) | instid1(SALU_CYCLE_1)
	v_mul_lo_u32 v7, s42, v3
	s_lshl_b64 s[42:43], s[28:29], 2
	s_add_u32 s1, s26, s42
	s_addc_u32 s3, s27, s43
	v_add_co_u32 v1, s1, s1, v1
	s_delay_alu instid0(VALU_DEP_1) | instskip(NEXT) | instid1(VALU_DEP_3)
	v_add_co_ci_u32_e64 v2, s1, s3, v2, s1
	v_mul_hi_u32 v7, v3, v7
	v_add_co_u32 v65, s1, v8, v4
	s_delay_alu instid0(VALU_DEP_1) | instskip(SKIP_2) | instid1(VALU_DEP_3)
	v_add_co_ci_u32_e64 v66, s1, 0, v9, s1
	s_mov_b32 s42, 0
	s_mov_b32 s43, s5
	v_add_nc_u32_e32 v67, v3, v7
	s_branch .LBB99_13
.LBB99_11:                              ;   in Loop: Header=BB99_13 Depth=1
	s_or_b32 exec_lo, exec_lo, s44
.LBB99_12:                              ;   in Loop: Header=BB99_13 Depth=1
	s_delay_alu instid0(SALU_CYCLE_1) | instskip(SKIP_2) | instid1(VALU_DEP_1)
	s_or_b32 exec_lo, exec_lo, s3
	v_add_nc_u32_e32 v68, 4, v68
	v_add_co_u32 v1, s3, v1, 16
	v_add_co_ci_u32_e64 v2, s3, 0, v2, s3
	s_delay_alu instid0(VALU_DEP_3) | instskip(SKIP_2) | instid1(VALU_DEP_3)
	v_cmp_le_i32_e64 s1, s8, v68
	v_add_nc_u32_e32 v60, 64, v60
	v_add_nc_u32_e32 v64, 0x100, v64
	s_or_b32 s42, s1, s42
	s_delay_alu instid0(SALU_CYCLE_1)
	s_and_not1_b32 exec_lo, exec_lo, s42
	s_cbranch_execz .LBB99_18
.LBB99_13:                              ; =>This Inner Loop Header: Depth=1
	v_sub_nc_u32_e32 v3, 0, v60
	s_delay_alu instid0(VALU_DEP_1) | instskip(SKIP_1) | instid1(VALU_DEP_1)
	v_max_i32_e32 v3, v60, v3
	s_waitcnt lgkmcnt(0)
	v_mul_hi_u32 v4, v3, s25
	s_delay_alu instid0(VALU_DEP_1) | instskip(NEXT) | instid1(VALU_DEP_1)
	v_mul_lo_u32 v7, v4, s21
	v_sub_nc_u32_e32 v3, v3, v7
	v_add_nc_u32_e32 v7, 1, v4
	s_delay_alu instid0(VALU_DEP_2) | instskip(SKIP_1) | instid1(VALU_DEP_1)
	v_subrev_nc_u32_e32 v8, s21, v3
	v_cmp_le_u32_e64 s1, s21, v3
	v_cndmask_b32_e64 v4, v4, v7, s1
	s_delay_alu instid0(VALU_DEP_3) | instskip(SKIP_1) | instid1(VALU_DEP_3)
	v_cndmask_b32_e64 v3, v3, v8, s1
	v_ashrrev_i32_e32 v7, 31, v60
	v_add_nc_u32_e32 v8, 1, v4
	s_delay_alu instid0(VALU_DEP_3) | instskip(NEXT) | instid1(VALU_DEP_3)
	v_cmp_le_u32_e64 s1, s21, v3
	v_xor_b32_e32 v7, s11, v7
	s_delay_alu instid0(VALU_DEP_2) | instskip(NEXT) | instid1(VALU_DEP_1)
	v_cndmask_b32_e64 v3, v4, v8, s1
	v_xor_b32_e32 v3, v3, v7
	s_delay_alu instid0(VALU_DEP_1) | instskip(NEXT) | instid1(VALU_DEP_1)
	v_sub_nc_u32_e32 v3, v3, v7
	v_add_nc_u32_e32 v4, s36, v3
	v_cmp_ge_i32_e64 s3, s7, v3
	s_delay_alu instid0(VALU_DEP_2) | instskip(NEXT) | instid1(VALU_DEP_1)
	v_sub_nc_u32_e32 v7, 0, v4
	v_max_i32_e32 v7, v4, v7
	v_ashrrev_i32_e32 v4, 31, v4
	s_delay_alu instid0(VALU_DEP_2) | instskip(NEXT) | instid1(VALU_DEP_1)
	v_mul_hi_u32 v8, v7, v67
	v_mul_lo_u32 v8, v8, s41
	s_delay_alu instid0(VALU_DEP_1) | instskip(NEXT) | instid1(VALU_DEP_1)
	v_sub_nc_u32_e32 v7, v7, v8
	v_subrev_nc_u32_e32 v8, s41, v7
	v_cmp_le_u32_e64 s1, s41, v7
	s_delay_alu instid0(VALU_DEP_1) | instskip(NEXT) | instid1(VALU_DEP_1)
	v_cndmask_b32_e64 v7, v7, v8, s1
	v_subrev_nc_u32_e32 v8, s41, v7
	v_cmp_le_u32_e64 s1, s41, v7
	s_delay_alu instid0(VALU_DEP_1) | instskip(NEXT) | instid1(VALU_DEP_1)
	v_cndmask_b32_e64 v7, v7, v8, s1
	v_xor_b32_e32 v7, v7, v4
	s_delay_alu instid0(VALU_DEP_1) | instskip(NEXT) | instid1(VALU_DEP_1)
	v_sub_nc_u32_e32 v4, v7, v4
	v_cmp_ne_u32_e64 s1, 0, v4
	s_delay_alu instid0(VALU_DEP_1) | instskip(NEXT) | instid1(SALU_CYCLE_1)
	s_and_b32 s1, s1, s3
	s_and_b32 s44, vcc_lo, s1
	s_delay_alu instid0(SALU_CYCLE_1)
	s_and_saveexec_b32 s3, s44
	s_cbranch_execz .LBB99_15
; %bb.14:                               ;   in Loop: Header=BB99_13 Depth=1
	ds_store_b32 v64, v61
.LBB99_15:                              ;   in Loop: Header=BB99_13 Depth=1
	s_or_b32 exec_lo, exec_lo, s3
	s_xor_b32 s1, s1, -1
	s_delay_alu instid0(SALU_CYCLE_1)
	s_and_saveexec_b32 s3, s1
	s_cbranch_execz .LBB99_12
; %bb.16:                               ;   in Loop: Header=BB99_13 Depth=1
	global_load_b32 v7, v[1:2], off
	s_waitcnt vmcnt(0)
	v_mad_i64_i32 v[3:4], null, v7, s43, 0
	s_delay_alu instid0(VALU_DEP_1) | instskip(NEXT) | instid1(VALU_DEP_1)
	v_lshlrev_b64 v[3:4], 1, v[3:4]
	v_add_co_u32 v3, s1, v65, v3
	s_delay_alu instid0(VALU_DEP_1)
	v_add_co_ci_u32_e64 v4, s1, v66, v4, s1
	s_clause 0x8
	global_load_b64 v[70:71], v[3:4], off
	global_load_b64 v[49:50], v[3:4], off offset:256
	global_load_b64 v[47:48], v[3:4], off offset:512
	;; [unrolled: 1-line block ×8, first 2 shown]
	ds_load_b64 v[7:8], v59
	s_clause 0x1
	global_load_b64 v[37:38], v[3:4], off offset:2304
	global_load_b64 v[35:36], v[3:4], off offset:2560
	v_add_co_u32 v72, s1, 0x1000, v3
	s_delay_alu instid0(VALU_DEP_1)
	v_add_co_ci_u32_e64 v73, s1, 0, v4, s1
	global_load_b64 v[29:30], v[3:4], off offset:2816
	v_cmp_gt_i32_e64 s1, 32, v62
	s_waitcnt lgkmcnt(0)
	v_lshrrev_b32_e32 v74, 16, v7
	v_and_b32_e32 v69, 0xffff, v7
	v_lshrrev_b32_e32 v77, 16, v8
	v_and_b32_e32 v78, 0xffff, v8
	s_clause 0xb
	global_load_b64 v[27:28], v[3:4], off offset:3072
	global_load_b64 v[25:26], v[3:4], off offset:3328
	;; [unrolled: 1-line block ×4, first 2 shown]
	global_load_b64 v[19:20], v[72:73], off
	global_load_b64 v[17:18], v[72:73], off offset:256
	global_load_b64 v[15:16], v[72:73], off offset:512
	;; [unrolled: 1-line block ×7, first 2 shown]
	;;#ASMSTART
	v_cvt_f32_f16 v69, v69;
	;;#ASMEND
	s_waitcnt vmcnt(23)
	v_and_b32_e32 v72, 0xffff, v70
	v_lshrrev_b32_e32 v73, 16, v70
	;;#ASMSTART
	v_cvt_f32_f16 v70, v74;
	;;#ASMEND
	v_and_b32_e32 v74, 0xffff, v71
	v_lshrrev_b32_e32 v79, 16, v71
	;;#ASMSTART
	v_cvt_f32_f16 v76, v72;
	;;#ASMEND
	;;#ASMSTART
	v_cvt_f32_f16 v75, v73;
	;;#ASMEND
	;; [unrolled: 3-line block ×6, first 2 shown]
	ds_load_b64 v[77:78], v59 offset:8
	s_waitcnt vmcnt(22)
	v_lshrrev_b32_e32 v79, 16, v49
	v_and_b32_e32 v49, 0xffff, v49
	v_lshrrev_b32_e32 v82, 16, v50
	v_and_b32_e32 v81, 0xffff, v50
	s_waitcnt vmcnt(21)
	v_lshrrev_b32_e32 v86, 16, v47
	v_lshrrev_b32_e32 v89, 16, v48
	v_and_b32_e32 v88, 0xffff, v48
	s_waitcnt vmcnt(20)
	v_lshrrev_b32_e32 v91, 16, v45
	v_lshrrev_b32_e32 v92, 16, v46
	s_waitcnt vmcnt(19)
	v_lshrrev_b32_e32 v97, 16, v43
	v_lshrrev_b32_e32 v98, 16, v44
	;; [unrolled: 3-line block ×6, first 2 shown]
	s_waitcnt lgkmcnt(0)
	v_and_b32_e32 v80, 0xffff, v77
	v_lshrrev_b32_e32 v77, 16, v77
	v_and_b32_e32 v83, 0xffff, v78
	v_lshrrev_b32_e32 v84, 16, v78
	;;#ASMSTART
	v_cvt_f32_f16 v50, v80;
	;;#ASMEND
	;;#ASMSTART
	v_cvt_f32_f16 v77, v77;
	;;#ASMEND
	;; [unrolled: 3-line block ×8, first 2 shown]
	ds_load_b64 v[83:84], v59 offset:16
	v_and_b32_e32 v87, 0xffff, v47
	v_lshrrev_b32_e32 v134, 16, v36
	s_waitcnt lgkmcnt(0)
	v_and_b32_e32 v47, 0xffff, v83
	v_lshrrev_b32_e32 v83, 16, v83
	v_and_b32_e32 v90, 0xffff, v84
	v_lshrrev_b32_e32 v84, 16, v84
	;;#ASMSTART
	v_cvt_f32_f16 v85, v47;
	;;#ASMEND
	;;#ASMSTART
	v_cvt_f32_f16 v47, v83;
	;;#ASMEND
	;; [unrolled: 3-line block ×8, first 2 shown]
	ds_load_b64 v[89:90], v59 offset:24
	v_and_b32_e32 v46, 0xffff, v46
	s_waitcnt lgkmcnt(0)
	v_and_b32_e32 v93, 0xffff, v89
	v_lshrrev_b32_e32 v89, 16, v89
	v_and_b32_e32 v94, 0xffff, v90
	v_lshrrev_b32_e32 v90, 16, v90
	;;#ASMSTART
	v_cvt_f32_f16 v93, v93;
	;;#ASMEND
	v_and_b32_e32 v45, 0xffff, v45
	;;#ASMSTART
	v_cvt_f32_f16 v89, v89;
	;;#ASMEND
	;;#ASMSTART
	v_cvt_f32_f16 v95, v45;
	;;#ASMEND
	;; [unrolled: 3-line block ×7, first 2 shown]
	ds_load_b64 v[45:46], v59 offset:32
	s_waitcnt lgkmcnt(0)
	v_and_b32_e32 v99, 0xffff, v45
	v_lshrrev_b32_e32 v45, 16, v45
	v_and_b32_e32 v100, 0xffff, v46
	v_lshrrev_b32_e32 v46, 16, v46
	;;#ASMSTART
	v_cvt_f32_f16 v99, v99;
	;;#ASMEND
	v_and_b32_e32 v43, 0xffff, v43
	;;#ASMSTART
	v_cvt_f32_f16 v45, v45;
	;;#ASMEND
	;;#ASMSTART
	v_cvt_f32_f16 v101, v43;
	;;#ASMEND
	;; [unrolled: 3-line block ×4, first 2 shown]
	v_and_b32_e32 v44, 0xffff, v44
	;;#ASMSTART
	v_cvt_f32_f16 v46, v46;
	;;#ASMEND
	;;#ASMSTART
	v_cvt_f32_f16 v102, v44;
	;;#ASMEND
	;; [unrolled: 3-line block ×3, first 2 shown]
	ds_load_b64 v[43:44], v59 offset:40
	s_waitcnt lgkmcnt(0)
	v_and_b32_e32 v105, 0xffff, v43
	v_lshrrev_b32_e32 v43, 16, v43
	v_lshrrev_b32_e32 v106, 16, v44
	v_and_b32_e32 v44, 0xffff, v44
	;;#ASMSTART
	v_cvt_f32_f16 v105, v105;
	;;#ASMEND
	v_and_b32_e32 v41, 0xffff, v41
	;;#ASMSTART
	v_cvt_f32_f16 v43, v43;
	;;#ASMEND
	;;#ASMSTART
	v_cvt_f32_f16 v107, v41;
	;;#ASMEND
	;; [unrolled: 3-line block ×3, first 2 shown]
	v_and_b32_e32 v42, 0xffff, v42
	;;#ASMSTART
	v_cvt_f32_f16 v44, v44;
	;;#ASMEND
	;;#ASMSTART
	v_cvt_f32_f16 v106, v106;
	;;#ASMEND
	;; [unrolled: 3-line block ×4, first 2 shown]
	ds_load_b64 v[41:42], v59 offset:48
	s_waitcnt lgkmcnt(0)
	v_and_b32_e32 v111, 0xffff, v41
	v_lshrrev_b32_e32 v41, 16, v41
	v_lshrrev_b32_e32 v112, 16, v42
	v_and_b32_e32 v42, 0xffff, v42
	;;#ASMSTART
	v_cvt_f32_f16 v111, v111;
	;;#ASMEND
	v_and_b32_e32 v39, 0xffff, v39
	;;#ASMSTART
	v_cvt_f32_f16 v41, v41;
	;;#ASMEND
	;;#ASMSTART
	v_cvt_f32_f16 v113, v39;
	;;#ASMEND
	;; [unrolled: 3-line block ×4, first 2 shown]
	v_and_b32_e32 v40, 0xffff, v40
	;;#ASMSTART
	v_cvt_f32_f16 v112, v112;
	;;#ASMEND
	;;#ASMSTART
	v_cvt_f32_f16 v114, v40;
	;;#ASMEND
	;; [unrolled: 3-line block ×3, first 2 shown]
	ds_load_b64 v[39:40], v59 offset:56
	s_waitcnt lgkmcnt(0)
	v_and_b32_e32 v117, 0xffff, v39
	v_lshrrev_b32_e32 v39, 16, v39
	v_lshrrev_b32_e32 v118, 16, v40
	;;#ASMSTART
	v_cvt_f32_f16 v117, v117;
	;;#ASMEND
	v_and_b32_e32 v33, 0xffff, v33
	;;#ASMSTART
	v_cvt_f32_f16 v119, v39;
	;;#ASMEND
	;;#ASMSTART
	v_cvt_f32_f16 v120, v33;
	;;#ASMEND
	;; [unrolled: 3-line block ×3, first 2 shown]
	v_and_b32_e32 v34, 0xffff, v34
	v_and_b32_e32 v40, 0xffff, v40
	;;#ASMSTART
	v_cvt_f32_f16 v121, v40;
	;;#ASMEND
	;;#ASMSTART
	v_cvt_f32_f16 v118, v118;
	;;#ASMEND
	;; [unrolled: 3-line block ×4, first 2 shown]
	ds_load_b64 v[33:34], v59 offset:64
	v_lshrrev_b32_e32 v39, 16, v31
	v_lshrrev_b32_e32 v40, 16, v32
	s_waitcnt lgkmcnt(0)
	v_and_b32_e32 v123, 0xffff, v33
	v_lshrrev_b32_e32 v33, 16, v33
	;;#ASMSTART
	v_cvt_f32_f16 v123, v123;
	;;#ASMEND
	;;#ASMSTART
	v_cvt_f32_f16 v125, v33;
	;;#ASMEND
	v_mul_f32_e32 v33, v77, v79
	v_and_b32_e32 v31, 0xffff, v31
	;;#ASMSTART
	v_cvt_f32_f16 v126, v31;
	;;#ASMEND
	v_mul_f32_e32 v31, v80, v81
	v_lshrrev_b32_e32 v124, 16, v34
	v_fmac_f32_e32 v33, v70, v75
	;;#ASMSTART
	v_cvt_f32_f16 v127, v39;
	;;#ASMEND
	s_delay_alu instid0(VALU_DEP_3)
	v_fmac_f32_e32 v31, v73, v74
	s_waitcnt vmcnt(12)
	v_lshrrev_b32_e32 v73, 16, v30
	v_fmac_f32_e32 v33, v47, v48
	s_waitcnt vmcnt(11)
	v_lshrrev_b32_e32 v47, 16, v28
	;; [unrolled: 3-line block ×3, first 2 shown]
	v_fmac_f32_e32 v33, v89, v91
	s_delay_alu instid0(VALU_DEP_3) | instskip(NEXT) | instid1(VALU_DEP_2)
	v_fmac_f32_e32 v31, v94, v96
	v_fmac_f32_e32 v33, v45, v97
	s_delay_alu instid0(VALU_DEP_2) | instskip(SKIP_2) | instid1(VALU_DEP_3)
	v_fmac_f32_e32 v31, v100, v102
	s_waitcnt vmcnt(8)
	v_lshrrev_b32_e32 v100, 16, v22
	v_fmac_f32_e32 v33, v43, v103
	s_waitcnt vmcnt(7)
	v_lshrrev_b32_e32 v43, 16, v20
	;; [unrolled: 3-line block ×3, first 2 shown]
	v_dual_fmac_f32 v33, v41, v109 :: v_dual_and_b32 v18, 0xffff, v18
	s_delay_alu instid0(VALU_DEP_3) | instskip(NEXT) | instid1(VALU_DEP_2)
	v_fmac_f32_e32 v31, v42, v114
	v_dual_fmac_f32 v33, v119, v115 :: v_dual_and_b32 v32, 0xffff, v32
	s_waitcnt vmcnt(4)
	v_lshrrev_b32_e32 v119, 16, v13
	s_delay_alu instid0(VALU_DEP_3)
	v_fmac_f32_e32 v31, v121, v122
	v_and_b32_e32 v34, 0xffff, v34
	;;#ASMSTART
	v_cvt_f32_f16 v128, v34;
	;;#ASMEND
	;;#ASMSTART
	v_cvt_f32_f16 v124, v124;
	;;#ASMEND
	v_fmac_f32_e32 v33, v125, v127
	;;#ASMSTART
	v_cvt_f32_f16 v129, v32;
	;;#ASMEND
	v_dual_fmac_f32 v31, v128, v129 :: v_dual_mul_f32 v32, v50, v78
	;;#ASMSTART
	v_cvt_f32_f16 v130, v40;
	;;#ASMEND
	ds_load_b64 v[39:40], v59 offset:72
	v_lshrrev_b32_e32 v34, 16, v37
	v_dual_fmac_f32 v32, v69, v76 :: v_dual_and_b32 v37, 0xffff, v37
	s_waitcnt vmcnt(3)
	v_lshrrev_b32_e32 v125, 16, v12
	v_and_b32_e32 v12, 0xffff, v12
	s_delay_alu instid0(VALU_DEP_3) | instskip(SKIP_3) | instid1(VALU_DEP_4)
	v_fmac_f32_e32 v32, v85, v87
	v_lshrrev_b32_e32 v85, 16, v27
	v_and_b32_e32 v27, 0xffff, v27
	v_lshrrev_b32_e32 v87, 16, v25
	v_fmac_f32_e32 v32, v93, v95
	v_lshrrev_b32_e32 v95, 16, v23
	s_delay_alu instid0(VALU_DEP_2)
	v_fmac_f32_e32 v32, v99, v101
	v_lshrrev_b32_e32 v99, 16, v21
	s_waitcnt lgkmcnt(0)
	v_lshrrev_b32_e32 v50, 16, v40
	v_and_b32_e32 v40, 0xffff, v40
	v_fmac_f32_e32 v32, v105, v107
	v_lshrrev_b32_e32 v105, 16, v19
	v_lshrrev_b32_e32 v107, 16, v17
	s_delay_alu instid0(VALU_DEP_3) | instskip(SKIP_1) | instid1(VALU_DEP_2)
	v_fmac_f32_e32 v32, v111, v113
	v_lshrrev_b32_e32 v113, 16, v15
	v_fmac_f32_e32 v32, v117, v120
	v_lshrrev_b32_e32 v120, 16, v14
	v_and_b32_e32 v14, 0xffff, v14
	s_delay_alu instid0(VALU_DEP_3)
	v_dual_fmac_f32 v32, v123, v126 :: v_dual_and_b32 v133, 0xffff, v35
	v_and_b32_e32 v35, 0xffff, v39
	v_lshrrev_b32_e32 v39, 16, v39
	;;#ASMSTART
	v_cvt_f32_f16 v77, v35;
	;;#ASMEND
	;;#ASMSTART
	v_cvt_f32_f16 v39, v39;
	;;#ASMEND
	;; [unrolled: 3-line block ×4, first 2 shown]
	v_dual_fmac_f32 v33, v39, v78 :: v_dual_and_b32 v36, 0xffff, v36
	v_and_b32_e32 v38, 0xffff, v38
	;;#ASMSTART
	v_cvt_f32_f16 v40, v40;
	;;#ASMEND
	;;#ASMSTART
	v_cvt_f32_f16 v50, v50;
	;;#ASMEND
	;; [unrolled: 3-line block ×4, first 2 shown]
	ds_load_b64 v[34:35], v59 offset:80
	v_dual_fmac_f32 v32, v77, v37 :: v_dual_fmac_f32 v31, v40, v38
	v_lshrrev_b32_e32 v123, 16, v11
	s_waitcnt vmcnt(2)
	v_lshrrev_b32_e32 v126, 16, v9
	s_waitcnt lgkmcnt(0)
	v_and_b32_e32 v69, 0xffff, v34
	v_lshrrev_b32_e32 v34, 16, v34
	;;#ASMSTART
	v_cvt_f32_f16 v69, v69;
	;;#ASMEND
	;;#ASMSTART
	v_cvt_f32_f16 v75, v34;
	;;#ASMEND
	v_mul_f32_e32 v34, v49, v82
	v_lshrrev_b32_e32 v70, 16, v35
	;;#ASMSTART
	v_cvt_f32_f16 v76, v133;
	;;#ASMEND
	v_dual_fmac_f32 v32, v69, v76 :: v_dual_and_b32 v35, 0xffff, v35
	s_delay_alu instid0(VALU_DEP_3)
	v_fmac_f32_e32 v34, v71, v72
	;;#ASMSTART
	v_cvt_f32_f16 v80, v132;
	;;#ASMEND
	;;#ASMSTART
	v_cvt_f32_f16 v81, v35;
	;;#ASMEND
	;;#ASMSTART
	v_cvt_f32_f16 v70, v70;
	;;#ASMEND
	;;#ASMSTART
	v_cvt_f32_f16 v131, v36;
	;;#ASMEND
	v_fmac_f32_e32 v34, v83, v84
	;;#ASMSTART
	v_cvt_f32_f16 v132, v134;
	;;#ASMEND
	ds_load_b64 v[35:36], v59 offset:88
	v_fmac_f32_e32 v33, v75, v80
	v_lshrrev_b32_e32 v49, 16, v29
	v_dual_fmac_f32 v34, v90, v92 :: v_dual_and_b32 v29, 0xffff, v29
	v_fmac_f32_e32 v31, v81, v131
	v_lshrrev_b32_e32 v90, 16, v24
	s_delay_alu instid0(VALU_DEP_3) | instskip(NEXT) | instid1(VALU_DEP_1)
	v_fmac_f32_e32 v34, v46, v98
	v_fmac_f32_e32 v34, v106, v104
	s_delay_alu instid0(VALU_DEP_1)
	v_fmac_f32_e32 v34, v112, v110
	v_lshrrev_b32_e32 v110, 16, v16
	s_waitcnt lgkmcnt(0)
	v_lshrrev_b32_e32 v72, 16, v36
	v_and_b32_e32 v36, 0xffff, v36
	v_and_b32_e32 v16, 0xffff, v16
	v_fmac_f32_e32 v34, v118, v116
	s_delay_alu instid0(VALU_DEP_1) | instskip(SKIP_2) | instid1(VALU_DEP_3)
	v_fmac_f32_e32 v34, v124, v130
	v_lshrrev_b32_e32 v124, 16, v10
	v_and_b32_e32 v10, 0xffff, v10
	v_fmac_f32_e32 v34, v50, v79
	s_delay_alu instid0(VALU_DEP_1)
	v_dual_fmac_f32 v34, v70, v132 :: v_dual_and_b32 v71, 0xffff, v35
	v_lshrrev_b32_e32 v35, 16, v35
	;;#ASMSTART
	v_cvt_f32_f16 v71, v71;
	;;#ASMEND
	;;#ASMSTART
	v_cvt_f32_f16 v35, v35;
	;;#ASMEND
	;; [unrolled: 3-line block ×4, first 2 shown]
	v_dual_fmac_f32 v33, v35, v49 :: v_dual_and_b32 v30, 0xffff, v30
	;;#ASMSTART
	v_cvt_f32_f16 v36, v36;
	;;#ASMEND
	;;#ASMSTART
	v_cvt_f32_f16 v72, v72;
	;;#ASMEND
	;; [unrolled: 3-line block ×4, first 2 shown]
	ds_load_b64 v[29:30], v59 offset:96
	v_dual_fmac_f32 v31, v36, v82 :: v_dual_and_b32 v28, 0xffff, v28
	v_fmac_f32_e32 v34, v72, v73
	v_fmac_f32_e32 v32, v71, v74
	s_waitcnt vmcnt(1)
	v_lshrrev_b32_e32 v35, 16, v7
	s_waitcnt lgkmcnt(0)
	v_and_b32_e32 v48, 0xffff, v29
	v_lshrrev_b32_e32 v29, 16, v29
	v_lshrrev_b32_e32 v83, 16, v30
	;;#ASMSTART
	v_cvt_f32_f16 v48, v48;
	;;#ASMEND
	;;#ASMSTART
	v_cvt_f32_f16 v29, v29;
	;;#ASMEND
	;; [unrolled: 3-line block ×4, first 2 shown]
	v_dual_fmac_f32 v33, v29, v85 :: v_dual_and_b32 v30, 0xffff, v30
	;;#ASMSTART
	v_cvt_f32_f16 v30, v30;
	;;#ASMEND
	;;#ASMSTART
	v_cvt_f32_f16 v83, v83;
	;;#ASMEND
	;; [unrolled: 3-line block ×4, first 2 shown]
	ds_load_b64 v[27:28], v59 offset:104
	v_dual_fmac_f32 v34, v83, v47 :: v_dual_and_b32 v25, 0xffff, v25
	v_dual_fmac_f32 v32, v48, v84 :: v_dual_fmac_f32 v31, v30, v86
	s_waitcnt lgkmcnt(0)
	v_and_b32_e32 v89, 0xffff, v27
	v_lshrrev_b32_e32 v27, 16, v27
	v_lshrrev_b32_e32 v91, 16, v28
	;;#ASMSTART
	v_cvt_f32_f16 v89, v89;
	;;#ASMEND
	;;#ASMSTART
	v_cvt_f32_f16 v27, v27;
	;;#ASMEND
	;; [unrolled: 3-line block ×4, first 2 shown]
	v_dual_fmac_f32 v33, v27, v87 :: v_dual_and_b32 v26, 0xffff, v26
	v_and_b32_e32 v28, 0xffff, v28
	;;#ASMSTART
	v_cvt_f32_f16 v28, v28;
	;;#ASMEND
	;;#ASMSTART
	v_cvt_f32_f16 v91, v91;
	;;#ASMEND
	;; [unrolled: 3-line block ×4, first 2 shown]
	ds_load_b64 v[25:26], v59 offset:112
	v_dual_fmac_f32 v31, v28, v94 :: v_dual_and_b32 v24, 0xffff, v24
	v_fmac_f32_e32 v32, v89, v93
	v_fmac_f32_e32 v34, v91, v88
	s_waitcnt lgkmcnt(0)
	v_and_b32_e32 v92, 0xffff, v25
	v_lshrrev_b32_e32 v25, 16, v25
	v_lshrrev_b32_e32 v45, 16, v26
	v_and_b32_e32 v26, 0xffff, v26
	;;#ASMSTART
	v_cvt_f32_f16 v92, v92;
	;;#ASMEND
	v_and_b32_e32 v23, 0xffff, v23
	;;#ASMSTART
	v_cvt_f32_f16 v25, v25;
	;;#ASMEND
	;;#ASMSTART
	v_cvt_f32_f16 v96, v23;
	;;#ASMEND
	v_fmac_f32_e32 v32, v92, v96
	;;#ASMSTART
	v_cvt_f32_f16 v95, v95;
	;;#ASMEND
	;;#ASMSTART
	v_cvt_f32_f16 v26, v26;
	;;#ASMEND
	;; [unrolled: 3-line block ×5, first 2 shown]
	ds_load_b64 v[23:24], v59 offset:120
	v_dual_fmac_f32 v34, v45, v90 :: v_dual_and_b32 v21, 0xffff, v21
	v_dual_fmac_f32 v31, v26, v97 :: v_dual_and_b32 v22, 0xffff, v22
	v_fmac_f32_e32 v33, v25, v95
	s_waitcnt lgkmcnt(0)
	v_and_b32_e32 v46, 0xffff, v23
	v_lshrrev_b32_e32 v23, 16, v23
	v_lshrrev_b32_e32 v98, 16, v24
	v_and_b32_e32 v24, 0xffff, v24
	;;#ASMSTART
	v_cvt_f32_f16 v46, v46;
	;;#ASMEND
	;;#ASMSTART
	v_cvt_f32_f16 v23, v23;
	;;#ASMEND
	;; [unrolled: 3-line block ×8, first 2 shown]
	ds_load_b64 v[21:22], v59 offset:128
	v_fmac_f32_e32 v33, v23, v99
	v_dual_fmac_f32 v32, v46, v101 :: v_dual_and_b32 v19, 0xffff, v19
	v_dual_fmac_f32 v34, v98, v100 :: v_dual_and_b32 v17, 0xffff, v17
	v_fmac_f32_e32 v31, v24, v102
	v_lshrrev_b32_e32 v23, 16, v8
	v_and_b32_e32 v8, 0xffff, v8
	s_waitcnt lgkmcnt(0)
	v_and_b32_e32 v44, 0xffff, v21
	v_lshrrev_b32_e32 v21, 16, v21
	v_lshrrev_b32_e32 v103, 16, v22
	v_and_b32_e32 v22, 0xffff, v22
	;;#ASMSTART
	v_cvt_f32_f16 v44, v44;
	;;#ASMEND
	;;#ASMSTART
	v_cvt_f32_f16 v21, v21;
	;;#ASMEND
	;; [unrolled: 3-line block ×4, first 2 shown]
	v_dual_fmac_f32 v33, v21, v105 :: v_dual_and_b32 v20, 0xffff, v20
	;;#ASMSTART
	v_cvt_f32_f16 v22, v22;
	;;#ASMEND
	;;#ASMSTART
	v_cvt_f32_f16 v103, v103;
	;;#ASMEND
	;; [unrolled: 3-line block ×4, first 2 shown]
	ds_load_b64 v[19:20], v59 offset:136
	v_dual_fmac_f32 v32, v44, v104 :: v_dual_and_b32 v13, 0xffff, v13
	v_dual_fmac_f32 v34, v103, v43 :: v_dual_fmac_f32 v31, v22, v106
	s_waitcnt lgkmcnt(0)
	v_and_b32_e32 v41, 0xffff, v19
	v_lshrrev_b32_e32 v19, 16, v19
	v_lshrrev_b32_e32 v42, 16, v20
	v_and_b32_e32 v20, 0xffff, v20
	;;#ASMSTART
	v_cvt_f32_f16 v41, v41;
	;;#ASMEND
	;;#ASMSTART
	v_cvt_f32_f16 v19, v19;
	;;#ASMEND
	;; [unrolled: 3-line block ×8, first 2 shown]
	ds_load_b64 v[17:18], v59 offset:144
	v_dual_fmac_f32 v32, v41, v109 :: v_dual_and_b32 v15, 0xffff, v15
	v_dual_fmac_f32 v34, v42, v108 :: v_dual_and_b32 v11, 0xffff, v11
	v_fmac_f32_e32 v33, v19, v107
	v_fmac_f32_e32 v31, v20, v111
	s_waitcnt vmcnt(0)
	v_lshrrev_b32_e32 v19, 16, v3
	s_waitcnt lgkmcnt(0)
	v_and_b32_e32 v112, 0xffff, v17
	v_lshrrev_b32_e32 v17, 16, v17
	v_lshrrev_b32_e32 v114, 16, v18
	v_and_b32_e32 v18, 0xffff, v18
	;;#ASMSTART
	v_cvt_f32_f16 v112, v112;
	;;#ASMEND
	;;#ASMSTART
	v_cvt_f32_f16 v17, v17;
	;;#ASMEND
	;; [unrolled: 3-line block ×8, first 2 shown]
	ds_load_b64 v[15:16], v59 offset:152
	v_dual_fmac_f32 v34, v114, v110 :: v_dual_and_b32 v9, 0xffff, v9
	v_dual_fmac_f32 v32, v112, v115 :: v_dual_fmac_f32 v33, v17, v113
	s_waitcnt lgkmcnt(0)
	v_dual_fmac_f32 v31, v18, v117 :: v_dual_and_b32 v116, 0xffff, v15
	v_lshrrev_b32_e32 v15, 16, v15
	v_lshrrev_b32_e32 v118, 16, v16
	v_and_b32_e32 v16, 0xffff, v16
	;;#ASMSTART
	v_cvt_f32_f16 v116, v116;
	;;#ASMEND
	;;#ASMSTART
	v_cvt_f32_f16 v15, v15;
	;;#ASMEND
	;; [unrolled: 3-line block ×8, first 2 shown]
	ds_load_b64 v[13:14], v59 offset:160
	v_dual_fmac_f32 v34, v118, v120 :: v_dual_and_b32 v7, 0xffff, v7
	v_dual_fmac_f32 v32, v116, v121 :: v_dual_fmac_f32 v33, v15, v119
	v_fmac_f32_e32 v31, v16, v122
	s_waitcnt lgkmcnt(0)
	v_and_b32_e32 v37, 0xffff, v13
	v_lshrrev_b32_e32 v13, 16, v13
	v_lshrrev_b32_e32 v38, 16, v14
	v_and_b32_e32 v14, 0xffff, v14
	;;#ASMSTART
	v_cvt_f32_f16 v37, v37;
	;;#ASMEND
	;;#ASMSTART
	v_cvt_f32_f16 v13, v13;
	;;#ASMEND
	;; [unrolled: 3-line block ×8, first 2 shown]
	ds_load_b64 v[11:12], v59 offset:168
	v_fmac_f32_e32 v32, v37, v39
	v_fmac_f32_e32 v33, v13, v40
	;; [unrolled: 1-line block ×3, first 2 shown]
	v_dual_fmac_f32 v34, v38, v69 :: v_dual_and_b32 v3, 0xffff, v3
	v_lshrrev_b32_e32 v13, 16, v4
	v_and_b32_e32 v4, 0xffff, v4
	s_waitcnt lgkmcnt(0)
	v_and_b32_e32 v27, 0xffff, v11
	v_lshrrev_b32_e32 v11, 16, v11
	v_lshrrev_b32_e32 v25, 16, v12
	v_and_b32_e32 v12, 0xffff, v12
	;;#ASMSTART
	v_cvt_f32_f16 v27, v27;
	;;#ASMEND
	;;#ASMSTART
	v_cvt_f32_f16 v11, v11;
	;;#ASMEND
	;;#ASMSTART
	v_cvt_f32_f16 v28, v9;
	;;#ASMEND
	;;#ASMSTART
	v_cvt_f32_f16 v29, v126;
	;;#ASMEND
	;;#ASMSTART
	v_cvt_f32_f16 v12, v12;
	;;#ASMEND
	;;#ASMSTART
	v_cvt_f32_f16 v25, v25;
	;;#ASMEND
	;;#ASMSTART
	v_cvt_f32_f16 v30, v10;
	;;#ASMEND
	;;#ASMSTART
	v_cvt_f32_f16 v36, v124;
	;;#ASMEND
	ds_load_b64 v[9:10], v59 offset:176
	v_fmac_f32_e32 v33, v11, v29
	v_dual_fmac_f32 v31, v12, v30 :: v_dual_fmac_f32 v34, v25, v36
	s_waitcnt lgkmcnt(0)
	v_and_b32_e32 v17, 0xffff, v9
	v_lshrrev_b32_e32 v9, 16, v9
	v_lshrrev_b32_e32 v18, 16, v10
	v_and_b32_e32 v10, 0xffff, v10
	;;#ASMSTART
	v_cvt_f32_f16 v17, v17;
	;;#ASMEND
	;;#ASMSTART
	v_cvt_f32_f16 v9, v9;
	;;#ASMEND
	;; [unrolled: 3-line block ×8, first 2 shown]
	ds_load_b64 v[7:8], v59 offset:184
	v_dual_fmac_f32 v32, v27, v28 :: v_dual_fmac_f32 v33, v9, v21
	v_fmac_f32_e32 v31, v10, v22
	v_fmac_f32_e32 v34, v18, v23
	s_waitcnt lgkmcnt(0)
	s_delay_alu instid0(VALU_DEP_3)
	v_dual_fmac_f32 v32, v17, v20 :: v_dual_and_b32 v9, 0xffff, v7
	v_lshrrev_b32_e32 v7, 16, v7
	;;#ASMSTART
	v_cvt_f32_f16 v9, v9;
	;;#ASMEND
	;;#ASMSTART
	v_cvt_f32_f16 v7, v7;
	;;#ASMEND
	;; [unrolled: 3-line block ×4, first 2 shown]
	v_fmac_f32_e32 v32, v9, v3
	v_fmac_f32_e32 v33, v7, v11
	v_lshrrev_b32_e32 v10, 16, v8
	v_and_b32_e32 v8, 0xffff, v8
	;;#ASMSTART
	v_cvt_f32_f16 v3, v8;
	;;#ASMEND
	;;#ASMSTART
	v_cvt_f32_f16 v7, v10;
	;;#ASMEND
	;; [unrolled: 3-line block ×3, first 2 shown]
	v_fmac_f32_e32 v31, v3, v4
	v_add_f32_e32 v3, v32, v33
	;;#ASMSTART
	v_cvt_f32_f16 v4, v13;
	;;#ASMEND
	v_fmac_f32_e32 v34, v7, v4
	v_cndmask_b32_e64 v4, v56, v62, s1
	s_delay_alu instid0(VALU_DEP_1) | instskip(NEXT) | instid1(VALU_DEP_1)
	v_dual_add_f32 v3, v3, v31 :: v_dual_lshlrev_b32 v4, 2, v4
	v_add_f32_e32 v3, v34, v3
	ds_bpermute_b32 v4, v4, v3
	s_and_saveexec_b32 s44, vcc_lo
	s_cbranch_execz .LBB99_11
; %bb.17:                               ;   in Loop: Header=BB99_13 Depth=1
	s_waitcnt lgkmcnt(0)
	v_add_f32_e32 v3, v3, v4
	v_add_nc_u32_e32 v7, v63, v60
	s_delay_alu instid0(VALU_DEP_1) | instskip(NEXT) | instid1(VALU_DEP_1)
	v_cvt_f32_i32_e32 v7, v7
	v_mul_f32_e32 v7, s38, v7
	s_delay_alu instid0(VALU_DEP_1) | instskip(NEXT) | instid1(VALU_DEP_1)
	v_cndmask_b32_e64 v4, 0, v7, s0
	v_dual_max_f32 v7, v57, v57 :: v_dual_fmac_f32 v4, s35, v3
	v_add_nc_u32_e32 v3, v58, v60
	s_delay_alu instid0(VALU_DEP_2) | instskip(NEXT) | instid1(VALU_DEP_2)
	v_max_f32_e32 v7, v7, v4
	v_cmp_gt_i32_e64 s1, s33, v3
	s_delay_alu instid0(VALU_DEP_1) | instskip(NEXT) | instid1(VALU_DEP_3)
	v_cndmask_b32_e64 v3, 0, v4, s1
	v_cndmask_b32_e64 v57, v57, v7, s1
	ds_store_b32 v64, v3
	s_branch .LBB99_11
.LBB99_18:
	s_or_b32 exec_lo, exec_lo, s42
.LBB99_19:
	s_delay_alu instid0(SALU_CYCLE_1) | instskip(SKIP_4) | instid1(VALU_DEP_4)
	s_or_b32 exec_lo, exec_lo, s40
	v_xor_b32_e32 v1, 16, v56
	v_xor_b32_e32 v2, 8, v56
	v_and_b32_e32 v10, 31, v0
	v_lshlrev_b32_e32 v9, 2, v53
	v_cmp_gt_i32_e32 vcc_lo, 32, v1
	v_cndmask_b32_e32 v1, v56, v1, vcc_lo
	v_cmp_gt_i32_e32 vcc_lo, 32, v2
	s_delay_alu instid0(VALU_DEP_2)
	v_dual_cndmask_b32 v2, v56, v2 :: v_dual_lshlrev_b32 v3, 2, v1
	s_waitcnt lgkmcnt(0)
	v_max_f32_e32 v4, v57, v57
	ds_bpermute_b32 v1, v3, v57
	v_lshlrev_b32_e32 v7, 2, v2
	s_waitcnt lgkmcnt(0)
	v_max_f32_e32 v1, v1, v1
	s_delay_alu instid0(VALU_DEP_1) | instskip(SKIP_1) | instid1(VALU_DEP_1)
	v_max_f32_e32 v1, v4, v1
	v_xor_b32_e32 v4, 4, v56
	v_cmp_gt_i32_e32 vcc_lo, 32, v4
	v_cndmask_b32_e32 v4, v56, v4, vcc_lo
	s_delay_alu instid0(VALU_DEP_1) | instskip(SKIP_2) | instid1(VALU_DEP_1)
	v_lshlrev_b32_e32 v8, 2, v4
	ds_bpermute_b32 v2, v7, v1
	v_xor_b32_e32 v4, 2, v56
	v_cmp_gt_i32_e32 vcc_lo, 32, v4
	v_cndmask_b32_e32 v4, v56, v4, vcc_lo
	v_cmp_eq_u32_e32 vcc_lo, 0, v10
	s_waitcnt lgkmcnt(0)
	v_max_f32_e32 v2, v2, v2
	s_delay_alu instid0(VALU_DEP_1) | instskip(SKIP_3) | instid1(VALU_DEP_1)
	v_max_f32_e32 v1, v1, v2
	ds_bpermute_b32 v2, v8, v1
	s_waitcnt lgkmcnt(0)
	v_max_f32_e32 v2, v2, v2
	v_dual_max_f32 v1, v1, v2 :: v_dual_lshlrev_b32 v2, 2, v4
	ds_bpermute_b32 v4, v2, v1
	s_and_saveexec_b32 s0, vcc_lo
	s_cbranch_execz .LBB99_21
; %bb.20:
	s_waitcnt lgkmcnt(0)
	v_dual_max_f32 v4, v4, v4 :: v_dual_max_f32 v1, v1, v1
	s_delay_alu instid0(VALU_DEP_1)
	v_max_f32_e32 v1, v1, v4
	ds_store_b32 v9, v1 offset:384
.LBB99_21:
	s_or_b32 exec_lo, exec_lo, s0
	v_cmp_gt_u32_e64 s0, 4, v10
	v_dual_mov_b32 v1, 0xff7fffff :: v_dual_lshlrev_b32 v12, 2, v10
	s_waitcnt lgkmcnt(0)
	s_barrier
	buffer_gl0_inv
	s_and_saveexec_b32 s1, s0
	s_cbranch_execz .LBB99_23
; %bb.22:
	ds_load_b32 v1, v12 offset:384
.LBB99_23:
	s_or_b32 exec_lo, exec_lo, s1
	s_waitcnt lgkmcnt(0)
	ds_bpermute_b32 v4, v2, v1
	v_xor_b32_e32 v11, 1, v56
	v_max_f32_e32 v1, v1, v1
	v_mov_b32_e32 v13, 0
	s_delay_alu instid0(VALU_DEP_3) | instskip(NEXT) | instid1(VALU_DEP_1)
	v_cmp_gt_i32_e64 s1, 32, v11
	v_cndmask_b32_e64 v11, v56, v11, s1
	s_sub_i32 s1, s8, s39
	s_delay_alu instid0(SALU_CYCLE_1) | instskip(NEXT) | instid1(VALU_DEP_1)
	s_lshl_b32 s1, s1, 4
	v_lshlrev_b32_e32 v11, 2, v11
	s_add_i32 s1, s1, s15
	s_delay_alu instid0(SALU_CYCLE_1) | instskip(SKIP_3) | instid1(SALU_CYCLE_1)
	s_min_i32 s1, s1, s33
	s_waitcnt lgkmcnt(0)
	v_max_f32_e32 v4, v4, v4
	s_sub_i32 s7, s1, s15
	v_cmp_gt_i32_e64 s1, s7, v0
	s_delay_alu instid0(VALU_DEP_2) | instskip(SKIP_3) | instid1(VALU_DEP_1)
	v_max_f32_e32 v1, v1, v4
	ds_bpermute_b32 v4, v11, v1
	s_waitcnt lgkmcnt(0)
	v_max_f32_e32 v4, v4, v4
	v_max_f32_e32 v1, v1, v4
	v_lshl_add_u32 v4, v0, 2, 0x1a0
	ds_bpermute_b32 v1, v13, v1
	s_and_saveexec_b32 s15, s1
	s_cbranch_execz .LBB99_27
; %bb.24:
	v_lshl_add_u32 v14, v0, 2, 0x1a0
	v_mov_b32_e32 v13, 0
	v_mov_b32_e32 v15, v0
	s_mov_b32 s35, 0
	.p2align	6
.LBB99_25:                              ; =>This Inner Loop Header: Depth=1
	ds_load_b32 v16, v14
	v_add_nc_u32_e32 v15, 0x80, v15
	s_delay_alu instid0(VALU_DEP_1) | instskip(NEXT) | instid1(VALU_DEP_1)
	v_cmp_le_i32_e64 s3, s7, v15
	s_or_b32 s35, s3, s35
	s_waitcnt lgkmcnt(0)
	v_sub_f32_e32 v16, v16, v1
	s_delay_alu instid0(VALU_DEP_1) | instskip(NEXT) | instid1(VALU_DEP_1)
	v_mul_f32_e32 v16, 0x3fb8aa3b, v16
	v_exp_f32_e32 v16, v16
	ds_store_b32 v14, v16
	v_dual_add_f32 v13, v13, v16 :: v_dual_add_nc_u32 v14, 0x200, v14
	s_and_not1_b32 exec_lo, exec_lo, s35
	s_cbranch_execnz .LBB99_25
; %bb.26:
	s_or_b32 exec_lo, exec_lo, s35
.LBB99_27:
	s_delay_alu instid0(SALU_CYCLE_1)
	s_or_b32 exec_lo, exec_lo, s15
	ds_bpermute_b32 v3, v3, v13
	s_waitcnt lgkmcnt(0)
	v_add_f32_e32 v3, v13, v3
	ds_bpermute_b32 v7, v7, v3
	s_waitcnt lgkmcnt(0)
	v_add_f32_e32 v3, v3, v7
	;; [unrolled: 3-line block ×5, first 2 shown]
	s_and_saveexec_b32 s3, vcc_lo
	s_cbranch_execz .LBB99_29
; %bb.28:
	ds_store_b32 v9, v3 offset:400
.LBB99_29:
	s_or_b32 exec_lo, exec_lo, s3
	s_waitcnt lgkmcnt(0)
	s_barrier
	buffer_gl0_inv
	s_and_saveexec_b32 s3, s0
	s_cbranch_execz .LBB99_31
; %bb.30:
	ds_load_b32 v3, v12 offset:400
.LBB99_31:
	s_or_b32 exec_lo, exec_lo, s3
	s_waitcnt lgkmcnt(0)
	ds_bpermute_b32 v2, v2, v3
	s_waitcnt lgkmcnt(0)
	v_add_f32_e32 v2, v3, v2
	ds_bpermute_b32 v3, v11, v2
	s_waitcnt lgkmcnt(0)
	v_dual_add_f32 v2, v2, v3 :: v_dual_mov_b32 v3, 0
	ds_bpermute_b32 v2, v3, v2
	s_and_saveexec_b32 s0, s1
	s_cbranch_execz .LBB99_34
; %bb.32:
	s_waitcnt lgkmcnt(0)
	v_add_f32_e32 v3, 0x358637bd, v2
	s_mov_b32 s1, 0
	s_delay_alu instid0(VALU_DEP_1) | instskip(NEXT) | instid1(VALU_DEP_1)
	v_div_scale_f32 v7, null, v3, v3, 1.0
	v_rcp_f32_e32 v8, v7
	s_waitcnt_depctr 0xfff
	v_fma_f32 v9, -v7, v8, 1.0
	s_delay_alu instid0(VALU_DEP_1) | instskip(SKIP_1) | instid1(VALU_DEP_1)
	v_fmac_f32_e32 v8, v9, v8
	v_div_scale_f32 v12, vcc_lo, 1.0, v3, 1.0
	v_mul_f32_e32 v9, v12, v8
	s_delay_alu instid0(VALU_DEP_1) | instskip(NEXT) | instid1(VALU_DEP_1)
	v_fma_f32 v13, -v7, v9, v12
	v_fmac_f32_e32 v9, v13, v8
	s_delay_alu instid0(VALU_DEP_1) | instskip(NEXT) | instid1(VALU_DEP_1)
	v_fma_f32 v7, -v7, v9, v12
	v_div_fmas_f32 v7, v7, v8, v9
	s_delay_alu instid0(VALU_DEP_1)
	v_div_fixup_f32 v3, v7, v3, 1.0
	v_mov_b32_e32 v7, v0
.LBB99_33:                              ; =>This Inner Loop Header: Depth=1
	ds_load_b32 v8, v4
	s_waitcnt lgkmcnt(0)
	v_dual_mul_f32 v8, v3, v8 :: v_dual_add_nc_u32 v7, 0x80, v7
	s_delay_alu instid0(VALU_DEP_1) | instskip(SKIP_3) | instid1(SALU_CYCLE_1)
	v_cmp_le_i32_e32 vcc_lo, s7, v7
	ds_store_b32 v4, v8
	v_add_nc_u32_e32 v4, 0x200, v4
	s_or_b32 s1, vcc_lo, s1
	s_and_not1_b32 exec_lo, exec_lo, s1
	s_cbranch_execnz .LBB99_33
.LBB99_34:
	s_or_b32 exec_lo, exec_lo, s0
	s_mul_i32 s0, s4, s14
	s_waitcnt lgkmcnt(0)
	s_mul_i32 s14, s0, s13
	s_mov_b32 s0, exec_lo
	s_barrier
	buffer_gl0_inv
	v_cmpx_eq_u32_e32 0, v0
	s_cbranch_execz .LBB99_36
; %bb.35:
	s_ashr_i32 s15, s14, 31
	s_mul_i32 s40, s4, s24
	s_lshl_b64 s[38:39], s[14:15], 2
	v_mov_b32_e32 v3, 0
	s_add_u32 s1, s18, s38
	s_addc_u32 s3, s19, s39
	s_ashr_i32 s41, s40, 31
	s_delay_alu instid0(SALU_CYCLE_1) | instskip(NEXT) | instid1(SALU_CYCLE_1)
	s_lshl_b64 s[18:19], s[40:41], 2
	s_add_u32 s1, s1, s18
	s_addc_u32 s3, s3, s19
	s_ashr_i32 s13, s12, 31
	s_delay_alu instid0(SALU_CYCLE_1) | instskip(NEXT) | instid1(SALU_CYCLE_1)
	s_lshl_b64 s[40:41], s[12:13], 2
	s_add_u32 s42, s1, s40
	s_addc_u32 s43, s3, s41
	s_add_u32 s1, s16, s38
	s_addc_u32 s3, s17, s39
	;; [unrolled: 2-line block ×4, first 2 shown]
	s_clause 0x1
	global_store_b32 v3, v1, s[42:43]
	global_store_b32 v3, v2, s[16:17]
.LBB99_36:
	s_or_b32 exec_lo, exec_lo, s0
	v_dual_mov_b32 v23, 0 :: v_dual_mov_b32 v22, 0
	v_dual_mov_b32 v21, 0 :: v_dual_mov_b32 v20, 0
	;; [unrolled: 1-line block ×6, first 2 shown]
	s_mov_b32 s3, 0
	s_and_saveexec_b32 s1, s2
	s_cbranch_execz .LBB99_66
; %bb.37:
	s_ashr_i32 s7, s6, 31
	s_sub_i32 s2, s37, s9
	s_lshl_b64 s[6:7], s[6:7], 1
	v_dual_mov_b32 v12, 0 :: v_dual_and_b32 v3, 0xf8, v55
	s_add_u32 s6, s30, s6
	s_addc_u32 s7, s31, s7
	s_abs_i32 s9, s10
	s_delay_alu instid0(VALU_DEP_1) | instskip(SKIP_4) | instid1(VALU_DEP_3)
	v_or_b32_e32 v7, 0x800, v3
	v_cvt_f32_u32_e32 v1, s9
	s_sub_i32 s0, 0, s9
	v_dual_mov_b32 v16, 0 :: v_dual_lshlrev_b32 v25, 1, v3
	v_or_b32_e32 v8, 0x900, v3
	v_rcp_iflag_f32_e32 v4, v1
	v_lshlrev_b64 v[1:2], 2, v[5:6]
	v_dual_mov_b32 v15, 0 :: v_dual_lshlrev_b32 v6, 5, v52
	v_or_b32_e32 v9, 0xa00, v3
	v_or_b32_e32 v19, 0xb00, v3
	s_lshl_b64 s[18:19], s[28:29], 2
	s_delay_alu instid0(VALU_DEP_3) | instskip(SKIP_2) | instid1(TRANS32_DEP_1)
	v_lshl_or_b32 v6, v53, 6, v6
	v_lshlrev_b32_e32 v27, 1, v7
	s_add_i32 s34, s34, -1
	v_mul_f32_e32 v4, 0x4f7ffffe, v4
	v_dual_mov_b32 v13, 0 :: v_dual_and_b32 v24, 8, v55
	v_add_nc_u32_e32 v26, 0x1a0, v6
	v_dual_mov_b32 v14, 0 :: v_dual_mov_b32 v17, 0
	s_delay_alu instid0(VALU_DEP_4) | instskip(SKIP_2) | instid1(VALU_DEP_3)
	v_cvt_u32_f32_e32 v4, v4
	v_dual_mov_b32 v18, 0 :: v_dual_lshlrev_b32 v29, 1, v9
	v_dual_mov_b32 v21, 0 :: v_dual_lshlrev_b32 v28, 1, v8
	v_mul_lo_u32 v20, s0, v4
	s_add_u32 s0, s26, s18
	s_addc_u32 s17, s27, s19
	v_add_co_u32 v6, vcc_lo, s0, v1
	v_dual_mov_b32 v23, 0 :: v_dual_lshlrev_b32 v30, 1, v19
	v_add_co_ci_u32_e32 v7, vcc_lo, s17, v2, vcc_lo
	s_delay_alu instid0(VALU_DEP_4)
	v_mul_hi_u32 v3, v4, v20
	v_dual_mov_b32 v19, 0 :: v_dual_mov_b32 v22, 0
	s_mov_b32 s10, s33
	v_mov_b32_e32 v20, 0
	s_mov_b32 s13, s33
	s_mov_b32 s15, s33
	;; [unrolled: 1-line block ×3, first 2 shown]
	s_delay_alu instid0(VALU_DEP_3)
	v_add_nc_u32_e32 v31, v4, v3
	s_mov_b32 s17, s33
	s_mov_b32 s18, s33
	s_mov_b32 s19, s33
	s_branch .LBB99_40
.LBB99_38:                              ;   in Loop: Header=BB99_40 Depth=1
	s_or_b32 exec_lo, exec_lo, s0
	v_dual_add_f32 v33, v66, v67 :: v_dual_add_f32 v34, v64, v65
	v_add_f32_e32 v32, v46, v47
	s_waitcnt vmcnt(0)
	;;#ASMSTART
	v_pk_mul_f16 v1, v44, v1;

	;;#ASMEND
	;;#ASMSTART
	v_pk_mul_f16 v2, v42, v2;

	;;#ASMEND
	;; [unrolled: 4-line block ×3, first 2 shown]
	v_dual_add_f32 v15, v15, v34 :: v_dual_add_f32 v8, v8, v9
	v_add_f32_e32 v13, v13, v32
	;;#ASMSTART
	v_pk_mul_f16 v4, v38, v4;

	;;#ASMEND
	;;#ASMSTART
	v_pk_add_f16 v1, v1, v2;

	;;#ASMEND
	v_add_f32_e32 v14, v14, v33
	v_dual_add_f32 v33, v58, v59 :: v_dual_add_f32 v16, v16, v8
	v_add_f32_e32 v8, v56, v57
	;;#ASMSTART
	v_pk_add_f16 v1, v1, v3;

	;;#ASMEND
	v_add_f32_e32 v3, v50, v55
	v_dual_add_f32 v9, v62, v63 :: v_dual_add_f32 v32, v60, v61
	;;#ASMSTART
	v_pk_add_f16 v1, v1, v4;

	;;#ASMEND
	s_delay_alu instid0(VALU_DEP_2)
	v_dual_add_f32 v21, v21, v3 :: v_dual_and_b32 v2, 0xffff, v1
	v_lshrrev_b32_e32 v1, 16, v1
	;;#ASMSTART
	v_cvt_f32_f16 v2, v2;
	;;#ASMEND
	;;#ASMSTART
	v_cvt_f32_f16 v1, v1;
	;;#ASMEND
	v_dual_add_f32 v17, v17, v9 :: v_dual_add_f32 v18, v18, v32
	v_dual_add_f32 v4, v48, v49 :: v_dual_add_f32 v9, v37, v40
	v_add_f32_e32 v1, v2, v1
	v_dual_add_f32 v19, v19, v33 :: v_dual_add_f32 v20, v20, v8
	s_delay_alu instid0(VALU_DEP_3) | instskip(NEXT) | instid1(VALU_DEP_3)
	v_dual_add_f32 v22, v22, v4 :: v_dual_add_f32 v23, v23, v9
	v_add_f32_e32 v12, v12, v1
.LBB99_39:                              ;   in Loop: Header=BB99_40 Depth=1
	s_or_b32 exec_lo, exec_lo, s24
	v_add_nc_u32_e32 v5, 4, v5
	v_add_co_u32 v6, s0, v6, 16
	s_delay_alu instid0(VALU_DEP_1) | instskip(NEXT) | instid1(VALU_DEP_3)
	v_add_co_ci_u32_e64 v7, s0, 0, v7, s0
	v_cmp_le_i32_e32 vcc_lo, s8, v5
	v_add_nc_u32_e32 v54, 64, v54
	v_add_nc_u32_e32 v26, 0x100, v26
	s_or_b32 s3, vcc_lo, s3
	s_delay_alu instid0(SALU_CYCLE_1)
	s_and_not1_b32 exec_lo, exec_lo, s3
	s_cbranch_execz .LBB99_65
.LBB99_40:                              ; =>This Inner Loop Header: Depth=1
	v_sub_nc_u32_e32 v1, 0, v54
	s_delay_alu instid0(VALU_DEP_1) | instskip(NEXT) | instid1(VALU_DEP_1)
	v_max_i32_e32 v1, v54, v1
	v_mul_hi_u32 v2, v1, s25
	s_delay_alu instid0(VALU_DEP_1) | instskip(NEXT) | instid1(VALU_DEP_1)
	v_mul_lo_u32 v3, v2, s21
	v_sub_nc_u32_e32 v1, v1, v3
	v_add_nc_u32_e32 v3, 1, v2
	s_delay_alu instid0(VALU_DEP_2) | instskip(SKIP_1) | instid1(VALU_DEP_2)
	v_subrev_nc_u32_e32 v4, s21, v1
	v_cmp_le_u32_e32 vcc_lo, s21, v1
	v_dual_cndmask_b32 v2, v2, v3 :: v_dual_cndmask_b32 v1, v1, v4
	v_ashrrev_i32_e32 v3, 31, v54
	s_delay_alu instid0(VALU_DEP_2) | instskip(NEXT) | instid1(VALU_DEP_3)
	v_add_nc_u32_e32 v4, 1, v2
	v_cmp_le_u32_e32 vcc_lo, s21, v1
	s_delay_alu instid0(VALU_DEP_3) | instskip(NEXT) | instid1(VALU_DEP_3)
	v_xor_b32_e32 v3, s11, v3
	v_cndmask_b32_e32 v1, v2, v4, vcc_lo
	s_delay_alu instid0(VALU_DEP_1) | instskip(NEXT) | instid1(VALU_DEP_1)
	v_xor_b32_e32 v1, v1, v3
	v_sub_nc_u32_e32 v1, v1, v3
	s_delay_alu instid0(VALU_DEP_1) | instskip(SKIP_1) | instid1(VALU_DEP_2)
	v_add_nc_u32_e32 v2, s36, v1
	v_cmp_lt_i32_e64 s0, s2, v1
	v_sub_nc_u32_e32 v3, 0, v2
	s_delay_alu instid0(VALU_DEP_1) | instskip(NEXT) | instid1(VALU_DEP_1)
	v_max_i32_e32 v3, v2, v3
	v_mul_hi_u32 v4, v3, v31
	s_delay_alu instid0(VALU_DEP_1) | instskip(NEXT) | instid1(VALU_DEP_1)
	v_mul_lo_u32 v4, v4, s9
	v_sub_nc_u32_e32 v3, v3, v4
	s_delay_alu instid0(VALU_DEP_1) | instskip(SKIP_1) | instid1(VALU_DEP_2)
	v_subrev_nc_u32_e32 v4, s9, v3
	v_cmp_le_u32_e32 vcc_lo, s9, v3
	v_cndmask_b32_e32 v3, v3, v4, vcc_lo
	v_ashrrev_i32_e32 v2, 31, v2
	s_delay_alu instid0(VALU_DEP_2) | instskip(SKIP_1) | instid1(VALU_DEP_2)
	v_subrev_nc_u32_e32 v4, s9, v3
	v_cmp_le_u32_e32 vcc_lo, s9, v3
	v_cndmask_b32_e32 v3, v3, v4, vcc_lo
	s_delay_alu instid0(VALU_DEP_1) | instskip(NEXT) | instid1(VALU_DEP_1)
	v_xor_b32_e32 v3, v3, v2
	v_sub_nc_u32_e32 v2, v3, v2
	s_delay_alu instid0(VALU_DEP_1) | instskip(SKIP_1) | instid1(SALU_CYCLE_1)
	v_cmp_eq_u32_e32 vcc_lo, 0, v2
	s_or_b32 s0, vcc_lo, s0
	s_and_saveexec_b32 s24, s0
	s_cbranch_execz .LBB99_39
; %bb.41:                               ;   in Loop: Header=BB99_40 Depth=1
	global_load_b32 v32, v[6:7], off
	ds_load_2addr_b64 v[1:4], v26 offset1:1
	s_waitcnt vmcnt(0)
	v_mad_i64_i32 v[8:9], null, v32, s5, 0
	ds_load_2addr_b64 v[32:35], v26 offset0:2 offset1:3
	s_waitcnt lgkmcnt(1)
	;;#ASMSTART
	v_cvt_f16_f32 v40, v1;

	;;#ASMEND
	;;#ASMSTART
	v_cvt_f16_f32 v37, v2;

	;;#ASMEND
	;; [unrolled: 4-line block ×4, first 2 shown]
	s_waitcnt lgkmcnt(0)
	;;#ASMSTART
	v_cvt_f16_f32 v42, v32;

	;;#ASMEND
	v_lshlrev_b64 v[8:9], 1, v[8:9]
	;;#ASMSTART
	v_cvt_f16_f32 v48, v33;

	;;#ASMEND
	;;#ASMSTART
	v_cvt_f16_f32 v44, v34;

	;;#ASMEND
	;; [unrolled: 4-line block ×3, first 2 shown]
	v_add_nc_u32_e32 v32, v24, v54
	s_delay_alu instid0(VALU_DEP_2) | instskip(SKIP_1) | instid1(VALU_DEP_3)
	v_add_co_u32 v46, vcc_lo, s6, v8
	v_add_co_ci_u32_e32 v47, vcc_lo, s7, v9, vcc_lo
	v_add_nc_u32_e32 v33, 1, v32
	s_delay_alu instid0(VALU_DEP_3) | instskip(NEXT) | instid1(VALU_DEP_3)
	v_add_co_u32 v8, vcc_lo, v46, v25
	v_add_co_ci_u32_e32 v9, vcc_lo, 0, v47, vcc_lo
	v_cmp_eq_u32_e32 vcc_lo, s34, v5
	v_or_b32_e32 v35, 3, v32
	v_or_b32_e32 v34, 2, v32
	global_load_b128 v[1:4], v[8:9], off
	v_or_b32_e32 v39, 5, v32
	v_or_b32_e32 v36, 4, v32
	;; [unrolled: 1-line block ×4, first 2 shown]
	s_and_saveexec_b32 s26, vcc_lo
	s_cbranch_execz .LBB99_43
; %bb.42:                               ;   in Loop: Header=BB99_40 Depth=1
	s_delay_alu instid0(VALU_DEP_1)
	v_cmp_gt_i32_e64 s0, s18, v45
	s_waitcnt vmcnt(0)
	v_lshrrev_b32_e32 v50, 16, v4
	v_lshrrev_b32_e32 v55, 16, v3
	;; [unrolled: 1-line block ×4, first 2 shown]
	v_cndmask_b32_e64 v4, 0, v4, s0
	v_cmp_gt_i32_e64 s0, s19, v43
	s_delay_alu instid0(VALU_DEP_1) | instskip(SKIP_1) | instid1(VALU_DEP_2)
	v_cndmask_b32_e64 v50, 0, v50, s0
	v_cmp_gt_i32_e64 s0, s17, v39
	v_perm_b32 v4, v50, v4, 0x5040100
	s_delay_alu instid0(VALU_DEP_2) | instskip(SKIP_1) | instid1(VALU_DEP_1)
	v_cndmask_b32_e64 v55, 0, v55, s0
	v_cmp_gt_i32_e64 s0, s16, v36
	v_cndmask_b32_e64 v3, 0, v3, s0
	v_cmp_gt_i32_e64 s0, s15, v35
	s_delay_alu instid0(VALU_DEP_2) | instskip(NEXT) | instid1(VALU_DEP_2)
	v_perm_b32 v3, v55, v3, 0x5040100
	v_cndmask_b32_e64 v56, 0, v56, s0
	v_cmp_gt_i32_e64 s0, s13, v34
	s_delay_alu instid0(VALU_DEP_1) | instskip(SKIP_1) | instid1(VALU_DEP_2)
	v_cndmask_b32_e64 v2, 0, v2, s0
	v_cmp_gt_i32_e64 s0, s10, v33
	v_perm_b32 v2, v56, v2, 0x5040100
	s_delay_alu instid0(VALU_DEP_2) | instskip(SKIP_1) | instid1(VALU_DEP_1)
	v_cndmask_b32_e64 v57, 0, v57, s0
	v_cmp_gt_i32_e64 s0, s33, v32
	v_cndmask_b32_e64 v1, 0, v1, s0
	s_delay_alu instid0(VALU_DEP_1)
	v_perm_b32 v1, v57, v1, 0x5040100
.LBB99_43:                              ;   in Loop: Header=BB99_40 Depth=1
	s_or_b32 exec_lo, exec_lo, s26
	v_and_b32_e32 v40, 0xffff, v40
	v_and_b32_e32 v41, 0xffff, v41
	;; [unrolled: 1-line block ×4, first 2 shown]
	s_delay_alu instid0(VALU_DEP_4)
	v_lshl_or_b32 v44, v37, 16, v40
	s_waitcnt vmcnt(0)
	;;#ASMSTART
	v_pk_mul_f16 v1, v44, v1;

	;;#ASMEND
	v_lshl_or_b32 v42, v38, 16, v41
	v_lshl_or_b32 v41, v48, 16, v50
	;; [unrolled: 1-line block ×3, first 2 shown]
	;;#ASMSTART
	v_pk_mul_f16 v2, v42, v2;

	;;#ASMEND
	;;#ASMSTART
	v_pk_mul_f16 v3, v41, v3;

	;;#ASMEND
	;; [unrolled: 4-line block ×3, first 2 shown]
	;;#ASMSTART
	v_pk_add_f16 v1, v1, v2;

	;;#ASMEND
	;;#ASMSTART
	v_pk_add_f16 v1, v1, v3;

	;;#ASMEND
	;;#ASMSTART
	v_pk_add_f16 v1, v1, v4;

	;;#ASMEND
	v_and_b32_e32 v2, 0xffff, v1
	v_lshrrev_b32_e32 v1, 16, v1
	;;#ASMSTART
	v_cvt_f32_f16 v37, v2;
	;;#ASMEND
	;;#ASMSTART
	v_cvt_f32_f16 v40, v1;
	;;#ASMEND
	global_load_b128 v[1:4], v[8:9], off offset:512
	s_and_saveexec_b32 s26, vcc_lo
	s_cbranch_execz .LBB99_45
; %bb.44:                               ;   in Loop: Header=BB99_40 Depth=1
	v_cmp_gt_i32_e64 s0, s18, v45
	s_waitcnt vmcnt(0)
	v_lshrrev_b32_e32 v48, 16, v4
	v_lshrrev_b32_e32 v49, 16, v3
	;; [unrolled: 1-line block ×4, first 2 shown]
	v_cndmask_b32_e64 v4, 0, v4, s0
	v_cmp_gt_i32_e64 s0, s19, v43
	s_delay_alu instid0(VALU_DEP_1) | instskip(SKIP_1) | instid1(VALU_DEP_2)
	v_cndmask_b32_e64 v48, 0, v48, s0
	v_cmp_gt_i32_e64 s0, s17, v39
	v_perm_b32 v4, v48, v4, 0x5040100
	s_delay_alu instid0(VALU_DEP_2) | instskip(SKIP_1) | instid1(VALU_DEP_1)
	v_cndmask_b32_e64 v49, 0, v49, s0
	v_cmp_gt_i32_e64 s0, s16, v36
	v_cndmask_b32_e64 v3, 0, v3, s0
	v_cmp_gt_i32_e64 s0, s15, v35
	s_delay_alu instid0(VALU_DEP_2) | instskip(NEXT) | instid1(VALU_DEP_2)
	v_perm_b32 v3, v49, v3, 0x5040100
	v_cndmask_b32_e64 v50, 0, v50, s0
	v_cmp_gt_i32_e64 s0, s13, v34
	s_delay_alu instid0(VALU_DEP_1) | instskip(SKIP_1) | instid1(VALU_DEP_2)
	v_cndmask_b32_e64 v2, 0, v2, s0
	v_cmp_gt_i32_e64 s0, s10, v33
	v_perm_b32 v2, v50, v2, 0x5040100
	s_delay_alu instid0(VALU_DEP_2) | instskip(SKIP_1) | instid1(VALU_DEP_1)
	v_cndmask_b32_e64 v55, 0, v55, s0
	v_cmp_gt_i32_e64 s0, s33, v32
	v_cndmask_b32_e64 v1, 0, v1, s0
	s_delay_alu instid0(VALU_DEP_1)
	v_perm_b32 v1, v55, v1, 0x5040100
.LBB99_45:                              ;   in Loop: Header=BB99_40 Depth=1
	s_or_b32 exec_lo, exec_lo, s26
	s_waitcnt vmcnt(0)
	;;#ASMSTART
	v_pk_mul_f16 v1, v44, v1;

	;;#ASMEND
	;;#ASMSTART
	v_pk_mul_f16 v2, v42, v2;

	;;#ASMEND
	;; [unrolled: 4-line block ×4, first 2 shown]
	;;#ASMSTART
	v_pk_add_f16 v1, v1, v2;

	;;#ASMEND
	;;#ASMSTART
	v_pk_add_f16 v1, v1, v3;

	;;#ASMEND
	;; [unrolled: 4-line block ×3, first 2 shown]
	v_and_b32_e32 v2, 0xffff, v1
	v_lshrrev_b32_e32 v1, 16, v1
	;;#ASMSTART
	v_cvt_f32_f16 v48, v2;
	;;#ASMEND
	;;#ASMSTART
	v_cvt_f32_f16 v49, v1;
	;;#ASMEND
	global_load_b128 v[1:4], v[8:9], off offset:1024
	s_and_saveexec_b32 s26, vcc_lo
	s_cbranch_execz .LBB99_47
; %bb.46:                               ;   in Loop: Header=BB99_40 Depth=1
	v_cmp_gt_i32_e64 s0, s18, v45
	s_waitcnt vmcnt(0)
	v_lshrrev_b32_e32 v50, 16, v4
	v_lshrrev_b32_e32 v55, 16, v3
	;; [unrolled: 1-line block ×4, first 2 shown]
	v_cndmask_b32_e64 v4, 0, v4, s0
	v_cmp_gt_i32_e64 s0, s19, v43
	s_delay_alu instid0(VALU_DEP_1) | instskip(SKIP_1) | instid1(VALU_DEP_2)
	v_cndmask_b32_e64 v50, 0, v50, s0
	v_cmp_gt_i32_e64 s0, s17, v39
	v_perm_b32 v4, v50, v4, 0x5040100
	s_delay_alu instid0(VALU_DEP_2) | instskip(SKIP_1) | instid1(VALU_DEP_1)
	v_cndmask_b32_e64 v55, 0, v55, s0
	v_cmp_gt_i32_e64 s0, s16, v36
	v_cndmask_b32_e64 v3, 0, v3, s0
	v_cmp_gt_i32_e64 s0, s15, v35
	s_delay_alu instid0(VALU_DEP_2) | instskip(NEXT) | instid1(VALU_DEP_2)
	v_perm_b32 v3, v55, v3, 0x5040100
	v_cndmask_b32_e64 v56, 0, v56, s0
	v_cmp_gt_i32_e64 s0, s13, v34
	s_delay_alu instid0(VALU_DEP_1) | instskip(SKIP_1) | instid1(VALU_DEP_2)
	v_cndmask_b32_e64 v2, 0, v2, s0
	v_cmp_gt_i32_e64 s0, s10, v33
	v_perm_b32 v2, v56, v2, 0x5040100
	s_delay_alu instid0(VALU_DEP_2) | instskip(SKIP_1) | instid1(VALU_DEP_1)
	v_cndmask_b32_e64 v57, 0, v57, s0
	v_cmp_gt_i32_e64 s0, s33, v32
	v_cndmask_b32_e64 v1, 0, v1, s0
	s_delay_alu instid0(VALU_DEP_1)
	v_perm_b32 v1, v57, v1, 0x5040100
.LBB99_47:                              ;   in Loop: Header=BB99_40 Depth=1
	s_or_b32 exec_lo, exec_lo, s26
	s_waitcnt vmcnt(0)
	;;#ASMSTART
	v_pk_mul_f16 v1, v44, v1;

	;;#ASMEND
	;;#ASMSTART
	v_pk_mul_f16 v2, v42, v2;

	;;#ASMEND
	;; [unrolled: 4-line block ×4, first 2 shown]
	;;#ASMSTART
	v_pk_add_f16 v1, v1, v2;

	;;#ASMEND
	;;#ASMSTART
	v_pk_add_f16 v1, v1, v3;

	;;#ASMEND
	;; [unrolled: 4-line block ×3, first 2 shown]
	v_and_b32_e32 v2, 0xffff, v1
	v_lshrrev_b32_e32 v1, 16, v1
	;;#ASMSTART
	v_cvt_f32_f16 v50, v2;
	;;#ASMEND
	;;#ASMSTART
	v_cvt_f32_f16 v55, v1;
	;;#ASMEND
	global_load_b128 v[1:4], v[8:9], off offset:1536
	s_and_saveexec_b32 s26, vcc_lo
	s_cbranch_execz .LBB99_49
; %bb.48:                               ;   in Loop: Header=BB99_40 Depth=1
	v_cmp_gt_i32_e64 s0, s18, v45
	s_waitcnt vmcnt(0)
	v_lshrrev_b32_e32 v56, 16, v4
	v_lshrrev_b32_e32 v57, 16, v3
	;; [unrolled: 1-line block ×4, first 2 shown]
	v_cndmask_b32_e64 v4, 0, v4, s0
	v_cmp_gt_i32_e64 s0, s19, v43
	s_delay_alu instid0(VALU_DEP_1) | instskip(SKIP_1) | instid1(VALU_DEP_2)
	v_cndmask_b32_e64 v56, 0, v56, s0
	v_cmp_gt_i32_e64 s0, s17, v39
	v_perm_b32 v4, v56, v4, 0x5040100
	s_delay_alu instid0(VALU_DEP_2) | instskip(SKIP_1) | instid1(VALU_DEP_1)
	v_cndmask_b32_e64 v57, 0, v57, s0
	v_cmp_gt_i32_e64 s0, s16, v36
	v_cndmask_b32_e64 v3, 0, v3, s0
	v_cmp_gt_i32_e64 s0, s15, v35
	s_delay_alu instid0(VALU_DEP_2) | instskip(NEXT) | instid1(VALU_DEP_2)
	v_perm_b32 v3, v57, v3, 0x5040100
	v_cndmask_b32_e64 v58, 0, v58, s0
	v_cmp_gt_i32_e64 s0, s13, v34
	s_delay_alu instid0(VALU_DEP_1) | instskip(SKIP_1) | instid1(VALU_DEP_2)
	v_cndmask_b32_e64 v2, 0, v2, s0
	v_cmp_gt_i32_e64 s0, s10, v33
	v_perm_b32 v2, v58, v2, 0x5040100
	s_delay_alu instid0(VALU_DEP_2) | instskip(SKIP_1) | instid1(VALU_DEP_1)
	v_cndmask_b32_e64 v59, 0, v59, s0
	v_cmp_gt_i32_e64 s0, s33, v32
	v_cndmask_b32_e64 v1, 0, v1, s0
	s_delay_alu instid0(VALU_DEP_1)
	v_perm_b32 v1, v59, v1, 0x5040100
.LBB99_49:                              ;   in Loop: Header=BB99_40 Depth=1
	s_or_b32 exec_lo, exec_lo, s26
	s_waitcnt vmcnt(0)
	;;#ASMSTART
	v_pk_mul_f16 v1, v44, v1;

	;;#ASMEND
	;;#ASMSTART
	v_pk_mul_f16 v2, v42, v2;

	;;#ASMEND
	;; [unrolled: 4-line block ×4, first 2 shown]
	;;#ASMSTART
	v_pk_add_f16 v1, v1, v2;

	;;#ASMEND
	;;#ASMSTART
	v_pk_add_f16 v1, v1, v3;

	;;#ASMEND
	;; [unrolled: 4-line block ×3, first 2 shown]
	v_and_b32_e32 v2, 0xffff, v1
	v_lshrrev_b32_e32 v1, 16, v1
	;;#ASMSTART
	v_cvt_f32_f16 v56, v2;
	;;#ASMEND
	;;#ASMSTART
	v_cvt_f32_f16 v57, v1;
	;;#ASMEND
	global_load_b128 v[1:4], v[8:9], off offset:2048
	s_and_saveexec_b32 s26, vcc_lo
	s_cbranch_execz .LBB99_51
; %bb.50:                               ;   in Loop: Header=BB99_40 Depth=1
	v_cmp_gt_i32_e64 s0, s18, v45
	s_waitcnt vmcnt(0)
	v_lshrrev_b32_e32 v58, 16, v4
	v_lshrrev_b32_e32 v59, 16, v3
	;; [unrolled: 1-line block ×4, first 2 shown]
	v_cndmask_b32_e64 v4, 0, v4, s0
	v_cmp_gt_i32_e64 s0, s19, v43
	s_delay_alu instid0(VALU_DEP_1) | instskip(SKIP_1) | instid1(VALU_DEP_2)
	v_cndmask_b32_e64 v58, 0, v58, s0
	v_cmp_gt_i32_e64 s0, s17, v39
	v_perm_b32 v4, v58, v4, 0x5040100
	s_delay_alu instid0(VALU_DEP_2) | instskip(SKIP_1) | instid1(VALU_DEP_1)
	v_cndmask_b32_e64 v59, 0, v59, s0
	v_cmp_gt_i32_e64 s0, s16, v36
	v_cndmask_b32_e64 v3, 0, v3, s0
	v_cmp_gt_i32_e64 s0, s15, v35
	s_delay_alu instid0(VALU_DEP_2) | instskip(NEXT) | instid1(VALU_DEP_2)
	v_perm_b32 v3, v59, v3, 0x5040100
	v_cndmask_b32_e64 v60, 0, v60, s0
	v_cmp_gt_i32_e64 s0, s13, v34
	s_delay_alu instid0(VALU_DEP_1) | instskip(SKIP_1) | instid1(VALU_DEP_2)
	v_cndmask_b32_e64 v2, 0, v2, s0
	v_cmp_gt_i32_e64 s0, s10, v33
	v_perm_b32 v2, v60, v2, 0x5040100
	s_delay_alu instid0(VALU_DEP_2) | instskip(SKIP_1) | instid1(VALU_DEP_1)
	v_cndmask_b32_e64 v61, 0, v61, s0
	v_cmp_gt_i32_e64 s0, s33, v32
	v_cndmask_b32_e64 v1, 0, v1, s0
	s_delay_alu instid0(VALU_DEP_1)
	v_perm_b32 v1, v61, v1, 0x5040100
.LBB99_51:                              ;   in Loop: Header=BB99_40 Depth=1
	s_or_b32 exec_lo, exec_lo, s26
	s_waitcnt vmcnt(0)
	;;#ASMSTART
	v_pk_mul_f16 v1, v44, v1;

	;;#ASMEND
	;;#ASMSTART
	v_pk_mul_f16 v2, v42, v2;

	;;#ASMEND
	;; [unrolled: 4-line block ×4, first 2 shown]
	;;#ASMSTART
	v_pk_add_f16 v1, v1, v2;

	;;#ASMEND
	;;#ASMSTART
	v_pk_add_f16 v1, v1, v3;

	;;#ASMEND
	;; [unrolled: 4-line block ×3, first 2 shown]
	v_and_b32_e32 v2, 0xffff, v1
	v_lshrrev_b32_e32 v1, 16, v1
	;;#ASMSTART
	v_cvt_f32_f16 v58, v2;
	;;#ASMEND
	;;#ASMSTART
	v_cvt_f32_f16 v59, v1;
	;;#ASMEND
	global_load_b128 v[1:4], v[8:9], off offset:2560
	s_and_saveexec_b32 s26, vcc_lo
	s_cbranch_execz .LBB99_53
; %bb.52:                               ;   in Loop: Header=BB99_40 Depth=1
	v_cmp_gt_i32_e64 s0, s18, v45
	s_waitcnt vmcnt(0)
	v_lshrrev_b32_e32 v60, 16, v4
	v_lshrrev_b32_e32 v61, 16, v3
	;; [unrolled: 1-line block ×4, first 2 shown]
	v_cndmask_b32_e64 v4, 0, v4, s0
	v_cmp_gt_i32_e64 s0, s19, v43
	s_delay_alu instid0(VALU_DEP_1) | instskip(SKIP_1) | instid1(VALU_DEP_2)
	v_cndmask_b32_e64 v60, 0, v60, s0
	v_cmp_gt_i32_e64 s0, s17, v39
	v_perm_b32 v4, v60, v4, 0x5040100
	s_delay_alu instid0(VALU_DEP_2) | instskip(SKIP_1) | instid1(VALU_DEP_1)
	v_cndmask_b32_e64 v61, 0, v61, s0
	v_cmp_gt_i32_e64 s0, s16, v36
	v_cndmask_b32_e64 v3, 0, v3, s0
	v_cmp_gt_i32_e64 s0, s15, v35
	s_delay_alu instid0(VALU_DEP_2) | instskip(NEXT) | instid1(VALU_DEP_2)
	v_perm_b32 v3, v61, v3, 0x5040100
	v_cndmask_b32_e64 v62, 0, v62, s0
	v_cmp_gt_i32_e64 s0, s13, v34
	s_delay_alu instid0(VALU_DEP_1) | instskip(SKIP_1) | instid1(VALU_DEP_2)
	v_cndmask_b32_e64 v2, 0, v2, s0
	v_cmp_gt_i32_e64 s0, s10, v33
	v_perm_b32 v2, v62, v2, 0x5040100
	s_delay_alu instid0(VALU_DEP_2) | instskip(SKIP_1) | instid1(VALU_DEP_1)
	v_cndmask_b32_e64 v63, 0, v63, s0
	v_cmp_gt_i32_e64 s0, s33, v32
	v_cndmask_b32_e64 v1, 0, v1, s0
	s_delay_alu instid0(VALU_DEP_1)
	v_perm_b32 v1, v63, v1, 0x5040100
.LBB99_53:                              ;   in Loop: Header=BB99_40 Depth=1
	s_or_b32 exec_lo, exec_lo, s26
	s_waitcnt vmcnt(0)
	;;#ASMSTART
	v_pk_mul_f16 v1, v44, v1;

	;;#ASMEND
	;;#ASMSTART
	v_pk_mul_f16 v2, v42, v2;

	;;#ASMEND
	;;#ASMSTART
	v_pk_mul_f16 v3, v41, v3;

	;;#ASMEND
	;;#ASMSTART
	v_pk_mul_f16 v4, v38, v4;

	;;#ASMEND
	;;#ASMSTART
	v_pk_add_f16 v1, v1, v2;

	;;#ASMEND
	;;#ASMSTART
	v_pk_add_f16 v1, v1, v3;

	;;#ASMEND
	;; [unrolled: 4-line block ×3, first 2 shown]
	v_and_b32_e32 v2, 0xffff, v1
	v_lshrrev_b32_e32 v1, 16, v1
	;;#ASMSTART
	v_cvt_f32_f16 v60, v2;
	;;#ASMEND
	;;#ASMSTART
	v_cvt_f32_f16 v61, v1;
	;;#ASMEND
	global_load_b128 v[1:4], v[8:9], off offset:3072
	s_and_saveexec_b32 s26, vcc_lo
	s_cbranch_execz .LBB99_55
; %bb.54:                               ;   in Loop: Header=BB99_40 Depth=1
	v_cmp_gt_i32_e64 s0, s18, v45
	s_waitcnt vmcnt(0)
	v_lshrrev_b32_e32 v62, 16, v4
	v_lshrrev_b32_e32 v63, 16, v3
	;; [unrolled: 1-line block ×4, first 2 shown]
	v_cndmask_b32_e64 v4, 0, v4, s0
	v_cmp_gt_i32_e64 s0, s19, v43
	s_delay_alu instid0(VALU_DEP_1) | instskip(SKIP_1) | instid1(VALU_DEP_2)
	v_cndmask_b32_e64 v62, 0, v62, s0
	v_cmp_gt_i32_e64 s0, s17, v39
	v_perm_b32 v4, v62, v4, 0x5040100
	s_delay_alu instid0(VALU_DEP_2) | instskip(SKIP_1) | instid1(VALU_DEP_1)
	v_cndmask_b32_e64 v63, 0, v63, s0
	v_cmp_gt_i32_e64 s0, s16, v36
	v_cndmask_b32_e64 v3, 0, v3, s0
	v_cmp_gt_i32_e64 s0, s15, v35
	s_delay_alu instid0(VALU_DEP_2) | instskip(NEXT) | instid1(VALU_DEP_2)
	v_perm_b32 v3, v63, v3, 0x5040100
	v_cndmask_b32_e64 v64, 0, v64, s0
	v_cmp_gt_i32_e64 s0, s13, v34
	s_delay_alu instid0(VALU_DEP_1) | instskip(SKIP_1) | instid1(VALU_DEP_2)
	v_cndmask_b32_e64 v2, 0, v2, s0
	v_cmp_gt_i32_e64 s0, s10, v33
	v_perm_b32 v2, v64, v2, 0x5040100
	s_delay_alu instid0(VALU_DEP_2) | instskip(SKIP_1) | instid1(VALU_DEP_1)
	v_cndmask_b32_e64 v65, 0, v65, s0
	v_cmp_gt_i32_e64 s0, s33, v32
	v_cndmask_b32_e64 v1, 0, v1, s0
	s_delay_alu instid0(VALU_DEP_1)
	v_perm_b32 v1, v65, v1, 0x5040100
.LBB99_55:                              ;   in Loop: Header=BB99_40 Depth=1
	s_or_b32 exec_lo, exec_lo, s26
	s_waitcnt vmcnt(0)
	;;#ASMSTART
	v_pk_mul_f16 v1, v44, v1;

	;;#ASMEND
	;;#ASMSTART
	v_pk_mul_f16 v2, v42, v2;

	;;#ASMEND
	;; [unrolled: 4-line block ×4, first 2 shown]
	;;#ASMSTART
	v_pk_add_f16 v1, v1, v2;

	;;#ASMEND
	;;#ASMSTART
	v_pk_add_f16 v1, v1, v3;

	;;#ASMEND
	;; [unrolled: 4-line block ×3, first 2 shown]
	v_and_b32_e32 v2, 0xffff, v1
	v_lshrrev_b32_e32 v1, 16, v1
	;;#ASMSTART
	v_cvt_f32_f16 v62, v2;
	;;#ASMEND
	;;#ASMSTART
	v_cvt_f32_f16 v63, v1;
	;;#ASMEND
	global_load_b128 v[1:4], v[8:9], off offset:3584
	s_and_saveexec_b32 s26, vcc_lo
	s_cbranch_execz .LBB99_57
; %bb.56:                               ;   in Loop: Header=BB99_40 Depth=1
	v_cmp_gt_i32_e64 s0, s18, v45
	s_waitcnt vmcnt(0)
	v_lshrrev_b32_e32 v8, 16, v4
	v_lshrrev_b32_e32 v9, 16, v3
	v_lshrrev_b32_e32 v64, 16, v2
	v_lshrrev_b32_e32 v65, 16, v1
	v_cndmask_b32_e64 v4, 0, v4, s0
	v_cmp_gt_i32_e64 s0, s19, v43
	s_delay_alu instid0(VALU_DEP_1) | instskip(SKIP_1) | instid1(VALU_DEP_2)
	v_cndmask_b32_e64 v8, 0, v8, s0
	v_cmp_gt_i32_e64 s0, s17, v39
	v_perm_b32 v4, v8, v4, 0x5040100
	s_delay_alu instid0(VALU_DEP_2) | instskip(SKIP_1) | instid1(VALU_DEP_1)
	v_cndmask_b32_e64 v9, 0, v9, s0
	v_cmp_gt_i32_e64 s0, s16, v36
	v_cndmask_b32_e64 v3, 0, v3, s0
	v_cmp_gt_i32_e64 s0, s15, v35
	s_delay_alu instid0(VALU_DEP_2) | instskip(NEXT) | instid1(VALU_DEP_2)
	v_perm_b32 v3, v9, v3, 0x5040100
	v_cndmask_b32_e64 v64, 0, v64, s0
	v_cmp_gt_i32_e64 s0, s13, v34
	s_delay_alu instid0(VALU_DEP_1) | instskip(SKIP_1) | instid1(VALU_DEP_2)
	v_cndmask_b32_e64 v2, 0, v2, s0
	v_cmp_gt_i32_e64 s0, s10, v33
	v_perm_b32 v2, v64, v2, 0x5040100
	s_delay_alu instid0(VALU_DEP_2) | instskip(SKIP_1) | instid1(VALU_DEP_1)
	v_cndmask_b32_e64 v65, 0, v65, s0
	v_cmp_gt_i32_e64 s0, s33, v32
	v_cndmask_b32_e64 v1, 0, v1, s0
	s_delay_alu instid0(VALU_DEP_1)
	v_perm_b32 v1, v65, v1, 0x5040100
.LBB99_57:                              ;   in Loop: Header=BB99_40 Depth=1
	s_or_b32 exec_lo, exec_lo, s26
	s_waitcnt vmcnt(0)
	;;#ASMSTART
	v_pk_mul_f16 v1, v44, v1;

	;;#ASMEND
	;;#ASMSTART
	v_pk_mul_f16 v2, v42, v2;

	;;#ASMEND
	;; [unrolled: 4-line block ×4, first 2 shown]
	;;#ASMSTART
	v_pk_add_f16 v1, v1, v2;

	;;#ASMEND
	;;#ASMSTART
	v_pk_add_f16 v1, v1, v3;

	;;#ASMEND
	;; [unrolled: 4-line block ×3, first 2 shown]
	v_lshrrev_b32_e32 v3, 16, v1
	v_and_b32_e32 v4, 0xffff, v1
	v_add_co_u32 v1, s0, v46, v27
	s_delay_alu instid0(VALU_DEP_1)
	v_add_co_ci_u32_e64 v2, s0, 0, v47, s0
	;;#ASMSTART
	v_cvt_f32_f16 v8, v4;
	;;#ASMEND
	;;#ASMSTART
	v_cvt_f32_f16 v9, v3;
	;;#ASMEND
	global_load_b128 v[1:4], v[1:2], off
	s_and_saveexec_b32 s26, vcc_lo
	s_cbranch_execz .LBB99_59
; %bb.58:                               ;   in Loop: Header=BB99_40 Depth=1
	v_cmp_gt_i32_e64 s0, s18, v45
	s_waitcnt vmcnt(0)
	v_lshrrev_b32_e32 v64, 16, v4
	v_lshrrev_b32_e32 v65, 16, v3
	;; [unrolled: 1-line block ×4, first 2 shown]
	v_cndmask_b32_e64 v4, 0, v4, s0
	v_cmp_gt_i32_e64 s0, s19, v43
	s_delay_alu instid0(VALU_DEP_1) | instskip(SKIP_1) | instid1(VALU_DEP_2)
	v_cndmask_b32_e64 v64, 0, v64, s0
	v_cmp_gt_i32_e64 s0, s17, v39
	v_perm_b32 v4, v64, v4, 0x5040100
	s_delay_alu instid0(VALU_DEP_2) | instskip(SKIP_1) | instid1(VALU_DEP_1)
	v_cndmask_b32_e64 v65, 0, v65, s0
	v_cmp_gt_i32_e64 s0, s16, v36
	v_cndmask_b32_e64 v3, 0, v3, s0
	v_cmp_gt_i32_e64 s0, s15, v35
	s_delay_alu instid0(VALU_DEP_2) | instskip(NEXT) | instid1(VALU_DEP_2)
	v_perm_b32 v3, v65, v3, 0x5040100
	v_cndmask_b32_e64 v66, 0, v66, s0
	v_cmp_gt_i32_e64 s0, s13, v34
	s_delay_alu instid0(VALU_DEP_1) | instskip(SKIP_1) | instid1(VALU_DEP_2)
	v_cndmask_b32_e64 v2, 0, v2, s0
	v_cmp_gt_i32_e64 s0, s10, v33
	v_perm_b32 v2, v66, v2, 0x5040100
	s_delay_alu instid0(VALU_DEP_2) | instskip(SKIP_1) | instid1(VALU_DEP_1)
	v_cndmask_b32_e64 v67, 0, v67, s0
	v_cmp_gt_i32_e64 s0, s33, v32
	v_cndmask_b32_e64 v1, 0, v1, s0
	s_delay_alu instid0(VALU_DEP_1)
	v_perm_b32 v1, v67, v1, 0x5040100
.LBB99_59:                              ;   in Loop: Header=BB99_40 Depth=1
	s_or_b32 exec_lo, exec_lo, s26
	s_waitcnt vmcnt(0)
	;;#ASMSTART
	v_pk_mul_f16 v1, v44, v1;

	;;#ASMEND
	;;#ASMSTART
	v_pk_mul_f16 v2, v42, v2;

	;;#ASMEND
	;; [unrolled: 4-line block ×4, first 2 shown]
	;;#ASMSTART
	v_pk_add_f16 v1, v1, v2;

	;;#ASMEND
	;;#ASMSTART
	v_pk_add_f16 v1, v1, v3;

	;;#ASMEND
	;; [unrolled: 4-line block ×3, first 2 shown]
	v_lshrrev_b32_e32 v3, 16, v1
	v_and_b32_e32 v4, 0xffff, v1
	v_add_co_u32 v1, s0, v46, v28
	s_delay_alu instid0(VALU_DEP_1)
	v_add_co_ci_u32_e64 v2, s0, 0, v47, s0
	;;#ASMSTART
	v_cvt_f32_f16 v64, v4;
	;;#ASMEND
	;;#ASMSTART
	v_cvt_f32_f16 v65, v3;
	;;#ASMEND
	global_load_b128 v[1:4], v[1:2], off
	s_and_saveexec_b32 s26, vcc_lo
	s_cbranch_execz .LBB99_61
; %bb.60:                               ;   in Loop: Header=BB99_40 Depth=1
	v_cmp_gt_i32_e64 s0, s18, v45
	s_waitcnt vmcnt(0)
	v_lshrrev_b32_e32 v66, 16, v4
	v_lshrrev_b32_e32 v67, 16, v3
	;; [unrolled: 1-line block ×4, first 2 shown]
	v_cndmask_b32_e64 v4, 0, v4, s0
	v_cmp_gt_i32_e64 s0, s19, v43
	s_delay_alu instid0(VALU_DEP_1) | instskip(SKIP_1) | instid1(VALU_DEP_2)
	v_cndmask_b32_e64 v66, 0, v66, s0
	v_cmp_gt_i32_e64 s0, s17, v39
	v_perm_b32 v4, v66, v4, 0x5040100
	s_delay_alu instid0(VALU_DEP_2) | instskip(SKIP_1) | instid1(VALU_DEP_1)
	v_cndmask_b32_e64 v67, 0, v67, s0
	v_cmp_gt_i32_e64 s0, s16, v36
	v_cndmask_b32_e64 v3, 0, v3, s0
	v_cmp_gt_i32_e64 s0, s15, v35
	s_delay_alu instid0(VALU_DEP_2) | instskip(NEXT) | instid1(VALU_DEP_2)
	v_perm_b32 v3, v67, v3, 0x5040100
	v_cndmask_b32_e64 v68, 0, v68, s0
	v_cmp_gt_i32_e64 s0, s13, v34
	s_delay_alu instid0(VALU_DEP_1) | instskip(SKIP_1) | instid1(VALU_DEP_2)
	v_cndmask_b32_e64 v2, 0, v2, s0
	v_cmp_gt_i32_e64 s0, s10, v33
	v_perm_b32 v2, v68, v2, 0x5040100
	s_delay_alu instid0(VALU_DEP_2) | instskip(SKIP_1) | instid1(VALU_DEP_1)
	v_cndmask_b32_e64 v69, 0, v69, s0
	v_cmp_gt_i32_e64 s0, s33, v32
	v_cndmask_b32_e64 v1, 0, v1, s0
	s_delay_alu instid0(VALU_DEP_1)
	v_perm_b32 v1, v69, v1, 0x5040100
.LBB99_61:                              ;   in Loop: Header=BB99_40 Depth=1
	s_or_b32 exec_lo, exec_lo, s26
	s_waitcnt vmcnt(0)
	;;#ASMSTART
	v_pk_mul_f16 v1, v44, v1;

	;;#ASMEND
	;;#ASMSTART
	v_pk_mul_f16 v2, v42, v2;

	;;#ASMEND
	;; [unrolled: 4-line block ×4, first 2 shown]
	;;#ASMSTART
	v_pk_add_f16 v1, v1, v2;

	;;#ASMEND
	;;#ASMSTART
	v_pk_add_f16 v1, v1, v3;

	;;#ASMEND
	;; [unrolled: 4-line block ×3, first 2 shown]
	v_lshrrev_b32_e32 v3, 16, v1
	v_and_b32_e32 v4, 0xffff, v1
	v_add_co_u32 v1, s0, v46, v29
	s_delay_alu instid0(VALU_DEP_1)
	v_add_co_ci_u32_e64 v2, s0, 0, v47, s0
	;;#ASMSTART
	v_cvt_f32_f16 v66, v4;
	;;#ASMEND
	;;#ASMSTART
	v_cvt_f32_f16 v67, v3;
	;;#ASMEND
	global_load_b128 v[1:4], v[1:2], off
	s_and_saveexec_b32 s26, vcc_lo
	s_cbranch_execz .LBB99_63
; %bb.62:                               ;   in Loop: Header=BB99_40 Depth=1
	v_cmp_gt_i32_e64 s0, s18, v45
	s_waitcnt vmcnt(0)
	v_lshrrev_b32_e32 v68, 16, v4
	v_lshrrev_b32_e32 v69, 16, v3
	v_lshrrev_b32_e32 v70, 16, v2
	v_lshrrev_b32_e32 v71, 16, v1
	v_cndmask_b32_e64 v4, 0, v4, s0
	v_cmp_gt_i32_e64 s0, s19, v43
	s_delay_alu instid0(VALU_DEP_1) | instskip(SKIP_1) | instid1(VALU_DEP_2)
	v_cndmask_b32_e64 v68, 0, v68, s0
	v_cmp_gt_i32_e64 s0, s17, v39
	v_perm_b32 v4, v68, v4, 0x5040100
	s_delay_alu instid0(VALU_DEP_2) | instskip(SKIP_1) | instid1(VALU_DEP_1)
	v_cndmask_b32_e64 v69, 0, v69, s0
	v_cmp_gt_i32_e64 s0, s16, v36
	v_cndmask_b32_e64 v3, 0, v3, s0
	v_cmp_gt_i32_e64 s0, s15, v35
	s_delay_alu instid0(VALU_DEP_2) | instskip(NEXT) | instid1(VALU_DEP_2)
	v_perm_b32 v3, v69, v3, 0x5040100
	v_cndmask_b32_e64 v70, 0, v70, s0
	v_cmp_gt_i32_e64 s0, s13, v34
	s_delay_alu instid0(VALU_DEP_1) | instskip(SKIP_1) | instid1(VALU_DEP_2)
	v_cndmask_b32_e64 v2, 0, v2, s0
	v_cmp_gt_i32_e64 s0, s10, v33
	v_perm_b32 v2, v70, v2, 0x5040100
	s_delay_alu instid0(VALU_DEP_2) | instskip(SKIP_1) | instid1(VALU_DEP_1)
	v_cndmask_b32_e64 v71, 0, v71, s0
	v_cmp_gt_i32_e64 s0, s33, v32
	v_cndmask_b32_e64 v1, 0, v1, s0
	s_delay_alu instid0(VALU_DEP_1)
	v_perm_b32 v1, v71, v1, 0x5040100
.LBB99_63:                              ;   in Loop: Header=BB99_40 Depth=1
	s_or_b32 exec_lo, exec_lo, s26
	s_waitcnt vmcnt(0)
	;;#ASMSTART
	v_pk_mul_f16 v1, v44, v1;

	;;#ASMEND
	;;#ASMSTART
	v_pk_mul_f16 v2, v42, v2;

	;;#ASMEND
	;; [unrolled: 4-line block ×4, first 2 shown]
	;;#ASMSTART
	v_pk_add_f16 v1, v1, v2;

	;;#ASMEND
	;;#ASMSTART
	v_pk_add_f16 v1, v1, v3;

	;;#ASMEND
	;; [unrolled: 4-line block ×3, first 2 shown]
	v_lshrrev_b32_e32 v3, 16, v1
	v_and_b32_e32 v4, 0xffff, v1
	v_add_co_u32 v1, s0, v46, v30
	s_delay_alu instid0(VALU_DEP_1)
	v_add_co_ci_u32_e64 v2, s0, 0, v47, s0
	;;#ASMSTART
	v_cvt_f32_f16 v46, v4;
	;;#ASMEND
	;;#ASMSTART
	v_cvt_f32_f16 v47, v3;
	;;#ASMEND
	global_load_b128 v[1:4], v[1:2], off
	s_and_saveexec_b32 s0, vcc_lo
	s_cbranch_execz .LBB99_38
; %bb.64:                               ;   in Loop: Header=BB99_40 Depth=1
	v_cmp_gt_i32_e32 vcc_lo, s18, v45
	s_waitcnt vmcnt(0)
	v_lshrrev_b32_e32 v68, 16, v4
	v_lshrrev_b32_e32 v69, 16, v3
	;; [unrolled: 1-line block ×3, first 2 shown]
	v_cndmask_b32_e32 v4, 0, v4, vcc_lo
	v_cmp_gt_i32_e32 vcc_lo, s19, v43
	v_cndmask_b32_e32 v43, 0, v68, vcc_lo
	v_cmp_gt_i32_e32 vcc_lo, s17, v39
	;; [unrolled: 2-line block ×3, first 2 shown]
	v_lshrrev_b32_e32 v36, 16, v1
	v_cndmask_b32_e32 v3, 0, v3, vcc_lo
	v_cmp_gt_i32_e32 vcc_lo, s15, v35
	s_delay_alu instid0(VALU_DEP_2)
	v_perm_b32 v3, v39, v3, 0x5040100
	v_cndmask_b32_e32 v35, 0, v45, vcc_lo
	v_cmp_gt_i32_e32 vcc_lo, s13, v34
	v_cndmask_b32_e32 v2, 0, v2, vcc_lo
	v_cmp_gt_i32_e32 vcc_lo, s10, v33
	v_perm_b32 v4, v43, v4, 0x5040100
	s_delay_alu instid0(VALU_DEP_3) | instskip(SKIP_3) | instid1(VALU_DEP_1)
	v_perm_b32 v2, v35, v2, 0x5040100
	v_cndmask_b32_e32 v33, 0, v36, vcc_lo
	v_cmp_gt_i32_e32 vcc_lo, s33, v32
	v_cndmask_b32_e32 v1, 0, v1, vcc_lo
	v_perm_b32 v1, v33, v1, 0x5040100
	s_branch .LBB99_38
.LBB99_65:
	s_or_b32 exec_lo, exec_lo, s3
.LBB99_66:
	s_delay_alu instid0(SALU_CYCLE_1)
	s_or_b32 exec_lo, exec_lo, s1
	ds_bpermute_b32 v1, v11, v23
	ds_bpermute_b32 v28, v11, v13
	ds_bpermute_b32 v2, v11, v22
	ds_bpermute_b32 v3, v11, v21
	ds_bpermute_b32 v4, v11, v20
	ds_bpermute_b32 v5, v11, v19
	ds_bpermute_b32 v6, v11, v18
	ds_bpermute_b32 v24, v11, v17
	ds_bpermute_b32 v25, v11, v16
	ds_bpermute_b32 v26, v11, v15
	ds_bpermute_b32 v27, v11, v14
	ds_bpermute_b32 v29, v11, v12
	v_lshrrev_b32_e32 v10, 1, v10
	s_movk_i32 s0, 0x300
	s_waitcnt lgkmcnt(0)
	s_waitcnt_vscnt null, 0x0
	s_barrier
	buffer_gl0_inv
	v_add_f32_e32 v23, v23, v1
	v_dual_add_f32 v1, v13, v28 :: v_dual_add_f32 v22, v22, v2
	v_and_b32_e32 v13, 0x3c1, v0
	v_dual_add_f32 v11, v21, v3 :: v_dual_add_f32 v8, v19, v5
	v_add_f32_e32 v9, v20, v4
	v_dual_add_f32 v7, v18, v6 :: v_dual_add_f32 v4, v16, v25
	v_add_f32_e32 v5, v17, v24
	;; [unrolled: 2-line block ×3, first 2 shown]
	v_mad_u32_u24 v12, v53, s0, 0x1a0
	v_cmp_eq_u32_e32 vcc_lo, 64, v13
	v_lshlrev_b32_e32 v13, 2, v10
	s_and_saveexec_b32 s0, vcc_lo
	s_cbranch_execz .LBB99_68
; %bb.67:
	s_delay_alu instid0(VALU_DEP_1)
	v_add3_u32 v14, v12, v13, 0xfffffa00
	ds_store_2addr_b32 v14, v23, v22 offset1:16
	ds_store_2addr_b32 v14, v11, v9 offset0:32 offset1:48
	ds_store_2addr_b32 v14, v8, v7 offset0:64 offset1:80
	;; [unrolled: 1-line block ×5, first 2 shown]
.LBB99_68:
	s_or_b32 exec_lo, exec_lo, s0
	v_cmp_eq_u32_e32 vcc_lo, 0, v52
	s_mov_b32 s1, exec_lo
	s_waitcnt lgkmcnt(0)
	s_barrier
	buffer_gl0_inv
	v_cmpx_gt_u32_e32 64, v0
	s_cbranch_execz .LBB99_83
; %bb.69:
	s_and_saveexec_b32 s0, vcc_lo
	s_cbranch_execnz .LBB99_103
; %bb.70:
	s_or_b32 exec_lo, exec_lo, s0
	s_and_saveexec_b32 s0, vcc_lo
	s_cbranch_execnz .LBB99_104
.LBB99_71:
	s_or_b32 exec_lo, exec_lo, s0
	s_and_saveexec_b32 s0, vcc_lo
	s_cbranch_execnz .LBB99_105
.LBB99_72:
	s_or_b32 exec_lo, exec_lo, s0
	s_and_saveexec_b32 s0, vcc_lo
	s_cbranch_execnz .LBB99_106
.LBB99_73:
	s_or_b32 exec_lo, exec_lo, s0
	s_and_saveexec_b32 s0, vcc_lo
	s_cbranch_execnz .LBB99_107
.LBB99_74:
	s_or_b32 exec_lo, exec_lo, s0
	s_and_saveexec_b32 s0, vcc_lo
	s_cbranch_execnz .LBB99_108
.LBB99_75:
	s_or_b32 exec_lo, exec_lo, s0
	s_and_saveexec_b32 s0, vcc_lo
	s_cbranch_execnz .LBB99_109
.LBB99_76:
	s_or_b32 exec_lo, exec_lo, s0
	s_and_saveexec_b32 s0, vcc_lo
	s_cbranch_execnz .LBB99_110
.LBB99_77:
	s_or_b32 exec_lo, exec_lo, s0
	s_and_saveexec_b32 s0, vcc_lo
	s_cbranch_execnz .LBB99_111
.LBB99_78:
	s_or_b32 exec_lo, exec_lo, s0
	s_and_saveexec_b32 s0, vcc_lo
	s_cbranch_execnz .LBB99_112
.LBB99_79:
	s_or_b32 exec_lo, exec_lo, s0
	s_and_saveexec_b32 s0, vcc_lo
	s_cbranch_execnz .LBB99_113
.LBB99_80:
	s_or_b32 exec_lo, exec_lo, s0
	s_and_saveexec_b32 s0, vcc_lo
	s_cbranch_execz .LBB99_82
.LBB99_81:
	v_lshl_add_u32 v14, v10, 2, v12
	ds_load_b32 v14, v14 offset:704
	s_waitcnt lgkmcnt(0)
	v_add_f32_e32 v6, v6, v14
.LBB99_82:
	s_or_b32 exec_lo, exec_lo, s0
.LBB99_83:
	s_delay_alu instid0(SALU_CYCLE_1)
	s_or_b32 exec_lo, exec_lo, s1
	v_and_b32_e32 v14, 0x3e1, v0
	s_mov_b32 s1, exec_lo
	s_barrier
	buffer_gl0_inv
	v_cmpx_eq_u32_e32 32, v14
	s_cbranch_execz .LBB99_85
; %bb.84:
	v_add3_u32 v13, v12, v13, 0xfffffd00
	ds_store_2addr_b32 v13, v23, v22 offset1:16
	ds_store_2addr_b32 v13, v11, v9 offset0:32 offset1:48
	ds_store_2addr_b32 v13, v8, v7 offset0:64 offset1:80
	;; [unrolled: 1-line block ×5, first 2 shown]
.LBB99_85:
	s_or_b32 exec_lo, exec_lo, s1
	s_delay_alu instid0(SALU_CYCLE_1)
	s_mov_b32 s1, exec_lo
	s_waitcnt lgkmcnt(0)
	s_barrier
	buffer_gl0_inv
	v_cmpx_gt_u32_e32 32, v0
	s_cbranch_execz .LBB99_100
; %bb.86:
	v_lshl_add_u32 v0, v10, 2, v12
	s_and_saveexec_b32 s0, vcc_lo
	s_cbranch_execnz .LBB99_114
; %bb.87:
	s_or_b32 exec_lo, exec_lo, s0
	s_and_saveexec_b32 s0, vcc_lo
	s_cbranch_execnz .LBB99_115
.LBB99_88:
	s_or_b32 exec_lo, exec_lo, s0
	s_and_saveexec_b32 s0, vcc_lo
	s_cbranch_execnz .LBB99_116
.LBB99_89:
	s_or_b32 exec_lo, exec_lo, s0
	s_and_saveexec_b32 s0, vcc_lo
	s_cbranch_execnz .LBB99_117
.LBB99_90:
	s_or_b32 exec_lo, exec_lo, s0
	s_and_saveexec_b32 s0, vcc_lo
	s_cbranch_execnz .LBB99_118
.LBB99_91:
	s_or_b32 exec_lo, exec_lo, s0
	s_and_saveexec_b32 s0, vcc_lo
	s_cbranch_execnz .LBB99_119
.LBB99_92:
	s_or_b32 exec_lo, exec_lo, s0
	s_and_saveexec_b32 s0, vcc_lo
	s_cbranch_execnz .LBB99_120
.LBB99_93:
	s_or_b32 exec_lo, exec_lo, s0
	s_and_saveexec_b32 s0, vcc_lo
	s_cbranch_execnz .LBB99_121
.LBB99_94:
	s_or_b32 exec_lo, exec_lo, s0
	s_and_saveexec_b32 s0, vcc_lo
	s_cbranch_execnz .LBB99_122
.LBB99_95:
	s_or_b32 exec_lo, exec_lo, s0
	s_and_saveexec_b32 s0, vcc_lo
	s_cbranch_execnz .LBB99_123
.LBB99_96:
	s_or_b32 exec_lo, exec_lo, s0
	s_and_saveexec_b32 s0, vcc_lo
	s_cbranch_execnz .LBB99_124
.LBB99_97:
	s_or_b32 exec_lo, exec_lo, s0
	s_and_saveexec_b32 s0, vcc_lo
	s_cbranch_execz .LBB99_99
.LBB99_98:
	ds_load_b32 v0, v0 offset:704
	s_waitcnt lgkmcnt(0)
	v_add_f32_e32 v6, v6, v0
.LBB99_99:
	s_or_b32 exec_lo, exec_lo, s0
.LBB99_100:
	s_delay_alu instid0(SALU_CYCLE_1)
	s_or_b32 exec_lo, exec_lo, s1
	s_barrier
	buffer_gl0_inv
	s_mov_b32 s0, exec_lo
	v_cmpx_eq_u32_e32 0, v14
	s_cbranch_execz .LBB99_102
; %bb.101:
	s_mul_i32 s0, s14, 0xc0
	s_mul_i32 s2, s4, s20
	s_ashr_i32 s1, s0, 31
	v_lshlrev_b32_e32 v0, 1, v51
	s_lshl_b64 s[0:1], s[0:1], 1
	;;#ASMSTART
	v_cvt_f16_f32 v10, v23;

	;;#ASMEND
	s_add_u32 s4, s22, s0
	s_addc_u32 s5, s23, s1
	s_ashr_i32 s3, s2, 31
	s_delay_alu instid0(SALU_CYCLE_1) | instskip(SKIP_4) | instid1(SALU_CYCLE_1)
	s_lshl_b64 s[0:1], s[2:3], 1
	s_mul_i32 s2, s12, 0xc0
	s_add_u32 s4, s4, s0
	s_addc_u32 s5, s5, s1
	s_ashr_i32 s3, s2, 31
	s_lshl_b64 s[0:1], s[2:3], 1
	s_delay_alu instid0(SALU_CYCLE_1)
	s_add_u32 s0, s4, s0
	s_addc_u32 s1, s5, s1
	global_store_b16 v0, v10, s[0:1]
	;;#ASMSTART
	v_cvt_f16_f32 v10, v22;

	;;#ASMEND
	global_store_b16 v0, v10, s[0:1] offset:32
	;;#ASMSTART
	v_cvt_f16_f32 v10, v11;

	;;#ASMEND
	global_store_b16 v0, v10, s[0:1] offset:64
	;; [unrolled: 5-line block ×11, first 2 shown]
.LBB99_102:
	s_nop 0
	s_sendmsg sendmsg(MSG_DEALLOC_VGPRS)
	s_endpgm
.LBB99_103:
	v_lshl_add_u32 v14, v10, 2, v12
	ds_load_b32 v14, v14
	s_waitcnt lgkmcnt(0)
	v_add_f32_e32 v23, v23, v14
	s_or_b32 exec_lo, exec_lo, s0
	s_and_saveexec_b32 s0, vcc_lo
	s_cbranch_execz .LBB99_71
.LBB99_104:
	v_lshl_add_u32 v14, v10, 2, v12
	ds_load_b32 v14, v14 offset:64
	s_waitcnt lgkmcnt(0)
	v_add_f32_e32 v22, v22, v14
	s_or_b32 exec_lo, exec_lo, s0
	s_and_saveexec_b32 s0, vcc_lo
	s_cbranch_execz .LBB99_72
.LBB99_105:
	v_lshl_add_u32 v14, v10, 2, v12
	ds_load_b32 v14, v14 offset:128
	s_waitcnt lgkmcnt(0)
	v_add_f32_e32 v11, v11, v14
	s_or_b32 exec_lo, exec_lo, s0
	s_and_saveexec_b32 s0, vcc_lo
	s_cbranch_execz .LBB99_73
.LBB99_106:
	v_lshl_add_u32 v14, v10, 2, v12
	ds_load_b32 v14, v14 offset:192
	s_waitcnt lgkmcnt(0)
	v_add_f32_e32 v9, v9, v14
	s_or_b32 exec_lo, exec_lo, s0
	s_and_saveexec_b32 s0, vcc_lo
	s_cbranch_execz .LBB99_74
.LBB99_107:
	v_lshl_add_u32 v14, v10, 2, v12
	ds_load_b32 v14, v14 offset:256
	s_waitcnt lgkmcnt(0)
	v_add_f32_e32 v8, v8, v14
	s_or_b32 exec_lo, exec_lo, s0
	s_and_saveexec_b32 s0, vcc_lo
	s_cbranch_execz .LBB99_75
.LBB99_108:
	v_lshl_add_u32 v14, v10, 2, v12
	ds_load_b32 v14, v14 offset:320
	s_waitcnt lgkmcnt(0)
	v_add_f32_e32 v7, v7, v14
	s_or_b32 exec_lo, exec_lo, s0
	s_and_saveexec_b32 s0, vcc_lo
	s_cbranch_execz .LBB99_76
.LBB99_109:
	v_lshl_add_u32 v14, v10, 2, v12
	ds_load_b32 v14, v14 offset:384
	s_waitcnt lgkmcnt(0)
	v_add_f32_e32 v5, v5, v14
	s_or_b32 exec_lo, exec_lo, s0
	s_and_saveexec_b32 s0, vcc_lo
	s_cbranch_execz .LBB99_77
.LBB99_110:
	v_lshl_add_u32 v14, v10, 2, v12
	ds_load_b32 v14, v14 offset:448
	s_waitcnt lgkmcnt(0)
	v_add_f32_e32 v4, v4, v14
	s_or_b32 exec_lo, exec_lo, s0
	s_and_saveexec_b32 s0, vcc_lo
	s_cbranch_execz .LBB99_78
.LBB99_111:
	v_lshl_add_u32 v14, v10, 2, v12
	ds_load_b32 v14, v14 offset:512
	s_waitcnt lgkmcnt(0)
	v_add_f32_e32 v3, v3, v14
	s_or_b32 exec_lo, exec_lo, s0
	s_and_saveexec_b32 s0, vcc_lo
	s_cbranch_execz .LBB99_79
.LBB99_112:
	v_lshl_add_u32 v14, v10, 2, v12
	ds_load_b32 v14, v14 offset:576
	s_waitcnt lgkmcnt(0)
	v_add_f32_e32 v2, v2, v14
	s_or_b32 exec_lo, exec_lo, s0
	s_and_saveexec_b32 s0, vcc_lo
	s_cbranch_execz .LBB99_80
.LBB99_113:
	v_lshl_add_u32 v14, v10, 2, v12
	ds_load_b32 v14, v14 offset:640
	s_waitcnt lgkmcnt(0)
	v_add_f32_e32 v1, v1, v14
	s_or_b32 exec_lo, exec_lo, s0
	s_and_saveexec_b32 s0, vcc_lo
	s_cbranch_execnz .LBB99_81
	s_branch .LBB99_82
.LBB99_114:
	ds_load_b32 v10, v0
	s_waitcnt lgkmcnt(0)
	v_add_f32_e32 v23, v23, v10
	s_or_b32 exec_lo, exec_lo, s0
	s_and_saveexec_b32 s0, vcc_lo
	s_cbranch_execz .LBB99_88
.LBB99_115:
	ds_load_b32 v10, v0 offset:64
	s_waitcnt lgkmcnt(0)
	v_add_f32_e32 v22, v22, v10
	s_or_b32 exec_lo, exec_lo, s0
	s_and_saveexec_b32 s0, vcc_lo
	s_cbranch_execz .LBB99_89
.LBB99_116:
	ds_load_b32 v10, v0 offset:128
	s_waitcnt lgkmcnt(0)
	v_add_f32_e32 v11, v11, v10
	s_or_b32 exec_lo, exec_lo, s0
	s_and_saveexec_b32 s0, vcc_lo
	s_cbranch_execz .LBB99_90
.LBB99_117:
	ds_load_b32 v10, v0 offset:192
	s_waitcnt lgkmcnt(0)
	v_add_f32_e32 v9, v9, v10
	s_or_b32 exec_lo, exec_lo, s0
	s_and_saveexec_b32 s0, vcc_lo
	s_cbranch_execz .LBB99_91
.LBB99_118:
	ds_load_b32 v10, v0 offset:256
	s_waitcnt lgkmcnt(0)
	v_add_f32_e32 v8, v8, v10
	s_or_b32 exec_lo, exec_lo, s0
	s_and_saveexec_b32 s0, vcc_lo
	s_cbranch_execz .LBB99_92
.LBB99_119:
	ds_load_b32 v10, v0 offset:320
	s_waitcnt lgkmcnt(0)
	v_add_f32_e32 v7, v7, v10
	s_or_b32 exec_lo, exec_lo, s0
	s_and_saveexec_b32 s0, vcc_lo
	s_cbranch_execz .LBB99_93
.LBB99_120:
	ds_load_b32 v10, v0 offset:384
	s_waitcnt lgkmcnt(0)
	v_add_f32_e32 v5, v5, v10
	s_or_b32 exec_lo, exec_lo, s0
	s_and_saveexec_b32 s0, vcc_lo
	s_cbranch_execz .LBB99_94
.LBB99_121:
	ds_load_b32 v10, v0 offset:448
	s_waitcnt lgkmcnt(0)
	v_add_f32_e32 v4, v4, v10
	s_or_b32 exec_lo, exec_lo, s0
	s_and_saveexec_b32 s0, vcc_lo
	s_cbranch_execz .LBB99_95
.LBB99_122:
	ds_load_b32 v10, v0 offset:512
	s_waitcnt lgkmcnt(0)
	v_add_f32_e32 v3, v3, v10
	s_or_b32 exec_lo, exec_lo, s0
	s_and_saveexec_b32 s0, vcc_lo
	s_cbranch_execz .LBB99_96
.LBB99_123:
	ds_load_b32 v10, v0 offset:576
	s_waitcnt lgkmcnt(0)
	v_add_f32_e32 v2, v2, v10
	s_or_b32 exec_lo, exec_lo, s0
	s_and_saveexec_b32 s0, vcc_lo
	s_cbranch_execz .LBB99_97
.LBB99_124:
	ds_load_b32 v10, v0 offset:640
	s_waitcnt lgkmcnt(0)
	v_add_f32_e32 v1, v1, v10
	s_or_b32 exec_lo, exec_lo, s0
	s_and_saveexec_b32 s0, vcc_lo
	s_cbranch_execnz .LBB99_98
	s_branch .LBB99_99
	.section	.rodata,"a",@progbits
	.p2align	6, 0x0
	.amdhsa_kernel _ZN4vllm25paged_attention_v2_kernelIttLi192ELi16ELi128ELNS_18Fp8KVCacheDataTypeE0ELb1ELi512EEEvPfS2_PT_PKS3_PKT0_S9_ifPKiSB_iPKfiiiSD_SD_iiiii
		.amdhsa_group_segment_fixed_size 416
		.amdhsa_private_segment_fixed_size 0
		.amdhsa_kernarg_size 400
		.amdhsa_user_sgpr_count 13
		.amdhsa_user_sgpr_dispatch_ptr 0
		.amdhsa_user_sgpr_queue_ptr 0
		.amdhsa_user_sgpr_kernarg_segment_ptr 1
		.amdhsa_user_sgpr_dispatch_id 0
		.amdhsa_user_sgpr_private_segment_size 0
		.amdhsa_wavefront_size32 1
		.amdhsa_uses_dynamic_stack 0
		.amdhsa_enable_private_segment 0
		.amdhsa_system_sgpr_workgroup_id_x 1
		.amdhsa_system_sgpr_workgroup_id_y 1
		.amdhsa_system_sgpr_workgroup_id_z 1
		.amdhsa_system_sgpr_workgroup_info 0
		.amdhsa_system_vgpr_workitem_id 0
		.amdhsa_next_free_vgpr 135
		.amdhsa_next_free_sgpr 45
		.amdhsa_reserve_vcc 1
		.amdhsa_float_round_mode_32 0
		.amdhsa_float_round_mode_16_64 0
		.amdhsa_float_denorm_mode_32 3
		.amdhsa_float_denorm_mode_16_64 3
		.amdhsa_dx10_clamp 1
		.amdhsa_ieee_mode 1
		.amdhsa_fp16_overflow 0
		.amdhsa_workgroup_processor_mode 1
		.amdhsa_memory_ordered 1
		.amdhsa_forward_progress 0
		.amdhsa_shared_vgpr_count 0
		.amdhsa_exception_fp_ieee_invalid_op 0
		.amdhsa_exception_fp_denorm_src 0
		.amdhsa_exception_fp_ieee_div_zero 0
		.amdhsa_exception_fp_ieee_overflow 0
		.amdhsa_exception_fp_ieee_underflow 0
		.amdhsa_exception_fp_ieee_inexact 0
		.amdhsa_exception_int_div_zero 0
	.end_amdhsa_kernel
	.section	.text._ZN4vllm25paged_attention_v2_kernelIttLi192ELi16ELi128ELNS_18Fp8KVCacheDataTypeE0ELb1ELi512EEEvPfS2_PT_PKS3_PKT0_S9_ifPKiSB_iPKfiiiSD_SD_iiiii,"axG",@progbits,_ZN4vllm25paged_attention_v2_kernelIttLi192ELi16ELi128ELNS_18Fp8KVCacheDataTypeE0ELb1ELi512EEEvPfS2_PT_PKS3_PKT0_S9_ifPKiSB_iPKfiiiSD_SD_iiiii,comdat
.Lfunc_end99:
	.size	_ZN4vllm25paged_attention_v2_kernelIttLi192ELi16ELi128ELNS_18Fp8KVCacheDataTypeE0ELb1ELi512EEEvPfS2_PT_PKS3_PKT0_S9_ifPKiSB_iPKfiiiSD_SD_iiiii, .Lfunc_end99-_ZN4vllm25paged_attention_v2_kernelIttLi192ELi16ELi128ELNS_18Fp8KVCacheDataTypeE0ELb1ELi512EEEvPfS2_PT_PKS3_PKT0_S9_ifPKiSB_iPKfiiiSD_SD_iiiii
                                        ; -- End function
	.section	.AMDGPU.csdata,"",@progbits
; Kernel info:
; codeLenInByte = 17176
; NumSgprs: 47
; NumVgprs: 135
; ScratchSize: 0
; MemoryBound: 0
; FloatMode: 240
; IeeeMode: 1
; LDSByteSize: 416 bytes/workgroup (compile time only)
; SGPRBlocks: 5
; VGPRBlocks: 16
; NumSGPRsForWavesPerEU: 47
; NumVGPRsForWavesPerEU: 135
; Occupancy: 10
; WaveLimiterHint : 1
; COMPUTE_PGM_RSRC2:SCRATCH_EN: 0
; COMPUTE_PGM_RSRC2:USER_SGPR: 13
; COMPUTE_PGM_RSRC2:TRAP_HANDLER: 0
; COMPUTE_PGM_RSRC2:TGID_X_EN: 1
; COMPUTE_PGM_RSRC2:TGID_Y_EN: 1
; COMPUTE_PGM_RSRC2:TGID_Z_EN: 1
; COMPUTE_PGM_RSRC2:TIDIG_COMP_CNT: 0
	.section	.text._ZN4vllm25paged_attention_v2_kernelIttLi256ELi16ELi128ELNS_18Fp8KVCacheDataTypeE0ELb1ELi512EEEvPfS2_PT_PKS3_PKT0_S9_ifPKiSB_iPKfiiiSD_SD_iiiii,"axG",@progbits,_ZN4vllm25paged_attention_v2_kernelIttLi256ELi16ELi128ELNS_18Fp8KVCacheDataTypeE0ELb1ELi512EEEvPfS2_PT_PKS3_PKT0_S9_ifPKiSB_iPKfiiiSD_SD_iiiii,comdat
	.protected	_ZN4vllm25paged_attention_v2_kernelIttLi256ELi16ELi128ELNS_18Fp8KVCacheDataTypeE0ELb1ELi512EEEvPfS2_PT_PKS3_PKT0_S9_ifPKiSB_iPKfiiiSD_SD_iiiii ; -- Begin function _ZN4vllm25paged_attention_v2_kernelIttLi256ELi16ELi128ELNS_18Fp8KVCacheDataTypeE0ELb1ELi512EEEvPfS2_PT_PKS3_PKT0_S9_ifPKiSB_iPKfiiiSD_SD_iiiii
	.globl	_ZN4vllm25paged_attention_v2_kernelIttLi256ELi16ELi128ELNS_18Fp8KVCacheDataTypeE0ELb1ELi512EEEvPfS2_PT_PKS3_PKT0_S9_ifPKiSB_iPKfiiiSD_SD_iiiii
	.p2align	8
	.type	_ZN4vllm25paged_attention_v2_kernelIttLi256ELi16ELi128ELNS_18Fp8KVCacheDataTypeE0ELb1ELi512EEEvPfS2_PT_PKS3_PKT0_S9_ifPKiSB_iPKfiiiSD_SD_iiiii,@function
_ZN4vllm25paged_attention_v2_kernelIttLi256ELi16ELi128ELNS_18Fp8KVCacheDataTypeE0ELb1ELi512EEEvPfS2_PT_PKS3_PKT0_S9_ifPKiSB_iPKfiiiSD_SD_iiiii: ; @_ZN4vllm25paged_attention_v2_kernelIttLi256ELi16ELi128ELNS_18Fp8KVCacheDataTypeE0ELb1ELi512EEEvPfS2_PT_PKS3_PKT0_S9_ifPKiSB_iPKfiiiSD_SD_iiiii
; %bb.0:
	s_load_b64 s[2:3], s[0:1], 0x40
	s_mov_b32 s12, s15
	s_ashr_i32 s15, s14, 31
	s_delay_alu instid0(SALU_CYCLE_1)
	s_lshl_b64 s[4:5], s[14:15], 2
	s_waitcnt lgkmcnt(0)
	s_add_u32 s2, s2, s4
	s_addc_u32 s3, s3, s5
	s_lshl_b32 s15, s12, 9
	s_load_b32 s33, s[2:3], 0x0
	s_waitcnt lgkmcnt(0)
	s_cmp_ge_i32 s15, s33
	s_cbranch_scc1 .LBB100_118
; %bb.1:
	s_mov_b32 s24, s13
	s_clause 0x1
	s_load_b32 s13, s[0:1], 0x90
	s_load_b64 s[34:35], s[0:1], 0x30
	s_mov_b32 s39, 0
	s_waitcnt lgkmcnt(0)
	s_abs_i32 s5, s13
	s_abs_i32 s2, s34
	s_delay_alu instid0(SALU_CYCLE_1) | instskip(SKIP_1) | instid1(VALU_DEP_1)
	v_cvt_f32_u32_e32 v1, s2
	s_sub_i32 s4, 0, s2
	v_rcp_iflag_f32_e32 v1, v1
	s_waitcnt_depctr 0xfff
	v_mul_f32_e32 v1, 0x4f7ffffe, v1
	s_delay_alu instid0(VALU_DEP_1) | instskip(NEXT) | instid1(VALU_DEP_1)
	v_cvt_u32_f32_e32 v1, v1
	v_readfirstlane_b32 s3, v1
	s_delay_alu instid0(VALU_DEP_1) | instskip(NEXT) | instid1(SALU_CYCLE_1)
	s_mul_i32 s4, s4, s3
	s_mul_hi_u32 s4, s3, s4
	s_delay_alu instid0(SALU_CYCLE_1) | instskip(SKIP_4) | instid1(SALU_CYCLE_1)
	s_add_i32 s3, s3, s4
	s_xor_b32 s4, s13, s34
	s_mul_hi_u32 s3, s5, s3
	s_ashr_i32 s4, s4, 31
	s_mul_i32 s6, s3, s2
	s_sub_i32 s5, s5, s6
	s_add_i32 s6, s3, 1
	s_sub_i32 s7, s5, s2
	s_cmp_ge_u32 s5, s2
	s_cselect_b32 s3, s6, s3
	s_cselect_b32 s5, s7, s5
	s_add_i32 s6, s3, 1
	s_cmp_ge_u32 s5, s2
	s_cselect_b32 s2, s6, s3
	s_abs_i32 s17, s24
	s_xor_b32 s2, s2, s4
	s_delay_alu instid0(SALU_CYCLE_1) | instskip(SKIP_2) | instid1(SALU_CYCLE_1)
	s_sub_i32 s8, s2, s4
	s_load_b64 s[2:3], s[0:1], 0x50
	s_abs_i32 s16, s8
	v_cvt_f32_u32_e32 v1, s16
	s_sub_i32 s5, 0, s16
	s_delay_alu instid0(VALU_DEP_1) | instskip(SKIP_2) | instid1(VALU_DEP_1)
	v_rcp_iflag_f32_e32 v1, v1
	s_waitcnt_depctr 0xfff
	v_mul_f32_e32 v1, 0x4f7ffffe, v1
	v_cvt_u32_f32_e32 v1, v1
	s_delay_alu instid0(VALU_DEP_1) | instskip(NEXT) | instid1(VALU_DEP_1)
	v_readfirstlane_b32 s4, v1
	s_mul_i32 s5, s5, s4
	s_delay_alu instid0(SALU_CYCLE_1) | instskip(NEXT) | instid1(SALU_CYCLE_1)
	s_mul_hi_u32 s5, s4, s5
	s_add_i32 s4, s4, s5
	s_waitcnt lgkmcnt(0)
	s_cmp_eq_u64 s[2:3], 0
	s_mul_hi_u32 s18, s17, s4
	s_cbranch_scc1 .LBB100_3
; %bb.2:
	s_ashr_i32 s25, s24, 31
	s_delay_alu instid0(SALU_CYCLE_1) | instskip(NEXT) | instid1(SALU_CYCLE_1)
	s_lshl_b64 s[4:5], s[24:25], 2
	s_add_u32 s2, s2, s4
	s_addc_u32 s3, s3, s5
	s_load_b32 s39, s[2:3], 0x0
.LBB100_3:
	s_load_b128 s[4:7], s[0:1], 0x58
	v_lshrrev_b32_e32 v63, 1, v0
	v_and_b32_e32 v64, 1, v0
	v_cmp_gt_u32_e64 s2, 64, v0
	v_lshlrev_b32_e32 v67, 3, v0
	s_ashr_i32 s3, s24, 31
	s_waitcnt lgkmcnt(0)
	s_ashr_i32 s7, s8, 31
	s_lshl_b32 s20, s24, 8
	s_and_saveexec_b32 s8, s2
	s_cbranch_execz .LBB100_5
; %bb.4:
	s_load_b64 s[10:11], s[0:1], 0x18
	s_mul_i32 s22, s14, s4
	v_lshlrev_b32_e32 v3, 3, v63
	s_ashr_i32 s23, s22, 31
	s_delay_alu instid0(SALU_CYCLE_1) | instskip(NEXT) | instid1(VALU_DEP_1)
	s_lshl_b64 s[22:23], s[22:23], 1
	v_lshl_add_u32 v3, v64, 8, v3
	s_waitcnt lgkmcnt(0)
	s_add_u32 s4, s10, s22
	s_addc_u32 s9, s11, s23
	s_ashr_i32 s21, s20, 31
	s_delay_alu instid0(SALU_CYCLE_1) | instskip(NEXT) | instid1(SALU_CYCLE_1)
	s_lshl_b64 s[10:11], s[20:21], 1
	s_add_u32 s10, s4, s10
	s_addc_u32 s11, s9, s11
	global_load_b64 v[1:2], v67, s[10:11]
	s_waitcnt vmcnt(0)
	ds_store_b64 v3, v[1:2]
.LBB100_5:
	s_or_b32 exec_lo, exec_lo, s8
	s_load_b128 s[8:11], s[0:1], 0x78
	s_mul_i32 s4, s18, s16
	s_xor_b32 s3, s3, s7
	s_sub_i32 s4, s17, s4
	s_add_i32 s7, s18, 1
	s_sub_i32 s17, s4, s16
	s_cmp_ge_u32 s4, s16
	s_waitcnt lgkmcnt(0)
	s_cselect_b32 s7, s7, s18
	s_cselect_b32 s4, s17, s4
	s_add_i32 s17, s7, 1
	s_cmp_ge_u32 s4, s16
	s_load_b32 s16, s[0:1], 0x88
	s_cselect_b32 s4, s17, s7
	s_add_i32 s17, s33, -1
	s_xor_b32 s4, s4, s3
	s_abs_i32 s7, s17
	s_sub_i32 s4, s4, s3
	s_mov_b32 s18, -1
	s_waitcnt lgkmcnt(0)
	s_barrier
	s_abs_i32 s21, s11
	buffer_gl0_inv
	v_cvt_f32_u32_e32 v1, s21
	s_sub_i32 s3, 0, s21
                                        ; implicit-def: $sgpr36
	s_delay_alu instid0(VALU_DEP_1) | instskip(SKIP_2) | instid1(VALU_DEP_1)
	v_rcp_iflag_f32_e32 v1, v1
	s_waitcnt_depctr 0xfff
	v_mul_f32_e32 v1, 0x4f7ffffe, v1
	v_cvt_u32_f32_e32 v1, v1
	s_delay_alu instid0(VALU_DEP_1) | instskip(NEXT) | instid1(VALU_DEP_1)
	v_readfirstlane_b32 s25, v1
	s_mul_i32 s3, s3, s25
	s_delay_alu instid0(SALU_CYCLE_1) | instskip(NEXT) | instid1(SALU_CYCLE_1)
	s_mul_hi_u32 s3, s25, s3
	s_add_i32 s25, s25, s3
	s_cmp_lt_i32 s16, 0
	s_mul_hi_u32 s3, s7, s25
	s_cbranch_scc0 .LBB100_7
; %bb.6:
	s_mul_i32 s18, s8, s34
	s_delay_alu instid0(SALU_CYCLE_1) | instskip(NEXT) | instid1(SALU_CYCLE_1)
	s_add_i32 s18, s4, s18
	s_mul_i32 s18, s18, s16
	s_delay_alu instid0(SALU_CYCLE_1)
	s_sub_i32 s36, 1, s18
	s_mov_b32 s18, 0
.LBB100_7:
	s_load_b64 s[26:27], s[0:1], 0x38
	s_ashr_i32 s28, s17, 31
	s_and_not1_b32 vcc_lo, exec_lo, s18
	s_ashr_i32 s11, s11, 31
	s_cbranch_vccnz .LBB100_9
; %bb.8:
	s_mul_i32 s8, s13, s8
	s_delay_alu instid0(SALU_CYCLE_1) | instskip(NEXT) | instid1(SALU_CYCLE_1)
	s_add_i32 s8, s8, s24
	s_mul_i32 s8, s8, s16
	s_delay_alu instid0(SALU_CYCLE_1)
	s_add_i32 s36, s8, 1
.LBB100_9:
	s_clause 0x4
	s_load_b32 s29, s[0:1], 0x48
	s_load_b64 s[30:31], s[0:1], 0x28
	s_load_b32 s8, s[0:1], 0x98
	s_load_b128 s[16:19], s[0:1], 0x0
	s_load_b64 s[22:23], s[0:1], 0x10
	s_xor_b32 s38, s28, s11
	s_mul_i32 s28, s3, s21
	s_add_i32 s34, s3, 1
	s_sub_i32 s7, s7, s28
	v_lshrrev_b32_e32 v65, 5, v0
	s_sub_i32 s37, s7, s21
	v_mov_b32_e32 v69, 0xff7fffff
	v_mbcnt_lo_u32_b32 v68, -1, 0
	s_mul_i32 s6, s4, s6
	v_lshl_add_u32 v66, v65, 4, s15
	s_waitcnt lgkmcnt(0)
	s_mul_i32 s28, s14, s29
	s_delay_alu instid0(SALU_CYCLE_1)
	s_ashr_i32 s29, s28, 31
	s_cmp_ge_u32 s7, s21
	s_cselect_b32 s3, s34, s3
	s_cselect_b32 s7, s37, s7
	s_add_i32 s34, s3, 1
	s_cmp_ge_u32 s7, s21
	s_cselect_b32 s3, s34, s3
	s_add_i32 s7, s33, 15
	s_lshl_b32 s40, s12, 5
	s_ashr_i32 s34, s7, 31
	v_or_b32_e32 v5, s40, v65
	s_lshr_b32 s34, s34, 28
	s_delay_alu instid0(SALU_CYCLE_1)
	s_add_i32 s7, s7, s34
	s_add_i32 s34, s40, 32
	s_ashr_i32 s37, s7, 4
	s_xor_b32 s7, s3, s38
	s_min_i32 s34, s34, s37
	v_ashrrev_i32_e32 v6, 31, v5
	v_cmp_gt_i32_e64 s3, s34, v5
	s_sub_i32 s38, s7, s38
	s_delay_alu instid0(VALU_DEP_1)
	s_and_saveexec_b32 s41, s3
	s_cbranch_execz .LBB100_19
; %bb.10:
	s_load_b64 s[0:1], s[0:1], 0x20
	s_ashr_i32 s7, s6, 31
	v_bfe_u32 v70, v0, 1, 4
	s_lshl_b64 s[42:43], s[6:7], 1
	s_sub_i32 s7, s38, s9
	v_dual_mov_b32 v73, 0xff7fffff :: v_dual_and_b32 v4, 8, v67
	s_delay_alu instid0(VALU_DEP_2)
	v_lshlrev_b32_e32 v7, 2, v70
	v_subrev_nc_u32_e32 v8, s33, v70
	v_lshlrev_b32_e32 v9, 4, v70
	v_cmp_eq_u32_e32 vcc_lo, 0, v64
	v_dual_mov_b32 v80, v5 :: v_dual_lshlrev_b32 v71, 8, v64
	v_lshl_or_b32 v7, v65, 6, v7
	v_add_nc_u32_e32 v75, 1, v8
	v_lshl_add_u32 v72, v65, 4, s15
	v_xor_b32_e32 v74, 1, v68
	v_mov_b32_e32 v69, 0xff7fffff
	v_add_nc_u32_e32 v76, 0x220, v7
	s_waitcnt lgkmcnt(0)
	s_add_u32 s4, s0, s42
	s_addc_u32 s1, s1, s43
	s_abs_i32 s42, s10
	s_lshl_b64 s[44:45], s[28:29], 2
	v_cvt_f32_u32_e32 v1, s42
	s_sub_i32 s43, 0, s42
	v_add_co_u32 v8, s4, s4, v9
	s_delay_alu instid0(VALU_DEP_1) | instskip(NEXT) | instid1(VALU_DEP_3)
	v_add_co_ci_u32_e64 v9, null, s1, 0, s4
	v_rcp_iflag_f32_e32 v3, v1
	v_lshlrev_b64 v[1:2], 2, v[5:6]
	s_add_u32 s1, s26, s44
	s_addc_u32 s4, s27, s45
	v_cmp_neq_f32_e64 s0, s39, 0
	s_mov_b32 s44, s5
	s_delay_alu instid0(VALU_DEP_2) | instskip(NEXT) | instid1(VALU_DEP_1)
	v_add_co_u32 v1, s1, s1, v1
	v_add_co_ci_u32_e64 v2, s1, s4, v2, s1
	s_waitcnt_depctr 0xfff
	v_mul_f32_e32 v3, 0x4f7ffffe, v3
	v_add_co_u32 v77, s1, v8, v4
	s_delay_alu instid0(VALU_DEP_1) | instskip(NEXT) | instid1(VALU_DEP_3)
	v_add_co_ci_u32_e64 v78, s1, 0, v9, s1
	v_cvt_u32_f32_e32 v3, v3
	s_delay_alu instid0(VALU_DEP_1) | instskip(SKIP_1) | instid1(VALU_DEP_1)
	v_mul_lo_u32 v7, s43, v3
	s_mov_b32 s43, 0
	v_mul_hi_u32 v7, v3, v7
	s_delay_alu instid0(VALU_DEP_1)
	v_add_nc_u32_e32 v79, v3, v7
	s_branch .LBB100_13
.LBB100_11:                             ;   in Loop: Header=BB100_13 Depth=1
	s_or_b32 exec_lo, exec_lo, s45
.LBB100_12:                             ;   in Loop: Header=BB100_13 Depth=1
	s_delay_alu instid0(SALU_CYCLE_1) | instskip(SKIP_2) | instid1(VALU_DEP_1)
	s_or_b32 exec_lo, exec_lo, s4
	v_add_nc_u32_e32 v80, 4, v80
	v_add_co_u32 v1, s4, v1, 16
	v_add_co_ci_u32_e64 v2, s4, 0, v2, s4
	s_delay_alu instid0(VALU_DEP_3) | instskip(SKIP_2) | instid1(VALU_DEP_3)
	v_cmp_le_i32_e64 s1, s34, v80
	v_add_nc_u32_e32 v72, 64, v72
	v_add_nc_u32_e32 v76, 0x100, v76
	s_or_b32 s43, s1, s43
	s_delay_alu instid0(SALU_CYCLE_1)
	s_and_not1_b32 exec_lo, exec_lo, s43
	s_cbranch_execz .LBB100_18
.LBB100_13:                             ; =>This Inner Loop Header: Depth=1
	v_sub_nc_u32_e32 v3, 0, v72
	s_delay_alu instid0(VALU_DEP_1) | instskip(SKIP_1) | instid1(VALU_DEP_1)
	v_max_i32_e32 v3, v72, v3
	s_waitcnt lgkmcnt(0)
	v_mul_hi_u32 v4, v3, s25
	s_delay_alu instid0(VALU_DEP_1) | instskip(NEXT) | instid1(VALU_DEP_1)
	v_mul_lo_u32 v7, v4, s21
	v_sub_nc_u32_e32 v3, v3, v7
	v_add_nc_u32_e32 v7, 1, v4
	s_delay_alu instid0(VALU_DEP_2) | instskip(SKIP_1) | instid1(VALU_DEP_1)
	v_subrev_nc_u32_e32 v8, s21, v3
	v_cmp_le_u32_e64 s1, s21, v3
	v_cndmask_b32_e64 v4, v4, v7, s1
	s_delay_alu instid0(VALU_DEP_3) | instskip(SKIP_1) | instid1(VALU_DEP_3)
	v_cndmask_b32_e64 v3, v3, v8, s1
	v_ashrrev_i32_e32 v7, 31, v72
	v_add_nc_u32_e32 v8, 1, v4
	s_delay_alu instid0(VALU_DEP_3) | instskip(NEXT) | instid1(VALU_DEP_3)
	v_cmp_le_u32_e64 s1, s21, v3
	v_xor_b32_e32 v7, s11, v7
	s_delay_alu instid0(VALU_DEP_2) | instskip(NEXT) | instid1(VALU_DEP_1)
	v_cndmask_b32_e64 v3, v4, v8, s1
	v_xor_b32_e32 v3, v3, v7
	s_delay_alu instid0(VALU_DEP_1) | instskip(NEXT) | instid1(VALU_DEP_1)
	v_sub_nc_u32_e32 v3, v3, v7
	v_add_nc_u32_e32 v4, s36, v3
	v_cmp_ge_i32_e64 s4, s7, v3
	s_delay_alu instid0(VALU_DEP_2) | instskip(NEXT) | instid1(VALU_DEP_1)
	v_sub_nc_u32_e32 v7, 0, v4
	v_max_i32_e32 v7, v4, v7
	v_ashrrev_i32_e32 v4, 31, v4
	s_delay_alu instid0(VALU_DEP_2) | instskip(NEXT) | instid1(VALU_DEP_1)
	v_mul_hi_u32 v8, v7, v79
	v_mul_lo_u32 v8, v8, s42
	s_delay_alu instid0(VALU_DEP_1) | instskip(NEXT) | instid1(VALU_DEP_1)
	v_sub_nc_u32_e32 v7, v7, v8
	v_subrev_nc_u32_e32 v8, s42, v7
	v_cmp_le_u32_e64 s1, s42, v7
	s_delay_alu instid0(VALU_DEP_1) | instskip(NEXT) | instid1(VALU_DEP_1)
	v_cndmask_b32_e64 v7, v7, v8, s1
	v_subrev_nc_u32_e32 v8, s42, v7
	v_cmp_le_u32_e64 s1, s42, v7
	s_delay_alu instid0(VALU_DEP_1) | instskip(NEXT) | instid1(VALU_DEP_1)
	v_cndmask_b32_e64 v7, v7, v8, s1
	v_xor_b32_e32 v7, v7, v4
	s_delay_alu instid0(VALU_DEP_1) | instskip(NEXT) | instid1(VALU_DEP_1)
	v_sub_nc_u32_e32 v4, v7, v4
	v_cmp_ne_u32_e64 s1, 0, v4
	s_delay_alu instid0(VALU_DEP_1) | instskip(NEXT) | instid1(SALU_CYCLE_1)
	s_and_b32 s1, s1, s4
	s_and_b32 s45, vcc_lo, s1
	s_delay_alu instid0(SALU_CYCLE_1)
	s_and_saveexec_b32 s4, s45
	s_cbranch_execz .LBB100_15
; %bb.14:                               ;   in Loop: Header=BB100_13 Depth=1
	ds_store_b32 v76, v73
.LBB100_15:                             ;   in Loop: Header=BB100_13 Depth=1
	s_or_b32 exec_lo, exec_lo, s4
	s_xor_b32 s1, s1, -1
	s_delay_alu instid0(SALU_CYCLE_1)
	s_and_saveexec_b32 s4, s1
	s_cbranch_execz .LBB100_12
; %bb.16:                               ;   in Loop: Header=BB100_13 Depth=1
	global_load_b32 v7, v[1:2], off
	s_waitcnt vmcnt(0)
	v_mad_i64_i32 v[3:4], null, v7, s44, 0
	s_delay_alu instid0(VALU_DEP_1) | instskip(NEXT) | instid1(VALU_DEP_1)
	v_lshlrev_b64 v[3:4], 1, v[3:4]
	v_add_co_u32 v3, s1, v77, v3
	s_delay_alu instid0(VALU_DEP_1)
	v_add_co_ci_u32_e64 v4, s1, v78, v4, s1
	s_clause 0x9
	global_load_b64 v[81:82], v[3:4], off
	global_load_b64 v[89:90], v[3:4], off offset:256
	global_load_b64 v[91:92], v[3:4], off offset:512
	;; [unrolled: 1-line block ×9, first 2 shown]
	ds_load_b64 v[7:8], v71
	v_add_co_u32 v83, s1, 0x1000, v3
	s_delay_alu instid0(VALU_DEP_1)
	v_add_co_ci_u32_e64 v84, s1, 0, v4, s1
	s_clause 0x1
	global_load_b64 v[47:48], v[3:4], off offset:2560
	global_load_b64 v[45:46], v[3:4], off offset:2816
	v_cmp_gt_i32_e64 s1, 32, v74
	s_waitcnt lgkmcnt(0)
	v_lshrrev_b32_e32 v85, 16, v7
	v_and_b32_e32 v86, 0xffff, v7
	v_lshrrev_b32_e32 v93, 16, v8
	v_and_b32_e32 v94, 0xffff, v8
	s_clause 0x13
	global_load_b64 v[43:44], v[3:4], off offset:3072
	global_load_b64 v[41:42], v[3:4], off offset:3328
	;; [unrolled: 1-line block ×4, first 2 shown]
	global_load_b64 v[35:36], v[83:84], off
	global_load_b64 v[33:34], v[83:84], off offset:256
	global_load_b64 v[31:32], v[83:84], off offset:512
	;; [unrolled: 1-line block ×15, first 2 shown]
	;;#ASMSTART
	v_cvt_f32_f16 v86, v86;
	;;#ASMEND
	;;#ASMSTART
	v_cvt_f32_f16 v85, v85;
	;;#ASMEND
	s_waitcnt vmcnt(31)
	v_and_b32_e32 v83, 0xffff, v81
	v_lshrrev_b32_e32 v81, 16, v81
	v_lshrrev_b32_e32 v95, 16, v82
	v_and_b32_e32 v82, 0xffff, v82
	;;#ASMSTART
	v_cvt_f32_f16 v88, v83;
	;;#ASMEND
	;;#ASMSTART
	v_cvt_f32_f16 v87, v81;
	;;#ASMEND
	;; [unrolled: 3-line block ×6, first 2 shown]
	ds_load_b64 v[93:94], v71 offset:8
	s_waitcnt vmcnt(30)
	v_lshrrev_b32_e32 v95, 16, v89
	v_and_b32_e32 v89, 0xffff, v89
	v_lshrrev_b32_e32 v96, 16, v90
	v_and_b32_e32 v90, 0xffff, v90
	s_waitcnt vmcnt(26)
	v_lshrrev_b32_e32 v103, 16, v58
	v_and_b32_e32 v58, 0xffff, v58
	s_waitcnt vmcnt(25)
	v_lshrrev_b32_e32 v105, 16, v55
	v_and_b32_e32 v55, 0xffff, v55
	v_lshrrev_b32_e32 v130, 16, v56
	v_and_b32_e32 v109, 0xffff, v56
	s_waitcnt vmcnt(24)
	v_lshrrev_b32_e32 v132, 16, v53
	v_lshrrev_b32_e32 v133, 16, v54
	s_waitcnt lgkmcnt(0)
	v_and_b32_e32 v97, 0xffff, v93
	v_lshrrev_b32_e32 v93, 16, v93
	v_and_b32_e32 v98, 0xffff, v94
	v_lshrrev_b32_e32 v94, 16, v94
	;;#ASMSTART
	v_cvt_f32_f16 v122, v97;
	;;#ASMEND
	;;#ASMSTART
	v_cvt_f32_f16 v121, v93;
	;;#ASMEND
	;; [unrolled: 3-line block ×8, first 2 shown]
	ds_load_b64 v[89:90], v71 offset:16
	v_lshrrev_b32_e32 v93, 16, v91
	v_and_b32_e32 v91, 0xffff, v91
	v_lshrrev_b32_e32 v94, 16, v92
	v_and_b32_e32 v92, 0xffff, v92
	s_waitcnt lgkmcnt(0)
	v_and_b32_e32 v95, 0xffff, v89
	v_lshrrev_b32_e32 v89, 16, v89
	;;#ASMSTART
	v_cvt_f32_f16 v123, v95;
	;;#ASMEND
	;;#ASMSTART
	v_cvt_f32_f16 v119, v89;
	;;#ASMEND
	;;#ASMSTART
	v_cvt_f32_f16 v126, v91;
	;;#ASMEND
	;;#ASMSTART
	v_cvt_f32_f16 v120, v93;
	;;#ASMEND
	v_and_b32_e32 v96, 0xffff, v90
	v_lshrrev_b32_e32 v90, 16, v90
	;;#ASMSTART
	v_cvt_f32_f16 v127, v96;
	;;#ASMEND
	;;#ASMSTART
	v_cvt_f32_f16 v101, v90;
	;;#ASMEND
	;; [unrolled: 3-line block ×4, first 2 shown]
	ds_load_b64 v[89:90], v71 offset:24
	v_lshrrev_b32_e32 v91, 16, v61
	v_and_b32_e32 v61, 0xffff, v61
	v_lshrrev_b32_e32 v92, 16, v62
	s_waitcnt lgkmcnt(0)
	v_and_b32_e32 v93, 0xffff, v89
	v_lshrrev_b32_e32 v89, 16, v89
	;;#ASMSTART
	v_cvt_f32_f16 v117, v93;
	;;#ASMEND
	;;#ASMSTART
	v_cvt_f32_f16 v115, v89;
	;;#ASMEND
	;;#ASMSTART
	v_cvt_f32_f16 v118, v61;
	;;#ASMEND
	;;#ASMSTART
	v_cvt_f32_f16 v116, v91;
	;;#ASMEND
	v_and_b32_e32 v62, 0xffff, v62
	v_and_b32_e32 v94, 0xffff, v90
	v_lshrrev_b32_e32 v90, 16, v90
	;;#ASMSTART
	v_cvt_f32_f16 v99, v94;
	;;#ASMEND
	;;#ASMSTART
	v_cvt_f32_f16 v97, v90;
	;;#ASMEND
	;; [unrolled: 3-line block ×4, first 2 shown]
	ds_load_b64 v[61:62], v71 offset:32
	v_lshrrev_b32_e32 v90, 16, v59
	v_and_b32_e32 v59, 0xffff, v59
	v_lshrrev_b32_e32 v91, 16, v60
	v_and_b32_e32 v60, 0xffff, v60
	s_waitcnt lgkmcnt(0)
	v_and_b32_e32 v89, 0xffff, v61
	v_lshrrev_b32_e32 v61, 16, v61
	v_and_b32_e32 v92, 0xffff, v62
	v_lshrrev_b32_e32 v62, 16, v62
	;;#ASMSTART
	v_cvt_f32_f16 v113, v89;
	;;#ASMEND
	;;#ASMSTART
	v_cvt_f32_f16 v89, v61;
	;;#ASMEND
	;; [unrolled: 3-line block ×8, first 2 shown]
	ds_load_b64 v[59:60], v71 offset:40
	v_lshrrev_b32_e32 v91, 16, v57
	v_and_b32_e32 v57, 0xffff, v57
	s_waitcnt lgkmcnt(0)
	v_and_b32_e32 v61, 0xffff, v59
	v_lshrrev_b32_e32 v59, 16, v59
	v_and_b32_e32 v92, 0xffff, v60
	v_lshrrev_b32_e32 v104, 16, v60
	;;#ASMSTART
	v_cvt_f32_f16 v61, v61;
	;;#ASMEND
	;;#ASMSTART
	v_cvt_f32_f16 v59, v59;
	;;#ASMEND
	;; [unrolled: 3-line block ×8, first 2 shown]
	ds_load_b64 v[103:104], v71 offset:48
	s_waitcnt lgkmcnt(0)
	v_and_b32_e32 v106, 0xffff, v103
	v_lshrrev_b32_e32 v103, 16, v103
	;;#ASMSTART
	v_cvt_f32_f16 v106, v106;
	;;#ASMEND
	;;#ASMSTART
	v_cvt_f32_f16 v56, v103;
	;;#ASMEND
	;; [unrolled: 3-line block ×3, first 2 shown]
	v_mul_f32_e32 v55, v122, v125
	v_and_b32_e32 v107, 0xffff, v104
	v_lshrrev_b32_e32 v131, 16, v104
	;;#ASMSTART
	v_cvt_f32_f16 v104, v105;
	;;#ASMEND
	;;#ASMSTART
	v_cvt_f32_f16 v107, v107;
	;;#ASMEND
	v_fmac_f32_e32 v55, v86, v88
	;;#ASMSTART
	v_cvt_f32_f16 v103, v131;
	;;#ASMEND
	;;#ASMSTART
	v_cvt_f32_f16 v109, v109;
	;;#ASMEND
	;; [unrolled: 3-line block ×3, first 2 shown]
	ds_load_b64 v[130:131], v71 offset:56
	v_dual_fmac_f32 v55, v123, v126 :: v_dual_and_b32 v122, 0xffff, v53
	v_dual_mul_f32 v53, v121, v124 :: v_dual_and_b32 v54, 0xffff, v54
	s_waitcnt vmcnt(22)
	s_delay_alu instid0(VALU_DEP_2) | instskip(NEXT) | instid1(VALU_DEP_2)
	v_dual_fmac_f32 v55, v117, v118 :: v_dual_and_b32 v126, 0xffff, v49
	v_fmac_f32_e32 v53, v85, v87
	s_delay_alu instid0(VALU_DEP_2) | instskip(NEXT) | instid1(VALU_DEP_2)
	v_fmac_f32_e32 v55, v113, v114
	v_fmac_f32_e32 v53, v119, v120
	s_delay_alu instid0(VALU_DEP_2) | instskip(SKIP_2) | instid1(VALU_DEP_3)
	v_fmac_f32_e32 v55, v61, v62
	s_waitcnt vmcnt(18)
	v_lshrrev_b32_e32 v61, 16, v42
	v_fmac_f32_e32 v53, v115, v116
	s_waitcnt lgkmcnt(0)
	v_and_b32_e32 v87, 0xffff, v131
	v_lshrrev_b32_e32 v125, 16, v131
	v_dual_fmac_f32 v55, v106, v108 :: v_dual_and_b32 v86, 0xffff, v130
	v_lshrrev_b32_e32 v88, 16, v130
	;;#ASMSTART
	v_cvt_f32_f16 v121, v86;
	;;#ASMEND
	;;#ASMSTART
	v_cvt_f32_f16 v85, v88;
	;;#ASMEND
	;; [unrolled: 3-line block ×3, first 2 shown]
	v_fmac_f32_e32 v55, v121, v124
	;;#ASMSTART
	v_cvt_f32_f16 v86, v132;
	;;#ASMEND
	;;#ASMSTART
	v_cvt_f32_f16 v122, v87;
	;;#ASMEND
	;; [unrolled: 3-line block ×4, first 2 shown]
	v_lshrrev_b32_e32 v132, 16, v51
	v_dual_mul_f32 v54, v111, v112 :: v_dual_and_b32 v111, 0xffff, v51
	v_mul_f32_e32 v51, v110, v129
	;;#ASMSTART
	v_cvt_f32_f16 v88, v133;
	;;#ASMEND
	ds_load_b64 v[130:131], v71 offset:64
	v_dual_fmac_f32 v53, v89, v90 :: v_dual_and_b32 v112, 0xffff, v52
	v_fmac_f32_e32 v51, v81, v82
	v_lshrrev_b32_e32 v89, 16, v44
	v_lshrrev_b32_e32 v129, 16, v52
	v_dual_fmac_f32 v54, v83, v84 :: v_dual_and_b32 v133, 0xffff, v50
	s_delay_alu instid0(VALU_DEP_4) | instskip(SKIP_1) | instid1(VALU_DEP_3)
	v_fmac_f32_e32 v51, v101, v102
	v_fmac_f32_e32 v53, v59, v60
	v_dual_fmac_f32 v54, v127, v128 :: v_dual_and_b32 v101, 0xffff, v47
	v_lshrrev_b32_e32 v102, 16, v48
	s_delay_alu instid0(VALU_DEP_4) | instskip(NEXT) | instid1(VALU_DEP_4)
	v_dual_fmac_f32 v51, v97, v98 :: v_dual_and_b32 v44, 0xffff, v44
	v_fmac_f32_e32 v53, v56, v104
	s_delay_alu instid0(VALU_DEP_4) | instskip(SKIP_1) | instid1(VALU_DEP_4)
	v_fmac_f32_e32 v54, v99, v100
	v_lshrrev_b32_e32 v99, 16, v46
	v_fmac_f32_e32 v51, v93, v94
	s_waitcnt lgkmcnt(0)
	v_lshrrev_b32_e32 v83, 16, v130
	v_and_b32_e32 v81, 0xffff, v131
	v_fmac_f32_e32 v53, v85, v86
	v_fmac_f32_e32 v51, v57, v58
	s_waitcnt vmcnt(17)
	v_lshrrev_b32_e32 v57, 16, v40
	v_and_b32_e32 v40, 0xffff, v40
	s_waitcnt vmcnt(15)
	v_lshrrev_b32_e32 v85, 16, v36
	v_fmac_f32_e32 v54, v95, v96
	v_dual_fmac_f32 v51, v103, v105 :: v_dual_and_b32 v52, 0xffff, v130
	v_lshrrev_b32_e32 v130, 16, v131
	v_lshrrev_b32_e32 v131, 16, v49
	s_delay_alu instid0(VALU_DEP_4) | instskip(NEXT) | instid1(VALU_DEP_4)
	v_fmac_f32_e32 v54, v91, v92
	v_fmac_f32_e32 v51, v87, v88
	;;#ASMSTART
	v_cvt_f32_f16 v84, v52;
	;;#ASMEND
	;;#ASMSTART
	v_cvt_f32_f16 v52, v83;
	;;#ASMEND
	;; [unrolled: 3-line block ×8, first 2 shown]
	ds_load_b64 v[129:130], v71 offset:72
	v_lshrrev_b32_e32 v132, 16, v50
	v_dual_fmac_f32 v51, v81, v83 :: v_dual_and_b32 v36, 0xffff, v36
	v_fmac_f32_e32 v55, v84, v110
	v_dual_fmac_f32 v53, v52, v82 :: v_dual_fmac_f32 v54, v107, v109
	v_lshrrev_b32_e32 v107, 16, v38
	s_waitcnt vmcnt(14)
	v_lshrrev_b32_e32 v84, 16, v34
	s_waitcnt vmcnt(13)
	v_lshrrev_b32_e32 v81, 16, v32
	v_fmac_f32_e32 v54, v122, v125
	s_waitcnt lgkmcnt(0)
	s_delay_alu instid0(VALU_DEP_1)
	v_dual_fmac_f32 v54, v111, v112 :: v_dual_and_b32 v49, 0xffff, v129
	v_lshrrev_b32_e32 v50, 16, v129
	v_and_b32_e32 v120, 0xffff, v130
	v_lshrrev_b32_e32 v128, 16, v130
	;;#ASMSTART
	v_cvt_f32_f16 v123, v49;
	;;#ASMEND
	;;#ASMSTART
	v_cvt_f32_f16 v49, v50;
	;;#ASMEND
	;; [unrolled: 3-line block ×8, first 2 shown]
	ds_load_b64 v[129:130], v71 offset:80
	v_and_b32_e32 v132, 0xffff, v48
	v_lshrrev_b32_e32 v131, 16, v47
	v_dual_fmac_f32 v55, v123, v127 :: v_dual_and_b32 v46, 0xffff, v46
	v_fmac_f32_e32 v53, v49, v119
	v_fmac_f32_e32 v51, v50, v120
	v_fmac_f32_e32 v54, v126, v128
	s_waitcnt vmcnt(12)
	v_lshrrev_b32_e32 v126, 16, v30
	s_waitcnt lgkmcnt(0)
	v_and_b32_e32 v47, 0xffff, v129
	v_lshrrev_b32_e32 v48, 16, v129
	v_and_b32_e32 v116, 0xffff, v130
	v_lshrrev_b32_e32 v118, 16, v130
	;;#ASMSTART
	v_cvt_f32_f16 v115, v47;
	;;#ASMEND
	;;#ASMSTART
	v_cvt_f32_f16 v47, v48;
	;;#ASMEND
	;;#ASMSTART
	v_cvt_f32_f16 v117, v101;
	;;#ASMEND
	;;#ASMSTART
	v_cvt_f32_f16 v48, v131;
	;;#ASMEND
	;;#ASMSTART
	v_cvt_f32_f16 v116, v116;
	;;#ASMEND
	;;#ASMSTART
	v_cvt_f32_f16 v101, v118;
	;;#ASMEND
	;;#ASMSTART
	v_cvt_f32_f16 v118, v132;
	;;#ASMEND
	;;#ASMSTART
	v_cvt_f32_f16 v102, v102;
	;;#ASMEND
	ds_load_b64 v[129:130], v71 offset:88
	v_lshrrev_b32_e32 v131, 16, v45
	v_and_b32_e32 v45, 0xffff, v45
	v_dual_fmac_f32 v53, v47, v48 :: v_dual_and_b32 v42, 0xffff, v42
	v_fmac_f32_e32 v55, v115, v117
	v_fmac_f32_e32 v51, v101, v102
	s_waitcnt vmcnt(11)
	v_lshrrev_b32_e32 v47, 16, v28
	s_waitcnt lgkmcnt(0)
	v_dual_fmac_f32 v54, v116, v118 :: v_dual_and_b32 v97, 0xffff, v129
	v_lshrrev_b32_e32 v98, 16, v129
	v_and_b32_e32 v100, 0xffff, v130
	v_lshrrev_b32_e32 v113, 16, v130
	;;#ASMSTART
	v_cvt_f32_f16 v97, v97;
	;;#ASMEND
	;;#ASMSTART
	v_cvt_f32_f16 v98, v98;
	;;#ASMEND
	;; [unrolled: 3-line block ×8, first 2 shown]
	ds_load_b64 v[45:46], v71 offset:96
	v_lshrrev_b32_e32 v131, 16, v43
	v_and_b32_e32 v43, 0xffff, v43
	v_dual_fmac_f32 v53, v98, v129 :: v_dual_and_b32 v38, 0xffff, v38
	v_fmac_f32_e32 v51, v113, v99
	v_fmac_f32_e32 v55, v97, v114
	s_waitcnt vmcnt(10)
	v_lshrrev_b32_e32 v97, 16, v26
	v_fmac_f32_e32 v54, v100, v130
	s_waitcnt vmcnt(9)
	v_lshrrev_b32_e32 v99, 16, v24
	s_waitcnt lgkmcnt(0)
	v_and_b32_e32 v90, 0xffff, v45
	v_lshrrev_b32_e32 v45, 16, v45
	v_and_b32_e32 v93, 0xffff, v46
	v_lshrrev_b32_e32 v46, 16, v46
	;;#ASMSTART
	v_cvt_f32_f16 v90, v90;
	;;#ASMEND
	;;#ASMSTART
	v_cvt_f32_f16 v45, v45;
	;;#ASMEND
	;; [unrolled: 3-line block ×8, first 2 shown]
	ds_load_b64 v[43:44], v71 offset:104
	v_lshrrev_b32_e32 v131, 16, v41
	v_and_b32_e32 v41, 0xffff, v41
	v_fmac_f32_e32 v55, v90, v94
	v_dual_fmac_f32 v53, v45, v95 :: v_dual_and_b32 v34, 0xffff, v34
	v_dual_fmac_f32 v51, v46, v89 :: v_dual_fmac_f32 v54, v93, v96
	s_waitcnt vmcnt(8)
	v_lshrrev_b32_e32 v93, 16, v22
	s_waitcnt lgkmcnt(0)
	v_and_b32_e32 v59, 0xffff, v43
	v_lshrrev_b32_e32 v43, 16, v43
	v_lshrrev_b32_e32 v60, 16, v44
	v_and_b32_e32 v44, 0xffff, v44
	;;#ASMSTART
	v_cvt_f32_f16 v59, v59;
	;;#ASMEND
	;;#ASMSTART
	v_cvt_f32_f16 v43, v43;
	;;#ASMEND
	;; [unrolled: 3-line block ×8, first 2 shown]
	ds_load_b64 v[41:42], v71 offset:112
	v_lshrrev_b32_e32 v131, 16, v39
	v_and_b32_e32 v39, 0xffff, v39
	v_dual_fmac_f32 v55, v59, v62 :: v_dual_and_b32 v32, 0xffff, v32
	v_fmac_f32_e32 v53, v43, v91
	v_fmac_f32_e32 v51, v60, v61
	;; [unrolled: 1-line block ×3, first 2 shown]
	s_waitcnt vmcnt(7)
	v_lshrrev_b32_e32 v43, 16, v20
	s_waitcnt lgkmcnt(0)
	v_and_b32_e32 v58, 0xffff, v41
	v_lshrrev_b32_e32 v41, 16, v41
	v_lshrrev_b32_e32 v56, 16, v42
	v_and_b32_e32 v42, 0xffff, v42
	;;#ASMSTART
	v_cvt_f32_f16 v58, v58;
	;;#ASMEND
	;;#ASMSTART
	v_cvt_f32_f16 v41, v41;
	;;#ASMEND
	;; [unrolled: 3-line block ×8, first 2 shown]
	ds_load_b64 v[39:40], v71 offset:120
	v_lshrrev_b32_e32 v131, 16, v37
	v_and_b32_e32 v37, 0xffff, v37
	v_dual_fmac_f32 v55, v58, v104 :: v_dual_and_b32 v30, 0xffff, v30
	v_fmac_f32_e32 v53, v41, v106
	v_dual_fmac_f32 v51, v56, v57 :: v_dual_fmac_f32 v54, v42, v108
	s_waitcnt vmcnt(6)
	v_lshrrev_b32_e32 v58, 16, v18
	s_waitcnt vmcnt(5)
	v_lshrrev_b32_e32 v56, 16, v16
	s_waitcnt lgkmcnt(0)
	v_and_b32_e32 v103, 0xffff, v39
	v_lshrrev_b32_e32 v39, 16, v39
	v_lshrrev_b32_e32 v105, 16, v40
	v_and_b32_e32 v40, 0xffff, v40
	;;#ASMSTART
	v_cvt_f32_f16 v103, v103;
	;;#ASMEND
	;;#ASMSTART
	v_cvt_f32_f16 v39, v39;
	;;#ASMEND
	;; [unrolled: 3-line block ×8, first 2 shown]
	ds_load_b64 v[37:38], v71 offset:128
	v_lshrrev_b32_e32 v131, 16, v35
	v_and_b32_e32 v35, 0xffff, v35
	v_dual_fmac_f32 v55, v103, v109 :: v_dual_and_b32 v28, 0xffff, v28
	v_fmac_f32_e32 v53, v39, v121
	v_dual_fmac_f32 v51, v105, v107 :: v_dual_fmac_f32 v54, v40, v124
	s_waitcnt vmcnt(4)
	v_lshrrev_b32_e32 v40, 16, v14
	s_waitcnt lgkmcnt(0)
	v_and_b32_e32 v86, 0xffff, v37
	v_lshrrev_b32_e32 v37, 16, v37
	v_lshrrev_b32_e32 v87, 16, v38
	v_and_b32_e32 v38, 0xffff, v38
	;;#ASMSTART
	v_cvt_f32_f16 v86, v86;
	;;#ASMEND
	;;#ASMSTART
	v_cvt_f32_f16 v37, v37;
	;;#ASMEND
	;; [unrolled: 3-line block ×8, first 2 shown]
	ds_load_b64 v[35:36], v71 offset:136
	v_lshrrev_b32_e32 v131, 16, v33
	v_and_b32_e32 v33, 0xffff, v33
	v_dual_fmac_f32 v55, v86, v88 :: v_dual_and_b32 v26, 0xffff, v26
	v_fmac_f32_e32 v53, v37, v122
	v_fmac_f32_e32 v51, v87, v85
	;; [unrolled: 1-line block ×3, first 2 shown]
	s_waitcnt vmcnt(3)
	v_lshrrev_b32_e32 v37, 16, v12
	s_waitcnt vmcnt(2)
	v_lshrrev_b32_e32 v122, 16, v9
	v_and_b32_e32 v9, 0xffff, v9
	v_lshrrev_b32_e32 v38, 16, v10
	s_waitcnt lgkmcnt(0)
	v_and_b32_e32 v52, 0xffff, v35
	v_lshrrev_b32_e32 v35, 16, v35
	v_lshrrev_b32_e32 v82, 16, v36
	v_and_b32_e32 v36, 0xffff, v36
	;;#ASMSTART
	v_cvt_f32_f16 v52, v52;
	;;#ASMEND
	;;#ASMSTART
	v_cvt_f32_f16 v35, v35;
	;;#ASMEND
	;; [unrolled: 3-line block ×8, first 2 shown]
	ds_load_b64 v[33:34], v71 offset:144
	v_lshrrev_b32_e32 v131, 16, v31
	v_and_b32_e32 v31, 0xffff, v31
	v_dual_fmac_f32 v55, v52, v110 :: v_dual_and_b32 v24, 0xffff, v24
	v_fmac_f32_e32 v53, v35, v111
	v_fmac_f32_e32 v51, v82, v84
	s_waitcnt lgkmcnt(0)
	v_dual_fmac_f32 v54, v36, v112 :: v_dual_and_b32 v83, 0xffff, v33
	v_lshrrev_b32_e32 v33, 16, v33
	v_lshrrev_b32_e32 v49, 16, v34
	v_and_b32_e32 v34, 0xffff, v34
	;;#ASMSTART
	v_cvt_f32_f16 v83, v83;
	;;#ASMEND
	;;#ASMSTART
	v_cvt_f32_f16 v33, v33;
	;;#ASMEND
	;; [unrolled: 3-line block ×8, first 2 shown]
	ds_load_b64 v[31:32], v71 offset:152
	v_lshrrev_b32_e32 v131, 16, v29
	v_and_b32_e32 v29, 0xffff, v29
	v_dual_fmac_f32 v55, v83, v119 :: v_dual_and_b32 v22, 0xffff, v22
	v_fmac_f32_e32 v53, v33, v123
	v_dual_fmac_f32 v51, v49, v81 :: v_dual_fmac_f32 v54, v34, v127
	s_waitcnt lgkmcnt(0)
	v_and_b32_e32 v50, 0xffff, v31
	v_lshrrev_b32_e32 v31, 16, v31
	v_lshrrev_b32_e32 v115, 16, v32
	v_and_b32_e32 v32, 0xffff, v32
	;;#ASMSTART
	v_cvt_f32_f16 v50, v50;
	;;#ASMEND
	;;#ASMSTART
	v_cvt_f32_f16 v31, v31;
	;;#ASMEND
	;;#ASMSTART
	v_cvt_f32_f16 v117, v29;
	;;#ASMEND
	;;#ASMSTART
	v_cvt_f32_f16 v120, v131;
	;;#ASMEND
	;;#ASMSTART
	v_cvt_f32_f16 v32, v32;
	;;#ASMEND
	;;#ASMSTART
	v_cvt_f32_f16 v115, v115;
	;;#ASMEND
	;;#ASMSTART
	v_cvt_f32_f16 v128, v30;
	;;#ASMEND
	;;#ASMSTART
	v_cvt_f32_f16 v126, v126;
	;;#ASMEND
	ds_load_b64 v[29:30], v71 offset:160
	v_lshrrev_b32_e32 v131, 16, v27
	v_and_b32_e32 v27, 0xffff, v27
	v_fmac_f32_e32 v53, v31, v120
	v_dual_fmac_f32 v55, v50, v117 :: v_dual_and_b32 v20, 0xffff, v20
	v_dual_fmac_f32 v51, v115, v126 :: v_dual_fmac_f32 v54, v32, v128
	s_waitcnt vmcnt(1)
	v_lshrrev_b32_e32 v31, 16, v7
	v_and_b32_e32 v7, 0xffff, v7
	s_waitcnt lgkmcnt(0)
	v_and_b32_e32 v48, 0xffff, v29
	v_lshrrev_b32_e32 v29, 16, v29
	v_lshrrev_b32_e32 v101, 16, v30
	v_and_b32_e32 v30, 0xffff, v30
	;;#ASMSTART
	v_cvt_f32_f16 v48, v48;
	;;#ASMEND
	;;#ASMSTART
	v_cvt_f32_f16 v29, v29;
	;;#ASMEND
	;; [unrolled: 3-line block ×8, first 2 shown]
	ds_load_b64 v[27:28], v71 offset:168
	v_lshrrev_b32_e32 v131, 16, v25
	v_and_b32_e32 v25, 0xffff, v25
	v_dual_fmac_f32 v53, v29, v116 :: v_dual_and_b32 v18, 0xffff, v18
	v_dual_fmac_f32 v51, v101, v47 :: v_dual_and_b32 v16, 0xffff, v16
	v_fmac_f32_e32 v55, v48, v102
	v_fmac_f32_e32 v54, v30, v118
	s_waitcnt lgkmcnt(0)
	v_and_b32_e32 v98, 0xffff, v27
	v_lshrrev_b32_e32 v27, 16, v27
	v_lshrrev_b32_e32 v100, 16, v28
	v_and_b32_e32 v28, 0xffff, v28
	;;#ASMSTART
	v_cvt_f32_f16 v98, v98;
	;;#ASMEND
	;;#ASMSTART
	v_cvt_f32_f16 v27, v27;
	;;#ASMEND
	;; [unrolled: 3-line block ×8, first 2 shown]
	ds_load_b64 v[25:26], v71 offset:176
	v_lshrrev_b32_e32 v131, 16, v23
	v_and_b32_e32 v23, 0xffff, v23
	v_dual_fmac_f32 v53, v27, v129 :: v_dual_and_b32 v14, 0xffff, v14
	v_fmac_f32_e32 v51, v100, v97
	v_fmac_f32_e32 v55, v98, v114
	;; [unrolled: 1-line block ×3, first 2 shown]
	s_waitcnt lgkmcnt(0)
	v_and_b32_e32 v90, 0xffff, v25
	v_lshrrev_b32_e32 v25, 16, v25
	v_lshrrev_b32_e32 v45, 16, v26
	v_and_b32_e32 v26, 0xffff, v26
	;;#ASMSTART
	v_cvt_f32_f16 v90, v90;
	;;#ASMEND
	;;#ASMSTART
	v_cvt_f32_f16 v25, v25;
	;;#ASMEND
	;; [unrolled: 3-line block ×8, first 2 shown]
	ds_load_b64 v[23:24], v71 offset:184
	v_lshrrev_b32_e32 v131, 16, v21
	v_and_b32_e32 v21, 0xffff, v21
	v_dual_fmac_f32 v55, v90, v94 :: v_dual_and_b32 v12, 0xffff, v12
	v_dual_fmac_f32 v53, v25, v95 :: v_dual_and_b32 v10, 0xffff, v10
	v_dual_fmac_f32 v51, v45, v99 :: v_dual_fmac_f32 v54, v26, v113
	s_waitcnt lgkmcnt(0)
	v_and_b32_e32 v46, 0xffff, v23
	v_lshrrev_b32_e32 v23, 16, v23
	v_lshrrev_b32_e32 v59, 16, v24
	v_and_b32_e32 v24, 0xffff, v24
	;;#ASMSTART
	v_cvt_f32_f16 v46, v46;
	;;#ASMEND
	;;#ASMSTART
	v_cvt_f32_f16 v23, v23;
	;;#ASMEND
	;; [unrolled: 3-line block ×8, first 2 shown]
	ds_load_b64 v[21:22], v71 offset:192
	v_lshrrev_b32_e32 v131, 16, v19
	v_and_b32_e32 v19, 0xffff, v19
	v_fmac_f32_e32 v53, v23, v89
	v_lshrrev_b32_e32 v23, 16, v8
	v_dual_fmac_f32 v55, v46, v62 :: v_dual_and_b32 v8, 0xffff, v8
	v_fmac_f32_e32 v54, v24, v96
	s_waitcnt lgkmcnt(0)
	v_and_b32_e32 v44, 0xffff, v21
	v_lshrrev_b32_e32 v21, 16, v21
	v_lshrrev_b32_e32 v60, 16, v22
	v_and_b32_e32 v22, 0xffff, v22
	;;#ASMSTART
	v_cvt_f32_f16 v44, v44;
	;;#ASMEND
	;;#ASMSTART
	v_cvt_f32_f16 v21, v21;
	;;#ASMEND
	;; [unrolled: 3-line block ×8, first 2 shown]
	ds_load_b64 v[19:20], v71 offset:200
	v_lshrrev_b32_e32 v131, 16, v17
	v_and_b32_e32 v17, 0xffff, v17
	v_fmac_f32_e32 v53, v21, v91
	v_dual_fmac_f32 v55, v44, v61 :: v_dual_fmac_f32 v54, v22, v92
	s_waitcnt lgkmcnt(0)
	v_lshrrev_b32_e32 v42, 16, v20
	v_and_b32_e32 v20, 0xffff, v20
	v_and_b32_e32 v41, 0xffff, v19
	v_lshrrev_b32_e32 v19, 16, v19
	;;#ASMSTART
	v_cvt_f32_f16 v41, v41;
	;;#ASMEND
	;;#ASMSTART
	v_cvt_f32_f16 v19, v19;
	;;#ASMEND
	;; [unrolled: 3-line block ×8, first 2 shown]
	ds_load_b64 v[17:18], v71 offset:208
	v_lshrrev_b32_e32 v131, 16, v15
	v_and_b32_e32 v15, 0xffff, v15
	v_dual_fmac_f32 v53, v19, v106 :: v_dual_fmac_f32 v54, v20, v108
	s_waitcnt vmcnt(0)
	v_lshrrev_b32_e32 v19, 16, v3
	v_and_b32_e32 v3, 0xffff, v3
	s_waitcnt lgkmcnt(0)
	v_and_b32_e32 v57, 0xffff, v17
	v_lshrrev_b32_e32 v17, 16, v17
	v_lshrrev_b32_e32 v39, 16, v18
	v_and_b32_e32 v18, 0xffff, v18
	;;#ASMSTART
	v_cvt_f32_f16 v57, v57;
	;;#ASMEND
	;;#ASMSTART
	v_cvt_f32_f16 v17, v17;
	;;#ASMEND
	;; [unrolled: 3-line block ×8, first 2 shown]
	ds_load_b64 v[15:16], v71 offset:216
	v_lshrrev_b32_e32 v131, 16, v13
	v_and_b32_e32 v13, 0xffff, v13
	v_fmac_f32_e32 v53, v17, v109
	s_waitcnt lgkmcnt(0)
	v_dual_fmac_f32 v54, v18, v121 :: v_dual_and_b32 v105, 0xffff, v15
	v_lshrrev_b32_e32 v15, 16, v15
	v_lshrrev_b32_e32 v86, 16, v16
	v_and_b32_e32 v16, 0xffff, v16
	;;#ASMSTART
	v_cvt_f32_f16 v88, v105;
	;;#ASMEND
	;;#ASMSTART
	v_cvt_f32_f16 v15, v15;
	;;#ASMEND
	;; [unrolled: 3-line block ×8, first 2 shown]
	ds_load_b64 v[13:14], v71 offset:224
	v_lshrrev_b32_e32 v131, 16, v11
	v_and_b32_e32 v11, 0xffff, v11
	v_dual_fmac_f32 v53, v15, v107 :: v_dual_fmac_f32 v54, v16, v124
	s_waitcnt lgkmcnt(0)
	v_and_b32_e32 v35, 0xffff, v13
	v_lshrrev_b32_e32 v13, 16, v13
	v_lshrrev_b32_e32 v36, 16, v14
	v_and_b32_e32 v14, 0xffff, v14
	;;#ASMSTART
	v_cvt_f32_f16 v35, v35;
	;;#ASMEND
	;;#ASMSTART
	v_cvt_f32_f16 v13, v13;
	;;#ASMEND
	;; [unrolled: 3-line block ×8, first 2 shown]
	ds_load_b64 v[11:12], v71 offset:232
	v_fmac_f32_e32 v53, v13, v82
	v_lshrrev_b32_e32 v13, 16, v4
	v_and_b32_e32 v4, 0xffff, v4
	v_dual_fmac_f32 v55, v41, v104 :: v_dual_fmac_f32 v54, v14, v83
	s_delay_alu instid0(VALU_DEP_1) | instskip(NEXT) | instid1(VALU_DEP_1)
	v_fmac_f32_e32 v55, v57, v103
	v_fmac_f32_e32 v55, v88, v105
	s_delay_alu instid0(VALU_DEP_1)
	v_fmac_f32_e32 v55, v35, v52
	s_waitcnt lgkmcnt(0)
	v_and_b32_e32 v27, 0xffff, v11
	v_lshrrev_b32_e32 v11, 16, v11
	v_lshrrev_b32_e32 v25, 16, v12
	v_and_b32_e32 v12, 0xffff, v12
	;;#ASMSTART
	v_cvt_f32_f16 v27, v27;
	;;#ASMEND
	;;#ASMSTART
	v_cvt_f32_f16 v11, v11;
	;;#ASMEND
	;; [unrolled: 3-line block ×8, first 2 shown]
	ds_load_b64 v[9:10], v71 offset:240
	v_fmac_f32_e32 v51, v59, v93
	v_fmac_f32_e32 v55, v27, v28
	v_dual_fmac_f32 v53, v11, v29 :: v_dual_fmac_f32 v54, v12, v30
	s_waitcnt lgkmcnt(0)
	v_lshrrev_b32_e32 v18, 16, v10
	v_dual_fmac_f32 v51, v60, v43 :: v_dual_and_b32 v10, 0xffff, v10
	v_and_b32_e32 v17, 0xffff, v9
	v_lshrrev_b32_e32 v9, 16, v9
	;;#ASMSTART
	v_cvt_f32_f16 v17, v17;
	;;#ASMEND
	;;#ASMSTART
	v_cvt_f32_f16 v9, v9;
	;;#ASMEND
	;; [unrolled: 3-line block ×8, first 2 shown]
	ds_load_b64 v[7:8], v71 offset:248
	v_fmac_f32_e32 v51, v42, v58
	v_fmac_f32_e32 v55, v17, v20
	v_dual_fmac_f32 v53, v9, v21 :: v_dual_fmac_f32 v54, v10, v22
	s_delay_alu instid0(VALU_DEP_3) | instskip(NEXT) | instid1(VALU_DEP_1)
	v_fmac_f32_e32 v51, v39, v56
	v_fmac_f32_e32 v51, v86, v40
	s_delay_alu instid0(VALU_DEP_1) | instskip(SKIP_3) | instid1(VALU_DEP_3)
	v_fmac_f32_e32 v51, v36, v37
	s_waitcnt lgkmcnt(0)
	v_and_b32_e32 v9, 0xffff, v7
	v_lshrrev_b32_e32 v7, 16, v7
	v_fmac_f32_e32 v51, v25, v32
	;;#ASMSTART
	v_cvt_f32_f16 v9, v9;
	;;#ASMEND
	;;#ASMSTART
	v_cvt_f32_f16 v7, v7;
	;;#ASMEND
	;; [unrolled: 3-line block ×4, first 2 shown]
	v_fmac_f32_e32 v55, v9, v3
	v_fmac_f32_e32 v53, v7, v11
	v_lshrrev_b32_e32 v10, 16, v8
	v_and_b32_e32 v8, 0xffff, v8
	;;#ASMSTART
	v_cvt_f32_f16 v3, v8;
	;;#ASMEND
	v_fmac_f32_e32 v51, v18, v23
	;;#ASMSTART
	v_cvt_f32_f16 v7, v10;
	;;#ASMEND
	;;#ASMSTART
	v_cvt_f32_f16 v4, v4;
	;;#ASMEND
	v_fmac_f32_e32 v54, v3, v4
	v_add_f32_e32 v3, v55, v53
	;;#ASMSTART
	v_cvt_f32_f16 v4, v13;
	;;#ASMEND
	v_fmac_f32_e32 v51, v7, v4
	v_cndmask_b32_e64 v4, v68, v74, s1
	s_delay_alu instid0(VALU_DEP_1) | instskip(NEXT) | instid1(VALU_DEP_1)
	v_dual_add_f32 v3, v3, v54 :: v_dual_lshlrev_b32 v4, 2, v4
	v_add_f32_e32 v3, v51, v3
	ds_bpermute_b32 v4, v4, v3
	s_and_saveexec_b32 s45, vcc_lo
	s_cbranch_execz .LBB100_11
; %bb.17:                               ;   in Loop: Header=BB100_13 Depth=1
	s_waitcnt lgkmcnt(0)
	v_add_f32_e32 v3, v3, v4
	v_add_nc_u32_e32 v7, v75, v72
	s_delay_alu instid0(VALU_DEP_1) | instskip(NEXT) | instid1(VALU_DEP_1)
	v_cvt_f32_i32_e32 v7, v7
	v_mul_f32_e32 v7, s39, v7
	s_delay_alu instid0(VALU_DEP_1) | instskip(NEXT) | instid1(VALU_DEP_1)
	v_cndmask_b32_e64 v4, 0, v7, s0
	v_dual_max_f32 v7, v69, v69 :: v_dual_fmac_f32 v4, s35, v3
	v_add_nc_u32_e32 v3, v70, v72
	s_delay_alu instid0(VALU_DEP_2) | instskip(NEXT) | instid1(VALU_DEP_2)
	v_max_f32_e32 v7, v7, v4
	v_cmp_gt_i32_e64 s1, s33, v3
	s_delay_alu instid0(VALU_DEP_1) | instskip(NEXT) | instid1(VALU_DEP_3)
	v_cndmask_b32_e64 v3, 0, v4, s1
	v_cndmask_b32_e64 v69, v69, v7, s1
	ds_store_b32 v76, v3
	s_branch .LBB100_11
.LBB100_18:
	s_or_b32 exec_lo, exec_lo, s43
.LBB100_19:
	s_delay_alu instid0(SALU_CYCLE_1) | instskip(SKIP_4) | instid1(VALU_DEP_4)
	s_or_b32 exec_lo, exec_lo, s41
	v_xor_b32_e32 v1, 16, v68
	v_xor_b32_e32 v2, 8, v68
	v_and_b32_e32 v10, 31, v0
	v_lshlrev_b32_e32 v9, 2, v65
	v_cmp_gt_i32_e32 vcc_lo, 32, v1
	v_cndmask_b32_e32 v1, v68, v1, vcc_lo
	v_cmp_gt_i32_e32 vcc_lo, 32, v2
	s_delay_alu instid0(VALU_DEP_2)
	v_dual_cndmask_b32 v2, v68, v2 :: v_dual_lshlrev_b32 v3, 2, v1
	s_waitcnt lgkmcnt(0)
	v_max_f32_e32 v4, v69, v69
	ds_bpermute_b32 v1, v3, v69
	v_lshlrev_b32_e32 v7, 2, v2
	s_waitcnt lgkmcnt(0)
	v_max_f32_e32 v1, v1, v1
	s_delay_alu instid0(VALU_DEP_1) | instskip(SKIP_1) | instid1(VALU_DEP_1)
	v_max_f32_e32 v1, v4, v1
	v_xor_b32_e32 v4, 4, v68
	v_cmp_gt_i32_e32 vcc_lo, 32, v4
	v_cndmask_b32_e32 v4, v68, v4, vcc_lo
	s_delay_alu instid0(VALU_DEP_1) | instskip(SKIP_2) | instid1(VALU_DEP_1)
	v_lshlrev_b32_e32 v8, 2, v4
	ds_bpermute_b32 v2, v7, v1
	v_xor_b32_e32 v4, 2, v68
	v_cmp_gt_i32_e32 vcc_lo, 32, v4
	v_cndmask_b32_e32 v4, v68, v4, vcc_lo
	v_cmp_eq_u32_e32 vcc_lo, 0, v10
	s_waitcnt lgkmcnt(0)
	v_max_f32_e32 v2, v2, v2
	s_delay_alu instid0(VALU_DEP_1) | instskip(SKIP_3) | instid1(VALU_DEP_1)
	v_max_f32_e32 v1, v1, v2
	ds_bpermute_b32 v2, v8, v1
	s_waitcnt lgkmcnt(0)
	v_max_f32_e32 v2, v2, v2
	v_dual_max_f32 v1, v1, v2 :: v_dual_lshlrev_b32 v2, 2, v4
	ds_bpermute_b32 v4, v2, v1
	s_and_saveexec_b32 s0, vcc_lo
	s_cbranch_execz .LBB100_21
; %bb.20:
	s_waitcnt lgkmcnt(0)
	v_dual_max_f32 v4, v4, v4 :: v_dual_max_f32 v1, v1, v1
	s_delay_alu instid0(VALU_DEP_1)
	v_max_f32_e32 v1, v1, v4
	ds_store_b32 v9, v1 offset:512
.LBB100_21:
	s_or_b32 exec_lo, exec_lo, s0
	v_cmp_gt_u32_e64 s0, 4, v10
	v_dual_mov_b32 v1, 0xff7fffff :: v_dual_lshlrev_b32 v12, 2, v10
	s_waitcnt lgkmcnt(0)
	s_barrier
	buffer_gl0_inv
	s_and_saveexec_b32 s1, s0
	s_cbranch_execz .LBB100_23
; %bb.22:
	ds_load_b32 v1, v12 offset:512
.LBB100_23:
	s_or_b32 exec_lo, exec_lo, s1
	s_waitcnt lgkmcnt(0)
	ds_bpermute_b32 v4, v2, v1
	v_xor_b32_e32 v11, 1, v68
	v_max_f32_e32 v1, v1, v1
	v_mov_b32_e32 v13, 0
	s_delay_alu instid0(VALU_DEP_3) | instskip(NEXT) | instid1(VALU_DEP_1)
	v_cmp_gt_i32_e64 s1, 32, v11
	v_cndmask_b32_e64 v11, v68, v11, s1
	s_sub_i32 s1, s34, s40
	s_delay_alu instid0(SALU_CYCLE_1) | instskip(NEXT) | instid1(VALU_DEP_1)
	s_lshl_b32 s1, s1, 4
	v_lshlrev_b32_e32 v11, 2, v11
	s_add_i32 s1, s1, s15
	s_delay_alu instid0(SALU_CYCLE_1) | instskip(SKIP_3) | instid1(SALU_CYCLE_1)
	s_min_i32 s1, s1, s33
	s_waitcnt lgkmcnt(0)
	v_max_f32_e32 v4, v4, v4
	s_sub_i32 s7, s1, s15
	v_cmp_gt_i32_e64 s1, s7, v0
	s_delay_alu instid0(VALU_DEP_2) | instskip(SKIP_3) | instid1(VALU_DEP_1)
	v_max_f32_e32 v1, v1, v4
	ds_bpermute_b32 v4, v11, v1
	s_waitcnt lgkmcnt(0)
	v_max_f32_e32 v4, v4, v4
	v_max_f32_e32 v1, v1, v4
	v_lshl_add_u32 v4, v0, 2, 0x220
	ds_bpermute_b32 v1, v13, v1
	s_and_saveexec_b32 s15, s1
	s_cbranch_execz .LBB100_27
; %bb.24:
	v_lshl_add_u32 v14, v0, 2, 0x220
	v_mov_b32_e32 v13, 0
	v_mov_b32_e32 v15, v0
	s_mov_b32 s35, 0
	.p2align	6
.LBB100_25:                             ; =>This Inner Loop Header: Depth=1
	ds_load_b32 v16, v14
	v_add_nc_u32_e32 v15, 0x80, v15
	s_delay_alu instid0(VALU_DEP_1) | instskip(NEXT) | instid1(VALU_DEP_1)
	v_cmp_le_i32_e64 s4, s7, v15
	s_or_b32 s35, s4, s35
	s_waitcnt lgkmcnt(0)
	v_sub_f32_e32 v16, v16, v1
	s_delay_alu instid0(VALU_DEP_1) | instskip(NEXT) | instid1(VALU_DEP_1)
	v_mul_f32_e32 v16, 0x3fb8aa3b, v16
	v_exp_f32_e32 v16, v16
	ds_store_b32 v14, v16
	v_dual_add_f32 v13, v13, v16 :: v_dual_add_nc_u32 v14, 0x200, v14
	s_and_not1_b32 exec_lo, exec_lo, s35
	s_cbranch_execnz .LBB100_25
; %bb.26:
	s_or_b32 exec_lo, exec_lo, s35
.LBB100_27:
	s_delay_alu instid0(SALU_CYCLE_1)
	s_or_b32 exec_lo, exec_lo, s15
	ds_bpermute_b32 v3, v3, v13
	s_waitcnt lgkmcnt(0)
	v_add_f32_e32 v3, v13, v3
	ds_bpermute_b32 v7, v7, v3
	s_waitcnt lgkmcnt(0)
	v_add_f32_e32 v3, v3, v7
	;; [unrolled: 3-line block ×5, first 2 shown]
	s_and_saveexec_b32 s4, vcc_lo
	s_cbranch_execz .LBB100_29
; %bb.28:
	ds_store_b32 v9, v3 offset:528
.LBB100_29:
	s_or_b32 exec_lo, exec_lo, s4
	s_waitcnt lgkmcnt(0)
	s_barrier
	buffer_gl0_inv
	s_and_saveexec_b32 s4, s0
	s_cbranch_execz .LBB100_31
; %bb.30:
	ds_load_b32 v3, v12 offset:528
.LBB100_31:
	s_or_b32 exec_lo, exec_lo, s4
	s_waitcnt lgkmcnt(0)
	ds_bpermute_b32 v2, v2, v3
	s_waitcnt lgkmcnt(0)
	v_add_f32_e32 v2, v3, v2
	ds_bpermute_b32 v3, v11, v2
	s_waitcnt lgkmcnt(0)
	v_dual_add_f32 v2, v2, v3 :: v_dual_mov_b32 v3, 0
	ds_bpermute_b32 v2, v3, v2
	s_and_saveexec_b32 s0, s1
	s_cbranch_execz .LBB100_34
; %bb.32:
	s_waitcnt lgkmcnt(0)
	v_add_f32_e32 v3, 0x358637bd, v2
	s_mov_b32 s1, 0
	s_delay_alu instid0(VALU_DEP_1) | instskip(NEXT) | instid1(VALU_DEP_1)
	v_div_scale_f32 v7, null, v3, v3, 1.0
	v_rcp_f32_e32 v8, v7
	s_waitcnt_depctr 0xfff
	v_fma_f32 v9, -v7, v8, 1.0
	s_delay_alu instid0(VALU_DEP_1) | instskip(SKIP_1) | instid1(VALU_DEP_1)
	v_fmac_f32_e32 v8, v9, v8
	v_div_scale_f32 v12, vcc_lo, 1.0, v3, 1.0
	v_mul_f32_e32 v9, v12, v8
	s_delay_alu instid0(VALU_DEP_1) | instskip(NEXT) | instid1(VALU_DEP_1)
	v_fma_f32 v13, -v7, v9, v12
	v_fmac_f32_e32 v9, v13, v8
	s_delay_alu instid0(VALU_DEP_1) | instskip(NEXT) | instid1(VALU_DEP_1)
	v_fma_f32 v7, -v7, v9, v12
	v_div_fmas_f32 v7, v7, v8, v9
	s_delay_alu instid0(VALU_DEP_1)
	v_div_fixup_f32 v3, v7, v3, 1.0
	v_mov_b32_e32 v7, v0
.LBB100_33:                             ; =>This Inner Loop Header: Depth=1
	ds_load_b32 v8, v4
	s_waitcnt lgkmcnt(0)
	v_dual_mul_f32 v8, v3, v8 :: v_dual_add_nc_u32 v7, 0x80, v7
	s_delay_alu instid0(VALU_DEP_1) | instskip(SKIP_3) | instid1(SALU_CYCLE_1)
	v_cmp_le_i32_e32 vcc_lo, s7, v7
	ds_store_b32 v4, v8
	v_add_nc_u32_e32 v4, 0x200, v4
	s_or_b32 s1, vcc_lo, s1
	s_and_not1_b32 exec_lo, exec_lo, s1
	s_cbranch_execnz .LBB100_33
.LBB100_34:
	s_or_b32 exec_lo, exec_lo, s0
	s_mul_i32 s0, s8, s14
	s_waitcnt lgkmcnt(0)
	s_mul_i32 s14, s0, s13
	s_mov_b32 s0, exec_lo
	s_barrier
	buffer_gl0_inv
	v_cmpx_eq_u32_e32 0, v0
	s_cbranch_execz .LBB100_36
; %bb.35:
	s_ashr_i32 s15, s14, 31
	s_mul_i32 s42, s8, s24
	s_lshl_b64 s[40:41], s[14:15], 2
	v_mov_b32_e32 v3, 0
	s_add_u32 s1, s18, s40
	s_addc_u32 s4, s19, s41
	s_ashr_i32 s43, s42, 31
	s_delay_alu instid0(SALU_CYCLE_1) | instskip(NEXT) | instid1(SALU_CYCLE_1)
	s_lshl_b64 s[18:19], s[42:43], 2
	s_add_u32 s1, s1, s18
	s_addc_u32 s4, s4, s19
	s_ashr_i32 s13, s12, 31
	s_delay_alu instid0(SALU_CYCLE_1) | instskip(NEXT) | instid1(SALU_CYCLE_1)
	s_lshl_b64 s[42:43], s[12:13], 2
	s_add_u32 s44, s1, s42
	s_addc_u32 s45, s4, s43
	s_add_u32 s1, s16, s40
	s_addc_u32 s4, s17, s41
	s_add_u32 s1, s1, s18
	s_addc_u32 s4, s4, s19
	s_add_u32 s16, s1, s42
	s_addc_u32 s17, s4, s43
	s_clause 0x1
	global_store_b32 v3, v1, s[44:45]
	global_store_b32 v3, v2, s[16:17]
.LBB100_36:
	s_or_b32 exec_lo, exec_lo, s0
	v_dual_mov_b32 v27, 0 :: v_dual_mov_b32 v26, 0
	v_dual_mov_b32 v25, 0 :: v_dual_mov_b32 v24, 0
	;; [unrolled: 1-line block ×8, first 2 shown]
	s_mov_b32 s4, 0
	s_and_saveexec_b32 s1, s3
	s_cbranch_execz .LBB100_74
; %bb.37:
	s_ashr_i32 s7, s6, 31
	s_sub_i32 s3, s38, s9
	s_lshl_b64 s[6:7], s[6:7], 1
	v_dual_mov_b32 v12, 0 :: v_dual_and_b32 v3, 0xf8, v67
	s_add_u32 s6, s30, s6
	s_addc_u32 s7, s31, s7
	s_abs_i32 s9, s10
	s_delay_alu instid0(VALU_DEP_1)
	v_or_b32_e32 v15, 0xd00, v3
	v_cvt_f32_u32_e32 v1, s9
	s_sub_i32 s0, 0, s9
	v_or_b32_e32 v7, 0x800, v3
	v_or_b32_e32 v8, 0x900, v3
	;; [unrolled: 1-line block ×3, first 2 shown]
	v_rcp_iflag_f32_e32 v4, v1
	v_lshlrev_b64 v[1:2], 2, v[5:6]
	v_lshlrev_b32_e32 v6, 5, v64
	v_or_b32_e32 v13, 0xb00, v3
	v_or_b32_e32 v14, 0xc00, v3
	;; [unrolled: 1-line block ×4, first 2 shown]
	v_dual_mov_b32 v23, 0 :: v_dual_lshlrev_b32 v36, 1, v15
	s_delay_alu instid0(TRANS32_DEP_1)
	v_dual_mul_f32 v4, 0x4f7ffffe, v4 :: v_dual_lshlrev_b32 v29, 1, v3
	v_mov_b32_e32 v15, 0
	v_lshl_or_b32 v6, v65, 6, v6
	s_lshl_b64 s[18:19], s[28:29], 2
	s_add_i32 s37, s37, -1
	v_cvt_u32_f32_e32 v4, v4
	v_and_b32_e32 v28, 8, v67
	v_add_nc_u32_e32 v30, 0x220, v6
	v_lshlrev_b32_e32 v31, 1, v7
	v_dual_mov_b32 v19, 0 :: v_dual_lshlrev_b32 v32, 1, v8
	v_mul_lo_u32 v18, s0, v4
	s_add_u32 s0, s26, s18
	s_addc_u32 s17, s27, s19
	v_add_co_u32 v6, vcc_lo, s0, v1
	v_lshlrev_b32_e32 v33, 1, v9
	v_dual_mov_b32 v21, 0 :: v_dual_lshlrev_b32 v34, 1, v13
	s_delay_alu instid0(VALU_DEP_4)
	v_mul_hi_u32 v3, v4, v18
	v_dual_mov_b32 v18, 0 :: v_dual_lshlrev_b32 v35, 1, v14
	v_add_co_ci_u32_e32 v7, vcc_lo, s17, v2, vcc_lo
	v_dual_mov_b32 v25, 0 :: v_dual_lshlrev_b32 v38, 1, v16
	v_dual_mov_b32 v22, 0 :: v_dual_lshlrev_b32 v39, 1, v17
	v_dual_mov_b32 v20, 0 :: v_dual_add_nc_u32 v37, v4, v3
	v_dual_mov_b32 v13, 0 :: v_dual_mov_b32 v14, 0
	v_dual_mov_b32 v16, 0 :: v_dual_mov_b32 v17, 0
	v_dual_mov_b32 v24, 0 :: v_dual_mov_b32 v27, 0
	v_mov_b32_e32 v26, 0
	s_mov_b32 s10, s33
	s_mov_b32 s13, s33
	s_mov_b32 s15, s33
	s_mov_b32 s16, s33
	s_mov_b32 s17, s33
	s_mov_b32 s18, s33
	s_mov_b32 s19, s33
	s_branch .LBB100_40
.LBB100_38:                             ;   in Loop: Header=BB100_40 Depth=1
	s_or_b32 exec_lo, exec_lo, s0
	v_dual_add_f32 v41, v82, v83 :: v_dual_add_f32 v42, v80, v81
	v_add_f32_e32 v40, v54, v55
	s_waitcnt vmcnt(0)
	;;#ASMSTART
	v_pk_mul_f16 v1, v49, v1;

	;;#ASMEND
	;;#ASMSTART
	v_pk_mul_f16 v2, v48, v2;

	;;#ASMEND
	;;#ASMSTART
	v_pk_mul_f16 v3, v47, v3;

	;;#ASMEND
	v_add_f32_e32 v15, v15, v42
	v_dual_add_f32 v13, v13, v40 :: v_dual_add_f32 v40, v74, v75
	v_add_f32_e32 v42, v62, v67
	v_dual_add_f32 v8, v8, v9 :: v_dual_add_f32 v9, v70, v71
	;;#ASMSTART
	v_pk_mul_f16 v4, v45, v4;

	;;#ASMEND
	s_delay_alu instid0(VALU_DEP_3)
	v_add_f32_e32 v18, v18, v40
	v_add_f32_e32 v40, v72, v73
	;;#ASMSTART
	v_pk_add_f16 v1, v1, v2;

	;;#ASMEND
	v_dual_add_f32 v43, v78, v79 :: v_dual_add_f32 v50, v76, v77
	v_add_f32_e32 v14, v14, v41
	v_add_f32_e32 v41, v68, v69
	;; [unrolled: 1-line block ×4, first 2 shown]
	v_dual_add_f32 v17, v17, v50 :: v_dual_add_f32 v20, v20, v8
	;;#ASMSTART
	v_pk_add_f16 v1, v1, v3;

	;;#ASMEND
	v_add_f32_e32 v3, v58, v59
	;;#ASMSTART
	v_pk_add_f16 v1, v1, v4;

	;;#ASMEND
	v_and_b32_e32 v2, 0xffff, v1
	v_lshrrev_b32_e32 v1, 16, v1
	;;#ASMSTART
	v_cvt_f32_f16 v2, v2;
	;;#ASMEND
	;;#ASMSTART
	v_cvt_f32_f16 v1, v1;
	;;#ASMEND
	v_dual_add_f32 v22, v22, v41 :: v_dual_add_f32 v9, v44, v46
	v_dual_add_f32 v8, v60, v61 :: v_dual_add_f32 v25, v25, v3
	v_add_f32_e32 v4, v56, v57
	v_dual_add_f32 v1, v2, v1 :: v_dual_add_f32 v16, v16, v43
	v_add_f32_e32 v19, v19, v40
	s_delay_alu instid0(VALU_DEP_4) | instskip(NEXT) | instid1(VALU_DEP_4)
	v_add_f32_e32 v24, v24, v8
	v_dual_add_f32 v26, v26, v4 :: v_dual_add_f32 v27, v27, v9
	s_delay_alu instid0(VALU_DEP_4)
	v_add_f32_e32 v12, v12, v1
.LBB100_39:                             ;   in Loop: Header=BB100_40 Depth=1
	s_or_b32 exec_lo, exec_lo, s24
	v_add_nc_u32_e32 v5, 4, v5
	v_add_co_u32 v6, s0, v6, 16
	s_delay_alu instid0(VALU_DEP_1) | instskip(NEXT) | instid1(VALU_DEP_3)
	v_add_co_ci_u32_e64 v7, s0, 0, v7, s0
	v_cmp_le_i32_e32 vcc_lo, s34, v5
	v_add_nc_u32_e32 v66, 64, v66
	v_add_nc_u32_e32 v30, 0x100, v30
	s_or_b32 s4, vcc_lo, s4
	s_delay_alu instid0(SALU_CYCLE_1)
	s_and_not1_b32 exec_lo, exec_lo, s4
	s_cbranch_execz .LBB100_73
.LBB100_40:                             ; =>This Inner Loop Header: Depth=1
	v_sub_nc_u32_e32 v1, 0, v66
	s_delay_alu instid0(VALU_DEP_1) | instskip(NEXT) | instid1(VALU_DEP_1)
	v_max_i32_e32 v1, v66, v1
	v_mul_hi_u32 v2, v1, s25
	s_delay_alu instid0(VALU_DEP_1) | instskip(NEXT) | instid1(VALU_DEP_1)
	v_mul_lo_u32 v3, v2, s21
	v_sub_nc_u32_e32 v1, v1, v3
	v_add_nc_u32_e32 v3, 1, v2
	s_delay_alu instid0(VALU_DEP_2) | instskip(SKIP_1) | instid1(VALU_DEP_2)
	v_subrev_nc_u32_e32 v4, s21, v1
	v_cmp_le_u32_e32 vcc_lo, s21, v1
	v_dual_cndmask_b32 v2, v2, v3 :: v_dual_cndmask_b32 v1, v1, v4
	v_ashrrev_i32_e32 v3, 31, v66
	s_delay_alu instid0(VALU_DEP_2) | instskip(NEXT) | instid1(VALU_DEP_3)
	v_add_nc_u32_e32 v4, 1, v2
	v_cmp_le_u32_e32 vcc_lo, s21, v1
	s_delay_alu instid0(VALU_DEP_3) | instskip(NEXT) | instid1(VALU_DEP_3)
	v_xor_b32_e32 v3, s11, v3
	v_cndmask_b32_e32 v1, v2, v4, vcc_lo
	s_delay_alu instid0(VALU_DEP_1) | instskip(NEXT) | instid1(VALU_DEP_1)
	v_xor_b32_e32 v1, v1, v3
	v_sub_nc_u32_e32 v1, v1, v3
	s_delay_alu instid0(VALU_DEP_1) | instskip(SKIP_1) | instid1(VALU_DEP_2)
	v_add_nc_u32_e32 v2, s36, v1
	v_cmp_lt_i32_e64 s0, s3, v1
	v_sub_nc_u32_e32 v3, 0, v2
	s_delay_alu instid0(VALU_DEP_1) | instskip(NEXT) | instid1(VALU_DEP_1)
	v_max_i32_e32 v3, v2, v3
	v_mul_hi_u32 v4, v3, v37
	s_delay_alu instid0(VALU_DEP_1) | instskip(NEXT) | instid1(VALU_DEP_1)
	v_mul_lo_u32 v4, v4, s9
	v_sub_nc_u32_e32 v3, v3, v4
	s_delay_alu instid0(VALU_DEP_1) | instskip(SKIP_1) | instid1(VALU_DEP_2)
	v_subrev_nc_u32_e32 v4, s9, v3
	v_cmp_le_u32_e32 vcc_lo, s9, v3
	v_cndmask_b32_e32 v3, v3, v4, vcc_lo
	v_ashrrev_i32_e32 v2, 31, v2
	s_delay_alu instid0(VALU_DEP_2) | instskip(SKIP_1) | instid1(VALU_DEP_2)
	v_subrev_nc_u32_e32 v4, s9, v3
	v_cmp_le_u32_e32 vcc_lo, s9, v3
	v_cndmask_b32_e32 v3, v3, v4, vcc_lo
	s_delay_alu instid0(VALU_DEP_1) | instskip(NEXT) | instid1(VALU_DEP_1)
	v_xor_b32_e32 v3, v3, v2
	v_sub_nc_u32_e32 v2, v3, v2
	s_delay_alu instid0(VALU_DEP_1) | instskip(SKIP_1) | instid1(SALU_CYCLE_1)
	v_cmp_eq_u32_e32 vcc_lo, 0, v2
	s_or_b32 s0, vcc_lo, s0
	s_and_saveexec_b32 s24, s0
	s_cbranch_execz .LBB100_39
; %bb.41:                               ;   in Loop: Header=BB100_40 Depth=1
	global_load_b32 v40, v[6:7], off
	ds_load_2addr_b64 v[1:4], v30 offset1:1
	s_waitcnt vmcnt(0)
	v_mad_i64_i32 v[8:9], null, v40, s5, 0
	ds_load_2addr_b64 v[40:43], v30 offset0:2 offset1:3
	s_waitcnt lgkmcnt(1)
	;;#ASMSTART
	v_cvt_f16_f32 v46, v1;

	;;#ASMEND
	;;#ASMSTART
	v_cvt_f16_f32 v44, v2;

	;;#ASMEND
	;; [unrolled: 4-line block ×4, first 2 shown]
	s_waitcnt lgkmcnt(0)
	;;#ASMSTART
	v_cvt_f16_f32 v48, v40;

	;;#ASMEND
	v_lshlrev_b64 v[8:9], 1, v[8:9]
	;;#ASMSTART
	v_cvt_f16_f32 v56, v41;

	;;#ASMEND
	;;#ASMSTART
	v_cvt_f16_f32 v49, v42;

	;;#ASMEND
	;; [unrolled: 4-line block ×3, first 2 shown]
	v_add_nc_u32_e32 v40, v28, v66
	s_delay_alu instid0(VALU_DEP_2) | instskip(SKIP_1) | instid1(VALU_DEP_3)
	v_add_co_u32 v54, vcc_lo, s6, v8
	v_add_co_ci_u32_e32 v55, vcc_lo, s7, v9, vcc_lo
	v_add_nc_u32_e32 v41, 1, v40
	s_delay_alu instid0(VALU_DEP_3) | instskip(NEXT) | instid1(VALU_DEP_3)
	v_add_co_u32 v8, vcc_lo, v54, v29
	v_add_co_ci_u32_e32 v9, vcc_lo, 0, v55, vcc_lo
	v_cmp_eq_u32_e32 vcc_lo, s37, v5
	v_or_b32_e32 v43, 3, v40
	v_or_b32_e32 v42, 2, v40
	global_load_b128 v[1:4], v[8:9], off
	v_or_b32_e32 v51, 5, v40
	v_or_b32_e32 v50, 4, v40
	v_or_b32_e32 v52, 7, v40
	v_or_b32_e32 v53, 6, v40
	s_and_saveexec_b32 s26, vcc_lo
	s_cbranch_execz .LBB100_43
; %bb.42:                               ;   in Loop: Header=BB100_40 Depth=1
	s_delay_alu instid0(VALU_DEP_1)
	v_cmp_gt_i32_e64 s0, s18, v53
	s_waitcnt vmcnt(0)
	v_lshrrev_b32_e32 v58, 16, v4
	v_lshrrev_b32_e32 v59, 16, v3
	;; [unrolled: 1-line block ×4, first 2 shown]
	v_cndmask_b32_e64 v4, 0, v4, s0
	v_cmp_gt_i32_e64 s0, s19, v52
	s_delay_alu instid0(VALU_DEP_1) | instskip(SKIP_1) | instid1(VALU_DEP_2)
	v_cndmask_b32_e64 v58, 0, v58, s0
	v_cmp_gt_i32_e64 s0, s17, v51
	v_perm_b32 v4, v58, v4, 0x5040100
	s_delay_alu instid0(VALU_DEP_2) | instskip(SKIP_1) | instid1(VALU_DEP_1)
	v_cndmask_b32_e64 v59, 0, v59, s0
	v_cmp_gt_i32_e64 s0, s16, v50
	v_cndmask_b32_e64 v3, 0, v3, s0
	v_cmp_gt_i32_e64 s0, s15, v43
	s_delay_alu instid0(VALU_DEP_2) | instskip(NEXT) | instid1(VALU_DEP_2)
	v_perm_b32 v3, v59, v3, 0x5040100
	v_cndmask_b32_e64 v60, 0, v60, s0
	v_cmp_gt_i32_e64 s0, s13, v42
	s_delay_alu instid0(VALU_DEP_1) | instskip(SKIP_1) | instid1(VALU_DEP_2)
	v_cndmask_b32_e64 v2, 0, v2, s0
	v_cmp_gt_i32_e64 s0, s10, v41
	v_perm_b32 v2, v60, v2, 0x5040100
	s_delay_alu instid0(VALU_DEP_2) | instskip(SKIP_1) | instid1(VALU_DEP_1)
	v_cndmask_b32_e64 v61, 0, v61, s0
	v_cmp_gt_i32_e64 s0, s33, v40
	v_cndmask_b32_e64 v1, 0, v1, s0
	s_delay_alu instid0(VALU_DEP_1)
	v_perm_b32 v1, v61, v1, 0x5040100
.LBB100_43:                             ;   in Loop: Header=BB100_40 Depth=1
	s_or_b32 exec_lo, exec_lo, s26
	v_and_b32_e32 v46, 0xffff, v46
	v_and_b32_e32 v47, 0xffff, v47
	;; [unrolled: 1-line block ×4, first 2 shown]
	s_delay_alu instid0(VALU_DEP_4)
	v_lshl_or_b32 v49, v44, 16, v46
	s_waitcnt vmcnt(0)
	;;#ASMSTART
	v_pk_mul_f16 v1, v49, v1;

	;;#ASMEND
	v_lshl_or_b32 v48, v45, 16, v47
	v_lshl_or_b32 v47, v56, 16, v58
	;; [unrolled: 1-line block ×3, first 2 shown]
	;;#ASMSTART
	v_pk_mul_f16 v2, v48, v2;

	;;#ASMEND
	;;#ASMSTART
	v_pk_mul_f16 v3, v47, v3;

	;;#ASMEND
	;; [unrolled: 4-line block ×3, first 2 shown]
	;;#ASMSTART
	v_pk_add_f16 v1, v1, v2;

	;;#ASMEND
	;;#ASMSTART
	v_pk_add_f16 v1, v1, v3;

	;;#ASMEND
	;; [unrolled: 4-line block ×3, first 2 shown]
	v_and_b32_e32 v2, 0xffff, v1
	v_lshrrev_b32_e32 v1, 16, v1
	;;#ASMSTART
	v_cvt_f32_f16 v44, v2;
	;;#ASMEND
	;;#ASMSTART
	v_cvt_f32_f16 v46, v1;
	;;#ASMEND
	global_load_b128 v[1:4], v[8:9], off offset:512
	s_and_saveexec_b32 s26, vcc_lo
	s_cbranch_execz .LBB100_45
; %bb.44:                               ;   in Loop: Header=BB100_40 Depth=1
	v_cmp_gt_i32_e64 s0, s18, v53
	s_waitcnt vmcnt(0)
	v_lshrrev_b32_e32 v56, 16, v4
	v_lshrrev_b32_e32 v57, 16, v3
	;; [unrolled: 1-line block ×4, first 2 shown]
	v_cndmask_b32_e64 v4, 0, v4, s0
	v_cmp_gt_i32_e64 s0, s19, v52
	s_delay_alu instid0(VALU_DEP_1) | instskip(SKIP_1) | instid1(VALU_DEP_2)
	v_cndmask_b32_e64 v56, 0, v56, s0
	v_cmp_gt_i32_e64 s0, s17, v51
	v_perm_b32 v4, v56, v4, 0x5040100
	s_delay_alu instid0(VALU_DEP_2) | instskip(SKIP_1) | instid1(VALU_DEP_1)
	v_cndmask_b32_e64 v57, 0, v57, s0
	v_cmp_gt_i32_e64 s0, s16, v50
	v_cndmask_b32_e64 v3, 0, v3, s0
	v_cmp_gt_i32_e64 s0, s15, v43
	s_delay_alu instid0(VALU_DEP_2) | instskip(NEXT) | instid1(VALU_DEP_2)
	v_perm_b32 v3, v57, v3, 0x5040100
	v_cndmask_b32_e64 v58, 0, v58, s0
	v_cmp_gt_i32_e64 s0, s13, v42
	s_delay_alu instid0(VALU_DEP_1) | instskip(SKIP_1) | instid1(VALU_DEP_2)
	v_cndmask_b32_e64 v2, 0, v2, s0
	v_cmp_gt_i32_e64 s0, s10, v41
	v_perm_b32 v2, v58, v2, 0x5040100
	s_delay_alu instid0(VALU_DEP_2) | instskip(SKIP_1) | instid1(VALU_DEP_1)
	v_cndmask_b32_e64 v59, 0, v59, s0
	v_cmp_gt_i32_e64 s0, s33, v40
	v_cndmask_b32_e64 v1, 0, v1, s0
	s_delay_alu instid0(VALU_DEP_1)
	v_perm_b32 v1, v59, v1, 0x5040100
.LBB100_45:                             ;   in Loop: Header=BB100_40 Depth=1
	s_or_b32 exec_lo, exec_lo, s26
	s_waitcnt vmcnt(0)
	;;#ASMSTART
	v_pk_mul_f16 v1, v49, v1;

	;;#ASMEND
	;;#ASMSTART
	v_pk_mul_f16 v2, v48, v2;

	;;#ASMEND
	;; [unrolled: 4-line block ×4, first 2 shown]
	;;#ASMSTART
	v_pk_add_f16 v1, v1, v2;

	;;#ASMEND
	;;#ASMSTART
	v_pk_add_f16 v1, v1, v3;

	;;#ASMEND
	;; [unrolled: 4-line block ×3, first 2 shown]
	v_and_b32_e32 v2, 0xffff, v1
	v_lshrrev_b32_e32 v1, 16, v1
	;;#ASMSTART
	v_cvt_f32_f16 v56, v2;
	;;#ASMEND
	;;#ASMSTART
	v_cvt_f32_f16 v57, v1;
	;;#ASMEND
	global_load_b128 v[1:4], v[8:9], off offset:1024
	s_and_saveexec_b32 s26, vcc_lo
	s_cbranch_execz .LBB100_47
; %bb.46:                               ;   in Loop: Header=BB100_40 Depth=1
	v_cmp_gt_i32_e64 s0, s18, v53
	s_waitcnt vmcnt(0)
	v_lshrrev_b32_e32 v58, 16, v4
	v_lshrrev_b32_e32 v59, 16, v3
	;; [unrolled: 1-line block ×4, first 2 shown]
	v_cndmask_b32_e64 v4, 0, v4, s0
	v_cmp_gt_i32_e64 s0, s19, v52
	s_delay_alu instid0(VALU_DEP_1) | instskip(SKIP_1) | instid1(VALU_DEP_2)
	v_cndmask_b32_e64 v58, 0, v58, s0
	v_cmp_gt_i32_e64 s0, s17, v51
	v_perm_b32 v4, v58, v4, 0x5040100
	s_delay_alu instid0(VALU_DEP_2) | instskip(SKIP_1) | instid1(VALU_DEP_1)
	v_cndmask_b32_e64 v59, 0, v59, s0
	v_cmp_gt_i32_e64 s0, s16, v50
	v_cndmask_b32_e64 v3, 0, v3, s0
	v_cmp_gt_i32_e64 s0, s15, v43
	s_delay_alu instid0(VALU_DEP_2) | instskip(NEXT) | instid1(VALU_DEP_2)
	v_perm_b32 v3, v59, v3, 0x5040100
	v_cndmask_b32_e64 v60, 0, v60, s0
	v_cmp_gt_i32_e64 s0, s13, v42
	s_delay_alu instid0(VALU_DEP_1) | instskip(SKIP_1) | instid1(VALU_DEP_2)
	v_cndmask_b32_e64 v2, 0, v2, s0
	v_cmp_gt_i32_e64 s0, s10, v41
	v_perm_b32 v2, v60, v2, 0x5040100
	s_delay_alu instid0(VALU_DEP_2) | instskip(SKIP_1) | instid1(VALU_DEP_1)
	v_cndmask_b32_e64 v61, 0, v61, s0
	v_cmp_gt_i32_e64 s0, s33, v40
	v_cndmask_b32_e64 v1, 0, v1, s0
	s_delay_alu instid0(VALU_DEP_1)
	v_perm_b32 v1, v61, v1, 0x5040100
.LBB100_47:                             ;   in Loop: Header=BB100_40 Depth=1
	s_or_b32 exec_lo, exec_lo, s26
	s_waitcnt vmcnt(0)
	;;#ASMSTART
	v_pk_mul_f16 v1, v49, v1;

	;;#ASMEND
	;;#ASMSTART
	v_pk_mul_f16 v2, v48, v2;

	;;#ASMEND
	;; [unrolled: 4-line block ×4, first 2 shown]
	;;#ASMSTART
	v_pk_add_f16 v1, v1, v2;

	;;#ASMEND
	;;#ASMSTART
	v_pk_add_f16 v1, v1, v3;

	;;#ASMEND
	;; [unrolled: 4-line block ×3, first 2 shown]
	v_and_b32_e32 v2, 0xffff, v1
	v_lshrrev_b32_e32 v1, 16, v1
	;;#ASMSTART
	v_cvt_f32_f16 v58, v2;
	;;#ASMEND
	;;#ASMSTART
	v_cvt_f32_f16 v59, v1;
	;;#ASMEND
	global_load_b128 v[1:4], v[8:9], off offset:1536
	s_and_saveexec_b32 s26, vcc_lo
	s_cbranch_execz .LBB100_49
; %bb.48:                               ;   in Loop: Header=BB100_40 Depth=1
	v_cmp_gt_i32_e64 s0, s18, v53
	s_waitcnt vmcnt(0)
	v_lshrrev_b32_e32 v60, 16, v4
	v_lshrrev_b32_e32 v61, 16, v3
	;; [unrolled: 1-line block ×4, first 2 shown]
	v_cndmask_b32_e64 v4, 0, v4, s0
	v_cmp_gt_i32_e64 s0, s19, v52
	s_delay_alu instid0(VALU_DEP_1) | instskip(SKIP_1) | instid1(VALU_DEP_2)
	v_cndmask_b32_e64 v60, 0, v60, s0
	v_cmp_gt_i32_e64 s0, s17, v51
	v_perm_b32 v4, v60, v4, 0x5040100
	s_delay_alu instid0(VALU_DEP_2) | instskip(SKIP_1) | instid1(VALU_DEP_1)
	v_cndmask_b32_e64 v61, 0, v61, s0
	v_cmp_gt_i32_e64 s0, s16, v50
	v_cndmask_b32_e64 v3, 0, v3, s0
	v_cmp_gt_i32_e64 s0, s15, v43
	s_delay_alu instid0(VALU_DEP_2) | instskip(NEXT) | instid1(VALU_DEP_2)
	v_perm_b32 v3, v61, v3, 0x5040100
	v_cndmask_b32_e64 v62, 0, v62, s0
	v_cmp_gt_i32_e64 s0, s13, v42
	s_delay_alu instid0(VALU_DEP_1) | instskip(SKIP_1) | instid1(VALU_DEP_2)
	v_cndmask_b32_e64 v2, 0, v2, s0
	v_cmp_gt_i32_e64 s0, s10, v41
	v_perm_b32 v2, v62, v2, 0x5040100
	s_delay_alu instid0(VALU_DEP_2) | instskip(SKIP_1) | instid1(VALU_DEP_1)
	v_cndmask_b32_e64 v67, 0, v67, s0
	v_cmp_gt_i32_e64 s0, s33, v40
	v_cndmask_b32_e64 v1, 0, v1, s0
	s_delay_alu instid0(VALU_DEP_1)
	v_perm_b32 v1, v67, v1, 0x5040100
.LBB100_49:                             ;   in Loop: Header=BB100_40 Depth=1
	s_or_b32 exec_lo, exec_lo, s26
	s_waitcnt vmcnt(0)
	;;#ASMSTART
	v_pk_mul_f16 v1, v49, v1;

	;;#ASMEND
	;;#ASMSTART
	v_pk_mul_f16 v2, v48, v2;

	;;#ASMEND
	;; [unrolled: 4-line block ×4, first 2 shown]
	;;#ASMSTART
	v_pk_add_f16 v1, v1, v2;

	;;#ASMEND
	;;#ASMSTART
	v_pk_add_f16 v1, v1, v3;

	;;#ASMEND
	;; [unrolled: 4-line block ×3, first 2 shown]
	v_and_b32_e32 v2, 0xffff, v1
	v_lshrrev_b32_e32 v1, 16, v1
	;;#ASMSTART
	v_cvt_f32_f16 v60, v2;
	;;#ASMEND
	;;#ASMSTART
	v_cvt_f32_f16 v61, v1;
	;;#ASMEND
	global_load_b128 v[1:4], v[8:9], off offset:2048
	s_and_saveexec_b32 s26, vcc_lo
	s_cbranch_execz .LBB100_51
; %bb.50:                               ;   in Loop: Header=BB100_40 Depth=1
	v_cmp_gt_i32_e64 s0, s18, v53
	s_waitcnt vmcnt(0)
	v_lshrrev_b32_e32 v62, 16, v4
	v_lshrrev_b32_e32 v67, 16, v3
	;; [unrolled: 1-line block ×4, first 2 shown]
	v_cndmask_b32_e64 v4, 0, v4, s0
	v_cmp_gt_i32_e64 s0, s19, v52
	s_delay_alu instid0(VALU_DEP_1) | instskip(SKIP_1) | instid1(VALU_DEP_2)
	v_cndmask_b32_e64 v62, 0, v62, s0
	v_cmp_gt_i32_e64 s0, s17, v51
	v_perm_b32 v4, v62, v4, 0x5040100
	s_delay_alu instid0(VALU_DEP_2) | instskip(SKIP_1) | instid1(VALU_DEP_1)
	v_cndmask_b32_e64 v67, 0, v67, s0
	v_cmp_gt_i32_e64 s0, s16, v50
	v_cndmask_b32_e64 v3, 0, v3, s0
	v_cmp_gt_i32_e64 s0, s15, v43
	s_delay_alu instid0(VALU_DEP_2) | instskip(NEXT) | instid1(VALU_DEP_2)
	v_perm_b32 v3, v67, v3, 0x5040100
	v_cndmask_b32_e64 v68, 0, v68, s0
	v_cmp_gt_i32_e64 s0, s13, v42
	s_delay_alu instid0(VALU_DEP_1) | instskip(SKIP_1) | instid1(VALU_DEP_2)
	v_cndmask_b32_e64 v2, 0, v2, s0
	v_cmp_gt_i32_e64 s0, s10, v41
	v_perm_b32 v2, v68, v2, 0x5040100
	s_delay_alu instid0(VALU_DEP_2) | instskip(SKIP_1) | instid1(VALU_DEP_1)
	v_cndmask_b32_e64 v69, 0, v69, s0
	v_cmp_gt_i32_e64 s0, s33, v40
	v_cndmask_b32_e64 v1, 0, v1, s0
	s_delay_alu instid0(VALU_DEP_1)
	v_perm_b32 v1, v69, v1, 0x5040100
.LBB100_51:                             ;   in Loop: Header=BB100_40 Depth=1
	s_or_b32 exec_lo, exec_lo, s26
	s_waitcnt vmcnt(0)
	;;#ASMSTART
	v_pk_mul_f16 v1, v49, v1;

	;;#ASMEND
	;;#ASMSTART
	v_pk_mul_f16 v2, v48, v2;

	;;#ASMEND
	;; [unrolled: 4-line block ×4, first 2 shown]
	;;#ASMSTART
	v_pk_add_f16 v1, v1, v2;

	;;#ASMEND
	;;#ASMSTART
	v_pk_add_f16 v1, v1, v3;

	;;#ASMEND
	;;#ASMSTART
	v_pk_add_f16 v1, v1, v4;

	;;#ASMEND
	v_and_b32_e32 v2, 0xffff, v1
	v_lshrrev_b32_e32 v1, 16, v1
	;;#ASMSTART
	v_cvt_f32_f16 v62, v2;
	;;#ASMEND
	;;#ASMSTART
	v_cvt_f32_f16 v67, v1;
	;;#ASMEND
	global_load_b128 v[1:4], v[8:9], off offset:2560
	s_and_saveexec_b32 s26, vcc_lo
	s_cbranch_execz .LBB100_53
; %bb.52:                               ;   in Loop: Header=BB100_40 Depth=1
	v_cmp_gt_i32_e64 s0, s18, v53
	s_waitcnt vmcnt(0)
	v_lshrrev_b32_e32 v68, 16, v4
	v_lshrrev_b32_e32 v69, 16, v3
	;; [unrolled: 1-line block ×4, first 2 shown]
	v_cndmask_b32_e64 v4, 0, v4, s0
	v_cmp_gt_i32_e64 s0, s19, v52
	s_delay_alu instid0(VALU_DEP_1) | instskip(SKIP_1) | instid1(VALU_DEP_2)
	v_cndmask_b32_e64 v68, 0, v68, s0
	v_cmp_gt_i32_e64 s0, s17, v51
	v_perm_b32 v4, v68, v4, 0x5040100
	s_delay_alu instid0(VALU_DEP_2) | instskip(SKIP_1) | instid1(VALU_DEP_1)
	v_cndmask_b32_e64 v69, 0, v69, s0
	v_cmp_gt_i32_e64 s0, s16, v50
	v_cndmask_b32_e64 v3, 0, v3, s0
	v_cmp_gt_i32_e64 s0, s15, v43
	s_delay_alu instid0(VALU_DEP_2) | instskip(NEXT) | instid1(VALU_DEP_2)
	v_perm_b32 v3, v69, v3, 0x5040100
	v_cndmask_b32_e64 v70, 0, v70, s0
	v_cmp_gt_i32_e64 s0, s13, v42
	s_delay_alu instid0(VALU_DEP_1) | instskip(SKIP_1) | instid1(VALU_DEP_2)
	v_cndmask_b32_e64 v2, 0, v2, s0
	v_cmp_gt_i32_e64 s0, s10, v41
	v_perm_b32 v2, v70, v2, 0x5040100
	s_delay_alu instid0(VALU_DEP_2) | instskip(SKIP_1) | instid1(VALU_DEP_1)
	v_cndmask_b32_e64 v71, 0, v71, s0
	v_cmp_gt_i32_e64 s0, s33, v40
	v_cndmask_b32_e64 v1, 0, v1, s0
	s_delay_alu instid0(VALU_DEP_1)
	v_perm_b32 v1, v71, v1, 0x5040100
.LBB100_53:                             ;   in Loop: Header=BB100_40 Depth=1
	s_or_b32 exec_lo, exec_lo, s26
	s_waitcnt vmcnt(0)
	;;#ASMSTART
	v_pk_mul_f16 v1, v49, v1;

	;;#ASMEND
	;;#ASMSTART
	v_pk_mul_f16 v2, v48, v2;

	;;#ASMEND
	;; [unrolled: 4-line block ×4, first 2 shown]
	;;#ASMSTART
	v_pk_add_f16 v1, v1, v2;

	;;#ASMEND
	;;#ASMSTART
	v_pk_add_f16 v1, v1, v3;

	;;#ASMEND
	;; [unrolled: 4-line block ×3, first 2 shown]
	v_and_b32_e32 v2, 0xffff, v1
	v_lshrrev_b32_e32 v1, 16, v1
	;;#ASMSTART
	v_cvt_f32_f16 v68, v2;
	;;#ASMEND
	;;#ASMSTART
	v_cvt_f32_f16 v69, v1;
	;;#ASMEND
	global_load_b128 v[1:4], v[8:9], off offset:3072
	s_and_saveexec_b32 s26, vcc_lo
	s_cbranch_execz .LBB100_55
; %bb.54:                               ;   in Loop: Header=BB100_40 Depth=1
	v_cmp_gt_i32_e64 s0, s18, v53
	s_waitcnt vmcnt(0)
	v_lshrrev_b32_e32 v70, 16, v4
	v_lshrrev_b32_e32 v71, 16, v3
	v_lshrrev_b32_e32 v72, 16, v2
	v_lshrrev_b32_e32 v73, 16, v1
	v_cndmask_b32_e64 v4, 0, v4, s0
	v_cmp_gt_i32_e64 s0, s19, v52
	s_delay_alu instid0(VALU_DEP_1) | instskip(SKIP_1) | instid1(VALU_DEP_2)
	v_cndmask_b32_e64 v70, 0, v70, s0
	v_cmp_gt_i32_e64 s0, s17, v51
	v_perm_b32 v4, v70, v4, 0x5040100
	s_delay_alu instid0(VALU_DEP_2) | instskip(SKIP_1) | instid1(VALU_DEP_1)
	v_cndmask_b32_e64 v71, 0, v71, s0
	v_cmp_gt_i32_e64 s0, s16, v50
	v_cndmask_b32_e64 v3, 0, v3, s0
	v_cmp_gt_i32_e64 s0, s15, v43
	s_delay_alu instid0(VALU_DEP_2) | instskip(NEXT) | instid1(VALU_DEP_2)
	v_perm_b32 v3, v71, v3, 0x5040100
	v_cndmask_b32_e64 v72, 0, v72, s0
	v_cmp_gt_i32_e64 s0, s13, v42
	s_delay_alu instid0(VALU_DEP_1) | instskip(SKIP_1) | instid1(VALU_DEP_2)
	v_cndmask_b32_e64 v2, 0, v2, s0
	v_cmp_gt_i32_e64 s0, s10, v41
	v_perm_b32 v2, v72, v2, 0x5040100
	s_delay_alu instid0(VALU_DEP_2) | instskip(SKIP_1) | instid1(VALU_DEP_1)
	v_cndmask_b32_e64 v73, 0, v73, s0
	v_cmp_gt_i32_e64 s0, s33, v40
	v_cndmask_b32_e64 v1, 0, v1, s0
	s_delay_alu instid0(VALU_DEP_1)
	v_perm_b32 v1, v73, v1, 0x5040100
.LBB100_55:                             ;   in Loop: Header=BB100_40 Depth=1
	s_or_b32 exec_lo, exec_lo, s26
	s_waitcnt vmcnt(0)
	;;#ASMSTART
	v_pk_mul_f16 v1, v49, v1;

	;;#ASMEND
	;;#ASMSTART
	v_pk_mul_f16 v2, v48, v2;

	;;#ASMEND
	;;#ASMSTART
	v_pk_mul_f16 v3, v47, v3;

	;;#ASMEND
	;;#ASMSTART
	v_pk_mul_f16 v4, v45, v4;

	;;#ASMEND
	;;#ASMSTART
	v_pk_add_f16 v1, v1, v2;

	;;#ASMEND
	;;#ASMSTART
	v_pk_add_f16 v1, v1, v3;

	;;#ASMEND
	;;#ASMSTART
	v_pk_add_f16 v1, v1, v4;

	;;#ASMEND
	v_and_b32_e32 v2, 0xffff, v1
	v_lshrrev_b32_e32 v1, 16, v1
	;;#ASMSTART
	v_cvt_f32_f16 v70, v2;
	;;#ASMEND
	;;#ASMSTART
	v_cvt_f32_f16 v71, v1;
	;;#ASMEND
	global_load_b128 v[1:4], v[8:9], off offset:3584
	s_and_saveexec_b32 s26, vcc_lo
	s_cbranch_execz .LBB100_57
; %bb.56:                               ;   in Loop: Header=BB100_40 Depth=1
	v_cmp_gt_i32_e64 s0, s18, v53
	s_waitcnt vmcnt(0)
	v_lshrrev_b32_e32 v8, 16, v4
	v_lshrrev_b32_e32 v9, 16, v3
	;; [unrolled: 1-line block ×4, first 2 shown]
	v_cndmask_b32_e64 v4, 0, v4, s0
	v_cmp_gt_i32_e64 s0, s19, v52
	s_delay_alu instid0(VALU_DEP_1) | instskip(SKIP_1) | instid1(VALU_DEP_2)
	v_cndmask_b32_e64 v8, 0, v8, s0
	v_cmp_gt_i32_e64 s0, s17, v51
	v_perm_b32 v4, v8, v4, 0x5040100
	s_delay_alu instid0(VALU_DEP_2) | instskip(SKIP_1) | instid1(VALU_DEP_1)
	v_cndmask_b32_e64 v9, 0, v9, s0
	v_cmp_gt_i32_e64 s0, s16, v50
	v_cndmask_b32_e64 v3, 0, v3, s0
	v_cmp_gt_i32_e64 s0, s15, v43
	s_delay_alu instid0(VALU_DEP_2) | instskip(NEXT) | instid1(VALU_DEP_2)
	v_perm_b32 v3, v9, v3, 0x5040100
	v_cndmask_b32_e64 v72, 0, v72, s0
	v_cmp_gt_i32_e64 s0, s13, v42
	s_delay_alu instid0(VALU_DEP_1) | instskip(SKIP_1) | instid1(VALU_DEP_2)
	v_cndmask_b32_e64 v2, 0, v2, s0
	v_cmp_gt_i32_e64 s0, s10, v41
	v_perm_b32 v2, v72, v2, 0x5040100
	s_delay_alu instid0(VALU_DEP_2) | instskip(SKIP_1) | instid1(VALU_DEP_1)
	v_cndmask_b32_e64 v73, 0, v73, s0
	v_cmp_gt_i32_e64 s0, s33, v40
	v_cndmask_b32_e64 v1, 0, v1, s0
	s_delay_alu instid0(VALU_DEP_1)
	v_perm_b32 v1, v73, v1, 0x5040100
.LBB100_57:                             ;   in Loop: Header=BB100_40 Depth=1
	s_or_b32 exec_lo, exec_lo, s26
	s_waitcnt vmcnt(0)
	;;#ASMSTART
	v_pk_mul_f16 v1, v49, v1;

	;;#ASMEND
	;;#ASMSTART
	v_pk_mul_f16 v2, v48, v2;

	;;#ASMEND
	;; [unrolled: 4-line block ×4, first 2 shown]
	;;#ASMSTART
	v_pk_add_f16 v1, v1, v2;

	;;#ASMEND
	;;#ASMSTART
	v_pk_add_f16 v1, v1, v3;

	;;#ASMEND
	;; [unrolled: 4-line block ×3, first 2 shown]
	v_lshrrev_b32_e32 v3, 16, v1
	v_and_b32_e32 v4, 0xffff, v1
	v_add_co_u32 v1, s0, v54, v31
	s_delay_alu instid0(VALU_DEP_1)
	v_add_co_ci_u32_e64 v2, s0, 0, v55, s0
	;;#ASMSTART
	v_cvt_f32_f16 v8, v4;
	;;#ASMEND
	;;#ASMSTART
	v_cvt_f32_f16 v9, v3;
	;;#ASMEND
	global_load_b128 v[1:4], v[1:2], off
	s_and_saveexec_b32 s26, vcc_lo
	s_cbranch_execz .LBB100_59
; %bb.58:                               ;   in Loop: Header=BB100_40 Depth=1
	v_cmp_gt_i32_e64 s0, s18, v53
	s_waitcnt vmcnt(0)
	v_lshrrev_b32_e32 v72, 16, v4
	v_lshrrev_b32_e32 v73, 16, v3
	;; [unrolled: 1-line block ×4, first 2 shown]
	v_cndmask_b32_e64 v4, 0, v4, s0
	v_cmp_gt_i32_e64 s0, s19, v52
	s_delay_alu instid0(VALU_DEP_1) | instskip(SKIP_1) | instid1(VALU_DEP_2)
	v_cndmask_b32_e64 v72, 0, v72, s0
	v_cmp_gt_i32_e64 s0, s17, v51
	v_perm_b32 v4, v72, v4, 0x5040100
	s_delay_alu instid0(VALU_DEP_2) | instskip(SKIP_1) | instid1(VALU_DEP_1)
	v_cndmask_b32_e64 v73, 0, v73, s0
	v_cmp_gt_i32_e64 s0, s16, v50
	v_cndmask_b32_e64 v3, 0, v3, s0
	v_cmp_gt_i32_e64 s0, s15, v43
	s_delay_alu instid0(VALU_DEP_2) | instskip(NEXT) | instid1(VALU_DEP_2)
	v_perm_b32 v3, v73, v3, 0x5040100
	v_cndmask_b32_e64 v74, 0, v74, s0
	v_cmp_gt_i32_e64 s0, s13, v42
	s_delay_alu instid0(VALU_DEP_1) | instskip(SKIP_1) | instid1(VALU_DEP_2)
	v_cndmask_b32_e64 v2, 0, v2, s0
	v_cmp_gt_i32_e64 s0, s10, v41
	v_perm_b32 v2, v74, v2, 0x5040100
	s_delay_alu instid0(VALU_DEP_2) | instskip(SKIP_1) | instid1(VALU_DEP_1)
	v_cndmask_b32_e64 v75, 0, v75, s0
	v_cmp_gt_i32_e64 s0, s33, v40
	v_cndmask_b32_e64 v1, 0, v1, s0
	s_delay_alu instid0(VALU_DEP_1)
	v_perm_b32 v1, v75, v1, 0x5040100
.LBB100_59:                             ;   in Loop: Header=BB100_40 Depth=1
	s_or_b32 exec_lo, exec_lo, s26
	s_waitcnt vmcnt(0)
	;;#ASMSTART
	v_pk_mul_f16 v1, v49, v1;

	;;#ASMEND
	;;#ASMSTART
	v_pk_mul_f16 v2, v48, v2;

	;;#ASMEND
	;; [unrolled: 4-line block ×4, first 2 shown]
	;;#ASMSTART
	v_pk_add_f16 v1, v1, v2;

	;;#ASMEND
	;;#ASMSTART
	v_pk_add_f16 v1, v1, v3;

	;;#ASMEND
	;; [unrolled: 4-line block ×3, first 2 shown]
	v_lshrrev_b32_e32 v3, 16, v1
	v_and_b32_e32 v4, 0xffff, v1
	v_add_co_u32 v1, s0, v54, v32
	s_delay_alu instid0(VALU_DEP_1)
	v_add_co_ci_u32_e64 v2, s0, 0, v55, s0
	;;#ASMSTART
	v_cvt_f32_f16 v72, v4;
	;;#ASMEND
	;;#ASMSTART
	v_cvt_f32_f16 v73, v3;
	;;#ASMEND
	global_load_b128 v[1:4], v[1:2], off
	s_and_saveexec_b32 s26, vcc_lo
	s_cbranch_execz .LBB100_61
; %bb.60:                               ;   in Loop: Header=BB100_40 Depth=1
	v_cmp_gt_i32_e64 s0, s18, v53
	s_waitcnt vmcnt(0)
	v_lshrrev_b32_e32 v74, 16, v4
	v_lshrrev_b32_e32 v75, 16, v3
	;; [unrolled: 1-line block ×4, first 2 shown]
	v_cndmask_b32_e64 v4, 0, v4, s0
	v_cmp_gt_i32_e64 s0, s19, v52
	s_delay_alu instid0(VALU_DEP_1) | instskip(SKIP_1) | instid1(VALU_DEP_2)
	v_cndmask_b32_e64 v74, 0, v74, s0
	v_cmp_gt_i32_e64 s0, s17, v51
	v_perm_b32 v4, v74, v4, 0x5040100
	s_delay_alu instid0(VALU_DEP_2) | instskip(SKIP_1) | instid1(VALU_DEP_1)
	v_cndmask_b32_e64 v75, 0, v75, s0
	v_cmp_gt_i32_e64 s0, s16, v50
	v_cndmask_b32_e64 v3, 0, v3, s0
	v_cmp_gt_i32_e64 s0, s15, v43
	s_delay_alu instid0(VALU_DEP_2) | instskip(NEXT) | instid1(VALU_DEP_2)
	v_perm_b32 v3, v75, v3, 0x5040100
	v_cndmask_b32_e64 v76, 0, v76, s0
	v_cmp_gt_i32_e64 s0, s13, v42
	s_delay_alu instid0(VALU_DEP_1) | instskip(SKIP_1) | instid1(VALU_DEP_2)
	v_cndmask_b32_e64 v2, 0, v2, s0
	v_cmp_gt_i32_e64 s0, s10, v41
	v_perm_b32 v2, v76, v2, 0x5040100
	s_delay_alu instid0(VALU_DEP_2) | instskip(SKIP_1) | instid1(VALU_DEP_1)
	v_cndmask_b32_e64 v77, 0, v77, s0
	v_cmp_gt_i32_e64 s0, s33, v40
	v_cndmask_b32_e64 v1, 0, v1, s0
	s_delay_alu instid0(VALU_DEP_1)
	v_perm_b32 v1, v77, v1, 0x5040100
.LBB100_61:                             ;   in Loop: Header=BB100_40 Depth=1
	s_or_b32 exec_lo, exec_lo, s26
	s_waitcnt vmcnt(0)
	;;#ASMSTART
	v_pk_mul_f16 v1, v49, v1;

	;;#ASMEND
	;;#ASMSTART
	v_pk_mul_f16 v2, v48, v2;

	;;#ASMEND
	;; [unrolled: 4-line block ×4, first 2 shown]
	;;#ASMSTART
	v_pk_add_f16 v1, v1, v2;

	;;#ASMEND
	;;#ASMSTART
	v_pk_add_f16 v1, v1, v3;

	;;#ASMEND
	;; [unrolled: 4-line block ×3, first 2 shown]
	v_lshrrev_b32_e32 v3, 16, v1
	v_and_b32_e32 v4, 0xffff, v1
	v_add_co_u32 v1, s0, v54, v33
	s_delay_alu instid0(VALU_DEP_1)
	v_add_co_ci_u32_e64 v2, s0, 0, v55, s0
	;;#ASMSTART
	v_cvt_f32_f16 v74, v4;
	;;#ASMEND
	;;#ASMSTART
	v_cvt_f32_f16 v75, v3;
	;;#ASMEND
	global_load_b128 v[1:4], v[1:2], off
	s_and_saveexec_b32 s26, vcc_lo
	s_cbranch_execz .LBB100_63
; %bb.62:                               ;   in Loop: Header=BB100_40 Depth=1
	v_cmp_gt_i32_e64 s0, s18, v53
	s_waitcnt vmcnt(0)
	v_lshrrev_b32_e32 v76, 16, v4
	v_lshrrev_b32_e32 v77, 16, v3
	;; [unrolled: 1-line block ×4, first 2 shown]
	v_cndmask_b32_e64 v4, 0, v4, s0
	v_cmp_gt_i32_e64 s0, s19, v52
	s_delay_alu instid0(VALU_DEP_1) | instskip(SKIP_1) | instid1(VALU_DEP_2)
	v_cndmask_b32_e64 v76, 0, v76, s0
	v_cmp_gt_i32_e64 s0, s17, v51
	v_perm_b32 v4, v76, v4, 0x5040100
	s_delay_alu instid0(VALU_DEP_2) | instskip(SKIP_1) | instid1(VALU_DEP_1)
	v_cndmask_b32_e64 v77, 0, v77, s0
	v_cmp_gt_i32_e64 s0, s16, v50
	v_cndmask_b32_e64 v3, 0, v3, s0
	v_cmp_gt_i32_e64 s0, s15, v43
	s_delay_alu instid0(VALU_DEP_2) | instskip(NEXT) | instid1(VALU_DEP_2)
	v_perm_b32 v3, v77, v3, 0x5040100
	v_cndmask_b32_e64 v78, 0, v78, s0
	v_cmp_gt_i32_e64 s0, s13, v42
	s_delay_alu instid0(VALU_DEP_1) | instskip(SKIP_1) | instid1(VALU_DEP_2)
	v_cndmask_b32_e64 v2, 0, v2, s0
	v_cmp_gt_i32_e64 s0, s10, v41
	v_perm_b32 v2, v78, v2, 0x5040100
	s_delay_alu instid0(VALU_DEP_2) | instskip(SKIP_1) | instid1(VALU_DEP_1)
	v_cndmask_b32_e64 v79, 0, v79, s0
	v_cmp_gt_i32_e64 s0, s33, v40
	v_cndmask_b32_e64 v1, 0, v1, s0
	s_delay_alu instid0(VALU_DEP_1)
	v_perm_b32 v1, v79, v1, 0x5040100
.LBB100_63:                             ;   in Loop: Header=BB100_40 Depth=1
	s_or_b32 exec_lo, exec_lo, s26
	s_waitcnt vmcnt(0)
	;;#ASMSTART
	v_pk_mul_f16 v1, v49, v1;

	;;#ASMEND
	;;#ASMSTART
	v_pk_mul_f16 v2, v48, v2;

	;;#ASMEND
	;; [unrolled: 4-line block ×4, first 2 shown]
	;;#ASMSTART
	v_pk_add_f16 v1, v1, v2;

	;;#ASMEND
	;;#ASMSTART
	v_pk_add_f16 v1, v1, v3;

	;;#ASMEND
	;; [unrolled: 4-line block ×3, first 2 shown]
	v_lshrrev_b32_e32 v3, 16, v1
	v_and_b32_e32 v4, 0xffff, v1
	v_add_co_u32 v1, s0, v54, v34
	s_delay_alu instid0(VALU_DEP_1)
	v_add_co_ci_u32_e64 v2, s0, 0, v55, s0
	;;#ASMSTART
	v_cvt_f32_f16 v76, v4;
	;;#ASMEND
	;;#ASMSTART
	v_cvt_f32_f16 v77, v3;
	;;#ASMEND
	global_load_b128 v[1:4], v[1:2], off
	s_and_saveexec_b32 s26, vcc_lo
	s_cbranch_execz .LBB100_65
; %bb.64:                               ;   in Loop: Header=BB100_40 Depth=1
	v_cmp_gt_i32_e64 s0, s18, v53
	s_waitcnt vmcnt(0)
	v_lshrrev_b32_e32 v78, 16, v4
	v_lshrrev_b32_e32 v79, 16, v3
	;; [unrolled: 1-line block ×4, first 2 shown]
	v_cndmask_b32_e64 v4, 0, v4, s0
	v_cmp_gt_i32_e64 s0, s19, v52
	s_delay_alu instid0(VALU_DEP_1) | instskip(SKIP_1) | instid1(VALU_DEP_2)
	v_cndmask_b32_e64 v78, 0, v78, s0
	v_cmp_gt_i32_e64 s0, s17, v51
	v_perm_b32 v4, v78, v4, 0x5040100
	s_delay_alu instid0(VALU_DEP_2) | instskip(SKIP_1) | instid1(VALU_DEP_1)
	v_cndmask_b32_e64 v79, 0, v79, s0
	v_cmp_gt_i32_e64 s0, s16, v50
	v_cndmask_b32_e64 v3, 0, v3, s0
	v_cmp_gt_i32_e64 s0, s15, v43
	s_delay_alu instid0(VALU_DEP_2) | instskip(NEXT) | instid1(VALU_DEP_2)
	v_perm_b32 v3, v79, v3, 0x5040100
	v_cndmask_b32_e64 v80, 0, v80, s0
	v_cmp_gt_i32_e64 s0, s13, v42
	s_delay_alu instid0(VALU_DEP_1) | instskip(SKIP_1) | instid1(VALU_DEP_2)
	v_cndmask_b32_e64 v2, 0, v2, s0
	v_cmp_gt_i32_e64 s0, s10, v41
	v_perm_b32 v2, v80, v2, 0x5040100
	s_delay_alu instid0(VALU_DEP_2) | instskip(SKIP_1) | instid1(VALU_DEP_1)
	v_cndmask_b32_e64 v81, 0, v81, s0
	v_cmp_gt_i32_e64 s0, s33, v40
	v_cndmask_b32_e64 v1, 0, v1, s0
	s_delay_alu instid0(VALU_DEP_1)
	v_perm_b32 v1, v81, v1, 0x5040100
.LBB100_65:                             ;   in Loop: Header=BB100_40 Depth=1
	s_or_b32 exec_lo, exec_lo, s26
	s_waitcnt vmcnt(0)
	;;#ASMSTART
	v_pk_mul_f16 v1, v49, v1;

	;;#ASMEND
	;;#ASMSTART
	v_pk_mul_f16 v2, v48, v2;

	;;#ASMEND
	;; [unrolled: 4-line block ×4, first 2 shown]
	;;#ASMSTART
	v_pk_add_f16 v1, v1, v2;

	;;#ASMEND
	;;#ASMSTART
	v_pk_add_f16 v1, v1, v3;

	;;#ASMEND
	;; [unrolled: 4-line block ×3, first 2 shown]
	v_lshrrev_b32_e32 v3, 16, v1
	v_and_b32_e32 v4, 0xffff, v1
	v_add_co_u32 v1, s0, v54, v35
	s_delay_alu instid0(VALU_DEP_1)
	v_add_co_ci_u32_e64 v2, s0, 0, v55, s0
	;;#ASMSTART
	v_cvt_f32_f16 v78, v4;
	;;#ASMEND
	;;#ASMSTART
	v_cvt_f32_f16 v79, v3;
	;;#ASMEND
	global_load_b128 v[1:4], v[1:2], off
	s_and_saveexec_b32 s26, vcc_lo
	s_cbranch_execz .LBB100_67
; %bb.66:                               ;   in Loop: Header=BB100_40 Depth=1
	v_cmp_gt_i32_e64 s0, s18, v53
	s_waitcnt vmcnt(0)
	v_lshrrev_b32_e32 v80, 16, v4
	v_lshrrev_b32_e32 v81, 16, v3
	;; [unrolled: 1-line block ×4, first 2 shown]
	v_cndmask_b32_e64 v4, 0, v4, s0
	v_cmp_gt_i32_e64 s0, s19, v52
	s_delay_alu instid0(VALU_DEP_1) | instskip(SKIP_1) | instid1(VALU_DEP_2)
	v_cndmask_b32_e64 v80, 0, v80, s0
	v_cmp_gt_i32_e64 s0, s17, v51
	v_perm_b32 v4, v80, v4, 0x5040100
	s_delay_alu instid0(VALU_DEP_2) | instskip(SKIP_1) | instid1(VALU_DEP_1)
	v_cndmask_b32_e64 v81, 0, v81, s0
	v_cmp_gt_i32_e64 s0, s16, v50
	v_cndmask_b32_e64 v3, 0, v3, s0
	v_cmp_gt_i32_e64 s0, s15, v43
	s_delay_alu instid0(VALU_DEP_2) | instskip(NEXT) | instid1(VALU_DEP_2)
	v_perm_b32 v3, v81, v3, 0x5040100
	v_cndmask_b32_e64 v82, 0, v82, s0
	v_cmp_gt_i32_e64 s0, s13, v42
	s_delay_alu instid0(VALU_DEP_1) | instskip(SKIP_1) | instid1(VALU_DEP_2)
	v_cndmask_b32_e64 v2, 0, v2, s0
	v_cmp_gt_i32_e64 s0, s10, v41
	v_perm_b32 v2, v82, v2, 0x5040100
	s_delay_alu instid0(VALU_DEP_2) | instskip(SKIP_1) | instid1(VALU_DEP_1)
	v_cndmask_b32_e64 v83, 0, v83, s0
	v_cmp_gt_i32_e64 s0, s33, v40
	v_cndmask_b32_e64 v1, 0, v1, s0
	s_delay_alu instid0(VALU_DEP_1)
	v_perm_b32 v1, v83, v1, 0x5040100
.LBB100_67:                             ;   in Loop: Header=BB100_40 Depth=1
	s_or_b32 exec_lo, exec_lo, s26
	s_waitcnt vmcnt(0)
	;;#ASMSTART
	v_pk_mul_f16 v1, v49, v1;

	;;#ASMEND
	;;#ASMSTART
	v_pk_mul_f16 v2, v48, v2;

	;;#ASMEND
	;; [unrolled: 4-line block ×4, first 2 shown]
	;;#ASMSTART
	v_pk_add_f16 v1, v1, v2;

	;;#ASMEND
	;;#ASMSTART
	v_pk_add_f16 v1, v1, v3;

	;;#ASMEND
	;; [unrolled: 4-line block ×3, first 2 shown]
	v_lshrrev_b32_e32 v3, 16, v1
	v_and_b32_e32 v4, 0xffff, v1
	v_add_co_u32 v1, s0, v54, v36
	s_delay_alu instid0(VALU_DEP_1)
	v_add_co_ci_u32_e64 v2, s0, 0, v55, s0
	;;#ASMSTART
	v_cvt_f32_f16 v80, v4;
	;;#ASMEND
	;;#ASMSTART
	v_cvt_f32_f16 v81, v3;
	;;#ASMEND
	global_load_b128 v[1:4], v[1:2], off
	s_and_saveexec_b32 s26, vcc_lo
	s_cbranch_execz .LBB100_69
; %bb.68:                               ;   in Loop: Header=BB100_40 Depth=1
	v_cmp_gt_i32_e64 s0, s18, v53
	s_waitcnt vmcnt(0)
	v_lshrrev_b32_e32 v82, 16, v4
	v_lshrrev_b32_e32 v83, 16, v3
	;; [unrolled: 1-line block ×4, first 2 shown]
	v_cndmask_b32_e64 v4, 0, v4, s0
	v_cmp_gt_i32_e64 s0, s19, v52
	s_delay_alu instid0(VALU_DEP_1) | instskip(SKIP_1) | instid1(VALU_DEP_2)
	v_cndmask_b32_e64 v82, 0, v82, s0
	v_cmp_gt_i32_e64 s0, s17, v51
	v_perm_b32 v4, v82, v4, 0x5040100
	s_delay_alu instid0(VALU_DEP_2) | instskip(SKIP_1) | instid1(VALU_DEP_1)
	v_cndmask_b32_e64 v83, 0, v83, s0
	v_cmp_gt_i32_e64 s0, s16, v50
	v_cndmask_b32_e64 v3, 0, v3, s0
	v_cmp_gt_i32_e64 s0, s15, v43
	s_delay_alu instid0(VALU_DEP_2) | instskip(NEXT) | instid1(VALU_DEP_2)
	v_perm_b32 v3, v83, v3, 0x5040100
	v_cndmask_b32_e64 v84, 0, v84, s0
	v_cmp_gt_i32_e64 s0, s13, v42
	s_delay_alu instid0(VALU_DEP_1) | instskip(SKIP_1) | instid1(VALU_DEP_2)
	v_cndmask_b32_e64 v2, 0, v2, s0
	v_cmp_gt_i32_e64 s0, s10, v41
	v_perm_b32 v2, v84, v2, 0x5040100
	s_delay_alu instid0(VALU_DEP_2) | instskip(SKIP_1) | instid1(VALU_DEP_1)
	v_cndmask_b32_e64 v85, 0, v85, s0
	v_cmp_gt_i32_e64 s0, s33, v40
	v_cndmask_b32_e64 v1, 0, v1, s0
	s_delay_alu instid0(VALU_DEP_1)
	v_perm_b32 v1, v85, v1, 0x5040100
.LBB100_69:                             ;   in Loop: Header=BB100_40 Depth=1
	s_or_b32 exec_lo, exec_lo, s26
	s_waitcnt vmcnt(0)
	;;#ASMSTART
	v_pk_mul_f16 v1, v49, v1;

	;;#ASMEND
	;;#ASMSTART
	v_pk_mul_f16 v2, v48, v2;

	;;#ASMEND
	;; [unrolled: 4-line block ×4, first 2 shown]
	;;#ASMSTART
	v_pk_add_f16 v1, v1, v2;

	;;#ASMEND
	;;#ASMSTART
	v_pk_add_f16 v1, v1, v3;

	;;#ASMEND
	;; [unrolled: 4-line block ×3, first 2 shown]
	v_lshrrev_b32_e32 v3, 16, v1
	v_and_b32_e32 v4, 0xffff, v1
	v_add_co_u32 v1, s0, v54, v38
	s_delay_alu instid0(VALU_DEP_1)
	v_add_co_ci_u32_e64 v2, s0, 0, v55, s0
	;;#ASMSTART
	v_cvt_f32_f16 v82, v4;
	;;#ASMEND
	;;#ASMSTART
	v_cvt_f32_f16 v83, v3;
	;;#ASMEND
	global_load_b128 v[1:4], v[1:2], off
	s_and_saveexec_b32 s26, vcc_lo
	s_cbranch_execz .LBB100_71
; %bb.70:                               ;   in Loop: Header=BB100_40 Depth=1
	v_cmp_gt_i32_e64 s0, s18, v53
	s_waitcnt vmcnt(0)
	v_lshrrev_b32_e32 v84, 16, v4
	v_lshrrev_b32_e32 v85, 16, v3
	;; [unrolled: 1-line block ×4, first 2 shown]
	v_cndmask_b32_e64 v4, 0, v4, s0
	v_cmp_gt_i32_e64 s0, s19, v52
	s_delay_alu instid0(VALU_DEP_1) | instskip(SKIP_1) | instid1(VALU_DEP_2)
	v_cndmask_b32_e64 v84, 0, v84, s0
	v_cmp_gt_i32_e64 s0, s17, v51
	v_perm_b32 v4, v84, v4, 0x5040100
	s_delay_alu instid0(VALU_DEP_2) | instskip(SKIP_1) | instid1(VALU_DEP_1)
	v_cndmask_b32_e64 v85, 0, v85, s0
	v_cmp_gt_i32_e64 s0, s16, v50
	v_cndmask_b32_e64 v3, 0, v3, s0
	v_cmp_gt_i32_e64 s0, s15, v43
	s_delay_alu instid0(VALU_DEP_2) | instskip(NEXT) | instid1(VALU_DEP_2)
	v_perm_b32 v3, v85, v3, 0x5040100
	v_cndmask_b32_e64 v86, 0, v86, s0
	v_cmp_gt_i32_e64 s0, s13, v42
	s_delay_alu instid0(VALU_DEP_1) | instskip(SKIP_1) | instid1(VALU_DEP_2)
	v_cndmask_b32_e64 v2, 0, v2, s0
	v_cmp_gt_i32_e64 s0, s10, v41
	v_perm_b32 v2, v86, v2, 0x5040100
	s_delay_alu instid0(VALU_DEP_2) | instskip(SKIP_1) | instid1(VALU_DEP_1)
	v_cndmask_b32_e64 v87, 0, v87, s0
	v_cmp_gt_i32_e64 s0, s33, v40
	v_cndmask_b32_e64 v1, 0, v1, s0
	s_delay_alu instid0(VALU_DEP_1)
	v_perm_b32 v1, v87, v1, 0x5040100
.LBB100_71:                             ;   in Loop: Header=BB100_40 Depth=1
	s_or_b32 exec_lo, exec_lo, s26
	s_waitcnt vmcnt(0)
	;;#ASMSTART
	v_pk_mul_f16 v1, v49, v1;

	;;#ASMEND
	;;#ASMSTART
	v_pk_mul_f16 v2, v48, v2;

	;;#ASMEND
	;; [unrolled: 4-line block ×4, first 2 shown]
	;;#ASMSTART
	v_pk_add_f16 v1, v1, v2;

	;;#ASMEND
	;;#ASMSTART
	v_pk_add_f16 v1, v1, v3;

	;;#ASMEND
	;; [unrolled: 4-line block ×3, first 2 shown]
	v_lshrrev_b32_e32 v3, 16, v1
	v_and_b32_e32 v4, 0xffff, v1
	v_add_co_u32 v1, s0, v54, v39
	s_delay_alu instid0(VALU_DEP_1)
	v_add_co_ci_u32_e64 v2, s0, 0, v55, s0
	;;#ASMSTART
	v_cvt_f32_f16 v54, v4;
	;;#ASMEND
	;;#ASMSTART
	v_cvt_f32_f16 v55, v3;
	;;#ASMEND
	global_load_b128 v[1:4], v[1:2], off
	s_and_saveexec_b32 s0, vcc_lo
	s_cbranch_execz .LBB100_38
; %bb.72:                               ;   in Loop: Header=BB100_40 Depth=1
	v_cmp_gt_i32_e32 vcc_lo, s18, v53
	s_waitcnt vmcnt(0)
	v_lshrrev_b32_e32 v84, 16, v4
	v_lshrrev_b32_e32 v85, 16, v3
	;; [unrolled: 1-line block ×3, first 2 shown]
	v_cndmask_b32_e32 v4, 0, v4, vcc_lo
	v_cmp_gt_i32_e32 vcc_lo, s19, v52
	v_cndmask_b32_e32 v52, 0, v84, vcc_lo
	v_cmp_gt_i32_e32 vcc_lo, s17, v51
	;; [unrolled: 2-line block ×3, first 2 shown]
	v_lshrrev_b32_e32 v50, 16, v1
	v_cndmask_b32_e32 v3, 0, v3, vcc_lo
	v_cmp_gt_i32_e32 vcc_lo, s15, v43
	v_perm_b32 v4, v52, v4, 0x5040100
	s_delay_alu instid0(VALU_DEP_3) | instskip(SKIP_4) | instid1(VALU_DEP_2)
	v_perm_b32 v3, v51, v3, 0x5040100
	v_cndmask_b32_e32 v43, 0, v53, vcc_lo
	v_cmp_gt_i32_e32 vcc_lo, s13, v42
	v_cndmask_b32_e32 v2, 0, v2, vcc_lo
	v_cmp_gt_i32_e32 vcc_lo, s10, v41
	v_perm_b32 v2, v43, v2, 0x5040100
	v_cndmask_b32_e32 v41, 0, v50, vcc_lo
	v_cmp_gt_i32_e32 vcc_lo, s33, v40
	v_cndmask_b32_e32 v1, 0, v1, vcc_lo
	s_delay_alu instid0(VALU_DEP_1)
	v_perm_b32 v1, v41, v1, 0x5040100
	s_branch .LBB100_38
.LBB100_73:
	s_or_b32 exec_lo, exec_lo, s4
.LBB100_74:
	s_delay_alu instid0(SALU_CYCLE_1)
	s_or_b32 exec_lo, exec_lo, s1
	ds_bpermute_b32 v1, v11, v27
	ds_bpermute_b32 v2, v11, v26
	;; [unrolled: 1-line block ×16, first 2 shown]
	v_lshrrev_b32_e32 v10, 1, v10
	s_mov_b32 s0, exec_lo
	s_waitcnt lgkmcnt(0)
	s_waitcnt_vscnt null, 0x0
	s_barrier
	v_dual_add_f32 v27, v27, v1 :: v_dual_add_f32 v26, v26, v2
	v_dual_add_f32 v25, v25, v3 :: v_dual_add_f32 v24, v24, v4
	v_dual_add_f32 v23, v23, v5 :: v_dual_add_f32 v22, v22, v6
	v_add_f32_e32 v11, v21, v7
	v_add_f32_e32 v9, v20, v8
	v_dual_add_f32 v8, v19, v28 :: v_dual_add_f32 v7, v18, v29
	v_add_f32_e32 v6, v17, v30
	v_add_f32_e32 v4, v16, v31
	v_dual_add_f32 v2, v15, v32 :: v_dual_add_f32 v1, v14, v33
	v_dual_add_f32 v5, v13, v34 :: v_dual_and_b32 v14, 0x3c1, v0
	v_add_f32_e32 v3, v12, v35
	v_lshl_add_u32 v12, v65, 10, 0x220
	buffer_gl0_inv
	v_cmpx_eq_u32_e32 64, v14
	s_cbranch_execz .LBB100_76
; %bb.75:
	v_lshlrev_b32_e32 v13, 2, v10
	s_delay_alu instid0(VALU_DEP_1)
	v_add3_u32 v13, v12, v13, 0xfffff800
	ds_store_2addr_b32 v13, v27, v26 offset1:16
	ds_store_2addr_b32 v13, v25, v24 offset0:32 offset1:48
	ds_store_2addr_b32 v13, v23, v22 offset0:64 offset1:80
	;; [unrolled: 1-line block ×7, first 2 shown]
.LBB100_76:
	s_or_b32 exec_lo, exec_lo, s0
	v_cmp_eq_u32_e32 vcc_lo, 0, v64
	s_waitcnt lgkmcnt(0)
	s_barrier
	buffer_gl0_inv
	s_and_saveexec_b32 s0, s2
	s_cbranch_execz .LBB100_95
; %bb.77:
	s_and_saveexec_b32 s1, vcc_lo
	s_cbranch_execnz .LBB100_119
; %bb.78:
	s_or_b32 exec_lo, exec_lo, s1
	s_and_saveexec_b32 s1, vcc_lo
	s_cbranch_execnz .LBB100_120
.LBB100_79:
	s_or_b32 exec_lo, exec_lo, s1
	s_and_saveexec_b32 s1, vcc_lo
	s_cbranch_execnz .LBB100_121
.LBB100_80:
	s_or_b32 exec_lo, exec_lo, s1
	s_and_saveexec_b32 s1, vcc_lo
	s_cbranch_execnz .LBB100_122
.LBB100_81:
	s_or_b32 exec_lo, exec_lo, s1
	s_and_saveexec_b32 s1, vcc_lo
	s_cbranch_execnz .LBB100_123
.LBB100_82:
	s_or_b32 exec_lo, exec_lo, s1
	s_and_saveexec_b32 s1, vcc_lo
	s_cbranch_execnz .LBB100_124
.LBB100_83:
	s_or_b32 exec_lo, exec_lo, s1
	s_and_saveexec_b32 s1, vcc_lo
	s_cbranch_execnz .LBB100_125
.LBB100_84:
	s_or_b32 exec_lo, exec_lo, s1
	s_and_saveexec_b32 s1, vcc_lo
	s_cbranch_execnz .LBB100_126
.LBB100_85:
	s_or_b32 exec_lo, exec_lo, s1
	s_and_saveexec_b32 s1, vcc_lo
	s_cbranch_execnz .LBB100_127
.LBB100_86:
	s_or_b32 exec_lo, exec_lo, s1
	s_and_saveexec_b32 s1, vcc_lo
	s_cbranch_execnz .LBB100_128
.LBB100_87:
	s_or_b32 exec_lo, exec_lo, s1
	s_and_saveexec_b32 s1, vcc_lo
	s_cbranch_execnz .LBB100_129
.LBB100_88:
	s_or_b32 exec_lo, exec_lo, s1
	s_and_saveexec_b32 s1, vcc_lo
	s_cbranch_execnz .LBB100_130
.LBB100_89:
	s_or_b32 exec_lo, exec_lo, s1
	s_and_saveexec_b32 s1, vcc_lo
	s_cbranch_execnz .LBB100_131
.LBB100_90:
	s_or_b32 exec_lo, exec_lo, s1
	s_and_saveexec_b32 s1, vcc_lo
	s_cbranch_execnz .LBB100_132
.LBB100_91:
	s_or_b32 exec_lo, exec_lo, s1
	s_and_saveexec_b32 s1, vcc_lo
	s_cbranch_execnz .LBB100_133
.LBB100_92:
	s_or_b32 exec_lo, exec_lo, s1
	s_and_saveexec_b32 s1, vcc_lo
	s_cbranch_execz .LBB100_94
.LBB100_93:
	v_lshl_add_u32 v13, v10, 2, v12
	ds_load_b32 v13, v13 offset:960
	s_waitcnt lgkmcnt(0)
	v_add_f32_e32 v3, v3, v13
.LBB100_94:
	s_or_b32 exec_lo, exec_lo, s1
.LBB100_95:
	s_delay_alu instid0(SALU_CYCLE_1)
	s_or_b32 exec_lo, exec_lo, s0
	v_and_b32_e32 v13, 0x3e1, v0
	s_mov_b32 s1, exec_lo
	s_barrier
	buffer_gl0_inv
	v_cmpx_eq_u32_e32 32, v13
	s_cbranch_execz .LBB100_97
; %bb.96:
	v_lshl_add_u32 v14, v10, 2, 0x220
	ds_store_2addr_b32 v14, v27, v26 offset1:16
	ds_store_2addr_b32 v14, v25, v24 offset0:32 offset1:48
	ds_store_2addr_b32 v14, v23, v22 offset0:64 offset1:80
	;; [unrolled: 1-line block ×7, first 2 shown]
.LBB100_97:
	s_or_b32 exec_lo, exec_lo, s1
	s_delay_alu instid0(SALU_CYCLE_1)
	s_mov_b32 s1, exec_lo
	s_waitcnt lgkmcnt(0)
	s_barrier
	buffer_gl0_inv
	v_cmpx_gt_u32_e32 32, v0
	s_cbranch_execz .LBB100_116
; %bb.98:
	v_lshl_add_u32 v0, v10, 2, v12
	s_and_saveexec_b32 s0, vcc_lo
	s_cbranch_execnz .LBB100_134
; %bb.99:
	s_or_b32 exec_lo, exec_lo, s0
	s_and_saveexec_b32 s0, vcc_lo
	s_cbranch_execnz .LBB100_135
.LBB100_100:
	s_or_b32 exec_lo, exec_lo, s0
	s_and_saveexec_b32 s0, vcc_lo
	s_cbranch_execnz .LBB100_136
.LBB100_101:
	s_or_b32 exec_lo, exec_lo, s0
	s_and_saveexec_b32 s0, vcc_lo
	s_cbranch_execnz .LBB100_137
.LBB100_102:
	s_or_b32 exec_lo, exec_lo, s0
	s_and_saveexec_b32 s0, vcc_lo
	s_cbranch_execnz .LBB100_138
.LBB100_103:
	s_or_b32 exec_lo, exec_lo, s0
	s_and_saveexec_b32 s0, vcc_lo
	s_cbranch_execnz .LBB100_139
.LBB100_104:
	s_or_b32 exec_lo, exec_lo, s0
	s_and_saveexec_b32 s0, vcc_lo
	s_cbranch_execnz .LBB100_140
.LBB100_105:
	s_or_b32 exec_lo, exec_lo, s0
	s_and_saveexec_b32 s0, vcc_lo
	s_cbranch_execnz .LBB100_141
.LBB100_106:
	s_or_b32 exec_lo, exec_lo, s0
	s_and_saveexec_b32 s0, vcc_lo
	s_cbranch_execnz .LBB100_142
.LBB100_107:
	s_or_b32 exec_lo, exec_lo, s0
	s_and_saveexec_b32 s0, vcc_lo
	s_cbranch_execnz .LBB100_143
.LBB100_108:
	s_or_b32 exec_lo, exec_lo, s0
	s_and_saveexec_b32 s0, vcc_lo
	s_cbranch_execnz .LBB100_144
.LBB100_109:
	s_or_b32 exec_lo, exec_lo, s0
	s_and_saveexec_b32 s0, vcc_lo
	s_cbranch_execnz .LBB100_145
.LBB100_110:
	s_or_b32 exec_lo, exec_lo, s0
	s_and_saveexec_b32 s0, vcc_lo
	s_cbranch_execnz .LBB100_146
.LBB100_111:
	s_or_b32 exec_lo, exec_lo, s0
	s_and_saveexec_b32 s0, vcc_lo
	s_cbranch_execnz .LBB100_147
.LBB100_112:
	s_or_b32 exec_lo, exec_lo, s0
	s_and_saveexec_b32 s0, vcc_lo
	s_cbranch_execnz .LBB100_148
.LBB100_113:
	s_or_b32 exec_lo, exec_lo, s0
	s_and_saveexec_b32 s0, vcc_lo
	s_cbranch_execz .LBB100_115
.LBB100_114:
	ds_load_b32 v0, v0 offset:960
	s_waitcnt lgkmcnt(0)
	v_add_f32_e32 v3, v3, v0
.LBB100_115:
	s_or_b32 exec_lo, exec_lo, s0
.LBB100_116:
	s_delay_alu instid0(SALU_CYCLE_1)
	s_or_b32 exec_lo, exec_lo, s1
	s_barrier
	buffer_gl0_inv
	s_mov_b32 s0, exec_lo
	v_cmpx_eq_u32_e32 0, v13
	s_cbranch_execz .LBB100_118
; %bb.117:
	s_lshl_b32 s0, s14, 8
	s_mul_i32 s2, s8, s20
	s_ashr_i32 s1, s0, 31
	v_lshlrev_b32_e32 v0, 1, v63
	s_lshl_b64 s[0:1], s[0:1], 1
	;;#ASMSTART
	v_cvt_f16_f32 v10, v27;

	;;#ASMEND
	s_add_u32 s4, s22, s0
	s_addc_u32 s5, s23, s1
	s_ashr_i32 s3, s2, 31
	s_delay_alu instid0(SALU_CYCLE_1) | instskip(NEXT) | instid1(SALU_CYCLE_1)
	s_lshl_b64 s[0:1], s[2:3], 1
	s_add_u32 s2, s4, s0
	s_addc_u32 s3, s5, s1
	s_lshl_b32 s0, s12, 8
	s_delay_alu instid0(SALU_CYCLE_1) | instskip(NEXT) | instid1(SALU_CYCLE_1)
	s_ashr_i32 s1, s0, 31
	s_lshl_b64 s[0:1], s[0:1], 1
	s_delay_alu instid0(SALU_CYCLE_1)
	s_add_u32 s0, s2, s0
	s_addc_u32 s1, s3, s1
	global_store_b16 v0, v10, s[0:1]
	;;#ASMSTART
	v_cvt_f16_f32 v10, v26;

	;;#ASMEND
	global_store_b16 v0, v10, s[0:1] offset:32
	;;#ASMSTART
	v_cvt_f16_f32 v10, v25;

	;;#ASMEND
	global_store_b16 v0, v10, s[0:1] offset:64
	;; [unrolled: 5-line block ×15, first 2 shown]
.LBB100_118:
	s_nop 0
	s_sendmsg sendmsg(MSG_DEALLOC_VGPRS)
	s_endpgm
.LBB100_119:
	v_lshl_add_u32 v13, v10, 2, v12
	ds_load_b32 v13, v13
	s_waitcnt lgkmcnt(0)
	v_add_f32_e32 v27, v27, v13
	s_or_b32 exec_lo, exec_lo, s1
	s_and_saveexec_b32 s1, vcc_lo
	s_cbranch_execz .LBB100_79
.LBB100_120:
	v_lshl_add_u32 v13, v10, 2, v12
	ds_load_b32 v13, v13 offset:64
	s_waitcnt lgkmcnt(0)
	v_add_f32_e32 v26, v26, v13
	s_or_b32 exec_lo, exec_lo, s1
	s_and_saveexec_b32 s1, vcc_lo
	s_cbranch_execz .LBB100_80
.LBB100_121:
	v_lshl_add_u32 v13, v10, 2, v12
	ds_load_b32 v13, v13 offset:128
	s_waitcnt lgkmcnt(0)
	v_add_f32_e32 v25, v25, v13
	s_or_b32 exec_lo, exec_lo, s1
	s_and_saveexec_b32 s1, vcc_lo
	s_cbranch_execz .LBB100_81
.LBB100_122:
	v_lshl_add_u32 v13, v10, 2, v12
	ds_load_b32 v13, v13 offset:192
	s_waitcnt lgkmcnt(0)
	v_add_f32_e32 v24, v24, v13
	s_or_b32 exec_lo, exec_lo, s1
	s_and_saveexec_b32 s1, vcc_lo
	s_cbranch_execz .LBB100_82
.LBB100_123:
	v_lshl_add_u32 v13, v10, 2, v12
	ds_load_b32 v13, v13 offset:256
	s_waitcnt lgkmcnt(0)
	v_add_f32_e32 v23, v23, v13
	s_or_b32 exec_lo, exec_lo, s1
	s_and_saveexec_b32 s1, vcc_lo
	s_cbranch_execz .LBB100_83
.LBB100_124:
	v_lshl_add_u32 v13, v10, 2, v12
	ds_load_b32 v13, v13 offset:320
	s_waitcnt lgkmcnt(0)
	v_add_f32_e32 v22, v22, v13
	s_or_b32 exec_lo, exec_lo, s1
	s_and_saveexec_b32 s1, vcc_lo
	s_cbranch_execz .LBB100_84
.LBB100_125:
	v_lshl_add_u32 v13, v10, 2, v12
	ds_load_b32 v13, v13 offset:384
	s_waitcnt lgkmcnt(0)
	v_add_f32_e32 v11, v11, v13
	s_or_b32 exec_lo, exec_lo, s1
	s_and_saveexec_b32 s1, vcc_lo
	s_cbranch_execz .LBB100_85
.LBB100_126:
	v_lshl_add_u32 v13, v10, 2, v12
	ds_load_b32 v13, v13 offset:448
	s_waitcnt lgkmcnt(0)
	v_add_f32_e32 v9, v9, v13
	s_or_b32 exec_lo, exec_lo, s1
	s_and_saveexec_b32 s1, vcc_lo
	s_cbranch_execz .LBB100_86
.LBB100_127:
	v_lshl_add_u32 v13, v10, 2, v12
	ds_load_b32 v13, v13 offset:512
	s_waitcnt lgkmcnt(0)
	v_add_f32_e32 v8, v8, v13
	s_or_b32 exec_lo, exec_lo, s1
	s_and_saveexec_b32 s1, vcc_lo
	s_cbranch_execz .LBB100_87
.LBB100_128:
	v_lshl_add_u32 v13, v10, 2, v12
	ds_load_b32 v13, v13 offset:576
	s_waitcnt lgkmcnt(0)
	v_add_f32_e32 v7, v7, v13
	s_or_b32 exec_lo, exec_lo, s1
	s_and_saveexec_b32 s1, vcc_lo
	s_cbranch_execz .LBB100_88
.LBB100_129:
	v_lshl_add_u32 v13, v10, 2, v12
	ds_load_b32 v13, v13 offset:640
	s_waitcnt lgkmcnt(0)
	v_add_f32_e32 v6, v6, v13
	s_or_b32 exec_lo, exec_lo, s1
	s_and_saveexec_b32 s1, vcc_lo
	s_cbranch_execz .LBB100_89
.LBB100_130:
	v_lshl_add_u32 v13, v10, 2, v12
	ds_load_b32 v13, v13 offset:704
	s_waitcnt lgkmcnt(0)
	v_add_f32_e32 v4, v4, v13
	s_or_b32 exec_lo, exec_lo, s1
	s_and_saveexec_b32 s1, vcc_lo
	s_cbranch_execz .LBB100_90
.LBB100_131:
	v_lshl_add_u32 v13, v10, 2, v12
	ds_load_b32 v13, v13 offset:768
	s_waitcnt lgkmcnt(0)
	v_add_f32_e32 v2, v2, v13
	s_or_b32 exec_lo, exec_lo, s1
	s_and_saveexec_b32 s1, vcc_lo
	s_cbranch_execz .LBB100_91
.LBB100_132:
	v_lshl_add_u32 v13, v10, 2, v12
	ds_load_b32 v13, v13 offset:832
	s_waitcnt lgkmcnt(0)
	v_add_f32_e32 v1, v1, v13
	s_or_b32 exec_lo, exec_lo, s1
	s_and_saveexec_b32 s1, vcc_lo
	s_cbranch_execz .LBB100_92
.LBB100_133:
	v_lshl_add_u32 v13, v10, 2, v12
	ds_load_b32 v13, v13 offset:896
	s_waitcnt lgkmcnt(0)
	v_add_f32_e32 v5, v5, v13
	s_or_b32 exec_lo, exec_lo, s1
	s_and_saveexec_b32 s1, vcc_lo
	s_cbranch_execnz .LBB100_93
	s_branch .LBB100_94
.LBB100_134:
	ds_load_b32 v10, v0
	s_waitcnt lgkmcnt(0)
	v_add_f32_e32 v27, v27, v10
	s_or_b32 exec_lo, exec_lo, s0
	s_and_saveexec_b32 s0, vcc_lo
	s_cbranch_execz .LBB100_100
.LBB100_135:
	ds_load_b32 v10, v0 offset:64
	s_waitcnt lgkmcnt(0)
	v_add_f32_e32 v26, v26, v10
	s_or_b32 exec_lo, exec_lo, s0
	s_and_saveexec_b32 s0, vcc_lo
	s_cbranch_execz .LBB100_101
.LBB100_136:
	ds_load_b32 v10, v0 offset:128
	s_waitcnt lgkmcnt(0)
	v_add_f32_e32 v25, v25, v10
	s_or_b32 exec_lo, exec_lo, s0
	s_and_saveexec_b32 s0, vcc_lo
	s_cbranch_execz .LBB100_102
.LBB100_137:
	ds_load_b32 v10, v0 offset:192
	s_waitcnt lgkmcnt(0)
	v_add_f32_e32 v24, v24, v10
	s_or_b32 exec_lo, exec_lo, s0
	s_and_saveexec_b32 s0, vcc_lo
	s_cbranch_execz .LBB100_103
.LBB100_138:
	ds_load_b32 v10, v0 offset:256
	s_waitcnt lgkmcnt(0)
	v_add_f32_e32 v23, v23, v10
	s_or_b32 exec_lo, exec_lo, s0
	s_and_saveexec_b32 s0, vcc_lo
	s_cbranch_execz .LBB100_104
.LBB100_139:
	ds_load_b32 v10, v0 offset:320
	s_waitcnt lgkmcnt(0)
	v_add_f32_e32 v22, v22, v10
	s_or_b32 exec_lo, exec_lo, s0
	s_and_saveexec_b32 s0, vcc_lo
	s_cbranch_execz .LBB100_105
.LBB100_140:
	ds_load_b32 v10, v0 offset:384
	s_waitcnt lgkmcnt(0)
	v_add_f32_e32 v11, v11, v10
	s_or_b32 exec_lo, exec_lo, s0
	s_and_saveexec_b32 s0, vcc_lo
	s_cbranch_execz .LBB100_106
.LBB100_141:
	ds_load_b32 v10, v0 offset:448
	s_waitcnt lgkmcnt(0)
	v_add_f32_e32 v9, v9, v10
	s_or_b32 exec_lo, exec_lo, s0
	s_and_saveexec_b32 s0, vcc_lo
	s_cbranch_execz .LBB100_107
.LBB100_142:
	ds_load_b32 v10, v0 offset:512
	s_waitcnt lgkmcnt(0)
	v_add_f32_e32 v8, v8, v10
	s_or_b32 exec_lo, exec_lo, s0
	s_and_saveexec_b32 s0, vcc_lo
	s_cbranch_execz .LBB100_108
.LBB100_143:
	ds_load_b32 v10, v0 offset:576
	s_waitcnt lgkmcnt(0)
	v_add_f32_e32 v7, v7, v10
	s_or_b32 exec_lo, exec_lo, s0
	s_and_saveexec_b32 s0, vcc_lo
	s_cbranch_execz .LBB100_109
.LBB100_144:
	ds_load_b32 v10, v0 offset:640
	s_waitcnt lgkmcnt(0)
	v_add_f32_e32 v6, v6, v10
	s_or_b32 exec_lo, exec_lo, s0
	s_and_saveexec_b32 s0, vcc_lo
	s_cbranch_execz .LBB100_110
.LBB100_145:
	ds_load_b32 v10, v0 offset:704
	s_waitcnt lgkmcnt(0)
	v_add_f32_e32 v4, v4, v10
	s_or_b32 exec_lo, exec_lo, s0
	s_and_saveexec_b32 s0, vcc_lo
	s_cbranch_execz .LBB100_111
.LBB100_146:
	ds_load_b32 v10, v0 offset:768
	s_waitcnt lgkmcnt(0)
	v_add_f32_e32 v2, v2, v10
	s_or_b32 exec_lo, exec_lo, s0
	s_and_saveexec_b32 s0, vcc_lo
	s_cbranch_execz .LBB100_112
.LBB100_147:
	ds_load_b32 v10, v0 offset:832
	s_waitcnt lgkmcnt(0)
	v_add_f32_e32 v1, v1, v10
	s_or_b32 exec_lo, exec_lo, s0
	s_and_saveexec_b32 s0, vcc_lo
	s_cbranch_execz .LBB100_113
.LBB100_148:
	ds_load_b32 v10, v0 offset:896
	s_waitcnt lgkmcnt(0)
	v_add_f32_e32 v5, v5, v10
	s_or_b32 exec_lo, exec_lo, s0
	s_and_saveexec_b32 s0, vcc_lo
	s_cbranch_execnz .LBB100_114
	s_branch .LBB100_115
	.section	.rodata,"a",@progbits
	.p2align	6, 0x0
	.amdhsa_kernel _ZN4vllm25paged_attention_v2_kernelIttLi256ELi16ELi128ELNS_18Fp8KVCacheDataTypeE0ELb1ELi512EEEvPfS2_PT_PKS3_PKT0_S9_ifPKiSB_iPKfiiiSD_SD_iiiii
		.amdhsa_group_segment_fixed_size 544
		.amdhsa_private_segment_fixed_size 0
		.amdhsa_kernarg_size 400
		.amdhsa_user_sgpr_count 13
		.amdhsa_user_sgpr_dispatch_ptr 0
		.amdhsa_user_sgpr_queue_ptr 0
		.amdhsa_user_sgpr_kernarg_segment_ptr 1
		.amdhsa_user_sgpr_dispatch_id 0
		.amdhsa_user_sgpr_private_segment_size 0
		.amdhsa_wavefront_size32 1
		.amdhsa_uses_dynamic_stack 0
		.amdhsa_enable_private_segment 0
		.amdhsa_system_sgpr_workgroup_id_x 1
		.amdhsa_system_sgpr_workgroup_id_y 1
		.amdhsa_system_sgpr_workgroup_id_z 1
		.amdhsa_system_sgpr_workgroup_info 0
		.amdhsa_system_vgpr_workitem_id 0
		.amdhsa_next_free_vgpr 134
		.amdhsa_next_free_sgpr 46
		.amdhsa_reserve_vcc 1
		.amdhsa_float_round_mode_32 0
		.amdhsa_float_round_mode_16_64 0
		.amdhsa_float_denorm_mode_32 3
		.amdhsa_float_denorm_mode_16_64 3
		.amdhsa_dx10_clamp 1
		.amdhsa_ieee_mode 1
		.amdhsa_fp16_overflow 0
		.amdhsa_workgroup_processor_mode 1
		.amdhsa_memory_ordered 1
		.amdhsa_forward_progress 0
		.amdhsa_shared_vgpr_count 0
		.amdhsa_exception_fp_ieee_invalid_op 0
		.amdhsa_exception_fp_denorm_src 0
		.amdhsa_exception_fp_ieee_div_zero 0
		.amdhsa_exception_fp_ieee_overflow 0
		.amdhsa_exception_fp_ieee_underflow 0
		.amdhsa_exception_fp_ieee_inexact 0
		.amdhsa_exception_int_div_zero 0
	.end_amdhsa_kernel
	.section	.text._ZN4vllm25paged_attention_v2_kernelIttLi256ELi16ELi128ELNS_18Fp8KVCacheDataTypeE0ELb1ELi512EEEvPfS2_PT_PKS3_PKT0_S9_ifPKiSB_iPKfiiiSD_SD_iiiii,"axG",@progbits,_ZN4vllm25paged_attention_v2_kernelIttLi256ELi16ELi128ELNS_18Fp8KVCacheDataTypeE0ELb1ELi512EEEvPfS2_PT_PKS3_PKT0_S9_ifPKiSB_iPKfiiiSD_SD_iiiii,comdat
.Lfunc_end100:
	.size	_ZN4vllm25paged_attention_v2_kernelIttLi256ELi16ELi128ELNS_18Fp8KVCacheDataTypeE0ELb1ELi512EEEvPfS2_PT_PKS3_PKT0_S9_ifPKiSB_iPKfiiiSD_SD_iiiii, .Lfunc_end100-_ZN4vllm25paged_attention_v2_kernelIttLi256ELi16ELi128ELNS_18Fp8KVCacheDataTypeE0ELb1ELi512EEEvPfS2_PT_PKS3_PKT0_S9_ifPKiSB_iPKfiiiSD_SD_iiiii
                                        ; -- End function
	.section	.AMDGPU.csdata,"",@progbits
; Kernel info:
; codeLenInByte = 21596
; NumSgprs: 48
; NumVgprs: 134
; ScratchSize: 0
; MemoryBound: 0
; FloatMode: 240
; IeeeMode: 1
; LDSByteSize: 544 bytes/workgroup (compile time only)
; SGPRBlocks: 5
; VGPRBlocks: 16
; NumSGPRsForWavesPerEU: 48
; NumVGPRsForWavesPerEU: 134
; Occupancy: 10
; WaveLimiterHint : 1
; COMPUTE_PGM_RSRC2:SCRATCH_EN: 0
; COMPUTE_PGM_RSRC2:USER_SGPR: 13
; COMPUTE_PGM_RSRC2:TRAP_HANDLER: 0
; COMPUTE_PGM_RSRC2:TGID_X_EN: 1
; COMPUTE_PGM_RSRC2:TGID_Y_EN: 1
; COMPUTE_PGM_RSRC2:TGID_Z_EN: 1
; COMPUTE_PGM_RSRC2:TIDIG_COMP_CNT: 0
	.section	.text._ZN4vllm25paged_attention_v2_kernelIttLi32ELi16ELi128ELNS_18Fp8KVCacheDataTypeE0ELb0ELi512EEEvPfS2_PT_PKS3_PKT0_S9_ifPKiSB_iPKfiiiSD_SD_iiiii,"axG",@progbits,_ZN4vllm25paged_attention_v2_kernelIttLi32ELi16ELi128ELNS_18Fp8KVCacheDataTypeE0ELb0ELi512EEEvPfS2_PT_PKS3_PKT0_S9_ifPKiSB_iPKfiiiSD_SD_iiiii,comdat
	.protected	_ZN4vllm25paged_attention_v2_kernelIttLi32ELi16ELi128ELNS_18Fp8KVCacheDataTypeE0ELb0ELi512EEEvPfS2_PT_PKS3_PKT0_S9_ifPKiSB_iPKfiiiSD_SD_iiiii ; -- Begin function _ZN4vllm25paged_attention_v2_kernelIttLi32ELi16ELi128ELNS_18Fp8KVCacheDataTypeE0ELb0ELi512EEEvPfS2_PT_PKS3_PKT0_S9_ifPKiSB_iPKfiiiSD_SD_iiiii
	.globl	_ZN4vllm25paged_attention_v2_kernelIttLi32ELi16ELi128ELNS_18Fp8KVCacheDataTypeE0ELb0ELi512EEEvPfS2_PT_PKS3_PKT0_S9_ifPKiSB_iPKfiiiSD_SD_iiiii
	.p2align	8
	.type	_ZN4vllm25paged_attention_v2_kernelIttLi32ELi16ELi128ELNS_18Fp8KVCacheDataTypeE0ELb0ELi512EEEvPfS2_PT_PKS3_PKT0_S9_ifPKiSB_iPKfiiiSD_SD_iiiii,@function
_ZN4vllm25paged_attention_v2_kernelIttLi32ELi16ELi128ELNS_18Fp8KVCacheDataTypeE0ELb0ELi512EEEvPfS2_PT_PKS3_PKT0_S9_ifPKiSB_iPKfiiiSD_SD_iiiii: ; @_ZN4vllm25paged_attention_v2_kernelIttLi32ELi16ELi128ELNS_18Fp8KVCacheDataTypeE0ELb0ELi512EEEvPfS2_PT_PKS3_PKT0_S9_ifPKiSB_iPKfiiiSD_SD_iiiii
; %bb.0:
	s_load_b64 s[2:3], s[0:1], 0x40
	s_mov_b32 s18, s15
	s_ashr_i32 s15, s14, 31
	s_delay_alu instid0(SALU_CYCLE_1)
	s_lshl_b64 s[4:5], s[14:15], 2
	s_waitcnt lgkmcnt(0)
	s_add_u32 s2, s2, s4
	s_addc_u32 s3, s3, s5
	s_lshl_b32 s31, s18, 9
	s_load_b32 s30, s[2:3], 0x0
	s_waitcnt lgkmcnt(0)
	s_cmp_ge_i32 s31, s30
	s_cbranch_scc1 .LBB101_56
; %bb.1:
	s_clause 0x1
	s_load_b32 s15, s[0:1], 0x90
	s_load_b64 s[28:29], s[0:1], 0x30
	s_mov_b32 s20, s13
	s_mov_b32 s19, 0
	s_waitcnt lgkmcnt(0)
	s_abs_i32 s5, s15
	s_abs_i32 s2, s28
	s_delay_alu instid0(SALU_CYCLE_1) | instskip(SKIP_1) | instid1(VALU_DEP_1)
	v_cvt_f32_u32_e32 v1, s2
	s_sub_i32 s4, 0, s2
	v_rcp_iflag_f32_e32 v1, v1
	s_waitcnt_depctr 0xfff
	v_mul_f32_e32 v1, 0x4f7ffffe, v1
	s_delay_alu instid0(VALU_DEP_1) | instskip(NEXT) | instid1(VALU_DEP_1)
	v_cvt_u32_f32_e32 v1, v1
	v_readfirstlane_b32 s3, v1
	s_delay_alu instid0(VALU_DEP_1) | instskip(NEXT) | instid1(SALU_CYCLE_1)
	s_mul_i32 s4, s4, s3
	s_mul_hi_u32 s4, s3, s4
	s_delay_alu instid0(SALU_CYCLE_1) | instskip(SKIP_4) | instid1(SALU_CYCLE_1)
	s_add_i32 s3, s3, s4
	s_xor_b32 s4, s15, s28
	s_mul_hi_u32 s3, s5, s3
	s_ashr_i32 s4, s4, 31
	s_mul_i32 s6, s3, s2
	s_sub_i32 s5, s5, s6
	s_add_i32 s6, s3, 1
	s_sub_i32 s7, s5, s2
	s_cmp_ge_u32 s5, s2
	s_cselect_b32 s3, s6, s3
	s_cselect_b32 s5, s7, s5
	s_add_i32 s6, s3, 1
	s_cmp_ge_u32 s5, s2
	s_cselect_b32 s2, s6, s3
	s_abs_i32 s10, s13
	s_xor_b32 s2, s2, s4
	s_delay_alu instid0(SALU_CYCLE_1) | instskip(SKIP_2) | instid1(SALU_CYCLE_1)
	s_sub_i32 s11, s2, s4
	s_load_b64 s[2:3], s[0:1], 0x50
	s_abs_i32 s8, s11
	v_cvt_f32_u32_e32 v1, s8
	s_sub_i32 s5, 0, s8
	s_delay_alu instid0(VALU_DEP_1) | instskip(SKIP_2) | instid1(VALU_DEP_1)
	v_rcp_iflag_f32_e32 v1, v1
	s_waitcnt_depctr 0xfff
	v_mul_f32_e32 v1, 0x4f7ffffe, v1
	v_cvt_u32_f32_e32 v1, v1
	s_delay_alu instid0(VALU_DEP_1) | instskip(NEXT) | instid1(VALU_DEP_1)
	v_readfirstlane_b32 s4, v1
	s_mul_i32 s5, s5, s4
	s_delay_alu instid0(SALU_CYCLE_1) | instskip(NEXT) | instid1(SALU_CYCLE_1)
	s_mul_hi_u32 s5, s4, s5
	s_add_i32 s4, s4, s5
	s_waitcnt lgkmcnt(0)
	s_cmp_eq_u64 s[2:3], 0
	s_mul_hi_u32 s9, s10, s4
	s_cbranch_scc1 .LBB101_3
; %bb.2:
	s_ashr_i32 s21, s20, 31
	s_delay_alu instid0(SALU_CYCLE_1) | instskip(NEXT) | instid1(SALU_CYCLE_1)
	s_lshl_b64 s[4:5], s[20:21], 2
	s_add_u32 s2, s2, s4
	s_addc_u32 s3, s3, s5
	s_load_b32 s19, s[2:3], 0x0
.LBB101_3:
	s_load_b128 s[4:7], s[0:1], 0x58
	v_lshrrev_b32_e32 v10, 1, v0
	v_and_b32_e32 v11, 1, v0
	v_lshlrev_b32_e32 v3, 3, v0
	s_ashr_i32 s2, s20, 31
	s_ashr_i32 s3, s11, 31
	s_lshl_b32 s12, s20, 5
	s_waitcnt lgkmcnt(0)
	s_mov_b32 s7, exec_lo
	v_cmpx_gt_u32_e32 8, v0
	s_cbranch_execz .LBB101_5
; %bb.4:
	s_load_b64 s[16:17], s[0:1], 0x18
	s_mul_i32 s22, s14, s4
	v_lshlrev_b32_e32 v4, 3, v10
	s_ashr_i32 s23, s22, 31
	s_delay_alu instid0(SALU_CYCLE_1) | instskip(NEXT) | instid1(VALU_DEP_1)
	s_lshl_b64 s[22:23], s[22:23], 1
	v_lshl_add_u32 v4, v11, 5, v4
	s_waitcnt lgkmcnt(0)
	s_add_u32 s4, s16, s22
	s_addc_u32 s11, s17, s23
	s_ashr_i32 s13, s12, 31
	s_delay_alu instid0(SALU_CYCLE_1) | instskip(NEXT) | instid1(SALU_CYCLE_1)
	s_lshl_b64 s[16:17], s[12:13], 1
	s_add_u32 s16, s4, s16
	s_addc_u32 s17, s11, s17
	global_load_b64 v[1:2], v3, s[16:17]
	s_waitcnt vmcnt(0)
	ds_store_b64 v4, v[1:2]
.LBB101_5:
	s_or_b32 exec_lo, exec_lo, s7
	s_add_i32 s7, s30, 15
	s_lshl_b32 s4, s18, 5
	s_ashr_i32 s11, s7, 31
	s_xor_b32 s2, s2, s3
	s_lshr_b32 s11, s11, 28
	s_add_i32 s3, s4, 32
	s_add_i32 s7, s7, s11
	s_clause 0x1
	s_load_b64 s[22:23], s[0:1], 0x38
	s_load_b32 s11, s[0:1], 0x48
	s_ashr_i32 s28, s7, 4
	s_mul_i32 s7, s9, s8
	s_min_i32 s21, s3, s28
	s_sub_i32 s3, s10, s7
	s_add_i32 s7, s9, 1
	s_sub_i32 s10, s3, s8
	s_cmp_ge_u32 s3, s8
	v_lshrrev_b32_e32 v12, 5, v0
	s_cselect_b32 s7, s7, s9
	s_cselect_b32 s3, s10, s3
	s_add_i32 s9, s7, 1
	s_cmp_ge_u32 s3, s8
	v_or_b32_e32 v5, s4, v12
	s_cselect_b32 s3, s9, s7
	v_mbcnt_lo_u32_b32 v7, -1, 0
	s_xor_b32 s3, s3, s2
	s_mov_b32 s8, exec_lo
	s_sub_i32 s3, s3, s2
	v_cmp_gt_i32_e64 s2, s21, v5
	s_waitcnt lgkmcnt(0)
	s_mul_i32 s24, s14, s11
	s_delay_alu instid0(SALU_CYCLE_1)
	s_ashr_i32 s25, s24, 31
	s_barrier
	buffer_gl0_inv
                                        ; implicit-def: $sgpr7
                                        ; implicit-def: $vgpr8
	v_cmpx_le_i32_e64 s21, v5
	s_xor_b32 s8, exec_lo, s8
; %bb.6:
	v_mbcnt_lo_u32_b32 v7, -1, 0
	v_mov_b32_e32 v8, 32
	s_mov_b32 s7, 0xff7fffff
; %bb.7:
	s_or_saveexec_b32 s33, s8
	s_clause 0x3
	s_load_b128 s[8:11], s[0:1], 0x0
	s_load_b64 s[16:17], s[0:1], 0x10
	s_load_b64 s[26:27], s[0:1], 0x28
	s_load_b32 s13, s[0:1], 0x98
	v_dual_mov_b32 v9, s7 :: v_dual_lshlrev_b32 v4, 4, v12
	v_ashrrev_i32_e32 v6, 31, v5
	s_mul_i32 s6, s3, s6
	s_xor_b32 exec_lo, exec_lo, s33
	s_cbranch_execz .LBB101_13
; %bb.8:
	s_load_b64 s[34:35], s[0:1], 0x20
	v_bfe_u32 v8, v0, 1, 4
	s_ashr_i32 s7, s6, 31
	v_and_b32_e32 v9, 8, v3
	s_lshl_b64 s[36:37], s[6:7], 1
	v_lshlrev_b32_e32 v13, 5, v11
	v_lshlrev_b32_e32 v16, 4, v8
	;; [unrolled: 1-line block ×3, first 2 shown]
	v_add3_u32 v14, s31, v4, v8
	v_cmp_eq_u32_e32 vcc_lo, 0, v11
	v_cmp_neq_f32_e64 s0, s19, 0
	v_xor_b32_e32 v18, 1, v7
	v_mov_b32_e32 v19, v5
	s_waitcnt lgkmcnt(0)
	s_add_u32 s1, s34, s36
	s_addc_u32 s3, s35, s37
	v_add_co_u32 v8, s1, s1, v16
	s_delay_alu instid0(VALU_DEP_1) | instskip(SKIP_1) | instid1(VALU_DEP_2)
	v_add_co_ci_u32_e64 v17, null, s3, 0, s1
	s_lshl_b64 s[34:35], s[24:25], 2
	v_add_co_u32 v16, s1, v8, v9
	v_mov_b32_e32 v8, 32
	v_lshl_or_b32 v15, v12, 6, v1
	v_lshlrev_b64 v[1:2], 2, v[5:6]
	s_sub_i32 s7, 1, s30
	s_add_u32 s3, s22, s34
	v_add_co_ci_u32_e64 v17, s1, 0, v17, s1
	s_addc_u32 s34, s23, s35
	s_delay_alu instid0(VALU_DEP_2)
	v_add_co_u32 v1, s1, s3, v1
	v_add_nc_u32_e32 v15, 0x60, v15
	v_add_co_ci_u32_e64 v2, s1, s34, v2, s1
	v_mov_b32_e32 v9, 0xff7fffff
	s_mov_b32 s35, s5
	s_mov_b32 s34, 0
	s_branch .LBB101_10
.LBB101_9:                              ;   in Loop: Header=BB101_10 Depth=1
	s_or_b32 exec_lo, exec_lo, s3
	v_add_nc_u32_e32 v19, 4, v19
	v_add_co_u32 v1, s3, v1, 16
	v_add_nc_u32_e32 v14, 64, v14
	v_add_nc_u32_e32 v15, 0x100, v15
	s_delay_alu instid0(VALU_DEP_4) | instskip(SKIP_1) | instid1(VALU_DEP_2)
	v_cmp_le_i32_e64 s1, s21, v19
	v_add_co_ci_u32_e64 v2, s3, 0, v2, s3
	s_or_b32 s34, s1, s34
	s_delay_alu instid0(SALU_CYCLE_1)
	s_and_not1_b32 exec_lo, exec_lo, s34
	s_cbranch_execz .LBB101_12
.LBB101_10:                             ; =>This Inner Loop Header: Depth=1
	global_load_b32 v22, v[1:2], off
	s_waitcnt vmcnt(0) lgkmcnt(0)
	v_mad_i64_i32 v[20:21], null, v22, s35, 0
	s_delay_alu instid0(VALU_DEP_1) | instskip(NEXT) | instid1(VALU_DEP_1)
	v_lshlrev_b64 v[20:21], 1, v[20:21]
	v_add_co_u32 v20, s1, v16, v20
	s_delay_alu instid0(VALU_DEP_1)
	v_add_co_ci_u32_e64 v21, s1, v17, v21, s1
	v_cmp_gt_i32_e64 s1, 32, v18
	s_clause 0x3
	global_load_b64 v[22:23], v[20:21], off
	global_load_b64 v[24:25], v[20:21], off offset:256
	global_load_b64 v[26:27], v[20:21], off offset:512
	;; [unrolled: 1-line block ×3, first 2 shown]
	ds_load_b64 v[28:29], v13
	s_waitcnt lgkmcnt(0)
	v_and_b32_e32 v30, 0xffff, v28
	v_lshrrev_b32_e32 v28, 16, v28
	v_lshrrev_b32_e32 v31, 16, v29
	v_and_b32_e32 v29, 0xffff, v29
	;;#ASMSTART
	v_cvt_f32_f16 v30, v30;
	;;#ASMEND
	;;#ASMSTART
	v_cvt_f32_f16 v28, v28;
	;;#ASMEND
	s_waitcnt vmcnt(3)
	v_and_b32_e32 v32, 0xffff, v22
	v_lshrrev_b32_e32 v22, 16, v22
	v_lshrrev_b32_e32 v33, 16, v23
	v_and_b32_e32 v23, 0xffff, v23
	;;#ASMSTART
	v_cvt_f32_f16 v32, v32;
	;;#ASMEND
	;;#ASMSTART
	v_cvt_f32_f16 v34, v22;
	;;#ASMEND
	;;#ASMSTART
	v_cvt_f32_f16 v29, v29;
	;;#ASMEND
	;;#ASMSTART
	v_cvt_f32_f16 v31, v31;
	;;#ASMEND
	;;#ASMSTART
	v_cvt_f32_f16 v35, v23;
	;;#ASMEND
	;;#ASMSTART
	v_cvt_f32_f16 v33, v33;
	;;#ASMEND
	ds_load_b64 v[22:23], v13 offset:8
	s_waitcnt vmcnt(2)
	v_lshrrev_b32_e32 v36, 16, v24
	v_and_b32_e32 v24, 0xffff, v24
	v_lshrrev_b32_e32 v37, 16, v25
	s_waitcnt vmcnt(1)
	v_lshrrev_b32_e32 v42, 16, v26
	v_lshrrev_b32_e32 v43, 16, v27
	s_waitcnt vmcnt(0)
	v_lshrrev_b32_e32 v48, 16, v20
	s_waitcnt lgkmcnt(0)
	v_and_b32_e32 v38, 0xffff, v22
	v_lshrrev_b32_e32 v22, 16, v22
	;;#ASMSTART
	v_cvt_f32_f16 v38, v38;
	;;#ASMEND
	;;#ASMSTART
	v_cvt_f32_f16 v40, v22;
	;;#ASMEND
	;; [unrolled: 3-line block ×4, first 2 shown]
	v_mul_f32_e32 v24, v38, v24
	v_dual_mul_f32 v36, v40, v36 :: v_dual_and_b32 v25, 0xffff, v25
	v_lshrrev_b32_e32 v39, 16, v23
	s_delay_alu instid0(VALU_DEP_3) | instskip(NEXT) | instid1(VALU_DEP_3)
	v_dual_fmac_f32 v24, v30, v32 :: v_dual_and_b32 v23, 0xffff, v23
	v_fmac_f32_e32 v36, v28, v34
	;;#ASMSTART
	v_cvt_f32_f16 v41, v23;
	;;#ASMEND
	;;#ASMSTART
	v_cvt_f32_f16 v39, v39;
	;;#ASMEND
	;;#ASMSTART
	v_cvt_f32_f16 v25, v25;
	;;#ASMEND
	;;#ASMSTART
	v_cvt_f32_f16 v37, v37;
	;;#ASMEND
	ds_load_b64 v[22:23], v13 offset:16
	v_mul_f32_e32 v25, v41, v25
	v_mul_f32_e32 v37, v39, v37
	v_lshrrev_b32_e32 v38, 16, v21
	s_delay_alu instid0(VALU_DEP_3) | instskip(SKIP_1) | instid1(VALU_DEP_3)
	v_dual_fmac_f32 v25, v29, v35 :: v_dual_and_b32 v26, 0xffff, v26
	s_waitcnt lgkmcnt(0)
	v_dual_fmac_f32 v37, v31, v33 :: v_dual_and_b32 v44, 0xffff, v22
	v_lshrrev_b32_e32 v22, 16, v22
	v_lshrrev_b32_e32 v45, 16, v23
	;;#ASMSTART
	v_cvt_f32_f16 v44, v44;
	;;#ASMEND
	;;#ASMSTART
	v_cvt_f32_f16 v46, v22;
	;;#ASMEND
	;;#ASMSTART
	v_cvt_f32_f16 v26, v26;
	;;#ASMEND
	v_dual_fmac_f32 v24, v44, v26 :: v_dual_and_b32 v27, 0xffff, v27
	;;#ASMSTART
	v_cvt_f32_f16 v42, v42;
	;;#ASMEND
	v_dual_fmac_f32 v36, v46, v42 :: v_dual_and_b32 v23, 0xffff, v23
	;;#ASMSTART
	v_cvt_f32_f16 v47, v23;
	;;#ASMEND
	;;#ASMSTART
	v_cvt_f32_f16 v45, v45;
	;;#ASMEND
	;; [unrolled: 3-line block ×4, first 2 shown]
	ds_load_b64 v[22:23], v13 offset:24
	v_fmac_f32_e32 v25, v47, v27
	v_dual_fmac_f32 v37, v45, v43 :: v_dual_and_b32 v20, 0xffff, v20
	s_waitcnt lgkmcnt(0)
	v_and_b32_e32 v26, 0xffff, v22
	v_lshrrev_b32_e32 v22, 16, v22
	v_lshrrev_b32_e32 v27, 16, v23
	;;#ASMSTART
	v_cvt_f32_f16 v26, v26;
	;;#ASMEND
	;;#ASMSTART
	v_cvt_f32_f16 v22, v22;
	;;#ASMEND
	;; [unrolled: 3-line block ×3, first 2 shown]
	v_dual_fmac_f32 v24, v26, v20 :: v_dual_and_b32 v21, 0xffff, v21
	;;#ASMSTART
	v_cvt_f32_f16 v28, v48;
	;;#ASMEND
	v_dual_fmac_f32 v36, v22, v28 :: v_dual_and_b32 v23, 0xffff, v23
	;;#ASMSTART
	v_cvt_f32_f16 v20, v23;
	;;#ASMEND
	;;#ASMSTART
	v_cvt_f32_f16 v22, v27;
	;;#ASMEND
	;; [unrolled: 3-line block ×3, first 2 shown]
	v_fmac_f32_e32 v25, v20, v21
	;;#ASMSTART
	v_cvt_f32_f16 v21, v38;
	;;#ASMEND
	v_fmac_f32_e32 v37, v22, v21
	v_cndmask_b32_e64 v21, v7, v18, s1
	s_delay_alu instid0(VALU_DEP_1) | instskip(NEXT) | instid1(VALU_DEP_1)
	v_dual_add_f32 v20, v24, v36 :: v_dual_lshlrev_b32 v21, 2, v21
	v_add_f32_e32 v20, v20, v25
	s_delay_alu instid0(VALU_DEP_1)
	v_add_f32_e32 v20, v37, v20
	ds_bpermute_b32 v21, v21, v20
	s_and_saveexec_b32 s3, vcc_lo
	s_cbranch_execz .LBB101_9
; %bb.11:                               ;   in Loop: Header=BB101_10 Depth=1
	s_waitcnt lgkmcnt(0)
	v_add_f32_e32 v20, v20, v21
	v_add_nc_u32_e32 v22, s7, v14
	v_cmp_gt_i32_e64 s1, s30, v14
	s_delay_alu instid0(VALU_DEP_2) | instskip(NEXT) | instid1(VALU_DEP_1)
	v_cvt_f32_i32_e32 v22, v22
	v_mul_f32_e32 v22, s19, v22
	s_delay_alu instid0(VALU_DEP_1) | instskip(NEXT) | instid1(VALU_DEP_1)
	v_cndmask_b32_e64 v21, 0, v22, s0
	v_dual_max_f32 v22, v9, v9 :: v_dual_fmac_f32 v21, s29, v20
	s_delay_alu instid0(VALU_DEP_1) | instskip(SKIP_1) | instid1(VALU_DEP_2)
	v_max_f32_e32 v20, v22, v21
	v_cndmask_b32_e64 v21, 0, v21, s1
	v_cndmask_b32_e64 v9, v9, v20, s1
	ds_store_b32 v15, v21
	s_branch .LBB101_9
.LBB101_12:
	s_or_b32 exec_lo, exec_lo, s34
.LBB101_13:
	s_delay_alu instid0(SALU_CYCLE_1) | instskip(SKIP_4) | instid1(VALU_DEP_4)
	s_or_b32 exec_lo, exec_lo, s33
	v_xor_b32_e32 v1, 16, v7
	v_xor_b32_e32 v2, 8, v7
	v_max_f32_e32 v13, v9, v9
	v_lshlrev_b32_e32 v17, 2, v12
	v_cmp_lt_i32_e32 vcc_lo, v1, v8
	v_cndmask_b32_e32 v1, v7, v1, vcc_lo
	v_cmp_lt_i32_e32 vcc_lo, v2, v8
	s_delay_alu instid0(VALU_DEP_2) | instskip(SKIP_4) | instid1(VALU_DEP_1)
	v_dual_cndmask_b32 v2, v7, v2 :: v_dual_lshlrev_b32 v15, 2, v1
	ds_bpermute_b32 v1, v15, v9
	v_lshlrev_b32_e32 v9, 2, v2
	s_waitcnt lgkmcnt(0)
	v_max_f32_e32 v1, v1, v1
	v_max_f32_e32 v1, v13, v1
	v_xor_b32_e32 v13, 4, v7
	ds_bpermute_b32 v2, v9, v1
	v_cmp_lt_i32_e32 vcc_lo, v13, v8
	s_waitcnt lgkmcnt(0)
	v_dual_cndmask_b32 v13, v7, v13 :: v_dual_max_f32 v2, v2, v2
	s_delay_alu instid0(VALU_DEP_1) | instskip(SKIP_1) | instid1(VALU_DEP_3)
	v_lshlrev_b32_e32 v16, 2, v13
	v_xor_b32_e32 v13, 2, v7
	v_max_f32_e32 v1, v1, v2
	s_delay_alu instid0(VALU_DEP_2) | instskip(SKIP_3) | instid1(VALU_DEP_1)
	v_cmp_lt_i32_e32 vcc_lo, v13, v8
	ds_bpermute_b32 v2, v16, v1
	s_waitcnt lgkmcnt(0)
	v_dual_cndmask_b32 v13, v7, v13 :: v_dual_max_f32 v2, v2, v2
	v_dual_max_f32 v1, v1, v2 :: v_dual_lshlrev_b32 v2, 2, v13
	v_and_b32_e32 v13, 31, v0
	ds_bpermute_b32 v14, v2, v1
	v_cmp_eq_u32_e32 vcc_lo, 0, v13
	s_and_saveexec_b32 s0, vcc_lo
	s_cbranch_execz .LBB101_15
; %bb.14:
	s_waitcnt lgkmcnt(0)
	v_dual_max_f32 v14, v14, v14 :: v_dual_max_f32 v1, v1, v1
	s_delay_alu instid0(VALU_DEP_1)
	v_max_f32_e32 v1, v1, v14
	ds_store_b32 v17, v1 offset:64
.LBB101_15:
	s_or_b32 exec_lo, exec_lo, s0
	v_cmp_gt_u32_e64 s0, 4, v13
	v_dual_mov_b32 v1, 0xff7fffff :: v_dual_lshlrev_b32 v18, 2, v13
	s_waitcnt lgkmcnt(0)
	s_barrier
	buffer_gl0_inv
	s_and_saveexec_b32 s1, s0
	s_cbranch_execz .LBB101_17
; %bb.16:
	ds_load_b32 v1, v18 offset:64
.LBB101_17:
	s_or_b32 exec_lo, exec_lo, s1
	s_waitcnt lgkmcnt(0)
	ds_bpermute_b32 v14, v2, v1
	v_xor_b32_e32 v19, 1, v7
	s_delay_alu instid0(VALU_DEP_1) | instskip(NEXT) | instid1(VALU_DEP_1)
	v_cmp_lt_i32_e64 s1, v19, v8
	v_cndmask_b32_e64 v8, v7, v19, s1
	v_max_f32_e32 v1, v1, v1
	v_lshlrev_b32_e32 v7, 2, v7
	s_sub_i32 s1, s21, s4
	s_delay_alu instid0(SALU_CYCLE_1) | instskip(NEXT) | instid1(SALU_CYCLE_1)
	s_lshl_b32 s1, s1, 4
	s_add_i32 s1, s1, s31
	s_delay_alu instid0(SALU_CYCLE_1) | instskip(SKIP_3) | instid1(SALU_CYCLE_1)
	s_min_i32 s1, s1, s30
	s_waitcnt lgkmcnt(0)
	v_dual_max_f32 v19, v14, v14 :: v_dual_lshlrev_b32 v14, 2, v8
	s_sub_i32 s7, s1, s31
	v_cmp_gt_i32_e64 s1, s7, v0
	s_delay_alu instid0(VALU_DEP_2) | instskip(SKIP_4) | instid1(VALU_DEP_1)
	v_max_f32_e32 v1, v1, v19
	v_mov_b32_e32 v19, 0
	ds_bpermute_b32 v8, v14, v1
	s_waitcnt lgkmcnt(0)
	v_max_f32_e32 v8, v8, v8
	v_dual_max_f32 v1, v1, v8 :: v_dual_and_b32 v8, 0xffffff80, v7
	v_lshl_add_u32 v7, v0, 2, 0x60
	ds_bpermute_b32 v1, v8, v1
	s_and_saveexec_b32 s19, s1
	s_cbranch_execz .LBB101_21
; %bb.18:
	v_lshl_add_u32 v20, v0, 2, 0x60
	v_mov_b32_e32 v19, 0
	v_mov_b32_e32 v21, v0
	s_mov_b32 s29, 0
	.p2align	6
.LBB101_19:                             ; =>This Inner Loop Header: Depth=1
	ds_load_b32 v22, v20
	v_add_nc_u32_e32 v21, 0x80, v21
	s_delay_alu instid0(VALU_DEP_1) | instskip(NEXT) | instid1(VALU_DEP_1)
	v_cmp_le_i32_e64 s3, s7, v21
	s_or_b32 s29, s3, s29
	s_waitcnt lgkmcnt(0)
	v_sub_f32_e32 v22, v22, v1
	s_delay_alu instid0(VALU_DEP_1) | instskip(NEXT) | instid1(VALU_DEP_1)
	v_mul_f32_e32 v22, 0x3fb8aa3b, v22
	v_exp_f32_e32 v22, v22
	ds_store_b32 v20, v22
	v_dual_add_f32 v19, v19, v22 :: v_dual_add_nc_u32 v20, 0x200, v20
	s_and_not1_b32 exec_lo, exec_lo, s29
	s_cbranch_execnz .LBB101_19
; %bb.20:
	s_or_b32 exec_lo, exec_lo, s29
.LBB101_21:
	s_delay_alu instid0(SALU_CYCLE_1)
	s_or_b32 exec_lo, exec_lo, s19
	ds_bpermute_b32 v15, v15, v19
	s_waitcnt lgkmcnt(0)
	v_add_f32_e32 v15, v19, v15
	ds_bpermute_b32 v9, v9, v15
	s_waitcnt lgkmcnt(0)
	v_add_f32_e32 v9, v15, v9
	;; [unrolled: 3-line block ×5, first 2 shown]
	s_and_saveexec_b32 s3, vcc_lo
	s_cbranch_execz .LBB101_23
; %bb.22:
	ds_store_b32 v17, v9 offset:80
.LBB101_23:
	s_or_b32 exec_lo, exec_lo, s3
	s_waitcnt lgkmcnt(0)
	s_barrier
	buffer_gl0_inv
	s_and_saveexec_b32 s3, s0
	s_cbranch_execz .LBB101_25
; %bb.24:
	ds_load_b32 v9, v18 offset:80
.LBB101_25:
	s_or_b32 exec_lo, exec_lo, s3
	s_waitcnt lgkmcnt(0)
	ds_bpermute_b32 v2, v2, v9
	s_waitcnt lgkmcnt(0)
	v_add_f32_e32 v2, v9, v2
	ds_bpermute_b32 v9, v14, v2
	s_waitcnt lgkmcnt(0)
	v_add_f32_e32 v2, v2, v9
	ds_bpermute_b32 v2, v8, v2
	s_and_saveexec_b32 s0, s1
	s_cbranch_execz .LBB101_28
; %bb.26:
	s_waitcnt lgkmcnt(0)
	v_add_f32_e32 v8, 0x358637bd, v2
	s_mov_b32 s1, 0
	s_delay_alu instid0(VALU_DEP_1) | instskip(NEXT) | instid1(VALU_DEP_1)
	v_div_scale_f32 v9, null, v8, v8, 1.0
	v_rcp_f32_e32 v15, v9
	s_waitcnt_depctr 0xfff
	v_fma_f32 v16, -v9, v15, 1.0
	s_delay_alu instid0(VALU_DEP_1) | instskip(SKIP_1) | instid1(VALU_DEP_1)
	v_fmac_f32_e32 v15, v16, v15
	v_div_scale_f32 v17, vcc_lo, 1.0, v8, 1.0
	v_mul_f32_e32 v16, v17, v15
	s_delay_alu instid0(VALU_DEP_1) | instskip(NEXT) | instid1(VALU_DEP_1)
	v_fma_f32 v18, -v9, v16, v17
	v_fmac_f32_e32 v16, v18, v15
	s_delay_alu instid0(VALU_DEP_1) | instskip(NEXT) | instid1(VALU_DEP_1)
	v_fma_f32 v9, -v9, v16, v17
	v_div_fmas_f32 v9, v9, v15, v16
	s_delay_alu instid0(VALU_DEP_1)
	v_div_fixup_f32 v8, v9, v8, 1.0
	v_mov_b32_e32 v9, v0
.LBB101_27:                             ; =>This Inner Loop Header: Depth=1
	ds_load_b32 v15, v7
	v_add_nc_u32_e32 v9, 0x80, v9
	s_delay_alu instid0(VALU_DEP_1)
	v_cmp_le_i32_e32 vcc_lo, s7, v9
	s_or_b32 s1, vcc_lo, s1
	s_waitcnt lgkmcnt(0)
	v_mul_f32_e32 v15, v8, v15
	ds_store_b32 v7, v15
	v_add_nc_u32_e32 v7, 0x200, v7
	s_and_not1_b32 exec_lo, exec_lo, s1
	s_cbranch_execnz .LBB101_27
.LBB101_28:
	s_or_b32 exec_lo, exec_lo, s0
	s_mul_i32 s0, s13, s14
	s_waitcnt lgkmcnt(0)
	s_mul_i32 s14, s0, s15
	s_mov_b32 s0, exec_lo
	s_barrier
	buffer_gl0_inv
	v_cmpx_eq_u32_e32 0, v0
	s_cbranch_execz .LBB101_30
; %bb.29:
	s_ashr_i32 s15, s14, 31
	s_mul_i32 s36, s13, s20
	s_lshl_b64 s[34:35], s[14:15], 2
	v_mov_b32_e32 v7, 0
	s_add_u32 s1, s10, s34
	s_addc_u32 s3, s11, s35
	s_ashr_i32 s37, s36, 31
	s_delay_alu instid0(SALU_CYCLE_1) | instskip(NEXT) | instid1(SALU_CYCLE_1)
	s_lshl_b64 s[10:11], s[36:37], 2
	s_add_u32 s1, s1, s10
	s_addc_u32 s3, s3, s11
	s_ashr_i32 s19, s18, 31
	s_delay_alu instid0(SALU_CYCLE_1) | instskip(NEXT) | instid1(SALU_CYCLE_1)
	s_lshl_b64 s[18:19], s[18:19], 2
	s_add_u32 s36, s1, s18
	s_addc_u32 s37, s3, s19
	s_add_u32 s1, s8, s34
	s_addc_u32 s3, s9, s35
	;; [unrolled: 2-line block ×4, first 2 shown]
	s_clause 0x1
	global_store_b32 v7, v1, s[36:37]
	global_store_b32 v7, v2, s[8:9]
.LBB101_30:
	s_or_b32 exec_lo, exec_lo, s0
	v_dual_mov_b32 v16, 0 :: v_dual_mov_b32 v15, 0
	s_mov_b32 s3, 0
	s_and_saveexec_b32 s1, s2
	s_cbranch_execz .LBB101_38
; %bb.31:
	v_dual_mov_b32 v15, 0 :: v_dual_lshlrev_b32 v2, 4, v0
	s_ashr_i32 s7, s6, 31
	v_dual_mov_b32 v16, 0 :: v_dual_and_b32 v1, 8, v3
	s_delay_alu instid0(VALU_DEP_2)
	v_and_b32_e32 v2, 0x1f0, v2
	s_lshl_b64 s[6:7], s[6:7], 1
	v_lshlrev_b32_e32 v3, 5, v11
	s_add_u32 s0, s26, s6
	v_add3_u32 v19, s31, v4, v1
	v_add_co_u32 v17, s0, s0, v2
	v_lshlrev_b64 v[1:2], 2, v[5:6]
	s_addc_u32 s9, s27, s7
	s_lshl_b64 s[10:11], s[24:25], 2
	s_add_i32 s28, s28, -1
	v_lshl_or_b32 v3, v12, 6, v3
	v_add_co_ci_u32_e64 v18, null, s9, 0, s0
	s_add_u32 s0, s22, s10
	s_addc_u32 s9, s23, s11
	v_add_co_u32 v6, vcc_lo, s0, v1
	v_add_nc_u32_e32 v20, 0x60, v3
	v_add_co_ci_u32_e32 v7, vcc_lo, s9, v2, vcc_lo
	s_mov_b32 s2, s5
	s_mov_b32 s5, s30
	;; [unrolled: 1-line block ×8, first 2 shown]
	s_branch .LBB101_33
.LBB101_32:                             ;   in Loop: Header=BB101_33 Depth=1
	s_or_b32 exec_lo, exec_lo, s0
	s_waitcnt vmcnt(0)
	;;#ASMSTART
	v_pk_mul_f16 v1, v31, v1;

	;;#ASMEND
	;;#ASMSTART
	v_pk_mul_f16 v2, v30, v2;

	;;#ASMEND
	;;#ASMSTART
	v_pk_mul_f16 v3, v29, v3;

	;;#ASMEND
	;;#ASMSTART
	v_pk_mul_f16 v4, v28, v4;

	;;#ASMEND
	;;#ASMSTART
	v_pk_add_f16 v1, v1, v2;

	;;#ASMEND
	;;#ASMSTART
	v_pk_add_f16 v1, v1, v3;

	;;#ASMEND
	v_dual_add_f32 v3, v32, v33 :: v_dual_add_nc_u32 v20, 0x100, v20
	;;#ASMSTART
	v_pk_add_f16 v1, v1, v4;

	;;#ASMEND
	v_and_b32_e32 v2, 0xffff, v1
	v_lshrrev_b32_e32 v1, 16, v1
	s_delay_alu instid0(VALU_DEP_3)
	v_add_f32_e32 v15, v15, v3
	v_add_nc_u32_e32 v5, 4, v5
	;;#ASMSTART
	v_cvt_f32_f16 v2, v2;
	;;#ASMEND
	;;#ASMSTART
	v_cvt_f32_f16 v1, v1;
	;;#ASMEND
	v_add_f32_e32 v1, v2, v1
	v_add_co_u32 v6, s0, v6, 16
	v_cmp_le_i32_e32 vcc_lo, s21, v5
	s_delay_alu instid0(VALU_DEP_3) | instskip(SKIP_2) | instid1(SALU_CYCLE_1)
	v_dual_add_f32 v16, v16, v1 :: v_dual_add_nc_u32 v19, 64, v19
	v_add_co_ci_u32_e64 v7, s0, 0, v7, s0
	s_or_b32 s3, vcc_lo, s3
	s_and_not1_b32 exec_lo, exec_lo, s3
	s_cbranch_execz .LBB101_37
.LBB101_33:                             ; =>This Inner Loop Header: Depth=1
	global_load_b32 v25, v[6:7], off
	ds_load_2addr_b64 v[1:4], v20 offset1:1
	ds_load_2addr_b64 v[21:24], v20 offset0:2 offset1:3
	v_or_b32_e32 v26, 7, v19
	v_or_b32_e32 v27, 6, v19
	s_waitcnt lgkmcnt(1)
	;;#ASMSTART
	v_cvt_f16_f32 v30, v1;

	;;#ASMEND
	;;#ASMSTART
	v_cvt_f16_f32 v28, v2;

	;;#ASMEND
	;; [unrolled: 4-line block ×4, first 2 shown]
	s_waitcnt lgkmcnt(0)
	;;#ASMSTART
	v_cvt_f16_f32 v34, v21;

	;;#ASMEND
	;;#ASMSTART
	v_cvt_f16_f32 v32, v22;

	;;#ASMEND
	;; [unrolled: 4-line block ×4, first 2 shown]
	v_add_nc_u32_e32 v21, 1, v19
	v_or_b32_e32 v23, 3, v19
	v_or_b32_e32 v22, 2, v19
	v_or_b32_e32 v24, 4, v19
	s_waitcnt vmcnt(0)
	v_mad_i64_i32 v[8:9], null, v25, s2, 0
	v_or_b32_e32 v25, 5, v19
	s_delay_alu instid0(VALU_DEP_2) | instskip(NEXT) | instid1(VALU_DEP_1)
	v_lshlrev_b64 v[8:9], 1, v[8:9]
	v_add_co_u32 v8, vcc_lo, v17, v8
	s_delay_alu instid0(VALU_DEP_2)
	v_add_co_ci_u32_e32 v9, vcc_lo, v18, v9, vcc_lo
	v_cmp_eq_u32_e32 vcc_lo, s28, v5
	global_load_b128 v[1:4], v[8:9], off
	s_and_saveexec_b32 s15, vcc_lo
	s_cbranch_execz .LBB101_35
; %bb.34:                               ;   in Loop: Header=BB101_33 Depth=1
	v_cmp_gt_i32_e64 s0, s10, v27
	s_waitcnt vmcnt(0)
	v_lshrrev_b32_e32 v36, 16, v4
	v_lshrrev_b32_e32 v37, 16, v3
	;; [unrolled: 1-line block ×4, first 2 shown]
	v_cndmask_b32_e64 v4, 0, v4, s0
	v_cmp_gt_i32_e64 s0, s11, v26
	s_delay_alu instid0(VALU_DEP_1) | instskip(SKIP_1) | instid1(VALU_DEP_2)
	v_cndmask_b32_e64 v36, 0, v36, s0
	v_cmp_gt_i32_e64 s0, s9, v25
	v_perm_b32 v4, v36, v4, 0x5040100
	s_delay_alu instid0(VALU_DEP_2) | instskip(SKIP_1) | instid1(VALU_DEP_1)
	v_cndmask_b32_e64 v37, 0, v37, s0
	v_cmp_gt_i32_e64 s0, s8, v24
	v_cndmask_b32_e64 v3, 0, v3, s0
	v_cmp_gt_i32_e64 s0, s7, v23
	s_delay_alu instid0(VALU_DEP_2) | instskip(NEXT) | instid1(VALU_DEP_2)
	v_perm_b32 v3, v37, v3, 0x5040100
	v_cndmask_b32_e64 v38, 0, v38, s0
	v_cmp_gt_i32_e64 s0, s6, v22
	s_delay_alu instid0(VALU_DEP_1) | instskip(SKIP_1) | instid1(VALU_DEP_2)
	v_cndmask_b32_e64 v2, 0, v2, s0
	v_cmp_gt_i32_e64 s0, s5, v21
	v_perm_b32 v2, v38, v2, 0x5040100
	s_delay_alu instid0(VALU_DEP_2) | instskip(SKIP_1) | instid1(VALU_DEP_1)
	v_cndmask_b32_e64 v39, 0, v39, s0
	v_cmp_gt_i32_e64 s0, s30, v19
	v_cndmask_b32_e64 v1, 0, v1, s0
	s_delay_alu instid0(VALU_DEP_1)
	v_perm_b32 v1, v39, v1, 0x5040100
.LBB101_35:                             ;   in Loop: Header=BB101_33 Depth=1
	s_or_b32 exec_lo, exec_lo, s15
	v_and_b32_e32 v30, 0xffff, v30
	v_and_b32_e32 v36, 0xffff, v31
	;; [unrolled: 1-line block ×4, first 2 shown]
	s_delay_alu instid0(VALU_DEP_4)
	v_lshl_or_b32 v31, v28, 16, v30
	s_waitcnt vmcnt(0)
	;;#ASMSTART
	v_pk_mul_f16 v1, v31, v1;

	;;#ASMEND
	v_lshl_or_b32 v30, v29, 16, v36
	v_lshl_or_b32 v29, v32, 16, v34
	;; [unrolled: 1-line block ×3, first 2 shown]
	;;#ASMSTART
	v_pk_mul_f16 v2, v30, v2;

	;;#ASMEND
	;;#ASMSTART
	v_pk_mul_f16 v3, v29, v3;

	;;#ASMEND
	;; [unrolled: 4-line block ×3, first 2 shown]
	;;#ASMSTART
	v_pk_add_f16 v1, v1, v2;

	;;#ASMEND
	;;#ASMSTART
	v_pk_add_f16 v1, v1, v3;

	;;#ASMEND
	;; [unrolled: 4-line block ×3, first 2 shown]
	v_and_b32_e32 v2, 0xffff, v1
	v_lshrrev_b32_e32 v1, 16, v1
	;;#ASMSTART
	v_cvt_f32_f16 v32, v2;
	;;#ASMEND
	;;#ASMSTART
	v_cvt_f32_f16 v33, v1;
	;;#ASMEND
	global_load_b128 v[1:4], v[8:9], off offset:512
	s_and_saveexec_b32 s0, vcc_lo
	s_cbranch_execz .LBB101_32
; %bb.36:                               ;   in Loop: Header=BB101_33 Depth=1
	v_cmp_gt_i32_e32 vcc_lo, s10, v27
	s_waitcnt vmcnt(0)
	v_lshrrev_b32_e32 v8, 16, v4
	v_lshrrev_b32_e32 v9, 16, v3
	v_cndmask_b32_e32 v4, 0, v4, vcc_lo
	v_cmp_gt_i32_e32 vcc_lo, s11, v26
	s_delay_alu instid0(VALU_DEP_4)
	v_cndmask_b32_e32 v8, 0, v8, vcc_lo
	v_cmp_gt_i32_e32 vcc_lo, s9, v25
	v_lshrrev_b32_e32 v25, 16, v2
	v_cndmask_b32_e32 v9, 0, v9, vcc_lo
	v_cmp_gt_i32_e32 vcc_lo, s8, v24
	v_lshrrev_b32_e32 v24, 16, v1
	v_cndmask_b32_e32 v3, 0, v3, vcc_lo
	v_cmp_gt_i32_e32 vcc_lo, s7, v23
	v_perm_b32 v4, v8, v4, 0x5040100
	s_delay_alu instid0(VALU_DEP_3) | instskip(SKIP_4) | instid1(VALU_DEP_2)
	v_perm_b32 v3, v9, v3, 0x5040100
	v_cndmask_b32_e32 v23, 0, v25, vcc_lo
	v_cmp_gt_i32_e32 vcc_lo, s6, v22
	v_cndmask_b32_e32 v2, 0, v2, vcc_lo
	v_cmp_gt_i32_e32 vcc_lo, s5, v21
	v_perm_b32 v2, v23, v2, 0x5040100
	v_cndmask_b32_e32 v21, 0, v24, vcc_lo
	v_cmp_gt_i32_e32 vcc_lo, s30, v19
	v_cndmask_b32_e32 v1, 0, v1, vcc_lo
	s_delay_alu instid0(VALU_DEP_1)
	v_perm_b32 v1, v21, v1, 0x5040100
	s_branch .LBB101_32
.LBB101_37:
	s_or_b32 exec_lo, exec_lo, s3
.LBB101_38:
	s_delay_alu instid0(SALU_CYCLE_1)
	s_or_b32 exec_lo, exec_lo, s1
	ds_bpermute_b32 v1, v14, v15
	ds_bpermute_b32 v4, v14, v16
	v_and_b32_e32 v5, 0x3c1, v0
	v_lshrrev_b32_e32 v3, 1, v13
	s_mov_b32 s0, exec_lo
	s_waitcnt lgkmcnt(0)
	s_waitcnt_vscnt null, 0x0
	s_barrier
	buffer_gl0_inv
	v_dual_add_f32 v2, v15, v1 :: v_dual_add_f32 v1, v16, v4
	v_cmpx_eq_u32_e32 64, v5
	s_cbranch_execz .LBB101_40
; %bb.39:
	v_lshl_add_u32 v4, v12, 7, 0x60
	v_lshlrev_b32_e32 v5, 2, v3
	s_delay_alu instid0(VALU_DEP_1)
	v_add3_u32 v4, v4, v5, 0xffffff00
	ds_store_2addr_b32 v4, v2, v1 offset1:16
.LBB101_40:
	s_or_b32 exec_lo, exec_lo, s0
	v_and_b32_e32 v4, 0x3e0, v0
	v_cmp_eq_u32_e32 vcc_lo, 0, v11
	s_mov_b32 s1, exec_lo
	s_waitcnt lgkmcnt(0)
	s_barrier
	v_lshl_add_u32 v4, v4, 2, 0x60
	buffer_gl0_inv
	v_cmpx_gt_u32_e32 64, v0
	s_cbranch_execz .LBB101_46
; %bb.41:
	s_and_saveexec_b32 s0, vcc_lo
	s_cbranch_execz .LBB101_43
; %bb.42:
	v_lshl_add_u32 v5, v3, 2, v4
	ds_load_b32 v5, v5
	s_waitcnt lgkmcnt(0)
	v_add_f32_e32 v2, v2, v5
.LBB101_43:
	s_or_b32 exec_lo, exec_lo, s0
	s_and_saveexec_b32 s0, vcc_lo
	s_cbranch_execz .LBB101_45
; %bb.44:
	v_lshl_add_u32 v5, v3, 2, v4
	ds_load_b32 v5, v5 offset:64
	s_waitcnt lgkmcnt(0)
	v_add_f32_e32 v1, v1, v5
.LBB101_45:
	s_or_b32 exec_lo, exec_lo, s0
.LBB101_46:
	s_delay_alu instid0(SALU_CYCLE_1)
	s_or_b32 exec_lo, exec_lo, s1
	v_and_b32_e32 v5, 0x3e1, v0
	s_mov_b32 s1, exec_lo
	s_barrier
	buffer_gl0_inv
	v_cmpx_eq_u32_e32 32, v5
	s_cbranch_execz .LBB101_48
; %bb.47:
	v_lshl_add_u32 v6, v3, 2, 0x60
	ds_store_2addr_b32 v6, v2, v1 offset1:16
.LBB101_48:
	s_or_b32 exec_lo, exec_lo, s1
	s_delay_alu instid0(SALU_CYCLE_1)
	s_mov_b32 s1, exec_lo
	s_waitcnt lgkmcnt(0)
	s_barrier
	buffer_gl0_inv
	v_cmpx_gt_u32_e32 32, v0
	s_cbranch_execz .LBB101_54
; %bb.49:
	v_lshl_add_u32 v0, v3, 2, v4
	s_and_saveexec_b32 s0, vcc_lo
	s_cbranch_execz .LBB101_51
; %bb.50:
	ds_load_b32 v3, v0
	s_waitcnt lgkmcnt(0)
	v_add_f32_e32 v2, v2, v3
.LBB101_51:
	s_or_b32 exec_lo, exec_lo, s0
	s_and_saveexec_b32 s0, vcc_lo
	s_cbranch_execz .LBB101_53
; %bb.52:
	ds_load_b32 v0, v0 offset:64
	s_waitcnt lgkmcnt(0)
	v_add_f32_e32 v1, v1, v0
.LBB101_53:
	s_or_b32 exec_lo, exec_lo, s0
.LBB101_54:
	s_delay_alu instid0(SALU_CYCLE_1)
	s_or_b32 exec_lo, exec_lo, s1
	s_barrier
	buffer_gl0_inv
	s_mov_b32 s0, exec_lo
	v_cmpx_eq_u32_e32 0, v5
	s_cbranch_execz .LBB101_56
; %bb.55:
	s_lshl_b32 s0, s14, 5
	s_mul_i32 s2, s13, s12
	s_ashr_i32 s1, s0, 31
	v_lshlrev_b32_e32 v0, 1, v10
	s_lshl_b64 s[0:1], s[0:1], 1
	;;#ASMSTART
	v_cvt_f16_f32 v2, v2;

	;;#ASMEND
	s_add_u32 s5, s16, s0
	s_addc_u32 s6, s17, s1
	s_ashr_i32 s3, s2, 31
	s_delay_alu instid0(SALU_CYCLE_1) | instskip(NEXT) | instid1(SALU_CYCLE_1)
	s_lshl_b64 s[0:1], s[2:3], 1
	s_add_u32 s2, s5, s0
	s_addc_u32 s3, s6, s1
	s_ashr_i32 s5, s4, 31
	s_delay_alu instid0(SALU_CYCLE_1) | instskip(NEXT) | instid1(SALU_CYCLE_1)
	s_lshl_b64 s[0:1], s[4:5], 1
	s_add_u32 s0, s2, s0
	s_addc_u32 s1, s3, s1
	global_store_b16 v0, v2, s[0:1]
	;;#ASMSTART
	v_cvt_f16_f32 v1, v1;

	;;#ASMEND
	global_store_b16 v0, v1, s[0:1] offset:32
.LBB101_56:
	s_nop 0
	s_sendmsg sendmsg(MSG_DEALLOC_VGPRS)
	s_endpgm
	.section	.rodata,"a",@progbits
	.p2align	6, 0x0
	.amdhsa_kernel _ZN4vllm25paged_attention_v2_kernelIttLi32ELi16ELi128ELNS_18Fp8KVCacheDataTypeE0ELb0ELi512EEEvPfS2_PT_PKS3_PKT0_S9_ifPKiSB_iPKfiiiSD_SD_iiiii
		.amdhsa_group_segment_fixed_size 96
		.amdhsa_private_segment_fixed_size 0
		.amdhsa_kernarg_size 400
		.amdhsa_user_sgpr_count 13
		.amdhsa_user_sgpr_dispatch_ptr 0
		.amdhsa_user_sgpr_queue_ptr 0
		.amdhsa_user_sgpr_kernarg_segment_ptr 1
		.amdhsa_user_sgpr_dispatch_id 0
		.amdhsa_user_sgpr_private_segment_size 0
		.amdhsa_wavefront_size32 1
		.amdhsa_uses_dynamic_stack 0
		.amdhsa_enable_private_segment 0
		.amdhsa_system_sgpr_workgroup_id_x 1
		.amdhsa_system_sgpr_workgroup_id_y 1
		.amdhsa_system_sgpr_workgroup_id_z 1
		.amdhsa_system_sgpr_workgroup_info 0
		.amdhsa_system_vgpr_workitem_id 0
		.amdhsa_next_free_vgpr 49
		.amdhsa_next_free_sgpr 38
		.amdhsa_reserve_vcc 1
		.amdhsa_float_round_mode_32 0
		.amdhsa_float_round_mode_16_64 0
		.amdhsa_float_denorm_mode_32 3
		.amdhsa_float_denorm_mode_16_64 3
		.amdhsa_dx10_clamp 1
		.amdhsa_ieee_mode 1
		.amdhsa_fp16_overflow 0
		.amdhsa_workgroup_processor_mode 1
		.amdhsa_memory_ordered 1
		.amdhsa_forward_progress 0
		.amdhsa_shared_vgpr_count 0
		.amdhsa_exception_fp_ieee_invalid_op 0
		.amdhsa_exception_fp_denorm_src 0
		.amdhsa_exception_fp_ieee_div_zero 0
		.amdhsa_exception_fp_ieee_overflow 0
		.amdhsa_exception_fp_ieee_underflow 0
		.amdhsa_exception_fp_ieee_inexact 0
		.amdhsa_exception_int_div_zero 0
	.end_amdhsa_kernel
	.section	.text._ZN4vllm25paged_attention_v2_kernelIttLi32ELi16ELi128ELNS_18Fp8KVCacheDataTypeE0ELb0ELi512EEEvPfS2_PT_PKS3_PKT0_S9_ifPKiSB_iPKfiiiSD_SD_iiiii,"axG",@progbits,_ZN4vllm25paged_attention_v2_kernelIttLi32ELi16ELi128ELNS_18Fp8KVCacheDataTypeE0ELb0ELi512EEEvPfS2_PT_PKS3_PKT0_S9_ifPKiSB_iPKfiiiSD_SD_iiiii,comdat
.Lfunc_end101:
	.size	_ZN4vllm25paged_attention_v2_kernelIttLi32ELi16ELi128ELNS_18Fp8KVCacheDataTypeE0ELb0ELi512EEEvPfS2_PT_PKS3_PKT0_S9_ifPKiSB_iPKfiiiSD_SD_iiiii, .Lfunc_end101-_ZN4vllm25paged_attention_v2_kernelIttLi32ELi16ELi128ELNS_18Fp8KVCacheDataTypeE0ELb0ELi512EEEvPfS2_PT_PKS3_PKT0_S9_ifPKiSB_iPKfiiiSD_SD_iiiii
                                        ; -- End function
	.section	.AMDGPU.csdata,"",@progbits
; Kernel info:
; codeLenInByte = 5224
; NumSgprs: 40
; NumVgprs: 49
; ScratchSize: 0
; MemoryBound: 0
; FloatMode: 240
; IeeeMode: 1
; LDSByteSize: 96 bytes/workgroup (compile time only)
; SGPRBlocks: 4
; VGPRBlocks: 6
; NumSGPRsForWavesPerEU: 40
; NumVGPRsForWavesPerEU: 49
; Occupancy: 16
; WaveLimiterHint : 1
; COMPUTE_PGM_RSRC2:SCRATCH_EN: 0
; COMPUTE_PGM_RSRC2:USER_SGPR: 13
; COMPUTE_PGM_RSRC2:TRAP_HANDLER: 0
; COMPUTE_PGM_RSRC2:TGID_X_EN: 1
; COMPUTE_PGM_RSRC2:TGID_Y_EN: 1
; COMPUTE_PGM_RSRC2:TGID_Z_EN: 1
; COMPUTE_PGM_RSRC2:TIDIG_COMP_CNT: 0
	.section	.text._ZN4vllm25paged_attention_v2_kernelIttLi64ELi16ELi128ELNS_18Fp8KVCacheDataTypeE0ELb0ELi512EEEvPfS2_PT_PKS3_PKT0_S9_ifPKiSB_iPKfiiiSD_SD_iiiii,"axG",@progbits,_ZN4vllm25paged_attention_v2_kernelIttLi64ELi16ELi128ELNS_18Fp8KVCacheDataTypeE0ELb0ELi512EEEvPfS2_PT_PKS3_PKT0_S9_ifPKiSB_iPKfiiiSD_SD_iiiii,comdat
	.protected	_ZN4vllm25paged_attention_v2_kernelIttLi64ELi16ELi128ELNS_18Fp8KVCacheDataTypeE0ELb0ELi512EEEvPfS2_PT_PKS3_PKT0_S9_ifPKiSB_iPKfiiiSD_SD_iiiii ; -- Begin function _ZN4vllm25paged_attention_v2_kernelIttLi64ELi16ELi128ELNS_18Fp8KVCacheDataTypeE0ELb0ELi512EEEvPfS2_PT_PKS3_PKT0_S9_ifPKiSB_iPKfiiiSD_SD_iiiii
	.globl	_ZN4vllm25paged_attention_v2_kernelIttLi64ELi16ELi128ELNS_18Fp8KVCacheDataTypeE0ELb0ELi512EEEvPfS2_PT_PKS3_PKT0_S9_ifPKiSB_iPKfiiiSD_SD_iiiii
	.p2align	8
	.type	_ZN4vllm25paged_attention_v2_kernelIttLi64ELi16ELi128ELNS_18Fp8KVCacheDataTypeE0ELb0ELi512EEEvPfS2_PT_PKS3_PKT0_S9_ifPKiSB_iPKfiiiSD_SD_iiiii,@function
_ZN4vllm25paged_attention_v2_kernelIttLi64ELi16ELi128ELNS_18Fp8KVCacheDataTypeE0ELb0ELi512EEEvPfS2_PT_PKS3_PKT0_S9_ifPKiSB_iPKfiiiSD_SD_iiiii: ; @_ZN4vllm25paged_attention_v2_kernelIttLi64ELi16ELi128ELNS_18Fp8KVCacheDataTypeE0ELb0ELi512EEEvPfS2_PT_PKS3_PKT0_S9_ifPKiSB_iPKfiiiSD_SD_iiiii
; %bb.0:
	s_load_b64 s[2:3], s[0:1], 0x40
	s_mov_b32 s12, s15
	s_ashr_i32 s15, s14, 31
	s_delay_alu instid0(SALU_CYCLE_1)
	s_lshl_b64 s[4:5], s[14:15], 2
	s_waitcnt lgkmcnt(0)
	s_add_u32 s2, s2, s4
	s_addc_u32 s3, s3, s5
	s_lshl_b32 s33, s12, 9
	s_load_b32 s15, s[2:3], 0x0
	s_waitcnt lgkmcnt(0)
	s_cmp_ge_i32 s33, s15
	s_cbranch_scc1 .LBB102_62
; %bb.1:
	s_mov_b32 s20, s13
	s_clause 0x1
	s_load_b32 s13, s[0:1], 0x90
	s_load_b64 s[30:31], s[0:1], 0x30
	s_waitcnt lgkmcnt(0)
	s_abs_i32 s5, s13
	s_abs_i32 s2, s30
	s_delay_alu instid0(SALU_CYCLE_1) | instskip(SKIP_1) | instid1(VALU_DEP_1)
	v_cvt_f32_u32_e32 v1, s2
	s_sub_i32 s4, 0, s2
	v_rcp_iflag_f32_e32 v1, v1
	s_waitcnt_depctr 0xfff
	v_mul_f32_e32 v1, 0x4f7ffffe, v1
	s_delay_alu instid0(VALU_DEP_1) | instskip(NEXT) | instid1(VALU_DEP_1)
	v_cvt_u32_f32_e32 v1, v1
	v_readfirstlane_b32 s3, v1
	s_delay_alu instid0(VALU_DEP_1) | instskip(NEXT) | instid1(SALU_CYCLE_1)
	s_mul_i32 s4, s4, s3
	s_mul_hi_u32 s4, s3, s4
	s_delay_alu instid0(SALU_CYCLE_1)
	s_add_i32 s3, s3, s4
	s_xor_b32 s4, s13, s30
	s_mul_hi_u32 s3, s5, s3
	s_ashr_i32 s4, s4, 31
	s_mul_i32 s6, s3, s2
	s_mov_b32 s30, 0
	s_sub_i32 s5, s5, s6
	s_add_i32 s6, s3, 1
	s_sub_i32 s7, s5, s2
	s_cmp_ge_u32 s5, s2
	s_cselect_b32 s3, s6, s3
	s_cselect_b32 s5, s7, s5
	s_add_i32 s6, s3, 1
	s_cmp_ge_u32 s5, s2
	s_cselect_b32 s2, s6, s3
	s_abs_i32 s10, s20
	s_xor_b32 s2, s2, s4
	s_delay_alu instid0(SALU_CYCLE_1) | instskip(SKIP_2) | instid1(SALU_CYCLE_1)
	s_sub_i32 s11, s2, s4
	s_load_b64 s[2:3], s[0:1], 0x50
	s_abs_i32 s8, s11
	v_cvt_f32_u32_e32 v1, s8
	s_sub_i32 s5, 0, s8
	s_delay_alu instid0(VALU_DEP_1) | instskip(SKIP_2) | instid1(VALU_DEP_1)
	v_rcp_iflag_f32_e32 v1, v1
	s_waitcnt_depctr 0xfff
	v_mul_f32_e32 v1, 0x4f7ffffe, v1
	v_cvt_u32_f32_e32 v1, v1
	s_delay_alu instid0(VALU_DEP_1) | instskip(NEXT) | instid1(VALU_DEP_1)
	v_readfirstlane_b32 s4, v1
	s_mul_i32 s5, s5, s4
	s_delay_alu instid0(SALU_CYCLE_1) | instskip(NEXT) | instid1(SALU_CYCLE_1)
	s_mul_hi_u32 s5, s4, s5
	s_add_i32 s4, s4, s5
	s_waitcnt lgkmcnt(0)
	s_cmp_eq_u64 s[2:3], 0
	s_mul_hi_u32 s9, s10, s4
	s_cbranch_scc1 .LBB102_3
; %bb.2:
	s_ashr_i32 s21, s20, 31
	s_delay_alu instid0(SALU_CYCLE_1) | instskip(NEXT) | instid1(SALU_CYCLE_1)
	s_lshl_b64 s[4:5], s[20:21], 2
	s_add_u32 s2, s2, s4
	s_addc_u32 s3, s3, s5
	s_load_b32 s30, s[2:3], 0x0
.LBB102_3:
	s_load_b128 s[4:7], s[0:1], 0x58
	v_lshrrev_b32_e32 v10, 1, v0
	v_and_b32_e32 v11, 1, v0
	v_lshlrev_b32_e32 v3, 3, v0
	s_ashr_i32 s2, s20, 31
	s_ashr_i32 s3, s11, 31
	s_lshl_b32 s16, s20, 6
	s_waitcnt lgkmcnt(0)
	s_mov_b32 s7, exec_lo
	v_cmpx_gt_u32_e32 16, v0
	s_cbranch_execz .LBB102_5
; %bb.4:
	s_load_b64 s[18:19], s[0:1], 0x18
	s_mul_i32 s22, s14, s4
	v_lshlrev_b32_e32 v4, 3, v10
	s_ashr_i32 s23, s22, 31
	s_delay_alu instid0(SALU_CYCLE_1) | instskip(NEXT) | instid1(VALU_DEP_1)
	s_lshl_b64 s[22:23], s[22:23], 1
	v_lshl_add_u32 v4, v11, 6, v4
	s_waitcnt lgkmcnt(0)
	s_add_u32 s4, s18, s22
	s_addc_u32 s11, s19, s23
	s_ashr_i32 s17, s16, 31
	s_delay_alu instid0(SALU_CYCLE_1) | instskip(NEXT) | instid1(SALU_CYCLE_1)
	s_lshl_b64 s[18:19], s[16:17], 1
	s_add_u32 s18, s4, s18
	s_addc_u32 s19, s11, s19
	global_load_b64 v[1:2], v3, s[18:19]
	s_waitcnt vmcnt(0)
	ds_store_b64 v4, v[1:2]
.LBB102_5:
	s_or_b32 exec_lo, exec_lo, s7
	s_add_i32 s4, s15, 15
	s_lshl_b32 s7, s12, 5
	s_ashr_i32 s11, s4, 31
	s_xor_b32 s2, s2, s3
	s_lshr_b32 s11, s11, 28
	s_add_i32 s3, s7, 32
	s_add_i32 s4, s4, s11
	s_clause 0x1
	s_load_b64 s[22:23], s[0:1], 0x38
	s_load_b32 s11, s[0:1], 0x48
	s_ashr_i32 s21, s4, 4
	s_mul_i32 s4, s9, s8
	s_min_i32 s17, s3, s21
	s_sub_i32 s3, s10, s4
	s_add_i32 s4, s9, 1
	s_sub_i32 s10, s3, s8
	s_cmp_ge_u32 s3, s8
	v_lshrrev_b32_e32 v12, 5, v0
	s_cselect_b32 s4, s4, s9
	s_cselect_b32 s3, s10, s3
	s_add_i32 s9, s4, 1
	s_cmp_ge_u32 s3, s8
	v_or_b32_e32 v5, s7, v12
	s_cselect_b32 s3, s9, s4
	v_mbcnt_lo_u32_b32 v7, -1, 0
	s_xor_b32 s3, s3, s2
	s_mov_b32 s4, exec_lo
	s_sub_i32 s3, s3, s2
	v_cmp_gt_i32_e64 s2, s17, v5
	s_waitcnt lgkmcnt(0)
	s_mul_i32 s24, s14, s11
	s_delay_alu instid0(SALU_CYCLE_1)
	s_ashr_i32 s25, s24, 31
	s_barrier
	buffer_gl0_inv
                                        ; implicit-def: $sgpr28
                                        ; implicit-def: $vgpr8
	v_cmpx_le_i32_e64 s17, v5
	s_xor_b32 s4, exec_lo, s4
; %bb.6:
	v_mbcnt_lo_u32_b32 v7, -1, 0
	v_mov_b32_e32 v8, 32
	s_mov_b32 s28, 0xff7fffff
; %bb.7:
	s_or_saveexec_b32 s34, s4
	s_clause 0x3
	s_load_b128 s[8:11], s[0:1], 0x0
	s_load_b64 s[18:19], s[0:1], 0x10
	s_load_b64 s[26:27], s[0:1], 0x28
	s_load_b32 s4, s[0:1], 0x98
	v_dual_mov_b32 v9, s28 :: v_dual_lshlrev_b32 v4, 4, v12
	v_ashrrev_i32_e32 v6, 31, v5
	s_mul_i32 s28, s3, s6
	s_xor_b32 exec_lo, exec_lo, s34
	s_cbranch_execz .LBB102_13
; %bb.8:
	s_load_b64 s[36:37], s[0:1], 0x20
	v_bfe_u32 v8, v0, 1, 4
	s_ashr_i32 s29, s28, 31
	v_and_b32_e32 v9, 8, v3
	s_lshl_b64 s[38:39], s[28:29], 1
	v_lshlrev_b32_e32 v13, 6, v11
	v_lshlrev_b32_e32 v16, 4, v8
	v_lshlrev_b32_e32 v1, 2, v8
	v_add3_u32 v14, s33, v4, v8
	v_cmp_eq_u32_e32 vcc_lo, 0, v11
	v_cmp_neq_f32_e64 s0, s30, 0
	v_xor_b32_e32 v18, 1, v7
	v_mov_b32_e32 v19, v5
	s_mov_b32 s35, s5
	s_waitcnt lgkmcnt(0)
	s_add_u32 s1, s36, s38
	s_addc_u32 s3, s37, s39
	v_add_co_u32 v8, s1, s1, v16
	s_delay_alu instid0(VALU_DEP_1) | instskip(SKIP_1) | instid1(VALU_DEP_2)
	v_add_co_ci_u32_e64 v17, null, s3, 0, s1
	s_lshl_b64 s[36:37], s[24:25], 2
	v_add_co_u32 v16, s1, v8, v9
	v_mov_b32_e32 v8, 32
	v_lshl_or_b32 v15, v12, 6, v1
	v_lshlrev_b64 v[1:2], 2, v[5:6]
	s_sub_i32 s6, 1, s15
	s_add_u32 s3, s22, s36
	v_add_co_ci_u32_e64 v17, s1, 0, v17, s1
	s_addc_u32 s29, s23, s37
	s_delay_alu instid0(VALU_DEP_2)
	v_add_co_u32 v1, s1, s3, v1
	v_add_nc_u32_e32 v15, 0xa0, v15
	v_add_co_ci_u32_e64 v2, s1, s29, v2, s1
	v_mov_b32_e32 v9, 0xff7fffff
	s_mov_b32 s29, 0
	s_branch .LBB102_10
.LBB102_9:                              ;   in Loop: Header=BB102_10 Depth=1
	s_or_b32 exec_lo, exec_lo, s3
	v_add_nc_u32_e32 v19, 4, v19
	v_add_co_u32 v1, s3, v1, 16
	v_add_nc_u32_e32 v14, 64, v14
	v_add_nc_u32_e32 v15, 0x100, v15
	s_delay_alu instid0(VALU_DEP_4) | instskip(SKIP_1) | instid1(VALU_DEP_2)
	v_cmp_le_i32_e64 s1, s17, v19
	v_add_co_ci_u32_e64 v2, s3, 0, v2, s3
	s_or_b32 s29, s1, s29
	s_delay_alu instid0(SALU_CYCLE_1)
	s_and_not1_b32 exec_lo, exec_lo, s29
	s_cbranch_execz .LBB102_12
.LBB102_10:                             ; =>This Inner Loop Header: Depth=1
	global_load_b32 v22, v[1:2], off
	s_waitcnt vmcnt(0) lgkmcnt(0)
	v_mad_i64_i32 v[20:21], null, v22, s35, 0
	s_delay_alu instid0(VALU_DEP_1) | instskip(NEXT) | instid1(VALU_DEP_1)
	v_lshlrev_b64 v[20:21], 1, v[20:21]
	v_add_co_u32 v20, s1, v16, v20
	s_delay_alu instid0(VALU_DEP_1)
	v_add_co_ci_u32_e64 v21, s1, v17, v21, s1
	v_cmp_gt_i32_e64 s1, 32, v18
	s_clause 0x7
	global_load_b64 v[22:23], v[20:21], off
	global_load_b64 v[24:25], v[20:21], off offset:256
	global_load_b64 v[26:27], v[20:21], off offset:512
	global_load_b64 v[28:29], v[20:21], off offset:768
	global_load_b64 v[30:31], v[20:21], off offset:1024
	global_load_b64 v[32:33], v[20:21], off offset:1280
	global_load_b64 v[34:35], v[20:21], off offset:1536
	global_load_b64 v[20:21], v[20:21], off offset:1792
	ds_load_b64 v[36:37], v13
	s_waitcnt lgkmcnt(0)
	v_and_b32_e32 v38, 0xffff, v36
	v_lshrrev_b32_e32 v36, 16, v36
	v_lshrrev_b32_e32 v39, 16, v37
	v_and_b32_e32 v37, 0xffff, v37
	;;#ASMSTART
	v_cvt_f32_f16 v38, v38;
	;;#ASMEND
	;;#ASMSTART
	v_cvt_f32_f16 v36, v36;
	;;#ASMEND
	s_waitcnt vmcnt(7)
	v_and_b32_e32 v40, 0xffff, v22
	v_lshrrev_b32_e32 v22, 16, v22
	v_lshrrev_b32_e32 v41, 16, v23
	v_and_b32_e32 v23, 0xffff, v23
	;;#ASMSTART
	v_cvt_f32_f16 v40, v40;
	;;#ASMEND
	;;#ASMSTART
	v_cvt_f32_f16 v42, v22;
	;;#ASMEND
	;; [unrolled: 3-line block ×6, first 2 shown]
	ds_load_b64 v[22:23], v13 offset:8
	s_waitcnt vmcnt(6)
	v_lshrrev_b32_e32 v44, 16, v24
	v_and_b32_e32 v24, 0xffff, v24
	v_lshrrev_b32_e32 v45, 16, v25
	s_waitcnt vmcnt(5)
	v_lshrrev_b32_e32 v50, 16, v26
	v_lshrrev_b32_e32 v51, 16, v27
	s_waitcnt vmcnt(4)
	v_lshrrev_b32_e32 v56, 16, v28
	;; [unrolled: 3-line block ×5, first 2 shown]
	v_lshrrev_b32_e32 v75, 16, v35
	s_waitcnt lgkmcnt(0)
	v_and_b32_e32 v46, 0xffff, v22
	v_lshrrev_b32_e32 v22, 16, v22
	;;#ASMSTART
	v_cvt_f32_f16 v46, v46;
	;;#ASMEND
	;;#ASMSTART
	v_cvt_f32_f16 v48, v22;
	;;#ASMEND
	;; [unrolled: 3-line block ×4, first 2 shown]
	v_mul_f32_e32 v24, v46, v24
	v_dual_mul_f32 v44, v48, v44 :: v_dual_and_b32 v25, 0xffff, v25
	v_lshrrev_b32_e32 v47, 16, v23
	s_delay_alu instid0(VALU_DEP_3) | instskip(NEXT) | instid1(VALU_DEP_3)
	v_dual_fmac_f32 v24, v38, v40 :: v_dual_and_b32 v23, 0xffff, v23
	v_fmac_f32_e32 v44, v36, v42
	;;#ASMSTART
	v_cvt_f32_f16 v49, v23;
	;;#ASMEND
	;;#ASMSTART
	v_cvt_f32_f16 v47, v47;
	;;#ASMEND
	;;#ASMSTART
	v_cvt_f32_f16 v25, v25;
	;;#ASMEND
	;;#ASMSTART
	v_cvt_f32_f16 v45, v45;
	;;#ASMEND
	ds_load_b64 v[22:23], v13 offset:16
	v_mul_f32_e32 v25, v49, v25
	v_mul_f32_e32 v45, v47, v45
	s_waitcnt vmcnt(0)
	v_lshrrev_b32_e32 v36, 16, v20
	s_delay_alu instid0(VALU_DEP_3)
	v_dual_fmac_f32 v25, v37, v43 :: v_dual_and_b32 v26, 0xffff, v26
	s_waitcnt lgkmcnt(0)
	v_dual_fmac_f32 v45, v39, v41 :: v_dual_and_b32 v52, 0xffff, v22
	v_lshrrev_b32_e32 v22, 16, v22
	v_lshrrev_b32_e32 v53, 16, v23
	;;#ASMSTART
	v_cvt_f32_f16 v52, v52;
	;;#ASMEND
	;;#ASMSTART
	v_cvt_f32_f16 v54, v22;
	;;#ASMEND
	;; [unrolled: 3-line block ×3, first 2 shown]
	v_dual_fmac_f32 v24, v52, v26 :: v_dual_and_b32 v27, 0xffff, v27
	;;#ASMSTART
	v_cvt_f32_f16 v50, v50;
	;;#ASMEND
	v_dual_fmac_f32 v44, v54, v50 :: v_dual_and_b32 v23, 0xffff, v23
	;;#ASMSTART
	v_cvt_f32_f16 v55, v23;
	;;#ASMEND
	;;#ASMSTART
	v_cvt_f32_f16 v53, v53;
	;;#ASMEND
	;; [unrolled: 3-line block ×4, first 2 shown]
	ds_load_b64 v[22:23], v13 offset:24
	v_dual_fmac_f32 v25, v55, v27 :: v_dual_and_b32 v28, 0xffff, v28
	s_waitcnt lgkmcnt(0)
	v_dual_fmac_f32 v45, v53, v51 :: v_dual_and_b32 v58, 0xffff, v22
	v_lshrrev_b32_e32 v22, 16, v22
	v_lshrrev_b32_e32 v59, 16, v23
	;;#ASMSTART
	v_cvt_f32_f16 v58, v58;
	;;#ASMEND
	;;#ASMSTART
	v_cvt_f32_f16 v60, v22;
	;;#ASMEND
	;; [unrolled: 3-line block ×3, first 2 shown]
	v_dual_fmac_f32 v24, v58, v28 :: v_dual_and_b32 v29, 0xffff, v29
	;;#ASMSTART
	v_cvt_f32_f16 v56, v56;
	;;#ASMEND
	v_dual_fmac_f32 v44, v60, v56 :: v_dual_and_b32 v23, 0xffff, v23
	;;#ASMSTART
	v_cvt_f32_f16 v61, v23;
	;;#ASMEND
	;;#ASMSTART
	v_cvt_f32_f16 v59, v59;
	;;#ASMEND
	;; [unrolled: 3-line block ×4, first 2 shown]
	ds_load_b64 v[22:23], v13 offset:32
	v_dual_fmac_f32 v25, v61, v29 :: v_dual_and_b32 v30, 0xffff, v30
	v_fmac_f32_e32 v45, v59, v57
	v_lshrrev_b32_e32 v28, 16, v21
	s_waitcnt lgkmcnt(0)
	v_and_b32_e32 v64, 0xffff, v22
	v_lshrrev_b32_e32 v22, 16, v22
	v_lshrrev_b32_e32 v65, 16, v23
	;;#ASMSTART
	v_cvt_f32_f16 v64, v64;
	;;#ASMEND
	;;#ASMSTART
	v_cvt_f32_f16 v66, v22;
	;;#ASMEND
	;; [unrolled: 3-line block ×3, first 2 shown]
	v_dual_fmac_f32 v24, v64, v30 :: v_dual_and_b32 v31, 0xffff, v31
	;;#ASMSTART
	v_cvt_f32_f16 v62, v62;
	;;#ASMEND
	v_dual_fmac_f32 v44, v66, v62 :: v_dual_and_b32 v23, 0xffff, v23
	;;#ASMSTART
	v_cvt_f32_f16 v67, v23;
	;;#ASMEND
	;;#ASMSTART
	v_cvt_f32_f16 v65, v65;
	;;#ASMEND
	;; [unrolled: 3-line block ×4, first 2 shown]
	ds_load_b64 v[22:23], v13 offset:40
	v_dual_fmac_f32 v25, v67, v31 :: v_dual_and_b32 v32, 0xffff, v32
	s_waitcnt lgkmcnt(0)
	v_dual_fmac_f32 v45, v65, v63 :: v_dual_and_b32 v70, 0xffff, v22
	v_lshrrev_b32_e32 v22, 16, v22
	v_lshrrev_b32_e32 v71, 16, v23
	;;#ASMSTART
	v_cvt_f32_f16 v70, v70;
	;;#ASMEND
	;;#ASMSTART
	v_cvt_f32_f16 v72, v22;
	;;#ASMEND
	;; [unrolled: 3-line block ×3, first 2 shown]
	v_dual_fmac_f32 v24, v70, v32 :: v_dual_and_b32 v33, 0xffff, v33
	;;#ASMSTART
	v_cvt_f32_f16 v68, v68;
	;;#ASMEND
	v_dual_fmac_f32 v44, v72, v68 :: v_dual_and_b32 v23, 0xffff, v23
	;;#ASMSTART
	v_cvt_f32_f16 v73, v23;
	;;#ASMEND
	;;#ASMSTART
	v_cvt_f32_f16 v71, v71;
	;;#ASMEND
	;; [unrolled: 3-line block ×4, first 2 shown]
	ds_load_b64 v[22:23], v13 offset:48
	v_dual_fmac_f32 v25, v73, v33 :: v_dual_and_b32 v34, 0xffff, v34
	s_waitcnt lgkmcnt(0)
	v_dual_fmac_f32 v45, v71, v69 :: v_dual_and_b32 v26, 0xffff, v22
	v_lshrrev_b32_e32 v22, 16, v22
	v_lshrrev_b32_e32 v27, 16, v23
	;;#ASMSTART
	v_cvt_f32_f16 v26, v26;
	;;#ASMEND
	;;#ASMSTART
	v_cvt_f32_f16 v37, v22;
	;;#ASMEND
	;; [unrolled: 3-line block ×3, first 2 shown]
	v_dual_fmac_f32 v24, v26, v34 :: v_dual_and_b32 v35, 0xffff, v35
	;;#ASMSTART
	v_cvt_f32_f16 v38, v74;
	;;#ASMEND
	v_dual_fmac_f32 v44, v37, v38 :: v_dual_and_b32 v23, 0xffff, v23
	;;#ASMSTART
	v_cvt_f32_f16 v39, v23;
	;;#ASMEND
	;;#ASMSTART
	v_cvt_f32_f16 v27, v27;
	;;#ASMEND
	;; [unrolled: 3-line block ×4, first 2 shown]
	ds_load_b64 v[22:23], v13 offset:56
	v_fmac_f32_e32 v25, v39, v35
	v_fmac_f32_e32 v45, v27, v40
	v_and_b32_e32 v20, 0xffff, v20
	s_waitcnt lgkmcnt(0)
	v_and_b32_e32 v26, 0xffff, v22
	v_lshrrev_b32_e32 v22, 16, v22
	v_lshrrev_b32_e32 v27, 16, v23
	;;#ASMSTART
	v_cvt_f32_f16 v26, v26;
	;;#ASMEND
	;;#ASMSTART
	v_cvt_f32_f16 v22, v22;
	;;#ASMEND
	;; [unrolled: 3-line block ×3, first 2 shown]
	v_dual_fmac_f32 v24, v26, v20 :: v_dual_and_b32 v21, 0xffff, v21
	;;#ASMSTART
	v_cvt_f32_f16 v29, v36;
	;;#ASMEND
	v_dual_fmac_f32 v44, v22, v29 :: v_dual_and_b32 v23, 0xffff, v23
	;;#ASMSTART
	v_cvt_f32_f16 v20, v23;
	;;#ASMEND
	;;#ASMSTART
	v_cvt_f32_f16 v22, v27;
	;;#ASMEND
	;; [unrolled: 3-line block ×3, first 2 shown]
	v_fmac_f32_e32 v25, v20, v21
	;;#ASMSTART
	v_cvt_f32_f16 v21, v28;
	;;#ASMEND
	v_fmac_f32_e32 v45, v22, v21
	v_cndmask_b32_e64 v21, v7, v18, s1
	s_delay_alu instid0(VALU_DEP_1) | instskip(NEXT) | instid1(VALU_DEP_1)
	v_dual_add_f32 v20, v24, v44 :: v_dual_lshlrev_b32 v21, 2, v21
	v_add_f32_e32 v20, v20, v25
	s_delay_alu instid0(VALU_DEP_1)
	v_add_f32_e32 v20, v45, v20
	ds_bpermute_b32 v21, v21, v20
	s_and_saveexec_b32 s3, vcc_lo
	s_cbranch_execz .LBB102_9
; %bb.11:                               ;   in Loop: Header=BB102_10 Depth=1
	s_waitcnt lgkmcnt(0)
	v_add_f32_e32 v20, v20, v21
	v_add_nc_u32_e32 v22, s6, v14
	v_cmp_gt_i32_e64 s1, s15, v14
	s_delay_alu instid0(VALU_DEP_2) | instskip(NEXT) | instid1(VALU_DEP_1)
	v_cvt_f32_i32_e32 v22, v22
	v_mul_f32_e32 v22, s30, v22
	s_delay_alu instid0(VALU_DEP_1) | instskip(NEXT) | instid1(VALU_DEP_1)
	v_cndmask_b32_e64 v21, 0, v22, s0
	v_dual_max_f32 v22, v9, v9 :: v_dual_fmac_f32 v21, s31, v20
	s_delay_alu instid0(VALU_DEP_1) | instskip(SKIP_1) | instid1(VALU_DEP_2)
	v_max_f32_e32 v20, v22, v21
	v_cndmask_b32_e64 v21, 0, v21, s1
	v_cndmask_b32_e64 v9, v9, v20, s1
	ds_store_b32 v15, v21
	s_branch .LBB102_9
.LBB102_12:
	s_or_b32 exec_lo, exec_lo, s29
.LBB102_13:
	s_delay_alu instid0(SALU_CYCLE_1) | instskip(SKIP_4) | instid1(VALU_DEP_4)
	s_or_b32 exec_lo, exec_lo, s34
	v_xor_b32_e32 v1, 16, v7
	v_xor_b32_e32 v2, 8, v7
	v_max_f32_e32 v13, v9, v9
	v_lshlrev_b32_e32 v17, 2, v12
	v_cmp_lt_i32_e32 vcc_lo, v1, v8
	v_cndmask_b32_e32 v1, v7, v1, vcc_lo
	v_cmp_lt_i32_e32 vcc_lo, v2, v8
	s_delay_alu instid0(VALU_DEP_2) | instskip(SKIP_4) | instid1(VALU_DEP_1)
	v_dual_cndmask_b32 v2, v7, v2 :: v_dual_lshlrev_b32 v15, 2, v1
	ds_bpermute_b32 v1, v15, v9
	v_lshlrev_b32_e32 v9, 2, v2
	s_waitcnt lgkmcnt(0)
	v_max_f32_e32 v1, v1, v1
	v_max_f32_e32 v1, v13, v1
	v_xor_b32_e32 v13, 4, v7
	ds_bpermute_b32 v2, v9, v1
	v_cmp_lt_i32_e32 vcc_lo, v13, v8
	s_waitcnt lgkmcnt(0)
	v_dual_cndmask_b32 v13, v7, v13 :: v_dual_max_f32 v2, v2, v2
	s_delay_alu instid0(VALU_DEP_1) | instskip(SKIP_1) | instid1(VALU_DEP_3)
	v_lshlrev_b32_e32 v16, 2, v13
	v_xor_b32_e32 v13, 2, v7
	v_max_f32_e32 v1, v1, v2
	s_delay_alu instid0(VALU_DEP_2) | instskip(SKIP_3) | instid1(VALU_DEP_1)
	v_cmp_lt_i32_e32 vcc_lo, v13, v8
	ds_bpermute_b32 v2, v16, v1
	s_waitcnt lgkmcnt(0)
	v_dual_cndmask_b32 v13, v7, v13 :: v_dual_max_f32 v2, v2, v2
	v_dual_max_f32 v1, v1, v2 :: v_dual_lshlrev_b32 v2, 2, v13
	v_and_b32_e32 v13, 31, v0
	ds_bpermute_b32 v14, v2, v1
	v_cmp_eq_u32_e32 vcc_lo, 0, v13
	s_and_saveexec_b32 s0, vcc_lo
	s_cbranch_execz .LBB102_15
; %bb.14:
	s_waitcnt lgkmcnt(0)
	v_dual_max_f32 v14, v14, v14 :: v_dual_max_f32 v1, v1, v1
	s_delay_alu instid0(VALU_DEP_1)
	v_max_f32_e32 v1, v1, v14
	ds_store_b32 v17, v1 offset:128
.LBB102_15:
	s_or_b32 exec_lo, exec_lo, s0
	v_cmp_gt_u32_e64 s0, 4, v13
	v_dual_mov_b32 v1, 0xff7fffff :: v_dual_lshlrev_b32 v18, 2, v13
	s_waitcnt lgkmcnt(0)
	s_barrier
	buffer_gl0_inv
	s_and_saveexec_b32 s1, s0
	s_cbranch_execz .LBB102_17
; %bb.16:
	ds_load_b32 v1, v18 offset:128
.LBB102_17:
	s_or_b32 exec_lo, exec_lo, s1
	s_waitcnt lgkmcnt(0)
	ds_bpermute_b32 v14, v2, v1
	v_xor_b32_e32 v19, 1, v7
	s_delay_alu instid0(VALU_DEP_1) | instskip(NEXT) | instid1(VALU_DEP_1)
	v_cmp_lt_i32_e64 s1, v19, v8
	v_cndmask_b32_e64 v8, v7, v19, s1
	v_max_f32_e32 v1, v1, v1
	v_lshlrev_b32_e32 v7, 2, v7
	s_sub_i32 s1, s17, s7
	s_delay_alu instid0(SALU_CYCLE_1) | instskip(NEXT) | instid1(SALU_CYCLE_1)
	s_lshl_b32 s1, s1, 4
	s_add_i32 s1, s1, s33
	s_delay_alu instid0(SALU_CYCLE_1) | instskip(SKIP_3) | instid1(SALU_CYCLE_1)
	s_min_i32 s1, s1, s15
	s_waitcnt lgkmcnt(0)
	v_dual_max_f32 v19, v14, v14 :: v_dual_lshlrev_b32 v14, 2, v8
	s_sub_i32 s6, s1, s33
	v_cmp_gt_i32_e64 s1, s6, v0
	s_delay_alu instid0(VALU_DEP_2) | instskip(SKIP_4) | instid1(VALU_DEP_1)
	v_max_f32_e32 v1, v1, v19
	v_mov_b32_e32 v19, 0
	ds_bpermute_b32 v8, v14, v1
	s_waitcnt lgkmcnt(0)
	v_max_f32_e32 v8, v8, v8
	v_dual_max_f32 v1, v1, v8 :: v_dual_and_b32 v8, 0xffffff80, v7
	v_lshl_add_u32 v7, v0, 2, 0xa0
	ds_bpermute_b32 v1, v8, v1
	s_and_saveexec_b32 s7, s1
	s_cbranch_execz .LBB102_21
; %bb.18:
	v_lshl_add_u32 v20, v0, 2, 0xa0
	v_mov_b32_e32 v19, 0
	v_mov_b32_e32 v21, v0
	s_mov_b32 s29, 0
	.p2align	6
.LBB102_19:                             ; =>This Inner Loop Header: Depth=1
	ds_load_b32 v22, v20
	v_add_nc_u32_e32 v21, 0x80, v21
	s_delay_alu instid0(VALU_DEP_1) | instskip(NEXT) | instid1(VALU_DEP_1)
	v_cmp_le_i32_e64 s3, s6, v21
	s_or_b32 s29, s3, s29
	s_waitcnt lgkmcnt(0)
	v_sub_f32_e32 v22, v22, v1
	s_delay_alu instid0(VALU_DEP_1) | instskip(NEXT) | instid1(VALU_DEP_1)
	v_mul_f32_e32 v22, 0x3fb8aa3b, v22
	v_exp_f32_e32 v22, v22
	ds_store_b32 v20, v22
	v_dual_add_f32 v19, v19, v22 :: v_dual_add_nc_u32 v20, 0x200, v20
	s_and_not1_b32 exec_lo, exec_lo, s29
	s_cbranch_execnz .LBB102_19
; %bb.20:
	s_or_b32 exec_lo, exec_lo, s29
.LBB102_21:
	s_delay_alu instid0(SALU_CYCLE_1)
	s_or_b32 exec_lo, exec_lo, s7
	ds_bpermute_b32 v15, v15, v19
	s_waitcnt lgkmcnt(0)
	v_add_f32_e32 v15, v19, v15
	ds_bpermute_b32 v9, v9, v15
	s_waitcnt lgkmcnt(0)
	v_add_f32_e32 v9, v15, v9
	;; [unrolled: 3-line block ×5, first 2 shown]
	s_and_saveexec_b32 s3, vcc_lo
	s_cbranch_execz .LBB102_23
; %bb.22:
	ds_store_b32 v17, v9 offset:144
.LBB102_23:
	s_or_b32 exec_lo, exec_lo, s3
	s_waitcnt lgkmcnt(0)
	s_barrier
	buffer_gl0_inv
	s_and_saveexec_b32 s3, s0
	s_cbranch_execz .LBB102_25
; %bb.24:
	ds_load_b32 v9, v18 offset:144
.LBB102_25:
	s_or_b32 exec_lo, exec_lo, s3
	s_waitcnt lgkmcnt(0)
	ds_bpermute_b32 v2, v2, v9
	s_waitcnt lgkmcnt(0)
	v_add_f32_e32 v2, v9, v2
	ds_bpermute_b32 v9, v14, v2
	s_waitcnt lgkmcnt(0)
	v_add_f32_e32 v2, v2, v9
	ds_bpermute_b32 v2, v8, v2
	s_and_saveexec_b32 s0, s1
	s_cbranch_execz .LBB102_28
; %bb.26:
	s_waitcnt lgkmcnt(0)
	v_add_f32_e32 v8, 0x358637bd, v2
	s_mov_b32 s1, 0
	s_delay_alu instid0(VALU_DEP_1) | instskip(NEXT) | instid1(VALU_DEP_1)
	v_div_scale_f32 v9, null, v8, v8, 1.0
	v_rcp_f32_e32 v15, v9
	s_waitcnt_depctr 0xfff
	v_fma_f32 v16, -v9, v15, 1.0
	s_delay_alu instid0(VALU_DEP_1) | instskip(SKIP_1) | instid1(VALU_DEP_1)
	v_fmac_f32_e32 v15, v16, v15
	v_div_scale_f32 v17, vcc_lo, 1.0, v8, 1.0
	v_mul_f32_e32 v16, v17, v15
	s_delay_alu instid0(VALU_DEP_1) | instskip(NEXT) | instid1(VALU_DEP_1)
	v_fma_f32 v18, -v9, v16, v17
	v_fmac_f32_e32 v16, v18, v15
	s_delay_alu instid0(VALU_DEP_1) | instskip(NEXT) | instid1(VALU_DEP_1)
	v_fma_f32 v9, -v9, v16, v17
	v_div_fmas_f32 v9, v9, v15, v16
	s_delay_alu instid0(VALU_DEP_1)
	v_div_fixup_f32 v8, v9, v8, 1.0
	v_mov_b32_e32 v9, v0
.LBB102_27:                             ; =>This Inner Loop Header: Depth=1
	ds_load_b32 v15, v7
	v_add_nc_u32_e32 v9, 0x80, v9
	s_delay_alu instid0(VALU_DEP_1)
	v_cmp_le_i32_e32 vcc_lo, s6, v9
	s_or_b32 s1, vcc_lo, s1
	s_waitcnt lgkmcnt(0)
	v_mul_f32_e32 v15, v8, v15
	ds_store_b32 v7, v15
	v_add_nc_u32_e32 v7, 0x200, v7
	s_and_not1_b32 exec_lo, exec_lo, s1
	s_cbranch_execnz .LBB102_27
.LBB102_28:
	s_or_b32 exec_lo, exec_lo, s0
	s_mul_i32 s0, s4, s14
	s_waitcnt lgkmcnt(0)
	s_mul_i32 s6, s0, s13
	s_mov_b32 s0, exec_lo
	s_barrier
	buffer_gl0_inv
	v_cmpx_eq_u32_e32 0, v0
	s_cbranch_execz .LBB102_30
; %bb.29:
	s_ashr_i32 s7, s6, 31
	s_mul_i32 s34, s4, s20
	s_lshl_b64 s[30:31], s[6:7], 2
	v_mov_b32_e32 v7, 0
	s_add_u32 s1, s10, s30
	s_addc_u32 s3, s11, s31
	s_ashr_i32 s35, s34, 31
	s_delay_alu instid0(SALU_CYCLE_1) | instskip(NEXT) | instid1(SALU_CYCLE_1)
	s_lshl_b64 s[10:11], s[34:35], 2
	s_add_u32 s1, s1, s10
	s_addc_u32 s3, s3, s11
	s_ashr_i32 s13, s12, 31
	s_delay_alu instid0(SALU_CYCLE_1) | instskip(NEXT) | instid1(SALU_CYCLE_1)
	s_lshl_b64 s[34:35], s[12:13], 2
	s_add_u32 s36, s1, s34
	s_addc_u32 s37, s3, s35
	s_add_u32 s1, s8, s30
	s_addc_u32 s3, s9, s31
	;; [unrolled: 2-line block ×4, first 2 shown]
	s_clause 0x1
	global_store_b32 v7, v1, s[36:37]
	global_store_b32 v7, v2, s[8:9]
.LBB102_30:
	s_or_b32 exec_lo, exec_lo, s0
	v_dual_mov_b32 v16, 0 :: v_dual_mov_b32 v17, 0
	v_dual_mov_b32 v18, 0 :: v_dual_mov_b32 v15, 0
	s_mov_b32 s3, 0
	s_and_saveexec_b32 s1, s2
	s_cbranch_execz .LBB102_42
; %bb.31:
	v_dual_mov_b32 v15, 0 :: v_dual_lshlrev_b32 v2, 4, v0
	s_ashr_i32 s29, s28, 31
	v_dual_mov_b32 v18, 0 :: v_dual_and_b32 v1, 8, v3
	s_delay_alu instid0(VALU_DEP_2)
	v_dual_mov_b32 v17, 0 :: v_dual_and_b32 v2, 0x1f0, v2
	s_lshl_b64 s[8:9], s[28:29], 1
	v_dual_mov_b32 v16, 0 :: v_dual_lshlrev_b32 v3, 5, v11
	s_add_u32 s0, s26, s8
	s_addc_u32 s10, s27, s9
	v_add_co_u32 v19, s0, s0, v2
	v_add3_u32 v21, s33, v4, v1
	v_lshlrev_b64 v[1:2], 2, v[5:6]
	v_add_co_ci_u32_e64 v20, null, s10, 0, s0
	s_lshl_b64 s[10:11], s[24:25], 2
	s_add_i32 s21, s21, -1
	v_lshl_or_b32 v3, v12, 6, v3
	s_add_u32 s0, s22, s10
	s_addc_u32 s10, s23, s11
	v_add_co_u32 v6, vcc_lo, s0, v1
	s_delay_alu instid0(VALU_DEP_2)
	v_add_nc_u32_e32 v22, 0xa0, v3
	v_add_co_ci_u32_e32 v7, vcc_lo, s10, v2, vcc_lo
	s_mov_b32 s2, s5
	s_mov_b32 s5, s15
	s_mov_b32 s7, s15
	s_mov_b32 s8, s15
	s_mov_b32 s9, s15
	s_mov_b32 s10, s15
	s_mov_b32 s11, s15
	s_mov_b32 s13, s15
	s_branch .LBB102_33
.LBB102_32:                             ;   in Loop: Header=BB102_33 Depth=1
	s_or_b32 exec_lo, exec_lo, s0
	s_waitcnt vmcnt(0)
	;;#ASMSTART
	v_pk_mul_f16 v1, v33, v1;

	;;#ASMEND
	;;#ASMSTART
	v_pk_mul_f16 v2, v32, v2;

	;;#ASMEND
	;; [unrolled: 4-line block ×4, first 2 shown]
	;;#ASMSTART
	v_pk_add_f16 v1, v1, v2;

	;;#ASMEND
	;;#ASMSTART
	v_pk_add_f16 v1, v1, v3;

	;;#ASMEND
	;; [unrolled: 4-line block ×3, first 2 shown]
	v_dual_add_f32 v3, v34, v35 :: v_dual_and_b32 v2, 0xffff, v1
	v_lshrrev_b32_e32 v1, 16, v1
	v_dual_add_f32 v8, v38, v39 :: v_dual_add_nc_u32 v5, 4, v5
	;;#ASMSTART
	v_cvt_f32_f16 v2, v2;
	;;#ASMEND
	;;#ASMSTART
	v_cvt_f32_f16 v1, v1;
	;;#ASMEND
	v_dual_add_f32 v4, v36, v37 :: v_dual_add_f32 v15, v15, v3
	v_dual_add_f32 v1, v2, v1 :: v_dual_add_nc_u32 v22, 0x100, v22
	v_cmp_le_i32_e32 vcc_lo, s17, v5
	v_add_co_u32 v6, s0, v6, 16
	s_delay_alu instid0(VALU_DEP_4) | instskip(NEXT) | instid1(VALU_DEP_4)
	v_dual_add_f32 v18, v18, v4 :: v_dual_add_nc_u32 v21, 64, v21
	v_dual_add_f32 v17, v17, v8 :: v_dual_add_f32 v16, v16, v1
	v_add_co_ci_u32_e64 v7, s0, 0, v7, s0
	s_or_b32 s3, vcc_lo, s3
	s_delay_alu instid0(SALU_CYCLE_1)
	s_and_not1_b32 exec_lo, exec_lo, s3
	s_cbranch_execz .LBB102_41
.LBB102_33:                             ; =>This Inner Loop Header: Depth=1
	global_load_b32 v27, v[6:7], off
	ds_load_2addr_b64 v[1:4], v22 offset1:1
	ds_load_2addr_b64 v[23:26], v22 offset0:2 offset1:3
	v_or_b32_e32 v28, 7, v21
	v_or_b32_e32 v29, 6, v21
	s_waitcnt lgkmcnt(1)
	;;#ASMSTART
	v_cvt_f16_f32 v32, v1;

	;;#ASMEND
	;;#ASMSTART
	v_cvt_f16_f32 v30, v2;

	;;#ASMEND
	;; [unrolled: 4-line block ×4, first 2 shown]
	s_waitcnt lgkmcnt(0)
	;;#ASMSTART
	v_cvt_f16_f32 v36, v23;

	;;#ASMEND
	;;#ASMSTART
	v_cvt_f16_f32 v34, v24;

	;;#ASMEND
	;; [unrolled: 4-line block ×4, first 2 shown]
	v_add_nc_u32_e32 v23, 1, v21
	v_or_b32_e32 v25, 3, v21
	v_or_b32_e32 v24, 2, v21
	;; [unrolled: 1-line block ×3, first 2 shown]
	s_waitcnt vmcnt(0)
	v_mad_i64_i32 v[8:9], null, v27, s2, 0
	v_or_b32_e32 v27, 5, v21
	s_delay_alu instid0(VALU_DEP_2) | instskip(NEXT) | instid1(VALU_DEP_1)
	v_lshlrev_b64 v[8:9], 1, v[8:9]
	v_add_co_u32 v8, vcc_lo, v19, v8
	s_delay_alu instid0(VALU_DEP_2)
	v_add_co_ci_u32_e32 v9, vcc_lo, v20, v9, vcc_lo
	v_cmp_eq_u32_e32 vcc_lo, s21, v5
	global_load_b128 v[1:4], v[8:9], off
	s_and_saveexec_b32 s14, vcc_lo
	s_cbranch_execz .LBB102_35
; %bb.34:                               ;   in Loop: Header=BB102_33 Depth=1
	v_cmp_gt_i32_e64 s0, s11, v29
	s_waitcnt vmcnt(0)
	v_lshrrev_b32_e32 v38, 16, v4
	v_lshrrev_b32_e32 v39, 16, v3
	;; [unrolled: 1-line block ×4, first 2 shown]
	v_cndmask_b32_e64 v4, 0, v4, s0
	v_cmp_gt_i32_e64 s0, s13, v28
	s_delay_alu instid0(VALU_DEP_1) | instskip(SKIP_1) | instid1(VALU_DEP_2)
	v_cndmask_b32_e64 v38, 0, v38, s0
	v_cmp_gt_i32_e64 s0, s10, v27
	v_perm_b32 v4, v38, v4, 0x5040100
	s_delay_alu instid0(VALU_DEP_2) | instskip(SKIP_1) | instid1(VALU_DEP_1)
	v_cndmask_b32_e64 v39, 0, v39, s0
	v_cmp_gt_i32_e64 s0, s9, v26
	v_cndmask_b32_e64 v3, 0, v3, s0
	v_cmp_gt_i32_e64 s0, s8, v25
	s_delay_alu instid0(VALU_DEP_2) | instskip(NEXT) | instid1(VALU_DEP_2)
	v_perm_b32 v3, v39, v3, 0x5040100
	v_cndmask_b32_e64 v40, 0, v40, s0
	v_cmp_gt_i32_e64 s0, s7, v24
	s_delay_alu instid0(VALU_DEP_1) | instskip(SKIP_1) | instid1(VALU_DEP_2)
	v_cndmask_b32_e64 v2, 0, v2, s0
	v_cmp_gt_i32_e64 s0, s5, v23
	v_perm_b32 v2, v40, v2, 0x5040100
	s_delay_alu instid0(VALU_DEP_2) | instskip(SKIP_1) | instid1(VALU_DEP_1)
	v_cndmask_b32_e64 v41, 0, v41, s0
	v_cmp_gt_i32_e64 s0, s15, v21
	v_cndmask_b32_e64 v1, 0, v1, s0
	s_delay_alu instid0(VALU_DEP_1)
	v_perm_b32 v1, v41, v1, 0x5040100
.LBB102_35:                             ;   in Loop: Header=BB102_33 Depth=1
	s_or_b32 exec_lo, exec_lo, s14
	v_and_b32_e32 v32, 0xffff, v32
	v_and_b32_e32 v38, 0xffff, v33
	;; [unrolled: 1-line block ×4, first 2 shown]
	s_delay_alu instid0(VALU_DEP_4)
	v_lshl_or_b32 v33, v30, 16, v32
	s_waitcnt vmcnt(0)
	;;#ASMSTART
	v_pk_mul_f16 v1, v33, v1;

	;;#ASMEND
	v_lshl_or_b32 v32, v31, 16, v38
	v_lshl_or_b32 v31, v34, 16, v36
	;; [unrolled: 1-line block ×3, first 2 shown]
	;;#ASMSTART
	v_pk_mul_f16 v2, v32, v2;

	;;#ASMEND
	;;#ASMSTART
	v_pk_mul_f16 v3, v31, v3;

	;;#ASMEND
	;;#ASMSTART
	v_pk_mul_f16 v4, v30, v4;

	;;#ASMEND
	;;#ASMSTART
	v_pk_add_f16 v1, v1, v2;

	;;#ASMEND
	;;#ASMSTART
	v_pk_add_f16 v1, v1, v3;

	;;#ASMEND
	;;#ASMSTART
	v_pk_add_f16 v1, v1, v4;

	;;#ASMEND
	v_and_b32_e32 v2, 0xffff, v1
	v_lshrrev_b32_e32 v1, 16, v1
	;;#ASMSTART
	v_cvt_f32_f16 v34, v2;
	;;#ASMEND
	;;#ASMSTART
	v_cvt_f32_f16 v35, v1;
	;;#ASMEND
	global_load_b128 v[1:4], v[8:9], off offset:512
	s_and_saveexec_b32 s14, vcc_lo
	s_cbranch_execz .LBB102_37
; %bb.36:                               ;   in Loop: Header=BB102_33 Depth=1
	v_cmp_gt_i32_e64 s0, s11, v29
	s_waitcnt vmcnt(0)
	v_lshrrev_b32_e32 v36, 16, v4
	v_lshrrev_b32_e32 v37, 16, v3
	;; [unrolled: 1-line block ×4, first 2 shown]
	v_cndmask_b32_e64 v4, 0, v4, s0
	v_cmp_gt_i32_e64 s0, s13, v28
	s_delay_alu instid0(VALU_DEP_1) | instskip(SKIP_1) | instid1(VALU_DEP_2)
	v_cndmask_b32_e64 v36, 0, v36, s0
	v_cmp_gt_i32_e64 s0, s10, v27
	v_perm_b32 v4, v36, v4, 0x5040100
	s_delay_alu instid0(VALU_DEP_2) | instskip(SKIP_1) | instid1(VALU_DEP_1)
	v_cndmask_b32_e64 v37, 0, v37, s0
	v_cmp_gt_i32_e64 s0, s9, v26
	v_cndmask_b32_e64 v3, 0, v3, s0
	v_cmp_gt_i32_e64 s0, s8, v25
	s_delay_alu instid0(VALU_DEP_2) | instskip(NEXT) | instid1(VALU_DEP_2)
	v_perm_b32 v3, v37, v3, 0x5040100
	v_cndmask_b32_e64 v38, 0, v38, s0
	v_cmp_gt_i32_e64 s0, s7, v24
	s_delay_alu instid0(VALU_DEP_1) | instskip(SKIP_1) | instid1(VALU_DEP_2)
	v_cndmask_b32_e64 v2, 0, v2, s0
	v_cmp_gt_i32_e64 s0, s5, v23
	v_perm_b32 v2, v38, v2, 0x5040100
	s_delay_alu instid0(VALU_DEP_2) | instskip(SKIP_1) | instid1(VALU_DEP_1)
	v_cndmask_b32_e64 v39, 0, v39, s0
	v_cmp_gt_i32_e64 s0, s15, v21
	v_cndmask_b32_e64 v1, 0, v1, s0
	s_delay_alu instid0(VALU_DEP_1)
	v_perm_b32 v1, v39, v1, 0x5040100
.LBB102_37:                             ;   in Loop: Header=BB102_33 Depth=1
	s_or_b32 exec_lo, exec_lo, s14
	s_waitcnt vmcnt(0)
	;;#ASMSTART
	v_pk_mul_f16 v1, v33, v1;

	;;#ASMEND
	;;#ASMSTART
	v_pk_mul_f16 v2, v32, v2;

	;;#ASMEND
	;; [unrolled: 4-line block ×4, first 2 shown]
	;;#ASMSTART
	v_pk_add_f16 v1, v1, v2;

	;;#ASMEND
	;;#ASMSTART
	v_pk_add_f16 v1, v1, v3;

	;;#ASMEND
	;; [unrolled: 4-line block ×3, first 2 shown]
	v_and_b32_e32 v2, 0xffff, v1
	v_lshrrev_b32_e32 v1, 16, v1
	;;#ASMSTART
	v_cvt_f32_f16 v36, v2;
	;;#ASMEND
	;;#ASMSTART
	v_cvt_f32_f16 v37, v1;
	;;#ASMEND
	global_load_b128 v[1:4], v[8:9], off offset:1024
	s_and_saveexec_b32 s14, vcc_lo
	s_cbranch_execz .LBB102_39
; %bb.38:                               ;   in Loop: Header=BB102_33 Depth=1
	v_cmp_gt_i32_e64 s0, s11, v29
	s_waitcnt vmcnt(0)
	v_lshrrev_b32_e32 v38, 16, v4
	v_lshrrev_b32_e32 v39, 16, v3
	;; [unrolled: 1-line block ×4, first 2 shown]
	v_cndmask_b32_e64 v4, 0, v4, s0
	v_cmp_gt_i32_e64 s0, s13, v28
	s_delay_alu instid0(VALU_DEP_1) | instskip(SKIP_1) | instid1(VALU_DEP_2)
	v_cndmask_b32_e64 v38, 0, v38, s0
	v_cmp_gt_i32_e64 s0, s10, v27
	v_perm_b32 v4, v38, v4, 0x5040100
	s_delay_alu instid0(VALU_DEP_2) | instskip(SKIP_1) | instid1(VALU_DEP_1)
	v_cndmask_b32_e64 v39, 0, v39, s0
	v_cmp_gt_i32_e64 s0, s9, v26
	v_cndmask_b32_e64 v3, 0, v3, s0
	v_cmp_gt_i32_e64 s0, s8, v25
	s_delay_alu instid0(VALU_DEP_2) | instskip(NEXT) | instid1(VALU_DEP_2)
	v_perm_b32 v3, v39, v3, 0x5040100
	v_cndmask_b32_e64 v40, 0, v40, s0
	v_cmp_gt_i32_e64 s0, s7, v24
	s_delay_alu instid0(VALU_DEP_1) | instskip(SKIP_1) | instid1(VALU_DEP_2)
	v_cndmask_b32_e64 v2, 0, v2, s0
	v_cmp_gt_i32_e64 s0, s5, v23
	v_perm_b32 v2, v40, v2, 0x5040100
	s_delay_alu instid0(VALU_DEP_2) | instskip(SKIP_1) | instid1(VALU_DEP_1)
	v_cndmask_b32_e64 v41, 0, v41, s0
	v_cmp_gt_i32_e64 s0, s15, v21
	v_cndmask_b32_e64 v1, 0, v1, s0
	s_delay_alu instid0(VALU_DEP_1)
	v_perm_b32 v1, v41, v1, 0x5040100
.LBB102_39:                             ;   in Loop: Header=BB102_33 Depth=1
	s_or_b32 exec_lo, exec_lo, s14
	s_waitcnt vmcnt(0)
	;;#ASMSTART
	v_pk_mul_f16 v1, v33, v1;

	;;#ASMEND
	;;#ASMSTART
	v_pk_mul_f16 v2, v32, v2;

	;;#ASMEND
	;; [unrolled: 4-line block ×4, first 2 shown]
	;;#ASMSTART
	v_pk_add_f16 v1, v1, v2;

	;;#ASMEND
	;;#ASMSTART
	v_pk_add_f16 v1, v1, v3;

	;;#ASMEND
	;; [unrolled: 4-line block ×3, first 2 shown]
	v_and_b32_e32 v2, 0xffff, v1
	v_lshrrev_b32_e32 v1, 16, v1
	;;#ASMSTART
	v_cvt_f32_f16 v38, v2;
	;;#ASMEND
	;;#ASMSTART
	v_cvt_f32_f16 v39, v1;
	;;#ASMEND
	global_load_b128 v[1:4], v[8:9], off offset:1536
	s_and_saveexec_b32 s0, vcc_lo
	s_cbranch_execz .LBB102_32
; %bb.40:                               ;   in Loop: Header=BB102_33 Depth=1
	v_cmp_gt_i32_e32 vcc_lo, s11, v29
	s_waitcnt vmcnt(0)
	v_lshrrev_b32_e32 v8, 16, v4
	v_lshrrev_b32_e32 v9, 16, v3
	v_cndmask_b32_e32 v4, 0, v4, vcc_lo
	v_cmp_gt_i32_e32 vcc_lo, s13, v28
	s_delay_alu instid0(VALU_DEP_4)
	v_cndmask_b32_e32 v8, 0, v8, vcc_lo
	v_cmp_gt_i32_e32 vcc_lo, s10, v27
	v_lshrrev_b32_e32 v27, 16, v2
	v_cndmask_b32_e32 v9, 0, v9, vcc_lo
	v_cmp_gt_i32_e32 vcc_lo, s9, v26
	v_lshrrev_b32_e32 v26, 16, v1
	v_cndmask_b32_e32 v3, 0, v3, vcc_lo
	v_cmp_gt_i32_e32 vcc_lo, s8, v25
	v_perm_b32 v4, v8, v4, 0x5040100
	s_delay_alu instid0(VALU_DEP_3) | instskip(SKIP_4) | instid1(VALU_DEP_2)
	v_perm_b32 v3, v9, v3, 0x5040100
	v_cndmask_b32_e32 v25, 0, v27, vcc_lo
	v_cmp_gt_i32_e32 vcc_lo, s7, v24
	v_cndmask_b32_e32 v2, 0, v2, vcc_lo
	v_cmp_gt_i32_e32 vcc_lo, s5, v23
	v_perm_b32 v2, v25, v2, 0x5040100
	v_cndmask_b32_e32 v23, 0, v26, vcc_lo
	v_cmp_gt_i32_e32 vcc_lo, s15, v21
	v_cndmask_b32_e32 v1, 0, v1, vcc_lo
	s_delay_alu instid0(VALU_DEP_1)
	v_perm_b32 v1, v23, v1, 0x5040100
	s_branch .LBB102_32
.LBB102_41:
	s_or_b32 exec_lo, exec_lo, s3
.LBB102_42:
	s_delay_alu instid0(SALU_CYCLE_1)
	s_or_b32 exec_lo, exec_lo, s1
	ds_bpermute_b32 v1, v14, v15
	ds_bpermute_b32 v2, v14, v18
	;; [unrolled: 1-line block ×4, first 2 shown]
	v_lshrrev_b32_e32 v5, 1, v13
	v_lshl_add_u32 v6, v12, 8, 0xa0
	v_and_b32_e32 v9, 0x3c1, v0
	s_mov_b32 s0, exec_lo
	s_waitcnt lgkmcnt(0)
	s_waitcnt_vscnt null, 0x0
	s_barrier
	buffer_gl0_inv
	v_dual_add_f32 v4, v15, v1 :: v_dual_add_f32 v3, v18, v2
	v_dual_add_f32 v2, v17, v7 :: v_dual_add_f32 v1, v16, v8
	v_cmpx_eq_u32_e32 64, v9
	s_cbranch_execz .LBB102_44
; %bb.43:
	v_lshlrev_b32_e32 v7, 2, v5
	s_delay_alu instid0(VALU_DEP_1)
	v_add3_u32 v7, v6, v7, 0xfffffe00
	ds_store_2addr_b32 v7, v4, v3 offset1:16
	ds_store_2addr_b32 v7, v2, v1 offset0:32 offset1:48
.LBB102_44:
	s_or_b32 exec_lo, exec_lo, s0
	v_cmp_eq_u32_e32 vcc_lo, 0, v11
	s_mov_b32 s1, exec_lo
	s_waitcnt lgkmcnt(0)
	s_barrier
	buffer_gl0_inv
	v_cmpx_gt_u32_e32 64, v0
	s_cbranch_execz .LBB102_51
; %bb.45:
	s_and_saveexec_b32 s0, vcc_lo
	s_cbranch_execnz .LBB102_63
; %bb.46:
	s_or_b32 exec_lo, exec_lo, s0
	s_and_saveexec_b32 s0, vcc_lo
	s_cbranch_execnz .LBB102_64
.LBB102_47:
	s_or_b32 exec_lo, exec_lo, s0
	s_and_saveexec_b32 s0, vcc_lo
	s_cbranch_execnz .LBB102_65
.LBB102_48:
	s_or_b32 exec_lo, exec_lo, s0
	s_and_saveexec_b32 s0, vcc_lo
	s_cbranch_execz .LBB102_50
.LBB102_49:
	v_lshl_add_u32 v7, v5, 2, v6
	ds_load_b32 v7, v7 offset:192
	s_waitcnt lgkmcnt(0)
	v_add_f32_e32 v1, v1, v7
.LBB102_50:
	s_or_b32 exec_lo, exec_lo, s0
.LBB102_51:
	s_delay_alu instid0(SALU_CYCLE_1)
	s_or_b32 exec_lo, exec_lo, s1
	v_and_b32_e32 v7, 0x3e1, v0
	s_mov_b32 s1, exec_lo
	s_barrier
	buffer_gl0_inv
	v_cmpx_eq_u32_e32 32, v7
	s_cbranch_execz .LBB102_53
; %bb.52:
	v_lshl_add_u32 v8, v5, 2, 0xa0
	ds_store_2addr_b32 v8, v4, v3 offset1:16
	ds_store_2addr_b32 v8, v2, v1 offset0:32 offset1:48
.LBB102_53:
	s_or_b32 exec_lo, exec_lo, s1
	s_delay_alu instid0(SALU_CYCLE_1)
	s_mov_b32 s1, exec_lo
	s_waitcnt lgkmcnt(0)
	s_barrier
	buffer_gl0_inv
	v_cmpx_gt_u32_e32 32, v0
	s_cbranch_execz .LBB102_60
; %bb.54:
	v_lshl_add_u32 v0, v5, 2, v6
	s_and_saveexec_b32 s0, vcc_lo
	s_cbranch_execnz .LBB102_66
; %bb.55:
	s_or_b32 exec_lo, exec_lo, s0
	s_and_saveexec_b32 s0, vcc_lo
	s_cbranch_execnz .LBB102_67
.LBB102_56:
	s_or_b32 exec_lo, exec_lo, s0
	s_and_saveexec_b32 s0, vcc_lo
	s_cbranch_execnz .LBB102_68
.LBB102_57:
	s_or_b32 exec_lo, exec_lo, s0
	s_and_saveexec_b32 s0, vcc_lo
	s_cbranch_execz .LBB102_59
.LBB102_58:
	ds_load_b32 v0, v0 offset:192
	s_waitcnt lgkmcnt(0)
	v_add_f32_e32 v1, v1, v0
.LBB102_59:
	s_or_b32 exec_lo, exec_lo, s0
.LBB102_60:
	s_delay_alu instid0(SALU_CYCLE_1)
	s_or_b32 exec_lo, exec_lo, s1
	s_barrier
	buffer_gl0_inv
	s_mov_b32 s0, exec_lo
	v_cmpx_eq_u32_e32 0, v7
	s_cbranch_execz .LBB102_62
; %bb.61:
	s_lshl_b32 s0, s6, 6
	s_mul_i32 s2, s4, s16
	s_ashr_i32 s1, s0, 31
	v_lshlrev_b32_e32 v0, 1, v10
	s_lshl_b64 s[0:1], s[0:1], 1
	;;#ASMSTART
	v_cvt_f16_f32 v4, v4;

	;;#ASMEND
	s_add_u32 s4, s18, s0
	s_addc_u32 s5, s19, s1
	s_ashr_i32 s3, s2, 31
	s_delay_alu instid0(SALU_CYCLE_1) | instskip(NEXT) | instid1(SALU_CYCLE_1)
	s_lshl_b64 s[0:1], s[2:3], 1
	s_add_u32 s2, s4, s0
	s_addc_u32 s3, s5, s1
	s_lshl_b32 s0, s12, 6
	s_delay_alu instid0(SALU_CYCLE_1) | instskip(NEXT) | instid1(SALU_CYCLE_1)
	s_ashr_i32 s1, s0, 31
	s_lshl_b64 s[0:1], s[0:1], 1
	s_delay_alu instid0(SALU_CYCLE_1)
	s_add_u32 s0, s2, s0
	s_addc_u32 s1, s3, s1
	global_store_b16 v0, v4, s[0:1]
	;;#ASMSTART
	v_cvt_f16_f32 v3, v3;

	;;#ASMEND
	global_store_b16 v0, v3, s[0:1] offset:32
	;;#ASMSTART
	v_cvt_f16_f32 v2, v2;

	;;#ASMEND
	global_store_b16 v0, v2, s[0:1] offset:64
	;; [unrolled: 5-line block ×3, first 2 shown]
.LBB102_62:
	s_nop 0
	s_sendmsg sendmsg(MSG_DEALLOC_VGPRS)
	s_endpgm
.LBB102_63:
	v_lshl_add_u32 v7, v5, 2, v6
	ds_load_b32 v7, v7
	s_waitcnt lgkmcnt(0)
	v_add_f32_e32 v4, v4, v7
	s_or_b32 exec_lo, exec_lo, s0
	s_and_saveexec_b32 s0, vcc_lo
	s_cbranch_execz .LBB102_47
.LBB102_64:
	v_lshl_add_u32 v7, v5, 2, v6
	ds_load_b32 v7, v7 offset:64
	s_waitcnt lgkmcnt(0)
	v_add_f32_e32 v3, v3, v7
	s_or_b32 exec_lo, exec_lo, s0
	s_and_saveexec_b32 s0, vcc_lo
	s_cbranch_execz .LBB102_48
.LBB102_65:
	v_lshl_add_u32 v7, v5, 2, v6
	ds_load_b32 v7, v7 offset:128
	s_waitcnt lgkmcnt(0)
	v_add_f32_e32 v2, v2, v7
	s_or_b32 exec_lo, exec_lo, s0
	s_and_saveexec_b32 s0, vcc_lo
	s_cbranch_execnz .LBB102_49
	s_branch .LBB102_50
.LBB102_66:
	ds_load_b32 v5, v0
	s_waitcnt lgkmcnt(0)
	v_add_f32_e32 v4, v4, v5
	s_or_b32 exec_lo, exec_lo, s0
	s_and_saveexec_b32 s0, vcc_lo
	s_cbranch_execz .LBB102_56
.LBB102_67:
	ds_load_b32 v5, v0 offset:64
	s_waitcnt lgkmcnt(0)
	v_add_f32_e32 v3, v3, v5
	s_or_b32 exec_lo, exec_lo, s0
	s_and_saveexec_b32 s0, vcc_lo
	s_cbranch_execz .LBB102_57
.LBB102_68:
	ds_load_b32 v5, v0 offset:128
	s_waitcnt lgkmcnt(0)
	v_add_f32_e32 v2, v2, v5
	s_or_b32 exec_lo, exec_lo, s0
	s_and_saveexec_b32 s0, vcc_lo
	s_cbranch_execnz .LBB102_58
	s_branch .LBB102_59
	.section	.rodata,"a",@progbits
	.p2align	6, 0x0
	.amdhsa_kernel _ZN4vllm25paged_attention_v2_kernelIttLi64ELi16ELi128ELNS_18Fp8KVCacheDataTypeE0ELb0ELi512EEEvPfS2_PT_PKS3_PKT0_S9_ifPKiSB_iPKfiiiSD_SD_iiiii
		.amdhsa_group_segment_fixed_size 160
		.amdhsa_private_segment_fixed_size 0
		.amdhsa_kernarg_size 400
		.amdhsa_user_sgpr_count 13
		.amdhsa_user_sgpr_dispatch_ptr 0
		.amdhsa_user_sgpr_queue_ptr 0
		.amdhsa_user_sgpr_kernarg_segment_ptr 1
		.amdhsa_user_sgpr_dispatch_id 0
		.amdhsa_user_sgpr_private_segment_size 0
		.amdhsa_wavefront_size32 1
		.amdhsa_uses_dynamic_stack 0
		.amdhsa_enable_private_segment 0
		.amdhsa_system_sgpr_workgroup_id_x 1
		.amdhsa_system_sgpr_workgroup_id_y 1
		.amdhsa_system_sgpr_workgroup_id_z 1
		.amdhsa_system_sgpr_workgroup_info 0
		.amdhsa_system_vgpr_workitem_id 0
		.amdhsa_next_free_vgpr 76
		.amdhsa_next_free_sgpr 40
		.amdhsa_reserve_vcc 1
		.amdhsa_float_round_mode_32 0
		.amdhsa_float_round_mode_16_64 0
		.amdhsa_float_denorm_mode_32 3
		.amdhsa_float_denorm_mode_16_64 3
		.amdhsa_dx10_clamp 1
		.amdhsa_ieee_mode 1
		.amdhsa_fp16_overflow 0
		.amdhsa_workgroup_processor_mode 1
		.amdhsa_memory_ordered 1
		.amdhsa_forward_progress 0
		.amdhsa_shared_vgpr_count 0
		.amdhsa_exception_fp_ieee_invalid_op 0
		.amdhsa_exception_fp_denorm_src 0
		.amdhsa_exception_fp_ieee_div_zero 0
		.amdhsa_exception_fp_ieee_overflow 0
		.amdhsa_exception_fp_ieee_underflow 0
		.amdhsa_exception_fp_ieee_inexact 0
		.amdhsa_exception_int_div_zero 0
	.end_amdhsa_kernel
	.section	.text._ZN4vllm25paged_attention_v2_kernelIttLi64ELi16ELi128ELNS_18Fp8KVCacheDataTypeE0ELb0ELi512EEEvPfS2_PT_PKS3_PKT0_S9_ifPKiSB_iPKfiiiSD_SD_iiiii,"axG",@progbits,_ZN4vllm25paged_attention_v2_kernelIttLi64ELi16ELi128ELNS_18Fp8KVCacheDataTypeE0ELb0ELi512EEEvPfS2_PT_PKS3_PKT0_S9_ifPKiSB_iPKfiiiSD_SD_iiiii,comdat
.Lfunc_end102:
	.size	_ZN4vllm25paged_attention_v2_kernelIttLi64ELi16ELi128ELNS_18Fp8KVCacheDataTypeE0ELb0ELi512EEEvPfS2_PT_PKS3_PKT0_S9_ifPKiSB_iPKfiiiSD_SD_iiiii, .Lfunc_end102-_ZN4vllm25paged_attention_v2_kernelIttLi64ELi16ELi128ELNS_18Fp8KVCacheDataTypeE0ELb0ELi512EEEvPfS2_PT_PKS3_PKT0_S9_ifPKiSB_iPKfiiiSD_SD_iiiii
                                        ; -- End function
	.section	.AMDGPU.csdata,"",@progbits
; Kernel info:
; codeLenInByte = 7416
; NumSgprs: 42
; NumVgprs: 76
; ScratchSize: 0
; MemoryBound: 0
; FloatMode: 240
; IeeeMode: 1
; LDSByteSize: 160 bytes/workgroup (compile time only)
; SGPRBlocks: 5
; VGPRBlocks: 9
; NumSGPRsForWavesPerEU: 42
; NumVGPRsForWavesPerEU: 76
; Occupancy: 16
; WaveLimiterHint : 1
; COMPUTE_PGM_RSRC2:SCRATCH_EN: 0
; COMPUTE_PGM_RSRC2:USER_SGPR: 13
; COMPUTE_PGM_RSRC2:TRAP_HANDLER: 0
; COMPUTE_PGM_RSRC2:TGID_X_EN: 1
; COMPUTE_PGM_RSRC2:TGID_Y_EN: 1
; COMPUTE_PGM_RSRC2:TGID_Z_EN: 1
; COMPUTE_PGM_RSRC2:TIDIG_COMP_CNT: 0
	.section	.text._ZN4vllm25paged_attention_v2_kernelIttLi80ELi16ELi128ELNS_18Fp8KVCacheDataTypeE0ELb0ELi512EEEvPfS2_PT_PKS3_PKT0_S9_ifPKiSB_iPKfiiiSD_SD_iiiii,"axG",@progbits,_ZN4vllm25paged_attention_v2_kernelIttLi80ELi16ELi128ELNS_18Fp8KVCacheDataTypeE0ELb0ELi512EEEvPfS2_PT_PKS3_PKT0_S9_ifPKiSB_iPKfiiiSD_SD_iiiii,comdat
	.protected	_ZN4vllm25paged_attention_v2_kernelIttLi80ELi16ELi128ELNS_18Fp8KVCacheDataTypeE0ELb0ELi512EEEvPfS2_PT_PKS3_PKT0_S9_ifPKiSB_iPKfiiiSD_SD_iiiii ; -- Begin function _ZN4vllm25paged_attention_v2_kernelIttLi80ELi16ELi128ELNS_18Fp8KVCacheDataTypeE0ELb0ELi512EEEvPfS2_PT_PKS3_PKT0_S9_ifPKiSB_iPKfiiiSD_SD_iiiii
	.globl	_ZN4vllm25paged_attention_v2_kernelIttLi80ELi16ELi128ELNS_18Fp8KVCacheDataTypeE0ELb0ELi512EEEvPfS2_PT_PKS3_PKT0_S9_ifPKiSB_iPKfiiiSD_SD_iiiii
	.p2align	8
	.type	_ZN4vllm25paged_attention_v2_kernelIttLi80ELi16ELi128ELNS_18Fp8KVCacheDataTypeE0ELb0ELi512EEEvPfS2_PT_PKS3_PKT0_S9_ifPKiSB_iPKfiiiSD_SD_iiiii,@function
_ZN4vllm25paged_attention_v2_kernelIttLi80ELi16ELi128ELNS_18Fp8KVCacheDataTypeE0ELb0ELi512EEEvPfS2_PT_PKS3_PKT0_S9_ifPKiSB_iPKfiiiSD_SD_iiiii: ; @_ZN4vllm25paged_attention_v2_kernelIttLi80ELi16ELi128ELNS_18Fp8KVCacheDataTypeE0ELb0ELi512EEEvPfS2_PT_PKS3_PKT0_S9_ifPKiSB_iPKfiiiSD_SD_iiiii
; %bb.0:
	s_load_b64 s[2:3], s[0:1], 0x40
	s_mov_b32 s12, s15
	s_ashr_i32 s15, s14, 31
	s_delay_alu instid0(SALU_CYCLE_1)
	s_lshl_b64 s[4:5], s[14:15], 2
	s_waitcnt lgkmcnt(0)
	s_add_u32 s2, s2, s4
	s_addc_u32 s3, s3, s5
	s_lshl_b32 s33, s12, 9
	s_load_b32 s15, s[2:3], 0x0
	s_waitcnt lgkmcnt(0)
	s_cmp_ge_i32 s33, s15
	s_cbranch_scc1 .LBB103_66
; %bb.1:
	s_mov_b32 s20, s13
	s_clause 0x1
	s_load_b32 s13, s[0:1], 0x90
	s_load_b64 s[30:31], s[0:1], 0x30
	s_waitcnt lgkmcnt(0)
	s_abs_i32 s5, s13
	s_abs_i32 s2, s30
	s_delay_alu instid0(SALU_CYCLE_1) | instskip(SKIP_1) | instid1(VALU_DEP_1)
	v_cvt_f32_u32_e32 v1, s2
	s_sub_i32 s4, 0, s2
	v_rcp_iflag_f32_e32 v1, v1
	s_waitcnt_depctr 0xfff
	v_mul_f32_e32 v1, 0x4f7ffffe, v1
	s_delay_alu instid0(VALU_DEP_1) | instskip(NEXT) | instid1(VALU_DEP_1)
	v_cvt_u32_f32_e32 v1, v1
	v_readfirstlane_b32 s3, v1
	s_delay_alu instid0(VALU_DEP_1) | instskip(NEXT) | instid1(SALU_CYCLE_1)
	s_mul_i32 s4, s4, s3
	s_mul_hi_u32 s4, s3, s4
	s_delay_alu instid0(SALU_CYCLE_1)
	s_add_i32 s3, s3, s4
	s_xor_b32 s4, s13, s30
	s_mul_hi_u32 s3, s5, s3
	s_ashr_i32 s4, s4, 31
	s_mul_i32 s6, s3, s2
	s_mov_b32 s30, 0
	s_sub_i32 s5, s5, s6
	s_add_i32 s6, s3, 1
	s_sub_i32 s7, s5, s2
	s_cmp_ge_u32 s5, s2
	s_cselect_b32 s3, s6, s3
	s_cselect_b32 s5, s7, s5
	s_add_i32 s6, s3, 1
	s_cmp_ge_u32 s5, s2
	s_cselect_b32 s2, s6, s3
	s_abs_i32 s10, s20
	s_xor_b32 s2, s2, s4
	s_delay_alu instid0(SALU_CYCLE_1) | instskip(SKIP_2) | instid1(SALU_CYCLE_1)
	s_sub_i32 s11, s2, s4
	s_load_b64 s[2:3], s[0:1], 0x50
	s_abs_i32 s8, s11
	v_cvt_f32_u32_e32 v1, s8
	s_sub_i32 s5, 0, s8
	s_delay_alu instid0(VALU_DEP_1) | instskip(SKIP_2) | instid1(VALU_DEP_1)
	v_rcp_iflag_f32_e32 v1, v1
	s_waitcnt_depctr 0xfff
	v_mul_f32_e32 v1, 0x4f7ffffe, v1
	v_cvt_u32_f32_e32 v1, v1
	s_delay_alu instid0(VALU_DEP_1) | instskip(NEXT) | instid1(VALU_DEP_1)
	v_readfirstlane_b32 s4, v1
	s_mul_i32 s5, s5, s4
	s_delay_alu instid0(SALU_CYCLE_1) | instskip(NEXT) | instid1(SALU_CYCLE_1)
	s_mul_hi_u32 s5, s4, s5
	s_add_i32 s4, s4, s5
	s_waitcnt lgkmcnt(0)
	s_cmp_eq_u64 s[2:3], 0
	s_mul_hi_u32 s9, s10, s4
	s_cbranch_scc1 .LBB103_3
; %bb.2:
	s_ashr_i32 s21, s20, 31
	s_delay_alu instid0(SALU_CYCLE_1) | instskip(NEXT) | instid1(SALU_CYCLE_1)
	s_lshl_b64 s[4:5], s[20:21], 2
	s_add_u32 s2, s2, s4
	s_addc_u32 s3, s3, s5
	s_load_b32 s30, s[2:3], 0x0
.LBB103_3:
	s_load_b128 s[4:7], s[0:1], 0x58
	v_lshrrev_b32_e32 v10, 1, v0
	v_and_b32_e32 v11, 1, v0
	v_lshlrev_b32_e32 v3, 3, v0
	s_ashr_i32 s2, s20, 31
	s_ashr_i32 s3, s11, 31
	s_mul_i32 s16, s20, 0x50
	s_waitcnt lgkmcnt(0)
	s_mov_b32 s7, exec_lo
	v_cmpx_gt_u32_e32 20, v0
	s_cbranch_execz .LBB103_5
; %bb.4:
	s_load_b64 s[18:19], s[0:1], 0x18
	s_mul_i32 s22, s14, s4
	v_lshlrev_b32_e32 v4, 3, v10
	s_ashr_i32 s23, s22, 31
	s_delay_alu instid0(SALU_CYCLE_1) | instskip(NEXT) | instid1(VALU_DEP_1)
	s_lshl_b64 s[22:23], s[22:23], 1
	v_mad_u32_u24 v4, 0x50, v11, v4
	s_waitcnt lgkmcnt(0)
	s_add_u32 s4, s18, s22
	s_addc_u32 s11, s19, s23
	s_ashr_i32 s17, s16, 31
	s_delay_alu instid0(SALU_CYCLE_1) | instskip(NEXT) | instid1(SALU_CYCLE_1)
	s_lshl_b64 s[18:19], s[16:17], 1
	s_add_u32 s18, s4, s18
	s_addc_u32 s19, s11, s19
	global_load_b64 v[1:2], v3, s[18:19]
	s_waitcnt vmcnt(0)
	ds_store_b64 v4, v[1:2]
.LBB103_5:
	s_or_b32 exec_lo, exec_lo, s7
	s_add_i32 s4, s15, 15
	s_lshl_b32 s7, s12, 5
	s_ashr_i32 s11, s4, 31
	s_xor_b32 s2, s2, s3
	s_lshr_b32 s11, s11, 28
	s_add_i32 s3, s7, 32
	s_add_i32 s4, s4, s11
	s_clause 0x1
	s_load_b64 s[22:23], s[0:1], 0x38
	s_load_b32 s11, s[0:1], 0x48
	s_ashr_i32 s21, s4, 4
	s_mul_i32 s4, s9, s8
	s_min_i32 s17, s3, s21
	s_sub_i32 s3, s10, s4
	s_add_i32 s4, s9, 1
	s_sub_i32 s10, s3, s8
	s_cmp_ge_u32 s3, s8
	v_lshrrev_b32_e32 v12, 5, v0
	s_cselect_b32 s4, s4, s9
	s_cselect_b32 s3, s10, s3
	s_add_i32 s9, s4, 1
	s_cmp_ge_u32 s3, s8
	v_or_b32_e32 v5, s7, v12
	s_cselect_b32 s3, s9, s4
	v_mbcnt_lo_u32_b32 v7, -1, 0
	s_xor_b32 s3, s3, s2
	s_mov_b32 s4, exec_lo
	s_sub_i32 s3, s3, s2
	v_cmp_gt_i32_e64 s2, s17, v5
	s_waitcnt lgkmcnt(0)
	s_mul_i32 s24, s14, s11
	s_delay_alu instid0(SALU_CYCLE_1)
	s_ashr_i32 s25, s24, 31
	s_barrier
	buffer_gl0_inv
                                        ; implicit-def: $sgpr28
                                        ; implicit-def: $vgpr8
	v_cmpx_le_i32_e64 s17, v5
	s_xor_b32 s4, exec_lo, s4
; %bb.6:
	v_mbcnt_lo_u32_b32 v7, -1, 0
	v_mov_b32_e32 v8, 32
	s_mov_b32 s28, 0xff7fffff
; %bb.7:
	s_or_saveexec_b32 s34, s4
	s_clause 0x3
	s_load_b128 s[8:11], s[0:1], 0x0
	s_load_b64 s[18:19], s[0:1], 0x10
	s_load_b64 s[26:27], s[0:1], 0x28
	s_load_b32 s4, s[0:1], 0x98
	v_dual_mov_b32 v9, s28 :: v_dual_lshlrev_b32 v4, 4, v12
	v_ashrrev_i32_e32 v6, 31, v5
	s_mul_i32 s28, s3, s6
	s_xor_b32 exec_lo, exec_lo, s34
	s_cbranch_execz .LBB103_13
; %bb.8:
	s_load_b64 s[36:37], s[0:1], 0x20
	v_bfe_u32 v8, v0, 1, 4
	s_ashr_i32 s29, s28, 31
	v_and_b32_e32 v9, 8, v3
	s_lshl_b64 s[38:39], s[28:29], 1
	v_mul_u32_u24_e32 v13, 0x50, v11
	v_lshlrev_b32_e32 v16, 4, v8
	v_lshlrev_b32_e32 v1, 2, v8
	v_add3_u32 v14, s33, v4, v8
	v_cmp_eq_u32_e32 vcc_lo, 0, v11
	v_cmp_neq_f32_e64 s0, s30, 0
	v_xor_b32_e32 v18, 1, v7
	v_mov_b32_e32 v19, v5
	s_mov_b32 s35, s5
	s_waitcnt lgkmcnt(0)
	s_add_u32 s1, s36, s38
	s_addc_u32 s3, s37, s39
	v_add_co_u32 v8, s1, s1, v16
	s_delay_alu instid0(VALU_DEP_1) | instskip(SKIP_1) | instid1(VALU_DEP_2)
	v_add_co_ci_u32_e64 v17, null, s3, 0, s1
	s_lshl_b64 s[36:37], s[24:25], 2
	v_add_co_u32 v16, s1, v8, v9
	v_mov_b32_e32 v8, 32
	v_lshl_or_b32 v15, v12, 6, v1
	v_lshlrev_b64 v[1:2], 2, v[5:6]
	s_sub_i32 s6, 1, s15
	s_add_u32 s3, s22, s36
	v_add_co_ci_u32_e64 v17, s1, 0, v17, s1
	s_addc_u32 s29, s23, s37
	s_delay_alu instid0(VALU_DEP_2)
	v_add_co_u32 v1, s1, s3, v1
	v_add_nc_u32_e32 v15, 0xc0, v15
	v_add_co_ci_u32_e64 v2, s1, s29, v2, s1
	v_mov_b32_e32 v9, 0xff7fffff
	s_mov_b32 s29, 0
	s_branch .LBB103_10
.LBB103_9:                              ;   in Loop: Header=BB103_10 Depth=1
	s_or_b32 exec_lo, exec_lo, s3
	v_add_nc_u32_e32 v19, 4, v19
	v_add_co_u32 v1, s3, v1, 16
	v_add_nc_u32_e32 v14, 64, v14
	v_add_nc_u32_e32 v15, 0x100, v15
	s_delay_alu instid0(VALU_DEP_4) | instskip(SKIP_1) | instid1(VALU_DEP_2)
	v_cmp_le_i32_e64 s1, s17, v19
	v_add_co_ci_u32_e64 v2, s3, 0, v2, s3
	s_or_b32 s29, s1, s29
	s_delay_alu instid0(SALU_CYCLE_1)
	s_and_not1_b32 exec_lo, exec_lo, s29
	s_cbranch_execz .LBB103_12
.LBB103_10:                             ; =>This Inner Loop Header: Depth=1
	global_load_b32 v22, v[1:2], off
	s_waitcnt vmcnt(0) lgkmcnt(0)
	v_mad_i64_i32 v[20:21], null, v22, s35, 0
	s_delay_alu instid0(VALU_DEP_1) | instskip(NEXT) | instid1(VALU_DEP_1)
	v_lshlrev_b64 v[20:21], 1, v[20:21]
	v_add_co_u32 v20, s1, v16, v20
	s_delay_alu instid0(VALU_DEP_1)
	v_add_co_ci_u32_e64 v21, s1, v17, v21, s1
	v_cmp_gt_i32_e64 s1, 32, v18
	s_clause 0x9
	global_load_b64 v[22:23], v[20:21], off
	global_load_b64 v[24:25], v[20:21], off offset:256
	global_load_b64 v[26:27], v[20:21], off offset:512
	;; [unrolled: 1-line block ×9, first 2 shown]
	ds_load_b64 v[40:41], v13
	s_waitcnt lgkmcnt(0)
	v_and_b32_e32 v42, 0xffff, v40
	v_lshrrev_b32_e32 v40, 16, v40
	v_lshrrev_b32_e32 v43, 16, v41
	v_and_b32_e32 v41, 0xffff, v41
	;;#ASMSTART
	v_cvt_f32_f16 v42, v42;
	;;#ASMEND
	;;#ASMSTART
	v_cvt_f32_f16 v40, v40;
	;;#ASMEND
	s_waitcnt vmcnt(9)
	v_and_b32_e32 v44, 0xffff, v22
	v_lshrrev_b32_e32 v22, 16, v22
	v_lshrrev_b32_e32 v45, 16, v23
	v_and_b32_e32 v23, 0xffff, v23
	;;#ASMSTART
	v_cvt_f32_f16 v44, v44;
	;;#ASMEND
	;;#ASMSTART
	v_cvt_f32_f16 v46, v22;
	;;#ASMEND
	;;#ASMSTART
	v_cvt_f32_f16 v41, v41;
	;;#ASMEND
	;;#ASMSTART
	v_cvt_f32_f16 v43, v43;
	;;#ASMEND
	;;#ASMSTART
	v_cvt_f32_f16 v47, v23;
	;;#ASMEND
	;;#ASMSTART
	v_cvt_f32_f16 v45, v45;
	;;#ASMEND
	ds_load_b64 v[22:23], v13 offset:8
	s_waitcnt vmcnt(8)
	v_lshrrev_b32_e32 v48, 16, v24
	v_and_b32_e32 v24, 0xffff, v24
	v_lshrrev_b32_e32 v49, 16, v25
	s_waitcnt vmcnt(7)
	v_lshrrev_b32_e32 v54, 16, v26
	v_lshrrev_b32_e32 v55, 16, v27
	s_waitcnt vmcnt(6)
	v_lshrrev_b32_e32 v60, 16, v28
	;; [unrolled: 3-line block ×7, first 2 shown]
	s_waitcnt lgkmcnt(0)
	v_and_b32_e32 v50, 0xffff, v22
	v_lshrrev_b32_e32 v22, 16, v22
	;;#ASMSTART
	v_cvt_f32_f16 v50, v50;
	;;#ASMEND
	;;#ASMSTART
	v_cvt_f32_f16 v52, v22;
	;;#ASMEND
	;; [unrolled: 3-line block ×4, first 2 shown]
	v_mul_f32_e32 v24, v50, v24
	v_dual_mul_f32 v48, v52, v48 :: v_dual_and_b32 v25, 0xffff, v25
	v_lshrrev_b32_e32 v51, 16, v23
	s_delay_alu instid0(VALU_DEP_3) | instskip(NEXT) | instid1(VALU_DEP_3)
	v_dual_fmac_f32 v24, v42, v44 :: v_dual_and_b32 v23, 0xffff, v23
	v_fmac_f32_e32 v48, v40, v46
	;;#ASMSTART
	v_cvt_f32_f16 v53, v23;
	;;#ASMEND
	;;#ASMSTART
	v_cvt_f32_f16 v51, v51;
	;;#ASMEND
	;;#ASMSTART
	v_cvt_f32_f16 v25, v25;
	;;#ASMEND
	;;#ASMSTART
	v_cvt_f32_f16 v49, v49;
	;;#ASMEND
	ds_load_b64 v[22:23], v13 offset:16
	v_mul_f32_e32 v25, v53, v25
	v_mul_f32_e32 v49, v51, v49
	v_lshrrev_b32_e32 v40, 16, v39
	s_delay_alu instid0(VALU_DEP_3) | instskip(SKIP_1) | instid1(VALU_DEP_3)
	v_dual_fmac_f32 v25, v41, v47 :: v_dual_and_b32 v26, 0xffff, v26
	s_waitcnt lgkmcnt(0)
	v_dual_fmac_f32 v49, v43, v45 :: v_dual_and_b32 v56, 0xffff, v22
	v_lshrrev_b32_e32 v22, 16, v22
	v_lshrrev_b32_e32 v57, 16, v23
	;;#ASMSTART
	v_cvt_f32_f16 v56, v56;
	;;#ASMEND
	;;#ASMSTART
	v_cvt_f32_f16 v58, v22;
	;;#ASMEND
	;; [unrolled: 3-line block ×3, first 2 shown]
	v_dual_fmac_f32 v24, v56, v26 :: v_dual_and_b32 v27, 0xffff, v27
	;;#ASMSTART
	v_cvt_f32_f16 v54, v54;
	;;#ASMEND
	v_dual_fmac_f32 v48, v58, v54 :: v_dual_and_b32 v23, 0xffff, v23
	;;#ASMSTART
	v_cvt_f32_f16 v59, v23;
	;;#ASMEND
	;;#ASMSTART
	v_cvt_f32_f16 v57, v57;
	;;#ASMEND
	;; [unrolled: 3-line block ×4, first 2 shown]
	ds_load_b64 v[22:23], v13 offset:24
	v_dual_fmac_f32 v25, v59, v27 :: v_dual_and_b32 v28, 0xffff, v28
	v_fmac_f32_e32 v49, v57, v55
	v_and_b32_e32 v26, 0xffff, v39
	s_waitcnt vmcnt(0)
	v_lshrrev_b32_e32 v27, 16, v20
	s_waitcnt lgkmcnt(0)
	v_and_b32_e32 v62, 0xffff, v22
	v_lshrrev_b32_e32 v22, 16, v22
	v_lshrrev_b32_e32 v63, 16, v23
	;;#ASMSTART
	v_cvt_f32_f16 v62, v62;
	;;#ASMEND
	;;#ASMSTART
	v_cvt_f32_f16 v64, v22;
	;;#ASMEND
	;; [unrolled: 3-line block ×3, first 2 shown]
	v_dual_fmac_f32 v24, v62, v28 :: v_dual_and_b32 v29, 0xffff, v29
	;;#ASMSTART
	v_cvt_f32_f16 v60, v60;
	;;#ASMEND
	v_dual_fmac_f32 v48, v64, v60 :: v_dual_and_b32 v23, 0xffff, v23
	;;#ASMSTART
	v_cvt_f32_f16 v65, v23;
	;;#ASMEND
	;;#ASMSTART
	v_cvt_f32_f16 v63, v63;
	;;#ASMEND
	;;#ASMSTART
	v_cvt_f32_f16 v29, v29;
	;;#ASMEND
	;;#ASMSTART
	v_cvt_f32_f16 v61, v61;
	;;#ASMEND
	ds_load_b64 v[22:23], v13 offset:32
	v_dual_fmac_f32 v25, v65, v29 :: v_dual_and_b32 v30, 0xffff, v30
	s_waitcnt lgkmcnt(0)
	v_dual_fmac_f32 v49, v63, v61 :: v_dual_and_b32 v68, 0xffff, v22
	v_lshrrev_b32_e32 v22, 16, v22
	v_lshrrev_b32_e32 v69, 16, v23
	;;#ASMSTART
	v_cvt_f32_f16 v68, v68;
	;;#ASMEND
	;;#ASMSTART
	v_cvt_f32_f16 v70, v22;
	;;#ASMEND
	;;#ASMSTART
	v_cvt_f32_f16 v30, v30;
	;;#ASMEND
	v_dual_fmac_f32 v24, v68, v30 :: v_dual_and_b32 v31, 0xffff, v31
	;;#ASMSTART
	v_cvt_f32_f16 v66, v66;
	;;#ASMEND
	v_dual_fmac_f32 v48, v70, v66 :: v_dual_and_b32 v23, 0xffff, v23
	;;#ASMSTART
	v_cvt_f32_f16 v71, v23;
	;;#ASMEND
	;;#ASMSTART
	v_cvt_f32_f16 v69, v69;
	;;#ASMEND
	;; [unrolled: 3-line block ×4, first 2 shown]
	ds_load_b64 v[22:23], v13 offset:40
	v_dual_fmac_f32 v25, v71, v31 :: v_dual_and_b32 v32, 0xffff, v32
	s_waitcnt lgkmcnt(0)
	v_dual_fmac_f32 v49, v69, v67 :: v_dual_and_b32 v74, 0xffff, v22
	v_lshrrev_b32_e32 v22, 16, v22
	v_lshrrev_b32_e32 v75, 16, v23
	;;#ASMSTART
	v_cvt_f32_f16 v74, v74;
	;;#ASMEND
	;;#ASMSTART
	v_cvt_f32_f16 v76, v22;
	;;#ASMEND
	;; [unrolled: 3-line block ×3, first 2 shown]
	v_dual_fmac_f32 v24, v74, v32 :: v_dual_and_b32 v33, 0xffff, v33
	;;#ASMSTART
	v_cvt_f32_f16 v72, v72;
	;;#ASMEND
	v_dual_fmac_f32 v48, v76, v72 :: v_dual_and_b32 v23, 0xffff, v23
	;;#ASMSTART
	v_cvt_f32_f16 v77, v23;
	;;#ASMEND
	;;#ASMSTART
	v_cvt_f32_f16 v75, v75;
	;;#ASMEND
	;; [unrolled: 3-line block ×4, first 2 shown]
	ds_load_b64 v[22:23], v13 offset:48
	v_dual_fmac_f32 v25, v77, v33 :: v_dual_and_b32 v34, 0xffff, v34
	v_fmac_f32_e32 v49, v75, v73
	v_lshrrev_b32_e32 v32, 16, v21
	s_waitcnt lgkmcnt(0)
	v_and_b32_e32 v80, 0xffff, v22
	v_lshrrev_b32_e32 v22, 16, v22
	v_lshrrev_b32_e32 v81, 16, v23
	;;#ASMSTART
	v_cvt_f32_f16 v80, v80;
	;;#ASMEND
	;;#ASMSTART
	v_cvt_f32_f16 v82, v22;
	;;#ASMEND
	;; [unrolled: 3-line block ×3, first 2 shown]
	v_dual_fmac_f32 v24, v80, v34 :: v_dual_and_b32 v35, 0xffff, v35
	;;#ASMSTART
	v_cvt_f32_f16 v78, v78;
	;;#ASMEND
	v_dual_fmac_f32 v48, v82, v78 :: v_dual_and_b32 v23, 0xffff, v23
	;;#ASMSTART
	v_cvt_f32_f16 v83, v23;
	;;#ASMEND
	;;#ASMSTART
	v_cvt_f32_f16 v81, v81;
	;;#ASMEND
	;; [unrolled: 3-line block ×4, first 2 shown]
	ds_load_b64 v[22:23], v13 offset:56
	v_dual_fmac_f32 v25, v83, v35 :: v_dual_and_b32 v36, 0xffff, v36
	s_waitcnt lgkmcnt(0)
	v_dual_fmac_f32 v49, v81, v79 :: v_dual_and_b32 v50, 0xffff, v22
	v_lshrrev_b32_e32 v22, 16, v22
	v_lshrrev_b32_e32 v52, 16, v23
	;;#ASMSTART
	v_cvt_f32_f16 v50, v50;
	;;#ASMEND
	;;#ASMSTART
	v_cvt_f32_f16 v87, v22;
	;;#ASMEND
	;; [unrolled: 3-line block ×3, first 2 shown]
	v_dual_fmac_f32 v24, v50, v36 :: v_dual_and_b32 v37, 0xffff, v37
	;;#ASMSTART
	v_cvt_f32_f16 v84, v84;
	;;#ASMEND
	v_dual_fmac_f32 v48, v87, v84 :: v_dual_and_b32 v23, 0xffff, v23
	;;#ASMSTART
	v_cvt_f32_f16 v88, v23;
	;;#ASMEND
	;;#ASMSTART
	v_cvt_f32_f16 v52, v52;
	;;#ASMEND
	;; [unrolled: 3-line block ×4, first 2 shown]
	ds_load_b64 v[22:23], v13 offset:64
	v_dual_fmac_f32 v49, v52, v85 :: v_dual_and_b32 v38, 0xffff, v38
	s_waitcnt lgkmcnt(0)
	v_dual_fmac_f32 v25, v88, v37 :: v_dual_and_b32 v28, 0xffff, v22
	v_lshrrev_b32_e32 v22, 16, v22
	v_lshrrev_b32_e32 v29, 16, v23
	;;#ASMSTART
	v_cvt_f32_f16 v28, v28;
	;;#ASMEND
	;;#ASMSTART
	v_cvt_f32_f16 v30, v22;
	;;#ASMEND
	;;#ASMSTART
	v_cvt_f32_f16 v31, v38;
	;;#ASMEND
	;;#ASMSTART
	v_cvt_f32_f16 v38, v86;
	;;#ASMEND
	v_dual_fmac_f32 v48, v30, v38 :: v_dual_and_b32 v23, 0xffff, v23
	;;#ASMSTART
	v_cvt_f32_f16 v39, v23;
	;;#ASMEND
	;;#ASMSTART
	v_cvt_f32_f16 v29, v29;
	;;#ASMEND
	;; [unrolled: 3-line block ×4, first 2 shown]
	ds_load_b64 v[22:23], v13 offset:72
	v_dual_fmac_f32 v24, v28, v31 :: v_dual_and_b32 v21, 0xffff, v21
	v_dual_fmac_f32 v25, v39, v26 :: v_dual_and_b32 v20, 0xffff, v20
	s_waitcnt lgkmcnt(0)
	v_dual_fmac_f32 v49, v29, v40 :: v_dual_and_b32 v26, 0xffff, v22
	v_lshrrev_b32_e32 v22, 16, v22
	;;#ASMSTART
	v_cvt_f32_f16 v26, v26;
	;;#ASMEND
	;;#ASMSTART
	v_cvt_f32_f16 v22, v22;
	;;#ASMEND
	;; [unrolled: 3-line block ×3, first 2 shown]
	v_lshrrev_b32_e32 v28, 16, v23
	v_dual_fmac_f32 v24, v26, v20 :: v_dual_and_b32 v23, 0xffff, v23
	;;#ASMSTART
	v_cvt_f32_f16 v27, v27;
	;;#ASMEND
	v_fmac_f32_e32 v48, v22, v27
	;;#ASMSTART
	v_cvt_f32_f16 v20, v23;
	;;#ASMEND
	;;#ASMSTART
	v_cvt_f32_f16 v22, v28;
	;;#ASMEND
	;; [unrolled: 3-line block ×3, first 2 shown]
	v_fmac_f32_e32 v25, v20, v21
	;;#ASMSTART
	v_cvt_f32_f16 v21, v32;
	;;#ASMEND
	v_fmac_f32_e32 v49, v22, v21
	v_cndmask_b32_e64 v21, v7, v18, s1
	s_delay_alu instid0(VALU_DEP_1) | instskip(NEXT) | instid1(VALU_DEP_1)
	v_dual_add_f32 v20, v24, v48 :: v_dual_lshlrev_b32 v21, 2, v21
	v_add_f32_e32 v20, v20, v25
	s_delay_alu instid0(VALU_DEP_1)
	v_add_f32_e32 v20, v49, v20
	ds_bpermute_b32 v21, v21, v20
	s_and_saveexec_b32 s3, vcc_lo
	s_cbranch_execz .LBB103_9
; %bb.11:                               ;   in Loop: Header=BB103_10 Depth=1
	s_waitcnt lgkmcnt(0)
	v_add_f32_e32 v20, v20, v21
	v_add_nc_u32_e32 v22, s6, v14
	v_cmp_gt_i32_e64 s1, s15, v14
	s_delay_alu instid0(VALU_DEP_2) | instskip(NEXT) | instid1(VALU_DEP_1)
	v_cvt_f32_i32_e32 v22, v22
	v_mul_f32_e32 v22, s30, v22
	s_delay_alu instid0(VALU_DEP_1) | instskip(NEXT) | instid1(VALU_DEP_1)
	v_cndmask_b32_e64 v21, 0, v22, s0
	v_dual_max_f32 v22, v9, v9 :: v_dual_fmac_f32 v21, s31, v20
	s_delay_alu instid0(VALU_DEP_1) | instskip(SKIP_1) | instid1(VALU_DEP_2)
	v_max_f32_e32 v20, v22, v21
	v_cndmask_b32_e64 v21, 0, v21, s1
	v_cndmask_b32_e64 v9, v9, v20, s1
	ds_store_b32 v15, v21
	s_branch .LBB103_9
.LBB103_12:
	s_or_b32 exec_lo, exec_lo, s29
.LBB103_13:
	s_delay_alu instid0(SALU_CYCLE_1) | instskip(SKIP_4) | instid1(VALU_DEP_4)
	s_or_b32 exec_lo, exec_lo, s34
	v_xor_b32_e32 v1, 16, v7
	v_xor_b32_e32 v2, 8, v7
	v_max_f32_e32 v13, v9, v9
	v_lshlrev_b32_e32 v17, 2, v12
	v_cmp_lt_i32_e32 vcc_lo, v1, v8
	v_cndmask_b32_e32 v1, v7, v1, vcc_lo
	v_cmp_lt_i32_e32 vcc_lo, v2, v8
	s_delay_alu instid0(VALU_DEP_2) | instskip(SKIP_4) | instid1(VALU_DEP_1)
	v_dual_cndmask_b32 v2, v7, v2 :: v_dual_lshlrev_b32 v15, 2, v1
	ds_bpermute_b32 v1, v15, v9
	v_lshlrev_b32_e32 v9, 2, v2
	s_waitcnt lgkmcnt(0)
	v_max_f32_e32 v1, v1, v1
	v_max_f32_e32 v1, v13, v1
	v_xor_b32_e32 v13, 4, v7
	ds_bpermute_b32 v2, v9, v1
	v_cmp_lt_i32_e32 vcc_lo, v13, v8
	s_waitcnt lgkmcnt(0)
	v_dual_cndmask_b32 v13, v7, v13 :: v_dual_max_f32 v2, v2, v2
	s_delay_alu instid0(VALU_DEP_1) | instskip(SKIP_1) | instid1(VALU_DEP_3)
	v_lshlrev_b32_e32 v16, 2, v13
	v_xor_b32_e32 v13, 2, v7
	v_max_f32_e32 v1, v1, v2
	s_delay_alu instid0(VALU_DEP_2) | instskip(SKIP_3) | instid1(VALU_DEP_1)
	v_cmp_lt_i32_e32 vcc_lo, v13, v8
	ds_bpermute_b32 v2, v16, v1
	s_waitcnt lgkmcnt(0)
	v_dual_cndmask_b32 v13, v7, v13 :: v_dual_max_f32 v2, v2, v2
	v_dual_max_f32 v1, v1, v2 :: v_dual_lshlrev_b32 v2, 2, v13
	v_and_b32_e32 v13, 31, v0
	ds_bpermute_b32 v14, v2, v1
	v_cmp_eq_u32_e32 vcc_lo, 0, v13
	s_and_saveexec_b32 s0, vcc_lo
	s_cbranch_execz .LBB103_15
; %bb.14:
	s_waitcnt lgkmcnt(0)
	v_dual_max_f32 v14, v14, v14 :: v_dual_max_f32 v1, v1, v1
	s_delay_alu instid0(VALU_DEP_1)
	v_max_f32_e32 v1, v1, v14
	ds_store_b32 v17, v1 offset:160
.LBB103_15:
	s_or_b32 exec_lo, exec_lo, s0
	v_cmp_gt_u32_e64 s0, 4, v13
	v_dual_mov_b32 v1, 0xff7fffff :: v_dual_lshlrev_b32 v18, 2, v13
	s_waitcnt lgkmcnt(0)
	s_barrier
	buffer_gl0_inv
	s_and_saveexec_b32 s1, s0
	s_cbranch_execz .LBB103_17
; %bb.16:
	ds_load_b32 v1, v18 offset:160
.LBB103_17:
	s_or_b32 exec_lo, exec_lo, s1
	s_waitcnt lgkmcnt(0)
	ds_bpermute_b32 v14, v2, v1
	v_xor_b32_e32 v19, 1, v7
	s_delay_alu instid0(VALU_DEP_1) | instskip(NEXT) | instid1(VALU_DEP_1)
	v_cmp_lt_i32_e64 s1, v19, v8
	v_cndmask_b32_e64 v8, v7, v19, s1
	v_max_f32_e32 v1, v1, v1
	v_lshlrev_b32_e32 v7, 2, v7
	s_sub_i32 s1, s17, s7
	s_delay_alu instid0(SALU_CYCLE_1) | instskip(NEXT) | instid1(SALU_CYCLE_1)
	s_lshl_b32 s1, s1, 4
	s_add_i32 s1, s1, s33
	s_delay_alu instid0(SALU_CYCLE_1) | instskip(SKIP_3) | instid1(SALU_CYCLE_1)
	s_min_i32 s1, s1, s15
	s_waitcnt lgkmcnt(0)
	v_dual_max_f32 v19, v14, v14 :: v_dual_lshlrev_b32 v14, 2, v8
	s_sub_i32 s6, s1, s33
	v_cmp_gt_i32_e64 s1, s6, v0
	s_delay_alu instid0(VALU_DEP_2) | instskip(SKIP_4) | instid1(VALU_DEP_1)
	v_max_f32_e32 v1, v1, v19
	v_mov_b32_e32 v19, 0
	ds_bpermute_b32 v8, v14, v1
	s_waitcnt lgkmcnt(0)
	v_max_f32_e32 v8, v8, v8
	v_dual_max_f32 v1, v1, v8 :: v_dual_and_b32 v8, 0xffffff80, v7
	v_lshl_add_u32 v7, v0, 2, 0xc0
	ds_bpermute_b32 v1, v8, v1
	s_and_saveexec_b32 s7, s1
	s_cbranch_execz .LBB103_21
; %bb.18:
	v_lshl_add_u32 v20, v0, 2, 0xc0
	v_mov_b32_e32 v19, 0
	v_mov_b32_e32 v21, v0
	s_mov_b32 s29, 0
	.p2align	6
.LBB103_19:                             ; =>This Inner Loop Header: Depth=1
	ds_load_b32 v22, v20
	v_add_nc_u32_e32 v21, 0x80, v21
	s_delay_alu instid0(VALU_DEP_1) | instskip(NEXT) | instid1(VALU_DEP_1)
	v_cmp_le_i32_e64 s3, s6, v21
	s_or_b32 s29, s3, s29
	s_waitcnt lgkmcnt(0)
	v_sub_f32_e32 v22, v22, v1
	s_delay_alu instid0(VALU_DEP_1) | instskip(NEXT) | instid1(VALU_DEP_1)
	v_mul_f32_e32 v22, 0x3fb8aa3b, v22
	v_exp_f32_e32 v22, v22
	ds_store_b32 v20, v22
	v_dual_add_f32 v19, v19, v22 :: v_dual_add_nc_u32 v20, 0x200, v20
	s_and_not1_b32 exec_lo, exec_lo, s29
	s_cbranch_execnz .LBB103_19
; %bb.20:
	s_or_b32 exec_lo, exec_lo, s29
.LBB103_21:
	s_delay_alu instid0(SALU_CYCLE_1)
	s_or_b32 exec_lo, exec_lo, s7
	ds_bpermute_b32 v15, v15, v19
	s_waitcnt lgkmcnt(0)
	v_add_f32_e32 v15, v19, v15
	ds_bpermute_b32 v9, v9, v15
	s_waitcnt lgkmcnt(0)
	v_add_f32_e32 v9, v15, v9
	;; [unrolled: 3-line block ×5, first 2 shown]
	s_and_saveexec_b32 s3, vcc_lo
	s_cbranch_execz .LBB103_23
; %bb.22:
	ds_store_b32 v17, v9 offset:176
.LBB103_23:
	s_or_b32 exec_lo, exec_lo, s3
	s_waitcnt lgkmcnt(0)
	s_barrier
	buffer_gl0_inv
	s_and_saveexec_b32 s3, s0
	s_cbranch_execz .LBB103_25
; %bb.24:
	ds_load_b32 v9, v18 offset:176
.LBB103_25:
	s_or_b32 exec_lo, exec_lo, s3
	s_waitcnt lgkmcnt(0)
	ds_bpermute_b32 v2, v2, v9
	s_waitcnt lgkmcnt(0)
	v_add_f32_e32 v2, v9, v2
	ds_bpermute_b32 v9, v14, v2
	s_waitcnt lgkmcnt(0)
	v_add_f32_e32 v2, v2, v9
	ds_bpermute_b32 v2, v8, v2
	s_and_saveexec_b32 s0, s1
	s_cbranch_execz .LBB103_28
; %bb.26:
	s_waitcnt lgkmcnt(0)
	v_add_f32_e32 v8, 0x358637bd, v2
	s_mov_b32 s1, 0
	s_delay_alu instid0(VALU_DEP_1) | instskip(NEXT) | instid1(VALU_DEP_1)
	v_div_scale_f32 v9, null, v8, v8, 1.0
	v_rcp_f32_e32 v15, v9
	s_waitcnt_depctr 0xfff
	v_fma_f32 v16, -v9, v15, 1.0
	s_delay_alu instid0(VALU_DEP_1) | instskip(SKIP_1) | instid1(VALU_DEP_1)
	v_fmac_f32_e32 v15, v16, v15
	v_div_scale_f32 v17, vcc_lo, 1.0, v8, 1.0
	v_mul_f32_e32 v16, v17, v15
	s_delay_alu instid0(VALU_DEP_1) | instskip(NEXT) | instid1(VALU_DEP_1)
	v_fma_f32 v18, -v9, v16, v17
	v_fmac_f32_e32 v16, v18, v15
	s_delay_alu instid0(VALU_DEP_1) | instskip(NEXT) | instid1(VALU_DEP_1)
	v_fma_f32 v9, -v9, v16, v17
	v_div_fmas_f32 v9, v9, v15, v16
	s_delay_alu instid0(VALU_DEP_1)
	v_div_fixup_f32 v8, v9, v8, 1.0
	v_mov_b32_e32 v9, v0
.LBB103_27:                             ; =>This Inner Loop Header: Depth=1
	ds_load_b32 v15, v7
	v_add_nc_u32_e32 v9, 0x80, v9
	s_delay_alu instid0(VALU_DEP_1)
	v_cmp_le_i32_e32 vcc_lo, s6, v9
	s_or_b32 s1, vcc_lo, s1
	s_waitcnt lgkmcnt(0)
	v_mul_f32_e32 v15, v8, v15
	ds_store_b32 v7, v15
	v_add_nc_u32_e32 v7, 0x200, v7
	s_and_not1_b32 exec_lo, exec_lo, s1
	s_cbranch_execnz .LBB103_27
.LBB103_28:
	s_or_b32 exec_lo, exec_lo, s0
	s_mul_i32 s0, s4, s14
	s_waitcnt lgkmcnt(0)
	s_mul_i32 s6, s0, s13
	s_mov_b32 s0, exec_lo
	s_barrier
	buffer_gl0_inv
	v_cmpx_eq_u32_e32 0, v0
	s_cbranch_execz .LBB103_30
; %bb.29:
	s_ashr_i32 s7, s6, 31
	s_mul_i32 s34, s4, s20
	s_lshl_b64 s[30:31], s[6:7], 2
	v_mov_b32_e32 v7, 0
	s_add_u32 s1, s10, s30
	s_addc_u32 s3, s11, s31
	s_ashr_i32 s35, s34, 31
	s_delay_alu instid0(SALU_CYCLE_1) | instskip(NEXT) | instid1(SALU_CYCLE_1)
	s_lshl_b64 s[10:11], s[34:35], 2
	s_add_u32 s1, s1, s10
	s_addc_u32 s3, s3, s11
	s_ashr_i32 s13, s12, 31
	s_delay_alu instid0(SALU_CYCLE_1) | instskip(NEXT) | instid1(SALU_CYCLE_1)
	s_lshl_b64 s[34:35], s[12:13], 2
	s_add_u32 s36, s1, s34
	s_addc_u32 s37, s3, s35
	s_add_u32 s1, s8, s30
	s_addc_u32 s3, s9, s31
	;; [unrolled: 2-line block ×4, first 2 shown]
	s_clause 0x1
	global_store_b32 v7, v1, s[36:37]
	global_store_b32 v7, v2, s[8:9]
.LBB103_30:
	s_or_b32 exec_lo, exec_lo, s0
	v_dual_mov_b32 v16, 0 :: v_dual_mov_b32 v17, 0
	v_dual_mov_b32 v18, 0 :: v_dual_mov_b32 v19, 0
	v_mov_b32_e32 v15, 0
	s_mov_b32 s3, 0
	s_and_saveexec_b32 s1, s2
	s_cbranch_execz .LBB103_44
; %bb.31:
	v_dual_mov_b32 v15, 0 :: v_dual_lshlrev_b32 v2, 4, v0
	s_ashr_i32 s29, s28, 31
	v_dual_mov_b32 v18, 0 :: v_dual_and_b32 v1, 8, v3
	s_delay_alu instid0(VALU_DEP_2)
	v_dual_mov_b32 v19, 0 :: v_dual_and_b32 v2, 0x1f0, v2
	s_lshl_b64 s[8:9], s[28:29], 1
	v_dual_mov_b32 v16, 0 :: v_dual_lshlrev_b32 v3, 5, v11
	s_add_u32 s0, s26, s8
	s_addc_u32 s10, s27, s9
	v_add_co_u32 v20, s0, s0, v2
	v_add3_u32 v22, s33, v4, v1
	v_lshlrev_b64 v[1:2], 2, v[5:6]
	v_add_co_ci_u32_e64 v21, null, s10, 0, s0
	s_lshl_b64 s[10:11], s[24:25], 2
	s_add_i32 s21, s21, -1
	v_lshl_or_b32 v3, v12, 6, v3
	s_add_u32 s0, s22, s10
	s_addc_u32 s10, s23, s11
	v_add_co_u32 v6, vcc_lo, s0, v1
	s_delay_alu instid0(VALU_DEP_2)
	v_add_nc_u32_e32 v23, 0xc0, v3
	v_add_co_ci_u32_e32 v7, vcc_lo, s10, v2, vcc_lo
	v_mov_b32_e32 v17, 0
	s_mov_b32 s2, s5
	s_mov_b32 s5, s15
	;; [unrolled: 1-line block ×8, first 2 shown]
	s_branch .LBB103_33
.LBB103_32:                             ;   in Loop: Header=BB103_33 Depth=1
	s_or_b32 exec_lo, exec_lo, s0
	v_add_f32_e32 v8, v35, v36
	s_waitcnt vmcnt(0)
	;;#ASMSTART
	v_pk_mul_f16 v1, v34, v1;

	;;#ASMEND
	;;#ASMSTART
	v_pk_mul_f16 v2, v33, v2;

	;;#ASMEND
	;; [unrolled: 4-line block ×4, first 2 shown]
	;;#ASMSTART
	v_pk_add_f16 v1, v1, v2;

	;;#ASMEND
	;;#ASMSTART
	v_pk_add_f16 v1, v1, v3;

	;;#ASMEND
	v_add_f32_e32 v3, v37, v38
	;;#ASMSTART
	v_pk_add_f16 v1, v1, v4;

	;;#ASMEND
	v_dual_add_f32 v15, v15, v8 :: v_dual_and_b32 v2, 0xffff, v1
	v_lshrrev_b32_e32 v1, 16, v1
	;;#ASMSTART
	v_cvt_f32_f16 v2, v2;
	;;#ASMEND
	;;#ASMSTART
	v_cvt_f32_f16 v1, v1;
	;;#ASMEND
	s_delay_alu instid0(VALU_DEP_1) | instskip(SKIP_1) | instid1(VALU_DEP_2)
	v_dual_add_f32 v4, v39, v40 :: v_dual_add_f32 v1, v2, v1
	v_dual_add_f32 v8, v41, v42 :: v_dual_add_nc_u32 v5, 4, v5
	v_dual_add_f32 v19, v19, v3 :: v_dual_add_f32 v18, v18, v4
	v_add_co_u32 v6, s0, v6, 16
	s_delay_alu instid0(VALU_DEP_3) | instskip(NEXT) | instid1(VALU_DEP_4)
	v_cmp_le_i32_e32 vcc_lo, s17, v5
	v_dual_add_f32 v17, v17, v8 :: v_dual_add_f32 v16, v16, v1
	v_add_nc_u32_e32 v22, 64, v22
	v_add_nc_u32_e32 v23, 0x100, v23
	v_add_co_ci_u32_e64 v7, s0, 0, v7, s0
	s_or_b32 s3, vcc_lo, s3
	s_delay_alu instid0(SALU_CYCLE_1)
	s_and_not1_b32 exec_lo, exec_lo, s3
	s_cbranch_execz .LBB103_43
.LBB103_33:                             ; =>This Inner Loop Header: Depth=1
	global_load_b32 v28, v[6:7], off
	ds_load_2addr_b64 v[1:4], v23 offset1:1
	ds_load_2addr_b64 v[24:27], v23 offset0:2 offset1:3
	v_or_b32_e32 v29, 7, v22
	v_or_b32_e32 v30, 6, v22
	s_waitcnt lgkmcnt(1)
	;;#ASMSTART
	v_cvt_f16_f32 v33, v1;

	;;#ASMEND
	;;#ASMSTART
	v_cvt_f16_f32 v31, v2;

	;;#ASMEND
	;;#ASMSTART
	v_cvt_f16_f32 v34, v3;

	;;#ASMEND
	;;#ASMSTART
	v_cvt_f16_f32 v32, v4;

	;;#ASMEND
	s_waitcnt lgkmcnt(0)
	;;#ASMSTART
	v_cvt_f16_f32 v37, v24;

	;;#ASMEND
	;;#ASMSTART
	v_cvt_f16_f32 v35, v25;

	;;#ASMEND
	;; [unrolled: 4-line block ×4, first 2 shown]
	v_add_nc_u32_e32 v24, 1, v22
	v_or_b32_e32 v26, 3, v22
	v_or_b32_e32 v25, 2, v22
	;; [unrolled: 1-line block ×3, first 2 shown]
	s_waitcnt vmcnt(0)
	v_mad_i64_i32 v[8:9], null, v28, s2, 0
	v_or_b32_e32 v28, 5, v22
	s_delay_alu instid0(VALU_DEP_2) | instskip(NEXT) | instid1(VALU_DEP_1)
	v_lshlrev_b64 v[8:9], 1, v[8:9]
	v_add_co_u32 v8, vcc_lo, v20, v8
	s_delay_alu instid0(VALU_DEP_2)
	v_add_co_ci_u32_e32 v9, vcc_lo, v21, v9, vcc_lo
	v_cmp_eq_u32_e32 vcc_lo, s21, v5
	global_load_b128 v[1:4], v[8:9], off
	s_and_saveexec_b32 s14, vcc_lo
	s_cbranch_execz .LBB103_35
; %bb.34:                               ;   in Loop: Header=BB103_33 Depth=1
	v_cmp_gt_i32_e64 s0, s11, v30
	s_waitcnt vmcnt(0)
	v_lshrrev_b32_e32 v39, 16, v4
	v_lshrrev_b32_e32 v40, 16, v3
	v_lshrrev_b32_e32 v41, 16, v2
	v_lshrrev_b32_e32 v42, 16, v1
	v_cndmask_b32_e64 v4, 0, v4, s0
	v_cmp_gt_i32_e64 s0, s13, v29
	s_delay_alu instid0(VALU_DEP_1) | instskip(SKIP_1) | instid1(VALU_DEP_2)
	v_cndmask_b32_e64 v39, 0, v39, s0
	v_cmp_gt_i32_e64 s0, s10, v28
	v_perm_b32 v4, v39, v4, 0x5040100
	s_delay_alu instid0(VALU_DEP_2) | instskip(SKIP_1) | instid1(VALU_DEP_1)
	v_cndmask_b32_e64 v40, 0, v40, s0
	v_cmp_gt_i32_e64 s0, s9, v27
	v_cndmask_b32_e64 v3, 0, v3, s0
	v_cmp_gt_i32_e64 s0, s8, v26
	s_delay_alu instid0(VALU_DEP_2) | instskip(NEXT) | instid1(VALU_DEP_2)
	v_perm_b32 v3, v40, v3, 0x5040100
	v_cndmask_b32_e64 v41, 0, v41, s0
	v_cmp_gt_i32_e64 s0, s7, v25
	s_delay_alu instid0(VALU_DEP_1) | instskip(SKIP_1) | instid1(VALU_DEP_2)
	v_cndmask_b32_e64 v2, 0, v2, s0
	v_cmp_gt_i32_e64 s0, s5, v24
	v_perm_b32 v2, v41, v2, 0x5040100
	s_delay_alu instid0(VALU_DEP_2) | instskip(SKIP_1) | instid1(VALU_DEP_1)
	v_cndmask_b32_e64 v42, 0, v42, s0
	v_cmp_gt_i32_e64 s0, s15, v22
	v_cndmask_b32_e64 v1, 0, v1, s0
	s_delay_alu instid0(VALU_DEP_1)
	v_perm_b32 v1, v42, v1, 0x5040100
.LBB103_35:                             ;   in Loop: Header=BB103_33 Depth=1
	s_or_b32 exec_lo, exec_lo, s14
	v_and_b32_e32 v33, 0xffff, v33
	v_and_b32_e32 v39, 0xffff, v34
	v_and_b32_e32 v37, 0xffff, v37
	v_and_b32_e32 v38, 0xffff, v38
	s_delay_alu instid0(VALU_DEP_4)
	v_lshl_or_b32 v34, v31, 16, v33
	s_waitcnt vmcnt(0)
	;;#ASMSTART
	v_pk_mul_f16 v1, v34, v1;

	;;#ASMEND
	v_lshl_or_b32 v33, v32, 16, v39
	v_lshl_or_b32 v32, v35, 16, v37
	v_lshl_or_b32 v31, v36, 16, v38
	;;#ASMSTART
	v_pk_mul_f16 v2, v33, v2;

	;;#ASMEND
	;;#ASMSTART
	v_pk_mul_f16 v3, v32, v3;

	;;#ASMEND
	;; [unrolled: 4-line block ×3, first 2 shown]
	;;#ASMSTART
	v_pk_add_f16 v1, v1, v2;

	;;#ASMEND
	;;#ASMSTART
	v_pk_add_f16 v1, v1, v3;

	;;#ASMEND
	;; [unrolled: 4-line block ×3, first 2 shown]
	v_and_b32_e32 v2, 0xffff, v1
	v_lshrrev_b32_e32 v1, 16, v1
	;;#ASMSTART
	v_cvt_f32_f16 v35, v2;
	;;#ASMEND
	;;#ASMSTART
	v_cvt_f32_f16 v36, v1;
	;;#ASMEND
	global_load_b128 v[1:4], v[8:9], off offset:512
	s_and_saveexec_b32 s14, vcc_lo
	s_cbranch_execz .LBB103_37
; %bb.36:                               ;   in Loop: Header=BB103_33 Depth=1
	v_cmp_gt_i32_e64 s0, s11, v30
	s_waitcnt vmcnt(0)
	v_lshrrev_b32_e32 v37, 16, v4
	v_lshrrev_b32_e32 v38, 16, v3
	;; [unrolled: 1-line block ×4, first 2 shown]
	v_cndmask_b32_e64 v4, 0, v4, s0
	v_cmp_gt_i32_e64 s0, s13, v29
	s_delay_alu instid0(VALU_DEP_1) | instskip(SKIP_1) | instid1(VALU_DEP_2)
	v_cndmask_b32_e64 v37, 0, v37, s0
	v_cmp_gt_i32_e64 s0, s10, v28
	v_perm_b32 v4, v37, v4, 0x5040100
	s_delay_alu instid0(VALU_DEP_2) | instskip(SKIP_1) | instid1(VALU_DEP_1)
	v_cndmask_b32_e64 v38, 0, v38, s0
	v_cmp_gt_i32_e64 s0, s9, v27
	v_cndmask_b32_e64 v3, 0, v3, s0
	v_cmp_gt_i32_e64 s0, s8, v26
	s_delay_alu instid0(VALU_DEP_2) | instskip(NEXT) | instid1(VALU_DEP_2)
	v_perm_b32 v3, v38, v3, 0x5040100
	v_cndmask_b32_e64 v39, 0, v39, s0
	v_cmp_gt_i32_e64 s0, s7, v25
	s_delay_alu instid0(VALU_DEP_1) | instskip(SKIP_1) | instid1(VALU_DEP_2)
	v_cndmask_b32_e64 v2, 0, v2, s0
	v_cmp_gt_i32_e64 s0, s5, v24
	v_perm_b32 v2, v39, v2, 0x5040100
	s_delay_alu instid0(VALU_DEP_2) | instskip(SKIP_1) | instid1(VALU_DEP_1)
	v_cndmask_b32_e64 v40, 0, v40, s0
	v_cmp_gt_i32_e64 s0, s15, v22
	v_cndmask_b32_e64 v1, 0, v1, s0
	s_delay_alu instid0(VALU_DEP_1)
	v_perm_b32 v1, v40, v1, 0x5040100
.LBB103_37:                             ;   in Loop: Header=BB103_33 Depth=1
	s_or_b32 exec_lo, exec_lo, s14
	s_waitcnt vmcnt(0)
	;;#ASMSTART
	v_pk_mul_f16 v1, v34, v1;

	;;#ASMEND
	;;#ASMSTART
	v_pk_mul_f16 v2, v33, v2;

	;;#ASMEND
	;; [unrolled: 4-line block ×4, first 2 shown]
	;;#ASMSTART
	v_pk_add_f16 v1, v1, v2;

	;;#ASMEND
	;;#ASMSTART
	v_pk_add_f16 v1, v1, v3;

	;;#ASMEND
	;; [unrolled: 4-line block ×3, first 2 shown]
	v_and_b32_e32 v2, 0xffff, v1
	v_lshrrev_b32_e32 v1, 16, v1
	;;#ASMSTART
	v_cvt_f32_f16 v37, v2;
	;;#ASMEND
	;;#ASMSTART
	v_cvt_f32_f16 v38, v1;
	;;#ASMEND
	global_load_b128 v[1:4], v[8:9], off offset:1024
	s_and_saveexec_b32 s14, vcc_lo
	s_cbranch_execz .LBB103_39
; %bb.38:                               ;   in Loop: Header=BB103_33 Depth=1
	v_cmp_gt_i32_e64 s0, s11, v30
	s_waitcnt vmcnt(0)
	v_lshrrev_b32_e32 v39, 16, v4
	v_lshrrev_b32_e32 v40, 16, v3
	;; [unrolled: 1-line block ×4, first 2 shown]
	v_cndmask_b32_e64 v4, 0, v4, s0
	v_cmp_gt_i32_e64 s0, s13, v29
	s_delay_alu instid0(VALU_DEP_1) | instskip(SKIP_1) | instid1(VALU_DEP_2)
	v_cndmask_b32_e64 v39, 0, v39, s0
	v_cmp_gt_i32_e64 s0, s10, v28
	v_perm_b32 v4, v39, v4, 0x5040100
	s_delay_alu instid0(VALU_DEP_2) | instskip(SKIP_1) | instid1(VALU_DEP_1)
	v_cndmask_b32_e64 v40, 0, v40, s0
	v_cmp_gt_i32_e64 s0, s9, v27
	v_cndmask_b32_e64 v3, 0, v3, s0
	v_cmp_gt_i32_e64 s0, s8, v26
	s_delay_alu instid0(VALU_DEP_2) | instskip(NEXT) | instid1(VALU_DEP_2)
	v_perm_b32 v3, v40, v3, 0x5040100
	v_cndmask_b32_e64 v41, 0, v41, s0
	v_cmp_gt_i32_e64 s0, s7, v25
	s_delay_alu instid0(VALU_DEP_1) | instskip(SKIP_1) | instid1(VALU_DEP_2)
	v_cndmask_b32_e64 v2, 0, v2, s0
	v_cmp_gt_i32_e64 s0, s5, v24
	v_perm_b32 v2, v41, v2, 0x5040100
	s_delay_alu instid0(VALU_DEP_2) | instskip(SKIP_1) | instid1(VALU_DEP_1)
	v_cndmask_b32_e64 v42, 0, v42, s0
	v_cmp_gt_i32_e64 s0, s15, v22
	v_cndmask_b32_e64 v1, 0, v1, s0
	s_delay_alu instid0(VALU_DEP_1)
	v_perm_b32 v1, v42, v1, 0x5040100
.LBB103_39:                             ;   in Loop: Header=BB103_33 Depth=1
	s_or_b32 exec_lo, exec_lo, s14
	s_waitcnt vmcnt(0)
	;;#ASMSTART
	v_pk_mul_f16 v1, v34, v1;

	;;#ASMEND
	;;#ASMSTART
	v_pk_mul_f16 v2, v33, v2;

	;;#ASMEND
	;; [unrolled: 4-line block ×4, first 2 shown]
	;;#ASMSTART
	v_pk_add_f16 v1, v1, v2;

	;;#ASMEND
	;;#ASMSTART
	v_pk_add_f16 v1, v1, v3;

	;;#ASMEND
	;; [unrolled: 4-line block ×3, first 2 shown]
	v_and_b32_e32 v2, 0xffff, v1
	v_lshrrev_b32_e32 v1, 16, v1
	;;#ASMSTART
	v_cvt_f32_f16 v39, v2;
	;;#ASMEND
	;;#ASMSTART
	v_cvt_f32_f16 v40, v1;
	;;#ASMEND
	global_load_b128 v[1:4], v[8:9], off offset:1536
	s_and_saveexec_b32 s14, vcc_lo
	s_cbranch_execz .LBB103_41
; %bb.40:                               ;   in Loop: Header=BB103_33 Depth=1
	v_cmp_gt_i32_e64 s0, s11, v30
	s_waitcnt vmcnt(0)
	v_lshrrev_b32_e32 v41, 16, v4
	v_lshrrev_b32_e32 v42, 16, v3
	;; [unrolled: 1-line block ×4, first 2 shown]
	v_cndmask_b32_e64 v4, 0, v4, s0
	v_cmp_gt_i32_e64 s0, s13, v29
	s_delay_alu instid0(VALU_DEP_1) | instskip(SKIP_1) | instid1(VALU_DEP_2)
	v_cndmask_b32_e64 v41, 0, v41, s0
	v_cmp_gt_i32_e64 s0, s10, v28
	v_perm_b32 v4, v41, v4, 0x5040100
	s_delay_alu instid0(VALU_DEP_2) | instskip(SKIP_1) | instid1(VALU_DEP_1)
	v_cndmask_b32_e64 v42, 0, v42, s0
	v_cmp_gt_i32_e64 s0, s9, v27
	v_cndmask_b32_e64 v3, 0, v3, s0
	v_cmp_gt_i32_e64 s0, s8, v26
	s_delay_alu instid0(VALU_DEP_2) | instskip(NEXT) | instid1(VALU_DEP_2)
	v_perm_b32 v3, v42, v3, 0x5040100
	v_cndmask_b32_e64 v43, 0, v43, s0
	v_cmp_gt_i32_e64 s0, s7, v25
	s_delay_alu instid0(VALU_DEP_1) | instskip(SKIP_1) | instid1(VALU_DEP_2)
	v_cndmask_b32_e64 v2, 0, v2, s0
	v_cmp_gt_i32_e64 s0, s5, v24
	v_perm_b32 v2, v43, v2, 0x5040100
	s_delay_alu instid0(VALU_DEP_2) | instskip(SKIP_1) | instid1(VALU_DEP_1)
	v_cndmask_b32_e64 v44, 0, v44, s0
	v_cmp_gt_i32_e64 s0, s15, v22
	v_cndmask_b32_e64 v1, 0, v1, s0
	s_delay_alu instid0(VALU_DEP_1)
	v_perm_b32 v1, v44, v1, 0x5040100
.LBB103_41:                             ;   in Loop: Header=BB103_33 Depth=1
	s_or_b32 exec_lo, exec_lo, s14
	s_waitcnt vmcnt(0)
	;;#ASMSTART
	v_pk_mul_f16 v1, v34, v1;

	;;#ASMEND
	;;#ASMSTART
	v_pk_mul_f16 v2, v33, v2;

	;;#ASMEND
	;; [unrolled: 4-line block ×4, first 2 shown]
	;;#ASMSTART
	v_pk_add_f16 v1, v1, v2;

	;;#ASMEND
	;;#ASMSTART
	v_pk_add_f16 v1, v1, v3;

	;;#ASMEND
	;; [unrolled: 4-line block ×3, first 2 shown]
	v_and_b32_e32 v2, 0xffff, v1
	v_lshrrev_b32_e32 v1, 16, v1
	;;#ASMSTART
	v_cvt_f32_f16 v41, v2;
	;;#ASMEND
	;;#ASMSTART
	v_cvt_f32_f16 v42, v1;
	;;#ASMEND
	global_load_b128 v[1:4], v[8:9], off offset:2048
	s_and_saveexec_b32 s0, vcc_lo
	s_cbranch_execz .LBB103_32
; %bb.42:                               ;   in Loop: Header=BB103_33 Depth=1
	v_cmp_gt_i32_e32 vcc_lo, s11, v30
	s_waitcnt vmcnt(0)
	v_lshrrev_b32_e32 v8, 16, v4
	v_lshrrev_b32_e32 v9, 16, v3
	v_cndmask_b32_e32 v4, 0, v4, vcc_lo
	v_cmp_gt_i32_e32 vcc_lo, s13, v29
	s_delay_alu instid0(VALU_DEP_4)
	v_cndmask_b32_e32 v8, 0, v8, vcc_lo
	v_cmp_gt_i32_e32 vcc_lo, s10, v28
	v_lshrrev_b32_e32 v28, 16, v2
	v_cndmask_b32_e32 v9, 0, v9, vcc_lo
	v_cmp_gt_i32_e32 vcc_lo, s9, v27
	v_lshrrev_b32_e32 v27, 16, v1
	v_cndmask_b32_e32 v3, 0, v3, vcc_lo
	v_cmp_gt_i32_e32 vcc_lo, s8, v26
	v_perm_b32 v4, v8, v4, 0x5040100
	s_delay_alu instid0(VALU_DEP_3)
	v_perm_b32 v3, v9, v3, 0x5040100
	v_cndmask_b32_e32 v26, 0, v28, vcc_lo
	v_cmp_gt_i32_e32 vcc_lo, s7, v25
	v_cndmask_b32_e32 v2, 0, v2, vcc_lo
	v_cmp_gt_i32_e32 vcc_lo, s5, v24
	;; [unrolled: 2-line block ×3, first 2 shown]
	v_cndmask_b32_e32 v1, 0, v1, vcc_lo
	v_perm_b32 v2, v26, v2, 0x5040100
	s_delay_alu instid0(VALU_DEP_2)
	v_perm_b32 v1, v24, v1, 0x5040100
	s_branch .LBB103_32
.LBB103_43:
	s_or_b32 exec_lo, exec_lo, s3
.LBB103_44:
	s_delay_alu instid0(SALU_CYCLE_1)
	s_or_b32 exec_lo, exec_lo, s1
	ds_bpermute_b32 v1, v14, v15
	ds_bpermute_b32 v2, v14, v19
	;; [unrolled: 1-line block ×5, first 2 shown]
	v_and_b32_e32 v4, 0x3c1, v0
	v_lshrrev_b32_e32 v6, 1, v13
	s_movk_i32 s0, 0x140
	s_waitcnt lgkmcnt(0)
	s_waitcnt_vscnt null, 0x0
	v_mad_u32_u24 v7, v12, s0, 0xc0
	s_barrier
	buffer_gl0_inv
	v_add_f32_e32 v5, v15, v1
	v_cmp_eq_u32_e32 vcc_lo, 64, v4
	v_dual_add_f32 v4, v19, v2 :: v_dual_add_f32 v3, v18, v3
	v_dual_add_f32 v2, v17, v8 :: v_dual_add_f32 v1, v16, v9
	v_lshlrev_b32_e32 v8, 2, v6
	s_and_saveexec_b32 s0, vcc_lo
	s_cbranch_execz .LBB103_46
; %bb.45:
	s_delay_alu instid0(VALU_DEP_1)
	v_add3_u32 v9, v7, v8, 0xfffffd80
	ds_store_2addr_b32 v9, v5, v4 offset1:16
	ds_store_2addr_b32 v9, v3, v2 offset0:32 offset1:48
	ds_store_b32 v9, v1 offset:256
.LBB103_46:
	s_or_b32 exec_lo, exec_lo, s0
	v_cmp_eq_u32_e32 vcc_lo, 0, v11
	s_mov_b32 s1, exec_lo
	s_waitcnt lgkmcnt(0)
	s_barrier
	buffer_gl0_inv
	v_cmpx_gt_u32_e32 64, v0
	s_cbranch_execz .LBB103_54
; %bb.47:
	s_and_saveexec_b32 s0, vcc_lo
	s_cbranch_execnz .LBB103_67
; %bb.48:
	s_or_b32 exec_lo, exec_lo, s0
	s_and_saveexec_b32 s0, vcc_lo
	s_cbranch_execnz .LBB103_68
.LBB103_49:
	s_or_b32 exec_lo, exec_lo, s0
	s_and_saveexec_b32 s0, vcc_lo
	s_cbranch_execnz .LBB103_69
.LBB103_50:
	s_or_b32 exec_lo, exec_lo, s0
	s_and_saveexec_b32 s0, vcc_lo
	s_cbranch_execnz .LBB103_70
.LBB103_51:
	s_or_b32 exec_lo, exec_lo, s0
	s_and_saveexec_b32 s0, vcc_lo
	s_cbranch_execz .LBB103_53
.LBB103_52:
	v_lshl_add_u32 v9, v6, 2, v7
	ds_load_b32 v9, v9 offset:256
	s_waitcnt lgkmcnt(0)
	v_add_f32_e32 v1, v1, v9
.LBB103_53:
	s_or_b32 exec_lo, exec_lo, s0
.LBB103_54:
	s_delay_alu instid0(SALU_CYCLE_1)
	s_or_b32 exec_lo, exec_lo, s1
	v_and_b32_e32 v9, 0x3e1, v0
	s_mov_b32 s1, exec_lo
	s_barrier
	buffer_gl0_inv
	v_cmpx_eq_u32_e32 32, v9
	s_cbranch_execz .LBB103_56
; %bb.55:
	v_add3_u32 v8, v7, v8, 0xfffffec0
	ds_store_2addr_b32 v8, v5, v4 offset1:16
	ds_store_2addr_b32 v8, v3, v2 offset0:32 offset1:48
	ds_store_b32 v8, v1 offset:256
.LBB103_56:
	s_or_b32 exec_lo, exec_lo, s1
	s_delay_alu instid0(SALU_CYCLE_1)
	s_mov_b32 s1, exec_lo
	s_waitcnt lgkmcnt(0)
	s_barrier
	buffer_gl0_inv
	v_cmpx_gt_u32_e32 32, v0
	s_cbranch_execz .LBB103_64
; %bb.57:
	v_lshl_add_u32 v0, v6, 2, v7
	s_and_saveexec_b32 s0, vcc_lo
	s_cbranch_execnz .LBB103_71
; %bb.58:
	s_or_b32 exec_lo, exec_lo, s0
	s_and_saveexec_b32 s0, vcc_lo
	s_cbranch_execnz .LBB103_72
.LBB103_59:
	s_or_b32 exec_lo, exec_lo, s0
	s_and_saveexec_b32 s0, vcc_lo
	s_cbranch_execnz .LBB103_73
.LBB103_60:
	s_or_b32 exec_lo, exec_lo, s0
	s_and_saveexec_b32 s0, vcc_lo
	s_cbranch_execnz .LBB103_74
.LBB103_61:
	s_or_b32 exec_lo, exec_lo, s0
	s_and_saveexec_b32 s0, vcc_lo
	s_cbranch_execz .LBB103_63
.LBB103_62:
	ds_load_b32 v0, v0 offset:256
	s_waitcnt lgkmcnt(0)
	v_add_f32_e32 v1, v1, v0
.LBB103_63:
	s_or_b32 exec_lo, exec_lo, s0
.LBB103_64:
	s_delay_alu instid0(SALU_CYCLE_1)
	s_or_b32 exec_lo, exec_lo, s1
	s_barrier
	buffer_gl0_inv
	s_mov_b32 s0, exec_lo
	v_cmpx_eq_u32_e32 0, v9
	s_cbranch_execz .LBB103_66
; %bb.65:
	s_mul_i32 s0, s6, 0x50
	s_mul_i32 s2, s4, s16
	s_ashr_i32 s1, s0, 31
	v_lshlrev_b32_e32 v0, 1, v10
	s_lshl_b64 s[0:1], s[0:1], 1
	;;#ASMSTART
	v_cvt_f16_f32 v5, v5;

	;;#ASMEND
	s_add_u32 s4, s18, s0
	s_addc_u32 s5, s19, s1
	s_ashr_i32 s3, s2, 31
	s_delay_alu instid0(SALU_CYCLE_1) | instskip(SKIP_4) | instid1(SALU_CYCLE_1)
	s_lshl_b64 s[0:1], s[2:3], 1
	s_mul_i32 s2, s12, 0x50
	s_add_u32 s4, s4, s0
	s_addc_u32 s5, s5, s1
	s_ashr_i32 s3, s2, 31
	s_lshl_b64 s[0:1], s[2:3], 1
	s_delay_alu instid0(SALU_CYCLE_1)
	s_add_u32 s0, s4, s0
	s_addc_u32 s1, s5, s1
	global_store_b16 v0, v5, s[0:1]
	;;#ASMSTART
	v_cvt_f16_f32 v4, v4;

	;;#ASMEND
	global_store_b16 v0, v4, s[0:1] offset:32
	;;#ASMSTART
	v_cvt_f16_f32 v3, v3;

	;;#ASMEND
	global_store_b16 v0, v3, s[0:1] offset:64
	;; [unrolled: 5-line block ×4, first 2 shown]
.LBB103_66:
	s_nop 0
	s_sendmsg sendmsg(MSG_DEALLOC_VGPRS)
	s_endpgm
.LBB103_67:
	v_lshl_add_u32 v9, v6, 2, v7
	ds_load_b32 v9, v9
	s_waitcnt lgkmcnt(0)
	v_add_f32_e32 v5, v5, v9
	s_or_b32 exec_lo, exec_lo, s0
	s_and_saveexec_b32 s0, vcc_lo
	s_cbranch_execz .LBB103_49
.LBB103_68:
	v_lshl_add_u32 v9, v6, 2, v7
	ds_load_b32 v9, v9 offset:64
	s_waitcnt lgkmcnt(0)
	v_add_f32_e32 v4, v4, v9
	s_or_b32 exec_lo, exec_lo, s0
	s_and_saveexec_b32 s0, vcc_lo
	s_cbranch_execz .LBB103_50
.LBB103_69:
	v_lshl_add_u32 v9, v6, 2, v7
	ds_load_b32 v9, v9 offset:128
	s_waitcnt lgkmcnt(0)
	v_add_f32_e32 v3, v3, v9
	s_or_b32 exec_lo, exec_lo, s0
	s_and_saveexec_b32 s0, vcc_lo
	s_cbranch_execz .LBB103_51
.LBB103_70:
	v_lshl_add_u32 v9, v6, 2, v7
	ds_load_b32 v9, v9 offset:192
	s_waitcnt lgkmcnt(0)
	v_add_f32_e32 v2, v2, v9
	s_or_b32 exec_lo, exec_lo, s0
	s_and_saveexec_b32 s0, vcc_lo
	s_cbranch_execnz .LBB103_52
	s_branch .LBB103_53
.LBB103_71:
	ds_load_b32 v6, v0
	s_waitcnt lgkmcnt(0)
	v_add_f32_e32 v5, v5, v6
	s_or_b32 exec_lo, exec_lo, s0
	s_and_saveexec_b32 s0, vcc_lo
	s_cbranch_execz .LBB103_59
.LBB103_72:
	ds_load_b32 v6, v0 offset:64
	s_waitcnt lgkmcnt(0)
	v_add_f32_e32 v4, v4, v6
	s_or_b32 exec_lo, exec_lo, s0
	s_and_saveexec_b32 s0, vcc_lo
	s_cbranch_execz .LBB103_60
.LBB103_73:
	ds_load_b32 v6, v0 offset:128
	s_waitcnt lgkmcnt(0)
	v_add_f32_e32 v3, v3, v6
	s_or_b32 exec_lo, exec_lo, s0
	s_and_saveexec_b32 s0, vcc_lo
	s_cbranch_execz .LBB103_61
.LBB103_74:
	ds_load_b32 v6, v0 offset:192
	s_waitcnt lgkmcnt(0)
	v_add_f32_e32 v2, v2, v6
	s_or_b32 exec_lo, exec_lo, s0
	s_and_saveexec_b32 s0, vcc_lo
	s_cbranch_execnz .LBB103_62
	s_branch .LBB103_63
	.section	.rodata,"a",@progbits
	.p2align	6, 0x0
	.amdhsa_kernel _ZN4vllm25paged_attention_v2_kernelIttLi80ELi16ELi128ELNS_18Fp8KVCacheDataTypeE0ELb0ELi512EEEvPfS2_PT_PKS3_PKT0_S9_ifPKiSB_iPKfiiiSD_SD_iiiii
		.amdhsa_group_segment_fixed_size 192
		.amdhsa_private_segment_fixed_size 0
		.amdhsa_kernarg_size 400
		.amdhsa_user_sgpr_count 13
		.amdhsa_user_sgpr_dispatch_ptr 0
		.amdhsa_user_sgpr_queue_ptr 0
		.amdhsa_user_sgpr_kernarg_segment_ptr 1
		.amdhsa_user_sgpr_dispatch_id 0
		.amdhsa_user_sgpr_private_segment_size 0
		.amdhsa_wavefront_size32 1
		.amdhsa_uses_dynamic_stack 0
		.amdhsa_enable_private_segment 0
		.amdhsa_system_sgpr_workgroup_id_x 1
		.amdhsa_system_sgpr_workgroup_id_y 1
		.amdhsa_system_sgpr_workgroup_id_z 1
		.amdhsa_system_sgpr_workgroup_info 0
		.amdhsa_system_vgpr_workitem_id 0
		.amdhsa_next_free_vgpr 89
		.amdhsa_next_free_sgpr 40
		.amdhsa_reserve_vcc 1
		.amdhsa_float_round_mode_32 0
		.amdhsa_float_round_mode_16_64 0
		.amdhsa_float_denorm_mode_32 3
		.amdhsa_float_denorm_mode_16_64 3
		.amdhsa_dx10_clamp 1
		.amdhsa_ieee_mode 1
		.amdhsa_fp16_overflow 0
		.amdhsa_workgroup_processor_mode 1
		.amdhsa_memory_ordered 1
		.amdhsa_forward_progress 0
		.amdhsa_shared_vgpr_count 0
		.amdhsa_exception_fp_ieee_invalid_op 0
		.amdhsa_exception_fp_denorm_src 0
		.amdhsa_exception_fp_ieee_div_zero 0
		.amdhsa_exception_fp_ieee_overflow 0
		.amdhsa_exception_fp_ieee_underflow 0
		.amdhsa_exception_fp_ieee_inexact 0
		.amdhsa_exception_int_div_zero 0
	.end_amdhsa_kernel
	.section	.text._ZN4vllm25paged_attention_v2_kernelIttLi80ELi16ELi128ELNS_18Fp8KVCacheDataTypeE0ELb0ELi512EEEvPfS2_PT_PKS3_PKT0_S9_ifPKiSB_iPKfiiiSD_SD_iiiii,"axG",@progbits,_ZN4vllm25paged_attention_v2_kernelIttLi80ELi16ELi128ELNS_18Fp8KVCacheDataTypeE0ELb0ELi512EEEvPfS2_PT_PKS3_PKT0_S9_ifPKiSB_iPKfiiiSD_SD_iiiii,comdat
.Lfunc_end103:
	.size	_ZN4vllm25paged_attention_v2_kernelIttLi80ELi16ELi128ELNS_18Fp8KVCacheDataTypeE0ELb0ELi512EEEvPfS2_PT_PKS3_PKT0_S9_ifPKiSB_iPKfiiiSD_SD_iiiii, .Lfunc_end103-_ZN4vllm25paged_attention_v2_kernelIttLi80ELi16ELi128ELNS_18Fp8KVCacheDataTypeE0ELb0ELi512EEEvPfS2_PT_PKS3_PKT0_S9_ifPKiSB_iPKfiiiSD_SD_iiiii
                                        ; -- End function
	.section	.AMDGPU.csdata,"",@progbits
; Kernel info:
; codeLenInByte = 8532
; NumSgprs: 42
; NumVgprs: 89
; ScratchSize: 0
; MemoryBound: 0
; FloatMode: 240
; IeeeMode: 1
; LDSByteSize: 192 bytes/workgroup (compile time only)
; SGPRBlocks: 5
; VGPRBlocks: 11
; NumSGPRsForWavesPerEU: 42
; NumVGPRsForWavesPerEU: 89
; Occupancy: 16
; WaveLimiterHint : 1
; COMPUTE_PGM_RSRC2:SCRATCH_EN: 0
; COMPUTE_PGM_RSRC2:USER_SGPR: 13
; COMPUTE_PGM_RSRC2:TRAP_HANDLER: 0
; COMPUTE_PGM_RSRC2:TGID_X_EN: 1
; COMPUTE_PGM_RSRC2:TGID_Y_EN: 1
; COMPUTE_PGM_RSRC2:TGID_Z_EN: 1
; COMPUTE_PGM_RSRC2:TIDIG_COMP_CNT: 0
	.section	.text._ZN4vllm25paged_attention_v2_kernelIttLi96ELi16ELi128ELNS_18Fp8KVCacheDataTypeE0ELb0ELi512EEEvPfS2_PT_PKS3_PKT0_S9_ifPKiSB_iPKfiiiSD_SD_iiiii,"axG",@progbits,_ZN4vllm25paged_attention_v2_kernelIttLi96ELi16ELi128ELNS_18Fp8KVCacheDataTypeE0ELb0ELi512EEEvPfS2_PT_PKS3_PKT0_S9_ifPKiSB_iPKfiiiSD_SD_iiiii,comdat
	.protected	_ZN4vllm25paged_attention_v2_kernelIttLi96ELi16ELi128ELNS_18Fp8KVCacheDataTypeE0ELb0ELi512EEEvPfS2_PT_PKS3_PKT0_S9_ifPKiSB_iPKfiiiSD_SD_iiiii ; -- Begin function _ZN4vllm25paged_attention_v2_kernelIttLi96ELi16ELi128ELNS_18Fp8KVCacheDataTypeE0ELb0ELi512EEEvPfS2_PT_PKS3_PKT0_S9_ifPKiSB_iPKfiiiSD_SD_iiiii
	.globl	_ZN4vllm25paged_attention_v2_kernelIttLi96ELi16ELi128ELNS_18Fp8KVCacheDataTypeE0ELb0ELi512EEEvPfS2_PT_PKS3_PKT0_S9_ifPKiSB_iPKfiiiSD_SD_iiiii
	.p2align	8
	.type	_ZN4vllm25paged_attention_v2_kernelIttLi96ELi16ELi128ELNS_18Fp8KVCacheDataTypeE0ELb0ELi512EEEvPfS2_PT_PKS3_PKT0_S9_ifPKiSB_iPKfiiiSD_SD_iiiii,@function
_ZN4vllm25paged_attention_v2_kernelIttLi96ELi16ELi128ELNS_18Fp8KVCacheDataTypeE0ELb0ELi512EEEvPfS2_PT_PKS3_PKT0_S9_ifPKiSB_iPKfiiiSD_SD_iiiii: ; @_ZN4vllm25paged_attention_v2_kernelIttLi96ELi16ELi128ELNS_18Fp8KVCacheDataTypeE0ELb0ELi512EEEvPfS2_PT_PKS3_PKT0_S9_ifPKiSB_iPKfiiiSD_SD_iiiii
; %bb.0:
	s_load_b64 s[2:3], s[0:1], 0x40
	s_mov_b32 s12, s15
	s_ashr_i32 s15, s14, 31
	s_delay_alu instid0(SALU_CYCLE_1)
	s_lshl_b64 s[4:5], s[14:15], 2
	s_waitcnt lgkmcnt(0)
	s_add_u32 s2, s2, s4
	s_addc_u32 s3, s3, s5
	s_lshl_b32 s33, s12, 9
	s_load_b32 s15, s[2:3], 0x0
	s_waitcnt lgkmcnt(0)
	s_cmp_ge_i32 s33, s15
	s_cbranch_scc1 .LBB104_70
; %bb.1:
	s_mov_b32 s20, s13
	s_clause 0x1
	s_load_b32 s13, s[0:1], 0x90
	s_load_b64 s[30:31], s[0:1], 0x30
	s_waitcnt lgkmcnt(0)
	s_abs_i32 s5, s13
	s_abs_i32 s2, s30
	s_delay_alu instid0(SALU_CYCLE_1) | instskip(SKIP_1) | instid1(VALU_DEP_1)
	v_cvt_f32_u32_e32 v1, s2
	s_sub_i32 s4, 0, s2
	v_rcp_iflag_f32_e32 v1, v1
	s_waitcnt_depctr 0xfff
	v_mul_f32_e32 v1, 0x4f7ffffe, v1
	s_delay_alu instid0(VALU_DEP_1) | instskip(NEXT) | instid1(VALU_DEP_1)
	v_cvt_u32_f32_e32 v1, v1
	v_readfirstlane_b32 s3, v1
	s_delay_alu instid0(VALU_DEP_1) | instskip(NEXT) | instid1(SALU_CYCLE_1)
	s_mul_i32 s4, s4, s3
	s_mul_hi_u32 s4, s3, s4
	s_delay_alu instid0(SALU_CYCLE_1)
	s_add_i32 s3, s3, s4
	s_xor_b32 s4, s13, s30
	s_mul_hi_u32 s3, s5, s3
	s_ashr_i32 s4, s4, 31
	s_mul_i32 s6, s3, s2
	s_mov_b32 s30, 0
	s_sub_i32 s5, s5, s6
	s_add_i32 s6, s3, 1
	s_sub_i32 s7, s5, s2
	s_cmp_ge_u32 s5, s2
	s_cselect_b32 s3, s6, s3
	s_cselect_b32 s5, s7, s5
	s_add_i32 s6, s3, 1
	s_cmp_ge_u32 s5, s2
	s_cselect_b32 s2, s6, s3
	s_abs_i32 s10, s20
	s_xor_b32 s2, s2, s4
	s_delay_alu instid0(SALU_CYCLE_1) | instskip(SKIP_2) | instid1(SALU_CYCLE_1)
	s_sub_i32 s11, s2, s4
	s_load_b64 s[2:3], s[0:1], 0x50
	s_abs_i32 s8, s11
	v_cvt_f32_u32_e32 v1, s8
	s_sub_i32 s5, 0, s8
	s_delay_alu instid0(VALU_DEP_1) | instskip(SKIP_2) | instid1(VALU_DEP_1)
	v_rcp_iflag_f32_e32 v1, v1
	s_waitcnt_depctr 0xfff
	v_mul_f32_e32 v1, 0x4f7ffffe, v1
	v_cvt_u32_f32_e32 v1, v1
	s_delay_alu instid0(VALU_DEP_1) | instskip(NEXT) | instid1(VALU_DEP_1)
	v_readfirstlane_b32 s4, v1
	s_mul_i32 s5, s5, s4
	s_delay_alu instid0(SALU_CYCLE_1) | instskip(NEXT) | instid1(SALU_CYCLE_1)
	s_mul_hi_u32 s5, s4, s5
	s_add_i32 s4, s4, s5
	s_waitcnt lgkmcnt(0)
	s_cmp_eq_u64 s[2:3], 0
	s_mul_hi_u32 s9, s10, s4
	s_cbranch_scc1 .LBB104_3
; %bb.2:
	s_ashr_i32 s21, s20, 31
	s_delay_alu instid0(SALU_CYCLE_1) | instskip(NEXT) | instid1(SALU_CYCLE_1)
	s_lshl_b64 s[4:5], s[20:21], 2
	s_add_u32 s2, s2, s4
	s_addc_u32 s3, s3, s5
	s_load_b32 s30, s[2:3], 0x0
.LBB104_3:
	s_load_b128 s[4:7], s[0:1], 0x58
	v_lshrrev_b32_e32 v10, 1, v0
	v_and_b32_e32 v11, 1, v0
	v_lshlrev_b32_e32 v9, 3, v0
	s_ashr_i32 s2, s20, 31
	s_ashr_i32 s3, s11, 31
	s_mul_i32 s16, s20, 0x60
	s_waitcnt lgkmcnt(0)
	s_mov_b32 s7, exec_lo
	v_cmpx_gt_u32_e32 24, v0
	s_cbranch_execz .LBB104_5
; %bb.4:
	s_load_b64 s[18:19], s[0:1], 0x18
	s_mul_i32 s22, s14, s4
	v_lshlrev_b32_e32 v3, 3, v10
	s_ashr_i32 s23, s22, 31
	s_delay_alu instid0(SALU_CYCLE_1) | instskip(NEXT) | instid1(VALU_DEP_1)
	s_lshl_b64 s[22:23], s[22:23], 1
	v_mad_u32_u24 v3, 0x60, v11, v3
	s_waitcnt lgkmcnt(0)
	s_add_u32 s4, s18, s22
	s_addc_u32 s11, s19, s23
	s_ashr_i32 s17, s16, 31
	s_delay_alu instid0(SALU_CYCLE_1) | instskip(NEXT) | instid1(SALU_CYCLE_1)
	s_lshl_b64 s[18:19], s[16:17], 1
	s_add_u32 s18, s4, s18
	s_addc_u32 s19, s11, s19
	global_load_b64 v[1:2], v9, s[18:19]
	s_waitcnt vmcnt(0)
	ds_store_b64 v3, v[1:2]
.LBB104_5:
	s_or_b32 exec_lo, exec_lo, s7
	s_add_i32 s4, s15, 15
	s_lshl_b32 s7, s12, 5
	s_ashr_i32 s11, s4, 31
	s_xor_b32 s2, s2, s3
	s_lshr_b32 s11, s11, 28
	s_add_i32 s3, s7, 32
	s_add_i32 s4, s4, s11
	s_clause 0x1
	s_load_b64 s[22:23], s[0:1], 0x38
	s_load_b32 s11, s[0:1], 0x48
	s_ashr_i32 s21, s4, 4
	s_mul_i32 s4, s9, s8
	s_min_i32 s17, s3, s21
	s_sub_i32 s3, s10, s4
	s_add_i32 s4, s9, 1
	s_sub_i32 s10, s3, s8
	s_cmp_ge_u32 s3, s8
	v_lshrrev_b32_e32 v12, 5, v0
	s_cselect_b32 s4, s4, s9
	s_cselect_b32 s3, s10, s3
	s_add_i32 s9, s4, 1
	s_cmp_ge_u32 s3, s8
	v_or_b32_e32 v5, s7, v12
	s_cselect_b32 s3, s9, s4
	v_mbcnt_lo_u32_b32 v16, -1, 0
	s_xor_b32 s3, s3, s2
	s_mov_b32 s4, exec_lo
	s_sub_i32 s3, s3, s2
	v_cmp_gt_i32_e64 s2, s17, v5
	s_waitcnt lgkmcnt(0)
	s_mul_i32 s24, s14, s11
	s_delay_alu instid0(SALU_CYCLE_1)
	s_ashr_i32 s25, s24, 31
	s_barrier
	buffer_gl0_inv
                                        ; implicit-def: $sgpr28
                                        ; implicit-def: $vgpr15
	v_cmpx_le_i32_e64 s17, v5
	s_xor_b32 s4, exec_lo, s4
; %bb.6:
	v_mbcnt_lo_u32_b32 v16, -1, 0
	v_mov_b32_e32 v15, 32
	s_mov_b32 s28, 0xff7fffff
; %bb.7:
	s_or_saveexec_b32 s34, s4
	s_clause 0x3
	s_load_b128 s[8:11], s[0:1], 0x0
	s_load_b64 s[18:19], s[0:1], 0x10
	s_load_b64 s[26:27], s[0:1], 0x28
	s_load_b32 s4, s[0:1], 0x98
	v_dual_mov_b32 v14, s28 :: v_dual_lshlrev_b32 v13, 4, v12
	v_ashrrev_i32_e32 v6, 31, v5
	s_mul_i32 s28, s3, s6
	s_xor_b32 exec_lo, exec_lo, s34
	s_cbranch_execz .LBB104_13
; %bb.8:
	s_load_b64 s[36:37], s[0:1], 0x20
	v_bfe_u32 v3, v0, 1, 4
	s_ashr_i32 s29, s28, 31
	v_dual_mov_b32 v15, 32 :: v_dual_and_b32 v4, 8, v9
	s_lshl_b64 s[38:39], s[28:29], 1
	s_delay_alu instid0(VALU_DEP_2) | instskip(SKIP_2) | instid1(VALU_DEP_3)
	v_dual_mov_b32 v14, 0xff7fffff :: v_dual_lshlrev_b32 v1, 2, v3
	v_dual_mov_b32 v23, v5 :: v_dual_lshlrev_b32 v8, 4, v3
	v_add3_u32 v18, s33, v13, v3
	v_lshl_or_b32 v7, v12, 6, v1
	v_lshlrev_b64 v[1:2], 2, v[5:6]
	v_mul_u32_u24_e32 v17, 0x60, v11
	v_cmp_eq_u32_e32 vcc_lo, 0, v11
	v_cmp_neq_f32_e64 s0, s30, 0
	v_add_nc_u32_e32 v19, 0xe0, v7
	v_xor_b32_e32 v22, 1, v16
	s_mov_b32 s35, s5
	s_waitcnt lgkmcnt(0)
	s_add_u32 s1, s36, s38
	s_addc_u32 s3, s37, s39
	v_add_co_u32 v3, s1, s1, v8
	s_delay_alu instid0(VALU_DEP_1) | instskip(SKIP_2) | instid1(VALU_DEP_2)
	v_add_co_ci_u32_e64 v7, null, s3, 0, s1
	s_lshl_b64 s[36:37], s[24:25], 2
	s_sub_i32 s6, 1, s15
	v_add_co_u32 v20, s1, v3, v4
	s_add_u32 s3, s22, s36
	v_add_co_ci_u32_e64 v21, s1, 0, v7, s1
	s_addc_u32 s29, s23, s37
	v_add_co_u32 v1, s1, s3, v1
	s_delay_alu instid0(VALU_DEP_1)
	v_add_co_ci_u32_e64 v2, s1, s29, v2, s1
	s_mov_b32 s29, 0
	s_branch .LBB104_10
.LBB104_9:                              ;   in Loop: Header=BB104_10 Depth=1
	s_or_b32 exec_lo, exec_lo, s3
	v_add_nc_u32_e32 v23, 4, v23
	v_add_co_u32 v1, s3, v1, 16
	v_add_nc_u32_e32 v18, 64, v18
	v_add_nc_u32_e32 v19, 0x100, v19
	s_delay_alu instid0(VALU_DEP_4) | instskip(SKIP_1) | instid1(VALU_DEP_2)
	v_cmp_le_i32_e64 s1, s17, v23
	v_add_co_ci_u32_e64 v2, s3, 0, v2, s3
	s_or_b32 s29, s1, s29
	s_delay_alu instid0(SALU_CYCLE_1)
	s_and_not1_b32 exec_lo, exec_lo, s29
	s_cbranch_execz .LBB104_12
.LBB104_10:                             ; =>This Inner Loop Header: Depth=1
	global_load_b32 v7, v[1:2], off
	s_waitcnt vmcnt(0) lgkmcnt(0)
	v_mad_i64_i32 v[3:4], null, v7, s35, 0
	s_delay_alu instid0(VALU_DEP_1) | instskip(NEXT) | instid1(VALU_DEP_1)
	v_lshlrev_b64 v[3:4], 1, v[3:4]
	v_add_co_u32 v3, s1, v20, v3
	s_delay_alu instid0(VALU_DEP_1)
	v_add_co_ci_u32_e64 v4, s1, v21, v4, s1
	v_cmp_gt_i32_e64 s1, 32, v22
	s_clause 0xb
	global_load_b64 v[24:25], v[3:4], off
	global_load_b64 v[26:27], v[3:4], off offset:256
	global_load_b64 v[28:29], v[3:4], off offset:512
	;; [unrolled: 1-line block ×11, first 2 shown]
	ds_load_b64 v[44:45], v17
	s_waitcnt lgkmcnt(0)
	v_and_b32_e32 v46, 0xffff, v44
	v_lshrrev_b32_e32 v44, 16, v44
	v_lshrrev_b32_e32 v47, 16, v45
	v_and_b32_e32 v45, 0xffff, v45
	;;#ASMSTART
	v_cvt_f32_f16 v46, v46;
	;;#ASMEND
	;;#ASMSTART
	v_cvt_f32_f16 v44, v44;
	;;#ASMEND
	s_waitcnt vmcnt(11)
	v_and_b32_e32 v48, 0xffff, v24
	v_lshrrev_b32_e32 v24, 16, v24
	v_lshrrev_b32_e32 v49, 16, v25
	v_and_b32_e32 v25, 0xffff, v25
	;;#ASMSTART
	v_cvt_f32_f16 v48, v48;
	;;#ASMEND
	;;#ASMSTART
	v_cvt_f32_f16 v50, v24;
	;;#ASMEND
	;; [unrolled: 3-line block ×6, first 2 shown]
	ds_load_b64 v[24:25], v17 offset:8
	s_waitcnt vmcnt(10)
	v_lshrrev_b32_e32 v52, 16, v26
	v_and_b32_e32 v26, 0xffff, v26
	v_lshrrev_b32_e32 v53, 16, v27
	s_waitcnt vmcnt(9)
	v_lshrrev_b32_e32 v58, 16, v28
	v_lshrrev_b32_e32 v59, 16, v29
	s_waitcnt vmcnt(8)
	v_lshrrev_b32_e32 v64, 16, v30
	;; [unrolled: 3-line block ×8, first 2 shown]
	v_lshrrev_b32_e32 v101, 16, v43
	s_waitcnt lgkmcnt(0)
	v_and_b32_e32 v54, 0xffff, v24
	v_lshrrev_b32_e32 v24, 16, v24
	;;#ASMSTART
	v_cvt_f32_f16 v54, v54;
	;;#ASMEND
	;;#ASMSTART
	v_cvt_f32_f16 v56, v24;
	;;#ASMEND
	;; [unrolled: 3-line block ×4, first 2 shown]
	v_mul_f32_e32 v26, v54, v26
	v_dual_mul_f32 v52, v56, v52 :: v_dual_and_b32 v27, 0xffff, v27
	v_lshrrev_b32_e32 v55, 16, v25
	s_delay_alu instid0(VALU_DEP_3) | instskip(NEXT) | instid1(VALU_DEP_3)
	v_dual_fmac_f32 v26, v46, v48 :: v_dual_and_b32 v25, 0xffff, v25
	v_fmac_f32_e32 v52, v44, v50
	;;#ASMSTART
	v_cvt_f32_f16 v57, v25;
	;;#ASMEND
	;;#ASMSTART
	v_cvt_f32_f16 v55, v55;
	;;#ASMEND
	;; [unrolled: 3-line block ×4, first 2 shown]
	ds_load_b64 v[24:25], v17 offset:16
	v_mul_f32_e32 v27, v57, v27
	v_mul_f32_e32 v53, v55, v53
	s_waitcnt vmcnt(1)
	v_lshrrev_b32_e32 v54, 16, v7
	s_delay_alu instid0(VALU_DEP_3)
	v_dual_fmac_f32 v27, v45, v51 :: v_dual_and_b32 v28, 0xffff, v28
	s_waitcnt lgkmcnt(0)
	v_dual_fmac_f32 v53, v47, v49 :: v_dual_and_b32 v60, 0xffff, v24
	v_lshrrev_b32_e32 v24, 16, v24
	v_lshrrev_b32_e32 v61, 16, v25
	;;#ASMSTART
	v_cvt_f32_f16 v60, v60;
	;;#ASMEND
	;;#ASMSTART
	v_cvt_f32_f16 v62, v24;
	;;#ASMEND
	;; [unrolled: 3-line block ×3, first 2 shown]
	v_dual_fmac_f32 v26, v60, v28 :: v_dual_and_b32 v29, 0xffff, v29
	;;#ASMSTART
	v_cvt_f32_f16 v58, v58;
	;;#ASMEND
	v_dual_fmac_f32 v52, v62, v58 :: v_dual_and_b32 v25, 0xffff, v25
	;;#ASMSTART
	v_cvt_f32_f16 v63, v25;
	;;#ASMEND
	;;#ASMSTART
	v_cvt_f32_f16 v61, v61;
	;;#ASMEND
	;; [unrolled: 3-line block ×4, first 2 shown]
	ds_load_b64 v[24:25], v17 offset:24
	v_dual_fmac_f32 v27, v63, v29 :: v_dual_and_b32 v30, 0xffff, v30
	v_fmac_f32_e32 v53, v61, v59
	v_lshrrev_b32_e32 v29, 16, v8
	s_waitcnt lgkmcnt(0)
	v_and_b32_e32 v66, 0xffff, v24
	v_lshrrev_b32_e32 v24, 16, v24
	v_lshrrev_b32_e32 v67, 16, v25
	;;#ASMSTART
	v_cvt_f32_f16 v66, v66;
	;;#ASMEND
	;;#ASMSTART
	v_cvt_f32_f16 v68, v24;
	;;#ASMEND
	;; [unrolled: 3-line block ×3, first 2 shown]
	v_dual_fmac_f32 v26, v66, v30 :: v_dual_and_b32 v31, 0xffff, v31
	;;#ASMSTART
	v_cvt_f32_f16 v64, v64;
	;;#ASMEND
	v_dual_fmac_f32 v52, v68, v64 :: v_dual_and_b32 v25, 0xffff, v25
	;;#ASMSTART
	v_cvt_f32_f16 v69, v25;
	;;#ASMEND
	;;#ASMSTART
	v_cvt_f32_f16 v67, v67;
	;;#ASMEND
	;; [unrolled: 3-line block ×4, first 2 shown]
	ds_load_b64 v[24:25], v17 offset:32
	v_dual_fmac_f32 v27, v69, v31 :: v_dual_and_b32 v32, 0xffff, v32
	v_fmac_f32_e32 v53, v67, v65
	s_waitcnt vmcnt(0)
	v_lshrrev_b32_e32 v30, 16, v3
	s_waitcnt lgkmcnt(0)
	v_and_b32_e32 v72, 0xffff, v24
	v_lshrrev_b32_e32 v24, 16, v24
	v_lshrrev_b32_e32 v73, 16, v25
	;;#ASMSTART
	v_cvt_f32_f16 v72, v72;
	;;#ASMEND
	;;#ASMSTART
	v_cvt_f32_f16 v74, v24;
	;;#ASMEND
	;; [unrolled: 3-line block ×3, first 2 shown]
	v_dual_fmac_f32 v26, v72, v32 :: v_dual_and_b32 v33, 0xffff, v33
	;;#ASMSTART
	v_cvt_f32_f16 v70, v70;
	;;#ASMEND
	v_dual_fmac_f32 v52, v74, v70 :: v_dual_and_b32 v25, 0xffff, v25
	;;#ASMSTART
	v_cvt_f32_f16 v75, v25;
	;;#ASMEND
	;;#ASMSTART
	v_cvt_f32_f16 v73, v73;
	;;#ASMEND
	;; [unrolled: 3-line block ×4, first 2 shown]
	ds_load_b64 v[24:25], v17 offset:40
	v_dual_fmac_f32 v27, v75, v33 :: v_dual_and_b32 v34, 0xffff, v34
	s_waitcnt lgkmcnt(0)
	v_dual_fmac_f32 v53, v73, v71 :: v_dual_and_b32 v78, 0xffff, v24
	v_lshrrev_b32_e32 v24, 16, v24
	v_lshrrev_b32_e32 v79, 16, v25
	;;#ASMSTART
	v_cvt_f32_f16 v78, v78;
	;;#ASMEND
	;;#ASMSTART
	v_cvt_f32_f16 v80, v24;
	;;#ASMEND
	;; [unrolled: 3-line block ×3, first 2 shown]
	v_dual_fmac_f32 v26, v78, v34 :: v_dual_and_b32 v35, 0xffff, v35
	;;#ASMSTART
	v_cvt_f32_f16 v76, v76;
	;;#ASMEND
	v_dual_fmac_f32 v52, v80, v76 :: v_dual_and_b32 v25, 0xffff, v25
	;;#ASMSTART
	v_cvt_f32_f16 v81, v25;
	;;#ASMEND
	;;#ASMSTART
	v_cvt_f32_f16 v79, v79;
	;;#ASMEND
	;; [unrolled: 3-line block ×4, first 2 shown]
	ds_load_b64 v[24:25], v17 offset:48
	v_dual_fmac_f32 v27, v81, v35 :: v_dual_and_b32 v36, 0xffff, v36
	s_waitcnt lgkmcnt(0)
	v_dual_fmac_f32 v53, v79, v77 :: v_dual_and_b32 v84, 0xffff, v24
	v_lshrrev_b32_e32 v24, 16, v24
	v_lshrrev_b32_e32 v85, 16, v25
	;;#ASMSTART
	v_cvt_f32_f16 v84, v84;
	;;#ASMEND
	;;#ASMSTART
	v_cvt_f32_f16 v86, v24;
	;;#ASMEND
	;; [unrolled: 3-line block ×3, first 2 shown]
	v_dual_fmac_f32 v26, v84, v36 :: v_dual_and_b32 v37, 0xffff, v37
	;;#ASMSTART
	v_cvt_f32_f16 v82, v82;
	;;#ASMEND
	v_dual_fmac_f32 v52, v86, v82 :: v_dual_and_b32 v25, 0xffff, v25
	;;#ASMSTART
	v_cvt_f32_f16 v87, v25;
	;;#ASMEND
	;;#ASMSTART
	v_cvt_f32_f16 v85, v85;
	;;#ASMEND
	;; [unrolled: 3-line block ×4, first 2 shown]
	ds_load_b64 v[24:25], v17 offset:56
	v_dual_fmac_f32 v27, v87, v37 :: v_dual_and_b32 v38, 0xffff, v38
	v_fmac_f32_e32 v53, v85, v83
	v_lshrrev_b32_e32 v36, 16, v4
	v_and_b32_e32 v4, 0xffff, v4
	s_waitcnt lgkmcnt(0)
	v_and_b32_e32 v90, 0xffff, v24
	v_lshrrev_b32_e32 v24, 16, v24
	v_lshrrev_b32_e32 v91, 16, v25
	;;#ASMSTART
	v_cvt_f32_f16 v90, v90;
	;;#ASMEND
	;;#ASMSTART
	v_cvt_f32_f16 v92, v24;
	;;#ASMEND
	;; [unrolled: 3-line block ×3, first 2 shown]
	v_dual_fmac_f32 v26, v90, v38 :: v_dual_and_b32 v39, 0xffff, v39
	;;#ASMSTART
	v_cvt_f32_f16 v88, v88;
	;;#ASMEND
	v_dual_fmac_f32 v52, v92, v88 :: v_dual_and_b32 v25, 0xffff, v25
	;;#ASMSTART
	v_cvt_f32_f16 v93, v25;
	;;#ASMEND
	;;#ASMSTART
	v_cvt_f32_f16 v91, v91;
	;;#ASMEND
	;; [unrolled: 3-line block ×4, first 2 shown]
	ds_load_b64 v[24:25], v17 offset:64
	v_dual_fmac_f32 v27, v93, v39 :: v_dual_and_b32 v40, 0xffff, v40
	s_waitcnt lgkmcnt(0)
	v_dual_fmac_f32 v53, v91, v89 :: v_dual_and_b32 v96, 0xffff, v24
	v_lshrrev_b32_e32 v24, 16, v24
	v_lshrrev_b32_e32 v97, 16, v25
	;;#ASMSTART
	v_cvt_f32_f16 v96, v96;
	;;#ASMEND
	;;#ASMSTART
	v_cvt_f32_f16 v98, v24;
	;;#ASMEND
	;; [unrolled: 3-line block ×3, first 2 shown]
	v_dual_fmac_f32 v26, v96, v40 :: v_dual_and_b32 v41, 0xffff, v41
	;;#ASMSTART
	v_cvt_f32_f16 v94, v94;
	;;#ASMEND
	v_dual_fmac_f32 v52, v98, v94 :: v_dual_and_b32 v25, 0xffff, v25
	;;#ASMSTART
	v_cvt_f32_f16 v99, v25;
	;;#ASMEND
	;;#ASMSTART
	v_cvt_f32_f16 v97, v97;
	;;#ASMEND
	;; [unrolled: 3-line block ×4, first 2 shown]
	ds_load_b64 v[24:25], v17 offset:72
	v_dual_fmac_f32 v27, v99, v41 :: v_dual_and_b32 v42, 0xffff, v42
	s_waitcnt lgkmcnt(0)
	v_dual_fmac_f32 v53, v97, v95 :: v_dual_and_b32 v28, 0xffff, v24
	v_lshrrev_b32_e32 v24, 16, v24
	v_lshrrev_b32_e32 v44, 16, v25
	;;#ASMSTART
	v_cvt_f32_f16 v28, v28;
	;;#ASMEND
	;;#ASMSTART
	v_cvt_f32_f16 v45, v24;
	;;#ASMEND
	;; [unrolled: 3-line block ×3, first 2 shown]
	v_dual_fmac_f32 v26, v28, v42 :: v_dual_and_b32 v43, 0xffff, v43
	;;#ASMSTART
	v_cvt_f32_f16 v46, v100;
	;;#ASMEND
	v_dual_fmac_f32 v52, v45, v46 :: v_dual_and_b32 v7, 0xffff, v7
	v_and_b32_e32 v25, 0xffff, v25
	;;#ASMSTART
	v_cvt_f32_f16 v47, v25;
	;;#ASMEND
	;;#ASMSTART
	v_cvt_f32_f16 v44, v44;
	;;#ASMEND
	;; [unrolled: 3-line block ×4, first 2 shown]
	ds_load_b64 v[24:25], v17 offset:80
	v_fmac_f32_e32 v53, v44, v48
	v_fmac_f32_e32 v27, v47, v43
	s_waitcnt lgkmcnt(0)
	v_and_b32_e32 v31, 0xffff, v24
	v_lshrrev_b32_e32 v24, 16, v24
	v_lshrrev_b32_e32 v32, 16, v25
	;;#ASMSTART
	v_cvt_f32_f16 v31, v31;
	;;#ASMEND
	;;#ASMSTART
	v_cvt_f32_f16 v24, v24;
	;;#ASMEND
	;; [unrolled: 3-line block ×4, first 2 shown]
	v_dual_fmac_f32 v52, v24, v34 :: v_dual_and_b32 v25, 0xffff, v25
	;;#ASMSTART
	v_cvt_f32_f16 v25, v25;
	;;#ASMEND
	;;#ASMSTART
	v_cvt_f32_f16 v32, v32;
	;;#ASMEND
	v_and_b32_e32 v8, 0xffff, v8
	;;#ASMSTART
	v_cvt_f32_f16 v35, v8;
	;;#ASMEND
	;;#ASMSTART
	v_cvt_f32_f16 v29, v29;
	;;#ASMEND
	ds_load_b64 v[7:8], v17 offset:88
	v_dual_fmac_f32 v26, v31, v33 :: v_dual_and_b32 v3, 0xffff, v3
	v_fmac_f32_e32 v27, v25, v35
	s_waitcnt lgkmcnt(0)
	v_and_b32_e32 v24, 0xffff, v7
	v_lshrrev_b32_e32 v7, 16, v7
	;;#ASMSTART
	v_cvt_f32_f16 v24, v24;
	;;#ASMEND
	;;#ASMSTART
	v_cvt_f32_f16 v7, v7;
	;;#ASMEND
	;; [unrolled: 3-line block ×4, first 2 shown]
	v_fmac_f32_e32 v26, v24, v3
	v_fmac_f32_e32 v52, v7, v28
	v_lshrrev_b32_e32 v25, 16, v8
	v_and_b32_e32 v8, 0xffff, v8
	;;#ASMSTART
	v_cvt_f32_f16 v3, v8;
	;;#ASMEND
	v_fmac_f32_e32 v53, v32, v29
	;;#ASMSTART
	v_cvt_f32_f16 v7, v25;
	;;#ASMEND
	;;#ASMSTART
	v_cvt_f32_f16 v4, v4;
	;;#ASMEND
	v_fmac_f32_e32 v27, v3, v4
	v_add_f32_e32 v3, v26, v52
	;;#ASMSTART
	v_cvt_f32_f16 v4, v36;
	;;#ASMEND
	v_fmac_f32_e32 v53, v7, v4
	v_cndmask_b32_e64 v4, v16, v22, s1
	s_delay_alu instid0(VALU_DEP_1) | instskip(NEXT) | instid1(VALU_DEP_1)
	v_dual_add_f32 v3, v3, v27 :: v_dual_lshlrev_b32 v4, 2, v4
	v_add_f32_e32 v3, v53, v3
	ds_bpermute_b32 v4, v4, v3
	s_and_saveexec_b32 s3, vcc_lo
	s_cbranch_execz .LBB104_9
; %bb.11:                               ;   in Loop: Header=BB104_10 Depth=1
	s_waitcnt lgkmcnt(0)
	v_add_f32_e32 v3, v3, v4
	v_add_nc_u32_e32 v7, s6, v18
	v_cmp_gt_i32_e64 s1, s15, v18
	s_delay_alu instid0(VALU_DEP_2) | instskip(NEXT) | instid1(VALU_DEP_1)
	v_cvt_f32_i32_e32 v7, v7
	v_mul_f32_e32 v7, s30, v7
	s_delay_alu instid0(VALU_DEP_1) | instskip(NEXT) | instid1(VALU_DEP_1)
	v_cndmask_b32_e64 v4, 0, v7, s0
	v_dual_max_f32 v7, v14, v14 :: v_dual_fmac_f32 v4, s31, v3
	s_delay_alu instid0(VALU_DEP_1) | instskip(SKIP_1) | instid1(VALU_DEP_2)
	v_max_f32_e32 v3, v7, v4
	v_cndmask_b32_e64 v4, 0, v4, s1
	v_cndmask_b32_e64 v14, v14, v3, s1
	ds_store_b32 v19, v4
	s_branch .LBB104_9
.LBB104_12:
	s_or_b32 exec_lo, exec_lo, s29
.LBB104_13:
	s_delay_alu instid0(SALU_CYCLE_1) | instskip(SKIP_4) | instid1(VALU_DEP_4)
	s_or_b32 exec_lo, exec_lo, s34
	v_xor_b32_e32 v1, 16, v16
	v_xor_b32_e32 v2, 8, v16
	v_max_f32_e32 v7, v14, v14
	v_lshlrev_b32_e32 v17, 2, v12
	v_cmp_lt_i32_e32 vcc_lo, v1, v15
	v_cndmask_b32_e32 v1, v16, v1, vcc_lo
	v_cmp_lt_i32_e32 vcc_lo, v2, v15
	v_cndmask_b32_e32 v2, v16, v2, vcc_lo
	s_waitcnt lgkmcnt(0)
	s_delay_alu instid0(VALU_DEP_1) | instskip(SKIP_4) | instid1(VALU_DEP_1)
	v_lshlrev_b32_e32 v4, 2, v2
	v_lshlrev_b32_e32 v3, 2, v1
	ds_bpermute_b32 v1, v3, v14
	s_waitcnt lgkmcnt(0)
	v_dual_max_f32 v1, v1, v1 :: v_dual_and_b32 v14, 31, v0
	v_max_f32_e32 v1, v7, v1
	v_xor_b32_e32 v7, 4, v16
	s_delay_alu instid0(VALU_DEP_1) | instskip(SKIP_1) | instid1(VALU_DEP_1)
	v_cmp_lt_i32_e32 vcc_lo, v7, v15
	v_cndmask_b32_e32 v7, v16, v7, vcc_lo
	v_lshlrev_b32_e32 v8, 2, v7
	ds_bpermute_b32 v2, v4, v1
	v_xor_b32_e32 v7, 2, v16
	s_delay_alu instid0(VALU_DEP_1) | instskip(SKIP_4) | instid1(VALU_DEP_1)
	v_cmp_lt_i32_e32 vcc_lo, v7, v15
	v_cndmask_b32_e32 v7, v16, v7, vcc_lo
	v_cmp_eq_u32_e32 vcc_lo, 0, v14
	s_waitcnt lgkmcnt(0)
	v_max_f32_e32 v2, v2, v2
	v_max_f32_e32 v1, v1, v2
	ds_bpermute_b32 v2, v8, v1
	s_waitcnt lgkmcnt(0)
	v_max_f32_e32 v2, v2, v2
	s_delay_alu instid0(VALU_DEP_1)
	v_dual_max_f32 v1, v1, v2 :: v_dual_lshlrev_b32 v2, 2, v7
	ds_bpermute_b32 v7, v2, v1
	s_and_saveexec_b32 s0, vcc_lo
	s_cbranch_execz .LBB104_15
; %bb.14:
	s_waitcnt lgkmcnt(0)
	v_max_f32_e32 v7, v7, v7
	v_max_f32_e32 v1, v1, v1
	s_delay_alu instid0(VALU_DEP_1)
	v_max_f32_e32 v1, v1, v7
	ds_store_b32 v17, v1 offset:192
.LBB104_15:
	s_or_b32 exec_lo, exec_lo, s0
	v_cmp_gt_u32_e64 s0, 4, v14
	v_dual_mov_b32 v1, 0xff7fffff :: v_dual_lshlrev_b32 v18, 2, v14
	s_waitcnt lgkmcnt(0)
	s_barrier
	buffer_gl0_inv
	s_and_saveexec_b32 s1, s0
	s_cbranch_execz .LBB104_17
; %bb.16:
	ds_load_b32 v1, v18 offset:192
.LBB104_17:
	s_or_b32 exec_lo, exec_lo, s1
	s_waitcnt lgkmcnt(0)
	ds_bpermute_b32 v7, v2, v1
	v_xor_b32_e32 v19, 1, v16
	v_max_f32_e32 v1, v1, v1
	s_delay_alu instid0(VALU_DEP_2) | instskip(NEXT) | instid1(VALU_DEP_1)
	v_cmp_lt_i32_e64 s1, v19, v15
	v_cndmask_b32_e64 v15, v16, v19, s1
	v_lshlrev_b32_e32 v16, 2, v16
	s_sub_i32 s1, s17, s7
	v_mov_b32_e32 v19, 0
	s_lshl_b32 s1, s1, 4
	v_lshlrev_b32_e32 v15, 2, v15
	s_add_i32 s1, s1, s33
	v_and_b32_e32 v16, 0xffffff80, v16
	s_min_i32 s1, s1, s15
	s_waitcnt lgkmcnt(0)
	v_max_f32_e32 v7, v7, v7
	s_sub_i32 s6, s1, s33
	s_delay_alu instid0(SALU_CYCLE_1) | instskip(NEXT) | instid1(VALU_DEP_2)
	v_cmp_gt_i32_e64 s1, s6, v0
	v_max_f32_e32 v1, v1, v7
	ds_bpermute_b32 v7, v15, v1
	s_waitcnt lgkmcnt(0)
	v_max_f32_e32 v7, v7, v7
	s_delay_alu instid0(VALU_DEP_1)
	v_max_f32_e32 v1, v1, v7
	v_lshl_add_u32 v7, v0, 2, 0xe0
	ds_bpermute_b32 v1, v16, v1
	s_and_saveexec_b32 s7, s1
	s_cbranch_execz .LBB104_21
; %bb.18:
	v_lshl_add_u32 v20, v0, 2, 0xe0
	v_mov_b32_e32 v19, 0
	v_mov_b32_e32 v21, v0
	s_mov_b32 s29, 0
	.p2align	6
.LBB104_19:                             ; =>This Inner Loop Header: Depth=1
	ds_load_b32 v22, v20
	v_add_nc_u32_e32 v21, 0x80, v21
	s_delay_alu instid0(VALU_DEP_1) | instskip(NEXT) | instid1(VALU_DEP_1)
	v_cmp_le_i32_e64 s3, s6, v21
	s_or_b32 s29, s3, s29
	s_waitcnt lgkmcnt(0)
	v_sub_f32_e32 v22, v22, v1
	s_delay_alu instid0(VALU_DEP_1) | instskip(NEXT) | instid1(VALU_DEP_1)
	v_mul_f32_e32 v22, 0x3fb8aa3b, v22
	v_exp_f32_e32 v22, v22
	ds_store_b32 v20, v22
	v_dual_add_f32 v19, v19, v22 :: v_dual_add_nc_u32 v20, 0x200, v20
	s_and_not1_b32 exec_lo, exec_lo, s29
	s_cbranch_execnz .LBB104_19
; %bb.20:
	s_or_b32 exec_lo, exec_lo, s29
.LBB104_21:
	s_delay_alu instid0(SALU_CYCLE_1)
	s_or_b32 exec_lo, exec_lo, s7
	ds_bpermute_b32 v3, v3, v19
	s_waitcnt lgkmcnt(0)
	v_add_f32_e32 v3, v19, v3
	ds_bpermute_b32 v4, v4, v3
	s_waitcnt lgkmcnt(0)
	v_add_f32_e32 v3, v3, v4
	;; [unrolled: 3-line block ×5, first 2 shown]
	s_and_saveexec_b32 s3, vcc_lo
	s_cbranch_execz .LBB104_23
; %bb.22:
	ds_store_b32 v17, v3 offset:208
.LBB104_23:
	s_or_b32 exec_lo, exec_lo, s3
	s_waitcnt lgkmcnt(0)
	s_barrier
	buffer_gl0_inv
	s_and_saveexec_b32 s3, s0
	s_cbranch_execz .LBB104_25
; %bb.24:
	ds_load_b32 v3, v18 offset:208
.LBB104_25:
	s_or_b32 exec_lo, exec_lo, s3
	s_waitcnt lgkmcnt(0)
	ds_bpermute_b32 v2, v2, v3
	s_waitcnt lgkmcnt(0)
	v_add_f32_e32 v2, v3, v2
	ds_bpermute_b32 v3, v15, v2
	s_waitcnt lgkmcnt(0)
	v_add_f32_e32 v2, v2, v3
	ds_bpermute_b32 v2, v16, v2
	s_and_saveexec_b32 s0, s1
	s_cbranch_execz .LBB104_28
; %bb.26:
	s_waitcnt lgkmcnt(0)
	v_add_f32_e32 v3, 0x358637bd, v2
	s_mov_b32 s1, 0
	s_delay_alu instid0(VALU_DEP_1) | instskip(NEXT) | instid1(VALU_DEP_1)
	v_div_scale_f32 v4, null, v3, v3, 1.0
	v_rcp_f32_e32 v8, v4
	s_waitcnt_depctr 0xfff
	v_fma_f32 v16, -v4, v8, 1.0
	s_delay_alu instid0(VALU_DEP_1) | instskip(SKIP_1) | instid1(VALU_DEP_1)
	v_fmac_f32_e32 v8, v16, v8
	v_div_scale_f32 v17, vcc_lo, 1.0, v3, 1.0
	v_mul_f32_e32 v16, v17, v8
	s_delay_alu instid0(VALU_DEP_1) | instskip(NEXT) | instid1(VALU_DEP_1)
	v_fma_f32 v18, -v4, v16, v17
	v_fmac_f32_e32 v16, v18, v8
	s_delay_alu instid0(VALU_DEP_1) | instskip(NEXT) | instid1(VALU_DEP_1)
	v_fma_f32 v4, -v4, v16, v17
	v_div_fmas_f32 v4, v4, v8, v16
	s_delay_alu instid0(VALU_DEP_1)
	v_div_fixup_f32 v3, v4, v3, 1.0
	v_mov_b32_e32 v4, v0
.LBB104_27:                             ; =>This Inner Loop Header: Depth=1
	ds_load_b32 v8, v7
	v_add_nc_u32_e32 v4, 0x80, v4
	s_delay_alu instid0(VALU_DEP_1)
	v_cmp_le_i32_e32 vcc_lo, s6, v4
	s_or_b32 s1, vcc_lo, s1
	s_waitcnt lgkmcnt(0)
	v_mul_f32_e32 v8, v3, v8
	ds_store_b32 v7, v8
	v_add_nc_u32_e32 v7, 0x200, v7
	s_and_not1_b32 exec_lo, exec_lo, s1
	s_cbranch_execnz .LBB104_27
.LBB104_28:
	s_or_b32 exec_lo, exec_lo, s0
	s_mul_i32 s0, s4, s14
	s_waitcnt lgkmcnt(0)
	s_mul_i32 s6, s0, s13
	s_mov_b32 s0, exec_lo
	s_barrier
	buffer_gl0_inv
	v_cmpx_eq_u32_e32 0, v0
	s_cbranch_execz .LBB104_30
; %bb.29:
	s_ashr_i32 s7, s6, 31
	s_mul_i32 s34, s4, s20
	s_lshl_b64 s[30:31], s[6:7], 2
	v_mov_b32_e32 v3, 0
	s_add_u32 s1, s10, s30
	s_addc_u32 s3, s11, s31
	s_ashr_i32 s35, s34, 31
	s_delay_alu instid0(SALU_CYCLE_1) | instskip(NEXT) | instid1(SALU_CYCLE_1)
	s_lshl_b64 s[10:11], s[34:35], 2
	s_add_u32 s1, s1, s10
	s_addc_u32 s3, s3, s11
	s_ashr_i32 s13, s12, 31
	s_delay_alu instid0(SALU_CYCLE_1) | instskip(NEXT) | instid1(SALU_CYCLE_1)
	s_lshl_b64 s[34:35], s[12:13], 2
	s_add_u32 s36, s1, s34
	s_addc_u32 s37, s3, s35
	s_add_u32 s1, s8, s30
	s_addc_u32 s3, s9, s31
	;; [unrolled: 2-line block ×4, first 2 shown]
	s_clause 0x1
	global_store_b32 v3, v1, s[36:37]
	global_store_b32 v3, v2, s[8:9]
.LBB104_30:
	s_or_b32 exec_lo, exec_lo, s0
	v_dual_mov_b32 v16, 0 :: v_dual_mov_b32 v19, 0
	v_dual_mov_b32 v18, 0 :: v_dual_mov_b32 v21, 0
	;; [unrolled: 1-line block ×3, first 2 shown]
	s_mov_b32 s3, 0
	s_and_saveexec_b32 s1, s2
	s_cbranch_execz .LBB104_46
; %bb.31:
	v_dual_mov_b32 v17, 0 :: v_dual_lshlrev_b32 v2, 4, v0
	s_ashr_i32 s29, s28, 31
	v_dual_mov_b32 v20, 0 :: v_dual_and_b32 v1, 8, v9
	s_delay_alu instid0(VALU_DEP_2)
	v_dual_mov_b32 v21, 0 :: v_dual_and_b32 v2, 0x1f0, v2
	s_lshl_b64 s[8:9], s[28:29], 1
	v_dual_mov_b32 v18, 0 :: v_dual_lshlrev_b32 v3, 5, v11
	s_add_u32 s0, s26, s8
	s_addc_u32 s10, s27, s9
	v_add_co_u32 v22, s0, s0, v2
	v_add3_u32 v13, s33, v13, v1
	v_lshlrev_b64 v[1:2], 2, v[5:6]
	v_add_co_ci_u32_e64 v23, null, s10, 0, s0
	s_lshl_b64 s[10:11], s[24:25], 2
	s_add_i32 s21, s21, -1
	v_lshl_or_b32 v3, v12, 6, v3
	s_add_u32 s0, s22, s10
	s_addc_u32 s10, s23, s11
	v_add_co_u32 v6, vcc_lo, s0, v1
	s_delay_alu instid0(VALU_DEP_2)
	v_dual_mov_b32 v19, 0 :: v_dual_add_nc_u32 v24, 0xe0, v3
	v_add_co_ci_u32_e32 v7, vcc_lo, s10, v2, vcc_lo
	v_mov_b32_e32 v16, 0
	s_mov_b32 s2, s5
	s_mov_b32 s5, s15
	s_mov_b32 s7, s15
	s_mov_b32 s8, s15
	s_mov_b32 s9, s15
	s_mov_b32 s10, s15
	s_mov_b32 s11, s15
	s_mov_b32 s13, s15
	s_branch .LBB104_33
.LBB104_32:                             ;   in Loop: Header=BB104_33 Depth=1
	s_or_b32 exec_lo, exec_lo, s0
	v_dual_add_f32 v8, v36, v37 :: v_dual_add_f32 v9, v38, v39
	s_waitcnt vmcnt(0)
	;;#ASMSTART
	v_pk_mul_f16 v1, v35, v1;

	;;#ASMEND
	;;#ASMSTART
	v_pk_mul_f16 v2, v34, v2;

	;;#ASMEND
	;; [unrolled: 4-line block ×4, first 2 shown]
	;;#ASMSTART
	v_pk_add_f16 v1, v1, v2;

	;;#ASMEND
	;;#ASMSTART
	v_pk_add_f16 v1, v1, v3;

	;;#ASMEND
	v_add_f32_e32 v21, v21, v9
	;;#ASMSTART
	v_pk_add_f16 v1, v1, v4;

	;;#ASMEND
	v_dual_add_f32 v4, v42, v43 :: v_dual_add_f32 v17, v17, v8
	v_and_b32_e32 v2, 0xffff, v1
	v_add_f32_e32 v8, v44, v45
	v_lshrrev_b32_e32 v1, 16, v1
	s_delay_alu instid0(VALU_DEP_4)
	v_add_f32_e32 v19, v19, v4
	v_add_nc_u32_e32 v5, 4, v5
	;;#ASMSTART
	v_cvt_f32_f16 v2, v2;
	;;#ASMEND
	;;#ASMSTART
	v_cvt_f32_f16 v1, v1;
	;;#ASMEND
	v_dual_add_f32 v3, v40, v41 :: v_dual_add_f32 v18, v18, v8
	v_add_f32_e32 v1, v2, v1
	v_cmp_le_i32_e32 vcc_lo, s17, v5
	v_add_co_u32 v6, s0, v6, 16
	s_delay_alu instid0(VALU_DEP_4) | instskip(NEXT) | instid1(VALU_DEP_4)
	v_add_f32_e32 v20, v20, v3
	v_add_f32_e32 v16, v16, v1
	v_add_nc_u32_e32 v13, 64, v13
	v_add_nc_u32_e32 v24, 0x100, v24
	v_add_co_ci_u32_e64 v7, s0, 0, v7, s0
	s_or_b32 s3, vcc_lo, s3
	s_delay_alu instid0(SALU_CYCLE_1)
	s_and_not1_b32 exec_lo, exec_lo, s3
	s_cbranch_execz .LBB104_45
.LBB104_33:                             ; =>This Inner Loop Header: Depth=1
	global_load_b32 v29, v[6:7], off
	ds_load_2addr_b64 v[1:4], v24 offset1:1
	ds_load_2addr_b64 v[25:28], v24 offset0:2 offset1:3
	v_or_b32_e32 v30, 7, v13
	v_or_b32_e32 v31, 6, v13
	s_waitcnt lgkmcnt(1)
	;;#ASMSTART
	v_cvt_f16_f32 v34, v1;

	;;#ASMEND
	;;#ASMSTART
	v_cvt_f16_f32 v32, v2;

	;;#ASMEND
	;; [unrolled: 4-line block ×4, first 2 shown]
	s_waitcnt lgkmcnt(0)
	;;#ASMSTART
	v_cvt_f16_f32 v38, v25;

	;;#ASMEND
	;;#ASMSTART
	v_cvt_f16_f32 v36, v26;

	;;#ASMEND
	;; [unrolled: 4-line block ×4, first 2 shown]
	v_add_nc_u32_e32 v25, 1, v13
	v_or_b32_e32 v27, 3, v13
	v_or_b32_e32 v26, 2, v13
	v_or_b32_e32 v28, 4, v13
	s_waitcnt vmcnt(0)
	v_mad_i64_i32 v[8:9], null, v29, s2, 0
	v_or_b32_e32 v29, 5, v13
	s_delay_alu instid0(VALU_DEP_2) | instskip(NEXT) | instid1(VALU_DEP_1)
	v_lshlrev_b64 v[8:9], 1, v[8:9]
	v_add_co_u32 v8, vcc_lo, v22, v8
	s_delay_alu instid0(VALU_DEP_2)
	v_add_co_ci_u32_e32 v9, vcc_lo, v23, v9, vcc_lo
	v_cmp_eq_u32_e32 vcc_lo, s21, v5
	global_load_b128 v[1:4], v[8:9], off
	s_and_saveexec_b32 s14, vcc_lo
	s_cbranch_execz .LBB104_35
; %bb.34:                               ;   in Loop: Header=BB104_33 Depth=1
	v_cmp_gt_i32_e64 s0, s11, v31
	s_waitcnt vmcnt(0)
	v_lshrrev_b32_e32 v40, 16, v4
	v_lshrrev_b32_e32 v41, 16, v3
	;; [unrolled: 1-line block ×4, first 2 shown]
	v_cndmask_b32_e64 v4, 0, v4, s0
	v_cmp_gt_i32_e64 s0, s13, v30
	s_delay_alu instid0(VALU_DEP_1) | instskip(SKIP_1) | instid1(VALU_DEP_2)
	v_cndmask_b32_e64 v40, 0, v40, s0
	v_cmp_gt_i32_e64 s0, s10, v29
	v_perm_b32 v4, v40, v4, 0x5040100
	s_delay_alu instid0(VALU_DEP_2) | instskip(SKIP_1) | instid1(VALU_DEP_1)
	v_cndmask_b32_e64 v41, 0, v41, s0
	v_cmp_gt_i32_e64 s0, s9, v28
	v_cndmask_b32_e64 v3, 0, v3, s0
	v_cmp_gt_i32_e64 s0, s8, v27
	s_delay_alu instid0(VALU_DEP_2) | instskip(NEXT) | instid1(VALU_DEP_2)
	v_perm_b32 v3, v41, v3, 0x5040100
	v_cndmask_b32_e64 v42, 0, v42, s0
	v_cmp_gt_i32_e64 s0, s7, v26
	s_delay_alu instid0(VALU_DEP_1) | instskip(SKIP_1) | instid1(VALU_DEP_2)
	v_cndmask_b32_e64 v2, 0, v2, s0
	v_cmp_gt_i32_e64 s0, s5, v25
	v_perm_b32 v2, v42, v2, 0x5040100
	s_delay_alu instid0(VALU_DEP_2) | instskip(SKIP_1) | instid1(VALU_DEP_1)
	v_cndmask_b32_e64 v43, 0, v43, s0
	v_cmp_gt_i32_e64 s0, s15, v13
	v_cndmask_b32_e64 v1, 0, v1, s0
	s_delay_alu instid0(VALU_DEP_1)
	v_perm_b32 v1, v43, v1, 0x5040100
.LBB104_35:                             ;   in Loop: Header=BB104_33 Depth=1
	s_or_b32 exec_lo, exec_lo, s14
	v_and_b32_e32 v34, 0xffff, v34
	v_and_b32_e32 v40, 0xffff, v35
	;; [unrolled: 1-line block ×4, first 2 shown]
	s_delay_alu instid0(VALU_DEP_4)
	v_lshl_or_b32 v35, v32, 16, v34
	s_waitcnt vmcnt(0)
	;;#ASMSTART
	v_pk_mul_f16 v1, v35, v1;

	;;#ASMEND
	v_lshl_or_b32 v34, v33, 16, v40
	v_lshl_or_b32 v33, v36, 16, v38
	;; [unrolled: 1-line block ×3, first 2 shown]
	;;#ASMSTART
	v_pk_mul_f16 v2, v34, v2;

	;;#ASMEND
	;;#ASMSTART
	v_pk_mul_f16 v3, v33, v3;

	;;#ASMEND
	;;#ASMSTART
	v_pk_mul_f16 v4, v32, v4;

	;;#ASMEND
	;;#ASMSTART
	v_pk_add_f16 v1, v1, v2;

	;;#ASMEND
	;;#ASMSTART
	v_pk_add_f16 v1, v1, v3;

	;;#ASMEND
	;; [unrolled: 4-line block ×3, first 2 shown]
	v_and_b32_e32 v2, 0xffff, v1
	v_lshrrev_b32_e32 v1, 16, v1
	;;#ASMSTART
	v_cvt_f32_f16 v36, v2;
	;;#ASMEND
	;;#ASMSTART
	v_cvt_f32_f16 v37, v1;
	;;#ASMEND
	global_load_b128 v[1:4], v[8:9], off offset:512
	s_and_saveexec_b32 s14, vcc_lo
	s_cbranch_execz .LBB104_37
; %bb.36:                               ;   in Loop: Header=BB104_33 Depth=1
	v_cmp_gt_i32_e64 s0, s11, v31
	s_waitcnt vmcnt(0)
	v_lshrrev_b32_e32 v38, 16, v4
	v_lshrrev_b32_e32 v39, 16, v3
	;; [unrolled: 1-line block ×4, first 2 shown]
	v_cndmask_b32_e64 v4, 0, v4, s0
	v_cmp_gt_i32_e64 s0, s13, v30
	s_delay_alu instid0(VALU_DEP_1) | instskip(SKIP_1) | instid1(VALU_DEP_2)
	v_cndmask_b32_e64 v38, 0, v38, s0
	v_cmp_gt_i32_e64 s0, s10, v29
	v_perm_b32 v4, v38, v4, 0x5040100
	s_delay_alu instid0(VALU_DEP_2) | instskip(SKIP_1) | instid1(VALU_DEP_1)
	v_cndmask_b32_e64 v39, 0, v39, s0
	v_cmp_gt_i32_e64 s0, s9, v28
	v_cndmask_b32_e64 v3, 0, v3, s0
	v_cmp_gt_i32_e64 s0, s8, v27
	s_delay_alu instid0(VALU_DEP_2) | instskip(NEXT) | instid1(VALU_DEP_2)
	v_perm_b32 v3, v39, v3, 0x5040100
	v_cndmask_b32_e64 v40, 0, v40, s0
	v_cmp_gt_i32_e64 s0, s7, v26
	s_delay_alu instid0(VALU_DEP_1) | instskip(SKIP_1) | instid1(VALU_DEP_2)
	v_cndmask_b32_e64 v2, 0, v2, s0
	v_cmp_gt_i32_e64 s0, s5, v25
	v_perm_b32 v2, v40, v2, 0x5040100
	s_delay_alu instid0(VALU_DEP_2) | instskip(SKIP_1) | instid1(VALU_DEP_1)
	v_cndmask_b32_e64 v41, 0, v41, s0
	v_cmp_gt_i32_e64 s0, s15, v13
	v_cndmask_b32_e64 v1, 0, v1, s0
	s_delay_alu instid0(VALU_DEP_1)
	v_perm_b32 v1, v41, v1, 0x5040100
.LBB104_37:                             ;   in Loop: Header=BB104_33 Depth=1
	s_or_b32 exec_lo, exec_lo, s14
	s_waitcnt vmcnt(0)
	;;#ASMSTART
	v_pk_mul_f16 v1, v35, v1;

	;;#ASMEND
	;;#ASMSTART
	v_pk_mul_f16 v2, v34, v2;

	;;#ASMEND
	;; [unrolled: 4-line block ×4, first 2 shown]
	;;#ASMSTART
	v_pk_add_f16 v1, v1, v2;

	;;#ASMEND
	;;#ASMSTART
	v_pk_add_f16 v1, v1, v3;

	;;#ASMEND
	;; [unrolled: 4-line block ×3, first 2 shown]
	v_and_b32_e32 v2, 0xffff, v1
	v_lshrrev_b32_e32 v1, 16, v1
	;;#ASMSTART
	v_cvt_f32_f16 v38, v2;
	;;#ASMEND
	;;#ASMSTART
	v_cvt_f32_f16 v39, v1;
	;;#ASMEND
	global_load_b128 v[1:4], v[8:9], off offset:1024
	s_and_saveexec_b32 s14, vcc_lo
	s_cbranch_execz .LBB104_39
; %bb.38:                               ;   in Loop: Header=BB104_33 Depth=1
	v_cmp_gt_i32_e64 s0, s11, v31
	s_waitcnt vmcnt(0)
	v_lshrrev_b32_e32 v40, 16, v4
	v_lshrrev_b32_e32 v41, 16, v3
	;; [unrolled: 1-line block ×4, first 2 shown]
	v_cndmask_b32_e64 v4, 0, v4, s0
	v_cmp_gt_i32_e64 s0, s13, v30
	s_delay_alu instid0(VALU_DEP_1) | instskip(SKIP_1) | instid1(VALU_DEP_2)
	v_cndmask_b32_e64 v40, 0, v40, s0
	v_cmp_gt_i32_e64 s0, s10, v29
	v_perm_b32 v4, v40, v4, 0x5040100
	s_delay_alu instid0(VALU_DEP_2) | instskip(SKIP_1) | instid1(VALU_DEP_1)
	v_cndmask_b32_e64 v41, 0, v41, s0
	v_cmp_gt_i32_e64 s0, s9, v28
	v_cndmask_b32_e64 v3, 0, v3, s0
	v_cmp_gt_i32_e64 s0, s8, v27
	s_delay_alu instid0(VALU_DEP_2) | instskip(NEXT) | instid1(VALU_DEP_2)
	v_perm_b32 v3, v41, v3, 0x5040100
	v_cndmask_b32_e64 v42, 0, v42, s0
	v_cmp_gt_i32_e64 s0, s7, v26
	s_delay_alu instid0(VALU_DEP_1) | instskip(SKIP_1) | instid1(VALU_DEP_2)
	v_cndmask_b32_e64 v2, 0, v2, s0
	v_cmp_gt_i32_e64 s0, s5, v25
	v_perm_b32 v2, v42, v2, 0x5040100
	s_delay_alu instid0(VALU_DEP_2) | instskip(SKIP_1) | instid1(VALU_DEP_1)
	v_cndmask_b32_e64 v43, 0, v43, s0
	v_cmp_gt_i32_e64 s0, s15, v13
	v_cndmask_b32_e64 v1, 0, v1, s0
	s_delay_alu instid0(VALU_DEP_1)
	v_perm_b32 v1, v43, v1, 0x5040100
.LBB104_39:                             ;   in Loop: Header=BB104_33 Depth=1
	s_or_b32 exec_lo, exec_lo, s14
	s_waitcnt vmcnt(0)
	;;#ASMSTART
	v_pk_mul_f16 v1, v35, v1;

	;;#ASMEND
	;;#ASMSTART
	v_pk_mul_f16 v2, v34, v2;

	;;#ASMEND
	;; [unrolled: 4-line block ×4, first 2 shown]
	;;#ASMSTART
	v_pk_add_f16 v1, v1, v2;

	;;#ASMEND
	;;#ASMSTART
	v_pk_add_f16 v1, v1, v3;

	;;#ASMEND
	;; [unrolled: 4-line block ×3, first 2 shown]
	v_and_b32_e32 v2, 0xffff, v1
	v_lshrrev_b32_e32 v1, 16, v1
	;;#ASMSTART
	v_cvt_f32_f16 v40, v2;
	;;#ASMEND
	;;#ASMSTART
	v_cvt_f32_f16 v41, v1;
	;;#ASMEND
	global_load_b128 v[1:4], v[8:9], off offset:1536
	s_and_saveexec_b32 s14, vcc_lo
	s_cbranch_execz .LBB104_41
; %bb.40:                               ;   in Loop: Header=BB104_33 Depth=1
	v_cmp_gt_i32_e64 s0, s11, v31
	s_waitcnt vmcnt(0)
	v_lshrrev_b32_e32 v42, 16, v4
	v_lshrrev_b32_e32 v43, 16, v3
	;; [unrolled: 1-line block ×4, first 2 shown]
	v_cndmask_b32_e64 v4, 0, v4, s0
	v_cmp_gt_i32_e64 s0, s13, v30
	s_delay_alu instid0(VALU_DEP_1) | instskip(SKIP_1) | instid1(VALU_DEP_2)
	v_cndmask_b32_e64 v42, 0, v42, s0
	v_cmp_gt_i32_e64 s0, s10, v29
	v_perm_b32 v4, v42, v4, 0x5040100
	s_delay_alu instid0(VALU_DEP_2) | instskip(SKIP_1) | instid1(VALU_DEP_1)
	v_cndmask_b32_e64 v43, 0, v43, s0
	v_cmp_gt_i32_e64 s0, s9, v28
	v_cndmask_b32_e64 v3, 0, v3, s0
	v_cmp_gt_i32_e64 s0, s8, v27
	s_delay_alu instid0(VALU_DEP_2) | instskip(NEXT) | instid1(VALU_DEP_2)
	v_perm_b32 v3, v43, v3, 0x5040100
	v_cndmask_b32_e64 v44, 0, v44, s0
	v_cmp_gt_i32_e64 s0, s7, v26
	s_delay_alu instid0(VALU_DEP_1) | instskip(SKIP_1) | instid1(VALU_DEP_2)
	v_cndmask_b32_e64 v2, 0, v2, s0
	v_cmp_gt_i32_e64 s0, s5, v25
	v_perm_b32 v2, v44, v2, 0x5040100
	s_delay_alu instid0(VALU_DEP_2) | instskip(SKIP_1) | instid1(VALU_DEP_1)
	v_cndmask_b32_e64 v45, 0, v45, s0
	v_cmp_gt_i32_e64 s0, s15, v13
	v_cndmask_b32_e64 v1, 0, v1, s0
	s_delay_alu instid0(VALU_DEP_1)
	v_perm_b32 v1, v45, v1, 0x5040100
.LBB104_41:                             ;   in Loop: Header=BB104_33 Depth=1
	s_or_b32 exec_lo, exec_lo, s14
	s_waitcnt vmcnt(0)
	;;#ASMSTART
	v_pk_mul_f16 v1, v35, v1;

	;;#ASMEND
	;;#ASMSTART
	v_pk_mul_f16 v2, v34, v2;

	;;#ASMEND
	;; [unrolled: 4-line block ×4, first 2 shown]
	;;#ASMSTART
	v_pk_add_f16 v1, v1, v2;

	;;#ASMEND
	;;#ASMSTART
	v_pk_add_f16 v1, v1, v3;

	;;#ASMEND
	;; [unrolled: 4-line block ×3, first 2 shown]
	v_and_b32_e32 v2, 0xffff, v1
	v_lshrrev_b32_e32 v1, 16, v1
	;;#ASMSTART
	v_cvt_f32_f16 v42, v2;
	;;#ASMEND
	;;#ASMSTART
	v_cvt_f32_f16 v43, v1;
	;;#ASMEND
	global_load_b128 v[1:4], v[8:9], off offset:2048
	s_and_saveexec_b32 s14, vcc_lo
	s_cbranch_execz .LBB104_43
; %bb.42:                               ;   in Loop: Header=BB104_33 Depth=1
	v_cmp_gt_i32_e64 s0, s11, v31
	s_waitcnt vmcnt(0)
	v_lshrrev_b32_e32 v44, 16, v4
	v_lshrrev_b32_e32 v45, 16, v3
	;; [unrolled: 1-line block ×4, first 2 shown]
	v_cndmask_b32_e64 v4, 0, v4, s0
	v_cmp_gt_i32_e64 s0, s13, v30
	s_delay_alu instid0(VALU_DEP_1) | instskip(SKIP_1) | instid1(VALU_DEP_2)
	v_cndmask_b32_e64 v44, 0, v44, s0
	v_cmp_gt_i32_e64 s0, s10, v29
	v_perm_b32 v4, v44, v4, 0x5040100
	s_delay_alu instid0(VALU_DEP_2) | instskip(SKIP_1) | instid1(VALU_DEP_1)
	v_cndmask_b32_e64 v45, 0, v45, s0
	v_cmp_gt_i32_e64 s0, s9, v28
	v_cndmask_b32_e64 v3, 0, v3, s0
	v_cmp_gt_i32_e64 s0, s8, v27
	s_delay_alu instid0(VALU_DEP_2) | instskip(NEXT) | instid1(VALU_DEP_2)
	v_perm_b32 v3, v45, v3, 0x5040100
	v_cndmask_b32_e64 v46, 0, v46, s0
	v_cmp_gt_i32_e64 s0, s7, v26
	s_delay_alu instid0(VALU_DEP_1) | instskip(SKIP_1) | instid1(VALU_DEP_2)
	v_cndmask_b32_e64 v2, 0, v2, s0
	v_cmp_gt_i32_e64 s0, s5, v25
	v_perm_b32 v2, v46, v2, 0x5040100
	s_delay_alu instid0(VALU_DEP_2) | instskip(SKIP_1) | instid1(VALU_DEP_1)
	v_cndmask_b32_e64 v47, 0, v47, s0
	v_cmp_gt_i32_e64 s0, s15, v13
	v_cndmask_b32_e64 v1, 0, v1, s0
	s_delay_alu instid0(VALU_DEP_1)
	v_perm_b32 v1, v47, v1, 0x5040100
.LBB104_43:                             ;   in Loop: Header=BB104_33 Depth=1
	s_or_b32 exec_lo, exec_lo, s14
	s_waitcnt vmcnt(0)
	;;#ASMSTART
	v_pk_mul_f16 v1, v35, v1;

	;;#ASMEND
	;;#ASMSTART
	v_pk_mul_f16 v2, v34, v2;

	;;#ASMEND
	;; [unrolled: 4-line block ×4, first 2 shown]
	;;#ASMSTART
	v_pk_add_f16 v1, v1, v2;

	;;#ASMEND
	;;#ASMSTART
	v_pk_add_f16 v1, v1, v3;

	;;#ASMEND
	;; [unrolled: 4-line block ×3, first 2 shown]
	v_and_b32_e32 v2, 0xffff, v1
	v_lshrrev_b32_e32 v1, 16, v1
	;;#ASMSTART
	v_cvt_f32_f16 v44, v2;
	;;#ASMEND
	;;#ASMSTART
	v_cvt_f32_f16 v45, v1;
	;;#ASMEND
	global_load_b128 v[1:4], v[8:9], off offset:2560
	s_and_saveexec_b32 s0, vcc_lo
	s_cbranch_execz .LBB104_32
; %bb.44:                               ;   in Loop: Header=BB104_33 Depth=1
	v_cmp_gt_i32_e32 vcc_lo, s11, v31
	s_waitcnt vmcnt(0)
	v_lshrrev_b32_e32 v8, 16, v4
	v_lshrrev_b32_e32 v9, 16, v3
	v_cndmask_b32_e32 v4, 0, v4, vcc_lo
	v_cmp_gt_i32_e32 vcc_lo, s13, v30
	s_delay_alu instid0(VALU_DEP_4)
	v_cndmask_b32_e32 v8, 0, v8, vcc_lo
	v_cmp_gt_i32_e32 vcc_lo, s10, v29
	v_lshrrev_b32_e32 v29, 16, v2
	v_cndmask_b32_e32 v9, 0, v9, vcc_lo
	v_cmp_gt_i32_e32 vcc_lo, s9, v28
	v_lshrrev_b32_e32 v28, 16, v1
	v_cndmask_b32_e32 v3, 0, v3, vcc_lo
	v_cmp_gt_i32_e32 vcc_lo, s8, v27
	v_perm_b32 v4, v8, v4, 0x5040100
	s_delay_alu instid0(VALU_DEP_3) | instskip(SKIP_4) | instid1(VALU_DEP_2)
	v_perm_b32 v3, v9, v3, 0x5040100
	v_cndmask_b32_e32 v27, 0, v29, vcc_lo
	v_cmp_gt_i32_e32 vcc_lo, s7, v26
	v_cndmask_b32_e32 v2, 0, v2, vcc_lo
	v_cmp_gt_i32_e32 vcc_lo, s5, v25
	v_perm_b32 v2, v27, v2, 0x5040100
	v_cndmask_b32_e32 v25, 0, v28, vcc_lo
	v_cmp_gt_i32_e32 vcc_lo, s15, v13
	v_cndmask_b32_e32 v1, 0, v1, vcc_lo
	s_delay_alu instid0(VALU_DEP_1)
	v_perm_b32 v1, v25, v1, 0x5040100
	s_branch .LBB104_32
.LBB104_45:
	s_or_b32 exec_lo, exec_lo, s3
.LBB104_46:
	s_delay_alu instid0(SALU_CYCLE_1)
	s_or_b32 exec_lo, exec_lo, s1
	ds_bpermute_b32 v1, v15, v17
	ds_bpermute_b32 v2, v15, v21
	;; [unrolled: 1-line block ×6, first 2 shown]
	v_and_b32_e32 v4, 0x3c1, v0
	v_lshrrev_b32_e32 v7, 1, v14
	s_movk_i32 s0, 0x180
	s_waitcnt lgkmcnt(0)
	s_waitcnt_vscnt null, 0x0
	v_mad_u32_u24 v8, v12, s0, 0xe0
	s_barrier
	buffer_gl0_inv
	v_add_f32_e32 v6, v17, v1
	v_add_f32_e32 v5, v21, v2
	v_cmp_eq_u32_e32 vcc_lo, 64, v4
	v_dual_add_f32 v4, v20, v3 :: v_dual_add_f32 v3, v19, v9
	v_dual_add_f32 v2, v18, v13 :: v_dual_lshlrev_b32 v9, 2, v7
	v_add_f32_e32 v1, v16, v15
	s_and_saveexec_b32 s0, vcc_lo
	s_cbranch_execz .LBB104_48
; %bb.47:
	s_delay_alu instid0(VALU_DEP_2)
	v_add3_u32 v12, v8, v9, 0xfffffd00
	ds_store_2addr_b32 v12, v6, v5 offset1:16
	ds_store_2addr_b32 v12, v4, v3 offset0:32 offset1:48
	ds_store_2addr_b32 v12, v2, v1 offset0:64 offset1:80
.LBB104_48:
	s_or_b32 exec_lo, exec_lo, s0
	v_cmp_eq_u32_e32 vcc_lo, 0, v11
	s_mov_b32 s1, exec_lo
	s_waitcnt lgkmcnt(0)
	s_barrier
	buffer_gl0_inv
	v_cmpx_gt_u32_e32 64, v0
	s_cbranch_execz .LBB104_57
; %bb.49:
	s_and_saveexec_b32 s0, vcc_lo
	s_cbranch_execnz .LBB104_71
; %bb.50:
	s_or_b32 exec_lo, exec_lo, s0
	s_and_saveexec_b32 s0, vcc_lo
	s_cbranch_execnz .LBB104_72
.LBB104_51:
	s_or_b32 exec_lo, exec_lo, s0
	s_and_saveexec_b32 s0, vcc_lo
	s_cbranch_execnz .LBB104_73
.LBB104_52:
	s_or_b32 exec_lo, exec_lo, s0
	s_and_saveexec_b32 s0, vcc_lo
	s_cbranch_execnz .LBB104_74
.LBB104_53:
	s_or_b32 exec_lo, exec_lo, s0
	s_and_saveexec_b32 s0, vcc_lo
	s_cbranch_execnz .LBB104_75
.LBB104_54:
	s_or_b32 exec_lo, exec_lo, s0
	s_and_saveexec_b32 s0, vcc_lo
	s_cbranch_execz .LBB104_56
.LBB104_55:
	v_lshl_add_u32 v11, v7, 2, v8
	ds_load_b32 v11, v11 offset:320
	s_waitcnt lgkmcnt(0)
	v_add_f32_e32 v1, v1, v11
.LBB104_56:
	s_or_b32 exec_lo, exec_lo, s0
.LBB104_57:
	s_delay_alu instid0(SALU_CYCLE_1)
	s_or_b32 exec_lo, exec_lo, s1
	v_and_b32_e32 v11, 0x3e1, v0
	s_mov_b32 s1, exec_lo
	s_barrier
	buffer_gl0_inv
	v_cmpx_eq_u32_e32 32, v11
	s_cbranch_execz .LBB104_59
; %bb.58:
	v_add3_u32 v9, v8, v9, 0xfffffe80
	ds_store_2addr_b32 v9, v6, v5 offset1:16
	ds_store_2addr_b32 v9, v4, v3 offset0:32 offset1:48
	ds_store_2addr_b32 v9, v2, v1 offset0:64 offset1:80
.LBB104_59:
	s_or_b32 exec_lo, exec_lo, s1
	s_delay_alu instid0(SALU_CYCLE_1)
	s_mov_b32 s1, exec_lo
	s_waitcnt lgkmcnt(0)
	s_barrier
	buffer_gl0_inv
	v_cmpx_gt_u32_e32 32, v0
	s_cbranch_execz .LBB104_68
; %bb.60:
	v_lshl_add_u32 v0, v7, 2, v8
	s_and_saveexec_b32 s0, vcc_lo
	s_cbranch_execnz .LBB104_76
; %bb.61:
	s_or_b32 exec_lo, exec_lo, s0
	s_and_saveexec_b32 s0, vcc_lo
	s_cbranch_execnz .LBB104_77
.LBB104_62:
	s_or_b32 exec_lo, exec_lo, s0
	s_and_saveexec_b32 s0, vcc_lo
	s_cbranch_execnz .LBB104_78
.LBB104_63:
	s_or_b32 exec_lo, exec_lo, s0
	s_and_saveexec_b32 s0, vcc_lo
	s_cbranch_execnz .LBB104_79
.LBB104_64:
	s_or_b32 exec_lo, exec_lo, s0
	s_and_saveexec_b32 s0, vcc_lo
	s_cbranch_execnz .LBB104_80
.LBB104_65:
	s_or_b32 exec_lo, exec_lo, s0
	s_and_saveexec_b32 s0, vcc_lo
	s_cbranch_execz .LBB104_67
.LBB104_66:
	ds_load_b32 v0, v0 offset:320
	s_waitcnt lgkmcnt(0)
	v_add_f32_e32 v1, v1, v0
.LBB104_67:
	s_or_b32 exec_lo, exec_lo, s0
.LBB104_68:
	s_delay_alu instid0(SALU_CYCLE_1)
	s_or_b32 exec_lo, exec_lo, s1
	s_barrier
	buffer_gl0_inv
	s_mov_b32 s0, exec_lo
	v_cmpx_eq_u32_e32 0, v11
	s_cbranch_execz .LBB104_70
; %bb.69:
	s_mul_i32 s0, s6, 0x60
	s_mul_i32 s2, s4, s16
	s_ashr_i32 s1, s0, 31
	v_lshlrev_b32_e32 v0, 1, v10
	s_lshl_b64 s[0:1], s[0:1], 1
	;;#ASMSTART
	v_cvt_f16_f32 v6, v6;

	;;#ASMEND
	s_add_u32 s4, s18, s0
	s_addc_u32 s5, s19, s1
	s_ashr_i32 s3, s2, 31
	s_delay_alu instid0(SALU_CYCLE_1) | instskip(SKIP_4) | instid1(SALU_CYCLE_1)
	s_lshl_b64 s[0:1], s[2:3], 1
	s_mul_i32 s2, s12, 0x60
	s_add_u32 s4, s4, s0
	s_addc_u32 s5, s5, s1
	s_ashr_i32 s3, s2, 31
	s_lshl_b64 s[0:1], s[2:3], 1
	s_delay_alu instid0(SALU_CYCLE_1)
	s_add_u32 s0, s4, s0
	s_addc_u32 s1, s5, s1
	global_store_b16 v0, v6, s[0:1]
	;;#ASMSTART
	v_cvt_f16_f32 v5, v5;

	;;#ASMEND
	global_store_b16 v0, v5, s[0:1] offset:32
	;;#ASMSTART
	v_cvt_f16_f32 v4, v4;

	;;#ASMEND
	global_store_b16 v0, v4, s[0:1] offset:64
	;; [unrolled: 5-line block ×5, first 2 shown]
.LBB104_70:
	s_nop 0
	s_sendmsg sendmsg(MSG_DEALLOC_VGPRS)
	s_endpgm
.LBB104_71:
	v_lshl_add_u32 v11, v7, 2, v8
	ds_load_b32 v11, v11
	s_waitcnt lgkmcnt(0)
	v_add_f32_e32 v6, v6, v11
	s_or_b32 exec_lo, exec_lo, s0
	s_and_saveexec_b32 s0, vcc_lo
	s_cbranch_execz .LBB104_51
.LBB104_72:
	v_lshl_add_u32 v11, v7, 2, v8
	ds_load_b32 v11, v11 offset:64
	s_waitcnt lgkmcnt(0)
	v_add_f32_e32 v5, v5, v11
	s_or_b32 exec_lo, exec_lo, s0
	s_and_saveexec_b32 s0, vcc_lo
	s_cbranch_execz .LBB104_52
.LBB104_73:
	v_lshl_add_u32 v11, v7, 2, v8
	ds_load_b32 v11, v11 offset:128
	s_waitcnt lgkmcnt(0)
	v_add_f32_e32 v4, v4, v11
	s_or_b32 exec_lo, exec_lo, s0
	s_and_saveexec_b32 s0, vcc_lo
	s_cbranch_execz .LBB104_53
.LBB104_74:
	v_lshl_add_u32 v11, v7, 2, v8
	ds_load_b32 v11, v11 offset:192
	s_waitcnt lgkmcnt(0)
	v_add_f32_e32 v3, v3, v11
	s_or_b32 exec_lo, exec_lo, s0
	s_and_saveexec_b32 s0, vcc_lo
	s_cbranch_execz .LBB104_54
.LBB104_75:
	v_lshl_add_u32 v11, v7, 2, v8
	ds_load_b32 v11, v11 offset:256
	s_waitcnt lgkmcnt(0)
	v_add_f32_e32 v2, v2, v11
	s_or_b32 exec_lo, exec_lo, s0
	s_and_saveexec_b32 s0, vcc_lo
	s_cbranch_execnz .LBB104_55
	s_branch .LBB104_56
.LBB104_76:
	ds_load_b32 v7, v0
	s_waitcnt lgkmcnt(0)
	v_add_f32_e32 v6, v6, v7
	s_or_b32 exec_lo, exec_lo, s0
	s_and_saveexec_b32 s0, vcc_lo
	s_cbranch_execz .LBB104_62
.LBB104_77:
	ds_load_b32 v7, v0 offset:64
	s_waitcnt lgkmcnt(0)
	v_add_f32_e32 v5, v5, v7
	s_or_b32 exec_lo, exec_lo, s0
	s_and_saveexec_b32 s0, vcc_lo
	s_cbranch_execz .LBB104_63
.LBB104_78:
	ds_load_b32 v7, v0 offset:128
	s_waitcnt lgkmcnt(0)
	v_add_f32_e32 v4, v4, v7
	s_or_b32 exec_lo, exec_lo, s0
	s_and_saveexec_b32 s0, vcc_lo
	s_cbranch_execz .LBB104_64
.LBB104_79:
	ds_load_b32 v7, v0 offset:192
	s_waitcnt lgkmcnt(0)
	v_add_f32_e32 v3, v3, v7
	s_or_b32 exec_lo, exec_lo, s0
	s_and_saveexec_b32 s0, vcc_lo
	s_cbranch_execz .LBB104_65
.LBB104_80:
	ds_load_b32 v7, v0 offset:256
	s_waitcnt lgkmcnt(0)
	v_add_f32_e32 v2, v2, v7
	s_or_b32 exec_lo, exec_lo, s0
	s_and_saveexec_b32 s0, vcc_lo
	s_cbranch_execnz .LBB104_66
	s_branch .LBB104_67
	.section	.rodata,"a",@progbits
	.p2align	6, 0x0
	.amdhsa_kernel _ZN4vllm25paged_attention_v2_kernelIttLi96ELi16ELi128ELNS_18Fp8KVCacheDataTypeE0ELb0ELi512EEEvPfS2_PT_PKS3_PKT0_S9_ifPKiSB_iPKfiiiSD_SD_iiiii
		.amdhsa_group_segment_fixed_size 224
		.amdhsa_private_segment_fixed_size 0
		.amdhsa_kernarg_size 400
		.amdhsa_user_sgpr_count 13
		.amdhsa_user_sgpr_dispatch_ptr 0
		.amdhsa_user_sgpr_queue_ptr 0
		.amdhsa_user_sgpr_kernarg_segment_ptr 1
		.amdhsa_user_sgpr_dispatch_id 0
		.amdhsa_user_sgpr_private_segment_size 0
		.amdhsa_wavefront_size32 1
		.amdhsa_uses_dynamic_stack 0
		.amdhsa_enable_private_segment 0
		.amdhsa_system_sgpr_workgroup_id_x 1
		.amdhsa_system_sgpr_workgroup_id_y 1
		.amdhsa_system_sgpr_workgroup_id_z 1
		.amdhsa_system_sgpr_workgroup_info 0
		.amdhsa_system_vgpr_workitem_id 0
		.amdhsa_next_free_vgpr 102
		.amdhsa_next_free_sgpr 40
		.amdhsa_reserve_vcc 1
		.amdhsa_float_round_mode_32 0
		.amdhsa_float_round_mode_16_64 0
		.amdhsa_float_denorm_mode_32 3
		.amdhsa_float_denorm_mode_16_64 3
		.amdhsa_dx10_clamp 1
		.amdhsa_ieee_mode 1
		.amdhsa_fp16_overflow 0
		.amdhsa_workgroup_processor_mode 1
		.amdhsa_memory_ordered 1
		.amdhsa_forward_progress 0
		.amdhsa_shared_vgpr_count 0
		.amdhsa_exception_fp_ieee_invalid_op 0
		.amdhsa_exception_fp_denorm_src 0
		.amdhsa_exception_fp_ieee_div_zero 0
		.amdhsa_exception_fp_ieee_overflow 0
		.amdhsa_exception_fp_ieee_underflow 0
		.amdhsa_exception_fp_ieee_inexact 0
		.amdhsa_exception_int_div_zero 0
	.end_amdhsa_kernel
	.section	.text._ZN4vllm25paged_attention_v2_kernelIttLi96ELi16ELi128ELNS_18Fp8KVCacheDataTypeE0ELb0ELi512EEEvPfS2_PT_PKS3_PKT0_S9_ifPKiSB_iPKfiiiSD_SD_iiiii,"axG",@progbits,_ZN4vllm25paged_attention_v2_kernelIttLi96ELi16ELi128ELNS_18Fp8KVCacheDataTypeE0ELb0ELi512EEEvPfS2_PT_PKS3_PKT0_S9_ifPKiSB_iPKfiiiSD_SD_iiiii,comdat
.Lfunc_end104:
	.size	_ZN4vllm25paged_attention_v2_kernelIttLi96ELi16ELi128ELNS_18Fp8KVCacheDataTypeE0ELb0ELi512EEEvPfS2_PT_PKS3_PKT0_S9_ifPKiSB_iPKfiiiSD_SD_iiiii, .Lfunc_end104-_ZN4vllm25paged_attention_v2_kernelIttLi96ELi16ELi128ELNS_18Fp8KVCacheDataTypeE0ELb0ELi512EEEvPfS2_PT_PKS3_PKT0_S9_ifPKiSB_iPKfiiiSD_SD_iiiii
                                        ; -- End function
	.section	.AMDGPU.csdata,"",@progbits
; Kernel info:
; codeLenInByte = 9612
; NumSgprs: 42
; NumVgprs: 102
; ScratchSize: 0
; MemoryBound: 0
; FloatMode: 240
; IeeeMode: 1
; LDSByteSize: 224 bytes/workgroup (compile time only)
; SGPRBlocks: 5
; VGPRBlocks: 12
; NumSGPRsForWavesPerEU: 42
; NumVGPRsForWavesPerEU: 102
; Occupancy: 12
; WaveLimiterHint : 1
; COMPUTE_PGM_RSRC2:SCRATCH_EN: 0
; COMPUTE_PGM_RSRC2:USER_SGPR: 13
; COMPUTE_PGM_RSRC2:TRAP_HANDLER: 0
; COMPUTE_PGM_RSRC2:TGID_X_EN: 1
; COMPUTE_PGM_RSRC2:TGID_Y_EN: 1
; COMPUTE_PGM_RSRC2:TGID_Z_EN: 1
; COMPUTE_PGM_RSRC2:TIDIG_COMP_CNT: 0
	.section	.text._ZN4vllm25paged_attention_v2_kernelIttLi112ELi16ELi128ELNS_18Fp8KVCacheDataTypeE0ELb0ELi512EEEvPfS2_PT_PKS3_PKT0_S9_ifPKiSB_iPKfiiiSD_SD_iiiii,"axG",@progbits,_ZN4vllm25paged_attention_v2_kernelIttLi112ELi16ELi128ELNS_18Fp8KVCacheDataTypeE0ELb0ELi512EEEvPfS2_PT_PKS3_PKT0_S9_ifPKiSB_iPKfiiiSD_SD_iiiii,comdat
	.protected	_ZN4vllm25paged_attention_v2_kernelIttLi112ELi16ELi128ELNS_18Fp8KVCacheDataTypeE0ELb0ELi512EEEvPfS2_PT_PKS3_PKT0_S9_ifPKiSB_iPKfiiiSD_SD_iiiii ; -- Begin function _ZN4vllm25paged_attention_v2_kernelIttLi112ELi16ELi128ELNS_18Fp8KVCacheDataTypeE0ELb0ELi512EEEvPfS2_PT_PKS3_PKT0_S9_ifPKiSB_iPKfiiiSD_SD_iiiii
	.globl	_ZN4vllm25paged_attention_v2_kernelIttLi112ELi16ELi128ELNS_18Fp8KVCacheDataTypeE0ELb0ELi512EEEvPfS2_PT_PKS3_PKT0_S9_ifPKiSB_iPKfiiiSD_SD_iiiii
	.p2align	8
	.type	_ZN4vllm25paged_attention_v2_kernelIttLi112ELi16ELi128ELNS_18Fp8KVCacheDataTypeE0ELb0ELi512EEEvPfS2_PT_PKS3_PKT0_S9_ifPKiSB_iPKfiiiSD_SD_iiiii,@function
_ZN4vllm25paged_attention_v2_kernelIttLi112ELi16ELi128ELNS_18Fp8KVCacheDataTypeE0ELb0ELi512EEEvPfS2_PT_PKS3_PKT0_S9_ifPKiSB_iPKfiiiSD_SD_iiiii: ; @_ZN4vllm25paged_attention_v2_kernelIttLi112ELi16ELi128ELNS_18Fp8KVCacheDataTypeE0ELb0ELi512EEEvPfS2_PT_PKS3_PKT0_S9_ifPKiSB_iPKfiiiSD_SD_iiiii
; %bb.0:
	s_load_b64 s[2:3], s[0:1], 0x40
	s_mov_b32 s12, s15
	s_ashr_i32 s15, s14, 31
	s_delay_alu instid0(SALU_CYCLE_1)
	s_lshl_b64 s[4:5], s[14:15], 2
	s_waitcnt lgkmcnt(0)
	s_add_u32 s2, s2, s4
	s_addc_u32 s3, s3, s5
	s_lshl_b32 s31, s12, 9
	s_load_b32 s30, s[2:3], 0x0
	s_waitcnt lgkmcnt(0)
	s_cmp_ge_i32 s31, s30
	s_cbranch_scc1 .LBB105_74
; %bb.1:
	s_mov_b32 s20, s13
	s_clause 0x1
	s_load_b32 s13, s[0:1], 0x90
	s_load_b64 s[28:29], s[0:1], 0x30
	s_waitcnt lgkmcnt(0)
	s_abs_i32 s5, s13
	s_abs_i32 s2, s28
	s_delay_alu instid0(SALU_CYCLE_1) | instskip(SKIP_1) | instid1(VALU_DEP_1)
	v_cvt_f32_u32_e32 v1, s2
	s_sub_i32 s4, 0, s2
	v_rcp_iflag_f32_e32 v1, v1
	s_waitcnt_depctr 0xfff
	v_mul_f32_e32 v1, 0x4f7ffffe, v1
	s_delay_alu instid0(VALU_DEP_1) | instskip(NEXT) | instid1(VALU_DEP_1)
	v_cvt_u32_f32_e32 v1, v1
	v_readfirstlane_b32 s3, v1
	s_delay_alu instid0(VALU_DEP_1) | instskip(NEXT) | instid1(SALU_CYCLE_1)
	s_mul_i32 s4, s4, s3
	s_mul_hi_u32 s4, s3, s4
	s_delay_alu instid0(SALU_CYCLE_1)
	s_add_i32 s3, s3, s4
	s_xor_b32 s4, s13, s28
	s_mul_hi_u32 s3, s5, s3
	s_ashr_i32 s4, s4, 31
	s_mul_i32 s6, s3, s2
	s_mov_b32 s28, 0
	s_sub_i32 s5, s5, s6
	s_add_i32 s6, s3, 1
	s_sub_i32 s7, s5, s2
	s_cmp_ge_u32 s5, s2
	s_cselect_b32 s3, s6, s3
	s_cselect_b32 s5, s7, s5
	s_add_i32 s6, s3, 1
	s_cmp_ge_u32 s5, s2
	s_cselect_b32 s2, s6, s3
	s_abs_i32 s10, s20
	s_xor_b32 s2, s2, s4
	s_delay_alu instid0(SALU_CYCLE_1) | instskip(SKIP_2) | instid1(SALU_CYCLE_1)
	s_sub_i32 s11, s2, s4
	s_load_b64 s[2:3], s[0:1], 0x50
	s_abs_i32 s8, s11
	v_cvt_f32_u32_e32 v1, s8
	s_sub_i32 s5, 0, s8
	s_delay_alu instid0(VALU_DEP_1) | instskip(SKIP_2) | instid1(VALU_DEP_1)
	v_rcp_iflag_f32_e32 v1, v1
	s_waitcnt_depctr 0xfff
	v_mul_f32_e32 v1, 0x4f7ffffe, v1
	v_cvt_u32_f32_e32 v1, v1
	s_delay_alu instid0(VALU_DEP_1) | instskip(NEXT) | instid1(VALU_DEP_1)
	v_readfirstlane_b32 s4, v1
	s_mul_i32 s5, s5, s4
	s_delay_alu instid0(SALU_CYCLE_1) | instskip(NEXT) | instid1(SALU_CYCLE_1)
	s_mul_hi_u32 s5, s4, s5
	s_add_i32 s4, s4, s5
	s_waitcnt lgkmcnt(0)
	s_cmp_eq_u64 s[2:3], 0
	s_mul_hi_u32 s9, s10, s4
	s_cbranch_scc1 .LBB105_3
; %bb.2:
	s_ashr_i32 s21, s20, 31
	s_delay_alu instid0(SALU_CYCLE_1) | instskip(NEXT) | instid1(SALU_CYCLE_1)
	s_lshl_b64 s[4:5], s[20:21], 2
	s_add_u32 s2, s2, s4
	s_addc_u32 s3, s3, s5
	s_load_b32 s28, s[2:3], 0x0
.LBB105_3:
	s_load_b128 s[4:7], s[0:1], 0x58
	v_lshrrev_b32_e32 v23, 1, v0
	v_and_b32_e32 v24, 1, v0
	v_lshlrev_b32_e32 v26, 3, v0
	s_ashr_i32 s2, s20, 31
	s_ashr_i32 s3, s11, 31
	s_mul_i32 s16, s20, 0x70
	s_waitcnt lgkmcnt(0)
	s_mov_b32 s7, exec_lo
	v_cmpx_gt_u32_e32 28, v0
	s_cbranch_execz .LBB105_5
; %bb.4:
	s_load_b64 s[18:19], s[0:1], 0x18
	s_mul_i32 s22, s14, s4
	v_lshlrev_b32_e32 v3, 3, v23
	s_ashr_i32 s23, s22, 31
	s_delay_alu instid0(SALU_CYCLE_1) | instskip(NEXT) | instid1(VALU_DEP_1)
	s_lshl_b64 s[22:23], s[22:23], 1
	v_mad_u32_u24 v3, 0x70, v24, v3
	s_waitcnt lgkmcnt(0)
	s_add_u32 s4, s18, s22
	s_addc_u32 s11, s19, s23
	s_ashr_i32 s17, s16, 31
	s_delay_alu instid0(SALU_CYCLE_1) | instskip(NEXT) | instid1(SALU_CYCLE_1)
	s_lshl_b64 s[18:19], s[16:17], 1
	s_add_u32 s18, s4, s18
	s_addc_u32 s19, s11, s19
	global_load_b64 v[1:2], v26, s[18:19]
	s_waitcnt vmcnt(0)
	ds_store_b64 v3, v[1:2]
.LBB105_5:
	s_or_b32 exec_lo, exec_lo, s7
	s_add_i32 s4, s30, 15
	s_lshl_b32 s15, s12, 5
	s_ashr_i32 s7, s4, 31
	s_xor_b32 s2, s2, s3
	s_lshr_b32 s7, s7, 28
	s_add_i32 s3, s15, 32
	s_add_i32 s4, s4, s7
	s_clause 0x1
	s_load_b64 s[22:23], s[0:1], 0x38
	s_load_b32 s7, s[0:1], 0x48
	s_ashr_i32 s21, s4, 4
	s_mul_i32 s4, s9, s8
	s_min_i32 s17, s3, s21
	s_sub_i32 s3, s10, s4
	s_add_i32 s4, s9, 1
	s_sub_i32 s10, s3, s8
	s_cmp_ge_u32 s3, s8
	v_lshrrev_b32_e32 v25, 5, v0
	s_cselect_b32 s4, s4, s9
	s_cselect_b32 s3, s10, s3
	s_add_i32 s9, s4, 1
	s_cmp_ge_u32 s3, s8
	v_or_b32_e32 v5, s15, v25
	s_cselect_b32 s3, s9, s4
	v_mbcnt_lo_u32_b32 v28, -1, 0
	s_xor_b32 s3, s3, s2
	s_mov_b32 s4, exec_lo
	s_sub_i32 s3, s3, s2
	v_cmp_gt_i32_e64 s2, s17, v5
	s_waitcnt lgkmcnt(0)
	s_mul_i32 s24, s14, s7
	s_delay_alu instid0(SALU_CYCLE_1)
	s_ashr_i32 s25, s24, 31
	s_barrier
	buffer_gl0_inv
                                        ; implicit-def: $sgpr7
                                        ; implicit-def: $vgpr29
	v_cmpx_le_i32_e64 s17, v5
	s_xor_b32 s4, exec_lo, s4
; %bb.6:
	v_mbcnt_lo_u32_b32 v28, -1, 0
	v_mov_b32_e32 v29, 32
	s_mov_b32 s7, 0xff7fffff
; %bb.7:
	s_or_saveexec_b32 s33, s4
	s_clause 0x3
	s_load_b128 s[8:11], s[0:1], 0x0
	s_load_b64 s[18:19], s[0:1], 0x10
	s_load_b64 s[26:27], s[0:1], 0x28
	s_load_b32 s4, s[0:1], 0x98
	v_dual_mov_b32 v30, s7 :: v_dual_lshlrev_b32 v27, 4, v25
	v_ashrrev_i32_e32 v6, 31, v5
	s_mul_i32 s6, s3, s6
	s_xor_b32 exec_lo, exec_lo, s33
	s_cbranch_execz .LBB105_13
; %bb.8:
	s_load_b64 s[34:35], s[0:1], 0x20
	v_bfe_u32 v3, v0, 1, 4
	s_ashr_i32 s7, s6, 31
	v_dual_mov_b32 v29, 32 :: v_dual_and_b32 v4, 8, v26
	s_lshl_b64 s[36:37], s[6:7], 1
	s_delay_alu instid0(VALU_DEP_2) | instskip(SKIP_2) | instid1(VALU_DEP_3)
	v_dual_mov_b32 v30, 0xff7fffff :: v_dual_lshlrev_b32 v1, 2, v3
	v_dual_mov_b32 v37, v5 :: v_dual_lshlrev_b32 v8, 4, v3
	v_add3_u32 v32, s31, v27, v3
	v_lshl_or_b32 v7, v25, 6, v1
	v_lshlrev_b64 v[1:2], 2, v[5:6]
	v_mul_u32_u24_e32 v31, 0x70, v24
	v_cmp_eq_u32_e32 vcc_lo, 0, v24
	v_cmp_neq_f32_e64 s0, s28, 0
	v_add_nc_u32_e32 v33, 0x100, v7
	v_xor_b32_e32 v36, 1, v28
	s_waitcnt lgkmcnt(0)
	s_add_u32 s1, s34, s36
	s_addc_u32 s3, s35, s37
	v_add_co_u32 v3, s1, s1, v8
	s_delay_alu instid0(VALU_DEP_1) | instskip(SKIP_2) | instid1(VALU_DEP_2)
	v_add_co_ci_u32_e64 v7, null, s3, 0, s1
	s_lshl_b64 s[34:35], s[24:25], 2
	s_sub_i32 s7, 1, s30
	v_add_co_u32 v34, s1, v3, v4
	s_add_u32 s3, s22, s34
	v_add_co_ci_u32_e64 v35, s1, 0, v7, s1
	s_addc_u32 s34, s23, s35
	v_add_co_u32 v1, s1, s3, v1
	s_delay_alu instid0(VALU_DEP_1)
	v_add_co_ci_u32_e64 v2, s1, s34, v2, s1
	s_mov_b32 s35, s5
	s_mov_b32 s34, 0
	s_branch .LBB105_10
.LBB105_9:                              ;   in Loop: Header=BB105_10 Depth=1
	s_or_b32 exec_lo, exec_lo, s3
	v_add_nc_u32_e32 v37, 4, v37
	v_add_co_u32 v1, s3, v1, 16
	v_add_nc_u32_e32 v32, 64, v32
	v_add_nc_u32_e32 v33, 0x100, v33
	s_delay_alu instid0(VALU_DEP_4) | instskip(SKIP_1) | instid1(VALU_DEP_2)
	v_cmp_le_i32_e64 s1, s17, v37
	v_add_co_ci_u32_e64 v2, s3, 0, v2, s3
	s_or_b32 s34, s1, s34
	s_delay_alu instid0(SALU_CYCLE_1)
	s_and_not1_b32 exec_lo, exec_lo, s34
	s_cbranch_execz .LBB105_12
.LBB105_10:                             ; =>This Inner Loop Header: Depth=1
	global_load_b32 v7, v[1:2], off
	s_waitcnt vmcnt(0) lgkmcnt(0)
	v_mad_i64_i32 v[3:4], null, v7, s35, 0
	s_delay_alu instid0(VALU_DEP_1) | instskip(NEXT) | instid1(VALU_DEP_1)
	v_lshlrev_b64 v[3:4], 1, v[3:4]
	v_add_co_u32 v3, s1, v34, v3
	s_delay_alu instid0(VALU_DEP_1)
	v_add_co_ci_u32_e64 v4, s1, v35, v4, s1
	v_cmp_gt_i32_e64 s1, 32, v36
	s_clause 0x9
	global_load_b64 v[39:40], v[3:4], off
	global_load_b64 v[46:47], v[3:4], off offset:256
	global_load_b64 v[54:55], v[3:4], off offset:512
	;; [unrolled: 1-line block ×9, first 2 shown]
	ds_load_b64 v[7:8], v31
	s_waitcnt lgkmcnt(0)
	v_lshrrev_b32_e32 v41, 16, v7
	v_and_b32_e32 v38, 0xffff, v7
	v_lshrrev_b32_e32 v42, 16, v8
	v_and_b32_e32 v44, 0xffff, v8
	s_clause 0x3
	global_load_b64 v[11:12], v[3:4], off offset:2560
	global_load_b64 v[9:10], v[3:4], off offset:2816
	;; [unrolled: 1-line block ×4, first 2 shown]
	;;#ASMSTART
	v_cvt_f32_f16 v38, v38;
	;;#ASMEND
	s_waitcnt vmcnt(13)
	v_and_b32_e32 v43, 0xffff, v39
	v_lshrrev_b32_e32 v45, 16, v39
	v_lshrrev_b32_e32 v48, 16, v40
	v_and_b32_e32 v49, 0xffff, v40
	;;#ASMSTART
	v_cvt_f32_f16 v39, v41;
	;;#ASMEND
	;;#ASMSTART
	v_cvt_f32_f16 v43, v43;
	;;#ASMEND
	;; [unrolled: 3-line block ×7, first 2 shown]
	ds_load_b64 v[48:49], v31 offset:8
	s_waitcnt vmcnt(12)
	v_lshrrev_b32_e32 v50, 16, v46
	v_and_b32_e32 v51, 0xffff, v46
	v_lshrrev_b32_e32 v56, 16, v47
	v_and_b32_e32 v57, 0xffff, v47
	s_waitcnt vmcnt(11)
	v_lshrrev_b32_e32 v61, 16, v55
	s_waitcnt vmcnt(10)
	v_lshrrev_b32_e32 v66, 16, v62
	v_lshrrev_b32_e32 v69, 16, v63
	s_waitcnt vmcnt(9)
	v_lshrrev_b32_e32 v74, 16, v70
	;; [unrolled: 3-line block ×3, first 2 shown]
	v_lshrrev_b32_e32 v81, 16, v22
	v_and_b32_e32 v22, 0xffff, v22
	s_waitcnt vmcnt(7)
	v_lshrrev_b32_e32 v86, 16, v19
	v_lshrrev_b32_e32 v87, 16, v20
	v_and_b32_e32 v20, 0xffff, v20
	s_waitcnt vmcnt(6)
	v_lshrrev_b32_e32 v92, 16, v17
	;; [unrolled: 4-line block ×3, first 2 shown]
	s_waitcnt lgkmcnt(0)
	v_and_b32_e32 v46, 0xffff, v48
	;;#ASMSTART
	v_cvt_f32_f16 v52, v46;
	;;#ASMEND
	v_lshrrev_b32_e32 v48, 16, v48
	;;#ASMSTART
	v_cvt_f32_f16 v46, v48;
	;;#ASMEND
	;;#ASMSTART
	v_cvt_f32_f16 v53, v51;
	;;#ASMEND
	v_mul_f32_e32 v52, v52, v53
	;;#ASMSTART
	v_cvt_f32_f16 v47, v50;
	;;#ASMEND
	v_mul_f32_e32 v46, v46, v47
	v_lshrrev_b32_e32 v58, 16, v49
	v_lshrrev_b32_e32 v99, 16, v14
	v_dual_fmac_f32 v52, v38, v43 :: v_dual_and_b32 v49, 0xffff, v49
	;;#ASMSTART
	v_cvt_f32_f16 v48, v49;
	;;#ASMEND
	;;#ASMSTART
	v_cvt_f32_f16 v49, v58;
	;;#ASMEND
	v_fmac_f32_e32 v46, v39, v40
	;;#ASMSTART
	v_cvt_f32_f16 v50, v57;
	;;#ASMEND
	;;#ASMSTART
	v_cvt_f32_f16 v51, v56;
	;;#ASMEND
	ds_load_b64 v[56:57], v31 offset:16
	v_mul_f32_e32 v47, v48, v50
	v_lshrrev_b32_e32 v58, 16, v54
	v_dual_mul_f32 v48, v49, v51 :: v_dual_and_b32 v59, 0xffff, v54
	s_delay_alu instid0(VALU_DEP_3) | instskip(SKIP_2) | instid1(VALU_DEP_4)
	v_dual_fmac_f32 v47, v41, v44 :: v_dual_and_b32 v60, 0xffff, v55
	v_and_b32_e32 v67, 0xffff, v62
	v_and_b32_e32 v14, 0xffff, v14
	v_fmac_f32_e32 v48, v42, v45
	s_waitcnt vmcnt(4)
	v_lshrrev_b32_e32 v104, 16, v15
	v_lshrrev_b32_e32 v105, 16, v16
	v_and_b32_e32 v16, 0xffff, v16
	s_waitcnt vmcnt(3)
	v_lshrrev_b32_e32 v110, 16, v11
	v_lshrrev_b32_e32 v111, 16, v12
	v_and_b32_e32 v12, 0xffff, v12
	;; [unrolled: 4-line block ×3, first 2 shown]
	s_waitcnt vmcnt(1)
	v_lshrrev_b32_e32 v38, 16, v7
	s_waitcnt lgkmcnt(0)
	v_and_b32_e32 v54, 0xffff, v56
	v_lshrrev_b32_e32 v56, 16, v56
	v_lshrrev_b32_e32 v64, 16, v57
	;;#ASMSTART
	v_cvt_f32_f16 v55, v54;
	;;#ASMEND
	;;#ASMSTART
	v_cvt_f32_f16 v54, v56;
	;;#ASMEND
	;; [unrolled: 3-line block ×4, first 2 shown]
	v_dual_fmac_f32 v46, v54, v56 :: v_dual_and_b32 v57, 0xffff, v57
	;;#ASMSTART
	v_cvt_f32_f16 v57, v57;
	;;#ASMEND
	;;#ASMSTART
	v_cvt_f32_f16 v58, v64;
	;;#ASMEND
	;; [unrolled: 3-line block ×4, first 2 shown]
	ds_load_b64 v[64:65], v31 offset:24
	v_fmac_f32_e32 v52, v55, v59
	v_dual_fmac_f32 v47, v57, v60 :: v_dual_and_b32 v68, 0xffff, v63
	v_dual_fmac_f32 v48, v58, v61 :: v_dual_and_b32 v71, 0xffff, v71
	v_lshrrev_b32_e32 v45, 16, v8
	v_and_b32_e32 v8, 0xffff, v8
	s_waitcnt lgkmcnt(0)
	v_and_b32_e32 v62, 0xffff, v64
	v_lshrrev_b32_e32 v64, 16, v64
	v_lshrrev_b32_e32 v72, 16, v65
	;;#ASMSTART
	v_cvt_f32_f16 v63, v62;
	;;#ASMEND
	;;#ASMSTART
	v_cvt_f32_f16 v62, v64;
	;;#ASMEND
	;;#ASMSTART
	v_cvt_f32_f16 v67, v67;
	;;#ASMEND
	v_dual_fmac_f32 v52, v63, v67 :: v_dual_and_b32 v65, 0xffff, v65
	;;#ASMSTART
	v_cvt_f32_f16 v64, v66;
	;;#ASMEND
	;;#ASMSTART
	v_cvt_f32_f16 v65, v65;
	;;#ASMEND
	;; [unrolled: 3-line block ×5, first 2 shown]
	ds_load_b64 v[72:73], v31 offset:32
	v_dual_fmac_f32 v47, v65, v68 :: v_dual_and_b32 v70, 0xffff, v70
	v_fmac_f32_e32 v46, v62, v64
	v_fmac_f32_e32 v48, v66, v69
	s_waitcnt lgkmcnt(0)
	v_and_b32_e32 v76, 0xffff, v72
	v_lshrrev_b32_e32 v72, 16, v72
	v_lshrrev_b32_e32 v77, 16, v73
	v_and_b32_e32 v73, 0xffff, v73
	;;#ASMSTART
	v_cvt_f32_f16 v76, v76;
	;;#ASMEND
	;;#ASMSTART
	v_cvt_f32_f16 v72, v72;
	;;#ASMEND
	;; [unrolled: 3-line block ×8, first 2 shown]
	ds_load_b64 v[70:71], v31 offset:40
	v_dual_fmac_f32 v52, v76, v78 :: v_dual_and_b32 v21, 0xffff, v21
	v_dual_fmac_f32 v46, v72, v74 :: v_dual_and_b32 v19, 0xffff, v19
	;; [unrolled: 1-line block ×3, first 2 shown]
	s_waitcnt lgkmcnt(0)
	v_dual_fmac_f32 v47, v73, v79 :: v_dual_and_b32 v82, 0xffff, v70
	v_lshrrev_b32_e32 v70, 16, v70
	v_lshrrev_b32_e32 v83, 16, v71
	v_and_b32_e32 v71, 0xffff, v71
	;;#ASMSTART
	v_cvt_f32_f16 v82, v82;
	;;#ASMEND
	;;#ASMSTART
	v_cvt_f32_f16 v70, v70;
	;;#ASMEND
	;; [unrolled: 3-line block ×8, first 2 shown]
	ds_load_b64 v[21:22], v31 offset:48
	v_dual_fmac_f32 v52, v82, v84 :: v_dual_and_b32 v13, 0xffff, v13
	v_dual_fmac_f32 v46, v70, v80 :: v_dual_and_b32 v15, 0xffff, v15
	v_dual_fmac_f32 v48, v83, v81 :: v_dual_and_b32 v11, 0xffff, v11
	v_fmac_f32_e32 v47, v71, v85
	s_waitcnt lgkmcnt(0)
	v_and_b32_e32 v88, 0xffff, v21
	v_lshrrev_b32_e32 v21, 16, v21
	v_lshrrev_b32_e32 v89, 16, v22
	v_and_b32_e32 v22, 0xffff, v22
	;;#ASMSTART
	v_cvt_f32_f16 v88, v88;
	;;#ASMEND
	;;#ASMSTART
	v_cvt_f32_f16 v21, v21;
	;;#ASMEND
	;; [unrolled: 3-line block ×8, first 2 shown]
	ds_load_b64 v[19:20], v31 offset:56
	v_dual_fmac_f32 v52, v88, v90 :: v_dual_and_b32 v9, 0xffff, v9
	v_dual_fmac_f32 v46, v21, v86 :: v_dual_and_b32 v7, 0xffff, v7
	v_fmac_f32_e32 v47, v22, v91
	s_waitcnt lgkmcnt(0)
	v_and_b32_e32 v94, 0xffff, v19
	v_lshrrev_b32_e32 v19, 16, v19
	v_lshrrev_b32_e32 v95, 16, v20
	v_and_b32_e32 v20, 0xffff, v20
	;;#ASMSTART
	v_cvt_f32_f16 v94, v94;
	;;#ASMEND
	;;#ASMSTART
	v_cvt_f32_f16 v19, v19;
	;;#ASMEND
	;; [unrolled: 3-line block ×8, first 2 shown]
	ds_load_b64 v[17:18], v31 offset:64
	v_fmac_f32_e32 v52, v94, v96
	v_dual_fmac_f32 v46, v19, v92 :: v_dual_fmac_f32 v47, v20, v97
	s_waitcnt vmcnt(0)
	v_lshrrev_b32_e32 v19, 16, v3
	v_and_b32_e32 v3, 0xffff, v3
	s_waitcnt lgkmcnt(0)
	v_and_b32_e32 v100, 0xffff, v17
	v_lshrrev_b32_e32 v17, 16, v17
	v_lshrrev_b32_e32 v101, 16, v18
	v_and_b32_e32 v18, 0xffff, v18
	;;#ASMSTART
	v_cvt_f32_f16 v100, v100;
	;;#ASMEND
	;;#ASMSTART
	v_cvt_f32_f16 v17, v17;
	;;#ASMEND
	;; [unrolled: 3-line block ×8, first 2 shown]
	ds_load_b64 v[13:14], v31 offset:72
	v_dual_fmac_f32 v46, v17, v98 :: v_dual_fmac_f32 v47, v18, v103
	v_fmac_f32_e32 v52, v100, v102
	s_waitcnt lgkmcnt(0)
	v_and_b32_e32 v106, 0xffff, v13
	v_lshrrev_b32_e32 v13, 16, v13
	v_lshrrev_b32_e32 v107, 16, v14
	v_and_b32_e32 v14, 0xffff, v14
	;;#ASMSTART
	v_cvt_f32_f16 v106, v106;
	;;#ASMEND
	;;#ASMSTART
	v_cvt_f32_f16 v108, v13;
	;;#ASMEND
	;; [unrolled: 3-line block ×8, first 2 shown]
	ds_load_b64 v[13:14], v31 offset:80
	v_fmac_f32_e32 v46, v108, v104
	v_dual_fmac_f32 v52, v106, v15 :: v_dual_fmac_f32 v47, v109, v16
	s_waitcnt lgkmcnt(0)
	v_and_b32_e32 v114, 0xffff, v13
	v_lshrrev_b32_e32 v13, 16, v13
	v_lshrrev_b32_e32 v53, 16, v14
	v_and_b32_e32 v14, 0xffff, v14
	;;#ASMSTART
	v_cvt_f32_f16 v114, v114;
	;;#ASMEND
	;;#ASMSTART
	v_cvt_f32_f16 v13, v13;
	;;#ASMEND
	;; [unrolled: 3-line block ×8, first 2 shown]
	ds_load_b64 v[11:12], v31 offset:88
	v_fmac_f32_e32 v46, v13, v110
	v_fmac_f32_e32 v52, v114, v115
	v_fmac_f32_e32 v47, v14, v116
	v_lshrrev_b32_e32 v13, 16, v4
	v_and_b32_e32 v4, 0xffff, v4
	s_waitcnt lgkmcnt(0)
	v_and_b32_e32 v39, 0xffff, v11
	v_lshrrev_b32_e32 v11, 16, v11
	v_lshrrev_b32_e32 v40, 16, v12
	v_and_b32_e32 v12, 0xffff, v12
	;;#ASMSTART
	v_cvt_f32_f16 v39, v39;
	;;#ASMEND
	;;#ASMSTART
	v_cvt_f32_f16 v11, v11;
	;;#ASMEND
	;; [unrolled: 3-line block ×8, first 2 shown]
	ds_load_b64 v[9:10], v31 offset:96
	v_fmac_f32_e32 v48, v89, v87
	v_fmac_f32_e32 v46, v11, v42
	v_dual_fmac_f32 v52, v39, v41 :: v_dual_fmac_f32 v47, v12, v43
	s_waitcnt lgkmcnt(0)
	v_and_b32_e32 v17, 0xffff, v9
	v_lshrrev_b32_e32 v9, 16, v9
	v_lshrrev_b32_e32 v18, 16, v10
	v_and_b32_e32 v10, 0xffff, v10
	;;#ASMSTART
	v_cvt_f32_f16 v17, v17;
	;;#ASMEND
	;;#ASMSTART
	v_cvt_f32_f16 v9, v9;
	;;#ASMEND
	;; [unrolled: 3-line block ×8, first 2 shown]
	ds_load_b64 v[7:8], v31 offset:104
	v_fmac_f32_e32 v48, v95, v93
	v_fmac_f32_e32 v46, v9, v21
	v_dual_fmac_f32 v52, v17, v20 :: v_dual_fmac_f32 v47, v10, v22
	s_waitcnt lgkmcnt(0)
	v_and_b32_e32 v9, 0xffff, v7
	v_fmac_f32_e32 v48, v101, v99
	v_lshrrev_b32_e32 v7, 16, v7
	;;#ASMSTART
	v_cvt_f32_f16 v9, v9;
	;;#ASMEND
	;;#ASMSTART
	v_cvt_f32_f16 v7, v7;
	;;#ASMEND
	;; [unrolled: 3-line block ×3, first 2 shown]
	v_fmac_f32_e32 v48, v107, v105
	;;#ASMSTART
	v_cvt_f32_f16 v11, v19;
	;;#ASMEND
	v_fmac_f32_e32 v52, v9, v3
	v_fmac_f32_e32 v46, v7, v11
	v_lshrrev_b32_e32 v10, 16, v8
	v_fmac_f32_e32 v48, v53, v111
	v_and_b32_e32 v8, 0xffff, v8
	;;#ASMSTART
	v_cvt_f32_f16 v3, v8;
	;;#ASMEND
	;;#ASMSTART
	v_cvt_f32_f16 v7, v10;
	;;#ASMEND
	;; [unrolled: 3-line block ×3, first 2 shown]
	v_fmac_f32_e32 v48, v40, v44
	v_fmac_f32_e32 v47, v3, v4
	v_add_f32_e32 v3, v52, v46
	;;#ASMSTART
	v_cvt_f32_f16 v4, v13;
	;;#ASMEND
	s_delay_alu instid0(VALU_DEP_1) | instskip(NEXT) | instid1(VALU_DEP_1)
	v_dual_fmac_f32 v48, v18, v38 :: v_dual_add_f32 v3, v3, v47
	v_fmac_f32_e32 v48, v7, v4
	v_cndmask_b32_e64 v4, v28, v36, s1
	s_delay_alu instid0(VALU_DEP_1)
	v_dual_add_f32 v3, v48, v3 :: v_dual_lshlrev_b32 v4, 2, v4
	ds_bpermute_b32 v4, v4, v3
	s_and_saveexec_b32 s3, vcc_lo
	s_cbranch_execz .LBB105_9
; %bb.11:                               ;   in Loop: Header=BB105_10 Depth=1
	s_waitcnt lgkmcnt(0)
	v_add_f32_e32 v3, v3, v4
	v_add_nc_u32_e32 v7, s7, v32
	v_cmp_gt_i32_e64 s1, s30, v32
	s_delay_alu instid0(VALU_DEP_2) | instskip(NEXT) | instid1(VALU_DEP_1)
	v_cvt_f32_i32_e32 v7, v7
	v_mul_f32_e32 v7, s28, v7
	s_delay_alu instid0(VALU_DEP_1) | instskip(NEXT) | instid1(VALU_DEP_1)
	v_cndmask_b32_e64 v4, 0, v7, s0
	v_dual_max_f32 v7, v30, v30 :: v_dual_fmac_f32 v4, s29, v3
	s_delay_alu instid0(VALU_DEP_1) | instskip(SKIP_1) | instid1(VALU_DEP_2)
	v_max_f32_e32 v3, v7, v4
	v_cndmask_b32_e64 v4, 0, v4, s1
	v_cndmask_b32_e64 v30, v30, v3, s1
	ds_store_b32 v33, v4
	s_branch .LBB105_9
.LBB105_12:
	s_or_b32 exec_lo, exec_lo, s34
.LBB105_13:
	s_delay_alu instid0(SALU_CYCLE_1) | instskip(SKIP_4) | instid1(VALU_DEP_4)
	s_or_b32 exec_lo, exec_lo, s33
	v_xor_b32_e32 v1, 16, v28
	v_xor_b32_e32 v2, 8, v28
	v_dual_max_f32 v7, v30, v30 :: v_dual_and_b32 v10, 31, v0
	v_lshlrev_b32_e32 v9, 2, v25
	v_cmp_lt_i32_e32 vcc_lo, v1, v29
	v_cndmask_b32_e32 v1, v28, v1, vcc_lo
	v_cmp_lt_i32_e32 vcc_lo, v2, v29
	v_cndmask_b32_e32 v2, v28, v2, vcc_lo
	s_waitcnt lgkmcnt(0)
	s_delay_alu instid0(VALU_DEP_1) | instskip(SKIP_4) | instid1(VALU_DEP_1)
	v_lshlrev_b32_e32 v4, 2, v2
	v_lshlrev_b32_e32 v3, 2, v1
	ds_bpermute_b32 v1, v3, v30
	s_waitcnt lgkmcnt(0)
	v_max_f32_e32 v1, v1, v1
	v_max_f32_e32 v1, v7, v1
	v_xor_b32_e32 v7, 4, v28
	s_delay_alu instid0(VALU_DEP_1) | instskip(SKIP_1) | instid1(VALU_DEP_1)
	v_cmp_lt_i32_e32 vcc_lo, v7, v29
	v_cndmask_b32_e32 v7, v28, v7, vcc_lo
	v_lshlrev_b32_e32 v8, 2, v7
	ds_bpermute_b32 v2, v4, v1
	v_xor_b32_e32 v7, 2, v28
	s_delay_alu instid0(VALU_DEP_1) | instskip(SKIP_4) | instid1(VALU_DEP_1)
	v_cmp_lt_i32_e32 vcc_lo, v7, v29
	v_cndmask_b32_e32 v7, v28, v7, vcc_lo
	v_cmp_eq_u32_e32 vcc_lo, 0, v10
	s_waitcnt lgkmcnt(0)
	v_max_f32_e32 v2, v2, v2
	v_max_f32_e32 v1, v1, v2
	ds_bpermute_b32 v2, v8, v1
	s_waitcnt lgkmcnt(0)
	v_max_f32_e32 v2, v2, v2
	s_delay_alu instid0(VALU_DEP_1)
	v_dual_max_f32 v1, v1, v2 :: v_dual_lshlrev_b32 v2, 2, v7
	ds_bpermute_b32 v7, v2, v1
	s_and_saveexec_b32 s0, vcc_lo
	s_cbranch_execz .LBB105_15
; %bb.14:
	s_waitcnt lgkmcnt(0)
	v_max_f32_e32 v7, v7, v7
	v_max_f32_e32 v1, v1, v1
	s_delay_alu instid0(VALU_DEP_1)
	v_max_f32_e32 v1, v1, v7
	ds_store_b32 v9, v1 offset:224
.LBB105_15:
	s_or_b32 exec_lo, exec_lo, s0
	v_cmp_gt_u32_e64 s0, 4, v10
	v_dual_mov_b32 v1, 0xff7fffff :: v_dual_lshlrev_b32 v12, 2, v10
	s_waitcnt lgkmcnt(0)
	s_barrier
	buffer_gl0_inv
	s_and_saveexec_b32 s1, s0
	s_cbranch_execz .LBB105_17
; %bb.16:
	ds_load_b32 v1, v12 offset:224
.LBB105_17:
	s_or_b32 exec_lo, exec_lo, s1
	s_waitcnt lgkmcnt(0)
	ds_bpermute_b32 v7, v2, v1
	v_xor_b32_e32 v11, 1, v28
	v_dual_max_f32 v1, v1, v1 :: v_dual_mov_b32 v14, 0
	v_lshlrev_b32_e32 v13, 2, v28
	s_delay_alu instid0(VALU_DEP_3) | instskip(NEXT) | instid1(VALU_DEP_2)
	v_cmp_lt_i32_e64 s1, v11, v29
	v_and_b32_e32 v13, 0xffffff80, v13
	s_delay_alu instid0(VALU_DEP_2) | instskip(SKIP_1) | instid1(SALU_CYCLE_1)
	v_cndmask_b32_e64 v11, v28, v11, s1
	s_sub_i32 s1, s17, s15
	s_lshl_b32 s1, s1, 4
	s_delay_alu instid0(VALU_DEP_1) | instskip(SKIP_1) | instid1(SALU_CYCLE_1)
	v_lshlrev_b32_e32 v11, 2, v11
	s_add_i32 s1, s1, s31
	s_min_i32 s1, s1, s30
	s_waitcnt lgkmcnt(0)
	v_max_f32_e32 v7, v7, v7
	s_sub_i32 s7, s1, s31
	s_delay_alu instid0(SALU_CYCLE_1) | instskip(NEXT) | instid1(VALU_DEP_2)
	v_cmp_gt_i32_e64 s1, s7, v0
	v_max_f32_e32 v1, v1, v7
	ds_bpermute_b32 v7, v11, v1
	s_waitcnt lgkmcnt(0)
	v_max_f32_e32 v7, v7, v7
	s_delay_alu instid0(VALU_DEP_1)
	v_max_f32_e32 v1, v1, v7
	v_lshl_add_u32 v7, v0, 2, 0x100
	ds_bpermute_b32 v1, v13, v1
	s_and_saveexec_b32 s15, s1
	s_cbranch_execz .LBB105_21
; %bb.18:
	v_lshl_add_u32 v15, v0, 2, 0x100
	v_mov_b32_e32 v14, 0
	v_mov_b32_e32 v16, v0
	s_mov_b32 s28, 0
	.p2align	6
.LBB105_19:                             ; =>This Inner Loop Header: Depth=1
	ds_load_b32 v17, v15
	v_add_nc_u32_e32 v16, 0x80, v16
	s_delay_alu instid0(VALU_DEP_1) | instskip(NEXT) | instid1(VALU_DEP_1)
	v_cmp_le_i32_e64 s3, s7, v16
	s_or_b32 s28, s3, s28
	s_waitcnt lgkmcnt(0)
	v_sub_f32_e32 v17, v17, v1
	s_delay_alu instid0(VALU_DEP_1) | instskip(NEXT) | instid1(VALU_DEP_1)
	v_mul_f32_e32 v17, 0x3fb8aa3b, v17
	v_exp_f32_e32 v17, v17
	ds_store_b32 v15, v17
	v_dual_add_f32 v14, v14, v17 :: v_dual_add_nc_u32 v15, 0x200, v15
	s_and_not1_b32 exec_lo, exec_lo, s28
	s_cbranch_execnz .LBB105_19
; %bb.20:
	s_or_b32 exec_lo, exec_lo, s28
.LBB105_21:
	s_delay_alu instid0(SALU_CYCLE_1)
	s_or_b32 exec_lo, exec_lo, s15
	ds_bpermute_b32 v3, v3, v14
	s_waitcnt lgkmcnt(0)
	v_add_f32_e32 v3, v14, v3
	ds_bpermute_b32 v4, v4, v3
	s_waitcnt lgkmcnt(0)
	v_add_f32_e32 v3, v3, v4
	;; [unrolled: 3-line block ×5, first 2 shown]
	s_and_saveexec_b32 s3, vcc_lo
	s_cbranch_execz .LBB105_23
; %bb.22:
	ds_store_b32 v9, v3 offset:240
.LBB105_23:
	s_or_b32 exec_lo, exec_lo, s3
	s_waitcnt lgkmcnt(0)
	s_barrier
	buffer_gl0_inv
	s_and_saveexec_b32 s3, s0
	s_cbranch_execz .LBB105_25
; %bb.24:
	ds_load_b32 v3, v12 offset:240
.LBB105_25:
	s_or_b32 exec_lo, exec_lo, s3
	s_waitcnt lgkmcnt(0)
	ds_bpermute_b32 v2, v2, v3
	s_waitcnt lgkmcnt(0)
	v_add_f32_e32 v2, v3, v2
	ds_bpermute_b32 v3, v11, v2
	s_waitcnt lgkmcnt(0)
	v_add_f32_e32 v2, v2, v3
	ds_bpermute_b32 v2, v13, v2
	s_and_saveexec_b32 s0, s1
	s_cbranch_execz .LBB105_28
; %bb.26:
	s_waitcnt lgkmcnt(0)
	v_add_f32_e32 v3, 0x358637bd, v2
	s_mov_b32 s1, 0
	s_delay_alu instid0(VALU_DEP_1) | instskip(NEXT) | instid1(VALU_DEP_1)
	v_div_scale_f32 v4, null, v3, v3, 1.0
	v_rcp_f32_e32 v8, v4
	s_waitcnt_depctr 0xfff
	v_fma_f32 v9, -v4, v8, 1.0
	s_delay_alu instid0(VALU_DEP_1) | instskip(SKIP_1) | instid1(VALU_DEP_1)
	v_fmac_f32_e32 v8, v9, v8
	v_div_scale_f32 v12, vcc_lo, 1.0, v3, 1.0
	v_mul_f32_e32 v9, v12, v8
	s_delay_alu instid0(VALU_DEP_1) | instskip(NEXT) | instid1(VALU_DEP_1)
	v_fma_f32 v13, -v4, v9, v12
	v_fmac_f32_e32 v9, v13, v8
	s_delay_alu instid0(VALU_DEP_1) | instskip(NEXT) | instid1(VALU_DEP_1)
	v_fma_f32 v4, -v4, v9, v12
	v_div_fmas_f32 v4, v4, v8, v9
	s_delay_alu instid0(VALU_DEP_1)
	v_div_fixup_f32 v3, v4, v3, 1.0
	v_mov_b32_e32 v4, v0
.LBB105_27:                             ; =>This Inner Loop Header: Depth=1
	ds_load_b32 v8, v7
	v_add_nc_u32_e32 v4, 0x80, v4
	s_delay_alu instid0(VALU_DEP_1)
	v_cmp_le_i32_e32 vcc_lo, s7, v4
	s_or_b32 s1, vcc_lo, s1
	s_waitcnt lgkmcnt(0)
	v_mul_f32_e32 v8, v3, v8
	ds_store_b32 v7, v8
	v_add_nc_u32_e32 v7, 0x200, v7
	s_and_not1_b32 exec_lo, exec_lo, s1
	s_cbranch_execnz .LBB105_27
.LBB105_28:
	s_or_b32 exec_lo, exec_lo, s0
	s_mul_i32 s0, s4, s14
	s_waitcnt lgkmcnt(0)
	s_mul_i32 s14, s0, s13
	s_mov_b32 s0, exec_lo
	s_barrier
	buffer_gl0_inv
	v_cmpx_eq_u32_e32 0, v0
	s_cbranch_execz .LBB105_30
; %bb.29:
	s_ashr_i32 s15, s14, 31
	s_mul_i32 s34, s4, s20
	s_lshl_b64 s[28:29], s[14:15], 2
	v_mov_b32_e32 v3, 0
	s_add_u32 s1, s10, s28
	s_addc_u32 s3, s11, s29
	s_ashr_i32 s35, s34, 31
	s_delay_alu instid0(SALU_CYCLE_1) | instskip(NEXT) | instid1(SALU_CYCLE_1)
	s_lshl_b64 s[10:11], s[34:35], 2
	s_add_u32 s1, s1, s10
	s_addc_u32 s3, s3, s11
	s_ashr_i32 s13, s12, 31
	s_delay_alu instid0(SALU_CYCLE_1) | instskip(NEXT) | instid1(SALU_CYCLE_1)
	s_lshl_b64 s[34:35], s[12:13], 2
	s_add_u32 s36, s1, s34
	s_addc_u32 s37, s3, s35
	s_add_u32 s1, s8, s28
	s_addc_u32 s3, s9, s29
	;; [unrolled: 2-line block ×4, first 2 shown]
	s_clause 0x1
	global_store_b32 v3, v1, s[36:37]
	global_store_b32 v3, v2, s[8:9]
.LBB105_30:
	s_or_b32 exec_lo, exec_lo, s0
	v_dual_mov_b32 v12, 0 :: v_dual_mov_b32 v15, 0
	v_dual_mov_b32 v14, 0 :: v_dual_mov_b32 v17, 0
	;; [unrolled: 1-line block ×3, first 2 shown]
	v_mov_b32_e32 v18, 0
	s_mov_b32 s3, 0
	s_and_saveexec_b32 s1, s2
	s_cbranch_execz .LBB105_48
; %bb.31:
	v_dual_mov_b32 v13, 0 :: v_dual_lshlrev_b32 v2, 4, v0
	s_ashr_i32 s7, s6, 31
	v_dual_mov_b32 v18, 0 :: v_dual_and_b32 v1, 8, v26
	s_delay_alu instid0(VALU_DEP_2)
	v_dual_mov_b32 v17, 0 :: v_dual_and_b32 v2, 0x1f0, v2
	s_lshl_b64 s[6:7], s[6:7], 1
	v_dual_mov_b32 v16, 0 :: v_dual_lshlrev_b32 v3, 5, v24
	s_add_u32 s0, s26, s6
	v_add3_u32 v21, s31, v27, v1
	v_add_co_u32 v19, s0, s0, v2
	v_lshlrev_b64 v[1:2], 2, v[5:6]
	s_addc_u32 s9, s27, s7
	s_lshl_b64 s[10:11], s[24:25], 2
	s_add_i32 s21, s21, -1
	v_lshl_or_b32 v3, v25, 6, v3
	v_add_co_ci_u32_e64 v20, null, s9, 0, s0
	s_add_u32 s0, s22, s10
	s_addc_u32 s9, s23, s11
	v_add_co_u32 v6, vcc_lo, s0, v1
	v_dual_mov_b32 v15, 0 :: v_dual_add_nc_u32 v22, 0x100, v3
	v_add_co_ci_u32_e32 v7, vcc_lo, s9, v2, vcc_lo
	v_mov_b32_e32 v14, 0
	v_mov_b32_e32 v12, 0
	s_mov_b32 s2, s5
	s_mov_b32 s5, s30
	;; [unrolled: 1-line block ×8, first 2 shown]
	s_branch .LBB105_33
.LBB105_32:                             ;   in Loop: Header=BB105_33 Depth=1
	s_or_b32 exec_lo, exec_lo, s0
	v_dual_add_f32 v8, v37, v38 :: v_dual_add_f32 v9, v39, v40
	v_add_f32_e32 v26, v41, v42
	s_waitcnt vmcnt(0)
	;;#ASMSTART
	v_pk_mul_f16 v1, v36, v1;

	;;#ASMEND
	;;#ASMSTART
	v_pk_mul_f16 v2, v35, v2;

	;;#ASMEND
	;;#ASMSTART
	v_pk_mul_f16 v3, v34, v3;

	;;#ASMEND
	;;#ASMSTART
	v_pk_mul_f16 v4, v33, v4;

	;;#ASMEND
	;;#ASMSTART
	v_pk_add_f16 v1, v1, v2;

	;;#ASMEND
	;;#ASMSTART
	v_pk_add_f16 v1, v1, v3;

	;;#ASMEND
	v_add_f32_e32 v3, v43, v44
	;;#ASMSTART
	v_pk_add_f16 v1, v1, v4;

	;;#ASMEND
	v_dual_add_f32 v13, v13, v8 :: v_dual_add_f32 v18, v18, v9
	v_dual_add_f32 v17, v17, v26 :: v_dual_and_b32 v2, 0xffff, v1
	v_lshrrev_b32_e32 v1, 16, v1
	v_dual_add_f32 v8, v47, v48 :: v_dual_add_nc_u32 v5, 4, v5
	;;#ASMSTART
	v_cvt_f32_f16 v2, v2;
	;;#ASMEND
	;;#ASMSTART
	v_cvt_f32_f16 v1, v1;
	;;#ASMEND
	s_delay_alu instid0(VALU_DEP_2) | instskip(NEXT) | instid1(VALU_DEP_2)
	v_dual_add_f32 v4, v45, v46 :: v_dual_add_f32 v1, v2, v1
	v_cmp_le_i32_e32 vcc_lo, s17, v5
	v_add_co_u32 v6, s0, v6, 16
	s_delay_alu instid0(VALU_DEP_3)
	v_dual_add_f32 v16, v16, v3 :: v_dual_add_f32 v15, v15, v4
	v_dual_add_f32 v14, v14, v8 :: v_dual_add_nc_u32 v21, 64, v21
	v_add_f32_e32 v12, v12, v1
	v_add_nc_u32_e32 v22, 0x100, v22
	v_add_co_ci_u32_e64 v7, s0, 0, v7, s0
	s_or_b32 s3, vcc_lo, s3
	s_delay_alu instid0(SALU_CYCLE_1)
	s_and_not1_b32 exec_lo, exec_lo, s3
	s_cbranch_execz .LBB105_47
.LBB105_33:                             ; =>This Inner Loop Header: Depth=1
	global_load_b32 v30, v[6:7], off
	ds_load_2addr_b64 v[1:4], v22 offset1:1
	ds_load_2addr_b64 v[26:29], v22 offset0:2 offset1:3
	v_or_b32_e32 v31, 7, v21
	v_or_b32_e32 v32, 6, v21
	s_waitcnt lgkmcnt(1)
	;;#ASMSTART
	v_cvt_f16_f32 v35, v1;

	;;#ASMEND
	;;#ASMSTART
	v_cvt_f16_f32 v33, v2;

	;;#ASMEND
	;; [unrolled: 4-line block ×4, first 2 shown]
	s_waitcnt lgkmcnt(0)
	;;#ASMSTART
	v_cvt_f16_f32 v39, v26;

	;;#ASMEND
	;;#ASMSTART
	v_cvt_f16_f32 v37, v27;

	;;#ASMEND
	;; [unrolled: 4-line block ×4, first 2 shown]
	v_add_nc_u32_e32 v26, 1, v21
	v_or_b32_e32 v28, 3, v21
	v_or_b32_e32 v27, 2, v21
	;; [unrolled: 1-line block ×3, first 2 shown]
	s_waitcnt vmcnt(0)
	v_mad_i64_i32 v[8:9], null, v30, s2, 0
	v_or_b32_e32 v30, 5, v21
	s_delay_alu instid0(VALU_DEP_2) | instskip(NEXT) | instid1(VALU_DEP_1)
	v_lshlrev_b64 v[8:9], 1, v[8:9]
	v_add_co_u32 v8, vcc_lo, v19, v8
	s_delay_alu instid0(VALU_DEP_2)
	v_add_co_ci_u32_e32 v9, vcc_lo, v20, v9, vcc_lo
	v_cmp_eq_u32_e32 vcc_lo, s21, v5
	global_load_b128 v[1:4], v[8:9], off
	s_and_saveexec_b32 s13, vcc_lo
	s_cbranch_execz .LBB105_35
; %bb.34:                               ;   in Loop: Header=BB105_33 Depth=1
	v_cmp_gt_i32_e64 s0, s10, v32
	s_waitcnt vmcnt(0)
	v_lshrrev_b32_e32 v41, 16, v4
	v_lshrrev_b32_e32 v42, 16, v3
	;; [unrolled: 1-line block ×4, first 2 shown]
	v_cndmask_b32_e64 v4, 0, v4, s0
	v_cmp_gt_i32_e64 s0, s11, v31
	s_delay_alu instid0(VALU_DEP_1) | instskip(SKIP_1) | instid1(VALU_DEP_2)
	v_cndmask_b32_e64 v41, 0, v41, s0
	v_cmp_gt_i32_e64 s0, s9, v30
	v_perm_b32 v4, v41, v4, 0x5040100
	s_delay_alu instid0(VALU_DEP_2) | instskip(SKIP_1) | instid1(VALU_DEP_1)
	v_cndmask_b32_e64 v42, 0, v42, s0
	v_cmp_gt_i32_e64 s0, s8, v29
	v_cndmask_b32_e64 v3, 0, v3, s0
	v_cmp_gt_i32_e64 s0, s7, v28
	s_delay_alu instid0(VALU_DEP_2) | instskip(NEXT) | instid1(VALU_DEP_2)
	v_perm_b32 v3, v42, v3, 0x5040100
	v_cndmask_b32_e64 v43, 0, v43, s0
	v_cmp_gt_i32_e64 s0, s6, v27
	s_delay_alu instid0(VALU_DEP_1) | instskip(SKIP_1) | instid1(VALU_DEP_2)
	v_cndmask_b32_e64 v2, 0, v2, s0
	v_cmp_gt_i32_e64 s0, s5, v26
	v_perm_b32 v2, v43, v2, 0x5040100
	s_delay_alu instid0(VALU_DEP_2) | instskip(SKIP_1) | instid1(VALU_DEP_1)
	v_cndmask_b32_e64 v44, 0, v44, s0
	v_cmp_gt_i32_e64 s0, s30, v21
	v_cndmask_b32_e64 v1, 0, v1, s0
	s_delay_alu instid0(VALU_DEP_1)
	v_perm_b32 v1, v44, v1, 0x5040100
.LBB105_35:                             ;   in Loop: Header=BB105_33 Depth=1
	s_or_b32 exec_lo, exec_lo, s13
	v_and_b32_e32 v35, 0xffff, v35
	v_and_b32_e32 v41, 0xffff, v36
	;; [unrolled: 1-line block ×4, first 2 shown]
	s_delay_alu instid0(VALU_DEP_4)
	v_lshl_or_b32 v36, v33, 16, v35
	s_waitcnt vmcnt(0)
	;;#ASMSTART
	v_pk_mul_f16 v1, v36, v1;

	;;#ASMEND
	v_lshl_or_b32 v35, v34, 16, v41
	v_lshl_or_b32 v34, v37, 16, v39
	;; [unrolled: 1-line block ×3, first 2 shown]
	;;#ASMSTART
	v_pk_mul_f16 v2, v35, v2;

	;;#ASMEND
	;;#ASMSTART
	v_pk_mul_f16 v3, v34, v3;

	;;#ASMEND
	;; [unrolled: 4-line block ×3, first 2 shown]
	;;#ASMSTART
	v_pk_add_f16 v1, v1, v2;

	;;#ASMEND
	;;#ASMSTART
	v_pk_add_f16 v1, v1, v3;

	;;#ASMEND
	;; [unrolled: 4-line block ×3, first 2 shown]
	v_and_b32_e32 v2, 0xffff, v1
	v_lshrrev_b32_e32 v1, 16, v1
	;;#ASMSTART
	v_cvt_f32_f16 v37, v2;
	;;#ASMEND
	;;#ASMSTART
	v_cvt_f32_f16 v38, v1;
	;;#ASMEND
	global_load_b128 v[1:4], v[8:9], off offset:512
	s_and_saveexec_b32 s13, vcc_lo
	s_cbranch_execz .LBB105_37
; %bb.36:                               ;   in Loop: Header=BB105_33 Depth=1
	v_cmp_gt_i32_e64 s0, s10, v32
	s_waitcnt vmcnt(0)
	v_lshrrev_b32_e32 v39, 16, v4
	v_lshrrev_b32_e32 v40, 16, v3
	;; [unrolled: 1-line block ×4, first 2 shown]
	v_cndmask_b32_e64 v4, 0, v4, s0
	v_cmp_gt_i32_e64 s0, s11, v31
	s_delay_alu instid0(VALU_DEP_1) | instskip(SKIP_1) | instid1(VALU_DEP_2)
	v_cndmask_b32_e64 v39, 0, v39, s0
	v_cmp_gt_i32_e64 s0, s9, v30
	v_perm_b32 v4, v39, v4, 0x5040100
	s_delay_alu instid0(VALU_DEP_2) | instskip(SKIP_1) | instid1(VALU_DEP_1)
	v_cndmask_b32_e64 v40, 0, v40, s0
	v_cmp_gt_i32_e64 s0, s8, v29
	v_cndmask_b32_e64 v3, 0, v3, s0
	v_cmp_gt_i32_e64 s0, s7, v28
	s_delay_alu instid0(VALU_DEP_2) | instskip(NEXT) | instid1(VALU_DEP_2)
	v_perm_b32 v3, v40, v3, 0x5040100
	v_cndmask_b32_e64 v41, 0, v41, s0
	v_cmp_gt_i32_e64 s0, s6, v27
	s_delay_alu instid0(VALU_DEP_1) | instskip(SKIP_1) | instid1(VALU_DEP_2)
	v_cndmask_b32_e64 v2, 0, v2, s0
	v_cmp_gt_i32_e64 s0, s5, v26
	v_perm_b32 v2, v41, v2, 0x5040100
	s_delay_alu instid0(VALU_DEP_2) | instskip(SKIP_1) | instid1(VALU_DEP_1)
	v_cndmask_b32_e64 v42, 0, v42, s0
	v_cmp_gt_i32_e64 s0, s30, v21
	v_cndmask_b32_e64 v1, 0, v1, s0
	s_delay_alu instid0(VALU_DEP_1)
	v_perm_b32 v1, v42, v1, 0x5040100
.LBB105_37:                             ;   in Loop: Header=BB105_33 Depth=1
	s_or_b32 exec_lo, exec_lo, s13
	s_waitcnt vmcnt(0)
	;;#ASMSTART
	v_pk_mul_f16 v1, v36, v1;

	;;#ASMEND
	;;#ASMSTART
	v_pk_mul_f16 v2, v35, v2;

	;;#ASMEND
	;; [unrolled: 4-line block ×4, first 2 shown]
	;;#ASMSTART
	v_pk_add_f16 v1, v1, v2;

	;;#ASMEND
	;;#ASMSTART
	v_pk_add_f16 v1, v1, v3;

	;;#ASMEND
	;; [unrolled: 4-line block ×3, first 2 shown]
	v_and_b32_e32 v2, 0xffff, v1
	v_lshrrev_b32_e32 v1, 16, v1
	;;#ASMSTART
	v_cvt_f32_f16 v39, v2;
	;;#ASMEND
	;;#ASMSTART
	v_cvt_f32_f16 v40, v1;
	;;#ASMEND
	global_load_b128 v[1:4], v[8:9], off offset:1024
	s_and_saveexec_b32 s13, vcc_lo
	s_cbranch_execz .LBB105_39
; %bb.38:                               ;   in Loop: Header=BB105_33 Depth=1
	v_cmp_gt_i32_e64 s0, s10, v32
	s_waitcnt vmcnt(0)
	v_lshrrev_b32_e32 v41, 16, v4
	v_lshrrev_b32_e32 v42, 16, v3
	;; [unrolled: 1-line block ×4, first 2 shown]
	v_cndmask_b32_e64 v4, 0, v4, s0
	v_cmp_gt_i32_e64 s0, s11, v31
	s_delay_alu instid0(VALU_DEP_1) | instskip(SKIP_1) | instid1(VALU_DEP_2)
	v_cndmask_b32_e64 v41, 0, v41, s0
	v_cmp_gt_i32_e64 s0, s9, v30
	v_perm_b32 v4, v41, v4, 0x5040100
	s_delay_alu instid0(VALU_DEP_2) | instskip(SKIP_1) | instid1(VALU_DEP_1)
	v_cndmask_b32_e64 v42, 0, v42, s0
	v_cmp_gt_i32_e64 s0, s8, v29
	v_cndmask_b32_e64 v3, 0, v3, s0
	v_cmp_gt_i32_e64 s0, s7, v28
	s_delay_alu instid0(VALU_DEP_2) | instskip(NEXT) | instid1(VALU_DEP_2)
	v_perm_b32 v3, v42, v3, 0x5040100
	v_cndmask_b32_e64 v43, 0, v43, s0
	v_cmp_gt_i32_e64 s0, s6, v27
	s_delay_alu instid0(VALU_DEP_1) | instskip(SKIP_1) | instid1(VALU_DEP_2)
	v_cndmask_b32_e64 v2, 0, v2, s0
	v_cmp_gt_i32_e64 s0, s5, v26
	v_perm_b32 v2, v43, v2, 0x5040100
	s_delay_alu instid0(VALU_DEP_2) | instskip(SKIP_1) | instid1(VALU_DEP_1)
	v_cndmask_b32_e64 v44, 0, v44, s0
	v_cmp_gt_i32_e64 s0, s30, v21
	v_cndmask_b32_e64 v1, 0, v1, s0
	s_delay_alu instid0(VALU_DEP_1)
	v_perm_b32 v1, v44, v1, 0x5040100
.LBB105_39:                             ;   in Loop: Header=BB105_33 Depth=1
	s_or_b32 exec_lo, exec_lo, s13
	s_waitcnt vmcnt(0)
	;;#ASMSTART
	v_pk_mul_f16 v1, v36, v1;

	;;#ASMEND
	;;#ASMSTART
	v_pk_mul_f16 v2, v35, v2;

	;;#ASMEND
	;; [unrolled: 4-line block ×4, first 2 shown]
	;;#ASMSTART
	v_pk_add_f16 v1, v1, v2;

	;;#ASMEND
	;;#ASMSTART
	v_pk_add_f16 v1, v1, v3;

	;;#ASMEND
	;; [unrolled: 4-line block ×3, first 2 shown]
	v_and_b32_e32 v2, 0xffff, v1
	v_lshrrev_b32_e32 v1, 16, v1
	;;#ASMSTART
	v_cvt_f32_f16 v41, v2;
	;;#ASMEND
	;;#ASMSTART
	v_cvt_f32_f16 v42, v1;
	;;#ASMEND
	global_load_b128 v[1:4], v[8:9], off offset:1536
	s_and_saveexec_b32 s13, vcc_lo
	s_cbranch_execz .LBB105_41
; %bb.40:                               ;   in Loop: Header=BB105_33 Depth=1
	v_cmp_gt_i32_e64 s0, s10, v32
	s_waitcnt vmcnt(0)
	v_lshrrev_b32_e32 v43, 16, v4
	v_lshrrev_b32_e32 v44, 16, v3
	;; [unrolled: 1-line block ×4, first 2 shown]
	v_cndmask_b32_e64 v4, 0, v4, s0
	v_cmp_gt_i32_e64 s0, s11, v31
	s_delay_alu instid0(VALU_DEP_1) | instskip(SKIP_1) | instid1(VALU_DEP_2)
	v_cndmask_b32_e64 v43, 0, v43, s0
	v_cmp_gt_i32_e64 s0, s9, v30
	v_perm_b32 v4, v43, v4, 0x5040100
	s_delay_alu instid0(VALU_DEP_2) | instskip(SKIP_1) | instid1(VALU_DEP_1)
	v_cndmask_b32_e64 v44, 0, v44, s0
	v_cmp_gt_i32_e64 s0, s8, v29
	v_cndmask_b32_e64 v3, 0, v3, s0
	v_cmp_gt_i32_e64 s0, s7, v28
	s_delay_alu instid0(VALU_DEP_2) | instskip(NEXT) | instid1(VALU_DEP_2)
	v_perm_b32 v3, v44, v3, 0x5040100
	v_cndmask_b32_e64 v45, 0, v45, s0
	v_cmp_gt_i32_e64 s0, s6, v27
	s_delay_alu instid0(VALU_DEP_1) | instskip(SKIP_1) | instid1(VALU_DEP_2)
	v_cndmask_b32_e64 v2, 0, v2, s0
	v_cmp_gt_i32_e64 s0, s5, v26
	v_perm_b32 v2, v45, v2, 0x5040100
	s_delay_alu instid0(VALU_DEP_2) | instskip(SKIP_1) | instid1(VALU_DEP_1)
	v_cndmask_b32_e64 v46, 0, v46, s0
	v_cmp_gt_i32_e64 s0, s30, v21
	v_cndmask_b32_e64 v1, 0, v1, s0
	s_delay_alu instid0(VALU_DEP_1)
	v_perm_b32 v1, v46, v1, 0x5040100
.LBB105_41:                             ;   in Loop: Header=BB105_33 Depth=1
	s_or_b32 exec_lo, exec_lo, s13
	s_waitcnt vmcnt(0)
	;;#ASMSTART
	v_pk_mul_f16 v1, v36, v1;

	;;#ASMEND
	;;#ASMSTART
	v_pk_mul_f16 v2, v35, v2;

	;;#ASMEND
	;; [unrolled: 4-line block ×4, first 2 shown]
	;;#ASMSTART
	v_pk_add_f16 v1, v1, v2;

	;;#ASMEND
	;;#ASMSTART
	v_pk_add_f16 v1, v1, v3;

	;;#ASMEND
	;; [unrolled: 4-line block ×3, first 2 shown]
	v_and_b32_e32 v2, 0xffff, v1
	v_lshrrev_b32_e32 v1, 16, v1
	;;#ASMSTART
	v_cvt_f32_f16 v43, v2;
	;;#ASMEND
	;;#ASMSTART
	v_cvt_f32_f16 v44, v1;
	;;#ASMEND
	global_load_b128 v[1:4], v[8:9], off offset:2048
	s_and_saveexec_b32 s13, vcc_lo
	s_cbranch_execz .LBB105_43
; %bb.42:                               ;   in Loop: Header=BB105_33 Depth=1
	v_cmp_gt_i32_e64 s0, s10, v32
	s_waitcnt vmcnt(0)
	v_lshrrev_b32_e32 v45, 16, v4
	v_lshrrev_b32_e32 v46, 16, v3
	;; [unrolled: 1-line block ×4, first 2 shown]
	v_cndmask_b32_e64 v4, 0, v4, s0
	v_cmp_gt_i32_e64 s0, s11, v31
	s_delay_alu instid0(VALU_DEP_1) | instskip(SKIP_1) | instid1(VALU_DEP_2)
	v_cndmask_b32_e64 v45, 0, v45, s0
	v_cmp_gt_i32_e64 s0, s9, v30
	v_perm_b32 v4, v45, v4, 0x5040100
	s_delay_alu instid0(VALU_DEP_2) | instskip(SKIP_1) | instid1(VALU_DEP_1)
	v_cndmask_b32_e64 v46, 0, v46, s0
	v_cmp_gt_i32_e64 s0, s8, v29
	v_cndmask_b32_e64 v3, 0, v3, s0
	v_cmp_gt_i32_e64 s0, s7, v28
	s_delay_alu instid0(VALU_DEP_2) | instskip(NEXT) | instid1(VALU_DEP_2)
	v_perm_b32 v3, v46, v3, 0x5040100
	v_cndmask_b32_e64 v47, 0, v47, s0
	v_cmp_gt_i32_e64 s0, s6, v27
	s_delay_alu instid0(VALU_DEP_1) | instskip(SKIP_1) | instid1(VALU_DEP_2)
	v_cndmask_b32_e64 v2, 0, v2, s0
	v_cmp_gt_i32_e64 s0, s5, v26
	v_perm_b32 v2, v47, v2, 0x5040100
	s_delay_alu instid0(VALU_DEP_2) | instskip(SKIP_1) | instid1(VALU_DEP_1)
	v_cndmask_b32_e64 v48, 0, v48, s0
	v_cmp_gt_i32_e64 s0, s30, v21
	v_cndmask_b32_e64 v1, 0, v1, s0
	s_delay_alu instid0(VALU_DEP_1)
	v_perm_b32 v1, v48, v1, 0x5040100
.LBB105_43:                             ;   in Loop: Header=BB105_33 Depth=1
	s_or_b32 exec_lo, exec_lo, s13
	s_waitcnt vmcnt(0)
	;;#ASMSTART
	v_pk_mul_f16 v1, v36, v1;

	;;#ASMEND
	;;#ASMSTART
	v_pk_mul_f16 v2, v35, v2;

	;;#ASMEND
	;; [unrolled: 4-line block ×4, first 2 shown]
	;;#ASMSTART
	v_pk_add_f16 v1, v1, v2;

	;;#ASMEND
	;;#ASMSTART
	v_pk_add_f16 v1, v1, v3;

	;;#ASMEND
	;; [unrolled: 4-line block ×3, first 2 shown]
	v_and_b32_e32 v2, 0xffff, v1
	v_lshrrev_b32_e32 v1, 16, v1
	;;#ASMSTART
	v_cvt_f32_f16 v45, v2;
	;;#ASMEND
	;;#ASMSTART
	v_cvt_f32_f16 v46, v1;
	;;#ASMEND
	global_load_b128 v[1:4], v[8:9], off offset:2560
	s_and_saveexec_b32 s13, vcc_lo
	s_cbranch_execz .LBB105_45
; %bb.44:                               ;   in Loop: Header=BB105_33 Depth=1
	v_cmp_gt_i32_e64 s0, s10, v32
	s_waitcnt vmcnt(0)
	v_lshrrev_b32_e32 v47, 16, v4
	v_lshrrev_b32_e32 v48, 16, v3
	;; [unrolled: 1-line block ×4, first 2 shown]
	v_cndmask_b32_e64 v4, 0, v4, s0
	v_cmp_gt_i32_e64 s0, s11, v31
	s_delay_alu instid0(VALU_DEP_1) | instskip(SKIP_1) | instid1(VALU_DEP_2)
	v_cndmask_b32_e64 v47, 0, v47, s0
	v_cmp_gt_i32_e64 s0, s9, v30
	v_perm_b32 v4, v47, v4, 0x5040100
	s_delay_alu instid0(VALU_DEP_2) | instskip(SKIP_1) | instid1(VALU_DEP_1)
	v_cndmask_b32_e64 v48, 0, v48, s0
	v_cmp_gt_i32_e64 s0, s8, v29
	v_cndmask_b32_e64 v3, 0, v3, s0
	v_cmp_gt_i32_e64 s0, s7, v28
	s_delay_alu instid0(VALU_DEP_2) | instskip(NEXT) | instid1(VALU_DEP_2)
	v_perm_b32 v3, v48, v3, 0x5040100
	v_cndmask_b32_e64 v49, 0, v49, s0
	v_cmp_gt_i32_e64 s0, s6, v27
	s_delay_alu instid0(VALU_DEP_1) | instskip(SKIP_1) | instid1(VALU_DEP_2)
	v_cndmask_b32_e64 v2, 0, v2, s0
	v_cmp_gt_i32_e64 s0, s5, v26
	v_perm_b32 v2, v49, v2, 0x5040100
	s_delay_alu instid0(VALU_DEP_2) | instskip(SKIP_1) | instid1(VALU_DEP_1)
	v_cndmask_b32_e64 v50, 0, v50, s0
	v_cmp_gt_i32_e64 s0, s30, v21
	v_cndmask_b32_e64 v1, 0, v1, s0
	s_delay_alu instid0(VALU_DEP_1)
	v_perm_b32 v1, v50, v1, 0x5040100
.LBB105_45:                             ;   in Loop: Header=BB105_33 Depth=1
	s_or_b32 exec_lo, exec_lo, s13
	s_waitcnt vmcnt(0)
	;;#ASMSTART
	v_pk_mul_f16 v1, v36, v1;

	;;#ASMEND
	;;#ASMSTART
	v_pk_mul_f16 v2, v35, v2;

	;;#ASMEND
	;; [unrolled: 4-line block ×4, first 2 shown]
	;;#ASMSTART
	v_pk_add_f16 v1, v1, v2;

	;;#ASMEND
	;;#ASMSTART
	v_pk_add_f16 v1, v1, v3;

	;;#ASMEND
	;; [unrolled: 4-line block ×3, first 2 shown]
	v_and_b32_e32 v2, 0xffff, v1
	v_lshrrev_b32_e32 v1, 16, v1
	;;#ASMSTART
	v_cvt_f32_f16 v47, v2;
	;;#ASMEND
	;;#ASMSTART
	v_cvt_f32_f16 v48, v1;
	;;#ASMEND
	global_load_b128 v[1:4], v[8:9], off offset:3072
	s_and_saveexec_b32 s0, vcc_lo
	s_cbranch_execz .LBB105_32
; %bb.46:                               ;   in Loop: Header=BB105_33 Depth=1
	v_cmp_gt_i32_e32 vcc_lo, s10, v32
	s_waitcnt vmcnt(0)
	v_lshrrev_b32_e32 v8, 16, v4
	v_lshrrev_b32_e32 v9, 16, v3
	v_cndmask_b32_e32 v4, 0, v4, vcc_lo
	v_cmp_gt_i32_e32 vcc_lo, s11, v31
	s_delay_alu instid0(VALU_DEP_4)
	v_cndmask_b32_e32 v8, 0, v8, vcc_lo
	v_cmp_gt_i32_e32 vcc_lo, s9, v30
	v_lshrrev_b32_e32 v30, 16, v2
	v_cndmask_b32_e32 v9, 0, v9, vcc_lo
	v_cmp_gt_i32_e32 vcc_lo, s8, v29
	v_lshrrev_b32_e32 v29, 16, v1
	v_cndmask_b32_e32 v3, 0, v3, vcc_lo
	v_cmp_gt_i32_e32 vcc_lo, s7, v28
	v_perm_b32 v4, v8, v4, 0x5040100
	s_delay_alu instid0(VALU_DEP_3)
	v_perm_b32 v3, v9, v3, 0x5040100
	v_cndmask_b32_e32 v28, 0, v30, vcc_lo
	v_cmp_gt_i32_e32 vcc_lo, s6, v27
	v_cndmask_b32_e32 v2, 0, v2, vcc_lo
	v_cmp_gt_i32_e32 vcc_lo, s5, v26
	;; [unrolled: 2-line block ×3, first 2 shown]
	v_cndmask_b32_e32 v1, 0, v1, vcc_lo
	v_perm_b32 v2, v28, v2, 0x5040100
	s_delay_alu instid0(VALU_DEP_2)
	v_perm_b32 v1, v26, v1, 0x5040100
	s_branch .LBB105_32
.LBB105_47:
	s_or_b32 exec_lo, exec_lo, s3
.LBB105_48:
	s_delay_alu instid0(SALU_CYCLE_1)
	s_or_b32 exec_lo, exec_lo, s1
	ds_bpermute_b32 v1, v11, v13
	ds_bpermute_b32 v2, v11, v18
	;; [unrolled: 1-line block ×7, first 2 shown]
	v_and_b32_e32 v5, 0x3c1, v0
	v_lshrrev_b32_e32 v8, 1, v10
	s_movk_i32 s0, 0x1c0
	s_waitcnt lgkmcnt(0)
	s_waitcnt_vscnt null, 0x0
	v_mad_u32_u24 v9, v25, s0, 0x100
	s_barrier
	buffer_gl0_inv
	v_dual_add_f32 v7, v13, v1 :: v_dual_lshlrev_b32 v10, 2, v8
	v_add_f32_e32 v6, v18, v2
	v_cmp_eq_u32_e32 vcc_lo, 64, v5
	v_dual_add_f32 v4, v16, v4 :: v_dual_add_f32 v5, v17, v3
	v_dual_add_f32 v2, v14, v20 :: v_dual_add_f32 v3, v15, v19
	v_add_f32_e32 v1, v12, v11
	s_and_saveexec_b32 s0, vcc_lo
	s_cbranch_execz .LBB105_50
; %bb.49:
	v_add3_u32 v11, v9, v10, 0xfffffc80
	ds_store_2addr_b32 v11, v7, v6 offset1:16
	ds_store_2addr_b32 v11, v5, v4 offset0:32 offset1:48
	ds_store_2addr_b32 v11, v3, v2 offset0:64 offset1:80
	ds_store_b32 v11, v1 offset:384
.LBB105_50:
	s_or_b32 exec_lo, exec_lo, s0
	v_cmp_eq_u32_e32 vcc_lo, 0, v24
	s_mov_b32 s1, exec_lo
	s_waitcnt lgkmcnt(0)
	s_barrier
	buffer_gl0_inv
	v_cmpx_gt_u32_e32 64, v0
	s_cbranch_execz .LBB105_60
; %bb.51:
	s_and_saveexec_b32 s0, vcc_lo
	s_cbranch_execnz .LBB105_75
; %bb.52:
	s_or_b32 exec_lo, exec_lo, s0
	s_and_saveexec_b32 s0, vcc_lo
	s_cbranch_execnz .LBB105_76
.LBB105_53:
	s_or_b32 exec_lo, exec_lo, s0
	s_and_saveexec_b32 s0, vcc_lo
	s_cbranch_execnz .LBB105_77
.LBB105_54:
	s_or_b32 exec_lo, exec_lo, s0
	s_and_saveexec_b32 s0, vcc_lo
	s_cbranch_execnz .LBB105_78
.LBB105_55:
	s_or_b32 exec_lo, exec_lo, s0
	s_and_saveexec_b32 s0, vcc_lo
	s_cbranch_execnz .LBB105_79
.LBB105_56:
	s_or_b32 exec_lo, exec_lo, s0
	s_and_saveexec_b32 s0, vcc_lo
	s_cbranch_execnz .LBB105_80
.LBB105_57:
	s_or_b32 exec_lo, exec_lo, s0
	s_and_saveexec_b32 s0, vcc_lo
	s_cbranch_execz .LBB105_59
.LBB105_58:
	v_lshl_add_u32 v11, v8, 2, v9
	ds_load_b32 v11, v11 offset:384
	s_waitcnt lgkmcnt(0)
	v_add_f32_e32 v1, v1, v11
.LBB105_59:
	s_or_b32 exec_lo, exec_lo, s0
.LBB105_60:
	s_delay_alu instid0(SALU_CYCLE_1)
	s_or_b32 exec_lo, exec_lo, s1
	v_and_b32_e32 v11, 0x3e1, v0
	s_mov_b32 s1, exec_lo
	s_barrier
	buffer_gl0_inv
	v_cmpx_eq_u32_e32 32, v11
	s_cbranch_execz .LBB105_62
; %bb.61:
	v_add3_u32 v10, v9, v10, 0xfffffe40
	ds_store_2addr_b32 v10, v7, v6 offset1:16
	ds_store_2addr_b32 v10, v5, v4 offset0:32 offset1:48
	ds_store_2addr_b32 v10, v3, v2 offset0:64 offset1:80
	ds_store_b32 v10, v1 offset:384
.LBB105_62:
	s_or_b32 exec_lo, exec_lo, s1
	s_delay_alu instid0(SALU_CYCLE_1)
	s_mov_b32 s1, exec_lo
	s_waitcnt lgkmcnt(0)
	s_barrier
	buffer_gl0_inv
	v_cmpx_gt_u32_e32 32, v0
	s_cbranch_execz .LBB105_72
; %bb.63:
	v_lshl_add_u32 v0, v8, 2, v9
	s_and_saveexec_b32 s0, vcc_lo
	s_cbranch_execnz .LBB105_81
; %bb.64:
	s_or_b32 exec_lo, exec_lo, s0
	s_and_saveexec_b32 s0, vcc_lo
	s_cbranch_execnz .LBB105_82
.LBB105_65:
	s_or_b32 exec_lo, exec_lo, s0
	s_and_saveexec_b32 s0, vcc_lo
	s_cbranch_execnz .LBB105_83
.LBB105_66:
	s_or_b32 exec_lo, exec_lo, s0
	s_and_saveexec_b32 s0, vcc_lo
	s_cbranch_execnz .LBB105_84
.LBB105_67:
	s_or_b32 exec_lo, exec_lo, s0
	s_and_saveexec_b32 s0, vcc_lo
	s_cbranch_execnz .LBB105_85
.LBB105_68:
	s_or_b32 exec_lo, exec_lo, s0
	s_and_saveexec_b32 s0, vcc_lo
	s_cbranch_execnz .LBB105_86
.LBB105_69:
	s_or_b32 exec_lo, exec_lo, s0
	s_and_saveexec_b32 s0, vcc_lo
	s_cbranch_execz .LBB105_71
.LBB105_70:
	ds_load_b32 v0, v0 offset:384
	s_waitcnt lgkmcnt(0)
	v_add_f32_e32 v1, v1, v0
.LBB105_71:
	s_or_b32 exec_lo, exec_lo, s0
.LBB105_72:
	s_delay_alu instid0(SALU_CYCLE_1)
	s_or_b32 exec_lo, exec_lo, s1
	s_barrier
	buffer_gl0_inv
	s_mov_b32 s0, exec_lo
	v_cmpx_eq_u32_e32 0, v11
	s_cbranch_execz .LBB105_74
; %bb.73:
	s_mul_i32 s0, s14, 0x70
	s_mul_i32 s2, s4, s16
	s_ashr_i32 s1, s0, 31
	v_lshlrev_b32_e32 v0, 1, v23
	s_lshl_b64 s[0:1], s[0:1], 1
	;;#ASMSTART
	v_cvt_f16_f32 v7, v7;

	;;#ASMEND
	s_add_u32 s4, s18, s0
	s_addc_u32 s5, s19, s1
	s_ashr_i32 s3, s2, 31
	s_delay_alu instid0(SALU_CYCLE_1) | instskip(SKIP_4) | instid1(SALU_CYCLE_1)
	s_lshl_b64 s[0:1], s[2:3], 1
	s_mul_i32 s2, s12, 0x70
	s_add_u32 s4, s4, s0
	s_addc_u32 s5, s5, s1
	s_ashr_i32 s3, s2, 31
	s_lshl_b64 s[0:1], s[2:3], 1
	s_delay_alu instid0(SALU_CYCLE_1)
	s_add_u32 s0, s4, s0
	s_addc_u32 s1, s5, s1
	global_store_b16 v0, v7, s[0:1]
	;;#ASMSTART
	v_cvt_f16_f32 v6, v6;

	;;#ASMEND
	global_store_b16 v0, v6, s[0:1] offset:32
	;;#ASMSTART
	v_cvt_f16_f32 v5, v5;

	;;#ASMEND
	global_store_b16 v0, v5, s[0:1] offset:64
	;; [unrolled: 5-line block ×6, first 2 shown]
.LBB105_74:
	s_nop 0
	s_sendmsg sendmsg(MSG_DEALLOC_VGPRS)
	s_endpgm
.LBB105_75:
	v_lshl_add_u32 v11, v8, 2, v9
	ds_load_b32 v11, v11
	s_waitcnt lgkmcnt(0)
	v_add_f32_e32 v7, v7, v11
	s_or_b32 exec_lo, exec_lo, s0
	s_and_saveexec_b32 s0, vcc_lo
	s_cbranch_execz .LBB105_53
.LBB105_76:
	v_lshl_add_u32 v11, v8, 2, v9
	ds_load_b32 v11, v11 offset:64
	s_waitcnt lgkmcnt(0)
	v_add_f32_e32 v6, v6, v11
	s_or_b32 exec_lo, exec_lo, s0
	s_and_saveexec_b32 s0, vcc_lo
	s_cbranch_execz .LBB105_54
.LBB105_77:
	v_lshl_add_u32 v11, v8, 2, v9
	ds_load_b32 v11, v11 offset:128
	s_waitcnt lgkmcnt(0)
	v_add_f32_e32 v5, v5, v11
	s_or_b32 exec_lo, exec_lo, s0
	s_and_saveexec_b32 s0, vcc_lo
	s_cbranch_execz .LBB105_55
.LBB105_78:
	v_lshl_add_u32 v11, v8, 2, v9
	ds_load_b32 v11, v11 offset:192
	s_waitcnt lgkmcnt(0)
	v_add_f32_e32 v4, v4, v11
	s_or_b32 exec_lo, exec_lo, s0
	s_and_saveexec_b32 s0, vcc_lo
	s_cbranch_execz .LBB105_56
.LBB105_79:
	v_lshl_add_u32 v11, v8, 2, v9
	ds_load_b32 v11, v11 offset:256
	s_waitcnt lgkmcnt(0)
	v_add_f32_e32 v3, v3, v11
	s_or_b32 exec_lo, exec_lo, s0
	s_and_saveexec_b32 s0, vcc_lo
	s_cbranch_execz .LBB105_57
.LBB105_80:
	v_lshl_add_u32 v11, v8, 2, v9
	ds_load_b32 v11, v11 offset:320
	s_waitcnt lgkmcnt(0)
	v_add_f32_e32 v2, v2, v11
	s_or_b32 exec_lo, exec_lo, s0
	s_and_saveexec_b32 s0, vcc_lo
	s_cbranch_execnz .LBB105_58
	s_branch .LBB105_59
.LBB105_81:
	ds_load_b32 v8, v0
	s_waitcnt lgkmcnt(0)
	v_add_f32_e32 v7, v7, v8
	s_or_b32 exec_lo, exec_lo, s0
	s_and_saveexec_b32 s0, vcc_lo
	s_cbranch_execz .LBB105_65
.LBB105_82:
	ds_load_b32 v8, v0 offset:64
	s_waitcnt lgkmcnt(0)
	v_add_f32_e32 v6, v6, v8
	s_or_b32 exec_lo, exec_lo, s0
	s_and_saveexec_b32 s0, vcc_lo
	s_cbranch_execz .LBB105_66
.LBB105_83:
	ds_load_b32 v8, v0 offset:128
	s_waitcnt lgkmcnt(0)
	v_add_f32_e32 v5, v5, v8
	s_or_b32 exec_lo, exec_lo, s0
	s_and_saveexec_b32 s0, vcc_lo
	s_cbranch_execz .LBB105_67
.LBB105_84:
	ds_load_b32 v8, v0 offset:192
	s_waitcnt lgkmcnt(0)
	v_add_f32_e32 v4, v4, v8
	s_or_b32 exec_lo, exec_lo, s0
	s_and_saveexec_b32 s0, vcc_lo
	s_cbranch_execz .LBB105_68
.LBB105_85:
	ds_load_b32 v8, v0 offset:256
	s_waitcnt lgkmcnt(0)
	v_add_f32_e32 v3, v3, v8
	s_or_b32 exec_lo, exec_lo, s0
	s_and_saveexec_b32 s0, vcc_lo
	s_cbranch_execz .LBB105_69
.LBB105_86:
	ds_load_b32 v8, v0 offset:320
	s_waitcnt lgkmcnt(0)
	v_add_f32_e32 v2, v2, v8
	s_or_b32 exec_lo, exec_lo, s0
	s_and_saveexec_b32 s0, vcc_lo
	s_cbranch_execnz .LBB105_70
	s_branch .LBB105_71
	.section	.rodata,"a",@progbits
	.p2align	6, 0x0
	.amdhsa_kernel _ZN4vllm25paged_attention_v2_kernelIttLi112ELi16ELi128ELNS_18Fp8KVCacheDataTypeE0ELb0ELi512EEEvPfS2_PT_PKS3_PKT0_S9_ifPKiSB_iPKfiiiSD_SD_iiiii
		.amdhsa_group_segment_fixed_size 256
		.amdhsa_private_segment_fixed_size 0
		.amdhsa_kernarg_size 400
		.amdhsa_user_sgpr_count 13
		.amdhsa_user_sgpr_dispatch_ptr 0
		.amdhsa_user_sgpr_queue_ptr 0
		.amdhsa_user_sgpr_kernarg_segment_ptr 1
		.amdhsa_user_sgpr_dispatch_id 0
		.amdhsa_user_sgpr_private_segment_size 0
		.amdhsa_wavefront_size32 1
		.amdhsa_uses_dynamic_stack 0
		.amdhsa_enable_private_segment 0
		.amdhsa_system_sgpr_workgroup_id_x 1
		.amdhsa_system_sgpr_workgroup_id_y 1
		.amdhsa_system_sgpr_workgroup_id_z 1
		.amdhsa_system_sgpr_workgroup_info 0
		.amdhsa_system_vgpr_workitem_id 0
		.amdhsa_next_free_vgpr 117
		.amdhsa_next_free_sgpr 38
		.amdhsa_reserve_vcc 1
		.amdhsa_float_round_mode_32 0
		.amdhsa_float_round_mode_16_64 0
		.amdhsa_float_denorm_mode_32 3
		.amdhsa_float_denorm_mode_16_64 3
		.amdhsa_dx10_clamp 1
		.amdhsa_ieee_mode 1
		.amdhsa_fp16_overflow 0
		.amdhsa_workgroup_processor_mode 1
		.amdhsa_memory_ordered 1
		.amdhsa_forward_progress 0
		.amdhsa_shared_vgpr_count 0
		.amdhsa_exception_fp_ieee_invalid_op 0
		.amdhsa_exception_fp_denorm_src 0
		.amdhsa_exception_fp_ieee_div_zero 0
		.amdhsa_exception_fp_ieee_overflow 0
		.amdhsa_exception_fp_ieee_underflow 0
		.amdhsa_exception_fp_ieee_inexact 0
		.amdhsa_exception_int_div_zero 0
	.end_amdhsa_kernel
	.section	.text._ZN4vllm25paged_attention_v2_kernelIttLi112ELi16ELi128ELNS_18Fp8KVCacheDataTypeE0ELb0ELi512EEEvPfS2_PT_PKS3_PKT0_S9_ifPKiSB_iPKfiiiSD_SD_iiiii,"axG",@progbits,_ZN4vllm25paged_attention_v2_kernelIttLi112ELi16ELi128ELNS_18Fp8KVCacheDataTypeE0ELb0ELi512EEEvPfS2_PT_PKS3_PKT0_S9_ifPKiSB_iPKfiiiSD_SD_iiiii,comdat
.Lfunc_end105:
	.size	_ZN4vllm25paged_attention_v2_kernelIttLi112ELi16ELi128ELNS_18Fp8KVCacheDataTypeE0ELb0ELi512EEEvPfS2_PT_PKS3_PKT0_S9_ifPKiSB_iPKfiiiSD_SD_iiiii, .Lfunc_end105-_ZN4vllm25paged_attention_v2_kernelIttLi112ELi16ELi128ELNS_18Fp8KVCacheDataTypeE0ELb0ELi512EEEvPfS2_PT_PKS3_PKT0_S9_ifPKiSB_iPKfiiiSD_SD_iiiii
                                        ; -- End function
	.section	.AMDGPU.csdata,"",@progbits
; Kernel info:
; codeLenInByte = 10708
; NumSgprs: 40
; NumVgprs: 117
; ScratchSize: 0
; MemoryBound: 0
; FloatMode: 240
; IeeeMode: 1
; LDSByteSize: 256 bytes/workgroup (compile time only)
; SGPRBlocks: 4
; VGPRBlocks: 14
; NumSGPRsForWavesPerEU: 40
; NumVGPRsForWavesPerEU: 117
; Occupancy: 12
; WaveLimiterHint : 1
; COMPUTE_PGM_RSRC2:SCRATCH_EN: 0
; COMPUTE_PGM_RSRC2:USER_SGPR: 13
; COMPUTE_PGM_RSRC2:TRAP_HANDLER: 0
; COMPUTE_PGM_RSRC2:TGID_X_EN: 1
; COMPUTE_PGM_RSRC2:TGID_Y_EN: 1
; COMPUTE_PGM_RSRC2:TGID_Z_EN: 1
; COMPUTE_PGM_RSRC2:TIDIG_COMP_CNT: 0
	.section	.text._ZN4vllm25paged_attention_v2_kernelIttLi120ELi16ELi128ELNS_18Fp8KVCacheDataTypeE0ELb0ELi512EEEvPfS2_PT_PKS3_PKT0_S9_ifPKiSB_iPKfiiiSD_SD_iiiii,"axG",@progbits,_ZN4vllm25paged_attention_v2_kernelIttLi120ELi16ELi128ELNS_18Fp8KVCacheDataTypeE0ELb0ELi512EEEvPfS2_PT_PKS3_PKT0_S9_ifPKiSB_iPKfiiiSD_SD_iiiii,comdat
	.protected	_ZN4vllm25paged_attention_v2_kernelIttLi120ELi16ELi128ELNS_18Fp8KVCacheDataTypeE0ELb0ELi512EEEvPfS2_PT_PKS3_PKT0_S9_ifPKiSB_iPKfiiiSD_SD_iiiii ; -- Begin function _ZN4vllm25paged_attention_v2_kernelIttLi120ELi16ELi128ELNS_18Fp8KVCacheDataTypeE0ELb0ELi512EEEvPfS2_PT_PKS3_PKT0_S9_ifPKiSB_iPKfiiiSD_SD_iiiii
	.globl	_ZN4vllm25paged_attention_v2_kernelIttLi120ELi16ELi128ELNS_18Fp8KVCacheDataTypeE0ELb0ELi512EEEvPfS2_PT_PKS3_PKT0_S9_ifPKiSB_iPKfiiiSD_SD_iiiii
	.p2align	8
	.type	_ZN4vllm25paged_attention_v2_kernelIttLi120ELi16ELi128ELNS_18Fp8KVCacheDataTypeE0ELb0ELi512EEEvPfS2_PT_PKS3_PKT0_S9_ifPKiSB_iPKfiiiSD_SD_iiiii,@function
_ZN4vllm25paged_attention_v2_kernelIttLi120ELi16ELi128ELNS_18Fp8KVCacheDataTypeE0ELb0ELi512EEEvPfS2_PT_PKS3_PKT0_S9_ifPKiSB_iPKfiiiSD_SD_iiiii: ; @_ZN4vllm25paged_attention_v2_kernelIttLi120ELi16ELi128ELNS_18Fp8KVCacheDataTypeE0ELb0ELi512EEEvPfS2_PT_PKS3_PKT0_S9_ifPKiSB_iPKfiiiSD_SD_iiiii
; %bb.0:
	s_load_b64 s[2:3], s[0:1], 0x40
	s_mov_b32 s12, s15
	s_ashr_i32 s15, s14, 31
	s_delay_alu instid0(SALU_CYCLE_1)
	s_lshl_b64 s[4:5], s[14:15], 2
	s_waitcnt lgkmcnt(0)
	s_add_u32 s2, s2, s4
	s_addc_u32 s3, s3, s5
	s_lshl_b32 s33, s12, 9
	s_load_b32 s15, s[2:3], 0x0
	s_waitcnt lgkmcnt(0)
	s_cmp_ge_i32 s33, s15
	s_cbranch_scc1 .LBB106_105
; %bb.1:
	s_mov_b32 s20, s13
	s_clause 0x1
	s_load_b32 s13, s[0:1], 0x90
	s_load_b64 s[30:31], s[0:1], 0x30
	s_waitcnt lgkmcnt(0)
	s_abs_i32 s5, s13
	s_abs_i32 s2, s30
	s_delay_alu instid0(SALU_CYCLE_1) | instskip(SKIP_1) | instid1(VALU_DEP_1)
	v_cvt_f32_u32_e32 v1, s2
	s_sub_i32 s4, 0, s2
	v_rcp_iflag_f32_e32 v1, v1
	s_waitcnt_depctr 0xfff
	v_mul_f32_e32 v1, 0x4f7ffffe, v1
	s_delay_alu instid0(VALU_DEP_1) | instskip(NEXT) | instid1(VALU_DEP_1)
	v_cvt_u32_f32_e32 v1, v1
	v_readfirstlane_b32 s3, v1
	s_delay_alu instid0(VALU_DEP_1) | instskip(NEXT) | instid1(SALU_CYCLE_1)
	s_mul_i32 s4, s4, s3
	s_mul_hi_u32 s4, s3, s4
	s_delay_alu instid0(SALU_CYCLE_1)
	s_add_i32 s3, s3, s4
	s_xor_b32 s4, s13, s30
	s_mul_hi_u32 s3, s5, s3
	s_ashr_i32 s4, s4, 31
	s_mul_i32 s6, s3, s2
	s_mov_b32 s30, 0
	s_sub_i32 s5, s5, s6
	s_add_i32 s6, s3, 1
	s_sub_i32 s7, s5, s2
	s_cmp_ge_u32 s5, s2
	s_cselect_b32 s3, s6, s3
	s_cselect_b32 s5, s7, s5
	s_add_i32 s6, s3, 1
	s_cmp_ge_u32 s5, s2
	s_cselect_b32 s2, s6, s3
	s_abs_i32 s10, s20
	s_xor_b32 s2, s2, s4
	s_delay_alu instid0(SALU_CYCLE_1) | instskip(SKIP_2) | instid1(SALU_CYCLE_1)
	s_sub_i32 s11, s2, s4
	s_load_b64 s[2:3], s[0:1], 0x50
	s_abs_i32 s8, s11
	v_cvt_f32_u32_e32 v1, s8
	s_sub_i32 s5, 0, s8
	s_delay_alu instid0(VALU_DEP_1) | instskip(SKIP_2) | instid1(VALU_DEP_1)
	v_rcp_iflag_f32_e32 v1, v1
	s_waitcnt_depctr 0xfff
	v_mul_f32_e32 v1, 0x4f7ffffe, v1
	v_cvt_u32_f32_e32 v1, v1
	s_delay_alu instid0(VALU_DEP_1) | instskip(NEXT) | instid1(VALU_DEP_1)
	v_readfirstlane_b32 s4, v1
	s_mul_i32 s5, s5, s4
	s_delay_alu instid0(SALU_CYCLE_1) | instskip(NEXT) | instid1(SALU_CYCLE_1)
	s_mul_hi_u32 s5, s4, s5
	s_add_i32 s4, s4, s5
	s_waitcnt lgkmcnt(0)
	s_cmp_eq_u64 s[2:3], 0
	s_mul_hi_u32 s9, s10, s4
	s_cbranch_scc1 .LBB106_3
; %bb.2:
	s_ashr_i32 s21, s20, 31
	s_delay_alu instid0(SALU_CYCLE_1) | instskip(NEXT) | instid1(SALU_CYCLE_1)
	s_lshl_b64 s[4:5], s[20:21], 2
	s_add_u32 s2, s2, s4
	s_addc_u32 s3, s3, s5
	s_load_b32 s30, s[2:3], 0x0
.LBB106_3:
	s_load_b128 s[4:7], s[0:1], 0x58
	v_lshrrev_b32_e32 v27, 1, v0
	v_and_b32_e32 v28, 1, v0
	v_lshlrev_b32_e32 v30, 3, v0
	s_ashr_i32 s2, s20, 31
	s_ashr_i32 s3, s11, 31
	s_mul_i32 s16, s20, 0x78
	s_waitcnt lgkmcnt(0)
	s_mov_b32 s7, exec_lo
	v_cmpx_gt_u32_e32 30, v0
	s_cbranch_execz .LBB106_5
; %bb.4:
	s_load_b64 s[18:19], s[0:1], 0x18
	s_mul_i32 s22, s14, s4
	v_lshlrev_b32_e32 v3, 3, v27
	s_ashr_i32 s23, s22, 31
	s_delay_alu instid0(SALU_CYCLE_1) | instskip(NEXT) | instid1(VALU_DEP_1)
	s_lshl_b64 s[22:23], s[22:23], 1
	v_mad_u32_u24 v3, 0x78, v28, v3
	s_waitcnt lgkmcnt(0)
	s_add_u32 s4, s18, s22
	s_addc_u32 s11, s19, s23
	s_ashr_i32 s17, s16, 31
	s_delay_alu instid0(SALU_CYCLE_1) | instskip(NEXT) | instid1(SALU_CYCLE_1)
	s_lshl_b64 s[18:19], s[16:17], 1
	s_add_u32 s18, s4, s18
	s_addc_u32 s19, s11, s19
	global_load_b64 v[1:2], v30, s[18:19]
	s_waitcnt vmcnt(0)
	ds_store_b64 v3, v[1:2]
.LBB106_5:
	s_or_b32 exec_lo, exec_lo, s7
	s_add_i32 s4, s15, 15
	s_lshl_b32 s7, s12, 5
	s_ashr_i32 s11, s4, 31
	s_mul_i32 s18, s9, s8
	s_lshr_b32 s11, s11, 28
	s_xor_b32 s2, s2, s3
	s_add_i32 s4, s4, s11
	s_add_i32 s11, s7, 32
	s_ashr_i32 s21, s4, 4
	s_clause 0x1
	s_load_b64 s[22:23], s[0:1], 0x38
	s_load_b32 s4, s[0:1], 0x48
	s_sub_i32 s3, s10, s18
	s_min_i32 s17, s11, s21
	s_add_i32 s10, s9, 1
	s_sub_i32 s11, s3, s8
	s_cmp_ge_u32 s3, s8
	v_lshrrev_b32_e32 v29, 5, v0
	s_cselect_b32 s9, s10, s9
	s_cselect_b32 s3, s11, s3
	s_add_i32 s10, s9, 1
	s_cmp_ge_u32 s3, s8
	v_or_b32_e32 v5, s7, v29
	s_cselect_b32 s3, s10, s9
	v_mbcnt_lo_u32_b32 v32, -1, 0
	s_xor_b32 s3, s3, s2
	s_waitcnt lgkmcnt(0)
	s_sub_i32 s3, s3, s2
	v_cmp_le_i32_e64 s2, s17, v5
	s_barrier
	buffer_gl0_inv
	s_mul_i32 s24, s14, s4
                                        ; implicit-def: $sgpr28
                                        ; implicit-def: $vgpr33
	s_delay_alu instid0(SALU_CYCLE_1) | instskip(SKIP_1) | instid1(SALU_CYCLE_1)
	s_ashr_i32 s25, s24, 31
	s_and_saveexec_b32 s4, s2
	s_xor_b32 s4, exec_lo, s4
; %bb.6:
	v_mbcnt_lo_u32_b32 v32, -1, 0
	v_mov_b32_e32 v33, 32
	s_mov_b32 s28, 0xff7fffff
; %bb.7:
	s_or_saveexec_b32 s34, s4
	s_clause 0x3
	s_load_b128 s[8:11], s[0:1], 0x0
	s_load_b64 s[18:19], s[0:1], 0x10
	s_load_b64 s[26:27], s[0:1], 0x28
	s_load_b32 s4, s[0:1], 0x98
	v_dual_mov_b32 v34, s28 :: v_dual_lshlrev_b32 v31, 4, v29
	v_ashrrev_i32_e32 v6, 31, v5
	s_mul_i32 s28, s3, s6
	s_xor_b32 exec_lo, exec_lo, s34
	s_cbranch_execz .LBB106_13
; %bb.8:
	s_load_b64 s[36:37], s[0:1], 0x20
	v_bfe_u32 v3, v0, 1, 4
	s_ashr_i32 s29, s28, 31
	v_dual_mov_b32 v33, 32 :: v_dual_and_b32 v4, 8, v30
	s_lshl_b64 s[38:39], s[28:29], 1
	s_delay_alu instid0(VALU_DEP_2) | instskip(SKIP_2) | instid1(VALU_DEP_3)
	v_dual_mov_b32 v34, 0xff7fffff :: v_dual_lshlrev_b32 v1, 2, v3
	v_dual_mov_b32 v41, v5 :: v_dual_lshlrev_b32 v8, 4, v3
	v_add3_u32 v36, s33, v31, v3
	v_lshl_or_b32 v7, v29, 6, v1
	v_lshlrev_b64 v[1:2], 2, v[5:6]
	v_mul_u32_u24_e32 v35, 0x78, v28
	v_cmp_eq_u32_e32 vcc_lo, 0, v28
	v_cmp_neq_f32_e64 s0, s30, 0
	v_add_nc_u32_e32 v37, 0x110, v7
	v_xor_b32_e32 v40, 1, v32
	s_mov_b32 s35, s5
	s_waitcnt lgkmcnt(0)
	s_add_u32 s1, s36, s38
	s_addc_u32 s3, s37, s39
	v_add_co_u32 v3, s1, s1, v8
	s_delay_alu instid0(VALU_DEP_1) | instskip(SKIP_2) | instid1(VALU_DEP_2)
	v_add_co_ci_u32_e64 v7, null, s3, 0, s1
	s_lshl_b64 s[36:37], s[24:25], 2
	s_sub_i32 s6, 1, s15
	v_add_co_u32 v38, s1, v3, v4
	s_add_u32 s3, s22, s36
	v_add_co_ci_u32_e64 v39, s1, 0, v7, s1
	s_addc_u32 s29, s23, s37
	v_add_co_u32 v1, s1, s3, v1
	s_delay_alu instid0(VALU_DEP_1)
	v_add_co_ci_u32_e64 v2, s1, s29, v2, s1
	s_mov_b32 s29, 0
	s_branch .LBB106_10
.LBB106_9:                              ;   in Loop: Header=BB106_10 Depth=1
	s_or_b32 exec_lo, exec_lo, s3
	v_add_nc_u32_e32 v41, 4, v41
	v_add_co_u32 v1, s3, v1, 16
	v_add_nc_u32_e32 v36, 64, v36
	v_add_nc_u32_e32 v37, 0x100, v37
	s_delay_alu instid0(VALU_DEP_4) | instskip(SKIP_1) | instid1(VALU_DEP_2)
	v_cmp_le_i32_e64 s1, s17, v41
	v_add_co_ci_u32_e64 v2, s3, 0, v2, s3
	s_or_b32 s29, s1, s29
	s_delay_alu instid0(SALU_CYCLE_1)
	s_and_not1_b32 exec_lo, exec_lo, s29
	s_cbranch_execz .LBB106_12
.LBB106_10:                             ; =>This Inner Loop Header: Depth=1
	global_load_b32 v7, v[1:2], off
	s_waitcnt vmcnt(0) lgkmcnt(0)
	v_mad_i64_i32 v[3:4], null, v7, s35, 0
	s_delay_alu instid0(VALU_DEP_1) | instskip(NEXT) | instid1(VALU_DEP_1)
	v_lshlrev_b64 v[3:4], 1, v[3:4]
	v_add_co_u32 v3, s1, v38, v3
	s_delay_alu instid0(VALU_DEP_1)
	v_add_co_ci_u32_e64 v4, s1, v39, v4, s1
	v_cmp_gt_i32_e64 s1, 32, v40
	s_clause 0x9
	global_load_b64 v[42:43], v[3:4], off
	global_load_b64 v[50:51], v[3:4], off offset:256
	global_load_b64 v[58:59], v[3:4], off offset:512
	;; [unrolled: 1-line block ×9, first 2 shown]
	ds_load_b64 v[7:8], v35
	s_waitcnt lgkmcnt(0)
	v_lshrrev_b32_e32 v44, 16, v7
	v_and_b32_e32 v45, 0xffff, v7
	v_lshrrev_b32_e32 v46, 16, v8
	v_and_b32_e32 v47, 0xffff, v8
	s_clause 0x4
	global_load_b64 v[13:14], v[3:4], off offset:2560
	global_load_b64 v[11:12], v[3:4], off offset:2816
	;; [unrolled: 1-line block ×5, first 2 shown]
	;;#ASMSTART
	v_cvt_f32_f16 v48, v45;
	;;#ASMEND
	s_waitcnt vmcnt(14)
	v_and_b32_e32 v45, 0xffff, v42
	v_lshrrev_b32_e32 v52, 16, v42
	v_lshrrev_b32_e32 v53, 16, v43
	;;#ASMSTART
	v_cvt_f32_f16 v42, v44;
	;;#ASMEND
	v_and_b32_e32 v54, 0xffff, v43
	;;#ASMSTART
	v_cvt_f32_f16 v49, v45;
	;;#ASMEND
	;;#ASMSTART
	v_cvt_f32_f16 v43, v52;
	;;#ASMEND
	;; [unrolled: 3-line block ×6, first 2 shown]
	ds_load_b64 v[52:53], v35 offset:8
	s_waitcnt vmcnt(13)
	v_lshrrev_b32_e32 v54, 16, v50
	v_and_b32_e32 v55, 0xffff, v50
	v_lshrrev_b32_e32 v57, 16, v51
	v_and_b32_e32 v56, 0xffff, v51
	s_waitcnt vmcnt(12)
	v_lshrrev_b32_e32 v62, 16, v58
	v_lshrrev_b32_e32 v65, 16, v59
	s_waitcnt vmcnt(11)
	v_lshrrev_b32_e32 v70, 16, v66
	v_lshrrev_b32_e32 v71, 16, v67
	;; [unrolled: 3-line block ×6, first 2 shown]
	v_and_b32_e32 v20, 0xffff, v20
	s_waitcnt vmcnt(6)
	v_lshrrev_b32_e32 v100, 16, v15
	v_lshrrev_b32_e32 v101, 16, v16
	s_waitcnt lgkmcnt(0)
	v_and_b32_e32 v50, 0xffff, v52
	v_lshrrev_b32_e32 v52, 16, v52
	v_lshrrev_b32_e32 v60, 16, v53
	v_and_b32_e32 v61, 0xffff, v53
	;;#ASMSTART
	v_cvt_f32_f16 v50, v50;
	;;#ASMEND
	;;#ASMSTART
	v_cvt_f32_f16 v51, v52;
	;;#ASMEND
	;; [unrolled: 3-line block ×8, first 2 shown]
	ds_load_b64 v[60:61], v35 offset:16
	v_mul_f32_e32 v50, v50, v52
	v_dual_mul_f32 v52, v54, v56 :: v_dual_mul_f32 v51, v51, v53
	v_dual_mul_f32 v53, v55, v57 :: v_dual_and_b32 v66, 0xffff, v66
	s_delay_alu instid0(VALU_DEP_3) | instskip(NEXT) | instid1(VALU_DEP_3)
	v_fmac_f32_e32 v50, v48, v49
	v_fmac_f32_e32 v52, v44, v46
	v_and_b32_e32 v63, 0xffff, v58
	v_fmac_f32_e32 v51, v42, v43
	v_fmac_f32_e32 v53, v45, v47
	v_and_b32_e32 v64, 0xffff, v59
	v_and_b32_e32 v16, 0xffff, v16
	s_waitcnt vmcnt(5)
	v_lshrrev_b32_e32 v106, 16, v17
	v_lshrrev_b32_e32 v107, 16, v18
	v_and_b32_e32 v18, 0xffff, v18
	s_waitcnt vmcnt(4)
	v_lshrrev_b32_e32 v112, 16, v13
	v_lshrrev_b32_e32 v113, 16, v14
	v_and_b32_e32 v14, 0xffff, v14
	s_waitcnt vmcnt(3)
	v_lshrrev_b32_e32 v118, 16, v11
	s_waitcnt lgkmcnt(0)
	v_and_b32_e32 v58, 0xffff, v60
	v_lshrrev_b32_e32 v60, 16, v60
	v_lshrrev_b32_e32 v68, 16, v61
	;;#ASMSTART
	v_cvt_f32_f16 v59, v58;
	;;#ASMEND
	;;#ASMSTART
	v_cvt_f32_f16 v58, v60;
	;;#ASMEND
	;;#ASMSTART
	v_cvt_f32_f16 v63, v63;
	;;#ASMEND
	v_dual_fmac_f32 v50, v59, v63 :: v_dual_and_b32 v61, 0xffff, v61
	;;#ASMSTART
	v_cvt_f32_f16 v60, v62;
	;;#ASMEND
	;;#ASMSTART
	v_cvt_f32_f16 v61, v61;
	;;#ASMEND
	;; [unrolled: 3-line block ×5, first 2 shown]
	ds_load_b64 v[68:69], v35 offset:24
	v_fmac_f32_e32 v51, v58, v60
	v_dual_fmac_f32 v52, v61, v64 :: v_dual_fmac_f32 v53, v62, v65
	v_lshrrev_b32_e32 v119, 16, v12
	v_and_b32_e32 v12, 0xffff, v12
	s_waitcnt vmcnt(1)
	v_lshrrev_b32_e32 v42, 16, v7
	v_lshrrev_b32_e32 v120, 16, v9
	;; [unrolled: 1-line block ×3, first 2 shown]
	v_and_b32_e32 v10, 0xffff, v10
	s_waitcnt lgkmcnt(0)
	v_and_b32_e32 v72, 0xffff, v68
	v_lshrrev_b32_e32 v68, 16, v68
	v_lshrrev_b32_e32 v73, 16, v69
	v_and_b32_e32 v69, 0xffff, v69
	;;#ASMSTART
	v_cvt_f32_f16 v72, v72;
	;;#ASMEND
	;;#ASMSTART
	v_cvt_f32_f16 v68, v68;
	;;#ASMEND
	;; [unrolled: 3-line block ×3, first 2 shown]
	v_dual_fmac_f32 v50, v72, v74 :: v_dual_and_b32 v67, 0xffff, v67
	;;#ASMSTART
	v_cvt_f32_f16 v70, v70;
	;;#ASMEND
	;;#ASMSTART
	v_cvt_f32_f16 v69, v69;
	;;#ASMEND
	;; [unrolled: 3-line block ×5, first 2 shown]
	ds_load_b64 v[66:67], v35 offset:32
	v_fmac_f32_e32 v51, v68, v70
	v_dual_fmac_f32 v52, v69, v75 :: v_dual_and_b32 v25, 0xffff, v25
	s_waitcnt lgkmcnt(0)
	v_dual_fmac_f32 v53, v73, v71 :: v_dual_and_b32 v78, 0xffff, v66
	v_lshrrev_b32_e32 v66, 16, v66
	v_lshrrev_b32_e32 v79, 16, v67
	v_and_b32_e32 v67, 0xffff, v67
	;;#ASMSTART
	v_cvt_f32_f16 v78, v78;
	;;#ASMEND
	;;#ASMSTART
	v_cvt_f32_f16 v66, v66;
	;;#ASMEND
	;; [unrolled: 3-line block ×4, first 2 shown]
	v_dual_fmac_f32 v51, v66, v76 :: v_dual_and_b32 v26, 0xffff, v26
	;;#ASMSTART
	v_cvt_f32_f16 v67, v67;
	;;#ASMEND
	;;#ASMSTART
	v_cvt_f32_f16 v79, v79;
	;;#ASMEND
	;; [unrolled: 3-line block ×4, first 2 shown]
	ds_load_b64 v[25:26], v35 offset:40
	v_dual_fmac_f32 v52, v67, v81 :: v_dual_and_b32 v23, 0xffff, v23
	v_dual_fmac_f32 v53, v79, v77 :: v_dual_and_b32 v24, 0xffff, v24
	v_fmac_f32_e32 v50, v78, v80
	s_waitcnt lgkmcnt(0)
	v_and_b32_e32 v84, 0xffff, v25
	v_lshrrev_b32_e32 v25, 16, v25
	v_lshrrev_b32_e32 v85, 16, v26
	v_and_b32_e32 v26, 0xffff, v26
	;;#ASMSTART
	v_cvt_f32_f16 v84, v84;
	;;#ASMEND
	;;#ASMSTART
	v_cvt_f32_f16 v25, v25;
	;;#ASMEND
	;; [unrolled: 3-line block ×8, first 2 shown]
	v_fmac_f32_e32 v53, v85, v83
	ds_load_b64 v[23:24], v35 offset:48
	v_fmac_f32_e32 v51, v25, v82
	v_dual_fmac_f32 v52, v26, v87 :: v_dual_and_b32 v21, 0xffff, v21
	v_fmac_f32_e32 v50, v84, v86
	s_waitcnt lgkmcnt(0)
	v_and_b32_e32 v90, 0xffff, v23
	v_lshrrev_b32_e32 v23, 16, v23
	v_lshrrev_b32_e32 v91, 16, v24
	;;#ASMSTART
	v_cvt_f32_f16 v90, v90;
	;;#ASMEND
	;;#ASMSTART
	v_cvt_f32_f16 v23, v23;
	;;#ASMEND
	;; [unrolled: 3-line block ×4, first 2 shown]
	v_fmac_f32_e32 v51, v23, v88
	v_and_b32_e32 v24, 0xffff, v24
	;;#ASMSTART
	v_cvt_f32_f16 v24, v24;
	;;#ASMEND
	;;#ASMSTART
	v_cvt_f32_f16 v91, v91;
	;;#ASMEND
	v_and_b32_e32 v22, 0xffff, v22
	;;#ASMSTART
	v_cvt_f32_f16 v93, v22;
	;;#ASMEND
	;;#ASMSTART
	v_cvt_f32_f16 v89, v89;
	;;#ASMEND
	v_fmac_f32_e32 v53, v91, v89
	ds_load_b64 v[21:22], v35 offset:56
	v_dual_fmac_f32 v52, v24, v93 :: v_dual_and_b32 v19, 0xffff, v19
	v_fmac_f32_e32 v50, v90, v92
	v_lshrrev_b32_e32 v23, 16, v8
	v_and_b32_e32 v8, 0xffff, v8
	s_waitcnt lgkmcnt(0)
	v_and_b32_e32 v96, 0xffff, v21
	v_lshrrev_b32_e32 v21, 16, v21
	v_lshrrev_b32_e32 v97, 16, v22
	;;#ASMSTART
	v_cvt_f32_f16 v96, v96;
	;;#ASMEND
	;;#ASMSTART
	v_cvt_f32_f16 v21, v21;
	;;#ASMEND
	;; [unrolled: 3-line block ×4, first 2 shown]
	v_fmac_f32_e32 v51, v21, v94
	v_and_b32_e32 v22, 0xffff, v22
	;;#ASMSTART
	v_cvt_f32_f16 v22, v22;
	;;#ASMEND
	;;#ASMSTART
	v_cvt_f32_f16 v97, v97;
	;;#ASMEND
	;; [unrolled: 3-line block ×4, first 2 shown]
	ds_load_b64 v[19:20], v35 offset:64
	v_dual_fmac_f32 v50, v96, v98 :: v_dual_and_b32 v15, 0xffff, v15
	v_dual_fmac_f32 v52, v22, v99 :: v_dual_and_b32 v17, 0xffff, v17
	v_fmac_f32_e32 v53, v97, v95
	s_waitcnt lgkmcnt(0)
	v_and_b32_e32 v102, 0xffff, v19
	v_lshrrev_b32_e32 v19, 16, v19
	v_lshrrev_b32_e32 v103, 16, v20
	v_and_b32_e32 v20, 0xffff, v20
	;;#ASMSTART
	v_cvt_f32_f16 v102, v102;
	;;#ASMEND
	;;#ASMSTART
	v_cvt_f32_f16 v19, v19;
	;;#ASMEND
	;; [unrolled: 3-line block ×8, first 2 shown]
	ds_load_b64 v[15:16], v35 offset:72
	v_dual_fmac_f32 v50, v102, v104 :: v_dual_and_b32 v13, 0xffff, v13
	v_dual_fmac_f32 v52, v20, v105 :: v_dual_and_b32 v11, 0xffff, v11
	v_fmac_f32_e32 v51, v19, v100
	v_fmac_f32_e32 v53, v103, v101
	s_waitcnt vmcnt(0)
	v_lshrrev_b32_e32 v19, 16, v3
	v_and_b32_e32 v3, 0xffff, v3
	s_waitcnt lgkmcnt(0)
	v_and_b32_e32 v108, 0xffff, v15
	v_lshrrev_b32_e32 v15, 16, v15
	v_lshrrev_b32_e32 v109, 16, v16
	v_and_b32_e32 v16, 0xffff, v16
	;;#ASMSTART
	v_cvt_f32_f16 v108, v108;
	;;#ASMEND
	;;#ASMSTART
	v_cvt_f32_f16 v110, v15;
	;;#ASMEND
	;;#ASMSTART
	v_cvt_f32_f16 v17, v17;
	;;#ASMEND
	;;#ASMSTART
	v_cvt_f32_f16 v106, v106;
	;;#ASMEND
	;;#ASMSTART
	v_cvt_f32_f16 v111, v16;
	;;#ASMEND
	;;#ASMSTART
	v_cvt_f32_f16 v109, v109;
	;;#ASMEND
	;;#ASMSTART
	v_cvt_f32_f16 v18, v18;
	;;#ASMEND
	;;#ASMSTART
	v_cvt_f32_f16 v107, v107;
	;;#ASMEND
	ds_load_b64 v[15:16], v35 offset:80
	v_dual_fmac_f32 v50, v108, v17 :: v_dual_and_b32 v7, 0xffff, v7
	v_dual_fmac_f32 v52, v111, v18 :: v_dual_and_b32 v9, 0xffff, v9
	v_fmac_f32_e32 v51, v110, v106
	v_fmac_f32_e32 v53, v109, v107
	s_waitcnt lgkmcnt(0)
	v_and_b32_e32 v114, 0xffff, v15
	v_lshrrev_b32_e32 v15, 16, v15
	v_lshrrev_b32_e32 v115, 16, v16
	v_and_b32_e32 v16, 0xffff, v16
	;;#ASMSTART
	v_cvt_f32_f16 v114, v114;
	;;#ASMEND
	;;#ASMSTART
	v_cvt_f32_f16 v15, v15;
	;;#ASMEND
	;; [unrolled: 3-line block ×8, first 2 shown]
	ds_load_b64 v[13:14], v35 offset:88
	v_fmac_f32_e32 v50, v114, v116
	v_dual_fmac_f32 v51, v15, v112 :: v_dual_fmac_f32 v52, v16, v117
	v_fmac_f32_e32 v53, v115, v113
	s_waitcnt lgkmcnt(0)
	v_and_b32_e32 v54, 0xffff, v13
	v_lshrrev_b32_e32 v13, 16, v13
	v_lshrrev_b32_e32 v48, 16, v14
	v_and_b32_e32 v14, 0xffff, v14
	;;#ASMSTART
	v_cvt_f32_f16 v49, v54;
	;;#ASMEND
	;;#ASMSTART
	v_cvt_f32_f16 v13, v13;
	;;#ASMEND
	;;#ASMSTART
	v_cvt_f32_f16 v54, v11;
	;;#ASMEND
	;;#ASMSTART
	v_cvt_f32_f16 v55, v118;
	;;#ASMEND
	;;#ASMSTART
	v_cvt_f32_f16 v14, v14;
	;;#ASMEND
	;;#ASMSTART
	v_cvt_f32_f16 v48, v48;
	;;#ASMEND
	;;#ASMSTART
	v_cvt_f32_f16 v56, v12;
	;;#ASMEND
	;;#ASMSTART
	v_cvt_f32_f16 v57, v119;
	;;#ASMEND
	ds_load_b64 v[11:12], v35 offset:96
	v_fmac_f32_e32 v50, v49, v54
	v_fmac_f32_e32 v51, v13, v55
	;; [unrolled: 1-line block ×3, first 2 shown]
	v_lshrrev_b32_e32 v13, 16, v4
	v_and_b32_e32 v4, 0xffff, v4
	s_waitcnt lgkmcnt(0)
	v_and_b32_e32 v43, 0xffff, v11
	v_lshrrev_b32_e32 v11, 16, v11
	v_lshrrev_b32_e32 v25, 16, v12
	v_and_b32_e32 v12, 0xffff, v12
	;;#ASMSTART
	v_cvt_f32_f16 v43, v43;
	;;#ASMEND
	;;#ASMSTART
	v_cvt_f32_f16 v11, v11;
	;;#ASMEND
	;; [unrolled: 3-line block ×8, first 2 shown]
	ds_load_b64 v[9:10], v35 offset:104
	v_fmac_f32_e32 v50, v43, v44
	v_fmac_f32_e32 v51, v11, v45
	v_fmac_f32_e32 v53, v25, v47
	s_waitcnt lgkmcnt(0)
	v_and_b32_e32 v17, 0xffff, v9
	v_lshrrev_b32_e32 v9, 16, v9
	v_lshrrev_b32_e32 v18, 16, v10
	v_and_b32_e32 v10, 0xffff, v10
	;;#ASMSTART
	v_cvt_f32_f16 v17, v17;
	;;#ASMEND
	;;#ASMSTART
	v_cvt_f32_f16 v9, v9;
	;;#ASMEND
	;; [unrolled: 3-line block ×8, first 2 shown]
	ds_load_b64 v[7:8], v35 offset:112
	v_fmac_f32_e32 v52, v14, v56
	v_fmac_f32_e32 v50, v17, v20
	;; [unrolled: 1-line block ×4, first 2 shown]
	s_waitcnt lgkmcnt(0)
	v_dual_fmac_f32 v52, v12, v46 :: v_dual_and_b32 v9, 0xffff, v7
	v_lshrrev_b32_e32 v7, 16, v7
	;;#ASMSTART
	v_cvt_f32_f16 v9, v9;
	;;#ASMEND
	;;#ASMSTART
	v_cvt_f32_f16 v7, v7;
	;;#ASMEND
	;; [unrolled: 3-line block ×3, first 2 shown]
	v_fmac_f32_e32 v52, v10, v22
	;;#ASMSTART
	v_cvt_f32_f16 v11, v19;
	;;#ASMEND
	v_fmac_f32_e32 v50, v9, v3
	v_fmac_f32_e32 v51, v7, v11
	v_lshrrev_b32_e32 v10, 16, v8
	v_and_b32_e32 v8, 0xffff, v8
	;;#ASMSTART
	v_cvt_f32_f16 v3, v8;
	;;#ASMEND
	;;#ASMSTART
	v_cvt_f32_f16 v7, v10;
	;;#ASMEND
	;; [unrolled: 3-line block ×3, first 2 shown]
	v_dual_fmac_f32 v52, v3, v4 :: v_dual_add_f32 v3, v50, v51
	;;#ASMSTART
	v_cvt_f32_f16 v4, v13;
	;;#ASMEND
	v_fmac_f32_e32 v53, v7, v4
	v_cndmask_b32_e64 v4, v32, v40, s1
	s_delay_alu instid0(VALU_DEP_3) | instskip(NEXT) | instid1(VALU_DEP_1)
	v_add_f32_e32 v3, v3, v52
	v_dual_add_f32 v3, v53, v3 :: v_dual_lshlrev_b32 v4, 2, v4
	ds_bpermute_b32 v4, v4, v3
	s_and_saveexec_b32 s3, vcc_lo
	s_cbranch_execz .LBB106_9
; %bb.11:                               ;   in Loop: Header=BB106_10 Depth=1
	s_waitcnt lgkmcnt(0)
	v_add_f32_e32 v3, v3, v4
	v_add_nc_u32_e32 v7, s6, v36
	v_cmp_gt_i32_e64 s1, s15, v36
	s_delay_alu instid0(VALU_DEP_2) | instskip(NEXT) | instid1(VALU_DEP_1)
	v_cvt_f32_i32_e32 v7, v7
	v_mul_f32_e32 v7, s30, v7
	s_delay_alu instid0(VALU_DEP_1) | instskip(NEXT) | instid1(VALU_DEP_1)
	v_cndmask_b32_e64 v4, 0, v7, s0
	v_dual_max_f32 v7, v34, v34 :: v_dual_fmac_f32 v4, s31, v3
	s_delay_alu instid0(VALU_DEP_1) | instskip(SKIP_1) | instid1(VALU_DEP_2)
	v_max_f32_e32 v3, v7, v4
	v_cndmask_b32_e64 v4, 0, v4, s1
	v_cndmask_b32_e64 v34, v34, v3, s1
	ds_store_b32 v37, v4
	s_branch .LBB106_9
.LBB106_12:
	s_or_b32 exec_lo, exec_lo, s29
.LBB106_13:
	s_delay_alu instid0(SALU_CYCLE_1) | instskip(SKIP_3) | instid1(VALU_DEP_3)
	s_or_b32 exec_lo, exec_lo, s34
	v_xor_b32_e32 v1, 16, v32
	v_xor_b32_e32 v2, 8, v32
	v_dual_max_f32 v3, v34, v34 :: v_dual_lshlrev_b32 v10, 2, v29
	v_cmp_lt_i32_e32 vcc_lo, v1, v33
	v_cndmask_b32_e32 v1, v32, v1, vcc_lo
	s_delay_alu instid0(VALU_DEP_4) | instskip(SKIP_1) | instid1(VALU_DEP_2)
	v_cmp_lt_i32_e32 vcc_lo, v2, v33
	s_waitcnt lgkmcnt(0)
	v_lshlrev_b32_e32 v4, 2, v1
	ds_bpermute_b32 v1, v4, v34
	s_waitcnt lgkmcnt(0)
	v_dual_cndmask_b32 v2, v32, v2 :: v_dual_max_f32 v1, v1, v1
	s_delay_alu instid0(VALU_DEP_1) | instskip(NEXT) | instid1(VALU_DEP_2)
	v_lshlrev_b32_e32 v7, 2, v2
	v_max_f32_e32 v1, v3, v1
	v_xor_b32_e32 v3, 4, v32
	ds_bpermute_b32 v2, v7, v1
	v_cmp_lt_i32_e32 vcc_lo, v3, v33
	s_waitcnt lgkmcnt(0)
	v_max_f32_e32 v2, v2, v2
	s_delay_alu instid0(VALU_DEP_1) | instskip(SKIP_1) | instid1(VALU_DEP_1)
	v_max_f32_e32 v1, v1, v2
	v_cndmask_b32_e32 v3, v32, v3, vcc_lo
	v_lshlrev_b32_e32 v9, 2, v3
	v_xor_b32_e32 v3, 2, v32
	ds_bpermute_b32 v2, v9, v1
	v_cmp_lt_i32_e32 vcc_lo, v3, v33
	v_cndmask_b32_e32 v3, v32, v3, vcc_lo
	s_waitcnt lgkmcnt(0)
	s_delay_alu instid0(VALU_DEP_1) | instskip(NEXT) | instid1(VALU_DEP_1)
	v_dual_max_f32 v2, v2, v2 :: v_dual_lshlrev_b32 v3, 2, v3
	v_dual_max_f32 v2, v1, v2 :: v_dual_and_b32 v1, 31, v0
	ds_bpermute_b32 v8, v3, v2
	v_cmp_eq_u32_e32 vcc_lo, 0, v1
	s_and_saveexec_b32 s0, vcc_lo
	s_cbranch_execz .LBB106_15
; %bb.14:
	s_waitcnt lgkmcnt(0)
	v_max_f32_e32 v8, v8, v8
	v_max_f32_e32 v2, v2, v2
	s_delay_alu instid0(VALU_DEP_1)
	v_max_f32_e32 v2, v2, v8
	ds_store_b32 v10, v2 offset:240
.LBB106_15:
	s_or_b32 exec_lo, exec_lo, s0
	v_cmp_gt_u32_e64 s0, 4, v1
	v_mov_b32_e32 v2, 0xff7fffff
	v_lshlrev_b32_e32 v12, 2, v1
	s_waitcnt lgkmcnt(0)
	s_barrier
	buffer_gl0_inv
	s_and_saveexec_b32 s1, s0
	s_cbranch_execz .LBB106_17
; %bb.16:
	ds_load_b32 v2, v12 offset:240
.LBB106_17:
	s_or_b32 exec_lo, exec_lo, s1
	s_waitcnt lgkmcnt(0)
	ds_bpermute_b32 v8, v3, v2
	v_xor_b32_e32 v11, 1, v32
	v_dual_mov_b32 v14, 0 :: v_dual_lshlrev_b32 v13, 2, v32
	s_delay_alu instid0(VALU_DEP_2) | instskip(NEXT) | instid1(VALU_DEP_2)
	v_cmp_lt_i32_e64 s1, v11, v33
	v_and_b32_e32 v13, 0xffffff80, v13
	s_delay_alu instid0(VALU_DEP_2) | instskip(SKIP_2) | instid1(SALU_CYCLE_1)
	v_cndmask_b32_e64 v11, v32, v11, s1
	v_max_f32_e32 v2, v2, v2
	s_sub_i32 s1, s17, s7
	s_lshl_b32 s1, s1, 4
	s_delay_alu instid0(VALU_DEP_2) | instskip(SKIP_1) | instid1(SALU_CYCLE_1)
	v_lshlrev_b32_e32 v11, 2, v11
	s_add_i32 s1, s1, s33
	s_min_i32 s1, s1, s15
	s_waitcnt lgkmcnt(0)
	v_max_f32_e32 v8, v8, v8
	s_sub_i32 s6, s1, s33
	s_delay_alu instid0(SALU_CYCLE_1) | instskip(NEXT) | instid1(VALU_DEP_2)
	v_cmp_gt_i32_e64 s1, s6, v0
	v_max_f32_e32 v2, v2, v8
	ds_bpermute_b32 v8, v11, v2
	s_waitcnt lgkmcnt(0)
	v_max_f32_e32 v8, v8, v8
	s_delay_alu instid0(VALU_DEP_1)
	v_max_f32_e32 v2, v2, v8
	v_lshl_add_u32 v8, v0, 2, 0x110
	ds_bpermute_b32 v2, v13, v2
	s_and_saveexec_b32 s7, s1
	s_cbranch_execz .LBB106_21
; %bb.18:
	v_lshl_add_u32 v15, v0, 2, 0x110
	v_mov_b32_e32 v14, 0
	v_mov_b32_e32 v16, v0
	s_mov_b32 s29, 0
	.p2align	6
.LBB106_19:                             ; =>This Inner Loop Header: Depth=1
	ds_load_b32 v17, v15
	v_add_nc_u32_e32 v16, 0x80, v16
	s_delay_alu instid0(VALU_DEP_1) | instskip(NEXT) | instid1(VALU_DEP_1)
	v_cmp_le_i32_e64 s3, s6, v16
	s_or_b32 s29, s3, s29
	s_waitcnt lgkmcnt(0)
	v_sub_f32_e32 v17, v17, v2
	s_delay_alu instid0(VALU_DEP_1) | instskip(NEXT) | instid1(VALU_DEP_1)
	v_mul_f32_e32 v17, 0x3fb8aa3b, v17
	v_exp_f32_e32 v17, v17
	ds_store_b32 v15, v17
	v_dual_add_f32 v14, v14, v17 :: v_dual_add_nc_u32 v15, 0x200, v15
	s_and_not1_b32 exec_lo, exec_lo, s29
	s_cbranch_execnz .LBB106_19
; %bb.20:
	s_or_b32 exec_lo, exec_lo, s29
.LBB106_21:
	s_delay_alu instid0(SALU_CYCLE_1)
	s_or_b32 exec_lo, exec_lo, s7
	ds_bpermute_b32 v4, v4, v14
	s_waitcnt lgkmcnt(0)
	v_add_f32_e32 v4, v14, v4
	ds_bpermute_b32 v7, v7, v4
	s_waitcnt lgkmcnt(0)
	v_add_f32_e32 v4, v4, v7
	;; [unrolled: 3-line block ×5, first 2 shown]
	s_and_saveexec_b32 s3, vcc_lo
	s_cbranch_execz .LBB106_23
; %bb.22:
	ds_store_b32 v10, v4 offset:256
.LBB106_23:
	s_or_b32 exec_lo, exec_lo, s3
	s_waitcnt lgkmcnt(0)
	s_barrier
	buffer_gl0_inv
	s_and_saveexec_b32 s3, s0
	s_cbranch_execz .LBB106_25
; %bb.24:
	ds_load_b32 v4, v12 offset:256
.LBB106_25:
	s_or_b32 exec_lo, exec_lo, s3
	s_waitcnt lgkmcnt(0)
	ds_bpermute_b32 v3, v3, v4
	s_waitcnt lgkmcnt(0)
	v_add_f32_e32 v3, v4, v3
	ds_bpermute_b32 v4, v11, v3
	s_waitcnt lgkmcnt(0)
	v_add_f32_e32 v3, v3, v4
	ds_bpermute_b32 v3, v13, v3
	s_and_saveexec_b32 s0, s1
	s_cbranch_execz .LBB106_28
; %bb.26:
	s_waitcnt lgkmcnt(0)
	v_add_f32_e32 v4, 0x358637bd, v3
	s_mov_b32 s1, 0
	s_delay_alu instid0(VALU_DEP_1) | instskip(NEXT) | instid1(VALU_DEP_1)
	v_div_scale_f32 v7, null, v4, v4, 1.0
	v_rcp_f32_e32 v9, v7
	s_waitcnt_depctr 0xfff
	v_fma_f32 v10, -v7, v9, 1.0
	s_delay_alu instid0(VALU_DEP_1) | instskip(SKIP_1) | instid1(VALU_DEP_1)
	v_fmac_f32_e32 v9, v10, v9
	v_div_scale_f32 v12, vcc_lo, 1.0, v4, 1.0
	v_mul_f32_e32 v10, v12, v9
	s_delay_alu instid0(VALU_DEP_1) | instskip(NEXT) | instid1(VALU_DEP_1)
	v_fma_f32 v13, -v7, v10, v12
	v_fmac_f32_e32 v10, v13, v9
	s_delay_alu instid0(VALU_DEP_1) | instskip(NEXT) | instid1(VALU_DEP_1)
	v_fma_f32 v7, -v7, v10, v12
	v_div_fmas_f32 v7, v7, v9, v10
	s_delay_alu instid0(VALU_DEP_1)
	v_div_fixup_f32 v4, v7, v4, 1.0
	v_mov_b32_e32 v7, v0
.LBB106_27:                             ; =>This Inner Loop Header: Depth=1
	ds_load_b32 v9, v8
	v_add_nc_u32_e32 v7, 0x80, v7
	s_delay_alu instid0(VALU_DEP_1)
	v_cmp_le_i32_e32 vcc_lo, s6, v7
	s_or_b32 s1, vcc_lo, s1
	s_waitcnt lgkmcnt(0)
	v_mul_f32_e32 v9, v4, v9
	ds_store_b32 v8, v9
	v_add_nc_u32_e32 v8, 0x200, v8
	s_and_not1_b32 exec_lo, exec_lo, s1
	s_cbranch_execnz .LBB106_27
.LBB106_28:
	s_or_b32 exec_lo, exec_lo, s0
	s_mul_i32 s0, s4, s14
	s_waitcnt lgkmcnt(0)
	s_mul_i32 s6, s0, s13
	s_mov_b32 s0, exec_lo
	s_barrier
	buffer_gl0_inv
	v_cmpx_eq_u32_e32 0, v0
	s_cbranch_execz .LBB106_30
; %bb.29:
	s_ashr_i32 s7, s6, 31
	s_mul_i32 s34, s4, s20
	s_lshl_b64 s[30:31], s[6:7], 2
	v_mov_b32_e32 v4, 0
	s_add_u32 s1, s10, s30
	s_addc_u32 s3, s11, s31
	s_ashr_i32 s35, s34, 31
	s_delay_alu instid0(SALU_CYCLE_1) | instskip(NEXT) | instid1(SALU_CYCLE_1)
	s_lshl_b64 s[10:11], s[34:35], 2
	s_add_u32 s1, s1, s10
	s_addc_u32 s3, s3, s11
	s_ashr_i32 s13, s12, 31
	s_delay_alu instid0(SALU_CYCLE_1) | instskip(NEXT) | instid1(SALU_CYCLE_1)
	s_lshl_b64 s[34:35], s[12:13], 2
	s_add_u32 s36, s1, s34
	s_addc_u32 s37, s3, s35
	s_add_u32 s1, s8, s30
	s_addc_u32 s3, s9, s31
	;; [unrolled: 2-line block ×4, first 2 shown]
	s_clause 0x1
	global_store_b32 v4, v2, s[36:37]
	global_store_b32 v4, v3, s[8:9]
.LBB106_30:
	s_or_b32 exec_lo, exec_lo, s0
	v_lshrrev_b32_e32 v10, 1, v1
                                        ; implicit-def: $sgpr0
	s_and_saveexec_b32 s1, s2
	s_delay_alu instid0(SALU_CYCLE_1)
	s_xor_b32 s1, exec_lo, s1
; %bb.31:
	v_lshrrev_b32_e32 v10, 1, v1
	s_mov_b32 s0, 0
                                        ; implicit-def: $vgpr5
                                        ; implicit-def: $vgpr30
                                        ; implicit-def: $vgpr31
; %bb.32:
	s_or_saveexec_b32 s2, s1
	v_dual_mov_b32 v13, s0 :: v_dual_mov_b32 v14, s0
	v_dual_mov_b32 v15, s0 :: v_dual_mov_b32 v16, s0
	;; [unrolled: 1-line block ×4, first 2 shown]
	s_xor_b32 exec_lo, exec_lo, s2
	s_cbranch_execz .LBB106_54
; %bb.33:
	v_dual_mov_b32 v12, 0 :: v_dual_and_b32 v1, 8, v30
	v_or_b32_e32 v2, 0x70, v10
	s_ashr_i32 s29, s28, 31
	s_mov_b32 s3, s5
	s_lshl_b64 s[0:1], s[28:29], 1
	v_lshl_or_b32 v3, v10, 4, v1
	v_cmp_gt_u32_e32 vcc_lo, 0x78, v2
	v_lshl_or_b32 v4, v2, 4, v1
	v_dual_mov_b32 v19, 0 :: v_dual_lshlrev_b32 v2, 5, v28
	v_add3_u32 v20, s33, v31, v1
	s_add_u32 s5, s26, s0
	s_addc_u32 s7, s27, s1
	s_delay_alu instid0(VALU_DEP_2)
	v_lshl_or_b32 v7, v29, 6, v2
	v_lshlrev_b64 v[1:2], 2, v[5:6]
	s_lshl_b64 s[0:1], s[24:25], 2
	s_add_i32 s21, s21, -1
	s_add_u32 s0, s22, s0
	s_addc_u32 s1, s23, s1
	v_dual_mov_b32 v18, 0 :: v_dual_add_nc_u32 v21, 0x110, v7
	v_add_co_u32 v6, s0, s0, v1
	s_delay_alu instid0(VALU_DEP_1)
	v_add_co_ci_u32_e64 v7, s0, s1, v2, s0
	v_dual_mov_b32 v17, 0 :: v_dual_lshlrev_b32 v22, 1, v3
	v_dual_mov_b32 v16, 0 :: v_dual_lshlrev_b32 v23, 1, v4
	v_dual_mov_b32 v15, 0 :: v_dual_mov_b32 v14, 0
	v_mov_b32_e32 v13, 0
	s_mov_b32 s8, s15
	s_mov_b32 s9, s15
	;; [unrolled: 1-line block ×8, first 2 shown]
	s_branch .LBB106_36
.LBB106_34:                             ;   in Loop: Header=BB106_36 Depth=1
	s_or_b32 exec_lo, exec_lo, s1
	s_waitcnt vmcnt(0)
	;;#ASMSTART
	v_pk_mul_f16 v1, v34, v1;

	;;#ASMEND
	;;#ASMSTART
	v_pk_mul_f16 v2, v33, v2;

	;;#ASMEND
	;; [unrolled: 4-line block ×4, first 2 shown]
	;;#ASMSTART
	v_pk_add_f16 v1, v1, v2;

	;;#ASMEND
	;;#ASMSTART
	v_pk_add_f16 v1, v1, v3;

	;;#ASMEND
	;; [unrolled: 4-line block ×3, first 2 shown]
	v_and_b32_e32 v2, 0xffff, v1
	v_lshrrev_b32_e32 v1, 16, v1
	;;#ASMSTART
	v_cvt_f32_f16 v2, v2;
	;;#ASMEND
	;;#ASMSTART
	v_cvt_f32_f16 v1, v1;
	;;#ASMEND
	s_delay_alu instid0(VALU_DEP_1) | instskip(NEXT) | instid1(VALU_DEP_1)
	v_add_f32_e32 v1, v2, v1
	v_add_f32_e32 v13, v13, v1
.LBB106_35:                             ;   in Loop: Header=BB106_36 Depth=1
	s_or_b32 exec_lo, exec_lo, s23
	v_dual_add_f32 v3, v37, v38 :: v_dual_add_f32 v4, v39, v40
	v_add_f32_e32 v8, v8, v9
	v_dual_add_f32 v1, v24, v30 :: v_dual_add_f32 v2, v35, v36
	v_add_nc_u32_e32 v5, 4, v5
	s_delay_alu instid0(VALU_DEP_4) | instskip(NEXT) | instid1(VALU_DEP_4)
	v_add_f32_e32 v17, v17, v4
	v_add_f32_e32 v14, v14, v8
	s_delay_alu instid0(VALU_DEP_4) | instskip(SKIP_3) | instid1(VALU_DEP_3)
	v_dual_add_f32 v12, v12, v1 :: v_dual_add_f32 v19, v19, v2
	v_dual_add_f32 v1, v41, v42 :: v_dual_add_f32 v2, v43, v44
	v_cmp_le_i32_e64 s0, s17, v5
	v_add_co_u32 v6, s1, v6, 16
	v_dual_add_f32 v18, v18, v3 :: v_dual_add_f32 v15, v15, v2
	s_delay_alu instid0(VALU_DEP_4) | instskip(SKIP_4) | instid1(SALU_CYCLE_1)
	v_add_f32_e32 v16, v16, v1
	v_add_nc_u32_e32 v20, 64, v20
	v_add_nc_u32_e32 v21, 0x100, v21
	v_add_co_ci_u32_e64 v7, s1, 0, v7, s1
	s_or_b32 s20, s0, s20
	s_and_not1_b32 exec_lo, exec_lo, s20
	s_cbranch_execz .LBB106_53
.LBB106_36:                             ; =>This Inner Loop Header: Depth=1
	global_load_b32 v24, v[6:7], off
	ds_load_2addr_b64 v[1:4], v21 offset1:1
	ds_load_2addr_b64 v[34:37], v21 offset0:2 offset1:3
	s_waitcnt lgkmcnt(1)
	;;#ASMSTART
	v_cvt_f16_f32 v31, v1;

	;;#ASMEND
	s_waitcnt vmcnt(0)
	v_mad_i64_i32 v[8:9], null, v24, s3, 0
	;;#ASMSTART
	v_cvt_f16_f32 v24, v2;

	;;#ASMEND
	;;#ASMSTART
	v_cvt_f16_f32 v32, v3;

	;;#ASMEND
	;; [unrolled: 4-line block ×3, first 2 shown]
	s_waitcnt lgkmcnt(0)
	;;#ASMSTART
	v_cvt_f16_f32 v33, v34;

	;;#ASMEND
	;;#ASMSTART
	v_cvt_f16_f32 v35, v35;

	;;#ASMEND
	;; [unrolled: 4-line block ×3, first 2 shown]
	v_lshlrev_b64 v[8:9], 1, v[8:9]
	;;#ASMSTART
	v_cvt_f16_f32 v36, v37;

	;;#ASMEND
	s_delay_alu instid0(VALU_DEP_1) | instskip(NEXT) | instid1(VALU_DEP_1)
	v_add_co_u32 v25, s0, s5, v8
	v_add_co_ci_u32_e64 v26, s0, s7, v9, s0
	s_delay_alu instid0(VALU_DEP_2) | instskip(NEXT) | instid1(VALU_DEP_1)
	v_add_co_u32 v8, s0, v25, v22
	v_add_co_ci_u32_e64 v9, s0, 0, v26, s0
	v_cmp_eq_u32_e64 s0, s21, v5
	global_load_b128 v[1:4], v[8:9], off
	s_and_saveexec_b32 s23, s0
	s_cbranch_execz .LBB106_38
; %bb.37:                               ;   in Loop: Header=BB106_36 Depth=1
	v_or_b32_e32 v41, 7, v20
	s_waitcnt vmcnt(0)
	v_lshrrev_b32_e32 v42, 16, v4
	v_or_b32_e32 v43, 6, v20
	v_or_b32_e32 v40, 5, v20
	;; [unrolled: 1-line block ×3, first 2 shown]
	v_cmp_gt_i32_e64 s1, s22, v41
	v_lshrrev_b32_e32 v45, 16, v3
	v_or_b32_e32 v38, 3, v20
	v_or_b32_e32 v39, 2, v20
	v_add_nc_u32_e32 v37, 1, v20
	v_cndmask_b32_e64 v41, 0, v42, s1
	v_cmp_gt_i32_e64 s1, s14, v43
	v_lshrrev_b32_e32 v42, 16, v2
	v_lshrrev_b32_e32 v43, 16, v1
	s_delay_alu instid0(VALU_DEP_3) | instskip(SKIP_1) | instid1(VALU_DEP_2)
	v_cndmask_b32_e64 v4, 0, v4, s1
	v_cmp_gt_i32_e64 s1, s13, v40
	v_perm_b32 v4, v41, v4, 0x5040100
	s_delay_alu instid0(VALU_DEP_2) | instskip(SKIP_1) | instid1(VALU_DEP_1)
	v_cndmask_b32_e64 v40, 0, v45, s1
	v_cmp_gt_i32_e64 s1, s11, v44
	v_cndmask_b32_e64 v3, 0, v3, s1
	v_cmp_gt_i32_e64 s1, s10, v38
	s_delay_alu instid0(VALU_DEP_2) | instskip(NEXT) | instid1(VALU_DEP_2)
	v_perm_b32 v3, v40, v3, 0x5040100
	v_cndmask_b32_e64 v38, 0, v42, s1
	v_cmp_gt_i32_e64 s1, s9, v39
	s_delay_alu instid0(VALU_DEP_1) | instskip(SKIP_1) | instid1(VALU_DEP_2)
	v_cndmask_b32_e64 v2, 0, v2, s1
	v_cmp_gt_i32_e64 s1, s8, v37
	v_perm_b32 v2, v38, v2, 0x5040100
	s_delay_alu instid0(VALU_DEP_2) | instskip(SKIP_1) | instid1(VALU_DEP_1)
	v_cndmask_b32_e64 v37, 0, v43, s1
	v_cmp_gt_i32_e64 s1, s15, v20
	v_cndmask_b32_e64 v1, 0, v1, s1
	s_delay_alu instid0(VALU_DEP_1)
	v_perm_b32 v1, v37, v1, 0x5040100
.LBB106_38:                             ;   in Loop: Header=BB106_36 Depth=1
	s_or_b32 exec_lo, exec_lo, s23
	v_and_b32_e32 v31, 0xffff, v31
	v_and_b32_e32 v32, 0xffff, v32
	;; [unrolled: 1-line block ×4, first 2 shown]
	s_delay_alu instid0(VALU_DEP_4)
	v_lshl_or_b32 v34, v24, 16, v31
	s_waitcnt vmcnt(0)
	;;#ASMSTART
	v_pk_mul_f16 v1, v34, v1;

	;;#ASMEND
	v_lshl_or_b32 v33, v30, 16, v32
	v_lshl_or_b32 v32, v35, 16, v37
	;; [unrolled: 1-line block ×3, first 2 shown]
	;;#ASMSTART
	v_pk_mul_f16 v2, v33, v2;

	;;#ASMEND
	;;#ASMSTART
	v_pk_mul_f16 v3, v32, v3;

	;;#ASMEND
	;;#ASMSTART
	v_pk_mul_f16 v4, v31, v4;

	;;#ASMEND
	;;#ASMSTART
	v_pk_add_f16 v1, v1, v2;

	;;#ASMEND
	;;#ASMSTART
	v_pk_add_f16 v1, v1, v3;

	;;#ASMEND
	;; [unrolled: 4-line block ×3, first 2 shown]
	v_and_b32_e32 v2, 0xffff, v1
	v_lshrrev_b32_e32 v1, 16, v1
	;;#ASMSTART
	v_cvt_f32_f16 v24, v2;
	;;#ASMEND
	;;#ASMSTART
	v_cvt_f32_f16 v30, v1;
	;;#ASMEND
	global_load_b128 v[1:4], v[8:9], off offset:512
	s_and_saveexec_b32 s23, s0
	s_cbranch_execz .LBB106_40
; %bb.39:                               ;   in Loop: Header=BB106_36 Depth=1
	v_or_b32_e32 v39, 7, v20
	s_waitcnt vmcnt(0)
	v_lshrrev_b32_e32 v40, 16, v4
	v_or_b32_e32 v41, 6, v20
	v_or_b32_e32 v38, 5, v20
	;; [unrolled: 1-line block ×3, first 2 shown]
	v_cmp_gt_i32_e64 s1, s22, v39
	v_lshrrev_b32_e32 v43, 16, v3
	v_or_b32_e32 v36, 3, v20
	v_or_b32_e32 v37, 2, v20
	v_add_nc_u32_e32 v35, 1, v20
	v_cndmask_b32_e64 v39, 0, v40, s1
	v_cmp_gt_i32_e64 s1, s14, v41
	v_lshrrev_b32_e32 v40, 16, v2
	v_lshrrev_b32_e32 v41, 16, v1
	s_delay_alu instid0(VALU_DEP_3) | instskip(SKIP_1) | instid1(VALU_DEP_2)
	v_cndmask_b32_e64 v4, 0, v4, s1
	v_cmp_gt_i32_e64 s1, s13, v38
	v_perm_b32 v4, v39, v4, 0x5040100
	s_delay_alu instid0(VALU_DEP_2) | instskip(SKIP_1) | instid1(VALU_DEP_1)
	v_cndmask_b32_e64 v38, 0, v43, s1
	v_cmp_gt_i32_e64 s1, s11, v42
	v_cndmask_b32_e64 v3, 0, v3, s1
	v_cmp_gt_i32_e64 s1, s10, v36
	s_delay_alu instid0(VALU_DEP_2) | instskip(NEXT) | instid1(VALU_DEP_2)
	v_perm_b32 v3, v38, v3, 0x5040100
	v_cndmask_b32_e64 v36, 0, v40, s1
	v_cmp_gt_i32_e64 s1, s9, v37
	s_delay_alu instid0(VALU_DEP_1) | instskip(SKIP_1) | instid1(VALU_DEP_2)
	v_cndmask_b32_e64 v2, 0, v2, s1
	v_cmp_gt_i32_e64 s1, s8, v35
	v_perm_b32 v2, v36, v2, 0x5040100
	s_delay_alu instid0(VALU_DEP_2) | instskip(SKIP_1) | instid1(VALU_DEP_1)
	v_cndmask_b32_e64 v35, 0, v41, s1
	v_cmp_gt_i32_e64 s1, s15, v20
	v_cndmask_b32_e64 v1, 0, v1, s1
	s_delay_alu instid0(VALU_DEP_1)
	v_perm_b32 v1, v35, v1, 0x5040100
.LBB106_40:                             ;   in Loop: Header=BB106_36 Depth=1
	s_or_b32 exec_lo, exec_lo, s23
	s_waitcnt vmcnt(0)
	;;#ASMSTART
	v_pk_mul_f16 v1, v34, v1;

	;;#ASMEND
	;;#ASMSTART
	v_pk_mul_f16 v2, v33, v2;

	;;#ASMEND
	;; [unrolled: 4-line block ×4, first 2 shown]
	;;#ASMSTART
	v_pk_add_f16 v1, v1, v2;

	;;#ASMEND
	;;#ASMSTART
	v_pk_add_f16 v1, v1, v3;

	;;#ASMEND
	;; [unrolled: 4-line block ×3, first 2 shown]
	v_and_b32_e32 v2, 0xffff, v1
	v_lshrrev_b32_e32 v1, 16, v1
	;;#ASMSTART
	v_cvt_f32_f16 v35, v2;
	;;#ASMEND
	;;#ASMSTART
	v_cvt_f32_f16 v36, v1;
	;;#ASMEND
	global_load_b128 v[1:4], v[8:9], off offset:1024
	s_and_saveexec_b32 s23, s0
	s_cbranch_execz .LBB106_42
; %bb.41:                               ;   in Loop: Header=BB106_36 Depth=1
	v_or_b32_e32 v41, 7, v20
	s_waitcnt vmcnt(0)
	v_lshrrev_b32_e32 v42, 16, v4
	v_or_b32_e32 v43, 6, v20
	v_or_b32_e32 v40, 5, v20
	;; [unrolled: 1-line block ×3, first 2 shown]
	v_cmp_gt_i32_e64 s1, s22, v41
	v_lshrrev_b32_e32 v45, 16, v3
	v_or_b32_e32 v38, 3, v20
	v_or_b32_e32 v39, 2, v20
	v_add_nc_u32_e32 v37, 1, v20
	v_cndmask_b32_e64 v41, 0, v42, s1
	v_cmp_gt_i32_e64 s1, s14, v43
	v_lshrrev_b32_e32 v42, 16, v2
	v_lshrrev_b32_e32 v43, 16, v1
	s_delay_alu instid0(VALU_DEP_3) | instskip(SKIP_1) | instid1(VALU_DEP_2)
	v_cndmask_b32_e64 v4, 0, v4, s1
	v_cmp_gt_i32_e64 s1, s13, v40
	v_perm_b32 v4, v41, v4, 0x5040100
	s_delay_alu instid0(VALU_DEP_2) | instskip(SKIP_1) | instid1(VALU_DEP_1)
	v_cndmask_b32_e64 v40, 0, v45, s1
	v_cmp_gt_i32_e64 s1, s11, v44
	v_cndmask_b32_e64 v3, 0, v3, s1
	v_cmp_gt_i32_e64 s1, s10, v38
	s_delay_alu instid0(VALU_DEP_2) | instskip(NEXT) | instid1(VALU_DEP_2)
	v_perm_b32 v3, v40, v3, 0x5040100
	v_cndmask_b32_e64 v38, 0, v42, s1
	v_cmp_gt_i32_e64 s1, s9, v39
	s_delay_alu instid0(VALU_DEP_1) | instskip(SKIP_1) | instid1(VALU_DEP_2)
	v_cndmask_b32_e64 v2, 0, v2, s1
	v_cmp_gt_i32_e64 s1, s8, v37
	v_perm_b32 v2, v38, v2, 0x5040100
	s_delay_alu instid0(VALU_DEP_2) | instskip(SKIP_1) | instid1(VALU_DEP_1)
	v_cndmask_b32_e64 v37, 0, v43, s1
	v_cmp_gt_i32_e64 s1, s15, v20
	v_cndmask_b32_e64 v1, 0, v1, s1
	s_delay_alu instid0(VALU_DEP_1)
	v_perm_b32 v1, v37, v1, 0x5040100
.LBB106_42:                             ;   in Loop: Header=BB106_36 Depth=1
	s_or_b32 exec_lo, exec_lo, s23
	s_waitcnt vmcnt(0)
	;;#ASMSTART
	v_pk_mul_f16 v1, v34, v1;

	;;#ASMEND
	;;#ASMSTART
	v_pk_mul_f16 v2, v33, v2;

	;;#ASMEND
	;; [unrolled: 4-line block ×4, first 2 shown]
	;;#ASMSTART
	v_pk_add_f16 v1, v1, v2;

	;;#ASMEND
	;;#ASMSTART
	v_pk_add_f16 v1, v1, v3;

	;;#ASMEND
	;; [unrolled: 4-line block ×3, first 2 shown]
	v_and_b32_e32 v2, 0xffff, v1
	v_lshrrev_b32_e32 v1, 16, v1
	;;#ASMSTART
	v_cvt_f32_f16 v37, v2;
	;;#ASMEND
	;;#ASMSTART
	v_cvt_f32_f16 v38, v1;
	;;#ASMEND
	global_load_b128 v[1:4], v[8:9], off offset:1536
	s_and_saveexec_b32 s23, s0
	s_cbranch_execz .LBB106_44
; %bb.43:                               ;   in Loop: Header=BB106_36 Depth=1
	v_or_b32_e32 v43, 7, v20
	s_waitcnt vmcnt(0)
	v_lshrrev_b32_e32 v44, 16, v4
	v_or_b32_e32 v45, 6, v20
	v_or_b32_e32 v42, 5, v20
	;; [unrolled: 1-line block ×3, first 2 shown]
	v_cmp_gt_i32_e64 s1, s22, v43
	v_lshrrev_b32_e32 v47, 16, v3
	v_or_b32_e32 v40, 3, v20
	v_or_b32_e32 v41, 2, v20
	v_add_nc_u32_e32 v39, 1, v20
	v_cndmask_b32_e64 v43, 0, v44, s1
	v_cmp_gt_i32_e64 s1, s14, v45
	v_lshrrev_b32_e32 v44, 16, v2
	v_lshrrev_b32_e32 v45, 16, v1
	s_delay_alu instid0(VALU_DEP_3) | instskip(SKIP_1) | instid1(VALU_DEP_2)
	v_cndmask_b32_e64 v4, 0, v4, s1
	v_cmp_gt_i32_e64 s1, s13, v42
	v_perm_b32 v4, v43, v4, 0x5040100
	s_delay_alu instid0(VALU_DEP_2) | instskip(SKIP_1) | instid1(VALU_DEP_1)
	v_cndmask_b32_e64 v42, 0, v47, s1
	v_cmp_gt_i32_e64 s1, s11, v46
	v_cndmask_b32_e64 v3, 0, v3, s1
	v_cmp_gt_i32_e64 s1, s10, v40
	s_delay_alu instid0(VALU_DEP_2) | instskip(NEXT) | instid1(VALU_DEP_2)
	v_perm_b32 v3, v42, v3, 0x5040100
	v_cndmask_b32_e64 v40, 0, v44, s1
	v_cmp_gt_i32_e64 s1, s9, v41
	s_delay_alu instid0(VALU_DEP_1) | instskip(SKIP_1) | instid1(VALU_DEP_2)
	v_cndmask_b32_e64 v2, 0, v2, s1
	v_cmp_gt_i32_e64 s1, s8, v39
	v_perm_b32 v2, v40, v2, 0x5040100
	s_delay_alu instid0(VALU_DEP_2) | instskip(SKIP_1) | instid1(VALU_DEP_1)
	v_cndmask_b32_e64 v39, 0, v45, s1
	v_cmp_gt_i32_e64 s1, s15, v20
	v_cndmask_b32_e64 v1, 0, v1, s1
	s_delay_alu instid0(VALU_DEP_1)
	v_perm_b32 v1, v39, v1, 0x5040100
.LBB106_44:                             ;   in Loop: Header=BB106_36 Depth=1
	s_or_b32 exec_lo, exec_lo, s23
	s_waitcnt vmcnt(0)
	;;#ASMSTART
	v_pk_mul_f16 v1, v34, v1;

	;;#ASMEND
	;;#ASMSTART
	v_pk_mul_f16 v2, v33, v2;

	;;#ASMEND
	;; [unrolled: 4-line block ×4, first 2 shown]
	;;#ASMSTART
	v_pk_add_f16 v1, v1, v2;

	;;#ASMEND
	;;#ASMSTART
	v_pk_add_f16 v1, v1, v3;

	;;#ASMEND
	;; [unrolled: 4-line block ×3, first 2 shown]
	v_and_b32_e32 v2, 0xffff, v1
	v_lshrrev_b32_e32 v1, 16, v1
	;;#ASMSTART
	v_cvt_f32_f16 v39, v2;
	;;#ASMEND
	;;#ASMSTART
	v_cvt_f32_f16 v40, v1;
	;;#ASMEND
	global_load_b128 v[1:4], v[8:9], off offset:2048
	s_and_saveexec_b32 s23, s0
	s_cbranch_execz .LBB106_46
; %bb.45:                               ;   in Loop: Header=BB106_36 Depth=1
	v_or_b32_e32 v45, 7, v20
	s_waitcnt vmcnt(0)
	v_lshrrev_b32_e32 v46, 16, v4
	v_or_b32_e32 v47, 6, v20
	v_or_b32_e32 v44, 5, v20
	;; [unrolled: 1-line block ×3, first 2 shown]
	v_cmp_gt_i32_e64 s1, s22, v45
	v_lshrrev_b32_e32 v49, 16, v3
	v_or_b32_e32 v42, 3, v20
	v_or_b32_e32 v43, 2, v20
	v_add_nc_u32_e32 v41, 1, v20
	v_cndmask_b32_e64 v45, 0, v46, s1
	v_cmp_gt_i32_e64 s1, s14, v47
	v_lshrrev_b32_e32 v46, 16, v2
	v_lshrrev_b32_e32 v47, 16, v1
	s_delay_alu instid0(VALU_DEP_3) | instskip(SKIP_1) | instid1(VALU_DEP_2)
	v_cndmask_b32_e64 v4, 0, v4, s1
	v_cmp_gt_i32_e64 s1, s13, v44
	v_perm_b32 v4, v45, v4, 0x5040100
	s_delay_alu instid0(VALU_DEP_2) | instskip(SKIP_1) | instid1(VALU_DEP_1)
	v_cndmask_b32_e64 v44, 0, v49, s1
	v_cmp_gt_i32_e64 s1, s11, v48
	v_cndmask_b32_e64 v3, 0, v3, s1
	v_cmp_gt_i32_e64 s1, s10, v42
	s_delay_alu instid0(VALU_DEP_2) | instskip(NEXT) | instid1(VALU_DEP_2)
	v_perm_b32 v3, v44, v3, 0x5040100
	v_cndmask_b32_e64 v42, 0, v46, s1
	v_cmp_gt_i32_e64 s1, s9, v43
	s_delay_alu instid0(VALU_DEP_1) | instskip(SKIP_1) | instid1(VALU_DEP_2)
	v_cndmask_b32_e64 v2, 0, v2, s1
	v_cmp_gt_i32_e64 s1, s8, v41
	v_perm_b32 v2, v42, v2, 0x5040100
	s_delay_alu instid0(VALU_DEP_2) | instskip(SKIP_1) | instid1(VALU_DEP_1)
	v_cndmask_b32_e64 v41, 0, v47, s1
	v_cmp_gt_i32_e64 s1, s15, v20
	v_cndmask_b32_e64 v1, 0, v1, s1
	s_delay_alu instid0(VALU_DEP_1)
	v_perm_b32 v1, v41, v1, 0x5040100
.LBB106_46:                             ;   in Loop: Header=BB106_36 Depth=1
	s_or_b32 exec_lo, exec_lo, s23
	s_waitcnt vmcnt(0)
	;;#ASMSTART
	v_pk_mul_f16 v1, v34, v1;

	;;#ASMEND
	;;#ASMSTART
	v_pk_mul_f16 v2, v33, v2;

	;;#ASMEND
	;; [unrolled: 4-line block ×4, first 2 shown]
	;;#ASMSTART
	v_pk_add_f16 v1, v1, v2;

	;;#ASMEND
	;;#ASMSTART
	v_pk_add_f16 v1, v1, v3;

	;;#ASMEND
	;;#ASMSTART
	v_pk_add_f16 v1, v1, v4;

	;;#ASMEND
	v_and_b32_e32 v2, 0xffff, v1
	v_lshrrev_b32_e32 v1, 16, v1
	;;#ASMSTART
	v_cvt_f32_f16 v41, v2;
	;;#ASMEND
	;;#ASMSTART
	v_cvt_f32_f16 v42, v1;
	;;#ASMEND
	global_load_b128 v[1:4], v[8:9], off offset:2560
	s_and_saveexec_b32 s23, s0
	s_cbranch_execz .LBB106_48
; %bb.47:                               ;   in Loop: Header=BB106_36 Depth=1
	v_or_b32_e32 v47, 7, v20
	s_waitcnt vmcnt(0)
	v_lshrrev_b32_e32 v48, 16, v4
	v_or_b32_e32 v49, 6, v20
	v_or_b32_e32 v46, 5, v20
	;; [unrolled: 1-line block ×3, first 2 shown]
	v_cmp_gt_i32_e64 s1, s22, v47
	v_lshrrev_b32_e32 v51, 16, v3
	v_or_b32_e32 v44, 3, v20
	v_or_b32_e32 v45, 2, v20
	v_add_nc_u32_e32 v43, 1, v20
	v_cndmask_b32_e64 v47, 0, v48, s1
	v_cmp_gt_i32_e64 s1, s14, v49
	v_lshrrev_b32_e32 v48, 16, v2
	v_lshrrev_b32_e32 v49, 16, v1
	s_delay_alu instid0(VALU_DEP_3) | instskip(SKIP_1) | instid1(VALU_DEP_2)
	v_cndmask_b32_e64 v4, 0, v4, s1
	v_cmp_gt_i32_e64 s1, s13, v46
	v_perm_b32 v4, v47, v4, 0x5040100
	s_delay_alu instid0(VALU_DEP_2) | instskip(SKIP_1) | instid1(VALU_DEP_1)
	v_cndmask_b32_e64 v46, 0, v51, s1
	v_cmp_gt_i32_e64 s1, s11, v50
	v_cndmask_b32_e64 v3, 0, v3, s1
	v_cmp_gt_i32_e64 s1, s10, v44
	s_delay_alu instid0(VALU_DEP_2) | instskip(NEXT) | instid1(VALU_DEP_2)
	v_perm_b32 v3, v46, v3, 0x5040100
	v_cndmask_b32_e64 v44, 0, v48, s1
	v_cmp_gt_i32_e64 s1, s9, v45
	s_delay_alu instid0(VALU_DEP_1) | instskip(SKIP_1) | instid1(VALU_DEP_2)
	v_cndmask_b32_e64 v2, 0, v2, s1
	v_cmp_gt_i32_e64 s1, s8, v43
	v_perm_b32 v2, v44, v2, 0x5040100
	s_delay_alu instid0(VALU_DEP_2) | instskip(SKIP_1) | instid1(VALU_DEP_1)
	v_cndmask_b32_e64 v43, 0, v49, s1
	v_cmp_gt_i32_e64 s1, s15, v20
	v_cndmask_b32_e64 v1, 0, v1, s1
	s_delay_alu instid0(VALU_DEP_1)
	v_perm_b32 v1, v43, v1, 0x5040100
.LBB106_48:                             ;   in Loop: Header=BB106_36 Depth=1
	s_or_b32 exec_lo, exec_lo, s23
	s_waitcnt vmcnt(0)
	;;#ASMSTART
	v_pk_mul_f16 v1, v34, v1;

	;;#ASMEND
	;;#ASMSTART
	v_pk_mul_f16 v2, v33, v2;

	;;#ASMEND
	;; [unrolled: 4-line block ×4, first 2 shown]
	;;#ASMSTART
	v_pk_add_f16 v1, v1, v2;

	;;#ASMEND
	;;#ASMSTART
	v_pk_add_f16 v1, v1, v3;

	;;#ASMEND
	;; [unrolled: 4-line block ×3, first 2 shown]
	v_and_b32_e32 v2, 0xffff, v1
	v_lshrrev_b32_e32 v1, 16, v1
	;;#ASMSTART
	v_cvt_f32_f16 v43, v2;
	;;#ASMEND
	;;#ASMSTART
	v_cvt_f32_f16 v44, v1;
	;;#ASMEND
	global_load_b128 v[1:4], v[8:9], off offset:3072
	s_and_saveexec_b32 s23, s0
	s_cbranch_execz .LBB106_50
; %bb.49:                               ;   in Loop: Header=BB106_36 Depth=1
	v_or_b32_e32 v47, 7, v20
	s_waitcnt vmcnt(0)
	v_lshrrev_b32_e32 v48, 16, v4
	v_or_b32_e32 v49, 6, v20
	v_or_b32_e32 v46, 5, v20
	v_or_b32_e32 v50, 4, v20
	v_cmp_gt_i32_e64 s1, s22, v47
	v_lshrrev_b32_e32 v51, 16, v3
	v_or_b32_e32 v9, 3, v20
	v_or_b32_e32 v45, 2, v20
	v_add_nc_u32_e32 v8, 1, v20
	v_cndmask_b32_e64 v47, 0, v48, s1
	v_cmp_gt_i32_e64 s1, s14, v49
	v_lshrrev_b32_e32 v48, 16, v2
	v_lshrrev_b32_e32 v49, 16, v1
	s_delay_alu instid0(VALU_DEP_3) | instskip(SKIP_1) | instid1(VALU_DEP_2)
	v_cndmask_b32_e64 v4, 0, v4, s1
	v_cmp_gt_i32_e64 s1, s13, v46
	v_perm_b32 v4, v47, v4, 0x5040100
	s_delay_alu instid0(VALU_DEP_2) | instskip(SKIP_1) | instid1(VALU_DEP_1)
	v_cndmask_b32_e64 v46, 0, v51, s1
	v_cmp_gt_i32_e64 s1, s11, v50
	v_cndmask_b32_e64 v3, 0, v3, s1
	v_cmp_gt_i32_e64 s1, s10, v9
	s_delay_alu instid0(VALU_DEP_2) | instskip(NEXT) | instid1(VALU_DEP_2)
	v_perm_b32 v3, v46, v3, 0x5040100
	v_cndmask_b32_e64 v9, 0, v48, s1
	v_cmp_gt_i32_e64 s1, s9, v45
	s_delay_alu instid0(VALU_DEP_1) | instskip(SKIP_1) | instid1(VALU_DEP_2)
	v_cndmask_b32_e64 v2, 0, v2, s1
	v_cmp_gt_i32_e64 s1, s8, v8
	v_perm_b32 v2, v9, v2, 0x5040100
	s_delay_alu instid0(VALU_DEP_2) | instskip(SKIP_1) | instid1(VALU_DEP_1)
	v_cndmask_b32_e64 v8, 0, v49, s1
	v_cmp_gt_i32_e64 s1, s15, v20
	v_cndmask_b32_e64 v1, 0, v1, s1
	s_delay_alu instid0(VALU_DEP_1)
	v_perm_b32 v1, v8, v1, 0x5040100
.LBB106_50:                             ;   in Loop: Header=BB106_36 Depth=1
	s_or_b32 exec_lo, exec_lo, s23
	s_waitcnt vmcnt(0)
	;;#ASMSTART
	v_pk_mul_f16 v1, v34, v1;

	;;#ASMEND
	;;#ASMSTART
	v_pk_mul_f16 v2, v33, v2;

	;;#ASMEND
	;; [unrolled: 4-line block ×4, first 2 shown]
	;;#ASMSTART
	v_pk_add_f16 v1, v1, v2;

	;;#ASMEND
	;;#ASMSTART
	v_pk_add_f16 v1, v1, v3;

	;;#ASMEND
	;; [unrolled: 4-line block ×3, first 2 shown]
	v_and_b32_e32 v2, 0xffff, v1
	v_lshrrev_b32_e32 v1, 16, v1
	;;#ASMSTART
	v_cvt_f32_f16 v8, v2;
	;;#ASMEND
	;;#ASMSTART
	v_cvt_f32_f16 v9, v1;
	;;#ASMEND
	s_and_saveexec_b32 s23, vcc_lo
	s_cbranch_execz .LBB106_35
; %bb.51:                               ;   in Loop: Header=BB106_36 Depth=1
	v_add_co_u32 v1, s1, v25, v23
	s_delay_alu instid0(VALU_DEP_1)
	v_add_co_ci_u32_e64 v2, s1, 0, v26, s1
	global_load_b128 v[1:4], v[1:2], off
	s_and_saveexec_b32 s1, s0
	s_cbranch_execz .LBB106_34
; %bb.52:                               ;   in Loop: Header=BB106_36 Depth=1
	v_or_b32_e32 v47, 7, v20
	s_waitcnt vmcnt(0)
	v_lshrrev_b32_e32 v48, 16, v4
	v_or_b32_e32 v49, 6, v20
	v_or_b32_e32 v46, 5, v20
	v_or_b32_e32 v50, 4, v20
	v_cmp_gt_i32_e64 s0, s22, v47
	v_lshrrev_b32_e32 v51, 16, v3
	v_or_b32_e32 v26, 3, v20
	v_or_b32_e32 v45, 2, v20
	v_add_nc_u32_e32 v25, 1, v20
	v_cndmask_b32_e64 v47, 0, v48, s0
	v_cmp_gt_i32_e64 s0, s14, v49
	v_lshrrev_b32_e32 v48, 16, v2
	v_lshrrev_b32_e32 v49, 16, v1
	s_delay_alu instid0(VALU_DEP_3) | instskip(SKIP_1) | instid1(VALU_DEP_2)
	v_cndmask_b32_e64 v4, 0, v4, s0
	v_cmp_gt_i32_e64 s0, s13, v46
	v_perm_b32 v4, v47, v4, 0x5040100
	s_delay_alu instid0(VALU_DEP_2) | instskip(SKIP_1) | instid1(VALU_DEP_1)
	v_cndmask_b32_e64 v46, 0, v51, s0
	v_cmp_gt_i32_e64 s0, s11, v50
	v_cndmask_b32_e64 v3, 0, v3, s0
	v_cmp_gt_i32_e64 s0, s10, v26
	s_delay_alu instid0(VALU_DEP_2) | instskip(NEXT) | instid1(VALU_DEP_2)
	v_perm_b32 v3, v46, v3, 0x5040100
	v_cndmask_b32_e64 v26, 0, v48, s0
	v_cmp_gt_i32_e64 s0, s9, v45
	s_delay_alu instid0(VALU_DEP_1) | instskip(SKIP_1) | instid1(VALU_DEP_2)
	v_cndmask_b32_e64 v2, 0, v2, s0
	v_cmp_gt_i32_e64 s0, s8, v25
	v_perm_b32 v2, v26, v2, 0x5040100
	s_delay_alu instid0(VALU_DEP_2) | instskip(SKIP_1) | instid1(VALU_DEP_1)
	v_cndmask_b32_e64 v25, 0, v49, s0
	v_cmp_gt_i32_e64 s0, s15, v20
	v_cndmask_b32_e64 v1, 0, v1, s0
	s_delay_alu instid0(VALU_DEP_1)
	v_perm_b32 v1, v25, v1, 0x5040100
	s_branch .LBB106_34
.LBB106_53:
	s_or_b32 exec_lo, exec_lo, s20
.LBB106_54:
	s_delay_alu instid0(SALU_CYCLE_1)
	s_or_b32 exec_lo, exec_lo, s2
	ds_bpermute_b32 v1, v11, v12
	ds_bpermute_b32 v2, v11, v19
	;; [unrolled: 1-line block ×8, first 2 shown]
	s_movk_i32 s0, 0x1e0
	v_cmp_eq_u32_e32 vcc_lo, 0, v28
	v_and_b32_e32 v23, 0x3c0, v0
	v_mad_u32_u24 v9, v29, s0, 0x110
	s_mov_b32 s1, exec_lo
	s_waitcnt lgkmcnt(0)
	s_waitcnt_vscnt null, 0x0
	s_barrier
	buffer_gl0_inv
	v_dual_add_f32 v8, v12, v1 :: v_dual_add_f32 v7, v19, v2
	v_dual_add_f32 v6, v18, v3 :: v_dual_add_f32 v5, v17, v4
	;; [unrolled: 1-line block ×4, first 2 shown]
	v_cmpx_eq_u32_e32 64, v23
	s_cbranch_execz .LBB106_59
; %bb.55:
	v_add_nc_u32_e32 v11, 0xfffffc40, v9
	s_delay_alu instid0(VALU_DEP_1)
	v_lshl_add_u32 v11, v10, 2, v11
	s_and_saveexec_b32 s0, vcc_lo
	s_cbranch_execz .LBB106_57
; %bb.56:
	ds_store_2addr_b32 v11, v8, v7 offset1:16
	ds_store_2addr_b32 v11, v6, v5 offset0:32 offset1:48
	ds_store_2addr_b32 v11, v4, v3 offset0:64 offset1:80
	ds_store_b32 v11, v2 offset:384
.LBB106_57:
	s_or_b32 exec_lo, exec_lo, s0
	v_or_b32_e32 v12, 0x70, v10
	s_delay_alu instid0(VALU_DEP_1) | instskip(NEXT) | instid1(VALU_DEP_1)
	v_cmp_gt_u32_e64 s0, 0x78, v12
	s_and_b32 s0, vcc_lo, s0
	s_delay_alu instid0(SALU_CYCLE_1)
	s_and_b32 exec_lo, exec_lo, s0
	s_cbranch_execz .LBB106_59
; %bb.58:
	ds_store_b32 v11, v1 offset:448
.LBB106_59:
	s_or_b32 exec_lo, exec_lo, s1
	s_delay_alu instid0(SALU_CYCLE_1)
	s_mov_b32 s1, exec_lo
	s_waitcnt lgkmcnt(0)
	s_barrier
	buffer_gl0_inv
	v_cmpx_gt_u32_e32 64, v0
	s_cbranch_execz .LBB106_71
; %bb.60:
	s_and_saveexec_b32 s0, vcc_lo
	s_cbranch_execnz .LBB106_106
; %bb.61:
	s_or_b32 exec_lo, exec_lo, s0
	s_and_saveexec_b32 s0, vcc_lo
	s_cbranch_execnz .LBB106_107
.LBB106_62:
	s_or_b32 exec_lo, exec_lo, s0
	s_and_saveexec_b32 s0, vcc_lo
	s_cbranch_execnz .LBB106_108
.LBB106_63:
	s_or_b32 exec_lo, exec_lo, s0
	s_and_saveexec_b32 s0, vcc_lo
	s_cbranch_execnz .LBB106_109
.LBB106_64:
	s_or_b32 exec_lo, exec_lo, s0
	s_and_saveexec_b32 s0, vcc_lo
	s_cbranch_execnz .LBB106_110
.LBB106_65:
	s_or_b32 exec_lo, exec_lo, s0
	s_and_saveexec_b32 s0, vcc_lo
	s_cbranch_execnz .LBB106_111
.LBB106_66:
	s_or_b32 exec_lo, exec_lo, s0
	s_and_saveexec_b32 s0, vcc_lo
	s_cbranch_execz .LBB106_68
.LBB106_67:
	v_lshl_add_u32 v11, v10, 2, v9
	ds_load_b32 v11, v11 offset:384
	s_waitcnt lgkmcnt(0)
	v_add_f32_e32 v2, v2, v11
.LBB106_68:
	s_or_b32 exec_lo, exec_lo, s0
	v_or_b32_e32 v11, 0x70, v10
	s_delay_alu instid0(VALU_DEP_1) | instskip(NEXT) | instid1(VALU_DEP_1)
	v_cmp_gt_u32_e64 s0, 0x78, v11
	s_and_b32 s2, vcc_lo, s0
	s_delay_alu instid0(SALU_CYCLE_1)
	s_and_saveexec_b32 s0, s2
	s_cbranch_execz .LBB106_70
; %bb.69:
	v_lshl_add_u32 v11, v10, 2, v9
	ds_load_b32 v11, v11 offset:448
	s_waitcnt lgkmcnt(0)
	v_add_f32_e32 v1, v1, v11
.LBB106_70:
	s_or_b32 exec_lo, exec_lo, s0
.LBB106_71:
	s_delay_alu instid0(SALU_CYCLE_1)
	s_or_b32 exec_lo, exec_lo, s1
	v_and_b32_e32 v11, 0x3e0, v0
	s_mov_b32 s1, exec_lo
	s_barrier
	buffer_gl0_inv
	v_cmpx_eq_u32_e32 32, v11
	s_cbranch_execz .LBB106_76
; %bb.72:
	v_add_nc_u32_e32 v11, 0xfffffe20, v9
	s_delay_alu instid0(VALU_DEP_1)
	v_lshl_add_u32 v11, v10, 2, v11
	s_and_saveexec_b32 s0, vcc_lo
	s_cbranch_execz .LBB106_74
; %bb.73:
	ds_store_2addr_b32 v11, v8, v7 offset1:16
	ds_store_2addr_b32 v11, v6, v5 offset0:32 offset1:48
	ds_store_2addr_b32 v11, v4, v3 offset0:64 offset1:80
	ds_store_b32 v11, v2 offset:384
.LBB106_74:
	s_or_b32 exec_lo, exec_lo, s0
	v_or_b32_e32 v12, 0x70, v10
	s_delay_alu instid0(VALU_DEP_1) | instskip(NEXT) | instid1(VALU_DEP_1)
	v_cmp_gt_u32_e64 s0, 0x78, v12
	s_and_b32 s0, vcc_lo, s0
	s_delay_alu instid0(SALU_CYCLE_1)
	s_and_b32 exec_lo, exec_lo, s0
	s_cbranch_execz .LBB106_76
; %bb.75:
	ds_store_b32 v11, v1 offset:448
.LBB106_76:
	s_or_b32 exec_lo, exec_lo, s1
	v_cmp_gt_u32_e64 s0, 32, v0
	s_waitcnt lgkmcnt(0)
	s_barrier
	buffer_gl0_inv
	s_and_saveexec_b32 s2, s0
	s_cbranch_execz .LBB106_88
; %bb.77:
	v_lshl_add_u32 v0, v10, 2, v9
	s_and_saveexec_b32 s1, vcc_lo
	s_cbranch_execnz .LBB106_112
; %bb.78:
	s_or_b32 exec_lo, exec_lo, s1
	s_and_saveexec_b32 s1, vcc_lo
	s_cbranch_execnz .LBB106_113
.LBB106_79:
	s_or_b32 exec_lo, exec_lo, s1
	s_and_saveexec_b32 s1, vcc_lo
	s_cbranch_execnz .LBB106_114
.LBB106_80:
	s_or_b32 exec_lo, exec_lo, s1
	s_and_saveexec_b32 s1, vcc_lo
	s_cbranch_execnz .LBB106_115
.LBB106_81:
	s_or_b32 exec_lo, exec_lo, s1
	s_and_saveexec_b32 s1, vcc_lo
	s_cbranch_execnz .LBB106_116
.LBB106_82:
	s_or_b32 exec_lo, exec_lo, s1
	s_and_saveexec_b32 s1, vcc_lo
	s_cbranch_execnz .LBB106_117
.LBB106_83:
	s_or_b32 exec_lo, exec_lo, s1
	s_and_saveexec_b32 s1, vcc_lo
	s_cbranch_execz .LBB106_85
.LBB106_84:
	ds_load_b32 v9, v0 offset:384
	s_waitcnt lgkmcnt(0)
	v_add_f32_e32 v2, v2, v9
.LBB106_85:
	s_or_b32 exec_lo, exec_lo, s1
	v_or_b32_e32 v9, 0x70, v10
	s_delay_alu instid0(VALU_DEP_1) | instskip(NEXT) | instid1(VALU_DEP_1)
	v_cmp_gt_u32_e64 s1, 0x78, v9
	s_and_b32 s3, vcc_lo, s1
	s_delay_alu instid0(SALU_CYCLE_1)
	s_and_saveexec_b32 s1, s3
	s_cbranch_execz .LBB106_87
; %bb.86:
	ds_load_b32 v0, v0 offset:448
	s_waitcnt lgkmcnt(0)
	v_add_f32_e32 v1, v1, v0
.LBB106_87:
	s_or_b32 exec_lo, exec_lo, s1
.LBB106_88:
	s_delay_alu instid0(SALU_CYCLE_1)
	s_or_b32 exec_lo, exec_lo, s2
	s_barrier
	buffer_gl0_inv
	s_and_saveexec_b32 s1, s0
	s_cbranch_execz .LBB106_105
; %bb.89:
	s_mul_i32 s0, s6, 0x78
	s_mul_i32 s2, s4, s16
	s_ashr_i32 s1, s0, 31
	v_lshlrev_b32_e32 v0, 1, v27
	s_lshl_b64 s[0:1], s[0:1], 1
	s_delay_alu instid0(SALU_CYCLE_1) | instskip(SKIP_2) | instid1(SALU_CYCLE_1)
	s_add_u32 s4, s18, s0
	s_addc_u32 s5, s19, s1
	s_ashr_i32 s3, s2, 31
	s_lshl_b64 s[0:1], s[2:3], 1
	s_mul_i32 s2, s12, 0x78
	s_add_u32 s4, s4, s0
	s_addc_u32 s5, s5, s1
	s_ashr_i32 s3, s2, 31
	s_delay_alu instid0(SALU_CYCLE_1) | instskip(NEXT) | instid1(SALU_CYCLE_1)
	s_lshl_b64 s[0:1], s[2:3], 1
	s_add_u32 s2, s4, s0
	s_addc_u32 s3, s5, s1
	s_and_saveexec_b32 s0, vcc_lo
	s_cbranch_execz .LBB106_91
; %bb.90:
	;;#ASMSTART
	v_cvt_f16_f32 v8, v8;

	;;#ASMEND
	global_store_b16 v0, v8, s[2:3]
.LBB106_91:
	s_or_b32 exec_lo, exec_lo, s0
	v_or_b32_e32 v8, 16, v27
	s_delay_alu instid0(VALU_DEP_1) | instskip(NEXT) | instid1(VALU_DEP_1)
	v_cmp_gt_u32_e64 s0, 0x78, v8
	s_and_b32 s1, vcc_lo, s0
	s_delay_alu instid0(SALU_CYCLE_1)
	s_and_saveexec_b32 s0, s1
	s_cbranch_execz .LBB106_93
; %bb.92:
	;;#ASMSTART
	v_cvt_f16_f32 v7, v7;

	;;#ASMEND
	global_store_b16 v0, v7, s[2:3] offset:32
.LBB106_93:
	s_or_b32 exec_lo, exec_lo, s0
	v_or_b32_e32 v7, 32, v27
	s_delay_alu instid0(VALU_DEP_1) | instskip(NEXT) | instid1(VALU_DEP_1)
	v_cmp_gt_u32_e64 s0, 0x78, v7
	s_and_b32 s1, vcc_lo, s0
	s_delay_alu instid0(SALU_CYCLE_1)
	s_and_saveexec_b32 s0, s1
	s_cbranch_execz .LBB106_95
; %bb.94:
	;;#ASMSTART
	v_cvt_f16_f32 v6, v6;

	;;#ASMEND
	global_store_b16 v0, v6, s[2:3] offset:64
.LBB106_95:
	;; [unrolled: 15-line block ×6, first 2 shown]
	s_or_b32 exec_lo, exec_lo, s0
	v_or_b32_e32 v2, 0x70, v27
	s_delay_alu instid0(VALU_DEP_1) | instskip(NEXT) | instid1(VALU_DEP_1)
	v_cmp_gt_u32_e64 s0, 0x78, v2
	s_and_b32 s0, vcc_lo, s0
	s_delay_alu instid0(SALU_CYCLE_1)
	s_and_b32 exec_lo, exec_lo, s0
	s_cbranch_execz .LBB106_105
; %bb.104:
	;;#ASMSTART
	v_cvt_f16_f32 v1, v1;

	;;#ASMEND
	global_store_b16 v0, v1, s[2:3] offset:224
.LBB106_105:
	s_nop 0
	s_sendmsg sendmsg(MSG_DEALLOC_VGPRS)
	s_endpgm
.LBB106_106:
	v_lshl_add_u32 v11, v10, 2, v9
	ds_load_b32 v11, v11
	s_waitcnt lgkmcnt(0)
	v_add_f32_e32 v8, v8, v11
	s_or_b32 exec_lo, exec_lo, s0
	s_and_saveexec_b32 s0, vcc_lo
	s_cbranch_execz .LBB106_62
.LBB106_107:
	v_lshl_add_u32 v11, v10, 2, v9
	ds_load_b32 v11, v11 offset:64
	s_waitcnt lgkmcnt(0)
	v_add_f32_e32 v7, v7, v11
	s_or_b32 exec_lo, exec_lo, s0
	s_and_saveexec_b32 s0, vcc_lo
	s_cbranch_execz .LBB106_63
.LBB106_108:
	v_lshl_add_u32 v11, v10, 2, v9
	ds_load_b32 v11, v11 offset:128
	s_waitcnt lgkmcnt(0)
	v_add_f32_e32 v6, v6, v11
	s_or_b32 exec_lo, exec_lo, s0
	s_and_saveexec_b32 s0, vcc_lo
	s_cbranch_execz .LBB106_64
.LBB106_109:
	v_lshl_add_u32 v11, v10, 2, v9
	ds_load_b32 v11, v11 offset:192
	s_waitcnt lgkmcnt(0)
	v_add_f32_e32 v5, v5, v11
	s_or_b32 exec_lo, exec_lo, s0
	s_and_saveexec_b32 s0, vcc_lo
	s_cbranch_execz .LBB106_65
.LBB106_110:
	v_lshl_add_u32 v11, v10, 2, v9
	ds_load_b32 v11, v11 offset:256
	s_waitcnt lgkmcnt(0)
	v_add_f32_e32 v4, v4, v11
	s_or_b32 exec_lo, exec_lo, s0
	s_and_saveexec_b32 s0, vcc_lo
	s_cbranch_execz .LBB106_66
.LBB106_111:
	v_lshl_add_u32 v11, v10, 2, v9
	ds_load_b32 v11, v11 offset:320
	s_waitcnt lgkmcnt(0)
	v_add_f32_e32 v3, v3, v11
	s_or_b32 exec_lo, exec_lo, s0
	s_and_saveexec_b32 s0, vcc_lo
	s_cbranch_execnz .LBB106_67
	s_branch .LBB106_68
.LBB106_112:
	ds_load_b32 v9, v0
	s_waitcnt lgkmcnt(0)
	v_add_f32_e32 v8, v8, v9
	s_or_b32 exec_lo, exec_lo, s1
	s_and_saveexec_b32 s1, vcc_lo
	s_cbranch_execz .LBB106_79
.LBB106_113:
	ds_load_b32 v9, v0 offset:64
	s_waitcnt lgkmcnt(0)
	v_add_f32_e32 v7, v7, v9
	s_or_b32 exec_lo, exec_lo, s1
	s_and_saveexec_b32 s1, vcc_lo
	s_cbranch_execz .LBB106_80
.LBB106_114:
	ds_load_b32 v9, v0 offset:128
	s_waitcnt lgkmcnt(0)
	v_add_f32_e32 v6, v6, v9
	s_or_b32 exec_lo, exec_lo, s1
	s_and_saveexec_b32 s1, vcc_lo
	s_cbranch_execz .LBB106_81
.LBB106_115:
	ds_load_b32 v9, v0 offset:192
	s_waitcnt lgkmcnt(0)
	v_add_f32_e32 v5, v5, v9
	s_or_b32 exec_lo, exec_lo, s1
	s_and_saveexec_b32 s1, vcc_lo
	s_cbranch_execz .LBB106_82
.LBB106_116:
	ds_load_b32 v9, v0 offset:256
	s_waitcnt lgkmcnt(0)
	v_add_f32_e32 v4, v4, v9
	s_or_b32 exec_lo, exec_lo, s1
	s_and_saveexec_b32 s1, vcc_lo
	s_cbranch_execz .LBB106_83
.LBB106_117:
	ds_load_b32 v9, v0 offset:320
	s_waitcnt lgkmcnt(0)
	v_add_f32_e32 v3, v3, v9
	s_or_b32 exec_lo, exec_lo, s1
	s_and_saveexec_b32 s1, vcc_lo
	s_cbranch_execnz .LBB106_84
	s_branch .LBB106_85
	.section	.rodata,"a",@progbits
	.p2align	6, 0x0
	.amdhsa_kernel _ZN4vllm25paged_attention_v2_kernelIttLi120ELi16ELi128ELNS_18Fp8KVCacheDataTypeE0ELb0ELi512EEEvPfS2_PT_PKS3_PKT0_S9_ifPKiSB_iPKfiiiSD_SD_iiiii
		.amdhsa_group_segment_fixed_size 272
		.amdhsa_private_segment_fixed_size 0
		.amdhsa_kernarg_size 400
		.amdhsa_user_sgpr_count 13
		.amdhsa_user_sgpr_dispatch_ptr 0
		.amdhsa_user_sgpr_queue_ptr 0
		.amdhsa_user_sgpr_kernarg_segment_ptr 1
		.amdhsa_user_sgpr_dispatch_id 0
		.amdhsa_user_sgpr_private_segment_size 0
		.amdhsa_wavefront_size32 1
		.amdhsa_uses_dynamic_stack 0
		.amdhsa_enable_private_segment 0
		.amdhsa_system_sgpr_workgroup_id_x 1
		.amdhsa_system_sgpr_workgroup_id_y 1
		.amdhsa_system_sgpr_workgroup_id_z 1
		.amdhsa_system_sgpr_workgroup_info 0
		.amdhsa_system_vgpr_workitem_id 0
		.amdhsa_next_free_vgpr 122
		.amdhsa_next_free_sgpr 40
		.amdhsa_reserve_vcc 1
		.amdhsa_float_round_mode_32 0
		.amdhsa_float_round_mode_16_64 0
		.amdhsa_float_denorm_mode_32 3
		.amdhsa_float_denorm_mode_16_64 3
		.amdhsa_dx10_clamp 1
		.amdhsa_ieee_mode 1
		.amdhsa_fp16_overflow 0
		.amdhsa_workgroup_processor_mode 1
		.amdhsa_memory_ordered 1
		.amdhsa_forward_progress 0
		.amdhsa_shared_vgpr_count 0
		.amdhsa_exception_fp_ieee_invalid_op 0
		.amdhsa_exception_fp_denorm_src 0
		.amdhsa_exception_fp_ieee_div_zero 0
		.amdhsa_exception_fp_ieee_overflow 0
		.amdhsa_exception_fp_ieee_underflow 0
		.amdhsa_exception_fp_ieee_inexact 0
		.amdhsa_exception_int_div_zero 0
	.end_amdhsa_kernel
	.section	.text._ZN4vllm25paged_attention_v2_kernelIttLi120ELi16ELi128ELNS_18Fp8KVCacheDataTypeE0ELb0ELi512EEEvPfS2_PT_PKS3_PKT0_S9_ifPKiSB_iPKfiiiSD_SD_iiiii,"axG",@progbits,_ZN4vllm25paged_attention_v2_kernelIttLi120ELi16ELi128ELNS_18Fp8KVCacheDataTypeE0ELb0ELi512EEEvPfS2_PT_PKS3_PKT0_S9_ifPKiSB_iPKfiiiSD_SD_iiiii,comdat
.Lfunc_end106:
	.size	_ZN4vllm25paged_attention_v2_kernelIttLi120ELi16ELi128ELNS_18Fp8KVCacheDataTypeE0ELb0ELi512EEEvPfS2_PT_PKS3_PKT0_S9_ifPKiSB_iPKfiiiSD_SD_iiiii, .Lfunc_end106-_ZN4vllm25paged_attention_v2_kernelIttLi120ELi16ELi128ELNS_18Fp8KVCacheDataTypeE0ELb0ELi512EEEvPfS2_PT_PKS3_PKT0_S9_ifPKiSB_iPKfiiiSD_SD_iiiii
                                        ; -- End function
	.section	.AMDGPU.csdata,"",@progbits
; Kernel info:
; codeLenInByte = 12372
; NumSgprs: 42
; NumVgprs: 122
; ScratchSize: 0
; MemoryBound: 0
; FloatMode: 240
; IeeeMode: 1
; LDSByteSize: 272 bytes/workgroup (compile time only)
; SGPRBlocks: 5
; VGPRBlocks: 15
; NumSGPRsForWavesPerEU: 42
; NumVGPRsForWavesPerEU: 122
; Occupancy: 10
; WaveLimiterHint : 1
; COMPUTE_PGM_RSRC2:SCRATCH_EN: 0
; COMPUTE_PGM_RSRC2:USER_SGPR: 13
; COMPUTE_PGM_RSRC2:TRAP_HANDLER: 0
; COMPUTE_PGM_RSRC2:TGID_X_EN: 1
; COMPUTE_PGM_RSRC2:TGID_Y_EN: 1
; COMPUTE_PGM_RSRC2:TGID_Z_EN: 1
; COMPUTE_PGM_RSRC2:TIDIG_COMP_CNT: 0
	.section	.text._ZN4vllm25paged_attention_v2_kernelIttLi128ELi16ELi128ELNS_18Fp8KVCacheDataTypeE0ELb0ELi512EEEvPfS2_PT_PKS3_PKT0_S9_ifPKiSB_iPKfiiiSD_SD_iiiii,"axG",@progbits,_ZN4vllm25paged_attention_v2_kernelIttLi128ELi16ELi128ELNS_18Fp8KVCacheDataTypeE0ELb0ELi512EEEvPfS2_PT_PKS3_PKT0_S9_ifPKiSB_iPKfiiiSD_SD_iiiii,comdat
	.protected	_ZN4vllm25paged_attention_v2_kernelIttLi128ELi16ELi128ELNS_18Fp8KVCacheDataTypeE0ELb0ELi512EEEvPfS2_PT_PKS3_PKT0_S9_ifPKiSB_iPKfiiiSD_SD_iiiii ; -- Begin function _ZN4vllm25paged_attention_v2_kernelIttLi128ELi16ELi128ELNS_18Fp8KVCacheDataTypeE0ELb0ELi512EEEvPfS2_PT_PKS3_PKT0_S9_ifPKiSB_iPKfiiiSD_SD_iiiii
	.globl	_ZN4vllm25paged_attention_v2_kernelIttLi128ELi16ELi128ELNS_18Fp8KVCacheDataTypeE0ELb0ELi512EEEvPfS2_PT_PKS3_PKT0_S9_ifPKiSB_iPKfiiiSD_SD_iiiii
	.p2align	8
	.type	_ZN4vllm25paged_attention_v2_kernelIttLi128ELi16ELi128ELNS_18Fp8KVCacheDataTypeE0ELb0ELi512EEEvPfS2_PT_PKS3_PKT0_S9_ifPKiSB_iPKfiiiSD_SD_iiiii,@function
_ZN4vllm25paged_attention_v2_kernelIttLi128ELi16ELi128ELNS_18Fp8KVCacheDataTypeE0ELb0ELi512EEEvPfS2_PT_PKS3_PKT0_S9_ifPKiSB_iPKfiiiSD_SD_iiiii: ; @_ZN4vllm25paged_attention_v2_kernelIttLi128ELi16ELi128ELNS_18Fp8KVCacheDataTypeE0ELb0ELi512EEEvPfS2_PT_PKS3_PKT0_S9_ifPKiSB_iPKfiiiSD_SD_iiiii
; %bb.0:
	s_load_b64 s[2:3], s[0:1], 0x40
	s_mov_b32 s12, s15
	s_ashr_i32 s15, s14, 31
	s_delay_alu instid0(SALU_CYCLE_1)
	s_lshl_b64 s[4:5], s[14:15], 2
	s_waitcnt lgkmcnt(0)
	s_add_u32 s2, s2, s4
	s_addc_u32 s3, s3, s5
	s_lshl_b32 s31, s12, 9
	s_load_b32 s30, s[2:3], 0x0
	s_waitcnt lgkmcnt(0)
	s_cmp_ge_i32 s31, s30
	s_cbranch_scc1 .LBB107_78
; %bb.1:
	s_mov_b32 s20, s13
	s_clause 0x1
	s_load_b32 s13, s[0:1], 0x90
	s_load_b64 s[28:29], s[0:1], 0x30
	s_mov_b32 s33, 0
	s_waitcnt lgkmcnt(0)
	s_abs_i32 s5, s13
	s_abs_i32 s2, s28
	s_delay_alu instid0(SALU_CYCLE_1) | instskip(SKIP_1) | instid1(VALU_DEP_1)
	v_cvt_f32_u32_e32 v1, s2
	s_sub_i32 s4, 0, s2
	v_rcp_iflag_f32_e32 v1, v1
	s_waitcnt_depctr 0xfff
	v_mul_f32_e32 v1, 0x4f7ffffe, v1
	s_delay_alu instid0(VALU_DEP_1) | instskip(NEXT) | instid1(VALU_DEP_1)
	v_cvt_u32_f32_e32 v1, v1
	v_readfirstlane_b32 s3, v1
	s_delay_alu instid0(VALU_DEP_1) | instskip(NEXT) | instid1(SALU_CYCLE_1)
	s_mul_i32 s4, s4, s3
	s_mul_hi_u32 s4, s3, s4
	s_delay_alu instid0(SALU_CYCLE_1) | instskip(SKIP_4) | instid1(SALU_CYCLE_1)
	s_add_i32 s3, s3, s4
	s_xor_b32 s4, s13, s28
	s_mul_hi_u32 s3, s5, s3
	s_ashr_i32 s4, s4, 31
	s_mul_i32 s6, s3, s2
	s_sub_i32 s5, s5, s6
	s_add_i32 s6, s3, 1
	s_sub_i32 s7, s5, s2
	s_cmp_ge_u32 s5, s2
	s_cselect_b32 s3, s6, s3
	s_cselect_b32 s5, s7, s5
	s_add_i32 s6, s3, 1
	s_cmp_ge_u32 s5, s2
	s_cselect_b32 s2, s6, s3
	s_abs_i32 s10, s20
	s_xor_b32 s2, s2, s4
	s_delay_alu instid0(SALU_CYCLE_1) | instskip(SKIP_2) | instid1(SALU_CYCLE_1)
	s_sub_i32 s11, s2, s4
	s_load_b64 s[2:3], s[0:1], 0x50
	s_abs_i32 s8, s11
	v_cvt_f32_u32_e32 v1, s8
	s_sub_i32 s5, 0, s8
	s_delay_alu instid0(VALU_DEP_1) | instskip(SKIP_2) | instid1(VALU_DEP_1)
	v_rcp_iflag_f32_e32 v1, v1
	s_waitcnt_depctr 0xfff
	v_mul_f32_e32 v1, 0x4f7ffffe, v1
	v_cvt_u32_f32_e32 v1, v1
	s_delay_alu instid0(VALU_DEP_1) | instskip(NEXT) | instid1(VALU_DEP_1)
	v_readfirstlane_b32 s4, v1
	s_mul_i32 s5, s5, s4
	s_delay_alu instid0(SALU_CYCLE_1) | instskip(NEXT) | instid1(SALU_CYCLE_1)
	s_mul_hi_u32 s5, s4, s5
	s_add_i32 s4, s4, s5
	s_waitcnt lgkmcnt(0)
	s_cmp_eq_u64 s[2:3], 0
	s_mul_hi_u32 s9, s10, s4
	s_cbranch_scc1 .LBB107_3
; %bb.2:
	s_ashr_i32 s21, s20, 31
	s_delay_alu instid0(SALU_CYCLE_1) | instskip(NEXT) | instid1(SALU_CYCLE_1)
	s_lshl_b64 s[4:5], s[20:21], 2
	s_add_u32 s2, s2, s4
	s_addc_u32 s3, s3, s5
	s_load_b32 s33, s[2:3], 0x0
.LBB107_3:
	s_load_b128 s[4:7], s[0:1], 0x58
	v_lshrrev_b32_e32 v31, 1, v0
	v_and_b32_e32 v32, 1, v0
	v_cmp_gt_u32_e64 s2, 32, v0
	v_lshlrev_b32_e32 v34, 3, v0
	s_ashr_i32 s3, s20, 31
	s_waitcnt lgkmcnt(0)
	s_ashr_i32 s7, s11, 31
	s_lshl_b32 s16, s20, 7
	s_and_saveexec_b32 s11, s2
	s_cbranch_execz .LBB107_5
; %bb.4:
	s_load_b64 s[18:19], s[0:1], 0x18
	s_mul_i32 s22, s14, s4
	v_lshlrev_b32_e32 v3, 3, v31
	s_ashr_i32 s23, s22, 31
	s_delay_alu instid0(SALU_CYCLE_1) | instskip(NEXT) | instid1(VALU_DEP_1)
	s_lshl_b64 s[22:23], s[22:23], 1
	v_lshl_add_u32 v3, v32, 7, v3
	s_waitcnt lgkmcnt(0)
	s_add_u32 s4, s18, s22
	s_addc_u32 s15, s19, s23
	s_ashr_i32 s17, s16, 31
	s_delay_alu instid0(SALU_CYCLE_1) | instskip(NEXT) | instid1(SALU_CYCLE_1)
	s_lshl_b64 s[18:19], s[16:17], 1
	s_add_u32 s18, s4, s18
	s_addc_u32 s19, s15, s19
	global_load_b64 v[1:2], v34, s[18:19]
	s_waitcnt vmcnt(0)
	ds_store_b64 v3, v[1:2]
.LBB107_5:
	s_or_b32 exec_lo, exec_lo, s11
	s_add_i32 s4, s30, 15
	s_lshl_b32 s15, s12, 5
	s_ashr_i32 s11, s4, 31
	s_xor_b32 s3, s3, s7
	s_lshr_b32 s11, s11, 28
	s_add_i32 s7, s15, 32
	s_add_i32 s4, s4, s11
	v_lshrrev_b32_e32 v33, 5, v0
	s_ashr_i32 s28, s4, 4
	s_mul_i32 s4, s9, s8
	s_min_i32 s21, s7, s28
	s_clause 0x1
	s_load_b64 s[22:23], s[0:1], 0x38
	s_load_b32 s7, s[0:1], 0x48
	s_sub_i32 s4, s10, s4
	s_add_i32 s10, s9, 1
	s_sub_i32 s11, s4, s8
	s_cmp_ge_u32 s4, s8
	v_or_b32_e32 v5, s15, v33
	s_cselect_b32 s9, s10, s9
	s_cselect_b32 s4, s11, s4
	s_add_i32 s10, s9, 1
	s_cmp_ge_u32 s4, s8
	v_mbcnt_lo_u32_b32 v36, -1, 0
	s_cselect_b32 s4, s10, s9
	s_mov_b32 s8, exec_lo
	s_xor_b32 s4, s4, s3
	s_waitcnt lgkmcnt(0)
	s_sub_i32 s4, s4, s3
	v_cmp_gt_i32_e64 s3, s21, v5
	s_barrier
	buffer_gl0_inv
                                        ; implicit-def: $vgpr37
	s_mul_i32 s24, s14, s7
                                        ; implicit-def: $sgpr7
	s_delay_alu instid0(SALU_CYCLE_1)
	s_ashr_i32 s25, s24, 31
	v_cmpx_le_i32_e64 s21, v5
	s_xor_b32 s8, exec_lo, s8
; %bb.6:
	v_mbcnt_lo_u32_b32 v36, -1, 0
	v_mov_b32_e32 v37, 32
	s_mov_b32 s7, 0xff7fffff
; %bb.7:
	s_or_saveexec_b32 s34, s8
	s_clause 0x3
	s_load_b128 s[8:11], s[0:1], 0x0
	s_load_b64 s[18:19], s[0:1], 0x10
	s_load_b64 s[26:27], s[0:1], 0x28
	s_load_b32 s17, s[0:1], 0x98
	v_dual_mov_b32 v38, s7 :: v_dual_lshlrev_b32 v35, 4, v33
	v_ashrrev_i32_e32 v6, 31, v5
	s_mul_i32 s6, s4, s6
	s_xor_b32 exec_lo, exec_lo, s34
	s_cbranch_execz .LBB107_13
; %bb.8:
	s_load_b64 s[36:37], s[0:1], 0x20
	v_bfe_u32 v3, v0, 1, 4
	s_ashr_i32 s7, s6, 31
	v_dual_mov_b32 v37, 32 :: v_dual_and_b32 v4, 8, v34
	s_lshl_b64 s[38:39], s[6:7], 1
	s_delay_alu instid0(VALU_DEP_2) | instskip(SKIP_2) | instid1(VALU_DEP_3)
	v_dual_mov_b32 v38, 0xff7fffff :: v_dual_lshlrev_b32 v1, 2, v3
	v_dual_mov_b32 v45, v5 :: v_dual_lshlrev_b32 v8, 4, v3
	v_add3_u32 v40, s31, v35, v3
	v_lshl_or_b32 v7, v33, 6, v1
	v_lshlrev_b64 v[1:2], 2, v[5:6]
	v_lshlrev_b32_e32 v39, 7, v32
	v_cmp_eq_u32_e32 vcc_lo, 0, v32
	v_cmp_neq_f32_e64 s0, s33, 0
	v_add_nc_u32_e32 v41, 0x120, v7
	v_xor_b32_e32 v44, 1, v36
	s_waitcnt lgkmcnt(0)
	s_add_u32 s1, s36, s38
	s_addc_u32 s4, s37, s39
	v_add_co_u32 v3, s1, s1, v8
	s_delay_alu instid0(VALU_DEP_1) | instskip(SKIP_2) | instid1(VALU_DEP_2)
	v_add_co_ci_u32_e64 v7, null, s4, 0, s1
	s_lshl_b64 s[36:37], s[24:25], 2
	s_sub_i32 s7, 1, s30
	v_add_co_u32 v42, s1, v3, v4
	s_add_u32 s4, s22, s36
	v_add_co_ci_u32_e64 v43, s1, 0, v7, s1
	s_addc_u32 s35, s23, s37
	v_add_co_u32 v1, s1, s4, v1
	s_delay_alu instid0(VALU_DEP_1)
	v_add_co_ci_u32_e64 v2, s1, s35, v2, s1
	s_mov_b32 s36, s5
	s_mov_b32 s35, 0
	s_branch .LBB107_10
.LBB107_9:                              ;   in Loop: Header=BB107_10 Depth=1
	s_or_b32 exec_lo, exec_lo, s4
	v_add_nc_u32_e32 v45, 4, v45
	v_add_co_u32 v1, s4, v1, 16
	v_add_nc_u32_e32 v40, 64, v40
	v_add_nc_u32_e32 v41, 0x100, v41
	s_delay_alu instid0(VALU_DEP_4) | instskip(SKIP_1) | instid1(VALU_DEP_2)
	v_cmp_le_i32_e64 s1, s21, v45
	v_add_co_ci_u32_e64 v2, s4, 0, v2, s4
	s_or_b32 s35, s1, s35
	s_delay_alu instid0(SALU_CYCLE_1)
	s_and_not1_b32 exec_lo, exec_lo, s35
	s_cbranch_execz .LBB107_12
.LBB107_10:                             ; =>This Inner Loop Header: Depth=1
	global_load_b32 v7, v[1:2], off
	s_waitcnt vmcnt(0) lgkmcnt(0)
	v_mad_i64_i32 v[3:4], null, v7, s36, 0
	s_delay_alu instid0(VALU_DEP_1) | instskip(NEXT) | instid1(VALU_DEP_1)
	v_lshlrev_b64 v[3:4], 1, v[3:4]
	v_add_co_u32 v3, s1, v42, v3
	s_delay_alu instid0(VALU_DEP_1)
	v_add_co_ci_u32_e64 v4, s1, v43, v4, s1
	v_cmp_gt_i32_e64 s1, 32, v44
	s_clause 0x9
	global_load_b64 v[47:48], v[3:4], off
	global_load_b64 v[54:55], v[3:4], off offset:256
	global_load_b64 v[62:63], v[3:4], off offset:512
	;; [unrolled: 1-line block ×9, first 2 shown]
	ds_load_b64 v[7:8], v39
	s_waitcnt lgkmcnt(0)
	v_lshrrev_b32_e32 v49, 16, v7
	v_and_b32_e32 v46, 0xffff, v7
	v_lshrrev_b32_e32 v51, 16, v8
	v_and_b32_e32 v50, 0xffff, v8
	s_clause 0x5
	global_load_b64 v[15:16], v[3:4], off offset:2560
	global_load_b64 v[13:14], v[3:4], off offset:2816
	;; [unrolled: 1-line block ×6, first 2 shown]
	;;#ASMSTART
	v_cvt_f32_f16 v46, v46;
	;;#ASMEND
	s_waitcnt vmcnt(15)
	v_and_b32_e32 v52, 0xffff, v47
	v_lshrrev_b32_e32 v53, 16, v47
	;;#ASMSTART
	v_cvt_f32_f16 v47, v49;
	;;#ASMEND
	v_lshrrev_b32_e32 v56, 16, v48
	v_and_b32_e32 v57, 0xffff, v48
	;;#ASMSTART
	v_cvt_f32_f16 v48, v52;
	;;#ASMEND
	;;#ASMSTART
	v_cvt_f32_f16 v49, v53;
	;;#ASMEND
	;; [unrolled: 3-line block ×6, first 2 shown]
	ds_load_b64 v[56:57], v39 offset:8
	s_waitcnt vmcnt(14)
	v_lshrrev_b32_e32 v58, 16, v54
	v_and_b32_e32 v59, 0xffff, v54
	v_lshrrev_b32_e32 v61, 16, v55
	v_and_b32_e32 v60, 0xffff, v55
	s_waitcnt vmcnt(13)
	v_lshrrev_b32_e32 v66, 16, v62
	v_lshrrev_b32_e32 v70, 16, v63
	s_waitcnt vmcnt(12)
	v_lshrrev_b32_e32 v73, 16, v30
	s_waitcnt vmcnt(11)
	v_lshrrev_b32_e32 v78, 16, v27
	v_lshrrev_b32_e32 v79, 16, v28
	s_waitcnt vmcnt(10)
	v_lshrrev_b32_e32 v84, 16, v25
	v_lshrrev_b32_e32 v85, 16, v26
	v_and_b32_e32 v26, 0xffff, v26
	s_waitcnt vmcnt(9)
	v_lshrrev_b32_e32 v90, 16, v23
	v_lshrrev_b32_e32 v91, 16, v24
	v_and_b32_e32 v24, 0xffff, v24
	;; [unrolled: 4-line block ×3, first 2 shown]
	s_waitcnt vmcnt(6)
	v_lshrrev_b32_e32 v108, 16, v19
	s_waitcnt lgkmcnt(0)
	v_and_b32_e32 v54, 0xffff, v56
	v_lshrrev_b32_e32 v56, 16, v56
	v_lshrrev_b32_e32 v64, 16, v57
	v_and_b32_e32 v57, 0xffff, v57
	;;#ASMSTART
	v_cvt_f32_f16 v55, v54;
	;;#ASMEND
	;;#ASMSTART
	v_cvt_f32_f16 v54, v56;
	;;#ASMEND
	;; [unrolled: 3-line block ×8, first 2 shown]
	ds_load_b64 v[64:65], v39 offset:16
	v_dual_mul_f32 v54, v54, v56 :: v_dual_and_b32 v67, 0xffff, v62
	v_dual_mul_f32 v56, v57, v60 :: v_dual_mul_f32 v57, v58, v61
	v_mul_f32_e32 v55, v55, v59
	s_delay_alu instid0(VALU_DEP_3) | instskip(SKIP_1) | instid1(VALU_DEP_4)
	v_fmac_f32_e32 v54, v47, v49
	v_lshrrev_b32_e32 v102, 16, v17
	v_dual_fmac_f32 v56, v50, v52 :: v_dual_fmac_f32 v57, v51, v53
	v_and_b32_e32 v71, 0xffff, v63
	v_fmac_f32_e32 v55, v46, v48
	v_lshrrev_b32_e32 v103, 16, v18
	v_and_b32_e32 v18, 0xffff, v18
	v_lshrrev_b32_e32 v109, 16, v20
	v_and_b32_e32 v20, 0xffff, v20
	s_waitcnt vmcnt(5)
	v_lshrrev_b32_e32 v114, 16, v15
	v_lshrrev_b32_e32 v115, 16, v16
	v_and_b32_e32 v16, 0xffff, v16
	s_waitcnt vmcnt(4)
	v_lshrrev_b32_e32 v120, 16, v13
	s_waitcnt lgkmcnt(0)
	v_and_b32_e32 v62, 0xffff, v64
	v_lshrrev_b32_e32 v64, 16, v64
	v_lshrrev_b32_e32 v72, 16, v65
	;;#ASMSTART
	v_cvt_f32_f16 v68, v62;
	;;#ASMEND
	;;#ASMSTART
	v_cvt_f32_f16 v62, v64;
	;;#ASMEND
	;; [unrolled: 3-line block ×4, first 2 shown]
	v_dual_fmac_f32 v54, v62, v63 :: v_dual_and_b32 v65, 0xffff, v65
	;;#ASMSTART
	v_cvt_f32_f16 v64, v65;
	;;#ASMEND
	;;#ASMSTART
	v_cvt_f32_f16 v65, v72;
	;;#ASMEND
	;; [unrolled: 3-line block ×4, first 2 shown]
	ds_load_b64 v[70:71], v39 offset:24
	v_fmac_f32_e32 v55, v68, v69
	v_lshrrev_b32_e32 v72, 16, v29
	v_dual_fmac_f32 v57, v65, v67 :: v_dual_fmac_f32 v56, v64, v66
	v_lshrrev_b32_e32 v121, 16, v14
	v_and_b32_e32 v14, 0xffff, v14
	s_waitcnt vmcnt(3)
	v_lshrrev_b32_e32 v126, 16, v11
	v_lshrrev_b32_e32 v127, 16, v12
	v_and_b32_e32 v12, 0xffff, v12
	s_waitcnt vmcnt(2)
	v_lshrrev_b32_e32 v128, 16, v9
	;; [unrolled: 4-line block ×3, first 2 shown]
	s_waitcnt lgkmcnt(0)
	v_and_b32_e32 v74, 0xffff, v70
	v_lshrrev_b32_e32 v70, 16, v70
	v_lshrrev_b32_e32 v75, 16, v71
	;;#ASMSTART
	v_cvt_f32_f16 v74, v74;
	;;#ASMEND
	;;#ASMSTART
	v_cvt_f32_f16 v70, v70;
	;;#ASMEND
	v_and_b32_e32 v29, 0xffff, v29
	;;#ASMSTART
	v_cvt_f32_f16 v76, v29;
	;;#ASMEND
	v_dual_fmac_f32 v55, v74, v76 :: v_dual_and_b32 v30, 0xffff, v30
	;;#ASMSTART
	v_cvt_f32_f16 v72, v72;
	;;#ASMEND
	v_dual_fmac_f32 v54, v70, v72 :: v_dual_and_b32 v71, 0xffff, v71
	;;#ASMSTART
	v_cvt_f32_f16 v71, v71;
	;;#ASMEND
	;;#ASMSTART
	v_cvt_f32_f16 v75, v75;
	;;#ASMEND
	;; [unrolled: 3-line block ×4, first 2 shown]
	ds_load_b64 v[29:30], v39 offset:32
	v_fmac_f32_e32 v57, v75, v73
	v_dual_fmac_f32 v56, v71, v77 :: v_dual_and_b32 v27, 0xffff, v27
	s_waitcnt lgkmcnt(0)
	v_and_b32_e32 v80, 0xffff, v29
	v_lshrrev_b32_e32 v29, 16, v29
	v_lshrrev_b32_e32 v81, 16, v30
	;;#ASMSTART
	v_cvt_f32_f16 v80, v80;
	;;#ASMEND
	;;#ASMSTART
	v_cvt_f32_f16 v29, v29;
	;;#ASMEND
	;; [unrolled: 3-line block ×3, first 2 shown]
	v_dual_fmac_f32 v55, v80, v82 :: v_dual_and_b32 v28, 0xffff, v28
	v_and_b32_e32 v30, 0xffff, v30
	;;#ASMSTART
	v_cvt_f32_f16 v78, v78;
	;;#ASMEND
	;;#ASMSTART
	v_cvt_f32_f16 v30, v30;
	;;#ASMEND
	;; [unrolled: 3-line block ×5, first 2 shown]
	ds_load_b64 v[27:28], v39 offset:40
	v_fmac_f32_e32 v57, v81, v79
	v_dual_fmac_f32 v56, v30, v83 :: v_dual_and_b32 v25, 0xffff, v25
	v_fmac_f32_e32 v54, v29, v78
	s_waitcnt lgkmcnt(0)
	v_and_b32_e32 v86, 0xffff, v27
	v_lshrrev_b32_e32 v27, 16, v27
	v_lshrrev_b32_e32 v87, 16, v28
	;;#ASMSTART
	v_cvt_f32_f16 v86, v86;
	;;#ASMEND
	;;#ASMSTART
	v_cvt_f32_f16 v27, v27;
	;;#ASMEND
	;; [unrolled: 3-line block ×3, first 2 shown]
	v_fmac_f32_e32 v55, v86, v88
	v_and_b32_e32 v28, 0xffff, v28
	;;#ASMSTART
	v_cvt_f32_f16 v84, v84;
	;;#ASMEND
	;;#ASMSTART
	v_cvt_f32_f16 v28, v28;
	;;#ASMEND
	;; [unrolled: 3-line block ×5, first 2 shown]
	ds_load_b64 v[25:26], v39 offset:48
	v_dual_fmac_f32 v54, v27, v84 :: v_dual_and_b32 v23, 0xffff, v23
	v_dual_fmac_f32 v56, v28, v89 :: v_dual_and_b32 v19, 0xffff, v19
	v_fmac_f32_e32 v57, v87, v85
	s_waitcnt lgkmcnt(0)
	v_and_b32_e32 v92, 0xffff, v25
	v_lshrrev_b32_e32 v25, 16, v25
	v_lshrrev_b32_e32 v93, 16, v26
	v_and_b32_e32 v26, 0xffff, v26
	;;#ASMSTART
	v_cvt_f32_f16 v92, v92;
	;;#ASMEND
	;;#ASMSTART
	v_cvt_f32_f16 v25, v25;
	;;#ASMEND
	;; [unrolled: 3-line block ×8, first 2 shown]
	ds_load_b64 v[23:24], v39 offset:56
	v_dual_fmac_f32 v54, v25, v90 :: v_dual_and_b32 v21, 0xffff, v21
	v_dual_fmac_f32 v56, v26, v95 :: v_dual_and_b32 v17, 0xffff, v17
	v_fmac_f32_e32 v55, v92, v94
	v_fmac_f32_e32 v57, v93, v91
	s_waitcnt lgkmcnt(0)
	v_and_b32_e32 v98, 0xffff, v23
	v_lshrrev_b32_e32 v23, 16, v23
	v_lshrrev_b32_e32 v99, 16, v24
	v_and_b32_e32 v24, 0xffff, v24
	;;#ASMSTART
	v_cvt_f32_f16 v98, v98;
	;;#ASMEND
	;;#ASMSTART
	v_cvt_f32_f16 v23, v23;
	;;#ASMEND
	;; [unrolled: 3-line block ×8, first 2 shown]
	ds_load_b64 v[21:22], v39 offset:64
	v_dual_fmac_f32 v54, v23, v96 :: v_dual_and_b32 v15, 0xffff, v15
	v_dual_fmac_f32 v56, v24, v101 :: v_dual_and_b32 v11, 0xffff, v11
	v_fmac_f32_e32 v55, v98, v100
	v_lshrrev_b32_e32 v23, 16, v8
	v_dual_fmac_f32 v57, v99, v97 :: v_dual_and_b32 v8, 0xffff, v8
	s_waitcnt lgkmcnt(0)
	v_and_b32_e32 v104, 0xffff, v21
	v_lshrrev_b32_e32 v21, 16, v21
	v_lshrrev_b32_e32 v105, 16, v22
	v_and_b32_e32 v22, 0xffff, v22
	;;#ASMSTART
	v_cvt_f32_f16 v104, v104;
	;;#ASMEND
	;;#ASMSTART
	v_cvt_f32_f16 v21, v21;
	;;#ASMEND
	;; [unrolled: 3-line block ×8, first 2 shown]
	ds_load_b64 v[17:18], v39 offset:72
	v_dual_fmac_f32 v54, v21, v102 :: v_dual_and_b32 v13, 0xffff, v13
	v_dual_fmac_f32 v56, v22, v107 :: v_dual_and_b32 v9, 0xffff, v9
	v_fmac_f32_e32 v55, v104, v106
	s_waitcnt lgkmcnt(0)
	v_dual_fmac_f32 v57, v105, v103 :: v_dual_and_b32 v110, 0xffff, v17
	v_lshrrev_b32_e32 v17, 16, v17
	v_lshrrev_b32_e32 v111, 16, v18
	v_and_b32_e32 v18, 0xffff, v18
	;;#ASMSTART
	v_cvt_f32_f16 v110, v110;
	;;#ASMEND
	;;#ASMSTART
	v_cvt_f32_f16 v112, v17;
	;;#ASMEND
	;; [unrolled: 3-line block ×8, first 2 shown]
	ds_load_b64 v[17:18], v39 offset:80
	v_dual_fmac_f32 v56, v113, v20 :: v_dual_and_b32 v7, 0xffff, v7
	v_dual_fmac_f32 v54, v112, v108 :: v_dual_fmac_f32 v55, v110, v19
	s_waitcnt vmcnt(0)
	v_lshrrev_b32_e32 v19, 16, v3
	v_fmac_f32_e32 v57, v111, v109
	v_and_b32_e32 v3, 0xffff, v3
	s_waitcnt lgkmcnt(0)
	v_and_b32_e32 v116, 0xffff, v17
	v_lshrrev_b32_e32 v17, 16, v17
	v_lshrrev_b32_e32 v117, 16, v18
	v_and_b32_e32 v18, 0xffff, v18
	;;#ASMSTART
	v_cvt_f32_f16 v116, v116;
	;;#ASMEND
	;;#ASMSTART
	v_cvt_f32_f16 v17, v17;
	;;#ASMEND
	;; [unrolled: 3-line block ×8, first 2 shown]
	ds_load_b64 v[15:16], v39 offset:88
	v_dual_fmac_f32 v56, v18, v119 :: v_dual_fmac_f32 v55, v116, v118
	v_fmac_f32_e32 v57, v117, v115
	s_waitcnt lgkmcnt(0)
	v_and_b32_e32 v122, 0xffff, v15
	v_lshrrev_b32_e32 v15, 16, v15
	v_lshrrev_b32_e32 v123, 16, v16
	v_and_b32_e32 v16, 0xffff, v16
	;;#ASMSTART
	v_cvt_f32_f16 v122, v122;
	;;#ASMEND
	;;#ASMSTART
	v_cvt_f32_f16 v15, v15;
	;;#ASMEND
	;; [unrolled: 3-line block ×8, first 2 shown]
	ds_load_b64 v[13:14], v39 offset:96
	v_fmac_f32_e32 v55, v122, v124
	v_fmac_f32_e32 v57, v123, v121
	s_waitcnt lgkmcnt(0)
	v_and_b32_e32 v46, 0xffff, v13
	v_lshrrev_b32_e32 v13, 16, v13
	v_lshrrev_b32_e32 v47, 16, v14
	v_and_b32_e32 v14, 0xffff, v14
	;;#ASMSTART
	v_cvt_f32_f16 v46, v46;
	;;#ASMEND
	;;#ASMSTART
	v_cvt_f32_f16 v13, v13;
	;;#ASMEND
	;; [unrolled: 3-line block ×8, first 2 shown]
	ds_load_b64 v[11:12], v39 offset:104
	v_fmac_f32_e32 v55, v46, v48
	v_fmac_f32_e32 v57, v47, v51
	s_waitcnt lgkmcnt(0)
	v_and_b32_e32 v27, 0xffff, v11
	v_lshrrev_b32_e32 v11, 16, v11
	v_lshrrev_b32_e32 v25, 16, v12
	v_and_b32_e32 v12, 0xffff, v12
	;;#ASMSTART
	v_cvt_f32_f16 v27, v27;
	;;#ASMEND
	;;#ASMSTART
	v_cvt_f32_f16 v11, v11;
	;;#ASMEND
	;; [unrolled: 3-line block ×8, first 2 shown]
	ds_load_b64 v[9:10], v39 offset:112
	v_dual_fmac_f32 v54, v17, v114 :: v_dual_fmac_f32 v55, v27, v28
	v_fmac_f32_e32 v57, v25, v53
	s_waitcnt lgkmcnt(0)
	v_and_b32_e32 v17, 0xffff, v9
	v_lshrrev_b32_e32 v9, 16, v9
	v_lshrrev_b32_e32 v18, 16, v10
	v_and_b32_e32 v10, 0xffff, v10
	;;#ASMSTART
	v_cvt_f32_f16 v17, v17;
	;;#ASMEND
	;;#ASMSTART
	v_cvt_f32_f16 v9, v9;
	;;#ASMEND
	;; [unrolled: 3-line block ×8, first 2 shown]
	ds_load_b64 v[7:8], v39 offset:120
	v_fmac_f32_e32 v54, v15, v120
	v_dual_fmac_f32 v56, v16, v125 :: v_dual_fmac_f32 v55, v17, v20
	s_delay_alu instid0(VALU_DEP_2) | instskip(SKIP_2) | instid1(VALU_DEP_3)
	v_dual_fmac_f32 v57, v18, v23 :: v_dual_fmac_f32 v54, v13, v49
	v_lshrrev_b32_e32 v13, 16, v4
	v_and_b32_e32 v4, 0xffff, v4
	v_fmac_f32_e32 v54, v11, v29
	s_waitcnt lgkmcnt(0)
	s_delay_alu instid0(VALU_DEP_1)
	v_dual_fmac_f32 v54, v9, v21 :: v_dual_and_b32 v9, 0xffff, v7
	v_fmac_f32_e32 v56, v14, v50
	v_lshrrev_b32_e32 v7, 16, v7
	;;#ASMSTART
	v_cvt_f32_f16 v9, v9;
	;;#ASMEND
	;;#ASMSTART
	v_cvt_f32_f16 v7, v7;
	;;#ASMEND
	;; [unrolled: 3-line block ×3, first 2 shown]
	v_fmac_f32_e32 v56, v12, v30
	;;#ASMSTART
	v_cvt_f32_f16 v11, v19;
	;;#ASMEND
	v_fmac_f32_e32 v55, v9, v3
	v_fmac_f32_e32 v54, v7, v11
	s_delay_alu instid0(VALU_DEP_3)
	v_fmac_f32_e32 v56, v10, v22
	v_lshrrev_b32_e32 v10, 16, v8
	v_and_b32_e32 v8, 0xffff, v8
	;;#ASMSTART
	v_cvt_f32_f16 v3, v8;
	;;#ASMEND
	;;#ASMSTART
	v_cvt_f32_f16 v7, v10;
	;;#ASMEND
	;;#ASMSTART
	v_cvt_f32_f16 v4, v4;
	;;#ASMEND
	v_fmac_f32_e32 v56, v3, v4
	v_add_f32_e32 v3, v55, v54
	;;#ASMSTART
	v_cvt_f32_f16 v4, v13;
	;;#ASMEND
	v_fmac_f32_e32 v57, v7, v4
	v_cndmask_b32_e64 v4, v36, v44, s1
	s_delay_alu instid0(VALU_DEP_3) | instskip(NEXT) | instid1(VALU_DEP_1)
	v_add_f32_e32 v3, v3, v56
	v_dual_add_f32 v3, v57, v3 :: v_dual_lshlrev_b32 v4, 2, v4
	ds_bpermute_b32 v4, v4, v3
	s_and_saveexec_b32 s4, vcc_lo
	s_cbranch_execz .LBB107_9
; %bb.11:                               ;   in Loop: Header=BB107_10 Depth=1
	s_waitcnt lgkmcnt(0)
	v_add_f32_e32 v3, v3, v4
	v_add_nc_u32_e32 v7, s7, v40
	v_cmp_gt_i32_e64 s1, s30, v40
	s_delay_alu instid0(VALU_DEP_2) | instskip(NEXT) | instid1(VALU_DEP_1)
	v_cvt_f32_i32_e32 v7, v7
	v_mul_f32_e32 v7, s33, v7
	s_delay_alu instid0(VALU_DEP_1) | instskip(NEXT) | instid1(VALU_DEP_1)
	v_cndmask_b32_e64 v4, 0, v7, s0
	v_dual_max_f32 v7, v38, v38 :: v_dual_fmac_f32 v4, s29, v3
	s_delay_alu instid0(VALU_DEP_1) | instskip(SKIP_1) | instid1(VALU_DEP_2)
	v_max_f32_e32 v3, v7, v4
	v_cndmask_b32_e64 v4, 0, v4, s1
	v_cndmask_b32_e64 v38, v38, v3, s1
	ds_store_b32 v41, v4
	s_branch .LBB107_9
.LBB107_12:
	s_or_b32 exec_lo, exec_lo, s35
.LBB107_13:
	s_delay_alu instid0(SALU_CYCLE_1) | instskip(SKIP_4) | instid1(VALU_DEP_4)
	s_or_b32 exec_lo, exec_lo, s34
	v_xor_b32_e32 v1, 16, v36
	v_xor_b32_e32 v2, 8, v36
	v_dual_max_f32 v7, v38, v38 :: v_dual_and_b32 v10, 31, v0
	v_lshlrev_b32_e32 v9, 2, v33
	v_cmp_lt_i32_e32 vcc_lo, v1, v37
	v_cndmask_b32_e32 v1, v36, v1, vcc_lo
	v_cmp_lt_i32_e32 vcc_lo, v2, v37
	v_cndmask_b32_e32 v2, v36, v2, vcc_lo
	s_waitcnt lgkmcnt(0)
	s_delay_alu instid0(VALU_DEP_1) | instskip(SKIP_4) | instid1(VALU_DEP_1)
	v_lshlrev_b32_e32 v4, 2, v2
	v_lshlrev_b32_e32 v3, 2, v1
	ds_bpermute_b32 v1, v3, v38
	s_waitcnt lgkmcnt(0)
	v_max_f32_e32 v1, v1, v1
	v_max_f32_e32 v1, v7, v1
	v_xor_b32_e32 v7, 4, v36
	s_delay_alu instid0(VALU_DEP_1) | instskip(SKIP_1) | instid1(VALU_DEP_1)
	v_cmp_lt_i32_e32 vcc_lo, v7, v37
	v_cndmask_b32_e32 v7, v36, v7, vcc_lo
	v_lshlrev_b32_e32 v8, 2, v7
	ds_bpermute_b32 v2, v4, v1
	v_xor_b32_e32 v7, 2, v36
	s_delay_alu instid0(VALU_DEP_1) | instskip(SKIP_4) | instid1(VALU_DEP_1)
	v_cmp_lt_i32_e32 vcc_lo, v7, v37
	v_cndmask_b32_e32 v7, v36, v7, vcc_lo
	v_cmp_eq_u32_e32 vcc_lo, 0, v10
	s_waitcnt lgkmcnt(0)
	v_max_f32_e32 v2, v2, v2
	v_max_f32_e32 v1, v1, v2
	ds_bpermute_b32 v2, v8, v1
	s_waitcnt lgkmcnt(0)
	v_max_f32_e32 v2, v2, v2
	s_delay_alu instid0(VALU_DEP_1)
	v_dual_max_f32 v1, v1, v2 :: v_dual_lshlrev_b32 v2, 2, v7
	ds_bpermute_b32 v7, v2, v1
	s_and_saveexec_b32 s0, vcc_lo
	s_cbranch_execz .LBB107_15
; %bb.14:
	s_waitcnt lgkmcnt(0)
	v_max_f32_e32 v7, v7, v7
	v_max_f32_e32 v1, v1, v1
	s_delay_alu instid0(VALU_DEP_1)
	v_max_f32_e32 v1, v1, v7
	ds_store_b32 v9, v1 offset:256
.LBB107_15:
	s_or_b32 exec_lo, exec_lo, s0
	v_cmp_gt_u32_e64 s0, 4, v10
	v_dual_mov_b32 v1, 0xff7fffff :: v_dual_lshlrev_b32 v12, 2, v10
	s_waitcnt lgkmcnt(0)
	s_barrier
	buffer_gl0_inv
	s_and_saveexec_b32 s1, s0
	s_cbranch_execz .LBB107_17
; %bb.16:
	ds_load_b32 v1, v12 offset:256
.LBB107_17:
	s_or_b32 exec_lo, exec_lo, s1
	s_waitcnt lgkmcnt(0)
	ds_bpermute_b32 v7, v2, v1
	v_xor_b32_e32 v11, 1, v36
	v_dual_max_f32 v1, v1, v1 :: v_dual_mov_b32 v14, 0
	v_lshlrev_b32_e32 v13, 2, v36
	s_delay_alu instid0(VALU_DEP_3) | instskip(NEXT) | instid1(VALU_DEP_2)
	v_cmp_lt_i32_e64 s1, v11, v37
	v_and_b32_e32 v13, 0xffffff80, v13
	s_delay_alu instid0(VALU_DEP_2) | instskip(SKIP_1) | instid1(SALU_CYCLE_1)
	v_cndmask_b32_e64 v11, v36, v11, s1
	s_sub_i32 s1, s21, s15
	s_lshl_b32 s1, s1, 4
	s_delay_alu instid0(VALU_DEP_1) | instskip(SKIP_1) | instid1(SALU_CYCLE_1)
	v_lshlrev_b32_e32 v11, 2, v11
	s_add_i32 s1, s1, s31
	s_min_i32 s1, s1, s30
	s_waitcnt lgkmcnt(0)
	v_max_f32_e32 v7, v7, v7
	s_sub_i32 s7, s1, s31
	s_delay_alu instid0(SALU_CYCLE_1) | instskip(NEXT) | instid1(VALU_DEP_2)
	v_cmp_gt_i32_e64 s1, s7, v0
	v_max_f32_e32 v1, v1, v7
	ds_bpermute_b32 v7, v11, v1
	s_waitcnt lgkmcnt(0)
	v_max_f32_e32 v7, v7, v7
	s_delay_alu instid0(VALU_DEP_1)
	v_max_f32_e32 v1, v1, v7
	v_lshl_add_u32 v7, v0, 2, 0x120
	ds_bpermute_b32 v1, v13, v1
	s_and_saveexec_b32 s15, s1
	s_cbranch_execz .LBB107_21
; %bb.18:
	v_lshl_add_u32 v15, v0, 2, 0x120
	v_mov_b32_e32 v14, 0
	v_mov_b32_e32 v16, v0
	s_mov_b32 s29, 0
	.p2align	6
.LBB107_19:                             ; =>This Inner Loop Header: Depth=1
	ds_load_b32 v17, v15
	v_add_nc_u32_e32 v16, 0x80, v16
	s_delay_alu instid0(VALU_DEP_1) | instskip(NEXT) | instid1(VALU_DEP_1)
	v_cmp_le_i32_e64 s4, s7, v16
	s_or_b32 s29, s4, s29
	s_waitcnt lgkmcnt(0)
	v_sub_f32_e32 v17, v17, v1
	s_delay_alu instid0(VALU_DEP_1) | instskip(NEXT) | instid1(VALU_DEP_1)
	v_mul_f32_e32 v17, 0x3fb8aa3b, v17
	v_exp_f32_e32 v17, v17
	ds_store_b32 v15, v17
	v_dual_add_f32 v14, v14, v17 :: v_dual_add_nc_u32 v15, 0x200, v15
	s_and_not1_b32 exec_lo, exec_lo, s29
	s_cbranch_execnz .LBB107_19
; %bb.20:
	s_or_b32 exec_lo, exec_lo, s29
.LBB107_21:
	s_delay_alu instid0(SALU_CYCLE_1)
	s_or_b32 exec_lo, exec_lo, s15
	ds_bpermute_b32 v3, v3, v14
	s_waitcnt lgkmcnt(0)
	v_add_f32_e32 v3, v14, v3
	ds_bpermute_b32 v4, v4, v3
	s_waitcnt lgkmcnt(0)
	v_add_f32_e32 v3, v3, v4
	;; [unrolled: 3-line block ×5, first 2 shown]
	s_and_saveexec_b32 s4, vcc_lo
	s_cbranch_execz .LBB107_23
; %bb.22:
	ds_store_b32 v9, v3 offset:272
.LBB107_23:
	s_or_b32 exec_lo, exec_lo, s4
	s_waitcnt lgkmcnt(0)
	s_barrier
	buffer_gl0_inv
	s_and_saveexec_b32 s4, s0
	s_cbranch_execz .LBB107_25
; %bb.24:
	ds_load_b32 v3, v12 offset:272
.LBB107_25:
	s_or_b32 exec_lo, exec_lo, s4
	s_waitcnt lgkmcnt(0)
	ds_bpermute_b32 v2, v2, v3
	s_waitcnt lgkmcnt(0)
	v_add_f32_e32 v2, v3, v2
	ds_bpermute_b32 v3, v11, v2
	s_waitcnt lgkmcnt(0)
	v_add_f32_e32 v2, v2, v3
	ds_bpermute_b32 v2, v13, v2
	s_and_saveexec_b32 s0, s1
	s_cbranch_execz .LBB107_28
; %bb.26:
	s_waitcnt lgkmcnt(0)
	v_add_f32_e32 v3, 0x358637bd, v2
	s_mov_b32 s1, 0
	s_delay_alu instid0(VALU_DEP_1) | instskip(NEXT) | instid1(VALU_DEP_1)
	v_div_scale_f32 v4, null, v3, v3, 1.0
	v_rcp_f32_e32 v8, v4
	s_waitcnt_depctr 0xfff
	v_fma_f32 v9, -v4, v8, 1.0
	s_delay_alu instid0(VALU_DEP_1) | instskip(SKIP_1) | instid1(VALU_DEP_1)
	v_fmac_f32_e32 v8, v9, v8
	v_div_scale_f32 v12, vcc_lo, 1.0, v3, 1.0
	v_mul_f32_e32 v9, v12, v8
	s_delay_alu instid0(VALU_DEP_1) | instskip(NEXT) | instid1(VALU_DEP_1)
	v_fma_f32 v13, -v4, v9, v12
	v_fmac_f32_e32 v9, v13, v8
	s_delay_alu instid0(VALU_DEP_1) | instskip(NEXT) | instid1(VALU_DEP_1)
	v_fma_f32 v4, -v4, v9, v12
	v_div_fmas_f32 v4, v4, v8, v9
	s_delay_alu instid0(VALU_DEP_1)
	v_div_fixup_f32 v3, v4, v3, 1.0
	v_mov_b32_e32 v4, v0
.LBB107_27:                             ; =>This Inner Loop Header: Depth=1
	ds_load_b32 v8, v7
	v_add_nc_u32_e32 v4, 0x80, v4
	s_delay_alu instid0(VALU_DEP_1)
	v_cmp_le_i32_e32 vcc_lo, s7, v4
	s_or_b32 s1, vcc_lo, s1
	s_waitcnt lgkmcnt(0)
	v_mul_f32_e32 v8, v3, v8
	ds_store_b32 v7, v8
	v_add_nc_u32_e32 v7, 0x200, v7
	s_and_not1_b32 exec_lo, exec_lo, s1
	s_cbranch_execnz .LBB107_27
.LBB107_28:
	s_or_b32 exec_lo, exec_lo, s0
	s_mul_i32 s0, s17, s14
	s_waitcnt lgkmcnt(0)
	s_mul_i32 s14, s0, s13
	s_mov_b32 s0, exec_lo
	s_barrier
	buffer_gl0_inv
	v_cmpx_eq_u32_e32 0, v0
	s_cbranch_execz .LBB107_30
; %bb.29:
	s_ashr_i32 s15, s14, 31
	s_mul_i32 s36, s17, s20
	s_lshl_b64 s[34:35], s[14:15], 2
	v_mov_b32_e32 v3, 0
	s_add_u32 s1, s10, s34
	s_addc_u32 s4, s11, s35
	s_ashr_i32 s37, s36, 31
	s_delay_alu instid0(SALU_CYCLE_1) | instskip(NEXT) | instid1(SALU_CYCLE_1)
	s_lshl_b64 s[10:11], s[36:37], 2
	s_add_u32 s1, s1, s10
	s_addc_u32 s4, s4, s11
	s_ashr_i32 s13, s12, 31
	s_delay_alu instid0(SALU_CYCLE_1) | instskip(NEXT) | instid1(SALU_CYCLE_1)
	s_lshl_b64 s[36:37], s[12:13], 2
	s_add_u32 s38, s1, s36
	s_addc_u32 s39, s4, s37
	s_add_u32 s1, s8, s34
	s_addc_u32 s4, s9, s35
	;; [unrolled: 2-line block ×4, first 2 shown]
	s_clause 0x1
	global_store_b32 v3, v1, s[38:39]
	global_store_b32 v3, v2, s[8:9]
.LBB107_30:
	s_or_b32 exec_lo, exec_lo, s0
	v_dual_mov_b32 v12, 0 :: v_dual_mov_b32 v13, 0
	v_dual_mov_b32 v15, 0 :: v_dual_mov_b32 v16, 0
	;; [unrolled: 1-line block ×4, first 2 shown]
	s_mov_b32 s4, 0
	s_and_saveexec_b32 s1, s3
	s_cbranch_execz .LBB107_50
; %bb.31:
	v_dual_mov_b32 v19, 0 :: v_dual_lshlrev_b32 v2, 4, v0
	s_ashr_i32 s7, s6, 31
	v_dual_mov_b32 v14, 0 :: v_dual_and_b32 v1, 8, v34
	s_delay_alu instid0(VALU_DEP_2)
	v_dual_mov_b32 v17, 0 :: v_dual_and_b32 v2, 0x1f0, v2
	s_lshl_b64 s[6:7], s[6:7], 1
	v_dual_mov_b32 v18, 0 :: v_dual_lshlrev_b32 v3, 5, v32
	s_add_u32 s0, s26, s6
	v_add3_u32 v22, s31, v35, v1
	v_add_co_u32 v20, s0, s0, v2
	v_lshlrev_b64 v[1:2], 2, v[5:6]
	s_addc_u32 s9, s27, s7
	s_lshl_b64 s[10:11], s[24:25], 2
	s_add_i32 s28, s28, -1
	v_lshl_or_b32 v3, v33, 6, v3
	v_add_co_ci_u32_e64 v21, null, s9, 0, s0
	s_add_u32 s0, s22, s10
	s_addc_u32 s9, s23, s11
	v_add_co_u32 v6, vcc_lo, s0, v1
	v_dual_mov_b32 v16, 0 :: v_dual_add_nc_u32 v23, 0x120, v3
	v_add_co_ci_u32_e32 v7, vcc_lo, s9, v2, vcc_lo
	v_dual_mov_b32 v15, 0 :: v_dual_mov_b32 v12, 0
	v_mov_b32_e32 v13, 0
	s_mov_b32 s3, s5
	s_mov_b32 s5, s30
	;; [unrolled: 1-line block ×8, first 2 shown]
	s_branch .LBB107_33
.LBB107_32:                             ;   in Loop: Header=BB107_33 Depth=1
	s_or_b32 exec_lo, exec_lo, s0
	s_waitcnt vmcnt(0)
	;;#ASMSTART
	v_pk_mul_f16 v1, v37, v1;

	;;#ASMEND
	v_dual_add_f32 v8, v38, v39 :: v_dual_add_f32 v9, v40, v41
	;;#ASMSTART
	v_pk_mul_f16 v2, v36, v2;

	;;#ASMEND
	;;#ASMSTART
	v_pk_mul_f16 v3, v35, v3;

	;;#ASMEND
	;; [unrolled: 4-line block ×3, first 2 shown]
	;;#ASMSTART
	v_pk_add_f16 v1, v1, v2;

	;;#ASMEND
	;;#ASMSTART
	v_pk_add_f16 v1, v1, v3;

	;;#ASMEND
	;; [unrolled: 4-line block ×3, first 2 shown]
	v_dual_add_f32 v3, v46, v47 :: v_dual_and_b32 v2, 0xffff, v1
	v_lshrrev_b32_e32 v1, 16, v1
	v_add_nc_u32_e32 v5, 4, v5
	;;#ASMSTART
	v_cvt_f32_f16 v2, v2;
	;;#ASMEND
	;;#ASMSTART
	v_cvt_f32_f16 v1, v1;
	;;#ASMEND
	v_dual_add_f32 v24, v42, v43 :: v_dual_add_f32 v25, v44, v45
	v_dual_add_f32 v14, v14, v8 :: v_dual_add_f32 v19, v19, v9
	v_add_f32_e32 v8, v50, v51
	v_add_f32_e32 v4, v48, v49
	v_dual_add_f32 v1, v2, v1 :: v_dual_add_f32 v16, v16, v3
	v_cmp_le_i32_e32 vcc_lo, s21, v5
	v_add_co_u32 v6, s0, v6, 16
	v_dual_add_f32 v18, v18, v24 :: v_dual_add_f32 v17, v17, v25
	v_add_f32_e32 v13, v13, v8
	v_dual_add_f32 v15, v15, v4 :: v_dual_add_f32 v12, v12, v1
	v_add_nc_u32_e32 v23, 0x100, v23
	v_add_nc_u32_e32 v22, 64, v22
	v_add_co_ci_u32_e64 v7, s0, 0, v7, s0
	s_or_b32 s4, vcc_lo, s4
	s_delay_alu instid0(SALU_CYCLE_1)
	s_and_not1_b32 exec_lo, exec_lo, s4
	s_cbranch_execz .LBB107_49
.LBB107_33:                             ; =>This Inner Loop Header: Depth=1
	global_load_b32 v28, v[6:7], off
	ds_load_2addr_b64 v[1:4], v23 offset1:1
	ds_load_2addr_b64 v[24:27], v23 offset0:2 offset1:3
	v_or_b32_e32 v29, 7, v22
	v_or_b32_e32 v30, 6, v22
	s_waitcnt lgkmcnt(1)
	;;#ASMSTART
	v_cvt_f16_f32 v36, v1;

	;;#ASMEND
	;;#ASMSTART
	v_cvt_f16_f32 v34, v2;

	;;#ASMEND
	;; [unrolled: 4-line block ×4, first 2 shown]
	s_waitcnt lgkmcnt(0)
	;;#ASMSTART
	v_cvt_f16_f32 v40, v24;

	;;#ASMEND
	;;#ASMSTART
	v_cvt_f16_f32 v38, v25;

	;;#ASMEND
	;; [unrolled: 4-line block ×4, first 2 shown]
	v_add_nc_u32_e32 v24, 1, v22
	v_or_b32_e32 v26, 3, v22
	v_or_b32_e32 v25, 2, v22
	;; [unrolled: 1-line block ×3, first 2 shown]
	s_waitcnt vmcnt(0)
	v_mad_i64_i32 v[8:9], null, v28, s3, 0
	v_or_b32_e32 v28, 5, v22
	s_delay_alu instid0(VALU_DEP_2) | instskip(NEXT) | instid1(VALU_DEP_1)
	v_lshlrev_b64 v[8:9], 1, v[8:9]
	v_add_co_u32 v8, vcc_lo, v20, v8
	s_delay_alu instid0(VALU_DEP_2)
	v_add_co_ci_u32_e32 v9, vcc_lo, v21, v9, vcc_lo
	v_cmp_eq_u32_e32 vcc_lo, s28, v5
	global_load_b128 v[1:4], v[8:9], off
	s_and_saveexec_b32 s13, vcc_lo
	s_cbranch_execz .LBB107_35
; %bb.34:                               ;   in Loop: Header=BB107_33 Depth=1
	v_cmp_gt_i32_e64 s0, s10, v30
	s_waitcnt vmcnt(0)
	v_lshrrev_b32_e32 v42, 16, v4
	v_lshrrev_b32_e32 v43, 16, v3
	;; [unrolled: 1-line block ×4, first 2 shown]
	v_cndmask_b32_e64 v4, 0, v4, s0
	v_cmp_gt_i32_e64 s0, s11, v29
	s_delay_alu instid0(VALU_DEP_1) | instskip(SKIP_1) | instid1(VALU_DEP_2)
	v_cndmask_b32_e64 v42, 0, v42, s0
	v_cmp_gt_i32_e64 s0, s9, v28
	v_perm_b32 v4, v42, v4, 0x5040100
	s_delay_alu instid0(VALU_DEP_2) | instskip(SKIP_1) | instid1(VALU_DEP_1)
	v_cndmask_b32_e64 v43, 0, v43, s0
	v_cmp_gt_i32_e64 s0, s8, v27
	v_cndmask_b32_e64 v3, 0, v3, s0
	v_cmp_gt_i32_e64 s0, s7, v26
	s_delay_alu instid0(VALU_DEP_2) | instskip(NEXT) | instid1(VALU_DEP_2)
	v_perm_b32 v3, v43, v3, 0x5040100
	v_cndmask_b32_e64 v44, 0, v44, s0
	v_cmp_gt_i32_e64 s0, s6, v25
	s_delay_alu instid0(VALU_DEP_1) | instskip(SKIP_1) | instid1(VALU_DEP_2)
	v_cndmask_b32_e64 v2, 0, v2, s0
	v_cmp_gt_i32_e64 s0, s5, v24
	v_perm_b32 v2, v44, v2, 0x5040100
	s_delay_alu instid0(VALU_DEP_2) | instskip(SKIP_1) | instid1(VALU_DEP_1)
	v_cndmask_b32_e64 v45, 0, v45, s0
	v_cmp_gt_i32_e64 s0, s30, v22
	v_cndmask_b32_e64 v1, 0, v1, s0
	s_delay_alu instid0(VALU_DEP_1)
	v_perm_b32 v1, v45, v1, 0x5040100
.LBB107_35:                             ;   in Loop: Header=BB107_33 Depth=1
	s_or_b32 exec_lo, exec_lo, s13
	v_and_b32_e32 v36, 0xffff, v36
	v_and_b32_e32 v42, 0xffff, v37
	;; [unrolled: 1-line block ×4, first 2 shown]
	s_delay_alu instid0(VALU_DEP_4)
	v_lshl_or_b32 v37, v34, 16, v36
	s_waitcnt vmcnt(0)
	;;#ASMSTART
	v_pk_mul_f16 v1, v37, v1;

	;;#ASMEND
	v_lshl_or_b32 v36, v35, 16, v42
	v_lshl_or_b32 v35, v38, 16, v40
	;; [unrolled: 1-line block ×3, first 2 shown]
	;;#ASMSTART
	v_pk_mul_f16 v2, v36, v2;

	;;#ASMEND
	;;#ASMSTART
	v_pk_mul_f16 v3, v35, v3;

	;;#ASMEND
	;; [unrolled: 4-line block ×3, first 2 shown]
	;;#ASMSTART
	v_pk_add_f16 v1, v1, v2;

	;;#ASMEND
	;;#ASMSTART
	v_pk_add_f16 v1, v1, v3;

	;;#ASMEND
	;; [unrolled: 4-line block ×3, first 2 shown]
	v_and_b32_e32 v2, 0xffff, v1
	v_lshrrev_b32_e32 v1, 16, v1
	;;#ASMSTART
	v_cvt_f32_f16 v38, v2;
	;;#ASMEND
	;;#ASMSTART
	v_cvt_f32_f16 v39, v1;
	;;#ASMEND
	global_load_b128 v[1:4], v[8:9], off offset:512
	s_and_saveexec_b32 s13, vcc_lo
	s_cbranch_execz .LBB107_37
; %bb.36:                               ;   in Loop: Header=BB107_33 Depth=1
	v_cmp_gt_i32_e64 s0, s10, v30
	s_waitcnt vmcnt(0)
	v_lshrrev_b32_e32 v40, 16, v4
	v_lshrrev_b32_e32 v41, 16, v3
	;; [unrolled: 1-line block ×4, first 2 shown]
	v_cndmask_b32_e64 v4, 0, v4, s0
	v_cmp_gt_i32_e64 s0, s11, v29
	s_delay_alu instid0(VALU_DEP_1) | instskip(SKIP_1) | instid1(VALU_DEP_2)
	v_cndmask_b32_e64 v40, 0, v40, s0
	v_cmp_gt_i32_e64 s0, s9, v28
	v_perm_b32 v4, v40, v4, 0x5040100
	s_delay_alu instid0(VALU_DEP_2) | instskip(SKIP_1) | instid1(VALU_DEP_1)
	v_cndmask_b32_e64 v41, 0, v41, s0
	v_cmp_gt_i32_e64 s0, s8, v27
	v_cndmask_b32_e64 v3, 0, v3, s0
	v_cmp_gt_i32_e64 s0, s7, v26
	s_delay_alu instid0(VALU_DEP_2) | instskip(NEXT) | instid1(VALU_DEP_2)
	v_perm_b32 v3, v41, v3, 0x5040100
	v_cndmask_b32_e64 v42, 0, v42, s0
	v_cmp_gt_i32_e64 s0, s6, v25
	s_delay_alu instid0(VALU_DEP_1) | instskip(SKIP_1) | instid1(VALU_DEP_2)
	v_cndmask_b32_e64 v2, 0, v2, s0
	v_cmp_gt_i32_e64 s0, s5, v24
	v_perm_b32 v2, v42, v2, 0x5040100
	s_delay_alu instid0(VALU_DEP_2) | instskip(SKIP_1) | instid1(VALU_DEP_1)
	v_cndmask_b32_e64 v43, 0, v43, s0
	v_cmp_gt_i32_e64 s0, s30, v22
	v_cndmask_b32_e64 v1, 0, v1, s0
	s_delay_alu instid0(VALU_DEP_1)
	v_perm_b32 v1, v43, v1, 0x5040100
.LBB107_37:                             ;   in Loop: Header=BB107_33 Depth=1
	s_or_b32 exec_lo, exec_lo, s13
	s_waitcnt vmcnt(0)
	;;#ASMSTART
	v_pk_mul_f16 v1, v37, v1;

	;;#ASMEND
	;;#ASMSTART
	v_pk_mul_f16 v2, v36, v2;

	;;#ASMEND
	;; [unrolled: 4-line block ×4, first 2 shown]
	;;#ASMSTART
	v_pk_add_f16 v1, v1, v2;

	;;#ASMEND
	;;#ASMSTART
	v_pk_add_f16 v1, v1, v3;

	;;#ASMEND
	;; [unrolled: 4-line block ×3, first 2 shown]
	v_and_b32_e32 v2, 0xffff, v1
	v_lshrrev_b32_e32 v1, 16, v1
	;;#ASMSTART
	v_cvt_f32_f16 v40, v2;
	;;#ASMEND
	;;#ASMSTART
	v_cvt_f32_f16 v41, v1;
	;;#ASMEND
	global_load_b128 v[1:4], v[8:9], off offset:1024
	s_and_saveexec_b32 s13, vcc_lo
	s_cbranch_execz .LBB107_39
; %bb.38:                               ;   in Loop: Header=BB107_33 Depth=1
	v_cmp_gt_i32_e64 s0, s10, v30
	s_waitcnt vmcnt(0)
	v_lshrrev_b32_e32 v42, 16, v4
	v_lshrrev_b32_e32 v43, 16, v3
	;; [unrolled: 1-line block ×4, first 2 shown]
	v_cndmask_b32_e64 v4, 0, v4, s0
	v_cmp_gt_i32_e64 s0, s11, v29
	s_delay_alu instid0(VALU_DEP_1) | instskip(SKIP_1) | instid1(VALU_DEP_2)
	v_cndmask_b32_e64 v42, 0, v42, s0
	v_cmp_gt_i32_e64 s0, s9, v28
	v_perm_b32 v4, v42, v4, 0x5040100
	s_delay_alu instid0(VALU_DEP_2) | instskip(SKIP_1) | instid1(VALU_DEP_1)
	v_cndmask_b32_e64 v43, 0, v43, s0
	v_cmp_gt_i32_e64 s0, s8, v27
	v_cndmask_b32_e64 v3, 0, v3, s0
	v_cmp_gt_i32_e64 s0, s7, v26
	s_delay_alu instid0(VALU_DEP_2) | instskip(NEXT) | instid1(VALU_DEP_2)
	v_perm_b32 v3, v43, v3, 0x5040100
	v_cndmask_b32_e64 v44, 0, v44, s0
	v_cmp_gt_i32_e64 s0, s6, v25
	s_delay_alu instid0(VALU_DEP_1) | instskip(SKIP_1) | instid1(VALU_DEP_2)
	v_cndmask_b32_e64 v2, 0, v2, s0
	v_cmp_gt_i32_e64 s0, s5, v24
	v_perm_b32 v2, v44, v2, 0x5040100
	s_delay_alu instid0(VALU_DEP_2) | instskip(SKIP_1) | instid1(VALU_DEP_1)
	v_cndmask_b32_e64 v45, 0, v45, s0
	v_cmp_gt_i32_e64 s0, s30, v22
	v_cndmask_b32_e64 v1, 0, v1, s0
	s_delay_alu instid0(VALU_DEP_1)
	v_perm_b32 v1, v45, v1, 0x5040100
.LBB107_39:                             ;   in Loop: Header=BB107_33 Depth=1
	s_or_b32 exec_lo, exec_lo, s13
	s_waitcnt vmcnt(0)
	;;#ASMSTART
	v_pk_mul_f16 v1, v37, v1;

	;;#ASMEND
	;;#ASMSTART
	v_pk_mul_f16 v2, v36, v2;

	;;#ASMEND
	;; [unrolled: 4-line block ×4, first 2 shown]
	;;#ASMSTART
	v_pk_add_f16 v1, v1, v2;

	;;#ASMEND
	;;#ASMSTART
	v_pk_add_f16 v1, v1, v3;

	;;#ASMEND
	;; [unrolled: 4-line block ×3, first 2 shown]
	v_and_b32_e32 v2, 0xffff, v1
	v_lshrrev_b32_e32 v1, 16, v1
	;;#ASMSTART
	v_cvt_f32_f16 v42, v2;
	;;#ASMEND
	;;#ASMSTART
	v_cvt_f32_f16 v43, v1;
	;;#ASMEND
	global_load_b128 v[1:4], v[8:9], off offset:1536
	s_and_saveexec_b32 s13, vcc_lo
	s_cbranch_execz .LBB107_41
; %bb.40:                               ;   in Loop: Header=BB107_33 Depth=1
	v_cmp_gt_i32_e64 s0, s10, v30
	s_waitcnt vmcnt(0)
	v_lshrrev_b32_e32 v44, 16, v4
	v_lshrrev_b32_e32 v45, 16, v3
	;; [unrolled: 1-line block ×4, first 2 shown]
	v_cndmask_b32_e64 v4, 0, v4, s0
	v_cmp_gt_i32_e64 s0, s11, v29
	s_delay_alu instid0(VALU_DEP_1) | instskip(SKIP_1) | instid1(VALU_DEP_2)
	v_cndmask_b32_e64 v44, 0, v44, s0
	v_cmp_gt_i32_e64 s0, s9, v28
	v_perm_b32 v4, v44, v4, 0x5040100
	s_delay_alu instid0(VALU_DEP_2) | instskip(SKIP_1) | instid1(VALU_DEP_1)
	v_cndmask_b32_e64 v45, 0, v45, s0
	v_cmp_gt_i32_e64 s0, s8, v27
	v_cndmask_b32_e64 v3, 0, v3, s0
	v_cmp_gt_i32_e64 s0, s7, v26
	s_delay_alu instid0(VALU_DEP_2) | instskip(NEXT) | instid1(VALU_DEP_2)
	v_perm_b32 v3, v45, v3, 0x5040100
	v_cndmask_b32_e64 v46, 0, v46, s0
	v_cmp_gt_i32_e64 s0, s6, v25
	s_delay_alu instid0(VALU_DEP_1) | instskip(SKIP_1) | instid1(VALU_DEP_2)
	v_cndmask_b32_e64 v2, 0, v2, s0
	v_cmp_gt_i32_e64 s0, s5, v24
	v_perm_b32 v2, v46, v2, 0x5040100
	s_delay_alu instid0(VALU_DEP_2) | instskip(SKIP_1) | instid1(VALU_DEP_1)
	v_cndmask_b32_e64 v47, 0, v47, s0
	v_cmp_gt_i32_e64 s0, s30, v22
	v_cndmask_b32_e64 v1, 0, v1, s0
	s_delay_alu instid0(VALU_DEP_1)
	v_perm_b32 v1, v47, v1, 0x5040100
.LBB107_41:                             ;   in Loop: Header=BB107_33 Depth=1
	s_or_b32 exec_lo, exec_lo, s13
	s_waitcnt vmcnt(0)
	;;#ASMSTART
	v_pk_mul_f16 v1, v37, v1;

	;;#ASMEND
	;;#ASMSTART
	v_pk_mul_f16 v2, v36, v2;

	;;#ASMEND
	;; [unrolled: 4-line block ×4, first 2 shown]
	;;#ASMSTART
	v_pk_add_f16 v1, v1, v2;

	;;#ASMEND
	;;#ASMSTART
	v_pk_add_f16 v1, v1, v3;

	;;#ASMEND
	;; [unrolled: 4-line block ×3, first 2 shown]
	v_and_b32_e32 v2, 0xffff, v1
	v_lshrrev_b32_e32 v1, 16, v1
	;;#ASMSTART
	v_cvt_f32_f16 v44, v2;
	;;#ASMEND
	;;#ASMSTART
	v_cvt_f32_f16 v45, v1;
	;;#ASMEND
	global_load_b128 v[1:4], v[8:9], off offset:2048
	s_and_saveexec_b32 s13, vcc_lo
	s_cbranch_execz .LBB107_43
; %bb.42:                               ;   in Loop: Header=BB107_33 Depth=1
	v_cmp_gt_i32_e64 s0, s10, v30
	s_waitcnt vmcnt(0)
	v_lshrrev_b32_e32 v46, 16, v4
	v_lshrrev_b32_e32 v47, 16, v3
	;; [unrolled: 1-line block ×4, first 2 shown]
	v_cndmask_b32_e64 v4, 0, v4, s0
	v_cmp_gt_i32_e64 s0, s11, v29
	s_delay_alu instid0(VALU_DEP_1) | instskip(SKIP_1) | instid1(VALU_DEP_2)
	v_cndmask_b32_e64 v46, 0, v46, s0
	v_cmp_gt_i32_e64 s0, s9, v28
	v_perm_b32 v4, v46, v4, 0x5040100
	s_delay_alu instid0(VALU_DEP_2) | instskip(SKIP_1) | instid1(VALU_DEP_1)
	v_cndmask_b32_e64 v47, 0, v47, s0
	v_cmp_gt_i32_e64 s0, s8, v27
	v_cndmask_b32_e64 v3, 0, v3, s0
	v_cmp_gt_i32_e64 s0, s7, v26
	s_delay_alu instid0(VALU_DEP_2) | instskip(NEXT) | instid1(VALU_DEP_2)
	v_perm_b32 v3, v47, v3, 0x5040100
	v_cndmask_b32_e64 v48, 0, v48, s0
	v_cmp_gt_i32_e64 s0, s6, v25
	s_delay_alu instid0(VALU_DEP_1) | instskip(SKIP_1) | instid1(VALU_DEP_2)
	v_cndmask_b32_e64 v2, 0, v2, s0
	v_cmp_gt_i32_e64 s0, s5, v24
	v_perm_b32 v2, v48, v2, 0x5040100
	s_delay_alu instid0(VALU_DEP_2) | instskip(SKIP_1) | instid1(VALU_DEP_1)
	v_cndmask_b32_e64 v49, 0, v49, s0
	v_cmp_gt_i32_e64 s0, s30, v22
	v_cndmask_b32_e64 v1, 0, v1, s0
	s_delay_alu instid0(VALU_DEP_1)
	v_perm_b32 v1, v49, v1, 0x5040100
.LBB107_43:                             ;   in Loop: Header=BB107_33 Depth=1
	s_or_b32 exec_lo, exec_lo, s13
	s_waitcnt vmcnt(0)
	;;#ASMSTART
	v_pk_mul_f16 v1, v37, v1;

	;;#ASMEND
	;;#ASMSTART
	v_pk_mul_f16 v2, v36, v2;

	;;#ASMEND
	;; [unrolled: 4-line block ×4, first 2 shown]
	;;#ASMSTART
	v_pk_add_f16 v1, v1, v2;

	;;#ASMEND
	;;#ASMSTART
	v_pk_add_f16 v1, v1, v3;

	;;#ASMEND
	;; [unrolled: 4-line block ×3, first 2 shown]
	v_and_b32_e32 v2, 0xffff, v1
	v_lshrrev_b32_e32 v1, 16, v1
	;;#ASMSTART
	v_cvt_f32_f16 v46, v2;
	;;#ASMEND
	;;#ASMSTART
	v_cvt_f32_f16 v47, v1;
	;;#ASMEND
	global_load_b128 v[1:4], v[8:9], off offset:2560
	s_and_saveexec_b32 s13, vcc_lo
	s_cbranch_execz .LBB107_45
; %bb.44:                               ;   in Loop: Header=BB107_33 Depth=1
	v_cmp_gt_i32_e64 s0, s10, v30
	s_waitcnt vmcnt(0)
	v_lshrrev_b32_e32 v48, 16, v4
	v_lshrrev_b32_e32 v49, 16, v3
	;; [unrolled: 1-line block ×4, first 2 shown]
	v_cndmask_b32_e64 v4, 0, v4, s0
	v_cmp_gt_i32_e64 s0, s11, v29
	s_delay_alu instid0(VALU_DEP_1) | instskip(SKIP_1) | instid1(VALU_DEP_2)
	v_cndmask_b32_e64 v48, 0, v48, s0
	v_cmp_gt_i32_e64 s0, s9, v28
	v_perm_b32 v4, v48, v4, 0x5040100
	s_delay_alu instid0(VALU_DEP_2) | instskip(SKIP_1) | instid1(VALU_DEP_1)
	v_cndmask_b32_e64 v49, 0, v49, s0
	v_cmp_gt_i32_e64 s0, s8, v27
	v_cndmask_b32_e64 v3, 0, v3, s0
	v_cmp_gt_i32_e64 s0, s7, v26
	s_delay_alu instid0(VALU_DEP_2) | instskip(NEXT) | instid1(VALU_DEP_2)
	v_perm_b32 v3, v49, v3, 0x5040100
	v_cndmask_b32_e64 v50, 0, v50, s0
	v_cmp_gt_i32_e64 s0, s6, v25
	s_delay_alu instid0(VALU_DEP_1) | instskip(SKIP_1) | instid1(VALU_DEP_2)
	v_cndmask_b32_e64 v2, 0, v2, s0
	v_cmp_gt_i32_e64 s0, s5, v24
	v_perm_b32 v2, v50, v2, 0x5040100
	s_delay_alu instid0(VALU_DEP_2) | instskip(SKIP_1) | instid1(VALU_DEP_1)
	v_cndmask_b32_e64 v51, 0, v51, s0
	v_cmp_gt_i32_e64 s0, s30, v22
	v_cndmask_b32_e64 v1, 0, v1, s0
	s_delay_alu instid0(VALU_DEP_1)
	v_perm_b32 v1, v51, v1, 0x5040100
.LBB107_45:                             ;   in Loop: Header=BB107_33 Depth=1
	s_or_b32 exec_lo, exec_lo, s13
	s_waitcnt vmcnt(0)
	;;#ASMSTART
	v_pk_mul_f16 v1, v37, v1;

	;;#ASMEND
	;;#ASMSTART
	v_pk_mul_f16 v2, v36, v2;

	;;#ASMEND
	;;#ASMSTART
	v_pk_mul_f16 v3, v35, v3;

	;;#ASMEND
	;;#ASMSTART
	v_pk_mul_f16 v4, v34, v4;

	;;#ASMEND
	;;#ASMSTART
	v_pk_add_f16 v1, v1, v2;

	;;#ASMEND
	;;#ASMSTART
	v_pk_add_f16 v1, v1, v3;

	;;#ASMEND
	;; [unrolled: 4-line block ×3, first 2 shown]
	v_and_b32_e32 v2, 0xffff, v1
	v_lshrrev_b32_e32 v1, 16, v1
	;;#ASMSTART
	v_cvt_f32_f16 v48, v2;
	;;#ASMEND
	;;#ASMSTART
	v_cvt_f32_f16 v49, v1;
	;;#ASMEND
	global_load_b128 v[1:4], v[8:9], off offset:3072
	s_and_saveexec_b32 s13, vcc_lo
	s_cbranch_execz .LBB107_47
; %bb.46:                               ;   in Loop: Header=BB107_33 Depth=1
	v_cmp_gt_i32_e64 s0, s10, v30
	s_waitcnt vmcnt(0)
	v_lshrrev_b32_e32 v50, 16, v4
	v_lshrrev_b32_e32 v51, 16, v3
	;; [unrolled: 1-line block ×4, first 2 shown]
	v_cndmask_b32_e64 v4, 0, v4, s0
	v_cmp_gt_i32_e64 s0, s11, v29
	s_delay_alu instid0(VALU_DEP_1) | instskip(SKIP_1) | instid1(VALU_DEP_2)
	v_cndmask_b32_e64 v50, 0, v50, s0
	v_cmp_gt_i32_e64 s0, s9, v28
	v_perm_b32 v4, v50, v4, 0x5040100
	s_delay_alu instid0(VALU_DEP_2) | instskip(SKIP_1) | instid1(VALU_DEP_1)
	v_cndmask_b32_e64 v51, 0, v51, s0
	v_cmp_gt_i32_e64 s0, s8, v27
	v_cndmask_b32_e64 v3, 0, v3, s0
	v_cmp_gt_i32_e64 s0, s7, v26
	s_delay_alu instid0(VALU_DEP_2) | instskip(NEXT) | instid1(VALU_DEP_2)
	v_perm_b32 v3, v51, v3, 0x5040100
	v_cndmask_b32_e64 v52, 0, v52, s0
	v_cmp_gt_i32_e64 s0, s6, v25
	s_delay_alu instid0(VALU_DEP_1) | instskip(SKIP_1) | instid1(VALU_DEP_2)
	v_cndmask_b32_e64 v2, 0, v2, s0
	v_cmp_gt_i32_e64 s0, s5, v24
	v_perm_b32 v2, v52, v2, 0x5040100
	s_delay_alu instid0(VALU_DEP_2) | instskip(SKIP_1) | instid1(VALU_DEP_1)
	v_cndmask_b32_e64 v53, 0, v53, s0
	v_cmp_gt_i32_e64 s0, s30, v22
	v_cndmask_b32_e64 v1, 0, v1, s0
	s_delay_alu instid0(VALU_DEP_1)
	v_perm_b32 v1, v53, v1, 0x5040100
.LBB107_47:                             ;   in Loop: Header=BB107_33 Depth=1
	s_or_b32 exec_lo, exec_lo, s13
	s_waitcnt vmcnt(0)
	;;#ASMSTART
	v_pk_mul_f16 v1, v37, v1;

	;;#ASMEND
	;;#ASMSTART
	v_pk_mul_f16 v2, v36, v2;

	;;#ASMEND
	;;#ASMSTART
	v_pk_mul_f16 v3, v35, v3;

	;;#ASMEND
	;;#ASMSTART
	v_pk_mul_f16 v4, v34, v4;

	;;#ASMEND
	;;#ASMSTART
	v_pk_add_f16 v1, v1, v2;

	;;#ASMEND
	;;#ASMSTART
	v_pk_add_f16 v1, v1, v3;

	;;#ASMEND
	;; [unrolled: 4-line block ×3, first 2 shown]
	v_and_b32_e32 v2, 0xffff, v1
	v_lshrrev_b32_e32 v1, 16, v1
	;;#ASMSTART
	v_cvt_f32_f16 v50, v2;
	;;#ASMEND
	;;#ASMSTART
	v_cvt_f32_f16 v51, v1;
	;;#ASMEND
	global_load_b128 v[1:4], v[8:9], off offset:3584
	s_and_saveexec_b32 s0, vcc_lo
	s_cbranch_execz .LBB107_32
; %bb.48:                               ;   in Loop: Header=BB107_33 Depth=1
	v_cmp_gt_i32_e32 vcc_lo, s10, v30
	s_waitcnt vmcnt(0)
	v_lshrrev_b32_e32 v8, 16, v4
	v_lshrrev_b32_e32 v9, 16, v3
	v_cndmask_b32_e32 v4, 0, v4, vcc_lo
	v_cmp_gt_i32_e32 vcc_lo, s11, v29
	s_delay_alu instid0(VALU_DEP_4)
	v_cndmask_b32_e32 v8, 0, v8, vcc_lo
	v_cmp_gt_i32_e32 vcc_lo, s9, v28
	v_lshrrev_b32_e32 v28, 16, v2
	v_cndmask_b32_e32 v9, 0, v9, vcc_lo
	v_cmp_gt_i32_e32 vcc_lo, s8, v27
	v_lshrrev_b32_e32 v27, 16, v1
	v_cndmask_b32_e32 v3, 0, v3, vcc_lo
	v_cmp_gt_i32_e32 vcc_lo, s7, v26
	v_perm_b32 v4, v8, v4, 0x5040100
	s_delay_alu instid0(VALU_DEP_3)
	v_perm_b32 v3, v9, v3, 0x5040100
	v_cndmask_b32_e32 v26, 0, v28, vcc_lo
	v_cmp_gt_i32_e32 vcc_lo, s6, v25
	v_cndmask_b32_e32 v2, 0, v2, vcc_lo
	v_cmp_gt_i32_e32 vcc_lo, s5, v24
	;; [unrolled: 2-line block ×3, first 2 shown]
	v_cndmask_b32_e32 v1, 0, v1, vcc_lo
	v_perm_b32 v2, v26, v2, 0x5040100
	s_delay_alu instid0(VALU_DEP_2)
	v_perm_b32 v1, v24, v1, 0x5040100
	s_branch .LBB107_32
.LBB107_49:
	s_or_b32 exec_lo, exec_lo, s4
.LBB107_50:
	s_delay_alu instid0(SALU_CYCLE_1)
	s_or_b32 exec_lo, exec_lo, s1
	ds_bpermute_b32 v1, v11, v14
	ds_bpermute_b32 v2, v11, v19
	;; [unrolled: 1-line block ×8, first 2 shown]
	v_lshrrev_b32_e32 v9, 1, v10
	v_lshl_add_u32 v10, v33, 9, 0x120
	v_and_b32_e32 v23, 0x3c1, v0
	s_mov_b32 s0, exec_lo
	s_waitcnt lgkmcnt(0)
	s_waitcnt_vscnt null, 0x0
	s_barrier
	buffer_gl0_inv
	v_dual_add_f32 v8, v14, v1 :: v_dual_add_f32 v7, v19, v2
	v_dual_add_f32 v6, v18, v3 :: v_dual_add_f32 v5, v17, v4
	;; [unrolled: 1-line block ×4, first 2 shown]
	v_cmpx_eq_u32_e32 64, v23
	s_cbranch_execz .LBB107_52
; %bb.51:
	v_lshlrev_b32_e32 v11, 2, v9
	s_delay_alu instid0(VALU_DEP_1)
	v_add3_u32 v11, v10, v11, 0xfffffc00
	ds_store_2addr_b32 v11, v8, v7 offset1:16
	ds_store_2addr_b32 v11, v6, v5 offset0:32 offset1:48
	ds_store_2addr_b32 v11, v4, v3 offset0:64 offset1:80
	;; [unrolled: 1-line block ×3, first 2 shown]
.LBB107_52:
	s_or_b32 exec_lo, exec_lo, s0
	v_cmp_eq_u32_e32 vcc_lo, 0, v32
	s_mov_b32 s1, exec_lo
	s_waitcnt lgkmcnt(0)
	s_barrier
	buffer_gl0_inv
	v_cmpx_gt_u32_e32 64, v0
	s_cbranch_execz .LBB107_63
; %bb.53:
	s_and_saveexec_b32 s0, vcc_lo
	s_cbranch_execnz .LBB107_79
; %bb.54:
	s_or_b32 exec_lo, exec_lo, s0
	s_and_saveexec_b32 s0, vcc_lo
	s_cbranch_execnz .LBB107_80
.LBB107_55:
	s_or_b32 exec_lo, exec_lo, s0
	s_and_saveexec_b32 s0, vcc_lo
	s_cbranch_execnz .LBB107_81
.LBB107_56:
	s_or_b32 exec_lo, exec_lo, s0
	s_and_saveexec_b32 s0, vcc_lo
	s_cbranch_execnz .LBB107_82
.LBB107_57:
	s_or_b32 exec_lo, exec_lo, s0
	s_and_saveexec_b32 s0, vcc_lo
	s_cbranch_execnz .LBB107_83
.LBB107_58:
	s_or_b32 exec_lo, exec_lo, s0
	s_and_saveexec_b32 s0, vcc_lo
	s_cbranch_execnz .LBB107_84
.LBB107_59:
	s_or_b32 exec_lo, exec_lo, s0
	s_and_saveexec_b32 s0, vcc_lo
	s_cbranch_execnz .LBB107_85
.LBB107_60:
	s_or_b32 exec_lo, exec_lo, s0
	s_and_saveexec_b32 s0, vcc_lo
	s_cbranch_execz .LBB107_62
.LBB107_61:
	v_lshl_add_u32 v11, v9, 2, v10
	ds_load_b32 v11, v11 offset:448
	s_waitcnt lgkmcnt(0)
	v_add_f32_e32 v1, v1, v11
.LBB107_62:
	s_or_b32 exec_lo, exec_lo, s0
.LBB107_63:
	s_delay_alu instid0(SALU_CYCLE_1)
	s_or_b32 exec_lo, exec_lo, s1
	v_and_b32_e32 v0, 0x3e1, v0
	s_mov_b32 s1, exec_lo
	s_barrier
	buffer_gl0_inv
	v_cmpx_eq_u32_e32 32, v0
	s_cbranch_execz .LBB107_65
; %bb.64:
	v_lshl_add_u32 v11, v9, 2, 0x120
	ds_store_2addr_b32 v11, v8, v7 offset1:16
	ds_store_2addr_b32 v11, v6, v5 offset0:32 offset1:48
	ds_store_2addr_b32 v11, v4, v3 offset0:64 offset1:80
	;; [unrolled: 1-line block ×3, first 2 shown]
.LBB107_65:
	s_or_b32 exec_lo, exec_lo, s1
	s_waitcnt lgkmcnt(0)
	s_barrier
	buffer_gl0_inv
	s_and_saveexec_b32 s0, s2
	s_cbranch_execz .LBB107_76
; %bb.66:
	v_lshl_add_u32 v9, v9, 2, v10
	s_and_saveexec_b32 s1, vcc_lo
	s_cbranch_execnz .LBB107_86
; %bb.67:
	s_or_b32 exec_lo, exec_lo, s1
	s_and_saveexec_b32 s1, vcc_lo
	s_cbranch_execnz .LBB107_87
.LBB107_68:
	s_or_b32 exec_lo, exec_lo, s1
	s_and_saveexec_b32 s1, vcc_lo
	s_cbranch_execnz .LBB107_88
.LBB107_69:
	s_or_b32 exec_lo, exec_lo, s1
	s_and_saveexec_b32 s1, vcc_lo
	s_cbranch_execnz .LBB107_89
.LBB107_70:
	s_or_b32 exec_lo, exec_lo, s1
	s_and_saveexec_b32 s1, vcc_lo
	s_cbranch_execnz .LBB107_90
.LBB107_71:
	s_or_b32 exec_lo, exec_lo, s1
	s_and_saveexec_b32 s1, vcc_lo
	s_cbranch_execnz .LBB107_91
.LBB107_72:
	s_or_b32 exec_lo, exec_lo, s1
	s_and_saveexec_b32 s1, vcc_lo
	s_cbranch_execnz .LBB107_92
.LBB107_73:
	s_or_b32 exec_lo, exec_lo, s1
	s_and_saveexec_b32 s1, vcc_lo
	s_cbranch_execz .LBB107_75
.LBB107_74:
	ds_load_b32 v9, v9 offset:448
	s_waitcnt lgkmcnt(0)
	v_add_f32_e32 v1, v1, v9
.LBB107_75:
	s_or_b32 exec_lo, exec_lo, s1
.LBB107_76:
	s_delay_alu instid0(SALU_CYCLE_1)
	s_or_b32 exec_lo, exec_lo, s0
	s_barrier
	buffer_gl0_inv
	s_mov_b32 s0, exec_lo
	v_cmpx_eq_u32_e32 0, v0
	s_cbranch_execz .LBB107_78
; %bb.77:
	s_lshl_b32 s0, s14, 7
	s_mul_i32 s2, s17, s16
	s_ashr_i32 s1, s0, 31
	v_lshlrev_b32_e32 v0, 1, v31
	s_lshl_b64 s[0:1], s[0:1], 1
	;;#ASMSTART
	v_cvt_f16_f32 v8, v8;

	;;#ASMEND
	s_add_u32 s4, s18, s0
	s_addc_u32 s5, s19, s1
	s_ashr_i32 s3, s2, 31
	s_delay_alu instid0(SALU_CYCLE_1) | instskip(NEXT) | instid1(SALU_CYCLE_1)
	s_lshl_b64 s[0:1], s[2:3], 1
	s_add_u32 s2, s4, s0
	s_addc_u32 s3, s5, s1
	s_lshl_b32 s0, s12, 7
	s_delay_alu instid0(SALU_CYCLE_1) | instskip(NEXT) | instid1(SALU_CYCLE_1)
	s_ashr_i32 s1, s0, 31
	s_lshl_b64 s[0:1], s[0:1], 1
	s_delay_alu instid0(SALU_CYCLE_1)
	s_add_u32 s0, s2, s0
	s_addc_u32 s1, s3, s1
	global_store_b16 v0, v8, s[0:1]
	;;#ASMSTART
	v_cvt_f16_f32 v7, v7;

	;;#ASMEND
	global_store_b16 v0, v7, s[0:1] offset:32
	;;#ASMSTART
	v_cvt_f16_f32 v6, v6;

	;;#ASMEND
	global_store_b16 v0, v6, s[0:1] offset:64
	;; [unrolled: 5-line block ×7, first 2 shown]
.LBB107_78:
	s_nop 0
	s_sendmsg sendmsg(MSG_DEALLOC_VGPRS)
	s_endpgm
.LBB107_79:
	v_lshl_add_u32 v11, v9, 2, v10
	ds_load_b32 v11, v11
	s_waitcnt lgkmcnt(0)
	v_add_f32_e32 v8, v8, v11
	s_or_b32 exec_lo, exec_lo, s0
	s_and_saveexec_b32 s0, vcc_lo
	s_cbranch_execz .LBB107_55
.LBB107_80:
	v_lshl_add_u32 v11, v9, 2, v10
	ds_load_b32 v11, v11 offset:64
	s_waitcnt lgkmcnt(0)
	v_add_f32_e32 v7, v7, v11
	s_or_b32 exec_lo, exec_lo, s0
	s_and_saveexec_b32 s0, vcc_lo
	s_cbranch_execz .LBB107_56
.LBB107_81:
	v_lshl_add_u32 v11, v9, 2, v10
	ds_load_b32 v11, v11 offset:128
	s_waitcnt lgkmcnt(0)
	v_add_f32_e32 v6, v6, v11
	s_or_b32 exec_lo, exec_lo, s0
	s_and_saveexec_b32 s0, vcc_lo
	s_cbranch_execz .LBB107_57
.LBB107_82:
	v_lshl_add_u32 v11, v9, 2, v10
	ds_load_b32 v11, v11 offset:192
	s_waitcnt lgkmcnt(0)
	v_add_f32_e32 v5, v5, v11
	s_or_b32 exec_lo, exec_lo, s0
	s_and_saveexec_b32 s0, vcc_lo
	s_cbranch_execz .LBB107_58
.LBB107_83:
	v_lshl_add_u32 v11, v9, 2, v10
	ds_load_b32 v11, v11 offset:256
	s_waitcnt lgkmcnt(0)
	v_add_f32_e32 v4, v4, v11
	s_or_b32 exec_lo, exec_lo, s0
	s_and_saveexec_b32 s0, vcc_lo
	s_cbranch_execz .LBB107_59
.LBB107_84:
	v_lshl_add_u32 v11, v9, 2, v10
	ds_load_b32 v11, v11 offset:320
	s_waitcnt lgkmcnt(0)
	v_add_f32_e32 v3, v3, v11
	s_or_b32 exec_lo, exec_lo, s0
	s_and_saveexec_b32 s0, vcc_lo
	s_cbranch_execz .LBB107_60
.LBB107_85:
	v_lshl_add_u32 v11, v9, 2, v10
	ds_load_b32 v11, v11 offset:384
	s_waitcnt lgkmcnt(0)
	v_add_f32_e32 v2, v2, v11
	s_or_b32 exec_lo, exec_lo, s0
	s_and_saveexec_b32 s0, vcc_lo
	s_cbranch_execnz .LBB107_61
	s_branch .LBB107_62
.LBB107_86:
	ds_load_b32 v10, v9
	s_waitcnt lgkmcnt(0)
	v_add_f32_e32 v8, v8, v10
	s_or_b32 exec_lo, exec_lo, s1
	s_and_saveexec_b32 s1, vcc_lo
	s_cbranch_execz .LBB107_68
.LBB107_87:
	ds_load_b32 v10, v9 offset:64
	s_waitcnt lgkmcnt(0)
	v_add_f32_e32 v7, v7, v10
	s_or_b32 exec_lo, exec_lo, s1
	s_and_saveexec_b32 s1, vcc_lo
	s_cbranch_execz .LBB107_69
.LBB107_88:
	ds_load_b32 v10, v9 offset:128
	s_waitcnt lgkmcnt(0)
	v_add_f32_e32 v6, v6, v10
	s_or_b32 exec_lo, exec_lo, s1
	s_and_saveexec_b32 s1, vcc_lo
	s_cbranch_execz .LBB107_70
.LBB107_89:
	ds_load_b32 v10, v9 offset:192
	s_waitcnt lgkmcnt(0)
	v_add_f32_e32 v5, v5, v10
	s_or_b32 exec_lo, exec_lo, s1
	s_and_saveexec_b32 s1, vcc_lo
	s_cbranch_execz .LBB107_71
.LBB107_90:
	ds_load_b32 v10, v9 offset:256
	s_waitcnt lgkmcnt(0)
	v_add_f32_e32 v4, v4, v10
	s_or_b32 exec_lo, exec_lo, s1
	s_and_saveexec_b32 s1, vcc_lo
	s_cbranch_execz .LBB107_72
.LBB107_91:
	ds_load_b32 v10, v9 offset:320
	s_waitcnt lgkmcnt(0)
	v_add_f32_e32 v3, v3, v10
	s_or_b32 exec_lo, exec_lo, s1
	s_and_saveexec_b32 s1, vcc_lo
	s_cbranch_execz .LBB107_73
.LBB107_92:
	ds_load_b32 v10, v9 offset:384
	s_waitcnt lgkmcnt(0)
	v_add_f32_e32 v2, v2, v10
	s_or_b32 exec_lo, exec_lo, s1
	s_and_saveexec_b32 s1, vcc_lo
	s_cbranch_execnz .LBB107_74
	s_branch .LBB107_75
	.section	.rodata,"a",@progbits
	.p2align	6, 0x0
	.amdhsa_kernel _ZN4vllm25paged_attention_v2_kernelIttLi128ELi16ELi128ELNS_18Fp8KVCacheDataTypeE0ELb0ELi512EEEvPfS2_PT_PKS3_PKT0_S9_ifPKiSB_iPKfiiiSD_SD_iiiii
		.amdhsa_group_segment_fixed_size 288
		.amdhsa_private_segment_fixed_size 0
		.amdhsa_kernarg_size 400
		.amdhsa_user_sgpr_count 13
		.amdhsa_user_sgpr_dispatch_ptr 0
		.amdhsa_user_sgpr_queue_ptr 0
		.amdhsa_user_sgpr_kernarg_segment_ptr 1
		.amdhsa_user_sgpr_dispatch_id 0
		.amdhsa_user_sgpr_private_segment_size 0
		.amdhsa_wavefront_size32 1
		.amdhsa_uses_dynamic_stack 0
		.amdhsa_enable_private_segment 0
		.amdhsa_system_sgpr_workgroup_id_x 1
		.amdhsa_system_sgpr_workgroup_id_y 1
		.amdhsa_system_sgpr_workgroup_id_z 1
		.amdhsa_system_sgpr_workgroup_info 0
		.amdhsa_system_vgpr_workitem_id 0
		.amdhsa_next_free_vgpr 129
		.amdhsa_next_free_sgpr 40
		.amdhsa_reserve_vcc 1
		.amdhsa_float_round_mode_32 0
		.amdhsa_float_round_mode_16_64 0
		.amdhsa_float_denorm_mode_32 3
		.amdhsa_float_denorm_mode_16_64 3
		.amdhsa_dx10_clamp 1
		.amdhsa_ieee_mode 1
		.amdhsa_fp16_overflow 0
		.amdhsa_workgroup_processor_mode 1
		.amdhsa_memory_ordered 1
		.amdhsa_forward_progress 0
		.amdhsa_shared_vgpr_count 0
		.amdhsa_exception_fp_ieee_invalid_op 0
		.amdhsa_exception_fp_denorm_src 0
		.amdhsa_exception_fp_ieee_div_zero 0
		.amdhsa_exception_fp_ieee_overflow 0
		.amdhsa_exception_fp_ieee_underflow 0
		.amdhsa_exception_fp_ieee_inexact 0
		.amdhsa_exception_int_div_zero 0
	.end_amdhsa_kernel
	.section	.text._ZN4vllm25paged_attention_v2_kernelIttLi128ELi16ELi128ELNS_18Fp8KVCacheDataTypeE0ELb0ELi512EEEvPfS2_PT_PKS3_PKT0_S9_ifPKiSB_iPKfiiiSD_SD_iiiii,"axG",@progbits,_ZN4vllm25paged_attention_v2_kernelIttLi128ELi16ELi128ELNS_18Fp8KVCacheDataTypeE0ELb0ELi512EEEvPfS2_PT_PKS3_PKT0_S9_ifPKiSB_iPKfiiiSD_SD_iiiii,comdat
.Lfunc_end107:
	.size	_ZN4vllm25paged_attention_v2_kernelIttLi128ELi16ELi128ELNS_18Fp8KVCacheDataTypeE0ELb0ELi512EEEvPfS2_PT_PKS3_PKT0_S9_ifPKiSB_iPKfiiiSD_SD_iiiii, .Lfunc_end107-_ZN4vllm25paged_attention_v2_kernelIttLi128ELi16ELi128ELNS_18Fp8KVCacheDataTypeE0ELb0ELi512EEEvPfS2_PT_PKS3_PKT0_S9_ifPKiSB_iPKfiiiSD_SD_iiiii
                                        ; -- End function
	.section	.AMDGPU.csdata,"",@progbits
; Kernel info:
; codeLenInByte = 11760
; NumSgprs: 42
; NumVgprs: 129
; ScratchSize: 0
; MemoryBound: 0
; FloatMode: 240
; IeeeMode: 1
; LDSByteSize: 288 bytes/workgroup (compile time only)
; SGPRBlocks: 5
; VGPRBlocks: 16
; NumSGPRsForWavesPerEU: 42
; NumVGPRsForWavesPerEU: 129
; Occupancy: 10
; WaveLimiterHint : 1
; COMPUTE_PGM_RSRC2:SCRATCH_EN: 0
; COMPUTE_PGM_RSRC2:USER_SGPR: 13
; COMPUTE_PGM_RSRC2:TRAP_HANDLER: 0
; COMPUTE_PGM_RSRC2:TGID_X_EN: 1
; COMPUTE_PGM_RSRC2:TGID_Y_EN: 1
; COMPUTE_PGM_RSRC2:TGID_Z_EN: 1
; COMPUTE_PGM_RSRC2:TIDIG_COMP_CNT: 0
	.section	.text._ZN4vllm25paged_attention_v2_kernelIttLi192ELi16ELi128ELNS_18Fp8KVCacheDataTypeE0ELb0ELi512EEEvPfS2_PT_PKS3_PKT0_S9_ifPKiSB_iPKfiiiSD_SD_iiiii,"axG",@progbits,_ZN4vllm25paged_attention_v2_kernelIttLi192ELi16ELi128ELNS_18Fp8KVCacheDataTypeE0ELb0ELi512EEEvPfS2_PT_PKS3_PKT0_S9_ifPKiSB_iPKfiiiSD_SD_iiiii,comdat
	.protected	_ZN4vllm25paged_attention_v2_kernelIttLi192ELi16ELi128ELNS_18Fp8KVCacheDataTypeE0ELb0ELi512EEEvPfS2_PT_PKS3_PKT0_S9_ifPKiSB_iPKfiiiSD_SD_iiiii ; -- Begin function _ZN4vllm25paged_attention_v2_kernelIttLi192ELi16ELi128ELNS_18Fp8KVCacheDataTypeE0ELb0ELi512EEEvPfS2_PT_PKS3_PKT0_S9_ifPKiSB_iPKfiiiSD_SD_iiiii
	.globl	_ZN4vllm25paged_attention_v2_kernelIttLi192ELi16ELi128ELNS_18Fp8KVCacheDataTypeE0ELb0ELi512EEEvPfS2_PT_PKS3_PKT0_S9_ifPKiSB_iPKfiiiSD_SD_iiiii
	.p2align	8
	.type	_ZN4vllm25paged_attention_v2_kernelIttLi192ELi16ELi128ELNS_18Fp8KVCacheDataTypeE0ELb0ELi512EEEvPfS2_PT_PKS3_PKT0_S9_ifPKiSB_iPKfiiiSD_SD_iiiii,@function
_ZN4vllm25paged_attention_v2_kernelIttLi192ELi16ELi128ELNS_18Fp8KVCacheDataTypeE0ELb0ELi512EEEvPfS2_PT_PKS3_PKT0_S9_ifPKiSB_iPKfiiiSD_SD_iiiii: ; @_ZN4vllm25paged_attention_v2_kernelIttLi192ELi16ELi128ELNS_18Fp8KVCacheDataTypeE0ELb0ELi512EEEvPfS2_PT_PKS3_PKT0_S9_ifPKiSB_iPKfiiiSD_SD_iiiii
; %bb.0:
	s_load_b64 s[2:3], s[0:1], 0x40
	s_mov_b32 s12, s15
	s_ashr_i32 s15, s14, 31
	s_delay_alu instid0(SALU_CYCLE_1)
	s_lshl_b64 s[4:5], s[14:15], 2
	s_waitcnt lgkmcnt(0)
	s_add_u32 s2, s2, s4
	s_addc_u32 s3, s3, s5
	s_lshl_b32 s31, s12, 9
	s_load_b32 s30, s[2:3], 0x0
	s_waitcnt lgkmcnt(0)
	s_cmp_ge_i32 s31, s30
	s_cbranch_scc1 .LBB108_94
; %bb.1:
	s_mov_b32 s20, s13
	s_clause 0x1
	s_load_b32 s13, s[0:1], 0x90
	s_load_b64 s[28:29], s[0:1], 0x30
	s_waitcnt lgkmcnt(0)
	s_abs_i32 s5, s13
	s_abs_i32 s2, s28
	s_delay_alu instid0(SALU_CYCLE_1) | instskip(SKIP_1) | instid1(VALU_DEP_1)
	v_cvt_f32_u32_e32 v1, s2
	s_sub_i32 s4, 0, s2
	v_rcp_iflag_f32_e32 v1, v1
	s_waitcnt_depctr 0xfff
	v_mul_f32_e32 v1, 0x4f7ffffe, v1
	s_delay_alu instid0(VALU_DEP_1) | instskip(NEXT) | instid1(VALU_DEP_1)
	v_cvt_u32_f32_e32 v1, v1
	v_readfirstlane_b32 s3, v1
	s_delay_alu instid0(VALU_DEP_1) | instskip(NEXT) | instid1(SALU_CYCLE_1)
	s_mul_i32 s4, s4, s3
	s_mul_hi_u32 s4, s3, s4
	s_delay_alu instid0(SALU_CYCLE_1)
	s_add_i32 s3, s3, s4
	s_xor_b32 s4, s13, s28
	s_mul_hi_u32 s3, s5, s3
	s_ashr_i32 s4, s4, 31
	s_mul_i32 s6, s3, s2
	s_mov_b32 s28, 0
	s_sub_i32 s5, s5, s6
	s_add_i32 s6, s3, 1
	s_sub_i32 s7, s5, s2
	s_cmp_ge_u32 s5, s2
	s_cselect_b32 s3, s6, s3
	s_cselect_b32 s5, s7, s5
	s_add_i32 s6, s3, 1
	s_cmp_ge_u32 s5, s2
	s_cselect_b32 s2, s6, s3
	s_abs_i32 s10, s20
	s_xor_b32 s2, s2, s4
	s_delay_alu instid0(SALU_CYCLE_1) | instskip(SKIP_2) | instid1(SALU_CYCLE_1)
	s_sub_i32 s11, s2, s4
	s_load_b64 s[2:3], s[0:1], 0x50
	s_abs_i32 s8, s11
	v_cvt_f32_u32_e32 v1, s8
	s_sub_i32 s5, 0, s8
	s_delay_alu instid0(VALU_DEP_1) | instskip(SKIP_2) | instid1(VALU_DEP_1)
	v_rcp_iflag_f32_e32 v1, v1
	s_waitcnt_depctr 0xfff
	v_mul_f32_e32 v1, 0x4f7ffffe, v1
	v_cvt_u32_f32_e32 v1, v1
	s_delay_alu instid0(VALU_DEP_1) | instskip(NEXT) | instid1(VALU_DEP_1)
	v_readfirstlane_b32 s4, v1
	s_mul_i32 s5, s5, s4
	s_delay_alu instid0(SALU_CYCLE_1) | instskip(NEXT) | instid1(SALU_CYCLE_1)
	s_mul_hi_u32 s5, s4, s5
	s_add_i32 s4, s4, s5
	s_waitcnt lgkmcnt(0)
	s_cmp_eq_u64 s[2:3], 0
	s_mul_hi_u32 s9, s10, s4
	s_cbranch_scc1 .LBB108_3
; %bb.2:
	s_ashr_i32 s21, s20, 31
	s_delay_alu instid0(SALU_CYCLE_1) | instskip(NEXT) | instid1(SALU_CYCLE_1)
	s_lshl_b64 s[4:5], s[20:21], 2
	s_add_u32 s2, s2, s4
	s_addc_u32 s3, s3, s5
	s_load_b32 s28, s[2:3], 0x0
.LBB108_3:
	s_load_b128 s[4:7], s[0:1], 0x58
	v_lshrrev_b32_e32 v51, 1, v0
	v_and_b32_e32 v52, 1, v0
	v_lshlrev_b32_e32 v54, 3, v0
	s_ashr_i32 s2, s20, 31
	s_ashr_i32 s3, s11, 31
	s_mul_i32 s16, s20, 0xc0
	s_waitcnt lgkmcnt(0)
	s_mov_b32 s7, exec_lo
	v_cmpx_gt_u32_e32 48, v0
	s_cbranch_execz .LBB108_5
; %bb.4:
	s_load_b64 s[18:19], s[0:1], 0x18
	s_mul_i32 s22, s14, s4
	v_lshlrev_b32_e32 v3, 3, v51
	s_ashr_i32 s23, s22, 31
	s_delay_alu instid0(SALU_CYCLE_1) | instskip(NEXT) | instid1(VALU_DEP_1)
	s_lshl_b64 s[22:23], s[22:23], 1
	v_mad_u32_u24 v3, 0xc0, v52, v3
	s_waitcnt lgkmcnt(0)
	s_add_u32 s4, s18, s22
	s_addc_u32 s11, s19, s23
	s_ashr_i32 s17, s16, 31
	s_delay_alu instid0(SALU_CYCLE_1) | instskip(NEXT) | instid1(SALU_CYCLE_1)
	s_lshl_b64 s[18:19], s[16:17], 1
	s_add_u32 s18, s4, s18
	s_addc_u32 s19, s11, s19
	global_load_b64 v[1:2], v54, s[18:19]
	s_waitcnt vmcnt(0)
	ds_store_b64 v3, v[1:2]
.LBB108_5:
	s_or_b32 exec_lo, exec_lo, s7
	s_add_i32 s4, s30, 15
	s_lshl_b32 s15, s12, 5
	s_ashr_i32 s7, s4, 31
	s_xor_b32 s2, s2, s3
	s_lshr_b32 s7, s7, 28
	s_add_i32 s3, s15, 32
	s_add_i32 s4, s4, s7
	s_clause 0x1
	s_load_b64 s[22:23], s[0:1], 0x38
	s_load_b32 s7, s[0:1], 0x48
	s_ashr_i32 s21, s4, 4
	s_mul_i32 s4, s9, s8
	s_min_i32 s17, s3, s21
	s_sub_i32 s3, s10, s4
	s_add_i32 s4, s9, 1
	s_sub_i32 s10, s3, s8
	s_cmp_ge_u32 s3, s8
	v_lshrrev_b32_e32 v53, 5, v0
	s_cselect_b32 s4, s4, s9
	s_cselect_b32 s3, s10, s3
	s_add_i32 s9, s4, 1
	s_cmp_ge_u32 s3, s8
	v_or_b32_e32 v5, s15, v53
	s_cselect_b32 s3, s9, s4
	v_mbcnt_lo_u32_b32 v56, -1, 0
	s_xor_b32 s3, s3, s2
	s_mov_b32 s4, exec_lo
	s_sub_i32 s3, s3, s2
	v_cmp_gt_i32_e64 s2, s17, v5
	s_waitcnt lgkmcnt(0)
	s_mul_i32 s24, s14, s7
	s_delay_alu instid0(SALU_CYCLE_1)
	s_ashr_i32 s25, s24, 31
	s_barrier
	buffer_gl0_inv
                                        ; implicit-def: $sgpr7
                                        ; implicit-def: $vgpr57
	v_cmpx_le_i32_e64 s17, v5
	s_xor_b32 s4, exec_lo, s4
; %bb.6:
	v_mbcnt_lo_u32_b32 v56, -1, 0
	v_mov_b32_e32 v57, 32
	s_mov_b32 s7, 0xff7fffff
; %bb.7:
	s_or_saveexec_b32 s33, s4
	s_clause 0x3
	s_load_b128 s[8:11], s[0:1], 0x0
	s_load_b64 s[18:19], s[0:1], 0x10
	s_load_b64 s[26:27], s[0:1], 0x28
	s_load_b32 s4, s[0:1], 0x98
	v_dual_mov_b32 v58, s7 :: v_dual_lshlrev_b32 v55, 4, v53
	v_ashrrev_i32_e32 v6, 31, v5
	s_mul_i32 s6, s3, s6
	s_xor_b32 exec_lo, exec_lo, s33
	s_cbranch_execz .LBB108_13
; %bb.8:
	s_load_b64 s[34:35], s[0:1], 0x20
	v_bfe_u32 v3, v0, 1, 4
	s_ashr_i32 s7, s6, 31
	v_dual_mov_b32 v57, 32 :: v_dual_and_b32 v4, 8, v54
	s_lshl_b64 s[36:37], s[6:7], 1
	s_delay_alu instid0(VALU_DEP_2) | instskip(SKIP_2) | instid1(VALU_DEP_3)
	v_dual_mov_b32 v58, 0xff7fffff :: v_dual_lshlrev_b32 v1, 2, v3
	v_dual_mov_b32 v65, v5 :: v_dual_lshlrev_b32 v8, 4, v3
	v_add3_u32 v60, s31, v55, v3
	v_lshl_or_b32 v7, v53, 6, v1
	v_lshlrev_b64 v[1:2], 2, v[5:6]
	v_mul_u32_u24_e32 v59, 0xc0, v52
	v_cmp_eq_u32_e32 vcc_lo, 0, v52
	v_cmp_neq_f32_e64 s0, s28, 0
	v_add_nc_u32_e32 v61, 0x1a0, v7
	v_xor_b32_e32 v64, 1, v56
	s_waitcnt lgkmcnt(0)
	s_add_u32 s1, s34, s36
	s_addc_u32 s3, s35, s37
	v_add_co_u32 v3, s1, s1, v8
	s_delay_alu instid0(VALU_DEP_1) | instskip(SKIP_2) | instid1(VALU_DEP_2)
	v_add_co_ci_u32_e64 v7, null, s3, 0, s1
	s_lshl_b64 s[34:35], s[24:25], 2
	s_sub_i32 s7, 1, s30
	v_add_co_u32 v62, s1, v3, v4
	s_add_u32 s3, s22, s34
	v_add_co_ci_u32_e64 v63, s1, 0, v7, s1
	s_addc_u32 s34, s23, s35
	v_add_co_u32 v1, s1, s3, v1
	s_delay_alu instid0(VALU_DEP_1)
	v_add_co_ci_u32_e64 v2, s1, s34, v2, s1
	s_mov_b32 s35, s5
	s_mov_b32 s34, 0
	s_branch .LBB108_10
.LBB108_9:                              ;   in Loop: Header=BB108_10 Depth=1
	s_or_b32 exec_lo, exec_lo, s3
	v_add_nc_u32_e32 v65, 4, v65
	v_add_co_u32 v1, s3, v1, 16
	v_add_nc_u32_e32 v60, 64, v60
	v_add_nc_u32_e32 v61, 0x100, v61
	s_delay_alu instid0(VALU_DEP_4) | instskip(SKIP_1) | instid1(VALU_DEP_2)
	v_cmp_le_i32_e64 s1, s17, v65
	v_add_co_ci_u32_e64 v2, s3, 0, v2, s3
	s_or_b32 s34, s1, s34
	s_delay_alu instid0(SALU_CYCLE_1)
	s_and_not1_b32 exec_lo, exec_lo, s34
	s_cbranch_execz .LBB108_12
.LBB108_10:                             ; =>This Inner Loop Header: Depth=1
	global_load_b32 v7, v[1:2], off
	s_waitcnt vmcnt(0) lgkmcnt(0)
	v_mad_i64_i32 v[3:4], null, v7, s35, 0
	s_delay_alu instid0(VALU_DEP_1) | instskip(NEXT) | instid1(VALU_DEP_1)
	v_lshlrev_b64 v[3:4], 1, v[3:4]
	v_add_co_u32 v3, s1, v62, v3
	s_delay_alu instid0(VALU_DEP_1)
	v_add_co_ci_u32_e64 v4, s1, v63, v4, s1
	s_clause 0x8
	global_load_b64 v[67:68], v[3:4], off
	global_load_b64 v[49:50], v[3:4], off offset:256
	global_load_b64 v[47:48], v[3:4], off offset:512
	;; [unrolled: 1-line block ×8, first 2 shown]
	ds_load_b64 v[7:8], v59
	s_clause 0x2
	global_load_b64 v[37:38], v[3:4], off offset:2304
	global_load_b64 v[35:36], v[3:4], off offset:2560
	;; [unrolled: 1-line block ×3, first 2 shown]
	v_add_co_u32 v69, s1, 0x1000, v3
	s_delay_alu instid0(VALU_DEP_1)
	v_add_co_ci_u32_e64 v70, s1, 0, v4, s1
	v_cmp_gt_i32_e64 s1, 32, v64
	s_waitcnt lgkmcnt(0)
	v_lshrrev_b32_e32 v71, 16, v7
	v_and_b32_e32 v66, 0xffff, v7
	v_lshrrev_b32_e32 v74, 16, v8
	v_and_b32_e32 v75, 0xffff, v8
	s_clause 0xb
	global_load_b64 v[27:28], v[3:4], off offset:3072
	global_load_b64 v[25:26], v[3:4], off offset:3328
	;; [unrolled: 1-line block ×4, first 2 shown]
	global_load_b64 v[19:20], v[69:70], off
	global_load_b64 v[17:18], v[69:70], off offset:256
	global_load_b64 v[15:16], v[69:70], off offset:512
	;; [unrolled: 1-line block ×7, first 2 shown]
	;;#ASMSTART
	v_cvt_f32_f16 v66, v66;
	;;#ASMEND
	s_waitcnt vmcnt(23)
	v_and_b32_e32 v69, 0xffff, v67
	v_lshrrev_b32_e32 v70, 16, v67
	;;#ASMSTART
	v_cvt_f32_f16 v67, v71;
	;;#ASMEND
	v_and_b32_e32 v71, 0xffff, v68
	v_lshrrev_b32_e32 v76, 16, v68
	;;#ASMSTART
	v_cvt_f32_f16 v73, v69;
	;;#ASMEND
	;;#ASMSTART
	v_cvt_f32_f16 v72, v70;
	;;#ASMEND
	;; [unrolled: 3-line block ×6, first 2 shown]
	ds_load_b64 v[74:75], v59 offset:8
	s_waitcnt vmcnt(22)
	v_lshrrev_b32_e32 v76, 16, v49
	v_and_b32_e32 v49, 0xffff, v49
	v_lshrrev_b32_e32 v79, 16, v50
	v_and_b32_e32 v78, 0xffff, v50
	s_waitcnt vmcnt(21)
	v_lshrrev_b32_e32 v83, 16, v47
	v_and_b32_e32 v84, 0xffff, v47
	v_lshrrev_b32_e32 v86, 16, v48
	v_and_b32_e32 v85, 0xffff, v48
	s_waitcnt vmcnt(20)
	v_lshrrev_b32_e32 v88, 16, v45
	v_and_b32_e32 v45, 0xffff, v45
	v_lshrrev_b32_e32 v89, 16, v46
	s_waitcnt vmcnt(19)
	v_lshrrev_b32_e32 v94, 16, v43
	v_and_b32_e32 v43, 0xffff, v43
	v_lshrrev_b32_e32 v95, 16, v44
	;; [unrolled: 4-line block ×3, first 2 shown]
	s_waitcnt vmcnt(17)
	v_lshrrev_b32_e32 v106, 16, v39
	v_and_b32_e32 v39, 0xffff, v39
	s_waitcnt lgkmcnt(0)
	v_and_b32_e32 v77, 0xffff, v74
	v_lshrrev_b32_e32 v74, 16, v74
	v_and_b32_e32 v80, 0xffff, v75
	v_lshrrev_b32_e32 v81, 16, v75
	;;#ASMSTART
	v_cvt_f32_f16 v50, v77;
	;;#ASMEND
	;;#ASMSTART
	v_cvt_f32_f16 v74, v74;
	;;#ASMEND
	;; [unrolled: 3-line block ×8, first 2 shown]
	ds_load_b64 v[80:81], v59 offset:16
	v_lshrrev_b32_e32 v107, 16, v40
	s_waitcnt vmcnt(16)
	v_lshrrev_b32_e32 v112, 16, v33
	v_lshrrev_b32_e32 v113, 16, v34
	s_waitcnt vmcnt(14)
	v_lshrrev_b32_e32 v128, 16, v38
	v_and_b32_e32 v38, 0xffff, v38
	s_waitcnt vmcnt(13)
	v_lshrrev_b32_e32 v129, 16, v35
	v_lshrrev_b32_e32 v131, 16, v36
	s_waitcnt lgkmcnt(0)
	v_and_b32_e32 v47, 0xffff, v80
	v_lshrrev_b32_e32 v80, 16, v80
	v_and_b32_e32 v87, 0xffff, v81
	v_lshrrev_b32_e32 v81, 16, v81
	;;#ASMSTART
	v_cvt_f32_f16 v82, v47;
	;;#ASMEND
	;;#ASMSTART
	v_cvt_f32_f16 v47, v80;
	;;#ASMEND
	;;#ASMSTART
	v_cvt_f32_f16 v84, v84;
	;;#ASMEND
	;;#ASMSTART
	v_cvt_f32_f16 v48, v83;
	;;#ASMEND
	;;#ASMSTART
	v_cvt_f32_f16 v83, v87;
	;;#ASMEND
	;;#ASMSTART
	v_cvt_f32_f16 v80, v81;
	;;#ASMEND
	;;#ASMSTART
	v_cvt_f32_f16 v85, v85;
	;;#ASMEND
	;;#ASMSTART
	v_cvt_f32_f16 v81, v86;
	;;#ASMEND
	ds_load_b64 v[86:87], v59 offset:24
	v_and_b32_e32 v46, 0xffff, v46
	s_waitcnt lgkmcnt(0)
	v_and_b32_e32 v90, 0xffff, v86
	v_lshrrev_b32_e32 v86, 16, v86
	v_and_b32_e32 v91, 0xffff, v87
	v_lshrrev_b32_e32 v87, 16, v87
	;;#ASMSTART
	v_cvt_f32_f16 v90, v90;
	;;#ASMEND
	;;#ASMSTART
	v_cvt_f32_f16 v86, v86;
	;;#ASMEND
	;;#ASMSTART
	v_cvt_f32_f16 v92, v45;
	;;#ASMEND
	;;#ASMSTART
	v_cvt_f32_f16 v88, v88;
	;;#ASMEND
	;;#ASMSTART
	v_cvt_f32_f16 v91, v91;
	;;#ASMEND
	;;#ASMSTART
	v_cvt_f32_f16 v87, v87;
	;;#ASMEND
	;;#ASMSTART
	v_cvt_f32_f16 v93, v46;
	;;#ASMEND
	;;#ASMSTART
	v_cvt_f32_f16 v89, v89;
	;;#ASMEND
	ds_load_b64 v[45:46], v59 offset:32
	v_and_b32_e32 v44, 0xffff, v44
	;; [unrolled: 31-line block ×3, first 2 shown]
	s_waitcnt lgkmcnt(0)
	v_and_b32_e32 v102, 0xffff, v43
	v_lshrrev_b32_e32 v43, 16, v43
	v_lshrrev_b32_e32 v103, 16, v44
	v_and_b32_e32 v44, 0xffff, v44
	;;#ASMSTART
	v_cvt_f32_f16 v102, v102;
	;;#ASMEND
	;;#ASMSTART
	v_cvt_f32_f16 v43, v43;
	;;#ASMEND
	;; [unrolled: 3-line block ×8, first 2 shown]
	ds_load_b64 v[41:42], v59 offset:48
	v_and_b32_e32 v40, 0xffff, v40
	s_waitcnt lgkmcnt(0)
	v_and_b32_e32 v108, 0xffff, v41
	v_lshrrev_b32_e32 v41, 16, v41
	v_lshrrev_b32_e32 v109, 16, v42
	v_and_b32_e32 v42, 0xffff, v42
	;;#ASMSTART
	v_cvt_f32_f16 v108, v108;
	;;#ASMEND
	;;#ASMSTART
	v_cvt_f32_f16 v41, v41;
	;;#ASMEND
	;; [unrolled: 3-line block ×8, first 2 shown]
	ds_load_b64 v[39:40], v59 offset:56
	v_and_b32_e32 v33, 0xffff, v33
	v_and_b32_e32 v34, 0xffff, v34
	s_waitcnt lgkmcnt(0)
	v_and_b32_e32 v114, 0xffff, v39
	v_lshrrev_b32_e32 v115, 16, v40
	v_lshrrev_b32_e32 v39, 16, v39
	v_and_b32_e32 v40, 0xffff, v40
	;;#ASMSTART
	v_cvt_f32_f16 v114, v114;
	;;#ASMEND
	;;#ASMSTART
	v_cvt_f32_f16 v116, v39;
	;;#ASMEND
	;; [unrolled: 3-line block ×8, first 2 shown]
	ds_load_b64 v[33:34], v59 offset:64
	v_lshrrev_b32_e32 v39, 16, v31
	v_and_b32_e32 v31, 0xffff, v31
	v_lshrrev_b32_e32 v40, 16, v32
	s_waitcnt lgkmcnt(0)
	v_and_b32_e32 v120, 0xffff, v33
	v_lshrrev_b32_e32 v33, 16, v33
	;;#ASMSTART
	v_cvt_f32_f16 v120, v120;
	;;#ASMEND
	;;#ASMSTART
	v_cvt_f32_f16 v122, v33;
	;;#ASMEND
	v_mul_f32_e32 v33, v74, v76
	v_lshrrev_b32_e32 v121, 16, v34
	;;#ASMSTART
	v_cvt_f32_f16 v123, v31;
	;;#ASMEND
	;;#ASMSTART
	v_cvt_f32_f16 v124, v39;
	;;#ASMEND
	s_delay_alu instid0(VALU_DEP_2)
	v_dual_fmac_f32 v33, v67, v72 :: v_dual_and_b32 v34, 0xffff, v34
	;;#ASMSTART
	v_cvt_f32_f16 v125, v34;
	;;#ASMEND
	;;#ASMSTART
	v_cvt_f32_f16 v121, v121;
	;;#ASMEND
	v_mul_f32_e32 v31, v77, v78
	v_lshrrev_b32_e32 v34, 16, v37
	v_fmac_f32_e32 v33, v47, v48
	s_waitcnt vmcnt(11)
	v_lshrrev_b32_e32 v47, 16, v28
	v_dual_fmac_f32 v31, v70, v71 :: v_dual_and_b32 v28, 0xffff, v28
	v_lshrrev_b32_e32 v70, 16, v30
	v_dual_fmac_f32 v33, v86, v88 :: v_dual_and_b32 v30, 0xffff, v30
	s_delay_alu instid0(VALU_DEP_3) | instskip(SKIP_2) | instid1(VALU_DEP_3)
	v_fmac_f32_e32 v31, v83, v85
	s_waitcnt vmcnt(10)
	v_lshrrev_b32_e32 v85, 16, v26
	v_fmac_f32_e32 v33, v45, v94
	s_delay_alu instid0(VALU_DEP_3) | instskip(NEXT) | instid1(VALU_DEP_2)
	v_dual_fmac_f32 v31, v91, v93 :: v_dual_and_b32 v26, 0xffff, v26
	v_fmac_f32_e32 v33, v43, v100
	s_waitcnt vmcnt(7)
	v_lshrrev_b32_e32 v43, 16, v20
	s_delay_alu instid0(VALU_DEP_3) | instskip(SKIP_2) | instid1(VALU_DEP_3)
	v_dual_fmac_f32 v31, v97, v99 :: v_dual_and_b32 v20, 0xffff, v20
	v_lshrrev_b32_e32 v97, 16, v22
	v_fmac_f32_e32 v33, v41, v106
	v_dual_fmac_f32 v31, v44, v105 :: v_dual_and_b32 v22, 0xffff, v22
	s_waitcnt vmcnt(6)
	v_lshrrev_b32_e32 v105, 16, v18
	s_delay_alu instid0(VALU_DEP_3) | instskip(SKIP_3) | instid1(VALU_DEP_3)
	v_dual_fmac_f32 v33, v116, v112 :: v_dual_and_b32 v18, 0xffff, v18
	s_waitcnt vmcnt(4)
	v_lshrrev_b32_e32 v116, 16, v13
	v_fmac_f32_e32 v31, v42, v111
	v_fmac_f32_e32 v33, v122, v124
	v_and_b32_e32 v32, 0xffff, v32
	;;#ASMSTART
	v_cvt_f32_f16 v126, v32;
	;;#ASMEND
	v_mul_f32_e32 v32, v50, v75
	;;#ASMSTART
	v_cvt_f32_f16 v127, v40;
	;;#ASMEND
	ds_load_b64 v[39:40], v59 offset:72
	v_fmac_f32_e32 v31, v118, v119
	s_waitcnt vmcnt(3)
	v_lshrrev_b32_e32 v122, 16, v12
	v_fmac_f32_e32 v32, v66, v73
	s_delay_alu instid0(VALU_DEP_3) | instskip(SKIP_1) | instid1(VALU_DEP_3)
	v_dual_fmac_f32 v31, v125, v126 :: v_dual_and_b32 v12, 0xffff, v12
	v_and_b32_e32 v130, 0xffff, v35
	v_fmac_f32_e32 v32, v82, v84
	v_lshrrev_b32_e32 v82, 16, v27
	v_lshrrev_b32_e32 v84, 16, v25
	s_delay_alu instid0(VALU_DEP_3) | instskip(SKIP_1) | instid1(VALU_DEP_2)
	v_fmac_f32_e32 v32, v90, v92
	v_lshrrev_b32_e32 v92, 16, v23
	v_fmac_f32_e32 v32, v96, v98
	v_lshrrev_b32_e32 v96, 16, v21
	s_waitcnt lgkmcnt(0)
	v_lshrrev_b32_e32 v50, 16, v40
	v_and_b32_e32 v40, 0xffff, v40
	v_fmac_f32_e32 v32, v102, v104
	v_lshrrev_b32_e32 v102, 16, v19
	v_lshrrev_b32_e32 v104, 16, v17
	s_delay_alu instid0(VALU_DEP_3) | instskip(SKIP_1) | instid1(VALU_DEP_2)
	v_fmac_f32_e32 v32, v108, v110
	v_lshrrev_b32_e32 v110, 16, v15
	v_fmac_f32_e32 v32, v114, v117
	v_and_b32_e32 v37, 0xffff, v37
	v_lshrrev_b32_e32 v117, 16, v14
	v_and_b32_e32 v14, 0xffff, v14
	s_delay_alu instid0(VALU_DEP_4)
	v_fmac_f32_e32 v32, v120, v123
	v_and_b32_e32 v35, 0xffff, v39
	v_lshrrev_b32_e32 v39, 16, v39
	;;#ASMSTART
	v_cvt_f32_f16 v74, v35;
	;;#ASMEND
	;;#ASMSTART
	v_cvt_f32_f16 v39, v39;
	;;#ASMEND
	;; [unrolled: 3-line block ×3, first 2 shown]
	v_fmac_f32_e32 v32, v74, v37
	;;#ASMSTART
	v_cvt_f32_f16 v75, v34;
	;;#ASMEND
	;;#ASMSTART
	v_cvt_f32_f16 v40, v40;
	;;#ASMEND
	;; [unrolled: 3-line block ×5, first 2 shown]
	ds_load_b64 v[34:35], v59 offset:80
	v_fmac_f32_e32 v33, v39, v75
	v_fmac_f32_e32 v31, v40, v38
	v_lshrrev_b32_e32 v120, 16, v11
	s_waitcnt vmcnt(2)
	v_lshrrev_b32_e32 v123, 16, v9
	s_waitcnt lgkmcnt(0)
	v_and_b32_e32 v66, 0xffff, v34
	v_lshrrev_b32_e32 v34, 16, v34
	;;#ASMSTART
	v_cvt_f32_f16 v66, v66;
	;;#ASMEND
	;;#ASMSTART
	v_cvt_f32_f16 v72, v34;
	;;#ASMEND
	v_mul_f32_e32 v34, v49, v79
	v_lshrrev_b32_e32 v49, 16, v29
	v_lshrrev_b32_e32 v67, 16, v35
	;;#ASMSTART
	v_cvt_f32_f16 v73, v130;
	;;#ASMEND
	;;#ASMSTART
	v_cvt_f32_f16 v77, v129;
	;;#ASMEND
	v_fmac_f32_e32 v34, v68, v69
	v_dual_fmac_f32 v33, v72, v77 :: v_dual_and_b32 v36, 0xffff, v36
	v_dual_fmac_f32 v32, v66, v73 :: v_dual_and_b32 v27, 0xffff, v27
	s_delay_alu instid0(VALU_DEP_3) | instskip(NEXT) | instid1(VALU_DEP_1)
	v_fmac_f32_e32 v34, v80, v81
	v_fmac_f32_e32 v34, v87, v89
	v_lshrrev_b32_e32 v87, 16, v24
	v_and_b32_e32 v24, 0xffff, v24
	s_delay_alu instid0(VALU_DEP_3) | instskip(NEXT) | instid1(VALU_DEP_1)
	v_fmac_f32_e32 v34, v46, v95
	v_fmac_f32_e32 v34, v103, v101
	s_delay_alu instid0(VALU_DEP_1) | instskip(SKIP_2) | instid1(VALU_DEP_3)
	v_fmac_f32_e32 v34, v109, v107
	v_lshrrev_b32_e32 v107, 16, v16
	v_and_b32_e32 v16, 0xffff, v16
	v_fmac_f32_e32 v34, v115, v113
	s_delay_alu instid0(VALU_DEP_1) | instskip(SKIP_3) | instid1(VALU_DEP_4)
	v_dual_fmac_f32 v34, v121, v127 :: v_dual_and_b32 v29, 0xffff, v29
	v_and_b32_e32 v35, 0xffff, v35
	v_lshrrev_b32_e32 v121, 16, v10
	v_and_b32_e32 v10, 0xffff, v10
	v_fmac_f32_e32 v34, v50, v76
	;;#ASMSTART
	v_cvt_f32_f16 v78, v35;
	;;#ASMEND
	;;#ASMSTART
	v_cvt_f32_f16 v67, v67;
	;;#ASMEND
	;; [unrolled: 3-line block ×4, first 2 shown]
	ds_load_b64 v[35:36], v59 offset:88
	v_dual_fmac_f32 v34, v67, v129 :: v_dual_and_b32 v23, 0xffff, v23
	s_waitcnt lgkmcnt(0)
	v_dual_fmac_f32 v31, v78, v128 :: v_dual_and_b32 v68, 0xffff, v35
	v_lshrrev_b32_e32 v35, 16, v35
	v_lshrrev_b32_e32 v69, 16, v36
	v_and_b32_e32 v36, 0xffff, v36
	;;#ASMSTART
	v_cvt_f32_f16 v68, v68;
	;;#ASMEND
	;;#ASMSTART
	v_cvt_f32_f16 v35, v35;
	;;#ASMEND
	;; [unrolled: 3-line block ×8, first 2 shown]
	ds_load_b64 v[29:30], v59 offset:96
	v_dual_fmac_f32 v32, v68, v71 :: v_dual_and_b32 v25, 0xffff, v25
	v_dual_fmac_f32 v34, v69, v70 :: v_dual_fmac_f32 v33, v35, v49
	v_fmac_f32_e32 v31, v36, v79
	s_waitcnt vmcnt(1)
	v_lshrrev_b32_e32 v35, 16, v7
	s_waitcnt lgkmcnt(0)
	v_and_b32_e32 v48, 0xffff, v29
	v_lshrrev_b32_e32 v29, 16, v29
	v_lshrrev_b32_e32 v80, 16, v30
	v_and_b32_e32 v30, 0xffff, v30
	;;#ASMSTART
	v_cvt_f32_f16 v48, v48;
	;;#ASMEND
	;;#ASMSTART
	v_cvt_f32_f16 v29, v29;
	;;#ASMEND
	;; [unrolled: 3-line block ×8, first 2 shown]
	ds_load_b64 v[27:28], v59 offset:104
	v_dual_fmac_f32 v34, v80, v47 :: v_dual_and_b32 v21, 0xffff, v21
	v_dual_fmac_f32 v32, v48, v81 :: v_dual_and_b32 v19, 0xffff, v19
	v_fmac_f32_e32 v33, v29, v82
	v_fmac_f32_e32 v31, v30, v83
	s_waitcnt lgkmcnt(0)
	v_and_b32_e32 v86, 0xffff, v27
	v_lshrrev_b32_e32 v27, 16, v27
	v_lshrrev_b32_e32 v88, 16, v28
	v_and_b32_e32 v28, 0xffff, v28
	;;#ASMSTART
	v_cvt_f32_f16 v86, v86;
	;;#ASMEND
	;;#ASMSTART
	v_cvt_f32_f16 v27, v27;
	;;#ASMEND
	;; [unrolled: 3-line block ×8, first 2 shown]
	ds_load_b64 v[25:26], v59 offset:112
	v_dual_fmac_f32 v32, v86, v90 :: v_dual_and_b32 v17, 0xffff, v17
	v_dual_fmac_f32 v34, v88, v85 :: v_dual_fmac_f32 v33, v27, v84
	v_fmac_f32_e32 v31, v28, v91
	s_waitcnt lgkmcnt(0)
	v_and_b32_e32 v89, 0xffff, v25
	v_lshrrev_b32_e32 v25, 16, v25
	v_lshrrev_b32_e32 v45, 16, v26
	v_and_b32_e32 v26, 0xffff, v26
	;;#ASMSTART
	v_cvt_f32_f16 v89, v89;
	;;#ASMEND
	;;#ASMSTART
	v_cvt_f32_f16 v25, v25;
	;;#ASMEND
	;; [unrolled: 3-line block ×8, first 2 shown]
	ds_load_b64 v[23:24], v59 offset:120
	v_dual_fmac_f32 v32, v89, v93 :: v_dual_and_b32 v15, 0xffff, v15
	v_fmac_f32_e32 v34, v45, v87
	v_fmac_f32_e32 v33, v25, v92
	s_waitcnt lgkmcnt(0)
	v_dual_fmac_f32 v31, v26, v94 :: v_dual_and_b32 v46, 0xffff, v23
	v_lshrrev_b32_e32 v23, 16, v23
	v_lshrrev_b32_e32 v95, 16, v24
	v_and_b32_e32 v24, 0xffff, v24
	;;#ASMSTART
	v_cvt_f32_f16 v46, v46;
	;;#ASMEND
	;;#ASMSTART
	v_cvt_f32_f16 v23, v23;
	;;#ASMEND
	;; [unrolled: 3-line block ×8, first 2 shown]
	ds_load_b64 v[21:22], v59 offset:128
	v_dual_fmac_f32 v32, v46, v98 :: v_dual_and_b32 v13, 0xffff, v13
	v_fmac_f32_e32 v34, v95, v97
	v_fmac_f32_e32 v33, v23, v96
	;; [unrolled: 1-line block ×3, first 2 shown]
	v_lshrrev_b32_e32 v23, 16, v8
	v_and_b32_e32 v8, 0xffff, v8
	s_waitcnt lgkmcnt(0)
	v_and_b32_e32 v44, 0xffff, v21
	v_lshrrev_b32_e32 v21, 16, v21
	v_lshrrev_b32_e32 v100, 16, v22
	v_and_b32_e32 v22, 0xffff, v22
	;;#ASMSTART
	v_cvt_f32_f16 v44, v44;
	;;#ASMEND
	;;#ASMSTART
	v_cvt_f32_f16 v21, v21;
	;;#ASMEND
	;; [unrolled: 3-line block ×8, first 2 shown]
	ds_load_b64 v[19:20], v59 offset:136
	v_dual_fmac_f32 v32, v44, v101 :: v_dual_and_b32 v11, 0xffff, v11
	v_dual_fmac_f32 v34, v100, v43 :: v_dual_and_b32 v9, 0xffff, v9
	v_fmac_f32_e32 v33, v21, v102
	v_fmac_f32_e32 v31, v22, v103
	s_waitcnt lgkmcnt(0)
	v_and_b32_e32 v41, 0xffff, v19
	v_lshrrev_b32_e32 v19, 16, v19
	v_lshrrev_b32_e32 v42, 16, v20
	v_and_b32_e32 v20, 0xffff, v20
	;;#ASMSTART
	v_cvt_f32_f16 v41, v41;
	;;#ASMEND
	;;#ASMSTART
	v_cvt_f32_f16 v19, v19;
	;;#ASMEND
	;; [unrolled: 3-line block ×8, first 2 shown]
	ds_load_b64 v[17:18], v59 offset:144
	v_dual_fmac_f32 v32, v41, v106 :: v_dual_fmac_f32 v33, v19, v104
	v_fmac_f32_e32 v31, v20, v108
	v_dual_fmac_f32 v34, v42, v105 :: v_dual_and_b32 v7, 0xffff, v7
	s_waitcnt vmcnt(0)
	v_lshrrev_b32_e32 v19, 16, v3
	v_and_b32_e32 v3, 0xffff, v3
	s_waitcnt lgkmcnt(0)
	v_and_b32_e32 v109, 0xffff, v17
	v_lshrrev_b32_e32 v17, 16, v17
	v_lshrrev_b32_e32 v111, 16, v18
	v_and_b32_e32 v18, 0xffff, v18
	;;#ASMSTART
	v_cvt_f32_f16 v109, v109;
	;;#ASMEND
	;;#ASMSTART
	v_cvt_f32_f16 v17, v17;
	;;#ASMEND
	;; [unrolled: 3-line block ×8, first 2 shown]
	ds_load_b64 v[15:16], v59 offset:152
	v_fmac_f32_e32 v32, v109, v112
	v_fmac_f32_e32 v33, v17, v110
	v_dual_fmac_f32 v31, v18, v114 :: v_dual_fmac_f32 v34, v111, v107
	s_waitcnt lgkmcnt(0)
	v_and_b32_e32 v113, 0xffff, v15
	v_lshrrev_b32_e32 v15, 16, v15
	v_lshrrev_b32_e32 v115, 16, v16
	v_and_b32_e32 v16, 0xffff, v16
	;;#ASMSTART
	v_cvt_f32_f16 v113, v113;
	;;#ASMEND
	;;#ASMSTART
	v_cvt_f32_f16 v15, v15;
	;;#ASMEND
	;; [unrolled: 3-line block ×8, first 2 shown]
	ds_load_b64 v[13:14], v59 offset:160
	v_dual_fmac_f32 v32, v113, v118 :: v_dual_fmac_f32 v33, v15, v116
	v_fmac_f32_e32 v31, v16, v119
	s_waitcnt lgkmcnt(0)
	v_and_b32_e32 v37, 0xffff, v13
	v_lshrrev_b32_e32 v13, 16, v13
	v_lshrrev_b32_e32 v38, 16, v14
	v_and_b32_e32 v14, 0xffff, v14
	;;#ASMSTART
	v_cvt_f32_f16 v37, v37;
	;;#ASMEND
	;;#ASMSTART
	v_cvt_f32_f16 v13, v13;
	;;#ASMEND
	;; [unrolled: 3-line block ×8, first 2 shown]
	ds_load_b64 v[11:12], v59 offset:168
	v_fmac_f32_e32 v32, v37, v39
	v_fmac_f32_e32 v33, v13, v40
	;; [unrolled: 1-line block ×3, first 2 shown]
	v_lshrrev_b32_e32 v13, 16, v4
	v_and_b32_e32 v4, 0xffff, v4
	s_waitcnt lgkmcnt(0)
	v_and_b32_e32 v27, 0xffff, v11
	v_lshrrev_b32_e32 v11, 16, v11
	v_lshrrev_b32_e32 v25, 16, v12
	v_and_b32_e32 v12, 0xffff, v12
	;;#ASMSTART
	v_cvt_f32_f16 v27, v27;
	;;#ASMEND
	;;#ASMSTART
	v_cvt_f32_f16 v11, v11;
	;;#ASMEND
	;;#ASMSTART
	v_cvt_f32_f16 v28, v9;
	;;#ASMEND
	;;#ASMSTART
	v_cvt_f32_f16 v29, v123;
	;;#ASMEND
	;;#ASMSTART
	v_cvt_f32_f16 v12, v12;
	;;#ASMEND
	;;#ASMSTART
	v_cvt_f32_f16 v25, v25;
	;;#ASMEND
	;;#ASMSTART
	v_cvt_f32_f16 v30, v10;
	;;#ASMEND
	;;#ASMSTART
	v_cvt_f32_f16 v36, v121;
	;;#ASMEND
	ds_load_b64 v[9:10], v59 offset:176
	v_fmac_f32_e32 v32, v27, v28
	v_fmac_f32_e32 v33, v11, v29
	;; [unrolled: 1-line block ×3, first 2 shown]
	s_waitcnt lgkmcnt(0)
	v_and_b32_e32 v17, 0xffff, v9
	v_lshrrev_b32_e32 v9, 16, v9
	v_lshrrev_b32_e32 v18, 16, v10
	v_and_b32_e32 v10, 0xffff, v10
	;;#ASMSTART
	v_cvt_f32_f16 v17, v17;
	;;#ASMEND
	;;#ASMSTART
	v_cvt_f32_f16 v9, v9;
	;;#ASMEND
	;; [unrolled: 3-line block ×8, first 2 shown]
	ds_load_b64 v[7:8], v59 offset:184
	v_fmac_f32_e32 v34, v115, v117
	v_fmac_f32_e32 v32, v17, v20
	;; [unrolled: 1-line block ×4, first 2 shown]
	s_waitcnt lgkmcnt(0)
	v_dual_fmac_f32 v34, v38, v66 :: v_dual_and_b32 v9, 0xffff, v7
	v_lshrrev_b32_e32 v7, 16, v7
	;;#ASMSTART
	v_cvt_f32_f16 v9, v9;
	;;#ASMEND
	;;#ASMSTART
	v_cvt_f32_f16 v7, v7;
	;;#ASMEND
	;; [unrolled: 3-line block ×3, first 2 shown]
	v_fmac_f32_e32 v34, v25, v36
	;;#ASMSTART
	v_cvt_f32_f16 v11, v19;
	;;#ASMEND
	v_fmac_f32_e32 v32, v9, v3
	v_fmac_f32_e32 v33, v7, v11
	v_lshrrev_b32_e32 v10, 16, v8
	v_and_b32_e32 v8, 0xffff, v8
	;;#ASMSTART
	v_cvt_f32_f16 v3, v8;
	;;#ASMEND
	v_fmac_f32_e32 v34, v18, v23
	;;#ASMSTART
	v_cvt_f32_f16 v7, v10;
	;;#ASMEND
	;;#ASMSTART
	v_cvt_f32_f16 v4, v4;
	;;#ASMEND
	v_fmac_f32_e32 v31, v3, v4
	v_add_f32_e32 v3, v32, v33
	;;#ASMSTART
	v_cvt_f32_f16 v4, v13;
	;;#ASMEND
	v_fmac_f32_e32 v34, v7, v4
	v_cndmask_b32_e64 v4, v56, v64, s1
	s_delay_alu instid0(VALU_DEP_1) | instskip(NEXT) | instid1(VALU_DEP_1)
	v_dual_add_f32 v3, v3, v31 :: v_dual_lshlrev_b32 v4, 2, v4
	v_add_f32_e32 v3, v34, v3
	ds_bpermute_b32 v4, v4, v3
	s_and_saveexec_b32 s3, vcc_lo
	s_cbranch_execz .LBB108_9
; %bb.11:                               ;   in Loop: Header=BB108_10 Depth=1
	s_waitcnt lgkmcnt(0)
	v_add_f32_e32 v3, v3, v4
	v_add_nc_u32_e32 v7, s7, v60
	v_cmp_gt_i32_e64 s1, s30, v60
	s_delay_alu instid0(VALU_DEP_2) | instskip(NEXT) | instid1(VALU_DEP_1)
	v_cvt_f32_i32_e32 v7, v7
	v_mul_f32_e32 v7, s28, v7
	s_delay_alu instid0(VALU_DEP_1) | instskip(NEXT) | instid1(VALU_DEP_1)
	v_cndmask_b32_e64 v4, 0, v7, s0
	v_dual_max_f32 v7, v58, v58 :: v_dual_fmac_f32 v4, s29, v3
	s_delay_alu instid0(VALU_DEP_1) | instskip(SKIP_1) | instid1(VALU_DEP_2)
	v_max_f32_e32 v3, v7, v4
	v_cndmask_b32_e64 v4, 0, v4, s1
	v_cndmask_b32_e64 v58, v58, v3, s1
	ds_store_b32 v61, v4
	s_branch .LBB108_9
.LBB108_12:
	s_or_b32 exec_lo, exec_lo, s34
.LBB108_13:
	s_delay_alu instid0(SALU_CYCLE_1) | instskip(SKIP_4) | instid1(VALU_DEP_4)
	s_or_b32 exec_lo, exec_lo, s33
	v_xor_b32_e32 v1, 16, v56
	v_xor_b32_e32 v2, 8, v56
	v_dual_max_f32 v7, v58, v58 :: v_dual_and_b32 v10, 31, v0
	v_lshlrev_b32_e32 v9, 2, v53
	v_cmp_lt_i32_e32 vcc_lo, v1, v57
	v_cndmask_b32_e32 v1, v56, v1, vcc_lo
	v_cmp_lt_i32_e32 vcc_lo, v2, v57
	v_cndmask_b32_e32 v2, v56, v2, vcc_lo
	s_waitcnt lgkmcnt(0)
	s_delay_alu instid0(VALU_DEP_1) | instskip(SKIP_4) | instid1(VALU_DEP_1)
	v_lshlrev_b32_e32 v4, 2, v2
	v_lshlrev_b32_e32 v3, 2, v1
	ds_bpermute_b32 v1, v3, v58
	s_waitcnt lgkmcnt(0)
	v_max_f32_e32 v1, v1, v1
	v_max_f32_e32 v1, v7, v1
	v_xor_b32_e32 v7, 4, v56
	s_delay_alu instid0(VALU_DEP_1) | instskip(SKIP_1) | instid1(VALU_DEP_1)
	v_cmp_lt_i32_e32 vcc_lo, v7, v57
	v_cndmask_b32_e32 v7, v56, v7, vcc_lo
	v_lshlrev_b32_e32 v8, 2, v7
	ds_bpermute_b32 v2, v4, v1
	v_xor_b32_e32 v7, 2, v56
	s_delay_alu instid0(VALU_DEP_1) | instskip(SKIP_4) | instid1(VALU_DEP_1)
	v_cmp_lt_i32_e32 vcc_lo, v7, v57
	v_cndmask_b32_e32 v7, v56, v7, vcc_lo
	v_cmp_eq_u32_e32 vcc_lo, 0, v10
	s_waitcnt lgkmcnt(0)
	v_max_f32_e32 v2, v2, v2
	v_max_f32_e32 v1, v1, v2
	ds_bpermute_b32 v2, v8, v1
	s_waitcnt lgkmcnt(0)
	v_max_f32_e32 v2, v2, v2
	s_delay_alu instid0(VALU_DEP_1)
	v_dual_max_f32 v1, v1, v2 :: v_dual_lshlrev_b32 v2, 2, v7
	ds_bpermute_b32 v7, v2, v1
	s_and_saveexec_b32 s0, vcc_lo
	s_cbranch_execz .LBB108_15
; %bb.14:
	s_waitcnt lgkmcnt(0)
	v_max_f32_e32 v7, v7, v7
	v_max_f32_e32 v1, v1, v1
	s_delay_alu instid0(VALU_DEP_1)
	v_max_f32_e32 v1, v1, v7
	ds_store_b32 v9, v1 offset:384
.LBB108_15:
	s_or_b32 exec_lo, exec_lo, s0
	v_cmp_gt_u32_e64 s0, 4, v10
	v_dual_mov_b32 v1, 0xff7fffff :: v_dual_lshlrev_b32 v12, 2, v10
	s_waitcnt lgkmcnt(0)
	s_barrier
	buffer_gl0_inv
	s_and_saveexec_b32 s1, s0
	s_cbranch_execz .LBB108_17
; %bb.16:
	ds_load_b32 v1, v12 offset:384
.LBB108_17:
	s_or_b32 exec_lo, exec_lo, s1
	s_waitcnt lgkmcnt(0)
	ds_bpermute_b32 v7, v2, v1
	v_xor_b32_e32 v11, 1, v56
	v_dual_max_f32 v1, v1, v1 :: v_dual_mov_b32 v14, 0
	v_lshlrev_b32_e32 v13, 2, v56
	s_delay_alu instid0(VALU_DEP_3) | instskip(NEXT) | instid1(VALU_DEP_2)
	v_cmp_lt_i32_e64 s1, v11, v57
	v_and_b32_e32 v13, 0xffffff80, v13
	s_delay_alu instid0(VALU_DEP_2) | instskip(SKIP_1) | instid1(SALU_CYCLE_1)
	v_cndmask_b32_e64 v11, v56, v11, s1
	s_sub_i32 s1, s17, s15
	s_lshl_b32 s1, s1, 4
	s_delay_alu instid0(VALU_DEP_1) | instskip(SKIP_1) | instid1(SALU_CYCLE_1)
	v_lshlrev_b32_e32 v11, 2, v11
	s_add_i32 s1, s1, s31
	s_min_i32 s1, s1, s30
	s_waitcnt lgkmcnt(0)
	v_max_f32_e32 v7, v7, v7
	s_sub_i32 s7, s1, s31
	s_delay_alu instid0(SALU_CYCLE_1) | instskip(NEXT) | instid1(VALU_DEP_2)
	v_cmp_gt_i32_e64 s1, s7, v0
	v_max_f32_e32 v1, v1, v7
	ds_bpermute_b32 v7, v11, v1
	s_waitcnt lgkmcnt(0)
	v_max_f32_e32 v7, v7, v7
	s_delay_alu instid0(VALU_DEP_1)
	v_max_f32_e32 v1, v1, v7
	v_lshl_add_u32 v7, v0, 2, 0x1a0
	ds_bpermute_b32 v1, v13, v1
	s_and_saveexec_b32 s15, s1
	s_cbranch_execz .LBB108_21
; %bb.18:
	v_lshl_add_u32 v15, v0, 2, 0x1a0
	v_mov_b32_e32 v14, 0
	v_mov_b32_e32 v16, v0
	s_mov_b32 s28, 0
	.p2align	6
.LBB108_19:                             ; =>This Inner Loop Header: Depth=1
	ds_load_b32 v17, v15
	v_add_nc_u32_e32 v16, 0x80, v16
	s_delay_alu instid0(VALU_DEP_1) | instskip(NEXT) | instid1(VALU_DEP_1)
	v_cmp_le_i32_e64 s3, s7, v16
	s_or_b32 s28, s3, s28
	s_waitcnt lgkmcnt(0)
	v_sub_f32_e32 v17, v17, v1
	s_delay_alu instid0(VALU_DEP_1) | instskip(NEXT) | instid1(VALU_DEP_1)
	v_mul_f32_e32 v17, 0x3fb8aa3b, v17
	v_exp_f32_e32 v17, v17
	ds_store_b32 v15, v17
	v_dual_add_f32 v14, v14, v17 :: v_dual_add_nc_u32 v15, 0x200, v15
	s_and_not1_b32 exec_lo, exec_lo, s28
	s_cbranch_execnz .LBB108_19
; %bb.20:
	s_or_b32 exec_lo, exec_lo, s28
.LBB108_21:
	s_delay_alu instid0(SALU_CYCLE_1)
	s_or_b32 exec_lo, exec_lo, s15
	ds_bpermute_b32 v3, v3, v14
	s_waitcnt lgkmcnt(0)
	v_add_f32_e32 v3, v14, v3
	ds_bpermute_b32 v4, v4, v3
	s_waitcnt lgkmcnt(0)
	v_add_f32_e32 v3, v3, v4
	;; [unrolled: 3-line block ×5, first 2 shown]
	s_and_saveexec_b32 s3, vcc_lo
	s_cbranch_execz .LBB108_23
; %bb.22:
	ds_store_b32 v9, v3 offset:400
.LBB108_23:
	s_or_b32 exec_lo, exec_lo, s3
	s_waitcnt lgkmcnt(0)
	s_barrier
	buffer_gl0_inv
	s_and_saveexec_b32 s3, s0
	s_cbranch_execz .LBB108_25
; %bb.24:
	ds_load_b32 v3, v12 offset:400
.LBB108_25:
	s_or_b32 exec_lo, exec_lo, s3
	s_waitcnt lgkmcnt(0)
	ds_bpermute_b32 v2, v2, v3
	s_waitcnt lgkmcnt(0)
	v_add_f32_e32 v2, v3, v2
	ds_bpermute_b32 v3, v11, v2
	s_waitcnt lgkmcnt(0)
	v_add_f32_e32 v2, v2, v3
	ds_bpermute_b32 v2, v13, v2
	s_and_saveexec_b32 s0, s1
	s_cbranch_execz .LBB108_28
; %bb.26:
	s_waitcnt lgkmcnt(0)
	v_add_f32_e32 v3, 0x358637bd, v2
	s_mov_b32 s1, 0
	s_delay_alu instid0(VALU_DEP_1) | instskip(NEXT) | instid1(VALU_DEP_1)
	v_div_scale_f32 v4, null, v3, v3, 1.0
	v_rcp_f32_e32 v8, v4
	s_waitcnt_depctr 0xfff
	v_fma_f32 v9, -v4, v8, 1.0
	s_delay_alu instid0(VALU_DEP_1) | instskip(SKIP_1) | instid1(VALU_DEP_1)
	v_fmac_f32_e32 v8, v9, v8
	v_div_scale_f32 v12, vcc_lo, 1.0, v3, 1.0
	v_mul_f32_e32 v9, v12, v8
	s_delay_alu instid0(VALU_DEP_1) | instskip(NEXT) | instid1(VALU_DEP_1)
	v_fma_f32 v13, -v4, v9, v12
	v_fmac_f32_e32 v9, v13, v8
	s_delay_alu instid0(VALU_DEP_1) | instskip(NEXT) | instid1(VALU_DEP_1)
	v_fma_f32 v4, -v4, v9, v12
	v_div_fmas_f32 v4, v4, v8, v9
	s_delay_alu instid0(VALU_DEP_1)
	v_div_fixup_f32 v3, v4, v3, 1.0
	v_mov_b32_e32 v4, v0
.LBB108_27:                             ; =>This Inner Loop Header: Depth=1
	ds_load_b32 v8, v7
	v_add_nc_u32_e32 v4, 0x80, v4
	s_delay_alu instid0(VALU_DEP_1)
	v_cmp_le_i32_e32 vcc_lo, s7, v4
	s_or_b32 s1, vcc_lo, s1
	s_waitcnt lgkmcnt(0)
	v_mul_f32_e32 v8, v3, v8
	ds_store_b32 v7, v8
	v_add_nc_u32_e32 v7, 0x200, v7
	s_and_not1_b32 exec_lo, exec_lo, s1
	s_cbranch_execnz .LBB108_27
.LBB108_28:
	s_or_b32 exec_lo, exec_lo, s0
	s_mul_i32 s0, s4, s14
	s_waitcnt lgkmcnt(0)
	s_mul_i32 s14, s0, s13
	s_mov_b32 s0, exec_lo
	s_barrier
	buffer_gl0_inv
	v_cmpx_eq_u32_e32 0, v0
	s_cbranch_execz .LBB108_30
; %bb.29:
	s_ashr_i32 s15, s14, 31
	s_mul_i32 s34, s4, s20
	s_lshl_b64 s[28:29], s[14:15], 2
	v_mov_b32_e32 v3, 0
	s_add_u32 s1, s10, s28
	s_addc_u32 s3, s11, s29
	s_ashr_i32 s35, s34, 31
	s_delay_alu instid0(SALU_CYCLE_1) | instskip(NEXT) | instid1(SALU_CYCLE_1)
	s_lshl_b64 s[10:11], s[34:35], 2
	s_add_u32 s1, s1, s10
	s_addc_u32 s3, s3, s11
	s_ashr_i32 s13, s12, 31
	s_delay_alu instid0(SALU_CYCLE_1) | instskip(NEXT) | instid1(SALU_CYCLE_1)
	s_lshl_b64 s[34:35], s[12:13], 2
	s_add_u32 s36, s1, s34
	s_addc_u32 s37, s3, s35
	s_add_u32 s1, s8, s28
	s_addc_u32 s3, s9, s29
	s_add_u32 s1, s1, s10
	s_addc_u32 s3, s3, s11
	s_add_u32 s8, s1, s34
	s_addc_u32 s9, s3, s35
	s_clause 0x1
	global_store_b32 v3, v1, s[36:37]
	global_store_b32 v3, v2, s[8:9]
.LBB108_30:
	s_or_b32 exec_lo, exec_lo, s0
	v_dual_mov_b32 v22, 0 :: v_dual_mov_b32 v23, 0
	v_dual_mov_b32 v21, 0 :: v_dual_mov_b32 v20, 0
	v_dual_mov_b32 v19, 0 :: v_dual_mov_b32 v18, 0
	v_dual_mov_b32 v17, 0 :: v_dual_mov_b32 v16, 0
	v_dual_mov_b32 v15, 0 :: v_dual_mov_b32 v14, 0
	v_dual_mov_b32 v13, 0 :: v_dual_mov_b32 v12, 0
	s_and_saveexec_b32 s1, s2
	s_cbranch_execz .LBB108_58
; %bb.31:
	v_dual_mov_b32 v14, 0 :: v_dual_and_b32 v3, 0xf8, v54
	v_dual_mov_b32 v12, 0 :: v_dual_and_b32 v1, 8, v54
	v_lshlrev_b32_e32 v2, 5, v52
	s_delay_alu instid0(VALU_DEP_3) | instskip(SKIP_1) | instid1(VALU_DEP_3)
	v_or_b32_e32 v13, 0xb00, v3
	s_ashr_i32 s7, s6, 31
	v_add3_u32 v24, s31, v55, v1
	s_lshl_b64 s[6:7], s[6:7], 1
	s_mov_b32 s2, s5
	v_dual_mov_b32 v19, 0 :: v_dual_lshlrev_b32 v30, 1, v13
	v_mov_b32_e32 v13, 0
	v_lshl_or_b32 v7, v53, 6, v2
	v_lshlrev_b64 v[1:2], 2, v[5:6]
	s_add_u32 s3, s26, s6
	s_addc_u32 s5, s27, s7
	s_lshl_b64 s[24:25], s[24:25], 2
	s_add_i32 s21, s21, -1
	v_or_b32_e32 v4, 0x800, v3
	v_or_b32_e32 v8, 0x900, v3
	;; [unrolled: 1-line block ×3, first 2 shown]
	s_add_u32 s0, s22, s24
	s_addc_u32 s11, s23, s25
	v_add_co_u32 v6, vcc_lo, s0, v1
	v_dual_mov_b32 v16, 0 :: v_dual_add_nc_u32 v25, 0x1a0, v7
	v_add_co_ci_u32_e32 v7, vcc_lo, s11, v2, vcc_lo
	v_dual_mov_b32 v15, 0 :: v_dual_lshlrev_b32 v26, 1, v3
	v_dual_mov_b32 v18, 0 :: v_dual_lshlrev_b32 v27, 1, v4
	;; [unrolled: 1-line block ×4, first 2 shown]
	v_dual_mov_b32 v21, 0 :: v_dual_mov_b32 v22, 0
	v_mov_b32_e32 v23, 0
	s_mov_b32 s6, s30
	s_mov_b32 s7, s30
	;; [unrolled: 1-line block ×8, first 2 shown]
	s_branch .LBB108_33
.LBB108_32:                             ;   in Loop: Header=BB108_33 Depth=1
	s_or_b32 exec_lo, exec_lo, s0
	v_dual_add_f32 v31, v44, v45 :: v_dual_add_f32 v32, v63, v64
	v_add_f32_e32 v33, v61, v62
	s_waitcnt vmcnt(0)
	;;#ASMSTART
	v_pk_mul_f16 v1, v41, v1;

	;;#ASMEND
	;;#ASMSTART
	v_pk_mul_f16 v2, v38, v2;

	;;#ASMEND
	v_dual_add_f32 v13, v13, v31 :: v_dual_add_f32 v8, v8, v9
	v_dual_add_f32 v14, v14, v32 :: v_dual_add_f32 v31, v57, v58
	v_add_f32_e32 v32, v55, v56
	v_add_f32_e32 v9, v59, v60
	;;#ASMSTART
	v_pk_mul_f16 v3, v37, v3;

	;;#ASMEND
	;;#ASMSTART
	v_pk_mul_f16 v4, v35, v4;

	;;#ASMEND
	v_add_f32_e32 v18, v18, v31
	;;#ASMSTART
	v_pk_add_f16 v1, v1, v2;

	;;#ASMEND
	;;#ASMSTART
	v_pk_add_f16 v1, v1, v3;

	;;#ASMEND
	;; [unrolled: 4-line block ×3, first 2 shown]
	v_dual_add_f32 v15, v15, v33 :: v_dual_add_f32 v16, v16, v8
	v_dual_add_f32 v33, v50, v54 :: v_dual_and_b32 v2, 0xffff, v1
	v_lshrrev_b32_e32 v1, 16, v1
	v_add_nc_u32_e32 v5, 4, v5
	;;#ASMSTART
	v_cvt_f32_f16 v2, v2;
	;;#ASMEND
	;;#ASMSTART
	v_cvt_f32_f16 v1, v1;
	;;#ASMEND
	v_dual_add_f32 v17, v17, v9 :: v_dual_add_f32 v4, v46, v47
	v_dual_add_f32 v8, v40, v42 :: v_dual_add_f32 v1, v2, v1
	v_add_f32_e32 v3, v48, v49
	v_cmp_le_i32_e32 vcc_lo, s17, v5
	v_add_co_u32 v6, s0, v6, 16
	s_delay_alu instid0(VALU_DEP_4)
	v_add_f32_e32 v22, v22, v8
	v_dual_add_f32 v19, v19, v32 :: v_dual_add_f32 v20, v20, v33
	v_dual_add_f32 v21, v21, v3 :: v_dual_add_f32 v12, v12, v1
	v_add_f32_e32 v23, v23, v4
	v_add_nc_u32_e32 v24, 64, v24
	v_add_nc_u32_e32 v25, 0x100, v25
	v_add_co_ci_u32_e64 v7, s0, 0, v7, s0
	s_or_b32 s13, vcc_lo, s13
	s_delay_alu instid0(SALU_CYCLE_1)
	s_and_not1_b32 exec_lo, exec_lo, s13
	s_cbranch_execz .LBB108_57
.LBB108_33:                             ; =>This Inner Loop Header: Depth=1
	global_load_b32 v31, v[6:7], off
	ds_load_2addr_b64 v[1:4], v25 offset1:1
	v_or_b32_e32 v36, 5, v24
	v_or_b32_e32 v39, 7, v24
	;; [unrolled: 1-line block ×3, first 2 shown]
	s_waitcnt vmcnt(0)
	v_mad_i64_i32 v[8:9], null, v31, s2, 0
	ds_load_2addr_b64 v[31:34], v25 offset0:2 offset1:3
	s_waitcnt lgkmcnt(1)
	;;#ASMSTART
	v_cvt_f16_f32 v38, v1;

	;;#ASMEND
	;;#ASMSTART
	v_cvt_f16_f32 v35, v2;

	;;#ASMEND
	;; [unrolled: 4-line block ×4, first 2 shown]
	s_waitcnt lgkmcnt(0)
	;;#ASMSTART
	v_cvt_f16_f32 v41, v31;

	;;#ASMEND
	v_lshlrev_b64 v[8:9], 1, v[8:9]
	;;#ASMSTART
	v_cvt_f16_f32 v42, v32;

	;;#ASMEND
	;;#ASMSTART
	v_cvt_f16_f32 v47, v33;

	;;#ASMEND
	;; [unrolled: 4-line block ×3, first 2 shown]
	v_add_nc_u32_e32 v31, 1, v24
	v_or_b32_e32 v33, 3, v24
	v_add_co_u32 v44, vcc_lo, s3, v8
	v_add_co_ci_u32_e32 v45, vcc_lo, s5, v9, vcc_lo
	v_or_b32_e32 v32, 2, v24
	s_delay_alu instid0(VALU_DEP_3) | instskip(NEXT) | instid1(VALU_DEP_3)
	v_add_co_u32 v8, vcc_lo, v44, v26
	v_add_co_ci_u32_e32 v9, vcc_lo, 0, v45, vcc_lo
	v_cmp_eq_u32_e32 vcc_lo, s21, v5
	v_or_b32_e32 v34, 4, v24
	global_load_b128 v[1:4], v[8:9], off
	s_and_saveexec_b32 s20, vcc_lo
	s_cbranch_execz .LBB108_35
; %bb.34:                               ;   in Loop: Header=BB108_33 Depth=1
	v_cmp_gt_i32_e64 s0, s11, v43
	s_waitcnt vmcnt(0)
	v_lshrrev_b32_e32 v48, 16, v4
	v_lshrrev_b32_e32 v49, 16, v3
	;; [unrolled: 1-line block ×4, first 2 shown]
	v_cndmask_b32_e64 v4, 0, v4, s0
	v_cmp_gt_i32_e64 s0, s15, v39
	s_delay_alu instid0(VALU_DEP_1) | instskip(SKIP_1) | instid1(VALU_DEP_2)
	v_cndmask_b32_e64 v48, 0, v48, s0
	v_cmp_gt_i32_e64 s0, s10, v36
	v_perm_b32 v4, v48, v4, 0x5040100
	s_delay_alu instid0(VALU_DEP_2) | instskip(SKIP_1) | instid1(VALU_DEP_1)
	v_cndmask_b32_e64 v49, 0, v49, s0
	v_cmp_gt_i32_e64 s0, s9, v34
	v_cndmask_b32_e64 v3, 0, v3, s0
	v_cmp_gt_i32_e64 s0, s8, v33
	s_delay_alu instid0(VALU_DEP_2) | instskip(NEXT) | instid1(VALU_DEP_2)
	v_perm_b32 v3, v49, v3, 0x5040100
	v_cndmask_b32_e64 v50, 0, v50, s0
	v_cmp_gt_i32_e64 s0, s7, v32
	s_delay_alu instid0(VALU_DEP_1) | instskip(SKIP_1) | instid1(VALU_DEP_2)
	v_cndmask_b32_e64 v2, 0, v2, s0
	v_cmp_gt_i32_e64 s0, s6, v31
	v_perm_b32 v2, v50, v2, 0x5040100
	s_delay_alu instid0(VALU_DEP_2) | instskip(SKIP_1) | instid1(VALU_DEP_1)
	v_cndmask_b32_e64 v54, 0, v54, s0
	v_cmp_gt_i32_e64 s0, s30, v24
	v_cndmask_b32_e64 v1, 0, v1, s0
	s_delay_alu instid0(VALU_DEP_1)
	v_perm_b32 v1, v54, v1, 0x5040100
.LBB108_35:                             ;   in Loop: Header=BB108_33 Depth=1
	s_or_b32 exec_lo, exec_lo, s20
	v_and_b32_e32 v38, 0xffff, v38
	v_and_b32_e32 v40, 0xffff, v40
	;; [unrolled: 1-line block ×4, first 2 shown]
	s_delay_alu instid0(VALU_DEP_4)
	v_lshl_or_b32 v41, v35, 16, v38
	s_waitcnt vmcnt(0)
	;;#ASMSTART
	v_pk_mul_f16 v1, v41, v1;

	;;#ASMEND
	v_lshl_or_b32 v38, v37, 16, v40
	v_lshl_or_b32 v37, v42, 16, v48
	;; [unrolled: 1-line block ×3, first 2 shown]
	;;#ASMSTART
	v_pk_mul_f16 v2, v38, v2;

	;;#ASMEND
	;;#ASMSTART
	v_pk_mul_f16 v3, v37, v3;

	;;#ASMEND
	;; [unrolled: 4-line block ×3, first 2 shown]
	;;#ASMSTART
	v_pk_add_f16 v1, v1, v2;

	;;#ASMEND
	;;#ASMSTART
	v_pk_add_f16 v1, v1, v3;

	;;#ASMEND
	;; [unrolled: 4-line block ×3, first 2 shown]
	v_and_b32_e32 v2, 0xffff, v1
	v_lshrrev_b32_e32 v1, 16, v1
	;;#ASMSTART
	v_cvt_f32_f16 v40, v2;
	;;#ASMEND
	;;#ASMSTART
	v_cvt_f32_f16 v42, v1;
	;;#ASMEND
	global_load_b128 v[1:4], v[8:9], off offset:512
	s_and_saveexec_b32 s20, vcc_lo
	s_cbranch_execz .LBB108_37
; %bb.36:                               ;   in Loop: Header=BB108_33 Depth=1
	v_cmp_gt_i32_e64 s0, s11, v43
	s_waitcnt vmcnt(0)
	v_lshrrev_b32_e32 v46, 16, v4
	v_lshrrev_b32_e32 v47, 16, v3
	;; [unrolled: 1-line block ×4, first 2 shown]
	v_cndmask_b32_e64 v4, 0, v4, s0
	v_cmp_gt_i32_e64 s0, s15, v39
	s_delay_alu instid0(VALU_DEP_1) | instskip(SKIP_1) | instid1(VALU_DEP_2)
	v_cndmask_b32_e64 v46, 0, v46, s0
	v_cmp_gt_i32_e64 s0, s10, v36
	v_perm_b32 v4, v46, v4, 0x5040100
	s_delay_alu instid0(VALU_DEP_2) | instskip(SKIP_1) | instid1(VALU_DEP_1)
	v_cndmask_b32_e64 v47, 0, v47, s0
	v_cmp_gt_i32_e64 s0, s9, v34
	v_cndmask_b32_e64 v3, 0, v3, s0
	v_cmp_gt_i32_e64 s0, s8, v33
	s_delay_alu instid0(VALU_DEP_2) | instskip(NEXT) | instid1(VALU_DEP_2)
	v_perm_b32 v3, v47, v3, 0x5040100
	v_cndmask_b32_e64 v48, 0, v48, s0
	v_cmp_gt_i32_e64 s0, s7, v32
	s_delay_alu instid0(VALU_DEP_1) | instskip(SKIP_1) | instid1(VALU_DEP_2)
	v_cndmask_b32_e64 v2, 0, v2, s0
	v_cmp_gt_i32_e64 s0, s6, v31
	v_perm_b32 v2, v48, v2, 0x5040100
	s_delay_alu instid0(VALU_DEP_2) | instskip(SKIP_1) | instid1(VALU_DEP_1)
	v_cndmask_b32_e64 v49, 0, v49, s0
	v_cmp_gt_i32_e64 s0, s30, v24
	v_cndmask_b32_e64 v1, 0, v1, s0
	s_delay_alu instid0(VALU_DEP_1)
	v_perm_b32 v1, v49, v1, 0x5040100
.LBB108_37:                             ;   in Loop: Header=BB108_33 Depth=1
	s_or_b32 exec_lo, exec_lo, s20
	s_waitcnt vmcnt(0)
	;;#ASMSTART
	v_pk_mul_f16 v1, v41, v1;

	;;#ASMEND
	;;#ASMSTART
	v_pk_mul_f16 v2, v38, v2;

	;;#ASMEND
	;; [unrolled: 4-line block ×4, first 2 shown]
	;;#ASMSTART
	v_pk_add_f16 v1, v1, v2;

	;;#ASMEND
	;;#ASMSTART
	v_pk_add_f16 v1, v1, v3;

	;;#ASMEND
	;; [unrolled: 4-line block ×3, first 2 shown]
	v_and_b32_e32 v2, 0xffff, v1
	v_lshrrev_b32_e32 v1, 16, v1
	;;#ASMSTART
	v_cvt_f32_f16 v46, v2;
	;;#ASMEND
	;;#ASMSTART
	v_cvt_f32_f16 v47, v1;
	;;#ASMEND
	global_load_b128 v[1:4], v[8:9], off offset:1024
	s_and_saveexec_b32 s20, vcc_lo
	s_cbranch_execz .LBB108_39
; %bb.38:                               ;   in Loop: Header=BB108_33 Depth=1
	v_cmp_gt_i32_e64 s0, s11, v43
	s_waitcnt vmcnt(0)
	v_lshrrev_b32_e32 v48, 16, v4
	v_lshrrev_b32_e32 v49, 16, v3
	;; [unrolled: 1-line block ×4, first 2 shown]
	v_cndmask_b32_e64 v4, 0, v4, s0
	v_cmp_gt_i32_e64 s0, s15, v39
	s_delay_alu instid0(VALU_DEP_1) | instskip(SKIP_1) | instid1(VALU_DEP_2)
	v_cndmask_b32_e64 v48, 0, v48, s0
	v_cmp_gt_i32_e64 s0, s10, v36
	v_perm_b32 v4, v48, v4, 0x5040100
	s_delay_alu instid0(VALU_DEP_2) | instskip(SKIP_1) | instid1(VALU_DEP_1)
	v_cndmask_b32_e64 v49, 0, v49, s0
	v_cmp_gt_i32_e64 s0, s9, v34
	v_cndmask_b32_e64 v3, 0, v3, s0
	v_cmp_gt_i32_e64 s0, s8, v33
	s_delay_alu instid0(VALU_DEP_2) | instskip(NEXT) | instid1(VALU_DEP_2)
	v_perm_b32 v3, v49, v3, 0x5040100
	v_cndmask_b32_e64 v50, 0, v50, s0
	v_cmp_gt_i32_e64 s0, s7, v32
	s_delay_alu instid0(VALU_DEP_1) | instskip(SKIP_1) | instid1(VALU_DEP_2)
	v_cndmask_b32_e64 v2, 0, v2, s0
	v_cmp_gt_i32_e64 s0, s6, v31
	v_perm_b32 v2, v50, v2, 0x5040100
	s_delay_alu instid0(VALU_DEP_2) | instskip(SKIP_1) | instid1(VALU_DEP_1)
	v_cndmask_b32_e64 v54, 0, v54, s0
	v_cmp_gt_i32_e64 s0, s30, v24
	v_cndmask_b32_e64 v1, 0, v1, s0
	s_delay_alu instid0(VALU_DEP_1)
	v_perm_b32 v1, v54, v1, 0x5040100
.LBB108_39:                             ;   in Loop: Header=BB108_33 Depth=1
	s_or_b32 exec_lo, exec_lo, s20
	s_waitcnt vmcnt(0)
	;;#ASMSTART
	v_pk_mul_f16 v1, v41, v1;

	;;#ASMEND
	;;#ASMSTART
	v_pk_mul_f16 v2, v38, v2;

	;;#ASMEND
	;; [unrolled: 4-line block ×4, first 2 shown]
	;;#ASMSTART
	v_pk_add_f16 v1, v1, v2;

	;;#ASMEND
	;;#ASMSTART
	v_pk_add_f16 v1, v1, v3;

	;;#ASMEND
	;; [unrolled: 4-line block ×3, first 2 shown]
	v_and_b32_e32 v2, 0xffff, v1
	v_lshrrev_b32_e32 v1, 16, v1
	;;#ASMSTART
	v_cvt_f32_f16 v48, v2;
	;;#ASMEND
	;;#ASMSTART
	v_cvt_f32_f16 v49, v1;
	;;#ASMEND
	global_load_b128 v[1:4], v[8:9], off offset:1536
	s_and_saveexec_b32 s20, vcc_lo
	s_cbranch_execz .LBB108_41
; %bb.40:                               ;   in Loop: Header=BB108_33 Depth=1
	v_cmp_gt_i32_e64 s0, s11, v43
	s_waitcnt vmcnt(0)
	v_lshrrev_b32_e32 v50, 16, v4
	v_lshrrev_b32_e32 v54, 16, v3
	;; [unrolled: 1-line block ×4, first 2 shown]
	v_cndmask_b32_e64 v4, 0, v4, s0
	v_cmp_gt_i32_e64 s0, s15, v39
	s_delay_alu instid0(VALU_DEP_1) | instskip(SKIP_1) | instid1(VALU_DEP_2)
	v_cndmask_b32_e64 v50, 0, v50, s0
	v_cmp_gt_i32_e64 s0, s10, v36
	v_perm_b32 v4, v50, v4, 0x5040100
	s_delay_alu instid0(VALU_DEP_2) | instskip(SKIP_1) | instid1(VALU_DEP_1)
	v_cndmask_b32_e64 v54, 0, v54, s0
	v_cmp_gt_i32_e64 s0, s9, v34
	v_cndmask_b32_e64 v3, 0, v3, s0
	v_cmp_gt_i32_e64 s0, s8, v33
	s_delay_alu instid0(VALU_DEP_2) | instskip(NEXT) | instid1(VALU_DEP_2)
	v_perm_b32 v3, v54, v3, 0x5040100
	v_cndmask_b32_e64 v55, 0, v55, s0
	v_cmp_gt_i32_e64 s0, s7, v32
	s_delay_alu instid0(VALU_DEP_1) | instskip(SKIP_1) | instid1(VALU_DEP_2)
	v_cndmask_b32_e64 v2, 0, v2, s0
	v_cmp_gt_i32_e64 s0, s6, v31
	v_perm_b32 v2, v55, v2, 0x5040100
	s_delay_alu instid0(VALU_DEP_2) | instskip(SKIP_1) | instid1(VALU_DEP_1)
	v_cndmask_b32_e64 v56, 0, v56, s0
	v_cmp_gt_i32_e64 s0, s30, v24
	v_cndmask_b32_e64 v1, 0, v1, s0
	s_delay_alu instid0(VALU_DEP_1)
	v_perm_b32 v1, v56, v1, 0x5040100
.LBB108_41:                             ;   in Loop: Header=BB108_33 Depth=1
	s_or_b32 exec_lo, exec_lo, s20
	s_waitcnt vmcnt(0)
	;;#ASMSTART
	v_pk_mul_f16 v1, v41, v1;

	;;#ASMEND
	;;#ASMSTART
	v_pk_mul_f16 v2, v38, v2;

	;;#ASMEND
	;; [unrolled: 4-line block ×4, first 2 shown]
	;;#ASMSTART
	v_pk_add_f16 v1, v1, v2;

	;;#ASMEND
	;;#ASMSTART
	v_pk_add_f16 v1, v1, v3;

	;;#ASMEND
	;; [unrolled: 4-line block ×3, first 2 shown]
	v_and_b32_e32 v2, 0xffff, v1
	v_lshrrev_b32_e32 v1, 16, v1
	;;#ASMSTART
	v_cvt_f32_f16 v50, v2;
	;;#ASMEND
	;;#ASMSTART
	v_cvt_f32_f16 v54, v1;
	;;#ASMEND
	global_load_b128 v[1:4], v[8:9], off offset:2048
	s_and_saveexec_b32 s20, vcc_lo
	s_cbranch_execz .LBB108_43
; %bb.42:                               ;   in Loop: Header=BB108_33 Depth=1
	v_cmp_gt_i32_e64 s0, s11, v43
	s_waitcnt vmcnt(0)
	v_lshrrev_b32_e32 v55, 16, v4
	v_lshrrev_b32_e32 v56, 16, v3
	;; [unrolled: 1-line block ×4, first 2 shown]
	v_cndmask_b32_e64 v4, 0, v4, s0
	v_cmp_gt_i32_e64 s0, s15, v39
	s_delay_alu instid0(VALU_DEP_1) | instskip(SKIP_1) | instid1(VALU_DEP_2)
	v_cndmask_b32_e64 v55, 0, v55, s0
	v_cmp_gt_i32_e64 s0, s10, v36
	v_perm_b32 v4, v55, v4, 0x5040100
	s_delay_alu instid0(VALU_DEP_2) | instskip(SKIP_1) | instid1(VALU_DEP_1)
	v_cndmask_b32_e64 v56, 0, v56, s0
	v_cmp_gt_i32_e64 s0, s9, v34
	v_cndmask_b32_e64 v3, 0, v3, s0
	v_cmp_gt_i32_e64 s0, s8, v33
	s_delay_alu instid0(VALU_DEP_2) | instskip(NEXT) | instid1(VALU_DEP_2)
	v_perm_b32 v3, v56, v3, 0x5040100
	v_cndmask_b32_e64 v57, 0, v57, s0
	v_cmp_gt_i32_e64 s0, s7, v32
	s_delay_alu instid0(VALU_DEP_1) | instskip(SKIP_1) | instid1(VALU_DEP_2)
	v_cndmask_b32_e64 v2, 0, v2, s0
	v_cmp_gt_i32_e64 s0, s6, v31
	v_perm_b32 v2, v57, v2, 0x5040100
	s_delay_alu instid0(VALU_DEP_2) | instskip(SKIP_1) | instid1(VALU_DEP_1)
	v_cndmask_b32_e64 v58, 0, v58, s0
	v_cmp_gt_i32_e64 s0, s30, v24
	v_cndmask_b32_e64 v1, 0, v1, s0
	s_delay_alu instid0(VALU_DEP_1)
	v_perm_b32 v1, v58, v1, 0x5040100
.LBB108_43:                             ;   in Loop: Header=BB108_33 Depth=1
	s_or_b32 exec_lo, exec_lo, s20
	s_waitcnt vmcnt(0)
	;;#ASMSTART
	v_pk_mul_f16 v1, v41, v1;

	;;#ASMEND
	;;#ASMSTART
	v_pk_mul_f16 v2, v38, v2;

	;;#ASMEND
	;; [unrolled: 4-line block ×4, first 2 shown]
	;;#ASMSTART
	v_pk_add_f16 v1, v1, v2;

	;;#ASMEND
	;;#ASMSTART
	v_pk_add_f16 v1, v1, v3;

	;;#ASMEND
	;; [unrolled: 4-line block ×3, first 2 shown]
	v_and_b32_e32 v2, 0xffff, v1
	v_lshrrev_b32_e32 v1, 16, v1
	;;#ASMSTART
	v_cvt_f32_f16 v55, v2;
	;;#ASMEND
	;;#ASMSTART
	v_cvt_f32_f16 v56, v1;
	;;#ASMEND
	global_load_b128 v[1:4], v[8:9], off offset:2560
	s_and_saveexec_b32 s20, vcc_lo
	s_cbranch_execz .LBB108_45
; %bb.44:                               ;   in Loop: Header=BB108_33 Depth=1
	v_cmp_gt_i32_e64 s0, s11, v43
	s_waitcnt vmcnt(0)
	v_lshrrev_b32_e32 v57, 16, v4
	v_lshrrev_b32_e32 v58, 16, v3
	;; [unrolled: 1-line block ×4, first 2 shown]
	v_cndmask_b32_e64 v4, 0, v4, s0
	v_cmp_gt_i32_e64 s0, s15, v39
	s_delay_alu instid0(VALU_DEP_1) | instskip(SKIP_1) | instid1(VALU_DEP_2)
	v_cndmask_b32_e64 v57, 0, v57, s0
	v_cmp_gt_i32_e64 s0, s10, v36
	v_perm_b32 v4, v57, v4, 0x5040100
	s_delay_alu instid0(VALU_DEP_2) | instskip(SKIP_1) | instid1(VALU_DEP_1)
	v_cndmask_b32_e64 v58, 0, v58, s0
	v_cmp_gt_i32_e64 s0, s9, v34
	v_cndmask_b32_e64 v3, 0, v3, s0
	v_cmp_gt_i32_e64 s0, s8, v33
	s_delay_alu instid0(VALU_DEP_2) | instskip(NEXT) | instid1(VALU_DEP_2)
	v_perm_b32 v3, v58, v3, 0x5040100
	v_cndmask_b32_e64 v59, 0, v59, s0
	v_cmp_gt_i32_e64 s0, s7, v32
	s_delay_alu instid0(VALU_DEP_1) | instskip(SKIP_1) | instid1(VALU_DEP_2)
	v_cndmask_b32_e64 v2, 0, v2, s0
	v_cmp_gt_i32_e64 s0, s6, v31
	v_perm_b32 v2, v59, v2, 0x5040100
	s_delay_alu instid0(VALU_DEP_2) | instskip(SKIP_1) | instid1(VALU_DEP_1)
	v_cndmask_b32_e64 v60, 0, v60, s0
	v_cmp_gt_i32_e64 s0, s30, v24
	v_cndmask_b32_e64 v1, 0, v1, s0
	s_delay_alu instid0(VALU_DEP_1)
	v_perm_b32 v1, v60, v1, 0x5040100
.LBB108_45:                             ;   in Loop: Header=BB108_33 Depth=1
	s_or_b32 exec_lo, exec_lo, s20
	s_waitcnt vmcnt(0)
	;;#ASMSTART
	v_pk_mul_f16 v1, v41, v1;

	;;#ASMEND
	;;#ASMSTART
	v_pk_mul_f16 v2, v38, v2;

	;;#ASMEND
	;; [unrolled: 4-line block ×4, first 2 shown]
	;;#ASMSTART
	v_pk_add_f16 v1, v1, v2;

	;;#ASMEND
	;;#ASMSTART
	v_pk_add_f16 v1, v1, v3;

	;;#ASMEND
	;; [unrolled: 4-line block ×3, first 2 shown]
	v_and_b32_e32 v2, 0xffff, v1
	v_lshrrev_b32_e32 v1, 16, v1
	;;#ASMSTART
	v_cvt_f32_f16 v57, v2;
	;;#ASMEND
	;;#ASMSTART
	v_cvt_f32_f16 v58, v1;
	;;#ASMEND
	global_load_b128 v[1:4], v[8:9], off offset:3072
	s_and_saveexec_b32 s20, vcc_lo
	s_cbranch_execz .LBB108_47
; %bb.46:                               ;   in Loop: Header=BB108_33 Depth=1
	v_cmp_gt_i32_e64 s0, s11, v43
	s_waitcnt vmcnt(0)
	v_lshrrev_b32_e32 v59, 16, v4
	v_lshrrev_b32_e32 v60, 16, v3
	;; [unrolled: 1-line block ×4, first 2 shown]
	v_cndmask_b32_e64 v4, 0, v4, s0
	v_cmp_gt_i32_e64 s0, s15, v39
	s_delay_alu instid0(VALU_DEP_1) | instskip(SKIP_1) | instid1(VALU_DEP_2)
	v_cndmask_b32_e64 v59, 0, v59, s0
	v_cmp_gt_i32_e64 s0, s10, v36
	v_perm_b32 v4, v59, v4, 0x5040100
	s_delay_alu instid0(VALU_DEP_2) | instskip(SKIP_1) | instid1(VALU_DEP_1)
	v_cndmask_b32_e64 v60, 0, v60, s0
	v_cmp_gt_i32_e64 s0, s9, v34
	v_cndmask_b32_e64 v3, 0, v3, s0
	v_cmp_gt_i32_e64 s0, s8, v33
	s_delay_alu instid0(VALU_DEP_2) | instskip(NEXT) | instid1(VALU_DEP_2)
	v_perm_b32 v3, v60, v3, 0x5040100
	v_cndmask_b32_e64 v61, 0, v61, s0
	v_cmp_gt_i32_e64 s0, s7, v32
	s_delay_alu instid0(VALU_DEP_1) | instskip(SKIP_1) | instid1(VALU_DEP_2)
	v_cndmask_b32_e64 v2, 0, v2, s0
	v_cmp_gt_i32_e64 s0, s6, v31
	v_perm_b32 v2, v61, v2, 0x5040100
	s_delay_alu instid0(VALU_DEP_2) | instskip(SKIP_1) | instid1(VALU_DEP_1)
	v_cndmask_b32_e64 v62, 0, v62, s0
	v_cmp_gt_i32_e64 s0, s30, v24
	v_cndmask_b32_e64 v1, 0, v1, s0
	s_delay_alu instid0(VALU_DEP_1)
	v_perm_b32 v1, v62, v1, 0x5040100
.LBB108_47:                             ;   in Loop: Header=BB108_33 Depth=1
	s_or_b32 exec_lo, exec_lo, s20
	s_waitcnt vmcnt(0)
	;;#ASMSTART
	v_pk_mul_f16 v1, v41, v1;

	;;#ASMEND
	;;#ASMSTART
	v_pk_mul_f16 v2, v38, v2;

	;;#ASMEND
	;; [unrolled: 4-line block ×4, first 2 shown]
	;;#ASMSTART
	v_pk_add_f16 v1, v1, v2;

	;;#ASMEND
	;;#ASMSTART
	v_pk_add_f16 v1, v1, v3;

	;;#ASMEND
	;; [unrolled: 4-line block ×3, first 2 shown]
	v_and_b32_e32 v2, 0xffff, v1
	v_lshrrev_b32_e32 v1, 16, v1
	;;#ASMSTART
	v_cvt_f32_f16 v59, v2;
	;;#ASMEND
	;;#ASMSTART
	v_cvt_f32_f16 v60, v1;
	;;#ASMEND
	global_load_b128 v[1:4], v[8:9], off offset:3584
	s_and_saveexec_b32 s20, vcc_lo
	s_cbranch_execz .LBB108_49
; %bb.48:                               ;   in Loop: Header=BB108_33 Depth=1
	v_cmp_gt_i32_e64 s0, s11, v43
	s_waitcnt vmcnt(0)
	v_lshrrev_b32_e32 v8, 16, v4
	v_lshrrev_b32_e32 v9, 16, v3
	;; [unrolled: 1-line block ×4, first 2 shown]
	v_cndmask_b32_e64 v4, 0, v4, s0
	v_cmp_gt_i32_e64 s0, s15, v39
	s_delay_alu instid0(VALU_DEP_1) | instskip(SKIP_1) | instid1(VALU_DEP_2)
	v_cndmask_b32_e64 v8, 0, v8, s0
	v_cmp_gt_i32_e64 s0, s10, v36
	v_perm_b32 v4, v8, v4, 0x5040100
	s_delay_alu instid0(VALU_DEP_2) | instskip(SKIP_1) | instid1(VALU_DEP_1)
	v_cndmask_b32_e64 v9, 0, v9, s0
	v_cmp_gt_i32_e64 s0, s9, v34
	v_cndmask_b32_e64 v3, 0, v3, s0
	v_cmp_gt_i32_e64 s0, s8, v33
	s_delay_alu instid0(VALU_DEP_2) | instskip(NEXT) | instid1(VALU_DEP_2)
	v_perm_b32 v3, v9, v3, 0x5040100
	v_cndmask_b32_e64 v61, 0, v61, s0
	v_cmp_gt_i32_e64 s0, s7, v32
	s_delay_alu instid0(VALU_DEP_1) | instskip(SKIP_1) | instid1(VALU_DEP_2)
	v_cndmask_b32_e64 v2, 0, v2, s0
	v_cmp_gt_i32_e64 s0, s6, v31
	v_perm_b32 v2, v61, v2, 0x5040100
	s_delay_alu instid0(VALU_DEP_2) | instskip(SKIP_1) | instid1(VALU_DEP_1)
	v_cndmask_b32_e64 v62, 0, v62, s0
	v_cmp_gt_i32_e64 s0, s30, v24
	v_cndmask_b32_e64 v1, 0, v1, s0
	s_delay_alu instid0(VALU_DEP_1)
	v_perm_b32 v1, v62, v1, 0x5040100
.LBB108_49:                             ;   in Loop: Header=BB108_33 Depth=1
	s_or_b32 exec_lo, exec_lo, s20
	s_waitcnt vmcnt(0)
	;;#ASMSTART
	v_pk_mul_f16 v1, v41, v1;

	;;#ASMEND
	;;#ASMSTART
	v_pk_mul_f16 v2, v38, v2;

	;;#ASMEND
	;; [unrolled: 4-line block ×4, first 2 shown]
	;;#ASMSTART
	v_pk_add_f16 v1, v1, v2;

	;;#ASMEND
	;;#ASMSTART
	v_pk_add_f16 v1, v1, v3;

	;;#ASMEND
	;; [unrolled: 4-line block ×3, first 2 shown]
	v_lshrrev_b32_e32 v3, 16, v1
	v_and_b32_e32 v4, 0xffff, v1
	v_add_co_u32 v1, s0, v44, v27
	s_delay_alu instid0(VALU_DEP_1)
	v_add_co_ci_u32_e64 v2, s0, 0, v45, s0
	;;#ASMSTART
	v_cvt_f32_f16 v8, v4;
	;;#ASMEND
	;;#ASMSTART
	v_cvt_f32_f16 v9, v3;
	;;#ASMEND
	global_load_b128 v[1:4], v[1:2], off
	s_and_saveexec_b32 s20, vcc_lo
	s_cbranch_execz .LBB108_51
; %bb.50:                               ;   in Loop: Header=BB108_33 Depth=1
	v_cmp_gt_i32_e64 s0, s11, v43
	s_waitcnt vmcnt(0)
	v_lshrrev_b32_e32 v61, 16, v4
	v_lshrrev_b32_e32 v62, 16, v3
	;; [unrolled: 1-line block ×4, first 2 shown]
	v_cndmask_b32_e64 v4, 0, v4, s0
	v_cmp_gt_i32_e64 s0, s15, v39
	s_delay_alu instid0(VALU_DEP_1) | instskip(SKIP_1) | instid1(VALU_DEP_2)
	v_cndmask_b32_e64 v61, 0, v61, s0
	v_cmp_gt_i32_e64 s0, s10, v36
	v_perm_b32 v4, v61, v4, 0x5040100
	s_delay_alu instid0(VALU_DEP_2) | instskip(SKIP_1) | instid1(VALU_DEP_1)
	v_cndmask_b32_e64 v62, 0, v62, s0
	v_cmp_gt_i32_e64 s0, s9, v34
	v_cndmask_b32_e64 v3, 0, v3, s0
	v_cmp_gt_i32_e64 s0, s8, v33
	s_delay_alu instid0(VALU_DEP_2) | instskip(NEXT) | instid1(VALU_DEP_2)
	v_perm_b32 v3, v62, v3, 0x5040100
	v_cndmask_b32_e64 v63, 0, v63, s0
	v_cmp_gt_i32_e64 s0, s7, v32
	s_delay_alu instid0(VALU_DEP_1) | instskip(SKIP_1) | instid1(VALU_DEP_2)
	v_cndmask_b32_e64 v2, 0, v2, s0
	v_cmp_gt_i32_e64 s0, s6, v31
	v_perm_b32 v2, v63, v2, 0x5040100
	s_delay_alu instid0(VALU_DEP_2) | instskip(SKIP_1) | instid1(VALU_DEP_1)
	v_cndmask_b32_e64 v64, 0, v64, s0
	v_cmp_gt_i32_e64 s0, s30, v24
	v_cndmask_b32_e64 v1, 0, v1, s0
	s_delay_alu instid0(VALU_DEP_1)
	v_perm_b32 v1, v64, v1, 0x5040100
.LBB108_51:                             ;   in Loop: Header=BB108_33 Depth=1
	s_or_b32 exec_lo, exec_lo, s20
	s_waitcnt vmcnt(0)
	;;#ASMSTART
	v_pk_mul_f16 v1, v41, v1;

	;;#ASMEND
	;;#ASMSTART
	v_pk_mul_f16 v2, v38, v2;

	;;#ASMEND
	;; [unrolled: 4-line block ×4, first 2 shown]
	;;#ASMSTART
	v_pk_add_f16 v1, v1, v2;

	;;#ASMEND
	;;#ASMSTART
	v_pk_add_f16 v1, v1, v3;

	;;#ASMEND
	;; [unrolled: 4-line block ×3, first 2 shown]
	v_lshrrev_b32_e32 v3, 16, v1
	v_and_b32_e32 v4, 0xffff, v1
	v_add_co_u32 v1, s0, v44, v28
	s_delay_alu instid0(VALU_DEP_1)
	v_add_co_ci_u32_e64 v2, s0, 0, v45, s0
	;;#ASMSTART
	v_cvt_f32_f16 v61, v4;
	;;#ASMEND
	;;#ASMSTART
	v_cvt_f32_f16 v62, v3;
	;;#ASMEND
	global_load_b128 v[1:4], v[1:2], off
	s_and_saveexec_b32 s20, vcc_lo
	s_cbranch_execz .LBB108_53
; %bb.52:                               ;   in Loop: Header=BB108_33 Depth=1
	v_cmp_gt_i32_e64 s0, s11, v43
	s_waitcnt vmcnt(0)
	v_lshrrev_b32_e32 v63, 16, v4
	v_lshrrev_b32_e32 v64, 16, v3
	;; [unrolled: 1-line block ×4, first 2 shown]
	v_cndmask_b32_e64 v4, 0, v4, s0
	v_cmp_gt_i32_e64 s0, s15, v39
	s_delay_alu instid0(VALU_DEP_1) | instskip(SKIP_1) | instid1(VALU_DEP_2)
	v_cndmask_b32_e64 v63, 0, v63, s0
	v_cmp_gt_i32_e64 s0, s10, v36
	v_perm_b32 v4, v63, v4, 0x5040100
	s_delay_alu instid0(VALU_DEP_2) | instskip(SKIP_1) | instid1(VALU_DEP_1)
	v_cndmask_b32_e64 v64, 0, v64, s0
	v_cmp_gt_i32_e64 s0, s9, v34
	v_cndmask_b32_e64 v3, 0, v3, s0
	v_cmp_gt_i32_e64 s0, s8, v33
	s_delay_alu instid0(VALU_DEP_2) | instskip(NEXT) | instid1(VALU_DEP_2)
	v_perm_b32 v3, v64, v3, 0x5040100
	v_cndmask_b32_e64 v65, 0, v65, s0
	v_cmp_gt_i32_e64 s0, s7, v32
	s_delay_alu instid0(VALU_DEP_1) | instskip(SKIP_1) | instid1(VALU_DEP_2)
	v_cndmask_b32_e64 v2, 0, v2, s0
	v_cmp_gt_i32_e64 s0, s6, v31
	v_perm_b32 v2, v65, v2, 0x5040100
	s_delay_alu instid0(VALU_DEP_2) | instskip(SKIP_1) | instid1(VALU_DEP_1)
	v_cndmask_b32_e64 v66, 0, v66, s0
	v_cmp_gt_i32_e64 s0, s30, v24
	v_cndmask_b32_e64 v1, 0, v1, s0
	s_delay_alu instid0(VALU_DEP_1)
	v_perm_b32 v1, v66, v1, 0x5040100
.LBB108_53:                             ;   in Loop: Header=BB108_33 Depth=1
	s_or_b32 exec_lo, exec_lo, s20
	s_waitcnt vmcnt(0)
	;;#ASMSTART
	v_pk_mul_f16 v1, v41, v1;

	;;#ASMEND
	;;#ASMSTART
	v_pk_mul_f16 v2, v38, v2;

	;;#ASMEND
	;; [unrolled: 4-line block ×4, first 2 shown]
	;;#ASMSTART
	v_pk_add_f16 v1, v1, v2;

	;;#ASMEND
	;;#ASMSTART
	v_pk_add_f16 v1, v1, v3;

	;;#ASMEND
	;; [unrolled: 4-line block ×3, first 2 shown]
	v_lshrrev_b32_e32 v3, 16, v1
	v_and_b32_e32 v4, 0xffff, v1
	v_add_co_u32 v1, s0, v44, v29
	s_delay_alu instid0(VALU_DEP_1)
	v_add_co_ci_u32_e64 v2, s0, 0, v45, s0
	;;#ASMSTART
	v_cvt_f32_f16 v63, v4;
	;;#ASMEND
	;;#ASMSTART
	v_cvt_f32_f16 v64, v3;
	;;#ASMEND
	global_load_b128 v[1:4], v[1:2], off
	s_and_saveexec_b32 s20, vcc_lo
	s_cbranch_execz .LBB108_55
; %bb.54:                               ;   in Loop: Header=BB108_33 Depth=1
	v_cmp_gt_i32_e64 s0, s11, v43
	s_waitcnt vmcnt(0)
	v_lshrrev_b32_e32 v65, 16, v4
	v_lshrrev_b32_e32 v66, 16, v3
	;; [unrolled: 1-line block ×4, first 2 shown]
	v_cndmask_b32_e64 v4, 0, v4, s0
	v_cmp_gt_i32_e64 s0, s15, v39
	s_delay_alu instid0(VALU_DEP_1) | instskip(SKIP_1) | instid1(VALU_DEP_2)
	v_cndmask_b32_e64 v65, 0, v65, s0
	v_cmp_gt_i32_e64 s0, s10, v36
	v_perm_b32 v4, v65, v4, 0x5040100
	s_delay_alu instid0(VALU_DEP_2) | instskip(SKIP_1) | instid1(VALU_DEP_1)
	v_cndmask_b32_e64 v66, 0, v66, s0
	v_cmp_gt_i32_e64 s0, s9, v34
	v_cndmask_b32_e64 v3, 0, v3, s0
	v_cmp_gt_i32_e64 s0, s8, v33
	s_delay_alu instid0(VALU_DEP_2) | instskip(NEXT) | instid1(VALU_DEP_2)
	v_perm_b32 v3, v66, v3, 0x5040100
	v_cndmask_b32_e64 v67, 0, v67, s0
	v_cmp_gt_i32_e64 s0, s7, v32
	s_delay_alu instid0(VALU_DEP_1) | instskip(SKIP_1) | instid1(VALU_DEP_2)
	v_cndmask_b32_e64 v2, 0, v2, s0
	v_cmp_gt_i32_e64 s0, s6, v31
	v_perm_b32 v2, v67, v2, 0x5040100
	s_delay_alu instid0(VALU_DEP_2) | instskip(SKIP_1) | instid1(VALU_DEP_1)
	v_cndmask_b32_e64 v68, 0, v68, s0
	v_cmp_gt_i32_e64 s0, s30, v24
	v_cndmask_b32_e64 v1, 0, v1, s0
	s_delay_alu instid0(VALU_DEP_1)
	v_perm_b32 v1, v68, v1, 0x5040100
.LBB108_55:                             ;   in Loop: Header=BB108_33 Depth=1
	s_or_b32 exec_lo, exec_lo, s20
	s_waitcnt vmcnt(0)
	;;#ASMSTART
	v_pk_mul_f16 v1, v41, v1;

	;;#ASMEND
	;;#ASMSTART
	v_pk_mul_f16 v2, v38, v2;

	;;#ASMEND
	;; [unrolled: 4-line block ×4, first 2 shown]
	;;#ASMSTART
	v_pk_add_f16 v1, v1, v2;

	;;#ASMEND
	;;#ASMSTART
	v_pk_add_f16 v1, v1, v3;

	;;#ASMEND
	;;#ASMSTART
	v_pk_add_f16 v1, v1, v4;

	;;#ASMEND
	v_lshrrev_b32_e32 v3, 16, v1
	v_and_b32_e32 v4, 0xffff, v1
	v_add_co_u32 v1, s0, v44, v30
	s_delay_alu instid0(VALU_DEP_1)
	v_add_co_ci_u32_e64 v2, s0, 0, v45, s0
	;;#ASMSTART
	v_cvt_f32_f16 v44, v4;
	;;#ASMEND
	;;#ASMSTART
	v_cvt_f32_f16 v45, v3;
	;;#ASMEND
	global_load_b128 v[1:4], v[1:2], off
	s_and_saveexec_b32 s0, vcc_lo
	s_cbranch_execz .LBB108_32
; %bb.56:                               ;   in Loop: Header=BB108_33 Depth=1
	v_cmp_gt_i32_e32 vcc_lo, s11, v43
	s_waitcnt vmcnt(0)
	v_lshrrev_b32_e32 v65, 16, v4
	v_lshrrev_b32_e32 v66, 16, v3
	;; [unrolled: 1-line block ×3, first 2 shown]
	v_cndmask_b32_e32 v4, 0, v4, vcc_lo
	v_cmp_gt_i32_e32 vcc_lo, s15, v39
	v_cndmask_b32_e32 v39, 0, v65, vcc_lo
	v_cmp_gt_i32_e32 vcc_lo, s10, v36
	s_delay_alu instid0(VALU_DEP_2)
	v_perm_b32 v4, v39, v4, 0x5040100
	v_cndmask_b32_e32 v36, 0, v66, vcc_lo
	v_cmp_gt_i32_e32 vcc_lo, s9, v34
	v_lshrrev_b32_e32 v34, 16, v1
	v_cndmask_b32_e32 v3, 0, v3, vcc_lo
	v_cmp_gt_i32_e32 vcc_lo, s8, v33
	s_delay_alu instid0(VALU_DEP_2) | instskip(SKIP_4) | instid1(VALU_DEP_2)
	v_perm_b32 v3, v36, v3, 0x5040100
	v_cndmask_b32_e32 v33, 0, v43, vcc_lo
	v_cmp_gt_i32_e32 vcc_lo, s7, v32
	v_cndmask_b32_e32 v2, 0, v2, vcc_lo
	v_cmp_gt_i32_e32 vcc_lo, s6, v31
	v_perm_b32 v2, v33, v2, 0x5040100
	v_cndmask_b32_e32 v31, 0, v34, vcc_lo
	v_cmp_gt_i32_e32 vcc_lo, s30, v24
	v_cndmask_b32_e32 v1, 0, v1, vcc_lo
	s_delay_alu instid0(VALU_DEP_1)
	v_perm_b32 v1, v31, v1, 0x5040100
	s_branch .LBB108_32
.LBB108_57:
	s_or_b32 exec_lo, exec_lo, s13
.LBB108_58:
	s_delay_alu instid0(SALU_CYCLE_1)
	s_or_b32 exec_lo, exec_lo, s1
	ds_bpermute_b32 v1, v11, v22
	ds_bpermute_b32 v29, v11, v13
	;; [unrolled: 1-line block ×12, first 2 shown]
	v_lshrrev_b32_e32 v10, 1, v10
	s_movk_i32 s0, 0x300
	s_waitcnt lgkmcnt(0)
	s_waitcnt_vscnt null, 0x0
	s_barrier
	buffer_gl0_inv
	v_add_f32_e32 v24, v22, v1
	v_add_f32_e32 v1, v13, v29
	v_dual_add_f32 v22, v23, v2 :: v_dual_and_b32 v13, 0x3c1, v0
	v_add_f32_e32 v9, v20, v4
	v_dual_add_f32 v11, v21, v3 :: v_dual_add_f32 v8, v19, v5
	v_add_f32_e32 v7, v18, v6
	v_dual_add_f32 v5, v17, v25 :: v_dual_add_f32 v4, v16, v26
	v_dual_add_f32 v3, v15, v27 :: v_dual_add_f32 v2, v14, v28
	v_add_f32_e32 v6, v12, v30
	v_mad_u32_u24 v12, v53, s0, 0x1a0
	v_cmp_eq_u32_e32 vcc_lo, 64, v13
	v_lshlrev_b32_e32 v13, 2, v10
	s_and_saveexec_b32 s0, vcc_lo
	s_cbranch_execz .LBB108_60
; %bb.59:
	s_delay_alu instid0(VALU_DEP_1)
	v_add3_u32 v14, v12, v13, 0xfffffa00
	ds_store_2addr_b32 v14, v24, v22 offset1:16
	ds_store_2addr_b32 v14, v11, v9 offset0:32 offset1:48
	ds_store_2addr_b32 v14, v8, v7 offset0:64 offset1:80
	;; [unrolled: 1-line block ×5, first 2 shown]
.LBB108_60:
	s_or_b32 exec_lo, exec_lo, s0
	v_cmp_eq_u32_e32 vcc_lo, 0, v52
	s_mov_b32 s1, exec_lo
	s_waitcnt lgkmcnt(0)
	s_barrier
	buffer_gl0_inv
	v_cmpx_gt_u32_e32 64, v0
	s_cbranch_execz .LBB108_75
; %bb.61:
	s_and_saveexec_b32 s0, vcc_lo
	s_cbranch_execnz .LBB108_95
; %bb.62:
	s_or_b32 exec_lo, exec_lo, s0
	s_and_saveexec_b32 s0, vcc_lo
	s_cbranch_execnz .LBB108_96
.LBB108_63:
	s_or_b32 exec_lo, exec_lo, s0
	s_and_saveexec_b32 s0, vcc_lo
	s_cbranch_execnz .LBB108_97
.LBB108_64:
	s_or_b32 exec_lo, exec_lo, s0
	s_and_saveexec_b32 s0, vcc_lo
	s_cbranch_execnz .LBB108_98
.LBB108_65:
	s_or_b32 exec_lo, exec_lo, s0
	s_and_saveexec_b32 s0, vcc_lo
	s_cbranch_execnz .LBB108_99
.LBB108_66:
	s_or_b32 exec_lo, exec_lo, s0
	s_and_saveexec_b32 s0, vcc_lo
	s_cbranch_execnz .LBB108_100
.LBB108_67:
	s_or_b32 exec_lo, exec_lo, s0
	s_and_saveexec_b32 s0, vcc_lo
	s_cbranch_execnz .LBB108_101
.LBB108_68:
	s_or_b32 exec_lo, exec_lo, s0
	s_and_saveexec_b32 s0, vcc_lo
	s_cbranch_execnz .LBB108_102
.LBB108_69:
	s_or_b32 exec_lo, exec_lo, s0
	s_and_saveexec_b32 s0, vcc_lo
	s_cbranch_execnz .LBB108_103
.LBB108_70:
	s_or_b32 exec_lo, exec_lo, s0
	s_and_saveexec_b32 s0, vcc_lo
	s_cbranch_execnz .LBB108_104
.LBB108_71:
	s_or_b32 exec_lo, exec_lo, s0
	s_and_saveexec_b32 s0, vcc_lo
	s_cbranch_execnz .LBB108_105
.LBB108_72:
	s_or_b32 exec_lo, exec_lo, s0
	s_and_saveexec_b32 s0, vcc_lo
	s_cbranch_execz .LBB108_74
.LBB108_73:
	v_lshl_add_u32 v14, v10, 2, v12
	ds_load_b32 v14, v14 offset:704
	s_waitcnt lgkmcnt(0)
	v_add_f32_e32 v6, v6, v14
.LBB108_74:
	s_or_b32 exec_lo, exec_lo, s0
.LBB108_75:
	s_delay_alu instid0(SALU_CYCLE_1)
	s_or_b32 exec_lo, exec_lo, s1
	v_and_b32_e32 v14, 0x3e1, v0
	s_mov_b32 s1, exec_lo
	s_barrier
	buffer_gl0_inv
	v_cmpx_eq_u32_e32 32, v14
	s_cbranch_execz .LBB108_77
; %bb.76:
	v_add3_u32 v13, v12, v13, 0xfffffd00
	ds_store_2addr_b32 v13, v24, v22 offset1:16
	ds_store_2addr_b32 v13, v11, v9 offset0:32 offset1:48
	ds_store_2addr_b32 v13, v8, v7 offset0:64 offset1:80
	;; [unrolled: 1-line block ×5, first 2 shown]
.LBB108_77:
	s_or_b32 exec_lo, exec_lo, s1
	s_delay_alu instid0(SALU_CYCLE_1)
	s_mov_b32 s1, exec_lo
	s_waitcnt lgkmcnt(0)
	s_barrier
	buffer_gl0_inv
	v_cmpx_gt_u32_e32 32, v0
	s_cbranch_execz .LBB108_92
; %bb.78:
	v_lshl_add_u32 v0, v10, 2, v12
	s_and_saveexec_b32 s0, vcc_lo
	s_cbranch_execnz .LBB108_106
; %bb.79:
	s_or_b32 exec_lo, exec_lo, s0
	s_and_saveexec_b32 s0, vcc_lo
	s_cbranch_execnz .LBB108_107
.LBB108_80:
	s_or_b32 exec_lo, exec_lo, s0
	s_and_saveexec_b32 s0, vcc_lo
	s_cbranch_execnz .LBB108_108
.LBB108_81:
	s_or_b32 exec_lo, exec_lo, s0
	s_and_saveexec_b32 s0, vcc_lo
	s_cbranch_execnz .LBB108_109
.LBB108_82:
	s_or_b32 exec_lo, exec_lo, s0
	s_and_saveexec_b32 s0, vcc_lo
	s_cbranch_execnz .LBB108_110
.LBB108_83:
	s_or_b32 exec_lo, exec_lo, s0
	s_and_saveexec_b32 s0, vcc_lo
	s_cbranch_execnz .LBB108_111
.LBB108_84:
	s_or_b32 exec_lo, exec_lo, s0
	s_and_saveexec_b32 s0, vcc_lo
	s_cbranch_execnz .LBB108_112
.LBB108_85:
	s_or_b32 exec_lo, exec_lo, s0
	s_and_saveexec_b32 s0, vcc_lo
	s_cbranch_execnz .LBB108_113
.LBB108_86:
	s_or_b32 exec_lo, exec_lo, s0
	s_and_saveexec_b32 s0, vcc_lo
	s_cbranch_execnz .LBB108_114
.LBB108_87:
	s_or_b32 exec_lo, exec_lo, s0
	s_and_saveexec_b32 s0, vcc_lo
	s_cbranch_execnz .LBB108_115
.LBB108_88:
	s_or_b32 exec_lo, exec_lo, s0
	s_and_saveexec_b32 s0, vcc_lo
	s_cbranch_execnz .LBB108_116
.LBB108_89:
	s_or_b32 exec_lo, exec_lo, s0
	s_and_saveexec_b32 s0, vcc_lo
	s_cbranch_execz .LBB108_91
.LBB108_90:
	ds_load_b32 v0, v0 offset:704
	s_waitcnt lgkmcnt(0)
	v_add_f32_e32 v6, v6, v0
.LBB108_91:
	s_or_b32 exec_lo, exec_lo, s0
.LBB108_92:
	s_delay_alu instid0(SALU_CYCLE_1)
	s_or_b32 exec_lo, exec_lo, s1
	s_barrier
	buffer_gl0_inv
	s_mov_b32 s0, exec_lo
	v_cmpx_eq_u32_e32 0, v14
	s_cbranch_execz .LBB108_94
; %bb.93:
	s_mul_i32 s0, s14, 0xc0
	s_mul_i32 s2, s4, s16
	s_ashr_i32 s1, s0, 31
	v_lshlrev_b32_e32 v0, 1, v51
	s_lshl_b64 s[0:1], s[0:1], 1
	;;#ASMSTART
	v_cvt_f16_f32 v10, v24;

	;;#ASMEND
	s_add_u32 s4, s18, s0
	s_addc_u32 s5, s19, s1
	s_ashr_i32 s3, s2, 31
	s_delay_alu instid0(SALU_CYCLE_1) | instskip(SKIP_4) | instid1(SALU_CYCLE_1)
	s_lshl_b64 s[0:1], s[2:3], 1
	s_mul_i32 s2, s12, 0xc0
	s_add_u32 s4, s4, s0
	s_addc_u32 s5, s5, s1
	s_ashr_i32 s3, s2, 31
	s_lshl_b64 s[0:1], s[2:3], 1
	s_delay_alu instid0(SALU_CYCLE_1)
	s_add_u32 s0, s4, s0
	s_addc_u32 s1, s5, s1
	global_store_b16 v0, v10, s[0:1]
	;;#ASMSTART
	v_cvt_f16_f32 v10, v22;

	;;#ASMEND
	global_store_b16 v0, v10, s[0:1] offset:32
	;;#ASMSTART
	v_cvt_f16_f32 v10, v11;

	;;#ASMEND
	global_store_b16 v0, v10, s[0:1] offset:64
	;; [unrolled: 5-line block ×11, first 2 shown]
.LBB108_94:
	s_nop 0
	s_sendmsg sendmsg(MSG_DEALLOC_VGPRS)
	s_endpgm
.LBB108_95:
	v_lshl_add_u32 v14, v10, 2, v12
	ds_load_b32 v14, v14
	s_waitcnt lgkmcnt(0)
	v_add_f32_e32 v24, v24, v14
	s_or_b32 exec_lo, exec_lo, s0
	s_and_saveexec_b32 s0, vcc_lo
	s_cbranch_execz .LBB108_63
.LBB108_96:
	v_lshl_add_u32 v14, v10, 2, v12
	ds_load_b32 v14, v14 offset:64
	s_waitcnt lgkmcnt(0)
	v_add_f32_e32 v22, v22, v14
	s_or_b32 exec_lo, exec_lo, s0
	s_and_saveexec_b32 s0, vcc_lo
	s_cbranch_execz .LBB108_64
.LBB108_97:
	v_lshl_add_u32 v14, v10, 2, v12
	ds_load_b32 v14, v14 offset:128
	s_waitcnt lgkmcnt(0)
	v_add_f32_e32 v11, v11, v14
	s_or_b32 exec_lo, exec_lo, s0
	s_and_saveexec_b32 s0, vcc_lo
	s_cbranch_execz .LBB108_65
.LBB108_98:
	v_lshl_add_u32 v14, v10, 2, v12
	ds_load_b32 v14, v14 offset:192
	s_waitcnt lgkmcnt(0)
	v_add_f32_e32 v9, v9, v14
	s_or_b32 exec_lo, exec_lo, s0
	s_and_saveexec_b32 s0, vcc_lo
	s_cbranch_execz .LBB108_66
.LBB108_99:
	v_lshl_add_u32 v14, v10, 2, v12
	ds_load_b32 v14, v14 offset:256
	s_waitcnt lgkmcnt(0)
	v_add_f32_e32 v8, v8, v14
	s_or_b32 exec_lo, exec_lo, s0
	s_and_saveexec_b32 s0, vcc_lo
	s_cbranch_execz .LBB108_67
.LBB108_100:
	v_lshl_add_u32 v14, v10, 2, v12
	ds_load_b32 v14, v14 offset:320
	s_waitcnt lgkmcnt(0)
	v_add_f32_e32 v7, v7, v14
	s_or_b32 exec_lo, exec_lo, s0
	s_and_saveexec_b32 s0, vcc_lo
	s_cbranch_execz .LBB108_68
.LBB108_101:
	v_lshl_add_u32 v14, v10, 2, v12
	ds_load_b32 v14, v14 offset:384
	s_waitcnt lgkmcnt(0)
	v_add_f32_e32 v5, v5, v14
	s_or_b32 exec_lo, exec_lo, s0
	s_and_saveexec_b32 s0, vcc_lo
	s_cbranch_execz .LBB108_69
.LBB108_102:
	v_lshl_add_u32 v14, v10, 2, v12
	ds_load_b32 v14, v14 offset:448
	s_waitcnt lgkmcnt(0)
	v_add_f32_e32 v4, v4, v14
	s_or_b32 exec_lo, exec_lo, s0
	s_and_saveexec_b32 s0, vcc_lo
	s_cbranch_execz .LBB108_70
.LBB108_103:
	v_lshl_add_u32 v14, v10, 2, v12
	ds_load_b32 v14, v14 offset:512
	s_waitcnt lgkmcnt(0)
	v_add_f32_e32 v3, v3, v14
	s_or_b32 exec_lo, exec_lo, s0
	s_and_saveexec_b32 s0, vcc_lo
	s_cbranch_execz .LBB108_71
.LBB108_104:
	v_lshl_add_u32 v14, v10, 2, v12
	ds_load_b32 v14, v14 offset:576
	s_waitcnt lgkmcnt(0)
	v_add_f32_e32 v2, v2, v14
	s_or_b32 exec_lo, exec_lo, s0
	s_and_saveexec_b32 s0, vcc_lo
	s_cbranch_execz .LBB108_72
.LBB108_105:
	v_lshl_add_u32 v14, v10, 2, v12
	ds_load_b32 v14, v14 offset:640
	s_waitcnt lgkmcnt(0)
	v_add_f32_e32 v1, v1, v14
	s_or_b32 exec_lo, exec_lo, s0
	s_and_saveexec_b32 s0, vcc_lo
	s_cbranch_execnz .LBB108_73
	s_branch .LBB108_74
.LBB108_106:
	ds_load_b32 v10, v0
	s_waitcnt lgkmcnt(0)
	v_add_f32_e32 v24, v24, v10
	s_or_b32 exec_lo, exec_lo, s0
	s_and_saveexec_b32 s0, vcc_lo
	s_cbranch_execz .LBB108_80
.LBB108_107:
	ds_load_b32 v10, v0 offset:64
	s_waitcnt lgkmcnt(0)
	v_add_f32_e32 v22, v22, v10
	s_or_b32 exec_lo, exec_lo, s0
	s_and_saveexec_b32 s0, vcc_lo
	s_cbranch_execz .LBB108_81
.LBB108_108:
	ds_load_b32 v10, v0 offset:128
	s_waitcnt lgkmcnt(0)
	v_add_f32_e32 v11, v11, v10
	s_or_b32 exec_lo, exec_lo, s0
	s_and_saveexec_b32 s0, vcc_lo
	s_cbranch_execz .LBB108_82
.LBB108_109:
	ds_load_b32 v10, v0 offset:192
	s_waitcnt lgkmcnt(0)
	v_add_f32_e32 v9, v9, v10
	s_or_b32 exec_lo, exec_lo, s0
	s_and_saveexec_b32 s0, vcc_lo
	s_cbranch_execz .LBB108_83
.LBB108_110:
	ds_load_b32 v10, v0 offset:256
	s_waitcnt lgkmcnt(0)
	v_add_f32_e32 v8, v8, v10
	s_or_b32 exec_lo, exec_lo, s0
	s_and_saveexec_b32 s0, vcc_lo
	s_cbranch_execz .LBB108_84
.LBB108_111:
	ds_load_b32 v10, v0 offset:320
	s_waitcnt lgkmcnt(0)
	v_add_f32_e32 v7, v7, v10
	s_or_b32 exec_lo, exec_lo, s0
	s_and_saveexec_b32 s0, vcc_lo
	s_cbranch_execz .LBB108_85
.LBB108_112:
	ds_load_b32 v10, v0 offset:384
	s_waitcnt lgkmcnt(0)
	v_add_f32_e32 v5, v5, v10
	s_or_b32 exec_lo, exec_lo, s0
	s_and_saveexec_b32 s0, vcc_lo
	s_cbranch_execz .LBB108_86
.LBB108_113:
	ds_load_b32 v10, v0 offset:448
	s_waitcnt lgkmcnt(0)
	v_add_f32_e32 v4, v4, v10
	s_or_b32 exec_lo, exec_lo, s0
	s_and_saveexec_b32 s0, vcc_lo
	s_cbranch_execz .LBB108_87
.LBB108_114:
	ds_load_b32 v10, v0 offset:512
	s_waitcnt lgkmcnt(0)
	v_add_f32_e32 v3, v3, v10
	s_or_b32 exec_lo, exec_lo, s0
	s_and_saveexec_b32 s0, vcc_lo
	s_cbranch_execz .LBB108_88
.LBB108_115:
	ds_load_b32 v10, v0 offset:576
	s_waitcnt lgkmcnt(0)
	v_add_f32_e32 v2, v2, v10
	s_or_b32 exec_lo, exec_lo, s0
	s_and_saveexec_b32 s0, vcc_lo
	s_cbranch_execz .LBB108_89
.LBB108_116:
	ds_load_b32 v10, v0 offset:640
	s_waitcnt lgkmcnt(0)
	v_add_f32_e32 v1, v1, v10
	s_or_b32 exec_lo, exec_lo, s0
	s_and_saveexec_b32 s0, vcc_lo
	s_cbranch_execnz .LBB108_90
	s_branch .LBB108_91
	.section	.rodata,"a",@progbits
	.p2align	6, 0x0
	.amdhsa_kernel _ZN4vllm25paged_attention_v2_kernelIttLi192ELi16ELi128ELNS_18Fp8KVCacheDataTypeE0ELb0ELi512EEEvPfS2_PT_PKS3_PKT0_S9_ifPKiSB_iPKfiiiSD_SD_iiiii
		.amdhsa_group_segment_fixed_size 416
		.amdhsa_private_segment_fixed_size 0
		.amdhsa_kernarg_size 400
		.amdhsa_user_sgpr_count 13
		.amdhsa_user_sgpr_dispatch_ptr 0
		.amdhsa_user_sgpr_queue_ptr 0
		.amdhsa_user_sgpr_kernarg_segment_ptr 1
		.amdhsa_user_sgpr_dispatch_id 0
		.amdhsa_user_sgpr_private_segment_size 0
		.amdhsa_wavefront_size32 1
		.amdhsa_uses_dynamic_stack 0
		.amdhsa_enable_private_segment 0
		.amdhsa_system_sgpr_workgroup_id_x 1
		.amdhsa_system_sgpr_workgroup_id_y 1
		.amdhsa_system_sgpr_workgroup_id_z 1
		.amdhsa_system_sgpr_workgroup_info 0
		.amdhsa_system_vgpr_workitem_id 0
		.amdhsa_next_free_vgpr 132
		.amdhsa_next_free_sgpr 38
		.amdhsa_reserve_vcc 1
		.amdhsa_float_round_mode_32 0
		.amdhsa_float_round_mode_16_64 0
		.amdhsa_float_denorm_mode_32 3
		.amdhsa_float_denorm_mode_16_64 3
		.amdhsa_dx10_clamp 1
		.amdhsa_ieee_mode 1
		.amdhsa_fp16_overflow 0
		.amdhsa_workgroup_processor_mode 1
		.amdhsa_memory_ordered 1
		.amdhsa_forward_progress 0
		.amdhsa_shared_vgpr_count 0
		.amdhsa_exception_fp_ieee_invalid_op 0
		.amdhsa_exception_fp_denorm_src 0
		.amdhsa_exception_fp_ieee_div_zero 0
		.amdhsa_exception_fp_ieee_overflow 0
		.amdhsa_exception_fp_ieee_underflow 0
		.amdhsa_exception_fp_ieee_inexact 0
		.amdhsa_exception_int_div_zero 0
	.end_amdhsa_kernel
	.section	.text._ZN4vllm25paged_attention_v2_kernelIttLi192ELi16ELi128ELNS_18Fp8KVCacheDataTypeE0ELb0ELi512EEEvPfS2_PT_PKS3_PKT0_S9_ifPKiSB_iPKfiiiSD_SD_iiiii,"axG",@progbits,_ZN4vllm25paged_attention_v2_kernelIttLi192ELi16ELi128ELNS_18Fp8KVCacheDataTypeE0ELb0ELi512EEEvPfS2_PT_PKS3_PKT0_S9_ifPKiSB_iPKfiiiSD_SD_iiiii,comdat
.Lfunc_end108:
	.size	_ZN4vllm25paged_attention_v2_kernelIttLi192ELi16ELi128ELNS_18Fp8KVCacheDataTypeE0ELb0ELi512EEEvPfS2_PT_PKS3_PKT0_S9_ifPKiSB_iPKfiiiSD_SD_iiiii, .Lfunc_end108-_ZN4vllm25paged_attention_v2_kernelIttLi192ELi16ELi128ELNS_18Fp8KVCacheDataTypeE0ELb0ELi512EEEvPfS2_PT_PKS3_PKT0_S9_ifPKiSB_iPKfiiiSD_SD_iiiii
                                        ; -- End function
	.section	.AMDGPU.csdata,"",@progbits
; Kernel info:
; codeLenInByte = 16292
; NumSgprs: 40
; NumVgprs: 132
; ScratchSize: 0
; MemoryBound: 0
; FloatMode: 240
; IeeeMode: 1
; LDSByteSize: 416 bytes/workgroup (compile time only)
; SGPRBlocks: 4
; VGPRBlocks: 16
; NumSGPRsForWavesPerEU: 40
; NumVGPRsForWavesPerEU: 132
; Occupancy: 10
; WaveLimiterHint : 1
; COMPUTE_PGM_RSRC2:SCRATCH_EN: 0
; COMPUTE_PGM_RSRC2:USER_SGPR: 13
; COMPUTE_PGM_RSRC2:TRAP_HANDLER: 0
; COMPUTE_PGM_RSRC2:TGID_X_EN: 1
; COMPUTE_PGM_RSRC2:TGID_Y_EN: 1
; COMPUTE_PGM_RSRC2:TGID_Z_EN: 1
; COMPUTE_PGM_RSRC2:TIDIG_COMP_CNT: 0
	.section	.text._ZN4vllm25paged_attention_v2_kernelIttLi256ELi16ELi128ELNS_18Fp8KVCacheDataTypeE0ELb0ELi512EEEvPfS2_PT_PKS3_PKT0_S9_ifPKiSB_iPKfiiiSD_SD_iiiii,"axG",@progbits,_ZN4vllm25paged_attention_v2_kernelIttLi256ELi16ELi128ELNS_18Fp8KVCacheDataTypeE0ELb0ELi512EEEvPfS2_PT_PKS3_PKT0_S9_ifPKiSB_iPKfiiiSD_SD_iiiii,comdat
	.protected	_ZN4vllm25paged_attention_v2_kernelIttLi256ELi16ELi128ELNS_18Fp8KVCacheDataTypeE0ELb0ELi512EEEvPfS2_PT_PKS3_PKT0_S9_ifPKiSB_iPKfiiiSD_SD_iiiii ; -- Begin function _ZN4vllm25paged_attention_v2_kernelIttLi256ELi16ELi128ELNS_18Fp8KVCacheDataTypeE0ELb0ELi512EEEvPfS2_PT_PKS3_PKT0_S9_ifPKiSB_iPKfiiiSD_SD_iiiii
	.globl	_ZN4vllm25paged_attention_v2_kernelIttLi256ELi16ELi128ELNS_18Fp8KVCacheDataTypeE0ELb0ELi512EEEvPfS2_PT_PKS3_PKT0_S9_ifPKiSB_iPKfiiiSD_SD_iiiii
	.p2align	8
	.type	_ZN4vllm25paged_attention_v2_kernelIttLi256ELi16ELi128ELNS_18Fp8KVCacheDataTypeE0ELb0ELi512EEEvPfS2_PT_PKS3_PKT0_S9_ifPKiSB_iPKfiiiSD_SD_iiiii,@function
_ZN4vllm25paged_attention_v2_kernelIttLi256ELi16ELi128ELNS_18Fp8KVCacheDataTypeE0ELb0ELi512EEEvPfS2_PT_PKS3_PKT0_S9_ifPKiSB_iPKfiiiSD_SD_iiiii: ; @_ZN4vllm25paged_attention_v2_kernelIttLi256ELi16ELi128ELNS_18Fp8KVCacheDataTypeE0ELb0ELi512EEEvPfS2_PT_PKS3_PKT0_S9_ifPKiSB_iPKfiiiSD_SD_iiiii
; %bb.0:
	s_load_b64 s[2:3], s[0:1], 0x40
	s_mov_b32 s12, s15
	s_ashr_i32 s15, s14, 31
	s_delay_alu instid0(SALU_CYCLE_1)
	s_lshl_b64 s[4:5], s[14:15], 2
	s_waitcnt lgkmcnt(0)
	s_add_u32 s2, s2, s4
	s_addc_u32 s3, s3, s5
	s_lshl_b32 s31, s12, 9
	s_load_b32 s30, s[2:3], 0x0
	s_waitcnt lgkmcnt(0)
	s_cmp_ge_i32 s31, s30
	s_cbranch_scc1 .LBB109_110
; %bb.1:
	s_mov_b32 s20, s13
	s_clause 0x1
	s_load_b32 s13, s[0:1], 0x90
	s_load_b64 s[28:29], s[0:1], 0x30
	s_mov_b32 s33, 0
	s_waitcnt lgkmcnt(0)
	s_abs_i32 s5, s13
	s_abs_i32 s2, s28
	s_delay_alu instid0(SALU_CYCLE_1) | instskip(SKIP_1) | instid1(VALU_DEP_1)
	v_cvt_f32_u32_e32 v1, s2
	s_sub_i32 s4, 0, s2
	v_rcp_iflag_f32_e32 v1, v1
	s_waitcnt_depctr 0xfff
	v_mul_f32_e32 v1, 0x4f7ffffe, v1
	s_delay_alu instid0(VALU_DEP_1) | instskip(NEXT) | instid1(VALU_DEP_1)
	v_cvt_u32_f32_e32 v1, v1
	v_readfirstlane_b32 s3, v1
	s_delay_alu instid0(VALU_DEP_1) | instskip(NEXT) | instid1(SALU_CYCLE_1)
	s_mul_i32 s4, s4, s3
	s_mul_hi_u32 s4, s3, s4
	s_delay_alu instid0(SALU_CYCLE_1) | instskip(SKIP_4) | instid1(SALU_CYCLE_1)
	s_add_i32 s3, s3, s4
	s_xor_b32 s4, s13, s28
	s_mul_hi_u32 s3, s5, s3
	s_ashr_i32 s4, s4, 31
	s_mul_i32 s6, s3, s2
	s_sub_i32 s5, s5, s6
	s_add_i32 s6, s3, 1
	s_sub_i32 s7, s5, s2
	s_cmp_ge_u32 s5, s2
	s_cselect_b32 s3, s6, s3
	s_cselect_b32 s5, s7, s5
	s_add_i32 s6, s3, 1
	s_cmp_ge_u32 s5, s2
	s_cselect_b32 s2, s6, s3
	s_abs_i32 s10, s20
	s_xor_b32 s2, s2, s4
	s_delay_alu instid0(SALU_CYCLE_1) | instskip(SKIP_2) | instid1(SALU_CYCLE_1)
	s_sub_i32 s11, s2, s4
	s_load_b64 s[2:3], s[0:1], 0x50
	s_abs_i32 s8, s11
	v_cvt_f32_u32_e32 v1, s8
	s_sub_i32 s5, 0, s8
	s_delay_alu instid0(VALU_DEP_1) | instskip(SKIP_2) | instid1(VALU_DEP_1)
	v_rcp_iflag_f32_e32 v1, v1
	s_waitcnt_depctr 0xfff
	v_mul_f32_e32 v1, 0x4f7ffffe, v1
	v_cvt_u32_f32_e32 v1, v1
	s_delay_alu instid0(VALU_DEP_1) | instskip(NEXT) | instid1(VALU_DEP_1)
	v_readfirstlane_b32 s4, v1
	s_mul_i32 s5, s5, s4
	s_delay_alu instid0(SALU_CYCLE_1) | instskip(NEXT) | instid1(SALU_CYCLE_1)
	s_mul_hi_u32 s5, s4, s5
	s_add_i32 s4, s4, s5
	s_waitcnt lgkmcnt(0)
	s_cmp_eq_u64 s[2:3], 0
	s_mul_hi_u32 s9, s10, s4
	s_cbranch_scc1 .LBB109_3
; %bb.2:
	s_ashr_i32 s21, s20, 31
	s_delay_alu instid0(SALU_CYCLE_1) | instskip(NEXT) | instid1(SALU_CYCLE_1)
	s_lshl_b64 s[4:5], s[20:21], 2
	s_add_u32 s2, s2, s4
	s_addc_u32 s3, s3, s5
	s_load_b32 s33, s[2:3], 0x0
.LBB109_3:
	s_load_b128 s[4:7], s[0:1], 0x58
	v_lshrrev_b32_e32 v63, 1, v0
	v_and_b32_e32 v64, 1, v0
	v_cmp_gt_u32_e64 s2, 64, v0
	v_lshlrev_b32_e32 v66, 3, v0
	s_ashr_i32 s3, s20, 31
	s_waitcnt lgkmcnt(0)
	s_ashr_i32 s7, s11, 31
	s_lshl_b32 s16, s20, 8
	s_and_saveexec_b32 s11, s2
	s_cbranch_execz .LBB109_5
; %bb.4:
	s_load_b64 s[18:19], s[0:1], 0x18
	s_mul_i32 s22, s14, s4
	v_lshlrev_b32_e32 v3, 3, v63
	s_ashr_i32 s23, s22, 31
	s_delay_alu instid0(SALU_CYCLE_1) | instskip(NEXT) | instid1(VALU_DEP_1)
	s_lshl_b64 s[22:23], s[22:23], 1
	v_lshl_add_u32 v3, v64, 8, v3
	s_waitcnt lgkmcnt(0)
	s_add_u32 s4, s18, s22
	s_addc_u32 s15, s19, s23
	s_ashr_i32 s17, s16, 31
	s_delay_alu instid0(SALU_CYCLE_1) | instskip(NEXT) | instid1(SALU_CYCLE_1)
	s_lshl_b64 s[18:19], s[16:17], 1
	s_add_u32 s18, s4, s18
	s_addc_u32 s19, s15, s19
	global_load_b64 v[1:2], v66, s[18:19]
	s_waitcnt vmcnt(0)
	ds_store_b64 v3, v[1:2]
.LBB109_5:
	s_or_b32 exec_lo, exec_lo, s11
	s_add_i32 s4, s30, 15
	s_lshl_b32 s15, s12, 5
	s_ashr_i32 s11, s4, 31
	s_xor_b32 s3, s3, s7
	s_lshr_b32 s11, s11, 28
	s_add_i32 s7, s15, 32
	s_add_i32 s4, s4, s11
	v_lshrrev_b32_e32 v65, 5, v0
	s_ashr_i32 s28, s4, 4
	s_mul_i32 s4, s9, s8
	s_min_i32 s21, s7, s28
	s_clause 0x1
	s_load_b64 s[22:23], s[0:1], 0x38
	s_load_b32 s7, s[0:1], 0x48
	s_sub_i32 s4, s10, s4
	s_add_i32 s10, s9, 1
	s_sub_i32 s11, s4, s8
	s_cmp_ge_u32 s4, s8
	v_or_b32_e32 v5, s15, v65
	s_cselect_b32 s9, s10, s9
	s_cselect_b32 s4, s11, s4
	s_add_i32 s10, s9, 1
	s_cmp_ge_u32 s4, s8
	v_mbcnt_lo_u32_b32 v68, -1, 0
	s_cselect_b32 s4, s10, s9
	s_mov_b32 s8, exec_lo
	s_xor_b32 s4, s4, s3
	s_waitcnt lgkmcnt(0)
	s_sub_i32 s4, s4, s3
	v_cmp_gt_i32_e64 s3, s21, v5
	s_barrier
	buffer_gl0_inv
                                        ; implicit-def: $vgpr69
	s_mul_i32 s24, s14, s7
                                        ; implicit-def: $sgpr7
	s_delay_alu instid0(SALU_CYCLE_1)
	s_ashr_i32 s25, s24, 31
	v_cmpx_le_i32_e64 s21, v5
	s_xor_b32 s8, exec_lo, s8
; %bb.6:
	v_mbcnt_lo_u32_b32 v68, -1, 0
	v_mov_b32_e32 v69, 32
	s_mov_b32 s7, 0xff7fffff
; %bb.7:
	s_or_saveexec_b32 s34, s8
	s_clause 0x3
	s_load_b128 s[8:11], s[0:1], 0x0
	s_load_b64 s[18:19], s[0:1], 0x10
	s_load_b64 s[26:27], s[0:1], 0x28
	s_load_b32 s17, s[0:1], 0x98
	v_dual_mov_b32 v70, s7 :: v_dual_lshlrev_b32 v67, 4, v65
	v_ashrrev_i32_e32 v6, 31, v5
	s_mul_i32 s6, s4, s6
	s_xor_b32 exec_lo, exec_lo, s34
	s_cbranch_execz .LBB109_13
; %bb.8:
	s_load_b64 s[36:37], s[0:1], 0x20
	v_bfe_u32 v3, v0, 1, 4
	s_ashr_i32 s7, s6, 31
	v_dual_mov_b32 v69, 32 :: v_dual_and_b32 v4, 8, v66
	s_lshl_b64 s[38:39], s[6:7], 1
	s_delay_alu instid0(VALU_DEP_2) | instskip(SKIP_2) | instid1(VALU_DEP_3)
	v_dual_mov_b32 v70, 0xff7fffff :: v_dual_lshlrev_b32 v1, 2, v3
	v_dual_mov_b32 v77, v5 :: v_dual_lshlrev_b32 v8, 4, v3
	v_add3_u32 v72, s31, v67, v3
	v_lshl_or_b32 v7, v65, 6, v1
	v_lshlrev_b64 v[1:2], 2, v[5:6]
	v_lshlrev_b32_e32 v71, 8, v64
	v_cmp_eq_u32_e32 vcc_lo, 0, v64
	v_cmp_neq_f32_e64 s0, s33, 0
	v_add_nc_u32_e32 v73, 0x220, v7
	v_xor_b32_e32 v76, 1, v68
	s_waitcnt lgkmcnt(0)
	s_add_u32 s1, s36, s38
	s_addc_u32 s4, s37, s39
	v_add_co_u32 v3, s1, s1, v8
	s_delay_alu instid0(VALU_DEP_1) | instskip(SKIP_2) | instid1(VALU_DEP_2)
	v_add_co_ci_u32_e64 v7, null, s4, 0, s1
	s_lshl_b64 s[36:37], s[24:25], 2
	s_sub_i32 s7, 1, s30
	v_add_co_u32 v74, s1, v3, v4
	s_add_u32 s4, s22, s36
	v_add_co_ci_u32_e64 v75, s1, 0, v7, s1
	s_addc_u32 s35, s23, s37
	v_add_co_u32 v1, s1, s4, v1
	s_delay_alu instid0(VALU_DEP_1)
	v_add_co_ci_u32_e64 v2, s1, s35, v2, s1
	s_mov_b32 s36, s5
	s_mov_b32 s35, 0
	s_branch .LBB109_10
.LBB109_9:                              ;   in Loop: Header=BB109_10 Depth=1
	s_or_b32 exec_lo, exec_lo, s4
	v_add_nc_u32_e32 v77, 4, v77
	v_add_co_u32 v1, s4, v1, 16
	v_add_nc_u32_e32 v72, 64, v72
	v_add_nc_u32_e32 v73, 0x100, v73
	s_delay_alu instid0(VALU_DEP_4) | instskip(SKIP_1) | instid1(VALU_DEP_2)
	v_cmp_le_i32_e64 s1, s21, v77
	v_add_co_ci_u32_e64 v2, s4, 0, v2, s4
	s_or_b32 s35, s1, s35
	s_delay_alu instid0(SALU_CYCLE_1)
	s_and_not1_b32 exec_lo, exec_lo, s35
	s_cbranch_execz .LBB109_12
.LBB109_10:                             ; =>This Inner Loop Header: Depth=1
	global_load_b32 v7, v[1:2], off
	s_waitcnt vmcnt(0) lgkmcnt(0)
	v_mad_i64_i32 v[3:4], null, v7, s36, 0
	s_delay_alu instid0(VALU_DEP_1) | instskip(NEXT) | instid1(VALU_DEP_1)
	v_lshlrev_b64 v[3:4], 1, v[3:4]
	v_add_co_u32 v3, s1, v74, v3
	s_delay_alu instid0(VALU_DEP_1)
	v_add_co_ci_u32_e64 v4, s1, v75, v4, s1
	s_clause 0x9
	global_load_b64 v[78:79], v[3:4], off
	global_load_b64 v[86:87], v[3:4], off offset:256
	global_load_b64 v[88:89], v[3:4], off offset:512
	;; [unrolled: 1-line block ×9, first 2 shown]
	ds_load_b64 v[7:8], v71
	s_clause 0x1
	global_load_b64 v[47:48], v[3:4], off offset:2560
	global_load_b64 v[45:46], v[3:4], off offset:2816
	v_add_co_u32 v80, s1, 0x1000, v3
	s_delay_alu instid0(VALU_DEP_1)
	v_add_co_ci_u32_e64 v81, s1, 0, v4, s1
	v_cmp_gt_i32_e64 s1, 32, v76
	s_waitcnt lgkmcnt(0)
	v_lshrrev_b32_e32 v82, 16, v7
	v_and_b32_e32 v83, 0xffff, v7
	v_lshrrev_b32_e32 v90, 16, v8
	v_and_b32_e32 v91, 0xffff, v8
	s_clause 0x13
	global_load_b64 v[43:44], v[3:4], off offset:3072
	global_load_b64 v[41:42], v[3:4], off offset:3328
	;; [unrolled: 1-line block ×4, first 2 shown]
	global_load_b64 v[35:36], v[80:81], off
	global_load_b64 v[33:34], v[80:81], off offset:256
	global_load_b64 v[31:32], v[80:81], off offset:512
	;; [unrolled: 1-line block ×15, first 2 shown]
	;;#ASMSTART
	v_cvt_f32_f16 v83, v83;
	;;#ASMEND
	;;#ASMSTART
	v_cvt_f32_f16 v82, v82;
	;;#ASMEND
	s_waitcnt vmcnt(31)
	v_and_b32_e32 v80, 0xffff, v78
	v_lshrrev_b32_e32 v78, 16, v78
	v_lshrrev_b32_e32 v92, 16, v79
	v_and_b32_e32 v79, 0xffff, v79
	;;#ASMSTART
	v_cvt_f32_f16 v85, v80;
	;;#ASMEND
	;;#ASMSTART
	v_cvt_f32_f16 v84, v78;
	;;#ASMEND
	;; [unrolled: 3-line block ×6, first 2 shown]
	ds_load_b64 v[90:91], v71 offset:8
	s_waitcnt vmcnt(30)
	v_lshrrev_b32_e32 v92, 16, v86
	v_and_b32_e32 v86, 0xffff, v86
	v_lshrrev_b32_e32 v93, 16, v87
	v_and_b32_e32 v87, 0xffff, v87
	s_waitcnt vmcnt(26)
	v_lshrrev_b32_e32 v100, 16, v58
	s_waitcnt vmcnt(25)
	v_lshrrev_b32_e32 v102, 16, v55
	v_and_b32_e32 v55, 0xffff, v55
	v_lshrrev_b32_e32 v127, 16, v56
	s_waitcnt vmcnt(24)
	v_lshrrev_b32_e32 v129, 16, v53
	v_lshrrev_b32_e32 v130, 16, v54
	s_waitcnt lgkmcnt(0)
	v_and_b32_e32 v94, 0xffff, v90
	v_lshrrev_b32_e32 v90, 16, v90
	v_and_b32_e32 v95, 0xffff, v91
	v_lshrrev_b32_e32 v91, 16, v91
	;;#ASMSTART
	v_cvt_f32_f16 v119, v94;
	;;#ASMEND
	;;#ASMSTART
	v_cvt_f32_f16 v118, v90;
	;;#ASMEND
	;;#ASMSTART
	v_cvt_f32_f16 v122, v86;
	;;#ASMEND
	;;#ASMSTART
	v_cvt_f32_f16 v121, v92;
	;;#ASMEND
	;;#ASMSTART
	v_cvt_f32_f16 v108, v95;
	;;#ASMEND
	;;#ASMSTART
	v_cvt_f32_f16 v107, v91;
	;;#ASMEND
	;;#ASMSTART
	v_cvt_f32_f16 v109, v87;
	;;#ASMEND
	;;#ASMSTART
	v_cvt_f32_f16 v126, v93;
	;;#ASMEND
	ds_load_b64 v[86:87], v71 offset:16
	v_lshrrev_b32_e32 v90, 16, v88
	v_and_b32_e32 v88, 0xffff, v88
	v_lshrrev_b32_e32 v91, 16, v89
	v_and_b32_e32 v89, 0xffff, v89
	s_waitcnt lgkmcnt(0)
	v_and_b32_e32 v92, 0xffff, v86
	v_lshrrev_b32_e32 v86, 16, v86
	v_and_b32_e32 v93, 0xffff, v87
	v_lshrrev_b32_e32 v87, 16, v87
	;;#ASMSTART
	v_cvt_f32_f16 v120, v92;
	;;#ASMEND
	;;#ASMSTART
	v_cvt_f32_f16 v116, v86;
	;;#ASMEND
	;;#ASMSTART
	v_cvt_f32_f16 v123, v88;
	;;#ASMEND
	;;#ASMSTART
	v_cvt_f32_f16 v117, v90;
	;;#ASMEND
	;;#ASMSTART
	v_cvt_f32_f16 v124, v93;
	;;#ASMEND
	;;#ASMSTART
	v_cvt_f32_f16 v98, v87;
	;;#ASMEND
	;;#ASMSTART
	v_cvt_f32_f16 v125, v89;
	;;#ASMEND
	;;#ASMSTART
	v_cvt_f32_f16 v99, v91;
	;;#ASMEND
	ds_load_b64 v[86:87], v71 offset:24
	v_lshrrev_b32_e32 v88, 16, v61
	v_and_b32_e32 v61, 0xffff, v61
	v_lshrrev_b32_e32 v89, 16, v62
	v_and_b32_e32 v62, 0xffff, v62
	;; [unrolled: 34-line block ×3, first 2 shown]
	v_and_b32_e32 v58, 0xffff, v58
	v_and_b32_e32 v106, 0xffff, v56
	s_waitcnt lgkmcnt(0)
	v_and_b32_e32 v86, 0xffff, v61
	v_lshrrev_b32_e32 v61, 16, v61
	v_and_b32_e32 v89, 0xffff, v62
	v_lshrrev_b32_e32 v62, 16, v62
	;;#ASMSTART
	v_cvt_f32_f16 v110, v86;
	;;#ASMEND
	;;#ASMSTART
	v_cvt_f32_f16 v86, v61;
	;;#ASMEND
	;; [unrolled: 3-line block ×8, first 2 shown]
	ds_load_b64 v[59:60], v71 offset:40
	v_lshrrev_b32_e32 v88, 16, v57
	v_and_b32_e32 v57, 0xffff, v57
	s_waitcnt lgkmcnt(0)
	v_and_b32_e32 v61, 0xffff, v59
	v_lshrrev_b32_e32 v59, 16, v59
	v_and_b32_e32 v89, 0xffff, v60
	v_lshrrev_b32_e32 v101, 16, v60
	;;#ASMSTART
	v_cvt_f32_f16 v61, v61;
	;;#ASMEND
	;;#ASMSTART
	v_cvt_f32_f16 v59, v59;
	;;#ASMEND
	;; [unrolled: 3-line block ×8, first 2 shown]
	ds_load_b64 v[100:101], v71 offset:48
	s_waitcnt lgkmcnt(0)
	v_and_b32_e32 v103, 0xffff, v100
	v_lshrrev_b32_e32 v100, 16, v100
	;;#ASMSTART
	v_cvt_f32_f16 v103, v103;
	;;#ASMEND
	;;#ASMSTART
	v_cvt_f32_f16 v56, v100;
	;;#ASMEND
	;; [unrolled: 3-line block ×3, first 2 shown]
	v_mul_f32_e32 v55, v119, v122
	v_and_b32_e32 v119, 0xffff, v53
	v_mul_f32_e32 v53, v118, v121
	v_and_b32_e32 v104, 0xffff, v101
	v_lshrrev_b32_e32 v128, 16, v101
	;;#ASMSTART
	v_cvt_f32_f16 v101, v102;
	;;#ASMEND
	;;#ASMSTART
	v_cvt_f32_f16 v104, v104;
	;;#ASMEND
	v_fmac_f32_e32 v53, v82, v84
	;;#ASMSTART
	v_cvt_f32_f16 v100, v128;
	;;#ASMEND
	v_fmac_f32_e32 v55, v83, v85
	s_delay_alu instid0(VALU_DEP_2) | instskip(NEXT) | instid1(VALU_DEP_2)
	v_fmac_f32_e32 v53, v116, v117
	v_fmac_f32_e32 v55, v120, v123
	s_waitcnt vmcnt(22)
	v_and_b32_e32 v123, 0xffff, v49
	s_delay_alu instid0(VALU_DEP_3)
	v_fmac_f32_e32 v53, v112, v113
	;;#ASMSTART
	v_cvt_f32_f16 v106, v106;
	;;#ASMEND
	;;#ASMSTART
	v_cvt_f32_f16 v102, v127;
	;;#ASMEND
	ds_load_b64 v[127:128], v71 offset:56
	v_dual_fmac_f32 v55, v114, v115 :: v_dual_and_b32 v54, 0xffff, v54
	v_fmac_f32_e32 v53, v86, v87
	s_waitcnt vmcnt(19)
	v_lshrrev_b32_e32 v86, 16, v44
	s_delay_alu instid0(VALU_DEP_3) | instskip(NEXT) | instid1(VALU_DEP_3)
	v_fmac_f32_e32 v55, v110, v111
	v_fmac_f32_e32 v53, v59, v60
	s_delay_alu instid0(VALU_DEP_2) | instskip(SKIP_2) | instid1(VALU_DEP_3)
	v_fmac_f32_e32 v55, v61, v62
	s_waitcnt vmcnt(18)
	v_lshrrev_b32_e32 v61, 16, v42
	v_fmac_f32_e32 v53, v56, v101
	s_delay_alu instid0(VALU_DEP_3)
	v_fmac_f32_e32 v55, v103, v105
	s_waitcnt lgkmcnt(0)
	v_and_b32_e32 v83, 0xffff, v127
	v_lshrrev_b32_e32 v85, 16, v127
	v_and_b32_e32 v84, 0xffff, v128
	v_lshrrev_b32_e32 v122, 16, v128
	;;#ASMSTART
	v_cvt_f32_f16 v118, v83;
	;;#ASMEND
	;;#ASMSTART
	v_cvt_f32_f16 v82, v85;
	;;#ASMEND
	;; [unrolled: 3-line block ×8, first 2 shown]
	ds_load_b64 v[127:128], v71 offset:64
	v_lshrrev_b32_e32 v129, 16, v51
	v_mul_f32_e32 v54, v108, v109
	v_dual_mul_f32 v51, v107, v126 :: v_dual_and_b32 v108, 0xffff, v51
	v_lshrrev_b32_e32 v126, 16, v52
	s_delay_alu instid0(VALU_DEP_3) | instskip(NEXT) | instid1(VALU_DEP_3)
	v_dual_fmac_f32 v54, v80, v81 :: v_dual_and_b32 v109, 0xffff, v52
	v_dual_fmac_f32 v51, v78, v79 :: v_dual_and_b32 v130, 0xffff, v50
	v_fmac_f32_e32 v55, v118, v121
	s_delay_alu instid0(VALU_DEP_3)
	v_dual_fmac_f32 v53, v82, v83 :: v_dual_fmac_f32 v54, v124, v125
	s_waitcnt vmcnt(15)
	v_lshrrev_b32_e32 v82, 16, v36
	v_fmac_f32_e32 v51, v98, v99
	v_lshrrev_b32_e32 v99, 16, v48
	v_fmac_f32_e32 v54, v96, v97
	v_lshrrev_b32_e32 v96, 16, v46
	s_delay_alu instid0(VALU_DEP_4)
	v_fmac_f32_e32 v51, v94, v95
	s_waitcnt lgkmcnt(0)
	v_and_b32_e32 v52, 0xffff, v127
	v_lshrrev_b32_e32 v80, 16, v127
	v_and_b32_e32 v78, 0xffff, v128
	v_lshrrev_b32_e32 v127, 16, v128
	v_fmac_f32_e32 v51, v90, v91
	;;#ASMSTART
	v_cvt_f32_f16 v81, v52;
	;;#ASMEND
	;;#ASMSTART
	v_cvt_f32_f16 v52, v80;
	;;#ASMEND
	;; [unrolled: 3-line block ×8, first 2 shown]
	ds_load_b64 v[126:127], v71 offset:72
	v_lshrrev_b32_e32 v128, 16, v49
	v_lshrrev_b32_e32 v129, 16, v50
	v_dual_fmac_f32 v51, v57, v58 :: v_dual_and_b32 v98, 0xffff, v47
	v_and_b32_e32 v46, 0xffff, v46
	v_and_b32_e32 v44, 0xffff, v44
	v_dual_fmac_f32 v54, v92, v93 :: v_dual_fmac_f32 v55, v81, v107
	s_delay_alu instid0(VALU_DEP_4) | instskip(SKIP_2) | instid1(VALU_DEP_4)
	v_fmac_f32_e32 v51, v100, v102
	v_and_b32_e32 v42, 0xffff, v42
	v_lshrrev_b32_e32 v57, 16, v40
	v_fmac_f32_e32 v54, v88, v89
	v_dual_fmac_f32 v53, v52, v79 :: v_dual_and_b32 v40, 0xffff, v40
	v_fmac_f32_e32 v51, v84, v85
	s_waitcnt vmcnt(14)
	v_lshrrev_b32_e32 v81, 16, v34
	v_fmac_f32_e32 v54, v104, v106
	v_lshrrev_b32_e32 v104, 16, v38
	s_waitcnt lgkmcnt(0)
	v_and_b32_e32 v49, 0xffff, v126
	v_lshrrev_b32_e32 v50, 16, v126
	v_and_b32_e32 v117, 0xffff, v127
	v_lshrrev_b32_e32 v125, 16, v127
	;;#ASMSTART
	v_cvt_f32_f16 v120, v49;
	;;#ASMEND
	;;#ASMSTART
	v_cvt_f32_f16 v49, v50;
	;;#ASMEND
	;; [unrolled: 3-line block ×8, first 2 shown]
	ds_load_b64 v[126:127], v71 offset:80
	v_lshrrev_b32_e32 v128, 16, v47
	v_and_b32_e32 v129, 0xffff, v48
	v_fmac_f32_e32 v51, v78, v80
	v_dual_fmac_f32 v55, v120, v124 :: v_dual_and_b32 v38, 0xffff, v38
	v_dual_fmac_f32 v53, v49, v116 :: v_dual_fmac_f32 v54, v119, v122
	s_waitcnt vmcnt(13)
	v_lshrrev_b32_e32 v78, 16, v32
	v_fmac_f32_e32 v51, v50, v117
	s_delay_alu instid0(VALU_DEP_3) | instskip(NEXT) | instid1(VALU_DEP_1)
	v_fmac_f32_e32 v54, v108, v109
	v_fmac_f32_e32 v54, v123, v125
	s_waitcnt vmcnt(12)
	v_lshrrev_b32_e32 v123, 16, v30
	s_waitcnt lgkmcnt(0)
	v_and_b32_e32 v47, 0xffff, v126
	v_lshrrev_b32_e32 v48, 16, v126
	v_and_b32_e32 v113, 0xffff, v127
	v_lshrrev_b32_e32 v115, 16, v127
	;;#ASMSTART
	v_cvt_f32_f16 v112, v47;
	;;#ASMEND
	;;#ASMSTART
	v_cvt_f32_f16 v47, v48;
	;;#ASMEND
	;; [unrolled: 3-line block ×8, first 2 shown]
	ds_load_b64 v[126:127], v71 offset:88
	v_lshrrev_b32_e32 v128, 16, v45
	v_and_b32_e32 v45, 0xffff, v45
	v_dual_fmac_f32 v55, v112, v114 :: v_dual_and_b32 v36, 0xffff, v36
	v_fmac_f32_e32 v51, v98, v99
	v_fmac_f32_e32 v53, v47, v48
	s_waitcnt vmcnt(11)
	v_lshrrev_b32_e32 v47, 16, v28
	v_fmac_f32_e32 v54, v113, v115
	s_waitcnt lgkmcnt(0)
	v_and_b32_e32 v94, 0xffff, v126
	v_lshrrev_b32_e32 v95, 16, v126
	v_and_b32_e32 v97, 0xffff, v127
	v_lshrrev_b32_e32 v110, 16, v127
	;;#ASMSTART
	v_cvt_f32_f16 v94, v94;
	;;#ASMEND
	;;#ASMSTART
	v_cvt_f32_f16 v95, v95;
	;;#ASMEND
	;; [unrolled: 3-line block ×8, first 2 shown]
	ds_load_b64 v[45:46], v71 offset:96
	v_lshrrev_b32_e32 v128, 16, v43
	v_and_b32_e32 v43, 0xffff, v43
	v_dual_fmac_f32 v55, v94, v111 :: v_dual_and_b32 v34, 0xffff, v34
	v_fmac_f32_e32 v53, v95, v126
	s_waitcnt vmcnt(10)
	v_lshrrev_b32_e32 v94, 16, v26
	v_dual_fmac_f32 v54, v97, v127 :: v_dual_fmac_f32 v51, v110, v96
	s_waitcnt vmcnt(9)
	v_lshrrev_b32_e32 v96, 16, v24
	s_waitcnt lgkmcnt(0)
	v_and_b32_e32 v87, 0xffff, v45
	v_lshrrev_b32_e32 v45, 16, v45
	v_and_b32_e32 v90, 0xffff, v46
	v_lshrrev_b32_e32 v46, 16, v46
	;;#ASMSTART
	v_cvt_f32_f16 v87, v87;
	;;#ASMEND
	;;#ASMSTART
	v_cvt_f32_f16 v45, v45;
	;;#ASMEND
	;; [unrolled: 3-line block ×8, first 2 shown]
	ds_load_b64 v[43:44], v71 offset:104
	v_lshrrev_b32_e32 v128, 16, v41
	v_and_b32_e32 v41, 0xffff, v41
	v_dual_fmac_f32 v55, v87, v91 :: v_dual_and_b32 v32, 0xffff, v32
	v_fmac_f32_e32 v51, v46, v86
	v_dual_fmac_f32 v53, v45, v92 :: v_dual_fmac_f32 v54, v90, v93
	s_waitcnt vmcnt(8)
	v_lshrrev_b32_e32 v90, 16, v22
	s_waitcnt lgkmcnt(0)
	v_and_b32_e32 v59, 0xffff, v43
	v_lshrrev_b32_e32 v43, 16, v43
	v_lshrrev_b32_e32 v60, 16, v44
	v_and_b32_e32 v44, 0xffff, v44
	;;#ASMSTART
	v_cvt_f32_f16 v59, v59;
	;;#ASMEND
	;;#ASMSTART
	v_cvt_f32_f16 v43, v43;
	;;#ASMEND
	;; [unrolled: 3-line block ×8, first 2 shown]
	ds_load_b64 v[41:42], v71 offset:112
	v_lshrrev_b32_e32 v128, 16, v39
	v_and_b32_e32 v39, 0xffff, v39
	v_dual_fmac_f32 v53, v43, v88 :: v_dual_and_b32 v30, 0xffff, v30
	v_fmac_f32_e32 v55, v59, v62
	v_fmac_f32_e32 v51, v60, v61
	s_waitcnt vmcnt(7)
	v_lshrrev_b32_e32 v43, 16, v20
	v_fmac_f32_e32 v54, v44, v89
	s_waitcnt lgkmcnt(0)
	v_and_b32_e32 v58, 0xffff, v41
	v_lshrrev_b32_e32 v41, 16, v41
	v_lshrrev_b32_e32 v56, 16, v42
	v_and_b32_e32 v42, 0xffff, v42
	;;#ASMSTART
	v_cvt_f32_f16 v58, v58;
	;;#ASMEND
	;;#ASMSTART
	v_cvt_f32_f16 v41, v41;
	;;#ASMEND
	;; [unrolled: 3-line block ×8, first 2 shown]
	ds_load_b64 v[39:40], v71 offset:120
	v_lshrrev_b32_e32 v128, 16, v37
	v_and_b32_e32 v37, 0xffff, v37
	v_dual_fmac_f32 v55, v58, v101 :: v_dual_and_b32 v28, 0xffff, v28
	v_fmac_f32_e32 v53, v41, v103
	v_fmac_f32_e32 v51, v56, v57
	s_waitcnt vmcnt(6)
	v_lshrrev_b32_e32 v58, 16, v18
	v_fmac_f32_e32 v54, v42, v105
	s_waitcnt vmcnt(5)
	v_lshrrev_b32_e32 v56, 16, v16
	s_waitcnt lgkmcnt(0)
	v_and_b32_e32 v100, 0xffff, v39
	v_lshrrev_b32_e32 v39, 16, v39
	v_lshrrev_b32_e32 v102, 16, v40
	v_and_b32_e32 v40, 0xffff, v40
	;;#ASMSTART
	v_cvt_f32_f16 v100, v100;
	;;#ASMEND
	;;#ASMSTART
	v_cvt_f32_f16 v39, v39;
	;;#ASMEND
	;; [unrolled: 3-line block ×8, first 2 shown]
	ds_load_b64 v[37:38], v71 offset:128
	v_lshrrev_b32_e32 v128, 16, v35
	v_and_b32_e32 v35, 0xffff, v35
	v_dual_fmac_f32 v51, v102, v104 :: v_dual_and_b32 v26, 0xffff, v26
	v_dual_fmac_f32 v55, v100, v106 :: v_dual_and_b32 v24, 0xffff, v24
	v_dual_fmac_f32 v53, v39, v118 :: v_dual_fmac_f32 v54, v40, v121
	s_waitcnt vmcnt(4)
	v_lshrrev_b32_e32 v40, 16, v14
	s_waitcnt lgkmcnt(0)
	v_and_b32_e32 v83, 0xffff, v37
	v_lshrrev_b32_e32 v37, 16, v37
	v_lshrrev_b32_e32 v84, 16, v38
	v_and_b32_e32 v38, 0xffff, v38
	;;#ASMSTART
	v_cvt_f32_f16 v83, v83;
	;;#ASMEND
	;;#ASMSTART
	v_cvt_f32_f16 v37, v37;
	;;#ASMEND
	;; [unrolled: 3-line block ×8, first 2 shown]
	ds_load_b64 v[35:36], v71 offset:136
	v_lshrrev_b32_e32 v128, 16, v33
	v_and_b32_e32 v33, 0xffff, v33
	v_dual_fmac_f32 v55, v83, v85 :: v_dual_and_b32 v22, 0xffff, v22
	v_fmac_f32_e32 v53, v37, v119
	v_fmac_f32_e32 v51, v84, v82
	;; [unrolled: 1-line block ×3, first 2 shown]
	s_waitcnt vmcnt(3)
	v_lshrrev_b32_e32 v37, 16, v12
	s_waitcnt vmcnt(2)
	v_lshrrev_b32_e32 v119, 16, v9
	v_and_b32_e32 v9, 0xffff, v9
	v_lshrrev_b32_e32 v38, 16, v10
	s_waitcnt lgkmcnt(0)
	v_and_b32_e32 v52, 0xffff, v35
	v_lshrrev_b32_e32 v35, 16, v35
	v_lshrrev_b32_e32 v79, 16, v36
	v_and_b32_e32 v36, 0xffff, v36
	;;#ASMSTART
	v_cvt_f32_f16 v52, v52;
	;;#ASMEND
	;;#ASMSTART
	v_cvt_f32_f16 v35, v35;
	;;#ASMEND
	;; [unrolled: 3-line block ×8, first 2 shown]
	ds_load_b64 v[33:34], v71 offset:144
	v_lshrrev_b32_e32 v128, 16, v31
	v_and_b32_e32 v31, 0xffff, v31
	v_dual_fmac_f32 v55, v52, v107 :: v_dual_and_b32 v20, 0xffff, v20
	v_fmac_f32_e32 v51, v79, v81
	v_dual_fmac_f32 v53, v35, v108 :: v_dual_fmac_f32 v54, v36, v109
	s_waitcnt lgkmcnt(0)
	v_and_b32_e32 v80, 0xffff, v33
	v_lshrrev_b32_e32 v33, 16, v33
	v_lshrrev_b32_e32 v49, 16, v34
	v_and_b32_e32 v34, 0xffff, v34
	;;#ASMSTART
	v_cvt_f32_f16 v80, v80;
	;;#ASMEND
	;;#ASMSTART
	v_cvt_f32_f16 v33, v33;
	;;#ASMEND
	;; [unrolled: 3-line block ×8, first 2 shown]
	ds_load_b64 v[31:32], v71 offset:152
	v_lshrrev_b32_e32 v128, 16, v29
	v_and_b32_e32 v29, 0xffff, v29
	v_dual_fmac_f32 v55, v80, v116 :: v_dual_and_b32 v18, 0xffff, v18
	v_fmac_f32_e32 v53, v33, v120
	v_dual_fmac_f32 v51, v49, v78 :: v_dual_fmac_f32 v54, v34, v124
	s_waitcnt lgkmcnt(0)
	v_and_b32_e32 v50, 0xffff, v31
	v_lshrrev_b32_e32 v31, 16, v31
	v_lshrrev_b32_e32 v112, 16, v32
	v_and_b32_e32 v32, 0xffff, v32
	;;#ASMSTART
	v_cvt_f32_f16 v50, v50;
	;;#ASMEND
	;;#ASMSTART
	v_cvt_f32_f16 v31, v31;
	;;#ASMEND
	;; [unrolled: 3-line block ×8, first 2 shown]
	ds_load_b64 v[29:30], v71 offset:160
	v_lshrrev_b32_e32 v128, 16, v27
	v_and_b32_e32 v27, 0xffff, v27
	v_dual_fmac_f32 v55, v50, v114 :: v_dual_and_b32 v16, 0xffff, v16
	v_dual_fmac_f32 v53, v31, v117 :: v_dual_and_b32 v14, 0xffff, v14
	v_fmac_f32_e32 v51, v112, v123
	v_fmac_f32_e32 v54, v32, v125
	s_waitcnt vmcnt(1)
	v_lshrrev_b32_e32 v31, 16, v7
	v_and_b32_e32 v7, 0xffff, v7
	s_waitcnt lgkmcnt(0)
	v_and_b32_e32 v48, 0xffff, v29
	v_lshrrev_b32_e32 v29, 16, v29
	v_lshrrev_b32_e32 v98, 16, v30
	v_and_b32_e32 v30, 0xffff, v30
	;;#ASMSTART
	v_cvt_f32_f16 v48, v48;
	;;#ASMEND
	;;#ASMSTART
	v_cvt_f32_f16 v29, v29;
	;;#ASMEND
	;; [unrolled: 3-line block ×8, first 2 shown]
	ds_load_b64 v[27:28], v71 offset:168
	v_lshrrev_b32_e32 v128, 16, v25
	v_and_b32_e32 v25, 0xffff, v25
	v_fmac_f32_e32 v55, v48, v99
	v_dual_fmac_f32 v53, v29, v113 :: v_dual_and_b32 v12, 0xffff, v12
	v_fmac_f32_e32 v51, v98, v47
	v_fmac_f32_e32 v54, v30, v115
	s_waitcnt lgkmcnt(0)
	v_and_b32_e32 v95, 0xffff, v27
	v_lshrrev_b32_e32 v27, 16, v27
	v_lshrrev_b32_e32 v97, 16, v28
	v_and_b32_e32 v28, 0xffff, v28
	;;#ASMSTART
	v_cvt_f32_f16 v95, v95;
	;;#ASMEND
	;;#ASMSTART
	v_cvt_f32_f16 v27, v27;
	;;#ASMEND
	;; [unrolled: 3-line block ×8, first 2 shown]
	ds_load_b64 v[25:26], v71 offset:176
	v_lshrrev_b32_e32 v128, 16, v23
	v_and_b32_e32 v23, 0xffff, v23
	v_fmac_f32_e32 v55, v95, v111
	v_dual_fmac_f32 v54, v28, v127 :: v_dual_fmac_f32 v51, v97, v94
	s_waitcnt lgkmcnt(0)
	v_and_b32_e32 v87, 0xffff, v25
	v_lshrrev_b32_e32 v25, 16, v25
	v_lshrrev_b32_e32 v45, 16, v26
	v_and_b32_e32 v26, 0xffff, v26
	;;#ASMSTART
	v_cvt_f32_f16 v87, v87;
	;;#ASMEND
	;;#ASMSTART
	v_cvt_f32_f16 v25, v25;
	;;#ASMEND
	;; [unrolled: 3-line block ×8, first 2 shown]
	ds_load_b64 v[23:24], v71 offset:184
	v_lshrrev_b32_e32 v128, 16, v21
	v_and_b32_e32 v21, 0xffff, v21
	v_dual_fmac_f32 v55, v87, v91 :: v_dual_and_b32 v10, 0xffff, v10
	v_fmac_f32_e32 v54, v26, v110
	s_waitcnt lgkmcnt(0)
	v_and_b32_e32 v46, 0xffff, v23
	v_lshrrev_b32_e32 v23, 16, v23
	v_lshrrev_b32_e32 v59, 16, v24
	v_and_b32_e32 v24, 0xffff, v24
	;;#ASMSTART
	v_cvt_f32_f16 v46, v46;
	;;#ASMEND
	;;#ASMSTART
	v_cvt_f32_f16 v23, v23;
	;;#ASMEND
	;;#ASMSTART
	v_cvt_f32_f16 v62, v21;
	;;#ASMEND
	;;#ASMSTART
	v_cvt_f32_f16 v86, v128;
	;;#ASMEND
	;;#ASMSTART
	v_cvt_f32_f16 v24, v24;
	;;#ASMEND
	;;#ASMSTART
	v_cvt_f32_f16 v59, v59;
	;;#ASMEND
	;;#ASMSTART
	v_cvt_f32_f16 v93, v22;
	;;#ASMEND
	;;#ASMSTART
	v_cvt_f32_f16 v90, v90;
	;;#ASMEND
	ds_load_b64 v[21:22], v71 offset:192
	v_lshrrev_b32_e32 v128, 16, v19
	v_dual_fmac_f32 v54, v24, v93 :: v_dual_and_b32 v19, 0xffff, v19
	s_waitcnt lgkmcnt(0)
	v_dual_fmac_f32 v55, v46, v62 :: v_dual_and_b32 v44, 0xffff, v21
	v_lshrrev_b32_e32 v21, 16, v21
	v_lshrrev_b32_e32 v60, 16, v22
	v_and_b32_e32 v22, 0xffff, v22
	;;#ASMSTART
	v_cvt_f32_f16 v44, v44;
	;;#ASMEND
	;;#ASMSTART
	v_cvt_f32_f16 v21, v21;
	;;#ASMEND
	;; [unrolled: 3-line block ×8, first 2 shown]
	ds_load_b64 v[19:20], v71 offset:200
	v_lshrrev_b32_e32 v128, 16, v17
	v_and_b32_e32 v17, 0xffff, v17
	s_waitcnt lgkmcnt(0)
	v_dual_fmac_f32 v54, v22, v89 :: v_dual_and_b32 v41, 0xffff, v19
	v_lshrrev_b32_e32 v19, 16, v19
	v_lshrrev_b32_e32 v42, 16, v20
	v_and_b32_e32 v20, 0xffff, v20
	;;#ASMSTART
	v_cvt_f32_f16 v41, v41;
	;;#ASMEND
	;;#ASMSTART
	v_cvt_f32_f16 v19, v19;
	;;#ASMEND
	;;#ASMSTART
	v_cvt_f32_f16 v101, v17;
	;;#ASMEND
	;;#ASMSTART
	v_cvt_f32_f16 v103, v128;
	;;#ASMEND
	;;#ASMSTART
	v_cvt_f32_f16 v20, v20;
	;;#ASMEND
	;;#ASMSTART
	v_cvt_f32_f16 v42, v42;
	;;#ASMEND
	;;#ASMSTART
	v_cvt_f32_f16 v105, v18;
	;;#ASMEND
	;;#ASMSTART
	v_cvt_f32_f16 v58, v58;
	;;#ASMEND
	ds_load_b64 v[17:18], v71 offset:208
	v_lshrrev_b32_e32 v128, 16, v15
	v_dual_fmac_f32 v54, v20, v105 :: v_dual_and_b32 v15, 0xffff, v15
	s_waitcnt lgkmcnt(0)
	v_and_b32_e32 v57, 0xffff, v17
	v_lshrrev_b32_e32 v17, 16, v17
	v_lshrrev_b32_e32 v39, 16, v18
	v_and_b32_e32 v18, 0xffff, v18
	;;#ASMSTART
	v_cvt_f32_f16 v57, v57;
	;;#ASMEND
	;;#ASMSTART
	v_cvt_f32_f16 v17, v17;
	;;#ASMEND
	;;#ASMSTART
	v_cvt_f32_f16 v100, v15;
	;;#ASMEND
	;;#ASMSTART
	v_cvt_f32_f16 v106, v128;
	;;#ASMEND
	;;#ASMSTART
	v_cvt_f32_f16 v18, v18;
	;;#ASMEND
	;;#ASMSTART
	v_cvt_f32_f16 v39, v39;
	;;#ASMEND
	;;#ASMSTART
	v_cvt_f32_f16 v118, v16;
	;;#ASMEND
	;;#ASMSTART
	v_cvt_f32_f16 v56, v56;
	;;#ASMEND
	ds_load_b64 v[15:16], v71 offset:216
	v_lshrrev_b32_e32 v128, 16, v13
	v_dual_fmac_f32 v54, v18, v118 :: v_dual_and_b32 v13, 0xffff, v13
	s_waitcnt lgkmcnt(0)
	v_and_b32_e32 v102, 0xffff, v15
	;; [unrolled: 32-line block ×3, first 2 shown]
	v_lshrrev_b32_e32 v13, 16, v13
	v_lshrrev_b32_e32 v36, 16, v14
	v_and_b32_e32 v14, 0xffff, v14
	;;#ASMSTART
	v_cvt_f32_f16 v35, v35;
	;;#ASMEND
	;;#ASMSTART
	v_cvt_f32_f16 v13, v13;
	;;#ASMEND
	;; [unrolled: 3-line block ×8, first 2 shown]
	ds_load_b64 v[11:12], v71 offset:232
	v_dual_fmac_f32 v53, v27, v126 :: v_dual_fmac_f32 v54, v14, v80
	s_delay_alu instid0(VALU_DEP_1)
	v_fmac_f32_e32 v53, v25, v92
	s_waitcnt lgkmcnt(0)
	v_and_b32_e32 v27, 0xffff, v11
	v_lshrrev_b32_e32 v11, 16, v11
	v_lshrrev_b32_e32 v25, 16, v12
	v_and_b32_e32 v12, 0xffff, v12
	;;#ASMSTART
	v_cvt_f32_f16 v27, v27;
	;;#ASMEND
	;;#ASMSTART
	v_cvt_f32_f16 v11, v11;
	;;#ASMEND
	;; [unrolled: 3-line block ×8, first 2 shown]
	ds_load_b64 v[9:10], v71 offset:240
	v_fmac_f32_e32 v54, v12, v30
	s_waitcnt lgkmcnt(0)
	v_lshrrev_b32_e32 v18, 16, v10
	v_and_b32_e32 v10, 0xffff, v10
	v_fmac_f32_e32 v53, v23, v86
	v_lshrrev_b32_e32 v23, 16, v8
	v_and_b32_e32 v8, 0xffff, v8
	v_fmac_f32_e32 v51, v45, v96
	s_delay_alu instid0(VALU_DEP_4) | instskip(NEXT) | instid1(VALU_DEP_2)
	v_fmac_f32_e32 v53, v21, v88
	v_fmac_f32_e32 v51, v59, v90
	s_delay_alu instid0(VALU_DEP_2)
	v_fmac_f32_e32 v53, v19, v103
	s_waitcnt vmcnt(0)
	v_lshrrev_b32_e32 v19, 16, v3
	v_and_b32_e32 v3, 0xffff, v3
	v_fmac_f32_e32 v51, v60, v43
	v_fmac_f32_e32 v53, v17, v106
	v_and_b32_e32 v17, 0xffff, v9
	v_lshrrev_b32_e32 v9, 16, v9
	;;#ASMSTART
	v_cvt_f32_f16 v17, v17;
	;;#ASMEND
	;;#ASMSTART
	v_cvt_f32_f16 v9, v9;
	;;#ASMEND
	v_fmac_f32_e32 v53, v15, v104
	;;#ASMSTART
	v_cvt_f32_f16 v20, v7;
	;;#ASMEND
	;;#ASMSTART
	v_cvt_f32_f16 v21, v31;
	;;#ASMEND
	;; [unrolled: 3-line block ×4, first 2 shown]
	v_fmac_f32_e32 v53, v13, v79
	v_lshrrev_b32_e32 v13, 16, v4
	v_dual_fmac_f32 v55, v44, v61 :: v_dual_and_b32 v4, 0xffff, v4
	;;#ASMSTART
	v_cvt_f32_f16 v22, v8;
	;;#ASMEND
	;;#ASMSTART
	v_cvt_f32_f16 v23, v23;
	;;#ASMEND
	ds_load_b64 v[7:8], v71 offset:248
	v_fmac_f32_e32 v51, v42, v58
	v_fmac_f32_e32 v55, v41, v101
	v_dual_fmac_f32 v53, v11, v29 :: v_dual_fmac_f32 v54, v10, v22
	s_delay_alu instid0(VALU_DEP_3) | instskip(NEXT) | instid1(VALU_DEP_3)
	v_fmac_f32_e32 v51, v39, v56
	v_fmac_f32_e32 v55, v57, v100
	s_delay_alu instid0(VALU_DEP_3) | instskip(NEXT) | instid1(VALU_DEP_3)
	v_fmac_f32_e32 v53, v9, v21
	v_fmac_f32_e32 v51, v83, v40
	s_delay_alu instid0(VALU_DEP_3) | instskip(NEXT) | instid1(VALU_DEP_2)
	v_fmac_f32_e32 v55, v85, v102
	v_fmac_f32_e32 v51, v36, v37
	s_delay_alu instid0(VALU_DEP_2) | instskip(SKIP_3) | instid1(VALU_DEP_3)
	v_fmac_f32_e32 v55, v35, v52
	s_waitcnt lgkmcnt(0)
	v_and_b32_e32 v9, 0xffff, v7
	v_lshrrev_b32_e32 v7, 16, v7
	v_fmac_f32_e32 v55, v27, v28
	v_fmac_f32_e32 v51, v25, v32
	;;#ASMSTART
	v_cvt_f32_f16 v9, v9;
	;;#ASMEND
	;;#ASMSTART
	v_cvt_f32_f16 v7, v7;
	;;#ASMEND
	;; [unrolled: 3-line block ×3, first 2 shown]
	v_fmac_f32_e32 v55, v17, v20
	;;#ASMSTART
	v_cvt_f32_f16 v11, v19;
	;;#ASMEND
	v_fmac_f32_e32 v53, v7, v11
	v_lshrrev_b32_e32 v10, 16, v8
	s_delay_alu instid0(VALU_DEP_3)
	v_dual_fmac_f32 v55, v9, v3 :: v_dual_and_b32 v8, 0xffff, v8
	;;#ASMSTART
	v_cvt_f32_f16 v3, v8;
	;;#ASMEND
	v_fmac_f32_e32 v51, v18, v23
	;;#ASMSTART
	v_cvt_f32_f16 v7, v10;
	;;#ASMEND
	;;#ASMSTART
	v_cvt_f32_f16 v4, v4;
	;;#ASMEND
	v_fmac_f32_e32 v54, v3, v4
	v_add_f32_e32 v3, v55, v53
	;;#ASMSTART
	v_cvt_f32_f16 v4, v13;
	;;#ASMEND
	v_fmac_f32_e32 v51, v7, v4
	v_cndmask_b32_e64 v4, v68, v76, s1
	s_delay_alu instid0(VALU_DEP_1) | instskip(NEXT) | instid1(VALU_DEP_1)
	v_dual_add_f32 v3, v3, v54 :: v_dual_lshlrev_b32 v4, 2, v4
	v_add_f32_e32 v3, v51, v3
	ds_bpermute_b32 v4, v4, v3
	s_and_saveexec_b32 s4, vcc_lo
	s_cbranch_execz .LBB109_9
; %bb.11:                               ;   in Loop: Header=BB109_10 Depth=1
	s_waitcnt lgkmcnt(0)
	v_add_f32_e32 v3, v3, v4
	v_add_nc_u32_e32 v7, s7, v72
	v_cmp_gt_i32_e64 s1, s30, v72
	s_delay_alu instid0(VALU_DEP_2) | instskip(NEXT) | instid1(VALU_DEP_1)
	v_cvt_f32_i32_e32 v7, v7
	v_mul_f32_e32 v7, s33, v7
	s_delay_alu instid0(VALU_DEP_1) | instskip(NEXT) | instid1(VALU_DEP_1)
	v_cndmask_b32_e64 v4, 0, v7, s0
	v_dual_max_f32 v7, v70, v70 :: v_dual_fmac_f32 v4, s29, v3
	s_delay_alu instid0(VALU_DEP_1) | instskip(SKIP_1) | instid1(VALU_DEP_2)
	v_max_f32_e32 v3, v7, v4
	v_cndmask_b32_e64 v4, 0, v4, s1
	v_cndmask_b32_e64 v70, v70, v3, s1
	ds_store_b32 v73, v4
	s_branch .LBB109_9
.LBB109_12:
	s_or_b32 exec_lo, exec_lo, s35
.LBB109_13:
	s_delay_alu instid0(SALU_CYCLE_1) | instskip(SKIP_4) | instid1(VALU_DEP_4)
	s_or_b32 exec_lo, exec_lo, s34
	v_xor_b32_e32 v1, 16, v68
	v_xor_b32_e32 v2, 8, v68
	v_dual_max_f32 v7, v70, v70 :: v_dual_and_b32 v10, 31, v0
	v_lshlrev_b32_e32 v9, 2, v65
	v_cmp_lt_i32_e32 vcc_lo, v1, v69
	v_cndmask_b32_e32 v1, v68, v1, vcc_lo
	v_cmp_lt_i32_e32 vcc_lo, v2, v69
	v_cndmask_b32_e32 v2, v68, v2, vcc_lo
	s_waitcnt lgkmcnt(0)
	s_delay_alu instid0(VALU_DEP_1) | instskip(SKIP_4) | instid1(VALU_DEP_1)
	v_lshlrev_b32_e32 v4, 2, v2
	v_lshlrev_b32_e32 v3, 2, v1
	ds_bpermute_b32 v1, v3, v70
	s_waitcnt lgkmcnt(0)
	v_max_f32_e32 v1, v1, v1
	v_max_f32_e32 v1, v7, v1
	v_xor_b32_e32 v7, 4, v68
	s_delay_alu instid0(VALU_DEP_1) | instskip(SKIP_1) | instid1(VALU_DEP_1)
	v_cmp_lt_i32_e32 vcc_lo, v7, v69
	v_cndmask_b32_e32 v7, v68, v7, vcc_lo
	v_lshlrev_b32_e32 v8, 2, v7
	ds_bpermute_b32 v2, v4, v1
	v_xor_b32_e32 v7, 2, v68
	s_delay_alu instid0(VALU_DEP_1) | instskip(SKIP_4) | instid1(VALU_DEP_1)
	v_cmp_lt_i32_e32 vcc_lo, v7, v69
	v_cndmask_b32_e32 v7, v68, v7, vcc_lo
	v_cmp_eq_u32_e32 vcc_lo, 0, v10
	s_waitcnt lgkmcnt(0)
	v_max_f32_e32 v2, v2, v2
	v_max_f32_e32 v1, v1, v2
	ds_bpermute_b32 v2, v8, v1
	s_waitcnt lgkmcnt(0)
	v_max_f32_e32 v2, v2, v2
	s_delay_alu instid0(VALU_DEP_1)
	v_dual_max_f32 v1, v1, v2 :: v_dual_lshlrev_b32 v2, 2, v7
	ds_bpermute_b32 v7, v2, v1
	s_and_saveexec_b32 s0, vcc_lo
	s_cbranch_execz .LBB109_15
; %bb.14:
	s_waitcnt lgkmcnt(0)
	v_max_f32_e32 v7, v7, v7
	v_max_f32_e32 v1, v1, v1
	s_delay_alu instid0(VALU_DEP_1)
	v_max_f32_e32 v1, v1, v7
	ds_store_b32 v9, v1 offset:512
.LBB109_15:
	s_or_b32 exec_lo, exec_lo, s0
	v_cmp_gt_u32_e64 s0, 4, v10
	v_dual_mov_b32 v1, 0xff7fffff :: v_dual_lshlrev_b32 v12, 2, v10
	s_waitcnt lgkmcnt(0)
	s_barrier
	buffer_gl0_inv
	s_and_saveexec_b32 s1, s0
	s_cbranch_execz .LBB109_17
; %bb.16:
	ds_load_b32 v1, v12 offset:512
.LBB109_17:
	s_or_b32 exec_lo, exec_lo, s1
	s_waitcnt lgkmcnt(0)
	ds_bpermute_b32 v7, v2, v1
	v_xor_b32_e32 v11, 1, v68
	v_dual_max_f32 v1, v1, v1 :: v_dual_mov_b32 v14, 0
	v_lshlrev_b32_e32 v13, 2, v68
	s_delay_alu instid0(VALU_DEP_3) | instskip(NEXT) | instid1(VALU_DEP_2)
	v_cmp_lt_i32_e64 s1, v11, v69
	v_and_b32_e32 v13, 0xffffff80, v13
	s_delay_alu instid0(VALU_DEP_2) | instskip(SKIP_1) | instid1(SALU_CYCLE_1)
	v_cndmask_b32_e64 v11, v68, v11, s1
	s_sub_i32 s1, s21, s15
	s_lshl_b32 s1, s1, 4
	s_delay_alu instid0(VALU_DEP_1) | instskip(SKIP_1) | instid1(SALU_CYCLE_1)
	v_lshlrev_b32_e32 v11, 2, v11
	s_add_i32 s1, s1, s31
	s_min_i32 s1, s1, s30
	s_waitcnt lgkmcnt(0)
	v_max_f32_e32 v7, v7, v7
	s_sub_i32 s7, s1, s31
	s_delay_alu instid0(SALU_CYCLE_1) | instskip(NEXT) | instid1(VALU_DEP_2)
	v_cmp_gt_i32_e64 s1, s7, v0
	v_max_f32_e32 v1, v1, v7
	ds_bpermute_b32 v7, v11, v1
	s_waitcnt lgkmcnt(0)
	v_max_f32_e32 v7, v7, v7
	s_delay_alu instid0(VALU_DEP_1)
	v_max_f32_e32 v1, v1, v7
	v_lshl_add_u32 v7, v0, 2, 0x220
	ds_bpermute_b32 v1, v13, v1
	s_and_saveexec_b32 s15, s1
	s_cbranch_execz .LBB109_21
; %bb.18:
	v_lshl_add_u32 v15, v0, 2, 0x220
	v_mov_b32_e32 v14, 0
	v_mov_b32_e32 v16, v0
	s_mov_b32 s29, 0
	.p2align	6
.LBB109_19:                             ; =>This Inner Loop Header: Depth=1
	ds_load_b32 v17, v15
	v_add_nc_u32_e32 v16, 0x80, v16
	s_delay_alu instid0(VALU_DEP_1) | instskip(NEXT) | instid1(VALU_DEP_1)
	v_cmp_le_i32_e64 s4, s7, v16
	s_or_b32 s29, s4, s29
	s_waitcnt lgkmcnt(0)
	v_sub_f32_e32 v17, v17, v1
	s_delay_alu instid0(VALU_DEP_1) | instskip(NEXT) | instid1(VALU_DEP_1)
	v_mul_f32_e32 v17, 0x3fb8aa3b, v17
	v_exp_f32_e32 v17, v17
	ds_store_b32 v15, v17
	v_dual_add_f32 v14, v14, v17 :: v_dual_add_nc_u32 v15, 0x200, v15
	s_and_not1_b32 exec_lo, exec_lo, s29
	s_cbranch_execnz .LBB109_19
; %bb.20:
	s_or_b32 exec_lo, exec_lo, s29
.LBB109_21:
	s_delay_alu instid0(SALU_CYCLE_1)
	s_or_b32 exec_lo, exec_lo, s15
	ds_bpermute_b32 v3, v3, v14
	s_waitcnt lgkmcnt(0)
	v_add_f32_e32 v3, v14, v3
	ds_bpermute_b32 v4, v4, v3
	s_waitcnt lgkmcnt(0)
	v_add_f32_e32 v3, v3, v4
	;; [unrolled: 3-line block ×5, first 2 shown]
	s_and_saveexec_b32 s4, vcc_lo
	s_cbranch_execz .LBB109_23
; %bb.22:
	ds_store_b32 v9, v3 offset:528
.LBB109_23:
	s_or_b32 exec_lo, exec_lo, s4
	s_waitcnt lgkmcnt(0)
	s_barrier
	buffer_gl0_inv
	s_and_saveexec_b32 s4, s0
	s_cbranch_execz .LBB109_25
; %bb.24:
	ds_load_b32 v3, v12 offset:528
.LBB109_25:
	s_or_b32 exec_lo, exec_lo, s4
	s_waitcnt lgkmcnt(0)
	ds_bpermute_b32 v2, v2, v3
	s_waitcnt lgkmcnt(0)
	v_add_f32_e32 v2, v3, v2
	ds_bpermute_b32 v3, v11, v2
	s_waitcnt lgkmcnt(0)
	v_add_f32_e32 v2, v2, v3
	ds_bpermute_b32 v2, v13, v2
	s_and_saveexec_b32 s0, s1
	s_cbranch_execz .LBB109_28
; %bb.26:
	s_waitcnt lgkmcnt(0)
	v_add_f32_e32 v3, 0x358637bd, v2
	s_mov_b32 s1, 0
	s_delay_alu instid0(VALU_DEP_1) | instskip(NEXT) | instid1(VALU_DEP_1)
	v_div_scale_f32 v4, null, v3, v3, 1.0
	v_rcp_f32_e32 v8, v4
	s_waitcnt_depctr 0xfff
	v_fma_f32 v9, -v4, v8, 1.0
	s_delay_alu instid0(VALU_DEP_1) | instskip(SKIP_1) | instid1(VALU_DEP_1)
	v_fmac_f32_e32 v8, v9, v8
	v_div_scale_f32 v12, vcc_lo, 1.0, v3, 1.0
	v_mul_f32_e32 v9, v12, v8
	s_delay_alu instid0(VALU_DEP_1) | instskip(NEXT) | instid1(VALU_DEP_1)
	v_fma_f32 v13, -v4, v9, v12
	v_fmac_f32_e32 v9, v13, v8
	s_delay_alu instid0(VALU_DEP_1) | instskip(NEXT) | instid1(VALU_DEP_1)
	v_fma_f32 v4, -v4, v9, v12
	v_div_fmas_f32 v4, v4, v8, v9
	s_delay_alu instid0(VALU_DEP_1)
	v_div_fixup_f32 v3, v4, v3, 1.0
	v_mov_b32_e32 v4, v0
.LBB109_27:                             ; =>This Inner Loop Header: Depth=1
	ds_load_b32 v8, v7
	v_add_nc_u32_e32 v4, 0x80, v4
	s_delay_alu instid0(VALU_DEP_1)
	v_cmp_le_i32_e32 vcc_lo, s7, v4
	s_or_b32 s1, vcc_lo, s1
	s_waitcnt lgkmcnt(0)
	v_mul_f32_e32 v8, v3, v8
	ds_store_b32 v7, v8
	v_add_nc_u32_e32 v7, 0x200, v7
	s_and_not1_b32 exec_lo, exec_lo, s1
	s_cbranch_execnz .LBB109_27
.LBB109_28:
	s_or_b32 exec_lo, exec_lo, s0
	s_mul_i32 s0, s17, s14
	s_waitcnt lgkmcnt(0)
	s_mul_i32 s14, s0, s13
	s_mov_b32 s0, exec_lo
	s_barrier
	buffer_gl0_inv
	v_cmpx_eq_u32_e32 0, v0
	s_cbranch_execz .LBB109_30
; %bb.29:
	s_ashr_i32 s15, s14, 31
	s_mul_i32 s36, s17, s20
	s_lshl_b64 s[34:35], s[14:15], 2
	v_mov_b32_e32 v3, 0
	s_add_u32 s1, s10, s34
	s_addc_u32 s4, s11, s35
	s_ashr_i32 s37, s36, 31
	s_delay_alu instid0(SALU_CYCLE_1) | instskip(NEXT) | instid1(SALU_CYCLE_1)
	s_lshl_b64 s[10:11], s[36:37], 2
	s_add_u32 s1, s1, s10
	s_addc_u32 s4, s4, s11
	s_ashr_i32 s13, s12, 31
	s_delay_alu instid0(SALU_CYCLE_1) | instskip(NEXT) | instid1(SALU_CYCLE_1)
	s_lshl_b64 s[36:37], s[12:13], 2
	s_add_u32 s38, s1, s36
	s_addc_u32 s39, s4, s37
	s_add_u32 s1, s8, s34
	s_addc_u32 s4, s9, s35
	;; [unrolled: 2-line block ×4, first 2 shown]
	s_clause 0x1
	global_store_b32 v3, v1, s[38:39]
	global_store_b32 v3, v2, s[8:9]
.LBB109_30:
	s_or_b32 exec_lo, exec_lo, s0
	v_dual_mov_b32 v26, 0 :: v_dual_mov_b32 v27, 0
	v_dual_mov_b32 v25, 0 :: v_dual_mov_b32 v24, 0
	;; [unrolled: 1-line block ×8, first 2 shown]
	s_and_saveexec_b32 s1, s3
	s_cbranch_execz .LBB109_66
; %bb.31:
	v_and_b32_e32 v3, 0xf8, v66
	v_dual_mov_b32 v12, 0 :: v_dual_and_b32 v1, 8, v66
	v_lshlrev_b32_e32 v2, 5, v64
	s_ashr_i32 s7, s6, 31
	s_delay_alu instid0(VALU_DEP_3)
	v_or_b32_e32 v14, 0xc00, v3
	s_mov_b32 s3, s5
	s_lshl_b64 s[4:5], s[6:7], 1
	v_add3_u32 v28, s31, v67, v1
	s_add_u32 s4, s26, s4
	v_dual_mov_b32 v22, 0 :: v_dual_lshlrev_b32 v35, 1, v14
	v_mov_b32_e32 v14, 0
	v_or_b32_e32 v13, 0xb00, v3
	s_addc_u32 s5, s27, s5
	s_lshl_b64 s[24:25], s[24:25], 2
	s_add_i32 s28, s28, -1
	v_or_b32_e32 v4, 0x800, v3
	v_dual_mov_b32 v19, 0 :: v_dual_lshlrev_b32 v34, 1, v13
	v_mov_b32_e32 v13, 0
	v_lshl_or_b32 v7, v65, 6, v2
	v_lshlrev_b64 v[1:2], 2, v[5:6]
	v_or_b32_e32 v8, 0x900, v3
	v_or_b32_e32 v9, 0xa00, v3
	;; [unrolled: 1-line block ×5, first 2 shown]
	s_add_u32 s0, s22, s24
	s_addc_u32 s11, s23, s25
	v_add_co_u32 v6, vcc_lo, s0, v1
	v_add_nc_u32_e32 v29, 0x220, v7
	v_add_co_ci_u32_e32 v7, vcc_lo, s11, v2, vcc_lo
	v_lshlrev_b32_e32 v30, 1, v3
	v_dual_mov_b32 v18, 0 :: v_dual_lshlrev_b32 v31, 1, v4
	v_lshlrev_b32_e32 v32, 1, v8
	v_dual_mov_b32 v20, 0 :: v_dual_lshlrev_b32 v33, 1, v9
	v_dual_mov_b32 v21, 0 :: v_dual_lshlrev_b32 v36, 1, v15
	;; [unrolled: 1-line block ×4, first 2 shown]
	v_dual_mov_b32 v15, 0 :: v_dual_mov_b32 v16, 0
	v_mov_b32_e32 v17, 0
	v_dual_mov_b32 v25, 0 :: v_dual_mov_b32 v26, 0
	v_mov_b32_e32 v27, 0
	s_mov_b32 s6, s30
	s_mov_b32 s7, s30
	;; [unrolled: 1-line block ×8, first 2 shown]
	s_branch .LBB109_33
.LBB109_32:                             ;   in Loop: Header=BB109_33 Depth=1
	s_or_b32 exec_lo, exec_lo, s0
	v_dual_add_f32 v39, v52, v53 :: v_dual_add_f32 v40, v79, v80
	s_waitcnt vmcnt(0)
	;;#ASMSTART
	v_pk_mul_f16 v1, v46, v1;

	;;#ASMEND
	;;#ASMSTART
	v_pk_mul_f16 v2, v44, v2;

	;;#ASMEND
	;; [unrolled: 4-line block ×4, first 2 shown]
	;;#ASMSTART
	v_pk_add_f16 v1, v1, v2;

	;;#ASMEND
	;;#ASMSTART
	v_pk_add_f16 v1, v1, v3;

	;;#ASMEND
	v_dual_add_f32 v8, v8, v9 :: v_dual_add_f32 v9, v67, v68
	;;#ASMSTART
	v_pk_add_f16 v1, v1, v4;

	;;#ASMEND
	v_dual_add_f32 v3, v56, v57 :: v_dual_add_f32 v4, v54, v55
	v_dual_add_f32 v48, v75, v76 :: v_dual_add_f32 v13, v13, v39
	;; [unrolled: 1-line block ×4, first 2 shown]
	v_add_f32_e32 v42, v77, v78
	v_dual_add_f32 v27, v27, v4 :: v_dual_and_b32 v2, 0xffff, v1
	v_lshrrev_b32_e32 v1, 16, v1
	;;#ASMSTART
	v_cvt_f32_f16 v2, v2;
	;;#ASMEND
	;;#ASMSTART
	v_cvt_f32_f16 v1, v1;
	;;#ASMEND
	s_delay_alu instid0(VALU_DEP_1)
	v_dual_add_f32 v20, v20, v8 :: v_dual_add_f32 v1, v2, v1
	v_dual_add_f32 v8, v45, v47 :: v_dual_add_nc_u32 v5, 4, v5
	v_dual_add_f32 v17, v17, v39 :: v_dual_add_f32 v18, v18, v40
	v_add_f32_e32 v19, v19, v49
	v_dual_add_f32 v15, v15, v42 :: v_dual_add_f32 v16, v16, v48
	v_dual_add_f32 v39, v62, v66 :: v_dual_add_f32 v40, v60, v61
	;; [unrolled: 1-line block ×3, first 2 shown]
	v_cmp_le_i32_e32 vcc_lo, s21, v5
	v_add_co_u32 v6, s0, v6, 16
	s_delay_alu instid0(VALU_DEP_4) | instskip(NEXT) | instid1(VALU_DEP_4)
	v_dual_add_f32 v22, v22, v39 :: v_dual_add_f32 v23, v23, v40
	v_dual_add_f32 v24, v24, v42 :: v_dual_add_f32 v25, v25, v3
	v_dual_add_f32 v26, v26, v8 :: v_dual_add_nc_u32 v29, 0x100, v29
	v_add_f32_e32 v12, v12, v1
	v_add_nc_u32_e32 v28, 64, v28
	v_add_co_ci_u32_e64 v7, s0, 0, v7, s0
	s_or_b32 s13, vcc_lo, s13
	s_delay_alu instid0(SALU_CYCLE_1)
	s_and_not1_b32 exec_lo, exec_lo, s13
	s_cbranch_execz .LBB109_65
.LBB109_33:                             ; =>This Inner Loop Header: Depth=1
	global_load_b32 v39, v[6:7], off
	ds_load_2addr_b64 v[1:4], v29 offset1:1
	ds_load_2addr_b64 v[46:49], v29 offset0:2 offset1:3
	s_waitcnt lgkmcnt(1)
	;;#ASMSTART
	v_cvt_f16_f32 v44, v1;

	;;#ASMEND
	;;#ASMSTART
	v_cvt_f16_f32 v41, v2;

	;;#ASMEND
	;;#ASMSTART
	v_cvt_f16_f32 v45, v3;

	;;#ASMEND
	;;#ASMSTART
	v_cvt_f16_f32 v43, v4;

	;;#ASMEND
	s_waitcnt lgkmcnt(0)
	;;#ASMSTART
	v_cvt_f16_f32 v46, v46;

	;;#ASMEND
	;;#ASMSTART
	v_cvt_f16_f32 v47, v47;

	;;#ASMEND
	;; [unrolled: 4-line block ×4, first 2 shown]
	v_or_b32_e32 v42, 3, v28
	v_or_b32_e32 v40, 2, v28
	;; [unrolled: 1-line block ×6, first 2 shown]
	s_waitcnt vmcnt(0)
	v_mad_i64_i32 v[8:9], null, v39, s3, 0
	v_add_nc_u32_e32 v39, 1, v28
	s_delay_alu instid0(VALU_DEP_2) | instskip(NEXT) | instid1(VALU_DEP_1)
	v_lshlrev_b64 v[8:9], 1, v[8:9]
	v_add_co_u32 v52, vcc_lo, s4, v8
	s_delay_alu instid0(VALU_DEP_2) | instskip(NEXT) | instid1(VALU_DEP_2)
	v_add_co_ci_u32_e32 v53, vcc_lo, s5, v9, vcc_lo
	v_add_co_u32 v8, vcc_lo, v52, v30
	s_delay_alu instid0(VALU_DEP_2)
	v_add_co_ci_u32_e32 v9, vcc_lo, 0, v53, vcc_lo
	v_cmp_eq_u32_e32 vcc_lo, s28, v5
	global_load_b128 v[1:4], v[8:9], off
	s_and_saveexec_b32 s20, vcc_lo
	s_cbranch_execz .LBB109_35
; %bb.34:                               ;   in Loop: Header=BB109_33 Depth=1
	v_cmp_gt_i32_e64 s0, s11, v51
	s_waitcnt vmcnt(0)
	v_lshrrev_b32_e32 v56, 16, v4
	v_lshrrev_b32_e32 v57, 16, v3
	v_lshrrev_b32_e32 v58, 16, v2
	v_lshrrev_b32_e32 v59, 16, v1
	v_cndmask_b32_e64 v4, 0, v4, s0
	v_cmp_gt_i32_e64 s0, s15, v50
	s_delay_alu instid0(VALU_DEP_1) | instskip(SKIP_1) | instid1(VALU_DEP_2)
	v_cndmask_b32_e64 v56, 0, v56, s0
	v_cmp_gt_i32_e64 s0, s10, v49
	v_perm_b32 v4, v56, v4, 0x5040100
	s_delay_alu instid0(VALU_DEP_2) | instskip(SKIP_1) | instid1(VALU_DEP_1)
	v_cndmask_b32_e64 v57, 0, v57, s0
	v_cmp_gt_i32_e64 s0, s9, v48
	v_cndmask_b32_e64 v3, 0, v3, s0
	v_cmp_gt_i32_e64 s0, s8, v42
	s_delay_alu instid0(VALU_DEP_2) | instskip(NEXT) | instid1(VALU_DEP_2)
	v_perm_b32 v3, v57, v3, 0x5040100
	v_cndmask_b32_e64 v58, 0, v58, s0
	v_cmp_gt_i32_e64 s0, s7, v40
	s_delay_alu instid0(VALU_DEP_1) | instskip(SKIP_1) | instid1(VALU_DEP_2)
	v_cndmask_b32_e64 v2, 0, v2, s0
	v_cmp_gt_i32_e64 s0, s6, v39
	v_perm_b32 v2, v58, v2, 0x5040100
	s_delay_alu instid0(VALU_DEP_2) | instskip(SKIP_1) | instid1(VALU_DEP_1)
	v_cndmask_b32_e64 v59, 0, v59, s0
	v_cmp_gt_i32_e64 s0, s30, v28
	v_cndmask_b32_e64 v1, 0, v1, s0
	s_delay_alu instid0(VALU_DEP_1)
	v_perm_b32 v1, v59, v1, 0x5040100
.LBB109_35:                             ;   in Loop: Header=BB109_33 Depth=1
	s_or_b32 exec_lo, exec_lo, s20
	v_and_b32_e32 v44, 0xffff, v44
	v_and_b32_e32 v45, 0xffff, v45
	;; [unrolled: 1-line block ×4, first 2 shown]
	s_delay_alu instid0(VALU_DEP_4)
	v_lshl_or_b32 v46, v41, 16, v44
	s_waitcnt vmcnt(0)
	;;#ASMSTART
	v_pk_mul_f16 v1, v46, v1;

	;;#ASMEND
	v_lshl_or_b32 v44, v43, 16, v45
	v_lshl_or_b32 v43, v47, 16, v56
	;; [unrolled: 1-line block ×3, first 2 shown]
	;;#ASMSTART
	v_pk_mul_f16 v2, v44, v2;

	;;#ASMEND
	;;#ASMSTART
	v_pk_mul_f16 v3, v43, v3;

	;;#ASMEND
	;; [unrolled: 4-line block ×3, first 2 shown]
	;;#ASMSTART
	v_pk_add_f16 v1, v1, v2;

	;;#ASMEND
	;;#ASMSTART
	v_pk_add_f16 v1, v1, v3;

	;;#ASMEND
	;; [unrolled: 4-line block ×3, first 2 shown]
	v_and_b32_e32 v2, 0xffff, v1
	v_lshrrev_b32_e32 v1, 16, v1
	;;#ASMSTART
	v_cvt_f32_f16 v45, v2;
	;;#ASMEND
	;;#ASMSTART
	v_cvt_f32_f16 v47, v1;
	;;#ASMEND
	global_load_b128 v[1:4], v[8:9], off offset:512
	s_and_saveexec_b32 s20, vcc_lo
	s_cbranch_execz .LBB109_37
; %bb.36:                               ;   in Loop: Header=BB109_33 Depth=1
	v_cmp_gt_i32_e64 s0, s11, v51
	s_waitcnt vmcnt(0)
	v_lshrrev_b32_e32 v54, 16, v4
	v_lshrrev_b32_e32 v55, 16, v3
	;; [unrolled: 1-line block ×4, first 2 shown]
	v_cndmask_b32_e64 v4, 0, v4, s0
	v_cmp_gt_i32_e64 s0, s15, v50
	s_delay_alu instid0(VALU_DEP_1) | instskip(SKIP_1) | instid1(VALU_DEP_2)
	v_cndmask_b32_e64 v54, 0, v54, s0
	v_cmp_gt_i32_e64 s0, s10, v49
	v_perm_b32 v4, v54, v4, 0x5040100
	s_delay_alu instid0(VALU_DEP_2) | instskip(SKIP_1) | instid1(VALU_DEP_1)
	v_cndmask_b32_e64 v55, 0, v55, s0
	v_cmp_gt_i32_e64 s0, s9, v48
	v_cndmask_b32_e64 v3, 0, v3, s0
	v_cmp_gt_i32_e64 s0, s8, v42
	s_delay_alu instid0(VALU_DEP_2) | instskip(NEXT) | instid1(VALU_DEP_2)
	v_perm_b32 v3, v55, v3, 0x5040100
	v_cndmask_b32_e64 v56, 0, v56, s0
	v_cmp_gt_i32_e64 s0, s7, v40
	s_delay_alu instid0(VALU_DEP_1) | instskip(SKIP_1) | instid1(VALU_DEP_2)
	v_cndmask_b32_e64 v2, 0, v2, s0
	v_cmp_gt_i32_e64 s0, s6, v39
	v_perm_b32 v2, v56, v2, 0x5040100
	s_delay_alu instid0(VALU_DEP_2) | instskip(SKIP_1) | instid1(VALU_DEP_1)
	v_cndmask_b32_e64 v57, 0, v57, s0
	v_cmp_gt_i32_e64 s0, s30, v28
	v_cndmask_b32_e64 v1, 0, v1, s0
	s_delay_alu instid0(VALU_DEP_1)
	v_perm_b32 v1, v57, v1, 0x5040100
.LBB109_37:                             ;   in Loop: Header=BB109_33 Depth=1
	s_or_b32 exec_lo, exec_lo, s20
	s_waitcnt vmcnt(0)
	;;#ASMSTART
	v_pk_mul_f16 v1, v46, v1;

	;;#ASMEND
	;;#ASMSTART
	v_pk_mul_f16 v2, v44, v2;

	;;#ASMEND
	;;#ASMSTART
	v_pk_mul_f16 v3, v43, v3;

	;;#ASMEND
	;;#ASMSTART
	v_pk_mul_f16 v4, v41, v4;

	;;#ASMEND
	;;#ASMSTART
	v_pk_add_f16 v1, v1, v2;

	;;#ASMEND
	;;#ASMSTART
	v_pk_add_f16 v1, v1, v3;

	;;#ASMEND
	;; [unrolled: 4-line block ×3, first 2 shown]
	v_and_b32_e32 v2, 0xffff, v1
	v_lshrrev_b32_e32 v1, 16, v1
	;;#ASMSTART
	v_cvt_f32_f16 v54, v2;
	;;#ASMEND
	;;#ASMSTART
	v_cvt_f32_f16 v55, v1;
	;;#ASMEND
	global_load_b128 v[1:4], v[8:9], off offset:1024
	s_and_saveexec_b32 s20, vcc_lo
	s_cbranch_execz .LBB109_39
; %bb.38:                               ;   in Loop: Header=BB109_33 Depth=1
	v_cmp_gt_i32_e64 s0, s11, v51
	s_waitcnt vmcnt(0)
	v_lshrrev_b32_e32 v56, 16, v4
	v_lshrrev_b32_e32 v57, 16, v3
	;; [unrolled: 1-line block ×4, first 2 shown]
	v_cndmask_b32_e64 v4, 0, v4, s0
	v_cmp_gt_i32_e64 s0, s15, v50
	s_delay_alu instid0(VALU_DEP_1) | instskip(SKIP_1) | instid1(VALU_DEP_2)
	v_cndmask_b32_e64 v56, 0, v56, s0
	v_cmp_gt_i32_e64 s0, s10, v49
	v_perm_b32 v4, v56, v4, 0x5040100
	s_delay_alu instid0(VALU_DEP_2) | instskip(SKIP_1) | instid1(VALU_DEP_1)
	v_cndmask_b32_e64 v57, 0, v57, s0
	v_cmp_gt_i32_e64 s0, s9, v48
	v_cndmask_b32_e64 v3, 0, v3, s0
	v_cmp_gt_i32_e64 s0, s8, v42
	s_delay_alu instid0(VALU_DEP_2) | instskip(NEXT) | instid1(VALU_DEP_2)
	v_perm_b32 v3, v57, v3, 0x5040100
	v_cndmask_b32_e64 v58, 0, v58, s0
	v_cmp_gt_i32_e64 s0, s7, v40
	s_delay_alu instid0(VALU_DEP_1) | instskip(SKIP_1) | instid1(VALU_DEP_2)
	v_cndmask_b32_e64 v2, 0, v2, s0
	v_cmp_gt_i32_e64 s0, s6, v39
	v_perm_b32 v2, v58, v2, 0x5040100
	s_delay_alu instid0(VALU_DEP_2) | instskip(SKIP_1) | instid1(VALU_DEP_1)
	v_cndmask_b32_e64 v59, 0, v59, s0
	v_cmp_gt_i32_e64 s0, s30, v28
	v_cndmask_b32_e64 v1, 0, v1, s0
	s_delay_alu instid0(VALU_DEP_1)
	v_perm_b32 v1, v59, v1, 0x5040100
.LBB109_39:                             ;   in Loop: Header=BB109_33 Depth=1
	s_or_b32 exec_lo, exec_lo, s20
	s_waitcnt vmcnt(0)
	;;#ASMSTART
	v_pk_mul_f16 v1, v46, v1;

	;;#ASMEND
	;;#ASMSTART
	v_pk_mul_f16 v2, v44, v2;

	;;#ASMEND
	;; [unrolled: 4-line block ×4, first 2 shown]
	;;#ASMSTART
	v_pk_add_f16 v1, v1, v2;

	;;#ASMEND
	;;#ASMSTART
	v_pk_add_f16 v1, v1, v3;

	;;#ASMEND
	;; [unrolled: 4-line block ×3, first 2 shown]
	v_and_b32_e32 v2, 0xffff, v1
	v_lshrrev_b32_e32 v1, 16, v1
	;;#ASMSTART
	v_cvt_f32_f16 v56, v2;
	;;#ASMEND
	;;#ASMSTART
	v_cvt_f32_f16 v57, v1;
	;;#ASMEND
	global_load_b128 v[1:4], v[8:9], off offset:1536
	s_and_saveexec_b32 s20, vcc_lo
	s_cbranch_execz .LBB109_41
; %bb.40:                               ;   in Loop: Header=BB109_33 Depth=1
	v_cmp_gt_i32_e64 s0, s11, v51
	s_waitcnt vmcnt(0)
	v_lshrrev_b32_e32 v58, 16, v4
	v_lshrrev_b32_e32 v59, 16, v3
	;; [unrolled: 1-line block ×4, first 2 shown]
	v_cndmask_b32_e64 v4, 0, v4, s0
	v_cmp_gt_i32_e64 s0, s15, v50
	s_delay_alu instid0(VALU_DEP_1) | instskip(SKIP_1) | instid1(VALU_DEP_2)
	v_cndmask_b32_e64 v58, 0, v58, s0
	v_cmp_gt_i32_e64 s0, s10, v49
	v_perm_b32 v4, v58, v4, 0x5040100
	s_delay_alu instid0(VALU_DEP_2) | instskip(SKIP_1) | instid1(VALU_DEP_1)
	v_cndmask_b32_e64 v59, 0, v59, s0
	v_cmp_gt_i32_e64 s0, s9, v48
	v_cndmask_b32_e64 v3, 0, v3, s0
	v_cmp_gt_i32_e64 s0, s8, v42
	s_delay_alu instid0(VALU_DEP_2) | instskip(NEXT) | instid1(VALU_DEP_2)
	v_perm_b32 v3, v59, v3, 0x5040100
	v_cndmask_b32_e64 v60, 0, v60, s0
	v_cmp_gt_i32_e64 s0, s7, v40
	s_delay_alu instid0(VALU_DEP_1) | instskip(SKIP_1) | instid1(VALU_DEP_2)
	v_cndmask_b32_e64 v2, 0, v2, s0
	v_cmp_gt_i32_e64 s0, s6, v39
	v_perm_b32 v2, v60, v2, 0x5040100
	s_delay_alu instid0(VALU_DEP_2) | instskip(SKIP_1) | instid1(VALU_DEP_1)
	v_cndmask_b32_e64 v61, 0, v61, s0
	v_cmp_gt_i32_e64 s0, s30, v28
	v_cndmask_b32_e64 v1, 0, v1, s0
	s_delay_alu instid0(VALU_DEP_1)
	v_perm_b32 v1, v61, v1, 0x5040100
.LBB109_41:                             ;   in Loop: Header=BB109_33 Depth=1
	s_or_b32 exec_lo, exec_lo, s20
	s_waitcnt vmcnt(0)
	;;#ASMSTART
	v_pk_mul_f16 v1, v46, v1;

	;;#ASMEND
	;;#ASMSTART
	v_pk_mul_f16 v2, v44, v2;

	;;#ASMEND
	;; [unrolled: 4-line block ×4, first 2 shown]
	;;#ASMSTART
	v_pk_add_f16 v1, v1, v2;

	;;#ASMEND
	;;#ASMSTART
	v_pk_add_f16 v1, v1, v3;

	;;#ASMEND
	;; [unrolled: 4-line block ×3, first 2 shown]
	v_and_b32_e32 v2, 0xffff, v1
	v_lshrrev_b32_e32 v1, 16, v1
	;;#ASMSTART
	v_cvt_f32_f16 v58, v2;
	;;#ASMEND
	;;#ASMSTART
	v_cvt_f32_f16 v59, v1;
	;;#ASMEND
	global_load_b128 v[1:4], v[8:9], off offset:2048
	s_and_saveexec_b32 s20, vcc_lo
	s_cbranch_execz .LBB109_43
; %bb.42:                               ;   in Loop: Header=BB109_33 Depth=1
	v_cmp_gt_i32_e64 s0, s11, v51
	s_waitcnt vmcnt(0)
	v_lshrrev_b32_e32 v60, 16, v4
	v_lshrrev_b32_e32 v61, 16, v3
	;; [unrolled: 1-line block ×4, first 2 shown]
	v_cndmask_b32_e64 v4, 0, v4, s0
	v_cmp_gt_i32_e64 s0, s15, v50
	s_delay_alu instid0(VALU_DEP_1) | instskip(SKIP_1) | instid1(VALU_DEP_2)
	v_cndmask_b32_e64 v60, 0, v60, s0
	v_cmp_gt_i32_e64 s0, s10, v49
	v_perm_b32 v4, v60, v4, 0x5040100
	s_delay_alu instid0(VALU_DEP_2) | instskip(SKIP_1) | instid1(VALU_DEP_1)
	v_cndmask_b32_e64 v61, 0, v61, s0
	v_cmp_gt_i32_e64 s0, s9, v48
	v_cndmask_b32_e64 v3, 0, v3, s0
	v_cmp_gt_i32_e64 s0, s8, v42
	s_delay_alu instid0(VALU_DEP_2) | instskip(NEXT) | instid1(VALU_DEP_2)
	v_perm_b32 v3, v61, v3, 0x5040100
	v_cndmask_b32_e64 v62, 0, v62, s0
	v_cmp_gt_i32_e64 s0, s7, v40
	s_delay_alu instid0(VALU_DEP_1) | instskip(SKIP_1) | instid1(VALU_DEP_2)
	v_cndmask_b32_e64 v2, 0, v2, s0
	v_cmp_gt_i32_e64 s0, s6, v39
	v_perm_b32 v2, v62, v2, 0x5040100
	s_delay_alu instid0(VALU_DEP_2) | instskip(SKIP_1) | instid1(VALU_DEP_1)
	v_cndmask_b32_e64 v66, 0, v66, s0
	v_cmp_gt_i32_e64 s0, s30, v28
	v_cndmask_b32_e64 v1, 0, v1, s0
	s_delay_alu instid0(VALU_DEP_1)
	v_perm_b32 v1, v66, v1, 0x5040100
.LBB109_43:                             ;   in Loop: Header=BB109_33 Depth=1
	s_or_b32 exec_lo, exec_lo, s20
	s_waitcnt vmcnt(0)
	;;#ASMSTART
	v_pk_mul_f16 v1, v46, v1;

	;;#ASMEND
	;;#ASMSTART
	v_pk_mul_f16 v2, v44, v2;

	;;#ASMEND
	;; [unrolled: 4-line block ×4, first 2 shown]
	;;#ASMSTART
	v_pk_add_f16 v1, v1, v2;

	;;#ASMEND
	;;#ASMSTART
	v_pk_add_f16 v1, v1, v3;

	;;#ASMEND
	;; [unrolled: 4-line block ×3, first 2 shown]
	v_and_b32_e32 v2, 0xffff, v1
	v_lshrrev_b32_e32 v1, 16, v1
	;;#ASMSTART
	v_cvt_f32_f16 v60, v2;
	;;#ASMEND
	;;#ASMSTART
	v_cvt_f32_f16 v61, v1;
	;;#ASMEND
	global_load_b128 v[1:4], v[8:9], off offset:2560
	s_and_saveexec_b32 s20, vcc_lo
	s_cbranch_execz .LBB109_45
; %bb.44:                               ;   in Loop: Header=BB109_33 Depth=1
	v_cmp_gt_i32_e64 s0, s11, v51
	s_waitcnt vmcnt(0)
	v_lshrrev_b32_e32 v62, 16, v4
	v_lshrrev_b32_e32 v66, 16, v3
	;; [unrolled: 1-line block ×4, first 2 shown]
	v_cndmask_b32_e64 v4, 0, v4, s0
	v_cmp_gt_i32_e64 s0, s15, v50
	s_delay_alu instid0(VALU_DEP_1) | instskip(SKIP_1) | instid1(VALU_DEP_2)
	v_cndmask_b32_e64 v62, 0, v62, s0
	v_cmp_gt_i32_e64 s0, s10, v49
	v_perm_b32 v4, v62, v4, 0x5040100
	s_delay_alu instid0(VALU_DEP_2) | instskip(SKIP_1) | instid1(VALU_DEP_1)
	v_cndmask_b32_e64 v66, 0, v66, s0
	v_cmp_gt_i32_e64 s0, s9, v48
	v_cndmask_b32_e64 v3, 0, v3, s0
	v_cmp_gt_i32_e64 s0, s8, v42
	s_delay_alu instid0(VALU_DEP_2) | instskip(NEXT) | instid1(VALU_DEP_2)
	v_perm_b32 v3, v66, v3, 0x5040100
	v_cndmask_b32_e64 v67, 0, v67, s0
	v_cmp_gt_i32_e64 s0, s7, v40
	s_delay_alu instid0(VALU_DEP_1) | instskip(SKIP_1) | instid1(VALU_DEP_2)
	v_cndmask_b32_e64 v2, 0, v2, s0
	v_cmp_gt_i32_e64 s0, s6, v39
	v_perm_b32 v2, v67, v2, 0x5040100
	s_delay_alu instid0(VALU_DEP_2) | instskip(SKIP_1) | instid1(VALU_DEP_1)
	v_cndmask_b32_e64 v68, 0, v68, s0
	v_cmp_gt_i32_e64 s0, s30, v28
	v_cndmask_b32_e64 v1, 0, v1, s0
	s_delay_alu instid0(VALU_DEP_1)
	v_perm_b32 v1, v68, v1, 0x5040100
.LBB109_45:                             ;   in Loop: Header=BB109_33 Depth=1
	s_or_b32 exec_lo, exec_lo, s20
	s_waitcnt vmcnt(0)
	;;#ASMSTART
	v_pk_mul_f16 v1, v46, v1;

	;;#ASMEND
	;;#ASMSTART
	v_pk_mul_f16 v2, v44, v2;

	;;#ASMEND
	;;#ASMSTART
	v_pk_mul_f16 v3, v43, v3;

	;;#ASMEND
	;;#ASMSTART
	v_pk_mul_f16 v4, v41, v4;

	;;#ASMEND
	;;#ASMSTART
	v_pk_add_f16 v1, v1, v2;

	;;#ASMEND
	;;#ASMSTART
	v_pk_add_f16 v1, v1, v3;

	;;#ASMEND
	;; [unrolled: 4-line block ×3, first 2 shown]
	v_and_b32_e32 v2, 0xffff, v1
	v_lshrrev_b32_e32 v1, 16, v1
	;;#ASMSTART
	v_cvt_f32_f16 v62, v2;
	;;#ASMEND
	;;#ASMSTART
	v_cvt_f32_f16 v66, v1;
	;;#ASMEND
	global_load_b128 v[1:4], v[8:9], off offset:3072
	s_and_saveexec_b32 s20, vcc_lo
	s_cbranch_execz .LBB109_47
; %bb.46:                               ;   in Loop: Header=BB109_33 Depth=1
	v_cmp_gt_i32_e64 s0, s11, v51
	s_waitcnt vmcnt(0)
	v_lshrrev_b32_e32 v67, 16, v4
	v_lshrrev_b32_e32 v68, 16, v3
	;; [unrolled: 1-line block ×4, first 2 shown]
	v_cndmask_b32_e64 v4, 0, v4, s0
	v_cmp_gt_i32_e64 s0, s15, v50
	s_delay_alu instid0(VALU_DEP_1) | instskip(SKIP_1) | instid1(VALU_DEP_2)
	v_cndmask_b32_e64 v67, 0, v67, s0
	v_cmp_gt_i32_e64 s0, s10, v49
	v_perm_b32 v4, v67, v4, 0x5040100
	s_delay_alu instid0(VALU_DEP_2) | instskip(SKIP_1) | instid1(VALU_DEP_1)
	v_cndmask_b32_e64 v68, 0, v68, s0
	v_cmp_gt_i32_e64 s0, s9, v48
	v_cndmask_b32_e64 v3, 0, v3, s0
	v_cmp_gt_i32_e64 s0, s8, v42
	s_delay_alu instid0(VALU_DEP_2) | instskip(NEXT) | instid1(VALU_DEP_2)
	v_perm_b32 v3, v68, v3, 0x5040100
	v_cndmask_b32_e64 v69, 0, v69, s0
	v_cmp_gt_i32_e64 s0, s7, v40
	s_delay_alu instid0(VALU_DEP_1) | instskip(SKIP_1) | instid1(VALU_DEP_2)
	v_cndmask_b32_e64 v2, 0, v2, s0
	v_cmp_gt_i32_e64 s0, s6, v39
	v_perm_b32 v2, v69, v2, 0x5040100
	s_delay_alu instid0(VALU_DEP_2) | instskip(SKIP_1) | instid1(VALU_DEP_1)
	v_cndmask_b32_e64 v70, 0, v70, s0
	v_cmp_gt_i32_e64 s0, s30, v28
	v_cndmask_b32_e64 v1, 0, v1, s0
	s_delay_alu instid0(VALU_DEP_1)
	v_perm_b32 v1, v70, v1, 0x5040100
.LBB109_47:                             ;   in Loop: Header=BB109_33 Depth=1
	s_or_b32 exec_lo, exec_lo, s20
	s_waitcnt vmcnt(0)
	;;#ASMSTART
	v_pk_mul_f16 v1, v46, v1;

	;;#ASMEND
	;;#ASMSTART
	v_pk_mul_f16 v2, v44, v2;

	;;#ASMEND
	;; [unrolled: 4-line block ×4, first 2 shown]
	;;#ASMSTART
	v_pk_add_f16 v1, v1, v2;

	;;#ASMEND
	;;#ASMSTART
	v_pk_add_f16 v1, v1, v3;

	;;#ASMEND
	;; [unrolled: 4-line block ×3, first 2 shown]
	v_and_b32_e32 v2, 0xffff, v1
	v_lshrrev_b32_e32 v1, 16, v1
	;;#ASMSTART
	v_cvt_f32_f16 v67, v2;
	;;#ASMEND
	;;#ASMSTART
	v_cvt_f32_f16 v68, v1;
	;;#ASMEND
	global_load_b128 v[1:4], v[8:9], off offset:3584
	s_and_saveexec_b32 s20, vcc_lo
	s_cbranch_execz .LBB109_49
; %bb.48:                               ;   in Loop: Header=BB109_33 Depth=1
	v_cmp_gt_i32_e64 s0, s11, v51
	s_waitcnt vmcnt(0)
	v_lshrrev_b32_e32 v8, 16, v4
	v_lshrrev_b32_e32 v9, 16, v3
	;; [unrolled: 1-line block ×4, first 2 shown]
	v_cndmask_b32_e64 v4, 0, v4, s0
	v_cmp_gt_i32_e64 s0, s15, v50
	s_delay_alu instid0(VALU_DEP_1) | instskip(SKIP_1) | instid1(VALU_DEP_2)
	v_cndmask_b32_e64 v8, 0, v8, s0
	v_cmp_gt_i32_e64 s0, s10, v49
	v_perm_b32 v4, v8, v4, 0x5040100
	s_delay_alu instid0(VALU_DEP_2) | instskip(SKIP_1) | instid1(VALU_DEP_1)
	v_cndmask_b32_e64 v9, 0, v9, s0
	v_cmp_gt_i32_e64 s0, s9, v48
	v_cndmask_b32_e64 v3, 0, v3, s0
	v_cmp_gt_i32_e64 s0, s8, v42
	s_delay_alu instid0(VALU_DEP_2) | instskip(NEXT) | instid1(VALU_DEP_2)
	v_perm_b32 v3, v9, v3, 0x5040100
	v_cndmask_b32_e64 v69, 0, v69, s0
	v_cmp_gt_i32_e64 s0, s7, v40
	s_delay_alu instid0(VALU_DEP_1) | instskip(SKIP_1) | instid1(VALU_DEP_2)
	v_cndmask_b32_e64 v2, 0, v2, s0
	v_cmp_gt_i32_e64 s0, s6, v39
	v_perm_b32 v2, v69, v2, 0x5040100
	s_delay_alu instid0(VALU_DEP_2) | instskip(SKIP_1) | instid1(VALU_DEP_1)
	v_cndmask_b32_e64 v70, 0, v70, s0
	v_cmp_gt_i32_e64 s0, s30, v28
	v_cndmask_b32_e64 v1, 0, v1, s0
	s_delay_alu instid0(VALU_DEP_1)
	v_perm_b32 v1, v70, v1, 0x5040100
.LBB109_49:                             ;   in Loop: Header=BB109_33 Depth=1
	s_or_b32 exec_lo, exec_lo, s20
	s_waitcnt vmcnt(0)
	;;#ASMSTART
	v_pk_mul_f16 v1, v46, v1;

	;;#ASMEND
	;;#ASMSTART
	v_pk_mul_f16 v2, v44, v2;

	;;#ASMEND
	;;#ASMSTART
	v_pk_mul_f16 v3, v43, v3;

	;;#ASMEND
	;;#ASMSTART
	v_pk_mul_f16 v4, v41, v4;

	;;#ASMEND
	;;#ASMSTART
	v_pk_add_f16 v1, v1, v2;

	;;#ASMEND
	;;#ASMSTART
	v_pk_add_f16 v1, v1, v3;

	;;#ASMEND
	;; [unrolled: 4-line block ×3, first 2 shown]
	v_lshrrev_b32_e32 v3, 16, v1
	v_and_b32_e32 v4, 0xffff, v1
	v_add_co_u32 v1, s0, v52, v31
	s_delay_alu instid0(VALU_DEP_1)
	v_add_co_ci_u32_e64 v2, s0, 0, v53, s0
	;;#ASMSTART
	v_cvt_f32_f16 v8, v4;
	;;#ASMEND
	;;#ASMSTART
	v_cvt_f32_f16 v9, v3;
	;;#ASMEND
	global_load_b128 v[1:4], v[1:2], off
	s_and_saveexec_b32 s20, vcc_lo
	s_cbranch_execz .LBB109_51
; %bb.50:                               ;   in Loop: Header=BB109_33 Depth=1
	v_cmp_gt_i32_e64 s0, s11, v51
	s_waitcnt vmcnt(0)
	v_lshrrev_b32_e32 v69, 16, v4
	v_lshrrev_b32_e32 v70, 16, v3
	;; [unrolled: 1-line block ×4, first 2 shown]
	v_cndmask_b32_e64 v4, 0, v4, s0
	v_cmp_gt_i32_e64 s0, s15, v50
	s_delay_alu instid0(VALU_DEP_1) | instskip(SKIP_1) | instid1(VALU_DEP_2)
	v_cndmask_b32_e64 v69, 0, v69, s0
	v_cmp_gt_i32_e64 s0, s10, v49
	v_perm_b32 v4, v69, v4, 0x5040100
	s_delay_alu instid0(VALU_DEP_2) | instskip(SKIP_1) | instid1(VALU_DEP_1)
	v_cndmask_b32_e64 v70, 0, v70, s0
	v_cmp_gt_i32_e64 s0, s9, v48
	v_cndmask_b32_e64 v3, 0, v3, s0
	v_cmp_gt_i32_e64 s0, s8, v42
	s_delay_alu instid0(VALU_DEP_2) | instskip(NEXT) | instid1(VALU_DEP_2)
	v_perm_b32 v3, v70, v3, 0x5040100
	v_cndmask_b32_e64 v71, 0, v71, s0
	v_cmp_gt_i32_e64 s0, s7, v40
	s_delay_alu instid0(VALU_DEP_1) | instskip(SKIP_1) | instid1(VALU_DEP_2)
	v_cndmask_b32_e64 v2, 0, v2, s0
	v_cmp_gt_i32_e64 s0, s6, v39
	v_perm_b32 v2, v71, v2, 0x5040100
	s_delay_alu instid0(VALU_DEP_2) | instskip(SKIP_1) | instid1(VALU_DEP_1)
	v_cndmask_b32_e64 v72, 0, v72, s0
	v_cmp_gt_i32_e64 s0, s30, v28
	v_cndmask_b32_e64 v1, 0, v1, s0
	s_delay_alu instid0(VALU_DEP_1)
	v_perm_b32 v1, v72, v1, 0x5040100
.LBB109_51:                             ;   in Loop: Header=BB109_33 Depth=1
	s_or_b32 exec_lo, exec_lo, s20
	s_waitcnt vmcnt(0)
	;;#ASMSTART
	v_pk_mul_f16 v1, v46, v1;

	;;#ASMEND
	;;#ASMSTART
	v_pk_mul_f16 v2, v44, v2;

	;;#ASMEND
	;; [unrolled: 4-line block ×4, first 2 shown]
	;;#ASMSTART
	v_pk_add_f16 v1, v1, v2;

	;;#ASMEND
	;;#ASMSTART
	v_pk_add_f16 v1, v1, v3;

	;;#ASMEND
	;; [unrolled: 4-line block ×3, first 2 shown]
	v_lshrrev_b32_e32 v3, 16, v1
	v_and_b32_e32 v4, 0xffff, v1
	v_add_co_u32 v1, s0, v52, v32
	s_delay_alu instid0(VALU_DEP_1)
	v_add_co_ci_u32_e64 v2, s0, 0, v53, s0
	;;#ASMSTART
	v_cvt_f32_f16 v69, v4;
	;;#ASMEND
	;;#ASMSTART
	v_cvt_f32_f16 v70, v3;
	;;#ASMEND
	global_load_b128 v[1:4], v[1:2], off
	s_and_saveexec_b32 s20, vcc_lo
	s_cbranch_execz .LBB109_53
; %bb.52:                               ;   in Loop: Header=BB109_33 Depth=1
	v_cmp_gt_i32_e64 s0, s11, v51
	s_waitcnt vmcnt(0)
	v_lshrrev_b32_e32 v71, 16, v4
	v_lshrrev_b32_e32 v72, 16, v3
	;; [unrolled: 1-line block ×4, first 2 shown]
	v_cndmask_b32_e64 v4, 0, v4, s0
	v_cmp_gt_i32_e64 s0, s15, v50
	s_delay_alu instid0(VALU_DEP_1) | instskip(SKIP_1) | instid1(VALU_DEP_2)
	v_cndmask_b32_e64 v71, 0, v71, s0
	v_cmp_gt_i32_e64 s0, s10, v49
	v_perm_b32 v4, v71, v4, 0x5040100
	s_delay_alu instid0(VALU_DEP_2) | instskip(SKIP_1) | instid1(VALU_DEP_1)
	v_cndmask_b32_e64 v72, 0, v72, s0
	v_cmp_gt_i32_e64 s0, s9, v48
	v_cndmask_b32_e64 v3, 0, v3, s0
	v_cmp_gt_i32_e64 s0, s8, v42
	s_delay_alu instid0(VALU_DEP_2) | instskip(NEXT) | instid1(VALU_DEP_2)
	v_perm_b32 v3, v72, v3, 0x5040100
	v_cndmask_b32_e64 v73, 0, v73, s0
	v_cmp_gt_i32_e64 s0, s7, v40
	s_delay_alu instid0(VALU_DEP_1) | instskip(SKIP_1) | instid1(VALU_DEP_2)
	v_cndmask_b32_e64 v2, 0, v2, s0
	v_cmp_gt_i32_e64 s0, s6, v39
	v_perm_b32 v2, v73, v2, 0x5040100
	s_delay_alu instid0(VALU_DEP_2) | instskip(SKIP_1) | instid1(VALU_DEP_1)
	v_cndmask_b32_e64 v74, 0, v74, s0
	v_cmp_gt_i32_e64 s0, s30, v28
	v_cndmask_b32_e64 v1, 0, v1, s0
	s_delay_alu instid0(VALU_DEP_1)
	v_perm_b32 v1, v74, v1, 0x5040100
.LBB109_53:                             ;   in Loop: Header=BB109_33 Depth=1
	s_or_b32 exec_lo, exec_lo, s20
	s_waitcnt vmcnt(0)
	;;#ASMSTART
	v_pk_mul_f16 v1, v46, v1;

	;;#ASMEND
	;;#ASMSTART
	v_pk_mul_f16 v2, v44, v2;

	;;#ASMEND
	;; [unrolled: 4-line block ×4, first 2 shown]
	;;#ASMSTART
	v_pk_add_f16 v1, v1, v2;

	;;#ASMEND
	;;#ASMSTART
	v_pk_add_f16 v1, v1, v3;

	;;#ASMEND
	;; [unrolled: 4-line block ×3, first 2 shown]
	v_lshrrev_b32_e32 v3, 16, v1
	v_and_b32_e32 v4, 0xffff, v1
	v_add_co_u32 v1, s0, v52, v33
	s_delay_alu instid0(VALU_DEP_1)
	v_add_co_ci_u32_e64 v2, s0, 0, v53, s0
	;;#ASMSTART
	v_cvt_f32_f16 v71, v4;
	;;#ASMEND
	;;#ASMSTART
	v_cvt_f32_f16 v72, v3;
	;;#ASMEND
	global_load_b128 v[1:4], v[1:2], off
	s_and_saveexec_b32 s20, vcc_lo
	s_cbranch_execz .LBB109_55
; %bb.54:                               ;   in Loop: Header=BB109_33 Depth=1
	v_cmp_gt_i32_e64 s0, s11, v51
	s_waitcnt vmcnt(0)
	v_lshrrev_b32_e32 v73, 16, v4
	v_lshrrev_b32_e32 v74, 16, v3
	;; [unrolled: 1-line block ×4, first 2 shown]
	v_cndmask_b32_e64 v4, 0, v4, s0
	v_cmp_gt_i32_e64 s0, s15, v50
	s_delay_alu instid0(VALU_DEP_1) | instskip(SKIP_1) | instid1(VALU_DEP_2)
	v_cndmask_b32_e64 v73, 0, v73, s0
	v_cmp_gt_i32_e64 s0, s10, v49
	v_perm_b32 v4, v73, v4, 0x5040100
	s_delay_alu instid0(VALU_DEP_2) | instskip(SKIP_1) | instid1(VALU_DEP_1)
	v_cndmask_b32_e64 v74, 0, v74, s0
	v_cmp_gt_i32_e64 s0, s9, v48
	v_cndmask_b32_e64 v3, 0, v3, s0
	v_cmp_gt_i32_e64 s0, s8, v42
	s_delay_alu instid0(VALU_DEP_2) | instskip(NEXT) | instid1(VALU_DEP_2)
	v_perm_b32 v3, v74, v3, 0x5040100
	v_cndmask_b32_e64 v75, 0, v75, s0
	v_cmp_gt_i32_e64 s0, s7, v40
	s_delay_alu instid0(VALU_DEP_1) | instskip(SKIP_1) | instid1(VALU_DEP_2)
	v_cndmask_b32_e64 v2, 0, v2, s0
	v_cmp_gt_i32_e64 s0, s6, v39
	v_perm_b32 v2, v75, v2, 0x5040100
	s_delay_alu instid0(VALU_DEP_2) | instskip(SKIP_1) | instid1(VALU_DEP_1)
	v_cndmask_b32_e64 v76, 0, v76, s0
	v_cmp_gt_i32_e64 s0, s30, v28
	v_cndmask_b32_e64 v1, 0, v1, s0
	s_delay_alu instid0(VALU_DEP_1)
	v_perm_b32 v1, v76, v1, 0x5040100
.LBB109_55:                             ;   in Loop: Header=BB109_33 Depth=1
	s_or_b32 exec_lo, exec_lo, s20
	s_waitcnt vmcnt(0)
	;;#ASMSTART
	v_pk_mul_f16 v1, v46, v1;

	;;#ASMEND
	;;#ASMSTART
	v_pk_mul_f16 v2, v44, v2;

	;;#ASMEND
	;; [unrolled: 4-line block ×4, first 2 shown]
	;;#ASMSTART
	v_pk_add_f16 v1, v1, v2;

	;;#ASMEND
	;;#ASMSTART
	v_pk_add_f16 v1, v1, v3;

	;;#ASMEND
	;;#ASMSTART
	v_pk_add_f16 v1, v1, v4;

	;;#ASMEND
	v_lshrrev_b32_e32 v3, 16, v1
	v_and_b32_e32 v4, 0xffff, v1
	v_add_co_u32 v1, s0, v52, v34
	s_delay_alu instid0(VALU_DEP_1)
	v_add_co_ci_u32_e64 v2, s0, 0, v53, s0
	;;#ASMSTART
	v_cvt_f32_f16 v73, v4;
	;;#ASMEND
	;;#ASMSTART
	v_cvt_f32_f16 v74, v3;
	;;#ASMEND
	global_load_b128 v[1:4], v[1:2], off
	s_and_saveexec_b32 s20, vcc_lo
	s_cbranch_execz .LBB109_57
; %bb.56:                               ;   in Loop: Header=BB109_33 Depth=1
	v_cmp_gt_i32_e64 s0, s11, v51
	s_waitcnt vmcnt(0)
	v_lshrrev_b32_e32 v75, 16, v4
	v_lshrrev_b32_e32 v76, 16, v3
	;; [unrolled: 1-line block ×4, first 2 shown]
	v_cndmask_b32_e64 v4, 0, v4, s0
	v_cmp_gt_i32_e64 s0, s15, v50
	s_delay_alu instid0(VALU_DEP_1) | instskip(SKIP_1) | instid1(VALU_DEP_2)
	v_cndmask_b32_e64 v75, 0, v75, s0
	v_cmp_gt_i32_e64 s0, s10, v49
	v_perm_b32 v4, v75, v4, 0x5040100
	s_delay_alu instid0(VALU_DEP_2) | instskip(SKIP_1) | instid1(VALU_DEP_1)
	v_cndmask_b32_e64 v76, 0, v76, s0
	v_cmp_gt_i32_e64 s0, s9, v48
	v_cndmask_b32_e64 v3, 0, v3, s0
	v_cmp_gt_i32_e64 s0, s8, v42
	s_delay_alu instid0(VALU_DEP_2) | instskip(NEXT) | instid1(VALU_DEP_2)
	v_perm_b32 v3, v76, v3, 0x5040100
	v_cndmask_b32_e64 v77, 0, v77, s0
	v_cmp_gt_i32_e64 s0, s7, v40
	s_delay_alu instid0(VALU_DEP_1) | instskip(SKIP_1) | instid1(VALU_DEP_2)
	v_cndmask_b32_e64 v2, 0, v2, s0
	v_cmp_gt_i32_e64 s0, s6, v39
	v_perm_b32 v2, v77, v2, 0x5040100
	s_delay_alu instid0(VALU_DEP_2) | instskip(SKIP_1) | instid1(VALU_DEP_1)
	v_cndmask_b32_e64 v78, 0, v78, s0
	v_cmp_gt_i32_e64 s0, s30, v28
	v_cndmask_b32_e64 v1, 0, v1, s0
	s_delay_alu instid0(VALU_DEP_1)
	v_perm_b32 v1, v78, v1, 0x5040100
.LBB109_57:                             ;   in Loop: Header=BB109_33 Depth=1
	s_or_b32 exec_lo, exec_lo, s20
	s_waitcnt vmcnt(0)
	;;#ASMSTART
	v_pk_mul_f16 v1, v46, v1;

	;;#ASMEND
	;;#ASMSTART
	v_pk_mul_f16 v2, v44, v2;

	;;#ASMEND
	;; [unrolled: 4-line block ×4, first 2 shown]
	;;#ASMSTART
	v_pk_add_f16 v1, v1, v2;

	;;#ASMEND
	;;#ASMSTART
	v_pk_add_f16 v1, v1, v3;

	;;#ASMEND
	;; [unrolled: 4-line block ×3, first 2 shown]
	v_lshrrev_b32_e32 v3, 16, v1
	v_and_b32_e32 v4, 0xffff, v1
	v_add_co_u32 v1, s0, v52, v35
	s_delay_alu instid0(VALU_DEP_1)
	v_add_co_ci_u32_e64 v2, s0, 0, v53, s0
	;;#ASMSTART
	v_cvt_f32_f16 v75, v4;
	;;#ASMEND
	;;#ASMSTART
	v_cvt_f32_f16 v76, v3;
	;;#ASMEND
	global_load_b128 v[1:4], v[1:2], off
	s_and_saveexec_b32 s20, vcc_lo
	s_cbranch_execz .LBB109_59
; %bb.58:                               ;   in Loop: Header=BB109_33 Depth=1
	v_cmp_gt_i32_e64 s0, s11, v51
	s_waitcnt vmcnt(0)
	v_lshrrev_b32_e32 v77, 16, v4
	v_lshrrev_b32_e32 v78, 16, v3
	;; [unrolled: 1-line block ×4, first 2 shown]
	v_cndmask_b32_e64 v4, 0, v4, s0
	v_cmp_gt_i32_e64 s0, s15, v50
	s_delay_alu instid0(VALU_DEP_1) | instskip(SKIP_1) | instid1(VALU_DEP_2)
	v_cndmask_b32_e64 v77, 0, v77, s0
	v_cmp_gt_i32_e64 s0, s10, v49
	v_perm_b32 v4, v77, v4, 0x5040100
	s_delay_alu instid0(VALU_DEP_2) | instskip(SKIP_1) | instid1(VALU_DEP_1)
	v_cndmask_b32_e64 v78, 0, v78, s0
	v_cmp_gt_i32_e64 s0, s9, v48
	v_cndmask_b32_e64 v3, 0, v3, s0
	v_cmp_gt_i32_e64 s0, s8, v42
	s_delay_alu instid0(VALU_DEP_2) | instskip(NEXT) | instid1(VALU_DEP_2)
	v_perm_b32 v3, v78, v3, 0x5040100
	v_cndmask_b32_e64 v79, 0, v79, s0
	v_cmp_gt_i32_e64 s0, s7, v40
	s_delay_alu instid0(VALU_DEP_1) | instskip(SKIP_1) | instid1(VALU_DEP_2)
	v_cndmask_b32_e64 v2, 0, v2, s0
	v_cmp_gt_i32_e64 s0, s6, v39
	v_perm_b32 v2, v79, v2, 0x5040100
	s_delay_alu instid0(VALU_DEP_2) | instskip(SKIP_1) | instid1(VALU_DEP_1)
	v_cndmask_b32_e64 v80, 0, v80, s0
	v_cmp_gt_i32_e64 s0, s30, v28
	v_cndmask_b32_e64 v1, 0, v1, s0
	s_delay_alu instid0(VALU_DEP_1)
	v_perm_b32 v1, v80, v1, 0x5040100
.LBB109_59:                             ;   in Loop: Header=BB109_33 Depth=1
	s_or_b32 exec_lo, exec_lo, s20
	s_waitcnt vmcnt(0)
	;;#ASMSTART
	v_pk_mul_f16 v1, v46, v1;

	;;#ASMEND
	;;#ASMSTART
	v_pk_mul_f16 v2, v44, v2;

	;;#ASMEND
	;;#ASMSTART
	v_pk_mul_f16 v3, v43, v3;

	;;#ASMEND
	;;#ASMSTART
	v_pk_mul_f16 v4, v41, v4;

	;;#ASMEND
	;;#ASMSTART
	v_pk_add_f16 v1, v1, v2;

	;;#ASMEND
	;;#ASMSTART
	v_pk_add_f16 v1, v1, v3;

	;;#ASMEND
	;; [unrolled: 4-line block ×3, first 2 shown]
	v_lshrrev_b32_e32 v3, 16, v1
	v_and_b32_e32 v4, 0xffff, v1
	v_add_co_u32 v1, s0, v52, v36
	s_delay_alu instid0(VALU_DEP_1)
	v_add_co_ci_u32_e64 v2, s0, 0, v53, s0
	;;#ASMSTART
	v_cvt_f32_f16 v77, v4;
	;;#ASMEND
	;;#ASMSTART
	v_cvt_f32_f16 v78, v3;
	;;#ASMEND
	global_load_b128 v[1:4], v[1:2], off
	s_and_saveexec_b32 s20, vcc_lo
	s_cbranch_execz .LBB109_61
; %bb.60:                               ;   in Loop: Header=BB109_33 Depth=1
	v_cmp_gt_i32_e64 s0, s11, v51
	s_waitcnt vmcnt(0)
	v_lshrrev_b32_e32 v79, 16, v4
	v_lshrrev_b32_e32 v80, 16, v3
	;; [unrolled: 1-line block ×4, first 2 shown]
	v_cndmask_b32_e64 v4, 0, v4, s0
	v_cmp_gt_i32_e64 s0, s15, v50
	s_delay_alu instid0(VALU_DEP_1) | instskip(SKIP_1) | instid1(VALU_DEP_2)
	v_cndmask_b32_e64 v79, 0, v79, s0
	v_cmp_gt_i32_e64 s0, s10, v49
	v_perm_b32 v4, v79, v4, 0x5040100
	s_delay_alu instid0(VALU_DEP_2) | instskip(SKIP_1) | instid1(VALU_DEP_1)
	v_cndmask_b32_e64 v80, 0, v80, s0
	v_cmp_gt_i32_e64 s0, s9, v48
	v_cndmask_b32_e64 v3, 0, v3, s0
	v_cmp_gt_i32_e64 s0, s8, v42
	s_delay_alu instid0(VALU_DEP_2) | instskip(NEXT) | instid1(VALU_DEP_2)
	v_perm_b32 v3, v80, v3, 0x5040100
	v_cndmask_b32_e64 v81, 0, v81, s0
	v_cmp_gt_i32_e64 s0, s7, v40
	s_delay_alu instid0(VALU_DEP_1) | instskip(SKIP_1) | instid1(VALU_DEP_2)
	v_cndmask_b32_e64 v2, 0, v2, s0
	v_cmp_gt_i32_e64 s0, s6, v39
	v_perm_b32 v2, v81, v2, 0x5040100
	s_delay_alu instid0(VALU_DEP_2) | instskip(SKIP_1) | instid1(VALU_DEP_1)
	v_cndmask_b32_e64 v82, 0, v82, s0
	v_cmp_gt_i32_e64 s0, s30, v28
	v_cndmask_b32_e64 v1, 0, v1, s0
	s_delay_alu instid0(VALU_DEP_1)
	v_perm_b32 v1, v82, v1, 0x5040100
.LBB109_61:                             ;   in Loop: Header=BB109_33 Depth=1
	s_or_b32 exec_lo, exec_lo, s20
	s_waitcnt vmcnt(0)
	;;#ASMSTART
	v_pk_mul_f16 v1, v46, v1;

	;;#ASMEND
	;;#ASMSTART
	v_pk_mul_f16 v2, v44, v2;

	;;#ASMEND
	;; [unrolled: 4-line block ×4, first 2 shown]
	;;#ASMSTART
	v_pk_add_f16 v1, v1, v2;

	;;#ASMEND
	;;#ASMSTART
	v_pk_add_f16 v1, v1, v3;

	;;#ASMEND
	;; [unrolled: 4-line block ×3, first 2 shown]
	v_lshrrev_b32_e32 v3, 16, v1
	v_and_b32_e32 v4, 0xffff, v1
	v_add_co_u32 v1, s0, v52, v37
	s_delay_alu instid0(VALU_DEP_1)
	v_add_co_ci_u32_e64 v2, s0, 0, v53, s0
	;;#ASMSTART
	v_cvt_f32_f16 v79, v4;
	;;#ASMEND
	;;#ASMSTART
	v_cvt_f32_f16 v80, v3;
	;;#ASMEND
	global_load_b128 v[1:4], v[1:2], off
	s_and_saveexec_b32 s20, vcc_lo
	s_cbranch_execz .LBB109_63
; %bb.62:                               ;   in Loop: Header=BB109_33 Depth=1
	v_cmp_gt_i32_e64 s0, s11, v51
	s_waitcnt vmcnt(0)
	v_lshrrev_b32_e32 v81, 16, v4
	v_lshrrev_b32_e32 v82, 16, v3
	;; [unrolled: 1-line block ×4, first 2 shown]
	v_cndmask_b32_e64 v4, 0, v4, s0
	v_cmp_gt_i32_e64 s0, s15, v50
	s_delay_alu instid0(VALU_DEP_1) | instskip(SKIP_1) | instid1(VALU_DEP_2)
	v_cndmask_b32_e64 v81, 0, v81, s0
	v_cmp_gt_i32_e64 s0, s10, v49
	v_perm_b32 v4, v81, v4, 0x5040100
	s_delay_alu instid0(VALU_DEP_2) | instskip(SKIP_1) | instid1(VALU_DEP_1)
	v_cndmask_b32_e64 v82, 0, v82, s0
	v_cmp_gt_i32_e64 s0, s9, v48
	v_cndmask_b32_e64 v3, 0, v3, s0
	v_cmp_gt_i32_e64 s0, s8, v42
	s_delay_alu instid0(VALU_DEP_2) | instskip(NEXT) | instid1(VALU_DEP_2)
	v_perm_b32 v3, v82, v3, 0x5040100
	v_cndmask_b32_e64 v83, 0, v83, s0
	v_cmp_gt_i32_e64 s0, s7, v40
	s_delay_alu instid0(VALU_DEP_1) | instskip(SKIP_1) | instid1(VALU_DEP_2)
	v_cndmask_b32_e64 v2, 0, v2, s0
	v_cmp_gt_i32_e64 s0, s6, v39
	v_perm_b32 v2, v83, v2, 0x5040100
	s_delay_alu instid0(VALU_DEP_2) | instskip(SKIP_1) | instid1(VALU_DEP_1)
	v_cndmask_b32_e64 v84, 0, v84, s0
	v_cmp_gt_i32_e64 s0, s30, v28
	v_cndmask_b32_e64 v1, 0, v1, s0
	s_delay_alu instid0(VALU_DEP_1)
	v_perm_b32 v1, v84, v1, 0x5040100
.LBB109_63:                             ;   in Loop: Header=BB109_33 Depth=1
	s_or_b32 exec_lo, exec_lo, s20
	s_waitcnt vmcnt(0)
	;;#ASMSTART
	v_pk_mul_f16 v1, v46, v1;

	;;#ASMEND
	;;#ASMSTART
	v_pk_mul_f16 v2, v44, v2;

	;;#ASMEND
	;; [unrolled: 4-line block ×4, first 2 shown]
	;;#ASMSTART
	v_pk_add_f16 v1, v1, v2;

	;;#ASMEND
	;;#ASMSTART
	v_pk_add_f16 v1, v1, v3;

	;;#ASMEND
	;; [unrolled: 4-line block ×3, first 2 shown]
	v_lshrrev_b32_e32 v3, 16, v1
	v_and_b32_e32 v4, 0xffff, v1
	v_add_co_u32 v1, s0, v52, v38
	s_delay_alu instid0(VALU_DEP_1)
	v_add_co_ci_u32_e64 v2, s0, 0, v53, s0
	;;#ASMSTART
	v_cvt_f32_f16 v52, v4;
	;;#ASMEND
	;;#ASMSTART
	v_cvt_f32_f16 v53, v3;
	;;#ASMEND
	global_load_b128 v[1:4], v[1:2], off
	s_and_saveexec_b32 s0, vcc_lo
	s_cbranch_execz .LBB109_32
; %bb.64:                               ;   in Loop: Header=BB109_33 Depth=1
	v_cmp_gt_i32_e32 vcc_lo, s11, v51
	s_waitcnt vmcnt(0)
	v_lshrrev_b32_e32 v81, 16, v4
	v_lshrrev_b32_e32 v82, 16, v3
	;; [unrolled: 1-line block ×3, first 2 shown]
	v_cndmask_b32_e32 v4, 0, v4, vcc_lo
	v_cmp_gt_i32_e32 vcc_lo, s15, v50
	v_cndmask_b32_e32 v50, 0, v81, vcc_lo
	v_cmp_gt_i32_e32 vcc_lo, s10, v49
	;; [unrolled: 2-line block ×3, first 2 shown]
	v_lshrrev_b32_e32 v48, 16, v1
	v_cndmask_b32_e32 v3, 0, v3, vcc_lo
	v_cmp_gt_i32_e32 vcc_lo, s8, v42
	v_perm_b32 v4, v50, v4, 0x5040100
	s_delay_alu instid0(VALU_DEP_3)
	v_perm_b32 v3, v49, v3, 0x5040100
	v_cndmask_b32_e32 v42, 0, v51, vcc_lo
	v_cmp_gt_i32_e32 vcc_lo, s7, v40
	v_cndmask_b32_e32 v2, 0, v2, vcc_lo
	v_cmp_gt_i32_e32 vcc_lo, s6, v39
	;; [unrolled: 2-line block ×3, first 2 shown]
	v_cndmask_b32_e32 v1, 0, v1, vcc_lo
	v_perm_b32 v2, v42, v2, 0x5040100
	s_delay_alu instid0(VALU_DEP_2)
	v_perm_b32 v1, v39, v1, 0x5040100
	s_branch .LBB109_32
.LBB109_65:
	s_or_b32 exec_lo, exec_lo, s13
.LBB109_66:
	s_delay_alu instid0(SALU_CYCLE_1)
	s_or_b32 exec_lo, exec_lo, s1
	ds_bpermute_b32 v1, v11, v26
	ds_bpermute_b32 v2, v11, v27
	;; [unrolled: 1-line block ×16, first 2 shown]
	v_lshrrev_b32_e32 v10, 1, v10
	s_mov_b32 s0, exec_lo
	s_waitcnt lgkmcnt(0)
	s_waitcnt_vscnt null, 0x0
	s_barrier
	v_add_f32_e32 v28, v26, v1
	v_dual_add_f32 v26, v27, v2 :: v_dual_add_f32 v25, v25, v3
	v_dual_add_f32 v24, v24, v4 :: v_dual_add_f32 v23, v23, v5
	;; [unrolled: 1-line block ×5, first 2 shown]
	v_add_f32_e32 v4, v16, v32
	v_dual_add_f32 v2, v15, v33 :: v_dual_add_f32 v1, v14, v34
	v_and_b32_e32 v14, 0x3c1, v0
	v_add_f32_e32 v3, v12, v36
	v_add_f32_e32 v5, v13, v35
	v_lshl_add_u32 v12, v65, 10, 0x220
	buffer_gl0_inv
	v_cmpx_eq_u32_e32 64, v14
	s_cbranch_execz .LBB109_68
; %bb.67:
	v_lshlrev_b32_e32 v13, 2, v10
	s_delay_alu instid0(VALU_DEP_1)
	v_add3_u32 v13, v12, v13, 0xfffff800
	ds_store_2addr_b32 v13, v28, v26 offset1:16
	ds_store_2addr_b32 v13, v25, v24 offset0:32 offset1:48
	ds_store_2addr_b32 v13, v23, v22 offset0:64 offset1:80
	;; [unrolled: 1-line block ×7, first 2 shown]
.LBB109_68:
	s_or_b32 exec_lo, exec_lo, s0
	v_cmp_eq_u32_e32 vcc_lo, 0, v64
	s_waitcnt lgkmcnt(0)
	s_barrier
	buffer_gl0_inv
	s_and_saveexec_b32 s0, s2
	s_cbranch_execz .LBB109_87
; %bb.69:
	s_and_saveexec_b32 s1, vcc_lo
	s_cbranch_execnz .LBB109_111
; %bb.70:
	s_or_b32 exec_lo, exec_lo, s1
	s_and_saveexec_b32 s1, vcc_lo
	s_cbranch_execnz .LBB109_112
.LBB109_71:
	s_or_b32 exec_lo, exec_lo, s1
	s_and_saveexec_b32 s1, vcc_lo
	s_cbranch_execnz .LBB109_113
.LBB109_72:
	s_or_b32 exec_lo, exec_lo, s1
	s_and_saveexec_b32 s1, vcc_lo
	s_cbranch_execnz .LBB109_114
.LBB109_73:
	s_or_b32 exec_lo, exec_lo, s1
	s_and_saveexec_b32 s1, vcc_lo
	s_cbranch_execnz .LBB109_115
.LBB109_74:
	s_or_b32 exec_lo, exec_lo, s1
	s_and_saveexec_b32 s1, vcc_lo
	s_cbranch_execnz .LBB109_116
.LBB109_75:
	s_or_b32 exec_lo, exec_lo, s1
	s_and_saveexec_b32 s1, vcc_lo
	s_cbranch_execnz .LBB109_117
.LBB109_76:
	s_or_b32 exec_lo, exec_lo, s1
	s_and_saveexec_b32 s1, vcc_lo
	s_cbranch_execnz .LBB109_118
.LBB109_77:
	s_or_b32 exec_lo, exec_lo, s1
	s_and_saveexec_b32 s1, vcc_lo
	s_cbranch_execnz .LBB109_119
.LBB109_78:
	s_or_b32 exec_lo, exec_lo, s1
	s_and_saveexec_b32 s1, vcc_lo
	s_cbranch_execnz .LBB109_120
.LBB109_79:
	s_or_b32 exec_lo, exec_lo, s1
	s_and_saveexec_b32 s1, vcc_lo
	s_cbranch_execnz .LBB109_121
.LBB109_80:
	s_or_b32 exec_lo, exec_lo, s1
	s_and_saveexec_b32 s1, vcc_lo
	s_cbranch_execnz .LBB109_122
.LBB109_81:
	s_or_b32 exec_lo, exec_lo, s1
	s_and_saveexec_b32 s1, vcc_lo
	s_cbranch_execnz .LBB109_123
.LBB109_82:
	s_or_b32 exec_lo, exec_lo, s1
	s_and_saveexec_b32 s1, vcc_lo
	s_cbranch_execnz .LBB109_124
.LBB109_83:
	s_or_b32 exec_lo, exec_lo, s1
	s_and_saveexec_b32 s1, vcc_lo
	s_cbranch_execnz .LBB109_125
.LBB109_84:
	s_or_b32 exec_lo, exec_lo, s1
	s_and_saveexec_b32 s1, vcc_lo
	s_cbranch_execz .LBB109_86
.LBB109_85:
	v_lshl_add_u32 v13, v10, 2, v12
	ds_load_b32 v13, v13 offset:960
	s_waitcnt lgkmcnt(0)
	v_add_f32_e32 v3, v3, v13
.LBB109_86:
	s_or_b32 exec_lo, exec_lo, s1
.LBB109_87:
	s_delay_alu instid0(SALU_CYCLE_1)
	s_or_b32 exec_lo, exec_lo, s0
	v_and_b32_e32 v13, 0x3e1, v0
	s_mov_b32 s1, exec_lo
	s_barrier
	buffer_gl0_inv
	v_cmpx_eq_u32_e32 32, v13
	s_cbranch_execz .LBB109_89
; %bb.88:
	v_lshl_add_u32 v14, v10, 2, 0x220
	ds_store_2addr_b32 v14, v28, v26 offset1:16
	ds_store_2addr_b32 v14, v25, v24 offset0:32 offset1:48
	ds_store_2addr_b32 v14, v23, v22 offset0:64 offset1:80
	;; [unrolled: 1-line block ×7, first 2 shown]
.LBB109_89:
	s_or_b32 exec_lo, exec_lo, s1
	s_delay_alu instid0(SALU_CYCLE_1)
	s_mov_b32 s1, exec_lo
	s_waitcnt lgkmcnt(0)
	s_barrier
	buffer_gl0_inv
	v_cmpx_gt_u32_e32 32, v0
	s_cbranch_execz .LBB109_108
; %bb.90:
	v_lshl_add_u32 v0, v10, 2, v12
	s_and_saveexec_b32 s0, vcc_lo
	s_cbranch_execnz .LBB109_126
; %bb.91:
	s_or_b32 exec_lo, exec_lo, s0
	s_and_saveexec_b32 s0, vcc_lo
	s_cbranch_execnz .LBB109_127
.LBB109_92:
	s_or_b32 exec_lo, exec_lo, s0
	s_and_saveexec_b32 s0, vcc_lo
	s_cbranch_execnz .LBB109_128
.LBB109_93:
	s_or_b32 exec_lo, exec_lo, s0
	s_and_saveexec_b32 s0, vcc_lo
	s_cbranch_execnz .LBB109_129
.LBB109_94:
	s_or_b32 exec_lo, exec_lo, s0
	s_and_saveexec_b32 s0, vcc_lo
	s_cbranch_execnz .LBB109_130
.LBB109_95:
	s_or_b32 exec_lo, exec_lo, s0
	s_and_saveexec_b32 s0, vcc_lo
	s_cbranch_execnz .LBB109_131
.LBB109_96:
	s_or_b32 exec_lo, exec_lo, s0
	s_and_saveexec_b32 s0, vcc_lo
	s_cbranch_execnz .LBB109_132
.LBB109_97:
	s_or_b32 exec_lo, exec_lo, s0
	s_and_saveexec_b32 s0, vcc_lo
	s_cbranch_execnz .LBB109_133
.LBB109_98:
	s_or_b32 exec_lo, exec_lo, s0
	s_and_saveexec_b32 s0, vcc_lo
	s_cbranch_execnz .LBB109_134
.LBB109_99:
	s_or_b32 exec_lo, exec_lo, s0
	s_and_saveexec_b32 s0, vcc_lo
	s_cbranch_execnz .LBB109_135
.LBB109_100:
	s_or_b32 exec_lo, exec_lo, s0
	s_and_saveexec_b32 s0, vcc_lo
	s_cbranch_execnz .LBB109_136
.LBB109_101:
	s_or_b32 exec_lo, exec_lo, s0
	s_and_saveexec_b32 s0, vcc_lo
	s_cbranch_execnz .LBB109_137
.LBB109_102:
	s_or_b32 exec_lo, exec_lo, s0
	s_and_saveexec_b32 s0, vcc_lo
	s_cbranch_execnz .LBB109_138
.LBB109_103:
	s_or_b32 exec_lo, exec_lo, s0
	s_and_saveexec_b32 s0, vcc_lo
	s_cbranch_execnz .LBB109_139
.LBB109_104:
	s_or_b32 exec_lo, exec_lo, s0
	s_and_saveexec_b32 s0, vcc_lo
	s_cbranch_execnz .LBB109_140
.LBB109_105:
	s_or_b32 exec_lo, exec_lo, s0
	s_and_saveexec_b32 s0, vcc_lo
	s_cbranch_execz .LBB109_107
.LBB109_106:
	ds_load_b32 v0, v0 offset:960
	s_waitcnt lgkmcnt(0)
	v_add_f32_e32 v3, v3, v0
.LBB109_107:
	s_or_b32 exec_lo, exec_lo, s0
.LBB109_108:
	s_delay_alu instid0(SALU_CYCLE_1)
	s_or_b32 exec_lo, exec_lo, s1
	s_barrier
	buffer_gl0_inv
	s_mov_b32 s0, exec_lo
	v_cmpx_eq_u32_e32 0, v13
	s_cbranch_execz .LBB109_110
; %bb.109:
	s_lshl_b32 s0, s14, 8
	s_mul_i32 s2, s17, s16
	s_ashr_i32 s1, s0, 31
	v_lshlrev_b32_e32 v0, 1, v63
	s_lshl_b64 s[0:1], s[0:1], 1
	;;#ASMSTART
	v_cvt_f16_f32 v10, v28;

	;;#ASMEND
	s_add_u32 s4, s18, s0
	s_addc_u32 s5, s19, s1
	s_ashr_i32 s3, s2, 31
	s_delay_alu instid0(SALU_CYCLE_1) | instskip(NEXT) | instid1(SALU_CYCLE_1)
	s_lshl_b64 s[0:1], s[2:3], 1
	s_add_u32 s2, s4, s0
	s_addc_u32 s3, s5, s1
	s_lshl_b32 s0, s12, 8
	s_delay_alu instid0(SALU_CYCLE_1) | instskip(NEXT) | instid1(SALU_CYCLE_1)
	s_ashr_i32 s1, s0, 31
	s_lshl_b64 s[0:1], s[0:1], 1
	s_delay_alu instid0(SALU_CYCLE_1)
	s_add_u32 s0, s2, s0
	s_addc_u32 s1, s3, s1
	global_store_b16 v0, v10, s[0:1]
	;;#ASMSTART
	v_cvt_f16_f32 v10, v26;

	;;#ASMEND
	global_store_b16 v0, v10, s[0:1] offset:32
	;;#ASMSTART
	v_cvt_f16_f32 v10, v25;

	;;#ASMEND
	global_store_b16 v0, v10, s[0:1] offset:64
	;; [unrolled: 5-line block ×15, first 2 shown]
.LBB109_110:
	s_nop 0
	s_sendmsg sendmsg(MSG_DEALLOC_VGPRS)
	s_endpgm
.LBB109_111:
	v_lshl_add_u32 v13, v10, 2, v12
	ds_load_b32 v13, v13
	s_waitcnt lgkmcnt(0)
	v_add_f32_e32 v28, v28, v13
	s_or_b32 exec_lo, exec_lo, s1
	s_and_saveexec_b32 s1, vcc_lo
	s_cbranch_execz .LBB109_71
.LBB109_112:
	v_lshl_add_u32 v13, v10, 2, v12
	ds_load_b32 v13, v13 offset:64
	s_waitcnt lgkmcnt(0)
	v_add_f32_e32 v26, v26, v13
	s_or_b32 exec_lo, exec_lo, s1
	s_and_saveexec_b32 s1, vcc_lo
	s_cbranch_execz .LBB109_72
.LBB109_113:
	v_lshl_add_u32 v13, v10, 2, v12
	ds_load_b32 v13, v13 offset:128
	s_waitcnt lgkmcnt(0)
	v_add_f32_e32 v25, v25, v13
	s_or_b32 exec_lo, exec_lo, s1
	s_and_saveexec_b32 s1, vcc_lo
	s_cbranch_execz .LBB109_73
.LBB109_114:
	v_lshl_add_u32 v13, v10, 2, v12
	ds_load_b32 v13, v13 offset:192
	s_waitcnt lgkmcnt(0)
	v_add_f32_e32 v24, v24, v13
	s_or_b32 exec_lo, exec_lo, s1
	s_and_saveexec_b32 s1, vcc_lo
	s_cbranch_execz .LBB109_74
.LBB109_115:
	v_lshl_add_u32 v13, v10, 2, v12
	ds_load_b32 v13, v13 offset:256
	s_waitcnt lgkmcnt(0)
	v_add_f32_e32 v23, v23, v13
	s_or_b32 exec_lo, exec_lo, s1
	s_and_saveexec_b32 s1, vcc_lo
	s_cbranch_execz .LBB109_75
.LBB109_116:
	v_lshl_add_u32 v13, v10, 2, v12
	ds_load_b32 v13, v13 offset:320
	s_waitcnt lgkmcnt(0)
	v_add_f32_e32 v22, v22, v13
	s_or_b32 exec_lo, exec_lo, s1
	s_and_saveexec_b32 s1, vcc_lo
	s_cbranch_execz .LBB109_76
.LBB109_117:
	v_lshl_add_u32 v13, v10, 2, v12
	ds_load_b32 v13, v13 offset:384
	s_waitcnt lgkmcnt(0)
	v_add_f32_e32 v11, v11, v13
	s_or_b32 exec_lo, exec_lo, s1
	s_and_saveexec_b32 s1, vcc_lo
	s_cbranch_execz .LBB109_77
.LBB109_118:
	v_lshl_add_u32 v13, v10, 2, v12
	ds_load_b32 v13, v13 offset:448
	s_waitcnt lgkmcnt(0)
	v_add_f32_e32 v9, v9, v13
	s_or_b32 exec_lo, exec_lo, s1
	s_and_saveexec_b32 s1, vcc_lo
	s_cbranch_execz .LBB109_78
.LBB109_119:
	v_lshl_add_u32 v13, v10, 2, v12
	ds_load_b32 v13, v13 offset:512
	s_waitcnt lgkmcnt(0)
	v_add_f32_e32 v8, v8, v13
	s_or_b32 exec_lo, exec_lo, s1
	s_and_saveexec_b32 s1, vcc_lo
	s_cbranch_execz .LBB109_79
.LBB109_120:
	v_lshl_add_u32 v13, v10, 2, v12
	ds_load_b32 v13, v13 offset:576
	s_waitcnt lgkmcnt(0)
	v_add_f32_e32 v7, v7, v13
	s_or_b32 exec_lo, exec_lo, s1
	s_and_saveexec_b32 s1, vcc_lo
	s_cbranch_execz .LBB109_80
.LBB109_121:
	v_lshl_add_u32 v13, v10, 2, v12
	ds_load_b32 v13, v13 offset:640
	s_waitcnt lgkmcnt(0)
	v_add_f32_e32 v6, v6, v13
	s_or_b32 exec_lo, exec_lo, s1
	s_and_saveexec_b32 s1, vcc_lo
	s_cbranch_execz .LBB109_81
.LBB109_122:
	v_lshl_add_u32 v13, v10, 2, v12
	ds_load_b32 v13, v13 offset:704
	s_waitcnt lgkmcnt(0)
	v_add_f32_e32 v4, v4, v13
	s_or_b32 exec_lo, exec_lo, s1
	s_and_saveexec_b32 s1, vcc_lo
	s_cbranch_execz .LBB109_82
.LBB109_123:
	v_lshl_add_u32 v13, v10, 2, v12
	ds_load_b32 v13, v13 offset:768
	s_waitcnt lgkmcnt(0)
	v_add_f32_e32 v2, v2, v13
	s_or_b32 exec_lo, exec_lo, s1
	s_and_saveexec_b32 s1, vcc_lo
	s_cbranch_execz .LBB109_83
.LBB109_124:
	v_lshl_add_u32 v13, v10, 2, v12
	ds_load_b32 v13, v13 offset:832
	s_waitcnt lgkmcnt(0)
	v_add_f32_e32 v1, v1, v13
	s_or_b32 exec_lo, exec_lo, s1
	s_and_saveexec_b32 s1, vcc_lo
	s_cbranch_execz .LBB109_84
.LBB109_125:
	v_lshl_add_u32 v13, v10, 2, v12
	ds_load_b32 v13, v13 offset:896
	s_waitcnt lgkmcnt(0)
	v_add_f32_e32 v5, v5, v13
	s_or_b32 exec_lo, exec_lo, s1
	s_and_saveexec_b32 s1, vcc_lo
	s_cbranch_execnz .LBB109_85
	s_branch .LBB109_86
.LBB109_126:
	ds_load_b32 v10, v0
	s_waitcnt lgkmcnt(0)
	v_add_f32_e32 v28, v28, v10
	s_or_b32 exec_lo, exec_lo, s0
	s_and_saveexec_b32 s0, vcc_lo
	s_cbranch_execz .LBB109_92
.LBB109_127:
	ds_load_b32 v10, v0 offset:64
	s_waitcnt lgkmcnt(0)
	v_add_f32_e32 v26, v26, v10
	s_or_b32 exec_lo, exec_lo, s0
	s_and_saveexec_b32 s0, vcc_lo
	s_cbranch_execz .LBB109_93
.LBB109_128:
	ds_load_b32 v10, v0 offset:128
	s_waitcnt lgkmcnt(0)
	v_add_f32_e32 v25, v25, v10
	s_or_b32 exec_lo, exec_lo, s0
	s_and_saveexec_b32 s0, vcc_lo
	s_cbranch_execz .LBB109_94
.LBB109_129:
	ds_load_b32 v10, v0 offset:192
	s_waitcnt lgkmcnt(0)
	v_add_f32_e32 v24, v24, v10
	s_or_b32 exec_lo, exec_lo, s0
	s_and_saveexec_b32 s0, vcc_lo
	s_cbranch_execz .LBB109_95
.LBB109_130:
	ds_load_b32 v10, v0 offset:256
	s_waitcnt lgkmcnt(0)
	v_add_f32_e32 v23, v23, v10
	s_or_b32 exec_lo, exec_lo, s0
	s_and_saveexec_b32 s0, vcc_lo
	s_cbranch_execz .LBB109_96
.LBB109_131:
	ds_load_b32 v10, v0 offset:320
	s_waitcnt lgkmcnt(0)
	v_add_f32_e32 v22, v22, v10
	s_or_b32 exec_lo, exec_lo, s0
	s_and_saveexec_b32 s0, vcc_lo
	s_cbranch_execz .LBB109_97
.LBB109_132:
	ds_load_b32 v10, v0 offset:384
	s_waitcnt lgkmcnt(0)
	v_add_f32_e32 v11, v11, v10
	s_or_b32 exec_lo, exec_lo, s0
	s_and_saveexec_b32 s0, vcc_lo
	s_cbranch_execz .LBB109_98
.LBB109_133:
	ds_load_b32 v10, v0 offset:448
	s_waitcnt lgkmcnt(0)
	v_add_f32_e32 v9, v9, v10
	s_or_b32 exec_lo, exec_lo, s0
	s_and_saveexec_b32 s0, vcc_lo
	s_cbranch_execz .LBB109_99
.LBB109_134:
	ds_load_b32 v10, v0 offset:512
	s_waitcnt lgkmcnt(0)
	v_add_f32_e32 v8, v8, v10
	s_or_b32 exec_lo, exec_lo, s0
	s_and_saveexec_b32 s0, vcc_lo
	s_cbranch_execz .LBB109_100
.LBB109_135:
	ds_load_b32 v10, v0 offset:576
	s_waitcnt lgkmcnt(0)
	v_add_f32_e32 v7, v7, v10
	s_or_b32 exec_lo, exec_lo, s0
	s_and_saveexec_b32 s0, vcc_lo
	s_cbranch_execz .LBB109_101
.LBB109_136:
	ds_load_b32 v10, v0 offset:640
	s_waitcnt lgkmcnt(0)
	v_add_f32_e32 v6, v6, v10
	s_or_b32 exec_lo, exec_lo, s0
	s_and_saveexec_b32 s0, vcc_lo
	s_cbranch_execz .LBB109_102
.LBB109_137:
	ds_load_b32 v10, v0 offset:704
	s_waitcnt lgkmcnt(0)
	v_add_f32_e32 v4, v4, v10
	s_or_b32 exec_lo, exec_lo, s0
	s_and_saveexec_b32 s0, vcc_lo
	s_cbranch_execz .LBB109_103
.LBB109_138:
	ds_load_b32 v10, v0 offset:768
	s_waitcnt lgkmcnt(0)
	v_add_f32_e32 v2, v2, v10
	s_or_b32 exec_lo, exec_lo, s0
	s_and_saveexec_b32 s0, vcc_lo
	s_cbranch_execz .LBB109_104
.LBB109_139:
	ds_load_b32 v10, v0 offset:832
	s_waitcnt lgkmcnt(0)
	v_add_f32_e32 v1, v1, v10
	s_or_b32 exec_lo, exec_lo, s0
	s_and_saveexec_b32 s0, vcc_lo
	s_cbranch_execz .LBB109_105
.LBB109_140:
	ds_load_b32 v10, v0 offset:896
	s_waitcnt lgkmcnt(0)
	v_add_f32_e32 v5, v5, v10
	s_or_b32 exec_lo, exec_lo, s0
	s_and_saveexec_b32 s0, vcc_lo
	s_cbranch_execnz .LBB109_106
	s_branch .LBB109_107
	.section	.rodata,"a",@progbits
	.p2align	6, 0x0
	.amdhsa_kernel _ZN4vllm25paged_attention_v2_kernelIttLi256ELi16ELi128ELNS_18Fp8KVCacheDataTypeE0ELb0ELi512EEEvPfS2_PT_PKS3_PKT0_S9_ifPKiSB_iPKfiiiSD_SD_iiiii
		.amdhsa_group_segment_fixed_size 544
		.amdhsa_private_segment_fixed_size 0
		.amdhsa_kernarg_size 400
		.amdhsa_user_sgpr_count 13
		.amdhsa_user_sgpr_dispatch_ptr 0
		.amdhsa_user_sgpr_queue_ptr 0
		.amdhsa_user_sgpr_kernarg_segment_ptr 1
		.amdhsa_user_sgpr_dispatch_id 0
		.amdhsa_user_sgpr_private_segment_size 0
		.amdhsa_wavefront_size32 1
		.amdhsa_uses_dynamic_stack 0
		.amdhsa_enable_private_segment 0
		.amdhsa_system_sgpr_workgroup_id_x 1
		.amdhsa_system_sgpr_workgroup_id_y 1
		.amdhsa_system_sgpr_workgroup_id_z 1
		.amdhsa_system_sgpr_workgroup_info 0
		.amdhsa_system_vgpr_workitem_id 0
		.amdhsa_next_free_vgpr 131
		.amdhsa_next_free_sgpr 40
		.amdhsa_reserve_vcc 1
		.amdhsa_float_round_mode_32 0
		.amdhsa_float_round_mode_16_64 0
		.amdhsa_float_denorm_mode_32 3
		.amdhsa_float_denorm_mode_16_64 3
		.amdhsa_dx10_clamp 1
		.amdhsa_ieee_mode 1
		.amdhsa_fp16_overflow 0
		.amdhsa_workgroup_processor_mode 1
		.amdhsa_memory_ordered 1
		.amdhsa_forward_progress 0
		.amdhsa_shared_vgpr_count 0
		.amdhsa_exception_fp_ieee_invalid_op 0
		.amdhsa_exception_fp_denorm_src 0
		.amdhsa_exception_fp_ieee_div_zero 0
		.amdhsa_exception_fp_ieee_overflow 0
		.amdhsa_exception_fp_ieee_underflow 0
		.amdhsa_exception_fp_ieee_inexact 0
		.amdhsa_exception_int_div_zero 0
	.end_amdhsa_kernel
	.section	.text._ZN4vllm25paged_attention_v2_kernelIttLi256ELi16ELi128ELNS_18Fp8KVCacheDataTypeE0ELb0ELi512EEEvPfS2_PT_PKS3_PKT0_S9_ifPKiSB_iPKfiiiSD_SD_iiiii,"axG",@progbits,_ZN4vllm25paged_attention_v2_kernelIttLi256ELi16ELi128ELNS_18Fp8KVCacheDataTypeE0ELb0ELi512EEEvPfS2_PT_PKS3_PKT0_S9_ifPKiSB_iPKfiiiSD_SD_iiiii,comdat
.Lfunc_end109:
	.size	_ZN4vllm25paged_attention_v2_kernelIttLi256ELi16ELi128ELNS_18Fp8KVCacheDataTypeE0ELb0ELi512EEEvPfS2_PT_PKS3_PKT0_S9_ifPKiSB_iPKfiiiSD_SD_iiiii, .Lfunc_end109-_ZN4vllm25paged_attention_v2_kernelIttLi256ELi16ELi128ELNS_18Fp8KVCacheDataTypeE0ELb0ELi512EEEvPfS2_PT_PKS3_PKT0_S9_ifPKiSB_iPKfiiiSD_SD_iiiii
                                        ; -- End function
	.section	.AMDGPU.csdata,"",@progbits
; Kernel info:
; codeLenInByte = 20752
; NumSgprs: 42
; NumVgprs: 131
; ScratchSize: 0
; MemoryBound: 0
; FloatMode: 240
; IeeeMode: 1
; LDSByteSize: 544 bytes/workgroup (compile time only)
; SGPRBlocks: 5
; VGPRBlocks: 16
; NumSGPRsForWavesPerEU: 42
; NumVGPRsForWavesPerEU: 131
; Occupancy: 10
; WaveLimiterHint : 1
; COMPUTE_PGM_RSRC2:SCRATCH_EN: 0
; COMPUTE_PGM_RSRC2:USER_SGPR: 13
; COMPUTE_PGM_RSRC2:TRAP_HANDLER: 0
; COMPUTE_PGM_RSRC2:TGID_X_EN: 1
; COMPUTE_PGM_RSRC2:TGID_Y_EN: 1
; COMPUTE_PGM_RSRC2:TGID_Z_EN: 1
; COMPUTE_PGM_RSRC2:TIDIG_COMP_CNT: 0
	.section	.text._ZN4vllm25paged_attention_v2_kernelIttLi32ELi32ELi128ELNS_18Fp8KVCacheDataTypeE0ELb1ELi512EEEvPfS2_PT_PKS3_PKT0_S9_ifPKiSB_iPKfiiiSD_SD_iiiii,"axG",@progbits,_ZN4vllm25paged_attention_v2_kernelIttLi32ELi32ELi128ELNS_18Fp8KVCacheDataTypeE0ELb1ELi512EEEvPfS2_PT_PKS3_PKT0_S9_ifPKiSB_iPKfiiiSD_SD_iiiii,comdat
	.protected	_ZN4vllm25paged_attention_v2_kernelIttLi32ELi32ELi128ELNS_18Fp8KVCacheDataTypeE0ELb1ELi512EEEvPfS2_PT_PKS3_PKT0_S9_ifPKiSB_iPKfiiiSD_SD_iiiii ; -- Begin function _ZN4vllm25paged_attention_v2_kernelIttLi32ELi32ELi128ELNS_18Fp8KVCacheDataTypeE0ELb1ELi512EEEvPfS2_PT_PKS3_PKT0_S9_ifPKiSB_iPKfiiiSD_SD_iiiii
	.globl	_ZN4vllm25paged_attention_v2_kernelIttLi32ELi32ELi128ELNS_18Fp8KVCacheDataTypeE0ELb1ELi512EEEvPfS2_PT_PKS3_PKT0_S9_ifPKiSB_iPKfiiiSD_SD_iiiii
	.p2align	8
	.type	_ZN4vllm25paged_attention_v2_kernelIttLi32ELi32ELi128ELNS_18Fp8KVCacheDataTypeE0ELb1ELi512EEEvPfS2_PT_PKS3_PKT0_S9_ifPKiSB_iPKfiiiSD_SD_iiiii,@function
_ZN4vllm25paged_attention_v2_kernelIttLi32ELi32ELi128ELNS_18Fp8KVCacheDataTypeE0ELb1ELi512EEEvPfS2_PT_PKS3_PKT0_S9_ifPKiSB_iPKfiiiSD_SD_iiiii: ; @_ZN4vllm25paged_attention_v2_kernelIttLi32ELi32ELi128ELNS_18Fp8KVCacheDataTypeE0ELb1ELi512EEEvPfS2_PT_PKS3_PKT0_S9_ifPKiSB_iPKfiiiSD_SD_iiiii
; %bb.0:
	s_load_b64 s[2:3], s[0:1], 0x40
	s_mov_b32 s12, s15
	s_ashr_i32 s15, s14, 31
	s_delay_alu instid0(SALU_CYCLE_1)
	s_lshl_b64 s[4:5], s[14:15], 2
	s_waitcnt lgkmcnt(0)
	s_add_u32 s2, s2, s4
	s_addc_u32 s3, s3, s5
	s_lshl_b32 s37, s12, 9
	s_load_b32 s15, s[2:3], 0x0
	s_waitcnt lgkmcnt(0)
	s_cmp_ge_i32 s37, s15
	s_cbranch_scc1 .LBB110_68
; %bb.1:
	s_mov_b32 s24, s13
	s_clause 0x1
	s_load_b32 s13, s[0:1], 0x90
	s_load_b64 s[2:3], s[0:1], 0x30
	s_mov_b32 s39, 0
	s_waitcnt lgkmcnt(0)
	s_abs_i32 s7, s13
	s_abs_i32 s4, s2
	s_delay_alu instid0(SALU_CYCLE_1) | instskip(SKIP_1) | instid1(VALU_DEP_1)
	v_cvt_f32_u32_e32 v1, s4
	s_sub_i32 s6, 0, s4
	v_rcp_iflag_f32_e32 v1, v1
	s_waitcnt_depctr 0xfff
	v_mul_f32_e32 v1, 0x4f7ffffe, v1
	s_delay_alu instid0(VALU_DEP_1) | instskip(NEXT) | instid1(VALU_DEP_1)
	v_cvt_u32_f32_e32 v1, v1
	v_readfirstlane_b32 s5, v1
	s_delay_alu instid0(VALU_DEP_1) | instskip(NEXT) | instid1(SALU_CYCLE_1)
	s_mul_i32 s6, s6, s5
	s_mul_hi_u32 s6, s5, s6
	s_delay_alu instid0(SALU_CYCLE_1) | instskip(SKIP_4) | instid1(SALU_CYCLE_1)
	s_add_i32 s5, s5, s6
	s_xor_b32 s6, s13, s2
	s_mul_hi_u32 s5, s7, s5
	s_ashr_i32 s6, s6, 31
	s_mul_i32 s8, s5, s4
	s_sub_i32 s7, s7, s8
	s_add_i32 s8, s5, 1
	s_sub_i32 s9, s7, s4
	s_cmp_ge_u32 s7, s4
	s_cselect_b32 s5, s8, s5
	s_cselect_b32 s7, s9, s7
	s_add_i32 s8, s5, 1
	s_cmp_ge_u32 s7, s4
	s_cselect_b32 s4, s8, s5
	s_abs_i32 s17, s24
	s_xor_b32 s4, s4, s6
	s_delay_alu instid0(SALU_CYCLE_1) | instskip(SKIP_2) | instid1(SALU_CYCLE_1)
	s_sub_i32 s8, s4, s6
	s_load_b64 s[4:5], s[0:1], 0x50
	s_abs_i32 s16, s8
	v_cvt_f32_u32_e32 v1, s16
	s_sub_i32 s7, 0, s16
	s_delay_alu instid0(VALU_DEP_1) | instskip(SKIP_2) | instid1(VALU_DEP_1)
	v_rcp_iflag_f32_e32 v1, v1
	s_waitcnt_depctr 0xfff
	v_mul_f32_e32 v1, 0x4f7ffffe, v1
	v_cvt_u32_f32_e32 v1, v1
	s_delay_alu instid0(VALU_DEP_1) | instskip(NEXT) | instid1(VALU_DEP_1)
	v_readfirstlane_b32 s6, v1
	s_mul_i32 s7, s7, s6
	s_delay_alu instid0(SALU_CYCLE_1) | instskip(NEXT) | instid1(SALU_CYCLE_1)
	s_mul_hi_u32 s7, s6, s7
	s_add_i32 s6, s6, s7
	s_waitcnt lgkmcnt(0)
	s_cmp_eq_u64 s[4:5], 0
	s_mul_hi_u32 s18, s17, s6
	s_cbranch_scc1 .LBB110_3
; %bb.2:
	s_ashr_i32 s25, s24, 31
	s_delay_alu instid0(SALU_CYCLE_1) | instskip(NEXT) | instid1(SALU_CYCLE_1)
	s_lshl_b64 s[6:7], s[24:25], 2
	s_add_u32 s4, s4, s6
	s_addc_u32 s5, s5, s7
	s_load_b32 s39, s[4:5], 0x0
.LBB110_3:
	s_load_b128 s[4:7], s[0:1], 0x58
	v_lshlrev_b32_e32 v5, 4, v0
	s_waitcnt lgkmcnt(0)
	s_ashr_i32 s7, s24, 31
	s_ashr_i32 s19, s8, 31
	s_lshl_b32 s20, s24, 5
	s_mov_b32 s8, exec_lo
	v_cmpx_gt_u32_e32 4, v0
	s_cbranch_execz .LBB110_5
; %bb.4:
	s_load_b64 s[10:11], s[0:1], 0x18
	s_mul_i32 s22, s14, s4
	s_delay_alu instid0(SALU_CYCLE_1) | instskip(NEXT) | instid1(SALU_CYCLE_1)
	s_ashr_i32 s23, s22, 31
	s_lshl_b64 s[22:23], s[22:23], 1
	s_waitcnt lgkmcnt(0)
	s_add_u32 s4, s10, s22
	s_addc_u32 s9, s11, s23
	s_ashr_i32 s21, s20, 31
	s_delay_alu instid0(SALU_CYCLE_1) | instskip(NEXT) | instid1(SALU_CYCLE_1)
	s_lshl_b64 s[10:11], s[20:21], 1
	s_add_u32 s10, s4, s10
	s_addc_u32 s11, s9, s11
	global_load_b128 v[1:4], v5, s[10:11]
	s_waitcnt vmcnt(0)
	ds_store_b128 v5, v[1:4]
.LBB110_5:
	s_or_b32 exec_lo, exec_lo, s8
	s_load_b128 s[8:11], s[0:1], 0x78
	s_mul_i32 s4, s18, s16
	s_xor_b32 s7, s7, s19
	s_sub_i32 s4, s17, s4
	s_add_i32 s17, s18, 1
	s_sub_i32 s19, s4, s16
	s_cmp_ge_u32 s4, s16
	s_waitcnt lgkmcnt(0)
	s_cselect_b32 s17, s17, s18
	s_cselect_b32 s4, s19, s4
	s_add_i32 s18, s17, 1
	s_cmp_ge_u32 s4, s16
	s_load_b32 s4, s[0:1], 0x88
	s_cselect_b32 s16, s18, s17
	s_mov_b32 s17, -1
	s_xor_b32 s16, s16, s7
	s_waitcnt lgkmcnt(0)
	s_barrier
	s_sub_i32 s34, s16, s7
	s_add_i32 s16, s15, -1
	buffer_gl0_inv
	s_abs_i32 s21, s11
	s_abs_i32 s28, s16
	v_cvt_f32_u32_e32 v1, s21
	s_sub_i32 s7, 0, s21
                                        ; implicit-def: $sgpr33
	s_delay_alu instid0(VALU_DEP_1) | instskip(SKIP_2) | instid1(VALU_DEP_1)
	v_rcp_iflag_f32_e32 v1, v1
	s_waitcnt_depctr 0xfff
	v_mul_f32_e32 v1, 0x4f7ffffe, v1
	v_cvt_u32_f32_e32 v1, v1
	s_delay_alu instid0(VALU_DEP_1) | instskip(NEXT) | instid1(VALU_DEP_1)
	v_readfirstlane_b32 s25, v1
	s_mul_i32 s7, s7, s25
	s_delay_alu instid0(SALU_CYCLE_1) | instskip(NEXT) | instid1(SALU_CYCLE_1)
	s_mul_hi_u32 s7, s25, s7
	s_add_i32 s25, s25, s7
	s_cmp_lt_i32 s4, 0
	s_mul_hi_u32 s7, s28, s25
	s_cbranch_scc0 .LBB110_7
; %bb.6:
	s_mul_i32 s2, s8, s2
	s_mov_b32 s17, 0
	s_add_i32 s2, s34, s2
	s_delay_alu instid0(SALU_CYCLE_1) | instskip(NEXT) | instid1(SALU_CYCLE_1)
	s_mul_i32 s2, s2, s4
	s_sub_i32 s33, 1, s2
.LBB110_7:
	s_load_b64 s[26:27], s[0:1], 0x38
	s_ashr_i32 s2, s16, 31
	s_and_not1_b32 vcc_lo, exec_lo, s17
	s_ashr_i32 s11, s11, 31
	s_cbranch_vccnz .LBB110_9
; %bb.8:
	s_mul_i32 s8, s13, s8
	s_delay_alu instid0(SALU_CYCLE_1) | instskip(NEXT) | instid1(SALU_CYCLE_1)
	s_add_i32 s8, s8, s24
	s_mul_i32 s4, s8, s4
	s_delay_alu instid0(SALU_CYCLE_1)
	s_add_i32 s33, s4, 1
.LBB110_9:
	s_clause 0x4
	s_load_b32 s8, s[0:1], 0x48
	s_load_b64 s[30:31], s[0:1], 0x28
	s_load_b32 s4, s[0:1], 0x98
	s_load_b128 s[16:19], s[0:1], 0x0
	s_load_b64 s[22:23], s[0:1], 0x10
	s_xor_b32 s35, s2, s11
	s_mul_i32 s2, s7, s21
	s_add_i32 s36, s7, 1
	s_sub_i32 s2, s28, s2
	v_lshrrev_b32_e32 v14, 5, v0
	v_dual_mov_b32 v4, 0xff7fffff :: v_dual_and_b32 v15, 31, v0
	s_mul_i32 s34, s34, s6
	s_delay_alu instid0(VALU_DEP_2) | instskip(NEXT) | instid1(VALU_DEP_2)
	v_lshl_add_u32 v16, v14, 5, s37
	v_lshlrev_b32_e32 v3, 2, v15
	s_waitcnt lgkmcnt(0)
	s_mul_i32 s28, s14, s8
	s_sub_i32 s8, s2, s21
	s_ashr_i32 s29, s28, 31
	s_cmp_ge_u32 s2, s21
	s_cselect_b32 s7, s36, s7
	s_cselect_b32 s2, s8, s2
	s_add_i32 s8, s7, 1
	s_cmp_ge_u32 s2, s21
	s_cselect_b32 s2, s8, s7
	s_add_i32 s8, s15, 31
	s_lshl_b32 s7, s12, 4
	s_ashr_i32 s36, s8, 31
	v_add_nc_u32_e32 v9, s7, v14
	s_lshr_b32 s36, s36, 27
	s_add_i32 s38, s7, 16
	s_add_i32 s8, s8, s36
	s_xor_b32 s40, s2, s35
	s_ashr_i32 s36, s8, 5
	v_ashrrev_i32_e32 v10, 31, v9
	s_min_i32 s8, s38, s36
	s_sub_i32 s38, s40, s35
	v_cmp_gt_i32_e64 s2, s8, v9
	s_delay_alu instid0(VALU_DEP_1)
	s_and_saveexec_b32 s6, s2
	s_cbranch_execz .LBB110_17
; %bb.10:
	s_load_b64 s[0:1], s[0:1], 0x20
	s_ashr_i32 s35, s34, 31
	v_dual_mov_b32 v4, 0xff7fffff :: v_dual_lshlrev_b32 v13, 4, v15
	s_lshl_b64 s[40:41], s[34:35], 1
	s_sub_i32 s35, s38, s9
	v_subrev_nc_u32_e32 v11, s15, v15
	v_lshl_or_b32 v12, v14, 7, v3
	v_cmp_neq_f32_e64 vcc_lo, s39, 0
	v_lshl_add_u32 v6, v14, 5, s37
	s_delay_alu instid0(VALU_DEP_4) | instskip(NEXT) | instid1(VALU_DEP_4)
	v_dual_mov_b32 v8, 0 :: v_dual_add_nc_u32 v11, 1, v11
	v_add_nc_u32_e32 v12, 0x60, v12
	s_waitcnt lgkmcnt(0)
	s_add_u32 s42, s0, s40
	s_addc_u32 s41, s1, s41
	s_abs_i32 s40, s10
	v_add_co_u32 v13, s42, s42, v13
	v_cvt_f32_u32_e32 v1, s40
	s_sub_i32 s0, 0, s40
	s_delay_alu instid0(VALU_DEP_1) | instskip(SKIP_2) | instid1(VALU_DEP_1)
	v_rcp_iflag_f32_e32 v1, v1
	s_waitcnt_depctr 0xfff
	v_mul_f32_e32 v1, 0x4f7ffffe, v1
	v_cvt_u32_f32_e32 v18, v1
	v_lshlrev_b64 v[1:2], 2, v[9:10]
	s_delay_alu instid0(VALU_DEP_2) | instskip(SKIP_1) | instid1(SALU_CYCLE_1)
	v_mul_lo_u32 v17, s0, v18
	s_lshl_b64 s[0:1], s[28:29], 2
	s_add_u32 s0, s26, s0
	s_addc_u32 s1, s27, s1
	s_delay_alu instid0(VALU_DEP_2) | instskip(NEXT) | instid1(VALU_DEP_1)
	v_add_co_u32 v1, s0, s0, v1
	v_add_co_ci_u32_e64 v2, s0, s1, v2, s0
	s_delay_alu instid0(VALU_DEP_3) | instskip(SKIP_4) | instid1(VALU_DEP_3)
	v_mul_hi_u32 v19, v18, v17
	v_mov_b32_e32 v7, 0xff7fffff
	v_add_co_ci_u32_e64 v17, null, s41, 0, s42
	s_mov_b32 s42, s5
	s_mov_b32 s41, 0
	v_dual_mov_b32 v19, v9 :: v_dual_add_nc_u32 v18, v18, v19
	s_branch .LBB110_12
.LBB110_11:                             ;   in Loop: Header=BB110_12 Depth=1
	s_or_b32 exec_lo, exec_lo, s1
	v_add_nc_u32_e32 v19, 4, v19
	v_add_co_u32 v1, s1, v1, 16
	s_delay_alu instid0(VALU_DEP_1) | instskip(NEXT) | instid1(VALU_DEP_3)
	v_add_co_ci_u32_e64 v2, s1, 0, v2, s1
	v_cmp_le_i32_e64 s0, s8, v19
	v_add_nc_u32_e32 v6, 0x80, v6
	v_add_nc_u32_e32 v12, 0x200, v12
	s_delay_alu instid0(VALU_DEP_3) | instskip(NEXT) | instid1(SALU_CYCLE_1)
	s_or_b32 s41, s0, s41
	s_and_not1_b32 exec_lo, exec_lo, s41
	s_cbranch_execz .LBB110_16
.LBB110_12:                             ; =>This Inner Loop Header: Depth=1
	v_sub_nc_u32_e32 v20, 0, v6
	s_delay_alu instid0(VALU_DEP_1) | instskip(NEXT) | instid1(VALU_DEP_1)
	v_max_i32_e32 v20, v6, v20
	v_mul_hi_u32 v21, v20, s25
	s_delay_alu instid0(VALU_DEP_1) | instskip(NEXT) | instid1(VALU_DEP_1)
	v_mul_lo_u32 v22, v21, s21
	v_sub_nc_u32_e32 v20, v20, v22
	v_add_nc_u32_e32 v22, 1, v21
	s_delay_alu instid0(VALU_DEP_2) | instskip(SKIP_1) | instid1(VALU_DEP_1)
	v_subrev_nc_u32_e32 v23, s21, v20
	v_cmp_le_u32_e64 s0, s21, v20
	v_cndmask_b32_e64 v21, v21, v22, s0
	s_delay_alu instid0(VALU_DEP_3) | instskip(SKIP_1) | instid1(VALU_DEP_3)
	v_cndmask_b32_e64 v20, v20, v23, s0
	v_ashrrev_i32_e32 v22, 31, v6
	v_add_nc_u32_e32 v23, 1, v21
	s_delay_alu instid0(VALU_DEP_3) | instskip(NEXT) | instid1(VALU_DEP_3)
	v_cmp_le_u32_e64 s0, s21, v20
	v_xor_b32_e32 v22, s11, v22
	s_delay_alu instid0(VALU_DEP_2) | instskip(NEXT) | instid1(VALU_DEP_1)
	v_cndmask_b32_e64 v20, v21, v23, s0
	v_xor_b32_e32 v20, v20, v22
	s_delay_alu instid0(VALU_DEP_1) | instskip(NEXT) | instid1(VALU_DEP_1)
	v_sub_nc_u32_e32 v20, v20, v22
	v_add_nc_u32_e32 v21, s33, v20
	v_cmp_ge_i32_e64 s1, s35, v20
	s_delay_alu instid0(VALU_DEP_2) | instskip(NEXT) | instid1(VALU_DEP_1)
	v_sub_nc_u32_e32 v22, 0, v21
	v_max_i32_e32 v22, v21, v22
	v_ashrrev_i32_e32 v21, 31, v21
	s_delay_alu instid0(VALU_DEP_2) | instskip(NEXT) | instid1(VALU_DEP_1)
	v_mul_hi_u32 v23, v22, v18
	v_mul_lo_u32 v23, v23, s40
	s_delay_alu instid0(VALU_DEP_1) | instskip(NEXT) | instid1(VALU_DEP_1)
	v_sub_nc_u32_e32 v22, v22, v23
	v_subrev_nc_u32_e32 v23, s40, v22
	v_cmp_le_u32_e64 s0, s40, v22
	s_delay_alu instid0(VALU_DEP_1) | instskip(NEXT) | instid1(VALU_DEP_1)
	v_cndmask_b32_e64 v22, v22, v23, s0
	v_subrev_nc_u32_e32 v23, s40, v22
	v_cmp_le_u32_e64 s0, s40, v22
	s_delay_alu instid0(VALU_DEP_1) | instskip(NEXT) | instid1(VALU_DEP_1)
	v_cndmask_b32_e64 v22, v22, v23, s0
	v_xor_b32_e32 v22, v22, v21
	s_delay_alu instid0(VALU_DEP_1) | instskip(NEXT) | instid1(VALU_DEP_1)
	v_sub_nc_u32_e32 v21, v22, v21
	v_cmp_ne_u32_e64 s0, 0, v21
	s_delay_alu instid0(VALU_DEP_1) | instskip(NEXT) | instid1(SALU_CYCLE_1)
	s_and_b32 s0, s0, s1
	s_and_saveexec_b32 s1, s0
	s_delay_alu instid0(SALU_CYCLE_1)
	s_xor_b32 s0, exec_lo, s1
	s_cbranch_execz .LBB110_14
; %bb.13:                               ;   in Loop: Header=BB110_12 Depth=1
	ds_store_b32 v12, v7
.LBB110_14:                             ;   in Loop: Header=BB110_12 Depth=1
	s_and_not1_saveexec_b32 s1, s0
	s_cbranch_execz .LBB110_11
; %bb.15:                               ;   in Loop: Header=BB110_12 Depth=1
	global_load_b32 v22, v[1:2], off
	s_waitcnt vmcnt(0)
	v_mad_i64_i32 v[20:21], null, v22, s42, 0
	s_delay_alu instid0(VALU_DEP_1) | instskip(NEXT) | instid1(VALU_DEP_1)
	v_lshlrev_b64 v[20:21], 1, v[20:21]
	v_add_co_u32 v32, s0, v13, v20
	s_delay_alu instid0(VALU_DEP_1)
	v_add_co_ci_u32_e64 v33, s0, v17, v21, s0
	s_clause 0x3
	global_load_b128 v[20:23], v[32:33], off
	global_load_b128 v[24:27], v[32:33], off offset:512
	global_load_b128 v[28:31], v[32:33], off offset:1024
	;; [unrolled: 1-line block ×3, first 2 shown]
	ds_load_b128 v[36:39], v8
	s_waitcnt lgkmcnt(0)
	v_lshrrev_b32_e32 v40, 16, v36
	v_and_b32_e32 v36, 0xffff, v36
	v_lshrrev_b32_e32 v41, 16, v37
	v_and_b32_e32 v37, 0xffff, v37
	;; [unrolled: 2-line block ×4, first 2 shown]
	;;#ASMSTART
	v_cvt_f32_f16 v36, v36;
	;;#ASMEND
	;;#ASMSTART
	v_cvt_f32_f16 v40, v40;
	;;#ASMEND
	s_waitcnt vmcnt(3)
	v_lshrrev_b32_e32 v44, 16, v20
	v_and_b32_e32 v20, 0xffff, v20
	v_lshrrev_b32_e32 v45, 16, v21
	v_and_b32_e32 v21, 0xffff, v21
	;; [unrolled: 2-line block ×4, first 2 shown]
	;;#ASMSTART
	v_cvt_f32_f16 v48, v20;
	;;#ASMEND
	;;#ASMSTART
	v_cvt_f32_f16 v44, v44;
	;;#ASMEND
	;; [unrolled: 3-line block ×14, first 2 shown]
	ds_load_b128 v[20:23], v8 offset:16
	s_waitcnt vmcnt(2)
	v_lshrrev_b32_e32 v53, 16, v24
	v_and_b32_e32 v24, 0xffff, v24
	v_lshrrev_b32_e32 v54, 16, v25
	v_lshrrev_b32_e32 v55, 16, v26
	v_and_b32_e32 v26, 0xffff, v26
	v_lshrrev_b32_e32 v56, 16, v27
	s_waitcnt vmcnt(1)
	v_lshrrev_b32_e32 v57, 16, v28
	v_lshrrev_b32_e32 v66, 16, v29
	v_lshrrev_b32_e32 v67, 16, v30
	v_lshrrev_b32_e32 v68, 16, v31
	s_waitcnt vmcnt(0)
	v_lshrrev_b32_e32 v69, 16, v32
	v_lshrrev_b32_e32 v70, 16, v33
	;; [unrolled: 1-line block ×4, first 2 shown]
	s_waitcnt lgkmcnt(0)
	v_lshrrev_b32_e32 v58, 16, v20
	v_and_b32_e32 v20, 0xffff, v20
	;;#ASMSTART
	v_cvt_f32_f16 v62, v20;
	;;#ASMEND
	;;#ASMSTART
	v_cvt_f32_f16 v58, v58;
	;;#ASMEND
	;; [unrolled: 3-line block ×3, first 2 shown]
	v_dual_mul_f32 v24, v62, v24 :: v_dual_and_b32 v25, 0xffff, v25
	v_lshrrev_b32_e32 v59, 16, v21
	;;#ASMSTART
	v_cvt_f32_f16 v53, v53;
	;;#ASMEND
	v_and_b32_e32 v21, 0xffff, v21
	;;#ASMSTART
	v_cvt_f32_f16 v63, v21;
	;;#ASMEND
	;;#ASMSTART
	v_cvt_f32_f16 v59, v59;
	;;#ASMEND
	v_dual_mul_f32 v53, v58, v53 :: v_dual_fmac_f32 v24, v36, v48
	;;#ASMSTART
	v_cvt_f32_f16 v25, v25;
	;;#ASMEND
	;;#ASMSTART
	v_cvt_f32_f16 v54, v54;
	;;#ASMEND
	v_mul_f32_e32 v54, v59, v54
	s_delay_alu instid0(VALU_DEP_2) | instskip(SKIP_2) | instid1(VALU_DEP_4)
	v_dual_fmac_f32 v53, v40, v44 :: v_dual_add_nc_u32 v52, v11, v6
	v_and_b32_e32 v27, 0xffff, v27
	v_lshrrev_b32_e32 v60, 16, v22
	v_fmac_f32_e32 v54, v41, v45
	v_and_b32_e32 v22, 0xffff, v22
	v_lshrrev_b32_e32 v61, 16, v23
	v_and_b32_e32 v23, 0xffff, v23
	;;#ASMSTART
	v_cvt_f32_f16 v64, v22;
	;;#ASMEND
	;;#ASMSTART
	v_cvt_f32_f16 v60, v60;
	;;#ASMEND
	;; [unrolled: 3-line block ×8, first 2 shown]
	ds_load_b128 v[20:23], v8 offset:32
	v_mul_f32_e32 v25, v63, v25
	v_dual_mul_f32 v55, v60, v55 :: v_dual_mul_f32 v56, v61, v56
	v_dual_mul_f32 v26, v64, v26 :: v_dual_and_b32 v29, 0xffff, v29
	s_delay_alu instid0(VALU_DEP_3) | instskip(NEXT) | instid1(VALU_DEP_3)
	v_dual_fmac_f32 v25, v37, v49 :: v_dual_and_b32 v28, 0xffff, v28
	v_dual_fmac_f32 v55, v42, v46 :: v_dual_fmac_f32 v56, v43, v47
	s_delay_alu instid0(VALU_DEP_3) | instskip(SKIP_1) | instid1(VALU_DEP_2)
	v_dual_mul_f32 v27, v65, v27 :: v_dual_fmac_f32 v26, v38, v50
	v_cvt_f32_i32_e32 v52, v52
	v_fmac_f32_e32 v27, v39, v51
	s_waitcnt lgkmcnt(0)
	v_lshrrev_b32_e32 v58, 16, v20
	v_lshrrev_b32_e32 v59, 16, v21
	;; [unrolled: 1-line block ×3, first 2 shown]
	v_and_b32_e32 v20, 0xffff, v20
	v_lshrrev_b32_e32 v63, 16, v23
	v_and_b32_e32 v23, 0xffff, v23
	;;#ASMSTART
	v_cvt_f32_f16 v73, v20;
	;;#ASMEND
	;;#ASMSTART
	v_cvt_f32_f16 v58, v58;
	;;#ASMEND
	;; [unrolled: 3-line block ×4, first 2 shown]
	v_dual_fmac_f32 v24, v73, v28 :: v_dual_and_b32 v21, 0xffff, v21
	;;#ASMSTART
	v_cvt_f32_f16 v74, v21;
	;;#ASMEND
	;;#ASMSTART
	v_cvt_f32_f16 v59, v59;
	;;#ASMEND
	;; [unrolled: 3-line block ×4, first 2 shown]
	v_dual_fmac_f32 v54, v59, v66 :: v_dual_and_b32 v31, 0xffff, v31
	v_dual_fmac_f32 v25, v74, v29 :: v_dual_and_b32 v22, 0xffff, v22
	;;#ASMSTART
	v_cvt_f32_f16 v75, v22;
	;;#ASMEND
	;;#ASMSTART
	v_cvt_f32_f16 v62, v62;
	;;#ASMEND
	v_and_b32_e32 v30, 0xffff, v30
	;;#ASMSTART
	v_cvt_f32_f16 v30, v30;
	;;#ASMEND
	;;#ASMSTART
	v_cvt_f32_f16 v67, v67;
	;;#ASMEND
	v_fmac_f32_e32 v55, v62, v67
	;;#ASMSTART
	v_cvt_f32_f16 v76, v23;
	;;#ASMEND
	;;#ASMSTART
	v_cvt_f32_f16 v63, v63;
	;;#ASMEND
	;; [unrolled: 3-line block ×4, first 2 shown]
	ds_load_b128 v[20:23], v8 offset:48
	v_dual_fmac_f32 v53, v58, v57 :: v_dual_and_b32 v32, 0xffff, v32
	v_fmac_f32_e32 v27, v76, v31
	v_dual_fmac_f32 v26, v75, v30 :: v_dual_and_b32 v33, 0xffff, v33
	v_dual_fmac_f32 v56, v63, v68 :: v_dual_and_b32 v35, 0xffff, v35
	s_waitcnt lgkmcnt(0)
	v_and_b32_e32 v28, 0xffff, v20
	v_lshrrev_b32_e32 v20, 16, v20
	;;#ASMSTART
	v_cvt_f32_f16 v28, v28;
	;;#ASMEND
	;;#ASMSTART
	v_cvt_f32_f16 v20, v20;
	;;#ASMEND
	;; [unrolled: 3-line block ×4, first 2 shown]
	v_dual_fmac_f32 v53, v20, v31 :: v_dual_and_b32 v34, 0xffff, v34
	v_fmac_f32_e32 v24, v28, v30
	v_lshrrev_b32_e32 v29, 16, v21
	v_and_b32_e32 v21, 0xffff, v21
	;;#ASMSTART
	v_cvt_f32_f16 v20, v21;
	;;#ASMEND
	;;#ASMSTART
	v_cvt_f32_f16 v21, v29;
	;;#ASMEND
	;; [unrolled: 3-line block ×3, first 2 shown]
	v_fmac_f32_e32 v25, v20, v28
	v_add_f32_e32 v20, v24, v53
	v_and_b32_e32 v24, 0xffff, v22
	v_lshrrev_b32_e32 v22, 16, v22
	;;#ASMSTART
	v_cvt_f32_f16 v28, v70;
	;;#ASMEND
	v_fmac_f32_e32 v54, v21, v28
	;;#ASMSTART
	v_cvt_f32_f16 v21, v24;
	;;#ASMEND
	;;#ASMSTART
	v_cvt_f32_f16 v22, v22;
	;;#ASMEND
	;; [unrolled: 3-line block ×3, first 2 shown]
	v_dual_fmac_f32 v26, v21, v24 :: v_dual_and_b32 v21, 0xffff, v23
	;;#ASMSTART
	v_cvt_f32_f16 v24, v71;
	;;#ASMEND
	v_dual_add_f32 v20, v20, v25 :: v_dual_fmac_f32 v55, v22, v24
	v_lshrrev_b32_e32 v23, 16, v23
	;;#ASMSTART
	v_cvt_f32_f16 v21, v21;
	;;#ASMEND
	;;#ASMSTART
	v_cvt_f32_f16 v22, v23;
	;;#ASMEND
	s_delay_alu instid0(VALU_DEP_2) | instskip(SKIP_4) | instid1(VALU_DEP_1)
	v_add_f32_e32 v20, v54, v20
	;;#ASMSTART
	v_cvt_f32_f16 v23, v35;
	;;#ASMEND
	v_fmac_f32_e32 v27, v21, v23
	v_mul_f32_e32 v21, s39, v52
	;;#ASMSTART
	v_cvt_f32_f16 v23, v72;
	;;#ASMEND
	v_dual_add_f32 v20, v20, v26 :: v_dual_cndmask_b32 v21, 0, v21
	v_fmac_f32_e32 v56, v22, v23
	s_delay_alu instid0(VALU_DEP_2) | instskip(SKIP_1) | instid1(VALU_DEP_2)
	v_add_f32_e32 v20, v55, v20
	v_max_f32_e32 v22, v4, v4
	v_add_f32_e32 v20, v20, v27
	s_delay_alu instid0(VALU_DEP_1) | instskip(NEXT) | instid1(VALU_DEP_1)
	v_add_f32_e32 v20, v56, v20
	v_dual_fmac_f32 v21, s3, v20 :: v_dual_add_nc_u32 v20, v15, v6
	s_delay_alu instid0(VALU_DEP_1) | instskip(NEXT) | instid1(VALU_DEP_2)
	v_max_f32_e32 v22, v22, v21
	v_cmp_gt_i32_e64 s0, s15, v20
	s_delay_alu instid0(VALU_DEP_1) | instskip(NEXT) | instid1(VALU_DEP_3)
	v_cndmask_b32_e64 v20, 0, v21, s0
	v_cndmask_b32_e64 v4, v4, v22, s0
	ds_store_b32 v12, v20
	s_branch .LBB110_11
.LBB110_16:
	s_or_b32 exec_lo, exec_lo, s41
.LBB110_17:
	s_delay_alu instid0(SALU_CYCLE_1) | instskip(SKIP_2) | instid1(VALU_DEP_2)
	s_or_b32 exec_lo, exec_lo, s6
	v_mbcnt_lo_u32_b32 v1, -1, 0
	v_max_f32_e32 v8, v4, v4
	v_xor_b32_e32 v2, 16, v1
	v_xor_b32_e32 v7, 8, v1
	s_delay_alu instid0(VALU_DEP_2) | instskip(SKIP_1) | instid1(VALU_DEP_3)
	v_cmp_gt_i32_e32 vcc_lo, 32, v2
	v_cndmask_b32_e32 v2, v1, v2, vcc_lo
	v_cmp_gt_i32_e32 vcc_lo, 32, v7
	s_delay_alu instid0(VALU_DEP_2) | instskip(SKIP_2) | instid1(VALU_DEP_1)
	v_lshlrev_b32_e32 v2, 2, v2
	ds_bpermute_b32 v6, v2, v4
	v_cndmask_b32_e32 v4, v1, v7, vcc_lo
	v_lshlrev_b32_e32 v4, 2, v4
	s_waitcnt lgkmcnt(0)
	v_max_f32_e32 v6, v6, v6
	s_delay_alu instid0(VALU_DEP_1)
	v_max_f32_e32 v6, v8, v6
	v_xor_b32_e32 v8, 4, v1
	ds_bpermute_b32 v7, v4, v6
	v_cmp_gt_i32_e32 vcc_lo, 32, v8
	s_waitcnt lgkmcnt(0)
	v_dual_cndmask_b32 v8, v1, v8 :: v_dual_max_f32 v11, v7, v7
	s_delay_alu instid0(VALU_DEP_1) | instskip(SKIP_4) | instid1(VALU_DEP_1)
	v_dual_max_f32 v6, v6, v11 :: v_dual_lshlrev_b32 v7, 2, v8
	v_xor_b32_e32 v11, 2, v1
	ds_bpermute_b32 v8, v7, v6
	v_cmp_gt_i32_e32 vcc_lo, 32, v11
	v_cndmask_b32_e32 v11, v1, v11, vcc_lo
	v_lshlrev_b32_e32 v17, 2, v11
	v_xor_b32_e32 v11, 1, v1
	s_delay_alu instid0(VALU_DEP_1) | instskip(SKIP_3) | instid1(VALU_DEP_2)
	v_cmp_gt_i32_e32 vcc_lo, 32, v11
	s_waitcnt lgkmcnt(0)
	v_dual_max_f32 v8, v8, v8 :: v_dual_cndmask_b32 v11, v1, v11
	v_cmp_eq_u32_e32 vcc_lo, 0, v15
	v_max_f32_e32 v6, v6, v8
	s_delay_alu instid0(VALU_DEP_3) | instskip(SKIP_3) | instid1(VALU_DEP_1)
	v_lshlrev_b32_e32 v18, 2, v11
	ds_bpermute_b32 v8, v17, v6
	s_waitcnt lgkmcnt(0)
	v_max_f32_e32 v8, v8, v8
	v_dual_max_f32 v1, v6, v8 :: v_dual_lshlrev_b32 v8, 2, v14
	ds_bpermute_b32 v6, v18, v1
	s_and_saveexec_b32 s0, vcc_lo
	s_cbranch_execz .LBB110_19
; %bb.18:
	s_waitcnt lgkmcnt(0)
	v_dual_max_f32 v6, v6, v6 :: v_dual_max_f32 v1, v1, v1
	s_delay_alu instid0(VALU_DEP_1)
	v_max_f32_e32 v1, v1, v6
	ds_store_b32 v8, v1 offset:64
.LBB110_19:
	s_or_b32 exec_lo, exec_lo, s0
	v_cmp_gt_u32_e64 s0, 4, v15
	v_mov_b32_e32 v1, 0xff7fffff
	s_waitcnt lgkmcnt(0)
	s_barrier
	buffer_gl0_inv
	s_and_saveexec_b32 s1, s0
	s_cbranch_execz .LBB110_21
; %bb.20:
	ds_load_b32 v1, v3 offset:64
.LBB110_21:
	s_or_b32 exec_lo, exec_lo, s1
	s_waitcnt lgkmcnt(0)
	ds_bpermute_b32 v6, v17, v1
	v_max_f32_e32 v1, v1, v1
	s_sub_i32 s1, s8, s7
	v_mov_b32_e32 v11, 0
	s_lshl_b32 s1, s1, 5
	s_delay_alu instid0(SALU_CYCLE_1) | instskip(NEXT) | instid1(SALU_CYCLE_1)
	s_add_i32 s1, s1, s37
	s_min_i32 s1, s1, s15
	s_delay_alu instid0(SALU_CYCLE_1) | instskip(NEXT) | instid1(SALU_CYCLE_1)
	s_sub_i32 s6, s1, s37
	v_cmp_gt_i32_e64 s1, s6, v0
	s_waitcnt lgkmcnt(0)
	v_max_f32_e32 v6, v6, v6
	s_delay_alu instid0(VALU_DEP_1) | instskip(SKIP_3) | instid1(VALU_DEP_1)
	v_max_f32_e32 v1, v1, v6
	ds_bpermute_b32 v6, v18, v1
	s_waitcnt lgkmcnt(0)
	v_max_f32_e32 v6, v6, v6
	v_max_f32_e32 v1, v1, v6
	v_lshl_add_u32 v6, v0, 2, 0x60
	ds_bpermute_b32 v1, v11, v1
	s_and_saveexec_b32 s7, s1
	s_cbranch_execz .LBB110_25
; %bb.22:
	v_lshl_add_u32 v12, v0, 2, 0x60
	v_mov_b32_e32 v11, 0
	v_mov_b32_e32 v13, v0
	s_mov_b32 s35, 0
	.p2align	6
.LBB110_23:                             ; =>This Inner Loop Header: Depth=1
	ds_load_b32 v19, v12
	v_add_nc_u32_e32 v13, 0x80, v13
	s_delay_alu instid0(VALU_DEP_1) | instskip(NEXT) | instid1(VALU_DEP_1)
	v_cmp_le_i32_e64 s3, s6, v13
	s_or_b32 s35, s3, s35
	s_waitcnt lgkmcnt(0)
	v_sub_f32_e32 v19, v19, v1
	s_delay_alu instid0(VALU_DEP_1) | instskip(NEXT) | instid1(VALU_DEP_1)
	v_mul_f32_e32 v19, 0x3fb8aa3b, v19
	v_exp_f32_e32 v19, v19
	ds_store_b32 v12, v19
	v_dual_add_f32 v11, v11, v19 :: v_dual_add_nc_u32 v12, 0x200, v12
	s_and_not1_b32 exec_lo, exec_lo, s35
	s_cbranch_execnz .LBB110_23
; %bb.24:
	s_or_b32 exec_lo, exec_lo, s35
.LBB110_25:
	s_delay_alu instid0(SALU_CYCLE_1)
	s_or_b32 exec_lo, exec_lo, s7
	ds_bpermute_b32 v2, v2, v11
	s_waitcnt lgkmcnt(0)
	v_add_f32_e32 v2, v11, v2
	ds_bpermute_b32 v4, v4, v2
	s_waitcnt lgkmcnt(0)
	v_add_f32_e32 v2, v2, v4
	;; [unrolled: 3-line block ×5, first 2 shown]
	s_and_saveexec_b32 s3, vcc_lo
	s_cbranch_execz .LBB110_27
; %bb.26:
	ds_store_b32 v8, v2 offset:80
.LBB110_27:
	s_or_b32 exec_lo, exec_lo, s3
	s_waitcnt lgkmcnt(0)
	s_barrier
	buffer_gl0_inv
	s_and_saveexec_b32 s3, s0
	s_cbranch_execz .LBB110_29
; %bb.28:
	ds_load_b32 v2, v3 offset:80
.LBB110_29:
	s_or_b32 exec_lo, exec_lo, s3
	s_waitcnt lgkmcnt(0)
	ds_bpermute_b32 v3, v17, v2
	s_waitcnt lgkmcnt(0)
	v_add_f32_e32 v2, v2, v3
	ds_bpermute_b32 v3, v18, v2
	s_waitcnt lgkmcnt(0)
	v_dual_add_f32 v2, v2, v3 :: v_dual_mov_b32 v3, 0
	ds_bpermute_b32 v2, v3, v2
	s_and_saveexec_b32 s0, s1
	s_cbranch_execz .LBB110_32
; %bb.30:
	s_waitcnt lgkmcnt(0)
	v_add_f32_e32 v3, 0x358637bd, v2
	s_mov_b32 s1, 0
	s_delay_alu instid0(VALU_DEP_1) | instskip(SKIP_1) | instid1(VALU_DEP_2)
	v_div_scale_f32 v4, null, v3, v3, 1.0
	v_div_scale_f32 v11, vcc_lo, 1.0, v3, 1.0
	v_rcp_f32_e32 v7, v4
	s_waitcnt_depctr 0xfff
	v_fma_f32 v8, -v4, v7, 1.0
	s_delay_alu instid0(VALU_DEP_1) | instskip(NEXT) | instid1(VALU_DEP_1)
	v_fmac_f32_e32 v7, v8, v7
	v_mul_f32_e32 v8, v11, v7
	s_delay_alu instid0(VALU_DEP_1) | instskip(NEXT) | instid1(VALU_DEP_1)
	v_fma_f32 v12, -v4, v8, v11
	v_fmac_f32_e32 v8, v12, v7
	s_delay_alu instid0(VALU_DEP_1) | instskip(NEXT) | instid1(VALU_DEP_1)
	v_fma_f32 v4, -v4, v8, v11
	v_div_fmas_f32 v4, v4, v7, v8
	s_delay_alu instid0(VALU_DEP_1)
	v_div_fixup_f32 v3, v4, v3, 1.0
	v_mov_b32_e32 v4, v0
.LBB110_31:                             ; =>This Inner Loop Header: Depth=1
	ds_load_b32 v7, v6
	s_waitcnt lgkmcnt(0)
	v_dual_mul_f32 v7, v3, v7 :: v_dual_add_nc_u32 v4, 0x80, v4
	s_delay_alu instid0(VALU_DEP_1) | instskip(SKIP_3) | instid1(SALU_CYCLE_1)
	v_cmp_le_i32_e32 vcc_lo, s6, v4
	ds_store_b32 v6, v7
	v_add_nc_u32_e32 v6, 0x200, v6
	s_or_b32 s1, vcc_lo, s1
	s_and_not1_b32 exec_lo, exec_lo, s1
	s_cbranch_execnz .LBB110_31
.LBB110_32:
	s_or_b32 exec_lo, exec_lo, s0
	s_mul_i32 s0, s4, s14
	s_waitcnt lgkmcnt(0)
	s_mul_i32 s6, s0, s13
	s_mov_b32 s0, exec_lo
	s_barrier
	buffer_gl0_inv
	v_cmpx_eq_u32_e32 0, v0
	s_cbranch_execz .LBB110_34
; %bb.33:
	s_ashr_i32 s7, s6, 31
	s_mul_i32 s42, s4, s24
	s_lshl_b64 s[40:41], s[6:7], 2
	v_mov_b32_e32 v3, 0
	s_add_u32 s1, s18, s40
	s_addc_u32 s3, s19, s41
	s_ashr_i32 s43, s42, 31
	s_delay_alu instid0(SALU_CYCLE_1) | instskip(NEXT) | instid1(SALU_CYCLE_1)
	s_lshl_b64 s[18:19], s[42:43], 2
	s_add_u32 s1, s1, s18
	s_addc_u32 s3, s3, s19
	s_ashr_i32 s13, s12, 31
	s_delay_alu instid0(SALU_CYCLE_1) | instskip(NEXT) | instid1(SALU_CYCLE_1)
	s_lshl_b64 s[42:43], s[12:13], 2
	s_add_u32 s44, s1, s42
	s_addc_u32 s45, s3, s43
	s_add_u32 s1, s16, s40
	s_addc_u32 s3, s17, s41
	;; [unrolled: 2-line block ×4, first 2 shown]
	s_clause 0x1
	global_store_b32 v3, v1, s[44:45]
	global_store_b32 v3, v2, s[16:17]
.LBB110_34:
	s_or_b32 exec_lo, exec_lo, s0
	v_dual_mov_b32 v4, 0 :: v_dual_and_b32 v19, 3, v0
	v_dual_mov_b32 v3, 0 :: v_dual_mov_b32 v2, 0
	v_mov_b32_e32 v1, 0
	s_mov_b32 s3, 0
	s_and_saveexec_b32 s1, s2
	s_cbranch_execz .LBB110_48
; %bb.35:
	s_ashr_i32 s35, s34, 31
	s_sub_i32 s2, s38, s9
	s_lshl_b64 s[16:17], s[34:35], 1
	s_mov_b32 s9, s15
	s_add_u32 s0, s30, s16
	s_addc_u32 s24, s31, s17
	s_abs_i32 s7, s10
	s_mov_b32 s16, 0
	v_cvt_f32_u32_e32 v1, s7
	s_sub_i32 s30, 0, s7
	s_mov_b32 s17, s16
	s_mov_b32 s18, s16
	;; [unrolled: 1-line block ×3, first 2 shown]
	v_rcp_iflag_f32_e32 v1, v1
	v_lshlrev_b32_e32 v3, 3, v0
	v_and_b32_e32 v5, 0x1f0, v5
	s_lshl_b64 s[28:29], s[28:29], 2
	v_lshlrev_b32_e32 v6, 5, v19
	s_add_i32 s36, s36, -1
	s_mov_b32 s10, s15
	v_add_co_u32 v21, s0, s0, v5
	s_delay_alu instid0(VALU_DEP_1)
	v_add_co_ci_u32_e64 v22, null, s24, 0, s0
	s_waitcnt_depctr 0xfff
	v_mul_f32_e32 v4, 0x4f7ffffe, v1
	v_and_b32_e32 v20, 24, v3
	v_lshlrev_b64 v[1:2], 2, v[9:10]
	s_add_u32 s0, s26, s28
	s_addc_u32 s24, s27, s29
	v_cvt_u32_f32_e32 v4, v4
	s_mov_b32 s13, s15
	s_mov_b32 s14, s15
	v_add_co_u32 v10, vcc_lo, s0, v1
	s_delay_alu instid0(VALU_DEP_2) | instskip(SKIP_1) | instid1(VALU_DEP_2)
	v_mul_lo_u32 v3, s30, v4
	v_add_co_ci_u32_e32 v11, vcc_lo, s24, v2, vcc_lo
	v_mul_hi_u32 v3, v4, v3
	s_delay_alu instid0(VALU_DEP_1)
	v_dual_mov_b32 v1, s16 :: v_dual_add_nc_u32 v24, v4, v3
	v_mov_b32_e32 v3, s18
	v_lshl_or_b32 v6, v14, 7, v6
	v_mov_b32_e32 v2, s17
	v_mov_b32_e32 v4, s19
	s_mov_b32 s16, s15
	s_mov_b32 s17, s15
	v_add_nc_u32_e32 v23, 0x60, v6
	s_mov_b32 s18, s15
	s_branch .LBB110_38
.LBB110_36:                             ;   in Loop: Header=BB110_38 Depth=1
	s_or_b32 exec_lo, exec_lo, s0
	s_waitcnt vmcnt(0)
	;;#ASMSTART
	v_pk_mul_f16 v5, v38, v5;

	;;#ASMEND
	;;#ASMSTART
	v_pk_mul_f16 v6, v37, v6;

	;;#ASMEND
	;; [unrolled: 4-line block ×4, first 2 shown]
	;;#ASMSTART
	v_pk_add_f16 v5, v5, v6;

	;;#ASMEND
	;;#ASMSTART
	v_pk_add_f16 v5, v5, v7;

	;;#ASMEND
	;; [unrolled: 4-line block ×3, first 2 shown]
	v_dual_add_f32 v7, v34, v36 :: v_dual_and_b32 v6, 0xffff, v5
	v_lshrrev_b32_e32 v5, 16, v5
	;;#ASMSTART
	v_cvt_f32_f16 v6, v6;
	;;#ASMEND
	;;#ASMSTART
	v_cvt_f32_f16 v5, v5;
	;;#ASMEND
	s_delay_alu instid0(VALU_DEP_1) | instskip(SKIP_1) | instid1(VALU_DEP_2)
	v_dual_add_f32 v8, v39, v40 :: v_dual_add_f32 v5, v6, v5
	v_add_f32_e32 v12, v41, v42
	v_dual_add_f32 v1, v1, v7 :: v_dual_add_f32 v2, v2, v8
	s_delay_alu instid0(VALU_DEP_2)
	v_dual_add_f32 v4, v4, v5 :: v_dual_add_f32 v3, v3, v12
.LBB110_37:                             ;   in Loop: Header=BB110_38 Depth=1
	s_or_b32 exec_lo, exec_lo, s19
	v_add_nc_u32_e32 v9, 4, v9
	v_add_co_u32 v10, s0, v10, 16
	s_delay_alu instid0(VALU_DEP_1) | instskip(NEXT) | instid1(VALU_DEP_3)
	v_add_co_ci_u32_e64 v11, s0, 0, v11, s0
	v_cmp_le_i32_e32 vcc_lo, s8, v9
	v_add_nc_u32_e32 v16, 0x80, v16
	v_add_nc_u32_e32 v23, 0x200, v23
	s_or_b32 s3, vcc_lo, s3
	s_delay_alu instid0(SALU_CYCLE_1)
	s_and_not1_b32 exec_lo, exec_lo, s3
	s_cbranch_execz .LBB110_47
.LBB110_38:                             ; =>This Inner Loop Header: Depth=1
	v_sub_nc_u32_e32 v5, 0, v16
	s_delay_alu instid0(VALU_DEP_1) | instskip(NEXT) | instid1(VALU_DEP_1)
	v_max_i32_e32 v5, v16, v5
	v_mul_hi_u32 v6, v5, s25
	s_delay_alu instid0(VALU_DEP_1) | instskip(NEXT) | instid1(VALU_DEP_1)
	v_mul_lo_u32 v7, v6, s21
	v_sub_nc_u32_e32 v5, v5, v7
	v_add_nc_u32_e32 v7, 1, v6
	s_delay_alu instid0(VALU_DEP_2) | instskip(SKIP_1) | instid1(VALU_DEP_2)
	v_subrev_nc_u32_e32 v8, s21, v5
	v_cmp_le_u32_e32 vcc_lo, s21, v5
	v_dual_cndmask_b32 v6, v6, v7 :: v_dual_cndmask_b32 v5, v5, v8
	v_ashrrev_i32_e32 v7, 31, v16
	s_delay_alu instid0(VALU_DEP_2) | instskip(NEXT) | instid1(VALU_DEP_3)
	v_add_nc_u32_e32 v8, 1, v6
	v_cmp_le_u32_e32 vcc_lo, s21, v5
	s_delay_alu instid0(VALU_DEP_3) | instskip(NEXT) | instid1(VALU_DEP_3)
	v_xor_b32_e32 v7, s11, v7
	v_cndmask_b32_e32 v5, v6, v8, vcc_lo
	s_delay_alu instid0(VALU_DEP_1) | instskip(NEXT) | instid1(VALU_DEP_1)
	v_xor_b32_e32 v5, v5, v7
	v_sub_nc_u32_e32 v5, v5, v7
	s_delay_alu instid0(VALU_DEP_1) | instskip(SKIP_1) | instid1(VALU_DEP_2)
	v_add_nc_u32_e32 v6, s33, v5
	v_cmp_lt_i32_e64 s0, s2, v5
	v_sub_nc_u32_e32 v7, 0, v6
	s_delay_alu instid0(VALU_DEP_1) | instskip(NEXT) | instid1(VALU_DEP_1)
	v_max_i32_e32 v7, v6, v7
	v_mul_hi_u32 v8, v7, v24
	s_delay_alu instid0(VALU_DEP_1) | instskip(NEXT) | instid1(VALU_DEP_1)
	v_mul_lo_u32 v8, v8, s7
	v_sub_nc_u32_e32 v7, v7, v8
	s_delay_alu instid0(VALU_DEP_1) | instskip(SKIP_1) | instid1(VALU_DEP_2)
	v_subrev_nc_u32_e32 v8, s7, v7
	v_cmp_le_u32_e32 vcc_lo, s7, v7
	v_cndmask_b32_e32 v7, v7, v8, vcc_lo
	v_ashrrev_i32_e32 v6, 31, v6
	s_delay_alu instid0(VALU_DEP_2) | instskip(SKIP_1) | instid1(VALU_DEP_2)
	v_subrev_nc_u32_e32 v8, s7, v7
	v_cmp_le_u32_e32 vcc_lo, s7, v7
	v_cndmask_b32_e32 v7, v7, v8, vcc_lo
	s_delay_alu instid0(VALU_DEP_1) | instskip(NEXT) | instid1(VALU_DEP_1)
	v_xor_b32_e32 v7, v7, v6
	v_sub_nc_u32_e32 v6, v7, v6
	s_delay_alu instid0(VALU_DEP_1) | instskip(SKIP_1) | instid1(SALU_CYCLE_1)
	v_cmp_eq_u32_e32 vcc_lo, 0, v6
	s_or_b32 s0, vcc_lo, s0
	s_and_saveexec_b32 s19, s0
	s_cbranch_execz .LBB110_37
; %bb.39:                               ;   in Loop: Header=BB110_38 Depth=1
	global_load_b32 v29, v[10:11], off
	ds_load_2addr_b64 v[5:8], v23 offset1:1
	ds_load_2addr_b64 v[25:28], v23 offset0:2 offset1:3
	s_waitcnt lgkmcnt(1)
	;;#ASMSTART
	v_cvt_f16_f32 v37, v5;

	;;#ASMEND
	;;#ASMSTART
	v_cvt_f16_f32 v33, v6;

	;;#ASMEND
	;; [unrolled: 4-line block ×4, first 2 shown]
	s_waitcnt lgkmcnt(0)
	;;#ASMSTART
	v_cvt_f16_f32 v39, v25;

	;;#ASMEND
	;;#ASMSTART
	v_cvt_f16_f32 v35, v26;

	;;#ASMEND
	;; [unrolled: 4-line block ×4, first 2 shown]
	v_add_nc_u32_e32 v25, v20, v16
	s_delay_alu instid0(VALU_DEP_1)
	v_add_nc_u32_e32 v26, 1, v25
	v_or_b32_e32 v28, 3, v25
	v_or_b32_e32 v27, 2, v25
	;; [unrolled: 1-line block ×5, first 2 shown]
	s_waitcnt vmcnt(0)
	v_mad_i64_i32 v[12:13], null, v29, s5, 0
	v_or_b32_e32 v29, 4, v25
	s_delay_alu instid0(VALU_DEP_2) | instskip(NEXT) | instid1(VALU_DEP_1)
	v_lshlrev_b64 v[12:13], 1, v[12:13]
	v_add_co_u32 v12, vcc_lo, v21, v12
	s_delay_alu instid0(VALU_DEP_2)
	v_add_co_ci_u32_e32 v13, vcc_lo, v22, v13, vcc_lo
	v_cmp_eq_u32_e32 vcc_lo, s36, v9
	global_load_b128 v[5:8], v[12:13], off
	s_and_saveexec_b32 s24, vcc_lo
	s_cbranch_execz .LBB110_41
; %bb.40:                               ;   in Loop: Header=BB110_38 Depth=1
	v_cmp_gt_i32_e64 s0, s17, v32
	s_waitcnt vmcnt(0)
	v_lshrrev_b32_e32 v41, 16, v8
	v_lshrrev_b32_e32 v42, 16, v7
	;; [unrolled: 1-line block ×4, first 2 shown]
	v_cndmask_b32_e64 v8, 0, v8, s0
	v_cmp_gt_i32_e64 s0, s18, v31
	s_delay_alu instid0(VALU_DEP_1) | instskip(SKIP_1) | instid1(VALU_DEP_2)
	v_cndmask_b32_e64 v41, 0, v41, s0
	v_cmp_gt_i32_e64 s0, s16, v30
	v_perm_b32 v8, v41, v8, 0x5040100
	s_delay_alu instid0(VALU_DEP_2) | instskip(SKIP_1) | instid1(VALU_DEP_1)
	v_cndmask_b32_e64 v42, 0, v42, s0
	v_cmp_gt_i32_e64 s0, s14, v29
	v_cndmask_b32_e64 v7, 0, v7, s0
	v_cmp_gt_i32_e64 s0, s13, v28
	s_delay_alu instid0(VALU_DEP_2) | instskip(NEXT) | instid1(VALU_DEP_2)
	v_perm_b32 v7, v42, v7, 0x5040100
	v_cndmask_b32_e64 v43, 0, v43, s0
	v_cmp_gt_i32_e64 s0, s10, v27
	s_delay_alu instid0(VALU_DEP_1) | instskip(SKIP_1) | instid1(VALU_DEP_2)
	v_cndmask_b32_e64 v6, 0, v6, s0
	v_cmp_gt_i32_e64 s0, s9, v26
	v_perm_b32 v6, v43, v6, 0x5040100
	s_delay_alu instid0(VALU_DEP_2) | instskip(SKIP_1) | instid1(VALU_DEP_1)
	v_cndmask_b32_e64 v44, 0, v44, s0
	v_cmp_gt_i32_e64 s0, s15, v25
	v_cndmask_b32_e64 v5, 0, v5, s0
	s_delay_alu instid0(VALU_DEP_1)
	v_perm_b32 v5, v44, v5, 0x5040100
.LBB110_41:                             ;   in Loop: Header=BB110_38 Depth=1
	s_or_b32 exec_lo, exec_lo, s24
	v_and_b32_e32 v37, 0xffff, v37
	v_and_b32_e32 v41, 0xffff, v38
	;; [unrolled: 1-line block ×4, first 2 shown]
	s_delay_alu instid0(VALU_DEP_4)
	v_lshl_or_b32 v38, v33, 16, v37
	s_waitcnt vmcnt(0)
	;;#ASMSTART
	v_pk_mul_f16 v5, v38, v5;

	;;#ASMEND
	v_lshl_or_b32 v37, v34, 16, v41
	v_lshl_or_b32 v35, v35, 16, v39
	;; [unrolled: 1-line block ×3, first 2 shown]
	;;#ASMSTART
	v_pk_mul_f16 v6, v37, v6;

	;;#ASMEND
	;;#ASMSTART
	v_pk_mul_f16 v7, v35, v7;

	;;#ASMEND
	;; [unrolled: 4-line block ×3, first 2 shown]
	;;#ASMSTART
	v_pk_add_f16 v5, v5, v6;

	;;#ASMEND
	;;#ASMSTART
	v_pk_add_f16 v5, v5, v7;

	;;#ASMEND
	;; [unrolled: 4-line block ×3, first 2 shown]
	v_and_b32_e32 v6, 0xffff, v5
	v_lshrrev_b32_e32 v5, 16, v5
	;;#ASMSTART
	v_cvt_f32_f16 v34, v6;
	;;#ASMEND
	;;#ASMSTART
	v_cvt_f32_f16 v36, v5;
	;;#ASMEND
	global_load_b128 v[5:8], v[12:13], off offset:512
	s_and_saveexec_b32 s24, vcc_lo
	s_cbranch_execz .LBB110_43
; %bb.42:                               ;   in Loop: Header=BB110_38 Depth=1
	v_cmp_gt_i32_e64 s0, s17, v32
	s_waitcnt vmcnt(0)
	v_lshrrev_b32_e32 v39, 16, v8
	v_lshrrev_b32_e32 v40, 16, v7
	;; [unrolled: 1-line block ×4, first 2 shown]
	v_cndmask_b32_e64 v8, 0, v8, s0
	v_cmp_gt_i32_e64 s0, s18, v31
	s_delay_alu instid0(VALU_DEP_1) | instskip(SKIP_1) | instid1(VALU_DEP_2)
	v_cndmask_b32_e64 v39, 0, v39, s0
	v_cmp_gt_i32_e64 s0, s16, v30
	v_perm_b32 v8, v39, v8, 0x5040100
	s_delay_alu instid0(VALU_DEP_2) | instskip(SKIP_1) | instid1(VALU_DEP_1)
	v_cndmask_b32_e64 v40, 0, v40, s0
	v_cmp_gt_i32_e64 s0, s14, v29
	v_cndmask_b32_e64 v7, 0, v7, s0
	v_cmp_gt_i32_e64 s0, s13, v28
	s_delay_alu instid0(VALU_DEP_2) | instskip(NEXT) | instid1(VALU_DEP_2)
	v_perm_b32 v7, v40, v7, 0x5040100
	v_cndmask_b32_e64 v41, 0, v41, s0
	v_cmp_gt_i32_e64 s0, s10, v27
	s_delay_alu instid0(VALU_DEP_1) | instskip(SKIP_1) | instid1(VALU_DEP_2)
	v_cndmask_b32_e64 v6, 0, v6, s0
	v_cmp_gt_i32_e64 s0, s9, v26
	v_perm_b32 v6, v41, v6, 0x5040100
	s_delay_alu instid0(VALU_DEP_2) | instskip(SKIP_1) | instid1(VALU_DEP_1)
	v_cndmask_b32_e64 v42, 0, v42, s0
	v_cmp_gt_i32_e64 s0, s15, v25
	v_cndmask_b32_e64 v5, 0, v5, s0
	s_delay_alu instid0(VALU_DEP_1)
	v_perm_b32 v5, v42, v5, 0x5040100
.LBB110_43:                             ;   in Loop: Header=BB110_38 Depth=1
	s_or_b32 exec_lo, exec_lo, s24
	s_waitcnt vmcnt(0)
	;;#ASMSTART
	v_pk_mul_f16 v5, v38, v5;

	;;#ASMEND
	;;#ASMSTART
	v_pk_mul_f16 v6, v37, v6;

	;;#ASMEND
	;; [unrolled: 4-line block ×4, first 2 shown]
	;;#ASMSTART
	v_pk_add_f16 v5, v5, v6;

	;;#ASMEND
	;;#ASMSTART
	v_pk_add_f16 v5, v5, v7;

	;;#ASMEND
	;;#ASMSTART
	v_pk_add_f16 v5, v5, v8;

	;;#ASMEND
	v_and_b32_e32 v6, 0xffff, v5
	v_lshrrev_b32_e32 v5, 16, v5
	;;#ASMSTART
	v_cvt_f32_f16 v39, v6;
	;;#ASMEND
	;;#ASMSTART
	v_cvt_f32_f16 v40, v5;
	;;#ASMEND
	global_load_b128 v[5:8], v[12:13], off offset:1024
	s_and_saveexec_b32 s24, vcc_lo
	s_cbranch_execz .LBB110_45
; %bb.44:                               ;   in Loop: Header=BB110_38 Depth=1
	v_cmp_gt_i32_e64 s0, s17, v32
	s_waitcnt vmcnt(0)
	v_lshrrev_b32_e32 v41, 16, v8
	v_lshrrev_b32_e32 v42, 16, v7
	;; [unrolled: 1-line block ×4, first 2 shown]
	v_cndmask_b32_e64 v8, 0, v8, s0
	v_cmp_gt_i32_e64 s0, s18, v31
	s_delay_alu instid0(VALU_DEP_1) | instskip(SKIP_1) | instid1(VALU_DEP_2)
	v_cndmask_b32_e64 v41, 0, v41, s0
	v_cmp_gt_i32_e64 s0, s16, v30
	v_perm_b32 v8, v41, v8, 0x5040100
	s_delay_alu instid0(VALU_DEP_2) | instskip(SKIP_1) | instid1(VALU_DEP_1)
	v_cndmask_b32_e64 v42, 0, v42, s0
	v_cmp_gt_i32_e64 s0, s14, v29
	v_cndmask_b32_e64 v7, 0, v7, s0
	v_cmp_gt_i32_e64 s0, s13, v28
	s_delay_alu instid0(VALU_DEP_2) | instskip(NEXT) | instid1(VALU_DEP_2)
	v_perm_b32 v7, v42, v7, 0x5040100
	v_cndmask_b32_e64 v43, 0, v43, s0
	v_cmp_gt_i32_e64 s0, s10, v27
	s_delay_alu instid0(VALU_DEP_1) | instskip(SKIP_1) | instid1(VALU_DEP_2)
	v_cndmask_b32_e64 v6, 0, v6, s0
	v_cmp_gt_i32_e64 s0, s9, v26
	v_perm_b32 v6, v43, v6, 0x5040100
	s_delay_alu instid0(VALU_DEP_2) | instskip(SKIP_1) | instid1(VALU_DEP_1)
	v_cndmask_b32_e64 v44, 0, v44, s0
	v_cmp_gt_i32_e64 s0, s15, v25
	v_cndmask_b32_e64 v5, 0, v5, s0
	s_delay_alu instid0(VALU_DEP_1)
	v_perm_b32 v5, v44, v5, 0x5040100
.LBB110_45:                             ;   in Loop: Header=BB110_38 Depth=1
	s_or_b32 exec_lo, exec_lo, s24
	s_waitcnt vmcnt(0)
	;;#ASMSTART
	v_pk_mul_f16 v5, v38, v5;

	;;#ASMEND
	;;#ASMSTART
	v_pk_mul_f16 v6, v37, v6;

	;;#ASMEND
	;; [unrolled: 4-line block ×4, first 2 shown]
	;;#ASMSTART
	v_pk_add_f16 v5, v5, v6;

	;;#ASMEND
	;;#ASMSTART
	v_pk_add_f16 v5, v5, v7;

	;;#ASMEND
	;; [unrolled: 4-line block ×3, first 2 shown]
	v_and_b32_e32 v6, 0xffff, v5
	v_lshrrev_b32_e32 v5, 16, v5
	;;#ASMSTART
	v_cvt_f32_f16 v41, v6;
	;;#ASMEND
	;;#ASMSTART
	v_cvt_f32_f16 v42, v5;
	;;#ASMEND
	global_load_b128 v[5:8], v[12:13], off offset:1536
	s_and_saveexec_b32 s0, vcc_lo
	s_cbranch_execz .LBB110_36
; %bb.46:                               ;   in Loop: Header=BB110_38 Depth=1
	v_cmp_gt_i32_e32 vcc_lo, s17, v32
	s_waitcnt vmcnt(0)
	v_lshrrev_b32_e32 v12, 16, v8
	v_lshrrev_b32_e32 v13, 16, v7
	v_cndmask_b32_e32 v8, 0, v8, vcc_lo
	v_cmp_gt_i32_e32 vcc_lo, s18, v31
	s_delay_alu instid0(VALU_DEP_4)
	v_cndmask_b32_e32 v12, 0, v12, vcc_lo
	v_cmp_gt_i32_e32 vcc_lo, s16, v30
	v_lshrrev_b32_e32 v30, 16, v6
	v_cndmask_b32_e32 v13, 0, v13, vcc_lo
	v_cmp_gt_i32_e32 vcc_lo, s14, v29
	v_lshrrev_b32_e32 v29, 16, v5
	v_cndmask_b32_e32 v7, 0, v7, vcc_lo
	v_cmp_gt_i32_e32 vcc_lo, s13, v28
	v_perm_b32 v8, v12, v8, 0x5040100
	s_delay_alu instid0(VALU_DEP_3)
	v_perm_b32 v7, v13, v7, 0x5040100
	v_cndmask_b32_e32 v28, 0, v30, vcc_lo
	v_cmp_gt_i32_e32 vcc_lo, s10, v27
	v_cndmask_b32_e32 v6, 0, v6, vcc_lo
	v_cmp_gt_i32_e32 vcc_lo, s9, v26
	;; [unrolled: 2-line block ×3, first 2 shown]
	v_cndmask_b32_e32 v5, 0, v5, vcc_lo
	v_perm_b32 v6, v28, v6, 0x5040100
	s_delay_alu instid0(VALU_DEP_2)
	v_perm_b32 v5, v26, v5, 0x5040100
	s_branch .LBB110_36
.LBB110_47:
	s_or_b32 exec_lo, exec_lo, s3
.LBB110_48:
	s_delay_alu instid0(SALU_CYCLE_1)
	s_or_b32 exec_lo, exec_lo, s1
	ds_bpermute_b32 v5, v17, v1
	ds_bpermute_b32 v6, v17, v2
	;; [unrolled: 1-line block ×4, first 2 shown]
	s_mov_b32 s0, exec_lo
	s_waitcnt lgkmcnt(0)
	s_waitcnt_vscnt null, 0x0
	s_barrier
	buffer_gl0_inv
	v_dual_add_f32 v1, v1, v5 :: v_dual_add_f32 v2, v2, v6
	v_dual_add_f32 v6, v3, v7 :: v_dual_add_f32 v7, v4, v8
	v_lshrrev_b32_e32 v5, 2, v15
	ds_bpermute_b32 v3, v18, v1
	ds_bpermute_b32 v8, v18, v2
	;; [unrolled: 1-line block ×4, first 2 shown]
	s_waitcnt lgkmcnt(3)
	v_dual_add_f32 v4, v1, v3 :: v_dual_and_b32 v11, 0x3c3, v0
	s_waitcnt lgkmcnt(2)
	v_add_f32_e32 v3, v2, v8
	s_waitcnt lgkmcnt(0)
	v_dual_add_f32 v2, v6, v9 :: v_dual_add_f32 v1, v7, v10
	v_cmpx_eq_u32_e32 64, v11
	s_cbranch_execz .LBB110_50
; %bb.49:
	v_lshl_add_u32 v6, v14, 7, 0x60
	v_lshlrev_b32_e32 v7, 2, v5
	s_delay_alu instid0(VALU_DEP_1)
	v_add3_u32 v6, v6, v7, 0xffffff00
	ds_store_2addr_b32 v6, v4, v3 offset1:8
	ds_store_2addr_b32 v6, v2, v1 offset0:16 offset1:24
.LBB110_50:
	s_or_b32 exec_lo, exec_lo, s0
	v_and_b32_e32 v6, 0x3e0, v0
	v_cmp_eq_u32_e32 vcc_lo, 0, v19
	s_mov_b32 s1, exec_lo
	s_waitcnt lgkmcnt(0)
	s_barrier
	v_lshl_add_u32 v6, v6, 2, 0x60
	buffer_gl0_inv
	v_cmpx_gt_u32_e32 64, v0
	s_cbranch_execz .LBB110_57
; %bb.51:
	s_and_saveexec_b32 s0, vcc_lo
	s_cbranch_execnz .LBB110_69
; %bb.52:
	s_or_b32 exec_lo, exec_lo, s0
	s_and_saveexec_b32 s0, vcc_lo
	s_cbranch_execnz .LBB110_70
.LBB110_53:
	s_or_b32 exec_lo, exec_lo, s0
	s_and_saveexec_b32 s0, vcc_lo
	s_cbranch_execnz .LBB110_71
.LBB110_54:
	s_or_b32 exec_lo, exec_lo, s0
	s_and_saveexec_b32 s0, vcc_lo
	s_cbranch_execz .LBB110_56
.LBB110_55:
	v_lshl_add_u32 v7, v5, 2, v6
	ds_load_b32 v7, v7 offset:96
	s_waitcnt lgkmcnt(0)
	v_add_f32_e32 v1, v1, v7
.LBB110_56:
	s_or_b32 exec_lo, exec_lo, s0
.LBB110_57:
	s_delay_alu instid0(SALU_CYCLE_1)
	s_or_b32 exec_lo, exec_lo, s1
	v_and_b32_e32 v7, 0x3e3, v0
	s_mov_b32 s1, exec_lo
	s_barrier
	buffer_gl0_inv
	v_cmpx_eq_u32_e32 32, v7
	s_cbranch_execz .LBB110_59
; %bb.58:
	v_lshl_add_u32 v8, v5, 2, 0x60
	ds_store_2addr_b32 v8, v4, v3 offset1:8
	ds_store_2addr_b32 v8, v2, v1 offset0:16 offset1:24
.LBB110_59:
	s_or_b32 exec_lo, exec_lo, s1
	s_delay_alu instid0(SALU_CYCLE_1)
	s_mov_b32 s1, exec_lo
	s_waitcnt lgkmcnt(0)
	s_barrier
	buffer_gl0_inv
	v_cmpx_gt_u32_e32 32, v0
	s_cbranch_execz .LBB110_66
; %bb.60:
	v_lshl_add_u32 v5, v5, 2, v6
	s_and_saveexec_b32 s0, vcc_lo
	s_cbranch_execnz .LBB110_72
; %bb.61:
	s_or_b32 exec_lo, exec_lo, s0
	s_and_saveexec_b32 s0, vcc_lo
	s_cbranch_execnz .LBB110_73
.LBB110_62:
	s_or_b32 exec_lo, exec_lo, s0
	s_and_saveexec_b32 s0, vcc_lo
	s_cbranch_execnz .LBB110_74
.LBB110_63:
	s_or_b32 exec_lo, exec_lo, s0
	s_and_saveexec_b32 s0, vcc_lo
	s_cbranch_execz .LBB110_65
.LBB110_64:
	ds_load_b32 v5, v5 offset:96
	s_waitcnt lgkmcnt(0)
	v_add_f32_e32 v1, v1, v5
.LBB110_65:
	s_or_b32 exec_lo, exec_lo, s0
.LBB110_66:
	s_delay_alu instid0(SALU_CYCLE_1)
	s_or_b32 exec_lo, exec_lo, s1
	s_barrier
	buffer_gl0_inv
	s_mov_b32 s0, exec_lo
	v_cmpx_eq_u32_e32 0, v7
	s_cbranch_execz .LBB110_68
; %bb.67:
	s_lshl_b32 s0, s6, 5
	s_mul_i32 s2, s4, s20
	s_ashr_i32 s1, s0, 31
	v_lshrrev_b32_e32 v0, 1, v0
	s_lshl_b64 s[0:1], s[0:1], 1
	;;#ASMSTART
	v_cvt_f16_f32 v4, v4;

	;;#ASMEND
	s_add_u32 s4, s22, s0
	s_addc_u32 s5, s23, s1
	s_ashr_i32 s3, s2, 31
	s_delay_alu instid0(SALU_CYCLE_1) | instskip(NEXT) | instid1(SALU_CYCLE_1)
	s_lshl_b64 s[0:1], s[2:3], 1
	s_add_u32 s2, s4, s0
	s_addc_u32 s3, s5, s1
	s_lshl_b32 s0, s12, 5
	s_delay_alu instid0(SALU_CYCLE_1) | instskip(NEXT) | instid1(SALU_CYCLE_1)
	s_ashr_i32 s1, s0, 31
	s_lshl_b64 s[0:1], s[0:1], 1
	s_delay_alu instid0(SALU_CYCLE_1)
	s_add_u32 s0, s2, s0
	s_addc_u32 s1, s3, s1
	global_store_b16 v0, v4, s[0:1]
	;;#ASMSTART
	v_cvt_f16_f32 v3, v3;

	;;#ASMEND
	global_store_b16 v0, v3, s[0:1] offset:16
	;;#ASMSTART
	v_cvt_f16_f32 v2, v2;

	;;#ASMEND
	global_store_b16 v0, v2, s[0:1] offset:32
	;; [unrolled: 5-line block ×3, first 2 shown]
.LBB110_68:
	s_nop 0
	s_sendmsg sendmsg(MSG_DEALLOC_VGPRS)
	s_endpgm
.LBB110_69:
	v_lshl_add_u32 v7, v5, 2, v6
	ds_load_b32 v7, v7
	s_waitcnt lgkmcnt(0)
	v_add_f32_e32 v4, v4, v7
	s_or_b32 exec_lo, exec_lo, s0
	s_and_saveexec_b32 s0, vcc_lo
	s_cbranch_execz .LBB110_53
.LBB110_70:
	v_lshl_add_u32 v7, v5, 2, v6
	ds_load_b32 v7, v7 offset:32
	s_waitcnt lgkmcnt(0)
	v_add_f32_e32 v3, v3, v7
	s_or_b32 exec_lo, exec_lo, s0
	s_and_saveexec_b32 s0, vcc_lo
	s_cbranch_execz .LBB110_54
.LBB110_71:
	v_lshl_add_u32 v7, v5, 2, v6
	ds_load_b32 v7, v7 offset:64
	s_waitcnt lgkmcnt(0)
	v_add_f32_e32 v2, v2, v7
	s_or_b32 exec_lo, exec_lo, s0
	s_and_saveexec_b32 s0, vcc_lo
	s_cbranch_execnz .LBB110_55
	s_branch .LBB110_56
.LBB110_72:
	ds_load_b32 v6, v5
	s_waitcnt lgkmcnt(0)
	v_add_f32_e32 v4, v4, v6
	s_or_b32 exec_lo, exec_lo, s0
	s_and_saveexec_b32 s0, vcc_lo
	s_cbranch_execz .LBB110_62
.LBB110_73:
	ds_load_b32 v6, v5 offset:32
	s_waitcnt lgkmcnt(0)
	v_add_f32_e32 v3, v3, v6
	s_or_b32 exec_lo, exec_lo, s0
	s_and_saveexec_b32 s0, vcc_lo
	s_cbranch_execz .LBB110_63
.LBB110_74:
	ds_load_b32 v6, v5 offset:64
	s_waitcnt lgkmcnt(0)
	v_add_f32_e32 v2, v2, v6
	s_or_b32 exec_lo, exec_lo, s0
	s_and_saveexec_b32 s0, vcc_lo
	s_cbranch_execnz .LBB110_64
	s_branch .LBB110_65
	.section	.rodata,"a",@progbits
	.p2align	6, 0x0
	.amdhsa_kernel _ZN4vllm25paged_attention_v2_kernelIttLi32ELi32ELi128ELNS_18Fp8KVCacheDataTypeE0ELb1ELi512EEEvPfS2_PT_PKS3_PKT0_S9_ifPKiSB_iPKfiiiSD_SD_iiiii
		.amdhsa_group_segment_fixed_size 96
		.amdhsa_private_segment_fixed_size 0
		.amdhsa_kernarg_size 400
		.amdhsa_user_sgpr_count 13
		.amdhsa_user_sgpr_dispatch_ptr 0
		.amdhsa_user_sgpr_queue_ptr 0
		.amdhsa_user_sgpr_kernarg_segment_ptr 1
		.amdhsa_user_sgpr_dispatch_id 0
		.amdhsa_user_sgpr_private_segment_size 0
		.amdhsa_wavefront_size32 1
		.amdhsa_uses_dynamic_stack 0
		.amdhsa_enable_private_segment 0
		.amdhsa_system_sgpr_workgroup_id_x 1
		.amdhsa_system_sgpr_workgroup_id_y 1
		.amdhsa_system_sgpr_workgroup_id_z 1
		.amdhsa_system_sgpr_workgroup_info 0
		.amdhsa_system_vgpr_workitem_id 0
		.amdhsa_next_free_vgpr 77
		.amdhsa_next_free_sgpr 46
		.amdhsa_reserve_vcc 1
		.amdhsa_float_round_mode_32 0
		.amdhsa_float_round_mode_16_64 0
		.amdhsa_float_denorm_mode_32 3
		.amdhsa_float_denorm_mode_16_64 3
		.amdhsa_dx10_clamp 1
		.amdhsa_ieee_mode 1
		.amdhsa_fp16_overflow 0
		.amdhsa_workgroup_processor_mode 1
		.amdhsa_memory_ordered 1
		.amdhsa_forward_progress 0
		.amdhsa_shared_vgpr_count 0
		.amdhsa_exception_fp_ieee_invalid_op 0
		.amdhsa_exception_fp_denorm_src 0
		.amdhsa_exception_fp_ieee_div_zero 0
		.amdhsa_exception_fp_ieee_overflow 0
		.amdhsa_exception_fp_ieee_underflow 0
		.amdhsa_exception_fp_ieee_inexact 0
		.amdhsa_exception_int_div_zero 0
	.end_amdhsa_kernel
	.section	.text._ZN4vllm25paged_attention_v2_kernelIttLi32ELi32ELi128ELNS_18Fp8KVCacheDataTypeE0ELb1ELi512EEEvPfS2_PT_PKS3_PKT0_S9_ifPKiSB_iPKfiiiSD_SD_iiiii,"axG",@progbits,_ZN4vllm25paged_attention_v2_kernelIttLi32ELi32ELi128ELNS_18Fp8KVCacheDataTypeE0ELb1ELi512EEEvPfS2_PT_PKS3_PKT0_S9_ifPKiSB_iPKfiiiSD_SD_iiiii,comdat
.Lfunc_end110:
	.size	_ZN4vllm25paged_attention_v2_kernelIttLi32ELi32ELi128ELNS_18Fp8KVCacheDataTypeE0ELb1ELi512EEEvPfS2_PT_PKS3_PKT0_S9_ifPKiSB_iPKfiiiSD_SD_iiiii, .Lfunc_end110-_ZN4vllm25paged_attention_v2_kernelIttLi32ELi32ELi128ELNS_18Fp8KVCacheDataTypeE0ELb1ELi512EEEvPfS2_PT_PKS3_PKT0_S9_ifPKiSB_iPKfiiiSD_SD_iiiii
                                        ; -- End function
	.section	.AMDGPU.csdata,"",@progbits
; Kernel info:
; codeLenInByte = 8200
; NumSgprs: 48
; NumVgprs: 77
; ScratchSize: 0
; MemoryBound: 0
; FloatMode: 240
; IeeeMode: 1
; LDSByteSize: 96 bytes/workgroup (compile time only)
; SGPRBlocks: 5
; VGPRBlocks: 9
; NumSGPRsForWavesPerEU: 48
; NumVGPRsForWavesPerEU: 77
; Occupancy: 16
; WaveLimiterHint : 1
; COMPUTE_PGM_RSRC2:SCRATCH_EN: 0
; COMPUTE_PGM_RSRC2:USER_SGPR: 13
; COMPUTE_PGM_RSRC2:TRAP_HANDLER: 0
; COMPUTE_PGM_RSRC2:TGID_X_EN: 1
; COMPUTE_PGM_RSRC2:TGID_Y_EN: 1
; COMPUTE_PGM_RSRC2:TGID_Z_EN: 1
; COMPUTE_PGM_RSRC2:TIDIG_COMP_CNT: 0
	.section	.text._ZN4vllm25paged_attention_v2_kernelIttLi64ELi32ELi128ELNS_18Fp8KVCacheDataTypeE0ELb1ELi512EEEvPfS2_PT_PKS3_PKT0_S9_ifPKiSB_iPKfiiiSD_SD_iiiii,"axG",@progbits,_ZN4vllm25paged_attention_v2_kernelIttLi64ELi32ELi128ELNS_18Fp8KVCacheDataTypeE0ELb1ELi512EEEvPfS2_PT_PKS3_PKT0_S9_ifPKiSB_iPKfiiiSD_SD_iiiii,comdat
	.protected	_ZN4vllm25paged_attention_v2_kernelIttLi64ELi32ELi128ELNS_18Fp8KVCacheDataTypeE0ELb1ELi512EEEvPfS2_PT_PKS3_PKT0_S9_ifPKiSB_iPKfiiiSD_SD_iiiii ; -- Begin function _ZN4vllm25paged_attention_v2_kernelIttLi64ELi32ELi128ELNS_18Fp8KVCacheDataTypeE0ELb1ELi512EEEvPfS2_PT_PKS3_PKT0_S9_ifPKiSB_iPKfiiiSD_SD_iiiii
	.globl	_ZN4vllm25paged_attention_v2_kernelIttLi64ELi32ELi128ELNS_18Fp8KVCacheDataTypeE0ELb1ELi512EEEvPfS2_PT_PKS3_PKT0_S9_ifPKiSB_iPKfiiiSD_SD_iiiii
	.p2align	8
	.type	_ZN4vllm25paged_attention_v2_kernelIttLi64ELi32ELi128ELNS_18Fp8KVCacheDataTypeE0ELb1ELi512EEEvPfS2_PT_PKS3_PKT0_S9_ifPKiSB_iPKfiiiSD_SD_iiiii,@function
_ZN4vllm25paged_attention_v2_kernelIttLi64ELi32ELi128ELNS_18Fp8KVCacheDataTypeE0ELb1ELi512EEEvPfS2_PT_PKS3_PKT0_S9_ifPKiSB_iPKfiiiSD_SD_iiiii: ; @_ZN4vllm25paged_attention_v2_kernelIttLi64ELi32ELi128ELNS_18Fp8KVCacheDataTypeE0ELb1ELi512EEEvPfS2_PT_PKS3_PKT0_S9_ifPKiSB_iPKfiiiSD_SD_iiiii
; %bb.0:
	s_load_b64 s[2:3], s[0:1], 0x40
	s_mov_b32 s12, s15
	s_ashr_i32 s15, s14, 31
	s_delay_alu instid0(SALU_CYCLE_1)
	s_lshl_b64 s[4:5], s[14:15], 2
	s_waitcnt lgkmcnt(0)
	s_add_u32 s2, s2, s4
	s_addc_u32 s3, s3, s5
	s_lshl_b32 s15, s12, 9
	s_load_b32 s33, s[2:3], 0x0
	s_waitcnt lgkmcnt(0)
	s_cmp_ge_i32 s15, s33
	s_cbranch_scc1 .LBB111_84
; %bb.1:
	s_mov_b32 s24, s13
	s_clause 0x1
	s_load_b32 s13, s[0:1], 0x90
	s_load_b64 s[2:3], s[0:1], 0x30
	s_mov_b32 s37, 0
	s_waitcnt lgkmcnt(0)
	s_abs_i32 s7, s13
	s_abs_i32 s4, s2
	s_delay_alu instid0(SALU_CYCLE_1) | instskip(SKIP_1) | instid1(VALU_DEP_1)
	v_cvt_f32_u32_e32 v1, s4
	s_sub_i32 s6, 0, s4
	v_rcp_iflag_f32_e32 v1, v1
	s_waitcnt_depctr 0xfff
	v_mul_f32_e32 v1, 0x4f7ffffe, v1
	s_delay_alu instid0(VALU_DEP_1) | instskip(NEXT) | instid1(VALU_DEP_1)
	v_cvt_u32_f32_e32 v1, v1
	v_readfirstlane_b32 s5, v1
	s_delay_alu instid0(VALU_DEP_1) | instskip(NEXT) | instid1(SALU_CYCLE_1)
	s_mul_i32 s6, s6, s5
	s_mul_hi_u32 s6, s5, s6
	s_delay_alu instid0(SALU_CYCLE_1) | instskip(SKIP_4) | instid1(SALU_CYCLE_1)
	s_add_i32 s5, s5, s6
	s_xor_b32 s6, s13, s2
	s_mul_hi_u32 s5, s7, s5
	s_ashr_i32 s6, s6, 31
	s_mul_i32 s8, s5, s4
	s_sub_i32 s7, s7, s8
	s_add_i32 s8, s5, 1
	s_sub_i32 s9, s7, s4
	s_cmp_ge_u32 s7, s4
	s_cselect_b32 s5, s8, s5
	s_cselect_b32 s7, s9, s7
	s_add_i32 s8, s5, 1
	s_cmp_ge_u32 s7, s4
	s_cselect_b32 s4, s8, s5
	s_abs_i32 s17, s24
	s_xor_b32 s4, s4, s6
	s_delay_alu instid0(SALU_CYCLE_1) | instskip(SKIP_2) | instid1(SALU_CYCLE_1)
	s_sub_i32 s8, s4, s6
	s_load_b64 s[4:5], s[0:1], 0x50
	s_abs_i32 s16, s8
	v_cvt_f32_u32_e32 v1, s16
	s_sub_i32 s7, 0, s16
	s_delay_alu instid0(VALU_DEP_1) | instskip(SKIP_2) | instid1(VALU_DEP_1)
	v_rcp_iflag_f32_e32 v1, v1
	s_waitcnt_depctr 0xfff
	v_mul_f32_e32 v1, 0x4f7ffffe, v1
	v_cvt_u32_f32_e32 v1, v1
	s_delay_alu instid0(VALU_DEP_1) | instskip(NEXT) | instid1(VALU_DEP_1)
	v_readfirstlane_b32 s6, v1
	s_mul_i32 s7, s7, s6
	s_delay_alu instid0(SALU_CYCLE_1) | instskip(NEXT) | instid1(SALU_CYCLE_1)
	s_mul_hi_u32 s7, s6, s7
	s_add_i32 s6, s6, s7
	s_waitcnt lgkmcnt(0)
	s_cmp_eq_u64 s[4:5], 0
	s_mul_hi_u32 s18, s17, s6
	s_cbranch_scc1 .LBB111_3
; %bb.2:
	s_ashr_i32 s25, s24, 31
	s_delay_alu instid0(SALU_CYCLE_1) | instskip(NEXT) | instid1(SALU_CYCLE_1)
	s_lshl_b64 s[6:7], s[24:25], 2
	s_add_u32 s4, s4, s6
	s_addc_u32 s5, s5, s7
	s_load_b32 s37, s[4:5], 0x0
.LBB111_3:
	s_load_b128 s[4:7], s[0:1], 0x58
	v_lshlrev_b32_e32 v36, 4, v0
	s_waitcnt lgkmcnt(0)
	s_ashr_i32 s7, s24, 31
	s_ashr_i32 s19, s8, 31
	s_lshl_b32 s20, s24, 6
	s_mov_b32 s8, exec_lo
	v_cmpx_gt_u32_e32 8, v0
	s_cbranch_execz .LBB111_5
; %bb.4:
	s_load_b64 s[10:11], s[0:1], 0x18
	s_mul_i32 s22, s14, s4
	s_delay_alu instid0(SALU_CYCLE_1) | instskip(NEXT) | instid1(SALU_CYCLE_1)
	s_ashr_i32 s23, s22, 31
	s_lshl_b64 s[22:23], s[22:23], 1
	s_waitcnt lgkmcnt(0)
	s_add_u32 s4, s10, s22
	s_addc_u32 s9, s11, s23
	s_ashr_i32 s21, s20, 31
	s_delay_alu instid0(SALU_CYCLE_1) | instskip(NEXT) | instid1(SALU_CYCLE_1)
	s_lshl_b64 s[10:11], s[20:21], 1
	s_add_u32 s10, s4, s10
	s_addc_u32 s11, s9, s11
	global_load_b128 v[1:4], v36, s[10:11]
	s_waitcnt vmcnt(0)
	ds_store_b128 v36, v[1:4]
.LBB111_5:
	s_or_b32 exec_lo, exec_lo, s8
	s_load_b128 s[8:11], s[0:1], 0x78
	s_mul_i32 s4, s18, s16
	s_xor_b32 s7, s7, s19
	s_sub_i32 s4, s17, s4
	s_add_i32 s17, s18, 1
	s_sub_i32 s19, s4, s16
	s_cmp_ge_u32 s4, s16
	s_waitcnt lgkmcnt(0)
	s_cselect_b32 s17, s17, s18
	s_cselect_b32 s4, s19, s4
	s_add_i32 s18, s17, 1
	s_cmp_ge_u32 s4, s16
	s_load_b32 s4, s[0:1], 0x88
	s_cselect_b32 s16, s18, s17
	s_mov_b32 s17, -1
	s_xor_b32 s16, s16, s7
	s_waitcnt lgkmcnt(0)
	s_barrier
	s_sub_i32 s7, s16, s7
	buffer_gl0_inv
                                        ; implicit-def: $sgpr34
	s_abs_i32 s21, s11
	s_delay_alu instid0(SALU_CYCLE_1) | instskip(SKIP_1) | instid1(VALU_DEP_1)
	v_cvt_f32_u32_e32 v1, s21
	s_sub_i32 s16, 0, s21
	v_rcp_iflag_f32_e32 v1, v1
	s_waitcnt_depctr 0xfff
	v_mul_f32_e32 v1, 0x4f7ffffe, v1
	s_delay_alu instid0(VALU_DEP_1) | instskip(NEXT) | instid1(VALU_DEP_1)
	v_cvt_u32_f32_e32 v1, v1
	v_readfirstlane_b32 s25, v1
	s_delay_alu instid0(VALU_DEP_1)
	s_mul_i32 s18, s16, s25
	s_add_i32 s16, s33, -1
	s_mul_hi_u32 s18, s25, s18
	s_abs_i32 s28, s16
	s_add_i32 s25, s25, s18
	s_cmp_lt_i32 s4, 0
	s_mul_hi_u32 s35, s28, s25
	s_cbranch_scc0 .LBB111_7
; %bb.6:
	s_mul_i32 s2, s8, s2
	s_mov_b32 s17, 0
	s_add_i32 s2, s7, s2
	s_delay_alu instid0(SALU_CYCLE_1) | instskip(NEXT) | instid1(SALU_CYCLE_1)
	s_mul_i32 s2, s2, s4
	s_sub_i32 s34, 1, s2
.LBB111_7:
	s_load_b64 s[26:27], s[0:1], 0x38
	s_ashr_i32 s2, s16, 31
	s_and_not1_b32 vcc_lo, exec_lo, s17
	s_ashr_i32 s11, s11, 31
	s_cbranch_vccnz .LBB111_9
; %bb.8:
	s_mul_i32 s8, s13, s8
	s_delay_alu instid0(SALU_CYCLE_1) | instskip(NEXT) | instid1(SALU_CYCLE_1)
	s_add_i32 s8, s8, s24
	s_mul_i32 s4, s8, s4
	s_delay_alu instid0(SALU_CYCLE_1)
	s_add_i32 s34, s4, 1
.LBB111_9:
	s_clause 0x4
	s_load_b32 s8, s[0:1], 0x48
	s_load_b64 s[30:31], s[0:1], 0x28
	s_load_b32 s4, s[0:1], 0x98
	s_load_b128 s[16:19], s[0:1], 0x0
	s_load_b64 s[22:23], s[0:1], 0x10
	s_xor_b32 s36, s2, s11
	s_mul_i32 s2, s35, s21
	s_add_i32 s38, s35, 1
	s_sub_i32 s2, s28, s2
	v_lshrrev_b32_e32 v33, 5, v0
	v_and_b32_e32 v34, 31, v0
	s_mul_i32 s6, s7, s6
	s_delay_alu instid0(VALU_DEP_2) | instskip(NEXT) | instid1(VALU_DEP_2)
	v_lshl_add_u32 v35, v33, 5, s15
	v_lshlrev_b32_e32 v37, 2, v34
	s_waitcnt lgkmcnt(0)
	s_mul_i32 s28, s14, s8
	s_sub_i32 s8, s2, s21
	s_ashr_i32 s29, s28, 31
	s_cmp_ge_u32 s2, s21
	s_cselect_b32 s35, s38, s35
	s_cselect_b32 s2, s8, s2
	s_add_i32 s8, s35, 1
	s_cmp_ge_u32 s2, s21
	s_cselect_b32 s2, s8, s35
	s_add_i32 s8, s33, 31
	s_lshl_b32 s38, s12, 4
	s_ashr_i32 s35, s8, 31
	v_dual_mov_b32 v38, 0xff7fffff :: v_dual_add_nc_u32 v29, s38, v33
	s_lshr_b32 s35, s35, 27
	s_add_i32 s39, s38, 16
	s_add_i32 s8, s8, s35
	s_xor_b32 s40, s2, s36
	s_ashr_i32 s35, s8, 5
	v_ashrrev_i32_e32 v30, 31, v29
	s_min_i32 s8, s39, s35
	s_sub_i32 s36, s40, s36
	v_cmp_gt_i32_e64 s2, s8, v29
	s_delay_alu instid0(VALU_DEP_1)
	s_and_saveexec_b32 s39, s2
	s_cbranch_execz .LBB111_17
; %bb.10:
	s_load_b64 s[0:1], s[0:1], 0x20
	s_ashr_i32 s7, s6, 31
	v_subrev_nc_u32_e32 v5, s33, v34
	s_lshl_b64 s[40:41], s[6:7], 1
	s_sub_i32 s7, s36, s9
	v_dual_mov_b32 v40, 0xff7fffff :: v_dual_lshlrev_b32 v3, 4, v34
	s_delay_alu instid0(VALU_DEP_2) | instskip(SKIP_4) | instid1(VALU_DEP_4)
	v_dual_mov_b32 v47, v29 :: v_dual_add_nc_u32 v42, 1, v5
	v_lshl_or_b32 v7, v33, 7, v37
	v_cmp_neq_f32_e64 vcc_lo, s37, 0
	v_lshl_add_u32 v39, v33, 5, s15
	v_dual_mov_b32 v41, 0 :: v_dual_mov_b32 v38, 0xff7fffff
	v_add_nc_u32_e32 v43, 0xa0, v7
	s_waitcnt lgkmcnt(0)
	s_add_u32 s42, s0, s40
	s_addc_u32 s41, s1, s41
	s_abs_i32 s40, s10
	v_add_co_u32 v44, s42, s42, v3
	v_cvt_f32_u32_e32 v1, s40
	s_sub_i32 s0, 0, s40
	v_add_co_ci_u32_e64 v45, null, s41, 0, s42
	s_mov_b32 s42, s5
	s_delay_alu instid0(VALU_DEP_2) | instskip(SKIP_3) | instid1(VALU_DEP_1)
	v_rcp_iflag_f32_e32 v1, v1
	s_mov_b32 s41, 0
	s_waitcnt_depctr 0xfff
	v_mul_f32_e32 v1, 0x4f7ffffe, v1
	v_cvt_u32_f32_e32 v4, v1
	v_lshlrev_b64 v[1:2], 2, v[29:30]
	s_delay_alu instid0(VALU_DEP_2) | instskip(SKIP_1) | instid1(SALU_CYCLE_1)
	v_mul_lo_u32 v6, s0, v4
	s_lshl_b64 s[0:1], s[28:29], 2
	s_add_u32 s0, s26, s0
	s_addc_u32 s1, s27, s1
	s_delay_alu instid0(VALU_DEP_2) | instskip(NEXT) | instid1(VALU_DEP_1)
	v_add_co_u32 v31, s0, s0, v1
	v_add_co_ci_u32_e64 v32, s0, s1, v2, s0
	s_delay_alu instid0(VALU_DEP_3) | instskip(NEXT) | instid1(VALU_DEP_1)
	v_mul_hi_u32 v5, v4, v6
	v_add_nc_u32_e32 v46, v4, v5
	s_branch .LBB111_12
.LBB111_11:                             ;   in Loop: Header=BB111_12 Depth=1
	s_or_b32 exec_lo, exec_lo, s1
	v_add_nc_u32_e32 v47, 4, v47
	v_add_co_u32 v31, s1, v31, 16
	s_delay_alu instid0(VALU_DEP_1) | instskip(NEXT) | instid1(VALU_DEP_3)
	v_add_co_ci_u32_e64 v32, s1, 0, v32, s1
	v_cmp_le_i32_e64 s0, s8, v47
	v_add_nc_u32_e32 v39, 0x80, v39
	v_add_nc_u32_e32 v43, 0x200, v43
	s_delay_alu instid0(VALU_DEP_3) | instskip(NEXT) | instid1(SALU_CYCLE_1)
	s_or_b32 s41, s0, s41
	s_and_not1_b32 exec_lo, exec_lo, s41
	s_cbranch_execz .LBB111_16
.LBB111_12:                             ; =>This Inner Loop Header: Depth=1
	v_sub_nc_u32_e32 v1, 0, v39
	s_delay_alu instid0(VALU_DEP_1) | instskip(NEXT) | instid1(VALU_DEP_1)
	v_max_i32_e32 v1, v39, v1
	v_mul_hi_u32 v2, v1, s25
	s_delay_alu instid0(VALU_DEP_1) | instskip(NEXT) | instid1(VALU_DEP_1)
	v_mul_lo_u32 v3, v2, s21
	v_sub_nc_u32_e32 v1, v1, v3
	v_add_nc_u32_e32 v3, 1, v2
	s_delay_alu instid0(VALU_DEP_2) | instskip(SKIP_1) | instid1(VALU_DEP_1)
	v_subrev_nc_u32_e32 v4, s21, v1
	v_cmp_le_u32_e64 s0, s21, v1
	v_cndmask_b32_e64 v2, v2, v3, s0
	s_delay_alu instid0(VALU_DEP_3) | instskip(SKIP_1) | instid1(VALU_DEP_3)
	v_cndmask_b32_e64 v1, v1, v4, s0
	v_ashrrev_i32_e32 v3, 31, v39
	v_add_nc_u32_e32 v4, 1, v2
	s_delay_alu instid0(VALU_DEP_3) | instskip(NEXT) | instid1(VALU_DEP_3)
	v_cmp_le_u32_e64 s0, s21, v1
	v_xor_b32_e32 v3, s11, v3
	s_delay_alu instid0(VALU_DEP_2) | instskip(NEXT) | instid1(VALU_DEP_1)
	v_cndmask_b32_e64 v1, v2, v4, s0
	v_xor_b32_e32 v1, v1, v3
	s_delay_alu instid0(VALU_DEP_1) | instskip(NEXT) | instid1(VALU_DEP_1)
	v_sub_nc_u32_e32 v1, v1, v3
	v_add_nc_u32_e32 v2, s34, v1
	v_cmp_ge_i32_e64 s1, s7, v1
	s_delay_alu instid0(VALU_DEP_2) | instskip(NEXT) | instid1(VALU_DEP_1)
	v_sub_nc_u32_e32 v3, 0, v2
	v_max_i32_e32 v3, v2, v3
	v_ashrrev_i32_e32 v2, 31, v2
	s_delay_alu instid0(VALU_DEP_2) | instskip(NEXT) | instid1(VALU_DEP_1)
	v_mul_hi_u32 v4, v3, v46
	v_mul_lo_u32 v4, v4, s40
	s_delay_alu instid0(VALU_DEP_1) | instskip(NEXT) | instid1(VALU_DEP_1)
	v_sub_nc_u32_e32 v3, v3, v4
	v_subrev_nc_u32_e32 v4, s40, v3
	v_cmp_le_u32_e64 s0, s40, v3
	s_delay_alu instid0(VALU_DEP_1) | instskip(NEXT) | instid1(VALU_DEP_1)
	v_cndmask_b32_e64 v3, v3, v4, s0
	v_subrev_nc_u32_e32 v4, s40, v3
	v_cmp_le_u32_e64 s0, s40, v3
	s_delay_alu instid0(VALU_DEP_1) | instskip(NEXT) | instid1(VALU_DEP_1)
	v_cndmask_b32_e64 v3, v3, v4, s0
	v_xor_b32_e32 v3, v3, v2
	s_delay_alu instid0(VALU_DEP_1) | instskip(NEXT) | instid1(VALU_DEP_1)
	v_sub_nc_u32_e32 v2, v3, v2
	v_cmp_ne_u32_e64 s0, 0, v2
	s_delay_alu instid0(VALU_DEP_1) | instskip(NEXT) | instid1(SALU_CYCLE_1)
	s_and_b32 s0, s0, s1
	s_and_saveexec_b32 s1, s0
	s_delay_alu instid0(SALU_CYCLE_1)
	s_xor_b32 s0, exec_lo, s1
	s_cbranch_execz .LBB111_14
; %bb.13:                               ;   in Loop: Header=BB111_12 Depth=1
	ds_store_b32 v43, v40
.LBB111_14:                             ;   in Loop: Header=BB111_12 Depth=1
	s_and_not1_saveexec_b32 s1, s0
	s_cbranch_execz .LBB111_11
; %bb.15:                               ;   in Loop: Header=BB111_12 Depth=1
	global_load_b32 v3, v[31:32], off
	s_waitcnt vmcnt(0)
	v_mad_i64_i32 v[1:2], null, v3, s42, 0
	s_delay_alu instid0(VALU_DEP_1) | instskip(NEXT) | instid1(VALU_DEP_1)
	v_lshlrev_b64 v[1:2], 1, v[1:2]
	v_add_co_u32 v1, s0, v44, v1
	s_delay_alu instid0(VALU_DEP_1)
	v_add_co_ci_u32_e64 v2, s0, v45, v2, s0
	s_clause 0x7
	global_load_b128 v[63:66], v[1:2], off
	global_load_b128 v[25:28], v[1:2], off offset:512
	global_load_b128 v[21:24], v[1:2], off offset:1024
	;; [unrolled: 1-line block ×7, first 2 shown]
	ds_load_b128 v[52:55], v41
	s_waitcnt lgkmcnt(0)
	v_lshrrev_b32_e32 v49, 16, v52
	v_and_b32_e32 v48, 0xffff, v52
	v_lshrrev_b32_e32 v50, 16, v53
	v_and_b32_e32 v51, 0xffff, v53
	;; [unrolled: 2-line block ×4, first 2 shown]
	;;#ASMSTART
	v_cvt_f32_f16 v48, v48;
	;;#ASMEND
	;;#ASMSTART
	v_cvt_f32_f16 v49, v49;
	;;#ASMEND
	s_waitcnt vmcnt(7)
	v_lshrrev_b32_e32 v60, 16, v63
	v_and_b32_e32 v63, 0xffff, v63
	v_lshrrev_b32_e32 v57, 16, v64
	v_lshrrev_b32_e32 v56, 16, v65
	v_and_b32_e32 v58, 0xffff, v65
	v_lshrrev_b32_e32 v59, 16, v66
	v_and_b32_e32 v62, 0xffff, v66
	;;#ASMSTART
	v_cvt_f32_f16 v63, v63;
	;;#ASMEND
	v_and_b32_e32 v61, 0xffff, v64
	;;#ASMSTART
	v_cvt_f32_f16 v60, v60;
	;;#ASMEND
	;;#ASMSTART
	v_cvt_f32_f16 v51, v51;
	;;#ASMEND
	;; [unrolled: 3-line block ×13, first 2 shown]
	ds_load_b128 v[64:67], v41 offset:16
	s_waitcnt vmcnt(6)
	v_lshrrev_b32_e32 v68, 16, v25
	v_and_b32_e32 v25, 0xffff, v25
	v_lshrrev_b32_e32 v69, 16, v26
	v_and_b32_e32 v26, 0xffff, v26
	;; [unrolled: 2-line block ×3, first 2 shown]
	v_lshrrev_b32_e32 v71, 16, v28
	s_waitcnt vmcnt(5)
	v_lshrrev_b32_e32 v81, 16, v21
	v_lshrrev_b32_e32 v82, 16, v22
	;; [unrolled: 1-line block ×4, first 2 shown]
	s_waitcnt vmcnt(4)
	v_lshrrev_b32_e32 v85, 16, v17
	v_lshrrev_b32_e32 v86, 16, v18
	;; [unrolled: 1-line block ×4, first 2 shown]
	s_waitcnt vmcnt(2)
	v_lshrrev_b32_e32 v101, 16, v9
	v_lshrrev_b32_e32 v103, 16, v10
	v_and_b32_e32 v104, 0xffff, v10
	v_lshrrev_b32_e32 v105, 16, v11
	s_waitcnt lgkmcnt(0)
	v_lshrrev_b32_e32 v72, 16, v64
	v_and_b32_e32 v64, 0xffff, v64
	v_lshrrev_b32_e32 v73, 16, v65
	v_and_b32_e32 v65, 0xffff, v65
	;;#ASMSTART
	v_cvt_f32_f16 v64, v64;
	;;#ASMEND
	;;#ASMSTART
	v_cvt_f32_f16 v72, v72;
	;;#ASMEND
	;; [unrolled: 3-line block ×5, first 2 shown]
	v_mul_f32_e32 v64, v64, v76
	;;#ASMSTART
	v_cvt_f32_f16 v73, v73;
	;;#ASMEND
	;;#ASMSTART
	v_cvt_f32_f16 v77, v26;
	;;#ASMEND
	v_dual_mul_f32 v65, v65, v77 :: v_dual_and_b32 v28, 0xffff, v28
	v_lshrrev_b32_e32 v74, 16, v66
	v_and_b32_e32 v66, 0xffff, v66
	v_lshrrev_b32_e32 v75, 16, v67
	v_fmac_f32_e32 v64, v48, v63
	v_and_b32_e32 v67, 0xffff, v67
	;;#ASMSTART
	v_cvt_f32_f16 v69, v69;
	;;#ASMEND
	;;#ASMSTART
	v_cvt_f32_f16 v66, v66;
	;;#ASMEND
	;; [unrolled: 3-line block ×7, first 2 shown]
	v_fmac_f32_e32 v65, v51, v61
	;;#ASMSTART
	v_cvt_f32_f16 v79, v28;
	;;#ASMEND
	;;#ASMSTART
	v_cvt_f32_f16 v71, v71;
	;;#ASMEND
	ds_load_b128 v[25:28], v41 offset:32
	v_dual_mul_f32 v68, v72, v68 :: v_dual_mul_f32 v69, v73, v69
	v_dual_mul_f32 v71, v75, v71 :: v_dual_mul_f32 v66, v66, v78
	v_mul_f32_e32 v70, v74, v70
	s_delay_alu instid0(VALU_DEP_3) | instskip(NEXT) | instid1(VALU_DEP_3)
	v_dual_fmac_f32 v68, v49, v60 :: v_dual_fmac_f32 v69, v50, v57
	v_dual_fmac_f32 v71, v54, v59 :: v_dual_fmac_f32 v66, v53, v58
	v_and_b32_e32 v21, 0xffff, v21
	v_mul_f32_e32 v67, v67, v79
	v_add_nc_u32_e32 v80, v42, v39
	v_fmac_f32_e32 v70, v52, v56
	v_and_b32_e32 v106, 0xffff, v11
	v_lshrrev_b32_e32 v107, 16, v12
	v_dual_fmac_f32 v67, v55, v62 :: v_dual_and_b32 v108, 0xffff, v12
	v_lshrrev_b32_e32 v97, 16, v13
	v_lshrrev_b32_e32 v98, 16, v14
	s_waitcnt lgkmcnt(0)
	v_lshrrev_b32_e32 v88, 16, v25
	v_and_b32_e32 v25, 0xffff, v25
	v_lshrrev_b32_e32 v89, 16, v26
	v_and_b32_e32 v26, 0xffff, v26
	v_lshrrev_b32_e32 v90, 16, v27
	v_lshrrev_b32_e32 v91, 16, v28
	;;#ASMSTART
	v_cvt_f32_f16 v25, v25;
	;;#ASMEND
	;;#ASMSTART
	v_cvt_f32_f16 v88, v88;
	;;#ASMEND
	;; [unrolled: 3-line block ×4, first 2 shown]
	v_dual_fmac_f32 v68, v88, v81 :: v_dual_and_b32 v23, 0xffff, v23
	;;#ASMSTART
	v_cvt_f32_f16 v26, v26;
	;;#ASMEND
	v_and_b32_e32 v22, 0xffff, v22
	;;#ASMSTART
	v_cvt_f32_f16 v89, v89;
	;;#ASMEND
	;;#ASMSTART
	v_cvt_f32_f16 v93, v22;
	;;#ASMEND
	v_dual_fmac_f32 v65, v26, v93 :: v_dual_and_b32 v28, 0xffff, v28
	;;#ASMSTART
	v_cvt_f32_f16 v82, v82;
	;;#ASMEND
	v_dual_fmac_f32 v69, v89, v82 :: v_dual_and_b32 v24, 0xffff, v24
	v_dual_fmac_f32 v64, v25, v92 :: v_dual_and_b32 v27, 0xffff, v27
	;;#ASMSTART
	v_cvt_f32_f16 v27, v27;
	;;#ASMEND
	;;#ASMSTART
	v_cvt_f32_f16 v90, v90;
	;;#ASMEND
	;; [unrolled: 3-line block ×8, first 2 shown]
	ds_load_b128 v[21:24], v41 offset:48
	v_dual_fmac_f32 v70, v90, v83 :: v_dual_and_b32 v17, 0xffff, v17
	v_dual_fmac_f32 v67, v28, v95 :: v_dual_and_b32 v18, 0xffff, v18
	;; [unrolled: 1-line block ×3, first 2 shown]
	v_lshrrev_b32_e32 v99, 16, v15
	v_lshrrev_b32_e32 v100, 16, v16
	s_waitcnt vmcnt(0)
	v_lshrrev_b32_e32 v117, 16, v1
	v_and_b32_e32 v118, 0xffff, v1
	v_lshrrev_b32_e32 v119, 16, v2
	v_and_b32_e32 v120, 0xffff, v2
	;; [unrolled: 2-line block ×4, first 2 shown]
	v_fmac_f32_e32 v66, v27, v94
	v_lshrrev_b32_e32 v113, 16, v5
	v_lshrrev_b32_e32 v115, 16, v7
	s_waitcnt lgkmcnt(0)
	v_lshrrev_b32_e32 v9, 16, v21
	v_and_b32_e32 v10, 0xffff, v21
	v_lshrrev_b32_e32 v11, 16, v22
	v_and_b32_e32 v12, 0xffff, v22
	;; [unrolled: 2-line block ×4, first 2 shown]
	;;#ASMSTART
	v_cvt_f32_f16 v109, v10;
	;;#ASMEND
	;;#ASMSTART
	v_cvt_f32_f16 v110, v9;
	;;#ASMEND
	;; [unrolled: 3-line block ×4, first 2 shown]
	v_dual_fmac_f32 v68, v110, v85 :: v_dual_and_b32 v19, 0xffff, v19
	;;#ASMSTART
	v_cvt_f32_f16 v111, v12;
	;;#ASMEND
	;;#ASMSTART
	v_cvt_f32_f16 v112, v11;
	;;#ASMEND
	;; [unrolled: 3-line block ×4, first 2 shown]
	v_dual_fmac_f32 v69, v112, v86 :: v_dual_and_b32 v20, 0xffff, v20
	;;#ASMSTART
	v_cvt_f32_f16 v22, v22;
	;;#ASMEND
	;;#ASMSTART
	v_cvt_f32_f16 v21, v21;
	;;#ASMEND
	;; [unrolled: 3-line block ×8, first 2 shown]
	ds_load_b128 v[9:12], v41 offset:64
	v_dual_fmac_f32 v64, v109, v17 :: v_dual_fmac_f32 v65, v111, v18
	v_dual_fmac_f32 v70, v21, v87 :: v_dual_and_b32 v13, 0xffff, v13
	v_dual_fmac_f32 v67, v24, v20 :: v_dual_and_b32 v14, 0xffff, v14
	v_dual_fmac_f32 v71, v23, v96 :: v_dual_fmac_f32 v66, v22, v19
	v_lshrrev_b32_e32 v114, 16, v6
	v_lshrrev_b32_e32 v116, 16, v8
	v_cvt_f32_i32_e32 v80, v80
	s_waitcnt lgkmcnt(0)
	v_lshrrev_b32_e32 v1, 16, v9
	v_and_b32_e32 v2, 0xffff, v9
	v_lshrrev_b32_e32 v3, 16, v10
	v_and_b32_e32 v4, 0xffff, v10
	v_lshrrev_b32_e32 v9, 16, v11
	v_and_b32_e32 v10, 0xffff, v11
	v_lshrrev_b32_e32 v11, 16, v12
	v_and_b32_e32 v12, 0xffff, v12
	;;#ASMSTART
	v_cvt_f32_f16 v72, v2;
	;;#ASMEND
	;;#ASMSTART
	v_cvt_f32_f16 v76, v1;
	;;#ASMEND
	;; [unrolled: 3-line block ×3, first 2 shown]
	v_dual_fmac_f32 v64, v72, v13 :: v_dual_and_b32 v15, 0xffff, v15
	;;#ASMSTART
	v_cvt_f32_f16 v77, v97;
	;;#ASMEND
	;;#ASMSTART
	v_cvt_f32_f16 v97, v4;
	;;#ASMEND
	;; [unrolled: 3-line block ×4, first 2 shown]
	v_dual_fmac_f32 v65, v97, v14 :: v_dual_and_b32 v16, 0xffff, v16
	;;#ASMSTART
	v_cvt_f32_f16 v98, v98;
	;;#ASMEND
	;;#ASMSTART
	v_cvt_f32_f16 v10, v10;
	;;#ASMEND
	;; [unrolled: 3-line block ×9, first 2 shown]
	ds_load_b128 v[1:4], v41 offset:80
	v_fmac_f32_e32 v70, v9, v99
	v_fmac_f32_e32 v69, v125, v98
	;; [unrolled: 1-line block ×3, first 2 shown]
	v_dual_fmac_f32 v66, v10, v15 :: v_dual_and_b32 v5, 0xffff, v5
	v_dual_fmac_f32 v68, v76, v77 :: v_dual_and_b32 v7, 0xffff, v7
	v_fmac_f32_e32 v71, v11, v100
	s_waitcnt lgkmcnt(0)
	v_lshrrev_b32_e32 v25, 16, v1
	v_and_b32_e32 v1, 0xffff, v1
	v_lshrrev_b32_e32 v48, 16, v2
	v_and_b32_e32 v2, 0xffff, v2
	v_lshrrev_b32_e32 v49, 16, v3
	v_lshrrev_b32_e32 v50, 16, v4
	v_and_b32_e32 v4, 0xffff, v4
	;;#ASMSTART
	v_cvt_f32_f16 v51, v1;
	;;#ASMEND
	;;#ASMSTART
	v_cvt_f32_f16 v25, v25;
	;;#ASMEND
	;;#ASMSTART
	v_cvt_f32_f16 v52, v102;
	;;#ASMEND
	v_dual_fmac_f32 v64, v51, v52 :: v_dual_and_b32 v3, 0xffff, v3
	;;#ASMSTART
	v_cvt_f32_f16 v53, v101;
	;;#ASMEND
	;;#ASMSTART
	v_cvt_f32_f16 v54, v2;
	;;#ASMEND
	;; [unrolled: 3-line block ×11, first 2 shown]
	v_fmac_f32_e32 v65, v54, v55
	;;#ASMSTART
	v_cvt_f32_f16 v61, v108;
	;;#ASMEND
	;;#ASMSTART
	v_cvt_f32_f16 v62, v107;
	;;#ASMEND
	ds_load_b128 v[1:4], v41 offset:96
	v_dual_fmac_f32 v67, v60, v61 :: v_dual_and_b32 v6, 0xffff, v6
	v_fmac_f32_e32 v66, v57, v58
	v_dual_fmac_f32 v68, v25, v53 :: v_dual_fmac_f32 v69, v48, v56
	v_fmac_f32_e32 v71, v50, v62
	s_waitcnt lgkmcnt(0)
	v_lshrrev_b32_e32 v13, 16, v1
	v_lshrrev_b32_e32 v14, 16, v2
	v_and_b32_e32 v1, 0xffff, v1
	v_and_b32_e32 v2, 0xffff, v2
	v_lshrrev_b32_e32 v17, 16, v3
	v_and_b32_e32 v3, 0xffff, v3
	v_lshrrev_b32_e32 v18, 16, v4
	v_and_b32_e32 v4, 0xffff, v4
	;;#ASMSTART
	v_cvt_f32_f16 v19, v1;
	;;#ASMEND
	;;#ASMSTART
	v_cvt_f32_f16 v13, v13;
	;;#ASMEND
	;; [unrolled: 3-line block ×7, first 2 shown]
	v_dual_fmac_f32 v65, v21, v6 :: v_dual_and_b32 v8, 0xffff, v8
	;;#ASMSTART
	v_cvt_f32_f16 v22, v114;
	;;#ASMEND
	;;#ASMSTART
	v_cvt_f32_f16 v23, v3;
	;;#ASMEND
	;; [unrolled: 3-line block ×9, first 2 shown]
	ds_load_b128 v[1:4], v41 offset:112
	v_fmac_f32_e32 v64, v19, v5
	v_fmac_f32_e32 v68, v13, v20
	v_dual_fmac_f32 v70, v49, v59 :: v_dual_fmac_f32 v69, v14, v22
	v_dual_fmac_f32 v67, v26, v8 :: v_dual_fmac_f32 v66, v23, v7
	v_fmac_f32_e32 v71, v18, v27
	s_waitcnt lgkmcnt(0)
	v_and_b32_e32 v5, 0xffff, v1
	v_lshrrev_b32_e32 v1, 16, v1
	;;#ASMSTART
	v_cvt_f32_f16 v5, v5;
	;;#ASMEND
	;;#ASMSTART
	v_cvt_f32_f16 v1, v1;
	;;#ASMEND
	;; [unrolled: 3-line block ×4, first 2 shown]
	v_fmac_f32_e32 v64, v5, v7
	v_fmac_f32_e32 v68, v1, v8
	v_lshrrev_b32_e32 v6, 16, v2
	v_and_b32_e32 v2, 0xffff, v2
	;;#ASMSTART
	v_cvt_f32_f16 v1, v2;
	;;#ASMEND
	;;#ASMSTART
	v_cvt_f32_f16 v2, v6;
	;;#ASMEND
	;; [unrolled: 3-line block ×3, first 2 shown]
	v_fmac_f32_e32 v65, v1, v5
	v_add_f32_e32 v1, v64, v68
	;;#ASMSTART
	v_cvt_f32_f16 v6, v119;
	;;#ASMEND
	v_fmac_f32_e32 v69, v2, v6
	v_and_b32_e32 v5, 0xffff, v3
	v_lshrrev_b32_e32 v3, 16, v3
	v_add_f32_e32 v1, v1, v65
	v_fmac_f32_e32 v70, v17, v24
	;;#ASMSTART
	v_cvt_f32_f16 v2, v5;
	;;#ASMEND
	;;#ASMSTART
	v_cvt_f32_f16 v3, v3;
	;;#ASMEND
	;; [unrolled: 3-line block ×3, first 2 shown]
	v_fmac_f32_e32 v66, v2, v5
	v_add_f32_e32 v1, v69, v1
	;;#ASMSTART
	v_cvt_f32_f16 v5, v121;
	;;#ASMEND
	v_fmac_f32_e32 v70, v3, v5
	v_and_b32_e32 v2, 0xffff, v4
	v_lshrrev_b32_e32 v4, 16, v4
	v_add_f32_e32 v1, v1, v66
	;;#ASMSTART
	v_cvt_f32_f16 v2, v2;
	;;#ASMEND
	;;#ASMSTART
	v_cvt_f32_f16 v3, v4;
	;;#ASMEND
	;; [unrolled: 3-line block ×3, first 2 shown]
	v_fmac_f32_e32 v67, v2, v4
	v_dual_add_f32 v1, v70, v1 :: v_dual_mul_f32 v2, s37, v80
	;;#ASMSTART
	v_cvt_f32_f16 v4, v123;
	;;#ASMEND
	v_fmac_f32_e32 v71, v3, v4
	v_max_f32_e32 v3, v38, v38
	s_delay_alu instid0(VALU_DEP_3) | instskip(NEXT) | instid1(VALU_DEP_1)
	v_dual_add_f32 v1, v1, v67 :: v_dual_cndmask_b32 v2, 0, v2
	v_add_f32_e32 v1, v71, v1
	s_delay_alu instid0(VALU_DEP_1) | instskip(NEXT) | instid1(VALU_DEP_1)
	v_dual_fmac_f32 v2, s3, v1 :: v_dual_add_nc_u32 v1, v34, v39
	v_max_f32_e32 v3, v3, v2
	s_delay_alu instid0(VALU_DEP_2) | instskip(NEXT) | instid1(VALU_DEP_1)
	v_cmp_gt_i32_e64 s0, s33, v1
	v_cndmask_b32_e64 v1, 0, v2, s0
	s_delay_alu instid0(VALU_DEP_3)
	v_cndmask_b32_e64 v38, v38, v3, s0
	ds_store_b32 v43, v1
	s_branch .LBB111_11
.LBB111_16:
	s_or_b32 exec_lo, exec_lo, s41
.LBB111_17:
	s_delay_alu instid0(SALU_CYCLE_1) | instskip(SKIP_1) | instid1(VALU_DEP_1)
	s_or_b32 exec_lo, exec_lo, s39
	v_mbcnt_lo_u32_b32 v1, -1, 0
	v_xor_b32_e32 v2, 16, v1
	v_xor_b32_e32 v4, 8, v1
	s_delay_alu instid0(VALU_DEP_2) | instskip(SKIP_1) | instid1(VALU_DEP_3)
	v_cmp_gt_i32_e32 vcc_lo, 32, v2
	v_cndmask_b32_e32 v2, v1, v2, vcc_lo
	v_cmp_gt_i32_e32 vcc_lo, 32, v4
	v_max_f32_e32 v5, v38, v38
	s_delay_alu instid0(VALU_DEP_3) | instskip(SKIP_4) | instid1(VALU_DEP_1)
	v_lshlrev_b32_e32 v2, 2, v2
	v_cndmask_b32_e32 v4, v1, v4, vcc_lo
	ds_bpermute_b32 v3, v2, v38
	s_waitcnt lgkmcnt(0)
	v_dual_max_f32 v6, v3, v3 :: v_dual_lshlrev_b32 v3, 2, v4
	v_max_f32_e32 v4, v5, v6
	v_xor_b32_e32 v6, 4, v1
	ds_bpermute_b32 v5, v3, v4
	v_cmp_gt_i32_e32 vcc_lo, 32, v6
	v_cndmask_b32_e32 v6, v1, v6, vcc_lo
	s_waitcnt lgkmcnt(0)
	v_max_f32_e32 v7, v5, v5
	s_delay_alu instid0(VALU_DEP_1)
	v_dual_max_f32 v4, v4, v7 :: v_dual_lshlrev_b32 v5, 2, v6
	v_xor_b32_e32 v7, 2, v1
	ds_bpermute_b32 v6, v5, v4
	v_cmp_gt_i32_e32 vcc_lo, 32, v7
	s_waitcnt lgkmcnt(0)
	v_dual_cndmask_b32 v7, v1, v7 :: v_dual_max_f32 v6, v6, v6
	s_delay_alu instid0(VALU_DEP_1) | instskip(NEXT) | instid1(VALU_DEP_2)
	v_max_f32_e32 v4, v4, v6
	v_lshlrev_b32_e32 v10, 2, v7
	v_xor_b32_e32 v7, 1, v1
	s_delay_alu instid0(VALU_DEP_1)
	v_cmp_gt_i32_e32 vcc_lo, 32, v7
	v_cndmask_b32_e32 v7, v1, v7, vcc_lo
	ds_bpermute_b32 v6, v10, v4
	v_cmp_eq_u32_e32 vcc_lo, 0, v34
	s_waitcnt lgkmcnt(0)
	v_dual_max_f32 v6, v6, v6 :: v_dual_lshlrev_b32 v9, 2, v7
	s_delay_alu instid0(VALU_DEP_1)
	v_dual_max_f32 v1, v4, v6 :: v_dual_lshlrev_b32 v6, 2, v33
	ds_bpermute_b32 v4, v9, v1
	s_and_saveexec_b32 s0, vcc_lo
	s_cbranch_execz .LBB111_19
; %bb.18:
	s_waitcnt lgkmcnt(0)
	v_dual_max_f32 v4, v4, v4 :: v_dual_max_f32 v1, v1, v1
	s_delay_alu instid0(VALU_DEP_1)
	v_max_f32_e32 v1, v1, v4
	ds_store_b32 v6, v1 offset:128
.LBB111_19:
	s_or_b32 exec_lo, exec_lo, s0
	v_cmp_gt_u32_e64 s0, 4, v34
	v_mov_b32_e32 v1, 0xff7fffff
	s_waitcnt lgkmcnt(0)
	s_barrier
	buffer_gl0_inv
	s_and_saveexec_b32 s1, s0
	s_cbranch_execz .LBB111_21
; %bb.20:
	ds_load_b32 v1, v37 offset:128
.LBB111_21:
	s_or_b32 exec_lo, exec_lo, s1
	s_waitcnt lgkmcnt(0)
	ds_bpermute_b32 v4, v10, v1
	v_max_f32_e32 v1, v1, v1
	s_sub_i32 s1, s8, s38
	v_mov_b32_e32 v7, 0
	s_lshl_b32 s1, s1, 5
	s_delay_alu instid0(SALU_CYCLE_1) | instskip(NEXT) | instid1(SALU_CYCLE_1)
	s_add_i32 s1, s1, s15
	s_min_i32 s1, s1, s33
	s_delay_alu instid0(SALU_CYCLE_1) | instskip(NEXT) | instid1(SALU_CYCLE_1)
	s_sub_i32 s7, s1, s15
	v_cmp_gt_i32_e64 s1, s7, v0
	s_waitcnt lgkmcnt(0)
	v_max_f32_e32 v4, v4, v4
	s_delay_alu instid0(VALU_DEP_1) | instskip(SKIP_3) | instid1(VALU_DEP_1)
	v_max_f32_e32 v1, v1, v4
	ds_bpermute_b32 v4, v9, v1
	s_waitcnt lgkmcnt(0)
	v_max_f32_e32 v4, v4, v4
	v_max_f32_e32 v1, v1, v4
	v_lshl_add_u32 v4, v0, 2, 0xa0
	ds_bpermute_b32 v1, v7, v1
	s_and_saveexec_b32 s15, s1
	s_cbranch_execz .LBB111_25
; %bb.22:
	v_lshl_add_u32 v8, v0, 2, 0xa0
	v_mov_b32_e32 v7, 0
	v_mov_b32_e32 v11, v0
	s_mov_b32 s37, 0
	.p2align	6
.LBB111_23:                             ; =>This Inner Loop Header: Depth=1
	ds_load_b32 v12, v8
	v_add_nc_u32_e32 v11, 0x80, v11
	s_delay_alu instid0(VALU_DEP_1) | instskip(NEXT) | instid1(VALU_DEP_1)
	v_cmp_le_i32_e64 s3, s7, v11
	s_or_b32 s37, s3, s37
	s_waitcnt lgkmcnt(0)
	v_sub_f32_e32 v12, v12, v1
	s_delay_alu instid0(VALU_DEP_1) | instskip(NEXT) | instid1(VALU_DEP_1)
	v_mul_f32_e32 v12, 0x3fb8aa3b, v12
	v_exp_f32_e32 v12, v12
	ds_store_b32 v8, v12
	v_add_f32_e32 v7, v7, v12
	v_add_nc_u32_e32 v8, 0x200, v8
	s_and_not1_b32 exec_lo, exec_lo, s37
	s_cbranch_execnz .LBB111_23
; %bb.24:
	s_or_b32 exec_lo, exec_lo, s37
.LBB111_25:
	s_delay_alu instid0(SALU_CYCLE_1)
	s_or_b32 exec_lo, exec_lo, s15
	ds_bpermute_b32 v2, v2, v7
	s_waitcnt lgkmcnt(0)
	v_add_f32_e32 v2, v7, v2
	ds_bpermute_b32 v3, v3, v2
	s_waitcnt lgkmcnt(0)
	v_add_f32_e32 v2, v2, v3
	;; [unrolled: 3-line block ×5, first 2 shown]
	s_and_saveexec_b32 s3, vcc_lo
	s_cbranch_execz .LBB111_27
; %bb.26:
	ds_store_b32 v6, v2 offset:144
.LBB111_27:
	s_or_b32 exec_lo, exec_lo, s3
	s_waitcnt lgkmcnt(0)
	s_barrier
	buffer_gl0_inv
	s_and_saveexec_b32 s3, s0
	s_cbranch_execz .LBB111_29
; %bb.28:
	ds_load_b32 v2, v37 offset:144
.LBB111_29:
	s_or_b32 exec_lo, exec_lo, s3
	s_waitcnt lgkmcnt(0)
	ds_bpermute_b32 v3, v10, v2
	s_waitcnt lgkmcnt(0)
	v_add_f32_e32 v2, v2, v3
	ds_bpermute_b32 v3, v9, v2
	s_waitcnt lgkmcnt(0)
	v_dual_add_f32 v2, v2, v3 :: v_dual_mov_b32 v3, 0
	ds_bpermute_b32 v2, v3, v2
	s_and_saveexec_b32 s0, s1
	s_cbranch_execz .LBB111_32
; %bb.30:
	s_waitcnt lgkmcnt(0)
	v_add_f32_e32 v3, 0x358637bd, v2
	s_mov_b32 s1, 0
	s_delay_alu instid0(VALU_DEP_1) | instskip(SKIP_1) | instid1(VALU_DEP_2)
	v_div_scale_f32 v5, null, v3, v3, 1.0
	v_div_scale_f32 v8, vcc_lo, 1.0, v3, 1.0
	v_rcp_f32_e32 v6, v5
	s_waitcnt_depctr 0xfff
	v_fma_f32 v7, -v5, v6, 1.0
	s_delay_alu instid0(VALU_DEP_1) | instskip(NEXT) | instid1(VALU_DEP_1)
	v_fmac_f32_e32 v6, v7, v6
	v_mul_f32_e32 v7, v8, v6
	s_delay_alu instid0(VALU_DEP_1) | instskip(NEXT) | instid1(VALU_DEP_1)
	v_fma_f32 v11, -v5, v7, v8
	v_fmac_f32_e32 v7, v11, v6
	s_delay_alu instid0(VALU_DEP_1) | instskip(NEXT) | instid1(VALU_DEP_1)
	v_fma_f32 v5, -v5, v7, v8
	v_div_fmas_f32 v5, v5, v6, v7
	s_delay_alu instid0(VALU_DEP_1)
	v_div_fixup_f32 v3, v5, v3, 1.0
	v_mov_b32_e32 v5, v0
.LBB111_31:                             ; =>This Inner Loop Header: Depth=1
	ds_load_b32 v6, v4
	s_waitcnt lgkmcnt(0)
	v_dual_mul_f32 v6, v3, v6 :: v_dual_add_nc_u32 v5, 0x80, v5
	s_delay_alu instid0(VALU_DEP_1) | instskip(SKIP_3) | instid1(SALU_CYCLE_1)
	v_cmp_le_i32_e32 vcc_lo, s7, v5
	ds_store_b32 v4, v6
	v_add_nc_u32_e32 v4, 0x200, v4
	s_or_b32 s1, vcc_lo, s1
	s_and_not1_b32 exec_lo, exec_lo, s1
	s_cbranch_execnz .LBB111_31
.LBB111_32:
	s_or_b32 exec_lo, exec_lo, s0
	s_mul_i32 s0, s4, s14
	s_waitcnt lgkmcnt(0)
	s_mul_i32 s14, s0, s13
	s_mov_b32 s0, exec_lo
	s_barrier
	buffer_gl0_inv
	v_cmpx_eq_u32_e32 0, v0
	s_cbranch_execz .LBB111_34
; %bb.33:
	s_ashr_i32 s15, s14, 31
	s_mul_i32 s40, s4, s24
	s_lshl_b64 s[38:39], s[14:15], 2
	v_mov_b32_e32 v3, 0
	s_add_u32 s1, s18, s38
	s_addc_u32 s3, s19, s39
	s_ashr_i32 s41, s40, 31
	s_delay_alu instid0(SALU_CYCLE_1) | instskip(NEXT) | instid1(SALU_CYCLE_1)
	s_lshl_b64 s[18:19], s[40:41], 2
	s_add_u32 s1, s1, s18
	s_addc_u32 s3, s3, s19
	s_ashr_i32 s13, s12, 31
	s_delay_alu instid0(SALU_CYCLE_1) | instskip(NEXT) | instid1(SALU_CYCLE_1)
	s_lshl_b64 s[40:41], s[12:13], 2
	s_add_u32 s42, s1, s40
	s_addc_u32 s43, s3, s41
	s_add_u32 s1, s16, s38
	s_addc_u32 s3, s17, s39
	s_add_u32 s1, s1, s18
	s_addc_u32 s3, s3, s19
	s_add_u32 s16, s1, s40
	s_addc_u32 s17, s3, s41
	s_clause 0x1
	global_store_b32 v3, v1, s[42:43]
	global_store_b32 v3, v2, s[16:17]
.LBB111_34:
	s_or_b32 exec_lo, exec_lo, s0
	v_dual_mov_b32 v19, 0 :: v_dual_mov_b32 v14, 0
	v_dual_mov_b32 v16, 0 :: v_dual_and_b32 v11, 3, v0
	v_dual_mov_b32 v13, 0 :: v_dual_mov_b32 v18, 0
	v_dual_mov_b32 v15, 0 :: v_dual_mov_b32 v12, 0
	v_mov_b32_e32 v17, 0
	s_mov_b32 s3, 0
	s_and_saveexec_b32 s1, s2
	s_cbranch_execz .LBB111_56
; %bb.35:
	s_ashr_i32 s7, s6, 31
	s_sub_i32 s2, s36, s9
	s_lshl_b64 s[6:7], s[6:7], 1
	v_dual_mov_b32 v12, 0 :: v_dual_lshlrev_b32 v3, 3, v0
	s_add_u32 s0, s30, s6
	s_addc_u32 s15, s31, s7
	s_abs_i32 s6, s10
	s_delay_alu instid0(VALU_DEP_1) | instskip(SKIP_4) | instid1(VALU_DEP_3)
	v_dual_mov_b32 v19, 0 :: v_dual_and_b32 v20, 24, v3
	v_cvt_f32_u32_e32 v1, s6
	s_sub_i32 s16, 0, s6
	v_dual_mov_b32 v18, 0 :: v_dual_and_b32 v5, 0x1f0, v36
	v_dual_mov_b32 v17, 0 :: v_dual_lshlrev_b32 v6, 5, v11
	v_rcp_iflag_f32_e32 v4, v1
	v_lshlrev_b64 v[1:2], 2, v[29:30]
	s_delay_alu instid0(VALU_DEP_3)
	v_add_co_u32 v21, s0, s0, v5
	s_add_i32 s35, s35, -1
	v_lshl_or_b32 v6, v33, 7, v6
	v_mov_b32_e32 v15, 0
	v_add_co_ci_u32_e64 v22, null, s15, 0, s0
	v_dual_mov_b32 v16, 0 :: v_dual_mov_b32 v13, 0
	s_delay_alu instid0(TRANS32_DEP_1) | instskip(SKIP_3) | instid1(VALU_DEP_2)
	v_mul_f32_e32 v4, 0x4f7ffffe, v4
	v_dual_mov_b32 v14, 0 :: v_dual_add_nc_u32 v23, 0xa0, v6
	s_mov_b32 s7, s33
	s_mov_b32 s9, s33
	v_cvt_u32_f32_e32 v4, v4
	s_mov_b32 s10, s33
	s_mov_b32 s13, s33
	s_delay_alu instid0(VALU_DEP_1) | instskip(SKIP_1) | instid1(SALU_CYCLE_1)
	v_mul_lo_u32 v3, s16, v4
	s_lshl_b64 s[16:17], s[28:29], 2
	s_add_u32 s0, s26, s16
	s_addc_u32 s15, s27, s17
	v_add_co_u32 v5, vcc_lo, s0, v1
	v_add_co_ci_u32_e32 v6, vcc_lo, s15, v2, vcc_lo
	s_delay_alu instid0(VALU_DEP_3) | instskip(SKIP_3) | instid1(VALU_DEP_1)
	v_mul_hi_u32 v3, v4, v3
	s_mov_b32 s15, s33
	s_mov_b32 s16, s33
	;; [unrolled: 1-line block ×3, first 2 shown]
	v_add_nc_u32_e32 v24, v4, v3
	s_branch .LBB111_38
.LBB111_36:                             ;   in Loop: Header=BB111_38 Depth=1
	s_or_b32 exec_lo, exec_lo, s0
	s_waitcnt vmcnt(0)
	;;#ASMSTART
	v_pk_mul_f16 v1, v42, v1;

	;;#ASMEND
	v_dual_add_f32 v7, v53, v54 :: v_dual_add_f32 v8, v51, v52
	;;#ASMSTART
	v_pk_mul_f16 v2, v41, v2;

	;;#ASMEND
	;;#ASMSTART
	v_pk_mul_f16 v3, v40, v3;

	;;#ASMEND
	;; [unrolled: 4-line block ×3, first 2 shown]
	;;#ASMSTART
	v_pk_add_f16 v1, v1, v2;

	;;#ASMEND
	;;#ASMSTART
	v_pk_add_f16 v1, v1, v3;

	;;#ASMEND
	;; [unrolled: 4-line block ×3, first 2 shown]
	v_dual_add_f32 v25, v49, v50 :: v_dual_and_b32 v2, 0xffff, v1
	v_lshrrev_b32_e32 v1, 16, v1
	;;#ASMSTART
	v_cvt_f32_f16 v2, v2;
	;;#ASMEND
	;;#ASMSTART
	v_cvt_f32_f16 v1, v1;
	;;#ASMEND
	s_delay_alu instid0(VALU_DEP_2) | instskip(SKIP_3) | instid1(VALU_DEP_2)
	v_dual_add_f32 v13, v13, v7 :: v_dual_add_f32 v14, v14, v25
	v_dual_add_f32 v15, v15, v8 :: v_dual_add_f32 v8, v37, v39
	v_add_f32_e32 v7, v47, v48
	v_dual_add_f32 v3, v45, v46 :: v_dual_add_f32 v4, v43, v44
	v_dual_add_f32 v1, v2, v1 :: v_dual_add_f32 v16, v16, v7
	s_delay_alu instid0(VALU_DEP_2) | instskip(NEXT) | instid1(VALU_DEP_2)
	v_dual_add_f32 v17, v17, v3 :: v_dual_add_f32 v18, v18, v4
	v_dual_add_f32 v12, v12, v8 :: v_dual_add_f32 v19, v19, v1
.LBB111_37:                             ;   in Loop: Header=BB111_38 Depth=1
	s_or_b32 exec_lo, exec_lo, s18
	v_add_nc_u32_e32 v29, 4, v29
	v_add_co_u32 v5, s0, v5, 16
	s_delay_alu instid0(VALU_DEP_1) | instskip(NEXT) | instid1(VALU_DEP_3)
	v_add_co_ci_u32_e64 v6, s0, 0, v6, s0
	v_cmp_le_i32_e32 vcc_lo, s8, v29
	v_add_nc_u32_e32 v35, 0x80, v35
	v_add_nc_u32_e32 v23, 0x200, v23
	s_or_b32 s3, vcc_lo, s3
	s_delay_alu instid0(SALU_CYCLE_1)
	s_and_not1_b32 exec_lo, exec_lo, s3
	s_cbranch_execz .LBB111_55
.LBB111_38:                             ; =>This Inner Loop Header: Depth=1
	v_sub_nc_u32_e32 v1, 0, v35
	s_delay_alu instid0(VALU_DEP_1) | instskip(NEXT) | instid1(VALU_DEP_1)
	v_max_i32_e32 v1, v35, v1
	v_mul_hi_u32 v2, v1, s25
	s_delay_alu instid0(VALU_DEP_1) | instskip(NEXT) | instid1(VALU_DEP_1)
	v_mul_lo_u32 v3, v2, s21
	v_sub_nc_u32_e32 v1, v1, v3
	v_add_nc_u32_e32 v3, 1, v2
	s_delay_alu instid0(VALU_DEP_2) | instskip(SKIP_1) | instid1(VALU_DEP_2)
	v_subrev_nc_u32_e32 v4, s21, v1
	v_cmp_le_u32_e32 vcc_lo, s21, v1
	v_dual_cndmask_b32 v2, v2, v3 :: v_dual_cndmask_b32 v1, v1, v4
	v_ashrrev_i32_e32 v3, 31, v35
	s_delay_alu instid0(VALU_DEP_2) | instskip(NEXT) | instid1(VALU_DEP_3)
	v_add_nc_u32_e32 v4, 1, v2
	v_cmp_le_u32_e32 vcc_lo, s21, v1
	s_delay_alu instid0(VALU_DEP_3) | instskip(NEXT) | instid1(VALU_DEP_3)
	v_xor_b32_e32 v3, s11, v3
	v_cndmask_b32_e32 v1, v2, v4, vcc_lo
	s_delay_alu instid0(VALU_DEP_1) | instskip(NEXT) | instid1(VALU_DEP_1)
	v_xor_b32_e32 v1, v1, v3
	v_sub_nc_u32_e32 v1, v1, v3
	s_delay_alu instid0(VALU_DEP_1) | instskip(SKIP_1) | instid1(VALU_DEP_2)
	v_add_nc_u32_e32 v2, s34, v1
	v_cmp_lt_i32_e64 s0, s2, v1
	v_sub_nc_u32_e32 v3, 0, v2
	s_delay_alu instid0(VALU_DEP_1) | instskip(NEXT) | instid1(VALU_DEP_1)
	v_max_i32_e32 v3, v2, v3
	v_mul_hi_u32 v4, v3, v24
	s_delay_alu instid0(VALU_DEP_1) | instskip(NEXT) | instid1(VALU_DEP_1)
	v_mul_lo_u32 v4, v4, s6
	v_sub_nc_u32_e32 v3, v3, v4
	s_delay_alu instid0(VALU_DEP_1) | instskip(SKIP_1) | instid1(VALU_DEP_2)
	v_subrev_nc_u32_e32 v4, s6, v3
	v_cmp_le_u32_e32 vcc_lo, s6, v3
	v_cndmask_b32_e32 v3, v3, v4, vcc_lo
	v_ashrrev_i32_e32 v2, 31, v2
	s_delay_alu instid0(VALU_DEP_2) | instskip(SKIP_1) | instid1(VALU_DEP_2)
	v_subrev_nc_u32_e32 v4, s6, v3
	v_cmp_le_u32_e32 vcc_lo, s6, v3
	v_cndmask_b32_e32 v3, v3, v4, vcc_lo
	s_delay_alu instid0(VALU_DEP_1) | instskip(NEXT) | instid1(VALU_DEP_1)
	v_xor_b32_e32 v3, v3, v2
	v_sub_nc_u32_e32 v2, v3, v2
	s_delay_alu instid0(VALU_DEP_1) | instskip(SKIP_1) | instid1(SALU_CYCLE_1)
	v_cmp_eq_u32_e32 vcc_lo, 0, v2
	s_or_b32 s0, vcc_lo, s0
	s_and_saveexec_b32 s18, s0
	s_cbranch_execz .LBB111_37
; %bb.39:                               ;   in Loop: Header=BB111_38 Depth=1
	global_load_b32 v30, v[5:6], off
	ds_load_2addr_b64 v[1:4], v23 offset1:1
	ds_load_2addr_b64 v[25:28], v23 offset0:2 offset1:3
	s_waitcnt lgkmcnt(1)
	;;#ASMSTART
	v_cvt_f16_f32 v40, v1;

	;;#ASMEND
	;;#ASMSTART
	v_cvt_f16_f32 v37, v2;

	;;#ASMEND
	;; [unrolled: 4-line block ×4, first 2 shown]
	s_waitcnt lgkmcnt(0)
	;;#ASMSTART
	v_cvt_f16_f32 v42, v25;

	;;#ASMEND
	;;#ASMSTART
	v_cvt_f16_f32 v39, v26;

	;;#ASMEND
	;; [unrolled: 4-line block ×4, first 2 shown]
	v_add_nc_u32_e32 v25, v20, v35
	s_delay_alu instid0(VALU_DEP_1)
	v_add_nc_u32_e32 v26, 1, v25
	v_or_b32_e32 v28, 3, v25
	v_or_b32_e32 v27, 2, v25
	;; [unrolled: 1-line block ×5, first 2 shown]
	s_waitcnt vmcnt(0)
	v_mad_i64_i32 v[7:8], null, v30, s5, 0
	v_or_b32_e32 v30, 4, v25
	s_delay_alu instid0(VALU_DEP_2) | instskip(NEXT) | instid1(VALU_DEP_1)
	v_lshlrev_b64 v[7:8], 1, v[7:8]
	v_add_co_u32 v7, vcc_lo, v21, v7
	s_delay_alu instid0(VALU_DEP_2)
	v_add_co_ci_u32_e32 v8, vcc_lo, v22, v8, vcc_lo
	v_cmp_eq_u32_e32 vcc_lo, s35, v29
	global_load_b128 v[1:4], v[7:8], off
	s_and_saveexec_b32 s19, vcc_lo
	s_cbranch_execz .LBB111_41
; %bb.40:                               ;   in Loop: Header=BB111_38 Depth=1
	v_cmp_gt_i32_e64 s0, s16, v36
	s_waitcnt vmcnt(0)
	v_lshrrev_b32_e32 v45, 16, v4
	v_lshrrev_b32_e32 v46, 16, v3
	;; [unrolled: 1-line block ×4, first 2 shown]
	v_cndmask_b32_e64 v4, 0, v4, s0
	v_cmp_gt_i32_e64 s0, s17, v32
	s_delay_alu instid0(VALU_DEP_1) | instskip(SKIP_1) | instid1(VALU_DEP_2)
	v_cndmask_b32_e64 v45, 0, v45, s0
	v_cmp_gt_i32_e64 s0, s15, v31
	v_perm_b32 v4, v45, v4, 0x5040100
	s_delay_alu instid0(VALU_DEP_2) | instskip(SKIP_1) | instid1(VALU_DEP_1)
	v_cndmask_b32_e64 v46, 0, v46, s0
	v_cmp_gt_i32_e64 s0, s13, v30
	v_cndmask_b32_e64 v3, 0, v3, s0
	v_cmp_gt_i32_e64 s0, s10, v28
	s_delay_alu instid0(VALU_DEP_2) | instskip(NEXT) | instid1(VALU_DEP_2)
	v_perm_b32 v3, v46, v3, 0x5040100
	v_cndmask_b32_e64 v47, 0, v47, s0
	v_cmp_gt_i32_e64 s0, s9, v27
	s_delay_alu instid0(VALU_DEP_1) | instskip(SKIP_1) | instid1(VALU_DEP_2)
	v_cndmask_b32_e64 v2, 0, v2, s0
	v_cmp_gt_i32_e64 s0, s7, v26
	v_perm_b32 v2, v47, v2, 0x5040100
	s_delay_alu instid0(VALU_DEP_2) | instskip(SKIP_1) | instid1(VALU_DEP_1)
	v_cndmask_b32_e64 v48, 0, v48, s0
	v_cmp_gt_i32_e64 s0, s33, v25
	v_cndmask_b32_e64 v1, 0, v1, s0
	s_delay_alu instid0(VALU_DEP_1)
	v_perm_b32 v1, v48, v1, 0x5040100
.LBB111_41:                             ;   in Loop: Header=BB111_38 Depth=1
	s_or_b32 exec_lo, exec_lo, s19
	v_and_b32_e32 v40, 0xffff, v40
	v_and_b32_e32 v41, 0xffff, v41
	;; [unrolled: 1-line block ×4, first 2 shown]
	s_delay_alu instid0(VALU_DEP_4)
	v_lshl_or_b32 v42, v37, 16, v40
	s_waitcnt vmcnt(0)
	;;#ASMSTART
	v_pk_mul_f16 v1, v42, v1;

	;;#ASMEND
	v_lshl_or_b32 v41, v38, 16, v41
	v_lshl_or_b32 v40, v39, 16, v45
	;; [unrolled: 1-line block ×3, first 2 shown]
	;;#ASMSTART
	v_pk_mul_f16 v2, v41, v2;

	;;#ASMEND
	;;#ASMSTART
	v_pk_mul_f16 v3, v40, v3;

	;;#ASMEND
	;; [unrolled: 4-line block ×3, first 2 shown]
	;;#ASMSTART
	v_pk_add_f16 v1, v1, v2;

	;;#ASMEND
	;;#ASMSTART
	v_pk_add_f16 v1, v1, v3;

	;;#ASMEND
	;; [unrolled: 4-line block ×3, first 2 shown]
	v_and_b32_e32 v2, 0xffff, v1
	v_lshrrev_b32_e32 v1, 16, v1
	;;#ASMSTART
	v_cvt_f32_f16 v37, v2;
	;;#ASMEND
	;;#ASMSTART
	v_cvt_f32_f16 v39, v1;
	;;#ASMEND
	global_load_b128 v[1:4], v[7:8], off offset:512
	s_and_saveexec_b32 s19, vcc_lo
	s_cbranch_execz .LBB111_43
; %bb.42:                               ;   in Loop: Header=BB111_38 Depth=1
	v_cmp_gt_i32_e64 s0, s16, v36
	s_waitcnt vmcnt(0)
	v_lshrrev_b32_e32 v43, 16, v4
	v_lshrrev_b32_e32 v44, 16, v3
	v_lshrrev_b32_e32 v45, 16, v2
	v_lshrrev_b32_e32 v46, 16, v1
	v_cndmask_b32_e64 v4, 0, v4, s0
	v_cmp_gt_i32_e64 s0, s17, v32
	s_delay_alu instid0(VALU_DEP_1) | instskip(SKIP_1) | instid1(VALU_DEP_2)
	v_cndmask_b32_e64 v43, 0, v43, s0
	v_cmp_gt_i32_e64 s0, s15, v31
	v_perm_b32 v4, v43, v4, 0x5040100
	s_delay_alu instid0(VALU_DEP_2) | instskip(SKIP_1) | instid1(VALU_DEP_1)
	v_cndmask_b32_e64 v44, 0, v44, s0
	v_cmp_gt_i32_e64 s0, s13, v30
	v_cndmask_b32_e64 v3, 0, v3, s0
	v_cmp_gt_i32_e64 s0, s10, v28
	s_delay_alu instid0(VALU_DEP_2) | instskip(NEXT) | instid1(VALU_DEP_2)
	v_perm_b32 v3, v44, v3, 0x5040100
	v_cndmask_b32_e64 v45, 0, v45, s0
	v_cmp_gt_i32_e64 s0, s9, v27
	s_delay_alu instid0(VALU_DEP_1) | instskip(SKIP_1) | instid1(VALU_DEP_2)
	v_cndmask_b32_e64 v2, 0, v2, s0
	v_cmp_gt_i32_e64 s0, s7, v26
	v_perm_b32 v2, v45, v2, 0x5040100
	s_delay_alu instid0(VALU_DEP_2) | instskip(SKIP_1) | instid1(VALU_DEP_1)
	v_cndmask_b32_e64 v46, 0, v46, s0
	v_cmp_gt_i32_e64 s0, s33, v25
	v_cndmask_b32_e64 v1, 0, v1, s0
	s_delay_alu instid0(VALU_DEP_1)
	v_perm_b32 v1, v46, v1, 0x5040100
.LBB111_43:                             ;   in Loop: Header=BB111_38 Depth=1
	s_or_b32 exec_lo, exec_lo, s19
	s_waitcnt vmcnt(0)
	;;#ASMSTART
	v_pk_mul_f16 v1, v42, v1;

	;;#ASMEND
	;;#ASMSTART
	v_pk_mul_f16 v2, v41, v2;

	;;#ASMEND
	;; [unrolled: 4-line block ×4, first 2 shown]
	;;#ASMSTART
	v_pk_add_f16 v1, v1, v2;

	;;#ASMEND
	;;#ASMSTART
	v_pk_add_f16 v1, v1, v3;

	;;#ASMEND
	;; [unrolled: 4-line block ×3, first 2 shown]
	v_and_b32_e32 v2, 0xffff, v1
	v_lshrrev_b32_e32 v1, 16, v1
	;;#ASMSTART
	v_cvt_f32_f16 v43, v2;
	;;#ASMEND
	;;#ASMSTART
	v_cvt_f32_f16 v44, v1;
	;;#ASMEND
	global_load_b128 v[1:4], v[7:8], off offset:1024
	s_and_saveexec_b32 s19, vcc_lo
	s_cbranch_execz .LBB111_45
; %bb.44:                               ;   in Loop: Header=BB111_38 Depth=1
	v_cmp_gt_i32_e64 s0, s16, v36
	s_waitcnt vmcnt(0)
	v_lshrrev_b32_e32 v45, 16, v4
	v_lshrrev_b32_e32 v46, 16, v3
	;; [unrolled: 1-line block ×4, first 2 shown]
	v_cndmask_b32_e64 v4, 0, v4, s0
	v_cmp_gt_i32_e64 s0, s17, v32
	s_delay_alu instid0(VALU_DEP_1) | instskip(SKIP_1) | instid1(VALU_DEP_2)
	v_cndmask_b32_e64 v45, 0, v45, s0
	v_cmp_gt_i32_e64 s0, s15, v31
	v_perm_b32 v4, v45, v4, 0x5040100
	s_delay_alu instid0(VALU_DEP_2) | instskip(SKIP_1) | instid1(VALU_DEP_1)
	v_cndmask_b32_e64 v46, 0, v46, s0
	v_cmp_gt_i32_e64 s0, s13, v30
	v_cndmask_b32_e64 v3, 0, v3, s0
	v_cmp_gt_i32_e64 s0, s10, v28
	s_delay_alu instid0(VALU_DEP_2) | instskip(NEXT) | instid1(VALU_DEP_2)
	v_perm_b32 v3, v46, v3, 0x5040100
	v_cndmask_b32_e64 v47, 0, v47, s0
	v_cmp_gt_i32_e64 s0, s9, v27
	s_delay_alu instid0(VALU_DEP_1) | instskip(SKIP_1) | instid1(VALU_DEP_2)
	v_cndmask_b32_e64 v2, 0, v2, s0
	v_cmp_gt_i32_e64 s0, s7, v26
	v_perm_b32 v2, v47, v2, 0x5040100
	s_delay_alu instid0(VALU_DEP_2) | instskip(SKIP_1) | instid1(VALU_DEP_1)
	v_cndmask_b32_e64 v48, 0, v48, s0
	v_cmp_gt_i32_e64 s0, s33, v25
	v_cndmask_b32_e64 v1, 0, v1, s0
	s_delay_alu instid0(VALU_DEP_1)
	v_perm_b32 v1, v48, v1, 0x5040100
.LBB111_45:                             ;   in Loop: Header=BB111_38 Depth=1
	s_or_b32 exec_lo, exec_lo, s19
	s_waitcnt vmcnt(0)
	;;#ASMSTART
	v_pk_mul_f16 v1, v42, v1;

	;;#ASMEND
	;;#ASMSTART
	v_pk_mul_f16 v2, v41, v2;

	;;#ASMEND
	;; [unrolled: 4-line block ×4, first 2 shown]
	;;#ASMSTART
	v_pk_add_f16 v1, v1, v2;

	;;#ASMEND
	;;#ASMSTART
	v_pk_add_f16 v1, v1, v3;

	;;#ASMEND
	;; [unrolled: 4-line block ×3, first 2 shown]
	v_and_b32_e32 v2, 0xffff, v1
	v_lshrrev_b32_e32 v1, 16, v1
	;;#ASMSTART
	v_cvt_f32_f16 v45, v2;
	;;#ASMEND
	;;#ASMSTART
	v_cvt_f32_f16 v46, v1;
	;;#ASMEND
	global_load_b128 v[1:4], v[7:8], off offset:1536
	s_and_saveexec_b32 s19, vcc_lo
	s_cbranch_execz .LBB111_47
; %bb.46:                               ;   in Loop: Header=BB111_38 Depth=1
	v_cmp_gt_i32_e64 s0, s16, v36
	s_waitcnt vmcnt(0)
	v_lshrrev_b32_e32 v47, 16, v4
	v_lshrrev_b32_e32 v48, 16, v3
	;; [unrolled: 1-line block ×4, first 2 shown]
	v_cndmask_b32_e64 v4, 0, v4, s0
	v_cmp_gt_i32_e64 s0, s17, v32
	s_delay_alu instid0(VALU_DEP_1) | instskip(SKIP_1) | instid1(VALU_DEP_2)
	v_cndmask_b32_e64 v47, 0, v47, s0
	v_cmp_gt_i32_e64 s0, s15, v31
	v_perm_b32 v4, v47, v4, 0x5040100
	s_delay_alu instid0(VALU_DEP_2) | instskip(SKIP_1) | instid1(VALU_DEP_1)
	v_cndmask_b32_e64 v48, 0, v48, s0
	v_cmp_gt_i32_e64 s0, s13, v30
	v_cndmask_b32_e64 v3, 0, v3, s0
	v_cmp_gt_i32_e64 s0, s10, v28
	s_delay_alu instid0(VALU_DEP_2) | instskip(NEXT) | instid1(VALU_DEP_2)
	v_perm_b32 v3, v48, v3, 0x5040100
	v_cndmask_b32_e64 v49, 0, v49, s0
	v_cmp_gt_i32_e64 s0, s9, v27
	s_delay_alu instid0(VALU_DEP_1) | instskip(SKIP_1) | instid1(VALU_DEP_2)
	v_cndmask_b32_e64 v2, 0, v2, s0
	v_cmp_gt_i32_e64 s0, s7, v26
	v_perm_b32 v2, v49, v2, 0x5040100
	s_delay_alu instid0(VALU_DEP_2) | instskip(SKIP_1) | instid1(VALU_DEP_1)
	v_cndmask_b32_e64 v50, 0, v50, s0
	v_cmp_gt_i32_e64 s0, s33, v25
	v_cndmask_b32_e64 v1, 0, v1, s0
	s_delay_alu instid0(VALU_DEP_1)
	v_perm_b32 v1, v50, v1, 0x5040100
.LBB111_47:                             ;   in Loop: Header=BB111_38 Depth=1
	s_or_b32 exec_lo, exec_lo, s19
	s_waitcnt vmcnt(0)
	;;#ASMSTART
	v_pk_mul_f16 v1, v42, v1;

	;;#ASMEND
	;;#ASMSTART
	v_pk_mul_f16 v2, v41, v2;

	;;#ASMEND
	;; [unrolled: 4-line block ×4, first 2 shown]
	;;#ASMSTART
	v_pk_add_f16 v1, v1, v2;

	;;#ASMEND
	;;#ASMSTART
	v_pk_add_f16 v1, v1, v3;

	;;#ASMEND
	;; [unrolled: 4-line block ×3, first 2 shown]
	v_and_b32_e32 v2, 0xffff, v1
	v_lshrrev_b32_e32 v1, 16, v1
	;;#ASMSTART
	v_cvt_f32_f16 v47, v2;
	;;#ASMEND
	;;#ASMSTART
	v_cvt_f32_f16 v48, v1;
	;;#ASMEND
	global_load_b128 v[1:4], v[7:8], off offset:2048
	s_and_saveexec_b32 s19, vcc_lo
	s_cbranch_execz .LBB111_49
; %bb.48:                               ;   in Loop: Header=BB111_38 Depth=1
	v_cmp_gt_i32_e64 s0, s16, v36
	s_waitcnt vmcnt(0)
	v_lshrrev_b32_e32 v49, 16, v4
	v_lshrrev_b32_e32 v50, 16, v3
	;; [unrolled: 1-line block ×4, first 2 shown]
	v_cndmask_b32_e64 v4, 0, v4, s0
	v_cmp_gt_i32_e64 s0, s17, v32
	s_delay_alu instid0(VALU_DEP_1) | instskip(SKIP_1) | instid1(VALU_DEP_2)
	v_cndmask_b32_e64 v49, 0, v49, s0
	v_cmp_gt_i32_e64 s0, s15, v31
	v_perm_b32 v4, v49, v4, 0x5040100
	s_delay_alu instid0(VALU_DEP_2) | instskip(SKIP_1) | instid1(VALU_DEP_1)
	v_cndmask_b32_e64 v50, 0, v50, s0
	v_cmp_gt_i32_e64 s0, s13, v30
	v_cndmask_b32_e64 v3, 0, v3, s0
	v_cmp_gt_i32_e64 s0, s10, v28
	s_delay_alu instid0(VALU_DEP_2) | instskip(NEXT) | instid1(VALU_DEP_2)
	v_perm_b32 v3, v50, v3, 0x5040100
	v_cndmask_b32_e64 v51, 0, v51, s0
	v_cmp_gt_i32_e64 s0, s9, v27
	s_delay_alu instid0(VALU_DEP_1) | instskip(SKIP_1) | instid1(VALU_DEP_2)
	v_cndmask_b32_e64 v2, 0, v2, s0
	v_cmp_gt_i32_e64 s0, s7, v26
	v_perm_b32 v2, v51, v2, 0x5040100
	s_delay_alu instid0(VALU_DEP_2) | instskip(SKIP_1) | instid1(VALU_DEP_1)
	v_cndmask_b32_e64 v52, 0, v52, s0
	v_cmp_gt_i32_e64 s0, s33, v25
	v_cndmask_b32_e64 v1, 0, v1, s0
	s_delay_alu instid0(VALU_DEP_1)
	v_perm_b32 v1, v52, v1, 0x5040100
.LBB111_49:                             ;   in Loop: Header=BB111_38 Depth=1
	s_or_b32 exec_lo, exec_lo, s19
	s_waitcnt vmcnt(0)
	;;#ASMSTART
	v_pk_mul_f16 v1, v42, v1;

	;;#ASMEND
	;;#ASMSTART
	v_pk_mul_f16 v2, v41, v2;

	;;#ASMEND
	;; [unrolled: 4-line block ×4, first 2 shown]
	;;#ASMSTART
	v_pk_add_f16 v1, v1, v2;

	;;#ASMEND
	;;#ASMSTART
	v_pk_add_f16 v1, v1, v3;

	;;#ASMEND
	;; [unrolled: 4-line block ×3, first 2 shown]
	v_and_b32_e32 v2, 0xffff, v1
	v_lshrrev_b32_e32 v1, 16, v1
	;;#ASMSTART
	v_cvt_f32_f16 v49, v2;
	;;#ASMEND
	;;#ASMSTART
	v_cvt_f32_f16 v50, v1;
	;;#ASMEND
	global_load_b128 v[1:4], v[7:8], off offset:2560
	s_and_saveexec_b32 s19, vcc_lo
	s_cbranch_execz .LBB111_51
; %bb.50:                               ;   in Loop: Header=BB111_38 Depth=1
	v_cmp_gt_i32_e64 s0, s16, v36
	s_waitcnt vmcnt(0)
	v_lshrrev_b32_e32 v51, 16, v4
	v_lshrrev_b32_e32 v52, 16, v3
	;; [unrolled: 1-line block ×4, first 2 shown]
	v_cndmask_b32_e64 v4, 0, v4, s0
	v_cmp_gt_i32_e64 s0, s17, v32
	s_delay_alu instid0(VALU_DEP_1) | instskip(SKIP_1) | instid1(VALU_DEP_2)
	v_cndmask_b32_e64 v51, 0, v51, s0
	v_cmp_gt_i32_e64 s0, s15, v31
	v_perm_b32 v4, v51, v4, 0x5040100
	s_delay_alu instid0(VALU_DEP_2) | instskip(SKIP_1) | instid1(VALU_DEP_1)
	v_cndmask_b32_e64 v52, 0, v52, s0
	v_cmp_gt_i32_e64 s0, s13, v30
	v_cndmask_b32_e64 v3, 0, v3, s0
	v_cmp_gt_i32_e64 s0, s10, v28
	s_delay_alu instid0(VALU_DEP_2) | instskip(NEXT) | instid1(VALU_DEP_2)
	v_perm_b32 v3, v52, v3, 0x5040100
	v_cndmask_b32_e64 v53, 0, v53, s0
	v_cmp_gt_i32_e64 s0, s9, v27
	s_delay_alu instid0(VALU_DEP_1) | instskip(SKIP_1) | instid1(VALU_DEP_2)
	v_cndmask_b32_e64 v2, 0, v2, s0
	v_cmp_gt_i32_e64 s0, s7, v26
	v_perm_b32 v2, v53, v2, 0x5040100
	s_delay_alu instid0(VALU_DEP_2) | instskip(SKIP_1) | instid1(VALU_DEP_1)
	v_cndmask_b32_e64 v54, 0, v54, s0
	v_cmp_gt_i32_e64 s0, s33, v25
	v_cndmask_b32_e64 v1, 0, v1, s0
	s_delay_alu instid0(VALU_DEP_1)
	v_perm_b32 v1, v54, v1, 0x5040100
.LBB111_51:                             ;   in Loop: Header=BB111_38 Depth=1
	s_or_b32 exec_lo, exec_lo, s19
	s_waitcnt vmcnt(0)
	;;#ASMSTART
	v_pk_mul_f16 v1, v42, v1;

	;;#ASMEND
	;;#ASMSTART
	v_pk_mul_f16 v2, v41, v2;

	;;#ASMEND
	;; [unrolled: 4-line block ×4, first 2 shown]
	;;#ASMSTART
	v_pk_add_f16 v1, v1, v2;

	;;#ASMEND
	;;#ASMSTART
	v_pk_add_f16 v1, v1, v3;

	;;#ASMEND
	;; [unrolled: 4-line block ×3, first 2 shown]
	v_and_b32_e32 v2, 0xffff, v1
	v_lshrrev_b32_e32 v1, 16, v1
	;;#ASMSTART
	v_cvt_f32_f16 v51, v2;
	;;#ASMEND
	;;#ASMSTART
	v_cvt_f32_f16 v52, v1;
	;;#ASMEND
	global_load_b128 v[1:4], v[7:8], off offset:3072
	s_and_saveexec_b32 s19, vcc_lo
	s_cbranch_execz .LBB111_53
; %bb.52:                               ;   in Loop: Header=BB111_38 Depth=1
	v_cmp_gt_i32_e64 s0, s16, v36
	s_waitcnt vmcnt(0)
	v_lshrrev_b32_e32 v53, 16, v4
	v_lshrrev_b32_e32 v54, 16, v3
	;; [unrolled: 1-line block ×4, first 2 shown]
	v_cndmask_b32_e64 v4, 0, v4, s0
	v_cmp_gt_i32_e64 s0, s17, v32
	s_delay_alu instid0(VALU_DEP_1) | instskip(SKIP_1) | instid1(VALU_DEP_2)
	v_cndmask_b32_e64 v53, 0, v53, s0
	v_cmp_gt_i32_e64 s0, s15, v31
	v_perm_b32 v4, v53, v4, 0x5040100
	s_delay_alu instid0(VALU_DEP_2) | instskip(SKIP_1) | instid1(VALU_DEP_1)
	v_cndmask_b32_e64 v54, 0, v54, s0
	v_cmp_gt_i32_e64 s0, s13, v30
	v_cndmask_b32_e64 v3, 0, v3, s0
	v_cmp_gt_i32_e64 s0, s10, v28
	s_delay_alu instid0(VALU_DEP_2) | instskip(NEXT) | instid1(VALU_DEP_2)
	v_perm_b32 v3, v54, v3, 0x5040100
	v_cndmask_b32_e64 v55, 0, v55, s0
	v_cmp_gt_i32_e64 s0, s9, v27
	s_delay_alu instid0(VALU_DEP_1) | instskip(SKIP_1) | instid1(VALU_DEP_2)
	v_cndmask_b32_e64 v2, 0, v2, s0
	v_cmp_gt_i32_e64 s0, s7, v26
	v_perm_b32 v2, v55, v2, 0x5040100
	s_delay_alu instid0(VALU_DEP_2) | instskip(SKIP_1) | instid1(VALU_DEP_1)
	v_cndmask_b32_e64 v56, 0, v56, s0
	v_cmp_gt_i32_e64 s0, s33, v25
	v_cndmask_b32_e64 v1, 0, v1, s0
	s_delay_alu instid0(VALU_DEP_1)
	v_perm_b32 v1, v56, v1, 0x5040100
.LBB111_53:                             ;   in Loop: Header=BB111_38 Depth=1
	s_or_b32 exec_lo, exec_lo, s19
	s_waitcnt vmcnt(0)
	;;#ASMSTART
	v_pk_mul_f16 v1, v42, v1;

	;;#ASMEND
	;;#ASMSTART
	v_pk_mul_f16 v2, v41, v2;

	;;#ASMEND
	;; [unrolled: 4-line block ×4, first 2 shown]
	;;#ASMSTART
	v_pk_add_f16 v1, v1, v2;

	;;#ASMEND
	;;#ASMSTART
	v_pk_add_f16 v1, v1, v3;

	;;#ASMEND
	;; [unrolled: 4-line block ×3, first 2 shown]
	v_and_b32_e32 v2, 0xffff, v1
	v_lshrrev_b32_e32 v1, 16, v1
	;;#ASMSTART
	v_cvt_f32_f16 v53, v2;
	;;#ASMEND
	;;#ASMSTART
	v_cvt_f32_f16 v54, v1;
	;;#ASMEND
	global_load_b128 v[1:4], v[7:8], off offset:3584
	s_and_saveexec_b32 s0, vcc_lo
	s_cbranch_execz .LBB111_36
; %bb.54:                               ;   in Loop: Header=BB111_38 Depth=1
	v_cmp_gt_i32_e32 vcc_lo, s16, v36
	s_waitcnt vmcnt(0)
	v_lshrrev_b32_e32 v7, 16, v4
	v_lshrrev_b32_e32 v8, 16, v3
	v_cndmask_b32_e32 v4, 0, v4, vcc_lo
	v_cmp_gt_i32_e32 vcc_lo, s17, v32
	s_delay_alu instid0(VALU_DEP_4) | instskip(SKIP_2) | instid1(VALU_DEP_3)
	v_cndmask_b32_e32 v7, 0, v7, vcc_lo
	v_cmp_gt_i32_e32 vcc_lo, s15, v31
	v_lshrrev_b32_e32 v31, 16, v2
	v_perm_b32 v4, v7, v4, 0x5040100
	v_cndmask_b32_e32 v8, 0, v8, vcc_lo
	v_cmp_gt_i32_e32 vcc_lo, s13, v30
	v_lshrrev_b32_e32 v30, 16, v1
	v_cndmask_b32_e32 v3, 0, v3, vcc_lo
	v_cmp_gt_i32_e32 vcc_lo, s10, v28
	s_delay_alu instid0(VALU_DEP_2)
	v_perm_b32 v3, v8, v3, 0x5040100
	v_cndmask_b32_e32 v28, 0, v31, vcc_lo
	v_cmp_gt_i32_e32 vcc_lo, s9, v27
	v_cndmask_b32_e32 v2, 0, v2, vcc_lo
	v_cmp_gt_i32_e32 vcc_lo, s7, v26
	;; [unrolled: 2-line block ×3, first 2 shown]
	v_cndmask_b32_e32 v1, 0, v1, vcc_lo
	v_perm_b32 v2, v28, v2, 0x5040100
	s_delay_alu instid0(VALU_DEP_2)
	v_perm_b32 v1, v26, v1, 0x5040100
	s_branch .LBB111_36
.LBB111_55:
	s_or_b32 exec_lo, exec_lo, s3
.LBB111_56:
	s_delay_alu instid0(SALU_CYCLE_1)
	s_or_b32 exec_lo, exec_lo, s1
	ds_bpermute_b32 v1, v10, v12
	ds_bpermute_b32 v3, v10, v17
	;; [unrolled: 1-line block ×8, first 2 shown]
	v_lshl_add_u32 v10, v33, 8, 0xa0
	s_mov_b32 s0, exec_lo
	s_waitcnt lgkmcnt(0)
	s_waitcnt_vscnt null, 0x0
	s_barrier
	buffer_gl0_inv
	v_add_f32_e32 v1, v12, v1
	v_dual_add_f32 v3, v17, v3 :: v_dual_add_f32 v4, v16, v4
	v_add_f32_e32 v2, v18, v2
	v_add_f32_e32 v12, v14, v5
	ds_bpermute_b32 v5, v9, v1
	v_add_f32_e32 v13, v13, v7
	ds_bpermute_b32 v17, v9, v4
	v_add_f32_e32 v14, v15, v6
	v_add_f32_e32 v15, v19, v8
	ds_bpermute_b32 v6, v9, v2
	ds_bpermute_b32 v16, v9, v3
	;; [unrolled: 1-line block ×4, first 2 shown]
	v_and_b32_e32 v22, 0x3c3, v0
	s_waitcnt lgkmcnt(5)
	v_add_f32_e32 v8, v1, v5
	ds_bpermute_b32 v21, v9, v15
	s_waitcnt lgkmcnt(5)
	v_add_f32_e32 v5, v4, v17
	ds_bpermute_b32 v19, v9, v14
	v_lshrrev_b32_e32 v9, 2, v34
	s_waitcnt lgkmcnt(4)
	v_dual_add_f32 v7, v2, v6 :: v_dual_add_f32 v6, v3, v16
	s_waitcnt lgkmcnt(3)
	v_add_f32_e32 v4, v12, v18
	s_waitcnt lgkmcnt(1)
	v_dual_add_f32 v2, v13, v20 :: v_dual_add_f32 v1, v15, v21
	s_waitcnt lgkmcnt(0)
	v_add_f32_e32 v3, v14, v19
	v_cmpx_eq_u32_e32 64, v22
	s_cbranch_execz .LBB111_58
; %bb.57:
	v_lshlrev_b32_e32 v12, 2, v9
	s_delay_alu instid0(VALU_DEP_1)
	v_add3_u32 v12, v10, v12, 0xfffffe00
	ds_store_2addr_b32 v12, v8, v7 offset1:8
	ds_store_2addr_b32 v12, v6, v5 offset0:16 offset1:24
	ds_store_2addr_b32 v12, v4, v3 offset0:32 offset1:40
	;; [unrolled: 1-line block ×3, first 2 shown]
.LBB111_58:
	s_or_b32 exec_lo, exec_lo, s0
	v_cmp_eq_u32_e32 vcc_lo, 0, v11
	s_mov_b32 s1, exec_lo
	s_waitcnt lgkmcnt(0)
	s_barrier
	buffer_gl0_inv
	v_cmpx_gt_u32_e32 64, v0
	s_cbranch_execz .LBB111_69
; %bb.59:
	s_and_saveexec_b32 s0, vcc_lo
	s_cbranch_execnz .LBB111_85
; %bb.60:
	s_or_b32 exec_lo, exec_lo, s0
	s_and_saveexec_b32 s0, vcc_lo
	s_cbranch_execnz .LBB111_86
.LBB111_61:
	s_or_b32 exec_lo, exec_lo, s0
	s_and_saveexec_b32 s0, vcc_lo
	s_cbranch_execnz .LBB111_87
.LBB111_62:
	s_or_b32 exec_lo, exec_lo, s0
	s_and_saveexec_b32 s0, vcc_lo
	s_cbranch_execnz .LBB111_88
.LBB111_63:
	s_or_b32 exec_lo, exec_lo, s0
	s_and_saveexec_b32 s0, vcc_lo
	s_cbranch_execnz .LBB111_89
.LBB111_64:
	s_or_b32 exec_lo, exec_lo, s0
	s_and_saveexec_b32 s0, vcc_lo
	s_cbranch_execnz .LBB111_90
.LBB111_65:
	s_or_b32 exec_lo, exec_lo, s0
	s_and_saveexec_b32 s0, vcc_lo
	s_cbranch_execnz .LBB111_91
.LBB111_66:
	s_or_b32 exec_lo, exec_lo, s0
	s_and_saveexec_b32 s0, vcc_lo
	s_cbranch_execz .LBB111_68
.LBB111_67:
	v_lshl_add_u32 v11, v9, 2, v10
	ds_load_b32 v11, v11 offset:224
	s_waitcnt lgkmcnt(0)
	v_add_f32_e32 v1, v1, v11
.LBB111_68:
	s_or_b32 exec_lo, exec_lo, s0
.LBB111_69:
	s_delay_alu instid0(SALU_CYCLE_1)
	s_or_b32 exec_lo, exec_lo, s1
	v_and_b32_e32 v11, 0x3e3, v0
	s_mov_b32 s1, exec_lo
	s_barrier
	buffer_gl0_inv
	v_cmpx_eq_u32_e32 32, v11
	s_cbranch_execz .LBB111_71
; %bb.70:
	v_lshl_add_u32 v12, v9, 2, 0xa0
	ds_store_2addr_b32 v12, v8, v7 offset1:8
	ds_store_2addr_b32 v12, v6, v5 offset0:16 offset1:24
	ds_store_2addr_b32 v12, v4, v3 offset0:32 offset1:40
	;; [unrolled: 1-line block ×3, first 2 shown]
.LBB111_71:
	s_or_b32 exec_lo, exec_lo, s1
	s_delay_alu instid0(SALU_CYCLE_1)
	s_mov_b32 s1, exec_lo
	s_waitcnt lgkmcnt(0)
	s_barrier
	buffer_gl0_inv
	v_cmpx_gt_u32_e32 32, v0
	s_cbranch_execz .LBB111_82
; %bb.72:
	v_lshl_add_u32 v9, v9, 2, v10
	s_and_saveexec_b32 s0, vcc_lo
	s_cbranch_execnz .LBB111_92
; %bb.73:
	s_or_b32 exec_lo, exec_lo, s0
	s_and_saveexec_b32 s0, vcc_lo
	s_cbranch_execnz .LBB111_93
.LBB111_74:
	s_or_b32 exec_lo, exec_lo, s0
	s_and_saveexec_b32 s0, vcc_lo
	s_cbranch_execnz .LBB111_94
.LBB111_75:
	s_or_b32 exec_lo, exec_lo, s0
	s_and_saveexec_b32 s0, vcc_lo
	s_cbranch_execnz .LBB111_95
.LBB111_76:
	s_or_b32 exec_lo, exec_lo, s0
	s_and_saveexec_b32 s0, vcc_lo
	s_cbranch_execnz .LBB111_96
.LBB111_77:
	s_or_b32 exec_lo, exec_lo, s0
	s_and_saveexec_b32 s0, vcc_lo
	s_cbranch_execnz .LBB111_97
.LBB111_78:
	s_or_b32 exec_lo, exec_lo, s0
	s_and_saveexec_b32 s0, vcc_lo
	s_cbranch_execnz .LBB111_98
.LBB111_79:
	s_or_b32 exec_lo, exec_lo, s0
	s_and_saveexec_b32 s0, vcc_lo
	s_cbranch_execz .LBB111_81
.LBB111_80:
	ds_load_b32 v9, v9 offset:224
	s_waitcnt lgkmcnt(0)
	v_add_f32_e32 v1, v1, v9
.LBB111_81:
	s_or_b32 exec_lo, exec_lo, s0
.LBB111_82:
	s_delay_alu instid0(SALU_CYCLE_1)
	s_or_b32 exec_lo, exec_lo, s1
	s_barrier
	buffer_gl0_inv
	s_mov_b32 s0, exec_lo
	v_cmpx_eq_u32_e32 0, v11
	s_cbranch_execz .LBB111_84
; %bb.83:
	s_lshl_b32 s0, s14, 6
	s_mul_i32 s2, s4, s20
	s_ashr_i32 s1, s0, 31
	v_lshrrev_b32_e32 v0, 1, v0
	s_lshl_b64 s[0:1], s[0:1], 1
	;;#ASMSTART
	v_cvt_f16_f32 v8, v8;

	;;#ASMEND
	s_add_u32 s4, s22, s0
	s_addc_u32 s5, s23, s1
	s_ashr_i32 s3, s2, 31
	s_delay_alu instid0(SALU_CYCLE_1) | instskip(NEXT) | instid1(SALU_CYCLE_1)
	s_lshl_b64 s[0:1], s[2:3], 1
	s_add_u32 s2, s4, s0
	s_addc_u32 s3, s5, s1
	s_lshl_b32 s0, s12, 6
	s_delay_alu instid0(SALU_CYCLE_1) | instskip(NEXT) | instid1(SALU_CYCLE_1)
	s_ashr_i32 s1, s0, 31
	s_lshl_b64 s[0:1], s[0:1], 1
	s_delay_alu instid0(SALU_CYCLE_1)
	s_add_u32 s0, s2, s0
	s_addc_u32 s1, s3, s1
	global_store_b16 v0, v8, s[0:1]
	;;#ASMSTART
	v_cvt_f16_f32 v7, v7;

	;;#ASMEND
	global_store_b16 v0, v7, s[0:1] offset:16
	;;#ASMSTART
	v_cvt_f16_f32 v6, v6;

	;;#ASMEND
	global_store_b16 v0, v6, s[0:1] offset:32
	;; [unrolled: 5-line block ×7, first 2 shown]
.LBB111_84:
	s_nop 0
	s_sendmsg sendmsg(MSG_DEALLOC_VGPRS)
	s_endpgm
.LBB111_85:
	v_lshl_add_u32 v11, v9, 2, v10
	ds_load_b32 v11, v11
	s_waitcnt lgkmcnt(0)
	v_add_f32_e32 v8, v8, v11
	s_or_b32 exec_lo, exec_lo, s0
	s_and_saveexec_b32 s0, vcc_lo
	s_cbranch_execz .LBB111_61
.LBB111_86:
	v_lshl_add_u32 v11, v9, 2, v10
	ds_load_b32 v11, v11 offset:32
	s_waitcnt lgkmcnt(0)
	v_add_f32_e32 v7, v7, v11
	s_or_b32 exec_lo, exec_lo, s0
	s_and_saveexec_b32 s0, vcc_lo
	s_cbranch_execz .LBB111_62
.LBB111_87:
	v_lshl_add_u32 v11, v9, 2, v10
	ds_load_b32 v11, v11 offset:64
	s_waitcnt lgkmcnt(0)
	v_add_f32_e32 v6, v6, v11
	s_or_b32 exec_lo, exec_lo, s0
	s_and_saveexec_b32 s0, vcc_lo
	s_cbranch_execz .LBB111_63
.LBB111_88:
	v_lshl_add_u32 v11, v9, 2, v10
	ds_load_b32 v11, v11 offset:96
	s_waitcnt lgkmcnt(0)
	v_add_f32_e32 v5, v5, v11
	s_or_b32 exec_lo, exec_lo, s0
	s_and_saveexec_b32 s0, vcc_lo
	s_cbranch_execz .LBB111_64
.LBB111_89:
	v_lshl_add_u32 v11, v9, 2, v10
	ds_load_b32 v11, v11 offset:128
	s_waitcnt lgkmcnt(0)
	v_add_f32_e32 v4, v4, v11
	s_or_b32 exec_lo, exec_lo, s0
	s_and_saveexec_b32 s0, vcc_lo
	s_cbranch_execz .LBB111_65
.LBB111_90:
	v_lshl_add_u32 v11, v9, 2, v10
	ds_load_b32 v11, v11 offset:160
	s_waitcnt lgkmcnt(0)
	v_add_f32_e32 v3, v3, v11
	s_or_b32 exec_lo, exec_lo, s0
	s_and_saveexec_b32 s0, vcc_lo
	s_cbranch_execz .LBB111_66
.LBB111_91:
	v_lshl_add_u32 v11, v9, 2, v10
	ds_load_b32 v11, v11 offset:192
	s_waitcnt lgkmcnt(0)
	v_add_f32_e32 v2, v2, v11
	s_or_b32 exec_lo, exec_lo, s0
	s_and_saveexec_b32 s0, vcc_lo
	s_cbranch_execnz .LBB111_67
	s_branch .LBB111_68
.LBB111_92:
	ds_load_b32 v10, v9
	s_waitcnt lgkmcnt(0)
	v_add_f32_e32 v8, v8, v10
	s_or_b32 exec_lo, exec_lo, s0
	s_and_saveexec_b32 s0, vcc_lo
	s_cbranch_execz .LBB111_74
.LBB111_93:
	ds_load_b32 v10, v9 offset:32
	s_waitcnt lgkmcnt(0)
	v_add_f32_e32 v7, v7, v10
	s_or_b32 exec_lo, exec_lo, s0
	s_and_saveexec_b32 s0, vcc_lo
	s_cbranch_execz .LBB111_75
.LBB111_94:
	ds_load_b32 v10, v9 offset:64
	s_waitcnt lgkmcnt(0)
	v_add_f32_e32 v6, v6, v10
	s_or_b32 exec_lo, exec_lo, s0
	s_and_saveexec_b32 s0, vcc_lo
	s_cbranch_execz .LBB111_76
.LBB111_95:
	ds_load_b32 v10, v9 offset:96
	s_waitcnt lgkmcnt(0)
	v_add_f32_e32 v5, v5, v10
	s_or_b32 exec_lo, exec_lo, s0
	s_and_saveexec_b32 s0, vcc_lo
	s_cbranch_execz .LBB111_77
.LBB111_96:
	ds_load_b32 v10, v9 offset:128
	s_waitcnt lgkmcnt(0)
	v_add_f32_e32 v4, v4, v10
	s_or_b32 exec_lo, exec_lo, s0
	s_and_saveexec_b32 s0, vcc_lo
	s_cbranch_execz .LBB111_78
.LBB111_97:
	ds_load_b32 v10, v9 offset:160
	s_waitcnt lgkmcnt(0)
	v_add_f32_e32 v3, v3, v10
	s_or_b32 exec_lo, exec_lo, s0
	s_and_saveexec_b32 s0, vcc_lo
	s_cbranch_execz .LBB111_79
.LBB111_98:
	ds_load_b32 v10, v9 offset:192
	s_waitcnt lgkmcnt(0)
	v_add_f32_e32 v2, v2, v10
	s_or_b32 exec_lo, exec_lo, s0
	s_and_saveexec_b32 s0, vcc_lo
	s_cbranch_execnz .LBB111_80
	s_branch .LBB111_81
	.section	.rodata,"a",@progbits
	.p2align	6, 0x0
	.amdhsa_kernel _ZN4vllm25paged_attention_v2_kernelIttLi64ELi32ELi128ELNS_18Fp8KVCacheDataTypeE0ELb1ELi512EEEvPfS2_PT_PKS3_PKT0_S9_ifPKiSB_iPKfiiiSD_SD_iiiii
		.amdhsa_group_segment_fixed_size 160
		.amdhsa_private_segment_fixed_size 0
		.amdhsa_kernarg_size 400
		.amdhsa_user_sgpr_count 13
		.amdhsa_user_sgpr_dispatch_ptr 0
		.amdhsa_user_sgpr_queue_ptr 0
		.amdhsa_user_sgpr_kernarg_segment_ptr 1
		.amdhsa_user_sgpr_dispatch_id 0
		.amdhsa_user_sgpr_private_segment_size 0
		.amdhsa_wavefront_size32 1
		.amdhsa_uses_dynamic_stack 0
		.amdhsa_enable_private_segment 0
		.amdhsa_system_sgpr_workgroup_id_x 1
		.amdhsa_system_sgpr_workgroup_id_y 1
		.amdhsa_system_sgpr_workgroup_id_z 1
		.amdhsa_system_sgpr_workgroup_info 0
		.amdhsa_system_vgpr_workitem_id 0
		.amdhsa_next_free_vgpr 126
		.amdhsa_next_free_sgpr 44
		.amdhsa_reserve_vcc 1
		.amdhsa_float_round_mode_32 0
		.amdhsa_float_round_mode_16_64 0
		.amdhsa_float_denorm_mode_32 3
		.amdhsa_float_denorm_mode_16_64 3
		.amdhsa_dx10_clamp 1
		.amdhsa_ieee_mode 1
		.amdhsa_fp16_overflow 0
		.amdhsa_workgroup_processor_mode 1
		.amdhsa_memory_ordered 1
		.amdhsa_forward_progress 0
		.amdhsa_shared_vgpr_count 0
		.amdhsa_exception_fp_ieee_invalid_op 0
		.amdhsa_exception_fp_denorm_src 0
		.amdhsa_exception_fp_ieee_div_zero 0
		.amdhsa_exception_fp_ieee_overflow 0
		.amdhsa_exception_fp_ieee_underflow 0
		.amdhsa_exception_fp_ieee_inexact 0
		.amdhsa_exception_int_div_zero 0
	.end_amdhsa_kernel
	.section	.text._ZN4vllm25paged_attention_v2_kernelIttLi64ELi32ELi128ELNS_18Fp8KVCacheDataTypeE0ELb1ELi512EEEvPfS2_PT_PKS3_PKT0_S9_ifPKiSB_iPKfiiiSD_SD_iiiii,"axG",@progbits,_ZN4vllm25paged_attention_v2_kernelIttLi64ELi32ELi128ELNS_18Fp8KVCacheDataTypeE0ELb1ELi512EEEvPfS2_PT_PKS3_PKT0_S9_ifPKiSB_iPKfiiiSD_SD_iiiii,comdat
.Lfunc_end111:
	.size	_ZN4vllm25paged_attention_v2_kernelIttLi64ELi32ELi128ELNS_18Fp8KVCacheDataTypeE0ELb1ELi512EEEvPfS2_PT_PKS3_PKT0_S9_ifPKiSB_iPKfiiiSD_SD_iiiii, .Lfunc_end111-_ZN4vllm25paged_attention_v2_kernelIttLi64ELi32ELi128ELNS_18Fp8KVCacheDataTypeE0ELb1ELi512EEEvPfS2_PT_PKS3_PKT0_S9_ifPKiSB_iPKfiiiSD_SD_iiiii
                                        ; -- End function
	.section	.AMDGPU.csdata,"",@progbits
; Kernel info:
; codeLenInByte = 12448
; NumSgprs: 46
; NumVgprs: 126
; ScratchSize: 0
; MemoryBound: 0
; FloatMode: 240
; IeeeMode: 1
; LDSByteSize: 160 bytes/workgroup (compile time only)
; SGPRBlocks: 5
; VGPRBlocks: 15
; NumSGPRsForWavesPerEU: 46
; NumVGPRsForWavesPerEU: 126
; Occupancy: 10
; WaveLimiterHint : 1
; COMPUTE_PGM_RSRC2:SCRATCH_EN: 0
; COMPUTE_PGM_RSRC2:USER_SGPR: 13
; COMPUTE_PGM_RSRC2:TRAP_HANDLER: 0
; COMPUTE_PGM_RSRC2:TGID_X_EN: 1
; COMPUTE_PGM_RSRC2:TGID_Y_EN: 1
; COMPUTE_PGM_RSRC2:TGID_Z_EN: 1
; COMPUTE_PGM_RSRC2:TIDIG_COMP_CNT: 0
	.section	.text._ZN4vllm25paged_attention_v2_kernelIttLi80ELi32ELi128ELNS_18Fp8KVCacheDataTypeE0ELb1ELi512EEEvPfS2_PT_PKS3_PKT0_S9_ifPKiSB_iPKfiiiSD_SD_iiiii,"axG",@progbits,_ZN4vllm25paged_attention_v2_kernelIttLi80ELi32ELi128ELNS_18Fp8KVCacheDataTypeE0ELb1ELi512EEEvPfS2_PT_PKS3_PKT0_S9_ifPKiSB_iPKfiiiSD_SD_iiiii,comdat
	.protected	_ZN4vllm25paged_attention_v2_kernelIttLi80ELi32ELi128ELNS_18Fp8KVCacheDataTypeE0ELb1ELi512EEEvPfS2_PT_PKS3_PKT0_S9_ifPKiSB_iPKfiiiSD_SD_iiiii ; -- Begin function _ZN4vllm25paged_attention_v2_kernelIttLi80ELi32ELi128ELNS_18Fp8KVCacheDataTypeE0ELb1ELi512EEEvPfS2_PT_PKS3_PKT0_S9_ifPKiSB_iPKfiiiSD_SD_iiiii
	.globl	_ZN4vllm25paged_attention_v2_kernelIttLi80ELi32ELi128ELNS_18Fp8KVCacheDataTypeE0ELb1ELi512EEEvPfS2_PT_PKS3_PKT0_S9_ifPKiSB_iPKfiiiSD_SD_iiiii
	.p2align	8
	.type	_ZN4vllm25paged_attention_v2_kernelIttLi80ELi32ELi128ELNS_18Fp8KVCacheDataTypeE0ELb1ELi512EEEvPfS2_PT_PKS3_PKT0_S9_ifPKiSB_iPKfiiiSD_SD_iiiii,@function
_ZN4vllm25paged_attention_v2_kernelIttLi80ELi32ELi128ELNS_18Fp8KVCacheDataTypeE0ELb1ELi512EEEvPfS2_PT_PKS3_PKT0_S9_ifPKiSB_iPKfiiiSD_SD_iiiii: ; @_ZN4vllm25paged_attention_v2_kernelIttLi80ELi32ELi128ELNS_18Fp8KVCacheDataTypeE0ELb1ELi512EEEvPfS2_PT_PKS3_PKT0_S9_ifPKiSB_iPKfiiiSD_SD_iiiii
; %bb.0:
	s_load_b64 s[2:3], s[0:1], 0x40
	s_mov_b32 s12, s15
	s_ashr_i32 s15, s14, 31
	s_delay_alu instid0(SALU_CYCLE_1)
	s_lshl_b64 s[4:5], s[14:15], 2
	s_waitcnt lgkmcnt(0)
	s_add_u32 s2, s2, s4
	s_addc_u32 s3, s3, s5
	s_lshl_b32 s37, s12, 9
	s_load_b32 s15, s[2:3], 0x0
	s_waitcnt lgkmcnt(0)
	s_cmp_ge_i32 s37, s15
	s_cbranch_scc1 .LBB112_92
; %bb.1:
	s_mov_b32 s24, s13
	s_clause 0x1
	s_load_b32 s13, s[0:1], 0x90
	s_load_b64 s[2:3], s[0:1], 0x30
	s_mov_b32 s39, 0
	s_waitcnt lgkmcnt(0)
	s_abs_i32 s7, s13
	s_abs_i32 s4, s2
	s_delay_alu instid0(SALU_CYCLE_1) | instskip(SKIP_1) | instid1(VALU_DEP_1)
	v_cvt_f32_u32_e32 v1, s4
	s_sub_i32 s6, 0, s4
	v_rcp_iflag_f32_e32 v1, v1
	s_waitcnt_depctr 0xfff
	v_mul_f32_e32 v1, 0x4f7ffffe, v1
	s_delay_alu instid0(VALU_DEP_1) | instskip(NEXT) | instid1(VALU_DEP_1)
	v_cvt_u32_f32_e32 v1, v1
	v_readfirstlane_b32 s5, v1
	s_delay_alu instid0(VALU_DEP_1) | instskip(NEXT) | instid1(SALU_CYCLE_1)
	s_mul_i32 s6, s6, s5
	s_mul_hi_u32 s6, s5, s6
	s_delay_alu instid0(SALU_CYCLE_1) | instskip(SKIP_4) | instid1(SALU_CYCLE_1)
	s_add_i32 s5, s5, s6
	s_xor_b32 s6, s13, s2
	s_mul_hi_u32 s5, s7, s5
	s_ashr_i32 s6, s6, 31
	s_mul_i32 s8, s5, s4
	s_sub_i32 s7, s7, s8
	s_add_i32 s8, s5, 1
	s_sub_i32 s9, s7, s4
	s_cmp_ge_u32 s7, s4
	s_cselect_b32 s5, s8, s5
	s_cselect_b32 s7, s9, s7
	s_add_i32 s8, s5, 1
	s_cmp_ge_u32 s7, s4
	s_cselect_b32 s4, s8, s5
	s_abs_i32 s17, s24
	s_xor_b32 s4, s4, s6
	s_delay_alu instid0(SALU_CYCLE_1) | instskip(SKIP_2) | instid1(SALU_CYCLE_1)
	s_sub_i32 s8, s4, s6
	s_load_b64 s[4:5], s[0:1], 0x50
	s_abs_i32 s16, s8
	v_cvt_f32_u32_e32 v1, s16
	s_sub_i32 s7, 0, s16
	s_delay_alu instid0(VALU_DEP_1) | instskip(SKIP_2) | instid1(VALU_DEP_1)
	v_rcp_iflag_f32_e32 v1, v1
	s_waitcnt_depctr 0xfff
	v_mul_f32_e32 v1, 0x4f7ffffe, v1
	v_cvt_u32_f32_e32 v1, v1
	s_delay_alu instid0(VALU_DEP_1) | instskip(NEXT) | instid1(VALU_DEP_1)
	v_readfirstlane_b32 s6, v1
	s_mul_i32 s7, s7, s6
	s_delay_alu instid0(SALU_CYCLE_1) | instskip(NEXT) | instid1(SALU_CYCLE_1)
	s_mul_hi_u32 s7, s6, s7
	s_add_i32 s6, s6, s7
	s_waitcnt lgkmcnt(0)
	s_cmp_eq_u64 s[4:5], 0
	s_mul_hi_u32 s18, s17, s6
	s_cbranch_scc1 .LBB112_3
; %bb.2:
	s_ashr_i32 s25, s24, 31
	s_delay_alu instid0(SALU_CYCLE_1) | instskip(NEXT) | instid1(SALU_CYCLE_1)
	s_lshl_b64 s[6:7], s[24:25], 2
	s_add_u32 s4, s4, s6
	s_addc_u32 s5, s5, s7
	s_load_b32 s39, s[4:5], 0x0
.LBB112_3:
	s_load_b128 s[4:7], s[0:1], 0x58
	s_waitcnt lgkmcnt(0)
	s_ashr_i32 s7, s24, 31
	s_ashr_i32 s19, s8, 31
	s_mul_i32 s20, s24, 0x50
	s_mov_b32 s8, exec_lo
	v_cmpx_gt_u32_e32 10, v0
	s_cbranch_execz .LBB112_5
; %bb.4:
	s_load_b64 s[10:11], s[0:1], 0x18
	s_mul_i32 s22, s14, s4
	v_lshlrev_b32_e32 v5, 4, v0
	s_ashr_i32 s23, s22, 31
	s_delay_alu instid0(SALU_CYCLE_1) | instskip(SKIP_4) | instid1(SALU_CYCLE_1)
	s_lshl_b64 s[22:23], s[22:23], 1
	s_waitcnt lgkmcnt(0)
	s_add_u32 s4, s10, s22
	s_addc_u32 s9, s11, s23
	s_ashr_i32 s21, s20, 31
	s_lshl_b64 s[10:11], s[20:21], 1
	s_delay_alu instid0(SALU_CYCLE_1)
	s_add_u32 s10, s4, s10
	s_addc_u32 s11, s9, s11
	global_load_b128 v[1:4], v5, s[10:11]
	s_waitcnt vmcnt(0)
	ds_store_b128 v5, v[1:4]
.LBB112_5:
	s_or_b32 exec_lo, exec_lo, s8
	s_load_b128 s[8:11], s[0:1], 0x78
	s_mul_i32 s4, s18, s16
	s_xor_b32 s7, s7, s19
	s_sub_i32 s4, s17, s4
	s_add_i32 s17, s18, 1
	s_sub_i32 s19, s4, s16
	s_cmp_ge_u32 s4, s16
	s_waitcnt lgkmcnt(0)
	s_cselect_b32 s17, s17, s18
	s_cselect_b32 s4, s19, s4
	s_add_i32 s18, s17, 1
	s_cmp_ge_u32 s4, s16
	s_load_b32 s4, s[0:1], 0x88
	s_cselect_b32 s16, s18, s17
	s_mov_b32 s17, -1
	s_xor_b32 s16, s16, s7
	s_waitcnt lgkmcnt(0)
	s_barrier
	s_sub_i32 s34, s16, s7
	s_add_i32 s16, s15, -1
	buffer_gl0_inv
	s_abs_i32 s21, s11
	s_abs_i32 s28, s16
	v_cvt_f32_u32_e32 v1, s21
	s_sub_i32 s7, 0, s21
                                        ; implicit-def: $sgpr33
	s_delay_alu instid0(VALU_DEP_1) | instskip(SKIP_2) | instid1(VALU_DEP_1)
	v_rcp_iflag_f32_e32 v1, v1
	s_waitcnt_depctr 0xfff
	v_mul_f32_e32 v1, 0x4f7ffffe, v1
	v_cvt_u32_f32_e32 v1, v1
	s_delay_alu instid0(VALU_DEP_1) | instskip(NEXT) | instid1(VALU_DEP_1)
	v_readfirstlane_b32 s25, v1
	s_mul_i32 s7, s7, s25
	s_delay_alu instid0(SALU_CYCLE_1) | instskip(NEXT) | instid1(SALU_CYCLE_1)
	s_mul_hi_u32 s7, s25, s7
	s_add_i32 s25, s25, s7
	s_cmp_lt_i32 s4, 0
	s_mul_hi_u32 s7, s28, s25
	s_cbranch_scc0 .LBB112_7
; %bb.6:
	s_mul_i32 s2, s8, s2
	s_mov_b32 s17, 0
	s_add_i32 s2, s34, s2
	s_delay_alu instid0(SALU_CYCLE_1) | instskip(NEXT) | instid1(SALU_CYCLE_1)
	s_mul_i32 s2, s2, s4
	s_sub_i32 s33, 1, s2
.LBB112_7:
	s_load_b64 s[26:27], s[0:1], 0x38
	s_ashr_i32 s2, s16, 31
	s_and_not1_b32 vcc_lo, exec_lo, s17
	s_ashr_i32 s11, s11, 31
	s_cbranch_vccnz .LBB112_9
; %bb.8:
	s_mul_i32 s8, s13, s8
	s_delay_alu instid0(SALU_CYCLE_1) | instskip(NEXT) | instid1(SALU_CYCLE_1)
	s_add_i32 s8, s8, s24
	s_mul_i32 s4, s8, s4
	s_delay_alu instid0(SALU_CYCLE_1)
	s_add_i32 s33, s4, 1
.LBB112_9:
	s_clause 0x4
	s_load_b32 s8, s[0:1], 0x48
	s_load_b64 s[30:31], s[0:1], 0x28
	s_load_b32 s4, s[0:1], 0x98
	s_load_b128 s[16:19], s[0:1], 0x0
	s_load_b64 s[22:23], s[0:1], 0x10
	s_xor_b32 s35, s2, s11
	s_mul_i32 s2, s7, s21
	s_add_i32 s36, s7, 1
	s_sub_i32 s2, s28, s2
	v_lshrrev_b32_e32 v39, 5, v0
	v_dual_mov_b32 v43, 0xff7fffff :: v_dual_and_b32 v40, 31, v0
	s_mul_i32 s34, s34, s6
	s_delay_alu instid0(VALU_DEP_2) | instskip(NEXT) | instid1(VALU_DEP_2)
	v_lshl_add_u32 v41, v39, 5, s37
	v_lshlrev_b32_e32 v42, 2, v40
	s_waitcnt lgkmcnt(0)
	s_mul_i32 s28, s14, s8
	s_sub_i32 s8, s2, s21
	s_ashr_i32 s29, s28, 31
	s_cmp_ge_u32 s2, s21
	s_cselect_b32 s7, s36, s7
	s_cselect_b32 s2, s8, s2
	s_add_i32 s8, s7, 1
	s_cmp_ge_u32 s2, s21
	s_cselect_b32 s2, s8, s7
	s_add_i32 s8, s15, 31
	s_lshl_b32 s7, s12, 4
	s_ashr_i32 s36, s8, 31
	v_add_nc_u32_e32 v33, s7, v39
	s_lshr_b32 s36, s36, 27
	s_add_i32 s38, s7, 16
	s_add_i32 s8, s8, s36
	s_xor_b32 s40, s2, s35
	s_ashr_i32 s36, s8, 5
	v_ashrrev_i32_e32 v34, 31, v33
	s_min_i32 s8, s38, s36
	s_sub_i32 s38, s40, s35
	v_cmp_gt_i32_e64 s2, s8, v33
	s_delay_alu instid0(VALU_DEP_1)
	s_and_saveexec_b32 s6, s2
	s_cbranch_execz .LBB112_17
; %bb.10:
	s_load_b64 s[0:1], s[0:1], 0x20
	s_ashr_i32 s35, s34, 31
	v_subrev_nc_u32_e32 v5, s15, v40
	s_lshl_b64 s[40:41], s[34:35], 1
	s_sub_i32 s35, s38, s9
	v_dual_mov_b32 v52, v33 :: v_dual_lshlrev_b32 v3, 4, v40
	s_delay_alu instid0(VALU_DEP_2)
	v_add_nc_u32_e32 v47, 1, v5
	v_lshl_or_b32 v7, v39, 7, v42
	v_cmp_neq_f32_e64 vcc_lo, s39, 0
	v_lshl_add_u32 v44, v39, 5, s37
	v_mov_b32_e32 v45, 0xff7fffff
	v_mov_b32_e32 v43, 0xff7fffff
	v_add_nc_u32_e32 v48, 0xc0, v7
	v_mov_b32_e32 v46, 0
	s_waitcnt lgkmcnt(0)
	s_add_u32 s42, s0, s40
	s_addc_u32 s41, s1, s41
	s_abs_i32 s40, s10
	v_add_co_u32 v49, s42, s42, v3
	v_cvt_f32_u32_e32 v1, s40
	s_sub_i32 s0, 0, s40
	v_add_co_ci_u32_e64 v50, null, s41, 0, s42
	s_mov_b32 s42, s5
	s_delay_alu instid0(VALU_DEP_2) | instskip(SKIP_3) | instid1(VALU_DEP_1)
	v_rcp_iflag_f32_e32 v1, v1
	s_mov_b32 s41, 0
	s_waitcnt_depctr 0xfff
	v_mul_f32_e32 v1, 0x4f7ffffe, v1
	v_cvt_u32_f32_e32 v4, v1
	v_lshlrev_b64 v[1:2], 2, v[33:34]
	s_delay_alu instid0(VALU_DEP_2) | instskip(SKIP_1) | instid1(SALU_CYCLE_1)
	v_mul_lo_u32 v6, s0, v4
	s_lshl_b64 s[0:1], s[28:29], 2
	s_add_u32 s0, s26, s0
	s_addc_u32 s1, s27, s1
	s_delay_alu instid0(VALU_DEP_2) | instskip(NEXT) | instid1(VALU_DEP_1)
	v_add_co_u32 v35, s0, s0, v1
	v_add_co_ci_u32_e64 v36, s0, s1, v2, s0
	s_delay_alu instid0(VALU_DEP_3) | instskip(NEXT) | instid1(VALU_DEP_1)
	v_mul_hi_u32 v5, v4, v6
	v_add_nc_u32_e32 v51, v4, v5
	s_branch .LBB112_12
.LBB112_11:                             ;   in Loop: Header=BB112_12 Depth=1
	s_or_b32 exec_lo, exec_lo, s1
	v_add_nc_u32_e32 v52, 4, v52
	v_add_co_u32 v35, s1, v35, 16
	s_delay_alu instid0(VALU_DEP_1) | instskip(NEXT) | instid1(VALU_DEP_3)
	v_add_co_ci_u32_e64 v36, s1, 0, v36, s1
	v_cmp_le_i32_e64 s0, s8, v52
	v_add_nc_u32_e32 v44, 0x80, v44
	v_add_nc_u32_e32 v48, 0x200, v48
	s_delay_alu instid0(VALU_DEP_3) | instskip(NEXT) | instid1(SALU_CYCLE_1)
	s_or_b32 s41, s0, s41
	s_and_not1_b32 exec_lo, exec_lo, s41
	s_cbranch_execz .LBB112_16
.LBB112_12:                             ; =>This Inner Loop Header: Depth=1
	v_sub_nc_u32_e32 v1, 0, v44
	s_delay_alu instid0(VALU_DEP_1) | instskip(NEXT) | instid1(VALU_DEP_1)
	v_max_i32_e32 v1, v44, v1
	v_mul_hi_u32 v2, v1, s25
	s_delay_alu instid0(VALU_DEP_1) | instskip(NEXT) | instid1(VALU_DEP_1)
	v_mul_lo_u32 v3, v2, s21
	v_sub_nc_u32_e32 v1, v1, v3
	v_add_nc_u32_e32 v3, 1, v2
	s_delay_alu instid0(VALU_DEP_2) | instskip(SKIP_1) | instid1(VALU_DEP_1)
	v_subrev_nc_u32_e32 v4, s21, v1
	v_cmp_le_u32_e64 s0, s21, v1
	v_cndmask_b32_e64 v2, v2, v3, s0
	s_delay_alu instid0(VALU_DEP_3) | instskip(SKIP_1) | instid1(VALU_DEP_3)
	v_cndmask_b32_e64 v1, v1, v4, s0
	v_ashrrev_i32_e32 v3, 31, v44
	v_add_nc_u32_e32 v4, 1, v2
	s_delay_alu instid0(VALU_DEP_3) | instskip(NEXT) | instid1(VALU_DEP_3)
	v_cmp_le_u32_e64 s0, s21, v1
	v_xor_b32_e32 v3, s11, v3
	s_delay_alu instid0(VALU_DEP_2) | instskip(NEXT) | instid1(VALU_DEP_1)
	v_cndmask_b32_e64 v1, v2, v4, s0
	v_xor_b32_e32 v1, v1, v3
	s_delay_alu instid0(VALU_DEP_1) | instskip(NEXT) | instid1(VALU_DEP_1)
	v_sub_nc_u32_e32 v1, v1, v3
	v_add_nc_u32_e32 v2, s33, v1
	v_cmp_ge_i32_e64 s1, s35, v1
	s_delay_alu instid0(VALU_DEP_2) | instskip(NEXT) | instid1(VALU_DEP_1)
	v_sub_nc_u32_e32 v3, 0, v2
	v_max_i32_e32 v3, v2, v3
	v_ashrrev_i32_e32 v2, 31, v2
	s_delay_alu instid0(VALU_DEP_2) | instskip(NEXT) | instid1(VALU_DEP_1)
	v_mul_hi_u32 v4, v3, v51
	v_mul_lo_u32 v4, v4, s40
	s_delay_alu instid0(VALU_DEP_1) | instskip(NEXT) | instid1(VALU_DEP_1)
	v_sub_nc_u32_e32 v3, v3, v4
	v_subrev_nc_u32_e32 v4, s40, v3
	v_cmp_le_u32_e64 s0, s40, v3
	s_delay_alu instid0(VALU_DEP_1) | instskip(NEXT) | instid1(VALU_DEP_1)
	v_cndmask_b32_e64 v3, v3, v4, s0
	v_subrev_nc_u32_e32 v4, s40, v3
	v_cmp_le_u32_e64 s0, s40, v3
	s_delay_alu instid0(VALU_DEP_1) | instskip(NEXT) | instid1(VALU_DEP_1)
	v_cndmask_b32_e64 v3, v3, v4, s0
	v_xor_b32_e32 v3, v3, v2
	s_delay_alu instid0(VALU_DEP_1) | instskip(NEXT) | instid1(VALU_DEP_1)
	v_sub_nc_u32_e32 v2, v3, v2
	v_cmp_ne_u32_e64 s0, 0, v2
	s_delay_alu instid0(VALU_DEP_1) | instskip(NEXT) | instid1(SALU_CYCLE_1)
	s_and_b32 s0, s0, s1
	s_and_saveexec_b32 s1, s0
	s_delay_alu instid0(SALU_CYCLE_1)
	s_xor_b32 s0, exec_lo, s1
	s_cbranch_execz .LBB112_14
; %bb.13:                               ;   in Loop: Header=BB112_12 Depth=1
	ds_store_b32 v48, v45
.LBB112_14:                             ;   in Loop: Header=BB112_12 Depth=1
	s_and_not1_saveexec_b32 s1, s0
	s_cbranch_execz .LBB112_11
; %bb.15:                               ;   in Loop: Header=BB112_12 Depth=1
	global_load_b32 v3, v[35:36], off
	s_waitcnt vmcnt(0)
	v_mad_i64_i32 v[1:2], null, v3, s42, 0
	s_delay_alu instid0(VALU_DEP_1) | instskip(NEXT) | instid1(VALU_DEP_1)
	v_lshlrev_b64 v[1:2], 1, v[1:2]
	v_add_co_u32 v37, s0, v49, v1
	s_delay_alu instid0(VALU_DEP_1)
	v_add_co_ci_u32_e64 v38, s0, v50, v2, s0
	s_clause 0x7
	global_load_b128 v[29:32], v[37:38], off
	global_load_b128 v[25:28], v[37:38], off offset:512
	global_load_b128 v[21:24], v[37:38], off offset:1024
	;; [unrolled: 1-line block ×7, first 2 shown]
	v_add_co_u32 v37, s0, 0x1000, v37
	s_delay_alu instid0(VALU_DEP_1)
	v_add_co_ci_u32_e64 v38, s0, 0, v38, s0
	s_clause 0x1
	global_load_b128 v[53:56], v[37:38], off
	global_load_b128 v[57:60], v[37:38], off offset:512
	ds_load_b128 v[61:64], v46
	s_waitcnt lgkmcnt(0)
	v_lshrrev_b32_e32 v37, 16, v61
	v_and_b32_e32 v38, 0xffff, v61
	v_lshrrev_b32_e32 v61, 16, v62
	v_and_b32_e32 v62, 0xffff, v62
	;; [unrolled: 2-line block ×4, first 2 shown]
	;;#ASMSTART
	v_cvt_f32_f16 v38, v38;
	;;#ASMEND
	;;#ASMSTART
	v_cvt_f32_f16 v37, v37;
	;;#ASMEND
	s_waitcnt vmcnt(9)
	v_lshrrev_b32_e32 v67, 16, v29
	v_and_b32_e32 v29, 0xffff, v29
	v_lshrrev_b32_e32 v68, 16, v30
	v_and_b32_e32 v30, 0xffff, v30
	;; [unrolled: 2-line block ×3, first 2 shown]
	v_lshrrev_b32_e32 v70, 16, v32
	;;#ASMSTART
	v_cvt_f32_f16 v29, v29;
	;;#ASMEND
	;;#ASMSTART
	v_cvt_f32_f16 v67, v67;
	;;#ASMEND
	v_and_b32_e32 v32, 0xffff, v32
	s_waitcnt vmcnt(5)
	v_lshrrev_b32_e32 v83, 16, v13
	v_and_b32_e32 v84, 0xffff, v13
	v_lshrrev_b32_e32 v85, 16, v14
	v_and_b32_e32 v86, 0xffff, v14
	;; [unrolled: 2-line block ×4, first 2 shown]
	;;#ASMSTART
	v_cvt_f32_f16 v62, v62;
	;;#ASMEND
	;;#ASMSTART
	v_cvt_f32_f16 v61, v61;
	;;#ASMEND
	;; [unrolled: 3-line block ×12, first 2 shown]
	ds_load_b128 v[13:16], v46 offset:16
	s_waitcnt vmcnt(3)
	v_lshrrev_b32_e32 v95, 16, v5
	v_and_b32_e32 v96, 0xffff, v5
	s_waitcnt vmcnt(2)
	v_lshrrev_b32_e32 v105, 16, v2
	v_and_b32_e32 v106, 0xffff, v2
	v_lshrrev_b32_e32 v107, 16, v3
	v_and_b32_e32 v108, 0xffff, v3
	;; [unrolled: 2-line block ×8, first 2 shown]
	v_lshrrev_b32_e32 v73, 16, v27
	s_waitcnt lgkmcnt(0)
	v_and_b32_e32 v2, 0xffff, v13
	v_lshrrev_b32_e32 v3, 16, v14
	v_and_b32_e32 v5, 0xffff, v14
	;;#ASMSTART
	v_cvt_f32_f16 v14, v2;
	;;#ASMEND
	v_lshrrev_b32_e32 v1, 16, v13
	v_lshrrev_b32_e32 v6, 16, v15
	v_and_b32_e32 v7, 0xffff, v15
	v_lshrrev_b32_e32 v8, 16, v16
	v_and_b32_e32 v13, 0xffff, v16
	;;#ASMSTART
	v_cvt_f32_f16 v15, v1;
	;;#ASMEND
	;;#ASMSTART
	v_cvt_f32_f16 v16, v25;
	;;#ASMEND
	v_dual_mul_f32 v14, v14, v16 :: v_dual_and_b32 v27, 0xffff, v27
	;;#ASMSTART
	v_cvt_f32_f16 v25, v71;
	;;#ASMEND
	;;#ASMSTART
	v_cvt_f32_f16 v71, v5;
	;;#ASMEND
	;; [unrolled: 3-line block ×3, first 2 shown]
	s_delay_alu instid0(VALU_DEP_1)
	v_fmac_f32_e32 v14, v38, v29
	;;#ASMSTART
	v_cvt_f32_f16 v26, v26;
	;;#ASMEND
	;;#ASMSTART
	v_cvt_f32_f16 v72, v72;
	;;#ASMEND
	;; [unrolled: 3-line block ×5, first 2 shown]
	v_mul_f32_e32 v27, v111, v27
	v_lshrrev_b32_e32 v74, 16, v28
	v_and_b32_e32 v28, 0xffff, v28
	;;#ASMSTART
	v_cvt_f32_f16 v73, v73;
	;;#ASMEND
	;;#ASMSTART
	v_cvt_f32_f16 v13, v13;
	;;#ASMEND
	v_fmac_f32_e32 v27, v63, v31
	;;#ASMSTART
	v_cvt_f32_f16 v113, v8;
	;;#ASMEND
	;;#ASMSTART
	v_cvt_f32_f16 v28, v28;
	;;#ASMEND
	;; [unrolled: 3-line block ×3, first 2 shown]
	ds_load_b128 v[5:8], v46 offset:32
	v_mul_f32_e32 v15, v15, v25
	v_dual_mul_f32 v26, v71, v26 :: v_dual_mul_f32 v71, v110, v72
	v_dual_mul_f32 v72, v112, v73 :: v_dual_mul_f32 v13, v13, v28
	s_delay_alu instid0(VALU_DEP_3) | instskip(SKIP_1) | instid1(VALU_DEP_4)
	v_fmac_f32_e32 v15, v37, v67
	v_lshrrev_b32_e32 v75, 16, v21
	v_dual_fmac_f32 v26, v62, v30 :: v_dual_and_b32 v21, 0xffff, v21
	v_lshrrev_b32_e32 v76, 16, v22
	v_dual_fmac_f32 v13, v64, v32 :: v_dual_and_b32 v22, 0xffff, v22
	;; [unrolled: 2-line block ×3, first 2 shown]
	v_lshrrev_b32_e32 v78, 16, v24
	v_lshrrev_b32_e32 v109, 16, v4
	v_and_b32_e32 v114, 0xffff, v4
	s_waitcnt vmcnt(0)
	v_lshrrev_b32_e32 v1, 16, v60
	v_and_b32_e32 v2, 0xffff, v60
	s_waitcnt lgkmcnt(0)
	v_lshrrev_b32_e32 v4, 16, v5
	v_and_b32_e32 v5, 0xffff, v5
	v_lshrrev_b32_e32 v16, 16, v6
	v_and_b32_e32 v6, 0xffff, v6
	;; [unrolled: 2-line block ×4, first 2 shown]
	;;#ASMSTART
	v_cvt_f32_f16 v121, v5;
	;;#ASMEND
	;;#ASMSTART
	v_cvt_f32_f16 v122, v4;
	;;#ASMEND
	;; [unrolled: 3-line block ×4, first 2 shown]
	v_dual_fmac_f32 v15, v122, v75 :: v_dual_and_b32 v24, 0xffff, v24
	;;#ASMSTART
	v_cvt_f32_f16 v123, v6;
	;;#ASMEND
	;;#ASMSTART
	v_cvt_f32_f16 v16, v16;
	;;#ASMEND
	;; [unrolled: 3-line block ×12, first 2 shown]
	ds_load_b128 v[4:7], v46 offset:48
	v_mul_f32_e32 v28, v113, v74
	v_fmac_f32_e32 v71, v61, v68
	v_lshrrev_b32_e32 v79, 16, v17
	v_and_b32_e32 v17, 0xffff, v17
	v_lshrrev_b32_e32 v80, 16, v18
	v_fmac_f32_e32 v28, v66, v70
	v_dual_fmac_f32 v71, v16, v76 :: v_dual_and_b32 v18, 0xffff, v18
	v_lshrrev_b32_e32 v81, 16, v19
	v_dual_fmac_f32 v14, v121, v21 :: v_dual_and_b32 v19, 0xffff, v19
	v_lshrrev_b32_e32 v82, 16, v20
	;; [unrolled: 2-line block ×4, first 2 shown]
	v_fmac_f32_e32 v13, v8, v24
	s_waitcnt lgkmcnt(0)
	v_lshrrev_b32_e32 v29, 16, v4
	v_and_b32_e32 v4, 0xffff, v4
	v_lshrrev_b32_e32 v38, 16, v5
	v_and_b32_e32 v5, 0xffff, v5
	;; [unrolled: 2-line block ×4, first 2 shown]
	;;#ASMSTART
	v_cvt_f32_f16 v110, v4;
	;;#ASMEND
	;;#ASMSTART
	v_cvt_f32_f16 v29, v29;
	;;#ASMEND
	;; [unrolled: 3-line block ×16, first 2 shown]
	ds_load_b128 v[4:7], v46 offset:64
	v_dual_fmac_f32 v72, v73, v81 :: v_dual_and_b32 v55, 0xffff, v55
	v_fmac_f32_e32 v15, v29, v79
	v_fmac_f32_e32 v71, v38, v80
	;; [unrolled: 1-line block ×3, first 2 shown]
	v_lshrrev_b32_e32 v91, 16, v9
	v_dual_fmac_f32 v26, v123, v22 :: v_dual_and_b32 v9, 0xffff, v9
	v_fmac_f32_e32 v14, v110, v17
	v_lshrrev_b32_e32 v119, 16, v57
	v_lshrrev_b32_e32 v92, 16, v10
	v_dual_fmac_f32 v13, v113, v20 :: v_dual_and_b32 v10, 0xffff, v10
	v_fmac_f32_e32 v26, v111, v18
	v_lshrrev_b32_e32 v94, 16, v12
	v_fmac_f32_e32 v28, v60, v78
	v_lshrrev_b32_e32 v115, 16, v53
	v_and_b32_e32 v53, 0xffff, v53
	v_lshrrev_b32_e32 v3, 16, v59
	s_waitcnt lgkmcnt(0)
	v_lshrrev_b32_e32 v30, 16, v4
	v_fmac_f32_e32 v28, v74, v82
	v_lshrrev_b32_e32 v31, 16, v5
	v_lshrrev_b32_e32 v37, 16, v6
	v_and_b32_e32 v4, 0xffff, v4
	v_and_b32_e32 v5, 0xffff, v5
	v_and_b32_e32 v6, 0xffff, v6
	v_lshrrev_b32_e32 v61, 16, v7
	;;#ASMSTART
	v_cvt_f32_f16 v62, v4;
	;;#ASMEND
	;;#ASMSTART
	v_cvt_f32_f16 v30, v30;
	;;#ASMEND
	;; [unrolled: 3-line block ×12, first 2 shown]
	v_fmac_f32_e32 v72, v37, v87
	v_and_b32_e32 v7, 0xffff, v7
	;;#ASMSTART
	v_cvt_f32_f16 v88, v7;
	;;#ASMEND
	;;#ASMSTART
	v_cvt_f32_f16 v61, v61;
	;;#ASMEND
	;;#ASMSTART
	v_cvt_f32_f16 v90, v90;
	;;#ASMEND
	;;#ASMSTART
	v_cvt_f32_f16 v89, v89;
	;;#ASMEND
	ds_load_b128 v[4:7], v46 offset:80
	v_dual_fmac_f32 v14, v62, v63 :: v_dual_and_b32 v57, 0xffff, v57
	v_fmac_f32_e32 v26, v68, v83
	v_dual_fmac_f32 v15, v30, v67 :: v_dual_and_b32 v12, 0xffff, v12
	v_dual_fmac_f32 v28, v61, v89 :: v_dual_and_b32 v59, 0xffff, v59
	v_add_nc_u32_e32 v25, v47, v44
	v_fmac_f32_e32 v71, v31, v84
	v_fmac_f32_e32 v27, v85, v86
	;; [unrolled: 1-line block ×3, first 2 shown]
	v_lshrrev_b32_e32 v116, 16, v54
	v_cvt_f32_i32_e32 v25, v25
	v_lshrrev_b32_e32 v118, 16, v56
	v_lshrrev_b32_e32 v120, 16, v58
	s_waitcnt lgkmcnt(0)
	v_lshrrev_b32_e32 v21, 16, v4
	v_lshrrev_b32_e32 v32, 16, v5
	v_and_b32_e32 v4, 0xffff, v4
	v_lshrrev_b32_e32 v64, 16, v6
	v_and_b32_e32 v6, 0xffff, v6
	v_lshrrev_b32_e32 v65, 16, v7
	;;#ASMSTART
	v_cvt_f32_f16 v66, v4;
	;;#ASMEND
	;;#ASMSTART
	v_cvt_f32_f16 v21, v21;
	;;#ASMEND
	;; [unrolled: 3-line block ×4, first 2 shown]
	v_fmac_f32_e32 v14, v66, v9
	v_and_b32_e32 v5, 0xffff, v5
	;;#ASMSTART
	v_cvt_f32_f16 v70, v5;
	;;#ASMEND
	;;#ASMSTART
	v_cvt_f32_f16 v32, v32;
	;;#ASMEND
	;; [unrolled: 3-line block ×3, first 2 shown]
	v_dual_fmac_f32 v26, v70, v10 :: v_dual_and_b32 v7, 0xffff, v7
	;;#ASMSTART
	v_cvt_f32_f16 v91, v92;
	;;#ASMEND
	;;#ASMSTART
	v_cvt_f32_f16 v92, v6;
	;;#ASMEND
	;; [unrolled: 3-line block ×9, first 2 shown]
	ds_load_b128 v[4:7], v46 offset:96
	v_fmac_f32_e32 v72, v64, v93
	v_fmac_f32_e32 v28, v65, v94
	;; [unrolled: 1-line block ×6, first 2 shown]
	s_waitcnt lgkmcnt(0)
	v_lshrrev_b32_e32 v16, 16, v4
	v_and_b32_e32 v4, 0xffff, v4
	v_lshrrev_b32_e32 v22, 16, v5
	v_and_b32_e32 v5, 0xffff, v5
	;; [unrolled: 2-line block ×4, first 2 shown]
	;;#ASMSTART
	v_cvt_f32_f16 v76, v4;
	;;#ASMEND
	;;#ASMSTART
	v_cvt_f32_f16 v16, v16;
	;;#ASMEND
	;; [unrolled: 3-line block ×16, first 2 shown]
	v_fmac_f32_e32 v28, v75, v101
	ds_load_b128 v[4:7], v46 offset:112
	v_fmac_f32_e32 v14, v76, v96
	v_fmac_f32_e32 v26, v122, v98
	v_dual_fmac_f32 v71, v22, v97 :: v_dual_and_b32 v54, 0xffff, v54
	v_fmac_f32_e32 v27, v123, v100
	v_dual_fmac_f32 v13, v124, v102 :: v_dual_and_b32 v56, 0xffff, v56
	v_fmac_f32_e32 v15, v16, v95
	v_fmac_f32_e32 v72, v23, v99
	s_waitcnt lgkmcnt(0)
	v_lshrrev_b32_e32 v8, 16, v4
	v_lshrrev_b32_e32 v17, 16, v5
	v_and_b32_e32 v4, 0xffff, v4
	v_lshrrev_b32_e32 v18, 16, v6
	v_and_b32_e32 v6, 0xffff, v6
	v_lshrrev_b32_e32 v19, 16, v7
	;;#ASMSTART
	v_cvt_f32_f16 v20, v4;
	;;#ASMEND
	;;#ASMSTART
	v_cvt_f32_f16 v8, v8;
	;;#ASMEND
	;; [unrolled: 3-line block ×3, first 2 shown]
	v_dual_fmac_f32 v14, v20, v24 :: v_dual_and_b32 v5, 0xffff, v5
	;;#ASMSTART
	v_cvt_f32_f16 v29, v103;
	;;#ASMEND
	;;#ASMSTART
	v_cvt_f32_f16 v38, v5;
	;;#ASMEND
	;; [unrolled: 3-line block ×4, first 2 shown]
	v_dual_fmac_f32 v26, v38, v60 :: v_dual_and_b32 v7, 0xffff, v7
	;;#ASMSTART
	v_cvt_f32_f16 v62, v105;
	;;#ASMEND
	;;#ASMSTART
	v_cvt_f32_f16 v63, v6;
	;;#ASMEND
	;; [unrolled: 3-line block ×9, first 2 shown]
	ds_load_b128 v[4:7], v46 offset:128
	v_fmac_f32_e32 v28, v19, v79
	v_dual_fmac_f32 v15, v8, v29 :: v_dual_and_b32 v58, 0xffff, v58
	v_fmac_f32_e32 v13, v77, v78
	v_fmac_f32_e32 v71, v17, v62
	v_dual_fmac_f32 v72, v18, v74 :: v_dual_fmac_f32 v27, v63, v73
	s_waitcnt lgkmcnt(0)
	v_lshrrev_b32_e32 v9, 16, v4
	v_and_b32_e32 v4, 0xffff, v4
	v_lshrrev_b32_e32 v10, 16, v5
	v_and_b32_e32 v5, 0xffff, v5
	;; [unrolled: 2-line block ×3, first 2 shown]
	v_lshrrev_b32_e32 v12, 16, v7
	;;#ASMSTART
	v_cvt_f32_f16 v16, v4;
	;;#ASMEND
	;;#ASMSTART
	v_cvt_f32_f16 v9, v9;
	;;#ASMEND
	;; [unrolled: 3-line block ×3, first 2 shown]
	v_dual_fmac_f32 v14, v16, v21 :: v_dual_and_b32 v7, 0xffff, v7
	;;#ASMSTART
	v_cvt_f32_f16 v22, v115;
	;;#ASMEND
	;;#ASMSTART
	v_cvt_f32_f16 v30, v5;
	;;#ASMEND
	;; [unrolled: 3-line block ×13, first 2 shown]
	ds_load_b128 v[4:7], v46 offset:144
	v_fmac_f32_e32 v15, v9, v22
	v_dual_fmac_f32 v13, v55, v56 :: v_dual_fmac_f32 v26, v30, v31
	v_dual_fmac_f32 v71, v10, v32 :: v_dual_fmac_f32 v72, v11, v54
	v_fmac_f32_e32 v27, v37, v53
	v_fmac_f32_e32 v28, v12, v61
	s_waitcnt lgkmcnt(0)
	v_and_b32_e32 v8, 0xffff, v4
	v_lshrrev_b32_e32 v4, 16, v4
	;;#ASMSTART
	v_cvt_f32_f16 v8, v8;
	;;#ASMEND
	;;#ASMSTART
	v_cvt_f32_f16 v4, v4;
	;;#ASMEND
	;; [unrolled: 3-line block ×4, first 2 shown]
	v_fmac_f32_e32 v14, v8, v10
	v_fmac_f32_e32 v15, v4, v11
	v_lshrrev_b32_e32 v9, 16, v5
	v_and_b32_e32 v5, 0xffff, v5
	;;#ASMSTART
	v_cvt_f32_f16 v4, v5;
	;;#ASMEND
	;;#ASMSTART
	v_cvt_f32_f16 v5, v9;
	;;#ASMEND
	;; [unrolled: 3-line block ×3, first 2 shown]
	v_fmac_f32_e32 v26, v4, v8
	v_add_f32_e32 v4, v14, v15
	;;#ASMSTART
	v_cvt_f32_f16 v9, v120;
	;;#ASMEND
	v_dual_fmac_f32 v71, v5, v9 :: v_dual_and_b32 v8, 0xffff, v6
	v_lshrrev_b32_e32 v6, 16, v6
	s_delay_alu instid0(VALU_DEP_3)
	v_add_f32_e32 v4, v4, v26
	;;#ASMSTART
	v_cvt_f32_f16 v5, v8;
	;;#ASMEND
	;;#ASMSTART
	v_cvt_f32_f16 v6, v6;
	;;#ASMEND
	;; [unrolled: 3-line block ×3, first 2 shown]
	v_fmac_f32_e32 v27, v5, v8
	v_add_f32_e32 v4, v71, v4
	;;#ASMSTART
	v_cvt_f32_f16 v3, v3;
	;;#ASMEND
	v_and_b32_e32 v5, 0xffff, v7
	v_fmac_f32_e32 v72, v6, v3
	v_lshrrev_b32_e32 v7, 16, v7
	v_add_f32_e32 v3, v4, v27
	;;#ASMSTART
	v_cvt_f32_f16 v4, v5;
	;;#ASMEND
	;;#ASMSTART
	v_cvt_f32_f16 v5, v7;
	;;#ASMEND
	;; [unrolled: 3-line block ×3, first 2 shown]
	v_fmac_f32_e32 v13, v4, v2
	v_add_f32_e32 v2, v72, v3
	;;#ASMSTART
	v_cvt_f32_f16 v1, v1;
	;;#ASMEND
	v_mul_f32_e32 v3, s39, v25
	v_fmac_f32_e32 v28, v5, v1
	s_delay_alu instid0(VALU_DEP_2) | instskip(SKIP_1) | instid1(VALU_DEP_2)
	v_dual_add_f32 v1, v2, v13 :: v_dual_cndmask_b32 v2, 0, v3
	v_max_f32_e32 v3, v43, v43
	v_add_f32_e32 v1, v28, v1
	s_delay_alu instid0(VALU_DEP_1) | instskip(NEXT) | instid1(VALU_DEP_1)
	v_dual_fmac_f32 v2, s3, v1 :: v_dual_add_nc_u32 v1, v40, v44
	v_max_f32_e32 v3, v3, v2
	s_delay_alu instid0(VALU_DEP_2) | instskip(NEXT) | instid1(VALU_DEP_1)
	v_cmp_gt_i32_e64 s0, s15, v1
	v_cndmask_b32_e64 v1, 0, v2, s0
	s_delay_alu instid0(VALU_DEP_3)
	v_cndmask_b32_e64 v43, v43, v3, s0
	ds_store_b32 v48, v1
	s_branch .LBB112_11
.LBB112_16:
	s_or_b32 exec_lo, exec_lo, s41
.LBB112_17:
	s_delay_alu instid0(SALU_CYCLE_1) | instskip(SKIP_2) | instid1(VALU_DEP_2)
	s_or_b32 exec_lo, exec_lo, s6
	v_mbcnt_lo_u32_b32 v1, -1, 0
	v_max_f32_e32 v5, v43, v43
	v_xor_b32_e32 v2, 16, v1
	v_xor_b32_e32 v4, 8, v1
	s_delay_alu instid0(VALU_DEP_2) | instskip(SKIP_1) | instid1(VALU_DEP_3)
	v_cmp_gt_i32_e32 vcc_lo, 32, v2
	v_cndmask_b32_e32 v2, v1, v2, vcc_lo
	v_cmp_gt_i32_e32 vcc_lo, 32, v4
	s_delay_alu instid0(VALU_DEP_2) | instskip(SKIP_4) | instid1(VALU_DEP_1)
	v_lshlrev_b32_e32 v2, 2, v2
	v_cndmask_b32_e32 v4, v1, v4, vcc_lo
	ds_bpermute_b32 v3, v2, v43
	s_waitcnt lgkmcnt(0)
	v_dual_max_f32 v6, v3, v3 :: v_dual_lshlrev_b32 v3, 2, v4
	v_max_f32_e32 v4, v5, v6
	v_xor_b32_e32 v6, 4, v1
	ds_bpermute_b32 v5, v3, v4
	v_cmp_gt_i32_e32 vcc_lo, 32, v6
	v_cndmask_b32_e32 v6, v1, v6, vcc_lo
	s_waitcnt lgkmcnt(0)
	v_max_f32_e32 v7, v5, v5
	s_delay_alu instid0(VALU_DEP_1)
	v_dual_max_f32 v4, v4, v7 :: v_dual_lshlrev_b32 v5, 2, v6
	v_xor_b32_e32 v7, 2, v1
	ds_bpermute_b32 v6, v5, v4
	v_cmp_gt_i32_e32 vcc_lo, 32, v7
	s_waitcnt lgkmcnt(0)
	v_dual_cndmask_b32 v7, v1, v7 :: v_dual_max_f32 v6, v6, v6
	s_delay_alu instid0(VALU_DEP_1) | instskip(NEXT) | instid1(VALU_DEP_2)
	v_max_f32_e32 v4, v4, v6
	v_lshlrev_b32_e32 v10, 2, v7
	v_xor_b32_e32 v7, 1, v1
	s_delay_alu instid0(VALU_DEP_1)
	v_cmp_gt_i32_e32 vcc_lo, 32, v7
	v_cndmask_b32_e32 v7, v1, v7, vcc_lo
	ds_bpermute_b32 v6, v10, v4
	v_cmp_eq_u32_e32 vcc_lo, 0, v40
	s_waitcnt lgkmcnt(0)
	v_dual_max_f32 v6, v6, v6 :: v_dual_lshlrev_b32 v9, 2, v7
	s_delay_alu instid0(VALU_DEP_1)
	v_dual_max_f32 v1, v4, v6 :: v_dual_lshlrev_b32 v6, 2, v39
	ds_bpermute_b32 v4, v9, v1
	s_and_saveexec_b32 s0, vcc_lo
	s_cbranch_execz .LBB112_19
; %bb.18:
	s_waitcnt lgkmcnt(0)
	v_dual_max_f32 v4, v4, v4 :: v_dual_max_f32 v1, v1, v1
	s_delay_alu instid0(VALU_DEP_1)
	v_max_f32_e32 v1, v1, v4
	ds_store_b32 v6, v1 offset:160
.LBB112_19:
	s_or_b32 exec_lo, exec_lo, s0
	v_cmp_gt_u32_e64 s0, 4, v40
	v_mov_b32_e32 v1, 0xff7fffff
	s_waitcnt lgkmcnt(0)
	s_barrier
	buffer_gl0_inv
	s_and_saveexec_b32 s1, s0
	s_cbranch_execz .LBB112_21
; %bb.20:
	ds_load_b32 v1, v42 offset:160
.LBB112_21:
	s_or_b32 exec_lo, exec_lo, s1
	s_waitcnt lgkmcnt(0)
	ds_bpermute_b32 v4, v10, v1
	v_max_f32_e32 v1, v1, v1
	s_sub_i32 s1, s8, s7
	v_mov_b32_e32 v7, 0
	s_lshl_b32 s1, s1, 5
	s_delay_alu instid0(SALU_CYCLE_1) | instskip(NEXT) | instid1(SALU_CYCLE_1)
	s_add_i32 s1, s1, s37
	s_min_i32 s1, s1, s15
	s_delay_alu instid0(SALU_CYCLE_1) | instskip(NEXT) | instid1(SALU_CYCLE_1)
	s_sub_i32 s6, s1, s37
	v_cmp_gt_i32_e64 s1, s6, v0
	s_waitcnt lgkmcnt(0)
	v_max_f32_e32 v4, v4, v4
	s_delay_alu instid0(VALU_DEP_1) | instskip(SKIP_3) | instid1(VALU_DEP_1)
	v_max_f32_e32 v1, v1, v4
	ds_bpermute_b32 v4, v9, v1
	s_waitcnt lgkmcnt(0)
	v_max_f32_e32 v4, v4, v4
	v_max_f32_e32 v1, v1, v4
	v_lshl_add_u32 v4, v0, 2, 0xc0
	ds_bpermute_b32 v1, v7, v1
	s_and_saveexec_b32 s7, s1
	s_cbranch_execz .LBB112_25
; %bb.22:
	v_lshl_add_u32 v8, v0, 2, 0xc0
	v_mov_b32_e32 v7, 0
	v_mov_b32_e32 v11, v0
	s_mov_b32 s35, 0
	.p2align	6
.LBB112_23:                             ; =>This Inner Loop Header: Depth=1
	ds_load_b32 v12, v8
	v_add_nc_u32_e32 v11, 0x80, v11
	s_delay_alu instid0(VALU_DEP_1) | instskip(NEXT) | instid1(VALU_DEP_1)
	v_cmp_le_i32_e64 s3, s6, v11
	s_or_b32 s35, s3, s35
	s_waitcnt lgkmcnt(0)
	v_sub_f32_e32 v12, v12, v1
	s_delay_alu instid0(VALU_DEP_1) | instskip(NEXT) | instid1(VALU_DEP_1)
	v_mul_f32_e32 v12, 0x3fb8aa3b, v12
	v_exp_f32_e32 v12, v12
	ds_store_b32 v8, v12
	v_add_f32_e32 v7, v7, v12
	v_add_nc_u32_e32 v8, 0x200, v8
	s_and_not1_b32 exec_lo, exec_lo, s35
	s_cbranch_execnz .LBB112_23
; %bb.24:
	s_or_b32 exec_lo, exec_lo, s35
.LBB112_25:
	s_delay_alu instid0(SALU_CYCLE_1)
	s_or_b32 exec_lo, exec_lo, s7
	ds_bpermute_b32 v2, v2, v7
	s_waitcnt lgkmcnt(0)
	v_add_f32_e32 v2, v7, v2
	ds_bpermute_b32 v3, v3, v2
	s_waitcnt lgkmcnt(0)
	v_add_f32_e32 v2, v2, v3
	;; [unrolled: 3-line block ×5, first 2 shown]
	s_and_saveexec_b32 s3, vcc_lo
	s_cbranch_execz .LBB112_27
; %bb.26:
	ds_store_b32 v6, v2 offset:176
.LBB112_27:
	s_or_b32 exec_lo, exec_lo, s3
	s_waitcnt lgkmcnt(0)
	s_barrier
	buffer_gl0_inv
	s_and_saveexec_b32 s3, s0
	s_cbranch_execz .LBB112_29
; %bb.28:
	ds_load_b32 v2, v42 offset:176
.LBB112_29:
	s_or_b32 exec_lo, exec_lo, s3
	s_waitcnt lgkmcnt(0)
	ds_bpermute_b32 v3, v10, v2
	s_waitcnt lgkmcnt(0)
	v_add_f32_e32 v2, v2, v3
	ds_bpermute_b32 v3, v9, v2
	s_waitcnt lgkmcnt(0)
	v_dual_add_f32 v2, v2, v3 :: v_dual_mov_b32 v3, 0
	ds_bpermute_b32 v2, v3, v2
	s_and_saveexec_b32 s0, s1
	s_cbranch_execz .LBB112_32
; %bb.30:
	s_waitcnt lgkmcnt(0)
	v_add_f32_e32 v3, 0x358637bd, v2
	s_mov_b32 s1, 0
	s_delay_alu instid0(VALU_DEP_1) | instskip(SKIP_1) | instid1(VALU_DEP_2)
	v_div_scale_f32 v5, null, v3, v3, 1.0
	v_div_scale_f32 v8, vcc_lo, 1.0, v3, 1.0
	v_rcp_f32_e32 v6, v5
	s_waitcnt_depctr 0xfff
	v_fma_f32 v7, -v5, v6, 1.0
	s_delay_alu instid0(VALU_DEP_1) | instskip(NEXT) | instid1(VALU_DEP_1)
	v_fmac_f32_e32 v6, v7, v6
	v_mul_f32_e32 v7, v8, v6
	s_delay_alu instid0(VALU_DEP_1) | instskip(NEXT) | instid1(VALU_DEP_1)
	v_fma_f32 v11, -v5, v7, v8
	v_fmac_f32_e32 v7, v11, v6
	s_delay_alu instid0(VALU_DEP_1) | instskip(NEXT) | instid1(VALU_DEP_1)
	v_fma_f32 v5, -v5, v7, v8
	v_div_fmas_f32 v5, v5, v6, v7
	s_delay_alu instid0(VALU_DEP_1)
	v_div_fixup_f32 v3, v5, v3, 1.0
	v_mov_b32_e32 v5, v0
.LBB112_31:                             ; =>This Inner Loop Header: Depth=1
	ds_load_b32 v6, v4
	s_waitcnt lgkmcnt(0)
	v_dual_mul_f32 v6, v3, v6 :: v_dual_add_nc_u32 v5, 0x80, v5
	s_delay_alu instid0(VALU_DEP_1) | instskip(SKIP_3) | instid1(SALU_CYCLE_1)
	v_cmp_le_i32_e32 vcc_lo, s6, v5
	ds_store_b32 v4, v6
	v_add_nc_u32_e32 v4, 0x200, v4
	s_or_b32 s1, vcc_lo, s1
	s_and_not1_b32 exec_lo, exec_lo, s1
	s_cbranch_execnz .LBB112_31
.LBB112_32:
	s_or_b32 exec_lo, exec_lo, s0
	s_mul_i32 s0, s4, s14
	s_waitcnt lgkmcnt(0)
	s_mul_i32 s6, s0, s13
	s_mov_b32 s0, exec_lo
	s_barrier
	buffer_gl0_inv
	v_cmpx_eq_u32_e32 0, v0
	s_cbranch_execz .LBB112_34
; %bb.33:
	s_ashr_i32 s7, s6, 31
	s_mul_i32 s42, s4, s24
	s_lshl_b64 s[40:41], s[6:7], 2
	v_mov_b32_e32 v3, 0
	s_add_u32 s1, s18, s40
	s_addc_u32 s3, s19, s41
	s_ashr_i32 s43, s42, 31
	s_delay_alu instid0(SALU_CYCLE_1) | instskip(NEXT) | instid1(SALU_CYCLE_1)
	s_lshl_b64 s[18:19], s[42:43], 2
	s_add_u32 s1, s1, s18
	s_addc_u32 s3, s3, s19
	s_ashr_i32 s13, s12, 31
	s_delay_alu instid0(SALU_CYCLE_1) | instskip(NEXT) | instid1(SALU_CYCLE_1)
	s_lshl_b64 s[42:43], s[12:13], 2
	s_add_u32 s44, s1, s42
	s_addc_u32 s45, s3, s43
	s_add_u32 s1, s16, s40
	s_addc_u32 s3, s17, s41
	;; [unrolled: 2-line block ×4, first 2 shown]
	s_clause 0x1
	global_store_b32 v3, v1, s[44:45]
	global_store_b32 v3, v2, s[16:17]
.LBB112_34:
	s_or_b32 exec_lo, exec_lo, s0
	v_dual_mov_b32 v21, 0 :: v_dual_mov_b32 v20, 0
	v_dual_mov_b32 v18, 0 :: v_dual_and_b32 v11, 3, v0
	v_dual_mov_b32 v19, 0 :: v_dual_mov_b32 v16, 0
	v_dual_mov_b32 v17, 0 :: v_dual_mov_b32 v14, 0
	;; [unrolled: 1-line block ×3, first 2 shown]
	v_mov_b32_e32 v13, 0
	s_mov_b32 s3, 0
	s_and_saveexec_b32 s1, s2
	s_cbranch_execz .LBB112_60
; %bb.35:
	s_ashr_i32 s35, s34, 31
	s_sub_i32 s2, s38, s9
	s_lshl_b64 s[16:17], s[34:35], 1
	v_dual_mov_b32 v12, 0 :: v_dual_lshlrev_b32 v3, 3, v0
	s_add_u32 s7, s30, s16
	s_addc_u32 s9, s31, s17
	s_abs_i32 s10, s10
	v_dual_mov_b32 v14, 0 :: v_dual_lshlrev_b32 v5, 5, v11
	v_cvt_f32_u32_e32 v1, s10
	s_sub_i32 s0, 0, s10
	v_and_b32_e32 v22, 24, v3
	v_and_b32_e32 v3, 0xf8, v3
	v_lshl_or_b32 v5, v39, 7, v5
	v_rcp_iflag_f32_e32 v4, v1
	v_mov_b32_e32 v15, 0
	v_lshlrev_b64 v[1:2], 2, v[33:34]
	s_lshl_b64 s[18:19], s[28:29], 2
	s_add_i32 s36, s36, -1
	v_or_b32_e32 v7, 0x800, v3
	v_or_b32_e32 v8, 0x900, v3
	v_add_nc_u32_e32 v23, 0xc0, v5
	v_dual_mov_b32 v13, 0 :: v_dual_mov_b32 v16, 0
	s_delay_alu instid0(TRANS32_DEP_1) | instskip(SKIP_2) | instid1(VALU_DEP_3)
	v_dual_mul_f32 v4, 0x4f7ffffe, v4 :: v_dual_mov_b32 v17, 0
	v_dual_mov_b32 v18, 0 :: v_dual_mov_b32 v19, 0
	v_mov_b32_e32 v20, 0
	v_cvt_u32_f32_e32 v4, v4
	v_lshlrev_b32_e32 v24, 1, v3
	v_lshlrev_b32_e32 v25, 1, v7
	;; [unrolled: 1-line block ×3, first 2 shown]
	s_mov_b32 s13, s15
	v_mul_lo_u32 v6, s0, v4
	s_add_u32 s0, s26, s18
	s_addc_u32 s18, s27, s19
	v_add_co_u32 v5, vcc_lo, s0, v1
	s_mov_b32 s14, s15
	s_mov_b32 s16, s15
	;; [unrolled: 1-line block ×3, first 2 shown]
	s_delay_alu instid0(VALU_DEP_2) | instskip(SKIP_4) | instid1(VALU_DEP_2)
	v_mul_hi_u32 v21, v4, v6
	v_add_co_ci_u32_e32 v6, vcc_lo, s18, v2, vcc_lo
	s_mov_b32 s18, s15
	s_mov_b32 s19, s15
	;; [unrolled: 1-line block ×3, first 2 shown]
	v_add_nc_u32_e32 v27, v4, v21
	v_mov_b32_e32 v21, 0
	s_branch .LBB112_38
.LBB112_36:                             ;   in Loop: Header=BB112_38 Depth=1
	s_or_b32 exec_lo, exec_lo, s0
	s_waitcnt vmcnt(0)
	;;#ASMSTART
	v_pk_mul_f16 v1, v45, v1;

	;;#ASMEND
	v_dual_add_f32 v28, v46, v47 :: v_dual_add_f32 v7, v7, v8
	v_dual_add_f32 v8, v58, v59 :: v_dual_add_f32 v29, v56, v57
	;;#ASMSTART
	v_pk_mul_f16 v2, v44, v2;

	;;#ASMEND
	;;#ASMSTART
	v_pk_mul_f16 v3, v43, v3;

	;;#ASMEND
	;; [unrolled: 4-line block ×3, first 2 shown]
	;;#ASMSTART
	v_pk_add_f16 v1, v1, v2;

	;;#ASMEND
	;;#ASMSTART
	v_pk_add_f16 v1, v1, v3;

	;;#ASMEND
	;; [unrolled: 4-line block ×3, first 2 shown]
	v_dual_add_f32 v3, v50, v51 :: v_dual_and_b32 v2, 0xffff, v1
	v_lshrrev_b32_e32 v1, 16, v1
	;;#ASMSTART
	v_cvt_f32_f16 v2, v2;
	;;#ASMEND
	;;#ASMSTART
	v_cvt_f32_f16 v1, v1;
	;;#ASMEND
	v_dual_add_f32 v30, v54, v55 :: v_dual_add_f32 v13, v13, v28
	v_dual_add_f32 v14, v14, v7 :: v_dual_add_f32 v15, v15, v8
	v_add_f32_e32 v7, v52, v53
	v_dual_add_f32 v4, v48, v49 :: v_dual_add_f32 v19, v19, v3
	v_dual_add_f32 v8, v36, v38 :: v_dual_add_f32 v1, v2, v1
	;; [unrolled: 1-line block ×3, first 2 shown]
	s_delay_alu instid0(VALU_DEP_2) | instskip(NEXT) | instid1(VALU_DEP_4)
	v_dual_add_f32 v18, v18, v7 :: v_dual_add_f32 v21, v21, v8
	v_add_f32_e32 v20, v20, v4
	s_delay_alu instid0(VALU_DEP_4)
	v_add_f32_e32 v12, v12, v1
.LBB112_37:                             ;   in Loop: Header=BB112_38 Depth=1
	s_or_b32 exec_lo, exec_lo, s26
	v_add_nc_u32_e32 v33, 4, v33
	v_add_co_u32 v5, s0, v5, 16
	s_delay_alu instid0(VALU_DEP_1) | instskip(NEXT) | instid1(VALU_DEP_3)
	v_add_co_ci_u32_e64 v6, s0, 0, v6, s0
	v_cmp_le_i32_e32 vcc_lo, s8, v33
	v_add_nc_u32_e32 v41, 0x80, v41
	v_add_nc_u32_e32 v23, 0x200, v23
	s_or_b32 s3, vcc_lo, s3
	s_delay_alu instid0(SALU_CYCLE_1)
	s_and_not1_b32 exec_lo, exec_lo, s3
	s_cbranch_execz .LBB112_59
.LBB112_38:                             ; =>This Inner Loop Header: Depth=1
	v_sub_nc_u32_e32 v1, 0, v41
	s_delay_alu instid0(VALU_DEP_1) | instskip(NEXT) | instid1(VALU_DEP_1)
	v_max_i32_e32 v1, v41, v1
	v_mul_hi_u32 v2, v1, s25
	s_delay_alu instid0(VALU_DEP_1) | instskip(NEXT) | instid1(VALU_DEP_1)
	v_mul_lo_u32 v3, v2, s21
	v_sub_nc_u32_e32 v1, v1, v3
	v_add_nc_u32_e32 v3, 1, v2
	s_delay_alu instid0(VALU_DEP_2) | instskip(SKIP_1) | instid1(VALU_DEP_2)
	v_subrev_nc_u32_e32 v4, s21, v1
	v_cmp_le_u32_e32 vcc_lo, s21, v1
	v_dual_cndmask_b32 v2, v2, v3 :: v_dual_cndmask_b32 v1, v1, v4
	v_ashrrev_i32_e32 v3, 31, v41
	s_delay_alu instid0(VALU_DEP_2) | instskip(NEXT) | instid1(VALU_DEP_3)
	v_add_nc_u32_e32 v4, 1, v2
	v_cmp_le_u32_e32 vcc_lo, s21, v1
	s_delay_alu instid0(VALU_DEP_3) | instskip(NEXT) | instid1(VALU_DEP_3)
	v_xor_b32_e32 v3, s11, v3
	v_cndmask_b32_e32 v1, v2, v4, vcc_lo
	s_delay_alu instid0(VALU_DEP_1) | instskip(NEXT) | instid1(VALU_DEP_1)
	v_xor_b32_e32 v1, v1, v3
	v_sub_nc_u32_e32 v1, v1, v3
	s_delay_alu instid0(VALU_DEP_1) | instskip(SKIP_1) | instid1(VALU_DEP_2)
	v_add_nc_u32_e32 v2, s33, v1
	v_cmp_lt_i32_e64 s0, s2, v1
	v_sub_nc_u32_e32 v3, 0, v2
	s_delay_alu instid0(VALU_DEP_1) | instskip(NEXT) | instid1(VALU_DEP_1)
	v_max_i32_e32 v3, v2, v3
	v_mul_hi_u32 v4, v3, v27
	s_delay_alu instid0(VALU_DEP_1) | instskip(NEXT) | instid1(VALU_DEP_1)
	v_mul_lo_u32 v4, v4, s10
	v_sub_nc_u32_e32 v3, v3, v4
	s_delay_alu instid0(VALU_DEP_1) | instskip(SKIP_1) | instid1(VALU_DEP_2)
	v_subrev_nc_u32_e32 v4, s10, v3
	v_cmp_le_u32_e32 vcc_lo, s10, v3
	v_cndmask_b32_e32 v3, v3, v4, vcc_lo
	v_ashrrev_i32_e32 v2, 31, v2
	s_delay_alu instid0(VALU_DEP_2) | instskip(SKIP_1) | instid1(VALU_DEP_2)
	v_subrev_nc_u32_e32 v4, s10, v3
	v_cmp_le_u32_e32 vcc_lo, s10, v3
	v_cndmask_b32_e32 v3, v3, v4, vcc_lo
	s_delay_alu instid0(VALU_DEP_1) | instskip(NEXT) | instid1(VALU_DEP_1)
	v_xor_b32_e32 v3, v3, v2
	v_sub_nc_u32_e32 v2, v3, v2
	s_delay_alu instid0(VALU_DEP_1) | instskip(SKIP_1) | instid1(SALU_CYCLE_1)
	v_cmp_eq_u32_e32 vcc_lo, 0, v2
	s_or_b32 s0, vcc_lo, s0
	s_and_saveexec_b32 s26, s0
	s_cbranch_execz .LBB112_37
; %bb.39:                               ;   in Loop: Header=BB112_38 Depth=1
	global_load_b32 v28, v[5:6], off
	ds_load_2addr_b64 v[1:4], v23 offset1:1
	s_waitcnt vmcnt(0)
	v_mad_i64_i32 v[7:8], null, v28, s5, 0
	ds_load_2addr_b64 v[28:31], v23 offset0:2 offset1:3
	s_waitcnt lgkmcnt(1)
	;;#ASMSTART
	v_cvt_f16_f32 v38, v1;

	;;#ASMEND
	;;#ASMSTART
	v_cvt_f16_f32 v36, v2;

	;;#ASMEND
	;; [unrolled: 4-line block ×4, first 2 shown]
	s_waitcnt lgkmcnt(0)
	;;#ASMSTART
	v_cvt_f16_f32 v44, v28;

	;;#ASMEND
	v_lshlrev_b64 v[7:8], 1, v[7:8]
	;;#ASMSTART
	v_cvt_f16_f32 v48, v29;

	;;#ASMEND
	;;#ASMSTART
	v_cvt_f16_f32 v45, v30;

	;;#ASMEND
	;; [unrolled: 4-line block ×3, first 2 shown]
	v_add_nc_u32_e32 v28, v22, v41
	s_delay_alu instid0(VALU_DEP_2) | instskip(SKIP_1) | instid1(VALU_DEP_3)
	v_add_co_u32 v46, vcc_lo, s7, v7
	v_add_co_ci_u32_e32 v47, vcc_lo, s9, v8, vcc_lo
	v_add_nc_u32_e32 v29, 1, v28
	s_delay_alu instid0(VALU_DEP_3) | instskip(NEXT) | instid1(VALU_DEP_3)
	v_add_co_u32 v7, vcc_lo, v46, v24
	v_add_co_ci_u32_e32 v8, vcc_lo, 0, v47, vcc_lo
	v_cmp_eq_u32_e32 vcc_lo, s36, v33
	v_or_b32_e32 v31, 3, v28
	v_or_b32_e32 v30, 2, v28
	global_load_b128 v[1:4], v[7:8], off
	v_or_b32_e32 v34, 5, v28
	v_or_b32_e32 v32, 4, v28
	;; [unrolled: 1-line block ×4, first 2 shown]
	s_and_saveexec_b32 s27, vcc_lo
	s_cbranch_execz .LBB112_41
; %bb.40:                               ;   in Loop: Header=BB112_38 Depth=1
	s_delay_alu instid0(VALU_DEP_1)
	v_cmp_gt_i32_e64 s0, s19, v42
	s_waitcnt vmcnt(0)
	v_lshrrev_b32_e32 v50, 16, v4
	v_lshrrev_b32_e32 v51, 16, v3
	v_lshrrev_b32_e32 v52, 16, v2
	v_lshrrev_b32_e32 v53, 16, v1
	v_cndmask_b32_e64 v4, 0, v4, s0
	v_cmp_gt_i32_e64 s0, s24, v35
	s_delay_alu instid0(VALU_DEP_1) | instskip(SKIP_1) | instid1(VALU_DEP_2)
	v_cndmask_b32_e64 v50, 0, v50, s0
	v_cmp_gt_i32_e64 s0, s18, v34
	v_perm_b32 v4, v50, v4, 0x5040100
	s_delay_alu instid0(VALU_DEP_2) | instskip(SKIP_1) | instid1(VALU_DEP_1)
	v_cndmask_b32_e64 v51, 0, v51, s0
	v_cmp_gt_i32_e64 s0, s17, v32
	v_cndmask_b32_e64 v3, 0, v3, s0
	v_cmp_gt_i32_e64 s0, s16, v31
	s_delay_alu instid0(VALU_DEP_2) | instskip(NEXT) | instid1(VALU_DEP_2)
	v_perm_b32 v3, v51, v3, 0x5040100
	v_cndmask_b32_e64 v52, 0, v52, s0
	v_cmp_gt_i32_e64 s0, s14, v30
	s_delay_alu instid0(VALU_DEP_1) | instskip(SKIP_1) | instid1(VALU_DEP_2)
	v_cndmask_b32_e64 v2, 0, v2, s0
	v_cmp_gt_i32_e64 s0, s13, v29
	v_perm_b32 v2, v52, v2, 0x5040100
	s_delay_alu instid0(VALU_DEP_2) | instskip(SKIP_1) | instid1(VALU_DEP_1)
	v_cndmask_b32_e64 v53, 0, v53, s0
	v_cmp_gt_i32_e64 s0, s15, v28
	v_cndmask_b32_e64 v1, 0, v1, s0
	s_delay_alu instid0(VALU_DEP_1)
	v_perm_b32 v1, v53, v1, 0x5040100
.LBB112_41:                             ;   in Loop: Header=BB112_38 Depth=1
	s_or_b32 exec_lo, exec_lo, s27
	v_and_b32_e32 v38, 0xffff, v38
	v_and_b32_e32 v43, 0xffff, v43
	;; [unrolled: 1-line block ×4, first 2 shown]
	s_delay_alu instid0(VALU_DEP_4)
	v_lshl_or_b32 v45, v36, 16, v38
	s_waitcnt vmcnt(0)
	;;#ASMSTART
	v_pk_mul_f16 v1, v45, v1;

	;;#ASMEND
	v_lshl_or_b32 v44, v37, 16, v43
	v_lshl_or_b32 v43, v48, 16, v50
	;; [unrolled: 1-line block ×3, first 2 shown]
	;;#ASMSTART
	v_pk_mul_f16 v2, v44, v2;

	;;#ASMEND
	;;#ASMSTART
	v_pk_mul_f16 v3, v43, v3;

	;;#ASMEND
	;;#ASMSTART
	v_pk_mul_f16 v4, v37, v4;

	;;#ASMEND
	;;#ASMSTART
	v_pk_add_f16 v1, v1, v2;

	;;#ASMEND
	;;#ASMSTART
	v_pk_add_f16 v1, v1, v3;

	;;#ASMEND
	;; [unrolled: 4-line block ×3, first 2 shown]
	v_and_b32_e32 v2, 0xffff, v1
	v_lshrrev_b32_e32 v1, 16, v1
	;;#ASMSTART
	v_cvt_f32_f16 v36, v2;
	;;#ASMEND
	;;#ASMSTART
	v_cvt_f32_f16 v38, v1;
	;;#ASMEND
	global_load_b128 v[1:4], v[7:8], off offset:512
	s_and_saveexec_b32 s27, vcc_lo
	s_cbranch_execz .LBB112_43
; %bb.42:                               ;   in Loop: Header=BB112_38 Depth=1
	v_cmp_gt_i32_e64 s0, s19, v42
	s_waitcnt vmcnt(0)
	v_lshrrev_b32_e32 v48, 16, v4
	v_lshrrev_b32_e32 v49, 16, v3
	;; [unrolled: 1-line block ×4, first 2 shown]
	v_cndmask_b32_e64 v4, 0, v4, s0
	v_cmp_gt_i32_e64 s0, s24, v35
	s_delay_alu instid0(VALU_DEP_1) | instskip(SKIP_1) | instid1(VALU_DEP_2)
	v_cndmask_b32_e64 v48, 0, v48, s0
	v_cmp_gt_i32_e64 s0, s18, v34
	v_perm_b32 v4, v48, v4, 0x5040100
	s_delay_alu instid0(VALU_DEP_2) | instskip(SKIP_1) | instid1(VALU_DEP_1)
	v_cndmask_b32_e64 v49, 0, v49, s0
	v_cmp_gt_i32_e64 s0, s17, v32
	v_cndmask_b32_e64 v3, 0, v3, s0
	v_cmp_gt_i32_e64 s0, s16, v31
	s_delay_alu instid0(VALU_DEP_2) | instskip(NEXT) | instid1(VALU_DEP_2)
	v_perm_b32 v3, v49, v3, 0x5040100
	v_cndmask_b32_e64 v50, 0, v50, s0
	v_cmp_gt_i32_e64 s0, s14, v30
	s_delay_alu instid0(VALU_DEP_1) | instskip(SKIP_1) | instid1(VALU_DEP_2)
	v_cndmask_b32_e64 v2, 0, v2, s0
	v_cmp_gt_i32_e64 s0, s13, v29
	v_perm_b32 v2, v50, v2, 0x5040100
	s_delay_alu instid0(VALU_DEP_2) | instskip(SKIP_1) | instid1(VALU_DEP_1)
	v_cndmask_b32_e64 v51, 0, v51, s0
	v_cmp_gt_i32_e64 s0, s15, v28
	v_cndmask_b32_e64 v1, 0, v1, s0
	s_delay_alu instid0(VALU_DEP_1)
	v_perm_b32 v1, v51, v1, 0x5040100
.LBB112_43:                             ;   in Loop: Header=BB112_38 Depth=1
	s_or_b32 exec_lo, exec_lo, s27
	s_waitcnt vmcnt(0)
	;;#ASMSTART
	v_pk_mul_f16 v1, v45, v1;

	;;#ASMEND
	;;#ASMSTART
	v_pk_mul_f16 v2, v44, v2;

	;;#ASMEND
	;;#ASMSTART
	v_pk_mul_f16 v3, v43, v3;

	;;#ASMEND
	;;#ASMSTART
	v_pk_mul_f16 v4, v37, v4;

	;;#ASMEND
	;;#ASMSTART
	v_pk_add_f16 v1, v1, v2;

	;;#ASMEND
	;;#ASMSTART
	v_pk_add_f16 v1, v1, v3;

	;;#ASMEND
	;; [unrolled: 4-line block ×3, first 2 shown]
	v_and_b32_e32 v2, 0xffff, v1
	v_lshrrev_b32_e32 v1, 16, v1
	;;#ASMSTART
	v_cvt_f32_f16 v48, v2;
	;;#ASMEND
	;;#ASMSTART
	v_cvt_f32_f16 v49, v1;
	;;#ASMEND
	global_load_b128 v[1:4], v[7:8], off offset:1024
	s_and_saveexec_b32 s27, vcc_lo
	s_cbranch_execz .LBB112_45
; %bb.44:                               ;   in Loop: Header=BB112_38 Depth=1
	v_cmp_gt_i32_e64 s0, s19, v42
	s_waitcnt vmcnt(0)
	v_lshrrev_b32_e32 v50, 16, v4
	v_lshrrev_b32_e32 v51, 16, v3
	;; [unrolled: 1-line block ×4, first 2 shown]
	v_cndmask_b32_e64 v4, 0, v4, s0
	v_cmp_gt_i32_e64 s0, s24, v35
	s_delay_alu instid0(VALU_DEP_1) | instskip(SKIP_1) | instid1(VALU_DEP_2)
	v_cndmask_b32_e64 v50, 0, v50, s0
	v_cmp_gt_i32_e64 s0, s18, v34
	v_perm_b32 v4, v50, v4, 0x5040100
	s_delay_alu instid0(VALU_DEP_2) | instskip(SKIP_1) | instid1(VALU_DEP_1)
	v_cndmask_b32_e64 v51, 0, v51, s0
	v_cmp_gt_i32_e64 s0, s17, v32
	v_cndmask_b32_e64 v3, 0, v3, s0
	v_cmp_gt_i32_e64 s0, s16, v31
	s_delay_alu instid0(VALU_DEP_2) | instskip(NEXT) | instid1(VALU_DEP_2)
	v_perm_b32 v3, v51, v3, 0x5040100
	v_cndmask_b32_e64 v52, 0, v52, s0
	v_cmp_gt_i32_e64 s0, s14, v30
	s_delay_alu instid0(VALU_DEP_1) | instskip(SKIP_1) | instid1(VALU_DEP_2)
	v_cndmask_b32_e64 v2, 0, v2, s0
	v_cmp_gt_i32_e64 s0, s13, v29
	v_perm_b32 v2, v52, v2, 0x5040100
	s_delay_alu instid0(VALU_DEP_2) | instskip(SKIP_1) | instid1(VALU_DEP_1)
	v_cndmask_b32_e64 v53, 0, v53, s0
	v_cmp_gt_i32_e64 s0, s15, v28
	v_cndmask_b32_e64 v1, 0, v1, s0
	s_delay_alu instid0(VALU_DEP_1)
	v_perm_b32 v1, v53, v1, 0x5040100
.LBB112_45:                             ;   in Loop: Header=BB112_38 Depth=1
	s_or_b32 exec_lo, exec_lo, s27
	s_waitcnt vmcnt(0)
	;;#ASMSTART
	v_pk_mul_f16 v1, v45, v1;

	;;#ASMEND
	;;#ASMSTART
	v_pk_mul_f16 v2, v44, v2;

	;;#ASMEND
	;; [unrolled: 4-line block ×4, first 2 shown]
	;;#ASMSTART
	v_pk_add_f16 v1, v1, v2;

	;;#ASMEND
	;;#ASMSTART
	v_pk_add_f16 v1, v1, v3;

	;;#ASMEND
	;; [unrolled: 4-line block ×3, first 2 shown]
	v_and_b32_e32 v2, 0xffff, v1
	v_lshrrev_b32_e32 v1, 16, v1
	;;#ASMSTART
	v_cvt_f32_f16 v50, v2;
	;;#ASMEND
	;;#ASMSTART
	v_cvt_f32_f16 v51, v1;
	;;#ASMEND
	global_load_b128 v[1:4], v[7:8], off offset:1536
	s_and_saveexec_b32 s27, vcc_lo
	s_cbranch_execz .LBB112_47
; %bb.46:                               ;   in Loop: Header=BB112_38 Depth=1
	v_cmp_gt_i32_e64 s0, s19, v42
	s_waitcnt vmcnt(0)
	v_lshrrev_b32_e32 v52, 16, v4
	v_lshrrev_b32_e32 v53, 16, v3
	;; [unrolled: 1-line block ×4, first 2 shown]
	v_cndmask_b32_e64 v4, 0, v4, s0
	v_cmp_gt_i32_e64 s0, s24, v35
	s_delay_alu instid0(VALU_DEP_1) | instskip(SKIP_1) | instid1(VALU_DEP_2)
	v_cndmask_b32_e64 v52, 0, v52, s0
	v_cmp_gt_i32_e64 s0, s18, v34
	v_perm_b32 v4, v52, v4, 0x5040100
	s_delay_alu instid0(VALU_DEP_2) | instskip(SKIP_1) | instid1(VALU_DEP_1)
	v_cndmask_b32_e64 v53, 0, v53, s0
	v_cmp_gt_i32_e64 s0, s17, v32
	v_cndmask_b32_e64 v3, 0, v3, s0
	v_cmp_gt_i32_e64 s0, s16, v31
	s_delay_alu instid0(VALU_DEP_2) | instskip(NEXT) | instid1(VALU_DEP_2)
	v_perm_b32 v3, v53, v3, 0x5040100
	v_cndmask_b32_e64 v54, 0, v54, s0
	v_cmp_gt_i32_e64 s0, s14, v30
	s_delay_alu instid0(VALU_DEP_1) | instskip(SKIP_1) | instid1(VALU_DEP_2)
	v_cndmask_b32_e64 v2, 0, v2, s0
	v_cmp_gt_i32_e64 s0, s13, v29
	v_perm_b32 v2, v54, v2, 0x5040100
	s_delay_alu instid0(VALU_DEP_2) | instskip(SKIP_1) | instid1(VALU_DEP_1)
	v_cndmask_b32_e64 v55, 0, v55, s0
	v_cmp_gt_i32_e64 s0, s15, v28
	v_cndmask_b32_e64 v1, 0, v1, s0
	s_delay_alu instid0(VALU_DEP_1)
	v_perm_b32 v1, v55, v1, 0x5040100
.LBB112_47:                             ;   in Loop: Header=BB112_38 Depth=1
	s_or_b32 exec_lo, exec_lo, s27
	s_waitcnt vmcnt(0)
	;;#ASMSTART
	v_pk_mul_f16 v1, v45, v1;

	;;#ASMEND
	;;#ASMSTART
	v_pk_mul_f16 v2, v44, v2;

	;;#ASMEND
	;;#ASMSTART
	v_pk_mul_f16 v3, v43, v3;

	;;#ASMEND
	;;#ASMSTART
	v_pk_mul_f16 v4, v37, v4;

	;;#ASMEND
	;;#ASMSTART
	v_pk_add_f16 v1, v1, v2;

	;;#ASMEND
	;;#ASMSTART
	v_pk_add_f16 v1, v1, v3;

	;;#ASMEND
	;; [unrolled: 4-line block ×3, first 2 shown]
	v_and_b32_e32 v2, 0xffff, v1
	v_lshrrev_b32_e32 v1, 16, v1
	;;#ASMSTART
	v_cvt_f32_f16 v52, v2;
	;;#ASMEND
	;;#ASMSTART
	v_cvt_f32_f16 v53, v1;
	;;#ASMEND
	global_load_b128 v[1:4], v[7:8], off offset:2048
	s_and_saveexec_b32 s27, vcc_lo
	s_cbranch_execz .LBB112_49
; %bb.48:                               ;   in Loop: Header=BB112_38 Depth=1
	v_cmp_gt_i32_e64 s0, s19, v42
	s_waitcnt vmcnt(0)
	v_lshrrev_b32_e32 v54, 16, v4
	v_lshrrev_b32_e32 v55, 16, v3
	v_lshrrev_b32_e32 v56, 16, v2
	v_lshrrev_b32_e32 v57, 16, v1
	v_cndmask_b32_e64 v4, 0, v4, s0
	v_cmp_gt_i32_e64 s0, s24, v35
	s_delay_alu instid0(VALU_DEP_1) | instskip(SKIP_1) | instid1(VALU_DEP_2)
	v_cndmask_b32_e64 v54, 0, v54, s0
	v_cmp_gt_i32_e64 s0, s18, v34
	v_perm_b32 v4, v54, v4, 0x5040100
	s_delay_alu instid0(VALU_DEP_2) | instskip(SKIP_1) | instid1(VALU_DEP_1)
	v_cndmask_b32_e64 v55, 0, v55, s0
	v_cmp_gt_i32_e64 s0, s17, v32
	v_cndmask_b32_e64 v3, 0, v3, s0
	v_cmp_gt_i32_e64 s0, s16, v31
	s_delay_alu instid0(VALU_DEP_2) | instskip(NEXT) | instid1(VALU_DEP_2)
	v_perm_b32 v3, v55, v3, 0x5040100
	v_cndmask_b32_e64 v56, 0, v56, s0
	v_cmp_gt_i32_e64 s0, s14, v30
	s_delay_alu instid0(VALU_DEP_1) | instskip(SKIP_1) | instid1(VALU_DEP_2)
	v_cndmask_b32_e64 v2, 0, v2, s0
	v_cmp_gt_i32_e64 s0, s13, v29
	v_perm_b32 v2, v56, v2, 0x5040100
	s_delay_alu instid0(VALU_DEP_2) | instskip(SKIP_1) | instid1(VALU_DEP_1)
	v_cndmask_b32_e64 v57, 0, v57, s0
	v_cmp_gt_i32_e64 s0, s15, v28
	v_cndmask_b32_e64 v1, 0, v1, s0
	s_delay_alu instid0(VALU_DEP_1)
	v_perm_b32 v1, v57, v1, 0x5040100
.LBB112_49:                             ;   in Loop: Header=BB112_38 Depth=1
	s_or_b32 exec_lo, exec_lo, s27
	s_waitcnt vmcnt(0)
	;;#ASMSTART
	v_pk_mul_f16 v1, v45, v1;

	;;#ASMEND
	;;#ASMSTART
	v_pk_mul_f16 v2, v44, v2;

	;;#ASMEND
	;; [unrolled: 4-line block ×4, first 2 shown]
	;;#ASMSTART
	v_pk_add_f16 v1, v1, v2;

	;;#ASMEND
	;;#ASMSTART
	v_pk_add_f16 v1, v1, v3;

	;;#ASMEND
	;; [unrolled: 4-line block ×3, first 2 shown]
	v_and_b32_e32 v2, 0xffff, v1
	v_lshrrev_b32_e32 v1, 16, v1
	;;#ASMSTART
	v_cvt_f32_f16 v54, v2;
	;;#ASMEND
	;;#ASMSTART
	v_cvt_f32_f16 v55, v1;
	;;#ASMEND
	global_load_b128 v[1:4], v[7:8], off offset:2560
	s_and_saveexec_b32 s27, vcc_lo
	s_cbranch_execz .LBB112_51
; %bb.50:                               ;   in Loop: Header=BB112_38 Depth=1
	v_cmp_gt_i32_e64 s0, s19, v42
	s_waitcnt vmcnt(0)
	v_lshrrev_b32_e32 v56, 16, v4
	v_lshrrev_b32_e32 v57, 16, v3
	;; [unrolled: 1-line block ×4, first 2 shown]
	v_cndmask_b32_e64 v4, 0, v4, s0
	v_cmp_gt_i32_e64 s0, s24, v35
	s_delay_alu instid0(VALU_DEP_1) | instskip(SKIP_1) | instid1(VALU_DEP_2)
	v_cndmask_b32_e64 v56, 0, v56, s0
	v_cmp_gt_i32_e64 s0, s18, v34
	v_perm_b32 v4, v56, v4, 0x5040100
	s_delay_alu instid0(VALU_DEP_2) | instskip(SKIP_1) | instid1(VALU_DEP_1)
	v_cndmask_b32_e64 v57, 0, v57, s0
	v_cmp_gt_i32_e64 s0, s17, v32
	v_cndmask_b32_e64 v3, 0, v3, s0
	v_cmp_gt_i32_e64 s0, s16, v31
	s_delay_alu instid0(VALU_DEP_2) | instskip(NEXT) | instid1(VALU_DEP_2)
	v_perm_b32 v3, v57, v3, 0x5040100
	v_cndmask_b32_e64 v58, 0, v58, s0
	v_cmp_gt_i32_e64 s0, s14, v30
	s_delay_alu instid0(VALU_DEP_1) | instskip(SKIP_1) | instid1(VALU_DEP_2)
	v_cndmask_b32_e64 v2, 0, v2, s0
	v_cmp_gt_i32_e64 s0, s13, v29
	v_perm_b32 v2, v58, v2, 0x5040100
	s_delay_alu instid0(VALU_DEP_2) | instskip(SKIP_1) | instid1(VALU_DEP_1)
	v_cndmask_b32_e64 v59, 0, v59, s0
	v_cmp_gt_i32_e64 s0, s15, v28
	v_cndmask_b32_e64 v1, 0, v1, s0
	s_delay_alu instid0(VALU_DEP_1)
	v_perm_b32 v1, v59, v1, 0x5040100
.LBB112_51:                             ;   in Loop: Header=BB112_38 Depth=1
	s_or_b32 exec_lo, exec_lo, s27
	s_waitcnt vmcnt(0)
	;;#ASMSTART
	v_pk_mul_f16 v1, v45, v1;

	;;#ASMEND
	;;#ASMSTART
	v_pk_mul_f16 v2, v44, v2;

	;;#ASMEND
	;; [unrolled: 4-line block ×4, first 2 shown]
	;;#ASMSTART
	v_pk_add_f16 v1, v1, v2;

	;;#ASMEND
	;;#ASMSTART
	v_pk_add_f16 v1, v1, v3;

	;;#ASMEND
	;; [unrolled: 4-line block ×3, first 2 shown]
	v_and_b32_e32 v2, 0xffff, v1
	v_lshrrev_b32_e32 v1, 16, v1
	;;#ASMSTART
	v_cvt_f32_f16 v56, v2;
	;;#ASMEND
	;;#ASMSTART
	v_cvt_f32_f16 v57, v1;
	;;#ASMEND
	global_load_b128 v[1:4], v[7:8], off offset:3072
	s_and_saveexec_b32 s27, vcc_lo
	s_cbranch_execz .LBB112_53
; %bb.52:                               ;   in Loop: Header=BB112_38 Depth=1
	v_cmp_gt_i32_e64 s0, s19, v42
	s_waitcnt vmcnt(0)
	v_lshrrev_b32_e32 v58, 16, v4
	v_lshrrev_b32_e32 v59, 16, v3
	;; [unrolled: 1-line block ×4, first 2 shown]
	v_cndmask_b32_e64 v4, 0, v4, s0
	v_cmp_gt_i32_e64 s0, s24, v35
	s_delay_alu instid0(VALU_DEP_1) | instskip(SKIP_1) | instid1(VALU_DEP_2)
	v_cndmask_b32_e64 v58, 0, v58, s0
	v_cmp_gt_i32_e64 s0, s18, v34
	v_perm_b32 v4, v58, v4, 0x5040100
	s_delay_alu instid0(VALU_DEP_2) | instskip(SKIP_1) | instid1(VALU_DEP_1)
	v_cndmask_b32_e64 v59, 0, v59, s0
	v_cmp_gt_i32_e64 s0, s17, v32
	v_cndmask_b32_e64 v3, 0, v3, s0
	v_cmp_gt_i32_e64 s0, s16, v31
	s_delay_alu instid0(VALU_DEP_2) | instskip(NEXT) | instid1(VALU_DEP_2)
	v_perm_b32 v3, v59, v3, 0x5040100
	v_cndmask_b32_e64 v60, 0, v60, s0
	v_cmp_gt_i32_e64 s0, s14, v30
	s_delay_alu instid0(VALU_DEP_1) | instskip(SKIP_1) | instid1(VALU_DEP_2)
	v_cndmask_b32_e64 v2, 0, v2, s0
	v_cmp_gt_i32_e64 s0, s13, v29
	v_perm_b32 v2, v60, v2, 0x5040100
	s_delay_alu instid0(VALU_DEP_2) | instskip(SKIP_1) | instid1(VALU_DEP_1)
	v_cndmask_b32_e64 v61, 0, v61, s0
	v_cmp_gt_i32_e64 s0, s15, v28
	v_cndmask_b32_e64 v1, 0, v1, s0
	s_delay_alu instid0(VALU_DEP_1)
	v_perm_b32 v1, v61, v1, 0x5040100
.LBB112_53:                             ;   in Loop: Header=BB112_38 Depth=1
	s_or_b32 exec_lo, exec_lo, s27
	s_waitcnt vmcnt(0)
	;;#ASMSTART
	v_pk_mul_f16 v1, v45, v1;

	;;#ASMEND
	;;#ASMSTART
	v_pk_mul_f16 v2, v44, v2;

	;;#ASMEND
	;; [unrolled: 4-line block ×4, first 2 shown]
	;;#ASMSTART
	v_pk_add_f16 v1, v1, v2;

	;;#ASMEND
	;;#ASMSTART
	v_pk_add_f16 v1, v1, v3;

	;;#ASMEND
	;; [unrolled: 4-line block ×3, first 2 shown]
	v_and_b32_e32 v2, 0xffff, v1
	v_lshrrev_b32_e32 v1, 16, v1
	;;#ASMSTART
	v_cvt_f32_f16 v58, v2;
	;;#ASMEND
	;;#ASMSTART
	v_cvt_f32_f16 v59, v1;
	;;#ASMEND
	global_load_b128 v[1:4], v[7:8], off offset:3584
	s_and_saveexec_b32 s27, vcc_lo
	s_cbranch_execz .LBB112_55
; %bb.54:                               ;   in Loop: Header=BB112_38 Depth=1
	v_cmp_gt_i32_e64 s0, s19, v42
	s_waitcnt vmcnt(0)
	v_lshrrev_b32_e32 v7, 16, v4
	v_lshrrev_b32_e32 v8, 16, v3
	;; [unrolled: 1-line block ×4, first 2 shown]
	v_cndmask_b32_e64 v4, 0, v4, s0
	v_cmp_gt_i32_e64 s0, s24, v35
	s_delay_alu instid0(VALU_DEP_1) | instskip(SKIP_1) | instid1(VALU_DEP_2)
	v_cndmask_b32_e64 v7, 0, v7, s0
	v_cmp_gt_i32_e64 s0, s18, v34
	v_perm_b32 v4, v7, v4, 0x5040100
	s_delay_alu instid0(VALU_DEP_2) | instskip(SKIP_1) | instid1(VALU_DEP_1)
	v_cndmask_b32_e64 v8, 0, v8, s0
	v_cmp_gt_i32_e64 s0, s17, v32
	v_cndmask_b32_e64 v3, 0, v3, s0
	v_cmp_gt_i32_e64 s0, s16, v31
	s_delay_alu instid0(VALU_DEP_2) | instskip(NEXT) | instid1(VALU_DEP_2)
	v_perm_b32 v3, v8, v3, 0x5040100
	v_cndmask_b32_e64 v60, 0, v60, s0
	v_cmp_gt_i32_e64 s0, s14, v30
	s_delay_alu instid0(VALU_DEP_1) | instskip(SKIP_1) | instid1(VALU_DEP_2)
	v_cndmask_b32_e64 v2, 0, v2, s0
	v_cmp_gt_i32_e64 s0, s13, v29
	v_perm_b32 v2, v60, v2, 0x5040100
	s_delay_alu instid0(VALU_DEP_2) | instskip(SKIP_1) | instid1(VALU_DEP_1)
	v_cndmask_b32_e64 v61, 0, v61, s0
	v_cmp_gt_i32_e64 s0, s15, v28
	v_cndmask_b32_e64 v1, 0, v1, s0
	s_delay_alu instid0(VALU_DEP_1)
	v_perm_b32 v1, v61, v1, 0x5040100
.LBB112_55:                             ;   in Loop: Header=BB112_38 Depth=1
	s_or_b32 exec_lo, exec_lo, s27
	s_waitcnt vmcnt(0)
	;;#ASMSTART
	v_pk_mul_f16 v1, v45, v1;

	;;#ASMEND
	;;#ASMSTART
	v_pk_mul_f16 v2, v44, v2;

	;;#ASMEND
	;; [unrolled: 4-line block ×4, first 2 shown]
	;;#ASMSTART
	v_pk_add_f16 v1, v1, v2;

	;;#ASMEND
	;;#ASMSTART
	v_pk_add_f16 v1, v1, v3;

	;;#ASMEND
	;; [unrolled: 4-line block ×3, first 2 shown]
	v_lshrrev_b32_e32 v3, 16, v1
	v_and_b32_e32 v4, 0xffff, v1
	v_add_co_u32 v1, s0, v46, v25
	s_delay_alu instid0(VALU_DEP_1)
	v_add_co_ci_u32_e64 v2, s0, 0, v47, s0
	;;#ASMSTART
	v_cvt_f32_f16 v7, v4;
	;;#ASMEND
	;;#ASMSTART
	v_cvt_f32_f16 v8, v3;
	;;#ASMEND
	global_load_b128 v[1:4], v[1:2], off
	s_and_saveexec_b32 s27, vcc_lo
	s_cbranch_execz .LBB112_57
; %bb.56:                               ;   in Loop: Header=BB112_38 Depth=1
	v_cmp_gt_i32_e64 s0, s19, v42
	s_waitcnt vmcnt(0)
	v_lshrrev_b32_e32 v60, 16, v4
	v_lshrrev_b32_e32 v61, 16, v3
	;; [unrolled: 1-line block ×4, first 2 shown]
	v_cndmask_b32_e64 v4, 0, v4, s0
	v_cmp_gt_i32_e64 s0, s24, v35
	s_delay_alu instid0(VALU_DEP_1) | instskip(SKIP_1) | instid1(VALU_DEP_2)
	v_cndmask_b32_e64 v60, 0, v60, s0
	v_cmp_gt_i32_e64 s0, s18, v34
	v_perm_b32 v4, v60, v4, 0x5040100
	s_delay_alu instid0(VALU_DEP_2) | instskip(SKIP_1) | instid1(VALU_DEP_1)
	v_cndmask_b32_e64 v61, 0, v61, s0
	v_cmp_gt_i32_e64 s0, s17, v32
	v_cndmask_b32_e64 v3, 0, v3, s0
	v_cmp_gt_i32_e64 s0, s16, v31
	s_delay_alu instid0(VALU_DEP_2) | instskip(NEXT) | instid1(VALU_DEP_2)
	v_perm_b32 v3, v61, v3, 0x5040100
	v_cndmask_b32_e64 v62, 0, v62, s0
	v_cmp_gt_i32_e64 s0, s14, v30
	s_delay_alu instid0(VALU_DEP_1) | instskip(SKIP_1) | instid1(VALU_DEP_2)
	v_cndmask_b32_e64 v2, 0, v2, s0
	v_cmp_gt_i32_e64 s0, s13, v29
	v_perm_b32 v2, v62, v2, 0x5040100
	s_delay_alu instid0(VALU_DEP_2) | instskip(SKIP_1) | instid1(VALU_DEP_1)
	v_cndmask_b32_e64 v63, 0, v63, s0
	v_cmp_gt_i32_e64 s0, s15, v28
	v_cndmask_b32_e64 v1, 0, v1, s0
	s_delay_alu instid0(VALU_DEP_1)
	v_perm_b32 v1, v63, v1, 0x5040100
.LBB112_57:                             ;   in Loop: Header=BB112_38 Depth=1
	s_or_b32 exec_lo, exec_lo, s27
	s_waitcnt vmcnt(0)
	;;#ASMSTART
	v_pk_mul_f16 v1, v45, v1;

	;;#ASMEND
	;;#ASMSTART
	v_pk_mul_f16 v2, v44, v2;

	;;#ASMEND
	;;#ASMSTART
	v_pk_mul_f16 v3, v43, v3;

	;;#ASMEND
	;;#ASMSTART
	v_pk_mul_f16 v4, v37, v4;

	;;#ASMEND
	;;#ASMSTART
	v_pk_add_f16 v1, v1, v2;

	;;#ASMEND
	;;#ASMSTART
	v_pk_add_f16 v1, v1, v3;

	;;#ASMEND
	;; [unrolled: 4-line block ×3, first 2 shown]
	v_lshrrev_b32_e32 v3, 16, v1
	v_and_b32_e32 v4, 0xffff, v1
	v_add_co_u32 v1, s0, v46, v26
	s_delay_alu instid0(VALU_DEP_1)
	v_add_co_ci_u32_e64 v2, s0, 0, v47, s0
	;;#ASMSTART
	v_cvt_f32_f16 v46, v4;
	;;#ASMEND
	;;#ASMSTART
	v_cvt_f32_f16 v47, v3;
	;;#ASMEND
	global_load_b128 v[1:4], v[1:2], off
	s_and_saveexec_b32 s0, vcc_lo
	s_cbranch_execz .LBB112_36
; %bb.58:                               ;   in Loop: Header=BB112_38 Depth=1
	v_cmp_gt_i32_e32 vcc_lo, s19, v42
	s_waitcnt vmcnt(0)
	v_lshrrev_b32_e32 v60, 16, v4
	v_lshrrev_b32_e32 v61, 16, v3
	;; [unrolled: 1-line block ×3, first 2 shown]
	v_cndmask_b32_e32 v4, 0, v4, vcc_lo
	v_cmp_gt_i32_e32 vcc_lo, s24, v35
	v_cndmask_b32_e32 v35, 0, v60, vcc_lo
	v_cmp_gt_i32_e32 vcc_lo, s18, v34
	;; [unrolled: 2-line block ×3, first 2 shown]
	v_lshrrev_b32_e32 v32, 16, v1
	v_cndmask_b32_e32 v3, 0, v3, vcc_lo
	v_cmp_gt_i32_e32 vcc_lo, s16, v31
	v_perm_b32 v4, v35, v4, 0x5040100
	s_delay_alu instid0(VALU_DEP_3)
	v_perm_b32 v3, v34, v3, 0x5040100
	v_cndmask_b32_e32 v31, 0, v42, vcc_lo
	v_cmp_gt_i32_e32 vcc_lo, s14, v30
	v_cndmask_b32_e32 v2, 0, v2, vcc_lo
	v_cmp_gt_i32_e32 vcc_lo, s13, v29
	;; [unrolled: 2-line block ×3, first 2 shown]
	s_delay_alu instid0(VALU_DEP_4) | instskip(SKIP_1) | instid1(VALU_DEP_1)
	v_perm_b32 v2, v31, v2, 0x5040100
	v_cndmask_b32_e32 v1, 0, v1, vcc_lo
	v_perm_b32 v1, v29, v1, 0x5040100
	s_branch .LBB112_36
.LBB112_59:
	s_or_b32 exec_lo, exec_lo, s3
.LBB112_60:
	s_delay_alu instid0(SALU_CYCLE_1)
	s_or_b32 exec_lo, exec_lo, s1
	ds_bpermute_b32 v3, v10, v19
	ds_bpermute_b32 v4, v10, v18
	;; [unrolled: 1-line block ×10, first 2 shown]
	s_movk_i32 s0, 0x140
	s_waitcnt lgkmcnt(0)
	s_waitcnt_vscnt null, 0x0
	s_barrier
	buffer_gl0_inv
	v_dual_add_f32 v3, v19, v3 :: v_dual_add_f32 v4, v18, v4
	v_dual_add_f32 v15, v15, v7 :: v_dual_add_f32 v14, v14, v8
	;; [unrolled: 1-line block ×3, first 2 shown]
	ds_bpermute_b32 v8, v9, v3
	v_dual_add_f32 v5, v17, v5 :: v_dual_add_f32 v16, v16, v6
	v_add_f32_e32 v17, v13, v22
	v_add_f32_e32 v18, v12, v10
	ds_bpermute_b32 v6, v9, v1
	ds_bpermute_b32 v7, v9, v2
	;; [unrolled: 1-line block ×8, first 2 shown]
	v_lshrrev_b32_e32 v12, 2, v40
	v_mad_u32_u24 v13, v39, s0, 0xc0
	s_waitcnt lgkmcnt(8)
	v_add_f32_e32 v8, v3, v8
	ds_bpermute_b32 v24, v9, v17
	s_waitcnt lgkmcnt(8)
	v_dual_add_f32 v10, v1, v6 :: v_dual_and_b32 v9, 0x3c3, v0
	s_delay_alu instid0(VALU_DEP_1)
	v_cmp_eq_u32_e32 vcc_lo, 64, v9
	s_waitcnt lgkmcnt(7)
	v_add_f32_e32 v9, v2, v7
	s_waitcnt lgkmcnt(5)
	v_dual_add_f32 v7, v4, v19 :: v_dual_add_f32 v6, v5, v20
	s_waitcnt lgkmcnt(3)
	v_dual_add_f32 v5, v16, v21 :: v_dual_add_f32 v4, v15, v22
	s_waitcnt lgkmcnt(2)
	v_add_f32_e32 v3, v14, v23
	s_waitcnt lgkmcnt(1)
	v_dual_add_f32 v1, v18, v25 :: v_dual_lshlrev_b32 v14, 2, v12
	s_waitcnt lgkmcnt(0)
	v_add_f32_e32 v2, v17, v24
	s_and_saveexec_b32 s0, vcc_lo
	s_cbranch_execz .LBB112_62
; %bb.61:
	v_add3_u32 v15, v13, v14, 0xfffffd80
	ds_store_2addr_b32 v15, v10, v9 offset1:8
	ds_store_2addr_b32 v15, v8, v7 offset0:16 offset1:24
	ds_store_2addr_b32 v15, v6, v5 offset0:32 offset1:40
	;; [unrolled: 1-line block ×4, first 2 shown]
.LBB112_62:
	s_or_b32 exec_lo, exec_lo, s0
	v_cmp_eq_u32_e32 vcc_lo, 0, v11
	s_mov_b32 s1, exec_lo
	s_waitcnt lgkmcnt(0)
	s_barrier
	buffer_gl0_inv
	v_cmpx_gt_u32_e32 64, v0
	s_cbranch_execz .LBB112_75
; %bb.63:
	s_and_saveexec_b32 s0, vcc_lo
	s_cbranch_execnz .LBB112_93
; %bb.64:
	s_or_b32 exec_lo, exec_lo, s0
	s_and_saveexec_b32 s0, vcc_lo
	s_cbranch_execnz .LBB112_94
.LBB112_65:
	s_or_b32 exec_lo, exec_lo, s0
	s_and_saveexec_b32 s0, vcc_lo
	s_cbranch_execnz .LBB112_95
.LBB112_66:
	s_or_b32 exec_lo, exec_lo, s0
	s_and_saveexec_b32 s0, vcc_lo
	s_cbranch_execnz .LBB112_96
.LBB112_67:
	s_or_b32 exec_lo, exec_lo, s0
	s_and_saveexec_b32 s0, vcc_lo
	s_cbranch_execnz .LBB112_97
.LBB112_68:
	s_or_b32 exec_lo, exec_lo, s0
	s_and_saveexec_b32 s0, vcc_lo
	s_cbranch_execnz .LBB112_98
.LBB112_69:
	s_or_b32 exec_lo, exec_lo, s0
	s_and_saveexec_b32 s0, vcc_lo
	s_cbranch_execnz .LBB112_99
.LBB112_70:
	s_or_b32 exec_lo, exec_lo, s0
	s_and_saveexec_b32 s0, vcc_lo
	s_cbranch_execnz .LBB112_100
.LBB112_71:
	s_or_b32 exec_lo, exec_lo, s0
	s_and_saveexec_b32 s0, vcc_lo
	s_cbranch_execnz .LBB112_101
.LBB112_72:
	s_or_b32 exec_lo, exec_lo, s0
	s_and_saveexec_b32 s0, vcc_lo
	s_cbranch_execz .LBB112_74
.LBB112_73:
	v_lshl_add_u32 v11, v12, 2, v13
	ds_load_b32 v11, v11 offset:288
	s_waitcnt lgkmcnt(0)
	v_add_f32_e32 v1, v1, v11
.LBB112_74:
	s_or_b32 exec_lo, exec_lo, s0
.LBB112_75:
	s_delay_alu instid0(SALU_CYCLE_1)
	s_or_b32 exec_lo, exec_lo, s1
	v_and_b32_e32 v11, 0x3e3, v0
	s_mov_b32 s1, exec_lo
	s_barrier
	buffer_gl0_inv
	v_cmpx_eq_u32_e32 32, v11
	s_cbranch_execz .LBB112_77
; %bb.76:
	v_add3_u32 v14, v13, v14, 0xfffffec0
	ds_store_2addr_b32 v14, v10, v9 offset1:8
	ds_store_2addr_b32 v14, v8, v7 offset0:16 offset1:24
	ds_store_2addr_b32 v14, v6, v5 offset0:32 offset1:40
	;; [unrolled: 1-line block ×4, first 2 shown]
.LBB112_77:
	s_or_b32 exec_lo, exec_lo, s1
	s_delay_alu instid0(SALU_CYCLE_1)
	s_mov_b32 s1, exec_lo
	s_waitcnt lgkmcnt(0)
	s_barrier
	buffer_gl0_inv
	v_cmpx_gt_u32_e32 32, v0
	s_cbranch_execz .LBB112_90
; %bb.78:
	v_lshl_add_u32 v12, v12, 2, v13
	s_and_saveexec_b32 s0, vcc_lo
	s_cbranch_execnz .LBB112_102
; %bb.79:
	s_or_b32 exec_lo, exec_lo, s0
	s_and_saveexec_b32 s0, vcc_lo
	s_cbranch_execnz .LBB112_103
.LBB112_80:
	s_or_b32 exec_lo, exec_lo, s0
	s_and_saveexec_b32 s0, vcc_lo
	s_cbranch_execnz .LBB112_104
.LBB112_81:
	s_or_b32 exec_lo, exec_lo, s0
	s_and_saveexec_b32 s0, vcc_lo
	s_cbranch_execnz .LBB112_105
.LBB112_82:
	s_or_b32 exec_lo, exec_lo, s0
	s_and_saveexec_b32 s0, vcc_lo
	s_cbranch_execnz .LBB112_106
.LBB112_83:
	s_or_b32 exec_lo, exec_lo, s0
	s_and_saveexec_b32 s0, vcc_lo
	s_cbranch_execnz .LBB112_107
.LBB112_84:
	s_or_b32 exec_lo, exec_lo, s0
	s_and_saveexec_b32 s0, vcc_lo
	s_cbranch_execnz .LBB112_108
.LBB112_85:
	s_or_b32 exec_lo, exec_lo, s0
	s_and_saveexec_b32 s0, vcc_lo
	s_cbranch_execnz .LBB112_109
.LBB112_86:
	s_or_b32 exec_lo, exec_lo, s0
	s_and_saveexec_b32 s0, vcc_lo
	s_cbranch_execnz .LBB112_110
.LBB112_87:
	s_or_b32 exec_lo, exec_lo, s0
	s_and_saveexec_b32 s0, vcc_lo
	s_cbranch_execz .LBB112_89
.LBB112_88:
	ds_load_b32 v12, v12 offset:288
	s_waitcnt lgkmcnt(0)
	v_add_f32_e32 v1, v1, v12
.LBB112_89:
	s_or_b32 exec_lo, exec_lo, s0
.LBB112_90:
	s_delay_alu instid0(SALU_CYCLE_1)
	s_or_b32 exec_lo, exec_lo, s1
	s_barrier
	buffer_gl0_inv
	s_mov_b32 s0, exec_lo
	v_cmpx_eq_u32_e32 0, v11
	s_cbranch_execz .LBB112_92
; %bb.91:
	s_mul_i32 s0, s6, 0x50
	s_mul_i32 s2, s4, s20
	s_ashr_i32 s1, s0, 31
	v_lshrrev_b32_e32 v0, 1, v0
	s_lshl_b64 s[0:1], s[0:1], 1
	;;#ASMSTART
	v_cvt_f16_f32 v10, v10;

	;;#ASMEND
	s_add_u32 s4, s22, s0
	s_addc_u32 s5, s23, s1
	s_ashr_i32 s3, s2, 31
	s_delay_alu instid0(SALU_CYCLE_1) | instskip(SKIP_4) | instid1(SALU_CYCLE_1)
	s_lshl_b64 s[0:1], s[2:3], 1
	s_mul_i32 s2, s12, 0x50
	s_add_u32 s4, s4, s0
	s_addc_u32 s5, s5, s1
	s_ashr_i32 s3, s2, 31
	s_lshl_b64 s[0:1], s[2:3], 1
	s_delay_alu instid0(SALU_CYCLE_1)
	s_add_u32 s0, s4, s0
	s_addc_u32 s1, s5, s1
	global_store_b16 v0, v10, s[0:1]
	;;#ASMSTART
	v_cvt_f16_f32 v9, v9;

	;;#ASMEND
	global_store_b16 v0, v9, s[0:1] offset:16
	;;#ASMSTART
	v_cvt_f16_f32 v8, v8;

	;;#ASMEND
	global_store_b16 v0, v8, s[0:1] offset:32
	;; [unrolled: 5-line block ×9, first 2 shown]
.LBB112_92:
	s_nop 0
	s_sendmsg sendmsg(MSG_DEALLOC_VGPRS)
	s_endpgm
.LBB112_93:
	v_lshl_add_u32 v11, v12, 2, v13
	ds_load_b32 v11, v11
	s_waitcnt lgkmcnt(0)
	v_add_f32_e32 v10, v10, v11
	s_or_b32 exec_lo, exec_lo, s0
	s_and_saveexec_b32 s0, vcc_lo
	s_cbranch_execz .LBB112_65
.LBB112_94:
	v_lshl_add_u32 v11, v12, 2, v13
	ds_load_b32 v11, v11 offset:32
	s_waitcnt lgkmcnt(0)
	v_add_f32_e32 v9, v9, v11
	s_or_b32 exec_lo, exec_lo, s0
	s_and_saveexec_b32 s0, vcc_lo
	s_cbranch_execz .LBB112_66
.LBB112_95:
	v_lshl_add_u32 v11, v12, 2, v13
	ds_load_b32 v11, v11 offset:64
	s_waitcnt lgkmcnt(0)
	v_add_f32_e32 v8, v8, v11
	s_or_b32 exec_lo, exec_lo, s0
	s_and_saveexec_b32 s0, vcc_lo
	s_cbranch_execz .LBB112_67
.LBB112_96:
	v_lshl_add_u32 v11, v12, 2, v13
	ds_load_b32 v11, v11 offset:96
	s_waitcnt lgkmcnt(0)
	v_add_f32_e32 v7, v7, v11
	s_or_b32 exec_lo, exec_lo, s0
	s_and_saveexec_b32 s0, vcc_lo
	s_cbranch_execz .LBB112_68
.LBB112_97:
	v_lshl_add_u32 v11, v12, 2, v13
	ds_load_b32 v11, v11 offset:128
	s_waitcnt lgkmcnt(0)
	v_add_f32_e32 v6, v6, v11
	s_or_b32 exec_lo, exec_lo, s0
	s_and_saveexec_b32 s0, vcc_lo
	s_cbranch_execz .LBB112_69
.LBB112_98:
	v_lshl_add_u32 v11, v12, 2, v13
	ds_load_b32 v11, v11 offset:160
	s_waitcnt lgkmcnt(0)
	v_add_f32_e32 v5, v5, v11
	s_or_b32 exec_lo, exec_lo, s0
	s_and_saveexec_b32 s0, vcc_lo
	s_cbranch_execz .LBB112_70
.LBB112_99:
	v_lshl_add_u32 v11, v12, 2, v13
	ds_load_b32 v11, v11 offset:192
	s_waitcnt lgkmcnt(0)
	v_add_f32_e32 v4, v4, v11
	s_or_b32 exec_lo, exec_lo, s0
	s_and_saveexec_b32 s0, vcc_lo
	s_cbranch_execz .LBB112_71
.LBB112_100:
	v_lshl_add_u32 v11, v12, 2, v13
	ds_load_b32 v11, v11 offset:224
	s_waitcnt lgkmcnt(0)
	v_add_f32_e32 v3, v3, v11
	s_or_b32 exec_lo, exec_lo, s0
	s_and_saveexec_b32 s0, vcc_lo
	s_cbranch_execz .LBB112_72
.LBB112_101:
	v_lshl_add_u32 v11, v12, 2, v13
	ds_load_b32 v11, v11 offset:256
	s_waitcnt lgkmcnt(0)
	v_add_f32_e32 v2, v2, v11
	s_or_b32 exec_lo, exec_lo, s0
	s_and_saveexec_b32 s0, vcc_lo
	s_cbranch_execnz .LBB112_73
	s_branch .LBB112_74
.LBB112_102:
	ds_load_b32 v13, v12
	s_waitcnt lgkmcnt(0)
	v_add_f32_e32 v10, v10, v13
	s_or_b32 exec_lo, exec_lo, s0
	s_and_saveexec_b32 s0, vcc_lo
	s_cbranch_execz .LBB112_80
.LBB112_103:
	ds_load_b32 v13, v12 offset:32
	s_waitcnt lgkmcnt(0)
	v_add_f32_e32 v9, v9, v13
	s_or_b32 exec_lo, exec_lo, s0
	s_and_saveexec_b32 s0, vcc_lo
	s_cbranch_execz .LBB112_81
.LBB112_104:
	ds_load_b32 v13, v12 offset:64
	s_waitcnt lgkmcnt(0)
	v_add_f32_e32 v8, v8, v13
	s_or_b32 exec_lo, exec_lo, s0
	s_and_saveexec_b32 s0, vcc_lo
	s_cbranch_execz .LBB112_82
.LBB112_105:
	ds_load_b32 v13, v12 offset:96
	s_waitcnt lgkmcnt(0)
	v_add_f32_e32 v7, v7, v13
	s_or_b32 exec_lo, exec_lo, s0
	s_and_saveexec_b32 s0, vcc_lo
	s_cbranch_execz .LBB112_83
.LBB112_106:
	ds_load_b32 v13, v12 offset:128
	s_waitcnt lgkmcnt(0)
	v_add_f32_e32 v6, v6, v13
	s_or_b32 exec_lo, exec_lo, s0
	s_and_saveexec_b32 s0, vcc_lo
	s_cbranch_execz .LBB112_84
.LBB112_107:
	ds_load_b32 v13, v12 offset:160
	s_waitcnt lgkmcnt(0)
	v_add_f32_e32 v5, v5, v13
	s_or_b32 exec_lo, exec_lo, s0
	s_and_saveexec_b32 s0, vcc_lo
	s_cbranch_execz .LBB112_85
.LBB112_108:
	ds_load_b32 v13, v12 offset:192
	s_waitcnt lgkmcnt(0)
	v_add_f32_e32 v4, v4, v13
	s_or_b32 exec_lo, exec_lo, s0
	s_and_saveexec_b32 s0, vcc_lo
	s_cbranch_execz .LBB112_86
.LBB112_109:
	ds_load_b32 v13, v12 offset:224
	s_waitcnt lgkmcnt(0)
	v_add_f32_e32 v3, v3, v13
	s_or_b32 exec_lo, exec_lo, s0
	s_and_saveexec_b32 s0, vcc_lo
	s_cbranch_execz .LBB112_87
.LBB112_110:
	ds_load_b32 v13, v12 offset:256
	s_waitcnt lgkmcnt(0)
	v_add_f32_e32 v2, v2, v13
	s_or_b32 exec_lo, exec_lo, s0
	s_and_saveexec_b32 s0, vcc_lo
	s_cbranch_execnz .LBB112_88
	s_branch .LBB112_89
	.section	.rodata,"a",@progbits
	.p2align	6, 0x0
	.amdhsa_kernel _ZN4vllm25paged_attention_v2_kernelIttLi80ELi32ELi128ELNS_18Fp8KVCacheDataTypeE0ELb1ELi512EEEvPfS2_PT_PKS3_PKT0_S9_ifPKiSB_iPKfiiiSD_SD_iiiii
		.amdhsa_group_segment_fixed_size 192
		.amdhsa_private_segment_fixed_size 0
		.amdhsa_kernarg_size 400
		.amdhsa_user_sgpr_count 13
		.amdhsa_user_sgpr_dispatch_ptr 0
		.amdhsa_user_sgpr_queue_ptr 0
		.amdhsa_user_sgpr_kernarg_segment_ptr 1
		.amdhsa_user_sgpr_dispatch_id 0
		.amdhsa_user_sgpr_private_segment_size 0
		.amdhsa_wavefront_size32 1
		.amdhsa_uses_dynamic_stack 0
		.amdhsa_enable_private_segment 0
		.amdhsa_system_sgpr_workgroup_id_x 1
		.amdhsa_system_sgpr_workgroup_id_y 1
		.amdhsa_system_sgpr_workgroup_id_z 1
		.amdhsa_system_sgpr_workgroup_info 0
		.amdhsa_system_vgpr_workitem_id 0
		.amdhsa_next_free_vgpr 125
		.amdhsa_next_free_sgpr 46
		.amdhsa_reserve_vcc 1
		.amdhsa_float_round_mode_32 0
		.amdhsa_float_round_mode_16_64 0
		.amdhsa_float_denorm_mode_32 3
		.amdhsa_float_denorm_mode_16_64 3
		.amdhsa_dx10_clamp 1
		.amdhsa_ieee_mode 1
		.amdhsa_fp16_overflow 0
		.amdhsa_workgroup_processor_mode 1
		.amdhsa_memory_ordered 1
		.amdhsa_forward_progress 0
		.amdhsa_shared_vgpr_count 0
		.amdhsa_exception_fp_ieee_invalid_op 0
		.amdhsa_exception_fp_denorm_src 0
		.amdhsa_exception_fp_ieee_div_zero 0
		.amdhsa_exception_fp_ieee_overflow 0
		.amdhsa_exception_fp_ieee_underflow 0
		.amdhsa_exception_fp_ieee_inexact 0
		.amdhsa_exception_int_div_zero 0
	.end_amdhsa_kernel
	.section	.text._ZN4vllm25paged_attention_v2_kernelIttLi80ELi32ELi128ELNS_18Fp8KVCacheDataTypeE0ELb1ELi512EEEvPfS2_PT_PKS3_PKT0_S9_ifPKiSB_iPKfiiiSD_SD_iiiii,"axG",@progbits,_ZN4vllm25paged_attention_v2_kernelIttLi80ELi32ELi128ELNS_18Fp8KVCacheDataTypeE0ELb1ELi512EEEvPfS2_PT_PKS3_PKT0_S9_ifPKiSB_iPKfiiiSD_SD_iiiii,comdat
.Lfunc_end112:
	.size	_ZN4vllm25paged_attention_v2_kernelIttLi80ELi32ELi128ELNS_18Fp8KVCacheDataTypeE0ELb1ELi512EEEvPfS2_PT_PKS3_PKT0_S9_ifPKiSB_iPKfiiiSD_SD_iiiii, .Lfunc_end112-_ZN4vllm25paged_attention_v2_kernelIttLi80ELi32ELi128ELNS_18Fp8KVCacheDataTypeE0ELb1ELi512EEEvPfS2_PT_PKS3_PKT0_S9_ifPKiSB_iPKfiiiSD_SD_iiiii
                                        ; -- End function
	.section	.AMDGPU.csdata,"",@progbits
; Kernel info:
; codeLenInByte = 14684
; NumSgprs: 48
; NumVgprs: 125
; ScratchSize: 0
; MemoryBound: 0
; FloatMode: 240
; IeeeMode: 1
; LDSByteSize: 192 bytes/workgroup (compile time only)
; SGPRBlocks: 5
; VGPRBlocks: 15
; NumSGPRsForWavesPerEU: 48
; NumVGPRsForWavesPerEU: 125
; Occupancy: 10
; WaveLimiterHint : 1
; COMPUTE_PGM_RSRC2:SCRATCH_EN: 0
; COMPUTE_PGM_RSRC2:USER_SGPR: 13
; COMPUTE_PGM_RSRC2:TRAP_HANDLER: 0
; COMPUTE_PGM_RSRC2:TGID_X_EN: 1
; COMPUTE_PGM_RSRC2:TGID_Y_EN: 1
; COMPUTE_PGM_RSRC2:TGID_Z_EN: 1
; COMPUTE_PGM_RSRC2:TIDIG_COMP_CNT: 0
	.section	.text._ZN4vllm25paged_attention_v2_kernelIttLi96ELi32ELi128ELNS_18Fp8KVCacheDataTypeE0ELb1ELi512EEEvPfS2_PT_PKS3_PKT0_S9_ifPKiSB_iPKfiiiSD_SD_iiiii,"axG",@progbits,_ZN4vllm25paged_attention_v2_kernelIttLi96ELi32ELi128ELNS_18Fp8KVCacheDataTypeE0ELb1ELi512EEEvPfS2_PT_PKS3_PKT0_S9_ifPKiSB_iPKfiiiSD_SD_iiiii,comdat
	.protected	_ZN4vllm25paged_attention_v2_kernelIttLi96ELi32ELi128ELNS_18Fp8KVCacheDataTypeE0ELb1ELi512EEEvPfS2_PT_PKS3_PKT0_S9_ifPKiSB_iPKfiiiSD_SD_iiiii ; -- Begin function _ZN4vllm25paged_attention_v2_kernelIttLi96ELi32ELi128ELNS_18Fp8KVCacheDataTypeE0ELb1ELi512EEEvPfS2_PT_PKS3_PKT0_S9_ifPKiSB_iPKfiiiSD_SD_iiiii
	.globl	_ZN4vllm25paged_attention_v2_kernelIttLi96ELi32ELi128ELNS_18Fp8KVCacheDataTypeE0ELb1ELi512EEEvPfS2_PT_PKS3_PKT0_S9_ifPKiSB_iPKfiiiSD_SD_iiiii
	.p2align	8
	.type	_ZN4vllm25paged_attention_v2_kernelIttLi96ELi32ELi128ELNS_18Fp8KVCacheDataTypeE0ELb1ELi512EEEvPfS2_PT_PKS3_PKT0_S9_ifPKiSB_iPKfiiiSD_SD_iiiii,@function
_ZN4vllm25paged_attention_v2_kernelIttLi96ELi32ELi128ELNS_18Fp8KVCacheDataTypeE0ELb1ELi512EEEvPfS2_PT_PKS3_PKT0_S9_ifPKiSB_iPKfiiiSD_SD_iiiii: ; @_ZN4vllm25paged_attention_v2_kernelIttLi96ELi32ELi128ELNS_18Fp8KVCacheDataTypeE0ELb1ELi512EEEvPfS2_PT_PKS3_PKT0_S9_ifPKiSB_iPKfiiiSD_SD_iiiii
; %bb.0:
	s_load_b64 s[2:3], s[0:1], 0x40
	s_mov_b32 s12, s15
	s_ashr_i32 s15, s14, 31
	s_delay_alu instid0(SALU_CYCLE_1)
	s_lshl_b64 s[4:5], s[14:15], 2
	s_waitcnt lgkmcnt(0)
	s_add_u32 s2, s2, s4
	s_addc_u32 s3, s3, s5
	s_lshl_b32 s15, s12, 9
	s_load_b32 s33, s[2:3], 0x0
	s_waitcnt lgkmcnt(0)
	s_cmp_ge_i32 s15, s33
	s_cbranch_scc1 .LBB113_100
; %bb.1:
	s_mov_b32 s24, s13
	s_clause 0x1
	s_load_b32 s13, s[0:1], 0x90
	s_load_b64 s[2:3], s[0:1], 0x30
	s_mov_b32 s37, 0
	s_waitcnt lgkmcnt(0)
	s_abs_i32 s7, s13
	s_abs_i32 s4, s2
	s_delay_alu instid0(SALU_CYCLE_1) | instskip(SKIP_1) | instid1(VALU_DEP_1)
	v_cvt_f32_u32_e32 v1, s4
	s_sub_i32 s6, 0, s4
	v_rcp_iflag_f32_e32 v1, v1
	s_waitcnt_depctr 0xfff
	v_mul_f32_e32 v1, 0x4f7ffffe, v1
	s_delay_alu instid0(VALU_DEP_1) | instskip(NEXT) | instid1(VALU_DEP_1)
	v_cvt_u32_f32_e32 v1, v1
	v_readfirstlane_b32 s5, v1
	s_delay_alu instid0(VALU_DEP_1) | instskip(NEXT) | instid1(SALU_CYCLE_1)
	s_mul_i32 s6, s6, s5
	s_mul_hi_u32 s6, s5, s6
	s_delay_alu instid0(SALU_CYCLE_1) | instskip(SKIP_4) | instid1(SALU_CYCLE_1)
	s_add_i32 s5, s5, s6
	s_xor_b32 s6, s13, s2
	s_mul_hi_u32 s5, s7, s5
	s_ashr_i32 s6, s6, 31
	s_mul_i32 s8, s5, s4
	s_sub_i32 s7, s7, s8
	s_add_i32 s8, s5, 1
	s_sub_i32 s9, s7, s4
	s_cmp_ge_u32 s7, s4
	s_cselect_b32 s5, s8, s5
	s_cselect_b32 s7, s9, s7
	s_add_i32 s8, s5, 1
	s_cmp_ge_u32 s7, s4
	s_cselect_b32 s4, s8, s5
	s_abs_i32 s17, s24
	s_xor_b32 s4, s4, s6
	s_delay_alu instid0(SALU_CYCLE_1) | instskip(SKIP_2) | instid1(SALU_CYCLE_1)
	s_sub_i32 s8, s4, s6
	s_load_b64 s[4:5], s[0:1], 0x50
	s_abs_i32 s16, s8
	v_cvt_f32_u32_e32 v1, s16
	s_sub_i32 s7, 0, s16
	s_delay_alu instid0(VALU_DEP_1) | instskip(SKIP_2) | instid1(VALU_DEP_1)
	v_rcp_iflag_f32_e32 v1, v1
	s_waitcnt_depctr 0xfff
	v_mul_f32_e32 v1, 0x4f7ffffe, v1
	v_cvt_u32_f32_e32 v1, v1
	s_delay_alu instid0(VALU_DEP_1) | instskip(NEXT) | instid1(VALU_DEP_1)
	v_readfirstlane_b32 s6, v1
	s_mul_i32 s7, s7, s6
	s_delay_alu instid0(SALU_CYCLE_1) | instskip(NEXT) | instid1(SALU_CYCLE_1)
	s_mul_hi_u32 s7, s6, s7
	s_add_i32 s6, s6, s7
	s_waitcnt lgkmcnt(0)
	s_cmp_eq_u64 s[4:5], 0
	s_mul_hi_u32 s18, s17, s6
	s_cbranch_scc1 .LBB113_3
; %bb.2:
	s_ashr_i32 s25, s24, 31
	s_delay_alu instid0(SALU_CYCLE_1) | instskip(NEXT) | instid1(SALU_CYCLE_1)
	s_lshl_b64 s[6:7], s[24:25], 2
	s_add_u32 s4, s4, s6
	s_addc_u32 s5, s5, s7
	s_load_b32 s37, s[4:5], 0x0
.LBB113_3:
	s_load_b128 s[4:7], s[0:1], 0x58
	s_waitcnt lgkmcnt(0)
	s_ashr_i32 s7, s24, 31
	s_ashr_i32 s19, s8, 31
	s_mul_i32 s20, s24, 0x60
	s_mov_b32 s8, exec_lo
	v_cmpx_gt_u32_e32 12, v0
	s_cbranch_execz .LBB113_5
; %bb.4:
	s_load_b64 s[10:11], s[0:1], 0x18
	s_mul_i32 s22, s14, s4
	v_lshlrev_b32_e32 v5, 4, v0
	s_ashr_i32 s23, s22, 31
	s_delay_alu instid0(SALU_CYCLE_1) | instskip(SKIP_4) | instid1(SALU_CYCLE_1)
	s_lshl_b64 s[22:23], s[22:23], 1
	s_waitcnt lgkmcnt(0)
	s_add_u32 s4, s10, s22
	s_addc_u32 s9, s11, s23
	s_ashr_i32 s21, s20, 31
	s_lshl_b64 s[10:11], s[20:21], 1
	s_delay_alu instid0(SALU_CYCLE_1)
	s_add_u32 s10, s4, s10
	s_addc_u32 s11, s9, s11
	global_load_b128 v[1:4], v5, s[10:11]
	s_waitcnt vmcnt(0)
	ds_store_b128 v5, v[1:4]
.LBB113_5:
	s_or_b32 exec_lo, exec_lo, s8
	s_load_b128 s[8:11], s[0:1], 0x78
	s_mul_i32 s4, s18, s16
	s_xor_b32 s7, s7, s19
	s_sub_i32 s4, s17, s4
	s_add_i32 s17, s18, 1
	s_sub_i32 s19, s4, s16
	s_cmp_ge_u32 s4, s16
	s_waitcnt lgkmcnt(0)
	s_cselect_b32 s17, s17, s18
	s_cselect_b32 s4, s19, s4
	s_add_i32 s18, s17, 1
	s_cmp_ge_u32 s4, s16
	s_load_b32 s4, s[0:1], 0x88
	s_cselect_b32 s16, s18, s17
	s_mov_b32 s17, -1
	s_xor_b32 s16, s16, s7
	s_waitcnt lgkmcnt(0)
	s_barrier
	s_sub_i32 s7, s16, s7
	buffer_gl0_inv
                                        ; implicit-def: $sgpr34
	s_abs_i32 s21, s11
	s_delay_alu instid0(SALU_CYCLE_1) | instskip(SKIP_1) | instid1(VALU_DEP_1)
	v_cvt_f32_u32_e32 v1, s21
	s_sub_i32 s16, 0, s21
	v_rcp_iflag_f32_e32 v1, v1
	s_waitcnt_depctr 0xfff
	v_mul_f32_e32 v1, 0x4f7ffffe, v1
	s_delay_alu instid0(VALU_DEP_1) | instskip(NEXT) | instid1(VALU_DEP_1)
	v_cvt_u32_f32_e32 v1, v1
	v_readfirstlane_b32 s25, v1
	s_delay_alu instid0(VALU_DEP_1)
	s_mul_i32 s18, s16, s25
	s_add_i32 s16, s33, -1
	s_mul_hi_u32 s18, s25, s18
	s_abs_i32 s28, s16
	s_add_i32 s25, s25, s18
	s_cmp_lt_i32 s4, 0
	s_mul_hi_u32 s35, s28, s25
	s_cbranch_scc0 .LBB113_7
; %bb.6:
	s_mul_i32 s2, s8, s2
	s_mov_b32 s17, 0
	s_add_i32 s2, s7, s2
	s_delay_alu instid0(SALU_CYCLE_1) | instskip(NEXT) | instid1(SALU_CYCLE_1)
	s_mul_i32 s2, s2, s4
	s_sub_i32 s34, 1, s2
.LBB113_7:
	s_load_b64 s[26:27], s[0:1], 0x38
	s_ashr_i32 s2, s16, 31
	s_and_not1_b32 vcc_lo, exec_lo, s17
	s_ashr_i32 s11, s11, 31
	s_cbranch_vccnz .LBB113_9
; %bb.8:
	s_mul_i32 s8, s13, s8
	s_delay_alu instid0(SALU_CYCLE_1) | instskip(NEXT) | instid1(SALU_CYCLE_1)
	s_add_i32 s8, s8, s24
	s_mul_i32 s4, s8, s4
	s_delay_alu instid0(SALU_CYCLE_1)
	s_add_i32 s34, s4, 1
.LBB113_9:
	s_clause 0x4
	s_load_b32 s8, s[0:1], 0x48
	s_load_b64 s[30:31], s[0:1], 0x28
	s_load_b32 s4, s[0:1], 0x98
	s_load_b128 s[16:19], s[0:1], 0x0
	s_load_b64 s[22:23], s[0:1], 0x10
	s_xor_b32 s36, s2, s11
	s_mul_i32 s2, s35, s21
	s_add_i32 s38, s35, 1
	s_sub_i32 s2, s28, s2
	v_lshrrev_b32_e32 v53, 5, v0
	v_dual_mov_b32 v57, 0xff7fffff :: v_dual_and_b32 v54, 31, v0
	s_mul_i32 s6, s7, s6
	s_delay_alu instid0(VALU_DEP_2) | instskip(NEXT) | instid1(VALU_DEP_2)
	v_lshl_add_u32 v55, v53, 5, s15
	v_lshlrev_b32_e32 v56, 2, v54
	s_waitcnt lgkmcnt(0)
	s_mul_i32 s28, s14, s8
	s_sub_i32 s8, s2, s21
	s_ashr_i32 s29, s28, 31
	s_cmp_ge_u32 s2, s21
	s_cselect_b32 s35, s38, s35
	s_cselect_b32 s2, s8, s2
	s_add_i32 s8, s35, 1
	s_cmp_ge_u32 s2, s21
	s_cselect_b32 s2, s8, s35
	s_add_i32 s8, s33, 31
	s_lshl_b32 s38, s12, 4
	s_ashr_i32 s35, s8, 31
	v_add_nc_u32_e32 v49, s38, v53
	s_lshr_b32 s35, s35, 27
	s_add_i32 s39, s38, 16
	s_add_i32 s8, s8, s35
	s_xor_b32 s40, s2, s36
	s_ashr_i32 s35, s8, 5
	v_ashrrev_i32_e32 v50, 31, v49
	s_min_i32 s8, s39, s35
	s_sub_i32 s36, s40, s36
	v_cmp_gt_i32_e64 s2, s8, v49
	s_delay_alu instid0(VALU_DEP_1)
	s_and_saveexec_b32 s39, s2
	s_cbranch_execz .LBB113_17
; %bb.10:
	s_load_b64 s[0:1], s[0:1], 0x20
	s_ashr_i32 s7, s6, 31
	v_subrev_nc_u32_e32 v5, s33, v54
	s_lshl_b64 s[40:41], s[6:7], 1
	s_sub_i32 s7, s36, s9
	v_dual_mov_b32 v66, v49 :: v_dual_lshlrev_b32 v3, 4, v54
	s_delay_alu instid0(VALU_DEP_2)
	v_add_nc_u32_e32 v61, 1, v5
	v_lshl_or_b32 v7, v53, 7, v56
	v_cmp_neq_f32_e64 vcc_lo, s37, 0
	v_lshl_add_u32 v58, v53, 5, s15
	v_mov_b32_e32 v59, 0xff7fffff
	v_mov_b32_e32 v57, 0xff7fffff
	v_add_nc_u32_e32 v62, 0xe0, v7
	v_mov_b32_e32 v60, 0
	s_waitcnt lgkmcnt(0)
	s_add_u32 s42, s0, s40
	s_addc_u32 s41, s1, s41
	s_abs_i32 s40, s10
	v_add_co_u32 v63, s42, s42, v3
	v_cvt_f32_u32_e32 v1, s40
	s_sub_i32 s0, 0, s40
	v_add_co_ci_u32_e64 v64, null, s41, 0, s42
	s_mov_b32 s42, s5
	s_delay_alu instid0(VALU_DEP_2) | instskip(SKIP_3) | instid1(VALU_DEP_1)
	v_rcp_iflag_f32_e32 v1, v1
	s_mov_b32 s41, 0
	s_waitcnt_depctr 0xfff
	v_mul_f32_e32 v1, 0x4f7ffffe, v1
	v_cvt_u32_f32_e32 v4, v1
	v_lshlrev_b64 v[1:2], 2, v[49:50]
	s_delay_alu instid0(VALU_DEP_2) | instskip(SKIP_1) | instid1(SALU_CYCLE_1)
	v_mul_lo_u32 v6, s0, v4
	s_lshl_b64 s[0:1], s[28:29], 2
	s_add_u32 s0, s26, s0
	s_addc_u32 s1, s27, s1
	s_delay_alu instid0(VALU_DEP_2) | instskip(NEXT) | instid1(VALU_DEP_1)
	v_add_co_u32 v51, s0, s0, v1
	v_add_co_ci_u32_e64 v52, s0, s1, v2, s0
	s_delay_alu instid0(VALU_DEP_3) | instskip(NEXT) | instid1(VALU_DEP_1)
	v_mul_hi_u32 v5, v4, v6
	v_add_nc_u32_e32 v65, v4, v5
	s_branch .LBB113_12
.LBB113_11:                             ;   in Loop: Header=BB113_12 Depth=1
	s_or_b32 exec_lo, exec_lo, s1
	v_add_nc_u32_e32 v66, 4, v66
	v_add_co_u32 v51, s1, v51, 16
	s_delay_alu instid0(VALU_DEP_1) | instskip(NEXT) | instid1(VALU_DEP_3)
	v_add_co_ci_u32_e64 v52, s1, 0, v52, s1
	v_cmp_le_i32_e64 s0, s8, v66
	v_add_nc_u32_e32 v58, 0x80, v58
	v_add_nc_u32_e32 v62, 0x200, v62
	s_delay_alu instid0(VALU_DEP_3) | instskip(NEXT) | instid1(SALU_CYCLE_1)
	s_or_b32 s41, s0, s41
	s_and_not1_b32 exec_lo, exec_lo, s41
	s_cbranch_execz .LBB113_16
.LBB113_12:                             ; =>This Inner Loop Header: Depth=1
	v_sub_nc_u32_e32 v1, 0, v58
	s_delay_alu instid0(VALU_DEP_1) | instskip(NEXT) | instid1(VALU_DEP_1)
	v_max_i32_e32 v1, v58, v1
	v_mul_hi_u32 v2, v1, s25
	s_delay_alu instid0(VALU_DEP_1) | instskip(NEXT) | instid1(VALU_DEP_1)
	v_mul_lo_u32 v3, v2, s21
	v_sub_nc_u32_e32 v1, v1, v3
	v_add_nc_u32_e32 v3, 1, v2
	s_delay_alu instid0(VALU_DEP_2) | instskip(SKIP_1) | instid1(VALU_DEP_1)
	v_subrev_nc_u32_e32 v4, s21, v1
	v_cmp_le_u32_e64 s0, s21, v1
	v_cndmask_b32_e64 v2, v2, v3, s0
	s_delay_alu instid0(VALU_DEP_3) | instskip(SKIP_1) | instid1(VALU_DEP_3)
	v_cndmask_b32_e64 v1, v1, v4, s0
	v_ashrrev_i32_e32 v3, 31, v58
	v_add_nc_u32_e32 v4, 1, v2
	s_delay_alu instid0(VALU_DEP_3) | instskip(NEXT) | instid1(VALU_DEP_3)
	v_cmp_le_u32_e64 s0, s21, v1
	v_xor_b32_e32 v3, s11, v3
	s_delay_alu instid0(VALU_DEP_2) | instskip(NEXT) | instid1(VALU_DEP_1)
	v_cndmask_b32_e64 v1, v2, v4, s0
	v_xor_b32_e32 v1, v1, v3
	s_delay_alu instid0(VALU_DEP_1) | instskip(NEXT) | instid1(VALU_DEP_1)
	v_sub_nc_u32_e32 v1, v1, v3
	v_add_nc_u32_e32 v2, s34, v1
	v_cmp_ge_i32_e64 s1, s7, v1
	s_delay_alu instid0(VALU_DEP_2) | instskip(NEXT) | instid1(VALU_DEP_1)
	v_sub_nc_u32_e32 v3, 0, v2
	v_max_i32_e32 v3, v2, v3
	v_ashrrev_i32_e32 v2, 31, v2
	s_delay_alu instid0(VALU_DEP_2) | instskip(NEXT) | instid1(VALU_DEP_1)
	v_mul_hi_u32 v4, v3, v65
	v_mul_lo_u32 v4, v4, s40
	s_delay_alu instid0(VALU_DEP_1) | instskip(NEXT) | instid1(VALU_DEP_1)
	v_sub_nc_u32_e32 v3, v3, v4
	v_subrev_nc_u32_e32 v4, s40, v3
	v_cmp_le_u32_e64 s0, s40, v3
	s_delay_alu instid0(VALU_DEP_1) | instskip(NEXT) | instid1(VALU_DEP_1)
	v_cndmask_b32_e64 v3, v3, v4, s0
	v_subrev_nc_u32_e32 v4, s40, v3
	v_cmp_le_u32_e64 s0, s40, v3
	s_delay_alu instid0(VALU_DEP_1) | instskip(NEXT) | instid1(VALU_DEP_1)
	v_cndmask_b32_e64 v3, v3, v4, s0
	v_xor_b32_e32 v3, v3, v2
	s_delay_alu instid0(VALU_DEP_1) | instskip(NEXT) | instid1(VALU_DEP_1)
	v_sub_nc_u32_e32 v2, v3, v2
	v_cmp_ne_u32_e64 s0, 0, v2
	s_delay_alu instid0(VALU_DEP_1) | instskip(NEXT) | instid1(SALU_CYCLE_1)
	s_and_b32 s0, s0, s1
	s_and_saveexec_b32 s1, s0
	s_delay_alu instid0(SALU_CYCLE_1)
	s_xor_b32 s0, exec_lo, s1
	s_cbranch_execz .LBB113_14
; %bb.13:                               ;   in Loop: Header=BB113_12 Depth=1
	ds_store_b32 v62, v59
.LBB113_14:                             ;   in Loop: Header=BB113_12 Depth=1
	s_and_not1_saveexec_b32 s1, s0
	s_cbranch_execz .LBB113_11
; %bb.15:                               ;   in Loop: Header=BB113_12 Depth=1
	global_load_b32 v3, v[51:52], off
	s_waitcnt vmcnt(0)
	v_mad_i64_i32 v[1:2], null, v3, s42, 0
	s_delay_alu instid0(VALU_DEP_1) | instskip(NEXT) | instid1(VALU_DEP_1)
	v_lshlrev_b64 v[1:2], 1, v[1:2]
	v_add_co_u32 v33, s0, v63, v1
	s_delay_alu instid0(VALU_DEP_1)
	v_add_co_ci_u32_e64 v34, s0, v64, v2, s0
	s_clause 0x7
	global_load_b128 v[29:32], v[33:34], off
	global_load_b128 v[25:28], v[33:34], off offset:512
	global_load_b128 v[21:24], v[33:34], off offset:1024
	;; [unrolled: 1-line block ×7, first 2 shown]
	v_add_co_u32 v41, s0, 0x1000, v33
	s_delay_alu instid0(VALU_DEP_1)
	v_add_co_ci_u32_e64 v42, s0, 0, v34, s0
	s_clause 0x3
	global_load_b128 v[37:40], v[41:42], off
	global_load_b128 v[33:36], v[41:42], off offset:512
	global_load_b128 v[45:48], v[41:42], off offset:1024
	global_load_b128 v[41:44], v[41:42], off offset:1536
	ds_load_b128 v[67:70], v60
	s_waitcnt lgkmcnt(0)
	v_lshrrev_b32_e32 v71, 16, v67
	v_and_b32_e32 v67, 0xffff, v67
	v_lshrrev_b32_e32 v72, 16, v68
	v_lshrrev_b32_e32 v73, 16, v69
	;; [unrolled: 1-line block ×3, first 2 shown]
	v_and_b32_e32 v68, 0xffff, v68
	v_and_b32_e32 v69, 0xffff, v69
	;; [unrolled: 1-line block ×3, first 2 shown]
	;;#ASMSTART
	v_cvt_f32_f16 v75, v67;
	;;#ASMEND
	;;#ASMSTART
	v_cvt_f32_f16 v71, v71;
	;;#ASMEND
	s_waitcnt vmcnt(11)
	v_lshrrev_b32_e32 v76, 16, v30
	v_lshrrev_b32_e32 v77, 16, v31
	;; [unrolled: 1-line block ×4, first 2 shown]
	v_and_b32_e32 v29, 0xffff, v29
	v_and_b32_e32 v30, 0xffff, v30
	;; [unrolled: 1-line block ×3, first 2 shown]
	s_waitcnt vmcnt(7)
	v_lshrrev_b32_e32 v98, 16, v13
	v_and_b32_e32 v99, 0xffff, v13
	v_lshrrev_b32_e32 v100, 16, v14
	v_and_b32_e32 v101, 0xffff, v14
	;; [unrolled: 2-line block ×4, first 2 shown]
	;;#ASMSTART
	v_cvt_f32_f16 v107, v29;
	;;#ASMEND
	;;#ASMSTART
	v_cvt_f32_f16 v108, v67;
	;;#ASMEND
	v_and_b32_e32 v31, 0xffff, v31
	;;#ASMSTART
	v_cvt_f32_f16 v109, v68;
	;;#ASMEND
	;;#ASMSTART
	v_cvt_f32_f16 v72, v72;
	;;#ASMEND
	;; [unrolled: 3-line block ×12, first 2 shown]
	ds_load_b128 v[13:16], v60 offset:16
	s_waitcnt vmcnt(4)
	v_lshrrev_b32_e32 v68, 16, v1
	v_and_b32_e32 v70, 0xffff, v1
	v_lshrrev_b32_e32 v67, 16, v2
	v_and_b32_e32 v69, 0xffff, v2
	;; [unrolled: 2-line block ×5, first 2 shown]
	v_lshrrev_b32_e32 v80, 16, v26
	v_lshrrev_b32_e32 v81, 16, v27
	;; [unrolled: 1-line block ×4, first 2 shown]
	v_and_b32_e32 v115, 0xffff, v9
	v_lshrrev_b32_e32 v116, 16, v10
	v_and_b32_e32 v117, 0xffff, v10
	v_lshrrev_b32_e32 v128, 16, v8
	v_and_b32_e32 v129, 0xffff, v8
	s_waitcnt lgkmcnt(0)
	v_lshrrev_b32_e32 v1, 16, v13
	v_and_b32_e32 v2, 0xffff, v13
	;;#ASMSTART
	v_cvt_f32_f16 v13, v2;
	;;#ASMEND
	v_lshrrev_b32_e32 v5, 16, v14
	v_and_b32_e32 v6, 0xffff, v14
	;;#ASMSTART
	v_cvt_f32_f16 v14, v1;
	;;#ASMEND
	;;#ASMSTART
	v_cvt_f32_f16 v130, v25;
	;;#ASMEND
	v_dual_mul_f32 v13, v13, v130 :: v_dual_and_b32 v8, 0xffff, v15
	v_lshrrev_b32_e32 v9, 16, v16
	v_and_b32_e32 v10, 0xffff, v16
	s_delay_alu instid0(VALU_DEP_3)
	v_dual_fmac_f32 v13, v75, v107 :: v_dual_and_b32 v26, 0xffff, v26
	v_and_b32_e32 v27, 0xffff, v27
	v_lshrrev_b32_e32 v118, 16, v11
	v_and_b32_e32 v119, 0xffff, v11
	v_lshrrev_b32_e32 v126, 16, v7
	;; [unrolled: 2-line block ×3, first 2 shown]
	;;#ASMSTART
	v_cvt_f32_f16 v79, v79;
	;;#ASMEND
	;;#ASMSTART
	v_cvt_f32_f16 v131, v6;
	;;#ASMEND
	;; [unrolled: 3-line block ×11, first 2 shown]
	v_and_b32_e32 v28, 0xffff, v28
	;;#ASMSTART
	v_cvt_f32_f16 v139, v28;
	;;#ASMEND
	;;#ASMSTART
	v_cvt_f32_f16 v82, v82;
	;;#ASMEND
	ds_load_b128 v[8:11], v60 offset:32
	v_mul_f32_e32 v14, v14, v79
	v_lshrrev_b32_e32 v83, 16, v21
	v_and_b32_e32 v84, 0xffff, v21
	v_lshrrev_b32_e32 v85, 16, v22
	v_lshrrev_b32_e32 v86, 16, v23
	v_dual_fmac_f32 v14, v71, v108 :: v_dual_and_b32 v87, 0xffff, v23
	v_lshrrev_b32_e32 v88, 16, v24
	v_lshrrev_b32_e32 v120, 16, v12
	v_and_b32_e32 v121, 0xffff, v12
	v_and_b32_e32 v22, 0xffff, v22
	v_lshrrev_b32_e32 v94, 16, v19
	v_and_b32_e32 v95, 0xffff, v19
	v_lshrrev_b32_e32 v90, 16, v17
	s_waitcnt vmcnt(3)
	v_and_b32_e32 v21, 0xffff, v39
	v_lshrrev_b32_e32 v96, 16, v20
	v_and_b32_e32 v97, 0xffff, v20
	v_lshrrev_b32_e32 v140, 16, v3
	v_and_b32_e32 v141, 0xffff, v3
	s_waitcnt lgkmcnt(0)
	v_lshrrev_b32_e32 v12, 16, v8
	v_and_b32_e32 v8, 0xffff, v8
	v_lshrrev_b32_e32 v26, 16, v11
	;;#ASMSTART
	v_cvt_f32_f16 v144, v8;
	;;#ASMEND
	;;#ASMSTART
	v_cvt_f32_f16 v145, v12;
	;;#ASMEND
	;; [unrolled: 3-line block ×4, first 2 shown]
	v_dual_fmac_f32 v14, v145, v83 :: v_dual_and_b32 v89, 0xffff, v24
	v_lshrrev_b32_e32 v16, 16, v9
	v_and_b32_e32 v9, 0xffff, v9
	v_lshrrev_b32_e32 v19, 16, v10
	v_and_b32_e32 v10, 0xffff, v10
	v_and_b32_e32 v11, 0xffff, v11
	;;#ASMSTART
	v_cvt_f32_f16 v146, v9;
	;;#ASMEND
	;;#ASMSTART
	v_cvt_f32_f16 v147, v16;
	;;#ASMEND
	;; [unrolled: 3-line block ×12, first 2 shown]
	ds_load_b128 v[26:29], v60 offset:48
	v_fmac_f32_e32 v13, v144, v84
	v_and_b32_e32 v91, 0xffff, v17
	v_lshrrev_b32_e32 v17, 16, v39
	v_lshrrev_b32_e32 v142, 16, v4
	v_and_b32_e32 v143, 0xffff, v4
	v_lshrrev_b32_e32 v23, 16, v37
	v_and_b32_e32 v25, 0xffff, v37
	;; [unrolled: 2-line block ×3, first 2 shown]
	s_waitcnt vmcnt(2)
	v_lshrrev_b32_e32 v5, 16, v33
	v_and_b32_e32 v7, 0xffff, v33
	v_lshrrev_b32_e32 v3, 16, v34
	v_and_b32_e32 v6, 0xffff, v34
	v_lshrrev_b32_e32 v2, 16, v35
	v_lshrrev_b32_e32 v1, 16, v36
	v_and_b32_e32 v153, 0xffff, v36
	s_waitcnt vmcnt(1)
	v_lshrrev_b32_e32 v36, 16, v45
	v_and_b32_e32 v38, 0xffff, v45
	v_lshrrev_b32_e32 v34, 16, v46
	s_waitcnt lgkmcnt(0)
	v_lshrrev_b32_e32 v39, 16, v27
	v_and_b32_e32 v27, 0xffff, v27
	v_and_b32_e32 v37, 0xffff, v46
	v_lshrrev_b32_e32 v31, 16, v47
	v_lshrrev_b32_e32 v30, 16, v48
	s_waitcnt vmcnt(0)
	v_lshrrev_b32_e32 v8, 16, v44
	v_and_b32_e32 v9, 0xffff, v44
	v_lshrrev_b32_e32 v33, 16, v26
	v_and_b32_e32 v26, 0xffff, v26
	;;#ASMSTART
	v_cvt_f32_f16 v44, v26;
	;;#ASMEND
	;;#ASMSTART
	v_cvt_f32_f16 v45, v33;
	;;#ASMEND
	;; [unrolled: 3-line block ×3, first 2 shown]
	v_dual_fmac_f32 v13, v44, v46 :: v_dual_and_b32 v4, 0xffff, v35
	v_and_b32_e32 v35, 0xffff, v47
	v_and_b32_e32 v32, 0xffff, v48
	;;#ASMSTART
	v_cvt_f32_f16 v47, v90;
	;;#ASMEND
	;;#ASMSTART
	v_cvt_f32_f16 v48, v27;
	;;#ASMEND
	v_mul_f32_e32 v27, v135, v81
	v_lshrrev_b32_e32 v92, 16, v18
	v_dual_fmac_f32 v14, v45, v47 :: v_dual_and_b32 v93, 0xffff, v18
	v_lshrrev_b32_e32 v15, 16, v40
	s_delay_alu instid0(VALU_DEP_4)
	v_dual_fmac_f32 v27, v73, v77 :: v_dual_and_b32 v18, 0xffff, v40
	v_lshrrev_b32_e32 v40, 16, v28
	v_and_b32_e32 v28, 0xffff, v28
	;;#ASMSTART
	v_cvt_f32_f16 v79, v39;
	;;#ASMEND
	;;#ASMSTART
	v_cvt_f32_f16 v90, v93;
	;;#ASMEND
	;;#ASMSTART
	v_cvt_f32_f16 v91, v92;
	;;#ASMEND
	;;#ASMSTART
	v_cvt_f32_f16 v92, v28;
	;;#ASMEND
	v_dual_mul_f32 v33, v131, v133 :: v_dual_mul_f32 v28, v134, v136
	v_lshrrev_b32_e32 v19, 16, v41
	v_and_b32_e32 v22, 0xffff, v41
	v_lshrrev_b32_e32 v41, 16, v29
	s_delay_alu instid0(VALU_DEP_4) | instskip(SKIP_3) | instid1(VALU_DEP_4)
	v_dual_fmac_f32 v33, v109, v110 :: v_dual_fmac_f32 v28, v111, v112
	v_lshrrev_b32_e32 v12, 16, v42
	v_lshrrev_b32_e32 v10, 16, v43
	v_and_b32_e32 v11, 0xffff, v43
	v_dual_fmac_f32 v33, v146, v148 :: v_dual_fmac_f32 v28, v149, v87
	v_and_b32_e32 v29, 0xffff, v29
	;;#ASMSTART
	v_cvt_f32_f16 v93, v40;
	;;#ASMEND
	;;#ASMSTART
	v_cvt_f32_f16 v95, v95;
	;;#ASMEND
	;; [unrolled: 3-line block ×5, first 2 shown]
	v_fmac_f32_e32 v33, v48, v90
	v_and_b32_e32 v16, 0xffff, v42
	v_fmac_f32_e32 v28, v92, v95
	;;#ASMSTART
	v_cvt_f32_f16 v97, v97;
	;;#ASMEND
	;;#ASMSTART
	v_cvt_f32_f16 v96, v96;
	;;#ASMEND
	ds_load_b128 v[40:43], v60 offset:64
	v_mul_f32_e32 v29, v132, v80
	v_mul_f32_e32 v39, v138, v82
	v_dual_fmac_f32 v27, v150, v86 :: v_dual_mul_f32 v26, v137, v139
	s_delay_alu instid0(VALU_DEP_3) | instskip(NEXT) | instid1(VALU_DEP_3)
	v_fmac_f32_e32 v29, v72, v76
	v_fmac_f32_e32 v39, v74, v78
	s_delay_alu instid0(VALU_DEP_3) | instskip(NEXT) | instid1(VALU_DEP_3)
	v_fmac_f32_e32 v27, v93, v94
	v_dual_fmac_f32 v26, v113, v114 :: v_dual_fmac_f32 v29, v147, v85
	s_delay_alu instid0(VALU_DEP_1) | instskip(NEXT) | instid1(VALU_DEP_2)
	v_dual_fmac_f32 v39, v152, v88 :: v_dual_fmac_f32 v26, v151, v89
	v_fmac_f32_e32 v29, v79, v91
	s_delay_alu instid0(VALU_DEP_2) | instskip(NEXT) | instid1(VALU_DEP_3)
	v_fmac_f32_e32 v39, v154, v96
	v_fmac_f32_e32 v26, v130, v97
	s_waitcnt lgkmcnt(0)
	v_lshrrev_b32_e32 v75, 16, v40
	v_lshrrev_b32_e32 v80, 16, v41
	v_and_b32_e32 v40, 0xffff, v40
	v_and_b32_e32 v41, 0xffff, v41
	v_lshrrev_b32_e32 v81, 16, v42
	v_lshrrev_b32_e32 v82, 16, v43
	v_and_b32_e32 v43, 0xffff, v43
	;;#ASMSTART
	v_cvt_f32_f16 v107, v40;
	;;#ASMEND
	;;#ASMSTART
	v_cvt_f32_f16 v75, v75;
	;;#ASMEND
	;; [unrolled: 3-line block ×7, first 2 shown]
	v_dual_fmac_f32 v33, v131, v101 :: v_dual_and_b32 v42, 0xffff, v42
	;;#ASMSTART
	v_cvt_f32_f16 v100, v100;
	;;#ASMEND
	;;#ASMSTART
	v_cvt_f32_f16 v132, v42;
	;;#ASMEND
	;; [unrolled: 3-line block ×9, first 2 shown]
	ds_load_b128 v[40:43], v60 offset:80
	v_fmac_f32_e32 v29, v80, v100
	v_fmac_f32_e32 v39, v82, v104
	;; [unrolled: 1-line block ×7, first 2 shown]
	s_waitcnt lgkmcnt(0)
	v_lshrrev_b32_e32 v71, 16, v40
	v_and_b32_e32 v40, 0xffff, v40
	v_lshrrev_b32_e32 v72, 16, v41
	v_and_b32_e32 v41, 0xffff, v41
	;; [unrolled: 2-line block ×4, first 2 shown]
	;;#ASMSTART
	v_cvt_f32_f16 v109, v40;
	;;#ASMEND
	;;#ASMSTART
	v_cvt_f32_f16 v71, v71;
	;;#ASMEND
	;; [unrolled: 3-line block ×16, first 2 shown]
	v_fmac_f32_e32 v39, v108, v120
	ds_load_b128 v[40:43], v60 offset:96
	v_fmac_f32_e32 v13, v109, v110
	v_fmac_f32_e32 v27, v76, v118
	;; [unrolled: 1-line block ×3, first 2 shown]
	v_dual_fmac_f32 v29, v72, v115 :: v_dual_fmac_f32 v14, v71, v106
	v_fmac_f32_e32 v28, v116, v117
	v_fmac_f32_e32 v26, v119, v121
	s_waitcnt lgkmcnt(0)
	v_lshrrev_b32_e32 v73, 16, v40
	v_and_b32_e32 v40, 0xffff, v40
	v_lshrrev_b32_e32 v74, 16, v41
	v_and_b32_e32 v41, 0xffff, v41
	v_lshrrev_b32_e32 v77, 16, v42
	v_lshrrev_b32_e32 v78, 16, v43
	v_and_b32_e32 v43, 0xffff, v43
	;;#ASMSTART
	v_cvt_f32_f16 v84, v40;
	;;#ASMEND
	;;#ASMSTART
	v_cvt_f32_f16 v73, v73;
	;;#ASMEND
	;; [unrolled: 3-line block ×3, first 2 shown]
	v_dual_fmac_f32 v13, v84, v113 :: v_dual_and_b32 v42, 0xffff, v42
	;;#ASMSTART
	v_cvt_f32_f16 v114, v122;
	;;#ASMEND
	;;#ASMSTART
	v_cvt_f32_f16 v122, v41;
	;;#ASMEND
	;; [unrolled: 3-line block ×13, first 2 shown]
	ds_load_b128 v[40:43], v60 offset:112
	v_fmac_f32_e32 v33, v122, v123
	v_fmac_f32_e32 v29, v74, v124
	;; [unrolled: 1-line block ×4, first 2 shown]
	v_dual_fmac_f32 v39, v78, v128 :: v_dual_add_nc_u32 v86, v61, v58
	v_fmac_f32_e32 v28, v125, v127
	v_fmac_f32_e32 v26, v134, v129
	s_delay_alu instid0(VALU_DEP_3)
	v_cvt_f32_i32_e32 v86, v86
	s_waitcnt lgkmcnt(0)
	v_lshrrev_b32_e32 v83, 16, v40
	v_and_b32_e32 v40, 0xffff, v40
	v_lshrrev_b32_e32 v85, 16, v41
	v_and_b32_e32 v41, 0xffff, v41
	;; [unrolled: 2-line block ×4, first 2 shown]
	;;#ASMSTART
	v_cvt_f32_f16 v136, v40;
	;;#ASMEND
	;;#ASMSTART
	v_cvt_f32_f16 v83, v83;
	;;#ASMEND
	;; [unrolled: 3-line block ×16, first 2 shown]
	ds_load_b128 v[40:43], v60 offset:128
	v_fmac_f32_e32 v33, v137, v69
	v_fmac_f32_e32 v13, v136, v70
	v_dual_fmac_f32 v29, v85, v67 :: v_dual_fmac_f32 v14, v83, v68
	v_fmac_f32_e32 v28, v138, v139
	v_fmac_f32_e32 v26, v141, v143
	s_waitcnt lgkmcnt(0)
	v_lshrrev_b32_e32 v44, 16, v40
	v_and_b32_e32 v40, 0xffff, v40
	v_lshrrev_b32_e32 v45, 16, v41
	v_and_b32_e32 v41, 0xffff, v41
	;; [unrolled: 2-line block ×4, first 2 shown]
	;;#ASMSTART
	v_cvt_f32_f16 v48, v40;
	;;#ASMEND
	;;#ASMSTART
	v_cvt_f32_f16 v44, v44;
	;;#ASMEND
	;; [unrolled: 3-line block ×16, first 2 shown]
	ds_load_b128 v[40:43], v60 offset:144
	v_fmac_f32_e32 v13, v48, v25
	v_dual_fmac_f32 v14, v44, v23 :: v_dual_fmac_f32 v33, v79, v24
	v_dual_fmac_f32 v29, v45, v20 :: v_dual_fmac_f32 v28, v88, v21
	v_fmac_f32_e32 v26, v89, v18
	s_waitcnt lgkmcnt(0)
	v_lshrrev_b32_e32 v71, 16, v40
	v_and_b32_e32 v40, 0xffff, v40
	v_lshrrev_b32_e32 v72, 16, v41
	v_and_b32_e32 v41, 0xffff, v41
	;; [unrolled: 2-line block ×4, first 2 shown]
	;;#ASMSTART
	v_cvt_f32_f16 v40, v40;
	;;#ASMEND
	;;#ASMSTART
	v_cvt_f32_f16 v71, v71;
	;;#ASMEND
	;; [unrolled: 3-line block ×16, first 2 shown]
	ds_load_b128 v[1:4], v60 offset:160
	v_fmac_f32_e32 v27, v87, v140
	v_fmac_f32_e32 v39, v135, v142
	v_dual_fmac_f32 v14, v71, v5 :: v_dual_fmac_f32 v33, v41, v6
	v_dual_fmac_f32 v29, v72, v80 :: v_dual_fmac_f32 v28, v42, v81
	v_fmac_f32_e32 v26, v43, v84
	s_waitcnt lgkmcnt(0)
	v_lshrrev_b32_e32 v20, 16, v1
	v_and_b32_e32 v1, 0xffff, v1
	v_lshrrev_b32_e32 v23, 16, v2
	v_and_b32_e32 v2, 0xffff, v2
	;; [unrolled: 2-line block ×4, first 2 shown]
	;;#ASMSTART
	v_cvt_f32_f16 v44, v1;
	;;#ASMEND
	;;#ASMSTART
	v_cvt_f32_f16 v20, v20;
	;;#ASMEND
	;; [unrolled: 3-line block ×16, first 2 shown]
	ds_load_b128 v[1:4], v60 offset:176
	v_dual_fmac_f32 v14, v20, v36 :: v_dual_fmac_f32 v39, v47, v15
	v_fmac_f32_e32 v33, v45, v37
	v_fmac_f32_e32 v29, v23, v34
	v_dual_fmac_f32 v27, v46, v17 :: v_dual_fmac_f32 v28, v48, v35
	s_delay_alu instid0(VALU_DEP_4) | instskip(NEXT) | instid1(VALU_DEP_1)
	v_dual_fmac_f32 v39, v76, v90 :: v_dual_fmac_f32 v26, v67, v32
	v_fmac_f32_e32 v39, v25, v30
	s_waitcnt lgkmcnt(0)
	v_lshrrev_b32_e32 v6, 16, v2
	v_dual_fmac_f32 v13, v40, v7 :: v_dual_and_b32 v2, 0xffff, v2
	v_and_b32_e32 v5, 0xffff, v1
	v_lshrrev_b32_e32 v1, 16, v1
	;;#ASMSTART
	v_cvt_f32_f16 v5, v5;
	;;#ASMEND
	;;#ASMSTART
	v_cvt_f32_f16 v1, v1;
	;;#ASMEND
	v_fmac_f32_e32 v13, v44, v38
	;;#ASMSTART
	v_cvt_f32_f16 v7, v22;
	;;#ASMEND
	;;#ASMSTART
	v_cvt_f32_f16 v15, v19;
	;;#ASMEND
	v_fmac_f32_e32 v14, v1, v15
	;;#ASMSTART
	v_cvt_f32_f16 v1, v2;
	;;#ASMEND
	v_fmac_f32_e32 v13, v5, v7
	;;#ASMSTART
	v_cvt_f32_f16 v2, v6;
	;;#ASMEND
	;;#ASMSTART
	v_cvt_f32_f16 v5, v16;
	;;#ASMEND
	v_fmac_f32_e32 v33, v1, v5
	v_and_b32_e32 v5, 0xffff, v3
	v_add_f32_e32 v1, v13, v14
	v_lshrrev_b32_e32 v3, 16, v3
	;;#ASMSTART
	v_cvt_f32_f16 v6, v12;
	;;#ASMEND
	v_fmac_f32_e32 v29, v2, v6
	;;#ASMSTART
	v_cvt_f32_f16 v2, v5;
	;;#ASMEND
	v_add_f32_e32 v1, v1, v33
	;;#ASMSTART
	v_cvt_f32_f16 v3, v3;
	;;#ASMEND
	;;#ASMSTART
	v_cvt_f32_f16 v5, v11;
	;;#ASMEND
	v_fmac_f32_e32 v28, v2, v5
	v_dual_fmac_f32 v27, v75, v82 :: v_dual_and_b32 v2, 0xffff, v4
	v_add_f32_e32 v1, v29, v1
	;;#ASMSTART
	v_cvt_f32_f16 v5, v10;
	;;#ASMEND
	v_lshrrev_b32_e32 v4, 16, v4
	;;#ASMSTART
	v_cvt_f32_f16 v2, v2;
	;;#ASMEND
	v_fmac_f32_e32 v27, v24, v31
	v_add_f32_e32 v1, v1, v28
	s_delay_alu instid0(VALU_DEP_2) | instskip(SKIP_3) | instid1(VALU_DEP_2)
	v_fmac_f32_e32 v27, v3, v5
	;;#ASMSTART
	v_cvt_f32_f16 v3, v4;
	;;#ASMEND
	;;#ASMSTART
	v_cvt_f32_f16 v4, v9;
	;;#ASMEND
	v_fmac_f32_e32 v26, v2, v4
	v_dual_mul_f32 v2, s37, v86 :: v_dual_add_f32 v1, v27, v1
	;;#ASMSTART
	v_cvt_f32_f16 v4, v8;
	;;#ASMEND
	v_fmac_f32_e32 v39, v3, v4
	s_delay_alu instid0(VALU_DEP_2) | instskip(NEXT) | instid1(VALU_DEP_3)
	v_dual_max_f32 v3, v57, v57 :: v_dual_cndmask_b32 v2, 0, v2
	v_add_f32_e32 v1, v1, v26
	s_delay_alu instid0(VALU_DEP_1) | instskip(NEXT) | instid1(VALU_DEP_1)
	v_add_f32_e32 v1, v39, v1
	v_dual_fmac_f32 v2, s3, v1 :: v_dual_add_nc_u32 v1, v54, v58
	s_delay_alu instid0(VALU_DEP_1) | instskip(NEXT) | instid1(VALU_DEP_2)
	v_max_f32_e32 v3, v3, v2
	v_cmp_gt_i32_e64 s0, s33, v1
	s_delay_alu instid0(VALU_DEP_1) | instskip(NEXT) | instid1(VALU_DEP_3)
	v_cndmask_b32_e64 v1, 0, v2, s0
	v_cndmask_b32_e64 v57, v57, v3, s0
	ds_store_b32 v62, v1
	s_branch .LBB113_11
.LBB113_16:
	s_or_b32 exec_lo, exec_lo, s41
.LBB113_17:
	s_delay_alu instid0(SALU_CYCLE_1) | instskip(SKIP_2) | instid1(VALU_DEP_2)
	s_or_b32 exec_lo, exec_lo, s39
	v_mbcnt_lo_u32_b32 v1, -1, 0
	v_max_f32_e32 v5, v57, v57
	v_xor_b32_e32 v2, 16, v1
	v_xor_b32_e32 v4, 8, v1
	s_delay_alu instid0(VALU_DEP_2) | instskip(SKIP_1) | instid1(VALU_DEP_3)
	v_cmp_gt_i32_e32 vcc_lo, 32, v2
	v_cndmask_b32_e32 v2, v1, v2, vcc_lo
	v_cmp_gt_i32_e32 vcc_lo, 32, v4
	s_delay_alu instid0(VALU_DEP_2) | instskip(SKIP_4) | instid1(VALU_DEP_1)
	v_lshlrev_b32_e32 v2, 2, v2
	v_cndmask_b32_e32 v4, v1, v4, vcc_lo
	ds_bpermute_b32 v3, v2, v57
	s_waitcnt lgkmcnt(0)
	v_dual_max_f32 v6, v3, v3 :: v_dual_lshlrev_b32 v3, 2, v4
	v_max_f32_e32 v4, v5, v6
	v_xor_b32_e32 v6, 4, v1
	ds_bpermute_b32 v5, v3, v4
	v_cmp_gt_i32_e32 vcc_lo, 32, v6
	v_cndmask_b32_e32 v6, v1, v6, vcc_lo
	s_waitcnt lgkmcnt(0)
	v_max_f32_e32 v7, v5, v5
	s_delay_alu instid0(VALU_DEP_1)
	v_dual_max_f32 v4, v4, v7 :: v_dual_lshlrev_b32 v5, 2, v6
	v_xor_b32_e32 v7, 2, v1
	ds_bpermute_b32 v6, v5, v4
	v_cmp_gt_i32_e32 vcc_lo, 32, v7
	s_waitcnt lgkmcnt(0)
	v_dual_cndmask_b32 v7, v1, v7 :: v_dual_max_f32 v6, v6, v6
	s_delay_alu instid0(VALU_DEP_1) | instskip(NEXT) | instid1(VALU_DEP_2)
	v_max_f32_e32 v4, v4, v6
	v_lshlrev_b32_e32 v10, 2, v7
	v_xor_b32_e32 v7, 1, v1
	s_delay_alu instid0(VALU_DEP_1)
	v_cmp_gt_i32_e32 vcc_lo, 32, v7
	v_cndmask_b32_e32 v7, v1, v7, vcc_lo
	ds_bpermute_b32 v6, v10, v4
	v_cmp_eq_u32_e32 vcc_lo, 0, v54
	s_waitcnt lgkmcnt(0)
	v_dual_max_f32 v6, v6, v6 :: v_dual_lshlrev_b32 v9, 2, v7
	s_delay_alu instid0(VALU_DEP_1)
	v_dual_max_f32 v1, v4, v6 :: v_dual_lshlrev_b32 v6, 2, v53
	ds_bpermute_b32 v4, v9, v1
	s_and_saveexec_b32 s0, vcc_lo
	s_cbranch_execz .LBB113_19
; %bb.18:
	s_waitcnt lgkmcnt(0)
	v_dual_max_f32 v4, v4, v4 :: v_dual_max_f32 v1, v1, v1
	s_delay_alu instid0(VALU_DEP_1)
	v_max_f32_e32 v1, v1, v4
	ds_store_b32 v6, v1 offset:192
.LBB113_19:
	s_or_b32 exec_lo, exec_lo, s0
	v_cmp_gt_u32_e64 s0, 4, v54
	v_mov_b32_e32 v1, 0xff7fffff
	s_waitcnt lgkmcnt(0)
	s_barrier
	buffer_gl0_inv
	s_and_saveexec_b32 s1, s0
	s_cbranch_execz .LBB113_21
; %bb.20:
	ds_load_b32 v1, v56 offset:192
.LBB113_21:
	s_or_b32 exec_lo, exec_lo, s1
	s_waitcnt lgkmcnt(0)
	ds_bpermute_b32 v4, v10, v1
	v_max_f32_e32 v1, v1, v1
	s_sub_i32 s1, s8, s38
	v_mov_b32_e32 v7, 0
	s_lshl_b32 s1, s1, 5
	s_delay_alu instid0(SALU_CYCLE_1) | instskip(NEXT) | instid1(SALU_CYCLE_1)
	s_add_i32 s1, s1, s15
	s_min_i32 s1, s1, s33
	s_delay_alu instid0(SALU_CYCLE_1) | instskip(NEXT) | instid1(SALU_CYCLE_1)
	s_sub_i32 s7, s1, s15
	v_cmp_gt_i32_e64 s1, s7, v0
	s_waitcnt lgkmcnt(0)
	v_max_f32_e32 v4, v4, v4
	s_delay_alu instid0(VALU_DEP_1) | instskip(SKIP_3) | instid1(VALU_DEP_1)
	v_max_f32_e32 v1, v1, v4
	ds_bpermute_b32 v4, v9, v1
	s_waitcnt lgkmcnt(0)
	v_max_f32_e32 v4, v4, v4
	v_max_f32_e32 v1, v1, v4
	v_lshl_add_u32 v4, v0, 2, 0xe0
	ds_bpermute_b32 v1, v7, v1
	s_and_saveexec_b32 s15, s1
	s_cbranch_execz .LBB113_25
; %bb.22:
	v_lshl_add_u32 v8, v0, 2, 0xe0
	v_mov_b32_e32 v7, 0
	v_mov_b32_e32 v11, v0
	s_mov_b32 s37, 0
	.p2align	6
.LBB113_23:                             ; =>This Inner Loop Header: Depth=1
	ds_load_b32 v12, v8
	v_add_nc_u32_e32 v11, 0x80, v11
	s_delay_alu instid0(VALU_DEP_1) | instskip(NEXT) | instid1(VALU_DEP_1)
	v_cmp_le_i32_e64 s3, s7, v11
	s_or_b32 s37, s3, s37
	s_waitcnt lgkmcnt(0)
	v_sub_f32_e32 v12, v12, v1
	s_delay_alu instid0(VALU_DEP_1) | instskip(NEXT) | instid1(VALU_DEP_1)
	v_mul_f32_e32 v12, 0x3fb8aa3b, v12
	v_exp_f32_e32 v12, v12
	ds_store_b32 v8, v12
	v_add_f32_e32 v7, v7, v12
	v_add_nc_u32_e32 v8, 0x200, v8
	s_and_not1_b32 exec_lo, exec_lo, s37
	s_cbranch_execnz .LBB113_23
; %bb.24:
	s_or_b32 exec_lo, exec_lo, s37
.LBB113_25:
	s_delay_alu instid0(SALU_CYCLE_1)
	s_or_b32 exec_lo, exec_lo, s15
	ds_bpermute_b32 v2, v2, v7
	s_waitcnt lgkmcnt(0)
	v_add_f32_e32 v2, v7, v2
	ds_bpermute_b32 v3, v3, v2
	s_waitcnt lgkmcnt(0)
	v_add_f32_e32 v2, v2, v3
	;; [unrolled: 3-line block ×5, first 2 shown]
	s_and_saveexec_b32 s3, vcc_lo
	s_cbranch_execz .LBB113_27
; %bb.26:
	ds_store_b32 v6, v2 offset:208
.LBB113_27:
	s_or_b32 exec_lo, exec_lo, s3
	s_waitcnt lgkmcnt(0)
	s_barrier
	buffer_gl0_inv
	s_and_saveexec_b32 s3, s0
	s_cbranch_execz .LBB113_29
; %bb.28:
	ds_load_b32 v2, v56 offset:208
.LBB113_29:
	s_or_b32 exec_lo, exec_lo, s3
	s_waitcnt lgkmcnt(0)
	ds_bpermute_b32 v3, v10, v2
	s_waitcnt lgkmcnt(0)
	v_add_f32_e32 v2, v2, v3
	ds_bpermute_b32 v3, v9, v2
	s_waitcnt lgkmcnt(0)
	v_dual_add_f32 v2, v2, v3 :: v_dual_mov_b32 v3, 0
	ds_bpermute_b32 v2, v3, v2
	s_and_saveexec_b32 s0, s1
	s_cbranch_execz .LBB113_32
; %bb.30:
	s_waitcnt lgkmcnt(0)
	v_add_f32_e32 v3, 0x358637bd, v2
	s_mov_b32 s1, 0
	s_delay_alu instid0(VALU_DEP_1) | instskip(SKIP_1) | instid1(VALU_DEP_2)
	v_div_scale_f32 v5, null, v3, v3, 1.0
	v_div_scale_f32 v8, vcc_lo, 1.0, v3, 1.0
	v_rcp_f32_e32 v6, v5
	s_waitcnt_depctr 0xfff
	v_fma_f32 v7, -v5, v6, 1.0
	s_delay_alu instid0(VALU_DEP_1) | instskip(NEXT) | instid1(VALU_DEP_1)
	v_fmac_f32_e32 v6, v7, v6
	v_mul_f32_e32 v7, v8, v6
	s_delay_alu instid0(VALU_DEP_1) | instskip(NEXT) | instid1(VALU_DEP_1)
	v_fma_f32 v11, -v5, v7, v8
	v_fmac_f32_e32 v7, v11, v6
	s_delay_alu instid0(VALU_DEP_1) | instskip(NEXT) | instid1(VALU_DEP_1)
	v_fma_f32 v5, -v5, v7, v8
	v_div_fmas_f32 v5, v5, v6, v7
	s_delay_alu instid0(VALU_DEP_1)
	v_div_fixup_f32 v3, v5, v3, 1.0
	v_mov_b32_e32 v5, v0
.LBB113_31:                             ; =>This Inner Loop Header: Depth=1
	ds_load_b32 v6, v4
	s_waitcnt lgkmcnt(0)
	v_dual_mul_f32 v6, v3, v6 :: v_dual_add_nc_u32 v5, 0x80, v5
	s_delay_alu instid0(VALU_DEP_1) | instskip(SKIP_3) | instid1(SALU_CYCLE_1)
	v_cmp_le_i32_e32 vcc_lo, s7, v5
	ds_store_b32 v4, v6
	v_add_nc_u32_e32 v4, 0x200, v4
	s_or_b32 s1, vcc_lo, s1
	s_and_not1_b32 exec_lo, exec_lo, s1
	s_cbranch_execnz .LBB113_31
.LBB113_32:
	s_or_b32 exec_lo, exec_lo, s0
	s_mul_i32 s0, s4, s14
	s_waitcnt lgkmcnt(0)
	s_mul_i32 s14, s0, s13
	s_mov_b32 s0, exec_lo
	s_barrier
	buffer_gl0_inv
	v_cmpx_eq_u32_e32 0, v0
	s_cbranch_execz .LBB113_34
; %bb.33:
	s_ashr_i32 s15, s14, 31
	s_mul_i32 s40, s4, s24
	s_lshl_b64 s[38:39], s[14:15], 2
	v_mov_b32_e32 v3, 0
	s_add_u32 s1, s18, s38
	s_addc_u32 s3, s19, s39
	s_ashr_i32 s41, s40, 31
	s_delay_alu instid0(SALU_CYCLE_1) | instskip(NEXT) | instid1(SALU_CYCLE_1)
	s_lshl_b64 s[18:19], s[40:41], 2
	s_add_u32 s1, s1, s18
	s_addc_u32 s3, s3, s19
	s_ashr_i32 s13, s12, 31
	s_delay_alu instid0(SALU_CYCLE_1) | instskip(NEXT) | instid1(SALU_CYCLE_1)
	s_lshl_b64 s[40:41], s[12:13], 2
	s_add_u32 s42, s1, s40
	s_addc_u32 s43, s3, s41
	s_add_u32 s1, s16, s38
	s_addc_u32 s3, s17, s39
	s_add_u32 s1, s1, s18
	s_addc_u32 s3, s3, s19
	s_add_u32 s16, s1, s40
	s_addc_u32 s17, s3, s41
	s_clause 0x1
	global_store_b32 v3, v1, s[42:43]
	global_store_b32 v3, v2, s[16:17]
.LBB113_34:
	s_or_b32 exec_lo, exec_lo, s0
	v_dual_mov_b32 v22, 0 :: v_dual_and_b32 v11, 3, v0
	v_dual_mov_b32 v23, 0 :: v_dual_mov_b32 v20, 0
	v_dual_mov_b32 v21, 0 :: v_dual_mov_b32 v18, 0
	;; [unrolled: 1-line block ×5, first 2 shown]
	v_mov_b32_e32 v13, 0
	s_mov_b32 s3, 0
	s_and_saveexec_b32 s1, s2
	s_cbranch_execz .LBB113_64
; %bb.35:
	s_ashr_i32 s7, s6, 31
	s_sub_i32 s2, s36, s9
	s_lshl_b64 s[6:7], s[6:7], 1
	v_dual_mov_b32 v12, 0 :: v_dual_lshlrev_b32 v3, 3, v0
	s_add_u32 s6, s30, s6
	s_addc_u32 s7, s31, s7
	s_abs_i32 s9, s10
	s_delay_alu instid0(VALU_DEP_1) | instskip(SKIP_4) | instid1(VALU_DEP_3)
	v_dual_mov_b32 v17, 0 :: v_dual_and_b32 v24, 24, v3
	v_cvt_f32_u32_e32 v1, s9
	v_and_b32_e32 v3, 0xf8, v3
	s_sub_i32 s0, 0, s9
	v_dual_mov_b32 v14, 0 :: v_dual_lshlrev_b32 v5, 5, v11
	v_rcp_iflag_f32_e32 v4, v1
	v_mov_b32_e32 v15, 0
	v_or_b32_e32 v18, 0xa00, v3
	v_lshlrev_b64 v[1:2], 2, v[49:50]
	v_lshl_or_b32 v5, v53, 7, v5
	s_lshl_b64 s[18:19], s[28:29], 2
	s_add_i32 s35, s35, -1
	v_dual_mov_b32 v18, 0 :: v_dual_lshlrev_b32 v29, 1, v18
	v_or_b32_e32 v7, 0x800, v3
	s_delay_alu instid0(TRANS32_DEP_1)
	v_mul_f32_e32 v4, 0x4f7ffffe, v4
	v_or_b32_e32 v8, 0x900, v3
	v_or_b32_e32 v19, 0xb00, v3
	v_lshlrev_b32_e32 v26, 1, v3
	s_add_u32 s17, s26, s18
	v_cvt_u32_f32_e32 v4, v4
	v_dual_mov_b32 v20, 0 :: v_dual_add_nc_u32 v25, 0xe0, v5
	v_add_co_u32 v5, vcc_lo, s17, v1
	s_delay_alu instid0(VALU_DEP_3) | instskip(SKIP_4) | instid1(VALU_DEP_4)
	v_mul_lo_u32 v6, s0, v4
	s_addc_u32 s0, s27, s19
	v_dual_mov_b32 v13, 0 :: v_dual_mov_b32 v16, 0
	v_dual_mov_b32 v22, 0 :: v_dual_lshlrev_b32 v27, 1, v7
	v_dual_mov_b32 v21, 0 :: v_dual_lshlrev_b32 v28, 1, v8
	v_mul_hi_u32 v3, v4, v6
	v_add_co_ci_u32_e32 v6, vcc_lo, s0, v2, vcc_lo
	v_dual_mov_b32 v23, 0 :: v_dual_lshlrev_b32 v30, 1, v19
	v_mov_b32_e32 v19, 0
	s_mov_b32 s10, s33
	s_mov_b32 s13, s33
	s_delay_alu instid0(VALU_DEP_4)
	v_add_nc_u32_e32 v31, v4, v3
	s_mov_b32 s15, s33
	s_mov_b32 s16, s33
	;; [unrolled: 1-line block ×5, first 2 shown]
	s_branch .LBB113_38
.LBB113_36:                             ;   in Loop: Header=BB113_38 Depth=1
	s_or_b32 exec_lo, exec_lo, s0
	s_waitcnt vmcnt(0)
	;;#ASMSTART
	v_pk_mul_f16 v1, v44, v1;

	;;#ASMEND
	v_dual_add_f32 v32, v46, v47 :: v_dual_add_f32 v7, v7, v8
	v_dual_add_f32 v33, v66, v67 :: v_dual_add_f32 v34, v64, v65
	v_add_f32_e32 v8, v62, v63
	;;#ASMSTART
	v_pk_mul_f16 v2, v42, v2;

	;;#ASMEND
	;;#ASMSTART
	v_pk_mul_f16 v3, v41, v3;

	;;#ASMEND
	;; [unrolled: 4-line block ×3, first 2 shown]
	v_add_f32_e32 v15, v15, v34
	;;#ASMSTART
	v_pk_add_f16 v1, v1, v2;

	;;#ASMEND
	;;#ASMSTART
	v_pk_add_f16 v1, v1, v3;

	;;#ASMEND
	;; [unrolled: 4-line block ×3, first 2 shown]
	v_dual_add_f32 v3, v51, v52 :: v_dual_and_b32 v2, 0xffff, v1
	v_lshrrev_b32_e32 v1, 16, v1
	;;#ASMSTART
	v_cvt_f32_f16 v2, v2;
	;;#ASMEND
	;;#ASMSTART
	v_cvt_f32_f16 v1, v1;
	;;#ASMEND
	v_dual_add_f32 v13, v13, v32 :: v_dual_add_f32 v14, v14, v33
	v_dual_add_f32 v32, v60, v61 :: v_dual_add_f32 v33, v58, v59
	;; [unrolled: 1-line block ×5, first 2 shown]
	s_delay_alu instid0(VALU_DEP_4) | instskip(NEXT) | instid1(VALU_DEP_2)
	v_dual_add_f32 v18, v18, v32 :: v_dual_add_f32 v19, v19, v33
	v_dual_add_f32 v20, v20, v7 :: v_dual_add_f32 v23, v23, v4
	s_delay_alu instid0(VALU_DEP_4) | instskip(NEXT) | instid1(VALU_DEP_4)
	v_dual_add_f32 v21, v21, v3 :: v_dual_add_f32 v22, v22, v8
	v_add_f32_e32 v12, v12, v1
.LBB113_37:                             ;   in Loop: Header=BB113_38 Depth=1
	s_or_b32 exec_lo, exec_lo, s24
	v_add_nc_u32_e32 v49, 4, v49
	v_add_co_u32 v5, s0, v5, 16
	s_delay_alu instid0(VALU_DEP_1) | instskip(NEXT) | instid1(VALU_DEP_3)
	v_add_co_ci_u32_e64 v6, s0, 0, v6, s0
	v_cmp_le_i32_e32 vcc_lo, s8, v49
	v_add_nc_u32_e32 v55, 0x80, v55
	v_add_nc_u32_e32 v25, 0x200, v25
	s_or_b32 s3, vcc_lo, s3
	s_delay_alu instid0(SALU_CYCLE_1)
	s_and_not1_b32 exec_lo, exec_lo, s3
	s_cbranch_execz .LBB113_63
.LBB113_38:                             ; =>This Inner Loop Header: Depth=1
	v_sub_nc_u32_e32 v1, 0, v55
	s_delay_alu instid0(VALU_DEP_1) | instskip(NEXT) | instid1(VALU_DEP_1)
	v_max_i32_e32 v1, v55, v1
	v_mul_hi_u32 v2, v1, s25
	s_delay_alu instid0(VALU_DEP_1) | instskip(NEXT) | instid1(VALU_DEP_1)
	v_mul_lo_u32 v3, v2, s21
	v_sub_nc_u32_e32 v1, v1, v3
	v_add_nc_u32_e32 v3, 1, v2
	s_delay_alu instid0(VALU_DEP_2) | instskip(SKIP_1) | instid1(VALU_DEP_2)
	v_subrev_nc_u32_e32 v4, s21, v1
	v_cmp_le_u32_e32 vcc_lo, s21, v1
	v_dual_cndmask_b32 v2, v2, v3 :: v_dual_cndmask_b32 v1, v1, v4
	v_ashrrev_i32_e32 v3, 31, v55
	s_delay_alu instid0(VALU_DEP_2) | instskip(NEXT) | instid1(VALU_DEP_3)
	v_add_nc_u32_e32 v4, 1, v2
	v_cmp_le_u32_e32 vcc_lo, s21, v1
	s_delay_alu instid0(VALU_DEP_3) | instskip(NEXT) | instid1(VALU_DEP_3)
	v_xor_b32_e32 v3, s11, v3
	v_cndmask_b32_e32 v1, v2, v4, vcc_lo
	s_delay_alu instid0(VALU_DEP_1) | instskip(NEXT) | instid1(VALU_DEP_1)
	v_xor_b32_e32 v1, v1, v3
	v_sub_nc_u32_e32 v1, v1, v3
	s_delay_alu instid0(VALU_DEP_1) | instskip(SKIP_1) | instid1(VALU_DEP_2)
	v_add_nc_u32_e32 v2, s34, v1
	v_cmp_lt_i32_e64 s0, s2, v1
	v_sub_nc_u32_e32 v3, 0, v2
	s_delay_alu instid0(VALU_DEP_1) | instskip(NEXT) | instid1(VALU_DEP_1)
	v_max_i32_e32 v3, v2, v3
	v_mul_hi_u32 v4, v3, v31
	s_delay_alu instid0(VALU_DEP_1) | instskip(NEXT) | instid1(VALU_DEP_1)
	v_mul_lo_u32 v4, v4, s9
	v_sub_nc_u32_e32 v3, v3, v4
	s_delay_alu instid0(VALU_DEP_1) | instskip(SKIP_1) | instid1(VALU_DEP_2)
	v_subrev_nc_u32_e32 v4, s9, v3
	v_cmp_le_u32_e32 vcc_lo, s9, v3
	v_cndmask_b32_e32 v3, v3, v4, vcc_lo
	v_ashrrev_i32_e32 v2, 31, v2
	s_delay_alu instid0(VALU_DEP_2) | instskip(SKIP_1) | instid1(VALU_DEP_2)
	v_subrev_nc_u32_e32 v4, s9, v3
	v_cmp_le_u32_e32 vcc_lo, s9, v3
	v_cndmask_b32_e32 v3, v3, v4, vcc_lo
	s_delay_alu instid0(VALU_DEP_1) | instskip(NEXT) | instid1(VALU_DEP_1)
	v_xor_b32_e32 v3, v3, v2
	v_sub_nc_u32_e32 v2, v3, v2
	s_delay_alu instid0(VALU_DEP_1) | instskip(SKIP_1) | instid1(SALU_CYCLE_1)
	v_cmp_eq_u32_e32 vcc_lo, 0, v2
	s_or_b32 s0, vcc_lo, s0
	s_and_saveexec_b32 s24, s0
	s_cbranch_execz .LBB113_37
; %bb.39:                               ;   in Loop: Header=BB113_38 Depth=1
	global_load_b32 v32, v[5:6], off
	ds_load_2addr_b64 v[1:4], v25 offset1:1
	s_waitcnt vmcnt(0)
	v_mad_i64_i32 v[7:8], null, v32, s5, 0
	ds_load_2addr_b64 v[32:35], v25 offset0:2 offset1:3
	s_waitcnt lgkmcnt(1)
	;;#ASMSTART
	v_cvt_f16_f32 v40, v1;

	;;#ASMEND
	;;#ASMSTART
	v_cvt_f16_f32 v37, v2;

	;;#ASMEND
	;;#ASMSTART
	v_cvt_f16_f32 v41, v3;

	;;#ASMEND
	;;#ASMSTART
	v_cvt_f16_f32 v38, v4;

	;;#ASMEND
	s_waitcnt lgkmcnt(0)
	;;#ASMSTART
	v_cvt_f16_f32 v42, v32;

	;;#ASMEND
	v_lshlrev_b64 v[7:8], 1, v[7:8]
	;;#ASMSTART
	v_cvt_f16_f32 v48, v33;

	;;#ASMEND
	;;#ASMSTART
	v_cvt_f16_f32 v44, v34;

	;;#ASMEND
	;; [unrolled: 4-line block ×3, first 2 shown]
	v_add_nc_u32_e32 v32, v24, v55
	s_delay_alu instid0(VALU_DEP_2) | instskip(SKIP_1) | instid1(VALU_DEP_3)
	v_add_co_u32 v46, vcc_lo, s6, v7
	v_add_co_ci_u32_e32 v47, vcc_lo, s7, v8, vcc_lo
	v_add_nc_u32_e32 v33, 1, v32
	s_delay_alu instid0(VALU_DEP_3) | instskip(NEXT) | instid1(VALU_DEP_3)
	v_add_co_u32 v7, vcc_lo, v46, v26
	v_add_co_ci_u32_e32 v8, vcc_lo, 0, v47, vcc_lo
	v_cmp_eq_u32_e32 vcc_lo, s35, v49
	v_or_b32_e32 v35, 3, v32
	v_or_b32_e32 v34, 2, v32
	global_load_b128 v[1:4], v[7:8], off
	v_or_b32_e32 v39, 5, v32
	v_or_b32_e32 v36, 4, v32
	;; [unrolled: 1-line block ×4, first 2 shown]
	s_and_saveexec_b32 s26, vcc_lo
	s_cbranch_execz .LBB113_41
; %bb.40:                               ;   in Loop: Header=BB113_38 Depth=1
	s_delay_alu instid0(VALU_DEP_1)
	v_cmp_gt_i32_e64 s0, s18, v45
	s_waitcnt vmcnt(0)
	v_lshrrev_b32_e32 v51, 16, v4
	v_lshrrev_b32_e32 v52, 16, v3
	;; [unrolled: 1-line block ×4, first 2 shown]
	v_cndmask_b32_e64 v4, 0, v4, s0
	v_cmp_gt_i32_e64 s0, s19, v43
	s_delay_alu instid0(VALU_DEP_1) | instskip(SKIP_1) | instid1(VALU_DEP_2)
	v_cndmask_b32_e64 v51, 0, v51, s0
	v_cmp_gt_i32_e64 s0, s17, v39
	v_perm_b32 v4, v51, v4, 0x5040100
	s_delay_alu instid0(VALU_DEP_2) | instskip(SKIP_1) | instid1(VALU_DEP_1)
	v_cndmask_b32_e64 v52, 0, v52, s0
	v_cmp_gt_i32_e64 s0, s16, v36
	v_cndmask_b32_e64 v3, 0, v3, s0
	v_cmp_gt_i32_e64 s0, s15, v35
	s_delay_alu instid0(VALU_DEP_2) | instskip(NEXT) | instid1(VALU_DEP_2)
	v_perm_b32 v3, v52, v3, 0x5040100
	v_cndmask_b32_e64 v56, 0, v56, s0
	v_cmp_gt_i32_e64 s0, s13, v34
	s_delay_alu instid0(VALU_DEP_1) | instskip(SKIP_1) | instid1(VALU_DEP_2)
	v_cndmask_b32_e64 v2, 0, v2, s0
	v_cmp_gt_i32_e64 s0, s10, v33
	v_perm_b32 v2, v56, v2, 0x5040100
	s_delay_alu instid0(VALU_DEP_2) | instskip(SKIP_1) | instid1(VALU_DEP_1)
	v_cndmask_b32_e64 v57, 0, v57, s0
	v_cmp_gt_i32_e64 s0, s33, v32
	v_cndmask_b32_e64 v1, 0, v1, s0
	s_delay_alu instid0(VALU_DEP_1)
	v_perm_b32 v1, v57, v1, 0x5040100
.LBB113_41:                             ;   in Loop: Header=BB113_38 Depth=1
	s_or_b32 exec_lo, exec_lo, s26
	v_and_b32_e32 v40, 0xffff, v40
	v_and_b32_e32 v41, 0xffff, v41
	v_and_b32_e32 v51, 0xffff, v42
	v_and_b32_e32 v52, 0xffff, v44
	s_delay_alu instid0(VALU_DEP_4)
	v_lshl_or_b32 v44, v37, 16, v40
	s_waitcnt vmcnt(0)
	;;#ASMSTART
	v_pk_mul_f16 v1, v44, v1;

	;;#ASMEND
	v_lshl_or_b32 v42, v38, 16, v41
	v_lshl_or_b32 v41, v48, 16, v51
	;; [unrolled: 1-line block ×3, first 2 shown]
	;;#ASMSTART
	v_pk_mul_f16 v2, v42, v2;

	;;#ASMEND
	;;#ASMSTART
	v_pk_mul_f16 v3, v41, v3;

	;;#ASMEND
	;; [unrolled: 4-line block ×3, first 2 shown]
	;;#ASMSTART
	v_pk_add_f16 v1, v1, v2;

	;;#ASMEND
	;;#ASMSTART
	v_pk_add_f16 v1, v1, v3;

	;;#ASMEND
	;; [unrolled: 4-line block ×3, first 2 shown]
	v_and_b32_e32 v2, 0xffff, v1
	v_lshrrev_b32_e32 v1, 16, v1
	;;#ASMSTART
	v_cvt_f32_f16 v37, v2;
	;;#ASMEND
	;;#ASMSTART
	v_cvt_f32_f16 v40, v1;
	;;#ASMEND
	global_load_b128 v[1:4], v[7:8], off offset:512
	s_and_saveexec_b32 s26, vcc_lo
	s_cbranch_execz .LBB113_43
; %bb.42:                               ;   in Loop: Header=BB113_38 Depth=1
	v_cmp_gt_i32_e64 s0, s18, v45
	s_waitcnt vmcnt(0)
	v_lshrrev_b32_e32 v48, 16, v4
	v_lshrrev_b32_e32 v50, 16, v3
	;; [unrolled: 1-line block ×4, first 2 shown]
	v_cndmask_b32_e64 v4, 0, v4, s0
	v_cmp_gt_i32_e64 s0, s19, v43
	s_delay_alu instid0(VALU_DEP_1) | instskip(SKIP_1) | instid1(VALU_DEP_2)
	v_cndmask_b32_e64 v48, 0, v48, s0
	v_cmp_gt_i32_e64 s0, s17, v39
	v_perm_b32 v4, v48, v4, 0x5040100
	s_delay_alu instid0(VALU_DEP_2) | instskip(SKIP_1) | instid1(VALU_DEP_1)
	v_cndmask_b32_e64 v50, 0, v50, s0
	v_cmp_gt_i32_e64 s0, s16, v36
	v_cndmask_b32_e64 v3, 0, v3, s0
	v_cmp_gt_i32_e64 s0, s15, v35
	s_delay_alu instid0(VALU_DEP_2) | instskip(NEXT) | instid1(VALU_DEP_2)
	v_perm_b32 v3, v50, v3, 0x5040100
	v_cndmask_b32_e64 v51, 0, v51, s0
	v_cmp_gt_i32_e64 s0, s13, v34
	s_delay_alu instid0(VALU_DEP_1) | instskip(SKIP_1) | instid1(VALU_DEP_2)
	v_cndmask_b32_e64 v2, 0, v2, s0
	v_cmp_gt_i32_e64 s0, s10, v33
	v_perm_b32 v2, v51, v2, 0x5040100
	s_delay_alu instid0(VALU_DEP_2) | instskip(SKIP_1) | instid1(VALU_DEP_1)
	v_cndmask_b32_e64 v52, 0, v52, s0
	v_cmp_gt_i32_e64 s0, s33, v32
	v_cndmask_b32_e64 v1, 0, v1, s0
	s_delay_alu instid0(VALU_DEP_1)
	v_perm_b32 v1, v52, v1, 0x5040100
.LBB113_43:                             ;   in Loop: Header=BB113_38 Depth=1
	s_or_b32 exec_lo, exec_lo, s26
	s_waitcnt vmcnt(0)
	;;#ASMSTART
	v_pk_mul_f16 v1, v44, v1;

	;;#ASMEND
	;;#ASMSTART
	v_pk_mul_f16 v2, v42, v2;

	;;#ASMEND
	;; [unrolled: 4-line block ×4, first 2 shown]
	;;#ASMSTART
	v_pk_add_f16 v1, v1, v2;

	;;#ASMEND
	;;#ASMSTART
	v_pk_add_f16 v1, v1, v3;

	;;#ASMEND
	;; [unrolled: 4-line block ×3, first 2 shown]
	v_and_b32_e32 v2, 0xffff, v1
	v_lshrrev_b32_e32 v1, 16, v1
	;;#ASMSTART
	v_cvt_f32_f16 v48, v2;
	;;#ASMEND
	;;#ASMSTART
	v_cvt_f32_f16 v50, v1;
	;;#ASMEND
	global_load_b128 v[1:4], v[7:8], off offset:1024
	s_and_saveexec_b32 s26, vcc_lo
	s_cbranch_execz .LBB113_45
; %bb.44:                               ;   in Loop: Header=BB113_38 Depth=1
	v_cmp_gt_i32_e64 s0, s18, v45
	s_waitcnt vmcnt(0)
	v_lshrrev_b32_e32 v51, 16, v4
	v_lshrrev_b32_e32 v52, 16, v3
	;; [unrolled: 1-line block ×4, first 2 shown]
	v_cndmask_b32_e64 v4, 0, v4, s0
	v_cmp_gt_i32_e64 s0, s19, v43
	s_delay_alu instid0(VALU_DEP_1) | instskip(SKIP_1) | instid1(VALU_DEP_2)
	v_cndmask_b32_e64 v51, 0, v51, s0
	v_cmp_gt_i32_e64 s0, s17, v39
	v_perm_b32 v4, v51, v4, 0x5040100
	s_delay_alu instid0(VALU_DEP_2) | instskip(SKIP_1) | instid1(VALU_DEP_1)
	v_cndmask_b32_e64 v52, 0, v52, s0
	v_cmp_gt_i32_e64 s0, s16, v36
	v_cndmask_b32_e64 v3, 0, v3, s0
	v_cmp_gt_i32_e64 s0, s15, v35
	s_delay_alu instid0(VALU_DEP_2) | instskip(NEXT) | instid1(VALU_DEP_2)
	v_perm_b32 v3, v52, v3, 0x5040100
	v_cndmask_b32_e64 v56, 0, v56, s0
	v_cmp_gt_i32_e64 s0, s13, v34
	s_delay_alu instid0(VALU_DEP_1) | instskip(SKIP_1) | instid1(VALU_DEP_2)
	v_cndmask_b32_e64 v2, 0, v2, s0
	v_cmp_gt_i32_e64 s0, s10, v33
	v_perm_b32 v2, v56, v2, 0x5040100
	s_delay_alu instid0(VALU_DEP_2) | instskip(SKIP_1) | instid1(VALU_DEP_1)
	v_cndmask_b32_e64 v57, 0, v57, s0
	v_cmp_gt_i32_e64 s0, s33, v32
	v_cndmask_b32_e64 v1, 0, v1, s0
	s_delay_alu instid0(VALU_DEP_1)
	v_perm_b32 v1, v57, v1, 0x5040100
.LBB113_45:                             ;   in Loop: Header=BB113_38 Depth=1
	s_or_b32 exec_lo, exec_lo, s26
	s_waitcnt vmcnt(0)
	;;#ASMSTART
	v_pk_mul_f16 v1, v44, v1;

	;;#ASMEND
	;;#ASMSTART
	v_pk_mul_f16 v2, v42, v2;

	;;#ASMEND
	;; [unrolled: 4-line block ×4, first 2 shown]
	;;#ASMSTART
	v_pk_add_f16 v1, v1, v2;

	;;#ASMEND
	;;#ASMSTART
	v_pk_add_f16 v1, v1, v3;

	;;#ASMEND
	;; [unrolled: 4-line block ×3, first 2 shown]
	v_and_b32_e32 v2, 0xffff, v1
	v_lshrrev_b32_e32 v1, 16, v1
	;;#ASMSTART
	v_cvt_f32_f16 v51, v2;
	;;#ASMEND
	;;#ASMSTART
	v_cvt_f32_f16 v52, v1;
	;;#ASMEND
	global_load_b128 v[1:4], v[7:8], off offset:1536
	s_and_saveexec_b32 s26, vcc_lo
	s_cbranch_execz .LBB113_47
; %bb.46:                               ;   in Loop: Header=BB113_38 Depth=1
	v_cmp_gt_i32_e64 s0, s18, v45
	s_waitcnt vmcnt(0)
	v_lshrrev_b32_e32 v56, 16, v4
	v_lshrrev_b32_e32 v57, 16, v3
	;; [unrolled: 1-line block ×4, first 2 shown]
	v_cndmask_b32_e64 v4, 0, v4, s0
	v_cmp_gt_i32_e64 s0, s19, v43
	s_delay_alu instid0(VALU_DEP_1) | instskip(SKIP_1) | instid1(VALU_DEP_2)
	v_cndmask_b32_e64 v56, 0, v56, s0
	v_cmp_gt_i32_e64 s0, s17, v39
	v_perm_b32 v4, v56, v4, 0x5040100
	s_delay_alu instid0(VALU_DEP_2) | instskip(SKIP_1) | instid1(VALU_DEP_1)
	v_cndmask_b32_e64 v57, 0, v57, s0
	v_cmp_gt_i32_e64 s0, s16, v36
	v_cndmask_b32_e64 v3, 0, v3, s0
	v_cmp_gt_i32_e64 s0, s15, v35
	s_delay_alu instid0(VALU_DEP_2) | instskip(NEXT) | instid1(VALU_DEP_2)
	v_perm_b32 v3, v57, v3, 0x5040100
	v_cndmask_b32_e64 v58, 0, v58, s0
	v_cmp_gt_i32_e64 s0, s13, v34
	s_delay_alu instid0(VALU_DEP_1) | instskip(SKIP_1) | instid1(VALU_DEP_2)
	v_cndmask_b32_e64 v2, 0, v2, s0
	v_cmp_gt_i32_e64 s0, s10, v33
	v_perm_b32 v2, v58, v2, 0x5040100
	s_delay_alu instid0(VALU_DEP_2) | instskip(SKIP_1) | instid1(VALU_DEP_1)
	v_cndmask_b32_e64 v59, 0, v59, s0
	v_cmp_gt_i32_e64 s0, s33, v32
	v_cndmask_b32_e64 v1, 0, v1, s0
	s_delay_alu instid0(VALU_DEP_1)
	v_perm_b32 v1, v59, v1, 0x5040100
.LBB113_47:                             ;   in Loop: Header=BB113_38 Depth=1
	s_or_b32 exec_lo, exec_lo, s26
	s_waitcnt vmcnt(0)
	;;#ASMSTART
	v_pk_mul_f16 v1, v44, v1;

	;;#ASMEND
	;;#ASMSTART
	v_pk_mul_f16 v2, v42, v2;

	;;#ASMEND
	;; [unrolled: 4-line block ×4, first 2 shown]
	;;#ASMSTART
	v_pk_add_f16 v1, v1, v2;

	;;#ASMEND
	;;#ASMSTART
	v_pk_add_f16 v1, v1, v3;

	;;#ASMEND
	;;#ASMSTART
	v_pk_add_f16 v1, v1, v4;

	;;#ASMEND
	v_and_b32_e32 v2, 0xffff, v1
	v_lshrrev_b32_e32 v1, 16, v1
	;;#ASMSTART
	v_cvt_f32_f16 v56, v2;
	;;#ASMEND
	;;#ASMSTART
	v_cvt_f32_f16 v57, v1;
	;;#ASMEND
	global_load_b128 v[1:4], v[7:8], off offset:2048
	s_and_saveexec_b32 s26, vcc_lo
	s_cbranch_execz .LBB113_49
; %bb.48:                               ;   in Loop: Header=BB113_38 Depth=1
	v_cmp_gt_i32_e64 s0, s18, v45
	s_waitcnt vmcnt(0)
	v_lshrrev_b32_e32 v58, 16, v4
	v_lshrrev_b32_e32 v59, 16, v3
	;; [unrolled: 1-line block ×4, first 2 shown]
	v_cndmask_b32_e64 v4, 0, v4, s0
	v_cmp_gt_i32_e64 s0, s19, v43
	s_delay_alu instid0(VALU_DEP_1) | instskip(SKIP_1) | instid1(VALU_DEP_2)
	v_cndmask_b32_e64 v58, 0, v58, s0
	v_cmp_gt_i32_e64 s0, s17, v39
	v_perm_b32 v4, v58, v4, 0x5040100
	s_delay_alu instid0(VALU_DEP_2) | instskip(SKIP_1) | instid1(VALU_DEP_1)
	v_cndmask_b32_e64 v59, 0, v59, s0
	v_cmp_gt_i32_e64 s0, s16, v36
	v_cndmask_b32_e64 v3, 0, v3, s0
	v_cmp_gt_i32_e64 s0, s15, v35
	s_delay_alu instid0(VALU_DEP_2) | instskip(NEXT) | instid1(VALU_DEP_2)
	v_perm_b32 v3, v59, v3, 0x5040100
	v_cndmask_b32_e64 v60, 0, v60, s0
	v_cmp_gt_i32_e64 s0, s13, v34
	s_delay_alu instid0(VALU_DEP_1) | instskip(SKIP_1) | instid1(VALU_DEP_2)
	v_cndmask_b32_e64 v2, 0, v2, s0
	v_cmp_gt_i32_e64 s0, s10, v33
	v_perm_b32 v2, v60, v2, 0x5040100
	s_delay_alu instid0(VALU_DEP_2) | instskip(SKIP_1) | instid1(VALU_DEP_1)
	v_cndmask_b32_e64 v61, 0, v61, s0
	v_cmp_gt_i32_e64 s0, s33, v32
	v_cndmask_b32_e64 v1, 0, v1, s0
	s_delay_alu instid0(VALU_DEP_1)
	v_perm_b32 v1, v61, v1, 0x5040100
.LBB113_49:                             ;   in Loop: Header=BB113_38 Depth=1
	s_or_b32 exec_lo, exec_lo, s26
	s_waitcnt vmcnt(0)
	;;#ASMSTART
	v_pk_mul_f16 v1, v44, v1;

	;;#ASMEND
	;;#ASMSTART
	v_pk_mul_f16 v2, v42, v2;

	;;#ASMEND
	;; [unrolled: 4-line block ×4, first 2 shown]
	;;#ASMSTART
	v_pk_add_f16 v1, v1, v2;

	;;#ASMEND
	;;#ASMSTART
	v_pk_add_f16 v1, v1, v3;

	;;#ASMEND
	;; [unrolled: 4-line block ×3, first 2 shown]
	v_and_b32_e32 v2, 0xffff, v1
	v_lshrrev_b32_e32 v1, 16, v1
	;;#ASMSTART
	v_cvt_f32_f16 v58, v2;
	;;#ASMEND
	;;#ASMSTART
	v_cvt_f32_f16 v59, v1;
	;;#ASMEND
	global_load_b128 v[1:4], v[7:8], off offset:2560
	s_and_saveexec_b32 s26, vcc_lo
	s_cbranch_execz .LBB113_51
; %bb.50:                               ;   in Loop: Header=BB113_38 Depth=1
	v_cmp_gt_i32_e64 s0, s18, v45
	s_waitcnt vmcnt(0)
	v_lshrrev_b32_e32 v60, 16, v4
	v_lshrrev_b32_e32 v61, 16, v3
	;; [unrolled: 1-line block ×4, first 2 shown]
	v_cndmask_b32_e64 v4, 0, v4, s0
	v_cmp_gt_i32_e64 s0, s19, v43
	s_delay_alu instid0(VALU_DEP_1) | instskip(SKIP_1) | instid1(VALU_DEP_2)
	v_cndmask_b32_e64 v60, 0, v60, s0
	v_cmp_gt_i32_e64 s0, s17, v39
	v_perm_b32 v4, v60, v4, 0x5040100
	s_delay_alu instid0(VALU_DEP_2) | instskip(SKIP_1) | instid1(VALU_DEP_1)
	v_cndmask_b32_e64 v61, 0, v61, s0
	v_cmp_gt_i32_e64 s0, s16, v36
	v_cndmask_b32_e64 v3, 0, v3, s0
	v_cmp_gt_i32_e64 s0, s15, v35
	s_delay_alu instid0(VALU_DEP_2) | instskip(NEXT) | instid1(VALU_DEP_2)
	v_perm_b32 v3, v61, v3, 0x5040100
	v_cndmask_b32_e64 v62, 0, v62, s0
	v_cmp_gt_i32_e64 s0, s13, v34
	s_delay_alu instid0(VALU_DEP_1) | instskip(SKIP_1) | instid1(VALU_DEP_2)
	v_cndmask_b32_e64 v2, 0, v2, s0
	v_cmp_gt_i32_e64 s0, s10, v33
	v_perm_b32 v2, v62, v2, 0x5040100
	s_delay_alu instid0(VALU_DEP_2) | instskip(SKIP_1) | instid1(VALU_DEP_1)
	v_cndmask_b32_e64 v63, 0, v63, s0
	v_cmp_gt_i32_e64 s0, s33, v32
	v_cndmask_b32_e64 v1, 0, v1, s0
	s_delay_alu instid0(VALU_DEP_1)
	v_perm_b32 v1, v63, v1, 0x5040100
.LBB113_51:                             ;   in Loop: Header=BB113_38 Depth=1
	s_or_b32 exec_lo, exec_lo, s26
	s_waitcnt vmcnt(0)
	;;#ASMSTART
	v_pk_mul_f16 v1, v44, v1;

	;;#ASMEND
	;;#ASMSTART
	v_pk_mul_f16 v2, v42, v2;

	;;#ASMEND
	;; [unrolled: 4-line block ×4, first 2 shown]
	;;#ASMSTART
	v_pk_add_f16 v1, v1, v2;

	;;#ASMEND
	;;#ASMSTART
	v_pk_add_f16 v1, v1, v3;

	;;#ASMEND
	;;#ASMSTART
	v_pk_add_f16 v1, v1, v4;

	;;#ASMEND
	v_and_b32_e32 v2, 0xffff, v1
	v_lshrrev_b32_e32 v1, 16, v1
	;;#ASMSTART
	v_cvt_f32_f16 v60, v2;
	;;#ASMEND
	;;#ASMSTART
	v_cvt_f32_f16 v61, v1;
	;;#ASMEND
	global_load_b128 v[1:4], v[7:8], off offset:3072
	s_and_saveexec_b32 s26, vcc_lo
	s_cbranch_execz .LBB113_53
; %bb.52:                               ;   in Loop: Header=BB113_38 Depth=1
	v_cmp_gt_i32_e64 s0, s18, v45
	s_waitcnt vmcnt(0)
	v_lshrrev_b32_e32 v62, 16, v4
	v_lshrrev_b32_e32 v63, 16, v3
	;; [unrolled: 1-line block ×4, first 2 shown]
	v_cndmask_b32_e64 v4, 0, v4, s0
	v_cmp_gt_i32_e64 s0, s19, v43
	s_delay_alu instid0(VALU_DEP_1) | instskip(SKIP_1) | instid1(VALU_DEP_2)
	v_cndmask_b32_e64 v62, 0, v62, s0
	v_cmp_gt_i32_e64 s0, s17, v39
	v_perm_b32 v4, v62, v4, 0x5040100
	s_delay_alu instid0(VALU_DEP_2) | instskip(SKIP_1) | instid1(VALU_DEP_1)
	v_cndmask_b32_e64 v63, 0, v63, s0
	v_cmp_gt_i32_e64 s0, s16, v36
	v_cndmask_b32_e64 v3, 0, v3, s0
	v_cmp_gt_i32_e64 s0, s15, v35
	s_delay_alu instid0(VALU_DEP_2) | instskip(NEXT) | instid1(VALU_DEP_2)
	v_perm_b32 v3, v63, v3, 0x5040100
	v_cndmask_b32_e64 v64, 0, v64, s0
	v_cmp_gt_i32_e64 s0, s13, v34
	s_delay_alu instid0(VALU_DEP_1) | instskip(SKIP_1) | instid1(VALU_DEP_2)
	v_cndmask_b32_e64 v2, 0, v2, s0
	v_cmp_gt_i32_e64 s0, s10, v33
	v_perm_b32 v2, v64, v2, 0x5040100
	s_delay_alu instid0(VALU_DEP_2) | instskip(SKIP_1) | instid1(VALU_DEP_1)
	v_cndmask_b32_e64 v65, 0, v65, s0
	v_cmp_gt_i32_e64 s0, s33, v32
	v_cndmask_b32_e64 v1, 0, v1, s0
	s_delay_alu instid0(VALU_DEP_1)
	v_perm_b32 v1, v65, v1, 0x5040100
.LBB113_53:                             ;   in Loop: Header=BB113_38 Depth=1
	s_or_b32 exec_lo, exec_lo, s26
	s_waitcnt vmcnt(0)
	;;#ASMSTART
	v_pk_mul_f16 v1, v44, v1;

	;;#ASMEND
	;;#ASMSTART
	v_pk_mul_f16 v2, v42, v2;

	;;#ASMEND
	;; [unrolled: 4-line block ×4, first 2 shown]
	;;#ASMSTART
	v_pk_add_f16 v1, v1, v2;

	;;#ASMEND
	;;#ASMSTART
	v_pk_add_f16 v1, v1, v3;

	;;#ASMEND
	;; [unrolled: 4-line block ×3, first 2 shown]
	v_and_b32_e32 v2, 0xffff, v1
	v_lshrrev_b32_e32 v1, 16, v1
	;;#ASMSTART
	v_cvt_f32_f16 v62, v2;
	;;#ASMEND
	;;#ASMSTART
	v_cvt_f32_f16 v63, v1;
	;;#ASMEND
	global_load_b128 v[1:4], v[7:8], off offset:3584
	s_and_saveexec_b32 s26, vcc_lo
	s_cbranch_execz .LBB113_55
; %bb.54:                               ;   in Loop: Header=BB113_38 Depth=1
	v_cmp_gt_i32_e64 s0, s18, v45
	s_waitcnt vmcnt(0)
	v_lshrrev_b32_e32 v7, 16, v4
	v_lshrrev_b32_e32 v8, 16, v3
	;; [unrolled: 1-line block ×4, first 2 shown]
	v_cndmask_b32_e64 v4, 0, v4, s0
	v_cmp_gt_i32_e64 s0, s19, v43
	s_delay_alu instid0(VALU_DEP_1) | instskip(SKIP_1) | instid1(VALU_DEP_2)
	v_cndmask_b32_e64 v7, 0, v7, s0
	v_cmp_gt_i32_e64 s0, s17, v39
	v_perm_b32 v4, v7, v4, 0x5040100
	s_delay_alu instid0(VALU_DEP_2) | instskip(SKIP_1) | instid1(VALU_DEP_1)
	v_cndmask_b32_e64 v8, 0, v8, s0
	v_cmp_gt_i32_e64 s0, s16, v36
	v_cndmask_b32_e64 v3, 0, v3, s0
	v_cmp_gt_i32_e64 s0, s15, v35
	s_delay_alu instid0(VALU_DEP_2) | instskip(NEXT) | instid1(VALU_DEP_2)
	v_perm_b32 v3, v8, v3, 0x5040100
	v_cndmask_b32_e64 v64, 0, v64, s0
	v_cmp_gt_i32_e64 s0, s13, v34
	s_delay_alu instid0(VALU_DEP_1) | instskip(SKIP_1) | instid1(VALU_DEP_2)
	v_cndmask_b32_e64 v2, 0, v2, s0
	v_cmp_gt_i32_e64 s0, s10, v33
	v_perm_b32 v2, v64, v2, 0x5040100
	s_delay_alu instid0(VALU_DEP_2) | instskip(SKIP_1) | instid1(VALU_DEP_1)
	v_cndmask_b32_e64 v65, 0, v65, s0
	v_cmp_gt_i32_e64 s0, s33, v32
	v_cndmask_b32_e64 v1, 0, v1, s0
	s_delay_alu instid0(VALU_DEP_1)
	v_perm_b32 v1, v65, v1, 0x5040100
.LBB113_55:                             ;   in Loop: Header=BB113_38 Depth=1
	s_or_b32 exec_lo, exec_lo, s26
	s_waitcnt vmcnt(0)
	;;#ASMSTART
	v_pk_mul_f16 v1, v44, v1;

	;;#ASMEND
	;;#ASMSTART
	v_pk_mul_f16 v2, v42, v2;

	;;#ASMEND
	;; [unrolled: 4-line block ×4, first 2 shown]
	;;#ASMSTART
	v_pk_add_f16 v1, v1, v2;

	;;#ASMEND
	;;#ASMSTART
	v_pk_add_f16 v1, v1, v3;

	;;#ASMEND
	;; [unrolled: 4-line block ×3, first 2 shown]
	v_lshrrev_b32_e32 v3, 16, v1
	v_and_b32_e32 v4, 0xffff, v1
	v_add_co_u32 v1, s0, v46, v27
	s_delay_alu instid0(VALU_DEP_1)
	v_add_co_ci_u32_e64 v2, s0, 0, v47, s0
	;;#ASMSTART
	v_cvt_f32_f16 v7, v4;
	;;#ASMEND
	;;#ASMSTART
	v_cvt_f32_f16 v8, v3;
	;;#ASMEND
	global_load_b128 v[1:4], v[1:2], off
	s_and_saveexec_b32 s26, vcc_lo
	s_cbranch_execz .LBB113_57
; %bb.56:                               ;   in Loop: Header=BB113_38 Depth=1
	v_cmp_gt_i32_e64 s0, s18, v45
	s_waitcnt vmcnt(0)
	v_lshrrev_b32_e32 v64, 16, v4
	v_lshrrev_b32_e32 v65, 16, v3
	;; [unrolled: 1-line block ×4, first 2 shown]
	v_cndmask_b32_e64 v4, 0, v4, s0
	v_cmp_gt_i32_e64 s0, s19, v43
	s_delay_alu instid0(VALU_DEP_1) | instskip(SKIP_1) | instid1(VALU_DEP_2)
	v_cndmask_b32_e64 v64, 0, v64, s0
	v_cmp_gt_i32_e64 s0, s17, v39
	v_perm_b32 v4, v64, v4, 0x5040100
	s_delay_alu instid0(VALU_DEP_2) | instskip(SKIP_1) | instid1(VALU_DEP_1)
	v_cndmask_b32_e64 v65, 0, v65, s0
	v_cmp_gt_i32_e64 s0, s16, v36
	v_cndmask_b32_e64 v3, 0, v3, s0
	v_cmp_gt_i32_e64 s0, s15, v35
	s_delay_alu instid0(VALU_DEP_2) | instskip(NEXT) | instid1(VALU_DEP_2)
	v_perm_b32 v3, v65, v3, 0x5040100
	v_cndmask_b32_e64 v66, 0, v66, s0
	v_cmp_gt_i32_e64 s0, s13, v34
	s_delay_alu instid0(VALU_DEP_1) | instskip(SKIP_1) | instid1(VALU_DEP_2)
	v_cndmask_b32_e64 v2, 0, v2, s0
	v_cmp_gt_i32_e64 s0, s10, v33
	v_perm_b32 v2, v66, v2, 0x5040100
	s_delay_alu instid0(VALU_DEP_2) | instskip(SKIP_1) | instid1(VALU_DEP_1)
	v_cndmask_b32_e64 v67, 0, v67, s0
	v_cmp_gt_i32_e64 s0, s33, v32
	v_cndmask_b32_e64 v1, 0, v1, s0
	s_delay_alu instid0(VALU_DEP_1)
	v_perm_b32 v1, v67, v1, 0x5040100
.LBB113_57:                             ;   in Loop: Header=BB113_38 Depth=1
	s_or_b32 exec_lo, exec_lo, s26
	s_waitcnt vmcnt(0)
	;;#ASMSTART
	v_pk_mul_f16 v1, v44, v1;

	;;#ASMEND
	;;#ASMSTART
	v_pk_mul_f16 v2, v42, v2;

	;;#ASMEND
	;; [unrolled: 4-line block ×4, first 2 shown]
	;;#ASMSTART
	v_pk_add_f16 v1, v1, v2;

	;;#ASMEND
	;;#ASMSTART
	v_pk_add_f16 v1, v1, v3;

	;;#ASMEND
	;; [unrolled: 4-line block ×3, first 2 shown]
	v_lshrrev_b32_e32 v3, 16, v1
	v_and_b32_e32 v4, 0xffff, v1
	v_add_co_u32 v1, s0, v46, v28
	s_delay_alu instid0(VALU_DEP_1)
	v_add_co_ci_u32_e64 v2, s0, 0, v47, s0
	;;#ASMSTART
	v_cvt_f32_f16 v64, v4;
	;;#ASMEND
	;;#ASMSTART
	v_cvt_f32_f16 v65, v3;
	;;#ASMEND
	global_load_b128 v[1:4], v[1:2], off
	s_and_saveexec_b32 s26, vcc_lo
	s_cbranch_execz .LBB113_59
; %bb.58:                               ;   in Loop: Header=BB113_38 Depth=1
	v_cmp_gt_i32_e64 s0, s18, v45
	s_waitcnt vmcnt(0)
	v_lshrrev_b32_e32 v66, 16, v4
	v_lshrrev_b32_e32 v67, 16, v3
	;; [unrolled: 1-line block ×4, first 2 shown]
	v_cndmask_b32_e64 v4, 0, v4, s0
	v_cmp_gt_i32_e64 s0, s19, v43
	s_delay_alu instid0(VALU_DEP_1) | instskip(SKIP_1) | instid1(VALU_DEP_2)
	v_cndmask_b32_e64 v66, 0, v66, s0
	v_cmp_gt_i32_e64 s0, s17, v39
	v_perm_b32 v4, v66, v4, 0x5040100
	s_delay_alu instid0(VALU_DEP_2) | instskip(SKIP_1) | instid1(VALU_DEP_1)
	v_cndmask_b32_e64 v67, 0, v67, s0
	v_cmp_gt_i32_e64 s0, s16, v36
	v_cndmask_b32_e64 v3, 0, v3, s0
	v_cmp_gt_i32_e64 s0, s15, v35
	s_delay_alu instid0(VALU_DEP_2) | instskip(NEXT) | instid1(VALU_DEP_2)
	v_perm_b32 v3, v67, v3, 0x5040100
	v_cndmask_b32_e64 v68, 0, v68, s0
	v_cmp_gt_i32_e64 s0, s13, v34
	s_delay_alu instid0(VALU_DEP_1) | instskip(SKIP_1) | instid1(VALU_DEP_2)
	v_cndmask_b32_e64 v2, 0, v2, s0
	v_cmp_gt_i32_e64 s0, s10, v33
	v_perm_b32 v2, v68, v2, 0x5040100
	s_delay_alu instid0(VALU_DEP_2) | instskip(SKIP_1) | instid1(VALU_DEP_1)
	v_cndmask_b32_e64 v69, 0, v69, s0
	v_cmp_gt_i32_e64 s0, s33, v32
	v_cndmask_b32_e64 v1, 0, v1, s0
	s_delay_alu instid0(VALU_DEP_1)
	v_perm_b32 v1, v69, v1, 0x5040100
.LBB113_59:                             ;   in Loop: Header=BB113_38 Depth=1
	s_or_b32 exec_lo, exec_lo, s26
	s_waitcnt vmcnt(0)
	;;#ASMSTART
	v_pk_mul_f16 v1, v44, v1;

	;;#ASMEND
	;;#ASMSTART
	v_pk_mul_f16 v2, v42, v2;

	;;#ASMEND
	;; [unrolled: 4-line block ×4, first 2 shown]
	;;#ASMSTART
	v_pk_add_f16 v1, v1, v2;

	;;#ASMEND
	;;#ASMSTART
	v_pk_add_f16 v1, v1, v3;

	;;#ASMEND
	;; [unrolled: 4-line block ×3, first 2 shown]
	v_lshrrev_b32_e32 v3, 16, v1
	v_and_b32_e32 v4, 0xffff, v1
	v_add_co_u32 v1, s0, v46, v29
	s_delay_alu instid0(VALU_DEP_1)
	v_add_co_ci_u32_e64 v2, s0, 0, v47, s0
	;;#ASMSTART
	v_cvt_f32_f16 v66, v4;
	;;#ASMEND
	;;#ASMSTART
	v_cvt_f32_f16 v67, v3;
	;;#ASMEND
	global_load_b128 v[1:4], v[1:2], off
	s_and_saveexec_b32 s26, vcc_lo
	s_cbranch_execz .LBB113_61
; %bb.60:                               ;   in Loop: Header=BB113_38 Depth=1
	v_cmp_gt_i32_e64 s0, s18, v45
	s_waitcnt vmcnt(0)
	v_lshrrev_b32_e32 v68, 16, v4
	v_lshrrev_b32_e32 v69, 16, v3
	;; [unrolled: 1-line block ×4, first 2 shown]
	v_cndmask_b32_e64 v4, 0, v4, s0
	v_cmp_gt_i32_e64 s0, s19, v43
	s_delay_alu instid0(VALU_DEP_1) | instskip(SKIP_1) | instid1(VALU_DEP_2)
	v_cndmask_b32_e64 v68, 0, v68, s0
	v_cmp_gt_i32_e64 s0, s17, v39
	v_perm_b32 v4, v68, v4, 0x5040100
	s_delay_alu instid0(VALU_DEP_2) | instskip(SKIP_1) | instid1(VALU_DEP_1)
	v_cndmask_b32_e64 v69, 0, v69, s0
	v_cmp_gt_i32_e64 s0, s16, v36
	v_cndmask_b32_e64 v3, 0, v3, s0
	v_cmp_gt_i32_e64 s0, s15, v35
	s_delay_alu instid0(VALU_DEP_2) | instskip(NEXT) | instid1(VALU_DEP_2)
	v_perm_b32 v3, v69, v3, 0x5040100
	v_cndmask_b32_e64 v70, 0, v70, s0
	v_cmp_gt_i32_e64 s0, s13, v34
	s_delay_alu instid0(VALU_DEP_1) | instskip(SKIP_1) | instid1(VALU_DEP_2)
	v_cndmask_b32_e64 v2, 0, v2, s0
	v_cmp_gt_i32_e64 s0, s10, v33
	v_perm_b32 v2, v70, v2, 0x5040100
	s_delay_alu instid0(VALU_DEP_2) | instskip(SKIP_1) | instid1(VALU_DEP_1)
	v_cndmask_b32_e64 v71, 0, v71, s0
	v_cmp_gt_i32_e64 s0, s33, v32
	v_cndmask_b32_e64 v1, 0, v1, s0
	s_delay_alu instid0(VALU_DEP_1)
	v_perm_b32 v1, v71, v1, 0x5040100
.LBB113_61:                             ;   in Loop: Header=BB113_38 Depth=1
	s_or_b32 exec_lo, exec_lo, s26
	s_waitcnt vmcnt(0)
	;;#ASMSTART
	v_pk_mul_f16 v1, v44, v1;

	;;#ASMEND
	;;#ASMSTART
	v_pk_mul_f16 v2, v42, v2;

	;;#ASMEND
	;; [unrolled: 4-line block ×4, first 2 shown]
	;;#ASMSTART
	v_pk_add_f16 v1, v1, v2;

	;;#ASMEND
	;;#ASMSTART
	v_pk_add_f16 v1, v1, v3;

	;;#ASMEND
	;; [unrolled: 4-line block ×3, first 2 shown]
	v_lshrrev_b32_e32 v3, 16, v1
	v_and_b32_e32 v4, 0xffff, v1
	v_add_co_u32 v1, s0, v46, v30
	s_delay_alu instid0(VALU_DEP_1)
	v_add_co_ci_u32_e64 v2, s0, 0, v47, s0
	;;#ASMSTART
	v_cvt_f32_f16 v46, v4;
	;;#ASMEND
	;;#ASMSTART
	v_cvt_f32_f16 v47, v3;
	;;#ASMEND
	global_load_b128 v[1:4], v[1:2], off
	s_and_saveexec_b32 s0, vcc_lo
	s_cbranch_execz .LBB113_36
; %bb.62:                               ;   in Loop: Header=BB113_38 Depth=1
	v_cmp_gt_i32_e32 vcc_lo, s18, v45
	s_waitcnt vmcnt(0)
	v_lshrrev_b32_e32 v68, 16, v4
	v_lshrrev_b32_e32 v69, 16, v3
	;; [unrolled: 1-line block ×3, first 2 shown]
	v_cndmask_b32_e32 v4, 0, v4, vcc_lo
	v_cmp_gt_i32_e32 vcc_lo, s19, v43
	v_cndmask_b32_e32 v43, 0, v68, vcc_lo
	v_cmp_gt_i32_e32 vcc_lo, s17, v39
	;; [unrolled: 2-line block ×3, first 2 shown]
	v_lshrrev_b32_e32 v36, 16, v1
	v_cndmask_b32_e32 v3, 0, v3, vcc_lo
	v_cmp_gt_i32_e32 vcc_lo, s15, v35
	s_delay_alu instid0(VALU_DEP_2)
	v_perm_b32 v3, v39, v3, 0x5040100
	v_cndmask_b32_e32 v35, 0, v45, vcc_lo
	v_cmp_gt_i32_e32 vcc_lo, s13, v34
	v_cndmask_b32_e32 v2, 0, v2, vcc_lo
	v_cmp_gt_i32_e32 vcc_lo, s10, v33
	v_perm_b32 v4, v43, v4, 0x5040100
	s_delay_alu instid0(VALU_DEP_3) | instskip(SKIP_3) | instid1(VALU_DEP_1)
	v_perm_b32 v2, v35, v2, 0x5040100
	v_cndmask_b32_e32 v33, 0, v36, vcc_lo
	v_cmp_gt_i32_e32 vcc_lo, s33, v32
	v_cndmask_b32_e32 v1, 0, v1, vcc_lo
	v_perm_b32 v1, v33, v1, 0x5040100
	s_branch .LBB113_36
.LBB113_63:
	s_or_b32 exec_lo, exec_lo, s3
.LBB113_64:
	s_delay_alu instid0(SALU_CYCLE_1)
	s_or_b32 exec_lo, exec_lo, s1
	ds_bpermute_b32 v1, v10, v22
	ds_bpermute_b32 v2, v10, v23
	;; [unrolled: 1-line block ×12, first 2 shown]
	s_movk_i32 s0, 0x180
	s_waitcnt lgkmcnt(0)
	s_waitcnt_vscnt null, 0x0
	s_barrier
	buffer_gl0_inv
	v_dual_add_f32 v1, v22, v1 :: v_dual_add_f32 v2, v23, v2
	v_dual_add_f32 v17, v17, v7 :: v_dual_add_f32 v16, v16, v8
	;; [unrolled: 1-line block ×3, first 2 shown]
	ds_bpermute_b32 v8, v9, v2
	v_dual_add_f32 v5, v19, v5 :: v_dual_add_f32 v6, v18, v6
	v_dual_add_f32 v15, v15, v24 :: v_dual_add_f32 v14, v14, v25
	ds_bpermute_b32 v20, v9, v4
	v_add_f32_e32 v18, v13, v26
	v_add_f32_e32 v19, v12, v10
	ds_bpermute_b32 v7, v9, v1
	ds_bpermute_b32 v10, v9, v3
	;; [unrolled: 1-line block ×9, first 2 shown]
	s_waitcnt lgkmcnt(10)
	v_add_f32_e32 v12, v2, v8
	ds_bpermute_b32 v28, v9, v19
	s_waitcnt lgkmcnt(10)
	v_add_f32_e32 v9, v4, v20
	s_waitcnt lgkmcnt(8)
	v_dual_add_f32 v13, v1, v7 :: v_dual_add_f32 v10, v3, v10
	s_waitcnt lgkmcnt(7)
	v_add_f32_e32 v8, v5, v21
	s_waitcnt lgkmcnt(5)
	v_dual_add_f32 v5, v17, v23 :: v_dual_add_f32 v4, v16, v24
	s_waitcnt lgkmcnt(3)
	v_dual_add_f32 v3, v15, v25 :: v_dual_add_f32 v2, v14, v26
	s_waitcnt lgkmcnt(2)
	v_dual_add_f32 v1, v18, v27 :: v_dual_and_b32 v16, 0x3c3, v0
	v_lshrrev_b32_e32 v14, 2, v54
	s_waitcnt lgkmcnt(1)
	v_add_f32_e32 v7, v6, v22
	v_mad_u32_u24 v15, v53, s0, 0xe0
	s_waitcnt lgkmcnt(0)
	v_add_f32_e32 v6, v19, v28
	v_cmp_eq_u32_e32 vcc_lo, 64, v16
	v_lshlrev_b32_e32 v16, 2, v14
	s_and_saveexec_b32 s0, vcc_lo
	s_cbranch_execz .LBB113_66
; %bb.65:
	s_delay_alu instid0(VALU_DEP_1)
	v_add3_u32 v17, v15, v16, 0xfffffd00
	ds_store_2addr_b32 v17, v13, v12 offset1:8
	ds_store_2addr_b32 v17, v10, v9 offset0:16 offset1:24
	ds_store_2addr_b32 v17, v8, v7 offset0:32 offset1:40
	;; [unrolled: 1-line block ×5, first 2 shown]
.LBB113_66:
	s_or_b32 exec_lo, exec_lo, s0
	v_cmp_eq_u32_e32 vcc_lo, 0, v11
	s_mov_b32 s1, exec_lo
	s_waitcnt lgkmcnt(0)
	s_barrier
	buffer_gl0_inv
	v_cmpx_gt_u32_e32 64, v0
	s_cbranch_execz .LBB113_81
; %bb.67:
	s_and_saveexec_b32 s0, vcc_lo
	s_cbranch_execnz .LBB113_101
; %bb.68:
	s_or_b32 exec_lo, exec_lo, s0
	s_and_saveexec_b32 s0, vcc_lo
	s_cbranch_execnz .LBB113_102
.LBB113_69:
	s_or_b32 exec_lo, exec_lo, s0
	s_and_saveexec_b32 s0, vcc_lo
	s_cbranch_execnz .LBB113_103
.LBB113_70:
	s_or_b32 exec_lo, exec_lo, s0
	s_and_saveexec_b32 s0, vcc_lo
	s_cbranch_execnz .LBB113_104
.LBB113_71:
	s_or_b32 exec_lo, exec_lo, s0
	s_and_saveexec_b32 s0, vcc_lo
	s_cbranch_execnz .LBB113_105
.LBB113_72:
	s_or_b32 exec_lo, exec_lo, s0
	s_and_saveexec_b32 s0, vcc_lo
	s_cbranch_execnz .LBB113_106
.LBB113_73:
	s_or_b32 exec_lo, exec_lo, s0
	s_and_saveexec_b32 s0, vcc_lo
	s_cbranch_execnz .LBB113_107
.LBB113_74:
	s_or_b32 exec_lo, exec_lo, s0
	s_and_saveexec_b32 s0, vcc_lo
	s_cbranch_execnz .LBB113_108
.LBB113_75:
	s_or_b32 exec_lo, exec_lo, s0
	s_and_saveexec_b32 s0, vcc_lo
	s_cbranch_execnz .LBB113_109
.LBB113_76:
	s_or_b32 exec_lo, exec_lo, s0
	s_and_saveexec_b32 s0, vcc_lo
	s_cbranch_execnz .LBB113_110
.LBB113_77:
	s_or_b32 exec_lo, exec_lo, s0
	s_and_saveexec_b32 s0, vcc_lo
	s_cbranch_execnz .LBB113_111
.LBB113_78:
	s_or_b32 exec_lo, exec_lo, s0
	s_and_saveexec_b32 s0, vcc_lo
	s_cbranch_execz .LBB113_80
.LBB113_79:
	v_lshl_add_u32 v11, v14, 2, v15
	ds_load_b32 v11, v11 offset:352
	s_waitcnt lgkmcnt(0)
	v_add_f32_e32 v6, v6, v11
.LBB113_80:
	s_or_b32 exec_lo, exec_lo, s0
.LBB113_81:
	s_delay_alu instid0(SALU_CYCLE_1)
	s_or_b32 exec_lo, exec_lo, s1
	v_and_b32_e32 v11, 0x3e3, v0
	s_mov_b32 s1, exec_lo
	s_barrier
	buffer_gl0_inv
	v_cmpx_eq_u32_e32 32, v11
	s_cbranch_execz .LBB113_83
; %bb.82:
	v_add3_u32 v16, v15, v16, 0xfffffe80
	ds_store_2addr_b32 v16, v13, v12 offset1:8
	ds_store_2addr_b32 v16, v10, v9 offset0:16 offset1:24
	ds_store_2addr_b32 v16, v8, v7 offset0:32 offset1:40
	;; [unrolled: 1-line block ×5, first 2 shown]
.LBB113_83:
	s_or_b32 exec_lo, exec_lo, s1
	s_delay_alu instid0(SALU_CYCLE_1)
	s_mov_b32 s1, exec_lo
	s_waitcnt lgkmcnt(0)
	s_barrier
	buffer_gl0_inv
	v_cmpx_gt_u32_e32 32, v0
	s_cbranch_execz .LBB113_98
; %bb.84:
	v_lshl_add_u32 v14, v14, 2, v15
	s_and_saveexec_b32 s0, vcc_lo
	s_cbranch_execnz .LBB113_112
; %bb.85:
	s_or_b32 exec_lo, exec_lo, s0
	s_and_saveexec_b32 s0, vcc_lo
	s_cbranch_execnz .LBB113_113
.LBB113_86:
	s_or_b32 exec_lo, exec_lo, s0
	s_and_saveexec_b32 s0, vcc_lo
	s_cbranch_execnz .LBB113_114
.LBB113_87:
	s_or_b32 exec_lo, exec_lo, s0
	s_and_saveexec_b32 s0, vcc_lo
	s_cbranch_execnz .LBB113_115
.LBB113_88:
	s_or_b32 exec_lo, exec_lo, s0
	s_and_saveexec_b32 s0, vcc_lo
	s_cbranch_execnz .LBB113_116
.LBB113_89:
	s_or_b32 exec_lo, exec_lo, s0
	s_and_saveexec_b32 s0, vcc_lo
	s_cbranch_execnz .LBB113_117
.LBB113_90:
	s_or_b32 exec_lo, exec_lo, s0
	s_and_saveexec_b32 s0, vcc_lo
	s_cbranch_execnz .LBB113_118
.LBB113_91:
	s_or_b32 exec_lo, exec_lo, s0
	s_and_saveexec_b32 s0, vcc_lo
	s_cbranch_execnz .LBB113_119
.LBB113_92:
	s_or_b32 exec_lo, exec_lo, s0
	s_and_saveexec_b32 s0, vcc_lo
	s_cbranch_execnz .LBB113_120
.LBB113_93:
	s_or_b32 exec_lo, exec_lo, s0
	s_and_saveexec_b32 s0, vcc_lo
	s_cbranch_execnz .LBB113_121
.LBB113_94:
	s_or_b32 exec_lo, exec_lo, s0
	s_and_saveexec_b32 s0, vcc_lo
	s_cbranch_execnz .LBB113_122
.LBB113_95:
	s_or_b32 exec_lo, exec_lo, s0
	s_and_saveexec_b32 s0, vcc_lo
	s_cbranch_execz .LBB113_97
.LBB113_96:
	ds_load_b32 v14, v14 offset:352
	s_waitcnt lgkmcnt(0)
	v_add_f32_e32 v6, v6, v14
.LBB113_97:
	s_or_b32 exec_lo, exec_lo, s0
.LBB113_98:
	s_delay_alu instid0(SALU_CYCLE_1)
	s_or_b32 exec_lo, exec_lo, s1
	s_barrier
	buffer_gl0_inv
	s_mov_b32 s0, exec_lo
	v_cmpx_eq_u32_e32 0, v11
	s_cbranch_execz .LBB113_100
; %bb.99:
	s_mul_i32 s0, s14, 0x60
	s_mul_i32 s2, s4, s20
	s_ashr_i32 s1, s0, 31
	v_lshrrev_b32_e32 v0, 1, v0
	s_lshl_b64 s[0:1], s[0:1], 1
	;;#ASMSTART
	v_cvt_f16_f32 v11, v13;

	;;#ASMEND
	s_add_u32 s4, s22, s0
	s_addc_u32 s5, s23, s1
	s_ashr_i32 s3, s2, 31
	s_delay_alu instid0(SALU_CYCLE_1) | instskip(SKIP_4) | instid1(SALU_CYCLE_1)
	s_lshl_b64 s[0:1], s[2:3], 1
	s_mul_i32 s2, s12, 0x60
	s_add_u32 s4, s4, s0
	s_addc_u32 s5, s5, s1
	s_ashr_i32 s3, s2, 31
	s_lshl_b64 s[0:1], s[2:3], 1
	s_delay_alu instid0(SALU_CYCLE_1)
	s_add_u32 s0, s4, s0
	s_addc_u32 s1, s5, s1
	global_store_b16 v0, v11, s[0:1]
	;;#ASMSTART
	v_cvt_f16_f32 v11, v12;

	;;#ASMEND
	global_store_b16 v0, v11, s[0:1] offset:16
	;;#ASMSTART
	v_cvt_f16_f32 v10, v10;

	;;#ASMEND
	global_store_b16 v0, v10, s[0:1] offset:32
	;; [unrolled: 5-line block ×11, first 2 shown]
.LBB113_100:
	s_nop 0
	s_sendmsg sendmsg(MSG_DEALLOC_VGPRS)
	s_endpgm
.LBB113_101:
	v_lshl_add_u32 v11, v14, 2, v15
	ds_load_b32 v11, v11
	s_waitcnt lgkmcnt(0)
	v_add_f32_e32 v13, v13, v11
	s_or_b32 exec_lo, exec_lo, s0
	s_and_saveexec_b32 s0, vcc_lo
	s_cbranch_execz .LBB113_69
.LBB113_102:
	v_lshl_add_u32 v11, v14, 2, v15
	ds_load_b32 v11, v11 offset:32
	s_waitcnt lgkmcnt(0)
	v_add_f32_e32 v12, v12, v11
	s_or_b32 exec_lo, exec_lo, s0
	s_and_saveexec_b32 s0, vcc_lo
	s_cbranch_execz .LBB113_70
.LBB113_103:
	v_lshl_add_u32 v11, v14, 2, v15
	ds_load_b32 v11, v11 offset:64
	s_waitcnt lgkmcnt(0)
	v_add_f32_e32 v10, v10, v11
	s_or_b32 exec_lo, exec_lo, s0
	s_and_saveexec_b32 s0, vcc_lo
	s_cbranch_execz .LBB113_71
.LBB113_104:
	v_lshl_add_u32 v11, v14, 2, v15
	ds_load_b32 v11, v11 offset:96
	s_waitcnt lgkmcnt(0)
	v_add_f32_e32 v9, v9, v11
	s_or_b32 exec_lo, exec_lo, s0
	s_and_saveexec_b32 s0, vcc_lo
	s_cbranch_execz .LBB113_72
.LBB113_105:
	v_lshl_add_u32 v11, v14, 2, v15
	ds_load_b32 v11, v11 offset:128
	s_waitcnt lgkmcnt(0)
	v_add_f32_e32 v8, v8, v11
	s_or_b32 exec_lo, exec_lo, s0
	s_and_saveexec_b32 s0, vcc_lo
	s_cbranch_execz .LBB113_73
.LBB113_106:
	v_lshl_add_u32 v11, v14, 2, v15
	ds_load_b32 v11, v11 offset:160
	s_waitcnt lgkmcnt(0)
	v_add_f32_e32 v7, v7, v11
	s_or_b32 exec_lo, exec_lo, s0
	s_and_saveexec_b32 s0, vcc_lo
	s_cbranch_execz .LBB113_74
.LBB113_107:
	v_lshl_add_u32 v11, v14, 2, v15
	ds_load_b32 v11, v11 offset:192
	s_waitcnt lgkmcnt(0)
	v_add_f32_e32 v5, v5, v11
	s_or_b32 exec_lo, exec_lo, s0
	s_and_saveexec_b32 s0, vcc_lo
	s_cbranch_execz .LBB113_75
.LBB113_108:
	v_lshl_add_u32 v11, v14, 2, v15
	ds_load_b32 v11, v11 offset:224
	s_waitcnt lgkmcnt(0)
	v_add_f32_e32 v4, v4, v11
	s_or_b32 exec_lo, exec_lo, s0
	s_and_saveexec_b32 s0, vcc_lo
	s_cbranch_execz .LBB113_76
.LBB113_109:
	v_lshl_add_u32 v11, v14, 2, v15
	ds_load_b32 v11, v11 offset:256
	s_waitcnt lgkmcnt(0)
	v_add_f32_e32 v3, v3, v11
	s_or_b32 exec_lo, exec_lo, s0
	s_and_saveexec_b32 s0, vcc_lo
	s_cbranch_execz .LBB113_77
.LBB113_110:
	v_lshl_add_u32 v11, v14, 2, v15
	ds_load_b32 v11, v11 offset:288
	s_waitcnt lgkmcnt(0)
	v_add_f32_e32 v2, v2, v11
	s_or_b32 exec_lo, exec_lo, s0
	s_and_saveexec_b32 s0, vcc_lo
	s_cbranch_execz .LBB113_78
.LBB113_111:
	v_lshl_add_u32 v11, v14, 2, v15
	ds_load_b32 v11, v11 offset:320
	s_waitcnt lgkmcnt(0)
	v_add_f32_e32 v1, v1, v11
	s_or_b32 exec_lo, exec_lo, s0
	s_and_saveexec_b32 s0, vcc_lo
	s_cbranch_execnz .LBB113_79
	s_branch .LBB113_80
.LBB113_112:
	ds_load_b32 v15, v14
	s_waitcnt lgkmcnt(0)
	v_add_f32_e32 v13, v13, v15
	s_or_b32 exec_lo, exec_lo, s0
	s_and_saveexec_b32 s0, vcc_lo
	s_cbranch_execz .LBB113_86
.LBB113_113:
	ds_load_b32 v15, v14 offset:32
	s_waitcnt lgkmcnt(0)
	v_add_f32_e32 v12, v12, v15
	s_or_b32 exec_lo, exec_lo, s0
	s_and_saveexec_b32 s0, vcc_lo
	s_cbranch_execz .LBB113_87
.LBB113_114:
	ds_load_b32 v15, v14 offset:64
	s_waitcnt lgkmcnt(0)
	v_add_f32_e32 v10, v10, v15
	s_or_b32 exec_lo, exec_lo, s0
	s_and_saveexec_b32 s0, vcc_lo
	s_cbranch_execz .LBB113_88
.LBB113_115:
	ds_load_b32 v15, v14 offset:96
	s_waitcnt lgkmcnt(0)
	v_add_f32_e32 v9, v9, v15
	s_or_b32 exec_lo, exec_lo, s0
	s_and_saveexec_b32 s0, vcc_lo
	s_cbranch_execz .LBB113_89
.LBB113_116:
	ds_load_b32 v15, v14 offset:128
	s_waitcnt lgkmcnt(0)
	v_add_f32_e32 v8, v8, v15
	s_or_b32 exec_lo, exec_lo, s0
	s_and_saveexec_b32 s0, vcc_lo
	s_cbranch_execz .LBB113_90
.LBB113_117:
	ds_load_b32 v15, v14 offset:160
	s_waitcnt lgkmcnt(0)
	v_add_f32_e32 v7, v7, v15
	s_or_b32 exec_lo, exec_lo, s0
	s_and_saveexec_b32 s0, vcc_lo
	s_cbranch_execz .LBB113_91
.LBB113_118:
	ds_load_b32 v15, v14 offset:192
	s_waitcnt lgkmcnt(0)
	v_add_f32_e32 v5, v5, v15
	s_or_b32 exec_lo, exec_lo, s0
	s_and_saveexec_b32 s0, vcc_lo
	s_cbranch_execz .LBB113_92
.LBB113_119:
	ds_load_b32 v15, v14 offset:224
	s_waitcnt lgkmcnt(0)
	v_add_f32_e32 v4, v4, v15
	s_or_b32 exec_lo, exec_lo, s0
	s_and_saveexec_b32 s0, vcc_lo
	s_cbranch_execz .LBB113_93
.LBB113_120:
	ds_load_b32 v15, v14 offset:256
	s_waitcnt lgkmcnt(0)
	v_add_f32_e32 v3, v3, v15
	s_or_b32 exec_lo, exec_lo, s0
	s_and_saveexec_b32 s0, vcc_lo
	s_cbranch_execz .LBB113_94
.LBB113_121:
	ds_load_b32 v15, v14 offset:288
	s_waitcnt lgkmcnt(0)
	v_add_f32_e32 v2, v2, v15
	s_or_b32 exec_lo, exec_lo, s0
	s_and_saveexec_b32 s0, vcc_lo
	s_cbranch_execz .LBB113_95
.LBB113_122:
	ds_load_b32 v15, v14 offset:320
	s_waitcnt lgkmcnt(0)
	v_add_f32_e32 v1, v1, v15
	s_or_b32 exec_lo, exec_lo, s0
	s_and_saveexec_b32 s0, vcc_lo
	s_cbranch_execnz .LBB113_96
	s_branch .LBB113_97
	.section	.rodata,"a",@progbits
	.p2align	6, 0x0
	.amdhsa_kernel _ZN4vllm25paged_attention_v2_kernelIttLi96ELi32ELi128ELNS_18Fp8KVCacheDataTypeE0ELb1ELi512EEEvPfS2_PT_PKS3_PKT0_S9_ifPKiSB_iPKfiiiSD_SD_iiiii
		.amdhsa_group_segment_fixed_size 224
		.amdhsa_private_segment_fixed_size 0
		.amdhsa_kernarg_size 400
		.amdhsa_user_sgpr_count 13
		.amdhsa_user_sgpr_dispatch_ptr 0
		.amdhsa_user_sgpr_queue_ptr 0
		.amdhsa_user_sgpr_kernarg_segment_ptr 1
		.amdhsa_user_sgpr_dispatch_id 0
		.amdhsa_user_sgpr_private_segment_size 0
		.amdhsa_wavefront_size32 1
		.amdhsa_uses_dynamic_stack 0
		.amdhsa_enable_private_segment 0
		.amdhsa_system_sgpr_workgroup_id_x 1
		.amdhsa_system_sgpr_workgroup_id_y 1
		.amdhsa_system_sgpr_workgroup_id_z 1
		.amdhsa_system_sgpr_workgroup_info 0
		.amdhsa_system_vgpr_workitem_id 0
		.amdhsa_next_free_vgpr 155
		.amdhsa_next_free_sgpr 44
		.amdhsa_reserve_vcc 1
		.amdhsa_float_round_mode_32 0
		.amdhsa_float_round_mode_16_64 0
		.amdhsa_float_denorm_mode_32 3
		.amdhsa_float_denorm_mode_16_64 3
		.amdhsa_dx10_clamp 1
		.amdhsa_ieee_mode 1
		.amdhsa_fp16_overflow 0
		.amdhsa_workgroup_processor_mode 1
		.amdhsa_memory_ordered 1
		.amdhsa_forward_progress 0
		.amdhsa_shared_vgpr_count 0
		.amdhsa_exception_fp_ieee_invalid_op 0
		.amdhsa_exception_fp_denorm_src 0
		.amdhsa_exception_fp_ieee_div_zero 0
		.amdhsa_exception_fp_ieee_overflow 0
		.amdhsa_exception_fp_ieee_underflow 0
		.amdhsa_exception_fp_ieee_inexact 0
		.amdhsa_exception_int_div_zero 0
	.end_amdhsa_kernel
	.section	.text._ZN4vllm25paged_attention_v2_kernelIttLi96ELi32ELi128ELNS_18Fp8KVCacheDataTypeE0ELb1ELi512EEEvPfS2_PT_PKS3_PKT0_S9_ifPKiSB_iPKfiiiSD_SD_iiiii,"axG",@progbits,_ZN4vllm25paged_attention_v2_kernelIttLi96ELi32ELi128ELNS_18Fp8KVCacheDataTypeE0ELb1ELi512EEEvPfS2_PT_PKS3_PKT0_S9_ifPKiSB_iPKfiiiSD_SD_iiiii,comdat
.Lfunc_end113:
	.size	_ZN4vllm25paged_attention_v2_kernelIttLi96ELi32ELi128ELNS_18Fp8KVCacheDataTypeE0ELb1ELi512EEEvPfS2_PT_PKS3_PKT0_S9_ifPKiSB_iPKfiiiSD_SD_iiiii, .Lfunc_end113-_ZN4vllm25paged_attention_v2_kernelIttLi96ELi32ELi128ELNS_18Fp8KVCacheDataTypeE0ELb1ELi512EEEvPfS2_PT_PKS3_PKT0_S9_ifPKiSB_iPKfiiiSD_SD_iiiii
                                        ; -- End function
	.section	.AMDGPU.csdata,"",@progbits
; Kernel info:
; codeLenInByte = 16932
; NumSgprs: 46
; NumVgprs: 155
; ScratchSize: 0
; MemoryBound: 0
; FloatMode: 240
; IeeeMode: 1
; LDSByteSize: 224 bytes/workgroup (compile time only)
; SGPRBlocks: 5
; VGPRBlocks: 19
; NumSGPRsForWavesPerEU: 46
; NumVGPRsForWavesPerEU: 155
; Occupancy: 9
; WaveLimiterHint : 1
; COMPUTE_PGM_RSRC2:SCRATCH_EN: 0
; COMPUTE_PGM_RSRC2:USER_SGPR: 13
; COMPUTE_PGM_RSRC2:TRAP_HANDLER: 0
; COMPUTE_PGM_RSRC2:TGID_X_EN: 1
; COMPUTE_PGM_RSRC2:TGID_Y_EN: 1
; COMPUTE_PGM_RSRC2:TGID_Z_EN: 1
; COMPUTE_PGM_RSRC2:TIDIG_COMP_CNT: 0
	.section	.text._ZN4vllm25paged_attention_v2_kernelIttLi112ELi32ELi128ELNS_18Fp8KVCacheDataTypeE0ELb1ELi512EEEvPfS2_PT_PKS3_PKT0_S9_ifPKiSB_iPKfiiiSD_SD_iiiii,"axG",@progbits,_ZN4vllm25paged_attention_v2_kernelIttLi112ELi32ELi128ELNS_18Fp8KVCacheDataTypeE0ELb1ELi512EEEvPfS2_PT_PKS3_PKT0_S9_ifPKiSB_iPKfiiiSD_SD_iiiii,comdat
	.protected	_ZN4vllm25paged_attention_v2_kernelIttLi112ELi32ELi128ELNS_18Fp8KVCacheDataTypeE0ELb1ELi512EEEvPfS2_PT_PKS3_PKT0_S9_ifPKiSB_iPKfiiiSD_SD_iiiii ; -- Begin function _ZN4vllm25paged_attention_v2_kernelIttLi112ELi32ELi128ELNS_18Fp8KVCacheDataTypeE0ELb1ELi512EEEvPfS2_PT_PKS3_PKT0_S9_ifPKiSB_iPKfiiiSD_SD_iiiii
	.globl	_ZN4vllm25paged_attention_v2_kernelIttLi112ELi32ELi128ELNS_18Fp8KVCacheDataTypeE0ELb1ELi512EEEvPfS2_PT_PKS3_PKT0_S9_ifPKiSB_iPKfiiiSD_SD_iiiii
	.p2align	8
	.type	_ZN4vllm25paged_attention_v2_kernelIttLi112ELi32ELi128ELNS_18Fp8KVCacheDataTypeE0ELb1ELi512EEEvPfS2_PT_PKS3_PKT0_S9_ifPKiSB_iPKfiiiSD_SD_iiiii,@function
_ZN4vllm25paged_attention_v2_kernelIttLi112ELi32ELi128ELNS_18Fp8KVCacheDataTypeE0ELb1ELi512EEEvPfS2_PT_PKS3_PKT0_S9_ifPKiSB_iPKfiiiSD_SD_iiiii: ; @_ZN4vllm25paged_attention_v2_kernelIttLi112ELi32ELi128ELNS_18Fp8KVCacheDataTypeE0ELb1ELi512EEEvPfS2_PT_PKS3_PKT0_S9_ifPKiSB_iPKfiiiSD_SD_iiiii
; %bb.0:
	s_load_b64 s[2:3], s[0:1], 0x40
	s_mov_b32 s12, s15
	s_ashr_i32 s15, s14, 31
	s_delay_alu instid0(SALU_CYCLE_1)
	s_lshl_b64 s[4:5], s[14:15], 2
	s_waitcnt lgkmcnt(0)
	s_add_u32 s2, s2, s4
	s_addc_u32 s3, s3, s5
	s_lshl_b32 s15, s12, 9
	s_load_b32 s33, s[2:3], 0x0
	s_waitcnt lgkmcnt(0)
	s_cmp_ge_i32 s15, s33
	s_cbranch_scc1 .LBB114_108
; %bb.1:
	s_mov_b32 s24, s13
	s_clause 0x1
	s_load_b32 s13, s[0:1], 0x90
	s_load_b64 s[2:3], s[0:1], 0x30
	s_mov_b32 s37, 0
	s_waitcnt lgkmcnt(0)
	s_abs_i32 s7, s13
	s_abs_i32 s4, s2
	s_delay_alu instid0(SALU_CYCLE_1) | instskip(SKIP_1) | instid1(VALU_DEP_1)
	v_cvt_f32_u32_e32 v1, s4
	s_sub_i32 s6, 0, s4
	v_rcp_iflag_f32_e32 v1, v1
	s_waitcnt_depctr 0xfff
	v_mul_f32_e32 v1, 0x4f7ffffe, v1
	s_delay_alu instid0(VALU_DEP_1) | instskip(NEXT) | instid1(VALU_DEP_1)
	v_cvt_u32_f32_e32 v1, v1
	v_readfirstlane_b32 s5, v1
	s_delay_alu instid0(VALU_DEP_1) | instskip(NEXT) | instid1(SALU_CYCLE_1)
	s_mul_i32 s6, s6, s5
	s_mul_hi_u32 s6, s5, s6
	s_delay_alu instid0(SALU_CYCLE_1) | instskip(SKIP_4) | instid1(SALU_CYCLE_1)
	s_add_i32 s5, s5, s6
	s_xor_b32 s6, s13, s2
	s_mul_hi_u32 s5, s7, s5
	s_ashr_i32 s6, s6, 31
	s_mul_i32 s8, s5, s4
	s_sub_i32 s7, s7, s8
	s_add_i32 s8, s5, 1
	s_sub_i32 s9, s7, s4
	s_cmp_ge_u32 s7, s4
	s_cselect_b32 s5, s8, s5
	s_cselect_b32 s7, s9, s7
	s_add_i32 s8, s5, 1
	s_cmp_ge_u32 s7, s4
	s_cselect_b32 s4, s8, s5
	s_abs_i32 s17, s24
	s_xor_b32 s4, s4, s6
	s_delay_alu instid0(SALU_CYCLE_1) | instskip(SKIP_2) | instid1(SALU_CYCLE_1)
	s_sub_i32 s8, s4, s6
	s_load_b64 s[4:5], s[0:1], 0x50
	s_abs_i32 s16, s8
	v_cvt_f32_u32_e32 v1, s16
	s_sub_i32 s7, 0, s16
	s_delay_alu instid0(VALU_DEP_1) | instskip(SKIP_2) | instid1(VALU_DEP_1)
	v_rcp_iflag_f32_e32 v1, v1
	s_waitcnt_depctr 0xfff
	v_mul_f32_e32 v1, 0x4f7ffffe, v1
	v_cvt_u32_f32_e32 v1, v1
	s_delay_alu instid0(VALU_DEP_1) | instskip(NEXT) | instid1(VALU_DEP_1)
	v_readfirstlane_b32 s6, v1
	s_mul_i32 s7, s7, s6
	s_delay_alu instid0(SALU_CYCLE_1) | instskip(NEXT) | instid1(SALU_CYCLE_1)
	s_mul_hi_u32 s7, s6, s7
	s_add_i32 s6, s6, s7
	s_waitcnt lgkmcnt(0)
	s_cmp_eq_u64 s[4:5], 0
	s_mul_hi_u32 s18, s17, s6
	s_cbranch_scc1 .LBB114_3
; %bb.2:
	s_ashr_i32 s25, s24, 31
	s_delay_alu instid0(SALU_CYCLE_1) | instskip(NEXT) | instid1(SALU_CYCLE_1)
	s_lshl_b64 s[6:7], s[24:25], 2
	s_add_u32 s4, s4, s6
	s_addc_u32 s5, s5, s7
	s_load_b32 s37, s[4:5], 0x0
.LBB114_3:
	s_load_b128 s[4:7], s[0:1], 0x58
	s_waitcnt lgkmcnt(0)
	s_ashr_i32 s7, s24, 31
	s_ashr_i32 s19, s8, 31
	s_mul_i32 s20, s24, 0x70
	s_mov_b32 s8, exec_lo
	v_cmpx_gt_u32_e32 14, v0
	s_cbranch_execz .LBB114_5
; %bb.4:
	s_load_b64 s[10:11], s[0:1], 0x18
	s_mul_i32 s22, s14, s4
	v_lshlrev_b32_e32 v5, 4, v0
	s_ashr_i32 s23, s22, 31
	s_delay_alu instid0(SALU_CYCLE_1) | instskip(SKIP_4) | instid1(SALU_CYCLE_1)
	s_lshl_b64 s[22:23], s[22:23], 1
	s_waitcnt lgkmcnt(0)
	s_add_u32 s4, s10, s22
	s_addc_u32 s9, s11, s23
	s_ashr_i32 s21, s20, 31
	s_lshl_b64 s[10:11], s[20:21], 1
	s_delay_alu instid0(SALU_CYCLE_1)
	s_add_u32 s10, s4, s10
	s_addc_u32 s11, s9, s11
	global_load_b128 v[1:4], v5, s[10:11]
	s_waitcnt vmcnt(0)
	ds_store_b128 v5, v[1:4]
.LBB114_5:
	s_or_b32 exec_lo, exec_lo, s8
	s_load_b128 s[8:11], s[0:1], 0x78
	s_mul_i32 s4, s18, s16
	s_xor_b32 s7, s7, s19
	s_sub_i32 s4, s17, s4
	s_add_i32 s17, s18, 1
	s_sub_i32 s19, s4, s16
	s_cmp_ge_u32 s4, s16
	s_waitcnt lgkmcnt(0)
	s_cselect_b32 s17, s17, s18
	s_cselect_b32 s4, s19, s4
	s_add_i32 s18, s17, 1
	s_cmp_ge_u32 s4, s16
	s_load_b32 s4, s[0:1], 0x88
	s_cselect_b32 s16, s18, s17
	s_mov_b32 s17, -1
	s_xor_b32 s16, s16, s7
	s_waitcnt lgkmcnt(0)
	s_barrier
	s_sub_i32 s7, s16, s7
	buffer_gl0_inv
                                        ; implicit-def: $sgpr34
	s_abs_i32 s21, s11
	s_delay_alu instid0(SALU_CYCLE_1) | instskip(SKIP_1) | instid1(VALU_DEP_1)
	v_cvt_f32_u32_e32 v1, s21
	s_sub_i32 s16, 0, s21
	v_rcp_iflag_f32_e32 v1, v1
	s_waitcnt_depctr 0xfff
	v_mul_f32_e32 v1, 0x4f7ffffe, v1
	s_delay_alu instid0(VALU_DEP_1) | instskip(NEXT) | instid1(VALU_DEP_1)
	v_cvt_u32_f32_e32 v1, v1
	v_readfirstlane_b32 s25, v1
	s_delay_alu instid0(VALU_DEP_1)
	s_mul_i32 s18, s16, s25
	s_add_i32 s16, s33, -1
	s_mul_hi_u32 s18, s25, s18
	s_abs_i32 s28, s16
	s_add_i32 s25, s25, s18
	s_cmp_lt_i32 s4, 0
	s_mul_hi_u32 s35, s28, s25
	s_cbranch_scc0 .LBB114_7
; %bb.6:
	s_mul_i32 s2, s8, s2
	s_mov_b32 s17, 0
	s_add_i32 s2, s7, s2
	s_delay_alu instid0(SALU_CYCLE_1) | instskip(NEXT) | instid1(SALU_CYCLE_1)
	s_mul_i32 s2, s2, s4
	s_sub_i32 s34, 1, s2
.LBB114_7:
	s_load_b64 s[26:27], s[0:1], 0x38
	s_ashr_i32 s2, s16, 31
	s_and_not1_b32 vcc_lo, exec_lo, s17
	s_ashr_i32 s11, s11, 31
	s_cbranch_vccnz .LBB114_9
; %bb.8:
	s_mul_i32 s8, s13, s8
	s_delay_alu instid0(SALU_CYCLE_1) | instskip(NEXT) | instid1(SALU_CYCLE_1)
	s_add_i32 s8, s8, s24
	s_mul_i32 s4, s8, s4
	s_delay_alu instid0(SALU_CYCLE_1)
	s_add_i32 s34, s4, 1
.LBB114_9:
	s_clause 0x4
	s_load_b32 s8, s[0:1], 0x48
	s_load_b64 s[30:31], s[0:1], 0x28
	s_load_b32 s4, s[0:1], 0x98
	s_load_b128 s[16:19], s[0:1], 0x0
	s_load_b64 s[22:23], s[0:1], 0x10
	s_xor_b32 s36, s2, s11
	s_mul_i32 s2, s35, s21
	s_add_i32 s38, s35, 1
	s_sub_i32 s2, s28, s2
	v_lshrrev_b32_e32 v61, 5, v0
	v_dual_mov_b32 v65, 0xff7fffff :: v_dual_and_b32 v62, 31, v0
	s_mul_i32 s6, s7, s6
	s_delay_alu instid0(VALU_DEP_2) | instskip(NEXT) | instid1(VALU_DEP_2)
	v_lshl_add_u32 v63, v61, 5, s15
	v_lshlrev_b32_e32 v64, 2, v62
	s_waitcnt lgkmcnt(0)
	s_mul_i32 s28, s14, s8
	s_sub_i32 s8, s2, s21
	s_ashr_i32 s29, s28, 31
	s_cmp_ge_u32 s2, s21
	s_cselect_b32 s35, s38, s35
	s_cselect_b32 s2, s8, s2
	s_add_i32 s8, s35, 1
	s_cmp_ge_u32 s2, s21
	s_cselect_b32 s2, s8, s35
	s_add_i32 s8, s33, 31
	s_lshl_b32 s38, s12, 4
	s_ashr_i32 s35, s8, 31
	v_add_nc_u32_e32 v57, s38, v61
	s_lshr_b32 s35, s35, 27
	s_add_i32 s39, s38, 16
	s_add_i32 s8, s8, s35
	s_xor_b32 s40, s2, s36
	s_ashr_i32 s35, s8, 5
	v_ashrrev_i32_e32 v58, 31, v57
	s_min_i32 s8, s39, s35
	s_sub_i32 s36, s40, s36
	v_cmp_gt_i32_e64 s2, s8, v57
	s_delay_alu instid0(VALU_DEP_1)
	s_and_saveexec_b32 s39, s2
	s_cbranch_execz .LBB114_17
; %bb.10:
	s_load_b64 s[0:1], s[0:1], 0x20
	s_ashr_i32 s7, s6, 31
	v_subrev_nc_u32_e32 v5, s33, v62
	s_lshl_b64 s[40:41], s[6:7], 1
	s_sub_i32 s7, s36, s9
	v_dual_mov_b32 v74, v57 :: v_dual_lshlrev_b32 v3, 4, v62
	s_delay_alu instid0(VALU_DEP_2)
	v_add_nc_u32_e32 v69, 1, v5
	v_lshl_or_b32 v7, v61, 7, v64
	v_cmp_neq_f32_e64 vcc_lo, s37, 0
	v_lshl_add_u32 v66, v61, 5, s15
	v_mov_b32_e32 v67, 0xff7fffff
	v_mov_b32_e32 v65, 0xff7fffff
	v_add_nc_u32_e32 v70, 0x100, v7
	v_mov_b32_e32 v68, 0
	s_waitcnt lgkmcnt(0)
	s_add_u32 s42, s0, s40
	s_addc_u32 s41, s1, s41
	s_abs_i32 s40, s10
	v_add_co_u32 v71, s42, s42, v3
	v_cvt_f32_u32_e32 v1, s40
	s_sub_i32 s0, 0, s40
	v_add_co_ci_u32_e64 v72, null, s41, 0, s42
	s_mov_b32 s42, s5
	s_delay_alu instid0(VALU_DEP_2) | instskip(SKIP_3) | instid1(VALU_DEP_1)
	v_rcp_iflag_f32_e32 v1, v1
	s_mov_b32 s41, 0
	s_waitcnt_depctr 0xfff
	v_mul_f32_e32 v1, 0x4f7ffffe, v1
	v_cvt_u32_f32_e32 v4, v1
	v_lshlrev_b64 v[1:2], 2, v[57:58]
	s_delay_alu instid0(VALU_DEP_2) | instskip(SKIP_1) | instid1(SALU_CYCLE_1)
	v_mul_lo_u32 v6, s0, v4
	s_lshl_b64 s[0:1], s[28:29], 2
	s_add_u32 s0, s26, s0
	s_addc_u32 s1, s27, s1
	s_delay_alu instid0(VALU_DEP_2) | instskip(NEXT) | instid1(VALU_DEP_1)
	v_add_co_u32 v59, s0, s0, v1
	v_add_co_ci_u32_e64 v60, s0, s1, v2, s0
	s_delay_alu instid0(VALU_DEP_3) | instskip(NEXT) | instid1(VALU_DEP_1)
	v_mul_hi_u32 v5, v4, v6
	v_add_nc_u32_e32 v73, v4, v5
	s_branch .LBB114_12
.LBB114_11:                             ;   in Loop: Header=BB114_12 Depth=1
	s_or_b32 exec_lo, exec_lo, s1
	v_add_nc_u32_e32 v74, 4, v74
	v_add_co_u32 v59, s1, v59, 16
	s_delay_alu instid0(VALU_DEP_1) | instskip(NEXT) | instid1(VALU_DEP_3)
	v_add_co_ci_u32_e64 v60, s1, 0, v60, s1
	v_cmp_le_i32_e64 s0, s8, v74
	v_add_nc_u32_e32 v66, 0x80, v66
	v_add_nc_u32_e32 v70, 0x200, v70
	s_delay_alu instid0(VALU_DEP_3) | instskip(NEXT) | instid1(SALU_CYCLE_1)
	s_or_b32 s41, s0, s41
	s_and_not1_b32 exec_lo, exec_lo, s41
	s_cbranch_execz .LBB114_16
.LBB114_12:                             ; =>This Inner Loop Header: Depth=1
	v_sub_nc_u32_e32 v1, 0, v66
	s_delay_alu instid0(VALU_DEP_1) | instskip(NEXT) | instid1(VALU_DEP_1)
	v_max_i32_e32 v1, v66, v1
	v_mul_hi_u32 v2, v1, s25
	s_delay_alu instid0(VALU_DEP_1) | instskip(NEXT) | instid1(VALU_DEP_1)
	v_mul_lo_u32 v3, v2, s21
	v_sub_nc_u32_e32 v1, v1, v3
	v_add_nc_u32_e32 v3, 1, v2
	s_delay_alu instid0(VALU_DEP_2) | instskip(SKIP_1) | instid1(VALU_DEP_1)
	v_subrev_nc_u32_e32 v4, s21, v1
	v_cmp_le_u32_e64 s0, s21, v1
	v_cndmask_b32_e64 v2, v2, v3, s0
	s_delay_alu instid0(VALU_DEP_3) | instskip(SKIP_1) | instid1(VALU_DEP_3)
	v_cndmask_b32_e64 v1, v1, v4, s0
	v_ashrrev_i32_e32 v3, 31, v66
	v_add_nc_u32_e32 v4, 1, v2
	s_delay_alu instid0(VALU_DEP_3) | instskip(NEXT) | instid1(VALU_DEP_3)
	v_cmp_le_u32_e64 s0, s21, v1
	v_xor_b32_e32 v3, s11, v3
	s_delay_alu instid0(VALU_DEP_2) | instskip(NEXT) | instid1(VALU_DEP_1)
	v_cndmask_b32_e64 v1, v2, v4, s0
	v_xor_b32_e32 v1, v1, v3
	s_delay_alu instid0(VALU_DEP_1) | instskip(NEXT) | instid1(VALU_DEP_1)
	v_sub_nc_u32_e32 v1, v1, v3
	v_add_nc_u32_e32 v2, s34, v1
	v_cmp_ge_i32_e64 s1, s7, v1
	s_delay_alu instid0(VALU_DEP_2) | instskip(NEXT) | instid1(VALU_DEP_1)
	v_sub_nc_u32_e32 v3, 0, v2
	v_max_i32_e32 v3, v2, v3
	v_ashrrev_i32_e32 v2, 31, v2
	s_delay_alu instid0(VALU_DEP_2) | instskip(NEXT) | instid1(VALU_DEP_1)
	v_mul_hi_u32 v4, v3, v73
	v_mul_lo_u32 v4, v4, s40
	s_delay_alu instid0(VALU_DEP_1) | instskip(NEXT) | instid1(VALU_DEP_1)
	v_sub_nc_u32_e32 v3, v3, v4
	v_subrev_nc_u32_e32 v4, s40, v3
	v_cmp_le_u32_e64 s0, s40, v3
	s_delay_alu instid0(VALU_DEP_1) | instskip(NEXT) | instid1(VALU_DEP_1)
	v_cndmask_b32_e64 v3, v3, v4, s0
	v_subrev_nc_u32_e32 v4, s40, v3
	v_cmp_le_u32_e64 s0, s40, v3
	s_delay_alu instid0(VALU_DEP_1) | instskip(NEXT) | instid1(VALU_DEP_1)
	v_cndmask_b32_e64 v3, v3, v4, s0
	v_xor_b32_e32 v3, v3, v2
	s_delay_alu instid0(VALU_DEP_1) | instskip(NEXT) | instid1(VALU_DEP_1)
	v_sub_nc_u32_e32 v2, v3, v2
	v_cmp_ne_u32_e64 s0, 0, v2
	s_delay_alu instid0(VALU_DEP_1) | instskip(NEXT) | instid1(SALU_CYCLE_1)
	s_and_b32 s0, s0, s1
	s_and_saveexec_b32 s1, s0
	s_delay_alu instid0(SALU_CYCLE_1)
	s_xor_b32 s0, exec_lo, s1
	s_cbranch_execz .LBB114_14
; %bb.13:                               ;   in Loop: Header=BB114_12 Depth=1
	ds_store_b32 v70, v67
.LBB114_14:                             ;   in Loop: Header=BB114_12 Depth=1
	s_and_not1_saveexec_b32 s1, s0
	s_cbranch_execz .LBB114_11
; %bb.15:                               ;   in Loop: Header=BB114_12 Depth=1
	global_load_b32 v3, v[59:60], off
	s_waitcnt vmcnt(0)
	v_mad_i64_i32 v[1:2], null, v3, s42, 0
	s_delay_alu instid0(VALU_DEP_1) | instskip(NEXT) | instid1(VALU_DEP_1)
	v_lshlrev_b64 v[1:2], 1, v[1:2]
	v_add_co_u32 v33, s0, v71, v1
	s_delay_alu instid0(VALU_DEP_1)
	v_add_co_ci_u32_e64 v34, s0, v72, v2, s0
	s_clause 0x7
	global_load_b128 v[29:32], v[33:34], off
	global_load_b128 v[25:28], v[33:34], off offset:512
	global_load_b128 v[21:24], v[33:34], off offset:1024
	;; [unrolled: 1-line block ×7, first 2 shown]
	v_add_co_u32 v45, s0, 0x1000, v33
	s_delay_alu instid0(VALU_DEP_1)
	v_add_co_ci_u32_e64 v46, s0, 0, v34, s0
	s_clause 0x5
	global_load_b128 v[41:44], v[45:46], off
	global_load_b128 v[37:40], v[45:46], off offset:512
	global_load_b128 v[53:56], v[45:46], off offset:1024
	global_load_b128 v[33:36], v[45:46], off offset:1536
	global_load_b128 v[49:52], v[45:46], off offset:2048
	global_load_b128 v[45:48], v[45:46], off offset:2560
	ds_load_b128 v[75:78], v68
	s_waitcnt lgkmcnt(0)
	v_lshrrev_b32_e32 v79, 16, v75
	v_and_b32_e32 v75, 0xffff, v75
	v_lshrrev_b32_e32 v80, 16, v76
	v_lshrrev_b32_e32 v81, 16, v77
	;; [unrolled: 1-line block ×3, first 2 shown]
	v_and_b32_e32 v83, 0xffff, v78
	;;#ASMSTART
	v_cvt_f32_f16 v93, v75;
	;;#ASMEND
	;;#ASMSTART
	v_cvt_f32_f16 v78, v79;
	;;#ASMEND
	v_and_b32_e32 v76, 0xffff, v76
	s_waitcnt vmcnt(13)
	v_lshrrev_b32_e32 v75, 16, v29
	v_and_b32_e32 v29, 0xffff, v29
	v_lshrrev_b32_e32 v79, 16, v30
	v_lshrrev_b32_e32 v84, 16, v31
	;;#ASMSTART
	v_cvt_f32_f16 v143, v29;
	;;#ASMEND
	;;#ASMSTART
	v_cvt_f32_f16 v120, v75;
	;;#ASMEND
	v_and_b32_e32 v77, 0xffff, v77
	v_and_b32_e32 v30, 0xffff, v30
	;; [unrolled: 1-line block ×3, first 2 shown]
	v_lshrrev_b32_e32 v85, 16, v32
	v_and_b32_e32 v32, 0xffff, v32
	s_waitcnt vmcnt(10)
	v_lshrrev_b32_e32 v111, 16, v17
	v_and_b32_e32 v112, 0xffff, v17
	v_lshrrev_b32_e32 v113, 16, v18
	v_and_b32_e32 v115, 0xffff, v18
	;; [unrolled: 2-line block ×4, first 2 shown]
	;;#ASMSTART
	v_cvt_f32_f16 v121, v76;
	;;#ASMEND
	;;#ASMSTART
	v_cvt_f32_f16 v122, v80;
	;;#ASMEND
	;; [unrolled: 3-line block ×12, first 2 shown]
	ds_load_b128 v[17:20], v68 offset:16
	v_lshrrev_b32_e32 v86, 16, v25
	v_and_b32_e32 v25, 0xffff, v25
	v_lshrrev_b32_e32 v87, 16, v26
	v_lshrrev_b32_e32 v88, 16, v27
	v_and_b32_e32 v27, 0xffff, v27
	v_lshrrev_b32_e32 v89, 16, v28
	v_and_b32_e32 v28, 0xffff, v28
	s_waitcnt vmcnt(9)
	v_lshrrev_b32_e32 v139, 16, v14
	v_and_b32_e32 v140, 0xffff, v14
	v_lshrrev_b32_e32 v141, 16, v15
	v_and_b32_e32 v142, 0xffff, v15
	v_lshrrev_b32_e32 v144, 16, v16
	v_and_b32_e32 v145, 0xffff, v16
	s_waitcnt vmcnt(8)
	v_lshrrev_b32_e32 v146, 16, v9
	v_and_b32_e32 v147, 0xffff, v9
	v_lshrrev_b32_e32 v148, 16, v10
	v_and_b32_e32 v149, 0xffff, v10
	;; [unrolled: 2-line block ×4, first 2 shown]
	s_waitcnt vmcnt(7)
	v_lshrrev_b32_e32 v99, 16, v5
	v_and_b32_e32 v101, 0xffff, v5
	v_lshrrev_b32_e32 v97, 16, v6
	v_and_b32_e32 v100, 0xffff, v6
	;; [unrolled: 2-line block ×4, first 2 shown]
	s_waitcnt lgkmcnt(0)
	v_lshrrev_b32_e32 v5, 16, v17
	v_and_b32_e32 v6, 0xffff, v17
	v_lshrrev_b32_e32 v7, 16, v18
	v_and_b32_e32 v8, 0xffff, v18
	;; [unrolled: 2-line block ×4, first 2 shown]
	;;#ASMSTART
	v_cvt_f32_f16 v154, v6;
	;;#ASMEND
	;;#ASMSTART
	v_cvt_f32_f16 v155, v5;
	;;#ASMEND
	;; [unrolled: 3-line block ×5, first 2 shown]
	v_and_b32_e32 v26, 0xffff, v26
	;;#ASMSTART
	v_cvt_f32_f16 v159, v7;
	;;#ASMEND
	;;#ASMSTART
	v_cvt_f32_f16 v160, v26;
	;;#ASMEND
	;; [unrolled: 3-line block ×11, first 2 shown]
	ds_load_b128 v[14:17], v68 offset:32
	v_lshrrev_b32_e32 v105, 16, v21
	v_and_b32_e32 v21, 0xffff, v21
	v_lshrrev_b32_e32 v106, 16, v22
	v_and_b32_e32 v22, 0xffff, v22
	v_lshrrev_b32_e32 v107, 16, v23
	v_lshrrev_b32_e32 v110, 16, v24
	v_and_b32_e32 v24, 0xffff, v24
	s_waitcnt vmcnt(6)
	v_lshrrev_b32_e32 v82, 16, v1
	v_and_b32_e32 v117, 0xffff, v1
	v_lshrrev_b32_e32 v108, 16, v2
	v_and_b32_e32 v114, 0xffff, v2
	;; [unrolled: 2-line block ×4, first 2 shown]
	s_waitcnt vmcnt(5)
	v_lshrrev_b32_e32 v88, 16, v42
	v_and_b32_e32 v91, 0xffff, v42
	v_lshrrev_b32_e32 v86, 16, v43
	v_and_b32_e32 v89, 0xffff, v43
	s_waitcnt lgkmcnt(0)
	v_lshrrev_b32_e32 v1, 16, v14
	v_and_b32_e32 v2, 0xffff, v14
	v_lshrrev_b32_e32 v3, 16, v15
	v_and_b32_e32 v4, 0xffff, v15
	;;#ASMSTART
	v_cvt_f32_f16 v170, v2;
	;;#ASMEND
	;;#ASMSTART
	v_cvt_f32_f16 v171, v1;
	;;#ASMEND
	;; [unrolled: 3-line block ×8, first 2 shown]
	v_and_b32_e32 v23, 0xffff, v23
	v_lshrrev_b32_e32 v5, 16, v16
	v_and_b32_e32 v6, 0xffff, v16
	v_lshrrev_b32_e32 v7, 16, v17
	v_and_b32_e32 v9, 0xffff, v17
	;;#ASMSTART
	v_cvt_f32_f16 v178, v6;
	;;#ASMEND
	;;#ASMSTART
	v_cvt_f32_f16 v118, v5;
	;;#ASMEND
	;; [unrolled: 3-line block ×8, first 2 shown]
	ds_load_b128 v[23:26], v68 offset:48
	s_waitcnt vmcnt(3)
	v_lshrrev_b32_e32 v12, 16, v56
	v_and_b32_e32 v15, 0xffff, v56
	s_waitcnt vmcnt(2)
	v_lshrrev_b32_e32 v5, 16, v33
	v_and_b32_e32 v7, 0xffff, v33
	v_lshrrev_b32_e32 v137, 16, v13
	v_and_b32_e32 v138, 0xffff, v13
	;; [unrolled: 2-line block ×7, first 2 shown]
	s_waitcnt vmcnt(1)
	v_lshrrev_b32_e32 v53, 16, v49
	v_and_b32_e32 v54, 0xffff, v49
	v_lshrrev_b32_e32 v39, 16, v51
	s_waitcnt lgkmcnt(0)
	v_lshrrev_b32_e32 v9, 16, v23
	v_and_b32_e32 v16, 0xffff, v23
	v_lshrrev_b32_e32 v19, 16, v24
	v_and_b32_e32 v23, 0xffff, v24
	;; [unrolled: 2-line block ×4, first 2 shown]
	;;#ASMSTART
	v_cvt_f32_f16 v127, v16;
	;;#ASMEND
	;;#ASMSTART
	v_cvt_f32_f16 v128, v9;
	;;#ASMEND
	;; [unrolled: 3-line block ×16, first 2 shown]
	ds_load_b128 v[133:136], v68 offset:64
	v_dual_mul_f32 v26, v155, v157 :: v_dual_and_b32 v49, 0xffff, v51
	s_waitcnt vmcnt(0)
	v_lshrrev_b32_e32 v9, 16, v48
	v_and_b32_e32 v16, 0xffff, v48
	v_lshrrev_b32_e32 v28, 16, v45
	v_dual_fmac_f32 v26, v78, v120 :: v_dual_and_b32 v29, 0xffff, v45
	v_lshrrev_b32_e32 v8, 16, v38
	v_and_b32_e32 v11, 0xffff, v38
	v_lshrrev_b32_e32 v30, 16, v40
	v_and_b32_e32 v32, 0xffff, v40
	;; [unrolled: 2-line block ×6, first 2 shown]
	s_waitcnt lgkmcnt(0)
	v_lshrrev_b32_e32 v33, 16, v133
	v_and_b32_e32 v34, 0xffff, v133
	;;#ASMSTART
	v_cvt_f32_f16 v48, v34;
	;;#ASMEND
	;;#ASMSTART
	v_cvt_f32_f16 v51, v33;
	;;#ASMEND
	v_mul_f32_e32 v33, v166, v168
	v_and_b32_e32 v45, 0xffff, v135
	v_mul_f32_e32 v25, v154, v156
	v_lshrrev_b32_e32 v35, 16, v134
	s_delay_alu instid0(VALU_DEP_4)
	v_dual_fmac_f32 v33, v80, v83 :: v_dual_and_b32 v36, 0xffff, v134
	;;#ASMSTART
	v_cvt_f32_f16 v52, v138;
	;;#ASMEND
	;;#ASMSTART
	v_cvt_f32_f16 v137, v137;
	;;#ASMEND
	;; [unrolled: 3-line block ×7, first 2 shown]
	v_mul_f32_e32 v45, v167, v169
	v_dual_fmac_f32 v26, v171, v173 :: v_dual_fmac_f32 v25, v93, v143
	v_mul_f32_e32 v34, v163, v165
	v_lshrrev_b32_e32 v24, 16, v46
	s_delay_alu instid0(VALU_DEP_3)
	v_dual_fmac_f32 v45, v81, v84 :: v_dual_fmac_f32 v26, v128, v130
	v_and_b32_e32 v27, 0xffff, v46
	v_lshrrev_b32_e32 v19, 16, v47
	v_and_b32_e32 v23, 0xffff, v47
	v_lshrrev_b32_e32 v46, 16, v136
	;; [unrolled: 2-line block ×3, first 2 shown]
	v_fmac_f32_e32 v25, v170, v172
	v_dual_fmac_f32 v45, v43, v76 :: v_dual_and_b32 v92, 0xffff, v41
	v_lshrrev_b32_e32 v41, 16, v135
	;;#ASMSTART
	v_cvt_f32_f16 v156, v41;
	;;#ASMEND
	;;#ASMSTART
	v_cvt_f32_f16 v142, v142;
	;;#ASMEND
	s_delay_alu instid0(VALU_DEP_2)
	v_fmac_f32_e32 v45, v113, v116
	;;#ASMSTART
	v_cvt_f32_f16 v141, v141;
	;;#ASMEND
	;;#ASMSTART
	v_cvt_f32_f16 v47, v47;
	;;#ASMEND
	;; [unrolled: 3-line block ×3, first 2 shown]
	v_fmac_f32_e32 v26, v51, v137
	;;#ASMSTART
	v_cvt_f32_f16 v145, v145;
	;;#ASMEND
	;;#ASMSTART
	v_cvt_f32_f16 v144, v144;
	;;#ASMEND
	ds_load_b128 v[133:136], v68 offset:80
	v_mul_f32_e32 v36, v159, v161
	v_dual_fmac_f32 v34, v77, v79 :: v_dual_mul_f32 v41, v158, v160
	v_mul_f32_e32 v35, v162, v164
	v_fmac_f32_e32 v33, v42, v75
	s_delay_alu instid0(VALU_DEP_4) | instskip(NEXT) | instid1(VALU_DEP_4)
	v_fmac_f32_e32 v36, v122, v124
	v_fmac_f32_e32 v34, v118, v119
	v_add_nc_u32_e32 v118, v69, v66
	v_fmac_f32_e32 v41, v121, v123
	s_delay_alu instid0(VALU_DEP_4) | instskip(NEXT) | instid1(VALU_DEP_4)
	v_dual_fmac_f32 v35, v125, v126 :: v_dual_fmac_f32 v36, v175, v177
	v_fmac_f32_e32 v34, v107, v111
	s_delay_alu instid0(VALU_DEP_4) | instskip(NEXT) | instid1(VALU_DEP_4)
	v_cvt_f32_i32_e32 v118, v118
	v_fmac_f32_e32 v41, v174, v176
	s_delay_alu instid0(VALU_DEP_4) | instskip(NEXT) | instid1(VALU_DEP_4)
	v_dual_fmac_f32 v35, v178, v179 :: v_dual_fmac_f32 v36, v56, v105
	v_fmac_f32_e32 v34, v156, v141
	v_fmac_f32_e32 v33, v112, v115
	s_delay_alu instid0(VALU_DEP_4)
	v_fmac_f32_e32 v41, v131, v132
	s_waitcnt lgkmcnt(0)
	v_lshrrev_b32_e32 v93, 16, v133
	v_and_b32_e32 v133, 0xffff, v133
	v_lshrrev_b32_e32 v143, 16, v134
	v_and_b32_e32 v134, 0xffff, v134
	;; [unrolled: 2-line block ×4, first 2 shown]
	;;#ASMSTART
	v_cvt_f32_f16 v159, v133;
	;;#ASMEND
	;;#ASMSTART
	v_cvt_f32_f16 v160, v93;
	;;#ASMEND
	v_fmac_f32_e32 v36, v154, v139
	;;#ASMSTART
	v_cvt_f32_f16 v147, v147;
	;;#ASMEND
	;;#ASMSTART
	v_cvt_f32_f16 v146, v146;
	;;#ASMEND
	;; [unrolled: 3-line block ×8, first 2 shown]
	v_fmac_f32_e32 v26, v160, v146
	;;#ASMSTART
	v_cvt_f32_f16 v151, v151;
	;;#ASMEND
	;;#ASMSTART
	v_cvt_f32_f16 v150, v150;
	;;#ASMEND
	;;#ASMSTART
	v_cvt_f32_f16 v163, v136;
	;;#ASMEND
	;;#ASMSTART
	v_cvt_f32_f16 v158, v158;
	;;#ASMEND
	v_fmac_f32_e32 v34, v157, v150
	;;#ASMSTART
	v_cvt_f32_f16 v153, v153;
	;;#ASMEND
	;;#ASMSTART
	v_cvt_f32_f16 v152, v152;
	;;#ASMEND
	ds_load_b128 v[133:136], v68 offset:96
	v_dual_fmac_f32 v36, v143, v148 :: v_dual_fmac_f32 v35, v106, v110
	v_fmac_f32_e32 v41, v138, v140
	v_fmac_f32_e32 v25, v127, v129
	v_lshrrev_b32_e32 v85, 16, v44
	v_fmac_f32_e32 v45, v46, v144
	v_fmac_f32_e32 v35, v155, v142
	;; [unrolled: 1-line block ×7, first 2 shown]
	s_delay_alu instid0(VALU_DEP_4) | instskip(NEXT) | instid1(VALU_DEP_4)
	v_fmac_f32_e32 v25, v159, v147
	v_fmac_f32_e32 v33, v163, v153
	s_waitcnt lgkmcnt(0)
	v_and_b32_e32 v93, 0xffff, v133
	v_lshrrev_b32_e32 v120, 16, v134
	v_and_b32_e32 v121, 0xffff, v134
	v_lshrrev_b32_e32 v122, 16, v135
	;; [unrolled: 2-line block ×4, first 2 shown]
	;;#ASMSTART
	v_cvt_f32_f16 v126, v93;
	;;#ASMEND
	;;#ASMSTART
	v_cvt_f32_f16 v133, v78;
	;;#ASMEND
	;; [unrolled: 3-line block ×16, first 2 shown]
	ds_load_b128 v[93:96], v68 offset:112
	v_fmac_f32_e32 v26, v133, v99
	v_dual_fmac_f32 v36, v120, v97 :: v_dual_fmac_f32 v35, v123, v98
	v_dual_fmac_f32 v41, v121, v100 :: v_dual_fmac_f32 v34, v122, v134
	v_fmac_f32_e32 v25, v126, v101
	v_fmac_f32_e32 v45, v124, v136
	;; [unrolled: 1-line block ×3, first 2 shown]
	s_waitcnt lgkmcnt(0)
	v_lshrrev_b32_e32 v77, 16, v93
	v_and_b32_e32 v78, 0xffff, v93
	v_lshrrev_b32_e32 v79, 16, v94
	v_and_b32_e32 v80, 0xffff, v94
	;; [unrolled: 2-line block ×4, first 2 shown]
	;;#ASMSTART
	v_cvt_f32_f16 v94, v78;
	;;#ASMEND
	;;#ASMSTART
	v_cvt_f32_f16 v95, v77;
	;;#ASMEND
	;; [unrolled: 3-line block ×16, first 2 shown]
	ds_load_b128 v[77:80], v68 offset:128
	v_fmac_f32_e32 v35, v83, v109
	v_dual_fmac_f32 v26, v95, v82 :: v_dual_and_b32 v87, 0xffff, v44
	v_dual_fmac_f32 v41, v117, v114 :: v_dual_fmac_f32 v36, v164, v108
	v_fmac_f32_e32 v25, v94, v96
	v_dual_fmac_f32 v45, v84, v102 :: v_dual_fmac_f32 v34, v81, v103
	v_lshrrev_b32_e32 v44, 16, v50
	v_dual_fmac_f32 v33, v93, v104 :: v_dual_and_b32 v50, 0xffff, v50
	s_waitcnt lgkmcnt(0)
	v_lshrrev_b32_e32 v165, 16, v77
	v_lshrrev_b32_e32 v166, 16, v78
	;; [unrolled: 1-line block ×3, first 2 shown]
	v_and_b32_e32 v77, 0xffff, v77
	v_and_b32_e32 v78, 0xffff, v78
	;; [unrolled: 1-line block ×3, first 2 shown]
	v_lshrrev_b32_e32 v168, 16, v80
	;;#ASMSTART
	v_cvt_f32_f16 v169, v77;
	;;#ASMEND
	;;#ASMSTART
	v_cvt_f32_f16 v165, v165;
	;;#ASMEND
	;; [unrolled: 3-line block ×7, first 2 shown]
	v_fmac_f32_e32 v41, v170, v91
	;;#ASMSTART
	v_cvt_f32_f16 v88, v88;
	;;#ASMEND
	;;#ASMSTART
	v_cvt_f32_f16 v171, v79;
	;;#ASMEND
	;; [unrolled: 3-line block ×4, first 2 shown]
	v_dual_fmac_f32 v35, v171, v89 :: v_dual_and_b32 v80, 0xffff, v80
	;;#ASMSTART
	v_cvt_f32_f16 v86, v86;
	;;#ASMEND
	;;#ASMSTART
	v_cvt_f32_f16 v172, v80;
	;;#ASMEND
	;; [unrolled: 3-line block ×5, first 2 shown]
	ds_load_b128 v[77:80], v68 offset:144
	v_fmac_f32_e32 v25, v169, v92
	v_dual_fmac_f32 v36, v166, v88 :: v_dual_fmac_f32 v45, v168, v85
	v_fmac_f32_e32 v34, v167, v86
	v_dual_fmac_f32 v26, v165, v90 :: v_dual_fmac_f32 v33, v172, v87
	s_waitcnt lgkmcnt(0)
	v_lshrrev_b32_e32 v42, 16, v77
	v_and_b32_e32 v43, 0xffff, v77
	v_lshrrev_b32_e32 v75, 16, v78
	v_and_b32_e32 v76, 0xffff, v78
	v_lshrrev_b32_e32 v77, 16, v79
	;;#ASMSTART
	v_cvt_f32_f16 v43, v43;
	;;#ASMEND
	;;#ASMSTART
	v_cvt_f32_f16 v42, v42;
	;;#ASMEND
	;; [unrolled: 3-line block ×7, first 2 shown]
	v_dual_fmac_f32 v41, v128, v130 :: v_dual_and_b32 v78, 0xffff, v79
	v_lshrrev_b32_e32 v79, 16, v80
	v_dual_fmac_f32 v25, v43, v119 :: v_dual_and_b32 v80, 0xffff, v80
	;;#ASMSTART
	v_cvt_f32_f16 v8, v8;
	;;#ASMEND
	;;#ASMSTART
	v_cvt_f32_f16 v131, v78;
	;;#ASMEND
	;; [unrolled: 3-line block ×9, first 2 shown]
	ds_load_b128 v[75:78], v68 offset:160
	v_dual_fmac_f32 v26, v42, v127 :: v_dual_fmac_f32 v35, v131, v37
	v_fmac_f32_e32 v34, v132, v31
	v_fmac_f32_e32 v33, v80, v32
	v_dual_fmac_f32 v36, v129, v8 :: v_dual_fmac_f32 v45, v79, v30
	s_waitcnt lgkmcnt(0)
	v_and_b32_e32 v46, 0xffff, v76
	v_lshrrev_b32_e32 v10, 16, v75
	v_and_b32_e32 v11, 0xffff, v75
	v_lshrrev_b32_e32 v13, 16, v76
	v_lshrrev_b32_e32 v47, 16, v77
	v_and_b32_e32 v48, 0xffff, v77
	v_lshrrev_b32_e32 v51, 16, v78
	;;#ASMSTART
	v_cvt_f32_f16 v56, v11;
	;;#ASMEND
	;;#ASMSTART
	v_cvt_f32_f16 v75, v10;
	;;#ASMEND
	;; [unrolled: 3-line block ×7, first 2 shown]
	v_dual_fmac_f32 v41, v46, v21 :: v_dual_and_b32 v52, 0xffff, v78
	;;#ASMSTART
	v_cvt_f32_f16 v17, v17;
	;;#ASMEND
	;;#ASMSTART
	v_cvt_f32_f16 v48, v48;
	;;#ASMEND
	;; [unrolled: 3-line block ×9, first 2 shown]
	ds_load_b128 v[10:13], v68 offset:176
	v_dual_fmac_f32 v34, v47, v14 :: v_dual_fmac_f32 v33, v52, v15
	v_fmac_f32_e32 v26, v75, v20
	v_fmac_f32_e32 v36, v76, v17
	;; [unrolled: 1-line block ×3, first 2 shown]
	s_waitcnt lgkmcnt(0)
	v_lshrrev_b32_e32 v78, 16, v10
	v_and_b32_e32 v10, 0xffff, v10
	v_lshrrev_b32_e32 v81, 16, v11
	v_and_b32_e32 v11, 0xffff, v11
	;; [unrolled: 2-line block ×4, first 2 shown]
	;;#ASMSTART
	v_cvt_f32_f16 v10, v10;
	;;#ASMEND
	;;#ASMSTART
	v_cvt_f32_f16 v78, v78;
	;;#ASMEND
	;; [unrolled: 3-line block ×16, first 2 shown]
	ds_load_b128 v[1:4], v68 offset:192
	v_dual_fmac_f32 v25, v56, v22 :: v_dual_fmac_f32 v26, v78, v5
	v_dual_fmac_f32 v41, v11, v6 :: v_dual_fmac_f32 v36, v81, v84
	;; [unrolled: 1-line block ×3, first 2 shown]
	v_fmac_f32_e32 v45, v83, v94
	s_waitcnt lgkmcnt(0)
	v_lshrrev_b32_e32 v8, 16, v1
	v_and_b32_e32 v1, 0xffff, v1
	v_lshrrev_b32_e32 v17, 16, v2
	v_and_b32_e32 v2, 0xffff, v2
	;; [unrolled: 2-line block ×4, first 2 shown]
	;;#ASMSTART
	v_cvt_f32_f16 v22, v1;
	;;#ASMEND
	;;#ASMSTART
	v_cvt_f32_f16 v8, v8;
	;;#ASMEND
	;; [unrolled: 3-line block ×16, first 2 shown]
	ds_load_b128 v[1:4], v68 offset:208
	v_fmac_f32_e32 v25, v10, v7
	v_fmac_f32_e32 v26, v8, v31
	;; [unrolled: 1-line block ×3, first 2 shown]
	v_dual_fmac_f32 v41, v32, v37 :: v_dual_fmac_f32 v36, v17, v42
	v_dual_fmac_f32 v34, v20, v39 :: v_dual_fmac_f32 v33, v46, v40
	s_delay_alu instid0(VALU_DEP_3) | instskip(SKIP_1) | instid1(VALU_DEP_2)
	v_fmac_f32_e32 v35, v12, v92
	v_fmac_f32_e32 v45, v21, v38
	;; [unrolled: 1-line block ×3, first 2 shown]
	s_waitcnt lgkmcnt(0)
	v_lshrrev_b32_e32 v6, 16, v2
	v_and_b32_e32 v2, 0xffff, v2
	v_fmac_f32_e32 v25, v22, v30
	v_and_b32_e32 v5, 0xffff, v1
	v_lshrrev_b32_e32 v1, 16, v1
	;;#ASMSTART
	v_cvt_f32_f16 v5, v5;
	;;#ASMEND
	;;#ASMSTART
	v_cvt_f32_f16 v1, v1;
	;;#ASMEND
	;;#ASMSTART
	v_cvt_f32_f16 v7, v29;
	;;#ASMEND
	;;#ASMSTART
	v_cvt_f32_f16 v8, v28;
	;;#ASMEND
	v_fmac_f32_e32 v25, v5, v7
	v_fmac_f32_e32 v26, v1, v8
	;;#ASMSTART
	v_cvt_f32_f16 v1, v2;
	;;#ASMEND
	;;#ASMSTART
	v_cvt_f32_f16 v2, v6;
	;;#ASMEND
	;; [unrolled: 3-line block ×3, first 2 shown]
	v_fmac_f32_e32 v41, v1, v5
	v_add_f32_e32 v1, v25, v26
	;;#ASMSTART
	v_cvt_f32_f16 v6, v24;
	;;#ASMEND
	v_dual_fmac_f32 v36, v2, v6 :: v_dual_and_b32 v5, 0xffff, v3
	v_lshrrev_b32_e32 v3, 16, v3
	s_delay_alu instid0(VALU_DEP_3)
	v_add_f32_e32 v1, v1, v41
	;;#ASMSTART
	v_cvt_f32_f16 v2, v5;
	;;#ASMEND
	;;#ASMSTART
	v_cvt_f32_f16 v3, v3;
	;;#ASMEND
	;; [unrolled: 3-line block ×3, first 2 shown]
	v_dual_fmac_f32 v35, v2, v5 :: v_dual_and_b32 v2, 0xffff, v4
	v_add_f32_e32 v1, v36, v1
	;;#ASMSTART
	v_cvt_f32_f16 v5, v19;
	;;#ASMEND
	v_fmac_f32_e32 v34, v3, v5
	v_lshrrev_b32_e32 v4, 16, v4
	;;#ASMSTART
	v_cvt_f32_f16 v2, v2;
	;;#ASMEND
	v_add_f32_e32 v1, v1, v35
	;;#ASMSTART
	v_cvt_f32_f16 v3, v4;
	;;#ASMEND
	;;#ASMSTART
	v_cvt_f32_f16 v4, v16;
	;;#ASMEND
	v_dual_fmac_f32 v33, v2, v4 :: v_dual_mul_f32 v2, s37, v118
	s_delay_alu instid0(VALU_DEP_2) | instskip(SKIP_2) | instid1(VALU_DEP_3)
	v_add_f32_e32 v1, v34, v1
	;;#ASMSTART
	v_cvt_f32_f16 v4, v9;
	;;#ASMEND
	v_fmac_f32_e32 v45, v3, v4
	v_dual_max_f32 v3, v65, v65 :: v_dual_cndmask_b32 v2, 0, v2
	s_delay_alu instid0(VALU_DEP_3) | instskip(NEXT) | instid1(VALU_DEP_1)
	v_add_f32_e32 v1, v1, v33
	v_add_f32_e32 v1, v45, v1
	s_delay_alu instid0(VALU_DEP_1) | instskip(NEXT) | instid1(VALU_DEP_1)
	v_dual_fmac_f32 v2, s3, v1 :: v_dual_add_nc_u32 v1, v62, v66
	v_max_f32_e32 v3, v3, v2
	s_delay_alu instid0(VALU_DEP_2) | instskip(NEXT) | instid1(VALU_DEP_1)
	v_cmp_gt_i32_e64 s0, s33, v1
	v_cndmask_b32_e64 v1, 0, v2, s0
	s_delay_alu instid0(VALU_DEP_3)
	v_cndmask_b32_e64 v65, v65, v3, s0
	ds_store_b32 v70, v1
	s_branch .LBB114_11
.LBB114_16:
	s_or_b32 exec_lo, exec_lo, s41
.LBB114_17:
	s_delay_alu instid0(SALU_CYCLE_1) | instskip(SKIP_2) | instid1(VALU_DEP_2)
	s_or_b32 exec_lo, exec_lo, s39
	v_mbcnt_lo_u32_b32 v1, -1, 0
	v_max_f32_e32 v5, v65, v65
	v_xor_b32_e32 v2, 16, v1
	v_xor_b32_e32 v4, 8, v1
	s_delay_alu instid0(VALU_DEP_2) | instskip(SKIP_1) | instid1(VALU_DEP_3)
	v_cmp_gt_i32_e32 vcc_lo, 32, v2
	v_cndmask_b32_e32 v2, v1, v2, vcc_lo
	v_cmp_gt_i32_e32 vcc_lo, 32, v4
	s_delay_alu instid0(VALU_DEP_2) | instskip(SKIP_4) | instid1(VALU_DEP_1)
	v_lshlrev_b32_e32 v2, 2, v2
	v_cndmask_b32_e32 v4, v1, v4, vcc_lo
	ds_bpermute_b32 v3, v2, v65
	s_waitcnt lgkmcnt(0)
	v_dual_max_f32 v6, v3, v3 :: v_dual_lshlrev_b32 v3, 2, v4
	v_max_f32_e32 v4, v5, v6
	v_xor_b32_e32 v6, 4, v1
	ds_bpermute_b32 v5, v3, v4
	v_cmp_gt_i32_e32 vcc_lo, 32, v6
	v_cndmask_b32_e32 v6, v1, v6, vcc_lo
	s_waitcnt lgkmcnt(0)
	v_max_f32_e32 v7, v5, v5
	s_delay_alu instid0(VALU_DEP_1)
	v_dual_max_f32 v4, v4, v7 :: v_dual_lshlrev_b32 v5, 2, v6
	v_xor_b32_e32 v7, 2, v1
	ds_bpermute_b32 v6, v5, v4
	v_cmp_gt_i32_e32 vcc_lo, 32, v7
	s_waitcnt lgkmcnt(0)
	v_dual_cndmask_b32 v7, v1, v7 :: v_dual_max_f32 v6, v6, v6
	s_delay_alu instid0(VALU_DEP_1) | instskip(NEXT) | instid1(VALU_DEP_2)
	v_max_f32_e32 v4, v4, v6
	v_lshlrev_b32_e32 v10, 2, v7
	v_xor_b32_e32 v7, 1, v1
	s_delay_alu instid0(VALU_DEP_1)
	v_cmp_gt_i32_e32 vcc_lo, 32, v7
	v_cndmask_b32_e32 v7, v1, v7, vcc_lo
	ds_bpermute_b32 v6, v10, v4
	v_cmp_eq_u32_e32 vcc_lo, 0, v62
	s_waitcnt lgkmcnt(0)
	v_dual_max_f32 v6, v6, v6 :: v_dual_lshlrev_b32 v9, 2, v7
	s_delay_alu instid0(VALU_DEP_1)
	v_dual_max_f32 v1, v4, v6 :: v_dual_lshlrev_b32 v6, 2, v61
	ds_bpermute_b32 v4, v9, v1
	s_and_saveexec_b32 s0, vcc_lo
	s_cbranch_execz .LBB114_19
; %bb.18:
	s_waitcnt lgkmcnt(0)
	v_dual_max_f32 v4, v4, v4 :: v_dual_max_f32 v1, v1, v1
	s_delay_alu instid0(VALU_DEP_1)
	v_max_f32_e32 v1, v1, v4
	ds_store_b32 v6, v1 offset:224
.LBB114_19:
	s_or_b32 exec_lo, exec_lo, s0
	v_cmp_gt_u32_e64 s0, 4, v62
	v_mov_b32_e32 v1, 0xff7fffff
	s_waitcnt lgkmcnt(0)
	s_barrier
	buffer_gl0_inv
	s_and_saveexec_b32 s1, s0
	s_cbranch_execz .LBB114_21
; %bb.20:
	ds_load_b32 v1, v64 offset:224
.LBB114_21:
	s_or_b32 exec_lo, exec_lo, s1
	s_waitcnt lgkmcnt(0)
	ds_bpermute_b32 v4, v10, v1
	v_max_f32_e32 v1, v1, v1
	s_sub_i32 s1, s8, s38
	v_mov_b32_e32 v7, 0
	s_lshl_b32 s1, s1, 5
	s_delay_alu instid0(SALU_CYCLE_1) | instskip(NEXT) | instid1(SALU_CYCLE_1)
	s_add_i32 s1, s1, s15
	s_min_i32 s1, s1, s33
	s_delay_alu instid0(SALU_CYCLE_1) | instskip(NEXT) | instid1(SALU_CYCLE_1)
	s_sub_i32 s7, s1, s15
	v_cmp_gt_i32_e64 s1, s7, v0
	s_waitcnt lgkmcnt(0)
	v_max_f32_e32 v4, v4, v4
	s_delay_alu instid0(VALU_DEP_1) | instskip(SKIP_3) | instid1(VALU_DEP_1)
	v_max_f32_e32 v1, v1, v4
	ds_bpermute_b32 v4, v9, v1
	s_waitcnt lgkmcnt(0)
	v_max_f32_e32 v4, v4, v4
	v_max_f32_e32 v1, v1, v4
	v_lshl_add_u32 v4, v0, 2, 0x100
	ds_bpermute_b32 v1, v7, v1
	s_and_saveexec_b32 s15, s1
	s_cbranch_execz .LBB114_25
; %bb.22:
	v_lshl_add_u32 v8, v0, 2, 0x100
	v_mov_b32_e32 v7, 0
	v_mov_b32_e32 v11, v0
	s_mov_b32 s37, 0
	.p2align	6
.LBB114_23:                             ; =>This Inner Loop Header: Depth=1
	ds_load_b32 v12, v8
	v_add_nc_u32_e32 v11, 0x80, v11
	s_delay_alu instid0(VALU_DEP_1) | instskip(NEXT) | instid1(VALU_DEP_1)
	v_cmp_le_i32_e64 s3, s7, v11
	s_or_b32 s37, s3, s37
	s_waitcnt lgkmcnt(0)
	v_sub_f32_e32 v12, v12, v1
	s_delay_alu instid0(VALU_DEP_1) | instskip(NEXT) | instid1(VALU_DEP_1)
	v_mul_f32_e32 v12, 0x3fb8aa3b, v12
	v_exp_f32_e32 v12, v12
	ds_store_b32 v8, v12
	v_add_f32_e32 v7, v7, v12
	v_add_nc_u32_e32 v8, 0x200, v8
	s_and_not1_b32 exec_lo, exec_lo, s37
	s_cbranch_execnz .LBB114_23
; %bb.24:
	s_or_b32 exec_lo, exec_lo, s37
.LBB114_25:
	s_delay_alu instid0(SALU_CYCLE_1)
	s_or_b32 exec_lo, exec_lo, s15
	ds_bpermute_b32 v2, v2, v7
	s_waitcnt lgkmcnt(0)
	v_add_f32_e32 v2, v7, v2
	ds_bpermute_b32 v3, v3, v2
	s_waitcnt lgkmcnt(0)
	v_add_f32_e32 v2, v2, v3
	;; [unrolled: 3-line block ×5, first 2 shown]
	s_and_saveexec_b32 s3, vcc_lo
	s_cbranch_execz .LBB114_27
; %bb.26:
	ds_store_b32 v6, v2 offset:240
.LBB114_27:
	s_or_b32 exec_lo, exec_lo, s3
	s_waitcnt lgkmcnt(0)
	s_barrier
	buffer_gl0_inv
	s_and_saveexec_b32 s3, s0
	s_cbranch_execz .LBB114_29
; %bb.28:
	ds_load_b32 v2, v64 offset:240
.LBB114_29:
	s_or_b32 exec_lo, exec_lo, s3
	s_waitcnt lgkmcnt(0)
	ds_bpermute_b32 v3, v10, v2
	s_waitcnt lgkmcnt(0)
	v_add_f32_e32 v2, v2, v3
	ds_bpermute_b32 v3, v9, v2
	s_waitcnt lgkmcnt(0)
	v_dual_add_f32 v2, v2, v3 :: v_dual_mov_b32 v3, 0
	ds_bpermute_b32 v2, v3, v2
	s_and_saveexec_b32 s0, s1
	s_cbranch_execz .LBB114_32
; %bb.30:
	s_waitcnt lgkmcnt(0)
	v_add_f32_e32 v3, 0x358637bd, v2
	s_mov_b32 s1, 0
	s_delay_alu instid0(VALU_DEP_1) | instskip(SKIP_1) | instid1(VALU_DEP_2)
	v_div_scale_f32 v5, null, v3, v3, 1.0
	v_div_scale_f32 v8, vcc_lo, 1.0, v3, 1.0
	v_rcp_f32_e32 v6, v5
	s_waitcnt_depctr 0xfff
	v_fma_f32 v7, -v5, v6, 1.0
	s_delay_alu instid0(VALU_DEP_1) | instskip(NEXT) | instid1(VALU_DEP_1)
	v_fmac_f32_e32 v6, v7, v6
	v_mul_f32_e32 v7, v8, v6
	s_delay_alu instid0(VALU_DEP_1) | instskip(NEXT) | instid1(VALU_DEP_1)
	v_fma_f32 v11, -v5, v7, v8
	v_fmac_f32_e32 v7, v11, v6
	s_delay_alu instid0(VALU_DEP_1) | instskip(NEXT) | instid1(VALU_DEP_1)
	v_fma_f32 v5, -v5, v7, v8
	v_div_fmas_f32 v5, v5, v6, v7
	s_delay_alu instid0(VALU_DEP_1)
	v_div_fixup_f32 v3, v5, v3, 1.0
	v_mov_b32_e32 v5, v0
.LBB114_31:                             ; =>This Inner Loop Header: Depth=1
	ds_load_b32 v6, v4
	s_waitcnt lgkmcnt(0)
	v_dual_mul_f32 v6, v3, v6 :: v_dual_add_nc_u32 v5, 0x80, v5
	s_delay_alu instid0(VALU_DEP_1) | instskip(SKIP_3) | instid1(SALU_CYCLE_1)
	v_cmp_le_i32_e32 vcc_lo, s7, v5
	ds_store_b32 v4, v6
	v_add_nc_u32_e32 v4, 0x200, v4
	s_or_b32 s1, vcc_lo, s1
	s_and_not1_b32 exec_lo, exec_lo, s1
	s_cbranch_execnz .LBB114_31
.LBB114_32:
	s_or_b32 exec_lo, exec_lo, s0
	s_mul_i32 s0, s4, s14
	s_waitcnt lgkmcnt(0)
	s_mul_i32 s14, s0, s13
	s_mov_b32 s0, exec_lo
	s_barrier
	buffer_gl0_inv
	v_cmpx_eq_u32_e32 0, v0
	s_cbranch_execz .LBB114_34
; %bb.33:
	s_ashr_i32 s15, s14, 31
	s_mul_i32 s40, s4, s24
	s_lshl_b64 s[38:39], s[14:15], 2
	v_mov_b32_e32 v3, 0
	s_add_u32 s1, s18, s38
	s_addc_u32 s3, s19, s39
	s_ashr_i32 s41, s40, 31
	s_delay_alu instid0(SALU_CYCLE_1) | instskip(NEXT) | instid1(SALU_CYCLE_1)
	s_lshl_b64 s[18:19], s[40:41], 2
	s_add_u32 s1, s1, s18
	s_addc_u32 s3, s3, s19
	s_ashr_i32 s13, s12, 31
	s_delay_alu instid0(SALU_CYCLE_1) | instskip(NEXT) | instid1(SALU_CYCLE_1)
	s_lshl_b64 s[40:41], s[12:13], 2
	s_add_u32 s42, s1, s40
	s_addc_u32 s43, s3, s41
	s_add_u32 s1, s16, s38
	s_addc_u32 s3, s17, s39
	;; [unrolled: 2-line block ×4, first 2 shown]
	s_clause 0x1
	global_store_b32 v3, v1, s[42:43]
	global_store_b32 v3, v2, s[16:17]
.LBB114_34:
	s_or_b32 exec_lo, exec_lo, s0
	v_dual_mov_b32 v24, 0 :: v_dual_and_b32 v11, 3, v0
	v_dual_mov_b32 v25, 0 :: v_dual_mov_b32 v22, 0
	v_dual_mov_b32 v23, 0 :: v_dual_mov_b32 v20, 0
	;; [unrolled: 1-line block ×6, first 2 shown]
	v_mov_b32_e32 v13, 0
	s_mov_b32 s3, 0
	s_and_saveexec_b32 s1, s2
	s_cbranch_execz .LBB114_68
; %bb.35:
	s_ashr_i32 s7, s6, 31
	s_sub_i32 s2, s36, s9
	s_lshl_b64 s[6:7], s[6:7], 1
	v_dual_mov_b32 v12, 0 :: v_dual_lshlrev_b32 v3, 3, v0
	s_add_u32 s6, s30, s6
	s_addc_u32 s7, s31, s7
	s_abs_i32 s9, s10
	s_delay_alu instid0(VALU_DEP_1)
	v_dual_mov_b32 v13, 0 :: v_dual_and_b32 v26, 24, v3
	v_cvt_f32_u32_e32 v1, s9
	v_and_b32_e32 v3, 0xf8, v3
	s_sub_i32 s0, 0, s9
	s_lshl_b64 s[18:19], s[28:29], 2
	s_add_i32 s35, s35, -1
	v_rcp_iflag_f32_e32 v4, v1
	v_lshlrev_b32_e32 v5, 5, v11
	v_or_b32_e32 v14, 0xa00, v3
	v_lshlrev_b64 v[1:2], 2, v[57:58]
	s_add_u32 s17, s26, s18
	s_addc_u32 s18, s27, s19
	s_delay_alu instid0(VALU_DEP_2) | instskip(SKIP_2) | instid1(TRANS32_DEP_1)
	v_dual_mov_b32 v18, 0 :: v_dual_lshlrev_b32 v31, 1, v14
	v_mov_b32_e32 v20, 0
	v_mov_b32_e32 v14, 0
	v_mul_f32_e32 v4, 0x4f7ffffe, v4
	v_or_b32_e32 v7, 0x800, v3
	v_or_b32_e32 v8, 0x900, v3
	;; [unrolled: 1-line block ×4, first 2 shown]
	v_cvt_u32_f32_e32 v4, v4
	v_or_b32_e32 v17, 0xd00, v3
	v_lshlrev_b32_e32 v28, 1, v3
	v_lshl_or_b32 v5, v61, 7, v5
	v_lshlrev_b32_e32 v29, 1, v7
	v_mul_lo_u32 v6, s0, v4
	v_lshlrev_b32_e32 v30, 1, v8
	v_dual_mov_b32 v19, 0 :: v_dual_lshlrev_b32 v32, 1, v15
	v_add_nc_u32_e32 v27, 0x100, v5
	v_add_co_u32 v5, vcc_lo, s17, v1
	v_dual_mov_b32 v22, 0 :: v_dual_lshlrev_b32 v33, 1, v16
	v_mul_hi_u32 v3, v4, v6
	v_add_co_ci_u32_e32 v6, vcc_lo, s18, v2, vcc_lo
	v_dual_mov_b32 v21, 0 :: v_dual_lshlrev_b32 v34, 1, v17
	v_dual_mov_b32 v15, 0 :: v_dual_mov_b32 v16, 0
	v_mov_b32_e32 v17, 0
	v_dual_mov_b32 v24, 0 :: v_dual_add_nc_u32 v35, v4, v3
	v_mov_b32_e32 v23, 0
	v_mov_b32_e32 v25, 0
	s_mov_b32 s10, s33
	s_mov_b32 s13, s33
	;; [unrolled: 1-line block ×7, first 2 shown]
	s_branch .LBB114_38
.LBB114_36:                             ;   in Loop: Header=BB114_38 Depth=1
	s_or_b32 exec_lo, exec_lo, s0
	v_dual_add_f32 v37, v74, v75 :: v_dual_add_f32 v38, v72, v73
	v_add_f32_e32 v36, v50, v51
	v_add_f32_e32 v39, v70, v71
	s_waitcnt vmcnt(0)
	;;#ASMSTART
	v_pk_mul_f16 v1, v47, v1;

	;;#ASMEND
	v_add_f32_e32 v7, v7, v8
	v_add_f32_e32 v15, v15, v38
	v_dual_add_f32 v13, v13, v36 :: v_dual_add_f32 v14, v14, v37
	v_add_f32_e32 v36, v68, v69
	v_add_f32_e32 v16, v16, v39
	;; [unrolled: 1-line block ×3, first 2 shown]
	v_dual_add_f32 v8, v66, v67 :: v_dual_add_f32 v37, v64, v65
	;;#ASMSTART
	v_pk_mul_f16 v2, v45, v2;

	;;#ASMEND
	;;#ASMSTART
	v_pk_mul_f16 v3, v44, v3;

	;;#ASMEND
	;; [unrolled: 4-line block ×3, first 2 shown]
	;;#ASMSTART
	v_pk_add_f16 v1, v1, v2;

	;;#ASMEND
	;;#ASMSTART
	v_pk_add_f16 v1, v1, v3;

	;;#ASMEND
	;; [unrolled: 4-line block ×3, first 2 shown]
	v_dual_add_f32 v17, v17, v36 :: v_dual_add_f32 v18, v18, v7
	v_add_f32_e32 v7, v56, v58
	v_dual_add_f32 v21, v21, v38 :: v_dual_and_b32 v2, 0xffff, v1
	v_lshrrev_b32_e32 v1, 16, v1
	;;#ASMSTART
	v_cvt_f32_f16 v2, v2;
	;;#ASMEND
	;;#ASMSTART
	v_cvt_f32_f16 v1, v1;
	;;#ASMEND
	v_dual_add_f32 v19, v19, v8 :: v_dual_add_f32 v20, v20, v37
	v_dual_add_f32 v3, v54, v55 :: v_dual_add_f32 v4, v52, v53
	;; [unrolled: 1-line block ×3, first 2 shown]
	v_add_f32_e32 v22, v22, v7
	s_delay_alu instid0(VALU_DEP_3) | instskip(NEXT) | instid1(VALU_DEP_4)
	v_add_f32_e32 v23, v23, v3
	v_add_f32_e32 v25, v25, v4
	s_delay_alu instid0(VALU_DEP_4)
	v_add_f32_e32 v24, v24, v8
	v_add_f32_e32 v12, v12, v1
.LBB114_37:                             ;   in Loop: Header=BB114_38 Depth=1
	s_or_b32 exec_lo, exec_lo, s24
	v_add_nc_u32_e32 v57, 4, v57
	v_add_co_u32 v5, s0, v5, 16
	s_delay_alu instid0(VALU_DEP_1) | instskip(NEXT) | instid1(VALU_DEP_3)
	v_add_co_ci_u32_e64 v6, s0, 0, v6, s0
	v_cmp_le_i32_e32 vcc_lo, s8, v57
	v_add_nc_u32_e32 v63, 0x80, v63
	v_add_nc_u32_e32 v27, 0x200, v27
	s_or_b32 s3, vcc_lo, s3
	s_delay_alu instid0(SALU_CYCLE_1)
	s_and_not1_b32 exec_lo, exec_lo, s3
	s_cbranch_execz .LBB114_67
.LBB114_38:                             ; =>This Inner Loop Header: Depth=1
	v_sub_nc_u32_e32 v1, 0, v63
	s_delay_alu instid0(VALU_DEP_1) | instskip(NEXT) | instid1(VALU_DEP_1)
	v_max_i32_e32 v1, v63, v1
	v_mul_hi_u32 v2, v1, s25
	s_delay_alu instid0(VALU_DEP_1) | instskip(NEXT) | instid1(VALU_DEP_1)
	v_mul_lo_u32 v3, v2, s21
	v_sub_nc_u32_e32 v1, v1, v3
	v_add_nc_u32_e32 v3, 1, v2
	s_delay_alu instid0(VALU_DEP_2) | instskip(SKIP_1) | instid1(VALU_DEP_2)
	v_subrev_nc_u32_e32 v4, s21, v1
	v_cmp_le_u32_e32 vcc_lo, s21, v1
	v_dual_cndmask_b32 v2, v2, v3 :: v_dual_cndmask_b32 v1, v1, v4
	v_ashrrev_i32_e32 v3, 31, v63
	s_delay_alu instid0(VALU_DEP_2) | instskip(NEXT) | instid1(VALU_DEP_3)
	v_add_nc_u32_e32 v4, 1, v2
	v_cmp_le_u32_e32 vcc_lo, s21, v1
	s_delay_alu instid0(VALU_DEP_3) | instskip(NEXT) | instid1(VALU_DEP_3)
	v_xor_b32_e32 v3, s11, v3
	v_cndmask_b32_e32 v1, v2, v4, vcc_lo
	s_delay_alu instid0(VALU_DEP_1) | instskip(NEXT) | instid1(VALU_DEP_1)
	v_xor_b32_e32 v1, v1, v3
	v_sub_nc_u32_e32 v1, v1, v3
	s_delay_alu instid0(VALU_DEP_1) | instskip(SKIP_1) | instid1(VALU_DEP_2)
	v_add_nc_u32_e32 v2, s34, v1
	v_cmp_lt_i32_e64 s0, s2, v1
	v_sub_nc_u32_e32 v3, 0, v2
	s_delay_alu instid0(VALU_DEP_1) | instskip(NEXT) | instid1(VALU_DEP_1)
	v_max_i32_e32 v3, v2, v3
	v_mul_hi_u32 v4, v3, v35
	s_delay_alu instid0(VALU_DEP_1) | instskip(NEXT) | instid1(VALU_DEP_1)
	v_mul_lo_u32 v4, v4, s9
	v_sub_nc_u32_e32 v3, v3, v4
	s_delay_alu instid0(VALU_DEP_1) | instskip(SKIP_1) | instid1(VALU_DEP_2)
	v_subrev_nc_u32_e32 v4, s9, v3
	v_cmp_le_u32_e32 vcc_lo, s9, v3
	v_cndmask_b32_e32 v3, v3, v4, vcc_lo
	v_ashrrev_i32_e32 v2, 31, v2
	s_delay_alu instid0(VALU_DEP_2) | instskip(SKIP_1) | instid1(VALU_DEP_2)
	v_subrev_nc_u32_e32 v4, s9, v3
	v_cmp_le_u32_e32 vcc_lo, s9, v3
	v_cndmask_b32_e32 v3, v3, v4, vcc_lo
	s_delay_alu instid0(VALU_DEP_1) | instskip(NEXT) | instid1(VALU_DEP_1)
	v_xor_b32_e32 v3, v3, v2
	v_sub_nc_u32_e32 v2, v3, v2
	s_delay_alu instid0(VALU_DEP_1) | instskip(SKIP_1) | instid1(SALU_CYCLE_1)
	v_cmp_eq_u32_e32 vcc_lo, 0, v2
	s_or_b32 s0, vcc_lo, s0
	s_and_saveexec_b32 s24, s0
	s_cbranch_execz .LBB114_37
; %bb.39:                               ;   in Loop: Header=BB114_38 Depth=1
	global_load_b32 v36, v[5:6], off
	ds_load_2addr_b64 v[1:4], v27 offset1:1
	s_waitcnt vmcnt(0)
	v_mad_i64_i32 v[7:8], null, v36, s5, 0
	ds_load_2addr_b64 v[36:39], v27 offset0:2 offset1:3
	s_waitcnt lgkmcnt(1)
	;;#ASMSTART
	v_cvt_f16_f32 v42, v1;

	;;#ASMEND
	;;#ASMSTART
	v_cvt_f16_f32 v40, v2;

	;;#ASMEND
	;; [unrolled: 4-line block ×4, first 2 shown]
	s_waitcnt lgkmcnt(0)
	;;#ASMSTART
	v_cvt_f16_f32 v45, v36;

	;;#ASMEND
	v_lshlrev_b64 v[7:8], 1, v[7:8]
	;;#ASMSTART
	v_cvt_f16_f32 v52, v37;

	;;#ASMEND
	;;#ASMSTART
	v_cvt_f16_f32 v47, v38;

	;;#ASMEND
	;;#ASMSTART
	v_cvt_f16_f32 v53, v39;

	;;#ASMEND
	v_add_nc_u32_e32 v36, v26, v63
	s_delay_alu instid0(VALU_DEP_2) | instskip(SKIP_1) | instid1(VALU_DEP_3)
	v_add_co_u32 v50, vcc_lo, s6, v7
	v_add_co_ci_u32_e32 v51, vcc_lo, s7, v8, vcc_lo
	v_add_nc_u32_e32 v37, 1, v36
	s_delay_alu instid0(VALU_DEP_3) | instskip(NEXT) | instid1(VALU_DEP_3)
	v_add_co_u32 v7, vcc_lo, v50, v28
	v_add_co_ci_u32_e32 v8, vcc_lo, 0, v51, vcc_lo
	v_cmp_eq_u32_e32 vcc_lo, s35, v57
	v_or_b32_e32 v39, 3, v36
	v_or_b32_e32 v38, 2, v36
	global_load_b128 v[1:4], v[7:8], off
	v_or_b32_e32 v46, 5, v36
	v_or_b32_e32 v43, 4, v36
	v_or_b32_e32 v48, 7, v36
	v_or_b32_e32 v49, 6, v36
	s_and_saveexec_b32 s26, vcc_lo
	s_cbranch_execz .LBB114_41
; %bb.40:                               ;   in Loop: Header=BB114_38 Depth=1
	s_delay_alu instid0(VALU_DEP_1)
	v_cmp_gt_i32_e64 s0, s18, v49
	s_waitcnt vmcnt(0)
	v_lshrrev_b32_e32 v54, 16, v4
	v_lshrrev_b32_e32 v55, 16, v3
	;; [unrolled: 1-line block ×4, first 2 shown]
	v_cndmask_b32_e64 v4, 0, v4, s0
	v_cmp_gt_i32_e64 s0, s19, v48
	s_delay_alu instid0(VALU_DEP_1) | instskip(SKIP_1) | instid1(VALU_DEP_2)
	v_cndmask_b32_e64 v54, 0, v54, s0
	v_cmp_gt_i32_e64 s0, s17, v46
	v_perm_b32 v4, v54, v4, 0x5040100
	s_delay_alu instid0(VALU_DEP_2) | instskip(SKIP_1) | instid1(VALU_DEP_1)
	v_cndmask_b32_e64 v55, 0, v55, s0
	v_cmp_gt_i32_e64 s0, s16, v43
	v_cndmask_b32_e64 v3, 0, v3, s0
	v_cmp_gt_i32_e64 s0, s15, v39
	s_delay_alu instid0(VALU_DEP_2) | instskip(NEXT) | instid1(VALU_DEP_2)
	v_perm_b32 v3, v55, v3, 0x5040100
	v_cndmask_b32_e64 v56, 0, v56, s0
	v_cmp_gt_i32_e64 s0, s13, v38
	s_delay_alu instid0(VALU_DEP_1) | instskip(SKIP_1) | instid1(VALU_DEP_2)
	v_cndmask_b32_e64 v2, 0, v2, s0
	v_cmp_gt_i32_e64 s0, s10, v37
	v_perm_b32 v2, v56, v2, 0x5040100
	s_delay_alu instid0(VALU_DEP_2) | instskip(SKIP_1) | instid1(VALU_DEP_1)
	v_cndmask_b32_e64 v58, 0, v58, s0
	v_cmp_gt_i32_e64 s0, s33, v36
	v_cndmask_b32_e64 v1, 0, v1, s0
	s_delay_alu instid0(VALU_DEP_1)
	v_perm_b32 v1, v58, v1, 0x5040100
.LBB114_41:                             ;   in Loop: Header=BB114_38 Depth=1
	s_or_b32 exec_lo, exec_lo, s26
	v_and_b32_e32 v42, 0xffff, v42
	v_and_b32_e32 v44, 0xffff, v44
	v_and_b32_e32 v54, 0xffff, v45
	v_and_b32_e32 v55, 0xffff, v47
	s_delay_alu instid0(VALU_DEP_4)
	v_lshl_or_b32 v47, v40, 16, v42
	s_waitcnt vmcnt(0)
	;;#ASMSTART
	v_pk_mul_f16 v1, v47, v1;

	;;#ASMEND
	v_lshl_or_b32 v45, v41, 16, v44
	v_lshl_or_b32 v44, v52, 16, v54
	;; [unrolled: 1-line block ×3, first 2 shown]
	;;#ASMSTART
	v_pk_mul_f16 v2, v45, v2;

	;;#ASMEND
	;;#ASMSTART
	v_pk_mul_f16 v3, v44, v3;

	;;#ASMEND
	;; [unrolled: 4-line block ×3, first 2 shown]
	;;#ASMSTART
	v_pk_add_f16 v1, v1, v2;

	;;#ASMEND
	;;#ASMSTART
	v_pk_add_f16 v1, v1, v3;

	;;#ASMEND
	;; [unrolled: 4-line block ×3, first 2 shown]
	v_and_b32_e32 v2, 0xffff, v1
	v_lshrrev_b32_e32 v1, 16, v1
	;;#ASMSTART
	v_cvt_f32_f16 v40, v2;
	;;#ASMEND
	;;#ASMSTART
	v_cvt_f32_f16 v42, v1;
	;;#ASMEND
	global_load_b128 v[1:4], v[7:8], off offset:512
	s_and_saveexec_b32 s26, vcc_lo
	s_cbranch_execz .LBB114_43
; %bb.42:                               ;   in Loop: Header=BB114_38 Depth=1
	v_cmp_gt_i32_e64 s0, s18, v49
	s_waitcnt vmcnt(0)
	v_lshrrev_b32_e32 v52, 16, v4
	v_lshrrev_b32_e32 v53, 16, v3
	;; [unrolled: 1-line block ×4, first 2 shown]
	v_cndmask_b32_e64 v4, 0, v4, s0
	v_cmp_gt_i32_e64 s0, s19, v48
	s_delay_alu instid0(VALU_DEP_1) | instskip(SKIP_1) | instid1(VALU_DEP_2)
	v_cndmask_b32_e64 v52, 0, v52, s0
	v_cmp_gt_i32_e64 s0, s17, v46
	v_perm_b32 v4, v52, v4, 0x5040100
	s_delay_alu instid0(VALU_DEP_2) | instskip(SKIP_1) | instid1(VALU_DEP_1)
	v_cndmask_b32_e64 v53, 0, v53, s0
	v_cmp_gt_i32_e64 s0, s16, v43
	v_cndmask_b32_e64 v3, 0, v3, s0
	v_cmp_gt_i32_e64 s0, s15, v39
	s_delay_alu instid0(VALU_DEP_2) | instskip(NEXT) | instid1(VALU_DEP_2)
	v_perm_b32 v3, v53, v3, 0x5040100
	v_cndmask_b32_e64 v54, 0, v54, s0
	v_cmp_gt_i32_e64 s0, s13, v38
	s_delay_alu instid0(VALU_DEP_1) | instskip(SKIP_1) | instid1(VALU_DEP_2)
	v_cndmask_b32_e64 v2, 0, v2, s0
	v_cmp_gt_i32_e64 s0, s10, v37
	v_perm_b32 v2, v54, v2, 0x5040100
	s_delay_alu instid0(VALU_DEP_2) | instskip(SKIP_1) | instid1(VALU_DEP_1)
	v_cndmask_b32_e64 v55, 0, v55, s0
	v_cmp_gt_i32_e64 s0, s33, v36
	v_cndmask_b32_e64 v1, 0, v1, s0
	s_delay_alu instid0(VALU_DEP_1)
	v_perm_b32 v1, v55, v1, 0x5040100
.LBB114_43:                             ;   in Loop: Header=BB114_38 Depth=1
	s_or_b32 exec_lo, exec_lo, s26
	s_waitcnt vmcnt(0)
	;;#ASMSTART
	v_pk_mul_f16 v1, v47, v1;

	;;#ASMEND
	;;#ASMSTART
	v_pk_mul_f16 v2, v45, v2;

	;;#ASMEND
	;; [unrolled: 4-line block ×4, first 2 shown]
	;;#ASMSTART
	v_pk_add_f16 v1, v1, v2;

	;;#ASMEND
	;;#ASMSTART
	v_pk_add_f16 v1, v1, v3;

	;;#ASMEND
	;; [unrolled: 4-line block ×3, first 2 shown]
	v_and_b32_e32 v2, 0xffff, v1
	v_lshrrev_b32_e32 v1, 16, v1
	;;#ASMSTART
	v_cvt_f32_f16 v52, v2;
	;;#ASMEND
	;;#ASMSTART
	v_cvt_f32_f16 v53, v1;
	;;#ASMEND
	global_load_b128 v[1:4], v[7:8], off offset:1024
	s_and_saveexec_b32 s26, vcc_lo
	s_cbranch_execz .LBB114_45
; %bb.44:                               ;   in Loop: Header=BB114_38 Depth=1
	v_cmp_gt_i32_e64 s0, s18, v49
	s_waitcnt vmcnt(0)
	v_lshrrev_b32_e32 v54, 16, v4
	v_lshrrev_b32_e32 v55, 16, v3
	v_lshrrev_b32_e32 v56, 16, v2
	v_lshrrev_b32_e32 v58, 16, v1
	v_cndmask_b32_e64 v4, 0, v4, s0
	v_cmp_gt_i32_e64 s0, s19, v48
	s_delay_alu instid0(VALU_DEP_1) | instskip(SKIP_1) | instid1(VALU_DEP_2)
	v_cndmask_b32_e64 v54, 0, v54, s0
	v_cmp_gt_i32_e64 s0, s17, v46
	v_perm_b32 v4, v54, v4, 0x5040100
	s_delay_alu instid0(VALU_DEP_2) | instskip(SKIP_1) | instid1(VALU_DEP_1)
	v_cndmask_b32_e64 v55, 0, v55, s0
	v_cmp_gt_i32_e64 s0, s16, v43
	v_cndmask_b32_e64 v3, 0, v3, s0
	v_cmp_gt_i32_e64 s0, s15, v39
	s_delay_alu instid0(VALU_DEP_2) | instskip(NEXT) | instid1(VALU_DEP_2)
	v_perm_b32 v3, v55, v3, 0x5040100
	v_cndmask_b32_e64 v56, 0, v56, s0
	v_cmp_gt_i32_e64 s0, s13, v38
	s_delay_alu instid0(VALU_DEP_1) | instskip(SKIP_1) | instid1(VALU_DEP_2)
	v_cndmask_b32_e64 v2, 0, v2, s0
	v_cmp_gt_i32_e64 s0, s10, v37
	v_perm_b32 v2, v56, v2, 0x5040100
	s_delay_alu instid0(VALU_DEP_2) | instskip(SKIP_1) | instid1(VALU_DEP_1)
	v_cndmask_b32_e64 v58, 0, v58, s0
	v_cmp_gt_i32_e64 s0, s33, v36
	v_cndmask_b32_e64 v1, 0, v1, s0
	s_delay_alu instid0(VALU_DEP_1)
	v_perm_b32 v1, v58, v1, 0x5040100
.LBB114_45:                             ;   in Loop: Header=BB114_38 Depth=1
	s_or_b32 exec_lo, exec_lo, s26
	s_waitcnt vmcnt(0)
	;;#ASMSTART
	v_pk_mul_f16 v1, v47, v1;

	;;#ASMEND
	;;#ASMSTART
	v_pk_mul_f16 v2, v45, v2;

	;;#ASMEND
	;;#ASMSTART
	v_pk_mul_f16 v3, v44, v3;

	;;#ASMEND
	;;#ASMSTART
	v_pk_mul_f16 v4, v41, v4;

	;;#ASMEND
	;;#ASMSTART
	v_pk_add_f16 v1, v1, v2;

	;;#ASMEND
	;;#ASMSTART
	v_pk_add_f16 v1, v1, v3;

	;;#ASMEND
	;;#ASMSTART
	v_pk_add_f16 v1, v1, v4;

	;;#ASMEND
	v_and_b32_e32 v2, 0xffff, v1
	v_lshrrev_b32_e32 v1, 16, v1
	;;#ASMSTART
	v_cvt_f32_f16 v54, v2;
	;;#ASMEND
	;;#ASMSTART
	v_cvt_f32_f16 v55, v1;
	;;#ASMEND
	global_load_b128 v[1:4], v[7:8], off offset:1536
	s_and_saveexec_b32 s26, vcc_lo
	s_cbranch_execz .LBB114_47
; %bb.46:                               ;   in Loop: Header=BB114_38 Depth=1
	v_cmp_gt_i32_e64 s0, s18, v49
	s_waitcnt vmcnt(0)
	v_lshrrev_b32_e32 v56, 16, v4
	v_lshrrev_b32_e32 v58, 16, v3
	;; [unrolled: 1-line block ×4, first 2 shown]
	v_cndmask_b32_e64 v4, 0, v4, s0
	v_cmp_gt_i32_e64 s0, s19, v48
	s_delay_alu instid0(VALU_DEP_1) | instskip(SKIP_1) | instid1(VALU_DEP_2)
	v_cndmask_b32_e64 v56, 0, v56, s0
	v_cmp_gt_i32_e64 s0, s17, v46
	v_perm_b32 v4, v56, v4, 0x5040100
	s_delay_alu instid0(VALU_DEP_2) | instskip(SKIP_1) | instid1(VALU_DEP_1)
	v_cndmask_b32_e64 v58, 0, v58, s0
	v_cmp_gt_i32_e64 s0, s16, v43
	v_cndmask_b32_e64 v3, 0, v3, s0
	v_cmp_gt_i32_e64 s0, s15, v39
	s_delay_alu instid0(VALU_DEP_2) | instskip(NEXT) | instid1(VALU_DEP_2)
	v_perm_b32 v3, v58, v3, 0x5040100
	v_cndmask_b32_e64 v59, 0, v59, s0
	v_cmp_gt_i32_e64 s0, s13, v38
	s_delay_alu instid0(VALU_DEP_1) | instskip(SKIP_1) | instid1(VALU_DEP_2)
	v_cndmask_b32_e64 v2, 0, v2, s0
	v_cmp_gt_i32_e64 s0, s10, v37
	v_perm_b32 v2, v59, v2, 0x5040100
	s_delay_alu instid0(VALU_DEP_2) | instskip(SKIP_1) | instid1(VALU_DEP_1)
	v_cndmask_b32_e64 v60, 0, v60, s0
	v_cmp_gt_i32_e64 s0, s33, v36
	v_cndmask_b32_e64 v1, 0, v1, s0
	s_delay_alu instid0(VALU_DEP_1)
	v_perm_b32 v1, v60, v1, 0x5040100
.LBB114_47:                             ;   in Loop: Header=BB114_38 Depth=1
	s_or_b32 exec_lo, exec_lo, s26
	s_waitcnt vmcnt(0)
	;;#ASMSTART
	v_pk_mul_f16 v1, v47, v1;

	;;#ASMEND
	;;#ASMSTART
	v_pk_mul_f16 v2, v45, v2;

	;;#ASMEND
	;; [unrolled: 4-line block ×4, first 2 shown]
	;;#ASMSTART
	v_pk_add_f16 v1, v1, v2;

	;;#ASMEND
	;;#ASMSTART
	v_pk_add_f16 v1, v1, v3;

	;;#ASMEND
	;; [unrolled: 4-line block ×3, first 2 shown]
	v_and_b32_e32 v2, 0xffff, v1
	v_lshrrev_b32_e32 v1, 16, v1
	;;#ASMSTART
	v_cvt_f32_f16 v56, v2;
	;;#ASMEND
	;;#ASMSTART
	v_cvt_f32_f16 v58, v1;
	;;#ASMEND
	global_load_b128 v[1:4], v[7:8], off offset:2048
	s_and_saveexec_b32 s26, vcc_lo
	s_cbranch_execz .LBB114_49
; %bb.48:                               ;   in Loop: Header=BB114_38 Depth=1
	v_cmp_gt_i32_e64 s0, s18, v49
	s_waitcnt vmcnt(0)
	v_lshrrev_b32_e32 v59, 16, v4
	v_lshrrev_b32_e32 v60, 16, v3
	;; [unrolled: 1-line block ×4, first 2 shown]
	v_cndmask_b32_e64 v4, 0, v4, s0
	v_cmp_gt_i32_e64 s0, s19, v48
	s_delay_alu instid0(VALU_DEP_1) | instskip(SKIP_1) | instid1(VALU_DEP_2)
	v_cndmask_b32_e64 v59, 0, v59, s0
	v_cmp_gt_i32_e64 s0, s17, v46
	v_perm_b32 v4, v59, v4, 0x5040100
	s_delay_alu instid0(VALU_DEP_2) | instskip(SKIP_1) | instid1(VALU_DEP_1)
	v_cndmask_b32_e64 v60, 0, v60, s0
	v_cmp_gt_i32_e64 s0, s16, v43
	v_cndmask_b32_e64 v3, 0, v3, s0
	v_cmp_gt_i32_e64 s0, s15, v39
	s_delay_alu instid0(VALU_DEP_2) | instskip(NEXT) | instid1(VALU_DEP_2)
	v_perm_b32 v3, v60, v3, 0x5040100
	v_cndmask_b32_e64 v64, 0, v64, s0
	v_cmp_gt_i32_e64 s0, s13, v38
	s_delay_alu instid0(VALU_DEP_1) | instskip(SKIP_1) | instid1(VALU_DEP_2)
	v_cndmask_b32_e64 v2, 0, v2, s0
	v_cmp_gt_i32_e64 s0, s10, v37
	v_perm_b32 v2, v64, v2, 0x5040100
	s_delay_alu instid0(VALU_DEP_2) | instskip(SKIP_1) | instid1(VALU_DEP_1)
	v_cndmask_b32_e64 v65, 0, v65, s0
	v_cmp_gt_i32_e64 s0, s33, v36
	v_cndmask_b32_e64 v1, 0, v1, s0
	s_delay_alu instid0(VALU_DEP_1)
	v_perm_b32 v1, v65, v1, 0x5040100
.LBB114_49:                             ;   in Loop: Header=BB114_38 Depth=1
	s_or_b32 exec_lo, exec_lo, s26
	s_waitcnt vmcnt(0)
	;;#ASMSTART
	v_pk_mul_f16 v1, v47, v1;

	;;#ASMEND
	;;#ASMSTART
	v_pk_mul_f16 v2, v45, v2;

	;;#ASMEND
	;; [unrolled: 4-line block ×4, first 2 shown]
	;;#ASMSTART
	v_pk_add_f16 v1, v1, v2;

	;;#ASMEND
	;;#ASMSTART
	v_pk_add_f16 v1, v1, v3;

	;;#ASMEND
	;;#ASMSTART
	v_pk_add_f16 v1, v1, v4;

	;;#ASMEND
	v_and_b32_e32 v2, 0xffff, v1
	v_lshrrev_b32_e32 v1, 16, v1
	;;#ASMSTART
	v_cvt_f32_f16 v59, v2;
	;;#ASMEND
	;;#ASMSTART
	v_cvt_f32_f16 v60, v1;
	;;#ASMEND
	global_load_b128 v[1:4], v[7:8], off offset:2560
	s_and_saveexec_b32 s26, vcc_lo
	s_cbranch_execz .LBB114_51
; %bb.50:                               ;   in Loop: Header=BB114_38 Depth=1
	v_cmp_gt_i32_e64 s0, s18, v49
	s_waitcnt vmcnt(0)
	v_lshrrev_b32_e32 v64, 16, v4
	v_lshrrev_b32_e32 v65, 16, v3
	;; [unrolled: 1-line block ×4, first 2 shown]
	v_cndmask_b32_e64 v4, 0, v4, s0
	v_cmp_gt_i32_e64 s0, s19, v48
	s_delay_alu instid0(VALU_DEP_1) | instskip(SKIP_1) | instid1(VALU_DEP_2)
	v_cndmask_b32_e64 v64, 0, v64, s0
	v_cmp_gt_i32_e64 s0, s17, v46
	v_perm_b32 v4, v64, v4, 0x5040100
	s_delay_alu instid0(VALU_DEP_2) | instskip(SKIP_1) | instid1(VALU_DEP_1)
	v_cndmask_b32_e64 v65, 0, v65, s0
	v_cmp_gt_i32_e64 s0, s16, v43
	v_cndmask_b32_e64 v3, 0, v3, s0
	v_cmp_gt_i32_e64 s0, s15, v39
	s_delay_alu instid0(VALU_DEP_2) | instskip(NEXT) | instid1(VALU_DEP_2)
	v_perm_b32 v3, v65, v3, 0x5040100
	v_cndmask_b32_e64 v66, 0, v66, s0
	v_cmp_gt_i32_e64 s0, s13, v38
	s_delay_alu instid0(VALU_DEP_1) | instskip(SKIP_1) | instid1(VALU_DEP_2)
	v_cndmask_b32_e64 v2, 0, v2, s0
	v_cmp_gt_i32_e64 s0, s10, v37
	v_perm_b32 v2, v66, v2, 0x5040100
	s_delay_alu instid0(VALU_DEP_2) | instskip(SKIP_1) | instid1(VALU_DEP_1)
	v_cndmask_b32_e64 v67, 0, v67, s0
	v_cmp_gt_i32_e64 s0, s33, v36
	v_cndmask_b32_e64 v1, 0, v1, s0
	s_delay_alu instid0(VALU_DEP_1)
	v_perm_b32 v1, v67, v1, 0x5040100
.LBB114_51:                             ;   in Loop: Header=BB114_38 Depth=1
	s_or_b32 exec_lo, exec_lo, s26
	s_waitcnt vmcnt(0)
	;;#ASMSTART
	v_pk_mul_f16 v1, v47, v1;

	;;#ASMEND
	;;#ASMSTART
	v_pk_mul_f16 v2, v45, v2;

	;;#ASMEND
	;; [unrolled: 4-line block ×4, first 2 shown]
	;;#ASMSTART
	v_pk_add_f16 v1, v1, v2;

	;;#ASMEND
	;;#ASMSTART
	v_pk_add_f16 v1, v1, v3;

	;;#ASMEND
	;; [unrolled: 4-line block ×3, first 2 shown]
	v_and_b32_e32 v2, 0xffff, v1
	v_lshrrev_b32_e32 v1, 16, v1
	;;#ASMSTART
	v_cvt_f32_f16 v64, v2;
	;;#ASMEND
	;;#ASMSTART
	v_cvt_f32_f16 v65, v1;
	;;#ASMEND
	global_load_b128 v[1:4], v[7:8], off offset:3072
	s_and_saveexec_b32 s26, vcc_lo
	s_cbranch_execz .LBB114_53
; %bb.52:                               ;   in Loop: Header=BB114_38 Depth=1
	v_cmp_gt_i32_e64 s0, s18, v49
	s_waitcnt vmcnt(0)
	v_lshrrev_b32_e32 v66, 16, v4
	v_lshrrev_b32_e32 v67, 16, v3
	;; [unrolled: 1-line block ×4, first 2 shown]
	v_cndmask_b32_e64 v4, 0, v4, s0
	v_cmp_gt_i32_e64 s0, s19, v48
	s_delay_alu instid0(VALU_DEP_1) | instskip(SKIP_1) | instid1(VALU_DEP_2)
	v_cndmask_b32_e64 v66, 0, v66, s0
	v_cmp_gt_i32_e64 s0, s17, v46
	v_perm_b32 v4, v66, v4, 0x5040100
	s_delay_alu instid0(VALU_DEP_2) | instskip(SKIP_1) | instid1(VALU_DEP_1)
	v_cndmask_b32_e64 v67, 0, v67, s0
	v_cmp_gt_i32_e64 s0, s16, v43
	v_cndmask_b32_e64 v3, 0, v3, s0
	v_cmp_gt_i32_e64 s0, s15, v39
	s_delay_alu instid0(VALU_DEP_2) | instskip(NEXT) | instid1(VALU_DEP_2)
	v_perm_b32 v3, v67, v3, 0x5040100
	v_cndmask_b32_e64 v68, 0, v68, s0
	v_cmp_gt_i32_e64 s0, s13, v38
	s_delay_alu instid0(VALU_DEP_1) | instskip(SKIP_1) | instid1(VALU_DEP_2)
	v_cndmask_b32_e64 v2, 0, v2, s0
	v_cmp_gt_i32_e64 s0, s10, v37
	v_perm_b32 v2, v68, v2, 0x5040100
	s_delay_alu instid0(VALU_DEP_2) | instskip(SKIP_1) | instid1(VALU_DEP_1)
	v_cndmask_b32_e64 v69, 0, v69, s0
	v_cmp_gt_i32_e64 s0, s33, v36
	v_cndmask_b32_e64 v1, 0, v1, s0
	s_delay_alu instid0(VALU_DEP_1)
	v_perm_b32 v1, v69, v1, 0x5040100
.LBB114_53:                             ;   in Loop: Header=BB114_38 Depth=1
	s_or_b32 exec_lo, exec_lo, s26
	s_waitcnt vmcnt(0)
	;;#ASMSTART
	v_pk_mul_f16 v1, v47, v1;

	;;#ASMEND
	;;#ASMSTART
	v_pk_mul_f16 v2, v45, v2;

	;;#ASMEND
	;;#ASMSTART
	v_pk_mul_f16 v3, v44, v3;

	;;#ASMEND
	;;#ASMSTART
	v_pk_mul_f16 v4, v41, v4;

	;;#ASMEND
	;;#ASMSTART
	v_pk_add_f16 v1, v1, v2;

	;;#ASMEND
	;;#ASMSTART
	v_pk_add_f16 v1, v1, v3;

	;;#ASMEND
	;; [unrolled: 4-line block ×3, first 2 shown]
	v_and_b32_e32 v2, 0xffff, v1
	v_lshrrev_b32_e32 v1, 16, v1
	;;#ASMSTART
	v_cvt_f32_f16 v66, v2;
	;;#ASMEND
	;;#ASMSTART
	v_cvt_f32_f16 v67, v1;
	;;#ASMEND
	global_load_b128 v[1:4], v[7:8], off offset:3584
	s_and_saveexec_b32 s26, vcc_lo
	s_cbranch_execz .LBB114_55
; %bb.54:                               ;   in Loop: Header=BB114_38 Depth=1
	v_cmp_gt_i32_e64 s0, s18, v49
	s_waitcnt vmcnt(0)
	v_lshrrev_b32_e32 v7, 16, v4
	v_lshrrev_b32_e32 v8, 16, v3
	v_lshrrev_b32_e32 v68, 16, v2
	v_lshrrev_b32_e32 v69, 16, v1
	v_cndmask_b32_e64 v4, 0, v4, s0
	v_cmp_gt_i32_e64 s0, s19, v48
	s_delay_alu instid0(VALU_DEP_1) | instskip(SKIP_1) | instid1(VALU_DEP_2)
	v_cndmask_b32_e64 v7, 0, v7, s0
	v_cmp_gt_i32_e64 s0, s17, v46
	v_perm_b32 v4, v7, v4, 0x5040100
	s_delay_alu instid0(VALU_DEP_2) | instskip(SKIP_1) | instid1(VALU_DEP_1)
	v_cndmask_b32_e64 v8, 0, v8, s0
	v_cmp_gt_i32_e64 s0, s16, v43
	v_cndmask_b32_e64 v3, 0, v3, s0
	v_cmp_gt_i32_e64 s0, s15, v39
	s_delay_alu instid0(VALU_DEP_2) | instskip(NEXT) | instid1(VALU_DEP_2)
	v_perm_b32 v3, v8, v3, 0x5040100
	v_cndmask_b32_e64 v68, 0, v68, s0
	v_cmp_gt_i32_e64 s0, s13, v38
	s_delay_alu instid0(VALU_DEP_1) | instskip(SKIP_1) | instid1(VALU_DEP_2)
	v_cndmask_b32_e64 v2, 0, v2, s0
	v_cmp_gt_i32_e64 s0, s10, v37
	v_perm_b32 v2, v68, v2, 0x5040100
	s_delay_alu instid0(VALU_DEP_2) | instskip(SKIP_1) | instid1(VALU_DEP_1)
	v_cndmask_b32_e64 v69, 0, v69, s0
	v_cmp_gt_i32_e64 s0, s33, v36
	v_cndmask_b32_e64 v1, 0, v1, s0
	s_delay_alu instid0(VALU_DEP_1)
	v_perm_b32 v1, v69, v1, 0x5040100
.LBB114_55:                             ;   in Loop: Header=BB114_38 Depth=1
	s_or_b32 exec_lo, exec_lo, s26
	s_waitcnt vmcnt(0)
	;;#ASMSTART
	v_pk_mul_f16 v1, v47, v1;

	;;#ASMEND
	;;#ASMSTART
	v_pk_mul_f16 v2, v45, v2;

	;;#ASMEND
	;; [unrolled: 4-line block ×4, first 2 shown]
	;;#ASMSTART
	v_pk_add_f16 v1, v1, v2;

	;;#ASMEND
	;;#ASMSTART
	v_pk_add_f16 v1, v1, v3;

	;;#ASMEND
	;; [unrolled: 4-line block ×3, first 2 shown]
	v_lshrrev_b32_e32 v3, 16, v1
	v_and_b32_e32 v4, 0xffff, v1
	v_add_co_u32 v1, s0, v50, v29
	s_delay_alu instid0(VALU_DEP_1)
	v_add_co_ci_u32_e64 v2, s0, 0, v51, s0
	;;#ASMSTART
	v_cvt_f32_f16 v7, v4;
	;;#ASMEND
	;;#ASMSTART
	v_cvt_f32_f16 v8, v3;
	;;#ASMEND
	global_load_b128 v[1:4], v[1:2], off
	s_and_saveexec_b32 s26, vcc_lo
	s_cbranch_execz .LBB114_57
; %bb.56:                               ;   in Loop: Header=BB114_38 Depth=1
	v_cmp_gt_i32_e64 s0, s18, v49
	s_waitcnt vmcnt(0)
	v_lshrrev_b32_e32 v68, 16, v4
	v_lshrrev_b32_e32 v69, 16, v3
	;; [unrolled: 1-line block ×4, first 2 shown]
	v_cndmask_b32_e64 v4, 0, v4, s0
	v_cmp_gt_i32_e64 s0, s19, v48
	s_delay_alu instid0(VALU_DEP_1) | instskip(SKIP_1) | instid1(VALU_DEP_2)
	v_cndmask_b32_e64 v68, 0, v68, s0
	v_cmp_gt_i32_e64 s0, s17, v46
	v_perm_b32 v4, v68, v4, 0x5040100
	s_delay_alu instid0(VALU_DEP_2) | instskip(SKIP_1) | instid1(VALU_DEP_1)
	v_cndmask_b32_e64 v69, 0, v69, s0
	v_cmp_gt_i32_e64 s0, s16, v43
	v_cndmask_b32_e64 v3, 0, v3, s0
	v_cmp_gt_i32_e64 s0, s15, v39
	s_delay_alu instid0(VALU_DEP_2) | instskip(NEXT) | instid1(VALU_DEP_2)
	v_perm_b32 v3, v69, v3, 0x5040100
	v_cndmask_b32_e64 v70, 0, v70, s0
	v_cmp_gt_i32_e64 s0, s13, v38
	s_delay_alu instid0(VALU_DEP_1) | instskip(SKIP_1) | instid1(VALU_DEP_2)
	v_cndmask_b32_e64 v2, 0, v2, s0
	v_cmp_gt_i32_e64 s0, s10, v37
	v_perm_b32 v2, v70, v2, 0x5040100
	s_delay_alu instid0(VALU_DEP_2) | instskip(SKIP_1) | instid1(VALU_DEP_1)
	v_cndmask_b32_e64 v71, 0, v71, s0
	v_cmp_gt_i32_e64 s0, s33, v36
	v_cndmask_b32_e64 v1, 0, v1, s0
	s_delay_alu instid0(VALU_DEP_1)
	v_perm_b32 v1, v71, v1, 0x5040100
.LBB114_57:                             ;   in Loop: Header=BB114_38 Depth=1
	s_or_b32 exec_lo, exec_lo, s26
	s_waitcnt vmcnt(0)
	;;#ASMSTART
	v_pk_mul_f16 v1, v47, v1;

	;;#ASMEND
	;;#ASMSTART
	v_pk_mul_f16 v2, v45, v2;

	;;#ASMEND
	;; [unrolled: 4-line block ×4, first 2 shown]
	;;#ASMSTART
	v_pk_add_f16 v1, v1, v2;

	;;#ASMEND
	;;#ASMSTART
	v_pk_add_f16 v1, v1, v3;

	;;#ASMEND
	;; [unrolled: 4-line block ×3, first 2 shown]
	v_lshrrev_b32_e32 v3, 16, v1
	v_and_b32_e32 v4, 0xffff, v1
	v_add_co_u32 v1, s0, v50, v30
	s_delay_alu instid0(VALU_DEP_1)
	v_add_co_ci_u32_e64 v2, s0, 0, v51, s0
	;;#ASMSTART
	v_cvt_f32_f16 v68, v4;
	;;#ASMEND
	;;#ASMSTART
	v_cvt_f32_f16 v69, v3;
	;;#ASMEND
	global_load_b128 v[1:4], v[1:2], off
	s_and_saveexec_b32 s26, vcc_lo
	s_cbranch_execz .LBB114_59
; %bb.58:                               ;   in Loop: Header=BB114_38 Depth=1
	v_cmp_gt_i32_e64 s0, s18, v49
	s_waitcnt vmcnt(0)
	v_lshrrev_b32_e32 v70, 16, v4
	v_lshrrev_b32_e32 v71, 16, v3
	;; [unrolled: 1-line block ×4, first 2 shown]
	v_cndmask_b32_e64 v4, 0, v4, s0
	v_cmp_gt_i32_e64 s0, s19, v48
	s_delay_alu instid0(VALU_DEP_1) | instskip(SKIP_1) | instid1(VALU_DEP_2)
	v_cndmask_b32_e64 v70, 0, v70, s0
	v_cmp_gt_i32_e64 s0, s17, v46
	v_perm_b32 v4, v70, v4, 0x5040100
	s_delay_alu instid0(VALU_DEP_2) | instskip(SKIP_1) | instid1(VALU_DEP_1)
	v_cndmask_b32_e64 v71, 0, v71, s0
	v_cmp_gt_i32_e64 s0, s16, v43
	v_cndmask_b32_e64 v3, 0, v3, s0
	v_cmp_gt_i32_e64 s0, s15, v39
	s_delay_alu instid0(VALU_DEP_2) | instskip(NEXT) | instid1(VALU_DEP_2)
	v_perm_b32 v3, v71, v3, 0x5040100
	v_cndmask_b32_e64 v72, 0, v72, s0
	v_cmp_gt_i32_e64 s0, s13, v38
	s_delay_alu instid0(VALU_DEP_1) | instskip(SKIP_1) | instid1(VALU_DEP_2)
	v_cndmask_b32_e64 v2, 0, v2, s0
	v_cmp_gt_i32_e64 s0, s10, v37
	v_perm_b32 v2, v72, v2, 0x5040100
	s_delay_alu instid0(VALU_DEP_2) | instskip(SKIP_1) | instid1(VALU_DEP_1)
	v_cndmask_b32_e64 v73, 0, v73, s0
	v_cmp_gt_i32_e64 s0, s33, v36
	v_cndmask_b32_e64 v1, 0, v1, s0
	s_delay_alu instid0(VALU_DEP_1)
	v_perm_b32 v1, v73, v1, 0x5040100
.LBB114_59:                             ;   in Loop: Header=BB114_38 Depth=1
	s_or_b32 exec_lo, exec_lo, s26
	s_waitcnt vmcnt(0)
	;;#ASMSTART
	v_pk_mul_f16 v1, v47, v1;

	;;#ASMEND
	;;#ASMSTART
	v_pk_mul_f16 v2, v45, v2;

	;;#ASMEND
	;;#ASMSTART
	v_pk_mul_f16 v3, v44, v3;

	;;#ASMEND
	;;#ASMSTART
	v_pk_mul_f16 v4, v41, v4;

	;;#ASMEND
	;;#ASMSTART
	v_pk_add_f16 v1, v1, v2;

	;;#ASMEND
	;;#ASMSTART
	v_pk_add_f16 v1, v1, v3;

	;;#ASMEND
	;; [unrolled: 4-line block ×3, first 2 shown]
	v_lshrrev_b32_e32 v3, 16, v1
	v_and_b32_e32 v4, 0xffff, v1
	v_add_co_u32 v1, s0, v50, v31
	s_delay_alu instid0(VALU_DEP_1)
	v_add_co_ci_u32_e64 v2, s0, 0, v51, s0
	;;#ASMSTART
	v_cvt_f32_f16 v70, v4;
	;;#ASMEND
	;;#ASMSTART
	v_cvt_f32_f16 v71, v3;
	;;#ASMEND
	global_load_b128 v[1:4], v[1:2], off
	s_and_saveexec_b32 s26, vcc_lo
	s_cbranch_execz .LBB114_61
; %bb.60:                               ;   in Loop: Header=BB114_38 Depth=1
	v_cmp_gt_i32_e64 s0, s18, v49
	s_waitcnt vmcnt(0)
	v_lshrrev_b32_e32 v72, 16, v4
	v_lshrrev_b32_e32 v73, 16, v3
	;; [unrolled: 1-line block ×4, first 2 shown]
	v_cndmask_b32_e64 v4, 0, v4, s0
	v_cmp_gt_i32_e64 s0, s19, v48
	s_delay_alu instid0(VALU_DEP_1) | instskip(SKIP_1) | instid1(VALU_DEP_2)
	v_cndmask_b32_e64 v72, 0, v72, s0
	v_cmp_gt_i32_e64 s0, s17, v46
	v_perm_b32 v4, v72, v4, 0x5040100
	s_delay_alu instid0(VALU_DEP_2) | instskip(SKIP_1) | instid1(VALU_DEP_1)
	v_cndmask_b32_e64 v73, 0, v73, s0
	v_cmp_gt_i32_e64 s0, s16, v43
	v_cndmask_b32_e64 v3, 0, v3, s0
	v_cmp_gt_i32_e64 s0, s15, v39
	s_delay_alu instid0(VALU_DEP_2) | instskip(NEXT) | instid1(VALU_DEP_2)
	v_perm_b32 v3, v73, v3, 0x5040100
	v_cndmask_b32_e64 v74, 0, v74, s0
	v_cmp_gt_i32_e64 s0, s13, v38
	s_delay_alu instid0(VALU_DEP_1) | instskip(SKIP_1) | instid1(VALU_DEP_2)
	v_cndmask_b32_e64 v2, 0, v2, s0
	v_cmp_gt_i32_e64 s0, s10, v37
	v_perm_b32 v2, v74, v2, 0x5040100
	s_delay_alu instid0(VALU_DEP_2) | instskip(SKIP_1) | instid1(VALU_DEP_1)
	v_cndmask_b32_e64 v75, 0, v75, s0
	v_cmp_gt_i32_e64 s0, s33, v36
	v_cndmask_b32_e64 v1, 0, v1, s0
	s_delay_alu instid0(VALU_DEP_1)
	v_perm_b32 v1, v75, v1, 0x5040100
.LBB114_61:                             ;   in Loop: Header=BB114_38 Depth=1
	s_or_b32 exec_lo, exec_lo, s26
	s_waitcnt vmcnt(0)
	;;#ASMSTART
	v_pk_mul_f16 v1, v47, v1;

	;;#ASMEND
	;;#ASMSTART
	v_pk_mul_f16 v2, v45, v2;

	;;#ASMEND
	;;#ASMSTART
	v_pk_mul_f16 v3, v44, v3;

	;;#ASMEND
	;;#ASMSTART
	v_pk_mul_f16 v4, v41, v4;

	;;#ASMEND
	;;#ASMSTART
	v_pk_add_f16 v1, v1, v2;

	;;#ASMEND
	;;#ASMSTART
	v_pk_add_f16 v1, v1, v3;

	;;#ASMEND
	;; [unrolled: 4-line block ×3, first 2 shown]
	v_lshrrev_b32_e32 v3, 16, v1
	v_and_b32_e32 v4, 0xffff, v1
	v_add_co_u32 v1, s0, v50, v32
	s_delay_alu instid0(VALU_DEP_1)
	v_add_co_ci_u32_e64 v2, s0, 0, v51, s0
	;;#ASMSTART
	v_cvt_f32_f16 v72, v4;
	;;#ASMEND
	;;#ASMSTART
	v_cvt_f32_f16 v73, v3;
	;;#ASMEND
	global_load_b128 v[1:4], v[1:2], off
	s_and_saveexec_b32 s26, vcc_lo
	s_cbranch_execz .LBB114_63
; %bb.62:                               ;   in Loop: Header=BB114_38 Depth=1
	v_cmp_gt_i32_e64 s0, s18, v49
	s_waitcnt vmcnt(0)
	v_lshrrev_b32_e32 v74, 16, v4
	v_lshrrev_b32_e32 v75, 16, v3
	;; [unrolled: 1-line block ×4, first 2 shown]
	v_cndmask_b32_e64 v4, 0, v4, s0
	v_cmp_gt_i32_e64 s0, s19, v48
	s_delay_alu instid0(VALU_DEP_1) | instskip(SKIP_1) | instid1(VALU_DEP_2)
	v_cndmask_b32_e64 v74, 0, v74, s0
	v_cmp_gt_i32_e64 s0, s17, v46
	v_perm_b32 v4, v74, v4, 0x5040100
	s_delay_alu instid0(VALU_DEP_2) | instskip(SKIP_1) | instid1(VALU_DEP_1)
	v_cndmask_b32_e64 v75, 0, v75, s0
	v_cmp_gt_i32_e64 s0, s16, v43
	v_cndmask_b32_e64 v3, 0, v3, s0
	v_cmp_gt_i32_e64 s0, s15, v39
	s_delay_alu instid0(VALU_DEP_2) | instskip(NEXT) | instid1(VALU_DEP_2)
	v_perm_b32 v3, v75, v3, 0x5040100
	v_cndmask_b32_e64 v76, 0, v76, s0
	v_cmp_gt_i32_e64 s0, s13, v38
	s_delay_alu instid0(VALU_DEP_1) | instskip(SKIP_1) | instid1(VALU_DEP_2)
	v_cndmask_b32_e64 v2, 0, v2, s0
	v_cmp_gt_i32_e64 s0, s10, v37
	v_perm_b32 v2, v76, v2, 0x5040100
	s_delay_alu instid0(VALU_DEP_2) | instskip(SKIP_1) | instid1(VALU_DEP_1)
	v_cndmask_b32_e64 v77, 0, v77, s0
	v_cmp_gt_i32_e64 s0, s33, v36
	v_cndmask_b32_e64 v1, 0, v1, s0
	s_delay_alu instid0(VALU_DEP_1)
	v_perm_b32 v1, v77, v1, 0x5040100
.LBB114_63:                             ;   in Loop: Header=BB114_38 Depth=1
	s_or_b32 exec_lo, exec_lo, s26
	s_waitcnt vmcnt(0)
	;;#ASMSTART
	v_pk_mul_f16 v1, v47, v1;

	;;#ASMEND
	;;#ASMSTART
	v_pk_mul_f16 v2, v45, v2;

	;;#ASMEND
	;; [unrolled: 4-line block ×4, first 2 shown]
	;;#ASMSTART
	v_pk_add_f16 v1, v1, v2;

	;;#ASMEND
	;;#ASMSTART
	v_pk_add_f16 v1, v1, v3;

	;;#ASMEND
	;; [unrolled: 4-line block ×3, first 2 shown]
	v_lshrrev_b32_e32 v3, 16, v1
	v_and_b32_e32 v4, 0xffff, v1
	v_add_co_u32 v1, s0, v50, v33
	s_delay_alu instid0(VALU_DEP_1)
	v_add_co_ci_u32_e64 v2, s0, 0, v51, s0
	;;#ASMSTART
	v_cvt_f32_f16 v74, v4;
	;;#ASMEND
	;;#ASMSTART
	v_cvt_f32_f16 v75, v3;
	;;#ASMEND
	global_load_b128 v[1:4], v[1:2], off
	s_and_saveexec_b32 s26, vcc_lo
	s_cbranch_execz .LBB114_65
; %bb.64:                               ;   in Loop: Header=BB114_38 Depth=1
	v_cmp_gt_i32_e64 s0, s18, v49
	s_waitcnt vmcnt(0)
	v_lshrrev_b32_e32 v76, 16, v4
	v_lshrrev_b32_e32 v77, 16, v3
	;; [unrolled: 1-line block ×4, first 2 shown]
	v_cndmask_b32_e64 v4, 0, v4, s0
	v_cmp_gt_i32_e64 s0, s19, v48
	s_delay_alu instid0(VALU_DEP_1) | instskip(SKIP_1) | instid1(VALU_DEP_2)
	v_cndmask_b32_e64 v76, 0, v76, s0
	v_cmp_gt_i32_e64 s0, s17, v46
	v_perm_b32 v4, v76, v4, 0x5040100
	s_delay_alu instid0(VALU_DEP_2) | instskip(SKIP_1) | instid1(VALU_DEP_1)
	v_cndmask_b32_e64 v77, 0, v77, s0
	v_cmp_gt_i32_e64 s0, s16, v43
	v_cndmask_b32_e64 v3, 0, v3, s0
	v_cmp_gt_i32_e64 s0, s15, v39
	s_delay_alu instid0(VALU_DEP_2) | instskip(NEXT) | instid1(VALU_DEP_2)
	v_perm_b32 v3, v77, v3, 0x5040100
	v_cndmask_b32_e64 v78, 0, v78, s0
	v_cmp_gt_i32_e64 s0, s13, v38
	s_delay_alu instid0(VALU_DEP_1) | instskip(SKIP_1) | instid1(VALU_DEP_2)
	v_cndmask_b32_e64 v2, 0, v2, s0
	v_cmp_gt_i32_e64 s0, s10, v37
	v_perm_b32 v2, v78, v2, 0x5040100
	s_delay_alu instid0(VALU_DEP_2) | instskip(SKIP_1) | instid1(VALU_DEP_1)
	v_cndmask_b32_e64 v79, 0, v79, s0
	v_cmp_gt_i32_e64 s0, s33, v36
	v_cndmask_b32_e64 v1, 0, v1, s0
	s_delay_alu instid0(VALU_DEP_1)
	v_perm_b32 v1, v79, v1, 0x5040100
.LBB114_65:                             ;   in Loop: Header=BB114_38 Depth=1
	s_or_b32 exec_lo, exec_lo, s26
	s_waitcnt vmcnt(0)
	;;#ASMSTART
	v_pk_mul_f16 v1, v47, v1;

	;;#ASMEND
	;;#ASMSTART
	v_pk_mul_f16 v2, v45, v2;

	;;#ASMEND
	;; [unrolled: 4-line block ×4, first 2 shown]
	;;#ASMSTART
	v_pk_add_f16 v1, v1, v2;

	;;#ASMEND
	;;#ASMSTART
	v_pk_add_f16 v1, v1, v3;

	;;#ASMEND
	;;#ASMSTART
	v_pk_add_f16 v1, v1, v4;

	;;#ASMEND
	v_lshrrev_b32_e32 v3, 16, v1
	v_and_b32_e32 v4, 0xffff, v1
	v_add_co_u32 v1, s0, v50, v34
	s_delay_alu instid0(VALU_DEP_1)
	v_add_co_ci_u32_e64 v2, s0, 0, v51, s0
	;;#ASMSTART
	v_cvt_f32_f16 v50, v4;
	;;#ASMEND
	;;#ASMSTART
	v_cvt_f32_f16 v51, v3;
	;;#ASMEND
	global_load_b128 v[1:4], v[1:2], off
	s_and_saveexec_b32 s0, vcc_lo
	s_cbranch_execz .LBB114_36
; %bb.66:                               ;   in Loop: Header=BB114_38 Depth=1
	v_cmp_gt_i32_e32 vcc_lo, s18, v49
	s_waitcnt vmcnt(0)
	v_lshrrev_b32_e32 v76, 16, v4
	v_lshrrev_b32_e32 v77, 16, v3
	;; [unrolled: 1-line block ×3, first 2 shown]
	v_cndmask_b32_e32 v4, 0, v4, vcc_lo
	v_cmp_gt_i32_e32 vcc_lo, s19, v48
	v_cndmask_b32_e32 v48, 0, v76, vcc_lo
	v_cmp_gt_i32_e32 vcc_lo, s17, v46
	;; [unrolled: 2-line block ×3, first 2 shown]
	v_lshrrev_b32_e32 v43, 16, v1
	v_cndmask_b32_e32 v3, 0, v3, vcc_lo
	v_cmp_gt_i32_e32 vcc_lo, s15, v39
	v_cndmask_b32_e32 v39, 0, v49, vcc_lo
	v_cmp_gt_i32_e32 vcc_lo, s13, v38
	v_perm_b32 v4, v48, v4, 0x5040100
	v_cndmask_b32_e32 v2, 0, v2, vcc_lo
	v_cmp_gt_i32_e32 vcc_lo, s10, v37
	v_cndmask_b32_e32 v37, 0, v43, vcc_lo
	v_cmp_gt_i32_e32 vcc_lo, s33, v36
	v_perm_b32 v3, v46, v3, 0x5040100
	v_cndmask_b32_e32 v1, 0, v1, vcc_lo
	v_perm_b32 v2, v39, v2, 0x5040100
	s_delay_alu instid0(VALU_DEP_2)
	v_perm_b32 v1, v37, v1, 0x5040100
	s_branch .LBB114_36
.LBB114_67:
	s_or_b32 exec_lo, exec_lo, s3
.LBB114_68:
	s_delay_alu instid0(SALU_CYCLE_1)
	s_or_b32 exec_lo, exec_lo, s1
	ds_bpermute_b32 v1, v10, v24
	ds_bpermute_b32 v2, v10, v25
	;; [unrolled: 1-line block ×14, first 2 shown]
	s_movk_i32 s0, 0x1c0
	s_waitcnt lgkmcnt(0)
	s_waitcnt_vscnt null, 0x0
	s_barrier
	buffer_gl0_inv
	v_dual_add_f32 v1, v24, v1 :: v_dual_add_f32 v2, v25, v2
	v_dual_add_f32 v7, v19, v7 :: v_dual_add_f32 v18, v18, v8
	v_dual_add_f32 v3, v23, v3 :: v_dual_add_f32 v4, v22, v4
	ds_bpermute_b32 v8, v9, v1
	ds_bpermute_b32 v19, v9, v2
	;; [unrolled: 1-line block ×3, first 2 shown]
	v_dual_add_f32 v5, v21, v5 :: v_dual_add_f32 v6, v20, v6
	v_dual_add_f32 v17, v17, v26 :: v_dual_add_f32 v16, v16, v27
	v_dual_add_f32 v26, v15, v28 :: v_dual_add_f32 v27, v14, v29
	ds_bpermute_b32 v20, v9, v3
	ds_bpermute_b32 v21, v9, v4
	;; [unrolled: 1-line block ×4, first 2 shown]
	v_add_f32_e32 v29, v13, v30
	ds_bpermute_b32 v30, v9, v16
	ds_bpermute_b32 v31, v9, v26
	v_add_f32_e32 v33, v12, v10
	ds_bpermute_b32 v22, v9, v5
	ds_bpermute_b32 v28, v9, v17
	;; [unrolled: 1-line block ×3, first 2 shown]
	s_waitcnt lgkmcnt(10)
	v_dual_add_f32 v15, v1, v8 :: v_dual_add_f32 v14, v2, v19
	ds_bpermute_b32 v34, v9, v29
	s_waitcnt lgkmcnt(10)
	v_add_f32_e32 v8, v7, v24
	ds_bpermute_b32 v35, v9, v33
	s_waitcnt lgkmcnt(9)
	v_dual_add_f32 v13, v3, v20 :: v_dual_add_f32 v12, v4, v21
	s_waitcnt lgkmcnt(8)
	v_add_f32_e32 v9, v6, v23
	s_waitcnt lgkmcnt(7)
	v_dual_add_f32 v7, v18, v25 :: v_dual_and_b32 v18, 0x3c3, v0
	s_waitcnt lgkmcnt(5)
	v_dual_add_f32 v4, v16, v30 :: v_dual_add_f32 v3, v26, v31
	v_lshrrev_b32_e32 v16, 2, v62
	s_waitcnt lgkmcnt(4)
	v_add_f32_e32 v10, v5, v22
	s_waitcnt lgkmcnt(3)
	v_add_f32_e32 v5, v17, v28
	;; [unrolled: 2-line block ×3, first 2 shown]
	v_mad_u32_u24 v17, v61, s0, 0x100
	v_cmp_eq_u32_e32 vcc_lo, 64, v18
	s_waitcnt lgkmcnt(1)
	v_dual_add_f32 v1, v29, v34 :: v_dual_lshlrev_b32 v18, 2, v16
	s_waitcnt lgkmcnt(0)
	v_add_f32_e32 v6, v33, v35
	s_and_saveexec_b32 s0, vcc_lo
	s_cbranch_execz .LBB114_70
; %bb.69:
	v_add3_u32 v19, v17, v18, 0xfffffc80
	ds_store_2addr_b32 v19, v15, v14 offset1:8
	ds_store_2addr_b32 v19, v13, v12 offset0:16 offset1:24
	ds_store_2addr_b32 v19, v10, v9 offset0:32 offset1:40
	;; [unrolled: 1-line block ×6, first 2 shown]
.LBB114_70:
	s_or_b32 exec_lo, exec_lo, s0
	v_cmp_eq_u32_e32 vcc_lo, 0, v11
	s_mov_b32 s1, exec_lo
	s_waitcnt lgkmcnt(0)
	s_barrier
	buffer_gl0_inv
	v_cmpx_gt_u32_e32 64, v0
	s_cbranch_execz .LBB114_87
; %bb.71:
	s_and_saveexec_b32 s0, vcc_lo
	s_cbranch_execnz .LBB114_109
; %bb.72:
	s_or_b32 exec_lo, exec_lo, s0
	s_and_saveexec_b32 s0, vcc_lo
	s_cbranch_execnz .LBB114_110
.LBB114_73:
	s_or_b32 exec_lo, exec_lo, s0
	s_and_saveexec_b32 s0, vcc_lo
	s_cbranch_execnz .LBB114_111
.LBB114_74:
	s_or_b32 exec_lo, exec_lo, s0
	s_and_saveexec_b32 s0, vcc_lo
	s_cbranch_execnz .LBB114_112
.LBB114_75:
	s_or_b32 exec_lo, exec_lo, s0
	s_and_saveexec_b32 s0, vcc_lo
	s_cbranch_execnz .LBB114_113
.LBB114_76:
	s_or_b32 exec_lo, exec_lo, s0
	s_and_saveexec_b32 s0, vcc_lo
	s_cbranch_execnz .LBB114_114
.LBB114_77:
	s_or_b32 exec_lo, exec_lo, s0
	s_and_saveexec_b32 s0, vcc_lo
	s_cbranch_execnz .LBB114_115
.LBB114_78:
	s_or_b32 exec_lo, exec_lo, s0
	s_and_saveexec_b32 s0, vcc_lo
	s_cbranch_execnz .LBB114_116
.LBB114_79:
	s_or_b32 exec_lo, exec_lo, s0
	s_and_saveexec_b32 s0, vcc_lo
	s_cbranch_execnz .LBB114_117
.LBB114_80:
	s_or_b32 exec_lo, exec_lo, s0
	s_and_saveexec_b32 s0, vcc_lo
	s_cbranch_execnz .LBB114_118
.LBB114_81:
	s_or_b32 exec_lo, exec_lo, s0
	s_and_saveexec_b32 s0, vcc_lo
	s_cbranch_execnz .LBB114_119
.LBB114_82:
	s_or_b32 exec_lo, exec_lo, s0
	s_and_saveexec_b32 s0, vcc_lo
	s_cbranch_execnz .LBB114_120
.LBB114_83:
	s_or_b32 exec_lo, exec_lo, s0
	s_and_saveexec_b32 s0, vcc_lo
	s_cbranch_execnz .LBB114_121
.LBB114_84:
	s_or_b32 exec_lo, exec_lo, s0
	s_and_saveexec_b32 s0, vcc_lo
	s_cbranch_execz .LBB114_86
.LBB114_85:
	v_lshl_add_u32 v11, v16, 2, v17
	ds_load_b32 v11, v11 offset:416
	s_waitcnt lgkmcnt(0)
	v_add_f32_e32 v6, v6, v11
.LBB114_86:
	s_or_b32 exec_lo, exec_lo, s0
.LBB114_87:
	s_delay_alu instid0(SALU_CYCLE_1)
	s_or_b32 exec_lo, exec_lo, s1
	v_and_b32_e32 v11, 0x3e3, v0
	s_mov_b32 s1, exec_lo
	s_barrier
	buffer_gl0_inv
	v_cmpx_eq_u32_e32 32, v11
	s_cbranch_execz .LBB114_89
; %bb.88:
	v_add3_u32 v18, v17, v18, 0xfffffe40
	ds_store_2addr_b32 v18, v15, v14 offset1:8
	ds_store_2addr_b32 v18, v13, v12 offset0:16 offset1:24
	ds_store_2addr_b32 v18, v10, v9 offset0:32 offset1:40
	;; [unrolled: 1-line block ×6, first 2 shown]
.LBB114_89:
	s_or_b32 exec_lo, exec_lo, s1
	s_delay_alu instid0(SALU_CYCLE_1)
	s_mov_b32 s1, exec_lo
	s_waitcnt lgkmcnt(0)
	s_barrier
	buffer_gl0_inv
	v_cmpx_gt_u32_e32 32, v0
	s_cbranch_execz .LBB114_106
; %bb.90:
	v_lshl_add_u32 v16, v16, 2, v17
	s_and_saveexec_b32 s0, vcc_lo
	s_cbranch_execnz .LBB114_122
; %bb.91:
	s_or_b32 exec_lo, exec_lo, s0
	s_and_saveexec_b32 s0, vcc_lo
	s_cbranch_execnz .LBB114_123
.LBB114_92:
	s_or_b32 exec_lo, exec_lo, s0
	s_and_saveexec_b32 s0, vcc_lo
	s_cbranch_execnz .LBB114_124
.LBB114_93:
	s_or_b32 exec_lo, exec_lo, s0
	s_and_saveexec_b32 s0, vcc_lo
	s_cbranch_execnz .LBB114_125
.LBB114_94:
	s_or_b32 exec_lo, exec_lo, s0
	s_and_saveexec_b32 s0, vcc_lo
	s_cbranch_execnz .LBB114_126
.LBB114_95:
	s_or_b32 exec_lo, exec_lo, s0
	s_and_saveexec_b32 s0, vcc_lo
	s_cbranch_execnz .LBB114_127
.LBB114_96:
	s_or_b32 exec_lo, exec_lo, s0
	s_and_saveexec_b32 s0, vcc_lo
	s_cbranch_execnz .LBB114_128
.LBB114_97:
	s_or_b32 exec_lo, exec_lo, s0
	s_and_saveexec_b32 s0, vcc_lo
	s_cbranch_execnz .LBB114_129
.LBB114_98:
	s_or_b32 exec_lo, exec_lo, s0
	s_and_saveexec_b32 s0, vcc_lo
	s_cbranch_execnz .LBB114_130
.LBB114_99:
	s_or_b32 exec_lo, exec_lo, s0
	s_and_saveexec_b32 s0, vcc_lo
	s_cbranch_execnz .LBB114_131
.LBB114_100:
	s_or_b32 exec_lo, exec_lo, s0
	s_and_saveexec_b32 s0, vcc_lo
	s_cbranch_execnz .LBB114_132
.LBB114_101:
	s_or_b32 exec_lo, exec_lo, s0
	s_and_saveexec_b32 s0, vcc_lo
	s_cbranch_execnz .LBB114_133
.LBB114_102:
	s_or_b32 exec_lo, exec_lo, s0
	s_and_saveexec_b32 s0, vcc_lo
	s_cbranch_execnz .LBB114_134
.LBB114_103:
	s_or_b32 exec_lo, exec_lo, s0
	s_and_saveexec_b32 s0, vcc_lo
	s_cbranch_execz .LBB114_105
.LBB114_104:
	ds_load_b32 v16, v16 offset:416
	s_waitcnt lgkmcnt(0)
	v_add_f32_e32 v6, v6, v16
.LBB114_105:
	s_or_b32 exec_lo, exec_lo, s0
.LBB114_106:
	s_delay_alu instid0(SALU_CYCLE_1)
	s_or_b32 exec_lo, exec_lo, s1
	s_barrier
	buffer_gl0_inv
	s_mov_b32 s0, exec_lo
	v_cmpx_eq_u32_e32 0, v11
	s_cbranch_execz .LBB114_108
; %bb.107:
	s_mul_i32 s0, s14, 0x70
	s_mul_i32 s2, s4, s20
	s_ashr_i32 s1, s0, 31
	v_lshrrev_b32_e32 v0, 1, v0
	s_lshl_b64 s[0:1], s[0:1], 1
	;;#ASMSTART
	v_cvt_f16_f32 v11, v15;

	;;#ASMEND
	s_add_u32 s4, s22, s0
	s_addc_u32 s5, s23, s1
	s_ashr_i32 s3, s2, 31
	s_delay_alu instid0(SALU_CYCLE_1) | instskip(SKIP_4) | instid1(SALU_CYCLE_1)
	s_lshl_b64 s[0:1], s[2:3], 1
	s_mul_i32 s2, s12, 0x70
	s_add_u32 s4, s4, s0
	s_addc_u32 s5, s5, s1
	s_ashr_i32 s3, s2, 31
	s_lshl_b64 s[0:1], s[2:3], 1
	s_delay_alu instid0(SALU_CYCLE_1)
	s_add_u32 s0, s4, s0
	s_addc_u32 s1, s5, s1
	global_store_b16 v0, v11, s[0:1]
	;;#ASMSTART
	v_cvt_f16_f32 v11, v14;

	;;#ASMEND
	global_store_b16 v0, v11, s[0:1] offset:16
	;;#ASMSTART
	v_cvt_f16_f32 v11, v13;

	;;#ASMEND
	global_store_b16 v0, v11, s[0:1] offset:32
	;; [unrolled: 5-line block ×13, first 2 shown]
.LBB114_108:
	s_nop 0
	s_sendmsg sendmsg(MSG_DEALLOC_VGPRS)
	s_endpgm
.LBB114_109:
	v_lshl_add_u32 v11, v16, 2, v17
	ds_load_b32 v11, v11
	s_waitcnt lgkmcnt(0)
	v_add_f32_e32 v15, v15, v11
	s_or_b32 exec_lo, exec_lo, s0
	s_and_saveexec_b32 s0, vcc_lo
	s_cbranch_execz .LBB114_73
.LBB114_110:
	v_lshl_add_u32 v11, v16, 2, v17
	ds_load_b32 v11, v11 offset:32
	s_waitcnt lgkmcnt(0)
	v_add_f32_e32 v14, v14, v11
	s_or_b32 exec_lo, exec_lo, s0
	s_and_saveexec_b32 s0, vcc_lo
	s_cbranch_execz .LBB114_74
.LBB114_111:
	v_lshl_add_u32 v11, v16, 2, v17
	ds_load_b32 v11, v11 offset:64
	s_waitcnt lgkmcnt(0)
	v_add_f32_e32 v13, v13, v11
	s_or_b32 exec_lo, exec_lo, s0
	s_and_saveexec_b32 s0, vcc_lo
	s_cbranch_execz .LBB114_75
.LBB114_112:
	v_lshl_add_u32 v11, v16, 2, v17
	ds_load_b32 v11, v11 offset:96
	s_waitcnt lgkmcnt(0)
	v_add_f32_e32 v12, v12, v11
	s_or_b32 exec_lo, exec_lo, s0
	s_and_saveexec_b32 s0, vcc_lo
	s_cbranch_execz .LBB114_76
.LBB114_113:
	v_lshl_add_u32 v11, v16, 2, v17
	ds_load_b32 v11, v11 offset:128
	s_waitcnt lgkmcnt(0)
	v_add_f32_e32 v10, v10, v11
	s_or_b32 exec_lo, exec_lo, s0
	s_and_saveexec_b32 s0, vcc_lo
	s_cbranch_execz .LBB114_77
.LBB114_114:
	v_lshl_add_u32 v11, v16, 2, v17
	ds_load_b32 v11, v11 offset:160
	s_waitcnt lgkmcnt(0)
	v_add_f32_e32 v9, v9, v11
	s_or_b32 exec_lo, exec_lo, s0
	s_and_saveexec_b32 s0, vcc_lo
	s_cbranch_execz .LBB114_78
.LBB114_115:
	v_lshl_add_u32 v11, v16, 2, v17
	ds_load_b32 v11, v11 offset:192
	s_waitcnt lgkmcnt(0)
	v_add_f32_e32 v8, v8, v11
	s_or_b32 exec_lo, exec_lo, s0
	s_and_saveexec_b32 s0, vcc_lo
	s_cbranch_execz .LBB114_79
.LBB114_116:
	v_lshl_add_u32 v11, v16, 2, v17
	ds_load_b32 v11, v11 offset:224
	s_waitcnt lgkmcnt(0)
	v_add_f32_e32 v7, v7, v11
	s_or_b32 exec_lo, exec_lo, s0
	s_and_saveexec_b32 s0, vcc_lo
	s_cbranch_execz .LBB114_80
.LBB114_117:
	v_lshl_add_u32 v11, v16, 2, v17
	ds_load_b32 v11, v11 offset:256
	s_waitcnt lgkmcnt(0)
	v_add_f32_e32 v5, v5, v11
	s_or_b32 exec_lo, exec_lo, s0
	s_and_saveexec_b32 s0, vcc_lo
	s_cbranch_execz .LBB114_81
.LBB114_118:
	v_lshl_add_u32 v11, v16, 2, v17
	ds_load_b32 v11, v11 offset:288
	s_waitcnt lgkmcnt(0)
	v_add_f32_e32 v4, v4, v11
	s_or_b32 exec_lo, exec_lo, s0
	s_and_saveexec_b32 s0, vcc_lo
	s_cbranch_execz .LBB114_82
.LBB114_119:
	v_lshl_add_u32 v11, v16, 2, v17
	ds_load_b32 v11, v11 offset:320
	s_waitcnt lgkmcnt(0)
	v_add_f32_e32 v3, v3, v11
	s_or_b32 exec_lo, exec_lo, s0
	s_and_saveexec_b32 s0, vcc_lo
	s_cbranch_execz .LBB114_83
.LBB114_120:
	v_lshl_add_u32 v11, v16, 2, v17
	ds_load_b32 v11, v11 offset:352
	s_waitcnt lgkmcnt(0)
	v_add_f32_e32 v2, v2, v11
	s_or_b32 exec_lo, exec_lo, s0
	s_and_saveexec_b32 s0, vcc_lo
	s_cbranch_execz .LBB114_84
.LBB114_121:
	v_lshl_add_u32 v11, v16, 2, v17
	ds_load_b32 v11, v11 offset:384
	s_waitcnt lgkmcnt(0)
	v_add_f32_e32 v1, v1, v11
	s_or_b32 exec_lo, exec_lo, s0
	s_and_saveexec_b32 s0, vcc_lo
	s_cbranch_execnz .LBB114_85
	s_branch .LBB114_86
.LBB114_122:
	ds_load_b32 v17, v16
	s_waitcnt lgkmcnt(0)
	v_add_f32_e32 v15, v15, v17
	s_or_b32 exec_lo, exec_lo, s0
	s_and_saveexec_b32 s0, vcc_lo
	s_cbranch_execz .LBB114_92
.LBB114_123:
	ds_load_b32 v17, v16 offset:32
	s_waitcnt lgkmcnt(0)
	v_add_f32_e32 v14, v14, v17
	s_or_b32 exec_lo, exec_lo, s0
	s_and_saveexec_b32 s0, vcc_lo
	s_cbranch_execz .LBB114_93
.LBB114_124:
	ds_load_b32 v17, v16 offset:64
	s_waitcnt lgkmcnt(0)
	v_add_f32_e32 v13, v13, v17
	s_or_b32 exec_lo, exec_lo, s0
	s_and_saveexec_b32 s0, vcc_lo
	s_cbranch_execz .LBB114_94
.LBB114_125:
	ds_load_b32 v17, v16 offset:96
	s_waitcnt lgkmcnt(0)
	v_add_f32_e32 v12, v12, v17
	s_or_b32 exec_lo, exec_lo, s0
	s_and_saveexec_b32 s0, vcc_lo
	s_cbranch_execz .LBB114_95
.LBB114_126:
	ds_load_b32 v17, v16 offset:128
	s_waitcnt lgkmcnt(0)
	v_add_f32_e32 v10, v10, v17
	s_or_b32 exec_lo, exec_lo, s0
	s_and_saveexec_b32 s0, vcc_lo
	s_cbranch_execz .LBB114_96
.LBB114_127:
	ds_load_b32 v17, v16 offset:160
	s_waitcnt lgkmcnt(0)
	v_add_f32_e32 v9, v9, v17
	s_or_b32 exec_lo, exec_lo, s0
	s_and_saveexec_b32 s0, vcc_lo
	s_cbranch_execz .LBB114_97
.LBB114_128:
	ds_load_b32 v17, v16 offset:192
	s_waitcnt lgkmcnt(0)
	v_add_f32_e32 v8, v8, v17
	s_or_b32 exec_lo, exec_lo, s0
	s_and_saveexec_b32 s0, vcc_lo
	s_cbranch_execz .LBB114_98
.LBB114_129:
	ds_load_b32 v17, v16 offset:224
	s_waitcnt lgkmcnt(0)
	v_add_f32_e32 v7, v7, v17
	s_or_b32 exec_lo, exec_lo, s0
	s_and_saveexec_b32 s0, vcc_lo
	s_cbranch_execz .LBB114_99
.LBB114_130:
	ds_load_b32 v17, v16 offset:256
	s_waitcnt lgkmcnt(0)
	v_add_f32_e32 v5, v5, v17
	s_or_b32 exec_lo, exec_lo, s0
	s_and_saveexec_b32 s0, vcc_lo
	s_cbranch_execz .LBB114_100
.LBB114_131:
	ds_load_b32 v17, v16 offset:288
	s_waitcnt lgkmcnt(0)
	v_add_f32_e32 v4, v4, v17
	s_or_b32 exec_lo, exec_lo, s0
	s_and_saveexec_b32 s0, vcc_lo
	s_cbranch_execz .LBB114_101
.LBB114_132:
	ds_load_b32 v17, v16 offset:320
	s_waitcnt lgkmcnt(0)
	v_add_f32_e32 v3, v3, v17
	s_or_b32 exec_lo, exec_lo, s0
	s_and_saveexec_b32 s0, vcc_lo
	s_cbranch_execz .LBB114_102
.LBB114_133:
	ds_load_b32 v17, v16 offset:352
	s_waitcnt lgkmcnt(0)
	v_add_f32_e32 v2, v2, v17
	s_or_b32 exec_lo, exec_lo, s0
	s_and_saveexec_b32 s0, vcc_lo
	s_cbranch_execz .LBB114_103
.LBB114_134:
	ds_load_b32 v17, v16 offset:384
	s_waitcnt lgkmcnt(0)
	v_add_f32_e32 v1, v1, v17
	s_or_b32 exec_lo, exec_lo, s0
	s_and_saveexec_b32 s0, vcc_lo
	s_cbranch_execnz .LBB114_104
	s_branch .LBB114_105
	.section	.rodata,"a",@progbits
	.p2align	6, 0x0
	.amdhsa_kernel _ZN4vllm25paged_attention_v2_kernelIttLi112ELi32ELi128ELNS_18Fp8KVCacheDataTypeE0ELb1ELi512EEEvPfS2_PT_PKS3_PKT0_S9_ifPKiSB_iPKfiiiSD_SD_iiiii
		.amdhsa_group_segment_fixed_size 256
		.amdhsa_private_segment_fixed_size 0
		.amdhsa_kernarg_size 400
		.amdhsa_user_sgpr_count 13
		.amdhsa_user_sgpr_dispatch_ptr 0
		.amdhsa_user_sgpr_queue_ptr 0
		.amdhsa_user_sgpr_kernarg_segment_ptr 1
		.amdhsa_user_sgpr_dispatch_id 0
		.amdhsa_user_sgpr_private_segment_size 0
		.amdhsa_wavefront_size32 1
		.amdhsa_uses_dynamic_stack 0
		.amdhsa_enable_private_segment 0
		.amdhsa_system_sgpr_workgroup_id_x 1
		.amdhsa_system_sgpr_workgroup_id_y 1
		.amdhsa_system_sgpr_workgroup_id_z 1
		.amdhsa_system_sgpr_workgroup_info 0
		.amdhsa_system_vgpr_workitem_id 0
		.amdhsa_next_free_vgpr 180
		.amdhsa_next_free_sgpr 44
		.amdhsa_reserve_vcc 1
		.amdhsa_float_round_mode_32 0
		.amdhsa_float_round_mode_16_64 0
		.amdhsa_float_denorm_mode_32 3
		.amdhsa_float_denorm_mode_16_64 3
		.amdhsa_dx10_clamp 1
		.amdhsa_ieee_mode 1
		.amdhsa_fp16_overflow 0
		.amdhsa_workgroup_processor_mode 1
		.amdhsa_memory_ordered 1
		.amdhsa_forward_progress 0
		.amdhsa_shared_vgpr_count 0
		.amdhsa_exception_fp_ieee_invalid_op 0
		.amdhsa_exception_fp_denorm_src 0
		.amdhsa_exception_fp_ieee_div_zero 0
		.amdhsa_exception_fp_ieee_overflow 0
		.amdhsa_exception_fp_ieee_underflow 0
		.amdhsa_exception_fp_ieee_inexact 0
		.amdhsa_exception_int_div_zero 0
	.end_amdhsa_kernel
	.section	.text._ZN4vllm25paged_attention_v2_kernelIttLi112ELi32ELi128ELNS_18Fp8KVCacheDataTypeE0ELb1ELi512EEEvPfS2_PT_PKS3_PKT0_S9_ifPKiSB_iPKfiiiSD_SD_iiiii,"axG",@progbits,_ZN4vllm25paged_attention_v2_kernelIttLi112ELi32ELi128ELNS_18Fp8KVCacheDataTypeE0ELb1ELi512EEEvPfS2_PT_PKS3_PKT0_S9_ifPKiSB_iPKfiiiSD_SD_iiiii,comdat
.Lfunc_end114:
	.size	_ZN4vllm25paged_attention_v2_kernelIttLi112ELi32ELi128ELNS_18Fp8KVCacheDataTypeE0ELb1ELi512EEEvPfS2_PT_PKS3_PKT0_S9_ifPKiSB_iPKfiiiSD_SD_iiiii, .Lfunc_end114-_ZN4vllm25paged_attention_v2_kernelIttLi112ELi32ELi128ELNS_18Fp8KVCacheDataTypeE0ELb1ELi512EEEvPfS2_PT_PKS3_PKT0_S9_ifPKiSB_iPKfiiiSD_SD_iiiii
                                        ; -- End function
	.section	.AMDGPU.csdata,"",@progbits
; Kernel info:
; codeLenInByte = 19148
; NumSgprs: 46
; NumVgprs: 180
; ScratchSize: 0
; MemoryBound: 0
; FloatMode: 240
; IeeeMode: 1
; LDSByteSize: 256 bytes/workgroup (compile time only)
; SGPRBlocks: 5
; VGPRBlocks: 22
; NumSGPRsForWavesPerEU: 46
; NumVGPRsForWavesPerEU: 180
; Occupancy: 8
; WaveLimiterHint : 1
; COMPUTE_PGM_RSRC2:SCRATCH_EN: 0
; COMPUTE_PGM_RSRC2:USER_SGPR: 13
; COMPUTE_PGM_RSRC2:TRAP_HANDLER: 0
; COMPUTE_PGM_RSRC2:TGID_X_EN: 1
; COMPUTE_PGM_RSRC2:TGID_Y_EN: 1
; COMPUTE_PGM_RSRC2:TGID_Z_EN: 1
; COMPUTE_PGM_RSRC2:TIDIG_COMP_CNT: 0
	.section	.text._ZN4vllm25paged_attention_v2_kernelIttLi120ELi32ELi128ELNS_18Fp8KVCacheDataTypeE0ELb1ELi512EEEvPfS2_PT_PKS3_PKT0_S9_ifPKiSB_iPKfiiiSD_SD_iiiii,"axG",@progbits,_ZN4vllm25paged_attention_v2_kernelIttLi120ELi32ELi128ELNS_18Fp8KVCacheDataTypeE0ELb1ELi512EEEvPfS2_PT_PKS3_PKT0_S9_ifPKiSB_iPKfiiiSD_SD_iiiii,comdat
	.protected	_ZN4vllm25paged_attention_v2_kernelIttLi120ELi32ELi128ELNS_18Fp8KVCacheDataTypeE0ELb1ELi512EEEvPfS2_PT_PKS3_PKT0_S9_ifPKiSB_iPKfiiiSD_SD_iiiii ; -- Begin function _ZN4vllm25paged_attention_v2_kernelIttLi120ELi32ELi128ELNS_18Fp8KVCacheDataTypeE0ELb1ELi512EEEvPfS2_PT_PKS3_PKT0_S9_ifPKiSB_iPKfiiiSD_SD_iiiii
	.globl	_ZN4vllm25paged_attention_v2_kernelIttLi120ELi32ELi128ELNS_18Fp8KVCacheDataTypeE0ELb1ELi512EEEvPfS2_PT_PKS3_PKT0_S9_ifPKiSB_iPKfiiiSD_SD_iiiii
	.p2align	8
	.type	_ZN4vllm25paged_attention_v2_kernelIttLi120ELi32ELi128ELNS_18Fp8KVCacheDataTypeE0ELb1ELi512EEEvPfS2_PT_PKS3_PKT0_S9_ifPKiSB_iPKfiiiSD_SD_iiiii,@function
_ZN4vllm25paged_attention_v2_kernelIttLi120ELi32ELi128ELNS_18Fp8KVCacheDataTypeE0ELb1ELi512EEEvPfS2_PT_PKS3_PKT0_S9_ifPKiSB_iPKfiiiSD_SD_iiiii: ; @_ZN4vllm25paged_attention_v2_kernelIttLi120ELi32ELi128ELNS_18Fp8KVCacheDataTypeE0ELb1ELi512EEEvPfS2_PT_PKS3_PKT0_S9_ifPKiSB_iPKfiiiSD_SD_iiiii
; %bb.0:
	s_load_b64 s[2:3], s[0:1], 0x40
	s_mov_b32 s12, s15
	s_ashr_i32 s15, s14, 31
	s_delay_alu instid0(SALU_CYCLE_1)
	s_lshl_b64 s[4:5], s[14:15], 2
	s_waitcnt lgkmcnt(0)
	s_add_u32 s2, s2, s4
	s_addc_u32 s3, s3, s5
	s_lshl_b32 s15, s12, 9
	s_load_b32 s33, s[2:3], 0x0
	s_waitcnt lgkmcnt(0)
	s_cmp_ge_i32 s15, s33
	s_cbranch_scc1 .LBB115_112
; %bb.1:
	s_mov_b32 s24, s13
	s_clause 0x1
	s_load_b32 s13, s[0:1], 0x90
	s_load_b64 s[2:3], s[0:1], 0x30
	s_mov_b32 s37, 0
	s_waitcnt lgkmcnt(0)
	s_abs_i32 s7, s13
	s_abs_i32 s4, s2
	s_delay_alu instid0(SALU_CYCLE_1) | instskip(SKIP_1) | instid1(VALU_DEP_1)
	v_cvt_f32_u32_e32 v1, s4
	s_sub_i32 s6, 0, s4
	v_rcp_iflag_f32_e32 v1, v1
	s_waitcnt_depctr 0xfff
	v_mul_f32_e32 v1, 0x4f7ffffe, v1
	s_delay_alu instid0(VALU_DEP_1) | instskip(NEXT) | instid1(VALU_DEP_1)
	v_cvt_u32_f32_e32 v1, v1
	v_readfirstlane_b32 s5, v1
	s_delay_alu instid0(VALU_DEP_1) | instskip(NEXT) | instid1(SALU_CYCLE_1)
	s_mul_i32 s6, s6, s5
	s_mul_hi_u32 s6, s5, s6
	s_delay_alu instid0(SALU_CYCLE_1) | instskip(SKIP_4) | instid1(SALU_CYCLE_1)
	s_add_i32 s5, s5, s6
	s_xor_b32 s6, s13, s2
	s_mul_hi_u32 s5, s7, s5
	s_ashr_i32 s6, s6, 31
	s_mul_i32 s8, s5, s4
	s_sub_i32 s7, s7, s8
	s_add_i32 s8, s5, 1
	s_sub_i32 s9, s7, s4
	s_cmp_ge_u32 s7, s4
	s_cselect_b32 s5, s8, s5
	s_cselect_b32 s7, s9, s7
	s_add_i32 s8, s5, 1
	s_cmp_ge_u32 s7, s4
	s_cselect_b32 s4, s8, s5
	s_abs_i32 s17, s24
	s_xor_b32 s4, s4, s6
	s_delay_alu instid0(SALU_CYCLE_1) | instskip(SKIP_2) | instid1(SALU_CYCLE_1)
	s_sub_i32 s8, s4, s6
	s_load_b64 s[4:5], s[0:1], 0x50
	s_abs_i32 s16, s8
	v_cvt_f32_u32_e32 v1, s16
	s_sub_i32 s7, 0, s16
	s_delay_alu instid0(VALU_DEP_1) | instskip(SKIP_2) | instid1(VALU_DEP_1)
	v_rcp_iflag_f32_e32 v1, v1
	s_waitcnt_depctr 0xfff
	v_mul_f32_e32 v1, 0x4f7ffffe, v1
	v_cvt_u32_f32_e32 v1, v1
	s_delay_alu instid0(VALU_DEP_1) | instskip(NEXT) | instid1(VALU_DEP_1)
	v_readfirstlane_b32 s6, v1
	s_mul_i32 s7, s7, s6
	s_delay_alu instid0(SALU_CYCLE_1) | instskip(NEXT) | instid1(SALU_CYCLE_1)
	s_mul_hi_u32 s7, s6, s7
	s_add_i32 s6, s6, s7
	s_waitcnt lgkmcnt(0)
	s_cmp_eq_u64 s[4:5], 0
	s_mul_hi_u32 s18, s17, s6
	s_cbranch_scc1 .LBB115_3
; %bb.2:
	s_ashr_i32 s25, s24, 31
	s_delay_alu instid0(SALU_CYCLE_1) | instskip(NEXT) | instid1(SALU_CYCLE_1)
	s_lshl_b64 s[6:7], s[24:25], 2
	s_add_u32 s4, s4, s6
	s_addc_u32 s5, s5, s7
	s_load_b32 s37, s[4:5], 0x0
.LBB115_3:
	s_load_b128 s[4:7], s[0:1], 0x58
	s_waitcnt lgkmcnt(0)
	s_ashr_i32 s7, s24, 31
	s_ashr_i32 s19, s8, 31
	s_mul_i32 s20, s24, 0x78
	s_mov_b32 s8, exec_lo
	v_cmpx_gt_u32_e32 15, v0
	s_cbranch_execz .LBB115_5
; %bb.4:
	s_load_b64 s[10:11], s[0:1], 0x18
	s_mul_i32 s22, s14, s4
	v_lshlrev_b32_e32 v5, 4, v0
	s_ashr_i32 s23, s22, 31
	s_delay_alu instid0(SALU_CYCLE_1) | instskip(SKIP_4) | instid1(SALU_CYCLE_1)
	s_lshl_b64 s[22:23], s[22:23], 1
	s_waitcnt lgkmcnt(0)
	s_add_u32 s4, s10, s22
	s_addc_u32 s9, s11, s23
	s_ashr_i32 s21, s20, 31
	s_lshl_b64 s[10:11], s[20:21], 1
	s_delay_alu instid0(SALU_CYCLE_1)
	s_add_u32 s10, s4, s10
	s_addc_u32 s11, s9, s11
	global_load_b128 v[1:4], v5, s[10:11]
	s_waitcnt vmcnt(0)
	ds_store_b128 v5, v[1:4]
.LBB115_5:
	s_or_b32 exec_lo, exec_lo, s8
	s_load_b128 s[8:11], s[0:1], 0x78
	s_mul_i32 s4, s18, s16
	s_xor_b32 s7, s7, s19
	s_sub_i32 s4, s17, s4
	s_add_i32 s17, s18, 1
	s_sub_i32 s19, s4, s16
	s_cmp_ge_u32 s4, s16
	s_waitcnt lgkmcnt(0)
	s_cselect_b32 s17, s17, s18
	s_cselect_b32 s4, s19, s4
	s_add_i32 s18, s17, 1
	s_cmp_ge_u32 s4, s16
	s_load_b32 s4, s[0:1], 0x88
	s_cselect_b32 s16, s18, s17
	s_mov_b32 s17, -1
	s_xor_b32 s16, s16, s7
	s_waitcnt lgkmcnt(0)
	s_barrier
	s_sub_i32 s7, s16, s7
	buffer_gl0_inv
                                        ; implicit-def: $sgpr34
	s_abs_i32 s21, s11
	s_delay_alu instid0(SALU_CYCLE_1) | instskip(SKIP_1) | instid1(VALU_DEP_1)
	v_cvt_f32_u32_e32 v1, s21
	s_sub_i32 s16, 0, s21
	v_rcp_iflag_f32_e32 v1, v1
	s_waitcnt_depctr 0xfff
	v_mul_f32_e32 v1, 0x4f7ffffe, v1
	s_delay_alu instid0(VALU_DEP_1) | instskip(NEXT) | instid1(VALU_DEP_1)
	v_cvt_u32_f32_e32 v1, v1
	v_readfirstlane_b32 s25, v1
	s_delay_alu instid0(VALU_DEP_1)
	s_mul_i32 s18, s16, s25
	s_add_i32 s16, s33, -1
	s_mul_hi_u32 s18, s25, s18
	s_abs_i32 s28, s16
	s_add_i32 s25, s25, s18
	s_cmp_lt_i32 s4, 0
	s_mul_hi_u32 s35, s28, s25
	s_cbranch_scc0 .LBB115_7
; %bb.6:
	s_mul_i32 s2, s8, s2
	s_mov_b32 s17, 0
	s_add_i32 s2, s7, s2
	s_delay_alu instid0(SALU_CYCLE_1) | instskip(NEXT) | instid1(SALU_CYCLE_1)
	s_mul_i32 s2, s2, s4
	s_sub_i32 s34, 1, s2
.LBB115_7:
	s_load_b64 s[26:27], s[0:1], 0x38
	s_ashr_i32 s2, s16, 31
	s_and_not1_b32 vcc_lo, exec_lo, s17
	s_ashr_i32 s11, s11, 31
	s_cbranch_vccnz .LBB115_9
; %bb.8:
	s_mul_i32 s8, s13, s8
	s_delay_alu instid0(SALU_CYCLE_1) | instskip(NEXT) | instid1(SALU_CYCLE_1)
	s_add_i32 s8, s8, s24
	s_mul_i32 s4, s8, s4
	s_delay_alu instid0(SALU_CYCLE_1)
	s_add_i32 s34, s4, 1
.LBB115_9:
	s_clause 0x4
	s_load_b32 s8, s[0:1], 0x48
	s_load_b64 s[30:31], s[0:1], 0x28
	s_load_b32 s4, s[0:1], 0x98
	s_load_b128 s[16:19], s[0:1], 0x0
	s_load_b64 s[22:23], s[0:1], 0x10
	s_xor_b32 s36, s2, s11
	s_mul_i32 s2, s35, s21
	s_add_i32 s38, s35, 1
	s_sub_i32 s2, s28, s2
	v_lshrrev_b32_e32 v57, 5, v0
	v_dual_mov_b32 v61, 0xff7fffff :: v_dual_and_b32 v58, 31, v0
	s_mul_i32 s6, s7, s6
	s_delay_alu instid0(VALU_DEP_2) | instskip(NEXT) | instid1(VALU_DEP_2)
	v_lshl_add_u32 v59, v57, 5, s15
	v_lshlrev_b32_e32 v60, 2, v58
	s_waitcnt lgkmcnt(0)
	s_mul_i32 s28, s14, s8
	s_sub_i32 s8, s2, s21
	s_ashr_i32 s29, s28, 31
	s_cmp_ge_u32 s2, s21
	s_cselect_b32 s35, s38, s35
	s_cselect_b32 s2, s8, s2
	s_add_i32 s8, s35, 1
	s_cmp_ge_u32 s2, s21
	s_cselect_b32 s2, s8, s35
	s_add_i32 s8, s33, 31
	s_lshl_b32 s38, s12, 4
	s_ashr_i32 s35, s8, 31
	v_add_nc_u32_e32 v53, s38, v57
	s_lshr_b32 s35, s35, 27
	s_add_i32 s39, s38, 16
	s_add_i32 s8, s8, s35
	s_xor_b32 s40, s2, s36
	s_ashr_i32 s35, s8, 5
	v_ashrrev_i32_e32 v54, 31, v53
	s_min_i32 s8, s39, s35
	s_sub_i32 s36, s40, s36
	v_cmp_gt_i32_e64 s2, s8, v53
	s_delay_alu instid0(VALU_DEP_1)
	s_and_saveexec_b32 s39, s2
	s_cbranch_execz .LBB115_17
; %bb.10:
	s_load_b64 s[0:1], s[0:1], 0x20
	s_ashr_i32 s7, s6, 31
	v_subrev_nc_u32_e32 v5, s33, v58
	s_lshl_b64 s[40:41], s[6:7], 1
	s_sub_i32 s7, s36, s9
	v_dual_mov_b32 v70, v53 :: v_dual_lshlrev_b32 v3, 4, v58
	s_delay_alu instid0(VALU_DEP_2)
	v_add_nc_u32_e32 v65, 1, v5
	v_lshl_or_b32 v7, v57, 7, v60
	v_cmp_neq_f32_e64 vcc_lo, s37, 0
	v_lshl_add_u32 v62, v57, 5, s15
	v_mov_b32_e32 v63, 0xff7fffff
	v_mov_b32_e32 v61, 0xff7fffff
	v_add_nc_u32_e32 v66, 0x110, v7
	v_mov_b32_e32 v64, 0
	s_waitcnt lgkmcnt(0)
	s_add_u32 s42, s0, s40
	s_addc_u32 s41, s1, s41
	s_abs_i32 s40, s10
	v_add_co_u32 v67, s42, s42, v3
	v_cvt_f32_u32_e32 v1, s40
	s_sub_i32 s0, 0, s40
	v_add_co_ci_u32_e64 v68, null, s41, 0, s42
	s_mov_b32 s42, s5
	s_delay_alu instid0(VALU_DEP_2) | instskip(SKIP_3) | instid1(VALU_DEP_1)
	v_rcp_iflag_f32_e32 v1, v1
	s_mov_b32 s41, 0
	s_waitcnt_depctr 0xfff
	v_mul_f32_e32 v1, 0x4f7ffffe, v1
	v_cvt_u32_f32_e32 v4, v1
	v_lshlrev_b64 v[1:2], 2, v[53:54]
	s_delay_alu instid0(VALU_DEP_2) | instskip(SKIP_1) | instid1(SALU_CYCLE_1)
	v_mul_lo_u32 v6, s0, v4
	s_lshl_b64 s[0:1], s[28:29], 2
	s_add_u32 s0, s26, s0
	s_addc_u32 s1, s27, s1
	s_delay_alu instid0(VALU_DEP_2) | instskip(NEXT) | instid1(VALU_DEP_1)
	v_add_co_u32 v55, s0, s0, v1
	v_add_co_ci_u32_e64 v56, s0, s1, v2, s0
	s_delay_alu instid0(VALU_DEP_3) | instskip(NEXT) | instid1(VALU_DEP_1)
	v_mul_hi_u32 v5, v4, v6
	v_add_nc_u32_e32 v69, v4, v5
	s_branch .LBB115_12
.LBB115_11:                             ;   in Loop: Header=BB115_12 Depth=1
	s_or_b32 exec_lo, exec_lo, s1
	v_add_nc_u32_e32 v70, 4, v70
	v_add_co_u32 v55, s1, v55, 16
	s_delay_alu instid0(VALU_DEP_1) | instskip(NEXT) | instid1(VALU_DEP_3)
	v_add_co_ci_u32_e64 v56, s1, 0, v56, s1
	v_cmp_le_i32_e64 s0, s8, v70
	v_add_nc_u32_e32 v62, 0x80, v62
	v_add_nc_u32_e32 v66, 0x200, v66
	s_delay_alu instid0(VALU_DEP_3) | instskip(NEXT) | instid1(SALU_CYCLE_1)
	s_or_b32 s41, s0, s41
	s_and_not1_b32 exec_lo, exec_lo, s41
	s_cbranch_execz .LBB115_16
.LBB115_12:                             ; =>This Inner Loop Header: Depth=1
	v_sub_nc_u32_e32 v1, 0, v62
	s_delay_alu instid0(VALU_DEP_1) | instskip(NEXT) | instid1(VALU_DEP_1)
	v_max_i32_e32 v1, v62, v1
	v_mul_hi_u32 v2, v1, s25
	s_delay_alu instid0(VALU_DEP_1) | instskip(NEXT) | instid1(VALU_DEP_1)
	v_mul_lo_u32 v3, v2, s21
	v_sub_nc_u32_e32 v1, v1, v3
	v_add_nc_u32_e32 v3, 1, v2
	s_delay_alu instid0(VALU_DEP_2) | instskip(SKIP_1) | instid1(VALU_DEP_1)
	v_subrev_nc_u32_e32 v4, s21, v1
	v_cmp_le_u32_e64 s0, s21, v1
	v_cndmask_b32_e64 v2, v2, v3, s0
	s_delay_alu instid0(VALU_DEP_3) | instskip(SKIP_1) | instid1(VALU_DEP_3)
	v_cndmask_b32_e64 v1, v1, v4, s0
	v_ashrrev_i32_e32 v3, 31, v62
	v_add_nc_u32_e32 v4, 1, v2
	s_delay_alu instid0(VALU_DEP_3) | instskip(NEXT) | instid1(VALU_DEP_3)
	v_cmp_le_u32_e64 s0, s21, v1
	v_xor_b32_e32 v3, s11, v3
	s_delay_alu instid0(VALU_DEP_2) | instskip(NEXT) | instid1(VALU_DEP_1)
	v_cndmask_b32_e64 v1, v2, v4, s0
	v_xor_b32_e32 v1, v1, v3
	s_delay_alu instid0(VALU_DEP_1) | instskip(NEXT) | instid1(VALU_DEP_1)
	v_sub_nc_u32_e32 v1, v1, v3
	v_add_nc_u32_e32 v2, s34, v1
	v_cmp_ge_i32_e64 s1, s7, v1
	s_delay_alu instid0(VALU_DEP_2) | instskip(NEXT) | instid1(VALU_DEP_1)
	v_sub_nc_u32_e32 v3, 0, v2
	v_max_i32_e32 v3, v2, v3
	v_ashrrev_i32_e32 v2, 31, v2
	s_delay_alu instid0(VALU_DEP_2) | instskip(NEXT) | instid1(VALU_DEP_1)
	v_mul_hi_u32 v4, v3, v69
	v_mul_lo_u32 v4, v4, s40
	s_delay_alu instid0(VALU_DEP_1) | instskip(NEXT) | instid1(VALU_DEP_1)
	v_sub_nc_u32_e32 v3, v3, v4
	v_subrev_nc_u32_e32 v4, s40, v3
	v_cmp_le_u32_e64 s0, s40, v3
	s_delay_alu instid0(VALU_DEP_1) | instskip(NEXT) | instid1(VALU_DEP_1)
	v_cndmask_b32_e64 v3, v3, v4, s0
	v_subrev_nc_u32_e32 v4, s40, v3
	v_cmp_le_u32_e64 s0, s40, v3
	s_delay_alu instid0(VALU_DEP_1) | instskip(NEXT) | instid1(VALU_DEP_1)
	v_cndmask_b32_e64 v3, v3, v4, s0
	v_xor_b32_e32 v3, v3, v2
	s_delay_alu instid0(VALU_DEP_1) | instskip(NEXT) | instid1(VALU_DEP_1)
	v_sub_nc_u32_e32 v2, v3, v2
	v_cmp_ne_u32_e64 s0, 0, v2
	s_delay_alu instid0(VALU_DEP_1) | instskip(NEXT) | instid1(SALU_CYCLE_1)
	s_and_b32 s0, s0, s1
	s_and_saveexec_b32 s1, s0
	s_delay_alu instid0(SALU_CYCLE_1)
	s_xor_b32 s0, exec_lo, s1
	s_cbranch_execz .LBB115_14
; %bb.13:                               ;   in Loop: Header=BB115_12 Depth=1
	ds_store_b32 v66, v63
.LBB115_14:                             ;   in Loop: Header=BB115_12 Depth=1
	s_and_not1_saveexec_b32 s1, s0
	s_cbranch_execz .LBB115_11
; %bb.15:                               ;   in Loop: Header=BB115_12 Depth=1
	global_load_b32 v3, v[55:56], off
	s_waitcnt vmcnt(0)
	v_mad_i64_i32 v[1:2], null, v3, s42, 0
	v_add_nc_u32_e32 v3, v65, v62
	s_delay_alu instid0(VALU_DEP_1) | instskip(NEXT) | instid1(VALU_DEP_3)
	v_cvt_f32_i32_e32 v3, v3
	v_lshlrev_b64 v[1:2], 1, v[1:2]
	s_delay_alu instid0(VALU_DEP_2) | instskip(NEXT) | instid1(VALU_DEP_2)
	v_dual_mul_f32 v3, s37, v3 :: v_dual_add_nc_u32 v80, v58, v62
	v_add_co_u32 v1, s0, v67, v1
	s_delay_alu instid0(VALU_DEP_1) | instskip(NEXT) | instid1(VALU_DEP_3)
	v_add_co_ci_u32_e64 v2, s0, v68, v2, s0
	v_cndmask_b32_e32 v71, 0, v3, vcc_lo
	s_clause 0x7
	global_load_b128 v[72:75], v[1:2], off
	global_load_b128 v[76:79], v[1:2], off offset:512
	global_load_b128 v[49:52], v[1:2], off offset:1024
	;; [unrolled: 1-line block ×7, first 2 shown]
	v_add_co_u32 v1, s0, 0x1000, v1
	s_delay_alu instid0(VALU_DEP_1)
	v_add_co_ci_u32_e64 v2, s0, 0, v2, s0
	v_cmp_gt_i32_e64 s0, s33, v80
	s_clause 0x6
	global_load_b128 v[25:28], v[1:2], off
	global_load_b128 v[21:24], v[1:2], off offset:512
	global_load_b128 v[17:20], v[1:2], off offset:1024
	;; [unrolled: 1-line block ×6, first 2 shown]
	ds_load_b128 v[80:83], v64
	s_waitcnt lgkmcnt(0)
	v_lshrrev_b32_e32 v84, 16, v80
	v_and_b32_e32 v80, 0xffff, v80
	;;#ASMSTART
	v_cvt_f32_f16 v85, v80;
	;;#ASMEND
	;;#ASMSTART
	v_cvt_f32_f16 v84, v84;
	;;#ASMEND
	s_waitcnt vmcnt(14)
	v_lshrrev_b32_e32 v80, 16, v72
	v_and_b32_e32 v72, 0xffff, v72
	;;#ASMSTART
	v_cvt_f32_f16 v86, v72;
	;;#ASMEND
	v_lshrrev_b32_e32 v72, 16, v81
	;;#ASMSTART
	v_cvt_f32_f16 v87, v80;
	;;#ASMEND
	v_and_b32_e32 v80, 0xffff, v81
	;;#ASMSTART
	v_cvt_f32_f16 v88, v80;
	;;#ASMEND
	;;#ASMSTART
	v_cvt_f32_f16 v89, v72;
	;;#ASMEND
	v_lshrrev_b32_e32 v72, 16, v73
	v_and_b32_e32 v73, 0xffff, v73
	;;#ASMSTART
	v_cvt_f32_f16 v90, v73;
	;;#ASMEND
	;;#ASMSTART
	v_cvt_f32_f16 v91, v72;
	;;#ASMEND
	v_lshrrev_b32_e32 v72, 16, v82
	;; [unrolled: 8-line block ×5, first 2 shown]
	v_and_b32_e32 v73, 0xffff, v75
	;;#ASMSTART
	v_cvt_f32_f16 v98, v73;
	;;#ASMEND
	;;#ASMSTART
	v_cvt_f32_f16 v99, v72;
	;;#ASMEND
	ds_load_b128 v[80:83], v64 offset:16
	s_waitcnt vmcnt(13)
	v_and_b32_e32 v75, 0xffff, v76
	s_waitcnt lgkmcnt(0)
	v_lshrrev_b32_e32 v72, 16, v80
	v_and_b32_e32 v73, 0xffff, v80
	;;#ASMSTART
	v_cvt_f32_f16 v73, v73;
	;;#ASMEND
	;;#ASMSTART
	v_cvt_f32_f16 v74, v72;
	;;#ASMEND
	v_lshrrev_b32_e32 v72, 16, v76
	;;#ASMSTART
	v_cvt_f32_f16 v75, v75;
	;;#ASMEND
	;;#ASMSTART
	v_cvt_f32_f16 v76, v72;
	;;#ASMEND
	v_dual_mul_f32 v72, v73, v75 :: v_dual_and_b32 v75, 0xffff, v81
	v_mul_f32_e32 v73, v74, v76
	v_lshrrev_b32_e32 v74, 16, v81
	;;#ASMSTART
	v_cvt_f32_f16 v75, v75;
	;;#ASMEND
	;;#ASMSTART
	v_cvt_f32_f16 v74, v74;
	;;#ASMEND
	v_lshrrev_b32_e32 v76, 16, v77
	v_and_b32_e32 v77, 0xffff, v77
	;;#ASMSTART
	v_cvt_f32_f16 v77, v77;
	;;#ASMEND
	;;#ASMSTART
	v_cvt_f32_f16 v76, v76;
	;;#ASMEND
	s_delay_alu instid0(VALU_DEP_1) | instskip(SKIP_3) | instid1(VALU_DEP_4)
	v_dual_mul_f32 v74, v74, v76 :: v_dual_mul_f32 v75, v75, v77
	v_lshrrev_b32_e32 v76, 16, v82
	v_lshrrev_b32_e32 v80, 16, v78
	v_and_b32_e32 v78, 0xffff, v78
	v_dual_fmac_f32 v74, v89, v91 :: v_dual_and_b32 v77, 0xffff, v82
	;;#ASMSTART
	v_cvt_f32_f16 v77, v77;
	;;#ASMEND
	;;#ASMSTART
	v_cvt_f32_f16 v76, v76;
	;;#ASMEND
	;; [unrolled: 3-line block ×4, first 2 shown]
	v_fmac_f32_e32 v75, v88, v90
	v_dual_mul_f32 v77, v77, v78 :: v_dual_mul_f32 v76, v76, v80
	v_lshrrev_b32_e32 v78, 16, v83
	v_and_b32_e32 v80, 0xffff, v83
	v_lshrrev_b32_e32 v81, 16, v79
	v_and_b32_e32 v79, 0xffff, v79
	;;#ASMSTART
	v_cvt_f32_f16 v80, v80;
	;;#ASMEND
	;;#ASMSTART
	v_cvt_f32_f16 v78, v78;
	;;#ASMEND
	;; [unrolled: 3-line block ×4, first 2 shown]
	v_dual_mul_f32 v79, v80, v79 :: v_dual_mul_f32 v78, v78, v81
	ds_load_b128 v[80:83], v64 offset:32
	v_dual_fmac_f32 v72, v85, v86 :: v_dual_fmac_f32 v73, v84, v87
	s_waitcnt vmcnt(12)
	v_lshrrev_b32_e32 v85, 16, v49
	v_dual_fmac_f32 v76, v93, v95 :: v_dual_and_b32 v49, 0xffff, v49
	v_fmac_f32_e32 v78, v97, v99
	s_waitcnt lgkmcnt(0)
	v_lshrrev_b32_e32 v84, 16, v80
	v_dual_fmac_f32 v77, v92, v94 :: v_dual_and_b32 v80, 0xffff, v80
	;;#ASMSTART
	v_cvt_f32_f16 v80, v80;
	;;#ASMEND
	;;#ASMSTART
	v_cvt_f32_f16 v84, v84;
	;;#ASMEND
	;; [unrolled: 3-line block ×3, first 2 shown]
	s_delay_alu instid0(VALU_DEP_1)
	v_fmac_f32_e32 v72, v80, v49
	v_and_b32_e32 v80, 0xffff, v81
	v_lshrrev_b32_e32 v49, 16, v81
	v_lshrrev_b32_e32 v81, 16, v50
	v_and_b32_e32 v50, 0xffff, v50
	v_fmac_f32_e32 v79, v96, v98
	;;#ASMSTART
	v_cvt_f32_f16 v85, v85;
	;;#ASMEND
	;;#ASMSTART
	v_cvt_f32_f16 v80, v80;
	;;#ASMEND
	;;#ASMSTART
	v_cvt_f32_f16 v49, v49;
	;;#ASMEND
	;;#ASMSTART
	v_cvt_f32_f16 v50, v50;
	;;#ASMEND
	v_fmac_f32_e32 v73, v84, v85
	;;#ASMSTART
	v_cvt_f32_f16 v81, v81;
	;;#ASMEND
	v_dual_fmac_f32 v75, v80, v50 :: v_dual_fmac_f32 v74, v49, v81
	v_lshrrev_b32_e32 v49, 16, v82
	v_and_b32_e32 v50, 0xffff, v82
	v_lshrrev_b32_e32 v80, 16, v51
	v_and_b32_e32 v51, 0xffff, v51
	;;#ASMSTART
	v_cvt_f32_f16 v50, v50;
	;;#ASMEND
	;;#ASMSTART
	v_cvt_f32_f16 v49, v49;
	;;#ASMEND
	;; [unrolled: 3-line block ×4, first 2 shown]
	v_dual_fmac_f32 v77, v50, v51 :: v_dual_fmac_f32 v76, v49, v80
	v_lshrrev_b32_e32 v49, 16, v83
	v_and_b32_e32 v50, 0xffff, v83
	v_lshrrev_b32_e32 v51, 16, v52
	v_and_b32_e32 v52, 0xffff, v52
	;;#ASMSTART
	v_cvt_f32_f16 v50, v50;
	;;#ASMEND
	;;#ASMSTART
	v_cvt_f32_f16 v49, v49;
	;;#ASMEND
	;; [unrolled: 3-line block ×4, first 2 shown]
	v_dual_fmac_f32 v79, v50, v52 :: v_dual_fmac_f32 v78, v49, v51
	ds_load_b128 v[49:52], v64 offset:48
	s_waitcnt vmcnt(11)
	v_lshrrev_b32_e32 v81, 16, v45
	v_and_b32_e32 v45, 0xffff, v45
	s_waitcnt lgkmcnt(0)
	v_lshrrev_b32_e32 v80, 16, v49
	v_and_b32_e32 v49, 0xffff, v49
	;;#ASMSTART
	v_cvt_f32_f16 v49, v49;
	;;#ASMEND
	;;#ASMSTART
	v_cvt_f32_f16 v80, v80;
	;;#ASMEND
	;; [unrolled: 3-line block ×3, first 2 shown]
	s_delay_alu instid0(VALU_DEP_1)
	v_fmac_f32_e32 v72, v49, v45
	v_lshrrev_b32_e32 v45, 16, v50
	v_and_b32_e32 v49, 0xffff, v50
	v_lshrrev_b32_e32 v50, 16, v46
	v_and_b32_e32 v46, 0xffff, v46
	;;#ASMSTART
	v_cvt_f32_f16 v81, v81;
	;;#ASMEND
	;;#ASMSTART
	v_cvt_f32_f16 v49, v49;
	;;#ASMEND
	;; [unrolled: 3-line block ×4, first 2 shown]
	v_fmac_f32_e32 v73, v80, v81
	;;#ASMSTART
	v_cvt_f32_f16 v50, v50;
	;;#ASMEND
	v_fmac_f32_e32 v75, v49, v46
	v_fmac_f32_e32 v74, v45, v50
	v_lshrrev_b32_e32 v45, 16, v51
	v_and_b32_e32 v46, 0xffff, v51
	v_lshrrev_b32_e32 v49, 16, v47
	v_and_b32_e32 v47, 0xffff, v47
	;;#ASMSTART
	v_cvt_f32_f16 v46, v46;
	;;#ASMEND
	;;#ASMSTART
	v_cvt_f32_f16 v45, v45;
	;;#ASMEND
	;; [unrolled: 3-line block ×4, first 2 shown]
	v_dual_fmac_f32 v77, v46, v47 :: v_dual_fmac_f32 v76, v45, v49
	v_lshrrev_b32_e32 v45, 16, v52
	v_and_b32_e32 v46, 0xffff, v52
	v_lshrrev_b32_e32 v47, 16, v48
	v_and_b32_e32 v48, 0xffff, v48
	;;#ASMSTART
	v_cvt_f32_f16 v46, v46;
	;;#ASMEND
	;;#ASMSTART
	v_cvt_f32_f16 v45, v45;
	;;#ASMEND
	;; [unrolled: 3-line block ×4, first 2 shown]
	v_dual_fmac_f32 v79, v46, v48 :: v_dual_fmac_f32 v78, v45, v47
	ds_load_b128 v[45:48], v64 offset:64
	s_waitcnt vmcnt(10)
	v_lshrrev_b32_e32 v50, 16, v41
	v_and_b32_e32 v41, 0xffff, v41
	s_waitcnt lgkmcnt(0)
	v_lshrrev_b32_e32 v49, 16, v45
	v_and_b32_e32 v45, 0xffff, v45
	;;#ASMSTART
	v_cvt_f32_f16 v45, v45;
	;;#ASMEND
	;;#ASMSTART
	v_cvt_f32_f16 v49, v49;
	;;#ASMEND
	;; [unrolled: 3-line block ×3, first 2 shown]
	s_delay_alu instid0(VALU_DEP_1)
	v_fmac_f32_e32 v72, v45, v41
	v_lshrrev_b32_e32 v41, 16, v46
	v_and_b32_e32 v45, 0xffff, v46
	v_lshrrev_b32_e32 v46, 16, v42
	v_and_b32_e32 v42, 0xffff, v42
	;;#ASMSTART
	v_cvt_f32_f16 v50, v50;
	;;#ASMEND
	;;#ASMSTART
	v_cvt_f32_f16 v45, v45;
	;;#ASMEND
	;; [unrolled: 3-line block ×4, first 2 shown]
	v_fmac_f32_e32 v73, v49, v50
	;;#ASMSTART
	v_cvt_f32_f16 v46, v46;
	;;#ASMEND
	v_fmac_f32_e32 v75, v45, v42
	v_fmac_f32_e32 v74, v41, v46
	v_lshrrev_b32_e32 v41, 16, v47
	v_and_b32_e32 v42, 0xffff, v47
	v_lshrrev_b32_e32 v45, 16, v43
	v_and_b32_e32 v43, 0xffff, v43
	;;#ASMSTART
	v_cvt_f32_f16 v42, v42;
	;;#ASMEND
	;;#ASMSTART
	v_cvt_f32_f16 v41, v41;
	;;#ASMEND
	;;#ASMSTART
	v_cvt_f32_f16 v43, v43;
	;;#ASMEND
	;;#ASMSTART
	v_cvt_f32_f16 v45, v45;
	;;#ASMEND
	v_dual_fmac_f32 v77, v42, v43 :: v_dual_fmac_f32 v76, v41, v45
	v_lshrrev_b32_e32 v41, 16, v48
	v_and_b32_e32 v42, 0xffff, v48
	v_lshrrev_b32_e32 v43, 16, v44
	v_and_b32_e32 v44, 0xffff, v44
	;;#ASMSTART
	v_cvt_f32_f16 v42, v42;
	;;#ASMEND
	;;#ASMSTART
	v_cvt_f32_f16 v41, v41;
	;;#ASMEND
	;; [unrolled: 3-line block ×4, first 2 shown]
	v_dual_fmac_f32 v79, v42, v44 :: v_dual_fmac_f32 v78, v41, v43
	ds_load_b128 v[41:44], v64 offset:80
	s_waitcnt vmcnt(9)
	v_lshrrev_b32_e32 v46, 16, v37
	v_and_b32_e32 v37, 0xffff, v37
	s_waitcnt lgkmcnt(0)
	v_lshrrev_b32_e32 v45, 16, v41
	v_and_b32_e32 v41, 0xffff, v41
	;;#ASMSTART
	v_cvt_f32_f16 v41, v41;
	;;#ASMEND
	;;#ASMSTART
	v_cvt_f32_f16 v45, v45;
	;;#ASMEND
	;; [unrolled: 3-line block ×3, first 2 shown]
	s_delay_alu instid0(VALU_DEP_1)
	v_fmac_f32_e32 v72, v41, v37
	v_lshrrev_b32_e32 v37, 16, v42
	v_and_b32_e32 v41, 0xffff, v42
	v_lshrrev_b32_e32 v42, 16, v38
	v_and_b32_e32 v38, 0xffff, v38
	;;#ASMSTART
	v_cvt_f32_f16 v46, v46;
	;;#ASMEND
	;;#ASMSTART
	v_cvt_f32_f16 v41, v41;
	;;#ASMEND
	;;#ASMSTART
	v_cvt_f32_f16 v37, v37;
	;;#ASMEND
	;;#ASMSTART
	v_cvt_f32_f16 v38, v38;
	;;#ASMEND
	v_fmac_f32_e32 v73, v45, v46
	;;#ASMSTART
	v_cvt_f32_f16 v42, v42;
	;;#ASMEND
	v_fmac_f32_e32 v75, v41, v38
	v_fmac_f32_e32 v74, v37, v42
	v_lshrrev_b32_e32 v37, 16, v43
	v_and_b32_e32 v38, 0xffff, v43
	v_lshrrev_b32_e32 v41, 16, v39
	v_and_b32_e32 v39, 0xffff, v39
	;;#ASMSTART
	v_cvt_f32_f16 v38, v38;
	;;#ASMEND
	;;#ASMSTART
	v_cvt_f32_f16 v37, v37;
	;;#ASMEND
	;; [unrolled: 3-line block ×4, first 2 shown]
	v_dual_fmac_f32 v77, v38, v39 :: v_dual_fmac_f32 v76, v37, v41
	v_lshrrev_b32_e32 v37, 16, v44
	v_and_b32_e32 v38, 0xffff, v44
	v_lshrrev_b32_e32 v39, 16, v40
	v_and_b32_e32 v40, 0xffff, v40
	;;#ASMSTART
	v_cvt_f32_f16 v38, v38;
	;;#ASMEND
	;;#ASMSTART
	v_cvt_f32_f16 v37, v37;
	;;#ASMEND
	;; [unrolled: 3-line block ×4, first 2 shown]
	v_dual_fmac_f32 v79, v38, v40 :: v_dual_fmac_f32 v78, v37, v39
	ds_load_b128 v[37:40], v64 offset:96
	s_waitcnt vmcnt(8)
	v_lshrrev_b32_e32 v42, 16, v33
	v_and_b32_e32 v33, 0xffff, v33
	s_waitcnt lgkmcnt(0)
	v_lshrrev_b32_e32 v41, 16, v37
	v_and_b32_e32 v37, 0xffff, v37
	;;#ASMSTART
	v_cvt_f32_f16 v37, v37;
	;;#ASMEND
	;;#ASMSTART
	v_cvt_f32_f16 v41, v41;
	;;#ASMEND
	;; [unrolled: 3-line block ×3, first 2 shown]
	s_delay_alu instid0(VALU_DEP_1)
	v_fmac_f32_e32 v72, v37, v33
	v_lshrrev_b32_e32 v33, 16, v38
	v_and_b32_e32 v37, 0xffff, v38
	v_lshrrev_b32_e32 v38, 16, v34
	v_and_b32_e32 v34, 0xffff, v34
	;;#ASMSTART
	v_cvt_f32_f16 v42, v42;
	;;#ASMEND
	;;#ASMSTART
	v_cvt_f32_f16 v37, v37;
	;;#ASMEND
	;; [unrolled: 3-line block ×4, first 2 shown]
	v_fmac_f32_e32 v73, v41, v42
	;;#ASMSTART
	v_cvt_f32_f16 v38, v38;
	;;#ASMEND
	v_fmac_f32_e32 v75, v37, v34
	v_fmac_f32_e32 v74, v33, v38
	v_lshrrev_b32_e32 v33, 16, v39
	v_and_b32_e32 v34, 0xffff, v39
	v_lshrrev_b32_e32 v37, 16, v35
	v_and_b32_e32 v35, 0xffff, v35
	;;#ASMSTART
	v_cvt_f32_f16 v34, v34;
	;;#ASMEND
	;;#ASMSTART
	v_cvt_f32_f16 v33, v33;
	;;#ASMEND
	;; [unrolled: 3-line block ×4, first 2 shown]
	v_dual_fmac_f32 v77, v34, v35 :: v_dual_fmac_f32 v76, v33, v37
	v_lshrrev_b32_e32 v33, 16, v40
	v_and_b32_e32 v34, 0xffff, v40
	v_lshrrev_b32_e32 v35, 16, v36
	v_and_b32_e32 v36, 0xffff, v36
	;;#ASMSTART
	v_cvt_f32_f16 v34, v34;
	;;#ASMEND
	;;#ASMSTART
	v_cvt_f32_f16 v33, v33;
	;;#ASMEND
	;; [unrolled: 3-line block ×4, first 2 shown]
	v_dual_fmac_f32 v79, v34, v36 :: v_dual_fmac_f32 v78, v33, v35
	ds_load_b128 v[33:36], v64 offset:112
	s_waitcnt vmcnt(7)
	v_lshrrev_b32_e32 v38, 16, v29
	v_and_b32_e32 v29, 0xffff, v29
	s_waitcnt lgkmcnt(0)
	v_lshrrev_b32_e32 v37, 16, v33
	v_and_b32_e32 v33, 0xffff, v33
	;;#ASMSTART
	v_cvt_f32_f16 v33, v33;
	;;#ASMEND
	;;#ASMSTART
	v_cvt_f32_f16 v37, v37;
	;;#ASMEND
	;; [unrolled: 3-line block ×3, first 2 shown]
	s_delay_alu instid0(VALU_DEP_1)
	v_fmac_f32_e32 v72, v33, v29
	v_lshrrev_b32_e32 v29, 16, v34
	v_and_b32_e32 v33, 0xffff, v34
	v_lshrrev_b32_e32 v34, 16, v30
	v_and_b32_e32 v30, 0xffff, v30
	;;#ASMSTART
	v_cvt_f32_f16 v38, v38;
	;;#ASMEND
	;;#ASMSTART
	v_cvt_f32_f16 v33, v33;
	;;#ASMEND
	;; [unrolled: 3-line block ×4, first 2 shown]
	v_fmac_f32_e32 v73, v37, v38
	;;#ASMSTART
	v_cvt_f32_f16 v34, v34;
	;;#ASMEND
	v_fmac_f32_e32 v75, v33, v30
	v_fmac_f32_e32 v74, v29, v34
	v_lshrrev_b32_e32 v29, 16, v35
	v_and_b32_e32 v30, 0xffff, v35
	v_lshrrev_b32_e32 v33, 16, v31
	v_and_b32_e32 v31, 0xffff, v31
	;;#ASMSTART
	v_cvt_f32_f16 v30, v30;
	;;#ASMEND
	;;#ASMSTART
	v_cvt_f32_f16 v29, v29;
	;;#ASMEND
	;; [unrolled: 3-line block ×4, first 2 shown]
	v_dual_fmac_f32 v77, v30, v31 :: v_dual_fmac_f32 v76, v29, v33
	v_lshrrev_b32_e32 v29, 16, v36
	v_and_b32_e32 v30, 0xffff, v36
	v_lshrrev_b32_e32 v31, 16, v32
	v_and_b32_e32 v32, 0xffff, v32
	;;#ASMSTART
	v_cvt_f32_f16 v30, v30;
	;;#ASMEND
	;;#ASMSTART
	v_cvt_f32_f16 v29, v29;
	;;#ASMEND
	;; [unrolled: 3-line block ×4, first 2 shown]
	v_dual_fmac_f32 v79, v30, v32 :: v_dual_fmac_f32 v78, v29, v31
	ds_load_b128 v[29:32], v64 offset:128
	s_waitcnt vmcnt(6)
	v_lshrrev_b32_e32 v34, 16, v25
	v_and_b32_e32 v25, 0xffff, v25
	s_waitcnt lgkmcnt(0)
	v_lshrrev_b32_e32 v33, 16, v29
	v_and_b32_e32 v29, 0xffff, v29
	;;#ASMSTART
	v_cvt_f32_f16 v29, v29;
	;;#ASMEND
	;;#ASMSTART
	v_cvt_f32_f16 v33, v33;
	;;#ASMEND
	;; [unrolled: 3-line block ×3, first 2 shown]
	s_delay_alu instid0(VALU_DEP_1)
	v_fmac_f32_e32 v72, v29, v25
	v_lshrrev_b32_e32 v25, 16, v30
	v_and_b32_e32 v29, 0xffff, v30
	v_lshrrev_b32_e32 v30, 16, v26
	v_and_b32_e32 v26, 0xffff, v26
	;;#ASMSTART
	v_cvt_f32_f16 v34, v34;
	;;#ASMEND
	;;#ASMSTART
	v_cvt_f32_f16 v29, v29;
	;;#ASMEND
	;; [unrolled: 3-line block ×4, first 2 shown]
	v_fmac_f32_e32 v73, v33, v34
	;;#ASMSTART
	v_cvt_f32_f16 v30, v30;
	;;#ASMEND
	v_fmac_f32_e32 v75, v29, v26
	v_fmac_f32_e32 v74, v25, v30
	v_lshrrev_b32_e32 v25, 16, v31
	v_and_b32_e32 v26, 0xffff, v31
	v_lshrrev_b32_e32 v29, 16, v27
	v_and_b32_e32 v27, 0xffff, v27
	;;#ASMSTART
	v_cvt_f32_f16 v26, v26;
	;;#ASMEND
	;;#ASMSTART
	v_cvt_f32_f16 v25, v25;
	;;#ASMEND
	;; [unrolled: 3-line block ×4, first 2 shown]
	v_dual_fmac_f32 v77, v26, v27 :: v_dual_fmac_f32 v76, v25, v29
	v_lshrrev_b32_e32 v25, 16, v32
	v_and_b32_e32 v26, 0xffff, v32
	v_lshrrev_b32_e32 v27, 16, v28
	v_and_b32_e32 v28, 0xffff, v28
	;;#ASMSTART
	v_cvt_f32_f16 v26, v26;
	;;#ASMEND
	;;#ASMSTART
	v_cvt_f32_f16 v25, v25;
	;;#ASMEND
	;; [unrolled: 3-line block ×4, first 2 shown]
	v_dual_fmac_f32 v79, v26, v28 :: v_dual_fmac_f32 v78, v25, v27
	ds_load_b128 v[25:28], v64 offset:144
	s_waitcnt vmcnt(5)
	v_lshrrev_b32_e32 v30, 16, v21
	v_and_b32_e32 v21, 0xffff, v21
	s_waitcnt lgkmcnt(0)
	v_lshrrev_b32_e32 v29, 16, v25
	v_and_b32_e32 v25, 0xffff, v25
	;;#ASMSTART
	v_cvt_f32_f16 v25, v25;
	;;#ASMEND
	;;#ASMSTART
	v_cvt_f32_f16 v29, v29;
	;;#ASMEND
	;; [unrolled: 3-line block ×3, first 2 shown]
	s_delay_alu instid0(VALU_DEP_1)
	v_fmac_f32_e32 v72, v25, v21
	v_lshrrev_b32_e32 v21, 16, v26
	v_and_b32_e32 v25, 0xffff, v26
	v_lshrrev_b32_e32 v26, 16, v22
	v_and_b32_e32 v22, 0xffff, v22
	;;#ASMSTART
	v_cvt_f32_f16 v30, v30;
	;;#ASMEND
	;;#ASMSTART
	v_cvt_f32_f16 v25, v25;
	;;#ASMEND
	;; [unrolled: 3-line block ×4, first 2 shown]
	v_fmac_f32_e32 v73, v29, v30
	;;#ASMSTART
	v_cvt_f32_f16 v26, v26;
	;;#ASMEND
	v_fmac_f32_e32 v75, v25, v22
	v_fmac_f32_e32 v74, v21, v26
	v_lshrrev_b32_e32 v21, 16, v27
	v_and_b32_e32 v22, 0xffff, v27
	v_lshrrev_b32_e32 v25, 16, v23
	v_and_b32_e32 v23, 0xffff, v23
	;;#ASMSTART
	v_cvt_f32_f16 v22, v22;
	;;#ASMEND
	;;#ASMSTART
	v_cvt_f32_f16 v21, v21;
	;;#ASMEND
	;; [unrolled: 3-line block ×4, first 2 shown]
	v_dual_fmac_f32 v77, v22, v23 :: v_dual_fmac_f32 v76, v21, v25
	v_lshrrev_b32_e32 v21, 16, v28
	v_and_b32_e32 v22, 0xffff, v28
	v_lshrrev_b32_e32 v23, 16, v24
	v_and_b32_e32 v24, 0xffff, v24
	;;#ASMSTART
	v_cvt_f32_f16 v22, v22;
	;;#ASMEND
	;;#ASMSTART
	v_cvt_f32_f16 v21, v21;
	;;#ASMEND
	;; [unrolled: 3-line block ×4, first 2 shown]
	v_dual_fmac_f32 v79, v22, v24 :: v_dual_fmac_f32 v78, v21, v23
	ds_load_b128 v[21:24], v64 offset:160
	s_waitcnt vmcnt(4)
	v_lshrrev_b32_e32 v26, 16, v17
	v_and_b32_e32 v17, 0xffff, v17
	s_waitcnt lgkmcnt(0)
	v_lshrrev_b32_e32 v25, 16, v21
	v_and_b32_e32 v21, 0xffff, v21
	;;#ASMSTART
	v_cvt_f32_f16 v21, v21;
	;;#ASMEND
	;;#ASMSTART
	v_cvt_f32_f16 v25, v25;
	;;#ASMEND
	;; [unrolled: 3-line block ×3, first 2 shown]
	s_delay_alu instid0(VALU_DEP_1)
	v_fmac_f32_e32 v72, v21, v17
	v_lshrrev_b32_e32 v17, 16, v22
	v_and_b32_e32 v21, 0xffff, v22
	v_lshrrev_b32_e32 v22, 16, v18
	v_and_b32_e32 v18, 0xffff, v18
	;;#ASMSTART
	v_cvt_f32_f16 v26, v26;
	;;#ASMEND
	;;#ASMSTART
	v_cvt_f32_f16 v21, v21;
	;;#ASMEND
	;; [unrolled: 3-line block ×4, first 2 shown]
	v_fmac_f32_e32 v73, v25, v26
	;;#ASMSTART
	v_cvt_f32_f16 v22, v22;
	;;#ASMEND
	v_fmac_f32_e32 v75, v21, v18
	v_fmac_f32_e32 v74, v17, v22
	v_lshrrev_b32_e32 v17, 16, v23
	v_and_b32_e32 v18, 0xffff, v23
	v_lshrrev_b32_e32 v21, 16, v19
	v_and_b32_e32 v19, 0xffff, v19
	;;#ASMSTART
	v_cvt_f32_f16 v18, v18;
	;;#ASMEND
	;;#ASMSTART
	v_cvt_f32_f16 v17, v17;
	;;#ASMEND
	;; [unrolled: 3-line block ×4, first 2 shown]
	v_dual_fmac_f32 v77, v18, v19 :: v_dual_fmac_f32 v76, v17, v21
	v_lshrrev_b32_e32 v17, 16, v24
	v_and_b32_e32 v18, 0xffff, v24
	v_lshrrev_b32_e32 v19, 16, v20
	v_and_b32_e32 v20, 0xffff, v20
	;;#ASMSTART
	v_cvt_f32_f16 v18, v18;
	;;#ASMEND
	;;#ASMSTART
	v_cvt_f32_f16 v17, v17;
	;;#ASMEND
	;; [unrolled: 3-line block ×4, first 2 shown]
	v_dual_fmac_f32 v79, v18, v20 :: v_dual_fmac_f32 v78, v17, v19
	ds_load_b128 v[17:20], v64 offset:176
	s_waitcnt vmcnt(3)
	v_lshrrev_b32_e32 v22, 16, v13
	v_and_b32_e32 v13, 0xffff, v13
	s_waitcnt lgkmcnt(0)
	v_lshrrev_b32_e32 v21, 16, v17
	v_and_b32_e32 v17, 0xffff, v17
	;;#ASMSTART
	v_cvt_f32_f16 v17, v17;
	;;#ASMEND
	;;#ASMSTART
	v_cvt_f32_f16 v21, v21;
	;;#ASMEND
	;; [unrolled: 3-line block ×3, first 2 shown]
	s_delay_alu instid0(VALU_DEP_1)
	v_fmac_f32_e32 v72, v17, v13
	v_lshrrev_b32_e32 v13, 16, v18
	v_and_b32_e32 v17, 0xffff, v18
	v_lshrrev_b32_e32 v18, 16, v14
	v_and_b32_e32 v14, 0xffff, v14
	;;#ASMSTART
	v_cvt_f32_f16 v22, v22;
	;;#ASMEND
	;;#ASMSTART
	v_cvt_f32_f16 v17, v17;
	;;#ASMEND
	;; [unrolled: 3-line block ×4, first 2 shown]
	v_fmac_f32_e32 v73, v21, v22
	;;#ASMSTART
	v_cvt_f32_f16 v18, v18;
	;;#ASMEND
	v_fmac_f32_e32 v75, v17, v14
	v_fmac_f32_e32 v74, v13, v18
	v_lshrrev_b32_e32 v13, 16, v19
	v_and_b32_e32 v14, 0xffff, v19
	v_lshrrev_b32_e32 v17, 16, v15
	v_and_b32_e32 v15, 0xffff, v15
	;;#ASMSTART
	v_cvt_f32_f16 v14, v14;
	;;#ASMEND
	;;#ASMSTART
	v_cvt_f32_f16 v13, v13;
	;;#ASMEND
	;; [unrolled: 3-line block ×4, first 2 shown]
	v_dual_fmac_f32 v77, v14, v15 :: v_dual_fmac_f32 v76, v13, v17
	v_lshrrev_b32_e32 v13, 16, v20
	v_and_b32_e32 v14, 0xffff, v20
	v_lshrrev_b32_e32 v15, 16, v16
	v_and_b32_e32 v16, 0xffff, v16
	;;#ASMSTART
	v_cvt_f32_f16 v14, v14;
	;;#ASMEND
	;;#ASMSTART
	v_cvt_f32_f16 v13, v13;
	;;#ASMEND
	;; [unrolled: 3-line block ×4, first 2 shown]
	v_dual_fmac_f32 v79, v14, v16 :: v_dual_fmac_f32 v78, v13, v15
	ds_load_b128 v[13:16], v64 offset:192
	s_waitcnt vmcnt(2)
	v_lshrrev_b32_e32 v18, 16, v9
	v_and_b32_e32 v9, 0xffff, v9
	s_waitcnt lgkmcnt(0)
	v_lshrrev_b32_e32 v17, 16, v13
	v_and_b32_e32 v13, 0xffff, v13
	;;#ASMSTART
	v_cvt_f32_f16 v13, v13;
	;;#ASMEND
	;;#ASMSTART
	v_cvt_f32_f16 v17, v17;
	;;#ASMEND
	;; [unrolled: 3-line block ×3, first 2 shown]
	s_delay_alu instid0(VALU_DEP_1)
	v_fmac_f32_e32 v72, v13, v9
	v_lshrrev_b32_e32 v9, 16, v14
	v_and_b32_e32 v13, 0xffff, v14
	v_lshrrev_b32_e32 v14, 16, v10
	v_and_b32_e32 v10, 0xffff, v10
	;;#ASMSTART
	v_cvt_f32_f16 v18, v18;
	;;#ASMEND
	;;#ASMSTART
	v_cvt_f32_f16 v13, v13;
	;;#ASMEND
	;; [unrolled: 3-line block ×4, first 2 shown]
	v_fmac_f32_e32 v73, v17, v18
	;;#ASMSTART
	v_cvt_f32_f16 v14, v14;
	;;#ASMEND
	v_fmac_f32_e32 v75, v13, v10
	v_fmac_f32_e32 v74, v9, v14
	v_lshrrev_b32_e32 v9, 16, v15
	v_and_b32_e32 v10, 0xffff, v15
	v_lshrrev_b32_e32 v13, 16, v11
	v_and_b32_e32 v11, 0xffff, v11
	;;#ASMSTART
	v_cvt_f32_f16 v10, v10;
	;;#ASMEND
	;;#ASMSTART
	v_cvt_f32_f16 v9, v9;
	;;#ASMEND
	;;#ASMSTART
	v_cvt_f32_f16 v11, v11;
	;;#ASMEND
	;;#ASMSTART
	v_cvt_f32_f16 v13, v13;
	;;#ASMEND
	v_dual_fmac_f32 v77, v10, v11 :: v_dual_fmac_f32 v76, v9, v13
	v_lshrrev_b32_e32 v9, 16, v16
	v_and_b32_e32 v10, 0xffff, v16
	v_lshrrev_b32_e32 v11, 16, v12
	v_and_b32_e32 v12, 0xffff, v12
	;;#ASMSTART
	v_cvt_f32_f16 v10, v10;
	;;#ASMEND
	;;#ASMSTART
	v_cvt_f32_f16 v9, v9;
	;;#ASMEND
	;; [unrolled: 3-line block ×4, first 2 shown]
	v_dual_fmac_f32 v79, v10, v12 :: v_dual_fmac_f32 v78, v9, v11
	ds_load_b128 v[9:12], v64 offset:208
	s_waitcnt vmcnt(1)
	v_lshrrev_b32_e32 v14, 16, v5
	v_and_b32_e32 v5, 0xffff, v5
	s_waitcnt lgkmcnt(0)
	v_lshrrev_b32_e32 v13, 16, v9
	v_and_b32_e32 v9, 0xffff, v9
	;;#ASMSTART
	v_cvt_f32_f16 v9, v9;
	;;#ASMEND
	;;#ASMSTART
	v_cvt_f32_f16 v13, v13;
	;;#ASMEND
	;; [unrolled: 3-line block ×3, first 2 shown]
	s_delay_alu instid0(VALU_DEP_1)
	v_fmac_f32_e32 v72, v9, v5
	v_lshrrev_b32_e32 v5, 16, v10
	v_and_b32_e32 v9, 0xffff, v10
	v_lshrrev_b32_e32 v10, 16, v6
	v_and_b32_e32 v6, 0xffff, v6
	;;#ASMSTART
	v_cvt_f32_f16 v14, v14;
	;;#ASMEND
	;;#ASMSTART
	v_cvt_f32_f16 v9, v9;
	;;#ASMEND
	;; [unrolled: 3-line block ×4, first 2 shown]
	v_fmac_f32_e32 v73, v13, v14
	;;#ASMSTART
	v_cvt_f32_f16 v10, v10;
	;;#ASMEND
	v_fmac_f32_e32 v75, v9, v6
	v_fmac_f32_e32 v74, v5, v10
	v_lshrrev_b32_e32 v5, 16, v11
	v_and_b32_e32 v6, 0xffff, v11
	v_lshrrev_b32_e32 v9, 16, v7
	v_and_b32_e32 v7, 0xffff, v7
	;;#ASMSTART
	v_cvt_f32_f16 v6, v6;
	;;#ASMEND
	;;#ASMSTART
	v_cvt_f32_f16 v5, v5;
	;;#ASMEND
	;;#ASMSTART
	v_cvt_f32_f16 v7, v7;
	;;#ASMEND
	;;#ASMSTART
	v_cvt_f32_f16 v9, v9;
	;;#ASMEND
	v_dual_fmac_f32 v77, v6, v7 :: v_dual_fmac_f32 v76, v5, v9
	v_lshrrev_b32_e32 v5, 16, v12
	v_and_b32_e32 v6, 0xffff, v12
	v_lshrrev_b32_e32 v7, 16, v8
	v_and_b32_e32 v8, 0xffff, v8
	;;#ASMSTART
	v_cvt_f32_f16 v6, v6;
	;;#ASMEND
	;;#ASMSTART
	v_cvt_f32_f16 v5, v5;
	;;#ASMEND
	;; [unrolled: 3-line block ×4, first 2 shown]
	v_dual_fmac_f32 v79, v6, v8 :: v_dual_fmac_f32 v78, v5, v7
	ds_load_b128 v[5:8], v64 offset:224
	s_waitcnt vmcnt(0)
	v_lshrrev_b32_e32 v10, 16, v1
	v_and_b32_e32 v1, 0xffff, v1
	s_waitcnt lgkmcnt(0)
	v_lshrrev_b32_e32 v9, 16, v5
	v_and_b32_e32 v5, 0xffff, v5
	;;#ASMSTART
	v_cvt_f32_f16 v5, v5;
	;;#ASMEND
	;;#ASMSTART
	v_cvt_f32_f16 v9, v9;
	;;#ASMEND
	;;#ASMSTART
	v_cvt_f32_f16 v1, v1;
	;;#ASMEND
	s_delay_alu instid0(VALU_DEP_1)
	v_fmac_f32_e32 v72, v5, v1
	v_lshrrev_b32_e32 v1, 16, v6
	v_and_b32_e32 v5, 0xffff, v6
	v_lshrrev_b32_e32 v6, 16, v2
	v_and_b32_e32 v2, 0xffff, v2
	;;#ASMSTART
	v_cvt_f32_f16 v10, v10;
	;;#ASMEND
	v_fmac_f32_e32 v73, v9, v10
	;;#ASMSTART
	v_cvt_f32_f16 v5, v5;
	;;#ASMEND
	;;#ASMSTART
	v_cvt_f32_f16 v1, v1;
	;;#ASMEND
	;; [unrolled: 3-line block ×4, first 2 shown]
	v_fmac_f32_e32 v75, v5, v2
	v_fmac_f32_e32 v74, v1, v6
	v_lshrrev_b32_e32 v1, 16, v7
	v_and_b32_e32 v2, 0xffff, v7
	;;#ASMSTART
	v_cvt_f32_f16 v2, v2;
	;;#ASMEND
	;;#ASMSTART
	v_cvt_f32_f16 v1, v1;
	;;#ASMEND
	v_lshrrev_b32_e32 v5, 16, v3
	v_and_b32_e32 v3, 0xffff, v3
	;;#ASMSTART
	v_cvt_f32_f16 v3, v3;
	;;#ASMEND
	;;#ASMSTART
	v_cvt_f32_f16 v5, v5;
	;;#ASMEND
	s_delay_alu instid0(VALU_DEP_1)
	v_dual_fmac_f32 v77, v2, v3 :: v_dual_fmac_f32 v76, v1, v5
	v_lshrrev_b32_e32 v1, 16, v8
	v_and_b32_e32 v2, 0xffff, v8
	;;#ASMSTART
	v_cvt_f32_f16 v2, v2;
	;;#ASMEND
	;;#ASMSTART
	v_cvt_f32_f16 v1, v1;
	;;#ASMEND
	v_lshrrev_b32_e32 v3, 16, v4
	v_and_b32_e32 v4, 0xffff, v4
	;;#ASMSTART
	v_cvt_f32_f16 v4, v4;
	;;#ASMEND
	;;#ASMSTART
	v_cvt_f32_f16 v3, v3;
	;;#ASMEND
	s_delay_alu instid0(VALU_DEP_2) | instskip(NEXT) | instid1(VALU_DEP_2)
	v_dual_fmac_f32 v78, v1, v3 :: v_dual_add_f32 v1, v72, v73
	v_fmac_f32_e32 v79, v2, v4
	s_delay_alu instid0(VALU_DEP_2) | instskip(NEXT) | instid1(VALU_DEP_1)
	v_add_f32_e32 v1, v1, v75
	v_add_f32_e32 v1, v74, v1
	s_delay_alu instid0(VALU_DEP_1) | instskip(NEXT) | instid1(VALU_DEP_1)
	v_add_f32_e32 v1, v1, v77
	v_add_f32_e32 v1, v76, v1
	s_delay_alu instid0(VALU_DEP_1) | instskip(NEXT) | instid1(VALU_DEP_1)
	;; [unrolled: 3-line block ×3, first 2 shown]
	v_fmac_f32_e32 v71, s3, v1
	v_cndmask_b32_e64 v1, 0, v71, s0
	ds_store_b32 v66, v1
	v_max_f32_e32 v1, v61, v61
	s_delay_alu instid0(VALU_DEP_1) | instskip(NEXT) | instid1(VALU_DEP_1)
	v_max_f32_e32 v1, v1, v71
	v_cndmask_b32_e64 v61, v61, v1, s0
	s_branch .LBB115_11
.LBB115_16:
	s_or_b32 exec_lo, exec_lo, s41
.LBB115_17:
	s_delay_alu instid0(SALU_CYCLE_1) | instskip(SKIP_2) | instid1(VALU_DEP_2)
	s_or_b32 exec_lo, exec_lo, s39
	v_mbcnt_lo_u32_b32 v1, -1, 0
	v_max_f32_e32 v5, v61, v61
	v_xor_b32_e32 v2, 16, v1
	v_xor_b32_e32 v4, 8, v1
	s_delay_alu instid0(VALU_DEP_2) | instskip(SKIP_1) | instid1(VALU_DEP_3)
	v_cmp_gt_i32_e32 vcc_lo, 32, v2
	v_cndmask_b32_e32 v2, v1, v2, vcc_lo
	v_cmp_gt_i32_e32 vcc_lo, 32, v4
	s_delay_alu instid0(VALU_DEP_2) | instskip(SKIP_4) | instid1(VALU_DEP_1)
	v_lshlrev_b32_e32 v2, 2, v2
	v_cndmask_b32_e32 v4, v1, v4, vcc_lo
	ds_bpermute_b32 v3, v2, v61
	s_waitcnt lgkmcnt(0)
	v_dual_max_f32 v6, v3, v3 :: v_dual_lshlrev_b32 v3, 2, v4
	v_max_f32_e32 v4, v5, v6
	v_xor_b32_e32 v6, 4, v1
	ds_bpermute_b32 v5, v3, v4
	v_cmp_gt_i32_e32 vcc_lo, 32, v6
	v_cndmask_b32_e32 v6, v1, v6, vcc_lo
	s_waitcnt lgkmcnt(0)
	v_max_f32_e32 v7, v5, v5
	s_delay_alu instid0(VALU_DEP_1)
	v_dual_max_f32 v4, v4, v7 :: v_dual_lshlrev_b32 v5, 2, v6
	v_xor_b32_e32 v7, 2, v1
	ds_bpermute_b32 v6, v5, v4
	v_cmp_gt_i32_e32 vcc_lo, 32, v7
	s_waitcnt lgkmcnt(0)
	v_dual_cndmask_b32 v7, v1, v7 :: v_dual_max_f32 v6, v6, v6
	s_delay_alu instid0(VALU_DEP_1) | instskip(NEXT) | instid1(VALU_DEP_2)
	v_max_f32_e32 v4, v4, v6
	v_lshlrev_b32_e32 v10, 2, v7
	v_xor_b32_e32 v7, 1, v1
	s_delay_alu instid0(VALU_DEP_1)
	v_cmp_gt_i32_e32 vcc_lo, 32, v7
	v_cndmask_b32_e32 v7, v1, v7, vcc_lo
	ds_bpermute_b32 v6, v10, v4
	v_cmp_eq_u32_e32 vcc_lo, 0, v58
	s_waitcnt lgkmcnt(0)
	v_dual_max_f32 v6, v6, v6 :: v_dual_lshlrev_b32 v9, 2, v7
	s_delay_alu instid0(VALU_DEP_1)
	v_dual_max_f32 v1, v4, v6 :: v_dual_lshlrev_b32 v6, 2, v57
	ds_bpermute_b32 v4, v9, v1
	s_and_saveexec_b32 s0, vcc_lo
	s_cbranch_execz .LBB115_19
; %bb.18:
	s_waitcnt lgkmcnt(0)
	v_dual_max_f32 v4, v4, v4 :: v_dual_max_f32 v1, v1, v1
	s_delay_alu instid0(VALU_DEP_1)
	v_max_f32_e32 v1, v1, v4
	ds_store_b32 v6, v1 offset:240
.LBB115_19:
	s_or_b32 exec_lo, exec_lo, s0
	v_cmp_gt_u32_e64 s0, 4, v58
	v_mov_b32_e32 v1, 0xff7fffff
	s_waitcnt lgkmcnt(0)
	s_barrier
	buffer_gl0_inv
	s_and_saveexec_b32 s1, s0
	s_cbranch_execz .LBB115_21
; %bb.20:
	ds_load_b32 v1, v60 offset:240
.LBB115_21:
	s_or_b32 exec_lo, exec_lo, s1
	s_waitcnt lgkmcnt(0)
	ds_bpermute_b32 v4, v10, v1
	v_max_f32_e32 v1, v1, v1
	s_sub_i32 s1, s8, s38
	v_mov_b32_e32 v7, 0
	s_lshl_b32 s1, s1, 5
	s_delay_alu instid0(SALU_CYCLE_1) | instskip(NEXT) | instid1(SALU_CYCLE_1)
	s_add_i32 s1, s1, s15
	s_min_i32 s1, s1, s33
	s_delay_alu instid0(SALU_CYCLE_1) | instskip(NEXT) | instid1(SALU_CYCLE_1)
	s_sub_i32 s7, s1, s15
	v_cmp_gt_i32_e64 s1, s7, v0
	s_waitcnt lgkmcnt(0)
	v_max_f32_e32 v4, v4, v4
	s_delay_alu instid0(VALU_DEP_1) | instskip(SKIP_3) | instid1(VALU_DEP_1)
	v_max_f32_e32 v1, v1, v4
	ds_bpermute_b32 v4, v9, v1
	s_waitcnt lgkmcnt(0)
	v_max_f32_e32 v4, v4, v4
	v_max_f32_e32 v1, v1, v4
	v_lshl_add_u32 v4, v0, 2, 0x110
	ds_bpermute_b32 v1, v7, v1
	s_and_saveexec_b32 s15, s1
	s_cbranch_execz .LBB115_25
; %bb.22:
	v_lshl_add_u32 v8, v0, 2, 0x110
	v_mov_b32_e32 v7, 0
	v_mov_b32_e32 v11, v0
	s_mov_b32 s37, 0
	.p2align	6
.LBB115_23:                             ; =>This Inner Loop Header: Depth=1
	ds_load_b32 v12, v8
	v_add_nc_u32_e32 v11, 0x80, v11
	s_delay_alu instid0(VALU_DEP_1) | instskip(NEXT) | instid1(VALU_DEP_1)
	v_cmp_le_i32_e64 s3, s7, v11
	s_or_b32 s37, s3, s37
	s_waitcnt lgkmcnt(0)
	v_sub_f32_e32 v12, v12, v1
	s_delay_alu instid0(VALU_DEP_1) | instskip(NEXT) | instid1(VALU_DEP_1)
	v_mul_f32_e32 v12, 0x3fb8aa3b, v12
	v_exp_f32_e32 v12, v12
	ds_store_b32 v8, v12
	v_add_f32_e32 v7, v7, v12
	v_add_nc_u32_e32 v8, 0x200, v8
	s_and_not1_b32 exec_lo, exec_lo, s37
	s_cbranch_execnz .LBB115_23
; %bb.24:
	s_or_b32 exec_lo, exec_lo, s37
.LBB115_25:
	s_delay_alu instid0(SALU_CYCLE_1)
	s_or_b32 exec_lo, exec_lo, s15
	ds_bpermute_b32 v2, v2, v7
	s_waitcnt lgkmcnt(0)
	v_add_f32_e32 v2, v7, v2
	ds_bpermute_b32 v3, v3, v2
	s_waitcnt lgkmcnt(0)
	v_add_f32_e32 v2, v2, v3
	;; [unrolled: 3-line block ×5, first 2 shown]
	s_and_saveexec_b32 s3, vcc_lo
	s_cbranch_execz .LBB115_27
; %bb.26:
	ds_store_b32 v6, v2 offset:256
.LBB115_27:
	s_or_b32 exec_lo, exec_lo, s3
	s_waitcnt lgkmcnt(0)
	s_barrier
	buffer_gl0_inv
	s_and_saveexec_b32 s3, s0
	s_cbranch_execz .LBB115_29
; %bb.28:
	ds_load_b32 v2, v60 offset:256
.LBB115_29:
	s_or_b32 exec_lo, exec_lo, s3
	s_waitcnt lgkmcnt(0)
	ds_bpermute_b32 v3, v10, v2
	s_waitcnt lgkmcnt(0)
	v_add_f32_e32 v2, v2, v3
	ds_bpermute_b32 v3, v9, v2
	s_waitcnt lgkmcnt(0)
	v_dual_add_f32 v2, v2, v3 :: v_dual_mov_b32 v3, 0
	ds_bpermute_b32 v2, v3, v2
	s_and_saveexec_b32 s0, s1
	s_cbranch_execz .LBB115_32
; %bb.30:
	s_waitcnt lgkmcnt(0)
	v_add_f32_e32 v3, 0x358637bd, v2
	s_mov_b32 s1, 0
	s_delay_alu instid0(VALU_DEP_1) | instskip(SKIP_1) | instid1(VALU_DEP_2)
	v_div_scale_f32 v5, null, v3, v3, 1.0
	v_div_scale_f32 v8, vcc_lo, 1.0, v3, 1.0
	v_rcp_f32_e32 v6, v5
	s_waitcnt_depctr 0xfff
	v_fma_f32 v7, -v5, v6, 1.0
	s_delay_alu instid0(VALU_DEP_1) | instskip(NEXT) | instid1(VALU_DEP_1)
	v_fmac_f32_e32 v6, v7, v6
	v_mul_f32_e32 v7, v8, v6
	s_delay_alu instid0(VALU_DEP_1) | instskip(NEXT) | instid1(VALU_DEP_1)
	v_fma_f32 v11, -v5, v7, v8
	v_fmac_f32_e32 v7, v11, v6
	s_delay_alu instid0(VALU_DEP_1) | instskip(NEXT) | instid1(VALU_DEP_1)
	v_fma_f32 v5, -v5, v7, v8
	v_div_fmas_f32 v5, v5, v6, v7
	s_delay_alu instid0(VALU_DEP_1)
	v_div_fixup_f32 v3, v5, v3, 1.0
	v_mov_b32_e32 v5, v0
.LBB115_31:                             ; =>This Inner Loop Header: Depth=1
	ds_load_b32 v6, v4
	s_waitcnt lgkmcnt(0)
	v_dual_mul_f32 v6, v3, v6 :: v_dual_add_nc_u32 v5, 0x80, v5
	s_delay_alu instid0(VALU_DEP_1) | instskip(SKIP_3) | instid1(SALU_CYCLE_1)
	v_cmp_le_i32_e32 vcc_lo, s7, v5
	ds_store_b32 v4, v6
	v_add_nc_u32_e32 v4, 0x200, v4
	s_or_b32 s1, vcc_lo, s1
	s_and_not1_b32 exec_lo, exec_lo, s1
	s_cbranch_execnz .LBB115_31
.LBB115_32:
	s_or_b32 exec_lo, exec_lo, s0
	s_mul_i32 s0, s4, s14
	s_waitcnt lgkmcnt(0)
	s_mul_i32 s14, s0, s13
	s_mov_b32 s0, exec_lo
	s_barrier
	buffer_gl0_inv
	v_cmpx_eq_u32_e32 0, v0
	s_cbranch_execz .LBB115_34
; %bb.33:
	s_ashr_i32 s15, s14, 31
	s_mul_i32 s40, s4, s24
	s_lshl_b64 s[38:39], s[14:15], 2
	v_mov_b32_e32 v3, 0
	s_add_u32 s1, s18, s38
	s_addc_u32 s3, s19, s39
	s_ashr_i32 s41, s40, 31
	s_delay_alu instid0(SALU_CYCLE_1) | instskip(NEXT) | instid1(SALU_CYCLE_1)
	s_lshl_b64 s[18:19], s[40:41], 2
	s_add_u32 s1, s1, s18
	s_addc_u32 s3, s3, s19
	s_ashr_i32 s13, s12, 31
	s_delay_alu instid0(SALU_CYCLE_1) | instskip(NEXT) | instid1(SALU_CYCLE_1)
	s_lshl_b64 s[40:41], s[12:13], 2
	s_add_u32 s42, s1, s40
	s_addc_u32 s43, s3, s41
	s_add_u32 s1, s16, s38
	s_addc_u32 s3, s17, s39
	;; [unrolled: 2-line block ×4, first 2 shown]
	s_clause 0x1
	global_store_b32 v3, v1, s[42:43]
	global_store_b32 v3, v2, s[16:17]
.LBB115_34:
	s_or_b32 exec_lo, exec_lo, s0
	v_dual_mov_b32 v25, 0 :: v_dual_mov_b32 v26, 0
	v_dual_mov_b32 v24, 0 :: v_dual_and_b32 v11, 3, v0
	v_dual_mov_b32 v23, 0 :: v_dual_mov_b32 v22, 0
	v_dual_mov_b32 v21, 0 :: v_dual_mov_b32 v20, 0
	;; [unrolled: 1-line block ×6, first 2 shown]
	s_mov_b32 s3, 0
	s_and_saveexec_b32 s1, s2
	s_cbranch_execz .LBB115_70
; %bb.35:
	s_ashr_i32 s7, s6, 31
	s_sub_i32 s2, s36, s9
	s_lshl_b64 s[6:7], s[6:7], 1
	v_dual_mov_b32 v12, 0 :: v_dual_lshlrev_b32 v3, 3, v0
	s_add_u32 s6, s30, s6
	s_addc_u32 s7, s31, s7
	s_abs_i32 s9, s10
	s_delay_alu instid0(VALU_DEP_1)
	v_and_b32_e32 v27, 24, v3
	v_cvt_f32_u32_e32 v1, s9
	v_and_b32_e32 v3, 0xf8, v3
	s_sub_i32 s0, 0, s9
	s_lshl_b64 s[18:19], s[28:29], 2
	s_add_i32 s35, s35, -1
	v_rcp_iflag_f32_e32 v4, v1
	v_lshlrev_b32_e32 v5, 5, v11
	v_or_b32_e32 v16, 0xd00, v3
	v_lshlrev_b64 v[1:2], 2, v[53:54]
	s_add_u32 s17, s26, s18
	s_addc_u32 s18, s27, s19
	s_delay_alu instid0(VALU_DEP_2) | instskip(SKIP_2) | instid1(TRANS32_DEP_1)
	v_dual_mov_b32 v18, 0 :: v_dual_lshlrev_b32 v35, 1, v16
	v_mov_b32_e32 v24, 0
	v_mov_b32_e32 v16, 0
	v_mul_f32_e32 v4, 0x4f7ffffe, v4
	v_or_b32_e32 v7, 0x800, v3
	v_or_b32_e32 v8, 0x900, v3
	;; [unrolled: 1-line block ×4, first 2 shown]
	v_cvt_u32_f32_e32 v4, v4
	v_or_b32_e32 v15, 0xc00, v3
	v_or_b32_e32 v17, 0xe00, v3
	v_lshlrev_b32_e32 v29, 1, v3
	v_lshl_or_b32 v5, v57, 7, v5
	v_mul_lo_u32 v6, s0, v4
	v_lshlrev_b32_e32 v30, 1, v7
	v_dual_mov_b32 v20, 0 :: v_dual_lshlrev_b32 v31, 1, v8
	s_delay_alu instid0(VALU_DEP_4)
	v_add_nc_u32_e32 v28, 0x110, v5
	v_add_co_u32 v5, vcc_lo, s17, v1
	v_lshlrev_b32_e32 v32, 1, v13
	v_mul_hi_u32 v3, v4, v6
	v_add_co_ci_u32_e32 v6, vcc_lo, s18, v2, vcc_lo
	v_dual_mov_b32 v22, 0 :: v_dual_lshlrev_b32 v33, 1, v14
	v_dual_mov_b32 v19, 0 :: v_dual_lshlrev_b32 v34, 1, v15
	;; [unrolled: 1-line block ×3, first 2 shown]
	v_dual_mov_b32 v21, 0 :: v_dual_add_nc_u32 v36, v4, v3
	v_dual_mov_b32 v13, 0 :: v_dual_mov_b32 v14, 0
	v_mov_b32_e32 v15, 0
	v_mov_b32_e32 v17, 0
	;; [unrolled: 1-line block ×4, first 2 shown]
	s_mov_b32 s10, s33
	s_mov_b32 s13, s33
	;; [unrolled: 1-line block ×7, first 2 shown]
	s_branch .LBB115_38
.LBB115_36:                             ;   in Loop: Header=BB115_38 Depth=1
	s_or_b32 exec_lo, exec_lo, s0
	v_dual_add_f32 v38, v52, v54 :: v_dual_add_f32 v39, v78, v79
	v_dual_add_f32 v40, v76, v77 :: v_dual_add_f32 v41, v74, v75
	v_add_f32_e32 v47, v72, v73
	s_delay_alu instid0(VALU_DEP_3) | instskip(NEXT) | instid1(VALU_DEP_3)
	v_dual_add_f32 v13, v13, v38 :: v_dual_add_f32 v38, v70, v71
	v_add_f32_e32 v15, v15, v40
	v_dual_add_f32 v7, v7, v8 :: v_dual_add_f32 v40, v64, v65
	s_waitcnt vmcnt(0)
	;;#ASMSTART
	v_pk_mul_f16 v1, v48, v1;

	;;#ASMEND
	v_add_f32_e32 v14, v14, v39
	v_dual_add_f32 v17, v17, v47 :: v_dual_add_f32 v8, v68, v69
	;;#ASMSTART
	v_pk_mul_f16 v2, v46, v2;

	;;#ASMEND
	;;#ASMSTART
	v_pk_mul_f16 v3, v45, v3;

	;;#ASMEND
	;; [unrolled: 4-line block ×3, first 2 shown]
	;;#ASMSTART
	v_pk_add_f16 v1, v1, v2;

	;;#ASMEND
	;;#ASMSTART
	v_pk_add_f16 v1, v1, v3;

	;;#ASMEND
	;; [unrolled: 4-line block ×3, first 2 shown]
	v_dual_add_f32 v18, v18, v38 :: v_dual_add_f32 v19, v19, v7
	v_dual_add_f32 v7, v62, v63 :: v_dual_and_b32 v2, 0xffff, v1
	v_lshrrev_b32_e32 v1, 16, v1
	;;#ASMSTART
	v_cvt_f32_f16 v2, v2;
	;;#ASMEND
	;;#ASMSTART
	v_cvt_f32_f16 v1, v1;
	;;#ASMEND
	v_dual_add_f32 v39, v66, v67 :: v_dual_add_f32 v20, v20, v8
	v_dual_add_f32 v3, v60, v61 :: v_dual_add_f32 v4, v55, v56
	;; [unrolled: 1-line block ×3, first 2 shown]
	s_delay_alu instid0(VALU_DEP_2) | instskip(NEXT) | instid1(VALU_DEP_4)
	v_dual_add_f32 v1, v2, v1 :: v_dual_add_f32 v24, v24, v3
	v_dual_add_f32 v16, v16, v41 :: v_dual_add_f32 v21, v21, v39
	v_add_f32_e32 v22, v22, v40
	v_add_f32_e32 v26, v26, v4
	s_delay_alu instid0(VALU_DEP_4)
	v_dual_add_f32 v25, v25, v8 :: v_dual_add_f32 v12, v12, v1
.LBB115_37:                             ;   in Loop: Header=BB115_38 Depth=1
	s_or_b32 exec_lo, exec_lo, s24
	v_add_nc_u32_e32 v53, 4, v53
	v_add_co_u32 v5, s0, v5, 16
	s_delay_alu instid0(VALU_DEP_1) | instskip(NEXT) | instid1(VALU_DEP_3)
	v_add_co_ci_u32_e64 v6, s0, 0, v6, s0
	v_cmp_le_i32_e32 vcc_lo, s8, v53
	v_add_nc_u32_e32 v59, 0x80, v59
	v_add_nc_u32_e32 v28, 0x200, v28
	s_or_b32 s3, vcc_lo, s3
	s_delay_alu instid0(SALU_CYCLE_1)
	s_and_not1_b32 exec_lo, exec_lo, s3
	s_cbranch_execz .LBB115_69
.LBB115_38:                             ; =>This Inner Loop Header: Depth=1
	v_sub_nc_u32_e32 v1, 0, v59
	s_delay_alu instid0(VALU_DEP_1) | instskip(NEXT) | instid1(VALU_DEP_1)
	v_max_i32_e32 v1, v59, v1
	v_mul_hi_u32 v2, v1, s25
	s_delay_alu instid0(VALU_DEP_1) | instskip(NEXT) | instid1(VALU_DEP_1)
	v_mul_lo_u32 v3, v2, s21
	v_sub_nc_u32_e32 v1, v1, v3
	v_add_nc_u32_e32 v3, 1, v2
	s_delay_alu instid0(VALU_DEP_2) | instskip(SKIP_1) | instid1(VALU_DEP_2)
	v_subrev_nc_u32_e32 v4, s21, v1
	v_cmp_le_u32_e32 vcc_lo, s21, v1
	v_dual_cndmask_b32 v2, v2, v3 :: v_dual_cndmask_b32 v1, v1, v4
	v_ashrrev_i32_e32 v3, 31, v59
	s_delay_alu instid0(VALU_DEP_2) | instskip(NEXT) | instid1(VALU_DEP_3)
	v_add_nc_u32_e32 v4, 1, v2
	v_cmp_le_u32_e32 vcc_lo, s21, v1
	s_delay_alu instid0(VALU_DEP_3) | instskip(NEXT) | instid1(VALU_DEP_3)
	v_xor_b32_e32 v3, s11, v3
	v_cndmask_b32_e32 v1, v2, v4, vcc_lo
	s_delay_alu instid0(VALU_DEP_1) | instskip(NEXT) | instid1(VALU_DEP_1)
	v_xor_b32_e32 v1, v1, v3
	v_sub_nc_u32_e32 v1, v1, v3
	s_delay_alu instid0(VALU_DEP_1) | instskip(SKIP_1) | instid1(VALU_DEP_2)
	v_add_nc_u32_e32 v2, s34, v1
	v_cmp_lt_i32_e64 s0, s2, v1
	v_sub_nc_u32_e32 v3, 0, v2
	s_delay_alu instid0(VALU_DEP_1) | instskip(NEXT) | instid1(VALU_DEP_1)
	v_max_i32_e32 v3, v2, v3
	v_mul_hi_u32 v4, v3, v36
	s_delay_alu instid0(VALU_DEP_1) | instskip(NEXT) | instid1(VALU_DEP_1)
	v_mul_lo_u32 v4, v4, s9
	v_sub_nc_u32_e32 v3, v3, v4
	s_delay_alu instid0(VALU_DEP_1) | instskip(SKIP_1) | instid1(VALU_DEP_2)
	v_subrev_nc_u32_e32 v4, s9, v3
	v_cmp_le_u32_e32 vcc_lo, s9, v3
	v_cndmask_b32_e32 v3, v3, v4, vcc_lo
	v_ashrrev_i32_e32 v2, 31, v2
	s_delay_alu instid0(VALU_DEP_2) | instskip(SKIP_1) | instid1(VALU_DEP_2)
	v_subrev_nc_u32_e32 v4, s9, v3
	v_cmp_le_u32_e32 vcc_lo, s9, v3
	v_cndmask_b32_e32 v3, v3, v4, vcc_lo
	s_delay_alu instid0(VALU_DEP_1) | instskip(NEXT) | instid1(VALU_DEP_1)
	v_xor_b32_e32 v3, v3, v2
	v_sub_nc_u32_e32 v2, v3, v2
	s_delay_alu instid0(VALU_DEP_1) | instskip(SKIP_1) | instid1(SALU_CYCLE_1)
	v_cmp_eq_u32_e32 vcc_lo, 0, v2
	s_or_b32 s0, vcc_lo, s0
	s_and_saveexec_b32 s24, s0
	s_cbranch_execz .LBB115_37
; %bb.39:                               ;   in Loop: Header=BB115_38 Depth=1
	global_load_b32 v38, v[5:6], off
	ds_load_2addr_b64 v[1:4], v28 offset1:1
	s_waitcnt vmcnt(0)
	v_mad_i64_i32 v[7:8], null, v38, s5, 0
	ds_load_2addr_b64 v[38:41], v28 offset0:2 offset1:3
	s_waitcnt lgkmcnt(1)
	;;#ASMSTART
	v_cvt_f16_f32 v44, v1;

	;;#ASMEND
	;;#ASMSTART
	v_cvt_f16_f32 v42, v2;

	;;#ASMEND
	;; [unrolled: 4-line block ×4, first 2 shown]
	s_waitcnt lgkmcnt(0)
	;;#ASMSTART
	v_cvt_f16_f32 v46, v38;

	;;#ASMEND
	v_lshlrev_b64 v[7:8], 1, v[7:8]
	;;#ASMSTART
	v_cvt_f16_f32 v55, v39;

	;;#ASMEND
	;;#ASMSTART
	v_cvt_f16_f32 v48, v40;

	;;#ASMEND
	;;#ASMSTART
	v_cvt_f16_f32 v56, v41;

	;;#ASMEND
	v_add_nc_u32_e32 v38, v27, v59
	s_delay_alu instid0(VALU_DEP_2) | instskip(SKIP_1) | instid1(VALU_DEP_3)
	v_add_co_u32 v52, vcc_lo, s6, v7
	v_add_co_ci_u32_e32 v54, vcc_lo, s7, v8, vcc_lo
	v_add_nc_u32_e32 v39, 1, v38
	s_delay_alu instid0(VALU_DEP_3) | instskip(NEXT) | instid1(VALU_DEP_3)
	v_add_co_u32 v7, vcc_lo, v52, v29
	v_add_co_ci_u32_e32 v8, vcc_lo, 0, v54, vcc_lo
	v_cmp_eq_u32_e32 vcc_lo, s35, v53
	v_or_b32_e32 v41, 3, v38
	v_or_b32_e32 v40, 2, v38
	global_load_b128 v[1:4], v[7:8], off
	v_or_b32_e32 v49, 5, v38
	v_or_b32_e32 v47, 4, v38
	;; [unrolled: 1-line block ×4, first 2 shown]
	s_and_saveexec_b32 s26, vcc_lo
	s_cbranch_execz .LBB115_41
; %bb.40:                               ;   in Loop: Header=BB115_38 Depth=1
	s_delay_alu instid0(VALU_DEP_1)
	v_cmp_gt_i32_e64 s0, s18, v51
	s_waitcnt vmcnt(0)
	v_lshrrev_b32_e32 v60, 16, v4
	v_lshrrev_b32_e32 v61, 16, v3
	;; [unrolled: 1-line block ×4, first 2 shown]
	v_cndmask_b32_e64 v4, 0, v4, s0
	v_cmp_gt_i32_e64 s0, s19, v50
	s_delay_alu instid0(VALU_DEP_1) | instskip(SKIP_1) | instid1(VALU_DEP_2)
	v_cndmask_b32_e64 v60, 0, v60, s0
	v_cmp_gt_i32_e64 s0, s17, v49
	v_perm_b32 v4, v60, v4, 0x5040100
	s_delay_alu instid0(VALU_DEP_2) | instskip(SKIP_1) | instid1(VALU_DEP_1)
	v_cndmask_b32_e64 v61, 0, v61, s0
	v_cmp_gt_i32_e64 s0, s16, v47
	v_cndmask_b32_e64 v3, 0, v3, s0
	v_cmp_gt_i32_e64 s0, s15, v41
	s_delay_alu instid0(VALU_DEP_2) | instskip(NEXT) | instid1(VALU_DEP_2)
	v_perm_b32 v3, v61, v3, 0x5040100
	v_cndmask_b32_e64 v62, 0, v62, s0
	v_cmp_gt_i32_e64 s0, s13, v40
	s_delay_alu instid0(VALU_DEP_1) | instskip(SKIP_1) | instid1(VALU_DEP_2)
	v_cndmask_b32_e64 v2, 0, v2, s0
	v_cmp_gt_i32_e64 s0, s10, v39
	v_perm_b32 v2, v62, v2, 0x5040100
	s_delay_alu instid0(VALU_DEP_2) | instskip(SKIP_1) | instid1(VALU_DEP_1)
	v_cndmask_b32_e64 v63, 0, v63, s0
	v_cmp_gt_i32_e64 s0, s33, v38
	v_cndmask_b32_e64 v1, 0, v1, s0
	s_delay_alu instid0(VALU_DEP_1)
	v_perm_b32 v1, v63, v1, 0x5040100
.LBB115_41:                             ;   in Loop: Header=BB115_38 Depth=1
	s_or_b32 exec_lo, exec_lo, s26
	v_and_b32_e32 v44, 0xffff, v44
	v_and_b32_e32 v45, 0xffff, v45
	;; [unrolled: 1-line block ×4, first 2 shown]
	s_delay_alu instid0(VALU_DEP_4)
	v_lshl_or_b32 v48, v42, 16, v44
	s_waitcnt vmcnt(0)
	;;#ASMSTART
	v_pk_mul_f16 v1, v48, v1;

	;;#ASMEND
	v_lshl_or_b32 v46, v43, 16, v45
	v_lshl_or_b32 v45, v55, 16, v60
	;; [unrolled: 1-line block ×3, first 2 shown]
	;;#ASMSTART
	v_pk_mul_f16 v2, v46, v2;

	;;#ASMEND
	;;#ASMSTART
	v_pk_mul_f16 v3, v45, v3;

	;;#ASMEND
	;; [unrolled: 4-line block ×3, first 2 shown]
	;;#ASMSTART
	v_pk_add_f16 v1, v1, v2;

	;;#ASMEND
	;;#ASMSTART
	v_pk_add_f16 v1, v1, v3;

	;;#ASMEND
	;; [unrolled: 4-line block ×3, first 2 shown]
	v_and_b32_e32 v2, 0xffff, v1
	v_lshrrev_b32_e32 v1, 16, v1
	;;#ASMSTART
	v_cvt_f32_f16 v42, v2;
	;;#ASMEND
	;;#ASMSTART
	v_cvt_f32_f16 v44, v1;
	;;#ASMEND
	global_load_b128 v[1:4], v[7:8], off offset:512
	s_and_saveexec_b32 s26, vcc_lo
	s_cbranch_execz .LBB115_43
; %bb.42:                               ;   in Loop: Header=BB115_38 Depth=1
	v_cmp_gt_i32_e64 s0, s18, v51
	s_waitcnt vmcnt(0)
	v_lshrrev_b32_e32 v55, 16, v4
	v_lshrrev_b32_e32 v56, 16, v3
	;; [unrolled: 1-line block ×4, first 2 shown]
	v_cndmask_b32_e64 v4, 0, v4, s0
	v_cmp_gt_i32_e64 s0, s19, v50
	s_delay_alu instid0(VALU_DEP_1) | instskip(SKIP_1) | instid1(VALU_DEP_2)
	v_cndmask_b32_e64 v55, 0, v55, s0
	v_cmp_gt_i32_e64 s0, s17, v49
	v_perm_b32 v4, v55, v4, 0x5040100
	s_delay_alu instid0(VALU_DEP_2) | instskip(SKIP_1) | instid1(VALU_DEP_1)
	v_cndmask_b32_e64 v56, 0, v56, s0
	v_cmp_gt_i32_e64 s0, s16, v47
	v_cndmask_b32_e64 v3, 0, v3, s0
	v_cmp_gt_i32_e64 s0, s15, v41
	s_delay_alu instid0(VALU_DEP_2) | instskip(NEXT) | instid1(VALU_DEP_2)
	v_perm_b32 v3, v56, v3, 0x5040100
	v_cndmask_b32_e64 v60, 0, v60, s0
	v_cmp_gt_i32_e64 s0, s13, v40
	s_delay_alu instid0(VALU_DEP_1) | instskip(SKIP_1) | instid1(VALU_DEP_2)
	v_cndmask_b32_e64 v2, 0, v2, s0
	v_cmp_gt_i32_e64 s0, s10, v39
	v_perm_b32 v2, v60, v2, 0x5040100
	s_delay_alu instid0(VALU_DEP_2) | instskip(SKIP_1) | instid1(VALU_DEP_1)
	v_cndmask_b32_e64 v61, 0, v61, s0
	v_cmp_gt_i32_e64 s0, s33, v38
	v_cndmask_b32_e64 v1, 0, v1, s0
	s_delay_alu instid0(VALU_DEP_1)
	v_perm_b32 v1, v61, v1, 0x5040100
.LBB115_43:                             ;   in Loop: Header=BB115_38 Depth=1
	s_or_b32 exec_lo, exec_lo, s26
	s_waitcnt vmcnt(0)
	;;#ASMSTART
	v_pk_mul_f16 v1, v48, v1;

	;;#ASMEND
	;;#ASMSTART
	v_pk_mul_f16 v2, v46, v2;

	;;#ASMEND
	;; [unrolled: 4-line block ×4, first 2 shown]
	;;#ASMSTART
	v_pk_add_f16 v1, v1, v2;

	;;#ASMEND
	;;#ASMSTART
	v_pk_add_f16 v1, v1, v3;

	;;#ASMEND
	;; [unrolled: 4-line block ×3, first 2 shown]
	v_and_b32_e32 v2, 0xffff, v1
	v_lshrrev_b32_e32 v1, 16, v1
	;;#ASMSTART
	v_cvt_f32_f16 v55, v2;
	;;#ASMEND
	;;#ASMSTART
	v_cvt_f32_f16 v56, v1;
	;;#ASMEND
	global_load_b128 v[1:4], v[7:8], off offset:1024
	s_and_saveexec_b32 s26, vcc_lo
	s_cbranch_execz .LBB115_45
; %bb.44:                               ;   in Loop: Header=BB115_38 Depth=1
	v_cmp_gt_i32_e64 s0, s18, v51
	s_waitcnt vmcnt(0)
	v_lshrrev_b32_e32 v60, 16, v4
	v_lshrrev_b32_e32 v61, 16, v3
	;; [unrolled: 1-line block ×4, first 2 shown]
	v_cndmask_b32_e64 v4, 0, v4, s0
	v_cmp_gt_i32_e64 s0, s19, v50
	s_delay_alu instid0(VALU_DEP_1) | instskip(SKIP_1) | instid1(VALU_DEP_2)
	v_cndmask_b32_e64 v60, 0, v60, s0
	v_cmp_gt_i32_e64 s0, s17, v49
	v_perm_b32 v4, v60, v4, 0x5040100
	s_delay_alu instid0(VALU_DEP_2) | instskip(SKIP_1) | instid1(VALU_DEP_1)
	v_cndmask_b32_e64 v61, 0, v61, s0
	v_cmp_gt_i32_e64 s0, s16, v47
	v_cndmask_b32_e64 v3, 0, v3, s0
	v_cmp_gt_i32_e64 s0, s15, v41
	s_delay_alu instid0(VALU_DEP_2) | instskip(NEXT) | instid1(VALU_DEP_2)
	v_perm_b32 v3, v61, v3, 0x5040100
	v_cndmask_b32_e64 v62, 0, v62, s0
	v_cmp_gt_i32_e64 s0, s13, v40
	s_delay_alu instid0(VALU_DEP_1) | instskip(SKIP_1) | instid1(VALU_DEP_2)
	v_cndmask_b32_e64 v2, 0, v2, s0
	v_cmp_gt_i32_e64 s0, s10, v39
	v_perm_b32 v2, v62, v2, 0x5040100
	s_delay_alu instid0(VALU_DEP_2) | instskip(SKIP_1) | instid1(VALU_DEP_1)
	v_cndmask_b32_e64 v63, 0, v63, s0
	v_cmp_gt_i32_e64 s0, s33, v38
	v_cndmask_b32_e64 v1, 0, v1, s0
	s_delay_alu instid0(VALU_DEP_1)
	v_perm_b32 v1, v63, v1, 0x5040100
.LBB115_45:                             ;   in Loop: Header=BB115_38 Depth=1
	s_or_b32 exec_lo, exec_lo, s26
	s_waitcnt vmcnt(0)
	;;#ASMSTART
	v_pk_mul_f16 v1, v48, v1;

	;;#ASMEND
	;;#ASMSTART
	v_pk_mul_f16 v2, v46, v2;

	;;#ASMEND
	;; [unrolled: 4-line block ×4, first 2 shown]
	;;#ASMSTART
	v_pk_add_f16 v1, v1, v2;

	;;#ASMEND
	;;#ASMSTART
	v_pk_add_f16 v1, v1, v3;

	;;#ASMEND
	;; [unrolled: 4-line block ×3, first 2 shown]
	v_and_b32_e32 v2, 0xffff, v1
	v_lshrrev_b32_e32 v1, 16, v1
	;;#ASMSTART
	v_cvt_f32_f16 v60, v2;
	;;#ASMEND
	;;#ASMSTART
	v_cvt_f32_f16 v61, v1;
	;;#ASMEND
	global_load_b128 v[1:4], v[7:8], off offset:1536
	s_and_saveexec_b32 s26, vcc_lo
	s_cbranch_execz .LBB115_47
; %bb.46:                               ;   in Loop: Header=BB115_38 Depth=1
	v_cmp_gt_i32_e64 s0, s18, v51
	s_waitcnt vmcnt(0)
	v_lshrrev_b32_e32 v62, 16, v4
	v_lshrrev_b32_e32 v63, 16, v3
	;; [unrolled: 1-line block ×4, first 2 shown]
	v_cndmask_b32_e64 v4, 0, v4, s0
	v_cmp_gt_i32_e64 s0, s19, v50
	s_delay_alu instid0(VALU_DEP_1) | instskip(SKIP_1) | instid1(VALU_DEP_2)
	v_cndmask_b32_e64 v62, 0, v62, s0
	v_cmp_gt_i32_e64 s0, s17, v49
	v_perm_b32 v4, v62, v4, 0x5040100
	s_delay_alu instid0(VALU_DEP_2) | instskip(SKIP_1) | instid1(VALU_DEP_1)
	v_cndmask_b32_e64 v63, 0, v63, s0
	v_cmp_gt_i32_e64 s0, s16, v47
	v_cndmask_b32_e64 v3, 0, v3, s0
	v_cmp_gt_i32_e64 s0, s15, v41
	s_delay_alu instid0(VALU_DEP_2) | instskip(NEXT) | instid1(VALU_DEP_2)
	v_perm_b32 v3, v63, v3, 0x5040100
	v_cndmask_b32_e64 v64, 0, v64, s0
	v_cmp_gt_i32_e64 s0, s13, v40
	s_delay_alu instid0(VALU_DEP_1) | instskip(SKIP_1) | instid1(VALU_DEP_2)
	v_cndmask_b32_e64 v2, 0, v2, s0
	v_cmp_gt_i32_e64 s0, s10, v39
	v_perm_b32 v2, v64, v2, 0x5040100
	s_delay_alu instid0(VALU_DEP_2) | instskip(SKIP_1) | instid1(VALU_DEP_1)
	v_cndmask_b32_e64 v65, 0, v65, s0
	v_cmp_gt_i32_e64 s0, s33, v38
	v_cndmask_b32_e64 v1, 0, v1, s0
	s_delay_alu instid0(VALU_DEP_1)
	v_perm_b32 v1, v65, v1, 0x5040100
.LBB115_47:                             ;   in Loop: Header=BB115_38 Depth=1
	s_or_b32 exec_lo, exec_lo, s26
	s_waitcnt vmcnt(0)
	;;#ASMSTART
	v_pk_mul_f16 v1, v48, v1;

	;;#ASMEND
	;;#ASMSTART
	v_pk_mul_f16 v2, v46, v2;

	;;#ASMEND
	;; [unrolled: 4-line block ×4, first 2 shown]
	;;#ASMSTART
	v_pk_add_f16 v1, v1, v2;

	;;#ASMEND
	;;#ASMSTART
	v_pk_add_f16 v1, v1, v3;

	;;#ASMEND
	;; [unrolled: 4-line block ×3, first 2 shown]
	v_and_b32_e32 v2, 0xffff, v1
	v_lshrrev_b32_e32 v1, 16, v1
	;;#ASMSTART
	v_cvt_f32_f16 v62, v2;
	;;#ASMEND
	;;#ASMSTART
	v_cvt_f32_f16 v63, v1;
	;;#ASMEND
	global_load_b128 v[1:4], v[7:8], off offset:2048
	s_and_saveexec_b32 s26, vcc_lo
	s_cbranch_execz .LBB115_49
; %bb.48:                               ;   in Loop: Header=BB115_38 Depth=1
	v_cmp_gt_i32_e64 s0, s18, v51
	s_waitcnt vmcnt(0)
	v_lshrrev_b32_e32 v64, 16, v4
	v_lshrrev_b32_e32 v65, 16, v3
	;; [unrolled: 1-line block ×4, first 2 shown]
	v_cndmask_b32_e64 v4, 0, v4, s0
	v_cmp_gt_i32_e64 s0, s19, v50
	s_delay_alu instid0(VALU_DEP_1) | instskip(SKIP_1) | instid1(VALU_DEP_2)
	v_cndmask_b32_e64 v64, 0, v64, s0
	v_cmp_gt_i32_e64 s0, s17, v49
	v_perm_b32 v4, v64, v4, 0x5040100
	s_delay_alu instid0(VALU_DEP_2) | instskip(SKIP_1) | instid1(VALU_DEP_1)
	v_cndmask_b32_e64 v65, 0, v65, s0
	v_cmp_gt_i32_e64 s0, s16, v47
	v_cndmask_b32_e64 v3, 0, v3, s0
	v_cmp_gt_i32_e64 s0, s15, v41
	s_delay_alu instid0(VALU_DEP_2) | instskip(NEXT) | instid1(VALU_DEP_2)
	v_perm_b32 v3, v65, v3, 0x5040100
	v_cndmask_b32_e64 v66, 0, v66, s0
	v_cmp_gt_i32_e64 s0, s13, v40
	s_delay_alu instid0(VALU_DEP_1) | instskip(SKIP_1) | instid1(VALU_DEP_2)
	v_cndmask_b32_e64 v2, 0, v2, s0
	v_cmp_gt_i32_e64 s0, s10, v39
	v_perm_b32 v2, v66, v2, 0x5040100
	s_delay_alu instid0(VALU_DEP_2) | instskip(SKIP_1) | instid1(VALU_DEP_1)
	v_cndmask_b32_e64 v67, 0, v67, s0
	v_cmp_gt_i32_e64 s0, s33, v38
	v_cndmask_b32_e64 v1, 0, v1, s0
	s_delay_alu instid0(VALU_DEP_1)
	v_perm_b32 v1, v67, v1, 0x5040100
.LBB115_49:                             ;   in Loop: Header=BB115_38 Depth=1
	s_or_b32 exec_lo, exec_lo, s26
	s_waitcnt vmcnt(0)
	;;#ASMSTART
	v_pk_mul_f16 v1, v48, v1;

	;;#ASMEND
	;;#ASMSTART
	v_pk_mul_f16 v2, v46, v2;

	;;#ASMEND
	;; [unrolled: 4-line block ×4, first 2 shown]
	;;#ASMSTART
	v_pk_add_f16 v1, v1, v2;

	;;#ASMEND
	;;#ASMSTART
	v_pk_add_f16 v1, v1, v3;

	;;#ASMEND
	;; [unrolled: 4-line block ×3, first 2 shown]
	v_and_b32_e32 v2, 0xffff, v1
	v_lshrrev_b32_e32 v1, 16, v1
	;;#ASMSTART
	v_cvt_f32_f16 v64, v2;
	;;#ASMEND
	;;#ASMSTART
	v_cvt_f32_f16 v65, v1;
	;;#ASMEND
	global_load_b128 v[1:4], v[7:8], off offset:2560
	s_and_saveexec_b32 s26, vcc_lo
	s_cbranch_execz .LBB115_51
; %bb.50:                               ;   in Loop: Header=BB115_38 Depth=1
	v_cmp_gt_i32_e64 s0, s18, v51
	s_waitcnt vmcnt(0)
	v_lshrrev_b32_e32 v66, 16, v4
	v_lshrrev_b32_e32 v67, 16, v3
	;; [unrolled: 1-line block ×4, first 2 shown]
	v_cndmask_b32_e64 v4, 0, v4, s0
	v_cmp_gt_i32_e64 s0, s19, v50
	s_delay_alu instid0(VALU_DEP_1) | instskip(SKIP_1) | instid1(VALU_DEP_2)
	v_cndmask_b32_e64 v66, 0, v66, s0
	v_cmp_gt_i32_e64 s0, s17, v49
	v_perm_b32 v4, v66, v4, 0x5040100
	s_delay_alu instid0(VALU_DEP_2) | instskip(SKIP_1) | instid1(VALU_DEP_1)
	v_cndmask_b32_e64 v67, 0, v67, s0
	v_cmp_gt_i32_e64 s0, s16, v47
	v_cndmask_b32_e64 v3, 0, v3, s0
	v_cmp_gt_i32_e64 s0, s15, v41
	s_delay_alu instid0(VALU_DEP_2) | instskip(NEXT) | instid1(VALU_DEP_2)
	v_perm_b32 v3, v67, v3, 0x5040100
	v_cndmask_b32_e64 v68, 0, v68, s0
	v_cmp_gt_i32_e64 s0, s13, v40
	s_delay_alu instid0(VALU_DEP_1) | instskip(SKIP_1) | instid1(VALU_DEP_2)
	v_cndmask_b32_e64 v2, 0, v2, s0
	v_cmp_gt_i32_e64 s0, s10, v39
	v_perm_b32 v2, v68, v2, 0x5040100
	s_delay_alu instid0(VALU_DEP_2) | instskip(SKIP_1) | instid1(VALU_DEP_1)
	v_cndmask_b32_e64 v69, 0, v69, s0
	v_cmp_gt_i32_e64 s0, s33, v38
	v_cndmask_b32_e64 v1, 0, v1, s0
	s_delay_alu instid0(VALU_DEP_1)
	v_perm_b32 v1, v69, v1, 0x5040100
.LBB115_51:                             ;   in Loop: Header=BB115_38 Depth=1
	s_or_b32 exec_lo, exec_lo, s26
	s_waitcnt vmcnt(0)
	;;#ASMSTART
	v_pk_mul_f16 v1, v48, v1;

	;;#ASMEND
	;;#ASMSTART
	v_pk_mul_f16 v2, v46, v2;

	;;#ASMEND
	;; [unrolled: 4-line block ×4, first 2 shown]
	;;#ASMSTART
	v_pk_add_f16 v1, v1, v2;

	;;#ASMEND
	;;#ASMSTART
	v_pk_add_f16 v1, v1, v3;

	;;#ASMEND
	;;#ASMSTART
	v_pk_add_f16 v1, v1, v4;

	;;#ASMEND
	v_and_b32_e32 v2, 0xffff, v1
	v_lshrrev_b32_e32 v1, 16, v1
	;;#ASMSTART
	v_cvt_f32_f16 v66, v2;
	;;#ASMEND
	;;#ASMSTART
	v_cvt_f32_f16 v67, v1;
	;;#ASMEND
	global_load_b128 v[1:4], v[7:8], off offset:3072
	s_and_saveexec_b32 s26, vcc_lo
	s_cbranch_execz .LBB115_53
; %bb.52:                               ;   in Loop: Header=BB115_38 Depth=1
	v_cmp_gt_i32_e64 s0, s18, v51
	s_waitcnt vmcnt(0)
	v_lshrrev_b32_e32 v68, 16, v4
	v_lshrrev_b32_e32 v69, 16, v3
	;; [unrolled: 1-line block ×4, first 2 shown]
	v_cndmask_b32_e64 v4, 0, v4, s0
	v_cmp_gt_i32_e64 s0, s19, v50
	s_delay_alu instid0(VALU_DEP_1) | instskip(SKIP_1) | instid1(VALU_DEP_2)
	v_cndmask_b32_e64 v68, 0, v68, s0
	v_cmp_gt_i32_e64 s0, s17, v49
	v_perm_b32 v4, v68, v4, 0x5040100
	s_delay_alu instid0(VALU_DEP_2) | instskip(SKIP_1) | instid1(VALU_DEP_1)
	v_cndmask_b32_e64 v69, 0, v69, s0
	v_cmp_gt_i32_e64 s0, s16, v47
	v_cndmask_b32_e64 v3, 0, v3, s0
	v_cmp_gt_i32_e64 s0, s15, v41
	s_delay_alu instid0(VALU_DEP_2) | instskip(NEXT) | instid1(VALU_DEP_2)
	v_perm_b32 v3, v69, v3, 0x5040100
	v_cndmask_b32_e64 v70, 0, v70, s0
	v_cmp_gt_i32_e64 s0, s13, v40
	s_delay_alu instid0(VALU_DEP_1) | instskip(SKIP_1) | instid1(VALU_DEP_2)
	v_cndmask_b32_e64 v2, 0, v2, s0
	v_cmp_gt_i32_e64 s0, s10, v39
	v_perm_b32 v2, v70, v2, 0x5040100
	s_delay_alu instid0(VALU_DEP_2) | instskip(SKIP_1) | instid1(VALU_DEP_1)
	v_cndmask_b32_e64 v71, 0, v71, s0
	v_cmp_gt_i32_e64 s0, s33, v38
	v_cndmask_b32_e64 v1, 0, v1, s0
	s_delay_alu instid0(VALU_DEP_1)
	v_perm_b32 v1, v71, v1, 0x5040100
.LBB115_53:                             ;   in Loop: Header=BB115_38 Depth=1
	s_or_b32 exec_lo, exec_lo, s26
	s_waitcnt vmcnt(0)
	;;#ASMSTART
	v_pk_mul_f16 v1, v48, v1;

	;;#ASMEND
	;;#ASMSTART
	v_pk_mul_f16 v2, v46, v2;

	;;#ASMEND
	;; [unrolled: 4-line block ×4, first 2 shown]
	;;#ASMSTART
	v_pk_add_f16 v1, v1, v2;

	;;#ASMEND
	;;#ASMSTART
	v_pk_add_f16 v1, v1, v3;

	;;#ASMEND
	;; [unrolled: 4-line block ×3, first 2 shown]
	v_and_b32_e32 v2, 0xffff, v1
	v_lshrrev_b32_e32 v1, 16, v1
	;;#ASMSTART
	v_cvt_f32_f16 v68, v2;
	;;#ASMEND
	;;#ASMSTART
	v_cvt_f32_f16 v69, v1;
	;;#ASMEND
	global_load_b128 v[1:4], v[7:8], off offset:3584
	s_and_saveexec_b32 s26, vcc_lo
	s_cbranch_execz .LBB115_55
; %bb.54:                               ;   in Loop: Header=BB115_38 Depth=1
	v_cmp_gt_i32_e64 s0, s18, v51
	s_waitcnt vmcnt(0)
	v_lshrrev_b32_e32 v7, 16, v4
	v_lshrrev_b32_e32 v8, 16, v3
	;; [unrolled: 1-line block ×4, first 2 shown]
	v_cndmask_b32_e64 v4, 0, v4, s0
	v_cmp_gt_i32_e64 s0, s19, v50
	s_delay_alu instid0(VALU_DEP_1) | instskip(SKIP_1) | instid1(VALU_DEP_2)
	v_cndmask_b32_e64 v7, 0, v7, s0
	v_cmp_gt_i32_e64 s0, s17, v49
	v_perm_b32 v4, v7, v4, 0x5040100
	s_delay_alu instid0(VALU_DEP_2) | instskip(SKIP_1) | instid1(VALU_DEP_1)
	v_cndmask_b32_e64 v8, 0, v8, s0
	v_cmp_gt_i32_e64 s0, s16, v47
	v_cndmask_b32_e64 v3, 0, v3, s0
	v_cmp_gt_i32_e64 s0, s15, v41
	s_delay_alu instid0(VALU_DEP_2) | instskip(NEXT) | instid1(VALU_DEP_2)
	v_perm_b32 v3, v8, v3, 0x5040100
	v_cndmask_b32_e64 v70, 0, v70, s0
	v_cmp_gt_i32_e64 s0, s13, v40
	s_delay_alu instid0(VALU_DEP_1) | instskip(SKIP_1) | instid1(VALU_DEP_2)
	v_cndmask_b32_e64 v2, 0, v2, s0
	v_cmp_gt_i32_e64 s0, s10, v39
	v_perm_b32 v2, v70, v2, 0x5040100
	s_delay_alu instid0(VALU_DEP_2) | instskip(SKIP_1) | instid1(VALU_DEP_1)
	v_cndmask_b32_e64 v71, 0, v71, s0
	v_cmp_gt_i32_e64 s0, s33, v38
	v_cndmask_b32_e64 v1, 0, v1, s0
	s_delay_alu instid0(VALU_DEP_1)
	v_perm_b32 v1, v71, v1, 0x5040100
.LBB115_55:                             ;   in Loop: Header=BB115_38 Depth=1
	s_or_b32 exec_lo, exec_lo, s26
	s_waitcnt vmcnt(0)
	;;#ASMSTART
	v_pk_mul_f16 v1, v48, v1;

	;;#ASMEND
	;;#ASMSTART
	v_pk_mul_f16 v2, v46, v2;

	;;#ASMEND
	;; [unrolled: 4-line block ×4, first 2 shown]
	;;#ASMSTART
	v_pk_add_f16 v1, v1, v2;

	;;#ASMEND
	;;#ASMSTART
	v_pk_add_f16 v1, v1, v3;

	;;#ASMEND
	;; [unrolled: 4-line block ×3, first 2 shown]
	v_lshrrev_b32_e32 v3, 16, v1
	v_and_b32_e32 v4, 0xffff, v1
	v_add_co_u32 v1, s0, v52, v30
	s_delay_alu instid0(VALU_DEP_1)
	v_add_co_ci_u32_e64 v2, s0, 0, v54, s0
	;;#ASMSTART
	v_cvt_f32_f16 v7, v4;
	;;#ASMEND
	;;#ASMSTART
	v_cvt_f32_f16 v8, v3;
	;;#ASMEND
	global_load_b128 v[1:4], v[1:2], off
	s_and_saveexec_b32 s26, vcc_lo
	s_cbranch_execz .LBB115_57
; %bb.56:                               ;   in Loop: Header=BB115_38 Depth=1
	v_cmp_gt_i32_e64 s0, s18, v51
	s_waitcnt vmcnt(0)
	v_lshrrev_b32_e32 v70, 16, v4
	v_lshrrev_b32_e32 v71, 16, v3
	;; [unrolled: 1-line block ×4, first 2 shown]
	v_cndmask_b32_e64 v4, 0, v4, s0
	v_cmp_gt_i32_e64 s0, s19, v50
	s_delay_alu instid0(VALU_DEP_1) | instskip(SKIP_1) | instid1(VALU_DEP_2)
	v_cndmask_b32_e64 v70, 0, v70, s0
	v_cmp_gt_i32_e64 s0, s17, v49
	v_perm_b32 v4, v70, v4, 0x5040100
	s_delay_alu instid0(VALU_DEP_2) | instskip(SKIP_1) | instid1(VALU_DEP_1)
	v_cndmask_b32_e64 v71, 0, v71, s0
	v_cmp_gt_i32_e64 s0, s16, v47
	v_cndmask_b32_e64 v3, 0, v3, s0
	v_cmp_gt_i32_e64 s0, s15, v41
	s_delay_alu instid0(VALU_DEP_2) | instskip(NEXT) | instid1(VALU_DEP_2)
	v_perm_b32 v3, v71, v3, 0x5040100
	v_cndmask_b32_e64 v72, 0, v72, s0
	v_cmp_gt_i32_e64 s0, s13, v40
	s_delay_alu instid0(VALU_DEP_1) | instskip(SKIP_1) | instid1(VALU_DEP_2)
	v_cndmask_b32_e64 v2, 0, v2, s0
	v_cmp_gt_i32_e64 s0, s10, v39
	v_perm_b32 v2, v72, v2, 0x5040100
	s_delay_alu instid0(VALU_DEP_2) | instskip(SKIP_1) | instid1(VALU_DEP_1)
	v_cndmask_b32_e64 v73, 0, v73, s0
	v_cmp_gt_i32_e64 s0, s33, v38
	v_cndmask_b32_e64 v1, 0, v1, s0
	s_delay_alu instid0(VALU_DEP_1)
	v_perm_b32 v1, v73, v1, 0x5040100
.LBB115_57:                             ;   in Loop: Header=BB115_38 Depth=1
	s_or_b32 exec_lo, exec_lo, s26
	s_waitcnt vmcnt(0)
	;;#ASMSTART
	v_pk_mul_f16 v1, v48, v1;

	;;#ASMEND
	;;#ASMSTART
	v_pk_mul_f16 v2, v46, v2;

	;;#ASMEND
	;;#ASMSTART
	v_pk_mul_f16 v3, v45, v3;

	;;#ASMEND
	;;#ASMSTART
	v_pk_mul_f16 v4, v43, v4;

	;;#ASMEND
	;;#ASMSTART
	v_pk_add_f16 v1, v1, v2;

	;;#ASMEND
	;;#ASMSTART
	v_pk_add_f16 v1, v1, v3;

	;;#ASMEND
	;; [unrolled: 4-line block ×3, first 2 shown]
	v_lshrrev_b32_e32 v3, 16, v1
	v_and_b32_e32 v4, 0xffff, v1
	v_add_co_u32 v1, s0, v52, v31
	s_delay_alu instid0(VALU_DEP_1)
	v_add_co_ci_u32_e64 v2, s0, 0, v54, s0
	;;#ASMSTART
	v_cvt_f32_f16 v70, v4;
	;;#ASMEND
	;;#ASMSTART
	v_cvt_f32_f16 v71, v3;
	;;#ASMEND
	global_load_b128 v[1:4], v[1:2], off
	s_and_saveexec_b32 s26, vcc_lo
	s_cbranch_execz .LBB115_59
; %bb.58:                               ;   in Loop: Header=BB115_38 Depth=1
	v_cmp_gt_i32_e64 s0, s18, v51
	s_waitcnt vmcnt(0)
	v_lshrrev_b32_e32 v72, 16, v4
	v_lshrrev_b32_e32 v73, 16, v3
	;; [unrolled: 1-line block ×4, first 2 shown]
	v_cndmask_b32_e64 v4, 0, v4, s0
	v_cmp_gt_i32_e64 s0, s19, v50
	s_delay_alu instid0(VALU_DEP_1) | instskip(SKIP_1) | instid1(VALU_DEP_2)
	v_cndmask_b32_e64 v72, 0, v72, s0
	v_cmp_gt_i32_e64 s0, s17, v49
	v_perm_b32 v4, v72, v4, 0x5040100
	s_delay_alu instid0(VALU_DEP_2) | instskip(SKIP_1) | instid1(VALU_DEP_1)
	v_cndmask_b32_e64 v73, 0, v73, s0
	v_cmp_gt_i32_e64 s0, s16, v47
	v_cndmask_b32_e64 v3, 0, v3, s0
	v_cmp_gt_i32_e64 s0, s15, v41
	s_delay_alu instid0(VALU_DEP_2) | instskip(NEXT) | instid1(VALU_DEP_2)
	v_perm_b32 v3, v73, v3, 0x5040100
	v_cndmask_b32_e64 v74, 0, v74, s0
	v_cmp_gt_i32_e64 s0, s13, v40
	s_delay_alu instid0(VALU_DEP_1) | instskip(SKIP_1) | instid1(VALU_DEP_2)
	v_cndmask_b32_e64 v2, 0, v2, s0
	v_cmp_gt_i32_e64 s0, s10, v39
	v_perm_b32 v2, v74, v2, 0x5040100
	s_delay_alu instid0(VALU_DEP_2) | instskip(SKIP_1) | instid1(VALU_DEP_1)
	v_cndmask_b32_e64 v75, 0, v75, s0
	v_cmp_gt_i32_e64 s0, s33, v38
	v_cndmask_b32_e64 v1, 0, v1, s0
	s_delay_alu instid0(VALU_DEP_1)
	v_perm_b32 v1, v75, v1, 0x5040100
.LBB115_59:                             ;   in Loop: Header=BB115_38 Depth=1
	s_or_b32 exec_lo, exec_lo, s26
	s_waitcnt vmcnt(0)
	;;#ASMSTART
	v_pk_mul_f16 v1, v48, v1;

	;;#ASMEND
	;;#ASMSTART
	v_pk_mul_f16 v2, v46, v2;

	;;#ASMEND
	;; [unrolled: 4-line block ×4, first 2 shown]
	;;#ASMSTART
	v_pk_add_f16 v1, v1, v2;

	;;#ASMEND
	;;#ASMSTART
	v_pk_add_f16 v1, v1, v3;

	;;#ASMEND
	;; [unrolled: 4-line block ×3, first 2 shown]
	v_lshrrev_b32_e32 v3, 16, v1
	v_and_b32_e32 v4, 0xffff, v1
	v_add_co_u32 v1, s0, v52, v32
	s_delay_alu instid0(VALU_DEP_1)
	v_add_co_ci_u32_e64 v2, s0, 0, v54, s0
	;;#ASMSTART
	v_cvt_f32_f16 v72, v4;
	;;#ASMEND
	;;#ASMSTART
	v_cvt_f32_f16 v73, v3;
	;;#ASMEND
	global_load_b128 v[1:4], v[1:2], off
	s_and_saveexec_b32 s26, vcc_lo
	s_cbranch_execz .LBB115_61
; %bb.60:                               ;   in Loop: Header=BB115_38 Depth=1
	v_cmp_gt_i32_e64 s0, s18, v51
	s_waitcnt vmcnt(0)
	v_lshrrev_b32_e32 v74, 16, v4
	v_lshrrev_b32_e32 v75, 16, v3
	;; [unrolled: 1-line block ×4, first 2 shown]
	v_cndmask_b32_e64 v4, 0, v4, s0
	v_cmp_gt_i32_e64 s0, s19, v50
	s_delay_alu instid0(VALU_DEP_1) | instskip(SKIP_1) | instid1(VALU_DEP_2)
	v_cndmask_b32_e64 v74, 0, v74, s0
	v_cmp_gt_i32_e64 s0, s17, v49
	v_perm_b32 v4, v74, v4, 0x5040100
	s_delay_alu instid0(VALU_DEP_2) | instskip(SKIP_1) | instid1(VALU_DEP_1)
	v_cndmask_b32_e64 v75, 0, v75, s0
	v_cmp_gt_i32_e64 s0, s16, v47
	v_cndmask_b32_e64 v3, 0, v3, s0
	v_cmp_gt_i32_e64 s0, s15, v41
	s_delay_alu instid0(VALU_DEP_2) | instskip(NEXT) | instid1(VALU_DEP_2)
	v_perm_b32 v3, v75, v3, 0x5040100
	v_cndmask_b32_e64 v76, 0, v76, s0
	v_cmp_gt_i32_e64 s0, s13, v40
	s_delay_alu instid0(VALU_DEP_1) | instskip(SKIP_1) | instid1(VALU_DEP_2)
	v_cndmask_b32_e64 v2, 0, v2, s0
	v_cmp_gt_i32_e64 s0, s10, v39
	v_perm_b32 v2, v76, v2, 0x5040100
	s_delay_alu instid0(VALU_DEP_2) | instskip(SKIP_1) | instid1(VALU_DEP_1)
	v_cndmask_b32_e64 v77, 0, v77, s0
	v_cmp_gt_i32_e64 s0, s33, v38
	v_cndmask_b32_e64 v1, 0, v1, s0
	s_delay_alu instid0(VALU_DEP_1)
	v_perm_b32 v1, v77, v1, 0x5040100
.LBB115_61:                             ;   in Loop: Header=BB115_38 Depth=1
	s_or_b32 exec_lo, exec_lo, s26
	s_waitcnt vmcnt(0)
	;;#ASMSTART
	v_pk_mul_f16 v1, v48, v1;

	;;#ASMEND
	;;#ASMSTART
	v_pk_mul_f16 v2, v46, v2;

	;;#ASMEND
	;; [unrolled: 4-line block ×4, first 2 shown]
	;;#ASMSTART
	v_pk_add_f16 v1, v1, v2;

	;;#ASMEND
	;;#ASMSTART
	v_pk_add_f16 v1, v1, v3;

	;;#ASMEND
	;; [unrolled: 4-line block ×3, first 2 shown]
	v_lshrrev_b32_e32 v3, 16, v1
	v_and_b32_e32 v4, 0xffff, v1
	v_add_co_u32 v1, s0, v52, v33
	s_delay_alu instid0(VALU_DEP_1)
	v_add_co_ci_u32_e64 v2, s0, 0, v54, s0
	;;#ASMSTART
	v_cvt_f32_f16 v74, v4;
	;;#ASMEND
	;;#ASMSTART
	v_cvt_f32_f16 v75, v3;
	;;#ASMEND
	global_load_b128 v[1:4], v[1:2], off
	s_and_saveexec_b32 s26, vcc_lo
	s_cbranch_execz .LBB115_63
; %bb.62:                               ;   in Loop: Header=BB115_38 Depth=1
	v_cmp_gt_i32_e64 s0, s18, v51
	s_waitcnt vmcnt(0)
	v_lshrrev_b32_e32 v76, 16, v4
	v_lshrrev_b32_e32 v77, 16, v3
	;; [unrolled: 1-line block ×4, first 2 shown]
	v_cndmask_b32_e64 v4, 0, v4, s0
	v_cmp_gt_i32_e64 s0, s19, v50
	s_delay_alu instid0(VALU_DEP_1) | instskip(SKIP_1) | instid1(VALU_DEP_2)
	v_cndmask_b32_e64 v76, 0, v76, s0
	v_cmp_gt_i32_e64 s0, s17, v49
	v_perm_b32 v4, v76, v4, 0x5040100
	s_delay_alu instid0(VALU_DEP_2) | instskip(SKIP_1) | instid1(VALU_DEP_1)
	v_cndmask_b32_e64 v77, 0, v77, s0
	v_cmp_gt_i32_e64 s0, s16, v47
	v_cndmask_b32_e64 v3, 0, v3, s0
	v_cmp_gt_i32_e64 s0, s15, v41
	s_delay_alu instid0(VALU_DEP_2) | instskip(NEXT) | instid1(VALU_DEP_2)
	v_perm_b32 v3, v77, v3, 0x5040100
	v_cndmask_b32_e64 v78, 0, v78, s0
	v_cmp_gt_i32_e64 s0, s13, v40
	s_delay_alu instid0(VALU_DEP_1) | instskip(SKIP_1) | instid1(VALU_DEP_2)
	v_cndmask_b32_e64 v2, 0, v2, s0
	v_cmp_gt_i32_e64 s0, s10, v39
	v_perm_b32 v2, v78, v2, 0x5040100
	s_delay_alu instid0(VALU_DEP_2) | instskip(SKIP_1) | instid1(VALU_DEP_1)
	v_cndmask_b32_e64 v79, 0, v79, s0
	v_cmp_gt_i32_e64 s0, s33, v38
	v_cndmask_b32_e64 v1, 0, v1, s0
	s_delay_alu instid0(VALU_DEP_1)
	v_perm_b32 v1, v79, v1, 0x5040100
.LBB115_63:                             ;   in Loop: Header=BB115_38 Depth=1
	s_or_b32 exec_lo, exec_lo, s26
	s_waitcnt vmcnt(0)
	;;#ASMSTART
	v_pk_mul_f16 v1, v48, v1;

	;;#ASMEND
	;;#ASMSTART
	v_pk_mul_f16 v2, v46, v2;

	;;#ASMEND
	;; [unrolled: 4-line block ×4, first 2 shown]
	;;#ASMSTART
	v_pk_add_f16 v1, v1, v2;

	;;#ASMEND
	;;#ASMSTART
	v_pk_add_f16 v1, v1, v3;

	;;#ASMEND
	;; [unrolled: 4-line block ×3, first 2 shown]
	v_lshrrev_b32_e32 v3, 16, v1
	v_and_b32_e32 v4, 0xffff, v1
	v_add_co_u32 v1, s0, v52, v34
	s_delay_alu instid0(VALU_DEP_1)
	v_add_co_ci_u32_e64 v2, s0, 0, v54, s0
	;;#ASMSTART
	v_cvt_f32_f16 v76, v4;
	;;#ASMEND
	;;#ASMSTART
	v_cvt_f32_f16 v77, v3;
	;;#ASMEND
	global_load_b128 v[1:4], v[1:2], off
	s_and_saveexec_b32 s26, vcc_lo
	s_cbranch_execz .LBB115_65
; %bb.64:                               ;   in Loop: Header=BB115_38 Depth=1
	v_cmp_gt_i32_e64 s0, s18, v51
	s_waitcnt vmcnt(0)
	v_lshrrev_b32_e32 v78, 16, v4
	v_lshrrev_b32_e32 v79, 16, v3
	;; [unrolled: 1-line block ×4, first 2 shown]
	v_cndmask_b32_e64 v4, 0, v4, s0
	v_cmp_gt_i32_e64 s0, s19, v50
	s_delay_alu instid0(VALU_DEP_1) | instskip(SKIP_1) | instid1(VALU_DEP_2)
	v_cndmask_b32_e64 v78, 0, v78, s0
	v_cmp_gt_i32_e64 s0, s17, v49
	v_perm_b32 v4, v78, v4, 0x5040100
	s_delay_alu instid0(VALU_DEP_2) | instskip(SKIP_1) | instid1(VALU_DEP_1)
	v_cndmask_b32_e64 v79, 0, v79, s0
	v_cmp_gt_i32_e64 s0, s16, v47
	v_cndmask_b32_e64 v3, 0, v3, s0
	v_cmp_gt_i32_e64 s0, s15, v41
	s_delay_alu instid0(VALU_DEP_2) | instskip(NEXT) | instid1(VALU_DEP_2)
	v_perm_b32 v3, v79, v3, 0x5040100
	v_cndmask_b32_e64 v80, 0, v80, s0
	v_cmp_gt_i32_e64 s0, s13, v40
	s_delay_alu instid0(VALU_DEP_1) | instskip(SKIP_1) | instid1(VALU_DEP_2)
	v_cndmask_b32_e64 v2, 0, v2, s0
	v_cmp_gt_i32_e64 s0, s10, v39
	v_perm_b32 v2, v80, v2, 0x5040100
	s_delay_alu instid0(VALU_DEP_2) | instskip(SKIP_1) | instid1(VALU_DEP_1)
	v_cndmask_b32_e64 v81, 0, v81, s0
	v_cmp_gt_i32_e64 s0, s33, v38
	v_cndmask_b32_e64 v1, 0, v1, s0
	s_delay_alu instid0(VALU_DEP_1)
	v_perm_b32 v1, v81, v1, 0x5040100
.LBB115_65:                             ;   in Loop: Header=BB115_38 Depth=1
	s_or_b32 exec_lo, exec_lo, s26
	s_waitcnt vmcnt(0)
	;;#ASMSTART
	v_pk_mul_f16 v1, v48, v1;

	;;#ASMEND
	;;#ASMSTART
	v_pk_mul_f16 v2, v46, v2;

	;;#ASMEND
	;; [unrolled: 4-line block ×4, first 2 shown]
	;;#ASMSTART
	v_pk_add_f16 v1, v1, v2;

	;;#ASMEND
	;;#ASMSTART
	v_pk_add_f16 v1, v1, v3;

	;;#ASMEND
	;; [unrolled: 4-line block ×3, first 2 shown]
	v_lshrrev_b32_e32 v3, 16, v1
	v_and_b32_e32 v4, 0xffff, v1
	v_add_co_u32 v1, s0, v52, v35
	s_delay_alu instid0(VALU_DEP_1)
	v_add_co_ci_u32_e64 v2, s0, 0, v54, s0
	;;#ASMSTART
	v_cvt_f32_f16 v78, v4;
	;;#ASMEND
	;;#ASMSTART
	v_cvt_f32_f16 v79, v3;
	;;#ASMEND
	global_load_b128 v[1:4], v[1:2], off
	s_and_saveexec_b32 s26, vcc_lo
	s_cbranch_execz .LBB115_67
; %bb.66:                               ;   in Loop: Header=BB115_38 Depth=1
	v_cmp_gt_i32_e64 s0, s18, v51
	s_waitcnt vmcnt(0)
	v_lshrrev_b32_e32 v80, 16, v4
	v_lshrrev_b32_e32 v81, 16, v3
	;; [unrolled: 1-line block ×4, first 2 shown]
	v_cndmask_b32_e64 v4, 0, v4, s0
	v_cmp_gt_i32_e64 s0, s19, v50
	s_delay_alu instid0(VALU_DEP_1) | instskip(SKIP_1) | instid1(VALU_DEP_2)
	v_cndmask_b32_e64 v80, 0, v80, s0
	v_cmp_gt_i32_e64 s0, s17, v49
	v_perm_b32 v4, v80, v4, 0x5040100
	s_delay_alu instid0(VALU_DEP_2) | instskip(SKIP_1) | instid1(VALU_DEP_1)
	v_cndmask_b32_e64 v81, 0, v81, s0
	v_cmp_gt_i32_e64 s0, s16, v47
	v_cndmask_b32_e64 v3, 0, v3, s0
	v_cmp_gt_i32_e64 s0, s15, v41
	s_delay_alu instid0(VALU_DEP_2) | instskip(NEXT) | instid1(VALU_DEP_2)
	v_perm_b32 v3, v81, v3, 0x5040100
	v_cndmask_b32_e64 v82, 0, v82, s0
	v_cmp_gt_i32_e64 s0, s13, v40
	s_delay_alu instid0(VALU_DEP_1) | instskip(SKIP_1) | instid1(VALU_DEP_2)
	v_cndmask_b32_e64 v2, 0, v2, s0
	v_cmp_gt_i32_e64 s0, s10, v39
	v_perm_b32 v2, v82, v2, 0x5040100
	s_delay_alu instid0(VALU_DEP_2) | instskip(SKIP_1) | instid1(VALU_DEP_1)
	v_cndmask_b32_e64 v83, 0, v83, s0
	v_cmp_gt_i32_e64 s0, s33, v38
	v_cndmask_b32_e64 v1, 0, v1, s0
	s_delay_alu instid0(VALU_DEP_1)
	v_perm_b32 v1, v83, v1, 0x5040100
.LBB115_67:                             ;   in Loop: Header=BB115_38 Depth=1
	s_or_b32 exec_lo, exec_lo, s26
	s_waitcnt vmcnt(0)
	;;#ASMSTART
	v_pk_mul_f16 v1, v48, v1;

	;;#ASMEND
	;;#ASMSTART
	v_pk_mul_f16 v2, v46, v2;

	;;#ASMEND
	;; [unrolled: 4-line block ×4, first 2 shown]
	;;#ASMSTART
	v_pk_add_f16 v1, v1, v2;

	;;#ASMEND
	;;#ASMSTART
	v_pk_add_f16 v1, v1, v3;

	;;#ASMEND
	;; [unrolled: 4-line block ×3, first 2 shown]
	v_lshrrev_b32_e32 v3, 16, v1
	v_and_b32_e32 v4, 0xffff, v1
	v_add_co_u32 v1, s0, v52, v37
	s_delay_alu instid0(VALU_DEP_1)
	v_add_co_ci_u32_e64 v2, s0, 0, v54, s0
	;;#ASMSTART
	v_cvt_f32_f16 v52, v4;
	;;#ASMEND
	;;#ASMSTART
	v_cvt_f32_f16 v54, v3;
	;;#ASMEND
	global_load_b128 v[1:4], v[1:2], off
	s_and_saveexec_b32 s0, vcc_lo
	s_cbranch_execz .LBB115_36
; %bb.68:                               ;   in Loop: Header=BB115_38 Depth=1
	v_cmp_gt_i32_e32 vcc_lo, s18, v51
	s_waitcnt vmcnt(0)
	v_lshrrev_b32_e32 v80, 16, v4
	v_lshrrev_b32_e32 v81, 16, v3
	;; [unrolled: 1-line block ×3, first 2 shown]
	v_cndmask_b32_e32 v4, 0, v4, vcc_lo
	v_cmp_gt_i32_e32 vcc_lo, s19, v50
	v_cndmask_b32_e32 v50, 0, v80, vcc_lo
	v_cmp_gt_i32_e32 vcc_lo, s17, v49
	;; [unrolled: 2-line block ×3, first 2 shown]
	v_lshrrev_b32_e32 v47, 16, v1
	v_cndmask_b32_e32 v3, 0, v3, vcc_lo
	v_cmp_gt_i32_e32 vcc_lo, s15, v41
	v_perm_b32 v4, v50, v4, 0x5040100
	s_delay_alu instid0(VALU_DEP_3) | instskip(SKIP_4) | instid1(VALU_DEP_2)
	v_perm_b32 v3, v49, v3, 0x5040100
	v_cndmask_b32_e32 v41, 0, v51, vcc_lo
	v_cmp_gt_i32_e32 vcc_lo, s13, v40
	v_cndmask_b32_e32 v2, 0, v2, vcc_lo
	v_cmp_gt_i32_e32 vcc_lo, s10, v39
	v_perm_b32 v2, v41, v2, 0x5040100
	v_cndmask_b32_e32 v39, 0, v47, vcc_lo
	v_cmp_gt_i32_e32 vcc_lo, s33, v38
	v_cndmask_b32_e32 v1, 0, v1, vcc_lo
	s_delay_alu instid0(VALU_DEP_1)
	v_perm_b32 v1, v39, v1, 0x5040100
	s_branch .LBB115_36
.LBB115_69:
	s_or_b32 exec_lo, exec_lo, s3
.LBB115_70:
	s_delay_alu instid0(SALU_CYCLE_1)
	s_or_b32 exec_lo, exec_lo, s1
	ds_bpermute_b32 v1, v10, v25
	ds_bpermute_b32 v2, v10, v26
	;; [unrolled: 1-line block ×15, first 2 shown]
	s_movk_i32 s0, 0x1e0
	s_waitcnt lgkmcnt(0)
	s_waitcnt_vscnt null, 0x0
	s_barrier
	buffer_gl0_inv
	v_dual_add_f32 v1, v25, v1 :: v_dual_add_f32 v2, v26, v2
	v_dual_add_f32 v5, v22, v5 :: v_dual_add_f32 v6, v21, v6
	v_add_f32_e32 v3, v24, v3
	v_dual_add_f32 v7, v20, v7 :: v_dual_add_f32 v8, v19, v8
	ds_bpermute_b32 v21, v9, v2
	v_dual_add_f32 v18, v18, v27 :: v_dual_add_f32 v17, v17, v28
	v_add_f32_e32 v4, v23, v4
	ds_bpermute_b32 v22, v9, v3
	ds_bpermute_b32 v19, v9, v5
	;; [unrolled: 1-line block ×5, first 2 shown]
	v_dual_add_f32 v28, v16, v29 :: v_dual_add_f32 v29, v15, v30
	v_add_f32_e32 v30, v14, v31
	ds_bpermute_b32 v31, v9, v17
	v_add_f32_e32 v32, v13, v32
	v_add_f32_e32 v36, v12, v10
	ds_bpermute_b32 v20, v9, v1
	ds_bpermute_b32 v23, v9, v4
	;; [unrolled: 1-line block ×7, first 2 shown]
	s_waitcnt lgkmcnt(13)
	v_add_f32_e32 v15, v2, v21
	ds_bpermute_b32 v37, v9, v32
	s_waitcnt lgkmcnt(13)
	v_add_f32_e32 v14, v3, v22
	s_waitcnt lgkmcnt(12)
	v_dual_add_f32 v12, v5, v19 :: v_dual_and_b32 v19, 0x3c3, v0
	s_waitcnt lgkmcnt(10)
	v_dual_add_f32 v8, v8, v26 :: v_dual_add_f32 v9, v7, v25
	s_waitcnt lgkmcnt(9)
	v_add_f32_e32 v7, v18, v27
	v_mad_u32_u24 v18, v57, s0, 0x110
	v_cmp_eq_u32_e32 vcc_lo, 64, v19
	s_waitcnt lgkmcnt(8)
	v_add_f32_e32 v5, v17, v31
	v_lshrrev_b32_e32 v17, 2, v58
	s_waitcnt lgkmcnt(6)
	v_dual_add_f32 v16, v1, v20 :: v_dual_add_f32 v13, v4, v23
	s_waitcnt lgkmcnt(5)
	v_add_f32_e32 v10, v6, v24
	s_waitcnt lgkmcnt(3)
	v_dual_add_f32 v4, v28, v33 :: v_dual_add_f32 v3, v29, v34
	s_waitcnt lgkmcnt(2)
	v_dual_add_f32 v2, v30, v35 :: v_dual_lshlrev_b32 v19, 2, v17
	s_waitcnt lgkmcnt(1)
	v_add_f32_e32 v6, v36, v38
	s_waitcnt lgkmcnt(0)
	v_add_f32_e32 v1, v32, v37
	s_and_saveexec_b32 s0, vcc_lo
	s_cbranch_execz .LBB115_72
; %bb.71:
	v_add3_u32 v20, v18, v19, 0xfffffc40
	ds_store_2addr_b32 v20, v16, v15 offset1:8
	ds_store_2addr_b32 v20, v14, v13 offset0:16 offset1:24
	ds_store_2addr_b32 v20, v12, v10 offset0:32 offset1:40
	;; [unrolled: 1-line block ×6, first 2 shown]
	ds_store_b32 v20, v6 offset:448
.LBB115_72:
	s_or_b32 exec_lo, exec_lo, s0
	v_cmp_eq_u32_e32 vcc_lo, 0, v11
	s_mov_b32 s1, exec_lo
	s_waitcnt lgkmcnt(0)
	s_barrier
	buffer_gl0_inv
	v_cmpx_gt_u32_e32 64, v0
	s_cbranch_execz .LBB115_90
; %bb.73:
	s_and_saveexec_b32 s0, vcc_lo
	s_cbranch_execnz .LBB115_113
; %bb.74:
	s_or_b32 exec_lo, exec_lo, s0
	s_and_saveexec_b32 s0, vcc_lo
	s_cbranch_execnz .LBB115_114
.LBB115_75:
	s_or_b32 exec_lo, exec_lo, s0
	s_and_saveexec_b32 s0, vcc_lo
	s_cbranch_execnz .LBB115_115
.LBB115_76:
	s_or_b32 exec_lo, exec_lo, s0
	s_and_saveexec_b32 s0, vcc_lo
	s_cbranch_execnz .LBB115_116
.LBB115_77:
	s_or_b32 exec_lo, exec_lo, s0
	s_and_saveexec_b32 s0, vcc_lo
	s_cbranch_execnz .LBB115_117
.LBB115_78:
	s_or_b32 exec_lo, exec_lo, s0
	s_and_saveexec_b32 s0, vcc_lo
	s_cbranch_execnz .LBB115_118
.LBB115_79:
	s_or_b32 exec_lo, exec_lo, s0
	s_and_saveexec_b32 s0, vcc_lo
	s_cbranch_execnz .LBB115_119
.LBB115_80:
	s_or_b32 exec_lo, exec_lo, s0
	s_and_saveexec_b32 s0, vcc_lo
	s_cbranch_execnz .LBB115_120
.LBB115_81:
	s_or_b32 exec_lo, exec_lo, s0
	s_and_saveexec_b32 s0, vcc_lo
	s_cbranch_execnz .LBB115_121
.LBB115_82:
	s_or_b32 exec_lo, exec_lo, s0
	s_and_saveexec_b32 s0, vcc_lo
	s_cbranch_execnz .LBB115_122
.LBB115_83:
	s_or_b32 exec_lo, exec_lo, s0
	s_and_saveexec_b32 s0, vcc_lo
	s_cbranch_execnz .LBB115_123
.LBB115_84:
	s_or_b32 exec_lo, exec_lo, s0
	s_and_saveexec_b32 s0, vcc_lo
	s_cbranch_execnz .LBB115_124
.LBB115_85:
	s_or_b32 exec_lo, exec_lo, s0
	s_and_saveexec_b32 s0, vcc_lo
	s_cbranch_execnz .LBB115_125
.LBB115_86:
	s_or_b32 exec_lo, exec_lo, s0
	s_and_saveexec_b32 s0, vcc_lo
	s_cbranch_execnz .LBB115_126
.LBB115_87:
	s_or_b32 exec_lo, exec_lo, s0
	s_and_saveexec_b32 s0, vcc_lo
	s_cbranch_execz .LBB115_89
.LBB115_88:
	v_lshl_add_u32 v11, v17, 2, v18
	ds_load_b32 v11, v11 offset:448
	s_waitcnt lgkmcnt(0)
	v_add_f32_e32 v6, v6, v11
.LBB115_89:
	s_or_b32 exec_lo, exec_lo, s0
.LBB115_90:
	s_delay_alu instid0(SALU_CYCLE_1)
	s_or_b32 exec_lo, exec_lo, s1
	v_and_b32_e32 v11, 0x3e3, v0
	s_mov_b32 s1, exec_lo
	s_barrier
	buffer_gl0_inv
	v_cmpx_eq_u32_e32 32, v11
	s_cbranch_execz .LBB115_92
; %bb.91:
	v_add3_u32 v19, v18, v19, 0xfffffe20
	ds_store_2addr_b32 v19, v16, v15 offset1:8
	ds_store_2addr_b32 v19, v14, v13 offset0:16 offset1:24
	ds_store_2addr_b32 v19, v12, v10 offset0:32 offset1:40
	;; [unrolled: 1-line block ×6, first 2 shown]
	ds_store_b32 v19, v6 offset:448
.LBB115_92:
	s_or_b32 exec_lo, exec_lo, s1
	s_delay_alu instid0(SALU_CYCLE_1)
	s_mov_b32 s1, exec_lo
	s_waitcnt lgkmcnt(0)
	s_barrier
	buffer_gl0_inv
	v_cmpx_gt_u32_e32 32, v0
	s_cbranch_execz .LBB115_110
; %bb.93:
	v_lshl_add_u32 v17, v17, 2, v18
	s_and_saveexec_b32 s0, vcc_lo
	s_cbranch_execnz .LBB115_127
; %bb.94:
	s_or_b32 exec_lo, exec_lo, s0
	s_and_saveexec_b32 s0, vcc_lo
	s_cbranch_execnz .LBB115_128
.LBB115_95:
	s_or_b32 exec_lo, exec_lo, s0
	s_and_saveexec_b32 s0, vcc_lo
	s_cbranch_execnz .LBB115_129
.LBB115_96:
	s_or_b32 exec_lo, exec_lo, s0
	s_and_saveexec_b32 s0, vcc_lo
	s_cbranch_execnz .LBB115_130
.LBB115_97:
	s_or_b32 exec_lo, exec_lo, s0
	s_and_saveexec_b32 s0, vcc_lo
	s_cbranch_execnz .LBB115_131
.LBB115_98:
	s_or_b32 exec_lo, exec_lo, s0
	s_and_saveexec_b32 s0, vcc_lo
	s_cbranch_execnz .LBB115_132
.LBB115_99:
	s_or_b32 exec_lo, exec_lo, s0
	s_and_saveexec_b32 s0, vcc_lo
	s_cbranch_execnz .LBB115_133
.LBB115_100:
	s_or_b32 exec_lo, exec_lo, s0
	s_and_saveexec_b32 s0, vcc_lo
	s_cbranch_execnz .LBB115_134
.LBB115_101:
	s_or_b32 exec_lo, exec_lo, s0
	s_and_saveexec_b32 s0, vcc_lo
	s_cbranch_execnz .LBB115_135
.LBB115_102:
	s_or_b32 exec_lo, exec_lo, s0
	s_and_saveexec_b32 s0, vcc_lo
	s_cbranch_execnz .LBB115_136
.LBB115_103:
	s_or_b32 exec_lo, exec_lo, s0
	s_and_saveexec_b32 s0, vcc_lo
	s_cbranch_execnz .LBB115_137
.LBB115_104:
	s_or_b32 exec_lo, exec_lo, s0
	s_and_saveexec_b32 s0, vcc_lo
	s_cbranch_execnz .LBB115_138
.LBB115_105:
	s_or_b32 exec_lo, exec_lo, s0
	s_and_saveexec_b32 s0, vcc_lo
	s_cbranch_execnz .LBB115_139
.LBB115_106:
	s_or_b32 exec_lo, exec_lo, s0
	s_and_saveexec_b32 s0, vcc_lo
	s_cbranch_execnz .LBB115_140
.LBB115_107:
	s_or_b32 exec_lo, exec_lo, s0
	s_and_saveexec_b32 s0, vcc_lo
	s_cbranch_execz .LBB115_109
.LBB115_108:
	ds_load_b32 v17, v17 offset:448
	s_waitcnt lgkmcnt(0)
	v_add_f32_e32 v6, v6, v17
.LBB115_109:
	s_or_b32 exec_lo, exec_lo, s0
.LBB115_110:
	s_delay_alu instid0(SALU_CYCLE_1)
	s_or_b32 exec_lo, exec_lo, s1
	s_barrier
	buffer_gl0_inv
	s_mov_b32 s0, exec_lo
	v_cmpx_eq_u32_e32 0, v11
	s_cbranch_execz .LBB115_112
; %bb.111:
	s_mul_i32 s0, s14, 0x78
	s_mul_i32 s2, s4, s20
	s_ashr_i32 s1, s0, 31
	v_lshrrev_b32_e32 v0, 1, v0
	s_lshl_b64 s[0:1], s[0:1], 1
	;;#ASMSTART
	v_cvt_f16_f32 v11, v16;

	;;#ASMEND
	s_add_u32 s4, s22, s0
	s_addc_u32 s5, s23, s1
	s_ashr_i32 s3, s2, 31
	s_delay_alu instid0(SALU_CYCLE_1) | instskip(SKIP_4) | instid1(SALU_CYCLE_1)
	s_lshl_b64 s[0:1], s[2:3], 1
	s_mul_i32 s2, s12, 0x78
	s_add_u32 s4, s4, s0
	s_addc_u32 s5, s5, s1
	s_ashr_i32 s3, s2, 31
	s_lshl_b64 s[0:1], s[2:3], 1
	s_delay_alu instid0(SALU_CYCLE_1)
	s_add_u32 s0, s4, s0
	s_addc_u32 s1, s5, s1
	global_store_b16 v0, v11, s[0:1]
	;;#ASMSTART
	v_cvt_f16_f32 v11, v15;

	;;#ASMEND
	global_store_b16 v0, v11, s[0:1] offset:16
	;;#ASMSTART
	v_cvt_f16_f32 v11, v14;

	;;#ASMEND
	global_store_b16 v0, v11, s[0:1] offset:32
	;; [unrolled: 5-line block ×14, first 2 shown]
.LBB115_112:
	s_nop 0
	s_sendmsg sendmsg(MSG_DEALLOC_VGPRS)
	s_endpgm
.LBB115_113:
	v_lshl_add_u32 v11, v17, 2, v18
	ds_load_b32 v11, v11
	s_waitcnt lgkmcnt(0)
	v_add_f32_e32 v16, v16, v11
	s_or_b32 exec_lo, exec_lo, s0
	s_and_saveexec_b32 s0, vcc_lo
	s_cbranch_execz .LBB115_75
.LBB115_114:
	v_lshl_add_u32 v11, v17, 2, v18
	ds_load_b32 v11, v11 offset:32
	s_waitcnt lgkmcnt(0)
	v_add_f32_e32 v15, v15, v11
	s_or_b32 exec_lo, exec_lo, s0
	s_and_saveexec_b32 s0, vcc_lo
	s_cbranch_execz .LBB115_76
.LBB115_115:
	v_lshl_add_u32 v11, v17, 2, v18
	ds_load_b32 v11, v11 offset:64
	s_waitcnt lgkmcnt(0)
	v_add_f32_e32 v14, v14, v11
	s_or_b32 exec_lo, exec_lo, s0
	s_and_saveexec_b32 s0, vcc_lo
	s_cbranch_execz .LBB115_77
.LBB115_116:
	v_lshl_add_u32 v11, v17, 2, v18
	ds_load_b32 v11, v11 offset:96
	s_waitcnt lgkmcnt(0)
	v_add_f32_e32 v13, v13, v11
	s_or_b32 exec_lo, exec_lo, s0
	s_and_saveexec_b32 s0, vcc_lo
	s_cbranch_execz .LBB115_78
.LBB115_117:
	v_lshl_add_u32 v11, v17, 2, v18
	ds_load_b32 v11, v11 offset:128
	s_waitcnt lgkmcnt(0)
	v_add_f32_e32 v12, v12, v11
	s_or_b32 exec_lo, exec_lo, s0
	s_and_saveexec_b32 s0, vcc_lo
	s_cbranch_execz .LBB115_79
.LBB115_118:
	v_lshl_add_u32 v11, v17, 2, v18
	ds_load_b32 v11, v11 offset:160
	s_waitcnt lgkmcnt(0)
	v_add_f32_e32 v10, v10, v11
	s_or_b32 exec_lo, exec_lo, s0
	s_and_saveexec_b32 s0, vcc_lo
	s_cbranch_execz .LBB115_80
.LBB115_119:
	v_lshl_add_u32 v11, v17, 2, v18
	ds_load_b32 v11, v11 offset:192
	s_waitcnt lgkmcnt(0)
	v_add_f32_e32 v9, v9, v11
	s_or_b32 exec_lo, exec_lo, s0
	s_and_saveexec_b32 s0, vcc_lo
	s_cbranch_execz .LBB115_81
.LBB115_120:
	v_lshl_add_u32 v11, v17, 2, v18
	ds_load_b32 v11, v11 offset:224
	s_waitcnt lgkmcnt(0)
	v_add_f32_e32 v8, v8, v11
	s_or_b32 exec_lo, exec_lo, s0
	s_and_saveexec_b32 s0, vcc_lo
	s_cbranch_execz .LBB115_82
.LBB115_121:
	v_lshl_add_u32 v11, v17, 2, v18
	ds_load_b32 v11, v11 offset:256
	s_waitcnt lgkmcnt(0)
	v_add_f32_e32 v7, v7, v11
	s_or_b32 exec_lo, exec_lo, s0
	s_and_saveexec_b32 s0, vcc_lo
	s_cbranch_execz .LBB115_83
.LBB115_122:
	v_lshl_add_u32 v11, v17, 2, v18
	ds_load_b32 v11, v11 offset:288
	s_waitcnt lgkmcnt(0)
	v_add_f32_e32 v5, v5, v11
	s_or_b32 exec_lo, exec_lo, s0
	s_and_saveexec_b32 s0, vcc_lo
	s_cbranch_execz .LBB115_84
.LBB115_123:
	v_lshl_add_u32 v11, v17, 2, v18
	ds_load_b32 v11, v11 offset:320
	s_waitcnt lgkmcnt(0)
	v_add_f32_e32 v4, v4, v11
	s_or_b32 exec_lo, exec_lo, s0
	s_and_saveexec_b32 s0, vcc_lo
	s_cbranch_execz .LBB115_85
.LBB115_124:
	v_lshl_add_u32 v11, v17, 2, v18
	ds_load_b32 v11, v11 offset:352
	s_waitcnt lgkmcnt(0)
	v_add_f32_e32 v3, v3, v11
	s_or_b32 exec_lo, exec_lo, s0
	s_and_saveexec_b32 s0, vcc_lo
	s_cbranch_execz .LBB115_86
.LBB115_125:
	v_lshl_add_u32 v11, v17, 2, v18
	ds_load_b32 v11, v11 offset:384
	s_waitcnt lgkmcnt(0)
	v_add_f32_e32 v2, v2, v11
	s_or_b32 exec_lo, exec_lo, s0
	s_and_saveexec_b32 s0, vcc_lo
	s_cbranch_execz .LBB115_87
.LBB115_126:
	v_lshl_add_u32 v11, v17, 2, v18
	ds_load_b32 v11, v11 offset:416
	s_waitcnt lgkmcnt(0)
	v_add_f32_e32 v1, v1, v11
	s_or_b32 exec_lo, exec_lo, s0
	s_and_saveexec_b32 s0, vcc_lo
	s_cbranch_execnz .LBB115_88
	s_branch .LBB115_89
.LBB115_127:
	ds_load_b32 v18, v17
	s_waitcnt lgkmcnt(0)
	v_add_f32_e32 v16, v16, v18
	s_or_b32 exec_lo, exec_lo, s0
	s_and_saveexec_b32 s0, vcc_lo
	s_cbranch_execz .LBB115_95
.LBB115_128:
	ds_load_b32 v18, v17 offset:32
	s_waitcnt lgkmcnt(0)
	v_add_f32_e32 v15, v15, v18
	s_or_b32 exec_lo, exec_lo, s0
	s_and_saveexec_b32 s0, vcc_lo
	s_cbranch_execz .LBB115_96
.LBB115_129:
	ds_load_b32 v18, v17 offset:64
	s_waitcnt lgkmcnt(0)
	v_add_f32_e32 v14, v14, v18
	s_or_b32 exec_lo, exec_lo, s0
	s_and_saveexec_b32 s0, vcc_lo
	s_cbranch_execz .LBB115_97
.LBB115_130:
	ds_load_b32 v18, v17 offset:96
	s_waitcnt lgkmcnt(0)
	v_add_f32_e32 v13, v13, v18
	s_or_b32 exec_lo, exec_lo, s0
	s_and_saveexec_b32 s0, vcc_lo
	s_cbranch_execz .LBB115_98
.LBB115_131:
	ds_load_b32 v18, v17 offset:128
	s_waitcnt lgkmcnt(0)
	v_add_f32_e32 v12, v12, v18
	s_or_b32 exec_lo, exec_lo, s0
	s_and_saveexec_b32 s0, vcc_lo
	s_cbranch_execz .LBB115_99
.LBB115_132:
	ds_load_b32 v18, v17 offset:160
	s_waitcnt lgkmcnt(0)
	v_add_f32_e32 v10, v10, v18
	s_or_b32 exec_lo, exec_lo, s0
	s_and_saveexec_b32 s0, vcc_lo
	s_cbranch_execz .LBB115_100
.LBB115_133:
	ds_load_b32 v18, v17 offset:192
	s_waitcnt lgkmcnt(0)
	v_add_f32_e32 v9, v9, v18
	s_or_b32 exec_lo, exec_lo, s0
	s_and_saveexec_b32 s0, vcc_lo
	s_cbranch_execz .LBB115_101
.LBB115_134:
	ds_load_b32 v18, v17 offset:224
	s_waitcnt lgkmcnt(0)
	v_add_f32_e32 v8, v8, v18
	s_or_b32 exec_lo, exec_lo, s0
	s_and_saveexec_b32 s0, vcc_lo
	s_cbranch_execz .LBB115_102
.LBB115_135:
	ds_load_b32 v18, v17 offset:256
	s_waitcnt lgkmcnt(0)
	v_add_f32_e32 v7, v7, v18
	s_or_b32 exec_lo, exec_lo, s0
	s_and_saveexec_b32 s0, vcc_lo
	s_cbranch_execz .LBB115_103
.LBB115_136:
	ds_load_b32 v18, v17 offset:288
	s_waitcnt lgkmcnt(0)
	v_add_f32_e32 v5, v5, v18
	s_or_b32 exec_lo, exec_lo, s0
	s_and_saveexec_b32 s0, vcc_lo
	s_cbranch_execz .LBB115_104
.LBB115_137:
	ds_load_b32 v18, v17 offset:320
	s_waitcnt lgkmcnt(0)
	v_add_f32_e32 v4, v4, v18
	s_or_b32 exec_lo, exec_lo, s0
	s_and_saveexec_b32 s0, vcc_lo
	s_cbranch_execz .LBB115_105
.LBB115_138:
	ds_load_b32 v18, v17 offset:352
	s_waitcnt lgkmcnt(0)
	v_add_f32_e32 v3, v3, v18
	s_or_b32 exec_lo, exec_lo, s0
	s_and_saveexec_b32 s0, vcc_lo
	s_cbranch_execz .LBB115_106
.LBB115_139:
	ds_load_b32 v18, v17 offset:384
	s_waitcnt lgkmcnt(0)
	v_add_f32_e32 v2, v2, v18
	s_or_b32 exec_lo, exec_lo, s0
	s_and_saveexec_b32 s0, vcc_lo
	s_cbranch_execz .LBB115_107
.LBB115_140:
	ds_load_b32 v18, v17 offset:416
	s_waitcnt lgkmcnt(0)
	v_add_f32_e32 v1, v1, v18
	s_or_b32 exec_lo, exec_lo, s0
	s_and_saveexec_b32 s0, vcc_lo
	s_cbranch_execnz .LBB115_108
	s_branch .LBB115_109
	.section	.rodata,"a",@progbits
	.p2align	6, 0x0
	.amdhsa_kernel _ZN4vllm25paged_attention_v2_kernelIttLi120ELi32ELi128ELNS_18Fp8KVCacheDataTypeE0ELb1ELi512EEEvPfS2_PT_PKS3_PKT0_S9_ifPKiSB_iPKfiiiSD_SD_iiiii
		.amdhsa_group_segment_fixed_size 272
		.amdhsa_private_segment_fixed_size 0
		.amdhsa_kernarg_size 400
		.amdhsa_user_sgpr_count 13
		.amdhsa_user_sgpr_dispatch_ptr 0
		.amdhsa_user_sgpr_queue_ptr 0
		.amdhsa_user_sgpr_kernarg_segment_ptr 1
		.amdhsa_user_sgpr_dispatch_id 0
		.amdhsa_user_sgpr_private_segment_size 0
		.amdhsa_wavefront_size32 1
		.amdhsa_uses_dynamic_stack 0
		.amdhsa_enable_private_segment 0
		.amdhsa_system_sgpr_workgroup_id_x 1
		.amdhsa_system_sgpr_workgroup_id_y 1
		.amdhsa_system_sgpr_workgroup_id_z 1
		.amdhsa_system_sgpr_workgroup_info 0
		.amdhsa_system_vgpr_workitem_id 0
		.amdhsa_next_free_vgpr 100
		.amdhsa_next_free_sgpr 44
		.amdhsa_reserve_vcc 1
		.amdhsa_float_round_mode_32 0
		.amdhsa_float_round_mode_16_64 0
		.amdhsa_float_denorm_mode_32 3
		.amdhsa_float_denorm_mode_16_64 3
		.amdhsa_dx10_clamp 1
		.amdhsa_ieee_mode 1
		.amdhsa_fp16_overflow 0
		.amdhsa_workgroup_processor_mode 1
		.amdhsa_memory_ordered 1
		.amdhsa_forward_progress 0
		.amdhsa_shared_vgpr_count 0
		.amdhsa_exception_fp_ieee_invalid_op 0
		.amdhsa_exception_fp_denorm_src 0
		.amdhsa_exception_fp_ieee_div_zero 0
		.amdhsa_exception_fp_ieee_overflow 0
		.amdhsa_exception_fp_ieee_underflow 0
		.amdhsa_exception_fp_ieee_inexact 0
		.amdhsa_exception_int_div_zero 0
	.end_amdhsa_kernel
	.section	.text._ZN4vllm25paged_attention_v2_kernelIttLi120ELi32ELi128ELNS_18Fp8KVCacheDataTypeE0ELb1ELi512EEEvPfS2_PT_PKS3_PKT0_S9_ifPKiSB_iPKfiiiSD_SD_iiiii,"axG",@progbits,_ZN4vllm25paged_attention_v2_kernelIttLi120ELi32ELi128ELNS_18Fp8KVCacheDataTypeE0ELb1ELi512EEEvPfS2_PT_PKS3_PKT0_S9_ifPKiSB_iPKfiiiSD_SD_iiiii,comdat
.Lfunc_end115:
	.size	_ZN4vllm25paged_attention_v2_kernelIttLi120ELi32ELi128ELNS_18Fp8KVCacheDataTypeE0ELb1ELi512EEEvPfS2_PT_PKS3_PKT0_S9_ifPKiSB_iPKfiiiSD_SD_iiiii, .Lfunc_end115-_ZN4vllm25paged_attention_v2_kernelIttLi120ELi32ELi128ELNS_18Fp8KVCacheDataTypeE0ELb1ELi512EEEvPfS2_PT_PKS3_PKT0_S9_ifPKiSB_iPKfiiiSD_SD_iiiii
                                        ; -- End function
	.section	.AMDGPU.csdata,"",@progbits
; Kernel info:
; codeLenInByte = 20312
; NumSgprs: 46
; NumVgprs: 100
; ScratchSize: 0
; MemoryBound: 0
; FloatMode: 240
; IeeeMode: 1
; LDSByteSize: 272 bytes/workgroup (compile time only)
; SGPRBlocks: 5
; VGPRBlocks: 12
; NumSGPRsForWavesPerEU: 46
; NumVGPRsForWavesPerEU: 100
; Occupancy: 12
; WaveLimiterHint : 1
; COMPUTE_PGM_RSRC2:SCRATCH_EN: 0
; COMPUTE_PGM_RSRC2:USER_SGPR: 13
; COMPUTE_PGM_RSRC2:TRAP_HANDLER: 0
; COMPUTE_PGM_RSRC2:TGID_X_EN: 1
; COMPUTE_PGM_RSRC2:TGID_Y_EN: 1
; COMPUTE_PGM_RSRC2:TGID_Z_EN: 1
; COMPUTE_PGM_RSRC2:TIDIG_COMP_CNT: 0
	.section	.text._ZN4vllm25paged_attention_v2_kernelIttLi128ELi32ELi128ELNS_18Fp8KVCacheDataTypeE0ELb1ELi512EEEvPfS2_PT_PKS3_PKT0_S9_ifPKiSB_iPKfiiiSD_SD_iiiii,"axG",@progbits,_ZN4vllm25paged_attention_v2_kernelIttLi128ELi32ELi128ELNS_18Fp8KVCacheDataTypeE0ELb1ELi512EEEvPfS2_PT_PKS3_PKT0_S9_ifPKiSB_iPKfiiiSD_SD_iiiii,comdat
	.protected	_ZN4vllm25paged_attention_v2_kernelIttLi128ELi32ELi128ELNS_18Fp8KVCacheDataTypeE0ELb1ELi512EEEvPfS2_PT_PKS3_PKT0_S9_ifPKiSB_iPKfiiiSD_SD_iiiii ; -- Begin function _ZN4vllm25paged_attention_v2_kernelIttLi128ELi32ELi128ELNS_18Fp8KVCacheDataTypeE0ELb1ELi512EEEvPfS2_PT_PKS3_PKT0_S9_ifPKiSB_iPKfiiiSD_SD_iiiii
	.globl	_ZN4vllm25paged_attention_v2_kernelIttLi128ELi32ELi128ELNS_18Fp8KVCacheDataTypeE0ELb1ELi512EEEvPfS2_PT_PKS3_PKT0_S9_ifPKiSB_iPKfiiiSD_SD_iiiii
	.p2align	8
	.type	_ZN4vllm25paged_attention_v2_kernelIttLi128ELi32ELi128ELNS_18Fp8KVCacheDataTypeE0ELb1ELi512EEEvPfS2_PT_PKS3_PKT0_S9_ifPKiSB_iPKfiiiSD_SD_iiiii,@function
_ZN4vllm25paged_attention_v2_kernelIttLi128ELi32ELi128ELNS_18Fp8KVCacheDataTypeE0ELb1ELi512EEEvPfS2_PT_PKS3_PKT0_S9_ifPKiSB_iPKfiiiSD_SD_iiiii: ; @_ZN4vllm25paged_attention_v2_kernelIttLi128ELi32ELi128ELNS_18Fp8KVCacheDataTypeE0ELb1ELi512EEEvPfS2_PT_PKS3_PKT0_S9_ifPKiSB_iPKfiiiSD_SD_iiiii
; %bb.0:
	s_load_b64 s[2:3], s[0:1], 0x40
	s_mov_b32 s12, s15
	s_ashr_i32 s15, s14, 31
	s_delay_alu instid0(SALU_CYCLE_1)
	s_lshl_b64 s[4:5], s[14:15], 2
	s_waitcnt lgkmcnt(0)
	s_add_u32 s2, s2, s4
	s_addc_u32 s3, s3, s5
	s_lshl_b32 s15, s12, 9
	s_load_b32 s33, s[2:3], 0x0
	s_waitcnt lgkmcnt(0)
	s_cmp_ge_i32 s15, s33
	s_cbranch_scc1 .LBB116_116
; %bb.1:
	s_mov_b32 s24, s13
	s_clause 0x1
	s_load_b32 s13, s[0:1], 0x90
	s_load_b64 s[2:3], s[0:1], 0x30
	s_mov_b32 s37, 0
	s_waitcnt lgkmcnt(0)
	s_abs_i32 s7, s13
	s_abs_i32 s4, s2
	s_delay_alu instid0(SALU_CYCLE_1) | instskip(SKIP_1) | instid1(VALU_DEP_1)
	v_cvt_f32_u32_e32 v1, s4
	s_sub_i32 s6, 0, s4
	v_rcp_iflag_f32_e32 v1, v1
	s_waitcnt_depctr 0xfff
	v_mul_f32_e32 v1, 0x4f7ffffe, v1
	s_delay_alu instid0(VALU_DEP_1) | instskip(NEXT) | instid1(VALU_DEP_1)
	v_cvt_u32_f32_e32 v1, v1
	v_readfirstlane_b32 s5, v1
	s_delay_alu instid0(VALU_DEP_1) | instskip(NEXT) | instid1(SALU_CYCLE_1)
	s_mul_i32 s6, s6, s5
	s_mul_hi_u32 s6, s5, s6
	s_delay_alu instid0(SALU_CYCLE_1) | instskip(SKIP_4) | instid1(SALU_CYCLE_1)
	s_add_i32 s5, s5, s6
	s_xor_b32 s6, s13, s2
	s_mul_hi_u32 s5, s7, s5
	s_ashr_i32 s6, s6, 31
	s_mul_i32 s8, s5, s4
	s_sub_i32 s7, s7, s8
	s_add_i32 s8, s5, 1
	s_sub_i32 s9, s7, s4
	s_cmp_ge_u32 s7, s4
	s_cselect_b32 s5, s8, s5
	s_cselect_b32 s7, s9, s7
	s_add_i32 s8, s5, 1
	s_cmp_ge_u32 s7, s4
	s_cselect_b32 s4, s8, s5
	s_abs_i32 s17, s24
	s_xor_b32 s4, s4, s6
	s_delay_alu instid0(SALU_CYCLE_1) | instskip(SKIP_2) | instid1(SALU_CYCLE_1)
	s_sub_i32 s8, s4, s6
	s_load_b64 s[4:5], s[0:1], 0x50
	s_abs_i32 s16, s8
	v_cvt_f32_u32_e32 v1, s16
	s_sub_i32 s7, 0, s16
	s_delay_alu instid0(VALU_DEP_1) | instskip(SKIP_2) | instid1(VALU_DEP_1)
	v_rcp_iflag_f32_e32 v1, v1
	s_waitcnt_depctr 0xfff
	v_mul_f32_e32 v1, 0x4f7ffffe, v1
	v_cvt_u32_f32_e32 v1, v1
	s_delay_alu instid0(VALU_DEP_1) | instskip(NEXT) | instid1(VALU_DEP_1)
	v_readfirstlane_b32 s6, v1
	s_mul_i32 s7, s7, s6
	s_delay_alu instid0(SALU_CYCLE_1) | instskip(NEXT) | instid1(SALU_CYCLE_1)
	s_mul_hi_u32 s7, s6, s7
	s_add_i32 s6, s6, s7
	s_waitcnt lgkmcnt(0)
	s_cmp_eq_u64 s[4:5], 0
	s_mul_hi_u32 s18, s17, s6
	s_cbranch_scc1 .LBB116_3
; %bb.2:
	s_ashr_i32 s25, s24, 31
	s_delay_alu instid0(SALU_CYCLE_1) | instskip(NEXT) | instid1(SALU_CYCLE_1)
	s_lshl_b64 s[6:7], s[24:25], 2
	s_add_u32 s4, s4, s6
	s_addc_u32 s5, s5, s7
	s_load_b32 s37, s[4:5], 0x0
.LBB116_3:
	s_load_b128 s[4:7], s[0:1], 0x58
	s_waitcnt lgkmcnt(0)
	s_ashr_i32 s7, s24, 31
	s_ashr_i32 s19, s8, 31
	s_lshl_b32 s20, s24, 7
	s_mov_b32 s8, exec_lo
	v_cmpx_gt_u32_e32 16, v0
	s_cbranch_execz .LBB116_5
; %bb.4:
	s_load_b64 s[10:11], s[0:1], 0x18
	s_mul_i32 s22, s14, s4
	v_lshlrev_b32_e32 v5, 4, v0
	s_ashr_i32 s23, s22, 31
	s_delay_alu instid0(SALU_CYCLE_1) | instskip(SKIP_4) | instid1(SALU_CYCLE_1)
	s_lshl_b64 s[22:23], s[22:23], 1
	s_waitcnt lgkmcnt(0)
	s_add_u32 s4, s10, s22
	s_addc_u32 s9, s11, s23
	s_ashr_i32 s21, s20, 31
	s_lshl_b64 s[10:11], s[20:21], 1
	s_delay_alu instid0(SALU_CYCLE_1)
	s_add_u32 s10, s4, s10
	s_addc_u32 s11, s9, s11
	global_load_b128 v[1:4], v5, s[10:11]
	s_waitcnt vmcnt(0)
	ds_store_b128 v5, v[1:4]
.LBB116_5:
	s_or_b32 exec_lo, exec_lo, s8
	s_load_b128 s[8:11], s[0:1], 0x78
	s_mul_i32 s4, s18, s16
	s_xor_b32 s7, s7, s19
	s_sub_i32 s4, s17, s4
	s_add_i32 s17, s18, 1
	s_sub_i32 s19, s4, s16
	s_cmp_ge_u32 s4, s16
	s_waitcnt lgkmcnt(0)
	s_cselect_b32 s17, s17, s18
	s_cselect_b32 s4, s19, s4
	s_add_i32 s18, s17, 1
	s_cmp_ge_u32 s4, s16
	s_load_b32 s4, s[0:1], 0x88
	s_cselect_b32 s16, s18, s17
	s_mov_b32 s17, -1
	s_xor_b32 s16, s16, s7
	s_waitcnt lgkmcnt(0)
	s_barrier
	s_sub_i32 s7, s16, s7
	buffer_gl0_inv
                                        ; implicit-def: $sgpr34
	s_abs_i32 s21, s11
	s_delay_alu instid0(SALU_CYCLE_1) | instskip(SKIP_1) | instid1(VALU_DEP_1)
	v_cvt_f32_u32_e32 v1, s21
	s_sub_i32 s16, 0, s21
	v_rcp_iflag_f32_e32 v1, v1
	s_waitcnt_depctr 0xfff
	v_mul_f32_e32 v1, 0x4f7ffffe, v1
	s_delay_alu instid0(VALU_DEP_1) | instskip(NEXT) | instid1(VALU_DEP_1)
	v_cvt_u32_f32_e32 v1, v1
	v_readfirstlane_b32 s25, v1
	s_delay_alu instid0(VALU_DEP_1)
	s_mul_i32 s18, s16, s25
	s_add_i32 s16, s33, -1
	s_mul_hi_u32 s18, s25, s18
	s_abs_i32 s28, s16
	s_add_i32 s25, s25, s18
	s_cmp_lt_i32 s4, 0
	s_mul_hi_u32 s35, s28, s25
	s_cbranch_scc0 .LBB116_7
; %bb.6:
	s_mul_i32 s2, s8, s2
	s_mov_b32 s17, 0
	s_add_i32 s2, s7, s2
	s_delay_alu instid0(SALU_CYCLE_1) | instskip(NEXT) | instid1(SALU_CYCLE_1)
	s_mul_i32 s2, s2, s4
	s_sub_i32 s34, 1, s2
.LBB116_7:
	s_load_b64 s[26:27], s[0:1], 0x38
	s_ashr_i32 s2, s16, 31
	s_and_not1_b32 vcc_lo, exec_lo, s17
	s_ashr_i32 s11, s11, 31
	s_cbranch_vccnz .LBB116_9
; %bb.8:
	s_mul_i32 s8, s13, s8
	s_delay_alu instid0(SALU_CYCLE_1) | instskip(NEXT) | instid1(SALU_CYCLE_1)
	s_add_i32 s8, s8, s24
	s_mul_i32 s4, s8, s4
	s_delay_alu instid0(SALU_CYCLE_1)
	s_add_i32 s34, s4, 1
.LBB116_9:
	s_clause 0x4
	s_load_b32 s8, s[0:1], 0x48
	s_load_b64 s[30:31], s[0:1], 0x28
	s_load_b32 s4, s[0:1], 0x98
	s_load_b128 s[16:19], s[0:1], 0x0
	s_load_b64 s[22:23], s[0:1], 0x10
	s_xor_b32 s36, s2, s11
	s_mul_i32 s2, s35, s21
	s_add_i32 s38, s35, 1
	s_sub_i32 s2, s28, s2
	v_lshrrev_b32_e32 v65, 5, v0
	v_dual_mov_b32 v69, 0xff7fffff :: v_dual_and_b32 v66, 31, v0
	s_mul_i32 s6, s7, s6
	s_delay_alu instid0(VALU_DEP_2) | instskip(NEXT) | instid1(VALU_DEP_2)
	v_lshl_add_u32 v67, v65, 5, s15
	v_lshlrev_b32_e32 v68, 2, v66
	s_waitcnt lgkmcnt(0)
	s_mul_i32 s28, s14, s8
	s_sub_i32 s8, s2, s21
	s_ashr_i32 s29, s28, 31
	s_cmp_ge_u32 s2, s21
	s_cselect_b32 s35, s38, s35
	s_cselect_b32 s2, s8, s2
	s_add_i32 s8, s35, 1
	s_cmp_ge_u32 s2, s21
	s_cselect_b32 s2, s8, s35
	s_add_i32 s8, s33, 31
	s_lshl_b32 s38, s12, 4
	s_ashr_i32 s35, s8, 31
	v_add_nc_u32_e32 v61, s38, v65
	s_lshr_b32 s35, s35, 27
	s_add_i32 s39, s38, 16
	s_add_i32 s8, s8, s35
	s_xor_b32 s40, s2, s36
	s_ashr_i32 s35, s8, 5
	v_ashrrev_i32_e32 v62, 31, v61
	s_min_i32 s8, s39, s35
	s_sub_i32 s36, s40, s36
	v_cmp_gt_i32_e64 s2, s8, v61
	s_delay_alu instid0(VALU_DEP_1)
	s_and_saveexec_b32 s39, s2
	s_cbranch_execz .LBB116_17
; %bb.10:
	s_load_b64 s[0:1], s[0:1], 0x20
	s_ashr_i32 s7, s6, 31
	v_subrev_nc_u32_e32 v5, s33, v66
	s_lshl_b64 s[40:41], s[6:7], 1
	s_sub_i32 s7, s36, s9
	v_dual_mov_b32 v78, v61 :: v_dual_lshlrev_b32 v3, 4, v66
	s_delay_alu instid0(VALU_DEP_2)
	v_add_nc_u32_e32 v73, 1, v5
	v_lshl_or_b32 v7, v65, 7, v68
	v_cmp_neq_f32_e64 vcc_lo, s37, 0
	v_lshl_add_u32 v70, v65, 5, s15
	v_mov_b32_e32 v71, 0xff7fffff
	v_mov_b32_e32 v69, 0xff7fffff
	v_add_nc_u32_e32 v74, 0x120, v7
	v_mov_b32_e32 v72, 0
	s_waitcnt lgkmcnt(0)
	s_add_u32 s42, s0, s40
	s_addc_u32 s41, s1, s41
	s_abs_i32 s40, s10
	v_add_co_u32 v75, s42, s42, v3
	v_cvt_f32_u32_e32 v1, s40
	s_sub_i32 s0, 0, s40
	v_add_co_ci_u32_e64 v76, null, s41, 0, s42
	s_mov_b32 s42, s5
	s_delay_alu instid0(VALU_DEP_2) | instskip(SKIP_3) | instid1(VALU_DEP_1)
	v_rcp_iflag_f32_e32 v1, v1
	s_mov_b32 s41, 0
	s_waitcnt_depctr 0xfff
	v_mul_f32_e32 v1, 0x4f7ffffe, v1
	v_cvt_u32_f32_e32 v4, v1
	v_lshlrev_b64 v[1:2], 2, v[61:62]
	s_delay_alu instid0(VALU_DEP_2) | instskip(SKIP_1) | instid1(SALU_CYCLE_1)
	v_mul_lo_u32 v6, s0, v4
	s_lshl_b64 s[0:1], s[28:29], 2
	s_add_u32 s0, s26, s0
	s_addc_u32 s1, s27, s1
	s_delay_alu instid0(VALU_DEP_2) | instskip(NEXT) | instid1(VALU_DEP_1)
	v_add_co_u32 v63, s0, s0, v1
	v_add_co_ci_u32_e64 v64, s0, s1, v2, s0
	s_delay_alu instid0(VALU_DEP_3) | instskip(NEXT) | instid1(VALU_DEP_1)
	v_mul_hi_u32 v5, v4, v6
	v_add_nc_u32_e32 v77, v4, v5
	s_branch .LBB116_12
.LBB116_11:                             ;   in Loop: Header=BB116_12 Depth=1
	s_or_b32 exec_lo, exec_lo, s1
	v_add_nc_u32_e32 v78, 4, v78
	v_add_co_u32 v63, s1, v63, 16
	s_delay_alu instid0(VALU_DEP_1) | instskip(NEXT) | instid1(VALU_DEP_3)
	v_add_co_ci_u32_e64 v64, s1, 0, v64, s1
	v_cmp_le_i32_e64 s0, s8, v78
	v_add_nc_u32_e32 v70, 0x80, v70
	v_add_nc_u32_e32 v74, 0x200, v74
	s_delay_alu instid0(VALU_DEP_3) | instskip(NEXT) | instid1(SALU_CYCLE_1)
	s_or_b32 s41, s0, s41
	s_and_not1_b32 exec_lo, exec_lo, s41
	s_cbranch_execz .LBB116_16
.LBB116_12:                             ; =>This Inner Loop Header: Depth=1
	v_sub_nc_u32_e32 v1, 0, v70
	s_delay_alu instid0(VALU_DEP_1) | instskip(NEXT) | instid1(VALU_DEP_1)
	v_max_i32_e32 v1, v70, v1
	v_mul_hi_u32 v2, v1, s25
	s_delay_alu instid0(VALU_DEP_1) | instskip(NEXT) | instid1(VALU_DEP_1)
	v_mul_lo_u32 v3, v2, s21
	v_sub_nc_u32_e32 v1, v1, v3
	v_add_nc_u32_e32 v3, 1, v2
	s_delay_alu instid0(VALU_DEP_2) | instskip(SKIP_1) | instid1(VALU_DEP_1)
	v_subrev_nc_u32_e32 v4, s21, v1
	v_cmp_le_u32_e64 s0, s21, v1
	v_cndmask_b32_e64 v2, v2, v3, s0
	s_delay_alu instid0(VALU_DEP_3) | instskip(SKIP_1) | instid1(VALU_DEP_3)
	v_cndmask_b32_e64 v1, v1, v4, s0
	v_ashrrev_i32_e32 v3, 31, v70
	v_add_nc_u32_e32 v4, 1, v2
	s_delay_alu instid0(VALU_DEP_3) | instskip(NEXT) | instid1(VALU_DEP_3)
	v_cmp_le_u32_e64 s0, s21, v1
	v_xor_b32_e32 v3, s11, v3
	s_delay_alu instid0(VALU_DEP_2) | instskip(NEXT) | instid1(VALU_DEP_1)
	v_cndmask_b32_e64 v1, v2, v4, s0
	v_xor_b32_e32 v1, v1, v3
	s_delay_alu instid0(VALU_DEP_1) | instskip(NEXT) | instid1(VALU_DEP_1)
	v_sub_nc_u32_e32 v1, v1, v3
	v_add_nc_u32_e32 v2, s34, v1
	v_cmp_ge_i32_e64 s1, s7, v1
	s_delay_alu instid0(VALU_DEP_2) | instskip(NEXT) | instid1(VALU_DEP_1)
	v_sub_nc_u32_e32 v3, 0, v2
	v_max_i32_e32 v3, v2, v3
	v_ashrrev_i32_e32 v2, 31, v2
	s_delay_alu instid0(VALU_DEP_2) | instskip(NEXT) | instid1(VALU_DEP_1)
	v_mul_hi_u32 v4, v3, v77
	v_mul_lo_u32 v4, v4, s40
	s_delay_alu instid0(VALU_DEP_1) | instskip(NEXT) | instid1(VALU_DEP_1)
	v_sub_nc_u32_e32 v3, v3, v4
	v_subrev_nc_u32_e32 v4, s40, v3
	v_cmp_le_u32_e64 s0, s40, v3
	s_delay_alu instid0(VALU_DEP_1) | instskip(NEXT) | instid1(VALU_DEP_1)
	v_cndmask_b32_e64 v3, v3, v4, s0
	v_subrev_nc_u32_e32 v4, s40, v3
	v_cmp_le_u32_e64 s0, s40, v3
	s_delay_alu instid0(VALU_DEP_1) | instskip(NEXT) | instid1(VALU_DEP_1)
	v_cndmask_b32_e64 v3, v3, v4, s0
	v_xor_b32_e32 v3, v3, v2
	s_delay_alu instid0(VALU_DEP_1) | instskip(NEXT) | instid1(VALU_DEP_1)
	v_sub_nc_u32_e32 v2, v3, v2
	v_cmp_ne_u32_e64 s0, 0, v2
	s_delay_alu instid0(VALU_DEP_1) | instskip(NEXT) | instid1(SALU_CYCLE_1)
	s_and_b32 s0, s0, s1
	s_and_saveexec_b32 s1, s0
	s_delay_alu instid0(SALU_CYCLE_1)
	s_xor_b32 s0, exec_lo, s1
	s_cbranch_execz .LBB116_14
; %bb.13:                               ;   in Loop: Header=BB116_12 Depth=1
	ds_store_b32 v74, v71
.LBB116_14:                             ;   in Loop: Header=BB116_12 Depth=1
	s_and_not1_saveexec_b32 s1, s0
	s_cbranch_execz .LBB116_11
; %bb.15:                               ;   in Loop: Header=BB116_12 Depth=1
	global_load_b32 v3, v[63:64], off
	s_waitcnt vmcnt(0)
	v_mad_i64_i32 v[1:2], null, v3, s42, 0
	v_add_nc_u32_e32 v3, v73, v70
	s_delay_alu instid0(VALU_DEP_1) | instskip(NEXT) | instid1(VALU_DEP_3)
	v_cvt_f32_i32_e32 v3, v3
	v_lshlrev_b64 v[1:2], 1, v[1:2]
	s_delay_alu instid0(VALU_DEP_2) | instskip(NEXT) | instid1(VALU_DEP_2)
	v_dual_mul_f32 v3, s37, v3 :: v_dual_add_nc_u32 v84, v66, v70
	v_add_co_u32 v1, s0, v75, v1
	s_delay_alu instid0(VALU_DEP_1) | instskip(NEXT) | instid1(VALU_DEP_3)
	v_add_co_ci_u32_e64 v2, s0, v76, v2, s0
	v_cndmask_b32_e32 v79, 0, v3, vcc_lo
	s_clause 0x7
	global_load_b128 v[80:83], v[1:2], off
	global_load_b128 v[57:60], v[1:2], off offset:512
	global_load_b128 v[53:56], v[1:2], off offset:1024
	global_load_b128 v[49:52], v[1:2], off offset:1536
	global_load_b128 v[45:48], v[1:2], off offset:2048
	global_load_b128 v[41:44], v[1:2], off offset:2560
	global_load_b128 v[37:40], v[1:2], off offset:3072
	global_load_b128 v[33:36], v[1:2], off offset:3584
	v_add_co_u32 v1, s0, 0x1000, v1
	s_delay_alu instid0(VALU_DEP_1)
	v_add_co_ci_u32_e64 v2, s0, 0, v2, s0
	v_cmp_gt_i32_e64 s0, s33, v84
	s_clause 0x7
	global_load_b128 v[29:32], v[1:2], off
	global_load_b128 v[25:28], v[1:2], off offset:512
	global_load_b128 v[21:24], v[1:2], off offset:1024
	;; [unrolled: 1-line block ×7, first 2 shown]
	ds_load_b128 v[84:87], v72
	s_waitcnt lgkmcnt(0)
	v_lshrrev_b32_e32 v88, 16, v84
	v_and_b32_e32 v84, 0xffff, v84
	;;#ASMSTART
	v_cvt_f32_f16 v84, v84;
	;;#ASMEND
	;;#ASMSTART
	v_cvt_f32_f16 v88, v88;
	;;#ASMEND
	s_waitcnt vmcnt(15)
	v_lshrrev_b32_e32 v89, 16, v80
	v_and_b32_e32 v80, 0xffff, v80
	;;#ASMSTART
	v_cvt_f32_f16 v90, v80;
	;;#ASMEND
	v_lshrrev_b32_e32 v80, 16, v85
	v_and_b32_e32 v85, 0xffff, v85
	;;#ASMSTART
	v_cvt_f32_f16 v89, v89;
	;;#ASMEND
	;;#ASMSTART
	v_cvt_f32_f16 v85, v85;
	;;#ASMEND
	;; [unrolled: 3-line block ×3, first 2 shown]
	v_lshrrev_b32_e32 v80, 16, v81
	v_and_b32_e32 v81, 0xffff, v81
	;;#ASMSTART
	v_cvt_f32_f16 v92, v81;
	;;#ASMEND
	;;#ASMSTART
	v_cvt_f32_f16 v93, v80;
	;;#ASMEND
	v_lshrrev_b32_e32 v80, 16, v86
	v_and_b32_e32 v81, 0xffff, v86
	;;#ASMSTART
	v_cvt_f32_f16 v86, v81;
	;;#ASMEND
	;;#ASMSTART
	v_cvt_f32_f16 v94, v80;
	;;#ASMEND
	;; [unrolled: 8-line block ×5, first 2 shown]
	ds_load_b128 v[80:83], v72 offset:16
	s_waitcnt vmcnt(14)
	v_lshrrev_b32_e32 v101, 16, v57
	v_and_b32_e32 v57, 0xffff, v57
	s_waitcnt lgkmcnt(0)
	v_lshrrev_b32_e32 v100, 16, v80
	v_and_b32_e32 v80, 0xffff, v80
	;;#ASMSTART
	v_cvt_f32_f16 v80, v80;
	;;#ASMEND
	;;#ASMSTART
	v_cvt_f32_f16 v100, v100;
	;;#ASMEND
	;; [unrolled: 3-line block ×4, first 2 shown]
	v_mul_f32_e32 v57, v80, v57
	v_mul_f32_e32 v80, v100, v101
	s_delay_alu instid0(VALU_DEP_1)
	v_fmac_f32_e32 v80, v88, v89
	v_lshrrev_b32_e32 v88, 16, v58
	v_and_b32_e32 v58, 0xffff, v58
	v_fmac_f32_e32 v57, v84, v90
	v_lshrrev_b32_e32 v84, 16, v81
	v_and_b32_e32 v81, 0xffff, v81
	;;#ASMSTART
	v_cvt_f32_f16 v81, v81;
	;;#ASMEND
	;;#ASMSTART
	v_cvt_f32_f16 v84, v84;
	;;#ASMEND
	;; [unrolled: 3-line block ×4, first 2 shown]
	v_dual_mul_f32 v81, v81, v58 :: v_dual_mul_f32 v58, v84, v88
	v_lshrrev_b32_e32 v84, 16, v82
	v_and_b32_e32 v82, 0xffff, v82
	;;#ASMSTART
	v_cvt_f32_f16 v82, v82;
	;;#ASMEND
	s_delay_alu instid0(VALU_DEP_3)
	v_dual_fmac_f32 v81, v85, v92 :: v_dual_fmac_f32 v58, v91, v93
	v_lshrrev_b32_e32 v85, 16, v59
	v_and_b32_e32 v59, 0xffff, v59
	;;#ASMSTART
	v_cvt_f32_f16 v84, v84;
	;;#ASMEND
	;;#ASMSTART
	v_cvt_f32_f16 v59, v59;
	;;#ASMEND
	;; [unrolled: 3-line block ×3, first 2 shown]
	s_delay_alu instid0(VALU_DEP_1)
	v_dual_mul_f32 v82, v82, v59 :: v_dual_mul_f32 v59, v84, v85
	v_lshrrev_b32_e32 v84, 16, v83
	v_and_b32_e32 v83, 0xffff, v83
	;;#ASMSTART
	v_cvt_f32_f16 v83, v83;
	;;#ASMEND
	v_lshrrev_b32_e32 v85, 16, v60
	v_and_b32_e32 v60, 0xffff, v60
	;;#ASMSTART
	v_cvt_f32_f16 v84, v84;
	;;#ASMEND
	;;#ASMSTART
	v_cvt_f32_f16 v60, v60;
	;;#ASMEND
	s_delay_alu instid0(VALU_DEP_1)
	v_mul_f32_e32 v83, v83, v60
	;;#ASMSTART
	v_cvt_f32_f16 v85, v85;
	;;#ASMEND
	v_fmac_f32_e32 v82, v86, v95
	v_mul_f32_e32 v60, v84, v85
	s_waitcnt vmcnt(13)
	v_lshrrev_b32_e32 v89, 16, v53
	v_fmac_f32_e32 v83, v87, v98
	ds_load_b128 v[84:87], v72 offset:32
	v_and_b32_e32 v53, 0xffff, v53
	v_dual_fmac_f32 v59, v94, v96 :: v_dual_fmac_f32 v60, v97, v99
	s_waitcnt lgkmcnt(0)
	v_lshrrev_b32_e32 v88, 16, v84
	v_and_b32_e32 v84, 0xffff, v84
	;;#ASMSTART
	v_cvt_f32_f16 v84, v84;
	;;#ASMEND
	;;#ASMSTART
	v_cvt_f32_f16 v88, v88;
	;;#ASMEND
	;; [unrolled: 3-line block ×3, first 2 shown]
	s_delay_alu instid0(VALU_DEP_1)
	v_fmac_f32_e32 v57, v84, v53
	v_lshrrev_b32_e32 v53, 16, v85
	v_and_b32_e32 v84, 0xffff, v85
	v_lshrrev_b32_e32 v85, 16, v54
	v_and_b32_e32 v54, 0xffff, v54
	;;#ASMSTART
	v_cvt_f32_f16 v89, v89;
	;;#ASMEND
	;;#ASMSTART
	v_cvt_f32_f16 v84, v84;
	;;#ASMEND
	;; [unrolled: 3-line block ×5, first 2 shown]
	v_dual_fmac_f32 v81, v84, v54 :: v_dual_fmac_f32 v58, v53, v85
	v_lshrrev_b32_e32 v53, 16, v86
	v_and_b32_e32 v54, 0xffff, v86
	v_lshrrev_b32_e32 v84, 16, v55
	v_and_b32_e32 v55, 0xffff, v55
	;;#ASMSTART
	v_cvt_f32_f16 v54, v54;
	;;#ASMEND
	;;#ASMSTART
	v_cvt_f32_f16 v53, v53;
	;;#ASMEND
	;; [unrolled: 3-line block ×4, first 2 shown]
	v_dual_fmac_f32 v82, v54, v55 :: v_dual_fmac_f32 v59, v53, v84
	v_lshrrev_b32_e32 v53, 16, v87
	v_and_b32_e32 v54, 0xffff, v87
	v_lshrrev_b32_e32 v55, 16, v56
	v_and_b32_e32 v56, 0xffff, v56
	;;#ASMSTART
	v_cvt_f32_f16 v54, v54;
	;;#ASMEND
	;;#ASMSTART
	v_cvt_f32_f16 v53, v53;
	;;#ASMEND
	;; [unrolled: 3-line block ×4, first 2 shown]
	v_dual_fmac_f32 v83, v54, v56 :: v_dual_fmac_f32 v60, v53, v55
	ds_load_b128 v[53:56], v72 offset:48
	s_waitcnt vmcnt(12)
	v_lshrrev_b32_e32 v85, 16, v49
	v_and_b32_e32 v49, 0xffff, v49
	v_fmac_f32_e32 v80, v88, v89
	s_waitcnt lgkmcnt(0)
	v_lshrrev_b32_e32 v84, 16, v53
	v_and_b32_e32 v53, 0xffff, v53
	;;#ASMSTART
	v_cvt_f32_f16 v53, v53;
	;;#ASMEND
	;;#ASMSTART
	v_cvt_f32_f16 v84, v84;
	;;#ASMEND
	;; [unrolled: 3-line block ×3, first 2 shown]
	s_delay_alu instid0(VALU_DEP_1)
	v_fmac_f32_e32 v57, v53, v49
	v_lshrrev_b32_e32 v49, 16, v54
	v_and_b32_e32 v53, 0xffff, v54
	v_lshrrev_b32_e32 v54, 16, v50
	v_and_b32_e32 v50, 0xffff, v50
	;;#ASMSTART
	v_cvt_f32_f16 v85, v85;
	;;#ASMEND
	;;#ASMSTART
	v_cvt_f32_f16 v53, v53;
	;;#ASMEND
	;; [unrolled: 3-line block ×5, first 2 shown]
	v_dual_fmac_f32 v81, v53, v50 :: v_dual_and_b32 v50, 0xffff, v55
	v_fmac_f32_e32 v58, v49, v54
	v_lshrrev_b32_e32 v49, 16, v55
	v_lshrrev_b32_e32 v53, 16, v51
	v_and_b32_e32 v51, 0xffff, v51
	;;#ASMSTART
	v_cvt_f32_f16 v50, v50;
	;;#ASMEND
	;;#ASMSTART
	v_cvt_f32_f16 v49, v49;
	;;#ASMEND
	;; [unrolled: 3-line block ×4, first 2 shown]
	v_dual_fmac_f32 v82, v50, v51 :: v_dual_fmac_f32 v59, v49, v53
	v_and_b32_e32 v50, 0xffff, v56
	v_lshrrev_b32_e32 v49, 16, v56
	v_lshrrev_b32_e32 v51, 16, v52
	v_and_b32_e32 v52, 0xffff, v52
	;;#ASMSTART
	v_cvt_f32_f16 v50, v50;
	;;#ASMEND
	;;#ASMSTART
	v_cvt_f32_f16 v49, v49;
	;;#ASMEND
	;; [unrolled: 3-line block ×4, first 2 shown]
	v_dual_fmac_f32 v83, v50, v52 :: v_dual_fmac_f32 v60, v49, v51
	ds_load_b128 v[49:52], v72 offset:64
	s_waitcnt vmcnt(11)
	v_lshrrev_b32_e32 v54, 16, v45
	v_and_b32_e32 v45, 0xffff, v45
	v_fmac_f32_e32 v80, v84, v85
	s_waitcnt lgkmcnt(0)
	v_lshrrev_b32_e32 v53, 16, v49
	v_and_b32_e32 v49, 0xffff, v49
	;;#ASMSTART
	v_cvt_f32_f16 v49, v49;
	;;#ASMEND
	;;#ASMSTART
	v_cvt_f32_f16 v53, v53;
	;;#ASMEND
	;; [unrolled: 3-line block ×3, first 2 shown]
	s_delay_alu instid0(VALU_DEP_1)
	v_fmac_f32_e32 v57, v49, v45
	v_lshrrev_b32_e32 v45, 16, v50
	v_and_b32_e32 v49, 0xffff, v50
	v_lshrrev_b32_e32 v50, 16, v46
	v_and_b32_e32 v46, 0xffff, v46
	;;#ASMSTART
	v_cvt_f32_f16 v54, v54;
	;;#ASMEND
	;;#ASMSTART
	v_cvt_f32_f16 v49, v49;
	;;#ASMEND
	;; [unrolled: 3-line block ×5, first 2 shown]
	v_dual_fmac_f32 v81, v49, v46 :: v_dual_and_b32 v46, 0xffff, v51
	v_fmac_f32_e32 v58, v45, v50
	v_lshrrev_b32_e32 v45, 16, v51
	v_lshrrev_b32_e32 v49, 16, v47
	v_and_b32_e32 v47, 0xffff, v47
	;;#ASMSTART
	v_cvt_f32_f16 v46, v46;
	;;#ASMEND
	;;#ASMSTART
	v_cvt_f32_f16 v45, v45;
	;;#ASMEND
	;; [unrolled: 3-line block ×4, first 2 shown]
	v_dual_fmac_f32 v82, v46, v47 :: v_dual_fmac_f32 v59, v45, v49
	v_and_b32_e32 v46, 0xffff, v52
	v_lshrrev_b32_e32 v45, 16, v52
	v_lshrrev_b32_e32 v47, 16, v48
	v_and_b32_e32 v48, 0xffff, v48
	;;#ASMSTART
	v_cvt_f32_f16 v46, v46;
	;;#ASMEND
	;;#ASMSTART
	v_cvt_f32_f16 v45, v45;
	;;#ASMEND
	;; [unrolled: 3-line block ×4, first 2 shown]
	v_dual_fmac_f32 v83, v46, v48 :: v_dual_fmac_f32 v60, v45, v47
	ds_load_b128 v[45:48], v72 offset:80
	s_waitcnt vmcnt(10)
	v_lshrrev_b32_e32 v50, 16, v41
	v_dual_fmac_f32 v80, v53, v54 :: v_dual_and_b32 v41, 0xffff, v41
	s_waitcnt lgkmcnt(0)
	v_lshrrev_b32_e32 v49, 16, v45
	v_and_b32_e32 v45, 0xffff, v45
	;;#ASMSTART
	v_cvt_f32_f16 v45, v45;
	;;#ASMEND
	;;#ASMSTART
	v_cvt_f32_f16 v49, v49;
	;;#ASMEND
	;; [unrolled: 3-line block ×3, first 2 shown]
	s_delay_alu instid0(VALU_DEP_1)
	v_fmac_f32_e32 v57, v45, v41
	v_lshrrev_b32_e32 v41, 16, v46
	v_and_b32_e32 v45, 0xffff, v46
	v_lshrrev_b32_e32 v46, 16, v42
	v_and_b32_e32 v42, 0xffff, v42
	;;#ASMSTART
	v_cvt_f32_f16 v50, v50;
	;;#ASMEND
	;;#ASMSTART
	v_cvt_f32_f16 v45, v45;
	;;#ASMEND
	;; [unrolled: 3-line block ×5, first 2 shown]
	v_dual_fmac_f32 v81, v45, v42 :: v_dual_and_b32 v42, 0xffff, v47
	v_fmac_f32_e32 v58, v41, v46
	v_lshrrev_b32_e32 v41, 16, v47
	v_lshrrev_b32_e32 v45, 16, v43
	v_and_b32_e32 v43, 0xffff, v43
	;;#ASMSTART
	v_cvt_f32_f16 v42, v42;
	;;#ASMEND
	;;#ASMSTART
	v_cvt_f32_f16 v41, v41;
	;;#ASMEND
	;; [unrolled: 3-line block ×4, first 2 shown]
	v_dual_fmac_f32 v82, v42, v43 :: v_dual_fmac_f32 v59, v41, v45
	v_and_b32_e32 v42, 0xffff, v48
	v_lshrrev_b32_e32 v41, 16, v48
	v_lshrrev_b32_e32 v43, 16, v44
	v_and_b32_e32 v44, 0xffff, v44
	;;#ASMSTART
	v_cvt_f32_f16 v42, v42;
	;;#ASMEND
	;;#ASMSTART
	v_cvt_f32_f16 v41, v41;
	;;#ASMEND
	;; [unrolled: 3-line block ×4, first 2 shown]
	v_dual_fmac_f32 v83, v42, v44 :: v_dual_fmac_f32 v60, v41, v43
	ds_load_b128 v[41:44], v72 offset:96
	s_waitcnt vmcnt(9)
	v_lshrrev_b32_e32 v46, 16, v37
	v_dual_fmac_f32 v80, v49, v50 :: v_dual_and_b32 v37, 0xffff, v37
	s_waitcnt lgkmcnt(0)
	v_lshrrev_b32_e32 v45, 16, v41
	v_and_b32_e32 v41, 0xffff, v41
	;;#ASMSTART
	v_cvt_f32_f16 v41, v41;
	;;#ASMEND
	;;#ASMSTART
	v_cvt_f32_f16 v45, v45;
	;;#ASMEND
	;; [unrolled: 3-line block ×3, first 2 shown]
	s_delay_alu instid0(VALU_DEP_1)
	v_fmac_f32_e32 v57, v41, v37
	v_lshrrev_b32_e32 v37, 16, v42
	v_and_b32_e32 v41, 0xffff, v42
	v_lshrrev_b32_e32 v42, 16, v38
	v_and_b32_e32 v38, 0xffff, v38
	;;#ASMSTART
	v_cvt_f32_f16 v46, v46;
	;;#ASMEND
	;;#ASMSTART
	v_cvt_f32_f16 v41, v41;
	;;#ASMEND
	;;#ASMSTART
	v_cvt_f32_f16 v37, v37;
	;;#ASMEND
	;;#ASMSTART
	v_cvt_f32_f16 v38, v38;
	;;#ASMEND
	;;#ASMSTART
	v_cvt_f32_f16 v42, v42;
	;;#ASMEND
	v_dual_fmac_f32 v81, v41, v38 :: v_dual_and_b32 v38, 0xffff, v43
	v_fmac_f32_e32 v58, v37, v42
	v_lshrrev_b32_e32 v37, 16, v43
	v_lshrrev_b32_e32 v41, 16, v39
	v_and_b32_e32 v39, 0xffff, v39
	;;#ASMSTART
	v_cvt_f32_f16 v38, v38;
	;;#ASMEND
	;;#ASMSTART
	v_cvt_f32_f16 v37, v37;
	;;#ASMEND
	;; [unrolled: 3-line block ×4, first 2 shown]
	v_dual_fmac_f32 v82, v38, v39 :: v_dual_fmac_f32 v59, v37, v41
	v_and_b32_e32 v38, 0xffff, v44
	v_lshrrev_b32_e32 v37, 16, v44
	v_lshrrev_b32_e32 v39, 16, v40
	v_and_b32_e32 v40, 0xffff, v40
	;;#ASMSTART
	v_cvt_f32_f16 v38, v38;
	;;#ASMEND
	;;#ASMSTART
	v_cvt_f32_f16 v37, v37;
	;;#ASMEND
	;; [unrolled: 3-line block ×4, first 2 shown]
	v_dual_fmac_f32 v83, v38, v40 :: v_dual_fmac_f32 v60, v37, v39
	ds_load_b128 v[37:40], v72 offset:112
	s_waitcnt vmcnt(8)
	v_lshrrev_b32_e32 v42, 16, v33
	v_dual_fmac_f32 v80, v45, v46 :: v_dual_and_b32 v33, 0xffff, v33
	s_waitcnt lgkmcnt(0)
	v_lshrrev_b32_e32 v41, 16, v37
	v_and_b32_e32 v37, 0xffff, v37
	;;#ASMSTART
	v_cvt_f32_f16 v37, v37;
	;;#ASMEND
	;;#ASMSTART
	v_cvt_f32_f16 v41, v41;
	;;#ASMEND
	;;#ASMSTART
	v_cvt_f32_f16 v33, v33;
	;;#ASMEND
	s_delay_alu instid0(VALU_DEP_1)
	v_fmac_f32_e32 v57, v37, v33
	v_lshrrev_b32_e32 v33, 16, v38
	v_and_b32_e32 v37, 0xffff, v38
	v_lshrrev_b32_e32 v38, 16, v34
	v_and_b32_e32 v34, 0xffff, v34
	;;#ASMSTART
	v_cvt_f32_f16 v42, v42;
	;;#ASMEND
	;;#ASMSTART
	v_cvt_f32_f16 v37, v37;
	;;#ASMEND
	;; [unrolled: 3-line block ×5, first 2 shown]
	v_dual_fmac_f32 v81, v37, v34 :: v_dual_and_b32 v34, 0xffff, v39
	v_fmac_f32_e32 v58, v33, v38
	v_lshrrev_b32_e32 v33, 16, v39
	v_lshrrev_b32_e32 v37, 16, v35
	v_and_b32_e32 v35, 0xffff, v35
	;;#ASMSTART
	v_cvt_f32_f16 v34, v34;
	;;#ASMEND
	;;#ASMSTART
	v_cvt_f32_f16 v33, v33;
	;;#ASMEND
	;; [unrolled: 3-line block ×4, first 2 shown]
	v_dual_fmac_f32 v82, v34, v35 :: v_dual_fmac_f32 v59, v33, v37
	v_and_b32_e32 v34, 0xffff, v40
	v_lshrrev_b32_e32 v33, 16, v40
	v_lshrrev_b32_e32 v35, 16, v36
	v_and_b32_e32 v36, 0xffff, v36
	;;#ASMSTART
	v_cvt_f32_f16 v34, v34;
	;;#ASMEND
	;;#ASMSTART
	v_cvt_f32_f16 v33, v33;
	;;#ASMEND
	;; [unrolled: 3-line block ×4, first 2 shown]
	v_dual_fmac_f32 v83, v34, v36 :: v_dual_fmac_f32 v60, v33, v35
	ds_load_b128 v[33:36], v72 offset:128
	s_waitcnt vmcnt(7)
	v_lshrrev_b32_e32 v38, 16, v29
	v_dual_fmac_f32 v80, v41, v42 :: v_dual_and_b32 v29, 0xffff, v29
	s_waitcnt lgkmcnt(0)
	v_lshrrev_b32_e32 v37, 16, v33
	v_and_b32_e32 v33, 0xffff, v33
	;;#ASMSTART
	v_cvt_f32_f16 v33, v33;
	;;#ASMEND
	;;#ASMSTART
	v_cvt_f32_f16 v37, v37;
	;;#ASMEND
	;; [unrolled: 3-line block ×3, first 2 shown]
	s_delay_alu instid0(VALU_DEP_1)
	v_fmac_f32_e32 v57, v33, v29
	v_lshrrev_b32_e32 v29, 16, v34
	v_and_b32_e32 v33, 0xffff, v34
	v_lshrrev_b32_e32 v34, 16, v30
	v_and_b32_e32 v30, 0xffff, v30
	;;#ASMSTART
	v_cvt_f32_f16 v38, v38;
	;;#ASMEND
	;;#ASMSTART
	v_cvt_f32_f16 v33, v33;
	;;#ASMEND
	;; [unrolled: 3-line block ×5, first 2 shown]
	v_dual_fmac_f32 v81, v33, v30 :: v_dual_and_b32 v30, 0xffff, v35
	v_fmac_f32_e32 v58, v29, v34
	v_lshrrev_b32_e32 v29, 16, v35
	v_lshrrev_b32_e32 v33, 16, v31
	v_and_b32_e32 v31, 0xffff, v31
	;;#ASMSTART
	v_cvt_f32_f16 v30, v30;
	;;#ASMEND
	;;#ASMSTART
	v_cvt_f32_f16 v29, v29;
	;;#ASMEND
	;; [unrolled: 3-line block ×4, first 2 shown]
	v_dual_fmac_f32 v82, v30, v31 :: v_dual_fmac_f32 v59, v29, v33
	v_and_b32_e32 v30, 0xffff, v36
	v_lshrrev_b32_e32 v29, 16, v36
	v_lshrrev_b32_e32 v31, 16, v32
	v_and_b32_e32 v32, 0xffff, v32
	;;#ASMSTART
	v_cvt_f32_f16 v30, v30;
	;;#ASMEND
	;;#ASMSTART
	v_cvt_f32_f16 v29, v29;
	;;#ASMEND
	;; [unrolled: 3-line block ×4, first 2 shown]
	v_dual_fmac_f32 v83, v30, v32 :: v_dual_fmac_f32 v60, v29, v31
	ds_load_b128 v[29:32], v72 offset:144
	s_waitcnt vmcnt(6)
	v_lshrrev_b32_e32 v34, 16, v25
	v_dual_fmac_f32 v80, v37, v38 :: v_dual_and_b32 v25, 0xffff, v25
	s_waitcnt lgkmcnt(0)
	v_lshrrev_b32_e32 v33, 16, v29
	v_and_b32_e32 v29, 0xffff, v29
	;;#ASMSTART
	v_cvt_f32_f16 v29, v29;
	;;#ASMEND
	;;#ASMSTART
	v_cvt_f32_f16 v33, v33;
	;;#ASMEND
	;; [unrolled: 3-line block ×3, first 2 shown]
	s_delay_alu instid0(VALU_DEP_1)
	v_fmac_f32_e32 v57, v29, v25
	v_lshrrev_b32_e32 v25, 16, v30
	v_and_b32_e32 v29, 0xffff, v30
	v_lshrrev_b32_e32 v30, 16, v26
	v_and_b32_e32 v26, 0xffff, v26
	;;#ASMSTART
	v_cvt_f32_f16 v34, v34;
	;;#ASMEND
	;;#ASMSTART
	v_cvt_f32_f16 v29, v29;
	;;#ASMEND
	;; [unrolled: 3-line block ×5, first 2 shown]
	v_dual_fmac_f32 v81, v29, v26 :: v_dual_and_b32 v26, 0xffff, v31
	v_fmac_f32_e32 v58, v25, v30
	v_lshrrev_b32_e32 v25, 16, v31
	v_lshrrev_b32_e32 v29, 16, v27
	v_and_b32_e32 v27, 0xffff, v27
	;;#ASMSTART
	v_cvt_f32_f16 v26, v26;
	;;#ASMEND
	;;#ASMSTART
	v_cvt_f32_f16 v25, v25;
	;;#ASMEND
	;; [unrolled: 3-line block ×4, first 2 shown]
	v_dual_fmac_f32 v82, v26, v27 :: v_dual_fmac_f32 v59, v25, v29
	v_and_b32_e32 v26, 0xffff, v32
	v_lshrrev_b32_e32 v25, 16, v32
	v_lshrrev_b32_e32 v27, 16, v28
	v_and_b32_e32 v28, 0xffff, v28
	;;#ASMSTART
	v_cvt_f32_f16 v26, v26;
	;;#ASMEND
	;;#ASMSTART
	v_cvt_f32_f16 v25, v25;
	;;#ASMEND
	;; [unrolled: 3-line block ×4, first 2 shown]
	v_dual_fmac_f32 v83, v26, v28 :: v_dual_fmac_f32 v60, v25, v27
	ds_load_b128 v[25:28], v72 offset:160
	s_waitcnt vmcnt(5)
	v_lshrrev_b32_e32 v30, 16, v21
	v_dual_fmac_f32 v80, v33, v34 :: v_dual_and_b32 v21, 0xffff, v21
	s_waitcnt lgkmcnt(0)
	v_lshrrev_b32_e32 v29, 16, v25
	v_and_b32_e32 v25, 0xffff, v25
	;;#ASMSTART
	v_cvt_f32_f16 v25, v25;
	;;#ASMEND
	;;#ASMSTART
	v_cvt_f32_f16 v29, v29;
	;;#ASMEND
	;; [unrolled: 3-line block ×3, first 2 shown]
	s_delay_alu instid0(VALU_DEP_1)
	v_fmac_f32_e32 v57, v25, v21
	v_lshrrev_b32_e32 v21, 16, v26
	v_and_b32_e32 v25, 0xffff, v26
	v_lshrrev_b32_e32 v26, 16, v22
	v_and_b32_e32 v22, 0xffff, v22
	;;#ASMSTART
	v_cvt_f32_f16 v30, v30;
	;;#ASMEND
	;;#ASMSTART
	v_cvt_f32_f16 v25, v25;
	;;#ASMEND
	;; [unrolled: 3-line block ×5, first 2 shown]
	v_dual_fmac_f32 v81, v25, v22 :: v_dual_and_b32 v22, 0xffff, v27
	v_fmac_f32_e32 v58, v21, v26
	v_lshrrev_b32_e32 v21, 16, v27
	v_lshrrev_b32_e32 v25, 16, v23
	v_and_b32_e32 v23, 0xffff, v23
	;;#ASMSTART
	v_cvt_f32_f16 v22, v22;
	;;#ASMEND
	;;#ASMSTART
	v_cvt_f32_f16 v21, v21;
	;;#ASMEND
	;; [unrolled: 3-line block ×4, first 2 shown]
	v_dual_fmac_f32 v82, v22, v23 :: v_dual_fmac_f32 v59, v21, v25
	v_and_b32_e32 v22, 0xffff, v28
	v_lshrrev_b32_e32 v21, 16, v28
	v_lshrrev_b32_e32 v23, 16, v24
	v_and_b32_e32 v24, 0xffff, v24
	;;#ASMSTART
	v_cvt_f32_f16 v22, v22;
	;;#ASMEND
	;;#ASMSTART
	v_cvt_f32_f16 v21, v21;
	;;#ASMEND
	;; [unrolled: 3-line block ×4, first 2 shown]
	v_dual_fmac_f32 v83, v22, v24 :: v_dual_fmac_f32 v60, v21, v23
	ds_load_b128 v[21:24], v72 offset:176
	s_waitcnt vmcnt(4)
	v_lshrrev_b32_e32 v26, 16, v17
	v_dual_fmac_f32 v80, v29, v30 :: v_dual_and_b32 v17, 0xffff, v17
	s_waitcnt lgkmcnt(0)
	v_lshrrev_b32_e32 v25, 16, v21
	v_and_b32_e32 v21, 0xffff, v21
	;;#ASMSTART
	v_cvt_f32_f16 v21, v21;
	;;#ASMEND
	;;#ASMSTART
	v_cvt_f32_f16 v25, v25;
	;;#ASMEND
	;; [unrolled: 3-line block ×3, first 2 shown]
	s_delay_alu instid0(VALU_DEP_1)
	v_fmac_f32_e32 v57, v21, v17
	v_lshrrev_b32_e32 v17, 16, v22
	v_and_b32_e32 v21, 0xffff, v22
	v_lshrrev_b32_e32 v22, 16, v18
	v_and_b32_e32 v18, 0xffff, v18
	;;#ASMSTART
	v_cvt_f32_f16 v26, v26;
	;;#ASMEND
	;;#ASMSTART
	v_cvt_f32_f16 v21, v21;
	;;#ASMEND
	;; [unrolled: 3-line block ×5, first 2 shown]
	v_dual_fmac_f32 v81, v21, v18 :: v_dual_and_b32 v18, 0xffff, v23
	v_fmac_f32_e32 v58, v17, v22
	v_lshrrev_b32_e32 v17, 16, v23
	v_lshrrev_b32_e32 v21, 16, v19
	v_and_b32_e32 v19, 0xffff, v19
	;;#ASMSTART
	v_cvt_f32_f16 v18, v18;
	;;#ASMEND
	;;#ASMSTART
	v_cvt_f32_f16 v17, v17;
	;;#ASMEND
	;; [unrolled: 3-line block ×4, first 2 shown]
	v_dual_fmac_f32 v82, v18, v19 :: v_dual_fmac_f32 v59, v17, v21
	v_and_b32_e32 v18, 0xffff, v24
	v_lshrrev_b32_e32 v17, 16, v24
	v_lshrrev_b32_e32 v19, 16, v20
	v_and_b32_e32 v20, 0xffff, v20
	;;#ASMSTART
	v_cvt_f32_f16 v18, v18;
	;;#ASMEND
	;;#ASMSTART
	v_cvt_f32_f16 v17, v17;
	;;#ASMEND
	;;#ASMSTART
	v_cvt_f32_f16 v20, v20;
	;;#ASMEND
	;;#ASMSTART
	v_cvt_f32_f16 v19, v19;
	;;#ASMEND
	v_dual_fmac_f32 v83, v18, v20 :: v_dual_fmac_f32 v60, v17, v19
	ds_load_b128 v[17:20], v72 offset:192
	s_waitcnt vmcnt(3)
	v_lshrrev_b32_e32 v22, 16, v13
	v_dual_fmac_f32 v80, v25, v26 :: v_dual_and_b32 v13, 0xffff, v13
	s_waitcnt lgkmcnt(0)
	v_lshrrev_b32_e32 v21, 16, v17
	v_and_b32_e32 v17, 0xffff, v17
	;;#ASMSTART
	v_cvt_f32_f16 v17, v17;
	;;#ASMEND
	;;#ASMSTART
	v_cvt_f32_f16 v21, v21;
	;;#ASMEND
	;; [unrolled: 3-line block ×3, first 2 shown]
	s_delay_alu instid0(VALU_DEP_1)
	v_fmac_f32_e32 v57, v17, v13
	v_lshrrev_b32_e32 v13, 16, v18
	v_and_b32_e32 v17, 0xffff, v18
	v_lshrrev_b32_e32 v18, 16, v14
	v_and_b32_e32 v14, 0xffff, v14
	;;#ASMSTART
	v_cvt_f32_f16 v22, v22;
	;;#ASMEND
	;;#ASMSTART
	v_cvt_f32_f16 v17, v17;
	;;#ASMEND
	;; [unrolled: 3-line block ×5, first 2 shown]
	v_dual_fmac_f32 v81, v17, v14 :: v_dual_and_b32 v14, 0xffff, v19
	v_fmac_f32_e32 v58, v13, v18
	v_lshrrev_b32_e32 v13, 16, v19
	v_lshrrev_b32_e32 v17, 16, v15
	v_and_b32_e32 v15, 0xffff, v15
	;;#ASMSTART
	v_cvt_f32_f16 v14, v14;
	;;#ASMEND
	;;#ASMSTART
	v_cvt_f32_f16 v13, v13;
	;;#ASMEND
	;; [unrolled: 3-line block ×4, first 2 shown]
	v_dual_fmac_f32 v82, v14, v15 :: v_dual_fmac_f32 v59, v13, v17
	v_and_b32_e32 v14, 0xffff, v20
	v_lshrrev_b32_e32 v13, 16, v20
	v_lshrrev_b32_e32 v15, 16, v16
	v_and_b32_e32 v16, 0xffff, v16
	;;#ASMSTART
	v_cvt_f32_f16 v14, v14;
	;;#ASMEND
	;;#ASMSTART
	v_cvt_f32_f16 v13, v13;
	;;#ASMEND
	;;#ASMSTART
	v_cvt_f32_f16 v16, v16;
	;;#ASMEND
	;;#ASMSTART
	v_cvt_f32_f16 v15, v15;
	;;#ASMEND
	v_dual_fmac_f32 v83, v14, v16 :: v_dual_fmac_f32 v60, v13, v15
	ds_load_b128 v[13:16], v72 offset:208
	s_waitcnt vmcnt(2)
	v_lshrrev_b32_e32 v18, 16, v9
	v_dual_fmac_f32 v80, v21, v22 :: v_dual_and_b32 v9, 0xffff, v9
	s_waitcnt lgkmcnt(0)
	v_lshrrev_b32_e32 v17, 16, v13
	v_and_b32_e32 v13, 0xffff, v13
	;;#ASMSTART
	v_cvt_f32_f16 v13, v13;
	;;#ASMEND
	;;#ASMSTART
	v_cvt_f32_f16 v17, v17;
	;;#ASMEND
	;; [unrolled: 3-line block ×3, first 2 shown]
	s_delay_alu instid0(VALU_DEP_1)
	v_fmac_f32_e32 v57, v13, v9
	v_lshrrev_b32_e32 v9, 16, v14
	v_and_b32_e32 v13, 0xffff, v14
	v_lshrrev_b32_e32 v14, 16, v10
	v_and_b32_e32 v10, 0xffff, v10
	;;#ASMSTART
	v_cvt_f32_f16 v18, v18;
	;;#ASMEND
	;;#ASMSTART
	v_cvt_f32_f16 v13, v13;
	;;#ASMEND
	;; [unrolled: 3-line block ×5, first 2 shown]
	v_dual_fmac_f32 v81, v13, v10 :: v_dual_and_b32 v10, 0xffff, v15
	v_fmac_f32_e32 v58, v9, v14
	v_lshrrev_b32_e32 v9, 16, v15
	v_lshrrev_b32_e32 v13, 16, v11
	v_and_b32_e32 v11, 0xffff, v11
	;;#ASMSTART
	v_cvt_f32_f16 v10, v10;
	;;#ASMEND
	;;#ASMSTART
	v_cvt_f32_f16 v9, v9;
	;;#ASMEND
	;; [unrolled: 3-line block ×4, first 2 shown]
	v_dual_fmac_f32 v82, v10, v11 :: v_dual_fmac_f32 v59, v9, v13
	v_and_b32_e32 v10, 0xffff, v16
	v_lshrrev_b32_e32 v9, 16, v16
	v_lshrrev_b32_e32 v11, 16, v12
	v_and_b32_e32 v12, 0xffff, v12
	;;#ASMSTART
	v_cvt_f32_f16 v10, v10;
	;;#ASMEND
	;;#ASMSTART
	v_cvt_f32_f16 v9, v9;
	;;#ASMEND
	;; [unrolled: 3-line block ×4, first 2 shown]
	v_dual_fmac_f32 v83, v10, v12 :: v_dual_fmac_f32 v60, v9, v11
	ds_load_b128 v[9:12], v72 offset:224
	s_waitcnt vmcnt(1)
	v_lshrrev_b32_e32 v14, 16, v5
	v_dual_fmac_f32 v80, v17, v18 :: v_dual_and_b32 v5, 0xffff, v5
	s_waitcnt lgkmcnt(0)
	v_lshrrev_b32_e32 v13, 16, v9
	v_and_b32_e32 v9, 0xffff, v9
	;;#ASMSTART
	v_cvt_f32_f16 v9, v9;
	;;#ASMEND
	;;#ASMSTART
	v_cvt_f32_f16 v13, v13;
	;;#ASMEND
	;; [unrolled: 3-line block ×3, first 2 shown]
	s_delay_alu instid0(VALU_DEP_1)
	v_fmac_f32_e32 v57, v9, v5
	v_lshrrev_b32_e32 v5, 16, v10
	v_and_b32_e32 v9, 0xffff, v10
	v_lshrrev_b32_e32 v10, 16, v6
	v_and_b32_e32 v6, 0xffff, v6
	;;#ASMSTART
	v_cvt_f32_f16 v14, v14;
	;;#ASMEND
	;;#ASMSTART
	v_cvt_f32_f16 v9, v9;
	;;#ASMEND
	;;#ASMSTART
	v_cvt_f32_f16 v5, v5;
	;;#ASMEND
	;;#ASMSTART
	v_cvt_f32_f16 v6, v6;
	;;#ASMEND
	;;#ASMSTART
	v_cvt_f32_f16 v10, v10;
	;;#ASMEND
	v_dual_fmac_f32 v81, v9, v6 :: v_dual_and_b32 v6, 0xffff, v11
	v_fmac_f32_e32 v58, v5, v10
	v_lshrrev_b32_e32 v5, 16, v11
	v_lshrrev_b32_e32 v9, 16, v7
	v_and_b32_e32 v7, 0xffff, v7
	;;#ASMSTART
	v_cvt_f32_f16 v6, v6;
	;;#ASMEND
	;;#ASMSTART
	v_cvt_f32_f16 v5, v5;
	;;#ASMEND
	;;#ASMSTART
	v_cvt_f32_f16 v7, v7;
	;;#ASMEND
	;;#ASMSTART
	v_cvt_f32_f16 v9, v9;
	;;#ASMEND
	v_dual_fmac_f32 v82, v6, v7 :: v_dual_fmac_f32 v59, v5, v9
	v_and_b32_e32 v6, 0xffff, v12
	v_lshrrev_b32_e32 v5, 16, v12
	v_lshrrev_b32_e32 v7, 16, v8
	v_and_b32_e32 v8, 0xffff, v8
	;;#ASMSTART
	v_cvt_f32_f16 v6, v6;
	;;#ASMEND
	;;#ASMSTART
	v_cvt_f32_f16 v5, v5;
	;;#ASMEND
	;;#ASMSTART
	v_cvt_f32_f16 v8, v8;
	;;#ASMEND
	;;#ASMSTART
	v_cvt_f32_f16 v7, v7;
	;;#ASMEND
	v_dual_fmac_f32 v83, v6, v8 :: v_dual_fmac_f32 v60, v5, v7
	ds_load_b128 v[5:8], v72 offset:240
	v_fmac_f32_e32 v80, v13, v14
	s_waitcnt vmcnt(0)
	v_lshrrev_b32_e32 v10, 16, v1
	v_and_b32_e32 v1, 0xffff, v1
	s_waitcnt lgkmcnt(0)
	v_lshrrev_b32_e32 v9, 16, v5
	v_and_b32_e32 v5, 0xffff, v5
	;;#ASMSTART
	v_cvt_f32_f16 v5, v5;
	;;#ASMEND
	;;#ASMSTART
	v_cvt_f32_f16 v9, v9;
	;;#ASMEND
	;; [unrolled: 3-line block ×3, first 2 shown]
	s_delay_alu instid0(VALU_DEP_1)
	v_fmac_f32_e32 v57, v5, v1
	v_lshrrev_b32_e32 v1, 16, v6
	v_and_b32_e32 v5, 0xffff, v6
	v_lshrrev_b32_e32 v6, 16, v2
	v_and_b32_e32 v2, 0xffff, v2
	;;#ASMSTART
	v_cvt_f32_f16 v10, v10;
	;;#ASMEND
	v_fmac_f32_e32 v80, v9, v10
	;;#ASMSTART
	v_cvt_f32_f16 v5, v5;
	;;#ASMEND
	;;#ASMSTART
	v_cvt_f32_f16 v1, v1;
	;;#ASMEND
	;; [unrolled: 3-line block ×4, first 2 shown]
	v_dual_fmac_f32 v81, v5, v2 :: v_dual_and_b32 v2, 0xffff, v7
	v_fmac_f32_e32 v58, v1, v6
	v_lshrrev_b32_e32 v1, 16, v7
	;;#ASMSTART
	v_cvt_f32_f16 v2, v2;
	;;#ASMEND
	;;#ASMSTART
	v_cvt_f32_f16 v1, v1;
	;;#ASMEND
	v_lshrrev_b32_e32 v5, 16, v3
	v_and_b32_e32 v3, 0xffff, v3
	;;#ASMSTART
	v_cvt_f32_f16 v3, v3;
	;;#ASMEND
	;;#ASMSTART
	v_cvt_f32_f16 v5, v5;
	;;#ASMEND
	s_delay_alu instid0(VALU_DEP_1)
	v_dual_fmac_f32 v82, v2, v3 :: v_dual_fmac_f32 v59, v1, v5
	v_and_b32_e32 v2, 0xffff, v8
	v_lshrrev_b32_e32 v1, 16, v8
	;;#ASMSTART
	v_cvt_f32_f16 v2, v2;
	;;#ASMEND
	;;#ASMSTART
	v_cvt_f32_f16 v1, v1;
	;;#ASMEND
	v_lshrrev_b32_e32 v3, 16, v4
	v_and_b32_e32 v4, 0xffff, v4
	;;#ASMSTART
	v_cvt_f32_f16 v4, v4;
	;;#ASMEND
	;;#ASMSTART
	v_cvt_f32_f16 v3, v3;
	;;#ASMEND
	s_delay_alu instid0(VALU_DEP_2) | instskip(SKIP_2) | instid1(VALU_DEP_2)
	v_fmac_f32_e32 v60, v1, v3
	v_add_f32_e32 v1, v57, v80
	v_fmac_f32_e32 v83, v2, v4
	v_add_f32_e32 v1, v1, v81
	s_delay_alu instid0(VALU_DEP_1) | instskip(NEXT) | instid1(VALU_DEP_1)
	v_add_f32_e32 v1, v58, v1
	v_add_f32_e32 v1, v1, v82
	s_delay_alu instid0(VALU_DEP_1) | instskip(NEXT) | instid1(VALU_DEP_1)
	v_add_f32_e32 v1, v59, v1
	;; [unrolled: 3-line block ×3, first 2 shown]
	v_fmac_f32_e32 v79, s3, v1
	s_delay_alu instid0(VALU_DEP_1) | instskip(SKIP_2) | instid1(VALU_DEP_1)
	v_cndmask_b32_e64 v1, 0, v79, s0
	ds_store_b32 v74, v1
	v_max_f32_e32 v1, v69, v69
	v_max_f32_e32 v1, v1, v79
	s_delay_alu instid0(VALU_DEP_1)
	v_cndmask_b32_e64 v69, v69, v1, s0
	s_branch .LBB116_11
.LBB116_16:
	s_or_b32 exec_lo, exec_lo, s41
.LBB116_17:
	s_delay_alu instid0(SALU_CYCLE_1) | instskip(SKIP_2) | instid1(VALU_DEP_2)
	s_or_b32 exec_lo, exec_lo, s39
	v_mbcnt_lo_u32_b32 v1, -1, 0
	v_max_f32_e32 v5, v69, v69
	v_xor_b32_e32 v2, 16, v1
	v_xor_b32_e32 v4, 8, v1
	s_delay_alu instid0(VALU_DEP_2) | instskip(SKIP_1) | instid1(VALU_DEP_3)
	v_cmp_gt_i32_e32 vcc_lo, 32, v2
	v_cndmask_b32_e32 v2, v1, v2, vcc_lo
	v_cmp_gt_i32_e32 vcc_lo, 32, v4
	s_delay_alu instid0(VALU_DEP_2) | instskip(SKIP_4) | instid1(VALU_DEP_1)
	v_lshlrev_b32_e32 v2, 2, v2
	v_cndmask_b32_e32 v4, v1, v4, vcc_lo
	ds_bpermute_b32 v3, v2, v69
	s_waitcnt lgkmcnt(0)
	v_dual_max_f32 v6, v3, v3 :: v_dual_lshlrev_b32 v3, 2, v4
	v_max_f32_e32 v4, v5, v6
	v_xor_b32_e32 v6, 4, v1
	ds_bpermute_b32 v5, v3, v4
	v_cmp_gt_i32_e32 vcc_lo, 32, v6
	v_cndmask_b32_e32 v6, v1, v6, vcc_lo
	s_waitcnt lgkmcnt(0)
	v_max_f32_e32 v7, v5, v5
	s_delay_alu instid0(VALU_DEP_1)
	v_dual_max_f32 v4, v4, v7 :: v_dual_lshlrev_b32 v5, 2, v6
	v_xor_b32_e32 v7, 2, v1
	ds_bpermute_b32 v6, v5, v4
	v_cmp_gt_i32_e32 vcc_lo, 32, v7
	s_waitcnt lgkmcnt(0)
	v_dual_cndmask_b32 v7, v1, v7 :: v_dual_max_f32 v6, v6, v6
	s_delay_alu instid0(VALU_DEP_1) | instskip(NEXT) | instid1(VALU_DEP_2)
	v_max_f32_e32 v4, v4, v6
	v_lshlrev_b32_e32 v10, 2, v7
	v_xor_b32_e32 v7, 1, v1
	s_delay_alu instid0(VALU_DEP_1)
	v_cmp_gt_i32_e32 vcc_lo, 32, v7
	v_cndmask_b32_e32 v7, v1, v7, vcc_lo
	ds_bpermute_b32 v6, v10, v4
	v_cmp_eq_u32_e32 vcc_lo, 0, v66
	s_waitcnt lgkmcnt(0)
	v_dual_max_f32 v6, v6, v6 :: v_dual_lshlrev_b32 v9, 2, v7
	s_delay_alu instid0(VALU_DEP_1)
	v_dual_max_f32 v1, v4, v6 :: v_dual_lshlrev_b32 v6, 2, v65
	ds_bpermute_b32 v4, v9, v1
	s_and_saveexec_b32 s0, vcc_lo
	s_cbranch_execz .LBB116_19
; %bb.18:
	s_waitcnt lgkmcnt(0)
	v_dual_max_f32 v4, v4, v4 :: v_dual_max_f32 v1, v1, v1
	s_delay_alu instid0(VALU_DEP_1)
	v_max_f32_e32 v1, v1, v4
	ds_store_b32 v6, v1 offset:256
.LBB116_19:
	s_or_b32 exec_lo, exec_lo, s0
	v_cmp_gt_u32_e64 s0, 4, v66
	v_mov_b32_e32 v1, 0xff7fffff
	s_waitcnt lgkmcnt(0)
	s_barrier
	buffer_gl0_inv
	s_and_saveexec_b32 s1, s0
	s_cbranch_execz .LBB116_21
; %bb.20:
	ds_load_b32 v1, v68 offset:256
.LBB116_21:
	s_or_b32 exec_lo, exec_lo, s1
	s_waitcnt lgkmcnt(0)
	ds_bpermute_b32 v4, v10, v1
	v_max_f32_e32 v1, v1, v1
	s_sub_i32 s1, s8, s38
	v_mov_b32_e32 v7, 0
	s_lshl_b32 s1, s1, 5
	s_delay_alu instid0(SALU_CYCLE_1) | instskip(NEXT) | instid1(SALU_CYCLE_1)
	s_add_i32 s1, s1, s15
	s_min_i32 s1, s1, s33
	s_delay_alu instid0(SALU_CYCLE_1) | instskip(NEXT) | instid1(SALU_CYCLE_1)
	s_sub_i32 s7, s1, s15
	v_cmp_gt_i32_e64 s1, s7, v0
	s_waitcnt lgkmcnt(0)
	v_max_f32_e32 v4, v4, v4
	s_delay_alu instid0(VALU_DEP_1) | instskip(SKIP_3) | instid1(VALU_DEP_1)
	v_max_f32_e32 v1, v1, v4
	ds_bpermute_b32 v4, v9, v1
	s_waitcnt lgkmcnt(0)
	v_max_f32_e32 v4, v4, v4
	v_max_f32_e32 v1, v1, v4
	v_lshl_add_u32 v4, v0, 2, 0x120
	ds_bpermute_b32 v1, v7, v1
	s_and_saveexec_b32 s15, s1
	s_cbranch_execz .LBB116_25
; %bb.22:
	v_lshl_add_u32 v8, v0, 2, 0x120
	v_mov_b32_e32 v7, 0
	v_mov_b32_e32 v11, v0
	s_mov_b32 s37, 0
	.p2align	6
.LBB116_23:                             ; =>This Inner Loop Header: Depth=1
	ds_load_b32 v12, v8
	v_add_nc_u32_e32 v11, 0x80, v11
	s_delay_alu instid0(VALU_DEP_1) | instskip(NEXT) | instid1(VALU_DEP_1)
	v_cmp_le_i32_e64 s3, s7, v11
	s_or_b32 s37, s3, s37
	s_waitcnt lgkmcnt(0)
	v_sub_f32_e32 v12, v12, v1
	s_delay_alu instid0(VALU_DEP_1) | instskip(NEXT) | instid1(VALU_DEP_1)
	v_mul_f32_e32 v12, 0x3fb8aa3b, v12
	v_exp_f32_e32 v12, v12
	ds_store_b32 v8, v12
	v_add_f32_e32 v7, v7, v12
	v_add_nc_u32_e32 v8, 0x200, v8
	s_and_not1_b32 exec_lo, exec_lo, s37
	s_cbranch_execnz .LBB116_23
; %bb.24:
	s_or_b32 exec_lo, exec_lo, s37
.LBB116_25:
	s_delay_alu instid0(SALU_CYCLE_1)
	s_or_b32 exec_lo, exec_lo, s15
	ds_bpermute_b32 v2, v2, v7
	s_waitcnt lgkmcnt(0)
	v_add_f32_e32 v2, v7, v2
	ds_bpermute_b32 v3, v3, v2
	s_waitcnt lgkmcnt(0)
	v_add_f32_e32 v2, v2, v3
	;; [unrolled: 3-line block ×5, first 2 shown]
	s_and_saveexec_b32 s3, vcc_lo
	s_cbranch_execz .LBB116_27
; %bb.26:
	ds_store_b32 v6, v2 offset:272
.LBB116_27:
	s_or_b32 exec_lo, exec_lo, s3
	s_waitcnt lgkmcnt(0)
	s_barrier
	buffer_gl0_inv
	s_and_saveexec_b32 s3, s0
	s_cbranch_execz .LBB116_29
; %bb.28:
	ds_load_b32 v2, v68 offset:272
.LBB116_29:
	s_or_b32 exec_lo, exec_lo, s3
	s_waitcnt lgkmcnt(0)
	ds_bpermute_b32 v3, v10, v2
	s_waitcnt lgkmcnt(0)
	v_add_f32_e32 v2, v2, v3
	ds_bpermute_b32 v3, v9, v2
	s_waitcnt lgkmcnt(0)
	v_dual_add_f32 v2, v2, v3 :: v_dual_mov_b32 v3, 0
	ds_bpermute_b32 v2, v3, v2
	s_and_saveexec_b32 s0, s1
	s_cbranch_execz .LBB116_32
; %bb.30:
	s_waitcnt lgkmcnt(0)
	v_add_f32_e32 v3, 0x358637bd, v2
	s_mov_b32 s1, 0
	s_delay_alu instid0(VALU_DEP_1) | instskip(SKIP_1) | instid1(VALU_DEP_2)
	v_div_scale_f32 v5, null, v3, v3, 1.0
	v_div_scale_f32 v8, vcc_lo, 1.0, v3, 1.0
	v_rcp_f32_e32 v6, v5
	s_waitcnt_depctr 0xfff
	v_fma_f32 v7, -v5, v6, 1.0
	s_delay_alu instid0(VALU_DEP_1) | instskip(NEXT) | instid1(VALU_DEP_1)
	v_fmac_f32_e32 v6, v7, v6
	v_mul_f32_e32 v7, v8, v6
	s_delay_alu instid0(VALU_DEP_1) | instskip(NEXT) | instid1(VALU_DEP_1)
	v_fma_f32 v11, -v5, v7, v8
	v_fmac_f32_e32 v7, v11, v6
	s_delay_alu instid0(VALU_DEP_1) | instskip(NEXT) | instid1(VALU_DEP_1)
	v_fma_f32 v5, -v5, v7, v8
	v_div_fmas_f32 v5, v5, v6, v7
	s_delay_alu instid0(VALU_DEP_1)
	v_div_fixup_f32 v3, v5, v3, 1.0
	v_mov_b32_e32 v5, v0
.LBB116_31:                             ; =>This Inner Loop Header: Depth=1
	ds_load_b32 v6, v4
	s_waitcnt lgkmcnt(0)
	v_dual_mul_f32 v6, v3, v6 :: v_dual_add_nc_u32 v5, 0x80, v5
	s_delay_alu instid0(VALU_DEP_1) | instskip(SKIP_3) | instid1(SALU_CYCLE_1)
	v_cmp_le_i32_e32 vcc_lo, s7, v5
	ds_store_b32 v4, v6
	v_add_nc_u32_e32 v4, 0x200, v4
	s_or_b32 s1, vcc_lo, s1
	s_and_not1_b32 exec_lo, exec_lo, s1
	s_cbranch_execnz .LBB116_31
.LBB116_32:
	s_or_b32 exec_lo, exec_lo, s0
	s_mul_i32 s0, s4, s14
	s_waitcnt lgkmcnt(0)
	s_mul_i32 s14, s0, s13
	s_mov_b32 s0, exec_lo
	s_barrier
	buffer_gl0_inv
	v_cmpx_eq_u32_e32 0, v0
	s_cbranch_execz .LBB116_34
; %bb.33:
	s_ashr_i32 s15, s14, 31
	s_mul_i32 s40, s4, s24
	s_lshl_b64 s[38:39], s[14:15], 2
	v_mov_b32_e32 v3, 0
	s_add_u32 s1, s18, s38
	s_addc_u32 s3, s19, s39
	s_ashr_i32 s41, s40, 31
	s_delay_alu instid0(SALU_CYCLE_1) | instskip(NEXT) | instid1(SALU_CYCLE_1)
	s_lshl_b64 s[18:19], s[40:41], 2
	s_add_u32 s1, s1, s18
	s_addc_u32 s3, s3, s19
	s_ashr_i32 s13, s12, 31
	s_delay_alu instid0(SALU_CYCLE_1) | instskip(NEXT) | instid1(SALU_CYCLE_1)
	s_lshl_b64 s[40:41], s[12:13], 2
	s_add_u32 s42, s1, s40
	s_addc_u32 s43, s3, s41
	s_add_u32 s1, s16, s38
	s_addc_u32 s3, s17, s39
	;; [unrolled: 2-line block ×4, first 2 shown]
	s_clause 0x1
	global_store_b32 v3, v1, s[42:43]
	global_store_b32 v3, v2, s[16:17]
.LBB116_34:
	s_or_b32 exec_lo, exec_lo, s0
	v_dual_mov_b32 v26, 0 :: v_dual_and_b32 v11, 3, v0
	v_dual_mov_b32 v27, 0 :: v_dual_mov_b32 v24, 0
	v_dual_mov_b32 v25, 0 :: v_dual_mov_b32 v22, 0
	;; [unrolled: 1-line block ×7, first 2 shown]
	v_mov_b32_e32 v13, 0
	s_mov_b32 s3, 0
	s_and_saveexec_b32 s1, s2
	s_cbranch_execz .LBB116_72
; %bb.35:
	s_ashr_i32 s7, s6, 31
	s_sub_i32 s2, s36, s9
	s_lshl_b64 s[6:7], s[6:7], 1
	v_dual_mov_b32 v12, 0 :: v_dual_lshlrev_b32 v3, 3, v0
	s_add_u32 s6, s30, s6
	s_addc_u32 s7, s31, s7
	s_abs_i32 s9, s10
	s_delay_alu instid0(VALU_DEP_1)
	v_and_b32_e32 v28, 24, v3
	v_cvt_f32_u32_e32 v1, s9
	v_and_b32_e32 v3, 0xf8, v3
	s_sub_i32 s0, 0, s9
	s_lshl_b64 s[18:19], s[28:29], 2
	s_add_i32 s35, s35, -1
	v_rcp_iflag_f32_e32 v4, v1
	v_lshlrev_b32_e32 v5, 5, v11
	v_or_b32_e32 v14, 0xb00, v3
	v_lshlrev_b64 v[1:2], 2, v[61:62]
	s_add_u32 s17, s26, s18
	s_addc_u32 s18, s27, s19
	s_delay_alu instid0(VALU_DEP_2) | instskip(SKIP_2) | instid1(TRANS32_DEP_1)
	v_dual_mov_b32 v19, 0 :: v_dual_lshlrev_b32 v34, 1, v14
	v_mov_b32_e32 v14, 0
	v_or_b32_e32 v7, 0x800, v3
	v_mul_f32_e32 v4, 0x4f7ffffe, v4
	v_or_b32_e32 v8, 0x900, v3
	v_or_b32_e32 v13, 0xa00, v3
	v_or_b32_e32 v15, 0xc00, v3
	v_or_b32_e32 v16, 0xd00, v3
	v_cvt_u32_f32_e32 v4, v4
	v_or_b32_e32 v17, 0xe00, v3
	v_or_b32_e32 v18, 0xf00, v3
	v_lshlrev_b32_e32 v30, 1, v3
	v_lshl_or_b32 v5, v65, 7, v5
	v_mul_lo_u32 v6, s0, v4
	v_lshlrev_b32_e32 v31, 1, v7
	v_lshlrev_b32_e32 v32, 1, v8
	v_dual_mov_b32 v20, 0 :: v_dual_lshlrev_b32 v33, 1, v13
	v_add_nc_u32_e32 v29, 0x120, v5
	v_add_co_u32 v5, vcc_lo, s17, v1
	v_mul_hi_u32 v3, v4, v6
	v_add_co_ci_u32_e32 v6, vcc_lo, s18, v2, vcc_lo
	v_dual_mov_b32 v22, 0 :: v_dual_lshlrev_b32 v35, 1, v15
	v_dual_mov_b32 v24, 0 :: v_dual_lshlrev_b32 v37, 1, v16
	;; [unrolled: 1-line block ×3, first 2 shown]
	v_dual_mov_b32 v21, 0 :: v_dual_add_nc_u32 v36, v4, v3
	v_dual_mov_b32 v26, 0 :: v_dual_lshlrev_b32 v39, 1, v18
	v_mov_b32_e32 v13, 0
	v_dual_mov_b32 v15, 0 :: v_dual_mov_b32 v16, 0
	v_dual_mov_b32 v17, 0 :: v_dual_mov_b32 v18, 0
	v_mov_b32_e32 v25, 0
	v_mov_b32_e32 v27, 0
	s_mov_b32 s10, s33
	s_mov_b32 s13, s33
	;; [unrolled: 1-line block ×7, first 2 shown]
	s_branch .LBB116_38
.LBB116_36:                             ;   in Loop: Header=BB116_38 Depth=1
	s_or_b32 exec_lo, exec_lo, s0
	v_dual_add_f32 v41, v82, v83 :: v_dual_add_f32 v42, v80, v81
	v_add_f32_e32 v40, v54, v55
	v_dual_add_f32 v43, v78, v79 :: v_dual_add_f32 v50, v76, v77
	s_waitcnt vmcnt(0)
	;;#ASMSTART
	v_pk_mul_f16 v1, v49, v1;

	;;#ASMEND
	v_add_f32_e32 v15, v15, v42
	v_dual_add_f32 v13, v13, v40 :: v_dual_add_f32 v40, v74, v75
	v_dual_add_f32 v16, v16, v43 :: v_dual_add_f32 v7, v7, v8
	v_add_f32_e32 v8, v70, v71
	;;#ASMSTART
	v_pk_mul_f16 v2, v48, v2;

	;;#ASMEND
	;;#ASMSTART
	v_pk_mul_f16 v3, v47, v3;

	;;#ASMEND
	;; [unrolled: 4-line block ×3, first 2 shown]
	;;#ASMSTART
	v_pk_add_f16 v1, v1, v2;

	;;#ASMEND
	;;#ASMSTART
	v_pk_add_f16 v1, v1, v3;

	;;#ASMEND
	;; [unrolled: 4-line block ×3, first 2 shown]
	v_dual_add_f32 v3, v58, v59 :: v_dual_and_b32 v2, 0xffff, v1
	v_lshrrev_b32_e32 v1, 16, v1
	;;#ASMSTART
	v_cvt_f32_f16 v2, v2;
	;;#ASMEND
	;;#ASMSTART
	v_cvt_f32_f16 v1, v1;
	;;#ASMEND
	v_dual_add_f32 v14, v14, v41 :: v_dual_add_f32 v17, v17, v50
	v_dual_add_f32 v18, v18, v40 :: v_dual_add_f32 v41, v68, v69
	;; [unrolled: 1-line block ×3, first 2 shown]
	v_add_f32_e32 v42, v63, v64
	v_add_f32_e32 v20, v20, v7
	;; [unrolled: 1-line block ×4, first 2 shown]
	v_dual_add_f32 v8, v44, v46 :: v_dual_add_f32 v1, v2, v1
	v_dual_add_f32 v19, v19, v40 :: v_dual_add_f32 v22, v22, v41
	v_add_f32_e32 v25, v25, v3
	v_dual_add_f32 v23, v23, v42 :: v_dual_add_f32 v24, v24, v7
	v_add_f32_e32 v27, v27, v4
	v_add_f32_e32 v26, v26, v8
	;; [unrolled: 1-line block ×3, first 2 shown]
.LBB116_37:                             ;   in Loop: Header=BB116_38 Depth=1
	s_or_b32 exec_lo, exec_lo, s24
	v_add_nc_u32_e32 v61, 4, v61
	v_add_co_u32 v5, s0, v5, 16
	s_delay_alu instid0(VALU_DEP_1) | instskip(NEXT) | instid1(VALU_DEP_3)
	v_add_co_ci_u32_e64 v6, s0, 0, v6, s0
	v_cmp_le_i32_e32 vcc_lo, s8, v61
	v_add_nc_u32_e32 v67, 0x80, v67
	v_add_nc_u32_e32 v29, 0x200, v29
	s_or_b32 s3, vcc_lo, s3
	s_delay_alu instid0(SALU_CYCLE_1)
	s_and_not1_b32 exec_lo, exec_lo, s3
	s_cbranch_execz .LBB116_71
.LBB116_38:                             ; =>This Inner Loop Header: Depth=1
	v_sub_nc_u32_e32 v1, 0, v67
	s_delay_alu instid0(VALU_DEP_1) | instskip(NEXT) | instid1(VALU_DEP_1)
	v_max_i32_e32 v1, v67, v1
	v_mul_hi_u32 v2, v1, s25
	s_delay_alu instid0(VALU_DEP_1) | instskip(NEXT) | instid1(VALU_DEP_1)
	v_mul_lo_u32 v3, v2, s21
	v_sub_nc_u32_e32 v1, v1, v3
	v_add_nc_u32_e32 v3, 1, v2
	s_delay_alu instid0(VALU_DEP_2) | instskip(SKIP_1) | instid1(VALU_DEP_2)
	v_subrev_nc_u32_e32 v4, s21, v1
	v_cmp_le_u32_e32 vcc_lo, s21, v1
	v_dual_cndmask_b32 v2, v2, v3 :: v_dual_cndmask_b32 v1, v1, v4
	v_ashrrev_i32_e32 v3, 31, v67
	s_delay_alu instid0(VALU_DEP_2) | instskip(NEXT) | instid1(VALU_DEP_3)
	v_add_nc_u32_e32 v4, 1, v2
	v_cmp_le_u32_e32 vcc_lo, s21, v1
	s_delay_alu instid0(VALU_DEP_3) | instskip(NEXT) | instid1(VALU_DEP_3)
	v_xor_b32_e32 v3, s11, v3
	v_cndmask_b32_e32 v1, v2, v4, vcc_lo
	s_delay_alu instid0(VALU_DEP_1) | instskip(NEXT) | instid1(VALU_DEP_1)
	v_xor_b32_e32 v1, v1, v3
	v_sub_nc_u32_e32 v1, v1, v3
	s_delay_alu instid0(VALU_DEP_1) | instskip(SKIP_1) | instid1(VALU_DEP_2)
	v_add_nc_u32_e32 v2, s34, v1
	v_cmp_lt_i32_e64 s0, s2, v1
	v_sub_nc_u32_e32 v3, 0, v2
	s_delay_alu instid0(VALU_DEP_1) | instskip(NEXT) | instid1(VALU_DEP_1)
	v_max_i32_e32 v3, v2, v3
	v_mul_hi_u32 v4, v3, v36
	s_delay_alu instid0(VALU_DEP_1) | instskip(NEXT) | instid1(VALU_DEP_1)
	v_mul_lo_u32 v4, v4, s9
	v_sub_nc_u32_e32 v3, v3, v4
	s_delay_alu instid0(VALU_DEP_1) | instskip(SKIP_1) | instid1(VALU_DEP_2)
	v_subrev_nc_u32_e32 v4, s9, v3
	v_cmp_le_u32_e32 vcc_lo, s9, v3
	v_cndmask_b32_e32 v3, v3, v4, vcc_lo
	v_ashrrev_i32_e32 v2, 31, v2
	s_delay_alu instid0(VALU_DEP_2) | instskip(SKIP_1) | instid1(VALU_DEP_2)
	v_subrev_nc_u32_e32 v4, s9, v3
	v_cmp_le_u32_e32 vcc_lo, s9, v3
	v_cndmask_b32_e32 v3, v3, v4, vcc_lo
	s_delay_alu instid0(VALU_DEP_1) | instskip(NEXT) | instid1(VALU_DEP_1)
	v_xor_b32_e32 v3, v3, v2
	v_sub_nc_u32_e32 v2, v3, v2
	s_delay_alu instid0(VALU_DEP_1) | instskip(SKIP_1) | instid1(SALU_CYCLE_1)
	v_cmp_eq_u32_e32 vcc_lo, 0, v2
	s_or_b32 s0, vcc_lo, s0
	s_and_saveexec_b32 s24, s0
	s_cbranch_execz .LBB116_37
; %bb.39:                               ;   in Loop: Header=BB116_38 Depth=1
	global_load_b32 v40, v[5:6], off
	ds_load_2addr_b64 v[1:4], v29 offset1:1
	s_waitcnt vmcnt(0)
	v_mad_i64_i32 v[7:8], null, v40, s5, 0
	ds_load_2addr_b64 v[40:43], v29 offset0:2 offset1:3
	s_waitcnt lgkmcnt(1)
	;;#ASMSTART
	v_cvt_f16_f32 v46, v1;

	;;#ASMEND
	;;#ASMSTART
	v_cvt_f16_f32 v44, v2;

	;;#ASMEND
	;; [unrolled: 4-line block ×4, first 2 shown]
	s_waitcnt lgkmcnt(0)
	;;#ASMSTART
	v_cvt_f16_f32 v48, v40;

	;;#ASMEND
	v_lshlrev_b64 v[7:8], 1, v[7:8]
	;;#ASMSTART
	v_cvt_f16_f32 v56, v41;

	;;#ASMEND
	;;#ASMSTART
	v_cvt_f16_f32 v49, v42;

	;;#ASMEND
	;; [unrolled: 4-line block ×3, first 2 shown]
	v_add_nc_u32_e32 v40, v28, v67
	s_delay_alu instid0(VALU_DEP_2) | instskip(SKIP_1) | instid1(VALU_DEP_3)
	v_add_co_u32 v54, vcc_lo, s6, v7
	v_add_co_ci_u32_e32 v55, vcc_lo, s7, v8, vcc_lo
	v_add_nc_u32_e32 v41, 1, v40
	s_delay_alu instid0(VALU_DEP_3) | instskip(NEXT) | instid1(VALU_DEP_3)
	v_add_co_u32 v7, vcc_lo, v54, v30
	v_add_co_ci_u32_e32 v8, vcc_lo, 0, v55, vcc_lo
	v_cmp_eq_u32_e32 vcc_lo, s35, v61
	v_or_b32_e32 v43, 3, v40
	v_or_b32_e32 v42, 2, v40
	global_load_b128 v[1:4], v[7:8], off
	v_or_b32_e32 v51, 5, v40
	v_or_b32_e32 v50, 4, v40
	;; [unrolled: 1-line block ×4, first 2 shown]
	s_and_saveexec_b32 s26, vcc_lo
	s_cbranch_execz .LBB116_41
; %bb.40:                               ;   in Loop: Header=BB116_38 Depth=1
	s_delay_alu instid0(VALU_DEP_1)
	v_cmp_gt_i32_e64 s0, s18, v53
	s_waitcnt vmcnt(0)
	v_lshrrev_b32_e32 v58, 16, v4
	v_lshrrev_b32_e32 v59, 16, v3
	;; [unrolled: 1-line block ×4, first 2 shown]
	v_cndmask_b32_e64 v4, 0, v4, s0
	v_cmp_gt_i32_e64 s0, s19, v52
	s_delay_alu instid0(VALU_DEP_1) | instskip(SKIP_1) | instid1(VALU_DEP_2)
	v_cndmask_b32_e64 v58, 0, v58, s0
	v_cmp_gt_i32_e64 s0, s17, v51
	v_perm_b32 v4, v58, v4, 0x5040100
	s_delay_alu instid0(VALU_DEP_2) | instskip(SKIP_1) | instid1(VALU_DEP_1)
	v_cndmask_b32_e64 v59, 0, v59, s0
	v_cmp_gt_i32_e64 s0, s16, v50
	v_cndmask_b32_e64 v3, 0, v3, s0
	v_cmp_gt_i32_e64 s0, s15, v43
	s_delay_alu instid0(VALU_DEP_2) | instskip(NEXT) | instid1(VALU_DEP_2)
	v_perm_b32 v3, v59, v3, 0x5040100
	v_cndmask_b32_e64 v60, 0, v60, s0
	v_cmp_gt_i32_e64 s0, s13, v42
	s_delay_alu instid0(VALU_DEP_1) | instskip(SKIP_1) | instid1(VALU_DEP_2)
	v_cndmask_b32_e64 v2, 0, v2, s0
	v_cmp_gt_i32_e64 s0, s10, v41
	v_perm_b32 v2, v60, v2, 0x5040100
	s_delay_alu instid0(VALU_DEP_2) | instskip(SKIP_1) | instid1(VALU_DEP_1)
	v_cndmask_b32_e64 v62, 0, v62, s0
	v_cmp_gt_i32_e64 s0, s33, v40
	v_cndmask_b32_e64 v1, 0, v1, s0
	s_delay_alu instid0(VALU_DEP_1)
	v_perm_b32 v1, v62, v1, 0x5040100
.LBB116_41:                             ;   in Loop: Header=BB116_38 Depth=1
	s_or_b32 exec_lo, exec_lo, s26
	v_and_b32_e32 v46, 0xffff, v46
	v_and_b32_e32 v47, 0xffff, v47
	;; [unrolled: 1-line block ×4, first 2 shown]
	s_delay_alu instid0(VALU_DEP_4)
	v_lshl_or_b32 v49, v44, 16, v46
	s_waitcnt vmcnt(0)
	;;#ASMSTART
	v_pk_mul_f16 v1, v49, v1;

	;;#ASMEND
	v_lshl_or_b32 v48, v45, 16, v47
	v_lshl_or_b32 v47, v56, 16, v58
	;; [unrolled: 1-line block ×3, first 2 shown]
	;;#ASMSTART
	v_pk_mul_f16 v2, v48, v2;

	;;#ASMEND
	;;#ASMSTART
	v_pk_mul_f16 v3, v47, v3;

	;;#ASMEND
	;; [unrolled: 4-line block ×3, first 2 shown]
	;;#ASMSTART
	v_pk_add_f16 v1, v1, v2;

	;;#ASMEND
	;;#ASMSTART
	v_pk_add_f16 v1, v1, v3;

	;;#ASMEND
	;; [unrolled: 4-line block ×3, first 2 shown]
	v_and_b32_e32 v2, 0xffff, v1
	v_lshrrev_b32_e32 v1, 16, v1
	;;#ASMSTART
	v_cvt_f32_f16 v44, v2;
	;;#ASMEND
	;;#ASMSTART
	v_cvt_f32_f16 v46, v1;
	;;#ASMEND
	global_load_b128 v[1:4], v[7:8], off offset:512
	s_and_saveexec_b32 s26, vcc_lo
	s_cbranch_execz .LBB116_43
; %bb.42:                               ;   in Loop: Header=BB116_38 Depth=1
	v_cmp_gt_i32_e64 s0, s18, v53
	s_waitcnt vmcnt(0)
	v_lshrrev_b32_e32 v56, 16, v4
	v_lshrrev_b32_e32 v57, 16, v3
	;; [unrolled: 1-line block ×4, first 2 shown]
	v_cndmask_b32_e64 v4, 0, v4, s0
	v_cmp_gt_i32_e64 s0, s19, v52
	s_delay_alu instid0(VALU_DEP_1) | instskip(SKIP_1) | instid1(VALU_DEP_2)
	v_cndmask_b32_e64 v56, 0, v56, s0
	v_cmp_gt_i32_e64 s0, s17, v51
	v_perm_b32 v4, v56, v4, 0x5040100
	s_delay_alu instid0(VALU_DEP_2) | instskip(SKIP_1) | instid1(VALU_DEP_1)
	v_cndmask_b32_e64 v57, 0, v57, s0
	v_cmp_gt_i32_e64 s0, s16, v50
	v_cndmask_b32_e64 v3, 0, v3, s0
	v_cmp_gt_i32_e64 s0, s15, v43
	s_delay_alu instid0(VALU_DEP_2) | instskip(NEXT) | instid1(VALU_DEP_2)
	v_perm_b32 v3, v57, v3, 0x5040100
	v_cndmask_b32_e64 v58, 0, v58, s0
	v_cmp_gt_i32_e64 s0, s13, v42
	s_delay_alu instid0(VALU_DEP_1) | instskip(SKIP_1) | instid1(VALU_DEP_2)
	v_cndmask_b32_e64 v2, 0, v2, s0
	v_cmp_gt_i32_e64 s0, s10, v41
	v_perm_b32 v2, v58, v2, 0x5040100
	s_delay_alu instid0(VALU_DEP_2) | instskip(SKIP_1) | instid1(VALU_DEP_1)
	v_cndmask_b32_e64 v59, 0, v59, s0
	v_cmp_gt_i32_e64 s0, s33, v40
	v_cndmask_b32_e64 v1, 0, v1, s0
	s_delay_alu instid0(VALU_DEP_1)
	v_perm_b32 v1, v59, v1, 0x5040100
.LBB116_43:                             ;   in Loop: Header=BB116_38 Depth=1
	s_or_b32 exec_lo, exec_lo, s26
	s_waitcnt vmcnt(0)
	;;#ASMSTART
	v_pk_mul_f16 v1, v49, v1;

	;;#ASMEND
	;;#ASMSTART
	v_pk_mul_f16 v2, v48, v2;

	;;#ASMEND
	;; [unrolled: 4-line block ×4, first 2 shown]
	;;#ASMSTART
	v_pk_add_f16 v1, v1, v2;

	;;#ASMEND
	;;#ASMSTART
	v_pk_add_f16 v1, v1, v3;

	;;#ASMEND
	;; [unrolled: 4-line block ×3, first 2 shown]
	v_and_b32_e32 v2, 0xffff, v1
	v_lshrrev_b32_e32 v1, 16, v1
	;;#ASMSTART
	v_cvt_f32_f16 v56, v2;
	;;#ASMEND
	;;#ASMSTART
	v_cvt_f32_f16 v57, v1;
	;;#ASMEND
	global_load_b128 v[1:4], v[7:8], off offset:1024
	s_and_saveexec_b32 s26, vcc_lo
	s_cbranch_execz .LBB116_45
; %bb.44:                               ;   in Loop: Header=BB116_38 Depth=1
	v_cmp_gt_i32_e64 s0, s18, v53
	s_waitcnt vmcnt(0)
	v_lshrrev_b32_e32 v58, 16, v4
	v_lshrrev_b32_e32 v59, 16, v3
	;; [unrolled: 1-line block ×4, first 2 shown]
	v_cndmask_b32_e64 v4, 0, v4, s0
	v_cmp_gt_i32_e64 s0, s19, v52
	s_delay_alu instid0(VALU_DEP_1) | instskip(SKIP_1) | instid1(VALU_DEP_2)
	v_cndmask_b32_e64 v58, 0, v58, s0
	v_cmp_gt_i32_e64 s0, s17, v51
	v_perm_b32 v4, v58, v4, 0x5040100
	s_delay_alu instid0(VALU_DEP_2) | instskip(SKIP_1) | instid1(VALU_DEP_1)
	v_cndmask_b32_e64 v59, 0, v59, s0
	v_cmp_gt_i32_e64 s0, s16, v50
	v_cndmask_b32_e64 v3, 0, v3, s0
	v_cmp_gt_i32_e64 s0, s15, v43
	s_delay_alu instid0(VALU_DEP_2) | instskip(NEXT) | instid1(VALU_DEP_2)
	v_perm_b32 v3, v59, v3, 0x5040100
	v_cndmask_b32_e64 v60, 0, v60, s0
	v_cmp_gt_i32_e64 s0, s13, v42
	s_delay_alu instid0(VALU_DEP_1) | instskip(SKIP_1) | instid1(VALU_DEP_2)
	v_cndmask_b32_e64 v2, 0, v2, s0
	v_cmp_gt_i32_e64 s0, s10, v41
	v_perm_b32 v2, v60, v2, 0x5040100
	s_delay_alu instid0(VALU_DEP_2) | instskip(SKIP_1) | instid1(VALU_DEP_1)
	v_cndmask_b32_e64 v62, 0, v62, s0
	v_cmp_gt_i32_e64 s0, s33, v40
	v_cndmask_b32_e64 v1, 0, v1, s0
	s_delay_alu instid0(VALU_DEP_1)
	v_perm_b32 v1, v62, v1, 0x5040100
.LBB116_45:                             ;   in Loop: Header=BB116_38 Depth=1
	s_or_b32 exec_lo, exec_lo, s26
	s_waitcnt vmcnt(0)
	;;#ASMSTART
	v_pk_mul_f16 v1, v49, v1;

	;;#ASMEND
	;;#ASMSTART
	v_pk_mul_f16 v2, v48, v2;

	;;#ASMEND
	;; [unrolled: 4-line block ×4, first 2 shown]
	;;#ASMSTART
	v_pk_add_f16 v1, v1, v2;

	;;#ASMEND
	;;#ASMSTART
	v_pk_add_f16 v1, v1, v3;

	;;#ASMEND
	;; [unrolled: 4-line block ×3, first 2 shown]
	v_and_b32_e32 v2, 0xffff, v1
	v_lshrrev_b32_e32 v1, 16, v1
	;;#ASMSTART
	v_cvt_f32_f16 v58, v2;
	;;#ASMEND
	;;#ASMSTART
	v_cvt_f32_f16 v59, v1;
	;;#ASMEND
	global_load_b128 v[1:4], v[7:8], off offset:1536
	s_and_saveexec_b32 s26, vcc_lo
	s_cbranch_execz .LBB116_47
; %bb.46:                               ;   in Loop: Header=BB116_38 Depth=1
	v_cmp_gt_i32_e64 s0, s18, v53
	s_waitcnt vmcnt(0)
	v_lshrrev_b32_e32 v60, 16, v4
	v_lshrrev_b32_e32 v62, 16, v3
	;; [unrolled: 1-line block ×4, first 2 shown]
	v_cndmask_b32_e64 v4, 0, v4, s0
	v_cmp_gt_i32_e64 s0, s19, v52
	s_delay_alu instid0(VALU_DEP_1) | instskip(SKIP_1) | instid1(VALU_DEP_2)
	v_cndmask_b32_e64 v60, 0, v60, s0
	v_cmp_gt_i32_e64 s0, s17, v51
	v_perm_b32 v4, v60, v4, 0x5040100
	s_delay_alu instid0(VALU_DEP_2) | instskip(SKIP_1) | instid1(VALU_DEP_1)
	v_cndmask_b32_e64 v62, 0, v62, s0
	v_cmp_gt_i32_e64 s0, s16, v50
	v_cndmask_b32_e64 v3, 0, v3, s0
	v_cmp_gt_i32_e64 s0, s15, v43
	s_delay_alu instid0(VALU_DEP_2) | instskip(NEXT) | instid1(VALU_DEP_2)
	v_perm_b32 v3, v62, v3, 0x5040100
	v_cndmask_b32_e64 v63, 0, v63, s0
	v_cmp_gt_i32_e64 s0, s13, v42
	s_delay_alu instid0(VALU_DEP_1) | instskip(SKIP_1) | instid1(VALU_DEP_2)
	v_cndmask_b32_e64 v2, 0, v2, s0
	v_cmp_gt_i32_e64 s0, s10, v41
	v_perm_b32 v2, v63, v2, 0x5040100
	s_delay_alu instid0(VALU_DEP_2) | instskip(SKIP_1) | instid1(VALU_DEP_1)
	v_cndmask_b32_e64 v64, 0, v64, s0
	v_cmp_gt_i32_e64 s0, s33, v40
	v_cndmask_b32_e64 v1, 0, v1, s0
	s_delay_alu instid0(VALU_DEP_1)
	v_perm_b32 v1, v64, v1, 0x5040100
.LBB116_47:                             ;   in Loop: Header=BB116_38 Depth=1
	s_or_b32 exec_lo, exec_lo, s26
	s_waitcnt vmcnt(0)
	;;#ASMSTART
	v_pk_mul_f16 v1, v49, v1;

	;;#ASMEND
	;;#ASMSTART
	v_pk_mul_f16 v2, v48, v2;

	;;#ASMEND
	;; [unrolled: 4-line block ×4, first 2 shown]
	;;#ASMSTART
	v_pk_add_f16 v1, v1, v2;

	;;#ASMEND
	;;#ASMSTART
	v_pk_add_f16 v1, v1, v3;

	;;#ASMEND
	;; [unrolled: 4-line block ×3, first 2 shown]
	v_and_b32_e32 v2, 0xffff, v1
	v_lshrrev_b32_e32 v1, 16, v1
	;;#ASMSTART
	v_cvt_f32_f16 v60, v2;
	;;#ASMEND
	;;#ASMSTART
	v_cvt_f32_f16 v62, v1;
	;;#ASMEND
	global_load_b128 v[1:4], v[7:8], off offset:2048
	s_and_saveexec_b32 s26, vcc_lo
	s_cbranch_execz .LBB116_49
; %bb.48:                               ;   in Loop: Header=BB116_38 Depth=1
	v_cmp_gt_i32_e64 s0, s18, v53
	s_waitcnt vmcnt(0)
	v_lshrrev_b32_e32 v63, 16, v4
	v_lshrrev_b32_e32 v64, 16, v3
	v_lshrrev_b32_e32 v68, 16, v2
	v_lshrrev_b32_e32 v69, 16, v1
	v_cndmask_b32_e64 v4, 0, v4, s0
	v_cmp_gt_i32_e64 s0, s19, v52
	s_delay_alu instid0(VALU_DEP_1) | instskip(SKIP_1) | instid1(VALU_DEP_2)
	v_cndmask_b32_e64 v63, 0, v63, s0
	v_cmp_gt_i32_e64 s0, s17, v51
	v_perm_b32 v4, v63, v4, 0x5040100
	s_delay_alu instid0(VALU_DEP_2) | instskip(SKIP_1) | instid1(VALU_DEP_1)
	v_cndmask_b32_e64 v64, 0, v64, s0
	v_cmp_gt_i32_e64 s0, s16, v50
	v_cndmask_b32_e64 v3, 0, v3, s0
	v_cmp_gt_i32_e64 s0, s15, v43
	s_delay_alu instid0(VALU_DEP_2) | instskip(NEXT) | instid1(VALU_DEP_2)
	v_perm_b32 v3, v64, v3, 0x5040100
	v_cndmask_b32_e64 v68, 0, v68, s0
	v_cmp_gt_i32_e64 s0, s13, v42
	s_delay_alu instid0(VALU_DEP_1) | instskip(SKIP_1) | instid1(VALU_DEP_2)
	v_cndmask_b32_e64 v2, 0, v2, s0
	v_cmp_gt_i32_e64 s0, s10, v41
	v_perm_b32 v2, v68, v2, 0x5040100
	s_delay_alu instid0(VALU_DEP_2) | instskip(SKIP_1) | instid1(VALU_DEP_1)
	v_cndmask_b32_e64 v69, 0, v69, s0
	v_cmp_gt_i32_e64 s0, s33, v40
	v_cndmask_b32_e64 v1, 0, v1, s0
	s_delay_alu instid0(VALU_DEP_1)
	v_perm_b32 v1, v69, v1, 0x5040100
.LBB116_49:                             ;   in Loop: Header=BB116_38 Depth=1
	s_or_b32 exec_lo, exec_lo, s26
	s_waitcnt vmcnt(0)
	;;#ASMSTART
	v_pk_mul_f16 v1, v49, v1;

	;;#ASMEND
	;;#ASMSTART
	v_pk_mul_f16 v2, v48, v2;

	;;#ASMEND
	;; [unrolled: 4-line block ×4, first 2 shown]
	;;#ASMSTART
	v_pk_add_f16 v1, v1, v2;

	;;#ASMEND
	;;#ASMSTART
	v_pk_add_f16 v1, v1, v3;

	;;#ASMEND
	;; [unrolled: 4-line block ×3, first 2 shown]
	v_and_b32_e32 v2, 0xffff, v1
	v_lshrrev_b32_e32 v1, 16, v1
	;;#ASMSTART
	v_cvt_f32_f16 v63, v2;
	;;#ASMEND
	;;#ASMSTART
	v_cvt_f32_f16 v64, v1;
	;;#ASMEND
	global_load_b128 v[1:4], v[7:8], off offset:2560
	s_and_saveexec_b32 s26, vcc_lo
	s_cbranch_execz .LBB116_51
; %bb.50:                               ;   in Loop: Header=BB116_38 Depth=1
	v_cmp_gt_i32_e64 s0, s18, v53
	s_waitcnt vmcnt(0)
	v_lshrrev_b32_e32 v68, 16, v4
	v_lshrrev_b32_e32 v69, 16, v3
	;; [unrolled: 1-line block ×4, first 2 shown]
	v_cndmask_b32_e64 v4, 0, v4, s0
	v_cmp_gt_i32_e64 s0, s19, v52
	s_delay_alu instid0(VALU_DEP_1) | instskip(SKIP_1) | instid1(VALU_DEP_2)
	v_cndmask_b32_e64 v68, 0, v68, s0
	v_cmp_gt_i32_e64 s0, s17, v51
	v_perm_b32 v4, v68, v4, 0x5040100
	s_delay_alu instid0(VALU_DEP_2) | instskip(SKIP_1) | instid1(VALU_DEP_1)
	v_cndmask_b32_e64 v69, 0, v69, s0
	v_cmp_gt_i32_e64 s0, s16, v50
	v_cndmask_b32_e64 v3, 0, v3, s0
	v_cmp_gt_i32_e64 s0, s15, v43
	s_delay_alu instid0(VALU_DEP_2) | instskip(NEXT) | instid1(VALU_DEP_2)
	v_perm_b32 v3, v69, v3, 0x5040100
	v_cndmask_b32_e64 v70, 0, v70, s0
	v_cmp_gt_i32_e64 s0, s13, v42
	s_delay_alu instid0(VALU_DEP_1) | instskip(SKIP_1) | instid1(VALU_DEP_2)
	v_cndmask_b32_e64 v2, 0, v2, s0
	v_cmp_gt_i32_e64 s0, s10, v41
	v_perm_b32 v2, v70, v2, 0x5040100
	s_delay_alu instid0(VALU_DEP_2) | instskip(SKIP_1) | instid1(VALU_DEP_1)
	v_cndmask_b32_e64 v71, 0, v71, s0
	v_cmp_gt_i32_e64 s0, s33, v40
	v_cndmask_b32_e64 v1, 0, v1, s0
	s_delay_alu instid0(VALU_DEP_1)
	v_perm_b32 v1, v71, v1, 0x5040100
.LBB116_51:                             ;   in Loop: Header=BB116_38 Depth=1
	s_or_b32 exec_lo, exec_lo, s26
	s_waitcnt vmcnt(0)
	;;#ASMSTART
	v_pk_mul_f16 v1, v49, v1;

	;;#ASMEND
	;;#ASMSTART
	v_pk_mul_f16 v2, v48, v2;

	;;#ASMEND
	;; [unrolled: 4-line block ×4, first 2 shown]
	;;#ASMSTART
	v_pk_add_f16 v1, v1, v2;

	;;#ASMEND
	;;#ASMSTART
	v_pk_add_f16 v1, v1, v3;

	;;#ASMEND
	;; [unrolled: 4-line block ×3, first 2 shown]
	v_and_b32_e32 v2, 0xffff, v1
	v_lshrrev_b32_e32 v1, 16, v1
	;;#ASMSTART
	v_cvt_f32_f16 v68, v2;
	;;#ASMEND
	;;#ASMSTART
	v_cvt_f32_f16 v69, v1;
	;;#ASMEND
	global_load_b128 v[1:4], v[7:8], off offset:3072
	s_and_saveexec_b32 s26, vcc_lo
	s_cbranch_execz .LBB116_53
; %bb.52:                               ;   in Loop: Header=BB116_38 Depth=1
	v_cmp_gt_i32_e64 s0, s18, v53
	s_waitcnt vmcnt(0)
	v_lshrrev_b32_e32 v70, 16, v4
	v_lshrrev_b32_e32 v71, 16, v3
	;; [unrolled: 1-line block ×4, first 2 shown]
	v_cndmask_b32_e64 v4, 0, v4, s0
	v_cmp_gt_i32_e64 s0, s19, v52
	s_delay_alu instid0(VALU_DEP_1) | instskip(SKIP_1) | instid1(VALU_DEP_2)
	v_cndmask_b32_e64 v70, 0, v70, s0
	v_cmp_gt_i32_e64 s0, s17, v51
	v_perm_b32 v4, v70, v4, 0x5040100
	s_delay_alu instid0(VALU_DEP_2) | instskip(SKIP_1) | instid1(VALU_DEP_1)
	v_cndmask_b32_e64 v71, 0, v71, s0
	v_cmp_gt_i32_e64 s0, s16, v50
	v_cndmask_b32_e64 v3, 0, v3, s0
	v_cmp_gt_i32_e64 s0, s15, v43
	s_delay_alu instid0(VALU_DEP_2) | instskip(NEXT) | instid1(VALU_DEP_2)
	v_perm_b32 v3, v71, v3, 0x5040100
	v_cndmask_b32_e64 v72, 0, v72, s0
	v_cmp_gt_i32_e64 s0, s13, v42
	s_delay_alu instid0(VALU_DEP_1) | instskip(SKIP_1) | instid1(VALU_DEP_2)
	v_cndmask_b32_e64 v2, 0, v2, s0
	v_cmp_gt_i32_e64 s0, s10, v41
	v_perm_b32 v2, v72, v2, 0x5040100
	s_delay_alu instid0(VALU_DEP_2) | instskip(SKIP_1) | instid1(VALU_DEP_1)
	v_cndmask_b32_e64 v73, 0, v73, s0
	v_cmp_gt_i32_e64 s0, s33, v40
	v_cndmask_b32_e64 v1, 0, v1, s0
	s_delay_alu instid0(VALU_DEP_1)
	v_perm_b32 v1, v73, v1, 0x5040100
.LBB116_53:                             ;   in Loop: Header=BB116_38 Depth=1
	s_or_b32 exec_lo, exec_lo, s26
	s_waitcnt vmcnt(0)
	;;#ASMSTART
	v_pk_mul_f16 v1, v49, v1;

	;;#ASMEND
	;;#ASMSTART
	v_pk_mul_f16 v2, v48, v2;

	;;#ASMEND
	;; [unrolled: 4-line block ×4, first 2 shown]
	;;#ASMSTART
	v_pk_add_f16 v1, v1, v2;

	;;#ASMEND
	;;#ASMSTART
	v_pk_add_f16 v1, v1, v3;

	;;#ASMEND
	;; [unrolled: 4-line block ×3, first 2 shown]
	v_and_b32_e32 v2, 0xffff, v1
	v_lshrrev_b32_e32 v1, 16, v1
	;;#ASMSTART
	v_cvt_f32_f16 v70, v2;
	;;#ASMEND
	;;#ASMSTART
	v_cvt_f32_f16 v71, v1;
	;;#ASMEND
	global_load_b128 v[1:4], v[7:8], off offset:3584
	s_and_saveexec_b32 s26, vcc_lo
	s_cbranch_execz .LBB116_55
; %bb.54:                               ;   in Loop: Header=BB116_38 Depth=1
	v_cmp_gt_i32_e64 s0, s18, v53
	s_waitcnt vmcnt(0)
	v_lshrrev_b32_e32 v7, 16, v4
	v_lshrrev_b32_e32 v8, 16, v3
	;; [unrolled: 1-line block ×4, first 2 shown]
	v_cndmask_b32_e64 v4, 0, v4, s0
	v_cmp_gt_i32_e64 s0, s19, v52
	s_delay_alu instid0(VALU_DEP_1) | instskip(SKIP_1) | instid1(VALU_DEP_2)
	v_cndmask_b32_e64 v7, 0, v7, s0
	v_cmp_gt_i32_e64 s0, s17, v51
	v_perm_b32 v4, v7, v4, 0x5040100
	s_delay_alu instid0(VALU_DEP_2) | instskip(SKIP_1) | instid1(VALU_DEP_1)
	v_cndmask_b32_e64 v8, 0, v8, s0
	v_cmp_gt_i32_e64 s0, s16, v50
	v_cndmask_b32_e64 v3, 0, v3, s0
	v_cmp_gt_i32_e64 s0, s15, v43
	s_delay_alu instid0(VALU_DEP_2) | instskip(NEXT) | instid1(VALU_DEP_2)
	v_perm_b32 v3, v8, v3, 0x5040100
	v_cndmask_b32_e64 v72, 0, v72, s0
	v_cmp_gt_i32_e64 s0, s13, v42
	s_delay_alu instid0(VALU_DEP_1) | instskip(SKIP_1) | instid1(VALU_DEP_2)
	v_cndmask_b32_e64 v2, 0, v2, s0
	v_cmp_gt_i32_e64 s0, s10, v41
	v_perm_b32 v2, v72, v2, 0x5040100
	s_delay_alu instid0(VALU_DEP_2) | instskip(SKIP_1) | instid1(VALU_DEP_1)
	v_cndmask_b32_e64 v73, 0, v73, s0
	v_cmp_gt_i32_e64 s0, s33, v40
	v_cndmask_b32_e64 v1, 0, v1, s0
	s_delay_alu instid0(VALU_DEP_1)
	v_perm_b32 v1, v73, v1, 0x5040100
.LBB116_55:                             ;   in Loop: Header=BB116_38 Depth=1
	s_or_b32 exec_lo, exec_lo, s26
	s_waitcnt vmcnt(0)
	;;#ASMSTART
	v_pk_mul_f16 v1, v49, v1;

	;;#ASMEND
	;;#ASMSTART
	v_pk_mul_f16 v2, v48, v2;

	;;#ASMEND
	;; [unrolled: 4-line block ×4, first 2 shown]
	;;#ASMSTART
	v_pk_add_f16 v1, v1, v2;

	;;#ASMEND
	;;#ASMSTART
	v_pk_add_f16 v1, v1, v3;

	;;#ASMEND
	;; [unrolled: 4-line block ×3, first 2 shown]
	v_lshrrev_b32_e32 v3, 16, v1
	v_and_b32_e32 v4, 0xffff, v1
	v_add_co_u32 v1, s0, v54, v31
	s_delay_alu instid0(VALU_DEP_1)
	v_add_co_ci_u32_e64 v2, s0, 0, v55, s0
	;;#ASMSTART
	v_cvt_f32_f16 v7, v4;
	;;#ASMEND
	;;#ASMSTART
	v_cvt_f32_f16 v8, v3;
	;;#ASMEND
	global_load_b128 v[1:4], v[1:2], off
	s_and_saveexec_b32 s26, vcc_lo
	s_cbranch_execz .LBB116_57
; %bb.56:                               ;   in Loop: Header=BB116_38 Depth=1
	v_cmp_gt_i32_e64 s0, s18, v53
	s_waitcnt vmcnt(0)
	v_lshrrev_b32_e32 v72, 16, v4
	v_lshrrev_b32_e32 v73, 16, v3
	;; [unrolled: 1-line block ×4, first 2 shown]
	v_cndmask_b32_e64 v4, 0, v4, s0
	v_cmp_gt_i32_e64 s0, s19, v52
	s_delay_alu instid0(VALU_DEP_1) | instskip(SKIP_1) | instid1(VALU_DEP_2)
	v_cndmask_b32_e64 v72, 0, v72, s0
	v_cmp_gt_i32_e64 s0, s17, v51
	v_perm_b32 v4, v72, v4, 0x5040100
	s_delay_alu instid0(VALU_DEP_2) | instskip(SKIP_1) | instid1(VALU_DEP_1)
	v_cndmask_b32_e64 v73, 0, v73, s0
	v_cmp_gt_i32_e64 s0, s16, v50
	v_cndmask_b32_e64 v3, 0, v3, s0
	v_cmp_gt_i32_e64 s0, s15, v43
	s_delay_alu instid0(VALU_DEP_2) | instskip(NEXT) | instid1(VALU_DEP_2)
	v_perm_b32 v3, v73, v3, 0x5040100
	v_cndmask_b32_e64 v74, 0, v74, s0
	v_cmp_gt_i32_e64 s0, s13, v42
	s_delay_alu instid0(VALU_DEP_1) | instskip(SKIP_1) | instid1(VALU_DEP_2)
	v_cndmask_b32_e64 v2, 0, v2, s0
	v_cmp_gt_i32_e64 s0, s10, v41
	v_perm_b32 v2, v74, v2, 0x5040100
	s_delay_alu instid0(VALU_DEP_2) | instskip(SKIP_1) | instid1(VALU_DEP_1)
	v_cndmask_b32_e64 v75, 0, v75, s0
	v_cmp_gt_i32_e64 s0, s33, v40
	v_cndmask_b32_e64 v1, 0, v1, s0
	s_delay_alu instid0(VALU_DEP_1)
	v_perm_b32 v1, v75, v1, 0x5040100
.LBB116_57:                             ;   in Loop: Header=BB116_38 Depth=1
	s_or_b32 exec_lo, exec_lo, s26
	s_waitcnt vmcnt(0)
	;;#ASMSTART
	v_pk_mul_f16 v1, v49, v1;

	;;#ASMEND
	;;#ASMSTART
	v_pk_mul_f16 v2, v48, v2;

	;;#ASMEND
	;; [unrolled: 4-line block ×4, first 2 shown]
	;;#ASMSTART
	v_pk_add_f16 v1, v1, v2;

	;;#ASMEND
	;;#ASMSTART
	v_pk_add_f16 v1, v1, v3;

	;;#ASMEND
	;; [unrolled: 4-line block ×3, first 2 shown]
	v_lshrrev_b32_e32 v3, 16, v1
	v_and_b32_e32 v4, 0xffff, v1
	v_add_co_u32 v1, s0, v54, v32
	s_delay_alu instid0(VALU_DEP_1)
	v_add_co_ci_u32_e64 v2, s0, 0, v55, s0
	;;#ASMSTART
	v_cvt_f32_f16 v72, v4;
	;;#ASMEND
	;;#ASMSTART
	v_cvt_f32_f16 v73, v3;
	;;#ASMEND
	global_load_b128 v[1:4], v[1:2], off
	s_and_saveexec_b32 s26, vcc_lo
	s_cbranch_execz .LBB116_59
; %bb.58:                               ;   in Loop: Header=BB116_38 Depth=1
	v_cmp_gt_i32_e64 s0, s18, v53
	s_waitcnt vmcnt(0)
	v_lshrrev_b32_e32 v74, 16, v4
	v_lshrrev_b32_e32 v75, 16, v3
	;; [unrolled: 1-line block ×4, first 2 shown]
	v_cndmask_b32_e64 v4, 0, v4, s0
	v_cmp_gt_i32_e64 s0, s19, v52
	s_delay_alu instid0(VALU_DEP_1) | instskip(SKIP_1) | instid1(VALU_DEP_2)
	v_cndmask_b32_e64 v74, 0, v74, s0
	v_cmp_gt_i32_e64 s0, s17, v51
	v_perm_b32 v4, v74, v4, 0x5040100
	s_delay_alu instid0(VALU_DEP_2) | instskip(SKIP_1) | instid1(VALU_DEP_1)
	v_cndmask_b32_e64 v75, 0, v75, s0
	v_cmp_gt_i32_e64 s0, s16, v50
	v_cndmask_b32_e64 v3, 0, v3, s0
	v_cmp_gt_i32_e64 s0, s15, v43
	s_delay_alu instid0(VALU_DEP_2) | instskip(NEXT) | instid1(VALU_DEP_2)
	v_perm_b32 v3, v75, v3, 0x5040100
	v_cndmask_b32_e64 v76, 0, v76, s0
	v_cmp_gt_i32_e64 s0, s13, v42
	s_delay_alu instid0(VALU_DEP_1) | instskip(SKIP_1) | instid1(VALU_DEP_2)
	v_cndmask_b32_e64 v2, 0, v2, s0
	v_cmp_gt_i32_e64 s0, s10, v41
	v_perm_b32 v2, v76, v2, 0x5040100
	s_delay_alu instid0(VALU_DEP_2) | instskip(SKIP_1) | instid1(VALU_DEP_1)
	v_cndmask_b32_e64 v77, 0, v77, s0
	v_cmp_gt_i32_e64 s0, s33, v40
	v_cndmask_b32_e64 v1, 0, v1, s0
	s_delay_alu instid0(VALU_DEP_1)
	v_perm_b32 v1, v77, v1, 0x5040100
.LBB116_59:                             ;   in Loop: Header=BB116_38 Depth=1
	s_or_b32 exec_lo, exec_lo, s26
	s_waitcnt vmcnt(0)
	;;#ASMSTART
	v_pk_mul_f16 v1, v49, v1;

	;;#ASMEND
	;;#ASMSTART
	v_pk_mul_f16 v2, v48, v2;

	;;#ASMEND
	;; [unrolled: 4-line block ×4, first 2 shown]
	;;#ASMSTART
	v_pk_add_f16 v1, v1, v2;

	;;#ASMEND
	;;#ASMSTART
	v_pk_add_f16 v1, v1, v3;

	;;#ASMEND
	;;#ASMSTART
	v_pk_add_f16 v1, v1, v4;

	;;#ASMEND
	v_lshrrev_b32_e32 v3, 16, v1
	v_and_b32_e32 v4, 0xffff, v1
	v_add_co_u32 v1, s0, v54, v33
	s_delay_alu instid0(VALU_DEP_1)
	v_add_co_ci_u32_e64 v2, s0, 0, v55, s0
	;;#ASMSTART
	v_cvt_f32_f16 v74, v4;
	;;#ASMEND
	;;#ASMSTART
	v_cvt_f32_f16 v75, v3;
	;;#ASMEND
	global_load_b128 v[1:4], v[1:2], off
	s_and_saveexec_b32 s26, vcc_lo
	s_cbranch_execz .LBB116_61
; %bb.60:                               ;   in Loop: Header=BB116_38 Depth=1
	v_cmp_gt_i32_e64 s0, s18, v53
	s_waitcnt vmcnt(0)
	v_lshrrev_b32_e32 v76, 16, v4
	v_lshrrev_b32_e32 v77, 16, v3
	;; [unrolled: 1-line block ×4, first 2 shown]
	v_cndmask_b32_e64 v4, 0, v4, s0
	v_cmp_gt_i32_e64 s0, s19, v52
	s_delay_alu instid0(VALU_DEP_1) | instskip(SKIP_1) | instid1(VALU_DEP_2)
	v_cndmask_b32_e64 v76, 0, v76, s0
	v_cmp_gt_i32_e64 s0, s17, v51
	v_perm_b32 v4, v76, v4, 0x5040100
	s_delay_alu instid0(VALU_DEP_2) | instskip(SKIP_1) | instid1(VALU_DEP_1)
	v_cndmask_b32_e64 v77, 0, v77, s0
	v_cmp_gt_i32_e64 s0, s16, v50
	v_cndmask_b32_e64 v3, 0, v3, s0
	v_cmp_gt_i32_e64 s0, s15, v43
	s_delay_alu instid0(VALU_DEP_2) | instskip(NEXT) | instid1(VALU_DEP_2)
	v_perm_b32 v3, v77, v3, 0x5040100
	v_cndmask_b32_e64 v78, 0, v78, s0
	v_cmp_gt_i32_e64 s0, s13, v42
	s_delay_alu instid0(VALU_DEP_1) | instskip(SKIP_1) | instid1(VALU_DEP_2)
	v_cndmask_b32_e64 v2, 0, v2, s0
	v_cmp_gt_i32_e64 s0, s10, v41
	v_perm_b32 v2, v78, v2, 0x5040100
	s_delay_alu instid0(VALU_DEP_2) | instskip(SKIP_1) | instid1(VALU_DEP_1)
	v_cndmask_b32_e64 v79, 0, v79, s0
	v_cmp_gt_i32_e64 s0, s33, v40
	v_cndmask_b32_e64 v1, 0, v1, s0
	s_delay_alu instid0(VALU_DEP_1)
	v_perm_b32 v1, v79, v1, 0x5040100
.LBB116_61:                             ;   in Loop: Header=BB116_38 Depth=1
	s_or_b32 exec_lo, exec_lo, s26
	s_waitcnt vmcnt(0)
	;;#ASMSTART
	v_pk_mul_f16 v1, v49, v1;

	;;#ASMEND
	;;#ASMSTART
	v_pk_mul_f16 v2, v48, v2;

	;;#ASMEND
	;; [unrolled: 4-line block ×4, first 2 shown]
	;;#ASMSTART
	v_pk_add_f16 v1, v1, v2;

	;;#ASMEND
	;;#ASMSTART
	v_pk_add_f16 v1, v1, v3;

	;;#ASMEND
	;; [unrolled: 4-line block ×3, first 2 shown]
	v_lshrrev_b32_e32 v3, 16, v1
	v_and_b32_e32 v4, 0xffff, v1
	v_add_co_u32 v1, s0, v54, v34
	s_delay_alu instid0(VALU_DEP_1)
	v_add_co_ci_u32_e64 v2, s0, 0, v55, s0
	;;#ASMSTART
	v_cvt_f32_f16 v76, v4;
	;;#ASMEND
	;;#ASMSTART
	v_cvt_f32_f16 v77, v3;
	;;#ASMEND
	global_load_b128 v[1:4], v[1:2], off
	s_and_saveexec_b32 s26, vcc_lo
	s_cbranch_execz .LBB116_63
; %bb.62:                               ;   in Loop: Header=BB116_38 Depth=1
	v_cmp_gt_i32_e64 s0, s18, v53
	s_waitcnt vmcnt(0)
	v_lshrrev_b32_e32 v78, 16, v4
	v_lshrrev_b32_e32 v79, 16, v3
	;; [unrolled: 1-line block ×4, first 2 shown]
	v_cndmask_b32_e64 v4, 0, v4, s0
	v_cmp_gt_i32_e64 s0, s19, v52
	s_delay_alu instid0(VALU_DEP_1) | instskip(SKIP_1) | instid1(VALU_DEP_2)
	v_cndmask_b32_e64 v78, 0, v78, s0
	v_cmp_gt_i32_e64 s0, s17, v51
	v_perm_b32 v4, v78, v4, 0x5040100
	s_delay_alu instid0(VALU_DEP_2) | instskip(SKIP_1) | instid1(VALU_DEP_1)
	v_cndmask_b32_e64 v79, 0, v79, s0
	v_cmp_gt_i32_e64 s0, s16, v50
	v_cndmask_b32_e64 v3, 0, v3, s0
	v_cmp_gt_i32_e64 s0, s15, v43
	s_delay_alu instid0(VALU_DEP_2) | instskip(NEXT) | instid1(VALU_DEP_2)
	v_perm_b32 v3, v79, v3, 0x5040100
	v_cndmask_b32_e64 v80, 0, v80, s0
	v_cmp_gt_i32_e64 s0, s13, v42
	s_delay_alu instid0(VALU_DEP_1) | instskip(SKIP_1) | instid1(VALU_DEP_2)
	v_cndmask_b32_e64 v2, 0, v2, s0
	v_cmp_gt_i32_e64 s0, s10, v41
	v_perm_b32 v2, v80, v2, 0x5040100
	s_delay_alu instid0(VALU_DEP_2) | instskip(SKIP_1) | instid1(VALU_DEP_1)
	v_cndmask_b32_e64 v81, 0, v81, s0
	v_cmp_gt_i32_e64 s0, s33, v40
	v_cndmask_b32_e64 v1, 0, v1, s0
	s_delay_alu instid0(VALU_DEP_1)
	v_perm_b32 v1, v81, v1, 0x5040100
.LBB116_63:                             ;   in Loop: Header=BB116_38 Depth=1
	s_or_b32 exec_lo, exec_lo, s26
	s_waitcnt vmcnt(0)
	;;#ASMSTART
	v_pk_mul_f16 v1, v49, v1;

	;;#ASMEND
	;;#ASMSTART
	v_pk_mul_f16 v2, v48, v2;

	;;#ASMEND
	;; [unrolled: 4-line block ×4, first 2 shown]
	;;#ASMSTART
	v_pk_add_f16 v1, v1, v2;

	;;#ASMEND
	;;#ASMSTART
	v_pk_add_f16 v1, v1, v3;

	;;#ASMEND
	;; [unrolled: 4-line block ×3, first 2 shown]
	v_lshrrev_b32_e32 v3, 16, v1
	v_and_b32_e32 v4, 0xffff, v1
	v_add_co_u32 v1, s0, v54, v35
	s_delay_alu instid0(VALU_DEP_1)
	v_add_co_ci_u32_e64 v2, s0, 0, v55, s0
	;;#ASMSTART
	v_cvt_f32_f16 v78, v4;
	;;#ASMEND
	;;#ASMSTART
	v_cvt_f32_f16 v79, v3;
	;;#ASMEND
	global_load_b128 v[1:4], v[1:2], off
	s_and_saveexec_b32 s26, vcc_lo
	s_cbranch_execz .LBB116_65
; %bb.64:                               ;   in Loop: Header=BB116_38 Depth=1
	v_cmp_gt_i32_e64 s0, s18, v53
	s_waitcnt vmcnt(0)
	v_lshrrev_b32_e32 v80, 16, v4
	v_lshrrev_b32_e32 v81, 16, v3
	;; [unrolled: 1-line block ×4, first 2 shown]
	v_cndmask_b32_e64 v4, 0, v4, s0
	v_cmp_gt_i32_e64 s0, s19, v52
	s_delay_alu instid0(VALU_DEP_1) | instskip(SKIP_1) | instid1(VALU_DEP_2)
	v_cndmask_b32_e64 v80, 0, v80, s0
	v_cmp_gt_i32_e64 s0, s17, v51
	v_perm_b32 v4, v80, v4, 0x5040100
	s_delay_alu instid0(VALU_DEP_2) | instskip(SKIP_1) | instid1(VALU_DEP_1)
	v_cndmask_b32_e64 v81, 0, v81, s0
	v_cmp_gt_i32_e64 s0, s16, v50
	v_cndmask_b32_e64 v3, 0, v3, s0
	v_cmp_gt_i32_e64 s0, s15, v43
	s_delay_alu instid0(VALU_DEP_2) | instskip(NEXT) | instid1(VALU_DEP_2)
	v_perm_b32 v3, v81, v3, 0x5040100
	v_cndmask_b32_e64 v82, 0, v82, s0
	v_cmp_gt_i32_e64 s0, s13, v42
	s_delay_alu instid0(VALU_DEP_1) | instskip(SKIP_1) | instid1(VALU_DEP_2)
	v_cndmask_b32_e64 v2, 0, v2, s0
	v_cmp_gt_i32_e64 s0, s10, v41
	v_perm_b32 v2, v82, v2, 0x5040100
	s_delay_alu instid0(VALU_DEP_2) | instskip(SKIP_1) | instid1(VALU_DEP_1)
	v_cndmask_b32_e64 v83, 0, v83, s0
	v_cmp_gt_i32_e64 s0, s33, v40
	v_cndmask_b32_e64 v1, 0, v1, s0
	s_delay_alu instid0(VALU_DEP_1)
	v_perm_b32 v1, v83, v1, 0x5040100
.LBB116_65:                             ;   in Loop: Header=BB116_38 Depth=1
	s_or_b32 exec_lo, exec_lo, s26
	s_waitcnt vmcnt(0)
	;;#ASMSTART
	v_pk_mul_f16 v1, v49, v1;

	;;#ASMEND
	;;#ASMSTART
	v_pk_mul_f16 v2, v48, v2;

	;;#ASMEND
	;; [unrolled: 4-line block ×4, first 2 shown]
	;;#ASMSTART
	v_pk_add_f16 v1, v1, v2;

	;;#ASMEND
	;;#ASMSTART
	v_pk_add_f16 v1, v1, v3;

	;;#ASMEND
	;; [unrolled: 4-line block ×3, first 2 shown]
	v_lshrrev_b32_e32 v3, 16, v1
	v_and_b32_e32 v4, 0xffff, v1
	v_add_co_u32 v1, s0, v54, v37
	s_delay_alu instid0(VALU_DEP_1)
	v_add_co_ci_u32_e64 v2, s0, 0, v55, s0
	;;#ASMSTART
	v_cvt_f32_f16 v80, v4;
	;;#ASMEND
	;;#ASMSTART
	v_cvt_f32_f16 v81, v3;
	;;#ASMEND
	global_load_b128 v[1:4], v[1:2], off
	s_and_saveexec_b32 s26, vcc_lo
	s_cbranch_execz .LBB116_67
; %bb.66:                               ;   in Loop: Header=BB116_38 Depth=1
	v_cmp_gt_i32_e64 s0, s18, v53
	s_waitcnt vmcnt(0)
	v_lshrrev_b32_e32 v82, 16, v4
	v_lshrrev_b32_e32 v83, 16, v3
	v_lshrrev_b32_e32 v84, 16, v2
	v_lshrrev_b32_e32 v85, 16, v1
	v_cndmask_b32_e64 v4, 0, v4, s0
	v_cmp_gt_i32_e64 s0, s19, v52
	s_delay_alu instid0(VALU_DEP_1) | instskip(SKIP_1) | instid1(VALU_DEP_2)
	v_cndmask_b32_e64 v82, 0, v82, s0
	v_cmp_gt_i32_e64 s0, s17, v51
	v_perm_b32 v4, v82, v4, 0x5040100
	s_delay_alu instid0(VALU_DEP_2) | instskip(SKIP_1) | instid1(VALU_DEP_1)
	v_cndmask_b32_e64 v83, 0, v83, s0
	v_cmp_gt_i32_e64 s0, s16, v50
	v_cndmask_b32_e64 v3, 0, v3, s0
	v_cmp_gt_i32_e64 s0, s15, v43
	s_delay_alu instid0(VALU_DEP_2) | instskip(NEXT) | instid1(VALU_DEP_2)
	v_perm_b32 v3, v83, v3, 0x5040100
	v_cndmask_b32_e64 v84, 0, v84, s0
	v_cmp_gt_i32_e64 s0, s13, v42
	s_delay_alu instid0(VALU_DEP_1) | instskip(SKIP_1) | instid1(VALU_DEP_2)
	v_cndmask_b32_e64 v2, 0, v2, s0
	v_cmp_gt_i32_e64 s0, s10, v41
	v_perm_b32 v2, v84, v2, 0x5040100
	s_delay_alu instid0(VALU_DEP_2) | instskip(SKIP_1) | instid1(VALU_DEP_1)
	v_cndmask_b32_e64 v85, 0, v85, s0
	v_cmp_gt_i32_e64 s0, s33, v40
	v_cndmask_b32_e64 v1, 0, v1, s0
	s_delay_alu instid0(VALU_DEP_1)
	v_perm_b32 v1, v85, v1, 0x5040100
.LBB116_67:                             ;   in Loop: Header=BB116_38 Depth=1
	s_or_b32 exec_lo, exec_lo, s26
	s_waitcnt vmcnt(0)
	;;#ASMSTART
	v_pk_mul_f16 v1, v49, v1;

	;;#ASMEND
	;;#ASMSTART
	v_pk_mul_f16 v2, v48, v2;

	;;#ASMEND
	;; [unrolled: 4-line block ×4, first 2 shown]
	;;#ASMSTART
	v_pk_add_f16 v1, v1, v2;

	;;#ASMEND
	;;#ASMSTART
	v_pk_add_f16 v1, v1, v3;

	;;#ASMEND
	;; [unrolled: 4-line block ×3, first 2 shown]
	v_lshrrev_b32_e32 v3, 16, v1
	v_and_b32_e32 v4, 0xffff, v1
	v_add_co_u32 v1, s0, v54, v38
	s_delay_alu instid0(VALU_DEP_1)
	v_add_co_ci_u32_e64 v2, s0, 0, v55, s0
	;;#ASMSTART
	v_cvt_f32_f16 v82, v4;
	;;#ASMEND
	;;#ASMSTART
	v_cvt_f32_f16 v83, v3;
	;;#ASMEND
	global_load_b128 v[1:4], v[1:2], off
	s_and_saveexec_b32 s26, vcc_lo
	s_cbranch_execz .LBB116_69
; %bb.68:                               ;   in Loop: Header=BB116_38 Depth=1
	v_cmp_gt_i32_e64 s0, s18, v53
	s_waitcnt vmcnt(0)
	v_lshrrev_b32_e32 v84, 16, v4
	v_lshrrev_b32_e32 v85, 16, v3
	;; [unrolled: 1-line block ×4, first 2 shown]
	v_cndmask_b32_e64 v4, 0, v4, s0
	v_cmp_gt_i32_e64 s0, s19, v52
	s_delay_alu instid0(VALU_DEP_1) | instskip(SKIP_1) | instid1(VALU_DEP_2)
	v_cndmask_b32_e64 v84, 0, v84, s0
	v_cmp_gt_i32_e64 s0, s17, v51
	v_perm_b32 v4, v84, v4, 0x5040100
	s_delay_alu instid0(VALU_DEP_2) | instskip(SKIP_1) | instid1(VALU_DEP_1)
	v_cndmask_b32_e64 v85, 0, v85, s0
	v_cmp_gt_i32_e64 s0, s16, v50
	v_cndmask_b32_e64 v3, 0, v3, s0
	v_cmp_gt_i32_e64 s0, s15, v43
	s_delay_alu instid0(VALU_DEP_2) | instskip(NEXT) | instid1(VALU_DEP_2)
	v_perm_b32 v3, v85, v3, 0x5040100
	v_cndmask_b32_e64 v86, 0, v86, s0
	v_cmp_gt_i32_e64 s0, s13, v42
	s_delay_alu instid0(VALU_DEP_1) | instskip(SKIP_1) | instid1(VALU_DEP_2)
	v_cndmask_b32_e64 v2, 0, v2, s0
	v_cmp_gt_i32_e64 s0, s10, v41
	v_perm_b32 v2, v86, v2, 0x5040100
	s_delay_alu instid0(VALU_DEP_2) | instskip(SKIP_1) | instid1(VALU_DEP_1)
	v_cndmask_b32_e64 v87, 0, v87, s0
	v_cmp_gt_i32_e64 s0, s33, v40
	v_cndmask_b32_e64 v1, 0, v1, s0
	s_delay_alu instid0(VALU_DEP_1)
	v_perm_b32 v1, v87, v1, 0x5040100
.LBB116_69:                             ;   in Loop: Header=BB116_38 Depth=1
	s_or_b32 exec_lo, exec_lo, s26
	s_waitcnt vmcnt(0)
	;;#ASMSTART
	v_pk_mul_f16 v1, v49, v1;

	;;#ASMEND
	;;#ASMSTART
	v_pk_mul_f16 v2, v48, v2;

	;;#ASMEND
	;; [unrolled: 4-line block ×4, first 2 shown]
	;;#ASMSTART
	v_pk_add_f16 v1, v1, v2;

	;;#ASMEND
	;;#ASMSTART
	v_pk_add_f16 v1, v1, v3;

	;;#ASMEND
	;; [unrolled: 4-line block ×3, first 2 shown]
	v_lshrrev_b32_e32 v3, 16, v1
	v_and_b32_e32 v4, 0xffff, v1
	v_add_co_u32 v1, s0, v54, v39
	s_delay_alu instid0(VALU_DEP_1)
	v_add_co_ci_u32_e64 v2, s0, 0, v55, s0
	;;#ASMSTART
	v_cvt_f32_f16 v54, v4;
	;;#ASMEND
	;;#ASMSTART
	v_cvt_f32_f16 v55, v3;
	;;#ASMEND
	global_load_b128 v[1:4], v[1:2], off
	s_and_saveexec_b32 s0, vcc_lo
	s_cbranch_execz .LBB116_36
; %bb.70:                               ;   in Loop: Header=BB116_38 Depth=1
	v_cmp_gt_i32_e32 vcc_lo, s18, v53
	s_waitcnt vmcnt(0)
	v_lshrrev_b32_e32 v84, 16, v4
	v_lshrrev_b32_e32 v85, 16, v3
	;; [unrolled: 1-line block ×3, first 2 shown]
	v_cndmask_b32_e32 v4, 0, v4, vcc_lo
	v_cmp_gt_i32_e32 vcc_lo, s19, v52
	v_cndmask_b32_e32 v52, 0, v84, vcc_lo
	v_cmp_gt_i32_e32 vcc_lo, s17, v51
	;; [unrolled: 2-line block ×3, first 2 shown]
	v_lshrrev_b32_e32 v50, 16, v1
	v_cndmask_b32_e32 v3, 0, v3, vcc_lo
	v_cmp_gt_i32_e32 vcc_lo, s15, v43
	v_perm_b32 v4, v52, v4, 0x5040100
	s_delay_alu instid0(VALU_DEP_3) | instskip(SKIP_4) | instid1(VALU_DEP_2)
	v_perm_b32 v3, v51, v3, 0x5040100
	v_cndmask_b32_e32 v43, 0, v53, vcc_lo
	v_cmp_gt_i32_e32 vcc_lo, s13, v42
	v_cndmask_b32_e32 v2, 0, v2, vcc_lo
	v_cmp_gt_i32_e32 vcc_lo, s10, v41
	v_perm_b32 v2, v43, v2, 0x5040100
	v_cndmask_b32_e32 v41, 0, v50, vcc_lo
	v_cmp_gt_i32_e32 vcc_lo, s33, v40
	v_cndmask_b32_e32 v1, 0, v1, vcc_lo
	s_delay_alu instid0(VALU_DEP_1)
	v_perm_b32 v1, v41, v1, 0x5040100
	s_branch .LBB116_36
.LBB116_71:
	s_or_b32 exec_lo, exec_lo, s3
.LBB116_72:
	s_delay_alu instid0(SALU_CYCLE_1)
	s_or_b32 exec_lo, exec_lo, s1
	ds_bpermute_b32 v1, v10, v26
	ds_bpermute_b32 v2, v10, v27
	;; [unrolled: 1-line block ×16, first 2 shown]
	s_mov_b32 s0, exec_lo
	s_waitcnt lgkmcnt(0)
	s_waitcnt_vscnt null, 0x0
	s_barrier
	buffer_gl0_inv
	v_dual_add_f32 v1, v26, v1 :: v_dual_add_f32 v2, v27, v2
	v_dual_add_f32 v3, v25, v3 :: v_dual_add_f32 v4, v24, v4
	;; [unrolled: 1-line block ×3, first 2 shown]
	ds_bpermute_b32 v23, v9, v2
	ds_bpermute_b32 v24, v9, v3
	v_dual_add_f32 v7, v21, v7 :: v_dual_add_f32 v8, v20, v8
	v_dual_add_f32 v19, v19, v28 :: v_dual_add_f32 v18, v18, v29
	;; [unrolled: 1-line block ×4, first 2 shown]
	v_add_f32_e32 v34, v13, v34
	v_add_f32_e32 v37, v12, v10
	ds_bpermute_b32 v22, v9, v1
	ds_bpermute_b32 v25, v9, v4
	;; [unrolled: 1-line block ×8, first 2 shown]
	s_waitcnt lgkmcnt(9)
	v_add_f32_e32 v16, v2, v23
	ds_bpermute_b32 v35, v9, v27
	ds_bpermute_b32 v36, v9, v30
	;; [unrolled: 1-line block ×5, first 2 shown]
	s_waitcnt lgkmcnt(13)
	v_add_f32_e32 v15, v3, v24
	ds_bpermute_b32 v40, v9, v34
	s_waitcnt lgkmcnt(12)
	v_dual_add_f32 v17, v1, v22 :: v_dual_add_f32 v14, v4, v25
	s_waitcnt lgkmcnt(10)
	v_dual_add_f32 v13, v5, v21 :: v_dual_add_f32 v12, v6, v26
	s_waitcnt lgkmcnt(9)
	v_add_f32_e32 v10, v7, v20
	s_waitcnt lgkmcnt(7)
	v_dual_add_f32 v9, v8, v28 :: v_dual_add_f32 v8, v19, v29
	s_waitcnt lgkmcnt(6)
	v_dual_add_f32 v7, v18, v31 :: v_dual_and_b32 v20, 0x3c3, v0
	s_waitcnt lgkmcnt(5)
	v_add_f32_e32 v6, v27, v35
	s_waitcnt lgkmcnt(4)
	v_add_f32_e32 v4, v30, v36
	s_waitcnt lgkmcnt(2)
	v_dual_add_f32 v2, v32, v38 :: v_dual_add_f32 v1, v33, v39
	s_waitcnt lgkmcnt(1)
	v_add_f32_e32 v3, v37, v41
	v_lshrrev_b32_e32 v18, 2, v66
	s_waitcnt lgkmcnt(0)
	v_add_f32_e32 v5, v34, v40
	v_lshl_add_u32 v19, v65, 9, 0x120
	v_cmpx_eq_u32_e32 64, v20
	s_cbranch_execz .LBB116_74
; %bb.73:
	v_lshlrev_b32_e32 v20, 2, v18
	s_delay_alu instid0(VALU_DEP_1)
	v_add3_u32 v20, v19, v20, 0xfffffc00
	ds_store_2addr_b32 v20, v17, v16 offset1:8
	ds_store_2addr_b32 v20, v15, v14 offset0:16 offset1:24
	ds_store_2addr_b32 v20, v13, v12 offset0:32 offset1:40
	;; [unrolled: 1-line block ×7, first 2 shown]
.LBB116_74:
	s_or_b32 exec_lo, exec_lo, s0
	v_cmp_eq_u32_e32 vcc_lo, 0, v11
	s_mov_b32 s1, exec_lo
	s_waitcnt lgkmcnt(0)
	s_barrier
	buffer_gl0_inv
	v_cmpx_gt_u32_e32 64, v0
	s_cbranch_execz .LBB116_93
; %bb.75:
	s_and_saveexec_b32 s0, vcc_lo
	s_cbranch_execnz .LBB116_117
; %bb.76:
	s_or_b32 exec_lo, exec_lo, s0
	s_and_saveexec_b32 s0, vcc_lo
	s_cbranch_execnz .LBB116_118
.LBB116_77:
	s_or_b32 exec_lo, exec_lo, s0
	s_and_saveexec_b32 s0, vcc_lo
	s_cbranch_execnz .LBB116_119
.LBB116_78:
	s_or_b32 exec_lo, exec_lo, s0
	s_and_saveexec_b32 s0, vcc_lo
	s_cbranch_execnz .LBB116_120
.LBB116_79:
	s_or_b32 exec_lo, exec_lo, s0
	s_and_saveexec_b32 s0, vcc_lo
	s_cbranch_execnz .LBB116_121
.LBB116_80:
	s_or_b32 exec_lo, exec_lo, s0
	s_and_saveexec_b32 s0, vcc_lo
	s_cbranch_execnz .LBB116_122
.LBB116_81:
	s_or_b32 exec_lo, exec_lo, s0
	s_and_saveexec_b32 s0, vcc_lo
	s_cbranch_execnz .LBB116_123
.LBB116_82:
	s_or_b32 exec_lo, exec_lo, s0
	s_and_saveexec_b32 s0, vcc_lo
	s_cbranch_execnz .LBB116_124
.LBB116_83:
	s_or_b32 exec_lo, exec_lo, s0
	s_and_saveexec_b32 s0, vcc_lo
	s_cbranch_execnz .LBB116_125
.LBB116_84:
	s_or_b32 exec_lo, exec_lo, s0
	s_and_saveexec_b32 s0, vcc_lo
	s_cbranch_execnz .LBB116_126
.LBB116_85:
	s_or_b32 exec_lo, exec_lo, s0
	s_and_saveexec_b32 s0, vcc_lo
	s_cbranch_execnz .LBB116_127
.LBB116_86:
	s_or_b32 exec_lo, exec_lo, s0
	s_and_saveexec_b32 s0, vcc_lo
	s_cbranch_execnz .LBB116_128
.LBB116_87:
	s_or_b32 exec_lo, exec_lo, s0
	s_and_saveexec_b32 s0, vcc_lo
	s_cbranch_execnz .LBB116_129
.LBB116_88:
	s_or_b32 exec_lo, exec_lo, s0
	s_and_saveexec_b32 s0, vcc_lo
	s_cbranch_execnz .LBB116_130
.LBB116_89:
	s_or_b32 exec_lo, exec_lo, s0
	s_and_saveexec_b32 s0, vcc_lo
	s_cbranch_execnz .LBB116_131
.LBB116_90:
	s_or_b32 exec_lo, exec_lo, s0
	s_and_saveexec_b32 s0, vcc_lo
	s_cbranch_execz .LBB116_92
.LBB116_91:
	v_lshl_add_u32 v11, v18, 2, v19
	ds_load_b32 v11, v11 offset:480
	s_waitcnt lgkmcnt(0)
	v_add_f32_e32 v3, v3, v11
.LBB116_92:
	s_or_b32 exec_lo, exec_lo, s0
.LBB116_93:
	s_delay_alu instid0(SALU_CYCLE_1)
	s_or_b32 exec_lo, exec_lo, s1
	v_and_b32_e32 v11, 0x3e3, v0
	s_mov_b32 s1, exec_lo
	s_barrier
	buffer_gl0_inv
	v_cmpx_eq_u32_e32 32, v11
	s_cbranch_execz .LBB116_95
; %bb.94:
	v_lshl_add_u32 v20, v18, 2, 0x120
	ds_store_2addr_b32 v20, v17, v16 offset1:8
	ds_store_2addr_b32 v20, v15, v14 offset0:16 offset1:24
	ds_store_2addr_b32 v20, v13, v12 offset0:32 offset1:40
	;; [unrolled: 1-line block ×7, first 2 shown]
.LBB116_95:
	s_or_b32 exec_lo, exec_lo, s1
	s_delay_alu instid0(SALU_CYCLE_1)
	s_mov_b32 s1, exec_lo
	s_waitcnt lgkmcnt(0)
	s_barrier
	buffer_gl0_inv
	v_cmpx_gt_u32_e32 32, v0
	s_cbranch_execz .LBB116_114
; %bb.96:
	v_lshl_add_u32 v18, v18, 2, v19
	s_and_saveexec_b32 s0, vcc_lo
	s_cbranch_execnz .LBB116_132
; %bb.97:
	s_or_b32 exec_lo, exec_lo, s0
	s_and_saveexec_b32 s0, vcc_lo
	s_cbranch_execnz .LBB116_133
.LBB116_98:
	s_or_b32 exec_lo, exec_lo, s0
	s_and_saveexec_b32 s0, vcc_lo
	s_cbranch_execnz .LBB116_134
.LBB116_99:
	s_or_b32 exec_lo, exec_lo, s0
	s_and_saveexec_b32 s0, vcc_lo
	s_cbranch_execnz .LBB116_135
.LBB116_100:
	s_or_b32 exec_lo, exec_lo, s0
	s_and_saveexec_b32 s0, vcc_lo
	s_cbranch_execnz .LBB116_136
.LBB116_101:
	s_or_b32 exec_lo, exec_lo, s0
	s_and_saveexec_b32 s0, vcc_lo
	s_cbranch_execnz .LBB116_137
.LBB116_102:
	s_or_b32 exec_lo, exec_lo, s0
	s_and_saveexec_b32 s0, vcc_lo
	s_cbranch_execnz .LBB116_138
.LBB116_103:
	s_or_b32 exec_lo, exec_lo, s0
	s_and_saveexec_b32 s0, vcc_lo
	s_cbranch_execnz .LBB116_139
.LBB116_104:
	s_or_b32 exec_lo, exec_lo, s0
	s_and_saveexec_b32 s0, vcc_lo
	s_cbranch_execnz .LBB116_140
.LBB116_105:
	s_or_b32 exec_lo, exec_lo, s0
	s_and_saveexec_b32 s0, vcc_lo
	s_cbranch_execnz .LBB116_141
.LBB116_106:
	s_or_b32 exec_lo, exec_lo, s0
	s_and_saveexec_b32 s0, vcc_lo
	s_cbranch_execnz .LBB116_142
.LBB116_107:
	s_or_b32 exec_lo, exec_lo, s0
	s_and_saveexec_b32 s0, vcc_lo
	s_cbranch_execnz .LBB116_143
.LBB116_108:
	s_or_b32 exec_lo, exec_lo, s0
	s_and_saveexec_b32 s0, vcc_lo
	s_cbranch_execnz .LBB116_144
.LBB116_109:
	s_or_b32 exec_lo, exec_lo, s0
	s_and_saveexec_b32 s0, vcc_lo
	s_cbranch_execnz .LBB116_145
.LBB116_110:
	s_or_b32 exec_lo, exec_lo, s0
	s_and_saveexec_b32 s0, vcc_lo
	s_cbranch_execnz .LBB116_146
.LBB116_111:
	s_or_b32 exec_lo, exec_lo, s0
	s_and_saveexec_b32 s0, vcc_lo
	s_cbranch_execz .LBB116_113
.LBB116_112:
	ds_load_b32 v18, v18 offset:480
	s_waitcnt lgkmcnt(0)
	v_add_f32_e32 v3, v3, v18
.LBB116_113:
	s_or_b32 exec_lo, exec_lo, s0
.LBB116_114:
	s_delay_alu instid0(SALU_CYCLE_1)
	s_or_b32 exec_lo, exec_lo, s1
	s_barrier
	buffer_gl0_inv
	s_mov_b32 s0, exec_lo
	v_cmpx_eq_u32_e32 0, v11
	s_cbranch_execz .LBB116_116
; %bb.115:
	s_lshl_b32 s0, s14, 7
	s_mul_i32 s2, s4, s20
	s_ashr_i32 s1, s0, 31
	v_lshrrev_b32_e32 v0, 1, v0
	s_lshl_b64 s[0:1], s[0:1], 1
	;;#ASMSTART
	v_cvt_f16_f32 v11, v17;

	;;#ASMEND
	s_add_u32 s4, s22, s0
	s_addc_u32 s5, s23, s1
	s_ashr_i32 s3, s2, 31
	s_delay_alu instid0(SALU_CYCLE_1) | instskip(NEXT) | instid1(SALU_CYCLE_1)
	s_lshl_b64 s[0:1], s[2:3], 1
	s_add_u32 s2, s4, s0
	s_addc_u32 s3, s5, s1
	s_lshl_b32 s0, s12, 7
	s_delay_alu instid0(SALU_CYCLE_1) | instskip(NEXT) | instid1(SALU_CYCLE_1)
	s_ashr_i32 s1, s0, 31
	s_lshl_b64 s[0:1], s[0:1], 1
	s_delay_alu instid0(SALU_CYCLE_1)
	s_add_u32 s0, s2, s0
	s_addc_u32 s1, s3, s1
	global_store_b16 v0, v11, s[0:1]
	;;#ASMSTART
	v_cvt_f16_f32 v11, v16;

	;;#ASMEND
	global_store_b16 v0, v11, s[0:1] offset:16
	;;#ASMSTART
	v_cvt_f16_f32 v11, v15;

	;;#ASMEND
	global_store_b16 v0, v11, s[0:1] offset:32
	;; [unrolled: 5-line block ×15, first 2 shown]
.LBB116_116:
	s_nop 0
	s_sendmsg sendmsg(MSG_DEALLOC_VGPRS)
	s_endpgm
.LBB116_117:
	v_lshl_add_u32 v11, v18, 2, v19
	ds_load_b32 v11, v11
	s_waitcnt lgkmcnt(0)
	v_add_f32_e32 v17, v17, v11
	s_or_b32 exec_lo, exec_lo, s0
	s_and_saveexec_b32 s0, vcc_lo
	s_cbranch_execz .LBB116_77
.LBB116_118:
	v_lshl_add_u32 v11, v18, 2, v19
	ds_load_b32 v11, v11 offset:32
	s_waitcnt lgkmcnt(0)
	v_add_f32_e32 v16, v16, v11
	s_or_b32 exec_lo, exec_lo, s0
	s_and_saveexec_b32 s0, vcc_lo
	s_cbranch_execz .LBB116_78
.LBB116_119:
	v_lshl_add_u32 v11, v18, 2, v19
	ds_load_b32 v11, v11 offset:64
	s_waitcnt lgkmcnt(0)
	v_add_f32_e32 v15, v15, v11
	s_or_b32 exec_lo, exec_lo, s0
	s_and_saveexec_b32 s0, vcc_lo
	s_cbranch_execz .LBB116_79
.LBB116_120:
	v_lshl_add_u32 v11, v18, 2, v19
	ds_load_b32 v11, v11 offset:96
	s_waitcnt lgkmcnt(0)
	v_add_f32_e32 v14, v14, v11
	s_or_b32 exec_lo, exec_lo, s0
	s_and_saveexec_b32 s0, vcc_lo
	s_cbranch_execz .LBB116_80
.LBB116_121:
	v_lshl_add_u32 v11, v18, 2, v19
	ds_load_b32 v11, v11 offset:128
	s_waitcnt lgkmcnt(0)
	v_add_f32_e32 v13, v13, v11
	s_or_b32 exec_lo, exec_lo, s0
	s_and_saveexec_b32 s0, vcc_lo
	s_cbranch_execz .LBB116_81
.LBB116_122:
	v_lshl_add_u32 v11, v18, 2, v19
	ds_load_b32 v11, v11 offset:160
	s_waitcnt lgkmcnt(0)
	v_add_f32_e32 v12, v12, v11
	s_or_b32 exec_lo, exec_lo, s0
	s_and_saveexec_b32 s0, vcc_lo
	s_cbranch_execz .LBB116_82
.LBB116_123:
	v_lshl_add_u32 v11, v18, 2, v19
	ds_load_b32 v11, v11 offset:192
	s_waitcnt lgkmcnt(0)
	v_add_f32_e32 v10, v10, v11
	s_or_b32 exec_lo, exec_lo, s0
	s_and_saveexec_b32 s0, vcc_lo
	s_cbranch_execz .LBB116_83
.LBB116_124:
	v_lshl_add_u32 v11, v18, 2, v19
	ds_load_b32 v11, v11 offset:224
	s_waitcnt lgkmcnt(0)
	v_add_f32_e32 v9, v9, v11
	s_or_b32 exec_lo, exec_lo, s0
	s_and_saveexec_b32 s0, vcc_lo
	s_cbranch_execz .LBB116_84
.LBB116_125:
	v_lshl_add_u32 v11, v18, 2, v19
	ds_load_b32 v11, v11 offset:256
	s_waitcnt lgkmcnt(0)
	v_add_f32_e32 v8, v8, v11
	s_or_b32 exec_lo, exec_lo, s0
	s_and_saveexec_b32 s0, vcc_lo
	s_cbranch_execz .LBB116_85
.LBB116_126:
	v_lshl_add_u32 v11, v18, 2, v19
	ds_load_b32 v11, v11 offset:288
	s_waitcnt lgkmcnt(0)
	v_add_f32_e32 v7, v7, v11
	s_or_b32 exec_lo, exec_lo, s0
	s_and_saveexec_b32 s0, vcc_lo
	s_cbranch_execz .LBB116_86
.LBB116_127:
	v_lshl_add_u32 v11, v18, 2, v19
	ds_load_b32 v11, v11 offset:320
	s_waitcnt lgkmcnt(0)
	v_add_f32_e32 v6, v6, v11
	s_or_b32 exec_lo, exec_lo, s0
	s_and_saveexec_b32 s0, vcc_lo
	s_cbranch_execz .LBB116_87
.LBB116_128:
	v_lshl_add_u32 v11, v18, 2, v19
	ds_load_b32 v11, v11 offset:352
	s_waitcnt lgkmcnt(0)
	v_add_f32_e32 v4, v4, v11
	s_or_b32 exec_lo, exec_lo, s0
	s_and_saveexec_b32 s0, vcc_lo
	s_cbranch_execz .LBB116_88
.LBB116_129:
	v_lshl_add_u32 v11, v18, 2, v19
	ds_load_b32 v11, v11 offset:384
	s_waitcnt lgkmcnt(0)
	v_add_f32_e32 v2, v2, v11
	s_or_b32 exec_lo, exec_lo, s0
	s_and_saveexec_b32 s0, vcc_lo
	s_cbranch_execz .LBB116_89
.LBB116_130:
	v_lshl_add_u32 v11, v18, 2, v19
	ds_load_b32 v11, v11 offset:416
	s_waitcnt lgkmcnt(0)
	v_add_f32_e32 v1, v1, v11
	s_or_b32 exec_lo, exec_lo, s0
	s_and_saveexec_b32 s0, vcc_lo
	s_cbranch_execz .LBB116_90
.LBB116_131:
	v_lshl_add_u32 v11, v18, 2, v19
	ds_load_b32 v11, v11 offset:448
	s_waitcnt lgkmcnt(0)
	v_add_f32_e32 v5, v5, v11
	s_or_b32 exec_lo, exec_lo, s0
	s_and_saveexec_b32 s0, vcc_lo
	s_cbranch_execnz .LBB116_91
	s_branch .LBB116_92
.LBB116_132:
	ds_load_b32 v19, v18
	s_waitcnt lgkmcnt(0)
	v_add_f32_e32 v17, v17, v19
	s_or_b32 exec_lo, exec_lo, s0
	s_and_saveexec_b32 s0, vcc_lo
	s_cbranch_execz .LBB116_98
.LBB116_133:
	ds_load_b32 v19, v18 offset:32
	s_waitcnt lgkmcnt(0)
	v_add_f32_e32 v16, v16, v19
	s_or_b32 exec_lo, exec_lo, s0
	s_and_saveexec_b32 s0, vcc_lo
	s_cbranch_execz .LBB116_99
.LBB116_134:
	ds_load_b32 v19, v18 offset:64
	s_waitcnt lgkmcnt(0)
	v_add_f32_e32 v15, v15, v19
	s_or_b32 exec_lo, exec_lo, s0
	s_and_saveexec_b32 s0, vcc_lo
	s_cbranch_execz .LBB116_100
.LBB116_135:
	ds_load_b32 v19, v18 offset:96
	s_waitcnt lgkmcnt(0)
	v_add_f32_e32 v14, v14, v19
	s_or_b32 exec_lo, exec_lo, s0
	s_and_saveexec_b32 s0, vcc_lo
	s_cbranch_execz .LBB116_101
.LBB116_136:
	ds_load_b32 v19, v18 offset:128
	s_waitcnt lgkmcnt(0)
	v_add_f32_e32 v13, v13, v19
	s_or_b32 exec_lo, exec_lo, s0
	s_and_saveexec_b32 s0, vcc_lo
	s_cbranch_execz .LBB116_102
.LBB116_137:
	ds_load_b32 v19, v18 offset:160
	s_waitcnt lgkmcnt(0)
	v_add_f32_e32 v12, v12, v19
	s_or_b32 exec_lo, exec_lo, s0
	s_and_saveexec_b32 s0, vcc_lo
	s_cbranch_execz .LBB116_103
.LBB116_138:
	ds_load_b32 v19, v18 offset:192
	s_waitcnt lgkmcnt(0)
	v_add_f32_e32 v10, v10, v19
	s_or_b32 exec_lo, exec_lo, s0
	s_and_saveexec_b32 s0, vcc_lo
	s_cbranch_execz .LBB116_104
.LBB116_139:
	ds_load_b32 v19, v18 offset:224
	s_waitcnt lgkmcnt(0)
	v_add_f32_e32 v9, v9, v19
	s_or_b32 exec_lo, exec_lo, s0
	s_and_saveexec_b32 s0, vcc_lo
	s_cbranch_execz .LBB116_105
.LBB116_140:
	ds_load_b32 v19, v18 offset:256
	s_waitcnt lgkmcnt(0)
	v_add_f32_e32 v8, v8, v19
	s_or_b32 exec_lo, exec_lo, s0
	s_and_saveexec_b32 s0, vcc_lo
	s_cbranch_execz .LBB116_106
.LBB116_141:
	ds_load_b32 v19, v18 offset:288
	s_waitcnt lgkmcnt(0)
	v_add_f32_e32 v7, v7, v19
	s_or_b32 exec_lo, exec_lo, s0
	s_and_saveexec_b32 s0, vcc_lo
	s_cbranch_execz .LBB116_107
.LBB116_142:
	ds_load_b32 v19, v18 offset:320
	s_waitcnt lgkmcnt(0)
	v_add_f32_e32 v6, v6, v19
	s_or_b32 exec_lo, exec_lo, s0
	s_and_saveexec_b32 s0, vcc_lo
	s_cbranch_execz .LBB116_108
.LBB116_143:
	ds_load_b32 v19, v18 offset:352
	s_waitcnt lgkmcnt(0)
	v_add_f32_e32 v4, v4, v19
	s_or_b32 exec_lo, exec_lo, s0
	s_and_saveexec_b32 s0, vcc_lo
	s_cbranch_execz .LBB116_109
.LBB116_144:
	ds_load_b32 v19, v18 offset:384
	s_waitcnt lgkmcnt(0)
	v_add_f32_e32 v2, v2, v19
	s_or_b32 exec_lo, exec_lo, s0
	s_and_saveexec_b32 s0, vcc_lo
	s_cbranch_execz .LBB116_110
.LBB116_145:
	ds_load_b32 v19, v18 offset:416
	s_waitcnt lgkmcnt(0)
	v_add_f32_e32 v1, v1, v19
	s_or_b32 exec_lo, exec_lo, s0
	s_and_saveexec_b32 s0, vcc_lo
	s_cbranch_execz .LBB116_111
.LBB116_146:
	ds_load_b32 v19, v18 offset:448
	s_waitcnt lgkmcnt(0)
	v_add_f32_e32 v5, v5, v19
	s_or_b32 exec_lo, exec_lo, s0
	s_and_saveexec_b32 s0, vcc_lo
	s_cbranch_execnz .LBB116_112
	s_branch .LBB116_113
	.section	.rodata,"a",@progbits
	.p2align	6, 0x0
	.amdhsa_kernel _ZN4vllm25paged_attention_v2_kernelIttLi128ELi32ELi128ELNS_18Fp8KVCacheDataTypeE0ELb1ELi512EEEvPfS2_PT_PKS3_PKT0_S9_ifPKiSB_iPKfiiiSD_SD_iiiii
		.amdhsa_group_segment_fixed_size 288
		.amdhsa_private_segment_fixed_size 0
		.amdhsa_kernarg_size 400
		.amdhsa_user_sgpr_count 13
		.amdhsa_user_sgpr_dispatch_ptr 0
		.amdhsa_user_sgpr_queue_ptr 0
		.amdhsa_user_sgpr_kernarg_segment_ptr 1
		.amdhsa_user_sgpr_dispatch_id 0
		.amdhsa_user_sgpr_private_segment_size 0
		.amdhsa_wavefront_size32 1
		.amdhsa_uses_dynamic_stack 0
		.amdhsa_enable_private_segment 0
		.amdhsa_system_sgpr_workgroup_id_x 1
		.amdhsa_system_sgpr_workgroup_id_y 1
		.amdhsa_system_sgpr_workgroup_id_z 1
		.amdhsa_system_sgpr_workgroup_info 0
		.amdhsa_system_vgpr_workitem_id 0
		.amdhsa_next_free_vgpr 102
		.amdhsa_next_free_sgpr 44
		.amdhsa_reserve_vcc 1
		.amdhsa_float_round_mode_32 0
		.amdhsa_float_round_mode_16_64 0
		.amdhsa_float_denorm_mode_32 3
		.amdhsa_float_denorm_mode_16_64 3
		.amdhsa_dx10_clamp 1
		.amdhsa_ieee_mode 1
		.amdhsa_fp16_overflow 0
		.amdhsa_workgroup_processor_mode 1
		.amdhsa_memory_ordered 1
		.amdhsa_forward_progress 0
		.amdhsa_shared_vgpr_count 0
		.amdhsa_exception_fp_ieee_invalid_op 0
		.amdhsa_exception_fp_denorm_src 0
		.amdhsa_exception_fp_ieee_div_zero 0
		.amdhsa_exception_fp_ieee_overflow 0
		.amdhsa_exception_fp_ieee_underflow 0
		.amdhsa_exception_fp_ieee_inexact 0
		.amdhsa_exception_int_div_zero 0
	.end_amdhsa_kernel
	.section	.text._ZN4vllm25paged_attention_v2_kernelIttLi128ELi32ELi128ELNS_18Fp8KVCacheDataTypeE0ELb1ELi512EEEvPfS2_PT_PKS3_PKT0_S9_ifPKiSB_iPKfiiiSD_SD_iiiii,"axG",@progbits,_ZN4vllm25paged_attention_v2_kernelIttLi128ELi32ELi128ELNS_18Fp8KVCacheDataTypeE0ELb1ELi512EEEvPfS2_PT_PKS3_PKT0_S9_ifPKiSB_iPKfiiiSD_SD_iiiii,comdat
.Lfunc_end116:
	.size	_ZN4vllm25paged_attention_v2_kernelIttLi128ELi32ELi128ELNS_18Fp8KVCacheDataTypeE0ELb1ELi512EEEvPfS2_PT_PKS3_PKT0_S9_ifPKiSB_iPKfiiiSD_SD_iiiii, .Lfunc_end116-_ZN4vllm25paged_attention_v2_kernelIttLi128ELi32ELi128ELNS_18Fp8KVCacheDataTypeE0ELb1ELi512EEEvPfS2_PT_PKS3_PKT0_S9_ifPKiSB_iPKfiiiSD_SD_iiiii
                                        ; -- End function
	.section	.AMDGPU.csdata,"",@progbits
; Kernel info:
; codeLenInByte = 21400
; NumSgprs: 46
; NumVgprs: 102
; ScratchSize: 0
; MemoryBound: 0
; FloatMode: 240
; IeeeMode: 1
; LDSByteSize: 288 bytes/workgroup (compile time only)
; SGPRBlocks: 5
; VGPRBlocks: 12
; NumSGPRsForWavesPerEU: 46
; NumVGPRsForWavesPerEU: 102
; Occupancy: 12
; WaveLimiterHint : 1
; COMPUTE_PGM_RSRC2:SCRATCH_EN: 0
; COMPUTE_PGM_RSRC2:USER_SGPR: 13
; COMPUTE_PGM_RSRC2:TRAP_HANDLER: 0
; COMPUTE_PGM_RSRC2:TGID_X_EN: 1
; COMPUTE_PGM_RSRC2:TGID_Y_EN: 1
; COMPUTE_PGM_RSRC2:TGID_Z_EN: 1
; COMPUTE_PGM_RSRC2:TIDIG_COMP_CNT: 0
	.text
	.p2align	2                               ; -- Begin function _ZN4vllm22paged_attention_kernelIttLi192ELi32ELi128ELNS_18Fp8KVCacheDataTypeE0ELb1ELi512EEEvPfS2_PT_PKS3_PKT0_S9_ifPKiSB_iPKfiiiSD_SD_iiiii
	.type	_ZN4vllm22paged_attention_kernelIttLi192ELi32ELi128ELNS_18Fp8KVCacheDataTypeE0ELb1ELi512EEEvPfS2_PT_PKS3_PKT0_S9_ifPKiSB_iPKfiiiSD_SD_iiiii,@function
_ZN4vllm22paged_attention_kernelIttLi192ELi32ELi128ELNS_18Fp8KVCacheDataTypeE0ELb1ELi512EEEvPfS2_PT_PKS3_PKT0_S9_ifPKiSB_iPKfiiiSD_SD_iiiii: ; @_ZN4vllm22paged_attention_kernelIttLi192ELi32ELi128ELNS_18Fp8KVCacheDataTypeE0ELb1ELi512EEEvPfS2_PT_PKS3_PKT0_S9_ifPKiSB_iPKfiiiSD_SD_iiiii
; %bb.0:
	s_waitcnt vmcnt(0) expcnt(0) lgkmcnt(0)
	s_clause 0x1f
	scratch_store_b32 off, v40, s32 offset:200
	; meta instruction
	scratch_store_b32 off, v41, s32 offset:196
	; meta instruction
	;; [unrolled: 2-line block ×31, first 2 shown]
	scratch_store_b32 off, v95, s32 offset:76
	s_clause 0x12
	scratch_store_b32 off, v104, s32 offset:72
	; meta instruction
	scratch_store_b32 off, v105, s32 offset:68
	; meta instruction
	;; [unrolled: 2-line block ×18, first 2 shown]
	scratch_store_b32 off, v138, s32
	s_mov_b32 s10, s13
	s_ashr_i32 s11, s13, 31
	s_lshl_b32 s3, s14, 9
	s_lshl_b64 s[0:1], s[10:11], 2
	s_mov_b32 s11, exec_lo
	v_add_co_u32 v16, vcc_lo, v16, s0
	v_add_co_ci_u32_e32 v17, vcc_lo, s1, v17, vcc_lo
	flat_load_b32 v46, v[16:17]
	s_waitcnt vmcnt(0) lgkmcnt(0)
	v_cmpx_lt_i32_e64 s3, v46
	s_cbranch_execz .LBB117_148
; %bb.1:
	v_sub_nc_u32_e32 v16, 0, v12
	s_clause 0x1
	s_load_b32 s0, s[8:9], 0x10
	s_load_b32 s1, s[8:9], 0x0
	s_mov_b32 s6, s15
	v_mov_b32_e32 v62, 0
	v_max_i32_e32 v16, v12, v16
	s_delay_alu instid0(VALU_DEP_1) | instskip(SKIP_1) | instid1(VALU_DEP_2)
	v_cvt_f32_u32_e32 v17, v16
	v_sub_nc_u32_e32 v29, 0, v16
	v_rcp_iflag_f32_e32 v17, v17
	s_waitcnt lgkmcnt(0)
	s_lshr_b32 s0, s0, 16
	s_delay_alu instid0(SALU_CYCLE_1) | instskip(SKIP_3) | instid1(SALU_CYCLE_1)
	s_cmp_lg_u32 s0, 0
	s_waitcnt_depctr 0xfff
	v_mul_f32_e32 v17, 0x4f7ffffe, v17
	s_cselect_b32 s0, -1, 0
	s_cmp_lg_u32 s0, 0
	s_delay_alu instid0(VALU_DEP_1) | instskip(SKIP_3) | instid1(VALU_DEP_1)
	v_cvt_u32_f32_e32 v17, v17
	s_addc_u32 s15, s1, 0
	s_mov_b32 s1, exec_lo
	s_abs_i32 s0, s15
	v_mul_lo_u32 v29, v29, v17
	s_delay_alu instid0(VALU_DEP_1) | instskip(NEXT) | instid1(VALU_DEP_1)
	v_mul_hi_u32 v29, v17, v29
	v_add_nc_u32_e32 v17, v17, v29
	s_delay_alu instid0(VALU_DEP_1) | instskip(NEXT) | instid1(VALU_DEP_1)
	v_mul_hi_u32 v17, s0, v17
	v_mul_lo_u32 v29, v17, v16
	s_delay_alu instid0(VALU_DEP_1) | instskip(SKIP_1) | instid1(VALU_DEP_1)
	v_sub_nc_u32_e32 v29, s0, v29
	s_abs_i32 s0, s12
	v_sub_nc_u32_e32 v32, v29, v16
	v_cmp_ge_u32_e32 vcc_lo, v29, v16
	s_delay_alu instid0(VALU_DEP_2) | instskip(NEXT) | instid1(VALU_DEP_1)
	v_dual_cndmask_b32 v29, v29, v32 :: v_dual_add_nc_u32 v30, 1, v17
	v_cndmask_b32_e32 v17, v17, v30, vcc_lo
	v_xor_b32_e32 v30, s15, v12
	s_delay_alu instid0(VALU_DEP_3) | instskip(NEXT) | instid1(VALU_DEP_3)
	v_cmp_ge_u32_e32 vcc_lo, v29, v16
	v_add_nc_u32_e32 v32, 1, v17
	s_delay_alu instid0(VALU_DEP_3) | instskip(NEXT) | instid1(VALU_DEP_2)
	v_ashrrev_i32_e32 v30, 31, v30
	v_cndmask_b32_e32 v16, v17, v32, vcc_lo
	s_delay_alu instid0(VALU_DEP_1) | instskip(NEXT) | instid1(VALU_DEP_1)
	v_xor_b32_e32 v16, v16, v30
	v_sub_nc_u32_e32 v30, v16, v30
	s_delay_alu instid0(VALU_DEP_1) | instskip(NEXT) | instid1(VALU_DEP_1)
	v_sub_nc_u32_e32 v16, 0, v30
	v_max_i32_e32 v29, v30, v16
	s_delay_alu instid0(VALU_DEP_1) | instskip(SKIP_1) | instid1(VALU_DEP_2)
	v_cvt_f32_u32_e32 v16, v29
	v_sub_nc_u32_e32 v17, 0, v29
	v_rcp_iflag_f32_e32 v16, v16
	s_waitcnt_depctr 0xfff
	v_mul_f32_e32 v16, 0x4f7ffffe, v16
	s_delay_alu instid0(VALU_DEP_1) | instskip(NEXT) | instid1(VALU_DEP_1)
	v_cvt_u32_f32_e32 v16, v16
	v_mul_lo_u32 v17, v17, v16
	s_delay_alu instid0(VALU_DEP_1) | instskip(NEXT) | instid1(VALU_DEP_1)
	v_mul_hi_u32 v17, v16, v17
	v_add_nc_u32_e32 v32, v16, v17
	s_delay_alu instid0(VALU_DEP_1)
	v_mad_u64_u32 v[16:17], null, s0, v32, 0
	v_cmpx_ne_u64_e32 0, v[19:20]
	s_cbranch_execz .LBB117_3
; %bb.2:
	s_ashr_i32 s13, s12, 31
	s_delay_alu instid0(SALU_CYCLE_1) | instskip(NEXT) | instid1(SALU_CYCLE_1)
	s_lshl_b64 s[4:5], s[12:13], 2
	v_add_co_u32 v19, vcc_lo, v19, s4
	v_add_co_ci_u32_e32 v20, vcc_lo, s5, v20, vcc_lo
	flat_load_b32 v62, v[19:20]
.LBB117_3:
	s_or_b32 exec_lo, exec_lo, s1
	v_and_b32_e32 v45, 0x3ff, v31
	v_ashrrev_i32_e32 v16, 31, v30
	s_ashr_i32 s1, s12, 31
	s_mul_i32 s4, s12, 0xc0
	s_mov_b32 s2, exec_lo
	v_cmpx_gt_u32_e32 24, v45
	s_cbranch_execz .LBB117_5
; %bb.4:
	v_mul_lo_u32 v19, s10, v21
	s_ashr_i32 s5, s4, 31
	v_lshlrev_b32_e32 v21, 4, v45
	s_lshl_b64 s[16:17], s[4:5], 1
	s_delay_alu instid0(VALU_DEP_2) | instskip(NEXT) | instid1(VALU_DEP_1)
	v_ashrrev_i32_e32 v20, 31, v19
	v_lshlrev_b64 v[19:20], 1, v[19:20]
	s_delay_alu instid0(VALU_DEP_1) | instskip(NEXT) | instid1(VALU_DEP_2)
	v_add_co_u32 v6, vcc_lo, v6, v19
	v_add_co_ci_u32_e32 v7, vcc_lo, v7, v20, vcc_lo
	s_delay_alu instid0(VALU_DEP_2) | instskip(NEXT) | instid1(VALU_DEP_2)
	v_add_co_u32 v6, vcc_lo, v6, s16
	v_add_co_ci_u32_e32 v7, vcc_lo, s17, v7, vcc_lo
	s_delay_alu instid0(VALU_DEP_2) | instskip(NEXT) | instid1(VALU_DEP_2)
	v_add_co_u32 v6, vcc_lo, v6, v21
	v_add_co_ci_u32_e32 v7, vcc_lo, 0, v7, vcc_lo
	flat_load_b128 v[30:33], v[6:7]
	s_waitcnt vmcnt(0) lgkmcnt(0)
	ds_store_b128 v21, v[30:33]
.LBB117_5:
	s_or_b32 exec_lo, exec_lo, s2
	v_sub_nc_u32_e32 v6, 0, v27
	v_mul_lo_u32 v7, v17, v29
	v_add_nc_u32_e32 v20, 1, v17
	v_xor_b32_e32 v31, s1, v16
	s_waitcnt vmcnt(0) lgkmcnt(0)
	s_waitcnt_vscnt null, 0x0
	v_max_i32_e32 v47, v27, v6
	s_barrier
	buffer_gl0_inv
	v_sub_nc_u32_e32 v7, s0, v7
	v_cvt_f32_u32_e32 v6, v47
	v_sub_nc_u32_e32 v19, 0, v47
	s_mov_b32 s0, exec_lo
	s_delay_alu instid0(VALU_DEP_3) | instskip(NEXT) | instid1(VALU_DEP_3)
	v_sub_nc_u32_e32 v21, v7, v29
	v_rcp_iflag_f32_e32 v6, v6
	v_cmp_ge_u32_e32 vcc_lo, v7, v29
	v_dual_cndmask_b32 v20, v17, v20 :: v_dual_add_nc_u32 v17, -1, v46
	s_waitcnt_depctr 0xfff
	v_dual_cndmask_b32 v7, v7, v21 :: v_dual_mul_f32 v6, 0x4f7ffffe, v6
	v_add_nc_u32_e32 v21, 1, v20
	v_sub_nc_u32_e32 v30, 0, v17
	s_delay_alu instid0(VALU_DEP_3) | instskip(NEXT) | instid1(VALU_DEP_4)
	v_cmp_ge_u32_e32 vcc_lo, v7, v29
	v_cvt_u32_f32_e32 v6, v6
	s_delay_alu instid0(VALU_DEP_3) | instskip(NEXT) | instid1(VALU_DEP_2)
	v_max_i32_e32 v16, v17, v30
	v_mul_lo_u32 v19, v19, v6
	s_delay_alu instid0(VALU_DEP_1) | instskip(SKIP_1) | instid1(VALU_DEP_2)
	v_mul_hi_u32 v19, v6, v19
	v_cndmask_b32_e32 v7, v20, v21, vcc_lo
                                        ; implicit-def: $vgpr20
	v_add_nc_u32_e32 v56, v6, v19
	s_delay_alu instid0(VALU_DEP_2) | instskip(NEXT) | instid1(VALU_DEP_2)
	v_xor_b32_e32 v19, v7, v31
	v_mad_u64_u32 v[6:7], null, v16, v56, 0
	s_delay_alu instid0(VALU_DEP_2)
	v_sub_nc_u32_e32 v6, v19, v31
	v_cmpx_gt_i32_e32 0, v28
	s_xor_b32 s0, exec_lo, s0
; %bb.6:
	s_delay_alu instid0(VALU_DEP_2) | instskip(NEXT) | instid1(VALU_DEP_1)
	v_mad_u64_u32 v[19:20], null, v24, v12, v[6:7]
                                        ; implicit-def: $vgpr24
	v_mul_lo_u32 v12, v19, v28
                                        ; implicit-def: $vgpr28
	s_delay_alu instid0(VALU_DEP_1)
	v_sub_nc_u32_e32 v20, 1, v12
; %bb.7:
	s_or_saveexec_b32 s0, s0
	v_ashrrev_i32_e32 v12, 31, v17
	v_ashrrev_i32_e32 v57, 31, v27
	s_xor_b32 exec_lo, exec_lo, s0
; %bb.8:
	v_mad_u64_u32 v[19:20], null, s15, v24, s[12:13]
	s_delay_alu instid0(VALU_DEP_1)
	v_mad_u64_u32 v[20:21], null, v19, v28, 1
; %bb.9:
	s_or_b32 exec_lo, exec_lo, s0
	v_mul_lo_u32 v17, v7, v47
	v_dual_mov_b32 v72, 0xff7fffff :: v_dual_add_nc_u32 v19, 31, v46
	s_clause 0x1
	s_load_b32 s16, s[8:9], 0x14
	s_load_b32 s5, s[8:9], 0x8
	v_xor_b32_e32 v24, v12, v57
	v_lshrrev_b32_e32 v12, 5, v45
	v_ashrrev_i32_e32 v21, 31, v19
	v_mul_lo_u32 v41, v6, v23
	v_sub_nc_u32_e32 v17, v16, v17
	v_mul_lo_u32 v16, s10, v18
	v_add_nc_u32_e32 v18, 1, v7
	s_lshl_b32 s13, s14, 4
	v_sub_nc_u32_e32 v61, 0, v26
	v_sub_nc_u32_e32 v27, v17, v47
	v_cmp_ge_u32_e32 vcc_lo, v17, v47
	s_add_i32 s0, s13, 16
	v_add_nc_u32_e32 v23, s13, v12
	v_lshl_add_u32 v58, v12, 5, s3
	v_ashrrev_i32_e32 v42, 31, v41
	v_cndmask_b32_e32 v7, v7, v18, vcc_lo
	v_lshrrev_b32_e32 v18, 27, v21
	v_cndmask_b32_e32 v17, v17, v27, vcc_lo
	v_and_b32_e32 v21, 31, v45
	s_delay_alu instid0(VALU_DEP_4) | instskip(NEXT) | instid1(VALU_DEP_4)
	v_add_nc_u32_e32 v27, 1, v7
	v_add_nc_u32_e32 v18, v19, v18
	s_delay_alu instid0(VALU_DEP_4) | instskip(SKIP_2) | instid1(VALU_DEP_4)
	v_cmp_ge_u32_e32 vcc_lo, v17, v47
	v_ashrrev_i32_e32 v17, 31, v16
	v_lshlrev_b32_e32 v63, 2, v21
	v_ashrrev_i32_e32 v60, 5, v18
	v_cndmask_b32_e32 v7, v7, v27, vcc_lo
	s_delay_alu instid0(VALU_DEP_4) | instskip(NEXT) | instid1(VALU_DEP_3)
	v_lshlrev_b64 v[39:40], 2, v[16:17]
	v_min_i32_e32 v59, s0, v60
	s_delay_alu instid0(VALU_DEP_3) | instskip(NEXT) | instid1(VALU_DEP_2)
	v_xor_b32_e32 v6, v7, v24
	v_cmp_lt_i32_e64 s0, v23, v59
	s_delay_alu instid0(VALU_DEP_2) | instskip(SKIP_1) | instid1(VALU_DEP_2)
	v_sub_nc_u32_e32 v6, v6, v24
	v_ashrrev_i32_e32 v24, 31, v23
	v_sub_nc_u32_e32 v25, v6, v25
	s_delay_alu instid0(VALU_DEP_4)
	s_and_saveexec_b32 s17, s0
	s_cbranch_execz .LBB117_17
; %bb.10:
	v_max_i32_e32 v73, v26, v61
	s_ashr_i32 s7, s6, 31
	s_getpc_b64 s[8:9]
	s_add_u32 s8, s8, llvm.amdgcn.dynlds.offset.table@rel32@lo+4
	s_addc_u32 s9, s9, llvm.amdgcn.dynlds.offset.table@rel32@hi+12
	v_sub_nc_u32_e32 v27, v21, v46
	s_lshl_b64 s[18:19], s[6:7], 2
	v_cvt_f32_u32_e32 v6, v73
	v_sub_nc_u32_e32 v28, 0, v73
	s_add_u32 s8, s18, s8
	s_addc_u32 s9, s19, s9
	v_add_nc_u32_e32 v78, 1, v27
	v_rcp_iflag_f32_e32 v18, v6
	v_lshlrev_b64 v[6:7], 1, v[41:42]
	s_load_b32 s7, s[8:9], 0x0
	v_lshlrev_b64 v[16:17], 2, v[23:24]
	v_dual_mov_b32 v74, 0 :: v_dual_lshlrev_b32 v19, 4, v21
	v_cmp_neq_f32_e32 vcc_lo, 0, v62
	s_delay_alu instid0(VALU_DEP_4) | instskip(NEXT) | instid1(VALU_DEP_1)
	v_add_co_u32 v6, s1, v8, v6
	v_add_co_ci_u32_e64 v7, s1, v9, v7, s1
	s_delay_alu instid0(TRANS32_DEP_1) | instskip(SKIP_1) | instid1(VALU_DEP_1)
	v_mul_f32_e32 v18, 0x4f7ffffe, v18
	v_add_co_u32 v8, s1, v39, v16
	v_add_co_ci_u32_e64 v9, s1, v40, v17, s1
	s_delay_alu instid0(VALU_DEP_3) | instskip(SKIP_1) | instid1(VALU_DEP_1)
	v_cvt_u32_f32_e32 v18, v18
	v_add_co_u32 v79, s1, v6, v19
	v_add_co_ci_u32_e64 v88, s1, 0, v7, s1
	s_delay_alu instid0(VALU_DEP_3)
	v_mul_lo_u32 v27, v28, v18
	v_add_co_u32 v43, s1, v14, v8
	v_lshl_add_u32 v75, v12, 5, s3
	v_lshl_or_b32 v76, v12, 7, v63
	v_dual_mov_b32 v77, 0xff7fffff :: v_dual_mov_b32 v72, 0xff7fffff
	v_add_co_ci_u32_e64 v44, s1, v15, v9, s1
	v_mul_hi_u32 v16, v18, v27
	s_mov_b32 s18, 0
	s_delay_alu instid0(VALU_DEP_1)
	v_dual_mov_b32 v90, v23 :: v_dual_add_nc_u32 v89, v18, v16
	s_branch .LBB117_12
.LBB117_11:                             ;   in Loop: Header=BB117_12 Depth=1
	s_or_b32 exec_lo, exec_lo, s2
	v_add_nc_u32_e32 v90, 4, v90
	v_add_co_u32 v43, s2, v43, 16
	s_delay_alu instid0(VALU_DEP_1) | instskip(NEXT) | instid1(VALU_DEP_3)
	v_add_co_ci_u32_e64 v44, s2, 0, v44, s2
	v_cmp_ge_i32_e64 s1, v90, v59
	v_add_nc_u32_e32 v75, 0x80, v75
	v_add_nc_u32_e32 v76, 0x200, v76
	s_delay_alu instid0(VALU_DEP_3) | instskip(NEXT) | instid1(SALU_CYCLE_1)
	s_or_b32 s18, s1, s18
	s_and_not1_b32 exec_lo, exec_lo, s18
	s_cbranch_execz .LBB117_16
.LBB117_12:                             ; =>This Inner Loop Header: Depth=1
	v_sub_nc_u32_e32 v6, 0, v75
	s_delay_alu instid0(VALU_DEP_1) | instskip(NEXT) | instid1(VALU_DEP_1)
	v_max_i32_e32 v6, v75, v6
	v_mul_hi_u32 v7, v6, v56
	s_delay_alu instid0(VALU_DEP_1) | instskip(NEXT) | instid1(VALU_DEP_1)
	v_mul_lo_u32 v8, v7, v47
	v_sub_nc_u32_e32 v6, v6, v8
	v_add_nc_u32_e32 v8, 1, v7
	s_delay_alu instid0(VALU_DEP_2) | instskip(SKIP_1) | instid1(VALU_DEP_1)
	v_sub_nc_u32_e32 v9, v6, v47
	v_cmp_ge_u32_e64 s1, v6, v47
	v_cndmask_b32_e64 v7, v7, v8, s1
	s_delay_alu instid0(VALU_DEP_3) | instskip(SKIP_1) | instid1(VALU_DEP_3)
	v_cndmask_b32_e64 v6, v6, v9, s1
	v_ashrrev_i32_e32 v8, 31, v75
	v_add_nc_u32_e32 v9, 1, v7
	s_delay_alu instid0(VALU_DEP_3) | instskip(NEXT) | instid1(VALU_DEP_3)
	v_cmp_ge_u32_e64 s1, v6, v47
	v_xor_b32_e32 v8, v8, v57
	s_delay_alu instid0(VALU_DEP_2) | instskip(NEXT) | instid1(VALU_DEP_1)
	v_cndmask_b32_e64 v6, v7, v9, s1
	v_xor_b32_e32 v6, v6, v8
	s_delay_alu instid0(VALU_DEP_1) | instskip(NEXT) | instid1(VALU_DEP_1)
	v_sub_nc_u32_e32 v6, v6, v8
	v_add_nc_u32_e32 v7, v6, v20
	v_cmp_le_i32_e64 s2, v6, v25
	s_delay_alu instid0(VALU_DEP_2) | instskip(NEXT) | instid1(VALU_DEP_1)
	v_sub_nc_u32_e32 v8, 0, v7
	v_max_i32_e32 v8, v7, v8
	v_ashrrev_i32_e32 v7, 31, v7
	s_delay_alu instid0(VALU_DEP_2) | instskip(NEXT) | instid1(VALU_DEP_1)
	v_mul_hi_u32 v9, v8, v89
	v_mul_lo_u32 v9, v9, v73
	s_delay_alu instid0(VALU_DEP_1) | instskip(NEXT) | instid1(VALU_DEP_1)
	v_sub_nc_u32_e32 v8, v8, v9
	v_sub_nc_u32_e32 v9, v8, v73
	v_cmp_ge_u32_e64 s1, v8, v73
	s_delay_alu instid0(VALU_DEP_1) | instskip(NEXT) | instid1(VALU_DEP_1)
	v_cndmask_b32_e64 v8, v8, v9, s1
	v_sub_nc_u32_e32 v9, v8, v73
	v_cmp_ge_u32_e64 s1, v8, v73
	s_delay_alu instid0(VALU_DEP_1) | instskip(NEXT) | instid1(VALU_DEP_1)
	v_cndmask_b32_e64 v8, v8, v9, s1
	v_xor_b32_e32 v8, v8, v7
	s_delay_alu instid0(VALU_DEP_1) | instskip(NEXT) | instid1(VALU_DEP_1)
	v_sub_nc_u32_e32 v7, v8, v7
	v_cmp_ne_u32_e64 s1, 0, v7
	s_delay_alu instid0(VALU_DEP_1) | instskip(NEXT) | instid1(SALU_CYCLE_1)
	s_and_b32 s1, s1, s2
	s_and_saveexec_b32 s2, s1
	s_delay_alu instid0(SALU_CYCLE_1)
	s_xor_b32 s1, exec_lo, s2
	s_cbranch_execz .LBB117_14
; %bb.13:                               ;   in Loop: Header=BB117_12 Depth=1
	s_waitcnt lgkmcnt(0)
	v_add_nc_u32_e32 v6, s7, v76
	ds_store_b32 v6, v77
.LBB117_14:                             ;   in Loop: Header=BB117_12 Depth=1
	s_and_not1_saveexec_b32 s2, s1
	s_cbranch_execz .LBB117_11
; %bb.15:                               ;   in Loop: Header=BB117_12 Depth=1
	flat_load_b32 v8, v[43:44]
	s_waitcnt vmcnt(0) lgkmcnt(0)
	v_mad_i64_i32 v[6:7], null, v8, v22, 0
	v_add_nc_u32_e32 v8, v78, v75
	s_delay_alu instid0(VALU_DEP_1) | instskip(NEXT) | instid1(VALU_DEP_3)
	v_cvt_f32_i32_e32 v8, v8
	v_lshlrev_b64 v[6:7], 1, v[6:7]
	s_delay_alu instid0(VALU_DEP_2) | instskip(SKIP_1) | instid1(VALU_DEP_3)
	v_mul_f32_e32 v8, v62, v8
	v_add_nc_u32_e32 v92, v21, v75
	v_add_co_u32 v6, s1, v79, v6
	s_delay_alu instid0(VALU_DEP_1) | instskip(NEXT) | instid1(VALU_DEP_4)
	v_add_co_ci_u32_e64 v7, s1, v88, v7, s1
	v_cndmask_b32_e32 v91, 0, v8, vcc_lo
	s_delay_alu instid0(VALU_DEP_3)
	v_add_co_u32 v8, s1, 0x1000, v6
	s_clause 0x7
	flat_load_b128 v[104:107], v[6:7]
	flat_load_b128 v[180:183], v[6:7] offset:512
	flat_load_b128 v[176:179], v[6:7] offset:1024
	;; [unrolled: 1-line block ×7, first 2 shown]
	v_add_co_ci_u32_e64 v9, s1, 0, v7, s1
	v_add_co_u32 v6, s1, 0x2000, v6
	s_clause 0x7
	flat_load_b128 v[128:131], v[8:9]
	flat_load_b128 v[116:119], v[8:9] offset:512
	flat_load_b128 v[112:115], v[8:9] offset:1024
	;; [unrolled: 1-line block ×7, first 2 shown]
	v_add_co_ci_u32_e64 v7, s1, 0, v7, s1
	s_clause 0x7
	flat_load_b128 v[64:67], v[6:7]
	flat_load_b128 v[52:55], v[6:7] offset:512
	flat_load_b128 v[48:51], v[6:7] offset:1024
	;; [unrolled: 1-line block ×7, first 2 shown]
	ds_load_b128 v[108:111], v74
	s_load_b32 s19, s[8:9], 0x0
	v_cmp_lt_i32_e64 s1, v92, v46
	s_waitcnt lgkmcnt(0)
	v_lshrrev_b32_e32 v93, 16, v108
	v_and_b32_e32 v94, 0xffff, v108
	;;#ASMSTART
	v_cvt_f32_f16 v94, v94;
	;;#ASMEND
	;;#ASMSTART
	v_cvt_f32_f16 v95, v93;
	;;#ASMEND
	s_waitcnt vmcnt(23)
	v_lshrrev_b32_e32 v93, 16, v104
	v_and_b32_e32 v104, 0xffff, v104
	;;#ASMSTART
	v_cvt_f32_f16 v108, v104;
	;;#ASMEND
	;;#ASMSTART
	v_cvt_f32_f16 v120, v93;
	;;#ASMEND
	v_and_b32_e32 v104, 0xffff, v109
	v_lshrrev_b32_e32 v93, 16, v109
	;;#ASMSTART
	v_cvt_f32_f16 v109, v104;
	;;#ASMEND
	v_and_b32_e32 v104, 0xffff, v105
	;;#ASMSTART
	v_cvt_f32_f16 v121, v93;
	;;#ASMEND
	v_lshrrev_b32_e32 v93, 16, v105
	;;#ASMSTART
	v_cvt_f32_f16 v122, v104;
	;;#ASMEND
	v_and_b32_e32 v104, 0xffff, v110
	;;#ASMSTART
	v_cvt_f32_f16 v123, v93;
	;;#ASMEND
	;; [unrolled: 8-line block ×5, first 2 shown]
	v_lshrrev_b32_e32 v93, 16, v107
	;;#ASMSTART
	v_cvt_f32_f16 v136, v104;
	;;#ASMEND
	;;#ASMSTART
	v_cvt_f32_f16 v137, v93;
	;;#ASMEND
	ds_load_b128 v[104:107], v74 offset:16
	s_waitcnt vmcnt(22)
	v_lshrrev_b32_e32 v138, 16, v180
	v_and_b32_e32 v180, 0xffff, v180
	s_waitcnt lgkmcnt(0)
	v_lshrrev_b32_e32 v93, 16, v104
	v_and_b32_e32 v104, 0xffff, v104
	;;#ASMSTART
	v_cvt_f32_f16 v104, v104;
	;;#ASMEND
	;;#ASMSTART
	v_cvt_f32_f16 v93, v93;
	;;#ASMEND
	;; [unrolled: 3-line block ×4, first 2 shown]
	v_dual_mul_f32 v180, v104, v180 :: v_dual_mul_f32 v93, v93, v138
	s_delay_alu instid0(VALU_DEP_1) | instskip(NEXT) | instid1(VALU_DEP_2)
	v_fmac_f32_e32 v180, v94, v108
	v_fmac_f32_e32 v93, v95, v120
	v_lshrrev_b32_e32 v94, 16, v105
	v_and_b32_e32 v95, 0xffff, v105
	;;#ASMSTART
	v_cvt_f32_f16 v95, v95;
	;;#ASMEND
	;;#ASMSTART
	v_cvt_f32_f16 v104, v94;
	;;#ASMEND
	v_lshrrev_b32_e32 v94, 16, v181
	v_and_b32_e32 v181, 0xffff, v181
	;;#ASMSTART
	v_cvt_f32_f16 v181, v181;
	;;#ASMEND
	;;#ASMSTART
	v_cvt_f32_f16 v105, v94;
	;;#ASMEND
	v_add_nc_u32_e32 v92, s19, v76
	s_delay_alu instid0(VALU_DEP_2)
	v_mul_f32_e32 v94, v95, v181
	v_mul_f32_e32 v181, v104, v105
	v_lshrrev_b32_e32 v95, 16, v106
	v_and_b32_e32 v104, 0xffff, v106
	;;#ASMSTART
	v_cvt_f32_f16 v104, v104;
	;;#ASMEND
	;;#ASMSTART
	v_cvt_f32_f16 v105, v95;
	;;#ASMEND
	v_lshrrev_b32_e32 v95, 16, v182
	v_and_b32_e32 v182, 0xffff, v182
	;;#ASMSTART
	v_cvt_f32_f16 v182, v182;
	;;#ASMEND
	;;#ASMSTART
	v_cvt_f32_f16 v106, v95;
	;;#ASMEND
	s_delay_alu instid0(VALU_DEP_1)
	v_mul_f32_e32 v95, v104, v182
	v_mul_f32_e32 v182, v105, v106
	v_lshrrev_b32_e32 v104, 16, v107
	v_and_b32_e32 v105, 0xffff, v107
	;;#ASMSTART
	v_cvt_f32_f16 v105, v105;
	;;#ASMEND
	;;#ASMSTART
	v_cvt_f32_f16 v106, v104;
	;;#ASMEND
	v_lshrrev_b32_e32 v104, 16, v183
	v_and_b32_e32 v183, 0xffff, v183
	;;#ASMSTART
	v_cvt_f32_f16 v183, v183;
	;;#ASMEND
	;;#ASMSTART
	v_cvt_f32_f16 v107, v104;
	;;#ASMEND
	s_delay_alu instid0(VALU_DEP_1)
	v_mul_f32_e32 v104, v105, v183
	v_mul_f32_e32 v183, v106, v107
	ds_load_b128 v[105:108], v74 offset:32
	v_fmac_f32_e32 v94, v109, v122
	v_fmac_f32_e32 v181, v121, v123
	;; [unrolled: 1-line block ×3, first 2 shown]
	s_waitcnt vmcnt(21)
	v_lshrrev_b32_e32 v110, 16, v176
	v_dual_fmac_f32 v183, v127, v137 :: v_dual_and_b32 v176, 0xffff, v176
	s_waitcnt lgkmcnt(0)
	v_lshrrev_b32_e32 v109, 16, v105
	v_and_b32_e32 v105, 0xffff, v105
	;;#ASMSTART
	v_cvt_f32_f16 v105, v105;
	;;#ASMEND
	;;#ASMSTART
	v_cvt_f32_f16 v109, v109;
	;;#ASMEND
	;; [unrolled: 3-line block ×3, first 2 shown]
	s_delay_alu instid0(VALU_DEP_1)
	v_fmac_f32_e32 v180, v105, v176
	v_lshrrev_b32_e32 v176, 16, v106
	v_and_b32_e32 v105, 0xffff, v106
	v_lshrrev_b32_e32 v106, 16, v177
	v_dual_fmac_f32 v182, v124, v126 :: v_dual_and_b32 v177, 0xffff, v177
	v_fmac_f32_e32 v104, v111, v136
	;;#ASMSTART
	v_cvt_f32_f16 v110, v110;
	;;#ASMEND
	;;#ASMSTART
	v_cvt_f32_f16 v105, v105;
	;;#ASMEND
	;; [unrolled: 3-line block ×5, first 2 shown]
	v_dual_fmac_f32 v94, v105, v177 :: v_dual_fmac_f32 v181, v176, v106
	v_lshrrev_b32_e32 v176, 16, v107
	v_and_b32_e32 v177, 0xffff, v107
	v_lshrrev_b32_e32 v105, 16, v178
	v_and_b32_e32 v178, 0xffff, v178
	;;#ASMSTART
	v_cvt_f32_f16 v177, v177;
	;;#ASMEND
	;;#ASMSTART
	v_cvt_f32_f16 v176, v176;
	;;#ASMEND
	;; [unrolled: 3-line block ×4, first 2 shown]
	v_dual_fmac_f32 v95, v177, v178 :: v_dual_fmac_f32 v182, v176, v105
	v_lshrrev_b32_e32 v176, 16, v108
	v_and_b32_e32 v177, 0xffff, v108
	v_lshrrev_b32_e32 v178, 16, v179
	v_and_b32_e32 v179, 0xffff, v179
	;;#ASMSTART
	v_cvt_f32_f16 v177, v177;
	;;#ASMEND
	;;#ASMSTART
	v_cvt_f32_f16 v176, v176;
	;;#ASMEND
	;; [unrolled: 3-line block ×4, first 2 shown]
	v_dual_fmac_f32 v104, v177, v179 :: v_dual_fmac_f32 v183, v176, v178
	ds_load_b128 v[176:179], v74 offset:48
	s_waitcnt vmcnt(20)
	v_lshrrev_b32_e32 v106, 16, v164
	v_dual_fmac_f32 v93, v109, v110 :: v_dual_and_b32 v164, 0xffff, v164
	s_waitcnt lgkmcnt(0)
	v_lshrrev_b32_e32 v105, 16, v176
	v_and_b32_e32 v176, 0xffff, v176
	;;#ASMSTART
	v_cvt_f32_f16 v176, v176;
	;;#ASMEND
	;;#ASMSTART
	v_cvt_f32_f16 v105, v105;
	;;#ASMEND
	;; [unrolled: 3-line block ×3, first 2 shown]
	s_delay_alu instid0(VALU_DEP_1)
	v_fmac_f32_e32 v180, v176, v164
	v_lshrrev_b32_e32 v164, 16, v177
	v_and_b32_e32 v176, 0xffff, v177
	v_lshrrev_b32_e32 v177, 16, v165
	v_and_b32_e32 v165, 0xffff, v165
	;;#ASMSTART
	v_cvt_f32_f16 v106, v106;
	;;#ASMEND
	;;#ASMSTART
	v_cvt_f32_f16 v176, v176;
	;;#ASMEND
	;; [unrolled: 3-line block ×5, first 2 shown]
	v_fmac_f32_e32 v94, v176, v165
	v_fmac_f32_e32 v181, v164, v177
	v_lshrrev_b32_e32 v164, 16, v178
	v_and_b32_e32 v165, 0xffff, v178
	v_lshrrev_b32_e32 v176, 16, v166
	v_and_b32_e32 v166, 0xffff, v166
	;;#ASMSTART
	v_cvt_f32_f16 v165, v165;
	;;#ASMEND
	;;#ASMSTART
	v_cvt_f32_f16 v164, v164;
	;;#ASMEND
	;; [unrolled: 3-line block ×4, first 2 shown]
	v_dual_fmac_f32 v95, v165, v166 :: v_dual_fmac_f32 v182, v164, v176
	v_lshrrev_b32_e32 v164, 16, v179
	v_and_b32_e32 v165, 0xffff, v179
	v_lshrrev_b32_e32 v166, 16, v167
	v_and_b32_e32 v167, 0xffff, v167
	;;#ASMSTART
	v_cvt_f32_f16 v165, v165;
	;;#ASMEND
	;;#ASMSTART
	v_cvt_f32_f16 v164, v164;
	;;#ASMEND
	;;#ASMSTART
	v_cvt_f32_f16 v167, v167;
	;;#ASMEND
	;;#ASMSTART
	v_cvt_f32_f16 v166, v166;
	;;#ASMEND
	v_dual_fmac_f32 v104, v165, v167 :: v_dual_fmac_f32 v183, v164, v166
	ds_load_b128 v[164:167], v74 offset:64
	s_waitcnt vmcnt(19)
	v_lshrrev_b32_e32 v177, 16, v160
	v_dual_fmac_f32 v93, v105, v106 :: v_dual_and_b32 v160, 0xffff, v160
	s_waitcnt lgkmcnt(0)
	v_lshrrev_b32_e32 v176, 16, v164
	v_and_b32_e32 v164, 0xffff, v164
	;;#ASMSTART
	v_cvt_f32_f16 v164, v164;
	;;#ASMEND
	;;#ASMSTART
	v_cvt_f32_f16 v176, v176;
	;;#ASMEND
	;; [unrolled: 3-line block ×3, first 2 shown]
	s_delay_alu instid0(VALU_DEP_1)
	v_fmac_f32_e32 v180, v164, v160
	v_lshrrev_b32_e32 v160, 16, v165
	v_and_b32_e32 v164, 0xffff, v165
	v_lshrrev_b32_e32 v165, 16, v161
	v_and_b32_e32 v161, 0xffff, v161
	;;#ASMSTART
	v_cvt_f32_f16 v177, v177;
	;;#ASMEND
	;;#ASMSTART
	v_cvt_f32_f16 v164, v164;
	;;#ASMEND
	;; [unrolled: 3-line block ×5, first 2 shown]
	v_fmac_f32_e32 v94, v164, v161
	v_fmac_f32_e32 v181, v160, v165
	v_lshrrev_b32_e32 v160, 16, v166
	v_and_b32_e32 v161, 0xffff, v166
	v_lshrrev_b32_e32 v164, 16, v162
	v_and_b32_e32 v162, 0xffff, v162
	;;#ASMSTART
	v_cvt_f32_f16 v161, v161;
	;;#ASMEND
	;;#ASMSTART
	v_cvt_f32_f16 v160, v160;
	;;#ASMEND
	;; [unrolled: 3-line block ×4, first 2 shown]
	v_dual_fmac_f32 v95, v161, v162 :: v_dual_fmac_f32 v182, v160, v164
	v_lshrrev_b32_e32 v160, 16, v167
	v_and_b32_e32 v161, 0xffff, v167
	v_lshrrev_b32_e32 v162, 16, v163
	v_and_b32_e32 v163, 0xffff, v163
	;;#ASMSTART
	v_cvt_f32_f16 v161, v161;
	;;#ASMEND
	;;#ASMSTART
	v_cvt_f32_f16 v160, v160;
	;;#ASMEND
	;; [unrolled: 3-line block ×4, first 2 shown]
	v_dual_fmac_f32 v104, v161, v163 :: v_dual_fmac_f32 v183, v160, v162
	ds_load_b128 v[160:163], v74 offset:80
	s_waitcnt vmcnt(18)
	v_lshrrev_b32_e32 v165, 16, v148
	v_dual_fmac_f32 v93, v176, v177 :: v_dual_and_b32 v148, 0xffff, v148
	s_waitcnt lgkmcnt(0)
	v_lshrrev_b32_e32 v164, 16, v160
	v_and_b32_e32 v160, 0xffff, v160
	;;#ASMSTART
	v_cvt_f32_f16 v160, v160;
	;;#ASMEND
	;;#ASMSTART
	v_cvt_f32_f16 v164, v164;
	;;#ASMEND
	;; [unrolled: 3-line block ×3, first 2 shown]
	s_delay_alu instid0(VALU_DEP_1)
	v_fmac_f32_e32 v180, v160, v148
	v_lshrrev_b32_e32 v148, 16, v161
	v_and_b32_e32 v160, 0xffff, v161
	v_lshrrev_b32_e32 v161, 16, v149
	v_and_b32_e32 v149, 0xffff, v149
	;;#ASMSTART
	v_cvt_f32_f16 v165, v165;
	;;#ASMEND
	;;#ASMSTART
	v_cvt_f32_f16 v160, v160;
	;;#ASMEND
	;; [unrolled: 3-line block ×5, first 2 shown]
	v_fmac_f32_e32 v94, v160, v149
	v_fmac_f32_e32 v181, v148, v161
	v_lshrrev_b32_e32 v148, 16, v162
	v_and_b32_e32 v149, 0xffff, v162
	v_lshrrev_b32_e32 v160, 16, v150
	v_and_b32_e32 v150, 0xffff, v150
	;;#ASMSTART
	v_cvt_f32_f16 v149, v149;
	;;#ASMEND
	;;#ASMSTART
	v_cvt_f32_f16 v148, v148;
	;;#ASMEND
	;; [unrolled: 3-line block ×4, first 2 shown]
	v_dual_fmac_f32 v95, v149, v150 :: v_dual_fmac_f32 v182, v148, v160
	v_lshrrev_b32_e32 v148, 16, v163
	v_and_b32_e32 v149, 0xffff, v163
	v_lshrrev_b32_e32 v150, 16, v151
	v_and_b32_e32 v151, 0xffff, v151
	;;#ASMSTART
	v_cvt_f32_f16 v149, v149;
	;;#ASMEND
	;;#ASMSTART
	v_cvt_f32_f16 v148, v148;
	;;#ASMEND
	;; [unrolled: 3-line block ×4, first 2 shown]
	v_dual_fmac_f32 v104, v149, v151 :: v_dual_fmac_f32 v183, v148, v150
	ds_load_b128 v[148:151], v74 offset:96
	s_waitcnt vmcnt(17)
	v_lshrrev_b32_e32 v161, 16, v144
	v_dual_fmac_f32 v93, v164, v165 :: v_dual_and_b32 v144, 0xffff, v144
	s_waitcnt lgkmcnt(0)
	v_lshrrev_b32_e32 v160, 16, v148
	v_and_b32_e32 v148, 0xffff, v148
	;;#ASMSTART
	v_cvt_f32_f16 v148, v148;
	;;#ASMEND
	;;#ASMSTART
	v_cvt_f32_f16 v160, v160;
	;;#ASMEND
	;; [unrolled: 3-line block ×3, first 2 shown]
	s_delay_alu instid0(VALU_DEP_1)
	v_fmac_f32_e32 v180, v148, v144
	v_lshrrev_b32_e32 v144, 16, v149
	v_and_b32_e32 v148, 0xffff, v149
	v_lshrrev_b32_e32 v149, 16, v145
	v_and_b32_e32 v145, 0xffff, v145
	;;#ASMSTART
	v_cvt_f32_f16 v161, v161;
	;;#ASMEND
	;;#ASMSTART
	v_cvt_f32_f16 v148, v148;
	;;#ASMEND
	;;#ASMSTART
	v_cvt_f32_f16 v144, v144;
	;;#ASMEND
	;;#ASMSTART
	v_cvt_f32_f16 v145, v145;
	;;#ASMEND
	;;#ASMSTART
	v_cvt_f32_f16 v149, v149;
	;;#ASMEND
	v_fmac_f32_e32 v94, v148, v145
	v_fmac_f32_e32 v181, v144, v149
	v_lshrrev_b32_e32 v144, 16, v150
	v_and_b32_e32 v145, 0xffff, v150
	v_lshrrev_b32_e32 v148, 16, v146
	v_and_b32_e32 v146, 0xffff, v146
	;;#ASMSTART
	v_cvt_f32_f16 v145, v145;
	;;#ASMEND
	;;#ASMSTART
	v_cvt_f32_f16 v144, v144;
	;;#ASMEND
	;; [unrolled: 3-line block ×4, first 2 shown]
	v_dual_fmac_f32 v95, v145, v146 :: v_dual_fmac_f32 v182, v144, v148
	v_lshrrev_b32_e32 v144, 16, v151
	v_and_b32_e32 v145, 0xffff, v151
	v_lshrrev_b32_e32 v146, 16, v147
	v_and_b32_e32 v147, 0xffff, v147
	;;#ASMSTART
	v_cvt_f32_f16 v145, v145;
	;;#ASMEND
	;;#ASMSTART
	v_cvt_f32_f16 v144, v144;
	;;#ASMEND
	;; [unrolled: 3-line block ×4, first 2 shown]
	v_dual_fmac_f32 v104, v145, v147 :: v_dual_fmac_f32 v183, v144, v146
	ds_load_b128 v[144:147], v74 offset:112
	s_waitcnt vmcnt(16)
	v_lshrrev_b32_e32 v149, 16, v132
	v_dual_fmac_f32 v93, v160, v161 :: v_dual_and_b32 v132, 0xffff, v132
	s_waitcnt lgkmcnt(0)
	v_lshrrev_b32_e32 v148, 16, v144
	v_and_b32_e32 v144, 0xffff, v144
	;;#ASMSTART
	v_cvt_f32_f16 v144, v144;
	;;#ASMEND
	;;#ASMSTART
	v_cvt_f32_f16 v148, v148;
	;;#ASMEND
	;; [unrolled: 3-line block ×3, first 2 shown]
	s_delay_alu instid0(VALU_DEP_1)
	v_fmac_f32_e32 v180, v144, v132
	v_lshrrev_b32_e32 v132, 16, v145
	v_and_b32_e32 v144, 0xffff, v145
	v_lshrrev_b32_e32 v145, 16, v133
	v_and_b32_e32 v133, 0xffff, v133
	;;#ASMSTART
	v_cvt_f32_f16 v149, v149;
	;;#ASMEND
	;;#ASMSTART
	v_cvt_f32_f16 v144, v144;
	;;#ASMEND
	;; [unrolled: 3-line block ×5, first 2 shown]
	v_fmac_f32_e32 v94, v144, v133
	v_fmac_f32_e32 v181, v132, v145
	v_lshrrev_b32_e32 v132, 16, v146
	v_and_b32_e32 v133, 0xffff, v146
	v_lshrrev_b32_e32 v144, 16, v134
	v_and_b32_e32 v134, 0xffff, v134
	;;#ASMSTART
	v_cvt_f32_f16 v133, v133;
	;;#ASMEND
	;;#ASMSTART
	v_cvt_f32_f16 v132, v132;
	;;#ASMEND
	;; [unrolled: 3-line block ×4, first 2 shown]
	v_dual_fmac_f32 v95, v133, v134 :: v_dual_fmac_f32 v182, v132, v144
	v_lshrrev_b32_e32 v132, 16, v147
	v_and_b32_e32 v133, 0xffff, v147
	v_lshrrev_b32_e32 v134, 16, v135
	v_and_b32_e32 v135, 0xffff, v135
	;;#ASMSTART
	v_cvt_f32_f16 v133, v133;
	;;#ASMEND
	;;#ASMSTART
	v_cvt_f32_f16 v132, v132;
	;;#ASMEND
	;; [unrolled: 3-line block ×4, first 2 shown]
	v_dual_fmac_f32 v104, v133, v135 :: v_dual_fmac_f32 v183, v132, v134
	ds_load_b128 v[132:135], v74 offset:128
	s_waitcnt vmcnt(15)
	v_lshrrev_b32_e32 v145, 16, v128
	v_dual_fmac_f32 v93, v148, v149 :: v_dual_and_b32 v128, 0xffff, v128
	s_waitcnt lgkmcnt(0)
	v_lshrrev_b32_e32 v144, 16, v132
	v_and_b32_e32 v132, 0xffff, v132
	;;#ASMSTART
	v_cvt_f32_f16 v132, v132;
	;;#ASMEND
	;;#ASMSTART
	v_cvt_f32_f16 v144, v144;
	;;#ASMEND
	;; [unrolled: 3-line block ×3, first 2 shown]
	s_delay_alu instid0(VALU_DEP_1)
	v_fmac_f32_e32 v180, v132, v128
	v_lshrrev_b32_e32 v128, 16, v133
	v_and_b32_e32 v132, 0xffff, v133
	v_lshrrev_b32_e32 v133, 16, v129
	v_and_b32_e32 v129, 0xffff, v129
	;;#ASMSTART
	v_cvt_f32_f16 v145, v145;
	;;#ASMEND
	;;#ASMSTART
	v_cvt_f32_f16 v132, v132;
	;;#ASMEND
	;; [unrolled: 3-line block ×5, first 2 shown]
	v_fmac_f32_e32 v94, v132, v129
	v_fmac_f32_e32 v181, v128, v133
	v_lshrrev_b32_e32 v128, 16, v134
	v_and_b32_e32 v129, 0xffff, v134
	v_lshrrev_b32_e32 v132, 16, v130
	v_and_b32_e32 v130, 0xffff, v130
	;;#ASMSTART
	v_cvt_f32_f16 v129, v129;
	;;#ASMEND
	;;#ASMSTART
	v_cvt_f32_f16 v128, v128;
	;;#ASMEND
	;;#ASMSTART
	v_cvt_f32_f16 v130, v130;
	;;#ASMEND
	;;#ASMSTART
	v_cvt_f32_f16 v132, v132;
	;;#ASMEND
	v_dual_fmac_f32 v95, v129, v130 :: v_dual_fmac_f32 v182, v128, v132
	v_lshrrev_b32_e32 v128, 16, v135
	v_and_b32_e32 v129, 0xffff, v135
	v_lshrrev_b32_e32 v130, 16, v131
	v_and_b32_e32 v131, 0xffff, v131
	;;#ASMSTART
	v_cvt_f32_f16 v129, v129;
	;;#ASMEND
	;;#ASMSTART
	v_cvt_f32_f16 v128, v128;
	;;#ASMEND
	;; [unrolled: 3-line block ×4, first 2 shown]
	v_dual_fmac_f32 v104, v129, v131 :: v_dual_fmac_f32 v183, v128, v130
	ds_load_b128 v[128:131], v74 offset:144
	s_waitcnt vmcnt(14)
	v_lshrrev_b32_e32 v133, 16, v116
	v_dual_fmac_f32 v93, v144, v145 :: v_dual_and_b32 v116, 0xffff, v116
	s_waitcnt lgkmcnt(0)
	v_lshrrev_b32_e32 v132, 16, v128
	v_and_b32_e32 v128, 0xffff, v128
	;;#ASMSTART
	v_cvt_f32_f16 v128, v128;
	;;#ASMEND
	;;#ASMSTART
	v_cvt_f32_f16 v132, v132;
	;;#ASMEND
	;; [unrolled: 3-line block ×3, first 2 shown]
	s_delay_alu instid0(VALU_DEP_1)
	v_fmac_f32_e32 v180, v128, v116
	v_lshrrev_b32_e32 v116, 16, v129
	v_and_b32_e32 v128, 0xffff, v129
	v_lshrrev_b32_e32 v129, 16, v117
	v_and_b32_e32 v117, 0xffff, v117
	;;#ASMSTART
	v_cvt_f32_f16 v133, v133;
	;;#ASMEND
	;;#ASMSTART
	v_cvt_f32_f16 v128, v128;
	;;#ASMEND
	;; [unrolled: 3-line block ×5, first 2 shown]
	v_fmac_f32_e32 v94, v128, v117
	v_fmac_f32_e32 v181, v116, v129
	v_lshrrev_b32_e32 v116, 16, v130
	v_and_b32_e32 v117, 0xffff, v130
	v_lshrrev_b32_e32 v128, 16, v118
	v_and_b32_e32 v118, 0xffff, v118
	;;#ASMSTART
	v_cvt_f32_f16 v117, v117;
	;;#ASMEND
	;;#ASMSTART
	v_cvt_f32_f16 v116, v116;
	;;#ASMEND
	;; [unrolled: 3-line block ×4, first 2 shown]
	v_dual_fmac_f32 v95, v117, v118 :: v_dual_fmac_f32 v182, v116, v128
	v_lshrrev_b32_e32 v116, 16, v131
	v_and_b32_e32 v117, 0xffff, v131
	v_lshrrev_b32_e32 v118, 16, v119
	v_and_b32_e32 v119, 0xffff, v119
	;;#ASMSTART
	v_cvt_f32_f16 v117, v117;
	;;#ASMEND
	;;#ASMSTART
	v_cvt_f32_f16 v116, v116;
	;;#ASMEND
	;; [unrolled: 3-line block ×4, first 2 shown]
	v_dual_fmac_f32 v104, v117, v119 :: v_dual_fmac_f32 v183, v116, v118
	ds_load_b128 v[116:119], v74 offset:160
	s_waitcnt vmcnt(13)
	v_lshrrev_b32_e32 v129, 16, v112
	v_dual_fmac_f32 v93, v132, v133 :: v_dual_and_b32 v112, 0xffff, v112
	s_waitcnt lgkmcnt(0)
	v_lshrrev_b32_e32 v128, 16, v116
	v_and_b32_e32 v116, 0xffff, v116
	;;#ASMSTART
	v_cvt_f32_f16 v116, v116;
	;;#ASMEND
	;;#ASMSTART
	v_cvt_f32_f16 v128, v128;
	;;#ASMEND
	;; [unrolled: 3-line block ×3, first 2 shown]
	s_delay_alu instid0(VALU_DEP_1)
	v_fmac_f32_e32 v180, v116, v112
	v_lshrrev_b32_e32 v112, 16, v117
	v_and_b32_e32 v116, 0xffff, v117
	v_lshrrev_b32_e32 v117, 16, v113
	v_and_b32_e32 v113, 0xffff, v113
	;;#ASMSTART
	v_cvt_f32_f16 v129, v129;
	;;#ASMEND
	;;#ASMSTART
	v_cvt_f32_f16 v116, v116;
	;;#ASMEND
	;; [unrolled: 3-line block ×5, first 2 shown]
	v_fmac_f32_e32 v94, v116, v113
	v_fmac_f32_e32 v181, v112, v117
	v_lshrrev_b32_e32 v112, 16, v118
	v_and_b32_e32 v113, 0xffff, v118
	v_lshrrev_b32_e32 v116, 16, v114
	v_and_b32_e32 v114, 0xffff, v114
	;;#ASMSTART
	v_cvt_f32_f16 v113, v113;
	;;#ASMEND
	;;#ASMSTART
	v_cvt_f32_f16 v112, v112;
	;;#ASMEND
	;; [unrolled: 3-line block ×4, first 2 shown]
	v_dual_fmac_f32 v95, v113, v114 :: v_dual_fmac_f32 v182, v112, v116
	v_lshrrev_b32_e32 v112, 16, v119
	v_and_b32_e32 v113, 0xffff, v119
	v_lshrrev_b32_e32 v114, 16, v115
	v_and_b32_e32 v115, 0xffff, v115
	;;#ASMSTART
	v_cvt_f32_f16 v113, v113;
	;;#ASMEND
	;;#ASMSTART
	v_cvt_f32_f16 v112, v112;
	;;#ASMEND
	;; [unrolled: 3-line block ×4, first 2 shown]
	v_dual_fmac_f32 v104, v113, v115 :: v_dual_fmac_f32 v183, v112, v114
	ds_load_b128 v[112:115], v74 offset:176
	s_waitcnt vmcnt(12)
	v_lshrrev_b32_e32 v117, 16, v100
	v_dual_fmac_f32 v93, v128, v129 :: v_dual_and_b32 v100, 0xffff, v100
	s_waitcnt lgkmcnt(0)
	v_lshrrev_b32_e32 v116, 16, v112
	v_and_b32_e32 v112, 0xffff, v112
	;;#ASMSTART
	v_cvt_f32_f16 v112, v112;
	;;#ASMEND
	;;#ASMSTART
	v_cvt_f32_f16 v116, v116;
	;;#ASMEND
	;; [unrolled: 3-line block ×3, first 2 shown]
	s_delay_alu instid0(VALU_DEP_1)
	v_fmac_f32_e32 v180, v112, v100
	v_lshrrev_b32_e32 v100, 16, v113
	v_and_b32_e32 v112, 0xffff, v113
	v_lshrrev_b32_e32 v113, 16, v101
	v_and_b32_e32 v101, 0xffff, v101
	;;#ASMSTART
	v_cvt_f32_f16 v117, v117;
	;;#ASMEND
	;;#ASMSTART
	v_cvt_f32_f16 v112, v112;
	;;#ASMEND
	;; [unrolled: 3-line block ×5, first 2 shown]
	v_fmac_f32_e32 v94, v112, v101
	v_fmac_f32_e32 v181, v100, v113
	v_lshrrev_b32_e32 v100, 16, v114
	v_and_b32_e32 v101, 0xffff, v114
	v_lshrrev_b32_e32 v112, 16, v102
	v_and_b32_e32 v102, 0xffff, v102
	;;#ASMSTART
	v_cvt_f32_f16 v101, v101;
	;;#ASMEND
	;;#ASMSTART
	v_cvt_f32_f16 v100, v100;
	;;#ASMEND
	;; [unrolled: 3-line block ×4, first 2 shown]
	v_dual_fmac_f32 v95, v101, v102 :: v_dual_fmac_f32 v182, v100, v112
	v_lshrrev_b32_e32 v100, 16, v115
	v_and_b32_e32 v101, 0xffff, v115
	v_lshrrev_b32_e32 v102, 16, v103
	v_and_b32_e32 v103, 0xffff, v103
	;;#ASMSTART
	v_cvt_f32_f16 v101, v101;
	;;#ASMEND
	;;#ASMSTART
	v_cvt_f32_f16 v100, v100;
	;;#ASMEND
	;; [unrolled: 3-line block ×4, first 2 shown]
	v_dual_fmac_f32 v104, v101, v103 :: v_dual_fmac_f32 v183, v100, v102
	ds_load_b128 v[100:103], v74 offset:192
	s_waitcnt vmcnt(11)
	v_lshrrev_b32_e32 v113, 16, v96
	v_dual_fmac_f32 v93, v116, v117 :: v_dual_and_b32 v96, 0xffff, v96
	s_waitcnt lgkmcnt(0)
	v_lshrrev_b32_e32 v112, 16, v100
	v_and_b32_e32 v100, 0xffff, v100
	;;#ASMSTART
	v_cvt_f32_f16 v100, v100;
	;;#ASMEND
	;;#ASMSTART
	v_cvt_f32_f16 v112, v112;
	;;#ASMEND
	;;#ASMSTART
	v_cvt_f32_f16 v96, v96;
	;;#ASMEND
	s_delay_alu instid0(VALU_DEP_1)
	v_fmac_f32_e32 v180, v100, v96
	v_lshrrev_b32_e32 v96, 16, v101
	v_and_b32_e32 v100, 0xffff, v101
	v_lshrrev_b32_e32 v101, 16, v97
	v_and_b32_e32 v97, 0xffff, v97
	;;#ASMSTART
	v_cvt_f32_f16 v113, v113;
	;;#ASMEND
	;;#ASMSTART
	v_cvt_f32_f16 v100, v100;
	;;#ASMEND
	;;#ASMSTART
	v_cvt_f32_f16 v96, v96;
	;;#ASMEND
	;;#ASMSTART
	v_cvt_f32_f16 v97, v97;
	;;#ASMEND
	;;#ASMSTART
	v_cvt_f32_f16 v101, v101;
	;;#ASMEND
	v_fmac_f32_e32 v94, v100, v97
	v_fmac_f32_e32 v181, v96, v101
	v_lshrrev_b32_e32 v96, 16, v102
	v_and_b32_e32 v97, 0xffff, v102
	v_lshrrev_b32_e32 v100, 16, v98
	v_and_b32_e32 v98, 0xffff, v98
	;;#ASMSTART
	v_cvt_f32_f16 v97, v97;
	;;#ASMEND
	;;#ASMSTART
	v_cvt_f32_f16 v96, v96;
	;;#ASMEND
	;; [unrolled: 3-line block ×4, first 2 shown]
	v_dual_fmac_f32 v95, v97, v98 :: v_dual_fmac_f32 v182, v96, v100
	v_lshrrev_b32_e32 v96, 16, v103
	v_and_b32_e32 v97, 0xffff, v103
	v_lshrrev_b32_e32 v98, 16, v99
	v_and_b32_e32 v99, 0xffff, v99
	;;#ASMSTART
	v_cvt_f32_f16 v97, v97;
	;;#ASMEND
	;;#ASMSTART
	v_cvt_f32_f16 v96, v96;
	;;#ASMEND
	;; [unrolled: 3-line block ×4, first 2 shown]
	v_dual_fmac_f32 v104, v97, v99 :: v_dual_fmac_f32 v183, v96, v98
	ds_load_b128 v[96:99], v74 offset:208
	s_waitcnt vmcnt(10)
	v_lshrrev_b32_e32 v101, 16, v84
	v_dual_fmac_f32 v93, v112, v113 :: v_dual_and_b32 v84, 0xffff, v84
	s_waitcnt lgkmcnt(0)
	v_lshrrev_b32_e32 v100, 16, v96
	v_and_b32_e32 v96, 0xffff, v96
	;;#ASMSTART
	v_cvt_f32_f16 v96, v96;
	;;#ASMEND
	;;#ASMSTART
	v_cvt_f32_f16 v100, v100;
	;;#ASMEND
	;; [unrolled: 3-line block ×3, first 2 shown]
	s_delay_alu instid0(VALU_DEP_1)
	v_fmac_f32_e32 v180, v96, v84
	v_lshrrev_b32_e32 v84, 16, v97
	v_and_b32_e32 v96, 0xffff, v97
	v_lshrrev_b32_e32 v97, 16, v85
	v_and_b32_e32 v85, 0xffff, v85
	;;#ASMSTART
	v_cvt_f32_f16 v101, v101;
	;;#ASMEND
	;;#ASMSTART
	v_cvt_f32_f16 v96, v96;
	;;#ASMEND
	;; [unrolled: 3-line block ×5, first 2 shown]
	v_fmac_f32_e32 v94, v96, v85
	v_fmac_f32_e32 v181, v84, v97
	v_lshrrev_b32_e32 v84, 16, v98
	v_and_b32_e32 v85, 0xffff, v98
	v_lshrrev_b32_e32 v96, 16, v86
	v_and_b32_e32 v86, 0xffff, v86
	;;#ASMSTART
	v_cvt_f32_f16 v85, v85;
	;;#ASMEND
	;;#ASMSTART
	v_cvt_f32_f16 v84, v84;
	;;#ASMEND
	;; [unrolled: 3-line block ×4, first 2 shown]
	v_dual_fmac_f32 v95, v85, v86 :: v_dual_fmac_f32 v182, v84, v96
	v_lshrrev_b32_e32 v84, 16, v99
	v_and_b32_e32 v85, 0xffff, v99
	v_lshrrev_b32_e32 v86, 16, v87
	v_and_b32_e32 v87, 0xffff, v87
	;;#ASMSTART
	v_cvt_f32_f16 v85, v85;
	;;#ASMEND
	;;#ASMSTART
	v_cvt_f32_f16 v84, v84;
	;;#ASMEND
	;; [unrolled: 3-line block ×4, first 2 shown]
	v_dual_fmac_f32 v104, v85, v87 :: v_dual_fmac_f32 v183, v84, v86
	ds_load_b128 v[84:87], v74 offset:224
	s_waitcnt vmcnt(9)
	v_lshrrev_b32_e32 v97, 16, v80
	v_dual_fmac_f32 v93, v100, v101 :: v_dual_and_b32 v80, 0xffff, v80
	s_waitcnt lgkmcnt(0)
	v_lshrrev_b32_e32 v96, 16, v84
	v_and_b32_e32 v84, 0xffff, v84
	;;#ASMSTART
	v_cvt_f32_f16 v84, v84;
	;;#ASMEND
	;;#ASMSTART
	v_cvt_f32_f16 v96, v96;
	;;#ASMEND
	;; [unrolled: 3-line block ×3, first 2 shown]
	s_delay_alu instid0(VALU_DEP_1)
	v_fmac_f32_e32 v180, v84, v80
	v_lshrrev_b32_e32 v80, 16, v85
	v_and_b32_e32 v84, 0xffff, v85
	v_lshrrev_b32_e32 v85, 16, v81
	v_and_b32_e32 v81, 0xffff, v81
	;;#ASMSTART
	v_cvt_f32_f16 v97, v97;
	;;#ASMEND
	;;#ASMSTART
	v_cvt_f32_f16 v84, v84;
	;;#ASMEND
	;; [unrolled: 3-line block ×5, first 2 shown]
	v_fmac_f32_e32 v94, v84, v81
	v_fmac_f32_e32 v181, v80, v85
	v_lshrrev_b32_e32 v80, 16, v86
	v_and_b32_e32 v81, 0xffff, v86
	v_lshrrev_b32_e32 v84, 16, v82
	v_and_b32_e32 v82, 0xffff, v82
	;;#ASMSTART
	v_cvt_f32_f16 v81, v81;
	;;#ASMEND
	;;#ASMSTART
	v_cvt_f32_f16 v80, v80;
	;;#ASMEND
	;; [unrolled: 3-line block ×4, first 2 shown]
	v_dual_fmac_f32 v95, v81, v82 :: v_dual_fmac_f32 v182, v80, v84
	v_lshrrev_b32_e32 v80, 16, v87
	v_and_b32_e32 v81, 0xffff, v87
	v_lshrrev_b32_e32 v82, 16, v83
	v_and_b32_e32 v83, 0xffff, v83
	;;#ASMSTART
	v_cvt_f32_f16 v81, v81;
	;;#ASMEND
	;;#ASMSTART
	v_cvt_f32_f16 v80, v80;
	;;#ASMEND
	;; [unrolled: 3-line block ×4, first 2 shown]
	v_dual_fmac_f32 v104, v81, v83 :: v_dual_fmac_f32 v183, v80, v82
	ds_load_b128 v[80:83], v74 offset:240
	s_waitcnt vmcnt(8)
	v_lshrrev_b32_e32 v85, 16, v68
	v_dual_fmac_f32 v93, v96, v97 :: v_dual_and_b32 v68, 0xffff, v68
	s_waitcnt lgkmcnt(0)
	v_lshrrev_b32_e32 v84, 16, v80
	v_and_b32_e32 v80, 0xffff, v80
	;;#ASMSTART
	v_cvt_f32_f16 v80, v80;
	;;#ASMEND
	;;#ASMSTART
	v_cvt_f32_f16 v84, v84;
	;;#ASMEND
	;; [unrolled: 3-line block ×3, first 2 shown]
	s_delay_alu instid0(VALU_DEP_1)
	v_fmac_f32_e32 v180, v80, v68
	v_lshrrev_b32_e32 v68, 16, v81
	v_and_b32_e32 v80, 0xffff, v81
	v_lshrrev_b32_e32 v81, 16, v69
	v_and_b32_e32 v69, 0xffff, v69
	;;#ASMSTART
	v_cvt_f32_f16 v85, v85;
	;;#ASMEND
	;;#ASMSTART
	v_cvt_f32_f16 v80, v80;
	;;#ASMEND
	;; [unrolled: 3-line block ×5, first 2 shown]
	v_fmac_f32_e32 v94, v80, v69
	v_fmac_f32_e32 v181, v68, v81
	v_lshrrev_b32_e32 v68, 16, v82
	v_and_b32_e32 v69, 0xffff, v82
	v_lshrrev_b32_e32 v80, 16, v70
	v_and_b32_e32 v70, 0xffff, v70
	;;#ASMSTART
	v_cvt_f32_f16 v69, v69;
	;;#ASMEND
	;;#ASMSTART
	v_cvt_f32_f16 v68, v68;
	;;#ASMEND
	;; [unrolled: 3-line block ×4, first 2 shown]
	v_dual_fmac_f32 v95, v69, v70 :: v_dual_fmac_f32 v182, v68, v80
	v_lshrrev_b32_e32 v68, 16, v83
	v_and_b32_e32 v69, 0xffff, v83
	v_lshrrev_b32_e32 v70, 16, v71
	v_and_b32_e32 v71, 0xffff, v71
	;;#ASMSTART
	v_cvt_f32_f16 v69, v69;
	;;#ASMEND
	;;#ASMSTART
	v_cvt_f32_f16 v68, v68;
	;;#ASMEND
	;; [unrolled: 3-line block ×4, first 2 shown]
	v_dual_fmac_f32 v104, v69, v71 :: v_dual_fmac_f32 v183, v68, v70
	ds_load_b128 v[68:71], v74 offset:256
	s_waitcnt vmcnt(7)
	v_lshrrev_b32_e32 v81, 16, v64
	v_dual_fmac_f32 v93, v84, v85 :: v_dual_and_b32 v64, 0xffff, v64
	s_waitcnt lgkmcnt(0)
	v_lshrrev_b32_e32 v80, 16, v68
	v_and_b32_e32 v68, 0xffff, v68
	;;#ASMSTART
	v_cvt_f32_f16 v68, v68;
	;;#ASMEND
	;;#ASMSTART
	v_cvt_f32_f16 v80, v80;
	;;#ASMEND
	;; [unrolled: 3-line block ×3, first 2 shown]
	s_delay_alu instid0(VALU_DEP_1)
	v_fmac_f32_e32 v180, v68, v64
	v_lshrrev_b32_e32 v64, 16, v69
	v_and_b32_e32 v68, 0xffff, v69
	v_lshrrev_b32_e32 v69, 16, v65
	v_and_b32_e32 v65, 0xffff, v65
	;;#ASMSTART
	v_cvt_f32_f16 v81, v81;
	;;#ASMEND
	;;#ASMSTART
	v_cvt_f32_f16 v68, v68;
	;;#ASMEND
	;;#ASMSTART
	v_cvt_f32_f16 v64, v64;
	;;#ASMEND
	;;#ASMSTART
	v_cvt_f32_f16 v65, v65;
	;;#ASMEND
	;;#ASMSTART
	v_cvt_f32_f16 v69, v69;
	;;#ASMEND
	v_fmac_f32_e32 v94, v68, v65
	v_fmac_f32_e32 v181, v64, v69
	v_lshrrev_b32_e32 v64, 16, v70
	v_and_b32_e32 v65, 0xffff, v70
	v_lshrrev_b32_e32 v68, 16, v66
	v_and_b32_e32 v66, 0xffff, v66
	;;#ASMSTART
	v_cvt_f32_f16 v65, v65;
	;;#ASMEND
	;;#ASMSTART
	v_cvt_f32_f16 v64, v64;
	;;#ASMEND
	;; [unrolled: 3-line block ×4, first 2 shown]
	v_dual_fmac_f32 v95, v65, v66 :: v_dual_fmac_f32 v182, v64, v68
	v_lshrrev_b32_e32 v64, 16, v71
	v_and_b32_e32 v65, 0xffff, v71
	v_lshrrev_b32_e32 v66, 16, v67
	v_and_b32_e32 v67, 0xffff, v67
	;;#ASMSTART
	v_cvt_f32_f16 v65, v65;
	;;#ASMEND
	;;#ASMSTART
	v_cvt_f32_f16 v64, v64;
	;;#ASMEND
	;; [unrolled: 3-line block ×4, first 2 shown]
	v_dual_fmac_f32 v104, v65, v67 :: v_dual_fmac_f32 v183, v64, v66
	ds_load_b128 v[64:67], v74 offset:272
	s_waitcnt vmcnt(6)
	v_lshrrev_b32_e32 v69, 16, v52
	v_dual_fmac_f32 v93, v80, v81 :: v_dual_and_b32 v52, 0xffff, v52
	s_waitcnt lgkmcnt(0)
	v_lshrrev_b32_e32 v68, 16, v64
	v_and_b32_e32 v64, 0xffff, v64
	;;#ASMSTART
	v_cvt_f32_f16 v64, v64;
	;;#ASMEND
	;;#ASMSTART
	v_cvt_f32_f16 v68, v68;
	;;#ASMEND
	;; [unrolled: 3-line block ×3, first 2 shown]
	s_delay_alu instid0(VALU_DEP_1)
	v_fmac_f32_e32 v180, v64, v52
	v_lshrrev_b32_e32 v52, 16, v65
	v_and_b32_e32 v64, 0xffff, v65
	v_lshrrev_b32_e32 v65, 16, v53
	v_and_b32_e32 v53, 0xffff, v53
	;;#ASMSTART
	v_cvt_f32_f16 v69, v69;
	;;#ASMEND
	;;#ASMSTART
	v_cvt_f32_f16 v64, v64;
	;;#ASMEND
	;; [unrolled: 3-line block ×5, first 2 shown]
	v_fmac_f32_e32 v94, v64, v53
	v_fmac_f32_e32 v181, v52, v65
	v_lshrrev_b32_e32 v52, 16, v66
	v_and_b32_e32 v53, 0xffff, v66
	v_lshrrev_b32_e32 v64, 16, v54
	v_and_b32_e32 v54, 0xffff, v54
	;;#ASMSTART
	v_cvt_f32_f16 v53, v53;
	;;#ASMEND
	;;#ASMSTART
	v_cvt_f32_f16 v52, v52;
	;;#ASMEND
	;; [unrolled: 3-line block ×4, first 2 shown]
	v_dual_fmac_f32 v95, v53, v54 :: v_dual_fmac_f32 v182, v52, v64
	v_lshrrev_b32_e32 v52, 16, v67
	v_and_b32_e32 v53, 0xffff, v67
	v_lshrrev_b32_e32 v54, 16, v55
	v_and_b32_e32 v55, 0xffff, v55
	;;#ASMSTART
	v_cvt_f32_f16 v53, v53;
	;;#ASMEND
	;;#ASMSTART
	v_cvt_f32_f16 v52, v52;
	;;#ASMEND
	;; [unrolled: 3-line block ×4, first 2 shown]
	v_dual_fmac_f32 v104, v53, v55 :: v_dual_fmac_f32 v183, v52, v54
	ds_load_b128 v[52:55], v74 offset:288
	s_waitcnt vmcnt(5)
	v_lshrrev_b32_e32 v65, 16, v48
	v_dual_fmac_f32 v93, v68, v69 :: v_dual_and_b32 v48, 0xffff, v48
	s_waitcnt lgkmcnt(0)
	v_lshrrev_b32_e32 v64, 16, v52
	v_and_b32_e32 v52, 0xffff, v52
	;;#ASMSTART
	v_cvt_f32_f16 v52, v52;
	;;#ASMEND
	;;#ASMSTART
	v_cvt_f32_f16 v64, v64;
	;;#ASMEND
	;; [unrolled: 3-line block ×3, first 2 shown]
	s_delay_alu instid0(VALU_DEP_1)
	v_fmac_f32_e32 v180, v52, v48
	v_lshrrev_b32_e32 v48, 16, v53
	v_and_b32_e32 v52, 0xffff, v53
	v_lshrrev_b32_e32 v53, 16, v49
	v_and_b32_e32 v49, 0xffff, v49
	;;#ASMSTART
	v_cvt_f32_f16 v65, v65;
	;;#ASMEND
	;;#ASMSTART
	v_cvt_f32_f16 v52, v52;
	;;#ASMEND
	;; [unrolled: 3-line block ×5, first 2 shown]
	v_fmac_f32_e32 v94, v52, v49
	v_fmac_f32_e32 v181, v48, v53
	v_lshrrev_b32_e32 v48, 16, v54
	v_and_b32_e32 v49, 0xffff, v54
	v_lshrrev_b32_e32 v52, 16, v50
	v_and_b32_e32 v50, 0xffff, v50
	;;#ASMSTART
	v_cvt_f32_f16 v49, v49;
	;;#ASMEND
	;;#ASMSTART
	v_cvt_f32_f16 v48, v48;
	;;#ASMEND
	;; [unrolled: 3-line block ×4, first 2 shown]
	v_dual_fmac_f32 v95, v49, v50 :: v_dual_fmac_f32 v182, v48, v52
	v_lshrrev_b32_e32 v48, 16, v55
	v_and_b32_e32 v49, 0xffff, v55
	v_lshrrev_b32_e32 v50, 16, v51
	v_and_b32_e32 v51, 0xffff, v51
	;;#ASMSTART
	v_cvt_f32_f16 v49, v49;
	;;#ASMEND
	;;#ASMSTART
	v_cvt_f32_f16 v48, v48;
	;;#ASMEND
	;; [unrolled: 3-line block ×4, first 2 shown]
	v_dual_fmac_f32 v104, v49, v51 :: v_dual_fmac_f32 v183, v48, v50
	ds_load_b128 v[48:51], v74 offset:304
	v_fmac_f32_e32 v93, v64, v65
	s_waitcnt vmcnt(4)
	v_lshrrev_b32_e32 v53, 16, v35
	v_and_b32_e32 v35, 0xffff, v35
	s_waitcnt lgkmcnt(0)
	v_lshrrev_b32_e32 v52, 16, v48
	v_and_b32_e32 v48, 0xffff, v48
	;;#ASMSTART
	v_cvt_f32_f16 v48, v48;
	;;#ASMEND
	;;#ASMSTART
	v_cvt_f32_f16 v52, v52;
	;;#ASMEND
	;; [unrolled: 3-line block ×4, first 2 shown]
	v_fmac_f32_e32 v180, v48, v35
	v_fmac_f32_e32 v93, v52, v53
	v_lshrrev_b32_e32 v35, 16, v49
	v_and_b32_e32 v48, 0xffff, v49
	v_lshrrev_b32_e32 v49, 16, v36
	v_and_b32_e32 v36, 0xffff, v36
	;;#ASMSTART
	v_cvt_f32_f16 v48, v48;
	;;#ASMEND
	;;#ASMSTART
	v_cvt_f32_f16 v35, v35;
	;;#ASMEND
	;;#ASMSTART
	v_cvt_f32_f16 v36, v36;
	;;#ASMEND
	;;#ASMSTART
	v_cvt_f32_f16 v49, v49;
	;;#ASMEND
	v_dual_fmac_f32 v94, v48, v36 :: v_dual_fmac_f32 v181, v35, v49
	v_lshrrev_b32_e32 v35, 16, v50
	v_and_b32_e32 v36, 0xffff, v50
	v_lshrrev_b32_e32 v48, 16, v37
	v_and_b32_e32 v37, 0xffff, v37
	;;#ASMSTART
	v_cvt_f32_f16 v36, v36;
	;;#ASMEND
	;;#ASMSTART
	v_cvt_f32_f16 v35, v35;
	;;#ASMEND
	;;#ASMSTART
	v_cvt_f32_f16 v37, v37;
	;;#ASMEND
	;;#ASMSTART
	v_cvt_f32_f16 v48, v48;
	;;#ASMEND
	v_dual_fmac_f32 v95, v36, v37 :: v_dual_fmac_f32 v182, v35, v48
	;; [unrolled: 17-line block ×3, first 2 shown]
	ds_load_b128 v[35:38], v74 offset:320
	s_waitcnt vmcnt(3)
	v_lshrrev_b32_e32 v49, 16, v31
	v_and_b32_e32 v31, 0xffff, v31
	s_waitcnt lgkmcnt(0)
	v_lshrrev_b32_e32 v48, 16, v35
	v_and_b32_e32 v35, 0xffff, v35
	;;#ASMSTART
	v_cvt_f32_f16 v35, v35;
	;;#ASMEND
	;;#ASMSTART
	v_cvt_f32_f16 v48, v48;
	;;#ASMEND
	;;#ASMSTART
	v_cvt_f32_f16 v31, v31;
	;;#ASMEND
	s_delay_alu instid0(VALU_DEP_1)
	v_fmac_f32_e32 v180, v35, v31
	v_lshrrev_b32_e32 v31, 16, v36
	v_and_b32_e32 v35, 0xffff, v36
	v_lshrrev_b32_e32 v36, 16, v32
	v_and_b32_e32 v32, 0xffff, v32
	;;#ASMSTART
	v_cvt_f32_f16 v49, v49;
	;;#ASMEND
	;;#ASMSTART
	v_cvt_f32_f16 v35, v35;
	;;#ASMEND
	;; [unrolled: 3-line block ×5, first 2 shown]
	v_fmac_f32_e32 v94, v35, v32
	v_fmac_f32_e32 v181, v31, v36
	v_lshrrev_b32_e32 v31, 16, v37
	v_and_b32_e32 v32, 0xffff, v37
	v_lshrrev_b32_e32 v35, 16, v33
	v_and_b32_e32 v33, 0xffff, v33
	;;#ASMSTART
	v_cvt_f32_f16 v32, v32;
	;;#ASMEND
	;;#ASMSTART
	v_cvt_f32_f16 v31, v31;
	;;#ASMEND
	;; [unrolled: 3-line block ×4, first 2 shown]
	v_dual_fmac_f32 v95, v32, v33 :: v_dual_fmac_f32 v182, v31, v35
	v_lshrrev_b32_e32 v31, 16, v38
	v_and_b32_e32 v32, 0xffff, v38
	v_lshrrev_b32_e32 v33, 16, v34
	v_and_b32_e32 v34, 0xffff, v34
	;;#ASMSTART
	v_cvt_f32_f16 v32, v32;
	;;#ASMEND
	;;#ASMSTART
	v_cvt_f32_f16 v31, v31;
	;;#ASMEND
	;; [unrolled: 3-line block ×4, first 2 shown]
	v_dual_fmac_f32 v104, v32, v34 :: v_dual_fmac_f32 v183, v31, v33
	ds_load_b128 v[31:34], v74 offset:336
	s_waitcnt vmcnt(2)
	v_lshrrev_b32_e32 v36, 16, v27
	v_and_b32_e32 v27, 0xffff, v27
	v_fmac_f32_e32 v93, v48, v49
	s_waitcnt lgkmcnt(0)
	v_lshrrev_b32_e32 v35, 16, v31
	v_and_b32_e32 v31, 0xffff, v31
	;;#ASMSTART
	v_cvt_f32_f16 v31, v31;
	;;#ASMEND
	;;#ASMSTART
	v_cvt_f32_f16 v35, v35;
	;;#ASMEND
	;; [unrolled: 3-line block ×3, first 2 shown]
	s_delay_alu instid0(VALU_DEP_1)
	v_fmac_f32_e32 v180, v31, v27
	v_lshrrev_b32_e32 v27, 16, v32
	v_and_b32_e32 v31, 0xffff, v32
	v_lshrrev_b32_e32 v32, 16, v28
	v_and_b32_e32 v28, 0xffff, v28
	;;#ASMSTART
	v_cvt_f32_f16 v36, v36;
	;;#ASMEND
	;;#ASMSTART
	v_cvt_f32_f16 v31, v31;
	;;#ASMEND
	;; [unrolled: 3-line block ×5, first 2 shown]
	v_fmac_f32_e32 v94, v31, v28
	v_fmac_f32_e32 v181, v27, v32
	v_lshrrev_b32_e32 v27, 16, v33
	v_and_b32_e32 v28, 0xffff, v33
	v_lshrrev_b32_e32 v31, 16, v29
	v_and_b32_e32 v29, 0xffff, v29
	;;#ASMSTART
	v_cvt_f32_f16 v28, v28;
	;;#ASMEND
	;;#ASMSTART
	v_cvt_f32_f16 v27, v27;
	;;#ASMEND
	;; [unrolled: 3-line block ×4, first 2 shown]
	v_dual_fmac_f32 v95, v28, v29 :: v_dual_fmac_f32 v182, v27, v31
	v_lshrrev_b32_e32 v27, 16, v34
	v_and_b32_e32 v28, 0xffff, v34
	v_lshrrev_b32_e32 v29, 16, v30
	v_and_b32_e32 v30, 0xffff, v30
	;;#ASMSTART
	v_cvt_f32_f16 v28, v28;
	;;#ASMEND
	;;#ASMSTART
	v_cvt_f32_f16 v27, v27;
	;;#ASMEND
	;; [unrolled: 3-line block ×4, first 2 shown]
	v_dual_fmac_f32 v104, v28, v30 :: v_dual_fmac_f32 v183, v27, v29
	ds_load_b128 v[27:30], v74 offset:352
	s_waitcnt vmcnt(1)
	v_lshrrev_b32_e32 v32, 16, v16
	v_and_b32_e32 v16, 0xffff, v16
	v_fmac_f32_e32 v93, v35, v36
	s_waitcnt lgkmcnt(0)
	v_lshrrev_b32_e32 v31, 16, v27
	v_and_b32_e32 v27, 0xffff, v27
	;;#ASMSTART
	v_cvt_f32_f16 v27, v27;
	;;#ASMEND
	;;#ASMSTART
	v_cvt_f32_f16 v31, v31;
	;;#ASMEND
	;;#ASMSTART
	v_cvt_f32_f16 v16, v16;
	;;#ASMEND
	s_delay_alu instid0(VALU_DEP_1)
	v_fmac_f32_e32 v180, v27, v16
	v_lshrrev_b32_e32 v16, 16, v28
	v_and_b32_e32 v27, 0xffff, v28
	v_lshrrev_b32_e32 v28, 16, v17
	v_and_b32_e32 v17, 0xffff, v17
	;;#ASMSTART
	v_cvt_f32_f16 v32, v32;
	;;#ASMEND
	;;#ASMSTART
	v_cvt_f32_f16 v27, v27;
	;;#ASMEND
	;; [unrolled: 3-line block ×5, first 2 shown]
	v_dual_fmac_f32 v94, v27, v17 :: v_dual_fmac_f32 v181, v16, v28
	v_lshrrev_b32_e32 v16, 16, v29
	v_and_b32_e32 v17, 0xffff, v29
	v_lshrrev_b32_e32 v27, 16, v18
	v_and_b32_e32 v18, 0xffff, v18
	;;#ASMSTART
	v_cvt_f32_f16 v17, v17;
	;;#ASMEND
	;;#ASMSTART
	v_cvt_f32_f16 v16, v16;
	;;#ASMEND
	;; [unrolled: 3-line block ×4, first 2 shown]
	v_dual_fmac_f32 v95, v17, v18 :: v_dual_fmac_f32 v182, v16, v27
	v_lshrrev_b32_e32 v16, 16, v30
	v_and_b32_e32 v17, 0xffff, v30
	v_lshrrev_b32_e32 v18, 16, v19
	v_and_b32_e32 v19, 0xffff, v19
	;;#ASMSTART
	v_cvt_f32_f16 v17, v17;
	;;#ASMEND
	;;#ASMSTART
	v_cvt_f32_f16 v16, v16;
	;;#ASMEND
	;; [unrolled: 3-line block ×4, first 2 shown]
	v_dual_fmac_f32 v104, v17, v19 :: v_dual_fmac_f32 v183, v16, v18
	ds_load_b128 v[16:19], v74 offset:368
	v_fmac_f32_e32 v93, v31, v32
	s_waitcnt vmcnt(0)
	v_lshrrev_b32_e32 v28, 16, v6
	v_and_b32_e32 v6, 0xffff, v6
	s_waitcnt lgkmcnt(0)
	v_lshrrev_b32_e32 v27, 16, v16
	v_and_b32_e32 v16, 0xffff, v16
	;;#ASMSTART
	v_cvt_f32_f16 v16, v16;
	;;#ASMEND
	;;#ASMSTART
	v_cvt_f32_f16 v27, v27;
	;;#ASMEND
	;; [unrolled: 3-line block ×3, first 2 shown]
	s_delay_alu instid0(VALU_DEP_1)
	v_fmac_f32_e32 v180, v16, v6
	v_lshrrev_b32_e32 v6, 16, v17
	v_and_b32_e32 v16, 0xffff, v17
	v_lshrrev_b32_e32 v17, 16, v7
	v_and_b32_e32 v7, 0xffff, v7
	;;#ASMSTART
	v_cvt_f32_f16 v28, v28;
	;;#ASMEND
	v_fmac_f32_e32 v93, v27, v28
	;;#ASMSTART
	v_cvt_f32_f16 v16, v16;
	;;#ASMEND
	;;#ASMSTART
	v_cvt_f32_f16 v6, v6;
	;;#ASMEND
	;; [unrolled: 3-line block ×4, first 2 shown]
	v_dual_fmac_f32 v94, v16, v7 :: v_dual_fmac_f32 v181, v6, v17
	v_lshrrev_b32_e32 v6, 16, v18
	v_and_b32_e32 v7, 0xffff, v18
	;;#ASMSTART
	v_cvt_f32_f16 v7, v7;
	;;#ASMEND
	;;#ASMSTART
	v_cvt_f32_f16 v6, v6;
	;;#ASMEND
	v_lshrrev_b32_e32 v16, 16, v8
	v_and_b32_e32 v8, 0xffff, v8
	;;#ASMSTART
	v_cvt_f32_f16 v8, v8;
	;;#ASMEND
	;;#ASMSTART
	v_cvt_f32_f16 v16, v16;
	;;#ASMEND
	s_delay_alu instid0(VALU_DEP_2) | instskip(NEXT) | instid1(VALU_DEP_2)
	v_fmac_f32_e32 v182, v6, v16
	v_dual_fmac_f32 v95, v7, v8 :: v_dual_and_b32 v6, 0xffff, v19
	v_lshrrev_b32_e32 v7, 16, v19
	;;#ASMSTART
	v_cvt_f32_f16 v6, v6;
	;;#ASMEND
	v_lshrrev_b32_e32 v8, 16, v9
	v_and_b32_e32 v9, 0xffff, v9
	;;#ASMSTART
	v_cvt_f32_f16 v7, v7;
	;;#ASMEND
	;;#ASMSTART
	v_cvt_f32_f16 v9, v9;
	;;#ASMEND
	s_delay_alu instid0(VALU_DEP_1) | instskip(SKIP_2) | instid1(VALU_DEP_1)
	v_fmac_f32_e32 v104, v6, v9
	v_add_f32_e32 v6, v180, v93
	;;#ASMSTART
	v_cvt_f32_f16 v8, v8;
	;;#ASMEND
	v_dual_fmac_f32 v183, v7, v8 :: v_dual_add_f32 v6, v6, v94
	s_delay_alu instid0(VALU_DEP_1) | instskip(NEXT) | instid1(VALU_DEP_1)
	v_add_f32_e32 v6, v181, v6
	v_add_f32_e32 v6, v6, v95
	s_delay_alu instid0(VALU_DEP_1) | instskip(NEXT) | instid1(VALU_DEP_1)
	v_add_f32_e32 v6, v182, v6
	v_add_f32_e32 v6, v6, v104
	s_delay_alu instid0(VALU_DEP_1) | instskip(NEXT) | instid1(VALU_DEP_1)
	v_add_f32_e32 v6, v183, v6
	v_fmac_f32_e32 v91, v6, v13
	s_delay_alu instid0(VALU_DEP_1) | instskip(SKIP_2) | instid1(VALU_DEP_1)
	v_cndmask_b32_e64 v6, 0, v91, s1
	ds_store_b32 v92, v6
	v_max_f32_e32 v6, v72, v72
	v_max_f32_e32 v6, v6, v91
	s_delay_alu instid0(VALU_DEP_1)
	v_cndmask_b32_e64 v72, v72, v6, s1
	s_branch .LBB117_11
.LBB117_16:
	s_or_b32 exec_lo, exec_lo, s18
.LBB117_17:
	s_delay_alu instid0(SALU_CYCLE_1) | instskip(SKIP_4) | instid1(VALU_DEP_2)
	s_or_b32 exec_lo, exec_lo, s17
	v_mbcnt_lo_u32_b32 v6, -1, 0
	s_waitcnt lgkmcnt(0)
	s_lshr_b32 s8, s16, 16
	v_max_f32_e32 v13, v72, v72
	v_xor_b32_e32 v7, 16, v6
	v_xor_b32_e32 v9, 8, v6
	;; [unrolled: 1-line block ×4, first 2 shown]
	s_delay_alu instid0(VALU_DEP_4) | instskip(SKIP_4) | instid1(VALU_DEP_2)
	v_cmp_gt_i32_e32 vcc_lo, 32, v7
	v_cndmask_b32_e32 v7, v6, v7, vcc_lo
	v_cmp_gt_i32_e32 vcc_lo, 32, v9
	v_cndmask_b32_e32 v9, v6, v9, vcc_lo
	v_cmp_gt_i32_e32 vcc_lo, 32, v16
	v_dual_cndmask_b32 v16, v6, v16 :: v_dual_lshlrev_b32 v9, 2, v9
	s_delay_alu instid0(VALU_DEP_1) | instskip(SKIP_1) | instid1(VALU_DEP_1)
	v_lshlrev_b32_e32 v17, 2, v16
	v_xor_b32_e32 v16, 2, v6
	v_cmp_gt_i32_e32 vcc_lo, 32, v16
	v_cndmask_b32_e32 v16, v6, v16, vcc_lo
	v_cmp_gt_i32_e32 vcc_lo, 32, v18
	s_delay_alu instid0(VALU_DEP_2)
	v_lshlrev_b32_e32 v16, 2, v16
	v_lshlrev_b32_e32 v8, 2, v7
	v_cndmask_b32_e32 v18, v6, v18, vcc_lo
	v_cmp_eq_u32_e32 vcc_lo, 0, v21
	ds_bpermute_b32 v7, v8, v72
	s_waitcnt lgkmcnt(0)
	v_max_f32_e32 v7, v7, v7
	s_delay_alu instid0(VALU_DEP_1) | instskip(SKIP_3) | instid1(VALU_DEP_1)
	v_max_f32_e32 v7, v13, v7
	ds_bpermute_b32 v13, v9, v7
	s_waitcnt lgkmcnt(0)
	v_max_f32_e32 v13, v13, v13
	v_max_f32_e32 v7, v7, v13
	ds_bpermute_b32 v13, v17, v7
	s_waitcnt lgkmcnt(0)
	v_max_f32_e32 v13, v13, v13
	s_delay_alu instid0(VALU_DEP_1) | instskip(SKIP_3) | instid1(VALU_DEP_1)
	v_max_f32_e32 v7, v7, v13
	ds_bpermute_b32 v13, v16, v7
	s_waitcnt lgkmcnt(0)
	v_max_f32_e32 v13, v13, v13
	v_dual_max_f32 v6, v7, v13 :: v_dual_lshlrev_b32 v13, 2, v18
	v_lshlrev_b32_e32 v18, 2, v12
	ds_bpermute_b32 v7, v13, v6
	s_and_saveexec_b32 s1, vcc_lo
	s_cbranch_execz .LBB117_19
; %bb.18:
	s_waitcnt lgkmcnt(0)
	v_dual_max_f32 v7, v7, v7 :: v_dual_max_f32 v6, v6, v6
	s_delay_alu instid0(VALU_DEP_1)
	v_max_f32_e32 v6, v6, v7
	ds_store_b32 v18, v6 offset:384
.LBB117_19:
	s_or_b32 exec_lo, exec_lo, s1
	v_cmp_gt_u32_e64 s1, 4, v21
	v_mov_b32_e32 v6, 0xff7fffff
	s_waitcnt lgkmcnt(0)
	s_barrier
	buffer_gl0_inv
	s_and_saveexec_b32 s2, s1
	s_cbranch_execz .LBB117_21
; %bb.20:
	ds_load_b32 v6, v63 offset:384
.LBB117_21:
	s_or_b32 exec_lo, exec_lo, s2
	s_waitcnt lgkmcnt(0)
	ds_bpermute_b32 v7, v16, v6
	v_max_f32_e32 v6, v6, v6
	v_subrev_nc_u32_e32 v27, s13, v59
	v_mov_b32_e32 v19, 0
	s_waitcnt lgkmcnt(0)
	v_max_f32_e32 v7, v7, v7
	s_delay_alu instid0(VALU_DEP_1) | instskip(SKIP_3) | instid1(VALU_DEP_1)
	v_max_f32_e32 v6, v6, v7
	ds_bpermute_b32 v7, v13, v6
	s_waitcnt lgkmcnt(0)
	v_max_f32_e32 v7, v7, v7
	v_max_f32_e32 v6, v6, v7
	v_lshl_add_u32 v7, v27, 5, s3
	ds_bpermute_b32 v6, v19, v6
	v_min_i32_e32 v7, v7, v46
	s_delay_alu instid0(VALU_DEP_1) | instskip(NEXT) | instid1(VALU_DEP_1)
	v_subrev_nc_u32_e32 v7, s3, v7
	v_cmp_lt_i32_e64 s2, v45, v7
	s_delay_alu instid0(VALU_DEP_1)
	s_and_saveexec_b32 s9, s2
	s_cbranch_execz .LBB117_25
; %bb.22:
	s_getpc_b64 s[16:17]
	s_add_u32 s16, s16, llvm.amdgcn.dynlds.offset.table@rel32@lo+4
	s_addc_u32 s17, s17, llvm.amdgcn.dynlds.offset.table@rel32@hi+12
	s_ashr_i32 s7, s6, 31
	v_dual_mov_b32 v19, 0 :: v_dual_mov_b32 v28, v45
	s_lshl_b64 s[18:19], s[6:7], 2
	s_mov_b32 s7, 0
	s_add_u32 s16, s18, s16
	s_addc_u32 s17, s19, s17
	s_load_b32 s3, s[16:17], 0x0
	s_waitcnt lgkmcnt(0)
	v_lshl_add_u32 v27, v45, 2, s3
	.p2align	6
.LBB117_23:                             ; =>This Inner Loop Header: Depth=1
	ds_load_b32 v29, v27
	v_add_nc_u32_e32 v28, 0x80, v28
	s_delay_alu instid0(VALU_DEP_1) | instskip(NEXT) | instid1(VALU_DEP_1)
	v_cmp_ge_i32_e64 s3, v28, v7
	s_or_b32 s7, s3, s7
	s_waitcnt lgkmcnt(0)
	v_sub_f32_e32 v29, v29, v6
	s_delay_alu instid0(VALU_DEP_1) | instskip(NEXT) | instid1(VALU_DEP_1)
	v_mul_f32_e32 v29, 0x3fb8aa3b, v29
	v_exp_f32_e32 v29, v29
	ds_store_b32 v27, v29
	v_add_f32_e32 v19, v19, v29
	v_add_nc_u32_e32 v27, 0x200, v27
	s_and_not1_b32 exec_lo, exec_lo, s7
	s_cbranch_execnz .LBB117_23
; %bb.24:
	s_or_b32 exec_lo, exec_lo, s7
.LBB117_25:
	s_delay_alu instid0(SALU_CYCLE_1)
	s_or_b32 exec_lo, exec_lo, s9
	ds_bpermute_b32 v8, v8, v19
	s_waitcnt lgkmcnt(0)
	v_add_f32_e32 v8, v19, v8
	ds_bpermute_b32 v9, v9, v8
	s_waitcnt lgkmcnt(0)
	v_add_f32_e32 v8, v8, v9
	;; [unrolled: 3-line block ×5, first 2 shown]
	s_and_saveexec_b32 s3, vcc_lo
	s_cbranch_execz .LBB117_27
; %bb.26:
	ds_store_b32 v18, v8 offset:400
.LBB117_27:
	s_or_b32 exec_lo, exec_lo, s3
	s_waitcnt lgkmcnt(0)
	s_barrier
	buffer_gl0_inv
	s_and_saveexec_b32 s3, s1
	s_cbranch_execz .LBB117_29
; %bb.28:
	ds_load_b32 v8, v63 offset:400
.LBB117_29:
	s_or_b32 exec_lo, exec_lo, s3
	s_waitcnt lgkmcnt(0)
	ds_bpermute_b32 v9, v16, v8
	s_waitcnt lgkmcnt(0)
	v_add_f32_e32 v8, v8, v9
	ds_bpermute_b32 v9, v13, v8
	s_waitcnt lgkmcnt(0)
	v_dual_add_f32 v8, v8, v9 :: v_dual_mov_b32 v9, 0
	ds_bpermute_b32 v8, v9, v8
	s_and_saveexec_b32 s1, s2
	s_cbranch_execz .LBB117_32
; %bb.30:
	s_waitcnt lgkmcnt(0)
	v_add_f32_e32 v17, 0x358637bd, v8
	s_getpc_b64 s[2:3]
	s_add_u32 s2, s2, llvm.amdgcn.dynlds.offset.table@rel32@lo+4
	s_addc_u32 s3, s3, llvm.amdgcn.dynlds.offset.table@rel32@hi+12
	s_ashr_i32 s7, s6, 31
	s_delay_alu instid0(SALU_CYCLE_1) | instskip(SKIP_4) | instid1(VALU_DEP_1)
	s_lshl_b64 s[16:17], s[6:7], 2
	v_div_scale_f32 v9, null, v17, v17, 1.0
	s_add_u32 s2, s16, s2
	s_addc_u32 s3, s17, s3
	s_load_b32 s2, s[2:3], 0x0
	v_rcp_f32_e32 v18, v9
	s_waitcnt_depctr 0xfff
	v_fma_f32 v19, -v9, v18, 1.0
	s_delay_alu instid0(VALU_DEP_1) | instskip(SKIP_1) | instid1(VALU_DEP_1)
	v_fmac_f32_e32 v18, v19, v18
	v_div_scale_f32 v27, vcc_lo, 1.0, v17, 1.0
	v_mul_f32_e32 v19, v27, v18
	s_delay_alu instid0(VALU_DEP_1) | instskip(NEXT) | instid1(VALU_DEP_1)
	v_fma_f32 v28, -v9, v19, v27
	v_fmac_f32_e32 v19, v28, v18
	s_delay_alu instid0(VALU_DEP_1) | instskip(NEXT) | instid1(VALU_DEP_1)
	v_fma_f32 v9, -v9, v19, v27
	v_div_fmas_f32 v18, v9, v18, v19
	s_waitcnt lgkmcnt(0)
	v_lshl_add_u32 v9, v45, 2, s2
	s_mov_b32 s2, 0
	s_delay_alu instid0(VALU_DEP_2)
	v_div_fixup_f32 v17, v18, v17, 1.0
	v_mov_b32_e32 v18, v45
.LBB117_31:                             ; =>This Inner Loop Header: Depth=1
	ds_load_b32 v19, v9
	s_waitcnt lgkmcnt(0)
	v_dual_mul_f32 v19, v17, v19 :: v_dual_add_nc_u32 v18, 0x80, v18
	s_delay_alu instid0(VALU_DEP_1) | instskip(SKIP_3) | instid1(SALU_CYCLE_1)
	v_cmp_ge_i32_e32 vcc_lo, v18, v7
	ds_store_b32 v9, v19
	v_add_nc_u32_e32 v9, 0x200, v9
	s_or_b32 s2, vcc_lo, s2
	s_and_not1_b32 exec_lo, exec_lo, s2
	s_cbranch_execnz .LBB117_31
.LBB117_32:
	s_or_b32 exec_lo, exec_lo, s1
	v_cmp_ne_u16_e64 s1, s8, 0
	s_waitcnt lgkmcnt(0)
	s_barrier
	buffer_gl0_inv
	s_cmp_lg_u32 s1, 0
	s_addc_u32 s1, s5, 0
	s_mov_b32 s5, exec_lo
	s_mul_i32 s2, s1, s10
	s_delay_alu instid0(SALU_CYCLE_1)
	s_mul_i32 s2, s2, s15
	v_cmpx_eq_u32_e32 0, v45
	s_cbranch_execz .LBB117_34
; %bb.33:
	s_mul_i32 s8, s1, s12
	s_ashr_i32 s15, s14, 31
	s_ashr_i32 s9, s8, 31
	;; [unrolled: 1-line block ×3, first 2 shown]
	s_lshl_b64 s[8:9], s[8:9], 2
	s_lshl_b64 s[12:13], s[14:15], 2
	;; [unrolled: 1-line block ×3, first 2 shown]
	s_add_u32 s3, s12, s8
	s_addc_u32 s7, s13, s9
	s_add_u32 s3, s3, s16
	s_addc_u32 s7, s7, s17
	v_add_co_u32 v2, vcc_lo, s3, v2
	v_add_co_ci_u32_e32 v3, vcc_lo, s7, v3, vcc_lo
	v_add_co_u32 v0, vcc_lo, s3, v0
	v_add_co_ci_u32_e32 v1, vcc_lo, s7, v1, vcc_lo
	flat_store_b32 v[2:3], v6
	flat_store_b32 v[0:1], v8
.LBB117_34:
	s_or_b32 exec_lo, exec_lo, s5
	s_ashr_i32 s7, s6, 31
	s_getpc_b64 s[8:9]
	s_add_u32 s8, s8, llvm.amdgcn.dynlds.offset.table@rel32@lo+4
	s_addc_u32 s9, s9, llvm.amdgcn.dynlds.offset.table@rel32@hi+12
	s_lshl_b64 s[6:7], s[6:7], 2
	v_dual_mov_b32 v64, 0 :: v_dual_and_b32 v17, 3, v45
	v_dual_mov_b32 v65, 0 :: v_dual_mov_b32 v54, 0
	v_dual_mov_b32 v55, 0 :: v_dual_mov_b32 v52, 0
	;; [unrolled: 1-line block ×11, first 2 shown]
	v_mov_b32_e32 v19, 0
	s_add_u32 s6, s6, s8
	s_addc_u32 s7, s7, s9
	s_mov_b32 s5, 0
	s_and_saveexec_b32 s3, s0
	s_cbranch_execz .LBB117_88
; %bb.35:
	v_max_i32_e32 v26, v26, v61
	v_dual_mov_b32 v67, v46 :: v_dual_lshlrev_b32 v6, 3, v45
	v_mov_b32_e32 v70, v46
	s_load_b32 s0, s[6:7], 0x0
	s_delay_alu instid0(VALU_DEP_3) | instskip(NEXT) | instid1(VALU_DEP_3)
	v_cvt_f32_u32_e32 v2, v26
	v_and_b32_e32 v9, 0xf8, v6
	v_lshlrev_b64 v[0:1], 1, v[41:42]
	v_dual_mov_b32 v81, v46 :: v_dual_lshlrev_b32 v8, 5, v17
	s_delay_alu instid0(VALU_DEP_4)
	v_rcp_iflag_f32_e32 v7, v2
	v_mov_b32_e32 v68, v46
	v_lshlrev_b64 v[2:3], 2, v[23:24]
	v_and_b32_e32 v24, 24, v6
	v_sub_nc_u32_e32 v6, 0, v26
	v_add_co_u32 v10, vcc_lo, v10, v0
	v_add_co_ci_u32_e32 v11, vcc_lo, v11, v1, vcc_lo
	v_add_co_u32 v2, vcc_lo, v39, v2
	s_delay_alu instid0(TRANS32_DEP_1)
	v_mul_f32_e32 v7, 0x4f7ffffe, v7
	v_or_b32_e32 v0, 0x800, v9
	v_or_b32_e32 v1, 0x900, v9
	;; [unrolled: 1-line block ×4, first 2 shown]
	v_cvt_u32_f32_e32 v7, v7
	v_or_b32_e32 v28, 0xc00, v9
	v_or_b32_e32 v29, 0xd00, v9
	;; [unrolled: 1-line block ×4, first 2 shown]
	v_mul_lo_u32 v6, v6, v7
	v_or_b32_e32 v32, 0x1000, v9
	v_or_b32_e32 v33, 0x1100, v9
	;; [unrolled: 1-line block ×7, first 2 shown]
	v_mul_hi_u32 v6, v7, v6
	v_or_b32_e32 v48, 0x1700, v9
	v_add_co_ci_u32_e32 v3, vcc_lo, v40, v3, vcc_lo
	v_lshl_or_b32 v8, v12, 7, v8
	v_dual_mov_b32 v69, v46 :: v_dual_add_nc_u32 v66, -1, v60
	v_dual_mov_b32 v18, 0 :: v_dual_mov_b32 v71, v46
	v_add_nc_u32_e32 v82, v7, v6
	v_add_co_u32 v6, vcc_lo, v14, v2
	v_mov_b32_e32 v80, v46
	v_add_co_ci_u32_e32 v7, vcc_lo, v15, v3, vcc_lo
	v_lshlrev_b32_e32 v15, 1, v9
	s_waitcnt lgkmcnt(0)
	v_add_nc_u32_e32 v14, s0, v8
	v_lshlrev_b32_e32 v39, 1, v0
	v_lshlrev_b32_e32 v83, 1, v1
	;; [unrolled: 1-line block ×10, first 2 shown]
	v_dual_mov_b32 v49, 0 :: v_dual_lshlrev_b32 v100, 1, v34
	v_lshlrev_b32_e32 v101, 1, v35
	v_dual_mov_b32 v51, 0 :: v_dual_lshlrev_b32 v102, 1, v36
	v_dual_mov_b32 v50, 0 :: v_dual_lshlrev_b32 v103, 1, v37
	;; [unrolled: 1-line block ×4, first 2 shown]
	v_mov_b32_e32 v19, 0
	v_dual_mov_b32 v27, 0 :: v_dual_mov_b32 v28, 0
	v_dual_mov_b32 v29, 0 :: v_dual_mov_b32 v30, 0
	;; [unrolled: 1-line block ×6, first 2 shown]
	v_mov_b32_e32 v48, 0
	v_dual_mov_b32 v54, 0 :: v_dual_mov_b32 v55, 0
	v_dual_mov_b32 v65, 0 :: v_dual_mov_b32 v64, 0
	s_branch .LBB117_38
.LBB117_36:                             ;   in Loop: Header=BB117_38 Depth=1
	s_or_b32 exec_lo, exec_lo, s0
	v_dual_add_f32 v128, v144, v145 :: v_dual_add_f32 v129, v79, v88
	v_dual_add_f32 v130, v77, v78 :: v_dual_add_f32 v131, v75, v76
	s_waitcnt vmcnt(0) lgkmcnt(0)
	;;#ASMSTART
	v_pk_mul_f16 v0, v119, v0;

	;;#ASMEND
	s_delay_alu instid0(VALU_DEP_2) | instskip(SKIP_4) | instid1(VALU_DEP_2)
	v_add_f32_e32 v19, v19, v128
	v_dual_add_f32 v27, v27, v129 :: v_dual_add_f32 v128, v73, v74
	v_dual_add_f32 v28, v28, v130 :: v_dual_add_f32 v29, v29, v131
	;; [unrolled: 1-line block ×5, first 2 shown]
	s_delay_alu instid0(VALU_DEP_2) | instskip(NEXT) | instid1(VALU_DEP_3)
	v_dual_add_f32 v32, v32, v130 :: v_dual_add_f32 v33, v33, v131
	v_add_f32_e32 v34, v34, v132
	v_dual_add_f32 v128, v40, v41 :: v_dual_add_f32 v129, v182, v183
	v_dual_add_f32 v130, v180, v181 :: v_dual_add_f32 v131, v178, v179
	s_delay_alu instid0(VALU_DEP_2) | instskip(NEXT) | instid1(VALU_DEP_2)
	v_dual_add_f32 v132, v176, v177 :: v_dual_add_f32 v35, v35, v128
	v_dual_add_f32 v36, v36, v129 :: v_dual_add_f32 v37, v37, v130
	s_delay_alu instid0(VALU_DEP_3) | instskip(NEXT) | instid1(VALU_DEP_3)
	v_add_f32_e32 v38, v38, v131
	v_dual_add_f32 v48, v48, v132 :: v_dual_add_f32 v129, v162, v163
	v_add_f32_e32 v8, v8, v9
	v_dual_add_f32 v9, v164, v165 :: v_dual_add_f32 v128, v166, v167
	;;#ASMSTART
	v_pk_mul_f16 v1, v118, v1;

	;;#ASMEND
	;;#ASMSTART
	v_pk_mul_f16 v2, v117, v2;

	;;#ASMEND
	;; [unrolled: 4-line block ×3, first 2 shown]
	s_delay_alu instid0(VALU_DEP_1)
	v_add_f32_e32 v51, v51, v9
	;;#ASMSTART
	v_pk_add_f16 v0, v0, v1;

	;;#ASMEND
	;;#ASMSTART
	v_pk_add_f16 v0, v0, v2;

	;;#ASMEND
	;; [unrolled: 4-line block ×3, first 2 shown]
	v_dual_add_f32 v130, v160, v161 :: v_dual_and_b32 v1, 0xffff, v0
	v_lshrrev_b32_e32 v0, 16, v0
	;;#ASMSTART
	v_cvt_f32_f16 v1, v1;
	;;#ASMEND
	;;#ASMSTART
	v_cvt_f32_f16 v0, v0;
	;;#ASMEND
	v_add_f32_e32 v49, v49, v128
	v_dual_add_f32 v50, v50, v8 :: v_dual_add_f32 v53, v53, v130
	v_dual_add_f32 v52, v52, v129 :: v_dual_add_f32 v3, v146, v147
	;; [unrolled: 1-line block ×3, first 2 shown]
	v_add_f32_e32 v8, v150, v151
	v_add_f32_e32 v0, v1, v0
	s_delay_alu instid0(VALU_DEP_4) | instskip(NEXT) | instid1(VALU_DEP_4)
	v_add_f32_e32 v65, v65, v3
	v_dual_add_f32 v55, v55, v2 :: v_dual_add_f32 v64, v64, v9
	s_delay_alu instid0(VALU_DEP_4) | instskip(NEXT) | instid1(VALU_DEP_4)
	v_add_f32_e32 v54, v54, v8
	v_add_f32_e32 v18, v18, v0
.LBB117_37:                             ;   in Loop: Header=BB117_38 Depth=1
	s_or_b32 exec_lo, exec_lo, s8
	v_add_nc_u32_e32 v23, 4, v23
	v_add_co_u32 v6, s0, v6, 16
	s_delay_alu instid0(VALU_DEP_1) | instskip(NEXT) | instid1(VALU_DEP_3)
	v_add_co_ci_u32_e64 v7, s0, 0, v7, s0
	v_cmp_ge_i32_e32 vcc_lo, v23, v59
	v_add_nc_u32_e32 v58, 0x80, v58
	v_add_nc_u32_e32 v14, 0x200, v14
	s_or_b32 s5, vcc_lo, s5
	s_delay_alu instid0(SALU_CYCLE_1)
	s_and_not1_b32 exec_lo, exec_lo, s5
	s_cbranch_execz .LBB117_87
.LBB117_38:                             ; =>This Inner Loop Header: Depth=1
	v_sub_nc_u32_e32 v0, 0, v58
	s_delay_alu instid0(VALU_DEP_1) | instskip(NEXT) | instid1(VALU_DEP_1)
	v_max_i32_e32 v0, v58, v0
	v_mul_hi_u32 v1, v0, v56
	s_delay_alu instid0(VALU_DEP_1) | instskip(NEXT) | instid1(VALU_DEP_1)
	v_mul_lo_u32 v2, v1, v47
	v_sub_nc_u32_e32 v0, v0, v2
	v_add_nc_u32_e32 v2, 1, v1
	s_delay_alu instid0(VALU_DEP_2) | instskip(SKIP_1) | instid1(VALU_DEP_2)
	v_sub_nc_u32_e32 v3, v0, v47
	v_cmp_ge_u32_e32 vcc_lo, v0, v47
	v_dual_cndmask_b32 v1, v1, v2 :: v_dual_cndmask_b32 v0, v0, v3
	v_ashrrev_i32_e32 v2, 31, v58
	s_delay_alu instid0(VALU_DEP_2) | instskip(NEXT) | instid1(VALU_DEP_3)
	v_add_nc_u32_e32 v3, 1, v1
	v_cmp_ge_u32_e32 vcc_lo, v0, v47
	s_delay_alu instid0(VALU_DEP_3) | instskip(NEXT) | instid1(VALU_DEP_3)
	v_xor_b32_e32 v2, v2, v57
	v_cndmask_b32_e32 v0, v1, v3, vcc_lo
	s_delay_alu instid0(VALU_DEP_1) | instskip(NEXT) | instid1(VALU_DEP_1)
	v_xor_b32_e32 v0, v0, v2
	v_sub_nc_u32_e32 v0, v0, v2
	s_delay_alu instid0(VALU_DEP_1) | instskip(SKIP_1) | instid1(VALU_DEP_2)
	v_add_nc_u32_e32 v1, v0, v20
	v_cmp_gt_i32_e64 s0, v0, v25
	v_sub_nc_u32_e32 v2, 0, v1
	s_delay_alu instid0(VALU_DEP_1) | instskip(NEXT) | instid1(VALU_DEP_1)
	v_max_i32_e32 v2, v1, v2
	v_mul_hi_u32 v3, v2, v82
	s_delay_alu instid0(VALU_DEP_1) | instskip(NEXT) | instid1(VALU_DEP_1)
	v_mul_lo_u32 v3, v3, v26
	v_sub_nc_u32_e32 v2, v2, v3
	s_delay_alu instid0(VALU_DEP_1) | instskip(SKIP_1) | instid1(VALU_DEP_2)
	v_sub_nc_u32_e32 v3, v2, v26
	v_cmp_ge_u32_e32 vcc_lo, v2, v26
	v_cndmask_b32_e32 v2, v2, v3, vcc_lo
	v_ashrrev_i32_e32 v1, 31, v1
	s_delay_alu instid0(VALU_DEP_2) | instskip(SKIP_1) | instid1(VALU_DEP_2)
	v_sub_nc_u32_e32 v3, v2, v26
	v_cmp_ge_u32_e32 vcc_lo, v2, v26
	v_cndmask_b32_e32 v2, v2, v3, vcc_lo
	s_delay_alu instid0(VALU_DEP_1) | instskip(NEXT) | instid1(VALU_DEP_1)
	v_xor_b32_e32 v2, v2, v1
	v_sub_nc_u32_e32 v1, v2, v1
	s_delay_alu instid0(VALU_DEP_1) | instskip(SKIP_1) | instid1(SALU_CYCLE_1)
	v_cmp_eq_u32_e32 vcc_lo, 0, v1
	s_or_b32 s0, vcc_lo, s0
	s_and_saveexec_b32 s8, s0
	s_cbranch_execz .LBB117_37
; %bb.39:                               ;   in Loop: Header=BB117_38 Depth=1
	flat_load_b32 v114, v[6:7]
	ds_load_2addr_b64 v[0:3], v14 offset1:1
	ds_load_2addr_b64 v[128:131], v14 offset0:2 offset1:3
	s_waitcnt lgkmcnt(1)
	;;#ASMSTART
	v_cvt_f16_f32 v116, v0;

	;;#ASMEND
	s_waitcnt vmcnt(0)
	v_mad_i64_i32 v[8:9], null, v114, v22, 0
	;;#ASMSTART
	v_cvt_f16_f32 v114, v1;

	;;#ASMEND
	;;#ASMSTART
	v_cvt_f16_f32 v117, v2;

	;;#ASMEND
	;; [unrolled: 4-line block ×3, first 2 shown]
	s_waitcnt lgkmcnt(0)
	;;#ASMSTART
	v_cvt_f16_f32 v118, v128;

	;;#ASMEND
	;;#ASMSTART
	v_cvt_f16_f32 v146, v129;

	;;#ASMEND
	;; [unrolled: 4-line block ×3, first 2 shown]
	v_lshlrev_b64 v[8:9], 1, v[8:9]
	;;#ASMSTART
	v_cvt_f16_f32 v147, v131;

	;;#ASMEND
	v_add_nc_u32_e32 v128, v24, v58
	s_delay_alu instid0(VALU_DEP_2) | instskip(NEXT) | instid1(VALU_DEP_3)
	v_add_co_u32 v144, vcc_lo, v10, v8
	v_add_co_ci_u32_e32 v145, vcc_lo, v11, v9, vcc_lo
	s_delay_alu instid0(VALU_DEP_3) | instskip(NEXT) | instid1(VALU_DEP_3)
	v_add_nc_u32_e32 v129, 1, v128
	v_add_co_u32 v8, vcc_lo, v144, v15
	s_delay_alu instid0(VALU_DEP_3)
	v_add_co_ci_u32_e32 v9, vcc_lo, 0, v145, vcc_lo
	v_cmp_eq_u32_e32 vcc_lo, v66, v23
	v_or_b32_e32 v131, 3, v128
	v_or_b32_e32 v130, 2, v128
	flat_load_b128 v[0:3], v[8:9]
	v_or_b32_e32 v133, 5, v128
	v_or_b32_e32 v132, 4, v128
	v_or_b32_e32 v134, 7, v128
	v_or_b32_e32 v135, 6, v128
	s_and_saveexec_b32 s9, vcc_lo
	s_cbranch_execz .LBB117_41
; %bb.40:                               ;   in Loop: Header=BB117_38 Depth=1
	s_delay_alu instid0(VALU_DEP_1)
	v_cmp_lt_i32_e64 s0, v135, v80
	s_waitcnt vmcnt(0) lgkmcnt(0)
	v_lshrrev_b32_e32 v148, 16, v3
	v_lshrrev_b32_e32 v149, 16, v2
	;; [unrolled: 1-line block ×4, first 2 shown]
	v_cndmask_b32_e64 v3, 0, v3, s0
	v_cmp_lt_i32_e64 s0, v134, v81
	s_delay_alu instid0(VALU_DEP_1) | instskip(SKIP_1) | instid1(VALU_DEP_2)
	v_cndmask_b32_e64 v148, 0, v148, s0
	v_cmp_lt_i32_e64 s0, v133, v71
	v_perm_b32 v3, v148, v3, 0x5040100
	s_delay_alu instid0(VALU_DEP_2) | instskip(SKIP_1) | instid1(VALU_DEP_1)
	v_cndmask_b32_e64 v149, 0, v149, s0
	v_cmp_lt_i32_e64 s0, v132, v70
	v_cndmask_b32_e64 v2, 0, v2, s0
	v_cmp_lt_i32_e64 s0, v131, v69
	s_delay_alu instid0(VALU_DEP_2) | instskip(NEXT) | instid1(VALU_DEP_2)
	v_perm_b32 v2, v149, v2, 0x5040100
	v_cndmask_b32_e64 v150, 0, v150, s0
	v_cmp_lt_i32_e64 s0, v130, v68
	s_delay_alu instid0(VALU_DEP_1) | instskip(SKIP_1) | instid1(VALU_DEP_2)
	v_cndmask_b32_e64 v1, 0, v1, s0
	v_cmp_lt_i32_e64 s0, v129, v67
	v_perm_b32 v1, v150, v1, 0x5040100
	s_delay_alu instid0(VALU_DEP_2) | instskip(SKIP_1) | instid1(VALU_DEP_1)
	v_cndmask_b32_e64 v151, 0, v151, s0
	v_cmp_lt_i32_e64 s0, v128, v46
	v_cndmask_b32_e64 v0, 0, v0, s0
	s_delay_alu instid0(VALU_DEP_1)
	v_perm_b32 v0, v151, v0, 0x5040100
.LBB117_41:                             ;   in Loop: Header=BB117_38 Depth=1
	s_or_b32 exec_lo, exec_lo, s9
	v_and_b32_e32 v116, 0xffff, v116
	v_and_b32_e32 v117, 0xffff, v117
	v_and_b32_e32 v148, 0xffff, v118
	v_and_b32_e32 v149, 0xffff, v119
	s_delay_alu instid0(VALU_DEP_4)
	v_lshl_or_b32 v119, v114, 16, v116
	s_waitcnt vmcnt(0) lgkmcnt(0)
	;;#ASMSTART
	v_pk_mul_f16 v0, v119, v0;

	;;#ASMEND
	v_lshl_or_b32 v118, v115, 16, v117
	v_lshl_or_b32 v117, v146, 16, v148
	;; [unrolled: 1-line block ×3, first 2 shown]
	;;#ASMSTART
	v_pk_mul_f16 v1, v118, v1;

	;;#ASMEND
	;;#ASMSTART
	v_pk_mul_f16 v2, v117, v2;

	;;#ASMEND
	;; [unrolled: 4-line block ×3, first 2 shown]
	;;#ASMSTART
	v_pk_add_f16 v0, v0, v1;

	;;#ASMEND
	;;#ASMSTART
	v_pk_add_f16 v0, v0, v2;

	;;#ASMEND
	;; [unrolled: 4-line block ×3, first 2 shown]
	v_and_b32_e32 v1, 0xffff, v0
	v_lshrrev_b32_e32 v0, 16, v0
	;;#ASMSTART
	v_cvt_f32_f16 v114, v1;
	;;#ASMEND
	;;#ASMSTART
	v_cvt_f32_f16 v116, v0;
	;;#ASMEND
	flat_load_b128 v[0:3], v[8:9] offset:512
	s_and_saveexec_b32 s9, vcc_lo
	s_cbranch_execz .LBB117_43
; %bb.42:                               ;   in Loop: Header=BB117_38 Depth=1
	v_cmp_lt_i32_e64 s0, v135, v80
	s_waitcnt vmcnt(0) lgkmcnt(0)
	v_lshrrev_b32_e32 v146, 16, v3
	v_lshrrev_b32_e32 v147, 16, v2
	;; [unrolled: 1-line block ×4, first 2 shown]
	v_cndmask_b32_e64 v3, 0, v3, s0
	v_cmp_lt_i32_e64 s0, v134, v81
	s_delay_alu instid0(VALU_DEP_1) | instskip(SKIP_1) | instid1(VALU_DEP_2)
	v_cndmask_b32_e64 v146, 0, v146, s0
	v_cmp_lt_i32_e64 s0, v133, v71
	v_perm_b32 v3, v146, v3, 0x5040100
	s_delay_alu instid0(VALU_DEP_2) | instskip(SKIP_1) | instid1(VALU_DEP_1)
	v_cndmask_b32_e64 v147, 0, v147, s0
	v_cmp_lt_i32_e64 s0, v132, v70
	v_cndmask_b32_e64 v2, 0, v2, s0
	v_cmp_lt_i32_e64 s0, v131, v69
	s_delay_alu instid0(VALU_DEP_2) | instskip(NEXT) | instid1(VALU_DEP_2)
	v_perm_b32 v2, v147, v2, 0x5040100
	v_cndmask_b32_e64 v148, 0, v148, s0
	v_cmp_lt_i32_e64 s0, v130, v68
	s_delay_alu instid0(VALU_DEP_1) | instskip(SKIP_1) | instid1(VALU_DEP_2)
	v_cndmask_b32_e64 v1, 0, v1, s0
	v_cmp_lt_i32_e64 s0, v129, v67
	v_perm_b32 v1, v148, v1, 0x5040100
	s_delay_alu instid0(VALU_DEP_2) | instskip(SKIP_1) | instid1(VALU_DEP_1)
	v_cndmask_b32_e64 v149, 0, v149, s0
	v_cmp_lt_i32_e64 s0, v128, v46
	v_cndmask_b32_e64 v0, 0, v0, s0
	s_delay_alu instid0(VALU_DEP_1)
	v_perm_b32 v0, v149, v0, 0x5040100
.LBB117_43:                             ;   in Loop: Header=BB117_38 Depth=1
	s_or_b32 exec_lo, exec_lo, s9
	s_waitcnt vmcnt(0) lgkmcnt(0)
	;;#ASMSTART
	v_pk_mul_f16 v0, v119, v0;

	;;#ASMEND
	;;#ASMSTART
	v_pk_mul_f16 v1, v118, v1;

	;;#ASMEND
	;; [unrolled: 4-line block ×4, first 2 shown]
	;;#ASMSTART
	v_pk_add_f16 v0, v0, v1;

	;;#ASMEND
	;;#ASMSTART
	v_pk_add_f16 v0, v0, v2;

	;;#ASMEND
	;; [unrolled: 4-line block ×3, first 2 shown]
	v_and_b32_e32 v1, 0xffff, v0
	v_lshrrev_b32_e32 v0, 16, v0
	;;#ASMSTART
	v_cvt_f32_f16 v146, v1;
	;;#ASMEND
	;;#ASMSTART
	v_cvt_f32_f16 v147, v0;
	;;#ASMEND
	flat_load_b128 v[0:3], v[8:9] offset:1024
	s_and_saveexec_b32 s9, vcc_lo
	s_cbranch_execz .LBB117_45
; %bb.44:                               ;   in Loop: Header=BB117_38 Depth=1
	v_cmp_lt_i32_e64 s0, v135, v80
	s_waitcnt vmcnt(0) lgkmcnt(0)
	v_lshrrev_b32_e32 v148, 16, v3
	v_lshrrev_b32_e32 v149, 16, v2
	;; [unrolled: 1-line block ×4, first 2 shown]
	v_cndmask_b32_e64 v3, 0, v3, s0
	v_cmp_lt_i32_e64 s0, v134, v81
	s_delay_alu instid0(VALU_DEP_1) | instskip(SKIP_1) | instid1(VALU_DEP_2)
	v_cndmask_b32_e64 v148, 0, v148, s0
	v_cmp_lt_i32_e64 s0, v133, v71
	v_perm_b32 v3, v148, v3, 0x5040100
	s_delay_alu instid0(VALU_DEP_2) | instskip(SKIP_1) | instid1(VALU_DEP_1)
	v_cndmask_b32_e64 v149, 0, v149, s0
	v_cmp_lt_i32_e64 s0, v132, v70
	v_cndmask_b32_e64 v2, 0, v2, s0
	v_cmp_lt_i32_e64 s0, v131, v69
	s_delay_alu instid0(VALU_DEP_2) | instskip(NEXT) | instid1(VALU_DEP_2)
	v_perm_b32 v2, v149, v2, 0x5040100
	v_cndmask_b32_e64 v150, 0, v150, s0
	v_cmp_lt_i32_e64 s0, v130, v68
	s_delay_alu instid0(VALU_DEP_1) | instskip(SKIP_1) | instid1(VALU_DEP_2)
	v_cndmask_b32_e64 v1, 0, v1, s0
	v_cmp_lt_i32_e64 s0, v129, v67
	v_perm_b32 v1, v150, v1, 0x5040100
	s_delay_alu instid0(VALU_DEP_2) | instskip(SKIP_1) | instid1(VALU_DEP_1)
	v_cndmask_b32_e64 v151, 0, v151, s0
	v_cmp_lt_i32_e64 s0, v128, v46
	v_cndmask_b32_e64 v0, 0, v0, s0
	s_delay_alu instid0(VALU_DEP_1)
	v_perm_b32 v0, v151, v0, 0x5040100
.LBB117_45:                             ;   in Loop: Header=BB117_38 Depth=1
	s_or_b32 exec_lo, exec_lo, s9
	s_waitcnt vmcnt(0) lgkmcnt(0)
	;;#ASMSTART
	v_pk_mul_f16 v0, v119, v0;

	;;#ASMEND
	;;#ASMSTART
	v_pk_mul_f16 v1, v118, v1;

	;;#ASMEND
	;; [unrolled: 4-line block ×4, first 2 shown]
	;;#ASMSTART
	v_pk_add_f16 v0, v0, v1;

	;;#ASMEND
	;;#ASMSTART
	v_pk_add_f16 v0, v0, v2;

	;;#ASMEND
	;; [unrolled: 4-line block ×3, first 2 shown]
	v_and_b32_e32 v1, 0xffff, v0
	v_lshrrev_b32_e32 v0, 16, v0
	;;#ASMSTART
	v_cvt_f32_f16 v148, v1;
	;;#ASMEND
	;;#ASMSTART
	v_cvt_f32_f16 v149, v0;
	;;#ASMEND
	flat_load_b128 v[0:3], v[8:9] offset:1536
	s_and_saveexec_b32 s9, vcc_lo
	s_cbranch_execz .LBB117_47
; %bb.46:                               ;   in Loop: Header=BB117_38 Depth=1
	v_cmp_lt_i32_e64 s0, v135, v80
	s_waitcnt vmcnt(0) lgkmcnt(0)
	v_lshrrev_b32_e32 v150, 16, v3
	v_lshrrev_b32_e32 v151, 16, v2
	;; [unrolled: 1-line block ×4, first 2 shown]
	v_cndmask_b32_e64 v3, 0, v3, s0
	v_cmp_lt_i32_e64 s0, v134, v81
	s_delay_alu instid0(VALU_DEP_1) | instskip(SKIP_1) | instid1(VALU_DEP_2)
	v_cndmask_b32_e64 v150, 0, v150, s0
	v_cmp_lt_i32_e64 s0, v133, v71
	v_perm_b32 v3, v150, v3, 0x5040100
	s_delay_alu instid0(VALU_DEP_2) | instskip(SKIP_1) | instid1(VALU_DEP_1)
	v_cndmask_b32_e64 v151, 0, v151, s0
	v_cmp_lt_i32_e64 s0, v132, v70
	v_cndmask_b32_e64 v2, 0, v2, s0
	v_cmp_lt_i32_e64 s0, v131, v69
	s_delay_alu instid0(VALU_DEP_2) | instskip(NEXT) | instid1(VALU_DEP_2)
	v_perm_b32 v2, v151, v2, 0x5040100
	v_cndmask_b32_e64 v160, 0, v160, s0
	v_cmp_lt_i32_e64 s0, v130, v68
	s_delay_alu instid0(VALU_DEP_1) | instskip(SKIP_1) | instid1(VALU_DEP_2)
	v_cndmask_b32_e64 v1, 0, v1, s0
	v_cmp_lt_i32_e64 s0, v129, v67
	v_perm_b32 v1, v160, v1, 0x5040100
	s_delay_alu instid0(VALU_DEP_2) | instskip(SKIP_1) | instid1(VALU_DEP_1)
	v_cndmask_b32_e64 v161, 0, v161, s0
	v_cmp_lt_i32_e64 s0, v128, v46
	v_cndmask_b32_e64 v0, 0, v0, s0
	s_delay_alu instid0(VALU_DEP_1)
	v_perm_b32 v0, v161, v0, 0x5040100
.LBB117_47:                             ;   in Loop: Header=BB117_38 Depth=1
	s_or_b32 exec_lo, exec_lo, s9
	s_waitcnt vmcnt(0) lgkmcnt(0)
	;;#ASMSTART
	v_pk_mul_f16 v0, v119, v0;

	;;#ASMEND
	;;#ASMSTART
	v_pk_mul_f16 v1, v118, v1;

	;;#ASMEND
	;; [unrolled: 4-line block ×4, first 2 shown]
	;;#ASMSTART
	v_pk_add_f16 v0, v0, v1;

	;;#ASMEND
	;;#ASMSTART
	v_pk_add_f16 v0, v0, v2;

	;;#ASMEND
	;; [unrolled: 4-line block ×3, first 2 shown]
	v_and_b32_e32 v1, 0xffff, v0
	v_lshrrev_b32_e32 v0, 16, v0
	;;#ASMSTART
	v_cvt_f32_f16 v150, v1;
	;;#ASMEND
	;;#ASMSTART
	v_cvt_f32_f16 v151, v0;
	;;#ASMEND
	flat_load_b128 v[0:3], v[8:9] offset:2048
	s_and_saveexec_b32 s9, vcc_lo
	s_cbranch_execz .LBB117_49
; %bb.48:                               ;   in Loop: Header=BB117_38 Depth=1
	v_cmp_lt_i32_e64 s0, v135, v80
	s_waitcnt vmcnt(0) lgkmcnt(0)
	v_lshrrev_b32_e32 v160, 16, v3
	v_lshrrev_b32_e32 v161, 16, v2
	;; [unrolled: 1-line block ×4, first 2 shown]
	v_cndmask_b32_e64 v3, 0, v3, s0
	v_cmp_lt_i32_e64 s0, v134, v81
	s_delay_alu instid0(VALU_DEP_1) | instskip(SKIP_1) | instid1(VALU_DEP_2)
	v_cndmask_b32_e64 v160, 0, v160, s0
	v_cmp_lt_i32_e64 s0, v133, v71
	v_perm_b32 v3, v160, v3, 0x5040100
	s_delay_alu instid0(VALU_DEP_2) | instskip(SKIP_1) | instid1(VALU_DEP_1)
	v_cndmask_b32_e64 v161, 0, v161, s0
	v_cmp_lt_i32_e64 s0, v132, v70
	v_cndmask_b32_e64 v2, 0, v2, s0
	v_cmp_lt_i32_e64 s0, v131, v69
	s_delay_alu instid0(VALU_DEP_2) | instskip(NEXT) | instid1(VALU_DEP_2)
	v_perm_b32 v2, v161, v2, 0x5040100
	v_cndmask_b32_e64 v162, 0, v162, s0
	v_cmp_lt_i32_e64 s0, v130, v68
	s_delay_alu instid0(VALU_DEP_1) | instskip(SKIP_1) | instid1(VALU_DEP_2)
	v_cndmask_b32_e64 v1, 0, v1, s0
	v_cmp_lt_i32_e64 s0, v129, v67
	v_perm_b32 v1, v162, v1, 0x5040100
	s_delay_alu instid0(VALU_DEP_2) | instskip(SKIP_1) | instid1(VALU_DEP_1)
	v_cndmask_b32_e64 v163, 0, v163, s0
	v_cmp_lt_i32_e64 s0, v128, v46
	v_cndmask_b32_e64 v0, 0, v0, s0
	s_delay_alu instid0(VALU_DEP_1)
	v_perm_b32 v0, v163, v0, 0x5040100
.LBB117_49:                             ;   in Loop: Header=BB117_38 Depth=1
	s_or_b32 exec_lo, exec_lo, s9
	s_waitcnt vmcnt(0) lgkmcnt(0)
	;;#ASMSTART
	v_pk_mul_f16 v0, v119, v0;

	;;#ASMEND
	;;#ASMSTART
	v_pk_mul_f16 v1, v118, v1;

	;;#ASMEND
	;; [unrolled: 4-line block ×4, first 2 shown]
	;;#ASMSTART
	v_pk_add_f16 v0, v0, v1;

	;;#ASMEND
	;;#ASMSTART
	v_pk_add_f16 v0, v0, v2;

	;;#ASMEND
	;;#ASMSTART
	v_pk_add_f16 v0, v0, v3;

	;;#ASMEND
	v_and_b32_e32 v1, 0xffff, v0
	v_lshrrev_b32_e32 v0, 16, v0
	;;#ASMSTART
	v_cvt_f32_f16 v160, v1;
	;;#ASMEND
	;;#ASMSTART
	v_cvt_f32_f16 v161, v0;
	;;#ASMEND
	flat_load_b128 v[0:3], v[8:9] offset:2560
	s_and_saveexec_b32 s9, vcc_lo
	s_cbranch_execz .LBB117_51
; %bb.50:                               ;   in Loop: Header=BB117_38 Depth=1
	v_cmp_lt_i32_e64 s0, v135, v80
	s_waitcnt vmcnt(0) lgkmcnt(0)
	v_lshrrev_b32_e32 v162, 16, v3
	v_lshrrev_b32_e32 v163, 16, v2
	;; [unrolled: 1-line block ×4, first 2 shown]
	v_cndmask_b32_e64 v3, 0, v3, s0
	v_cmp_lt_i32_e64 s0, v134, v81
	s_delay_alu instid0(VALU_DEP_1) | instskip(SKIP_1) | instid1(VALU_DEP_2)
	v_cndmask_b32_e64 v162, 0, v162, s0
	v_cmp_lt_i32_e64 s0, v133, v71
	v_perm_b32 v3, v162, v3, 0x5040100
	s_delay_alu instid0(VALU_DEP_2) | instskip(SKIP_1) | instid1(VALU_DEP_1)
	v_cndmask_b32_e64 v163, 0, v163, s0
	v_cmp_lt_i32_e64 s0, v132, v70
	v_cndmask_b32_e64 v2, 0, v2, s0
	v_cmp_lt_i32_e64 s0, v131, v69
	s_delay_alu instid0(VALU_DEP_2) | instskip(NEXT) | instid1(VALU_DEP_2)
	v_perm_b32 v2, v163, v2, 0x5040100
	v_cndmask_b32_e64 v164, 0, v164, s0
	v_cmp_lt_i32_e64 s0, v130, v68
	s_delay_alu instid0(VALU_DEP_1) | instskip(SKIP_1) | instid1(VALU_DEP_2)
	v_cndmask_b32_e64 v1, 0, v1, s0
	v_cmp_lt_i32_e64 s0, v129, v67
	v_perm_b32 v1, v164, v1, 0x5040100
	s_delay_alu instid0(VALU_DEP_2) | instskip(SKIP_1) | instid1(VALU_DEP_1)
	v_cndmask_b32_e64 v165, 0, v165, s0
	v_cmp_lt_i32_e64 s0, v128, v46
	v_cndmask_b32_e64 v0, 0, v0, s0
	s_delay_alu instid0(VALU_DEP_1)
	v_perm_b32 v0, v165, v0, 0x5040100
.LBB117_51:                             ;   in Loop: Header=BB117_38 Depth=1
	s_or_b32 exec_lo, exec_lo, s9
	s_waitcnt vmcnt(0) lgkmcnt(0)
	;;#ASMSTART
	v_pk_mul_f16 v0, v119, v0;

	;;#ASMEND
	;;#ASMSTART
	v_pk_mul_f16 v1, v118, v1;

	;;#ASMEND
	;; [unrolled: 4-line block ×4, first 2 shown]
	;;#ASMSTART
	v_pk_add_f16 v0, v0, v1;

	;;#ASMEND
	;;#ASMSTART
	v_pk_add_f16 v0, v0, v2;

	;;#ASMEND
	;; [unrolled: 4-line block ×3, first 2 shown]
	v_and_b32_e32 v1, 0xffff, v0
	v_lshrrev_b32_e32 v0, 16, v0
	;;#ASMSTART
	v_cvt_f32_f16 v162, v1;
	;;#ASMEND
	;;#ASMSTART
	v_cvt_f32_f16 v163, v0;
	;;#ASMEND
	flat_load_b128 v[0:3], v[8:9] offset:3072
	s_and_saveexec_b32 s9, vcc_lo
	s_cbranch_execz .LBB117_53
; %bb.52:                               ;   in Loop: Header=BB117_38 Depth=1
	v_cmp_lt_i32_e64 s0, v135, v80
	s_waitcnt vmcnt(0) lgkmcnt(0)
	v_lshrrev_b32_e32 v164, 16, v3
	v_lshrrev_b32_e32 v165, 16, v2
	;; [unrolled: 1-line block ×4, first 2 shown]
	v_cndmask_b32_e64 v3, 0, v3, s0
	v_cmp_lt_i32_e64 s0, v134, v81
	s_delay_alu instid0(VALU_DEP_1) | instskip(SKIP_1) | instid1(VALU_DEP_2)
	v_cndmask_b32_e64 v164, 0, v164, s0
	v_cmp_lt_i32_e64 s0, v133, v71
	v_perm_b32 v3, v164, v3, 0x5040100
	s_delay_alu instid0(VALU_DEP_2) | instskip(SKIP_1) | instid1(VALU_DEP_1)
	v_cndmask_b32_e64 v165, 0, v165, s0
	v_cmp_lt_i32_e64 s0, v132, v70
	v_cndmask_b32_e64 v2, 0, v2, s0
	v_cmp_lt_i32_e64 s0, v131, v69
	s_delay_alu instid0(VALU_DEP_2) | instskip(NEXT) | instid1(VALU_DEP_2)
	v_perm_b32 v2, v165, v2, 0x5040100
	v_cndmask_b32_e64 v166, 0, v166, s0
	v_cmp_lt_i32_e64 s0, v130, v68
	s_delay_alu instid0(VALU_DEP_1) | instskip(SKIP_1) | instid1(VALU_DEP_2)
	v_cndmask_b32_e64 v1, 0, v1, s0
	v_cmp_lt_i32_e64 s0, v129, v67
	v_perm_b32 v1, v166, v1, 0x5040100
	s_delay_alu instid0(VALU_DEP_2) | instskip(SKIP_1) | instid1(VALU_DEP_1)
	v_cndmask_b32_e64 v167, 0, v167, s0
	v_cmp_lt_i32_e64 s0, v128, v46
	v_cndmask_b32_e64 v0, 0, v0, s0
	s_delay_alu instid0(VALU_DEP_1)
	v_perm_b32 v0, v167, v0, 0x5040100
.LBB117_53:                             ;   in Loop: Header=BB117_38 Depth=1
	s_or_b32 exec_lo, exec_lo, s9
	s_waitcnt vmcnt(0) lgkmcnt(0)
	;;#ASMSTART
	v_pk_mul_f16 v0, v119, v0;

	;;#ASMEND
	;;#ASMSTART
	v_pk_mul_f16 v1, v118, v1;

	;;#ASMEND
	;; [unrolled: 4-line block ×4, first 2 shown]
	;;#ASMSTART
	v_pk_add_f16 v0, v0, v1;

	;;#ASMEND
	;;#ASMSTART
	v_pk_add_f16 v0, v0, v2;

	;;#ASMEND
	;; [unrolled: 4-line block ×3, first 2 shown]
	v_and_b32_e32 v1, 0xffff, v0
	v_lshrrev_b32_e32 v0, 16, v0
	;;#ASMSTART
	v_cvt_f32_f16 v164, v1;
	;;#ASMEND
	;;#ASMSTART
	v_cvt_f32_f16 v165, v0;
	;;#ASMEND
	flat_load_b128 v[0:3], v[8:9] offset:3584
	s_and_saveexec_b32 s9, vcc_lo
	s_cbranch_execz .LBB117_55
; %bb.54:                               ;   in Loop: Header=BB117_38 Depth=1
	v_cmp_lt_i32_e64 s0, v135, v80
	s_waitcnt vmcnt(0) lgkmcnt(0)
	v_lshrrev_b32_e32 v8, 16, v3
	v_lshrrev_b32_e32 v9, 16, v2
	;; [unrolled: 1-line block ×4, first 2 shown]
	v_cndmask_b32_e64 v3, 0, v3, s0
	v_cmp_lt_i32_e64 s0, v134, v81
	s_delay_alu instid0(VALU_DEP_1) | instskip(SKIP_1) | instid1(VALU_DEP_2)
	v_cndmask_b32_e64 v8, 0, v8, s0
	v_cmp_lt_i32_e64 s0, v133, v71
	v_perm_b32 v3, v8, v3, 0x5040100
	s_delay_alu instid0(VALU_DEP_2) | instskip(SKIP_1) | instid1(VALU_DEP_1)
	v_cndmask_b32_e64 v9, 0, v9, s0
	v_cmp_lt_i32_e64 s0, v132, v70
	v_cndmask_b32_e64 v2, 0, v2, s0
	v_cmp_lt_i32_e64 s0, v131, v69
	s_delay_alu instid0(VALU_DEP_2) | instskip(NEXT) | instid1(VALU_DEP_2)
	v_perm_b32 v2, v9, v2, 0x5040100
	v_cndmask_b32_e64 v166, 0, v166, s0
	v_cmp_lt_i32_e64 s0, v130, v68
	s_delay_alu instid0(VALU_DEP_1) | instskip(SKIP_1) | instid1(VALU_DEP_2)
	v_cndmask_b32_e64 v1, 0, v1, s0
	v_cmp_lt_i32_e64 s0, v129, v67
	v_perm_b32 v1, v166, v1, 0x5040100
	s_delay_alu instid0(VALU_DEP_2) | instskip(SKIP_1) | instid1(VALU_DEP_1)
	v_cndmask_b32_e64 v167, 0, v167, s0
	v_cmp_lt_i32_e64 s0, v128, v46
	v_cndmask_b32_e64 v0, 0, v0, s0
	s_delay_alu instid0(VALU_DEP_1)
	v_perm_b32 v0, v167, v0, 0x5040100
.LBB117_55:                             ;   in Loop: Header=BB117_38 Depth=1
	s_or_b32 exec_lo, exec_lo, s9
	s_waitcnt vmcnt(0) lgkmcnt(0)
	;;#ASMSTART
	v_pk_mul_f16 v0, v119, v0;

	;;#ASMEND
	;;#ASMSTART
	v_pk_mul_f16 v1, v118, v1;

	;;#ASMEND
	;; [unrolled: 4-line block ×4, first 2 shown]
	;;#ASMSTART
	v_pk_add_f16 v0, v0, v1;

	;;#ASMEND
	;;#ASMSTART
	v_pk_add_f16 v0, v0, v2;

	;;#ASMEND
	;; [unrolled: 4-line block ×3, first 2 shown]
	v_lshrrev_b32_e32 v2, 16, v0
	v_and_b32_e32 v3, 0xffff, v0
	v_add_co_u32 v0, s0, v144, v39
	s_delay_alu instid0(VALU_DEP_1)
	v_add_co_ci_u32_e64 v1, s0, 0, v145, s0
	;;#ASMSTART
	v_cvt_f32_f16 v8, v3;
	;;#ASMEND
	;;#ASMSTART
	v_cvt_f32_f16 v9, v2;
	;;#ASMEND
	flat_load_b128 v[0:3], v[0:1]
	s_and_saveexec_b32 s9, vcc_lo
	s_cbranch_execz .LBB117_57
; %bb.56:                               ;   in Loop: Header=BB117_38 Depth=1
	v_cmp_lt_i32_e64 s0, v135, v80
	s_waitcnt vmcnt(0) lgkmcnt(0)
	v_lshrrev_b32_e32 v166, 16, v3
	v_lshrrev_b32_e32 v167, 16, v2
	v_lshrrev_b32_e32 v176, 16, v1
	v_lshrrev_b32_e32 v177, 16, v0
	v_cndmask_b32_e64 v3, 0, v3, s0
	v_cmp_lt_i32_e64 s0, v134, v81
	s_delay_alu instid0(VALU_DEP_1) | instskip(SKIP_1) | instid1(VALU_DEP_2)
	v_cndmask_b32_e64 v166, 0, v166, s0
	v_cmp_lt_i32_e64 s0, v133, v71
	v_perm_b32 v3, v166, v3, 0x5040100
	s_delay_alu instid0(VALU_DEP_2) | instskip(SKIP_1) | instid1(VALU_DEP_1)
	v_cndmask_b32_e64 v167, 0, v167, s0
	v_cmp_lt_i32_e64 s0, v132, v70
	v_cndmask_b32_e64 v2, 0, v2, s0
	v_cmp_lt_i32_e64 s0, v131, v69
	s_delay_alu instid0(VALU_DEP_2) | instskip(NEXT) | instid1(VALU_DEP_2)
	v_perm_b32 v2, v167, v2, 0x5040100
	v_cndmask_b32_e64 v176, 0, v176, s0
	v_cmp_lt_i32_e64 s0, v130, v68
	s_delay_alu instid0(VALU_DEP_1) | instskip(SKIP_1) | instid1(VALU_DEP_2)
	v_cndmask_b32_e64 v1, 0, v1, s0
	v_cmp_lt_i32_e64 s0, v129, v67
	v_perm_b32 v1, v176, v1, 0x5040100
	s_delay_alu instid0(VALU_DEP_2) | instskip(SKIP_1) | instid1(VALU_DEP_1)
	v_cndmask_b32_e64 v177, 0, v177, s0
	v_cmp_lt_i32_e64 s0, v128, v46
	v_cndmask_b32_e64 v0, 0, v0, s0
	s_delay_alu instid0(VALU_DEP_1)
	v_perm_b32 v0, v177, v0, 0x5040100
.LBB117_57:                             ;   in Loop: Header=BB117_38 Depth=1
	s_or_b32 exec_lo, exec_lo, s9
	s_waitcnt vmcnt(0) lgkmcnt(0)
	;;#ASMSTART
	v_pk_mul_f16 v0, v119, v0;

	;;#ASMEND
	;;#ASMSTART
	v_pk_mul_f16 v1, v118, v1;

	;;#ASMEND
	;; [unrolled: 4-line block ×4, first 2 shown]
	;;#ASMSTART
	v_pk_add_f16 v0, v0, v1;

	;;#ASMEND
	;;#ASMSTART
	v_pk_add_f16 v0, v0, v2;

	;;#ASMEND
	;; [unrolled: 4-line block ×3, first 2 shown]
	v_lshrrev_b32_e32 v2, 16, v0
	v_and_b32_e32 v3, 0xffff, v0
	v_add_co_u32 v0, s0, v144, v83
	s_delay_alu instid0(VALU_DEP_1)
	v_add_co_ci_u32_e64 v1, s0, 0, v145, s0
	;;#ASMSTART
	v_cvt_f32_f16 v166, v3;
	;;#ASMEND
	;;#ASMSTART
	v_cvt_f32_f16 v167, v2;
	;;#ASMEND
	flat_load_b128 v[0:3], v[0:1]
	s_and_saveexec_b32 s9, vcc_lo
	s_cbranch_execz .LBB117_59
; %bb.58:                               ;   in Loop: Header=BB117_38 Depth=1
	v_cmp_lt_i32_e64 s0, v135, v80
	s_waitcnt vmcnt(0) lgkmcnt(0)
	v_lshrrev_b32_e32 v176, 16, v3
	v_lshrrev_b32_e32 v177, 16, v2
	;; [unrolled: 1-line block ×4, first 2 shown]
	v_cndmask_b32_e64 v3, 0, v3, s0
	v_cmp_lt_i32_e64 s0, v134, v81
	s_delay_alu instid0(VALU_DEP_1) | instskip(SKIP_1) | instid1(VALU_DEP_2)
	v_cndmask_b32_e64 v176, 0, v176, s0
	v_cmp_lt_i32_e64 s0, v133, v71
	v_perm_b32 v3, v176, v3, 0x5040100
	s_delay_alu instid0(VALU_DEP_2) | instskip(SKIP_1) | instid1(VALU_DEP_1)
	v_cndmask_b32_e64 v177, 0, v177, s0
	v_cmp_lt_i32_e64 s0, v132, v70
	v_cndmask_b32_e64 v2, 0, v2, s0
	v_cmp_lt_i32_e64 s0, v131, v69
	s_delay_alu instid0(VALU_DEP_2) | instskip(NEXT) | instid1(VALU_DEP_2)
	v_perm_b32 v2, v177, v2, 0x5040100
	v_cndmask_b32_e64 v178, 0, v178, s0
	v_cmp_lt_i32_e64 s0, v130, v68
	s_delay_alu instid0(VALU_DEP_1) | instskip(SKIP_1) | instid1(VALU_DEP_2)
	v_cndmask_b32_e64 v1, 0, v1, s0
	v_cmp_lt_i32_e64 s0, v129, v67
	v_perm_b32 v1, v178, v1, 0x5040100
	s_delay_alu instid0(VALU_DEP_2) | instskip(SKIP_1) | instid1(VALU_DEP_1)
	v_cndmask_b32_e64 v179, 0, v179, s0
	v_cmp_lt_i32_e64 s0, v128, v46
	v_cndmask_b32_e64 v0, 0, v0, s0
	s_delay_alu instid0(VALU_DEP_1)
	v_perm_b32 v0, v179, v0, 0x5040100
.LBB117_59:                             ;   in Loop: Header=BB117_38 Depth=1
	s_or_b32 exec_lo, exec_lo, s9
	s_waitcnt vmcnt(0) lgkmcnt(0)
	;;#ASMSTART
	v_pk_mul_f16 v0, v119, v0;

	;;#ASMEND
	;;#ASMSTART
	v_pk_mul_f16 v1, v118, v1;

	;;#ASMEND
	;; [unrolled: 4-line block ×4, first 2 shown]
	;;#ASMSTART
	v_pk_add_f16 v0, v0, v1;

	;;#ASMEND
	;;#ASMSTART
	v_pk_add_f16 v0, v0, v2;

	;;#ASMEND
	;; [unrolled: 4-line block ×3, first 2 shown]
	v_lshrrev_b32_e32 v2, 16, v0
	v_and_b32_e32 v3, 0xffff, v0
	v_add_co_u32 v0, s0, v144, v84
	s_delay_alu instid0(VALU_DEP_1)
	v_add_co_ci_u32_e64 v1, s0, 0, v145, s0
	;;#ASMSTART
	v_cvt_f32_f16 v176, v3;
	;;#ASMEND
	;;#ASMSTART
	v_cvt_f32_f16 v177, v2;
	;;#ASMEND
	flat_load_b128 v[0:3], v[0:1]
	s_and_saveexec_b32 s9, vcc_lo
	s_cbranch_execz .LBB117_61
; %bb.60:                               ;   in Loop: Header=BB117_38 Depth=1
	v_cmp_lt_i32_e64 s0, v135, v80
	s_waitcnt vmcnt(0) lgkmcnt(0)
	v_lshrrev_b32_e32 v178, 16, v3
	v_lshrrev_b32_e32 v179, 16, v2
	;; [unrolled: 1-line block ×4, first 2 shown]
	v_cndmask_b32_e64 v3, 0, v3, s0
	v_cmp_lt_i32_e64 s0, v134, v81
	s_delay_alu instid0(VALU_DEP_1) | instskip(SKIP_1) | instid1(VALU_DEP_2)
	v_cndmask_b32_e64 v178, 0, v178, s0
	v_cmp_lt_i32_e64 s0, v133, v71
	v_perm_b32 v3, v178, v3, 0x5040100
	s_delay_alu instid0(VALU_DEP_2) | instskip(SKIP_1) | instid1(VALU_DEP_1)
	v_cndmask_b32_e64 v179, 0, v179, s0
	v_cmp_lt_i32_e64 s0, v132, v70
	v_cndmask_b32_e64 v2, 0, v2, s0
	v_cmp_lt_i32_e64 s0, v131, v69
	s_delay_alu instid0(VALU_DEP_2) | instskip(NEXT) | instid1(VALU_DEP_2)
	v_perm_b32 v2, v179, v2, 0x5040100
	v_cndmask_b32_e64 v180, 0, v180, s0
	v_cmp_lt_i32_e64 s0, v130, v68
	s_delay_alu instid0(VALU_DEP_1) | instskip(SKIP_1) | instid1(VALU_DEP_2)
	v_cndmask_b32_e64 v1, 0, v1, s0
	v_cmp_lt_i32_e64 s0, v129, v67
	v_perm_b32 v1, v180, v1, 0x5040100
	s_delay_alu instid0(VALU_DEP_2) | instskip(SKIP_1) | instid1(VALU_DEP_1)
	v_cndmask_b32_e64 v181, 0, v181, s0
	v_cmp_lt_i32_e64 s0, v128, v46
	v_cndmask_b32_e64 v0, 0, v0, s0
	s_delay_alu instid0(VALU_DEP_1)
	v_perm_b32 v0, v181, v0, 0x5040100
.LBB117_61:                             ;   in Loop: Header=BB117_38 Depth=1
	s_or_b32 exec_lo, exec_lo, s9
	s_waitcnt vmcnt(0) lgkmcnt(0)
	;;#ASMSTART
	v_pk_mul_f16 v0, v119, v0;

	;;#ASMEND
	;;#ASMSTART
	v_pk_mul_f16 v1, v118, v1;

	;;#ASMEND
	;; [unrolled: 4-line block ×4, first 2 shown]
	;;#ASMSTART
	v_pk_add_f16 v0, v0, v1;

	;;#ASMEND
	;;#ASMSTART
	v_pk_add_f16 v0, v0, v2;

	;;#ASMEND
	;; [unrolled: 4-line block ×3, first 2 shown]
	v_lshrrev_b32_e32 v2, 16, v0
	v_and_b32_e32 v3, 0xffff, v0
	v_add_co_u32 v0, s0, v144, v85
	s_delay_alu instid0(VALU_DEP_1)
	v_add_co_ci_u32_e64 v1, s0, 0, v145, s0
	;;#ASMSTART
	v_cvt_f32_f16 v178, v3;
	;;#ASMEND
	;;#ASMSTART
	v_cvt_f32_f16 v179, v2;
	;;#ASMEND
	flat_load_b128 v[0:3], v[0:1]
	s_and_saveexec_b32 s9, vcc_lo
	s_cbranch_execz .LBB117_63
; %bb.62:                               ;   in Loop: Header=BB117_38 Depth=1
	v_cmp_lt_i32_e64 s0, v135, v80
	s_waitcnt vmcnt(0) lgkmcnt(0)
	v_lshrrev_b32_e32 v180, 16, v3
	v_lshrrev_b32_e32 v181, 16, v2
	;; [unrolled: 1-line block ×4, first 2 shown]
	v_cndmask_b32_e64 v3, 0, v3, s0
	v_cmp_lt_i32_e64 s0, v134, v81
	s_delay_alu instid0(VALU_DEP_1) | instskip(SKIP_1) | instid1(VALU_DEP_2)
	v_cndmask_b32_e64 v180, 0, v180, s0
	v_cmp_lt_i32_e64 s0, v133, v71
	v_perm_b32 v3, v180, v3, 0x5040100
	s_delay_alu instid0(VALU_DEP_2) | instskip(SKIP_1) | instid1(VALU_DEP_1)
	v_cndmask_b32_e64 v181, 0, v181, s0
	v_cmp_lt_i32_e64 s0, v132, v70
	v_cndmask_b32_e64 v2, 0, v2, s0
	v_cmp_lt_i32_e64 s0, v131, v69
	s_delay_alu instid0(VALU_DEP_2) | instskip(NEXT) | instid1(VALU_DEP_2)
	v_perm_b32 v2, v181, v2, 0x5040100
	v_cndmask_b32_e64 v182, 0, v182, s0
	v_cmp_lt_i32_e64 s0, v130, v68
	s_delay_alu instid0(VALU_DEP_1) | instskip(SKIP_1) | instid1(VALU_DEP_2)
	v_cndmask_b32_e64 v1, 0, v1, s0
	v_cmp_lt_i32_e64 s0, v129, v67
	v_perm_b32 v1, v182, v1, 0x5040100
	s_delay_alu instid0(VALU_DEP_2) | instskip(SKIP_1) | instid1(VALU_DEP_1)
	v_cndmask_b32_e64 v183, 0, v183, s0
	v_cmp_lt_i32_e64 s0, v128, v46
	v_cndmask_b32_e64 v0, 0, v0, s0
	s_delay_alu instid0(VALU_DEP_1)
	v_perm_b32 v0, v183, v0, 0x5040100
.LBB117_63:                             ;   in Loop: Header=BB117_38 Depth=1
	s_or_b32 exec_lo, exec_lo, s9
	s_waitcnt vmcnt(0) lgkmcnt(0)
	;;#ASMSTART
	v_pk_mul_f16 v0, v119, v0;

	;;#ASMEND
	;;#ASMSTART
	v_pk_mul_f16 v1, v118, v1;

	;;#ASMEND
	;; [unrolled: 4-line block ×4, first 2 shown]
	;;#ASMSTART
	v_pk_add_f16 v0, v0, v1;

	;;#ASMEND
	;;#ASMSTART
	v_pk_add_f16 v0, v0, v2;

	;;#ASMEND
	;;#ASMSTART
	v_pk_add_f16 v0, v0, v3;

	;;#ASMEND
	v_lshrrev_b32_e32 v2, 16, v0
	v_and_b32_e32 v3, 0xffff, v0
	v_add_co_u32 v0, s0, v144, v86
	s_delay_alu instid0(VALU_DEP_1)
	v_add_co_ci_u32_e64 v1, s0, 0, v145, s0
	;;#ASMSTART
	v_cvt_f32_f16 v180, v3;
	;;#ASMEND
	;;#ASMSTART
	v_cvt_f32_f16 v181, v2;
	;;#ASMEND
	flat_load_b128 v[0:3], v[0:1]
	s_and_saveexec_b32 s9, vcc_lo
	s_cbranch_execz .LBB117_65
; %bb.64:                               ;   in Loop: Header=BB117_38 Depth=1
	v_cmp_lt_i32_e64 s0, v135, v80
	s_waitcnt vmcnt(0) lgkmcnt(0)
	v_lshrrev_b32_e32 v182, 16, v3
	v_lshrrev_b32_e32 v183, 16, v2
	;; [unrolled: 1-line block ×4, first 2 shown]
	v_cndmask_b32_e64 v3, 0, v3, s0
	v_cmp_lt_i32_e64 s0, v134, v81
	s_delay_alu instid0(VALU_DEP_1) | instskip(SKIP_1) | instid1(VALU_DEP_2)
	v_cndmask_b32_e64 v182, 0, v182, s0
	v_cmp_lt_i32_e64 s0, v133, v71
	v_perm_b32 v3, v182, v3, 0x5040100
	s_delay_alu instid0(VALU_DEP_2) | instskip(SKIP_1) | instid1(VALU_DEP_1)
	v_cndmask_b32_e64 v183, 0, v183, s0
	v_cmp_lt_i32_e64 s0, v132, v70
	v_cndmask_b32_e64 v2, 0, v2, s0
	v_cmp_lt_i32_e64 s0, v131, v69
	s_delay_alu instid0(VALU_DEP_2) | instskip(NEXT) | instid1(VALU_DEP_2)
	v_perm_b32 v2, v183, v2, 0x5040100
	v_cndmask_b32_e64 v40, 0, v40, s0
	v_cmp_lt_i32_e64 s0, v130, v68
	s_delay_alu instid0(VALU_DEP_1) | instskip(SKIP_1) | instid1(VALU_DEP_2)
	v_cndmask_b32_e64 v1, 0, v1, s0
	v_cmp_lt_i32_e64 s0, v129, v67
	v_perm_b32 v1, v40, v1, 0x5040100
	s_delay_alu instid0(VALU_DEP_2) | instskip(SKIP_1) | instid1(VALU_DEP_1)
	v_cndmask_b32_e64 v41, 0, v41, s0
	v_cmp_lt_i32_e64 s0, v128, v46
	v_cndmask_b32_e64 v0, 0, v0, s0
	s_delay_alu instid0(VALU_DEP_1)
	v_perm_b32 v0, v41, v0, 0x5040100
.LBB117_65:                             ;   in Loop: Header=BB117_38 Depth=1
	s_or_b32 exec_lo, exec_lo, s9
	s_waitcnt vmcnt(0) lgkmcnt(0)
	;;#ASMSTART
	v_pk_mul_f16 v0, v119, v0;

	;;#ASMEND
	;;#ASMSTART
	v_pk_mul_f16 v1, v118, v1;

	;;#ASMEND
	;; [unrolled: 4-line block ×4, first 2 shown]
	;;#ASMSTART
	v_pk_add_f16 v0, v0, v1;

	;;#ASMEND
	;;#ASMSTART
	v_pk_add_f16 v0, v0, v2;

	;;#ASMEND
	;; [unrolled: 4-line block ×3, first 2 shown]
	v_lshrrev_b32_e32 v2, 16, v0
	v_and_b32_e32 v3, 0xffff, v0
	v_add_co_u32 v0, s0, v144, v87
	s_delay_alu instid0(VALU_DEP_1)
	v_add_co_ci_u32_e64 v1, s0, 0, v145, s0
	;;#ASMSTART
	v_cvt_f32_f16 v182, v3;
	;;#ASMEND
	;;#ASMSTART
	v_cvt_f32_f16 v183, v2;
	;;#ASMEND
	flat_load_b128 v[0:3], v[0:1]
	s_and_saveexec_b32 s9, vcc_lo
	s_cbranch_execz .LBB117_67
; %bb.66:                               ;   in Loop: Header=BB117_38 Depth=1
	v_cmp_lt_i32_e64 s0, v135, v80
	s_waitcnt vmcnt(0) lgkmcnt(0)
	v_lshrrev_b32_e32 v40, 16, v3
	v_lshrrev_b32_e32 v41, 16, v2
	;; [unrolled: 1-line block ×4, first 2 shown]
	v_cndmask_b32_e64 v3, 0, v3, s0
	v_cmp_lt_i32_e64 s0, v134, v81
	s_delay_alu instid0(VALU_DEP_1) | instskip(SKIP_1) | instid1(VALU_DEP_2)
	v_cndmask_b32_e64 v40, 0, v40, s0
	v_cmp_lt_i32_e64 s0, v133, v71
	v_perm_b32 v3, v40, v3, 0x5040100
	s_delay_alu instid0(VALU_DEP_2) | instskip(SKIP_1) | instid1(VALU_DEP_1)
	v_cndmask_b32_e64 v41, 0, v41, s0
	v_cmp_lt_i32_e64 s0, v132, v70
	v_cndmask_b32_e64 v2, 0, v2, s0
	v_cmp_lt_i32_e64 s0, v131, v69
	s_delay_alu instid0(VALU_DEP_2) | instskip(NEXT) | instid1(VALU_DEP_2)
	v_perm_b32 v2, v41, v2, 0x5040100
	v_cndmask_b32_e64 v42, 0, v42, s0
	v_cmp_lt_i32_e64 s0, v130, v68
	s_delay_alu instid0(VALU_DEP_1) | instskip(SKIP_1) | instid1(VALU_DEP_2)
	v_cndmask_b32_e64 v1, 0, v1, s0
	v_cmp_lt_i32_e64 s0, v129, v67
	v_perm_b32 v1, v42, v1, 0x5040100
	s_delay_alu instid0(VALU_DEP_2) | instskip(SKIP_1) | instid1(VALU_DEP_1)
	v_cndmask_b32_e64 v43, 0, v43, s0
	v_cmp_lt_i32_e64 s0, v128, v46
	v_cndmask_b32_e64 v0, 0, v0, s0
	s_delay_alu instid0(VALU_DEP_1)
	v_perm_b32 v0, v43, v0, 0x5040100
.LBB117_67:                             ;   in Loop: Header=BB117_38 Depth=1
	s_or_b32 exec_lo, exec_lo, s9
	s_waitcnt vmcnt(0) lgkmcnt(0)
	;;#ASMSTART
	v_pk_mul_f16 v0, v119, v0;

	;;#ASMEND
	;;#ASMSTART
	v_pk_mul_f16 v1, v118, v1;

	;;#ASMEND
	;; [unrolled: 4-line block ×4, first 2 shown]
	;;#ASMSTART
	v_pk_add_f16 v0, v0, v1;

	;;#ASMEND
	;;#ASMSTART
	v_pk_add_f16 v0, v0, v2;

	;;#ASMEND
	;; [unrolled: 4-line block ×3, first 2 shown]
	v_lshrrev_b32_e32 v2, 16, v0
	v_and_b32_e32 v3, 0xffff, v0
	v_add_co_u32 v0, s0, v144, v96
	s_delay_alu instid0(VALU_DEP_1)
	v_add_co_ci_u32_e64 v1, s0, 0, v145, s0
	;;#ASMSTART
	v_cvt_f32_f16 v40, v3;
	;;#ASMEND
	;;#ASMSTART
	v_cvt_f32_f16 v41, v2;
	;;#ASMEND
	flat_load_b128 v[0:3], v[0:1]
	s_and_saveexec_b32 s9, vcc_lo
	s_cbranch_execz .LBB117_69
; %bb.68:                               ;   in Loop: Header=BB117_38 Depth=1
	v_cmp_lt_i32_e64 s0, v135, v80
	s_waitcnt vmcnt(0) lgkmcnt(0)
	v_lshrrev_b32_e32 v42, 16, v3
	v_lshrrev_b32_e32 v43, 16, v2
	;; [unrolled: 1-line block ×4, first 2 shown]
	v_cndmask_b32_e64 v3, 0, v3, s0
	v_cmp_lt_i32_e64 s0, v134, v81
	s_delay_alu instid0(VALU_DEP_1) | instskip(SKIP_1) | instid1(VALU_DEP_2)
	v_cndmask_b32_e64 v42, 0, v42, s0
	v_cmp_lt_i32_e64 s0, v133, v71
	v_perm_b32 v3, v42, v3, 0x5040100
	s_delay_alu instid0(VALU_DEP_2) | instskip(SKIP_1) | instid1(VALU_DEP_1)
	v_cndmask_b32_e64 v43, 0, v43, s0
	v_cmp_lt_i32_e64 s0, v132, v70
	v_cndmask_b32_e64 v2, 0, v2, s0
	v_cmp_lt_i32_e64 s0, v131, v69
	s_delay_alu instid0(VALU_DEP_2) | instskip(NEXT) | instid1(VALU_DEP_2)
	v_perm_b32 v2, v43, v2, 0x5040100
	v_cndmask_b32_e64 v44, 0, v44, s0
	v_cmp_lt_i32_e64 s0, v130, v68
	s_delay_alu instid0(VALU_DEP_1) | instskip(SKIP_1) | instid1(VALU_DEP_2)
	v_cndmask_b32_e64 v1, 0, v1, s0
	v_cmp_lt_i32_e64 s0, v129, v67
	v_perm_b32 v1, v44, v1, 0x5040100
	s_delay_alu instid0(VALU_DEP_2) | instskip(SKIP_1) | instid1(VALU_DEP_1)
	v_cndmask_b32_e64 v60, 0, v60, s0
	v_cmp_lt_i32_e64 s0, v128, v46
	v_cndmask_b32_e64 v0, 0, v0, s0
	s_delay_alu instid0(VALU_DEP_1)
	v_perm_b32 v0, v60, v0, 0x5040100
.LBB117_69:                             ;   in Loop: Header=BB117_38 Depth=1
	s_or_b32 exec_lo, exec_lo, s9
	s_waitcnt vmcnt(0) lgkmcnt(0)
	;;#ASMSTART
	v_pk_mul_f16 v0, v119, v0;

	;;#ASMEND
	;;#ASMSTART
	v_pk_mul_f16 v1, v118, v1;

	;;#ASMEND
	;; [unrolled: 4-line block ×4, first 2 shown]
	;;#ASMSTART
	v_pk_add_f16 v0, v0, v1;

	;;#ASMEND
	;;#ASMSTART
	v_pk_add_f16 v0, v0, v2;

	;;#ASMEND
	;; [unrolled: 4-line block ×3, first 2 shown]
	v_lshrrev_b32_e32 v2, 16, v0
	v_and_b32_e32 v3, 0xffff, v0
	v_add_co_u32 v0, s0, v144, v97
	s_delay_alu instid0(VALU_DEP_1)
	v_add_co_ci_u32_e64 v1, s0, 0, v145, s0
	;;#ASMSTART
	v_cvt_f32_f16 v42, v3;
	;;#ASMEND
	;;#ASMSTART
	v_cvt_f32_f16 v43, v2;
	;;#ASMEND
	flat_load_b128 v[0:3], v[0:1]
	s_and_saveexec_b32 s9, vcc_lo
	s_cbranch_execz .LBB117_71
; %bb.70:                               ;   in Loop: Header=BB117_38 Depth=1
	v_cmp_lt_i32_e64 s0, v135, v80
	s_waitcnt vmcnt(0) lgkmcnt(0)
	v_lshrrev_b32_e32 v44, 16, v3
	v_lshrrev_b32_e32 v60, 16, v2
	;; [unrolled: 1-line block ×4, first 2 shown]
	v_cndmask_b32_e64 v3, 0, v3, s0
	v_cmp_lt_i32_e64 s0, v134, v81
	s_delay_alu instid0(VALU_DEP_1) | instskip(SKIP_1) | instid1(VALU_DEP_2)
	v_cndmask_b32_e64 v44, 0, v44, s0
	v_cmp_lt_i32_e64 s0, v133, v71
	v_perm_b32 v3, v44, v3, 0x5040100
	s_delay_alu instid0(VALU_DEP_2) | instskip(SKIP_1) | instid1(VALU_DEP_1)
	v_cndmask_b32_e64 v60, 0, v60, s0
	v_cmp_lt_i32_e64 s0, v132, v70
	v_cndmask_b32_e64 v2, 0, v2, s0
	v_cmp_lt_i32_e64 s0, v131, v69
	s_delay_alu instid0(VALU_DEP_2) | instskip(NEXT) | instid1(VALU_DEP_2)
	v_perm_b32 v2, v60, v2, 0x5040100
	v_cndmask_b32_e64 v61, 0, v61, s0
	v_cmp_lt_i32_e64 s0, v130, v68
	s_delay_alu instid0(VALU_DEP_1) | instskip(SKIP_1) | instid1(VALU_DEP_2)
	v_cndmask_b32_e64 v1, 0, v1, s0
	v_cmp_lt_i32_e64 s0, v129, v67
	v_perm_b32 v1, v61, v1, 0x5040100
	s_delay_alu instid0(VALU_DEP_2) | instskip(SKIP_1) | instid1(VALU_DEP_1)
	v_cndmask_b32_e64 v62, 0, v62, s0
	v_cmp_lt_i32_e64 s0, v128, v46
	v_cndmask_b32_e64 v0, 0, v0, s0
	s_delay_alu instid0(VALU_DEP_1)
	v_perm_b32 v0, v62, v0, 0x5040100
.LBB117_71:                             ;   in Loop: Header=BB117_38 Depth=1
	s_or_b32 exec_lo, exec_lo, s9
	s_waitcnt vmcnt(0) lgkmcnt(0)
	;;#ASMSTART
	v_pk_mul_f16 v0, v119, v0;

	;;#ASMEND
	;;#ASMSTART
	v_pk_mul_f16 v1, v118, v1;

	;;#ASMEND
	;; [unrolled: 4-line block ×4, first 2 shown]
	;;#ASMSTART
	v_pk_add_f16 v0, v0, v1;

	;;#ASMEND
	;;#ASMSTART
	v_pk_add_f16 v0, v0, v2;

	;;#ASMEND
	;; [unrolled: 4-line block ×3, first 2 shown]
	v_lshrrev_b32_e32 v2, 16, v0
	v_and_b32_e32 v3, 0xffff, v0
	v_add_co_u32 v0, s0, v144, v98
	s_delay_alu instid0(VALU_DEP_1)
	v_add_co_ci_u32_e64 v1, s0, 0, v145, s0
	;;#ASMSTART
	v_cvt_f32_f16 v44, v3;
	;;#ASMEND
	;;#ASMSTART
	v_cvt_f32_f16 v60, v2;
	;;#ASMEND
	flat_load_b128 v[0:3], v[0:1]
	s_and_saveexec_b32 s9, vcc_lo
	s_cbranch_execz .LBB117_73
; %bb.72:                               ;   in Loop: Header=BB117_38 Depth=1
	v_cmp_lt_i32_e64 s0, v135, v80
	s_waitcnt vmcnt(0) lgkmcnt(0)
	v_lshrrev_b32_e32 v61, 16, v3
	v_lshrrev_b32_e32 v62, 16, v2
	v_lshrrev_b32_e32 v63, 16, v1
	v_lshrrev_b32_e32 v72, 16, v0
	v_cndmask_b32_e64 v3, 0, v3, s0
	v_cmp_lt_i32_e64 s0, v134, v81
	s_delay_alu instid0(VALU_DEP_1) | instskip(SKIP_1) | instid1(VALU_DEP_2)
	v_cndmask_b32_e64 v61, 0, v61, s0
	v_cmp_lt_i32_e64 s0, v133, v71
	v_perm_b32 v3, v61, v3, 0x5040100
	s_delay_alu instid0(VALU_DEP_2) | instskip(SKIP_1) | instid1(VALU_DEP_1)
	v_cndmask_b32_e64 v62, 0, v62, s0
	v_cmp_lt_i32_e64 s0, v132, v70
	v_cndmask_b32_e64 v2, 0, v2, s0
	v_cmp_lt_i32_e64 s0, v131, v69
	s_delay_alu instid0(VALU_DEP_2) | instskip(NEXT) | instid1(VALU_DEP_2)
	v_perm_b32 v2, v62, v2, 0x5040100
	v_cndmask_b32_e64 v63, 0, v63, s0
	v_cmp_lt_i32_e64 s0, v130, v68
	s_delay_alu instid0(VALU_DEP_1) | instskip(SKIP_1) | instid1(VALU_DEP_2)
	v_cndmask_b32_e64 v1, 0, v1, s0
	v_cmp_lt_i32_e64 s0, v129, v67
	v_perm_b32 v1, v63, v1, 0x5040100
	s_delay_alu instid0(VALU_DEP_2) | instskip(SKIP_1) | instid1(VALU_DEP_1)
	v_cndmask_b32_e64 v72, 0, v72, s0
	v_cmp_lt_i32_e64 s0, v128, v46
	v_cndmask_b32_e64 v0, 0, v0, s0
	s_delay_alu instid0(VALU_DEP_1)
	v_perm_b32 v0, v72, v0, 0x5040100
.LBB117_73:                             ;   in Loop: Header=BB117_38 Depth=1
	s_or_b32 exec_lo, exec_lo, s9
	s_waitcnt vmcnt(0) lgkmcnt(0)
	;;#ASMSTART
	v_pk_mul_f16 v0, v119, v0;

	;;#ASMEND
	;;#ASMSTART
	v_pk_mul_f16 v1, v118, v1;

	;;#ASMEND
	;; [unrolled: 4-line block ×4, first 2 shown]
	;;#ASMSTART
	v_pk_add_f16 v0, v0, v1;

	;;#ASMEND
	;;#ASMSTART
	v_pk_add_f16 v0, v0, v2;

	;;#ASMEND
	;; [unrolled: 4-line block ×3, first 2 shown]
	v_lshrrev_b32_e32 v2, 16, v0
	v_and_b32_e32 v3, 0xffff, v0
	v_add_co_u32 v0, s0, v144, v99
	s_delay_alu instid0(VALU_DEP_1)
	v_add_co_ci_u32_e64 v1, s0, 0, v145, s0
	;;#ASMSTART
	v_cvt_f32_f16 v61, v3;
	;;#ASMEND
	;;#ASMSTART
	v_cvt_f32_f16 v62, v2;
	;;#ASMEND
	flat_load_b128 v[0:3], v[0:1]
	s_and_saveexec_b32 s9, vcc_lo
	s_cbranch_execz .LBB117_75
; %bb.74:                               ;   in Loop: Header=BB117_38 Depth=1
	v_cmp_lt_i32_e64 s0, v135, v80
	s_waitcnt vmcnt(0) lgkmcnt(0)
	v_lshrrev_b32_e32 v63, 16, v3
	v_lshrrev_b32_e32 v72, 16, v2
	;; [unrolled: 1-line block ×4, first 2 shown]
	v_cndmask_b32_e64 v3, 0, v3, s0
	v_cmp_lt_i32_e64 s0, v134, v81
	s_delay_alu instid0(VALU_DEP_1) | instskip(SKIP_1) | instid1(VALU_DEP_2)
	v_cndmask_b32_e64 v63, 0, v63, s0
	v_cmp_lt_i32_e64 s0, v133, v71
	v_perm_b32 v3, v63, v3, 0x5040100
	s_delay_alu instid0(VALU_DEP_2) | instskip(SKIP_1) | instid1(VALU_DEP_1)
	v_cndmask_b32_e64 v72, 0, v72, s0
	v_cmp_lt_i32_e64 s0, v132, v70
	v_cndmask_b32_e64 v2, 0, v2, s0
	v_cmp_lt_i32_e64 s0, v131, v69
	s_delay_alu instid0(VALU_DEP_2) | instskip(NEXT) | instid1(VALU_DEP_2)
	v_perm_b32 v2, v72, v2, 0x5040100
	v_cndmask_b32_e64 v73, 0, v73, s0
	v_cmp_lt_i32_e64 s0, v130, v68
	s_delay_alu instid0(VALU_DEP_1) | instskip(SKIP_1) | instid1(VALU_DEP_2)
	v_cndmask_b32_e64 v1, 0, v1, s0
	v_cmp_lt_i32_e64 s0, v129, v67
	v_perm_b32 v1, v73, v1, 0x5040100
	s_delay_alu instid0(VALU_DEP_2) | instskip(SKIP_1) | instid1(VALU_DEP_1)
	v_cndmask_b32_e64 v74, 0, v74, s0
	v_cmp_lt_i32_e64 s0, v128, v46
	v_cndmask_b32_e64 v0, 0, v0, s0
	s_delay_alu instid0(VALU_DEP_1)
	v_perm_b32 v0, v74, v0, 0x5040100
.LBB117_75:                             ;   in Loop: Header=BB117_38 Depth=1
	s_or_b32 exec_lo, exec_lo, s9
	s_waitcnt vmcnt(0) lgkmcnt(0)
	;;#ASMSTART
	v_pk_mul_f16 v0, v119, v0;

	;;#ASMEND
	;;#ASMSTART
	v_pk_mul_f16 v1, v118, v1;

	;;#ASMEND
	;; [unrolled: 4-line block ×4, first 2 shown]
	;;#ASMSTART
	v_pk_add_f16 v0, v0, v1;

	;;#ASMEND
	;;#ASMSTART
	v_pk_add_f16 v0, v0, v2;

	;;#ASMEND
	;; [unrolled: 4-line block ×3, first 2 shown]
	v_lshrrev_b32_e32 v2, 16, v0
	v_and_b32_e32 v3, 0xffff, v0
	v_add_co_u32 v0, s0, v144, v100
	s_delay_alu instid0(VALU_DEP_1)
	v_add_co_ci_u32_e64 v1, s0, 0, v145, s0
	;;#ASMSTART
	v_cvt_f32_f16 v63, v3;
	;;#ASMEND
	;;#ASMSTART
	v_cvt_f32_f16 v72, v2;
	;;#ASMEND
	flat_load_b128 v[0:3], v[0:1]
	s_and_saveexec_b32 s9, vcc_lo
	s_cbranch_execz .LBB117_77
; %bb.76:                               ;   in Loop: Header=BB117_38 Depth=1
	v_cmp_lt_i32_e64 s0, v135, v80
	s_waitcnt vmcnt(0) lgkmcnt(0)
	v_lshrrev_b32_e32 v73, 16, v3
	v_lshrrev_b32_e32 v74, 16, v2
	;; [unrolled: 1-line block ×4, first 2 shown]
	v_cndmask_b32_e64 v3, 0, v3, s0
	v_cmp_lt_i32_e64 s0, v134, v81
	s_delay_alu instid0(VALU_DEP_1) | instskip(SKIP_1) | instid1(VALU_DEP_2)
	v_cndmask_b32_e64 v73, 0, v73, s0
	v_cmp_lt_i32_e64 s0, v133, v71
	v_perm_b32 v3, v73, v3, 0x5040100
	s_delay_alu instid0(VALU_DEP_2) | instskip(SKIP_1) | instid1(VALU_DEP_1)
	v_cndmask_b32_e64 v74, 0, v74, s0
	v_cmp_lt_i32_e64 s0, v132, v70
	v_cndmask_b32_e64 v2, 0, v2, s0
	v_cmp_lt_i32_e64 s0, v131, v69
	s_delay_alu instid0(VALU_DEP_2) | instskip(NEXT) | instid1(VALU_DEP_2)
	v_perm_b32 v2, v74, v2, 0x5040100
	v_cndmask_b32_e64 v75, 0, v75, s0
	v_cmp_lt_i32_e64 s0, v130, v68
	s_delay_alu instid0(VALU_DEP_1) | instskip(SKIP_1) | instid1(VALU_DEP_2)
	v_cndmask_b32_e64 v1, 0, v1, s0
	v_cmp_lt_i32_e64 s0, v129, v67
	v_perm_b32 v1, v75, v1, 0x5040100
	s_delay_alu instid0(VALU_DEP_2) | instskip(SKIP_1) | instid1(VALU_DEP_1)
	v_cndmask_b32_e64 v76, 0, v76, s0
	v_cmp_lt_i32_e64 s0, v128, v46
	v_cndmask_b32_e64 v0, 0, v0, s0
	s_delay_alu instid0(VALU_DEP_1)
	v_perm_b32 v0, v76, v0, 0x5040100
.LBB117_77:                             ;   in Loop: Header=BB117_38 Depth=1
	s_or_b32 exec_lo, exec_lo, s9
	s_waitcnt vmcnt(0) lgkmcnt(0)
	;;#ASMSTART
	v_pk_mul_f16 v0, v119, v0;

	;;#ASMEND
	;;#ASMSTART
	v_pk_mul_f16 v1, v118, v1;

	;;#ASMEND
	;; [unrolled: 4-line block ×4, first 2 shown]
	;;#ASMSTART
	v_pk_add_f16 v0, v0, v1;

	;;#ASMEND
	;;#ASMSTART
	v_pk_add_f16 v0, v0, v2;

	;;#ASMEND
	;; [unrolled: 4-line block ×3, first 2 shown]
	v_lshrrev_b32_e32 v2, 16, v0
	v_and_b32_e32 v3, 0xffff, v0
	v_add_co_u32 v0, s0, v144, v101
	s_delay_alu instid0(VALU_DEP_1)
	v_add_co_ci_u32_e64 v1, s0, 0, v145, s0
	;;#ASMSTART
	v_cvt_f32_f16 v73, v3;
	;;#ASMEND
	;;#ASMSTART
	v_cvt_f32_f16 v74, v2;
	;;#ASMEND
	flat_load_b128 v[0:3], v[0:1]
	s_and_saveexec_b32 s9, vcc_lo
	s_cbranch_execz .LBB117_79
; %bb.78:                               ;   in Loop: Header=BB117_38 Depth=1
	v_cmp_lt_i32_e64 s0, v135, v80
	s_waitcnt vmcnt(0) lgkmcnt(0)
	v_lshrrev_b32_e32 v75, 16, v3
	v_lshrrev_b32_e32 v76, 16, v2
	;; [unrolled: 1-line block ×4, first 2 shown]
	v_cndmask_b32_e64 v3, 0, v3, s0
	v_cmp_lt_i32_e64 s0, v134, v81
	s_delay_alu instid0(VALU_DEP_1) | instskip(SKIP_1) | instid1(VALU_DEP_2)
	v_cndmask_b32_e64 v75, 0, v75, s0
	v_cmp_lt_i32_e64 s0, v133, v71
	v_perm_b32 v3, v75, v3, 0x5040100
	s_delay_alu instid0(VALU_DEP_2) | instskip(SKIP_1) | instid1(VALU_DEP_1)
	v_cndmask_b32_e64 v76, 0, v76, s0
	v_cmp_lt_i32_e64 s0, v132, v70
	v_cndmask_b32_e64 v2, 0, v2, s0
	v_cmp_lt_i32_e64 s0, v131, v69
	s_delay_alu instid0(VALU_DEP_2) | instskip(NEXT) | instid1(VALU_DEP_2)
	v_perm_b32 v2, v76, v2, 0x5040100
	v_cndmask_b32_e64 v77, 0, v77, s0
	v_cmp_lt_i32_e64 s0, v130, v68
	s_delay_alu instid0(VALU_DEP_1) | instskip(SKIP_1) | instid1(VALU_DEP_2)
	v_cndmask_b32_e64 v1, 0, v1, s0
	v_cmp_lt_i32_e64 s0, v129, v67
	v_perm_b32 v1, v77, v1, 0x5040100
	s_delay_alu instid0(VALU_DEP_2) | instskip(SKIP_1) | instid1(VALU_DEP_1)
	v_cndmask_b32_e64 v78, 0, v78, s0
	v_cmp_lt_i32_e64 s0, v128, v46
	v_cndmask_b32_e64 v0, 0, v0, s0
	s_delay_alu instid0(VALU_DEP_1)
	v_perm_b32 v0, v78, v0, 0x5040100
.LBB117_79:                             ;   in Loop: Header=BB117_38 Depth=1
	s_or_b32 exec_lo, exec_lo, s9
	s_waitcnt vmcnt(0) lgkmcnt(0)
	;;#ASMSTART
	v_pk_mul_f16 v0, v119, v0;

	;;#ASMEND
	;;#ASMSTART
	v_pk_mul_f16 v1, v118, v1;

	;;#ASMEND
	;;#ASMSTART
	v_pk_mul_f16 v2, v117, v2;

	;;#ASMEND
	;;#ASMSTART
	v_pk_mul_f16 v3, v115, v3;

	;;#ASMEND
	;;#ASMSTART
	v_pk_add_f16 v0, v0, v1;

	;;#ASMEND
	;;#ASMSTART
	v_pk_add_f16 v0, v0, v2;

	;;#ASMEND
	;; [unrolled: 4-line block ×3, first 2 shown]
	v_lshrrev_b32_e32 v2, 16, v0
	v_and_b32_e32 v3, 0xffff, v0
	v_add_co_u32 v0, s0, v144, v102
	s_delay_alu instid0(VALU_DEP_1)
	v_add_co_ci_u32_e64 v1, s0, 0, v145, s0
	;;#ASMSTART
	v_cvt_f32_f16 v75, v3;
	;;#ASMEND
	;;#ASMSTART
	v_cvt_f32_f16 v76, v2;
	;;#ASMEND
	flat_load_b128 v[0:3], v[0:1]
	s_and_saveexec_b32 s9, vcc_lo
	s_cbranch_execz .LBB117_81
; %bb.80:                               ;   in Loop: Header=BB117_38 Depth=1
	v_cmp_lt_i32_e64 s0, v135, v80
	s_waitcnt vmcnt(0) lgkmcnt(0)
	v_lshrrev_b32_e32 v77, 16, v3
	v_lshrrev_b32_e32 v78, 16, v2
	;; [unrolled: 1-line block ×4, first 2 shown]
	v_cndmask_b32_e64 v3, 0, v3, s0
	v_cmp_lt_i32_e64 s0, v134, v81
	s_delay_alu instid0(VALU_DEP_1) | instskip(SKIP_1) | instid1(VALU_DEP_2)
	v_cndmask_b32_e64 v77, 0, v77, s0
	v_cmp_lt_i32_e64 s0, v133, v71
	v_perm_b32 v3, v77, v3, 0x5040100
	s_delay_alu instid0(VALU_DEP_2) | instskip(SKIP_1) | instid1(VALU_DEP_1)
	v_cndmask_b32_e64 v78, 0, v78, s0
	v_cmp_lt_i32_e64 s0, v132, v70
	v_cndmask_b32_e64 v2, 0, v2, s0
	v_cmp_lt_i32_e64 s0, v131, v69
	s_delay_alu instid0(VALU_DEP_2) | instskip(NEXT) | instid1(VALU_DEP_2)
	v_perm_b32 v2, v78, v2, 0x5040100
	v_cndmask_b32_e64 v79, 0, v79, s0
	v_cmp_lt_i32_e64 s0, v130, v68
	s_delay_alu instid0(VALU_DEP_1) | instskip(SKIP_1) | instid1(VALU_DEP_2)
	v_cndmask_b32_e64 v1, 0, v1, s0
	v_cmp_lt_i32_e64 s0, v129, v67
	v_perm_b32 v1, v79, v1, 0x5040100
	s_delay_alu instid0(VALU_DEP_2) | instskip(SKIP_1) | instid1(VALU_DEP_1)
	v_cndmask_b32_e64 v88, 0, v88, s0
	v_cmp_lt_i32_e64 s0, v128, v46
	v_cndmask_b32_e64 v0, 0, v0, s0
	s_delay_alu instid0(VALU_DEP_1)
	v_perm_b32 v0, v88, v0, 0x5040100
.LBB117_81:                             ;   in Loop: Header=BB117_38 Depth=1
	s_or_b32 exec_lo, exec_lo, s9
	s_waitcnt vmcnt(0) lgkmcnt(0)
	;;#ASMSTART
	v_pk_mul_f16 v0, v119, v0;

	;;#ASMEND
	;;#ASMSTART
	v_pk_mul_f16 v1, v118, v1;

	;;#ASMEND
	;; [unrolled: 4-line block ×4, first 2 shown]
	;;#ASMSTART
	v_pk_add_f16 v0, v0, v1;

	;;#ASMEND
	;;#ASMSTART
	v_pk_add_f16 v0, v0, v2;

	;;#ASMEND
	;; [unrolled: 4-line block ×3, first 2 shown]
	v_lshrrev_b32_e32 v2, 16, v0
	v_and_b32_e32 v3, 0xffff, v0
	v_add_co_u32 v0, s0, v144, v103
	s_delay_alu instid0(VALU_DEP_1)
	v_add_co_ci_u32_e64 v1, s0, 0, v145, s0
	;;#ASMSTART
	v_cvt_f32_f16 v77, v3;
	;;#ASMEND
	;;#ASMSTART
	v_cvt_f32_f16 v78, v2;
	;;#ASMEND
	flat_load_b128 v[0:3], v[0:1]
	s_and_saveexec_b32 s9, vcc_lo
	s_cbranch_execz .LBB117_83
; %bb.82:                               ;   in Loop: Header=BB117_38 Depth=1
	v_cmp_lt_i32_e64 s0, v135, v80
	s_waitcnt vmcnt(0) lgkmcnt(0)
	v_lshrrev_b32_e32 v79, 16, v3
	v_lshrrev_b32_e32 v88, 16, v2
	;; [unrolled: 1-line block ×4, first 2 shown]
	v_cndmask_b32_e64 v3, 0, v3, s0
	v_cmp_lt_i32_e64 s0, v134, v81
	s_delay_alu instid0(VALU_DEP_1) | instskip(SKIP_1) | instid1(VALU_DEP_2)
	v_cndmask_b32_e64 v79, 0, v79, s0
	v_cmp_lt_i32_e64 s0, v133, v71
	v_perm_b32 v3, v79, v3, 0x5040100
	s_delay_alu instid0(VALU_DEP_2) | instskip(SKIP_1) | instid1(VALU_DEP_1)
	v_cndmask_b32_e64 v88, 0, v88, s0
	v_cmp_lt_i32_e64 s0, v132, v70
	v_cndmask_b32_e64 v2, 0, v2, s0
	v_cmp_lt_i32_e64 s0, v131, v69
	s_delay_alu instid0(VALU_DEP_2) | instskip(NEXT) | instid1(VALU_DEP_2)
	v_perm_b32 v2, v88, v2, 0x5040100
	v_cndmask_b32_e64 v89, 0, v89, s0
	v_cmp_lt_i32_e64 s0, v130, v68
	s_delay_alu instid0(VALU_DEP_1) | instskip(SKIP_1) | instid1(VALU_DEP_2)
	v_cndmask_b32_e64 v1, 0, v1, s0
	v_cmp_lt_i32_e64 s0, v129, v67
	v_perm_b32 v1, v89, v1, 0x5040100
	s_delay_alu instid0(VALU_DEP_2) | instskip(SKIP_1) | instid1(VALU_DEP_1)
	v_cndmask_b32_e64 v90, 0, v90, s0
	v_cmp_lt_i32_e64 s0, v128, v46
	v_cndmask_b32_e64 v0, 0, v0, s0
	s_delay_alu instid0(VALU_DEP_1)
	v_perm_b32 v0, v90, v0, 0x5040100
.LBB117_83:                             ;   in Loop: Header=BB117_38 Depth=1
	s_or_b32 exec_lo, exec_lo, s9
	s_waitcnt vmcnt(0) lgkmcnt(0)
	;;#ASMSTART
	v_pk_mul_f16 v0, v119, v0;

	;;#ASMEND
	;;#ASMSTART
	v_pk_mul_f16 v1, v118, v1;

	;;#ASMEND
	;; [unrolled: 4-line block ×4, first 2 shown]
	;;#ASMSTART
	v_pk_add_f16 v0, v0, v1;

	;;#ASMEND
	;;#ASMSTART
	v_pk_add_f16 v0, v0, v2;

	;;#ASMEND
	;; [unrolled: 4-line block ×3, first 2 shown]
	v_lshrrev_b32_e32 v2, 16, v0
	v_and_b32_e32 v3, 0xffff, v0
	v_add_co_u32 v0, s0, v144, v112
	s_delay_alu instid0(VALU_DEP_1)
	v_add_co_ci_u32_e64 v1, s0, 0, v145, s0
	;;#ASMSTART
	v_cvt_f32_f16 v79, v3;
	;;#ASMEND
	;;#ASMSTART
	v_cvt_f32_f16 v88, v2;
	;;#ASMEND
	flat_load_b128 v[0:3], v[0:1]
	s_and_saveexec_b32 s9, vcc_lo
	s_cbranch_execz .LBB117_85
; %bb.84:                               ;   in Loop: Header=BB117_38 Depth=1
	v_cmp_lt_i32_e64 s0, v135, v80
	s_waitcnt vmcnt(0) lgkmcnt(0)
	v_lshrrev_b32_e32 v89, 16, v3
	v_lshrrev_b32_e32 v90, 16, v2
	;; [unrolled: 1-line block ×4, first 2 shown]
	v_cndmask_b32_e64 v3, 0, v3, s0
	v_cmp_lt_i32_e64 s0, v134, v81
	s_delay_alu instid0(VALU_DEP_1) | instskip(SKIP_1) | instid1(VALU_DEP_2)
	v_cndmask_b32_e64 v89, 0, v89, s0
	v_cmp_lt_i32_e64 s0, v133, v71
	v_perm_b32 v3, v89, v3, 0x5040100
	s_delay_alu instid0(VALU_DEP_2) | instskip(SKIP_1) | instid1(VALU_DEP_1)
	v_cndmask_b32_e64 v90, 0, v90, s0
	v_cmp_lt_i32_e64 s0, v132, v70
	v_cndmask_b32_e64 v2, 0, v2, s0
	v_cmp_lt_i32_e64 s0, v131, v69
	s_delay_alu instid0(VALU_DEP_2) | instskip(NEXT) | instid1(VALU_DEP_2)
	v_perm_b32 v2, v90, v2, 0x5040100
	v_cndmask_b32_e64 v91, 0, v91, s0
	v_cmp_lt_i32_e64 s0, v130, v68
	s_delay_alu instid0(VALU_DEP_1) | instskip(SKIP_1) | instid1(VALU_DEP_2)
	v_cndmask_b32_e64 v1, 0, v1, s0
	v_cmp_lt_i32_e64 s0, v129, v67
	v_perm_b32 v1, v91, v1, 0x5040100
	s_delay_alu instid0(VALU_DEP_2) | instskip(SKIP_1) | instid1(VALU_DEP_1)
	v_cndmask_b32_e64 v92, 0, v92, s0
	v_cmp_lt_i32_e64 s0, v128, v46
	v_cndmask_b32_e64 v0, 0, v0, s0
	s_delay_alu instid0(VALU_DEP_1)
	v_perm_b32 v0, v92, v0, 0x5040100
.LBB117_85:                             ;   in Loop: Header=BB117_38 Depth=1
	s_or_b32 exec_lo, exec_lo, s9
	s_waitcnt vmcnt(0) lgkmcnt(0)
	;;#ASMSTART
	v_pk_mul_f16 v0, v119, v0;

	;;#ASMEND
	;;#ASMSTART
	v_pk_mul_f16 v1, v118, v1;

	;;#ASMEND
	;; [unrolled: 4-line block ×4, first 2 shown]
	;;#ASMSTART
	v_pk_add_f16 v0, v0, v1;

	;;#ASMEND
	;;#ASMSTART
	v_pk_add_f16 v0, v0, v2;

	;;#ASMEND
	;; [unrolled: 4-line block ×3, first 2 shown]
	v_lshrrev_b32_e32 v2, 16, v0
	v_and_b32_e32 v3, 0xffff, v0
	v_add_co_u32 v0, s0, v144, v113
	s_delay_alu instid0(VALU_DEP_1)
	v_add_co_ci_u32_e64 v1, s0, 0, v145, s0
	;;#ASMSTART
	v_cvt_f32_f16 v144, v3;
	;;#ASMEND
	;;#ASMSTART
	v_cvt_f32_f16 v145, v2;
	;;#ASMEND
	flat_load_b128 v[0:3], v[0:1]
	s_and_saveexec_b32 s0, vcc_lo
	s_cbranch_execz .LBB117_36
; %bb.86:                               ;   in Loop: Header=BB117_38 Depth=1
	v_cmp_lt_i32_e32 vcc_lo, v135, v80
	s_waitcnt vmcnt(0) lgkmcnt(0)
	v_lshrrev_b32_e32 v89, 16, v3
	v_lshrrev_b32_e32 v90, 16, v2
	;; [unrolled: 1-line block ×3, first 2 shown]
	v_cndmask_b32_e32 v3, 0, v3, vcc_lo
	v_cmp_lt_i32_e32 vcc_lo, v134, v81
	v_cndmask_b32_e32 v134, 0, v89, vcc_lo
	v_cmp_lt_i32_e32 vcc_lo, v133, v71
	s_delay_alu instid0(VALU_DEP_2)
	v_perm_b32 v3, v134, v3, 0x5040100
	v_cndmask_b32_e32 v133, 0, v90, vcc_lo
	v_cmp_lt_i32_e32 vcc_lo, v132, v70
	v_lshrrev_b32_e32 v132, 16, v0
	v_cndmask_b32_e32 v2, 0, v2, vcc_lo
	v_cmp_lt_i32_e32 vcc_lo, v131, v69
	v_cndmask_b32_e32 v131, 0, v135, vcc_lo
	v_cmp_lt_i32_e32 vcc_lo, v130, v68
	;; [unrolled: 2-line block ×3, first 2 shown]
	s_delay_alu instid0(VALU_DEP_2) | instskip(SKIP_4) | instid1(VALU_DEP_2)
	v_perm_b32 v1, v131, v1, 0x5040100
	v_cndmask_b32_e32 v129, 0, v132, vcc_lo
	v_cmp_lt_i32_e32 vcc_lo, v128, v46
	v_cndmask_b32_e32 v0, 0, v0, vcc_lo
	v_perm_b32 v2, v133, v2, 0x5040100
	v_perm_b32 v0, v129, v0, 0x5040100
	s_branch .LBB117_36
.LBB117_87:
	s_or_b32 exec_lo, exec_lo, s5
.LBB117_88:
	s_delay_alu instid0(SALU_CYCLE_1)
	s_or_b32 exec_lo, exec_lo, s3
	ds_bpermute_b32 v0, v16, v64
	ds_bpermute_b32 v2, v16, v55
	ds_bpermute_b32 v6, v16, v53
	ds_bpermute_b32 v8, v16, v51
	ds_bpermute_b32 v1, v16, v65
	ds_bpermute_b32 v3, v16, v54
	ds_bpermute_b32 v7, v16, v52
	ds_bpermute_b32 v9, v16, v50
	ds_bpermute_b32 v10, v16, v49
	ds_bpermute_b32 v11, v16, v48
	ds_bpermute_b32 v14, v16, v38
	ds_bpermute_b32 v15, v16, v37
	s_waitcnt lgkmcnt(0)
	s_waitcnt_vscnt null, 0x0
	s_barrier
	buffer_gl0_inv
	s_load_b32 s0, s[6:7], 0x0
	v_lshrrev_b32_e32 v21, 2, v21
	v_add_f32_e32 v0, v64, v0
	v_add_f32_e32 v2, v55, v2
	v_dual_add_f32 v20, v53, v6 :: v_dual_add_f32 v23, v51, v8
	v_add_f32_e32 v1, v65, v1
	v_add_f32_e32 v3, v54, v3
	ds_bpermute_b32 v6, v13, v0
	ds_bpermute_b32 v24, v13, v2
	;; [unrolled: 1-line block ×3, first 2 shown]
	v_dual_add_f32 v22, v52, v7 :: v_dual_add_f32 v9, v50, v9
	ds_bpermute_b32 v25, v13, v3
	ds_bpermute_b32 v26, v13, v20
	;; [unrolled: 1-line block ×10, first 2 shown]
	v_dual_add_f32 v10, v49, v10 :: v_dual_add_f32 v11, v48, v11
	ds_bpermute_b32 v49, v16, v30
	v_add_f32_e32 v14, v38, v14
	ds_bpermute_b32 v38, v13, v9
	s_waitcnt lgkmcnt(0)
	v_add_f32_e32 v8, v0, v6
	v_dual_add_f32 v6, v2, v24 :: v_dual_add_f32 v15, v37, v15
	ds_bpermute_b32 v24, v16, v28
	v_add_f32_e32 v0, v23, v51
	ds_bpermute_b32 v23, v16, v29
	v_dual_add_f32 v3, v3, v25 :: v_dual_add_f32 v2, v20, v26
	v_dual_add_f32 v20, v36, v52 :: v_dual_add_f32 v33, v33, v55
	ds_bpermute_b32 v25, v16, v27
	ds_bpermute_b32 v26, v16, v19
	;; [unrolled: 1-line block ×4, first 2 shown]
	v_add_f32_e32 v7, v1, v7
	v_add_f32_e32 v1, v22, v39
	ds_bpermute_b32 v39, v13, v20
	ds_bpermute_b32 v51, v13, v33
	v_add_f32_e32 v22, v35, v53
	v_add_f32_e32 v32, v32, v64
	ds_bpermute_b32 v36, v13, v14
	v_dual_add_f32 v34, v34, v54 :: v_dual_add_f32 v31, v31, v65
	s_waitcnt lgkmcnt(8)
	v_dual_add_f32 v30, v30, v49 :: v_dual_add_f32 v55, v28, v24
	s_waitcnt lgkmcnt(7)
	v_add_f32_e32 v29, v29, v23
	ds_bpermute_b32 v35, v13, v11
	ds_bpermute_b32 v37, v13, v15
	;; [unrolled: 1-line block ×4, first 2 shown]
	s_waitcnt lgkmcnt(10)
	v_add_f32_e32 v64, v27, v25
	s_waitcnt lgkmcnt(9)
	v_add_f32_e32 v65, v19, v26
	ds_bpermute_b32 v52, v13, v32
	s_waitcnt lgkmcnt(8)
	v_add_f32_e32 v27, v10, v48
	v_add_f32_e32 v66, v18, v16
	ds_bpermute_b32 v67, v13, v29
	ds_bpermute_b32 v53, v13, v31
	s_waitcnt lgkmcnt(8)
	v_add_f32_e32 v19, v33, v51
	ds_bpermute_b32 v68, v13, v55
	ds_bpermute_b32 v69, v13, v64
	ds_bpermute_b32 v70, v13, v65
	ds_bpermute_b32 v71, v13, v66
	v_add_f32_e32 v23, v20, v39
	ds_bpermute_b32 v54, v13, v30
	s_waitcnt lgkmcnt(12)
	v_dual_add_f32 v28, v9, v38 :: v_dual_add_f32 v25, v14, v36
	s_waitcnt lgkmcnt(11)
	v_add_f32_e32 v26, v11, v35
	s_waitcnt lgkmcnt(10)
	v_add_f32_e32 v24, v15, v37
	;; [unrolled: 2-line block ×4, first 2 shown]
	v_mad_u32_u24 v12, 0x300, v12, s0
	s_waitcnt lgkmcnt(7)
	v_add_f32_e32 v18, v32, v52
	s_waitcnt lgkmcnt(6)
	v_dual_add_f32 v14, v29, v67 :: v_dual_and_b32 v29, 0x3c3, v45
	s_waitcnt lgkmcnt(5)
	v_add_f32_e32 v16, v31, v53
	s_waitcnt lgkmcnt(3)
	v_dual_add_f32 v13, v55, v68 :: v_dual_add_f32 v10, v64, v69
	s_waitcnt lgkmcnt(2)
	v_add_f32_e32 v11, v65, v70
	s_waitcnt lgkmcnt(1)
	v_add_f32_e32 v9, v66, v71
	v_cmp_eq_u32_e32 vcc_lo, 64, v29
	s_waitcnt lgkmcnt(0)
	v_add_f32_e32 v15, v30, v54
	v_lshlrev_b32_e32 v29, 2, v21
	s_and_saveexec_b32 s0, vcc_lo
	s_cbranch_execz .LBB117_90
; %bb.89:
	s_delay_alu instid0(VALU_DEP_1)
	v_add3_u32 v30, v12, v29, 0xfffffa00
	ds_store_2addr_b32 v30, v8, v7 offset1:8
	ds_store_2addr_b32 v30, v6, v3 offset0:16 offset1:24
	ds_store_2addr_b32 v30, v2, v1 offset0:32 offset1:40
	;; [unrolled: 1-line block ×11, first 2 shown]
.LBB117_90:
	s_or_b32 exec_lo, exec_lo, s0
	v_cmp_eq_u32_e32 vcc_lo, 0, v17
	s_mov_b32 s3, exec_lo
	s_waitcnt lgkmcnt(0)
	s_barrier
	buffer_gl0_inv
	v_cmpx_gt_u32_e32 64, v45
	s_cbranch_execz .LBB117_117
; %bb.91:
	s_and_saveexec_b32 s0, vcc_lo
	s_cbranch_execnz .LBB117_149
; %bb.92:
	s_or_b32 exec_lo, exec_lo, s0
	s_and_saveexec_b32 s0, vcc_lo
	s_cbranch_execnz .LBB117_150
.LBB117_93:
	s_or_b32 exec_lo, exec_lo, s0
	s_and_saveexec_b32 s0, vcc_lo
	s_cbranch_execnz .LBB117_151
.LBB117_94:
	s_or_b32 exec_lo, exec_lo, s0
	s_and_saveexec_b32 s0, vcc_lo
	s_cbranch_execnz .LBB117_152
.LBB117_95:
	s_or_b32 exec_lo, exec_lo, s0
	s_and_saveexec_b32 s0, vcc_lo
	s_cbranch_execnz .LBB117_153
.LBB117_96:
	s_or_b32 exec_lo, exec_lo, s0
	s_and_saveexec_b32 s0, vcc_lo
	s_cbranch_execnz .LBB117_154
.LBB117_97:
	s_or_b32 exec_lo, exec_lo, s0
	s_and_saveexec_b32 s0, vcc_lo
	s_cbranch_execnz .LBB117_155
.LBB117_98:
	s_or_b32 exec_lo, exec_lo, s0
	s_and_saveexec_b32 s0, vcc_lo
	s_cbranch_execnz .LBB117_156
.LBB117_99:
	s_or_b32 exec_lo, exec_lo, s0
	s_and_saveexec_b32 s0, vcc_lo
	s_cbranch_execnz .LBB117_157
.LBB117_100:
	s_or_b32 exec_lo, exec_lo, s0
	s_and_saveexec_b32 s0, vcc_lo
	s_cbranch_execnz .LBB117_158
.LBB117_101:
	s_or_b32 exec_lo, exec_lo, s0
	s_and_saveexec_b32 s0, vcc_lo
	s_cbranch_execnz .LBB117_159
.LBB117_102:
	s_or_b32 exec_lo, exec_lo, s0
	s_and_saveexec_b32 s0, vcc_lo
	s_cbranch_execnz .LBB117_160
.LBB117_103:
	s_or_b32 exec_lo, exec_lo, s0
	s_and_saveexec_b32 s0, vcc_lo
	s_cbranch_execnz .LBB117_161
.LBB117_104:
	s_or_b32 exec_lo, exec_lo, s0
	s_and_saveexec_b32 s0, vcc_lo
	s_cbranch_execnz .LBB117_162
.LBB117_105:
	s_or_b32 exec_lo, exec_lo, s0
	s_and_saveexec_b32 s0, vcc_lo
	s_cbranch_execnz .LBB117_163
.LBB117_106:
	s_or_b32 exec_lo, exec_lo, s0
	s_and_saveexec_b32 s0, vcc_lo
	s_cbranch_execnz .LBB117_164
.LBB117_107:
	s_or_b32 exec_lo, exec_lo, s0
	s_and_saveexec_b32 s0, vcc_lo
	s_cbranch_execnz .LBB117_165
.LBB117_108:
	s_or_b32 exec_lo, exec_lo, s0
	s_and_saveexec_b32 s0, vcc_lo
	s_cbranch_execnz .LBB117_166
.LBB117_109:
	s_or_b32 exec_lo, exec_lo, s0
	s_and_saveexec_b32 s0, vcc_lo
	s_cbranch_execnz .LBB117_167
.LBB117_110:
	s_or_b32 exec_lo, exec_lo, s0
	s_and_saveexec_b32 s0, vcc_lo
	s_cbranch_execnz .LBB117_168
.LBB117_111:
	s_or_b32 exec_lo, exec_lo, s0
	s_and_saveexec_b32 s0, vcc_lo
	s_cbranch_execnz .LBB117_169
.LBB117_112:
	s_or_b32 exec_lo, exec_lo, s0
	s_and_saveexec_b32 s0, vcc_lo
	s_cbranch_execnz .LBB117_170
.LBB117_113:
	s_or_b32 exec_lo, exec_lo, s0
	s_and_saveexec_b32 s0, vcc_lo
	s_cbranch_execnz .LBB117_171
.LBB117_114:
	s_or_b32 exec_lo, exec_lo, s0
	s_and_saveexec_b32 s0, vcc_lo
	s_cbranch_execz .LBB117_116
.LBB117_115:
	v_lshl_add_u32 v17, v21, 2, v12
	ds_load_b32 v17, v17 offset:736
	s_waitcnt lgkmcnt(0)
	v_add_f32_e32 v9, v17, v9
.LBB117_116:
	s_or_b32 exec_lo, exec_lo, s0
.LBB117_117:
	s_delay_alu instid0(SALU_CYCLE_1)
	s_or_b32 exec_lo, exec_lo, s3
	v_and_b32_e32 v17, 0x3e3, v45
	s_mov_b32 s3, exec_lo
	s_barrier
	buffer_gl0_inv
	v_cmpx_eq_u32_e32 32, v17
	s_cbranch_execz .LBB117_119
; %bb.118:
	v_add3_u32 v29, v12, v29, 0xfffffd00
	ds_store_2addr_b32 v29, v8, v7 offset1:8
	ds_store_2addr_b32 v29, v6, v3 offset0:16 offset1:24
	ds_store_2addr_b32 v29, v2, v1 offset0:32 offset1:40
	;; [unrolled: 1-line block ×11, first 2 shown]
.LBB117_119:
	s_or_b32 exec_lo, exec_lo, s3
	s_delay_alu instid0(SALU_CYCLE_1)
	s_mov_b32 s3, exec_lo
	s_waitcnt lgkmcnt(0)
	s_barrier
	buffer_gl0_inv
	v_cmpx_gt_u32_e32 32, v45
	s_cbranch_execz .LBB117_146
; %bb.120:
	v_lshl_add_u32 v12, v21, 2, v12
	s_and_saveexec_b32 s0, vcc_lo
	s_cbranch_execnz .LBB117_172
; %bb.121:
	s_or_b32 exec_lo, exec_lo, s0
	s_and_saveexec_b32 s0, vcc_lo
	s_cbranch_execnz .LBB117_173
.LBB117_122:
	s_or_b32 exec_lo, exec_lo, s0
	s_and_saveexec_b32 s0, vcc_lo
	s_cbranch_execnz .LBB117_174
.LBB117_123:
	s_or_b32 exec_lo, exec_lo, s0
	s_and_saveexec_b32 s0, vcc_lo
	s_cbranch_execnz .LBB117_175
.LBB117_124:
	s_or_b32 exec_lo, exec_lo, s0
	s_and_saveexec_b32 s0, vcc_lo
	s_cbranch_execnz .LBB117_176
.LBB117_125:
	s_or_b32 exec_lo, exec_lo, s0
	s_and_saveexec_b32 s0, vcc_lo
	s_cbranch_execnz .LBB117_177
.LBB117_126:
	s_or_b32 exec_lo, exec_lo, s0
	s_and_saveexec_b32 s0, vcc_lo
	s_cbranch_execnz .LBB117_178
.LBB117_127:
	s_or_b32 exec_lo, exec_lo, s0
	s_and_saveexec_b32 s0, vcc_lo
	s_cbranch_execnz .LBB117_179
.LBB117_128:
	s_or_b32 exec_lo, exec_lo, s0
	s_and_saveexec_b32 s0, vcc_lo
	s_cbranch_execnz .LBB117_180
.LBB117_129:
	s_or_b32 exec_lo, exec_lo, s0
	s_and_saveexec_b32 s0, vcc_lo
	s_cbranch_execnz .LBB117_181
.LBB117_130:
	s_or_b32 exec_lo, exec_lo, s0
	s_and_saveexec_b32 s0, vcc_lo
	s_cbranch_execnz .LBB117_182
.LBB117_131:
	s_or_b32 exec_lo, exec_lo, s0
	s_and_saveexec_b32 s0, vcc_lo
	s_cbranch_execnz .LBB117_183
.LBB117_132:
	s_or_b32 exec_lo, exec_lo, s0
	s_and_saveexec_b32 s0, vcc_lo
	s_cbranch_execnz .LBB117_184
.LBB117_133:
	s_or_b32 exec_lo, exec_lo, s0
	s_and_saveexec_b32 s0, vcc_lo
	s_cbranch_execnz .LBB117_185
.LBB117_134:
	s_or_b32 exec_lo, exec_lo, s0
	s_and_saveexec_b32 s0, vcc_lo
	s_cbranch_execnz .LBB117_186
.LBB117_135:
	s_or_b32 exec_lo, exec_lo, s0
	s_and_saveexec_b32 s0, vcc_lo
	s_cbranch_execnz .LBB117_187
.LBB117_136:
	s_or_b32 exec_lo, exec_lo, s0
	s_and_saveexec_b32 s0, vcc_lo
	s_cbranch_execnz .LBB117_188
.LBB117_137:
	s_or_b32 exec_lo, exec_lo, s0
	s_and_saveexec_b32 s0, vcc_lo
	s_cbranch_execnz .LBB117_189
.LBB117_138:
	s_or_b32 exec_lo, exec_lo, s0
	s_and_saveexec_b32 s0, vcc_lo
	s_cbranch_execnz .LBB117_190
.LBB117_139:
	s_or_b32 exec_lo, exec_lo, s0
	s_and_saveexec_b32 s0, vcc_lo
	s_cbranch_execnz .LBB117_191
.LBB117_140:
	s_or_b32 exec_lo, exec_lo, s0
	s_and_saveexec_b32 s0, vcc_lo
	s_cbranch_execnz .LBB117_192
.LBB117_141:
	s_or_b32 exec_lo, exec_lo, s0
	s_and_saveexec_b32 s0, vcc_lo
	s_cbranch_execnz .LBB117_193
.LBB117_142:
	s_or_b32 exec_lo, exec_lo, s0
	s_and_saveexec_b32 s0, vcc_lo
	s_cbranch_execnz .LBB117_194
.LBB117_143:
	s_or_b32 exec_lo, exec_lo, s0
	s_and_saveexec_b32 s0, vcc_lo
	s_cbranch_execz .LBB117_145
.LBB117_144:
	ds_load_b32 v12, v12 offset:736
	s_waitcnt lgkmcnt(0)
	v_add_f32_e32 v9, v12, v9
.LBB117_145:
	s_or_b32 exec_lo, exec_lo, s0
.LBB117_146:
	s_delay_alu instid0(SALU_CYCLE_1)
	s_or_b32 exec_lo, exec_lo, s3
	v_cmp_eq_u32_e32 vcc_lo, 0, v17
	s_barrier
	buffer_gl0_inv
	s_and_b32 exec_lo, exec_lo, vcc_lo
	s_cbranch_execz .LBB117_148
; %bb.147:
	s_mul_i32 s0, s2, 0xc0
	s_mul_i32 s2, s4, s1
	;; [unrolled: 1-line block ×3, first 2 shown]
	s_ashr_i32 s3, s2, 31
	s_ashr_i32 s5, s4, 31
	;; [unrolled: 1-line block ×3, first 2 shown]
	s_lshl_b64 s[2:3], s[2:3], 1
	s_lshl_b64 s[4:5], s[4:5], 1
	;; [unrolled: 1-line block ×3, first 2 shown]
	s_add_u32 s2, s4, s2
	s_addc_u32 s3, s5, s3
	s_add_u32 s0, s2, s0
	s_addc_u32 s1, s3, s1
	v_lshrrev_b32_e32 v12, 1, v45
	v_add_co_u32 v4, vcc_lo, s0, v4
	v_add_co_ci_u32_e32 v5, vcc_lo, s1, v5, vcc_lo
	;;#ASMSTART
	v_cvt_f16_f32 v8, v8;

	;;#ASMEND
	s_delay_alu instid0(VALU_DEP_2) | instskip(NEXT) | instid1(VALU_DEP_2)
	v_add_co_u32 v4, vcc_lo, v4, v12
	v_add_co_ci_u32_e32 v5, vcc_lo, 0, v5, vcc_lo
	flat_store_b16 v[4:5], v8
	;;#ASMSTART
	v_cvt_f16_f32 v7, v7;

	;;#ASMEND
	flat_store_b16 v[4:5], v7 offset:16
	;;#ASMSTART
	v_cvt_f16_f32 v6, v6;

	;;#ASMEND
	flat_store_b16 v[4:5], v6 offset:32
	;; [unrolled: 5-line block ×23, first 2 shown]
.LBB117_148:
	s_or_b32 exec_lo, exec_lo, s11
	s_clause 0x1f
	scratch_load_b32 v138, off, s32
	scratch_load_b32 v137, off, s32 offset:4
	scratch_load_b32 v136, off, s32 offset:8
	;; [unrolled: 1-line block ×31, first 2 shown]
	s_clause 0x12
	scratch_load_b32 v74, off, s32 offset:128
	scratch_load_b32 v73, off, s32 offset:132
	;; [unrolled: 1-line block ×19, first 2 shown]
	s_waitcnt vmcnt(0) lgkmcnt(0)
	s_setpc_b64 s[30:31]
.LBB117_149:
	v_lshl_add_u32 v17, v21, 2, v12
	ds_load_b32 v17, v17
	s_waitcnt lgkmcnt(0)
	v_add_f32_e32 v8, v17, v8
	s_or_b32 exec_lo, exec_lo, s0
	s_and_saveexec_b32 s0, vcc_lo
	s_cbranch_execz .LBB117_93
.LBB117_150:
	v_lshl_add_u32 v17, v21, 2, v12
	ds_load_b32 v17, v17 offset:32
	s_waitcnt lgkmcnt(0)
	v_add_f32_e32 v7, v17, v7
	s_or_b32 exec_lo, exec_lo, s0
	s_and_saveexec_b32 s0, vcc_lo
	s_cbranch_execz .LBB117_94
.LBB117_151:
	v_lshl_add_u32 v17, v21, 2, v12
	ds_load_b32 v17, v17 offset:64
	s_waitcnt lgkmcnt(0)
	v_add_f32_e32 v6, v17, v6
	s_or_b32 exec_lo, exec_lo, s0
	s_and_saveexec_b32 s0, vcc_lo
	s_cbranch_execz .LBB117_95
.LBB117_152:
	v_lshl_add_u32 v17, v21, 2, v12
	ds_load_b32 v17, v17 offset:96
	s_waitcnt lgkmcnt(0)
	v_add_f32_e32 v3, v17, v3
	s_or_b32 exec_lo, exec_lo, s0
	s_and_saveexec_b32 s0, vcc_lo
	s_cbranch_execz .LBB117_96
.LBB117_153:
	v_lshl_add_u32 v17, v21, 2, v12
	ds_load_b32 v17, v17 offset:128
	s_waitcnt lgkmcnt(0)
	v_add_f32_e32 v2, v17, v2
	s_or_b32 exec_lo, exec_lo, s0
	s_and_saveexec_b32 s0, vcc_lo
	s_cbranch_execz .LBB117_97
.LBB117_154:
	v_lshl_add_u32 v17, v21, 2, v12
	ds_load_b32 v17, v17 offset:160
	s_waitcnt lgkmcnt(0)
	v_add_f32_e32 v1, v17, v1
	s_or_b32 exec_lo, exec_lo, s0
	s_and_saveexec_b32 s0, vcc_lo
	s_cbranch_execz .LBB117_98
.LBB117_155:
	v_lshl_add_u32 v17, v21, 2, v12
	ds_load_b32 v17, v17 offset:192
	s_waitcnt lgkmcnt(0)
	v_add_f32_e32 v0, v17, v0
	s_or_b32 exec_lo, exec_lo, s0
	s_and_saveexec_b32 s0, vcc_lo
	s_cbranch_execz .LBB117_99
.LBB117_156:
	v_lshl_add_u32 v17, v21, 2, v12
	ds_load_b32 v17, v17 offset:224
	s_waitcnt lgkmcnt(0)
	v_add_f32_e32 v28, v17, v28
	s_or_b32 exec_lo, exec_lo, s0
	s_and_saveexec_b32 s0, vcc_lo
	s_cbranch_execz .LBB117_100
.LBB117_157:
	v_lshl_add_u32 v17, v21, 2, v12
	ds_load_b32 v17, v17 offset:256
	s_waitcnt lgkmcnt(0)
	v_add_f32_e32 v27, v17, v27
	s_or_b32 exec_lo, exec_lo, s0
	s_and_saveexec_b32 s0, vcc_lo
	s_cbranch_execz .LBB117_101
.LBB117_158:
	v_lshl_add_u32 v17, v21, 2, v12
	ds_load_b32 v17, v17 offset:288
	s_waitcnt lgkmcnt(0)
	v_add_f32_e32 v26, v17, v26
	s_or_b32 exec_lo, exec_lo, s0
	s_and_saveexec_b32 s0, vcc_lo
	s_cbranch_execz .LBB117_102
.LBB117_159:
	v_lshl_add_u32 v17, v21, 2, v12
	ds_load_b32 v17, v17 offset:320
	s_waitcnt lgkmcnt(0)
	v_add_f32_e32 v25, v17, v25
	s_or_b32 exec_lo, exec_lo, s0
	s_and_saveexec_b32 s0, vcc_lo
	s_cbranch_execz .LBB117_103
.LBB117_160:
	v_lshl_add_u32 v17, v21, 2, v12
	ds_load_b32 v17, v17 offset:352
	s_waitcnt lgkmcnt(0)
	v_add_f32_e32 v24, v17, v24
	s_or_b32 exec_lo, exec_lo, s0
	s_and_saveexec_b32 s0, vcc_lo
	s_cbranch_execz .LBB117_104
.LBB117_161:
	v_lshl_add_u32 v17, v21, 2, v12
	ds_load_b32 v17, v17 offset:384
	s_waitcnt lgkmcnt(0)
	v_add_f32_e32 v23, v17, v23
	s_or_b32 exec_lo, exec_lo, s0
	s_and_saveexec_b32 s0, vcc_lo
	s_cbranch_execz .LBB117_105
.LBB117_162:
	v_lshl_add_u32 v17, v21, 2, v12
	ds_load_b32 v17, v17 offset:416
	s_waitcnt lgkmcnt(0)
	v_add_f32_e32 v22, v17, v22
	s_or_b32 exec_lo, exec_lo, s0
	s_and_saveexec_b32 s0, vcc_lo
	s_cbranch_execz .LBB117_106
.LBB117_163:
	v_lshl_add_u32 v17, v21, 2, v12
	ds_load_b32 v17, v17 offset:448
	s_waitcnt lgkmcnt(0)
	v_add_f32_e32 v20, v17, v20
	s_or_b32 exec_lo, exec_lo, s0
	s_and_saveexec_b32 s0, vcc_lo
	s_cbranch_execz .LBB117_107
.LBB117_164:
	v_lshl_add_u32 v17, v21, 2, v12
	ds_load_b32 v17, v17 offset:480
	s_waitcnt lgkmcnt(0)
	v_add_f32_e32 v19, v17, v19
	s_or_b32 exec_lo, exec_lo, s0
	s_and_saveexec_b32 s0, vcc_lo
	s_cbranch_execz .LBB117_108
.LBB117_165:
	v_lshl_add_u32 v17, v21, 2, v12
	ds_load_b32 v17, v17 offset:512
	s_waitcnt lgkmcnt(0)
	v_add_f32_e32 v18, v17, v18
	s_or_b32 exec_lo, exec_lo, s0
	s_and_saveexec_b32 s0, vcc_lo
	s_cbranch_execz .LBB117_109
.LBB117_166:
	v_lshl_add_u32 v17, v21, 2, v12
	ds_load_b32 v17, v17 offset:544
	s_waitcnt lgkmcnt(0)
	v_add_f32_e32 v16, v17, v16
	s_or_b32 exec_lo, exec_lo, s0
	s_and_saveexec_b32 s0, vcc_lo
	s_cbranch_execz .LBB117_110
.LBB117_167:
	v_lshl_add_u32 v17, v21, 2, v12
	ds_load_b32 v17, v17 offset:576
	s_waitcnt lgkmcnt(0)
	v_add_f32_e32 v15, v17, v15
	s_or_b32 exec_lo, exec_lo, s0
	s_and_saveexec_b32 s0, vcc_lo
	s_cbranch_execz .LBB117_111
.LBB117_168:
	v_lshl_add_u32 v17, v21, 2, v12
	ds_load_b32 v17, v17 offset:608
	s_waitcnt lgkmcnt(0)
	v_add_f32_e32 v14, v17, v14
	s_or_b32 exec_lo, exec_lo, s0
	s_and_saveexec_b32 s0, vcc_lo
	s_cbranch_execz .LBB117_112
.LBB117_169:
	v_lshl_add_u32 v17, v21, 2, v12
	ds_load_b32 v17, v17 offset:640
	s_waitcnt lgkmcnt(0)
	v_add_f32_e32 v13, v17, v13
	s_or_b32 exec_lo, exec_lo, s0
	s_and_saveexec_b32 s0, vcc_lo
	s_cbranch_execz .LBB117_113
.LBB117_170:
	v_lshl_add_u32 v17, v21, 2, v12
	ds_load_b32 v17, v17 offset:672
	s_waitcnt lgkmcnt(0)
	v_add_f32_e32 v10, v17, v10
	s_or_b32 exec_lo, exec_lo, s0
	s_and_saveexec_b32 s0, vcc_lo
	s_cbranch_execz .LBB117_114
.LBB117_171:
	v_lshl_add_u32 v17, v21, 2, v12
	ds_load_b32 v17, v17 offset:704
	s_waitcnt lgkmcnt(0)
	v_add_f32_e32 v11, v17, v11
	s_or_b32 exec_lo, exec_lo, s0
	s_and_saveexec_b32 s0, vcc_lo
	s_cbranch_execnz .LBB117_115
	s_branch .LBB117_116
.LBB117_172:
	ds_load_b32 v21, v12
	s_waitcnt lgkmcnt(0)
	v_add_f32_e32 v8, v21, v8
	s_or_b32 exec_lo, exec_lo, s0
	s_and_saveexec_b32 s0, vcc_lo
	s_cbranch_execz .LBB117_122
.LBB117_173:
	ds_load_b32 v21, v12 offset:32
	s_waitcnt lgkmcnt(0)
	v_add_f32_e32 v7, v21, v7
	s_or_b32 exec_lo, exec_lo, s0
	s_and_saveexec_b32 s0, vcc_lo
	s_cbranch_execz .LBB117_123
.LBB117_174:
	ds_load_b32 v21, v12 offset:64
	s_waitcnt lgkmcnt(0)
	v_add_f32_e32 v6, v21, v6
	s_or_b32 exec_lo, exec_lo, s0
	s_and_saveexec_b32 s0, vcc_lo
	s_cbranch_execz .LBB117_124
.LBB117_175:
	ds_load_b32 v21, v12 offset:96
	s_waitcnt lgkmcnt(0)
	v_add_f32_e32 v3, v21, v3
	s_or_b32 exec_lo, exec_lo, s0
	s_and_saveexec_b32 s0, vcc_lo
	s_cbranch_execz .LBB117_125
.LBB117_176:
	ds_load_b32 v21, v12 offset:128
	s_waitcnt lgkmcnt(0)
	v_add_f32_e32 v2, v21, v2
	s_or_b32 exec_lo, exec_lo, s0
	s_and_saveexec_b32 s0, vcc_lo
	s_cbranch_execz .LBB117_126
.LBB117_177:
	ds_load_b32 v21, v12 offset:160
	s_waitcnt lgkmcnt(0)
	v_add_f32_e32 v1, v21, v1
	s_or_b32 exec_lo, exec_lo, s0
	s_and_saveexec_b32 s0, vcc_lo
	s_cbranch_execz .LBB117_127
.LBB117_178:
	ds_load_b32 v21, v12 offset:192
	s_waitcnt lgkmcnt(0)
	v_add_f32_e32 v0, v21, v0
	s_or_b32 exec_lo, exec_lo, s0
	s_and_saveexec_b32 s0, vcc_lo
	s_cbranch_execz .LBB117_128
.LBB117_179:
	ds_load_b32 v21, v12 offset:224
	s_waitcnt lgkmcnt(0)
	v_add_f32_e32 v28, v21, v28
	s_or_b32 exec_lo, exec_lo, s0
	s_and_saveexec_b32 s0, vcc_lo
	s_cbranch_execz .LBB117_129
.LBB117_180:
	ds_load_b32 v21, v12 offset:256
	s_waitcnt lgkmcnt(0)
	v_add_f32_e32 v27, v21, v27
	s_or_b32 exec_lo, exec_lo, s0
	s_and_saveexec_b32 s0, vcc_lo
	s_cbranch_execz .LBB117_130
.LBB117_181:
	ds_load_b32 v21, v12 offset:288
	s_waitcnt lgkmcnt(0)
	v_add_f32_e32 v26, v21, v26
	s_or_b32 exec_lo, exec_lo, s0
	s_and_saveexec_b32 s0, vcc_lo
	s_cbranch_execz .LBB117_131
.LBB117_182:
	ds_load_b32 v21, v12 offset:320
	s_waitcnt lgkmcnt(0)
	v_add_f32_e32 v25, v21, v25
	s_or_b32 exec_lo, exec_lo, s0
	s_and_saveexec_b32 s0, vcc_lo
	s_cbranch_execz .LBB117_132
.LBB117_183:
	ds_load_b32 v21, v12 offset:352
	s_waitcnt lgkmcnt(0)
	v_add_f32_e32 v24, v21, v24
	s_or_b32 exec_lo, exec_lo, s0
	s_and_saveexec_b32 s0, vcc_lo
	s_cbranch_execz .LBB117_133
.LBB117_184:
	ds_load_b32 v21, v12 offset:384
	s_waitcnt lgkmcnt(0)
	v_add_f32_e32 v23, v21, v23
	s_or_b32 exec_lo, exec_lo, s0
	s_and_saveexec_b32 s0, vcc_lo
	s_cbranch_execz .LBB117_134
.LBB117_185:
	ds_load_b32 v21, v12 offset:416
	s_waitcnt lgkmcnt(0)
	v_add_f32_e32 v22, v21, v22
	s_or_b32 exec_lo, exec_lo, s0
	s_and_saveexec_b32 s0, vcc_lo
	s_cbranch_execz .LBB117_135
.LBB117_186:
	ds_load_b32 v21, v12 offset:448
	s_waitcnt lgkmcnt(0)
	v_add_f32_e32 v20, v21, v20
	s_or_b32 exec_lo, exec_lo, s0
	s_and_saveexec_b32 s0, vcc_lo
	s_cbranch_execz .LBB117_136
.LBB117_187:
	ds_load_b32 v21, v12 offset:480
	s_waitcnt lgkmcnt(0)
	v_add_f32_e32 v19, v21, v19
	s_or_b32 exec_lo, exec_lo, s0
	s_and_saveexec_b32 s0, vcc_lo
	s_cbranch_execz .LBB117_137
.LBB117_188:
	ds_load_b32 v21, v12 offset:512
	s_waitcnt lgkmcnt(0)
	v_add_f32_e32 v18, v21, v18
	s_or_b32 exec_lo, exec_lo, s0
	s_and_saveexec_b32 s0, vcc_lo
	s_cbranch_execz .LBB117_138
.LBB117_189:
	ds_load_b32 v21, v12 offset:544
	s_waitcnt lgkmcnt(0)
	v_add_f32_e32 v16, v21, v16
	s_or_b32 exec_lo, exec_lo, s0
	s_and_saveexec_b32 s0, vcc_lo
	s_cbranch_execz .LBB117_139
.LBB117_190:
	ds_load_b32 v21, v12 offset:576
	s_waitcnt lgkmcnt(0)
	v_add_f32_e32 v15, v21, v15
	s_or_b32 exec_lo, exec_lo, s0
	s_and_saveexec_b32 s0, vcc_lo
	s_cbranch_execz .LBB117_140
.LBB117_191:
	ds_load_b32 v21, v12 offset:608
	s_waitcnt lgkmcnt(0)
	v_add_f32_e32 v14, v21, v14
	s_or_b32 exec_lo, exec_lo, s0
	s_and_saveexec_b32 s0, vcc_lo
	s_cbranch_execz .LBB117_141
.LBB117_192:
	ds_load_b32 v21, v12 offset:640
	s_waitcnt lgkmcnt(0)
	v_add_f32_e32 v13, v21, v13
	s_or_b32 exec_lo, exec_lo, s0
	s_and_saveexec_b32 s0, vcc_lo
	s_cbranch_execz .LBB117_142
.LBB117_193:
	ds_load_b32 v21, v12 offset:672
	s_waitcnt lgkmcnt(0)
	v_add_f32_e32 v10, v21, v10
	s_or_b32 exec_lo, exec_lo, s0
	s_and_saveexec_b32 s0, vcc_lo
	s_cbranch_execz .LBB117_143
.LBB117_194:
	ds_load_b32 v21, v12 offset:704
	s_waitcnt lgkmcnt(0)
	v_add_f32_e32 v11, v21, v11
	s_or_b32 exec_lo, exec_lo, s0
	s_and_saveexec_b32 s0, vcc_lo
	s_cbranch_execnz .LBB117_144
	s_branch .LBB117_145
.Lfunc_end117:
	.size	_ZN4vllm22paged_attention_kernelIttLi192ELi32ELi128ELNS_18Fp8KVCacheDataTypeE0ELb1ELi512EEEvPfS2_PT_PKS3_PKT0_S9_ifPKiSB_iPKfiiiSD_SD_iiiii, .Lfunc_end117-_ZN4vllm22paged_attention_kernelIttLi192ELi32ELi128ELNS_18Fp8KVCacheDataTypeE0ELb1ELi512EEEvPfS2_PT_PKS3_PKT0_S9_ifPKiSB_iPKfiiiSD_SD_iiiii
                                        ; -- End function
	.section	.AMDGPU.csdata,"",@progbits
; Function info:
; codeLenInByte = 31504
; NumSgprs: 35
; NumVgprs: 184
; ScratchSize: 208
; MemoryBound: 0
	.section	.text._ZN4vllm25paged_attention_v2_kernelIttLi192ELi32ELi128ELNS_18Fp8KVCacheDataTypeE0ELb1ELi512EEEvPfS2_PT_PKS3_PKT0_S9_ifPKiSB_iPKfiiiSD_SD_iiiii,"axG",@progbits,_ZN4vllm25paged_attention_v2_kernelIttLi192ELi32ELi128ELNS_18Fp8KVCacheDataTypeE0ELb1ELi512EEEvPfS2_PT_PKS3_PKT0_S9_ifPKiSB_iPKfiiiSD_SD_iiiii,comdat
	.protected	_ZN4vllm25paged_attention_v2_kernelIttLi192ELi32ELi128ELNS_18Fp8KVCacheDataTypeE0ELb1ELi512EEEvPfS2_PT_PKS3_PKT0_S9_ifPKiSB_iPKfiiiSD_SD_iiiii ; -- Begin function _ZN4vllm25paged_attention_v2_kernelIttLi192ELi32ELi128ELNS_18Fp8KVCacheDataTypeE0ELb1ELi512EEEvPfS2_PT_PKS3_PKT0_S9_ifPKiSB_iPKfiiiSD_SD_iiiii
	.globl	_ZN4vllm25paged_attention_v2_kernelIttLi192ELi32ELi128ELNS_18Fp8KVCacheDataTypeE0ELb1ELi512EEEvPfS2_PT_PKS3_PKT0_S9_ifPKiSB_iPKfiiiSD_SD_iiiii
	.p2align	8
	.type	_ZN4vllm25paged_attention_v2_kernelIttLi192ELi32ELi128ELNS_18Fp8KVCacheDataTypeE0ELb1ELi512EEEvPfS2_PT_PKS3_PKT0_S9_ifPKiSB_iPKfiiiSD_SD_iiiii,@function
_ZN4vllm25paged_attention_v2_kernelIttLi192ELi32ELi128ELNS_18Fp8KVCacheDataTypeE0ELb1ELi512EEEvPfS2_PT_PKS3_PKT0_S9_ifPKiSB_iPKfiiiSD_SD_iiiii: ; @_ZN4vllm25paged_attention_v2_kernelIttLi192ELi32ELi128ELNS_18Fp8KVCacheDataTypeE0ELb1ELi512EEEvPfS2_PT_PKS3_PKT0_S9_ifPKiSB_iPKfiiiSD_SD_iiiii
; %bb.0:
	s_mov_b32 s12, s13
	s_clause 0x7
	s_load_b256 s[24:31], s[0:1], 0x0
	s_load_b256 s[16:23], s[0:1], 0x20
	s_load_b64 s[2:3], s[0:1], 0x40
	s_load_b64 s[10:11], s[0:1], 0x50
	s_load_b32 s13, s[0:1], 0x48
	s_load_b32 s33, s[0:1], 0x88
	s_load_b128 s[36:39], s[0:1], 0x58
	s_load_b128 s[4:7], s[0:1], 0x78
	v_mov_b32_e32 v31, v0
	s_add_u32 s8, s0, 0x90
	s_addc_u32 s9, s1, 0
	s_mov_b32 s32, 0
	s_getpc_b64 s[0:1]
	s_add_u32 s0, s0, _ZN4vllm22paged_attention_kernelIttLi192ELi32ELi128ELNS_18Fp8KVCacheDataTypeE0ELb1ELi512EEEvPfS2_PT_PKS3_PKT0_S9_ifPKiSB_iPKfiiiSD_SD_iiiii@rel32@lo+4
	s_addc_u32 s1, s1, _ZN4vllm22paged_attention_kernelIttLi192ELi32ELi128ELNS_18Fp8KVCacheDataTypeE0ELb1ELi512EEEvPfS2_PT_PKS3_PKT0_S9_ifPKiSB_iPKfiiiSD_SD_iiiii@rel32@hi+12
	s_waitcnt lgkmcnt(0)
	v_dual_mov_b32 v0, s24 :: v_dual_mov_b32 v1, s25
	v_dual_mov_b32 v2, s26 :: v_dual_mov_b32 v3, s27
	;; [unrolled: 1-line block ×14, first 2 shown]
	v_mov_b32_e32 v28, s33
	s_mov_b32 s13, s14
	s_mov_b32 s14, s15
	s_movk_i32 s15, 0x74
	s_swappc_b64 s[30:31], s[0:1]
	s_endpgm
	.section	.rodata,"a",@progbits
	.p2align	6, 0x0
	.amdhsa_kernel _ZN4vllm25paged_attention_v2_kernelIttLi192ELi32ELi128ELNS_18Fp8KVCacheDataTypeE0ELb1ELi512EEEvPfS2_PT_PKS3_PKT0_S9_ifPKiSB_iPKfiiiSD_SD_iiiii
		.amdhsa_group_segment_fixed_size 416
		.amdhsa_private_segment_fixed_size 208
		.amdhsa_kernarg_size 400
		.amdhsa_user_sgpr_count 13
		.amdhsa_user_sgpr_dispatch_ptr 0
		.amdhsa_user_sgpr_queue_ptr 0
		.amdhsa_user_sgpr_kernarg_segment_ptr 1
		.amdhsa_user_sgpr_dispatch_id 0
		.amdhsa_user_sgpr_private_segment_size 0
		.amdhsa_wavefront_size32 1
		.amdhsa_uses_dynamic_stack 0
		.amdhsa_enable_private_segment 1
		.amdhsa_system_sgpr_workgroup_id_x 1
		.amdhsa_system_sgpr_workgroup_id_y 1
		.amdhsa_system_sgpr_workgroup_id_z 1
		.amdhsa_system_sgpr_workgroup_info 0
		.amdhsa_system_vgpr_workitem_id 0
		.amdhsa_next_free_vgpr 184
		.amdhsa_next_free_sgpr 40
		.amdhsa_reserve_vcc 1
		.amdhsa_float_round_mode_32 0
		.amdhsa_float_round_mode_16_64 0
		.amdhsa_float_denorm_mode_32 3
		.amdhsa_float_denorm_mode_16_64 3
		.amdhsa_dx10_clamp 1
		.amdhsa_ieee_mode 1
		.amdhsa_fp16_overflow 0
		.amdhsa_workgroup_processor_mode 1
		.amdhsa_memory_ordered 1
		.amdhsa_forward_progress 0
		.amdhsa_shared_vgpr_count 0
		.amdhsa_exception_fp_ieee_invalid_op 0
		.amdhsa_exception_fp_denorm_src 0
		.amdhsa_exception_fp_ieee_div_zero 0
		.amdhsa_exception_fp_ieee_overflow 0
		.amdhsa_exception_fp_ieee_underflow 0
		.amdhsa_exception_fp_ieee_inexact 0
		.amdhsa_exception_int_div_zero 0
	.end_amdhsa_kernel
	.section	.text._ZN4vllm25paged_attention_v2_kernelIttLi192ELi32ELi128ELNS_18Fp8KVCacheDataTypeE0ELb1ELi512EEEvPfS2_PT_PKS3_PKT0_S9_ifPKiSB_iPKfiiiSD_SD_iiiii,"axG",@progbits,_ZN4vllm25paged_attention_v2_kernelIttLi192ELi32ELi128ELNS_18Fp8KVCacheDataTypeE0ELb1ELi512EEEvPfS2_PT_PKS3_PKT0_S9_ifPKiSB_iPKfiiiSD_SD_iiiii,comdat
.Lfunc_end118:
	.size	_ZN4vllm25paged_attention_v2_kernelIttLi192ELi32ELi128ELNS_18Fp8KVCacheDataTypeE0ELb1ELi512EEEvPfS2_PT_PKS3_PKT0_S9_ifPKiSB_iPKfiiiSD_SD_iiiii, .Lfunc_end118-_ZN4vllm25paged_attention_v2_kernelIttLi192ELi32ELi128ELNS_18Fp8KVCacheDataTypeE0ELb1ELi512EEEvPfS2_PT_PKS3_PKT0_S9_ifPKiSB_iPKfiiiSD_SD_iiiii
                                        ; -- End function
	.section	.AMDGPU.csdata,"",@progbits
; Kernel info:
; codeLenInByte = 252
; NumSgprs: 42
; NumVgprs: 184
; ScratchSize: 208
; MemoryBound: 0
; FloatMode: 240
; IeeeMode: 1
; LDSByteSize: 416 bytes/workgroup (compile time only)
; SGPRBlocks: 5
; VGPRBlocks: 22
; NumSGPRsForWavesPerEU: 42
; NumVGPRsForWavesPerEU: 184
; Occupancy: 8
; WaveLimiterHint : 1
; COMPUTE_PGM_RSRC2:SCRATCH_EN: 1
; COMPUTE_PGM_RSRC2:USER_SGPR: 13
; COMPUTE_PGM_RSRC2:TRAP_HANDLER: 0
; COMPUTE_PGM_RSRC2:TGID_X_EN: 1
; COMPUTE_PGM_RSRC2:TGID_Y_EN: 1
; COMPUTE_PGM_RSRC2:TGID_Z_EN: 1
; COMPUTE_PGM_RSRC2:TIDIG_COMP_CNT: 0
	.text
	.p2align	2                               ; -- Begin function _ZN4vllm22paged_attention_kernelIttLi256ELi32ELi128ELNS_18Fp8KVCacheDataTypeE0ELb1ELi512EEEvPfS2_PT_PKS3_PKT0_S9_ifPKiSB_iPKfiiiSD_SD_iiiii
	.type	_ZN4vllm22paged_attention_kernelIttLi256ELi32ELi128ELNS_18Fp8KVCacheDataTypeE0ELb1ELi512EEEvPfS2_PT_PKS3_PKT0_S9_ifPKiSB_iPKfiiiSD_SD_iiiii,@function
_ZN4vllm22paged_attention_kernelIttLi256ELi32ELi128ELNS_18Fp8KVCacheDataTypeE0ELb1ELi512EEEvPfS2_PT_PKS3_PKT0_S9_ifPKiSB_iPKfiiiSD_SD_iiiii: ; @_ZN4vllm22paged_attention_kernelIttLi256ELi32ELi128ELNS_18Fp8KVCacheDataTypeE0ELb1ELi512EEEvPfS2_PT_PKS3_PKT0_S9_ifPKiSB_iPKfiiiSD_SD_iiiii
; %bb.0:
	s_waitcnt vmcnt(0) expcnt(0) lgkmcnt(0)
	s_clause 0x1f
	scratch_store_b32 off, v40, s32 offset:316
	; meta instruction
	scratch_store_b32 off, v41, s32 offset:312
	; meta instruction
	;; [unrolled: 2-line block ×31, first 2 shown]
	scratch_store_b32 off, v95, s32 offset:192
	s_clause 0x1f
	scratch_store_b32 off, v104, s32 offset:188
	; meta instruction
	scratch_store_b32 off, v105, s32 offset:184
	; meta instruction
	;; [unrolled: 2-line block ×31, first 2 shown]
	scratch_store_b32 off, v159, s32 offset:64
	s_clause 0xf
	scratch_store_b32 off, v168, s32 offset:60
	; meta instruction
	scratch_store_b32 off, v169, s32 offset:56
	; meta instruction
	;; [unrolled: 2-line block ×15, first 2 shown]
	scratch_store_b32 off, v191, s32
	s_mov_b32 s10, s13
	s_ashr_i32 s11, s13, 31
	s_lshl_b32 s3, s14, 9
	s_lshl_b64 s[0:1], s[10:11], 2
	s_mov_b32 s11, exec_lo
	v_add_co_u32 v16, vcc_lo, v16, s0
	v_add_co_ci_u32_e32 v17, vcc_lo, s1, v17, vcc_lo
	flat_load_b32 v110, v[16:17]
	s_waitcnt vmcnt(0) lgkmcnt(0)
	v_cmpx_lt_i32_e64 s3, v110
	s_cbranch_execz .LBB119_180
; %bb.1:
	v_sub_nc_u32_e32 v16, 0, v12
	s_clause 0x1
	s_load_b32 s0, s[8:9], 0x10
	s_load_b32 s1, s[8:9], 0x0
	s_mov_b32 s6, s15
	v_mov_b32_e32 v126, 0
	v_max_i32_e32 v16, v12, v16
	s_delay_alu instid0(VALU_DEP_1) | instskip(SKIP_1) | instid1(VALU_DEP_2)
	v_cvt_f32_u32_e32 v17, v16
	v_sub_nc_u32_e32 v29, 0, v16
	v_rcp_iflag_f32_e32 v17, v17
	s_waitcnt lgkmcnt(0)
	s_lshr_b32 s0, s0, 16
	s_delay_alu instid0(SALU_CYCLE_1) | instskip(SKIP_3) | instid1(SALU_CYCLE_1)
	s_cmp_lg_u32 s0, 0
	s_waitcnt_depctr 0xfff
	v_mul_f32_e32 v17, 0x4f7ffffe, v17
	s_cselect_b32 s0, -1, 0
	s_cmp_lg_u32 s0, 0
	s_delay_alu instid0(VALU_DEP_1) | instskip(SKIP_3) | instid1(VALU_DEP_1)
	v_cvt_u32_f32_e32 v17, v17
	s_addc_u32 s15, s1, 0
	s_mov_b32 s1, exec_lo
	s_abs_i32 s0, s15
	v_mul_lo_u32 v29, v29, v17
	s_delay_alu instid0(VALU_DEP_1) | instskip(NEXT) | instid1(VALU_DEP_1)
	v_mul_hi_u32 v29, v17, v29
	v_add_nc_u32_e32 v17, v17, v29
	s_delay_alu instid0(VALU_DEP_1) | instskip(NEXT) | instid1(VALU_DEP_1)
	v_mul_hi_u32 v17, s0, v17
	v_mul_lo_u32 v29, v17, v16
	s_delay_alu instid0(VALU_DEP_1) | instskip(SKIP_1) | instid1(VALU_DEP_1)
	v_sub_nc_u32_e32 v29, s0, v29
	s_abs_i32 s0, s12
	v_sub_nc_u32_e32 v32, v29, v16
	v_cmp_ge_u32_e32 vcc_lo, v29, v16
	s_delay_alu instid0(VALU_DEP_2) | instskip(NEXT) | instid1(VALU_DEP_1)
	v_dual_cndmask_b32 v29, v29, v32 :: v_dual_add_nc_u32 v30, 1, v17
	v_cndmask_b32_e32 v17, v17, v30, vcc_lo
	v_xor_b32_e32 v30, s15, v12
	s_delay_alu instid0(VALU_DEP_3) | instskip(NEXT) | instid1(VALU_DEP_3)
	v_cmp_ge_u32_e32 vcc_lo, v29, v16
	v_add_nc_u32_e32 v32, 1, v17
	s_delay_alu instid0(VALU_DEP_3) | instskip(NEXT) | instid1(VALU_DEP_2)
	v_ashrrev_i32_e32 v30, 31, v30
	v_cndmask_b32_e32 v16, v17, v32, vcc_lo
	s_delay_alu instid0(VALU_DEP_1) | instskip(NEXT) | instid1(VALU_DEP_1)
	v_xor_b32_e32 v16, v16, v30
	v_sub_nc_u32_e32 v30, v16, v30
	s_delay_alu instid0(VALU_DEP_1) | instskip(NEXT) | instid1(VALU_DEP_1)
	v_sub_nc_u32_e32 v16, 0, v30
	v_max_i32_e32 v29, v30, v16
	s_delay_alu instid0(VALU_DEP_1) | instskip(SKIP_1) | instid1(VALU_DEP_2)
	v_cvt_f32_u32_e32 v16, v29
	v_sub_nc_u32_e32 v17, 0, v29
	v_rcp_iflag_f32_e32 v16, v16
	s_waitcnt_depctr 0xfff
	v_mul_f32_e32 v16, 0x4f7ffffe, v16
	s_delay_alu instid0(VALU_DEP_1) | instskip(NEXT) | instid1(VALU_DEP_1)
	v_cvt_u32_f32_e32 v16, v16
	v_mul_lo_u32 v17, v17, v16
	s_delay_alu instid0(VALU_DEP_1) | instskip(NEXT) | instid1(VALU_DEP_1)
	v_mul_hi_u32 v17, v16, v17
	v_add_nc_u32_e32 v32, v16, v17
	s_delay_alu instid0(VALU_DEP_1)
	v_mad_u64_u32 v[16:17], null, s0, v32, 0
	v_cmpx_ne_u64_e32 0, v[19:20]
	s_cbranch_execz .LBB119_3
; %bb.2:
	s_ashr_i32 s13, s12, 31
	s_delay_alu instid0(SALU_CYCLE_1) | instskip(NEXT) | instid1(SALU_CYCLE_1)
	s_lshl_b64 s[4:5], s[12:13], 2
	v_add_co_u32 v19, vcc_lo, v19, s4
	v_add_co_ci_u32_e32 v20, vcc_lo, s5, v20, vcc_lo
	flat_load_b32 v126, v[19:20]
.LBB119_3:
	s_or_b32 exec_lo, exec_lo, s1
	v_and_b32_e32 v47, 0x3ff, v31
	v_ashrrev_i32_e32 v16, 31, v30
	s_ashr_i32 s1, s12, 31
	s_lshl_b32 s4, s12, 8
	s_mov_b32 s2, exec_lo
	v_cmpx_gt_u32_e32 32, v47
	s_cbranch_execz .LBB119_5
; %bb.4:
	v_mul_lo_u32 v19, s10, v21
	s_ashr_i32 s5, s4, 31
	v_lshlrev_b32_e32 v21, 4, v47
	s_lshl_b64 s[16:17], s[4:5], 1
	s_delay_alu instid0(VALU_DEP_2) | instskip(NEXT) | instid1(VALU_DEP_1)
	v_ashrrev_i32_e32 v20, 31, v19
	v_lshlrev_b64 v[19:20], 1, v[19:20]
	s_delay_alu instid0(VALU_DEP_1) | instskip(NEXT) | instid1(VALU_DEP_2)
	v_add_co_u32 v6, vcc_lo, v6, v19
	v_add_co_ci_u32_e32 v7, vcc_lo, v7, v20, vcc_lo
	s_delay_alu instid0(VALU_DEP_2) | instskip(NEXT) | instid1(VALU_DEP_2)
	v_add_co_u32 v6, vcc_lo, v6, s16
	v_add_co_ci_u32_e32 v7, vcc_lo, s17, v7, vcc_lo
	s_delay_alu instid0(VALU_DEP_2) | instskip(NEXT) | instid1(VALU_DEP_2)
	v_add_co_u32 v6, vcc_lo, v6, v21
	v_add_co_ci_u32_e32 v7, vcc_lo, 0, v7, vcc_lo
	flat_load_b128 v[30:33], v[6:7]
	s_waitcnt vmcnt(0) lgkmcnt(0)
	ds_store_b128 v21, v[30:33]
.LBB119_5:
	s_or_b32 exec_lo, exec_lo, s2
	v_sub_nc_u32_e32 v6, 0, v27
	v_mul_lo_u32 v7, v17, v29
	v_add_nc_u32_e32 v20, 1, v17
	v_xor_b32_e32 v31, s1, v16
	s_waitcnt vmcnt(0) lgkmcnt(0)
	s_waitcnt_vscnt null, 0x0
	v_max_i32_e32 v111, v27, v6
	s_barrier
	buffer_gl0_inv
	v_sub_nc_u32_e32 v7, s0, v7
	v_cvt_f32_u32_e32 v6, v111
	v_sub_nc_u32_e32 v19, 0, v111
	s_mov_b32 s0, exec_lo
	s_delay_alu instid0(VALU_DEP_3) | instskip(NEXT) | instid1(VALU_DEP_3)
	v_sub_nc_u32_e32 v21, v7, v29
	v_rcp_iflag_f32_e32 v6, v6
	v_cmp_ge_u32_e32 vcc_lo, v7, v29
	v_dual_cndmask_b32 v20, v17, v20 :: v_dual_add_nc_u32 v17, -1, v110
	s_waitcnt_depctr 0xfff
	v_dual_cndmask_b32 v7, v7, v21 :: v_dual_mul_f32 v6, 0x4f7ffffe, v6
	v_add_nc_u32_e32 v21, 1, v20
	v_sub_nc_u32_e32 v30, 0, v17
	s_delay_alu instid0(VALU_DEP_3) | instskip(NEXT) | instid1(VALU_DEP_4)
	v_cmp_ge_u32_e32 vcc_lo, v7, v29
	v_cvt_u32_f32_e32 v6, v6
	s_delay_alu instid0(VALU_DEP_3) | instskip(NEXT) | instid1(VALU_DEP_2)
	v_max_i32_e32 v16, v17, v30
	v_mul_lo_u32 v19, v19, v6
	s_delay_alu instid0(VALU_DEP_1) | instskip(SKIP_1) | instid1(VALU_DEP_2)
	v_mul_hi_u32 v19, v6, v19
	v_cndmask_b32_e32 v7, v20, v21, vcc_lo
                                        ; implicit-def: $vgpr20
	v_add_nc_u32_e32 v120, v6, v19
	s_delay_alu instid0(VALU_DEP_2) | instskip(NEXT) | instid1(VALU_DEP_2)
	v_xor_b32_e32 v19, v7, v31
	v_mad_u64_u32 v[6:7], null, v16, v120, 0
	s_delay_alu instid0(VALU_DEP_2)
	v_sub_nc_u32_e32 v6, v19, v31
	v_cmpx_gt_i32_e32 0, v28
	s_xor_b32 s0, exec_lo, s0
; %bb.6:
	s_delay_alu instid0(VALU_DEP_2) | instskip(NEXT) | instid1(VALU_DEP_1)
	v_mad_u64_u32 v[19:20], null, v24, v12, v[6:7]
                                        ; implicit-def: $vgpr24
	v_mul_lo_u32 v12, v19, v28
                                        ; implicit-def: $vgpr28
	s_delay_alu instid0(VALU_DEP_1)
	v_sub_nc_u32_e32 v20, 1, v12
; %bb.7:
	s_or_saveexec_b32 s0, s0
	v_ashrrev_i32_e32 v12, 31, v17
	v_ashrrev_i32_e32 v121, 31, v27
	s_xor_b32 exec_lo, exec_lo, s0
; %bb.8:
	v_mad_u64_u32 v[19:20], null, s15, v24, s[12:13]
	s_delay_alu instid0(VALU_DEP_1)
	v_mad_u64_u32 v[20:21], null, v19, v28, 1
; %bb.9:
	s_or_b32 exec_lo, exec_lo, s0
	v_mul_lo_u32 v17, v7, v111
	v_dual_mov_b32 v136, 0xff7fffff :: v_dual_add_nc_u32 v19, 31, v110
	s_clause 0x1
	s_load_b32 s16, s[8:9], 0x14
	s_load_b32 s5, s[8:9], 0x8
	v_xor_b32_e32 v24, v12, v121
	v_lshrrev_b32_e32 v12, 5, v47
	v_ashrrev_i32_e32 v21, 31, v19
	v_mul_lo_u32 v106, v6, v23
	v_sub_nc_u32_e32 v17, v16, v17
	v_mul_lo_u32 v16, s10, v18
	v_add_nc_u32_e32 v18, 1, v7
	s_lshl_b32 s13, s14, 4
	v_sub_nc_u32_e32 v81, 0, v26
	v_sub_nc_u32_e32 v27, v17, v111
	v_cmp_ge_u32_e32 vcc_lo, v17, v111
	s_add_i32 s0, s13, 16
	v_add_nc_u32_e32 v23, s13, v12
	v_lshl_add_u32 v122, v12, 5, s3
	v_ashrrev_i32_e32 v107, 31, v106
	v_cndmask_b32_e32 v7, v7, v18, vcc_lo
	v_lshrrev_b32_e32 v18, 27, v21
	v_cndmask_b32_e32 v17, v17, v27, vcc_lo
	v_and_b32_e32 v21, 31, v47
	s_delay_alu instid0(VALU_DEP_3) | instskip(NEXT) | instid1(VALU_DEP_3)
	v_add_nc_u32_e32 v18, v19, v18
	v_cmp_ge_u32_e32 vcc_lo, v17, v111
	s_delay_alu instid0(VALU_DEP_3) | instskip(SKIP_3) | instid1(VALU_DEP_3)
	v_lshlrev_b32_e32 v30, 2, v21
	v_add_nc_u32_e32 v27, 1, v7
	v_ashrrev_i32_e32 v17, 31, v16
	v_ashrrev_i32_e32 v82, 5, v18
	v_cndmask_b32_e32 v7, v7, v27, vcc_lo
	s_delay_alu instid0(VALU_DEP_3) | instskip(NEXT) | instid1(VALU_DEP_3)
	v_lshlrev_b64 v[104:105], 2, v[16:17]
	v_min_i32_e32 v123, s0, v82
	s_delay_alu instid0(VALU_DEP_3) | instskip(NEXT) | instid1(VALU_DEP_2)
	v_xor_b32_e32 v6, v7, v24
	v_cmp_lt_i32_e64 s0, v23, v123
	s_delay_alu instid0(VALU_DEP_2) | instskip(SKIP_1) | instid1(VALU_DEP_2)
	v_sub_nc_u32_e32 v6, v6, v24
	v_ashrrev_i32_e32 v24, 31, v23
	v_sub_nc_u32_e32 v25, v6, v25
	s_delay_alu instid0(VALU_DEP_4)
	s_and_saveexec_b32 s17, s0
	s_cbranch_execz .LBB119_17
; %bb.10:
	v_max_i32_e32 v137, v26, v81
	s_ashr_i32 s7, s6, 31
	s_getpc_b64 s[8:9]
	s_add_u32 s8, s8, llvm.amdgcn.dynlds.offset.table@rel32@lo+4
	s_addc_u32 s9, s9, llvm.amdgcn.dynlds.offset.table@rel32@hi+12
	v_sub_nc_u32_e32 v27, v21, v110
	s_lshl_b64 s[18:19], s[6:7], 2
	v_cvt_f32_u32_e32 v6, v137
	v_sub_nc_u32_e32 v28, 0, v137
	s_add_u32 s8, s18, s8
	s_addc_u32 s9, s19, s9
	v_add_nc_u32_e32 v142, 1, v27
	v_rcp_iflag_f32_e32 v18, v6
	v_lshlrev_b64 v[6:7], 1, v[106:107]
	s_load_b32 s7, s[8:9], 0x0
	v_lshlrev_b64 v[16:17], 2, v[23:24]
	v_dual_mov_b32 v138, 0 :: v_dual_lshlrev_b32 v19, 4, v21
	v_cmp_neq_f32_e32 vcc_lo, 0, v126
	s_delay_alu instid0(VALU_DEP_4) | instskip(NEXT) | instid1(VALU_DEP_1)
	v_add_co_u32 v6, s1, v8, v6
	v_add_co_ci_u32_e64 v7, s1, v9, v7, s1
	s_delay_alu instid0(TRANS32_DEP_1) | instskip(SKIP_1) | instid1(VALU_DEP_1)
	v_mul_f32_e32 v18, 0x4f7ffffe, v18
	v_add_co_u32 v8, s1, v104, v16
	v_add_co_ci_u32_e64 v9, s1, v105, v17, s1
	s_delay_alu instid0(VALU_DEP_3) | instskip(SKIP_1) | instid1(VALU_DEP_1)
	v_cvt_u32_f32_e32 v18, v18
	v_add_co_u32 v143, s1, v6, v19
	v_add_co_ci_u32_e64 v152, s1, 0, v7, s1
	s_delay_alu instid0(VALU_DEP_3)
	v_mul_lo_u32 v27, v28, v18
	v_add_co_u32 v108, s1, v14, v8
	v_lshl_add_u32 v139, v12, 5, s3
	v_lshl_or_b32 v140, v12, 7, v30
	v_dual_mov_b32 v141, 0xff7fffff :: v_dual_mov_b32 v136, 0xff7fffff
	v_add_co_ci_u32_e64 v109, s1, v15, v9, s1
	v_mul_hi_u32 v16, v18, v27
	s_mov_b32 s18, 0
	scratch_store_b32 off, v82, s32 offset:320 ; 4-byte Folded Spill
	v_dual_mov_b32 v154, v23 :: v_dual_add_nc_u32 v153, v18, v16
	s_branch .LBB119_12
.LBB119_11:                             ;   in Loop: Header=BB119_12 Depth=1
	s_or_b32 exec_lo, exec_lo, s2
	v_add_nc_u32_e32 v154, 4, v154
	v_add_co_u32 v108, s2, v108, 16
	s_delay_alu instid0(VALU_DEP_1) | instskip(NEXT) | instid1(VALU_DEP_3)
	v_add_co_ci_u32_e64 v109, s2, 0, v109, s2
	v_cmp_ge_i32_e64 s1, v154, v123
	v_add_nc_u32_e32 v139, 0x80, v139
	v_add_nc_u32_e32 v140, 0x200, v140
	s_delay_alu instid0(VALU_DEP_3) | instskip(NEXT) | instid1(SALU_CYCLE_1)
	s_or_b32 s18, s1, s18
	s_and_not1_b32 exec_lo, exec_lo, s18
	s_cbranch_execz .LBB119_16
.LBB119_12:                             ; =>This Inner Loop Header: Depth=1
	v_sub_nc_u32_e32 v6, 0, v139
	s_delay_alu instid0(VALU_DEP_1) | instskip(NEXT) | instid1(VALU_DEP_1)
	v_max_i32_e32 v6, v139, v6
	v_mul_hi_u32 v7, v6, v120
	s_delay_alu instid0(VALU_DEP_1) | instskip(NEXT) | instid1(VALU_DEP_1)
	v_mul_lo_u32 v8, v7, v111
	v_sub_nc_u32_e32 v6, v6, v8
	v_add_nc_u32_e32 v8, 1, v7
	s_delay_alu instid0(VALU_DEP_2) | instskip(SKIP_1) | instid1(VALU_DEP_1)
	v_sub_nc_u32_e32 v9, v6, v111
	v_cmp_ge_u32_e64 s1, v6, v111
	v_cndmask_b32_e64 v7, v7, v8, s1
	s_delay_alu instid0(VALU_DEP_3) | instskip(SKIP_1) | instid1(VALU_DEP_3)
	v_cndmask_b32_e64 v6, v6, v9, s1
	v_ashrrev_i32_e32 v8, 31, v139
	v_add_nc_u32_e32 v9, 1, v7
	s_delay_alu instid0(VALU_DEP_3) | instskip(NEXT) | instid1(VALU_DEP_3)
	v_cmp_ge_u32_e64 s1, v6, v111
	v_xor_b32_e32 v8, v8, v121
	s_delay_alu instid0(VALU_DEP_2) | instskip(NEXT) | instid1(VALU_DEP_1)
	v_cndmask_b32_e64 v6, v7, v9, s1
	v_xor_b32_e32 v6, v6, v8
	s_delay_alu instid0(VALU_DEP_1) | instskip(NEXT) | instid1(VALU_DEP_1)
	v_sub_nc_u32_e32 v6, v6, v8
	v_add_nc_u32_e32 v7, v6, v20
	v_cmp_le_i32_e64 s2, v6, v25
	s_delay_alu instid0(VALU_DEP_2) | instskip(NEXT) | instid1(VALU_DEP_1)
	v_sub_nc_u32_e32 v8, 0, v7
	v_max_i32_e32 v8, v7, v8
	v_ashrrev_i32_e32 v7, 31, v7
	s_delay_alu instid0(VALU_DEP_2) | instskip(NEXT) | instid1(VALU_DEP_1)
	v_mul_hi_u32 v9, v8, v153
	v_mul_lo_u32 v9, v9, v137
	s_delay_alu instid0(VALU_DEP_1) | instskip(NEXT) | instid1(VALU_DEP_1)
	v_sub_nc_u32_e32 v8, v8, v9
	v_sub_nc_u32_e32 v9, v8, v137
	v_cmp_ge_u32_e64 s1, v8, v137
	s_delay_alu instid0(VALU_DEP_1) | instskip(NEXT) | instid1(VALU_DEP_1)
	v_cndmask_b32_e64 v8, v8, v9, s1
	v_sub_nc_u32_e32 v9, v8, v137
	v_cmp_ge_u32_e64 s1, v8, v137
	s_delay_alu instid0(VALU_DEP_1) | instskip(NEXT) | instid1(VALU_DEP_1)
	v_cndmask_b32_e64 v8, v8, v9, s1
	v_xor_b32_e32 v8, v8, v7
	s_delay_alu instid0(VALU_DEP_1) | instskip(NEXT) | instid1(VALU_DEP_1)
	v_sub_nc_u32_e32 v7, v8, v7
	v_cmp_ne_u32_e64 s1, 0, v7
	s_delay_alu instid0(VALU_DEP_1) | instskip(NEXT) | instid1(SALU_CYCLE_1)
	s_and_b32 s1, s1, s2
	s_and_saveexec_b32 s2, s1
	s_delay_alu instid0(SALU_CYCLE_1)
	s_xor_b32 s1, exec_lo, s2
	s_cbranch_execz .LBB119_14
; %bb.13:                               ;   in Loop: Header=BB119_12 Depth=1
	s_waitcnt lgkmcnt(0)
	v_add_nc_u32_e32 v6, s7, v140
	ds_store_b32 v6, v141
.LBB119_14:                             ;   in Loop: Header=BB119_12 Depth=1
	s_and_not1_saveexec_b32 s2, s1
	s_cbranch_execz .LBB119_11
; %bb.15:                               ;   in Loop: Header=BB119_12 Depth=1
	flat_load_b32 v8, v[108:109]
	s_waitcnt vmcnt(0) lgkmcnt(0)
	v_mad_i64_i32 v[6:7], null, v8, v22, 0
	v_add_nc_u32_e32 v8, v142, v139
	s_delay_alu instid0(VALU_DEP_1) | instskip(NEXT) | instid1(VALU_DEP_3)
	v_cvt_f32_i32_e32 v8, v8
	v_lshlrev_b64 v[6:7], 1, v[6:7]
	s_delay_alu instid0(VALU_DEP_2) | instskip(SKIP_1) | instid1(VALU_DEP_3)
	v_mul_f32_e32 v8, v126, v8
	v_add_nc_u32_e32 v156, v21, v139
	v_add_co_u32 v6, s1, v143, v6
	s_delay_alu instid0(VALU_DEP_1) | instskip(NEXT) | instid1(VALU_DEP_4)
	v_add_co_ci_u32_e64 v7, s1, v152, v7, s1
	v_cndmask_b32_e32 v155, 0, v8, vcc_lo
	s_delay_alu instid0(VALU_DEP_3)
	v_add_co_u32 v8, s1, 0x1000, v6
	s_clause 0x7
	flat_load_b128 v[168:171], v[6:7]
	flat_load_b128 v[92:95], v[6:7] offset:512
	flat_load_b128 v[88:91], v[6:7] offset:1024
	;; [unrolled: 1-line block ×7, first 2 shown]
	v_add_co_ci_u32_e64 v9, s1, 0, v7, s1
	s_clause 0x7
	flat_load_b128 v[39:42], v[8:9]
	flat_load_b128 v[180:183], v[8:9] offset:512
	flat_load_b128 v[176:179], v[8:9] offset:1024
	;; [unrolled: 1-line block ×7, first 2 shown]
	v_add_co_u32 v8, s1, 0x2000, v6
	s_delay_alu instid0(VALU_DEP_1) | instskip(SKIP_1) | instid1(VALU_DEP_1)
	v_add_co_ci_u32_e64 v9, s1, 0, v7, s1
	v_add_co_u32 v6, s1, 0x3000, v6
	v_add_co_ci_u32_e64 v7, s1, 0, v7, s1
	s_clause 0xf
	flat_load_b128 v[128:131], v[8:9]
	flat_load_b128 v[116:119], v[8:9] offset:512
	flat_load_b128 v[112:115], v[8:9] offset:1024
	;; [unrolled: 1-line block ×7, first 2 shown]
	flat_load_b128 v[64:67], v[6:7]
	flat_load_b128 v[52:55], v[6:7] offset:512
	flat_load_b128 v[48:51], v[6:7] offset:1024
	;; [unrolled: 1-line block ×7, first 2 shown]
	ds_load_b128 v[172:175], v138
	s_load_b32 s19, s[8:9], 0x0
	v_cmp_lt_i32_e64 s1, v156, v110
	s_waitcnt lgkmcnt(0)
	v_lshrrev_b32_e32 v157, 16, v172
	v_and_b32_e32 v158, 0xffff, v172
	;;#ASMSTART
	v_cvt_f32_f16 v158, v158;
	;;#ASMEND
	;;#ASMSTART
	v_cvt_f32_f16 v159, v157;
	;;#ASMEND
	s_waitcnt vmcnt(31)
	v_lshrrev_b32_e32 v157, 16, v168
	v_and_b32_e32 v168, 0xffff, v168
	;;#ASMSTART
	v_cvt_f32_f16 v172, v168;
	;;#ASMEND
	v_and_b32_e32 v168, 0xffff, v173
	;;#ASMSTART
	v_cvt_f32_f16 v184, v157;
	;;#ASMEND
	v_lshrrev_b32_e32 v157, 16, v173
	;;#ASMSTART
	v_cvt_f32_f16 v173, v168;
	;;#ASMEND
	v_and_b32_e32 v168, 0xffff, v169
	;;#ASMSTART
	v_cvt_f32_f16 v185, v157;
	;;#ASMEND
	v_lshrrev_b32_e32 v157, 16, v169
	;; [unrolled: 8-line block ×6, first 2 shown]
	;;#ASMSTART
	v_cvt_f32_f16 v125, v168;
	;;#ASMEND
	;;#ASMSTART
	v_cvt_f32_f16 v124, v157;
	;;#ASMEND
	ds_load_b128 v[168:171], v138 offset:16
	s_waitcnt vmcnt(30)
	v_lshrrev_b32_e32 v127, 16, v92
	v_and_b32_e32 v92, 0xffff, v92
	s_waitcnt lgkmcnt(0)
	v_lshrrev_b32_e32 v157, 16, v168
	v_and_b32_e32 v168, 0xffff, v168
	;;#ASMSTART
	v_cvt_f32_f16 v168, v168;
	;;#ASMEND
	;;#ASMSTART
	v_cvt_f32_f16 v157, v157;
	;;#ASMEND
	;; [unrolled: 3-line block ×4, first 2 shown]
	v_dual_mul_f32 v92, v168, v92 :: v_dual_mul_f32 v157, v157, v127
	v_lshrrev_b32_e32 v127, 16, v169
	v_lshrrev_b32_e32 v168, 16, v94
	s_delay_alu instid0(VALU_DEP_3)
	v_dual_fmac_f32 v157, v159, v184 :: v_dual_and_b32 v94, 0xffff, v94
	v_lshrrev_b32_e32 v159, 16, v93
	v_dual_fmac_f32 v92, v158, v172 :: v_dual_and_b32 v93, 0xffff, v93
	v_and_b32_e32 v158, 0xffff, v169
	;;#ASMSTART
	v_cvt_f32_f16 v158, v158;
	;;#ASMEND
	;;#ASMSTART
	v_cvt_f32_f16 v127, v127;
	;;#ASMEND
	;; [unrolled: 3-line block ×4, first 2 shown]
	v_add_nc_u32_e32 v156, s19, v140
	v_dual_mul_f32 v158, v158, v93 :: v_dual_mul_f32 v93, v127, v159
	v_lshrrev_b32_e32 v127, 16, v170
	v_and_b32_e32 v159, 0xffff, v170
	;;#ASMSTART
	v_cvt_f32_f16 v159, v159;
	;;#ASMEND
	;;#ASMSTART
	v_cvt_f32_f16 v127, v127;
	;;#ASMEND
	;; [unrolled: 3-line block ×4, first 2 shown]
	v_mul_f32_e32 v159, v159, v94
	v_mul_f32_e32 v94, v127, v168
	v_lshrrev_b32_e32 v127, 16, v171
	v_and_b32_e32 v168, 0xffff, v171
	v_lshrrev_b32_e32 v169, 16, v95
	v_and_b32_e32 v95, 0xffff, v95
	;;#ASMSTART
	v_cvt_f32_f16 v168, v168;
	;;#ASMEND
	;;#ASMSTART
	v_cvt_f32_f16 v127, v127;
	;;#ASMEND
	;; [unrolled: 3-line block ×4, first 2 shown]
	v_dual_mul_f32 v168, v168, v95 :: v_dual_mul_f32 v95, v127, v169
	ds_load_b128 v[169:172], v138 offset:32
	v_fmac_f32_e32 v158, v173, v186
	v_dual_fmac_f32 v93, v185, v187 :: v_dual_fmac_f32 v168, v175, v125
	v_fmac_f32_e32 v95, v191, v124
	s_waitcnt vmcnt(29)
	v_lshrrev_b32_e32 v127, 16, v88
	v_dual_fmac_f32 v159, v174, v189 :: v_dual_and_b32 v88, 0xffff, v88
	s_waitcnt lgkmcnt(0)
	v_and_b32_e32 v125, 0xffff, v169
	v_lshrrev_b32_e32 v124, 16, v169
	;;#ASMSTART
	v_cvt_f32_f16 v125, v125;
	;;#ASMEND
	;;#ASMSTART
	v_cvt_f32_f16 v124, v124;
	;;#ASMEND
	;;#ASMSTART
	v_cvt_f32_f16 v88, v88;
	;;#ASMEND
	v_fmac_f32_e32 v92, v125, v88
	v_lshrrev_b32_e32 v125, 16, v89
	v_dual_fmac_f32 v94, v188, v190 :: v_dual_and_b32 v89, 0xffff, v89
	;;#ASMSTART
	v_cvt_f32_f16 v127, v127;
	;;#ASMEND
	v_fmac_f32_e32 v157, v124, v127
	v_lshrrev_b32_e32 v88, 16, v170
	v_and_b32_e32 v124, 0xffff, v170
	;;#ASMSTART
	v_cvt_f32_f16 v124, v124;
	;;#ASMEND
	;;#ASMSTART
	v_cvt_f32_f16 v88, v88;
	;;#ASMEND
	;; [unrolled: 3-line block ×4, first 2 shown]
	v_fmac_f32_e32 v158, v124, v89
	v_fmac_f32_e32 v93, v88, v125
	v_lshrrev_b32_e32 v88, 16, v171
	v_and_b32_e32 v89, 0xffff, v171
	v_lshrrev_b32_e32 v124, 16, v90
	v_and_b32_e32 v90, 0xffff, v90
	;;#ASMSTART
	v_cvt_f32_f16 v89, v89;
	;;#ASMEND
	;;#ASMSTART
	v_cvt_f32_f16 v88, v88;
	;;#ASMEND
	;;#ASMSTART
	v_cvt_f32_f16 v90, v90;
	;;#ASMEND
	;;#ASMSTART
	v_cvt_f32_f16 v124, v124;
	;;#ASMEND
	v_dual_fmac_f32 v159, v89, v90 :: v_dual_fmac_f32 v94, v88, v124
	v_lshrrev_b32_e32 v88, 16, v172
	v_and_b32_e32 v89, 0xffff, v172
	v_lshrrev_b32_e32 v90, 16, v91
	v_and_b32_e32 v91, 0xffff, v91
	;;#ASMSTART
	v_cvt_f32_f16 v89, v89;
	;;#ASMEND
	;;#ASMSTART
	v_cvt_f32_f16 v88, v88;
	;;#ASMEND
	;; [unrolled: 3-line block ×4, first 2 shown]
	v_dual_fmac_f32 v168, v89, v91 :: v_dual_fmac_f32 v95, v88, v90
	ds_load_b128 v[88:91], v138 offset:48
	s_waitcnt vmcnt(28)
	v_lshrrev_b32_e32 v125, 16, v76
	v_and_b32_e32 v76, 0xffff, v76
	s_waitcnt lgkmcnt(0)
	v_lshrrev_b32_e32 v124, 16, v88
	v_and_b32_e32 v88, 0xffff, v88
	;;#ASMSTART
	v_cvt_f32_f16 v88, v88;
	;;#ASMEND
	;;#ASMSTART
	v_cvt_f32_f16 v124, v124;
	;;#ASMEND
	;; [unrolled: 3-line block ×3, first 2 shown]
	s_delay_alu instid0(VALU_DEP_1)
	v_fmac_f32_e32 v92, v88, v76
	v_lshrrev_b32_e32 v76, 16, v89
	v_and_b32_e32 v88, 0xffff, v89
	v_lshrrev_b32_e32 v89, 16, v77
	v_and_b32_e32 v77, 0xffff, v77
	;;#ASMSTART
	v_cvt_f32_f16 v125, v125;
	;;#ASMEND
	;;#ASMSTART
	v_cvt_f32_f16 v88, v88;
	;;#ASMEND
	;; [unrolled: 3-line block ×5, first 2 shown]
	v_fmac_f32_e32 v158, v88, v77
	v_fmac_f32_e32 v93, v76, v89
	v_lshrrev_b32_e32 v76, 16, v90
	v_and_b32_e32 v77, 0xffff, v90
	v_lshrrev_b32_e32 v88, 16, v78
	v_and_b32_e32 v78, 0xffff, v78
	;;#ASMSTART
	v_cvt_f32_f16 v77, v77;
	;;#ASMEND
	;;#ASMSTART
	v_cvt_f32_f16 v76, v76;
	;;#ASMEND
	;; [unrolled: 3-line block ×4, first 2 shown]
	v_fmac_f32_e32 v159, v77, v78
	v_dual_fmac_f32 v94, v76, v88 :: v_dual_and_b32 v77, 0xffff, v91
	v_lshrrev_b32_e32 v76, 16, v91
	v_lshrrev_b32_e32 v78, 16, v79
	v_and_b32_e32 v79, 0xffff, v79
	;;#ASMSTART
	v_cvt_f32_f16 v77, v77;
	;;#ASMEND
	;;#ASMSTART
	v_cvt_f32_f16 v76, v76;
	;;#ASMEND
	;; [unrolled: 3-line block ×4, first 2 shown]
	v_dual_fmac_f32 v168, v77, v79 :: v_dual_fmac_f32 v95, v76, v78
	ds_load_b128 v[76:79], v138 offset:64
	s_waitcnt vmcnt(27)
	v_lshrrev_b32_e32 v89, 16, v72
	v_dual_fmac_f32 v157, v124, v125 :: v_dual_and_b32 v72, 0xffff, v72
	s_waitcnt lgkmcnt(0)
	v_lshrrev_b32_e32 v88, 16, v76
	v_and_b32_e32 v76, 0xffff, v76
	;;#ASMSTART
	v_cvt_f32_f16 v76, v76;
	;;#ASMEND
	;;#ASMSTART
	v_cvt_f32_f16 v88, v88;
	;;#ASMEND
	;; [unrolled: 3-line block ×3, first 2 shown]
	s_delay_alu instid0(VALU_DEP_1)
	v_fmac_f32_e32 v92, v76, v72
	v_lshrrev_b32_e32 v72, 16, v77
	v_and_b32_e32 v76, 0xffff, v77
	v_lshrrev_b32_e32 v77, 16, v73
	v_and_b32_e32 v73, 0xffff, v73
	;;#ASMSTART
	v_cvt_f32_f16 v89, v89;
	;;#ASMEND
	;;#ASMSTART
	v_cvt_f32_f16 v76, v76;
	;;#ASMEND
	;; [unrolled: 3-line block ×5, first 2 shown]
	v_fmac_f32_e32 v158, v76, v73
	v_fmac_f32_e32 v93, v72, v77
	v_lshrrev_b32_e32 v72, 16, v78
	v_and_b32_e32 v73, 0xffff, v78
	v_lshrrev_b32_e32 v76, 16, v74
	v_and_b32_e32 v74, 0xffff, v74
	;;#ASMSTART
	v_cvt_f32_f16 v73, v73;
	;;#ASMEND
	;;#ASMSTART
	v_cvt_f32_f16 v72, v72;
	;;#ASMEND
	;; [unrolled: 3-line block ×4, first 2 shown]
	v_fmac_f32_e32 v159, v73, v74
	v_dual_fmac_f32 v94, v72, v76 :: v_dual_and_b32 v73, 0xffff, v79
	v_lshrrev_b32_e32 v72, 16, v79
	v_lshrrev_b32_e32 v74, 16, v75
	v_and_b32_e32 v75, 0xffff, v75
	;;#ASMSTART
	v_cvt_f32_f16 v73, v73;
	;;#ASMEND
	;;#ASMSTART
	v_cvt_f32_f16 v72, v72;
	;;#ASMEND
	;; [unrolled: 3-line block ×4, first 2 shown]
	v_dual_fmac_f32 v168, v73, v75 :: v_dual_fmac_f32 v95, v72, v74
	ds_load_b128 v[72:75], v138 offset:80
	s_waitcnt vmcnt(26)
	v_lshrrev_b32_e32 v77, 16, v60
	v_dual_fmac_f32 v157, v88, v89 :: v_dual_and_b32 v60, 0xffff, v60
	s_waitcnt lgkmcnt(0)
	v_lshrrev_b32_e32 v76, 16, v72
	v_and_b32_e32 v72, 0xffff, v72
	;;#ASMSTART
	v_cvt_f32_f16 v72, v72;
	;;#ASMEND
	;;#ASMSTART
	v_cvt_f32_f16 v76, v76;
	;;#ASMEND
	;; [unrolled: 3-line block ×3, first 2 shown]
	s_delay_alu instid0(VALU_DEP_1)
	v_fmac_f32_e32 v92, v72, v60
	v_lshrrev_b32_e32 v60, 16, v73
	v_and_b32_e32 v72, 0xffff, v73
	v_lshrrev_b32_e32 v73, 16, v61
	v_and_b32_e32 v61, 0xffff, v61
	;;#ASMSTART
	v_cvt_f32_f16 v77, v77;
	;;#ASMEND
	;;#ASMSTART
	v_cvt_f32_f16 v72, v72;
	;;#ASMEND
	;; [unrolled: 3-line block ×5, first 2 shown]
	v_fmac_f32_e32 v158, v72, v61
	v_fmac_f32_e32 v93, v60, v73
	v_lshrrev_b32_e32 v60, 16, v74
	v_and_b32_e32 v61, 0xffff, v74
	v_lshrrev_b32_e32 v72, 16, v62
	v_and_b32_e32 v62, 0xffff, v62
	;;#ASMSTART
	v_cvt_f32_f16 v61, v61;
	;;#ASMEND
	;;#ASMSTART
	v_cvt_f32_f16 v60, v60;
	;;#ASMEND
	;; [unrolled: 3-line block ×4, first 2 shown]
	v_fmac_f32_e32 v159, v61, v62
	v_dual_fmac_f32 v94, v60, v72 :: v_dual_and_b32 v61, 0xffff, v75
	v_lshrrev_b32_e32 v60, 16, v75
	v_lshrrev_b32_e32 v62, 16, v63
	v_and_b32_e32 v63, 0xffff, v63
	;;#ASMSTART
	v_cvt_f32_f16 v61, v61;
	;;#ASMEND
	;;#ASMSTART
	v_cvt_f32_f16 v60, v60;
	;;#ASMEND
	;; [unrolled: 3-line block ×4, first 2 shown]
	v_dual_fmac_f32 v168, v61, v63 :: v_dual_fmac_f32 v95, v60, v62
	ds_load_b128 v[60:63], v138 offset:96
	s_waitcnt vmcnt(25)
	v_lshrrev_b32_e32 v73, 16, v56
	v_dual_fmac_f32 v157, v76, v77 :: v_dual_and_b32 v56, 0xffff, v56
	s_waitcnt lgkmcnt(0)
	v_lshrrev_b32_e32 v72, 16, v60
	v_and_b32_e32 v60, 0xffff, v60
	;;#ASMSTART
	v_cvt_f32_f16 v60, v60;
	;;#ASMEND
	;;#ASMSTART
	v_cvt_f32_f16 v72, v72;
	;;#ASMEND
	;; [unrolled: 3-line block ×3, first 2 shown]
	s_delay_alu instid0(VALU_DEP_1)
	v_fmac_f32_e32 v92, v60, v56
	v_lshrrev_b32_e32 v56, 16, v61
	v_and_b32_e32 v60, 0xffff, v61
	v_lshrrev_b32_e32 v61, 16, v57
	v_and_b32_e32 v57, 0xffff, v57
	;;#ASMSTART
	v_cvt_f32_f16 v73, v73;
	;;#ASMEND
	;;#ASMSTART
	v_cvt_f32_f16 v60, v60;
	;;#ASMEND
	;; [unrolled: 3-line block ×5, first 2 shown]
	v_fmac_f32_e32 v158, v60, v57
	v_fmac_f32_e32 v93, v56, v61
	v_lshrrev_b32_e32 v56, 16, v62
	v_and_b32_e32 v57, 0xffff, v62
	v_lshrrev_b32_e32 v60, 16, v58
	v_and_b32_e32 v58, 0xffff, v58
	;;#ASMSTART
	v_cvt_f32_f16 v57, v57;
	;;#ASMEND
	;;#ASMSTART
	v_cvt_f32_f16 v56, v56;
	;;#ASMEND
	;; [unrolled: 3-line block ×4, first 2 shown]
	v_fmac_f32_e32 v159, v57, v58
	v_dual_fmac_f32 v94, v56, v60 :: v_dual_and_b32 v57, 0xffff, v63
	v_lshrrev_b32_e32 v56, 16, v63
	v_lshrrev_b32_e32 v58, 16, v59
	v_and_b32_e32 v59, 0xffff, v59
	;;#ASMSTART
	v_cvt_f32_f16 v57, v57;
	;;#ASMEND
	;;#ASMSTART
	v_cvt_f32_f16 v56, v56;
	;;#ASMEND
	;; [unrolled: 3-line block ×4, first 2 shown]
	v_dual_fmac_f32 v168, v57, v59 :: v_dual_fmac_f32 v95, v56, v58
	ds_load_b128 v[56:59], v138 offset:112
	s_waitcnt vmcnt(24)
	v_lshrrev_b32_e32 v61, 16, v43
	v_and_b32_e32 v43, 0xffff, v43
	v_fmac_f32_e32 v157, v72, v73
	s_waitcnt lgkmcnt(0)
	v_lshrrev_b32_e32 v60, 16, v56
	v_and_b32_e32 v56, 0xffff, v56
	;;#ASMSTART
	v_cvt_f32_f16 v56, v56;
	;;#ASMEND
	;;#ASMSTART
	v_cvt_f32_f16 v60, v60;
	;;#ASMEND
	;;#ASMSTART
	v_cvt_f32_f16 v43, v43;
	;;#ASMEND
	s_delay_alu instid0(VALU_DEP_1)
	v_fmac_f32_e32 v92, v56, v43
	v_lshrrev_b32_e32 v43, 16, v57
	v_and_b32_e32 v56, 0xffff, v57
	v_lshrrev_b32_e32 v57, 16, v44
	v_and_b32_e32 v44, 0xffff, v44
	;;#ASMSTART
	v_cvt_f32_f16 v61, v61;
	;;#ASMEND
	;;#ASMSTART
	v_cvt_f32_f16 v56, v56;
	;;#ASMEND
	;; [unrolled: 3-line block ×5, first 2 shown]
	v_dual_fmac_f32 v158, v56, v44 :: v_dual_fmac_f32 v93, v43, v57
	v_lshrrev_b32_e32 v43, 16, v58
	v_and_b32_e32 v44, 0xffff, v58
	v_lshrrev_b32_e32 v56, 16, v45
	v_and_b32_e32 v45, 0xffff, v45
	;;#ASMSTART
	v_cvt_f32_f16 v44, v44;
	;;#ASMEND
	;;#ASMSTART
	v_cvt_f32_f16 v43, v43;
	;;#ASMEND
	;; [unrolled: 3-line block ×4, first 2 shown]
	v_dual_fmac_f32 v159, v44, v45 :: v_dual_fmac_f32 v94, v43, v56
	v_lshrrev_b32_e32 v43, 16, v59
	v_and_b32_e32 v44, 0xffff, v59
	v_lshrrev_b32_e32 v45, 16, v46
	v_and_b32_e32 v46, 0xffff, v46
	;;#ASMSTART
	v_cvt_f32_f16 v44, v44;
	;;#ASMEND
	;;#ASMSTART
	v_cvt_f32_f16 v43, v43;
	;;#ASMEND
	;; [unrolled: 3-line block ×4, first 2 shown]
	v_dual_fmac_f32 v168, v44, v46 :: v_dual_fmac_f32 v95, v43, v45
	ds_load_b128 v[43:46], v138 offset:128
	s_waitcnt vmcnt(23)
	v_lshrrev_b32_e32 v57, 16, v39
	v_and_b32_e32 v39, 0xffff, v39
	v_fmac_f32_e32 v157, v60, v61
	s_waitcnt lgkmcnt(0)
	v_lshrrev_b32_e32 v56, 16, v43
	v_and_b32_e32 v43, 0xffff, v43
	;;#ASMSTART
	v_cvt_f32_f16 v43, v43;
	;;#ASMEND
	;;#ASMSTART
	v_cvt_f32_f16 v56, v56;
	;;#ASMEND
	;; [unrolled: 3-line block ×3, first 2 shown]
	s_delay_alu instid0(VALU_DEP_1)
	v_fmac_f32_e32 v92, v43, v39
	v_lshrrev_b32_e32 v39, 16, v44
	v_and_b32_e32 v43, 0xffff, v44
	v_lshrrev_b32_e32 v44, 16, v40
	v_and_b32_e32 v40, 0xffff, v40
	;;#ASMSTART
	v_cvt_f32_f16 v57, v57;
	;;#ASMEND
	;;#ASMSTART
	v_cvt_f32_f16 v43, v43;
	;;#ASMEND
	;; [unrolled: 3-line block ×5, first 2 shown]
	v_fmac_f32_e32 v158, v43, v40
	v_fmac_f32_e32 v93, v39, v44
	v_lshrrev_b32_e32 v39, 16, v45
	v_and_b32_e32 v40, 0xffff, v45
	v_lshrrev_b32_e32 v43, 16, v41
	v_and_b32_e32 v41, 0xffff, v41
	;;#ASMSTART
	v_cvt_f32_f16 v40, v40;
	;;#ASMEND
	;;#ASMSTART
	v_cvt_f32_f16 v39, v39;
	;;#ASMEND
	;;#ASMSTART
	v_cvt_f32_f16 v41, v41;
	;;#ASMEND
	;;#ASMSTART
	v_cvt_f32_f16 v43, v43;
	;;#ASMEND
	v_dual_fmac_f32 v159, v40, v41 :: v_dual_fmac_f32 v94, v39, v43
	v_lshrrev_b32_e32 v39, 16, v46
	v_and_b32_e32 v40, 0xffff, v46
	v_lshrrev_b32_e32 v41, 16, v42
	v_and_b32_e32 v42, 0xffff, v42
	;;#ASMSTART
	v_cvt_f32_f16 v40, v40;
	;;#ASMEND
	;;#ASMSTART
	v_cvt_f32_f16 v39, v39;
	;;#ASMEND
	;; [unrolled: 3-line block ×4, first 2 shown]
	v_dual_fmac_f32 v168, v40, v42 :: v_dual_fmac_f32 v95, v39, v41
	ds_load_b128 v[39:42], v138 offset:144
	s_waitcnt vmcnt(22)
	v_lshrrev_b32_e32 v44, 16, v180
	v_dual_fmac_f32 v157, v56, v57 :: v_dual_and_b32 v180, 0xffff, v180
	s_waitcnt lgkmcnt(0)
	v_lshrrev_b32_e32 v43, 16, v39
	v_and_b32_e32 v39, 0xffff, v39
	;;#ASMSTART
	v_cvt_f32_f16 v39, v39;
	;;#ASMEND
	;;#ASMSTART
	v_cvt_f32_f16 v43, v43;
	;;#ASMEND
	;; [unrolled: 3-line block ×3, first 2 shown]
	s_delay_alu instid0(VALU_DEP_1)
	v_fmac_f32_e32 v92, v39, v180
	v_lshrrev_b32_e32 v39, 16, v40
	v_and_b32_e32 v180, 0xffff, v40
	v_lshrrev_b32_e32 v40, 16, v181
	v_and_b32_e32 v181, 0xffff, v181
	;;#ASMSTART
	v_cvt_f32_f16 v44, v44;
	;;#ASMEND
	;;#ASMSTART
	v_cvt_f32_f16 v180, v180;
	;;#ASMEND
	;; [unrolled: 3-line block ×5, first 2 shown]
	v_dual_fmac_f32 v158, v180, v181 :: v_dual_fmac_f32 v93, v39, v40
	v_lshrrev_b32_e32 v39, 16, v41
	v_and_b32_e32 v180, 0xffff, v41
	v_lshrrev_b32_e32 v181, 16, v182
	v_and_b32_e32 v182, 0xffff, v182
	;;#ASMSTART
	v_cvt_f32_f16 v180, v180;
	;;#ASMEND
	;;#ASMSTART
	v_cvt_f32_f16 v39, v39;
	;;#ASMEND
	;; [unrolled: 3-line block ×4, first 2 shown]
	v_dual_fmac_f32 v159, v180, v182 :: v_dual_fmac_f32 v94, v39, v181
	v_lshrrev_b32_e32 v39, 16, v42
	v_and_b32_e32 v180, 0xffff, v42
	v_lshrrev_b32_e32 v181, 16, v183
	v_and_b32_e32 v182, 0xffff, v183
	;;#ASMSTART
	v_cvt_f32_f16 v180, v180;
	;;#ASMEND
	;;#ASMSTART
	v_cvt_f32_f16 v39, v39;
	;;#ASMEND
	;; [unrolled: 3-line block ×4, first 2 shown]
	v_dual_fmac_f32 v168, v180, v182 :: v_dual_fmac_f32 v95, v39, v181
	ds_load_b128 v[180:183], v138 offset:160
	v_fmac_f32_e32 v157, v43, v44
	s_waitcnt vmcnt(21)
	v_lshrrev_b32_e32 v40, 16, v176
	v_and_b32_e32 v176, 0xffff, v176
	s_waitcnt lgkmcnt(0)
	v_lshrrev_b32_e32 v39, 16, v180
	v_and_b32_e32 v180, 0xffff, v180
	;;#ASMSTART
	v_cvt_f32_f16 v180, v180;
	;;#ASMEND
	;;#ASMSTART
	v_cvt_f32_f16 v39, v39;
	;;#ASMEND
	;; [unrolled: 3-line block ×4, first 2 shown]
	v_fmac_f32_e32 v92, v180, v176
	v_fmac_f32_e32 v157, v39, v40
	v_lshrrev_b32_e32 v39, 16, v181
	v_and_b32_e32 v176, 0xffff, v181
	v_lshrrev_b32_e32 v180, 16, v177
	v_and_b32_e32 v177, 0xffff, v177
	;;#ASMSTART
	v_cvt_f32_f16 v176, v176;
	;;#ASMEND
	;;#ASMSTART
	v_cvt_f32_f16 v39, v39;
	;;#ASMEND
	;;#ASMSTART
	v_cvt_f32_f16 v177, v177;
	;;#ASMEND
	;;#ASMSTART
	v_cvt_f32_f16 v180, v180;
	;;#ASMEND
	v_dual_fmac_f32 v158, v176, v177 :: v_dual_fmac_f32 v93, v39, v180
	v_lshrrev_b32_e32 v39, 16, v182
	v_and_b32_e32 v176, 0xffff, v182
	v_lshrrev_b32_e32 v177, 16, v178
	v_and_b32_e32 v178, 0xffff, v178
	;;#ASMSTART
	v_cvt_f32_f16 v176, v176;
	;;#ASMEND
	;;#ASMSTART
	v_cvt_f32_f16 v39, v39;
	;;#ASMEND
	;;#ASMSTART
	v_cvt_f32_f16 v178, v178;
	;;#ASMEND
	;;#ASMSTART
	v_cvt_f32_f16 v177, v177;
	;;#ASMEND
	v_dual_fmac_f32 v159, v176, v178 :: v_dual_fmac_f32 v94, v39, v177
	;; [unrolled: 17-line block ×3, first 2 shown]
	ds_load_b128 v[176:179], v138 offset:176
	s_waitcnt vmcnt(20)
	v_lshrrev_b32_e32 v180, 16, v164
	v_and_b32_e32 v164, 0xffff, v164
	s_waitcnt lgkmcnt(0)
	v_lshrrev_b32_e32 v39, 16, v176
	v_and_b32_e32 v176, 0xffff, v176
	;;#ASMSTART
	v_cvt_f32_f16 v176, v176;
	;;#ASMEND
	;;#ASMSTART
	v_cvt_f32_f16 v39, v39;
	;;#ASMEND
	;;#ASMSTART
	v_cvt_f32_f16 v164, v164;
	;;#ASMEND
	;;#ASMSTART
	v_cvt_f32_f16 v180, v180;
	;;#ASMEND
	v_fmac_f32_e32 v92, v176, v164
	v_fmac_f32_e32 v157, v39, v180
	v_lshrrev_b32_e32 v39, 16, v177
	v_and_b32_e32 v164, 0xffff, v177
	v_lshrrev_b32_e32 v176, 16, v165
	v_and_b32_e32 v165, 0xffff, v165
	;;#ASMSTART
	v_cvt_f32_f16 v164, v164;
	;;#ASMEND
	;;#ASMSTART
	v_cvt_f32_f16 v39, v39;
	;;#ASMEND
	;;#ASMSTART
	v_cvt_f32_f16 v165, v165;
	;;#ASMEND
	;;#ASMSTART
	v_cvt_f32_f16 v176, v176;
	;;#ASMEND
	v_dual_fmac_f32 v158, v164, v165 :: v_dual_fmac_f32 v93, v39, v176
	v_lshrrev_b32_e32 v39, 16, v178
	v_and_b32_e32 v164, 0xffff, v178
	v_lshrrev_b32_e32 v165, 16, v166
	v_and_b32_e32 v166, 0xffff, v166
	;;#ASMSTART
	v_cvt_f32_f16 v164, v164;
	;;#ASMEND
	;;#ASMSTART
	v_cvt_f32_f16 v39, v39;
	;;#ASMEND
	;;#ASMSTART
	v_cvt_f32_f16 v166, v166;
	;;#ASMEND
	;;#ASMSTART
	v_cvt_f32_f16 v165, v165;
	;;#ASMEND
	v_dual_fmac_f32 v159, v164, v166 :: v_dual_fmac_f32 v94, v39, v165
	;; [unrolled: 17-line block ×3, first 2 shown]
	ds_load_b128 v[164:167], v138 offset:192
	s_waitcnt vmcnt(19)
	v_lshrrev_b32_e32 v176, 16, v160
	v_and_b32_e32 v160, 0xffff, v160
	s_waitcnt lgkmcnt(0)
	v_lshrrev_b32_e32 v39, 16, v164
	v_and_b32_e32 v164, 0xffff, v164
	;;#ASMSTART
	v_cvt_f32_f16 v164, v164;
	;;#ASMEND
	;;#ASMSTART
	v_cvt_f32_f16 v39, v39;
	;;#ASMEND
	;; [unrolled: 3-line block ×4, first 2 shown]
	v_fmac_f32_e32 v92, v164, v160
	v_fmac_f32_e32 v157, v39, v176
	v_lshrrev_b32_e32 v39, 16, v165
	v_and_b32_e32 v160, 0xffff, v165
	v_lshrrev_b32_e32 v164, 16, v161
	v_and_b32_e32 v161, 0xffff, v161
	;;#ASMSTART
	v_cvt_f32_f16 v160, v160;
	;;#ASMEND
	;;#ASMSTART
	v_cvt_f32_f16 v39, v39;
	;;#ASMEND
	;;#ASMSTART
	v_cvt_f32_f16 v161, v161;
	;;#ASMEND
	;;#ASMSTART
	v_cvt_f32_f16 v164, v164;
	;;#ASMEND
	v_dual_fmac_f32 v158, v160, v161 :: v_dual_fmac_f32 v93, v39, v164
	v_lshrrev_b32_e32 v39, 16, v166
	v_and_b32_e32 v160, 0xffff, v166
	v_lshrrev_b32_e32 v161, 16, v162
	v_and_b32_e32 v162, 0xffff, v162
	;;#ASMSTART
	v_cvt_f32_f16 v160, v160;
	;;#ASMEND
	;;#ASMSTART
	v_cvt_f32_f16 v39, v39;
	;;#ASMEND
	;;#ASMSTART
	v_cvt_f32_f16 v162, v162;
	;;#ASMEND
	;;#ASMSTART
	v_cvt_f32_f16 v161, v161;
	;;#ASMEND
	v_dual_fmac_f32 v159, v160, v162 :: v_dual_fmac_f32 v94, v39, v161
	;; [unrolled: 17-line block ×3, first 2 shown]
	ds_load_b128 v[160:163], v138 offset:208
	s_waitcnt vmcnt(18)
	v_lshrrev_b32_e32 v164, 16, v148
	v_and_b32_e32 v148, 0xffff, v148
	s_waitcnt lgkmcnt(0)
	v_lshrrev_b32_e32 v39, 16, v160
	v_and_b32_e32 v160, 0xffff, v160
	;;#ASMSTART
	v_cvt_f32_f16 v160, v160;
	;;#ASMEND
	;;#ASMSTART
	v_cvt_f32_f16 v39, v39;
	;;#ASMEND
	;; [unrolled: 3-line block ×4, first 2 shown]
	v_fmac_f32_e32 v92, v160, v148
	v_fmac_f32_e32 v157, v39, v164
	v_lshrrev_b32_e32 v39, 16, v161
	v_and_b32_e32 v148, 0xffff, v161
	v_lshrrev_b32_e32 v160, 16, v149
	v_and_b32_e32 v149, 0xffff, v149
	;;#ASMSTART
	v_cvt_f32_f16 v148, v148;
	;;#ASMEND
	;;#ASMSTART
	v_cvt_f32_f16 v39, v39;
	;;#ASMEND
	;;#ASMSTART
	v_cvt_f32_f16 v149, v149;
	;;#ASMEND
	;;#ASMSTART
	v_cvt_f32_f16 v160, v160;
	;;#ASMEND
	v_dual_fmac_f32 v158, v148, v149 :: v_dual_fmac_f32 v93, v39, v160
	v_lshrrev_b32_e32 v39, 16, v162
	v_and_b32_e32 v148, 0xffff, v162
	v_lshrrev_b32_e32 v149, 16, v150
	v_and_b32_e32 v150, 0xffff, v150
	;;#ASMSTART
	v_cvt_f32_f16 v148, v148;
	;;#ASMEND
	;;#ASMSTART
	v_cvt_f32_f16 v39, v39;
	;;#ASMEND
	;;#ASMSTART
	v_cvt_f32_f16 v150, v150;
	;;#ASMEND
	;;#ASMSTART
	v_cvt_f32_f16 v149, v149;
	;;#ASMEND
	v_dual_fmac_f32 v159, v148, v150 :: v_dual_fmac_f32 v94, v39, v149
	;; [unrolled: 17-line block ×3, first 2 shown]
	ds_load_b128 v[148:151], v138 offset:224
	s_waitcnt vmcnt(17)
	v_lshrrev_b32_e32 v160, 16, v144
	v_and_b32_e32 v144, 0xffff, v144
	s_waitcnt lgkmcnt(0)
	v_lshrrev_b32_e32 v39, 16, v148
	v_and_b32_e32 v148, 0xffff, v148
	;;#ASMSTART
	v_cvt_f32_f16 v148, v148;
	;;#ASMEND
	;;#ASMSTART
	v_cvt_f32_f16 v39, v39;
	;;#ASMEND
	;; [unrolled: 3-line block ×4, first 2 shown]
	v_fmac_f32_e32 v92, v148, v144
	v_fmac_f32_e32 v157, v39, v160
	v_lshrrev_b32_e32 v39, 16, v149
	v_and_b32_e32 v144, 0xffff, v149
	v_lshrrev_b32_e32 v148, 16, v145
	v_and_b32_e32 v145, 0xffff, v145
	;;#ASMSTART
	v_cvt_f32_f16 v144, v144;
	;;#ASMEND
	;;#ASMSTART
	v_cvt_f32_f16 v39, v39;
	;;#ASMEND
	;;#ASMSTART
	v_cvt_f32_f16 v145, v145;
	;;#ASMEND
	;;#ASMSTART
	v_cvt_f32_f16 v148, v148;
	;;#ASMEND
	v_dual_fmac_f32 v158, v144, v145 :: v_dual_fmac_f32 v93, v39, v148
	v_lshrrev_b32_e32 v39, 16, v150
	v_and_b32_e32 v144, 0xffff, v150
	v_lshrrev_b32_e32 v145, 16, v146
	v_and_b32_e32 v146, 0xffff, v146
	;;#ASMSTART
	v_cvt_f32_f16 v144, v144;
	;;#ASMEND
	;;#ASMSTART
	v_cvt_f32_f16 v39, v39;
	;;#ASMEND
	;;#ASMSTART
	v_cvt_f32_f16 v146, v146;
	;;#ASMEND
	;;#ASMSTART
	v_cvt_f32_f16 v145, v145;
	;;#ASMEND
	v_dual_fmac_f32 v159, v144, v146 :: v_dual_fmac_f32 v94, v39, v145
	v_lshrrev_b32_e32 v39, 16, v151
	v_and_b32_e32 v144, 0xffff, v151
	v_lshrrev_b32_e32 v145, 16, v147
	v_and_b32_e32 v146, 0xffff, v147
	;;#ASMSTART
	v_cvt_f32_f16 v144, v144;
	;;#ASMEND
	;;#ASMSTART
	v_cvt_f32_f16 v39, v39;
	;;#ASMEND
	;;#ASMSTART
	v_cvt_f32_f16 v146, v146;
	;;#ASMEND
	;;#ASMSTART
	v_cvt_f32_f16 v145, v145;
	;;#ASMEND
	v_dual_fmac_f32 v168, v144, v146 :: v_dual_fmac_f32 v95, v39, v145
	ds_load_b128 v[144:147], v138 offset:240
	s_waitcnt vmcnt(16)
	v_lshrrev_b32_e32 v148, 16, v132
	v_and_b32_e32 v132, 0xffff, v132
	s_waitcnt lgkmcnt(0)
	v_lshrrev_b32_e32 v39, 16, v144
	v_and_b32_e32 v144, 0xffff, v144
	;;#ASMSTART
	v_cvt_f32_f16 v144, v144;
	;;#ASMEND
	;;#ASMSTART
	v_cvt_f32_f16 v39, v39;
	;;#ASMEND
	;; [unrolled: 3-line block ×4, first 2 shown]
	v_fmac_f32_e32 v92, v144, v132
	v_fmac_f32_e32 v157, v39, v148
	v_lshrrev_b32_e32 v39, 16, v145
	v_and_b32_e32 v132, 0xffff, v145
	v_lshrrev_b32_e32 v144, 16, v133
	v_and_b32_e32 v133, 0xffff, v133
	;;#ASMSTART
	v_cvt_f32_f16 v132, v132;
	;;#ASMEND
	;;#ASMSTART
	v_cvt_f32_f16 v39, v39;
	;;#ASMEND
	;;#ASMSTART
	v_cvt_f32_f16 v133, v133;
	;;#ASMEND
	;;#ASMSTART
	v_cvt_f32_f16 v144, v144;
	;;#ASMEND
	v_dual_fmac_f32 v158, v132, v133 :: v_dual_fmac_f32 v93, v39, v144
	v_lshrrev_b32_e32 v39, 16, v146
	v_and_b32_e32 v132, 0xffff, v146
	v_lshrrev_b32_e32 v133, 16, v134
	v_and_b32_e32 v134, 0xffff, v134
	;;#ASMSTART
	v_cvt_f32_f16 v132, v132;
	;;#ASMEND
	;;#ASMSTART
	v_cvt_f32_f16 v39, v39;
	;;#ASMEND
	;;#ASMSTART
	v_cvt_f32_f16 v134, v134;
	;;#ASMEND
	;;#ASMSTART
	v_cvt_f32_f16 v133, v133;
	;;#ASMEND
	v_dual_fmac_f32 v159, v132, v134 :: v_dual_fmac_f32 v94, v39, v133
	;; [unrolled: 17-line block ×3, first 2 shown]
	ds_load_b128 v[132:135], v138 offset:256
	s_waitcnt vmcnt(15)
	v_lshrrev_b32_e32 v144, 16, v128
	v_and_b32_e32 v128, 0xffff, v128
	s_waitcnt lgkmcnt(0)
	v_lshrrev_b32_e32 v39, 16, v132
	v_and_b32_e32 v132, 0xffff, v132
	;;#ASMSTART
	v_cvt_f32_f16 v132, v132;
	;;#ASMEND
	;;#ASMSTART
	v_cvt_f32_f16 v39, v39;
	;;#ASMEND
	;; [unrolled: 3-line block ×4, first 2 shown]
	v_fmac_f32_e32 v92, v132, v128
	v_fmac_f32_e32 v157, v39, v144
	v_lshrrev_b32_e32 v39, 16, v133
	v_and_b32_e32 v128, 0xffff, v133
	v_lshrrev_b32_e32 v132, 16, v129
	v_and_b32_e32 v129, 0xffff, v129
	;;#ASMSTART
	v_cvt_f32_f16 v128, v128;
	;;#ASMEND
	;;#ASMSTART
	v_cvt_f32_f16 v39, v39;
	;;#ASMEND
	;;#ASMSTART
	v_cvt_f32_f16 v129, v129;
	;;#ASMEND
	;;#ASMSTART
	v_cvt_f32_f16 v132, v132;
	;;#ASMEND
	v_dual_fmac_f32 v158, v128, v129 :: v_dual_fmac_f32 v93, v39, v132
	v_lshrrev_b32_e32 v39, 16, v134
	v_and_b32_e32 v128, 0xffff, v134
	v_lshrrev_b32_e32 v129, 16, v130
	v_and_b32_e32 v130, 0xffff, v130
	;;#ASMSTART
	v_cvt_f32_f16 v128, v128;
	;;#ASMEND
	;;#ASMSTART
	v_cvt_f32_f16 v39, v39;
	;;#ASMEND
	;;#ASMSTART
	v_cvt_f32_f16 v130, v130;
	;;#ASMEND
	;;#ASMSTART
	v_cvt_f32_f16 v129, v129;
	;;#ASMEND
	v_dual_fmac_f32 v159, v128, v130 :: v_dual_fmac_f32 v94, v39, v129
	;; [unrolled: 17-line block ×3, first 2 shown]
	ds_load_b128 v[128:131], v138 offset:272
	s_waitcnt vmcnt(14)
	v_lshrrev_b32_e32 v132, 16, v116
	v_and_b32_e32 v116, 0xffff, v116
	s_waitcnt lgkmcnt(0)
	v_lshrrev_b32_e32 v39, 16, v128
	v_and_b32_e32 v128, 0xffff, v128
	;;#ASMSTART
	v_cvt_f32_f16 v128, v128;
	;;#ASMEND
	;;#ASMSTART
	v_cvt_f32_f16 v39, v39;
	;;#ASMEND
	;; [unrolled: 3-line block ×4, first 2 shown]
	v_fmac_f32_e32 v92, v128, v116
	v_fmac_f32_e32 v157, v39, v132
	v_lshrrev_b32_e32 v39, 16, v129
	v_and_b32_e32 v116, 0xffff, v129
	v_lshrrev_b32_e32 v128, 16, v117
	v_and_b32_e32 v117, 0xffff, v117
	;;#ASMSTART
	v_cvt_f32_f16 v116, v116;
	;;#ASMEND
	;;#ASMSTART
	v_cvt_f32_f16 v39, v39;
	;;#ASMEND
	;;#ASMSTART
	v_cvt_f32_f16 v117, v117;
	;;#ASMEND
	;;#ASMSTART
	v_cvt_f32_f16 v128, v128;
	;;#ASMEND
	v_dual_fmac_f32 v158, v116, v117 :: v_dual_fmac_f32 v93, v39, v128
	v_lshrrev_b32_e32 v39, 16, v130
	v_and_b32_e32 v116, 0xffff, v130
	v_lshrrev_b32_e32 v117, 16, v118
	v_and_b32_e32 v118, 0xffff, v118
	;;#ASMSTART
	v_cvt_f32_f16 v116, v116;
	;;#ASMEND
	;;#ASMSTART
	v_cvt_f32_f16 v39, v39;
	;;#ASMEND
	;;#ASMSTART
	v_cvt_f32_f16 v118, v118;
	;;#ASMEND
	;;#ASMSTART
	v_cvt_f32_f16 v117, v117;
	;;#ASMEND
	v_dual_fmac_f32 v159, v116, v118 :: v_dual_fmac_f32 v94, v39, v117
	;; [unrolled: 17-line block ×3, first 2 shown]
	ds_load_b128 v[116:119], v138 offset:288
	s_waitcnt vmcnt(13)
	v_lshrrev_b32_e32 v128, 16, v112
	v_and_b32_e32 v112, 0xffff, v112
	s_waitcnt lgkmcnt(0)
	v_lshrrev_b32_e32 v39, 16, v116
	v_and_b32_e32 v116, 0xffff, v116
	;;#ASMSTART
	v_cvt_f32_f16 v116, v116;
	;;#ASMEND
	;;#ASMSTART
	v_cvt_f32_f16 v39, v39;
	;;#ASMEND
	;; [unrolled: 3-line block ×4, first 2 shown]
	v_fmac_f32_e32 v92, v116, v112
	v_fmac_f32_e32 v157, v39, v128
	v_lshrrev_b32_e32 v39, 16, v117
	v_and_b32_e32 v112, 0xffff, v117
	v_lshrrev_b32_e32 v116, 16, v113
	v_and_b32_e32 v113, 0xffff, v113
	;;#ASMSTART
	v_cvt_f32_f16 v112, v112;
	;;#ASMEND
	;;#ASMSTART
	v_cvt_f32_f16 v39, v39;
	;;#ASMEND
	;;#ASMSTART
	v_cvt_f32_f16 v113, v113;
	;;#ASMEND
	;;#ASMSTART
	v_cvt_f32_f16 v116, v116;
	;;#ASMEND
	v_dual_fmac_f32 v158, v112, v113 :: v_dual_fmac_f32 v93, v39, v116
	v_lshrrev_b32_e32 v39, 16, v118
	v_and_b32_e32 v112, 0xffff, v118
	v_lshrrev_b32_e32 v113, 16, v114
	v_and_b32_e32 v114, 0xffff, v114
	;;#ASMSTART
	v_cvt_f32_f16 v112, v112;
	;;#ASMEND
	;;#ASMSTART
	v_cvt_f32_f16 v39, v39;
	;;#ASMEND
	;;#ASMSTART
	v_cvt_f32_f16 v114, v114;
	;;#ASMEND
	;;#ASMSTART
	v_cvt_f32_f16 v113, v113;
	;;#ASMEND
	v_dual_fmac_f32 v159, v112, v114 :: v_dual_fmac_f32 v94, v39, v113
	;; [unrolled: 17-line block ×3, first 2 shown]
	ds_load_b128 v[112:115], v138 offset:304
	s_waitcnt vmcnt(12)
	v_lshrrev_b32_e32 v116, 16, v100
	v_and_b32_e32 v100, 0xffff, v100
	s_waitcnt lgkmcnt(0)
	v_lshrrev_b32_e32 v39, 16, v112
	v_and_b32_e32 v112, 0xffff, v112
	;;#ASMSTART
	v_cvt_f32_f16 v112, v112;
	;;#ASMEND
	;;#ASMSTART
	v_cvt_f32_f16 v39, v39;
	;;#ASMEND
	;; [unrolled: 3-line block ×4, first 2 shown]
	v_fmac_f32_e32 v92, v112, v100
	v_fmac_f32_e32 v157, v39, v116
	v_lshrrev_b32_e32 v39, 16, v113
	v_and_b32_e32 v100, 0xffff, v113
	v_lshrrev_b32_e32 v112, 16, v101
	v_and_b32_e32 v101, 0xffff, v101
	;;#ASMSTART
	v_cvt_f32_f16 v100, v100;
	;;#ASMEND
	;;#ASMSTART
	v_cvt_f32_f16 v39, v39;
	;;#ASMEND
	;;#ASMSTART
	v_cvt_f32_f16 v101, v101;
	;;#ASMEND
	;;#ASMSTART
	v_cvt_f32_f16 v112, v112;
	;;#ASMEND
	v_dual_fmac_f32 v158, v100, v101 :: v_dual_fmac_f32 v93, v39, v112
	v_lshrrev_b32_e32 v39, 16, v114
	v_and_b32_e32 v100, 0xffff, v114
	v_lshrrev_b32_e32 v101, 16, v102
	v_and_b32_e32 v102, 0xffff, v102
	;;#ASMSTART
	v_cvt_f32_f16 v100, v100;
	;;#ASMEND
	;;#ASMSTART
	v_cvt_f32_f16 v39, v39;
	;;#ASMEND
	;;#ASMSTART
	v_cvt_f32_f16 v102, v102;
	;;#ASMEND
	;;#ASMSTART
	v_cvt_f32_f16 v101, v101;
	;;#ASMEND
	v_dual_fmac_f32 v159, v100, v102 :: v_dual_fmac_f32 v94, v39, v101
	;; [unrolled: 17-line block ×3, first 2 shown]
	ds_load_b128 v[100:103], v138 offset:320
	s_waitcnt vmcnt(11)
	v_lshrrev_b32_e32 v112, 16, v96
	v_and_b32_e32 v96, 0xffff, v96
	s_waitcnt lgkmcnt(0)
	v_lshrrev_b32_e32 v39, 16, v100
	v_and_b32_e32 v100, 0xffff, v100
	;;#ASMSTART
	v_cvt_f32_f16 v100, v100;
	;;#ASMEND
	;;#ASMSTART
	v_cvt_f32_f16 v39, v39;
	;;#ASMEND
	;; [unrolled: 3-line block ×4, first 2 shown]
	v_fmac_f32_e32 v92, v100, v96
	v_fmac_f32_e32 v157, v39, v112
	v_lshrrev_b32_e32 v39, 16, v101
	v_and_b32_e32 v96, 0xffff, v101
	v_lshrrev_b32_e32 v100, 16, v97
	v_and_b32_e32 v97, 0xffff, v97
	;;#ASMSTART
	v_cvt_f32_f16 v96, v96;
	;;#ASMEND
	;;#ASMSTART
	v_cvt_f32_f16 v39, v39;
	;;#ASMEND
	;;#ASMSTART
	v_cvt_f32_f16 v97, v97;
	;;#ASMEND
	;;#ASMSTART
	v_cvt_f32_f16 v100, v100;
	;;#ASMEND
	v_dual_fmac_f32 v158, v96, v97 :: v_dual_fmac_f32 v93, v39, v100
	v_lshrrev_b32_e32 v39, 16, v102
	v_and_b32_e32 v96, 0xffff, v102
	v_lshrrev_b32_e32 v97, 16, v98
	v_and_b32_e32 v98, 0xffff, v98
	;;#ASMSTART
	v_cvt_f32_f16 v96, v96;
	;;#ASMEND
	;;#ASMSTART
	v_cvt_f32_f16 v39, v39;
	;;#ASMEND
	;;#ASMSTART
	v_cvt_f32_f16 v98, v98;
	;;#ASMEND
	;;#ASMSTART
	v_cvt_f32_f16 v97, v97;
	;;#ASMEND
	v_dual_fmac_f32 v159, v96, v98 :: v_dual_fmac_f32 v94, v39, v97
	v_lshrrev_b32_e32 v39, 16, v103
	v_and_b32_e32 v96, 0xffff, v103
	v_lshrrev_b32_e32 v97, 16, v99
	v_and_b32_e32 v98, 0xffff, v99
	;;#ASMSTART
	v_cvt_f32_f16 v96, v96;
	;;#ASMEND
	;;#ASMSTART
	v_cvt_f32_f16 v39, v39;
	;;#ASMEND
	;;#ASMSTART
	v_cvt_f32_f16 v98, v98;
	;;#ASMEND
	;;#ASMSTART
	v_cvt_f32_f16 v97, v97;
	;;#ASMEND
	v_dual_fmac_f32 v168, v96, v98 :: v_dual_fmac_f32 v95, v39, v97
	ds_load_b128 v[96:99], v138 offset:336
	s_waitcnt vmcnt(10)
	v_lshrrev_b32_e32 v100, 16, v84
	v_and_b32_e32 v84, 0xffff, v84
	s_waitcnt lgkmcnt(0)
	v_lshrrev_b32_e32 v39, 16, v96
	v_and_b32_e32 v96, 0xffff, v96
	;;#ASMSTART
	v_cvt_f32_f16 v96, v96;
	;;#ASMEND
	;;#ASMSTART
	v_cvt_f32_f16 v39, v39;
	;;#ASMEND
	;; [unrolled: 3-line block ×4, first 2 shown]
	v_fmac_f32_e32 v92, v96, v84
	v_fmac_f32_e32 v157, v39, v100
	v_lshrrev_b32_e32 v39, 16, v97
	v_and_b32_e32 v84, 0xffff, v97
	v_lshrrev_b32_e32 v96, 16, v85
	v_and_b32_e32 v85, 0xffff, v85
	;;#ASMSTART
	v_cvt_f32_f16 v84, v84;
	;;#ASMEND
	;;#ASMSTART
	v_cvt_f32_f16 v39, v39;
	;;#ASMEND
	;;#ASMSTART
	v_cvt_f32_f16 v85, v85;
	;;#ASMEND
	;;#ASMSTART
	v_cvt_f32_f16 v96, v96;
	;;#ASMEND
	v_dual_fmac_f32 v158, v84, v85 :: v_dual_fmac_f32 v93, v39, v96
	v_lshrrev_b32_e32 v39, 16, v98
	v_and_b32_e32 v84, 0xffff, v98
	v_lshrrev_b32_e32 v85, 16, v86
	v_and_b32_e32 v86, 0xffff, v86
	;;#ASMSTART
	v_cvt_f32_f16 v84, v84;
	;;#ASMEND
	;;#ASMSTART
	v_cvt_f32_f16 v39, v39;
	;;#ASMEND
	;;#ASMSTART
	v_cvt_f32_f16 v86, v86;
	;;#ASMEND
	;;#ASMSTART
	v_cvt_f32_f16 v85, v85;
	;;#ASMEND
	v_dual_fmac_f32 v159, v84, v86 :: v_dual_fmac_f32 v94, v39, v85
	;; [unrolled: 17-line block ×3, first 2 shown]
	ds_load_b128 v[84:87], v138 offset:352
	s_waitcnt vmcnt(9)
	v_lshrrev_b32_e32 v96, 16, v80
	v_and_b32_e32 v80, 0xffff, v80
	s_waitcnt lgkmcnt(0)
	v_lshrrev_b32_e32 v39, 16, v84
	v_and_b32_e32 v84, 0xffff, v84
	;;#ASMSTART
	v_cvt_f32_f16 v84, v84;
	;;#ASMEND
	;;#ASMSTART
	v_cvt_f32_f16 v39, v39;
	;;#ASMEND
	;; [unrolled: 3-line block ×4, first 2 shown]
	v_fmac_f32_e32 v92, v84, v80
	v_fmac_f32_e32 v157, v39, v96
	v_lshrrev_b32_e32 v39, 16, v85
	v_and_b32_e32 v80, 0xffff, v85
	v_lshrrev_b32_e32 v84, 16, v81
	v_and_b32_e32 v81, 0xffff, v81
	;;#ASMSTART
	v_cvt_f32_f16 v80, v80;
	;;#ASMEND
	;;#ASMSTART
	v_cvt_f32_f16 v39, v39;
	;;#ASMEND
	;;#ASMSTART
	v_cvt_f32_f16 v81, v81;
	;;#ASMEND
	;;#ASMSTART
	v_cvt_f32_f16 v84, v84;
	;;#ASMEND
	v_dual_fmac_f32 v158, v80, v81 :: v_dual_fmac_f32 v93, v39, v84
	v_lshrrev_b32_e32 v39, 16, v86
	v_and_b32_e32 v80, 0xffff, v86
	v_lshrrev_b32_e32 v81, 16, v82
	v_and_b32_e32 v82, 0xffff, v82
	;;#ASMSTART
	v_cvt_f32_f16 v80, v80;
	;;#ASMEND
	;;#ASMSTART
	v_cvt_f32_f16 v39, v39;
	;;#ASMEND
	;;#ASMSTART
	v_cvt_f32_f16 v82, v82;
	;;#ASMEND
	;;#ASMSTART
	v_cvt_f32_f16 v81, v81;
	;;#ASMEND
	v_dual_fmac_f32 v159, v80, v82 :: v_dual_fmac_f32 v94, v39, v81
	;; [unrolled: 17-line block ×3, first 2 shown]
	ds_load_b128 v[80:83], v138 offset:368
	s_waitcnt vmcnt(8)
	v_lshrrev_b32_e32 v84, 16, v68
	v_and_b32_e32 v68, 0xffff, v68
	s_waitcnt lgkmcnt(0)
	v_lshrrev_b32_e32 v39, 16, v80
	v_and_b32_e32 v80, 0xffff, v80
	;;#ASMSTART
	v_cvt_f32_f16 v80, v80;
	;;#ASMEND
	;;#ASMSTART
	v_cvt_f32_f16 v39, v39;
	;;#ASMEND
	;; [unrolled: 3-line block ×4, first 2 shown]
	v_fmac_f32_e32 v92, v80, v68
	v_fmac_f32_e32 v157, v39, v84
	v_lshrrev_b32_e32 v39, 16, v81
	v_and_b32_e32 v68, 0xffff, v81
	v_lshrrev_b32_e32 v80, 16, v69
	v_and_b32_e32 v69, 0xffff, v69
	;;#ASMSTART
	v_cvt_f32_f16 v68, v68;
	;;#ASMEND
	;;#ASMSTART
	v_cvt_f32_f16 v39, v39;
	;;#ASMEND
	;;#ASMSTART
	v_cvt_f32_f16 v69, v69;
	;;#ASMEND
	;;#ASMSTART
	v_cvt_f32_f16 v80, v80;
	;;#ASMEND
	v_dual_fmac_f32 v158, v68, v69 :: v_dual_fmac_f32 v93, v39, v80
	v_lshrrev_b32_e32 v39, 16, v82
	v_and_b32_e32 v68, 0xffff, v82
	v_lshrrev_b32_e32 v69, 16, v70
	v_and_b32_e32 v70, 0xffff, v70
	;;#ASMSTART
	v_cvt_f32_f16 v68, v68;
	;;#ASMEND
	;;#ASMSTART
	v_cvt_f32_f16 v39, v39;
	;;#ASMEND
	;;#ASMSTART
	v_cvt_f32_f16 v70, v70;
	;;#ASMEND
	;;#ASMSTART
	v_cvt_f32_f16 v69, v69;
	;;#ASMEND
	v_dual_fmac_f32 v159, v68, v70 :: v_dual_fmac_f32 v94, v39, v69
	;; [unrolled: 17-line block ×3, first 2 shown]
	ds_load_b128 v[68:71], v138 offset:384
	s_waitcnt vmcnt(7)
	v_lshrrev_b32_e32 v80, 16, v64
	v_and_b32_e32 v64, 0xffff, v64
	s_waitcnt lgkmcnt(0)
	v_lshrrev_b32_e32 v39, 16, v68
	v_and_b32_e32 v68, 0xffff, v68
	;;#ASMSTART
	v_cvt_f32_f16 v68, v68;
	;;#ASMEND
	;;#ASMSTART
	v_cvt_f32_f16 v39, v39;
	;;#ASMEND
	;;#ASMSTART
	v_cvt_f32_f16 v64, v64;
	;;#ASMEND
	;;#ASMSTART
	v_cvt_f32_f16 v80, v80;
	;;#ASMEND
	v_fmac_f32_e32 v92, v68, v64
	v_fmac_f32_e32 v157, v39, v80
	v_lshrrev_b32_e32 v39, 16, v69
	v_and_b32_e32 v64, 0xffff, v69
	v_lshrrev_b32_e32 v68, 16, v65
	v_and_b32_e32 v65, 0xffff, v65
	;;#ASMSTART
	v_cvt_f32_f16 v64, v64;
	;;#ASMEND
	;;#ASMSTART
	v_cvt_f32_f16 v39, v39;
	;;#ASMEND
	;;#ASMSTART
	v_cvt_f32_f16 v65, v65;
	;;#ASMEND
	;;#ASMSTART
	v_cvt_f32_f16 v68, v68;
	;;#ASMEND
	v_dual_fmac_f32 v158, v64, v65 :: v_dual_fmac_f32 v93, v39, v68
	v_lshrrev_b32_e32 v39, 16, v70
	v_and_b32_e32 v64, 0xffff, v70
	v_lshrrev_b32_e32 v65, 16, v66
	v_and_b32_e32 v66, 0xffff, v66
	;;#ASMSTART
	v_cvt_f32_f16 v64, v64;
	;;#ASMEND
	;;#ASMSTART
	v_cvt_f32_f16 v39, v39;
	;;#ASMEND
	;;#ASMSTART
	v_cvt_f32_f16 v66, v66;
	;;#ASMEND
	;;#ASMSTART
	v_cvt_f32_f16 v65, v65;
	;;#ASMEND
	v_dual_fmac_f32 v159, v64, v66 :: v_dual_fmac_f32 v94, v39, v65
	;; [unrolled: 17-line block ×3, first 2 shown]
	ds_load_b128 v[64:67], v138 offset:400
	s_waitcnt vmcnt(6)
	v_lshrrev_b32_e32 v68, 16, v52
	v_and_b32_e32 v52, 0xffff, v52
	s_waitcnt lgkmcnt(0)
	v_lshrrev_b32_e32 v39, 16, v64
	v_and_b32_e32 v64, 0xffff, v64
	;;#ASMSTART
	v_cvt_f32_f16 v64, v64;
	;;#ASMEND
	;;#ASMSTART
	v_cvt_f32_f16 v39, v39;
	;;#ASMEND
	;; [unrolled: 3-line block ×4, first 2 shown]
	v_fmac_f32_e32 v92, v64, v52
	v_fmac_f32_e32 v157, v39, v68
	v_lshrrev_b32_e32 v39, 16, v65
	v_and_b32_e32 v52, 0xffff, v65
	v_lshrrev_b32_e32 v64, 16, v53
	v_and_b32_e32 v53, 0xffff, v53
	;;#ASMSTART
	v_cvt_f32_f16 v52, v52;
	;;#ASMEND
	;;#ASMSTART
	v_cvt_f32_f16 v39, v39;
	;;#ASMEND
	;;#ASMSTART
	v_cvt_f32_f16 v53, v53;
	;;#ASMEND
	;;#ASMSTART
	v_cvt_f32_f16 v64, v64;
	;;#ASMEND
	v_dual_fmac_f32 v158, v52, v53 :: v_dual_fmac_f32 v93, v39, v64
	v_lshrrev_b32_e32 v39, 16, v66
	v_and_b32_e32 v52, 0xffff, v66
	v_lshrrev_b32_e32 v53, 16, v54
	v_and_b32_e32 v54, 0xffff, v54
	;;#ASMSTART
	v_cvt_f32_f16 v52, v52;
	;;#ASMEND
	;;#ASMSTART
	v_cvt_f32_f16 v39, v39;
	;;#ASMEND
	;;#ASMSTART
	v_cvt_f32_f16 v54, v54;
	;;#ASMEND
	;;#ASMSTART
	v_cvt_f32_f16 v53, v53;
	;;#ASMEND
	v_dual_fmac_f32 v159, v52, v54 :: v_dual_fmac_f32 v94, v39, v53
	v_lshrrev_b32_e32 v39, 16, v67
	v_and_b32_e32 v52, 0xffff, v67
	v_lshrrev_b32_e32 v53, 16, v55
	v_and_b32_e32 v54, 0xffff, v55
	;;#ASMSTART
	v_cvt_f32_f16 v52, v52;
	;;#ASMEND
	;;#ASMSTART
	v_cvt_f32_f16 v39, v39;
	;;#ASMEND
	;;#ASMSTART
	v_cvt_f32_f16 v54, v54;
	;;#ASMEND
	;;#ASMSTART
	v_cvt_f32_f16 v53, v53;
	;;#ASMEND
	v_dual_fmac_f32 v168, v52, v54 :: v_dual_fmac_f32 v95, v39, v53
	ds_load_b128 v[52:55], v138 offset:416
	s_waitcnt vmcnt(5)
	v_lshrrev_b32_e32 v64, 16, v48
	v_and_b32_e32 v48, 0xffff, v48
	s_waitcnt lgkmcnt(0)
	v_lshrrev_b32_e32 v39, 16, v52
	v_and_b32_e32 v52, 0xffff, v52
	;;#ASMSTART
	v_cvt_f32_f16 v52, v52;
	;;#ASMEND
	;;#ASMSTART
	v_cvt_f32_f16 v39, v39;
	;;#ASMEND
	;; [unrolled: 3-line block ×4, first 2 shown]
	v_fmac_f32_e32 v92, v52, v48
	v_fmac_f32_e32 v157, v39, v64
	v_lshrrev_b32_e32 v39, 16, v53
	v_and_b32_e32 v48, 0xffff, v53
	v_lshrrev_b32_e32 v52, 16, v49
	v_and_b32_e32 v49, 0xffff, v49
	;;#ASMSTART
	v_cvt_f32_f16 v48, v48;
	;;#ASMEND
	;;#ASMSTART
	v_cvt_f32_f16 v39, v39;
	;;#ASMEND
	;;#ASMSTART
	v_cvt_f32_f16 v49, v49;
	;;#ASMEND
	;;#ASMSTART
	v_cvt_f32_f16 v52, v52;
	;;#ASMEND
	v_dual_fmac_f32 v158, v48, v49 :: v_dual_fmac_f32 v93, v39, v52
	v_lshrrev_b32_e32 v39, 16, v54
	v_and_b32_e32 v48, 0xffff, v54
	v_lshrrev_b32_e32 v49, 16, v50
	v_and_b32_e32 v50, 0xffff, v50
	;;#ASMSTART
	v_cvt_f32_f16 v48, v48;
	;;#ASMEND
	;;#ASMSTART
	v_cvt_f32_f16 v39, v39;
	;;#ASMEND
	;;#ASMSTART
	v_cvt_f32_f16 v50, v50;
	;;#ASMEND
	;;#ASMSTART
	v_cvt_f32_f16 v49, v49;
	;;#ASMEND
	v_dual_fmac_f32 v159, v48, v50 :: v_dual_fmac_f32 v94, v39, v49
	;; [unrolled: 17-line block ×3, first 2 shown]
	ds_load_b128 v[48:51], v138 offset:432
	s_waitcnt vmcnt(4)
	v_lshrrev_b32_e32 v52, 16, v35
	v_and_b32_e32 v35, 0xffff, v35
	s_waitcnt lgkmcnt(0)
	v_lshrrev_b32_e32 v39, 16, v48
	v_and_b32_e32 v48, 0xffff, v48
	;;#ASMSTART
	v_cvt_f32_f16 v48, v48;
	;;#ASMEND
	;;#ASMSTART
	v_cvt_f32_f16 v39, v39;
	;;#ASMEND
	;; [unrolled: 3-line block ×4, first 2 shown]
	v_dual_fmac_f32 v92, v48, v35 :: v_dual_fmac_f32 v157, v39, v52
	v_lshrrev_b32_e32 v35, 16, v49
	v_and_b32_e32 v39, 0xffff, v49
	v_lshrrev_b32_e32 v48, 16, v36
	v_and_b32_e32 v36, 0xffff, v36
	;;#ASMSTART
	v_cvt_f32_f16 v39, v39;
	;;#ASMEND
	;;#ASMSTART
	v_cvt_f32_f16 v35, v35;
	;;#ASMEND
	;; [unrolled: 3-line block ×4, first 2 shown]
	v_fmac_f32_e32 v158, v39, v36
	v_fmac_f32_e32 v93, v35, v48
	v_lshrrev_b32_e32 v35, 16, v50
	v_and_b32_e32 v36, 0xffff, v50
	v_lshrrev_b32_e32 v39, 16, v37
	v_and_b32_e32 v37, 0xffff, v37
	;;#ASMSTART
	v_cvt_f32_f16 v36, v36;
	;;#ASMEND
	;;#ASMSTART
	v_cvt_f32_f16 v35, v35;
	;;#ASMEND
	;; [unrolled: 3-line block ×4, first 2 shown]
	v_dual_fmac_f32 v159, v36, v37 :: v_dual_fmac_f32 v94, v35, v39
	v_lshrrev_b32_e32 v35, 16, v51
	v_and_b32_e32 v36, 0xffff, v51
	v_lshrrev_b32_e32 v37, 16, v38
	v_and_b32_e32 v38, 0xffff, v38
	;;#ASMSTART
	v_cvt_f32_f16 v36, v36;
	;;#ASMEND
	;;#ASMSTART
	v_cvt_f32_f16 v35, v35;
	;;#ASMEND
	;; [unrolled: 3-line block ×4, first 2 shown]
	v_dual_fmac_f32 v168, v36, v38 :: v_dual_fmac_f32 v95, v35, v37
	ds_load_b128 v[35:38], v138 offset:448
	s_waitcnt vmcnt(3)
	v_lshrrev_b32_e32 v48, 16, v31
	v_and_b32_e32 v31, 0xffff, v31
	s_waitcnt lgkmcnt(0)
	v_lshrrev_b32_e32 v39, 16, v35
	v_and_b32_e32 v35, 0xffff, v35
	;;#ASMSTART
	v_cvt_f32_f16 v35, v35;
	;;#ASMEND
	;;#ASMSTART
	v_cvt_f32_f16 v39, v39;
	;;#ASMEND
	;;#ASMSTART
	v_cvt_f32_f16 v31, v31;
	;;#ASMEND
	s_delay_alu instid0(VALU_DEP_1)
	v_fmac_f32_e32 v92, v35, v31
	v_lshrrev_b32_e32 v31, 16, v36
	v_and_b32_e32 v35, 0xffff, v36
	v_lshrrev_b32_e32 v36, 16, v32
	v_and_b32_e32 v32, 0xffff, v32
	;;#ASMSTART
	v_cvt_f32_f16 v48, v48;
	;;#ASMEND
	;;#ASMSTART
	v_cvt_f32_f16 v35, v35;
	;;#ASMEND
	;; [unrolled: 3-line block ×5, first 2 shown]
	v_fmac_f32_e32 v158, v35, v32
	v_fmac_f32_e32 v93, v31, v36
	v_lshrrev_b32_e32 v31, 16, v37
	v_and_b32_e32 v32, 0xffff, v37
	v_lshrrev_b32_e32 v35, 16, v33
	v_and_b32_e32 v33, 0xffff, v33
	;;#ASMSTART
	v_cvt_f32_f16 v32, v32;
	;;#ASMEND
	;;#ASMSTART
	v_cvt_f32_f16 v31, v31;
	;;#ASMEND
	;;#ASMSTART
	v_cvt_f32_f16 v33, v33;
	;;#ASMEND
	;;#ASMSTART
	v_cvt_f32_f16 v35, v35;
	;;#ASMEND
	v_dual_fmac_f32 v159, v32, v33 :: v_dual_fmac_f32 v94, v31, v35
	v_lshrrev_b32_e32 v31, 16, v38
	v_and_b32_e32 v32, 0xffff, v38
	v_lshrrev_b32_e32 v33, 16, v34
	v_and_b32_e32 v34, 0xffff, v34
	;;#ASMSTART
	v_cvt_f32_f16 v32, v32;
	;;#ASMEND
	;;#ASMSTART
	v_cvt_f32_f16 v31, v31;
	;;#ASMEND
	;; [unrolled: 3-line block ×4, first 2 shown]
	v_dual_fmac_f32 v168, v32, v34 :: v_dual_fmac_f32 v95, v31, v33
	ds_load_b128 v[31:34], v138 offset:464
	s_waitcnt vmcnt(2)
	v_lshrrev_b32_e32 v36, 16, v27
	v_and_b32_e32 v27, 0xffff, v27
	v_fmac_f32_e32 v157, v39, v48
	s_waitcnt lgkmcnt(0)
	v_lshrrev_b32_e32 v35, 16, v31
	v_and_b32_e32 v31, 0xffff, v31
	;;#ASMSTART
	v_cvt_f32_f16 v31, v31;
	;;#ASMEND
	;;#ASMSTART
	v_cvt_f32_f16 v35, v35;
	;;#ASMEND
	;;#ASMSTART
	v_cvt_f32_f16 v27, v27;
	;;#ASMEND
	s_delay_alu instid0(VALU_DEP_1)
	v_fmac_f32_e32 v92, v31, v27
	v_lshrrev_b32_e32 v27, 16, v32
	v_and_b32_e32 v31, 0xffff, v32
	v_lshrrev_b32_e32 v32, 16, v28
	v_and_b32_e32 v28, 0xffff, v28
	;;#ASMSTART
	v_cvt_f32_f16 v36, v36;
	;;#ASMEND
	;;#ASMSTART
	v_cvt_f32_f16 v31, v31;
	;;#ASMEND
	;; [unrolled: 3-line block ×5, first 2 shown]
	v_fmac_f32_e32 v158, v31, v28
	v_fmac_f32_e32 v93, v27, v32
	v_lshrrev_b32_e32 v27, 16, v33
	v_and_b32_e32 v28, 0xffff, v33
	v_lshrrev_b32_e32 v31, 16, v29
	v_and_b32_e32 v29, 0xffff, v29
	;;#ASMSTART
	v_cvt_f32_f16 v28, v28;
	;;#ASMEND
	;;#ASMSTART
	v_cvt_f32_f16 v27, v27;
	;;#ASMEND
	;; [unrolled: 3-line block ×4, first 2 shown]
	v_dual_fmac_f32 v159, v28, v29 :: v_dual_fmac_f32 v94, v27, v31
	v_lshrrev_b32_e32 v27, 16, v34
	v_and_b32_e32 v28, 0xffff, v34
	v_lshrrev_b32_e32 v29, 16, v30
	v_and_b32_e32 v30, 0xffff, v30
	;;#ASMSTART
	v_cvt_f32_f16 v28, v28;
	;;#ASMEND
	;;#ASMSTART
	v_cvt_f32_f16 v27, v27;
	;;#ASMEND
	;;#ASMSTART
	v_cvt_f32_f16 v30, v30;
	;;#ASMEND
	;;#ASMSTART
	v_cvt_f32_f16 v29, v29;
	;;#ASMEND
	v_dual_fmac_f32 v168, v28, v30 :: v_dual_fmac_f32 v95, v27, v29
	ds_load_b128 v[27:30], v138 offset:480
	s_waitcnt vmcnt(1)
	v_lshrrev_b32_e32 v32, 16, v16
	v_and_b32_e32 v16, 0xffff, v16
	v_fmac_f32_e32 v157, v35, v36
	s_waitcnt lgkmcnt(0)
	v_lshrrev_b32_e32 v31, 16, v27
	v_and_b32_e32 v27, 0xffff, v27
	;;#ASMSTART
	v_cvt_f32_f16 v27, v27;
	;;#ASMEND
	;;#ASMSTART
	v_cvt_f32_f16 v31, v31;
	;;#ASMEND
	;; [unrolled: 3-line block ×3, first 2 shown]
	s_delay_alu instid0(VALU_DEP_1)
	v_fmac_f32_e32 v92, v27, v16
	v_lshrrev_b32_e32 v16, 16, v28
	v_and_b32_e32 v27, 0xffff, v28
	v_lshrrev_b32_e32 v28, 16, v17
	v_and_b32_e32 v17, 0xffff, v17
	;;#ASMSTART
	v_cvt_f32_f16 v32, v32;
	;;#ASMEND
	;;#ASMSTART
	v_cvt_f32_f16 v27, v27;
	;;#ASMEND
	;; [unrolled: 3-line block ×5, first 2 shown]
	v_dual_fmac_f32 v158, v27, v17 :: v_dual_fmac_f32 v93, v16, v28
	v_lshrrev_b32_e32 v16, 16, v29
	v_and_b32_e32 v17, 0xffff, v29
	v_lshrrev_b32_e32 v27, 16, v18
	v_and_b32_e32 v18, 0xffff, v18
	;;#ASMSTART
	v_cvt_f32_f16 v17, v17;
	;;#ASMEND
	;;#ASMSTART
	v_cvt_f32_f16 v16, v16;
	;;#ASMEND
	;;#ASMSTART
	v_cvt_f32_f16 v18, v18;
	;;#ASMEND
	;;#ASMSTART
	v_cvt_f32_f16 v27, v27;
	;;#ASMEND
	v_dual_fmac_f32 v159, v17, v18 :: v_dual_fmac_f32 v94, v16, v27
	v_lshrrev_b32_e32 v16, 16, v30
	v_and_b32_e32 v17, 0xffff, v30
	v_lshrrev_b32_e32 v18, 16, v19
	v_and_b32_e32 v19, 0xffff, v19
	;;#ASMSTART
	v_cvt_f32_f16 v17, v17;
	;;#ASMEND
	;;#ASMSTART
	v_cvt_f32_f16 v16, v16;
	;;#ASMEND
	;; [unrolled: 3-line block ×4, first 2 shown]
	v_dual_fmac_f32 v168, v17, v19 :: v_dual_fmac_f32 v95, v16, v18
	ds_load_b128 v[16:19], v138 offset:496
	v_fmac_f32_e32 v157, v31, v32
	s_waitcnt vmcnt(0)
	v_lshrrev_b32_e32 v28, 16, v6
	v_and_b32_e32 v6, 0xffff, v6
	s_waitcnt lgkmcnt(0)
	v_lshrrev_b32_e32 v27, 16, v16
	v_and_b32_e32 v16, 0xffff, v16
	;;#ASMSTART
	v_cvt_f32_f16 v16, v16;
	;;#ASMEND
	;;#ASMSTART
	v_cvt_f32_f16 v27, v27;
	;;#ASMEND
	;; [unrolled: 3-line block ×3, first 2 shown]
	s_delay_alu instid0(VALU_DEP_1)
	v_fmac_f32_e32 v92, v16, v6
	v_lshrrev_b32_e32 v6, 16, v17
	v_and_b32_e32 v16, 0xffff, v17
	v_lshrrev_b32_e32 v17, 16, v7
	v_and_b32_e32 v7, 0xffff, v7
	;;#ASMSTART
	v_cvt_f32_f16 v28, v28;
	;;#ASMEND
	v_fmac_f32_e32 v157, v27, v28
	;;#ASMSTART
	v_cvt_f32_f16 v16, v16;
	;;#ASMEND
	;;#ASMSTART
	v_cvt_f32_f16 v6, v6;
	;;#ASMEND
	;; [unrolled: 3-line block ×4, first 2 shown]
	v_dual_fmac_f32 v158, v16, v7 :: v_dual_and_b32 v7, 0xffff, v18
	v_fmac_f32_e32 v93, v6, v17
	v_lshrrev_b32_e32 v6, 16, v18
	;;#ASMSTART
	v_cvt_f32_f16 v7, v7;
	;;#ASMEND
	;;#ASMSTART
	v_cvt_f32_f16 v6, v6;
	;;#ASMEND
	v_lshrrev_b32_e32 v16, 16, v8
	v_and_b32_e32 v8, 0xffff, v8
	;;#ASMSTART
	v_cvt_f32_f16 v8, v8;
	;;#ASMEND
	;;#ASMSTART
	v_cvt_f32_f16 v16, v16;
	;;#ASMEND
	s_delay_alu instid0(VALU_DEP_2) | instskip(NEXT) | instid1(VALU_DEP_2)
	v_fmac_f32_e32 v94, v6, v16
	v_dual_fmac_f32 v159, v7, v8 :: v_dual_and_b32 v6, 0xffff, v19
	v_lshrrev_b32_e32 v7, 16, v19
	;;#ASMSTART
	v_cvt_f32_f16 v6, v6;
	;;#ASMEND
	v_lshrrev_b32_e32 v8, 16, v9
	v_and_b32_e32 v9, 0xffff, v9
	;;#ASMSTART
	v_cvt_f32_f16 v7, v7;
	;;#ASMEND
	;;#ASMSTART
	v_cvt_f32_f16 v9, v9;
	;;#ASMEND
	s_delay_alu instid0(VALU_DEP_1) | instskip(SKIP_2) | instid1(VALU_DEP_1)
	v_fmac_f32_e32 v168, v6, v9
	v_add_f32_e32 v6, v92, v157
	;;#ASMSTART
	v_cvt_f32_f16 v8, v8;
	;;#ASMEND
	v_dual_fmac_f32 v95, v7, v8 :: v_dual_add_f32 v6, v6, v158
	s_delay_alu instid0(VALU_DEP_1) | instskip(NEXT) | instid1(VALU_DEP_1)
	v_add_f32_e32 v6, v93, v6
	v_add_f32_e32 v6, v6, v159
	s_delay_alu instid0(VALU_DEP_1) | instskip(NEXT) | instid1(VALU_DEP_1)
	v_add_f32_e32 v6, v94, v6
	v_add_f32_e32 v6, v6, v168
	s_delay_alu instid0(VALU_DEP_1) | instskip(NEXT) | instid1(VALU_DEP_1)
	v_add_f32_e32 v6, v95, v6
	v_fmac_f32_e32 v155, v6, v13
	s_delay_alu instid0(VALU_DEP_1) | instskip(SKIP_2) | instid1(VALU_DEP_1)
	v_cndmask_b32_e64 v6, 0, v155, s1
	ds_store_b32 v156, v6
	v_max_f32_e32 v6, v136, v136
	v_max_f32_e32 v6, v6, v155
	s_delay_alu instid0(VALU_DEP_1)
	v_cndmask_b32_e64 v136, v136, v6, s1
	s_branch .LBB119_11
.LBB119_16:
	s_or_b32 exec_lo, exec_lo, s18
	scratch_load_b32 v82, off, s32 offset:320 ; 4-byte Folded Reload
	v_sub_nc_u32_e32 v81, 0, v26
	v_lshlrev_b32_e32 v30, 2, v21
.LBB119_17:
	s_or_b32 exec_lo, exec_lo, s17
	v_mbcnt_lo_u32_b32 v6, -1, 0
	s_waitcnt lgkmcnt(0)
	s_lshr_b32 s8, s16, 16
	v_max_f32_e32 v13, v136, v136
	s_delay_alu instid0(VALU_DEP_2) | instskip(SKIP_3) | instid1(VALU_DEP_4)
	v_xor_b32_e32 v7, 16, v6
	v_xor_b32_e32 v9, 8, v6
	;; [unrolled: 1-line block ×4, first 2 shown]
	v_cmp_gt_i32_e32 vcc_lo, 32, v7
	v_cndmask_b32_e32 v7, v6, v7, vcc_lo
	v_cmp_gt_i32_e32 vcc_lo, 32, v9
	v_cndmask_b32_e32 v9, v6, v9, vcc_lo
	v_cmp_gt_i32_e32 vcc_lo, 32, v16
	s_delay_alu instid0(VALU_DEP_2) | instskip(NEXT) | instid1(VALU_DEP_1)
	v_dual_cndmask_b32 v16, v6, v16 :: v_dual_lshlrev_b32 v9, 2, v9
	v_lshlrev_b32_e32 v17, 2, v16
	v_xor_b32_e32 v16, 2, v6
	s_delay_alu instid0(VALU_DEP_1) | instskip(SKIP_2) | instid1(VALU_DEP_2)
	v_cmp_gt_i32_e32 vcc_lo, 32, v16
	v_cndmask_b32_e32 v16, v6, v16, vcc_lo
	v_cmp_gt_i32_e32 vcc_lo, 32, v18
	v_lshlrev_b32_e32 v16, 2, v16
	v_lshlrev_b32_e32 v8, 2, v7
	v_cndmask_b32_e32 v18, v6, v18, vcc_lo
	v_cmp_eq_u32_e32 vcc_lo, 0, v21
	ds_bpermute_b32 v7, v8, v136
	s_waitcnt lgkmcnt(0)
	v_max_f32_e32 v7, v7, v7
	s_delay_alu instid0(VALU_DEP_1) | instskip(SKIP_3) | instid1(VALU_DEP_1)
	v_max_f32_e32 v7, v13, v7
	ds_bpermute_b32 v13, v9, v7
	s_waitcnt lgkmcnt(0)
	v_max_f32_e32 v13, v13, v13
	v_max_f32_e32 v7, v7, v13
	ds_bpermute_b32 v13, v17, v7
	s_waitcnt lgkmcnt(0)
	v_max_f32_e32 v13, v13, v13
	s_delay_alu instid0(VALU_DEP_1) | instskip(SKIP_3) | instid1(VALU_DEP_1)
	v_max_f32_e32 v7, v7, v13
	ds_bpermute_b32 v13, v16, v7
	s_waitcnt lgkmcnt(0)
	v_max_f32_e32 v13, v13, v13
	v_dual_max_f32 v6, v7, v13 :: v_dual_lshlrev_b32 v13, 2, v18
	v_lshlrev_b32_e32 v18, 2, v12
	ds_bpermute_b32 v7, v13, v6
	s_and_saveexec_b32 s1, vcc_lo
	s_cbranch_execz .LBB119_19
; %bb.18:
	s_waitcnt lgkmcnt(0)
	v_dual_max_f32 v7, v7, v7 :: v_dual_max_f32 v6, v6, v6
	s_delay_alu instid0(VALU_DEP_1)
	v_max_f32_e32 v6, v6, v7
	ds_store_b32 v18, v6 offset:512
.LBB119_19:
	s_or_b32 exec_lo, exec_lo, s1
	v_cmp_gt_u32_e64 s1, 4, v21
	v_mov_b32_e32 v6, 0xff7fffff
	s_waitcnt vmcnt(0) lgkmcnt(0)
	s_waitcnt_vscnt null, 0x0
	s_barrier
	buffer_gl0_inv
	s_and_saveexec_b32 s2, s1
	s_cbranch_execz .LBB119_21
; %bb.20:
	ds_load_b32 v6, v30 offset:512
.LBB119_21:
	s_or_b32 exec_lo, exec_lo, s2
	s_waitcnt lgkmcnt(0)
	ds_bpermute_b32 v7, v16, v6
	v_max_f32_e32 v6, v6, v6
	v_subrev_nc_u32_e32 v27, s13, v123
	v_mov_b32_e32 v19, 0
	s_waitcnt lgkmcnt(0)
	v_max_f32_e32 v7, v7, v7
	s_delay_alu instid0(VALU_DEP_1) | instskip(SKIP_3) | instid1(VALU_DEP_1)
	v_max_f32_e32 v6, v6, v7
	ds_bpermute_b32 v7, v13, v6
	s_waitcnt lgkmcnt(0)
	v_max_f32_e32 v7, v7, v7
	v_max_f32_e32 v6, v6, v7
	v_lshl_add_u32 v7, v27, 5, s3
	ds_bpermute_b32 v6, v19, v6
	v_min_i32_e32 v7, v7, v110
	s_delay_alu instid0(VALU_DEP_1) | instskip(NEXT) | instid1(VALU_DEP_1)
	v_subrev_nc_u32_e32 v7, s3, v7
	v_cmp_lt_i32_e64 s2, v47, v7
	s_delay_alu instid0(VALU_DEP_1)
	s_and_saveexec_b32 s9, s2
	s_cbranch_execz .LBB119_25
; %bb.22:
	s_getpc_b64 s[16:17]
	s_add_u32 s16, s16, llvm.amdgcn.dynlds.offset.table@rel32@lo+4
	s_addc_u32 s17, s17, llvm.amdgcn.dynlds.offset.table@rel32@hi+12
	s_ashr_i32 s7, s6, 31
	v_dual_mov_b32 v19, 0 :: v_dual_mov_b32 v28, v47
	s_lshl_b64 s[18:19], s[6:7], 2
	s_mov_b32 s7, 0
	s_add_u32 s16, s18, s16
	s_addc_u32 s17, s19, s17
	s_load_b32 s3, s[16:17], 0x0
	s_waitcnt lgkmcnt(0)
	v_lshl_add_u32 v27, v47, 2, s3
	.p2align	6
.LBB119_23:                             ; =>This Inner Loop Header: Depth=1
	ds_load_b32 v29, v27
	v_add_nc_u32_e32 v28, 0x80, v28
	s_delay_alu instid0(VALU_DEP_1) | instskip(NEXT) | instid1(VALU_DEP_1)
	v_cmp_ge_i32_e64 s3, v28, v7
	s_or_b32 s7, s3, s7
	s_waitcnt lgkmcnt(0)
	v_sub_f32_e32 v29, v29, v6
	s_delay_alu instid0(VALU_DEP_1) | instskip(NEXT) | instid1(VALU_DEP_1)
	v_mul_f32_e32 v29, 0x3fb8aa3b, v29
	v_exp_f32_e32 v29, v29
	ds_store_b32 v27, v29
	v_add_f32_e32 v19, v19, v29
	v_add_nc_u32_e32 v27, 0x200, v27
	s_and_not1_b32 exec_lo, exec_lo, s7
	s_cbranch_execnz .LBB119_23
; %bb.24:
	s_or_b32 exec_lo, exec_lo, s7
.LBB119_25:
	s_delay_alu instid0(SALU_CYCLE_1)
	s_or_b32 exec_lo, exec_lo, s9
	ds_bpermute_b32 v8, v8, v19
	s_waitcnt lgkmcnt(0)
	v_add_f32_e32 v8, v19, v8
	ds_bpermute_b32 v9, v9, v8
	s_waitcnt lgkmcnt(0)
	v_add_f32_e32 v8, v8, v9
	;; [unrolled: 3-line block ×5, first 2 shown]
	s_and_saveexec_b32 s3, vcc_lo
	s_cbranch_execz .LBB119_27
; %bb.26:
	ds_store_b32 v18, v8 offset:528
.LBB119_27:
	s_or_b32 exec_lo, exec_lo, s3
	s_waitcnt lgkmcnt(0)
	s_barrier
	buffer_gl0_inv
	s_and_saveexec_b32 s3, s1
	s_cbranch_execz .LBB119_29
; %bb.28:
	ds_load_b32 v8, v30 offset:528
.LBB119_29:
	s_or_b32 exec_lo, exec_lo, s3
	s_waitcnt lgkmcnt(0)
	ds_bpermute_b32 v9, v16, v8
	s_waitcnt lgkmcnt(0)
	v_add_f32_e32 v8, v8, v9
	ds_bpermute_b32 v9, v13, v8
	s_waitcnt lgkmcnt(0)
	v_dual_add_f32 v8, v8, v9 :: v_dual_mov_b32 v9, 0
	ds_bpermute_b32 v8, v9, v8
	s_and_saveexec_b32 s1, s2
	s_cbranch_execz .LBB119_32
; %bb.30:
	s_waitcnt lgkmcnt(0)
	v_add_f32_e32 v17, 0x358637bd, v8
	s_getpc_b64 s[2:3]
	s_add_u32 s2, s2, llvm.amdgcn.dynlds.offset.table@rel32@lo+4
	s_addc_u32 s3, s3, llvm.amdgcn.dynlds.offset.table@rel32@hi+12
	s_ashr_i32 s7, s6, 31
	s_delay_alu instid0(SALU_CYCLE_1) | instskip(SKIP_4) | instid1(VALU_DEP_1)
	s_lshl_b64 s[16:17], s[6:7], 2
	v_div_scale_f32 v9, null, v17, v17, 1.0
	s_add_u32 s2, s16, s2
	s_addc_u32 s3, s17, s3
	s_load_b32 s2, s[2:3], 0x0
	v_rcp_f32_e32 v18, v9
	s_waitcnt_depctr 0xfff
	v_fma_f32 v19, -v9, v18, 1.0
	s_delay_alu instid0(VALU_DEP_1) | instskip(SKIP_1) | instid1(VALU_DEP_1)
	v_fmac_f32_e32 v18, v19, v18
	v_div_scale_f32 v27, vcc_lo, 1.0, v17, 1.0
	v_mul_f32_e32 v19, v27, v18
	s_delay_alu instid0(VALU_DEP_1) | instskip(NEXT) | instid1(VALU_DEP_1)
	v_fma_f32 v28, -v9, v19, v27
	v_fmac_f32_e32 v19, v28, v18
	s_delay_alu instid0(VALU_DEP_1) | instskip(NEXT) | instid1(VALU_DEP_1)
	v_fma_f32 v9, -v9, v19, v27
	v_div_fmas_f32 v18, v9, v18, v19
	s_waitcnt lgkmcnt(0)
	v_lshl_add_u32 v9, v47, 2, s2
	s_mov_b32 s2, 0
	s_delay_alu instid0(VALU_DEP_2)
	v_div_fixup_f32 v17, v18, v17, 1.0
	v_mov_b32_e32 v18, v47
.LBB119_31:                             ; =>This Inner Loop Header: Depth=1
	ds_load_b32 v19, v9
	s_waitcnt lgkmcnt(0)
	v_dual_mul_f32 v19, v17, v19 :: v_dual_add_nc_u32 v18, 0x80, v18
	s_delay_alu instid0(VALU_DEP_1) | instskip(SKIP_3) | instid1(SALU_CYCLE_1)
	v_cmp_ge_i32_e32 vcc_lo, v18, v7
	ds_store_b32 v9, v19
	v_add_nc_u32_e32 v9, 0x200, v9
	s_or_b32 s2, vcc_lo, s2
	s_and_not1_b32 exec_lo, exec_lo, s2
	s_cbranch_execnz .LBB119_31
.LBB119_32:
	s_or_b32 exec_lo, exec_lo, s1
	v_cmp_ne_u16_e64 s1, s8, 0
	s_waitcnt lgkmcnt(0)
	s_barrier
	buffer_gl0_inv
	s_cmp_lg_u32 s1, 0
	s_addc_u32 s1, s5, 0
	s_mov_b32 s5, exec_lo
	s_mul_i32 s2, s1, s10
	s_delay_alu instid0(SALU_CYCLE_1)
	s_mul_i32 s2, s2, s15
	v_cmpx_eq_u32_e32 0, v47
	s_cbranch_execz .LBB119_34
; %bb.33:
	s_mul_i32 s8, s1, s12
	s_ashr_i32 s15, s14, 31
	s_ashr_i32 s9, s8, 31
	;; [unrolled: 1-line block ×3, first 2 shown]
	s_lshl_b64 s[8:9], s[8:9], 2
	s_lshl_b64 s[12:13], s[14:15], 2
	;; [unrolled: 1-line block ×3, first 2 shown]
	s_add_u32 s3, s12, s8
	s_addc_u32 s7, s13, s9
	s_add_u32 s3, s3, s16
	s_addc_u32 s7, s7, s17
	v_add_co_u32 v2, vcc_lo, s3, v2
	v_add_co_ci_u32_e32 v3, vcc_lo, s7, v3, vcc_lo
	v_add_co_u32 v0, vcc_lo, s3, v0
	v_add_co_ci_u32_e32 v1, vcc_lo, s7, v1, vcc_lo
	flat_store_b32 v[2:3], v6
	flat_store_b32 v[0:1], v8
.LBB119_34:
	s_or_b32 exec_lo, exec_lo, s5
	s_ashr_i32 s7, s6, 31
	s_getpc_b64 s[8:9]
	s_add_u32 s8, s8, llvm.amdgcn.dynlds.offset.table@rel32@lo+4
	s_addc_u32 s9, s9, llvm.amdgcn.dynlds.offset.table@rel32@hi+12
	s_lshl_b64 s[6:7], s[6:7], 2
	v_dual_mov_b32 v71, 0 :: v_dual_mov_b32 v80, 0
	v_dual_mov_b32 v70, 0 :: v_dual_and_b32 v17, 3, v47
	v_dual_mov_b32 v69, 0 :: v_dual_mov_b32 v68, 0
	v_dual_mov_b32 v67, 0 :: v_dual_mov_b32 v66, 0
	;; [unrolled: 1-line block ×14, first 2 shown]
	v_mov_b32_e32 v19, 0
	s_add_u32 s6, s6, s8
	s_addc_u32 s7, s7, s9
	s_mov_b32 s5, 0
	s_and_saveexec_b32 s3, s0
	s_cbranch_execz .LBB119_104
; %bb.35:
	v_max_i32_e32 v26, v26, v81
	v_lshlrev_b64 v[0:1], 1, v[106:107]
	v_dual_mov_b32 v83, v110 :: v_dual_lshlrev_b32 v2, 3, v47
	s_load_b32 s0, s[6:7], 0x0
	s_delay_alu instid0(VALU_DEP_3) | instskip(SKIP_1) | instid1(VALU_DEP_4)
	v_cvt_f32_u32_e32 v6, v26
	v_mov_b32_e32 v84, v110
	v_add_co_u32 v10, vcc_lo, v10, v0
	v_and_b32_e32 v3, 0xf8, v2
	s_delay_alu instid0(VALU_DEP_4) | instskip(SKIP_2) | instid1(VALU_DEP_3)
	v_rcp_iflag_f32_e32 v0, v6
	v_add_co_ci_u32_e32 v11, vcc_lo, v11, v1, vcc_lo
	v_dual_mov_b32 v18, 0 :: v_dual_and_b32 v81, 24, v2
	v_or_b32_e32 v19, 0xa00, v3
	v_or_b32_e32 v8, 0x800, v3
	;; [unrolled: 1-line block ×5, first 2 shown]
	s_delay_alu instid0(TRANS32_DEP_1) | instskip(SKIP_3) | instid1(VALU_DEP_4)
	v_dual_mul_f32 v0, 0x4f7ffffe, v0 :: v_dual_mov_b32 v87, v110
	v_or_b32_e32 v29, 0xd00, v3
	v_or_b32_e32 v30, 0xe00, v3
	;; [unrolled: 1-line block ×3, first 2 shown]
	v_cvt_u32_f32_e32 v6, v0
	v_sub_nc_u32_e32 v0, 0, v26
	v_or_b32_e32 v32, 0x1000, v3
	v_or_b32_e32 v33, 0x1100, v3
	;; [unrolled: 1-line block ×4, first 2 shown]
	v_mul_lo_u32 v0, v0, v6
	v_or_b32_e32 v36, 0x1400, v3
	v_or_b32_e32 v37, 0x1500, v3
	;; [unrolled: 1-line block ×7, first 2 shown]
	v_mul_hi_u32 v7, v6, v0
	v_lshlrev_b64 v[0:1], 2, v[23:24]
	v_or_b32_e32 v51, 0x1b00, v3
	v_or_b32_e32 v52, 0x1c00, v3
	;; [unrolled: 1-line block ×5, first 2 shown]
	v_add_co_u32 v0, vcc_lo, v104, v0
	v_add_nc_u32_e32 v97, v6, v7
	v_lshlrev_b32_e32 v6, 5, v17
	v_add_co_ci_u32_e32 v1, vcc_lo, v105, v1, vcc_lo
	v_dual_mov_b32 v19, 0 :: v_dual_lshlrev_b32 v100, 1, v19
	s_delay_alu instid0(VALU_DEP_3)
	v_lshl_or_b32 v55, v12, 7, v6
	v_add_co_u32 v6, vcc_lo, v14, v0
	v_dual_mov_b32 v85, v110 :: v_dual_add_nc_u32 v82, -1, v82
	v_mov_b32_e32 v86, v110
	v_dual_mov_b32 v24, v110 :: v_dual_lshlrev_b32 v99, 1, v9
	v_dual_mov_b32 v96, v110 :: v_dual_lshlrev_b32 v101, 1, v27
	v_add_co_ci_u32_e32 v7, vcc_lo, v15, v1, vcc_lo
	s_waitcnt lgkmcnt(0)
	v_dual_mov_b32 v27, 0 :: v_dual_add_nc_u32 v14, s0, v55
	v_lshlrev_b32_e32 v15, 1, v3
	v_lshlrev_b32_e32 v98, 1, v8
	;; [unrolled: 1-line block ×16, first 2 shown]
	v_dual_mov_b32 v55, 0 :: v_dual_lshlrev_b32 v132, 1, v50
	v_lshlrev_b32_e32 v133, 1, v51
	v_dual_mov_b32 v65, 0 :: v_dual_lshlrev_b32 v134, 1, v52
	v_lshlrev_b32_e32 v135, 1, v53
	v_dual_mov_b32 v67, 0 :: v_dual_lshlrev_b32 v144, 1, v54
	v_dual_mov_b32 v64, 0 :: v_dual_lshlrev_b32 v145, 1, v2
	v_dual_mov_b32 v28, 0 :: v_dual_mov_b32 v29, 0
	v_dual_mov_b32 v30, 0 :: v_dual_mov_b32 v31, 0
	;; [unrolled: 1-line block ×9, first 2 shown]
	v_mov_b32_e32 v54, 0
	v_dual_mov_b32 v66, 0 :: v_dual_mov_b32 v69, 0
	v_dual_mov_b32 v68, 0 :: v_dual_mov_b32 v71, 0
	v_mov_b32_e32 v70, 0
	v_mov_b32_e32 v80, 0
	s_branch .LBB119_38
.LBB119_36:                             ;   in Loop: Header=BB119_38 Depth=1
	s_or_b32 exec_lo, exec_lo, s0
	v_dual_add_f32 v160, v176, v177 :: v_dual_add_f32 v161, v143, v152
	v_dual_add_f32 v162, v141, v142 :: v_dual_add_f32 v163, v139, v140
	s_waitcnt vmcnt(0) lgkmcnt(0)
	;;#ASMSTART
	v_pk_mul_f16 v0, v151, v0;

	;;#ASMEND
	s_delay_alu instid0(VALU_DEP_2) | instskip(SKIP_2) | instid1(VALU_DEP_3)
	v_dual_add_f32 v19, v19, v160 :: v_dual_add_f32 v160, v137, v138
	v_dual_add_f32 v27, v27, v161 :: v_dual_add_f32 v164, v125, v126
	;; [unrolled: 1-line block ×4, first 2 shown]
	s_delay_alu instid0(VALU_DEP_2) | instskip(NEXT) | instid1(VALU_DEP_4)
	v_dual_add_f32 v162, v105, v106 :: v_dual_add_f32 v31, v31, v161
	v_add_f32_e32 v32, v32, v164
	v_add_f32_e32 v160, v109, v124
	;; [unrolled: 1-line block ×3, first 2 shown]
	v_dual_add_f32 v163, v95, v104 :: v_dual_add_f32 v164, v93, v94
	v_add_f32_e32 v35, v35, v162
	s_delay_alu instid0(VALU_DEP_3) | instskip(NEXT) | instid1(VALU_DEP_3)
	v_dual_add_f32 v33, v33, v160 :: v_dual_add_f32 v34, v34, v161
	v_dual_add_f32 v36, v36, v163 :: v_dual_add_f32 v37, v37, v164
	;; [unrolled: 1-line block ×4, first 2 shown]
	v_add_f32_e32 v164, v75, v76
	s_delay_alu instid0(VALU_DEP_3) | instskip(NEXT) | instid1(VALU_DEP_3)
	v_dual_add_f32 v38, v38, v160 :: v_dual_add_f32 v39, v39, v161
	v_dual_add_f32 v48, v48, v162 :: v_dual_add_f32 v161, v63, v72
	s_delay_alu instid0(VALU_DEP_4) | instskip(SKIP_4) | instid1(VALU_DEP_2)
	v_add_f32_e32 v49, v49, v163
	v_dual_add_f32 v160, v73, v74 :: v_dual_add_f32 v163, v59, v60
	v_add_f32_e32 v162, v61, v62
	;;#ASMSTART
	v_pk_mul_f16 v1, v150, v1;

	;;#ASMEND
	;;#ASMSTART
	v_pk_mul_f16 v2, v149, v2;

	;;#ASMEND
	v_add_f32_e32 v51, v51, v160
	;;#ASMSTART
	v_pk_mul_f16 v3, v147, v3;

	;;#ASMEND
	;;#ASMSTART
	v_pk_add_f16 v0, v0, v1;

	;;#ASMEND
	;;#ASMSTART
	v_pk_add_f16 v0, v0, v2;

	;;#ASMEND
	v_dual_add_f32 v50, v50, v164 :: v_dual_add_f32 v53, v53, v162
	v_add_f32_e32 v164, v57, v58
	v_add_f32_e32 v8, v8, v9
	;; [unrolled: 1-line block ×3, first 2 shown]
	v_dual_add_f32 v52, v52, v161 :: v_dual_add_f32 v161, v42, v43
	s_delay_alu instid0(VALU_DEP_4)
	v_add_f32_e32 v55, v55, v164
	v_add_f32_e32 v160, v46, v56
	;;#ASMSTART
	v_pk_add_f16 v0, v0, v3;

	;;#ASMEND
	v_dual_add_f32 v162, v40, v41 :: v_dual_and_b32 v1, 0xffff, v0
	v_lshrrev_b32_e32 v0, 16, v0
	;;#ASMSTART
	v_cvt_f32_f16 v1, v1;
	;;#ASMEND
	;;#ASMSTART
	v_cvt_f32_f16 v0, v0;
	;;#ASMEND
	v_dual_add_f32 v54, v54, v163 :: v_dual_add_f32 v65, v65, v8
	v_dual_add_f32 v67, v67, v161 :: v_dual_add_f32 v64, v64, v160
	v_dual_add_f32 v3, v178, v179 :: v_dual_add_f32 v68, v68, v162
	v_add_f32_e32 v8, v182, v183
	v_add_f32_e32 v66, v66, v9
	v_dual_add_f32 v2, v180, v181 :: v_dual_add_f32 v9, v146, v148
	v_add_f32_e32 v0, v1, v0
	v_add_f32_e32 v80, v80, v3
	s_delay_alu instid0(VALU_DEP_3) | instskip(SKIP_1) | instid1(VALU_DEP_4)
	v_dual_add_f32 v70, v70, v2 :: v_dual_add_f32 v71, v71, v9
	v_add_f32_e32 v69, v69, v8
	v_add_f32_e32 v18, v18, v0
.LBB119_37:                             ;   in Loop: Header=BB119_38 Depth=1
	s_or_b32 exec_lo, exec_lo, s8
	v_add_nc_u32_e32 v23, 4, v23
	v_add_co_u32 v6, s0, v6, 16
	s_delay_alu instid0(VALU_DEP_1) | instskip(NEXT) | instid1(VALU_DEP_3)
	v_add_co_ci_u32_e64 v7, s0, 0, v7, s0
	v_cmp_ge_i32_e32 vcc_lo, v23, v123
	v_add_nc_u32_e32 v122, 0x80, v122
	v_add_nc_u32_e32 v14, 0x200, v14
	s_or_b32 s5, vcc_lo, s5
	s_delay_alu instid0(SALU_CYCLE_1)
	s_and_not1_b32 exec_lo, exec_lo, s5
	s_cbranch_execz .LBB119_103
.LBB119_38:                             ; =>This Inner Loop Header: Depth=1
	v_sub_nc_u32_e32 v0, 0, v122
	s_delay_alu instid0(VALU_DEP_1) | instskip(NEXT) | instid1(VALU_DEP_1)
	v_max_i32_e32 v0, v122, v0
	v_mul_hi_u32 v1, v0, v120
	s_delay_alu instid0(VALU_DEP_1) | instskip(NEXT) | instid1(VALU_DEP_1)
	v_mul_lo_u32 v2, v1, v111
	v_sub_nc_u32_e32 v0, v0, v2
	v_add_nc_u32_e32 v2, 1, v1
	s_delay_alu instid0(VALU_DEP_2) | instskip(SKIP_1) | instid1(VALU_DEP_2)
	v_sub_nc_u32_e32 v3, v0, v111
	v_cmp_ge_u32_e32 vcc_lo, v0, v111
	v_dual_cndmask_b32 v1, v1, v2 :: v_dual_cndmask_b32 v0, v0, v3
	v_ashrrev_i32_e32 v2, 31, v122
	s_delay_alu instid0(VALU_DEP_2) | instskip(NEXT) | instid1(VALU_DEP_3)
	v_add_nc_u32_e32 v3, 1, v1
	v_cmp_ge_u32_e32 vcc_lo, v0, v111
	s_delay_alu instid0(VALU_DEP_3) | instskip(NEXT) | instid1(VALU_DEP_3)
	v_xor_b32_e32 v2, v2, v121
	v_cndmask_b32_e32 v0, v1, v3, vcc_lo
	s_delay_alu instid0(VALU_DEP_1) | instskip(NEXT) | instid1(VALU_DEP_1)
	v_xor_b32_e32 v0, v0, v2
	v_sub_nc_u32_e32 v0, v0, v2
	s_delay_alu instid0(VALU_DEP_1) | instskip(SKIP_1) | instid1(VALU_DEP_2)
	v_add_nc_u32_e32 v1, v0, v20
	v_cmp_gt_i32_e64 s0, v0, v25
	v_sub_nc_u32_e32 v2, 0, v1
	s_delay_alu instid0(VALU_DEP_1) | instskip(NEXT) | instid1(VALU_DEP_1)
	v_max_i32_e32 v2, v1, v2
	v_mul_hi_u32 v3, v2, v97
	s_delay_alu instid0(VALU_DEP_1) | instskip(NEXT) | instid1(VALU_DEP_1)
	v_mul_lo_u32 v3, v3, v26
	v_sub_nc_u32_e32 v2, v2, v3
	s_delay_alu instid0(VALU_DEP_1) | instskip(SKIP_1) | instid1(VALU_DEP_2)
	v_sub_nc_u32_e32 v3, v2, v26
	v_cmp_ge_u32_e32 vcc_lo, v2, v26
	v_cndmask_b32_e32 v2, v2, v3, vcc_lo
	v_ashrrev_i32_e32 v1, 31, v1
	s_delay_alu instid0(VALU_DEP_2) | instskip(SKIP_1) | instid1(VALU_DEP_2)
	v_sub_nc_u32_e32 v3, v2, v26
	v_cmp_ge_u32_e32 vcc_lo, v2, v26
	v_cndmask_b32_e32 v2, v2, v3, vcc_lo
	s_delay_alu instid0(VALU_DEP_1) | instskip(NEXT) | instid1(VALU_DEP_1)
	v_xor_b32_e32 v2, v2, v1
	v_sub_nc_u32_e32 v1, v2, v1
	s_delay_alu instid0(VALU_DEP_1) | instskip(SKIP_1) | instid1(SALU_CYCLE_1)
	v_cmp_eq_u32_e32 vcc_lo, 0, v1
	s_or_b32 s0, vcc_lo, s0
	s_and_saveexec_b32 s8, s0
	s_cbranch_execz .LBB119_37
; %bb.39:                               ;   in Loop: Header=BB119_38 Depth=1
	flat_load_b32 v146, v[6:7]
	ds_load_2addr_b64 v[0:3], v14 offset1:1
	ds_load_2addr_b64 v[160:163], v14 offset0:2 offset1:3
	s_waitcnt lgkmcnt(1)
	;;#ASMSTART
	v_cvt_f16_f32 v148, v0;

	;;#ASMEND
	s_waitcnt vmcnt(0)
	v_mad_i64_i32 v[8:9], null, v146, v22, 0
	;;#ASMSTART
	v_cvt_f16_f32 v146, v1;

	;;#ASMEND
	;;#ASMSTART
	v_cvt_f16_f32 v149, v2;

	;;#ASMEND
	;; [unrolled: 4-line block ×3, first 2 shown]
	s_waitcnt lgkmcnt(0)
	;;#ASMSTART
	v_cvt_f16_f32 v150, v160;

	;;#ASMEND
	;;#ASMSTART
	v_cvt_f16_f32 v178, v161;

	;;#ASMEND
	;; [unrolled: 4-line block ×3, first 2 shown]
	v_lshlrev_b64 v[8:9], 1, v[8:9]
	;;#ASMSTART
	v_cvt_f16_f32 v179, v163;

	;;#ASMEND
	v_add_nc_u32_e32 v160, v81, v122
	s_delay_alu instid0(VALU_DEP_2) | instskip(NEXT) | instid1(VALU_DEP_3)
	v_add_co_u32 v176, vcc_lo, v10, v8
	v_add_co_ci_u32_e32 v177, vcc_lo, v11, v9, vcc_lo
	s_delay_alu instid0(VALU_DEP_3) | instskip(NEXT) | instid1(VALU_DEP_3)
	v_add_nc_u32_e32 v161, 1, v160
	v_add_co_u32 v8, vcc_lo, v176, v15
	s_delay_alu instid0(VALU_DEP_3)
	v_add_co_ci_u32_e32 v9, vcc_lo, 0, v177, vcc_lo
	v_cmp_eq_u32_e32 vcc_lo, v82, v23
	v_or_b32_e32 v163, 3, v160
	v_or_b32_e32 v162, 2, v160
	flat_load_b128 v[0:3], v[8:9]
	v_or_b32_e32 v165, 5, v160
	v_or_b32_e32 v164, 4, v160
	;; [unrolled: 1-line block ×4, first 2 shown]
	s_and_saveexec_b32 s9, vcc_lo
	s_cbranch_execz .LBB119_41
; %bb.40:                               ;   in Loop: Header=BB119_38 Depth=1
	s_delay_alu instid0(VALU_DEP_1)
	v_cmp_lt_i32_e64 s0, v167, v24
	s_waitcnt vmcnt(0) lgkmcnt(0)
	v_lshrrev_b32_e32 v180, 16, v3
	v_lshrrev_b32_e32 v181, 16, v2
	;; [unrolled: 1-line block ×4, first 2 shown]
	v_cndmask_b32_e64 v3, 0, v3, s0
	v_cmp_lt_i32_e64 s0, v166, v96
	s_delay_alu instid0(VALU_DEP_1) | instskip(SKIP_1) | instid1(VALU_DEP_2)
	v_cndmask_b32_e64 v180, 0, v180, s0
	v_cmp_lt_i32_e64 s0, v165, v87
	v_perm_b32 v3, v180, v3, 0x5040100
	s_delay_alu instid0(VALU_DEP_2) | instskip(SKIP_1) | instid1(VALU_DEP_1)
	v_cndmask_b32_e64 v181, 0, v181, s0
	v_cmp_lt_i32_e64 s0, v164, v86
	v_cndmask_b32_e64 v2, 0, v2, s0
	v_cmp_lt_i32_e64 s0, v163, v85
	s_delay_alu instid0(VALU_DEP_2) | instskip(NEXT) | instid1(VALU_DEP_2)
	v_perm_b32 v2, v181, v2, 0x5040100
	v_cndmask_b32_e64 v182, 0, v182, s0
	v_cmp_lt_i32_e64 s0, v162, v84
	s_delay_alu instid0(VALU_DEP_1) | instskip(SKIP_1) | instid1(VALU_DEP_2)
	v_cndmask_b32_e64 v1, 0, v1, s0
	v_cmp_lt_i32_e64 s0, v161, v83
	v_perm_b32 v1, v182, v1, 0x5040100
	s_delay_alu instid0(VALU_DEP_2) | instskip(SKIP_1) | instid1(VALU_DEP_1)
	v_cndmask_b32_e64 v183, 0, v183, s0
	v_cmp_lt_i32_e64 s0, v160, v110
	v_cndmask_b32_e64 v0, 0, v0, s0
	s_delay_alu instid0(VALU_DEP_1)
	v_perm_b32 v0, v183, v0, 0x5040100
.LBB119_41:                             ;   in Loop: Header=BB119_38 Depth=1
	s_or_b32 exec_lo, exec_lo, s9
	v_and_b32_e32 v148, 0xffff, v148
	v_and_b32_e32 v149, 0xffff, v149
	;; [unrolled: 1-line block ×4, first 2 shown]
	s_delay_alu instid0(VALU_DEP_4)
	v_lshl_or_b32 v151, v146, 16, v148
	s_waitcnt vmcnt(0) lgkmcnt(0)
	;;#ASMSTART
	v_pk_mul_f16 v0, v151, v0;

	;;#ASMEND
	v_lshl_or_b32 v150, v147, 16, v149
	v_lshl_or_b32 v149, v178, 16, v180
	;; [unrolled: 1-line block ×3, first 2 shown]
	;;#ASMSTART
	v_pk_mul_f16 v1, v150, v1;

	;;#ASMEND
	;;#ASMSTART
	v_pk_mul_f16 v2, v149, v2;

	;;#ASMEND
	;; [unrolled: 4-line block ×3, first 2 shown]
	;;#ASMSTART
	v_pk_add_f16 v0, v0, v1;

	;;#ASMEND
	;;#ASMSTART
	v_pk_add_f16 v0, v0, v2;

	;;#ASMEND
	;; [unrolled: 4-line block ×3, first 2 shown]
	v_and_b32_e32 v1, 0xffff, v0
	v_lshrrev_b32_e32 v0, 16, v0
	;;#ASMSTART
	v_cvt_f32_f16 v146, v1;
	;;#ASMEND
	;;#ASMSTART
	v_cvt_f32_f16 v148, v0;
	;;#ASMEND
	flat_load_b128 v[0:3], v[8:9] offset:512
	s_and_saveexec_b32 s9, vcc_lo
	s_cbranch_execz .LBB119_43
; %bb.42:                               ;   in Loop: Header=BB119_38 Depth=1
	v_cmp_lt_i32_e64 s0, v167, v24
	s_waitcnt vmcnt(0) lgkmcnt(0)
	v_lshrrev_b32_e32 v178, 16, v3
	v_lshrrev_b32_e32 v179, 16, v2
	v_lshrrev_b32_e32 v180, 16, v1
	v_lshrrev_b32_e32 v181, 16, v0
	v_cndmask_b32_e64 v3, 0, v3, s0
	v_cmp_lt_i32_e64 s0, v166, v96
	s_delay_alu instid0(VALU_DEP_1) | instskip(SKIP_1) | instid1(VALU_DEP_2)
	v_cndmask_b32_e64 v178, 0, v178, s0
	v_cmp_lt_i32_e64 s0, v165, v87
	v_perm_b32 v3, v178, v3, 0x5040100
	s_delay_alu instid0(VALU_DEP_2) | instskip(SKIP_1) | instid1(VALU_DEP_1)
	v_cndmask_b32_e64 v179, 0, v179, s0
	v_cmp_lt_i32_e64 s0, v164, v86
	v_cndmask_b32_e64 v2, 0, v2, s0
	v_cmp_lt_i32_e64 s0, v163, v85
	s_delay_alu instid0(VALU_DEP_2) | instskip(NEXT) | instid1(VALU_DEP_2)
	v_perm_b32 v2, v179, v2, 0x5040100
	v_cndmask_b32_e64 v180, 0, v180, s0
	v_cmp_lt_i32_e64 s0, v162, v84
	s_delay_alu instid0(VALU_DEP_1) | instskip(SKIP_1) | instid1(VALU_DEP_2)
	v_cndmask_b32_e64 v1, 0, v1, s0
	v_cmp_lt_i32_e64 s0, v161, v83
	v_perm_b32 v1, v180, v1, 0x5040100
	s_delay_alu instid0(VALU_DEP_2) | instskip(SKIP_1) | instid1(VALU_DEP_1)
	v_cndmask_b32_e64 v181, 0, v181, s0
	v_cmp_lt_i32_e64 s0, v160, v110
	v_cndmask_b32_e64 v0, 0, v0, s0
	s_delay_alu instid0(VALU_DEP_1)
	v_perm_b32 v0, v181, v0, 0x5040100
.LBB119_43:                             ;   in Loop: Header=BB119_38 Depth=1
	s_or_b32 exec_lo, exec_lo, s9
	s_waitcnt vmcnt(0) lgkmcnt(0)
	;;#ASMSTART
	v_pk_mul_f16 v0, v151, v0;

	;;#ASMEND
	;;#ASMSTART
	v_pk_mul_f16 v1, v150, v1;

	;;#ASMEND
	;; [unrolled: 4-line block ×4, first 2 shown]
	;;#ASMSTART
	v_pk_add_f16 v0, v0, v1;

	;;#ASMEND
	;;#ASMSTART
	v_pk_add_f16 v0, v0, v2;

	;;#ASMEND
	;;#ASMSTART
	v_pk_add_f16 v0, v0, v3;

	;;#ASMEND
	v_and_b32_e32 v1, 0xffff, v0
	v_lshrrev_b32_e32 v0, 16, v0
	;;#ASMSTART
	v_cvt_f32_f16 v178, v1;
	;;#ASMEND
	;;#ASMSTART
	v_cvt_f32_f16 v179, v0;
	;;#ASMEND
	flat_load_b128 v[0:3], v[8:9] offset:1024
	s_and_saveexec_b32 s9, vcc_lo
	s_cbranch_execz .LBB119_45
; %bb.44:                               ;   in Loop: Header=BB119_38 Depth=1
	v_cmp_lt_i32_e64 s0, v167, v24
	s_waitcnt vmcnt(0) lgkmcnt(0)
	v_lshrrev_b32_e32 v180, 16, v3
	v_lshrrev_b32_e32 v181, 16, v2
	;; [unrolled: 1-line block ×4, first 2 shown]
	v_cndmask_b32_e64 v3, 0, v3, s0
	v_cmp_lt_i32_e64 s0, v166, v96
	s_delay_alu instid0(VALU_DEP_1) | instskip(SKIP_1) | instid1(VALU_DEP_2)
	v_cndmask_b32_e64 v180, 0, v180, s0
	v_cmp_lt_i32_e64 s0, v165, v87
	v_perm_b32 v3, v180, v3, 0x5040100
	s_delay_alu instid0(VALU_DEP_2) | instskip(SKIP_1) | instid1(VALU_DEP_1)
	v_cndmask_b32_e64 v181, 0, v181, s0
	v_cmp_lt_i32_e64 s0, v164, v86
	v_cndmask_b32_e64 v2, 0, v2, s0
	v_cmp_lt_i32_e64 s0, v163, v85
	s_delay_alu instid0(VALU_DEP_2) | instskip(NEXT) | instid1(VALU_DEP_2)
	v_perm_b32 v2, v181, v2, 0x5040100
	v_cndmask_b32_e64 v182, 0, v182, s0
	v_cmp_lt_i32_e64 s0, v162, v84
	s_delay_alu instid0(VALU_DEP_1) | instskip(SKIP_1) | instid1(VALU_DEP_2)
	v_cndmask_b32_e64 v1, 0, v1, s0
	v_cmp_lt_i32_e64 s0, v161, v83
	v_perm_b32 v1, v182, v1, 0x5040100
	s_delay_alu instid0(VALU_DEP_2) | instskip(SKIP_1) | instid1(VALU_DEP_1)
	v_cndmask_b32_e64 v183, 0, v183, s0
	v_cmp_lt_i32_e64 s0, v160, v110
	v_cndmask_b32_e64 v0, 0, v0, s0
	s_delay_alu instid0(VALU_DEP_1)
	v_perm_b32 v0, v183, v0, 0x5040100
.LBB119_45:                             ;   in Loop: Header=BB119_38 Depth=1
	s_or_b32 exec_lo, exec_lo, s9
	s_waitcnt vmcnt(0) lgkmcnt(0)
	;;#ASMSTART
	v_pk_mul_f16 v0, v151, v0;

	;;#ASMEND
	;;#ASMSTART
	v_pk_mul_f16 v1, v150, v1;

	;;#ASMEND
	;;#ASMSTART
	v_pk_mul_f16 v2, v149, v2;

	;;#ASMEND
	;;#ASMSTART
	v_pk_mul_f16 v3, v147, v3;

	;;#ASMEND
	;;#ASMSTART
	v_pk_add_f16 v0, v0, v1;

	;;#ASMEND
	;;#ASMSTART
	v_pk_add_f16 v0, v0, v2;

	;;#ASMEND
	;; [unrolled: 4-line block ×3, first 2 shown]
	v_and_b32_e32 v1, 0xffff, v0
	v_lshrrev_b32_e32 v0, 16, v0
	;;#ASMSTART
	v_cvt_f32_f16 v180, v1;
	;;#ASMEND
	;;#ASMSTART
	v_cvt_f32_f16 v181, v0;
	;;#ASMEND
	flat_load_b128 v[0:3], v[8:9] offset:1536
	s_and_saveexec_b32 s9, vcc_lo
	s_cbranch_execz .LBB119_47
; %bb.46:                               ;   in Loop: Header=BB119_38 Depth=1
	v_cmp_lt_i32_e64 s0, v167, v24
	s_waitcnt vmcnt(0) lgkmcnt(0)
	v_lshrrev_b32_e32 v182, 16, v3
	v_lshrrev_b32_e32 v183, 16, v2
	;; [unrolled: 1-line block ×4, first 2 shown]
	v_cndmask_b32_e64 v3, 0, v3, s0
	v_cmp_lt_i32_e64 s0, v166, v96
	s_delay_alu instid0(VALU_DEP_1) | instskip(SKIP_1) | instid1(VALU_DEP_2)
	v_cndmask_b32_e64 v182, 0, v182, s0
	v_cmp_lt_i32_e64 s0, v165, v87
	v_perm_b32 v3, v182, v3, 0x5040100
	s_delay_alu instid0(VALU_DEP_2) | instskip(SKIP_1) | instid1(VALU_DEP_1)
	v_cndmask_b32_e64 v183, 0, v183, s0
	v_cmp_lt_i32_e64 s0, v164, v86
	v_cndmask_b32_e64 v2, 0, v2, s0
	v_cmp_lt_i32_e64 s0, v163, v85
	s_delay_alu instid0(VALU_DEP_2) | instskip(NEXT) | instid1(VALU_DEP_2)
	v_perm_b32 v2, v183, v2, 0x5040100
	v_cndmask_b32_e64 v40, 0, v40, s0
	v_cmp_lt_i32_e64 s0, v162, v84
	s_delay_alu instid0(VALU_DEP_1) | instskip(SKIP_1) | instid1(VALU_DEP_2)
	v_cndmask_b32_e64 v1, 0, v1, s0
	v_cmp_lt_i32_e64 s0, v161, v83
	v_perm_b32 v1, v40, v1, 0x5040100
	s_delay_alu instid0(VALU_DEP_2) | instskip(SKIP_1) | instid1(VALU_DEP_1)
	v_cndmask_b32_e64 v41, 0, v41, s0
	v_cmp_lt_i32_e64 s0, v160, v110
	v_cndmask_b32_e64 v0, 0, v0, s0
	s_delay_alu instid0(VALU_DEP_1)
	v_perm_b32 v0, v41, v0, 0x5040100
.LBB119_47:                             ;   in Loop: Header=BB119_38 Depth=1
	s_or_b32 exec_lo, exec_lo, s9
	s_waitcnt vmcnt(0) lgkmcnt(0)
	;;#ASMSTART
	v_pk_mul_f16 v0, v151, v0;

	;;#ASMEND
	;;#ASMSTART
	v_pk_mul_f16 v1, v150, v1;

	;;#ASMEND
	;; [unrolled: 4-line block ×4, first 2 shown]
	;;#ASMSTART
	v_pk_add_f16 v0, v0, v1;

	;;#ASMEND
	;;#ASMSTART
	v_pk_add_f16 v0, v0, v2;

	;;#ASMEND
	;; [unrolled: 4-line block ×3, first 2 shown]
	v_and_b32_e32 v1, 0xffff, v0
	v_lshrrev_b32_e32 v0, 16, v0
	;;#ASMSTART
	v_cvt_f32_f16 v182, v1;
	;;#ASMEND
	;;#ASMSTART
	v_cvt_f32_f16 v183, v0;
	;;#ASMEND
	flat_load_b128 v[0:3], v[8:9] offset:2048
	s_and_saveexec_b32 s9, vcc_lo
	s_cbranch_execz .LBB119_49
; %bb.48:                               ;   in Loop: Header=BB119_38 Depth=1
	v_cmp_lt_i32_e64 s0, v167, v24
	s_waitcnt vmcnt(0) lgkmcnt(0)
	v_lshrrev_b32_e32 v40, 16, v3
	v_lshrrev_b32_e32 v41, 16, v2
	;; [unrolled: 1-line block ×4, first 2 shown]
	v_cndmask_b32_e64 v3, 0, v3, s0
	v_cmp_lt_i32_e64 s0, v166, v96
	s_delay_alu instid0(VALU_DEP_1) | instskip(SKIP_1) | instid1(VALU_DEP_2)
	v_cndmask_b32_e64 v40, 0, v40, s0
	v_cmp_lt_i32_e64 s0, v165, v87
	v_perm_b32 v3, v40, v3, 0x5040100
	s_delay_alu instid0(VALU_DEP_2) | instskip(SKIP_1) | instid1(VALU_DEP_1)
	v_cndmask_b32_e64 v41, 0, v41, s0
	v_cmp_lt_i32_e64 s0, v164, v86
	v_cndmask_b32_e64 v2, 0, v2, s0
	v_cmp_lt_i32_e64 s0, v163, v85
	s_delay_alu instid0(VALU_DEP_2) | instskip(NEXT) | instid1(VALU_DEP_2)
	v_perm_b32 v2, v41, v2, 0x5040100
	v_cndmask_b32_e64 v42, 0, v42, s0
	v_cmp_lt_i32_e64 s0, v162, v84
	s_delay_alu instid0(VALU_DEP_1) | instskip(SKIP_1) | instid1(VALU_DEP_2)
	v_cndmask_b32_e64 v1, 0, v1, s0
	v_cmp_lt_i32_e64 s0, v161, v83
	v_perm_b32 v1, v42, v1, 0x5040100
	s_delay_alu instid0(VALU_DEP_2) | instskip(SKIP_1) | instid1(VALU_DEP_1)
	v_cndmask_b32_e64 v43, 0, v43, s0
	v_cmp_lt_i32_e64 s0, v160, v110
	v_cndmask_b32_e64 v0, 0, v0, s0
	s_delay_alu instid0(VALU_DEP_1)
	v_perm_b32 v0, v43, v0, 0x5040100
.LBB119_49:                             ;   in Loop: Header=BB119_38 Depth=1
	s_or_b32 exec_lo, exec_lo, s9
	s_waitcnt vmcnt(0) lgkmcnt(0)
	;;#ASMSTART
	v_pk_mul_f16 v0, v151, v0;

	;;#ASMEND
	;;#ASMSTART
	v_pk_mul_f16 v1, v150, v1;

	;;#ASMEND
	;; [unrolled: 4-line block ×4, first 2 shown]
	;;#ASMSTART
	v_pk_add_f16 v0, v0, v1;

	;;#ASMEND
	;;#ASMSTART
	v_pk_add_f16 v0, v0, v2;

	;;#ASMEND
	;; [unrolled: 4-line block ×3, first 2 shown]
	v_and_b32_e32 v1, 0xffff, v0
	v_lshrrev_b32_e32 v0, 16, v0
	;;#ASMSTART
	v_cvt_f32_f16 v40, v1;
	;;#ASMEND
	;;#ASMSTART
	v_cvt_f32_f16 v41, v0;
	;;#ASMEND
	flat_load_b128 v[0:3], v[8:9] offset:2560
	s_and_saveexec_b32 s9, vcc_lo
	s_cbranch_execz .LBB119_51
; %bb.50:                               ;   in Loop: Header=BB119_38 Depth=1
	v_cmp_lt_i32_e64 s0, v167, v24
	s_waitcnt vmcnt(0) lgkmcnt(0)
	v_lshrrev_b32_e32 v42, 16, v3
	v_lshrrev_b32_e32 v43, 16, v2
	;; [unrolled: 1-line block ×4, first 2 shown]
	v_cndmask_b32_e64 v3, 0, v3, s0
	v_cmp_lt_i32_e64 s0, v166, v96
	s_delay_alu instid0(VALU_DEP_1) | instskip(SKIP_1) | instid1(VALU_DEP_2)
	v_cndmask_b32_e64 v42, 0, v42, s0
	v_cmp_lt_i32_e64 s0, v165, v87
	v_perm_b32 v3, v42, v3, 0x5040100
	s_delay_alu instid0(VALU_DEP_2) | instskip(SKIP_1) | instid1(VALU_DEP_1)
	v_cndmask_b32_e64 v43, 0, v43, s0
	v_cmp_lt_i32_e64 s0, v164, v86
	v_cndmask_b32_e64 v2, 0, v2, s0
	v_cmp_lt_i32_e64 s0, v163, v85
	s_delay_alu instid0(VALU_DEP_2) | instskip(NEXT) | instid1(VALU_DEP_2)
	v_perm_b32 v2, v43, v2, 0x5040100
	v_cndmask_b32_e64 v44, 0, v44, s0
	v_cmp_lt_i32_e64 s0, v162, v84
	s_delay_alu instid0(VALU_DEP_1) | instskip(SKIP_1) | instid1(VALU_DEP_2)
	v_cndmask_b32_e64 v1, 0, v1, s0
	v_cmp_lt_i32_e64 s0, v161, v83
	v_perm_b32 v1, v44, v1, 0x5040100
	s_delay_alu instid0(VALU_DEP_2) | instskip(SKIP_1) | instid1(VALU_DEP_1)
	v_cndmask_b32_e64 v45, 0, v45, s0
	v_cmp_lt_i32_e64 s0, v160, v110
	v_cndmask_b32_e64 v0, 0, v0, s0
	s_delay_alu instid0(VALU_DEP_1)
	v_perm_b32 v0, v45, v0, 0x5040100
.LBB119_51:                             ;   in Loop: Header=BB119_38 Depth=1
	s_or_b32 exec_lo, exec_lo, s9
	s_waitcnt vmcnt(0) lgkmcnt(0)
	;;#ASMSTART
	v_pk_mul_f16 v0, v151, v0;

	;;#ASMEND
	;;#ASMSTART
	v_pk_mul_f16 v1, v150, v1;

	;;#ASMEND
	;; [unrolled: 4-line block ×4, first 2 shown]
	;;#ASMSTART
	v_pk_add_f16 v0, v0, v1;

	;;#ASMEND
	;;#ASMSTART
	v_pk_add_f16 v0, v0, v2;

	;;#ASMEND
	;; [unrolled: 4-line block ×3, first 2 shown]
	v_and_b32_e32 v1, 0xffff, v0
	v_lshrrev_b32_e32 v0, 16, v0
	;;#ASMSTART
	v_cvt_f32_f16 v42, v1;
	;;#ASMEND
	;;#ASMSTART
	v_cvt_f32_f16 v43, v0;
	;;#ASMEND
	flat_load_b128 v[0:3], v[8:9] offset:3072
	s_and_saveexec_b32 s9, vcc_lo
	s_cbranch_execz .LBB119_53
; %bb.52:                               ;   in Loop: Header=BB119_38 Depth=1
	v_cmp_lt_i32_e64 s0, v167, v24
	s_waitcnt vmcnt(0) lgkmcnt(0)
	v_lshrrev_b32_e32 v44, 16, v3
	v_lshrrev_b32_e32 v45, 16, v2
	;; [unrolled: 1-line block ×4, first 2 shown]
	v_cndmask_b32_e64 v3, 0, v3, s0
	v_cmp_lt_i32_e64 s0, v166, v96
	s_delay_alu instid0(VALU_DEP_1) | instskip(SKIP_1) | instid1(VALU_DEP_2)
	v_cndmask_b32_e64 v44, 0, v44, s0
	v_cmp_lt_i32_e64 s0, v165, v87
	v_perm_b32 v3, v44, v3, 0x5040100
	s_delay_alu instid0(VALU_DEP_2) | instskip(SKIP_1) | instid1(VALU_DEP_1)
	v_cndmask_b32_e64 v45, 0, v45, s0
	v_cmp_lt_i32_e64 s0, v164, v86
	v_cndmask_b32_e64 v2, 0, v2, s0
	v_cmp_lt_i32_e64 s0, v163, v85
	s_delay_alu instid0(VALU_DEP_2) | instskip(NEXT) | instid1(VALU_DEP_2)
	v_perm_b32 v2, v45, v2, 0x5040100
	v_cndmask_b32_e64 v46, 0, v46, s0
	v_cmp_lt_i32_e64 s0, v162, v84
	s_delay_alu instid0(VALU_DEP_1) | instskip(SKIP_1) | instid1(VALU_DEP_2)
	v_cndmask_b32_e64 v1, 0, v1, s0
	v_cmp_lt_i32_e64 s0, v161, v83
	v_perm_b32 v1, v46, v1, 0x5040100
	s_delay_alu instid0(VALU_DEP_2) | instskip(SKIP_1) | instid1(VALU_DEP_1)
	v_cndmask_b32_e64 v56, 0, v56, s0
	v_cmp_lt_i32_e64 s0, v160, v110
	v_cndmask_b32_e64 v0, 0, v0, s0
	s_delay_alu instid0(VALU_DEP_1)
	v_perm_b32 v0, v56, v0, 0x5040100
.LBB119_53:                             ;   in Loop: Header=BB119_38 Depth=1
	s_or_b32 exec_lo, exec_lo, s9
	s_waitcnt vmcnt(0) lgkmcnt(0)
	;;#ASMSTART
	v_pk_mul_f16 v0, v151, v0;

	;;#ASMEND
	;;#ASMSTART
	v_pk_mul_f16 v1, v150, v1;

	;;#ASMEND
	;; [unrolled: 4-line block ×4, first 2 shown]
	;;#ASMSTART
	v_pk_add_f16 v0, v0, v1;

	;;#ASMEND
	;;#ASMSTART
	v_pk_add_f16 v0, v0, v2;

	;;#ASMEND
	;; [unrolled: 4-line block ×3, first 2 shown]
	v_and_b32_e32 v1, 0xffff, v0
	v_lshrrev_b32_e32 v0, 16, v0
	;;#ASMSTART
	v_cvt_f32_f16 v44, v1;
	;;#ASMEND
	;;#ASMSTART
	v_cvt_f32_f16 v45, v0;
	;;#ASMEND
	flat_load_b128 v[0:3], v[8:9] offset:3584
	s_and_saveexec_b32 s9, vcc_lo
	s_cbranch_execz .LBB119_55
; %bb.54:                               ;   in Loop: Header=BB119_38 Depth=1
	v_cmp_lt_i32_e64 s0, v167, v24
	s_waitcnt vmcnt(0) lgkmcnt(0)
	v_lshrrev_b32_e32 v8, 16, v3
	v_lshrrev_b32_e32 v9, 16, v2
	;; [unrolled: 1-line block ×4, first 2 shown]
	v_cndmask_b32_e64 v3, 0, v3, s0
	v_cmp_lt_i32_e64 s0, v166, v96
	s_delay_alu instid0(VALU_DEP_1) | instskip(SKIP_1) | instid1(VALU_DEP_2)
	v_cndmask_b32_e64 v8, 0, v8, s0
	v_cmp_lt_i32_e64 s0, v165, v87
	v_perm_b32 v3, v8, v3, 0x5040100
	s_delay_alu instid0(VALU_DEP_2) | instskip(SKIP_1) | instid1(VALU_DEP_1)
	v_cndmask_b32_e64 v9, 0, v9, s0
	v_cmp_lt_i32_e64 s0, v164, v86
	v_cndmask_b32_e64 v2, 0, v2, s0
	v_cmp_lt_i32_e64 s0, v163, v85
	s_delay_alu instid0(VALU_DEP_2) | instskip(NEXT) | instid1(VALU_DEP_2)
	v_perm_b32 v2, v9, v2, 0x5040100
	v_cndmask_b32_e64 v46, 0, v46, s0
	v_cmp_lt_i32_e64 s0, v162, v84
	s_delay_alu instid0(VALU_DEP_1) | instskip(SKIP_1) | instid1(VALU_DEP_2)
	v_cndmask_b32_e64 v1, 0, v1, s0
	v_cmp_lt_i32_e64 s0, v161, v83
	v_perm_b32 v1, v46, v1, 0x5040100
	s_delay_alu instid0(VALU_DEP_2) | instskip(SKIP_1) | instid1(VALU_DEP_1)
	v_cndmask_b32_e64 v56, 0, v56, s0
	v_cmp_lt_i32_e64 s0, v160, v110
	v_cndmask_b32_e64 v0, 0, v0, s0
	s_delay_alu instid0(VALU_DEP_1)
	v_perm_b32 v0, v56, v0, 0x5040100
.LBB119_55:                             ;   in Loop: Header=BB119_38 Depth=1
	s_or_b32 exec_lo, exec_lo, s9
	s_waitcnt vmcnt(0) lgkmcnt(0)
	;;#ASMSTART
	v_pk_mul_f16 v0, v151, v0;

	;;#ASMEND
	;;#ASMSTART
	v_pk_mul_f16 v1, v150, v1;

	;;#ASMEND
	;; [unrolled: 4-line block ×4, first 2 shown]
	;;#ASMSTART
	v_pk_add_f16 v0, v0, v1;

	;;#ASMEND
	;;#ASMSTART
	v_pk_add_f16 v0, v0, v2;

	;;#ASMEND
	;; [unrolled: 4-line block ×3, first 2 shown]
	v_lshrrev_b32_e32 v2, 16, v0
	v_and_b32_e32 v3, 0xffff, v0
	v_add_co_u32 v0, s0, v176, v98
	s_delay_alu instid0(VALU_DEP_1)
	v_add_co_ci_u32_e64 v1, s0, 0, v177, s0
	;;#ASMSTART
	v_cvt_f32_f16 v8, v3;
	;;#ASMEND
	;;#ASMSTART
	v_cvt_f32_f16 v9, v2;
	;;#ASMEND
	flat_load_b128 v[0:3], v[0:1]
	s_and_saveexec_b32 s9, vcc_lo
	s_cbranch_execz .LBB119_57
; %bb.56:                               ;   in Loop: Header=BB119_38 Depth=1
	v_cmp_lt_i32_e64 s0, v167, v24
	s_waitcnt vmcnt(0) lgkmcnt(0)
	v_lshrrev_b32_e32 v46, 16, v3
	v_lshrrev_b32_e32 v56, 16, v2
	;; [unrolled: 1-line block ×4, first 2 shown]
	v_cndmask_b32_e64 v3, 0, v3, s0
	v_cmp_lt_i32_e64 s0, v166, v96
	s_delay_alu instid0(VALU_DEP_1) | instskip(SKIP_1) | instid1(VALU_DEP_2)
	v_cndmask_b32_e64 v46, 0, v46, s0
	v_cmp_lt_i32_e64 s0, v165, v87
	v_perm_b32 v3, v46, v3, 0x5040100
	s_delay_alu instid0(VALU_DEP_2) | instskip(SKIP_1) | instid1(VALU_DEP_1)
	v_cndmask_b32_e64 v56, 0, v56, s0
	v_cmp_lt_i32_e64 s0, v164, v86
	v_cndmask_b32_e64 v2, 0, v2, s0
	v_cmp_lt_i32_e64 s0, v163, v85
	s_delay_alu instid0(VALU_DEP_2) | instskip(NEXT) | instid1(VALU_DEP_2)
	v_perm_b32 v2, v56, v2, 0x5040100
	v_cndmask_b32_e64 v57, 0, v57, s0
	v_cmp_lt_i32_e64 s0, v162, v84
	s_delay_alu instid0(VALU_DEP_1) | instskip(SKIP_1) | instid1(VALU_DEP_2)
	v_cndmask_b32_e64 v1, 0, v1, s0
	v_cmp_lt_i32_e64 s0, v161, v83
	v_perm_b32 v1, v57, v1, 0x5040100
	s_delay_alu instid0(VALU_DEP_2) | instskip(SKIP_1) | instid1(VALU_DEP_1)
	v_cndmask_b32_e64 v58, 0, v58, s0
	v_cmp_lt_i32_e64 s0, v160, v110
	v_cndmask_b32_e64 v0, 0, v0, s0
	s_delay_alu instid0(VALU_DEP_1)
	v_perm_b32 v0, v58, v0, 0x5040100
.LBB119_57:                             ;   in Loop: Header=BB119_38 Depth=1
	s_or_b32 exec_lo, exec_lo, s9
	s_waitcnt vmcnt(0) lgkmcnt(0)
	;;#ASMSTART
	v_pk_mul_f16 v0, v151, v0;

	;;#ASMEND
	;;#ASMSTART
	v_pk_mul_f16 v1, v150, v1;

	;;#ASMEND
	;; [unrolled: 4-line block ×4, first 2 shown]
	;;#ASMSTART
	v_pk_add_f16 v0, v0, v1;

	;;#ASMEND
	;;#ASMSTART
	v_pk_add_f16 v0, v0, v2;

	;;#ASMEND
	;; [unrolled: 4-line block ×3, first 2 shown]
	v_lshrrev_b32_e32 v2, 16, v0
	v_and_b32_e32 v3, 0xffff, v0
	v_add_co_u32 v0, s0, v176, v99
	s_delay_alu instid0(VALU_DEP_1)
	v_add_co_ci_u32_e64 v1, s0, 0, v177, s0
	;;#ASMSTART
	v_cvt_f32_f16 v46, v3;
	;;#ASMEND
	;;#ASMSTART
	v_cvt_f32_f16 v56, v2;
	;;#ASMEND
	flat_load_b128 v[0:3], v[0:1]
	s_and_saveexec_b32 s9, vcc_lo
	s_cbranch_execz .LBB119_59
; %bb.58:                               ;   in Loop: Header=BB119_38 Depth=1
	v_cmp_lt_i32_e64 s0, v167, v24
	s_waitcnt vmcnt(0) lgkmcnt(0)
	v_lshrrev_b32_e32 v57, 16, v3
	v_lshrrev_b32_e32 v58, 16, v2
	;; [unrolled: 1-line block ×4, first 2 shown]
	v_cndmask_b32_e64 v3, 0, v3, s0
	v_cmp_lt_i32_e64 s0, v166, v96
	s_delay_alu instid0(VALU_DEP_1) | instskip(SKIP_1) | instid1(VALU_DEP_2)
	v_cndmask_b32_e64 v57, 0, v57, s0
	v_cmp_lt_i32_e64 s0, v165, v87
	v_perm_b32 v3, v57, v3, 0x5040100
	s_delay_alu instid0(VALU_DEP_2) | instskip(SKIP_1) | instid1(VALU_DEP_1)
	v_cndmask_b32_e64 v58, 0, v58, s0
	v_cmp_lt_i32_e64 s0, v164, v86
	v_cndmask_b32_e64 v2, 0, v2, s0
	v_cmp_lt_i32_e64 s0, v163, v85
	s_delay_alu instid0(VALU_DEP_2) | instskip(NEXT) | instid1(VALU_DEP_2)
	v_perm_b32 v2, v58, v2, 0x5040100
	v_cndmask_b32_e64 v59, 0, v59, s0
	v_cmp_lt_i32_e64 s0, v162, v84
	s_delay_alu instid0(VALU_DEP_1) | instskip(SKIP_1) | instid1(VALU_DEP_2)
	v_cndmask_b32_e64 v1, 0, v1, s0
	v_cmp_lt_i32_e64 s0, v161, v83
	v_perm_b32 v1, v59, v1, 0x5040100
	s_delay_alu instid0(VALU_DEP_2) | instskip(SKIP_1) | instid1(VALU_DEP_1)
	v_cndmask_b32_e64 v60, 0, v60, s0
	v_cmp_lt_i32_e64 s0, v160, v110
	v_cndmask_b32_e64 v0, 0, v0, s0
	s_delay_alu instid0(VALU_DEP_1)
	v_perm_b32 v0, v60, v0, 0x5040100
.LBB119_59:                             ;   in Loop: Header=BB119_38 Depth=1
	s_or_b32 exec_lo, exec_lo, s9
	s_waitcnt vmcnt(0) lgkmcnt(0)
	;;#ASMSTART
	v_pk_mul_f16 v0, v151, v0;

	;;#ASMEND
	;;#ASMSTART
	v_pk_mul_f16 v1, v150, v1;

	;;#ASMEND
	;; [unrolled: 4-line block ×4, first 2 shown]
	;;#ASMSTART
	v_pk_add_f16 v0, v0, v1;

	;;#ASMEND
	;;#ASMSTART
	v_pk_add_f16 v0, v0, v2;

	;;#ASMEND
	;; [unrolled: 4-line block ×3, first 2 shown]
	v_lshrrev_b32_e32 v2, 16, v0
	v_and_b32_e32 v3, 0xffff, v0
	v_add_co_u32 v0, s0, v176, v100
	s_delay_alu instid0(VALU_DEP_1)
	v_add_co_ci_u32_e64 v1, s0, 0, v177, s0
	;;#ASMSTART
	v_cvt_f32_f16 v57, v3;
	;;#ASMEND
	;;#ASMSTART
	v_cvt_f32_f16 v58, v2;
	;;#ASMEND
	flat_load_b128 v[0:3], v[0:1]
	s_and_saveexec_b32 s9, vcc_lo
	s_cbranch_execz .LBB119_61
; %bb.60:                               ;   in Loop: Header=BB119_38 Depth=1
	v_cmp_lt_i32_e64 s0, v167, v24
	s_waitcnt vmcnt(0) lgkmcnt(0)
	v_lshrrev_b32_e32 v59, 16, v3
	v_lshrrev_b32_e32 v60, 16, v2
	;; [unrolled: 1-line block ×4, first 2 shown]
	v_cndmask_b32_e64 v3, 0, v3, s0
	v_cmp_lt_i32_e64 s0, v166, v96
	s_delay_alu instid0(VALU_DEP_1) | instskip(SKIP_1) | instid1(VALU_DEP_2)
	v_cndmask_b32_e64 v59, 0, v59, s0
	v_cmp_lt_i32_e64 s0, v165, v87
	v_perm_b32 v3, v59, v3, 0x5040100
	s_delay_alu instid0(VALU_DEP_2) | instskip(SKIP_1) | instid1(VALU_DEP_1)
	v_cndmask_b32_e64 v60, 0, v60, s0
	v_cmp_lt_i32_e64 s0, v164, v86
	v_cndmask_b32_e64 v2, 0, v2, s0
	v_cmp_lt_i32_e64 s0, v163, v85
	s_delay_alu instid0(VALU_DEP_2) | instskip(NEXT) | instid1(VALU_DEP_2)
	v_perm_b32 v2, v60, v2, 0x5040100
	v_cndmask_b32_e64 v61, 0, v61, s0
	v_cmp_lt_i32_e64 s0, v162, v84
	s_delay_alu instid0(VALU_DEP_1) | instskip(SKIP_1) | instid1(VALU_DEP_2)
	v_cndmask_b32_e64 v1, 0, v1, s0
	v_cmp_lt_i32_e64 s0, v161, v83
	v_perm_b32 v1, v61, v1, 0x5040100
	s_delay_alu instid0(VALU_DEP_2) | instskip(SKIP_1) | instid1(VALU_DEP_1)
	v_cndmask_b32_e64 v62, 0, v62, s0
	v_cmp_lt_i32_e64 s0, v160, v110
	v_cndmask_b32_e64 v0, 0, v0, s0
	s_delay_alu instid0(VALU_DEP_1)
	v_perm_b32 v0, v62, v0, 0x5040100
.LBB119_61:                             ;   in Loop: Header=BB119_38 Depth=1
	s_or_b32 exec_lo, exec_lo, s9
	s_waitcnt vmcnt(0) lgkmcnt(0)
	;;#ASMSTART
	v_pk_mul_f16 v0, v151, v0;

	;;#ASMEND
	;;#ASMSTART
	v_pk_mul_f16 v1, v150, v1;

	;;#ASMEND
	;; [unrolled: 4-line block ×4, first 2 shown]
	;;#ASMSTART
	v_pk_add_f16 v0, v0, v1;

	;;#ASMEND
	;;#ASMSTART
	v_pk_add_f16 v0, v0, v2;

	;;#ASMEND
	;; [unrolled: 4-line block ×3, first 2 shown]
	v_lshrrev_b32_e32 v2, 16, v0
	v_and_b32_e32 v3, 0xffff, v0
	v_add_co_u32 v0, s0, v176, v101
	s_delay_alu instid0(VALU_DEP_1)
	v_add_co_ci_u32_e64 v1, s0, 0, v177, s0
	;;#ASMSTART
	v_cvt_f32_f16 v59, v3;
	;;#ASMEND
	;;#ASMSTART
	v_cvt_f32_f16 v60, v2;
	;;#ASMEND
	flat_load_b128 v[0:3], v[0:1]
	s_and_saveexec_b32 s9, vcc_lo
	s_cbranch_execz .LBB119_63
; %bb.62:                               ;   in Loop: Header=BB119_38 Depth=1
	v_cmp_lt_i32_e64 s0, v167, v24
	s_waitcnt vmcnt(0) lgkmcnt(0)
	v_lshrrev_b32_e32 v61, 16, v3
	v_lshrrev_b32_e32 v62, 16, v2
	;; [unrolled: 1-line block ×4, first 2 shown]
	v_cndmask_b32_e64 v3, 0, v3, s0
	v_cmp_lt_i32_e64 s0, v166, v96
	s_delay_alu instid0(VALU_DEP_1) | instskip(SKIP_1) | instid1(VALU_DEP_2)
	v_cndmask_b32_e64 v61, 0, v61, s0
	v_cmp_lt_i32_e64 s0, v165, v87
	v_perm_b32 v3, v61, v3, 0x5040100
	s_delay_alu instid0(VALU_DEP_2) | instskip(SKIP_1) | instid1(VALU_DEP_1)
	v_cndmask_b32_e64 v62, 0, v62, s0
	v_cmp_lt_i32_e64 s0, v164, v86
	v_cndmask_b32_e64 v2, 0, v2, s0
	v_cmp_lt_i32_e64 s0, v163, v85
	s_delay_alu instid0(VALU_DEP_2) | instskip(NEXT) | instid1(VALU_DEP_2)
	v_perm_b32 v2, v62, v2, 0x5040100
	v_cndmask_b32_e64 v63, 0, v63, s0
	v_cmp_lt_i32_e64 s0, v162, v84
	s_delay_alu instid0(VALU_DEP_1) | instskip(SKIP_1) | instid1(VALU_DEP_2)
	v_cndmask_b32_e64 v1, 0, v1, s0
	v_cmp_lt_i32_e64 s0, v161, v83
	v_perm_b32 v1, v63, v1, 0x5040100
	s_delay_alu instid0(VALU_DEP_2) | instskip(SKIP_1) | instid1(VALU_DEP_1)
	v_cndmask_b32_e64 v72, 0, v72, s0
	v_cmp_lt_i32_e64 s0, v160, v110
	v_cndmask_b32_e64 v0, 0, v0, s0
	s_delay_alu instid0(VALU_DEP_1)
	v_perm_b32 v0, v72, v0, 0x5040100
.LBB119_63:                             ;   in Loop: Header=BB119_38 Depth=1
	s_or_b32 exec_lo, exec_lo, s9
	s_waitcnt vmcnt(0) lgkmcnt(0)
	;;#ASMSTART
	v_pk_mul_f16 v0, v151, v0;

	;;#ASMEND
	;;#ASMSTART
	v_pk_mul_f16 v1, v150, v1;

	;;#ASMEND
	;; [unrolled: 4-line block ×4, first 2 shown]
	;;#ASMSTART
	v_pk_add_f16 v0, v0, v1;

	;;#ASMEND
	;;#ASMSTART
	v_pk_add_f16 v0, v0, v2;

	;;#ASMEND
	;; [unrolled: 4-line block ×3, first 2 shown]
	v_lshrrev_b32_e32 v2, 16, v0
	v_and_b32_e32 v3, 0xffff, v0
	v_add_co_u32 v0, s0, v176, v102
	s_delay_alu instid0(VALU_DEP_1)
	v_add_co_ci_u32_e64 v1, s0, 0, v177, s0
	;;#ASMSTART
	v_cvt_f32_f16 v61, v3;
	;;#ASMEND
	;;#ASMSTART
	v_cvt_f32_f16 v62, v2;
	;;#ASMEND
	flat_load_b128 v[0:3], v[0:1]
	s_and_saveexec_b32 s9, vcc_lo
	s_cbranch_execz .LBB119_65
; %bb.64:                               ;   in Loop: Header=BB119_38 Depth=1
	v_cmp_lt_i32_e64 s0, v167, v24
	s_waitcnt vmcnt(0) lgkmcnt(0)
	v_lshrrev_b32_e32 v63, 16, v3
	v_lshrrev_b32_e32 v72, 16, v2
	;; [unrolled: 1-line block ×4, first 2 shown]
	v_cndmask_b32_e64 v3, 0, v3, s0
	v_cmp_lt_i32_e64 s0, v166, v96
	s_delay_alu instid0(VALU_DEP_1) | instskip(SKIP_1) | instid1(VALU_DEP_2)
	v_cndmask_b32_e64 v63, 0, v63, s0
	v_cmp_lt_i32_e64 s0, v165, v87
	v_perm_b32 v3, v63, v3, 0x5040100
	s_delay_alu instid0(VALU_DEP_2) | instskip(SKIP_1) | instid1(VALU_DEP_1)
	v_cndmask_b32_e64 v72, 0, v72, s0
	v_cmp_lt_i32_e64 s0, v164, v86
	v_cndmask_b32_e64 v2, 0, v2, s0
	v_cmp_lt_i32_e64 s0, v163, v85
	s_delay_alu instid0(VALU_DEP_2) | instskip(NEXT) | instid1(VALU_DEP_2)
	v_perm_b32 v2, v72, v2, 0x5040100
	v_cndmask_b32_e64 v73, 0, v73, s0
	v_cmp_lt_i32_e64 s0, v162, v84
	s_delay_alu instid0(VALU_DEP_1) | instskip(SKIP_1) | instid1(VALU_DEP_2)
	v_cndmask_b32_e64 v1, 0, v1, s0
	v_cmp_lt_i32_e64 s0, v161, v83
	v_perm_b32 v1, v73, v1, 0x5040100
	s_delay_alu instid0(VALU_DEP_2) | instskip(SKIP_1) | instid1(VALU_DEP_1)
	v_cndmask_b32_e64 v74, 0, v74, s0
	v_cmp_lt_i32_e64 s0, v160, v110
	v_cndmask_b32_e64 v0, 0, v0, s0
	s_delay_alu instid0(VALU_DEP_1)
	v_perm_b32 v0, v74, v0, 0x5040100
.LBB119_65:                             ;   in Loop: Header=BB119_38 Depth=1
	s_or_b32 exec_lo, exec_lo, s9
	s_waitcnt vmcnt(0) lgkmcnt(0)
	;;#ASMSTART
	v_pk_mul_f16 v0, v151, v0;

	;;#ASMEND
	;;#ASMSTART
	v_pk_mul_f16 v1, v150, v1;

	;;#ASMEND
	;; [unrolled: 4-line block ×4, first 2 shown]
	;;#ASMSTART
	v_pk_add_f16 v0, v0, v1;

	;;#ASMEND
	;;#ASMSTART
	v_pk_add_f16 v0, v0, v2;

	;;#ASMEND
	;; [unrolled: 4-line block ×3, first 2 shown]
	v_lshrrev_b32_e32 v2, 16, v0
	v_and_b32_e32 v3, 0xffff, v0
	v_add_co_u32 v0, s0, v176, v103
	s_delay_alu instid0(VALU_DEP_1)
	v_add_co_ci_u32_e64 v1, s0, 0, v177, s0
	;;#ASMSTART
	v_cvt_f32_f16 v63, v3;
	;;#ASMEND
	;;#ASMSTART
	v_cvt_f32_f16 v72, v2;
	;;#ASMEND
	flat_load_b128 v[0:3], v[0:1]
	s_and_saveexec_b32 s9, vcc_lo
	s_cbranch_execz .LBB119_67
; %bb.66:                               ;   in Loop: Header=BB119_38 Depth=1
	v_cmp_lt_i32_e64 s0, v167, v24
	s_waitcnt vmcnt(0) lgkmcnt(0)
	v_lshrrev_b32_e32 v73, 16, v3
	v_lshrrev_b32_e32 v74, 16, v2
	;; [unrolled: 1-line block ×4, first 2 shown]
	v_cndmask_b32_e64 v3, 0, v3, s0
	v_cmp_lt_i32_e64 s0, v166, v96
	s_delay_alu instid0(VALU_DEP_1) | instskip(SKIP_1) | instid1(VALU_DEP_2)
	v_cndmask_b32_e64 v73, 0, v73, s0
	v_cmp_lt_i32_e64 s0, v165, v87
	v_perm_b32 v3, v73, v3, 0x5040100
	s_delay_alu instid0(VALU_DEP_2) | instskip(SKIP_1) | instid1(VALU_DEP_1)
	v_cndmask_b32_e64 v74, 0, v74, s0
	v_cmp_lt_i32_e64 s0, v164, v86
	v_cndmask_b32_e64 v2, 0, v2, s0
	v_cmp_lt_i32_e64 s0, v163, v85
	s_delay_alu instid0(VALU_DEP_2) | instskip(NEXT) | instid1(VALU_DEP_2)
	v_perm_b32 v2, v74, v2, 0x5040100
	v_cndmask_b32_e64 v75, 0, v75, s0
	v_cmp_lt_i32_e64 s0, v162, v84
	s_delay_alu instid0(VALU_DEP_1) | instskip(SKIP_1) | instid1(VALU_DEP_2)
	v_cndmask_b32_e64 v1, 0, v1, s0
	v_cmp_lt_i32_e64 s0, v161, v83
	v_perm_b32 v1, v75, v1, 0x5040100
	s_delay_alu instid0(VALU_DEP_2) | instskip(SKIP_1) | instid1(VALU_DEP_1)
	v_cndmask_b32_e64 v76, 0, v76, s0
	v_cmp_lt_i32_e64 s0, v160, v110
	v_cndmask_b32_e64 v0, 0, v0, s0
	s_delay_alu instid0(VALU_DEP_1)
	v_perm_b32 v0, v76, v0, 0x5040100
.LBB119_67:                             ;   in Loop: Header=BB119_38 Depth=1
	s_or_b32 exec_lo, exec_lo, s9
	s_waitcnt vmcnt(0) lgkmcnt(0)
	;;#ASMSTART
	v_pk_mul_f16 v0, v151, v0;

	;;#ASMEND
	;;#ASMSTART
	v_pk_mul_f16 v1, v150, v1;

	;;#ASMEND
	;; [unrolled: 4-line block ×4, first 2 shown]
	;;#ASMSTART
	v_pk_add_f16 v0, v0, v1;

	;;#ASMEND
	;;#ASMSTART
	v_pk_add_f16 v0, v0, v2;

	;;#ASMEND
	;; [unrolled: 4-line block ×3, first 2 shown]
	v_lshrrev_b32_e32 v2, 16, v0
	v_and_b32_e32 v3, 0xffff, v0
	v_add_co_u32 v0, s0, v176, v112
	s_delay_alu instid0(VALU_DEP_1)
	v_add_co_ci_u32_e64 v1, s0, 0, v177, s0
	;;#ASMSTART
	v_cvt_f32_f16 v73, v3;
	;;#ASMEND
	;;#ASMSTART
	v_cvt_f32_f16 v74, v2;
	;;#ASMEND
	flat_load_b128 v[0:3], v[0:1]
	s_and_saveexec_b32 s9, vcc_lo
	s_cbranch_execz .LBB119_69
; %bb.68:                               ;   in Loop: Header=BB119_38 Depth=1
	v_cmp_lt_i32_e64 s0, v167, v24
	s_waitcnt vmcnt(0) lgkmcnt(0)
	v_lshrrev_b32_e32 v75, 16, v3
	v_lshrrev_b32_e32 v76, 16, v2
	;; [unrolled: 1-line block ×4, first 2 shown]
	v_cndmask_b32_e64 v3, 0, v3, s0
	v_cmp_lt_i32_e64 s0, v166, v96
	s_delay_alu instid0(VALU_DEP_1) | instskip(SKIP_1) | instid1(VALU_DEP_2)
	v_cndmask_b32_e64 v75, 0, v75, s0
	v_cmp_lt_i32_e64 s0, v165, v87
	v_perm_b32 v3, v75, v3, 0x5040100
	s_delay_alu instid0(VALU_DEP_2) | instskip(SKIP_1) | instid1(VALU_DEP_1)
	v_cndmask_b32_e64 v76, 0, v76, s0
	v_cmp_lt_i32_e64 s0, v164, v86
	v_cndmask_b32_e64 v2, 0, v2, s0
	v_cmp_lt_i32_e64 s0, v163, v85
	s_delay_alu instid0(VALU_DEP_2) | instskip(NEXT) | instid1(VALU_DEP_2)
	v_perm_b32 v2, v76, v2, 0x5040100
	v_cndmask_b32_e64 v77, 0, v77, s0
	v_cmp_lt_i32_e64 s0, v162, v84
	s_delay_alu instid0(VALU_DEP_1) | instskip(SKIP_1) | instid1(VALU_DEP_2)
	v_cndmask_b32_e64 v1, 0, v1, s0
	v_cmp_lt_i32_e64 s0, v161, v83
	v_perm_b32 v1, v77, v1, 0x5040100
	s_delay_alu instid0(VALU_DEP_2) | instskip(SKIP_1) | instid1(VALU_DEP_1)
	v_cndmask_b32_e64 v78, 0, v78, s0
	v_cmp_lt_i32_e64 s0, v160, v110
	v_cndmask_b32_e64 v0, 0, v0, s0
	s_delay_alu instid0(VALU_DEP_1)
	v_perm_b32 v0, v78, v0, 0x5040100
.LBB119_69:                             ;   in Loop: Header=BB119_38 Depth=1
	s_or_b32 exec_lo, exec_lo, s9
	s_waitcnt vmcnt(0) lgkmcnt(0)
	;;#ASMSTART
	v_pk_mul_f16 v0, v151, v0;

	;;#ASMEND
	;;#ASMSTART
	v_pk_mul_f16 v1, v150, v1;

	;;#ASMEND
	;; [unrolled: 4-line block ×4, first 2 shown]
	;;#ASMSTART
	v_pk_add_f16 v0, v0, v1;

	;;#ASMEND
	;;#ASMSTART
	v_pk_add_f16 v0, v0, v2;

	;;#ASMEND
	;; [unrolled: 4-line block ×3, first 2 shown]
	v_lshrrev_b32_e32 v2, 16, v0
	v_and_b32_e32 v3, 0xffff, v0
	v_add_co_u32 v0, s0, v176, v113
	s_delay_alu instid0(VALU_DEP_1)
	v_add_co_ci_u32_e64 v1, s0, 0, v177, s0
	;;#ASMSTART
	v_cvt_f32_f16 v75, v3;
	;;#ASMEND
	;;#ASMSTART
	v_cvt_f32_f16 v76, v2;
	;;#ASMEND
	flat_load_b128 v[0:3], v[0:1]
	s_and_saveexec_b32 s9, vcc_lo
	s_cbranch_execz .LBB119_71
; %bb.70:                               ;   in Loop: Header=BB119_38 Depth=1
	v_cmp_lt_i32_e64 s0, v167, v24
	s_waitcnt vmcnt(0) lgkmcnt(0)
	v_lshrrev_b32_e32 v77, 16, v3
	v_lshrrev_b32_e32 v78, 16, v2
	v_lshrrev_b32_e32 v79, 16, v1
	v_lshrrev_b32_e32 v88, 16, v0
	v_cndmask_b32_e64 v3, 0, v3, s0
	v_cmp_lt_i32_e64 s0, v166, v96
	s_delay_alu instid0(VALU_DEP_1) | instskip(SKIP_1) | instid1(VALU_DEP_2)
	v_cndmask_b32_e64 v77, 0, v77, s0
	v_cmp_lt_i32_e64 s0, v165, v87
	v_perm_b32 v3, v77, v3, 0x5040100
	s_delay_alu instid0(VALU_DEP_2) | instskip(SKIP_1) | instid1(VALU_DEP_1)
	v_cndmask_b32_e64 v78, 0, v78, s0
	v_cmp_lt_i32_e64 s0, v164, v86
	v_cndmask_b32_e64 v2, 0, v2, s0
	v_cmp_lt_i32_e64 s0, v163, v85
	s_delay_alu instid0(VALU_DEP_2) | instskip(NEXT) | instid1(VALU_DEP_2)
	v_perm_b32 v2, v78, v2, 0x5040100
	v_cndmask_b32_e64 v79, 0, v79, s0
	v_cmp_lt_i32_e64 s0, v162, v84
	s_delay_alu instid0(VALU_DEP_1) | instskip(SKIP_1) | instid1(VALU_DEP_2)
	v_cndmask_b32_e64 v1, 0, v1, s0
	v_cmp_lt_i32_e64 s0, v161, v83
	v_perm_b32 v1, v79, v1, 0x5040100
	s_delay_alu instid0(VALU_DEP_2) | instskip(SKIP_1) | instid1(VALU_DEP_1)
	v_cndmask_b32_e64 v88, 0, v88, s0
	v_cmp_lt_i32_e64 s0, v160, v110
	v_cndmask_b32_e64 v0, 0, v0, s0
	s_delay_alu instid0(VALU_DEP_1)
	v_perm_b32 v0, v88, v0, 0x5040100
.LBB119_71:                             ;   in Loop: Header=BB119_38 Depth=1
	s_or_b32 exec_lo, exec_lo, s9
	s_waitcnt vmcnt(0) lgkmcnt(0)
	;;#ASMSTART
	v_pk_mul_f16 v0, v151, v0;

	;;#ASMEND
	;;#ASMSTART
	v_pk_mul_f16 v1, v150, v1;

	;;#ASMEND
	;; [unrolled: 4-line block ×4, first 2 shown]
	;;#ASMSTART
	v_pk_add_f16 v0, v0, v1;

	;;#ASMEND
	;;#ASMSTART
	v_pk_add_f16 v0, v0, v2;

	;;#ASMEND
	;; [unrolled: 4-line block ×3, first 2 shown]
	v_lshrrev_b32_e32 v2, 16, v0
	v_and_b32_e32 v3, 0xffff, v0
	v_add_co_u32 v0, s0, v176, v114
	s_delay_alu instid0(VALU_DEP_1)
	v_add_co_ci_u32_e64 v1, s0, 0, v177, s0
	;;#ASMSTART
	v_cvt_f32_f16 v77, v3;
	;;#ASMEND
	;;#ASMSTART
	v_cvt_f32_f16 v78, v2;
	;;#ASMEND
	flat_load_b128 v[0:3], v[0:1]
	s_and_saveexec_b32 s9, vcc_lo
	s_cbranch_execz .LBB119_73
; %bb.72:                               ;   in Loop: Header=BB119_38 Depth=1
	v_cmp_lt_i32_e64 s0, v167, v24
	s_waitcnt vmcnt(0) lgkmcnt(0)
	v_lshrrev_b32_e32 v79, 16, v3
	v_lshrrev_b32_e32 v88, 16, v2
	;; [unrolled: 1-line block ×4, first 2 shown]
	v_cndmask_b32_e64 v3, 0, v3, s0
	v_cmp_lt_i32_e64 s0, v166, v96
	s_delay_alu instid0(VALU_DEP_1) | instskip(SKIP_1) | instid1(VALU_DEP_2)
	v_cndmask_b32_e64 v79, 0, v79, s0
	v_cmp_lt_i32_e64 s0, v165, v87
	v_perm_b32 v3, v79, v3, 0x5040100
	s_delay_alu instid0(VALU_DEP_2) | instskip(SKIP_1) | instid1(VALU_DEP_1)
	v_cndmask_b32_e64 v88, 0, v88, s0
	v_cmp_lt_i32_e64 s0, v164, v86
	v_cndmask_b32_e64 v2, 0, v2, s0
	v_cmp_lt_i32_e64 s0, v163, v85
	s_delay_alu instid0(VALU_DEP_2) | instskip(NEXT) | instid1(VALU_DEP_2)
	v_perm_b32 v2, v88, v2, 0x5040100
	v_cndmask_b32_e64 v89, 0, v89, s0
	v_cmp_lt_i32_e64 s0, v162, v84
	s_delay_alu instid0(VALU_DEP_1) | instskip(SKIP_1) | instid1(VALU_DEP_2)
	v_cndmask_b32_e64 v1, 0, v1, s0
	v_cmp_lt_i32_e64 s0, v161, v83
	v_perm_b32 v1, v89, v1, 0x5040100
	s_delay_alu instid0(VALU_DEP_2) | instskip(SKIP_1) | instid1(VALU_DEP_1)
	v_cndmask_b32_e64 v90, 0, v90, s0
	v_cmp_lt_i32_e64 s0, v160, v110
	v_cndmask_b32_e64 v0, 0, v0, s0
	s_delay_alu instid0(VALU_DEP_1)
	v_perm_b32 v0, v90, v0, 0x5040100
.LBB119_73:                             ;   in Loop: Header=BB119_38 Depth=1
	s_or_b32 exec_lo, exec_lo, s9
	s_waitcnt vmcnt(0) lgkmcnt(0)
	;;#ASMSTART
	v_pk_mul_f16 v0, v151, v0;

	;;#ASMEND
	;;#ASMSTART
	v_pk_mul_f16 v1, v150, v1;

	;;#ASMEND
	;; [unrolled: 4-line block ×4, first 2 shown]
	;;#ASMSTART
	v_pk_add_f16 v0, v0, v1;

	;;#ASMEND
	;;#ASMSTART
	v_pk_add_f16 v0, v0, v2;

	;;#ASMEND
	;; [unrolled: 4-line block ×3, first 2 shown]
	v_lshrrev_b32_e32 v2, 16, v0
	v_and_b32_e32 v3, 0xffff, v0
	v_add_co_u32 v0, s0, v176, v115
	s_delay_alu instid0(VALU_DEP_1)
	v_add_co_ci_u32_e64 v1, s0, 0, v177, s0
	;;#ASMSTART
	v_cvt_f32_f16 v79, v3;
	;;#ASMEND
	;;#ASMSTART
	v_cvt_f32_f16 v88, v2;
	;;#ASMEND
	flat_load_b128 v[0:3], v[0:1]
	s_and_saveexec_b32 s9, vcc_lo
	s_cbranch_execz .LBB119_75
; %bb.74:                               ;   in Loop: Header=BB119_38 Depth=1
	v_cmp_lt_i32_e64 s0, v167, v24
	s_waitcnt vmcnt(0) lgkmcnt(0)
	v_lshrrev_b32_e32 v89, 16, v3
	v_lshrrev_b32_e32 v90, 16, v2
	;; [unrolled: 1-line block ×4, first 2 shown]
	v_cndmask_b32_e64 v3, 0, v3, s0
	v_cmp_lt_i32_e64 s0, v166, v96
	s_delay_alu instid0(VALU_DEP_1) | instskip(SKIP_1) | instid1(VALU_DEP_2)
	v_cndmask_b32_e64 v89, 0, v89, s0
	v_cmp_lt_i32_e64 s0, v165, v87
	v_perm_b32 v3, v89, v3, 0x5040100
	s_delay_alu instid0(VALU_DEP_2) | instskip(SKIP_1) | instid1(VALU_DEP_1)
	v_cndmask_b32_e64 v90, 0, v90, s0
	v_cmp_lt_i32_e64 s0, v164, v86
	v_cndmask_b32_e64 v2, 0, v2, s0
	v_cmp_lt_i32_e64 s0, v163, v85
	s_delay_alu instid0(VALU_DEP_2) | instskip(NEXT) | instid1(VALU_DEP_2)
	v_perm_b32 v2, v90, v2, 0x5040100
	v_cndmask_b32_e64 v91, 0, v91, s0
	v_cmp_lt_i32_e64 s0, v162, v84
	s_delay_alu instid0(VALU_DEP_1) | instskip(SKIP_1) | instid1(VALU_DEP_2)
	v_cndmask_b32_e64 v1, 0, v1, s0
	v_cmp_lt_i32_e64 s0, v161, v83
	v_perm_b32 v1, v91, v1, 0x5040100
	s_delay_alu instid0(VALU_DEP_2) | instskip(SKIP_1) | instid1(VALU_DEP_1)
	v_cndmask_b32_e64 v92, 0, v92, s0
	v_cmp_lt_i32_e64 s0, v160, v110
	v_cndmask_b32_e64 v0, 0, v0, s0
	s_delay_alu instid0(VALU_DEP_1)
	v_perm_b32 v0, v92, v0, 0x5040100
.LBB119_75:                             ;   in Loop: Header=BB119_38 Depth=1
	s_or_b32 exec_lo, exec_lo, s9
	s_waitcnt vmcnt(0) lgkmcnt(0)
	;;#ASMSTART
	v_pk_mul_f16 v0, v151, v0;

	;;#ASMEND
	;;#ASMSTART
	v_pk_mul_f16 v1, v150, v1;

	;;#ASMEND
	;; [unrolled: 4-line block ×4, first 2 shown]
	;;#ASMSTART
	v_pk_add_f16 v0, v0, v1;

	;;#ASMEND
	;;#ASMSTART
	v_pk_add_f16 v0, v0, v2;

	;;#ASMEND
	;; [unrolled: 4-line block ×3, first 2 shown]
	v_lshrrev_b32_e32 v2, 16, v0
	v_and_b32_e32 v3, 0xffff, v0
	v_add_co_u32 v0, s0, v176, v116
	s_delay_alu instid0(VALU_DEP_1)
	v_add_co_ci_u32_e64 v1, s0, 0, v177, s0
	;;#ASMSTART
	v_cvt_f32_f16 v89, v3;
	;;#ASMEND
	;;#ASMSTART
	v_cvt_f32_f16 v90, v2;
	;;#ASMEND
	flat_load_b128 v[0:3], v[0:1]
	s_and_saveexec_b32 s9, vcc_lo
	s_cbranch_execz .LBB119_77
; %bb.76:                               ;   in Loop: Header=BB119_38 Depth=1
	v_cmp_lt_i32_e64 s0, v167, v24
	s_waitcnt vmcnt(0) lgkmcnt(0)
	v_lshrrev_b32_e32 v91, 16, v3
	v_lshrrev_b32_e32 v92, 16, v2
	;; [unrolled: 1-line block ×4, first 2 shown]
	v_cndmask_b32_e64 v3, 0, v3, s0
	v_cmp_lt_i32_e64 s0, v166, v96
	s_delay_alu instid0(VALU_DEP_1) | instskip(SKIP_1) | instid1(VALU_DEP_2)
	v_cndmask_b32_e64 v91, 0, v91, s0
	v_cmp_lt_i32_e64 s0, v165, v87
	v_perm_b32 v3, v91, v3, 0x5040100
	s_delay_alu instid0(VALU_DEP_2) | instskip(SKIP_1) | instid1(VALU_DEP_1)
	v_cndmask_b32_e64 v92, 0, v92, s0
	v_cmp_lt_i32_e64 s0, v164, v86
	v_cndmask_b32_e64 v2, 0, v2, s0
	v_cmp_lt_i32_e64 s0, v163, v85
	s_delay_alu instid0(VALU_DEP_2) | instskip(NEXT) | instid1(VALU_DEP_2)
	v_perm_b32 v2, v92, v2, 0x5040100
	v_cndmask_b32_e64 v93, 0, v93, s0
	v_cmp_lt_i32_e64 s0, v162, v84
	s_delay_alu instid0(VALU_DEP_1) | instskip(SKIP_1) | instid1(VALU_DEP_2)
	v_cndmask_b32_e64 v1, 0, v1, s0
	v_cmp_lt_i32_e64 s0, v161, v83
	v_perm_b32 v1, v93, v1, 0x5040100
	s_delay_alu instid0(VALU_DEP_2) | instskip(SKIP_1) | instid1(VALU_DEP_1)
	v_cndmask_b32_e64 v94, 0, v94, s0
	v_cmp_lt_i32_e64 s0, v160, v110
	v_cndmask_b32_e64 v0, 0, v0, s0
	s_delay_alu instid0(VALU_DEP_1)
	v_perm_b32 v0, v94, v0, 0x5040100
.LBB119_77:                             ;   in Loop: Header=BB119_38 Depth=1
	s_or_b32 exec_lo, exec_lo, s9
	s_waitcnt vmcnt(0) lgkmcnt(0)
	;;#ASMSTART
	v_pk_mul_f16 v0, v151, v0;

	;;#ASMEND
	;;#ASMSTART
	v_pk_mul_f16 v1, v150, v1;

	;;#ASMEND
	;; [unrolled: 4-line block ×4, first 2 shown]
	;;#ASMSTART
	v_pk_add_f16 v0, v0, v1;

	;;#ASMEND
	;;#ASMSTART
	v_pk_add_f16 v0, v0, v2;

	;;#ASMEND
	;; [unrolled: 4-line block ×3, first 2 shown]
	v_lshrrev_b32_e32 v2, 16, v0
	v_and_b32_e32 v3, 0xffff, v0
	v_add_co_u32 v0, s0, v176, v117
	s_delay_alu instid0(VALU_DEP_1)
	v_add_co_ci_u32_e64 v1, s0, 0, v177, s0
	;;#ASMSTART
	v_cvt_f32_f16 v91, v3;
	;;#ASMEND
	;;#ASMSTART
	v_cvt_f32_f16 v92, v2;
	;;#ASMEND
	flat_load_b128 v[0:3], v[0:1]
	s_and_saveexec_b32 s9, vcc_lo
	s_cbranch_execz .LBB119_79
; %bb.78:                               ;   in Loop: Header=BB119_38 Depth=1
	v_cmp_lt_i32_e64 s0, v167, v24
	s_waitcnt vmcnt(0) lgkmcnt(0)
	v_lshrrev_b32_e32 v93, 16, v3
	v_lshrrev_b32_e32 v94, 16, v2
	;; [unrolled: 1-line block ×4, first 2 shown]
	v_cndmask_b32_e64 v3, 0, v3, s0
	v_cmp_lt_i32_e64 s0, v166, v96
	s_delay_alu instid0(VALU_DEP_1) | instskip(SKIP_1) | instid1(VALU_DEP_2)
	v_cndmask_b32_e64 v93, 0, v93, s0
	v_cmp_lt_i32_e64 s0, v165, v87
	v_perm_b32 v3, v93, v3, 0x5040100
	s_delay_alu instid0(VALU_DEP_2) | instskip(SKIP_1) | instid1(VALU_DEP_1)
	v_cndmask_b32_e64 v94, 0, v94, s0
	v_cmp_lt_i32_e64 s0, v164, v86
	v_cndmask_b32_e64 v2, 0, v2, s0
	v_cmp_lt_i32_e64 s0, v163, v85
	s_delay_alu instid0(VALU_DEP_2) | instskip(NEXT) | instid1(VALU_DEP_2)
	v_perm_b32 v2, v94, v2, 0x5040100
	v_cndmask_b32_e64 v95, 0, v95, s0
	v_cmp_lt_i32_e64 s0, v162, v84
	s_delay_alu instid0(VALU_DEP_1) | instskip(SKIP_1) | instid1(VALU_DEP_2)
	v_cndmask_b32_e64 v1, 0, v1, s0
	v_cmp_lt_i32_e64 s0, v161, v83
	v_perm_b32 v1, v95, v1, 0x5040100
	s_delay_alu instid0(VALU_DEP_2) | instskip(SKIP_1) | instid1(VALU_DEP_1)
	v_cndmask_b32_e64 v104, 0, v104, s0
	v_cmp_lt_i32_e64 s0, v160, v110
	v_cndmask_b32_e64 v0, 0, v0, s0
	s_delay_alu instid0(VALU_DEP_1)
	v_perm_b32 v0, v104, v0, 0x5040100
.LBB119_79:                             ;   in Loop: Header=BB119_38 Depth=1
	s_or_b32 exec_lo, exec_lo, s9
	s_waitcnt vmcnt(0) lgkmcnt(0)
	;;#ASMSTART
	v_pk_mul_f16 v0, v151, v0;

	;;#ASMEND
	;;#ASMSTART
	v_pk_mul_f16 v1, v150, v1;

	;;#ASMEND
	;; [unrolled: 4-line block ×4, first 2 shown]
	;;#ASMSTART
	v_pk_add_f16 v0, v0, v1;

	;;#ASMEND
	;;#ASMSTART
	v_pk_add_f16 v0, v0, v2;

	;;#ASMEND
	;;#ASMSTART
	v_pk_add_f16 v0, v0, v3;

	;;#ASMEND
	v_lshrrev_b32_e32 v2, 16, v0
	v_and_b32_e32 v3, 0xffff, v0
	v_add_co_u32 v0, s0, v176, v118
	s_delay_alu instid0(VALU_DEP_1)
	v_add_co_ci_u32_e64 v1, s0, 0, v177, s0
	;;#ASMSTART
	v_cvt_f32_f16 v93, v3;
	;;#ASMEND
	;;#ASMSTART
	v_cvt_f32_f16 v94, v2;
	;;#ASMEND
	flat_load_b128 v[0:3], v[0:1]
	s_and_saveexec_b32 s9, vcc_lo
	s_cbranch_execz .LBB119_81
; %bb.80:                               ;   in Loop: Header=BB119_38 Depth=1
	v_cmp_lt_i32_e64 s0, v167, v24
	s_waitcnt vmcnt(0) lgkmcnt(0)
	v_lshrrev_b32_e32 v95, 16, v3
	v_lshrrev_b32_e32 v104, 16, v2
	;; [unrolled: 1-line block ×4, first 2 shown]
	v_cndmask_b32_e64 v3, 0, v3, s0
	v_cmp_lt_i32_e64 s0, v166, v96
	s_delay_alu instid0(VALU_DEP_1) | instskip(SKIP_1) | instid1(VALU_DEP_2)
	v_cndmask_b32_e64 v95, 0, v95, s0
	v_cmp_lt_i32_e64 s0, v165, v87
	v_perm_b32 v3, v95, v3, 0x5040100
	s_delay_alu instid0(VALU_DEP_2) | instskip(SKIP_1) | instid1(VALU_DEP_1)
	v_cndmask_b32_e64 v104, 0, v104, s0
	v_cmp_lt_i32_e64 s0, v164, v86
	v_cndmask_b32_e64 v2, 0, v2, s0
	v_cmp_lt_i32_e64 s0, v163, v85
	s_delay_alu instid0(VALU_DEP_2) | instskip(NEXT) | instid1(VALU_DEP_2)
	v_perm_b32 v2, v104, v2, 0x5040100
	v_cndmask_b32_e64 v105, 0, v105, s0
	v_cmp_lt_i32_e64 s0, v162, v84
	s_delay_alu instid0(VALU_DEP_1) | instskip(SKIP_1) | instid1(VALU_DEP_2)
	v_cndmask_b32_e64 v1, 0, v1, s0
	v_cmp_lt_i32_e64 s0, v161, v83
	v_perm_b32 v1, v105, v1, 0x5040100
	s_delay_alu instid0(VALU_DEP_2) | instskip(SKIP_1) | instid1(VALU_DEP_1)
	v_cndmask_b32_e64 v106, 0, v106, s0
	v_cmp_lt_i32_e64 s0, v160, v110
	v_cndmask_b32_e64 v0, 0, v0, s0
	s_delay_alu instid0(VALU_DEP_1)
	v_perm_b32 v0, v106, v0, 0x5040100
.LBB119_81:                             ;   in Loop: Header=BB119_38 Depth=1
	s_or_b32 exec_lo, exec_lo, s9
	s_waitcnt vmcnt(0) lgkmcnt(0)
	;;#ASMSTART
	v_pk_mul_f16 v0, v151, v0;

	;;#ASMEND
	;;#ASMSTART
	v_pk_mul_f16 v1, v150, v1;

	;;#ASMEND
	;; [unrolled: 4-line block ×4, first 2 shown]
	;;#ASMSTART
	v_pk_add_f16 v0, v0, v1;

	;;#ASMEND
	;;#ASMSTART
	v_pk_add_f16 v0, v0, v2;

	;;#ASMEND
	;; [unrolled: 4-line block ×3, first 2 shown]
	v_lshrrev_b32_e32 v2, 16, v0
	v_and_b32_e32 v3, 0xffff, v0
	v_add_co_u32 v0, s0, v176, v119
	s_delay_alu instid0(VALU_DEP_1)
	v_add_co_ci_u32_e64 v1, s0, 0, v177, s0
	;;#ASMSTART
	v_cvt_f32_f16 v95, v3;
	;;#ASMEND
	;;#ASMSTART
	v_cvt_f32_f16 v104, v2;
	;;#ASMEND
	flat_load_b128 v[0:3], v[0:1]
	s_and_saveexec_b32 s9, vcc_lo
	s_cbranch_execz .LBB119_83
; %bb.82:                               ;   in Loop: Header=BB119_38 Depth=1
	v_cmp_lt_i32_e64 s0, v167, v24
	s_waitcnt vmcnt(0) lgkmcnt(0)
	v_lshrrev_b32_e32 v105, 16, v3
	v_lshrrev_b32_e32 v106, 16, v2
	;; [unrolled: 1-line block ×4, first 2 shown]
	v_cndmask_b32_e64 v3, 0, v3, s0
	v_cmp_lt_i32_e64 s0, v166, v96
	s_delay_alu instid0(VALU_DEP_1) | instskip(SKIP_1) | instid1(VALU_DEP_2)
	v_cndmask_b32_e64 v105, 0, v105, s0
	v_cmp_lt_i32_e64 s0, v165, v87
	v_perm_b32 v3, v105, v3, 0x5040100
	s_delay_alu instid0(VALU_DEP_2) | instskip(SKIP_1) | instid1(VALU_DEP_1)
	v_cndmask_b32_e64 v106, 0, v106, s0
	v_cmp_lt_i32_e64 s0, v164, v86
	v_cndmask_b32_e64 v2, 0, v2, s0
	v_cmp_lt_i32_e64 s0, v163, v85
	s_delay_alu instid0(VALU_DEP_2) | instskip(NEXT) | instid1(VALU_DEP_2)
	v_perm_b32 v2, v106, v2, 0x5040100
	v_cndmask_b32_e64 v107, 0, v107, s0
	v_cmp_lt_i32_e64 s0, v162, v84
	s_delay_alu instid0(VALU_DEP_1) | instskip(SKIP_1) | instid1(VALU_DEP_2)
	v_cndmask_b32_e64 v1, 0, v1, s0
	v_cmp_lt_i32_e64 s0, v161, v83
	v_perm_b32 v1, v107, v1, 0x5040100
	s_delay_alu instid0(VALU_DEP_2) | instskip(SKIP_1) | instid1(VALU_DEP_1)
	v_cndmask_b32_e64 v108, 0, v108, s0
	v_cmp_lt_i32_e64 s0, v160, v110
	v_cndmask_b32_e64 v0, 0, v0, s0
	s_delay_alu instid0(VALU_DEP_1)
	v_perm_b32 v0, v108, v0, 0x5040100
.LBB119_83:                             ;   in Loop: Header=BB119_38 Depth=1
	s_or_b32 exec_lo, exec_lo, s9
	s_waitcnt vmcnt(0) lgkmcnt(0)
	;;#ASMSTART
	v_pk_mul_f16 v0, v151, v0;

	;;#ASMEND
	;;#ASMSTART
	v_pk_mul_f16 v1, v150, v1;

	;;#ASMEND
	;; [unrolled: 4-line block ×4, first 2 shown]
	;;#ASMSTART
	v_pk_add_f16 v0, v0, v1;

	;;#ASMEND
	;;#ASMSTART
	v_pk_add_f16 v0, v0, v2;

	;;#ASMEND
	;; [unrolled: 4-line block ×3, first 2 shown]
	v_lshrrev_b32_e32 v2, 16, v0
	v_and_b32_e32 v3, 0xffff, v0
	v_add_co_u32 v0, s0, v176, v128
	s_delay_alu instid0(VALU_DEP_1)
	v_add_co_ci_u32_e64 v1, s0, 0, v177, s0
	;;#ASMSTART
	v_cvt_f32_f16 v105, v3;
	;;#ASMEND
	;;#ASMSTART
	v_cvt_f32_f16 v106, v2;
	;;#ASMEND
	flat_load_b128 v[0:3], v[0:1]
	s_and_saveexec_b32 s9, vcc_lo
	s_cbranch_execz .LBB119_85
; %bb.84:                               ;   in Loop: Header=BB119_38 Depth=1
	v_cmp_lt_i32_e64 s0, v167, v24
	s_waitcnt vmcnt(0) lgkmcnt(0)
	v_lshrrev_b32_e32 v107, 16, v3
	v_lshrrev_b32_e32 v108, 16, v2
	;; [unrolled: 1-line block ×4, first 2 shown]
	v_cndmask_b32_e64 v3, 0, v3, s0
	v_cmp_lt_i32_e64 s0, v166, v96
	s_delay_alu instid0(VALU_DEP_1) | instskip(SKIP_1) | instid1(VALU_DEP_2)
	v_cndmask_b32_e64 v107, 0, v107, s0
	v_cmp_lt_i32_e64 s0, v165, v87
	v_perm_b32 v3, v107, v3, 0x5040100
	s_delay_alu instid0(VALU_DEP_2) | instskip(SKIP_1) | instid1(VALU_DEP_1)
	v_cndmask_b32_e64 v108, 0, v108, s0
	v_cmp_lt_i32_e64 s0, v164, v86
	v_cndmask_b32_e64 v2, 0, v2, s0
	v_cmp_lt_i32_e64 s0, v163, v85
	s_delay_alu instid0(VALU_DEP_2) | instskip(NEXT) | instid1(VALU_DEP_2)
	v_perm_b32 v2, v108, v2, 0x5040100
	v_cndmask_b32_e64 v109, 0, v109, s0
	v_cmp_lt_i32_e64 s0, v162, v84
	s_delay_alu instid0(VALU_DEP_1) | instskip(SKIP_1) | instid1(VALU_DEP_2)
	v_cndmask_b32_e64 v1, 0, v1, s0
	v_cmp_lt_i32_e64 s0, v161, v83
	v_perm_b32 v1, v109, v1, 0x5040100
	s_delay_alu instid0(VALU_DEP_2) | instskip(SKIP_1) | instid1(VALU_DEP_1)
	v_cndmask_b32_e64 v124, 0, v124, s0
	v_cmp_lt_i32_e64 s0, v160, v110
	v_cndmask_b32_e64 v0, 0, v0, s0
	s_delay_alu instid0(VALU_DEP_1)
	v_perm_b32 v0, v124, v0, 0x5040100
.LBB119_85:                             ;   in Loop: Header=BB119_38 Depth=1
	s_or_b32 exec_lo, exec_lo, s9
	s_waitcnt vmcnt(0) lgkmcnt(0)
	;;#ASMSTART
	v_pk_mul_f16 v0, v151, v0;

	;;#ASMEND
	;;#ASMSTART
	v_pk_mul_f16 v1, v150, v1;

	;;#ASMEND
	;; [unrolled: 4-line block ×4, first 2 shown]
	;;#ASMSTART
	v_pk_add_f16 v0, v0, v1;

	;;#ASMEND
	;;#ASMSTART
	v_pk_add_f16 v0, v0, v2;

	;;#ASMEND
	;; [unrolled: 4-line block ×3, first 2 shown]
	v_lshrrev_b32_e32 v2, 16, v0
	v_and_b32_e32 v3, 0xffff, v0
	v_add_co_u32 v0, s0, v176, v129
	s_delay_alu instid0(VALU_DEP_1)
	v_add_co_ci_u32_e64 v1, s0, 0, v177, s0
	;;#ASMSTART
	v_cvt_f32_f16 v107, v3;
	;;#ASMEND
	;;#ASMSTART
	v_cvt_f32_f16 v108, v2;
	;;#ASMEND
	flat_load_b128 v[0:3], v[0:1]
	s_and_saveexec_b32 s9, vcc_lo
	s_cbranch_execz .LBB119_87
; %bb.86:                               ;   in Loop: Header=BB119_38 Depth=1
	v_cmp_lt_i32_e64 s0, v167, v24
	s_waitcnt vmcnt(0) lgkmcnt(0)
	v_lshrrev_b32_e32 v109, 16, v3
	v_lshrrev_b32_e32 v124, 16, v2
	;; [unrolled: 1-line block ×4, first 2 shown]
	v_cndmask_b32_e64 v3, 0, v3, s0
	v_cmp_lt_i32_e64 s0, v166, v96
	s_delay_alu instid0(VALU_DEP_1) | instskip(SKIP_1) | instid1(VALU_DEP_2)
	v_cndmask_b32_e64 v109, 0, v109, s0
	v_cmp_lt_i32_e64 s0, v165, v87
	v_perm_b32 v3, v109, v3, 0x5040100
	s_delay_alu instid0(VALU_DEP_2) | instskip(SKIP_1) | instid1(VALU_DEP_1)
	v_cndmask_b32_e64 v124, 0, v124, s0
	v_cmp_lt_i32_e64 s0, v164, v86
	v_cndmask_b32_e64 v2, 0, v2, s0
	v_cmp_lt_i32_e64 s0, v163, v85
	s_delay_alu instid0(VALU_DEP_2) | instskip(NEXT) | instid1(VALU_DEP_2)
	v_perm_b32 v2, v124, v2, 0x5040100
	v_cndmask_b32_e64 v125, 0, v125, s0
	v_cmp_lt_i32_e64 s0, v162, v84
	s_delay_alu instid0(VALU_DEP_1) | instskip(SKIP_1) | instid1(VALU_DEP_2)
	v_cndmask_b32_e64 v1, 0, v1, s0
	v_cmp_lt_i32_e64 s0, v161, v83
	v_perm_b32 v1, v125, v1, 0x5040100
	s_delay_alu instid0(VALU_DEP_2) | instskip(SKIP_1) | instid1(VALU_DEP_1)
	v_cndmask_b32_e64 v126, 0, v126, s0
	v_cmp_lt_i32_e64 s0, v160, v110
	v_cndmask_b32_e64 v0, 0, v0, s0
	s_delay_alu instid0(VALU_DEP_1)
	v_perm_b32 v0, v126, v0, 0x5040100
.LBB119_87:                             ;   in Loop: Header=BB119_38 Depth=1
	s_or_b32 exec_lo, exec_lo, s9
	s_waitcnt vmcnt(0) lgkmcnt(0)
	;;#ASMSTART
	v_pk_mul_f16 v0, v151, v0;

	;;#ASMEND
	;;#ASMSTART
	v_pk_mul_f16 v1, v150, v1;

	;;#ASMEND
	;; [unrolled: 4-line block ×4, first 2 shown]
	;;#ASMSTART
	v_pk_add_f16 v0, v0, v1;

	;;#ASMEND
	;;#ASMSTART
	v_pk_add_f16 v0, v0, v2;

	;;#ASMEND
	;; [unrolled: 4-line block ×3, first 2 shown]
	v_lshrrev_b32_e32 v2, 16, v0
	v_and_b32_e32 v3, 0xffff, v0
	v_add_co_u32 v0, s0, v176, v130
	s_delay_alu instid0(VALU_DEP_1)
	v_add_co_ci_u32_e64 v1, s0, 0, v177, s0
	;;#ASMSTART
	v_cvt_f32_f16 v109, v3;
	;;#ASMEND
	;;#ASMSTART
	v_cvt_f32_f16 v124, v2;
	;;#ASMEND
	flat_load_b128 v[0:3], v[0:1]
	s_and_saveexec_b32 s9, vcc_lo
	s_cbranch_execz .LBB119_89
; %bb.88:                               ;   in Loop: Header=BB119_38 Depth=1
	v_cmp_lt_i32_e64 s0, v167, v24
	s_waitcnt vmcnt(0) lgkmcnt(0)
	v_lshrrev_b32_e32 v125, 16, v3
	v_lshrrev_b32_e32 v126, 16, v2
	;; [unrolled: 1-line block ×4, first 2 shown]
	v_cndmask_b32_e64 v3, 0, v3, s0
	v_cmp_lt_i32_e64 s0, v166, v96
	s_delay_alu instid0(VALU_DEP_1) | instskip(SKIP_1) | instid1(VALU_DEP_2)
	v_cndmask_b32_e64 v125, 0, v125, s0
	v_cmp_lt_i32_e64 s0, v165, v87
	v_perm_b32 v3, v125, v3, 0x5040100
	s_delay_alu instid0(VALU_DEP_2) | instskip(SKIP_1) | instid1(VALU_DEP_1)
	v_cndmask_b32_e64 v126, 0, v126, s0
	v_cmp_lt_i32_e64 s0, v164, v86
	v_cndmask_b32_e64 v2, 0, v2, s0
	v_cmp_lt_i32_e64 s0, v163, v85
	s_delay_alu instid0(VALU_DEP_2) | instskip(NEXT) | instid1(VALU_DEP_2)
	v_perm_b32 v2, v126, v2, 0x5040100
	v_cndmask_b32_e64 v127, 0, v127, s0
	v_cmp_lt_i32_e64 s0, v162, v84
	s_delay_alu instid0(VALU_DEP_1) | instskip(SKIP_1) | instid1(VALU_DEP_2)
	v_cndmask_b32_e64 v1, 0, v1, s0
	v_cmp_lt_i32_e64 s0, v161, v83
	v_perm_b32 v1, v127, v1, 0x5040100
	s_delay_alu instid0(VALU_DEP_2) | instskip(SKIP_1) | instid1(VALU_DEP_1)
	v_cndmask_b32_e64 v136, 0, v136, s0
	v_cmp_lt_i32_e64 s0, v160, v110
	v_cndmask_b32_e64 v0, 0, v0, s0
	s_delay_alu instid0(VALU_DEP_1)
	v_perm_b32 v0, v136, v0, 0x5040100
.LBB119_89:                             ;   in Loop: Header=BB119_38 Depth=1
	s_or_b32 exec_lo, exec_lo, s9
	s_waitcnt vmcnt(0) lgkmcnt(0)
	;;#ASMSTART
	v_pk_mul_f16 v0, v151, v0;

	;;#ASMEND
	;;#ASMSTART
	v_pk_mul_f16 v1, v150, v1;

	;;#ASMEND
	;; [unrolled: 4-line block ×4, first 2 shown]
	;;#ASMSTART
	v_pk_add_f16 v0, v0, v1;

	;;#ASMEND
	;;#ASMSTART
	v_pk_add_f16 v0, v0, v2;

	;;#ASMEND
	;; [unrolled: 4-line block ×3, first 2 shown]
	v_lshrrev_b32_e32 v2, 16, v0
	v_and_b32_e32 v3, 0xffff, v0
	v_add_co_u32 v0, s0, v176, v131
	s_delay_alu instid0(VALU_DEP_1)
	v_add_co_ci_u32_e64 v1, s0, 0, v177, s0
	;;#ASMSTART
	v_cvt_f32_f16 v125, v3;
	;;#ASMEND
	;;#ASMSTART
	v_cvt_f32_f16 v126, v2;
	;;#ASMEND
	flat_load_b128 v[0:3], v[0:1]
	s_and_saveexec_b32 s9, vcc_lo
	s_cbranch_execz .LBB119_91
; %bb.90:                               ;   in Loop: Header=BB119_38 Depth=1
	v_cmp_lt_i32_e64 s0, v167, v24
	s_waitcnt vmcnt(0) lgkmcnt(0)
	v_lshrrev_b32_e32 v127, 16, v3
	v_lshrrev_b32_e32 v136, 16, v2
	;; [unrolled: 1-line block ×4, first 2 shown]
	v_cndmask_b32_e64 v3, 0, v3, s0
	v_cmp_lt_i32_e64 s0, v166, v96
	s_delay_alu instid0(VALU_DEP_1) | instskip(SKIP_1) | instid1(VALU_DEP_2)
	v_cndmask_b32_e64 v127, 0, v127, s0
	v_cmp_lt_i32_e64 s0, v165, v87
	v_perm_b32 v3, v127, v3, 0x5040100
	s_delay_alu instid0(VALU_DEP_2) | instskip(SKIP_1) | instid1(VALU_DEP_1)
	v_cndmask_b32_e64 v136, 0, v136, s0
	v_cmp_lt_i32_e64 s0, v164, v86
	v_cndmask_b32_e64 v2, 0, v2, s0
	v_cmp_lt_i32_e64 s0, v163, v85
	s_delay_alu instid0(VALU_DEP_2) | instskip(NEXT) | instid1(VALU_DEP_2)
	v_perm_b32 v2, v136, v2, 0x5040100
	v_cndmask_b32_e64 v137, 0, v137, s0
	v_cmp_lt_i32_e64 s0, v162, v84
	s_delay_alu instid0(VALU_DEP_1) | instskip(SKIP_1) | instid1(VALU_DEP_2)
	v_cndmask_b32_e64 v1, 0, v1, s0
	v_cmp_lt_i32_e64 s0, v161, v83
	v_perm_b32 v1, v137, v1, 0x5040100
	s_delay_alu instid0(VALU_DEP_2) | instskip(SKIP_1) | instid1(VALU_DEP_1)
	v_cndmask_b32_e64 v138, 0, v138, s0
	v_cmp_lt_i32_e64 s0, v160, v110
	v_cndmask_b32_e64 v0, 0, v0, s0
	s_delay_alu instid0(VALU_DEP_1)
	v_perm_b32 v0, v138, v0, 0x5040100
.LBB119_91:                             ;   in Loop: Header=BB119_38 Depth=1
	s_or_b32 exec_lo, exec_lo, s9
	s_waitcnt vmcnt(0) lgkmcnt(0)
	;;#ASMSTART
	v_pk_mul_f16 v0, v151, v0;

	;;#ASMEND
	;;#ASMSTART
	v_pk_mul_f16 v1, v150, v1;

	;;#ASMEND
	;; [unrolled: 4-line block ×4, first 2 shown]
	;;#ASMSTART
	v_pk_add_f16 v0, v0, v1;

	;;#ASMEND
	;;#ASMSTART
	v_pk_add_f16 v0, v0, v2;

	;;#ASMEND
	;; [unrolled: 4-line block ×3, first 2 shown]
	v_lshrrev_b32_e32 v2, 16, v0
	v_and_b32_e32 v3, 0xffff, v0
	v_add_co_u32 v0, s0, v176, v132
	s_delay_alu instid0(VALU_DEP_1)
	v_add_co_ci_u32_e64 v1, s0, 0, v177, s0
	;;#ASMSTART
	v_cvt_f32_f16 v127, v3;
	;;#ASMEND
	;;#ASMSTART
	v_cvt_f32_f16 v136, v2;
	;;#ASMEND
	flat_load_b128 v[0:3], v[0:1]
	s_and_saveexec_b32 s9, vcc_lo
	s_cbranch_execz .LBB119_93
; %bb.92:                               ;   in Loop: Header=BB119_38 Depth=1
	v_cmp_lt_i32_e64 s0, v167, v24
	s_waitcnt vmcnt(0) lgkmcnt(0)
	v_lshrrev_b32_e32 v137, 16, v3
	v_lshrrev_b32_e32 v138, 16, v2
	;; [unrolled: 1-line block ×4, first 2 shown]
	v_cndmask_b32_e64 v3, 0, v3, s0
	v_cmp_lt_i32_e64 s0, v166, v96
	s_delay_alu instid0(VALU_DEP_1) | instskip(SKIP_1) | instid1(VALU_DEP_2)
	v_cndmask_b32_e64 v137, 0, v137, s0
	v_cmp_lt_i32_e64 s0, v165, v87
	v_perm_b32 v3, v137, v3, 0x5040100
	s_delay_alu instid0(VALU_DEP_2) | instskip(SKIP_1) | instid1(VALU_DEP_1)
	v_cndmask_b32_e64 v138, 0, v138, s0
	v_cmp_lt_i32_e64 s0, v164, v86
	v_cndmask_b32_e64 v2, 0, v2, s0
	v_cmp_lt_i32_e64 s0, v163, v85
	s_delay_alu instid0(VALU_DEP_2) | instskip(NEXT) | instid1(VALU_DEP_2)
	v_perm_b32 v2, v138, v2, 0x5040100
	v_cndmask_b32_e64 v139, 0, v139, s0
	v_cmp_lt_i32_e64 s0, v162, v84
	s_delay_alu instid0(VALU_DEP_1) | instskip(SKIP_1) | instid1(VALU_DEP_2)
	v_cndmask_b32_e64 v1, 0, v1, s0
	v_cmp_lt_i32_e64 s0, v161, v83
	v_perm_b32 v1, v139, v1, 0x5040100
	s_delay_alu instid0(VALU_DEP_2) | instskip(SKIP_1) | instid1(VALU_DEP_1)
	v_cndmask_b32_e64 v140, 0, v140, s0
	v_cmp_lt_i32_e64 s0, v160, v110
	v_cndmask_b32_e64 v0, 0, v0, s0
	s_delay_alu instid0(VALU_DEP_1)
	v_perm_b32 v0, v140, v0, 0x5040100
.LBB119_93:                             ;   in Loop: Header=BB119_38 Depth=1
	s_or_b32 exec_lo, exec_lo, s9
	s_waitcnt vmcnt(0) lgkmcnt(0)
	;;#ASMSTART
	v_pk_mul_f16 v0, v151, v0;

	;;#ASMEND
	;;#ASMSTART
	v_pk_mul_f16 v1, v150, v1;

	;;#ASMEND
	;; [unrolled: 4-line block ×4, first 2 shown]
	;;#ASMSTART
	v_pk_add_f16 v0, v0, v1;

	;;#ASMEND
	;;#ASMSTART
	v_pk_add_f16 v0, v0, v2;

	;;#ASMEND
	;; [unrolled: 4-line block ×3, first 2 shown]
	v_lshrrev_b32_e32 v2, 16, v0
	v_and_b32_e32 v3, 0xffff, v0
	v_add_co_u32 v0, s0, v176, v133
	s_delay_alu instid0(VALU_DEP_1)
	v_add_co_ci_u32_e64 v1, s0, 0, v177, s0
	;;#ASMSTART
	v_cvt_f32_f16 v137, v3;
	;;#ASMEND
	;;#ASMSTART
	v_cvt_f32_f16 v138, v2;
	;;#ASMEND
	flat_load_b128 v[0:3], v[0:1]
	s_and_saveexec_b32 s9, vcc_lo
	s_cbranch_execz .LBB119_95
; %bb.94:                               ;   in Loop: Header=BB119_38 Depth=1
	v_cmp_lt_i32_e64 s0, v167, v24
	s_waitcnt vmcnt(0) lgkmcnt(0)
	v_lshrrev_b32_e32 v139, 16, v3
	v_lshrrev_b32_e32 v140, 16, v2
	;; [unrolled: 1-line block ×4, first 2 shown]
	v_cndmask_b32_e64 v3, 0, v3, s0
	v_cmp_lt_i32_e64 s0, v166, v96
	s_delay_alu instid0(VALU_DEP_1) | instskip(SKIP_1) | instid1(VALU_DEP_2)
	v_cndmask_b32_e64 v139, 0, v139, s0
	v_cmp_lt_i32_e64 s0, v165, v87
	v_perm_b32 v3, v139, v3, 0x5040100
	s_delay_alu instid0(VALU_DEP_2) | instskip(SKIP_1) | instid1(VALU_DEP_1)
	v_cndmask_b32_e64 v140, 0, v140, s0
	v_cmp_lt_i32_e64 s0, v164, v86
	v_cndmask_b32_e64 v2, 0, v2, s0
	v_cmp_lt_i32_e64 s0, v163, v85
	s_delay_alu instid0(VALU_DEP_2) | instskip(NEXT) | instid1(VALU_DEP_2)
	v_perm_b32 v2, v140, v2, 0x5040100
	v_cndmask_b32_e64 v141, 0, v141, s0
	v_cmp_lt_i32_e64 s0, v162, v84
	s_delay_alu instid0(VALU_DEP_1) | instskip(SKIP_1) | instid1(VALU_DEP_2)
	v_cndmask_b32_e64 v1, 0, v1, s0
	v_cmp_lt_i32_e64 s0, v161, v83
	v_perm_b32 v1, v141, v1, 0x5040100
	s_delay_alu instid0(VALU_DEP_2) | instskip(SKIP_1) | instid1(VALU_DEP_1)
	v_cndmask_b32_e64 v142, 0, v142, s0
	v_cmp_lt_i32_e64 s0, v160, v110
	v_cndmask_b32_e64 v0, 0, v0, s0
	s_delay_alu instid0(VALU_DEP_1)
	v_perm_b32 v0, v142, v0, 0x5040100
.LBB119_95:                             ;   in Loop: Header=BB119_38 Depth=1
	s_or_b32 exec_lo, exec_lo, s9
	s_waitcnt vmcnt(0) lgkmcnt(0)
	;;#ASMSTART
	v_pk_mul_f16 v0, v151, v0;

	;;#ASMEND
	;;#ASMSTART
	v_pk_mul_f16 v1, v150, v1;

	;;#ASMEND
	;; [unrolled: 4-line block ×4, first 2 shown]
	;;#ASMSTART
	v_pk_add_f16 v0, v0, v1;

	;;#ASMEND
	;;#ASMSTART
	v_pk_add_f16 v0, v0, v2;

	;;#ASMEND
	;; [unrolled: 4-line block ×3, first 2 shown]
	v_lshrrev_b32_e32 v2, 16, v0
	v_and_b32_e32 v3, 0xffff, v0
	v_add_co_u32 v0, s0, v176, v134
	s_delay_alu instid0(VALU_DEP_1)
	v_add_co_ci_u32_e64 v1, s0, 0, v177, s0
	;;#ASMSTART
	v_cvt_f32_f16 v139, v3;
	;;#ASMEND
	;;#ASMSTART
	v_cvt_f32_f16 v140, v2;
	;;#ASMEND
	flat_load_b128 v[0:3], v[0:1]
	s_and_saveexec_b32 s9, vcc_lo
	s_cbranch_execz .LBB119_97
; %bb.96:                               ;   in Loop: Header=BB119_38 Depth=1
	v_cmp_lt_i32_e64 s0, v167, v24
	s_waitcnt vmcnt(0) lgkmcnt(0)
	v_lshrrev_b32_e32 v141, 16, v3
	v_lshrrev_b32_e32 v142, 16, v2
	;; [unrolled: 1-line block ×4, first 2 shown]
	v_cndmask_b32_e64 v3, 0, v3, s0
	v_cmp_lt_i32_e64 s0, v166, v96
	s_delay_alu instid0(VALU_DEP_1) | instskip(SKIP_1) | instid1(VALU_DEP_2)
	v_cndmask_b32_e64 v141, 0, v141, s0
	v_cmp_lt_i32_e64 s0, v165, v87
	v_perm_b32 v3, v141, v3, 0x5040100
	s_delay_alu instid0(VALU_DEP_2) | instskip(SKIP_1) | instid1(VALU_DEP_1)
	v_cndmask_b32_e64 v142, 0, v142, s0
	v_cmp_lt_i32_e64 s0, v164, v86
	v_cndmask_b32_e64 v2, 0, v2, s0
	v_cmp_lt_i32_e64 s0, v163, v85
	s_delay_alu instid0(VALU_DEP_2) | instskip(NEXT) | instid1(VALU_DEP_2)
	v_perm_b32 v2, v142, v2, 0x5040100
	v_cndmask_b32_e64 v143, 0, v143, s0
	v_cmp_lt_i32_e64 s0, v162, v84
	s_delay_alu instid0(VALU_DEP_1) | instskip(SKIP_1) | instid1(VALU_DEP_2)
	v_cndmask_b32_e64 v1, 0, v1, s0
	v_cmp_lt_i32_e64 s0, v161, v83
	v_perm_b32 v1, v143, v1, 0x5040100
	s_delay_alu instid0(VALU_DEP_2) | instskip(SKIP_1) | instid1(VALU_DEP_1)
	v_cndmask_b32_e64 v152, 0, v152, s0
	v_cmp_lt_i32_e64 s0, v160, v110
	v_cndmask_b32_e64 v0, 0, v0, s0
	s_delay_alu instid0(VALU_DEP_1)
	v_perm_b32 v0, v152, v0, 0x5040100
.LBB119_97:                             ;   in Loop: Header=BB119_38 Depth=1
	s_or_b32 exec_lo, exec_lo, s9
	s_waitcnt vmcnt(0) lgkmcnt(0)
	;;#ASMSTART
	v_pk_mul_f16 v0, v151, v0;

	;;#ASMEND
	;;#ASMSTART
	v_pk_mul_f16 v1, v150, v1;

	;;#ASMEND
	;; [unrolled: 4-line block ×4, first 2 shown]
	;;#ASMSTART
	v_pk_add_f16 v0, v0, v1;

	;;#ASMEND
	;;#ASMSTART
	v_pk_add_f16 v0, v0, v2;

	;;#ASMEND
	;; [unrolled: 4-line block ×3, first 2 shown]
	v_lshrrev_b32_e32 v2, 16, v0
	v_and_b32_e32 v3, 0xffff, v0
	v_add_co_u32 v0, s0, v176, v135
	s_delay_alu instid0(VALU_DEP_1)
	v_add_co_ci_u32_e64 v1, s0, 0, v177, s0
	;;#ASMSTART
	v_cvt_f32_f16 v141, v3;
	;;#ASMEND
	;;#ASMSTART
	v_cvt_f32_f16 v142, v2;
	;;#ASMEND
	flat_load_b128 v[0:3], v[0:1]
	s_and_saveexec_b32 s9, vcc_lo
	s_cbranch_execz .LBB119_99
; %bb.98:                               ;   in Loop: Header=BB119_38 Depth=1
	v_cmp_lt_i32_e64 s0, v167, v24
	s_waitcnt vmcnt(0) lgkmcnt(0)
	v_lshrrev_b32_e32 v143, 16, v3
	v_lshrrev_b32_e32 v152, 16, v2
	;; [unrolled: 1-line block ×4, first 2 shown]
	v_cndmask_b32_e64 v3, 0, v3, s0
	v_cmp_lt_i32_e64 s0, v166, v96
	s_delay_alu instid0(VALU_DEP_1) | instskip(SKIP_1) | instid1(VALU_DEP_2)
	v_cndmask_b32_e64 v143, 0, v143, s0
	v_cmp_lt_i32_e64 s0, v165, v87
	v_perm_b32 v3, v143, v3, 0x5040100
	s_delay_alu instid0(VALU_DEP_2) | instskip(SKIP_1) | instid1(VALU_DEP_1)
	v_cndmask_b32_e64 v152, 0, v152, s0
	v_cmp_lt_i32_e64 s0, v164, v86
	v_cndmask_b32_e64 v2, 0, v2, s0
	v_cmp_lt_i32_e64 s0, v163, v85
	s_delay_alu instid0(VALU_DEP_2) | instskip(NEXT) | instid1(VALU_DEP_2)
	v_perm_b32 v2, v152, v2, 0x5040100
	v_cndmask_b32_e64 v153, 0, v153, s0
	v_cmp_lt_i32_e64 s0, v162, v84
	s_delay_alu instid0(VALU_DEP_1) | instskip(SKIP_1) | instid1(VALU_DEP_2)
	v_cndmask_b32_e64 v1, 0, v1, s0
	v_cmp_lt_i32_e64 s0, v161, v83
	v_perm_b32 v1, v153, v1, 0x5040100
	s_delay_alu instid0(VALU_DEP_2) | instskip(SKIP_1) | instid1(VALU_DEP_1)
	v_cndmask_b32_e64 v154, 0, v154, s0
	v_cmp_lt_i32_e64 s0, v160, v110
	v_cndmask_b32_e64 v0, 0, v0, s0
	s_delay_alu instid0(VALU_DEP_1)
	v_perm_b32 v0, v154, v0, 0x5040100
.LBB119_99:                             ;   in Loop: Header=BB119_38 Depth=1
	s_or_b32 exec_lo, exec_lo, s9
	s_waitcnt vmcnt(0) lgkmcnt(0)
	;;#ASMSTART
	v_pk_mul_f16 v0, v151, v0;

	;;#ASMEND
	;;#ASMSTART
	v_pk_mul_f16 v1, v150, v1;

	;;#ASMEND
	;; [unrolled: 4-line block ×4, first 2 shown]
	;;#ASMSTART
	v_pk_add_f16 v0, v0, v1;

	;;#ASMEND
	;;#ASMSTART
	v_pk_add_f16 v0, v0, v2;

	;;#ASMEND
	;;#ASMSTART
	v_pk_add_f16 v0, v0, v3;

	;;#ASMEND
	v_lshrrev_b32_e32 v2, 16, v0
	v_and_b32_e32 v3, 0xffff, v0
	v_add_co_u32 v0, s0, v176, v144
	s_delay_alu instid0(VALU_DEP_1)
	v_add_co_ci_u32_e64 v1, s0, 0, v177, s0
	;;#ASMSTART
	v_cvt_f32_f16 v143, v3;
	;;#ASMEND
	;;#ASMSTART
	v_cvt_f32_f16 v152, v2;
	;;#ASMEND
	flat_load_b128 v[0:3], v[0:1]
	s_and_saveexec_b32 s9, vcc_lo
	s_cbranch_execz .LBB119_101
; %bb.100:                              ;   in Loop: Header=BB119_38 Depth=1
	v_cmp_lt_i32_e64 s0, v167, v24
	s_waitcnt vmcnt(0) lgkmcnt(0)
	v_lshrrev_b32_e32 v153, 16, v3
	v_lshrrev_b32_e32 v154, 16, v2
	;; [unrolled: 1-line block ×4, first 2 shown]
	v_cndmask_b32_e64 v3, 0, v3, s0
	v_cmp_lt_i32_e64 s0, v166, v96
	s_delay_alu instid0(VALU_DEP_1) | instskip(SKIP_1) | instid1(VALU_DEP_2)
	v_cndmask_b32_e64 v153, 0, v153, s0
	v_cmp_lt_i32_e64 s0, v165, v87
	v_perm_b32 v3, v153, v3, 0x5040100
	s_delay_alu instid0(VALU_DEP_2) | instskip(SKIP_1) | instid1(VALU_DEP_1)
	v_cndmask_b32_e64 v154, 0, v154, s0
	v_cmp_lt_i32_e64 s0, v164, v86
	v_cndmask_b32_e64 v2, 0, v2, s0
	v_cmp_lt_i32_e64 s0, v163, v85
	s_delay_alu instid0(VALU_DEP_2) | instskip(NEXT) | instid1(VALU_DEP_2)
	v_perm_b32 v2, v154, v2, 0x5040100
	v_cndmask_b32_e64 v155, 0, v155, s0
	v_cmp_lt_i32_e64 s0, v162, v84
	s_delay_alu instid0(VALU_DEP_1) | instskip(SKIP_1) | instid1(VALU_DEP_2)
	v_cndmask_b32_e64 v1, 0, v1, s0
	v_cmp_lt_i32_e64 s0, v161, v83
	v_perm_b32 v1, v155, v1, 0x5040100
	s_delay_alu instid0(VALU_DEP_2) | instskip(SKIP_1) | instid1(VALU_DEP_1)
	v_cndmask_b32_e64 v156, 0, v156, s0
	v_cmp_lt_i32_e64 s0, v160, v110
	v_cndmask_b32_e64 v0, 0, v0, s0
	s_delay_alu instid0(VALU_DEP_1)
	v_perm_b32 v0, v156, v0, 0x5040100
.LBB119_101:                            ;   in Loop: Header=BB119_38 Depth=1
	s_or_b32 exec_lo, exec_lo, s9
	s_waitcnt vmcnt(0) lgkmcnt(0)
	;;#ASMSTART
	v_pk_mul_f16 v0, v151, v0;

	;;#ASMEND
	;;#ASMSTART
	v_pk_mul_f16 v1, v150, v1;

	;;#ASMEND
	;; [unrolled: 4-line block ×4, first 2 shown]
	;;#ASMSTART
	v_pk_add_f16 v0, v0, v1;

	;;#ASMEND
	;;#ASMSTART
	v_pk_add_f16 v0, v0, v2;

	;;#ASMEND
	;; [unrolled: 4-line block ×3, first 2 shown]
	v_lshrrev_b32_e32 v2, 16, v0
	v_and_b32_e32 v3, 0xffff, v0
	v_add_co_u32 v0, s0, v176, v145
	s_delay_alu instid0(VALU_DEP_1)
	v_add_co_ci_u32_e64 v1, s0, 0, v177, s0
	;;#ASMSTART
	v_cvt_f32_f16 v176, v3;
	;;#ASMEND
	;;#ASMSTART
	v_cvt_f32_f16 v177, v2;
	;;#ASMEND
	flat_load_b128 v[0:3], v[0:1]
	s_and_saveexec_b32 s0, vcc_lo
	s_cbranch_execz .LBB119_36
; %bb.102:                              ;   in Loop: Header=BB119_38 Depth=1
	v_cmp_lt_i32_e32 vcc_lo, v167, v24
	s_waitcnt vmcnt(0) lgkmcnt(0)
	v_lshrrev_b32_e32 v153, 16, v3
	v_lshrrev_b32_e32 v154, 16, v2
	;; [unrolled: 1-line block ×3, first 2 shown]
	v_cndmask_b32_e32 v3, 0, v3, vcc_lo
	v_cmp_lt_i32_e32 vcc_lo, v166, v96
	v_cndmask_b32_e32 v166, 0, v153, vcc_lo
	v_cmp_lt_i32_e32 vcc_lo, v165, v87
	s_delay_alu instid0(VALU_DEP_2)
	v_perm_b32 v3, v166, v3, 0x5040100
	v_cndmask_b32_e32 v165, 0, v154, vcc_lo
	v_cmp_lt_i32_e32 vcc_lo, v164, v86
	v_lshrrev_b32_e32 v164, 16, v0
	v_cndmask_b32_e32 v2, 0, v2, vcc_lo
	v_cmp_lt_i32_e32 vcc_lo, v163, v85
	v_cndmask_b32_e32 v163, 0, v167, vcc_lo
	v_cmp_lt_i32_e32 vcc_lo, v162, v84
	;; [unrolled: 2-line block ×3, first 2 shown]
	s_delay_alu instid0(VALU_DEP_2) | instskip(SKIP_4) | instid1(VALU_DEP_2)
	v_perm_b32 v1, v163, v1, 0x5040100
	v_cndmask_b32_e32 v161, 0, v164, vcc_lo
	v_cmp_lt_i32_e32 vcc_lo, v160, v110
	v_cndmask_b32_e32 v0, 0, v0, vcc_lo
	v_perm_b32 v2, v165, v2, 0x5040100
	v_perm_b32 v0, v161, v0, 0x5040100
	s_branch .LBB119_36
.LBB119_103:
	s_or_b32 exec_lo, exec_lo, s5
.LBB119_104:
	s_delay_alu instid0(SALU_CYCLE_1)
	s_or_b32 exec_lo, exec_lo, s3
	ds_bpermute_b32 v0, v16, v71
	ds_bpermute_b32 v1, v16, v80
	;; [unrolled: 1-line block ×17, first 2 shown]
	s_waitcnt lgkmcnt(0)
	s_waitcnt_vscnt null, 0x0
	s_barrier
	buffer_gl0_inv
	v_dual_add_f32 v0, v71, v0 :: v_dual_add_f32 v1, v80, v1
	v_add_f32_e32 v8, v66, v8
	v_dual_add_f32 v2, v70, v2 :: v_dual_add_f32 v3, v69, v3
	v_add_f32_e32 v6, v68, v6
	ds_bpermute_b32 v66, v13, v1
	v_dual_add_f32 v65, v65, v9 :: v_dual_add_f32 v26, v67, v7
	ds_bpermute_b32 v7, v13, v0
	v_dual_add_f32 v64, v64, v10 :: v_dual_add_f32 v15, v53, v15
	v_add_f32_e32 v11, v55, v11
	ds_bpermute_b32 v55, v13, v3
	ds_bpermute_b32 v70, v13, v65
	;; [unrolled: 1-line block ×4, first 2 shown]
	v_add_f32_e32 v54, v54, v14
	v_dual_add_f32 v20, v52, v20 :: v_dual_add_f32 v51, v51, v22
	v_add_f32_e32 v50, v50, v23
	ds_bpermute_b32 v22, v13, v11
	ds_bpermute_b32 v10, v13, v2
	;; [unrolled: 1-line block ×5, first 2 shown]
	s_waitcnt lgkmcnt(10)
	v_add_f32_e32 v9, v1, v66
	ds_bpermute_b32 v68, v13, v26
	ds_bpermute_b32 v66, v13, v20
	s_waitcnt lgkmcnt(11)
	v_add_f32_e32 v14, v0, v7
	s_load_b32 s3, s[6:7], 0x0
	v_lshrrev_b32_e32 v21, 2, v21
	s_mov_b32 s0, exec_lo
	s_waitcnt lgkmcnt(0)
	v_add_f32_e32 v7, v3, v55
	ds_bpermute_b32 v52, v13, v54
	v_add_f32_e32 v1, v65, v70
	ds_bpermute_b32 v65, v16, v36
	ds_bpermute_b32 v81, v13, v50
	v_add_f32_e32 v6, v6, v67
	v_add_f32_e32 v0, v64, v71
	ds_bpermute_b32 v55, v16, v38
	ds_bpermute_b32 v64, v16, v37
	;; [unrolled: 1-line block ×3, first 2 shown]
	v_dual_add_f32 v23, v11, v22 :: v_dual_add_f32 v24, v49, v24
	v_dual_add_f32 v25, v48, v25 :: v_dual_add_f32 v10, v2, v10
	v_add_f32_e32 v15, v15, v53
	v_add_f32_e32 v3, v26, v68
	ds_bpermute_b32 v26, v16, v39
	v_dual_add_f32 v2, v8, v69 :: v_dual_add_f32 v11, v51, v80
	v_add_f32_e32 v20, v20, v66
	ds_bpermute_b32 v49, v13, v25
	s_waitcnt lgkmcnt(7)
	v_add_f32_e32 v22, v54, v52
	ds_bpermute_b32 v52, v16, v32
	ds_bpermute_b32 v51, v16, v33
	s_waitcnt lgkmcnt(7)
	v_add_f32_e32 v8, v50, v81
	ds_bpermute_b32 v50, v16, v34
	ds_bpermute_b32 v53, v16, v31
	;; [unrolled: 1-line block ×3, first 2 shown]
	s_waitcnt lgkmcnt(8)
	v_dual_add_f32 v38, v38, v55 :: v_dual_add_f32 v37, v37, v64
	s_waitcnt lgkmcnt(7)
	v_add_f32_e32 v55, v35, v67
	ds_bpermute_b32 v35, v16, v29
	ds_bpermute_b32 v64, v16, v27
	v_lshl_add_u32 v12, v12, 10, s3
	ds_bpermute_b32 v68, v13, v37
	ds_bpermute_b32 v70, v13, v55
	s_waitcnt lgkmcnt(10)
	v_dual_add_f32 v26, v39, v26 :: v_dual_add_f32 v39, v36, v65
	ds_bpermute_b32 v36, v16, v28
	ds_bpermute_b32 v65, v16, v19
	;; [unrolled: 1-line block ×4, first 2 shown]
	s_waitcnt lgkmcnt(12)
	v_add_f32_e32 v52, v32, v52
	ds_bpermute_b32 v69, v13, v39
	s_waitcnt lgkmcnt(11)
	v_dual_add_f32 v51, v33, v51 :: v_dual_add_f32 v50, v34, v50
	s_waitcnt lgkmcnt(10)
	v_add_f32_e32 v53, v31, v53
	ds_bpermute_b32 v67, v13, v38
	s_waitcnt lgkmcnt(10)
	v_add_f32_e32 v54, v30, v54
	ds_bpermute_b32 v80, v13, v51
	s_waitcnt lgkmcnt(10)
	v_add_f32_e32 v84, v29, v35
	v_add_f32_e32 v35, v25, v49
	ds_bpermute_b32 v81, v13, v52
	s_waitcnt lgkmcnt(10)
	v_add_f32_e32 v64, v27, v64
	ds_bpermute_b32 v82, v13, v53
	s_waitcnt lgkmcnt(8)
	v_add_f32_e32 v85, v28, v36
	s_waitcnt lgkmcnt(6)
	v_dual_add_f32 v65, v19, v65 :: v_dual_add_f32 v86, v18, v16
	ds_bpermute_b32 v66, v13, v26
	ds_bpermute_b32 v71, v13, v50
	;; [unrolled: 1-line block ×4, first 2 shown]
	s_waitcnt lgkmcnt(8)
	v_add_f32_e32 v31, v39, v69
	ds_bpermute_b32 v83, v13, v54
	s_waitcnt lgkmcnt(8)
	v_add_f32_e32 v33, v38, v67
	ds_bpermute_b32 v87, v13, v64
	v_add_f32_e32 v36, v24, v48
	v_add_f32_e32 v32, v37, v68
	s_waitcnt lgkmcnt(8)
	v_dual_add_f32 v28, v51, v80 :: v_dual_and_b32 v37, 0x3c3, v47
	s_waitcnt lgkmcnt(7)
	v_add_f32_e32 v27, v52, v81
	ds_bpermute_b32 v16, v13, v84
	s_waitcnt lgkmcnt(6)
	v_add_f32_e32 v34, v26, v66
	s_waitcnt lgkmcnt(5)
	v_add_f32_e32 v29, v50, v71
	;; [unrolled: 2-line block ×3, first 2 shown]
	ds_bpermute_b32 v13, v13, v86
	v_add_f32_e32 v30, v55, v70
	s_waitcnt lgkmcnt(3)
	v_dual_add_f32 v26, v53, v82 :: v_dual_add_f32 v25, v54, v83
	v_add_f32_e32 v18, v65, v96
	s_waitcnt lgkmcnt(1)
	v_add_f32_e32 v24, v84, v16
	s_waitcnt lgkmcnt(0)
	v_dual_add_f32 v16, v64, v87 :: v_dual_add_f32 v13, v86, v13
	v_cmpx_eq_u32_e32 64, v37
	s_cbranch_execz .LBB119_106
; %bb.105:
	v_lshlrev_b32_e32 v37, 2, v21
	s_delay_alu instid0(VALU_DEP_1)
	v_add3_u32 v37, v12, v37, 0xfffff800
	ds_store_2addr_b32 v37, v14, v9 offset1:8
	ds_store_2addr_b32 v37, v10, v7 offset0:16 offset1:24
	ds_store_2addr_b32 v37, v6, v3 offset0:32 offset1:40
	;; [unrolled: 1-line block ×15, first 2 shown]
.LBB119_106:
	s_or_b32 exec_lo, exec_lo, s0
	v_cmp_eq_u32_e32 vcc_lo, 0, v17
	s_mov_b32 s5, exec_lo
	s_waitcnt lgkmcnt(0)
	s_barrier
	buffer_gl0_inv
	v_cmpx_gt_u32_e32 64, v47
	s_cbranch_execz .LBB119_141
; %bb.107:
	s_and_saveexec_b32 s0, vcc_lo
	s_cbranch_execnz .LBB119_181
; %bb.108:
	s_or_b32 exec_lo, exec_lo, s0
	s_and_saveexec_b32 s0, vcc_lo
	s_cbranch_execnz .LBB119_182
.LBB119_109:
	s_or_b32 exec_lo, exec_lo, s0
	s_and_saveexec_b32 s0, vcc_lo
	s_cbranch_execnz .LBB119_183
.LBB119_110:
	s_or_b32 exec_lo, exec_lo, s0
	s_and_saveexec_b32 s0, vcc_lo
	s_cbranch_execnz .LBB119_184
.LBB119_111:
	s_or_b32 exec_lo, exec_lo, s0
	s_and_saveexec_b32 s0, vcc_lo
	s_cbranch_execnz .LBB119_185
.LBB119_112:
	s_or_b32 exec_lo, exec_lo, s0
	s_and_saveexec_b32 s0, vcc_lo
	s_cbranch_execnz .LBB119_186
.LBB119_113:
	s_or_b32 exec_lo, exec_lo, s0
	s_and_saveexec_b32 s0, vcc_lo
	s_cbranch_execnz .LBB119_187
.LBB119_114:
	s_or_b32 exec_lo, exec_lo, s0
	s_and_saveexec_b32 s0, vcc_lo
	s_cbranch_execnz .LBB119_188
.LBB119_115:
	s_or_b32 exec_lo, exec_lo, s0
	s_and_saveexec_b32 s0, vcc_lo
	s_cbranch_execnz .LBB119_189
.LBB119_116:
	s_or_b32 exec_lo, exec_lo, s0
	s_and_saveexec_b32 s0, vcc_lo
	s_cbranch_execnz .LBB119_190
.LBB119_117:
	s_or_b32 exec_lo, exec_lo, s0
	s_and_saveexec_b32 s0, vcc_lo
	s_cbranch_execnz .LBB119_191
.LBB119_118:
	s_or_b32 exec_lo, exec_lo, s0
	s_and_saveexec_b32 s0, vcc_lo
	s_cbranch_execnz .LBB119_192
.LBB119_119:
	s_or_b32 exec_lo, exec_lo, s0
	s_and_saveexec_b32 s0, vcc_lo
	s_cbranch_execnz .LBB119_193
.LBB119_120:
	s_or_b32 exec_lo, exec_lo, s0
	s_and_saveexec_b32 s0, vcc_lo
	s_cbranch_execnz .LBB119_194
.LBB119_121:
	s_or_b32 exec_lo, exec_lo, s0
	s_and_saveexec_b32 s0, vcc_lo
	s_cbranch_execnz .LBB119_195
.LBB119_122:
	s_or_b32 exec_lo, exec_lo, s0
	s_and_saveexec_b32 s0, vcc_lo
	s_cbranch_execnz .LBB119_196
.LBB119_123:
	s_or_b32 exec_lo, exec_lo, s0
	s_and_saveexec_b32 s0, vcc_lo
	s_cbranch_execnz .LBB119_197
.LBB119_124:
	s_or_b32 exec_lo, exec_lo, s0
	s_and_saveexec_b32 s0, vcc_lo
	s_cbranch_execnz .LBB119_198
.LBB119_125:
	s_or_b32 exec_lo, exec_lo, s0
	s_and_saveexec_b32 s0, vcc_lo
	s_cbranch_execnz .LBB119_199
.LBB119_126:
	s_or_b32 exec_lo, exec_lo, s0
	s_and_saveexec_b32 s0, vcc_lo
	s_cbranch_execnz .LBB119_200
.LBB119_127:
	s_or_b32 exec_lo, exec_lo, s0
	s_and_saveexec_b32 s0, vcc_lo
	s_cbranch_execnz .LBB119_201
.LBB119_128:
	s_or_b32 exec_lo, exec_lo, s0
	s_and_saveexec_b32 s0, vcc_lo
	s_cbranch_execnz .LBB119_202
.LBB119_129:
	s_or_b32 exec_lo, exec_lo, s0
	s_and_saveexec_b32 s0, vcc_lo
	s_cbranch_execnz .LBB119_203
.LBB119_130:
	s_or_b32 exec_lo, exec_lo, s0
	s_and_saveexec_b32 s0, vcc_lo
	s_cbranch_execnz .LBB119_204
.LBB119_131:
	s_or_b32 exec_lo, exec_lo, s0
	s_and_saveexec_b32 s0, vcc_lo
	s_cbranch_execnz .LBB119_205
.LBB119_132:
	s_or_b32 exec_lo, exec_lo, s0
	s_and_saveexec_b32 s0, vcc_lo
	s_cbranch_execnz .LBB119_206
.LBB119_133:
	s_or_b32 exec_lo, exec_lo, s0
	s_and_saveexec_b32 s0, vcc_lo
	s_cbranch_execnz .LBB119_207
.LBB119_134:
	s_or_b32 exec_lo, exec_lo, s0
	s_and_saveexec_b32 s0, vcc_lo
	s_cbranch_execnz .LBB119_208
.LBB119_135:
	s_or_b32 exec_lo, exec_lo, s0
	s_and_saveexec_b32 s0, vcc_lo
	s_cbranch_execnz .LBB119_209
.LBB119_136:
	s_or_b32 exec_lo, exec_lo, s0
	s_and_saveexec_b32 s0, vcc_lo
	s_cbranch_execnz .LBB119_210
.LBB119_137:
	s_or_b32 exec_lo, exec_lo, s0
	s_and_saveexec_b32 s0, vcc_lo
	s_cbranch_execnz .LBB119_211
.LBB119_138:
	s_or_b32 exec_lo, exec_lo, s0
	s_and_saveexec_b32 s0, vcc_lo
	s_cbranch_execz .LBB119_140
.LBB119_139:
	v_lshl_add_u32 v17, v21, 2, v12
	ds_load_b32 v17, v17 offset:992
	s_waitcnt lgkmcnt(0)
	v_add_f32_e32 v13, v17, v13
.LBB119_140:
	s_or_b32 exec_lo, exec_lo, s0
.LBB119_141:
	s_delay_alu instid0(SALU_CYCLE_1)
	s_or_b32 exec_lo, exec_lo, s5
	v_and_b32_e32 v17, 0x3e3, v47
	s_mov_b32 s5, exec_lo
	s_barrier
	buffer_gl0_inv
	v_cmpx_eq_u32_e32 32, v17
	s_cbranch_execz .LBB119_143
; %bb.142:
	v_lshl_add_u32 v37, v21, 2, s3
	ds_store_2addr_b32 v37, v14, v9 offset1:8
	ds_store_2addr_b32 v37, v10, v7 offset0:16 offset1:24
	ds_store_2addr_b32 v37, v6, v3 offset0:32 offset1:40
	;; [unrolled: 1-line block ×15, first 2 shown]
.LBB119_143:
	s_or_b32 exec_lo, exec_lo, s5
	s_delay_alu instid0(SALU_CYCLE_1)
	s_mov_b32 s3, exec_lo
	s_waitcnt lgkmcnt(0)
	s_barrier
	buffer_gl0_inv
	v_cmpx_gt_u32_e32 32, v47
	s_cbranch_execz .LBB119_178
; %bb.144:
	v_lshl_add_u32 v12, v21, 2, v12
	s_and_saveexec_b32 s0, vcc_lo
	s_cbranch_execnz .LBB119_212
; %bb.145:
	s_or_b32 exec_lo, exec_lo, s0
	s_and_saveexec_b32 s0, vcc_lo
	s_cbranch_execnz .LBB119_213
.LBB119_146:
	s_or_b32 exec_lo, exec_lo, s0
	s_and_saveexec_b32 s0, vcc_lo
	s_cbranch_execnz .LBB119_214
.LBB119_147:
	s_or_b32 exec_lo, exec_lo, s0
	s_and_saveexec_b32 s0, vcc_lo
	s_cbranch_execnz .LBB119_215
.LBB119_148:
	s_or_b32 exec_lo, exec_lo, s0
	s_and_saveexec_b32 s0, vcc_lo
	s_cbranch_execnz .LBB119_216
.LBB119_149:
	s_or_b32 exec_lo, exec_lo, s0
	s_and_saveexec_b32 s0, vcc_lo
	s_cbranch_execnz .LBB119_217
.LBB119_150:
	s_or_b32 exec_lo, exec_lo, s0
	s_and_saveexec_b32 s0, vcc_lo
	s_cbranch_execnz .LBB119_218
.LBB119_151:
	s_or_b32 exec_lo, exec_lo, s0
	s_and_saveexec_b32 s0, vcc_lo
	s_cbranch_execnz .LBB119_219
.LBB119_152:
	s_or_b32 exec_lo, exec_lo, s0
	s_and_saveexec_b32 s0, vcc_lo
	s_cbranch_execnz .LBB119_220
.LBB119_153:
	s_or_b32 exec_lo, exec_lo, s0
	s_and_saveexec_b32 s0, vcc_lo
	s_cbranch_execnz .LBB119_221
.LBB119_154:
	s_or_b32 exec_lo, exec_lo, s0
	s_and_saveexec_b32 s0, vcc_lo
	s_cbranch_execnz .LBB119_222
.LBB119_155:
	s_or_b32 exec_lo, exec_lo, s0
	s_and_saveexec_b32 s0, vcc_lo
	s_cbranch_execnz .LBB119_223
.LBB119_156:
	s_or_b32 exec_lo, exec_lo, s0
	s_and_saveexec_b32 s0, vcc_lo
	s_cbranch_execnz .LBB119_224
.LBB119_157:
	s_or_b32 exec_lo, exec_lo, s0
	s_and_saveexec_b32 s0, vcc_lo
	s_cbranch_execnz .LBB119_225
.LBB119_158:
	s_or_b32 exec_lo, exec_lo, s0
	s_and_saveexec_b32 s0, vcc_lo
	s_cbranch_execnz .LBB119_226
.LBB119_159:
	s_or_b32 exec_lo, exec_lo, s0
	s_and_saveexec_b32 s0, vcc_lo
	s_cbranch_execnz .LBB119_227
.LBB119_160:
	s_or_b32 exec_lo, exec_lo, s0
	s_and_saveexec_b32 s0, vcc_lo
	s_cbranch_execnz .LBB119_228
.LBB119_161:
	s_or_b32 exec_lo, exec_lo, s0
	s_and_saveexec_b32 s0, vcc_lo
	s_cbranch_execnz .LBB119_229
.LBB119_162:
	s_or_b32 exec_lo, exec_lo, s0
	s_and_saveexec_b32 s0, vcc_lo
	s_cbranch_execnz .LBB119_230
.LBB119_163:
	s_or_b32 exec_lo, exec_lo, s0
	s_and_saveexec_b32 s0, vcc_lo
	s_cbranch_execnz .LBB119_231
.LBB119_164:
	s_or_b32 exec_lo, exec_lo, s0
	s_and_saveexec_b32 s0, vcc_lo
	s_cbranch_execnz .LBB119_232
.LBB119_165:
	s_or_b32 exec_lo, exec_lo, s0
	s_and_saveexec_b32 s0, vcc_lo
	s_cbranch_execnz .LBB119_233
.LBB119_166:
	s_or_b32 exec_lo, exec_lo, s0
	s_and_saveexec_b32 s0, vcc_lo
	s_cbranch_execnz .LBB119_234
.LBB119_167:
	s_or_b32 exec_lo, exec_lo, s0
	s_and_saveexec_b32 s0, vcc_lo
	s_cbranch_execnz .LBB119_235
.LBB119_168:
	s_or_b32 exec_lo, exec_lo, s0
	s_and_saveexec_b32 s0, vcc_lo
	s_cbranch_execnz .LBB119_236
.LBB119_169:
	s_or_b32 exec_lo, exec_lo, s0
	s_and_saveexec_b32 s0, vcc_lo
	s_cbranch_execnz .LBB119_237
.LBB119_170:
	s_or_b32 exec_lo, exec_lo, s0
	s_and_saveexec_b32 s0, vcc_lo
	s_cbranch_execnz .LBB119_238
.LBB119_171:
	s_or_b32 exec_lo, exec_lo, s0
	s_and_saveexec_b32 s0, vcc_lo
	s_cbranch_execnz .LBB119_239
.LBB119_172:
	s_or_b32 exec_lo, exec_lo, s0
	s_and_saveexec_b32 s0, vcc_lo
	s_cbranch_execnz .LBB119_240
.LBB119_173:
	s_or_b32 exec_lo, exec_lo, s0
	s_and_saveexec_b32 s0, vcc_lo
	s_cbranch_execnz .LBB119_241
.LBB119_174:
	s_or_b32 exec_lo, exec_lo, s0
	s_and_saveexec_b32 s0, vcc_lo
	s_cbranch_execnz .LBB119_242
.LBB119_175:
	s_or_b32 exec_lo, exec_lo, s0
	s_and_saveexec_b32 s0, vcc_lo
	s_cbranch_execz .LBB119_177
.LBB119_176:
	ds_load_b32 v12, v12 offset:992
	s_waitcnt lgkmcnt(0)
	v_add_f32_e32 v13, v12, v13
.LBB119_177:
	s_or_b32 exec_lo, exec_lo, s0
.LBB119_178:
	s_delay_alu instid0(SALU_CYCLE_1)
	s_or_b32 exec_lo, exec_lo, s3
	v_cmp_eq_u32_e32 vcc_lo, 0, v17
	s_barrier
	buffer_gl0_inv
	s_and_b32 exec_lo, exec_lo, vcc_lo
	s_cbranch_execz .LBB119_180
; %bb.179:
	s_lshl_b32 s0, s2, 8
	s_mul_i32 s2, s4, s1
	s_lshl_b32 s4, s14, 8
	s_ashr_i32 s3, s2, 31
	s_ashr_i32 s5, s4, 31
	;; [unrolled: 1-line block ×3, first 2 shown]
	s_lshl_b64 s[2:3], s[2:3], 1
	s_lshl_b64 s[4:5], s[4:5], 1
	;; [unrolled: 1-line block ×3, first 2 shown]
	s_add_u32 s2, s4, s2
	s_addc_u32 s3, s5, s3
	s_add_u32 s0, s2, s0
	s_addc_u32 s1, s3, s1
	v_lshrrev_b32_e32 v12, 1, v47
	v_add_co_u32 v4, vcc_lo, s0, v4
	v_add_co_ci_u32_e32 v5, vcc_lo, s1, v5, vcc_lo
	s_delay_alu instid0(VALU_DEP_2) | instskip(NEXT) | instid1(VALU_DEP_2)
	v_add_co_u32 v4, vcc_lo, v4, v12
	v_add_co_ci_u32_e32 v5, vcc_lo, 0, v5, vcc_lo
	;;#ASMSTART
	v_cvt_f16_f32 v12, v14;

	;;#ASMEND
	flat_store_b16 v[4:5], v12
	;;#ASMSTART
	v_cvt_f16_f32 v9, v9;

	;;#ASMEND
	flat_store_b16 v[4:5], v9 offset:16
	;;#ASMSTART
	v_cvt_f16_f32 v9, v10;

	;;#ASMEND
	flat_store_b16 v[4:5], v9 offset:32
	;; [unrolled: 5-line block ×31, first 2 shown]
.LBB119_180:
	s_or_b32 exec_lo, exec_lo, s11
	s_clause 0x1f
	scratch_load_b32 v191, off, s32
	scratch_load_b32 v190, off, s32 offset:4
	scratch_load_b32 v189, off, s32 offset:8
	;; [unrolled: 1-line block ×31, first 2 shown]
	s_clause 0x1f
	scratch_load_b32 v127, off, s32 offset:128
	scratch_load_b32 v126, off, s32 offset:132
	;; [unrolled: 1-line block ×32, first 2 shown]
	s_clause 0xf
	scratch_load_b32 v63, off, s32 offset:256
	scratch_load_b32 v62, off, s32 offset:260
	scratch_load_b32 v61, off, s32 offset:264
	scratch_load_b32 v60, off, s32 offset:268
	scratch_load_b32 v59, off, s32 offset:272
	scratch_load_b32 v58, off, s32 offset:276
	scratch_load_b32 v57, off, s32 offset:280
	scratch_load_b32 v56, off, s32 offset:284
	scratch_load_b32 v47, off, s32 offset:288
	scratch_load_b32 v46, off, s32 offset:292
	scratch_load_b32 v45, off, s32 offset:296
	scratch_load_b32 v44, off, s32 offset:300
	scratch_load_b32 v43, off, s32 offset:304
	scratch_load_b32 v42, off, s32 offset:308
	scratch_load_b32 v41, off, s32 offset:312
	scratch_load_b32 v40, off, s32 offset:316
	s_waitcnt vmcnt(0) lgkmcnt(0)
	s_setpc_b64 s[30:31]
.LBB119_181:
	v_lshl_add_u32 v17, v21, 2, v12
	ds_load_b32 v17, v17
	s_waitcnt lgkmcnt(0)
	v_add_f32_e32 v14, v17, v14
	s_or_b32 exec_lo, exec_lo, s0
	s_and_saveexec_b32 s0, vcc_lo
	s_cbranch_execz .LBB119_109
.LBB119_182:
	v_lshl_add_u32 v17, v21, 2, v12
	ds_load_b32 v17, v17 offset:32
	s_waitcnt lgkmcnt(0)
	v_add_f32_e32 v9, v17, v9
	s_or_b32 exec_lo, exec_lo, s0
	s_and_saveexec_b32 s0, vcc_lo
	s_cbranch_execz .LBB119_110
.LBB119_183:
	v_lshl_add_u32 v17, v21, 2, v12
	ds_load_b32 v17, v17 offset:64
	s_waitcnt lgkmcnt(0)
	v_add_f32_e32 v10, v17, v10
	s_or_b32 exec_lo, exec_lo, s0
	s_and_saveexec_b32 s0, vcc_lo
	s_cbranch_execz .LBB119_111
.LBB119_184:
	v_lshl_add_u32 v17, v21, 2, v12
	ds_load_b32 v17, v17 offset:96
	s_waitcnt lgkmcnt(0)
	v_add_f32_e32 v7, v17, v7
	s_or_b32 exec_lo, exec_lo, s0
	s_and_saveexec_b32 s0, vcc_lo
	s_cbranch_execz .LBB119_112
.LBB119_185:
	v_lshl_add_u32 v17, v21, 2, v12
	ds_load_b32 v17, v17 offset:128
	s_waitcnt lgkmcnt(0)
	v_add_f32_e32 v6, v17, v6
	s_or_b32 exec_lo, exec_lo, s0
	s_and_saveexec_b32 s0, vcc_lo
	s_cbranch_execz .LBB119_113
.LBB119_186:
	v_lshl_add_u32 v17, v21, 2, v12
	ds_load_b32 v17, v17 offset:160
	s_waitcnt lgkmcnt(0)
	v_add_f32_e32 v3, v17, v3
	s_or_b32 exec_lo, exec_lo, s0
	s_and_saveexec_b32 s0, vcc_lo
	s_cbranch_execz .LBB119_114
.LBB119_187:
	v_lshl_add_u32 v17, v21, 2, v12
	ds_load_b32 v17, v17 offset:192
	s_waitcnt lgkmcnt(0)
	v_add_f32_e32 v2, v17, v2
	s_or_b32 exec_lo, exec_lo, s0
	s_and_saveexec_b32 s0, vcc_lo
	s_cbranch_execz .LBB119_115
.LBB119_188:
	v_lshl_add_u32 v17, v21, 2, v12
	ds_load_b32 v17, v17 offset:224
	s_waitcnt lgkmcnt(0)
	v_add_f32_e32 v1, v17, v1
	s_or_b32 exec_lo, exec_lo, s0
	s_and_saveexec_b32 s0, vcc_lo
	s_cbranch_execz .LBB119_116
.LBB119_189:
	v_lshl_add_u32 v17, v21, 2, v12
	ds_load_b32 v17, v17 offset:256
	s_waitcnt lgkmcnt(0)
	v_add_f32_e32 v0, v17, v0
	s_or_b32 exec_lo, exec_lo, s0
	s_and_saveexec_b32 s0, vcc_lo
	s_cbranch_execz .LBB119_117
.LBB119_190:
	v_lshl_add_u32 v17, v21, 2, v12
	ds_load_b32 v17, v17 offset:288
	s_waitcnt lgkmcnt(0)
	v_add_f32_e32 v23, v17, v23
	s_or_b32 exec_lo, exec_lo, s0
	s_and_saveexec_b32 s0, vcc_lo
	s_cbranch_execz .LBB119_118
.LBB119_191:
	v_lshl_add_u32 v17, v21, 2, v12
	ds_load_b32 v17, v17 offset:320
	s_waitcnt lgkmcnt(0)
	v_add_f32_e32 v22, v17, v22
	s_or_b32 exec_lo, exec_lo, s0
	s_and_saveexec_b32 s0, vcc_lo
	s_cbranch_execz .LBB119_119
.LBB119_192:
	v_lshl_add_u32 v17, v21, 2, v12
	ds_load_b32 v17, v17 offset:352
	s_waitcnt lgkmcnt(0)
	v_add_f32_e32 v15, v17, v15
	s_or_b32 exec_lo, exec_lo, s0
	s_and_saveexec_b32 s0, vcc_lo
	s_cbranch_execz .LBB119_120
.LBB119_193:
	v_lshl_add_u32 v17, v21, 2, v12
	ds_load_b32 v17, v17 offset:384
	s_waitcnt lgkmcnt(0)
	v_add_f32_e32 v20, v17, v20
	s_or_b32 exec_lo, exec_lo, s0
	s_and_saveexec_b32 s0, vcc_lo
	s_cbranch_execz .LBB119_121
.LBB119_194:
	v_lshl_add_u32 v17, v21, 2, v12
	ds_load_b32 v17, v17 offset:416
	s_waitcnt lgkmcnt(0)
	v_add_f32_e32 v11, v17, v11
	s_or_b32 exec_lo, exec_lo, s0
	s_and_saveexec_b32 s0, vcc_lo
	s_cbranch_execz .LBB119_122
.LBB119_195:
	v_lshl_add_u32 v17, v21, 2, v12
	ds_load_b32 v17, v17 offset:448
	s_waitcnt lgkmcnt(0)
	v_add_f32_e32 v8, v17, v8
	s_or_b32 exec_lo, exec_lo, s0
	s_and_saveexec_b32 s0, vcc_lo
	s_cbranch_execz .LBB119_123
.LBB119_196:
	v_lshl_add_u32 v17, v21, 2, v12
	ds_load_b32 v17, v17 offset:480
	s_waitcnt lgkmcnt(0)
	v_add_f32_e32 v36, v17, v36
	s_or_b32 exec_lo, exec_lo, s0
	s_and_saveexec_b32 s0, vcc_lo
	s_cbranch_execz .LBB119_124
.LBB119_197:
	v_lshl_add_u32 v17, v21, 2, v12
	ds_load_b32 v17, v17 offset:512
	s_waitcnt lgkmcnt(0)
	v_add_f32_e32 v35, v17, v35
	s_or_b32 exec_lo, exec_lo, s0
	s_and_saveexec_b32 s0, vcc_lo
	s_cbranch_execz .LBB119_125
.LBB119_198:
	v_lshl_add_u32 v17, v21, 2, v12
	ds_load_b32 v17, v17 offset:544
	s_waitcnt lgkmcnt(0)
	v_add_f32_e32 v34, v17, v34
	s_or_b32 exec_lo, exec_lo, s0
	s_and_saveexec_b32 s0, vcc_lo
	s_cbranch_execz .LBB119_126
.LBB119_199:
	v_lshl_add_u32 v17, v21, 2, v12
	ds_load_b32 v17, v17 offset:576
	s_waitcnt lgkmcnt(0)
	v_add_f32_e32 v33, v17, v33
	s_or_b32 exec_lo, exec_lo, s0
	s_and_saveexec_b32 s0, vcc_lo
	s_cbranch_execz .LBB119_127
.LBB119_200:
	v_lshl_add_u32 v17, v21, 2, v12
	ds_load_b32 v17, v17 offset:608
	s_waitcnt lgkmcnt(0)
	v_add_f32_e32 v32, v17, v32
	s_or_b32 exec_lo, exec_lo, s0
	s_and_saveexec_b32 s0, vcc_lo
	s_cbranch_execz .LBB119_128
.LBB119_201:
	v_lshl_add_u32 v17, v21, 2, v12
	ds_load_b32 v17, v17 offset:640
	s_waitcnt lgkmcnt(0)
	v_add_f32_e32 v31, v17, v31
	s_or_b32 exec_lo, exec_lo, s0
	s_and_saveexec_b32 s0, vcc_lo
	s_cbranch_execz .LBB119_129
.LBB119_202:
	v_lshl_add_u32 v17, v21, 2, v12
	ds_load_b32 v17, v17 offset:672
	s_waitcnt lgkmcnt(0)
	v_add_f32_e32 v30, v17, v30
	s_or_b32 exec_lo, exec_lo, s0
	s_and_saveexec_b32 s0, vcc_lo
	s_cbranch_execz .LBB119_130
.LBB119_203:
	v_lshl_add_u32 v17, v21, 2, v12
	ds_load_b32 v17, v17 offset:704
	s_waitcnt lgkmcnt(0)
	v_add_f32_e32 v29, v17, v29
	s_or_b32 exec_lo, exec_lo, s0
	s_and_saveexec_b32 s0, vcc_lo
	s_cbranch_execz .LBB119_131
.LBB119_204:
	v_lshl_add_u32 v17, v21, 2, v12
	ds_load_b32 v17, v17 offset:736
	s_waitcnt lgkmcnt(0)
	v_add_f32_e32 v28, v17, v28
	s_or_b32 exec_lo, exec_lo, s0
	s_and_saveexec_b32 s0, vcc_lo
	s_cbranch_execz .LBB119_132
.LBB119_205:
	v_lshl_add_u32 v17, v21, 2, v12
	ds_load_b32 v17, v17 offset:768
	s_waitcnt lgkmcnt(0)
	v_add_f32_e32 v27, v17, v27
	s_or_b32 exec_lo, exec_lo, s0
	s_and_saveexec_b32 s0, vcc_lo
	s_cbranch_execz .LBB119_133
.LBB119_206:
	v_lshl_add_u32 v17, v21, 2, v12
	ds_load_b32 v17, v17 offset:800
	s_waitcnt lgkmcnt(0)
	v_add_f32_e32 v26, v17, v26
	s_or_b32 exec_lo, exec_lo, s0
	s_and_saveexec_b32 s0, vcc_lo
	s_cbranch_execz .LBB119_134
.LBB119_207:
	v_lshl_add_u32 v17, v21, 2, v12
	ds_load_b32 v17, v17 offset:832
	s_waitcnt lgkmcnt(0)
	v_add_f32_e32 v25, v17, v25
	s_or_b32 exec_lo, exec_lo, s0
	s_and_saveexec_b32 s0, vcc_lo
	s_cbranch_execz .LBB119_135
.LBB119_208:
	v_lshl_add_u32 v17, v21, 2, v12
	ds_load_b32 v17, v17 offset:864
	s_waitcnt lgkmcnt(0)
	v_add_f32_e32 v24, v17, v24
	s_or_b32 exec_lo, exec_lo, s0
	s_and_saveexec_b32 s0, vcc_lo
	s_cbranch_execz .LBB119_136
.LBB119_209:
	v_lshl_add_u32 v17, v21, 2, v12
	ds_load_b32 v17, v17 offset:896
	s_waitcnt lgkmcnt(0)
	v_add_f32_e32 v19, v17, v19
	s_or_b32 exec_lo, exec_lo, s0
	s_and_saveexec_b32 s0, vcc_lo
	s_cbranch_execz .LBB119_137
.LBB119_210:
	v_lshl_add_u32 v17, v21, 2, v12
	ds_load_b32 v17, v17 offset:928
	s_waitcnt lgkmcnt(0)
	v_add_f32_e32 v16, v17, v16
	s_or_b32 exec_lo, exec_lo, s0
	s_and_saveexec_b32 s0, vcc_lo
	s_cbranch_execz .LBB119_138
.LBB119_211:
	v_lshl_add_u32 v17, v21, 2, v12
	ds_load_b32 v17, v17 offset:960
	s_waitcnt lgkmcnt(0)
	v_add_f32_e32 v18, v17, v18
	s_or_b32 exec_lo, exec_lo, s0
	s_and_saveexec_b32 s0, vcc_lo
	s_cbranch_execnz .LBB119_139
	s_branch .LBB119_140
.LBB119_212:
	ds_load_b32 v21, v12
	s_waitcnt lgkmcnt(0)
	v_add_f32_e32 v14, v21, v14
	s_or_b32 exec_lo, exec_lo, s0
	s_and_saveexec_b32 s0, vcc_lo
	s_cbranch_execz .LBB119_146
.LBB119_213:
	ds_load_b32 v21, v12 offset:32
	s_waitcnt lgkmcnt(0)
	v_add_f32_e32 v9, v21, v9
	s_or_b32 exec_lo, exec_lo, s0
	s_and_saveexec_b32 s0, vcc_lo
	s_cbranch_execz .LBB119_147
.LBB119_214:
	ds_load_b32 v21, v12 offset:64
	s_waitcnt lgkmcnt(0)
	v_add_f32_e32 v10, v21, v10
	s_or_b32 exec_lo, exec_lo, s0
	s_and_saveexec_b32 s0, vcc_lo
	s_cbranch_execz .LBB119_148
.LBB119_215:
	ds_load_b32 v21, v12 offset:96
	s_waitcnt lgkmcnt(0)
	v_add_f32_e32 v7, v21, v7
	s_or_b32 exec_lo, exec_lo, s0
	s_and_saveexec_b32 s0, vcc_lo
	s_cbranch_execz .LBB119_149
.LBB119_216:
	ds_load_b32 v21, v12 offset:128
	s_waitcnt lgkmcnt(0)
	v_add_f32_e32 v6, v21, v6
	s_or_b32 exec_lo, exec_lo, s0
	s_and_saveexec_b32 s0, vcc_lo
	s_cbranch_execz .LBB119_150
.LBB119_217:
	ds_load_b32 v21, v12 offset:160
	s_waitcnt lgkmcnt(0)
	v_add_f32_e32 v3, v21, v3
	s_or_b32 exec_lo, exec_lo, s0
	s_and_saveexec_b32 s0, vcc_lo
	s_cbranch_execz .LBB119_151
.LBB119_218:
	ds_load_b32 v21, v12 offset:192
	s_waitcnt lgkmcnt(0)
	v_add_f32_e32 v2, v21, v2
	s_or_b32 exec_lo, exec_lo, s0
	s_and_saveexec_b32 s0, vcc_lo
	s_cbranch_execz .LBB119_152
.LBB119_219:
	ds_load_b32 v21, v12 offset:224
	s_waitcnt lgkmcnt(0)
	v_add_f32_e32 v1, v21, v1
	s_or_b32 exec_lo, exec_lo, s0
	s_and_saveexec_b32 s0, vcc_lo
	s_cbranch_execz .LBB119_153
.LBB119_220:
	ds_load_b32 v21, v12 offset:256
	s_waitcnt lgkmcnt(0)
	v_add_f32_e32 v0, v21, v0
	s_or_b32 exec_lo, exec_lo, s0
	s_and_saveexec_b32 s0, vcc_lo
	s_cbranch_execz .LBB119_154
.LBB119_221:
	ds_load_b32 v21, v12 offset:288
	s_waitcnt lgkmcnt(0)
	v_add_f32_e32 v23, v21, v23
	s_or_b32 exec_lo, exec_lo, s0
	s_and_saveexec_b32 s0, vcc_lo
	s_cbranch_execz .LBB119_155
.LBB119_222:
	ds_load_b32 v21, v12 offset:320
	s_waitcnt lgkmcnt(0)
	v_add_f32_e32 v22, v21, v22
	s_or_b32 exec_lo, exec_lo, s0
	s_and_saveexec_b32 s0, vcc_lo
	s_cbranch_execz .LBB119_156
.LBB119_223:
	ds_load_b32 v21, v12 offset:352
	s_waitcnt lgkmcnt(0)
	v_add_f32_e32 v15, v21, v15
	s_or_b32 exec_lo, exec_lo, s0
	s_and_saveexec_b32 s0, vcc_lo
	s_cbranch_execz .LBB119_157
.LBB119_224:
	ds_load_b32 v21, v12 offset:384
	s_waitcnt lgkmcnt(0)
	v_add_f32_e32 v20, v21, v20
	s_or_b32 exec_lo, exec_lo, s0
	s_and_saveexec_b32 s0, vcc_lo
	s_cbranch_execz .LBB119_158
.LBB119_225:
	ds_load_b32 v21, v12 offset:416
	s_waitcnt lgkmcnt(0)
	v_add_f32_e32 v11, v21, v11
	s_or_b32 exec_lo, exec_lo, s0
	s_and_saveexec_b32 s0, vcc_lo
	s_cbranch_execz .LBB119_159
.LBB119_226:
	ds_load_b32 v21, v12 offset:448
	s_waitcnt lgkmcnt(0)
	v_add_f32_e32 v8, v21, v8
	s_or_b32 exec_lo, exec_lo, s0
	s_and_saveexec_b32 s0, vcc_lo
	s_cbranch_execz .LBB119_160
.LBB119_227:
	ds_load_b32 v21, v12 offset:480
	s_waitcnt lgkmcnt(0)
	v_add_f32_e32 v36, v21, v36
	s_or_b32 exec_lo, exec_lo, s0
	s_and_saveexec_b32 s0, vcc_lo
	s_cbranch_execz .LBB119_161
.LBB119_228:
	ds_load_b32 v21, v12 offset:512
	s_waitcnt lgkmcnt(0)
	v_add_f32_e32 v35, v21, v35
	s_or_b32 exec_lo, exec_lo, s0
	s_and_saveexec_b32 s0, vcc_lo
	s_cbranch_execz .LBB119_162
.LBB119_229:
	ds_load_b32 v21, v12 offset:544
	s_waitcnt lgkmcnt(0)
	v_add_f32_e32 v34, v21, v34
	s_or_b32 exec_lo, exec_lo, s0
	s_and_saveexec_b32 s0, vcc_lo
	s_cbranch_execz .LBB119_163
.LBB119_230:
	ds_load_b32 v21, v12 offset:576
	s_waitcnt lgkmcnt(0)
	v_add_f32_e32 v33, v21, v33
	s_or_b32 exec_lo, exec_lo, s0
	s_and_saveexec_b32 s0, vcc_lo
	s_cbranch_execz .LBB119_164
.LBB119_231:
	ds_load_b32 v21, v12 offset:608
	s_waitcnt lgkmcnt(0)
	v_add_f32_e32 v32, v21, v32
	s_or_b32 exec_lo, exec_lo, s0
	s_and_saveexec_b32 s0, vcc_lo
	s_cbranch_execz .LBB119_165
.LBB119_232:
	ds_load_b32 v21, v12 offset:640
	s_waitcnt lgkmcnt(0)
	v_add_f32_e32 v31, v21, v31
	s_or_b32 exec_lo, exec_lo, s0
	s_and_saveexec_b32 s0, vcc_lo
	s_cbranch_execz .LBB119_166
.LBB119_233:
	ds_load_b32 v21, v12 offset:672
	s_waitcnt lgkmcnt(0)
	v_add_f32_e32 v30, v21, v30
	s_or_b32 exec_lo, exec_lo, s0
	s_and_saveexec_b32 s0, vcc_lo
	s_cbranch_execz .LBB119_167
.LBB119_234:
	ds_load_b32 v21, v12 offset:704
	s_waitcnt lgkmcnt(0)
	v_add_f32_e32 v29, v21, v29
	s_or_b32 exec_lo, exec_lo, s0
	s_and_saveexec_b32 s0, vcc_lo
	s_cbranch_execz .LBB119_168
.LBB119_235:
	ds_load_b32 v21, v12 offset:736
	s_waitcnt lgkmcnt(0)
	v_add_f32_e32 v28, v21, v28
	s_or_b32 exec_lo, exec_lo, s0
	s_and_saveexec_b32 s0, vcc_lo
	s_cbranch_execz .LBB119_169
.LBB119_236:
	ds_load_b32 v21, v12 offset:768
	s_waitcnt lgkmcnt(0)
	v_add_f32_e32 v27, v21, v27
	s_or_b32 exec_lo, exec_lo, s0
	s_and_saveexec_b32 s0, vcc_lo
	s_cbranch_execz .LBB119_170
.LBB119_237:
	ds_load_b32 v21, v12 offset:800
	s_waitcnt lgkmcnt(0)
	v_add_f32_e32 v26, v21, v26
	s_or_b32 exec_lo, exec_lo, s0
	s_and_saveexec_b32 s0, vcc_lo
	s_cbranch_execz .LBB119_171
.LBB119_238:
	ds_load_b32 v21, v12 offset:832
	s_waitcnt lgkmcnt(0)
	v_add_f32_e32 v25, v21, v25
	s_or_b32 exec_lo, exec_lo, s0
	s_and_saveexec_b32 s0, vcc_lo
	s_cbranch_execz .LBB119_172
.LBB119_239:
	ds_load_b32 v21, v12 offset:864
	s_waitcnt lgkmcnt(0)
	v_add_f32_e32 v24, v21, v24
	s_or_b32 exec_lo, exec_lo, s0
	s_and_saveexec_b32 s0, vcc_lo
	s_cbranch_execz .LBB119_173
.LBB119_240:
	ds_load_b32 v21, v12 offset:896
	s_waitcnt lgkmcnt(0)
	v_add_f32_e32 v19, v21, v19
	s_or_b32 exec_lo, exec_lo, s0
	s_and_saveexec_b32 s0, vcc_lo
	s_cbranch_execz .LBB119_174
.LBB119_241:
	ds_load_b32 v21, v12 offset:928
	s_waitcnt lgkmcnt(0)
	v_add_f32_e32 v16, v21, v16
	s_or_b32 exec_lo, exec_lo, s0
	s_and_saveexec_b32 s0, vcc_lo
	s_cbranch_execz .LBB119_175
.LBB119_242:
	ds_load_b32 v21, v12 offset:960
	s_waitcnt lgkmcnt(0)
	v_add_f32_e32 v18, v21, v18
	s_or_b32 exec_lo, exec_lo, s0
	s_and_saveexec_b32 s0, vcc_lo
	s_cbranch_execnz .LBB119_176
	s_branch .LBB119_177
.Lfunc_end119:
	.size	_ZN4vllm22paged_attention_kernelIttLi256ELi32ELi128ELNS_18Fp8KVCacheDataTypeE0ELb1ELi512EEEvPfS2_PT_PKS3_PKT0_S9_ifPKiSB_iPKfiiiSD_SD_iiiii, .Lfunc_end119-_ZN4vllm22paged_attention_kernelIttLi256ELi32ELi128ELNS_18Fp8KVCacheDataTypeE0ELb1ELi512EEEvPfS2_PT_PKS3_PKT0_S9_ifPKiSB_iPKfiiiSD_SD_iiiii
                                        ; -- End function
	.section	.AMDGPU.csdata,"",@progbits
; Function info:
; codeLenInByte = 40812
; NumSgprs: 35
; NumVgprs: 192
; ScratchSize: 328
; MemoryBound: 0
	.section	.text._ZN4vllm25paged_attention_v2_kernelIttLi256ELi32ELi128ELNS_18Fp8KVCacheDataTypeE0ELb1ELi512EEEvPfS2_PT_PKS3_PKT0_S9_ifPKiSB_iPKfiiiSD_SD_iiiii,"axG",@progbits,_ZN4vllm25paged_attention_v2_kernelIttLi256ELi32ELi128ELNS_18Fp8KVCacheDataTypeE0ELb1ELi512EEEvPfS2_PT_PKS3_PKT0_S9_ifPKiSB_iPKfiiiSD_SD_iiiii,comdat
	.protected	_ZN4vllm25paged_attention_v2_kernelIttLi256ELi32ELi128ELNS_18Fp8KVCacheDataTypeE0ELb1ELi512EEEvPfS2_PT_PKS3_PKT0_S9_ifPKiSB_iPKfiiiSD_SD_iiiii ; -- Begin function _ZN4vllm25paged_attention_v2_kernelIttLi256ELi32ELi128ELNS_18Fp8KVCacheDataTypeE0ELb1ELi512EEEvPfS2_PT_PKS3_PKT0_S9_ifPKiSB_iPKfiiiSD_SD_iiiii
	.globl	_ZN4vllm25paged_attention_v2_kernelIttLi256ELi32ELi128ELNS_18Fp8KVCacheDataTypeE0ELb1ELi512EEEvPfS2_PT_PKS3_PKT0_S9_ifPKiSB_iPKfiiiSD_SD_iiiii
	.p2align	8
	.type	_ZN4vllm25paged_attention_v2_kernelIttLi256ELi32ELi128ELNS_18Fp8KVCacheDataTypeE0ELb1ELi512EEEvPfS2_PT_PKS3_PKT0_S9_ifPKiSB_iPKfiiiSD_SD_iiiii,@function
_ZN4vllm25paged_attention_v2_kernelIttLi256ELi32ELi128ELNS_18Fp8KVCacheDataTypeE0ELb1ELi512EEEvPfS2_PT_PKS3_PKT0_S9_ifPKiSB_iPKfiiiSD_SD_iiiii: ; @_ZN4vllm25paged_attention_v2_kernelIttLi256ELi32ELi128ELNS_18Fp8KVCacheDataTypeE0ELb1ELi512EEEvPfS2_PT_PKS3_PKT0_S9_ifPKiSB_iPKfiiiSD_SD_iiiii
; %bb.0:
	s_mov_b32 s12, s13
	s_clause 0x7
	s_load_b256 s[24:31], s[0:1], 0x0
	s_load_b256 s[16:23], s[0:1], 0x20
	s_load_b64 s[2:3], s[0:1], 0x40
	s_load_b64 s[10:11], s[0:1], 0x50
	s_load_b32 s13, s[0:1], 0x48
	s_load_b32 s33, s[0:1], 0x88
	s_load_b128 s[36:39], s[0:1], 0x58
	s_load_b128 s[4:7], s[0:1], 0x78
	v_mov_b32_e32 v31, v0
	s_add_u32 s8, s0, 0x90
	s_addc_u32 s9, s1, 0
	s_mov_b32 s32, 0
	s_getpc_b64 s[0:1]
	s_add_u32 s0, s0, _ZN4vllm22paged_attention_kernelIttLi256ELi32ELi128ELNS_18Fp8KVCacheDataTypeE0ELb1ELi512EEEvPfS2_PT_PKS3_PKT0_S9_ifPKiSB_iPKfiiiSD_SD_iiiii@rel32@lo+4
	s_addc_u32 s1, s1, _ZN4vllm22paged_attention_kernelIttLi256ELi32ELi128ELNS_18Fp8KVCacheDataTypeE0ELb1ELi512EEEvPfS2_PT_PKS3_PKT0_S9_ifPKiSB_iPKfiiiSD_SD_iiiii@rel32@hi+12
	s_waitcnt lgkmcnt(0)
	v_dual_mov_b32 v0, s24 :: v_dual_mov_b32 v1, s25
	v_dual_mov_b32 v2, s26 :: v_dual_mov_b32 v3, s27
	;; [unrolled: 1-line block ×14, first 2 shown]
	v_mov_b32_e32 v28, s33
	s_mov_b32 s13, s14
	s_mov_b32 s14, s15
	s_movk_i32 s15, 0x76
	s_swappc_b64 s[30:31], s[0:1]
	s_endpgm
	.section	.rodata,"a",@progbits
	.p2align	6, 0x0
	.amdhsa_kernel _ZN4vllm25paged_attention_v2_kernelIttLi256ELi32ELi128ELNS_18Fp8KVCacheDataTypeE0ELb1ELi512EEEvPfS2_PT_PKS3_PKT0_S9_ifPKiSB_iPKfiiiSD_SD_iiiii
		.amdhsa_group_segment_fixed_size 544
		.amdhsa_private_segment_fixed_size 328
		.amdhsa_kernarg_size 400
		.amdhsa_user_sgpr_count 13
		.amdhsa_user_sgpr_dispatch_ptr 0
		.amdhsa_user_sgpr_queue_ptr 0
		.amdhsa_user_sgpr_kernarg_segment_ptr 1
		.amdhsa_user_sgpr_dispatch_id 0
		.amdhsa_user_sgpr_private_segment_size 0
		.amdhsa_wavefront_size32 1
		.amdhsa_uses_dynamic_stack 0
		.amdhsa_enable_private_segment 1
		.amdhsa_system_sgpr_workgroup_id_x 1
		.amdhsa_system_sgpr_workgroup_id_y 1
		.amdhsa_system_sgpr_workgroup_id_z 1
		.amdhsa_system_sgpr_workgroup_info 0
		.amdhsa_system_vgpr_workitem_id 0
		.amdhsa_next_free_vgpr 192
		.amdhsa_next_free_sgpr 40
		.amdhsa_reserve_vcc 1
		.amdhsa_float_round_mode_32 0
		.amdhsa_float_round_mode_16_64 0
		.amdhsa_float_denorm_mode_32 3
		.amdhsa_float_denorm_mode_16_64 3
		.amdhsa_dx10_clamp 1
		.amdhsa_ieee_mode 1
		.amdhsa_fp16_overflow 0
		.amdhsa_workgroup_processor_mode 1
		.amdhsa_memory_ordered 1
		.amdhsa_forward_progress 0
		.amdhsa_shared_vgpr_count 0
		.amdhsa_exception_fp_ieee_invalid_op 0
		.amdhsa_exception_fp_denorm_src 0
		.amdhsa_exception_fp_ieee_div_zero 0
		.amdhsa_exception_fp_ieee_overflow 0
		.amdhsa_exception_fp_ieee_underflow 0
		.amdhsa_exception_fp_ieee_inexact 0
		.amdhsa_exception_int_div_zero 0
	.end_amdhsa_kernel
	.section	.text._ZN4vllm25paged_attention_v2_kernelIttLi256ELi32ELi128ELNS_18Fp8KVCacheDataTypeE0ELb1ELi512EEEvPfS2_PT_PKS3_PKT0_S9_ifPKiSB_iPKfiiiSD_SD_iiiii,"axG",@progbits,_ZN4vllm25paged_attention_v2_kernelIttLi256ELi32ELi128ELNS_18Fp8KVCacheDataTypeE0ELb1ELi512EEEvPfS2_PT_PKS3_PKT0_S9_ifPKiSB_iPKfiiiSD_SD_iiiii,comdat
.Lfunc_end120:
	.size	_ZN4vllm25paged_attention_v2_kernelIttLi256ELi32ELi128ELNS_18Fp8KVCacheDataTypeE0ELb1ELi512EEEvPfS2_PT_PKS3_PKT0_S9_ifPKiSB_iPKfiiiSD_SD_iiiii, .Lfunc_end120-_ZN4vllm25paged_attention_v2_kernelIttLi256ELi32ELi128ELNS_18Fp8KVCacheDataTypeE0ELb1ELi512EEEvPfS2_PT_PKS3_PKT0_S9_ifPKiSB_iPKfiiiSD_SD_iiiii
                                        ; -- End function
	.section	.AMDGPU.csdata,"",@progbits
; Kernel info:
; codeLenInByte = 252
; NumSgprs: 42
; NumVgprs: 192
; ScratchSize: 328
; MemoryBound: 0
; FloatMode: 240
; IeeeMode: 1
; LDSByteSize: 544 bytes/workgroup (compile time only)
; SGPRBlocks: 5
; VGPRBlocks: 23
; NumSGPRsForWavesPerEU: 42
; NumVGPRsForWavesPerEU: 192
; Occupancy: 8
; WaveLimiterHint : 1
; COMPUTE_PGM_RSRC2:SCRATCH_EN: 1
; COMPUTE_PGM_RSRC2:USER_SGPR: 13
; COMPUTE_PGM_RSRC2:TRAP_HANDLER: 0
; COMPUTE_PGM_RSRC2:TGID_X_EN: 1
; COMPUTE_PGM_RSRC2:TGID_Y_EN: 1
; COMPUTE_PGM_RSRC2:TGID_Z_EN: 1
; COMPUTE_PGM_RSRC2:TIDIG_COMP_CNT: 0
	.section	.text._ZN4vllm25paged_attention_v2_kernelIttLi32ELi32ELi128ELNS_18Fp8KVCacheDataTypeE0ELb0ELi512EEEvPfS2_PT_PKS3_PKT0_S9_ifPKiSB_iPKfiiiSD_SD_iiiii,"axG",@progbits,_ZN4vllm25paged_attention_v2_kernelIttLi32ELi32ELi128ELNS_18Fp8KVCacheDataTypeE0ELb0ELi512EEEvPfS2_PT_PKS3_PKT0_S9_ifPKiSB_iPKfiiiSD_SD_iiiii,comdat
	.protected	_ZN4vllm25paged_attention_v2_kernelIttLi32ELi32ELi128ELNS_18Fp8KVCacheDataTypeE0ELb0ELi512EEEvPfS2_PT_PKS3_PKT0_S9_ifPKiSB_iPKfiiiSD_SD_iiiii ; -- Begin function _ZN4vllm25paged_attention_v2_kernelIttLi32ELi32ELi128ELNS_18Fp8KVCacheDataTypeE0ELb0ELi512EEEvPfS2_PT_PKS3_PKT0_S9_ifPKiSB_iPKfiiiSD_SD_iiiii
	.globl	_ZN4vllm25paged_attention_v2_kernelIttLi32ELi32ELi128ELNS_18Fp8KVCacheDataTypeE0ELb0ELi512EEEvPfS2_PT_PKS3_PKT0_S9_ifPKiSB_iPKfiiiSD_SD_iiiii
	.p2align	8
	.type	_ZN4vllm25paged_attention_v2_kernelIttLi32ELi32ELi128ELNS_18Fp8KVCacheDataTypeE0ELb0ELi512EEEvPfS2_PT_PKS3_PKT0_S9_ifPKiSB_iPKfiiiSD_SD_iiiii,@function
_ZN4vllm25paged_attention_v2_kernelIttLi32ELi32ELi128ELNS_18Fp8KVCacheDataTypeE0ELb0ELi512EEEvPfS2_PT_PKS3_PKT0_S9_ifPKiSB_iPKfiiiSD_SD_iiiii: ; @_ZN4vllm25paged_attention_v2_kernelIttLi32ELi32ELi128ELNS_18Fp8KVCacheDataTypeE0ELb0ELi512EEEvPfS2_PT_PKS3_PKT0_S9_ifPKiSB_iPKfiiiSD_SD_iiiii
; %bb.0:
	s_load_b64 s[2:3], s[0:1], 0x40
	s_mov_b32 s12, s15
	s_ashr_i32 s15, s14, 31
	s_delay_alu instid0(SALU_CYCLE_1)
	s_lshl_b64 s[4:5], s[14:15], 2
	s_waitcnt lgkmcnt(0)
	s_add_u32 s2, s2, s4
	s_addc_u32 s3, s3, s5
	s_lshl_b32 s29, s12, 9
	s_load_b32 s28, s[2:3], 0x0
	s_waitcnt lgkmcnt(0)
	s_cmp_ge_i32 s29, s28
	s_cbranch_scc1 .LBB121_58
; %bb.1:
	s_mov_b32 s20, s13
	s_clause 0x1
	s_load_b32 s13, s[0:1], 0x90
	s_load_b64 s[2:3], s[0:1], 0x30
	s_mov_b32 s30, 0
	s_waitcnt lgkmcnt(0)
	s_abs_i32 s7, s13
	s_abs_i32 s4, s2
	s_xor_b32 s2, s13, s2
	v_cvt_f32_u32_e32 v1, s4
	s_sub_i32 s6, 0, s4
	s_ashr_i32 s2, s2, 31
	s_delay_alu instid0(VALU_DEP_1) | instskip(SKIP_2) | instid1(VALU_DEP_1)
	v_rcp_iflag_f32_e32 v1, v1
	s_waitcnt_depctr 0xfff
	v_mul_f32_e32 v1, 0x4f7ffffe, v1
	v_cvt_u32_f32_e32 v1, v1
	s_delay_alu instid0(VALU_DEP_1) | instskip(NEXT) | instid1(VALU_DEP_1)
	v_readfirstlane_b32 s5, v1
	s_mul_i32 s6, s6, s5
	s_delay_alu instid0(SALU_CYCLE_1) | instskip(NEXT) | instid1(SALU_CYCLE_1)
	s_mul_hi_u32 s6, s5, s6
	s_add_i32 s5, s5, s6
	s_delay_alu instid0(SALU_CYCLE_1) | instskip(NEXT) | instid1(SALU_CYCLE_1)
	s_mul_hi_u32 s5, s7, s5
	s_mul_i32 s6, s5, s4
	s_delay_alu instid0(SALU_CYCLE_1)
	s_sub_i32 s6, s7, s6
	s_add_i32 s7, s5, 1
	s_sub_i32 s8, s6, s4
	s_cmp_ge_u32 s6, s4
	s_cselect_b32 s5, s7, s5
	s_cselect_b32 s6, s8, s6
	s_add_i32 s7, s5, 1
	s_cmp_ge_u32 s6, s4
	s_cselect_b32 s4, s7, s5
	s_abs_i32 s27, s20
	s_xor_b32 s4, s4, s2
	s_delay_alu instid0(SALU_CYCLE_1) | instskip(SKIP_2) | instid1(SALU_CYCLE_1)
	s_sub_i32 s8, s4, s2
	s_load_b64 s[4:5], s[0:1], 0x50
	s_abs_i32 s2, s8
	v_cvt_f32_u32_e32 v1, s2
	s_sub_i32 s7, 0, s2
	s_delay_alu instid0(VALU_DEP_1) | instskip(SKIP_2) | instid1(VALU_DEP_1)
	v_rcp_iflag_f32_e32 v1, v1
	s_waitcnt_depctr 0xfff
	v_mul_f32_e32 v1, 0x4f7ffffe, v1
	v_cvt_u32_f32_e32 v1, v1
	s_delay_alu instid0(VALU_DEP_1) | instskip(NEXT) | instid1(VALU_DEP_1)
	v_readfirstlane_b32 s6, v1
	s_mul_i32 s7, s7, s6
	s_delay_alu instid0(SALU_CYCLE_1) | instskip(NEXT) | instid1(SALU_CYCLE_1)
	s_mul_hi_u32 s7, s6, s7
	s_add_i32 s6, s6, s7
	s_waitcnt lgkmcnt(0)
	s_cmp_eq_u64 s[4:5], 0
	s_mul_hi_u32 s26, s27, s6
	s_cbranch_scc1 .LBB121_3
; %bb.2:
	s_ashr_i32 s21, s20, 31
	s_delay_alu instid0(SALU_CYCLE_1) | instskip(NEXT) | instid1(SALU_CYCLE_1)
	s_lshl_b64 s[6:7], s[20:21], 2
	s_add_u32 s4, s4, s6
	s_addc_u32 s5, s5, s7
	s_load_b32 s30, s[4:5], 0x0
.LBB121_3:
	s_clause 0x1
	s_load_b64 s[22:23], s[0:1], 0x38
	s_load_b128 s[4:7], s[0:1], 0x58
	v_lshlrev_b32_e32 v3, 4, v0
	s_waitcnt lgkmcnt(0)
	s_ashr_i32 s7, s20, 31
	s_ashr_i32 s31, s8, 31
	s_lshl_b32 s16, s20, 5
	s_mov_b32 s8, exec_lo
	v_cmpx_gt_u32_e32 4, v0
	s_cbranch_execz .LBB121_5
; %bb.4:
	s_load_b64 s[10:11], s[0:1], 0x18
	s_mul_i32 s18, s14, s4
	s_delay_alu instid0(SALU_CYCLE_1) | instskip(NEXT) | instid1(SALU_CYCLE_1)
	s_ashr_i32 s19, s18, 31
	s_lshl_b64 s[18:19], s[18:19], 1
	s_waitcnt lgkmcnt(0)
	s_add_u32 s4, s10, s18
	s_addc_u32 s9, s11, s19
	s_ashr_i32 s17, s16, 31
	s_delay_alu instid0(SALU_CYCLE_1) | instskip(NEXT) | instid1(SALU_CYCLE_1)
	s_lshl_b64 s[10:11], s[16:17], 1
	s_add_u32 s10, s4, s10
	s_addc_u32 s11, s9, s11
	global_load_b128 v[4:7], v3, s[10:11]
	s_waitcnt vmcnt(0)
	ds_store_b128 v3, v[4:7]
.LBB121_5:
	s_or_b32 exec_lo, exec_lo, s8
	s_add_i32 s4, s28, 31
	s_clause 0x1
	s_load_b128 s[8:11], s[0:1], 0x0
	s_load_b64 s[18:19], s[0:1], 0x10
	s_ashr_i32 s15, s4, 31
	s_mul_i32 s34, s26, s2
	s_lshr_b32 s17, s15, 27
	s_lshl_b32 s15, s12, 4
	s_add_i32 s4, s4, s17
	s_load_b64 s[24:25], s[0:1], 0x28
	s_ashr_i32 s21, s4, 5
	s_clause 0x1
	s_load_b32 s4, s[0:1], 0x98
	s_load_b32 s33, s[0:1], 0x48
	s_add_i32 s17, s15, 16
	s_sub_i32 s27, s27, s34
	s_min_i32 s17, s17, s21
	s_xor_b32 s7, s7, s31
	s_add_i32 s31, s26, 1
	s_sub_i32 s34, s27, s2
	s_cmp_ge_u32 s27, s2
	v_lshrrev_b32_e32 v10, 5, v0
	s_cselect_b32 s26, s31, s26
	s_cselect_b32 s27, s34, s27
	s_add_i32 s31, s26, 1
	s_cmp_ge_u32 s27, s2
	v_dual_mov_b32 v8, 0xff7fffff :: v_dual_add_nc_u32 v5, s15, v10
	v_and_b32_e32 v11, 31, v0
	s_cselect_b32 s2, s31, s26
	v_lshlrev_b32_e32 v4, 5, v10
	s_xor_b32 s2, s2, s7
	v_ashrrev_i32_e32 v6, 31, v5
	s_sub_i32 s7, s2, s7
	v_cmp_gt_i32_e64 s2, s17, v5
	v_lshlrev_b32_e32 v7, 2, v11
	s_waitcnt lgkmcnt(0)
	s_mul_i32 s26, s14, s33
	s_mul_i32 s6, s7, s6
	s_ashr_i32 s27, s26, 31
	s_barrier
	buffer_gl0_inv
	s_and_saveexec_b32 s31, s2
	s_cbranch_execz .LBB121_9
; %bb.6:
	s_load_b64 s[0:1], s[0:1], 0x20
	s_ashr_i32 s7, s6, 31
	v_lshlrev_b64 v[1:2], 2, v[5:6]
	s_lshl_b64 s[34:35], s[6:7], 1
	v_dual_mov_b32 v9, 0 :: v_dual_lshlrev_b32 v14, 4, v11
	v_lshl_or_b32 v13, v10, 7, v7
	v_cmp_neq_f32_e64 vcc_lo, s30, 0
	v_add3_u32 v12, s29, v4, v11
	v_mov_b32_e32 v8, 0xff7fffff
	s_delay_alu instid0(VALU_DEP_4)
	v_dual_mov_b32 v16, v5 :: v_dual_add_nc_u32 v13, 0x60, v13
	s_waitcnt lgkmcnt(0)
	s_add_u32 s33, s0, s34
	s_addc_u32 s34, s1, s35
	s_lshl_b64 s[0:1], s[26:27], 2
	s_sub_i32 s7, 1, s28
	s_add_u32 s0, s22, s0
	v_add_co_u32 v14, s33, s33, v14
	s_addc_u32 s1, s23, s1
	v_add_co_u32 v1, s0, s0, v1
	v_add_co_ci_u32_e64 v15, null, s34, 0, s33
	v_add_co_ci_u32_e64 v2, s0, s1, v2, s0
	s_mov_b32 s34, s5
	s_mov_b32 s33, 0
.LBB121_7:                              ; =>This Inner Loop Header: Depth=1
	global_load_b32 v19, v[1:2], off
	v_add_nc_u32_e32 v16, 4, v16
	s_delay_alu instid0(VALU_DEP_1) | instskip(NEXT) | instid1(VALU_DEP_1)
	v_cmp_le_i32_e64 s1, s17, v16
	s_or_b32 s33, s1, s33
	s_waitcnt vmcnt(0)
	v_mad_i64_i32 v[17:18], null, v19, s34, 0
	s_delay_alu instid0(VALU_DEP_1) | instskip(NEXT) | instid1(VALU_DEP_1)
	v_lshlrev_b64 v[17:18], 1, v[17:18]
	v_add_co_u32 v29, s0, v14, v17
	s_delay_alu instid0(VALU_DEP_1)
	v_add_co_ci_u32_e64 v30, s0, v15, v18, s0
	s_clause 0x3
	global_load_b128 v[17:20], v[29:30], off
	global_load_b128 v[21:24], v[29:30], off offset:512
	global_load_b128 v[25:28], v[29:30], off offset:1024
	;; [unrolled: 1-line block ×3, first 2 shown]
	ds_load_b128 v[33:36], v9
	v_add_co_u32 v1, s0, v1, 16
	s_delay_alu instid0(VALU_DEP_1)
	v_add_co_ci_u32_e64 v2, s0, 0, v2, s0
	v_cmp_gt_i32_e64 s0, s28, v12
	s_waitcnt lgkmcnt(0)
	v_lshrrev_b32_e32 v39, 16, v33
	v_and_b32_e32 v33, 0xffff, v33
	v_lshrrev_b32_e32 v40, 16, v34
	v_and_b32_e32 v34, 0xffff, v34
	;; [unrolled: 2-line block ×4, first 2 shown]
	;;#ASMSTART
	v_cvt_f32_f16 v33, v33;
	;;#ASMEND
	;;#ASMSTART
	v_cvt_f32_f16 v39, v39;
	;;#ASMEND
	s_waitcnt vmcnt(3)
	v_lshrrev_b32_e32 v43, 16, v17
	v_and_b32_e32 v17, 0xffff, v17
	v_lshrrev_b32_e32 v44, 16, v18
	v_and_b32_e32 v18, 0xffff, v18
	v_lshrrev_b32_e32 v45, 16, v19
	v_lshrrev_b32_e32 v46, 16, v20
	v_and_b32_e32 v20, 0xffff, v20
	;;#ASMSTART
	v_cvt_f32_f16 v59, v17;
	;;#ASMEND
	;;#ASMSTART
	v_cvt_f32_f16 v43, v43;
	;;#ASMEND
	;; [unrolled: 3-line block ×5, first 2 shown]
	v_and_b32_e32 v19, 0xffff, v19
	;;#ASMSTART
	v_cvt_f32_f16 v44, v44;
	;;#ASMEND
	;;#ASMSTART
	v_cvt_f32_f16 v35, v35;
	;;#ASMEND
	;; [unrolled: 3-line block ×9, first 2 shown]
	ds_load_b128 v[17:20], v9 offset:16
	s_waitcnt vmcnt(2)
	v_lshrrev_b32_e32 v47, 16, v21
	v_and_b32_e32 v21, 0xffff, v21
	v_lshrrev_b32_e32 v48, 16, v22
	v_lshrrev_b32_e32 v49, 16, v23
	v_and_b32_e32 v23, 0xffff, v23
	v_lshrrev_b32_e32 v50, 16, v24
	s_waitcnt vmcnt(1)
	v_lshrrev_b32_e32 v51, 16, v25
	v_lshrrev_b32_e32 v52, 16, v26
	;; [unrolled: 1-line block ×4, first 2 shown]
	s_waitcnt vmcnt(0)
	v_lshrrev_b32_e32 v55, 16, v29
	v_lshrrev_b32_e32 v56, 16, v30
	;; [unrolled: 1-line block ×4, first 2 shown]
	s_waitcnt lgkmcnt(0)
	v_lshrrev_b32_e32 v63, 16, v17
	v_and_b32_e32 v17, 0xffff, v17
	;;#ASMSTART
	v_cvt_f32_f16 v67, v17;
	;;#ASMEND
	;;#ASMSTART
	v_cvt_f32_f16 v63, v63;
	;;#ASMEND
	;; [unrolled: 3-line block ×4, first 2 shown]
	v_mul_f32_e32 v47, v63, v47
	v_dual_mul_f32 v21, v67, v21 :: v_dual_and_b32 v22, 0xffff, v22
	v_and_b32_e32 v24, 0xffff, v24
	v_lshrrev_b32_e32 v64, 16, v18
	s_delay_alu instid0(VALU_DEP_4)
	v_dual_fmac_f32 v47, v39, v43 :: v_dual_and_b32 v18, 0xffff, v18
	v_lshrrev_b32_e32 v65, 16, v19
	v_and_b32_e32 v19, 0xffff, v19
	v_lshrrev_b32_e32 v66, 16, v20
	v_and_b32_e32 v20, 0xffff, v20
	;;#ASMSTART
	v_cvt_f32_f16 v68, v18;
	;;#ASMEND
	;;#ASMSTART
	v_cvt_f32_f16 v64, v64;
	;;#ASMEND
	v_fmac_f32_e32 v21, v33, v59
	;;#ASMSTART
	v_cvt_f32_f16 v22, v22;
	;;#ASMEND
	;;#ASMSTART
	v_cvt_f32_f16 v48, v48;
	;;#ASMEND
	;; [unrolled: 3-line block ×10, first 2 shown]
	ds_load_b128 v[17:20], v9 offset:32
	v_mul_f32_e32 v48, v64, v48
	v_dual_mul_f32 v22, v68, v22 :: v_dual_add_nc_u32 v37, s7, v12
	v_mul_f32_e32 v23, v69, v23
	v_dual_mul_f32 v49, v65, v49 :: v_dual_mul_f32 v24, v70, v24
	v_mul_f32_e32 v50, v66, v50
	v_fmac_f32_e32 v48, v40, v44
	v_dual_fmac_f32 v22, v34, v60 :: v_dual_and_b32 v25, 0xffff, v25
	v_dual_fmac_f32 v23, v35, v61 :: v_dual_and_b32 v26, 0xffff, v26
	;; [unrolled: 1-line block ×3, first 2 shown]
	v_fmac_f32_e32 v24, v36, v62
	v_fmac_f32_e32 v50, v42, v46
	v_cvt_f32_i32_e32 v37, v37
	v_max_f32_e32 v38, v8, v8
	v_add_nc_u32_e32 v12, 0x80, v12
	s_waitcnt lgkmcnt(0)
	v_lshrrev_b32_e32 v33, 16, v17
	v_lshrrev_b32_e32 v34, 16, v18
	v_mul_f32_e32 v37, s30, v37
	v_and_b32_e32 v17, 0xffff, v17
	v_and_b32_e32 v18, 0xffff, v18
	v_lshrrev_b32_e32 v35, 16, v19
	v_lshrrev_b32_e32 v36, 16, v20
	;;#ASMSTART
	v_cvt_f32_f16 v39, v17;
	;;#ASMEND
	;;#ASMSTART
	v_cvt_f32_f16 v33, v33;
	;;#ASMEND
	;; [unrolled: 3-line block ×7, first 2 shown]
	v_dual_fmac_f32 v22, v41, v26 :: v_dual_and_b32 v27, 0xffff, v27
	;;#ASMSTART
	v_cvt_f32_f16 v42, v52;
	;;#ASMEND
	v_dual_fmac_f32 v48, v34, v42 :: v_dual_and_b32 v29, 0xffff, v29
	v_and_b32_e32 v19, 0xffff, v19
	v_fmac_f32_e32 v47, v33, v40
	v_and_b32_e32 v20, 0xffff, v20
	;;#ASMSTART
	v_cvt_f32_f16 v43, v19;
	;;#ASMEND
	;;#ASMSTART
	v_cvt_f32_f16 v35, v35;
	;;#ASMEND
	;; [unrolled: 3-line block ×8, first 2 shown]
	ds_load_b128 v[17:20], v9 offset:48
	v_dual_fmac_f32 v21, v39, v25 :: v_dual_and_b32 v30, 0xffff, v30
	v_dual_fmac_f32 v23, v43, v27 :: v_dual_and_b32 v32, 0xffff, v32
	;; [unrolled: 1-line block ×3, first 2 shown]
	v_dual_fmac_f32 v49, v35, v44 :: v_dual_fmac_f32 v50, v36, v46
	s_waitcnt lgkmcnt(0)
	v_lshrrev_b32_e32 v25, 16, v17
	v_and_b32_e32 v17, 0xffff, v17
	;;#ASMSTART
	v_cvt_f32_f16 v17, v17;
	;;#ASMEND
	;;#ASMSTART
	v_cvt_f32_f16 v25, v25;
	;;#ASMEND
	;; [unrolled: 3-line block ×4, first 2 shown]
	v_fmac_f32_e32 v21, v17, v29
	v_fmac_f32_e32 v47, v25, v33
	v_lshrrev_b32_e32 v26, 16, v18
	v_and_b32_e32 v18, 0xffff, v18
	;;#ASMSTART
	v_cvt_f32_f16 v18, v18;
	;;#ASMEND
	;;#ASMSTART
	v_cvt_f32_f16 v26, v26;
	;;#ASMEND
	;; [unrolled: 3-line block ×3, first 2 shown]
	s_delay_alu instid0(VALU_DEP_1) | instskip(SKIP_4) | instid1(VALU_DEP_3)
	v_fmac_f32_e32 v22, v18, v30
	v_add_f32_e32 v18, v21, v47
	;;#ASMSTART
	v_cvt_f32_f16 v34, v56;
	;;#ASMEND
	v_fmac_f32_e32 v48, v26, v34
	v_lshrrev_b32_e32 v27, 16, v19
	v_dual_add_f32 v18, v18, v22 :: v_dual_and_b32 v19, 0xffff, v19
	;;#ASMSTART
	v_cvt_f32_f16 v19, v19;
	;;#ASMEND
	;;#ASMSTART
	v_cvt_f32_f16 v27, v27;
	;;#ASMEND
	;; [unrolled: 3-line block ×3, first 2 shown]
	v_lshrrev_b32_e32 v28, 16, v20
	v_dual_fmac_f32 v23, v19, v17 :: v_dual_and_b32 v20, 0xffff, v20
	v_add_f32_e32 v17, v48, v18
	;;#ASMSTART
	v_cvt_f32_f16 v21, v57;
	;;#ASMEND
	;;#ASMSTART
	v_cvt_f32_f16 v20, v20;
	;;#ASMEND
	;; [unrolled: 3-line block ×4, first 2 shown]
	v_dual_fmac_f32 v49, v27, v21 :: v_dual_fmac_f32 v24, v20, v19
	v_add_f32_e32 v17, v17, v23
	;;#ASMSTART
	v_cvt_f32_f16 v19, v58;
	;;#ASMEND
	v_fmac_f32_e32 v50, v18, v19
	v_cndmask_b32_e32 v18, 0, v37, vcc_lo
	s_delay_alu instid0(VALU_DEP_3) | instskip(NEXT) | instid1(VALU_DEP_1)
	v_add_f32_e32 v17, v49, v17
	v_add_f32_e32 v17, v17, v24
	s_delay_alu instid0(VALU_DEP_1) | instskip(NEXT) | instid1(VALU_DEP_1)
	v_add_f32_e32 v17, v50, v17
	v_fmac_f32_e32 v18, s3, v17
	s_delay_alu instid0(VALU_DEP_1)
	v_cndmask_b32_e64 v17, 0, v18, s0
	v_max_f32_e32 v18, v38, v18
	ds_store_b32 v13, v17
	v_cndmask_b32_e64 v8, v8, v18, s0
	v_add_nc_u32_e32 v13, 0x200, v13
	s_and_not1_b32 exec_lo, exec_lo, s33
	s_cbranch_execnz .LBB121_7
; %bb.8:
	s_or_b32 exec_lo, exec_lo, s33
.LBB121_9:
	s_delay_alu instid0(SALU_CYCLE_1) | instskip(SKIP_2) | instid1(VALU_DEP_2)
	s_or_b32 exec_lo, exec_lo, s31
	v_mbcnt_lo_u32_b32 v1, -1, 0
	v_max_f32_e32 v13, v8, v8
	v_xor_b32_e32 v2, 16, v1
	v_xor_b32_e32 v12, 8, v1
	s_delay_alu instid0(VALU_DEP_2) | instskip(SKIP_1) | instid1(VALU_DEP_3)
	v_cmp_gt_i32_e32 vcc_lo, 32, v2
	v_cndmask_b32_e32 v2, v1, v2, vcc_lo
	v_cmp_gt_i32_e32 vcc_lo, 32, v12
	s_delay_alu instid0(VALU_DEP_2) | instskip(SKIP_3) | instid1(VALU_DEP_1)
	v_lshlrev_b32_e32 v2, 2, v2
	ds_bpermute_b32 v9, v2, v8
	v_cndmask_b32_e32 v8, v1, v12, vcc_lo
	s_waitcnt lgkmcnt(0)
	v_dual_max_f32 v9, v9, v9 :: v_dual_lshlrev_b32 v8, 2, v8
	s_delay_alu instid0(VALU_DEP_1)
	v_max_f32_e32 v9, v13, v9
	v_xor_b32_e32 v13, 4, v1
	ds_bpermute_b32 v12, v8, v9
	v_cmp_gt_i32_e32 vcc_lo, 32, v13
	s_waitcnt lgkmcnt(0)
	v_dual_cndmask_b32 v13, v1, v13 :: v_dual_max_f32 v12, v12, v12
	s_delay_alu instid0(VALU_DEP_1) | instskip(SKIP_1) | instid1(VALU_DEP_3)
	v_lshlrev_b32_e32 v14, 2, v13
	v_xor_b32_e32 v13, 2, v1
	v_max_f32_e32 v9, v9, v12
	s_delay_alu instid0(VALU_DEP_2) | instskip(SKIP_3) | instid1(VALU_DEP_1)
	v_cmp_gt_i32_e32 vcc_lo, 32, v13
	ds_bpermute_b32 v12, v14, v9
	v_cndmask_b32_e32 v13, v1, v13, vcc_lo
	s_waitcnt lgkmcnt(0)
	v_dual_max_f32 v15, v12, v12 :: v_dual_lshlrev_b32 v12, 2, v13
	s_delay_alu instid0(VALU_DEP_1)
	v_max_f32_e32 v9, v9, v15
	v_xor_b32_e32 v15, 1, v1
	ds_bpermute_b32 v13, v12, v9
	v_cmp_gt_i32_e32 vcc_lo, 32, v15
	v_cndmask_b32_e32 v15, v1, v15, vcc_lo
	v_cmp_eq_u32_e32 vcc_lo, 0, v11
	s_waitcnt lgkmcnt(0)
	v_max_f32_e32 v13, v13, v13
	s_delay_alu instid0(VALU_DEP_1)
	v_max_f32_e32 v1, v9, v13
	v_lshlrev_b32_e32 v13, 2, v15
	v_lshlrev_b32_e32 v15, 2, v10
	ds_bpermute_b32 v9, v13, v1
	s_and_saveexec_b32 s0, vcc_lo
	s_cbranch_execz .LBB121_11
; %bb.10:
	s_waitcnt lgkmcnt(0)
	v_max_f32_e32 v9, v9, v9
	v_max_f32_e32 v1, v1, v1
	s_delay_alu instid0(VALU_DEP_1)
	v_max_f32_e32 v1, v1, v9
	ds_store_b32 v15, v1 offset:64
.LBB121_11:
	s_or_b32 exec_lo, exec_lo, s0
	v_cmp_gt_u32_e64 s0, 4, v11
	v_mov_b32_e32 v1, 0xff7fffff
	s_waitcnt lgkmcnt(0)
	s_barrier
	buffer_gl0_inv
	s_and_saveexec_b32 s1, s0
	s_cbranch_execz .LBB121_13
; %bb.12:
	ds_load_b32 v1, v7 offset:64
.LBB121_13:
	s_or_b32 exec_lo, exec_lo, s1
	s_waitcnt lgkmcnt(0)
	ds_bpermute_b32 v9, v12, v1
	v_dual_max_f32 v1, v1, v1 :: v_dual_mov_b32 v16, 0
	s_sub_i32 s1, s17, s15
	s_delay_alu instid0(SALU_CYCLE_1) | instskip(NEXT) | instid1(SALU_CYCLE_1)
	s_lshl_b32 s1, s1, 5
	s_add_i32 s1, s1, s29
	s_delay_alu instid0(SALU_CYCLE_1) | instskip(NEXT) | instid1(SALU_CYCLE_1)
	s_min_i32 s1, s1, s28
	s_sub_i32 s7, s1, s29
	s_delay_alu instid0(SALU_CYCLE_1) | instskip(SKIP_2) | instid1(VALU_DEP_1)
	v_cmp_gt_i32_e64 s1, s7, v0
	s_waitcnt lgkmcnt(0)
	v_max_f32_e32 v9, v9, v9
	v_max_f32_e32 v1, v1, v9
	ds_bpermute_b32 v9, v13, v1
	s_waitcnt lgkmcnt(0)
	v_max_f32_e32 v9, v9, v9
	s_delay_alu instid0(VALU_DEP_1)
	v_max_f32_e32 v1, v1, v9
	v_lshl_add_u32 v9, v0, 2, 0x60
	ds_bpermute_b32 v1, v16, v1
	s_and_saveexec_b32 s15, s1
	s_cbranch_execz .LBB121_17
; %bb.14:
	v_lshl_add_u32 v17, v0, 2, 0x60
	v_mov_b32_e32 v16, 0
	v_mov_b32_e32 v18, v0
	s_mov_b32 s30, 0
	.p2align	6
.LBB121_15:                             ; =>This Inner Loop Header: Depth=1
	ds_load_b32 v19, v17
	v_add_nc_u32_e32 v18, 0x80, v18
	s_delay_alu instid0(VALU_DEP_1) | instskip(NEXT) | instid1(VALU_DEP_1)
	v_cmp_le_i32_e64 s3, s7, v18
	s_or_b32 s30, s3, s30
	s_waitcnt lgkmcnt(0)
	v_sub_f32_e32 v19, v19, v1
	s_delay_alu instid0(VALU_DEP_1) | instskip(NEXT) | instid1(VALU_DEP_1)
	v_mul_f32_e32 v19, 0x3fb8aa3b, v19
	v_exp_f32_e32 v19, v19
	ds_store_b32 v17, v19
	v_dual_add_f32 v16, v16, v19 :: v_dual_add_nc_u32 v17, 0x200, v17
	s_and_not1_b32 exec_lo, exec_lo, s30
	s_cbranch_execnz .LBB121_15
; %bb.16:
	s_or_b32 exec_lo, exec_lo, s30
.LBB121_17:
	s_delay_alu instid0(SALU_CYCLE_1)
	s_or_b32 exec_lo, exec_lo, s15
	ds_bpermute_b32 v2, v2, v16
	s_waitcnt lgkmcnt(0)
	v_add_f32_e32 v2, v16, v2
	ds_bpermute_b32 v8, v8, v2
	s_waitcnt lgkmcnt(0)
	v_add_f32_e32 v2, v2, v8
	;; [unrolled: 3-line block ×5, first 2 shown]
	s_and_saveexec_b32 s3, vcc_lo
	s_cbranch_execz .LBB121_19
; %bb.18:
	ds_store_b32 v15, v2 offset:80
.LBB121_19:
	s_or_b32 exec_lo, exec_lo, s3
	s_waitcnt lgkmcnt(0)
	s_barrier
	buffer_gl0_inv
	s_and_saveexec_b32 s3, s0
	s_cbranch_execz .LBB121_21
; %bb.20:
	ds_load_b32 v2, v7 offset:80
.LBB121_21:
	s_or_b32 exec_lo, exec_lo, s3
	s_waitcnt lgkmcnt(0)
	ds_bpermute_b32 v7, v12, v2
	s_waitcnt lgkmcnt(0)
	v_add_f32_e32 v2, v2, v7
	ds_bpermute_b32 v7, v13, v2
	s_waitcnt lgkmcnt(0)
	v_dual_add_f32 v2, v2, v7 :: v_dual_mov_b32 v7, 0
	ds_bpermute_b32 v2, v7, v2
	s_and_saveexec_b32 s0, s1
	s_cbranch_execz .LBB121_24
; %bb.22:
	s_waitcnt lgkmcnt(0)
	v_add_f32_e32 v7, 0x358637bd, v2
	s_mov_b32 s1, 0
	s_delay_alu instid0(VALU_DEP_1) | instskip(SKIP_1) | instid1(VALU_DEP_2)
	v_div_scale_f32 v8, null, v7, v7, 1.0
	v_div_scale_f32 v16, vcc_lo, 1.0, v7, 1.0
	v_rcp_f32_e32 v14, v8
	s_waitcnt_depctr 0xfff
	v_fma_f32 v15, -v8, v14, 1.0
	s_delay_alu instid0(VALU_DEP_1) | instskip(NEXT) | instid1(VALU_DEP_1)
	v_fmac_f32_e32 v14, v15, v14
	v_mul_f32_e32 v15, v16, v14
	s_delay_alu instid0(VALU_DEP_1) | instskip(NEXT) | instid1(VALU_DEP_1)
	v_fma_f32 v17, -v8, v15, v16
	v_fmac_f32_e32 v15, v17, v14
	s_delay_alu instid0(VALU_DEP_1) | instskip(NEXT) | instid1(VALU_DEP_1)
	v_fma_f32 v8, -v8, v15, v16
	v_div_fmas_f32 v8, v8, v14, v15
	s_delay_alu instid0(VALU_DEP_1)
	v_div_fixup_f32 v7, v8, v7, 1.0
	v_mov_b32_e32 v8, v0
.LBB121_23:                             ; =>This Inner Loop Header: Depth=1
	ds_load_b32 v14, v9
	v_add_nc_u32_e32 v8, 0x80, v8
	s_delay_alu instid0(VALU_DEP_1)
	v_cmp_le_i32_e32 vcc_lo, s7, v8
	s_or_b32 s1, vcc_lo, s1
	s_waitcnt lgkmcnt(0)
	v_mul_f32_e32 v14, v7, v14
	ds_store_b32 v9, v14
	v_add_nc_u32_e32 v9, 0x200, v9
	s_and_not1_b32 exec_lo, exec_lo, s1
	s_cbranch_execnz .LBB121_23
.LBB121_24:
	s_or_b32 exec_lo, exec_lo, s0
	s_mul_i32 s0, s4, s14
	s_waitcnt lgkmcnt(0)
	s_mul_i32 s14, s0, s13
	s_mov_b32 s0, exec_lo
	s_barrier
	buffer_gl0_inv
	v_cmpx_eq_u32_e32 0, v0
	s_cbranch_execz .LBB121_26
; %bb.25:
	s_ashr_i32 s15, s14, 31
	s_mul_i32 s34, s4, s20
	s_lshl_b64 s[30:31], s[14:15], 2
	v_mov_b32_e32 v7, 0
	s_add_u32 s1, s10, s30
	s_addc_u32 s3, s11, s31
	s_ashr_i32 s35, s34, 31
	s_delay_alu instid0(SALU_CYCLE_1) | instskip(NEXT) | instid1(SALU_CYCLE_1)
	s_lshl_b64 s[10:11], s[34:35], 2
	s_add_u32 s1, s1, s10
	s_addc_u32 s3, s3, s11
	s_ashr_i32 s13, s12, 31
	s_delay_alu instid0(SALU_CYCLE_1) | instskip(NEXT) | instid1(SALU_CYCLE_1)
	s_lshl_b64 s[34:35], s[12:13], 2
	s_add_u32 s36, s1, s34
	s_addc_u32 s37, s3, s35
	s_add_u32 s1, s8, s30
	s_addc_u32 s3, s9, s31
	;; [unrolled: 2-line block ×4, first 2 shown]
	s_clause 0x1
	global_store_b32 v7, v1, s[36:37]
	global_store_b32 v7, v2, s[8:9]
.LBB121_26:
	s_or_b32 exec_lo, exec_lo, s0
	v_dual_mov_b32 v16, 0 :: v_dual_mov_b32 v17, 0
	v_dual_mov_b32 v15, 0 :: v_dual_and_b32 v14, 3, v0
	v_mov_b32_e32 v18, 0
	s_mov_b32 s3, 0
	s_and_saveexec_b32 s1, s2
	s_cbranch_execz .LBB121_38
; %bb.27:
	v_dual_mov_b32 v18, 0 :: v_dual_lshlrev_b32 v1, 3, v0
	v_dual_mov_b32 v15, 0 :: v_dual_lshlrev_b32 v2, 5, v14
	s_ashr_i32 s7, s6, 31
	s_delay_alu instid0(VALU_DEP_2)
	v_dual_mov_b32 v16, 0 :: v_dual_and_b32 v1, 24, v1
	v_and_b32_e32 v3, 0x1f0, v3
	s_lshl_b64 s[6:7], s[6:7], 1
	v_lshl_or_b32 v7, v10, 7, v2
	s_add_u32 s0, s24, s6
	v_add3_u32 v21, s29, v4, v1
	v_lshlrev_b64 v[1:2], 2, v[5:6]
	s_addc_u32 s9, s25, s7
	v_add_co_u32 v19, s0, s0, v3
	s_lshl_b64 s[10:11], s[26:27], 2
	s_add_i32 s21, s21, -1
	v_add_co_ci_u32_e64 v20, null, s9, 0, s0
	s_add_u32 s0, s22, s10
	s_addc_u32 s9, s23, s11
	v_add_co_u32 v6, vcc_lo, s0, v1
	v_dual_mov_b32 v17, 0 :: v_dual_add_nc_u32 v22, 0x60, v7
	v_add_co_ci_u32_e32 v7, vcc_lo, s9, v2, vcc_lo
	s_mov_b32 s2, s5
	s_mov_b32 s5, s28
	;; [unrolled: 1-line block ×8, first 2 shown]
	s_branch .LBB121_29
.LBB121_28:                             ;   in Loop: Header=BB121_29 Depth=1
	s_or_b32 exec_lo, exec_lo, s0
	s_waitcnt vmcnt(0)
	;;#ASMSTART
	v_pk_mul_f16 v1, v33, v1;

	;;#ASMEND
	;;#ASMSTART
	v_pk_mul_f16 v2, v32, v2;

	;;#ASMEND
	;; [unrolled: 4-line block ×4, first 2 shown]
	;;#ASMSTART
	v_pk_add_f16 v1, v1, v2;

	;;#ASMEND
	;;#ASMSTART
	v_pk_add_f16 v1, v1, v3;

	;;#ASMEND
	;; [unrolled: 4-line block ×3, first 2 shown]
	v_dual_add_f32 v3, v34, v35 :: v_dual_and_b32 v2, 0xffff, v1
	v_lshrrev_b32_e32 v1, 16, v1
	v_dual_add_f32 v8, v38, v39 :: v_dual_add_nc_u32 v5, 4, v5
	;;#ASMSTART
	v_cvt_f32_f16 v2, v2;
	;;#ASMEND
	;;#ASMSTART
	v_cvt_f32_f16 v1, v1;
	;;#ASMEND
	v_dual_add_f32 v4, v36, v37 :: v_dual_add_f32 v15, v15, v3
	v_dual_add_f32 v1, v2, v1 :: v_dual_add_nc_u32 v22, 0x200, v22
	v_cmp_le_i32_e32 vcc_lo, s17, v5
	v_add_co_u32 v6, s0, v6, 16
	s_delay_alu instid0(VALU_DEP_4) | instskip(NEXT) | instid1(VALU_DEP_4)
	v_dual_add_f32 v18, v18, v4 :: v_dual_add_nc_u32 v21, 0x80, v21
	v_dual_add_f32 v17, v17, v8 :: v_dual_add_f32 v16, v16, v1
	v_add_co_ci_u32_e64 v7, s0, 0, v7, s0
	s_or_b32 s3, vcc_lo, s3
	s_delay_alu instid0(SALU_CYCLE_1)
	s_and_not1_b32 exec_lo, exec_lo, s3
	s_cbranch_execz .LBB121_37
.LBB121_29:                             ; =>This Inner Loop Header: Depth=1
	global_load_b32 v27, v[6:7], off
	ds_load_2addr_b64 v[1:4], v22 offset1:1
	ds_load_2addr_b64 v[23:26], v22 offset0:2 offset1:3
	v_or_b32_e32 v28, 7, v21
	v_or_b32_e32 v29, 6, v21
	s_waitcnt lgkmcnt(1)
	;;#ASMSTART
	v_cvt_f16_f32 v32, v1;

	;;#ASMEND
	;;#ASMSTART
	v_cvt_f16_f32 v30, v2;

	;;#ASMEND
	;; [unrolled: 4-line block ×4, first 2 shown]
	s_waitcnt lgkmcnt(0)
	;;#ASMSTART
	v_cvt_f16_f32 v36, v23;

	;;#ASMEND
	;;#ASMSTART
	v_cvt_f16_f32 v34, v24;

	;;#ASMEND
	;; [unrolled: 4-line block ×4, first 2 shown]
	v_add_nc_u32_e32 v23, 1, v21
	v_or_b32_e32 v25, 3, v21
	v_or_b32_e32 v24, 2, v21
	;; [unrolled: 1-line block ×3, first 2 shown]
	s_waitcnt vmcnt(0)
	v_mad_i64_i32 v[8:9], null, v27, s2, 0
	v_or_b32_e32 v27, 5, v21
	s_delay_alu instid0(VALU_DEP_2) | instskip(NEXT) | instid1(VALU_DEP_1)
	v_lshlrev_b64 v[8:9], 1, v[8:9]
	v_add_co_u32 v8, vcc_lo, v19, v8
	s_delay_alu instid0(VALU_DEP_2)
	v_add_co_ci_u32_e32 v9, vcc_lo, v20, v9, vcc_lo
	v_cmp_eq_u32_e32 vcc_lo, s21, v5
	global_load_b128 v[1:4], v[8:9], off
	s_and_saveexec_b32 s13, vcc_lo
	s_cbranch_execz .LBB121_31
; %bb.30:                               ;   in Loop: Header=BB121_29 Depth=1
	v_cmp_gt_i32_e64 s0, s10, v29
	s_waitcnt vmcnt(0)
	v_lshrrev_b32_e32 v38, 16, v4
	v_lshrrev_b32_e32 v39, 16, v3
	;; [unrolled: 1-line block ×4, first 2 shown]
	v_cndmask_b32_e64 v4, 0, v4, s0
	v_cmp_gt_i32_e64 s0, s11, v28
	s_delay_alu instid0(VALU_DEP_1) | instskip(SKIP_1) | instid1(VALU_DEP_2)
	v_cndmask_b32_e64 v38, 0, v38, s0
	v_cmp_gt_i32_e64 s0, s9, v27
	v_perm_b32 v4, v38, v4, 0x5040100
	s_delay_alu instid0(VALU_DEP_2) | instskip(SKIP_1) | instid1(VALU_DEP_1)
	v_cndmask_b32_e64 v39, 0, v39, s0
	v_cmp_gt_i32_e64 s0, s8, v26
	v_cndmask_b32_e64 v3, 0, v3, s0
	v_cmp_gt_i32_e64 s0, s7, v25
	s_delay_alu instid0(VALU_DEP_2) | instskip(NEXT) | instid1(VALU_DEP_2)
	v_perm_b32 v3, v39, v3, 0x5040100
	v_cndmask_b32_e64 v40, 0, v40, s0
	v_cmp_gt_i32_e64 s0, s6, v24
	s_delay_alu instid0(VALU_DEP_1) | instskip(SKIP_1) | instid1(VALU_DEP_2)
	v_cndmask_b32_e64 v2, 0, v2, s0
	v_cmp_gt_i32_e64 s0, s5, v23
	v_perm_b32 v2, v40, v2, 0x5040100
	s_delay_alu instid0(VALU_DEP_2) | instskip(SKIP_1) | instid1(VALU_DEP_1)
	v_cndmask_b32_e64 v41, 0, v41, s0
	v_cmp_gt_i32_e64 s0, s28, v21
	v_cndmask_b32_e64 v1, 0, v1, s0
	s_delay_alu instid0(VALU_DEP_1)
	v_perm_b32 v1, v41, v1, 0x5040100
.LBB121_31:                             ;   in Loop: Header=BB121_29 Depth=1
	s_or_b32 exec_lo, exec_lo, s13
	v_and_b32_e32 v32, 0xffff, v32
	v_and_b32_e32 v38, 0xffff, v33
	;; [unrolled: 1-line block ×4, first 2 shown]
	s_delay_alu instid0(VALU_DEP_4)
	v_lshl_or_b32 v33, v30, 16, v32
	s_waitcnt vmcnt(0)
	;;#ASMSTART
	v_pk_mul_f16 v1, v33, v1;

	;;#ASMEND
	v_lshl_or_b32 v32, v31, 16, v38
	v_lshl_or_b32 v31, v34, 16, v36
	;; [unrolled: 1-line block ×3, first 2 shown]
	;;#ASMSTART
	v_pk_mul_f16 v2, v32, v2;

	;;#ASMEND
	;;#ASMSTART
	v_pk_mul_f16 v3, v31, v3;

	;;#ASMEND
	;; [unrolled: 4-line block ×3, first 2 shown]
	;;#ASMSTART
	v_pk_add_f16 v1, v1, v2;

	;;#ASMEND
	;;#ASMSTART
	v_pk_add_f16 v1, v1, v3;

	;;#ASMEND
	;; [unrolled: 4-line block ×3, first 2 shown]
	v_and_b32_e32 v2, 0xffff, v1
	v_lshrrev_b32_e32 v1, 16, v1
	;;#ASMSTART
	v_cvt_f32_f16 v34, v2;
	;;#ASMEND
	;;#ASMSTART
	v_cvt_f32_f16 v35, v1;
	;;#ASMEND
	global_load_b128 v[1:4], v[8:9], off offset:512
	s_and_saveexec_b32 s13, vcc_lo
	s_cbranch_execz .LBB121_33
; %bb.32:                               ;   in Loop: Header=BB121_29 Depth=1
	v_cmp_gt_i32_e64 s0, s10, v29
	s_waitcnt vmcnt(0)
	v_lshrrev_b32_e32 v36, 16, v4
	v_lshrrev_b32_e32 v37, 16, v3
	;; [unrolled: 1-line block ×4, first 2 shown]
	v_cndmask_b32_e64 v4, 0, v4, s0
	v_cmp_gt_i32_e64 s0, s11, v28
	s_delay_alu instid0(VALU_DEP_1) | instskip(SKIP_1) | instid1(VALU_DEP_2)
	v_cndmask_b32_e64 v36, 0, v36, s0
	v_cmp_gt_i32_e64 s0, s9, v27
	v_perm_b32 v4, v36, v4, 0x5040100
	s_delay_alu instid0(VALU_DEP_2) | instskip(SKIP_1) | instid1(VALU_DEP_1)
	v_cndmask_b32_e64 v37, 0, v37, s0
	v_cmp_gt_i32_e64 s0, s8, v26
	v_cndmask_b32_e64 v3, 0, v3, s0
	v_cmp_gt_i32_e64 s0, s7, v25
	s_delay_alu instid0(VALU_DEP_2) | instskip(NEXT) | instid1(VALU_DEP_2)
	v_perm_b32 v3, v37, v3, 0x5040100
	v_cndmask_b32_e64 v38, 0, v38, s0
	v_cmp_gt_i32_e64 s0, s6, v24
	s_delay_alu instid0(VALU_DEP_1) | instskip(SKIP_1) | instid1(VALU_DEP_2)
	v_cndmask_b32_e64 v2, 0, v2, s0
	v_cmp_gt_i32_e64 s0, s5, v23
	v_perm_b32 v2, v38, v2, 0x5040100
	s_delay_alu instid0(VALU_DEP_2) | instskip(SKIP_1) | instid1(VALU_DEP_1)
	v_cndmask_b32_e64 v39, 0, v39, s0
	v_cmp_gt_i32_e64 s0, s28, v21
	v_cndmask_b32_e64 v1, 0, v1, s0
	s_delay_alu instid0(VALU_DEP_1)
	v_perm_b32 v1, v39, v1, 0x5040100
.LBB121_33:                             ;   in Loop: Header=BB121_29 Depth=1
	s_or_b32 exec_lo, exec_lo, s13
	s_waitcnt vmcnt(0)
	;;#ASMSTART
	v_pk_mul_f16 v1, v33, v1;

	;;#ASMEND
	;;#ASMSTART
	v_pk_mul_f16 v2, v32, v2;

	;;#ASMEND
	;; [unrolled: 4-line block ×4, first 2 shown]
	;;#ASMSTART
	v_pk_add_f16 v1, v1, v2;

	;;#ASMEND
	;;#ASMSTART
	v_pk_add_f16 v1, v1, v3;

	;;#ASMEND
	;; [unrolled: 4-line block ×3, first 2 shown]
	v_and_b32_e32 v2, 0xffff, v1
	v_lshrrev_b32_e32 v1, 16, v1
	;;#ASMSTART
	v_cvt_f32_f16 v36, v2;
	;;#ASMEND
	;;#ASMSTART
	v_cvt_f32_f16 v37, v1;
	;;#ASMEND
	global_load_b128 v[1:4], v[8:9], off offset:1024
	s_and_saveexec_b32 s13, vcc_lo
	s_cbranch_execz .LBB121_35
; %bb.34:                               ;   in Loop: Header=BB121_29 Depth=1
	v_cmp_gt_i32_e64 s0, s10, v29
	s_waitcnt vmcnt(0)
	v_lshrrev_b32_e32 v38, 16, v4
	v_lshrrev_b32_e32 v39, 16, v3
	;; [unrolled: 1-line block ×4, first 2 shown]
	v_cndmask_b32_e64 v4, 0, v4, s0
	v_cmp_gt_i32_e64 s0, s11, v28
	s_delay_alu instid0(VALU_DEP_1) | instskip(SKIP_1) | instid1(VALU_DEP_2)
	v_cndmask_b32_e64 v38, 0, v38, s0
	v_cmp_gt_i32_e64 s0, s9, v27
	v_perm_b32 v4, v38, v4, 0x5040100
	s_delay_alu instid0(VALU_DEP_2) | instskip(SKIP_1) | instid1(VALU_DEP_1)
	v_cndmask_b32_e64 v39, 0, v39, s0
	v_cmp_gt_i32_e64 s0, s8, v26
	v_cndmask_b32_e64 v3, 0, v3, s0
	v_cmp_gt_i32_e64 s0, s7, v25
	s_delay_alu instid0(VALU_DEP_2) | instskip(NEXT) | instid1(VALU_DEP_2)
	v_perm_b32 v3, v39, v3, 0x5040100
	v_cndmask_b32_e64 v40, 0, v40, s0
	v_cmp_gt_i32_e64 s0, s6, v24
	s_delay_alu instid0(VALU_DEP_1) | instskip(SKIP_1) | instid1(VALU_DEP_2)
	v_cndmask_b32_e64 v2, 0, v2, s0
	v_cmp_gt_i32_e64 s0, s5, v23
	v_perm_b32 v2, v40, v2, 0x5040100
	s_delay_alu instid0(VALU_DEP_2) | instskip(SKIP_1) | instid1(VALU_DEP_1)
	v_cndmask_b32_e64 v41, 0, v41, s0
	v_cmp_gt_i32_e64 s0, s28, v21
	v_cndmask_b32_e64 v1, 0, v1, s0
	s_delay_alu instid0(VALU_DEP_1)
	v_perm_b32 v1, v41, v1, 0x5040100
.LBB121_35:                             ;   in Loop: Header=BB121_29 Depth=1
	s_or_b32 exec_lo, exec_lo, s13
	s_waitcnt vmcnt(0)
	;;#ASMSTART
	v_pk_mul_f16 v1, v33, v1;

	;;#ASMEND
	;;#ASMSTART
	v_pk_mul_f16 v2, v32, v2;

	;;#ASMEND
	;;#ASMSTART
	v_pk_mul_f16 v3, v31, v3;

	;;#ASMEND
	;;#ASMSTART
	v_pk_mul_f16 v4, v30, v4;

	;;#ASMEND
	;;#ASMSTART
	v_pk_add_f16 v1, v1, v2;

	;;#ASMEND
	;;#ASMSTART
	v_pk_add_f16 v1, v1, v3;

	;;#ASMEND
	;; [unrolled: 4-line block ×3, first 2 shown]
	v_and_b32_e32 v2, 0xffff, v1
	v_lshrrev_b32_e32 v1, 16, v1
	;;#ASMSTART
	v_cvt_f32_f16 v38, v2;
	;;#ASMEND
	;;#ASMSTART
	v_cvt_f32_f16 v39, v1;
	;;#ASMEND
	global_load_b128 v[1:4], v[8:9], off offset:1536
	s_and_saveexec_b32 s0, vcc_lo
	s_cbranch_execz .LBB121_28
; %bb.36:                               ;   in Loop: Header=BB121_29 Depth=1
	v_cmp_gt_i32_e32 vcc_lo, s10, v29
	s_waitcnt vmcnt(0)
	v_lshrrev_b32_e32 v8, 16, v4
	v_lshrrev_b32_e32 v9, 16, v3
	v_cndmask_b32_e32 v4, 0, v4, vcc_lo
	v_cmp_gt_i32_e32 vcc_lo, s11, v28
	s_delay_alu instid0(VALU_DEP_4)
	v_cndmask_b32_e32 v8, 0, v8, vcc_lo
	v_cmp_gt_i32_e32 vcc_lo, s9, v27
	v_lshrrev_b32_e32 v27, 16, v2
	v_cndmask_b32_e32 v9, 0, v9, vcc_lo
	v_cmp_gt_i32_e32 vcc_lo, s8, v26
	v_lshrrev_b32_e32 v26, 16, v1
	v_cndmask_b32_e32 v3, 0, v3, vcc_lo
	v_cmp_gt_i32_e32 vcc_lo, s7, v25
	v_perm_b32 v4, v8, v4, 0x5040100
	s_delay_alu instid0(VALU_DEP_3) | instskip(SKIP_4) | instid1(VALU_DEP_2)
	v_perm_b32 v3, v9, v3, 0x5040100
	v_cndmask_b32_e32 v25, 0, v27, vcc_lo
	v_cmp_gt_i32_e32 vcc_lo, s6, v24
	v_cndmask_b32_e32 v2, 0, v2, vcc_lo
	v_cmp_gt_i32_e32 vcc_lo, s5, v23
	v_perm_b32 v2, v25, v2, 0x5040100
	v_cndmask_b32_e32 v23, 0, v26, vcc_lo
	v_cmp_gt_i32_e32 vcc_lo, s28, v21
	v_cndmask_b32_e32 v1, 0, v1, vcc_lo
	s_delay_alu instid0(VALU_DEP_1)
	v_perm_b32 v1, v23, v1, 0x5040100
	s_branch .LBB121_28
.LBB121_37:
	s_or_b32 exec_lo, exec_lo, s3
.LBB121_38:
	s_delay_alu instid0(SALU_CYCLE_1)
	s_or_b32 exec_lo, exec_lo, s1
	ds_bpermute_b32 v1, v12, v15
	ds_bpermute_b32 v2, v12, v18
	;; [unrolled: 1-line block ×4, first 2 shown]
	v_lshrrev_b32_e32 v5, 2, v11
	s_mov_b32 s0, exec_lo
	s_waitcnt lgkmcnt(0)
	s_waitcnt_vscnt null, 0x0
	s_barrier
	buffer_gl0_inv
	v_dual_add_f32 v1, v15, v1 :: v_dual_add_f32 v2, v18, v2
	v_dual_add_f32 v6, v17, v3 :: v_dual_add_f32 v7, v16, v4
	ds_bpermute_b32 v3, v13, v1
	ds_bpermute_b32 v8, v13, v2
	;; [unrolled: 1-line block ×4, first 2 shown]
	s_waitcnt lgkmcnt(3)
	v_dual_add_f32 v4, v1, v3 :: v_dual_and_b32 v11, 0x3c3, v0
	s_waitcnt lgkmcnt(2)
	v_add_f32_e32 v3, v2, v8
	s_waitcnt lgkmcnt(0)
	v_dual_add_f32 v2, v6, v9 :: v_dual_add_f32 v1, v7, v12
	v_cmpx_eq_u32_e32 64, v11
	s_cbranch_execz .LBB121_40
; %bb.39:
	v_lshl_add_u32 v6, v10, 7, 0x60
	v_lshlrev_b32_e32 v7, 2, v5
	s_delay_alu instid0(VALU_DEP_1)
	v_add3_u32 v6, v6, v7, 0xffffff00
	ds_store_2addr_b32 v6, v4, v3 offset1:8
	ds_store_2addr_b32 v6, v2, v1 offset0:16 offset1:24
.LBB121_40:
	s_or_b32 exec_lo, exec_lo, s0
	v_and_b32_e32 v6, 0x3e0, v0
	v_cmp_eq_u32_e32 vcc_lo, 0, v14
	s_mov_b32 s1, exec_lo
	s_waitcnt lgkmcnt(0)
	s_barrier
	v_lshl_add_u32 v6, v6, 2, 0x60
	buffer_gl0_inv
	v_cmpx_gt_u32_e32 64, v0
	s_cbranch_execz .LBB121_47
; %bb.41:
	s_and_saveexec_b32 s0, vcc_lo
	s_cbranch_execnz .LBB121_59
; %bb.42:
	s_or_b32 exec_lo, exec_lo, s0
	s_and_saveexec_b32 s0, vcc_lo
	s_cbranch_execnz .LBB121_60
.LBB121_43:
	s_or_b32 exec_lo, exec_lo, s0
	s_and_saveexec_b32 s0, vcc_lo
	s_cbranch_execnz .LBB121_61
.LBB121_44:
	s_or_b32 exec_lo, exec_lo, s0
	s_and_saveexec_b32 s0, vcc_lo
	s_cbranch_execz .LBB121_46
.LBB121_45:
	v_lshl_add_u32 v7, v5, 2, v6
	ds_load_b32 v7, v7 offset:96
	s_waitcnt lgkmcnt(0)
	v_add_f32_e32 v1, v1, v7
.LBB121_46:
	s_or_b32 exec_lo, exec_lo, s0
.LBB121_47:
	s_delay_alu instid0(SALU_CYCLE_1)
	s_or_b32 exec_lo, exec_lo, s1
	v_and_b32_e32 v7, 0x3e3, v0
	s_mov_b32 s1, exec_lo
	s_barrier
	buffer_gl0_inv
	v_cmpx_eq_u32_e32 32, v7
	s_cbranch_execz .LBB121_49
; %bb.48:
	v_lshl_add_u32 v8, v5, 2, 0x60
	ds_store_2addr_b32 v8, v4, v3 offset1:8
	ds_store_2addr_b32 v8, v2, v1 offset0:16 offset1:24
.LBB121_49:
	s_or_b32 exec_lo, exec_lo, s1
	s_delay_alu instid0(SALU_CYCLE_1)
	s_mov_b32 s1, exec_lo
	s_waitcnt lgkmcnt(0)
	s_barrier
	buffer_gl0_inv
	v_cmpx_gt_u32_e32 32, v0
	s_cbranch_execz .LBB121_56
; %bb.50:
	v_lshl_add_u32 v5, v5, 2, v6
	s_and_saveexec_b32 s0, vcc_lo
	s_cbranch_execnz .LBB121_62
; %bb.51:
	s_or_b32 exec_lo, exec_lo, s0
	s_and_saveexec_b32 s0, vcc_lo
	s_cbranch_execnz .LBB121_63
.LBB121_52:
	s_or_b32 exec_lo, exec_lo, s0
	s_and_saveexec_b32 s0, vcc_lo
	s_cbranch_execnz .LBB121_64
.LBB121_53:
	s_or_b32 exec_lo, exec_lo, s0
	s_and_saveexec_b32 s0, vcc_lo
	s_cbranch_execz .LBB121_55
.LBB121_54:
	ds_load_b32 v5, v5 offset:96
	s_waitcnt lgkmcnt(0)
	v_add_f32_e32 v1, v1, v5
.LBB121_55:
	s_or_b32 exec_lo, exec_lo, s0
.LBB121_56:
	s_delay_alu instid0(SALU_CYCLE_1)
	s_or_b32 exec_lo, exec_lo, s1
	s_barrier
	buffer_gl0_inv
	s_mov_b32 s0, exec_lo
	v_cmpx_eq_u32_e32 0, v7
	s_cbranch_execz .LBB121_58
; %bb.57:
	s_lshl_b32 s0, s14, 5
	s_mul_i32 s2, s4, s16
	s_ashr_i32 s1, s0, 31
	v_lshrrev_b32_e32 v0, 1, v0
	s_lshl_b64 s[0:1], s[0:1], 1
	;;#ASMSTART
	v_cvt_f16_f32 v4, v4;

	;;#ASMEND
	s_add_u32 s4, s18, s0
	s_addc_u32 s5, s19, s1
	s_ashr_i32 s3, s2, 31
	s_delay_alu instid0(SALU_CYCLE_1) | instskip(NEXT) | instid1(SALU_CYCLE_1)
	s_lshl_b64 s[0:1], s[2:3], 1
	s_add_u32 s2, s4, s0
	s_addc_u32 s3, s5, s1
	s_lshl_b32 s0, s12, 5
	s_delay_alu instid0(SALU_CYCLE_1) | instskip(NEXT) | instid1(SALU_CYCLE_1)
	s_ashr_i32 s1, s0, 31
	s_lshl_b64 s[0:1], s[0:1], 1
	s_delay_alu instid0(SALU_CYCLE_1)
	s_add_u32 s0, s2, s0
	s_addc_u32 s1, s3, s1
	global_store_b16 v0, v4, s[0:1]
	;;#ASMSTART
	v_cvt_f16_f32 v3, v3;

	;;#ASMEND
	global_store_b16 v0, v3, s[0:1] offset:16
	;;#ASMSTART
	v_cvt_f16_f32 v2, v2;

	;;#ASMEND
	global_store_b16 v0, v2, s[0:1] offset:32
	;; [unrolled: 5-line block ×3, first 2 shown]
.LBB121_58:
	s_nop 0
	s_sendmsg sendmsg(MSG_DEALLOC_VGPRS)
	s_endpgm
.LBB121_59:
	v_lshl_add_u32 v7, v5, 2, v6
	ds_load_b32 v7, v7
	s_waitcnt lgkmcnt(0)
	v_add_f32_e32 v4, v4, v7
	s_or_b32 exec_lo, exec_lo, s0
	s_and_saveexec_b32 s0, vcc_lo
	s_cbranch_execz .LBB121_43
.LBB121_60:
	v_lshl_add_u32 v7, v5, 2, v6
	ds_load_b32 v7, v7 offset:32
	s_waitcnt lgkmcnt(0)
	v_add_f32_e32 v3, v3, v7
	s_or_b32 exec_lo, exec_lo, s0
	s_and_saveexec_b32 s0, vcc_lo
	s_cbranch_execz .LBB121_44
.LBB121_61:
	v_lshl_add_u32 v7, v5, 2, v6
	ds_load_b32 v7, v7 offset:64
	s_waitcnt lgkmcnt(0)
	v_add_f32_e32 v2, v2, v7
	s_or_b32 exec_lo, exec_lo, s0
	s_and_saveexec_b32 s0, vcc_lo
	s_cbranch_execnz .LBB121_45
	s_branch .LBB121_46
.LBB121_62:
	ds_load_b32 v6, v5
	s_waitcnt lgkmcnt(0)
	v_add_f32_e32 v4, v4, v6
	s_or_b32 exec_lo, exec_lo, s0
	s_and_saveexec_b32 s0, vcc_lo
	s_cbranch_execz .LBB121_52
.LBB121_63:
	ds_load_b32 v6, v5 offset:32
	s_waitcnt lgkmcnt(0)
	v_add_f32_e32 v3, v3, v6
	s_or_b32 exec_lo, exec_lo, s0
	s_and_saveexec_b32 s0, vcc_lo
	s_cbranch_execz .LBB121_53
.LBB121_64:
	ds_load_b32 v6, v5 offset:64
	s_waitcnt lgkmcnt(0)
	v_add_f32_e32 v2, v2, v6
	s_or_b32 exec_lo, exec_lo, s0
	s_and_saveexec_b32 s0, vcc_lo
	s_cbranch_execnz .LBB121_54
	s_branch .LBB121_55
	.section	.rodata,"a",@progbits
	.p2align	6, 0x0
	.amdhsa_kernel _ZN4vllm25paged_attention_v2_kernelIttLi32ELi32ELi128ELNS_18Fp8KVCacheDataTypeE0ELb0ELi512EEEvPfS2_PT_PKS3_PKT0_S9_ifPKiSB_iPKfiiiSD_SD_iiiii
		.amdhsa_group_segment_fixed_size 96
		.amdhsa_private_segment_fixed_size 0
		.amdhsa_kernarg_size 400
		.amdhsa_user_sgpr_count 13
		.amdhsa_user_sgpr_dispatch_ptr 0
		.amdhsa_user_sgpr_queue_ptr 0
		.amdhsa_user_sgpr_kernarg_segment_ptr 1
		.amdhsa_user_sgpr_dispatch_id 0
		.amdhsa_user_sgpr_private_segment_size 0
		.amdhsa_wavefront_size32 1
		.amdhsa_uses_dynamic_stack 0
		.amdhsa_enable_private_segment 0
		.amdhsa_system_sgpr_workgroup_id_x 1
		.amdhsa_system_sgpr_workgroup_id_y 1
		.amdhsa_system_sgpr_workgroup_id_z 1
		.amdhsa_system_sgpr_workgroup_info 0
		.amdhsa_system_vgpr_workitem_id 0
		.amdhsa_next_free_vgpr 71
		.amdhsa_next_free_sgpr 38
		.amdhsa_reserve_vcc 1
		.amdhsa_float_round_mode_32 0
		.amdhsa_float_round_mode_16_64 0
		.amdhsa_float_denorm_mode_32 3
		.amdhsa_float_denorm_mode_16_64 3
		.amdhsa_dx10_clamp 1
		.amdhsa_ieee_mode 1
		.amdhsa_fp16_overflow 0
		.amdhsa_workgroup_processor_mode 1
		.amdhsa_memory_ordered 1
		.amdhsa_forward_progress 0
		.amdhsa_shared_vgpr_count 0
		.amdhsa_exception_fp_ieee_invalid_op 0
		.amdhsa_exception_fp_denorm_src 0
		.amdhsa_exception_fp_ieee_div_zero 0
		.amdhsa_exception_fp_ieee_overflow 0
		.amdhsa_exception_fp_ieee_underflow 0
		.amdhsa_exception_fp_ieee_inexact 0
		.amdhsa_exception_int_div_zero 0
	.end_amdhsa_kernel
	.section	.text._ZN4vllm25paged_attention_v2_kernelIttLi32ELi32ELi128ELNS_18Fp8KVCacheDataTypeE0ELb0ELi512EEEvPfS2_PT_PKS3_PKT0_S9_ifPKiSB_iPKfiiiSD_SD_iiiii,"axG",@progbits,_ZN4vllm25paged_attention_v2_kernelIttLi32ELi32ELi128ELNS_18Fp8KVCacheDataTypeE0ELb0ELi512EEEvPfS2_PT_PKS3_PKT0_S9_ifPKiSB_iPKfiiiSD_SD_iiiii,comdat
.Lfunc_end121:
	.size	_ZN4vllm25paged_attention_v2_kernelIttLi32ELi32ELi128ELNS_18Fp8KVCacheDataTypeE0ELb0ELi512EEEvPfS2_PT_PKS3_PKT0_S9_ifPKiSB_iPKfiiiSD_SD_iiiii, .Lfunc_end121-_ZN4vllm25paged_attention_v2_kernelIttLi32ELi32ELi128ELNS_18Fp8KVCacheDataTypeE0ELb0ELi512EEEvPfS2_PT_PKS3_PKT0_S9_ifPKiSB_iPKfiiiSD_SD_iiiii
                                        ; -- End function
	.section	.AMDGPU.csdata,"",@progbits
; Kernel info:
; codeLenInByte = 7276
; NumSgprs: 40
; NumVgprs: 71
; ScratchSize: 0
; MemoryBound: 0
; FloatMode: 240
; IeeeMode: 1
; LDSByteSize: 96 bytes/workgroup (compile time only)
; SGPRBlocks: 4
; VGPRBlocks: 8
; NumSGPRsForWavesPerEU: 40
; NumVGPRsForWavesPerEU: 71
; Occupancy: 16
; WaveLimiterHint : 1
; COMPUTE_PGM_RSRC2:SCRATCH_EN: 0
; COMPUTE_PGM_RSRC2:USER_SGPR: 13
; COMPUTE_PGM_RSRC2:TRAP_HANDLER: 0
; COMPUTE_PGM_RSRC2:TGID_X_EN: 1
; COMPUTE_PGM_RSRC2:TGID_Y_EN: 1
; COMPUTE_PGM_RSRC2:TGID_Z_EN: 1
; COMPUTE_PGM_RSRC2:TIDIG_COMP_CNT: 0
	.section	.text._ZN4vllm25paged_attention_v2_kernelIttLi64ELi32ELi128ELNS_18Fp8KVCacheDataTypeE0ELb0ELi512EEEvPfS2_PT_PKS3_PKT0_S9_ifPKiSB_iPKfiiiSD_SD_iiiii,"axG",@progbits,_ZN4vllm25paged_attention_v2_kernelIttLi64ELi32ELi128ELNS_18Fp8KVCacheDataTypeE0ELb0ELi512EEEvPfS2_PT_PKS3_PKT0_S9_ifPKiSB_iPKfiiiSD_SD_iiiii,comdat
	.protected	_ZN4vllm25paged_attention_v2_kernelIttLi64ELi32ELi128ELNS_18Fp8KVCacheDataTypeE0ELb0ELi512EEEvPfS2_PT_PKS3_PKT0_S9_ifPKiSB_iPKfiiiSD_SD_iiiii ; -- Begin function _ZN4vllm25paged_attention_v2_kernelIttLi64ELi32ELi128ELNS_18Fp8KVCacheDataTypeE0ELb0ELi512EEEvPfS2_PT_PKS3_PKT0_S9_ifPKiSB_iPKfiiiSD_SD_iiiii
	.globl	_ZN4vllm25paged_attention_v2_kernelIttLi64ELi32ELi128ELNS_18Fp8KVCacheDataTypeE0ELb0ELi512EEEvPfS2_PT_PKS3_PKT0_S9_ifPKiSB_iPKfiiiSD_SD_iiiii
	.p2align	8
	.type	_ZN4vllm25paged_attention_v2_kernelIttLi64ELi32ELi128ELNS_18Fp8KVCacheDataTypeE0ELb0ELi512EEEvPfS2_PT_PKS3_PKT0_S9_ifPKiSB_iPKfiiiSD_SD_iiiii,@function
_ZN4vllm25paged_attention_v2_kernelIttLi64ELi32ELi128ELNS_18Fp8KVCacheDataTypeE0ELb0ELi512EEEvPfS2_PT_PKS3_PKT0_S9_ifPKiSB_iPKfiiiSD_SD_iiiii: ; @_ZN4vllm25paged_attention_v2_kernelIttLi64ELi32ELi128ELNS_18Fp8KVCacheDataTypeE0ELb0ELi512EEEvPfS2_PT_PKS3_PKT0_S9_ifPKiSB_iPKfiiiSD_SD_iiiii
; %bb.0:
	s_load_b64 s[2:3], s[0:1], 0x40
	s_mov_b32 s12, s15
	s_ashr_i32 s15, s14, 31
	s_delay_alu instid0(SALU_CYCLE_1)
	s_lshl_b64 s[4:5], s[14:15], 2
	s_waitcnt lgkmcnt(0)
	s_add_u32 s2, s2, s4
	s_addc_u32 s3, s3, s5
	s_lshl_b32 s29, s12, 9
	s_load_b32 s28, s[2:3], 0x0
	s_waitcnt lgkmcnt(0)
	s_cmp_ge_i32 s29, s28
	s_cbranch_scc1 .LBB122_74
; %bb.1:
	s_mov_b32 s22, s13
	s_clause 0x1
	s_load_b32 s13, s[0:1], 0x90
	s_load_b64 s[2:3], s[0:1], 0x30
	s_mov_b32 s30, 0
	s_waitcnt lgkmcnt(0)
	s_abs_i32 s7, s13
	s_abs_i32 s4, s2
	s_xor_b32 s2, s13, s2
	v_cvt_f32_u32_e32 v1, s4
	s_sub_i32 s6, 0, s4
	s_ashr_i32 s2, s2, 31
	s_delay_alu instid0(VALU_DEP_1) | instskip(SKIP_2) | instid1(VALU_DEP_1)
	v_rcp_iflag_f32_e32 v1, v1
	s_waitcnt_depctr 0xfff
	v_mul_f32_e32 v1, 0x4f7ffffe, v1
	v_cvt_u32_f32_e32 v1, v1
	s_delay_alu instid0(VALU_DEP_1) | instskip(NEXT) | instid1(VALU_DEP_1)
	v_readfirstlane_b32 s5, v1
	s_mul_i32 s6, s6, s5
	s_delay_alu instid0(SALU_CYCLE_1) | instskip(NEXT) | instid1(SALU_CYCLE_1)
	s_mul_hi_u32 s6, s5, s6
	s_add_i32 s5, s5, s6
	s_delay_alu instid0(SALU_CYCLE_1) | instskip(NEXT) | instid1(SALU_CYCLE_1)
	s_mul_hi_u32 s5, s7, s5
	s_mul_i32 s6, s5, s4
	s_delay_alu instid0(SALU_CYCLE_1)
	s_sub_i32 s6, s7, s6
	s_add_i32 s7, s5, 1
	s_sub_i32 s8, s6, s4
	s_cmp_ge_u32 s6, s4
	s_cselect_b32 s5, s7, s5
	s_cselect_b32 s6, s8, s6
	s_add_i32 s7, s5, 1
	s_cmp_ge_u32 s6, s4
	s_cselect_b32 s4, s7, s5
	s_abs_i32 s27, s22
	s_xor_b32 s4, s4, s2
	s_delay_alu instid0(SALU_CYCLE_1) | instskip(SKIP_2) | instid1(SALU_CYCLE_1)
	s_sub_i32 s8, s4, s2
	s_load_b64 s[4:5], s[0:1], 0x50
	s_abs_i32 s2, s8
	v_cvt_f32_u32_e32 v1, s2
	s_sub_i32 s7, 0, s2
	s_delay_alu instid0(VALU_DEP_1) | instskip(SKIP_2) | instid1(VALU_DEP_1)
	v_rcp_iflag_f32_e32 v1, v1
	s_waitcnt_depctr 0xfff
	v_mul_f32_e32 v1, 0x4f7ffffe, v1
	v_cvt_u32_f32_e32 v1, v1
	s_delay_alu instid0(VALU_DEP_1) | instskip(NEXT) | instid1(VALU_DEP_1)
	v_readfirstlane_b32 s6, v1
	s_mul_i32 s7, s7, s6
	s_delay_alu instid0(SALU_CYCLE_1) | instskip(NEXT) | instid1(SALU_CYCLE_1)
	s_mul_hi_u32 s7, s6, s7
	s_add_i32 s6, s6, s7
	s_waitcnt lgkmcnt(0)
	s_cmp_eq_u64 s[4:5], 0
	s_mul_hi_u32 s26, s27, s6
	s_cbranch_scc1 .LBB122_3
; %bb.2:
	s_ashr_i32 s23, s22, 31
	s_delay_alu instid0(SALU_CYCLE_1) | instskip(NEXT) | instid1(SALU_CYCLE_1)
	s_lshl_b64 s[6:7], s[22:23], 2
	s_add_u32 s4, s4, s6
	s_addc_u32 s5, s5, s7
	s_load_b32 s30, s[4:5], 0x0
.LBB122_3:
	s_clause 0x1
	s_load_b64 s[20:21], s[0:1], 0x38
	s_load_b128 s[4:7], s[0:1], 0x58
	v_lshlrev_b32_e32 v9, 4, v0
	s_waitcnt lgkmcnt(0)
	s_ashr_i32 s7, s22, 31
	s_ashr_i32 s31, s8, 31
	s_lshl_b32 s16, s22, 6
	s_mov_b32 s8, exec_lo
	v_cmpx_gt_u32_e32 8, v0
	s_cbranch_execz .LBB122_5
; %bb.4:
	s_load_b64 s[10:11], s[0:1], 0x18
	s_mul_i32 s18, s14, s4
	s_delay_alu instid0(SALU_CYCLE_1) | instskip(NEXT) | instid1(SALU_CYCLE_1)
	s_ashr_i32 s19, s18, 31
	s_lshl_b64 s[18:19], s[18:19], 1
	s_waitcnt lgkmcnt(0)
	s_add_u32 s4, s10, s18
	s_addc_u32 s9, s11, s19
	s_ashr_i32 s17, s16, 31
	s_delay_alu instid0(SALU_CYCLE_1) | instskip(NEXT) | instid1(SALU_CYCLE_1)
	s_lshl_b64 s[10:11], s[16:17], 1
	s_add_u32 s10, s4, s10
	s_addc_u32 s11, s9, s11
	global_load_b128 v[1:4], v9, s[10:11]
	s_waitcnt vmcnt(0)
	ds_store_b128 v9, v[1:4]
.LBB122_5:
	s_or_b32 exec_lo, exec_lo, s8
	s_add_i32 s4, s28, 31
	s_clause 0x1
	s_load_b128 s[8:11], s[0:1], 0x0
	s_load_b64 s[18:19], s[0:1], 0x10
	s_ashr_i32 s15, s4, 31
	s_mul_i32 s34, s26, s2
	s_lshr_b32 s17, s15, 27
	s_lshl_b32 s15, s12, 4
	s_add_i32 s4, s4, s17
	s_load_b64 s[24:25], s[0:1], 0x28
	s_ashr_i32 s23, s4, 5
	s_clause 0x1
	s_load_b32 s4, s[0:1], 0x98
	s_load_b32 s33, s[0:1], 0x48
	s_add_i32 s17, s15, 16
	s_sub_i32 s27, s27, s34
	s_min_i32 s17, s17, s23
	s_xor_b32 s7, s7, s31
	s_add_i32 s31, s26, 1
	s_sub_i32 s34, s27, s2
	s_cmp_ge_u32 s27, s2
	v_lshrrev_b32_e32 v10, 5, v0
	s_cselect_b32 s26, s31, s26
	s_cselect_b32 s27, s34, s27
	s_add_i32 s31, s26, 1
	s_cmp_ge_u32 s27, s2
	v_dual_mov_b32 v14, 0xff7fffff :: v_dual_add_nc_u32 v5, s15, v10
	v_and_b32_e32 v11, 31, v0
	s_cselect_b32 s2, s31, s26
	v_lshlrev_b32_e32 v12, 5, v10
	s_xor_b32 s2, s2, s7
	v_ashrrev_i32_e32 v6, 31, v5
	s_sub_i32 s7, s2, s7
	v_cmp_gt_i32_e64 s2, s17, v5
	v_lshlrev_b32_e32 v13, 2, v11
	s_waitcnt lgkmcnt(0)
	s_mul_i32 s26, s14, s33
	s_mul_i32 s6, s7, s6
	s_ashr_i32 s27, s26, 31
	s_barrier
	buffer_gl0_inv
	s_and_saveexec_b32 s31, s2
	s_cbranch_execz .LBB122_9
; %bb.6:
	s_load_b64 s[0:1], s[0:1], 0x20
	s_ashr_i32 s7, s6, 31
	v_lshlrev_b64 v[1:2], 2, v[5:6]
	s_lshl_b64 s[34:35], s[6:7], 1
	v_dual_mov_b32 v14, 0xff7fffff :: v_dual_lshlrev_b32 v3, 4, v11
	v_lshl_or_b32 v4, v10, 7, v13
	v_dual_mov_b32 v15, 0 :: v_dual_mov_b32 v20, v5
	v_cmp_neq_f32_e64 vcc_lo, s30, 0
	v_add3_u32 v16, s29, v12, v11
	s_delay_alu instid0(VALU_DEP_4)
	v_add_nc_u32_e32 v17, 0xa0, v4
	s_waitcnt lgkmcnt(0)
	s_add_u32 s33, s0, s34
	s_addc_u32 s34, s1, s35
	s_lshl_b64 s[0:1], s[26:27], 2
	s_sub_i32 s7, 1, s28
	s_add_u32 s0, s20, s0
	v_add_co_u32 v18, s33, s33, v3
	s_addc_u32 s1, s21, s1
	v_add_co_u32 v7, s0, s0, v1
	v_add_co_ci_u32_e64 v19, null, s34, 0, s33
	v_add_co_ci_u32_e64 v8, s0, s1, v2, s0
	s_mov_b32 s34, s5
	s_mov_b32 s33, 0
.LBB122_7:                              ; =>This Inner Loop Header: Depth=1
	global_load_b32 v21, v[7:8], off
	ds_load_b128 v[1:4], v15
	v_dual_max_f32 v49, v14, v14 :: v_dual_add_nc_u32 v22, s7, v16
	v_add_nc_u32_e32 v20, 4, v20
	s_delay_alu instid0(VALU_DEP_2) | instskip(NEXT) | instid1(VALU_DEP_2)
	v_cvt_f32_i32_e32 v22, v22
	v_cmp_le_i32_e64 s1, s17, v20
	s_delay_alu instid0(VALU_DEP_2) | instskip(NEXT) | instid1(VALU_DEP_2)
	v_mul_f32_e32 v50, s30, v22
	s_or_b32 s33, s1, s33
	s_waitcnt lgkmcnt(0)
	v_lshrrev_b32_e32 v51, 16, v1
	v_and_b32_e32 v52, 0xffff, v1
	v_lshrrev_b32_e32 v53, 16, v2
	v_and_b32_e32 v54, 0xffff, v2
	;; [unrolled: 2-line block ×4, first 2 shown]
	s_waitcnt vmcnt(0)
	v_mad_i64_i32 v[1:2], null, v21, s34, 0
	s_delay_alu instid0(VALU_DEP_1) | instskip(NEXT) | instid1(VALU_DEP_1)
	v_lshlrev_b64 v[1:2], 1, v[1:2]
	v_add_co_u32 v45, s0, v18, v1
	s_delay_alu instid0(VALU_DEP_1) | instskip(SKIP_1) | instid1(VALU_DEP_1)
	v_add_co_ci_u32_e64 v46, s0, v19, v2, s0
	v_add_co_u32 v7, s0, v7, 16
	v_add_co_ci_u32_e64 v8, s0, 0, v8, s0
	s_clause 0x7
	global_load_b128 v[1:4], v[45:46], off
	global_load_b128 v[21:24], v[45:46], off offset:512
	global_load_b128 v[25:28], v[45:46], off offset:1024
	;; [unrolled: 1-line block ×7, first 2 shown]
	;;#ASMSTART
	v_cvt_f32_f16 v52, v52;
	;;#ASMEND
	;;#ASMSTART
	v_cvt_f32_f16 v51, v51;
	;;#ASMEND
	v_cmp_gt_i32_e64 s0, s28, v16
	v_add_nc_u32_e32 v16, 0x80, v16
	s_waitcnt vmcnt(7)
	v_lshrrev_b32_e32 v59, 16, v1
	v_and_b32_e32 v1, 0xffff, v1
	v_lshrrev_b32_e32 v60, 16, v2
	v_lshrrev_b32_e32 v61, 16, v3
	v_and_b32_e32 v3, 0xffff, v3
	v_lshrrev_b32_e32 v62, 16, v4
	;;#ASMSTART
	v_cvt_f32_f16 v91, v1;
	;;#ASMEND
	v_and_b32_e32 v2, 0xffff, v2
	;;#ASMSTART
	v_cvt_f32_f16 v59, v59;
	;;#ASMEND
	v_and_b32_e32 v4, 0xffff, v4
	;;#ASMSTART
	v_cvt_f32_f16 v54, v54;
	;;#ASMEND
	;;#ASMSTART
	v_cvt_f32_f16 v53, v53;
	;;#ASMEND
	;; [unrolled: 3-line block ×12, first 2 shown]
	ds_load_b128 v[1:4], v15 offset:16
	s_waitcnt vmcnt(6)
	v_lshrrev_b32_e32 v63, 16, v21
	v_and_b32_e32 v21, 0xffff, v21
	v_lshrrev_b32_e32 v64, 16, v22
	v_and_b32_e32 v22, 0xffff, v22
	;; [unrolled: 2-line block ×3, first 2 shown]
	v_lshrrev_b32_e32 v66, 16, v24
	s_waitcnt vmcnt(5)
	v_lshrrev_b32_e32 v67, 16, v25
	v_lshrrev_b32_e32 v68, 16, v26
	v_lshrrev_b32_e32 v69, 16, v27
	s_waitcnt vmcnt(4)
	v_lshrrev_b32_e32 v71, 16, v29
	v_lshrrev_b32_e32 v70, 16, v28
	;; [unrolled: 4-line block ×3, first 2 shown]
	v_lshrrev_b32_e32 v74, 16, v32
	v_lshrrev_b32_e32 v77, 16, v35
	s_waitcnt vmcnt(2)
	v_lshrrev_b32_e32 v81, 16, v39
	v_lshrrev_b32_e32 v76, 16, v34
	s_waitcnt lgkmcnt(0)
	v_lshrrev_b32_e32 v95, 16, v1
	v_lshrrev_b32_e32 v96, 16, v2
	;; [unrolled: 1-line block ×3, first 2 shown]
	v_and_b32_e32 v1, 0xffff, v1
	v_and_b32_e32 v2, 0xffff, v2
	;; [unrolled: 1-line block ×3, first 2 shown]
	;;#ASMSTART
	v_cvt_f32_f16 v99, v1;
	;;#ASMEND
	;;#ASMSTART
	v_cvt_f32_f16 v95, v95;
	;;#ASMEND
	;; [unrolled: 3-line block ×12, first 2 shown]
	v_dual_mul_f32 v65, v97, v65 :: v_dual_and_b32 v24, 0xffff, v24
	v_lshrrev_b32_e32 v98, 16, v4
	v_and_b32_e32 v4, 0xffff, v4
	;;#ASMSTART
	v_cvt_f32_f16 v102, v4;
	;;#ASMEND
	;;#ASMSTART
	v_cvt_f32_f16 v98, v98;
	;;#ASMEND
	v_fmac_f32_e32 v65, v55, v61
	;;#ASMSTART
	v_cvt_f32_f16 v24, v24;
	;;#ASMEND
	;;#ASMSTART
	v_cvt_f32_f16 v66, v66;
	;;#ASMEND
	ds_load_b128 v[1:4], v15 offset:32
	v_mul_f32_e32 v21, v99, v21
	v_mul_f32_e32 v23, v101, v23
	v_dual_mul_f32 v63, v95, v63 :: v_dual_mul_f32 v64, v96, v64
	v_dual_mul_f32 v66, v98, v66 :: v_dual_and_b32 v25, 0xffff, v25
	v_mul_f32_e32 v22, v100, v22
	v_dual_mul_f32 v24, v102, v24 :: v_dual_fmac_f32 v21, v52, v91
	v_fmac_f32_e32 v23, v56, v93
	v_fmac_f32_e32 v63, v51, v59
	s_delay_alu instid0(VALU_DEP_4)
	v_dual_fmac_f32 v22, v54, v92 :: v_dual_and_b32 v27, 0xffff, v27
	v_dual_fmac_f32 v64, v53, v60 :: v_dual_and_b32 v29, 0xffff, v29
	;; [unrolled: 1-line block ×4, first 2 shown]
	s_waitcnt lgkmcnt(0)
	v_lshrrev_b32_e32 v51, 16, v1
	v_and_b32_e32 v1, 0xffff, v1
	v_lshrrev_b32_e32 v52, 16, v2
	v_lshrrev_b32_e32 v53, 16, v3
	;;#ASMSTART
	v_cvt_f32_f16 v55, v1;
	;;#ASMEND
	;;#ASMSTART
	v_cvt_f32_f16 v51, v51;
	;;#ASMEND
	;; [unrolled: 3-line block ×3, first 2 shown]
	v_dual_fmac_f32 v21, v55, v25 :: v_dual_and_b32 v26, 0xffff, v26
	v_and_b32_e32 v2, 0xffff, v2
	v_and_b32_e32 v3, 0xffff, v3
	v_lshrrev_b32_e32 v54, 16, v4
	v_and_b32_e32 v4, 0xffff, v4
	;;#ASMSTART
	v_cvt_f32_f16 v56, v67;
	;;#ASMEND
	;;#ASMSTART
	v_cvt_f32_f16 v57, v2;
	;;#ASMEND
	;; [unrolled: 3-line block ×8, first 2 shown]
	v_dual_fmac_f32 v23, v59, v27 :: v_dual_and_b32 v28, 0xffff, v28
	;;#ASMSTART
	v_cvt_f32_f16 v60, v69;
	;;#ASMEND
	;;#ASMSTART
	v_cvt_f32_f16 v61, v4;
	;;#ASMEND
	;; [unrolled: 3-line block ×5, first 2 shown]
	ds_load_b128 v[1:4], v15 offset:48
	v_dual_fmac_f32 v63, v51, v56 :: v_dual_and_b32 v30, 0xffff, v30
	v_dual_fmac_f32 v22, v57, v26 :: v_dual_and_b32 v35, 0xffff, v35
	;; [unrolled: 1-line block ×4, first 2 shown]
	v_lshrrev_b32_e32 v79, 16, v37
	v_dual_fmac_f32 v64, v52, v58 :: v_dual_and_b32 v37, 0xffff, v37
	s_waitcnt vmcnt(1)
	v_lshrrev_b32_e32 v83, 16, v41
	v_dual_fmac_f32 v66, v54, v62 :: v_dual_and_b32 v41, 0xffff, v41
	v_lshrrev_b32_e32 v78, 16, v36
	v_lshrrev_b32_e32 v80, 16, v38
	;; [unrolled: 1-line block ×3, first 2 shown]
	s_waitcnt vmcnt(0)
	v_lshrrev_b32_e32 v87, 16, v45
	v_lshrrev_b32_e32 v85, 16, v43
	s_waitcnt lgkmcnt(0)
	v_lshrrev_b32_e32 v25, 16, v1
	v_and_b32_e32 v1, 0xffff, v1
	v_lshrrev_b32_e32 v26, 16, v2
	v_and_b32_e32 v2, 0xffff, v2
	;; [unrolled: 2-line block ×4, first 2 shown]
	;;#ASMSTART
	v_cvt_f32_f16 v51, v1;
	;;#ASMEND
	;;#ASMSTART
	v_cvt_f32_f16 v25, v25;
	;;#ASMEND
	;; [unrolled: 3-line block ×3, first 2 shown]
	v_dual_fmac_f32 v21, v51, v29 :: v_dual_and_b32 v32, 0xffff, v32
	;;#ASMSTART
	v_cvt_f32_f16 v52, v71;
	;;#ASMEND
	;;#ASMSTART
	v_cvt_f32_f16 v53, v2;
	;;#ASMEND
	;; [unrolled: 3-line block ×13, first 2 shown]
	ds_load_b128 v[1:4], v15 offset:64
	v_dual_fmac_f32 v23, v55, v31 :: v_dual_and_b32 v36, 0xffff, v36
	v_dual_fmac_f32 v63, v25, v52 :: v_dual_and_b32 v38, 0xffff, v38
	;; [unrolled: 1-line block ×5, first 2 shown]
	v_fmac_f32_e32 v22, v53, v30
	v_lshrrev_b32_e32 v89, 16, v47
	v_dual_fmac_f32 v24, v57, v32 :: v_dual_and_b32 v47, 0xffff, v47
	v_lshrrev_b32_e32 v86, 16, v44
	v_lshrrev_b32_e32 v82, 16, v40
	;; [unrolled: 1-line block ×4, first 2 shown]
	s_waitcnt lgkmcnt(0)
	v_lshrrev_b32_e32 v25, 16, v1
	v_and_b32_e32 v1, 0xffff, v1
	v_lshrrev_b32_e32 v26, 16, v2
	v_and_b32_e32 v2, 0xffff, v2
	v_lshrrev_b32_e32 v27, 16, v3
	v_and_b32_e32 v3, 0xffff, v3
	v_lshrrev_b32_e32 v28, 16, v4
	v_and_b32_e32 v4, 0xffff, v4
	;;#ASMSTART
	v_cvt_f32_f16 v29, v1;
	;;#ASMEND
	;;#ASMSTART
	v_cvt_f32_f16 v25, v25;
	;;#ASMEND
	;; [unrolled: 3-line block ×16, first 2 shown]
	ds_load_b128 v[1:4], v15 offset:80
	v_fmac_f32_e32 v22, v32, v33
	v_dual_fmac_f32 v63, v25, v31 :: v_dual_and_b32 v44, 0xffff, v44
	v_fmac_f32_e32 v64, v26, v34
	v_dual_fmac_f32 v21, v29, v30 :: v_dual_and_b32 v40, 0xffff, v40
	v_fmac_f32_e32 v65, v27, v52
	v_fmac_f32_e32 v24, v53, v36
	;; [unrolled: 1-line block ×3, first 2 shown]
	v_dual_fmac_f32 v23, v51, v35 :: v_dual_and_b32 v46, 0xffff, v46
	s_waitcnt lgkmcnt(0)
	v_lshrrev_b32_e32 v25, 16, v1
	v_lshrrev_b32_e32 v26, 16, v2
	v_and_b32_e32 v1, 0xffff, v1
	v_and_b32_e32 v2, 0xffff, v2
	v_lshrrev_b32_e32 v27, 16, v3
	v_lshrrev_b32_e32 v28, 16, v4
	v_and_b32_e32 v4, 0xffff, v4
	;;#ASMSTART
	v_cvt_f32_f16 v29, v1;
	;;#ASMEND
	;;#ASMSTART
	v_cvt_f32_f16 v25, v25;
	;;#ASMEND
	;;#ASMSTART
	v_cvt_f32_f16 v30, v37;
	;;#ASMEND
	;;#ASMSTART
	v_cvt_f32_f16 v31, v79;
	;;#ASMEND
	;;#ASMSTART
	v_cvt_f32_f16 v32, v2;
	;;#ASMEND
	;;#ASMSTART
	v_cvt_f32_f16 v26, v26;
	;;#ASMEND
	;;#ASMSTART
	v_cvt_f32_f16 v33, v38;
	;;#ASMEND
	v_dual_fmac_f32 v22, v32, v33 :: v_dual_and_b32 v3, 0xffff, v3
	;;#ASMSTART
	v_cvt_f32_f16 v34, v80;
	;;#ASMEND
	;;#ASMSTART
	v_cvt_f32_f16 v35, v3;
	;;#ASMEND
	;; [unrolled: 3-line block ×9, first 2 shown]
	ds_load_b128 v[1:4], v15 offset:96
	v_dual_fmac_f32 v63, v25, v31 :: v_dual_fmac_f32 v64, v26, v34
	v_dual_fmac_f32 v65, v27, v37 :: v_dual_fmac_f32 v66, v28, v40
	v_dual_fmac_f32 v21, v29, v30 :: v_dual_and_b32 v48, 0xffff, v48
	v_dual_fmac_f32 v23, v35, v36 :: v_dual_fmac_f32 v24, v38, v39
	s_waitcnt lgkmcnt(0)
	v_lshrrev_b32_e32 v25, 16, v1
	v_and_b32_e32 v1, 0xffff, v1
	v_lshrrev_b32_e32 v26, 16, v2
	v_and_b32_e32 v2, 0xffff, v2
	;; [unrolled: 2-line block ×4, first 2 shown]
	;;#ASMSTART
	v_cvt_f32_f16 v29, v1;
	;;#ASMEND
	;;#ASMSTART
	v_cvt_f32_f16 v25, v25;
	;;#ASMEND
	;;#ASMSTART
	v_cvt_f32_f16 v30, v41;
	;;#ASMEND
	;;#ASMSTART
	v_cvt_f32_f16 v31, v83;
	;;#ASMEND
	;;#ASMSTART
	v_cvt_f32_f16 v32, v2;
	;;#ASMEND
	;;#ASMSTART
	v_cvt_f32_f16 v26, v26;
	;;#ASMEND
	;;#ASMSTART
	v_cvt_f32_f16 v33, v42;
	;;#ASMEND
	;;#ASMSTART
	v_cvt_f32_f16 v34, v84;
	;;#ASMEND
	;;#ASMSTART
	v_cvt_f32_f16 v35, v3;
	;;#ASMEND
	;;#ASMSTART
	v_cvt_f32_f16 v27, v27;
	;;#ASMEND
	;;#ASMSTART
	v_cvt_f32_f16 v36, v43;
	;;#ASMEND
	;;#ASMSTART
	v_cvt_f32_f16 v37, v85;
	;;#ASMEND
	;;#ASMSTART
	v_cvt_f32_f16 v38, v4;
	;;#ASMEND
	;;#ASMSTART
	v_cvt_f32_f16 v28, v28;
	;;#ASMEND
	;;#ASMSTART
	v_cvt_f32_f16 v39, v44;
	;;#ASMEND
	;;#ASMSTART
	v_cvt_f32_f16 v40, v86;
	;;#ASMEND
	ds_load_b128 v[1:4], v15 offset:112
	v_fmac_f32_e32 v21, v29, v30
	v_fmac_f32_e32 v63, v25, v31
	;; [unrolled: 1-line block ×4, first 2 shown]
	v_dual_fmac_f32 v64, v26, v34 :: v_dual_fmac_f32 v65, v27, v37
	v_fmac_f32_e32 v23, v35, v36
	v_fmac_f32_e32 v66, v28, v40
	s_waitcnt lgkmcnt(0)
	v_lshrrev_b32_e32 v25, 16, v1
	v_and_b32_e32 v1, 0xffff, v1
	;;#ASMSTART
	v_cvt_f32_f16 v1, v1;
	;;#ASMEND
	;;#ASMSTART
	v_cvt_f32_f16 v25, v25;
	;;#ASMEND
	;; [unrolled: 3-line block ×4, first 2 shown]
	v_fmac_f32_e32 v21, v1, v29
	v_fmac_f32_e32 v63, v25, v30
	v_lshrrev_b32_e32 v26, 16, v2
	v_and_b32_e32 v2, 0xffff, v2
	;;#ASMSTART
	v_cvt_f32_f16 v2, v2;
	;;#ASMEND
	;;#ASMSTART
	v_cvt_f32_f16 v26, v26;
	;;#ASMEND
	;; [unrolled: 3-line block ×3, first 2 shown]
	s_delay_alu instid0(VALU_DEP_1) | instskip(SKIP_4) | instid1(VALU_DEP_3)
	v_fmac_f32_e32 v22, v2, v31
	v_add_f32_e32 v2, v21, v63
	v_lshrrev_b32_e32 v27, 16, v3
	;;#ASMSTART
	v_cvt_f32_f16 v32, v88;
	;;#ASMEND
	v_dual_fmac_f32 v64, v26, v32 :: v_dual_and_b32 v3, 0xffff, v3
	v_add_f32_e32 v2, v2, v22
	;;#ASMSTART
	v_cvt_f32_f16 v3, v3;
	;;#ASMEND
	;;#ASMSTART
	v_cvt_f32_f16 v27, v27;
	;;#ASMEND
	;; [unrolled: 3-line block ×3, first 2 shown]
	v_fmac_f32_e32 v23, v3, v1
	v_add_f32_e32 v1, v64, v2
	v_lshrrev_b32_e32 v28, 16, v4
	v_and_b32_e32 v4, 0xffff, v4
	;;#ASMSTART
	v_cvt_f32_f16 v21, v89;
	;;#ASMEND
	v_fmac_f32_e32 v65, v27, v21
	v_add_f32_e32 v1, v1, v23
	;;#ASMSTART
	v_cvt_f32_f16 v4, v4;
	;;#ASMEND
	;;#ASMSTART
	v_cvt_f32_f16 v2, v28;
	;;#ASMEND
	;;#ASMSTART
	v_cvt_f32_f16 v3, v48;
	;;#ASMEND
	s_delay_alu instid0(VALU_DEP_1) | instskip(SKIP_2) | instid1(VALU_DEP_2)
	v_dual_fmac_f32 v24, v4, v3 :: v_dual_add_f32 v1, v65, v1
	;;#ASMSTART
	v_cvt_f32_f16 v3, v90;
	;;#ASMEND
	v_fmac_f32_e32 v66, v2, v3
	v_dual_cndmask_b32 v2, 0, v50 :: v_dual_add_f32 v1, v1, v24
	s_delay_alu instid0(VALU_DEP_1) | instskip(NEXT) | instid1(VALU_DEP_1)
	v_add_f32_e32 v1, v66, v1
	v_fmac_f32_e32 v2, s3, v1
	s_delay_alu instid0(VALU_DEP_1)
	v_cndmask_b32_e64 v1, 0, v2, s0
	v_max_f32_e32 v2, v49, v2
	ds_store_b32 v17, v1
	v_add_nc_u32_e32 v17, 0x200, v17
	v_cndmask_b32_e64 v14, v14, v2, s0
	s_and_not1_b32 exec_lo, exec_lo, s33
	s_cbranch_execnz .LBB122_7
; %bb.8:
	s_or_b32 exec_lo, exec_lo, s33
.LBB122_9:
	s_delay_alu instid0(SALU_CYCLE_1) | instskip(SKIP_1) | instid1(VALU_DEP_1)
	s_or_b32 exec_lo, exec_lo, s31
	v_mbcnt_lo_u32_b32 v1, -1, 0
	v_xor_b32_e32 v2, 16, v1
	v_xor_b32_e32 v4, 8, v1
	s_delay_alu instid0(VALU_DEP_2) | instskip(SKIP_1) | instid1(VALU_DEP_3)
	v_cmp_gt_i32_e32 vcc_lo, 32, v2
	v_cndmask_b32_e32 v2, v1, v2, vcc_lo
	v_cmp_gt_i32_e32 vcc_lo, 32, v4
	v_max_f32_e32 v7, v14, v14
	s_delay_alu instid0(VALU_DEP_3) | instskip(SKIP_4) | instid1(VALU_DEP_1)
	v_lshlrev_b32_e32 v2, 2, v2
	v_cndmask_b32_e32 v4, v1, v4, vcc_lo
	ds_bpermute_b32 v3, v2, v14
	s_waitcnt lgkmcnt(0)
	v_dual_max_f32 v8, v3, v3 :: v_dual_lshlrev_b32 v3, 2, v4
	v_max_f32_e32 v4, v7, v8
	v_xor_b32_e32 v8, 4, v1
	ds_bpermute_b32 v7, v3, v4
	v_cmp_gt_i32_e32 vcc_lo, 32, v8
	v_cndmask_b32_e32 v8, v1, v8, vcc_lo
	s_waitcnt lgkmcnt(0)
	s_delay_alu instid0(VALU_DEP_1) | instskip(NEXT) | instid1(VALU_DEP_1)
	v_dual_max_f32 v14, v7, v7 :: v_dual_lshlrev_b32 v7, 2, v8
	v_max_f32_e32 v4, v4, v14
	v_xor_b32_e32 v14, 2, v1
	ds_bpermute_b32 v8, v7, v4
	v_cmp_gt_i32_e32 vcc_lo, 32, v14
	v_cndmask_b32_e32 v14, v1, v14, vcc_lo
	s_delay_alu instid0(VALU_DEP_1) | instskip(SKIP_1) | instid1(VALU_DEP_1)
	v_lshlrev_b32_e32 v15, 2, v14
	v_xor_b32_e32 v14, 1, v1
	v_cmp_gt_i32_e32 vcc_lo, 32, v14
	s_waitcnt lgkmcnt(0)
	v_max_f32_e32 v8, v8, v8
	v_cndmask_b32_e32 v14, v1, v14, vcc_lo
	v_cmp_eq_u32_e32 vcc_lo, 0, v11
	s_delay_alu instid0(VALU_DEP_3) | instskip(NEXT) | instid1(VALU_DEP_3)
	v_max_f32_e32 v4, v4, v8
	v_lshlrev_b32_e32 v14, 2, v14
	ds_bpermute_b32 v8, v15, v4
	s_waitcnt lgkmcnt(0)
	v_max_f32_e32 v8, v8, v8
	s_delay_alu instid0(VALU_DEP_1)
	v_dual_max_f32 v1, v4, v8 :: v_dual_lshlrev_b32 v8, 2, v10
	ds_bpermute_b32 v4, v14, v1
	s_and_saveexec_b32 s0, vcc_lo
	s_cbranch_execz .LBB122_11
; %bb.10:
	s_waitcnt lgkmcnt(0)
	v_dual_max_f32 v4, v4, v4 :: v_dual_max_f32 v1, v1, v1
	s_delay_alu instid0(VALU_DEP_1)
	v_max_f32_e32 v1, v1, v4
	ds_store_b32 v8, v1 offset:128
.LBB122_11:
	s_or_b32 exec_lo, exec_lo, s0
	v_cmp_gt_u32_e64 s0, 4, v11
	v_mov_b32_e32 v1, 0xff7fffff
	s_waitcnt lgkmcnt(0)
	s_barrier
	buffer_gl0_inv
	s_and_saveexec_b32 s1, s0
	s_cbranch_execz .LBB122_13
; %bb.12:
	ds_load_b32 v1, v13 offset:128
.LBB122_13:
	s_or_b32 exec_lo, exec_lo, s1
	s_waitcnt lgkmcnt(0)
	ds_bpermute_b32 v4, v15, v1
	v_max_f32_e32 v1, v1, v1
	s_sub_i32 s1, s17, s15
	v_mov_b32_e32 v16, 0
	s_lshl_b32 s1, s1, 5
	s_delay_alu instid0(SALU_CYCLE_1) | instskip(NEXT) | instid1(SALU_CYCLE_1)
	s_add_i32 s1, s1, s29
	s_min_i32 s1, s1, s28
	s_delay_alu instid0(SALU_CYCLE_1) | instskip(NEXT) | instid1(SALU_CYCLE_1)
	s_sub_i32 s7, s1, s29
	v_cmp_gt_i32_e64 s1, s7, v0
	s_waitcnt lgkmcnt(0)
	v_max_f32_e32 v4, v4, v4
	s_delay_alu instid0(VALU_DEP_1) | instskip(SKIP_3) | instid1(VALU_DEP_1)
	v_max_f32_e32 v1, v1, v4
	ds_bpermute_b32 v4, v14, v1
	s_waitcnt lgkmcnt(0)
	v_max_f32_e32 v4, v4, v4
	v_max_f32_e32 v1, v1, v4
	v_lshl_add_u32 v4, v0, 2, 0xa0
	ds_bpermute_b32 v1, v16, v1
	s_and_saveexec_b32 s15, s1
	s_cbranch_execz .LBB122_17
; %bb.14:
	v_lshl_add_u32 v17, v0, 2, 0xa0
	v_mov_b32_e32 v16, 0
	v_mov_b32_e32 v18, v0
	s_mov_b32 s30, 0
	.p2align	6
.LBB122_15:                             ; =>This Inner Loop Header: Depth=1
	ds_load_b32 v19, v17
	v_add_nc_u32_e32 v18, 0x80, v18
	s_delay_alu instid0(VALU_DEP_1) | instskip(NEXT) | instid1(VALU_DEP_1)
	v_cmp_le_i32_e64 s3, s7, v18
	s_or_b32 s30, s3, s30
	s_waitcnt lgkmcnt(0)
	v_sub_f32_e32 v19, v19, v1
	s_delay_alu instid0(VALU_DEP_1) | instskip(NEXT) | instid1(VALU_DEP_1)
	v_mul_f32_e32 v19, 0x3fb8aa3b, v19
	v_exp_f32_e32 v19, v19
	ds_store_b32 v17, v19
	v_dual_add_f32 v16, v16, v19 :: v_dual_add_nc_u32 v17, 0x200, v17
	s_and_not1_b32 exec_lo, exec_lo, s30
	s_cbranch_execnz .LBB122_15
; %bb.16:
	s_or_b32 exec_lo, exec_lo, s30
.LBB122_17:
	s_delay_alu instid0(SALU_CYCLE_1)
	s_or_b32 exec_lo, exec_lo, s15
	ds_bpermute_b32 v2, v2, v16
	s_waitcnt lgkmcnt(0)
	v_add_f32_e32 v2, v16, v2
	ds_bpermute_b32 v3, v3, v2
	s_waitcnt lgkmcnt(0)
	v_add_f32_e32 v2, v2, v3
	;; [unrolled: 3-line block ×5, first 2 shown]
	s_and_saveexec_b32 s3, vcc_lo
	s_cbranch_execz .LBB122_19
; %bb.18:
	ds_store_b32 v8, v2 offset:144
.LBB122_19:
	s_or_b32 exec_lo, exec_lo, s3
	s_waitcnt lgkmcnt(0)
	s_barrier
	buffer_gl0_inv
	s_and_saveexec_b32 s3, s0
	s_cbranch_execz .LBB122_21
; %bb.20:
	ds_load_b32 v2, v13 offset:144
.LBB122_21:
	s_or_b32 exec_lo, exec_lo, s3
	s_waitcnt lgkmcnt(0)
	ds_bpermute_b32 v3, v15, v2
	s_waitcnt lgkmcnt(0)
	v_add_f32_e32 v2, v2, v3
	ds_bpermute_b32 v3, v14, v2
	s_waitcnt lgkmcnt(0)
	v_dual_add_f32 v2, v2, v3 :: v_dual_mov_b32 v3, 0
	ds_bpermute_b32 v2, v3, v2
	s_and_saveexec_b32 s0, s1
	s_cbranch_execz .LBB122_24
; %bb.22:
	s_waitcnt lgkmcnt(0)
	v_add_f32_e32 v3, 0x358637bd, v2
	s_mov_b32 s1, 0
	s_delay_alu instid0(VALU_DEP_1) | instskip(NEXT) | instid1(VALU_DEP_1)
	v_div_scale_f32 v7, null, v3, v3, 1.0
	v_rcp_f32_e32 v8, v7
	s_waitcnt_depctr 0xfff
	v_fma_f32 v13, -v7, v8, 1.0
	s_delay_alu instid0(VALU_DEP_1) | instskip(SKIP_1) | instid1(VALU_DEP_1)
	v_fmac_f32_e32 v8, v13, v8
	v_div_scale_f32 v16, vcc_lo, 1.0, v3, 1.0
	v_mul_f32_e32 v13, v16, v8
	s_delay_alu instid0(VALU_DEP_1) | instskip(NEXT) | instid1(VALU_DEP_1)
	v_fma_f32 v17, -v7, v13, v16
	v_fmac_f32_e32 v13, v17, v8
	s_delay_alu instid0(VALU_DEP_1) | instskip(NEXT) | instid1(VALU_DEP_1)
	v_fma_f32 v7, -v7, v13, v16
	v_div_fmas_f32 v7, v7, v8, v13
	s_delay_alu instid0(VALU_DEP_1)
	v_div_fixup_f32 v3, v7, v3, 1.0
	v_mov_b32_e32 v7, v0
.LBB122_23:                             ; =>This Inner Loop Header: Depth=1
	ds_load_b32 v8, v4
	s_waitcnt lgkmcnt(0)
	v_dual_mul_f32 v8, v3, v8 :: v_dual_add_nc_u32 v7, 0x80, v7
	s_delay_alu instid0(VALU_DEP_1) | instskip(SKIP_3) | instid1(SALU_CYCLE_1)
	v_cmp_le_i32_e32 vcc_lo, s7, v7
	ds_store_b32 v4, v8
	v_add_nc_u32_e32 v4, 0x200, v4
	s_or_b32 s1, vcc_lo, s1
	s_and_not1_b32 exec_lo, exec_lo, s1
	s_cbranch_execnz .LBB122_23
.LBB122_24:
	s_or_b32 exec_lo, exec_lo, s0
	s_mul_i32 s0, s4, s14
	s_waitcnt lgkmcnt(0)
	s_mul_i32 s14, s0, s13
	s_mov_b32 s0, exec_lo
	s_barrier
	buffer_gl0_inv
	v_cmpx_eq_u32_e32 0, v0
	s_cbranch_execz .LBB122_26
; %bb.25:
	s_ashr_i32 s15, s14, 31
	s_mul_i32 s34, s4, s22
	s_lshl_b64 s[30:31], s[14:15], 2
	v_mov_b32_e32 v3, 0
	s_add_u32 s1, s10, s30
	s_addc_u32 s3, s11, s31
	s_ashr_i32 s35, s34, 31
	s_delay_alu instid0(SALU_CYCLE_1) | instskip(NEXT) | instid1(SALU_CYCLE_1)
	s_lshl_b64 s[10:11], s[34:35], 2
	s_add_u32 s1, s1, s10
	s_addc_u32 s3, s3, s11
	s_ashr_i32 s13, s12, 31
	s_delay_alu instid0(SALU_CYCLE_1) | instskip(NEXT) | instid1(SALU_CYCLE_1)
	s_lshl_b64 s[34:35], s[12:13], 2
	s_add_u32 s36, s1, s34
	s_addc_u32 s37, s3, s35
	s_add_u32 s1, s8, s30
	s_addc_u32 s3, s9, s31
	;; [unrolled: 2-line block ×4, first 2 shown]
	s_clause 0x1
	global_store_b32 v3, v1, s[36:37]
	global_store_b32 v3, v2, s[8:9]
.LBB122_26:
	s_or_b32 exec_lo, exec_lo, s0
	v_dual_mov_b32 v16, 0 :: v_dual_and_b32 v13, 3, v0
	v_dual_mov_b32 v17, 0 :: v_dual_mov_b32 v20, 0
	v_dual_mov_b32 v19, 0 :: v_dual_mov_b32 v22, 0
	;; [unrolled: 1-line block ×3, first 2 shown]
	v_mov_b32_e32 v23, 0
	s_mov_b32 s3, 0
	s_and_saveexec_b32 s1, s2
	s_cbranch_execz .LBB122_46
; %bb.27:
	v_dual_mov_b32 v18, 0 :: v_dual_lshlrev_b32 v1, 3, v0
	v_dual_mov_b32 v23, 0 :: v_dual_lshlrev_b32 v2, 5, v13
	s_ashr_i32 s7, s6, 31
	s_delay_alu instid0(VALU_DEP_2)
	v_dual_mov_b32 v22, 0 :: v_dual_and_b32 v1, 24, v1
	v_dual_mov_b32 v20, 0 :: v_dual_and_b32 v3, 0x1f0, v9
	s_lshl_b64 s[6:7], s[6:7], 1
	v_lshl_or_b32 v4, v10, 7, v2
	s_add_u32 s0, s24, s6
	v_add3_u32 v12, s29, v12, v1
	v_lshlrev_b64 v[1:2], 2, v[5:6]
	s_addc_u32 s9, s25, s7
	v_add_co_u32 v24, s0, s0, v3
	s_lshl_b64 s[10:11], s[26:27], 2
	s_add_i32 s23, s23, -1
	v_add_co_ci_u32_e64 v25, null, s9, 0, s0
	s_add_u32 s0, s20, s10
	s_addc_u32 s9, s21, s11
	v_add_co_u32 v6, vcc_lo, s0, v1
	v_dual_mov_b32 v21, 0 :: v_dual_add_nc_u32 v26, 0xa0, v4
	v_add_co_ci_u32_e32 v7, vcc_lo, s9, v2, vcc_lo
	v_dual_mov_b32 v19, 0 :: v_dual_mov_b32 v16, 0
	v_mov_b32_e32 v17, 0
	s_mov_b32 s2, s5
	s_mov_b32 s5, s28
	;; [unrolled: 1-line block ×8, first 2 shown]
	s_branch .LBB122_29
.LBB122_28:                             ;   in Loop: Header=BB122_29 Depth=1
	s_or_b32 exec_lo, exec_lo, s0
	s_waitcnt vmcnt(0)
	;;#ASMSTART
	v_pk_mul_f16 v1, v37, v1;

	;;#ASMEND
	v_dual_add_f32 v8, v38, v39 :: v_dual_add_f32 v9, v40, v41
	;;#ASMSTART
	v_pk_mul_f16 v2, v36, v2;

	;;#ASMEND
	;;#ASMSTART
	v_pk_mul_f16 v3, v35, v3;

	;;#ASMEND
	;; [unrolled: 4-line block ×3, first 2 shown]
	;;#ASMSTART
	v_pk_add_f16 v1, v1, v2;

	;;#ASMEND
	;;#ASMSTART
	v_pk_add_f16 v1, v1, v3;

	;;#ASMEND
	;; [unrolled: 4-line block ×3, first 2 shown]
	v_dual_add_f32 v3, v46, v47 :: v_dual_and_b32 v2, 0xffff, v1
	v_lshrrev_b32_e32 v1, 16, v1
	v_add_nc_u32_e32 v5, 4, v5
	;;#ASMSTART
	v_cvt_f32_f16 v2, v2;
	;;#ASMEND
	;;#ASMSTART
	v_cvt_f32_f16 v1, v1;
	;;#ASMEND
	v_dual_add_f32 v27, v42, v43 :: v_dual_add_f32 v28, v44, v45
	v_dual_add_f32 v18, v18, v8 :: v_dual_add_f32 v23, v23, v9
	v_add_f32_e32 v8, v50, v51
	v_add_f32_e32 v4, v48, v49
	v_dual_add_f32 v1, v2, v1 :: v_dual_add_f32 v20, v20, v3
	v_cmp_le_i32_e32 vcc_lo, s17, v5
	v_add_co_u32 v6, s0, v6, 16
	v_dual_add_f32 v22, v22, v27 :: v_dual_add_f32 v21, v21, v28
	v_add_f32_e32 v17, v17, v8
	v_dual_add_f32 v19, v19, v4 :: v_dual_add_f32 v16, v16, v1
	v_add_nc_u32_e32 v12, 0x80, v12
	v_add_nc_u32_e32 v26, 0x200, v26
	v_add_co_ci_u32_e64 v7, s0, 0, v7, s0
	s_or_b32 s3, vcc_lo, s3
	s_delay_alu instid0(SALU_CYCLE_1)
	s_and_not1_b32 exec_lo, exec_lo, s3
	s_cbranch_execz .LBB122_45
.LBB122_29:                             ; =>This Inner Loop Header: Depth=1
	global_load_b32 v31, v[6:7], off
	ds_load_2addr_b64 v[1:4], v26 offset1:1
	ds_load_2addr_b64 v[27:30], v26 offset0:2 offset1:3
	v_or_b32_e32 v32, 7, v12
	v_or_b32_e32 v33, 6, v12
	s_waitcnt lgkmcnt(1)
	;;#ASMSTART
	v_cvt_f16_f32 v36, v1;

	;;#ASMEND
	;;#ASMSTART
	v_cvt_f16_f32 v34, v2;

	;;#ASMEND
	;; [unrolled: 4-line block ×4, first 2 shown]
	s_waitcnt lgkmcnt(0)
	;;#ASMSTART
	v_cvt_f16_f32 v40, v27;

	;;#ASMEND
	;;#ASMSTART
	v_cvt_f16_f32 v38, v28;

	;;#ASMEND
	;; [unrolled: 4-line block ×4, first 2 shown]
	v_add_nc_u32_e32 v27, 1, v12
	v_or_b32_e32 v29, 3, v12
	v_or_b32_e32 v28, 2, v12
	;; [unrolled: 1-line block ×3, first 2 shown]
	s_waitcnt vmcnt(0)
	v_mad_i64_i32 v[8:9], null, v31, s2, 0
	v_or_b32_e32 v31, 5, v12
	s_delay_alu instid0(VALU_DEP_2) | instskip(NEXT) | instid1(VALU_DEP_1)
	v_lshlrev_b64 v[8:9], 1, v[8:9]
	v_add_co_u32 v8, vcc_lo, v24, v8
	s_delay_alu instid0(VALU_DEP_2)
	v_add_co_ci_u32_e32 v9, vcc_lo, v25, v9, vcc_lo
	v_cmp_eq_u32_e32 vcc_lo, s23, v5
	global_load_b128 v[1:4], v[8:9], off
	s_and_saveexec_b32 s13, vcc_lo
	s_cbranch_execz .LBB122_31
; %bb.30:                               ;   in Loop: Header=BB122_29 Depth=1
	v_cmp_gt_i32_e64 s0, s10, v33
	s_waitcnt vmcnt(0)
	v_lshrrev_b32_e32 v42, 16, v4
	v_lshrrev_b32_e32 v43, 16, v3
	;; [unrolled: 1-line block ×4, first 2 shown]
	v_cndmask_b32_e64 v4, 0, v4, s0
	v_cmp_gt_i32_e64 s0, s11, v32
	s_delay_alu instid0(VALU_DEP_1) | instskip(SKIP_1) | instid1(VALU_DEP_2)
	v_cndmask_b32_e64 v42, 0, v42, s0
	v_cmp_gt_i32_e64 s0, s9, v31
	v_perm_b32 v4, v42, v4, 0x5040100
	s_delay_alu instid0(VALU_DEP_2) | instskip(SKIP_1) | instid1(VALU_DEP_1)
	v_cndmask_b32_e64 v43, 0, v43, s0
	v_cmp_gt_i32_e64 s0, s8, v30
	v_cndmask_b32_e64 v3, 0, v3, s0
	v_cmp_gt_i32_e64 s0, s7, v29
	s_delay_alu instid0(VALU_DEP_2) | instskip(NEXT) | instid1(VALU_DEP_2)
	v_perm_b32 v3, v43, v3, 0x5040100
	v_cndmask_b32_e64 v44, 0, v44, s0
	v_cmp_gt_i32_e64 s0, s6, v28
	s_delay_alu instid0(VALU_DEP_1) | instskip(SKIP_1) | instid1(VALU_DEP_2)
	v_cndmask_b32_e64 v2, 0, v2, s0
	v_cmp_gt_i32_e64 s0, s5, v27
	v_perm_b32 v2, v44, v2, 0x5040100
	s_delay_alu instid0(VALU_DEP_2) | instskip(SKIP_1) | instid1(VALU_DEP_1)
	v_cndmask_b32_e64 v45, 0, v45, s0
	v_cmp_gt_i32_e64 s0, s28, v12
	v_cndmask_b32_e64 v1, 0, v1, s0
	s_delay_alu instid0(VALU_DEP_1)
	v_perm_b32 v1, v45, v1, 0x5040100
.LBB122_31:                             ;   in Loop: Header=BB122_29 Depth=1
	s_or_b32 exec_lo, exec_lo, s13
	v_and_b32_e32 v36, 0xffff, v36
	v_and_b32_e32 v42, 0xffff, v37
	;; [unrolled: 1-line block ×4, first 2 shown]
	s_delay_alu instid0(VALU_DEP_4)
	v_lshl_or_b32 v37, v34, 16, v36
	s_waitcnt vmcnt(0)
	;;#ASMSTART
	v_pk_mul_f16 v1, v37, v1;

	;;#ASMEND
	v_lshl_or_b32 v36, v35, 16, v42
	v_lshl_or_b32 v35, v38, 16, v40
	;; [unrolled: 1-line block ×3, first 2 shown]
	;;#ASMSTART
	v_pk_mul_f16 v2, v36, v2;

	;;#ASMEND
	;;#ASMSTART
	v_pk_mul_f16 v3, v35, v3;

	;;#ASMEND
	;; [unrolled: 4-line block ×3, first 2 shown]
	;;#ASMSTART
	v_pk_add_f16 v1, v1, v2;

	;;#ASMEND
	;;#ASMSTART
	v_pk_add_f16 v1, v1, v3;

	;;#ASMEND
	;; [unrolled: 4-line block ×3, first 2 shown]
	v_and_b32_e32 v2, 0xffff, v1
	v_lshrrev_b32_e32 v1, 16, v1
	;;#ASMSTART
	v_cvt_f32_f16 v38, v2;
	;;#ASMEND
	;;#ASMSTART
	v_cvt_f32_f16 v39, v1;
	;;#ASMEND
	global_load_b128 v[1:4], v[8:9], off offset:512
	s_and_saveexec_b32 s13, vcc_lo
	s_cbranch_execz .LBB122_33
; %bb.32:                               ;   in Loop: Header=BB122_29 Depth=1
	v_cmp_gt_i32_e64 s0, s10, v33
	s_waitcnt vmcnt(0)
	v_lshrrev_b32_e32 v40, 16, v4
	v_lshrrev_b32_e32 v41, 16, v3
	;; [unrolled: 1-line block ×4, first 2 shown]
	v_cndmask_b32_e64 v4, 0, v4, s0
	v_cmp_gt_i32_e64 s0, s11, v32
	s_delay_alu instid0(VALU_DEP_1) | instskip(SKIP_1) | instid1(VALU_DEP_2)
	v_cndmask_b32_e64 v40, 0, v40, s0
	v_cmp_gt_i32_e64 s0, s9, v31
	v_perm_b32 v4, v40, v4, 0x5040100
	s_delay_alu instid0(VALU_DEP_2) | instskip(SKIP_1) | instid1(VALU_DEP_1)
	v_cndmask_b32_e64 v41, 0, v41, s0
	v_cmp_gt_i32_e64 s0, s8, v30
	v_cndmask_b32_e64 v3, 0, v3, s0
	v_cmp_gt_i32_e64 s0, s7, v29
	s_delay_alu instid0(VALU_DEP_2) | instskip(NEXT) | instid1(VALU_DEP_2)
	v_perm_b32 v3, v41, v3, 0x5040100
	v_cndmask_b32_e64 v42, 0, v42, s0
	v_cmp_gt_i32_e64 s0, s6, v28
	s_delay_alu instid0(VALU_DEP_1) | instskip(SKIP_1) | instid1(VALU_DEP_2)
	v_cndmask_b32_e64 v2, 0, v2, s0
	v_cmp_gt_i32_e64 s0, s5, v27
	v_perm_b32 v2, v42, v2, 0x5040100
	s_delay_alu instid0(VALU_DEP_2) | instskip(SKIP_1) | instid1(VALU_DEP_1)
	v_cndmask_b32_e64 v43, 0, v43, s0
	v_cmp_gt_i32_e64 s0, s28, v12
	v_cndmask_b32_e64 v1, 0, v1, s0
	s_delay_alu instid0(VALU_DEP_1)
	v_perm_b32 v1, v43, v1, 0x5040100
.LBB122_33:                             ;   in Loop: Header=BB122_29 Depth=1
	s_or_b32 exec_lo, exec_lo, s13
	s_waitcnt vmcnt(0)
	;;#ASMSTART
	v_pk_mul_f16 v1, v37, v1;

	;;#ASMEND
	;;#ASMSTART
	v_pk_mul_f16 v2, v36, v2;

	;;#ASMEND
	;; [unrolled: 4-line block ×4, first 2 shown]
	;;#ASMSTART
	v_pk_add_f16 v1, v1, v2;

	;;#ASMEND
	;;#ASMSTART
	v_pk_add_f16 v1, v1, v3;

	;;#ASMEND
	;; [unrolled: 4-line block ×3, first 2 shown]
	v_and_b32_e32 v2, 0xffff, v1
	v_lshrrev_b32_e32 v1, 16, v1
	;;#ASMSTART
	v_cvt_f32_f16 v40, v2;
	;;#ASMEND
	;;#ASMSTART
	v_cvt_f32_f16 v41, v1;
	;;#ASMEND
	global_load_b128 v[1:4], v[8:9], off offset:1024
	s_and_saveexec_b32 s13, vcc_lo
	s_cbranch_execz .LBB122_35
; %bb.34:                               ;   in Loop: Header=BB122_29 Depth=1
	v_cmp_gt_i32_e64 s0, s10, v33
	s_waitcnt vmcnt(0)
	v_lshrrev_b32_e32 v42, 16, v4
	v_lshrrev_b32_e32 v43, 16, v3
	v_lshrrev_b32_e32 v44, 16, v2
	v_lshrrev_b32_e32 v45, 16, v1
	v_cndmask_b32_e64 v4, 0, v4, s0
	v_cmp_gt_i32_e64 s0, s11, v32
	s_delay_alu instid0(VALU_DEP_1) | instskip(SKIP_1) | instid1(VALU_DEP_2)
	v_cndmask_b32_e64 v42, 0, v42, s0
	v_cmp_gt_i32_e64 s0, s9, v31
	v_perm_b32 v4, v42, v4, 0x5040100
	s_delay_alu instid0(VALU_DEP_2) | instskip(SKIP_1) | instid1(VALU_DEP_1)
	v_cndmask_b32_e64 v43, 0, v43, s0
	v_cmp_gt_i32_e64 s0, s8, v30
	v_cndmask_b32_e64 v3, 0, v3, s0
	v_cmp_gt_i32_e64 s0, s7, v29
	s_delay_alu instid0(VALU_DEP_2) | instskip(NEXT) | instid1(VALU_DEP_2)
	v_perm_b32 v3, v43, v3, 0x5040100
	v_cndmask_b32_e64 v44, 0, v44, s0
	v_cmp_gt_i32_e64 s0, s6, v28
	s_delay_alu instid0(VALU_DEP_1) | instskip(SKIP_1) | instid1(VALU_DEP_2)
	v_cndmask_b32_e64 v2, 0, v2, s0
	v_cmp_gt_i32_e64 s0, s5, v27
	v_perm_b32 v2, v44, v2, 0x5040100
	s_delay_alu instid0(VALU_DEP_2) | instskip(SKIP_1) | instid1(VALU_DEP_1)
	v_cndmask_b32_e64 v45, 0, v45, s0
	v_cmp_gt_i32_e64 s0, s28, v12
	v_cndmask_b32_e64 v1, 0, v1, s0
	s_delay_alu instid0(VALU_DEP_1)
	v_perm_b32 v1, v45, v1, 0x5040100
.LBB122_35:                             ;   in Loop: Header=BB122_29 Depth=1
	s_or_b32 exec_lo, exec_lo, s13
	s_waitcnt vmcnt(0)
	;;#ASMSTART
	v_pk_mul_f16 v1, v37, v1;

	;;#ASMEND
	;;#ASMSTART
	v_pk_mul_f16 v2, v36, v2;

	;;#ASMEND
	;; [unrolled: 4-line block ×4, first 2 shown]
	;;#ASMSTART
	v_pk_add_f16 v1, v1, v2;

	;;#ASMEND
	;;#ASMSTART
	v_pk_add_f16 v1, v1, v3;

	;;#ASMEND
	;; [unrolled: 4-line block ×3, first 2 shown]
	v_and_b32_e32 v2, 0xffff, v1
	v_lshrrev_b32_e32 v1, 16, v1
	;;#ASMSTART
	v_cvt_f32_f16 v42, v2;
	;;#ASMEND
	;;#ASMSTART
	v_cvt_f32_f16 v43, v1;
	;;#ASMEND
	global_load_b128 v[1:4], v[8:9], off offset:1536
	s_and_saveexec_b32 s13, vcc_lo
	s_cbranch_execz .LBB122_37
; %bb.36:                               ;   in Loop: Header=BB122_29 Depth=1
	v_cmp_gt_i32_e64 s0, s10, v33
	s_waitcnt vmcnt(0)
	v_lshrrev_b32_e32 v44, 16, v4
	v_lshrrev_b32_e32 v45, 16, v3
	;; [unrolled: 1-line block ×4, first 2 shown]
	v_cndmask_b32_e64 v4, 0, v4, s0
	v_cmp_gt_i32_e64 s0, s11, v32
	s_delay_alu instid0(VALU_DEP_1) | instskip(SKIP_1) | instid1(VALU_DEP_2)
	v_cndmask_b32_e64 v44, 0, v44, s0
	v_cmp_gt_i32_e64 s0, s9, v31
	v_perm_b32 v4, v44, v4, 0x5040100
	s_delay_alu instid0(VALU_DEP_2) | instskip(SKIP_1) | instid1(VALU_DEP_1)
	v_cndmask_b32_e64 v45, 0, v45, s0
	v_cmp_gt_i32_e64 s0, s8, v30
	v_cndmask_b32_e64 v3, 0, v3, s0
	v_cmp_gt_i32_e64 s0, s7, v29
	s_delay_alu instid0(VALU_DEP_2) | instskip(NEXT) | instid1(VALU_DEP_2)
	v_perm_b32 v3, v45, v3, 0x5040100
	v_cndmask_b32_e64 v46, 0, v46, s0
	v_cmp_gt_i32_e64 s0, s6, v28
	s_delay_alu instid0(VALU_DEP_1) | instskip(SKIP_1) | instid1(VALU_DEP_2)
	v_cndmask_b32_e64 v2, 0, v2, s0
	v_cmp_gt_i32_e64 s0, s5, v27
	v_perm_b32 v2, v46, v2, 0x5040100
	s_delay_alu instid0(VALU_DEP_2) | instskip(SKIP_1) | instid1(VALU_DEP_1)
	v_cndmask_b32_e64 v47, 0, v47, s0
	v_cmp_gt_i32_e64 s0, s28, v12
	v_cndmask_b32_e64 v1, 0, v1, s0
	s_delay_alu instid0(VALU_DEP_1)
	v_perm_b32 v1, v47, v1, 0x5040100
.LBB122_37:                             ;   in Loop: Header=BB122_29 Depth=1
	s_or_b32 exec_lo, exec_lo, s13
	s_waitcnt vmcnt(0)
	;;#ASMSTART
	v_pk_mul_f16 v1, v37, v1;

	;;#ASMEND
	;;#ASMSTART
	v_pk_mul_f16 v2, v36, v2;

	;;#ASMEND
	;; [unrolled: 4-line block ×4, first 2 shown]
	;;#ASMSTART
	v_pk_add_f16 v1, v1, v2;

	;;#ASMEND
	;;#ASMSTART
	v_pk_add_f16 v1, v1, v3;

	;;#ASMEND
	;; [unrolled: 4-line block ×3, first 2 shown]
	v_and_b32_e32 v2, 0xffff, v1
	v_lshrrev_b32_e32 v1, 16, v1
	;;#ASMSTART
	v_cvt_f32_f16 v44, v2;
	;;#ASMEND
	;;#ASMSTART
	v_cvt_f32_f16 v45, v1;
	;;#ASMEND
	global_load_b128 v[1:4], v[8:9], off offset:2048
	s_and_saveexec_b32 s13, vcc_lo
	s_cbranch_execz .LBB122_39
; %bb.38:                               ;   in Loop: Header=BB122_29 Depth=1
	v_cmp_gt_i32_e64 s0, s10, v33
	s_waitcnt vmcnt(0)
	v_lshrrev_b32_e32 v46, 16, v4
	v_lshrrev_b32_e32 v47, 16, v3
	;; [unrolled: 1-line block ×4, first 2 shown]
	v_cndmask_b32_e64 v4, 0, v4, s0
	v_cmp_gt_i32_e64 s0, s11, v32
	s_delay_alu instid0(VALU_DEP_1) | instskip(SKIP_1) | instid1(VALU_DEP_2)
	v_cndmask_b32_e64 v46, 0, v46, s0
	v_cmp_gt_i32_e64 s0, s9, v31
	v_perm_b32 v4, v46, v4, 0x5040100
	s_delay_alu instid0(VALU_DEP_2) | instskip(SKIP_1) | instid1(VALU_DEP_1)
	v_cndmask_b32_e64 v47, 0, v47, s0
	v_cmp_gt_i32_e64 s0, s8, v30
	v_cndmask_b32_e64 v3, 0, v3, s0
	v_cmp_gt_i32_e64 s0, s7, v29
	s_delay_alu instid0(VALU_DEP_2) | instskip(NEXT) | instid1(VALU_DEP_2)
	v_perm_b32 v3, v47, v3, 0x5040100
	v_cndmask_b32_e64 v48, 0, v48, s0
	v_cmp_gt_i32_e64 s0, s6, v28
	s_delay_alu instid0(VALU_DEP_1) | instskip(SKIP_1) | instid1(VALU_DEP_2)
	v_cndmask_b32_e64 v2, 0, v2, s0
	v_cmp_gt_i32_e64 s0, s5, v27
	v_perm_b32 v2, v48, v2, 0x5040100
	s_delay_alu instid0(VALU_DEP_2) | instskip(SKIP_1) | instid1(VALU_DEP_1)
	v_cndmask_b32_e64 v49, 0, v49, s0
	v_cmp_gt_i32_e64 s0, s28, v12
	v_cndmask_b32_e64 v1, 0, v1, s0
	s_delay_alu instid0(VALU_DEP_1)
	v_perm_b32 v1, v49, v1, 0x5040100
.LBB122_39:                             ;   in Loop: Header=BB122_29 Depth=1
	s_or_b32 exec_lo, exec_lo, s13
	s_waitcnt vmcnt(0)
	;;#ASMSTART
	v_pk_mul_f16 v1, v37, v1;

	;;#ASMEND
	;;#ASMSTART
	v_pk_mul_f16 v2, v36, v2;

	;;#ASMEND
	;; [unrolled: 4-line block ×4, first 2 shown]
	;;#ASMSTART
	v_pk_add_f16 v1, v1, v2;

	;;#ASMEND
	;;#ASMSTART
	v_pk_add_f16 v1, v1, v3;

	;;#ASMEND
	;; [unrolled: 4-line block ×3, first 2 shown]
	v_and_b32_e32 v2, 0xffff, v1
	v_lshrrev_b32_e32 v1, 16, v1
	;;#ASMSTART
	v_cvt_f32_f16 v46, v2;
	;;#ASMEND
	;;#ASMSTART
	v_cvt_f32_f16 v47, v1;
	;;#ASMEND
	global_load_b128 v[1:4], v[8:9], off offset:2560
	s_and_saveexec_b32 s13, vcc_lo
	s_cbranch_execz .LBB122_41
; %bb.40:                               ;   in Loop: Header=BB122_29 Depth=1
	v_cmp_gt_i32_e64 s0, s10, v33
	s_waitcnt vmcnt(0)
	v_lshrrev_b32_e32 v48, 16, v4
	v_lshrrev_b32_e32 v49, 16, v3
	v_lshrrev_b32_e32 v50, 16, v2
	v_lshrrev_b32_e32 v51, 16, v1
	v_cndmask_b32_e64 v4, 0, v4, s0
	v_cmp_gt_i32_e64 s0, s11, v32
	s_delay_alu instid0(VALU_DEP_1) | instskip(SKIP_1) | instid1(VALU_DEP_2)
	v_cndmask_b32_e64 v48, 0, v48, s0
	v_cmp_gt_i32_e64 s0, s9, v31
	v_perm_b32 v4, v48, v4, 0x5040100
	s_delay_alu instid0(VALU_DEP_2) | instskip(SKIP_1) | instid1(VALU_DEP_1)
	v_cndmask_b32_e64 v49, 0, v49, s0
	v_cmp_gt_i32_e64 s0, s8, v30
	v_cndmask_b32_e64 v3, 0, v3, s0
	v_cmp_gt_i32_e64 s0, s7, v29
	s_delay_alu instid0(VALU_DEP_2) | instskip(NEXT) | instid1(VALU_DEP_2)
	v_perm_b32 v3, v49, v3, 0x5040100
	v_cndmask_b32_e64 v50, 0, v50, s0
	v_cmp_gt_i32_e64 s0, s6, v28
	s_delay_alu instid0(VALU_DEP_1) | instskip(SKIP_1) | instid1(VALU_DEP_2)
	v_cndmask_b32_e64 v2, 0, v2, s0
	v_cmp_gt_i32_e64 s0, s5, v27
	v_perm_b32 v2, v50, v2, 0x5040100
	s_delay_alu instid0(VALU_DEP_2) | instskip(SKIP_1) | instid1(VALU_DEP_1)
	v_cndmask_b32_e64 v51, 0, v51, s0
	v_cmp_gt_i32_e64 s0, s28, v12
	v_cndmask_b32_e64 v1, 0, v1, s0
	s_delay_alu instid0(VALU_DEP_1)
	v_perm_b32 v1, v51, v1, 0x5040100
.LBB122_41:                             ;   in Loop: Header=BB122_29 Depth=1
	s_or_b32 exec_lo, exec_lo, s13
	s_waitcnt vmcnt(0)
	;;#ASMSTART
	v_pk_mul_f16 v1, v37, v1;

	;;#ASMEND
	;;#ASMSTART
	v_pk_mul_f16 v2, v36, v2;

	;;#ASMEND
	;; [unrolled: 4-line block ×4, first 2 shown]
	;;#ASMSTART
	v_pk_add_f16 v1, v1, v2;

	;;#ASMEND
	;;#ASMSTART
	v_pk_add_f16 v1, v1, v3;

	;;#ASMEND
	;; [unrolled: 4-line block ×3, first 2 shown]
	v_and_b32_e32 v2, 0xffff, v1
	v_lshrrev_b32_e32 v1, 16, v1
	;;#ASMSTART
	v_cvt_f32_f16 v48, v2;
	;;#ASMEND
	;;#ASMSTART
	v_cvt_f32_f16 v49, v1;
	;;#ASMEND
	global_load_b128 v[1:4], v[8:9], off offset:3072
	s_and_saveexec_b32 s13, vcc_lo
	s_cbranch_execz .LBB122_43
; %bb.42:                               ;   in Loop: Header=BB122_29 Depth=1
	v_cmp_gt_i32_e64 s0, s10, v33
	s_waitcnt vmcnt(0)
	v_lshrrev_b32_e32 v50, 16, v4
	v_lshrrev_b32_e32 v51, 16, v3
	;; [unrolled: 1-line block ×4, first 2 shown]
	v_cndmask_b32_e64 v4, 0, v4, s0
	v_cmp_gt_i32_e64 s0, s11, v32
	s_delay_alu instid0(VALU_DEP_1) | instskip(SKIP_1) | instid1(VALU_DEP_2)
	v_cndmask_b32_e64 v50, 0, v50, s0
	v_cmp_gt_i32_e64 s0, s9, v31
	v_perm_b32 v4, v50, v4, 0x5040100
	s_delay_alu instid0(VALU_DEP_2) | instskip(SKIP_1) | instid1(VALU_DEP_1)
	v_cndmask_b32_e64 v51, 0, v51, s0
	v_cmp_gt_i32_e64 s0, s8, v30
	v_cndmask_b32_e64 v3, 0, v3, s0
	v_cmp_gt_i32_e64 s0, s7, v29
	s_delay_alu instid0(VALU_DEP_2) | instskip(NEXT) | instid1(VALU_DEP_2)
	v_perm_b32 v3, v51, v3, 0x5040100
	v_cndmask_b32_e64 v52, 0, v52, s0
	v_cmp_gt_i32_e64 s0, s6, v28
	s_delay_alu instid0(VALU_DEP_1) | instskip(SKIP_1) | instid1(VALU_DEP_2)
	v_cndmask_b32_e64 v2, 0, v2, s0
	v_cmp_gt_i32_e64 s0, s5, v27
	v_perm_b32 v2, v52, v2, 0x5040100
	s_delay_alu instid0(VALU_DEP_2) | instskip(SKIP_1) | instid1(VALU_DEP_1)
	v_cndmask_b32_e64 v53, 0, v53, s0
	v_cmp_gt_i32_e64 s0, s28, v12
	v_cndmask_b32_e64 v1, 0, v1, s0
	s_delay_alu instid0(VALU_DEP_1)
	v_perm_b32 v1, v53, v1, 0x5040100
.LBB122_43:                             ;   in Loop: Header=BB122_29 Depth=1
	s_or_b32 exec_lo, exec_lo, s13
	s_waitcnt vmcnt(0)
	;;#ASMSTART
	v_pk_mul_f16 v1, v37, v1;

	;;#ASMEND
	;;#ASMSTART
	v_pk_mul_f16 v2, v36, v2;

	;;#ASMEND
	;; [unrolled: 4-line block ×4, first 2 shown]
	;;#ASMSTART
	v_pk_add_f16 v1, v1, v2;

	;;#ASMEND
	;;#ASMSTART
	v_pk_add_f16 v1, v1, v3;

	;;#ASMEND
	;; [unrolled: 4-line block ×3, first 2 shown]
	v_and_b32_e32 v2, 0xffff, v1
	v_lshrrev_b32_e32 v1, 16, v1
	;;#ASMSTART
	v_cvt_f32_f16 v50, v2;
	;;#ASMEND
	;;#ASMSTART
	v_cvt_f32_f16 v51, v1;
	;;#ASMEND
	global_load_b128 v[1:4], v[8:9], off offset:3584
	s_and_saveexec_b32 s0, vcc_lo
	s_cbranch_execz .LBB122_28
; %bb.44:                               ;   in Loop: Header=BB122_29 Depth=1
	v_cmp_gt_i32_e32 vcc_lo, s10, v33
	s_waitcnt vmcnt(0)
	v_lshrrev_b32_e32 v8, 16, v4
	v_lshrrev_b32_e32 v9, 16, v3
	v_cndmask_b32_e32 v4, 0, v4, vcc_lo
	v_cmp_gt_i32_e32 vcc_lo, s11, v32
	s_delay_alu instid0(VALU_DEP_4)
	v_cndmask_b32_e32 v8, 0, v8, vcc_lo
	v_cmp_gt_i32_e32 vcc_lo, s9, v31
	v_lshrrev_b32_e32 v31, 16, v2
	v_cndmask_b32_e32 v9, 0, v9, vcc_lo
	v_cmp_gt_i32_e32 vcc_lo, s8, v30
	v_lshrrev_b32_e32 v30, 16, v1
	v_cndmask_b32_e32 v3, 0, v3, vcc_lo
	v_cmp_gt_i32_e32 vcc_lo, s7, v29
	v_perm_b32 v4, v8, v4, 0x5040100
	s_delay_alu instid0(VALU_DEP_3) | instskip(SKIP_4) | instid1(VALU_DEP_2)
	v_perm_b32 v3, v9, v3, 0x5040100
	v_cndmask_b32_e32 v29, 0, v31, vcc_lo
	v_cmp_gt_i32_e32 vcc_lo, s6, v28
	v_cndmask_b32_e32 v2, 0, v2, vcc_lo
	v_cmp_gt_i32_e32 vcc_lo, s5, v27
	v_perm_b32 v2, v29, v2, 0x5040100
	v_cndmask_b32_e32 v27, 0, v30, vcc_lo
	v_cmp_gt_i32_e32 vcc_lo, s28, v12
	v_cndmask_b32_e32 v1, 0, v1, vcc_lo
	s_delay_alu instid0(VALU_DEP_1)
	v_perm_b32 v1, v27, v1, 0x5040100
	s_branch .LBB122_28
.LBB122_45:
	s_or_b32 exec_lo, exec_lo, s3
.LBB122_46:
	s_delay_alu instid0(SALU_CYCLE_1)
	s_or_b32 exec_lo, exec_lo, s1
	ds_bpermute_b32 v1, v15, v18
	ds_bpermute_b32 v2, v15, v23
	;; [unrolled: 1-line block ×8, first 2 shown]
	v_lshrrev_b32_e32 v9, 2, v11
	v_lshl_add_u32 v10, v10, 8, 0xa0
	s_mov_b32 s0, exec_lo
	s_waitcnt lgkmcnt(0)
	s_waitcnt_vscnt null, 0x0
	s_barrier
	buffer_gl0_inv
	v_dual_add_f32 v1, v18, v1 :: v_dual_add_f32 v2, v23, v2
	v_dual_add_f32 v3, v22, v3 :: v_dual_add_f32 v4, v21, v4
	v_dual_add_f32 v12, v20, v5 :: v_dual_add_f32 v15, v19, v6
	v_dual_add_f32 v17, v17, v7 :: v_dual_add_f32 v16, v16, v8
	ds_bpermute_b32 v5, v14, v1
	ds_bpermute_b32 v6, v14, v2
	;; [unrolled: 1-line block ×8, first 2 shown]
	s_waitcnt lgkmcnt(7)
	v_dual_add_f32 v8, v1, v5 :: v_dual_and_b32 v11, 0x3c3, v0
	s_waitcnt lgkmcnt(6)
	v_add_f32_e32 v7, v2, v6
	s_waitcnt lgkmcnt(4)
	v_dual_add_f32 v6, v3, v18 :: v_dual_add_f32 v5, v4, v19
	s_waitcnt lgkmcnt(2)
	v_dual_add_f32 v4, v12, v20 :: v_dual_add_f32 v3, v15, v21
	s_waitcnt lgkmcnt(1)
	v_add_f32_e32 v2, v17, v22
	s_waitcnt lgkmcnt(0)
	v_add_f32_e32 v1, v16, v14
	v_cmpx_eq_u32_e32 64, v11
	s_cbranch_execz .LBB122_48
; %bb.47:
	v_lshlrev_b32_e32 v11, 2, v9
	s_delay_alu instid0(VALU_DEP_1)
	v_add3_u32 v11, v10, v11, 0xfffffe00
	ds_store_2addr_b32 v11, v8, v7 offset1:8
	ds_store_2addr_b32 v11, v6, v5 offset0:16 offset1:24
	ds_store_2addr_b32 v11, v4, v3 offset0:32 offset1:40
	;; [unrolled: 1-line block ×3, first 2 shown]
.LBB122_48:
	s_or_b32 exec_lo, exec_lo, s0
	v_cmp_eq_u32_e32 vcc_lo, 0, v13
	s_mov_b32 s1, exec_lo
	s_waitcnt lgkmcnt(0)
	s_barrier
	buffer_gl0_inv
	v_cmpx_gt_u32_e32 64, v0
	s_cbranch_execz .LBB122_59
; %bb.49:
	s_and_saveexec_b32 s0, vcc_lo
	s_cbranch_execnz .LBB122_75
; %bb.50:
	s_or_b32 exec_lo, exec_lo, s0
	s_and_saveexec_b32 s0, vcc_lo
	s_cbranch_execnz .LBB122_76
.LBB122_51:
	s_or_b32 exec_lo, exec_lo, s0
	s_and_saveexec_b32 s0, vcc_lo
	s_cbranch_execnz .LBB122_77
.LBB122_52:
	s_or_b32 exec_lo, exec_lo, s0
	s_and_saveexec_b32 s0, vcc_lo
	s_cbranch_execnz .LBB122_78
.LBB122_53:
	s_or_b32 exec_lo, exec_lo, s0
	s_and_saveexec_b32 s0, vcc_lo
	s_cbranch_execnz .LBB122_79
.LBB122_54:
	s_or_b32 exec_lo, exec_lo, s0
	s_and_saveexec_b32 s0, vcc_lo
	s_cbranch_execnz .LBB122_80
.LBB122_55:
	s_or_b32 exec_lo, exec_lo, s0
	s_and_saveexec_b32 s0, vcc_lo
	s_cbranch_execnz .LBB122_81
.LBB122_56:
	s_or_b32 exec_lo, exec_lo, s0
	s_and_saveexec_b32 s0, vcc_lo
	s_cbranch_execz .LBB122_58
.LBB122_57:
	v_lshl_add_u32 v11, v9, 2, v10
	ds_load_b32 v11, v11 offset:224
	s_waitcnt lgkmcnt(0)
	v_add_f32_e32 v1, v1, v11
.LBB122_58:
	s_or_b32 exec_lo, exec_lo, s0
.LBB122_59:
	s_delay_alu instid0(SALU_CYCLE_1)
	s_or_b32 exec_lo, exec_lo, s1
	v_and_b32_e32 v11, 0x3e3, v0
	s_mov_b32 s1, exec_lo
	s_barrier
	buffer_gl0_inv
	v_cmpx_eq_u32_e32 32, v11
	s_cbranch_execz .LBB122_61
; %bb.60:
	v_lshl_add_u32 v12, v9, 2, 0xa0
	ds_store_2addr_b32 v12, v8, v7 offset1:8
	ds_store_2addr_b32 v12, v6, v5 offset0:16 offset1:24
	ds_store_2addr_b32 v12, v4, v3 offset0:32 offset1:40
	;; [unrolled: 1-line block ×3, first 2 shown]
.LBB122_61:
	s_or_b32 exec_lo, exec_lo, s1
	s_delay_alu instid0(SALU_CYCLE_1)
	s_mov_b32 s1, exec_lo
	s_waitcnt lgkmcnt(0)
	s_barrier
	buffer_gl0_inv
	v_cmpx_gt_u32_e32 32, v0
	s_cbranch_execz .LBB122_72
; %bb.62:
	v_lshl_add_u32 v9, v9, 2, v10
	s_and_saveexec_b32 s0, vcc_lo
	s_cbranch_execnz .LBB122_82
; %bb.63:
	s_or_b32 exec_lo, exec_lo, s0
	s_and_saveexec_b32 s0, vcc_lo
	s_cbranch_execnz .LBB122_83
.LBB122_64:
	s_or_b32 exec_lo, exec_lo, s0
	s_and_saveexec_b32 s0, vcc_lo
	s_cbranch_execnz .LBB122_84
.LBB122_65:
	s_or_b32 exec_lo, exec_lo, s0
	s_and_saveexec_b32 s0, vcc_lo
	s_cbranch_execnz .LBB122_85
.LBB122_66:
	s_or_b32 exec_lo, exec_lo, s0
	s_and_saveexec_b32 s0, vcc_lo
	s_cbranch_execnz .LBB122_86
.LBB122_67:
	s_or_b32 exec_lo, exec_lo, s0
	s_and_saveexec_b32 s0, vcc_lo
	s_cbranch_execnz .LBB122_87
.LBB122_68:
	s_or_b32 exec_lo, exec_lo, s0
	s_and_saveexec_b32 s0, vcc_lo
	s_cbranch_execnz .LBB122_88
.LBB122_69:
	s_or_b32 exec_lo, exec_lo, s0
	s_and_saveexec_b32 s0, vcc_lo
	s_cbranch_execz .LBB122_71
.LBB122_70:
	ds_load_b32 v9, v9 offset:224
	s_waitcnt lgkmcnt(0)
	v_add_f32_e32 v1, v1, v9
.LBB122_71:
	s_or_b32 exec_lo, exec_lo, s0
.LBB122_72:
	s_delay_alu instid0(SALU_CYCLE_1)
	s_or_b32 exec_lo, exec_lo, s1
	s_barrier
	buffer_gl0_inv
	s_mov_b32 s0, exec_lo
	v_cmpx_eq_u32_e32 0, v11
	s_cbranch_execz .LBB122_74
; %bb.73:
	s_lshl_b32 s0, s14, 6
	s_mul_i32 s2, s4, s16
	s_ashr_i32 s1, s0, 31
	v_lshrrev_b32_e32 v0, 1, v0
	s_lshl_b64 s[0:1], s[0:1], 1
	;;#ASMSTART
	v_cvt_f16_f32 v8, v8;

	;;#ASMEND
	s_add_u32 s4, s18, s0
	s_addc_u32 s5, s19, s1
	s_ashr_i32 s3, s2, 31
	s_delay_alu instid0(SALU_CYCLE_1) | instskip(NEXT) | instid1(SALU_CYCLE_1)
	s_lshl_b64 s[0:1], s[2:3], 1
	s_add_u32 s2, s4, s0
	s_addc_u32 s3, s5, s1
	s_lshl_b32 s0, s12, 6
	s_delay_alu instid0(SALU_CYCLE_1) | instskip(NEXT) | instid1(SALU_CYCLE_1)
	s_ashr_i32 s1, s0, 31
	s_lshl_b64 s[0:1], s[0:1], 1
	s_delay_alu instid0(SALU_CYCLE_1)
	s_add_u32 s0, s2, s0
	s_addc_u32 s1, s3, s1
	global_store_b16 v0, v8, s[0:1]
	;;#ASMSTART
	v_cvt_f16_f32 v7, v7;

	;;#ASMEND
	global_store_b16 v0, v7, s[0:1] offset:16
	;;#ASMSTART
	v_cvt_f16_f32 v6, v6;

	;;#ASMEND
	global_store_b16 v0, v6, s[0:1] offset:32
	;;#ASMSTART
	v_cvt_f16_f32 v5, v5;

	;;#ASMEND
	global_store_b16 v0, v5, s[0:1] offset:48
	;;#ASMSTART
	v_cvt_f16_f32 v4, v4;

	;;#ASMEND
	global_store_b16 v0, v4, s[0:1] offset:64
	;;#ASMSTART
	v_cvt_f16_f32 v3, v3;

	;;#ASMEND
	global_store_b16 v0, v3, s[0:1] offset:80
	;;#ASMSTART
	v_cvt_f16_f32 v2, v2;

	;;#ASMEND
	global_store_b16 v0, v2, s[0:1] offset:96
	;;#ASMSTART
	v_cvt_f16_f32 v1, v1;

	;;#ASMEND
	global_store_b16 v0, v1, s[0:1] offset:112
.LBB122_74:
	s_nop 0
	s_sendmsg sendmsg(MSG_DEALLOC_VGPRS)
	s_endpgm
.LBB122_75:
	v_lshl_add_u32 v11, v9, 2, v10
	ds_load_b32 v11, v11
	s_waitcnt lgkmcnt(0)
	v_add_f32_e32 v8, v8, v11
	s_or_b32 exec_lo, exec_lo, s0
	s_and_saveexec_b32 s0, vcc_lo
	s_cbranch_execz .LBB122_51
.LBB122_76:
	v_lshl_add_u32 v11, v9, 2, v10
	ds_load_b32 v11, v11 offset:32
	s_waitcnt lgkmcnt(0)
	v_add_f32_e32 v7, v7, v11
	s_or_b32 exec_lo, exec_lo, s0
	s_and_saveexec_b32 s0, vcc_lo
	s_cbranch_execz .LBB122_52
.LBB122_77:
	v_lshl_add_u32 v11, v9, 2, v10
	ds_load_b32 v11, v11 offset:64
	s_waitcnt lgkmcnt(0)
	v_add_f32_e32 v6, v6, v11
	s_or_b32 exec_lo, exec_lo, s0
	s_and_saveexec_b32 s0, vcc_lo
	s_cbranch_execz .LBB122_53
.LBB122_78:
	v_lshl_add_u32 v11, v9, 2, v10
	ds_load_b32 v11, v11 offset:96
	s_waitcnt lgkmcnt(0)
	v_add_f32_e32 v5, v5, v11
	s_or_b32 exec_lo, exec_lo, s0
	s_and_saveexec_b32 s0, vcc_lo
	s_cbranch_execz .LBB122_54
.LBB122_79:
	v_lshl_add_u32 v11, v9, 2, v10
	ds_load_b32 v11, v11 offset:128
	s_waitcnt lgkmcnt(0)
	v_add_f32_e32 v4, v4, v11
	s_or_b32 exec_lo, exec_lo, s0
	s_and_saveexec_b32 s0, vcc_lo
	s_cbranch_execz .LBB122_55
.LBB122_80:
	v_lshl_add_u32 v11, v9, 2, v10
	ds_load_b32 v11, v11 offset:160
	s_waitcnt lgkmcnt(0)
	v_add_f32_e32 v3, v3, v11
	s_or_b32 exec_lo, exec_lo, s0
	s_and_saveexec_b32 s0, vcc_lo
	s_cbranch_execz .LBB122_56
.LBB122_81:
	v_lshl_add_u32 v11, v9, 2, v10
	ds_load_b32 v11, v11 offset:192
	s_waitcnt lgkmcnt(0)
	v_add_f32_e32 v2, v2, v11
	s_or_b32 exec_lo, exec_lo, s0
	s_and_saveexec_b32 s0, vcc_lo
	s_cbranch_execnz .LBB122_57
	s_branch .LBB122_58
.LBB122_82:
	ds_load_b32 v10, v9
	s_waitcnt lgkmcnt(0)
	v_add_f32_e32 v8, v8, v10
	s_or_b32 exec_lo, exec_lo, s0
	s_and_saveexec_b32 s0, vcc_lo
	s_cbranch_execz .LBB122_64
.LBB122_83:
	ds_load_b32 v10, v9 offset:32
	s_waitcnt lgkmcnt(0)
	v_add_f32_e32 v7, v7, v10
	s_or_b32 exec_lo, exec_lo, s0
	s_and_saveexec_b32 s0, vcc_lo
	s_cbranch_execz .LBB122_65
.LBB122_84:
	ds_load_b32 v10, v9 offset:64
	s_waitcnt lgkmcnt(0)
	v_add_f32_e32 v6, v6, v10
	s_or_b32 exec_lo, exec_lo, s0
	s_and_saveexec_b32 s0, vcc_lo
	s_cbranch_execz .LBB122_66
.LBB122_85:
	ds_load_b32 v10, v9 offset:96
	s_waitcnt lgkmcnt(0)
	v_add_f32_e32 v5, v5, v10
	s_or_b32 exec_lo, exec_lo, s0
	s_and_saveexec_b32 s0, vcc_lo
	s_cbranch_execz .LBB122_67
.LBB122_86:
	ds_load_b32 v10, v9 offset:128
	s_waitcnt lgkmcnt(0)
	v_add_f32_e32 v4, v4, v10
	s_or_b32 exec_lo, exec_lo, s0
	s_and_saveexec_b32 s0, vcc_lo
	s_cbranch_execz .LBB122_68
.LBB122_87:
	ds_load_b32 v10, v9 offset:160
	s_waitcnt lgkmcnt(0)
	v_add_f32_e32 v3, v3, v10
	s_or_b32 exec_lo, exec_lo, s0
	s_and_saveexec_b32 s0, vcc_lo
	s_cbranch_execz .LBB122_69
.LBB122_88:
	ds_load_b32 v10, v9 offset:192
	s_waitcnt lgkmcnt(0)
	v_add_f32_e32 v2, v2, v10
	s_or_b32 exec_lo, exec_lo, s0
	s_and_saveexec_b32 s0, vcc_lo
	s_cbranch_execnz .LBB122_70
	s_branch .LBB122_71
	.section	.rodata,"a",@progbits
	.p2align	6, 0x0
	.amdhsa_kernel _ZN4vllm25paged_attention_v2_kernelIttLi64ELi32ELi128ELNS_18Fp8KVCacheDataTypeE0ELb0ELi512EEEvPfS2_PT_PKS3_PKT0_S9_ifPKiSB_iPKfiiiSD_SD_iiiii
		.amdhsa_group_segment_fixed_size 160
		.amdhsa_private_segment_fixed_size 0
		.amdhsa_kernarg_size 400
		.amdhsa_user_sgpr_count 13
		.amdhsa_user_sgpr_dispatch_ptr 0
		.amdhsa_user_sgpr_queue_ptr 0
		.amdhsa_user_sgpr_kernarg_segment_ptr 1
		.amdhsa_user_sgpr_dispatch_id 0
		.amdhsa_user_sgpr_private_segment_size 0
		.amdhsa_wavefront_size32 1
		.amdhsa_uses_dynamic_stack 0
		.amdhsa_enable_private_segment 0
		.amdhsa_system_sgpr_workgroup_id_x 1
		.amdhsa_system_sgpr_workgroup_id_y 1
		.amdhsa_system_sgpr_workgroup_id_z 1
		.amdhsa_system_sgpr_workgroup_info 0
		.amdhsa_system_vgpr_workitem_id 0
		.amdhsa_next_free_vgpr 103
		.amdhsa_next_free_sgpr 38
		.amdhsa_reserve_vcc 1
		.amdhsa_float_round_mode_32 0
		.amdhsa_float_round_mode_16_64 0
		.amdhsa_float_denorm_mode_32 3
		.amdhsa_float_denorm_mode_16_64 3
		.amdhsa_dx10_clamp 1
		.amdhsa_ieee_mode 1
		.amdhsa_fp16_overflow 0
		.amdhsa_workgroup_processor_mode 1
		.amdhsa_memory_ordered 1
		.amdhsa_forward_progress 0
		.amdhsa_shared_vgpr_count 0
		.amdhsa_exception_fp_ieee_invalid_op 0
		.amdhsa_exception_fp_denorm_src 0
		.amdhsa_exception_fp_ieee_div_zero 0
		.amdhsa_exception_fp_ieee_overflow 0
		.amdhsa_exception_fp_ieee_underflow 0
		.amdhsa_exception_fp_ieee_inexact 0
		.amdhsa_exception_int_div_zero 0
	.end_amdhsa_kernel
	.section	.text._ZN4vllm25paged_attention_v2_kernelIttLi64ELi32ELi128ELNS_18Fp8KVCacheDataTypeE0ELb0ELi512EEEvPfS2_PT_PKS3_PKT0_S9_ifPKiSB_iPKfiiiSD_SD_iiiii,"axG",@progbits,_ZN4vllm25paged_attention_v2_kernelIttLi64ELi32ELi128ELNS_18Fp8KVCacheDataTypeE0ELb0ELi512EEEvPfS2_PT_PKS3_PKT0_S9_ifPKiSB_iPKfiiiSD_SD_iiiii,comdat
.Lfunc_end122:
	.size	_ZN4vllm25paged_attention_v2_kernelIttLi64ELi32ELi128ELNS_18Fp8KVCacheDataTypeE0ELb0ELi512EEEvPfS2_PT_PKS3_PKT0_S9_ifPKiSB_iPKfiiiSD_SD_iiiii, .Lfunc_end122-_ZN4vllm25paged_attention_v2_kernelIttLi64ELi32ELi128ELNS_18Fp8KVCacheDataTypeE0ELb0ELi512EEEvPfS2_PT_PKS3_PKT0_S9_ifPKiSB_iPKfiiiSD_SD_iiiii
                                        ; -- End function
	.section	.AMDGPU.csdata,"",@progbits
; Kernel info:
; codeLenInByte = 11544
; NumSgprs: 40
; NumVgprs: 103
; ScratchSize: 0
; MemoryBound: 0
; FloatMode: 240
; IeeeMode: 1
; LDSByteSize: 160 bytes/workgroup (compile time only)
; SGPRBlocks: 4
; VGPRBlocks: 12
; NumSGPRsForWavesPerEU: 40
; NumVGPRsForWavesPerEU: 103
; Occupancy: 12
; WaveLimiterHint : 1
; COMPUTE_PGM_RSRC2:SCRATCH_EN: 0
; COMPUTE_PGM_RSRC2:USER_SGPR: 13
; COMPUTE_PGM_RSRC2:TRAP_HANDLER: 0
; COMPUTE_PGM_RSRC2:TGID_X_EN: 1
; COMPUTE_PGM_RSRC2:TGID_Y_EN: 1
; COMPUTE_PGM_RSRC2:TGID_Z_EN: 1
; COMPUTE_PGM_RSRC2:TIDIG_COMP_CNT: 0
	.section	.text._ZN4vllm25paged_attention_v2_kernelIttLi80ELi32ELi128ELNS_18Fp8KVCacheDataTypeE0ELb0ELi512EEEvPfS2_PT_PKS3_PKT0_S9_ifPKiSB_iPKfiiiSD_SD_iiiii,"axG",@progbits,_ZN4vllm25paged_attention_v2_kernelIttLi80ELi32ELi128ELNS_18Fp8KVCacheDataTypeE0ELb0ELi512EEEvPfS2_PT_PKS3_PKT0_S9_ifPKiSB_iPKfiiiSD_SD_iiiii,comdat
	.protected	_ZN4vllm25paged_attention_v2_kernelIttLi80ELi32ELi128ELNS_18Fp8KVCacheDataTypeE0ELb0ELi512EEEvPfS2_PT_PKS3_PKT0_S9_ifPKiSB_iPKfiiiSD_SD_iiiii ; -- Begin function _ZN4vllm25paged_attention_v2_kernelIttLi80ELi32ELi128ELNS_18Fp8KVCacheDataTypeE0ELb0ELi512EEEvPfS2_PT_PKS3_PKT0_S9_ifPKiSB_iPKfiiiSD_SD_iiiii
	.globl	_ZN4vllm25paged_attention_v2_kernelIttLi80ELi32ELi128ELNS_18Fp8KVCacheDataTypeE0ELb0ELi512EEEvPfS2_PT_PKS3_PKT0_S9_ifPKiSB_iPKfiiiSD_SD_iiiii
	.p2align	8
	.type	_ZN4vllm25paged_attention_v2_kernelIttLi80ELi32ELi128ELNS_18Fp8KVCacheDataTypeE0ELb0ELi512EEEvPfS2_PT_PKS3_PKT0_S9_ifPKiSB_iPKfiiiSD_SD_iiiii,@function
_ZN4vllm25paged_attention_v2_kernelIttLi80ELi32ELi128ELNS_18Fp8KVCacheDataTypeE0ELb0ELi512EEEvPfS2_PT_PKS3_PKT0_S9_ifPKiSB_iPKfiiiSD_SD_iiiii: ; @_ZN4vllm25paged_attention_v2_kernelIttLi80ELi32ELi128ELNS_18Fp8KVCacheDataTypeE0ELb0ELi512EEEvPfS2_PT_PKS3_PKT0_S9_ifPKiSB_iPKfiiiSD_SD_iiiii
; %bb.0:
	s_load_b64 s[2:3], s[0:1], 0x40
	s_mov_b32 s12, s15
	s_ashr_i32 s15, s14, 31
	s_delay_alu instid0(SALU_CYCLE_1)
	s_lshl_b64 s[4:5], s[14:15], 2
	s_waitcnt lgkmcnt(0)
	s_add_u32 s2, s2, s4
	s_addc_u32 s3, s3, s5
	s_lshl_b32 s29, s12, 9
	s_load_b32 s28, s[2:3], 0x0
	s_waitcnt lgkmcnt(0)
	s_cmp_ge_i32 s29, s28
	s_cbranch_scc1 .LBB123_82
; %bb.1:
	s_mov_b32 s22, s13
	s_clause 0x1
	s_load_b32 s13, s[0:1], 0x90
	s_load_b64 s[2:3], s[0:1], 0x30
	s_mov_b32 s30, 0
	s_waitcnt lgkmcnt(0)
	s_abs_i32 s7, s13
	s_abs_i32 s4, s2
	s_xor_b32 s2, s13, s2
	v_cvt_f32_u32_e32 v1, s4
	s_sub_i32 s6, 0, s4
	s_ashr_i32 s2, s2, 31
	s_delay_alu instid0(VALU_DEP_1) | instskip(SKIP_2) | instid1(VALU_DEP_1)
	v_rcp_iflag_f32_e32 v1, v1
	s_waitcnt_depctr 0xfff
	v_mul_f32_e32 v1, 0x4f7ffffe, v1
	v_cvt_u32_f32_e32 v1, v1
	s_delay_alu instid0(VALU_DEP_1) | instskip(NEXT) | instid1(VALU_DEP_1)
	v_readfirstlane_b32 s5, v1
	s_mul_i32 s6, s6, s5
	s_delay_alu instid0(SALU_CYCLE_1) | instskip(NEXT) | instid1(SALU_CYCLE_1)
	s_mul_hi_u32 s6, s5, s6
	s_add_i32 s5, s5, s6
	s_delay_alu instid0(SALU_CYCLE_1) | instskip(NEXT) | instid1(SALU_CYCLE_1)
	s_mul_hi_u32 s5, s7, s5
	s_mul_i32 s6, s5, s4
	s_delay_alu instid0(SALU_CYCLE_1)
	s_sub_i32 s6, s7, s6
	s_add_i32 s7, s5, 1
	s_sub_i32 s8, s6, s4
	s_cmp_ge_u32 s6, s4
	s_cselect_b32 s5, s7, s5
	s_cselect_b32 s6, s8, s6
	s_add_i32 s7, s5, 1
	s_cmp_ge_u32 s6, s4
	s_cselect_b32 s4, s7, s5
	s_abs_i32 s27, s22
	s_xor_b32 s4, s4, s2
	s_delay_alu instid0(SALU_CYCLE_1) | instskip(SKIP_2) | instid1(SALU_CYCLE_1)
	s_sub_i32 s8, s4, s2
	s_load_b64 s[4:5], s[0:1], 0x50
	s_abs_i32 s2, s8
	v_cvt_f32_u32_e32 v1, s2
	s_sub_i32 s7, 0, s2
	s_delay_alu instid0(VALU_DEP_1) | instskip(SKIP_2) | instid1(VALU_DEP_1)
	v_rcp_iflag_f32_e32 v1, v1
	s_waitcnt_depctr 0xfff
	v_mul_f32_e32 v1, 0x4f7ffffe, v1
	v_cvt_u32_f32_e32 v1, v1
	s_delay_alu instid0(VALU_DEP_1) | instskip(NEXT) | instid1(VALU_DEP_1)
	v_readfirstlane_b32 s6, v1
	s_mul_i32 s7, s7, s6
	s_delay_alu instid0(SALU_CYCLE_1) | instskip(NEXT) | instid1(SALU_CYCLE_1)
	s_mul_hi_u32 s7, s6, s7
	s_add_i32 s6, s6, s7
	s_waitcnt lgkmcnt(0)
	s_cmp_eq_u64 s[4:5], 0
	s_mul_hi_u32 s26, s27, s6
	s_cbranch_scc1 .LBB123_3
; %bb.2:
	s_ashr_i32 s23, s22, 31
	s_delay_alu instid0(SALU_CYCLE_1) | instskip(NEXT) | instid1(SALU_CYCLE_1)
	s_lshl_b64 s[6:7], s[22:23], 2
	s_add_u32 s4, s4, s6
	s_addc_u32 s5, s5, s7
	s_load_b32 s30, s[4:5], 0x0
.LBB123_3:
	s_clause 0x1
	s_load_b64 s[20:21], s[0:1], 0x38
	s_load_b128 s[4:7], s[0:1], 0x58
	s_waitcnt lgkmcnt(0)
	s_ashr_i32 s7, s22, 31
	s_ashr_i32 s31, s8, 31
	s_mul_i32 s16, s22, 0x50
	s_mov_b32 s8, exec_lo
	v_cmpx_gt_u32_e32 10, v0
	s_cbranch_execz .LBB123_5
; %bb.4:
	s_load_b64 s[10:11], s[0:1], 0x18
	s_mul_i32 s18, s14, s4
	v_lshlrev_b32_e32 v5, 4, v0
	s_ashr_i32 s19, s18, 31
	s_delay_alu instid0(SALU_CYCLE_1) | instskip(SKIP_4) | instid1(SALU_CYCLE_1)
	s_lshl_b64 s[18:19], s[18:19], 1
	s_waitcnt lgkmcnt(0)
	s_add_u32 s4, s10, s18
	s_addc_u32 s9, s11, s19
	s_ashr_i32 s17, s16, 31
	s_lshl_b64 s[10:11], s[16:17], 1
	s_delay_alu instid0(SALU_CYCLE_1)
	s_add_u32 s10, s4, s10
	s_addc_u32 s11, s9, s11
	global_load_b128 v[1:4], v5, s[10:11]
	s_waitcnt vmcnt(0)
	ds_store_b128 v5, v[1:4]
.LBB123_5:
	s_or_b32 exec_lo, exec_lo, s8
	s_add_i32 s4, s28, 31
	s_clause 0x1
	s_load_b128 s[8:11], s[0:1], 0x0
	s_load_b64 s[18:19], s[0:1], 0x10
	s_ashr_i32 s15, s4, 31
	s_mul_i32 s34, s26, s2
	s_lshr_b32 s17, s15, 27
	s_lshl_b32 s15, s12, 4
	s_add_i32 s4, s4, s17
	s_load_b64 s[24:25], s[0:1], 0x28
	s_ashr_i32 s23, s4, 5
	s_clause 0x1
	s_load_b32 s4, s[0:1], 0x98
	s_load_b32 s33, s[0:1], 0x48
	s_add_i32 s17, s15, 16
	s_sub_i32 s27, s27, s34
	s_min_i32 s17, s17, s23
	s_xor_b32 s7, s7, s31
	s_add_i32 s31, s26, 1
	s_sub_i32 s34, s27, s2
	s_cmp_ge_u32 s27, s2
	v_lshrrev_b32_e32 v10, 5, v0
	s_cselect_b32 s26, s31, s26
	s_cselect_b32 s27, s34, s27
	s_add_i32 s31, s26, 1
	s_cmp_ge_u32 s27, s2
	v_add_nc_u32_e32 v5, s15, v10
	v_and_b32_e32 v11, 31, v0
	s_cselect_b32 s2, s31, s26
	v_mov_b32_e32 v13, 0xff7fffff
	s_xor_b32 s2, s2, s7
	v_ashrrev_i32_e32 v6, 31, v5
	v_lshlrev_b32_e32 v12, 2, v11
	s_sub_i32 s7, s2, s7
	v_cmp_gt_i32_e64 s2, s17, v5
	v_lshlrev_b32_e32 v9, 5, v10
	s_waitcnt lgkmcnt(0)
	s_mul_i32 s26, s14, s33
	s_mul_i32 s6, s7, s6
	s_ashr_i32 s27, s26, 31
	s_barrier
	buffer_gl0_inv
	s_and_saveexec_b32 s31, s2
	s_cbranch_execz .LBB123_9
; %bb.6:
	s_load_b64 s[0:1], s[0:1], 0x20
	s_ashr_i32 s7, s6, 31
	v_lshlrev_b64 v[1:2], 2, v[5:6]
	s_lshl_b64 s[34:35], s[6:7], 1
	v_dual_mov_b32 v14, 0 :: v_dual_lshlrev_b32 v3, 4, v11
	v_lshl_or_b32 v4, v10, 7, v12
	v_cmp_neq_f32_e64 vcc_lo, s30, 0
	v_add3_u32 v15, s29, v9, v11
	v_mov_b32_e32 v13, 0xff7fffff
	s_delay_alu instid0(VALU_DEP_4)
	v_dual_mov_b32 v19, v5 :: v_dual_add_nc_u32 v16, 0xc0, v4
	s_waitcnt lgkmcnt(0)
	s_add_u32 s33, s0, s34
	s_addc_u32 s34, s1, s35
	s_lshl_b64 s[0:1], s[26:27], 2
	s_sub_i32 s7, 1, s28
	s_add_u32 s0, s20, s0
	v_add_co_u32 v17, s33, s33, v3
	s_addc_u32 s1, s21, s1
	v_add_co_u32 v7, s0, s0, v1
	v_add_co_ci_u32_e64 v18, null, s34, 0, s33
	v_add_co_ci_u32_e64 v8, s0, s1, v2, s0
	s_mov_b32 s34, s5
	s_mov_b32 s33, 0
.LBB123_7:                              ; =>This Inner Loop Header: Depth=1
	global_load_b32 v20, v[7:8], off
	ds_load_b128 v[1:4], v14
	v_dual_max_f32 v21, v13, v13 :: v_dual_add_nc_u32 v22, s7, v15
	v_add_nc_u32_e32 v19, 4, v19
	s_delay_alu instid0(VALU_DEP_2) | instskip(NEXT) | instid1(VALU_DEP_2)
	v_cvt_f32_i32_e32 v22, v22
	v_cmp_le_i32_e64 s1, s17, v19
	s_delay_alu instid0(VALU_DEP_1)
	s_or_b32 s33, s1, s33
	s_waitcnt lgkmcnt(0)
	v_lshrrev_b32_e32 v59, 16, v1
	v_and_b32_e32 v60, 0xffff, v1
	v_lshrrev_b32_e32 v61, 16, v2
	v_and_b32_e32 v62, 0xffff, v2
	;; [unrolled: 2-line block ×4, first 2 shown]
	s_waitcnt vmcnt(0)
	v_mad_i64_i32 v[1:2], null, v20, s34, 0
	s_delay_alu instid0(VALU_DEP_1) | instskip(NEXT) | instid1(VALU_DEP_1)
	v_lshlrev_b64 v[1:2], 1, v[1:2]
	v_add_co_u32 v51, s0, v17, v1
	s_delay_alu instid0(VALU_DEP_1)
	v_add_co_ci_u32_e64 v52, s0, v18, v2, s0
	s_clause 0x7
	global_load_b128 v[1:4], v[51:52], off
	global_load_b128 v[23:26], v[51:52], off offset:512
	global_load_b128 v[27:30], v[51:52], off offset:1024
	;; [unrolled: 1-line block ×7, first 2 shown]
	v_add_co_u32 v55, s0, 0x1000, v51
	s_delay_alu instid0(VALU_DEP_1)
	v_add_co_ci_u32_e64 v56, s0, 0, v52, s0
	s_clause 0x1
	global_load_b128 v[51:54], v[55:56], off
	global_load_b128 v[55:58], v[55:56], off offset:512
	;;#ASMSTART
	v_cvt_f32_f16 v20, v60;
	;;#ASMEND
	v_mul_f32_e32 v22, s30, v22
	;;#ASMSTART
	v_cvt_f32_f16 v59, v59;
	;;#ASMEND
	v_add_co_u32 v7, s0, v7, 16
	s_delay_alu instid0(VALU_DEP_1)
	v_add_co_ci_u32_e64 v8, s0, 0, v8, s0
	v_cmp_gt_i32_e64 s0, s28, v15
	v_add_nc_u32_e32 v15, 0x80, v15
	s_waitcnt vmcnt(9)
	v_lshrrev_b32_e32 v60, 16, v1
	v_and_b32_e32 v1, 0xffff, v1
	v_lshrrev_b32_e32 v67, 16, v2
	v_lshrrev_b32_e32 v68, 16, v3
	v_and_b32_e32 v3, 0xffff, v3
	v_lshrrev_b32_e32 v69, 16, v4
	;;#ASMSTART
	v_cvt_f32_f16 v98, v1;
	;;#ASMEND
	v_and_b32_e32 v4, 0xffff, v4
	;;#ASMSTART
	v_cvt_f32_f16 v60, v60;
	;;#ASMEND
	;;#ASMSTART
	v_cvt_f32_f16 v62, v62;
	;;#ASMEND
	;; [unrolled: 3-line block ×3, first 2 shown]
	v_and_b32_e32 v2, 0xffff, v2
	;;#ASMSTART
	v_cvt_f32_f16 v99, v2;
	;;#ASMEND
	;;#ASMSTART
	v_cvt_f32_f16 v67, v67;
	;;#ASMEND
	;; [unrolled: 3-line block ×10, first 2 shown]
	ds_load_b128 v[1:4], v14 offset:16
	s_waitcnt vmcnt(8)
	v_lshrrev_b32_e32 v70, 16, v23
	v_and_b32_e32 v23, 0xffff, v23
	v_lshrrev_b32_e32 v71, 16, v24
	v_and_b32_e32 v24, 0xffff, v24
	v_lshrrev_b32_e32 v72, 16, v25
	v_lshrrev_b32_e32 v73, 16, v26
	s_waitcnt vmcnt(7)
	v_lshrrev_b32_e32 v74, 16, v27
	v_lshrrev_b32_e32 v75, 16, v28
	v_lshrrev_b32_e32 v76, 16, v29
	s_waitcnt vmcnt(6)
	v_lshrrev_b32_e32 v80, 16, v33
	;; [unrolled: 4-line block ×3, first 2 shown]
	v_lshrrev_b32_e32 v79, 16, v32
	v_lshrrev_b32_e32 v81, 16, v34
	;; [unrolled: 1-line block ×3, first 2 shown]
	s_waitcnt vmcnt(4)
	v_lshrrev_b32_e32 v86, 16, v39
	v_lshrrev_b32_e32 v88, 16, v41
	s_waitcnt vmcnt(3)
	v_lshrrev_b32_e32 v90, 16, v43
	s_waitcnt lgkmcnt(0)
	v_lshrrev_b32_e32 v110, 16, v1
	v_lshrrev_b32_e32 v111, 16, v2
	;; [unrolled: 1-line block ×3, first 2 shown]
	v_and_b32_e32 v1, 0xffff, v1
	v_and_b32_e32 v2, 0xffff, v2
	;; [unrolled: 1-line block ×3, first 2 shown]
	;;#ASMSTART
	v_cvt_f32_f16 v114, v1;
	;;#ASMEND
	;;#ASMSTART
	v_cvt_f32_f16 v110, v110;
	;;#ASMEND
	;; [unrolled: 3-line block ×10, first 2 shown]
	v_and_b32_e32 v25, 0xffff, v25
	;;#ASMSTART
	v_cvt_f32_f16 v25, v25;
	;;#ASMEND
	s_delay_alu instid0(VALU_DEP_1)
	v_dual_mul_f32 v25, v116, v25 :: v_dual_and_b32 v26, 0xffff, v26
	v_lshrrev_b32_e32 v113, 16, v4
	v_and_b32_e32 v4, 0xffff, v4
	;;#ASMSTART
	v_cvt_f32_f16 v72, v72;
	;;#ASMEND
	;;#ASMSTART
	v_cvt_f32_f16 v117, v4;
	;;#ASMEND
	;; [unrolled: 3-line block ×3, first 2 shown]
	v_fmac_f32_e32 v25, v64, v100
	;;#ASMSTART
	v_cvt_f32_f16 v26, v26;
	;;#ASMEND
	;;#ASMSTART
	v_cvt_f32_f16 v73, v73;
	;;#ASMEND
	ds_load_b128 v[1:4], v14 offset:32
	v_mul_f32_e32 v23, v114, v23
	v_dual_mul_f32 v71, v111, v71 :: v_dual_mul_f32 v70, v110, v70
	v_mul_f32_e32 v24, v115, v24
	v_dual_mul_f32 v72, v112, v72 :: v_dual_mul_f32 v73, v113, v73
	s_delay_alu instid0(VALU_DEP_4)
	v_fmac_f32_e32 v23, v20, v98
	v_dual_mul_f32 v26, v117, v26 :: v_dual_and_b32 v27, 0xffff, v27
	v_fmac_f32_e32 v71, v61, v67
	v_dual_fmac_f32 v70, v59, v60 :: v_dual_and_b32 v29, 0xffff, v29
	v_dual_fmac_f32 v24, v62, v99 :: v_dual_and_b32 v33, 0xffff, v33
	;; [unrolled: 1-line block ×3, first 2 shown]
	v_fmac_f32_e32 v73, v65, v69
	v_dual_fmac_f32 v26, v66, v101 :: v_dual_and_b32 v35, 0xffff, v35
	s_waitcnt lgkmcnt(0)
	v_lshrrev_b32_e32 v20, 16, v1
	v_and_b32_e32 v1, 0xffff, v1
	v_lshrrev_b32_e32 v59, 16, v2
	;;#ASMSTART
	v_cvt_f32_f16 v62, v1;
	;;#ASMEND
	;;#ASMSTART
	v_cvt_f32_f16 v20, v20;
	;;#ASMEND
	;;#ASMSTART
	v_cvt_f32_f16 v27, v27;
	;;#ASMEND
	v_dual_fmac_f32 v23, v62, v27 :: v_dual_and_b32 v28, 0xffff, v28
	v_and_b32_e32 v2, 0xffff, v2
	v_lshrrev_b32_e32 v60, 16, v3
	v_and_b32_e32 v3, 0xffff, v3
	v_lshrrev_b32_e32 v61, 16, v4
	v_and_b32_e32 v4, 0xffff, v4
	;;#ASMSTART
	v_cvt_f32_f16 v63, v74;
	;;#ASMEND
	;;#ASMSTART
	v_cvt_f32_f16 v64, v2;
	;;#ASMEND
	;; [unrolled: 3-line block ×5, first 2 shown]
	v_dual_fmac_f32 v71, v59, v65 :: v_dual_and_b32 v30, 0xffff, v30
	;;#ASMSTART
	v_cvt_f32_f16 v66, v3;
	;;#ASMEND
	;;#ASMSTART
	v_cvt_f32_f16 v60, v60;
	;;#ASMEND
	;; [unrolled: 3-line block ×8, first 2 shown]
	ds_load_b128 v[1:4], v14 offset:48
	v_dual_fmac_f32 v25, v66, v29 :: v_dual_and_b32 v32, 0xffff, v32
	v_dual_fmac_f32 v73, v61, v69 :: v_dual_and_b32 v34, 0xffff, v34
	;; [unrolled: 1-line block ×6, first 2 shown]
	v_lshrrev_b32_e32 v83, 16, v36
	v_lshrrev_b32_e32 v85, 16, v38
	;; [unrolled: 1-line block ×4, first 2 shown]
	s_waitcnt vmcnt(2)
	v_lshrrev_b32_e32 v96, 16, v49
	v_lshrrev_b32_e32 v87, 16, v40
	;; [unrolled: 1-line block ×3, first 2 shown]
	s_waitcnt lgkmcnt(0)
	v_lshrrev_b32_e32 v20, 16, v1
	v_and_b32_e32 v1, 0xffff, v1
	v_lshrrev_b32_e32 v27, 16, v2
	v_and_b32_e32 v2, 0xffff, v2
	v_lshrrev_b32_e32 v28, 16, v3
	v_and_b32_e32 v3, 0xffff, v3
	v_lshrrev_b32_e32 v29, 16, v4
	v_and_b32_e32 v4, 0xffff, v4
	;;#ASMSTART
	v_cvt_f32_f16 v30, v1;
	;;#ASMEND
	;;#ASMSTART
	v_cvt_f32_f16 v20, v20;
	;;#ASMEND
	;; [unrolled: 3-line block ×16, first 2 shown]
	ds_load_b128 v[1:4], v14 offset:64
	v_dual_fmac_f32 v23, v30, v31 :: v_dual_and_b32 v36, 0xffff, v36
	v_dual_fmac_f32 v71, v27, v61 :: v_dual_and_b32 v38, 0xffff, v38
	;; [unrolled: 1-line block ×7, first 2 shown]
	s_waitcnt vmcnt(1)
	v_lshrrev_b32_e32 v102, 16, v51
	v_dual_fmac_f32 v26, v64, v34 :: v_dual_and_b32 v51, 0xffff, v51
	v_lshrrev_b32_e32 v93, 16, v46
	v_lshrrev_b32_e32 v97, 16, v50
	s_waitcnt lgkmcnt(0)
	v_lshrrev_b32_e32 v20, 16, v1
	v_and_b32_e32 v1, 0xffff, v1
	v_lshrrev_b32_e32 v27, 16, v2
	v_and_b32_e32 v2, 0xffff, v2
	;; [unrolled: 2-line block ×4, first 2 shown]
	;;#ASMSTART
	v_cvt_f32_f16 v30, v1;
	;;#ASMEND
	;;#ASMSTART
	v_cvt_f32_f16 v20, v20;
	;;#ASMEND
	;; [unrolled: 3-line block ×16, first 2 shown]
	ds_load_b128 v[1:4], v14 offset:80
	v_dual_fmac_f32 v71, v27, v35 :: v_dual_and_b32 v46, 0xffff, v46
	v_dual_fmac_f32 v73, v29, v61 :: v_dual_and_b32 v50, 0xffff, v50
	v_lshrrev_b32_e32 v104, 16, v53
	v_dual_fmac_f32 v70, v20, v32 :: v_dual_and_b32 v53, 0xffff, v53
	s_waitcnt vmcnt(0)
	v_lshrrev_b32_e32 v108, 16, v57
	v_dual_fmac_f32 v72, v28, v59 :: v_dual_and_b32 v57, 0xffff, v57
	v_lshrrev_b32_e32 v91, 16, v44
	v_dual_fmac_f32 v23, v30, v31 :: v_dual_and_b32 v44, 0xffff, v44
	;; [unrolled: 2-line block ×4, first 2 shown]
	s_waitcnt lgkmcnt(0)
	v_lshrrev_b32_e32 v20, 16, v1
	v_and_b32_e32 v1, 0xffff, v1
	v_lshrrev_b32_e32 v27, 16, v2
	v_and_b32_e32 v2, 0xffff, v2
	;; [unrolled: 2-line block ×4, first 2 shown]
	v_fmac_f32_e32 v26, v60, v38
	;;#ASMSTART
	v_cvt_f32_f16 v30, v1;
	;;#ASMEND
	;;#ASMSTART
	v_cvt_f32_f16 v20, v20;
	;;#ASMEND
	;; [unrolled: 3-line block ×16, first 2 shown]
	ds_load_b128 v[1:4], v14 offset:96
	v_lshrrev_b32_e32 v105, 16, v54
	v_dual_fmac_f32 v71, v27, v35 :: v_dual_and_b32 v54, 0xffff, v54
	v_lshrrev_b32_e32 v109, 16, v58
	v_dual_fmac_f32 v73, v29, v41 :: v_dual_and_b32 v58, 0xffff, v58
	v_fmac_f32_e32 v70, v20, v32
	v_fmac_f32_e32 v72, v28, v38
	v_lshrrev_b32_e32 v103, 16, v52
	v_dual_fmac_f32 v23, v30, v31 :: v_dual_and_b32 v52, 0xffff, v52
	v_lshrrev_b32_e32 v107, 16, v56
	v_dual_fmac_f32 v25, v36, v37 :: v_dual_and_b32 v56, 0xffff, v56
	v_fmac_f32_e32 v24, v33, v34
	v_fmac_f32_e32 v26, v39, v40
	s_waitcnt lgkmcnt(0)
	v_lshrrev_b32_e32 v20, 16, v1
	v_and_b32_e32 v1, 0xffff, v1
	v_lshrrev_b32_e32 v27, 16, v2
	v_and_b32_e32 v2, 0xffff, v2
	;; [unrolled: 2-line block ×4, first 2 shown]
	;;#ASMSTART
	v_cvt_f32_f16 v30, v1;
	;;#ASMEND
	;;#ASMSTART
	v_cvt_f32_f16 v20, v20;
	;;#ASMEND
	;; [unrolled: 3-line block ×16, first 2 shown]
	ds_load_b128 v[1:4], v14 offset:112
	v_dual_fmac_f32 v70, v20, v32 :: v_dual_fmac_f32 v23, v30, v31
	v_dual_fmac_f32 v71, v27, v35 :: v_dual_fmac_f32 v72, v28, v38
	v_dual_fmac_f32 v26, v39, v40 :: v_dual_fmac_f32 v73, v29, v41
	v_dual_fmac_f32 v24, v33, v34 :: v_dual_fmac_f32 v25, v36, v37
	s_waitcnt lgkmcnt(0)
	v_lshrrev_b32_e32 v20, 16, v1
	v_and_b32_e32 v1, 0xffff, v1
	v_lshrrev_b32_e32 v27, 16, v2
	v_and_b32_e32 v2, 0xffff, v2
	v_lshrrev_b32_e32 v28, 16, v3
	v_lshrrev_b32_e32 v29, 16, v4
	v_and_b32_e32 v4, 0xffff, v4
	;;#ASMSTART
	v_cvt_f32_f16 v30, v1;
	;;#ASMEND
	;;#ASMSTART
	v_cvt_f32_f16 v20, v20;
	;;#ASMEND
	;;#ASMSTART
	v_cvt_f32_f16 v31, v47;
	;;#ASMEND
	;;#ASMSTART
	v_cvt_f32_f16 v32, v94;
	;;#ASMEND
	v_dual_fmac_f32 v70, v20, v32 :: v_dual_and_b32 v3, 0xffff, v3
	;;#ASMSTART
	v_cvt_f32_f16 v33, v2;
	;;#ASMEND
	;;#ASMSTART
	v_cvt_f32_f16 v27, v27;
	;;#ASMEND
	;; [unrolled: 3-line block ×12, first 2 shown]
	ds_load_b128 v[1:4], v14 offset:128
	v_dual_fmac_f32 v24, v33, v34 :: v_dual_fmac_f32 v71, v27, v35
	v_dual_fmac_f32 v72, v28, v38 :: v_dual_fmac_f32 v73, v29, v41
	v_fmac_f32_e32 v23, v30, v31
	v_dual_fmac_f32 v25, v36, v37 :: v_dual_fmac_f32 v26, v39, v40
	s_waitcnt lgkmcnt(0)
	v_lshrrev_b32_e32 v20, 16, v1
	v_and_b32_e32 v1, 0xffff, v1
	v_lshrrev_b32_e32 v27, 16, v2
	v_and_b32_e32 v2, 0xffff, v2
	;; [unrolled: 2-line block ×4, first 2 shown]
	;;#ASMSTART
	v_cvt_f32_f16 v30, v1;
	;;#ASMEND
	;;#ASMSTART
	v_cvt_f32_f16 v20, v20;
	;;#ASMEND
	;; [unrolled: 3-line block ×16, first 2 shown]
	ds_load_b128 v[1:4], v14 offset:144
	v_dual_fmac_f32 v23, v30, v31 :: v_dual_fmac_f32 v70, v20, v32
	v_fmac_f32_e32 v26, v39, v40
	v_dual_fmac_f32 v24, v33, v34 :: v_dual_fmac_f32 v71, v27, v35
	v_fmac_f32_e32 v72, v28, v38
	v_fmac_f32_e32 v25, v36, v37
	;; [unrolled: 1-line block ×3, first 2 shown]
	s_waitcnt lgkmcnt(0)
	v_lshrrev_b32_e32 v20, 16, v1
	v_and_b32_e32 v1, 0xffff, v1
	;;#ASMSTART
	v_cvt_f32_f16 v1, v1;
	;;#ASMEND
	;;#ASMSTART
	v_cvt_f32_f16 v20, v20;
	;;#ASMEND
	;;#ASMSTART
	v_cvt_f32_f16 v30, v55;
	;;#ASMEND
	;;#ASMSTART
	v_cvt_f32_f16 v31, v106;
	;;#ASMEND
	v_dual_fmac_f32 v23, v1, v30 :: v_dual_fmac_f32 v70, v20, v31
	v_lshrrev_b32_e32 v27, 16, v2
	v_and_b32_e32 v2, 0xffff, v2
	;;#ASMSTART
	v_cvt_f32_f16 v2, v2;
	;;#ASMEND
	v_lshrrev_b32_e32 v28, 16, v3
	;;#ASMSTART
	v_cvt_f32_f16 v27, v27;
	;;#ASMEND
	;;#ASMSTART
	v_cvt_f32_f16 v32, v56;
	;;#ASMEND
	v_dual_fmac_f32 v24, v2, v32 :: v_dual_and_b32 v3, 0xffff, v3
	v_add_f32_e32 v2, v23, v70
	;;#ASMSTART
	v_cvt_f32_f16 v33, v107;
	;;#ASMEND
	v_fmac_f32_e32 v71, v27, v33
	;;#ASMSTART
	v_cvt_f32_f16 v3, v3;
	;;#ASMEND
	;;#ASMSTART
	v_cvt_f32_f16 v28, v28;
	;;#ASMEND
	v_add_f32_e32 v2, v2, v24
	;;#ASMSTART
	v_cvt_f32_f16 v1, v57;
	;;#ASMEND
	v_fmac_f32_e32 v25, v3, v1
	;;#ASMSTART
	v_cvt_f32_f16 v20, v108;
	;;#ASMEND
	s_delay_alu instid0(VALU_DEP_2) | instskip(SKIP_1) | instid1(VALU_DEP_2)
	v_dual_fmac_f32 v72, v28, v20 :: v_dual_add_f32 v1, v71, v2
	v_lshrrev_b32_e32 v29, 16, v4
	v_dual_add_f32 v1, v1, v25 :: v_dual_and_b32 v4, 0xffff, v4
	s_delay_alu instid0(VALU_DEP_1)
	v_add_f32_e32 v1, v72, v1
	;;#ASMSTART
	v_cvt_f32_f16 v4, v4;
	;;#ASMEND
	;;#ASMSTART
	v_cvt_f32_f16 v2, v29;
	;;#ASMEND
	;; [unrolled: 3-line block ×3, first 2 shown]
	v_fmac_f32_e32 v26, v4, v3
	;;#ASMSTART
	v_cvt_f32_f16 v3, v109;
	;;#ASMEND
	v_dual_fmac_f32 v73, v2, v3 :: v_dual_cndmask_b32 v2, 0, v22
	s_delay_alu instid0(VALU_DEP_2) | instskip(NEXT) | instid1(VALU_DEP_1)
	v_add_f32_e32 v1, v1, v26
	v_add_f32_e32 v1, v73, v1
	s_delay_alu instid0(VALU_DEP_1) | instskip(NEXT) | instid1(VALU_DEP_1)
	v_fmac_f32_e32 v2, s3, v1
	v_cndmask_b32_e64 v1, 0, v2, s0
	v_max_f32_e32 v2, v21, v2
	ds_store_b32 v16, v1
	v_cndmask_b32_e64 v13, v13, v2, s0
	v_add_nc_u32_e32 v16, 0x200, v16
	s_and_not1_b32 exec_lo, exec_lo, s33
	s_cbranch_execnz .LBB123_7
; %bb.8:
	s_or_b32 exec_lo, exec_lo, s33
.LBB123_9:
	s_delay_alu instid0(SALU_CYCLE_1) | instskip(SKIP_2) | instid1(VALU_DEP_2)
	s_or_b32 exec_lo, exec_lo, s31
	v_mbcnt_lo_u32_b32 v1, -1, 0
	v_max_f32_e32 v7, v13, v13
	v_xor_b32_e32 v2, 16, v1
	v_xor_b32_e32 v4, 8, v1
	s_delay_alu instid0(VALU_DEP_2) | instskip(SKIP_1) | instid1(VALU_DEP_3)
	v_cmp_gt_i32_e32 vcc_lo, 32, v2
	v_cndmask_b32_e32 v2, v1, v2, vcc_lo
	v_cmp_gt_i32_e32 vcc_lo, 32, v4
	s_delay_alu instid0(VALU_DEP_2) | instskip(SKIP_4) | instid1(VALU_DEP_1)
	v_lshlrev_b32_e32 v2, 2, v2
	v_cndmask_b32_e32 v4, v1, v4, vcc_lo
	ds_bpermute_b32 v3, v2, v13
	s_waitcnt lgkmcnt(0)
	v_dual_max_f32 v8, v3, v3 :: v_dual_lshlrev_b32 v3, 2, v4
	v_max_f32_e32 v4, v7, v8
	v_xor_b32_e32 v8, 4, v1
	ds_bpermute_b32 v7, v3, v4
	v_cmp_gt_i32_e32 vcc_lo, 32, v8
	s_waitcnt lgkmcnt(0)
	v_dual_cndmask_b32 v8, v1, v8 :: v_dual_max_f32 v13, v7, v7
	s_delay_alu instid0(VALU_DEP_1) | instskip(SKIP_1) | instid1(VALU_DEP_1)
	v_max_f32_e32 v4, v4, v13
	v_xor_b32_e32 v13, 2, v1
	v_cmp_gt_i32_e32 vcc_lo, 32, v13
	v_cndmask_b32_e32 v13, v1, v13, vcc_lo
	s_delay_alu instid0(VALU_DEP_1) | instskip(SKIP_1) | instid1(VALU_DEP_1)
	v_lshlrev_b32_e32 v14, 2, v13
	v_xor_b32_e32 v13, 1, v1
	v_cmp_gt_i32_e32 vcc_lo, 32, v13
	v_cndmask_b32_e32 v13, v1, v13, vcc_lo
	v_cmp_eq_u32_e32 vcc_lo, 0, v11
	s_delay_alu instid0(VALU_DEP_2) | instskip(SKIP_4) | instid1(VALU_DEP_1)
	v_lshlrev_b32_e32 v13, 2, v13
	v_lshlrev_b32_e32 v7, 2, v8
	ds_bpermute_b32 v8, v7, v4
	s_waitcnt lgkmcnt(0)
	v_max_f32_e32 v8, v8, v8
	v_max_f32_e32 v4, v4, v8
	ds_bpermute_b32 v8, v14, v4
	s_waitcnt lgkmcnt(0)
	v_max_f32_e32 v8, v8, v8
	s_delay_alu instid0(VALU_DEP_1)
	v_dual_max_f32 v1, v4, v8 :: v_dual_lshlrev_b32 v8, 2, v10
	ds_bpermute_b32 v4, v13, v1
	s_and_saveexec_b32 s0, vcc_lo
	s_cbranch_execz .LBB123_11
; %bb.10:
	s_waitcnt lgkmcnt(0)
	v_dual_max_f32 v4, v4, v4 :: v_dual_max_f32 v1, v1, v1
	s_delay_alu instid0(VALU_DEP_1)
	v_max_f32_e32 v1, v1, v4
	ds_store_b32 v8, v1 offset:160
.LBB123_11:
	s_or_b32 exec_lo, exec_lo, s0
	v_cmp_gt_u32_e64 s0, 4, v11
	v_mov_b32_e32 v1, 0xff7fffff
	s_waitcnt lgkmcnt(0)
	s_barrier
	buffer_gl0_inv
	s_and_saveexec_b32 s1, s0
	s_cbranch_execz .LBB123_13
; %bb.12:
	ds_load_b32 v1, v12 offset:160
.LBB123_13:
	s_or_b32 exec_lo, exec_lo, s1
	s_waitcnt lgkmcnt(0)
	ds_bpermute_b32 v4, v14, v1
	v_max_f32_e32 v1, v1, v1
	s_sub_i32 s1, s17, s15
	v_mov_b32_e32 v15, 0
	s_lshl_b32 s1, s1, 5
	s_delay_alu instid0(SALU_CYCLE_1) | instskip(NEXT) | instid1(SALU_CYCLE_1)
	s_add_i32 s1, s1, s29
	s_min_i32 s1, s1, s28
	s_delay_alu instid0(SALU_CYCLE_1) | instskip(NEXT) | instid1(SALU_CYCLE_1)
	s_sub_i32 s7, s1, s29
	v_cmp_gt_i32_e64 s1, s7, v0
	s_waitcnt lgkmcnt(0)
	v_max_f32_e32 v4, v4, v4
	s_delay_alu instid0(VALU_DEP_1) | instskip(SKIP_3) | instid1(VALU_DEP_1)
	v_max_f32_e32 v1, v1, v4
	ds_bpermute_b32 v4, v13, v1
	s_waitcnt lgkmcnt(0)
	v_max_f32_e32 v4, v4, v4
	v_max_f32_e32 v1, v1, v4
	v_lshl_add_u32 v4, v0, 2, 0xc0
	ds_bpermute_b32 v1, v15, v1
	s_and_saveexec_b32 s15, s1
	s_cbranch_execz .LBB123_17
; %bb.14:
	v_lshl_add_u32 v16, v0, 2, 0xc0
	v_mov_b32_e32 v15, 0
	v_mov_b32_e32 v17, v0
	s_mov_b32 s30, 0
	.p2align	6
.LBB123_15:                             ; =>This Inner Loop Header: Depth=1
	ds_load_b32 v18, v16
	v_add_nc_u32_e32 v17, 0x80, v17
	s_delay_alu instid0(VALU_DEP_1) | instskip(NEXT) | instid1(VALU_DEP_1)
	v_cmp_le_i32_e64 s3, s7, v17
	s_or_b32 s30, s3, s30
	s_waitcnt lgkmcnt(0)
	v_sub_f32_e32 v18, v18, v1
	s_delay_alu instid0(VALU_DEP_1) | instskip(NEXT) | instid1(VALU_DEP_1)
	v_mul_f32_e32 v18, 0x3fb8aa3b, v18
	v_exp_f32_e32 v18, v18
	ds_store_b32 v16, v18
	v_dual_add_f32 v15, v15, v18 :: v_dual_add_nc_u32 v16, 0x200, v16
	s_and_not1_b32 exec_lo, exec_lo, s30
	s_cbranch_execnz .LBB123_15
; %bb.16:
	s_or_b32 exec_lo, exec_lo, s30
.LBB123_17:
	s_delay_alu instid0(SALU_CYCLE_1)
	s_or_b32 exec_lo, exec_lo, s15
	ds_bpermute_b32 v2, v2, v15
	s_waitcnt lgkmcnt(0)
	v_add_f32_e32 v2, v15, v2
	ds_bpermute_b32 v3, v3, v2
	s_waitcnt lgkmcnt(0)
	v_add_f32_e32 v2, v2, v3
	;; [unrolled: 3-line block ×5, first 2 shown]
	s_and_saveexec_b32 s3, vcc_lo
	s_cbranch_execz .LBB123_19
; %bb.18:
	ds_store_b32 v8, v2 offset:176
.LBB123_19:
	s_or_b32 exec_lo, exec_lo, s3
	s_waitcnt lgkmcnt(0)
	s_barrier
	buffer_gl0_inv
	s_and_saveexec_b32 s3, s0
	s_cbranch_execz .LBB123_21
; %bb.20:
	ds_load_b32 v2, v12 offset:176
.LBB123_21:
	s_or_b32 exec_lo, exec_lo, s3
	s_waitcnt lgkmcnt(0)
	ds_bpermute_b32 v3, v14, v2
	s_waitcnt lgkmcnt(0)
	v_add_f32_e32 v2, v2, v3
	ds_bpermute_b32 v3, v13, v2
	s_waitcnt lgkmcnt(0)
	v_dual_add_f32 v2, v2, v3 :: v_dual_mov_b32 v3, 0
	ds_bpermute_b32 v2, v3, v2
	s_and_saveexec_b32 s0, s1
	s_cbranch_execz .LBB123_24
; %bb.22:
	s_waitcnt lgkmcnt(0)
	v_add_f32_e32 v3, 0x358637bd, v2
	s_mov_b32 s1, 0
	s_delay_alu instid0(VALU_DEP_1) | instskip(NEXT) | instid1(VALU_DEP_1)
	v_div_scale_f32 v7, null, v3, v3, 1.0
	v_rcp_f32_e32 v8, v7
	s_waitcnt_depctr 0xfff
	v_fma_f32 v12, -v7, v8, 1.0
	s_delay_alu instid0(VALU_DEP_1) | instskip(SKIP_1) | instid1(VALU_DEP_1)
	v_fmac_f32_e32 v8, v12, v8
	v_div_scale_f32 v15, vcc_lo, 1.0, v3, 1.0
	v_mul_f32_e32 v12, v15, v8
	s_delay_alu instid0(VALU_DEP_1) | instskip(NEXT) | instid1(VALU_DEP_1)
	v_fma_f32 v16, -v7, v12, v15
	v_fmac_f32_e32 v12, v16, v8
	s_delay_alu instid0(VALU_DEP_1) | instskip(NEXT) | instid1(VALU_DEP_1)
	v_fma_f32 v7, -v7, v12, v15
	v_div_fmas_f32 v7, v7, v8, v12
	s_delay_alu instid0(VALU_DEP_1)
	v_div_fixup_f32 v3, v7, v3, 1.0
	v_mov_b32_e32 v7, v0
.LBB123_23:                             ; =>This Inner Loop Header: Depth=1
	ds_load_b32 v8, v4
	s_waitcnt lgkmcnt(0)
	v_dual_mul_f32 v8, v3, v8 :: v_dual_add_nc_u32 v7, 0x80, v7
	s_delay_alu instid0(VALU_DEP_1) | instskip(SKIP_3) | instid1(SALU_CYCLE_1)
	v_cmp_le_i32_e32 vcc_lo, s7, v7
	ds_store_b32 v4, v8
	v_add_nc_u32_e32 v4, 0x200, v4
	s_or_b32 s1, vcc_lo, s1
	s_and_not1_b32 exec_lo, exec_lo, s1
	s_cbranch_execnz .LBB123_23
.LBB123_24:
	s_or_b32 exec_lo, exec_lo, s0
	s_mul_i32 s0, s4, s14
	s_waitcnt lgkmcnt(0)
	s_mul_i32 s14, s0, s13
	s_mov_b32 s0, exec_lo
	s_barrier
	buffer_gl0_inv
	v_cmpx_eq_u32_e32 0, v0
	s_cbranch_execz .LBB123_26
; %bb.25:
	s_ashr_i32 s15, s14, 31
	s_mul_i32 s34, s4, s22
	s_lshl_b64 s[30:31], s[14:15], 2
	v_mov_b32_e32 v3, 0
	s_add_u32 s1, s10, s30
	s_addc_u32 s3, s11, s31
	s_ashr_i32 s35, s34, 31
	s_delay_alu instid0(SALU_CYCLE_1) | instskip(NEXT) | instid1(SALU_CYCLE_1)
	s_lshl_b64 s[10:11], s[34:35], 2
	s_add_u32 s1, s1, s10
	s_addc_u32 s3, s3, s11
	s_ashr_i32 s13, s12, 31
	s_delay_alu instid0(SALU_CYCLE_1) | instskip(NEXT) | instid1(SALU_CYCLE_1)
	s_lshl_b64 s[34:35], s[12:13], 2
	s_add_u32 s36, s1, s34
	s_addc_u32 s37, s3, s35
	s_add_u32 s1, s8, s30
	s_addc_u32 s3, s9, s31
	;; [unrolled: 2-line block ×4, first 2 shown]
	s_clause 0x1
	global_store_b32 v3, v1, s[36:37]
	global_store_b32 v3, v2, s[8:9]
.LBB123_26:
	s_or_b32 exec_lo, exec_lo, s0
	v_dual_mov_b32 v22, 0 :: v_dual_mov_b32 v23, 0
	v_dual_mov_b32 v21, 0 :: v_dual_and_b32 v12, 3, v0
	v_dual_mov_b32 v24, 0 :: v_dual_mov_b32 v19, 0
	v_dual_mov_b32 v20, 0 :: v_dual_mov_b32 v17, 0
	;; [unrolled: 1-line block ×3, first 2 shown]
	v_mov_b32_e32 v16, 0
	s_and_saveexec_b32 s1, s2
	s_cbranch_execz .LBB123_50
; %bb.27:
	v_dual_mov_b32 v16, 0 :: v_dual_lshlrev_b32 v1, 3, v0
	v_dual_mov_b32 v15, 0 :: v_dual_lshlrev_b32 v2, 5, v12
	s_ashr_i32 s7, s6, 31
	s_delay_alu instid0(VALU_DEP_2) | instskip(SKIP_4) | instid1(VALU_DEP_2)
	v_dual_mov_b32 v18, 0 :: v_dual_and_b32 v3, 0xf8, v1
	v_dual_mov_b32 v20, 0 :: v_dual_and_b32 v1, 24, v1
	s_lshl_b64 s[6:7], s[6:7], 1
	v_lshl_or_b32 v7, v10, 7, v2
	s_add_u32 s3, s24, s6
	v_add3_u32 v25, s29, v9, v1
	v_lshlrev_b64 v[1:2], 2, v[5:6]
	s_mov_b32 s2, s5
	s_addc_u32 s5, s25, s7
	s_lshl_b64 s[24:25], s[26:27], 2
	s_add_i32 s23, s23, -1
	v_or_b32_e32 v4, 0x800, v3
	v_or_b32_e32 v8, 0x900, v3
	s_add_u32 s0, s20, s24
	s_addc_u32 s11, s21, s25
	v_add_co_u32 v6, vcc_lo, s0, v1
	v_dual_mov_b32 v17, 0 :: v_dual_add_nc_u32 v26, 0xc0, v7
	v_add_co_ci_u32_e32 v7, vcc_lo, s11, v2, vcc_lo
	v_dual_mov_b32 v24, 0 :: v_dual_lshlrev_b32 v27, 1, v3
	v_dual_mov_b32 v19, 0 :: v_dual_lshlrev_b32 v28, 1, v4
	;; [unrolled: 1-line block ×3, first 2 shown]
	v_mov_b32_e32 v21, 0
	v_mov_b32_e32 v23, 0
	s_mov_b32 s6, s28
	s_mov_b32 s7, s28
	;; [unrolled: 1-line block ×8, first 2 shown]
	s_branch .LBB123_29
.LBB123_28:                             ;   in Loop: Header=BB123_29 Depth=1
	s_or_b32 exec_lo, exec_lo, s0
	v_dual_add_f32 v8, v8, v9 :: v_dual_add_f32 v9, v55, v56
	v_dual_add_f32 v30, v43, v44 :: v_dual_add_f32 v31, v53, v54
	s_waitcnt vmcnt(0)
	;;#ASMSTART
	v_pk_mul_f16 v1, v41, v1;

	;;#ASMEND
	;;#ASMSTART
	v_pk_mul_f16 v2, v39, v2;

	;;#ASMEND
	;; [unrolled: 4-line block ×4, first 2 shown]
	;;#ASMSTART
	v_pk_add_f16 v1, v1, v2;

	;;#ASMEND
	v_add_f32_e32 v18, v18, v9
	;;#ASMSTART
	v_pk_add_f16 v1, v1, v3;

	;;#ASMEND
	v_dual_add_f32 v3, v47, v48 :: v_dual_add_f32 v16, v16, v30
	v_add_f32_e32 v17, v17, v8
	v_dual_add_f32 v30, v49, v50 :: v_dual_add_f32 v19, v19, v31
	v_add_f32_e32 v32, v51, v52
	;;#ASMSTART
	v_pk_add_f16 v1, v1, v4;

	;;#ASMEND
	v_dual_add_f32 v23, v23, v3 :: v_dual_and_b32 v2, 0xffff, v1
	v_lshrrev_b32_e32 v1, 16, v1
	v_dual_add_f32 v4, v45, v46 :: v_dual_add_nc_u32 v5, 4, v5
	;;#ASMSTART
	v_cvt_f32_f16 v2, v2;
	;;#ASMEND
	;;#ASMSTART
	v_cvt_f32_f16 v1, v1;
	;;#ASMEND
	v_dual_add_f32 v21, v21, v30 :: v_dual_add_f32 v20, v20, v32
	v_dual_add_f32 v1, v2, v1 :: v_dual_add_f32 v8, v40, v42
	v_cmp_le_i32_e32 vcc_lo, s17, v5
	v_add_co_u32 v6, s0, v6, 16
	s_delay_alu instid0(VALU_DEP_3) | instskip(NEXT) | instid1(VALU_DEP_4)
	v_dual_add_f32 v15, v15, v1 :: v_dual_add_f32 v24, v24, v4
	v_dual_add_f32 v22, v22, v8 :: v_dual_add_nc_u32 v25, 0x80, v25
	v_add_nc_u32_e32 v26, 0x200, v26
	v_add_co_ci_u32_e64 v7, s0, 0, v7, s0
	s_or_b32 s13, vcc_lo, s13
	s_delay_alu instid0(SALU_CYCLE_1)
	s_and_not1_b32 exec_lo, exec_lo, s13
	s_cbranch_execz .LBB123_49
.LBB123_29:                             ; =>This Inner Loop Header: Depth=1
	global_load_b32 v30, v[6:7], off
	ds_load_2addr_b64 v[1:4], v26 offset1:1
	v_or_b32_e32 v34, 5, v25
	v_or_b32_e32 v36, 7, v25
	v_or_b32_e32 v38, 6, v25
	s_waitcnt vmcnt(0)
	v_mad_i64_i32 v[8:9], null, v30, s2, 0
	ds_load_2addr_b64 v[30:33], v26 offset0:2 offset1:3
	s_waitcnt lgkmcnt(1)
	;;#ASMSTART
	v_cvt_f16_f32 v39, v1;

	;;#ASMEND
	;;#ASMSTART
	v_cvt_f16_f32 v35, v2;

	;;#ASMEND
	;; [unrolled: 4-line block ×4, first 2 shown]
	s_waitcnt lgkmcnt(0)
	;;#ASMSTART
	v_cvt_f16_f32 v41, v30;

	;;#ASMEND
	v_lshlrev_b64 v[8:9], 1, v[8:9]
	;;#ASMSTART
	v_cvt_f16_f32 v42, v31;

	;;#ASMEND
	;;#ASMSTART
	v_cvt_f16_f32 v46, v32;

	;;#ASMEND
	;; [unrolled: 4-line block ×3, first 2 shown]
	v_add_nc_u32_e32 v30, 1, v25
	v_or_b32_e32 v32, 3, v25
	v_add_co_u32 v43, vcc_lo, s3, v8
	v_add_co_ci_u32_e32 v44, vcc_lo, s5, v9, vcc_lo
	v_or_b32_e32 v31, 2, v25
	s_delay_alu instid0(VALU_DEP_3) | instskip(NEXT) | instid1(VALU_DEP_3)
	v_add_co_u32 v8, vcc_lo, v43, v27
	v_add_co_ci_u32_e32 v9, vcc_lo, 0, v44, vcc_lo
	v_cmp_eq_u32_e32 vcc_lo, s23, v5
	v_or_b32_e32 v33, 4, v25
	global_load_b128 v[1:4], v[8:9], off
	s_and_saveexec_b32 s20, vcc_lo
	s_cbranch_execz .LBB123_31
; %bb.30:                               ;   in Loop: Header=BB123_29 Depth=1
	v_cmp_gt_i32_e64 s0, s11, v38
	s_waitcnt vmcnt(0)
	v_lshrrev_b32_e32 v47, 16, v4
	v_lshrrev_b32_e32 v48, 16, v3
	;; [unrolled: 1-line block ×4, first 2 shown]
	v_cndmask_b32_e64 v4, 0, v4, s0
	v_cmp_gt_i32_e64 s0, s15, v36
	s_delay_alu instid0(VALU_DEP_1) | instskip(SKIP_1) | instid1(VALU_DEP_2)
	v_cndmask_b32_e64 v47, 0, v47, s0
	v_cmp_gt_i32_e64 s0, s10, v34
	v_perm_b32 v4, v47, v4, 0x5040100
	s_delay_alu instid0(VALU_DEP_2) | instskip(SKIP_1) | instid1(VALU_DEP_1)
	v_cndmask_b32_e64 v48, 0, v48, s0
	v_cmp_gt_i32_e64 s0, s9, v33
	v_cndmask_b32_e64 v3, 0, v3, s0
	v_cmp_gt_i32_e64 s0, s8, v32
	s_delay_alu instid0(VALU_DEP_2) | instskip(NEXT) | instid1(VALU_DEP_2)
	v_perm_b32 v3, v48, v3, 0x5040100
	v_cndmask_b32_e64 v49, 0, v49, s0
	v_cmp_gt_i32_e64 s0, s7, v31
	s_delay_alu instid0(VALU_DEP_1) | instskip(SKIP_1) | instid1(VALU_DEP_2)
	v_cndmask_b32_e64 v2, 0, v2, s0
	v_cmp_gt_i32_e64 s0, s6, v30
	v_perm_b32 v2, v49, v2, 0x5040100
	s_delay_alu instid0(VALU_DEP_2) | instskip(SKIP_1) | instid1(VALU_DEP_1)
	v_cndmask_b32_e64 v50, 0, v50, s0
	v_cmp_gt_i32_e64 s0, s28, v25
	v_cndmask_b32_e64 v1, 0, v1, s0
	s_delay_alu instid0(VALU_DEP_1)
	v_perm_b32 v1, v50, v1, 0x5040100
.LBB123_31:                             ;   in Loop: Header=BB123_29 Depth=1
	s_or_b32 exec_lo, exec_lo, s20
	v_and_b32_e32 v39, 0xffff, v39
	v_and_b32_e32 v40, 0xffff, v40
	;; [unrolled: 1-line block ×4, first 2 shown]
	s_delay_alu instid0(VALU_DEP_4)
	v_lshl_or_b32 v41, v35, 16, v39
	s_waitcnt vmcnt(0)
	;;#ASMSTART
	v_pk_mul_f16 v1, v41, v1;

	;;#ASMEND
	v_lshl_or_b32 v39, v37, 16, v40
	v_lshl_or_b32 v37, v42, 16, v47
	;; [unrolled: 1-line block ×3, first 2 shown]
	;;#ASMSTART
	v_pk_mul_f16 v2, v39, v2;

	;;#ASMEND
	;;#ASMSTART
	v_pk_mul_f16 v3, v37, v3;

	;;#ASMEND
	;; [unrolled: 4-line block ×3, first 2 shown]
	;;#ASMSTART
	v_pk_add_f16 v1, v1, v2;

	;;#ASMEND
	;;#ASMSTART
	v_pk_add_f16 v1, v1, v3;

	;;#ASMEND
	;; [unrolled: 4-line block ×3, first 2 shown]
	v_and_b32_e32 v2, 0xffff, v1
	v_lshrrev_b32_e32 v1, 16, v1
	;;#ASMSTART
	v_cvt_f32_f16 v40, v2;
	;;#ASMEND
	;;#ASMSTART
	v_cvt_f32_f16 v42, v1;
	;;#ASMEND
	global_load_b128 v[1:4], v[8:9], off offset:512
	s_and_saveexec_b32 s20, vcc_lo
	s_cbranch_execz .LBB123_33
; %bb.32:                               ;   in Loop: Header=BB123_29 Depth=1
	v_cmp_gt_i32_e64 s0, s11, v38
	s_waitcnt vmcnt(0)
	v_lshrrev_b32_e32 v45, 16, v4
	v_lshrrev_b32_e32 v46, 16, v3
	;; [unrolled: 1-line block ×4, first 2 shown]
	v_cndmask_b32_e64 v4, 0, v4, s0
	v_cmp_gt_i32_e64 s0, s15, v36
	s_delay_alu instid0(VALU_DEP_1) | instskip(SKIP_1) | instid1(VALU_DEP_2)
	v_cndmask_b32_e64 v45, 0, v45, s0
	v_cmp_gt_i32_e64 s0, s10, v34
	v_perm_b32 v4, v45, v4, 0x5040100
	s_delay_alu instid0(VALU_DEP_2) | instskip(SKIP_1) | instid1(VALU_DEP_1)
	v_cndmask_b32_e64 v46, 0, v46, s0
	v_cmp_gt_i32_e64 s0, s9, v33
	v_cndmask_b32_e64 v3, 0, v3, s0
	v_cmp_gt_i32_e64 s0, s8, v32
	s_delay_alu instid0(VALU_DEP_2) | instskip(NEXT) | instid1(VALU_DEP_2)
	v_perm_b32 v3, v46, v3, 0x5040100
	v_cndmask_b32_e64 v47, 0, v47, s0
	v_cmp_gt_i32_e64 s0, s7, v31
	s_delay_alu instid0(VALU_DEP_1) | instskip(SKIP_1) | instid1(VALU_DEP_2)
	v_cndmask_b32_e64 v2, 0, v2, s0
	v_cmp_gt_i32_e64 s0, s6, v30
	v_perm_b32 v2, v47, v2, 0x5040100
	s_delay_alu instid0(VALU_DEP_2) | instskip(SKIP_1) | instid1(VALU_DEP_1)
	v_cndmask_b32_e64 v48, 0, v48, s0
	v_cmp_gt_i32_e64 s0, s28, v25
	v_cndmask_b32_e64 v1, 0, v1, s0
	s_delay_alu instid0(VALU_DEP_1)
	v_perm_b32 v1, v48, v1, 0x5040100
.LBB123_33:                             ;   in Loop: Header=BB123_29 Depth=1
	s_or_b32 exec_lo, exec_lo, s20
	s_waitcnt vmcnt(0)
	;;#ASMSTART
	v_pk_mul_f16 v1, v41, v1;

	;;#ASMEND
	;;#ASMSTART
	v_pk_mul_f16 v2, v39, v2;

	;;#ASMEND
	;; [unrolled: 4-line block ×4, first 2 shown]
	;;#ASMSTART
	v_pk_add_f16 v1, v1, v2;

	;;#ASMEND
	;;#ASMSTART
	v_pk_add_f16 v1, v1, v3;

	;;#ASMEND
	;; [unrolled: 4-line block ×3, first 2 shown]
	v_and_b32_e32 v2, 0xffff, v1
	v_lshrrev_b32_e32 v1, 16, v1
	;;#ASMSTART
	v_cvt_f32_f16 v45, v2;
	;;#ASMEND
	;;#ASMSTART
	v_cvt_f32_f16 v46, v1;
	;;#ASMEND
	global_load_b128 v[1:4], v[8:9], off offset:1024
	s_and_saveexec_b32 s20, vcc_lo
	s_cbranch_execz .LBB123_35
; %bb.34:                               ;   in Loop: Header=BB123_29 Depth=1
	v_cmp_gt_i32_e64 s0, s11, v38
	s_waitcnt vmcnt(0)
	v_lshrrev_b32_e32 v47, 16, v4
	v_lshrrev_b32_e32 v48, 16, v3
	;; [unrolled: 1-line block ×4, first 2 shown]
	v_cndmask_b32_e64 v4, 0, v4, s0
	v_cmp_gt_i32_e64 s0, s15, v36
	s_delay_alu instid0(VALU_DEP_1) | instskip(SKIP_1) | instid1(VALU_DEP_2)
	v_cndmask_b32_e64 v47, 0, v47, s0
	v_cmp_gt_i32_e64 s0, s10, v34
	v_perm_b32 v4, v47, v4, 0x5040100
	s_delay_alu instid0(VALU_DEP_2) | instskip(SKIP_1) | instid1(VALU_DEP_1)
	v_cndmask_b32_e64 v48, 0, v48, s0
	v_cmp_gt_i32_e64 s0, s9, v33
	v_cndmask_b32_e64 v3, 0, v3, s0
	v_cmp_gt_i32_e64 s0, s8, v32
	s_delay_alu instid0(VALU_DEP_2) | instskip(NEXT) | instid1(VALU_DEP_2)
	v_perm_b32 v3, v48, v3, 0x5040100
	v_cndmask_b32_e64 v49, 0, v49, s0
	v_cmp_gt_i32_e64 s0, s7, v31
	s_delay_alu instid0(VALU_DEP_1) | instskip(SKIP_1) | instid1(VALU_DEP_2)
	v_cndmask_b32_e64 v2, 0, v2, s0
	v_cmp_gt_i32_e64 s0, s6, v30
	v_perm_b32 v2, v49, v2, 0x5040100
	s_delay_alu instid0(VALU_DEP_2) | instskip(SKIP_1) | instid1(VALU_DEP_1)
	v_cndmask_b32_e64 v50, 0, v50, s0
	v_cmp_gt_i32_e64 s0, s28, v25
	v_cndmask_b32_e64 v1, 0, v1, s0
	s_delay_alu instid0(VALU_DEP_1)
	v_perm_b32 v1, v50, v1, 0x5040100
.LBB123_35:                             ;   in Loop: Header=BB123_29 Depth=1
	s_or_b32 exec_lo, exec_lo, s20
	s_waitcnt vmcnt(0)
	;;#ASMSTART
	v_pk_mul_f16 v1, v41, v1;

	;;#ASMEND
	;;#ASMSTART
	v_pk_mul_f16 v2, v39, v2;

	;;#ASMEND
	;; [unrolled: 4-line block ×4, first 2 shown]
	;;#ASMSTART
	v_pk_add_f16 v1, v1, v2;

	;;#ASMEND
	;;#ASMSTART
	v_pk_add_f16 v1, v1, v3;

	;;#ASMEND
	;; [unrolled: 4-line block ×3, first 2 shown]
	v_and_b32_e32 v2, 0xffff, v1
	v_lshrrev_b32_e32 v1, 16, v1
	;;#ASMSTART
	v_cvt_f32_f16 v47, v2;
	;;#ASMEND
	;;#ASMSTART
	v_cvt_f32_f16 v48, v1;
	;;#ASMEND
	global_load_b128 v[1:4], v[8:9], off offset:1536
	s_and_saveexec_b32 s20, vcc_lo
	s_cbranch_execz .LBB123_37
; %bb.36:                               ;   in Loop: Header=BB123_29 Depth=1
	v_cmp_gt_i32_e64 s0, s11, v38
	s_waitcnt vmcnt(0)
	v_lshrrev_b32_e32 v49, 16, v4
	v_lshrrev_b32_e32 v50, 16, v3
	;; [unrolled: 1-line block ×4, first 2 shown]
	v_cndmask_b32_e64 v4, 0, v4, s0
	v_cmp_gt_i32_e64 s0, s15, v36
	s_delay_alu instid0(VALU_DEP_1) | instskip(SKIP_1) | instid1(VALU_DEP_2)
	v_cndmask_b32_e64 v49, 0, v49, s0
	v_cmp_gt_i32_e64 s0, s10, v34
	v_perm_b32 v4, v49, v4, 0x5040100
	s_delay_alu instid0(VALU_DEP_2) | instskip(SKIP_1) | instid1(VALU_DEP_1)
	v_cndmask_b32_e64 v50, 0, v50, s0
	v_cmp_gt_i32_e64 s0, s9, v33
	v_cndmask_b32_e64 v3, 0, v3, s0
	v_cmp_gt_i32_e64 s0, s8, v32
	s_delay_alu instid0(VALU_DEP_2) | instskip(NEXT) | instid1(VALU_DEP_2)
	v_perm_b32 v3, v50, v3, 0x5040100
	v_cndmask_b32_e64 v51, 0, v51, s0
	v_cmp_gt_i32_e64 s0, s7, v31
	s_delay_alu instid0(VALU_DEP_1) | instskip(SKIP_1) | instid1(VALU_DEP_2)
	v_cndmask_b32_e64 v2, 0, v2, s0
	v_cmp_gt_i32_e64 s0, s6, v30
	v_perm_b32 v2, v51, v2, 0x5040100
	s_delay_alu instid0(VALU_DEP_2) | instskip(SKIP_1) | instid1(VALU_DEP_1)
	v_cndmask_b32_e64 v52, 0, v52, s0
	v_cmp_gt_i32_e64 s0, s28, v25
	v_cndmask_b32_e64 v1, 0, v1, s0
	s_delay_alu instid0(VALU_DEP_1)
	v_perm_b32 v1, v52, v1, 0x5040100
.LBB123_37:                             ;   in Loop: Header=BB123_29 Depth=1
	s_or_b32 exec_lo, exec_lo, s20
	s_waitcnt vmcnt(0)
	;;#ASMSTART
	v_pk_mul_f16 v1, v41, v1;

	;;#ASMEND
	;;#ASMSTART
	v_pk_mul_f16 v2, v39, v2;

	;;#ASMEND
	;; [unrolled: 4-line block ×4, first 2 shown]
	;;#ASMSTART
	v_pk_add_f16 v1, v1, v2;

	;;#ASMEND
	;;#ASMSTART
	v_pk_add_f16 v1, v1, v3;

	;;#ASMEND
	;; [unrolled: 4-line block ×3, first 2 shown]
	v_and_b32_e32 v2, 0xffff, v1
	v_lshrrev_b32_e32 v1, 16, v1
	;;#ASMSTART
	v_cvt_f32_f16 v49, v2;
	;;#ASMEND
	;;#ASMSTART
	v_cvt_f32_f16 v50, v1;
	;;#ASMEND
	global_load_b128 v[1:4], v[8:9], off offset:2048
	s_and_saveexec_b32 s20, vcc_lo
	s_cbranch_execz .LBB123_39
; %bb.38:                               ;   in Loop: Header=BB123_29 Depth=1
	v_cmp_gt_i32_e64 s0, s11, v38
	s_waitcnt vmcnt(0)
	v_lshrrev_b32_e32 v51, 16, v4
	v_lshrrev_b32_e32 v52, 16, v3
	;; [unrolled: 1-line block ×4, first 2 shown]
	v_cndmask_b32_e64 v4, 0, v4, s0
	v_cmp_gt_i32_e64 s0, s15, v36
	s_delay_alu instid0(VALU_DEP_1) | instskip(SKIP_1) | instid1(VALU_DEP_2)
	v_cndmask_b32_e64 v51, 0, v51, s0
	v_cmp_gt_i32_e64 s0, s10, v34
	v_perm_b32 v4, v51, v4, 0x5040100
	s_delay_alu instid0(VALU_DEP_2) | instskip(SKIP_1) | instid1(VALU_DEP_1)
	v_cndmask_b32_e64 v52, 0, v52, s0
	v_cmp_gt_i32_e64 s0, s9, v33
	v_cndmask_b32_e64 v3, 0, v3, s0
	v_cmp_gt_i32_e64 s0, s8, v32
	s_delay_alu instid0(VALU_DEP_2) | instskip(NEXT) | instid1(VALU_DEP_2)
	v_perm_b32 v3, v52, v3, 0x5040100
	v_cndmask_b32_e64 v53, 0, v53, s0
	v_cmp_gt_i32_e64 s0, s7, v31
	s_delay_alu instid0(VALU_DEP_1) | instskip(SKIP_1) | instid1(VALU_DEP_2)
	v_cndmask_b32_e64 v2, 0, v2, s0
	v_cmp_gt_i32_e64 s0, s6, v30
	v_perm_b32 v2, v53, v2, 0x5040100
	s_delay_alu instid0(VALU_DEP_2) | instskip(SKIP_1) | instid1(VALU_DEP_1)
	v_cndmask_b32_e64 v54, 0, v54, s0
	v_cmp_gt_i32_e64 s0, s28, v25
	v_cndmask_b32_e64 v1, 0, v1, s0
	s_delay_alu instid0(VALU_DEP_1)
	v_perm_b32 v1, v54, v1, 0x5040100
.LBB123_39:                             ;   in Loop: Header=BB123_29 Depth=1
	s_or_b32 exec_lo, exec_lo, s20
	s_waitcnt vmcnt(0)
	;;#ASMSTART
	v_pk_mul_f16 v1, v41, v1;

	;;#ASMEND
	;;#ASMSTART
	v_pk_mul_f16 v2, v39, v2;

	;;#ASMEND
	;; [unrolled: 4-line block ×4, first 2 shown]
	;;#ASMSTART
	v_pk_add_f16 v1, v1, v2;

	;;#ASMEND
	;;#ASMSTART
	v_pk_add_f16 v1, v1, v3;

	;;#ASMEND
	;; [unrolled: 4-line block ×3, first 2 shown]
	v_and_b32_e32 v2, 0xffff, v1
	v_lshrrev_b32_e32 v1, 16, v1
	;;#ASMSTART
	v_cvt_f32_f16 v51, v2;
	;;#ASMEND
	;;#ASMSTART
	v_cvt_f32_f16 v52, v1;
	;;#ASMEND
	global_load_b128 v[1:4], v[8:9], off offset:2560
	s_and_saveexec_b32 s20, vcc_lo
	s_cbranch_execz .LBB123_41
; %bb.40:                               ;   in Loop: Header=BB123_29 Depth=1
	v_cmp_gt_i32_e64 s0, s11, v38
	s_waitcnt vmcnt(0)
	v_lshrrev_b32_e32 v53, 16, v4
	v_lshrrev_b32_e32 v54, 16, v3
	;; [unrolled: 1-line block ×4, first 2 shown]
	v_cndmask_b32_e64 v4, 0, v4, s0
	v_cmp_gt_i32_e64 s0, s15, v36
	s_delay_alu instid0(VALU_DEP_1) | instskip(SKIP_1) | instid1(VALU_DEP_2)
	v_cndmask_b32_e64 v53, 0, v53, s0
	v_cmp_gt_i32_e64 s0, s10, v34
	v_perm_b32 v4, v53, v4, 0x5040100
	s_delay_alu instid0(VALU_DEP_2) | instskip(SKIP_1) | instid1(VALU_DEP_1)
	v_cndmask_b32_e64 v54, 0, v54, s0
	v_cmp_gt_i32_e64 s0, s9, v33
	v_cndmask_b32_e64 v3, 0, v3, s0
	v_cmp_gt_i32_e64 s0, s8, v32
	s_delay_alu instid0(VALU_DEP_2) | instskip(NEXT) | instid1(VALU_DEP_2)
	v_perm_b32 v3, v54, v3, 0x5040100
	v_cndmask_b32_e64 v55, 0, v55, s0
	v_cmp_gt_i32_e64 s0, s7, v31
	s_delay_alu instid0(VALU_DEP_1) | instskip(SKIP_1) | instid1(VALU_DEP_2)
	v_cndmask_b32_e64 v2, 0, v2, s0
	v_cmp_gt_i32_e64 s0, s6, v30
	v_perm_b32 v2, v55, v2, 0x5040100
	s_delay_alu instid0(VALU_DEP_2) | instskip(SKIP_1) | instid1(VALU_DEP_1)
	v_cndmask_b32_e64 v56, 0, v56, s0
	v_cmp_gt_i32_e64 s0, s28, v25
	v_cndmask_b32_e64 v1, 0, v1, s0
	s_delay_alu instid0(VALU_DEP_1)
	v_perm_b32 v1, v56, v1, 0x5040100
.LBB123_41:                             ;   in Loop: Header=BB123_29 Depth=1
	s_or_b32 exec_lo, exec_lo, s20
	s_waitcnt vmcnt(0)
	;;#ASMSTART
	v_pk_mul_f16 v1, v41, v1;

	;;#ASMEND
	;;#ASMSTART
	v_pk_mul_f16 v2, v39, v2;

	;;#ASMEND
	;;#ASMSTART
	v_pk_mul_f16 v3, v37, v3;

	;;#ASMEND
	;;#ASMSTART
	v_pk_mul_f16 v4, v35, v4;

	;;#ASMEND
	;;#ASMSTART
	v_pk_add_f16 v1, v1, v2;

	;;#ASMEND
	;;#ASMSTART
	v_pk_add_f16 v1, v1, v3;

	;;#ASMEND
	;; [unrolled: 4-line block ×3, first 2 shown]
	v_and_b32_e32 v2, 0xffff, v1
	v_lshrrev_b32_e32 v1, 16, v1
	;;#ASMSTART
	v_cvt_f32_f16 v53, v2;
	;;#ASMEND
	;;#ASMSTART
	v_cvt_f32_f16 v54, v1;
	;;#ASMEND
	global_load_b128 v[1:4], v[8:9], off offset:3072
	s_and_saveexec_b32 s20, vcc_lo
	s_cbranch_execz .LBB123_43
; %bb.42:                               ;   in Loop: Header=BB123_29 Depth=1
	v_cmp_gt_i32_e64 s0, s11, v38
	s_waitcnt vmcnt(0)
	v_lshrrev_b32_e32 v55, 16, v4
	v_lshrrev_b32_e32 v56, 16, v3
	;; [unrolled: 1-line block ×4, first 2 shown]
	v_cndmask_b32_e64 v4, 0, v4, s0
	v_cmp_gt_i32_e64 s0, s15, v36
	s_delay_alu instid0(VALU_DEP_1) | instskip(SKIP_1) | instid1(VALU_DEP_2)
	v_cndmask_b32_e64 v55, 0, v55, s0
	v_cmp_gt_i32_e64 s0, s10, v34
	v_perm_b32 v4, v55, v4, 0x5040100
	s_delay_alu instid0(VALU_DEP_2) | instskip(SKIP_1) | instid1(VALU_DEP_1)
	v_cndmask_b32_e64 v56, 0, v56, s0
	v_cmp_gt_i32_e64 s0, s9, v33
	v_cndmask_b32_e64 v3, 0, v3, s0
	v_cmp_gt_i32_e64 s0, s8, v32
	s_delay_alu instid0(VALU_DEP_2) | instskip(NEXT) | instid1(VALU_DEP_2)
	v_perm_b32 v3, v56, v3, 0x5040100
	v_cndmask_b32_e64 v57, 0, v57, s0
	v_cmp_gt_i32_e64 s0, s7, v31
	s_delay_alu instid0(VALU_DEP_1) | instskip(SKIP_1) | instid1(VALU_DEP_2)
	v_cndmask_b32_e64 v2, 0, v2, s0
	v_cmp_gt_i32_e64 s0, s6, v30
	v_perm_b32 v2, v57, v2, 0x5040100
	s_delay_alu instid0(VALU_DEP_2) | instskip(SKIP_1) | instid1(VALU_DEP_1)
	v_cndmask_b32_e64 v58, 0, v58, s0
	v_cmp_gt_i32_e64 s0, s28, v25
	v_cndmask_b32_e64 v1, 0, v1, s0
	s_delay_alu instid0(VALU_DEP_1)
	v_perm_b32 v1, v58, v1, 0x5040100
.LBB123_43:                             ;   in Loop: Header=BB123_29 Depth=1
	s_or_b32 exec_lo, exec_lo, s20
	s_waitcnt vmcnt(0)
	;;#ASMSTART
	v_pk_mul_f16 v1, v41, v1;

	;;#ASMEND
	;;#ASMSTART
	v_pk_mul_f16 v2, v39, v2;

	;;#ASMEND
	;; [unrolled: 4-line block ×4, first 2 shown]
	;;#ASMSTART
	v_pk_add_f16 v1, v1, v2;

	;;#ASMEND
	;;#ASMSTART
	v_pk_add_f16 v1, v1, v3;

	;;#ASMEND
	;; [unrolled: 4-line block ×3, first 2 shown]
	v_and_b32_e32 v2, 0xffff, v1
	v_lshrrev_b32_e32 v1, 16, v1
	;;#ASMSTART
	v_cvt_f32_f16 v55, v2;
	;;#ASMEND
	;;#ASMSTART
	v_cvt_f32_f16 v56, v1;
	;;#ASMEND
	global_load_b128 v[1:4], v[8:9], off offset:3584
	s_and_saveexec_b32 s20, vcc_lo
	s_cbranch_execz .LBB123_45
; %bb.44:                               ;   in Loop: Header=BB123_29 Depth=1
	v_cmp_gt_i32_e64 s0, s11, v38
	s_waitcnt vmcnt(0)
	v_lshrrev_b32_e32 v8, 16, v4
	v_lshrrev_b32_e32 v9, 16, v3
	;; [unrolled: 1-line block ×4, first 2 shown]
	v_cndmask_b32_e64 v4, 0, v4, s0
	v_cmp_gt_i32_e64 s0, s15, v36
	s_delay_alu instid0(VALU_DEP_1) | instskip(SKIP_1) | instid1(VALU_DEP_2)
	v_cndmask_b32_e64 v8, 0, v8, s0
	v_cmp_gt_i32_e64 s0, s10, v34
	v_perm_b32 v4, v8, v4, 0x5040100
	s_delay_alu instid0(VALU_DEP_2) | instskip(SKIP_1) | instid1(VALU_DEP_1)
	v_cndmask_b32_e64 v9, 0, v9, s0
	v_cmp_gt_i32_e64 s0, s9, v33
	v_cndmask_b32_e64 v3, 0, v3, s0
	v_cmp_gt_i32_e64 s0, s8, v32
	s_delay_alu instid0(VALU_DEP_2) | instskip(NEXT) | instid1(VALU_DEP_2)
	v_perm_b32 v3, v9, v3, 0x5040100
	v_cndmask_b32_e64 v57, 0, v57, s0
	v_cmp_gt_i32_e64 s0, s7, v31
	s_delay_alu instid0(VALU_DEP_1) | instskip(SKIP_1) | instid1(VALU_DEP_2)
	v_cndmask_b32_e64 v2, 0, v2, s0
	v_cmp_gt_i32_e64 s0, s6, v30
	v_perm_b32 v2, v57, v2, 0x5040100
	s_delay_alu instid0(VALU_DEP_2) | instskip(SKIP_1) | instid1(VALU_DEP_1)
	v_cndmask_b32_e64 v58, 0, v58, s0
	v_cmp_gt_i32_e64 s0, s28, v25
	v_cndmask_b32_e64 v1, 0, v1, s0
	s_delay_alu instid0(VALU_DEP_1)
	v_perm_b32 v1, v58, v1, 0x5040100
.LBB123_45:                             ;   in Loop: Header=BB123_29 Depth=1
	s_or_b32 exec_lo, exec_lo, s20
	s_waitcnt vmcnt(0)
	;;#ASMSTART
	v_pk_mul_f16 v1, v41, v1;

	;;#ASMEND
	;;#ASMSTART
	v_pk_mul_f16 v2, v39, v2;

	;;#ASMEND
	;; [unrolled: 4-line block ×4, first 2 shown]
	;;#ASMSTART
	v_pk_add_f16 v1, v1, v2;

	;;#ASMEND
	;;#ASMSTART
	v_pk_add_f16 v1, v1, v3;

	;;#ASMEND
	;; [unrolled: 4-line block ×3, first 2 shown]
	v_lshrrev_b32_e32 v3, 16, v1
	v_and_b32_e32 v4, 0xffff, v1
	v_add_co_u32 v1, s0, v43, v28
	s_delay_alu instid0(VALU_DEP_1)
	v_add_co_ci_u32_e64 v2, s0, 0, v44, s0
	;;#ASMSTART
	v_cvt_f32_f16 v8, v4;
	;;#ASMEND
	;;#ASMSTART
	v_cvt_f32_f16 v9, v3;
	;;#ASMEND
	global_load_b128 v[1:4], v[1:2], off
	s_and_saveexec_b32 s20, vcc_lo
	s_cbranch_execz .LBB123_47
; %bb.46:                               ;   in Loop: Header=BB123_29 Depth=1
	v_cmp_gt_i32_e64 s0, s11, v38
	s_waitcnt vmcnt(0)
	v_lshrrev_b32_e32 v57, 16, v4
	v_lshrrev_b32_e32 v58, 16, v3
	;; [unrolled: 1-line block ×4, first 2 shown]
	v_cndmask_b32_e64 v4, 0, v4, s0
	v_cmp_gt_i32_e64 s0, s15, v36
	s_delay_alu instid0(VALU_DEP_1) | instskip(SKIP_1) | instid1(VALU_DEP_2)
	v_cndmask_b32_e64 v57, 0, v57, s0
	v_cmp_gt_i32_e64 s0, s10, v34
	v_perm_b32 v4, v57, v4, 0x5040100
	s_delay_alu instid0(VALU_DEP_2) | instskip(SKIP_1) | instid1(VALU_DEP_1)
	v_cndmask_b32_e64 v58, 0, v58, s0
	v_cmp_gt_i32_e64 s0, s9, v33
	v_cndmask_b32_e64 v3, 0, v3, s0
	v_cmp_gt_i32_e64 s0, s8, v32
	s_delay_alu instid0(VALU_DEP_2) | instskip(NEXT) | instid1(VALU_DEP_2)
	v_perm_b32 v3, v58, v3, 0x5040100
	v_cndmask_b32_e64 v59, 0, v59, s0
	v_cmp_gt_i32_e64 s0, s7, v31
	s_delay_alu instid0(VALU_DEP_1) | instskip(SKIP_1) | instid1(VALU_DEP_2)
	v_cndmask_b32_e64 v2, 0, v2, s0
	v_cmp_gt_i32_e64 s0, s6, v30
	v_perm_b32 v2, v59, v2, 0x5040100
	s_delay_alu instid0(VALU_DEP_2) | instskip(SKIP_1) | instid1(VALU_DEP_1)
	v_cndmask_b32_e64 v60, 0, v60, s0
	v_cmp_gt_i32_e64 s0, s28, v25
	v_cndmask_b32_e64 v1, 0, v1, s0
	s_delay_alu instid0(VALU_DEP_1)
	v_perm_b32 v1, v60, v1, 0x5040100
.LBB123_47:                             ;   in Loop: Header=BB123_29 Depth=1
	s_or_b32 exec_lo, exec_lo, s20
	s_waitcnt vmcnt(0)
	;;#ASMSTART
	v_pk_mul_f16 v1, v41, v1;

	;;#ASMEND
	;;#ASMSTART
	v_pk_mul_f16 v2, v39, v2;

	;;#ASMEND
	;; [unrolled: 4-line block ×4, first 2 shown]
	;;#ASMSTART
	v_pk_add_f16 v1, v1, v2;

	;;#ASMEND
	;;#ASMSTART
	v_pk_add_f16 v1, v1, v3;

	;;#ASMEND
	;; [unrolled: 4-line block ×3, first 2 shown]
	v_lshrrev_b32_e32 v3, 16, v1
	v_and_b32_e32 v4, 0xffff, v1
	v_add_co_u32 v1, s0, v43, v29
	s_delay_alu instid0(VALU_DEP_1)
	v_add_co_ci_u32_e64 v2, s0, 0, v44, s0
	;;#ASMSTART
	v_cvt_f32_f16 v43, v4;
	;;#ASMEND
	;;#ASMSTART
	v_cvt_f32_f16 v44, v3;
	;;#ASMEND
	global_load_b128 v[1:4], v[1:2], off
	s_and_saveexec_b32 s0, vcc_lo
	s_cbranch_execz .LBB123_28
; %bb.48:                               ;   in Loop: Header=BB123_29 Depth=1
	v_cmp_gt_i32_e32 vcc_lo, s11, v38
	s_waitcnt vmcnt(0)
	v_lshrrev_b32_e32 v57, 16, v4
	v_lshrrev_b32_e32 v58, 16, v3
	;; [unrolled: 1-line block ×3, first 2 shown]
	v_cndmask_b32_e32 v4, 0, v4, vcc_lo
	v_cmp_gt_i32_e32 vcc_lo, s15, v36
	v_cndmask_b32_e32 v36, 0, v57, vcc_lo
	v_cmp_gt_i32_e32 vcc_lo, s10, v34
	;; [unrolled: 2-line block ×3, first 2 shown]
	v_lshrrev_b32_e32 v33, 16, v1
	v_cndmask_b32_e32 v3, 0, v3, vcc_lo
	v_cmp_gt_i32_e32 vcc_lo, s8, v32
	v_perm_b32 v4, v36, v4, 0x5040100
	v_cndmask_b32_e32 v32, 0, v38, vcc_lo
	v_cmp_gt_i32_e32 vcc_lo, s7, v31
	v_cndmask_b32_e32 v2, 0, v2, vcc_lo
	v_cmp_gt_i32_e32 vcc_lo, s6, v30
	s_delay_alu instid0(VALU_DEP_2) | instskip(SKIP_4) | instid1(VALU_DEP_2)
	v_perm_b32 v2, v32, v2, 0x5040100
	v_cndmask_b32_e32 v30, 0, v33, vcc_lo
	v_cmp_gt_i32_e32 vcc_lo, s28, v25
	v_cndmask_b32_e32 v1, 0, v1, vcc_lo
	v_perm_b32 v3, v34, v3, 0x5040100
	v_perm_b32 v1, v30, v1, 0x5040100
	s_branch .LBB123_28
.LBB123_49:
	s_or_b32 exec_lo, exec_lo, s13
.LBB123_50:
	s_delay_alu instid0(SALU_CYCLE_1)
	s_or_b32 exec_lo, exec_lo, s1
	ds_bpermute_b32 v1, v14, v22
	ds_bpermute_b32 v2, v14, v24
	;; [unrolled: 1-line block ×10, first 2 shown]
	v_lshrrev_b32_e32 v11, 2, v11
	s_movk_i32 s0, 0x140
	s_waitcnt lgkmcnt(0)
	s_waitcnt_vscnt null, 0x0
	s_barrier
	buffer_gl0_inv
	v_dual_add_f32 v1, v22, v1 :: v_dual_add_f32 v2, v24, v2
	v_dual_add_f32 v3, v23, v3 :: v_dual_add_f32 v4, v21, v4
	v_add_f32_e32 v5, v20, v5
	v_dual_add_f32 v19, v19, v6 :: v_dual_add_f32 v18, v18, v7
	v_dual_add_f32 v17, v17, v8 :: v_dual_add_f32 v16, v16, v9
	v_add_f32_e32 v14, v15, v14
	ds_bpermute_b32 v6, v13, v1
	ds_bpermute_b32 v7, v13, v2
	;; [unrolled: 1-line block ×10, first 2 shown]
	v_and_b32_e32 v9, 0x3c3, v0
	v_mad_u32_u24 v13, v10, s0, 0xc0
	s_waitcnt lgkmcnt(9)
	v_add_f32_e32 v10, v1, v6
	s_delay_alu instid0(VALU_DEP_3)
	v_cmp_eq_u32_e32 vcc_lo, 64, v9
	s_waitcnt lgkmcnt(7)
	v_dual_add_f32 v9, v2, v7 :: v_dual_add_f32 v8, v3, v8
	s_waitcnt lgkmcnt(5)
	v_dual_add_f32 v7, v4, v15 :: v_dual_add_f32 v6, v5, v20
	;; [unrolled: 2-line block ×4, first 2 shown]
	s_waitcnt lgkmcnt(0)
	v_dual_add_f32 v1, v14, v25 :: v_dual_lshlrev_b32 v14, 2, v11
	s_and_saveexec_b32 s0, vcc_lo
	s_cbranch_execz .LBB123_52
; %bb.51:
	s_delay_alu instid0(VALU_DEP_1)
	v_add3_u32 v15, v13, v14, 0xfffffd80
	ds_store_2addr_b32 v15, v10, v9 offset1:8
	ds_store_2addr_b32 v15, v8, v7 offset0:16 offset1:24
	ds_store_2addr_b32 v15, v6, v5 offset0:32 offset1:40
	;; [unrolled: 1-line block ×4, first 2 shown]
.LBB123_52:
	s_or_b32 exec_lo, exec_lo, s0
	v_cmp_eq_u32_e32 vcc_lo, 0, v12
	s_mov_b32 s1, exec_lo
	s_waitcnt lgkmcnt(0)
	s_barrier
	buffer_gl0_inv
	v_cmpx_gt_u32_e32 64, v0
	s_cbranch_execz .LBB123_65
; %bb.53:
	s_and_saveexec_b32 s0, vcc_lo
	s_cbranch_execnz .LBB123_83
; %bb.54:
	s_or_b32 exec_lo, exec_lo, s0
	s_and_saveexec_b32 s0, vcc_lo
	s_cbranch_execnz .LBB123_84
.LBB123_55:
	s_or_b32 exec_lo, exec_lo, s0
	s_and_saveexec_b32 s0, vcc_lo
	s_cbranch_execnz .LBB123_85
.LBB123_56:
	s_or_b32 exec_lo, exec_lo, s0
	s_and_saveexec_b32 s0, vcc_lo
	s_cbranch_execnz .LBB123_86
.LBB123_57:
	s_or_b32 exec_lo, exec_lo, s0
	s_and_saveexec_b32 s0, vcc_lo
	s_cbranch_execnz .LBB123_87
.LBB123_58:
	s_or_b32 exec_lo, exec_lo, s0
	s_and_saveexec_b32 s0, vcc_lo
	s_cbranch_execnz .LBB123_88
.LBB123_59:
	s_or_b32 exec_lo, exec_lo, s0
	s_and_saveexec_b32 s0, vcc_lo
	s_cbranch_execnz .LBB123_89
.LBB123_60:
	s_or_b32 exec_lo, exec_lo, s0
	s_and_saveexec_b32 s0, vcc_lo
	s_cbranch_execnz .LBB123_90
.LBB123_61:
	s_or_b32 exec_lo, exec_lo, s0
	s_and_saveexec_b32 s0, vcc_lo
	s_cbranch_execnz .LBB123_91
.LBB123_62:
	s_or_b32 exec_lo, exec_lo, s0
	s_and_saveexec_b32 s0, vcc_lo
	s_cbranch_execz .LBB123_64
.LBB123_63:
	v_lshl_add_u32 v12, v11, 2, v13
	ds_load_b32 v12, v12 offset:288
	s_waitcnt lgkmcnt(0)
	v_add_f32_e32 v1, v1, v12
.LBB123_64:
	s_or_b32 exec_lo, exec_lo, s0
.LBB123_65:
	s_delay_alu instid0(SALU_CYCLE_1)
	s_or_b32 exec_lo, exec_lo, s1
	v_and_b32_e32 v12, 0x3e3, v0
	s_mov_b32 s1, exec_lo
	s_barrier
	buffer_gl0_inv
	v_cmpx_eq_u32_e32 32, v12
	s_cbranch_execz .LBB123_67
; %bb.66:
	v_add3_u32 v14, v13, v14, 0xfffffec0
	ds_store_2addr_b32 v14, v10, v9 offset1:8
	ds_store_2addr_b32 v14, v8, v7 offset0:16 offset1:24
	ds_store_2addr_b32 v14, v6, v5 offset0:32 offset1:40
	;; [unrolled: 1-line block ×4, first 2 shown]
.LBB123_67:
	s_or_b32 exec_lo, exec_lo, s1
	s_delay_alu instid0(SALU_CYCLE_1)
	s_mov_b32 s1, exec_lo
	s_waitcnt lgkmcnt(0)
	s_barrier
	buffer_gl0_inv
	v_cmpx_gt_u32_e32 32, v0
	s_cbranch_execz .LBB123_80
; %bb.68:
	v_lshl_add_u32 v11, v11, 2, v13
	s_and_saveexec_b32 s0, vcc_lo
	s_cbranch_execnz .LBB123_92
; %bb.69:
	s_or_b32 exec_lo, exec_lo, s0
	s_and_saveexec_b32 s0, vcc_lo
	s_cbranch_execnz .LBB123_93
.LBB123_70:
	s_or_b32 exec_lo, exec_lo, s0
	s_and_saveexec_b32 s0, vcc_lo
	s_cbranch_execnz .LBB123_94
.LBB123_71:
	s_or_b32 exec_lo, exec_lo, s0
	s_and_saveexec_b32 s0, vcc_lo
	s_cbranch_execnz .LBB123_95
.LBB123_72:
	s_or_b32 exec_lo, exec_lo, s0
	s_and_saveexec_b32 s0, vcc_lo
	s_cbranch_execnz .LBB123_96
.LBB123_73:
	s_or_b32 exec_lo, exec_lo, s0
	s_and_saveexec_b32 s0, vcc_lo
	s_cbranch_execnz .LBB123_97
.LBB123_74:
	s_or_b32 exec_lo, exec_lo, s0
	s_and_saveexec_b32 s0, vcc_lo
	s_cbranch_execnz .LBB123_98
.LBB123_75:
	s_or_b32 exec_lo, exec_lo, s0
	s_and_saveexec_b32 s0, vcc_lo
	s_cbranch_execnz .LBB123_99
.LBB123_76:
	s_or_b32 exec_lo, exec_lo, s0
	s_and_saveexec_b32 s0, vcc_lo
	s_cbranch_execnz .LBB123_100
.LBB123_77:
	s_or_b32 exec_lo, exec_lo, s0
	s_and_saveexec_b32 s0, vcc_lo
	s_cbranch_execz .LBB123_79
.LBB123_78:
	ds_load_b32 v11, v11 offset:288
	s_waitcnt lgkmcnt(0)
	v_add_f32_e32 v1, v1, v11
.LBB123_79:
	s_or_b32 exec_lo, exec_lo, s0
.LBB123_80:
	s_delay_alu instid0(SALU_CYCLE_1)
	s_or_b32 exec_lo, exec_lo, s1
	s_barrier
	buffer_gl0_inv
	s_mov_b32 s0, exec_lo
	v_cmpx_eq_u32_e32 0, v12
	s_cbranch_execz .LBB123_82
; %bb.81:
	s_mul_i32 s0, s14, 0x50
	s_mul_i32 s2, s4, s16
	s_ashr_i32 s1, s0, 31
	v_lshrrev_b32_e32 v0, 1, v0
	s_lshl_b64 s[0:1], s[0:1], 1
	;;#ASMSTART
	v_cvt_f16_f32 v10, v10;

	;;#ASMEND
	s_add_u32 s4, s18, s0
	s_addc_u32 s5, s19, s1
	s_ashr_i32 s3, s2, 31
	s_delay_alu instid0(SALU_CYCLE_1) | instskip(SKIP_4) | instid1(SALU_CYCLE_1)
	s_lshl_b64 s[0:1], s[2:3], 1
	s_mul_i32 s2, s12, 0x50
	s_add_u32 s4, s4, s0
	s_addc_u32 s5, s5, s1
	s_ashr_i32 s3, s2, 31
	s_lshl_b64 s[0:1], s[2:3], 1
	s_delay_alu instid0(SALU_CYCLE_1)
	s_add_u32 s0, s4, s0
	s_addc_u32 s1, s5, s1
	global_store_b16 v0, v10, s[0:1]
	;;#ASMSTART
	v_cvt_f16_f32 v9, v9;

	;;#ASMEND
	global_store_b16 v0, v9, s[0:1] offset:16
	;;#ASMSTART
	v_cvt_f16_f32 v8, v8;

	;;#ASMEND
	global_store_b16 v0, v8, s[0:1] offset:32
	;; [unrolled: 5-line block ×9, first 2 shown]
.LBB123_82:
	s_nop 0
	s_sendmsg sendmsg(MSG_DEALLOC_VGPRS)
	s_endpgm
.LBB123_83:
	v_lshl_add_u32 v12, v11, 2, v13
	ds_load_b32 v12, v12
	s_waitcnt lgkmcnt(0)
	v_add_f32_e32 v10, v10, v12
	s_or_b32 exec_lo, exec_lo, s0
	s_and_saveexec_b32 s0, vcc_lo
	s_cbranch_execz .LBB123_55
.LBB123_84:
	v_lshl_add_u32 v12, v11, 2, v13
	ds_load_b32 v12, v12 offset:32
	s_waitcnt lgkmcnt(0)
	v_add_f32_e32 v9, v9, v12
	s_or_b32 exec_lo, exec_lo, s0
	s_and_saveexec_b32 s0, vcc_lo
	s_cbranch_execz .LBB123_56
.LBB123_85:
	v_lshl_add_u32 v12, v11, 2, v13
	ds_load_b32 v12, v12 offset:64
	s_waitcnt lgkmcnt(0)
	v_add_f32_e32 v8, v8, v12
	s_or_b32 exec_lo, exec_lo, s0
	s_and_saveexec_b32 s0, vcc_lo
	s_cbranch_execz .LBB123_57
.LBB123_86:
	v_lshl_add_u32 v12, v11, 2, v13
	ds_load_b32 v12, v12 offset:96
	s_waitcnt lgkmcnt(0)
	v_add_f32_e32 v7, v7, v12
	s_or_b32 exec_lo, exec_lo, s0
	s_and_saveexec_b32 s0, vcc_lo
	s_cbranch_execz .LBB123_58
.LBB123_87:
	v_lshl_add_u32 v12, v11, 2, v13
	ds_load_b32 v12, v12 offset:128
	s_waitcnt lgkmcnt(0)
	v_add_f32_e32 v6, v6, v12
	s_or_b32 exec_lo, exec_lo, s0
	s_and_saveexec_b32 s0, vcc_lo
	s_cbranch_execz .LBB123_59
.LBB123_88:
	v_lshl_add_u32 v12, v11, 2, v13
	ds_load_b32 v12, v12 offset:160
	s_waitcnt lgkmcnt(0)
	v_add_f32_e32 v5, v5, v12
	s_or_b32 exec_lo, exec_lo, s0
	s_and_saveexec_b32 s0, vcc_lo
	s_cbranch_execz .LBB123_60
.LBB123_89:
	v_lshl_add_u32 v12, v11, 2, v13
	ds_load_b32 v12, v12 offset:192
	s_waitcnt lgkmcnt(0)
	v_add_f32_e32 v4, v4, v12
	s_or_b32 exec_lo, exec_lo, s0
	s_and_saveexec_b32 s0, vcc_lo
	s_cbranch_execz .LBB123_61
.LBB123_90:
	v_lshl_add_u32 v12, v11, 2, v13
	ds_load_b32 v12, v12 offset:224
	s_waitcnt lgkmcnt(0)
	v_add_f32_e32 v3, v3, v12
	s_or_b32 exec_lo, exec_lo, s0
	s_and_saveexec_b32 s0, vcc_lo
	s_cbranch_execz .LBB123_62
.LBB123_91:
	v_lshl_add_u32 v12, v11, 2, v13
	ds_load_b32 v12, v12 offset:256
	s_waitcnt lgkmcnt(0)
	v_add_f32_e32 v2, v2, v12
	s_or_b32 exec_lo, exec_lo, s0
	s_and_saveexec_b32 s0, vcc_lo
	s_cbranch_execnz .LBB123_63
	s_branch .LBB123_64
.LBB123_92:
	ds_load_b32 v13, v11
	s_waitcnt lgkmcnt(0)
	v_add_f32_e32 v10, v10, v13
	s_or_b32 exec_lo, exec_lo, s0
	s_and_saveexec_b32 s0, vcc_lo
	s_cbranch_execz .LBB123_70
.LBB123_93:
	ds_load_b32 v13, v11 offset:32
	s_waitcnt lgkmcnt(0)
	v_add_f32_e32 v9, v9, v13
	s_or_b32 exec_lo, exec_lo, s0
	s_and_saveexec_b32 s0, vcc_lo
	s_cbranch_execz .LBB123_71
.LBB123_94:
	ds_load_b32 v13, v11 offset:64
	s_waitcnt lgkmcnt(0)
	v_add_f32_e32 v8, v8, v13
	s_or_b32 exec_lo, exec_lo, s0
	s_and_saveexec_b32 s0, vcc_lo
	s_cbranch_execz .LBB123_72
.LBB123_95:
	ds_load_b32 v13, v11 offset:96
	s_waitcnt lgkmcnt(0)
	v_add_f32_e32 v7, v7, v13
	s_or_b32 exec_lo, exec_lo, s0
	s_and_saveexec_b32 s0, vcc_lo
	s_cbranch_execz .LBB123_73
.LBB123_96:
	ds_load_b32 v13, v11 offset:128
	s_waitcnt lgkmcnt(0)
	v_add_f32_e32 v6, v6, v13
	s_or_b32 exec_lo, exec_lo, s0
	s_and_saveexec_b32 s0, vcc_lo
	s_cbranch_execz .LBB123_74
.LBB123_97:
	ds_load_b32 v13, v11 offset:160
	s_waitcnt lgkmcnt(0)
	v_add_f32_e32 v5, v5, v13
	s_or_b32 exec_lo, exec_lo, s0
	s_and_saveexec_b32 s0, vcc_lo
	s_cbranch_execz .LBB123_75
.LBB123_98:
	ds_load_b32 v13, v11 offset:192
	s_waitcnt lgkmcnt(0)
	v_add_f32_e32 v4, v4, v13
	s_or_b32 exec_lo, exec_lo, s0
	s_and_saveexec_b32 s0, vcc_lo
	s_cbranch_execz .LBB123_76
.LBB123_99:
	ds_load_b32 v13, v11 offset:224
	s_waitcnt lgkmcnt(0)
	v_add_f32_e32 v3, v3, v13
	s_or_b32 exec_lo, exec_lo, s0
	s_and_saveexec_b32 s0, vcc_lo
	s_cbranch_execz .LBB123_77
.LBB123_100:
	ds_load_b32 v13, v11 offset:256
	s_waitcnt lgkmcnt(0)
	v_add_f32_e32 v2, v2, v13
	s_or_b32 exec_lo, exec_lo, s0
	s_and_saveexec_b32 s0, vcc_lo
	s_cbranch_execnz .LBB123_78
	s_branch .LBB123_79
	.section	.rodata,"a",@progbits
	.p2align	6, 0x0
	.amdhsa_kernel _ZN4vllm25paged_attention_v2_kernelIttLi80ELi32ELi128ELNS_18Fp8KVCacheDataTypeE0ELb0ELi512EEEvPfS2_PT_PKS3_PKT0_S9_ifPKiSB_iPKfiiiSD_SD_iiiii
		.amdhsa_group_segment_fixed_size 192
		.amdhsa_private_segment_fixed_size 0
		.amdhsa_kernarg_size 400
		.amdhsa_user_sgpr_count 13
		.amdhsa_user_sgpr_dispatch_ptr 0
		.amdhsa_user_sgpr_queue_ptr 0
		.amdhsa_user_sgpr_kernarg_segment_ptr 1
		.amdhsa_user_sgpr_dispatch_id 0
		.amdhsa_user_sgpr_private_segment_size 0
		.amdhsa_wavefront_size32 1
		.amdhsa_uses_dynamic_stack 0
		.amdhsa_enable_private_segment 0
		.amdhsa_system_sgpr_workgroup_id_x 1
		.amdhsa_system_sgpr_workgroup_id_y 1
		.amdhsa_system_sgpr_workgroup_id_z 1
		.amdhsa_system_sgpr_workgroup_info 0
		.amdhsa_system_vgpr_workitem_id 0
		.amdhsa_next_free_vgpr 118
		.amdhsa_next_free_sgpr 38
		.amdhsa_reserve_vcc 1
		.amdhsa_float_round_mode_32 0
		.amdhsa_float_round_mode_16_64 0
		.amdhsa_float_denorm_mode_32 3
		.amdhsa_float_denorm_mode_16_64 3
		.amdhsa_dx10_clamp 1
		.amdhsa_ieee_mode 1
		.amdhsa_fp16_overflow 0
		.amdhsa_workgroup_processor_mode 1
		.amdhsa_memory_ordered 1
		.amdhsa_forward_progress 0
		.amdhsa_shared_vgpr_count 0
		.amdhsa_exception_fp_ieee_invalid_op 0
		.amdhsa_exception_fp_denorm_src 0
		.amdhsa_exception_fp_ieee_div_zero 0
		.amdhsa_exception_fp_ieee_overflow 0
		.amdhsa_exception_fp_ieee_underflow 0
		.amdhsa_exception_fp_ieee_inexact 0
		.amdhsa_exception_int_div_zero 0
	.end_amdhsa_kernel
	.section	.text._ZN4vllm25paged_attention_v2_kernelIttLi80ELi32ELi128ELNS_18Fp8KVCacheDataTypeE0ELb0ELi512EEEvPfS2_PT_PKS3_PKT0_S9_ifPKiSB_iPKfiiiSD_SD_iiiii,"axG",@progbits,_ZN4vllm25paged_attention_v2_kernelIttLi80ELi32ELi128ELNS_18Fp8KVCacheDataTypeE0ELb0ELi512EEEvPfS2_PT_PKS3_PKT0_S9_ifPKiSB_iPKfiiiSD_SD_iiiii,comdat
.Lfunc_end123:
	.size	_ZN4vllm25paged_attention_v2_kernelIttLi80ELi32ELi128ELNS_18Fp8KVCacheDataTypeE0ELb0ELi512EEEvPfS2_PT_PKS3_PKT0_S9_ifPKiSB_iPKfiiiSD_SD_iiiii, .Lfunc_end123-_ZN4vllm25paged_attention_v2_kernelIttLi80ELi32ELi128ELNS_18Fp8KVCacheDataTypeE0ELb0ELi512EEEvPfS2_PT_PKS3_PKT0_S9_ifPKiSB_iPKfiiiSD_SD_iiiii
                                        ; -- End function
	.section	.AMDGPU.csdata,"",@progbits
; Kernel info:
; codeLenInByte = 13796
; NumSgprs: 40
; NumVgprs: 118
; ScratchSize: 0
; MemoryBound: 0
; FloatMode: 240
; IeeeMode: 1
; LDSByteSize: 192 bytes/workgroup (compile time only)
; SGPRBlocks: 4
; VGPRBlocks: 14
; NumSGPRsForWavesPerEU: 40
; NumVGPRsForWavesPerEU: 118
; Occupancy: 12
; WaveLimiterHint : 1
; COMPUTE_PGM_RSRC2:SCRATCH_EN: 0
; COMPUTE_PGM_RSRC2:USER_SGPR: 13
; COMPUTE_PGM_RSRC2:TRAP_HANDLER: 0
; COMPUTE_PGM_RSRC2:TGID_X_EN: 1
; COMPUTE_PGM_RSRC2:TGID_Y_EN: 1
; COMPUTE_PGM_RSRC2:TGID_Z_EN: 1
; COMPUTE_PGM_RSRC2:TIDIG_COMP_CNT: 0
	.section	.text._ZN4vllm25paged_attention_v2_kernelIttLi96ELi32ELi128ELNS_18Fp8KVCacheDataTypeE0ELb0ELi512EEEvPfS2_PT_PKS3_PKT0_S9_ifPKiSB_iPKfiiiSD_SD_iiiii,"axG",@progbits,_ZN4vllm25paged_attention_v2_kernelIttLi96ELi32ELi128ELNS_18Fp8KVCacheDataTypeE0ELb0ELi512EEEvPfS2_PT_PKS3_PKT0_S9_ifPKiSB_iPKfiiiSD_SD_iiiii,comdat
	.protected	_ZN4vllm25paged_attention_v2_kernelIttLi96ELi32ELi128ELNS_18Fp8KVCacheDataTypeE0ELb0ELi512EEEvPfS2_PT_PKS3_PKT0_S9_ifPKiSB_iPKfiiiSD_SD_iiiii ; -- Begin function _ZN4vllm25paged_attention_v2_kernelIttLi96ELi32ELi128ELNS_18Fp8KVCacheDataTypeE0ELb0ELi512EEEvPfS2_PT_PKS3_PKT0_S9_ifPKiSB_iPKfiiiSD_SD_iiiii
	.globl	_ZN4vllm25paged_attention_v2_kernelIttLi96ELi32ELi128ELNS_18Fp8KVCacheDataTypeE0ELb0ELi512EEEvPfS2_PT_PKS3_PKT0_S9_ifPKiSB_iPKfiiiSD_SD_iiiii
	.p2align	8
	.type	_ZN4vllm25paged_attention_v2_kernelIttLi96ELi32ELi128ELNS_18Fp8KVCacheDataTypeE0ELb0ELi512EEEvPfS2_PT_PKS3_PKT0_S9_ifPKiSB_iPKfiiiSD_SD_iiiii,@function
_ZN4vllm25paged_attention_v2_kernelIttLi96ELi32ELi128ELNS_18Fp8KVCacheDataTypeE0ELb0ELi512EEEvPfS2_PT_PKS3_PKT0_S9_ifPKiSB_iPKfiiiSD_SD_iiiii: ; @_ZN4vllm25paged_attention_v2_kernelIttLi96ELi32ELi128ELNS_18Fp8KVCacheDataTypeE0ELb0ELi512EEEvPfS2_PT_PKS3_PKT0_S9_ifPKiSB_iPKfiiiSD_SD_iiiii
; %bb.0:
	s_load_b64 s[2:3], s[0:1], 0x40
	s_mov_b32 s12, s15
	s_ashr_i32 s15, s14, 31
	s_delay_alu instid0(SALU_CYCLE_1)
	s_lshl_b64 s[4:5], s[14:15], 2
	s_waitcnt lgkmcnt(0)
	s_add_u32 s2, s2, s4
	s_addc_u32 s3, s3, s5
	s_lshl_b32 s29, s12, 9
	s_load_b32 s28, s[2:3], 0x0
	s_waitcnt lgkmcnt(0)
	s_cmp_ge_i32 s29, s28
	s_cbranch_scc1 .LBB124_90
; %bb.1:
	s_mov_b32 s22, s13
	s_clause 0x1
	s_load_b32 s13, s[0:1], 0x90
	s_load_b64 s[2:3], s[0:1], 0x30
	s_mov_b32 s30, 0
	s_waitcnt lgkmcnt(0)
	s_abs_i32 s7, s13
	s_abs_i32 s4, s2
	s_xor_b32 s2, s13, s2
	v_cvt_f32_u32_e32 v1, s4
	s_sub_i32 s6, 0, s4
	s_ashr_i32 s2, s2, 31
	s_delay_alu instid0(VALU_DEP_1) | instskip(SKIP_2) | instid1(VALU_DEP_1)
	v_rcp_iflag_f32_e32 v1, v1
	s_waitcnt_depctr 0xfff
	v_mul_f32_e32 v1, 0x4f7ffffe, v1
	v_cvt_u32_f32_e32 v1, v1
	s_delay_alu instid0(VALU_DEP_1) | instskip(NEXT) | instid1(VALU_DEP_1)
	v_readfirstlane_b32 s5, v1
	s_mul_i32 s6, s6, s5
	s_delay_alu instid0(SALU_CYCLE_1) | instskip(NEXT) | instid1(SALU_CYCLE_1)
	s_mul_hi_u32 s6, s5, s6
	s_add_i32 s5, s5, s6
	s_delay_alu instid0(SALU_CYCLE_1) | instskip(NEXT) | instid1(SALU_CYCLE_1)
	s_mul_hi_u32 s5, s7, s5
	s_mul_i32 s6, s5, s4
	s_delay_alu instid0(SALU_CYCLE_1)
	s_sub_i32 s6, s7, s6
	s_add_i32 s7, s5, 1
	s_sub_i32 s8, s6, s4
	s_cmp_ge_u32 s6, s4
	s_cselect_b32 s5, s7, s5
	s_cselect_b32 s6, s8, s6
	s_add_i32 s7, s5, 1
	s_cmp_ge_u32 s6, s4
	s_cselect_b32 s4, s7, s5
	s_abs_i32 s27, s22
	s_xor_b32 s4, s4, s2
	s_delay_alu instid0(SALU_CYCLE_1) | instskip(SKIP_2) | instid1(SALU_CYCLE_1)
	s_sub_i32 s8, s4, s2
	s_load_b64 s[4:5], s[0:1], 0x50
	s_abs_i32 s2, s8
	v_cvt_f32_u32_e32 v1, s2
	s_sub_i32 s7, 0, s2
	s_delay_alu instid0(VALU_DEP_1) | instskip(SKIP_2) | instid1(VALU_DEP_1)
	v_rcp_iflag_f32_e32 v1, v1
	s_waitcnt_depctr 0xfff
	v_mul_f32_e32 v1, 0x4f7ffffe, v1
	v_cvt_u32_f32_e32 v1, v1
	s_delay_alu instid0(VALU_DEP_1) | instskip(NEXT) | instid1(VALU_DEP_1)
	v_readfirstlane_b32 s6, v1
	s_mul_i32 s7, s7, s6
	s_delay_alu instid0(SALU_CYCLE_1) | instskip(NEXT) | instid1(SALU_CYCLE_1)
	s_mul_hi_u32 s7, s6, s7
	s_add_i32 s6, s6, s7
	s_waitcnt lgkmcnt(0)
	s_cmp_eq_u64 s[4:5], 0
	s_mul_hi_u32 s26, s27, s6
	s_cbranch_scc1 .LBB124_3
; %bb.2:
	s_ashr_i32 s23, s22, 31
	s_delay_alu instid0(SALU_CYCLE_1) | instskip(NEXT) | instid1(SALU_CYCLE_1)
	s_lshl_b64 s[6:7], s[22:23], 2
	s_add_u32 s4, s4, s6
	s_addc_u32 s5, s5, s7
	s_load_b32 s30, s[4:5], 0x0
.LBB124_3:
	s_clause 0x1
	s_load_b64 s[20:21], s[0:1], 0x38
	s_load_b128 s[4:7], s[0:1], 0x58
	s_waitcnt lgkmcnt(0)
	s_ashr_i32 s7, s22, 31
	s_ashr_i32 s31, s8, 31
	s_mul_i32 s16, s22, 0x60
	s_mov_b32 s8, exec_lo
	v_cmpx_gt_u32_e32 12, v0
	s_cbranch_execz .LBB124_5
; %bb.4:
	s_load_b64 s[10:11], s[0:1], 0x18
	s_mul_i32 s18, s14, s4
	v_lshlrev_b32_e32 v5, 4, v0
	s_ashr_i32 s19, s18, 31
	s_delay_alu instid0(SALU_CYCLE_1) | instskip(SKIP_4) | instid1(SALU_CYCLE_1)
	s_lshl_b64 s[18:19], s[18:19], 1
	s_waitcnt lgkmcnt(0)
	s_add_u32 s4, s10, s18
	s_addc_u32 s9, s11, s19
	s_ashr_i32 s17, s16, 31
	s_lshl_b64 s[10:11], s[16:17], 1
	s_delay_alu instid0(SALU_CYCLE_1)
	s_add_u32 s10, s4, s10
	s_addc_u32 s11, s9, s11
	global_load_b128 v[1:4], v5, s[10:11]
	s_waitcnt vmcnt(0)
	ds_store_b128 v5, v[1:4]
.LBB124_5:
	s_or_b32 exec_lo, exec_lo, s8
	s_add_i32 s4, s28, 31
	s_clause 0x1
	s_load_b128 s[8:11], s[0:1], 0x0
	s_load_b64 s[18:19], s[0:1], 0x10
	s_ashr_i32 s15, s4, 31
	s_mul_i32 s34, s26, s2
	s_lshr_b32 s17, s15, 27
	s_lshl_b32 s15, s12, 4
	s_add_i32 s4, s4, s17
	s_load_b64 s[24:25], s[0:1], 0x28
	s_ashr_i32 s23, s4, 5
	s_clause 0x1
	s_load_b32 s4, s[0:1], 0x98
	s_load_b32 s33, s[0:1], 0x48
	s_add_i32 s17, s15, 16
	s_sub_i32 s27, s27, s34
	s_min_i32 s17, s17, s23
	s_xor_b32 s7, s7, s31
	s_add_i32 s31, s26, 1
	s_sub_i32 s34, s27, s2
	s_cmp_ge_u32 s27, s2
	v_lshrrev_b32_e32 v10, 5, v0
	s_cselect_b32 s26, s31, s26
	s_cselect_b32 s27, s34, s27
	s_add_i32 s31, s26, 1
	s_cmp_ge_u32 s27, s2
	v_add_nc_u32_e32 v5, s15, v10
	v_and_b32_e32 v11, 31, v0
	s_cselect_b32 s2, s31, s26
	v_mov_b32_e32 v13, 0xff7fffff
	s_xor_b32 s2, s2, s7
	v_ashrrev_i32_e32 v6, 31, v5
	v_lshlrev_b32_e32 v12, 2, v11
	s_sub_i32 s7, s2, s7
	v_cmp_gt_i32_e64 s2, s17, v5
	v_lshlrev_b32_e32 v9, 5, v10
	s_waitcnt lgkmcnt(0)
	s_mul_i32 s26, s14, s33
	s_mul_i32 s6, s7, s6
	s_ashr_i32 s27, s26, 31
	s_barrier
	buffer_gl0_inv
	s_and_saveexec_b32 s31, s2
	s_cbranch_execz .LBB124_9
; %bb.6:
	s_load_b64 s[0:1], s[0:1], 0x20
	s_ashr_i32 s7, s6, 31
	v_lshlrev_b64 v[1:2], 2, v[5:6]
	s_lshl_b64 s[34:35], s[6:7], 1
	v_dual_mov_b32 v14, 0 :: v_dual_lshlrev_b32 v3, 4, v11
	v_lshl_or_b32 v4, v10, 7, v12
	v_cmp_neq_f32_e64 vcc_lo, s30, 0
	v_add3_u32 v15, s29, v9, v11
	v_mov_b32_e32 v13, 0xff7fffff
	s_delay_alu instid0(VALU_DEP_4)
	v_dual_mov_b32 v19, v5 :: v_dual_add_nc_u32 v16, 0xe0, v4
	s_waitcnt lgkmcnt(0)
	s_add_u32 s33, s0, s34
	s_addc_u32 s34, s1, s35
	s_lshl_b64 s[0:1], s[26:27], 2
	s_sub_i32 s7, 1, s28
	s_add_u32 s0, s20, s0
	v_add_co_u32 v17, s33, s33, v3
	s_addc_u32 s1, s21, s1
	v_add_co_u32 v7, s0, s0, v1
	v_add_co_ci_u32_e64 v18, null, s34, 0, s33
	v_add_co_ci_u32_e64 v8, s0, s1, v2, s0
	s_mov_b32 s34, s5
	s_mov_b32 s33, 0
.LBB124_7:                              ; =>This Inner Loop Header: Depth=1
	global_load_b32 v20, v[7:8], off
	ds_load_b128 v[1:4], v14
	v_dual_max_f32 v21, v13, v13 :: v_dual_add_nc_u32 v22, s7, v15
	v_add_nc_u32_e32 v19, 4, v19
	s_delay_alu instid0(VALU_DEP_2) | instskip(NEXT) | instid1(VALU_DEP_2)
	v_cvt_f32_i32_e32 v22, v22
	v_cmp_le_i32_e64 s1, s17, v19
	s_delay_alu instid0(VALU_DEP_1)
	s_or_b32 s33, s1, s33
	s_waitcnt lgkmcnt(0)
	v_lshrrev_b32_e32 v67, 16, v1
	v_and_b32_e32 v68, 0xffff, v1
	v_lshrrev_b32_e32 v69, 16, v2
	v_and_b32_e32 v70, 0xffff, v2
	;; [unrolled: 2-line block ×4, first 2 shown]
	s_waitcnt vmcnt(0)
	v_mad_i64_i32 v[1:2], null, v20, s34, 0
	s_delay_alu instid0(VALU_DEP_1) | instskip(NEXT) | instid1(VALU_DEP_1)
	v_lshlrev_b64 v[1:2], 1, v[1:2]
	v_add_co_u32 v51, s0, v17, v1
	s_delay_alu instid0(VALU_DEP_1)
	v_add_co_ci_u32_e64 v52, s0, v18, v2, s0
	s_clause 0x7
	global_load_b128 v[1:4], v[51:52], off
	global_load_b128 v[23:26], v[51:52], off offset:512
	global_load_b128 v[27:30], v[51:52], off offset:1024
	;; [unrolled: 1-line block ×7, first 2 shown]
	v_add_co_u32 v63, s0, 0x1000, v51
	s_delay_alu instid0(VALU_DEP_1)
	v_add_co_ci_u32_e64 v64, s0, 0, v52, s0
	s_clause 0x3
	global_load_b128 v[51:54], v[63:64], off
	global_load_b128 v[55:58], v[63:64], off offset:512
	global_load_b128 v[59:62], v[63:64], off offset:1024
	;; [unrolled: 1-line block ×3, first 2 shown]
	;;#ASMSTART
	v_cvt_f32_f16 v20, v68;
	;;#ASMEND
	v_mul_f32_e32 v22, s30, v22
	;;#ASMSTART
	v_cvt_f32_f16 v67, v67;
	;;#ASMEND
	v_add_co_u32 v7, s0, v7, 16
	s_delay_alu instid0(VALU_DEP_1)
	v_add_co_ci_u32_e64 v8, s0, 0, v8, s0
	v_cmp_gt_i32_e64 s0, s28, v15
	v_add_nc_u32_e32 v15, 0x80, v15
	s_waitcnt vmcnt(11)
	v_lshrrev_b32_e32 v68, 16, v1
	v_and_b32_e32 v1, 0xffff, v1
	v_lshrrev_b32_e32 v75, 16, v2
	v_lshrrev_b32_e32 v76, 16, v3
	v_and_b32_e32 v3, 0xffff, v3
	v_lshrrev_b32_e32 v77, 16, v4
	;;#ASMSTART
	v_cvt_f32_f16 v113, v1;
	;;#ASMEND
	v_and_b32_e32 v2, 0xffff, v2
	;;#ASMSTART
	v_cvt_f32_f16 v68, v68;
	;;#ASMEND
	;;#ASMSTART
	v_cvt_f32_f16 v70, v70;
	;;#ASMEND
	;; [unrolled: 3-line block ×5, first 2 shown]
	v_and_b32_e32 v4, 0xffff, v4
	;;#ASMSTART
	v_cvt_f32_f16 v72, v72;
	;;#ASMEND
	;;#ASMSTART
	v_cvt_f32_f16 v71, v71;
	;;#ASMEND
	;; [unrolled: 3-line block ×8, first 2 shown]
	ds_load_b128 v[1:4], v14 offset:16
	s_waitcnt vmcnt(10)
	v_lshrrev_b32_e32 v78, 16, v23
	v_and_b32_e32 v23, 0xffff, v23
	v_lshrrev_b32_e32 v79, 16, v24
	v_and_b32_e32 v24, 0xffff, v24
	v_lshrrev_b32_e32 v80, 16, v25
	v_lshrrev_b32_e32 v81, 16, v26
	v_and_b32_e32 v26, 0xffff, v26
	s_waitcnt vmcnt(9)
	v_lshrrev_b32_e32 v82, 16, v27
	v_lshrrev_b32_e32 v83, 16, v28
	v_lshrrev_b32_e32 v84, 16, v29
	s_waitcnt vmcnt(8)
	v_lshrrev_b32_e32 v86, 16, v31
	v_lshrrev_b32_e32 v85, 16, v30
	v_lshrrev_b32_e32 v88, 16, v33
	;; [unrolled: 4-line block ×3, first 2 shown]
	v_lshrrev_b32_e32 v92, 16, v37
	s_waitcnt vmcnt(6)
	v_lshrrev_b32_e32 v94, 16, v39
	v_lshrrev_b32_e32 v96, 16, v41
	s_waitcnt lgkmcnt(0)
	v_lshrrev_b32_e32 v126, 16, v1
	v_lshrrev_b32_e32 v127, 16, v2
	;; [unrolled: 1-line block ×3, first 2 shown]
	v_and_b32_e32 v1, 0xffff, v1
	v_and_b32_e32 v2, 0xffff, v2
	;; [unrolled: 1-line block ×3, first 2 shown]
	v_lshrrev_b32_e32 v129, 16, v4
	v_and_b32_e32 v4, 0xffff, v4
	;;#ASMSTART
	v_cvt_f32_f16 v130, v1;
	;;#ASMEND
	;;#ASMSTART
	v_cvt_f32_f16 v126, v126;
	;;#ASMEND
	;; [unrolled: 3-line block ×10, first 2 shown]
	v_and_b32_e32 v25, 0xffff, v25
	;;#ASMSTART
	v_cvt_f32_f16 v25, v25;
	;;#ASMEND
	;;#ASMSTART
	v_cvt_f32_f16 v80, v80;
	;;#ASMEND
	v_mul_f32_e32 v80, v128, v80
	;;#ASMSTART
	v_cvt_f32_f16 v133, v4;
	;;#ASMEND
	;;#ASMSTART
	v_cvt_f32_f16 v129, v129;
	;;#ASMEND
	;; [unrolled: 3-line block ×4, first 2 shown]
	ds_load_b128 v[1:4], v14 offset:32
	v_mul_f32_e32 v23, v130, v23
	v_dual_mul_f32 v79, v127, v79 :: v_dual_mul_f32 v78, v126, v78
	v_dual_mul_f32 v24, v131, v24 :: v_dual_mul_f32 v25, v132, v25
	v_mul_f32_e32 v81, v129, v81
	s_delay_alu instid0(VALU_DEP_4)
	v_fmac_f32_e32 v23, v20, v113
	v_dual_mul_f32 v26, v133, v26 :: v_dual_and_b32 v27, 0xffff, v27
	v_fmac_f32_e32 v79, v69, v75
	v_dual_fmac_f32 v78, v67, v68 :: v_dual_and_b32 v29, 0xffff, v29
	v_dual_fmac_f32 v24, v70, v114 :: v_dual_and_b32 v31, 0xffff, v31
	;; [unrolled: 1-line block ×3, first 2 shown]
	v_fmac_f32_e32 v25, v72, v115
	v_fmac_f32_e32 v81, v73, v77
	v_dual_fmac_f32 v26, v74, v116 :: v_dual_and_b32 v35, 0xffff, v35
	s_waitcnt lgkmcnt(0)
	v_lshrrev_b32_e32 v20, 16, v1
	v_and_b32_e32 v1, 0xffff, v1
	v_lshrrev_b32_e32 v67, 16, v2
	;;#ASMSTART
	v_cvt_f32_f16 v70, v1;
	;;#ASMEND
	;;#ASMSTART
	v_cvt_f32_f16 v20, v20;
	;;#ASMEND
	;;#ASMSTART
	v_cvt_f32_f16 v27, v27;
	;;#ASMEND
	v_dual_fmac_f32 v23, v70, v27 :: v_dual_and_b32 v28, 0xffff, v28
	v_and_b32_e32 v2, 0xffff, v2
	v_lshrrev_b32_e32 v68, 16, v3
	v_and_b32_e32 v3, 0xffff, v3
	v_lshrrev_b32_e32 v69, 16, v4
	v_and_b32_e32 v4, 0xffff, v4
	;;#ASMSTART
	v_cvt_f32_f16 v71, v82;
	;;#ASMEND
	;;#ASMSTART
	v_cvt_f32_f16 v72, v2;
	;;#ASMEND
	;; [unrolled: 3-line block ×5, first 2 shown]
	v_dual_fmac_f32 v79, v67, v73 :: v_dual_and_b32 v30, 0xffff, v30
	;;#ASMSTART
	v_cvt_f32_f16 v74, v3;
	;;#ASMEND
	;;#ASMSTART
	v_cvt_f32_f16 v68, v68;
	;;#ASMEND
	;; [unrolled: 3-line block ×8, first 2 shown]
	ds_load_b128 v[1:4], v14 offset:48
	v_dual_fmac_f32 v25, v74, v29 :: v_dual_and_b32 v32, 0xffff, v32
	v_dual_fmac_f32 v81, v69, v77 :: v_dual_and_b32 v34, 0xffff, v34
	;; [unrolled: 1-line block ×5, first 2 shown]
	s_waitcnt vmcnt(5)
	v_lshrrev_b32_e32 v98, 16, v43
	v_dual_fmac_f32 v26, v76, v30 :: v_dual_and_b32 v43, 0xffff, v43
	v_lshrrev_b32_e32 v91, 16, v36
	v_lshrrev_b32_e32 v93, 16, v38
	;; [unrolled: 1-line block ×4, first 2 shown]
	s_waitcnt vmcnt(4)
	v_lshrrev_b32_e32 v104, 16, v49
	v_lshrrev_b32_e32 v95, 16, v40
	s_waitcnt lgkmcnt(0)
	v_lshrrev_b32_e32 v20, 16, v1
	v_and_b32_e32 v1, 0xffff, v1
	v_lshrrev_b32_e32 v27, 16, v2
	v_and_b32_e32 v2, 0xffff, v2
	;; [unrolled: 2-line block ×4, first 2 shown]
	;;#ASMSTART
	v_cvt_f32_f16 v30, v1;
	;;#ASMEND
	;;#ASMSTART
	v_cvt_f32_f16 v20, v20;
	;;#ASMEND
	;; [unrolled: 3-line block ×16, first 2 shown]
	ds_load_b128 v[1:4], v14 offset:64
	v_dual_fmac_f32 v23, v30, v31 :: v_dual_and_b32 v36, 0xffff, v36
	v_dual_fmac_f32 v79, v27, v69 :: v_dual_and_b32 v38, 0xffff, v38
	;; [unrolled: 1-line block ×6, first 2 shown]
	v_lshrrev_b32_e32 v102, 16, v47
	v_dual_fmac_f32 v24, v68, v32 :: v_dual_and_b32 v47, 0xffff, v47
	s_waitcnt vmcnt(3)
	v_lshrrev_b32_e32 v106, 16, v51
	v_dual_fmac_f32 v26, v72, v34 :: v_dual_and_b32 v51, 0xffff, v51
	v_lshrrev_b32_e32 v101, 16, v46
	s_waitcnt lgkmcnt(0)
	v_lshrrev_b32_e32 v20, 16, v1
	v_and_b32_e32 v1, 0xffff, v1
	v_lshrrev_b32_e32 v27, 16, v2
	v_and_b32_e32 v2, 0xffff, v2
	;; [unrolled: 2-line block ×4, first 2 shown]
	;;#ASMSTART
	v_cvt_f32_f16 v30, v1;
	;;#ASMEND
	;;#ASMSTART
	v_cvt_f32_f16 v20, v20;
	;;#ASMEND
	;; [unrolled: 3-line block ×16, first 2 shown]
	ds_load_b128 v[1:4], v14 offset:80
	v_dual_fmac_f32 v79, v27, v35 :: v_dual_and_b32 v46, 0xffff, v46
	v_lshrrev_b32_e32 v105, 16, v50
	v_dual_fmac_f32 v81, v29, v69 :: v_dual_and_b32 v50, 0xffff, v50
	v_lshrrev_b32_e32 v108, 16, v53
	v_dual_fmac_f32 v78, v20, v32 :: v_dual_and_b32 v53, 0xffff, v53
	s_waitcnt vmcnt(2)
	v_lshrrev_b32_e32 v112, 16, v57
	v_dual_fmac_f32 v80, v28, v67 :: v_dual_and_b32 v57, 0xffff, v57
	v_lshrrev_b32_e32 v99, 16, v44
	v_dual_fmac_f32 v23, v30, v31 :: v_dual_and_b32 v44, 0xffff, v44
	;; [unrolled: 2-line block ×4, first 2 shown]
	s_waitcnt lgkmcnt(0)
	v_lshrrev_b32_e32 v20, 16, v1
	v_and_b32_e32 v1, 0xffff, v1
	v_lshrrev_b32_e32 v27, 16, v2
	v_and_b32_e32 v2, 0xffff, v2
	;; [unrolled: 2-line block ×4, first 2 shown]
	s_waitcnt vmcnt(1)
	v_lshrrev_b32_e32 v118, 16, v59
	v_dual_fmac_f32 v26, v68, v38 :: v_dual_and_b32 v59, 0xffff, v59
	;;#ASMSTART
	v_cvt_f32_f16 v30, v1;
	;;#ASMEND
	;;#ASMSTART
	v_cvt_f32_f16 v20, v20;
	;;#ASMEND
	;; [unrolled: 3-line block ×16, first 2 shown]
	ds_load_b128 v[1:4], v14 offset:96
	v_lshrrev_b32_e32 v109, 16, v54
	v_dual_fmac_f32 v79, v27, v35 :: v_dual_and_b32 v54, 0xffff, v54
	v_lshrrev_b32_e32 v117, 16, v58
	v_dual_fmac_f32 v81, v29, v41 :: v_dual_and_b32 v58, 0xffff, v58
	;; [unrolled: 2-line block ×3, first 2 shown]
	s_waitcnt vmcnt(0)
	v_lshrrev_b32_e32 v124, 16, v65
	v_dual_fmac_f32 v80, v28, v38 :: v_dual_and_b32 v65, 0xffff, v65
	v_lshrrev_b32_e32 v107, 16, v52
	v_dual_fmac_f32 v23, v30, v31 :: v_dual_and_b32 v52, 0xffff, v52
	;; [unrolled: 2-line block ×3, first 2 shown]
	v_lshrrev_b32_e32 v122, 16, v63
	s_waitcnt lgkmcnt(0)
	v_lshrrev_b32_e32 v20, 16, v1
	v_and_b32_e32 v1, 0xffff, v1
	v_lshrrev_b32_e32 v27, 16, v2
	v_and_b32_e32 v2, 0xffff, v2
	v_lshrrev_b32_e32 v28, 16, v3
	v_and_b32_e32 v3, 0xffff, v3
	v_lshrrev_b32_e32 v29, 16, v4
	v_and_b32_e32 v4, 0xffff, v4
	v_dual_fmac_f32 v24, v33, v34 :: v_dual_and_b32 v63, 0xffff, v63
	v_fmac_f32_e32 v26, v39, v40
	;;#ASMSTART
	v_cvt_f32_f16 v30, v1;
	;;#ASMEND
	;;#ASMSTART
	v_cvt_f32_f16 v20, v20;
	;;#ASMEND
	;;#ASMSTART
	v_cvt_f32_f16 v31, v43;
	;;#ASMEND
	;;#ASMSTART
	v_cvt_f32_f16 v32, v98;
	;;#ASMEND
	;;#ASMSTART
	v_cvt_f32_f16 v33, v2;
	;;#ASMEND
	;;#ASMSTART
	v_cvt_f32_f16 v27, v27;
	;;#ASMEND
	;;#ASMSTART
	v_cvt_f32_f16 v34, v44;
	;;#ASMEND
	;;#ASMSTART
	v_cvt_f32_f16 v35, v99;
	;;#ASMEND
	;;#ASMSTART
	v_cvt_f32_f16 v36, v3;
	;;#ASMEND
	;;#ASMSTART
	v_cvt_f32_f16 v28, v28;
	;;#ASMEND
	;;#ASMSTART
	v_cvt_f32_f16 v37, v45;
	;;#ASMEND
	;;#ASMSTART
	v_cvt_f32_f16 v38, v100;
	;;#ASMEND
	;;#ASMSTART
	v_cvt_f32_f16 v39, v4;
	;;#ASMEND
	;;#ASMSTART
	v_cvt_f32_f16 v29, v29;
	;;#ASMEND
	;;#ASMSTART
	v_cvt_f32_f16 v40, v46;
	;;#ASMEND
	;;#ASMSTART
	v_cvt_f32_f16 v41, v101;
	;;#ASMEND
	ds_load_b128 v[1:4], v14 offset:112
	v_lshrrev_b32_e32 v121, 16, v62
	v_dual_fmac_f32 v79, v27, v35 :: v_dual_and_b32 v62, 0xffff, v62
	v_lshrrev_b32_e32 v125, 16, v66
	v_dual_fmac_f32 v81, v29, v41 :: v_dual_and_b32 v66, 0xffff, v66
	v_fmac_f32_e32 v78, v20, v32
	v_fmac_f32_e32 v80, v28, v38
	v_lshrrev_b32_e32 v119, 16, v60
	v_dual_fmac_f32 v23, v30, v31 :: v_dual_and_b32 v60, 0xffff, v60
	v_lshrrev_b32_e32 v123, 16, v64
	v_dual_fmac_f32 v25, v36, v37 :: v_dual_and_b32 v64, 0xffff, v64
	v_fmac_f32_e32 v24, v33, v34
	v_fmac_f32_e32 v26, v39, v40
	s_waitcnt lgkmcnt(0)
	v_lshrrev_b32_e32 v20, 16, v1
	v_and_b32_e32 v1, 0xffff, v1
	v_lshrrev_b32_e32 v27, 16, v2
	v_and_b32_e32 v2, 0xffff, v2
	;; [unrolled: 2-line block ×4, first 2 shown]
	;;#ASMSTART
	v_cvt_f32_f16 v30, v1;
	;;#ASMEND
	;;#ASMSTART
	v_cvt_f32_f16 v20, v20;
	;;#ASMEND
	;; [unrolled: 3-line block ×16, first 2 shown]
	ds_load_b128 v[1:4], v14 offset:128
	v_dual_fmac_f32 v78, v20, v32 :: v_dual_fmac_f32 v79, v27, v35
	v_dual_fmac_f32 v80, v28, v38 :: v_dual_fmac_f32 v81, v29, v41
	;; [unrolled: 1-line block ×4, first 2 shown]
	s_waitcnt lgkmcnt(0)
	v_lshrrev_b32_e32 v20, 16, v1
	v_and_b32_e32 v1, 0xffff, v1
	v_lshrrev_b32_e32 v27, 16, v2
	v_and_b32_e32 v2, 0xffff, v2
	;; [unrolled: 2-line block ×4, first 2 shown]
	;;#ASMSTART
	v_cvt_f32_f16 v30, v1;
	;;#ASMEND
	;;#ASMSTART
	v_cvt_f32_f16 v20, v20;
	;;#ASMEND
	;; [unrolled: 3-line block ×16, first 2 shown]
	ds_load_b128 v[1:4], v14 offset:144
	v_dual_fmac_f32 v78, v20, v32 :: v_dual_fmac_f32 v23, v30, v31
	v_dual_fmac_f32 v79, v27, v35 :: v_dual_fmac_f32 v80, v28, v38
	;; [unrolled: 1-line block ×4, first 2 shown]
	s_waitcnt lgkmcnt(0)
	v_lshrrev_b32_e32 v20, 16, v1
	v_and_b32_e32 v1, 0xffff, v1
	v_lshrrev_b32_e32 v27, 16, v2
	v_and_b32_e32 v2, 0xffff, v2
	v_lshrrev_b32_e32 v28, 16, v3
	v_lshrrev_b32_e32 v29, 16, v4
	v_and_b32_e32 v4, 0xffff, v4
	;;#ASMSTART
	v_cvt_f32_f16 v30, v1;
	;;#ASMEND
	;;#ASMSTART
	v_cvt_f32_f16 v20, v20;
	;;#ASMEND
	;; [unrolled: 3-line block ×4, first 2 shown]
	v_dual_fmac_f32 v78, v20, v32 :: v_dual_and_b32 v3, 0xffff, v3
	;;#ASMSTART
	v_cvt_f32_f16 v33, v2;
	;;#ASMEND
	;;#ASMSTART
	v_cvt_f32_f16 v27, v27;
	;;#ASMEND
	;;#ASMSTART
	v_cvt_f32_f16 v34, v56;
	;;#ASMEND
	;;#ASMSTART
	v_cvt_f32_f16 v35, v111;
	;;#ASMEND
	;;#ASMSTART
	v_cvt_f32_f16 v36, v3;
	;;#ASMEND
	;;#ASMSTART
	v_cvt_f32_f16 v28, v28;
	;;#ASMEND
	;;#ASMSTART
	v_cvt_f32_f16 v37, v57;
	;;#ASMEND
	;;#ASMSTART
	v_cvt_f32_f16 v38, v112;
	;;#ASMEND
	;;#ASMSTART
	v_cvt_f32_f16 v39, v4;
	;;#ASMEND
	;;#ASMSTART
	v_cvt_f32_f16 v29, v29;
	;;#ASMEND
	;;#ASMSTART
	v_cvt_f32_f16 v40, v58;
	;;#ASMEND
	;;#ASMSTART
	v_cvt_f32_f16 v41, v117;
	;;#ASMEND
	ds_load_b128 v[1:4], v14 offset:160
	v_dual_fmac_f32 v24, v33, v34 :: v_dual_fmac_f32 v79, v27, v35
	v_dual_fmac_f32 v80, v28, v38 :: v_dual_fmac_f32 v81, v29, v41
	v_fmac_f32_e32 v23, v30, v31
	v_dual_fmac_f32 v25, v36, v37 :: v_dual_fmac_f32 v26, v39, v40
	s_waitcnt lgkmcnt(0)
	v_lshrrev_b32_e32 v20, 16, v1
	v_and_b32_e32 v1, 0xffff, v1
	v_lshrrev_b32_e32 v27, 16, v2
	v_and_b32_e32 v2, 0xffff, v2
	;; [unrolled: 2-line block ×4, first 2 shown]
	;;#ASMSTART
	v_cvt_f32_f16 v30, v1;
	;;#ASMEND
	;;#ASMSTART
	v_cvt_f32_f16 v20, v20;
	;;#ASMEND
	;; [unrolled: 3-line block ×16, first 2 shown]
	ds_load_b128 v[1:4], v14 offset:176
	v_dual_fmac_f32 v23, v30, v31 :: v_dual_fmac_f32 v78, v20, v32
	v_fmac_f32_e32 v26, v39, v40
	v_dual_fmac_f32 v24, v33, v34 :: v_dual_fmac_f32 v79, v27, v35
	v_fmac_f32_e32 v80, v28, v38
	v_fmac_f32_e32 v25, v36, v37
	;; [unrolled: 1-line block ×3, first 2 shown]
	s_waitcnt lgkmcnt(0)
	v_lshrrev_b32_e32 v20, 16, v1
	v_and_b32_e32 v1, 0xffff, v1
	;;#ASMSTART
	v_cvt_f32_f16 v1, v1;
	;;#ASMEND
	;;#ASMSTART
	v_cvt_f32_f16 v20, v20;
	;;#ASMEND
	;; [unrolled: 3-line block ×4, first 2 shown]
	v_dual_fmac_f32 v23, v1, v30 :: v_dual_fmac_f32 v78, v20, v31
	v_lshrrev_b32_e32 v27, 16, v2
	v_and_b32_e32 v2, 0xffff, v2
	;;#ASMSTART
	v_cvt_f32_f16 v2, v2;
	;;#ASMEND
	v_lshrrev_b32_e32 v28, 16, v3
	;;#ASMSTART
	v_cvt_f32_f16 v27, v27;
	;;#ASMEND
	;;#ASMSTART
	v_cvt_f32_f16 v32, v64;
	;;#ASMEND
	v_dual_fmac_f32 v24, v2, v32 :: v_dual_and_b32 v3, 0xffff, v3
	v_add_f32_e32 v2, v23, v78
	;;#ASMSTART
	v_cvt_f32_f16 v33, v123;
	;;#ASMEND
	v_fmac_f32_e32 v79, v27, v33
	;;#ASMSTART
	v_cvt_f32_f16 v3, v3;
	;;#ASMEND
	;;#ASMSTART
	v_cvt_f32_f16 v28, v28;
	;;#ASMEND
	v_add_f32_e32 v2, v2, v24
	;;#ASMSTART
	v_cvt_f32_f16 v1, v65;
	;;#ASMEND
	v_fmac_f32_e32 v25, v3, v1
	;;#ASMSTART
	v_cvt_f32_f16 v20, v124;
	;;#ASMEND
	s_delay_alu instid0(VALU_DEP_2) | instskip(SKIP_1) | instid1(VALU_DEP_2)
	v_dual_fmac_f32 v80, v28, v20 :: v_dual_add_f32 v1, v79, v2
	v_lshrrev_b32_e32 v29, 16, v4
	v_dual_add_f32 v1, v1, v25 :: v_dual_and_b32 v4, 0xffff, v4
	s_delay_alu instid0(VALU_DEP_1)
	v_add_f32_e32 v1, v80, v1
	;;#ASMSTART
	v_cvt_f32_f16 v4, v4;
	;;#ASMEND
	;;#ASMSTART
	v_cvt_f32_f16 v2, v29;
	;;#ASMEND
	;; [unrolled: 3-line block ×3, first 2 shown]
	v_fmac_f32_e32 v26, v4, v3
	;;#ASMSTART
	v_cvt_f32_f16 v3, v125;
	;;#ASMEND
	v_dual_fmac_f32 v81, v2, v3 :: v_dual_cndmask_b32 v2, 0, v22
	s_delay_alu instid0(VALU_DEP_2) | instskip(NEXT) | instid1(VALU_DEP_1)
	v_add_f32_e32 v1, v1, v26
	v_add_f32_e32 v1, v81, v1
	s_delay_alu instid0(VALU_DEP_1) | instskip(NEXT) | instid1(VALU_DEP_1)
	v_fmac_f32_e32 v2, s3, v1
	v_cndmask_b32_e64 v1, 0, v2, s0
	v_max_f32_e32 v2, v21, v2
	ds_store_b32 v16, v1
	v_cndmask_b32_e64 v13, v13, v2, s0
	v_add_nc_u32_e32 v16, 0x200, v16
	s_and_not1_b32 exec_lo, exec_lo, s33
	s_cbranch_execnz .LBB124_7
; %bb.8:
	s_or_b32 exec_lo, exec_lo, s33
.LBB124_9:
	s_delay_alu instid0(SALU_CYCLE_1) | instskip(SKIP_2) | instid1(VALU_DEP_2)
	s_or_b32 exec_lo, exec_lo, s31
	v_mbcnt_lo_u32_b32 v1, -1, 0
	v_max_f32_e32 v7, v13, v13
	v_xor_b32_e32 v2, 16, v1
	v_xor_b32_e32 v4, 8, v1
	s_delay_alu instid0(VALU_DEP_2) | instskip(SKIP_1) | instid1(VALU_DEP_3)
	v_cmp_gt_i32_e32 vcc_lo, 32, v2
	v_cndmask_b32_e32 v2, v1, v2, vcc_lo
	v_cmp_gt_i32_e32 vcc_lo, 32, v4
	s_delay_alu instid0(VALU_DEP_2) | instskip(SKIP_4) | instid1(VALU_DEP_1)
	v_lshlrev_b32_e32 v2, 2, v2
	v_cndmask_b32_e32 v4, v1, v4, vcc_lo
	ds_bpermute_b32 v3, v2, v13
	s_waitcnt lgkmcnt(0)
	v_dual_max_f32 v8, v3, v3 :: v_dual_lshlrev_b32 v3, 2, v4
	v_max_f32_e32 v4, v7, v8
	v_xor_b32_e32 v8, 4, v1
	ds_bpermute_b32 v7, v3, v4
	v_cmp_gt_i32_e32 vcc_lo, 32, v8
	s_waitcnt lgkmcnt(0)
	v_dual_cndmask_b32 v8, v1, v8 :: v_dual_max_f32 v13, v7, v7
	s_delay_alu instid0(VALU_DEP_1) | instskip(SKIP_1) | instid1(VALU_DEP_1)
	v_max_f32_e32 v4, v4, v13
	v_xor_b32_e32 v13, 2, v1
	v_cmp_gt_i32_e32 vcc_lo, 32, v13
	v_cndmask_b32_e32 v13, v1, v13, vcc_lo
	s_delay_alu instid0(VALU_DEP_1) | instskip(SKIP_1) | instid1(VALU_DEP_1)
	v_lshlrev_b32_e32 v14, 2, v13
	v_xor_b32_e32 v13, 1, v1
	v_cmp_gt_i32_e32 vcc_lo, 32, v13
	v_cndmask_b32_e32 v13, v1, v13, vcc_lo
	v_cmp_eq_u32_e32 vcc_lo, 0, v11
	s_delay_alu instid0(VALU_DEP_2) | instskip(SKIP_4) | instid1(VALU_DEP_1)
	v_lshlrev_b32_e32 v13, 2, v13
	v_lshlrev_b32_e32 v7, 2, v8
	ds_bpermute_b32 v8, v7, v4
	s_waitcnt lgkmcnt(0)
	v_max_f32_e32 v8, v8, v8
	v_max_f32_e32 v4, v4, v8
	ds_bpermute_b32 v8, v14, v4
	s_waitcnt lgkmcnt(0)
	v_max_f32_e32 v8, v8, v8
	s_delay_alu instid0(VALU_DEP_1)
	v_dual_max_f32 v1, v4, v8 :: v_dual_lshlrev_b32 v8, 2, v10
	ds_bpermute_b32 v4, v13, v1
	s_and_saveexec_b32 s0, vcc_lo
	s_cbranch_execz .LBB124_11
; %bb.10:
	s_waitcnt lgkmcnt(0)
	v_dual_max_f32 v4, v4, v4 :: v_dual_max_f32 v1, v1, v1
	s_delay_alu instid0(VALU_DEP_1)
	v_max_f32_e32 v1, v1, v4
	ds_store_b32 v8, v1 offset:192
.LBB124_11:
	s_or_b32 exec_lo, exec_lo, s0
	v_cmp_gt_u32_e64 s0, 4, v11
	v_mov_b32_e32 v1, 0xff7fffff
	s_waitcnt lgkmcnt(0)
	s_barrier
	buffer_gl0_inv
	s_and_saveexec_b32 s1, s0
	s_cbranch_execz .LBB124_13
; %bb.12:
	ds_load_b32 v1, v12 offset:192
.LBB124_13:
	s_or_b32 exec_lo, exec_lo, s1
	s_waitcnt lgkmcnt(0)
	ds_bpermute_b32 v4, v14, v1
	v_max_f32_e32 v1, v1, v1
	s_sub_i32 s1, s17, s15
	v_mov_b32_e32 v15, 0
	s_lshl_b32 s1, s1, 5
	s_delay_alu instid0(SALU_CYCLE_1) | instskip(NEXT) | instid1(SALU_CYCLE_1)
	s_add_i32 s1, s1, s29
	s_min_i32 s1, s1, s28
	s_delay_alu instid0(SALU_CYCLE_1) | instskip(NEXT) | instid1(SALU_CYCLE_1)
	s_sub_i32 s7, s1, s29
	v_cmp_gt_i32_e64 s1, s7, v0
	s_waitcnt lgkmcnt(0)
	v_max_f32_e32 v4, v4, v4
	s_delay_alu instid0(VALU_DEP_1) | instskip(SKIP_3) | instid1(VALU_DEP_1)
	v_max_f32_e32 v1, v1, v4
	ds_bpermute_b32 v4, v13, v1
	s_waitcnt lgkmcnt(0)
	v_max_f32_e32 v4, v4, v4
	v_max_f32_e32 v1, v1, v4
	v_lshl_add_u32 v4, v0, 2, 0xe0
	ds_bpermute_b32 v1, v15, v1
	s_and_saveexec_b32 s15, s1
	s_cbranch_execz .LBB124_17
; %bb.14:
	v_lshl_add_u32 v16, v0, 2, 0xe0
	v_mov_b32_e32 v15, 0
	v_mov_b32_e32 v17, v0
	s_mov_b32 s30, 0
	.p2align	6
.LBB124_15:                             ; =>This Inner Loop Header: Depth=1
	ds_load_b32 v18, v16
	v_add_nc_u32_e32 v17, 0x80, v17
	s_delay_alu instid0(VALU_DEP_1) | instskip(NEXT) | instid1(VALU_DEP_1)
	v_cmp_le_i32_e64 s3, s7, v17
	s_or_b32 s30, s3, s30
	s_waitcnt lgkmcnt(0)
	v_sub_f32_e32 v18, v18, v1
	s_delay_alu instid0(VALU_DEP_1) | instskip(NEXT) | instid1(VALU_DEP_1)
	v_mul_f32_e32 v18, 0x3fb8aa3b, v18
	v_exp_f32_e32 v18, v18
	ds_store_b32 v16, v18
	v_dual_add_f32 v15, v15, v18 :: v_dual_add_nc_u32 v16, 0x200, v16
	s_and_not1_b32 exec_lo, exec_lo, s30
	s_cbranch_execnz .LBB124_15
; %bb.16:
	s_or_b32 exec_lo, exec_lo, s30
.LBB124_17:
	s_delay_alu instid0(SALU_CYCLE_1)
	s_or_b32 exec_lo, exec_lo, s15
	ds_bpermute_b32 v2, v2, v15
	s_waitcnt lgkmcnt(0)
	v_add_f32_e32 v2, v15, v2
	ds_bpermute_b32 v3, v3, v2
	s_waitcnt lgkmcnt(0)
	v_add_f32_e32 v2, v2, v3
	;; [unrolled: 3-line block ×5, first 2 shown]
	s_and_saveexec_b32 s3, vcc_lo
	s_cbranch_execz .LBB124_19
; %bb.18:
	ds_store_b32 v8, v2 offset:208
.LBB124_19:
	s_or_b32 exec_lo, exec_lo, s3
	s_waitcnt lgkmcnt(0)
	s_barrier
	buffer_gl0_inv
	s_and_saveexec_b32 s3, s0
	s_cbranch_execz .LBB124_21
; %bb.20:
	ds_load_b32 v2, v12 offset:208
.LBB124_21:
	s_or_b32 exec_lo, exec_lo, s3
	s_waitcnt lgkmcnt(0)
	ds_bpermute_b32 v3, v14, v2
	s_waitcnt lgkmcnt(0)
	v_add_f32_e32 v2, v2, v3
	ds_bpermute_b32 v3, v13, v2
	s_waitcnt lgkmcnt(0)
	v_dual_add_f32 v2, v2, v3 :: v_dual_mov_b32 v3, 0
	ds_bpermute_b32 v2, v3, v2
	s_and_saveexec_b32 s0, s1
	s_cbranch_execz .LBB124_24
; %bb.22:
	s_waitcnt lgkmcnt(0)
	v_add_f32_e32 v3, 0x358637bd, v2
	s_mov_b32 s1, 0
	s_delay_alu instid0(VALU_DEP_1) | instskip(NEXT) | instid1(VALU_DEP_1)
	v_div_scale_f32 v7, null, v3, v3, 1.0
	v_rcp_f32_e32 v8, v7
	s_waitcnt_depctr 0xfff
	v_fma_f32 v12, -v7, v8, 1.0
	s_delay_alu instid0(VALU_DEP_1) | instskip(SKIP_1) | instid1(VALU_DEP_1)
	v_fmac_f32_e32 v8, v12, v8
	v_div_scale_f32 v15, vcc_lo, 1.0, v3, 1.0
	v_mul_f32_e32 v12, v15, v8
	s_delay_alu instid0(VALU_DEP_1) | instskip(NEXT) | instid1(VALU_DEP_1)
	v_fma_f32 v16, -v7, v12, v15
	v_fmac_f32_e32 v12, v16, v8
	s_delay_alu instid0(VALU_DEP_1) | instskip(NEXT) | instid1(VALU_DEP_1)
	v_fma_f32 v7, -v7, v12, v15
	v_div_fmas_f32 v7, v7, v8, v12
	s_delay_alu instid0(VALU_DEP_1)
	v_div_fixup_f32 v3, v7, v3, 1.0
	v_mov_b32_e32 v7, v0
.LBB124_23:                             ; =>This Inner Loop Header: Depth=1
	ds_load_b32 v8, v4
	s_waitcnt lgkmcnt(0)
	v_dual_mul_f32 v8, v3, v8 :: v_dual_add_nc_u32 v7, 0x80, v7
	s_delay_alu instid0(VALU_DEP_1) | instskip(SKIP_3) | instid1(SALU_CYCLE_1)
	v_cmp_le_i32_e32 vcc_lo, s7, v7
	ds_store_b32 v4, v8
	v_add_nc_u32_e32 v4, 0x200, v4
	s_or_b32 s1, vcc_lo, s1
	s_and_not1_b32 exec_lo, exec_lo, s1
	s_cbranch_execnz .LBB124_23
.LBB124_24:
	s_or_b32 exec_lo, exec_lo, s0
	s_mul_i32 s0, s4, s14
	s_waitcnt lgkmcnt(0)
	s_mul_i32 s14, s0, s13
	s_mov_b32 s0, exec_lo
	s_barrier
	buffer_gl0_inv
	v_cmpx_eq_u32_e32 0, v0
	s_cbranch_execz .LBB124_26
; %bb.25:
	s_ashr_i32 s15, s14, 31
	s_mul_i32 s34, s4, s22
	s_lshl_b64 s[30:31], s[14:15], 2
	v_mov_b32_e32 v3, 0
	s_add_u32 s1, s10, s30
	s_addc_u32 s3, s11, s31
	s_ashr_i32 s35, s34, 31
	s_delay_alu instid0(SALU_CYCLE_1) | instskip(NEXT) | instid1(SALU_CYCLE_1)
	s_lshl_b64 s[10:11], s[34:35], 2
	s_add_u32 s1, s1, s10
	s_addc_u32 s3, s3, s11
	s_ashr_i32 s13, s12, 31
	s_delay_alu instid0(SALU_CYCLE_1) | instskip(NEXT) | instid1(SALU_CYCLE_1)
	s_lshl_b64 s[34:35], s[12:13], 2
	s_add_u32 s36, s1, s34
	s_addc_u32 s37, s3, s35
	s_add_u32 s1, s8, s30
	s_addc_u32 s3, s9, s31
	;; [unrolled: 2-line block ×4, first 2 shown]
	s_clause 0x1
	global_store_b32 v3, v1, s[36:37]
	global_store_b32 v3, v2, s[8:9]
.LBB124_26:
	s_or_b32 exec_lo, exec_lo, s0
	v_dual_mov_b32 v24, 0 :: v_dual_mov_b32 v25, 0
	v_dual_mov_b32 v23, 0 :: v_dual_and_b32 v12, 3, v0
	v_dual_mov_b32 v26, 0 :: v_dual_mov_b32 v21, 0
	v_dual_mov_b32 v22, 0 :: v_dual_mov_b32 v19, 0
	;; [unrolled: 1-line block ×4, first 2 shown]
	v_mov_b32_e32 v16, 0
	s_and_saveexec_b32 s1, s2
	s_cbranch_execz .LBB124_54
; %bb.27:
	v_lshlrev_b32_e32 v1, 3, v0
	v_dual_mov_b32 v15, 0 :: v_dual_lshlrev_b32 v2, 5, v12
	s_ashr_i32 s7, s6, 31
	s_mov_b32 s2, s5
	s_delay_alu instid0(VALU_DEP_2) | instskip(SKIP_3) | instid1(VALU_DEP_2)
	v_dual_mov_b32 v18, 0 :: v_dual_and_b32 v3, 0xf8, v1
	s_lshl_b64 s[6:7], s[6:7], 1
	v_lshl_or_b32 v7, v10, 7, v2
	s_add_u32 s3, s24, s6
	v_or_b32_e32 v16, 0xa00, v3
	s_addc_u32 s5, s25, s7
	s_lshl_b64 s[24:25], s[26:27], 2
	s_add_i32 s23, s23, -1
	v_or_b32_e32 v4, 0x800, v3
	v_dual_mov_b32 v21, 0 :: v_dual_lshlrev_b32 v32, 1, v16
	v_dual_mov_b32 v16, 0 :: v_dual_and_b32 v1, 24, v1
	v_mov_b32_e32 v20, 0
	v_or_b32_e32 v8, 0x900, v3
	v_or_b32_e32 v17, 0xb00, v3
	s_add_u32 s0, s20, s24
	v_add3_u32 v27, s29, v9, v1
	v_lshlrev_b64 v[1:2], 2, v[5:6]
	s_addc_u32 s11, s21, s25
	v_add_nc_u32_e32 v28, 0xe0, v7
	v_dual_mov_b32 v22, 0 :: v_dual_lshlrev_b32 v29, 1, v3
	v_dual_mov_b32 v19, 0 :: v_dual_lshlrev_b32 v30, 1, v4
	s_delay_alu instid0(VALU_DEP_4)
	v_add_co_u32 v6, vcc_lo, s0, v1
	v_add_co_ci_u32_e32 v7, vcc_lo, s11, v2, vcc_lo
	v_dual_mov_b32 v26, 0 :: v_dual_lshlrev_b32 v31, 1, v8
	v_dual_mov_b32 v24, 0 :: v_dual_lshlrev_b32 v33, 1, v17
	v_mov_b32_e32 v17, 0
	v_mov_b32_e32 v23, 0
	;; [unrolled: 1-line block ×3, first 2 shown]
	s_mov_b32 s6, s28
	s_mov_b32 s7, s28
	s_mov_b32 s8, s28
	s_mov_b32 s9, s28
	s_mov_b32 s10, s28
	s_mov_b32 s11, s28
	s_mov_b32 s15, s28
	s_mov_b32 s13, 0
	s_branch .LBB124_29
.LBB124_28:                             ;   in Loop: Header=BB124_29 Depth=1
	s_or_b32 exec_lo, exec_lo, s0
	v_dual_add_f32 v35, v63, v64 :: v_dual_add_f32 v36, v61, v62
	v_add_f32_e32 v34, v47, v48
	v_add_f32_e32 v8, v8, v9
	s_waitcnt vmcnt(0)
	;;#ASMSTART
	v_pk_mul_f16 v1, v44, v1;

	;;#ASMEND
	v_add_f32_e32 v17, v17, v35
	v_add_f32_e32 v35, v55, v56
	;;#ASMSTART
	v_pk_mul_f16 v2, v41, v2;

	;;#ASMEND
	;;#ASMSTART
	v_pk_mul_f16 v3, v40, v3;

	;;#ASMEND
	;; [unrolled: 4-line block ×3, first 2 shown]
	;;#ASMSTART
	v_pk_add_f16 v1, v1, v2;

	;;#ASMEND
	v_dual_add_f32 v16, v16, v34 :: v_dual_add_f32 v9, v59, v60
	v_dual_add_f32 v34, v57, v58 :: v_dual_add_f32 v19, v19, v8
	v_add_f32_e32 v18, v18, v36
	v_add_f32_e32 v36, v53, v54
	;;#ASMSTART
	v_pk_add_f16 v1, v1, v3;

	;;#ASMEND
	v_add_f32_e32 v3, v51, v52
	;;#ASMSTART
	v_pk_add_f16 v1, v1, v4;

	;;#ASMEND
	v_dual_add_f32 v22, v22, v35 :: v_dual_add_nc_u32 v5, 4, v5
	s_delay_alu instid0(VALU_DEP_2) | instskip(SKIP_3) | instid1(VALU_DEP_1)
	v_dual_add_f32 v25, v25, v3 :: v_dual_and_b32 v2, 0xffff, v1
	v_lshrrev_b32_e32 v1, 16, v1
	;;#ASMSTART
	v_cvt_f32_f16 v2, v2;
	;;#ASMEND
	;;#ASMSTART
	v_cvt_f32_f16 v1, v1;
	;;#ASMEND
	v_dual_add_f32 v4, v49, v50 :: v_dual_add_f32 v1, v2, v1
	v_dual_add_f32 v8, v43, v45 :: v_dual_add_nc_u32 v27, 0x80, v27
	v_cmp_le_i32_e32 vcc_lo, s17, v5
	v_add_co_u32 v6, s0, v6, 16
	v_dual_add_f32 v20, v20, v9 :: v_dual_add_f32 v23, v23, v36
	v_dual_add_f32 v21, v21, v34 :: v_dual_add_f32 v26, v26, v4
	v_dual_add_f32 v15, v15, v1 :: v_dual_add_f32 v24, v24, v8
	v_add_nc_u32_e32 v28, 0x200, v28
	v_add_co_ci_u32_e64 v7, s0, 0, v7, s0
	s_or_b32 s13, vcc_lo, s13
	s_delay_alu instid0(SALU_CYCLE_1)
	s_and_not1_b32 exec_lo, exec_lo, s13
	s_cbranch_execz .LBB124_53
.LBB124_29:                             ; =>This Inner Loop Header: Depth=1
	global_load_b32 v34, v[6:7], off
	ds_load_2addr_b64 v[1:4], v28 offset1:1
	v_or_b32_e32 v39, 5, v27
	v_or_b32_e32 v42, 7, v27
	;; [unrolled: 1-line block ×3, first 2 shown]
	s_waitcnt vmcnt(0)
	v_mad_i64_i32 v[8:9], null, v34, s2, 0
	ds_load_2addr_b64 v[34:37], v28 offset0:2 offset1:3
	s_waitcnt lgkmcnt(1)
	;;#ASMSTART
	v_cvt_f16_f32 v41, v1;

	;;#ASMEND
	;;#ASMSTART
	v_cvt_f16_f32 v38, v2;

	;;#ASMEND
	;; [unrolled: 4-line block ×4, first 2 shown]
	s_waitcnt lgkmcnt(0)
	;;#ASMSTART
	v_cvt_f16_f32 v44, v34;

	;;#ASMEND
	v_lshlrev_b64 v[8:9], 1, v[8:9]
	;;#ASMSTART
	v_cvt_f16_f32 v45, v35;

	;;#ASMEND
	;;#ASMSTART
	v_cvt_f16_f32 v50, v36;

	;;#ASMEND
	;; [unrolled: 4-line block ×3, first 2 shown]
	v_add_nc_u32_e32 v34, 1, v27
	v_or_b32_e32 v36, 3, v27
	v_add_co_u32 v47, vcc_lo, s3, v8
	v_add_co_ci_u32_e32 v48, vcc_lo, s5, v9, vcc_lo
	v_or_b32_e32 v35, 2, v27
	s_delay_alu instid0(VALU_DEP_3) | instskip(NEXT) | instid1(VALU_DEP_3)
	v_add_co_u32 v8, vcc_lo, v47, v29
	v_add_co_ci_u32_e32 v9, vcc_lo, 0, v48, vcc_lo
	v_cmp_eq_u32_e32 vcc_lo, s23, v5
	v_or_b32_e32 v37, 4, v27
	global_load_b128 v[1:4], v[8:9], off
	s_and_saveexec_b32 s20, vcc_lo
	s_cbranch_execz .LBB124_31
; %bb.30:                               ;   in Loop: Header=BB124_29 Depth=1
	v_cmp_gt_i32_e64 s0, s11, v46
	s_waitcnt vmcnt(0)
	v_lshrrev_b32_e32 v51, 16, v4
	v_lshrrev_b32_e32 v52, 16, v3
	;; [unrolled: 1-line block ×4, first 2 shown]
	v_cndmask_b32_e64 v4, 0, v4, s0
	v_cmp_gt_i32_e64 s0, s15, v42
	s_delay_alu instid0(VALU_DEP_1) | instskip(SKIP_1) | instid1(VALU_DEP_2)
	v_cndmask_b32_e64 v51, 0, v51, s0
	v_cmp_gt_i32_e64 s0, s10, v39
	v_perm_b32 v4, v51, v4, 0x5040100
	s_delay_alu instid0(VALU_DEP_2) | instskip(SKIP_1) | instid1(VALU_DEP_1)
	v_cndmask_b32_e64 v52, 0, v52, s0
	v_cmp_gt_i32_e64 s0, s9, v37
	v_cndmask_b32_e64 v3, 0, v3, s0
	v_cmp_gt_i32_e64 s0, s8, v36
	s_delay_alu instid0(VALU_DEP_2) | instskip(NEXT) | instid1(VALU_DEP_2)
	v_perm_b32 v3, v52, v3, 0x5040100
	v_cndmask_b32_e64 v53, 0, v53, s0
	v_cmp_gt_i32_e64 s0, s7, v35
	s_delay_alu instid0(VALU_DEP_1) | instskip(SKIP_1) | instid1(VALU_DEP_2)
	v_cndmask_b32_e64 v2, 0, v2, s0
	v_cmp_gt_i32_e64 s0, s6, v34
	v_perm_b32 v2, v53, v2, 0x5040100
	s_delay_alu instid0(VALU_DEP_2) | instskip(SKIP_1) | instid1(VALU_DEP_1)
	v_cndmask_b32_e64 v54, 0, v54, s0
	v_cmp_gt_i32_e64 s0, s28, v27
	v_cndmask_b32_e64 v1, 0, v1, s0
	s_delay_alu instid0(VALU_DEP_1)
	v_perm_b32 v1, v54, v1, 0x5040100
.LBB124_31:                             ;   in Loop: Header=BB124_29 Depth=1
	s_or_b32 exec_lo, exec_lo, s20
	v_and_b32_e32 v41, 0xffff, v41
	v_and_b32_e32 v43, 0xffff, v43
	;; [unrolled: 1-line block ×4, first 2 shown]
	s_delay_alu instid0(VALU_DEP_4)
	v_lshl_or_b32 v44, v38, 16, v41
	s_waitcnt vmcnt(0)
	;;#ASMSTART
	v_pk_mul_f16 v1, v44, v1;

	;;#ASMEND
	v_lshl_or_b32 v41, v40, 16, v43
	v_lshl_or_b32 v40, v45, 16, v51
	;; [unrolled: 1-line block ×3, first 2 shown]
	;;#ASMSTART
	v_pk_mul_f16 v2, v41, v2;

	;;#ASMEND
	;;#ASMSTART
	v_pk_mul_f16 v3, v40, v3;

	;;#ASMEND
	;; [unrolled: 4-line block ×3, first 2 shown]
	;;#ASMSTART
	v_pk_add_f16 v1, v1, v2;

	;;#ASMEND
	;;#ASMSTART
	v_pk_add_f16 v1, v1, v3;

	;;#ASMEND
	;; [unrolled: 4-line block ×3, first 2 shown]
	v_and_b32_e32 v2, 0xffff, v1
	v_lshrrev_b32_e32 v1, 16, v1
	;;#ASMSTART
	v_cvt_f32_f16 v43, v2;
	;;#ASMEND
	;;#ASMSTART
	v_cvt_f32_f16 v45, v1;
	;;#ASMEND
	global_load_b128 v[1:4], v[8:9], off offset:512
	s_and_saveexec_b32 s20, vcc_lo
	s_cbranch_execz .LBB124_33
; %bb.32:                               ;   in Loop: Header=BB124_29 Depth=1
	v_cmp_gt_i32_e64 s0, s11, v46
	s_waitcnt vmcnt(0)
	v_lshrrev_b32_e32 v49, 16, v4
	v_lshrrev_b32_e32 v50, 16, v3
	;; [unrolled: 1-line block ×4, first 2 shown]
	v_cndmask_b32_e64 v4, 0, v4, s0
	v_cmp_gt_i32_e64 s0, s15, v42
	s_delay_alu instid0(VALU_DEP_1) | instskip(SKIP_1) | instid1(VALU_DEP_2)
	v_cndmask_b32_e64 v49, 0, v49, s0
	v_cmp_gt_i32_e64 s0, s10, v39
	v_perm_b32 v4, v49, v4, 0x5040100
	s_delay_alu instid0(VALU_DEP_2) | instskip(SKIP_1) | instid1(VALU_DEP_1)
	v_cndmask_b32_e64 v50, 0, v50, s0
	v_cmp_gt_i32_e64 s0, s9, v37
	v_cndmask_b32_e64 v3, 0, v3, s0
	v_cmp_gt_i32_e64 s0, s8, v36
	s_delay_alu instid0(VALU_DEP_2) | instskip(NEXT) | instid1(VALU_DEP_2)
	v_perm_b32 v3, v50, v3, 0x5040100
	v_cndmask_b32_e64 v51, 0, v51, s0
	v_cmp_gt_i32_e64 s0, s7, v35
	s_delay_alu instid0(VALU_DEP_1) | instskip(SKIP_1) | instid1(VALU_DEP_2)
	v_cndmask_b32_e64 v2, 0, v2, s0
	v_cmp_gt_i32_e64 s0, s6, v34
	v_perm_b32 v2, v51, v2, 0x5040100
	s_delay_alu instid0(VALU_DEP_2) | instskip(SKIP_1) | instid1(VALU_DEP_1)
	v_cndmask_b32_e64 v52, 0, v52, s0
	v_cmp_gt_i32_e64 s0, s28, v27
	v_cndmask_b32_e64 v1, 0, v1, s0
	s_delay_alu instid0(VALU_DEP_1)
	v_perm_b32 v1, v52, v1, 0x5040100
.LBB124_33:                             ;   in Loop: Header=BB124_29 Depth=1
	s_or_b32 exec_lo, exec_lo, s20
	s_waitcnt vmcnt(0)
	;;#ASMSTART
	v_pk_mul_f16 v1, v44, v1;

	;;#ASMEND
	;;#ASMSTART
	v_pk_mul_f16 v2, v41, v2;

	;;#ASMEND
	;; [unrolled: 4-line block ×4, first 2 shown]
	;;#ASMSTART
	v_pk_add_f16 v1, v1, v2;

	;;#ASMEND
	;;#ASMSTART
	v_pk_add_f16 v1, v1, v3;

	;;#ASMEND
	;; [unrolled: 4-line block ×3, first 2 shown]
	v_and_b32_e32 v2, 0xffff, v1
	v_lshrrev_b32_e32 v1, 16, v1
	;;#ASMSTART
	v_cvt_f32_f16 v49, v2;
	;;#ASMEND
	;;#ASMSTART
	v_cvt_f32_f16 v50, v1;
	;;#ASMEND
	global_load_b128 v[1:4], v[8:9], off offset:1024
	s_and_saveexec_b32 s20, vcc_lo
	s_cbranch_execz .LBB124_35
; %bb.34:                               ;   in Loop: Header=BB124_29 Depth=1
	v_cmp_gt_i32_e64 s0, s11, v46
	s_waitcnt vmcnt(0)
	v_lshrrev_b32_e32 v51, 16, v4
	v_lshrrev_b32_e32 v52, 16, v3
	;; [unrolled: 1-line block ×4, first 2 shown]
	v_cndmask_b32_e64 v4, 0, v4, s0
	v_cmp_gt_i32_e64 s0, s15, v42
	s_delay_alu instid0(VALU_DEP_1) | instskip(SKIP_1) | instid1(VALU_DEP_2)
	v_cndmask_b32_e64 v51, 0, v51, s0
	v_cmp_gt_i32_e64 s0, s10, v39
	v_perm_b32 v4, v51, v4, 0x5040100
	s_delay_alu instid0(VALU_DEP_2) | instskip(SKIP_1) | instid1(VALU_DEP_1)
	v_cndmask_b32_e64 v52, 0, v52, s0
	v_cmp_gt_i32_e64 s0, s9, v37
	v_cndmask_b32_e64 v3, 0, v3, s0
	v_cmp_gt_i32_e64 s0, s8, v36
	s_delay_alu instid0(VALU_DEP_2) | instskip(NEXT) | instid1(VALU_DEP_2)
	v_perm_b32 v3, v52, v3, 0x5040100
	v_cndmask_b32_e64 v53, 0, v53, s0
	v_cmp_gt_i32_e64 s0, s7, v35
	s_delay_alu instid0(VALU_DEP_1) | instskip(SKIP_1) | instid1(VALU_DEP_2)
	v_cndmask_b32_e64 v2, 0, v2, s0
	v_cmp_gt_i32_e64 s0, s6, v34
	v_perm_b32 v2, v53, v2, 0x5040100
	s_delay_alu instid0(VALU_DEP_2) | instskip(SKIP_1) | instid1(VALU_DEP_1)
	v_cndmask_b32_e64 v54, 0, v54, s0
	v_cmp_gt_i32_e64 s0, s28, v27
	v_cndmask_b32_e64 v1, 0, v1, s0
	s_delay_alu instid0(VALU_DEP_1)
	v_perm_b32 v1, v54, v1, 0x5040100
.LBB124_35:                             ;   in Loop: Header=BB124_29 Depth=1
	s_or_b32 exec_lo, exec_lo, s20
	s_waitcnt vmcnt(0)
	;;#ASMSTART
	v_pk_mul_f16 v1, v44, v1;

	;;#ASMEND
	;;#ASMSTART
	v_pk_mul_f16 v2, v41, v2;

	;;#ASMEND
	;; [unrolled: 4-line block ×4, first 2 shown]
	;;#ASMSTART
	v_pk_add_f16 v1, v1, v2;

	;;#ASMEND
	;;#ASMSTART
	v_pk_add_f16 v1, v1, v3;

	;;#ASMEND
	;; [unrolled: 4-line block ×3, first 2 shown]
	v_and_b32_e32 v2, 0xffff, v1
	v_lshrrev_b32_e32 v1, 16, v1
	;;#ASMSTART
	v_cvt_f32_f16 v51, v2;
	;;#ASMEND
	;;#ASMSTART
	v_cvt_f32_f16 v52, v1;
	;;#ASMEND
	global_load_b128 v[1:4], v[8:9], off offset:1536
	s_and_saveexec_b32 s20, vcc_lo
	s_cbranch_execz .LBB124_37
; %bb.36:                               ;   in Loop: Header=BB124_29 Depth=1
	v_cmp_gt_i32_e64 s0, s11, v46
	s_waitcnt vmcnt(0)
	v_lshrrev_b32_e32 v53, 16, v4
	v_lshrrev_b32_e32 v54, 16, v3
	;; [unrolled: 1-line block ×4, first 2 shown]
	v_cndmask_b32_e64 v4, 0, v4, s0
	v_cmp_gt_i32_e64 s0, s15, v42
	s_delay_alu instid0(VALU_DEP_1) | instskip(SKIP_1) | instid1(VALU_DEP_2)
	v_cndmask_b32_e64 v53, 0, v53, s0
	v_cmp_gt_i32_e64 s0, s10, v39
	v_perm_b32 v4, v53, v4, 0x5040100
	s_delay_alu instid0(VALU_DEP_2) | instskip(SKIP_1) | instid1(VALU_DEP_1)
	v_cndmask_b32_e64 v54, 0, v54, s0
	v_cmp_gt_i32_e64 s0, s9, v37
	v_cndmask_b32_e64 v3, 0, v3, s0
	v_cmp_gt_i32_e64 s0, s8, v36
	s_delay_alu instid0(VALU_DEP_2) | instskip(NEXT) | instid1(VALU_DEP_2)
	v_perm_b32 v3, v54, v3, 0x5040100
	v_cndmask_b32_e64 v55, 0, v55, s0
	v_cmp_gt_i32_e64 s0, s7, v35
	s_delay_alu instid0(VALU_DEP_1) | instskip(SKIP_1) | instid1(VALU_DEP_2)
	v_cndmask_b32_e64 v2, 0, v2, s0
	v_cmp_gt_i32_e64 s0, s6, v34
	v_perm_b32 v2, v55, v2, 0x5040100
	s_delay_alu instid0(VALU_DEP_2) | instskip(SKIP_1) | instid1(VALU_DEP_1)
	v_cndmask_b32_e64 v56, 0, v56, s0
	v_cmp_gt_i32_e64 s0, s28, v27
	v_cndmask_b32_e64 v1, 0, v1, s0
	s_delay_alu instid0(VALU_DEP_1)
	v_perm_b32 v1, v56, v1, 0x5040100
.LBB124_37:                             ;   in Loop: Header=BB124_29 Depth=1
	s_or_b32 exec_lo, exec_lo, s20
	s_waitcnt vmcnt(0)
	;;#ASMSTART
	v_pk_mul_f16 v1, v44, v1;

	;;#ASMEND
	;;#ASMSTART
	v_pk_mul_f16 v2, v41, v2;

	;;#ASMEND
	;;#ASMSTART
	v_pk_mul_f16 v3, v40, v3;

	;;#ASMEND
	;;#ASMSTART
	v_pk_mul_f16 v4, v38, v4;

	;;#ASMEND
	;;#ASMSTART
	v_pk_add_f16 v1, v1, v2;

	;;#ASMEND
	;;#ASMSTART
	v_pk_add_f16 v1, v1, v3;

	;;#ASMEND
	;; [unrolled: 4-line block ×3, first 2 shown]
	v_and_b32_e32 v2, 0xffff, v1
	v_lshrrev_b32_e32 v1, 16, v1
	;;#ASMSTART
	v_cvt_f32_f16 v53, v2;
	;;#ASMEND
	;;#ASMSTART
	v_cvt_f32_f16 v54, v1;
	;;#ASMEND
	global_load_b128 v[1:4], v[8:9], off offset:2048
	s_and_saveexec_b32 s20, vcc_lo
	s_cbranch_execz .LBB124_39
; %bb.38:                               ;   in Loop: Header=BB124_29 Depth=1
	v_cmp_gt_i32_e64 s0, s11, v46
	s_waitcnt vmcnt(0)
	v_lshrrev_b32_e32 v55, 16, v4
	v_lshrrev_b32_e32 v56, 16, v3
	;; [unrolled: 1-line block ×4, first 2 shown]
	v_cndmask_b32_e64 v4, 0, v4, s0
	v_cmp_gt_i32_e64 s0, s15, v42
	s_delay_alu instid0(VALU_DEP_1) | instskip(SKIP_1) | instid1(VALU_DEP_2)
	v_cndmask_b32_e64 v55, 0, v55, s0
	v_cmp_gt_i32_e64 s0, s10, v39
	v_perm_b32 v4, v55, v4, 0x5040100
	s_delay_alu instid0(VALU_DEP_2) | instskip(SKIP_1) | instid1(VALU_DEP_1)
	v_cndmask_b32_e64 v56, 0, v56, s0
	v_cmp_gt_i32_e64 s0, s9, v37
	v_cndmask_b32_e64 v3, 0, v3, s0
	v_cmp_gt_i32_e64 s0, s8, v36
	s_delay_alu instid0(VALU_DEP_2) | instskip(NEXT) | instid1(VALU_DEP_2)
	v_perm_b32 v3, v56, v3, 0x5040100
	v_cndmask_b32_e64 v57, 0, v57, s0
	v_cmp_gt_i32_e64 s0, s7, v35
	s_delay_alu instid0(VALU_DEP_1) | instskip(SKIP_1) | instid1(VALU_DEP_2)
	v_cndmask_b32_e64 v2, 0, v2, s0
	v_cmp_gt_i32_e64 s0, s6, v34
	v_perm_b32 v2, v57, v2, 0x5040100
	s_delay_alu instid0(VALU_DEP_2) | instskip(SKIP_1) | instid1(VALU_DEP_1)
	v_cndmask_b32_e64 v58, 0, v58, s0
	v_cmp_gt_i32_e64 s0, s28, v27
	v_cndmask_b32_e64 v1, 0, v1, s0
	s_delay_alu instid0(VALU_DEP_1)
	v_perm_b32 v1, v58, v1, 0x5040100
.LBB124_39:                             ;   in Loop: Header=BB124_29 Depth=1
	s_or_b32 exec_lo, exec_lo, s20
	s_waitcnt vmcnt(0)
	;;#ASMSTART
	v_pk_mul_f16 v1, v44, v1;

	;;#ASMEND
	;;#ASMSTART
	v_pk_mul_f16 v2, v41, v2;

	;;#ASMEND
	;; [unrolled: 4-line block ×4, first 2 shown]
	;;#ASMSTART
	v_pk_add_f16 v1, v1, v2;

	;;#ASMEND
	;;#ASMSTART
	v_pk_add_f16 v1, v1, v3;

	;;#ASMEND
	;; [unrolled: 4-line block ×3, first 2 shown]
	v_and_b32_e32 v2, 0xffff, v1
	v_lshrrev_b32_e32 v1, 16, v1
	;;#ASMSTART
	v_cvt_f32_f16 v55, v2;
	;;#ASMEND
	;;#ASMSTART
	v_cvt_f32_f16 v56, v1;
	;;#ASMEND
	global_load_b128 v[1:4], v[8:9], off offset:2560
	s_and_saveexec_b32 s20, vcc_lo
	s_cbranch_execz .LBB124_41
; %bb.40:                               ;   in Loop: Header=BB124_29 Depth=1
	v_cmp_gt_i32_e64 s0, s11, v46
	s_waitcnt vmcnt(0)
	v_lshrrev_b32_e32 v57, 16, v4
	v_lshrrev_b32_e32 v58, 16, v3
	;; [unrolled: 1-line block ×4, first 2 shown]
	v_cndmask_b32_e64 v4, 0, v4, s0
	v_cmp_gt_i32_e64 s0, s15, v42
	s_delay_alu instid0(VALU_DEP_1) | instskip(SKIP_1) | instid1(VALU_DEP_2)
	v_cndmask_b32_e64 v57, 0, v57, s0
	v_cmp_gt_i32_e64 s0, s10, v39
	v_perm_b32 v4, v57, v4, 0x5040100
	s_delay_alu instid0(VALU_DEP_2) | instskip(SKIP_1) | instid1(VALU_DEP_1)
	v_cndmask_b32_e64 v58, 0, v58, s0
	v_cmp_gt_i32_e64 s0, s9, v37
	v_cndmask_b32_e64 v3, 0, v3, s0
	v_cmp_gt_i32_e64 s0, s8, v36
	s_delay_alu instid0(VALU_DEP_2) | instskip(NEXT) | instid1(VALU_DEP_2)
	v_perm_b32 v3, v58, v3, 0x5040100
	v_cndmask_b32_e64 v59, 0, v59, s0
	v_cmp_gt_i32_e64 s0, s7, v35
	s_delay_alu instid0(VALU_DEP_1) | instskip(SKIP_1) | instid1(VALU_DEP_2)
	v_cndmask_b32_e64 v2, 0, v2, s0
	v_cmp_gt_i32_e64 s0, s6, v34
	v_perm_b32 v2, v59, v2, 0x5040100
	s_delay_alu instid0(VALU_DEP_2) | instskip(SKIP_1) | instid1(VALU_DEP_1)
	v_cndmask_b32_e64 v60, 0, v60, s0
	v_cmp_gt_i32_e64 s0, s28, v27
	v_cndmask_b32_e64 v1, 0, v1, s0
	s_delay_alu instid0(VALU_DEP_1)
	v_perm_b32 v1, v60, v1, 0x5040100
.LBB124_41:                             ;   in Loop: Header=BB124_29 Depth=1
	s_or_b32 exec_lo, exec_lo, s20
	s_waitcnt vmcnt(0)
	;;#ASMSTART
	v_pk_mul_f16 v1, v44, v1;

	;;#ASMEND
	;;#ASMSTART
	v_pk_mul_f16 v2, v41, v2;

	;;#ASMEND
	;; [unrolled: 4-line block ×4, first 2 shown]
	;;#ASMSTART
	v_pk_add_f16 v1, v1, v2;

	;;#ASMEND
	;;#ASMSTART
	v_pk_add_f16 v1, v1, v3;

	;;#ASMEND
	;; [unrolled: 4-line block ×3, first 2 shown]
	v_and_b32_e32 v2, 0xffff, v1
	v_lshrrev_b32_e32 v1, 16, v1
	;;#ASMSTART
	v_cvt_f32_f16 v57, v2;
	;;#ASMEND
	;;#ASMSTART
	v_cvt_f32_f16 v58, v1;
	;;#ASMEND
	global_load_b128 v[1:4], v[8:9], off offset:3072
	s_and_saveexec_b32 s20, vcc_lo
	s_cbranch_execz .LBB124_43
; %bb.42:                               ;   in Loop: Header=BB124_29 Depth=1
	v_cmp_gt_i32_e64 s0, s11, v46
	s_waitcnt vmcnt(0)
	v_lshrrev_b32_e32 v59, 16, v4
	v_lshrrev_b32_e32 v60, 16, v3
	;; [unrolled: 1-line block ×4, first 2 shown]
	v_cndmask_b32_e64 v4, 0, v4, s0
	v_cmp_gt_i32_e64 s0, s15, v42
	s_delay_alu instid0(VALU_DEP_1) | instskip(SKIP_1) | instid1(VALU_DEP_2)
	v_cndmask_b32_e64 v59, 0, v59, s0
	v_cmp_gt_i32_e64 s0, s10, v39
	v_perm_b32 v4, v59, v4, 0x5040100
	s_delay_alu instid0(VALU_DEP_2) | instskip(SKIP_1) | instid1(VALU_DEP_1)
	v_cndmask_b32_e64 v60, 0, v60, s0
	v_cmp_gt_i32_e64 s0, s9, v37
	v_cndmask_b32_e64 v3, 0, v3, s0
	v_cmp_gt_i32_e64 s0, s8, v36
	s_delay_alu instid0(VALU_DEP_2) | instskip(NEXT) | instid1(VALU_DEP_2)
	v_perm_b32 v3, v60, v3, 0x5040100
	v_cndmask_b32_e64 v61, 0, v61, s0
	v_cmp_gt_i32_e64 s0, s7, v35
	s_delay_alu instid0(VALU_DEP_1) | instskip(SKIP_1) | instid1(VALU_DEP_2)
	v_cndmask_b32_e64 v2, 0, v2, s0
	v_cmp_gt_i32_e64 s0, s6, v34
	v_perm_b32 v2, v61, v2, 0x5040100
	s_delay_alu instid0(VALU_DEP_2) | instskip(SKIP_1) | instid1(VALU_DEP_1)
	v_cndmask_b32_e64 v62, 0, v62, s0
	v_cmp_gt_i32_e64 s0, s28, v27
	v_cndmask_b32_e64 v1, 0, v1, s0
	s_delay_alu instid0(VALU_DEP_1)
	v_perm_b32 v1, v62, v1, 0x5040100
.LBB124_43:                             ;   in Loop: Header=BB124_29 Depth=1
	s_or_b32 exec_lo, exec_lo, s20
	s_waitcnt vmcnt(0)
	;;#ASMSTART
	v_pk_mul_f16 v1, v44, v1;

	;;#ASMEND
	;;#ASMSTART
	v_pk_mul_f16 v2, v41, v2;

	;;#ASMEND
	;;#ASMSTART
	v_pk_mul_f16 v3, v40, v3;

	;;#ASMEND
	;;#ASMSTART
	v_pk_mul_f16 v4, v38, v4;

	;;#ASMEND
	;;#ASMSTART
	v_pk_add_f16 v1, v1, v2;

	;;#ASMEND
	;;#ASMSTART
	v_pk_add_f16 v1, v1, v3;

	;;#ASMEND
	;; [unrolled: 4-line block ×3, first 2 shown]
	v_and_b32_e32 v2, 0xffff, v1
	v_lshrrev_b32_e32 v1, 16, v1
	;;#ASMSTART
	v_cvt_f32_f16 v59, v2;
	;;#ASMEND
	;;#ASMSTART
	v_cvt_f32_f16 v60, v1;
	;;#ASMEND
	global_load_b128 v[1:4], v[8:9], off offset:3584
	s_and_saveexec_b32 s20, vcc_lo
	s_cbranch_execz .LBB124_45
; %bb.44:                               ;   in Loop: Header=BB124_29 Depth=1
	v_cmp_gt_i32_e64 s0, s11, v46
	s_waitcnt vmcnt(0)
	v_lshrrev_b32_e32 v8, 16, v4
	v_lshrrev_b32_e32 v9, 16, v3
	;; [unrolled: 1-line block ×4, first 2 shown]
	v_cndmask_b32_e64 v4, 0, v4, s0
	v_cmp_gt_i32_e64 s0, s15, v42
	s_delay_alu instid0(VALU_DEP_1) | instskip(SKIP_1) | instid1(VALU_DEP_2)
	v_cndmask_b32_e64 v8, 0, v8, s0
	v_cmp_gt_i32_e64 s0, s10, v39
	v_perm_b32 v4, v8, v4, 0x5040100
	s_delay_alu instid0(VALU_DEP_2) | instskip(SKIP_1) | instid1(VALU_DEP_1)
	v_cndmask_b32_e64 v9, 0, v9, s0
	v_cmp_gt_i32_e64 s0, s9, v37
	v_cndmask_b32_e64 v3, 0, v3, s0
	v_cmp_gt_i32_e64 s0, s8, v36
	s_delay_alu instid0(VALU_DEP_2) | instskip(NEXT) | instid1(VALU_DEP_2)
	v_perm_b32 v3, v9, v3, 0x5040100
	v_cndmask_b32_e64 v61, 0, v61, s0
	v_cmp_gt_i32_e64 s0, s7, v35
	s_delay_alu instid0(VALU_DEP_1) | instskip(SKIP_1) | instid1(VALU_DEP_2)
	v_cndmask_b32_e64 v2, 0, v2, s0
	v_cmp_gt_i32_e64 s0, s6, v34
	v_perm_b32 v2, v61, v2, 0x5040100
	s_delay_alu instid0(VALU_DEP_2) | instskip(SKIP_1) | instid1(VALU_DEP_1)
	v_cndmask_b32_e64 v62, 0, v62, s0
	v_cmp_gt_i32_e64 s0, s28, v27
	v_cndmask_b32_e64 v1, 0, v1, s0
	s_delay_alu instid0(VALU_DEP_1)
	v_perm_b32 v1, v62, v1, 0x5040100
.LBB124_45:                             ;   in Loop: Header=BB124_29 Depth=1
	s_or_b32 exec_lo, exec_lo, s20
	s_waitcnt vmcnt(0)
	;;#ASMSTART
	v_pk_mul_f16 v1, v44, v1;

	;;#ASMEND
	;;#ASMSTART
	v_pk_mul_f16 v2, v41, v2;

	;;#ASMEND
	;;#ASMSTART
	v_pk_mul_f16 v3, v40, v3;

	;;#ASMEND
	;;#ASMSTART
	v_pk_mul_f16 v4, v38, v4;

	;;#ASMEND
	;;#ASMSTART
	v_pk_add_f16 v1, v1, v2;

	;;#ASMEND
	;;#ASMSTART
	v_pk_add_f16 v1, v1, v3;

	;;#ASMEND
	;;#ASMSTART
	v_pk_add_f16 v1, v1, v4;

	;;#ASMEND
	v_lshrrev_b32_e32 v3, 16, v1
	v_and_b32_e32 v4, 0xffff, v1
	v_add_co_u32 v1, s0, v47, v30
	s_delay_alu instid0(VALU_DEP_1)
	v_add_co_ci_u32_e64 v2, s0, 0, v48, s0
	;;#ASMSTART
	v_cvt_f32_f16 v8, v4;
	;;#ASMEND
	;;#ASMSTART
	v_cvt_f32_f16 v9, v3;
	;;#ASMEND
	global_load_b128 v[1:4], v[1:2], off
	s_and_saveexec_b32 s20, vcc_lo
	s_cbranch_execz .LBB124_47
; %bb.46:                               ;   in Loop: Header=BB124_29 Depth=1
	v_cmp_gt_i32_e64 s0, s11, v46
	s_waitcnt vmcnt(0)
	v_lshrrev_b32_e32 v61, 16, v4
	v_lshrrev_b32_e32 v62, 16, v3
	;; [unrolled: 1-line block ×4, first 2 shown]
	v_cndmask_b32_e64 v4, 0, v4, s0
	v_cmp_gt_i32_e64 s0, s15, v42
	s_delay_alu instid0(VALU_DEP_1) | instskip(SKIP_1) | instid1(VALU_DEP_2)
	v_cndmask_b32_e64 v61, 0, v61, s0
	v_cmp_gt_i32_e64 s0, s10, v39
	v_perm_b32 v4, v61, v4, 0x5040100
	s_delay_alu instid0(VALU_DEP_2) | instskip(SKIP_1) | instid1(VALU_DEP_1)
	v_cndmask_b32_e64 v62, 0, v62, s0
	v_cmp_gt_i32_e64 s0, s9, v37
	v_cndmask_b32_e64 v3, 0, v3, s0
	v_cmp_gt_i32_e64 s0, s8, v36
	s_delay_alu instid0(VALU_DEP_2) | instskip(NEXT) | instid1(VALU_DEP_2)
	v_perm_b32 v3, v62, v3, 0x5040100
	v_cndmask_b32_e64 v63, 0, v63, s0
	v_cmp_gt_i32_e64 s0, s7, v35
	s_delay_alu instid0(VALU_DEP_1) | instskip(SKIP_1) | instid1(VALU_DEP_2)
	v_cndmask_b32_e64 v2, 0, v2, s0
	v_cmp_gt_i32_e64 s0, s6, v34
	v_perm_b32 v2, v63, v2, 0x5040100
	s_delay_alu instid0(VALU_DEP_2) | instskip(SKIP_1) | instid1(VALU_DEP_1)
	v_cndmask_b32_e64 v64, 0, v64, s0
	v_cmp_gt_i32_e64 s0, s28, v27
	v_cndmask_b32_e64 v1, 0, v1, s0
	s_delay_alu instid0(VALU_DEP_1)
	v_perm_b32 v1, v64, v1, 0x5040100
.LBB124_47:                             ;   in Loop: Header=BB124_29 Depth=1
	s_or_b32 exec_lo, exec_lo, s20
	s_waitcnt vmcnt(0)
	;;#ASMSTART
	v_pk_mul_f16 v1, v44, v1;

	;;#ASMEND
	;;#ASMSTART
	v_pk_mul_f16 v2, v41, v2;

	;;#ASMEND
	;; [unrolled: 4-line block ×4, first 2 shown]
	;;#ASMSTART
	v_pk_add_f16 v1, v1, v2;

	;;#ASMEND
	;;#ASMSTART
	v_pk_add_f16 v1, v1, v3;

	;;#ASMEND
	;; [unrolled: 4-line block ×3, first 2 shown]
	v_lshrrev_b32_e32 v3, 16, v1
	v_and_b32_e32 v4, 0xffff, v1
	v_add_co_u32 v1, s0, v47, v31
	s_delay_alu instid0(VALU_DEP_1)
	v_add_co_ci_u32_e64 v2, s0, 0, v48, s0
	;;#ASMSTART
	v_cvt_f32_f16 v61, v4;
	;;#ASMEND
	;;#ASMSTART
	v_cvt_f32_f16 v62, v3;
	;;#ASMEND
	global_load_b128 v[1:4], v[1:2], off
	s_and_saveexec_b32 s20, vcc_lo
	s_cbranch_execz .LBB124_49
; %bb.48:                               ;   in Loop: Header=BB124_29 Depth=1
	v_cmp_gt_i32_e64 s0, s11, v46
	s_waitcnt vmcnt(0)
	v_lshrrev_b32_e32 v63, 16, v4
	v_lshrrev_b32_e32 v64, 16, v3
	;; [unrolled: 1-line block ×4, first 2 shown]
	v_cndmask_b32_e64 v4, 0, v4, s0
	v_cmp_gt_i32_e64 s0, s15, v42
	s_delay_alu instid0(VALU_DEP_1) | instskip(SKIP_1) | instid1(VALU_DEP_2)
	v_cndmask_b32_e64 v63, 0, v63, s0
	v_cmp_gt_i32_e64 s0, s10, v39
	v_perm_b32 v4, v63, v4, 0x5040100
	s_delay_alu instid0(VALU_DEP_2) | instskip(SKIP_1) | instid1(VALU_DEP_1)
	v_cndmask_b32_e64 v64, 0, v64, s0
	v_cmp_gt_i32_e64 s0, s9, v37
	v_cndmask_b32_e64 v3, 0, v3, s0
	v_cmp_gt_i32_e64 s0, s8, v36
	s_delay_alu instid0(VALU_DEP_2) | instskip(NEXT) | instid1(VALU_DEP_2)
	v_perm_b32 v3, v64, v3, 0x5040100
	v_cndmask_b32_e64 v65, 0, v65, s0
	v_cmp_gt_i32_e64 s0, s7, v35
	s_delay_alu instid0(VALU_DEP_1) | instskip(SKIP_1) | instid1(VALU_DEP_2)
	v_cndmask_b32_e64 v2, 0, v2, s0
	v_cmp_gt_i32_e64 s0, s6, v34
	v_perm_b32 v2, v65, v2, 0x5040100
	s_delay_alu instid0(VALU_DEP_2) | instskip(SKIP_1) | instid1(VALU_DEP_1)
	v_cndmask_b32_e64 v66, 0, v66, s0
	v_cmp_gt_i32_e64 s0, s28, v27
	v_cndmask_b32_e64 v1, 0, v1, s0
	s_delay_alu instid0(VALU_DEP_1)
	v_perm_b32 v1, v66, v1, 0x5040100
.LBB124_49:                             ;   in Loop: Header=BB124_29 Depth=1
	s_or_b32 exec_lo, exec_lo, s20
	s_waitcnt vmcnt(0)
	;;#ASMSTART
	v_pk_mul_f16 v1, v44, v1;

	;;#ASMEND
	;;#ASMSTART
	v_pk_mul_f16 v2, v41, v2;

	;;#ASMEND
	;; [unrolled: 4-line block ×4, first 2 shown]
	;;#ASMSTART
	v_pk_add_f16 v1, v1, v2;

	;;#ASMEND
	;;#ASMSTART
	v_pk_add_f16 v1, v1, v3;

	;;#ASMEND
	;; [unrolled: 4-line block ×3, first 2 shown]
	v_lshrrev_b32_e32 v3, 16, v1
	v_and_b32_e32 v4, 0xffff, v1
	v_add_co_u32 v1, s0, v47, v32
	s_delay_alu instid0(VALU_DEP_1)
	v_add_co_ci_u32_e64 v2, s0, 0, v48, s0
	;;#ASMSTART
	v_cvt_f32_f16 v63, v4;
	;;#ASMEND
	;;#ASMSTART
	v_cvt_f32_f16 v64, v3;
	;;#ASMEND
	global_load_b128 v[1:4], v[1:2], off
	s_and_saveexec_b32 s20, vcc_lo
	s_cbranch_execz .LBB124_51
; %bb.50:                               ;   in Loop: Header=BB124_29 Depth=1
	v_cmp_gt_i32_e64 s0, s11, v46
	s_waitcnt vmcnt(0)
	v_lshrrev_b32_e32 v65, 16, v4
	v_lshrrev_b32_e32 v66, 16, v3
	;; [unrolled: 1-line block ×4, first 2 shown]
	v_cndmask_b32_e64 v4, 0, v4, s0
	v_cmp_gt_i32_e64 s0, s15, v42
	s_delay_alu instid0(VALU_DEP_1) | instskip(SKIP_1) | instid1(VALU_DEP_2)
	v_cndmask_b32_e64 v65, 0, v65, s0
	v_cmp_gt_i32_e64 s0, s10, v39
	v_perm_b32 v4, v65, v4, 0x5040100
	s_delay_alu instid0(VALU_DEP_2) | instskip(SKIP_1) | instid1(VALU_DEP_1)
	v_cndmask_b32_e64 v66, 0, v66, s0
	v_cmp_gt_i32_e64 s0, s9, v37
	v_cndmask_b32_e64 v3, 0, v3, s0
	v_cmp_gt_i32_e64 s0, s8, v36
	s_delay_alu instid0(VALU_DEP_2) | instskip(NEXT) | instid1(VALU_DEP_2)
	v_perm_b32 v3, v66, v3, 0x5040100
	v_cndmask_b32_e64 v67, 0, v67, s0
	v_cmp_gt_i32_e64 s0, s7, v35
	s_delay_alu instid0(VALU_DEP_1) | instskip(SKIP_1) | instid1(VALU_DEP_2)
	v_cndmask_b32_e64 v2, 0, v2, s0
	v_cmp_gt_i32_e64 s0, s6, v34
	v_perm_b32 v2, v67, v2, 0x5040100
	s_delay_alu instid0(VALU_DEP_2) | instskip(SKIP_1) | instid1(VALU_DEP_1)
	v_cndmask_b32_e64 v68, 0, v68, s0
	v_cmp_gt_i32_e64 s0, s28, v27
	v_cndmask_b32_e64 v1, 0, v1, s0
	s_delay_alu instid0(VALU_DEP_1)
	v_perm_b32 v1, v68, v1, 0x5040100
.LBB124_51:                             ;   in Loop: Header=BB124_29 Depth=1
	s_or_b32 exec_lo, exec_lo, s20
	s_waitcnt vmcnt(0)
	;;#ASMSTART
	v_pk_mul_f16 v1, v44, v1;

	;;#ASMEND
	;;#ASMSTART
	v_pk_mul_f16 v2, v41, v2;

	;;#ASMEND
	;; [unrolled: 4-line block ×4, first 2 shown]
	;;#ASMSTART
	v_pk_add_f16 v1, v1, v2;

	;;#ASMEND
	;;#ASMSTART
	v_pk_add_f16 v1, v1, v3;

	;;#ASMEND
	;;#ASMSTART
	v_pk_add_f16 v1, v1, v4;

	;;#ASMEND
	v_lshrrev_b32_e32 v3, 16, v1
	v_and_b32_e32 v4, 0xffff, v1
	v_add_co_u32 v1, s0, v47, v33
	s_delay_alu instid0(VALU_DEP_1)
	v_add_co_ci_u32_e64 v2, s0, 0, v48, s0
	;;#ASMSTART
	v_cvt_f32_f16 v47, v4;
	;;#ASMEND
	;;#ASMSTART
	v_cvt_f32_f16 v48, v3;
	;;#ASMEND
	global_load_b128 v[1:4], v[1:2], off
	s_and_saveexec_b32 s0, vcc_lo
	s_cbranch_execz .LBB124_28
; %bb.52:                               ;   in Loop: Header=BB124_29 Depth=1
	v_cmp_gt_i32_e32 vcc_lo, s11, v46
	s_waitcnt vmcnt(0)
	v_lshrrev_b32_e32 v65, 16, v4
	v_lshrrev_b32_e32 v66, 16, v3
	;; [unrolled: 1-line block ×3, first 2 shown]
	v_cndmask_b32_e32 v4, 0, v4, vcc_lo
	v_cmp_gt_i32_e32 vcc_lo, s15, v42
	v_cndmask_b32_e32 v42, 0, v65, vcc_lo
	v_cmp_gt_i32_e32 vcc_lo, s10, v39
	;; [unrolled: 2-line block ×3, first 2 shown]
	v_lshrrev_b32_e32 v37, 16, v1
	v_cndmask_b32_e32 v3, 0, v3, vcc_lo
	v_cmp_gt_i32_e32 vcc_lo, s8, v36
	v_perm_b32 v4, v42, v4, 0x5040100
	s_delay_alu instid0(VALU_DEP_3)
	v_perm_b32 v3, v39, v3, 0x5040100
	v_cndmask_b32_e32 v36, 0, v46, vcc_lo
	v_cmp_gt_i32_e32 vcc_lo, s7, v35
	v_cndmask_b32_e32 v2, 0, v2, vcc_lo
	v_cmp_gt_i32_e32 vcc_lo, s6, v34
	;; [unrolled: 2-line block ×3, first 2 shown]
	v_cndmask_b32_e32 v1, 0, v1, vcc_lo
	v_perm_b32 v2, v36, v2, 0x5040100
	s_delay_alu instid0(VALU_DEP_2)
	v_perm_b32 v1, v34, v1, 0x5040100
	s_branch .LBB124_28
.LBB124_53:
	s_or_b32 exec_lo, exec_lo, s13
.LBB124_54:
	s_delay_alu instid0(SALU_CYCLE_1)
	s_or_b32 exec_lo, exec_lo, s1
	ds_bpermute_b32 v1, v14, v24
	ds_bpermute_b32 v2, v14, v26
	;; [unrolled: 1-line block ×12, first 2 shown]
	v_lshrrev_b32_e32 v11, 2, v11
	s_movk_i32 s0, 0x180
	s_waitcnt lgkmcnt(0)
	s_waitcnt_vscnt null, 0x0
	v_mad_u32_u24 v10, v10, s0, 0xe0
	s_barrier
	buffer_gl0_inv
	v_dual_add_f32 v1, v24, v1 :: v_dual_add_f32 v2, v26, v2
	v_add_f32_e32 v3, v25, v3
	v_dual_add_f32 v5, v22, v5 :: v_dual_add_f32 v20, v20, v7
	v_add_f32_e32 v16, v16, v28
	v_add_f32_e32 v4, v23, v4
	v_dual_add_f32 v6, v21, v6 :: v_dual_add_f32 v19, v19, v8
	v_dual_add_f32 v18, v18, v9 :: v_dual_add_f32 v17, v17, v27
	v_add_f32_e32 v21, v15, v14
	ds_bpermute_b32 v7, v13, v1
	ds_bpermute_b32 v8, v13, v2
	;; [unrolled: 1-line block ×12, first 2 shown]
	s_waitcnt lgkmcnt(10)
	v_dual_add_f32 v15, v1, v7 :: v_dual_add_f32 v14, v2, v8
	s_waitcnt lgkmcnt(8)
	v_dual_add_f32 v13, v3, v9 :: v_dual_add_f32 v8, v5, v23
	s_waitcnt lgkmcnt(7)
	v_add_f32_e32 v5, v20, v25
	s_waitcnt lgkmcnt(6)
	v_dual_add_f32 v1, v16, v29 :: v_dual_and_b32 v16, 0x3c3, v0
	s_waitcnt lgkmcnt(5)
	v_add_f32_e32 v9, v4, v22
	s_waitcnt lgkmcnt(3)
	v_dual_add_f32 v7, v6, v24 :: v_dual_add_f32 v4, v19, v26
	s_waitcnt lgkmcnt(0)
	v_dual_add_f32 v3, v18, v27 :: v_dual_add_f32 v6, v21, v30
	v_add_f32_e32 v2, v17, v28
	v_cmp_eq_u32_e32 vcc_lo, 64, v16
	v_lshlrev_b32_e32 v16, 2, v11
	s_and_saveexec_b32 s0, vcc_lo
	s_cbranch_execz .LBB124_56
; %bb.55:
	s_delay_alu instid0(VALU_DEP_1)
	v_add3_u32 v17, v10, v16, 0xfffffd00
	ds_store_2addr_b32 v17, v15, v14 offset1:8
	ds_store_2addr_b32 v17, v13, v9 offset0:16 offset1:24
	ds_store_2addr_b32 v17, v8, v7 offset0:32 offset1:40
	;; [unrolled: 1-line block ×5, first 2 shown]
.LBB124_56:
	s_or_b32 exec_lo, exec_lo, s0
	v_cmp_eq_u32_e32 vcc_lo, 0, v12
	s_mov_b32 s1, exec_lo
	s_waitcnt lgkmcnt(0)
	s_barrier
	buffer_gl0_inv
	v_cmpx_gt_u32_e32 64, v0
	s_cbranch_execz .LBB124_71
; %bb.57:
	s_and_saveexec_b32 s0, vcc_lo
	s_cbranch_execnz .LBB124_91
; %bb.58:
	s_or_b32 exec_lo, exec_lo, s0
	s_and_saveexec_b32 s0, vcc_lo
	s_cbranch_execnz .LBB124_92
.LBB124_59:
	s_or_b32 exec_lo, exec_lo, s0
	s_and_saveexec_b32 s0, vcc_lo
	s_cbranch_execnz .LBB124_93
.LBB124_60:
	s_or_b32 exec_lo, exec_lo, s0
	s_and_saveexec_b32 s0, vcc_lo
	s_cbranch_execnz .LBB124_94
.LBB124_61:
	s_or_b32 exec_lo, exec_lo, s0
	s_and_saveexec_b32 s0, vcc_lo
	s_cbranch_execnz .LBB124_95
.LBB124_62:
	s_or_b32 exec_lo, exec_lo, s0
	s_and_saveexec_b32 s0, vcc_lo
	s_cbranch_execnz .LBB124_96
.LBB124_63:
	s_or_b32 exec_lo, exec_lo, s0
	s_and_saveexec_b32 s0, vcc_lo
	s_cbranch_execnz .LBB124_97
.LBB124_64:
	s_or_b32 exec_lo, exec_lo, s0
	s_and_saveexec_b32 s0, vcc_lo
	s_cbranch_execnz .LBB124_98
.LBB124_65:
	s_or_b32 exec_lo, exec_lo, s0
	s_and_saveexec_b32 s0, vcc_lo
	s_cbranch_execnz .LBB124_99
.LBB124_66:
	s_or_b32 exec_lo, exec_lo, s0
	s_and_saveexec_b32 s0, vcc_lo
	s_cbranch_execnz .LBB124_100
.LBB124_67:
	s_or_b32 exec_lo, exec_lo, s0
	s_and_saveexec_b32 s0, vcc_lo
	s_cbranch_execnz .LBB124_101
.LBB124_68:
	s_or_b32 exec_lo, exec_lo, s0
	s_and_saveexec_b32 s0, vcc_lo
	s_cbranch_execz .LBB124_70
.LBB124_69:
	v_lshl_add_u32 v12, v11, 2, v10
	ds_load_b32 v12, v12 offset:352
	s_waitcnt lgkmcnt(0)
	v_add_f32_e32 v6, v6, v12
.LBB124_70:
	s_or_b32 exec_lo, exec_lo, s0
.LBB124_71:
	s_delay_alu instid0(SALU_CYCLE_1)
	s_or_b32 exec_lo, exec_lo, s1
	v_and_b32_e32 v12, 0x3e3, v0
	s_mov_b32 s1, exec_lo
	s_barrier
	buffer_gl0_inv
	v_cmpx_eq_u32_e32 32, v12
	s_cbranch_execz .LBB124_73
; %bb.72:
	v_add3_u32 v16, v10, v16, 0xfffffe80
	ds_store_2addr_b32 v16, v15, v14 offset1:8
	ds_store_2addr_b32 v16, v13, v9 offset0:16 offset1:24
	ds_store_2addr_b32 v16, v8, v7 offset0:32 offset1:40
	;; [unrolled: 1-line block ×5, first 2 shown]
.LBB124_73:
	s_or_b32 exec_lo, exec_lo, s1
	s_delay_alu instid0(SALU_CYCLE_1)
	s_mov_b32 s1, exec_lo
	s_waitcnt lgkmcnt(0)
	s_barrier
	buffer_gl0_inv
	v_cmpx_gt_u32_e32 32, v0
	s_cbranch_execz .LBB124_88
; %bb.74:
	v_lshl_add_u32 v10, v11, 2, v10
	s_and_saveexec_b32 s0, vcc_lo
	s_cbranch_execnz .LBB124_102
; %bb.75:
	s_or_b32 exec_lo, exec_lo, s0
	s_and_saveexec_b32 s0, vcc_lo
	s_cbranch_execnz .LBB124_103
.LBB124_76:
	s_or_b32 exec_lo, exec_lo, s0
	s_and_saveexec_b32 s0, vcc_lo
	s_cbranch_execnz .LBB124_104
.LBB124_77:
	s_or_b32 exec_lo, exec_lo, s0
	s_and_saveexec_b32 s0, vcc_lo
	s_cbranch_execnz .LBB124_105
.LBB124_78:
	s_or_b32 exec_lo, exec_lo, s0
	s_and_saveexec_b32 s0, vcc_lo
	s_cbranch_execnz .LBB124_106
.LBB124_79:
	s_or_b32 exec_lo, exec_lo, s0
	s_and_saveexec_b32 s0, vcc_lo
	s_cbranch_execnz .LBB124_107
.LBB124_80:
	s_or_b32 exec_lo, exec_lo, s0
	s_and_saveexec_b32 s0, vcc_lo
	s_cbranch_execnz .LBB124_108
.LBB124_81:
	s_or_b32 exec_lo, exec_lo, s0
	s_and_saveexec_b32 s0, vcc_lo
	s_cbranch_execnz .LBB124_109
.LBB124_82:
	s_or_b32 exec_lo, exec_lo, s0
	s_and_saveexec_b32 s0, vcc_lo
	s_cbranch_execnz .LBB124_110
.LBB124_83:
	s_or_b32 exec_lo, exec_lo, s0
	s_and_saveexec_b32 s0, vcc_lo
	s_cbranch_execnz .LBB124_111
.LBB124_84:
	s_or_b32 exec_lo, exec_lo, s0
	s_and_saveexec_b32 s0, vcc_lo
	s_cbranch_execnz .LBB124_112
.LBB124_85:
	s_or_b32 exec_lo, exec_lo, s0
	s_and_saveexec_b32 s0, vcc_lo
	s_cbranch_execz .LBB124_87
.LBB124_86:
	ds_load_b32 v10, v10 offset:352
	s_waitcnt lgkmcnt(0)
	v_add_f32_e32 v6, v6, v10
.LBB124_87:
	s_or_b32 exec_lo, exec_lo, s0
.LBB124_88:
	s_delay_alu instid0(SALU_CYCLE_1)
	s_or_b32 exec_lo, exec_lo, s1
	s_barrier
	buffer_gl0_inv
	s_mov_b32 s0, exec_lo
	v_cmpx_eq_u32_e32 0, v12
	s_cbranch_execz .LBB124_90
; %bb.89:
	s_mul_i32 s0, s14, 0x60
	s_mul_i32 s2, s4, s16
	s_ashr_i32 s1, s0, 31
	v_lshrrev_b32_e32 v0, 1, v0
	s_lshl_b64 s[0:1], s[0:1], 1
	;;#ASMSTART
	v_cvt_f16_f32 v10, v15;

	;;#ASMEND
	s_add_u32 s4, s18, s0
	s_addc_u32 s5, s19, s1
	s_ashr_i32 s3, s2, 31
	s_delay_alu instid0(SALU_CYCLE_1) | instskip(SKIP_4) | instid1(SALU_CYCLE_1)
	s_lshl_b64 s[0:1], s[2:3], 1
	s_mul_i32 s2, s12, 0x60
	s_add_u32 s4, s4, s0
	s_addc_u32 s5, s5, s1
	s_ashr_i32 s3, s2, 31
	s_lshl_b64 s[0:1], s[2:3], 1
	s_delay_alu instid0(SALU_CYCLE_1)
	s_add_u32 s0, s4, s0
	s_addc_u32 s1, s5, s1
	global_store_b16 v0, v10, s[0:1]
	;;#ASMSTART
	v_cvt_f16_f32 v10, v14;

	;;#ASMEND
	global_store_b16 v0, v10, s[0:1] offset:16
	;;#ASMSTART
	v_cvt_f16_f32 v10, v13;

	;;#ASMEND
	global_store_b16 v0, v10, s[0:1] offset:32
	;; [unrolled: 5-line block ×11, first 2 shown]
.LBB124_90:
	s_nop 0
	s_sendmsg sendmsg(MSG_DEALLOC_VGPRS)
	s_endpgm
.LBB124_91:
	v_lshl_add_u32 v12, v11, 2, v10
	ds_load_b32 v12, v12
	s_waitcnt lgkmcnt(0)
	v_add_f32_e32 v15, v15, v12
	s_or_b32 exec_lo, exec_lo, s0
	s_and_saveexec_b32 s0, vcc_lo
	s_cbranch_execz .LBB124_59
.LBB124_92:
	v_lshl_add_u32 v12, v11, 2, v10
	ds_load_b32 v12, v12 offset:32
	s_waitcnt lgkmcnt(0)
	v_add_f32_e32 v14, v14, v12
	s_or_b32 exec_lo, exec_lo, s0
	s_and_saveexec_b32 s0, vcc_lo
	s_cbranch_execz .LBB124_60
.LBB124_93:
	v_lshl_add_u32 v12, v11, 2, v10
	ds_load_b32 v12, v12 offset:64
	s_waitcnt lgkmcnt(0)
	v_add_f32_e32 v13, v13, v12
	s_or_b32 exec_lo, exec_lo, s0
	s_and_saveexec_b32 s0, vcc_lo
	s_cbranch_execz .LBB124_61
.LBB124_94:
	v_lshl_add_u32 v12, v11, 2, v10
	ds_load_b32 v12, v12 offset:96
	s_waitcnt lgkmcnt(0)
	v_add_f32_e32 v9, v9, v12
	s_or_b32 exec_lo, exec_lo, s0
	s_and_saveexec_b32 s0, vcc_lo
	s_cbranch_execz .LBB124_62
.LBB124_95:
	v_lshl_add_u32 v12, v11, 2, v10
	ds_load_b32 v12, v12 offset:128
	s_waitcnt lgkmcnt(0)
	v_add_f32_e32 v8, v8, v12
	s_or_b32 exec_lo, exec_lo, s0
	s_and_saveexec_b32 s0, vcc_lo
	s_cbranch_execz .LBB124_63
.LBB124_96:
	v_lshl_add_u32 v12, v11, 2, v10
	ds_load_b32 v12, v12 offset:160
	s_waitcnt lgkmcnt(0)
	v_add_f32_e32 v7, v7, v12
	s_or_b32 exec_lo, exec_lo, s0
	s_and_saveexec_b32 s0, vcc_lo
	s_cbranch_execz .LBB124_64
.LBB124_97:
	v_lshl_add_u32 v12, v11, 2, v10
	ds_load_b32 v12, v12 offset:192
	s_waitcnt lgkmcnt(0)
	v_add_f32_e32 v5, v5, v12
	s_or_b32 exec_lo, exec_lo, s0
	s_and_saveexec_b32 s0, vcc_lo
	s_cbranch_execz .LBB124_65
.LBB124_98:
	v_lshl_add_u32 v12, v11, 2, v10
	ds_load_b32 v12, v12 offset:224
	s_waitcnt lgkmcnt(0)
	v_add_f32_e32 v4, v4, v12
	s_or_b32 exec_lo, exec_lo, s0
	s_and_saveexec_b32 s0, vcc_lo
	s_cbranch_execz .LBB124_66
.LBB124_99:
	v_lshl_add_u32 v12, v11, 2, v10
	ds_load_b32 v12, v12 offset:256
	s_waitcnt lgkmcnt(0)
	v_add_f32_e32 v3, v3, v12
	s_or_b32 exec_lo, exec_lo, s0
	s_and_saveexec_b32 s0, vcc_lo
	s_cbranch_execz .LBB124_67
.LBB124_100:
	v_lshl_add_u32 v12, v11, 2, v10
	ds_load_b32 v12, v12 offset:288
	s_waitcnt lgkmcnt(0)
	v_add_f32_e32 v2, v2, v12
	s_or_b32 exec_lo, exec_lo, s0
	s_and_saveexec_b32 s0, vcc_lo
	s_cbranch_execz .LBB124_68
.LBB124_101:
	v_lshl_add_u32 v12, v11, 2, v10
	ds_load_b32 v12, v12 offset:320
	s_waitcnt lgkmcnt(0)
	v_add_f32_e32 v1, v1, v12
	s_or_b32 exec_lo, exec_lo, s0
	s_and_saveexec_b32 s0, vcc_lo
	s_cbranch_execnz .LBB124_69
	s_branch .LBB124_70
.LBB124_102:
	ds_load_b32 v11, v10
	s_waitcnt lgkmcnt(0)
	v_add_f32_e32 v15, v15, v11
	s_or_b32 exec_lo, exec_lo, s0
	s_and_saveexec_b32 s0, vcc_lo
	s_cbranch_execz .LBB124_76
.LBB124_103:
	ds_load_b32 v11, v10 offset:32
	s_waitcnt lgkmcnt(0)
	v_add_f32_e32 v14, v14, v11
	s_or_b32 exec_lo, exec_lo, s0
	s_and_saveexec_b32 s0, vcc_lo
	s_cbranch_execz .LBB124_77
.LBB124_104:
	ds_load_b32 v11, v10 offset:64
	s_waitcnt lgkmcnt(0)
	v_add_f32_e32 v13, v13, v11
	s_or_b32 exec_lo, exec_lo, s0
	s_and_saveexec_b32 s0, vcc_lo
	s_cbranch_execz .LBB124_78
.LBB124_105:
	ds_load_b32 v11, v10 offset:96
	s_waitcnt lgkmcnt(0)
	v_add_f32_e32 v9, v9, v11
	s_or_b32 exec_lo, exec_lo, s0
	s_and_saveexec_b32 s0, vcc_lo
	s_cbranch_execz .LBB124_79
.LBB124_106:
	ds_load_b32 v11, v10 offset:128
	s_waitcnt lgkmcnt(0)
	v_add_f32_e32 v8, v8, v11
	s_or_b32 exec_lo, exec_lo, s0
	s_and_saveexec_b32 s0, vcc_lo
	s_cbranch_execz .LBB124_80
.LBB124_107:
	ds_load_b32 v11, v10 offset:160
	s_waitcnt lgkmcnt(0)
	v_add_f32_e32 v7, v7, v11
	s_or_b32 exec_lo, exec_lo, s0
	s_and_saveexec_b32 s0, vcc_lo
	s_cbranch_execz .LBB124_81
.LBB124_108:
	ds_load_b32 v11, v10 offset:192
	s_waitcnt lgkmcnt(0)
	v_add_f32_e32 v5, v5, v11
	s_or_b32 exec_lo, exec_lo, s0
	s_and_saveexec_b32 s0, vcc_lo
	s_cbranch_execz .LBB124_82
.LBB124_109:
	ds_load_b32 v11, v10 offset:224
	s_waitcnt lgkmcnt(0)
	v_add_f32_e32 v4, v4, v11
	s_or_b32 exec_lo, exec_lo, s0
	s_and_saveexec_b32 s0, vcc_lo
	s_cbranch_execz .LBB124_83
.LBB124_110:
	ds_load_b32 v11, v10 offset:256
	s_waitcnt lgkmcnt(0)
	v_add_f32_e32 v3, v3, v11
	s_or_b32 exec_lo, exec_lo, s0
	s_and_saveexec_b32 s0, vcc_lo
	s_cbranch_execz .LBB124_84
.LBB124_111:
	ds_load_b32 v11, v10 offset:288
	s_waitcnt lgkmcnt(0)
	v_add_f32_e32 v2, v2, v11
	s_or_b32 exec_lo, exec_lo, s0
	s_and_saveexec_b32 s0, vcc_lo
	s_cbranch_execz .LBB124_85
.LBB124_112:
	ds_load_b32 v11, v10 offset:320
	s_waitcnt lgkmcnt(0)
	v_add_f32_e32 v1, v1, v11
	s_or_b32 exec_lo, exec_lo, s0
	s_and_saveexec_b32 s0, vcc_lo
	s_cbranch_execnz .LBB124_86
	s_branch .LBB124_87
	.section	.rodata,"a",@progbits
	.p2align	6, 0x0
	.amdhsa_kernel _ZN4vllm25paged_attention_v2_kernelIttLi96ELi32ELi128ELNS_18Fp8KVCacheDataTypeE0ELb0ELi512EEEvPfS2_PT_PKS3_PKT0_S9_ifPKiSB_iPKfiiiSD_SD_iiiii
		.amdhsa_group_segment_fixed_size 224
		.amdhsa_private_segment_fixed_size 0
		.amdhsa_kernarg_size 400
		.amdhsa_user_sgpr_count 13
		.amdhsa_user_sgpr_dispatch_ptr 0
		.amdhsa_user_sgpr_queue_ptr 0
		.amdhsa_user_sgpr_kernarg_segment_ptr 1
		.amdhsa_user_sgpr_dispatch_id 0
		.amdhsa_user_sgpr_private_segment_size 0
		.amdhsa_wavefront_size32 1
		.amdhsa_uses_dynamic_stack 0
		.amdhsa_enable_private_segment 0
		.amdhsa_system_sgpr_workgroup_id_x 1
		.amdhsa_system_sgpr_workgroup_id_y 1
		.amdhsa_system_sgpr_workgroup_id_z 1
		.amdhsa_system_sgpr_workgroup_info 0
		.amdhsa_system_vgpr_workitem_id 0
		.amdhsa_next_free_vgpr 134
		.amdhsa_next_free_sgpr 38
		.amdhsa_reserve_vcc 1
		.amdhsa_float_round_mode_32 0
		.amdhsa_float_round_mode_16_64 0
		.amdhsa_float_denorm_mode_32 3
		.amdhsa_float_denorm_mode_16_64 3
		.amdhsa_dx10_clamp 1
		.amdhsa_ieee_mode 1
		.amdhsa_fp16_overflow 0
		.amdhsa_workgroup_processor_mode 1
		.amdhsa_memory_ordered 1
		.amdhsa_forward_progress 0
		.amdhsa_shared_vgpr_count 0
		.amdhsa_exception_fp_ieee_invalid_op 0
		.amdhsa_exception_fp_denorm_src 0
		.amdhsa_exception_fp_ieee_div_zero 0
		.amdhsa_exception_fp_ieee_overflow 0
		.amdhsa_exception_fp_ieee_underflow 0
		.amdhsa_exception_fp_ieee_inexact 0
		.amdhsa_exception_int_div_zero 0
	.end_amdhsa_kernel
	.section	.text._ZN4vllm25paged_attention_v2_kernelIttLi96ELi32ELi128ELNS_18Fp8KVCacheDataTypeE0ELb0ELi512EEEvPfS2_PT_PKS3_PKT0_S9_ifPKiSB_iPKfiiiSD_SD_iiiii,"axG",@progbits,_ZN4vllm25paged_attention_v2_kernelIttLi96ELi32ELi128ELNS_18Fp8KVCacheDataTypeE0ELb0ELi512EEEvPfS2_PT_PKS3_PKT0_S9_ifPKiSB_iPKfiiiSD_SD_iiiii,comdat
.Lfunc_end124:
	.size	_ZN4vllm25paged_attention_v2_kernelIttLi96ELi32ELi128ELNS_18Fp8KVCacheDataTypeE0ELb0ELi512EEEvPfS2_PT_PKS3_PKT0_S9_ifPKiSB_iPKfiiiSD_SD_iiiii, .Lfunc_end124-_ZN4vllm25paged_attention_v2_kernelIttLi96ELi32ELi128ELNS_18Fp8KVCacheDataTypeE0ELb0ELi512EEEvPfS2_PT_PKS3_PKT0_S9_ifPKiSB_iPKfiiiSD_SD_iiiii
                                        ; -- End function
	.section	.AMDGPU.csdata,"",@progbits
; Kernel info:
; codeLenInByte = 16008
; NumSgprs: 40
; NumVgprs: 134
; ScratchSize: 0
; MemoryBound: 0
; FloatMode: 240
; IeeeMode: 1
; LDSByteSize: 224 bytes/workgroup (compile time only)
; SGPRBlocks: 4
; VGPRBlocks: 16
; NumSGPRsForWavesPerEU: 40
; NumVGPRsForWavesPerEU: 134
; Occupancy: 10
; WaveLimiterHint : 1
; COMPUTE_PGM_RSRC2:SCRATCH_EN: 0
; COMPUTE_PGM_RSRC2:USER_SGPR: 13
; COMPUTE_PGM_RSRC2:TRAP_HANDLER: 0
; COMPUTE_PGM_RSRC2:TGID_X_EN: 1
; COMPUTE_PGM_RSRC2:TGID_Y_EN: 1
; COMPUTE_PGM_RSRC2:TGID_Z_EN: 1
; COMPUTE_PGM_RSRC2:TIDIG_COMP_CNT: 0
	.section	.text._ZN4vllm25paged_attention_v2_kernelIttLi112ELi32ELi128ELNS_18Fp8KVCacheDataTypeE0ELb0ELi512EEEvPfS2_PT_PKS3_PKT0_S9_ifPKiSB_iPKfiiiSD_SD_iiiii,"axG",@progbits,_ZN4vllm25paged_attention_v2_kernelIttLi112ELi32ELi128ELNS_18Fp8KVCacheDataTypeE0ELb0ELi512EEEvPfS2_PT_PKS3_PKT0_S9_ifPKiSB_iPKfiiiSD_SD_iiiii,comdat
	.protected	_ZN4vllm25paged_attention_v2_kernelIttLi112ELi32ELi128ELNS_18Fp8KVCacheDataTypeE0ELb0ELi512EEEvPfS2_PT_PKS3_PKT0_S9_ifPKiSB_iPKfiiiSD_SD_iiiii ; -- Begin function _ZN4vllm25paged_attention_v2_kernelIttLi112ELi32ELi128ELNS_18Fp8KVCacheDataTypeE0ELb0ELi512EEEvPfS2_PT_PKS3_PKT0_S9_ifPKiSB_iPKfiiiSD_SD_iiiii
	.globl	_ZN4vllm25paged_attention_v2_kernelIttLi112ELi32ELi128ELNS_18Fp8KVCacheDataTypeE0ELb0ELi512EEEvPfS2_PT_PKS3_PKT0_S9_ifPKiSB_iPKfiiiSD_SD_iiiii
	.p2align	8
	.type	_ZN4vllm25paged_attention_v2_kernelIttLi112ELi32ELi128ELNS_18Fp8KVCacheDataTypeE0ELb0ELi512EEEvPfS2_PT_PKS3_PKT0_S9_ifPKiSB_iPKfiiiSD_SD_iiiii,@function
_ZN4vllm25paged_attention_v2_kernelIttLi112ELi32ELi128ELNS_18Fp8KVCacheDataTypeE0ELb0ELi512EEEvPfS2_PT_PKS3_PKT0_S9_ifPKiSB_iPKfiiiSD_SD_iiiii: ; @_ZN4vllm25paged_attention_v2_kernelIttLi112ELi32ELi128ELNS_18Fp8KVCacheDataTypeE0ELb0ELi512EEEvPfS2_PT_PKS3_PKT0_S9_ifPKiSB_iPKfiiiSD_SD_iiiii
; %bb.0:
	s_load_b64 s[2:3], s[0:1], 0x40
	s_mov_b32 s12, s15
	s_ashr_i32 s15, s14, 31
	s_delay_alu instid0(SALU_CYCLE_1)
	s_lshl_b64 s[4:5], s[14:15], 2
	s_waitcnt lgkmcnt(0)
	s_add_u32 s2, s2, s4
	s_addc_u32 s3, s3, s5
	s_lshl_b32 s29, s12, 9
	s_load_b32 s28, s[2:3], 0x0
	s_waitcnt lgkmcnt(0)
	s_cmp_ge_i32 s29, s28
	s_cbranch_scc1 .LBB125_98
; %bb.1:
	s_mov_b32 s22, s13
	s_clause 0x1
	s_load_b32 s13, s[0:1], 0x90
	s_load_b64 s[2:3], s[0:1], 0x30
	s_mov_b32 s30, 0
	s_waitcnt lgkmcnt(0)
	s_abs_i32 s7, s13
	s_abs_i32 s4, s2
	s_xor_b32 s2, s13, s2
	v_cvt_f32_u32_e32 v1, s4
	s_sub_i32 s6, 0, s4
	s_ashr_i32 s2, s2, 31
	s_delay_alu instid0(VALU_DEP_1) | instskip(SKIP_2) | instid1(VALU_DEP_1)
	v_rcp_iflag_f32_e32 v1, v1
	s_waitcnt_depctr 0xfff
	v_mul_f32_e32 v1, 0x4f7ffffe, v1
	v_cvt_u32_f32_e32 v1, v1
	s_delay_alu instid0(VALU_DEP_1) | instskip(NEXT) | instid1(VALU_DEP_1)
	v_readfirstlane_b32 s5, v1
	s_mul_i32 s6, s6, s5
	s_delay_alu instid0(SALU_CYCLE_1) | instskip(NEXT) | instid1(SALU_CYCLE_1)
	s_mul_hi_u32 s6, s5, s6
	s_add_i32 s5, s5, s6
	s_delay_alu instid0(SALU_CYCLE_1) | instskip(NEXT) | instid1(SALU_CYCLE_1)
	s_mul_hi_u32 s5, s7, s5
	s_mul_i32 s6, s5, s4
	s_delay_alu instid0(SALU_CYCLE_1)
	s_sub_i32 s6, s7, s6
	s_add_i32 s7, s5, 1
	s_sub_i32 s8, s6, s4
	s_cmp_ge_u32 s6, s4
	s_cselect_b32 s5, s7, s5
	s_cselect_b32 s6, s8, s6
	s_add_i32 s7, s5, 1
	s_cmp_ge_u32 s6, s4
	s_cselect_b32 s4, s7, s5
	s_abs_i32 s27, s22
	s_xor_b32 s4, s4, s2
	s_delay_alu instid0(SALU_CYCLE_1) | instskip(SKIP_2) | instid1(SALU_CYCLE_1)
	s_sub_i32 s8, s4, s2
	s_load_b64 s[4:5], s[0:1], 0x50
	s_abs_i32 s2, s8
	v_cvt_f32_u32_e32 v1, s2
	s_sub_i32 s7, 0, s2
	s_delay_alu instid0(VALU_DEP_1) | instskip(SKIP_2) | instid1(VALU_DEP_1)
	v_rcp_iflag_f32_e32 v1, v1
	s_waitcnt_depctr 0xfff
	v_mul_f32_e32 v1, 0x4f7ffffe, v1
	v_cvt_u32_f32_e32 v1, v1
	s_delay_alu instid0(VALU_DEP_1) | instskip(NEXT) | instid1(VALU_DEP_1)
	v_readfirstlane_b32 s6, v1
	s_mul_i32 s7, s7, s6
	s_delay_alu instid0(SALU_CYCLE_1) | instskip(NEXT) | instid1(SALU_CYCLE_1)
	s_mul_hi_u32 s7, s6, s7
	s_add_i32 s6, s6, s7
	s_waitcnt lgkmcnt(0)
	s_cmp_eq_u64 s[4:5], 0
	s_mul_hi_u32 s26, s27, s6
	s_cbranch_scc1 .LBB125_3
; %bb.2:
	s_ashr_i32 s23, s22, 31
	s_delay_alu instid0(SALU_CYCLE_1) | instskip(NEXT) | instid1(SALU_CYCLE_1)
	s_lshl_b64 s[6:7], s[22:23], 2
	s_add_u32 s4, s4, s6
	s_addc_u32 s5, s5, s7
	s_load_b32 s30, s[4:5], 0x0
.LBB125_3:
	s_clause 0x1
	s_load_b64 s[20:21], s[0:1], 0x38
	s_load_b128 s[4:7], s[0:1], 0x58
	s_waitcnt lgkmcnt(0)
	s_ashr_i32 s7, s22, 31
	s_ashr_i32 s31, s8, 31
	s_mul_i32 s16, s22, 0x70
	s_mov_b32 s8, exec_lo
	v_cmpx_gt_u32_e32 14, v0
	s_cbranch_execz .LBB125_5
; %bb.4:
	s_load_b64 s[10:11], s[0:1], 0x18
	s_mul_i32 s18, s14, s4
	v_lshlrev_b32_e32 v5, 4, v0
	s_ashr_i32 s19, s18, 31
	s_delay_alu instid0(SALU_CYCLE_1) | instskip(SKIP_4) | instid1(SALU_CYCLE_1)
	s_lshl_b64 s[18:19], s[18:19], 1
	s_waitcnt lgkmcnt(0)
	s_add_u32 s4, s10, s18
	s_addc_u32 s9, s11, s19
	s_ashr_i32 s17, s16, 31
	s_lshl_b64 s[10:11], s[16:17], 1
	s_delay_alu instid0(SALU_CYCLE_1)
	s_add_u32 s10, s4, s10
	s_addc_u32 s11, s9, s11
	global_load_b128 v[1:4], v5, s[10:11]
	s_waitcnt vmcnt(0)
	ds_store_b128 v5, v[1:4]
.LBB125_5:
	s_or_b32 exec_lo, exec_lo, s8
	s_add_i32 s4, s28, 31
	s_clause 0x1
	s_load_b128 s[8:11], s[0:1], 0x0
	s_load_b64 s[18:19], s[0:1], 0x10
	s_ashr_i32 s15, s4, 31
	s_mul_i32 s34, s26, s2
	s_lshr_b32 s17, s15, 27
	s_lshl_b32 s15, s12, 4
	s_add_i32 s4, s4, s17
	s_load_b64 s[24:25], s[0:1], 0x28
	s_ashr_i32 s23, s4, 5
	s_clause 0x1
	s_load_b32 s4, s[0:1], 0x98
	s_load_b32 s33, s[0:1], 0x48
	s_add_i32 s17, s15, 16
	s_sub_i32 s27, s27, s34
	s_min_i32 s17, s17, s23
	s_xor_b32 s7, s7, s31
	s_add_i32 s31, s26, 1
	s_sub_i32 s34, s27, s2
	s_cmp_ge_u32 s27, s2
	v_lshrrev_b32_e32 v10, 5, v0
	s_cselect_b32 s26, s31, s26
	s_cselect_b32 s27, s34, s27
	s_add_i32 s31, s26, 1
	s_cmp_ge_u32 s27, s2
	v_add_nc_u32_e32 v5, s15, v10
	v_and_b32_e32 v11, 31, v0
	s_cselect_b32 s2, s31, s26
	v_mov_b32_e32 v13, 0xff7fffff
	s_xor_b32 s2, s2, s7
	v_ashrrev_i32_e32 v6, 31, v5
	v_lshlrev_b32_e32 v12, 2, v11
	s_sub_i32 s7, s2, s7
	v_cmp_gt_i32_e64 s2, s17, v5
	v_lshlrev_b32_e32 v9, 5, v10
	s_waitcnt lgkmcnt(0)
	s_mul_i32 s26, s14, s33
	s_mul_i32 s6, s7, s6
	s_ashr_i32 s27, s26, 31
	s_barrier
	buffer_gl0_inv
	s_and_saveexec_b32 s31, s2
	s_cbranch_execz .LBB125_9
; %bb.6:
	s_load_b64 s[0:1], s[0:1], 0x20
	s_ashr_i32 s7, s6, 31
	v_lshlrev_b64 v[1:2], 2, v[5:6]
	s_lshl_b64 s[34:35], s[6:7], 1
	v_dual_mov_b32 v14, 0 :: v_dual_lshlrev_b32 v3, 4, v11
	v_lshl_or_b32 v4, v10, 7, v12
	v_cmp_neq_f32_e64 vcc_lo, s30, 0
	v_add3_u32 v15, s29, v9, v11
	v_mov_b32_e32 v13, 0xff7fffff
	s_delay_alu instid0(VALU_DEP_4)
	v_dual_mov_b32 v19, v5 :: v_dual_add_nc_u32 v16, 0x100, v4
	s_waitcnt lgkmcnt(0)
	s_add_u32 s33, s0, s34
	s_addc_u32 s34, s1, s35
	s_lshl_b64 s[0:1], s[26:27], 2
	s_sub_i32 s7, 1, s28
	s_add_u32 s0, s20, s0
	v_add_co_u32 v17, s33, s33, v3
	s_addc_u32 s1, s21, s1
	v_add_co_u32 v7, s0, s0, v1
	v_add_co_ci_u32_e64 v18, null, s34, 0, s33
	v_add_co_ci_u32_e64 v8, s0, s1, v2, s0
	s_mov_b32 s34, s5
	s_mov_b32 s33, 0
.LBB125_7:                              ; =>This Inner Loop Header: Depth=1
	global_load_b32 v20, v[7:8], off
	ds_load_b128 v[1:4], v14
	v_dual_max_f32 v21, v13, v13 :: v_dual_add_nc_u32 v22, s7, v15
	v_add_nc_u32_e32 v19, 4, v19
	s_delay_alu instid0(VALU_DEP_2) | instskip(NEXT) | instid1(VALU_DEP_2)
	v_cvt_f32_i32_e32 v22, v22
	v_cmp_le_i32_e64 s1, s17, v19
	s_delay_alu instid0(VALU_DEP_1)
	s_or_b32 s33, s1, s33
	s_waitcnt lgkmcnt(0)
	v_lshrrev_b32_e32 v75, 16, v1
	v_and_b32_e32 v76, 0xffff, v1
	v_lshrrev_b32_e32 v77, 16, v2
	v_and_b32_e32 v78, 0xffff, v2
	;; [unrolled: 2-line block ×4, first 2 shown]
	s_waitcnt vmcnt(0)
	v_mad_i64_i32 v[1:2], null, v20, s34, 0
	s_delay_alu instid0(VALU_DEP_1) | instskip(NEXT) | instid1(VALU_DEP_1)
	v_lshlrev_b64 v[1:2], 1, v[1:2]
	v_add_co_u32 v51, s0, v17, v1
	s_delay_alu instid0(VALU_DEP_1)
	v_add_co_ci_u32_e64 v52, s0, v18, v2, s0
	s_clause 0x7
	global_load_b128 v[1:4], v[51:52], off
	global_load_b128 v[23:26], v[51:52], off offset:512
	global_load_b128 v[27:30], v[51:52], off offset:1024
	;; [unrolled: 1-line block ×7, first 2 shown]
	v_add_co_u32 v71, s0, 0x1000, v51
	s_delay_alu instid0(VALU_DEP_1)
	v_add_co_ci_u32_e64 v72, s0, 0, v52, s0
	s_clause 0x5
	global_load_b128 v[51:54], v[71:72], off
	global_load_b128 v[55:58], v[71:72], off offset:512
	global_load_b128 v[59:62], v[71:72], off offset:1024
	;; [unrolled: 1-line block ×5, first 2 shown]
	v_mul_f32_e32 v22, s30, v22
	;;#ASMSTART
	v_cvt_f32_f16 v76, v76;
	;;#ASMEND
	;;#ASMSTART
	v_cvt_f32_f16 v75, v75;
	;;#ASMEND
	v_add_co_u32 v7, s0, v7, 16
	s_delay_alu instid0(VALU_DEP_1)
	v_add_co_ci_u32_e64 v8, s0, 0, v8, s0
	v_cmp_gt_i32_e64 s0, s28, v15
	v_add_nc_u32_e32 v15, 0x80, v15
	s_waitcnt vmcnt(13)
	v_lshrrev_b32_e32 v83, 16, v2
	v_lshrrev_b32_e32 v84, 16, v3
	;; [unrolled: 1-line block ×4, first 2 shown]
	v_and_b32_e32 v1, 0xffff, v1
	v_and_b32_e32 v3, 0xffff, v3
	s_waitcnt vmcnt(12)
	v_lshrrev_b32_e32 v92, 16, v26
	s_waitcnt vmcnt(11)
	v_lshrrev_b32_e32 v94, 16, v27
	v_lshrrev_b32_e32 v96, 16, v28
	;; [unrolled: 1-line block ×3, first 2 shown]
	s_waitcnt vmcnt(7)
	v_lshrrev_b32_e32 v126, 16, v43
	v_and_b32_e32 v127, 0xffff, v43
	v_lshrrev_b32_e32 v128, 16, v44
	v_and_b32_e32 v129, 0xffff, v44
	;; [unrolled: 2-line block ×4, first 2 shown]
	s_waitcnt vmcnt(2)
	v_lshrrev_b32_e32 v44, 16, v63
	v_and_b32_e32 v46, 0xffff, v63
	v_lshrrev_b32_e32 v43, 16, v64
	v_and_b32_e32 v45, 0xffff, v64
	;;#ASMSTART
	v_cvt_f32_f16 v63, v1;
	;;#ASMEND
	v_and_b32_e32 v2, 0xffff, v2
	;;#ASMSTART
	v_cvt_f32_f16 v64, v20;
	;;#ASMEND
	;; [unrolled: 4-line block ×3, first 2 shown]
	;;#ASMSTART
	v_cvt_f32_f16 v77, v77;
	;;#ASMEND
	;;#ASMSTART
	v_cvt_f32_f16 v154, v2;
	;;#ASMEND
	v_and_b32_e32 v95, 0xffff, v27
	;;#ASMSTART
	v_cvt_f32_f16 v83, v83;
	;;#ASMEND
	v_and_b32_e32 v4, 0xffff, v4
	;;#ASMSTART
	v_cvt_f32_f16 v80, v80;
	;;#ASMEND
	;;#ASMSTART
	v_cvt_f32_f16 v79, v79;
	;;#ASMEND
	;; [unrolled: 3-line block ×4, first 2 shown]
	v_and_b32_e32 v99, 0xffff, v29
	;;#ASMSTART
	v_cvt_f32_f16 v82, v82;
	;;#ASMEND
	;;#ASMSTART
	v_cvt_f32_f16 v81, v81;
	;;#ASMEND
	;; [unrolled: 3-line block ×4, first 2 shown]
	v_and_b32_e32 v97, 0xffff, v28
	ds_load_b128 v[26:29], v14 offset:16
	v_lshrrev_b32_e32 v86, 16, v23
	v_lshrrev_b32_e32 v102, 16, v31
	v_and_b32_e32 v103, 0xffff, v31
	v_lshrrev_b32_e32 v108, 16, v34
	v_and_b32_e32 v109, 0xffff, v34
	;; [unrolled: 2-line block ×4, first 2 shown]
	v_and_b32_e32 v87, 0xffff, v23
	v_lshrrev_b32_e32 v88, 16, v24
	v_and_b32_e32 v89, 0xffff, v24
	v_lshrrev_b32_e32 v90, 16, v25
	v_and_b32_e32 v91, 0xffff, v25
	v_lshrrev_b32_e32 v100, 16, v30
	v_and_b32_e32 v101, 0xffff, v30
	v_lshrrev_b32_e32 v104, 16, v32
	v_and_b32_e32 v105, 0xffff, v32
	v_lshrrev_b32_e32 v106, 16, v33
	s_waitcnt lgkmcnt(0)
	v_lshrrev_b32_e32 v31, 16, v26
	v_and_b32_e32 v26, 0xffff, v26
	v_lshrrev_b32_e32 v34, 16, v27
	v_and_b32_e32 v27, 0xffff, v27
	;; [unrolled: 2-line block ×9, first 2 shown]
	s_waitcnt vmcnt(1)
	v_lshrrev_b32_e32 v39, 16, v67
	v_and_b32_e32 v41, 0xffff, v67
	v_lshrrev_b32_e32 v36, 16, v68
	v_and_b32_e32 v40, 0xffff, v68
	;; [unrolled: 2-line block ×4, first 2 shown]
	s_waitcnt vmcnt(0)
	v_lshrrev_b32_e32 v23, 16, v71
	v_and_b32_e32 v25, 0xffff, v71
	v_lshrrev_b32_e32 v20, 16, v72
	v_and_b32_e32 v24, 0xffff, v72
	;; [unrolled: 2-line block ×4, first 2 shown]
	v_and_b32_e32 v29, 0xffff, v29
	;;#ASMSTART
	v_cvt_f32_f16 v26, v26;
	;;#ASMEND
	;;#ASMSTART
	v_cvt_f32_f16 v31, v31;
	;;#ASMEND
	;; [unrolled: 3-line block ×14, first 2 shown]
	v_mul_f32_e32 v38, v31, v68
	v_lshrrev_b32_e32 v134, 16, v47
	v_and_b32_e32 v135, 0xffff, v47
	v_lshrrev_b32_e32 v136, 16, v48
	v_and_b32_e32 v137, 0xffff, v48
	;; [unrolled: 2-line block ×3, first 2 shown]
	v_lshrrev_b32_e32 v140, 16, v50
	v_dual_fmac_f32 v38, v75, v64 :: v_dual_and_b32 v141, 0xffff, v50
	;;#ASMSTART
	v_cvt_f32_f16 v87, v93;
	;;#ASMEND
	;;#ASMSTART
	v_cvt_f32_f16 v88, v92;
	;;#ASMEND
	ds_load_b128 v[47:50], v14 offset:32
	v_dual_mul_f32 v35, v26, v67 :: v_dual_mul_f32 v34, v27, v34
	v_mul_f32_e32 v31, v69, v70
	v_dual_mul_f32 v29, v28, v72 :: v_dual_mul_f32 v28, v71, v73
	s_delay_alu instid0(VALU_DEP_3) | instskip(SKIP_1) | instid1(VALU_DEP_3)
	v_dual_mul_f32 v26, v86, v88 :: v_dual_fmac_f32 v35, v76, v63
	v_lshrrev_b32_e32 v143, 16, v52
	v_dual_fmac_f32 v29, v80, v155 :: v_dual_and_b32 v52, 0xffff, v52
	v_mul_f32_e32 v27, v74, v87
	v_dual_fmac_f32 v34, v78, v154 :: v_dual_fmac_f32 v31, v77, v83
	v_fmac_f32_e32 v28, v79, v84
	v_fmac_f32_e32 v26, v81, v85
	v_lshrrev_b32_e32 v145, 16, v54
	v_dual_fmac_f32 v27, v82, v156 :: v_dual_and_b32 v54, 0xffff, v54
	v_lshrrev_b32_e32 v151, 16, v60
	s_waitcnt lgkmcnt(0)
	v_lshrrev_b32_e32 v63, 16, v47
	v_and_b32_e32 v47, 0xffff, v47
	v_lshrrev_b32_e32 v64, 16, v48
	v_and_b32_e32 v48, 0xffff, v48
	;; [unrolled: 2-line block ×4, first 2 shown]
	;;#ASMSTART
	v_cvt_f32_f16 v69, v47;
	;;#ASMEND
	;;#ASMSTART
	v_cvt_f32_f16 v63, v63;
	;;#ASMEND
	;; [unrolled: 3-line block ×14, first 2 shown]
	v_fmac_f32_e32 v38, v63, v71
	;;#ASMSTART
	v_cvt_f32_f16 v79, v101;
	;;#ASMEND
	;;#ASMSTART
	v_cvt_f32_f16 v80, v100;
	;;#ASMEND
	ds_load_b128 v[47:50], v14 offset:48
	v_dual_fmac_f32 v31, v64, v74 :: v_dual_and_b32 v60, 0xffff, v60
	v_fmac_f32_e32 v28, v67, v77
	v_fmac_f32_e32 v26, v68, v80
	v_lshrrev_b32_e32 v147, 16, v56
	v_dual_fmac_f32 v35, v69, v70 :: v_dual_and_b32 v56, 0xffff, v56
	v_lshrrev_b32_e32 v149, 16, v58
	v_dual_fmac_f32 v29, v75, v76 :: v_dual_and_b32 v58, 0xffff, v58
	;; [unrolled: 2-line block ×3, first 2 shown]
	v_fmac_f32_e32 v34, v72, v73
	v_lshrrev_b32_e32 v157, 16, v66
	v_lshrrev_b32_e32 v124, 16, v42
	;; [unrolled: 1-line block ×5, first 2 shown]
	s_waitcnt lgkmcnt(0)
	v_lshrrev_b32_e32 v63, 16, v47
	v_and_b32_e32 v47, 0xffff, v47
	v_lshrrev_b32_e32 v64, 16, v48
	v_and_b32_e32 v48, 0xffff, v48
	;; [unrolled: 2-line block ×4, first 2 shown]
	;;#ASMSTART
	v_cvt_f32_f16 v69, v47;
	;;#ASMEND
	;;#ASMSTART
	v_cvt_f32_f16 v63, v63;
	;;#ASMEND
	;; [unrolled: 3-line block ×14, first 2 shown]
	v_fmac_f32_e32 v38, v63, v71
	;;#ASMSTART
	v_cvt_f32_f16 v79, v109;
	;;#ASMEND
	;;#ASMSTART
	v_cvt_f32_f16 v80, v108;
	;;#ASMEND
	ds_load_b128 v[47:50], v14 offset:64
	v_dual_fmac_f32 v31, v64, v74 :: v_dual_fmac_f32 v28, v67, v77
	v_fmac_f32_e32 v26, v68, v80
	v_dual_fmac_f32 v29, v75, v76 :: v_dual_and_b32 v66, 0xffff, v66
	v_dual_fmac_f32 v35, v69, v70 :: v_dual_fmac_f32 v34, v72, v73
	v_fmac_f32_e32 v27, v78, v79
	v_lshrrev_b32_e32 v148, 16, v57
	v_lshrrev_b32_e32 v150, 16, v59
	;; [unrolled: 1-line block ×3, first 2 shown]
	s_waitcnt lgkmcnt(0)
	v_lshrrev_b32_e32 v63, 16, v47
	v_and_b32_e32 v47, 0xffff, v47
	v_lshrrev_b32_e32 v64, 16, v48
	v_and_b32_e32 v48, 0xffff, v48
	;; [unrolled: 2-line block ×4, first 2 shown]
	;;#ASMSTART
	v_cvt_f32_f16 v69, v47;
	;;#ASMEND
	;;#ASMSTART
	v_cvt_f32_f16 v63, v63;
	;;#ASMEND
	;; [unrolled: 3-line block ×14, first 2 shown]
	v_fmac_f32_e32 v38, v63, v71
	;;#ASMSTART
	v_cvt_f32_f16 v79, v117;
	;;#ASMEND
	;;#ASMSTART
	v_cvt_f32_f16 v80, v116;
	;;#ASMEND
	ds_load_b128 v[47:50], v14 offset:80
	v_dual_fmac_f32 v31, v64, v74 :: v_dual_fmac_f32 v28, v67, v77
	v_dual_fmac_f32 v26, v68, v80 :: v_dual_fmac_f32 v35, v69, v70
	;; [unrolled: 1-line block ×3, first 2 shown]
	v_fmac_f32_e32 v27, v78, v79
	s_waitcnt lgkmcnt(0)
	v_lshrrev_b32_e32 v63, 16, v47
	v_and_b32_e32 v47, 0xffff, v47
	v_lshrrev_b32_e32 v64, 16, v48
	v_and_b32_e32 v48, 0xffff, v48
	;; [unrolled: 2-line block ×4, first 2 shown]
	;;#ASMSTART
	v_cvt_f32_f16 v69, v47;
	;;#ASMEND
	;;#ASMSTART
	v_cvt_f32_f16 v63, v63;
	;;#ASMEND
	;; [unrolled: 3-line block ×4, first 2 shown]
	v_dual_fmac_f32 v38, v63, v71 :: v_dual_and_b32 v125, 0xffff, v42
	;;#ASMSTART
	v_cvt_f32_f16 v72, v48;
	;;#ASMEND
	;;#ASMSTART
	v_cvt_f32_f16 v64, v64;
	;;#ASMEND
	;; [unrolled: 3-line block ×12, first 2 shown]
	ds_load_b128 v[47:50], v14 offset:96
	v_fmac_f32_e32 v35, v69, v70
	v_fmac_f32_e32 v29, v75, v76
	v_dual_fmac_f32 v31, v64, v74 :: v_dual_fmac_f32 v28, v67, v77
	v_fmac_f32_e32 v34, v72, v73
	v_dual_fmac_f32 v26, v68, v80 :: v_dual_fmac_f32 v27, v78, v79
	v_lshrrev_b32_e32 v42, 16, v65
	s_waitcnt lgkmcnt(0)
	v_lshrrev_b32_e32 v63, 16, v47
	v_lshrrev_b32_e32 v64, 16, v48
	;; [unrolled: 1-line block ×3, first 2 shown]
	v_and_b32_e32 v47, 0xffff, v47
	v_and_b32_e32 v49, 0xffff, v49
	v_lshrrev_b32_e32 v68, 16, v50
	;;#ASMSTART
	v_cvt_f32_f16 v69, v47;
	;;#ASMEND
	;;#ASMSTART
	v_cvt_f32_f16 v63, v63;
	;;#ASMEND
	;; [unrolled: 3-line block ×4, first 2 shown]
	v_dual_fmac_f32 v35, v69, v70 :: v_dual_and_b32 v48, 0xffff, v48
	;;#ASMSTART
	v_cvt_f32_f16 v72, v48;
	;;#ASMEND
	;;#ASMSTART
	v_cvt_f32_f16 v64, v64;
	;;#ASMEND
	;;#ASMSTART
	v_cvt_f32_f16 v73, v129;
	;;#ASMEND
	;;#ASMSTART
	v_cvt_f32_f16 v74, v128;
	;;#ASMEND
	;;#ASMSTART
	v_cvt_f32_f16 v75, v49;
	;;#ASMEND
	;;#ASMSTART
	v_cvt_f32_f16 v67, v67;
	;;#ASMEND
	;;#ASMSTART
	v_cvt_f32_f16 v76, v131;
	;;#ASMEND
	v_dual_fmac_f32 v29, v75, v76 :: v_dual_and_b32 v50, 0xffff, v50
	;;#ASMSTART
	v_cvt_f32_f16 v77, v130;
	;;#ASMEND
	;;#ASMSTART
	v_cvt_f32_f16 v78, v50;
	;;#ASMEND
	;; [unrolled: 3-line block ×3, first 2 shown]
	v_fmac_f32_e32 v38, v63, v71
	;;#ASMSTART
	v_cvt_f32_f16 v79, v133;
	;;#ASMEND
	;;#ASMSTART
	v_cvt_f32_f16 v80, v132;
	;;#ASMEND
	ds_load_b128 v[47:50], v14 offset:112
	v_dual_fmac_f32 v31, v64, v74 :: v_dual_fmac_f32 v28, v67, v77
	v_dual_fmac_f32 v27, v78, v79 :: v_dual_fmac_f32 v26, v68, v80
	v_fmac_f32_e32 v34, v72, v73
	s_waitcnt lgkmcnt(0)
	v_lshrrev_b32_e32 v63, 16, v47
	v_and_b32_e32 v47, 0xffff, v47
	v_lshrrev_b32_e32 v64, 16, v48
	v_and_b32_e32 v48, 0xffff, v48
	;; [unrolled: 2-line block ×4, first 2 shown]
	;;#ASMSTART
	v_cvt_f32_f16 v69, v47;
	;;#ASMEND
	;;#ASMSTART
	v_cvt_f32_f16 v63, v63;
	;;#ASMEND
	;; [unrolled: 3-line block ×14, first 2 shown]
	v_fmac_f32_e32 v38, v63, v71
	;;#ASMSTART
	v_cvt_f32_f16 v79, v141;
	;;#ASMEND
	v_fmac_f32_e32 v27, v78, v79
	;;#ASMSTART
	v_cvt_f32_f16 v80, v140;
	;;#ASMEND
	ds_load_b128 v[47:50], v14 offset:128
	v_fmac_f32_e32 v35, v69, v70
	v_fmac_f32_e32 v31, v64, v74
	v_dual_fmac_f32 v34, v72, v73 :: v_dual_and_b32 v51, 0xffff, v51
	v_dual_fmac_f32 v26, v68, v80 :: v_dual_and_b32 v53, 0xffff, v53
	v_dual_fmac_f32 v28, v67, v77 :: v_dual_and_b32 v55, 0xffff, v55
	v_fmac_f32_e32 v29, v75, v76
	s_waitcnt lgkmcnt(0)
	v_lshrrev_b32_e32 v63, 16, v47
	v_lshrrev_b32_e32 v64, 16, v48
	v_and_b32_e32 v47, 0xffff, v47
	v_lshrrev_b32_e32 v67, 16, v49
	v_and_b32_e32 v49, 0xffff, v49
	v_lshrrev_b32_e32 v68, 16, v50
	;;#ASMSTART
	v_cvt_f32_f16 v69, v47;
	;;#ASMEND
	;;#ASMSTART
	v_cvt_f32_f16 v63, v63;
	;;#ASMEND
	;; [unrolled: 3-line block ×3, first 2 shown]
	v_dual_fmac_f32 v35, v69, v51 :: v_dual_and_b32 v48, 0xffff, v48
	;;#ASMSTART
	v_cvt_f32_f16 v70, v142;
	;;#ASMEND
	;;#ASMSTART
	v_cvt_f32_f16 v71, v48;
	;;#ASMEND
	;;#ASMSTART
	v_cvt_f32_f16 v64, v64;
	;;#ASMEND
	;;#ASMSTART
	v_cvt_f32_f16 v52, v52;
	;;#ASMEND
	;;#ASMSTART
	v_cvt_f32_f16 v72, v143;
	;;#ASMEND
	v_dual_fmac_f32 v31, v64, v72 :: v_dual_and_b32 v50, 0xffff, v50
	;;#ASMSTART
	v_cvt_f32_f16 v73, v49;
	;;#ASMEND
	;;#ASMSTART
	v_cvt_f32_f16 v67, v67;
	;;#ASMEND
	;; [unrolled: 3-line block ×8, first 2 shown]
	ds_load_b128 v[47:50], v14 offset:144
	v_dual_fmac_f32 v38, v63, v70 :: v_dual_and_b32 v57, 0xffff, v57
	v_dual_fmac_f32 v34, v71, v52 :: v_dual_and_b32 v59, 0xffff, v59
	v_fmac_f32_e32 v29, v73, v53
	v_fmac_f32_e32 v27, v75, v54
	v_dual_fmac_f32 v28, v67, v74 :: v_dual_and_b32 v61, 0xffff, v61
	v_dual_fmac_f32 v26, v68, v76 :: v_dual_and_b32 v65, 0xffff, v65
	s_waitcnt lgkmcnt(0)
	v_lshrrev_b32_e32 v51, 16, v47
	v_and_b32_e32 v47, 0xffff, v47
	v_lshrrev_b32_e32 v52, 16, v48
	v_and_b32_e32 v48, 0xffff, v48
	;; [unrolled: 2-line block ×3, first 2 shown]
	v_lshrrev_b32_e32 v54, 16, v50
	;;#ASMSTART
	v_cvt_f32_f16 v63, v47;
	;;#ASMEND
	;;#ASMSTART
	v_cvt_f32_f16 v51, v51;
	;;#ASMEND
	;;#ASMSTART
	v_cvt_f32_f16 v55, v55;
	;;#ASMEND
	v_dual_fmac_f32 v35, v63, v55 :: v_dual_and_b32 v50, 0xffff, v50
	;;#ASMSTART
	v_cvt_f32_f16 v64, v146;
	;;#ASMEND
	;;#ASMSTART
	v_cvt_f32_f16 v67, v48;
	;;#ASMEND
	;; [unrolled: 3-line block ×13, first 2 shown]
	ds_load_b128 v[47:50], v14 offset:160
	v_fmac_f32_e32 v38, v51, v64
	v_dual_fmac_f32 v31, v52, v68 :: v_dual_fmac_f32 v28, v53, v70
	v_fmac_f32_e32 v26, v54, v72
	v_dual_fmac_f32 v34, v67, v56 :: v_dual_fmac_f32 v29, v69, v57
	s_waitcnt lgkmcnt(0)
	v_lshrrev_b32_e32 v51, 16, v47
	v_and_b32_e32 v47, 0xffff, v47
	v_lshrrev_b32_e32 v52, 16, v48
	v_and_b32_e32 v48, 0xffff, v48
	;; [unrolled: 2-line block ×4, first 2 shown]
	v_fmac_f32_e32 v27, v71, v58
	;;#ASMSTART
	v_cvt_f32_f16 v55, v47;
	;;#ASMEND
	;;#ASMSTART
	v_cvt_f32_f16 v51, v51;
	;;#ASMEND
	;; [unrolled: 3-line block ×16, first 2 shown]
	ds_load_b128 v[47:50], v14 offset:176
	v_fmac_f32_e32 v35, v55, v56
	v_dual_fmac_f32 v38, v51, v57 :: v_dual_fmac_f32 v31, v52, v60
	v_fmac_f32_e32 v28, v53, v64
	v_fmac_f32_e32 v26, v54, v68
	;; [unrolled: 1-line block ×3, first 2 shown]
	s_waitcnt lgkmcnt(0)
	v_lshrrev_b32_e32 v51, 16, v47
	v_and_b32_e32 v47, 0xffff, v47
	v_lshrrev_b32_e32 v52, 16, v48
	v_and_b32_e32 v48, 0xffff, v48
	;; [unrolled: 2-line block ×3, first 2 shown]
	v_lshrrev_b32_e32 v54, 16, v50
	v_dual_fmac_f32 v29, v63, v61 :: v_dual_and_b32 v50, 0xffff, v50
	;;#ASMSTART
	v_cvt_f32_f16 v47, v47;
	;;#ASMEND
	;;#ASMSTART
	v_cvt_f32_f16 v51, v51;
	;;#ASMEND
	;; [unrolled: 3-line block ×16, first 2 shown]
	ds_load_b128 v[42:45], v14 offset:192
	v_dual_fmac_f32 v34, v48, v56 :: v_dual_fmac_f32 v35, v47, v46
	v_dual_fmac_f32 v29, v49, v58 :: v_dual_fmac_f32 v38, v51, v55
	v_fmac_f32_e32 v28, v53, v59
	v_fmac_f32_e32 v26, v54, v61
	s_waitcnt lgkmcnt(0)
	v_lshrrev_b32_e32 v48, 16, v44
	v_dual_fmac_f32 v27, v67, v62 :: v_dual_and_b32 v44, 0xffff, v44
	v_lshrrev_b32_e32 v46, 16, v42
	v_and_b32_e32 v42, 0xffff, v42
	v_lshrrev_b32_e32 v47, 16, v43
	v_and_b32_e32 v43, 0xffff, v43
	;; [unrolled: 2-line block ×3, first 2 shown]
	v_fmac_f32_e32 v31, v52, v57
	v_fmac_f32_e32 v27, v50, v60
	;;#ASMSTART
	v_cvt_f32_f16 v50, v42;
	;;#ASMEND
	;;#ASMSTART
	v_cvt_f32_f16 v46, v46;
	;;#ASMEND
	;;#ASMSTART
	v_cvt_f32_f16 v51, v41;
	;;#ASMEND
	;;#ASMSTART
	v_cvt_f32_f16 v52, v39;
	;;#ASMEND
	;;#ASMSTART
	v_cvt_f32_f16 v43, v43;
	;;#ASMEND
	;;#ASMSTART
	v_cvt_f32_f16 v47, v47;
	;;#ASMEND
	;;#ASMSTART
	v_cvt_f32_f16 v53, v40;
	;;#ASMEND
	;;#ASMSTART
	v_cvt_f32_f16 v36, v36;
	;;#ASMEND
	;;#ASMSTART
	v_cvt_f32_f16 v44, v44;
	;;#ASMEND
	;;#ASMSTART
	v_cvt_f32_f16 v48, v48;
	;;#ASMEND
	;;#ASMSTART
	v_cvt_f32_f16 v37, v37;
	;;#ASMEND
	;;#ASMSTART
	v_cvt_f32_f16 v32, v32;
	;;#ASMEND
	;;#ASMSTART
	v_cvt_f32_f16 v45, v45;
	;;#ASMEND
	;;#ASMSTART
	v_cvt_f32_f16 v49, v49;
	;;#ASMEND
	;;#ASMSTART
	v_cvt_f32_f16 v33, v33;
	;;#ASMEND
	;;#ASMSTART
	v_cvt_f32_f16 v30, v30;
	;;#ASMEND
	ds_load_b128 v[39:42], v14 offset:208
	v_fmac_f32_e32 v35, v50, v51
	v_fmac_f32_e32 v38, v46, v52
	;; [unrolled: 1-line block ×7, first 2 shown]
	s_waitcnt lgkmcnt(0)
	v_dual_fmac_f32 v29, v44, v37 :: v_dual_and_b32 v36, 0xffff, v40
	v_lshrrev_b32_e32 v30, 16, v39
	v_and_b32_e32 v32, 0xffff, v39
	;;#ASMSTART
	v_cvt_f32_f16 v32, v32;
	;;#ASMEND
	;;#ASMSTART
	v_cvt_f32_f16 v30, v30;
	;;#ASMEND
	;; [unrolled: 3-line block ×4, first 2 shown]
	v_dual_fmac_f32 v35, v32, v25 :: v_dual_fmac_f32 v38, v30, v23
	v_lshrrev_b32_e32 v33, 16, v40
	;;#ASMSTART
	v_cvt_f32_f16 v36, v36;
	;;#ASMEND
	;;#ASMSTART
	v_cvt_f32_f16 v33, v33;
	;;#ASMEND
	;; [unrolled: 3-line block ×3, first 2 shown]
	v_dual_fmac_f32 v34, v36, v24 :: v_dual_add_f32 v23, v35, v38
	;;#ASMSTART
	v_cvt_f32_f16 v20, v20;
	;;#ASMEND
	v_fmac_f32_e32 v31, v33, v20
	v_lshrrev_b32_e32 v37, 16, v41
	s_delay_alu instid0(VALU_DEP_3) | instskip(SKIP_3) | instid1(VALU_DEP_1)
	v_dual_add_f32 v20, v23, v34 :: v_dual_and_b32 v39, 0xffff, v41
	;;#ASMSTART
	v_cvt_f32_f16 v39, v39;
	;;#ASMEND
	;;#ASMSTART
	v_cvt_f32_f16 v37, v37;
	;;#ASMEND
	;; [unrolled: 3-line block ×3, first 2 shown]
	v_fmac_f32_e32 v29, v39, v4
	v_add_f32_e32 v4, v31, v20
	;;#ASMSTART
	v_cvt_f32_f16 v3, v3;
	;;#ASMEND
	v_fmac_f32_e32 v28, v37, v3
	v_lshrrev_b32_e32 v40, 16, v42
	v_and_b32_e32 v41, 0xffff, v42
	v_add_f32_e32 v3, v4, v29
	;;#ASMSTART
	v_cvt_f32_f16 v23, v41;
	;;#ASMEND
	;;#ASMSTART
	v_cvt_f32_f16 v20, v40;
	;;#ASMEND
	;; [unrolled: 3-line block ×3, first 2 shown]
	s_delay_alu instid0(VALU_DEP_1) | instskip(SKIP_1) | instid1(VALU_DEP_1)
	v_dual_fmac_f32 v27, v23, v2 :: v_dual_add_f32 v2, v28, v3
	;;#ASMSTART
	v_cvt_f32_f16 v1, v1;
	;;#ASMEND
	v_dual_fmac_f32 v26, v20, v1 :: v_dual_add_f32 v1, v2, v27
	s_delay_alu instid0(VALU_DEP_1) | instskip(NEXT) | instid1(VALU_DEP_1)
	v_dual_cndmask_b32 v2, 0, v22 :: v_dual_add_f32 v1, v26, v1
	v_fmac_f32_e32 v2, s3, v1
	s_delay_alu instid0(VALU_DEP_1)
	v_cndmask_b32_e64 v1, 0, v2, s0
	v_max_f32_e32 v2, v21, v2
	ds_store_b32 v16, v1
	v_cndmask_b32_e64 v13, v13, v2, s0
	v_add_nc_u32_e32 v16, 0x200, v16
	s_and_not1_b32 exec_lo, exec_lo, s33
	s_cbranch_execnz .LBB125_7
; %bb.8:
	s_or_b32 exec_lo, exec_lo, s33
.LBB125_9:
	s_delay_alu instid0(SALU_CYCLE_1) | instskip(SKIP_2) | instid1(VALU_DEP_2)
	s_or_b32 exec_lo, exec_lo, s31
	v_mbcnt_lo_u32_b32 v1, -1, 0
	v_max_f32_e32 v7, v13, v13
	v_xor_b32_e32 v2, 16, v1
	v_xor_b32_e32 v4, 8, v1
	s_delay_alu instid0(VALU_DEP_2) | instskip(SKIP_1) | instid1(VALU_DEP_3)
	v_cmp_gt_i32_e32 vcc_lo, 32, v2
	v_cndmask_b32_e32 v2, v1, v2, vcc_lo
	v_cmp_gt_i32_e32 vcc_lo, 32, v4
	s_delay_alu instid0(VALU_DEP_2) | instskip(SKIP_4) | instid1(VALU_DEP_1)
	v_lshlrev_b32_e32 v2, 2, v2
	v_cndmask_b32_e32 v4, v1, v4, vcc_lo
	ds_bpermute_b32 v3, v2, v13
	s_waitcnt lgkmcnt(0)
	v_dual_max_f32 v8, v3, v3 :: v_dual_lshlrev_b32 v3, 2, v4
	v_max_f32_e32 v4, v7, v8
	v_xor_b32_e32 v8, 4, v1
	ds_bpermute_b32 v7, v3, v4
	v_cmp_gt_i32_e32 vcc_lo, 32, v8
	s_waitcnt lgkmcnt(0)
	v_dual_cndmask_b32 v8, v1, v8 :: v_dual_max_f32 v13, v7, v7
	s_delay_alu instid0(VALU_DEP_1) | instskip(SKIP_1) | instid1(VALU_DEP_1)
	v_max_f32_e32 v4, v4, v13
	v_xor_b32_e32 v13, 2, v1
	v_cmp_gt_i32_e32 vcc_lo, 32, v13
	v_cndmask_b32_e32 v13, v1, v13, vcc_lo
	s_delay_alu instid0(VALU_DEP_1) | instskip(SKIP_1) | instid1(VALU_DEP_1)
	v_lshlrev_b32_e32 v14, 2, v13
	v_xor_b32_e32 v13, 1, v1
	v_cmp_gt_i32_e32 vcc_lo, 32, v13
	v_cndmask_b32_e32 v13, v1, v13, vcc_lo
	v_cmp_eq_u32_e32 vcc_lo, 0, v11
	s_delay_alu instid0(VALU_DEP_2) | instskip(SKIP_4) | instid1(VALU_DEP_1)
	v_lshlrev_b32_e32 v13, 2, v13
	v_lshlrev_b32_e32 v7, 2, v8
	ds_bpermute_b32 v8, v7, v4
	s_waitcnt lgkmcnt(0)
	v_max_f32_e32 v8, v8, v8
	v_max_f32_e32 v4, v4, v8
	ds_bpermute_b32 v8, v14, v4
	s_waitcnt lgkmcnt(0)
	v_max_f32_e32 v8, v8, v8
	s_delay_alu instid0(VALU_DEP_1)
	v_dual_max_f32 v1, v4, v8 :: v_dual_lshlrev_b32 v8, 2, v10
	ds_bpermute_b32 v4, v13, v1
	s_and_saveexec_b32 s0, vcc_lo
	s_cbranch_execz .LBB125_11
; %bb.10:
	s_waitcnt lgkmcnt(0)
	v_dual_max_f32 v4, v4, v4 :: v_dual_max_f32 v1, v1, v1
	s_delay_alu instid0(VALU_DEP_1)
	v_max_f32_e32 v1, v1, v4
	ds_store_b32 v8, v1 offset:224
.LBB125_11:
	s_or_b32 exec_lo, exec_lo, s0
	v_cmp_gt_u32_e64 s0, 4, v11
	v_mov_b32_e32 v1, 0xff7fffff
	s_waitcnt lgkmcnt(0)
	s_barrier
	buffer_gl0_inv
	s_and_saveexec_b32 s1, s0
	s_cbranch_execz .LBB125_13
; %bb.12:
	ds_load_b32 v1, v12 offset:224
.LBB125_13:
	s_or_b32 exec_lo, exec_lo, s1
	s_waitcnt lgkmcnt(0)
	ds_bpermute_b32 v4, v14, v1
	v_max_f32_e32 v1, v1, v1
	s_sub_i32 s1, s17, s15
	v_mov_b32_e32 v15, 0
	s_lshl_b32 s1, s1, 5
	s_delay_alu instid0(SALU_CYCLE_1) | instskip(NEXT) | instid1(SALU_CYCLE_1)
	s_add_i32 s1, s1, s29
	s_min_i32 s1, s1, s28
	s_delay_alu instid0(SALU_CYCLE_1) | instskip(NEXT) | instid1(SALU_CYCLE_1)
	s_sub_i32 s7, s1, s29
	v_cmp_gt_i32_e64 s1, s7, v0
	s_waitcnt lgkmcnt(0)
	v_max_f32_e32 v4, v4, v4
	s_delay_alu instid0(VALU_DEP_1) | instskip(SKIP_3) | instid1(VALU_DEP_1)
	v_max_f32_e32 v1, v1, v4
	ds_bpermute_b32 v4, v13, v1
	s_waitcnt lgkmcnt(0)
	v_max_f32_e32 v4, v4, v4
	v_max_f32_e32 v1, v1, v4
	v_lshl_add_u32 v4, v0, 2, 0x100
	ds_bpermute_b32 v1, v15, v1
	s_and_saveexec_b32 s15, s1
	s_cbranch_execz .LBB125_17
; %bb.14:
	v_lshl_add_u32 v16, v0, 2, 0x100
	v_mov_b32_e32 v15, 0
	v_mov_b32_e32 v17, v0
	s_mov_b32 s30, 0
	.p2align	6
.LBB125_15:                             ; =>This Inner Loop Header: Depth=1
	ds_load_b32 v18, v16
	v_add_nc_u32_e32 v17, 0x80, v17
	s_delay_alu instid0(VALU_DEP_1) | instskip(NEXT) | instid1(VALU_DEP_1)
	v_cmp_le_i32_e64 s3, s7, v17
	s_or_b32 s30, s3, s30
	s_waitcnt lgkmcnt(0)
	v_sub_f32_e32 v18, v18, v1
	s_delay_alu instid0(VALU_DEP_1) | instskip(NEXT) | instid1(VALU_DEP_1)
	v_mul_f32_e32 v18, 0x3fb8aa3b, v18
	v_exp_f32_e32 v18, v18
	ds_store_b32 v16, v18
	v_dual_add_f32 v15, v15, v18 :: v_dual_add_nc_u32 v16, 0x200, v16
	s_and_not1_b32 exec_lo, exec_lo, s30
	s_cbranch_execnz .LBB125_15
; %bb.16:
	s_or_b32 exec_lo, exec_lo, s30
.LBB125_17:
	s_delay_alu instid0(SALU_CYCLE_1)
	s_or_b32 exec_lo, exec_lo, s15
	ds_bpermute_b32 v2, v2, v15
	s_waitcnt lgkmcnt(0)
	v_add_f32_e32 v2, v15, v2
	ds_bpermute_b32 v3, v3, v2
	s_waitcnt lgkmcnt(0)
	v_add_f32_e32 v2, v2, v3
	;; [unrolled: 3-line block ×5, first 2 shown]
	s_and_saveexec_b32 s3, vcc_lo
	s_cbranch_execz .LBB125_19
; %bb.18:
	ds_store_b32 v8, v2 offset:240
.LBB125_19:
	s_or_b32 exec_lo, exec_lo, s3
	s_waitcnt lgkmcnt(0)
	s_barrier
	buffer_gl0_inv
	s_and_saveexec_b32 s3, s0
	s_cbranch_execz .LBB125_21
; %bb.20:
	ds_load_b32 v2, v12 offset:240
.LBB125_21:
	s_or_b32 exec_lo, exec_lo, s3
	s_waitcnt lgkmcnt(0)
	ds_bpermute_b32 v3, v14, v2
	s_waitcnt lgkmcnt(0)
	v_add_f32_e32 v2, v2, v3
	ds_bpermute_b32 v3, v13, v2
	s_waitcnt lgkmcnt(0)
	v_dual_add_f32 v2, v2, v3 :: v_dual_mov_b32 v3, 0
	ds_bpermute_b32 v2, v3, v2
	s_and_saveexec_b32 s0, s1
	s_cbranch_execz .LBB125_24
; %bb.22:
	s_waitcnt lgkmcnt(0)
	v_add_f32_e32 v3, 0x358637bd, v2
	s_mov_b32 s1, 0
	s_delay_alu instid0(VALU_DEP_1) | instskip(NEXT) | instid1(VALU_DEP_1)
	v_div_scale_f32 v7, null, v3, v3, 1.0
	v_rcp_f32_e32 v8, v7
	s_waitcnt_depctr 0xfff
	v_fma_f32 v12, -v7, v8, 1.0
	s_delay_alu instid0(VALU_DEP_1) | instskip(SKIP_1) | instid1(VALU_DEP_1)
	v_fmac_f32_e32 v8, v12, v8
	v_div_scale_f32 v15, vcc_lo, 1.0, v3, 1.0
	v_mul_f32_e32 v12, v15, v8
	s_delay_alu instid0(VALU_DEP_1) | instskip(NEXT) | instid1(VALU_DEP_1)
	v_fma_f32 v16, -v7, v12, v15
	v_fmac_f32_e32 v12, v16, v8
	s_delay_alu instid0(VALU_DEP_1) | instskip(NEXT) | instid1(VALU_DEP_1)
	v_fma_f32 v7, -v7, v12, v15
	v_div_fmas_f32 v7, v7, v8, v12
	s_delay_alu instid0(VALU_DEP_1)
	v_div_fixup_f32 v3, v7, v3, 1.0
	v_mov_b32_e32 v7, v0
.LBB125_23:                             ; =>This Inner Loop Header: Depth=1
	ds_load_b32 v8, v4
	s_waitcnt lgkmcnt(0)
	v_dual_mul_f32 v8, v3, v8 :: v_dual_add_nc_u32 v7, 0x80, v7
	s_delay_alu instid0(VALU_DEP_1) | instskip(SKIP_3) | instid1(SALU_CYCLE_1)
	v_cmp_le_i32_e32 vcc_lo, s7, v7
	ds_store_b32 v4, v8
	v_add_nc_u32_e32 v4, 0x200, v4
	s_or_b32 s1, vcc_lo, s1
	s_and_not1_b32 exec_lo, exec_lo, s1
	s_cbranch_execnz .LBB125_23
.LBB125_24:
	s_or_b32 exec_lo, exec_lo, s0
	s_mul_i32 s0, s4, s14
	s_waitcnt lgkmcnt(0)
	s_mul_i32 s14, s0, s13
	s_mov_b32 s0, exec_lo
	s_barrier
	buffer_gl0_inv
	v_cmpx_eq_u32_e32 0, v0
	s_cbranch_execz .LBB125_26
; %bb.25:
	s_ashr_i32 s15, s14, 31
	s_mul_i32 s34, s4, s22
	s_lshl_b64 s[30:31], s[14:15], 2
	v_mov_b32_e32 v3, 0
	s_add_u32 s1, s10, s30
	s_addc_u32 s3, s11, s31
	s_ashr_i32 s35, s34, 31
	s_delay_alu instid0(SALU_CYCLE_1) | instskip(NEXT) | instid1(SALU_CYCLE_1)
	s_lshl_b64 s[10:11], s[34:35], 2
	s_add_u32 s1, s1, s10
	s_addc_u32 s3, s3, s11
	s_ashr_i32 s13, s12, 31
	s_delay_alu instid0(SALU_CYCLE_1) | instskip(NEXT) | instid1(SALU_CYCLE_1)
	s_lshl_b64 s[34:35], s[12:13], 2
	s_add_u32 s36, s1, s34
	s_addc_u32 s37, s3, s35
	s_add_u32 s1, s8, s30
	s_addc_u32 s3, s9, s31
	;; [unrolled: 2-line block ×4, first 2 shown]
	s_clause 0x1
	global_store_b32 v3, v1, s[36:37]
	global_store_b32 v3, v2, s[8:9]
.LBB125_26:
	s_or_b32 exec_lo, exec_lo, s0
	v_dual_mov_b32 v26, 0 :: v_dual_mov_b32 v27, 0
	v_dual_mov_b32 v25, 0 :: v_dual_and_b32 v12, 3, v0
	v_dual_mov_b32 v28, 0 :: v_dual_mov_b32 v23, 0
	v_dual_mov_b32 v24, 0 :: v_dual_mov_b32 v21, 0
	;; [unrolled: 1-line block ×5, first 2 shown]
	v_mov_b32_e32 v16, 0
	s_and_saveexec_b32 s1, s2
	s_cbranch_execz .LBB125_58
; %bb.27:
	v_lshlrev_b32_e32 v1, 3, v0
	v_dual_mov_b32 v15, 0 :: v_dual_lshlrev_b32 v2, 5, v12
	s_ashr_i32 s7, s6, 31
	s_mov_b32 s2, s5
	s_delay_alu instid0(VALU_DEP_2)
	v_and_b32_e32 v3, 0xf8, v1
	s_lshl_b64 s[6:7], s[6:7], 1
	v_lshl_or_b32 v7, v10, 7, v2
	s_add_u32 s3, s24, s6
	s_addc_u32 s5, s25, s7
	v_or_b32_e32 v18, 0xc00, v3
	s_lshl_b64 s[24:25], s[26:27], 2
	s_add_i32 s23, s23, -1
	s_add_u32 s0, s20, s24
	s_addc_u32 s11, s21, s25
	v_dual_mov_b32 v23, 0 :: v_dual_lshlrev_b32 v36, 1, v18
	v_mov_b32_e32 v18, 0
	v_or_b32_e32 v16, 0xa00, v3
	v_or_b32_e32 v4, 0x800, v3
	v_mov_b32_e32 v20, 0
	v_or_b32_e32 v8, 0x900, v3
	v_or_b32_e32 v17, 0xb00, v3
	v_dual_mov_b32 v21, 0 :: v_dual_lshlrev_b32 v34, 1, v16
	v_dual_mov_b32 v16, 0 :: v_dual_and_b32 v1, 24, v1
	v_or_b32_e32 v19, 0xd00, v3
	v_add_nc_u32_e32 v30, 0x100, v7
	v_dual_mov_b32 v22, 0 :: v_dual_lshlrev_b32 v31, 1, v3
	s_delay_alu instid0(VALU_DEP_4) | instskip(SKIP_4) | instid1(VALU_DEP_4)
	v_add3_u32 v29, s29, v9, v1
	v_lshlrev_b64 v[1:2], 2, v[5:6]
	v_lshlrev_b32_e32 v32, 1, v4
	v_dual_mov_b32 v24, 0 :: v_dual_lshlrev_b32 v33, 1, v8
	v_dual_mov_b32 v28, 0 :: v_dual_lshlrev_b32 v35, 1, v17
	v_add_co_u32 v6, vcc_lo, s0, v1
	v_add_co_ci_u32_e32 v7, vcc_lo, s11, v2, vcc_lo
	v_dual_mov_b32 v26, 0 :: v_dual_lshlrev_b32 v37, 1, v19
	v_mov_b32_e32 v17, 0
	v_mov_b32_e32 v19, 0
	;; [unrolled: 1-line block ×4, first 2 shown]
	s_mov_b32 s6, s28
	s_mov_b32 s7, s28
	;; [unrolled: 1-line block ×8, first 2 shown]
	s_branch .LBB125_29
.LBB125_28:                             ;   in Loop: Header=BB125_29 Depth=1
	s_or_b32 exec_lo, exec_lo, s0
	v_dual_add_f32 v39, v71, v72 :: v_dual_add_f32 v40, v69, v70
	v_add_f32_e32 v38, v51, v52
	s_waitcnt vmcnt(0)
	;;#ASMSTART
	v_pk_mul_f16 v1, v46, v1;

	;;#ASMEND
	;;#ASMSTART
	v_pk_mul_f16 v2, v44, v2;

	;;#ASMEND
	v_add_f32_e32 v17, v17, v39
	;;#ASMSTART
	v_pk_mul_f16 v3, v42, v3;

	;;#ASMEND
	;;#ASMSTART
	v_pk_mul_f16 v4, v41, v4;

	;;#ASMEND
	;;#ASMSTART
	v_pk_add_f16 v1, v1, v2;

	;;#ASMEND
	v_dual_add_f32 v43, v67, v68 :: v_dual_add_f32 v48, v65, v66
	v_add_f32_e32 v16, v16, v38
	v_dual_add_f32 v38, v61, v62 :: v_dual_add_f32 v39, v59, v60
	v_add_f32_e32 v18, v18, v40
	v_add_f32_e32 v40, v57, v58
	;;#ASMSTART
	v_pk_add_f16 v1, v1, v3;

	;;#ASMEND
	v_dual_add_f32 v3, v55, v56 :: v_dual_add_f32 v8, v8, v9
	v_add_f32_e32 v9, v63, v64
	;;#ASMSTART
	v_pk_add_f16 v1, v1, v4;

	;;#ASMEND
	s_delay_alu instid0(VALU_DEP_2) | instskip(SKIP_4) | instid1(VALU_DEP_2)
	v_dual_add_f32 v27, v27, v3 :: v_dual_and_b32 v2, 0xffff, v1
	v_lshrrev_b32_e32 v1, 16, v1
	v_dual_add_f32 v4, v53, v54 :: v_dual_add_nc_u32 v5, 4, v5
	;;#ASMSTART
	v_cvt_f32_f16 v2, v2;
	;;#ASMEND
	;;#ASMSTART
	v_cvt_f32_f16 v1, v1;
	;;#ASMEND
	v_dual_add_f32 v20, v20, v48 :: v_dual_add_f32 v1, v2, v1
	v_dual_add_f32 v21, v21, v8 :: v_dual_add_f32 v22, v22, v9
	v_add_f32_e32 v8, v45, v47
	v_cmp_le_i32_e32 vcc_lo, s17, v5
	s_delay_alu instid0(VALU_DEP_4)
	v_add_f32_e32 v15, v15, v1
	v_add_co_u32 v6, s0, v6, 16
	v_add_f32_e32 v19, v19, v43
	v_dual_add_f32 v23, v23, v38 :: v_dual_add_f32 v24, v24, v39
	v_add_f32_e32 v25, v25, v40
	v_dual_add_f32 v28, v28, v4 :: v_dual_add_nc_u32 v29, 0x80, v29
	v_add_f32_e32 v26, v26, v8
	v_add_nc_u32_e32 v30, 0x200, v30
	v_add_co_ci_u32_e64 v7, s0, 0, v7, s0
	s_or_b32 s13, vcc_lo, s13
	s_delay_alu instid0(SALU_CYCLE_1)
	s_and_not1_b32 exec_lo, exec_lo, s13
	s_cbranch_execz .LBB125_57
.LBB125_29:                             ; =>This Inner Loop Header: Depth=1
	global_load_b32 v38, v[6:7], off
	ds_load_2addr_b64 v[1:4], v30 offset1:1
	ds_load_2addr_b64 v[46:49], v30 offset0:2 offset1:3
	s_waitcnt lgkmcnt(1)
	;;#ASMSTART
	v_cvt_f16_f32 v44, v1;

	;;#ASMEND
	;;#ASMSTART
	v_cvt_f16_f32 v41, v2;

	;;#ASMEND
	;; [unrolled: 4-line block ×4, first 2 shown]
	s_waitcnt lgkmcnt(0)
	;;#ASMSTART
	v_cvt_f16_f32 v46, v46;

	;;#ASMEND
	;;#ASMSTART
	v_cvt_f16_f32 v47, v47;

	;;#ASMEND
	;; [unrolled: 4-line block ×4, first 2 shown]
	v_or_b32_e32 v40, 3, v29
	v_or_b32_e32 v39, 2, v29
	;; [unrolled: 1-line block ×6, first 2 shown]
	s_waitcnt vmcnt(0)
	v_mad_i64_i32 v[8:9], null, v38, s2, 0
	v_add_nc_u32_e32 v38, 1, v29
	s_delay_alu instid0(VALU_DEP_2) | instskip(NEXT) | instid1(VALU_DEP_1)
	v_lshlrev_b64 v[8:9], 1, v[8:9]
	v_add_co_u32 v51, vcc_lo, s3, v8
	s_delay_alu instid0(VALU_DEP_2) | instskip(NEXT) | instid1(VALU_DEP_2)
	v_add_co_ci_u32_e32 v52, vcc_lo, s5, v9, vcc_lo
	v_add_co_u32 v8, vcc_lo, v51, v31
	s_delay_alu instid0(VALU_DEP_2)
	v_add_co_ci_u32_e32 v9, vcc_lo, 0, v52, vcc_lo
	v_cmp_eq_u32_e32 vcc_lo, s23, v5
	global_load_b128 v[1:4], v[8:9], off
	s_and_saveexec_b32 s20, vcc_lo
	s_cbranch_execz .LBB125_31
; %bb.30:                               ;   in Loop: Header=BB125_29 Depth=1
	v_cmp_gt_i32_e64 s0, s11, v50
	s_waitcnt vmcnt(0)
	v_lshrrev_b32_e32 v55, 16, v4
	v_lshrrev_b32_e32 v56, 16, v3
	;; [unrolled: 1-line block ×4, first 2 shown]
	v_cndmask_b32_e64 v4, 0, v4, s0
	v_cmp_gt_i32_e64 s0, s15, v49
	s_delay_alu instid0(VALU_DEP_1) | instskip(SKIP_1) | instid1(VALU_DEP_2)
	v_cndmask_b32_e64 v55, 0, v55, s0
	v_cmp_gt_i32_e64 s0, s10, v48
	v_perm_b32 v4, v55, v4, 0x5040100
	s_delay_alu instid0(VALU_DEP_2) | instskip(SKIP_1) | instid1(VALU_DEP_1)
	v_cndmask_b32_e64 v56, 0, v56, s0
	v_cmp_gt_i32_e64 s0, s9, v43
	v_cndmask_b32_e64 v3, 0, v3, s0
	v_cmp_gt_i32_e64 s0, s8, v40
	s_delay_alu instid0(VALU_DEP_2) | instskip(NEXT) | instid1(VALU_DEP_2)
	v_perm_b32 v3, v56, v3, 0x5040100
	v_cndmask_b32_e64 v57, 0, v57, s0
	v_cmp_gt_i32_e64 s0, s7, v39
	s_delay_alu instid0(VALU_DEP_1) | instskip(SKIP_1) | instid1(VALU_DEP_2)
	v_cndmask_b32_e64 v2, 0, v2, s0
	v_cmp_gt_i32_e64 s0, s6, v38
	v_perm_b32 v2, v57, v2, 0x5040100
	s_delay_alu instid0(VALU_DEP_2) | instskip(SKIP_1) | instid1(VALU_DEP_1)
	v_cndmask_b32_e64 v58, 0, v58, s0
	v_cmp_gt_i32_e64 s0, s28, v29
	v_cndmask_b32_e64 v1, 0, v1, s0
	s_delay_alu instid0(VALU_DEP_1)
	v_perm_b32 v1, v58, v1, 0x5040100
.LBB125_31:                             ;   in Loop: Header=BB125_29 Depth=1
	s_or_b32 exec_lo, exec_lo, s20
	v_and_b32_e32 v44, 0xffff, v44
	v_and_b32_e32 v45, 0xffff, v45
	;; [unrolled: 1-line block ×4, first 2 shown]
	s_delay_alu instid0(VALU_DEP_4)
	v_lshl_or_b32 v46, v41, 16, v44
	s_waitcnt vmcnt(0)
	;;#ASMSTART
	v_pk_mul_f16 v1, v46, v1;

	;;#ASMEND
	v_lshl_or_b32 v44, v42, 16, v45
	v_lshl_or_b32 v42, v47, 16, v55
	;; [unrolled: 1-line block ×3, first 2 shown]
	;;#ASMSTART
	v_pk_mul_f16 v2, v44, v2;

	;;#ASMEND
	;;#ASMSTART
	v_pk_mul_f16 v3, v42, v3;

	;;#ASMEND
	;; [unrolled: 4-line block ×3, first 2 shown]
	;;#ASMSTART
	v_pk_add_f16 v1, v1, v2;

	;;#ASMEND
	;;#ASMSTART
	v_pk_add_f16 v1, v1, v3;

	;;#ASMEND
	;; [unrolled: 4-line block ×3, first 2 shown]
	v_and_b32_e32 v2, 0xffff, v1
	v_lshrrev_b32_e32 v1, 16, v1
	;;#ASMSTART
	v_cvt_f32_f16 v45, v2;
	;;#ASMEND
	;;#ASMSTART
	v_cvt_f32_f16 v47, v1;
	;;#ASMEND
	global_load_b128 v[1:4], v[8:9], off offset:512
	s_and_saveexec_b32 s20, vcc_lo
	s_cbranch_execz .LBB125_33
; %bb.32:                               ;   in Loop: Header=BB125_29 Depth=1
	v_cmp_gt_i32_e64 s0, s11, v50
	s_waitcnt vmcnt(0)
	v_lshrrev_b32_e32 v53, 16, v4
	v_lshrrev_b32_e32 v54, 16, v3
	;; [unrolled: 1-line block ×4, first 2 shown]
	v_cndmask_b32_e64 v4, 0, v4, s0
	v_cmp_gt_i32_e64 s0, s15, v49
	s_delay_alu instid0(VALU_DEP_1) | instskip(SKIP_1) | instid1(VALU_DEP_2)
	v_cndmask_b32_e64 v53, 0, v53, s0
	v_cmp_gt_i32_e64 s0, s10, v48
	v_perm_b32 v4, v53, v4, 0x5040100
	s_delay_alu instid0(VALU_DEP_2) | instskip(SKIP_1) | instid1(VALU_DEP_1)
	v_cndmask_b32_e64 v54, 0, v54, s0
	v_cmp_gt_i32_e64 s0, s9, v43
	v_cndmask_b32_e64 v3, 0, v3, s0
	v_cmp_gt_i32_e64 s0, s8, v40
	s_delay_alu instid0(VALU_DEP_2) | instskip(NEXT) | instid1(VALU_DEP_2)
	v_perm_b32 v3, v54, v3, 0x5040100
	v_cndmask_b32_e64 v55, 0, v55, s0
	v_cmp_gt_i32_e64 s0, s7, v39
	s_delay_alu instid0(VALU_DEP_1) | instskip(SKIP_1) | instid1(VALU_DEP_2)
	v_cndmask_b32_e64 v2, 0, v2, s0
	v_cmp_gt_i32_e64 s0, s6, v38
	v_perm_b32 v2, v55, v2, 0x5040100
	s_delay_alu instid0(VALU_DEP_2) | instskip(SKIP_1) | instid1(VALU_DEP_1)
	v_cndmask_b32_e64 v56, 0, v56, s0
	v_cmp_gt_i32_e64 s0, s28, v29
	v_cndmask_b32_e64 v1, 0, v1, s0
	s_delay_alu instid0(VALU_DEP_1)
	v_perm_b32 v1, v56, v1, 0x5040100
.LBB125_33:                             ;   in Loop: Header=BB125_29 Depth=1
	s_or_b32 exec_lo, exec_lo, s20
	s_waitcnt vmcnt(0)
	;;#ASMSTART
	v_pk_mul_f16 v1, v46, v1;

	;;#ASMEND
	;;#ASMSTART
	v_pk_mul_f16 v2, v44, v2;

	;;#ASMEND
	;; [unrolled: 4-line block ×4, first 2 shown]
	;;#ASMSTART
	v_pk_add_f16 v1, v1, v2;

	;;#ASMEND
	;;#ASMSTART
	v_pk_add_f16 v1, v1, v3;

	;;#ASMEND
	;; [unrolled: 4-line block ×3, first 2 shown]
	v_and_b32_e32 v2, 0xffff, v1
	v_lshrrev_b32_e32 v1, 16, v1
	;;#ASMSTART
	v_cvt_f32_f16 v53, v2;
	;;#ASMEND
	;;#ASMSTART
	v_cvt_f32_f16 v54, v1;
	;;#ASMEND
	global_load_b128 v[1:4], v[8:9], off offset:1024
	s_and_saveexec_b32 s20, vcc_lo
	s_cbranch_execz .LBB125_35
; %bb.34:                               ;   in Loop: Header=BB125_29 Depth=1
	v_cmp_gt_i32_e64 s0, s11, v50
	s_waitcnt vmcnt(0)
	v_lshrrev_b32_e32 v55, 16, v4
	v_lshrrev_b32_e32 v56, 16, v3
	;; [unrolled: 1-line block ×4, first 2 shown]
	v_cndmask_b32_e64 v4, 0, v4, s0
	v_cmp_gt_i32_e64 s0, s15, v49
	s_delay_alu instid0(VALU_DEP_1) | instskip(SKIP_1) | instid1(VALU_DEP_2)
	v_cndmask_b32_e64 v55, 0, v55, s0
	v_cmp_gt_i32_e64 s0, s10, v48
	v_perm_b32 v4, v55, v4, 0x5040100
	s_delay_alu instid0(VALU_DEP_2) | instskip(SKIP_1) | instid1(VALU_DEP_1)
	v_cndmask_b32_e64 v56, 0, v56, s0
	v_cmp_gt_i32_e64 s0, s9, v43
	v_cndmask_b32_e64 v3, 0, v3, s0
	v_cmp_gt_i32_e64 s0, s8, v40
	s_delay_alu instid0(VALU_DEP_2) | instskip(NEXT) | instid1(VALU_DEP_2)
	v_perm_b32 v3, v56, v3, 0x5040100
	v_cndmask_b32_e64 v57, 0, v57, s0
	v_cmp_gt_i32_e64 s0, s7, v39
	s_delay_alu instid0(VALU_DEP_1) | instskip(SKIP_1) | instid1(VALU_DEP_2)
	v_cndmask_b32_e64 v2, 0, v2, s0
	v_cmp_gt_i32_e64 s0, s6, v38
	v_perm_b32 v2, v57, v2, 0x5040100
	s_delay_alu instid0(VALU_DEP_2) | instskip(SKIP_1) | instid1(VALU_DEP_1)
	v_cndmask_b32_e64 v58, 0, v58, s0
	v_cmp_gt_i32_e64 s0, s28, v29
	v_cndmask_b32_e64 v1, 0, v1, s0
	s_delay_alu instid0(VALU_DEP_1)
	v_perm_b32 v1, v58, v1, 0x5040100
.LBB125_35:                             ;   in Loop: Header=BB125_29 Depth=1
	s_or_b32 exec_lo, exec_lo, s20
	s_waitcnt vmcnt(0)
	;;#ASMSTART
	v_pk_mul_f16 v1, v46, v1;

	;;#ASMEND
	;;#ASMSTART
	v_pk_mul_f16 v2, v44, v2;

	;;#ASMEND
	;; [unrolled: 4-line block ×4, first 2 shown]
	;;#ASMSTART
	v_pk_add_f16 v1, v1, v2;

	;;#ASMEND
	;;#ASMSTART
	v_pk_add_f16 v1, v1, v3;

	;;#ASMEND
	;; [unrolled: 4-line block ×3, first 2 shown]
	v_and_b32_e32 v2, 0xffff, v1
	v_lshrrev_b32_e32 v1, 16, v1
	;;#ASMSTART
	v_cvt_f32_f16 v55, v2;
	;;#ASMEND
	;;#ASMSTART
	v_cvt_f32_f16 v56, v1;
	;;#ASMEND
	global_load_b128 v[1:4], v[8:9], off offset:1536
	s_and_saveexec_b32 s20, vcc_lo
	s_cbranch_execz .LBB125_37
; %bb.36:                               ;   in Loop: Header=BB125_29 Depth=1
	v_cmp_gt_i32_e64 s0, s11, v50
	s_waitcnt vmcnt(0)
	v_lshrrev_b32_e32 v57, 16, v4
	v_lshrrev_b32_e32 v58, 16, v3
	;; [unrolled: 1-line block ×4, first 2 shown]
	v_cndmask_b32_e64 v4, 0, v4, s0
	v_cmp_gt_i32_e64 s0, s15, v49
	s_delay_alu instid0(VALU_DEP_1) | instskip(SKIP_1) | instid1(VALU_DEP_2)
	v_cndmask_b32_e64 v57, 0, v57, s0
	v_cmp_gt_i32_e64 s0, s10, v48
	v_perm_b32 v4, v57, v4, 0x5040100
	s_delay_alu instid0(VALU_DEP_2) | instskip(SKIP_1) | instid1(VALU_DEP_1)
	v_cndmask_b32_e64 v58, 0, v58, s0
	v_cmp_gt_i32_e64 s0, s9, v43
	v_cndmask_b32_e64 v3, 0, v3, s0
	v_cmp_gt_i32_e64 s0, s8, v40
	s_delay_alu instid0(VALU_DEP_2) | instskip(NEXT) | instid1(VALU_DEP_2)
	v_perm_b32 v3, v58, v3, 0x5040100
	v_cndmask_b32_e64 v59, 0, v59, s0
	v_cmp_gt_i32_e64 s0, s7, v39
	s_delay_alu instid0(VALU_DEP_1) | instskip(SKIP_1) | instid1(VALU_DEP_2)
	v_cndmask_b32_e64 v2, 0, v2, s0
	v_cmp_gt_i32_e64 s0, s6, v38
	v_perm_b32 v2, v59, v2, 0x5040100
	s_delay_alu instid0(VALU_DEP_2) | instskip(SKIP_1) | instid1(VALU_DEP_1)
	v_cndmask_b32_e64 v60, 0, v60, s0
	v_cmp_gt_i32_e64 s0, s28, v29
	v_cndmask_b32_e64 v1, 0, v1, s0
	s_delay_alu instid0(VALU_DEP_1)
	v_perm_b32 v1, v60, v1, 0x5040100
.LBB125_37:                             ;   in Loop: Header=BB125_29 Depth=1
	s_or_b32 exec_lo, exec_lo, s20
	s_waitcnt vmcnt(0)
	;;#ASMSTART
	v_pk_mul_f16 v1, v46, v1;

	;;#ASMEND
	;;#ASMSTART
	v_pk_mul_f16 v2, v44, v2;

	;;#ASMEND
	;; [unrolled: 4-line block ×4, first 2 shown]
	;;#ASMSTART
	v_pk_add_f16 v1, v1, v2;

	;;#ASMEND
	;;#ASMSTART
	v_pk_add_f16 v1, v1, v3;

	;;#ASMEND
	;; [unrolled: 4-line block ×3, first 2 shown]
	v_and_b32_e32 v2, 0xffff, v1
	v_lshrrev_b32_e32 v1, 16, v1
	;;#ASMSTART
	v_cvt_f32_f16 v57, v2;
	;;#ASMEND
	;;#ASMSTART
	v_cvt_f32_f16 v58, v1;
	;;#ASMEND
	global_load_b128 v[1:4], v[8:9], off offset:2048
	s_and_saveexec_b32 s20, vcc_lo
	s_cbranch_execz .LBB125_39
; %bb.38:                               ;   in Loop: Header=BB125_29 Depth=1
	v_cmp_gt_i32_e64 s0, s11, v50
	s_waitcnt vmcnt(0)
	v_lshrrev_b32_e32 v59, 16, v4
	v_lshrrev_b32_e32 v60, 16, v3
	;; [unrolled: 1-line block ×4, first 2 shown]
	v_cndmask_b32_e64 v4, 0, v4, s0
	v_cmp_gt_i32_e64 s0, s15, v49
	s_delay_alu instid0(VALU_DEP_1) | instskip(SKIP_1) | instid1(VALU_DEP_2)
	v_cndmask_b32_e64 v59, 0, v59, s0
	v_cmp_gt_i32_e64 s0, s10, v48
	v_perm_b32 v4, v59, v4, 0x5040100
	s_delay_alu instid0(VALU_DEP_2) | instskip(SKIP_1) | instid1(VALU_DEP_1)
	v_cndmask_b32_e64 v60, 0, v60, s0
	v_cmp_gt_i32_e64 s0, s9, v43
	v_cndmask_b32_e64 v3, 0, v3, s0
	v_cmp_gt_i32_e64 s0, s8, v40
	s_delay_alu instid0(VALU_DEP_2) | instskip(NEXT) | instid1(VALU_DEP_2)
	v_perm_b32 v3, v60, v3, 0x5040100
	v_cndmask_b32_e64 v61, 0, v61, s0
	v_cmp_gt_i32_e64 s0, s7, v39
	s_delay_alu instid0(VALU_DEP_1) | instskip(SKIP_1) | instid1(VALU_DEP_2)
	v_cndmask_b32_e64 v2, 0, v2, s0
	v_cmp_gt_i32_e64 s0, s6, v38
	v_perm_b32 v2, v61, v2, 0x5040100
	s_delay_alu instid0(VALU_DEP_2) | instskip(SKIP_1) | instid1(VALU_DEP_1)
	v_cndmask_b32_e64 v62, 0, v62, s0
	v_cmp_gt_i32_e64 s0, s28, v29
	v_cndmask_b32_e64 v1, 0, v1, s0
	s_delay_alu instid0(VALU_DEP_1)
	v_perm_b32 v1, v62, v1, 0x5040100
.LBB125_39:                             ;   in Loop: Header=BB125_29 Depth=1
	s_or_b32 exec_lo, exec_lo, s20
	s_waitcnt vmcnt(0)
	;;#ASMSTART
	v_pk_mul_f16 v1, v46, v1;

	;;#ASMEND
	;;#ASMSTART
	v_pk_mul_f16 v2, v44, v2;

	;;#ASMEND
	;; [unrolled: 4-line block ×4, first 2 shown]
	;;#ASMSTART
	v_pk_add_f16 v1, v1, v2;

	;;#ASMEND
	;;#ASMSTART
	v_pk_add_f16 v1, v1, v3;

	;;#ASMEND
	;; [unrolled: 4-line block ×3, first 2 shown]
	v_and_b32_e32 v2, 0xffff, v1
	v_lshrrev_b32_e32 v1, 16, v1
	;;#ASMSTART
	v_cvt_f32_f16 v59, v2;
	;;#ASMEND
	;;#ASMSTART
	v_cvt_f32_f16 v60, v1;
	;;#ASMEND
	global_load_b128 v[1:4], v[8:9], off offset:2560
	s_and_saveexec_b32 s20, vcc_lo
	s_cbranch_execz .LBB125_41
; %bb.40:                               ;   in Loop: Header=BB125_29 Depth=1
	v_cmp_gt_i32_e64 s0, s11, v50
	s_waitcnt vmcnt(0)
	v_lshrrev_b32_e32 v61, 16, v4
	v_lshrrev_b32_e32 v62, 16, v3
	;; [unrolled: 1-line block ×4, first 2 shown]
	v_cndmask_b32_e64 v4, 0, v4, s0
	v_cmp_gt_i32_e64 s0, s15, v49
	s_delay_alu instid0(VALU_DEP_1) | instskip(SKIP_1) | instid1(VALU_DEP_2)
	v_cndmask_b32_e64 v61, 0, v61, s0
	v_cmp_gt_i32_e64 s0, s10, v48
	v_perm_b32 v4, v61, v4, 0x5040100
	s_delay_alu instid0(VALU_DEP_2) | instskip(SKIP_1) | instid1(VALU_DEP_1)
	v_cndmask_b32_e64 v62, 0, v62, s0
	v_cmp_gt_i32_e64 s0, s9, v43
	v_cndmask_b32_e64 v3, 0, v3, s0
	v_cmp_gt_i32_e64 s0, s8, v40
	s_delay_alu instid0(VALU_DEP_2) | instskip(NEXT) | instid1(VALU_DEP_2)
	v_perm_b32 v3, v62, v3, 0x5040100
	v_cndmask_b32_e64 v63, 0, v63, s0
	v_cmp_gt_i32_e64 s0, s7, v39
	s_delay_alu instid0(VALU_DEP_1) | instskip(SKIP_1) | instid1(VALU_DEP_2)
	v_cndmask_b32_e64 v2, 0, v2, s0
	v_cmp_gt_i32_e64 s0, s6, v38
	v_perm_b32 v2, v63, v2, 0x5040100
	s_delay_alu instid0(VALU_DEP_2) | instskip(SKIP_1) | instid1(VALU_DEP_1)
	v_cndmask_b32_e64 v64, 0, v64, s0
	v_cmp_gt_i32_e64 s0, s28, v29
	v_cndmask_b32_e64 v1, 0, v1, s0
	s_delay_alu instid0(VALU_DEP_1)
	v_perm_b32 v1, v64, v1, 0x5040100
.LBB125_41:                             ;   in Loop: Header=BB125_29 Depth=1
	s_or_b32 exec_lo, exec_lo, s20
	s_waitcnt vmcnt(0)
	;;#ASMSTART
	v_pk_mul_f16 v1, v46, v1;

	;;#ASMEND
	;;#ASMSTART
	v_pk_mul_f16 v2, v44, v2;

	;;#ASMEND
	;;#ASMSTART
	v_pk_mul_f16 v3, v42, v3;

	;;#ASMEND
	;;#ASMSTART
	v_pk_mul_f16 v4, v41, v4;

	;;#ASMEND
	;;#ASMSTART
	v_pk_add_f16 v1, v1, v2;

	;;#ASMEND
	;;#ASMSTART
	v_pk_add_f16 v1, v1, v3;

	;;#ASMEND
	;; [unrolled: 4-line block ×3, first 2 shown]
	v_and_b32_e32 v2, 0xffff, v1
	v_lshrrev_b32_e32 v1, 16, v1
	;;#ASMSTART
	v_cvt_f32_f16 v61, v2;
	;;#ASMEND
	;;#ASMSTART
	v_cvt_f32_f16 v62, v1;
	;;#ASMEND
	global_load_b128 v[1:4], v[8:9], off offset:3072
	s_and_saveexec_b32 s20, vcc_lo
	s_cbranch_execz .LBB125_43
; %bb.42:                               ;   in Loop: Header=BB125_29 Depth=1
	v_cmp_gt_i32_e64 s0, s11, v50
	s_waitcnt vmcnt(0)
	v_lshrrev_b32_e32 v63, 16, v4
	v_lshrrev_b32_e32 v64, 16, v3
	v_lshrrev_b32_e32 v65, 16, v2
	v_lshrrev_b32_e32 v66, 16, v1
	v_cndmask_b32_e64 v4, 0, v4, s0
	v_cmp_gt_i32_e64 s0, s15, v49
	s_delay_alu instid0(VALU_DEP_1) | instskip(SKIP_1) | instid1(VALU_DEP_2)
	v_cndmask_b32_e64 v63, 0, v63, s0
	v_cmp_gt_i32_e64 s0, s10, v48
	v_perm_b32 v4, v63, v4, 0x5040100
	s_delay_alu instid0(VALU_DEP_2) | instskip(SKIP_1) | instid1(VALU_DEP_1)
	v_cndmask_b32_e64 v64, 0, v64, s0
	v_cmp_gt_i32_e64 s0, s9, v43
	v_cndmask_b32_e64 v3, 0, v3, s0
	v_cmp_gt_i32_e64 s0, s8, v40
	s_delay_alu instid0(VALU_DEP_2) | instskip(NEXT) | instid1(VALU_DEP_2)
	v_perm_b32 v3, v64, v3, 0x5040100
	v_cndmask_b32_e64 v65, 0, v65, s0
	v_cmp_gt_i32_e64 s0, s7, v39
	s_delay_alu instid0(VALU_DEP_1) | instskip(SKIP_1) | instid1(VALU_DEP_2)
	v_cndmask_b32_e64 v2, 0, v2, s0
	v_cmp_gt_i32_e64 s0, s6, v38
	v_perm_b32 v2, v65, v2, 0x5040100
	s_delay_alu instid0(VALU_DEP_2) | instskip(SKIP_1) | instid1(VALU_DEP_1)
	v_cndmask_b32_e64 v66, 0, v66, s0
	v_cmp_gt_i32_e64 s0, s28, v29
	v_cndmask_b32_e64 v1, 0, v1, s0
	s_delay_alu instid0(VALU_DEP_1)
	v_perm_b32 v1, v66, v1, 0x5040100
.LBB125_43:                             ;   in Loop: Header=BB125_29 Depth=1
	s_or_b32 exec_lo, exec_lo, s20
	s_waitcnt vmcnt(0)
	;;#ASMSTART
	v_pk_mul_f16 v1, v46, v1;

	;;#ASMEND
	;;#ASMSTART
	v_pk_mul_f16 v2, v44, v2;

	;;#ASMEND
	;;#ASMSTART
	v_pk_mul_f16 v3, v42, v3;

	;;#ASMEND
	;;#ASMSTART
	v_pk_mul_f16 v4, v41, v4;

	;;#ASMEND
	;;#ASMSTART
	v_pk_add_f16 v1, v1, v2;

	;;#ASMEND
	;;#ASMSTART
	v_pk_add_f16 v1, v1, v3;

	;;#ASMEND
	;; [unrolled: 4-line block ×3, first 2 shown]
	v_and_b32_e32 v2, 0xffff, v1
	v_lshrrev_b32_e32 v1, 16, v1
	;;#ASMSTART
	v_cvt_f32_f16 v63, v2;
	;;#ASMEND
	;;#ASMSTART
	v_cvt_f32_f16 v64, v1;
	;;#ASMEND
	global_load_b128 v[1:4], v[8:9], off offset:3584
	s_and_saveexec_b32 s20, vcc_lo
	s_cbranch_execz .LBB125_45
; %bb.44:                               ;   in Loop: Header=BB125_29 Depth=1
	v_cmp_gt_i32_e64 s0, s11, v50
	s_waitcnt vmcnt(0)
	v_lshrrev_b32_e32 v8, 16, v4
	v_lshrrev_b32_e32 v9, 16, v3
	;; [unrolled: 1-line block ×4, first 2 shown]
	v_cndmask_b32_e64 v4, 0, v4, s0
	v_cmp_gt_i32_e64 s0, s15, v49
	s_delay_alu instid0(VALU_DEP_1) | instskip(SKIP_1) | instid1(VALU_DEP_2)
	v_cndmask_b32_e64 v8, 0, v8, s0
	v_cmp_gt_i32_e64 s0, s10, v48
	v_perm_b32 v4, v8, v4, 0x5040100
	s_delay_alu instid0(VALU_DEP_2) | instskip(SKIP_1) | instid1(VALU_DEP_1)
	v_cndmask_b32_e64 v9, 0, v9, s0
	v_cmp_gt_i32_e64 s0, s9, v43
	v_cndmask_b32_e64 v3, 0, v3, s0
	v_cmp_gt_i32_e64 s0, s8, v40
	s_delay_alu instid0(VALU_DEP_2) | instskip(NEXT) | instid1(VALU_DEP_2)
	v_perm_b32 v3, v9, v3, 0x5040100
	v_cndmask_b32_e64 v65, 0, v65, s0
	v_cmp_gt_i32_e64 s0, s7, v39
	s_delay_alu instid0(VALU_DEP_1) | instskip(SKIP_1) | instid1(VALU_DEP_2)
	v_cndmask_b32_e64 v2, 0, v2, s0
	v_cmp_gt_i32_e64 s0, s6, v38
	v_perm_b32 v2, v65, v2, 0x5040100
	s_delay_alu instid0(VALU_DEP_2) | instskip(SKIP_1) | instid1(VALU_DEP_1)
	v_cndmask_b32_e64 v66, 0, v66, s0
	v_cmp_gt_i32_e64 s0, s28, v29
	v_cndmask_b32_e64 v1, 0, v1, s0
	s_delay_alu instid0(VALU_DEP_1)
	v_perm_b32 v1, v66, v1, 0x5040100
.LBB125_45:                             ;   in Loop: Header=BB125_29 Depth=1
	s_or_b32 exec_lo, exec_lo, s20
	s_waitcnt vmcnt(0)
	;;#ASMSTART
	v_pk_mul_f16 v1, v46, v1;

	;;#ASMEND
	;;#ASMSTART
	v_pk_mul_f16 v2, v44, v2;

	;;#ASMEND
	;; [unrolled: 4-line block ×4, first 2 shown]
	;;#ASMSTART
	v_pk_add_f16 v1, v1, v2;

	;;#ASMEND
	;;#ASMSTART
	v_pk_add_f16 v1, v1, v3;

	;;#ASMEND
	;; [unrolled: 4-line block ×3, first 2 shown]
	v_lshrrev_b32_e32 v3, 16, v1
	v_and_b32_e32 v4, 0xffff, v1
	v_add_co_u32 v1, s0, v51, v32
	s_delay_alu instid0(VALU_DEP_1)
	v_add_co_ci_u32_e64 v2, s0, 0, v52, s0
	;;#ASMSTART
	v_cvt_f32_f16 v8, v4;
	;;#ASMEND
	;;#ASMSTART
	v_cvt_f32_f16 v9, v3;
	;;#ASMEND
	global_load_b128 v[1:4], v[1:2], off
	s_and_saveexec_b32 s20, vcc_lo
	s_cbranch_execz .LBB125_47
; %bb.46:                               ;   in Loop: Header=BB125_29 Depth=1
	v_cmp_gt_i32_e64 s0, s11, v50
	s_waitcnt vmcnt(0)
	v_lshrrev_b32_e32 v65, 16, v4
	v_lshrrev_b32_e32 v66, 16, v3
	;; [unrolled: 1-line block ×4, first 2 shown]
	v_cndmask_b32_e64 v4, 0, v4, s0
	v_cmp_gt_i32_e64 s0, s15, v49
	s_delay_alu instid0(VALU_DEP_1) | instskip(SKIP_1) | instid1(VALU_DEP_2)
	v_cndmask_b32_e64 v65, 0, v65, s0
	v_cmp_gt_i32_e64 s0, s10, v48
	v_perm_b32 v4, v65, v4, 0x5040100
	s_delay_alu instid0(VALU_DEP_2) | instskip(SKIP_1) | instid1(VALU_DEP_1)
	v_cndmask_b32_e64 v66, 0, v66, s0
	v_cmp_gt_i32_e64 s0, s9, v43
	v_cndmask_b32_e64 v3, 0, v3, s0
	v_cmp_gt_i32_e64 s0, s8, v40
	s_delay_alu instid0(VALU_DEP_2) | instskip(NEXT) | instid1(VALU_DEP_2)
	v_perm_b32 v3, v66, v3, 0x5040100
	v_cndmask_b32_e64 v67, 0, v67, s0
	v_cmp_gt_i32_e64 s0, s7, v39
	s_delay_alu instid0(VALU_DEP_1) | instskip(SKIP_1) | instid1(VALU_DEP_2)
	v_cndmask_b32_e64 v2, 0, v2, s0
	v_cmp_gt_i32_e64 s0, s6, v38
	v_perm_b32 v2, v67, v2, 0x5040100
	s_delay_alu instid0(VALU_DEP_2) | instskip(SKIP_1) | instid1(VALU_DEP_1)
	v_cndmask_b32_e64 v68, 0, v68, s0
	v_cmp_gt_i32_e64 s0, s28, v29
	v_cndmask_b32_e64 v1, 0, v1, s0
	s_delay_alu instid0(VALU_DEP_1)
	v_perm_b32 v1, v68, v1, 0x5040100
.LBB125_47:                             ;   in Loop: Header=BB125_29 Depth=1
	s_or_b32 exec_lo, exec_lo, s20
	s_waitcnt vmcnt(0)
	;;#ASMSTART
	v_pk_mul_f16 v1, v46, v1;

	;;#ASMEND
	;;#ASMSTART
	v_pk_mul_f16 v2, v44, v2;

	;;#ASMEND
	;; [unrolled: 4-line block ×4, first 2 shown]
	;;#ASMSTART
	v_pk_add_f16 v1, v1, v2;

	;;#ASMEND
	;;#ASMSTART
	v_pk_add_f16 v1, v1, v3;

	;;#ASMEND
	;; [unrolled: 4-line block ×3, first 2 shown]
	v_lshrrev_b32_e32 v3, 16, v1
	v_and_b32_e32 v4, 0xffff, v1
	v_add_co_u32 v1, s0, v51, v33
	s_delay_alu instid0(VALU_DEP_1)
	v_add_co_ci_u32_e64 v2, s0, 0, v52, s0
	;;#ASMSTART
	v_cvt_f32_f16 v65, v4;
	;;#ASMEND
	;;#ASMSTART
	v_cvt_f32_f16 v66, v3;
	;;#ASMEND
	global_load_b128 v[1:4], v[1:2], off
	s_and_saveexec_b32 s20, vcc_lo
	s_cbranch_execz .LBB125_49
; %bb.48:                               ;   in Loop: Header=BB125_29 Depth=1
	v_cmp_gt_i32_e64 s0, s11, v50
	s_waitcnt vmcnt(0)
	v_lshrrev_b32_e32 v67, 16, v4
	v_lshrrev_b32_e32 v68, 16, v3
	;; [unrolled: 1-line block ×4, first 2 shown]
	v_cndmask_b32_e64 v4, 0, v4, s0
	v_cmp_gt_i32_e64 s0, s15, v49
	s_delay_alu instid0(VALU_DEP_1) | instskip(SKIP_1) | instid1(VALU_DEP_2)
	v_cndmask_b32_e64 v67, 0, v67, s0
	v_cmp_gt_i32_e64 s0, s10, v48
	v_perm_b32 v4, v67, v4, 0x5040100
	s_delay_alu instid0(VALU_DEP_2) | instskip(SKIP_1) | instid1(VALU_DEP_1)
	v_cndmask_b32_e64 v68, 0, v68, s0
	v_cmp_gt_i32_e64 s0, s9, v43
	v_cndmask_b32_e64 v3, 0, v3, s0
	v_cmp_gt_i32_e64 s0, s8, v40
	s_delay_alu instid0(VALU_DEP_2) | instskip(NEXT) | instid1(VALU_DEP_2)
	v_perm_b32 v3, v68, v3, 0x5040100
	v_cndmask_b32_e64 v69, 0, v69, s0
	v_cmp_gt_i32_e64 s0, s7, v39
	s_delay_alu instid0(VALU_DEP_1) | instskip(SKIP_1) | instid1(VALU_DEP_2)
	v_cndmask_b32_e64 v2, 0, v2, s0
	v_cmp_gt_i32_e64 s0, s6, v38
	v_perm_b32 v2, v69, v2, 0x5040100
	s_delay_alu instid0(VALU_DEP_2) | instskip(SKIP_1) | instid1(VALU_DEP_1)
	v_cndmask_b32_e64 v70, 0, v70, s0
	v_cmp_gt_i32_e64 s0, s28, v29
	v_cndmask_b32_e64 v1, 0, v1, s0
	s_delay_alu instid0(VALU_DEP_1)
	v_perm_b32 v1, v70, v1, 0x5040100
.LBB125_49:                             ;   in Loop: Header=BB125_29 Depth=1
	s_or_b32 exec_lo, exec_lo, s20
	s_waitcnt vmcnt(0)
	;;#ASMSTART
	v_pk_mul_f16 v1, v46, v1;

	;;#ASMEND
	;;#ASMSTART
	v_pk_mul_f16 v2, v44, v2;

	;;#ASMEND
	;; [unrolled: 4-line block ×4, first 2 shown]
	;;#ASMSTART
	v_pk_add_f16 v1, v1, v2;

	;;#ASMEND
	;;#ASMSTART
	v_pk_add_f16 v1, v1, v3;

	;;#ASMEND
	;; [unrolled: 4-line block ×3, first 2 shown]
	v_lshrrev_b32_e32 v3, 16, v1
	v_and_b32_e32 v4, 0xffff, v1
	v_add_co_u32 v1, s0, v51, v34
	s_delay_alu instid0(VALU_DEP_1)
	v_add_co_ci_u32_e64 v2, s0, 0, v52, s0
	;;#ASMSTART
	v_cvt_f32_f16 v67, v4;
	;;#ASMEND
	;;#ASMSTART
	v_cvt_f32_f16 v68, v3;
	;;#ASMEND
	global_load_b128 v[1:4], v[1:2], off
	s_and_saveexec_b32 s20, vcc_lo
	s_cbranch_execz .LBB125_51
; %bb.50:                               ;   in Loop: Header=BB125_29 Depth=1
	v_cmp_gt_i32_e64 s0, s11, v50
	s_waitcnt vmcnt(0)
	v_lshrrev_b32_e32 v69, 16, v4
	v_lshrrev_b32_e32 v70, 16, v3
	;; [unrolled: 1-line block ×4, first 2 shown]
	v_cndmask_b32_e64 v4, 0, v4, s0
	v_cmp_gt_i32_e64 s0, s15, v49
	s_delay_alu instid0(VALU_DEP_1) | instskip(SKIP_1) | instid1(VALU_DEP_2)
	v_cndmask_b32_e64 v69, 0, v69, s0
	v_cmp_gt_i32_e64 s0, s10, v48
	v_perm_b32 v4, v69, v4, 0x5040100
	s_delay_alu instid0(VALU_DEP_2) | instskip(SKIP_1) | instid1(VALU_DEP_1)
	v_cndmask_b32_e64 v70, 0, v70, s0
	v_cmp_gt_i32_e64 s0, s9, v43
	v_cndmask_b32_e64 v3, 0, v3, s0
	v_cmp_gt_i32_e64 s0, s8, v40
	s_delay_alu instid0(VALU_DEP_2) | instskip(NEXT) | instid1(VALU_DEP_2)
	v_perm_b32 v3, v70, v3, 0x5040100
	v_cndmask_b32_e64 v71, 0, v71, s0
	v_cmp_gt_i32_e64 s0, s7, v39
	s_delay_alu instid0(VALU_DEP_1) | instskip(SKIP_1) | instid1(VALU_DEP_2)
	v_cndmask_b32_e64 v2, 0, v2, s0
	v_cmp_gt_i32_e64 s0, s6, v38
	v_perm_b32 v2, v71, v2, 0x5040100
	s_delay_alu instid0(VALU_DEP_2) | instskip(SKIP_1) | instid1(VALU_DEP_1)
	v_cndmask_b32_e64 v72, 0, v72, s0
	v_cmp_gt_i32_e64 s0, s28, v29
	v_cndmask_b32_e64 v1, 0, v1, s0
	s_delay_alu instid0(VALU_DEP_1)
	v_perm_b32 v1, v72, v1, 0x5040100
.LBB125_51:                             ;   in Loop: Header=BB125_29 Depth=1
	s_or_b32 exec_lo, exec_lo, s20
	s_waitcnt vmcnt(0)
	;;#ASMSTART
	v_pk_mul_f16 v1, v46, v1;

	;;#ASMEND
	;;#ASMSTART
	v_pk_mul_f16 v2, v44, v2;

	;;#ASMEND
	;; [unrolled: 4-line block ×4, first 2 shown]
	;;#ASMSTART
	v_pk_add_f16 v1, v1, v2;

	;;#ASMEND
	;;#ASMSTART
	v_pk_add_f16 v1, v1, v3;

	;;#ASMEND
	;;#ASMSTART
	v_pk_add_f16 v1, v1, v4;

	;;#ASMEND
	v_lshrrev_b32_e32 v3, 16, v1
	v_and_b32_e32 v4, 0xffff, v1
	v_add_co_u32 v1, s0, v51, v35
	s_delay_alu instid0(VALU_DEP_1)
	v_add_co_ci_u32_e64 v2, s0, 0, v52, s0
	;;#ASMSTART
	v_cvt_f32_f16 v69, v4;
	;;#ASMEND
	;;#ASMSTART
	v_cvt_f32_f16 v70, v3;
	;;#ASMEND
	global_load_b128 v[1:4], v[1:2], off
	s_and_saveexec_b32 s20, vcc_lo
	s_cbranch_execz .LBB125_53
; %bb.52:                               ;   in Loop: Header=BB125_29 Depth=1
	v_cmp_gt_i32_e64 s0, s11, v50
	s_waitcnt vmcnt(0)
	v_lshrrev_b32_e32 v71, 16, v4
	v_lshrrev_b32_e32 v72, 16, v3
	;; [unrolled: 1-line block ×4, first 2 shown]
	v_cndmask_b32_e64 v4, 0, v4, s0
	v_cmp_gt_i32_e64 s0, s15, v49
	s_delay_alu instid0(VALU_DEP_1) | instskip(SKIP_1) | instid1(VALU_DEP_2)
	v_cndmask_b32_e64 v71, 0, v71, s0
	v_cmp_gt_i32_e64 s0, s10, v48
	v_perm_b32 v4, v71, v4, 0x5040100
	s_delay_alu instid0(VALU_DEP_2) | instskip(SKIP_1) | instid1(VALU_DEP_1)
	v_cndmask_b32_e64 v72, 0, v72, s0
	v_cmp_gt_i32_e64 s0, s9, v43
	v_cndmask_b32_e64 v3, 0, v3, s0
	v_cmp_gt_i32_e64 s0, s8, v40
	s_delay_alu instid0(VALU_DEP_2) | instskip(NEXT) | instid1(VALU_DEP_2)
	v_perm_b32 v3, v72, v3, 0x5040100
	v_cndmask_b32_e64 v73, 0, v73, s0
	v_cmp_gt_i32_e64 s0, s7, v39
	s_delay_alu instid0(VALU_DEP_1) | instskip(SKIP_1) | instid1(VALU_DEP_2)
	v_cndmask_b32_e64 v2, 0, v2, s0
	v_cmp_gt_i32_e64 s0, s6, v38
	v_perm_b32 v2, v73, v2, 0x5040100
	s_delay_alu instid0(VALU_DEP_2) | instskip(SKIP_1) | instid1(VALU_DEP_1)
	v_cndmask_b32_e64 v74, 0, v74, s0
	v_cmp_gt_i32_e64 s0, s28, v29
	v_cndmask_b32_e64 v1, 0, v1, s0
	s_delay_alu instid0(VALU_DEP_1)
	v_perm_b32 v1, v74, v1, 0x5040100
.LBB125_53:                             ;   in Loop: Header=BB125_29 Depth=1
	s_or_b32 exec_lo, exec_lo, s20
	s_waitcnt vmcnt(0)
	;;#ASMSTART
	v_pk_mul_f16 v1, v46, v1;

	;;#ASMEND
	;;#ASMSTART
	v_pk_mul_f16 v2, v44, v2;

	;;#ASMEND
	;; [unrolled: 4-line block ×4, first 2 shown]
	;;#ASMSTART
	v_pk_add_f16 v1, v1, v2;

	;;#ASMEND
	;;#ASMSTART
	v_pk_add_f16 v1, v1, v3;

	;;#ASMEND
	;; [unrolled: 4-line block ×3, first 2 shown]
	v_lshrrev_b32_e32 v3, 16, v1
	v_and_b32_e32 v4, 0xffff, v1
	v_add_co_u32 v1, s0, v51, v36
	s_delay_alu instid0(VALU_DEP_1)
	v_add_co_ci_u32_e64 v2, s0, 0, v52, s0
	;;#ASMSTART
	v_cvt_f32_f16 v71, v4;
	;;#ASMEND
	;;#ASMSTART
	v_cvt_f32_f16 v72, v3;
	;;#ASMEND
	global_load_b128 v[1:4], v[1:2], off
	s_and_saveexec_b32 s20, vcc_lo
	s_cbranch_execz .LBB125_55
; %bb.54:                               ;   in Loop: Header=BB125_29 Depth=1
	v_cmp_gt_i32_e64 s0, s11, v50
	s_waitcnt vmcnt(0)
	v_lshrrev_b32_e32 v73, 16, v4
	v_lshrrev_b32_e32 v74, 16, v3
	;; [unrolled: 1-line block ×4, first 2 shown]
	v_cndmask_b32_e64 v4, 0, v4, s0
	v_cmp_gt_i32_e64 s0, s15, v49
	s_delay_alu instid0(VALU_DEP_1) | instskip(SKIP_1) | instid1(VALU_DEP_2)
	v_cndmask_b32_e64 v73, 0, v73, s0
	v_cmp_gt_i32_e64 s0, s10, v48
	v_perm_b32 v4, v73, v4, 0x5040100
	s_delay_alu instid0(VALU_DEP_2) | instskip(SKIP_1) | instid1(VALU_DEP_1)
	v_cndmask_b32_e64 v74, 0, v74, s0
	v_cmp_gt_i32_e64 s0, s9, v43
	v_cndmask_b32_e64 v3, 0, v3, s0
	v_cmp_gt_i32_e64 s0, s8, v40
	s_delay_alu instid0(VALU_DEP_2) | instskip(NEXT) | instid1(VALU_DEP_2)
	v_perm_b32 v3, v74, v3, 0x5040100
	v_cndmask_b32_e64 v75, 0, v75, s0
	v_cmp_gt_i32_e64 s0, s7, v39
	s_delay_alu instid0(VALU_DEP_1) | instskip(SKIP_1) | instid1(VALU_DEP_2)
	v_cndmask_b32_e64 v2, 0, v2, s0
	v_cmp_gt_i32_e64 s0, s6, v38
	v_perm_b32 v2, v75, v2, 0x5040100
	s_delay_alu instid0(VALU_DEP_2) | instskip(SKIP_1) | instid1(VALU_DEP_1)
	v_cndmask_b32_e64 v76, 0, v76, s0
	v_cmp_gt_i32_e64 s0, s28, v29
	v_cndmask_b32_e64 v1, 0, v1, s0
	s_delay_alu instid0(VALU_DEP_1)
	v_perm_b32 v1, v76, v1, 0x5040100
.LBB125_55:                             ;   in Loop: Header=BB125_29 Depth=1
	s_or_b32 exec_lo, exec_lo, s20
	s_waitcnt vmcnt(0)
	;;#ASMSTART
	v_pk_mul_f16 v1, v46, v1;

	;;#ASMEND
	;;#ASMSTART
	v_pk_mul_f16 v2, v44, v2;

	;;#ASMEND
	;;#ASMSTART
	v_pk_mul_f16 v3, v42, v3;

	;;#ASMEND
	;;#ASMSTART
	v_pk_mul_f16 v4, v41, v4;

	;;#ASMEND
	;;#ASMSTART
	v_pk_add_f16 v1, v1, v2;

	;;#ASMEND
	;;#ASMSTART
	v_pk_add_f16 v1, v1, v3;

	;;#ASMEND
	;; [unrolled: 4-line block ×3, first 2 shown]
	v_lshrrev_b32_e32 v3, 16, v1
	v_and_b32_e32 v4, 0xffff, v1
	v_add_co_u32 v1, s0, v51, v37
	s_delay_alu instid0(VALU_DEP_1)
	v_add_co_ci_u32_e64 v2, s0, 0, v52, s0
	;;#ASMSTART
	v_cvt_f32_f16 v51, v4;
	;;#ASMEND
	;;#ASMSTART
	v_cvt_f32_f16 v52, v3;
	;;#ASMEND
	global_load_b128 v[1:4], v[1:2], off
	s_and_saveexec_b32 s0, vcc_lo
	s_cbranch_execz .LBB125_28
; %bb.56:                               ;   in Loop: Header=BB125_29 Depth=1
	v_cmp_gt_i32_e32 vcc_lo, s11, v50
	s_waitcnt vmcnt(0)
	v_lshrrev_b32_e32 v73, 16, v4
	v_lshrrev_b32_e32 v74, 16, v3
	;; [unrolled: 1-line block ×3, first 2 shown]
	v_cndmask_b32_e32 v4, 0, v4, vcc_lo
	v_cmp_gt_i32_e32 vcc_lo, s15, v49
	v_cndmask_b32_e32 v49, 0, v73, vcc_lo
	v_cmp_gt_i32_e32 vcc_lo, s10, v48
	s_delay_alu instid0(VALU_DEP_2)
	v_perm_b32 v4, v49, v4, 0x5040100
	v_cndmask_b32_e32 v48, 0, v74, vcc_lo
	v_cmp_gt_i32_e32 vcc_lo, s9, v43
	v_lshrrev_b32_e32 v43, 16, v1
	v_cndmask_b32_e32 v3, 0, v3, vcc_lo
	v_cmp_gt_i32_e32 vcc_lo, s8, v40
	s_delay_alu instid0(VALU_DEP_2)
	v_perm_b32 v3, v48, v3, 0x5040100
	v_cndmask_b32_e32 v40, 0, v50, vcc_lo
	v_cmp_gt_i32_e32 vcc_lo, s7, v39
	v_cndmask_b32_e32 v2, 0, v2, vcc_lo
	v_cmp_gt_i32_e32 vcc_lo, s6, v38
	;; [unrolled: 2-line block ×3, first 2 shown]
	v_cndmask_b32_e32 v1, 0, v1, vcc_lo
	v_perm_b32 v2, v40, v2, 0x5040100
	s_delay_alu instid0(VALU_DEP_2)
	v_perm_b32 v1, v38, v1, 0x5040100
	s_branch .LBB125_28
.LBB125_57:
	s_or_b32 exec_lo, exec_lo, s13
.LBB125_58:
	s_delay_alu instid0(SALU_CYCLE_1)
	s_or_b32 exec_lo, exec_lo, s1
	ds_bpermute_b32 v1, v14, v26
	ds_bpermute_b32 v2, v14, v28
	;; [unrolled: 1-line block ×14, first 2 shown]
	v_lshrrev_b32_e32 v11, 2, v11
	s_movk_i32 s0, 0x1c0
	s_waitcnt lgkmcnt(0)
	s_waitcnt_vscnt null, 0x0
	v_mad_u32_u24 v10, v10, s0, 0x100
	s_barrier
	buffer_gl0_inv
	v_dual_add_f32 v1, v26, v1 :: v_dual_add_f32 v2, v28, v2
	v_dual_add_f32 v3, v27, v3 :: v_dual_add_f32 v4, v25, v4
	v_add_f32_e32 v7, v22, v7
	v_dual_add_f32 v21, v21, v8 :: v_dual_add_f32 v18, v18, v30
	v_dual_add_f32 v5, v24, v5 :: v_dual_add_f32 v6, v23, v6
	ds_bpermute_b32 v8, v13, v1
	ds_bpermute_b32 v22, v13, v2
	;; [unrolled: 1-line block ×4, first 2 shown]
	v_add_f32_e32 v20, v20, v9
	ds_bpermute_b32 v27, v13, v7
	ds_bpermute_b32 v33, v13, v18
	v_add_f32_e32 v19, v19, v29
	v_add_f32_e32 v29, v17, v31
	;; [unrolled: 1-line block ×4, first 2 shown]
	ds_bpermute_b32 v25, v13, v5
	ds_bpermute_b32 v26, v13, v6
	;; [unrolled: 1-line block ×4, first 2 shown]
	s_waitcnt lgkmcnt(8)
	v_add_f32_e32 v16, v2, v22
	ds_bpermute_b32 v32, v13, v19
	s_waitcnt lgkmcnt(7)
	v_add_f32_e32 v14, v4, v24
	ds_bpermute_b32 v34, v13, v29
	v_add_f32_e32 v15, v3, v23
	s_waitcnt lgkmcnt(6)
	v_dual_add_f32 v3, v18, v33 :: v_dual_and_b32 v18, 0x3c3, v0
	ds_bpermute_b32 v37, v13, v35
	v_dual_add_f32 v17, v1, v8 :: v_dual_add_f32 v8, v7, v27
	ds_bpermute_b32 v36, v13, v31
	s_waitcnt lgkmcnt(7)
	v_add_f32_e32 v13, v5, v25
	s_waitcnt lgkmcnt(6)
	v_add_f32_e32 v9, v6, v26
	;; [unrolled: 2-line block ×4, first 2 shown]
	v_cmp_eq_u32_e32 vcc_lo, 64, v18
	v_lshlrev_b32_e32 v18, 2, v11
	s_waitcnt lgkmcnt(3)
	v_add_f32_e32 v4, v19, v32
	s_waitcnt lgkmcnt(2)
	v_add_f32_e32 v2, v29, v34
	;; [unrolled: 2-line block ×4, first 2 shown]
	s_and_saveexec_b32 s0, vcc_lo
	s_cbranch_execz .LBB125_60
; %bb.59:
	v_add3_u32 v19, v10, v18, 0xfffffc80
	ds_store_2addr_b32 v19, v17, v16 offset1:8
	ds_store_2addr_b32 v19, v15, v14 offset0:16 offset1:24
	ds_store_2addr_b32 v19, v13, v9 offset0:32 offset1:40
	;; [unrolled: 1-line block ×6, first 2 shown]
.LBB125_60:
	s_or_b32 exec_lo, exec_lo, s0
	v_cmp_eq_u32_e32 vcc_lo, 0, v12
	s_mov_b32 s1, exec_lo
	s_waitcnt lgkmcnt(0)
	s_barrier
	buffer_gl0_inv
	v_cmpx_gt_u32_e32 64, v0
	s_cbranch_execz .LBB125_77
; %bb.61:
	s_and_saveexec_b32 s0, vcc_lo
	s_cbranch_execnz .LBB125_99
; %bb.62:
	s_or_b32 exec_lo, exec_lo, s0
	s_and_saveexec_b32 s0, vcc_lo
	s_cbranch_execnz .LBB125_100
.LBB125_63:
	s_or_b32 exec_lo, exec_lo, s0
	s_and_saveexec_b32 s0, vcc_lo
	s_cbranch_execnz .LBB125_101
.LBB125_64:
	s_or_b32 exec_lo, exec_lo, s0
	s_and_saveexec_b32 s0, vcc_lo
	s_cbranch_execnz .LBB125_102
.LBB125_65:
	s_or_b32 exec_lo, exec_lo, s0
	s_and_saveexec_b32 s0, vcc_lo
	s_cbranch_execnz .LBB125_103
.LBB125_66:
	s_or_b32 exec_lo, exec_lo, s0
	s_and_saveexec_b32 s0, vcc_lo
	s_cbranch_execnz .LBB125_104
.LBB125_67:
	s_or_b32 exec_lo, exec_lo, s0
	s_and_saveexec_b32 s0, vcc_lo
	s_cbranch_execnz .LBB125_105
.LBB125_68:
	s_or_b32 exec_lo, exec_lo, s0
	s_and_saveexec_b32 s0, vcc_lo
	s_cbranch_execnz .LBB125_106
.LBB125_69:
	s_or_b32 exec_lo, exec_lo, s0
	s_and_saveexec_b32 s0, vcc_lo
	s_cbranch_execnz .LBB125_107
.LBB125_70:
	s_or_b32 exec_lo, exec_lo, s0
	s_and_saveexec_b32 s0, vcc_lo
	s_cbranch_execnz .LBB125_108
.LBB125_71:
	s_or_b32 exec_lo, exec_lo, s0
	s_and_saveexec_b32 s0, vcc_lo
	s_cbranch_execnz .LBB125_109
.LBB125_72:
	s_or_b32 exec_lo, exec_lo, s0
	s_and_saveexec_b32 s0, vcc_lo
	s_cbranch_execnz .LBB125_110
.LBB125_73:
	s_or_b32 exec_lo, exec_lo, s0
	s_and_saveexec_b32 s0, vcc_lo
	s_cbranch_execnz .LBB125_111
.LBB125_74:
	s_or_b32 exec_lo, exec_lo, s0
	s_and_saveexec_b32 s0, vcc_lo
	s_cbranch_execz .LBB125_76
.LBB125_75:
	v_lshl_add_u32 v12, v11, 2, v10
	ds_load_b32 v12, v12 offset:416
	s_waitcnt lgkmcnt(0)
	v_add_f32_e32 v6, v6, v12
.LBB125_76:
	s_or_b32 exec_lo, exec_lo, s0
.LBB125_77:
	s_delay_alu instid0(SALU_CYCLE_1)
	s_or_b32 exec_lo, exec_lo, s1
	v_and_b32_e32 v12, 0x3e3, v0
	s_mov_b32 s1, exec_lo
	s_barrier
	buffer_gl0_inv
	v_cmpx_eq_u32_e32 32, v12
	s_cbranch_execz .LBB125_79
; %bb.78:
	v_add3_u32 v18, v10, v18, 0xfffffe40
	ds_store_2addr_b32 v18, v17, v16 offset1:8
	ds_store_2addr_b32 v18, v15, v14 offset0:16 offset1:24
	ds_store_2addr_b32 v18, v13, v9 offset0:32 offset1:40
	;; [unrolled: 1-line block ×6, first 2 shown]
.LBB125_79:
	s_or_b32 exec_lo, exec_lo, s1
	s_delay_alu instid0(SALU_CYCLE_1)
	s_mov_b32 s1, exec_lo
	s_waitcnt lgkmcnt(0)
	s_barrier
	buffer_gl0_inv
	v_cmpx_gt_u32_e32 32, v0
	s_cbranch_execz .LBB125_96
; %bb.80:
	v_lshl_add_u32 v10, v11, 2, v10
	s_and_saveexec_b32 s0, vcc_lo
	s_cbranch_execnz .LBB125_112
; %bb.81:
	s_or_b32 exec_lo, exec_lo, s0
	s_and_saveexec_b32 s0, vcc_lo
	s_cbranch_execnz .LBB125_113
.LBB125_82:
	s_or_b32 exec_lo, exec_lo, s0
	s_and_saveexec_b32 s0, vcc_lo
	s_cbranch_execnz .LBB125_114
.LBB125_83:
	s_or_b32 exec_lo, exec_lo, s0
	s_and_saveexec_b32 s0, vcc_lo
	s_cbranch_execnz .LBB125_115
.LBB125_84:
	s_or_b32 exec_lo, exec_lo, s0
	s_and_saveexec_b32 s0, vcc_lo
	s_cbranch_execnz .LBB125_116
.LBB125_85:
	s_or_b32 exec_lo, exec_lo, s0
	s_and_saveexec_b32 s0, vcc_lo
	s_cbranch_execnz .LBB125_117
.LBB125_86:
	s_or_b32 exec_lo, exec_lo, s0
	s_and_saveexec_b32 s0, vcc_lo
	s_cbranch_execnz .LBB125_118
.LBB125_87:
	s_or_b32 exec_lo, exec_lo, s0
	s_and_saveexec_b32 s0, vcc_lo
	s_cbranch_execnz .LBB125_119
.LBB125_88:
	s_or_b32 exec_lo, exec_lo, s0
	s_and_saveexec_b32 s0, vcc_lo
	s_cbranch_execnz .LBB125_120
.LBB125_89:
	s_or_b32 exec_lo, exec_lo, s0
	s_and_saveexec_b32 s0, vcc_lo
	s_cbranch_execnz .LBB125_121
.LBB125_90:
	s_or_b32 exec_lo, exec_lo, s0
	s_and_saveexec_b32 s0, vcc_lo
	s_cbranch_execnz .LBB125_122
.LBB125_91:
	s_or_b32 exec_lo, exec_lo, s0
	s_and_saveexec_b32 s0, vcc_lo
	s_cbranch_execnz .LBB125_123
.LBB125_92:
	s_or_b32 exec_lo, exec_lo, s0
	s_and_saveexec_b32 s0, vcc_lo
	s_cbranch_execnz .LBB125_124
.LBB125_93:
	s_or_b32 exec_lo, exec_lo, s0
	s_and_saveexec_b32 s0, vcc_lo
	s_cbranch_execz .LBB125_95
.LBB125_94:
	ds_load_b32 v10, v10 offset:416
	s_waitcnt lgkmcnt(0)
	v_add_f32_e32 v6, v6, v10
.LBB125_95:
	s_or_b32 exec_lo, exec_lo, s0
.LBB125_96:
	s_delay_alu instid0(SALU_CYCLE_1)
	s_or_b32 exec_lo, exec_lo, s1
	s_barrier
	buffer_gl0_inv
	s_mov_b32 s0, exec_lo
	v_cmpx_eq_u32_e32 0, v12
	s_cbranch_execz .LBB125_98
; %bb.97:
	s_mul_i32 s0, s14, 0x70
	s_mul_i32 s2, s4, s16
	s_ashr_i32 s1, s0, 31
	v_lshrrev_b32_e32 v0, 1, v0
	s_lshl_b64 s[0:1], s[0:1], 1
	;;#ASMSTART
	v_cvt_f16_f32 v10, v17;

	;;#ASMEND
	s_add_u32 s4, s18, s0
	s_addc_u32 s5, s19, s1
	s_ashr_i32 s3, s2, 31
	s_delay_alu instid0(SALU_CYCLE_1) | instskip(SKIP_4) | instid1(SALU_CYCLE_1)
	s_lshl_b64 s[0:1], s[2:3], 1
	s_mul_i32 s2, s12, 0x70
	s_add_u32 s4, s4, s0
	s_addc_u32 s5, s5, s1
	s_ashr_i32 s3, s2, 31
	s_lshl_b64 s[0:1], s[2:3], 1
	s_delay_alu instid0(SALU_CYCLE_1)
	s_add_u32 s0, s4, s0
	s_addc_u32 s1, s5, s1
	global_store_b16 v0, v10, s[0:1]
	;;#ASMSTART
	v_cvt_f16_f32 v10, v16;

	;;#ASMEND
	global_store_b16 v0, v10, s[0:1] offset:16
	;;#ASMSTART
	v_cvt_f16_f32 v10, v15;

	;;#ASMEND
	global_store_b16 v0, v10, s[0:1] offset:32
	;;#ASMSTART
	v_cvt_f16_f32 v10, v14;

	;;#ASMEND
	global_store_b16 v0, v10, s[0:1] offset:48
	;;#ASMSTART
	v_cvt_f16_f32 v10, v13;

	;;#ASMEND
	global_store_b16 v0, v10, s[0:1] offset:64
	;;#ASMSTART
	v_cvt_f16_f32 v9, v9;

	;;#ASMEND
	global_store_b16 v0, v9, s[0:1] offset:80
	;;#ASMSTART
	v_cvt_f16_f32 v8, v8;

	;;#ASMEND
	global_store_b16 v0, v8, s[0:1] offset:96
	;;#ASMSTART
	v_cvt_f16_f32 v7, v7;

	;;#ASMEND
	global_store_b16 v0, v7, s[0:1] offset:112
	;;#ASMSTART
	v_cvt_f16_f32 v5, v5;

	;;#ASMEND
	global_store_b16 v0, v5, s[0:1] offset:128
	;;#ASMSTART
	v_cvt_f16_f32 v4, v4;

	;;#ASMEND
	global_store_b16 v0, v4, s[0:1] offset:144
	;;#ASMSTART
	v_cvt_f16_f32 v3, v3;

	;;#ASMEND
	global_store_b16 v0, v3, s[0:1] offset:160
	;;#ASMSTART
	v_cvt_f16_f32 v2, v2;

	;;#ASMEND
	global_store_b16 v0, v2, s[0:1] offset:176
	;;#ASMSTART
	v_cvt_f16_f32 v1, v1;

	;;#ASMEND
	global_store_b16 v0, v1, s[0:1] offset:192
	;;#ASMSTART
	v_cvt_f16_f32 v1, v6;

	;;#ASMEND
	global_store_b16 v0, v1, s[0:1] offset:208
.LBB125_98:
	s_nop 0
	s_sendmsg sendmsg(MSG_DEALLOC_VGPRS)
	s_endpgm
.LBB125_99:
	v_lshl_add_u32 v12, v11, 2, v10
	ds_load_b32 v12, v12
	s_waitcnt lgkmcnt(0)
	v_add_f32_e32 v17, v17, v12
	s_or_b32 exec_lo, exec_lo, s0
	s_and_saveexec_b32 s0, vcc_lo
	s_cbranch_execz .LBB125_63
.LBB125_100:
	v_lshl_add_u32 v12, v11, 2, v10
	ds_load_b32 v12, v12 offset:32
	s_waitcnt lgkmcnt(0)
	v_add_f32_e32 v16, v16, v12
	s_or_b32 exec_lo, exec_lo, s0
	s_and_saveexec_b32 s0, vcc_lo
	s_cbranch_execz .LBB125_64
.LBB125_101:
	v_lshl_add_u32 v12, v11, 2, v10
	ds_load_b32 v12, v12 offset:64
	s_waitcnt lgkmcnt(0)
	v_add_f32_e32 v15, v15, v12
	s_or_b32 exec_lo, exec_lo, s0
	s_and_saveexec_b32 s0, vcc_lo
	s_cbranch_execz .LBB125_65
.LBB125_102:
	v_lshl_add_u32 v12, v11, 2, v10
	ds_load_b32 v12, v12 offset:96
	s_waitcnt lgkmcnt(0)
	v_add_f32_e32 v14, v14, v12
	s_or_b32 exec_lo, exec_lo, s0
	s_and_saveexec_b32 s0, vcc_lo
	s_cbranch_execz .LBB125_66
.LBB125_103:
	v_lshl_add_u32 v12, v11, 2, v10
	ds_load_b32 v12, v12 offset:128
	s_waitcnt lgkmcnt(0)
	v_add_f32_e32 v13, v13, v12
	s_or_b32 exec_lo, exec_lo, s0
	s_and_saveexec_b32 s0, vcc_lo
	s_cbranch_execz .LBB125_67
.LBB125_104:
	v_lshl_add_u32 v12, v11, 2, v10
	ds_load_b32 v12, v12 offset:160
	s_waitcnt lgkmcnt(0)
	v_add_f32_e32 v9, v9, v12
	s_or_b32 exec_lo, exec_lo, s0
	s_and_saveexec_b32 s0, vcc_lo
	s_cbranch_execz .LBB125_68
.LBB125_105:
	v_lshl_add_u32 v12, v11, 2, v10
	ds_load_b32 v12, v12 offset:192
	s_waitcnt lgkmcnt(0)
	v_add_f32_e32 v8, v8, v12
	s_or_b32 exec_lo, exec_lo, s0
	s_and_saveexec_b32 s0, vcc_lo
	s_cbranch_execz .LBB125_69
.LBB125_106:
	v_lshl_add_u32 v12, v11, 2, v10
	ds_load_b32 v12, v12 offset:224
	s_waitcnt lgkmcnt(0)
	v_add_f32_e32 v7, v7, v12
	s_or_b32 exec_lo, exec_lo, s0
	s_and_saveexec_b32 s0, vcc_lo
	s_cbranch_execz .LBB125_70
.LBB125_107:
	v_lshl_add_u32 v12, v11, 2, v10
	ds_load_b32 v12, v12 offset:256
	s_waitcnt lgkmcnt(0)
	v_add_f32_e32 v5, v5, v12
	s_or_b32 exec_lo, exec_lo, s0
	s_and_saveexec_b32 s0, vcc_lo
	s_cbranch_execz .LBB125_71
.LBB125_108:
	v_lshl_add_u32 v12, v11, 2, v10
	ds_load_b32 v12, v12 offset:288
	s_waitcnt lgkmcnt(0)
	v_add_f32_e32 v4, v4, v12
	s_or_b32 exec_lo, exec_lo, s0
	s_and_saveexec_b32 s0, vcc_lo
	s_cbranch_execz .LBB125_72
.LBB125_109:
	v_lshl_add_u32 v12, v11, 2, v10
	ds_load_b32 v12, v12 offset:320
	s_waitcnt lgkmcnt(0)
	v_add_f32_e32 v3, v3, v12
	s_or_b32 exec_lo, exec_lo, s0
	s_and_saveexec_b32 s0, vcc_lo
	s_cbranch_execz .LBB125_73
.LBB125_110:
	v_lshl_add_u32 v12, v11, 2, v10
	ds_load_b32 v12, v12 offset:352
	s_waitcnt lgkmcnt(0)
	v_add_f32_e32 v2, v2, v12
	s_or_b32 exec_lo, exec_lo, s0
	s_and_saveexec_b32 s0, vcc_lo
	s_cbranch_execz .LBB125_74
.LBB125_111:
	v_lshl_add_u32 v12, v11, 2, v10
	ds_load_b32 v12, v12 offset:384
	s_waitcnt lgkmcnt(0)
	v_add_f32_e32 v1, v1, v12
	s_or_b32 exec_lo, exec_lo, s0
	s_and_saveexec_b32 s0, vcc_lo
	s_cbranch_execnz .LBB125_75
	s_branch .LBB125_76
.LBB125_112:
	ds_load_b32 v11, v10
	s_waitcnt lgkmcnt(0)
	v_add_f32_e32 v17, v17, v11
	s_or_b32 exec_lo, exec_lo, s0
	s_and_saveexec_b32 s0, vcc_lo
	s_cbranch_execz .LBB125_82
.LBB125_113:
	ds_load_b32 v11, v10 offset:32
	s_waitcnt lgkmcnt(0)
	v_add_f32_e32 v16, v16, v11
	s_or_b32 exec_lo, exec_lo, s0
	s_and_saveexec_b32 s0, vcc_lo
	s_cbranch_execz .LBB125_83
.LBB125_114:
	ds_load_b32 v11, v10 offset:64
	s_waitcnt lgkmcnt(0)
	v_add_f32_e32 v15, v15, v11
	s_or_b32 exec_lo, exec_lo, s0
	s_and_saveexec_b32 s0, vcc_lo
	s_cbranch_execz .LBB125_84
.LBB125_115:
	ds_load_b32 v11, v10 offset:96
	s_waitcnt lgkmcnt(0)
	v_add_f32_e32 v14, v14, v11
	s_or_b32 exec_lo, exec_lo, s0
	s_and_saveexec_b32 s0, vcc_lo
	s_cbranch_execz .LBB125_85
.LBB125_116:
	ds_load_b32 v11, v10 offset:128
	s_waitcnt lgkmcnt(0)
	v_add_f32_e32 v13, v13, v11
	s_or_b32 exec_lo, exec_lo, s0
	s_and_saveexec_b32 s0, vcc_lo
	s_cbranch_execz .LBB125_86
.LBB125_117:
	ds_load_b32 v11, v10 offset:160
	s_waitcnt lgkmcnt(0)
	v_add_f32_e32 v9, v9, v11
	s_or_b32 exec_lo, exec_lo, s0
	s_and_saveexec_b32 s0, vcc_lo
	s_cbranch_execz .LBB125_87
.LBB125_118:
	ds_load_b32 v11, v10 offset:192
	s_waitcnt lgkmcnt(0)
	v_add_f32_e32 v8, v8, v11
	s_or_b32 exec_lo, exec_lo, s0
	s_and_saveexec_b32 s0, vcc_lo
	s_cbranch_execz .LBB125_88
.LBB125_119:
	ds_load_b32 v11, v10 offset:224
	s_waitcnt lgkmcnt(0)
	v_add_f32_e32 v7, v7, v11
	s_or_b32 exec_lo, exec_lo, s0
	s_and_saveexec_b32 s0, vcc_lo
	s_cbranch_execz .LBB125_89
.LBB125_120:
	ds_load_b32 v11, v10 offset:256
	s_waitcnt lgkmcnt(0)
	v_add_f32_e32 v5, v5, v11
	s_or_b32 exec_lo, exec_lo, s0
	s_and_saveexec_b32 s0, vcc_lo
	s_cbranch_execz .LBB125_90
.LBB125_121:
	ds_load_b32 v11, v10 offset:288
	s_waitcnt lgkmcnt(0)
	v_add_f32_e32 v4, v4, v11
	s_or_b32 exec_lo, exec_lo, s0
	s_and_saveexec_b32 s0, vcc_lo
	s_cbranch_execz .LBB125_91
.LBB125_122:
	ds_load_b32 v11, v10 offset:320
	s_waitcnt lgkmcnt(0)
	v_add_f32_e32 v3, v3, v11
	s_or_b32 exec_lo, exec_lo, s0
	s_and_saveexec_b32 s0, vcc_lo
	s_cbranch_execz .LBB125_92
.LBB125_123:
	ds_load_b32 v11, v10 offset:352
	s_waitcnt lgkmcnt(0)
	v_add_f32_e32 v2, v2, v11
	s_or_b32 exec_lo, exec_lo, s0
	s_and_saveexec_b32 s0, vcc_lo
	s_cbranch_execz .LBB125_93
.LBB125_124:
	ds_load_b32 v11, v10 offset:384
	s_waitcnt lgkmcnt(0)
	v_add_f32_e32 v1, v1, v11
	s_or_b32 exec_lo, exec_lo, s0
	s_and_saveexec_b32 s0, vcc_lo
	s_cbranch_execnz .LBB125_94
	s_branch .LBB125_95
	.section	.rodata,"a",@progbits
	.p2align	6, 0x0
	.amdhsa_kernel _ZN4vllm25paged_attention_v2_kernelIttLi112ELi32ELi128ELNS_18Fp8KVCacheDataTypeE0ELb0ELi512EEEvPfS2_PT_PKS3_PKT0_S9_ifPKiSB_iPKfiiiSD_SD_iiiii
		.amdhsa_group_segment_fixed_size 256
		.amdhsa_private_segment_fixed_size 0
		.amdhsa_kernarg_size 400
		.amdhsa_user_sgpr_count 13
		.amdhsa_user_sgpr_dispatch_ptr 0
		.amdhsa_user_sgpr_queue_ptr 0
		.amdhsa_user_sgpr_kernarg_segment_ptr 1
		.amdhsa_user_sgpr_dispatch_id 0
		.amdhsa_user_sgpr_private_segment_size 0
		.amdhsa_wavefront_size32 1
		.amdhsa_uses_dynamic_stack 0
		.amdhsa_enable_private_segment 0
		.amdhsa_system_sgpr_workgroup_id_x 1
		.amdhsa_system_sgpr_workgroup_id_y 1
		.amdhsa_system_sgpr_workgroup_id_z 1
		.amdhsa_system_sgpr_workgroup_info 0
		.amdhsa_system_vgpr_workitem_id 0
		.amdhsa_next_free_vgpr 158
		.amdhsa_next_free_sgpr 38
		.amdhsa_reserve_vcc 1
		.amdhsa_float_round_mode_32 0
		.amdhsa_float_round_mode_16_64 0
		.amdhsa_float_denorm_mode_32 3
		.amdhsa_float_denorm_mode_16_64 3
		.amdhsa_dx10_clamp 1
		.amdhsa_ieee_mode 1
		.amdhsa_fp16_overflow 0
		.amdhsa_workgroup_processor_mode 1
		.amdhsa_memory_ordered 1
		.amdhsa_forward_progress 0
		.amdhsa_shared_vgpr_count 0
		.amdhsa_exception_fp_ieee_invalid_op 0
		.amdhsa_exception_fp_denorm_src 0
		.amdhsa_exception_fp_ieee_div_zero 0
		.amdhsa_exception_fp_ieee_overflow 0
		.amdhsa_exception_fp_ieee_underflow 0
		.amdhsa_exception_fp_ieee_inexact 0
		.amdhsa_exception_int_div_zero 0
	.end_amdhsa_kernel
	.section	.text._ZN4vllm25paged_attention_v2_kernelIttLi112ELi32ELi128ELNS_18Fp8KVCacheDataTypeE0ELb0ELi512EEEvPfS2_PT_PKS3_PKT0_S9_ifPKiSB_iPKfiiiSD_SD_iiiii,"axG",@progbits,_ZN4vllm25paged_attention_v2_kernelIttLi112ELi32ELi128ELNS_18Fp8KVCacheDataTypeE0ELb0ELi512EEEvPfS2_PT_PKS3_PKT0_S9_ifPKiSB_iPKfiiiSD_SD_iiiii,comdat
.Lfunc_end125:
	.size	_ZN4vllm25paged_attention_v2_kernelIttLi112ELi32ELi128ELNS_18Fp8KVCacheDataTypeE0ELb0ELi512EEEvPfS2_PT_PKS3_PKT0_S9_ifPKiSB_iPKfiiiSD_SD_iiiii, .Lfunc_end125-_ZN4vllm25paged_attention_v2_kernelIttLi112ELi32ELi128ELNS_18Fp8KVCacheDataTypeE0ELb0ELi512EEEvPfS2_PT_PKS3_PKT0_S9_ifPKiSB_iPKfiiiSD_SD_iiiii
                                        ; -- End function
	.section	.AMDGPU.csdata,"",@progbits
; Kernel info:
; codeLenInByte = 18216
; NumSgprs: 40
; NumVgprs: 158
; ScratchSize: 0
; MemoryBound: 0
; FloatMode: 240
; IeeeMode: 1
; LDSByteSize: 256 bytes/workgroup (compile time only)
; SGPRBlocks: 4
; VGPRBlocks: 19
; NumSGPRsForWavesPerEU: 40
; NumVGPRsForWavesPerEU: 158
; Occupancy: 9
; WaveLimiterHint : 1
; COMPUTE_PGM_RSRC2:SCRATCH_EN: 0
; COMPUTE_PGM_RSRC2:USER_SGPR: 13
; COMPUTE_PGM_RSRC2:TRAP_HANDLER: 0
; COMPUTE_PGM_RSRC2:TGID_X_EN: 1
; COMPUTE_PGM_RSRC2:TGID_Y_EN: 1
; COMPUTE_PGM_RSRC2:TGID_Z_EN: 1
; COMPUTE_PGM_RSRC2:TIDIG_COMP_CNT: 0
	.section	.text._ZN4vllm25paged_attention_v2_kernelIttLi120ELi32ELi128ELNS_18Fp8KVCacheDataTypeE0ELb0ELi512EEEvPfS2_PT_PKS3_PKT0_S9_ifPKiSB_iPKfiiiSD_SD_iiiii,"axG",@progbits,_ZN4vllm25paged_attention_v2_kernelIttLi120ELi32ELi128ELNS_18Fp8KVCacheDataTypeE0ELb0ELi512EEEvPfS2_PT_PKS3_PKT0_S9_ifPKiSB_iPKfiiiSD_SD_iiiii,comdat
	.protected	_ZN4vllm25paged_attention_v2_kernelIttLi120ELi32ELi128ELNS_18Fp8KVCacheDataTypeE0ELb0ELi512EEEvPfS2_PT_PKS3_PKT0_S9_ifPKiSB_iPKfiiiSD_SD_iiiii ; -- Begin function _ZN4vllm25paged_attention_v2_kernelIttLi120ELi32ELi128ELNS_18Fp8KVCacheDataTypeE0ELb0ELi512EEEvPfS2_PT_PKS3_PKT0_S9_ifPKiSB_iPKfiiiSD_SD_iiiii
	.globl	_ZN4vllm25paged_attention_v2_kernelIttLi120ELi32ELi128ELNS_18Fp8KVCacheDataTypeE0ELb0ELi512EEEvPfS2_PT_PKS3_PKT0_S9_ifPKiSB_iPKfiiiSD_SD_iiiii
	.p2align	8
	.type	_ZN4vllm25paged_attention_v2_kernelIttLi120ELi32ELi128ELNS_18Fp8KVCacheDataTypeE0ELb0ELi512EEEvPfS2_PT_PKS3_PKT0_S9_ifPKiSB_iPKfiiiSD_SD_iiiii,@function
_ZN4vllm25paged_attention_v2_kernelIttLi120ELi32ELi128ELNS_18Fp8KVCacheDataTypeE0ELb0ELi512EEEvPfS2_PT_PKS3_PKT0_S9_ifPKiSB_iPKfiiiSD_SD_iiiii: ; @_ZN4vllm25paged_attention_v2_kernelIttLi120ELi32ELi128ELNS_18Fp8KVCacheDataTypeE0ELb0ELi512EEEvPfS2_PT_PKS3_PKT0_S9_ifPKiSB_iPKfiiiSD_SD_iiiii
; %bb.0:
	s_load_b64 s[2:3], s[0:1], 0x40
	s_mov_b32 s12, s15
	s_ashr_i32 s15, s14, 31
	s_delay_alu instid0(SALU_CYCLE_1)
	s_lshl_b64 s[4:5], s[14:15], 2
	s_waitcnt lgkmcnt(0)
	s_add_u32 s2, s2, s4
	s_addc_u32 s3, s3, s5
	s_lshl_b32 s29, s12, 9
	s_load_b32 s28, s[2:3], 0x0
	s_waitcnt lgkmcnt(0)
	s_cmp_ge_i32 s29, s28
	s_cbranch_scc1 .LBB126_102
; %bb.1:
	s_mov_b32 s22, s13
	s_clause 0x1
	s_load_b32 s13, s[0:1], 0x90
	s_load_b64 s[2:3], s[0:1], 0x30
	s_mov_b32 s30, 0
	s_waitcnt lgkmcnt(0)
	s_abs_i32 s7, s13
	s_abs_i32 s4, s2
	s_xor_b32 s2, s13, s2
	v_cvt_f32_u32_e32 v1, s4
	s_sub_i32 s6, 0, s4
	s_ashr_i32 s2, s2, 31
	s_delay_alu instid0(VALU_DEP_1) | instskip(SKIP_2) | instid1(VALU_DEP_1)
	v_rcp_iflag_f32_e32 v1, v1
	s_waitcnt_depctr 0xfff
	v_mul_f32_e32 v1, 0x4f7ffffe, v1
	v_cvt_u32_f32_e32 v1, v1
	s_delay_alu instid0(VALU_DEP_1) | instskip(NEXT) | instid1(VALU_DEP_1)
	v_readfirstlane_b32 s5, v1
	s_mul_i32 s6, s6, s5
	s_delay_alu instid0(SALU_CYCLE_1) | instskip(NEXT) | instid1(SALU_CYCLE_1)
	s_mul_hi_u32 s6, s5, s6
	s_add_i32 s5, s5, s6
	s_delay_alu instid0(SALU_CYCLE_1) | instskip(NEXT) | instid1(SALU_CYCLE_1)
	s_mul_hi_u32 s5, s7, s5
	s_mul_i32 s6, s5, s4
	s_delay_alu instid0(SALU_CYCLE_1)
	s_sub_i32 s6, s7, s6
	s_add_i32 s7, s5, 1
	s_sub_i32 s8, s6, s4
	s_cmp_ge_u32 s6, s4
	s_cselect_b32 s5, s7, s5
	s_cselect_b32 s6, s8, s6
	s_add_i32 s7, s5, 1
	s_cmp_ge_u32 s6, s4
	s_cselect_b32 s4, s7, s5
	s_abs_i32 s27, s22
	s_xor_b32 s4, s4, s2
	s_delay_alu instid0(SALU_CYCLE_1) | instskip(SKIP_2) | instid1(SALU_CYCLE_1)
	s_sub_i32 s8, s4, s2
	s_load_b64 s[4:5], s[0:1], 0x50
	s_abs_i32 s2, s8
	v_cvt_f32_u32_e32 v1, s2
	s_sub_i32 s7, 0, s2
	s_delay_alu instid0(VALU_DEP_1) | instskip(SKIP_2) | instid1(VALU_DEP_1)
	v_rcp_iflag_f32_e32 v1, v1
	s_waitcnt_depctr 0xfff
	v_mul_f32_e32 v1, 0x4f7ffffe, v1
	v_cvt_u32_f32_e32 v1, v1
	s_delay_alu instid0(VALU_DEP_1) | instskip(NEXT) | instid1(VALU_DEP_1)
	v_readfirstlane_b32 s6, v1
	s_mul_i32 s7, s7, s6
	s_delay_alu instid0(SALU_CYCLE_1) | instskip(NEXT) | instid1(SALU_CYCLE_1)
	s_mul_hi_u32 s7, s6, s7
	s_add_i32 s6, s6, s7
	s_waitcnt lgkmcnt(0)
	s_cmp_eq_u64 s[4:5], 0
	s_mul_hi_u32 s26, s27, s6
	s_cbranch_scc1 .LBB126_3
; %bb.2:
	s_ashr_i32 s23, s22, 31
	s_delay_alu instid0(SALU_CYCLE_1) | instskip(NEXT) | instid1(SALU_CYCLE_1)
	s_lshl_b64 s[6:7], s[22:23], 2
	s_add_u32 s4, s4, s6
	s_addc_u32 s5, s5, s7
	s_load_b32 s30, s[4:5], 0x0
.LBB126_3:
	s_clause 0x1
	s_load_b64 s[20:21], s[0:1], 0x38
	s_load_b128 s[4:7], s[0:1], 0x58
	s_waitcnt lgkmcnt(0)
	s_ashr_i32 s7, s22, 31
	s_ashr_i32 s31, s8, 31
	s_mul_i32 s16, s22, 0x78
	s_mov_b32 s8, exec_lo
	v_cmpx_gt_u32_e32 15, v0
	s_cbranch_execz .LBB126_5
; %bb.4:
	s_load_b64 s[10:11], s[0:1], 0x18
	s_mul_i32 s18, s14, s4
	v_lshlrev_b32_e32 v5, 4, v0
	s_ashr_i32 s19, s18, 31
	s_delay_alu instid0(SALU_CYCLE_1) | instskip(SKIP_4) | instid1(SALU_CYCLE_1)
	s_lshl_b64 s[18:19], s[18:19], 1
	s_waitcnt lgkmcnt(0)
	s_add_u32 s4, s10, s18
	s_addc_u32 s9, s11, s19
	s_ashr_i32 s17, s16, 31
	s_lshl_b64 s[10:11], s[16:17], 1
	s_delay_alu instid0(SALU_CYCLE_1)
	s_add_u32 s10, s4, s10
	s_addc_u32 s11, s9, s11
	global_load_b128 v[1:4], v5, s[10:11]
	s_waitcnt vmcnt(0)
	ds_store_b128 v5, v[1:4]
.LBB126_5:
	s_or_b32 exec_lo, exec_lo, s8
	s_add_i32 s4, s28, 31
	s_clause 0x1
	s_load_b128 s[8:11], s[0:1], 0x0
	s_load_b64 s[18:19], s[0:1], 0x10
	s_ashr_i32 s15, s4, 31
	s_mul_i32 s34, s26, s2
	s_lshr_b32 s17, s15, 27
	s_lshl_b32 s15, s12, 4
	s_add_i32 s4, s4, s17
	s_load_b64 s[24:25], s[0:1], 0x28
	s_ashr_i32 s23, s4, 5
	s_clause 0x1
	s_load_b32 s4, s[0:1], 0x98
	s_load_b32 s33, s[0:1], 0x48
	s_add_i32 s17, s15, 16
	s_sub_i32 s27, s27, s34
	s_min_i32 s17, s17, s23
	s_xor_b32 s7, s7, s31
	s_add_i32 s31, s26, 1
	s_sub_i32 s34, s27, s2
	s_cmp_ge_u32 s27, s2
	v_lshrrev_b32_e32 v61, 5, v0
	s_cselect_b32 s26, s31, s26
	s_cselect_b32 s27, s34, s27
	s_add_i32 s31, s26, 1
	s_cmp_ge_u32 s27, s2
	v_add_nc_u32_e32 v57, s15, v61
	v_dual_mov_b32 v65, 0xff7fffff :: v_dual_and_b32 v62, 31, v0
	s_cselect_b32 s2, s31, s26
	v_lshlrev_b32_e32 v63, 5, v61
	s_xor_b32 s2, s2, s7
	v_ashrrev_i32_e32 v58, 31, v57
	s_sub_i32 s7, s2, s7
	v_cmp_gt_i32_e64 s2, s17, v57
	v_lshlrev_b32_e32 v64, 2, v62
	s_waitcnt lgkmcnt(0)
	s_mul_i32 s26, s14, s33
	s_mul_i32 s6, s7, s6
	s_ashr_i32 s27, s26, 31
	s_barrier
	buffer_gl0_inv
	s_and_saveexec_b32 s31, s2
	s_cbranch_execz .LBB126_9
; %bb.6:
	s_load_b64 s[0:1], s[0:1], 0x20
	s_ashr_i32 s7, s6, 31
	v_dual_mov_b32 v66, 0 :: v_dual_lshlrev_b32 v3, 4, v62
	s_lshl_b64 s[34:35], s[6:7], 1
	v_lshlrev_b64 v[1:2], 2, v[57:58]
	v_lshl_or_b32 v4, v61, 7, v64
	v_cmp_neq_f32_e64 vcc_lo, s30, 0
	v_add3_u32 v67, s29, v63, v62
	v_mov_b32_e32 v65, 0xff7fffff
	s_delay_alu instid0(VALU_DEP_4)
	v_dual_mov_b32 v71, v57 :: v_dual_add_nc_u32 v68, 0x110, v4
	s_mov_b32 s33, s5
	s_waitcnt lgkmcnt(0)
	s_add_u32 s0, s0, s34
	s_addc_u32 s7, s1, s35
	s_lshl_b64 s[34:35], s[26:27], 2
	v_add_co_u32 v69, s0, s0, v3
	s_sub_i32 s1, 1, s28
	v_add_co_ci_u32_e64 v70, null, s7, 0, s0
	s_add_u32 s0, s20, s34
	s_addc_u32 s7, s21, s35
	v_add_co_u32 v59, s0, s0, v1
	s_delay_alu instid0(VALU_DEP_1)
	v_add_co_ci_u32_e64 v60, s0, s7, v2, s0
	s_mov_b32 s7, 0
.LBB126_7:                              ; =>This Inner Loop Header: Depth=1
	global_load_b32 v3, v[59:60], off
	v_add_nc_u32_e32 v71, 4, v71
	s_waitcnt vmcnt(0)
	v_mad_i64_i32 v[1:2], null, v3, s33, 0
	v_add_nc_u32_e32 v3, s1, v67
	s_delay_alu instid0(VALU_DEP_1) | instskip(NEXT) | instid1(VALU_DEP_3)
	v_cvt_f32_i32_e32 v3, v3
	v_lshlrev_b64 v[1:2], 1, v[1:2]
	s_delay_alu instid0(VALU_DEP_2) | instskip(NEXT) | instid1(VALU_DEP_2)
	v_mul_f32_e32 v3, s30, v3
	v_add_co_u32 v1, s0, v69, v1
	s_delay_alu instid0(VALU_DEP_1)
	v_add_co_ci_u32_e64 v2, s0, v70, v2, s0
	s_clause 0x7
	global_load_b128 v[73:76], v[1:2], off
	global_load_b128 v[53:56], v[1:2], off offset:512
	global_load_b128 v[49:52], v[1:2], off offset:1024
	;; [unrolled: 1-line block ×7, first 2 shown]
	v_add_co_u32 v1, s0, 0x1000, v1
	s_delay_alu instid0(VALU_DEP_1)
	v_add_co_ci_u32_e64 v2, s0, 0, v2, s0
	v_cndmask_b32_e32 v72, 0, v3, vcc_lo
	s_clause 0x6
	global_load_b128 v[25:28], v[1:2], off
	global_load_b128 v[21:24], v[1:2], off offset:512
	global_load_b128 v[17:20], v[1:2], off offset:1024
	;; [unrolled: 1-line block ×6, first 2 shown]
	ds_load_b128 v[77:80], v66
	v_cmp_gt_i32_e64 s0, s28, v67
	v_add_nc_u32_e32 v67, 0x80, v67
	s_waitcnt lgkmcnt(0)
	v_lshrrev_b32_e32 v81, 16, v77
	v_and_b32_e32 v77, 0xffff, v77
	;;#ASMSTART
	v_cvt_f32_f16 v77, v77;
	;;#ASMEND
	;;#ASMSTART
	v_cvt_f32_f16 v81, v81;
	;;#ASMEND
	s_waitcnt vmcnt(14)
	v_lshrrev_b32_e32 v82, 16, v73
	v_and_b32_e32 v73, 0xffff, v73
	;;#ASMSTART
	v_cvt_f32_f16 v83, v73;
	;;#ASMEND
	v_lshrrev_b32_e32 v73, 16, v78
	v_and_b32_e32 v78, 0xffff, v78
	;;#ASMSTART
	v_cvt_f32_f16 v82, v82;
	;;#ASMEND
	;;#ASMSTART
	v_cvt_f32_f16 v78, v78;
	;;#ASMEND
	;; [unrolled: 3-line block ×3, first 2 shown]
	v_lshrrev_b32_e32 v73, 16, v74
	v_and_b32_e32 v74, 0xffff, v74
	;;#ASMSTART
	v_cvt_f32_f16 v85, v74;
	;;#ASMEND
	;;#ASMSTART
	v_cvt_f32_f16 v86, v73;
	;;#ASMEND
	v_lshrrev_b32_e32 v73, 16, v79
	v_and_b32_e32 v74, 0xffff, v79
	;;#ASMSTART
	v_cvt_f32_f16 v79, v74;
	;;#ASMEND
	;;#ASMSTART
	v_cvt_f32_f16 v87, v73;
	;;#ASMEND
	;; [unrolled: 8-line block ×5, first 2 shown]
	ds_load_b128 v[73:76], v66 offset:16
	s_waitcnt vmcnt(13)
	v_lshrrev_b32_e32 v94, 16, v53
	v_and_b32_e32 v53, 0xffff, v53
	s_waitcnt lgkmcnt(0)
	v_lshrrev_b32_e32 v93, 16, v73
	v_and_b32_e32 v73, 0xffff, v73
	;;#ASMSTART
	v_cvt_f32_f16 v73, v73;
	;;#ASMEND
	;;#ASMSTART
	v_cvt_f32_f16 v93, v93;
	;;#ASMEND
	;; [unrolled: 3-line block ×4, first 2 shown]
	v_mul_f32_e32 v53, v73, v53
	v_mul_f32_e32 v73, v93, v94
	s_delay_alu instid0(VALU_DEP_2) | instskip(NEXT) | instid1(VALU_DEP_2)
	v_fmac_f32_e32 v53, v77, v83
	v_fmac_f32_e32 v73, v81, v82
	v_lshrrev_b32_e32 v77, 16, v74
	v_and_b32_e32 v74, 0xffff, v74
	v_lshrrev_b32_e32 v81, 16, v54
	v_and_b32_e32 v54, 0xffff, v54
	;;#ASMSTART
	v_cvt_f32_f16 v74, v74;
	;;#ASMEND
	;;#ASMSTART
	v_cvt_f32_f16 v77, v77;
	;;#ASMEND
	;; [unrolled: 3-line block ×3, first 2 shown]
	s_delay_alu instid0(VALU_DEP_1) | instskip(SKIP_3) | instid1(VALU_DEP_3)
	v_mul_f32_e32 v54, v74, v54
	;;#ASMSTART
	v_cvt_f32_f16 v81, v81;
	;;#ASMEND
	v_mul_f32_e32 v74, v77, v81
	v_lshrrev_b32_e32 v77, 16, v75
	v_dual_fmac_f32 v54, v78, v85 :: v_dual_and_b32 v75, 0xffff, v75
	v_lshrrev_b32_e32 v78, 16, v55
	v_and_b32_e32 v55, 0xffff, v55
	;;#ASMSTART
	v_cvt_f32_f16 v75, v75;
	;;#ASMEND
	;;#ASMSTART
	v_cvt_f32_f16 v77, v77;
	;;#ASMEND
	;; [unrolled: 3-line block ×4, first 2 shown]
	v_mul_f32_e32 v55, v75, v55
	v_mul_f32_e32 v75, v77, v78
	v_lshrrev_b32_e32 v77, 16, v76
	v_and_b32_e32 v76, 0xffff, v76
	v_lshrrev_b32_e32 v78, 16, v56
	v_and_b32_e32 v56, 0xffff, v56
	;;#ASMSTART
	v_cvt_f32_f16 v76, v76;
	;;#ASMEND
	;;#ASMSTART
	v_cvt_f32_f16 v77, v77;
	;;#ASMEND
	;; [unrolled: 3-line block ×3, first 2 shown]
	s_delay_alu instid0(VALU_DEP_1) | instskip(SKIP_3) | instid1(VALU_DEP_3)
	v_mul_f32_e32 v56, v76, v56
	;;#ASMSTART
	v_cvt_f32_f16 v78, v78;
	;;#ASMEND
	v_dual_fmac_f32 v55, v79, v88 :: v_dual_mul_f32 v76, v77, v78
	v_fmac_f32_e32 v74, v84, v86
	v_fmac_f32_e32 v56, v80, v91
	ds_load_b128 v[77:80], v66 offset:32
	s_waitcnt vmcnt(12)
	v_lshrrev_b32_e32 v82, 16, v49
	v_and_b32_e32 v49, 0xffff, v49
	v_fmac_f32_e32 v75, v87, v89
	s_waitcnt lgkmcnt(0)
	v_lshrrev_b32_e32 v81, 16, v77
	v_dual_fmac_f32 v76, v90, v92 :: v_dual_and_b32 v77, 0xffff, v77
	;;#ASMSTART
	v_cvt_f32_f16 v77, v77;
	;;#ASMEND
	;;#ASMSTART
	v_cvt_f32_f16 v81, v81;
	;;#ASMEND
	;; [unrolled: 3-line block ×3, first 2 shown]
	s_delay_alu instid0(VALU_DEP_1)
	v_fmac_f32_e32 v53, v77, v49
	v_lshrrev_b32_e32 v49, 16, v78
	v_and_b32_e32 v77, 0xffff, v78
	v_lshrrev_b32_e32 v78, 16, v50
	v_and_b32_e32 v50, 0xffff, v50
	;;#ASMSTART
	v_cvt_f32_f16 v82, v82;
	;;#ASMEND
	;;#ASMSTART
	v_cvt_f32_f16 v77, v77;
	;;#ASMEND
	;; [unrolled: 3-line block ×4, first 2 shown]
	v_fmac_f32_e32 v73, v81, v82
	v_fmac_f32_e32 v54, v77, v50
	v_and_b32_e32 v50, 0xffff, v79
	;;#ASMSTART
	v_cvt_f32_f16 v78, v78;
	;;#ASMEND
	;;#ASMSTART
	v_cvt_f32_f16 v50, v50;
	;;#ASMEND
	v_fmac_f32_e32 v74, v49, v78
	v_lshrrev_b32_e32 v49, 16, v79
	v_lshrrev_b32_e32 v77, 16, v51
	v_and_b32_e32 v51, 0xffff, v51
	;;#ASMSTART
	v_cvt_f32_f16 v49, v49;
	;;#ASMEND
	;;#ASMSTART
	v_cvt_f32_f16 v51, v51;
	;;#ASMEND
	s_delay_alu instid0(VALU_DEP_1)
	v_fmac_f32_e32 v55, v50, v51
	;;#ASMSTART
	v_cvt_f32_f16 v77, v77;
	;;#ASMEND
	v_fmac_f32_e32 v75, v49, v77
	v_lshrrev_b32_e32 v49, 16, v80
	v_and_b32_e32 v50, 0xffff, v80
	v_lshrrev_b32_e32 v51, 16, v52
	v_and_b32_e32 v52, 0xffff, v52
	;;#ASMSTART
	v_cvt_f32_f16 v50, v50;
	;;#ASMEND
	;;#ASMSTART
	v_cvt_f32_f16 v49, v49;
	;;#ASMEND
	;; [unrolled: 3-line block ×4, first 2 shown]
	v_fmac_f32_e32 v56, v50, v52
	v_fmac_f32_e32 v76, v49, v51
	ds_load_b128 v[49:52], v66 offset:48
	s_waitcnt vmcnt(11)
	v_lshrrev_b32_e32 v78, 16, v45
	v_and_b32_e32 v45, 0xffff, v45
	s_waitcnt lgkmcnt(0)
	v_lshrrev_b32_e32 v77, 16, v49
	v_and_b32_e32 v49, 0xffff, v49
	;;#ASMSTART
	v_cvt_f32_f16 v49, v49;
	;;#ASMEND
	;;#ASMSTART
	v_cvt_f32_f16 v77, v77;
	;;#ASMEND
	;; [unrolled: 3-line block ×3, first 2 shown]
	s_delay_alu instid0(VALU_DEP_1)
	v_fmac_f32_e32 v53, v49, v45
	v_lshrrev_b32_e32 v45, 16, v50
	v_and_b32_e32 v49, 0xffff, v50
	v_lshrrev_b32_e32 v50, 16, v46
	v_and_b32_e32 v46, 0xffff, v46
	;;#ASMSTART
	v_cvt_f32_f16 v78, v78;
	;;#ASMEND
	;;#ASMSTART
	v_cvt_f32_f16 v49, v49;
	;;#ASMEND
	;; [unrolled: 3-line block ×5, first 2 shown]
	v_fmac_f32_e32 v54, v49, v46
	v_fmac_f32_e32 v74, v45, v50
	v_lshrrev_b32_e32 v45, 16, v51
	v_and_b32_e32 v46, 0xffff, v51
	v_lshrrev_b32_e32 v49, 16, v47
	v_and_b32_e32 v47, 0xffff, v47
	;;#ASMSTART
	v_cvt_f32_f16 v46, v46;
	;;#ASMEND
	;;#ASMSTART
	v_cvt_f32_f16 v45, v45;
	;;#ASMEND
	;; [unrolled: 3-line block ×3, first 2 shown]
	v_fmac_f32_e32 v73, v77, v78
	;;#ASMSTART
	v_cvt_f32_f16 v49, v49;
	;;#ASMEND
	v_dual_fmac_f32 v55, v46, v47 :: v_dual_and_b32 v46, 0xffff, v52
	v_fmac_f32_e32 v75, v45, v49
	v_lshrrev_b32_e32 v45, 16, v52
	v_lshrrev_b32_e32 v47, 16, v48
	v_and_b32_e32 v48, 0xffff, v48
	;;#ASMSTART
	v_cvt_f32_f16 v46, v46;
	;;#ASMEND
	;;#ASMSTART
	v_cvt_f32_f16 v45, v45;
	;;#ASMEND
	;; [unrolled: 3-line block ×4, first 2 shown]
	v_fmac_f32_e32 v56, v46, v48
	v_fmac_f32_e32 v76, v45, v47
	ds_load_b128 v[45:48], v66 offset:64
	s_waitcnt vmcnt(10)
	v_lshrrev_b32_e32 v50, 16, v41
	v_and_b32_e32 v41, 0xffff, v41
	s_waitcnt lgkmcnt(0)
	v_lshrrev_b32_e32 v49, 16, v45
	v_and_b32_e32 v45, 0xffff, v45
	;;#ASMSTART
	v_cvt_f32_f16 v45, v45;
	;;#ASMEND
	;;#ASMSTART
	v_cvt_f32_f16 v49, v49;
	;;#ASMEND
	;; [unrolled: 3-line block ×3, first 2 shown]
	s_delay_alu instid0(VALU_DEP_1)
	v_fmac_f32_e32 v53, v45, v41
	v_lshrrev_b32_e32 v41, 16, v46
	v_and_b32_e32 v45, 0xffff, v46
	v_lshrrev_b32_e32 v46, 16, v42
	v_and_b32_e32 v42, 0xffff, v42
	;;#ASMSTART
	v_cvt_f32_f16 v50, v50;
	;;#ASMEND
	;;#ASMSTART
	v_cvt_f32_f16 v45, v45;
	;;#ASMEND
	;; [unrolled: 3-line block ×5, first 2 shown]
	v_fmac_f32_e32 v54, v45, v42
	v_fmac_f32_e32 v74, v41, v46
	v_lshrrev_b32_e32 v41, 16, v47
	v_and_b32_e32 v42, 0xffff, v47
	v_lshrrev_b32_e32 v45, 16, v43
	v_and_b32_e32 v43, 0xffff, v43
	;;#ASMSTART
	v_cvt_f32_f16 v42, v42;
	;;#ASMEND
	;;#ASMSTART
	v_cvt_f32_f16 v41, v41;
	;;#ASMEND
	;; [unrolled: 3-line block ×3, first 2 shown]
	v_fmac_f32_e32 v73, v49, v50
	;;#ASMSTART
	v_cvt_f32_f16 v45, v45;
	;;#ASMEND
	v_dual_fmac_f32 v55, v42, v43 :: v_dual_and_b32 v42, 0xffff, v48
	v_fmac_f32_e32 v75, v41, v45
	v_lshrrev_b32_e32 v41, 16, v48
	v_lshrrev_b32_e32 v43, 16, v44
	v_and_b32_e32 v44, 0xffff, v44
	;;#ASMSTART
	v_cvt_f32_f16 v42, v42;
	;;#ASMEND
	;;#ASMSTART
	v_cvt_f32_f16 v41, v41;
	;;#ASMEND
	;;#ASMSTART
	v_cvt_f32_f16 v44, v44;
	;;#ASMEND
	;;#ASMSTART
	v_cvt_f32_f16 v43, v43;
	;;#ASMEND
	v_fmac_f32_e32 v56, v42, v44
	v_fmac_f32_e32 v76, v41, v43
	ds_load_b128 v[41:44], v66 offset:80
	s_waitcnt vmcnt(9)
	v_lshrrev_b32_e32 v46, 16, v37
	v_and_b32_e32 v37, 0xffff, v37
	s_waitcnt lgkmcnt(0)
	v_lshrrev_b32_e32 v45, 16, v41
	v_and_b32_e32 v41, 0xffff, v41
	;;#ASMSTART
	v_cvt_f32_f16 v41, v41;
	;;#ASMEND
	;;#ASMSTART
	v_cvt_f32_f16 v45, v45;
	;;#ASMEND
	;; [unrolled: 3-line block ×3, first 2 shown]
	s_delay_alu instid0(VALU_DEP_1)
	v_fmac_f32_e32 v53, v41, v37
	v_lshrrev_b32_e32 v37, 16, v42
	v_and_b32_e32 v41, 0xffff, v42
	v_lshrrev_b32_e32 v42, 16, v38
	v_and_b32_e32 v38, 0xffff, v38
	;;#ASMSTART
	v_cvt_f32_f16 v46, v46;
	;;#ASMEND
	;;#ASMSTART
	v_cvt_f32_f16 v41, v41;
	;;#ASMEND
	;; [unrolled: 3-line block ×5, first 2 shown]
	v_fmac_f32_e32 v54, v41, v38
	v_fmac_f32_e32 v74, v37, v42
	v_lshrrev_b32_e32 v37, 16, v43
	v_and_b32_e32 v38, 0xffff, v43
	v_lshrrev_b32_e32 v41, 16, v39
	v_and_b32_e32 v39, 0xffff, v39
	;;#ASMSTART
	v_cvt_f32_f16 v38, v38;
	;;#ASMEND
	;;#ASMSTART
	v_cvt_f32_f16 v37, v37;
	;;#ASMEND
	;; [unrolled: 3-line block ×3, first 2 shown]
	v_fmac_f32_e32 v73, v45, v46
	;;#ASMSTART
	v_cvt_f32_f16 v41, v41;
	;;#ASMEND
	v_dual_fmac_f32 v55, v38, v39 :: v_dual_and_b32 v38, 0xffff, v44
	v_fmac_f32_e32 v75, v37, v41
	v_lshrrev_b32_e32 v37, 16, v44
	v_lshrrev_b32_e32 v39, 16, v40
	v_and_b32_e32 v40, 0xffff, v40
	;;#ASMSTART
	v_cvt_f32_f16 v38, v38;
	;;#ASMEND
	;;#ASMSTART
	v_cvt_f32_f16 v37, v37;
	;;#ASMEND
	;; [unrolled: 3-line block ×4, first 2 shown]
	v_fmac_f32_e32 v56, v38, v40
	v_fmac_f32_e32 v76, v37, v39
	ds_load_b128 v[37:40], v66 offset:96
	s_waitcnt vmcnt(8)
	v_lshrrev_b32_e32 v42, 16, v33
	v_and_b32_e32 v33, 0xffff, v33
	s_waitcnt lgkmcnt(0)
	v_lshrrev_b32_e32 v41, 16, v37
	v_and_b32_e32 v37, 0xffff, v37
	;;#ASMSTART
	v_cvt_f32_f16 v37, v37;
	;;#ASMEND
	;;#ASMSTART
	v_cvt_f32_f16 v41, v41;
	;;#ASMEND
	;; [unrolled: 3-line block ×3, first 2 shown]
	s_delay_alu instid0(VALU_DEP_1)
	v_fmac_f32_e32 v53, v37, v33
	v_lshrrev_b32_e32 v33, 16, v38
	v_and_b32_e32 v37, 0xffff, v38
	v_lshrrev_b32_e32 v38, 16, v34
	v_and_b32_e32 v34, 0xffff, v34
	;;#ASMSTART
	v_cvt_f32_f16 v42, v42;
	;;#ASMEND
	;;#ASMSTART
	v_cvt_f32_f16 v37, v37;
	;;#ASMEND
	;; [unrolled: 3-line block ×5, first 2 shown]
	v_fmac_f32_e32 v54, v37, v34
	v_fmac_f32_e32 v74, v33, v38
	v_lshrrev_b32_e32 v33, 16, v39
	v_and_b32_e32 v34, 0xffff, v39
	v_lshrrev_b32_e32 v37, 16, v35
	v_and_b32_e32 v35, 0xffff, v35
	;;#ASMSTART
	v_cvt_f32_f16 v34, v34;
	;;#ASMEND
	;;#ASMSTART
	v_cvt_f32_f16 v33, v33;
	;;#ASMEND
	;; [unrolled: 3-line block ×3, first 2 shown]
	v_fmac_f32_e32 v73, v41, v42
	;;#ASMSTART
	v_cvt_f32_f16 v37, v37;
	;;#ASMEND
	v_dual_fmac_f32 v55, v34, v35 :: v_dual_and_b32 v34, 0xffff, v40
	v_fmac_f32_e32 v75, v33, v37
	v_lshrrev_b32_e32 v33, 16, v40
	v_lshrrev_b32_e32 v35, 16, v36
	v_and_b32_e32 v36, 0xffff, v36
	;;#ASMSTART
	v_cvt_f32_f16 v34, v34;
	;;#ASMEND
	;;#ASMSTART
	v_cvt_f32_f16 v33, v33;
	;;#ASMEND
	;; [unrolled: 3-line block ×4, first 2 shown]
	v_fmac_f32_e32 v56, v34, v36
	v_fmac_f32_e32 v76, v33, v35
	ds_load_b128 v[33:36], v66 offset:112
	s_waitcnt vmcnt(7)
	v_lshrrev_b32_e32 v38, 16, v29
	v_and_b32_e32 v29, 0xffff, v29
	s_waitcnt lgkmcnt(0)
	v_lshrrev_b32_e32 v37, 16, v33
	v_and_b32_e32 v33, 0xffff, v33
	;;#ASMSTART
	v_cvt_f32_f16 v33, v33;
	;;#ASMEND
	;;#ASMSTART
	v_cvt_f32_f16 v37, v37;
	;;#ASMEND
	;; [unrolled: 3-line block ×3, first 2 shown]
	s_delay_alu instid0(VALU_DEP_1)
	v_fmac_f32_e32 v53, v33, v29
	v_lshrrev_b32_e32 v29, 16, v34
	v_and_b32_e32 v33, 0xffff, v34
	v_lshrrev_b32_e32 v34, 16, v30
	v_and_b32_e32 v30, 0xffff, v30
	;;#ASMSTART
	v_cvt_f32_f16 v38, v38;
	;;#ASMEND
	;;#ASMSTART
	v_cvt_f32_f16 v33, v33;
	;;#ASMEND
	;;#ASMSTART
	v_cvt_f32_f16 v29, v29;
	;;#ASMEND
	;;#ASMSTART
	v_cvt_f32_f16 v30, v30;
	;;#ASMEND
	;;#ASMSTART
	v_cvt_f32_f16 v34, v34;
	;;#ASMEND
	v_fmac_f32_e32 v54, v33, v30
	v_fmac_f32_e32 v74, v29, v34
	v_lshrrev_b32_e32 v29, 16, v35
	v_and_b32_e32 v30, 0xffff, v35
	v_lshrrev_b32_e32 v33, 16, v31
	v_and_b32_e32 v31, 0xffff, v31
	;;#ASMSTART
	v_cvt_f32_f16 v30, v30;
	;;#ASMEND
	;;#ASMSTART
	v_cvt_f32_f16 v29, v29;
	;;#ASMEND
	;; [unrolled: 3-line block ×3, first 2 shown]
	v_fmac_f32_e32 v73, v37, v38
	;;#ASMSTART
	v_cvt_f32_f16 v33, v33;
	;;#ASMEND
	v_dual_fmac_f32 v55, v30, v31 :: v_dual_and_b32 v30, 0xffff, v36
	v_fmac_f32_e32 v75, v29, v33
	v_lshrrev_b32_e32 v29, 16, v36
	v_lshrrev_b32_e32 v31, 16, v32
	v_and_b32_e32 v32, 0xffff, v32
	;;#ASMSTART
	v_cvt_f32_f16 v30, v30;
	;;#ASMEND
	;;#ASMSTART
	v_cvt_f32_f16 v29, v29;
	;;#ASMEND
	;; [unrolled: 3-line block ×4, first 2 shown]
	v_fmac_f32_e32 v56, v30, v32
	v_fmac_f32_e32 v76, v29, v31
	ds_load_b128 v[29:32], v66 offset:128
	s_waitcnt vmcnt(6)
	v_lshrrev_b32_e32 v34, 16, v25
	v_and_b32_e32 v25, 0xffff, v25
	s_waitcnt lgkmcnt(0)
	v_lshrrev_b32_e32 v33, 16, v29
	v_and_b32_e32 v29, 0xffff, v29
	;;#ASMSTART
	v_cvt_f32_f16 v29, v29;
	;;#ASMEND
	;;#ASMSTART
	v_cvt_f32_f16 v33, v33;
	;;#ASMEND
	;; [unrolled: 3-line block ×3, first 2 shown]
	s_delay_alu instid0(VALU_DEP_1)
	v_fmac_f32_e32 v53, v29, v25
	v_lshrrev_b32_e32 v25, 16, v30
	v_and_b32_e32 v29, 0xffff, v30
	v_lshrrev_b32_e32 v30, 16, v26
	v_and_b32_e32 v26, 0xffff, v26
	;;#ASMSTART
	v_cvt_f32_f16 v34, v34;
	;;#ASMEND
	;;#ASMSTART
	v_cvt_f32_f16 v29, v29;
	;;#ASMEND
	;; [unrolled: 3-line block ×5, first 2 shown]
	v_fmac_f32_e32 v54, v29, v26
	v_fmac_f32_e32 v74, v25, v30
	v_lshrrev_b32_e32 v25, 16, v31
	v_and_b32_e32 v26, 0xffff, v31
	v_lshrrev_b32_e32 v29, 16, v27
	v_and_b32_e32 v27, 0xffff, v27
	;;#ASMSTART
	v_cvt_f32_f16 v26, v26;
	;;#ASMEND
	;;#ASMSTART
	v_cvt_f32_f16 v25, v25;
	;;#ASMEND
	;;#ASMSTART
	v_cvt_f32_f16 v27, v27;
	;;#ASMEND
	v_fmac_f32_e32 v73, v33, v34
	;;#ASMSTART
	v_cvt_f32_f16 v29, v29;
	;;#ASMEND
	v_dual_fmac_f32 v55, v26, v27 :: v_dual_and_b32 v26, 0xffff, v32
	v_fmac_f32_e32 v75, v25, v29
	v_lshrrev_b32_e32 v25, 16, v32
	v_lshrrev_b32_e32 v27, 16, v28
	v_and_b32_e32 v28, 0xffff, v28
	;;#ASMSTART
	v_cvt_f32_f16 v26, v26;
	;;#ASMEND
	;;#ASMSTART
	v_cvt_f32_f16 v25, v25;
	;;#ASMEND
	;; [unrolled: 3-line block ×4, first 2 shown]
	v_fmac_f32_e32 v56, v26, v28
	v_fmac_f32_e32 v76, v25, v27
	ds_load_b128 v[25:28], v66 offset:144
	s_waitcnt vmcnt(5)
	v_lshrrev_b32_e32 v30, 16, v21
	v_and_b32_e32 v21, 0xffff, v21
	s_waitcnt lgkmcnt(0)
	v_lshrrev_b32_e32 v29, 16, v25
	v_and_b32_e32 v25, 0xffff, v25
	;;#ASMSTART
	v_cvt_f32_f16 v25, v25;
	;;#ASMEND
	;;#ASMSTART
	v_cvt_f32_f16 v29, v29;
	;;#ASMEND
	;; [unrolled: 3-line block ×3, first 2 shown]
	s_delay_alu instid0(VALU_DEP_1)
	v_fmac_f32_e32 v53, v25, v21
	v_lshrrev_b32_e32 v21, 16, v26
	v_and_b32_e32 v25, 0xffff, v26
	v_lshrrev_b32_e32 v26, 16, v22
	v_and_b32_e32 v22, 0xffff, v22
	;;#ASMSTART
	v_cvt_f32_f16 v30, v30;
	;;#ASMEND
	;;#ASMSTART
	v_cvt_f32_f16 v25, v25;
	;;#ASMEND
	;; [unrolled: 3-line block ×5, first 2 shown]
	v_fmac_f32_e32 v54, v25, v22
	v_fmac_f32_e32 v74, v21, v26
	v_lshrrev_b32_e32 v21, 16, v27
	v_and_b32_e32 v22, 0xffff, v27
	v_lshrrev_b32_e32 v25, 16, v23
	v_and_b32_e32 v23, 0xffff, v23
	;;#ASMSTART
	v_cvt_f32_f16 v22, v22;
	;;#ASMEND
	;;#ASMSTART
	v_cvt_f32_f16 v21, v21;
	;;#ASMEND
	;; [unrolled: 3-line block ×3, first 2 shown]
	v_fmac_f32_e32 v73, v29, v30
	;;#ASMSTART
	v_cvt_f32_f16 v25, v25;
	;;#ASMEND
	v_dual_fmac_f32 v55, v22, v23 :: v_dual_and_b32 v22, 0xffff, v28
	v_fmac_f32_e32 v75, v21, v25
	v_lshrrev_b32_e32 v21, 16, v28
	v_lshrrev_b32_e32 v23, 16, v24
	v_and_b32_e32 v24, 0xffff, v24
	;;#ASMSTART
	v_cvt_f32_f16 v22, v22;
	;;#ASMEND
	;;#ASMSTART
	v_cvt_f32_f16 v21, v21;
	;;#ASMEND
	;; [unrolled: 3-line block ×4, first 2 shown]
	v_fmac_f32_e32 v56, v22, v24
	v_fmac_f32_e32 v76, v21, v23
	ds_load_b128 v[21:24], v66 offset:160
	s_waitcnt vmcnt(4)
	v_lshrrev_b32_e32 v26, 16, v17
	v_and_b32_e32 v17, 0xffff, v17
	s_waitcnt lgkmcnt(0)
	v_lshrrev_b32_e32 v25, 16, v21
	v_and_b32_e32 v21, 0xffff, v21
	;;#ASMSTART
	v_cvt_f32_f16 v21, v21;
	;;#ASMEND
	;;#ASMSTART
	v_cvt_f32_f16 v25, v25;
	;;#ASMEND
	;;#ASMSTART
	v_cvt_f32_f16 v17, v17;
	;;#ASMEND
	s_delay_alu instid0(VALU_DEP_1)
	v_fmac_f32_e32 v53, v21, v17
	v_lshrrev_b32_e32 v17, 16, v22
	v_and_b32_e32 v21, 0xffff, v22
	v_lshrrev_b32_e32 v22, 16, v18
	v_and_b32_e32 v18, 0xffff, v18
	;;#ASMSTART
	v_cvt_f32_f16 v26, v26;
	;;#ASMEND
	;;#ASMSTART
	v_cvt_f32_f16 v21, v21;
	;;#ASMEND
	;; [unrolled: 3-line block ×5, first 2 shown]
	v_fmac_f32_e32 v54, v21, v18
	v_fmac_f32_e32 v74, v17, v22
	v_lshrrev_b32_e32 v17, 16, v23
	v_and_b32_e32 v18, 0xffff, v23
	v_lshrrev_b32_e32 v21, 16, v19
	v_and_b32_e32 v19, 0xffff, v19
	;;#ASMSTART
	v_cvt_f32_f16 v18, v18;
	;;#ASMEND
	;;#ASMSTART
	v_cvt_f32_f16 v17, v17;
	;;#ASMEND
	;; [unrolled: 3-line block ×3, first 2 shown]
	v_fmac_f32_e32 v73, v25, v26
	;;#ASMSTART
	v_cvt_f32_f16 v21, v21;
	;;#ASMEND
	v_dual_fmac_f32 v55, v18, v19 :: v_dual_and_b32 v18, 0xffff, v24
	v_fmac_f32_e32 v75, v17, v21
	v_lshrrev_b32_e32 v17, 16, v24
	v_lshrrev_b32_e32 v19, 16, v20
	v_and_b32_e32 v20, 0xffff, v20
	;;#ASMSTART
	v_cvt_f32_f16 v18, v18;
	;;#ASMEND
	;;#ASMSTART
	v_cvt_f32_f16 v17, v17;
	;;#ASMEND
	;; [unrolled: 3-line block ×4, first 2 shown]
	v_fmac_f32_e32 v56, v18, v20
	v_fmac_f32_e32 v76, v17, v19
	ds_load_b128 v[17:20], v66 offset:176
	s_waitcnt vmcnt(3)
	v_lshrrev_b32_e32 v22, 16, v13
	v_and_b32_e32 v13, 0xffff, v13
	s_waitcnt lgkmcnt(0)
	v_lshrrev_b32_e32 v21, 16, v17
	v_and_b32_e32 v17, 0xffff, v17
	;;#ASMSTART
	v_cvt_f32_f16 v17, v17;
	;;#ASMEND
	;;#ASMSTART
	v_cvt_f32_f16 v21, v21;
	;;#ASMEND
	;; [unrolled: 3-line block ×3, first 2 shown]
	s_delay_alu instid0(VALU_DEP_1)
	v_fmac_f32_e32 v53, v17, v13
	v_lshrrev_b32_e32 v13, 16, v18
	v_and_b32_e32 v17, 0xffff, v18
	v_lshrrev_b32_e32 v18, 16, v14
	v_and_b32_e32 v14, 0xffff, v14
	;;#ASMSTART
	v_cvt_f32_f16 v22, v22;
	;;#ASMEND
	;;#ASMSTART
	v_cvt_f32_f16 v17, v17;
	;;#ASMEND
	;; [unrolled: 3-line block ×5, first 2 shown]
	v_fmac_f32_e32 v54, v17, v14
	v_fmac_f32_e32 v74, v13, v18
	v_lshrrev_b32_e32 v13, 16, v19
	v_and_b32_e32 v14, 0xffff, v19
	v_lshrrev_b32_e32 v17, 16, v15
	v_and_b32_e32 v15, 0xffff, v15
	;;#ASMSTART
	v_cvt_f32_f16 v14, v14;
	;;#ASMEND
	;;#ASMSTART
	v_cvt_f32_f16 v13, v13;
	;;#ASMEND
	;; [unrolled: 3-line block ×3, first 2 shown]
	v_fmac_f32_e32 v73, v21, v22
	;;#ASMSTART
	v_cvt_f32_f16 v17, v17;
	;;#ASMEND
	v_dual_fmac_f32 v55, v14, v15 :: v_dual_and_b32 v14, 0xffff, v20
	v_fmac_f32_e32 v75, v13, v17
	v_lshrrev_b32_e32 v13, 16, v20
	v_lshrrev_b32_e32 v15, 16, v16
	v_and_b32_e32 v16, 0xffff, v16
	;;#ASMSTART
	v_cvt_f32_f16 v14, v14;
	;;#ASMEND
	;;#ASMSTART
	v_cvt_f32_f16 v13, v13;
	;;#ASMEND
	;; [unrolled: 3-line block ×4, first 2 shown]
	v_fmac_f32_e32 v56, v14, v16
	v_fmac_f32_e32 v76, v13, v15
	ds_load_b128 v[13:16], v66 offset:192
	s_waitcnt vmcnt(2)
	v_lshrrev_b32_e32 v18, 16, v9
	v_and_b32_e32 v9, 0xffff, v9
	s_waitcnt lgkmcnt(0)
	v_lshrrev_b32_e32 v17, 16, v13
	v_and_b32_e32 v13, 0xffff, v13
	;;#ASMSTART
	v_cvt_f32_f16 v13, v13;
	;;#ASMEND
	;;#ASMSTART
	v_cvt_f32_f16 v17, v17;
	;;#ASMEND
	;; [unrolled: 3-line block ×3, first 2 shown]
	s_delay_alu instid0(VALU_DEP_1)
	v_fmac_f32_e32 v53, v13, v9
	v_lshrrev_b32_e32 v9, 16, v14
	v_and_b32_e32 v13, 0xffff, v14
	v_lshrrev_b32_e32 v14, 16, v10
	v_and_b32_e32 v10, 0xffff, v10
	;;#ASMSTART
	v_cvt_f32_f16 v18, v18;
	;;#ASMEND
	;;#ASMSTART
	v_cvt_f32_f16 v13, v13;
	;;#ASMEND
	;; [unrolled: 3-line block ×5, first 2 shown]
	v_fmac_f32_e32 v54, v13, v10
	v_fmac_f32_e32 v74, v9, v14
	v_lshrrev_b32_e32 v9, 16, v15
	v_and_b32_e32 v10, 0xffff, v15
	v_lshrrev_b32_e32 v13, 16, v11
	v_and_b32_e32 v11, 0xffff, v11
	;;#ASMSTART
	v_cvt_f32_f16 v10, v10;
	;;#ASMEND
	;;#ASMSTART
	v_cvt_f32_f16 v9, v9;
	;;#ASMEND
	;; [unrolled: 3-line block ×3, first 2 shown]
	v_fmac_f32_e32 v73, v17, v18
	;;#ASMSTART
	v_cvt_f32_f16 v13, v13;
	;;#ASMEND
	v_dual_fmac_f32 v55, v10, v11 :: v_dual_and_b32 v10, 0xffff, v16
	v_fmac_f32_e32 v75, v9, v13
	v_lshrrev_b32_e32 v9, 16, v16
	v_lshrrev_b32_e32 v11, 16, v12
	v_and_b32_e32 v12, 0xffff, v12
	;;#ASMSTART
	v_cvt_f32_f16 v10, v10;
	;;#ASMEND
	;;#ASMSTART
	v_cvt_f32_f16 v9, v9;
	;;#ASMEND
	;; [unrolled: 3-line block ×4, first 2 shown]
	v_fmac_f32_e32 v56, v10, v12
	v_fmac_f32_e32 v76, v9, v11
	ds_load_b128 v[9:12], v66 offset:208
	s_waitcnt vmcnt(1)
	v_lshrrev_b32_e32 v14, 16, v5
	v_and_b32_e32 v5, 0xffff, v5
	s_waitcnt lgkmcnt(0)
	v_lshrrev_b32_e32 v13, 16, v9
	v_and_b32_e32 v9, 0xffff, v9
	;;#ASMSTART
	v_cvt_f32_f16 v9, v9;
	;;#ASMEND
	;;#ASMSTART
	v_cvt_f32_f16 v13, v13;
	;;#ASMEND
	;; [unrolled: 3-line block ×3, first 2 shown]
	s_delay_alu instid0(VALU_DEP_1)
	v_fmac_f32_e32 v53, v9, v5
	v_lshrrev_b32_e32 v5, 16, v10
	v_and_b32_e32 v9, 0xffff, v10
	v_lshrrev_b32_e32 v10, 16, v6
	v_and_b32_e32 v6, 0xffff, v6
	;;#ASMSTART
	v_cvt_f32_f16 v14, v14;
	;;#ASMEND
	;;#ASMSTART
	v_cvt_f32_f16 v9, v9;
	;;#ASMEND
	;; [unrolled: 3-line block ×5, first 2 shown]
	v_fmac_f32_e32 v54, v9, v6
	v_fmac_f32_e32 v74, v5, v10
	v_lshrrev_b32_e32 v5, 16, v11
	v_and_b32_e32 v6, 0xffff, v11
	v_lshrrev_b32_e32 v9, 16, v7
	v_and_b32_e32 v7, 0xffff, v7
	;;#ASMSTART
	v_cvt_f32_f16 v6, v6;
	;;#ASMEND
	;;#ASMSTART
	v_cvt_f32_f16 v5, v5;
	;;#ASMEND
	;; [unrolled: 3-line block ×3, first 2 shown]
	v_fmac_f32_e32 v73, v13, v14
	;;#ASMSTART
	v_cvt_f32_f16 v9, v9;
	;;#ASMEND
	v_dual_fmac_f32 v55, v6, v7 :: v_dual_and_b32 v6, 0xffff, v12
	v_fmac_f32_e32 v75, v5, v9
	v_lshrrev_b32_e32 v5, 16, v12
	v_lshrrev_b32_e32 v7, 16, v8
	v_and_b32_e32 v8, 0xffff, v8
	;;#ASMSTART
	v_cvt_f32_f16 v6, v6;
	;;#ASMEND
	;;#ASMSTART
	v_cvt_f32_f16 v5, v5;
	;;#ASMEND
	;; [unrolled: 3-line block ×4, first 2 shown]
	v_fmac_f32_e32 v56, v6, v8
	v_fmac_f32_e32 v76, v5, v7
	ds_load_b128 v[5:8], v66 offset:224
	s_waitcnt vmcnt(0)
	v_lshrrev_b32_e32 v10, 16, v1
	v_and_b32_e32 v1, 0xffff, v1
	s_waitcnt lgkmcnt(0)
	v_lshrrev_b32_e32 v9, 16, v5
	v_and_b32_e32 v5, 0xffff, v5
	;;#ASMSTART
	v_cvt_f32_f16 v5, v5;
	;;#ASMEND
	;;#ASMSTART
	v_cvt_f32_f16 v9, v9;
	;;#ASMEND
	;; [unrolled: 3-line block ×3, first 2 shown]
	s_delay_alu instid0(VALU_DEP_1)
	v_fmac_f32_e32 v53, v5, v1
	v_lshrrev_b32_e32 v1, 16, v6
	v_and_b32_e32 v5, 0xffff, v6
	v_lshrrev_b32_e32 v6, 16, v2
	v_and_b32_e32 v2, 0xffff, v2
	;;#ASMSTART
	v_cvt_f32_f16 v10, v10;
	;;#ASMEND
	v_fmac_f32_e32 v73, v9, v10
	;;#ASMSTART
	v_cvt_f32_f16 v5, v5;
	;;#ASMEND
	;;#ASMSTART
	v_cvt_f32_f16 v1, v1;
	;;#ASMEND
	;; [unrolled: 3-line block ×4, first 2 shown]
	v_fmac_f32_e32 v54, v5, v2
	v_fmac_f32_e32 v74, v1, v6
	v_lshrrev_b32_e32 v1, 16, v7
	v_and_b32_e32 v2, 0xffff, v7
	;;#ASMSTART
	v_cvt_f32_f16 v2, v2;
	;;#ASMEND
	;;#ASMSTART
	v_cvt_f32_f16 v1, v1;
	;;#ASMEND
	v_lshrrev_b32_e32 v5, 16, v3
	v_and_b32_e32 v3, 0xffff, v3
	;;#ASMSTART
	v_cvt_f32_f16 v3, v3;
	;;#ASMEND
	;;#ASMSTART
	v_cvt_f32_f16 v5, v5;
	;;#ASMEND
	s_delay_alu instid0(VALU_DEP_1)
	v_dual_fmac_f32 v55, v2, v3 :: v_dual_and_b32 v2, 0xffff, v8
	v_fmac_f32_e32 v75, v1, v5
	v_lshrrev_b32_e32 v1, 16, v8
	;;#ASMSTART
	v_cvt_f32_f16 v2, v2;
	;;#ASMEND
	;;#ASMSTART
	v_cvt_f32_f16 v1, v1;
	;;#ASMEND
	v_lshrrev_b32_e32 v3, 16, v4
	v_and_b32_e32 v4, 0xffff, v4
	;;#ASMSTART
	v_cvt_f32_f16 v4, v4;
	;;#ASMEND
	;;#ASMSTART
	v_cvt_f32_f16 v3, v3;
	;;#ASMEND
	s_delay_alu instid0(VALU_DEP_2) | instskip(NEXT) | instid1(VALU_DEP_2)
	v_fmac_f32_e32 v76, v1, v3
	v_dual_add_f32 v1, v53, v73 :: v_dual_fmac_f32 v56, v2, v4
	s_delay_alu instid0(VALU_DEP_1) | instskip(NEXT) | instid1(VALU_DEP_1)
	v_add_f32_e32 v1, v1, v54
	v_add_f32_e32 v1, v74, v1
	s_delay_alu instid0(VALU_DEP_1) | instskip(NEXT) | instid1(VALU_DEP_1)
	v_add_f32_e32 v1, v1, v55
	v_add_f32_e32 v1, v75, v1
	s_delay_alu instid0(VALU_DEP_1) | instskip(NEXT) | instid1(VALU_DEP_1)
	v_add_f32_e32 v1, v1, v56
	v_add_f32_e32 v1, v76, v1
	s_delay_alu instid0(VALU_DEP_1) | instskip(NEXT) | instid1(VALU_DEP_1)
	v_fmac_f32_e32 v72, s3, v1
	v_cndmask_b32_e64 v1, 0, v72, s0
	ds_store_b32 v68, v1
	v_dual_max_f32 v1, v65, v65 :: v_dual_add_nc_u32 v68, 0x200, v68
	s_delay_alu instid0(VALU_DEP_1) | instskip(NEXT) | instid1(VALU_DEP_1)
	v_max_f32_e32 v1, v1, v72
	v_cndmask_b32_e64 v65, v65, v1, s0
	v_add_co_u32 v59, s0, v59, 16
	s_delay_alu instid0(VALU_DEP_1) | instskip(SKIP_1) | instid1(VALU_DEP_1)
	v_add_co_ci_u32_e64 v60, s0, 0, v60, s0
	v_cmp_le_i32_e64 s0, s17, v71
	s_or_b32 s7, s0, s7
	s_delay_alu instid0(SALU_CYCLE_1)
	s_and_not1_b32 exec_lo, exec_lo, s7
	s_cbranch_execnz .LBB126_7
; %bb.8:
	s_or_b32 exec_lo, exec_lo, s7
.LBB126_9:
	s_delay_alu instid0(SALU_CYCLE_1) | instskip(SKIP_2) | instid1(VALU_DEP_2)
	s_or_b32 exec_lo, exec_lo, s31
	v_mbcnt_lo_u32_b32 v1, -1, 0
	v_max_f32_e32 v5, v65, v65
	v_xor_b32_e32 v2, 16, v1
	v_xor_b32_e32 v4, 8, v1
	s_delay_alu instid0(VALU_DEP_2) | instskip(SKIP_1) | instid1(VALU_DEP_3)
	v_cmp_gt_i32_e32 vcc_lo, 32, v2
	v_cndmask_b32_e32 v2, v1, v2, vcc_lo
	v_cmp_gt_i32_e32 vcc_lo, 32, v4
	s_delay_alu instid0(VALU_DEP_2) | instskip(SKIP_4) | instid1(VALU_DEP_1)
	v_lshlrev_b32_e32 v2, 2, v2
	v_cndmask_b32_e32 v4, v1, v4, vcc_lo
	ds_bpermute_b32 v3, v2, v65
	s_waitcnt lgkmcnt(0)
	v_dual_max_f32 v6, v3, v3 :: v_dual_lshlrev_b32 v3, 2, v4
	v_max_f32_e32 v4, v5, v6
	v_xor_b32_e32 v6, 4, v1
	ds_bpermute_b32 v5, v3, v4
	v_cmp_gt_i32_e32 vcc_lo, 32, v6
	v_cndmask_b32_e32 v6, v1, v6, vcc_lo
	s_waitcnt lgkmcnt(0)
	v_max_f32_e32 v7, v5, v5
	s_delay_alu instid0(VALU_DEP_1)
	v_dual_max_f32 v4, v4, v7 :: v_dual_lshlrev_b32 v5, 2, v6
	v_xor_b32_e32 v7, 2, v1
	ds_bpermute_b32 v6, v5, v4
	v_cmp_gt_i32_e32 vcc_lo, 32, v7
	s_waitcnt lgkmcnt(0)
	v_dual_cndmask_b32 v7, v1, v7 :: v_dual_max_f32 v6, v6, v6
	s_delay_alu instid0(VALU_DEP_1) | instskip(NEXT) | instid1(VALU_DEP_2)
	v_max_f32_e32 v4, v4, v6
	v_lshlrev_b32_e32 v10, 2, v7
	v_xor_b32_e32 v7, 1, v1
	s_delay_alu instid0(VALU_DEP_1)
	v_cmp_gt_i32_e32 vcc_lo, 32, v7
	v_cndmask_b32_e32 v7, v1, v7, vcc_lo
	ds_bpermute_b32 v6, v10, v4
	v_cmp_eq_u32_e32 vcc_lo, 0, v62
	s_waitcnt lgkmcnt(0)
	v_dual_max_f32 v6, v6, v6 :: v_dual_lshlrev_b32 v9, 2, v7
	s_delay_alu instid0(VALU_DEP_1)
	v_dual_max_f32 v1, v4, v6 :: v_dual_lshlrev_b32 v6, 2, v61
	ds_bpermute_b32 v4, v9, v1
	s_and_saveexec_b32 s0, vcc_lo
	s_cbranch_execz .LBB126_11
; %bb.10:
	s_waitcnt lgkmcnt(0)
	v_dual_max_f32 v4, v4, v4 :: v_dual_max_f32 v1, v1, v1
	s_delay_alu instid0(VALU_DEP_1)
	v_max_f32_e32 v1, v1, v4
	ds_store_b32 v6, v1 offset:240
.LBB126_11:
	s_or_b32 exec_lo, exec_lo, s0
	v_cmp_gt_u32_e64 s0, 4, v62
	v_mov_b32_e32 v1, 0xff7fffff
	s_waitcnt lgkmcnt(0)
	s_barrier
	buffer_gl0_inv
	s_and_saveexec_b32 s1, s0
	s_cbranch_execz .LBB126_13
; %bb.12:
	ds_load_b32 v1, v64 offset:240
.LBB126_13:
	s_or_b32 exec_lo, exec_lo, s1
	s_waitcnt lgkmcnt(0)
	ds_bpermute_b32 v4, v10, v1
	v_max_f32_e32 v1, v1, v1
	s_sub_i32 s1, s17, s15
	v_mov_b32_e32 v7, 0
	s_lshl_b32 s1, s1, 5
	s_delay_alu instid0(SALU_CYCLE_1) | instskip(NEXT) | instid1(SALU_CYCLE_1)
	s_add_i32 s1, s1, s29
	s_min_i32 s1, s1, s28
	s_delay_alu instid0(SALU_CYCLE_1) | instskip(NEXT) | instid1(SALU_CYCLE_1)
	s_sub_i32 s7, s1, s29
	v_cmp_gt_i32_e64 s1, s7, v0
	s_waitcnt lgkmcnt(0)
	v_max_f32_e32 v4, v4, v4
	s_delay_alu instid0(VALU_DEP_1) | instskip(SKIP_3) | instid1(VALU_DEP_1)
	v_max_f32_e32 v1, v1, v4
	ds_bpermute_b32 v4, v9, v1
	s_waitcnt lgkmcnt(0)
	v_max_f32_e32 v4, v4, v4
	v_max_f32_e32 v1, v1, v4
	v_lshl_add_u32 v4, v0, 2, 0x110
	ds_bpermute_b32 v1, v7, v1
	s_and_saveexec_b32 s15, s1
	s_cbranch_execz .LBB126_17
; %bb.14:
	v_lshl_add_u32 v8, v0, 2, 0x110
	v_mov_b32_e32 v7, 0
	v_mov_b32_e32 v11, v0
	s_mov_b32 s30, 0
	.p2align	6
.LBB126_15:                             ; =>This Inner Loop Header: Depth=1
	ds_load_b32 v12, v8
	v_add_nc_u32_e32 v11, 0x80, v11
	s_delay_alu instid0(VALU_DEP_1) | instskip(NEXT) | instid1(VALU_DEP_1)
	v_cmp_le_i32_e64 s3, s7, v11
	s_or_b32 s30, s3, s30
	s_waitcnt lgkmcnt(0)
	v_sub_f32_e32 v12, v12, v1
	s_delay_alu instid0(VALU_DEP_1) | instskip(NEXT) | instid1(VALU_DEP_1)
	v_mul_f32_e32 v12, 0x3fb8aa3b, v12
	v_exp_f32_e32 v12, v12
	ds_store_b32 v8, v12
	v_add_f32_e32 v7, v7, v12
	v_add_nc_u32_e32 v8, 0x200, v8
	s_and_not1_b32 exec_lo, exec_lo, s30
	s_cbranch_execnz .LBB126_15
; %bb.16:
	s_or_b32 exec_lo, exec_lo, s30
.LBB126_17:
	s_delay_alu instid0(SALU_CYCLE_1)
	s_or_b32 exec_lo, exec_lo, s15
	ds_bpermute_b32 v2, v2, v7
	s_waitcnt lgkmcnt(0)
	v_add_f32_e32 v2, v7, v2
	ds_bpermute_b32 v3, v3, v2
	s_waitcnt lgkmcnt(0)
	v_add_f32_e32 v2, v2, v3
	;; [unrolled: 3-line block ×5, first 2 shown]
	s_and_saveexec_b32 s3, vcc_lo
	s_cbranch_execz .LBB126_19
; %bb.18:
	ds_store_b32 v6, v2 offset:256
.LBB126_19:
	s_or_b32 exec_lo, exec_lo, s3
	s_waitcnt lgkmcnt(0)
	s_barrier
	buffer_gl0_inv
	s_and_saveexec_b32 s3, s0
	s_cbranch_execz .LBB126_21
; %bb.20:
	ds_load_b32 v2, v64 offset:256
.LBB126_21:
	s_or_b32 exec_lo, exec_lo, s3
	s_waitcnt lgkmcnt(0)
	ds_bpermute_b32 v3, v10, v2
	s_waitcnt lgkmcnt(0)
	v_add_f32_e32 v2, v2, v3
	ds_bpermute_b32 v3, v9, v2
	s_waitcnt lgkmcnt(0)
	v_dual_add_f32 v2, v2, v3 :: v_dual_mov_b32 v3, 0
	ds_bpermute_b32 v2, v3, v2
	s_and_saveexec_b32 s0, s1
	s_cbranch_execz .LBB126_24
; %bb.22:
	s_waitcnt lgkmcnt(0)
	v_add_f32_e32 v3, 0x358637bd, v2
	s_mov_b32 s1, 0
	s_delay_alu instid0(VALU_DEP_1) | instskip(SKIP_1) | instid1(VALU_DEP_2)
	v_div_scale_f32 v5, null, v3, v3, 1.0
	v_div_scale_f32 v8, vcc_lo, 1.0, v3, 1.0
	v_rcp_f32_e32 v6, v5
	s_waitcnt_depctr 0xfff
	v_fma_f32 v7, -v5, v6, 1.0
	s_delay_alu instid0(VALU_DEP_1) | instskip(NEXT) | instid1(VALU_DEP_1)
	v_fmac_f32_e32 v6, v7, v6
	v_mul_f32_e32 v7, v8, v6
	s_delay_alu instid0(VALU_DEP_1) | instskip(NEXT) | instid1(VALU_DEP_1)
	v_fma_f32 v11, -v5, v7, v8
	v_fmac_f32_e32 v7, v11, v6
	s_delay_alu instid0(VALU_DEP_1) | instskip(NEXT) | instid1(VALU_DEP_1)
	v_fma_f32 v5, -v5, v7, v8
	v_div_fmas_f32 v5, v5, v6, v7
	s_delay_alu instid0(VALU_DEP_1)
	v_div_fixup_f32 v3, v5, v3, 1.0
	v_mov_b32_e32 v5, v0
.LBB126_23:                             ; =>This Inner Loop Header: Depth=1
	ds_load_b32 v6, v4
	s_waitcnt lgkmcnt(0)
	v_dual_mul_f32 v6, v3, v6 :: v_dual_add_nc_u32 v5, 0x80, v5
	s_delay_alu instid0(VALU_DEP_1) | instskip(SKIP_3) | instid1(SALU_CYCLE_1)
	v_cmp_le_i32_e32 vcc_lo, s7, v5
	ds_store_b32 v4, v6
	v_add_nc_u32_e32 v4, 0x200, v4
	s_or_b32 s1, vcc_lo, s1
	s_and_not1_b32 exec_lo, exec_lo, s1
	s_cbranch_execnz .LBB126_23
.LBB126_24:
	s_or_b32 exec_lo, exec_lo, s0
	s_mul_i32 s0, s4, s14
	s_waitcnt lgkmcnt(0)
	s_mul_i32 s14, s0, s13
	s_mov_b32 s0, exec_lo
	s_barrier
	buffer_gl0_inv
	v_cmpx_eq_u32_e32 0, v0
	s_cbranch_execz .LBB126_26
; %bb.25:
	s_ashr_i32 s15, s14, 31
	s_mul_i32 s34, s4, s22
	s_lshl_b64 s[30:31], s[14:15], 2
	v_mov_b32_e32 v3, 0
	s_add_u32 s1, s10, s30
	s_addc_u32 s3, s11, s31
	s_ashr_i32 s35, s34, 31
	s_delay_alu instid0(SALU_CYCLE_1) | instskip(NEXT) | instid1(SALU_CYCLE_1)
	s_lshl_b64 s[10:11], s[34:35], 2
	s_add_u32 s1, s1, s10
	s_addc_u32 s3, s3, s11
	s_ashr_i32 s13, s12, 31
	s_delay_alu instid0(SALU_CYCLE_1) | instskip(NEXT) | instid1(SALU_CYCLE_1)
	s_lshl_b64 s[34:35], s[12:13], 2
	s_add_u32 s36, s1, s34
	s_addc_u32 s37, s3, s35
	s_add_u32 s1, s8, s30
	s_addc_u32 s3, s9, s31
	s_add_u32 s1, s1, s10
	s_addc_u32 s3, s3, s11
	s_add_u32 s8, s1, s34
	s_addc_u32 s9, s3, s35
	s_clause 0x1
	global_store_b32 v3, v1, s[36:37]
	global_store_b32 v3, v2, s[8:9]
.LBB126_26:
	s_or_b32 exec_lo, exec_lo, s0
	v_dual_mov_b32 v24, 0 :: v_dual_and_b32 v11, 3, v0
	v_dual_mov_b32 v26, 0 :: v_dual_mov_b32 v25, 0
	v_dual_mov_b32 v23, 0 :: v_dual_mov_b32 v22, 0
	;; [unrolled: 1-line block ×7, first 2 shown]
	s_and_saveexec_b32 s1, s2
	s_cbranch_execz .LBB126_60
; %bb.27:
	v_dual_mov_b32 v12, 0 :: v_dual_lshlrev_b32 v1, 3, v0
	v_lshlrev_b32_e32 v2, 5, v11
	s_ashr_i32 s7, s6, 31
	s_mov_b32 s2, s5
	s_delay_alu instid0(VALU_DEP_2) | instskip(SKIP_3) | instid1(VALU_DEP_3)
	v_and_b32_e32 v3, 0xf8, v1
	v_and_b32_e32 v1, 24, v1
	s_lshl_b64 s[6:7], s[6:7], 1
	v_dual_mov_b32 v25, 0 :: v_dual_mov_b32 v24, 0
	v_or_b32_e32 v14, 0xc00, v3
	s_add_u32 s3, s24, s6
	s_addc_u32 s5, s25, s7
	s_lshl_b64 s[24:25], s[26:27], 2
	s_add_i32 s23, s23, -1
	v_dual_mov_b32 v21, 0 :: v_dual_lshlrev_b32 v34, 1, v14
	v_mov_b32_e32 v14, 0
	v_or_b32_e32 v13, 0xb00, v3
	v_or_b32_e32 v16, 0xe00, v3
	;; [unrolled: 1-line block ×5, first 2 shown]
	v_dual_mov_b32 v22, 0 :: v_dual_lshlrev_b32 v33, 1, v13
	v_dual_mov_b32 v23, 0 :: v_dual_lshlrev_b32 v36, 1, v16
	v_mov_b32_e32 v13, 0
	v_lshl_or_b32 v5, v61, 7, v2
	v_mov_b32_e32 v16, 0
	v_add3_u32 v27, s29, v63, v1
	v_lshlrev_b64 v[1:2], 2, v[57:58]
	v_or_b32_e32 v15, 0xd00, v3
	s_add_u32 s0, s20, s24
	v_add_nc_u32_e32 v28, 0x110, v5
	s_addc_u32 s11, s21, s25
	v_dual_mov_b32 v18, 0 :: v_dual_lshlrev_b32 v29, 1, v3
	v_add_co_u32 v5, vcc_lo, s0, v1
	v_add_co_ci_u32_e32 v6, vcc_lo, s11, v2, vcc_lo
	v_dual_mov_b32 v17, 0 :: v_dual_lshlrev_b32 v30, 1, v4
	v_dual_mov_b32 v20, 0 :: v_dual_lshlrev_b32 v31, 1, v7
	;; [unrolled: 1-line block ×4, first 2 shown]
	v_mov_b32_e32 v15, 0
	s_mov_b32 s6, s28
	s_mov_b32 s7, s28
	s_mov_b32 s8, s28
	s_mov_b32 s9, s28
	s_mov_b32 s10, s28
	s_mov_b32 s11, s28
	s_mov_b32 s15, s28
	s_mov_b32 s13, 0
	s_branch .LBB126_29
.LBB126_28:                             ;   in Loop: Header=BB126_29 Depth=1
	s_or_b32 exec_lo, exec_lo, s0
	v_dual_add_f32 v37, v50, v51 :: v_dual_add_f32 v38, v75, v76
	s_waitcnt vmcnt(0)
	;;#ASMSTART
	v_pk_mul_f16 v1, v44, v1;

	;;#ASMEND
	;;#ASMSTART
	v_pk_mul_f16 v2, v42, v2;

	;;#ASMEND
	;; [unrolled: 4-line block ×4, first 2 shown]
	;;#ASMSTART
	v_pk_add_f16 v1, v1, v2;

	;;#ASMEND
	;;#ASMSTART
	v_pk_add_f16 v1, v1, v3;

	;;#ASMEND
	v_dual_add_f32 v45, v71, v72 :: v_dual_add_f32 v14, v14, v38
	v_add_f32_e32 v39, v73, v74
	v_dual_add_f32 v13, v13, v37 :: v_dual_add_f32 v38, v59, v60
	v_add_f32_e32 v37, v67, v68
	;;#ASMSTART
	v_pk_add_f16 v1, v1, v4;

	;;#ASMEND
	v_dual_add_f32 v7, v7, v8 :: v_dual_and_b32 v2, 0xffff, v1
	v_lshrrev_b32_e32 v1, 16, v1
	v_add_nc_u32_e32 v57, 4, v57
	;;#ASMSTART
	v_cvt_f32_f16 v2, v2;
	;;#ASMEND
	;;#ASMSTART
	v_cvt_f32_f16 v1, v1;
	;;#ASMEND
	v_add_f32_e32 v16, v16, v45
	v_add_f32_e32 v8, v65, v66
	v_dual_add_f32 v47, v69, v70 :: v_dual_add_f32 v18, v18, v37
	v_add_f32_e32 v15, v15, v39
	v_dual_add_f32 v37, v63, v64 :: v_dual_add_f32 v4, v52, v53
	v_add_f32_e32 v39, v56, v58
	v_add_f32_e32 v3, v54, v55
	v_add_f32_e32 v1, v2, v1
	v_add_f32_e32 v19, v19, v7
	v_add_f32_e32 v7, v43, v46
	v_cmp_le_i32_e32 vcc_lo, s17, v57
	v_add_co_u32 v5, s0, v5, 16
	v_dual_add_f32 v12, v12, v1 :: v_dual_add_f32 v17, v17, v47
	v_add_f32_e32 v22, v22, v38
	v_dual_add_f32 v20, v20, v8 :: v_dual_add_f32 v21, v21, v37
	v_add_f32_e32 v24, v24, v7
	v_dual_add_f32 v25, v25, v3 :: v_dual_add_f32 v26, v26, v4
	v_dual_add_f32 v23, v23, v39 :: v_dual_add_nc_u32 v28, 0x200, v28
	v_add_nc_u32_e32 v27, 0x80, v27
	v_add_co_ci_u32_e64 v6, s0, 0, v6, s0
	s_or_b32 s13, vcc_lo, s13
	s_delay_alu instid0(SALU_CYCLE_1)
	s_and_not1_b32 exec_lo, exec_lo, s13
	s_cbranch_execz .LBB126_59
.LBB126_29:                             ; =>This Inner Loop Header: Depth=1
	global_load_b32 v37, v[5:6], off
	ds_load_2addr_b64 v[1:4], v28 offset1:1
	ds_load_2addr_b64 v[45:48], v28 offset0:2 offset1:3
	s_waitcnt lgkmcnt(1)
	;;#ASMSTART
	v_cvt_f16_f32 v42, v1;

	;;#ASMEND
	;;#ASMSTART
	v_cvt_f16_f32 v40, v2;

	;;#ASMEND
	;; [unrolled: 4-line block ×4, first 2 shown]
	s_waitcnt lgkmcnt(0)
	;;#ASMSTART
	v_cvt_f16_f32 v44, v45;

	;;#ASMEND
	;;#ASMSTART
	v_cvt_f16_f32 v46, v46;

	;;#ASMEND
	;;#ASMSTART
	v_cvt_f16_f32 v53, v47;

	;;#ASMEND
	;;#ASMSTART
	v_cvt_f16_f32 v52, v48;

	;;#ASMEND
	v_or_b32_e32 v39, 3, v27
	v_or_b32_e32 v38, 2, v27
	;; [unrolled: 1-line block ×6, first 2 shown]
	s_waitcnt vmcnt(0)
	v_mad_i64_i32 v[7:8], null, v37, s2, 0
	v_add_nc_u32_e32 v37, 1, v27
	s_delay_alu instid0(VALU_DEP_2) | instskip(NEXT) | instid1(VALU_DEP_1)
	v_lshlrev_b64 v[7:8], 1, v[7:8]
	v_add_co_u32 v50, vcc_lo, s3, v7
	s_delay_alu instid0(VALU_DEP_2) | instskip(NEXT) | instid1(VALU_DEP_2)
	v_add_co_ci_u32_e32 v51, vcc_lo, s5, v8, vcc_lo
	v_add_co_u32 v7, vcc_lo, v50, v29
	s_delay_alu instid0(VALU_DEP_2)
	v_add_co_ci_u32_e32 v8, vcc_lo, 0, v51, vcc_lo
	v_cmp_eq_u32_e32 vcc_lo, s23, v57
	global_load_b128 v[1:4], v[7:8], off
	s_and_saveexec_b32 s20, vcc_lo
	s_cbranch_execz .LBB126_31
; %bb.30:                               ;   in Loop: Header=BB126_29 Depth=1
	v_cmp_gt_i32_e64 s0, s11, v49
	s_waitcnt vmcnt(0)
	v_lshrrev_b32_e32 v54, 16, v4
	v_lshrrev_b32_e32 v55, 16, v3
	;; [unrolled: 1-line block ×4, first 2 shown]
	v_cndmask_b32_e64 v4, 0, v4, s0
	v_cmp_gt_i32_e64 s0, s15, v48
	s_delay_alu instid0(VALU_DEP_1) | instskip(SKIP_1) | instid1(VALU_DEP_2)
	v_cndmask_b32_e64 v54, 0, v54, s0
	v_cmp_gt_i32_e64 s0, s10, v47
	v_perm_b32 v4, v54, v4, 0x5040100
	s_delay_alu instid0(VALU_DEP_2) | instskip(SKIP_1) | instid1(VALU_DEP_1)
	v_cndmask_b32_e64 v55, 0, v55, s0
	v_cmp_gt_i32_e64 s0, s9, v45
	v_cndmask_b32_e64 v3, 0, v3, s0
	v_cmp_gt_i32_e64 s0, s8, v39
	s_delay_alu instid0(VALU_DEP_2) | instskip(NEXT) | instid1(VALU_DEP_2)
	v_perm_b32 v3, v55, v3, 0x5040100
	v_cndmask_b32_e64 v56, 0, v56, s0
	v_cmp_gt_i32_e64 s0, s7, v38
	s_delay_alu instid0(VALU_DEP_1) | instskip(SKIP_1) | instid1(VALU_DEP_2)
	v_cndmask_b32_e64 v2, 0, v2, s0
	v_cmp_gt_i32_e64 s0, s6, v37
	v_perm_b32 v2, v56, v2, 0x5040100
	s_delay_alu instid0(VALU_DEP_2) | instskip(SKIP_1) | instid1(VALU_DEP_1)
	v_cndmask_b32_e64 v58, 0, v58, s0
	v_cmp_gt_i32_e64 s0, s28, v27
	v_cndmask_b32_e64 v1, 0, v1, s0
	s_delay_alu instid0(VALU_DEP_1)
	v_perm_b32 v1, v58, v1, 0x5040100
.LBB126_31:                             ;   in Loop: Header=BB126_29 Depth=1
	s_or_b32 exec_lo, exec_lo, s20
	v_and_b32_e32 v42, 0xffff, v42
	v_and_b32_e32 v43, 0xffff, v43
	v_and_b32_e32 v54, 0xffff, v44
	v_and_b32_e32 v53, 0xffff, v53
	s_delay_alu instid0(VALU_DEP_4)
	v_lshl_or_b32 v44, v40, 16, v42
	s_waitcnt vmcnt(0)
	;;#ASMSTART
	v_pk_mul_f16 v1, v44, v1;

	;;#ASMEND
	v_lshl_or_b32 v42, v41, 16, v43
	v_lshl_or_b32 v41, v46, 16, v54
	v_lshl_or_b32 v40, v52, 16, v53
	;;#ASMSTART
	v_pk_mul_f16 v2, v42, v2;

	;;#ASMEND
	;;#ASMSTART
	v_pk_mul_f16 v3, v41, v3;

	;;#ASMEND
	;; [unrolled: 4-line block ×3, first 2 shown]
	;;#ASMSTART
	v_pk_add_f16 v1, v1, v2;

	;;#ASMEND
	;;#ASMSTART
	v_pk_add_f16 v1, v1, v3;

	;;#ASMEND
	;; [unrolled: 4-line block ×3, first 2 shown]
	v_and_b32_e32 v2, 0xffff, v1
	v_lshrrev_b32_e32 v1, 16, v1
	;;#ASMSTART
	v_cvt_f32_f16 v43, v2;
	;;#ASMEND
	;;#ASMSTART
	v_cvt_f32_f16 v46, v1;
	;;#ASMEND
	global_load_b128 v[1:4], v[7:8], off offset:512
	s_and_saveexec_b32 s20, vcc_lo
	s_cbranch_execz .LBB126_33
; %bb.32:                               ;   in Loop: Header=BB126_29 Depth=1
	v_cmp_gt_i32_e64 s0, s11, v49
	s_waitcnt vmcnt(0)
	v_lshrrev_b32_e32 v52, 16, v4
	v_lshrrev_b32_e32 v53, 16, v3
	;; [unrolled: 1-line block ×4, first 2 shown]
	v_cndmask_b32_e64 v4, 0, v4, s0
	v_cmp_gt_i32_e64 s0, s15, v48
	s_delay_alu instid0(VALU_DEP_1) | instskip(SKIP_1) | instid1(VALU_DEP_2)
	v_cndmask_b32_e64 v52, 0, v52, s0
	v_cmp_gt_i32_e64 s0, s10, v47
	v_perm_b32 v4, v52, v4, 0x5040100
	s_delay_alu instid0(VALU_DEP_2) | instskip(SKIP_1) | instid1(VALU_DEP_1)
	v_cndmask_b32_e64 v53, 0, v53, s0
	v_cmp_gt_i32_e64 s0, s9, v45
	v_cndmask_b32_e64 v3, 0, v3, s0
	v_cmp_gt_i32_e64 s0, s8, v39
	s_delay_alu instid0(VALU_DEP_2) | instskip(NEXT) | instid1(VALU_DEP_2)
	v_perm_b32 v3, v53, v3, 0x5040100
	v_cndmask_b32_e64 v54, 0, v54, s0
	v_cmp_gt_i32_e64 s0, s7, v38
	s_delay_alu instid0(VALU_DEP_1) | instskip(SKIP_1) | instid1(VALU_DEP_2)
	v_cndmask_b32_e64 v2, 0, v2, s0
	v_cmp_gt_i32_e64 s0, s6, v37
	v_perm_b32 v2, v54, v2, 0x5040100
	s_delay_alu instid0(VALU_DEP_2) | instskip(SKIP_1) | instid1(VALU_DEP_1)
	v_cndmask_b32_e64 v55, 0, v55, s0
	v_cmp_gt_i32_e64 s0, s28, v27
	v_cndmask_b32_e64 v1, 0, v1, s0
	s_delay_alu instid0(VALU_DEP_1)
	v_perm_b32 v1, v55, v1, 0x5040100
.LBB126_33:                             ;   in Loop: Header=BB126_29 Depth=1
	s_or_b32 exec_lo, exec_lo, s20
	s_waitcnt vmcnt(0)
	;;#ASMSTART
	v_pk_mul_f16 v1, v44, v1;

	;;#ASMEND
	;;#ASMSTART
	v_pk_mul_f16 v2, v42, v2;

	;;#ASMEND
	;; [unrolled: 4-line block ×4, first 2 shown]
	;;#ASMSTART
	v_pk_add_f16 v1, v1, v2;

	;;#ASMEND
	;;#ASMSTART
	v_pk_add_f16 v1, v1, v3;

	;;#ASMEND
	;;#ASMSTART
	v_pk_add_f16 v1, v1, v4;

	;;#ASMEND
	v_and_b32_e32 v2, 0xffff, v1
	v_lshrrev_b32_e32 v1, 16, v1
	;;#ASMSTART
	v_cvt_f32_f16 v52, v2;
	;;#ASMEND
	;;#ASMSTART
	v_cvt_f32_f16 v53, v1;
	;;#ASMEND
	global_load_b128 v[1:4], v[7:8], off offset:1024
	s_and_saveexec_b32 s20, vcc_lo
	s_cbranch_execz .LBB126_35
; %bb.34:                               ;   in Loop: Header=BB126_29 Depth=1
	v_cmp_gt_i32_e64 s0, s11, v49
	s_waitcnt vmcnt(0)
	v_lshrrev_b32_e32 v54, 16, v4
	v_lshrrev_b32_e32 v55, 16, v3
	;; [unrolled: 1-line block ×4, first 2 shown]
	v_cndmask_b32_e64 v4, 0, v4, s0
	v_cmp_gt_i32_e64 s0, s15, v48
	s_delay_alu instid0(VALU_DEP_1) | instskip(SKIP_1) | instid1(VALU_DEP_2)
	v_cndmask_b32_e64 v54, 0, v54, s0
	v_cmp_gt_i32_e64 s0, s10, v47
	v_perm_b32 v4, v54, v4, 0x5040100
	s_delay_alu instid0(VALU_DEP_2) | instskip(SKIP_1) | instid1(VALU_DEP_1)
	v_cndmask_b32_e64 v55, 0, v55, s0
	v_cmp_gt_i32_e64 s0, s9, v45
	v_cndmask_b32_e64 v3, 0, v3, s0
	v_cmp_gt_i32_e64 s0, s8, v39
	s_delay_alu instid0(VALU_DEP_2) | instskip(NEXT) | instid1(VALU_DEP_2)
	v_perm_b32 v3, v55, v3, 0x5040100
	v_cndmask_b32_e64 v56, 0, v56, s0
	v_cmp_gt_i32_e64 s0, s7, v38
	s_delay_alu instid0(VALU_DEP_1) | instskip(SKIP_1) | instid1(VALU_DEP_2)
	v_cndmask_b32_e64 v2, 0, v2, s0
	v_cmp_gt_i32_e64 s0, s6, v37
	v_perm_b32 v2, v56, v2, 0x5040100
	s_delay_alu instid0(VALU_DEP_2) | instskip(SKIP_1) | instid1(VALU_DEP_1)
	v_cndmask_b32_e64 v58, 0, v58, s0
	v_cmp_gt_i32_e64 s0, s28, v27
	v_cndmask_b32_e64 v1, 0, v1, s0
	s_delay_alu instid0(VALU_DEP_1)
	v_perm_b32 v1, v58, v1, 0x5040100
.LBB126_35:                             ;   in Loop: Header=BB126_29 Depth=1
	s_or_b32 exec_lo, exec_lo, s20
	s_waitcnt vmcnt(0)
	;;#ASMSTART
	v_pk_mul_f16 v1, v44, v1;

	;;#ASMEND
	;;#ASMSTART
	v_pk_mul_f16 v2, v42, v2;

	;;#ASMEND
	;; [unrolled: 4-line block ×4, first 2 shown]
	;;#ASMSTART
	v_pk_add_f16 v1, v1, v2;

	;;#ASMEND
	;;#ASMSTART
	v_pk_add_f16 v1, v1, v3;

	;;#ASMEND
	;; [unrolled: 4-line block ×3, first 2 shown]
	v_and_b32_e32 v2, 0xffff, v1
	v_lshrrev_b32_e32 v1, 16, v1
	;;#ASMSTART
	v_cvt_f32_f16 v54, v2;
	;;#ASMEND
	;;#ASMSTART
	v_cvt_f32_f16 v55, v1;
	;;#ASMEND
	global_load_b128 v[1:4], v[7:8], off offset:1536
	s_and_saveexec_b32 s20, vcc_lo
	s_cbranch_execz .LBB126_37
; %bb.36:                               ;   in Loop: Header=BB126_29 Depth=1
	v_cmp_gt_i32_e64 s0, s11, v49
	s_waitcnt vmcnt(0)
	v_lshrrev_b32_e32 v56, 16, v4
	v_lshrrev_b32_e32 v58, 16, v3
	;; [unrolled: 1-line block ×4, first 2 shown]
	v_cndmask_b32_e64 v4, 0, v4, s0
	v_cmp_gt_i32_e64 s0, s15, v48
	s_delay_alu instid0(VALU_DEP_1) | instskip(SKIP_1) | instid1(VALU_DEP_2)
	v_cndmask_b32_e64 v56, 0, v56, s0
	v_cmp_gt_i32_e64 s0, s10, v47
	v_perm_b32 v4, v56, v4, 0x5040100
	s_delay_alu instid0(VALU_DEP_2) | instskip(SKIP_1) | instid1(VALU_DEP_1)
	v_cndmask_b32_e64 v58, 0, v58, s0
	v_cmp_gt_i32_e64 s0, s9, v45
	v_cndmask_b32_e64 v3, 0, v3, s0
	v_cmp_gt_i32_e64 s0, s8, v39
	s_delay_alu instid0(VALU_DEP_2) | instskip(NEXT) | instid1(VALU_DEP_2)
	v_perm_b32 v3, v58, v3, 0x5040100
	v_cndmask_b32_e64 v59, 0, v59, s0
	v_cmp_gt_i32_e64 s0, s7, v38
	s_delay_alu instid0(VALU_DEP_1) | instskip(SKIP_1) | instid1(VALU_DEP_2)
	v_cndmask_b32_e64 v2, 0, v2, s0
	v_cmp_gt_i32_e64 s0, s6, v37
	v_perm_b32 v2, v59, v2, 0x5040100
	s_delay_alu instid0(VALU_DEP_2) | instskip(SKIP_1) | instid1(VALU_DEP_1)
	v_cndmask_b32_e64 v60, 0, v60, s0
	v_cmp_gt_i32_e64 s0, s28, v27
	v_cndmask_b32_e64 v1, 0, v1, s0
	s_delay_alu instid0(VALU_DEP_1)
	v_perm_b32 v1, v60, v1, 0x5040100
.LBB126_37:                             ;   in Loop: Header=BB126_29 Depth=1
	s_or_b32 exec_lo, exec_lo, s20
	s_waitcnt vmcnt(0)
	;;#ASMSTART
	v_pk_mul_f16 v1, v44, v1;

	;;#ASMEND
	;;#ASMSTART
	v_pk_mul_f16 v2, v42, v2;

	;;#ASMEND
	;; [unrolled: 4-line block ×4, first 2 shown]
	;;#ASMSTART
	v_pk_add_f16 v1, v1, v2;

	;;#ASMEND
	;;#ASMSTART
	v_pk_add_f16 v1, v1, v3;

	;;#ASMEND
	;; [unrolled: 4-line block ×3, first 2 shown]
	v_and_b32_e32 v2, 0xffff, v1
	v_lshrrev_b32_e32 v1, 16, v1
	;;#ASMSTART
	v_cvt_f32_f16 v56, v2;
	;;#ASMEND
	;;#ASMSTART
	v_cvt_f32_f16 v58, v1;
	;;#ASMEND
	global_load_b128 v[1:4], v[7:8], off offset:2048
	s_and_saveexec_b32 s20, vcc_lo
	s_cbranch_execz .LBB126_39
; %bb.38:                               ;   in Loop: Header=BB126_29 Depth=1
	v_cmp_gt_i32_e64 s0, s11, v49
	s_waitcnt vmcnt(0)
	v_lshrrev_b32_e32 v59, 16, v4
	v_lshrrev_b32_e32 v60, 16, v3
	;; [unrolled: 1-line block ×4, first 2 shown]
	v_cndmask_b32_e64 v4, 0, v4, s0
	v_cmp_gt_i32_e64 s0, s15, v48
	s_delay_alu instid0(VALU_DEP_1) | instskip(SKIP_1) | instid1(VALU_DEP_2)
	v_cndmask_b32_e64 v59, 0, v59, s0
	v_cmp_gt_i32_e64 s0, s10, v47
	v_perm_b32 v4, v59, v4, 0x5040100
	s_delay_alu instid0(VALU_DEP_2) | instskip(SKIP_1) | instid1(VALU_DEP_1)
	v_cndmask_b32_e64 v60, 0, v60, s0
	v_cmp_gt_i32_e64 s0, s9, v45
	v_cndmask_b32_e64 v3, 0, v3, s0
	v_cmp_gt_i32_e64 s0, s8, v39
	s_delay_alu instid0(VALU_DEP_2) | instskip(NEXT) | instid1(VALU_DEP_2)
	v_perm_b32 v3, v60, v3, 0x5040100
	v_cndmask_b32_e64 v63, 0, v63, s0
	v_cmp_gt_i32_e64 s0, s7, v38
	s_delay_alu instid0(VALU_DEP_1) | instskip(SKIP_1) | instid1(VALU_DEP_2)
	v_cndmask_b32_e64 v2, 0, v2, s0
	v_cmp_gt_i32_e64 s0, s6, v37
	v_perm_b32 v2, v63, v2, 0x5040100
	s_delay_alu instid0(VALU_DEP_2) | instskip(SKIP_1) | instid1(VALU_DEP_1)
	v_cndmask_b32_e64 v64, 0, v64, s0
	v_cmp_gt_i32_e64 s0, s28, v27
	v_cndmask_b32_e64 v1, 0, v1, s0
	s_delay_alu instid0(VALU_DEP_1)
	v_perm_b32 v1, v64, v1, 0x5040100
.LBB126_39:                             ;   in Loop: Header=BB126_29 Depth=1
	s_or_b32 exec_lo, exec_lo, s20
	s_waitcnt vmcnt(0)
	;;#ASMSTART
	v_pk_mul_f16 v1, v44, v1;

	;;#ASMEND
	;;#ASMSTART
	v_pk_mul_f16 v2, v42, v2;

	;;#ASMEND
	;; [unrolled: 4-line block ×4, first 2 shown]
	;;#ASMSTART
	v_pk_add_f16 v1, v1, v2;

	;;#ASMEND
	;;#ASMSTART
	v_pk_add_f16 v1, v1, v3;

	;;#ASMEND
	;; [unrolled: 4-line block ×3, first 2 shown]
	v_and_b32_e32 v2, 0xffff, v1
	v_lshrrev_b32_e32 v1, 16, v1
	;;#ASMSTART
	v_cvt_f32_f16 v59, v2;
	;;#ASMEND
	;;#ASMSTART
	v_cvt_f32_f16 v60, v1;
	;;#ASMEND
	global_load_b128 v[1:4], v[7:8], off offset:2560
	s_and_saveexec_b32 s20, vcc_lo
	s_cbranch_execz .LBB126_41
; %bb.40:                               ;   in Loop: Header=BB126_29 Depth=1
	v_cmp_gt_i32_e64 s0, s11, v49
	s_waitcnt vmcnt(0)
	v_lshrrev_b32_e32 v63, 16, v4
	v_lshrrev_b32_e32 v64, 16, v3
	;; [unrolled: 1-line block ×4, first 2 shown]
	v_cndmask_b32_e64 v4, 0, v4, s0
	v_cmp_gt_i32_e64 s0, s15, v48
	s_delay_alu instid0(VALU_DEP_1) | instskip(SKIP_1) | instid1(VALU_DEP_2)
	v_cndmask_b32_e64 v63, 0, v63, s0
	v_cmp_gt_i32_e64 s0, s10, v47
	v_perm_b32 v4, v63, v4, 0x5040100
	s_delay_alu instid0(VALU_DEP_2) | instskip(SKIP_1) | instid1(VALU_DEP_1)
	v_cndmask_b32_e64 v64, 0, v64, s0
	v_cmp_gt_i32_e64 s0, s9, v45
	v_cndmask_b32_e64 v3, 0, v3, s0
	v_cmp_gt_i32_e64 s0, s8, v39
	s_delay_alu instid0(VALU_DEP_2) | instskip(NEXT) | instid1(VALU_DEP_2)
	v_perm_b32 v3, v64, v3, 0x5040100
	v_cndmask_b32_e64 v65, 0, v65, s0
	v_cmp_gt_i32_e64 s0, s7, v38
	s_delay_alu instid0(VALU_DEP_1) | instskip(SKIP_1) | instid1(VALU_DEP_2)
	v_cndmask_b32_e64 v2, 0, v2, s0
	v_cmp_gt_i32_e64 s0, s6, v37
	v_perm_b32 v2, v65, v2, 0x5040100
	s_delay_alu instid0(VALU_DEP_2) | instskip(SKIP_1) | instid1(VALU_DEP_1)
	v_cndmask_b32_e64 v66, 0, v66, s0
	v_cmp_gt_i32_e64 s0, s28, v27
	v_cndmask_b32_e64 v1, 0, v1, s0
	s_delay_alu instid0(VALU_DEP_1)
	v_perm_b32 v1, v66, v1, 0x5040100
.LBB126_41:                             ;   in Loop: Header=BB126_29 Depth=1
	s_or_b32 exec_lo, exec_lo, s20
	s_waitcnt vmcnt(0)
	;;#ASMSTART
	v_pk_mul_f16 v1, v44, v1;

	;;#ASMEND
	;;#ASMSTART
	v_pk_mul_f16 v2, v42, v2;

	;;#ASMEND
	;; [unrolled: 4-line block ×4, first 2 shown]
	;;#ASMSTART
	v_pk_add_f16 v1, v1, v2;

	;;#ASMEND
	;;#ASMSTART
	v_pk_add_f16 v1, v1, v3;

	;;#ASMEND
	;; [unrolled: 4-line block ×3, first 2 shown]
	v_and_b32_e32 v2, 0xffff, v1
	v_lshrrev_b32_e32 v1, 16, v1
	;;#ASMSTART
	v_cvt_f32_f16 v63, v2;
	;;#ASMEND
	;;#ASMSTART
	v_cvt_f32_f16 v64, v1;
	;;#ASMEND
	global_load_b128 v[1:4], v[7:8], off offset:3072
	s_and_saveexec_b32 s20, vcc_lo
	s_cbranch_execz .LBB126_43
; %bb.42:                               ;   in Loop: Header=BB126_29 Depth=1
	v_cmp_gt_i32_e64 s0, s11, v49
	s_waitcnt vmcnt(0)
	v_lshrrev_b32_e32 v65, 16, v4
	v_lshrrev_b32_e32 v66, 16, v3
	;; [unrolled: 1-line block ×4, first 2 shown]
	v_cndmask_b32_e64 v4, 0, v4, s0
	v_cmp_gt_i32_e64 s0, s15, v48
	s_delay_alu instid0(VALU_DEP_1) | instskip(SKIP_1) | instid1(VALU_DEP_2)
	v_cndmask_b32_e64 v65, 0, v65, s0
	v_cmp_gt_i32_e64 s0, s10, v47
	v_perm_b32 v4, v65, v4, 0x5040100
	s_delay_alu instid0(VALU_DEP_2) | instskip(SKIP_1) | instid1(VALU_DEP_1)
	v_cndmask_b32_e64 v66, 0, v66, s0
	v_cmp_gt_i32_e64 s0, s9, v45
	v_cndmask_b32_e64 v3, 0, v3, s0
	v_cmp_gt_i32_e64 s0, s8, v39
	s_delay_alu instid0(VALU_DEP_2) | instskip(NEXT) | instid1(VALU_DEP_2)
	v_perm_b32 v3, v66, v3, 0x5040100
	v_cndmask_b32_e64 v67, 0, v67, s0
	v_cmp_gt_i32_e64 s0, s7, v38
	s_delay_alu instid0(VALU_DEP_1) | instskip(SKIP_1) | instid1(VALU_DEP_2)
	v_cndmask_b32_e64 v2, 0, v2, s0
	v_cmp_gt_i32_e64 s0, s6, v37
	v_perm_b32 v2, v67, v2, 0x5040100
	s_delay_alu instid0(VALU_DEP_2) | instskip(SKIP_1) | instid1(VALU_DEP_1)
	v_cndmask_b32_e64 v68, 0, v68, s0
	v_cmp_gt_i32_e64 s0, s28, v27
	v_cndmask_b32_e64 v1, 0, v1, s0
	s_delay_alu instid0(VALU_DEP_1)
	v_perm_b32 v1, v68, v1, 0x5040100
.LBB126_43:                             ;   in Loop: Header=BB126_29 Depth=1
	s_or_b32 exec_lo, exec_lo, s20
	s_waitcnt vmcnt(0)
	;;#ASMSTART
	v_pk_mul_f16 v1, v44, v1;

	;;#ASMEND
	;;#ASMSTART
	v_pk_mul_f16 v2, v42, v2;

	;;#ASMEND
	;;#ASMSTART
	v_pk_mul_f16 v3, v41, v3;

	;;#ASMEND
	;;#ASMSTART
	v_pk_mul_f16 v4, v40, v4;

	;;#ASMEND
	;;#ASMSTART
	v_pk_add_f16 v1, v1, v2;

	;;#ASMEND
	;;#ASMSTART
	v_pk_add_f16 v1, v1, v3;

	;;#ASMEND
	;; [unrolled: 4-line block ×3, first 2 shown]
	v_and_b32_e32 v2, 0xffff, v1
	v_lshrrev_b32_e32 v1, 16, v1
	;;#ASMSTART
	v_cvt_f32_f16 v65, v2;
	;;#ASMEND
	;;#ASMSTART
	v_cvt_f32_f16 v66, v1;
	;;#ASMEND
	global_load_b128 v[1:4], v[7:8], off offset:3584
	s_and_saveexec_b32 s20, vcc_lo
	s_cbranch_execz .LBB126_45
; %bb.44:                               ;   in Loop: Header=BB126_29 Depth=1
	v_cmp_gt_i32_e64 s0, s11, v49
	s_waitcnt vmcnt(0)
	v_lshrrev_b32_e32 v7, 16, v4
	v_lshrrev_b32_e32 v8, 16, v3
	;; [unrolled: 1-line block ×4, first 2 shown]
	v_cndmask_b32_e64 v4, 0, v4, s0
	v_cmp_gt_i32_e64 s0, s15, v48
	s_delay_alu instid0(VALU_DEP_1) | instskip(SKIP_1) | instid1(VALU_DEP_2)
	v_cndmask_b32_e64 v7, 0, v7, s0
	v_cmp_gt_i32_e64 s0, s10, v47
	v_perm_b32 v4, v7, v4, 0x5040100
	s_delay_alu instid0(VALU_DEP_2) | instskip(SKIP_1) | instid1(VALU_DEP_1)
	v_cndmask_b32_e64 v8, 0, v8, s0
	v_cmp_gt_i32_e64 s0, s9, v45
	v_cndmask_b32_e64 v3, 0, v3, s0
	v_cmp_gt_i32_e64 s0, s8, v39
	s_delay_alu instid0(VALU_DEP_2) | instskip(NEXT) | instid1(VALU_DEP_2)
	v_perm_b32 v3, v8, v3, 0x5040100
	v_cndmask_b32_e64 v67, 0, v67, s0
	v_cmp_gt_i32_e64 s0, s7, v38
	s_delay_alu instid0(VALU_DEP_1) | instskip(SKIP_1) | instid1(VALU_DEP_2)
	v_cndmask_b32_e64 v2, 0, v2, s0
	v_cmp_gt_i32_e64 s0, s6, v37
	v_perm_b32 v2, v67, v2, 0x5040100
	s_delay_alu instid0(VALU_DEP_2) | instskip(SKIP_1) | instid1(VALU_DEP_1)
	v_cndmask_b32_e64 v68, 0, v68, s0
	v_cmp_gt_i32_e64 s0, s28, v27
	v_cndmask_b32_e64 v1, 0, v1, s0
	s_delay_alu instid0(VALU_DEP_1)
	v_perm_b32 v1, v68, v1, 0x5040100
.LBB126_45:                             ;   in Loop: Header=BB126_29 Depth=1
	s_or_b32 exec_lo, exec_lo, s20
	s_waitcnt vmcnt(0)
	;;#ASMSTART
	v_pk_mul_f16 v1, v44, v1;

	;;#ASMEND
	;;#ASMSTART
	v_pk_mul_f16 v2, v42, v2;

	;;#ASMEND
	;; [unrolled: 4-line block ×4, first 2 shown]
	;;#ASMSTART
	v_pk_add_f16 v1, v1, v2;

	;;#ASMEND
	;;#ASMSTART
	v_pk_add_f16 v1, v1, v3;

	;;#ASMEND
	;; [unrolled: 4-line block ×3, first 2 shown]
	v_lshrrev_b32_e32 v3, 16, v1
	v_and_b32_e32 v4, 0xffff, v1
	v_add_co_u32 v1, s0, v50, v30
	s_delay_alu instid0(VALU_DEP_1)
	v_add_co_ci_u32_e64 v2, s0, 0, v51, s0
	;;#ASMSTART
	v_cvt_f32_f16 v7, v4;
	;;#ASMEND
	;;#ASMSTART
	v_cvt_f32_f16 v8, v3;
	;;#ASMEND
	global_load_b128 v[1:4], v[1:2], off
	s_and_saveexec_b32 s20, vcc_lo
	s_cbranch_execz .LBB126_47
; %bb.46:                               ;   in Loop: Header=BB126_29 Depth=1
	v_cmp_gt_i32_e64 s0, s11, v49
	s_waitcnt vmcnt(0)
	v_lshrrev_b32_e32 v67, 16, v4
	v_lshrrev_b32_e32 v68, 16, v3
	;; [unrolled: 1-line block ×4, first 2 shown]
	v_cndmask_b32_e64 v4, 0, v4, s0
	v_cmp_gt_i32_e64 s0, s15, v48
	s_delay_alu instid0(VALU_DEP_1) | instskip(SKIP_1) | instid1(VALU_DEP_2)
	v_cndmask_b32_e64 v67, 0, v67, s0
	v_cmp_gt_i32_e64 s0, s10, v47
	v_perm_b32 v4, v67, v4, 0x5040100
	s_delay_alu instid0(VALU_DEP_2) | instskip(SKIP_1) | instid1(VALU_DEP_1)
	v_cndmask_b32_e64 v68, 0, v68, s0
	v_cmp_gt_i32_e64 s0, s9, v45
	v_cndmask_b32_e64 v3, 0, v3, s0
	v_cmp_gt_i32_e64 s0, s8, v39
	s_delay_alu instid0(VALU_DEP_2) | instskip(NEXT) | instid1(VALU_DEP_2)
	v_perm_b32 v3, v68, v3, 0x5040100
	v_cndmask_b32_e64 v69, 0, v69, s0
	v_cmp_gt_i32_e64 s0, s7, v38
	s_delay_alu instid0(VALU_DEP_1) | instskip(SKIP_1) | instid1(VALU_DEP_2)
	v_cndmask_b32_e64 v2, 0, v2, s0
	v_cmp_gt_i32_e64 s0, s6, v37
	v_perm_b32 v2, v69, v2, 0x5040100
	s_delay_alu instid0(VALU_DEP_2) | instskip(SKIP_1) | instid1(VALU_DEP_1)
	v_cndmask_b32_e64 v70, 0, v70, s0
	v_cmp_gt_i32_e64 s0, s28, v27
	v_cndmask_b32_e64 v1, 0, v1, s0
	s_delay_alu instid0(VALU_DEP_1)
	v_perm_b32 v1, v70, v1, 0x5040100
.LBB126_47:                             ;   in Loop: Header=BB126_29 Depth=1
	s_or_b32 exec_lo, exec_lo, s20
	s_waitcnt vmcnt(0)
	;;#ASMSTART
	v_pk_mul_f16 v1, v44, v1;

	;;#ASMEND
	;;#ASMSTART
	v_pk_mul_f16 v2, v42, v2;

	;;#ASMEND
	;; [unrolled: 4-line block ×4, first 2 shown]
	;;#ASMSTART
	v_pk_add_f16 v1, v1, v2;

	;;#ASMEND
	;;#ASMSTART
	v_pk_add_f16 v1, v1, v3;

	;;#ASMEND
	;; [unrolled: 4-line block ×3, first 2 shown]
	v_lshrrev_b32_e32 v3, 16, v1
	v_and_b32_e32 v4, 0xffff, v1
	v_add_co_u32 v1, s0, v50, v31
	s_delay_alu instid0(VALU_DEP_1)
	v_add_co_ci_u32_e64 v2, s0, 0, v51, s0
	;;#ASMSTART
	v_cvt_f32_f16 v67, v4;
	;;#ASMEND
	;;#ASMSTART
	v_cvt_f32_f16 v68, v3;
	;;#ASMEND
	global_load_b128 v[1:4], v[1:2], off
	s_and_saveexec_b32 s20, vcc_lo
	s_cbranch_execz .LBB126_49
; %bb.48:                               ;   in Loop: Header=BB126_29 Depth=1
	v_cmp_gt_i32_e64 s0, s11, v49
	s_waitcnt vmcnt(0)
	v_lshrrev_b32_e32 v69, 16, v4
	v_lshrrev_b32_e32 v70, 16, v3
	;; [unrolled: 1-line block ×4, first 2 shown]
	v_cndmask_b32_e64 v4, 0, v4, s0
	v_cmp_gt_i32_e64 s0, s15, v48
	s_delay_alu instid0(VALU_DEP_1) | instskip(SKIP_1) | instid1(VALU_DEP_2)
	v_cndmask_b32_e64 v69, 0, v69, s0
	v_cmp_gt_i32_e64 s0, s10, v47
	v_perm_b32 v4, v69, v4, 0x5040100
	s_delay_alu instid0(VALU_DEP_2) | instskip(SKIP_1) | instid1(VALU_DEP_1)
	v_cndmask_b32_e64 v70, 0, v70, s0
	v_cmp_gt_i32_e64 s0, s9, v45
	v_cndmask_b32_e64 v3, 0, v3, s0
	v_cmp_gt_i32_e64 s0, s8, v39
	s_delay_alu instid0(VALU_DEP_2) | instskip(NEXT) | instid1(VALU_DEP_2)
	v_perm_b32 v3, v70, v3, 0x5040100
	v_cndmask_b32_e64 v71, 0, v71, s0
	v_cmp_gt_i32_e64 s0, s7, v38
	s_delay_alu instid0(VALU_DEP_1) | instskip(SKIP_1) | instid1(VALU_DEP_2)
	v_cndmask_b32_e64 v2, 0, v2, s0
	v_cmp_gt_i32_e64 s0, s6, v37
	v_perm_b32 v2, v71, v2, 0x5040100
	s_delay_alu instid0(VALU_DEP_2) | instskip(SKIP_1) | instid1(VALU_DEP_1)
	v_cndmask_b32_e64 v72, 0, v72, s0
	v_cmp_gt_i32_e64 s0, s28, v27
	v_cndmask_b32_e64 v1, 0, v1, s0
	s_delay_alu instid0(VALU_DEP_1)
	v_perm_b32 v1, v72, v1, 0x5040100
.LBB126_49:                             ;   in Loop: Header=BB126_29 Depth=1
	s_or_b32 exec_lo, exec_lo, s20
	s_waitcnt vmcnt(0)
	;;#ASMSTART
	v_pk_mul_f16 v1, v44, v1;

	;;#ASMEND
	;;#ASMSTART
	v_pk_mul_f16 v2, v42, v2;

	;;#ASMEND
	;; [unrolled: 4-line block ×4, first 2 shown]
	;;#ASMSTART
	v_pk_add_f16 v1, v1, v2;

	;;#ASMEND
	;;#ASMSTART
	v_pk_add_f16 v1, v1, v3;

	;;#ASMEND
	;; [unrolled: 4-line block ×3, first 2 shown]
	v_lshrrev_b32_e32 v3, 16, v1
	v_and_b32_e32 v4, 0xffff, v1
	v_add_co_u32 v1, s0, v50, v32
	s_delay_alu instid0(VALU_DEP_1)
	v_add_co_ci_u32_e64 v2, s0, 0, v51, s0
	;;#ASMSTART
	v_cvt_f32_f16 v69, v4;
	;;#ASMEND
	;;#ASMSTART
	v_cvt_f32_f16 v70, v3;
	;;#ASMEND
	global_load_b128 v[1:4], v[1:2], off
	s_and_saveexec_b32 s20, vcc_lo
	s_cbranch_execz .LBB126_51
; %bb.50:                               ;   in Loop: Header=BB126_29 Depth=1
	v_cmp_gt_i32_e64 s0, s11, v49
	s_waitcnt vmcnt(0)
	v_lshrrev_b32_e32 v71, 16, v4
	v_lshrrev_b32_e32 v72, 16, v3
	;; [unrolled: 1-line block ×4, first 2 shown]
	v_cndmask_b32_e64 v4, 0, v4, s0
	v_cmp_gt_i32_e64 s0, s15, v48
	s_delay_alu instid0(VALU_DEP_1) | instskip(SKIP_1) | instid1(VALU_DEP_2)
	v_cndmask_b32_e64 v71, 0, v71, s0
	v_cmp_gt_i32_e64 s0, s10, v47
	v_perm_b32 v4, v71, v4, 0x5040100
	s_delay_alu instid0(VALU_DEP_2) | instskip(SKIP_1) | instid1(VALU_DEP_1)
	v_cndmask_b32_e64 v72, 0, v72, s0
	v_cmp_gt_i32_e64 s0, s9, v45
	v_cndmask_b32_e64 v3, 0, v3, s0
	v_cmp_gt_i32_e64 s0, s8, v39
	s_delay_alu instid0(VALU_DEP_2) | instskip(NEXT) | instid1(VALU_DEP_2)
	v_perm_b32 v3, v72, v3, 0x5040100
	v_cndmask_b32_e64 v73, 0, v73, s0
	v_cmp_gt_i32_e64 s0, s7, v38
	s_delay_alu instid0(VALU_DEP_1) | instskip(SKIP_1) | instid1(VALU_DEP_2)
	v_cndmask_b32_e64 v2, 0, v2, s0
	v_cmp_gt_i32_e64 s0, s6, v37
	v_perm_b32 v2, v73, v2, 0x5040100
	s_delay_alu instid0(VALU_DEP_2) | instskip(SKIP_1) | instid1(VALU_DEP_1)
	v_cndmask_b32_e64 v74, 0, v74, s0
	v_cmp_gt_i32_e64 s0, s28, v27
	v_cndmask_b32_e64 v1, 0, v1, s0
	s_delay_alu instid0(VALU_DEP_1)
	v_perm_b32 v1, v74, v1, 0x5040100
.LBB126_51:                             ;   in Loop: Header=BB126_29 Depth=1
	s_or_b32 exec_lo, exec_lo, s20
	s_waitcnt vmcnt(0)
	;;#ASMSTART
	v_pk_mul_f16 v1, v44, v1;

	;;#ASMEND
	;;#ASMSTART
	v_pk_mul_f16 v2, v42, v2;

	;;#ASMEND
	;; [unrolled: 4-line block ×4, first 2 shown]
	;;#ASMSTART
	v_pk_add_f16 v1, v1, v2;

	;;#ASMEND
	;;#ASMSTART
	v_pk_add_f16 v1, v1, v3;

	;;#ASMEND
	;; [unrolled: 4-line block ×3, first 2 shown]
	v_lshrrev_b32_e32 v3, 16, v1
	v_and_b32_e32 v4, 0xffff, v1
	v_add_co_u32 v1, s0, v50, v33
	s_delay_alu instid0(VALU_DEP_1)
	v_add_co_ci_u32_e64 v2, s0, 0, v51, s0
	;;#ASMSTART
	v_cvt_f32_f16 v71, v4;
	;;#ASMEND
	;;#ASMSTART
	v_cvt_f32_f16 v72, v3;
	;;#ASMEND
	global_load_b128 v[1:4], v[1:2], off
	s_and_saveexec_b32 s20, vcc_lo
	s_cbranch_execz .LBB126_53
; %bb.52:                               ;   in Loop: Header=BB126_29 Depth=1
	v_cmp_gt_i32_e64 s0, s11, v49
	s_waitcnt vmcnt(0)
	v_lshrrev_b32_e32 v73, 16, v4
	v_lshrrev_b32_e32 v74, 16, v3
	;; [unrolled: 1-line block ×4, first 2 shown]
	v_cndmask_b32_e64 v4, 0, v4, s0
	v_cmp_gt_i32_e64 s0, s15, v48
	s_delay_alu instid0(VALU_DEP_1) | instskip(SKIP_1) | instid1(VALU_DEP_2)
	v_cndmask_b32_e64 v73, 0, v73, s0
	v_cmp_gt_i32_e64 s0, s10, v47
	v_perm_b32 v4, v73, v4, 0x5040100
	s_delay_alu instid0(VALU_DEP_2) | instskip(SKIP_1) | instid1(VALU_DEP_1)
	v_cndmask_b32_e64 v74, 0, v74, s0
	v_cmp_gt_i32_e64 s0, s9, v45
	v_cndmask_b32_e64 v3, 0, v3, s0
	v_cmp_gt_i32_e64 s0, s8, v39
	s_delay_alu instid0(VALU_DEP_2) | instskip(NEXT) | instid1(VALU_DEP_2)
	v_perm_b32 v3, v74, v3, 0x5040100
	v_cndmask_b32_e64 v75, 0, v75, s0
	v_cmp_gt_i32_e64 s0, s7, v38
	s_delay_alu instid0(VALU_DEP_1) | instskip(SKIP_1) | instid1(VALU_DEP_2)
	v_cndmask_b32_e64 v2, 0, v2, s0
	v_cmp_gt_i32_e64 s0, s6, v37
	v_perm_b32 v2, v75, v2, 0x5040100
	s_delay_alu instid0(VALU_DEP_2) | instskip(SKIP_1) | instid1(VALU_DEP_1)
	v_cndmask_b32_e64 v76, 0, v76, s0
	v_cmp_gt_i32_e64 s0, s28, v27
	v_cndmask_b32_e64 v1, 0, v1, s0
	s_delay_alu instid0(VALU_DEP_1)
	v_perm_b32 v1, v76, v1, 0x5040100
.LBB126_53:                             ;   in Loop: Header=BB126_29 Depth=1
	s_or_b32 exec_lo, exec_lo, s20
	s_waitcnt vmcnt(0)
	;;#ASMSTART
	v_pk_mul_f16 v1, v44, v1;

	;;#ASMEND
	;;#ASMSTART
	v_pk_mul_f16 v2, v42, v2;

	;;#ASMEND
	;; [unrolled: 4-line block ×4, first 2 shown]
	;;#ASMSTART
	v_pk_add_f16 v1, v1, v2;

	;;#ASMEND
	;;#ASMSTART
	v_pk_add_f16 v1, v1, v3;

	;;#ASMEND
	;; [unrolled: 4-line block ×3, first 2 shown]
	v_lshrrev_b32_e32 v3, 16, v1
	v_and_b32_e32 v4, 0xffff, v1
	v_add_co_u32 v1, s0, v50, v34
	s_delay_alu instid0(VALU_DEP_1)
	v_add_co_ci_u32_e64 v2, s0, 0, v51, s0
	;;#ASMSTART
	v_cvt_f32_f16 v73, v4;
	;;#ASMEND
	;;#ASMSTART
	v_cvt_f32_f16 v74, v3;
	;;#ASMEND
	global_load_b128 v[1:4], v[1:2], off
	s_and_saveexec_b32 s20, vcc_lo
	s_cbranch_execz .LBB126_55
; %bb.54:                               ;   in Loop: Header=BB126_29 Depth=1
	v_cmp_gt_i32_e64 s0, s11, v49
	s_waitcnt vmcnt(0)
	v_lshrrev_b32_e32 v75, 16, v4
	v_lshrrev_b32_e32 v76, 16, v3
	;; [unrolled: 1-line block ×4, first 2 shown]
	v_cndmask_b32_e64 v4, 0, v4, s0
	v_cmp_gt_i32_e64 s0, s15, v48
	s_delay_alu instid0(VALU_DEP_1) | instskip(SKIP_1) | instid1(VALU_DEP_2)
	v_cndmask_b32_e64 v75, 0, v75, s0
	v_cmp_gt_i32_e64 s0, s10, v47
	v_perm_b32 v4, v75, v4, 0x5040100
	s_delay_alu instid0(VALU_DEP_2) | instskip(SKIP_1) | instid1(VALU_DEP_1)
	v_cndmask_b32_e64 v76, 0, v76, s0
	v_cmp_gt_i32_e64 s0, s9, v45
	v_cndmask_b32_e64 v3, 0, v3, s0
	v_cmp_gt_i32_e64 s0, s8, v39
	s_delay_alu instid0(VALU_DEP_2) | instskip(NEXT) | instid1(VALU_DEP_2)
	v_perm_b32 v3, v76, v3, 0x5040100
	v_cndmask_b32_e64 v77, 0, v77, s0
	v_cmp_gt_i32_e64 s0, s7, v38
	s_delay_alu instid0(VALU_DEP_1) | instskip(SKIP_1) | instid1(VALU_DEP_2)
	v_cndmask_b32_e64 v2, 0, v2, s0
	v_cmp_gt_i32_e64 s0, s6, v37
	v_perm_b32 v2, v77, v2, 0x5040100
	s_delay_alu instid0(VALU_DEP_2) | instskip(SKIP_1) | instid1(VALU_DEP_1)
	v_cndmask_b32_e64 v78, 0, v78, s0
	v_cmp_gt_i32_e64 s0, s28, v27
	v_cndmask_b32_e64 v1, 0, v1, s0
	s_delay_alu instid0(VALU_DEP_1)
	v_perm_b32 v1, v78, v1, 0x5040100
.LBB126_55:                             ;   in Loop: Header=BB126_29 Depth=1
	s_or_b32 exec_lo, exec_lo, s20
	s_waitcnt vmcnt(0)
	;;#ASMSTART
	v_pk_mul_f16 v1, v44, v1;

	;;#ASMEND
	;;#ASMSTART
	v_pk_mul_f16 v2, v42, v2;

	;;#ASMEND
	;; [unrolled: 4-line block ×4, first 2 shown]
	;;#ASMSTART
	v_pk_add_f16 v1, v1, v2;

	;;#ASMEND
	;;#ASMSTART
	v_pk_add_f16 v1, v1, v3;

	;;#ASMEND
	;;#ASMSTART
	v_pk_add_f16 v1, v1, v4;

	;;#ASMEND
	v_lshrrev_b32_e32 v3, 16, v1
	v_and_b32_e32 v4, 0xffff, v1
	v_add_co_u32 v1, s0, v50, v35
	s_delay_alu instid0(VALU_DEP_1)
	v_add_co_ci_u32_e64 v2, s0, 0, v51, s0
	;;#ASMSTART
	v_cvt_f32_f16 v75, v4;
	;;#ASMEND
	;;#ASMSTART
	v_cvt_f32_f16 v76, v3;
	;;#ASMEND
	global_load_b128 v[1:4], v[1:2], off
	s_and_saveexec_b32 s20, vcc_lo
	s_cbranch_execz .LBB126_57
; %bb.56:                               ;   in Loop: Header=BB126_29 Depth=1
	v_cmp_gt_i32_e64 s0, s11, v49
	s_waitcnt vmcnt(0)
	v_lshrrev_b32_e32 v77, 16, v4
	v_lshrrev_b32_e32 v78, 16, v3
	;; [unrolled: 1-line block ×4, first 2 shown]
	v_cndmask_b32_e64 v4, 0, v4, s0
	v_cmp_gt_i32_e64 s0, s15, v48
	s_delay_alu instid0(VALU_DEP_1) | instskip(SKIP_1) | instid1(VALU_DEP_2)
	v_cndmask_b32_e64 v77, 0, v77, s0
	v_cmp_gt_i32_e64 s0, s10, v47
	v_perm_b32 v4, v77, v4, 0x5040100
	s_delay_alu instid0(VALU_DEP_2) | instskip(SKIP_1) | instid1(VALU_DEP_1)
	v_cndmask_b32_e64 v78, 0, v78, s0
	v_cmp_gt_i32_e64 s0, s9, v45
	v_cndmask_b32_e64 v3, 0, v3, s0
	v_cmp_gt_i32_e64 s0, s8, v39
	s_delay_alu instid0(VALU_DEP_2) | instskip(NEXT) | instid1(VALU_DEP_2)
	v_perm_b32 v3, v78, v3, 0x5040100
	v_cndmask_b32_e64 v79, 0, v79, s0
	v_cmp_gt_i32_e64 s0, s7, v38
	s_delay_alu instid0(VALU_DEP_1) | instskip(SKIP_1) | instid1(VALU_DEP_2)
	v_cndmask_b32_e64 v2, 0, v2, s0
	v_cmp_gt_i32_e64 s0, s6, v37
	v_perm_b32 v2, v79, v2, 0x5040100
	s_delay_alu instid0(VALU_DEP_2) | instskip(SKIP_1) | instid1(VALU_DEP_1)
	v_cndmask_b32_e64 v80, 0, v80, s0
	v_cmp_gt_i32_e64 s0, s28, v27
	v_cndmask_b32_e64 v1, 0, v1, s0
	s_delay_alu instid0(VALU_DEP_1)
	v_perm_b32 v1, v80, v1, 0x5040100
.LBB126_57:                             ;   in Loop: Header=BB126_29 Depth=1
	s_or_b32 exec_lo, exec_lo, s20
	s_waitcnt vmcnt(0)
	;;#ASMSTART
	v_pk_mul_f16 v1, v44, v1;

	;;#ASMEND
	;;#ASMSTART
	v_pk_mul_f16 v2, v42, v2;

	;;#ASMEND
	;; [unrolled: 4-line block ×4, first 2 shown]
	;;#ASMSTART
	v_pk_add_f16 v1, v1, v2;

	;;#ASMEND
	;;#ASMSTART
	v_pk_add_f16 v1, v1, v3;

	;;#ASMEND
	;; [unrolled: 4-line block ×3, first 2 shown]
	v_lshrrev_b32_e32 v3, 16, v1
	v_and_b32_e32 v4, 0xffff, v1
	v_add_co_u32 v1, s0, v50, v36
	s_delay_alu instid0(VALU_DEP_1)
	v_add_co_ci_u32_e64 v2, s0, 0, v51, s0
	;;#ASMSTART
	v_cvt_f32_f16 v50, v4;
	;;#ASMEND
	;;#ASMSTART
	v_cvt_f32_f16 v51, v3;
	;;#ASMEND
	global_load_b128 v[1:4], v[1:2], off
	s_and_saveexec_b32 s0, vcc_lo
	s_cbranch_execz .LBB126_28
; %bb.58:                               ;   in Loop: Header=BB126_29 Depth=1
	v_cmp_gt_i32_e32 vcc_lo, s11, v49
	s_waitcnt vmcnt(0)
	v_lshrrev_b32_e32 v77, 16, v4
	v_lshrrev_b32_e32 v78, 16, v3
	v_lshrrev_b32_e32 v49, 16, v2
	v_cndmask_b32_e32 v4, 0, v4, vcc_lo
	v_cmp_gt_i32_e32 vcc_lo, s15, v48
	v_cndmask_b32_e32 v48, 0, v77, vcc_lo
	v_cmp_gt_i32_e32 vcc_lo, s10, v47
	v_cndmask_b32_e32 v47, 0, v78, vcc_lo
	v_cmp_gt_i32_e32 vcc_lo, s9, v45
	v_lshrrev_b32_e32 v45, 16, v1
	v_cndmask_b32_e32 v3, 0, v3, vcc_lo
	v_cmp_gt_i32_e32 vcc_lo, s8, v39
	v_perm_b32 v4, v48, v4, 0x5040100
	s_delay_alu instid0(VALU_DEP_3) | instskip(SKIP_4) | instid1(VALU_DEP_2)
	v_perm_b32 v3, v47, v3, 0x5040100
	v_cndmask_b32_e32 v39, 0, v49, vcc_lo
	v_cmp_gt_i32_e32 vcc_lo, s7, v38
	v_cndmask_b32_e32 v2, 0, v2, vcc_lo
	v_cmp_gt_i32_e32 vcc_lo, s6, v37
	v_perm_b32 v2, v39, v2, 0x5040100
	v_cndmask_b32_e32 v37, 0, v45, vcc_lo
	v_cmp_gt_i32_e32 vcc_lo, s28, v27
	v_cndmask_b32_e32 v1, 0, v1, vcc_lo
	s_delay_alu instid0(VALU_DEP_1)
	v_perm_b32 v1, v37, v1, 0x5040100
	s_branch .LBB126_28
.LBB126_59:
	s_or_b32 exec_lo, exec_lo, s13
.LBB126_60:
	s_delay_alu instid0(SALU_CYCLE_1)
	s_or_b32 exec_lo, exec_lo, s1
	ds_bpermute_b32 v1, v10, v24
	ds_bpermute_b32 v2, v10, v26
	;; [unrolled: 1-line block ×15, first 2 shown]
	s_movk_i32 s0, 0x1e0
	s_waitcnt lgkmcnt(0)
	s_waitcnt_vscnt null, 0x0
	s_barrier
	buffer_gl0_inv
	v_dual_add_f32 v1, v24, v1 :: v_dual_add_f32 v2, v26, v2
	v_dual_add_f32 v5, v22, v5 :: v_dual_add_f32 v6, v21, v6
	v_add_f32_e32 v3, v25, v3
	v_dual_add_f32 v7, v20, v7 :: v_dual_add_f32 v8, v19, v8
	ds_bpermute_b32 v21, v9, v2
	v_dual_add_f32 v18, v18, v27 :: v_dual_add_f32 v17, v17, v28
	v_add_f32_e32 v4, v23, v4
	ds_bpermute_b32 v22, v9, v3
	ds_bpermute_b32 v19, v9, v5
	;; [unrolled: 1-line block ×5, first 2 shown]
	v_dual_add_f32 v28, v16, v29 :: v_dual_add_f32 v29, v15, v30
	v_add_f32_e32 v30, v14, v31
	ds_bpermute_b32 v31, v9, v17
	v_add_f32_e32 v32, v13, v32
	v_add_f32_e32 v36, v12, v10
	ds_bpermute_b32 v20, v9, v1
	ds_bpermute_b32 v23, v9, v4
	;; [unrolled: 1-line block ×7, first 2 shown]
	s_waitcnt lgkmcnt(13)
	v_add_f32_e32 v15, v2, v21
	ds_bpermute_b32 v37, v9, v32
	s_waitcnt lgkmcnt(13)
	v_add_f32_e32 v14, v3, v22
	s_waitcnt lgkmcnt(12)
	v_dual_add_f32 v12, v5, v19 :: v_dual_and_b32 v19, 0x3c3, v0
	s_waitcnt lgkmcnt(10)
	v_dual_add_f32 v8, v8, v26 :: v_dual_add_f32 v9, v7, v25
	s_waitcnt lgkmcnt(9)
	v_add_f32_e32 v7, v18, v27
	v_mad_u32_u24 v18, v61, s0, 0x110
	v_cmp_eq_u32_e32 vcc_lo, 64, v19
	s_waitcnt lgkmcnt(8)
	v_add_f32_e32 v5, v17, v31
	v_lshrrev_b32_e32 v17, 2, v62
	s_waitcnt lgkmcnt(6)
	v_dual_add_f32 v16, v1, v20 :: v_dual_add_f32 v13, v4, v23
	s_waitcnt lgkmcnt(5)
	v_add_f32_e32 v10, v6, v24
	s_waitcnt lgkmcnt(3)
	v_dual_add_f32 v4, v28, v33 :: v_dual_add_f32 v3, v29, v34
	s_waitcnt lgkmcnt(2)
	v_dual_add_f32 v2, v30, v35 :: v_dual_lshlrev_b32 v19, 2, v17
	s_waitcnt lgkmcnt(1)
	v_add_f32_e32 v6, v36, v38
	s_waitcnt lgkmcnt(0)
	v_add_f32_e32 v1, v32, v37
	s_and_saveexec_b32 s0, vcc_lo
	s_cbranch_execz .LBB126_62
; %bb.61:
	v_add3_u32 v20, v18, v19, 0xfffffc40
	ds_store_2addr_b32 v20, v16, v15 offset1:8
	ds_store_2addr_b32 v20, v14, v13 offset0:16 offset1:24
	ds_store_2addr_b32 v20, v12, v10 offset0:32 offset1:40
	;; [unrolled: 1-line block ×6, first 2 shown]
	ds_store_b32 v20, v6 offset:448
.LBB126_62:
	s_or_b32 exec_lo, exec_lo, s0
	v_cmp_eq_u32_e32 vcc_lo, 0, v11
	s_mov_b32 s1, exec_lo
	s_waitcnt lgkmcnt(0)
	s_barrier
	buffer_gl0_inv
	v_cmpx_gt_u32_e32 64, v0
	s_cbranch_execz .LBB126_80
; %bb.63:
	s_and_saveexec_b32 s0, vcc_lo
	s_cbranch_execnz .LBB126_103
; %bb.64:
	s_or_b32 exec_lo, exec_lo, s0
	s_and_saveexec_b32 s0, vcc_lo
	s_cbranch_execnz .LBB126_104
.LBB126_65:
	s_or_b32 exec_lo, exec_lo, s0
	s_and_saveexec_b32 s0, vcc_lo
	s_cbranch_execnz .LBB126_105
.LBB126_66:
	s_or_b32 exec_lo, exec_lo, s0
	s_and_saveexec_b32 s0, vcc_lo
	s_cbranch_execnz .LBB126_106
.LBB126_67:
	s_or_b32 exec_lo, exec_lo, s0
	s_and_saveexec_b32 s0, vcc_lo
	s_cbranch_execnz .LBB126_107
.LBB126_68:
	s_or_b32 exec_lo, exec_lo, s0
	s_and_saveexec_b32 s0, vcc_lo
	s_cbranch_execnz .LBB126_108
.LBB126_69:
	s_or_b32 exec_lo, exec_lo, s0
	s_and_saveexec_b32 s0, vcc_lo
	s_cbranch_execnz .LBB126_109
.LBB126_70:
	s_or_b32 exec_lo, exec_lo, s0
	s_and_saveexec_b32 s0, vcc_lo
	s_cbranch_execnz .LBB126_110
.LBB126_71:
	s_or_b32 exec_lo, exec_lo, s0
	s_and_saveexec_b32 s0, vcc_lo
	s_cbranch_execnz .LBB126_111
.LBB126_72:
	s_or_b32 exec_lo, exec_lo, s0
	s_and_saveexec_b32 s0, vcc_lo
	s_cbranch_execnz .LBB126_112
.LBB126_73:
	s_or_b32 exec_lo, exec_lo, s0
	s_and_saveexec_b32 s0, vcc_lo
	s_cbranch_execnz .LBB126_113
.LBB126_74:
	s_or_b32 exec_lo, exec_lo, s0
	s_and_saveexec_b32 s0, vcc_lo
	s_cbranch_execnz .LBB126_114
.LBB126_75:
	s_or_b32 exec_lo, exec_lo, s0
	s_and_saveexec_b32 s0, vcc_lo
	s_cbranch_execnz .LBB126_115
.LBB126_76:
	s_or_b32 exec_lo, exec_lo, s0
	s_and_saveexec_b32 s0, vcc_lo
	s_cbranch_execnz .LBB126_116
.LBB126_77:
	s_or_b32 exec_lo, exec_lo, s0
	s_and_saveexec_b32 s0, vcc_lo
	s_cbranch_execz .LBB126_79
.LBB126_78:
	v_lshl_add_u32 v11, v17, 2, v18
	ds_load_b32 v11, v11 offset:448
	s_waitcnt lgkmcnt(0)
	v_add_f32_e32 v6, v6, v11
.LBB126_79:
	s_or_b32 exec_lo, exec_lo, s0
.LBB126_80:
	s_delay_alu instid0(SALU_CYCLE_1)
	s_or_b32 exec_lo, exec_lo, s1
	v_and_b32_e32 v11, 0x3e3, v0
	s_mov_b32 s1, exec_lo
	s_barrier
	buffer_gl0_inv
	v_cmpx_eq_u32_e32 32, v11
	s_cbranch_execz .LBB126_82
; %bb.81:
	v_add3_u32 v19, v18, v19, 0xfffffe20
	ds_store_2addr_b32 v19, v16, v15 offset1:8
	ds_store_2addr_b32 v19, v14, v13 offset0:16 offset1:24
	ds_store_2addr_b32 v19, v12, v10 offset0:32 offset1:40
	;; [unrolled: 1-line block ×6, first 2 shown]
	ds_store_b32 v19, v6 offset:448
.LBB126_82:
	s_or_b32 exec_lo, exec_lo, s1
	s_delay_alu instid0(SALU_CYCLE_1)
	s_mov_b32 s1, exec_lo
	s_waitcnt lgkmcnt(0)
	s_barrier
	buffer_gl0_inv
	v_cmpx_gt_u32_e32 32, v0
	s_cbranch_execz .LBB126_100
; %bb.83:
	v_lshl_add_u32 v17, v17, 2, v18
	s_and_saveexec_b32 s0, vcc_lo
	s_cbranch_execnz .LBB126_117
; %bb.84:
	s_or_b32 exec_lo, exec_lo, s0
	s_and_saveexec_b32 s0, vcc_lo
	s_cbranch_execnz .LBB126_118
.LBB126_85:
	s_or_b32 exec_lo, exec_lo, s0
	s_and_saveexec_b32 s0, vcc_lo
	s_cbranch_execnz .LBB126_119
.LBB126_86:
	s_or_b32 exec_lo, exec_lo, s0
	s_and_saveexec_b32 s0, vcc_lo
	s_cbranch_execnz .LBB126_120
.LBB126_87:
	s_or_b32 exec_lo, exec_lo, s0
	s_and_saveexec_b32 s0, vcc_lo
	s_cbranch_execnz .LBB126_121
.LBB126_88:
	s_or_b32 exec_lo, exec_lo, s0
	s_and_saveexec_b32 s0, vcc_lo
	s_cbranch_execnz .LBB126_122
.LBB126_89:
	s_or_b32 exec_lo, exec_lo, s0
	s_and_saveexec_b32 s0, vcc_lo
	s_cbranch_execnz .LBB126_123
.LBB126_90:
	s_or_b32 exec_lo, exec_lo, s0
	s_and_saveexec_b32 s0, vcc_lo
	s_cbranch_execnz .LBB126_124
.LBB126_91:
	s_or_b32 exec_lo, exec_lo, s0
	s_and_saveexec_b32 s0, vcc_lo
	s_cbranch_execnz .LBB126_125
.LBB126_92:
	s_or_b32 exec_lo, exec_lo, s0
	s_and_saveexec_b32 s0, vcc_lo
	s_cbranch_execnz .LBB126_126
.LBB126_93:
	s_or_b32 exec_lo, exec_lo, s0
	s_and_saveexec_b32 s0, vcc_lo
	s_cbranch_execnz .LBB126_127
.LBB126_94:
	s_or_b32 exec_lo, exec_lo, s0
	s_and_saveexec_b32 s0, vcc_lo
	s_cbranch_execnz .LBB126_128
.LBB126_95:
	s_or_b32 exec_lo, exec_lo, s0
	s_and_saveexec_b32 s0, vcc_lo
	s_cbranch_execnz .LBB126_129
.LBB126_96:
	s_or_b32 exec_lo, exec_lo, s0
	s_and_saveexec_b32 s0, vcc_lo
	s_cbranch_execnz .LBB126_130
.LBB126_97:
	s_or_b32 exec_lo, exec_lo, s0
	s_and_saveexec_b32 s0, vcc_lo
	s_cbranch_execz .LBB126_99
.LBB126_98:
	ds_load_b32 v17, v17 offset:448
	s_waitcnt lgkmcnt(0)
	v_add_f32_e32 v6, v6, v17
.LBB126_99:
	s_or_b32 exec_lo, exec_lo, s0
.LBB126_100:
	s_delay_alu instid0(SALU_CYCLE_1)
	s_or_b32 exec_lo, exec_lo, s1
	s_barrier
	buffer_gl0_inv
	s_mov_b32 s0, exec_lo
	v_cmpx_eq_u32_e32 0, v11
	s_cbranch_execz .LBB126_102
; %bb.101:
	s_mul_i32 s0, s14, 0x78
	s_mul_i32 s2, s4, s16
	s_ashr_i32 s1, s0, 31
	v_lshrrev_b32_e32 v0, 1, v0
	s_lshl_b64 s[0:1], s[0:1], 1
	;;#ASMSTART
	v_cvt_f16_f32 v11, v16;

	;;#ASMEND
	s_add_u32 s4, s18, s0
	s_addc_u32 s5, s19, s1
	s_ashr_i32 s3, s2, 31
	s_delay_alu instid0(SALU_CYCLE_1) | instskip(SKIP_4) | instid1(SALU_CYCLE_1)
	s_lshl_b64 s[0:1], s[2:3], 1
	s_mul_i32 s2, s12, 0x78
	s_add_u32 s4, s4, s0
	s_addc_u32 s5, s5, s1
	s_ashr_i32 s3, s2, 31
	s_lshl_b64 s[0:1], s[2:3], 1
	s_delay_alu instid0(SALU_CYCLE_1)
	s_add_u32 s0, s4, s0
	s_addc_u32 s1, s5, s1
	global_store_b16 v0, v11, s[0:1]
	;;#ASMSTART
	v_cvt_f16_f32 v11, v15;

	;;#ASMEND
	global_store_b16 v0, v11, s[0:1] offset:16
	;;#ASMSTART
	v_cvt_f16_f32 v11, v14;

	;;#ASMEND
	global_store_b16 v0, v11, s[0:1] offset:32
	;; [unrolled: 5-line block ×14, first 2 shown]
.LBB126_102:
	s_nop 0
	s_sendmsg sendmsg(MSG_DEALLOC_VGPRS)
	s_endpgm
.LBB126_103:
	v_lshl_add_u32 v11, v17, 2, v18
	ds_load_b32 v11, v11
	s_waitcnt lgkmcnt(0)
	v_add_f32_e32 v16, v16, v11
	s_or_b32 exec_lo, exec_lo, s0
	s_and_saveexec_b32 s0, vcc_lo
	s_cbranch_execz .LBB126_65
.LBB126_104:
	v_lshl_add_u32 v11, v17, 2, v18
	ds_load_b32 v11, v11 offset:32
	s_waitcnt lgkmcnt(0)
	v_add_f32_e32 v15, v15, v11
	s_or_b32 exec_lo, exec_lo, s0
	s_and_saveexec_b32 s0, vcc_lo
	s_cbranch_execz .LBB126_66
.LBB126_105:
	v_lshl_add_u32 v11, v17, 2, v18
	ds_load_b32 v11, v11 offset:64
	s_waitcnt lgkmcnt(0)
	v_add_f32_e32 v14, v14, v11
	s_or_b32 exec_lo, exec_lo, s0
	s_and_saveexec_b32 s0, vcc_lo
	s_cbranch_execz .LBB126_67
.LBB126_106:
	v_lshl_add_u32 v11, v17, 2, v18
	ds_load_b32 v11, v11 offset:96
	s_waitcnt lgkmcnt(0)
	v_add_f32_e32 v13, v13, v11
	s_or_b32 exec_lo, exec_lo, s0
	s_and_saveexec_b32 s0, vcc_lo
	s_cbranch_execz .LBB126_68
.LBB126_107:
	v_lshl_add_u32 v11, v17, 2, v18
	ds_load_b32 v11, v11 offset:128
	s_waitcnt lgkmcnt(0)
	v_add_f32_e32 v12, v12, v11
	s_or_b32 exec_lo, exec_lo, s0
	s_and_saveexec_b32 s0, vcc_lo
	s_cbranch_execz .LBB126_69
.LBB126_108:
	v_lshl_add_u32 v11, v17, 2, v18
	ds_load_b32 v11, v11 offset:160
	s_waitcnt lgkmcnt(0)
	v_add_f32_e32 v10, v10, v11
	s_or_b32 exec_lo, exec_lo, s0
	s_and_saveexec_b32 s0, vcc_lo
	s_cbranch_execz .LBB126_70
.LBB126_109:
	v_lshl_add_u32 v11, v17, 2, v18
	ds_load_b32 v11, v11 offset:192
	s_waitcnt lgkmcnt(0)
	v_add_f32_e32 v9, v9, v11
	s_or_b32 exec_lo, exec_lo, s0
	s_and_saveexec_b32 s0, vcc_lo
	s_cbranch_execz .LBB126_71
.LBB126_110:
	v_lshl_add_u32 v11, v17, 2, v18
	ds_load_b32 v11, v11 offset:224
	s_waitcnt lgkmcnt(0)
	v_add_f32_e32 v8, v8, v11
	s_or_b32 exec_lo, exec_lo, s0
	s_and_saveexec_b32 s0, vcc_lo
	s_cbranch_execz .LBB126_72
.LBB126_111:
	v_lshl_add_u32 v11, v17, 2, v18
	ds_load_b32 v11, v11 offset:256
	s_waitcnt lgkmcnt(0)
	v_add_f32_e32 v7, v7, v11
	s_or_b32 exec_lo, exec_lo, s0
	s_and_saveexec_b32 s0, vcc_lo
	s_cbranch_execz .LBB126_73
.LBB126_112:
	v_lshl_add_u32 v11, v17, 2, v18
	ds_load_b32 v11, v11 offset:288
	s_waitcnt lgkmcnt(0)
	v_add_f32_e32 v5, v5, v11
	s_or_b32 exec_lo, exec_lo, s0
	s_and_saveexec_b32 s0, vcc_lo
	s_cbranch_execz .LBB126_74
.LBB126_113:
	v_lshl_add_u32 v11, v17, 2, v18
	ds_load_b32 v11, v11 offset:320
	s_waitcnt lgkmcnt(0)
	v_add_f32_e32 v4, v4, v11
	s_or_b32 exec_lo, exec_lo, s0
	s_and_saveexec_b32 s0, vcc_lo
	s_cbranch_execz .LBB126_75
.LBB126_114:
	v_lshl_add_u32 v11, v17, 2, v18
	ds_load_b32 v11, v11 offset:352
	s_waitcnt lgkmcnt(0)
	v_add_f32_e32 v3, v3, v11
	s_or_b32 exec_lo, exec_lo, s0
	s_and_saveexec_b32 s0, vcc_lo
	s_cbranch_execz .LBB126_76
.LBB126_115:
	v_lshl_add_u32 v11, v17, 2, v18
	ds_load_b32 v11, v11 offset:384
	s_waitcnt lgkmcnt(0)
	v_add_f32_e32 v2, v2, v11
	s_or_b32 exec_lo, exec_lo, s0
	s_and_saveexec_b32 s0, vcc_lo
	s_cbranch_execz .LBB126_77
.LBB126_116:
	v_lshl_add_u32 v11, v17, 2, v18
	ds_load_b32 v11, v11 offset:416
	s_waitcnt lgkmcnt(0)
	v_add_f32_e32 v1, v1, v11
	s_or_b32 exec_lo, exec_lo, s0
	s_and_saveexec_b32 s0, vcc_lo
	s_cbranch_execnz .LBB126_78
	s_branch .LBB126_79
.LBB126_117:
	ds_load_b32 v18, v17
	s_waitcnt lgkmcnt(0)
	v_add_f32_e32 v16, v16, v18
	s_or_b32 exec_lo, exec_lo, s0
	s_and_saveexec_b32 s0, vcc_lo
	s_cbranch_execz .LBB126_85
.LBB126_118:
	ds_load_b32 v18, v17 offset:32
	s_waitcnt lgkmcnt(0)
	v_add_f32_e32 v15, v15, v18
	s_or_b32 exec_lo, exec_lo, s0
	s_and_saveexec_b32 s0, vcc_lo
	s_cbranch_execz .LBB126_86
.LBB126_119:
	ds_load_b32 v18, v17 offset:64
	s_waitcnt lgkmcnt(0)
	v_add_f32_e32 v14, v14, v18
	s_or_b32 exec_lo, exec_lo, s0
	s_and_saveexec_b32 s0, vcc_lo
	s_cbranch_execz .LBB126_87
.LBB126_120:
	ds_load_b32 v18, v17 offset:96
	s_waitcnt lgkmcnt(0)
	v_add_f32_e32 v13, v13, v18
	s_or_b32 exec_lo, exec_lo, s0
	s_and_saveexec_b32 s0, vcc_lo
	s_cbranch_execz .LBB126_88
.LBB126_121:
	ds_load_b32 v18, v17 offset:128
	s_waitcnt lgkmcnt(0)
	v_add_f32_e32 v12, v12, v18
	s_or_b32 exec_lo, exec_lo, s0
	s_and_saveexec_b32 s0, vcc_lo
	s_cbranch_execz .LBB126_89
.LBB126_122:
	ds_load_b32 v18, v17 offset:160
	s_waitcnt lgkmcnt(0)
	v_add_f32_e32 v10, v10, v18
	s_or_b32 exec_lo, exec_lo, s0
	s_and_saveexec_b32 s0, vcc_lo
	s_cbranch_execz .LBB126_90
.LBB126_123:
	ds_load_b32 v18, v17 offset:192
	s_waitcnt lgkmcnt(0)
	v_add_f32_e32 v9, v9, v18
	s_or_b32 exec_lo, exec_lo, s0
	s_and_saveexec_b32 s0, vcc_lo
	s_cbranch_execz .LBB126_91
.LBB126_124:
	ds_load_b32 v18, v17 offset:224
	s_waitcnt lgkmcnt(0)
	v_add_f32_e32 v8, v8, v18
	s_or_b32 exec_lo, exec_lo, s0
	s_and_saveexec_b32 s0, vcc_lo
	s_cbranch_execz .LBB126_92
.LBB126_125:
	ds_load_b32 v18, v17 offset:256
	s_waitcnt lgkmcnt(0)
	v_add_f32_e32 v7, v7, v18
	s_or_b32 exec_lo, exec_lo, s0
	s_and_saveexec_b32 s0, vcc_lo
	s_cbranch_execz .LBB126_93
.LBB126_126:
	ds_load_b32 v18, v17 offset:288
	s_waitcnt lgkmcnt(0)
	v_add_f32_e32 v5, v5, v18
	s_or_b32 exec_lo, exec_lo, s0
	s_and_saveexec_b32 s0, vcc_lo
	s_cbranch_execz .LBB126_94
.LBB126_127:
	ds_load_b32 v18, v17 offset:320
	s_waitcnt lgkmcnt(0)
	v_add_f32_e32 v4, v4, v18
	s_or_b32 exec_lo, exec_lo, s0
	s_and_saveexec_b32 s0, vcc_lo
	s_cbranch_execz .LBB126_95
.LBB126_128:
	ds_load_b32 v18, v17 offset:352
	s_waitcnt lgkmcnt(0)
	v_add_f32_e32 v3, v3, v18
	s_or_b32 exec_lo, exec_lo, s0
	s_and_saveexec_b32 s0, vcc_lo
	s_cbranch_execz .LBB126_96
.LBB126_129:
	ds_load_b32 v18, v17 offset:384
	s_waitcnt lgkmcnt(0)
	v_add_f32_e32 v2, v2, v18
	s_or_b32 exec_lo, exec_lo, s0
	s_and_saveexec_b32 s0, vcc_lo
	s_cbranch_execz .LBB126_97
.LBB126_130:
	ds_load_b32 v18, v17 offset:416
	s_waitcnt lgkmcnt(0)
	v_add_f32_e32 v1, v1, v18
	s_or_b32 exec_lo, exec_lo, s0
	s_and_saveexec_b32 s0, vcc_lo
	s_cbranch_execnz .LBB126_98
	s_branch .LBB126_99
	.section	.rodata,"a",@progbits
	.p2align	6, 0x0
	.amdhsa_kernel _ZN4vllm25paged_attention_v2_kernelIttLi120ELi32ELi128ELNS_18Fp8KVCacheDataTypeE0ELb0ELi512EEEvPfS2_PT_PKS3_PKT0_S9_ifPKiSB_iPKfiiiSD_SD_iiiii
		.amdhsa_group_segment_fixed_size 272
		.amdhsa_private_segment_fixed_size 0
		.amdhsa_kernarg_size 400
		.amdhsa_user_sgpr_count 13
		.amdhsa_user_sgpr_dispatch_ptr 0
		.amdhsa_user_sgpr_queue_ptr 0
		.amdhsa_user_sgpr_kernarg_segment_ptr 1
		.amdhsa_user_sgpr_dispatch_id 0
		.amdhsa_user_sgpr_private_segment_size 0
		.amdhsa_wavefront_size32 1
		.amdhsa_uses_dynamic_stack 0
		.amdhsa_enable_private_segment 0
		.amdhsa_system_sgpr_workgroup_id_x 1
		.amdhsa_system_sgpr_workgroup_id_y 1
		.amdhsa_system_sgpr_workgroup_id_z 1
		.amdhsa_system_sgpr_workgroup_info 0
		.amdhsa_system_vgpr_workitem_id 0
		.amdhsa_next_free_vgpr 95
		.amdhsa_next_free_sgpr 38
		.amdhsa_reserve_vcc 1
		.amdhsa_float_round_mode_32 0
		.amdhsa_float_round_mode_16_64 0
		.amdhsa_float_denorm_mode_32 3
		.amdhsa_float_denorm_mode_16_64 3
		.amdhsa_dx10_clamp 1
		.amdhsa_ieee_mode 1
		.amdhsa_fp16_overflow 0
		.amdhsa_workgroup_processor_mode 1
		.amdhsa_memory_ordered 1
		.amdhsa_forward_progress 0
		.amdhsa_shared_vgpr_count 0
		.amdhsa_exception_fp_ieee_invalid_op 0
		.amdhsa_exception_fp_denorm_src 0
		.amdhsa_exception_fp_ieee_div_zero 0
		.amdhsa_exception_fp_ieee_overflow 0
		.amdhsa_exception_fp_ieee_underflow 0
		.amdhsa_exception_fp_ieee_inexact 0
		.amdhsa_exception_int_div_zero 0
	.end_amdhsa_kernel
	.section	.text._ZN4vllm25paged_attention_v2_kernelIttLi120ELi32ELi128ELNS_18Fp8KVCacheDataTypeE0ELb0ELi512EEEvPfS2_PT_PKS3_PKT0_S9_ifPKiSB_iPKfiiiSD_SD_iiiii,"axG",@progbits,_ZN4vllm25paged_attention_v2_kernelIttLi120ELi32ELi128ELNS_18Fp8KVCacheDataTypeE0ELb0ELi512EEEvPfS2_PT_PKS3_PKT0_S9_ifPKiSB_iPKfiiiSD_SD_iiiii,comdat
.Lfunc_end126:
	.size	_ZN4vllm25paged_attention_v2_kernelIttLi120ELi32ELi128ELNS_18Fp8KVCacheDataTypeE0ELb0ELi512EEEvPfS2_PT_PKS3_PKT0_S9_ifPKiSB_iPKfiiiSD_SD_iiiii, .Lfunc_end126-_ZN4vllm25paged_attention_v2_kernelIttLi120ELi32ELi128ELNS_18Fp8KVCacheDataTypeE0ELb0ELi512EEEvPfS2_PT_PKS3_PKT0_S9_ifPKiSB_iPKfiiiSD_SD_iiiii
                                        ; -- End function
	.section	.AMDGPU.csdata,"",@progbits
; Kernel info:
; codeLenInByte = 19424
; NumSgprs: 40
; NumVgprs: 95
; ScratchSize: 0
; MemoryBound: 0
; FloatMode: 240
; IeeeMode: 1
; LDSByteSize: 272 bytes/workgroup (compile time only)
; SGPRBlocks: 4
; VGPRBlocks: 11
; NumSGPRsForWavesPerEU: 40
; NumVGPRsForWavesPerEU: 95
; Occupancy: 16
; WaveLimiterHint : 1
; COMPUTE_PGM_RSRC2:SCRATCH_EN: 0
; COMPUTE_PGM_RSRC2:USER_SGPR: 13
; COMPUTE_PGM_RSRC2:TRAP_HANDLER: 0
; COMPUTE_PGM_RSRC2:TGID_X_EN: 1
; COMPUTE_PGM_RSRC2:TGID_Y_EN: 1
; COMPUTE_PGM_RSRC2:TGID_Z_EN: 1
; COMPUTE_PGM_RSRC2:TIDIG_COMP_CNT: 0
	.section	.text._ZN4vllm25paged_attention_v2_kernelIttLi128ELi32ELi128ELNS_18Fp8KVCacheDataTypeE0ELb0ELi512EEEvPfS2_PT_PKS3_PKT0_S9_ifPKiSB_iPKfiiiSD_SD_iiiii,"axG",@progbits,_ZN4vllm25paged_attention_v2_kernelIttLi128ELi32ELi128ELNS_18Fp8KVCacheDataTypeE0ELb0ELi512EEEvPfS2_PT_PKS3_PKT0_S9_ifPKiSB_iPKfiiiSD_SD_iiiii,comdat
	.protected	_ZN4vllm25paged_attention_v2_kernelIttLi128ELi32ELi128ELNS_18Fp8KVCacheDataTypeE0ELb0ELi512EEEvPfS2_PT_PKS3_PKT0_S9_ifPKiSB_iPKfiiiSD_SD_iiiii ; -- Begin function _ZN4vllm25paged_attention_v2_kernelIttLi128ELi32ELi128ELNS_18Fp8KVCacheDataTypeE0ELb0ELi512EEEvPfS2_PT_PKS3_PKT0_S9_ifPKiSB_iPKfiiiSD_SD_iiiii
	.globl	_ZN4vllm25paged_attention_v2_kernelIttLi128ELi32ELi128ELNS_18Fp8KVCacheDataTypeE0ELb0ELi512EEEvPfS2_PT_PKS3_PKT0_S9_ifPKiSB_iPKfiiiSD_SD_iiiii
	.p2align	8
	.type	_ZN4vllm25paged_attention_v2_kernelIttLi128ELi32ELi128ELNS_18Fp8KVCacheDataTypeE0ELb0ELi512EEEvPfS2_PT_PKS3_PKT0_S9_ifPKiSB_iPKfiiiSD_SD_iiiii,@function
_ZN4vllm25paged_attention_v2_kernelIttLi128ELi32ELi128ELNS_18Fp8KVCacheDataTypeE0ELb0ELi512EEEvPfS2_PT_PKS3_PKT0_S9_ifPKiSB_iPKfiiiSD_SD_iiiii: ; @_ZN4vllm25paged_attention_v2_kernelIttLi128ELi32ELi128ELNS_18Fp8KVCacheDataTypeE0ELb0ELi512EEEvPfS2_PT_PKS3_PKT0_S9_ifPKiSB_iPKfiiiSD_SD_iiiii
; %bb.0:
	s_load_b64 s[2:3], s[0:1], 0x40
	s_mov_b32 s12, s15
	s_ashr_i32 s15, s14, 31
	s_delay_alu instid0(SALU_CYCLE_1)
	s_lshl_b64 s[4:5], s[14:15], 2
	s_waitcnt lgkmcnt(0)
	s_add_u32 s2, s2, s4
	s_addc_u32 s3, s3, s5
	s_lshl_b32 s29, s12, 9
	s_load_b32 s28, s[2:3], 0x0
	s_waitcnt lgkmcnt(0)
	s_cmp_ge_i32 s29, s28
	s_cbranch_scc1 .LBB127_106
; %bb.1:
	s_mov_b32 s22, s13
	s_clause 0x1
	s_load_b32 s13, s[0:1], 0x90
	s_load_b64 s[2:3], s[0:1], 0x30
	s_mov_b32 s30, 0
	s_waitcnt lgkmcnt(0)
	s_abs_i32 s7, s13
	s_abs_i32 s4, s2
	s_xor_b32 s2, s13, s2
	v_cvt_f32_u32_e32 v1, s4
	s_sub_i32 s6, 0, s4
	s_ashr_i32 s2, s2, 31
	s_delay_alu instid0(VALU_DEP_1) | instskip(SKIP_2) | instid1(VALU_DEP_1)
	v_rcp_iflag_f32_e32 v1, v1
	s_waitcnt_depctr 0xfff
	v_mul_f32_e32 v1, 0x4f7ffffe, v1
	v_cvt_u32_f32_e32 v1, v1
	s_delay_alu instid0(VALU_DEP_1) | instskip(NEXT) | instid1(VALU_DEP_1)
	v_readfirstlane_b32 s5, v1
	s_mul_i32 s6, s6, s5
	s_delay_alu instid0(SALU_CYCLE_1) | instskip(NEXT) | instid1(SALU_CYCLE_1)
	s_mul_hi_u32 s6, s5, s6
	s_add_i32 s5, s5, s6
	s_delay_alu instid0(SALU_CYCLE_1) | instskip(NEXT) | instid1(SALU_CYCLE_1)
	s_mul_hi_u32 s5, s7, s5
	s_mul_i32 s6, s5, s4
	s_delay_alu instid0(SALU_CYCLE_1)
	s_sub_i32 s6, s7, s6
	s_add_i32 s7, s5, 1
	s_sub_i32 s8, s6, s4
	s_cmp_ge_u32 s6, s4
	s_cselect_b32 s5, s7, s5
	s_cselect_b32 s6, s8, s6
	s_add_i32 s7, s5, 1
	s_cmp_ge_u32 s6, s4
	s_cselect_b32 s4, s7, s5
	s_abs_i32 s27, s22
	s_xor_b32 s4, s4, s2
	s_delay_alu instid0(SALU_CYCLE_1) | instskip(SKIP_2) | instid1(SALU_CYCLE_1)
	s_sub_i32 s8, s4, s2
	s_load_b64 s[4:5], s[0:1], 0x50
	s_abs_i32 s2, s8
	v_cvt_f32_u32_e32 v1, s2
	s_sub_i32 s7, 0, s2
	s_delay_alu instid0(VALU_DEP_1) | instskip(SKIP_2) | instid1(VALU_DEP_1)
	v_rcp_iflag_f32_e32 v1, v1
	s_waitcnt_depctr 0xfff
	v_mul_f32_e32 v1, 0x4f7ffffe, v1
	v_cvt_u32_f32_e32 v1, v1
	s_delay_alu instid0(VALU_DEP_1) | instskip(NEXT) | instid1(VALU_DEP_1)
	v_readfirstlane_b32 s6, v1
	s_mul_i32 s7, s7, s6
	s_delay_alu instid0(SALU_CYCLE_1) | instskip(NEXT) | instid1(SALU_CYCLE_1)
	s_mul_hi_u32 s7, s6, s7
	s_add_i32 s6, s6, s7
	s_waitcnt lgkmcnt(0)
	s_cmp_eq_u64 s[4:5], 0
	s_mul_hi_u32 s26, s27, s6
	s_cbranch_scc1 .LBB127_3
; %bb.2:
	s_ashr_i32 s23, s22, 31
	s_delay_alu instid0(SALU_CYCLE_1) | instskip(NEXT) | instid1(SALU_CYCLE_1)
	s_lshl_b64 s[6:7], s[22:23], 2
	s_add_u32 s4, s4, s6
	s_addc_u32 s5, s5, s7
	s_load_b32 s30, s[4:5], 0x0
.LBB127_3:
	s_clause 0x1
	s_load_b64 s[20:21], s[0:1], 0x38
	s_load_b128 s[4:7], s[0:1], 0x58
	s_waitcnt lgkmcnt(0)
	s_ashr_i32 s7, s22, 31
	s_ashr_i32 s31, s8, 31
	s_lshl_b32 s16, s22, 7
	s_mov_b32 s8, exec_lo
	v_cmpx_gt_u32_e32 16, v0
	s_cbranch_execz .LBB127_5
; %bb.4:
	s_load_b64 s[10:11], s[0:1], 0x18
	s_mul_i32 s18, s14, s4
	v_lshlrev_b32_e32 v5, 4, v0
	s_ashr_i32 s19, s18, 31
	s_delay_alu instid0(SALU_CYCLE_1) | instskip(SKIP_4) | instid1(SALU_CYCLE_1)
	s_lshl_b64 s[18:19], s[18:19], 1
	s_waitcnt lgkmcnt(0)
	s_add_u32 s4, s10, s18
	s_addc_u32 s9, s11, s19
	s_ashr_i32 s17, s16, 31
	s_lshl_b64 s[10:11], s[16:17], 1
	s_delay_alu instid0(SALU_CYCLE_1)
	s_add_u32 s10, s4, s10
	s_addc_u32 s11, s9, s11
	global_load_b128 v[1:4], v5, s[10:11]
	s_waitcnt vmcnt(0)
	ds_store_b128 v5, v[1:4]
.LBB127_5:
	s_or_b32 exec_lo, exec_lo, s8
	s_add_i32 s4, s28, 31
	s_clause 0x1
	s_load_b128 s[8:11], s[0:1], 0x0
	s_load_b64 s[18:19], s[0:1], 0x10
	s_ashr_i32 s15, s4, 31
	s_mul_i32 s34, s26, s2
	s_lshr_b32 s17, s15, 27
	s_lshl_b32 s15, s12, 4
	s_add_i32 s4, s4, s17
	s_load_b64 s[24:25], s[0:1], 0x28
	s_ashr_i32 s23, s4, 5
	s_clause 0x1
	s_load_b32 s4, s[0:1], 0x98
	s_load_b32 s33, s[0:1], 0x48
	s_add_i32 s17, s15, 16
	s_sub_i32 s27, s27, s34
	s_min_i32 s17, s17, s23
	s_xor_b32 s7, s7, s31
	s_add_i32 s31, s26, 1
	s_sub_i32 s34, s27, s2
	s_cmp_ge_u32 s27, s2
	v_lshrrev_b32_e32 v65, 5, v0
	s_cselect_b32 s26, s31, s26
	s_cselect_b32 s27, s34, s27
	s_add_i32 s31, s26, 1
	s_cmp_ge_u32 s27, s2
	v_add_nc_u32_e32 v61, s15, v65
	v_dual_mov_b32 v69, 0xff7fffff :: v_dual_and_b32 v66, 31, v0
	s_cselect_b32 s2, s31, s26
	v_lshlrev_b32_e32 v67, 5, v65
	s_xor_b32 s2, s2, s7
	v_ashrrev_i32_e32 v62, 31, v61
	s_sub_i32 s7, s2, s7
	v_cmp_gt_i32_e64 s2, s17, v61
	v_lshlrev_b32_e32 v68, 2, v66
	s_waitcnt lgkmcnt(0)
	s_mul_i32 s26, s14, s33
	s_mul_i32 s6, s7, s6
	s_ashr_i32 s27, s26, 31
	s_barrier
	buffer_gl0_inv
	s_and_saveexec_b32 s31, s2
	s_cbranch_execz .LBB127_9
; %bb.6:
	s_load_b64 s[0:1], s[0:1], 0x20
	s_ashr_i32 s7, s6, 31
	v_dual_mov_b32 v70, 0 :: v_dual_lshlrev_b32 v3, 4, v66
	s_lshl_b64 s[34:35], s[6:7], 1
	v_lshlrev_b64 v[1:2], 2, v[61:62]
	v_lshl_or_b32 v4, v65, 7, v68
	v_cmp_neq_f32_e64 vcc_lo, s30, 0
	v_add3_u32 v71, s29, v67, v66
	v_mov_b32_e32 v69, 0xff7fffff
	s_delay_alu instid0(VALU_DEP_4)
	v_dual_mov_b32 v75, v61 :: v_dual_add_nc_u32 v72, 0x120, v4
	s_mov_b32 s33, s5
	s_waitcnt lgkmcnt(0)
	s_add_u32 s0, s0, s34
	s_addc_u32 s7, s1, s35
	s_lshl_b64 s[34:35], s[26:27], 2
	v_add_co_u32 v73, s0, s0, v3
	s_sub_i32 s1, 1, s28
	v_add_co_ci_u32_e64 v74, null, s7, 0, s0
	s_add_u32 s0, s20, s34
	s_addc_u32 s7, s21, s35
	v_add_co_u32 v63, s0, s0, v1
	s_delay_alu instid0(VALU_DEP_1)
	v_add_co_ci_u32_e64 v64, s0, s7, v2, s0
	s_mov_b32 s7, 0
.LBB127_7:                              ; =>This Inner Loop Header: Depth=1
	global_load_b32 v3, v[63:64], off
	v_add_nc_u32_e32 v75, 4, v75
	s_waitcnt vmcnt(0)
	v_mad_i64_i32 v[1:2], null, v3, s33, 0
	v_add_nc_u32_e32 v3, s1, v71
	s_delay_alu instid0(VALU_DEP_1) | instskip(NEXT) | instid1(VALU_DEP_3)
	v_cvt_f32_i32_e32 v3, v3
	v_lshlrev_b64 v[1:2], 1, v[1:2]
	s_delay_alu instid0(VALU_DEP_2) | instskip(NEXT) | instid1(VALU_DEP_2)
	v_mul_f32_e32 v3, s30, v3
	v_add_co_u32 v1, s0, v73, v1
	s_delay_alu instid0(VALU_DEP_1)
	v_add_co_ci_u32_e64 v2, s0, v74, v2, s0
	s_clause 0x7
	global_load_b128 v[77:80], v[1:2], off
	global_load_b128 v[57:60], v[1:2], off offset:512
	global_load_b128 v[53:56], v[1:2], off offset:1024
	;; [unrolled: 1-line block ×7, first 2 shown]
	v_add_co_u32 v1, s0, 0x1000, v1
	s_delay_alu instid0(VALU_DEP_1)
	v_add_co_ci_u32_e64 v2, s0, 0, v2, s0
	v_cndmask_b32_e32 v76, 0, v3, vcc_lo
	s_clause 0x7
	global_load_b128 v[29:32], v[1:2], off
	global_load_b128 v[25:28], v[1:2], off offset:512
	global_load_b128 v[21:24], v[1:2], off offset:1024
	;; [unrolled: 1-line block ×7, first 2 shown]
	ds_load_b128 v[81:84], v70
	v_cmp_gt_i32_e64 s0, s28, v71
	v_add_nc_u32_e32 v71, 0x80, v71
	s_waitcnt lgkmcnt(0)
	v_lshrrev_b32_e32 v85, 16, v81
	v_and_b32_e32 v81, 0xffff, v81
	;;#ASMSTART
	v_cvt_f32_f16 v81, v81;
	;;#ASMEND
	;;#ASMSTART
	v_cvt_f32_f16 v85, v85;
	;;#ASMEND
	s_waitcnt vmcnt(15)
	v_lshrrev_b32_e32 v86, 16, v77
	v_and_b32_e32 v77, 0xffff, v77
	;;#ASMSTART
	v_cvt_f32_f16 v87, v77;
	;;#ASMEND
	v_lshrrev_b32_e32 v77, 16, v82
	v_and_b32_e32 v82, 0xffff, v82
	;;#ASMSTART
	v_cvt_f32_f16 v86, v86;
	;;#ASMEND
	;;#ASMSTART
	v_cvt_f32_f16 v82, v82;
	;;#ASMEND
	;; [unrolled: 3-line block ×3, first 2 shown]
	v_lshrrev_b32_e32 v77, 16, v78
	v_and_b32_e32 v78, 0xffff, v78
	;;#ASMSTART
	v_cvt_f32_f16 v89, v78;
	;;#ASMEND
	;;#ASMSTART
	v_cvt_f32_f16 v90, v77;
	;;#ASMEND
	v_lshrrev_b32_e32 v77, 16, v83
	v_and_b32_e32 v78, 0xffff, v83
	;;#ASMSTART
	v_cvt_f32_f16 v83, v78;
	;;#ASMEND
	;;#ASMSTART
	v_cvt_f32_f16 v91, v77;
	;;#ASMEND
	;; [unrolled: 8-line block ×5, first 2 shown]
	ds_load_b128 v[77:80], v70 offset:16
	s_waitcnt vmcnt(14)
	v_lshrrev_b32_e32 v98, 16, v57
	v_and_b32_e32 v57, 0xffff, v57
	s_waitcnt lgkmcnt(0)
	v_lshrrev_b32_e32 v97, 16, v77
	v_and_b32_e32 v77, 0xffff, v77
	;;#ASMSTART
	v_cvt_f32_f16 v77, v77;
	;;#ASMEND
	;;#ASMSTART
	v_cvt_f32_f16 v97, v97;
	;;#ASMEND
	;; [unrolled: 3-line block ×4, first 2 shown]
	v_mul_f32_e32 v57, v77, v57
	v_mul_f32_e32 v77, v97, v98
	s_delay_alu instid0(VALU_DEP_2) | instskip(NEXT) | instid1(VALU_DEP_2)
	v_fmac_f32_e32 v57, v81, v87
	v_fmac_f32_e32 v77, v85, v86
	v_lshrrev_b32_e32 v81, 16, v78
	v_and_b32_e32 v78, 0xffff, v78
	v_lshrrev_b32_e32 v85, 16, v58
	v_and_b32_e32 v58, 0xffff, v58
	;;#ASMSTART
	v_cvt_f32_f16 v78, v78;
	;;#ASMEND
	;;#ASMSTART
	v_cvt_f32_f16 v81, v81;
	;;#ASMEND
	;; [unrolled: 3-line block ×3, first 2 shown]
	s_delay_alu instid0(VALU_DEP_1) | instskip(SKIP_3) | instid1(VALU_DEP_3)
	v_mul_f32_e32 v58, v78, v58
	;;#ASMSTART
	v_cvt_f32_f16 v85, v85;
	;;#ASMEND
	v_mul_f32_e32 v78, v81, v85
	v_lshrrev_b32_e32 v81, 16, v79
	v_dual_fmac_f32 v58, v82, v89 :: v_dual_and_b32 v79, 0xffff, v79
	v_lshrrev_b32_e32 v82, 16, v59
	v_and_b32_e32 v59, 0xffff, v59
	;;#ASMSTART
	v_cvt_f32_f16 v79, v79;
	;;#ASMEND
	;;#ASMSTART
	v_cvt_f32_f16 v81, v81;
	;;#ASMEND
	;; [unrolled: 3-line block ×4, first 2 shown]
	v_mul_f32_e32 v59, v79, v59
	v_mul_f32_e32 v79, v81, v82
	v_lshrrev_b32_e32 v81, 16, v80
	v_and_b32_e32 v80, 0xffff, v80
	v_lshrrev_b32_e32 v82, 16, v60
	v_and_b32_e32 v60, 0xffff, v60
	;;#ASMSTART
	v_cvt_f32_f16 v80, v80;
	;;#ASMEND
	;;#ASMSTART
	v_cvt_f32_f16 v81, v81;
	;;#ASMEND
	;; [unrolled: 3-line block ×3, first 2 shown]
	s_delay_alu instid0(VALU_DEP_1) | instskip(SKIP_3) | instid1(VALU_DEP_3)
	v_mul_f32_e32 v60, v80, v60
	;;#ASMSTART
	v_cvt_f32_f16 v82, v82;
	;;#ASMEND
	v_dual_fmac_f32 v59, v83, v92 :: v_dual_mul_f32 v80, v81, v82
	v_fmac_f32_e32 v78, v88, v90
	v_fmac_f32_e32 v60, v84, v95
	ds_load_b128 v[81:84], v70 offset:32
	s_waitcnt vmcnt(13)
	v_lshrrev_b32_e32 v86, 16, v53
	v_and_b32_e32 v53, 0xffff, v53
	v_fmac_f32_e32 v79, v91, v93
	s_waitcnt lgkmcnt(0)
	v_lshrrev_b32_e32 v85, 16, v81
	v_dual_fmac_f32 v80, v94, v96 :: v_dual_and_b32 v81, 0xffff, v81
	;;#ASMSTART
	v_cvt_f32_f16 v81, v81;
	;;#ASMEND
	;;#ASMSTART
	v_cvt_f32_f16 v85, v85;
	;;#ASMEND
	;; [unrolled: 3-line block ×3, first 2 shown]
	s_delay_alu instid0(VALU_DEP_1)
	v_fmac_f32_e32 v57, v81, v53
	v_lshrrev_b32_e32 v53, 16, v82
	v_and_b32_e32 v81, 0xffff, v82
	v_lshrrev_b32_e32 v82, 16, v54
	v_and_b32_e32 v54, 0xffff, v54
	;;#ASMSTART
	v_cvt_f32_f16 v86, v86;
	;;#ASMEND
	;;#ASMSTART
	v_cvt_f32_f16 v81, v81;
	;;#ASMEND
	;; [unrolled: 3-line block ×4, first 2 shown]
	v_fmac_f32_e32 v77, v85, v86
	v_fmac_f32_e32 v58, v81, v54
	v_and_b32_e32 v54, 0xffff, v83
	;;#ASMSTART
	v_cvt_f32_f16 v82, v82;
	;;#ASMEND
	;;#ASMSTART
	v_cvt_f32_f16 v54, v54;
	;;#ASMEND
	v_fmac_f32_e32 v78, v53, v82
	v_lshrrev_b32_e32 v53, 16, v83
	v_lshrrev_b32_e32 v81, 16, v55
	v_and_b32_e32 v55, 0xffff, v55
	;;#ASMSTART
	v_cvt_f32_f16 v53, v53;
	;;#ASMEND
	;;#ASMSTART
	v_cvt_f32_f16 v55, v55;
	;;#ASMEND
	s_delay_alu instid0(VALU_DEP_1)
	v_fmac_f32_e32 v59, v54, v55
	;;#ASMSTART
	v_cvt_f32_f16 v81, v81;
	;;#ASMEND
	v_fmac_f32_e32 v79, v53, v81
	v_lshrrev_b32_e32 v53, 16, v84
	v_and_b32_e32 v54, 0xffff, v84
	v_lshrrev_b32_e32 v55, 16, v56
	v_and_b32_e32 v56, 0xffff, v56
	;;#ASMSTART
	v_cvt_f32_f16 v54, v54;
	;;#ASMEND
	;;#ASMSTART
	v_cvt_f32_f16 v53, v53;
	;;#ASMEND
	;; [unrolled: 3-line block ×4, first 2 shown]
	v_fmac_f32_e32 v60, v54, v56
	v_fmac_f32_e32 v80, v53, v55
	ds_load_b128 v[53:56], v70 offset:48
	s_waitcnt vmcnt(12)
	v_lshrrev_b32_e32 v82, 16, v49
	v_and_b32_e32 v49, 0xffff, v49
	s_waitcnt lgkmcnt(0)
	v_lshrrev_b32_e32 v81, 16, v53
	v_and_b32_e32 v53, 0xffff, v53
	;;#ASMSTART
	v_cvt_f32_f16 v53, v53;
	;;#ASMEND
	;;#ASMSTART
	v_cvt_f32_f16 v81, v81;
	;;#ASMEND
	;; [unrolled: 3-line block ×3, first 2 shown]
	s_delay_alu instid0(VALU_DEP_1)
	v_fmac_f32_e32 v57, v53, v49
	v_lshrrev_b32_e32 v49, 16, v54
	v_and_b32_e32 v53, 0xffff, v54
	v_lshrrev_b32_e32 v54, 16, v50
	v_and_b32_e32 v50, 0xffff, v50
	;;#ASMSTART
	v_cvt_f32_f16 v82, v82;
	;;#ASMEND
	;;#ASMSTART
	v_cvt_f32_f16 v53, v53;
	;;#ASMEND
	;; [unrolled: 3-line block ×5, first 2 shown]
	v_fmac_f32_e32 v58, v53, v50
	v_fmac_f32_e32 v78, v49, v54
	v_lshrrev_b32_e32 v49, 16, v55
	v_and_b32_e32 v50, 0xffff, v55
	v_lshrrev_b32_e32 v53, 16, v51
	v_and_b32_e32 v51, 0xffff, v51
	;;#ASMSTART
	v_cvt_f32_f16 v50, v50;
	;;#ASMEND
	;;#ASMSTART
	v_cvt_f32_f16 v49, v49;
	;;#ASMEND
	;; [unrolled: 3-line block ×3, first 2 shown]
	v_fmac_f32_e32 v77, v81, v82
	;;#ASMSTART
	v_cvt_f32_f16 v53, v53;
	;;#ASMEND
	v_dual_fmac_f32 v59, v50, v51 :: v_dual_and_b32 v50, 0xffff, v56
	v_fmac_f32_e32 v79, v49, v53
	v_lshrrev_b32_e32 v49, 16, v56
	v_lshrrev_b32_e32 v51, 16, v52
	v_and_b32_e32 v52, 0xffff, v52
	;;#ASMSTART
	v_cvt_f32_f16 v50, v50;
	;;#ASMEND
	;;#ASMSTART
	v_cvt_f32_f16 v49, v49;
	;;#ASMEND
	;; [unrolled: 3-line block ×4, first 2 shown]
	v_fmac_f32_e32 v60, v50, v52
	v_fmac_f32_e32 v80, v49, v51
	ds_load_b128 v[49:52], v70 offset:64
	s_waitcnt vmcnt(11)
	v_lshrrev_b32_e32 v54, 16, v45
	v_and_b32_e32 v45, 0xffff, v45
	s_waitcnt lgkmcnt(0)
	v_lshrrev_b32_e32 v53, 16, v49
	v_and_b32_e32 v49, 0xffff, v49
	;;#ASMSTART
	v_cvt_f32_f16 v49, v49;
	;;#ASMEND
	;;#ASMSTART
	v_cvt_f32_f16 v53, v53;
	;;#ASMEND
	;; [unrolled: 3-line block ×3, first 2 shown]
	s_delay_alu instid0(VALU_DEP_1)
	v_fmac_f32_e32 v57, v49, v45
	v_lshrrev_b32_e32 v45, 16, v50
	v_and_b32_e32 v49, 0xffff, v50
	v_lshrrev_b32_e32 v50, 16, v46
	v_and_b32_e32 v46, 0xffff, v46
	;;#ASMSTART
	v_cvt_f32_f16 v54, v54;
	;;#ASMEND
	;;#ASMSTART
	v_cvt_f32_f16 v49, v49;
	;;#ASMEND
	;; [unrolled: 3-line block ×5, first 2 shown]
	v_fmac_f32_e32 v58, v49, v46
	v_fmac_f32_e32 v78, v45, v50
	v_lshrrev_b32_e32 v45, 16, v51
	v_and_b32_e32 v46, 0xffff, v51
	v_lshrrev_b32_e32 v49, 16, v47
	v_and_b32_e32 v47, 0xffff, v47
	;;#ASMSTART
	v_cvt_f32_f16 v46, v46;
	;;#ASMEND
	;;#ASMSTART
	v_cvt_f32_f16 v45, v45;
	;;#ASMEND
	;; [unrolled: 3-line block ×3, first 2 shown]
	v_fmac_f32_e32 v77, v53, v54
	;;#ASMSTART
	v_cvt_f32_f16 v49, v49;
	;;#ASMEND
	v_dual_fmac_f32 v59, v46, v47 :: v_dual_and_b32 v46, 0xffff, v52
	v_fmac_f32_e32 v79, v45, v49
	v_lshrrev_b32_e32 v45, 16, v52
	v_lshrrev_b32_e32 v47, 16, v48
	v_and_b32_e32 v48, 0xffff, v48
	;;#ASMSTART
	v_cvt_f32_f16 v46, v46;
	;;#ASMEND
	;;#ASMSTART
	v_cvt_f32_f16 v45, v45;
	;;#ASMEND
	;; [unrolled: 3-line block ×4, first 2 shown]
	v_fmac_f32_e32 v60, v46, v48
	v_fmac_f32_e32 v80, v45, v47
	ds_load_b128 v[45:48], v70 offset:80
	s_waitcnt vmcnt(10)
	v_lshrrev_b32_e32 v50, 16, v41
	v_and_b32_e32 v41, 0xffff, v41
	s_waitcnt lgkmcnt(0)
	v_lshrrev_b32_e32 v49, 16, v45
	v_and_b32_e32 v45, 0xffff, v45
	;;#ASMSTART
	v_cvt_f32_f16 v45, v45;
	;;#ASMEND
	;;#ASMSTART
	v_cvt_f32_f16 v49, v49;
	;;#ASMEND
	;; [unrolled: 3-line block ×3, first 2 shown]
	s_delay_alu instid0(VALU_DEP_1)
	v_fmac_f32_e32 v57, v45, v41
	v_lshrrev_b32_e32 v41, 16, v46
	v_and_b32_e32 v45, 0xffff, v46
	v_lshrrev_b32_e32 v46, 16, v42
	v_and_b32_e32 v42, 0xffff, v42
	;;#ASMSTART
	v_cvt_f32_f16 v50, v50;
	;;#ASMEND
	;;#ASMSTART
	v_cvt_f32_f16 v45, v45;
	;;#ASMEND
	;; [unrolled: 3-line block ×5, first 2 shown]
	v_fmac_f32_e32 v58, v45, v42
	v_fmac_f32_e32 v78, v41, v46
	v_lshrrev_b32_e32 v41, 16, v47
	v_and_b32_e32 v42, 0xffff, v47
	v_lshrrev_b32_e32 v45, 16, v43
	v_and_b32_e32 v43, 0xffff, v43
	;;#ASMSTART
	v_cvt_f32_f16 v42, v42;
	;;#ASMEND
	;;#ASMSTART
	v_cvt_f32_f16 v41, v41;
	;;#ASMEND
	;; [unrolled: 3-line block ×3, first 2 shown]
	v_fmac_f32_e32 v77, v49, v50
	;;#ASMSTART
	v_cvt_f32_f16 v45, v45;
	;;#ASMEND
	v_dual_fmac_f32 v59, v42, v43 :: v_dual_and_b32 v42, 0xffff, v48
	v_fmac_f32_e32 v79, v41, v45
	v_lshrrev_b32_e32 v41, 16, v48
	v_lshrrev_b32_e32 v43, 16, v44
	v_and_b32_e32 v44, 0xffff, v44
	;;#ASMSTART
	v_cvt_f32_f16 v42, v42;
	;;#ASMEND
	;;#ASMSTART
	v_cvt_f32_f16 v41, v41;
	;;#ASMEND
	;; [unrolled: 3-line block ×4, first 2 shown]
	v_fmac_f32_e32 v60, v42, v44
	v_fmac_f32_e32 v80, v41, v43
	ds_load_b128 v[41:44], v70 offset:96
	s_waitcnt vmcnt(9)
	v_lshrrev_b32_e32 v46, 16, v37
	v_and_b32_e32 v37, 0xffff, v37
	s_waitcnt lgkmcnt(0)
	v_lshrrev_b32_e32 v45, 16, v41
	v_and_b32_e32 v41, 0xffff, v41
	;;#ASMSTART
	v_cvt_f32_f16 v41, v41;
	;;#ASMEND
	;;#ASMSTART
	v_cvt_f32_f16 v45, v45;
	;;#ASMEND
	;; [unrolled: 3-line block ×3, first 2 shown]
	s_delay_alu instid0(VALU_DEP_1)
	v_fmac_f32_e32 v57, v41, v37
	v_lshrrev_b32_e32 v37, 16, v42
	v_and_b32_e32 v41, 0xffff, v42
	v_lshrrev_b32_e32 v42, 16, v38
	v_and_b32_e32 v38, 0xffff, v38
	;;#ASMSTART
	v_cvt_f32_f16 v46, v46;
	;;#ASMEND
	;;#ASMSTART
	v_cvt_f32_f16 v41, v41;
	;;#ASMEND
	;;#ASMSTART
	v_cvt_f32_f16 v37, v37;
	;;#ASMEND
	;;#ASMSTART
	v_cvt_f32_f16 v38, v38;
	;;#ASMEND
	;;#ASMSTART
	v_cvt_f32_f16 v42, v42;
	;;#ASMEND
	v_fmac_f32_e32 v58, v41, v38
	v_fmac_f32_e32 v78, v37, v42
	v_lshrrev_b32_e32 v37, 16, v43
	v_and_b32_e32 v38, 0xffff, v43
	v_lshrrev_b32_e32 v41, 16, v39
	v_and_b32_e32 v39, 0xffff, v39
	;;#ASMSTART
	v_cvt_f32_f16 v38, v38;
	;;#ASMEND
	;;#ASMSTART
	v_cvt_f32_f16 v37, v37;
	;;#ASMEND
	;;#ASMSTART
	v_cvt_f32_f16 v39, v39;
	;;#ASMEND
	v_fmac_f32_e32 v77, v45, v46
	;;#ASMSTART
	v_cvt_f32_f16 v41, v41;
	;;#ASMEND
	v_dual_fmac_f32 v59, v38, v39 :: v_dual_and_b32 v38, 0xffff, v44
	v_fmac_f32_e32 v79, v37, v41
	v_lshrrev_b32_e32 v37, 16, v44
	v_lshrrev_b32_e32 v39, 16, v40
	v_and_b32_e32 v40, 0xffff, v40
	;;#ASMSTART
	v_cvt_f32_f16 v38, v38;
	;;#ASMEND
	;;#ASMSTART
	v_cvt_f32_f16 v37, v37;
	;;#ASMEND
	;; [unrolled: 3-line block ×4, first 2 shown]
	v_fmac_f32_e32 v60, v38, v40
	v_fmac_f32_e32 v80, v37, v39
	ds_load_b128 v[37:40], v70 offset:112
	s_waitcnt vmcnt(8)
	v_lshrrev_b32_e32 v42, 16, v33
	v_and_b32_e32 v33, 0xffff, v33
	s_waitcnt lgkmcnt(0)
	v_lshrrev_b32_e32 v41, 16, v37
	v_and_b32_e32 v37, 0xffff, v37
	;;#ASMSTART
	v_cvt_f32_f16 v37, v37;
	;;#ASMEND
	;;#ASMSTART
	v_cvt_f32_f16 v41, v41;
	;;#ASMEND
	;; [unrolled: 3-line block ×3, first 2 shown]
	s_delay_alu instid0(VALU_DEP_1)
	v_fmac_f32_e32 v57, v37, v33
	v_lshrrev_b32_e32 v33, 16, v38
	v_and_b32_e32 v37, 0xffff, v38
	v_lshrrev_b32_e32 v38, 16, v34
	v_and_b32_e32 v34, 0xffff, v34
	;;#ASMSTART
	v_cvt_f32_f16 v42, v42;
	;;#ASMEND
	;;#ASMSTART
	v_cvt_f32_f16 v37, v37;
	;;#ASMEND
	;; [unrolled: 3-line block ×5, first 2 shown]
	v_fmac_f32_e32 v58, v37, v34
	v_fmac_f32_e32 v78, v33, v38
	v_lshrrev_b32_e32 v33, 16, v39
	v_and_b32_e32 v34, 0xffff, v39
	v_lshrrev_b32_e32 v37, 16, v35
	v_and_b32_e32 v35, 0xffff, v35
	;;#ASMSTART
	v_cvt_f32_f16 v34, v34;
	;;#ASMEND
	;;#ASMSTART
	v_cvt_f32_f16 v33, v33;
	;;#ASMEND
	;; [unrolled: 3-line block ×3, first 2 shown]
	v_fmac_f32_e32 v77, v41, v42
	;;#ASMSTART
	v_cvt_f32_f16 v37, v37;
	;;#ASMEND
	v_dual_fmac_f32 v59, v34, v35 :: v_dual_and_b32 v34, 0xffff, v40
	v_fmac_f32_e32 v79, v33, v37
	v_lshrrev_b32_e32 v33, 16, v40
	v_lshrrev_b32_e32 v35, 16, v36
	v_and_b32_e32 v36, 0xffff, v36
	;;#ASMSTART
	v_cvt_f32_f16 v34, v34;
	;;#ASMEND
	;;#ASMSTART
	v_cvt_f32_f16 v33, v33;
	;;#ASMEND
	;;#ASMSTART
	v_cvt_f32_f16 v36, v36;
	;;#ASMEND
	;;#ASMSTART
	v_cvt_f32_f16 v35, v35;
	;;#ASMEND
	v_fmac_f32_e32 v60, v34, v36
	v_fmac_f32_e32 v80, v33, v35
	ds_load_b128 v[33:36], v70 offset:128
	s_waitcnt vmcnt(7)
	v_lshrrev_b32_e32 v38, 16, v29
	v_and_b32_e32 v29, 0xffff, v29
	s_waitcnt lgkmcnt(0)
	v_lshrrev_b32_e32 v37, 16, v33
	v_and_b32_e32 v33, 0xffff, v33
	;;#ASMSTART
	v_cvt_f32_f16 v33, v33;
	;;#ASMEND
	;;#ASMSTART
	v_cvt_f32_f16 v37, v37;
	;;#ASMEND
	;; [unrolled: 3-line block ×3, first 2 shown]
	s_delay_alu instid0(VALU_DEP_1)
	v_fmac_f32_e32 v57, v33, v29
	v_lshrrev_b32_e32 v29, 16, v34
	v_and_b32_e32 v33, 0xffff, v34
	v_lshrrev_b32_e32 v34, 16, v30
	v_and_b32_e32 v30, 0xffff, v30
	;;#ASMSTART
	v_cvt_f32_f16 v38, v38;
	;;#ASMEND
	;;#ASMSTART
	v_cvt_f32_f16 v33, v33;
	;;#ASMEND
	;;#ASMSTART
	v_cvt_f32_f16 v29, v29;
	;;#ASMEND
	;;#ASMSTART
	v_cvt_f32_f16 v30, v30;
	;;#ASMEND
	;;#ASMSTART
	v_cvt_f32_f16 v34, v34;
	;;#ASMEND
	v_fmac_f32_e32 v58, v33, v30
	v_fmac_f32_e32 v78, v29, v34
	v_lshrrev_b32_e32 v29, 16, v35
	v_and_b32_e32 v30, 0xffff, v35
	v_lshrrev_b32_e32 v33, 16, v31
	v_and_b32_e32 v31, 0xffff, v31
	;;#ASMSTART
	v_cvt_f32_f16 v30, v30;
	;;#ASMEND
	;;#ASMSTART
	v_cvt_f32_f16 v29, v29;
	;;#ASMEND
	;; [unrolled: 3-line block ×3, first 2 shown]
	v_fmac_f32_e32 v77, v37, v38
	;;#ASMSTART
	v_cvt_f32_f16 v33, v33;
	;;#ASMEND
	v_dual_fmac_f32 v59, v30, v31 :: v_dual_and_b32 v30, 0xffff, v36
	v_fmac_f32_e32 v79, v29, v33
	v_lshrrev_b32_e32 v29, 16, v36
	v_lshrrev_b32_e32 v31, 16, v32
	v_and_b32_e32 v32, 0xffff, v32
	;;#ASMSTART
	v_cvt_f32_f16 v30, v30;
	;;#ASMEND
	;;#ASMSTART
	v_cvt_f32_f16 v29, v29;
	;;#ASMEND
	;; [unrolled: 3-line block ×4, first 2 shown]
	v_fmac_f32_e32 v60, v30, v32
	v_fmac_f32_e32 v80, v29, v31
	ds_load_b128 v[29:32], v70 offset:144
	s_waitcnt vmcnt(6)
	v_lshrrev_b32_e32 v34, 16, v25
	v_and_b32_e32 v25, 0xffff, v25
	s_waitcnt lgkmcnt(0)
	v_lshrrev_b32_e32 v33, 16, v29
	v_and_b32_e32 v29, 0xffff, v29
	;;#ASMSTART
	v_cvt_f32_f16 v29, v29;
	;;#ASMEND
	;;#ASMSTART
	v_cvt_f32_f16 v33, v33;
	;;#ASMEND
	;; [unrolled: 3-line block ×3, first 2 shown]
	s_delay_alu instid0(VALU_DEP_1)
	v_fmac_f32_e32 v57, v29, v25
	v_lshrrev_b32_e32 v25, 16, v30
	v_and_b32_e32 v29, 0xffff, v30
	v_lshrrev_b32_e32 v30, 16, v26
	v_and_b32_e32 v26, 0xffff, v26
	;;#ASMSTART
	v_cvt_f32_f16 v34, v34;
	;;#ASMEND
	;;#ASMSTART
	v_cvt_f32_f16 v29, v29;
	;;#ASMEND
	;; [unrolled: 3-line block ×5, first 2 shown]
	v_fmac_f32_e32 v58, v29, v26
	v_fmac_f32_e32 v78, v25, v30
	v_lshrrev_b32_e32 v25, 16, v31
	v_and_b32_e32 v26, 0xffff, v31
	v_lshrrev_b32_e32 v29, 16, v27
	v_and_b32_e32 v27, 0xffff, v27
	;;#ASMSTART
	v_cvt_f32_f16 v26, v26;
	;;#ASMEND
	;;#ASMSTART
	v_cvt_f32_f16 v25, v25;
	;;#ASMEND
	;; [unrolled: 3-line block ×3, first 2 shown]
	v_fmac_f32_e32 v77, v33, v34
	;;#ASMSTART
	v_cvt_f32_f16 v29, v29;
	;;#ASMEND
	v_dual_fmac_f32 v59, v26, v27 :: v_dual_and_b32 v26, 0xffff, v32
	v_fmac_f32_e32 v79, v25, v29
	v_lshrrev_b32_e32 v25, 16, v32
	v_lshrrev_b32_e32 v27, 16, v28
	v_and_b32_e32 v28, 0xffff, v28
	;;#ASMSTART
	v_cvt_f32_f16 v26, v26;
	;;#ASMEND
	;;#ASMSTART
	v_cvt_f32_f16 v25, v25;
	;;#ASMEND
	;;#ASMSTART
	v_cvt_f32_f16 v28, v28;
	;;#ASMEND
	;;#ASMSTART
	v_cvt_f32_f16 v27, v27;
	;;#ASMEND
	v_fmac_f32_e32 v60, v26, v28
	v_fmac_f32_e32 v80, v25, v27
	ds_load_b128 v[25:28], v70 offset:160
	s_waitcnt vmcnt(5)
	v_lshrrev_b32_e32 v30, 16, v21
	v_and_b32_e32 v21, 0xffff, v21
	s_waitcnt lgkmcnt(0)
	v_lshrrev_b32_e32 v29, 16, v25
	v_and_b32_e32 v25, 0xffff, v25
	;;#ASMSTART
	v_cvt_f32_f16 v25, v25;
	;;#ASMEND
	;;#ASMSTART
	v_cvt_f32_f16 v29, v29;
	;;#ASMEND
	;; [unrolled: 3-line block ×3, first 2 shown]
	s_delay_alu instid0(VALU_DEP_1)
	v_fmac_f32_e32 v57, v25, v21
	v_lshrrev_b32_e32 v21, 16, v26
	v_and_b32_e32 v25, 0xffff, v26
	v_lshrrev_b32_e32 v26, 16, v22
	v_and_b32_e32 v22, 0xffff, v22
	;;#ASMSTART
	v_cvt_f32_f16 v30, v30;
	;;#ASMEND
	;;#ASMSTART
	v_cvt_f32_f16 v25, v25;
	;;#ASMEND
	;; [unrolled: 3-line block ×5, first 2 shown]
	v_fmac_f32_e32 v58, v25, v22
	v_fmac_f32_e32 v78, v21, v26
	v_lshrrev_b32_e32 v21, 16, v27
	v_and_b32_e32 v22, 0xffff, v27
	v_lshrrev_b32_e32 v25, 16, v23
	v_and_b32_e32 v23, 0xffff, v23
	;;#ASMSTART
	v_cvt_f32_f16 v22, v22;
	;;#ASMEND
	;;#ASMSTART
	v_cvt_f32_f16 v21, v21;
	;;#ASMEND
	;; [unrolled: 3-line block ×3, first 2 shown]
	v_fmac_f32_e32 v77, v29, v30
	;;#ASMSTART
	v_cvt_f32_f16 v25, v25;
	;;#ASMEND
	v_dual_fmac_f32 v59, v22, v23 :: v_dual_and_b32 v22, 0xffff, v28
	v_fmac_f32_e32 v79, v21, v25
	v_lshrrev_b32_e32 v21, 16, v28
	v_lshrrev_b32_e32 v23, 16, v24
	v_and_b32_e32 v24, 0xffff, v24
	;;#ASMSTART
	v_cvt_f32_f16 v22, v22;
	;;#ASMEND
	;;#ASMSTART
	v_cvt_f32_f16 v21, v21;
	;;#ASMEND
	;; [unrolled: 3-line block ×4, first 2 shown]
	v_fmac_f32_e32 v60, v22, v24
	v_fmac_f32_e32 v80, v21, v23
	ds_load_b128 v[21:24], v70 offset:176
	s_waitcnt vmcnt(4)
	v_lshrrev_b32_e32 v26, 16, v17
	v_and_b32_e32 v17, 0xffff, v17
	s_waitcnt lgkmcnt(0)
	v_lshrrev_b32_e32 v25, 16, v21
	v_and_b32_e32 v21, 0xffff, v21
	;;#ASMSTART
	v_cvt_f32_f16 v21, v21;
	;;#ASMEND
	;;#ASMSTART
	v_cvt_f32_f16 v25, v25;
	;;#ASMEND
	;;#ASMSTART
	v_cvt_f32_f16 v17, v17;
	;;#ASMEND
	s_delay_alu instid0(VALU_DEP_1)
	v_fmac_f32_e32 v57, v21, v17
	v_lshrrev_b32_e32 v17, 16, v22
	v_and_b32_e32 v21, 0xffff, v22
	v_lshrrev_b32_e32 v22, 16, v18
	v_and_b32_e32 v18, 0xffff, v18
	;;#ASMSTART
	v_cvt_f32_f16 v26, v26;
	;;#ASMEND
	;;#ASMSTART
	v_cvt_f32_f16 v21, v21;
	;;#ASMEND
	;; [unrolled: 3-line block ×5, first 2 shown]
	v_fmac_f32_e32 v58, v21, v18
	v_fmac_f32_e32 v78, v17, v22
	v_lshrrev_b32_e32 v17, 16, v23
	v_and_b32_e32 v18, 0xffff, v23
	v_lshrrev_b32_e32 v21, 16, v19
	v_and_b32_e32 v19, 0xffff, v19
	;;#ASMSTART
	v_cvt_f32_f16 v18, v18;
	;;#ASMEND
	;;#ASMSTART
	v_cvt_f32_f16 v17, v17;
	;;#ASMEND
	;; [unrolled: 3-line block ×3, first 2 shown]
	v_fmac_f32_e32 v77, v25, v26
	;;#ASMSTART
	v_cvt_f32_f16 v21, v21;
	;;#ASMEND
	v_dual_fmac_f32 v59, v18, v19 :: v_dual_and_b32 v18, 0xffff, v24
	v_fmac_f32_e32 v79, v17, v21
	v_lshrrev_b32_e32 v17, 16, v24
	v_lshrrev_b32_e32 v19, 16, v20
	v_and_b32_e32 v20, 0xffff, v20
	;;#ASMSTART
	v_cvt_f32_f16 v18, v18;
	;;#ASMEND
	;;#ASMSTART
	v_cvt_f32_f16 v17, v17;
	;;#ASMEND
	;; [unrolled: 3-line block ×4, first 2 shown]
	v_fmac_f32_e32 v60, v18, v20
	v_fmac_f32_e32 v80, v17, v19
	ds_load_b128 v[17:20], v70 offset:192
	s_waitcnt vmcnt(3)
	v_lshrrev_b32_e32 v22, 16, v13
	v_and_b32_e32 v13, 0xffff, v13
	s_waitcnt lgkmcnt(0)
	v_lshrrev_b32_e32 v21, 16, v17
	v_and_b32_e32 v17, 0xffff, v17
	;;#ASMSTART
	v_cvt_f32_f16 v17, v17;
	;;#ASMEND
	;;#ASMSTART
	v_cvt_f32_f16 v21, v21;
	;;#ASMEND
	;; [unrolled: 3-line block ×3, first 2 shown]
	s_delay_alu instid0(VALU_DEP_1)
	v_fmac_f32_e32 v57, v17, v13
	v_lshrrev_b32_e32 v13, 16, v18
	v_and_b32_e32 v17, 0xffff, v18
	v_lshrrev_b32_e32 v18, 16, v14
	v_and_b32_e32 v14, 0xffff, v14
	;;#ASMSTART
	v_cvt_f32_f16 v22, v22;
	;;#ASMEND
	;;#ASMSTART
	v_cvt_f32_f16 v17, v17;
	;;#ASMEND
	;; [unrolled: 3-line block ×5, first 2 shown]
	v_fmac_f32_e32 v58, v17, v14
	v_fmac_f32_e32 v78, v13, v18
	v_lshrrev_b32_e32 v13, 16, v19
	v_and_b32_e32 v14, 0xffff, v19
	v_lshrrev_b32_e32 v17, 16, v15
	v_and_b32_e32 v15, 0xffff, v15
	;;#ASMSTART
	v_cvt_f32_f16 v14, v14;
	;;#ASMEND
	;;#ASMSTART
	v_cvt_f32_f16 v13, v13;
	;;#ASMEND
	;; [unrolled: 3-line block ×3, first 2 shown]
	v_fmac_f32_e32 v77, v21, v22
	;;#ASMSTART
	v_cvt_f32_f16 v17, v17;
	;;#ASMEND
	v_dual_fmac_f32 v59, v14, v15 :: v_dual_and_b32 v14, 0xffff, v20
	v_fmac_f32_e32 v79, v13, v17
	v_lshrrev_b32_e32 v13, 16, v20
	v_lshrrev_b32_e32 v15, 16, v16
	v_and_b32_e32 v16, 0xffff, v16
	;;#ASMSTART
	v_cvt_f32_f16 v14, v14;
	;;#ASMEND
	;;#ASMSTART
	v_cvt_f32_f16 v13, v13;
	;;#ASMEND
	;; [unrolled: 3-line block ×4, first 2 shown]
	v_fmac_f32_e32 v60, v14, v16
	v_fmac_f32_e32 v80, v13, v15
	ds_load_b128 v[13:16], v70 offset:208
	s_waitcnt vmcnt(2)
	v_lshrrev_b32_e32 v18, 16, v9
	v_and_b32_e32 v9, 0xffff, v9
	s_waitcnt lgkmcnt(0)
	v_lshrrev_b32_e32 v17, 16, v13
	v_and_b32_e32 v13, 0xffff, v13
	;;#ASMSTART
	v_cvt_f32_f16 v13, v13;
	;;#ASMEND
	;;#ASMSTART
	v_cvt_f32_f16 v17, v17;
	;;#ASMEND
	;; [unrolled: 3-line block ×3, first 2 shown]
	s_delay_alu instid0(VALU_DEP_1)
	v_fmac_f32_e32 v57, v13, v9
	v_lshrrev_b32_e32 v9, 16, v14
	v_and_b32_e32 v13, 0xffff, v14
	v_lshrrev_b32_e32 v14, 16, v10
	v_and_b32_e32 v10, 0xffff, v10
	;;#ASMSTART
	v_cvt_f32_f16 v18, v18;
	;;#ASMEND
	;;#ASMSTART
	v_cvt_f32_f16 v13, v13;
	;;#ASMEND
	;;#ASMSTART
	v_cvt_f32_f16 v9, v9;
	;;#ASMEND
	;;#ASMSTART
	v_cvt_f32_f16 v10, v10;
	;;#ASMEND
	;;#ASMSTART
	v_cvt_f32_f16 v14, v14;
	;;#ASMEND
	v_fmac_f32_e32 v58, v13, v10
	v_fmac_f32_e32 v78, v9, v14
	v_lshrrev_b32_e32 v9, 16, v15
	v_and_b32_e32 v10, 0xffff, v15
	v_lshrrev_b32_e32 v13, 16, v11
	v_and_b32_e32 v11, 0xffff, v11
	;;#ASMSTART
	v_cvt_f32_f16 v10, v10;
	;;#ASMEND
	;;#ASMSTART
	v_cvt_f32_f16 v9, v9;
	;;#ASMEND
	;; [unrolled: 3-line block ×3, first 2 shown]
	v_fmac_f32_e32 v77, v17, v18
	;;#ASMSTART
	v_cvt_f32_f16 v13, v13;
	;;#ASMEND
	v_dual_fmac_f32 v59, v10, v11 :: v_dual_and_b32 v10, 0xffff, v16
	v_fmac_f32_e32 v79, v9, v13
	v_lshrrev_b32_e32 v9, 16, v16
	v_lshrrev_b32_e32 v11, 16, v12
	v_and_b32_e32 v12, 0xffff, v12
	;;#ASMSTART
	v_cvt_f32_f16 v10, v10;
	;;#ASMEND
	;;#ASMSTART
	v_cvt_f32_f16 v9, v9;
	;;#ASMEND
	;; [unrolled: 3-line block ×4, first 2 shown]
	v_fmac_f32_e32 v60, v10, v12
	v_fmac_f32_e32 v80, v9, v11
	ds_load_b128 v[9:12], v70 offset:224
	s_waitcnt vmcnt(1)
	v_lshrrev_b32_e32 v14, 16, v5
	v_and_b32_e32 v5, 0xffff, v5
	s_waitcnt lgkmcnt(0)
	v_lshrrev_b32_e32 v13, 16, v9
	v_and_b32_e32 v9, 0xffff, v9
	;;#ASMSTART
	v_cvt_f32_f16 v9, v9;
	;;#ASMEND
	;;#ASMSTART
	v_cvt_f32_f16 v13, v13;
	;;#ASMEND
	;; [unrolled: 3-line block ×3, first 2 shown]
	s_delay_alu instid0(VALU_DEP_1)
	v_fmac_f32_e32 v57, v9, v5
	v_lshrrev_b32_e32 v5, 16, v10
	v_and_b32_e32 v9, 0xffff, v10
	v_lshrrev_b32_e32 v10, 16, v6
	v_and_b32_e32 v6, 0xffff, v6
	;;#ASMSTART
	v_cvt_f32_f16 v14, v14;
	;;#ASMEND
	;;#ASMSTART
	v_cvt_f32_f16 v9, v9;
	;;#ASMEND
	;; [unrolled: 3-line block ×5, first 2 shown]
	v_fmac_f32_e32 v58, v9, v6
	v_fmac_f32_e32 v78, v5, v10
	v_lshrrev_b32_e32 v5, 16, v11
	v_and_b32_e32 v6, 0xffff, v11
	v_lshrrev_b32_e32 v9, 16, v7
	v_and_b32_e32 v7, 0xffff, v7
	;;#ASMSTART
	v_cvt_f32_f16 v6, v6;
	;;#ASMEND
	;;#ASMSTART
	v_cvt_f32_f16 v5, v5;
	;;#ASMEND
	;; [unrolled: 3-line block ×3, first 2 shown]
	v_fmac_f32_e32 v77, v13, v14
	;;#ASMSTART
	v_cvt_f32_f16 v9, v9;
	;;#ASMEND
	v_dual_fmac_f32 v59, v6, v7 :: v_dual_and_b32 v6, 0xffff, v12
	v_fmac_f32_e32 v79, v5, v9
	v_lshrrev_b32_e32 v5, 16, v12
	v_lshrrev_b32_e32 v7, 16, v8
	v_and_b32_e32 v8, 0xffff, v8
	;;#ASMSTART
	v_cvt_f32_f16 v6, v6;
	;;#ASMEND
	;;#ASMSTART
	v_cvt_f32_f16 v5, v5;
	;;#ASMEND
	;; [unrolled: 3-line block ×4, first 2 shown]
	v_fmac_f32_e32 v60, v6, v8
	v_fmac_f32_e32 v80, v5, v7
	ds_load_b128 v[5:8], v70 offset:240
	s_waitcnt vmcnt(0)
	v_lshrrev_b32_e32 v10, 16, v1
	v_and_b32_e32 v1, 0xffff, v1
	s_waitcnt lgkmcnt(0)
	v_lshrrev_b32_e32 v9, 16, v5
	v_and_b32_e32 v5, 0xffff, v5
	;;#ASMSTART
	v_cvt_f32_f16 v5, v5;
	;;#ASMEND
	;;#ASMSTART
	v_cvt_f32_f16 v9, v9;
	;;#ASMEND
	;; [unrolled: 3-line block ×3, first 2 shown]
	s_delay_alu instid0(VALU_DEP_1)
	v_fmac_f32_e32 v57, v5, v1
	v_lshrrev_b32_e32 v1, 16, v6
	v_and_b32_e32 v5, 0xffff, v6
	v_lshrrev_b32_e32 v6, 16, v2
	v_and_b32_e32 v2, 0xffff, v2
	;;#ASMSTART
	v_cvt_f32_f16 v10, v10;
	;;#ASMEND
	v_fmac_f32_e32 v77, v9, v10
	;;#ASMSTART
	v_cvt_f32_f16 v5, v5;
	;;#ASMEND
	;;#ASMSTART
	v_cvt_f32_f16 v1, v1;
	;;#ASMEND
	;; [unrolled: 3-line block ×4, first 2 shown]
	v_fmac_f32_e32 v58, v5, v2
	v_fmac_f32_e32 v78, v1, v6
	v_lshrrev_b32_e32 v1, 16, v7
	v_and_b32_e32 v2, 0xffff, v7
	;;#ASMSTART
	v_cvt_f32_f16 v2, v2;
	;;#ASMEND
	;;#ASMSTART
	v_cvt_f32_f16 v1, v1;
	;;#ASMEND
	v_lshrrev_b32_e32 v5, 16, v3
	v_and_b32_e32 v3, 0xffff, v3
	;;#ASMSTART
	v_cvt_f32_f16 v3, v3;
	;;#ASMEND
	;;#ASMSTART
	v_cvt_f32_f16 v5, v5;
	;;#ASMEND
	s_delay_alu instid0(VALU_DEP_1)
	v_dual_fmac_f32 v59, v2, v3 :: v_dual_and_b32 v2, 0xffff, v8
	v_fmac_f32_e32 v79, v1, v5
	v_lshrrev_b32_e32 v1, 16, v8
	;;#ASMSTART
	v_cvt_f32_f16 v2, v2;
	;;#ASMEND
	;;#ASMSTART
	v_cvt_f32_f16 v1, v1;
	;;#ASMEND
	v_lshrrev_b32_e32 v3, 16, v4
	v_and_b32_e32 v4, 0xffff, v4
	;;#ASMSTART
	v_cvt_f32_f16 v4, v4;
	;;#ASMEND
	;;#ASMSTART
	v_cvt_f32_f16 v3, v3;
	;;#ASMEND
	s_delay_alu instid0(VALU_DEP_2) | instskip(NEXT) | instid1(VALU_DEP_2)
	v_fmac_f32_e32 v80, v1, v3
	v_dual_add_f32 v1, v57, v77 :: v_dual_fmac_f32 v60, v2, v4
	s_delay_alu instid0(VALU_DEP_1) | instskip(NEXT) | instid1(VALU_DEP_1)
	v_add_f32_e32 v1, v1, v58
	v_add_f32_e32 v1, v78, v1
	s_delay_alu instid0(VALU_DEP_1) | instskip(NEXT) | instid1(VALU_DEP_1)
	v_add_f32_e32 v1, v1, v59
	v_add_f32_e32 v1, v79, v1
	;; [unrolled: 3-line block ×3, first 2 shown]
	s_delay_alu instid0(VALU_DEP_1) | instskip(NEXT) | instid1(VALU_DEP_1)
	v_fmac_f32_e32 v76, s3, v1
	v_cndmask_b32_e64 v1, 0, v76, s0
	ds_store_b32 v72, v1
	v_dual_max_f32 v1, v69, v69 :: v_dual_add_nc_u32 v72, 0x200, v72
	s_delay_alu instid0(VALU_DEP_1) | instskip(NEXT) | instid1(VALU_DEP_1)
	v_max_f32_e32 v1, v1, v76
	v_cndmask_b32_e64 v69, v69, v1, s0
	v_add_co_u32 v63, s0, v63, 16
	s_delay_alu instid0(VALU_DEP_1) | instskip(SKIP_1) | instid1(VALU_DEP_1)
	v_add_co_ci_u32_e64 v64, s0, 0, v64, s0
	v_cmp_le_i32_e64 s0, s17, v75
	s_or_b32 s7, s0, s7
	s_delay_alu instid0(SALU_CYCLE_1)
	s_and_not1_b32 exec_lo, exec_lo, s7
	s_cbranch_execnz .LBB127_7
; %bb.8:
	s_or_b32 exec_lo, exec_lo, s7
.LBB127_9:
	s_delay_alu instid0(SALU_CYCLE_1) | instskip(SKIP_2) | instid1(VALU_DEP_2)
	s_or_b32 exec_lo, exec_lo, s31
	v_mbcnt_lo_u32_b32 v1, -1, 0
	v_max_f32_e32 v5, v69, v69
	v_xor_b32_e32 v2, 16, v1
	v_xor_b32_e32 v4, 8, v1
	s_delay_alu instid0(VALU_DEP_2) | instskip(SKIP_1) | instid1(VALU_DEP_3)
	v_cmp_gt_i32_e32 vcc_lo, 32, v2
	v_cndmask_b32_e32 v2, v1, v2, vcc_lo
	v_cmp_gt_i32_e32 vcc_lo, 32, v4
	s_delay_alu instid0(VALU_DEP_2) | instskip(SKIP_4) | instid1(VALU_DEP_1)
	v_lshlrev_b32_e32 v2, 2, v2
	v_cndmask_b32_e32 v4, v1, v4, vcc_lo
	ds_bpermute_b32 v3, v2, v69
	s_waitcnt lgkmcnt(0)
	v_dual_max_f32 v6, v3, v3 :: v_dual_lshlrev_b32 v3, 2, v4
	v_max_f32_e32 v4, v5, v6
	v_xor_b32_e32 v6, 4, v1
	ds_bpermute_b32 v5, v3, v4
	v_cmp_gt_i32_e32 vcc_lo, 32, v6
	v_cndmask_b32_e32 v6, v1, v6, vcc_lo
	s_waitcnt lgkmcnt(0)
	v_max_f32_e32 v7, v5, v5
	s_delay_alu instid0(VALU_DEP_1)
	v_dual_max_f32 v4, v4, v7 :: v_dual_lshlrev_b32 v5, 2, v6
	v_xor_b32_e32 v7, 2, v1
	ds_bpermute_b32 v6, v5, v4
	v_cmp_gt_i32_e32 vcc_lo, 32, v7
	s_waitcnt lgkmcnt(0)
	v_dual_cndmask_b32 v7, v1, v7 :: v_dual_max_f32 v6, v6, v6
	s_delay_alu instid0(VALU_DEP_1) | instskip(NEXT) | instid1(VALU_DEP_2)
	v_max_f32_e32 v4, v4, v6
	v_lshlrev_b32_e32 v10, 2, v7
	v_xor_b32_e32 v7, 1, v1
	s_delay_alu instid0(VALU_DEP_1)
	v_cmp_gt_i32_e32 vcc_lo, 32, v7
	v_cndmask_b32_e32 v7, v1, v7, vcc_lo
	ds_bpermute_b32 v6, v10, v4
	v_cmp_eq_u32_e32 vcc_lo, 0, v66
	s_waitcnt lgkmcnt(0)
	v_dual_max_f32 v6, v6, v6 :: v_dual_lshlrev_b32 v9, 2, v7
	s_delay_alu instid0(VALU_DEP_1)
	v_dual_max_f32 v1, v4, v6 :: v_dual_lshlrev_b32 v6, 2, v65
	ds_bpermute_b32 v4, v9, v1
	s_and_saveexec_b32 s0, vcc_lo
	s_cbranch_execz .LBB127_11
; %bb.10:
	s_waitcnt lgkmcnt(0)
	v_dual_max_f32 v4, v4, v4 :: v_dual_max_f32 v1, v1, v1
	s_delay_alu instid0(VALU_DEP_1)
	v_max_f32_e32 v1, v1, v4
	ds_store_b32 v6, v1 offset:256
.LBB127_11:
	s_or_b32 exec_lo, exec_lo, s0
	v_cmp_gt_u32_e64 s0, 4, v66
	v_mov_b32_e32 v1, 0xff7fffff
	s_waitcnt lgkmcnt(0)
	s_barrier
	buffer_gl0_inv
	s_and_saveexec_b32 s1, s0
	s_cbranch_execz .LBB127_13
; %bb.12:
	ds_load_b32 v1, v68 offset:256
.LBB127_13:
	s_or_b32 exec_lo, exec_lo, s1
	s_waitcnt lgkmcnt(0)
	ds_bpermute_b32 v4, v10, v1
	v_max_f32_e32 v1, v1, v1
	s_sub_i32 s1, s17, s15
	v_mov_b32_e32 v7, 0
	s_lshl_b32 s1, s1, 5
	s_delay_alu instid0(SALU_CYCLE_1) | instskip(NEXT) | instid1(SALU_CYCLE_1)
	s_add_i32 s1, s1, s29
	s_min_i32 s1, s1, s28
	s_delay_alu instid0(SALU_CYCLE_1) | instskip(NEXT) | instid1(SALU_CYCLE_1)
	s_sub_i32 s7, s1, s29
	v_cmp_gt_i32_e64 s1, s7, v0
	s_waitcnt lgkmcnt(0)
	v_max_f32_e32 v4, v4, v4
	s_delay_alu instid0(VALU_DEP_1) | instskip(SKIP_3) | instid1(VALU_DEP_1)
	v_max_f32_e32 v1, v1, v4
	ds_bpermute_b32 v4, v9, v1
	s_waitcnt lgkmcnt(0)
	v_max_f32_e32 v4, v4, v4
	v_max_f32_e32 v1, v1, v4
	v_lshl_add_u32 v4, v0, 2, 0x120
	ds_bpermute_b32 v1, v7, v1
	s_and_saveexec_b32 s15, s1
	s_cbranch_execz .LBB127_17
; %bb.14:
	v_lshl_add_u32 v8, v0, 2, 0x120
	v_mov_b32_e32 v7, 0
	v_mov_b32_e32 v11, v0
	s_mov_b32 s30, 0
	.p2align	6
.LBB127_15:                             ; =>This Inner Loop Header: Depth=1
	ds_load_b32 v12, v8
	v_add_nc_u32_e32 v11, 0x80, v11
	s_delay_alu instid0(VALU_DEP_1) | instskip(NEXT) | instid1(VALU_DEP_1)
	v_cmp_le_i32_e64 s3, s7, v11
	s_or_b32 s30, s3, s30
	s_waitcnt lgkmcnt(0)
	v_sub_f32_e32 v12, v12, v1
	s_delay_alu instid0(VALU_DEP_1) | instskip(NEXT) | instid1(VALU_DEP_1)
	v_mul_f32_e32 v12, 0x3fb8aa3b, v12
	v_exp_f32_e32 v12, v12
	ds_store_b32 v8, v12
	v_add_f32_e32 v7, v7, v12
	v_add_nc_u32_e32 v8, 0x200, v8
	s_and_not1_b32 exec_lo, exec_lo, s30
	s_cbranch_execnz .LBB127_15
; %bb.16:
	s_or_b32 exec_lo, exec_lo, s30
.LBB127_17:
	s_delay_alu instid0(SALU_CYCLE_1)
	s_or_b32 exec_lo, exec_lo, s15
	ds_bpermute_b32 v2, v2, v7
	s_waitcnt lgkmcnt(0)
	v_add_f32_e32 v2, v7, v2
	ds_bpermute_b32 v3, v3, v2
	s_waitcnt lgkmcnt(0)
	v_add_f32_e32 v2, v2, v3
	;; [unrolled: 3-line block ×5, first 2 shown]
	s_and_saveexec_b32 s3, vcc_lo
	s_cbranch_execz .LBB127_19
; %bb.18:
	ds_store_b32 v6, v2 offset:272
.LBB127_19:
	s_or_b32 exec_lo, exec_lo, s3
	s_waitcnt lgkmcnt(0)
	s_barrier
	buffer_gl0_inv
	s_and_saveexec_b32 s3, s0
	s_cbranch_execz .LBB127_21
; %bb.20:
	ds_load_b32 v2, v68 offset:272
.LBB127_21:
	s_or_b32 exec_lo, exec_lo, s3
	s_waitcnt lgkmcnt(0)
	ds_bpermute_b32 v3, v10, v2
	s_waitcnt lgkmcnt(0)
	v_add_f32_e32 v2, v2, v3
	ds_bpermute_b32 v3, v9, v2
	s_waitcnt lgkmcnt(0)
	v_dual_add_f32 v2, v2, v3 :: v_dual_mov_b32 v3, 0
	ds_bpermute_b32 v2, v3, v2
	s_and_saveexec_b32 s0, s1
	s_cbranch_execz .LBB127_24
; %bb.22:
	s_waitcnt lgkmcnt(0)
	v_add_f32_e32 v3, 0x358637bd, v2
	s_mov_b32 s1, 0
	s_delay_alu instid0(VALU_DEP_1) | instskip(SKIP_1) | instid1(VALU_DEP_2)
	v_div_scale_f32 v5, null, v3, v3, 1.0
	v_div_scale_f32 v8, vcc_lo, 1.0, v3, 1.0
	v_rcp_f32_e32 v6, v5
	s_waitcnt_depctr 0xfff
	v_fma_f32 v7, -v5, v6, 1.0
	s_delay_alu instid0(VALU_DEP_1) | instskip(NEXT) | instid1(VALU_DEP_1)
	v_fmac_f32_e32 v6, v7, v6
	v_mul_f32_e32 v7, v8, v6
	s_delay_alu instid0(VALU_DEP_1) | instskip(NEXT) | instid1(VALU_DEP_1)
	v_fma_f32 v11, -v5, v7, v8
	v_fmac_f32_e32 v7, v11, v6
	s_delay_alu instid0(VALU_DEP_1) | instskip(NEXT) | instid1(VALU_DEP_1)
	v_fma_f32 v5, -v5, v7, v8
	v_div_fmas_f32 v5, v5, v6, v7
	s_delay_alu instid0(VALU_DEP_1)
	v_div_fixup_f32 v3, v5, v3, 1.0
	v_mov_b32_e32 v5, v0
.LBB127_23:                             ; =>This Inner Loop Header: Depth=1
	ds_load_b32 v6, v4
	s_waitcnt lgkmcnt(0)
	v_dual_mul_f32 v6, v3, v6 :: v_dual_add_nc_u32 v5, 0x80, v5
	s_delay_alu instid0(VALU_DEP_1) | instskip(SKIP_3) | instid1(SALU_CYCLE_1)
	v_cmp_le_i32_e32 vcc_lo, s7, v5
	ds_store_b32 v4, v6
	v_add_nc_u32_e32 v4, 0x200, v4
	s_or_b32 s1, vcc_lo, s1
	s_and_not1_b32 exec_lo, exec_lo, s1
	s_cbranch_execnz .LBB127_23
.LBB127_24:
	s_or_b32 exec_lo, exec_lo, s0
	s_mul_i32 s0, s4, s14
	s_waitcnt lgkmcnt(0)
	s_mul_i32 s14, s0, s13
	s_mov_b32 s0, exec_lo
	s_barrier
	buffer_gl0_inv
	v_cmpx_eq_u32_e32 0, v0
	s_cbranch_execz .LBB127_26
; %bb.25:
	s_ashr_i32 s15, s14, 31
	s_mul_i32 s34, s4, s22
	s_lshl_b64 s[30:31], s[14:15], 2
	v_mov_b32_e32 v3, 0
	s_add_u32 s1, s10, s30
	s_addc_u32 s3, s11, s31
	s_ashr_i32 s35, s34, 31
	s_delay_alu instid0(SALU_CYCLE_1) | instskip(NEXT) | instid1(SALU_CYCLE_1)
	s_lshl_b64 s[10:11], s[34:35], 2
	s_add_u32 s1, s1, s10
	s_addc_u32 s3, s3, s11
	s_ashr_i32 s13, s12, 31
	s_delay_alu instid0(SALU_CYCLE_1) | instskip(NEXT) | instid1(SALU_CYCLE_1)
	s_lshl_b64 s[34:35], s[12:13], 2
	s_add_u32 s36, s1, s34
	s_addc_u32 s37, s3, s35
	s_add_u32 s1, s8, s30
	s_addc_u32 s3, s9, s31
	;; [unrolled: 2-line block ×4, first 2 shown]
	s_clause 0x1
	global_store_b32 v3, v1, s[36:37]
	global_store_b32 v3, v2, s[8:9]
.LBB127_26:
	s_or_b32 exec_lo, exec_lo, s0
	v_dual_mov_b32 v25, 0 :: v_dual_mov_b32 v26, 0
	v_dual_mov_b32 v24, 0 :: v_dual_and_b32 v11, 3, v0
	v_dual_mov_b32 v27, 0 :: v_dual_mov_b32 v22, 0
	v_dual_mov_b32 v23, 0 :: v_dual_mov_b32 v20, 0
	;; [unrolled: 1-line block ×6, first 2 shown]
	v_mov_b32_e32 v13, 0
	s_and_saveexec_b32 s1, s2
	s_cbranch_execz .LBB127_62
; %bb.27:
	v_dual_mov_b32 v12, 0 :: v_dual_lshlrev_b32 v1, 3, v0
	v_lshlrev_b32_e32 v2, 5, v11
	s_ashr_i32 s7, s6, 31
	s_mov_b32 s2, s5
	s_delay_alu instid0(VALU_DEP_2)
	v_and_b32_e32 v3, 0xf8, v1
	v_and_b32_e32 v1, 24, v1
	s_lshl_b64 s[6:7], s[6:7], 1
	v_mov_b32_e32 v27, 0
	s_add_u32 s3, s24, s6
	v_or_b32_e32 v14, 0xc00, v3
	s_addc_u32 s5, s25, s7
	s_lshl_b64 s[24:25], s[26:27], 2
	s_add_i32 s23, s23, -1
	s_add_u32 s0, s20, s24
	v_dual_mov_b32 v24, 0 :: v_dual_lshlrev_b32 v35, 1, v14
	v_mov_b32_e32 v14, 0
	v_or_b32_e32 v13, 0xb00, v3
	v_or_b32_e32 v16, 0xe00, v3
	;; [unrolled: 1-line block ×5, first 2 shown]
	v_dual_mov_b32 v19, 0 :: v_dual_lshlrev_b32 v34, 1, v13
	v_dual_mov_b32 v26, 0 :: v_dual_lshlrev_b32 v37, 1, v16
	v_mov_b32_e32 v13, 0
	v_lshl_or_b32 v5, v65, 7, v2
	v_mov_b32_e32 v16, 0
	v_add3_u32 v28, s29, v67, v1
	v_lshlrev_b64 v[1:2], 2, v[61:62]
	v_or_b32_e32 v15, 0xd00, v3
	v_or_b32_e32 v17, 0xf00, v3
	v_dual_mov_b32 v18, 0 :: v_dual_add_nc_u32 v29, 0x120, v5
	s_addc_u32 s11, s21, s25
	s_delay_alu instid0(VALU_DEP_4)
	v_add_co_u32 v5, vcc_lo, s0, v1
	v_add_co_ci_u32_e32 v6, vcc_lo, s11, v2, vcc_lo
	v_lshlrev_b32_e32 v30, 1, v3
	v_dual_mov_b32 v20, 0 :: v_dual_lshlrev_b32 v31, 1, v4
	v_lshlrev_b32_e32 v32, 1, v7
	v_dual_mov_b32 v22, 0 :: v_dual_lshlrev_b32 v33, 1, v8
	v_dual_mov_b32 v21, 0 :: v_dual_lshlrev_b32 v36, 1, v15
	;; [unrolled: 1-line block ×3, first 2 shown]
	v_mov_b32_e32 v15, 0
	v_mov_b32_e32 v17, 0
	;; [unrolled: 1-line block ×3, first 2 shown]
	s_mov_b32 s6, s28
	s_mov_b32 s7, s28
	;; [unrolled: 1-line block ×8, first 2 shown]
	s_branch .LBB127_29
.LBB127_28:                             ;   in Loop: Header=BB127_29 Depth=1
	s_or_b32 exec_lo, exec_lo, s0
	v_dual_add_f32 v39, v52, v53 :: v_dual_add_f32 v40, v79, v80
	v_add_f32_e32 v48, v75, v76
	s_waitcnt vmcnt(0)
	;;#ASMSTART
	v_pk_mul_f16 v1, v46, v1;

	;;#ASMEND
	;;#ASMSTART
	v_pk_mul_f16 v2, v44, v2;

	;;#ASMEND
	v_dual_add_f32 v13, v13, v39 :: v_dual_add_f32 v14, v14, v40
	v_dual_add_f32 v39, v73, v74 :: v_dual_add_f32 v40, v71, v72
	v_add_f32_e32 v49, v69, v70
	v_add_f32_e32 v42, v77, v78
	;;#ASMSTART
	v_pk_mul_f16 v3, v43, v3;

	;;#ASMEND
	;;#ASMSTART
	v_pk_mul_f16 v4, v41, v4;

	;;#ASMEND
	;;#ASMSTART
	v_pk_add_f16 v1, v1, v2;

	;;#ASMEND
	v_add_f32_e32 v19, v19, v49
	;;#ASMSTART
	v_pk_add_f16 v1, v1, v3;

	;;#ASMEND
	;;#ASMSTART
	v_pk_add_f16 v1, v1, v4;

	;;#ASMEND
	v_dual_add_f32 v4, v54, v55 :: v_dual_add_nc_u32 v61, 4, v61
	v_dual_add_f32 v15, v15, v42 :: v_dual_add_f32 v16, v16, v48
	v_dual_add_f32 v17, v17, v39 :: v_dual_add_f32 v18, v18, v40
	;; [unrolled: 1-line block ×4, first 2 shown]
	v_dual_add_f32 v27, v27, v4 :: v_dual_and_b32 v2, 0xffff, v1
	v_lshrrev_b32_e32 v1, 16, v1
	;;#ASMSTART
	v_cvt_f32_f16 v2, v2;
	;;#ASMEND
	;;#ASMSTART
	v_cvt_f32_f16 v1, v1;
	;;#ASMEND
	v_dual_add_f32 v8, v67, v68 :: v_dual_add_f32 v3, v56, v57
	v_add_f32_e32 v20, v20, v7
	v_dual_add_f32 v24, v24, v42 :: v_dual_add_f32 v7, v45, v47
	v_dual_add_f32 v1, v2, v1 :: v_dual_add_nc_u32 v28, 0x80, v28
	v_cmp_le_i32_e32 vcc_lo, s17, v61
	v_add_co_u32 v5, s0, v5, 16
	v_dual_add_f32 v21, v21, v8 :: v_dual_add_f32 v22, v22, v39
	v_dual_add_f32 v23, v23, v40 :: v_dual_add_f32 v26, v26, v3
	v_add_nc_u32_e32 v29, 0x200, v29
	v_dual_add_f32 v25, v25, v7 :: v_dual_add_f32 v12, v12, v1
	v_add_co_ci_u32_e64 v6, s0, 0, v6, s0
	s_or_b32 s13, vcc_lo, s13
	s_delay_alu instid0(SALU_CYCLE_1)
	s_and_not1_b32 exec_lo, exec_lo, s13
	s_cbranch_execz .LBB127_61
.LBB127_29:                             ; =>This Inner Loop Header: Depth=1
	global_load_b32 v39, v[5:6], off
	ds_load_2addr_b64 v[1:4], v29 offset1:1
	ds_load_2addr_b64 v[46:49], v29 offset0:2 offset1:3
	s_waitcnt lgkmcnt(1)
	;;#ASMSTART
	v_cvt_f16_f32 v44, v1;

	;;#ASMEND
	;;#ASMSTART
	v_cvt_f16_f32 v41, v2;

	;;#ASMEND
	;;#ASMSTART
	v_cvt_f16_f32 v45, v3;

	;;#ASMEND
	;;#ASMSTART
	v_cvt_f16_f32 v43, v4;

	;;#ASMEND
	s_waitcnt lgkmcnt(0)
	;;#ASMSTART
	v_cvt_f16_f32 v46, v46;

	;;#ASMEND
	;;#ASMSTART
	v_cvt_f16_f32 v47, v47;

	;;#ASMEND
	;; [unrolled: 4-line block ×4, first 2 shown]
	v_or_b32_e32 v42, 3, v28
	v_or_b32_e32 v40, 2, v28
	;; [unrolled: 1-line block ×6, first 2 shown]
	s_waitcnt vmcnt(0)
	v_mad_i64_i32 v[7:8], null, v39, s2, 0
	v_add_nc_u32_e32 v39, 1, v28
	s_delay_alu instid0(VALU_DEP_2) | instskip(NEXT) | instid1(VALU_DEP_1)
	v_lshlrev_b64 v[7:8], 1, v[7:8]
	v_add_co_u32 v52, vcc_lo, s3, v7
	s_delay_alu instid0(VALU_DEP_2) | instskip(NEXT) | instid1(VALU_DEP_2)
	v_add_co_ci_u32_e32 v53, vcc_lo, s5, v8, vcc_lo
	v_add_co_u32 v7, vcc_lo, v52, v30
	s_delay_alu instid0(VALU_DEP_2)
	v_add_co_ci_u32_e32 v8, vcc_lo, 0, v53, vcc_lo
	v_cmp_eq_u32_e32 vcc_lo, s23, v61
	global_load_b128 v[1:4], v[7:8], off
	s_and_saveexec_b32 s20, vcc_lo
	s_cbranch_execz .LBB127_31
; %bb.30:                               ;   in Loop: Header=BB127_29 Depth=1
	v_cmp_gt_i32_e64 s0, s11, v51
	s_waitcnt vmcnt(0)
	v_lshrrev_b32_e32 v56, 16, v4
	v_lshrrev_b32_e32 v57, 16, v3
	;; [unrolled: 1-line block ×4, first 2 shown]
	v_cndmask_b32_e64 v4, 0, v4, s0
	v_cmp_gt_i32_e64 s0, s15, v50
	s_delay_alu instid0(VALU_DEP_1) | instskip(SKIP_1) | instid1(VALU_DEP_2)
	v_cndmask_b32_e64 v56, 0, v56, s0
	v_cmp_gt_i32_e64 s0, s10, v49
	v_perm_b32 v4, v56, v4, 0x5040100
	s_delay_alu instid0(VALU_DEP_2) | instskip(SKIP_1) | instid1(VALU_DEP_1)
	v_cndmask_b32_e64 v57, 0, v57, s0
	v_cmp_gt_i32_e64 s0, s9, v48
	v_cndmask_b32_e64 v3, 0, v3, s0
	v_cmp_gt_i32_e64 s0, s8, v42
	s_delay_alu instid0(VALU_DEP_2) | instskip(NEXT) | instid1(VALU_DEP_2)
	v_perm_b32 v3, v57, v3, 0x5040100
	v_cndmask_b32_e64 v58, 0, v58, s0
	v_cmp_gt_i32_e64 s0, s7, v40
	s_delay_alu instid0(VALU_DEP_1) | instskip(SKIP_1) | instid1(VALU_DEP_2)
	v_cndmask_b32_e64 v2, 0, v2, s0
	v_cmp_gt_i32_e64 s0, s6, v39
	v_perm_b32 v2, v58, v2, 0x5040100
	s_delay_alu instid0(VALU_DEP_2) | instskip(SKIP_1) | instid1(VALU_DEP_1)
	v_cndmask_b32_e64 v59, 0, v59, s0
	v_cmp_gt_i32_e64 s0, s28, v28
	v_cndmask_b32_e64 v1, 0, v1, s0
	s_delay_alu instid0(VALU_DEP_1)
	v_perm_b32 v1, v59, v1, 0x5040100
.LBB127_31:                             ;   in Loop: Header=BB127_29 Depth=1
	s_or_b32 exec_lo, exec_lo, s20
	v_and_b32_e32 v44, 0xffff, v44
	v_and_b32_e32 v45, 0xffff, v45
	v_and_b32_e32 v56, 0xffff, v46
	v_and_b32_e32 v55, 0xffff, v55
	s_delay_alu instid0(VALU_DEP_4)
	v_lshl_or_b32 v46, v41, 16, v44
	s_waitcnt vmcnt(0)
	;;#ASMSTART
	v_pk_mul_f16 v1, v46, v1;

	;;#ASMEND
	v_lshl_or_b32 v44, v43, 16, v45
	v_lshl_or_b32 v43, v47, 16, v56
	;; [unrolled: 1-line block ×3, first 2 shown]
	;;#ASMSTART
	v_pk_mul_f16 v2, v44, v2;

	;;#ASMEND
	;;#ASMSTART
	v_pk_mul_f16 v3, v43, v3;

	;;#ASMEND
	;; [unrolled: 4-line block ×3, first 2 shown]
	;;#ASMSTART
	v_pk_add_f16 v1, v1, v2;

	;;#ASMEND
	;;#ASMSTART
	v_pk_add_f16 v1, v1, v3;

	;;#ASMEND
	;; [unrolled: 4-line block ×3, first 2 shown]
	v_and_b32_e32 v2, 0xffff, v1
	v_lshrrev_b32_e32 v1, 16, v1
	;;#ASMSTART
	v_cvt_f32_f16 v45, v2;
	;;#ASMEND
	;;#ASMSTART
	v_cvt_f32_f16 v47, v1;
	;;#ASMEND
	global_load_b128 v[1:4], v[7:8], off offset:512
	s_and_saveexec_b32 s20, vcc_lo
	s_cbranch_execz .LBB127_33
; %bb.32:                               ;   in Loop: Header=BB127_29 Depth=1
	v_cmp_gt_i32_e64 s0, s11, v51
	s_waitcnt vmcnt(0)
	v_lshrrev_b32_e32 v54, 16, v4
	v_lshrrev_b32_e32 v55, 16, v3
	;; [unrolled: 1-line block ×4, first 2 shown]
	v_cndmask_b32_e64 v4, 0, v4, s0
	v_cmp_gt_i32_e64 s0, s15, v50
	s_delay_alu instid0(VALU_DEP_1) | instskip(SKIP_1) | instid1(VALU_DEP_2)
	v_cndmask_b32_e64 v54, 0, v54, s0
	v_cmp_gt_i32_e64 s0, s10, v49
	v_perm_b32 v4, v54, v4, 0x5040100
	s_delay_alu instid0(VALU_DEP_2) | instskip(SKIP_1) | instid1(VALU_DEP_1)
	v_cndmask_b32_e64 v55, 0, v55, s0
	v_cmp_gt_i32_e64 s0, s9, v48
	v_cndmask_b32_e64 v3, 0, v3, s0
	v_cmp_gt_i32_e64 s0, s8, v42
	s_delay_alu instid0(VALU_DEP_2) | instskip(NEXT) | instid1(VALU_DEP_2)
	v_perm_b32 v3, v55, v3, 0x5040100
	v_cndmask_b32_e64 v56, 0, v56, s0
	v_cmp_gt_i32_e64 s0, s7, v40
	s_delay_alu instid0(VALU_DEP_1) | instskip(SKIP_1) | instid1(VALU_DEP_2)
	v_cndmask_b32_e64 v2, 0, v2, s0
	v_cmp_gt_i32_e64 s0, s6, v39
	v_perm_b32 v2, v56, v2, 0x5040100
	s_delay_alu instid0(VALU_DEP_2) | instskip(SKIP_1) | instid1(VALU_DEP_1)
	v_cndmask_b32_e64 v57, 0, v57, s0
	v_cmp_gt_i32_e64 s0, s28, v28
	v_cndmask_b32_e64 v1, 0, v1, s0
	s_delay_alu instid0(VALU_DEP_1)
	v_perm_b32 v1, v57, v1, 0x5040100
.LBB127_33:                             ;   in Loop: Header=BB127_29 Depth=1
	s_or_b32 exec_lo, exec_lo, s20
	s_waitcnt vmcnt(0)
	;;#ASMSTART
	v_pk_mul_f16 v1, v46, v1;

	;;#ASMEND
	;;#ASMSTART
	v_pk_mul_f16 v2, v44, v2;

	;;#ASMEND
	;; [unrolled: 4-line block ×4, first 2 shown]
	;;#ASMSTART
	v_pk_add_f16 v1, v1, v2;

	;;#ASMEND
	;;#ASMSTART
	v_pk_add_f16 v1, v1, v3;

	;;#ASMEND
	;; [unrolled: 4-line block ×3, first 2 shown]
	v_and_b32_e32 v2, 0xffff, v1
	v_lshrrev_b32_e32 v1, 16, v1
	;;#ASMSTART
	v_cvt_f32_f16 v54, v2;
	;;#ASMEND
	;;#ASMSTART
	v_cvt_f32_f16 v55, v1;
	;;#ASMEND
	global_load_b128 v[1:4], v[7:8], off offset:1024
	s_and_saveexec_b32 s20, vcc_lo
	s_cbranch_execz .LBB127_35
; %bb.34:                               ;   in Loop: Header=BB127_29 Depth=1
	v_cmp_gt_i32_e64 s0, s11, v51
	s_waitcnt vmcnt(0)
	v_lshrrev_b32_e32 v56, 16, v4
	v_lshrrev_b32_e32 v57, 16, v3
	;; [unrolled: 1-line block ×4, first 2 shown]
	v_cndmask_b32_e64 v4, 0, v4, s0
	v_cmp_gt_i32_e64 s0, s15, v50
	s_delay_alu instid0(VALU_DEP_1) | instskip(SKIP_1) | instid1(VALU_DEP_2)
	v_cndmask_b32_e64 v56, 0, v56, s0
	v_cmp_gt_i32_e64 s0, s10, v49
	v_perm_b32 v4, v56, v4, 0x5040100
	s_delay_alu instid0(VALU_DEP_2) | instskip(SKIP_1) | instid1(VALU_DEP_1)
	v_cndmask_b32_e64 v57, 0, v57, s0
	v_cmp_gt_i32_e64 s0, s9, v48
	v_cndmask_b32_e64 v3, 0, v3, s0
	v_cmp_gt_i32_e64 s0, s8, v42
	s_delay_alu instid0(VALU_DEP_2) | instskip(NEXT) | instid1(VALU_DEP_2)
	v_perm_b32 v3, v57, v3, 0x5040100
	v_cndmask_b32_e64 v58, 0, v58, s0
	v_cmp_gt_i32_e64 s0, s7, v40
	s_delay_alu instid0(VALU_DEP_1) | instskip(SKIP_1) | instid1(VALU_DEP_2)
	v_cndmask_b32_e64 v2, 0, v2, s0
	v_cmp_gt_i32_e64 s0, s6, v39
	v_perm_b32 v2, v58, v2, 0x5040100
	s_delay_alu instid0(VALU_DEP_2) | instskip(SKIP_1) | instid1(VALU_DEP_1)
	v_cndmask_b32_e64 v59, 0, v59, s0
	v_cmp_gt_i32_e64 s0, s28, v28
	v_cndmask_b32_e64 v1, 0, v1, s0
	s_delay_alu instid0(VALU_DEP_1)
	v_perm_b32 v1, v59, v1, 0x5040100
.LBB127_35:                             ;   in Loop: Header=BB127_29 Depth=1
	s_or_b32 exec_lo, exec_lo, s20
	s_waitcnt vmcnt(0)
	;;#ASMSTART
	v_pk_mul_f16 v1, v46, v1;

	;;#ASMEND
	;;#ASMSTART
	v_pk_mul_f16 v2, v44, v2;

	;;#ASMEND
	;; [unrolled: 4-line block ×4, first 2 shown]
	;;#ASMSTART
	v_pk_add_f16 v1, v1, v2;

	;;#ASMEND
	;;#ASMSTART
	v_pk_add_f16 v1, v1, v3;

	;;#ASMEND
	;; [unrolled: 4-line block ×3, first 2 shown]
	v_and_b32_e32 v2, 0xffff, v1
	v_lshrrev_b32_e32 v1, 16, v1
	;;#ASMSTART
	v_cvt_f32_f16 v56, v2;
	;;#ASMEND
	;;#ASMSTART
	v_cvt_f32_f16 v57, v1;
	;;#ASMEND
	global_load_b128 v[1:4], v[7:8], off offset:1536
	s_and_saveexec_b32 s20, vcc_lo
	s_cbranch_execz .LBB127_37
; %bb.36:                               ;   in Loop: Header=BB127_29 Depth=1
	v_cmp_gt_i32_e64 s0, s11, v51
	s_waitcnt vmcnt(0)
	v_lshrrev_b32_e32 v58, 16, v4
	v_lshrrev_b32_e32 v59, 16, v3
	;; [unrolled: 1-line block ×4, first 2 shown]
	v_cndmask_b32_e64 v4, 0, v4, s0
	v_cmp_gt_i32_e64 s0, s15, v50
	s_delay_alu instid0(VALU_DEP_1) | instskip(SKIP_1) | instid1(VALU_DEP_2)
	v_cndmask_b32_e64 v58, 0, v58, s0
	v_cmp_gt_i32_e64 s0, s10, v49
	v_perm_b32 v4, v58, v4, 0x5040100
	s_delay_alu instid0(VALU_DEP_2) | instskip(SKIP_1) | instid1(VALU_DEP_1)
	v_cndmask_b32_e64 v59, 0, v59, s0
	v_cmp_gt_i32_e64 s0, s9, v48
	v_cndmask_b32_e64 v3, 0, v3, s0
	v_cmp_gt_i32_e64 s0, s8, v42
	s_delay_alu instid0(VALU_DEP_2) | instskip(NEXT) | instid1(VALU_DEP_2)
	v_perm_b32 v3, v59, v3, 0x5040100
	v_cndmask_b32_e64 v60, 0, v60, s0
	v_cmp_gt_i32_e64 s0, s7, v40
	s_delay_alu instid0(VALU_DEP_1) | instskip(SKIP_1) | instid1(VALU_DEP_2)
	v_cndmask_b32_e64 v2, 0, v2, s0
	v_cmp_gt_i32_e64 s0, s6, v39
	v_perm_b32 v2, v60, v2, 0x5040100
	s_delay_alu instid0(VALU_DEP_2) | instskip(SKIP_1) | instid1(VALU_DEP_1)
	v_cndmask_b32_e64 v62, 0, v62, s0
	v_cmp_gt_i32_e64 s0, s28, v28
	v_cndmask_b32_e64 v1, 0, v1, s0
	s_delay_alu instid0(VALU_DEP_1)
	v_perm_b32 v1, v62, v1, 0x5040100
.LBB127_37:                             ;   in Loop: Header=BB127_29 Depth=1
	s_or_b32 exec_lo, exec_lo, s20
	s_waitcnt vmcnt(0)
	;;#ASMSTART
	v_pk_mul_f16 v1, v46, v1;

	;;#ASMEND
	;;#ASMSTART
	v_pk_mul_f16 v2, v44, v2;

	;;#ASMEND
	;; [unrolled: 4-line block ×4, first 2 shown]
	;;#ASMSTART
	v_pk_add_f16 v1, v1, v2;

	;;#ASMEND
	;;#ASMSTART
	v_pk_add_f16 v1, v1, v3;

	;;#ASMEND
	;; [unrolled: 4-line block ×3, first 2 shown]
	v_and_b32_e32 v2, 0xffff, v1
	v_lshrrev_b32_e32 v1, 16, v1
	;;#ASMSTART
	v_cvt_f32_f16 v58, v2;
	;;#ASMEND
	;;#ASMSTART
	v_cvt_f32_f16 v59, v1;
	;;#ASMEND
	global_load_b128 v[1:4], v[7:8], off offset:2048
	s_and_saveexec_b32 s20, vcc_lo
	s_cbranch_execz .LBB127_39
; %bb.38:                               ;   in Loop: Header=BB127_29 Depth=1
	v_cmp_gt_i32_e64 s0, s11, v51
	s_waitcnt vmcnt(0)
	v_lshrrev_b32_e32 v60, 16, v4
	v_lshrrev_b32_e32 v62, 16, v3
	;; [unrolled: 1-line block ×4, first 2 shown]
	v_cndmask_b32_e64 v4, 0, v4, s0
	v_cmp_gt_i32_e64 s0, s15, v50
	s_delay_alu instid0(VALU_DEP_1) | instskip(SKIP_1) | instid1(VALU_DEP_2)
	v_cndmask_b32_e64 v60, 0, v60, s0
	v_cmp_gt_i32_e64 s0, s10, v49
	v_perm_b32 v4, v60, v4, 0x5040100
	s_delay_alu instid0(VALU_DEP_2) | instskip(SKIP_1) | instid1(VALU_DEP_1)
	v_cndmask_b32_e64 v62, 0, v62, s0
	v_cmp_gt_i32_e64 s0, s9, v48
	v_cndmask_b32_e64 v3, 0, v3, s0
	v_cmp_gt_i32_e64 s0, s8, v42
	s_delay_alu instid0(VALU_DEP_2) | instskip(NEXT) | instid1(VALU_DEP_2)
	v_perm_b32 v3, v62, v3, 0x5040100
	v_cndmask_b32_e64 v63, 0, v63, s0
	v_cmp_gt_i32_e64 s0, s7, v40
	s_delay_alu instid0(VALU_DEP_1) | instskip(SKIP_1) | instid1(VALU_DEP_2)
	v_cndmask_b32_e64 v2, 0, v2, s0
	v_cmp_gt_i32_e64 s0, s6, v39
	v_perm_b32 v2, v63, v2, 0x5040100
	s_delay_alu instid0(VALU_DEP_2) | instskip(SKIP_1) | instid1(VALU_DEP_1)
	v_cndmask_b32_e64 v64, 0, v64, s0
	v_cmp_gt_i32_e64 s0, s28, v28
	v_cndmask_b32_e64 v1, 0, v1, s0
	s_delay_alu instid0(VALU_DEP_1)
	v_perm_b32 v1, v64, v1, 0x5040100
.LBB127_39:                             ;   in Loop: Header=BB127_29 Depth=1
	s_or_b32 exec_lo, exec_lo, s20
	s_waitcnt vmcnt(0)
	;;#ASMSTART
	v_pk_mul_f16 v1, v46, v1;

	;;#ASMEND
	;;#ASMSTART
	v_pk_mul_f16 v2, v44, v2;

	;;#ASMEND
	;; [unrolled: 4-line block ×4, first 2 shown]
	;;#ASMSTART
	v_pk_add_f16 v1, v1, v2;

	;;#ASMEND
	;;#ASMSTART
	v_pk_add_f16 v1, v1, v3;

	;;#ASMEND
	;; [unrolled: 4-line block ×3, first 2 shown]
	v_and_b32_e32 v2, 0xffff, v1
	v_lshrrev_b32_e32 v1, 16, v1
	;;#ASMSTART
	v_cvt_f32_f16 v60, v2;
	;;#ASMEND
	;;#ASMSTART
	v_cvt_f32_f16 v62, v1;
	;;#ASMEND
	global_load_b128 v[1:4], v[7:8], off offset:2560
	s_and_saveexec_b32 s20, vcc_lo
	s_cbranch_execz .LBB127_41
; %bb.40:                               ;   in Loop: Header=BB127_29 Depth=1
	v_cmp_gt_i32_e64 s0, s11, v51
	s_waitcnt vmcnt(0)
	v_lshrrev_b32_e32 v63, 16, v4
	v_lshrrev_b32_e32 v64, 16, v3
	;; [unrolled: 1-line block ×4, first 2 shown]
	v_cndmask_b32_e64 v4, 0, v4, s0
	v_cmp_gt_i32_e64 s0, s15, v50
	s_delay_alu instid0(VALU_DEP_1) | instskip(SKIP_1) | instid1(VALU_DEP_2)
	v_cndmask_b32_e64 v63, 0, v63, s0
	v_cmp_gt_i32_e64 s0, s10, v49
	v_perm_b32 v4, v63, v4, 0x5040100
	s_delay_alu instid0(VALU_DEP_2) | instskip(SKIP_1) | instid1(VALU_DEP_1)
	v_cndmask_b32_e64 v64, 0, v64, s0
	v_cmp_gt_i32_e64 s0, s9, v48
	v_cndmask_b32_e64 v3, 0, v3, s0
	v_cmp_gt_i32_e64 s0, s8, v42
	s_delay_alu instid0(VALU_DEP_2) | instskip(NEXT) | instid1(VALU_DEP_2)
	v_perm_b32 v3, v64, v3, 0x5040100
	v_cndmask_b32_e64 v67, 0, v67, s0
	v_cmp_gt_i32_e64 s0, s7, v40
	s_delay_alu instid0(VALU_DEP_1) | instskip(SKIP_1) | instid1(VALU_DEP_2)
	v_cndmask_b32_e64 v2, 0, v2, s0
	v_cmp_gt_i32_e64 s0, s6, v39
	v_perm_b32 v2, v67, v2, 0x5040100
	s_delay_alu instid0(VALU_DEP_2) | instskip(SKIP_1) | instid1(VALU_DEP_1)
	v_cndmask_b32_e64 v68, 0, v68, s0
	v_cmp_gt_i32_e64 s0, s28, v28
	v_cndmask_b32_e64 v1, 0, v1, s0
	s_delay_alu instid0(VALU_DEP_1)
	v_perm_b32 v1, v68, v1, 0x5040100
.LBB127_41:                             ;   in Loop: Header=BB127_29 Depth=1
	s_or_b32 exec_lo, exec_lo, s20
	s_waitcnt vmcnt(0)
	;;#ASMSTART
	v_pk_mul_f16 v1, v46, v1;

	;;#ASMEND
	;;#ASMSTART
	v_pk_mul_f16 v2, v44, v2;

	;;#ASMEND
	;; [unrolled: 4-line block ×4, first 2 shown]
	;;#ASMSTART
	v_pk_add_f16 v1, v1, v2;

	;;#ASMEND
	;;#ASMSTART
	v_pk_add_f16 v1, v1, v3;

	;;#ASMEND
	;; [unrolled: 4-line block ×3, first 2 shown]
	v_and_b32_e32 v2, 0xffff, v1
	v_lshrrev_b32_e32 v1, 16, v1
	;;#ASMSTART
	v_cvt_f32_f16 v63, v2;
	;;#ASMEND
	;;#ASMSTART
	v_cvt_f32_f16 v64, v1;
	;;#ASMEND
	global_load_b128 v[1:4], v[7:8], off offset:3072
	s_and_saveexec_b32 s20, vcc_lo
	s_cbranch_execz .LBB127_43
; %bb.42:                               ;   in Loop: Header=BB127_29 Depth=1
	v_cmp_gt_i32_e64 s0, s11, v51
	s_waitcnt vmcnt(0)
	v_lshrrev_b32_e32 v67, 16, v4
	v_lshrrev_b32_e32 v68, 16, v3
	v_lshrrev_b32_e32 v69, 16, v2
	v_lshrrev_b32_e32 v70, 16, v1
	v_cndmask_b32_e64 v4, 0, v4, s0
	v_cmp_gt_i32_e64 s0, s15, v50
	s_delay_alu instid0(VALU_DEP_1) | instskip(SKIP_1) | instid1(VALU_DEP_2)
	v_cndmask_b32_e64 v67, 0, v67, s0
	v_cmp_gt_i32_e64 s0, s10, v49
	v_perm_b32 v4, v67, v4, 0x5040100
	s_delay_alu instid0(VALU_DEP_2) | instskip(SKIP_1) | instid1(VALU_DEP_1)
	v_cndmask_b32_e64 v68, 0, v68, s0
	v_cmp_gt_i32_e64 s0, s9, v48
	v_cndmask_b32_e64 v3, 0, v3, s0
	v_cmp_gt_i32_e64 s0, s8, v42
	s_delay_alu instid0(VALU_DEP_2) | instskip(NEXT) | instid1(VALU_DEP_2)
	v_perm_b32 v3, v68, v3, 0x5040100
	v_cndmask_b32_e64 v69, 0, v69, s0
	v_cmp_gt_i32_e64 s0, s7, v40
	s_delay_alu instid0(VALU_DEP_1) | instskip(SKIP_1) | instid1(VALU_DEP_2)
	v_cndmask_b32_e64 v2, 0, v2, s0
	v_cmp_gt_i32_e64 s0, s6, v39
	v_perm_b32 v2, v69, v2, 0x5040100
	s_delay_alu instid0(VALU_DEP_2) | instskip(SKIP_1) | instid1(VALU_DEP_1)
	v_cndmask_b32_e64 v70, 0, v70, s0
	v_cmp_gt_i32_e64 s0, s28, v28
	v_cndmask_b32_e64 v1, 0, v1, s0
	s_delay_alu instid0(VALU_DEP_1)
	v_perm_b32 v1, v70, v1, 0x5040100
.LBB127_43:                             ;   in Loop: Header=BB127_29 Depth=1
	s_or_b32 exec_lo, exec_lo, s20
	s_waitcnt vmcnt(0)
	;;#ASMSTART
	v_pk_mul_f16 v1, v46, v1;

	;;#ASMEND
	;;#ASMSTART
	v_pk_mul_f16 v2, v44, v2;

	;;#ASMEND
	;; [unrolled: 4-line block ×4, first 2 shown]
	;;#ASMSTART
	v_pk_add_f16 v1, v1, v2;

	;;#ASMEND
	;;#ASMSTART
	v_pk_add_f16 v1, v1, v3;

	;;#ASMEND
	;;#ASMSTART
	v_pk_add_f16 v1, v1, v4;

	;;#ASMEND
	v_and_b32_e32 v2, 0xffff, v1
	v_lshrrev_b32_e32 v1, 16, v1
	;;#ASMSTART
	v_cvt_f32_f16 v67, v2;
	;;#ASMEND
	;;#ASMSTART
	v_cvt_f32_f16 v68, v1;
	;;#ASMEND
	global_load_b128 v[1:4], v[7:8], off offset:3584
	s_and_saveexec_b32 s20, vcc_lo
	s_cbranch_execz .LBB127_45
; %bb.44:                               ;   in Loop: Header=BB127_29 Depth=1
	v_cmp_gt_i32_e64 s0, s11, v51
	s_waitcnt vmcnt(0)
	v_lshrrev_b32_e32 v7, 16, v4
	v_lshrrev_b32_e32 v8, 16, v3
	;; [unrolled: 1-line block ×4, first 2 shown]
	v_cndmask_b32_e64 v4, 0, v4, s0
	v_cmp_gt_i32_e64 s0, s15, v50
	s_delay_alu instid0(VALU_DEP_1) | instskip(SKIP_1) | instid1(VALU_DEP_2)
	v_cndmask_b32_e64 v7, 0, v7, s0
	v_cmp_gt_i32_e64 s0, s10, v49
	v_perm_b32 v4, v7, v4, 0x5040100
	s_delay_alu instid0(VALU_DEP_2) | instskip(SKIP_1) | instid1(VALU_DEP_1)
	v_cndmask_b32_e64 v8, 0, v8, s0
	v_cmp_gt_i32_e64 s0, s9, v48
	v_cndmask_b32_e64 v3, 0, v3, s0
	v_cmp_gt_i32_e64 s0, s8, v42
	s_delay_alu instid0(VALU_DEP_2) | instskip(NEXT) | instid1(VALU_DEP_2)
	v_perm_b32 v3, v8, v3, 0x5040100
	v_cndmask_b32_e64 v69, 0, v69, s0
	v_cmp_gt_i32_e64 s0, s7, v40
	s_delay_alu instid0(VALU_DEP_1) | instskip(SKIP_1) | instid1(VALU_DEP_2)
	v_cndmask_b32_e64 v2, 0, v2, s0
	v_cmp_gt_i32_e64 s0, s6, v39
	v_perm_b32 v2, v69, v2, 0x5040100
	s_delay_alu instid0(VALU_DEP_2) | instskip(SKIP_1) | instid1(VALU_DEP_1)
	v_cndmask_b32_e64 v70, 0, v70, s0
	v_cmp_gt_i32_e64 s0, s28, v28
	v_cndmask_b32_e64 v1, 0, v1, s0
	s_delay_alu instid0(VALU_DEP_1)
	v_perm_b32 v1, v70, v1, 0x5040100
.LBB127_45:                             ;   in Loop: Header=BB127_29 Depth=1
	s_or_b32 exec_lo, exec_lo, s20
	s_waitcnt vmcnt(0)
	;;#ASMSTART
	v_pk_mul_f16 v1, v46, v1;

	;;#ASMEND
	;;#ASMSTART
	v_pk_mul_f16 v2, v44, v2;

	;;#ASMEND
	;; [unrolled: 4-line block ×4, first 2 shown]
	;;#ASMSTART
	v_pk_add_f16 v1, v1, v2;

	;;#ASMEND
	;;#ASMSTART
	v_pk_add_f16 v1, v1, v3;

	;;#ASMEND
	;; [unrolled: 4-line block ×3, first 2 shown]
	v_lshrrev_b32_e32 v3, 16, v1
	v_and_b32_e32 v4, 0xffff, v1
	v_add_co_u32 v1, s0, v52, v31
	s_delay_alu instid0(VALU_DEP_1)
	v_add_co_ci_u32_e64 v2, s0, 0, v53, s0
	;;#ASMSTART
	v_cvt_f32_f16 v7, v4;
	;;#ASMEND
	;;#ASMSTART
	v_cvt_f32_f16 v8, v3;
	;;#ASMEND
	global_load_b128 v[1:4], v[1:2], off
	s_and_saveexec_b32 s20, vcc_lo
	s_cbranch_execz .LBB127_47
; %bb.46:                               ;   in Loop: Header=BB127_29 Depth=1
	v_cmp_gt_i32_e64 s0, s11, v51
	s_waitcnt vmcnt(0)
	v_lshrrev_b32_e32 v69, 16, v4
	v_lshrrev_b32_e32 v70, 16, v3
	;; [unrolled: 1-line block ×4, first 2 shown]
	v_cndmask_b32_e64 v4, 0, v4, s0
	v_cmp_gt_i32_e64 s0, s15, v50
	s_delay_alu instid0(VALU_DEP_1) | instskip(SKIP_1) | instid1(VALU_DEP_2)
	v_cndmask_b32_e64 v69, 0, v69, s0
	v_cmp_gt_i32_e64 s0, s10, v49
	v_perm_b32 v4, v69, v4, 0x5040100
	s_delay_alu instid0(VALU_DEP_2) | instskip(SKIP_1) | instid1(VALU_DEP_1)
	v_cndmask_b32_e64 v70, 0, v70, s0
	v_cmp_gt_i32_e64 s0, s9, v48
	v_cndmask_b32_e64 v3, 0, v3, s0
	v_cmp_gt_i32_e64 s0, s8, v42
	s_delay_alu instid0(VALU_DEP_2) | instskip(NEXT) | instid1(VALU_DEP_2)
	v_perm_b32 v3, v70, v3, 0x5040100
	v_cndmask_b32_e64 v71, 0, v71, s0
	v_cmp_gt_i32_e64 s0, s7, v40
	s_delay_alu instid0(VALU_DEP_1) | instskip(SKIP_1) | instid1(VALU_DEP_2)
	v_cndmask_b32_e64 v2, 0, v2, s0
	v_cmp_gt_i32_e64 s0, s6, v39
	v_perm_b32 v2, v71, v2, 0x5040100
	s_delay_alu instid0(VALU_DEP_2) | instskip(SKIP_1) | instid1(VALU_DEP_1)
	v_cndmask_b32_e64 v72, 0, v72, s0
	v_cmp_gt_i32_e64 s0, s28, v28
	v_cndmask_b32_e64 v1, 0, v1, s0
	s_delay_alu instid0(VALU_DEP_1)
	v_perm_b32 v1, v72, v1, 0x5040100
.LBB127_47:                             ;   in Loop: Header=BB127_29 Depth=1
	s_or_b32 exec_lo, exec_lo, s20
	s_waitcnt vmcnt(0)
	;;#ASMSTART
	v_pk_mul_f16 v1, v46, v1;

	;;#ASMEND
	;;#ASMSTART
	v_pk_mul_f16 v2, v44, v2;

	;;#ASMEND
	;; [unrolled: 4-line block ×4, first 2 shown]
	;;#ASMSTART
	v_pk_add_f16 v1, v1, v2;

	;;#ASMEND
	;;#ASMSTART
	v_pk_add_f16 v1, v1, v3;

	;;#ASMEND
	;; [unrolled: 4-line block ×3, first 2 shown]
	v_lshrrev_b32_e32 v3, 16, v1
	v_and_b32_e32 v4, 0xffff, v1
	v_add_co_u32 v1, s0, v52, v32
	s_delay_alu instid0(VALU_DEP_1)
	v_add_co_ci_u32_e64 v2, s0, 0, v53, s0
	;;#ASMSTART
	v_cvt_f32_f16 v69, v4;
	;;#ASMEND
	;;#ASMSTART
	v_cvt_f32_f16 v70, v3;
	;;#ASMEND
	global_load_b128 v[1:4], v[1:2], off
	s_and_saveexec_b32 s20, vcc_lo
	s_cbranch_execz .LBB127_49
; %bb.48:                               ;   in Loop: Header=BB127_29 Depth=1
	v_cmp_gt_i32_e64 s0, s11, v51
	s_waitcnt vmcnt(0)
	v_lshrrev_b32_e32 v71, 16, v4
	v_lshrrev_b32_e32 v72, 16, v3
	v_lshrrev_b32_e32 v73, 16, v2
	v_lshrrev_b32_e32 v74, 16, v1
	v_cndmask_b32_e64 v4, 0, v4, s0
	v_cmp_gt_i32_e64 s0, s15, v50
	s_delay_alu instid0(VALU_DEP_1) | instskip(SKIP_1) | instid1(VALU_DEP_2)
	v_cndmask_b32_e64 v71, 0, v71, s0
	v_cmp_gt_i32_e64 s0, s10, v49
	v_perm_b32 v4, v71, v4, 0x5040100
	s_delay_alu instid0(VALU_DEP_2) | instskip(SKIP_1) | instid1(VALU_DEP_1)
	v_cndmask_b32_e64 v72, 0, v72, s0
	v_cmp_gt_i32_e64 s0, s9, v48
	v_cndmask_b32_e64 v3, 0, v3, s0
	v_cmp_gt_i32_e64 s0, s8, v42
	s_delay_alu instid0(VALU_DEP_2) | instskip(NEXT) | instid1(VALU_DEP_2)
	v_perm_b32 v3, v72, v3, 0x5040100
	v_cndmask_b32_e64 v73, 0, v73, s0
	v_cmp_gt_i32_e64 s0, s7, v40
	s_delay_alu instid0(VALU_DEP_1) | instskip(SKIP_1) | instid1(VALU_DEP_2)
	v_cndmask_b32_e64 v2, 0, v2, s0
	v_cmp_gt_i32_e64 s0, s6, v39
	v_perm_b32 v2, v73, v2, 0x5040100
	s_delay_alu instid0(VALU_DEP_2) | instskip(SKIP_1) | instid1(VALU_DEP_1)
	v_cndmask_b32_e64 v74, 0, v74, s0
	v_cmp_gt_i32_e64 s0, s28, v28
	v_cndmask_b32_e64 v1, 0, v1, s0
	s_delay_alu instid0(VALU_DEP_1)
	v_perm_b32 v1, v74, v1, 0x5040100
.LBB127_49:                             ;   in Loop: Header=BB127_29 Depth=1
	s_or_b32 exec_lo, exec_lo, s20
	s_waitcnt vmcnt(0)
	;;#ASMSTART
	v_pk_mul_f16 v1, v46, v1;

	;;#ASMEND
	;;#ASMSTART
	v_pk_mul_f16 v2, v44, v2;

	;;#ASMEND
	;; [unrolled: 4-line block ×4, first 2 shown]
	;;#ASMSTART
	v_pk_add_f16 v1, v1, v2;

	;;#ASMEND
	;;#ASMSTART
	v_pk_add_f16 v1, v1, v3;

	;;#ASMEND
	;; [unrolled: 4-line block ×3, first 2 shown]
	v_lshrrev_b32_e32 v3, 16, v1
	v_and_b32_e32 v4, 0xffff, v1
	v_add_co_u32 v1, s0, v52, v33
	s_delay_alu instid0(VALU_DEP_1)
	v_add_co_ci_u32_e64 v2, s0, 0, v53, s0
	;;#ASMSTART
	v_cvt_f32_f16 v71, v4;
	;;#ASMEND
	;;#ASMSTART
	v_cvt_f32_f16 v72, v3;
	;;#ASMEND
	global_load_b128 v[1:4], v[1:2], off
	s_and_saveexec_b32 s20, vcc_lo
	s_cbranch_execz .LBB127_51
; %bb.50:                               ;   in Loop: Header=BB127_29 Depth=1
	v_cmp_gt_i32_e64 s0, s11, v51
	s_waitcnt vmcnt(0)
	v_lshrrev_b32_e32 v73, 16, v4
	v_lshrrev_b32_e32 v74, 16, v3
	;; [unrolled: 1-line block ×4, first 2 shown]
	v_cndmask_b32_e64 v4, 0, v4, s0
	v_cmp_gt_i32_e64 s0, s15, v50
	s_delay_alu instid0(VALU_DEP_1) | instskip(SKIP_1) | instid1(VALU_DEP_2)
	v_cndmask_b32_e64 v73, 0, v73, s0
	v_cmp_gt_i32_e64 s0, s10, v49
	v_perm_b32 v4, v73, v4, 0x5040100
	s_delay_alu instid0(VALU_DEP_2) | instskip(SKIP_1) | instid1(VALU_DEP_1)
	v_cndmask_b32_e64 v74, 0, v74, s0
	v_cmp_gt_i32_e64 s0, s9, v48
	v_cndmask_b32_e64 v3, 0, v3, s0
	v_cmp_gt_i32_e64 s0, s8, v42
	s_delay_alu instid0(VALU_DEP_2) | instskip(NEXT) | instid1(VALU_DEP_2)
	v_perm_b32 v3, v74, v3, 0x5040100
	v_cndmask_b32_e64 v75, 0, v75, s0
	v_cmp_gt_i32_e64 s0, s7, v40
	s_delay_alu instid0(VALU_DEP_1) | instskip(SKIP_1) | instid1(VALU_DEP_2)
	v_cndmask_b32_e64 v2, 0, v2, s0
	v_cmp_gt_i32_e64 s0, s6, v39
	v_perm_b32 v2, v75, v2, 0x5040100
	s_delay_alu instid0(VALU_DEP_2) | instskip(SKIP_1) | instid1(VALU_DEP_1)
	v_cndmask_b32_e64 v76, 0, v76, s0
	v_cmp_gt_i32_e64 s0, s28, v28
	v_cndmask_b32_e64 v1, 0, v1, s0
	s_delay_alu instid0(VALU_DEP_1)
	v_perm_b32 v1, v76, v1, 0x5040100
.LBB127_51:                             ;   in Loop: Header=BB127_29 Depth=1
	s_or_b32 exec_lo, exec_lo, s20
	s_waitcnt vmcnt(0)
	;;#ASMSTART
	v_pk_mul_f16 v1, v46, v1;

	;;#ASMEND
	;;#ASMSTART
	v_pk_mul_f16 v2, v44, v2;

	;;#ASMEND
	;; [unrolled: 4-line block ×4, first 2 shown]
	;;#ASMSTART
	v_pk_add_f16 v1, v1, v2;

	;;#ASMEND
	;;#ASMSTART
	v_pk_add_f16 v1, v1, v3;

	;;#ASMEND
	;; [unrolled: 4-line block ×3, first 2 shown]
	v_lshrrev_b32_e32 v3, 16, v1
	v_and_b32_e32 v4, 0xffff, v1
	v_add_co_u32 v1, s0, v52, v34
	s_delay_alu instid0(VALU_DEP_1)
	v_add_co_ci_u32_e64 v2, s0, 0, v53, s0
	;;#ASMSTART
	v_cvt_f32_f16 v73, v4;
	;;#ASMEND
	;;#ASMSTART
	v_cvt_f32_f16 v74, v3;
	;;#ASMEND
	global_load_b128 v[1:4], v[1:2], off
	s_and_saveexec_b32 s20, vcc_lo
	s_cbranch_execz .LBB127_53
; %bb.52:                               ;   in Loop: Header=BB127_29 Depth=1
	v_cmp_gt_i32_e64 s0, s11, v51
	s_waitcnt vmcnt(0)
	v_lshrrev_b32_e32 v75, 16, v4
	v_lshrrev_b32_e32 v76, 16, v3
	;; [unrolled: 1-line block ×4, first 2 shown]
	v_cndmask_b32_e64 v4, 0, v4, s0
	v_cmp_gt_i32_e64 s0, s15, v50
	s_delay_alu instid0(VALU_DEP_1) | instskip(SKIP_1) | instid1(VALU_DEP_2)
	v_cndmask_b32_e64 v75, 0, v75, s0
	v_cmp_gt_i32_e64 s0, s10, v49
	v_perm_b32 v4, v75, v4, 0x5040100
	s_delay_alu instid0(VALU_DEP_2) | instskip(SKIP_1) | instid1(VALU_DEP_1)
	v_cndmask_b32_e64 v76, 0, v76, s0
	v_cmp_gt_i32_e64 s0, s9, v48
	v_cndmask_b32_e64 v3, 0, v3, s0
	v_cmp_gt_i32_e64 s0, s8, v42
	s_delay_alu instid0(VALU_DEP_2) | instskip(NEXT) | instid1(VALU_DEP_2)
	v_perm_b32 v3, v76, v3, 0x5040100
	v_cndmask_b32_e64 v77, 0, v77, s0
	v_cmp_gt_i32_e64 s0, s7, v40
	s_delay_alu instid0(VALU_DEP_1) | instskip(SKIP_1) | instid1(VALU_DEP_2)
	v_cndmask_b32_e64 v2, 0, v2, s0
	v_cmp_gt_i32_e64 s0, s6, v39
	v_perm_b32 v2, v77, v2, 0x5040100
	s_delay_alu instid0(VALU_DEP_2) | instskip(SKIP_1) | instid1(VALU_DEP_1)
	v_cndmask_b32_e64 v78, 0, v78, s0
	v_cmp_gt_i32_e64 s0, s28, v28
	v_cndmask_b32_e64 v1, 0, v1, s0
	s_delay_alu instid0(VALU_DEP_1)
	v_perm_b32 v1, v78, v1, 0x5040100
.LBB127_53:                             ;   in Loop: Header=BB127_29 Depth=1
	s_or_b32 exec_lo, exec_lo, s20
	s_waitcnt vmcnt(0)
	;;#ASMSTART
	v_pk_mul_f16 v1, v46, v1;

	;;#ASMEND
	;;#ASMSTART
	v_pk_mul_f16 v2, v44, v2;

	;;#ASMEND
	;; [unrolled: 4-line block ×4, first 2 shown]
	;;#ASMSTART
	v_pk_add_f16 v1, v1, v2;

	;;#ASMEND
	;;#ASMSTART
	v_pk_add_f16 v1, v1, v3;

	;;#ASMEND
	;; [unrolled: 4-line block ×3, first 2 shown]
	v_lshrrev_b32_e32 v3, 16, v1
	v_and_b32_e32 v4, 0xffff, v1
	v_add_co_u32 v1, s0, v52, v35
	s_delay_alu instid0(VALU_DEP_1)
	v_add_co_ci_u32_e64 v2, s0, 0, v53, s0
	;;#ASMSTART
	v_cvt_f32_f16 v75, v4;
	;;#ASMEND
	;;#ASMSTART
	v_cvt_f32_f16 v76, v3;
	;;#ASMEND
	global_load_b128 v[1:4], v[1:2], off
	s_and_saveexec_b32 s20, vcc_lo
	s_cbranch_execz .LBB127_55
; %bb.54:                               ;   in Loop: Header=BB127_29 Depth=1
	v_cmp_gt_i32_e64 s0, s11, v51
	s_waitcnt vmcnt(0)
	v_lshrrev_b32_e32 v77, 16, v4
	v_lshrrev_b32_e32 v78, 16, v3
	;; [unrolled: 1-line block ×4, first 2 shown]
	v_cndmask_b32_e64 v4, 0, v4, s0
	v_cmp_gt_i32_e64 s0, s15, v50
	s_delay_alu instid0(VALU_DEP_1) | instskip(SKIP_1) | instid1(VALU_DEP_2)
	v_cndmask_b32_e64 v77, 0, v77, s0
	v_cmp_gt_i32_e64 s0, s10, v49
	v_perm_b32 v4, v77, v4, 0x5040100
	s_delay_alu instid0(VALU_DEP_2) | instskip(SKIP_1) | instid1(VALU_DEP_1)
	v_cndmask_b32_e64 v78, 0, v78, s0
	v_cmp_gt_i32_e64 s0, s9, v48
	v_cndmask_b32_e64 v3, 0, v3, s0
	v_cmp_gt_i32_e64 s0, s8, v42
	s_delay_alu instid0(VALU_DEP_2) | instskip(NEXT) | instid1(VALU_DEP_2)
	v_perm_b32 v3, v78, v3, 0x5040100
	v_cndmask_b32_e64 v79, 0, v79, s0
	v_cmp_gt_i32_e64 s0, s7, v40
	s_delay_alu instid0(VALU_DEP_1) | instskip(SKIP_1) | instid1(VALU_DEP_2)
	v_cndmask_b32_e64 v2, 0, v2, s0
	v_cmp_gt_i32_e64 s0, s6, v39
	v_perm_b32 v2, v79, v2, 0x5040100
	s_delay_alu instid0(VALU_DEP_2) | instskip(SKIP_1) | instid1(VALU_DEP_1)
	v_cndmask_b32_e64 v80, 0, v80, s0
	v_cmp_gt_i32_e64 s0, s28, v28
	v_cndmask_b32_e64 v1, 0, v1, s0
	s_delay_alu instid0(VALU_DEP_1)
	v_perm_b32 v1, v80, v1, 0x5040100
.LBB127_55:                             ;   in Loop: Header=BB127_29 Depth=1
	s_or_b32 exec_lo, exec_lo, s20
	s_waitcnt vmcnt(0)
	;;#ASMSTART
	v_pk_mul_f16 v1, v46, v1;

	;;#ASMEND
	;;#ASMSTART
	v_pk_mul_f16 v2, v44, v2;

	;;#ASMEND
	;; [unrolled: 4-line block ×4, first 2 shown]
	;;#ASMSTART
	v_pk_add_f16 v1, v1, v2;

	;;#ASMEND
	;;#ASMSTART
	v_pk_add_f16 v1, v1, v3;

	;;#ASMEND
	;; [unrolled: 4-line block ×3, first 2 shown]
	v_lshrrev_b32_e32 v3, 16, v1
	v_and_b32_e32 v4, 0xffff, v1
	v_add_co_u32 v1, s0, v52, v36
	s_delay_alu instid0(VALU_DEP_1)
	v_add_co_ci_u32_e64 v2, s0, 0, v53, s0
	;;#ASMSTART
	v_cvt_f32_f16 v77, v4;
	;;#ASMEND
	;;#ASMSTART
	v_cvt_f32_f16 v78, v3;
	;;#ASMEND
	global_load_b128 v[1:4], v[1:2], off
	s_and_saveexec_b32 s20, vcc_lo
	s_cbranch_execz .LBB127_57
; %bb.56:                               ;   in Loop: Header=BB127_29 Depth=1
	v_cmp_gt_i32_e64 s0, s11, v51
	s_waitcnt vmcnt(0)
	v_lshrrev_b32_e32 v79, 16, v4
	v_lshrrev_b32_e32 v80, 16, v3
	;; [unrolled: 1-line block ×4, first 2 shown]
	v_cndmask_b32_e64 v4, 0, v4, s0
	v_cmp_gt_i32_e64 s0, s15, v50
	s_delay_alu instid0(VALU_DEP_1) | instskip(SKIP_1) | instid1(VALU_DEP_2)
	v_cndmask_b32_e64 v79, 0, v79, s0
	v_cmp_gt_i32_e64 s0, s10, v49
	v_perm_b32 v4, v79, v4, 0x5040100
	s_delay_alu instid0(VALU_DEP_2) | instskip(SKIP_1) | instid1(VALU_DEP_1)
	v_cndmask_b32_e64 v80, 0, v80, s0
	v_cmp_gt_i32_e64 s0, s9, v48
	v_cndmask_b32_e64 v3, 0, v3, s0
	v_cmp_gt_i32_e64 s0, s8, v42
	s_delay_alu instid0(VALU_DEP_2) | instskip(NEXT) | instid1(VALU_DEP_2)
	v_perm_b32 v3, v80, v3, 0x5040100
	v_cndmask_b32_e64 v81, 0, v81, s0
	v_cmp_gt_i32_e64 s0, s7, v40
	s_delay_alu instid0(VALU_DEP_1) | instskip(SKIP_1) | instid1(VALU_DEP_2)
	v_cndmask_b32_e64 v2, 0, v2, s0
	v_cmp_gt_i32_e64 s0, s6, v39
	v_perm_b32 v2, v81, v2, 0x5040100
	s_delay_alu instid0(VALU_DEP_2) | instskip(SKIP_1) | instid1(VALU_DEP_1)
	v_cndmask_b32_e64 v82, 0, v82, s0
	v_cmp_gt_i32_e64 s0, s28, v28
	v_cndmask_b32_e64 v1, 0, v1, s0
	s_delay_alu instid0(VALU_DEP_1)
	v_perm_b32 v1, v82, v1, 0x5040100
.LBB127_57:                             ;   in Loop: Header=BB127_29 Depth=1
	s_or_b32 exec_lo, exec_lo, s20
	s_waitcnt vmcnt(0)
	;;#ASMSTART
	v_pk_mul_f16 v1, v46, v1;

	;;#ASMEND
	;;#ASMSTART
	v_pk_mul_f16 v2, v44, v2;

	;;#ASMEND
	;; [unrolled: 4-line block ×4, first 2 shown]
	;;#ASMSTART
	v_pk_add_f16 v1, v1, v2;

	;;#ASMEND
	;;#ASMSTART
	v_pk_add_f16 v1, v1, v3;

	;;#ASMEND
	;; [unrolled: 4-line block ×3, first 2 shown]
	v_lshrrev_b32_e32 v3, 16, v1
	v_and_b32_e32 v4, 0xffff, v1
	v_add_co_u32 v1, s0, v52, v37
	s_delay_alu instid0(VALU_DEP_1)
	v_add_co_ci_u32_e64 v2, s0, 0, v53, s0
	;;#ASMSTART
	v_cvt_f32_f16 v79, v4;
	;;#ASMEND
	;;#ASMSTART
	v_cvt_f32_f16 v80, v3;
	;;#ASMEND
	global_load_b128 v[1:4], v[1:2], off
	s_and_saveexec_b32 s20, vcc_lo
	s_cbranch_execz .LBB127_59
; %bb.58:                               ;   in Loop: Header=BB127_29 Depth=1
	v_cmp_gt_i32_e64 s0, s11, v51
	s_waitcnt vmcnt(0)
	v_lshrrev_b32_e32 v81, 16, v4
	v_lshrrev_b32_e32 v82, 16, v3
	;; [unrolled: 1-line block ×4, first 2 shown]
	v_cndmask_b32_e64 v4, 0, v4, s0
	v_cmp_gt_i32_e64 s0, s15, v50
	s_delay_alu instid0(VALU_DEP_1) | instskip(SKIP_1) | instid1(VALU_DEP_2)
	v_cndmask_b32_e64 v81, 0, v81, s0
	v_cmp_gt_i32_e64 s0, s10, v49
	v_perm_b32 v4, v81, v4, 0x5040100
	s_delay_alu instid0(VALU_DEP_2) | instskip(SKIP_1) | instid1(VALU_DEP_1)
	v_cndmask_b32_e64 v82, 0, v82, s0
	v_cmp_gt_i32_e64 s0, s9, v48
	v_cndmask_b32_e64 v3, 0, v3, s0
	v_cmp_gt_i32_e64 s0, s8, v42
	s_delay_alu instid0(VALU_DEP_2) | instskip(NEXT) | instid1(VALU_DEP_2)
	v_perm_b32 v3, v82, v3, 0x5040100
	v_cndmask_b32_e64 v83, 0, v83, s0
	v_cmp_gt_i32_e64 s0, s7, v40
	s_delay_alu instid0(VALU_DEP_1) | instskip(SKIP_1) | instid1(VALU_DEP_2)
	v_cndmask_b32_e64 v2, 0, v2, s0
	v_cmp_gt_i32_e64 s0, s6, v39
	v_perm_b32 v2, v83, v2, 0x5040100
	s_delay_alu instid0(VALU_DEP_2) | instskip(SKIP_1) | instid1(VALU_DEP_1)
	v_cndmask_b32_e64 v84, 0, v84, s0
	v_cmp_gt_i32_e64 s0, s28, v28
	v_cndmask_b32_e64 v1, 0, v1, s0
	s_delay_alu instid0(VALU_DEP_1)
	v_perm_b32 v1, v84, v1, 0x5040100
.LBB127_59:                             ;   in Loop: Header=BB127_29 Depth=1
	s_or_b32 exec_lo, exec_lo, s20
	s_waitcnt vmcnt(0)
	;;#ASMSTART
	v_pk_mul_f16 v1, v46, v1;

	;;#ASMEND
	;;#ASMSTART
	v_pk_mul_f16 v2, v44, v2;

	;;#ASMEND
	;; [unrolled: 4-line block ×4, first 2 shown]
	;;#ASMSTART
	v_pk_add_f16 v1, v1, v2;

	;;#ASMEND
	;;#ASMSTART
	v_pk_add_f16 v1, v1, v3;

	;;#ASMEND
	;; [unrolled: 4-line block ×3, first 2 shown]
	v_lshrrev_b32_e32 v3, 16, v1
	v_and_b32_e32 v4, 0xffff, v1
	v_add_co_u32 v1, s0, v52, v38
	s_delay_alu instid0(VALU_DEP_1)
	v_add_co_ci_u32_e64 v2, s0, 0, v53, s0
	;;#ASMSTART
	v_cvt_f32_f16 v52, v4;
	;;#ASMEND
	;;#ASMSTART
	v_cvt_f32_f16 v53, v3;
	;;#ASMEND
	global_load_b128 v[1:4], v[1:2], off
	s_and_saveexec_b32 s0, vcc_lo
	s_cbranch_execz .LBB127_28
; %bb.60:                               ;   in Loop: Header=BB127_29 Depth=1
	v_cmp_gt_i32_e32 vcc_lo, s11, v51
	s_waitcnt vmcnt(0)
	v_lshrrev_b32_e32 v81, 16, v4
	v_lshrrev_b32_e32 v82, 16, v3
	;; [unrolled: 1-line block ×3, first 2 shown]
	v_cndmask_b32_e32 v4, 0, v4, vcc_lo
	v_cmp_gt_i32_e32 vcc_lo, s15, v50
	v_cndmask_b32_e32 v50, 0, v81, vcc_lo
	v_cmp_gt_i32_e32 vcc_lo, s10, v49
	;; [unrolled: 2-line block ×3, first 2 shown]
	v_lshrrev_b32_e32 v48, 16, v1
	v_cndmask_b32_e32 v3, 0, v3, vcc_lo
	v_cmp_gt_i32_e32 vcc_lo, s8, v42
	v_perm_b32 v4, v50, v4, 0x5040100
	s_delay_alu instid0(VALU_DEP_3)
	v_perm_b32 v3, v49, v3, 0x5040100
	v_cndmask_b32_e32 v42, 0, v51, vcc_lo
	v_cmp_gt_i32_e32 vcc_lo, s7, v40
	v_cndmask_b32_e32 v2, 0, v2, vcc_lo
	v_cmp_gt_i32_e32 vcc_lo, s6, v39
	;; [unrolled: 2-line block ×3, first 2 shown]
	v_cndmask_b32_e32 v1, 0, v1, vcc_lo
	v_perm_b32 v2, v42, v2, 0x5040100
	s_delay_alu instid0(VALU_DEP_2)
	v_perm_b32 v1, v39, v1, 0x5040100
	s_branch .LBB127_28
.LBB127_61:
	s_or_b32 exec_lo, exec_lo, s13
.LBB127_62:
	s_delay_alu instid0(SALU_CYCLE_1)
	s_or_b32 exec_lo, exec_lo, s1
	ds_bpermute_b32 v1, v10, v25
	ds_bpermute_b32 v2, v10, v27
	;; [unrolled: 1-line block ×16, first 2 shown]
	s_mov_b32 s0, exec_lo
	s_waitcnt lgkmcnt(0)
	s_waitcnt_vscnt null, 0x0
	s_barrier
	buffer_gl0_inv
	v_dual_add_f32 v1, v25, v1 :: v_dual_add_f32 v2, v27, v2
	v_dual_add_f32 v3, v26, v3 :: v_dual_add_f32 v4, v24, v4
	;; [unrolled: 1-line block ×3, first 2 shown]
	ds_bpermute_b32 v23, v9, v2
	ds_bpermute_b32 v24, v9, v3
	v_dual_add_f32 v7, v21, v7 :: v_dual_add_f32 v8, v20, v8
	v_dual_add_f32 v19, v19, v28 :: v_dual_add_f32 v18, v18, v29
	;; [unrolled: 1-line block ×4, first 2 shown]
	v_add_f32_e32 v34, v13, v34
	v_add_f32_e32 v37, v12, v10
	ds_bpermute_b32 v22, v9, v1
	ds_bpermute_b32 v25, v9, v4
	ds_bpermute_b32 v21, v9, v5
	ds_bpermute_b32 v26, v9, v6
	ds_bpermute_b32 v20, v9, v7
	ds_bpermute_b32 v28, v9, v8
	ds_bpermute_b32 v29, v9, v19
	ds_bpermute_b32 v31, v9, v18
	s_waitcnt lgkmcnt(9)
	v_add_f32_e32 v16, v2, v23
	ds_bpermute_b32 v35, v9, v27
	ds_bpermute_b32 v36, v9, v30
	;; [unrolled: 1-line block ×5, first 2 shown]
	s_waitcnt lgkmcnt(13)
	v_add_f32_e32 v15, v3, v24
	ds_bpermute_b32 v40, v9, v34
	s_waitcnt lgkmcnt(12)
	v_dual_add_f32 v17, v1, v22 :: v_dual_add_f32 v14, v4, v25
	s_waitcnt lgkmcnt(10)
	v_dual_add_f32 v13, v5, v21 :: v_dual_add_f32 v12, v6, v26
	s_waitcnt lgkmcnt(9)
	v_add_f32_e32 v10, v7, v20
	s_waitcnt lgkmcnt(7)
	v_dual_add_f32 v9, v8, v28 :: v_dual_add_f32 v8, v19, v29
	s_waitcnt lgkmcnt(6)
	v_dual_add_f32 v7, v18, v31 :: v_dual_and_b32 v20, 0x3c3, v0
	s_waitcnt lgkmcnt(5)
	v_add_f32_e32 v6, v27, v35
	s_waitcnt lgkmcnt(4)
	v_add_f32_e32 v4, v30, v36
	s_waitcnt lgkmcnt(2)
	v_dual_add_f32 v2, v32, v38 :: v_dual_add_f32 v1, v33, v39
	s_waitcnt lgkmcnt(1)
	v_add_f32_e32 v3, v37, v41
	v_lshrrev_b32_e32 v18, 2, v66
	s_waitcnt lgkmcnt(0)
	v_add_f32_e32 v5, v34, v40
	v_lshl_add_u32 v19, v65, 9, 0x120
	v_cmpx_eq_u32_e32 64, v20
	s_cbranch_execz .LBB127_64
; %bb.63:
	v_lshlrev_b32_e32 v20, 2, v18
	s_delay_alu instid0(VALU_DEP_1)
	v_add3_u32 v20, v19, v20, 0xfffffc00
	ds_store_2addr_b32 v20, v17, v16 offset1:8
	ds_store_2addr_b32 v20, v15, v14 offset0:16 offset1:24
	ds_store_2addr_b32 v20, v13, v12 offset0:32 offset1:40
	;; [unrolled: 1-line block ×7, first 2 shown]
.LBB127_64:
	s_or_b32 exec_lo, exec_lo, s0
	v_cmp_eq_u32_e32 vcc_lo, 0, v11
	s_mov_b32 s1, exec_lo
	s_waitcnt lgkmcnt(0)
	s_barrier
	buffer_gl0_inv
	v_cmpx_gt_u32_e32 64, v0
	s_cbranch_execz .LBB127_83
; %bb.65:
	s_and_saveexec_b32 s0, vcc_lo
	s_cbranch_execnz .LBB127_107
; %bb.66:
	s_or_b32 exec_lo, exec_lo, s0
	s_and_saveexec_b32 s0, vcc_lo
	s_cbranch_execnz .LBB127_108
.LBB127_67:
	s_or_b32 exec_lo, exec_lo, s0
	s_and_saveexec_b32 s0, vcc_lo
	s_cbranch_execnz .LBB127_109
.LBB127_68:
	s_or_b32 exec_lo, exec_lo, s0
	s_and_saveexec_b32 s0, vcc_lo
	s_cbranch_execnz .LBB127_110
.LBB127_69:
	s_or_b32 exec_lo, exec_lo, s0
	s_and_saveexec_b32 s0, vcc_lo
	s_cbranch_execnz .LBB127_111
.LBB127_70:
	s_or_b32 exec_lo, exec_lo, s0
	s_and_saveexec_b32 s0, vcc_lo
	s_cbranch_execnz .LBB127_112
.LBB127_71:
	s_or_b32 exec_lo, exec_lo, s0
	s_and_saveexec_b32 s0, vcc_lo
	s_cbranch_execnz .LBB127_113
.LBB127_72:
	s_or_b32 exec_lo, exec_lo, s0
	s_and_saveexec_b32 s0, vcc_lo
	s_cbranch_execnz .LBB127_114
.LBB127_73:
	s_or_b32 exec_lo, exec_lo, s0
	s_and_saveexec_b32 s0, vcc_lo
	s_cbranch_execnz .LBB127_115
.LBB127_74:
	s_or_b32 exec_lo, exec_lo, s0
	s_and_saveexec_b32 s0, vcc_lo
	s_cbranch_execnz .LBB127_116
.LBB127_75:
	s_or_b32 exec_lo, exec_lo, s0
	s_and_saveexec_b32 s0, vcc_lo
	s_cbranch_execnz .LBB127_117
.LBB127_76:
	s_or_b32 exec_lo, exec_lo, s0
	s_and_saveexec_b32 s0, vcc_lo
	s_cbranch_execnz .LBB127_118
.LBB127_77:
	s_or_b32 exec_lo, exec_lo, s0
	s_and_saveexec_b32 s0, vcc_lo
	s_cbranch_execnz .LBB127_119
.LBB127_78:
	s_or_b32 exec_lo, exec_lo, s0
	s_and_saveexec_b32 s0, vcc_lo
	s_cbranch_execnz .LBB127_120
.LBB127_79:
	s_or_b32 exec_lo, exec_lo, s0
	s_and_saveexec_b32 s0, vcc_lo
	s_cbranch_execnz .LBB127_121
.LBB127_80:
	s_or_b32 exec_lo, exec_lo, s0
	s_and_saveexec_b32 s0, vcc_lo
	s_cbranch_execz .LBB127_82
.LBB127_81:
	v_lshl_add_u32 v11, v18, 2, v19
	ds_load_b32 v11, v11 offset:480
	s_waitcnt lgkmcnt(0)
	v_add_f32_e32 v3, v3, v11
.LBB127_82:
	s_or_b32 exec_lo, exec_lo, s0
.LBB127_83:
	s_delay_alu instid0(SALU_CYCLE_1)
	s_or_b32 exec_lo, exec_lo, s1
	v_and_b32_e32 v11, 0x3e3, v0
	s_mov_b32 s1, exec_lo
	s_barrier
	buffer_gl0_inv
	v_cmpx_eq_u32_e32 32, v11
	s_cbranch_execz .LBB127_85
; %bb.84:
	v_lshl_add_u32 v20, v18, 2, 0x120
	ds_store_2addr_b32 v20, v17, v16 offset1:8
	ds_store_2addr_b32 v20, v15, v14 offset0:16 offset1:24
	ds_store_2addr_b32 v20, v13, v12 offset0:32 offset1:40
	;; [unrolled: 1-line block ×7, first 2 shown]
.LBB127_85:
	s_or_b32 exec_lo, exec_lo, s1
	s_delay_alu instid0(SALU_CYCLE_1)
	s_mov_b32 s1, exec_lo
	s_waitcnt lgkmcnt(0)
	s_barrier
	buffer_gl0_inv
	v_cmpx_gt_u32_e32 32, v0
	s_cbranch_execz .LBB127_104
; %bb.86:
	v_lshl_add_u32 v18, v18, 2, v19
	s_and_saveexec_b32 s0, vcc_lo
	s_cbranch_execnz .LBB127_122
; %bb.87:
	s_or_b32 exec_lo, exec_lo, s0
	s_and_saveexec_b32 s0, vcc_lo
	s_cbranch_execnz .LBB127_123
.LBB127_88:
	s_or_b32 exec_lo, exec_lo, s0
	s_and_saveexec_b32 s0, vcc_lo
	s_cbranch_execnz .LBB127_124
.LBB127_89:
	s_or_b32 exec_lo, exec_lo, s0
	s_and_saveexec_b32 s0, vcc_lo
	s_cbranch_execnz .LBB127_125
.LBB127_90:
	s_or_b32 exec_lo, exec_lo, s0
	s_and_saveexec_b32 s0, vcc_lo
	s_cbranch_execnz .LBB127_126
.LBB127_91:
	s_or_b32 exec_lo, exec_lo, s0
	s_and_saveexec_b32 s0, vcc_lo
	s_cbranch_execnz .LBB127_127
.LBB127_92:
	s_or_b32 exec_lo, exec_lo, s0
	s_and_saveexec_b32 s0, vcc_lo
	s_cbranch_execnz .LBB127_128
.LBB127_93:
	s_or_b32 exec_lo, exec_lo, s0
	s_and_saveexec_b32 s0, vcc_lo
	s_cbranch_execnz .LBB127_129
.LBB127_94:
	s_or_b32 exec_lo, exec_lo, s0
	s_and_saveexec_b32 s0, vcc_lo
	s_cbranch_execnz .LBB127_130
.LBB127_95:
	s_or_b32 exec_lo, exec_lo, s0
	s_and_saveexec_b32 s0, vcc_lo
	s_cbranch_execnz .LBB127_131
.LBB127_96:
	s_or_b32 exec_lo, exec_lo, s0
	s_and_saveexec_b32 s0, vcc_lo
	s_cbranch_execnz .LBB127_132
.LBB127_97:
	s_or_b32 exec_lo, exec_lo, s0
	s_and_saveexec_b32 s0, vcc_lo
	s_cbranch_execnz .LBB127_133
.LBB127_98:
	s_or_b32 exec_lo, exec_lo, s0
	s_and_saveexec_b32 s0, vcc_lo
	s_cbranch_execnz .LBB127_134
.LBB127_99:
	s_or_b32 exec_lo, exec_lo, s0
	s_and_saveexec_b32 s0, vcc_lo
	s_cbranch_execnz .LBB127_135
.LBB127_100:
	s_or_b32 exec_lo, exec_lo, s0
	s_and_saveexec_b32 s0, vcc_lo
	s_cbranch_execnz .LBB127_136
.LBB127_101:
	s_or_b32 exec_lo, exec_lo, s0
	s_and_saveexec_b32 s0, vcc_lo
	s_cbranch_execz .LBB127_103
.LBB127_102:
	ds_load_b32 v18, v18 offset:480
	s_waitcnt lgkmcnt(0)
	v_add_f32_e32 v3, v3, v18
.LBB127_103:
	s_or_b32 exec_lo, exec_lo, s0
.LBB127_104:
	s_delay_alu instid0(SALU_CYCLE_1)
	s_or_b32 exec_lo, exec_lo, s1
	s_barrier
	buffer_gl0_inv
	s_mov_b32 s0, exec_lo
	v_cmpx_eq_u32_e32 0, v11
	s_cbranch_execz .LBB127_106
; %bb.105:
	s_lshl_b32 s0, s14, 7
	s_mul_i32 s2, s4, s16
	s_ashr_i32 s1, s0, 31
	v_lshrrev_b32_e32 v0, 1, v0
	s_lshl_b64 s[0:1], s[0:1], 1
	;;#ASMSTART
	v_cvt_f16_f32 v11, v17;

	;;#ASMEND
	s_add_u32 s4, s18, s0
	s_addc_u32 s5, s19, s1
	s_ashr_i32 s3, s2, 31
	s_delay_alu instid0(SALU_CYCLE_1) | instskip(NEXT) | instid1(SALU_CYCLE_1)
	s_lshl_b64 s[0:1], s[2:3], 1
	s_add_u32 s2, s4, s0
	s_addc_u32 s3, s5, s1
	s_lshl_b32 s0, s12, 7
	s_delay_alu instid0(SALU_CYCLE_1) | instskip(NEXT) | instid1(SALU_CYCLE_1)
	s_ashr_i32 s1, s0, 31
	s_lshl_b64 s[0:1], s[0:1], 1
	s_delay_alu instid0(SALU_CYCLE_1)
	s_add_u32 s0, s2, s0
	s_addc_u32 s1, s3, s1
	global_store_b16 v0, v11, s[0:1]
	;;#ASMSTART
	v_cvt_f16_f32 v11, v16;

	;;#ASMEND
	global_store_b16 v0, v11, s[0:1] offset:16
	;;#ASMSTART
	v_cvt_f16_f32 v11, v15;

	;;#ASMEND
	global_store_b16 v0, v11, s[0:1] offset:32
	;; [unrolled: 5-line block ×15, first 2 shown]
.LBB127_106:
	s_nop 0
	s_sendmsg sendmsg(MSG_DEALLOC_VGPRS)
	s_endpgm
.LBB127_107:
	v_lshl_add_u32 v11, v18, 2, v19
	ds_load_b32 v11, v11
	s_waitcnt lgkmcnt(0)
	v_add_f32_e32 v17, v17, v11
	s_or_b32 exec_lo, exec_lo, s0
	s_and_saveexec_b32 s0, vcc_lo
	s_cbranch_execz .LBB127_67
.LBB127_108:
	v_lshl_add_u32 v11, v18, 2, v19
	ds_load_b32 v11, v11 offset:32
	s_waitcnt lgkmcnt(0)
	v_add_f32_e32 v16, v16, v11
	s_or_b32 exec_lo, exec_lo, s0
	s_and_saveexec_b32 s0, vcc_lo
	s_cbranch_execz .LBB127_68
.LBB127_109:
	v_lshl_add_u32 v11, v18, 2, v19
	ds_load_b32 v11, v11 offset:64
	s_waitcnt lgkmcnt(0)
	v_add_f32_e32 v15, v15, v11
	s_or_b32 exec_lo, exec_lo, s0
	s_and_saveexec_b32 s0, vcc_lo
	s_cbranch_execz .LBB127_69
.LBB127_110:
	v_lshl_add_u32 v11, v18, 2, v19
	ds_load_b32 v11, v11 offset:96
	s_waitcnt lgkmcnt(0)
	v_add_f32_e32 v14, v14, v11
	s_or_b32 exec_lo, exec_lo, s0
	s_and_saveexec_b32 s0, vcc_lo
	s_cbranch_execz .LBB127_70
.LBB127_111:
	v_lshl_add_u32 v11, v18, 2, v19
	ds_load_b32 v11, v11 offset:128
	s_waitcnt lgkmcnt(0)
	v_add_f32_e32 v13, v13, v11
	s_or_b32 exec_lo, exec_lo, s0
	s_and_saveexec_b32 s0, vcc_lo
	s_cbranch_execz .LBB127_71
.LBB127_112:
	v_lshl_add_u32 v11, v18, 2, v19
	ds_load_b32 v11, v11 offset:160
	s_waitcnt lgkmcnt(0)
	v_add_f32_e32 v12, v12, v11
	s_or_b32 exec_lo, exec_lo, s0
	s_and_saveexec_b32 s0, vcc_lo
	s_cbranch_execz .LBB127_72
.LBB127_113:
	v_lshl_add_u32 v11, v18, 2, v19
	ds_load_b32 v11, v11 offset:192
	s_waitcnt lgkmcnt(0)
	v_add_f32_e32 v10, v10, v11
	s_or_b32 exec_lo, exec_lo, s0
	s_and_saveexec_b32 s0, vcc_lo
	s_cbranch_execz .LBB127_73
.LBB127_114:
	v_lshl_add_u32 v11, v18, 2, v19
	ds_load_b32 v11, v11 offset:224
	s_waitcnt lgkmcnt(0)
	v_add_f32_e32 v9, v9, v11
	s_or_b32 exec_lo, exec_lo, s0
	s_and_saveexec_b32 s0, vcc_lo
	s_cbranch_execz .LBB127_74
.LBB127_115:
	v_lshl_add_u32 v11, v18, 2, v19
	ds_load_b32 v11, v11 offset:256
	s_waitcnt lgkmcnt(0)
	v_add_f32_e32 v8, v8, v11
	s_or_b32 exec_lo, exec_lo, s0
	s_and_saveexec_b32 s0, vcc_lo
	s_cbranch_execz .LBB127_75
.LBB127_116:
	v_lshl_add_u32 v11, v18, 2, v19
	ds_load_b32 v11, v11 offset:288
	s_waitcnt lgkmcnt(0)
	v_add_f32_e32 v7, v7, v11
	s_or_b32 exec_lo, exec_lo, s0
	s_and_saveexec_b32 s0, vcc_lo
	s_cbranch_execz .LBB127_76
.LBB127_117:
	v_lshl_add_u32 v11, v18, 2, v19
	ds_load_b32 v11, v11 offset:320
	s_waitcnt lgkmcnt(0)
	v_add_f32_e32 v6, v6, v11
	s_or_b32 exec_lo, exec_lo, s0
	s_and_saveexec_b32 s0, vcc_lo
	s_cbranch_execz .LBB127_77
.LBB127_118:
	v_lshl_add_u32 v11, v18, 2, v19
	ds_load_b32 v11, v11 offset:352
	s_waitcnt lgkmcnt(0)
	v_add_f32_e32 v4, v4, v11
	s_or_b32 exec_lo, exec_lo, s0
	s_and_saveexec_b32 s0, vcc_lo
	s_cbranch_execz .LBB127_78
.LBB127_119:
	v_lshl_add_u32 v11, v18, 2, v19
	ds_load_b32 v11, v11 offset:384
	s_waitcnt lgkmcnt(0)
	v_add_f32_e32 v2, v2, v11
	s_or_b32 exec_lo, exec_lo, s0
	s_and_saveexec_b32 s0, vcc_lo
	s_cbranch_execz .LBB127_79
.LBB127_120:
	v_lshl_add_u32 v11, v18, 2, v19
	ds_load_b32 v11, v11 offset:416
	s_waitcnt lgkmcnt(0)
	v_add_f32_e32 v1, v1, v11
	s_or_b32 exec_lo, exec_lo, s0
	s_and_saveexec_b32 s0, vcc_lo
	s_cbranch_execz .LBB127_80
.LBB127_121:
	v_lshl_add_u32 v11, v18, 2, v19
	ds_load_b32 v11, v11 offset:448
	s_waitcnt lgkmcnt(0)
	v_add_f32_e32 v5, v5, v11
	s_or_b32 exec_lo, exec_lo, s0
	s_and_saveexec_b32 s0, vcc_lo
	s_cbranch_execnz .LBB127_81
	s_branch .LBB127_82
.LBB127_122:
	ds_load_b32 v19, v18
	s_waitcnt lgkmcnt(0)
	v_add_f32_e32 v17, v17, v19
	s_or_b32 exec_lo, exec_lo, s0
	s_and_saveexec_b32 s0, vcc_lo
	s_cbranch_execz .LBB127_88
.LBB127_123:
	ds_load_b32 v19, v18 offset:32
	s_waitcnt lgkmcnt(0)
	v_add_f32_e32 v16, v16, v19
	s_or_b32 exec_lo, exec_lo, s0
	s_and_saveexec_b32 s0, vcc_lo
	s_cbranch_execz .LBB127_89
.LBB127_124:
	ds_load_b32 v19, v18 offset:64
	s_waitcnt lgkmcnt(0)
	v_add_f32_e32 v15, v15, v19
	s_or_b32 exec_lo, exec_lo, s0
	s_and_saveexec_b32 s0, vcc_lo
	s_cbranch_execz .LBB127_90
.LBB127_125:
	ds_load_b32 v19, v18 offset:96
	s_waitcnt lgkmcnt(0)
	v_add_f32_e32 v14, v14, v19
	s_or_b32 exec_lo, exec_lo, s0
	s_and_saveexec_b32 s0, vcc_lo
	s_cbranch_execz .LBB127_91
.LBB127_126:
	ds_load_b32 v19, v18 offset:128
	s_waitcnt lgkmcnt(0)
	v_add_f32_e32 v13, v13, v19
	s_or_b32 exec_lo, exec_lo, s0
	s_and_saveexec_b32 s0, vcc_lo
	s_cbranch_execz .LBB127_92
.LBB127_127:
	ds_load_b32 v19, v18 offset:160
	s_waitcnt lgkmcnt(0)
	v_add_f32_e32 v12, v12, v19
	s_or_b32 exec_lo, exec_lo, s0
	s_and_saveexec_b32 s0, vcc_lo
	s_cbranch_execz .LBB127_93
.LBB127_128:
	ds_load_b32 v19, v18 offset:192
	s_waitcnt lgkmcnt(0)
	v_add_f32_e32 v10, v10, v19
	s_or_b32 exec_lo, exec_lo, s0
	s_and_saveexec_b32 s0, vcc_lo
	s_cbranch_execz .LBB127_94
.LBB127_129:
	ds_load_b32 v19, v18 offset:224
	s_waitcnt lgkmcnt(0)
	v_add_f32_e32 v9, v9, v19
	s_or_b32 exec_lo, exec_lo, s0
	s_and_saveexec_b32 s0, vcc_lo
	s_cbranch_execz .LBB127_95
.LBB127_130:
	ds_load_b32 v19, v18 offset:256
	s_waitcnt lgkmcnt(0)
	v_add_f32_e32 v8, v8, v19
	s_or_b32 exec_lo, exec_lo, s0
	s_and_saveexec_b32 s0, vcc_lo
	s_cbranch_execz .LBB127_96
.LBB127_131:
	ds_load_b32 v19, v18 offset:288
	s_waitcnt lgkmcnt(0)
	v_add_f32_e32 v7, v7, v19
	s_or_b32 exec_lo, exec_lo, s0
	s_and_saveexec_b32 s0, vcc_lo
	s_cbranch_execz .LBB127_97
.LBB127_132:
	ds_load_b32 v19, v18 offset:320
	s_waitcnt lgkmcnt(0)
	v_add_f32_e32 v6, v6, v19
	s_or_b32 exec_lo, exec_lo, s0
	s_and_saveexec_b32 s0, vcc_lo
	s_cbranch_execz .LBB127_98
.LBB127_133:
	ds_load_b32 v19, v18 offset:352
	s_waitcnt lgkmcnt(0)
	v_add_f32_e32 v4, v4, v19
	s_or_b32 exec_lo, exec_lo, s0
	s_and_saveexec_b32 s0, vcc_lo
	s_cbranch_execz .LBB127_99
.LBB127_134:
	ds_load_b32 v19, v18 offset:384
	s_waitcnt lgkmcnt(0)
	v_add_f32_e32 v2, v2, v19
	s_or_b32 exec_lo, exec_lo, s0
	s_and_saveexec_b32 s0, vcc_lo
	s_cbranch_execz .LBB127_100
.LBB127_135:
	ds_load_b32 v19, v18 offset:416
	s_waitcnt lgkmcnt(0)
	v_add_f32_e32 v1, v1, v19
	s_or_b32 exec_lo, exec_lo, s0
	s_and_saveexec_b32 s0, vcc_lo
	s_cbranch_execz .LBB127_101
.LBB127_136:
	ds_load_b32 v19, v18 offset:448
	s_waitcnt lgkmcnt(0)
	v_add_f32_e32 v5, v5, v19
	s_or_b32 exec_lo, exec_lo, s0
	s_and_saveexec_b32 s0, vcc_lo
	s_cbranch_execnz .LBB127_102
	s_branch .LBB127_103
	.section	.rodata,"a",@progbits
	.p2align	6, 0x0
	.amdhsa_kernel _ZN4vllm25paged_attention_v2_kernelIttLi128ELi32ELi128ELNS_18Fp8KVCacheDataTypeE0ELb0ELi512EEEvPfS2_PT_PKS3_PKT0_S9_ifPKiSB_iPKfiiiSD_SD_iiiii
		.amdhsa_group_segment_fixed_size 288
		.amdhsa_private_segment_fixed_size 0
		.amdhsa_kernarg_size 400
		.amdhsa_user_sgpr_count 13
		.amdhsa_user_sgpr_dispatch_ptr 0
		.amdhsa_user_sgpr_queue_ptr 0
		.amdhsa_user_sgpr_kernarg_segment_ptr 1
		.amdhsa_user_sgpr_dispatch_id 0
		.amdhsa_user_sgpr_private_segment_size 0
		.amdhsa_wavefront_size32 1
		.amdhsa_uses_dynamic_stack 0
		.amdhsa_enable_private_segment 0
		.amdhsa_system_sgpr_workgroup_id_x 1
		.amdhsa_system_sgpr_workgroup_id_y 1
		.amdhsa_system_sgpr_workgroup_id_z 1
		.amdhsa_system_sgpr_workgroup_info 0
		.amdhsa_system_vgpr_workitem_id 0
		.amdhsa_next_free_vgpr 99
		.amdhsa_next_free_sgpr 38
		.amdhsa_reserve_vcc 1
		.amdhsa_float_round_mode_32 0
		.amdhsa_float_round_mode_16_64 0
		.amdhsa_float_denorm_mode_32 3
		.amdhsa_float_denorm_mode_16_64 3
		.amdhsa_dx10_clamp 1
		.amdhsa_ieee_mode 1
		.amdhsa_fp16_overflow 0
		.amdhsa_workgroup_processor_mode 1
		.amdhsa_memory_ordered 1
		.amdhsa_forward_progress 0
		.amdhsa_shared_vgpr_count 0
		.amdhsa_exception_fp_ieee_invalid_op 0
		.amdhsa_exception_fp_denorm_src 0
		.amdhsa_exception_fp_ieee_div_zero 0
		.amdhsa_exception_fp_ieee_overflow 0
		.amdhsa_exception_fp_ieee_underflow 0
		.amdhsa_exception_fp_ieee_inexact 0
		.amdhsa_exception_int_div_zero 0
	.end_amdhsa_kernel
	.section	.text._ZN4vllm25paged_attention_v2_kernelIttLi128ELi32ELi128ELNS_18Fp8KVCacheDataTypeE0ELb0ELi512EEEvPfS2_PT_PKS3_PKT0_S9_ifPKiSB_iPKfiiiSD_SD_iiiii,"axG",@progbits,_ZN4vllm25paged_attention_v2_kernelIttLi128ELi32ELi128ELNS_18Fp8KVCacheDataTypeE0ELb0ELi512EEEvPfS2_PT_PKS3_PKT0_S9_ifPKiSB_iPKfiiiSD_SD_iiiii,comdat
.Lfunc_end127:
	.size	_ZN4vllm25paged_attention_v2_kernelIttLi128ELi32ELi128ELNS_18Fp8KVCacheDataTypeE0ELb0ELi512EEEvPfS2_PT_PKS3_PKT0_S9_ifPKiSB_iPKfiiiSD_SD_iiiii, .Lfunc_end127-_ZN4vllm25paged_attention_v2_kernelIttLi128ELi32ELi128ELNS_18Fp8KVCacheDataTypeE0ELb0ELi512EEEvPfS2_PT_PKS3_PKT0_S9_ifPKiSB_iPKfiiiSD_SD_iiiii
                                        ; -- End function
	.section	.AMDGPU.csdata,"",@progbits
; Kernel info:
; codeLenInByte = 20520
; NumSgprs: 40
; NumVgprs: 99
; ScratchSize: 0
; MemoryBound: 0
; FloatMode: 240
; IeeeMode: 1
; LDSByteSize: 288 bytes/workgroup (compile time only)
; SGPRBlocks: 4
; VGPRBlocks: 12
; NumSGPRsForWavesPerEU: 40
; NumVGPRsForWavesPerEU: 99
; Occupancy: 12
; WaveLimiterHint : 1
; COMPUTE_PGM_RSRC2:SCRATCH_EN: 0
; COMPUTE_PGM_RSRC2:USER_SGPR: 13
; COMPUTE_PGM_RSRC2:TRAP_HANDLER: 0
; COMPUTE_PGM_RSRC2:TGID_X_EN: 1
; COMPUTE_PGM_RSRC2:TGID_Y_EN: 1
; COMPUTE_PGM_RSRC2:TGID_Z_EN: 1
; COMPUTE_PGM_RSRC2:TIDIG_COMP_CNT: 0
	.text
	.p2align	2                               ; -- Begin function _ZN4vllm22paged_attention_kernelIttLi192ELi32ELi128ELNS_18Fp8KVCacheDataTypeE0ELb0ELi512EEEvPfS2_PT_PKS3_PKT0_S9_ifPKiSB_iPKfiiiSD_SD_iiiii
	.type	_ZN4vllm22paged_attention_kernelIttLi192ELi32ELi128ELNS_18Fp8KVCacheDataTypeE0ELb0ELi512EEEvPfS2_PT_PKS3_PKT0_S9_ifPKiSB_iPKfiiiSD_SD_iiiii,@function
_ZN4vllm22paged_attention_kernelIttLi192ELi32ELi128ELNS_18Fp8KVCacheDataTypeE0ELb0ELi512EEEvPfS2_PT_PKS3_PKT0_S9_ifPKiSB_iPKfiiiSD_SD_iiiii: ; @_ZN4vllm22paged_attention_kernelIttLi192ELi32ELi128ELNS_18Fp8KVCacheDataTypeE0ELb0ELi512EEEvPfS2_PT_PKS3_PKT0_S9_ifPKiSB_iPKfiiiSD_SD_iiiii
; %bb.0:
	s_waitcnt vmcnt(0) expcnt(0) lgkmcnt(0)
	s_clause 0x1f
	scratch_store_b32 off, v40, s32 offset:156
	; meta instruction
	scratch_store_b32 off, v41, s32 offset:152
	; meta instruction
	;; [unrolled: 2-line block ×31, first 2 shown]
	scratch_store_b32 off, v95, s32 offset:32
	s_clause 0x7
	scratch_store_b32 off, v104, s32 offset:28
	; meta instruction
	scratch_store_b32 off, v105, s32 offset:24
	; meta instruction
	;; [unrolled: 2-line block ×7, first 2 shown]
	scratch_store_b32 off, v111, s32
	s_mov_b32 s10, s13
	s_ashr_i32 s11, s13, 31
	s_lshl_b32 s16, s14, 9
	s_lshl_b64 s[0:1], s[10:11], 2
	s_mov_b32 s11, exec_lo
	v_add_co_u32 v16, vcc_lo, v16, s0
	v_add_co_ci_u32_e32 v17, vcc_lo, s1, v17, vcc_lo
	flat_load_b32 v43, v[16:17]
	s_waitcnt vmcnt(0) lgkmcnt(0)
	v_cmpx_lt_i32_e64 s16, v43
	s_cbranch_execz .LBB128_140
; %bb.1:
	v_sub_nc_u32_e32 v16, 0, v12
	s_clause 0x1
	s_load_b32 s0, s[8:9], 0x10
	s_load_b32 s1, s[8:9], 0x0
	s_mov_b32 s6, s15
	v_mov_b32_e32 v56, 0
	v_max_i32_e32 v16, v12, v16
	s_delay_alu instid0(VALU_DEP_1) | instskip(SKIP_1) | instid1(VALU_DEP_2)
	v_cvt_f32_u32_e32 v17, v16
	v_sub_nc_u32_e32 v24, 0, v16
	v_rcp_iflag_f32_e32 v17, v17
	s_waitcnt lgkmcnt(0)
	s_lshr_b32 s0, s0, 16
	s_delay_alu instid0(SALU_CYCLE_1) | instskip(SKIP_3) | instid1(SALU_CYCLE_1)
	s_cmp_lg_u32 s0, 0
	s_waitcnt_depctr 0xfff
	v_mul_f32_e32 v17, 0x4f7ffffe, v17
	s_cselect_b32 s0, -1, 0
	s_cmp_lg_u32 s0, 0
	s_delay_alu instid0(VALU_DEP_1)
	v_cvt_u32_f32_e32 v17, v17
	s_addc_u32 s15, s1, 0
	s_mov_b32 s1, exec_lo
	s_abs_i32 s0, s15
	v_xor_b32_e32 v12, s15, v12
	v_mul_lo_u32 v24, v24, v17
	s_delay_alu instid0(VALU_DEP_2) | instskip(NEXT) | instid1(VALU_DEP_2)
	v_ashrrev_i32_e32 v12, 31, v12
	v_mul_hi_u32 v24, v17, v24
	s_delay_alu instid0(VALU_DEP_1) | instskip(NEXT) | instid1(VALU_DEP_1)
	v_add_nc_u32_e32 v17, v17, v24
	v_mul_hi_u32 v17, s0, v17
	s_delay_alu instid0(VALU_DEP_1) | instskip(SKIP_1) | instid1(VALU_DEP_2)
	v_mul_lo_u32 v24, v17, v16
	v_add_nc_u32_e32 v25, 1, v17
	v_sub_nc_u32_e32 v24, s0, v24
	s_abs_i32 s0, s12
	s_delay_alu instid0(VALU_DEP_1) | instskip(SKIP_1) | instid1(VALU_DEP_2)
	v_sub_nc_u32_e32 v26, v24, v16
	v_cmp_ge_u32_e32 vcc_lo, v24, v16
	v_dual_cndmask_b32 v17, v17, v25 :: v_dual_cndmask_b32 v24, v24, v26
	s_delay_alu instid0(VALU_DEP_1) | instskip(NEXT) | instid1(VALU_DEP_2)
	v_add_nc_u32_e32 v25, 1, v17
	v_cmp_ge_u32_e32 vcc_lo, v24, v16
	s_delay_alu instid0(VALU_DEP_2) | instskip(NEXT) | instid1(VALU_DEP_1)
	v_cndmask_b32_e32 v16, v17, v25, vcc_lo
	v_xor_b32_e32 v16, v16, v12
	s_delay_alu instid0(VALU_DEP_1) | instskip(NEXT) | instid1(VALU_DEP_1)
	v_sub_nc_u32_e32 v25, v16, v12
	v_sub_nc_u32_e32 v12, 0, v25
	s_delay_alu instid0(VALU_DEP_1) | instskip(NEXT) | instid1(VALU_DEP_1)
	v_max_i32_e32 v24, v25, v12
	v_cvt_f32_u32_e32 v12, v24
	v_sub_nc_u32_e32 v16, 0, v24
	s_delay_alu instid0(VALU_DEP_2) | instskip(SKIP_2) | instid1(VALU_DEP_1)
	v_rcp_iflag_f32_e32 v12, v12
	s_waitcnt_depctr 0xfff
	v_mul_f32_e32 v12, 0x4f7ffffe, v12
	v_cvt_u32_f32_e32 v12, v12
	s_delay_alu instid0(VALU_DEP_1) | instskip(NEXT) | instid1(VALU_DEP_1)
	v_mul_lo_u32 v16, v16, v12
	v_mul_hi_u32 v16, v12, v16
	s_delay_alu instid0(VALU_DEP_1) | instskip(NEXT) | instid1(VALU_DEP_1)
	v_add_nc_u32_e32 v12, v12, v16
	v_mad_u64_u32 v[16:17], null, s0, v12, 0
	v_cmpx_ne_u64_e32 0, v[19:20]
	s_cbranch_execz .LBB128_3
; %bb.2:
	s_ashr_i32 s13, s12, 31
	s_delay_alu instid0(SALU_CYCLE_1) | instskip(NEXT) | instid1(SALU_CYCLE_1)
	s_lshl_b64 s[2:3], s[12:13], 2
	v_add_co_u32 v19, vcc_lo, v19, s2
	v_add_co_ci_u32_e32 v20, vcc_lo, s3, v20, vcc_lo
	flat_load_b32 v56, v[19:20]
.LBB128_3:
	s_or_b32 exec_lo, exec_lo, s1
	v_and_b32_e32 v12, 0x3ff, v31
	v_ashrrev_i32_e32 v16, 31, v25
	s_ashr_i32 s1, s12, 31
	s_mul_i32 s4, s12, 0xc0
	s_mov_b32 s2, exec_lo
	v_cmpx_gt_u32_e32 24, v12
	s_cbranch_execz .LBB128_5
; %bb.4:
	v_mul_lo_u32 v19, s10, v21
	s_ashr_i32 s5, s4, 31
	v_lshlrev_b32_e32 v21, 4, v12
	s_lshl_b64 s[18:19], s[4:5], 1
	s_delay_alu instid0(VALU_DEP_2) | instskip(NEXT) | instid1(VALU_DEP_1)
	v_ashrrev_i32_e32 v20, 31, v19
	v_lshlrev_b64 v[19:20], 1, v[19:20]
	s_delay_alu instid0(VALU_DEP_1) | instskip(NEXT) | instid1(VALU_DEP_2)
	v_add_co_u32 v6, vcc_lo, v6, v19
	v_add_co_ci_u32_e32 v7, vcc_lo, v7, v20, vcc_lo
	s_delay_alu instid0(VALU_DEP_2) | instskip(NEXT) | instid1(VALU_DEP_2)
	v_add_co_u32 v6, vcc_lo, v6, s18
	v_add_co_ci_u32_e32 v7, vcc_lo, s19, v7, vcc_lo
	s_delay_alu instid0(VALU_DEP_2) | instskip(NEXT) | instid1(VALU_DEP_2)
	v_add_co_u32 v6, vcc_lo, v6, v21
	v_add_co_ci_u32_e32 v7, vcc_lo, 0, v7, vcc_lo
	flat_load_b128 v[25:28], v[6:7]
	s_waitcnt vmcnt(0) lgkmcnt(0)
	ds_store_b128 v21, v[25:28]
.LBB128_5:
	s_or_b32 exec_lo, exec_lo, s2
	v_mul_lo_u32 v6, v17, v24
	v_xor_b32_e32 v16, s1, v16
	s_lshl_b32 s2, s14, 4
	v_lshrrev_b32_e32 v41, 5, v12
	s_clause 0x1
	s_load_b32 s3, s[8:9], 0x14
	s_load_b32 s5, s[8:9], 0x8
	v_mov_b32_e32 v57, 0xff7fffff
	s_mov_b32 s8, exec_lo
	s_waitcnt vmcnt(0) lgkmcnt(0)
	s_waitcnt_vscnt null, 0x0
	v_sub_nc_u32_e32 v6, s0, v6
	s_add_i32 s0, s2, 16
	v_lshlrev_b32_e32 v45, 5, v41
	s_barrier
	buffer_gl0_inv
	v_sub_nc_u32_e32 v19, v6, v24
	v_cmp_ge_u32_e32 vcc_lo, v6, v24
	v_add_nc_u32_e32 v7, 1, v17
	v_and_b32_e32 v42, 31, v12
	s_delay_alu instid0(VALU_DEP_4) | instskip(NEXT) | instid1(VALU_DEP_3)
	v_cndmask_b32_e32 v6, v6, v19, vcc_lo
	v_cndmask_b32_e32 v7, v17, v7, vcc_lo
	v_add_nc_u32_e32 v17, 31, v43
	s_delay_alu instid0(VALU_DEP_4) | instskip(NEXT) | instid1(VALU_DEP_4)
	v_lshlrev_b32_e32 v47, 2, v42
	v_cmp_ge_u32_e32 vcc_lo, v6, v24
	s_delay_alu instid0(VALU_DEP_4) | instskip(NEXT) | instid1(VALU_DEP_4)
	v_add_nc_u32_e32 v19, 1, v7
	v_ashrrev_i32_e32 v20, 31, v17
	v_mul_lo_u32 v6, s10, v18
	s_delay_alu instid0(VALU_DEP_3) | instskip(NEXT) | instid1(VALU_DEP_3)
	v_cndmask_b32_e32 v7, v7, v19, vcc_lo
	v_lshrrev_b32_e32 v19, 27, v20
	v_add_nc_u32_e32 v20, s2, v41
	s_delay_alu instid0(VALU_DEP_3) | instskip(NEXT) | instid1(VALU_DEP_3)
	v_xor_b32_e32 v7, v7, v16
	v_add_nc_u32_e32 v17, v17, v19
	s_delay_alu instid0(VALU_DEP_3) | instskip(NEXT) | instid1(VALU_DEP_3)
	v_ashrrev_i32_e32 v21, 31, v20
	v_sub_nc_u32_e32 v16, v7, v16
	s_delay_alu instid0(VALU_DEP_3) | instskip(SKIP_1) | instid1(VALU_DEP_3)
	v_ashrrev_i32_e32 v46, 5, v17
	v_ashrrev_i32_e32 v7, 31, v6
	v_mul_lo_u32 v182, v16, v23
	s_delay_alu instid0(VALU_DEP_3) | instskip(NEXT) | instid1(VALU_DEP_3)
	v_min_i32_e32 v44, s0, v46
	v_lshlrev_b64 v[180:181], 2, v[6:7]
	s_delay_alu instid0(VALU_DEP_2) | instskip(NEXT) | instid1(VALU_DEP_4)
	v_cmp_ge_i32_e64 s0, v20, v44
	v_ashrrev_i32_e32 v183, 31, v182
	v_cmpx_lt_i32_e64 v20, v44
	s_cbranch_execz .LBB128_9
; %bb.6:
	s_getpc_b64 s[18:19]
	s_add_u32 s18, s18, llvm.amdgcn.dynlds.offset.table@rel32@lo+4
	s_addc_u32 s19, s19, llvm.amdgcn.dynlds.offset.table@rel32@hi+12
	s_ashr_i32 s7, s6, 31
	v_lshlrev_b64 v[6:7], 1, v[182:183]
	s_lshl_b64 s[20:21], s[6:7], 2
	v_dual_mov_b32 v57, 0xff7fffff :: v_dual_lshlrev_b32 v16, 4, v42
	s_add_u32 s18, s20, s18
	s_addc_u32 s19, s21, s19
	s_delay_alu instid0(VALU_DEP_2) | instskip(SKIP_3) | instid1(VALU_DEP_3)
	v_add_co_u32 v8, vcc_lo, v8, v6
	s_load_b32 s7, s[18:19], 0x0
	v_add_co_ci_u32_e32 v9, vcc_lo, v9, v7, vcc_lo
	v_lshlrev_b64 v[6:7], 2, v[20:21]
	v_add_co_u32 v59, vcc_lo, v8, v16
	v_lshl_or_b32 v8, v41, 7, v47
	s_delay_alu instid0(VALU_DEP_4) | instskip(NEXT) | instid1(VALU_DEP_4)
	v_add_co_ci_u32_e32 v60, vcc_lo, 0, v9, vcc_lo
	v_add_co_u32 v6, s1, v180, v6
	s_delay_alu instid0(VALU_DEP_1) | instskip(SKIP_1) | instid1(VALU_DEP_3)
	v_add_co_ci_u32_e64 v7, s1, v181, v7, s1
	v_mov_b32_e32 v58, 0
	v_add_co_u32 v39, s1, v14, v6
	v_cmp_neq_f32_e32 vcc_lo, 0, v56
	s_delay_alu instid0(VALU_DEP_4)
	v_add_co_ci_u32_e64 v40, s1, v15, v7, s1
	v_sub_nc_u32_e32 v61, 1, v43
	s_waitcnt lgkmcnt(0)
	v_add_nc_u32_e32 v63, s7, v8
	v_add3_u32 v62, s16, v45, v42
	v_mov_b32_e32 v72, v20
	s_mov_b32 s7, 0
.LBB128_7:                              ; =>This Inner Loop Header: Depth=1
	flat_load_b32 v8, v[39:40]
	v_add_nc_u32_e32 v72, 4, v72
	s_waitcnt vmcnt(0) lgkmcnt(0)
	v_mad_i64_i32 v[6:7], null, v8, v22, 0
	v_add_nc_u32_e32 v8, v61, v62
	s_delay_alu instid0(VALU_DEP_1) | instskip(NEXT) | instid1(VALU_DEP_3)
	v_cvt_f32_i32_e32 v8, v8
	v_lshlrev_b64 v[6:7], 1, v[6:7]
	s_delay_alu instid0(VALU_DEP_2) | instskip(NEXT) | instid1(VALU_DEP_2)
	v_mul_f32_e32 v8, v56, v8
	v_add_co_u32 v6, s1, v59, v6
	s_delay_alu instid0(VALU_DEP_1)
	v_add_co_ci_u32_e64 v7, s1, v60, v7, s1
	s_clause 0x7
	flat_load_b128 v[74:77], v[6:7]
	flat_load_b128 v[176:179], v[6:7] offset:512
	flat_load_b128 v[164:167], v[6:7] offset:1024
	;; [unrolled: 1-line block ×7, first 2 shown]
	v_cndmask_b32_e32 v73, 0, v8, vcc_lo
	v_add_co_u32 v8, s1, 0x1000, v6
	s_delay_alu instid0(VALU_DEP_1)
	v_add_co_ci_u32_e64 v9, s1, 0, v7, s1
	s_clause 0x7
	flat_load_b128 v[116:119], v[8:9]
	flat_load_b128 v[112:115], v[8:9] offset:512
	flat_load_b128 v[100:103], v[8:9] offset:1024
	;; [unrolled: 1-line block ×7, first 2 shown]
	v_add_co_u32 v6, s1, 0x2000, v6
	s_delay_alu instid0(VALU_DEP_1)
	v_add_co_ci_u32_e64 v7, s1, 0, v7, s1
	s_clause 0x7
	flat_load_b128 v[52:55], v[6:7]
	flat_load_b128 v[48:51], v[6:7] offset:512
	flat_load_b128 v[35:38], v[6:7] offset:1024
	;; [unrolled: 1-line block ×7, first 2 shown]
	ds_load_b128 v[88:91], v58
	v_cmp_lt_i32_e64 s1, v62, v43
	v_add_nc_u32_e32 v62, 0x80, v62
	s_waitcnt lgkmcnt(0)
	v_lshrrev_b32_e32 v78, 16, v88
	v_and_b32_e32 v79, 0xffff, v88
	;;#ASMSTART
	v_cvt_f32_f16 v79, v79;
	;;#ASMEND
	;;#ASMSTART
	v_cvt_f32_f16 v78, v78;
	;;#ASMEND
	s_waitcnt vmcnt(23)
	v_lshrrev_b32_e32 v88, 16, v74
	v_and_b32_e32 v74, 0xffff, v74
	;;#ASMSTART
	v_cvt_f32_f16 v92, v74;
	;;#ASMEND
	v_lshrrev_b32_e32 v74, 16, v89
	v_and_b32_e32 v89, 0xffff, v89
	;;#ASMSTART
	v_cvt_f32_f16 v88, v88;
	;;#ASMEND
	;;#ASMSTART
	v_cvt_f32_f16 v89, v89;
	;;#ASMEND
	;; [unrolled: 3-line block ×3, first 2 shown]
	v_lshrrev_b32_e32 v74, 16, v75
	v_and_b32_e32 v75, 0xffff, v75
	;;#ASMSTART
	v_cvt_f32_f16 v94, v75;
	;;#ASMEND
	;;#ASMSTART
	v_cvt_f32_f16 v95, v74;
	;;#ASMEND
	v_lshrrev_b32_e32 v74, 16, v90
	v_and_b32_e32 v75, 0xffff, v90
	;;#ASMSTART
	v_cvt_f32_f16 v90, v75;
	;;#ASMEND
	;;#ASMSTART
	v_cvt_f32_f16 v104, v74;
	;;#ASMEND
	;; [unrolled: 8-line block ×5, first 2 shown]
	ds_load_b128 v[74:77], v58 offset:16
	s_waitcnt vmcnt(22)
	v_lshrrev_b32_e32 v111, 16, v176
	v_and_b32_e32 v176, 0xffff, v176
	s_waitcnt lgkmcnt(0)
	v_lshrrev_b32_e32 v110, 16, v74
	v_and_b32_e32 v74, 0xffff, v74
	;;#ASMSTART
	v_cvt_f32_f16 v74, v74;
	;;#ASMEND
	;;#ASMSTART
	v_cvt_f32_f16 v110, v110;
	;;#ASMEND
	;; [unrolled: 3-line block ×4, first 2 shown]
	v_mul_f32_e32 v176, v74, v176
	v_mul_f32_e32 v74, v110, v111
	s_delay_alu instid0(VALU_DEP_2) | instskip(NEXT) | instid1(VALU_DEP_2)
	v_fmac_f32_e32 v176, v79, v92
	v_fmac_f32_e32 v74, v78, v88
	v_lshrrev_b32_e32 v78, 16, v75
	v_and_b32_e32 v75, 0xffff, v75
	v_lshrrev_b32_e32 v79, 16, v177
	v_and_b32_e32 v177, 0xffff, v177
	;;#ASMSTART
	v_cvt_f32_f16 v75, v75;
	;;#ASMEND
	;;#ASMSTART
	v_cvt_f32_f16 v78, v78;
	;;#ASMEND
	;; [unrolled: 3-line block ×4, first 2 shown]
	v_mul_f32_e32 v177, v75, v177
	v_mul_f32_e32 v75, v78, v79
	v_lshrrev_b32_e32 v78, 16, v76
	v_and_b32_e32 v76, 0xffff, v76
	v_lshrrev_b32_e32 v79, 16, v178
	s_delay_alu instid0(VALU_DEP_4)
	v_dual_fmac_f32 v75, v93, v95 :: v_dual_and_b32 v178, 0xffff, v178
	;;#ASMSTART
	v_cvt_f32_f16 v76, v76;
	;;#ASMEND
	;;#ASMSTART
	v_cvt_f32_f16 v78, v78;
	;;#ASMEND
	;; [unrolled: 3-line block ×4, first 2 shown]
	v_mul_f32_e32 v76, v76, v178
	v_mul_f32_e32 v178, v78, v79
	v_lshrrev_b32_e32 v78, 16, v77
	v_and_b32_e32 v77, 0xffff, v77
	v_lshrrev_b32_e32 v79, 16, v179
	v_and_b32_e32 v179, 0xffff, v179
	;;#ASMSTART
	v_cvt_f32_f16 v77, v77;
	;;#ASMEND
	;;#ASMSTART
	v_cvt_f32_f16 v78, v78;
	;;#ASMEND
	;; [unrolled: 3-line block ×3, first 2 shown]
	s_delay_alu instid0(VALU_DEP_1) | instskip(SKIP_3) | instid1(VALU_DEP_3)
	v_mul_f32_e32 v179, v77, v179
	v_dual_fmac_f32 v177, v89, v94 :: v_dual_fmac_f32 v76, v90, v105
	;;#ASMSTART
	v_cvt_f32_f16 v79, v79;
	;;#ASMEND
	v_mul_f32_e32 v77, v78, v79
	v_fmac_f32_e32 v179, v91, v108
	ds_load_b128 v[88:91], v58 offset:32
	v_fmac_f32_e32 v178, v104, v106
	s_waitcnt lgkmcnt(0)
	v_lshrrev_b32_e32 v78, 16, v88
	v_and_b32_e32 v79, 0xffff, v88
	s_waitcnt vmcnt(21)
	v_lshrrev_b32_e32 v88, 16, v164
	v_and_b32_e32 v164, 0xffff, v164
	;;#ASMSTART
	v_cvt_f32_f16 v79, v79;
	;;#ASMEND
	;;#ASMSTART
	v_cvt_f32_f16 v78, v78;
	;;#ASMEND
	;; [unrolled: 3-line block ×4, first 2 shown]
	v_fmac_f32_e32 v176, v79, v164
	v_fmac_f32_e32 v74, v78, v88
	v_lshrrev_b32_e32 v164, 16, v89
	v_and_b32_e32 v78, 0xffff, v89
	v_lshrrev_b32_e32 v79, 16, v165
	v_and_b32_e32 v165, 0xffff, v165
	v_fmac_f32_e32 v77, v107, v109
	;;#ASMSTART
	v_cvt_f32_f16 v78, v78;
	;;#ASMEND
	;;#ASMSTART
	v_cvt_f32_f16 v164, v164;
	;;#ASMEND
	;; [unrolled: 3-line block ×4, first 2 shown]
	v_fmac_f32_e32 v177, v78, v165
	v_fmac_f32_e32 v75, v164, v79
	v_lshrrev_b32_e32 v164, 16, v90
	v_and_b32_e32 v165, 0xffff, v90
	v_lshrrev_b32_e32 v78, 16, v166
	v_and_b32_e32 v166, 0xffff, v166
	;;#ASMSTART
	v_cvt_f32_f16 v165, v165;
	;;#ASMEND
	;;#ASMSTART
	v_cvt_f32_f16 v164, v164;
	;;#ASMEND
	;; [unrolled: 3-line block ×4, first 2 shown]
	v_fmac_f32_e32 v76, v165, v166
	v_fmac_f32_e32 v178, v164, v78
	v_lshrrev_b32_e32 v164, 16, v91
	v_and_b32_e32 v165, 0xffff, v91
	v_lshrrev_b32_e32 v166, 16, v167
	v_and_b32_e32 v167, 0xffff, v167
	;;#ASMSTART
	v_cvt_f32_f16 v165, v165;
	;;#ASMEND
	;;#ASMSTART
	v_cvt_f32_f16 v164, v164;
	;;#ASMEND
	;; [unrolled: 3-line block ×4, first 2 shown]
	v_fmac_f32_e32 v179, v165, v167
	v_fmac_f32_e32 v77, v164, v166
	ds_load_b128 v[164:167], v58 offset:48
	s_waitcnt vmcnt(20)
	v_lshrrev_b32_e32 v79, 16, v160
	v_and_b32_e32 v160, 0xffff, v160
	s_waitcnt lgkmcnt(0)
	v_lshrrev_b32_e32 v78, 16, v164
	v_and_b32_e32 v164, 0xffff, v164
	;;#ASMSTART
	v_cvt_f32_f16 v164, v164;
	;;#ASMEND
	;;#ASMSTART
	v_cvt_f32_f16 v78, v78;
	;;#ASMEND
	;; [unrolled: 3-line block ×3, first 2 shown]
	s_delay_alu instid0(VALU_DEP_1)
	v_fmac_f32_e32 v176, v164, v160
	v_lshrrev_b32_e32 v160, 16, v165
	v_and_b32_e32 v164, 0xffff, v165
	v_lshrrev_b32_e32 v165, 16, v161
	v_and_b32_e32 v161, 0xffff, v161
	;;#ASMSTART
	v_cvt_f32_f16 v79, v79;
	;;#ASMEND
	;;#ASMSTART
	v_cvt_f32_f16 v164, v164;
	;;#ASMEND
	;; [unrolled: 3-line block ×4, first 2 shown]
	v_fmac_f32_e32 v74, v78, v79
	;;#ASMSTART
	v_cvt_f32_f16 v165, v165;
	;;#ASMEND
	v_fmac_f32_e32 v177, v164, v161
	v_fmac_f32_e32 v75, v160, v165
	v_lshrrev_b32_e32 v160, 16, v166
	v_and_b32_e32 v161, 0xffff, v166
	v_lshrrev_b32_e32 v164, 16, v162
	v_and_b32_e32 v162, 0xffff, v162
	;;#ASMSTART
	v_cvt_f32_f16 v161, v161;
	;;#ASMEND
	;;#ASMSTART
	v_cvt_f32_f16 v160, v160;
	;;#ASMEND
	;; [unrolled: 3-line block ×4, first 2 shown]
	v_fmac_f32_e32 v76, v161, v162
	v_fmac_f32_e32 v178, v160, v164
	v_lshrrev_b32_e32 v160, 16, v167
	v_and_b32_e32 v161, 0xffff, v167
	v_lshrrev_b32_e32 v162, 16, v163
	v_and_b32_e32 v163, 0xffff, v163
	;;#ASMSTART
	v_cvt_f32_f16 v161, v161;
	;;#ASMEND
	;;#ASMSTART
	v_cvt_f32_f16 v160, v160;
	;;#ASMEND
	;; [unrolled: 3-line block ×4, first 2 shown]
	v_fmac_f32_e32 v179, v161, v163
	v_fmac_f32_e32 v77, v160, v162
	ds_load_b128 v[160:163], v58 offset:64
	s_waitcnt vmcnt(19)
	v_lshrrev_b32_e32 v165, 16, v148
	v_and_b32_e32 v148, 0xffff, v148
	s_waitcnt lgkmcnt(0)
	v_lshrrev_b32_e32 v164, 16, v160
	v_and_b32_e32 v160, 0xffff, v160
	;;#ASMSTART
	v_cvt_f32_f16 v160, v160;
	;;#ASMEND
	;;#ASMSTART
	v_cvt_f32_f16 v164, v164;
	;;#ASMEND
	;; [unrolled: 3-line block ×3, first 2 shown]
	s_delay_alu instid0(VALU_DEP_1)
	v_fmac_f32_e32 v176, v160, v148
	v_and_b32_e32 v160, 0xffff, v161
	v_lshrrev_b32_e32 v148, 16, v161
	v_lshrrev_b32_e32 v161, 16, v149
	v_and_b32_e32 v149, 0xffff, v149
	;;#ASMSTART
	v_cvt_f32_f16 v165, v165;
	;;#ASMEND
	;;#ASMSTART
	v_cvt_f32_f16 v160, v160;
	;;#ASMEND
	;; [unrolled: 3-line block ×4, first 2 shown]
	v_fmac_f32_e32 v74, v164, v165
	;;#ASMSTART
	v_cvt_f32_f16 v161, v161;
	;;#ASMEND
	v_fmac_f32_e32 v177, v160, v149
	v_fmac_f32_e32 v75, v148, v161
	v_lshrrev_b32_e32 v148, 16, v162
	v_and_b32_e32 v149, 0xffff, v162
	v_lshrrev_b32_e32 v160, 16, v150
	v_and_b32_e32 v150, 0xffff, v150
	;;#ASMSTART
	v_cvt_f32_f16 v149, v149;
	;;#ASMEND
	;;#ASMSTART
	v_cvt_f32_f16 v148, v148;
	;;#ASMEND
	;; [unrolled: 3-line block ×4, first 2 shown]
	v_fmac_f32_e32 v76, v149, v150
	v_fmac_f32_e32 v178, v148, v160
	v_lshrrev_b32_e32 v148, 16, v163
	v_and_b32_e32 v149, 0xffff, v163
	v_lshrrev_b32_e32 v150, 16, v151
	v_and_b32_e32 v151, 0xffff, v151
	;;#ASMSTART
	v_cvt_f32_f16 v149, v149;
	;;#ASMEND
	;;#ASMSTART
	v_cvt_f32_f16 v148, v148;
	;;#ASMEND
	;; [unrolled: 3-line block ×4, first 2 shown]
	v_fmac_f32_e32 v179, v149, v151
	v_fmac_f32_e32 v77, v148, v150
	ds_load_b128 v[148:151], v58 offset:80
	s_waitcnt vmcnt(18)
	v_lshrrev_b32_e32 v161, 16, v144
	v_and_b32_e32 v144, 0xffff, v144
	s_waitcnt lgkmcnt(0)
	v_lshrrev_b32_e32 v160, 16, v148
	v_and_b32_e32 v148, 0xffff, v148
	;;#ASMSTART
	v_cvt_f32_f16 v148, v148;
	;;#ASMEND
	;;#ASMSTART
	v_cvt_f32_f16 v160, v160;
	;;#ASMEND
	;; [unrolled: 3-line block ×3, first 2 shown]
	s_delay_alu instid0(VALU_DEP_1)
	v_fmac_f32_e32 v176, v148, v144
	v_and_b32_e32 v148, 0xffff, v149
	v_lshrrev_b32_e32 v144, 16, v149
	v_lshrrev_b32_e32 v149, 16, v145
	v_and_b32_e32 v145, 0xffff, v145
	;;#ASMSTART
	v_cvt_f32_f16 v161, v161;
	;;#ASMEND
	;;#ASMSTART
	v_cvt_f32_f16 v148, v148;
	;;#ASMEND
	;; [unrolled: 3-line block ×4, first 2 shown]
	v_fmac_f32_e32 v74, v160, v161
	;;#ASMSTART
	v_cvt_f32_f16 v149, v149;
	;;#ASMEND
	v_fmac_f32_e32 v177, v148, v145
	v_fmac_f32_e32 v75, v144, v149
	v_lshrrev_b32_e32 v144, 16, v150
	v_and_b32_e32 v145, 0xffff, v150
	v_lshrrev_b32_e32 v148, 16, v146
	v_and_b32_e32 v146, 0xffff, v146
	;;#ASMSTART
	v_cvt_f32_f16 v145, v145;
	;;#ASMEND
	;;#ASMSTART
	v_cvt_f32_f16 v144, v144;
	;;#ASMEND
	;; [unrolled: 3-line block ×4, first 2 shown]
	v_fmac_f32_e32 v76, v145, v146
	v_fmac_f32_e32 v178, v144, v148
	v_lshrrev_b32_e32 v144, 16, v151
	v_and_b32_e32 v145, 0xffff, v151
	v_lshrrev_b32_e32 v146, 16, v147
	v_and_b32_e32 v147, 0xffff, v147
	;;#ASMSTART
	v_cvt_f32_f16 v145, v145;
	;;#ASMEND
	;;#ASMSTART
	v_cvt_f32_f16 v144, v144;
	;;#ASMEND
	;; [unrolled: 3-line block ×4, first 2 shown]
	v_fmac_f32_e32 v179, v145, v147
	v_fmac_f32_e32 v77, v144, v146
	ds_load_b128 v[144:147], v58 offset:96
	s_waitcnt vmcnt(17)
	v_lshrrev_b32_e32 v149, 16, v132
	v_and_b32_e32 v132, 0xffff, v132
	s_waitcnt lgkmcnt(0)
	v_lshrrev_b32_e32 v148, 16, v144
	v_and_b32_e32 v144, 0xffff, v144
	;;#ASMSTART
	v_cvt_f32_f16 v144, v144;
	;;#ASMEND
	;;#ASMSTART
	v_cvt_f32_f16 v148, v148;
	;;#ASMEND
	;; [unrolled: 3-line block ×3, first 2 shown]
	s_delay_alu instid0(VALU_DEP_1)
	v_fmac_f32_e32 v176, v144, v132
	v_and_b32_e32 v144, 0xffff, v145
	v_lshrrev_b32_e32 v132, 16, v145
	v_lshrrev_b32_e32 v145, 16, v133
	v_and_b32_e32 v133, 0xffff, v133
	;;#ASMSTART
	v_cvt_f32_f16 v149, v149;
	;;#ASMEND
	;;#ASMSTART
	v_cvt_f32_f16 v144, v144;
	;;#ASMEND
	;; [unrolled: 3-line block ×4, first 2 shown]
	v_fmac_f32_e32 v74, v148, v149
	;;#ASMSTART
	v_cvt_f32_f16 v145, v145;
	;;#ASMEND
	v_fmac_f32_e32 v177, v144, v133
	v_fmac_f32_e32 v75, v132, v145
	v_lshrrev_b32_e32 v132, 16, v146
	v_and_b32_e32 v133, 0xffff, v146
	v_lshrrev_b32_e32 v144, 16, v134
	v_and_b32_e32 v134, 0xffff, v134
	;;#ASMSTART
	v_cvt_f32_f16 v133, v133;
	;;#ASMEND
	;;#ASMSTART
	v_cvt_f32_f16 v132, v132;
	;;#ASMEND
	;; [unrolled: 3-line block ×4, first 2 shown]
	v_fmac_f32_e32 v76, v133, v134
	v_fmac_f32_e32 v178, v132, v144
	v_lshrrev_b32_e32 v132, 16, v147
	v_and_b32_e32 v133, 0xffff, v147
	v_lshrrev_b32_e32 v134, 16, v135
	v_and_b32_e32 v135, 0xffff, v135
	;;#ASMSTART
	v_cvt_f32_f16 v133, v133;
	;;#ASMEND
	;;#ASMSTART
	v_cvt_f32_f16 v132, v132;
	;;#ASMEND
	;; [unrolled: 3-line block ×4, first 2 shown]
	v_fmac_f32_e32 v179, v133, v135
	v_fmac_f32_e32 v77, v132, v134
	ds_load_b128 v[132:135], v58 offset:112
	s_waitcnt vmcnt(16)
	v_lshrrev_b32_e32 v145, 16, v128
	v_and_b32_e32 v128, 0xffff, v128
	s_waitcnt lgkmcnt(0)
	v_lshrrev_b32_e32 v144, 16, v132
	v_and_b32_e32 v132, 0xffff, v132
	;;#ASMSTART
	v_cvt_f32_f16 v132, v132;
	;;#ASMEND
	;;#ASMSTART
	v_cvt_f32_f16 v144, v144;
	;;#ASMEND
	;; [unrolled: 3-line block ×3, first 2 shown]
	s_delay_alu instid0(VALU_DEP_1)
	v_fmac_f32_e32 v176, v132, v128
	v_and_b32_e32 v132, 0xffff, v133
	v_lshrrev_b32_e32 v128, 16, v133
	v_lshrrev_b32_e32 v133, 16, v129
	v_and_b32_e32 v129, 0xffff, v129
	;;#ASMSTART
	v_cvt_f32_f16 v145, v145;
	;;#ASMEND
	;;#ASMSTART
	v_cvt_f32_f16 v132, v132;
	;;#ASMEND
	;; [unrolled: 3-line block ×4, first 2 shown]
	v_fmac_f32_e32 v74, v144, v145
	;;#ASMSTART
	v_cvt_f32_f16 v133, v133;
	;;#ASMEND
	v_fmac_f32_e32 v177, v132, v129
	v_fmac_f32_e32 v75, v128, v133
	v_lshrrev_b32_e32 v128, 16, v134
	v_and_b32_e32 v129, 0xffff, v134
	v_lshrrev_b32_e32 v132, 16, v130
	v_and_b32_e32 v130, 0xffff, v130
	;;#ASMSTART
	v_cvt_f32_f16 v129, v129;
	;;#ASMEND
	;;#ASMSTART
	v_cvt_f32_f16 v128, v128;
	;;#ASMEND
	;; [unrolled: 3-line block ×4, first 2 shown]
	v_fmac_f32_e32 v76, v129, v130
	v_fmac_f32_e32 v178, v128, v132
	v_lshrrev_b32_e32 v128, 16, v135
	v_and_b32_e32 v129, 0xffff, v135
	v_lshrrev_b32_e32 v130, 16, v131
	v_and_b32_e32 v131, 0xffff, v131
	;;#ASMSTART
	v_cvt_f32_f16 v129, v129;
	;;#ASMEND
	;;#ASMSTART
	v_cvt_f32_f16 v128, v128;
	;;#ASMEND
	;; [unrolled: 3-line block ×4, first 2 shown]
	v_fmac_f32_e32 v179, v129, v131
	v_fmac_f32_e32 v77, v128, v130
	ds_load_b128 v[128:131], v58 offset:128
	s_waitcnt vmcnt(15)
	v_lshrrev_b32_e32 v133, 16, v116
	v_and_b32_e32 v116, 0xffff, v116
	s_waitcnt lgkmcnt(0)
	v_lshrrev_b32_e32 v132, 16, v128
	v_and_b32_e32 v128, 0xffff, v128
	;;#ASMSTART
	v_cvt_f32_f16 v128, v128;
	;;#ASMEND
	;;#ASMSTART
	v_cvt_f32_f16 v132, v132;
	;;#ASMEND
	;; [unrolled: 3-line block ×3, first 2 shown]
	s_delay_alu instid0(VALU_DEP_1)
	v_fmac_f32_e32 v176, v128, v116
	v_and_b32_e32 v128, 0xffff, v129
	v_lshrrev_b32_e32 v116, 16, v129
	v_lshrrev_b32_e32 v129, 16, v117
	v_and_b32_e32 v117, 0xffff, v117
	;;#ASMSTART
	v_cvt_f32_f16 v133, v133;
	;;#ASMEND
	;;#ASMSTART
	v_cvt_f32_f16 v128, v128;
	;;#ASMEND
	;; [unrolled: 3-line block ×4, first 2 shown]
	v_fmac_f32_e32 v74, v132, v133
	;;#ASMSTART
	v_cvt_f32_f16 v129, v129;
	;;#ASMEND
	v_fmac_f32_e32 v177, v128, v117
	v_fmac_f32_e32 v75, v116, v129
	v_lshrrev_b32_e32 v116, 16, v130
	v_and_b32_e32 v117, 0xffff, v130
	v_lshrrev_b32_e32 v128, 16, v118
	v_and_b32_e32 v118, 0xffff, v118
	;;#ASMSTART
	v_cvt_f32_f16 v117, v117;
	;;#ASMEND
	;;#ASMSTART
	v_cvt_f32_f16 v116, v116;
	;;#ASMEND
	;; [unrolled: 3-line block ×4, first 2 shown]
	v_fmac_f32_e32 v76, v117, v118
	v_fmac_f32_e32 v178, v116, v128
	v_lshrrev_b32_e32 v116, 16, v131
	v_and_b32_e32 v117, 0xffff, v131
	v_lshrrev_b32_e32 v118, 16, v119
	v_and_b32_e32 v119, 0xffff, v119
	;;#ASMSTART
	v_cvt_f32_f16 v117, v117;
	;;#ASMEND
	;;#ASMSTART
	v_cvt_f32_f16 v116, v116;
	;;#ASMEND
	;; [unrolled: 3-line block ×4, first 2 shown]
	v_fmac_f32_e32 v179, v117, v119
	v_fmac_f32_e32 v77, v116, v118
	ds_load_b128 v[116:119], v58 offset:144
	s_waitcnt vmcnt(14)
	v_lshrrev_b32_e32 v129, 16, v112
	v_and_b32_e32 v112, 0xffff, v112
	s_waitcnt lgkmcnt(0)
	v_lshrrev_b32_e32 v128, 16, v116
	v_and_b32_e32 v116, 0xffff, v116
	;;#ASMSTART
	v_cvt_f32_f16 v116, v116;
	;;#ASMEND
	;;#ASMSTART
	v_cvt_f32_f16 v128, v128;
	;;#ASMEND
	;; [unrolled: 3-line block ×3, first 2 shown]
	s_delay_alu instid0(VALU_DEP_1)
	v_fmac_f32_e32 v176, v116, v112
	v_and_b32_e32 v116, 0xffff, v117
	v_lshrrev_b32_e32 v112, 16, v117
	v_lshrrev_b32_e32 v117, 16, v113
	v_and_b32_e32 v113, 0xffff, v113
	;;#ASMSTART
	v_cvt_f32_f16 v129, v129;
	;;#ASMEND
	;;#ASMSTART
	v_cvt_f32_f16 v116, v116;
	;;#ASMEND
	;; [unrolled: 3-line block ×4, first 2 shown]
	v_fmac_f32_e32 v74, v128, v129
	;;#ASMSTART
	v_cvt_f32_f16 v117, v117;
	;;#ASMEND
	v_fmac_f32_e32 v177, v116, v113
	v_fmac_f32_e32 v75, v112, v117
	v_lshrrev_b32_e32 v112, 16, v118
	v_and_b32_e32 v113, 0xffff, v118
	v_lshrrev_b32_e32 v116, 16, v114
	v_and_b32_e32 v114, 0xffff, v114
	;;#ASMSTART
	v_cvt_f32_f16 v113, v113;
	;;#ASMEND
	;;#ASMSTART
	v_cvt_f32_f16 v112, v112;
	;;#ASMEND
	;; [unrolled: 3-line block ×4, first 2 shown]
	v_fmac_f32_e32 v76, v113, v114
	v_fmac_f32_e32 v178, v112, v116
	v_lshrrev_b32_e32 v112, 16, v119
	v_and_b32_e32 v113, 0xffff, v119
	v_lshrrev_b32_e32 v114, 16, v115
	v_and_b32_e32 v115, 0xffff, v115
	;;#ASMSTART
	v_cvt_f32_f16 v113, v113;
	;;#ASMEND
	;;#ASMSTART
	v_cvt_f32_f16 v112, v112;
	;;#ASMEND
	;; [unrolled: 3-line block ×4, first 2 shown]
	v_fmac_f32_e32 v179, v113, v115
	v_fmac_f32_e32 v77, v112, v114
	ds_load_b128 v[112:115], v58 offset:160
	s_waitcnt vmcnt(13)
	v_lshrrev_b32_e32 v117, 16, v100
	v_and_b32_e32 v100, 0xffff, v100
	s_waitcnt lgkmcnt(0)
	v_lshrrev_b32_e32 v116, 16, v112
	v_and_b32_e32 v112, 0xffff, v112
	;;#ASMSTART
	v_cvt_f32_f16 v112, v112;
	;;#ASMEND
	;;#ASMSTART
	v_cvt_f32_f16 v116, v116;
	;;#ASMEND
	;; [unrolled: 3-line block ×3, first 2 shown]
	s_delay_alu instid0(VALU_DEP_1)
	v_fmac_f32_e32 v176, v112, v100
	v_and_b32_e32 v112, 0xffff, v113
	v_lshrrev_b32_e32 v100, 16, v113
	v_lshrrev_b32_e32 v113, 16, v101
	v_and_b32_e32 v101, 0xffff, v101
	;;#ASMSTART
	v_cvt_f32_f16 v117, v117;
	;;#ASMEND
	;;#ASMSTART
	v_cvt_f32_f16 v112, v112;
	;;#ASMEND
	;; [unrolled: 3-line block ×4, first 2 shown]
	v_fmac_f32_e32 v74, v116, v117
	;;#ASMSTART
	v_cvt_f32_f16 v113, v113;
	;;#ASMEND
	v_fmac_f32_e32 v177, v112, v101
	v_fmac_f32_e32 v75, v100, v113
	v_lshrrev_b32_e32 v100, 16, v114
	v_and_b32_e32 v101, 0xffff, v114
	v_lshrrev_b32_e32 v112, 16, v102
	v_and_b32_e32 v102, 0xffff, v102
	;;#ASMSTART
	v_cvt_f32_f16 v101, v101;
	;;#ASMEND
	;;#ASMSTART
	v_cvt_f32_f16 v100, v100;
	;;#ASMEND
	;; [unrolled: 3-line block ×4, first 2 shown]
	v_fmac_f32_e32 v76, v101, v102
	v_fmac_f32_e32 v178, v100, v112
	v_lshrrev_b32_e32 v100, 16, v115
	v_and_b32_e32 v101, 0xffff, v115
	v_lshrrev_b32_e32 v102, 16, v103
	v_and_b32_e32 v103, 0xffff, v103
	;;#ASMSTART
	v_cvt_f32_f16 v101, v101;
	;;#ASMEND
	;;#ASMSTART
	v_cvt_f32_f16 v100, v100;
	;;#ASMEND
	;; [unrolled: 3-line block ×4, first 2 shown]
	v_fmac_f32_e32 v179, v101, v103
	v_fmac_f32_e32 v77, v100, v102
	ds_load_b128 v[100:103], v58 offset:176
	s_waitcnt vmcnt(12)
	v_lshrrev_b32_e32 v113, 16, v96
	v_and_b32_e32 v96, 0xffff, v96
	s_waitcnt lgkmcnt(0)
	v_lshrrev_b32_e32 v112, 16, v100
	v_and_b32_e32 v100, 0xffff, v100
	;;#ASMSTART
	v_cvt_f32_f16 v100, v100;
	;;#ASMEND
	;;#ASMSTART
	v_cvt_f32_f16 v112, v112;
	;;#ASMEND
	;; [unrolled: 3-line block ×3, first 2 shown]
	s_delay_alu instid0(VALU_DEP_1)
	v_fmac_f32_e32 v176, v100, v96
	v_and_b32_e32 v100, 0xffff, v101
	v_lshrrev_b32_e32 v96, 16, v101
	v_lshrrev_b32_e32 v101, 16, v97
	v_and_b32_e32 v97, 0xffff, v97
	;;#ASMSTART
	v_cvt_f32_f16 v113, v113;
	;;#ASMEND
	;;#ASMSTART
	v_cvt_f32_f16 v100, v100;
	;;#ASMEND
	;; [unrolled: 3-line block ×4, first 2 shown]
	v_fmac_f32_e32 v74, v112, v113
	;;#ASMSTART
	v_cvt_f32_f16 v101, v101;
	;;#ASMEND
	v_fmac_f32_e32 v177, v100, v97
	v_fmac_f32_e32 v75, v96, v101
	v_lshrrev_b32_e32 v96, 16, v102
	v_and_b32_e32 v97, 0xffff, v102
	v_lshrrev_b32_e32 v100, 16, v98
	v_and_b32_e32 v98, 0xffff, v98
	;;#ASMSTART
	v_cvt_f32_f16 v97, v97;
	;;#ASMEND
	;;#ASMSTART
	v_cvt_f32_f16 v96, v96;
	;;#ASMEND
	;; [unrolled: 3-line block ×4, first 2 shown]
	v_fmac_f32_e32 v76, v97, v98
	v_fmac_f32_e32 v178, v96, v100
	v_lshrrev_b32_e32 v96, 16, v103
	v_and_b32_e32 v97, 0xffff, v103
	v_lshrrev_b32_e32 v98, 16, v99
	v_and_b32_e32 v99, 0xffff, v99
	;;#ASMSTART
	v_cvt_f32_f16 v97, v97;
	;;#ASMEND
	;;#ASMSTART
	v_cvt_f32_f16 v96, v96;
	;;#ASMEND
	;; [unrolled: 3-line block ×4, first 2 shown]
	v_fmac_f32_e32 v179, v97, v99
	v_fmac_f32_e32 v77, v96, v98
	ds_load_b128 v[96:99], v58 offset:192
	s_waitcnt vmcnt(11)
	v_lshrrev_b32_e32 v101, 16, v84
	v_and_b32_e32 v84, 0xffff, v84
	s_waitcnt lgkmcnt(0)
	v_lshrrev_b32_e32 v100, 16, v96
	v_and_b32_e32 v96, 0xffff, v96
	;;#ASMSTART
	v_cvt_f32_f16 v96, v96;
	;;#ASMEND
	;;#ASMSTART
	v_cvt_f32_f16 v100, v100;
	;;#ASMEND
	;; [unrolled: 3-line block ×3, first 2 shown]
	s_delay_alu instid0(VALU_DEP_1)
	v_fmac_f32_e32 v176, v96, v84
	v_and_b32_e32 v96, 0xffff, v97
	v_lshrrev_b32_e32 v84, 16, v97
	v_lshrrev_b32_e32 v97, 16, v85
	v_and_b32_e32 v85, 0xffff, v85
	;;#ASMSTART
	v_cvt_f32_f16 v101, v101;
	;;#ASMEND
	;;#ASMSTART
	v_cvt_f32_f16 v96, v96;
	;;#ASMEND
	;; [unrolled: 3-line block ×4, first 2 shown]
	v_fmac_f32_e32 v74, v100, v101
	;;#ASMSTART
	v_cvt_f32_f16 v97, v97;
	;;#ASMEND
	v_fmac_f32_e32 v177, v96, v85
	v_fmac_f32_e32 v75, v84, v97
	v_lshrrev_b32_e32 v84, 16, v98
	v_and_b32_e32 v85, 0xffff, v98
	v_lshrrev_b32_e32 v96, 16, v86
	v_and_b32_e32 v86, 0xffff, v86
	;;#ASMSTART
	v_cvt_f32_f16 v85, v85;
	;;#ASMEND
	;;#ASMSTART
	v_cvt_f32_f16 v84, v84;
	;;#ASMEND
	;; [unrolled: 3-line block ×4, first 2 shown]
	v_fmac_f32_e32 v76, v85, v86
	v_fmac_f32_e32 v178, v84, v96
	v_lshrrev_b32_e32 v84, 16, v99
	v_and_b32_e32 v85, 0xffff, v99
	v_lshrrev_b32_e32 v86, 16, v87
	v_and_b32_e32 v87, 0xffff, v87
	;;#ASMSTART
	v_cvt_f32_f16 v85, v85;
	;;#ASMEND
	;;#ASMSTART
	v_cvt_f32_f16 v84, v84;
	;;#ASMEND
	;; [unrolled: 3-line block ×4, first 2 shown]
	v_fmac_f32_e32 v179, v85, v87
	v_fmac_f32_e32 v77, v84, v86
	ds_load_b128 v[84:87], v58 offset:208
	s_waitcnt vmcnt(10)
	v_lshrrev_b32_e32 v97, 16, v80
	v_and_b32_e32 v80, 0xffff, v80
	s_waitcnt lgkmcnt(0)
	v_lshrrev_b32_e32 v96, 16, v84
	v_and_b32_e32 v84, 0xffff, v84
	;;#ASMSTART
	v_cvt_f32_f16 v84, v84;
	;;#ASMEND
	;;#ASMSTART
	v_cvt_f32_f16 v96, v96;
	;;#ASMEND
	;; [unrolled: 3-line block ×3, first 2 shown]
	s_delay_alu instid0(VALU_DEP_1)
	v_fmac_f32_e32 v176, v84, v80
	v_and_b32_e32 v84, 0xffff, v85
	v_lshrrev_b32_e32 v80, 16, v85
	v_lshrrev_b32_e32 v85, 16, v81
	v_and_b32_e32 v81, 0xffff, v81
	;;#ASMSTART
	v_cvt_f32_f16 v97, v97;
	;;#ASMEND
	;;#ASMSTART
	v_cvt_f32_f16 v84, v84;
	;;#ASMEND
	;; [unrolled: 3-line block ×4, first 2 shown]
	v_fmac_f32_e32 v74, v96, v97
	;;#ASMSTART
	v_cvt_f32_f16 v85, v85;
	;;#ASMEND
	v_fmac_f32_e32 v177, v84, v81
	v_fmac_f32_e32 v75, v80, v85
	v_lshrrev_b32_e32 v80, 16, v86
	v_and_b32_e32 v81, 0xffff, v86
	v_lshrrev_b32_e32 v84, 16, v82
	v_and_b32_e32 v82, 0xffff, v82
	;;#ASMSTART
	v_cvt_f32_f16 v81, v81;
	;;#ASMEND
	;;#ASMSTART
	v_cvt_f32_f16 v80, v80;
	;;#ASMEND
	;;#ASMSTART
	v_cvt_f32_f16 v82, v82;
	;;#ASMEND
	;;#ASMSTART
	v_cvt_f32_f16 v84, v84;
	;;#ASMEND
	v_fmac_f32_e32 v76, v81, v82
	v_fmac_f32_e32 v178, v80, v84
	v_lshrrev_b32_e32 v80, 16, v87
	v_and_b32_e32 v81, 0xffff, v87
	v_lshrrev_b32_e32 v82, 16, v83
	v_and_b32_e32 v83, 0xffff, v83
	;;#ASMSTART
	v_cvt_f32_f16 v81, v81;
	;;#ASMEND
	;;#ASMSTART
	v_cvt_f32_f16 v80, v80;
	;;#ASMEND
	;; [unrolled: 3-line block ×4, first 2 shown]
	v_fmac_f32_e32 v179, v81, v83
	v_fmac_f32_e32 v77, v80, v82
	ds_load_b128 v[80:83], v58 offset:224
	s_waitcnt vmcnt(9)
	v_lshrrev_b32_e32 v85, 16, v68
	v_and_b32_e32 v68, 0xffff, v68
	s_waitcnt lgkmcnt(0)
	v_lshrrev_b32_e32 v84, 16, v80
	v_and_b32_e32 v80, 0xffff, v80
	;;#ASMSTART
	v_cvt_f32_f16 v80, v80;
	;;#ASMEND
	;;#ASMSTART
	v_cvt_f32_f16 v84, v84;
	;;#ASMEND
	;; [unrolled: 3-line block ×3, first 2 shown]
	s_delay_alu instid0(VALU_DEP_1)
	v_fmac_f32_e32 v176, v80, v68
	v_and_b32_e32 v80, 0xffff, v81
	v_lshrrev_b32_e32 v68, 16, v81
	v_lshrrev_b32_e32 v81, 16, v69
	v_and_b32_e32 v69, 0xffff, v69
	;;#ASMSTART
	v_cvt_f32_f16 v85, v85;
	;;#ASMEND
	;;#ASMSTART
	v_cvt_f32_f16 v80, v80;
	;;#ASMEND
	;; [unrolled: 3-line block ×4, first 2 shown]
	v_fmac_f32_e32 v74, v84, v85
	;;#ASMSTART
	v_cvt_f32_f16 v81, v81;
	;;#ASMEND
	v_fmac_f32_e32 v177, v80, v69
	v_fmac_f32_e32 v75, v68, v81
	v_lshrrev_b32_e32 v68, 16, v82
	v_and_b32_e32 v69, 0xffff, v82
	v_lshrrev_b32_e32 v80, 16, v70
	v_and_b32_e32 v70, 0xffff, v70
	;;#ASMSTART
	v_cvt_f32_f16 v69, v69;
	;;#ASMEND
	;;#ASMSTART
	v_cvt_f32_f16 v68, v68;
	;;#ASMEND
	;; [unrolled: 3-line block ×4, first 2 shown]
	v_fmac_f32_e32 v76, v69, v70
	v_fmac_f32_e32 v178, v68, v80
	v_lshrrev_b32_e32 v68, 16, v83
	v_and_b32_e32 v69, 0xffff, v83
	v_lshrrev_b32_e32 v70, 16, v71
	v_and_b32_e32 v71, 0xffff, v71
	;;#ASMSTART
	v_cvt_f32_f16 v69, v69;
	;;#ASMEND
	;;#ASMSTART
	v_cvt_f32_f16 v68, v68;
	;;#ASMEND
	;; [unrolled: 3-line block ×4, first 2 shown]
	v_fmac_f32_e32 v179, v69, v71
	v_fmac_f32_e32 v77, v68, v70
	ds_load_b128 v[68:71], v58 offset:240
	s_waitcnt vmcnt(8)
	v_lshrrev_b32_e32 v81, 16, v64
	v_and_b32_e32 v64, 0xffff, v64
	s_waitcnt lgkmcnt(0)
	v_lshrrev_b32_e32 v80, 16, v68
	v_and_b32_e32 v68, 0xffff, v68
	;;#ASMSTART
	v_cvt_f32_f16 v68, v68;
	;;#ASMEND
	;;#ASMSTART
	v_cvt_f32_f16 v80, v80;
	;;#ASMEND
	;; [unrolled: 3-line block ×3, first 2 shown]
	s_delay_alu instid0(VALU_DEP_1)
	v_fmac_f32_e32 v176, v68, v64
	v_and_b32_e32 v68, 0xffff, v69
	v_lshrrev_b32_e32 v64, 16, v69
	v_lshrrev_b32_e32 v69, 16, v65
	v_and_b32_e32 v65, 0xffff, v65
	;;#ASMSTART
	v_cvt_f32_f16 v81, v81;
	;;#ASMEND
	;;#ASMSTART
	v_cvt_f32_f16 v68, v68;
	;;#ASMEND
	;; [unrolled: 3-line block ×4, first 2 shown]
	v_fmac_f32_e32 v74, v80, v81
	;;#ASMSTART
	v_cvt_f32_f16 v69, v69;
	;;#ASMEND
	v_fmac_f32_e32 v177, v68, v65
	v_fmac_f32_e32 v75, v64, v69
	v_lshrrev_b32_e32 v64, 16, v70
	v_and_b32_e32 v65, 0xffff, v70
	v_lshrrev_b32_e32 v68, 16, v66
	v_and_b32_e32 v66, 0xffff, v66
	;;#ASMSTART
	v_cvt_f32_f16 v65, v65;
	;;#ASMEND
	;;#ASMSTART
	v_cvt_f32_f16 v64, v64;
	;;#ASMEND
	;;#ASMSTART
	v_cvt_f32_f16 v66, v66;
	;;#ASMEND
	;;#ASMSTART
	v_cvt_f32_f16 v68, v68;
	;;#ASMEND
	v_fmac_f32_e32 v76, v65, v66
	v_fmac_f32_e32 v178, v64, v68
	v_lshrrev_b32_e32 v64, 16, v71
	v_and_b32_e32 v65, 0xffff, v71
	v_lshrrev_b32_e32 v66, 16, v67
	v_and_b32_e32 v67, 0xffff, v67
	;;#ASMSTART
	v_cvt_f32_f16 v65, v65;
	;;#ASMEND
	;;#ASMSTART
	v_cvt_f32_f16 v64, v64;
	;;#ASMEND
	;; [unrolled: 3-line block ×4, first 2 shown]
	v_fmac_f32_e32 v179, v65, v67
	v_fmac_f32_e32 v77, v64, v66
	ds_load_b128 v[64:67], v58 offset:256
	s_waitcnt vmcnt(7)
	v_lshrrev_b32_e32 v69, 16, v52
	v_and_b32_e32 v52, 0xffff, v52
	s_waitcnt lgkmcnt(0)
	v_lshrrev_b32_e32 v68, 16, v64
	v_and_b32_e32 v64, 0xffff, v64
	;;#ASMSTART
	v_cvt_f32_f16 v64, v64;
	;;#ASMEND
	;;#ASMSTART
	v_cvt_f32_f16 v68, v68;
	;;#ASMEND
	;; [unrolled: 3-line block ×3, first 2 shown]
	s_delay_alu instid0(VALU_DEP_1)
	v_fmac_f32_e32 v176, v64, v52
	v_and_b32_e32 v64, 0xffff, v65
	v_lshrrev_b32_e32 v52, 16, v65
	v_lshrrev_b32_e32 v65, 16, v53
	v_and_b32_e32 v53, 0xffff, v53
	;;#ASMSTART
	v_cvt_f32_f16 v69, v69;
	;;#ASMEND
	;;#ASMSTART
	v_cvt_f32_f16 v64, v64;
	;;#ASMEND
	;;#ASMSTART
	v_cvt_f32_f16 v52, v52;
	;;#ASMEND
	;;#ASMSTART
	v_cvt_f32_f16 v53, v53;
	;;#ASMEND
	v_fmac_f32_e32 v74, v68, v69
	;;#ASMSTART
	v_cvt_f32_f16 v65, v65;
	;;#ASMEND
	v_fmac_f32_e32 v177, v64, v53
	v_fmac_f32_e32 v75, v52, v65
	v_lshrrev_b32_e32 v52, 16, v66
	v_and_b32_e32 v53, 0xffff, v66
	v_lshrrev_b32_e32 v64, 16, v54
	v_and_b32_e32 v54, 0xffff, v54
	;;#ASMSTART
	v_cvt_f32_f16 v53, v53;
	;;#ASMEND
	;;#ASMSTART
	v_cvt_f32_f16 v52, v52;
	;;#ASMEND
	;; [unrolled: 3-line block ×4, first 2 shown]
	v_fmac_f32_e32 v76, v53, v54
	v_fmac_f32_e32 v178, v52, v64
	v_lshrrev_b32_e32 v52, 16, v67
	v_and_b32_e32 v53, 0xffff, v67
	v_lshrrev_b32_e32 v54, 16, v55
	v_and_b32_e32 v55, 0xffff, v55
	;;#ASMSTART
	v_cvt_f32_f16 v53, v53;
	;;#ASMEND
	;;#ASMSTART
	v_cvt_f32_f16 v52, v52;
	;;#ASMEND
	;; [unrolled: 3-line block ×4, first 2 shown]
	v_fmac_f32_e32 v179, v53, v55
	v_fmac_f32_e32 v77, v52, v54
	ds_load_b128 v[52:55], v58 offset:272
	s_waitcnt vmcnt(6)
	v_lshrrev_b32_e32 v65, 16, v48
	v_and_b32_e32 v48, 0xffff, v48
	s_waitcnt lgkmcnt(0)
	v_lshrrev_b32_e32 v64, 16, v52
	v_and_b32_e32 v52, 0xffff, v52
	;;#ASMSTART
	v_cvt_f32_f16 v52, v52;
	;;#ASMEND
	;;#ASMSTART
	v_cvt_f32_f16 v64, v64;
	;;#ASMEND
	;; [unrolled: 3-line block ×3, first 2 shown]
	s_delay_alu instid0(VALU_DEP_1)
	v_fmac_f32_e32 v176, v52, v48
	v_and_b32_e32 v52, 0xffff, v53
	v_lshrrev_b32_e32 v48, 16, v53
	v_lshrrev_b32_e32 v53, 16, v49
	v_and_b32_e32 v49, 0xffff, v49
	;;#ASMSTART
	v_cvt_f32_f16 v65, v65;
	;;#ASMEND
	;;#ASMSTART
	v_cvt_f32_f16 v52, v52;
	;;#ASMEND
	;; [unrolled: 3-line block ×4, first 2 shown]
	v_fmac_f32_e32 v74, v64, v65
	;;#ASMSTART
	v_cvt_f32_f16 v53, v53;
	;;#ASMEND
	v_fmac_f32_e32 v177, v52, v49
	v_fmac_f32_e32 v75, v48, v53
	v_lshrrev_b32_e32 v48, 16, v54
	v_and_b32_e32 v49, 0xffff, v54
	v_lshrrev_b32_e32 v52, 16, v50
	v_and_b32_e32 v50, 0xffff, v50
	;;#ASMSTART
	v_cvt_f32_f16 v49, v49;
	;;#ASMEND
	;;#ASMSTART
	v_cvt_f32_f16 v48, v48;
	;;#ASMEND
	;; [unrolled: 3-line block ×4, first 2 shown]
	v_fmac_f32_e32 v76, v49, v50
	v_fmac_f32_e32 v178, v48, v52
	v_lshrrev_b32_e32 v48, 16, v55
	v_and_b32_e32 v49, 0xffff, v55
	v_lshrrev_b32_e32 v50, 16, v51
	v_and_b32_e32 v51, 0xffff, v51
	;;#ASMSTART
	v_cvt_f32_f16 v49, v49;
	;;#ASMEND
	;;#ASMSTART
	v_cvt_f32_f16 v48, v48;
	;;#ASMEND
	;; [unrolled: 3-line block ×4, first 2 shown]
	v_fmac_f32_e32 v179, v49, v51
	v_fmac_f32_e32 v77, v48, v50
	ds_load_b128 v[48:51], v58 offset:288
	s_waitcnt vmcnt(5)
	v_lshrrev_b32_e32 v53, 16, v35
	v_and_b32_e32 v35, 0xffff, v35
	s_waitcnt lgkmcnt(0)
	v_lshrrev_b32_e32 v52, 16, v48
	v_and_b32_e32 v48, 0xffff, v48
	;;#ASMSTART
	v_cvt_f32_f16 v48, v48;
	;;#ASMEND
	;;#ASMSTART
	v_cvt_f32_f16 v52, v52;
	;;#ASMEND
	;; [unrolled: 3-line block ×3, first 2 shown]
	s_delay_alu instid0(VALU_DEP_1)
	v_fmac_f32_e32 v176, v48, v35
	v_lshrrev_b32_e32 v35, 16, v49
	v_and_b32_e32 v48, 0xffff, v49
	v_lshrrev_b32_e32 v49, 16, v36
	v_and_b32_e32 v36, 0xffff, v36
	;;#ASMSTART
	v_cvt_f32_f16 v53, v53;
	;;#ASMEND
	;;#ASMSTART
	v_cvt_f32_f16 v48, v48;
	;;#ASMEND
	;; [unrolled: 3-line block ×5, first 2 shown]
	v_dual_fmac_f32 v177, v48, v36 :: v_dual_and_b32 v36, 0xffff, v50
	v_fmac_f32_e32 v75, v35, v49
	v_lshrrev_b32_e32 v35, 16, v50
	;;#ASMSTART
	v_cvt_f32_f16 v36, v36;
	;;#ASMEND
	;;#ASMSTART
	v_cvt_f32_f16 v35, v35;
	;;#ASMEND
	v_lshrrev_b32_e32 v48, 16, v37
	v_and_b32_e32 v37, 0xffff, v37
	;;#ASMSTART
	v_cvt_f32_f16 v37, v37;
	;;#ASMEND
	;;#ASMSTART
	v_cvt_f32_f16 v48, v48;
	;;#ASMEND
	s_delay_alu instid0(VALU_DEP_1)
	v_fmac_f32_e32 v76, v36, v37
	v_fmac_f32_e32 v178, v35, v48
	v_lshrrev_b32_e32 v35, 16, v51
	v_and_b32_e32 v36, 0xffff, v51
	;;#ASMSTART
	v_cvt_f32_f16 v36, v36;
	;;#ASMEND
	;;#ASMSTART
	v_cvt_f32_f16 v35, v35;
	;;#ASMEND
	v_lshrrev_b32_e32 v37, 16, v38
	v_and_b32_e32 v38, 0xffff, v38
	;;#ASMSTART
	v_cvt_f32_f16 v38, v38;
	;;#ASMEND
	;;#ASMSTART
	v_cvt_f32_f16 v37, v37;
	;;#ASMEND
	s_delay_alu instid0(VALU_DEP_2) | instskip(NEXT) | instid1(VALU_DEP_2)
	v_fmac_f32_e32 v77, v35, v37
	v_fmac_f32_e32 v179, v36, v38
	ds_load_b128 v[35:38], v58 offset:304
	s_waitcnt vmcnt(4)
	v_lshrrev_b32_e32 v49, 16, v31
	v_dual_fmac_f32 v74, v52, v53 :: v_dual_and_b32 v31, 0xffff, v31
	s_waitcnt lgkmcnt(0)
	v_lshrrev_b32_e32 v48, 16, v35
	v_and_b32_e32 v35, 0xffff, v35
	;;#ASMSTART
	v_cvt_f32_f16 v35, v35;
	;;#ASMEND
	;;#ASMSTART
	v_cvt_f32_f16 v48, v48;
	;;#ASMEND
	;; [unrolled: 3-line block ×3, first 2 shown]
	s_delay_alu instid0(VALU_DEP_1)
	v_fmac_f32_e32 v176, v35, v31
	v_lshrrev_b32_e32 v31, 16, v36
	v_and_b32_e32 v35, 0xffff, v36
	v_lshrrev_b32_e32 v36, 16, v32
	v_and_b32_e32 v32, 0xffff, v32
	;;#ASMSTART
	v_cvt_f32_f16 v49, v49;
	;;#ASMEND
	;;#ASMSTART
	v_cvt_f32_f16 v35, v35;
	;;#ASMEND
	;; [unrolled: 3-line block ×5, first 2 shown]
	v_dual_fmac_f32 v177, v35, v32 :: v_dual_and_b32 v32, 0xffff, v37
	v_fmac_f32_e32 v75, v31, v36
	v_lshrrev_b32_e32 v31, 16, v37
	;;#ASMSTART
	v_cvt_f32_f16 v32, v32;
	;;#ASMEND
	;;#ASMSTART
	v_cvt_f32_f16 v31, v31;
	;;#ASMEND
	v_lshrrev_b32_e32 v35, 16, v33
	v_and_b32_e32 v33, 0xffff, v33
	;;#ASMSTART
	v_cvt_f32_f16 v33, v33;
	;;#ASMEND
	;;#ASMSTART
	v_cvt_f32_f16 v35, v35;
	;;#ASMEND
	s_delay_alu instid0(VALU_DEP_2) | instskip(NEXT) | instid1(VALU_DEP_2)
	v_fmac_f32_e32 v178, v31, v35
	v_fmac_f32_e32 v76, v32, v33
	v_lshrrev_b32_e32 v31, 16, v38
	v_and_b32_e32 v32, 0xffff, v38
	;;#ASMSTART
	v_cvt_f32_f16 v32, v32;
	;;#ASMEND
	;;#ASMSTART
	v_cvt_f32_f16 v31, v31;
	;;#ASMEND
	v_lshrrev_b32_e32 v33, 16, v34
	v_and_b32_e32 v34, 0xffff, v34
	;;#ASMSTART
	v_cvt_f32_f16 v34, v34;
	;;#ASMEND
	;;#ASMSTART
	v_cvt_f32_f16 v33, v33;
	;;#ASMEND
	s_delay_alu instid0(VALU_DEP_2) | instskip(NEXT) | instid1(VALU_DEP_2)
	v_fmac_f32_e32 v77, v31, v33
	v_fmac_f32_e32 v179, v32, v34
	ds_load_b128 v[31:34], v58 offset:320
	s_waitcnt vmcnt(3)
	v_lshrrev_b32_e32 v36, 16, v27
	v_dual_fmac_f32 v74, v48, v49 :: v_dual_and_b32 v27, 0xffff, v27
	s_waitcnt lgkmcnt(0)
	v_lshrrev_b32_e32 v35, 16, v31
	v_and_b32_e32 v31, 0xffff, v31
	;;#ASMSTART
	v_cvt_f32_f16 v31, v31;
	;;#ASMEND
	;;#ASMSTART
	v_cvt_f32_f16 v35, v35;
	;;#ASMEND
	;; [unrolled: 3-line block ×3, first 2 shown]
	s_delay_alu instid0(VALU_DEP_1)
	v_fmac_f32_e32 v176, v31, v27
	v_lshrrev_b32_e32 v27, 16, v32
	v_and_b32_e32 v31, 0xffff, v32
	v_lshrrev_b32_e32 v32, 16, v28
	v_and_b32_e32 v28, 0xffff, v28
	;;#ASMSTART
	v_cvt_f32_f16 v36, v36;
	;;#ASMEND
	;;#ASMSTART
	v_cvt_f32_f16 v31, v31;
	;;#ASMEND
	;; [unrolled: 3-line block ×5, first 2 shown]
	v_dual_fmac_f32 v177, v31, v28 :: v_dual_and_b32 v28, 0xffff, v33
	v_fmac_f32_e32 v75, v27, v32
	v_lshrrev_b32_e32 v27, 16, v33
	;;#ASMSTART
	v_cvt_f32_f16 v28, v28;
	;;#ASMEND
	;;#ASMSTART
	v_cvt_f32_f16 v27, v27;
	;;#ASMEND
	v_lshrrev_b32_e32 v31, 16, v29
	v_and_b32_e32 v29, 0xffff, v29
	;;#ASMSTART
	v_cvt_f32_f16 v29, v29;
	;;#ASMEND
	;;#ASMSTART
	v_cvt_f32_f16 v31, v31;
	;;#ASMEND
	s_delay_alu instid0(VALU_DEP_2) | instskip(NEXT) | instid1(VALU_DEP_2)
	v_fmac_f32_e32 v178, v27, v31
	v_fmac_f32_e32 v76, v28, v29
	v_lshrrev_b32_e32 v27, 16, v34
	v_and_b32_e32 v28, 0xffff, v34
	;;#ASMSTART
	v_cvt_f32_f16 v28, v28;
	;;#ASMEND
	;;#ASMSTART
	v_cvt_f32_f16 v27, v27;
	;;#ASMEND
	v_lshrrev_b32_e32 v29, 16, v30
	v_and_b32_e32 v30, 0xffff, v30
	;;#ASMSTART
	v_cvt_f32_f16 v30, v30;
	;;#ASMEND
	;;#ASMSTART
	v_cvt_f32_f16 v29, v29;
	;;#ASMEND
	s_delay_alu instid0(VALU_DEP_2) | instskip(NEXT) | instid1(VALU_DEP_2)
	v_fmac_f32_e32 v77, v27, v29
	v_fmac_f32_e32 v179, v28, v30
	ds_load_b128 v[27:30], v58 offset:336
	s_waitcnt vmcnt(2)
	v_lshrrev_b32_e32 v32, 16, v23
	v_dual_fmac_f32 v74, v35, v36 :: v_dual_and_b32 v23, 0xffff, v23
	s_waitcnt lgkmcnt(0)
	v_lshrrev_b32_e32 v31, 16, v27
	v_and_b32_e32 v27, 0xffff, v27
	;;#ASMSTART
	v_cvt_f32_f16 v27, v27;
	;;#ASMEND
	;;#ASMSTART
	v_cvt_f32_f16 v31, v31;
	;;#ASMEND
	;; [unrolled: 3-line block ×3, first 2 shown]
	s_delay_alu instid0(VALU_DEP_1)
	v_fmac_f32_e32 v176, v27, v23
	v_lshrrev_b32_e32 v23, 16, v28
	v_and_b32_e32 v27, 0xffff, v28
	v_lshrrev_b32_e32 v28, 16, v24
	v_and_b32_e32 v24, 0xffff, v24
	;;#ASMSTART
	v_cvt_f32_f16 v32, v32;
	;;#ASMEND
	;;#ASMSTART
	v_cvt_f32_f16 v27, v27;
	;;#ASMEND
	;; [unrolled: 3-line block ×5, first 2 shown]
	v_dual_fmac_f32 v177, v27, v24 :: v_dual_and_b32 v24, 0xffff, v29
	v_fmac_f32_e32 v75, v23, v28
	v_lshrrev_b32_e32 v23, 16, v29
	;;#ASMSTART
	v_cvt_f32_f16 v24, v24;
	;;#ASMEND
	;;#ASMSTART
	v_cvt_f32_f16 v23, v23;
	;;#ASMEND
	v_lshrrev_b32_e32 v27, 16, v25
	v_and_b32_e32 v25, 0xffff, v25
	;;#ASMSTART
	v_cvt_f32_f16 v25, v25;
	;;#ASMEND
	;;#ASMSTART
	v_cvt_f32_f16 v27, v27;
	;;#ASMEND
	s_delay_alu instid0(VALU_DEP_2) | instskip(NEXT) | instid1(VALU_DEP_2)
	v_fmac_f32_e32 v178, v23, v27
	v_fmac_f32_e32 v76, v24, v25
	v_lshrrev_b32_e32 v23, 16, v30
	v_and_b32_e32 v24, 0xffff, v30
	;;#ASMSTART
	v_cvt_f32_f16 v24, v24;
	;;#ASMEND
	;;#ASMSTART
	v_cvt_f32_f16 v23, v23;
	;;#ASMEND
	v_lshrrev_b32_e32 v25, 16, v26
	v_and_b32_e32 v26, 0xffff, v26
	;;#ASMSTART
	v_cvt_f32_f16 v26, v26;
	;;#ASMEND
	;;#ASMSTART
	v_cvt_f32_f16 v25, v25;
	;;#ASMEND
	s_delay_alu instid0(VALU_DEP_2) | instskip(NEXT) | instid1(VALU_DEP_2)
	v_fmac_f32_e32 v77, v23, v25
	v_fmac_f32_e32 v179, v24, v26
	ds_load_b128 v[23:26], v58 offset:352
	s_waitcnt vmcnt(1)
	v_lshrrev_b32_e32 v28, 16, v16
	v_and_b32_e32 v16, 0xffff, v16
	v_fmac_f32_e32 v74, v31, v32
	s_waitcnt lgkmcnt(0)
	v_lshrrev_b32_e32 v27, 16, v23
	v_and_b32_e32 v23, 0xffff, v23
	;;#ASMSTART
	v_cvt_f32_f16 v23, v23;
	;;#ASMEND
	;;#ASMSTART
	v_cvt_f32_f16 v27, v27;
	;;#ASMEND
	;; [unrolled: 3-line block ×3, first 2 shown]
	s_delay_alu instid0(VALU_DEP_1)
	v_fmac_f32_e32 v176, v23, v16
	v_lshrrev_b32_e32 v16, 16, v24
	v_and_b32_e32 v23, 0xffff, v24
	v_lshrrev_b32_e32 v24, 16, v17
	v_and_b32_e32 v17, 0xffff, v17
	;;#ASMSTART
	v_cvt_f32_f16 v28, v28;
	;;#ASMEND
	;;#ASMSTART
	v_cvt_f32_f16 v23, v23;
	;;#ASMEND
	;; [unrolled: 3-line block ×5, first 2 shown]
	v_fmac_f32_e32 v177, v23, v17
	v_fmac_f32_e32 v75, v16, v24
	v_lshrrev_b32_e32 v16, 16, v25
	v_and_b32_e32 v17, 0xffff, v25
	v_lshrrev_b32_e32 v23, 16, v18
	v_and_b32_e32 v18, 0xffff, v18
	;;#ASMSTART
	v_cvt_f32_f16 v17, v17;
	;;#ASMEND
	;;#ASMSTART
	v_cvt_f32_f16 v16, v16;
	;;#ASMEND
	;; [unrolled: 3-line block ×3, first 2 shown]
	v_fmac_f32_e32 v74, v27, v28
	;;#ASMSTART
	v_cvt_f32_f16 v23, v23;
	;;#ASMEND
	v_fmac_f32_e32 v178, v16, v23
	v_fmac_f32_e32 v76, v17, v18
	v_lshrrev_b32_e32 v16, 16, v26
	v_and_b32_e32 v17, 0xffff, v26
	v_lshrrev_b32_e32 v18, 16, v19
	v_and_b32_e32 v19, 0xffff, v19
	;;#ASMSTART
	v_cvt_f32_f16 v17, v17;
	;;#ASMEND
	;;#ASMSTART
	v_cvt_f32_f16 v16, v16;
	;;#ASMEND
	;; [unrolled: 3-line block ×4, first 2 shown]
	v_fmac_f32_e32 v179, v17, v19
	v_fmac_f32_e32 v77, v16, v18
	ds_load_b128 v[16:19], v58 offset:368
	s_waitcnt vmcnt(0)
	v_lshrrev_b32_e32 v24, 16, v6
	v_and_b32_e32 v6, 0xffff, v6
	s_waitcnt lgkmcnt(0)
	v_lshrrev_b32_e32 v23, 16, v16
	v_and_b32_e32 v16, 0xffff, v16
	;;#ASMSTART
	v_cvt_f32_f16 v16, v16;
	;;#ASMEND
	;;#ASMSTART
	v_cvt_f32_f16 v23, v23;
	;;#ASMEND
	;;#ASMSTART
	v_cvt_f32_f16 v6, v6;
	;;#ASMEND
	s_delay_alu instid0(VALU_DEP_1)
	v_fmac_f32_e32 v176, v16, v6
	v_and_b32_e32 v16, 0xffff, v17
	v_lshrrev_b32_e32 v6, 16, v17
	v_lshrrev_b32_e32 v17, 16, v7
	v_and_b32_e32 v7, 0xffff, v7
	;;#ASMSTART
	v_cvt_f32_f16 v24, v24;
	;;#ASMEND
	v_fmac_f32_e32 v74, v23, v24
	;;#ASMSTART
	v_cvt_f32_f16 v16, v16;
	;;#ASMEND
	;;#ASMSTART
	v_cvt_f32_f16 v6, v6;
	;;#ASMEND
	;; [unrolled: 3-line block ×4, first 2 shown]
	v_fmac_f32_e32 v177, v16, v7
	v_fmac_f32_e32 v75, v6, v17
	v_lshrrev_b32_e32 v6, 16, v18
	v_lshrrev_b32_e32 v16, 16, v8
	v_and_b32_e32 v8, 0xffff, v8
	v_and_b32_e32 v7, 0xffff, v18
	;;#ASMSTART
	v_cvt_f32_f16 v7, v7;
	;;#ASMEND
	;;#ASMSTART
	v_cvt_f32_f16 v6, v6;
	;;#ASMEND
	;; [unrolled: 3-line block ×4, first 2 shown]
	v_fmac_f32_e32 v76, v7, v8
	v_fmac_f32_e32 v178, v6, v16
	v_lshrrev_b32_e32 v6, 16, v19
	v_and_b32_e32 v7, 0xffff, v19
	;;#ASMSTART
	v_cvt_f32_f16 v7, v7;
	;;#ASMEND
	;;#ASMSTART
	v_cvt_f32_f16 v6, v6;
	;;#ASMEND
	v_lshrrev_b32_e32 v8, 16, v9
	v_and_b32_e32 v9, 0xffff, v9
	;;#ASMSTART
	v_cvt_f32_f16 v9, v9;
	;;#ASMEND
	;;#ASMSTART
	v_cvt_f32_f16 v8, v8;
	;;#ASMEND
	s_delay_alu instid0(VALU_DEP_2) | instskip(NEXT) | instid1(VALU_DEP_1)
	v_dual_fmac_f32 v77, v6, v8 :: v_dual_add_f32 v6, v176, v74
	v_add_f32_e32 v6, v6, v177
	s_delay_alu instid0(VALU_DEP_1) | instskip(NEXT) | instid1(VALU_DEP_1)
	v_add_f32_e32 v6, v75, v6
	v_dual_add_f32 v6, v6, v76 :: v_dual_fmac_f32 v179, v7, v9
	s_delay_alu instid0(VALU_DEP_1) | instskip(NEXT) | instid1(VALU_DEP_1)
	v_add_f32_e32 v6, v178, v6
	v_add_f32_e32 v6, v6, v179
	s_delay_alu instid0(VALU_DEP_1) | instskip(NEXT) | instid1(VALU_DEP_1)
	v_add_f32_e32 v6, v77, v6
	v_fmac_f32_e32 v73, v6, v13
	s_delay_alu instid0(VALU_DEP_1) | instskip(SKIP_2) | instid1(VALU_DEP_1)
	v_cndmask_b32_e64 v6, 0, v73, s1
	ds_store_b32 v63, v6
	v_dual_max_f32 v6, v57, v57 :: v_dual_add_nc_u32 v63, 0x200, v63
	v_max_f32_e32 v6, v6, v73
	s_delay_alu instid0(VALU_DEP_1) | instskip(SKIP_1) | instid1(VALU_DEP_1)
	v_cndmask_b32_e64 v57, v57, v6, s1
	v_add_co_u32 v39, s1, v39, 16
	v_add_co_ci_u32_e64 v40, s1, 0, v40, s1
	v_cmp_ge_i32_e64 s1, v72, v44
	s_delay_alu instid0(VALU_DEP_1) | instskip(NEXT) | instid1(SALU_CYCLE_1)
	s_or_b32 s7, s1, s7
	s_and_not1_b32 exec_lo, exec_lo, s7
	s_cbranch_execnz .LBB128_7
; %bb.8:
	s_or_b32 exec_lo, exec_lo, s7
.LBB128_9:
	s_delay_alu instid0(SALU_CYCLE_1) | instskip(SKIP_3) | instid1(VALU_DEP_2)
	s_or_b32 exec_lo, exec_lo, s8
	v_mbcnt_lo_u32_b32 v6, -1, 0
	s_lshr_b32 s8, s3, 16
	v_max_f32_e32 v13, v57, v57
	v_xor_b32_e32 v7, 16, v6
	v_xor_b32_e32 v9, 8, v6
	;; [unrolled: 1-line block ×4, first 2 shown]
	s_delay_alu instid0(VALU_DEP_4) | instskip(SKIP_4) | instid1(VALU_DEP_2)
	v_cmp_gt_i32_e32 vcc_lo, 32, v7
	v_cndmask_b32_e32 v7, v6, v7, vcc_lo
	v_cmp_gt_i32_e32 vcc_lo, 32, v9
	v_cndmask_b32_e32 v9, v6, v9, vcc_lo
	v_cmp_gt_i32_e32 vcc_lo, 32, v16
	v_dual_cndmask_b32 v16, v6, v16 :: v_dual_lshlrev_b32 v9, 2, v9
	s_delay_alu instid0(VALU_DEP_1) | instskip(SKIP_1) | instid1(VALU_DEP_1)
	v_lshlrev_b32_e32 v17, 2, v16
	v_xor_b32_e32 v16, 2, v6
	v_cmp_gt_i32_e32 vcc_lo, 32, v16
	v_cndmask_b32_e32 v16, v6, v16, vcc_lo
	v_cmp_gt_i32_e32 vcc_lo, 32, v18
	s_delay_alu instid0(VALU_DEP_2)
	v_lshlrev_b32_e32 v16, 2, v16
	v_lshlrev_b32_e32 v8, 2, v7
	v_cndmask_b32_e32 v18, v6, v18, vcc_lo
	v_cmp_eq_u32_e32 vcc_lo, 0, v42
	ds_bpermute_b32 v7, v8, v57
	s_waitcnt lgkmcnt(0)
	v_max_f32_e32 v7, v7, v7
	s_delay_alu instid0(VALU_DEP_1) | instskip(SKIP_3) | instid1(VALU_DEP_1)
	v_max_f32_e32 v7, v13, v7
	ds_bpermute_b32 v13, v9, v7
	s_waitcnt lgkmcnt(0)
	v_max_f32_e32 v13, v13, v13
	v_max_f32_e32 v7, v7, v13
	ds_bpermute_b32 v13, v17, v7
	s_waitcnt lgkmcnt(0)
	v_max_f32_e32 v13, v13, v13
	s_delay_alu instid0(VALU_DEP_1) | instskip(SKIP_3) | instid1(VALU_DEP_1)
	v_max_f32_e32 v7, v7, v13
	ds_bpermute_b32 v13, v16, v7
	s_waitcnt lgkmcnt(0)
	v_max_f32_e32 v13, v13, v13
	v_dual_max_f32 v6, v7, v13 :: v_dual_lshlrev_b32 v13, 2, v18
	v_lshlrev_b32_e32 v18, 2, v41
	ds_bpermute_b32 v7, v13, v6
	s_and_saveexec_b32 s1, vcc_lo
	s_cbranch_execz .LBB128_11
; %bb.10:
	s_waitcnt lgkmcnt(0)
	v_dual_max_f32 v7, v7, v7 :: v_dual_max_f32 v6, v6, v6
	s_delay_alu instid0(VALU_DEP_1)
	v_max_f32_e32 v6, v6, v7
	ds_store_b32 v18, v6 offset:384
.LBB128_11:
	s_or_b32 exec_lo, exec_lo, s1
	v_cmp_gt_u32_e64 s1, 4, v42
	v_mov_b32_e32 v6, 0xff7fffff
	s_waitcnt lgkmcnt(0)
	s_barrier
	buffer_gl0_inv
	s_and_saveexec_b32 s3, s1
	s_cbranch_execz .LBB128_13
; %bb.12:
	ds_load_b32 v6, v47 offset:384
.LBB128_13:
	s_or_b32 exec_lo, exec_lo, s3
	s_waitcnt lgkmcnt(0)
	ds_bpermute_b32 v7, v16, v6
	v_max_f32_e32 v6, v6, v6
	v_subrev_nc_u32_e32 v23, s2, v44
	v_mov_b32_e32 v19, 0
	s_waitcnt lgkmcnt(0)
	v_max_f32_e32 v7, v7, v7
	s_delay_alu instid0(VALU_DEP_1) | instskip(SKIP_3) | instid1(VALU_DEP_1)
	v_max_f32_e32 v6, v6, v7
	ds_bpermute_b32 v7, v13, v6
	s_waitcnt lgkmcnt(0)
	v_max_f32_e32 v7, v7, v7
	v_max_f32_e32 v6, v6, v7
	v_lshl_add_u32 v7, v23, 5, s16
	ds_bpermute_b32 v6, v19, v6
	v_min_i32_e32 v7, v7, v43
	s_delay_alu instid0(VALU_DEP_1) | instskip(NEXT) | instid1(VALU_DEP_1)
	v_subrev_nc_u32_e32 v7, s16, v7
	v_cmp_lt_i32_e64 s2, v12, v7
	s_delay_alu instid0(VALU_DEP_1)
	s_and_saveexec_b32 s9, s2
	s_cbranch_execz .LBB128_17
; %bb.14:
	s_getpc_b64 s[18:19]
	s_add_u32 s18, s18, llvm.amdgcn.dynlds.offset.table@rel32@lo+4
	s_addc_u32 s19, s19, llvm.amdgcn.dynlds.offset.table@rel32@hi+12
	s_ashr_i32 s7, s6, 31
	v_dual_mov_b32 v19, 0 :: v_dual_mov_b32 v24, v12
	s_lshl_b64 s[20:21], s[6:7], 2
	s_mov_b32 s7, 0
	s_add_u32 s18, s20, s18
	s_addc_u32 s19, s21, s19
	s_load_b32 s3, s[18:19], 0x0
	s_waitcnt lgkmcnt(0)
	v_lshl_add_u32 v23, v12, 2, s3
	.p2align	6
.LBB128_15:                             ; =>This Inner Loop Header: Depth=1
	ds_load_b32 v25, v23
	v_add_nc_u32_e32 v24, 0x80, v24
	s_delay_alu instid0(VALU_DEP_1) | instskip(NEXT) | instid1(VALU_DEP_1)
	v_cmp_ge_i32_e64 s3, v24, v7
	s_or_b32 s7, s3, s7
	s_waitcnt lgkmcnt(0)
	v_sub_f32_e32 v25, v25, v6
	s_delay_alu instid0(VALU_DEP_1) | instskip(NEXT) | instid1(VALU_DEP_1)
	v_mul_f32_e32 v25, 0x3fb8aa3b, v25
	v_exp_f32_e32 v25, v25
	ds_store_b32 v23, v25
	v_add_f32_e32 v19, v19, v25
	v_add_nc_u32_e32 v23, 0x200, v23
	s_and_not1_b32 exec_lo, exec_lo, s7
	s_cbranch_execnz .LBB128_15
; %bb.16:
	s_or_b32 exec_lo, exec_lo, s7
.LBB128_17:
	s_delay_alu instid0(SALU_CYCLE_1)
	s_or_b32 exec_lo, exec_lo, s9
	ds_bpermute_b32 v8, v8, v19
	s_waitcnt lgkmcnt(0)
	v_add_f32_e32 v8, v19, v8
	ds_bpermute_b32 v9, v9, v8
	s_waitcnt lgkmcnt(0)
	v_add_f32_e32 v8, v8, v9
	;; [unrolled: 3-line block ×5, first 2 shown]
	s_and_saveexec_b32 s3, vcc_lo
	s_cbranch_execz .LBB128_19
; %bb.18:
	ds_store_b32 v18, v8 offset:400
.LBB128_19:
	s_or_b32 exec_lo, exec_lo, s3
	s_waitcnt lgkmcnt(0)
	s_barrier
	buffer_gl0_inv
	s_and_saveexec_b32 s3, s1
	s_cbranch_execz .LBB128_21
; %bb.20:
	ds_load_b32 v8, v47 offset:400
.LBB128_21:
	s_or_b32 exec_lo, exec_lo, s3
	s_waitcnt lgkmcnt(0)
	ds_bpermute_b32 v9, v16, v8
	s_waitcnt lgkmcnt(0)
	v_add_f32_e32 v8, v8, v9
	ds_bpermute_b32 v9, v13, v8
	s_waitcnt lgkmcnt(0)
	v_dual_add_f32 v8, v8, v9 :: v_dual_mov_b32 v9, 0
	ds_bpermute_b32 v8, v9, v8
	s_and_saveexec_b32 s1, s2
	s_cbranch_execz .LBB128_24
; %bb.22:
	s_waitcnt lgkmcnt(0)
	v_add_f32_e32 v17, 0x358637bd, v8
	s_getpc_b64 s[2:3]
	s_add_u32 s2, s2, llvm.amdgcn.dynlds.offset.table@rel32@lo+4
	s_addc_u32 s3, s3, llvm.amdgcn.dynlds.offset.table@rel32@hi+12
	s_ashr_i32 s7, s6, 31
	s_delay_alu instid0(SALU_CYCLE_1) | instskip(SKIP_4) | instid1(VALU_DEP_1)
	s_lshl_b64 s[18:19], s[6:7], 2
	v_div_scale_f32 v9, null, v17, v17, 1.0
	s_add_u32 s2, s18, s2
	s_addc_u32 s3, s19, s3
	s_load_b32 s2, s[2:3], 0x0
	v_rcp_f32_e32 v18, v9
	s_waitcnt_depctr 0xfff
	v_fma_f32 v19, -v9, v18, 1.0
	s_delay_alu instid0(VALU_DEP_1) | instskip(SKIP_1) | instid1(VALU_DEP_1)
	v_fmac_f32_e32 v18, v19, v18
	v_div_scale_f32 v23, vcc_lo, 1.0, v17, 1.0
	v_mul_f32_e32 v19, v23, v18
	s_delay_alu instid0(VALU_DEP_1) | instskip(NEXT) | instid1(VALU_DEP_1)
	v_fma_f32 v24, -v9, v19, v23
	v_fmac_f32_e32 v19, v24, v18
	s_delay_alu instid0(VALU_DEP_1) | instskip(NEXT) | instid1(VALU_DEP_1)
	v_fma_f32 v9, -v9, v19, v23
	v_div_fmas_f32 v18, v9, v18, v19
	s_waitcnt lgkmcnt(0)
	v_lshl_add_u32 v9, v12, 2, s2
	s_mov_b32 s2, 0
	s_delay_alu instid0(VALU_DEP_2)
	v_div_fixup_f32 v17, v18, v17, 1.0
	v_mov_b32_e32 v18, v12
.LBB128_23:                             ; =>This Inner Loop Header: Depth=1
	ds_load_b32 v19, v9
	s_waitcnt lgkmcnt(0)
	v_dual_mul_f32 v19, v17, v19 :: v_dual_add_nc_u32 v18, 0x80, v18
	s_delay_alu instid0(VALU_DEP_1) | instskip(SKIP_3) | instid1(SALU_CYCLE_1)
	v_cmp_ge_i32_e32 vcc_lo, v18, v7
	ds_store_b32 v9, v19
	v_add_nc_u32_e32 v9, 0x200, v9
	s_or_b32 s2, vcc_lo, s2
	s_and_not1_b32 exec_lo, exec_lo, s2
	s_cbranch_execnz .LBB128_23
.LBB128_24:
	s_or_b32 exec_lo, exec_lo, s1
	v_cmp_ne_u16_e64 s1, s8, 0
	s_waitcnt lgkmcnt(0)
	s_barrier
	buffer_gl0_inv
	s_cmp_lg_u32 s1, 0
	s_addc_u32 s1, s5, 0
	s_mov_b32 s5, exec_lo
	s_mul_i32 s2, s1, s10
	s_delay_alu instid0(SALU_CYCLE_1)
	s_mul_i32 s2, s2, s15
	v_cmpx_eq_u32_e32 0, v12
	s_cbranch_execz .LBB128_26
; %bb.25:
	s_mul_i32 s8, s1, s12
	s_ashr_i32 s15, s14, 31
	s_ashr_i32 s9, s8, 31
	;; [unrolled: 1-line block ×3, first 2 shown]
	s_lshl_b64 s[8:9], s[8:9], 2
	s_lshl_b64 s[12:13], s[14:15], 2
	;; [unrolled: 1-line block ×3, first 2 shown]
	s_add_u32 s3, s12, s8
	s_addc_u32 s7, s13, s9
	s_add_u32 s3, s3, s18
	s_addc_u32 s7, s7, s19
	v_add_co_u32 v2, vcc_lo, s3, v2
	v_add_co_ci_u32_e32 v3, vcc_lo, s7, v3, vcc_lo
	v_add_co_u32 v0, vcc_lo, s3, v0
	v_add_co_ci_u32_e32 v1, vcc_lo, s7, v1, vcc_lo
	flat_store_b32 v[2:3], v6
	flat_store_b32 v[0:1], v8
.LBB128_26:
	s_or_b32 exec_lo, exec_lo, s5
                                        ; implicit-def: $sgpr5
	s_and_saveexec_b32 s3, s0
	s_delay_alu instid0(SALU_CYCLE_1)
	s_xor_b32 s0, exec_lo, s3
; %bb.27:
	s_ashr_i32 s7, s6, 31
	s_mov_b32 s5, 0
                                        ; implicit-def: $vgpr43
                                        ; implicit-def: $vgpr46
                                        ; implicit-def: $vgpr44
                                        ; implicit-def: $vgpr20
                                        ; implicit-def: $vgpr10
                                        ; implicit-def: $vgpr11
                                        ; implicit-def: $vgpr14
                                        ; implicit-def: $vgpr15
                                        ; implicit-def: $vgpr22
                                        ; implicit-def: $vgpr182
                                        ; implicit-def: $vgpr180_vgpr181
                                        ; implicit-def: $vgpr45
; %bb.28:
	s_or_saveexec_b32 s3, s0
	v_dual_mov_b32 v49, s5 :: v_dual_mov_b32 v0, s6
	v_dual_mov_b32 v1, s7 :: v_dual_mov_b32 v52, s5
	v_dual_mov_b32 v50, s5 :: v_dual_and_b32 v17, 3, v12
	v_dual_mov_b32 v51, s5 :: v_dual_mov_b32 v48, s5
	v_dual_mov_b32 v39, s5 :: v_dual_mov_b32 v38, s5
	;; [unrolled: 1-line block ×10, first 2 shown]
	v_mov_b32_e32 v19, s5
	s_xor_b32 exec_lo, exec_lo, s3
	s_cbranch_execz .LBB128_80
; %bb.29:
	s_getpc_b64 s[8:9]
	s_add_u32 s8, s8, llvm.amdgcn.dynlds.offset.table@rel32@lo+4
	s_addc_u32 s9, s9, llvm.amdgcn.dynlds.offset.table@rel32@hi+12
	s_ashr_i32 s7, s6, 31
	v_lshlrev_b64 v[0:1], 1, v[182:183]
	s_lshl_b64 s[12:13], s[6:7], 2
	v_dual_mov_b32 v55, v43 :: v_dual_lshlrev_b32 v2, 3, v12
	s_add_u32 s8, s12, s8
	s_addc_u32 s9, s13, s9
	s_delay_alu instid0(VALU_DEP_2)
	v_add_co_u32 v10, vcc_lo, v10, v0
	s_load_b32 s0, s[8:9], 0x0
	v_add_co_ci_u32_e32 v11, vcc_lo, v11, v1, vcc_lo
	v_lshlrev_b64 v[0:1], 2, v[20:21]
	v_dual_mov_b32 v18, 0 :: v_dual_and_b32 v3, 24, v2
	v_dual_mov_b32 v65, v43 :: v_dual_and_b32 v2, 0xf8, v2
	v_dual_mov_b32 v21, v43 :: v_dual_lshlrev_b32 v6, 5, v17
	s_delay_alu instid0(VALU_DEP_4) | instskip(NEXT) | instid1(VALU_DEP_3)
	v_add_co_u32 v0, vcc_lo, v180, v0
	v_or_b32_e32 v8, 0x800, v2
	v_or_b32_e32 v9, 0x900, v2
	;; [unrolled: 1-line block ×16, first 2 shown]
	v_add_co_ci_u32_e32 v1, vcc_lo, v181, v1, vcc_lo
	v_lshl_or_b32 v36, v41, 7, v6
	v_add_co_u32 v6, vcc_lo, v14, v0
	v_dual_mov_b32 v54, v43 :: v_dual_add_nc_u32 v53, -1, v46
	v_mov_b32_e32 v64, v43
	v_dual_mov_b32 v66, v43 :: v_dual_lshlrev_b32 v69, 1, v8
	v_dual_mov_b32 v67, v43 :: v_dual_lshlrev_b32 v68, 1, v2
	v_add_co_ci_u32_e32 v7, vcc_lo, v15, v1, vcc_lo
	v_add3_u32 v14, s16, v45, v3
	s_waitcnt lgkmcnt(0)
	v_add_nc_u32_e32 v15, s0, v36
	v_lshlrev_b32_e32 v70, 1, v9
	v_lshlrev_b32_e32 v71, 1, v19
	v_dual_mov_b32 v23, 0 :: v_dual_lshlrev_b32 v80, 1, v23
	v_lshlrev_b32_e32 v81, 1, v24
	v_dual_mov_b32 v25, 0 :: v_dual_lshlrev_b32 v82, 1, v25
	v_lshlrev_b32_e32 v83, 1, v26
	v_dual_mov_b32 v27, 0 :: v_dual_lshlrev_b32 v84, 1, v27
	v_lshlrev_b32_e32 v85, 1, v28
	v_dual_mov_b32 v29, 0 :: v_dual_lshlrev_b32 v86, 1, v29
	v_lshlrev_b32_e32 v87, 1, v30
	v_dual_mov_b32 v31, 0 :: v_dual_lshlrev_b32 v96, 1, v31
	v_lshlrev_b32_e32 v97, 1, v32
	v_dual_mov_b32 v33, 0 :: v_dual_lshlrev_b32 v98, 1, v33
	v_dual_mov_b32 v36, 0 :: v_dual_lshlrev_b32 v99, 1, v34
	v_dual_mov_b32 v35, 0 :: v_dual_lshlrev_b32 v100, 1, v35
	v_dual_mov_b32 v19, 0 :: v_dual_mov_b32 v24, 0
	v_mov_b32_e32 v26, 0
	v_mov_b32_e32 v28, 0
	;; [unrolled: 1-line block ×4, first 2 shown]
	v_dual_mov_b32 v34, 0 :: v_dual_mov_b32 v37, 0
	v_dual_mov_b32 v38, 0 :: v_dual_mov_b32 v39, 0
	v_mov_b32_e32 v48, 0
	v_dual_mov_b32 v50, 0 :: v_dual_mov_b32 v51, 0
	v_dual_mov_b32 v52, 0 :: v_dual_mov_b32 v49, 0
	s_mov_b32 s5, 0
	s_branch .LBB128_31
.LBB128_30:                             ;   in Loop: Header=BB128_31 Depth=1
	s_or_b32 exec_lo, exec_lo, s0
	v_dual_add_f32 v116, v62, v63 :: v_dual_add_f32 v117, v60, v61
	v_add_f32_e32 v115, v130, v131
	v_dual_add_f32 v118, v58, v59 :: v_dual_add_f32 v119, v56, v57
	s_delay_alu instid0(VALU_DEP_3) | instskip(NEXT) | instid1(VALU_DEP_3)
	v_dual_add_f32 v23, v23, v116 :: v_dual_add_f32 v24, v24, v117
	v_dual_add_f32 v19, v19, v115 :: v_dual_add_f32 v116, v40, v45
	v_add_f32_e32 v115, v46, v47
	v_dual_add_f32 v117, v182, v183 :: v_dual_add_f32 v8, v8, v9
	v_dual_add_f32 v25, v25, v118 :: v_dual_add_f32 v118, v180, v181
	s_delay_alu instid0(VALU_DEP_3) | instskip(NEXT) | instid1(VALU_DEP_3)
	v_dual_add_f32 v28, v28, v116 :: v_dual_add_f32 v27, v27, v115
	v_dual_add_f32 v29, v29, v117 :: v_dual_add_f32 v116, v166, v167
	v_add_f32_e32 v115, v176, v177
	s_waitcnt vmcnt(0) lgkmcnt(0)
	;;#ASMSTART
	v_pk_mul_f16 v0, v113, v0;

	;;#ASMEND
	;;#ASMSTART
	v_pk_mul_f16 v1, v103, v1;

	;;#ASMEND
	;; [unrolled: 4-line block ×4, first 2 shown]
	;;#ASMSTART
	v_pk_add_f16 v0, v0, v1;

	;;#ASMEND
	v_add_f32_e32 v26, v26, v119
	v_add_f32_e32 v30, v30, v118
	v_dual_add_f32 v118, v162, v163 :: v_dual_add_f32 v117, v164, v165
	v_dual_add_f32 v32, v32, v115 :: v_dual_add_f32 v33, v33, v116
	v_add_f32_e32 v116, v146, v147
	v_add_f32_e32 v119, v178, v179
	;;#ASMSTART
	v_pk_add_f16 v0, v0, v2;

	;;#ASMEND
	;;#ASMSTART
	v_pk_add_f16 v0, v0, v3;

	;;#ASMEND
	v_add_f32_e32 v3, v132, v133
	v_add_f32_e32 v34, v34, v117
	v_dual_add_f32 v117, v144, v145 :: v_dual_add_nc_u32 v20, 4, v20
	v_dual_add_f32 v48, v48, v116 :: v_dual_add_f32 v31, v31, v119
	s_delay_alu instid0(VALU_DEP_4)
	v_dual_add_f32 v52, v52, v3 :: v_dual_and_b32 v1, 0xffff, v0
	v_lshrrev_b32_e32 v0, 16, v0
	;;#ASMSTART
	v_cvt_f32_f16 v1, v1;
	;;#ASMEND
	;;#ASMSTART
	v_cvt_f32_f16 v0, v0;
	;;#ASMEND
	v_dual_add_f32 v119, v160, v161 :: v_dual_add_f32 v2, v134, v135
	v_add_f32_e32 v9, v150, v151
	v_dual_add_f32 v115, v148, v149 :: v_dual_add_f32 v0, v1, v0
	v_dual_add_f32 v37, v37, v8 :: v_dual_add_f32 v8, v112, v114
	s_delay_alu instid0(VALU_DEP_3)
	v_add_f32_e32 v38, v38, v9
	v_cmp_ge_i32_e32 vcc_lo, v20, v44
	v_add_co_u32 v6, s0, v6, 16
	v_dual_add_f32 v35, v35, v118 :: v_dual_add_f32 v36, v36, v119
	v_dual_add_f32 v39, v39, v115 :: v_dual_add_f32 v50, v50, v117
	v_add_f32_e32 v51, v51, v2
	v_dual_add_f32 v49, v49, v8 :: v_dual_add_nc_u32 v14, 0x80, v14
	v_add_f32_e32 v18, v18, v0
	v_add_co_ci_u32_e64 v7, s0, 0, v7, s0
	v_add_nc_u32_e32 v15, 0x200, v15
	s_or_b32 s5, vcc_lo, s5
	s_delay_alu instid0(SALU_CYCLE_1)
	s_and_not1_b32 exec_lo, exec_lo, s5
	s_cbranch_execz .LBB128_79
.LBB128_31:                             ; =>This Inner Loop Header: Depth=1
	flat_load_b32 v101, v[6:7]
	ds_load_2addr_b64 v[0:3], v15 offset1:1
	ds_load_2addr_b64 v[113:116], v15 offset0:2 offset1:3
	s_waitcnt lgkmcnt(1)
	;;#ASMSTART
	v_cvt_f16_f32 v103, v0;

	;;#ASMEND
	v_or_b32_e32 v117, 3, v14
	v_or_b32_e32 v119, 5, v14
	;; [unrolled: 1-line block ×5, first 2 shown]
	s_waitcnt vmcnt(0)
	v_mad_i64_i32 v[8:9], null, v101, v22, 0
	;;#ASMSTART
	v_cvt_f16_f32 v101, v1;

	;;#ASMEND
	;;#ASMSTART
	v_cvt_f16_f32 v112, v2;

	;;#ASMEND
	;; [unrolled: 4-line block ×3, first 2 shown]
	s_waitcnt lgkmcnt(0)
	;;#ASMSTART
	v_cvt_f16_f32 v113, v113;

	;;#ASMEND
	;;#ASMSTART
	v_cvt_f16_f32 v114, v114;

	;;#ASMEND
	;;#ASMSTART
	v_cvt_f16_f32 v133, v115;

	;;#ASMEND
	v_lshlrev_b64 v[8:9], 1, v[8:9]
	;;#ASMSTART
	v_cvt_f16_f32 v132, v116;

	;;#ASMEND
	v_add_nc_u32_e32 v115, 1, v14
	v_or_b32_e32 v116, 2, v14
	s_delay_alu instid0(VALU_DEP_3) | instskip(NEXT) | instid1(VALU_DEP_4)
	v_add_co_u32 v130, vcc_lo, v10, v8
	v_add_co_ci_u32_e32 v131, vcc_lo, v11, v9, vcc_lo
	s_delay_alu instid0(VALU_DEP_2) | instskip(NEXT) | instid1(VALU_DEP_2)
	v_add_co_u32 v8, vcc_lo, v130, v68
	v_add_co_ci_u32_e32 v9, vcc_lo, 0, v131, vcc_lo
	v_cmp_eq_u32_e32 vcc_lo, v53, v20
	flat_load_b128 v[0:3], v[8:9]
	s_and_saveexec_b32 s8, vcc_lo
	s_cbranch_execz .LBB128_33
; %bb.32:                               ;   in Loop: Header=BB128_31 Depth=1
	v_cmp_lt_i32_e64 s0, v129, v66
	s_waitcnt vmcnt(0) lgkmcnt(0)
	v_lshrrev_b32_e32 v134, 16, v3
	v_lshrrev_b32_e32 v135, 16, v2
	;; [unrolled: 1-line block ×4, first 2 shown]
	v_cndmask_b32_e64 v3, 0, v3, s0
	v_cmp_lt_i32_e64 s0, v128, v67
	s_delay_alu instid0(VALU_DEP_1) | instskip(SKIP_1) | instid1(VALU_DEP_2)
	v_cndmask_b32_e64 v134, 0, v134, s0
	v_cmp_lt_i32_e64 s0, v119, v21
	v_perm_b32 v3, v134, v3, 0x5040100
	s_delay_alu instid0(VALU_DEP_2) | instskip(SKIP_1) | instid1(VALU_DEP_1)
	v_cndmask_b32_e64 v135, 0, v135, s0
	v_cmp_lt_i32_e64 s0, v118, v65
	v_cndmask_b32_e64 v2, 0, v2, s0
	v_cmp_lt_i32_e64 s0, v117, v64
	s_delay_alu instid0(VALU_DEP_2) | instskip(NEXT) | instid1(VALU_DEP_2)
	v_perm_b32 v2, v135, v2, 0x5040100
	v_cndmask_b32_e64 v144, 0, v144, s0
	v_cmp_lt_i32_e64 s0, v116, v55
	s_delay_alu instid0(VALU_DEP_1) | instskip(SKIP_1) | instid1(VALU_DEP_2)
	v_cndmask_b32_e64 v1, 0, v1, s0
	v_cmp_lt_i32_e64 s0, v115, v54
	v_perm_b32 v1, v144, v1, 0x5040100
	s_delay_alu instid0(VALU_DEP_2) | instskip(SKIP_1) | instid1(VALU_DEP_1)
	v_cndmask_b32_e64 v145, 0, v145, s0
	v_cmp_lt_i32_e64 s0, v14, v43
	v_cndmask_b32_e64 v0, 0, v0, s0
	s_delay_alu instid0(VALU_DEP_1)
	v_perm_b32 v0, v145, v0, 0x5040100
.LBB128_33:                             ;   in Loop: Header=BB128_31 Depth=1
	s_or_b32 exec_lo, exec_lo, s8
	v_and_b32_e32 v103, 0xffff, v103
	v_and_b32_e32 v112, 0xffff, v112
	;; [unrolled: 1-line block ×4, first 2 shown]
	s_delay_alu instid0(VALU_DEP_4)
	v_lshl_or_b32 v113, v101, 16, v103
	s_waitcnt vmcnt(0) lgkmcnt(0)
	;;#ASMSTART
	v_pk_mul_f16 v0, v113, v0;

	;;#ASMEND
	v_lshl_or_b32 v103, v102, 16, v112
	v_lshl_or_b32 v102, v114, 16, v134
	;; [unrolled: 1-line block ×3, first 2 shown]
	;;#ASMSTART
	v_pk_mul_f16 v1, v103, v1;

	;;#ASMEND
	;;#ASMSTART
	v_pk_mul_f16 v2, v102, v2;

	;;#ASMEND
	;; [unrolled: 4-line block ×3, first 2 shown]
	;;#ASMSTART
	v_pk_add_f16 v0, v0, v1;

	;;#ASMEND
	;;#ASMSTART
	v_pk_add_f16 v0, v0, v2;

	;;#ASMEND
	;; [unrolled: 4-line block ×3, first 2 shown]
	v_and_b32_e32 v1, 0xffff, v0
	v_lshrrev_b32_e32 v0, 16, v0
	;;#ASMSTART
	v_cvt_f32_f16 v112, v1;
	;;#ASMEND
	;;#ASMSTART
	v_cvt_f32_f16 v114, v0;
	;;#ASMEND
	flat_load_b128 v[0:3], v[8:9] offset:512
	s_and_saveexec_b32 s8, vcc_lo
	s_cbranch_execz .LBB128_35
; %bb.34:                               ;   in Loop: Header=BB128_31 Depth=1
	v_cmp_lt_i32_e64 s0, v129, v66
	s_waitcnt vmcnt(0) lgkmcnt(0)
	v_lshrrev_b32_e32 v132, 16, v3
	v_lshrrev_b32_e32 v133, 16, v2
	;; [unrolled: 1-line block ×4, first 2 shown]
	v_cndmask_b32_e64 v3, 0, v3, s0
	v_cmp_lt_i32_e64 s0, v128, v67
	s_delay_alu instid0(VALU_DEP_1) | instskip(SKIP_1) | instid1(VALU_DEP_2)
	v_cndmask_b32_e64 v132, 0, v132, s0
	v_cmp_lt_i32_e64 s0, v119, v21
	v_perm_b32 v3, v132, v3, 0x5040100
	s_delay_alu instid0(VALU_DEP_2) | instskip(SKIP_1) | instid1(VALU_DEP_1)
	v_cndmask_b32_e64 v133, 0, v133, s0
	v_cmp_lt_i32_e64 s0, v118, v65
	v_cndmask_b32_e64 v2, 0, v2, s0
	v_cmp_lt_i32_e64 s0, v117, v64
	s_delay_alu instid0(VALU_DEP_2) | instskip(NEXT) | instid1(VALU_DEP_2)
	v_perm_b32 v2, v133, v2, 0x5040100
	v_cndmask_b32_e64 v134, 0, v134, s0
	v_cmp_lt_i32_e64 s0, v116, v55
	s_delay_alu instid0(VALU_DEP_1) | instskip(SKIP_1) | instid1(VALU_DEP_2)
	v_cndmask_b32_e64 v1, 0, v1, s0
	v_cmp_lt_i32_e64 s0, v115, v54
	v_perm_b32 v1, v134, v1, 0x5040100
	s_delay_alu instid0(VALU_DEP_2) | instskip(SKIP_1) | instid1(VALU_DEP_1)
	v_cndmask_b32_e64 v135, 0, v135, s0
	v_cmp_lt_i32_e64 s0, v14, v43
	v_cndmask_b32_e64 v0, 0, v0, s0
	s_delay_alu instid0(VALU_DEP_1)
	v_perm_b32 v0, v135, v0, 0x5040100
.LBB128_35:                             ;   in Loop: Header=BB128_31 Depth=1
	s_or_b32 exec_lo, exec_lo, s8
	s_waitcnt vmcnt(0) lgkmcnt(0)
	;;#ASMSTART
	v_pk_mul_f16 v0, v113, v0;

	;;#ASMEND
	;;#ASMSTART
	v_pk_mul_f16 v1, v103, v1;

	;;#ASMEND
	;;#ASMSTART
	v_pk_mul_f16 v2, v102, v2;

	;;#ASMEND
	;;#ASMSTART
	v_pk_mul_f16 v3, v101, v3;

	;;#ASMEND
	;;#ASMSTART
	v_pk_add_f16 v0, v0, v1;

	;;#ASMEND
	;;#ASMSTART
	v_pk_add_f16 v0, v0, v2;

	;;#ASMEND
	;;#ASMSTART
	v_pk_add_f16 v0, v0, v3;

	;;#ASMEND
	v_and_b32_e32 v1, 0xffff, v0
	v_lshrrev_b32_e32 v0, 16, v0
	;;#ASMSTART
	v_cvt_f32_f16 v132, v1;
	;;#ASMEND
	;;#ASMSTART
	v_cvt_f32_f16 v133, v0;
	;;#ASMEND
	flat_load_b128 v[0:3], v[8:9] offset:1024
	s_and_saveexec_b32 s8, vcc_lo
	s_cbranch_execz .LBB128_37
; %bb.36:                               ;   in Loop: Header=BB128_31 Depth=1
	v_cmp_lt_i32_e64 s0, v129, v66
	s_waitcnt vmcnt(0) lgkmcnt(0)
	v_lshrrev_b32_e32 v134, 16, v3
	v_lshrrev_b32_e32 v135, 16, v2
	;; [unrolled: 1-line block ×4, first 2 shown]
	v_cndmask_b32_e64 v3, 0, v3, s0
	v_cmp_lt_i32_e64 s0, v128, v67
	s_delay_alu instid0(VALU_DEP_1) | instskip(SKIP_1) | instid1(VALU_DEP_2)
	v_cndmask_b32_e64 v134, 0, v134, s0
	v_cmp_lt_i32_e64 s0, v119, v21
	v_perm_b32 v3, v134, v3, 0x5040100
	s_delay_alu instid0(VALU_DEP_2) | instskip(SKIP_1) | instid1(VALU_DEP_1)
	v_cndmask_b32_e64 v135, 0, v135, s0
	v_cmp_lt_i32_e64 s0, v118, v65
	v_cndmask_b32_e64 v2, 0, v2, s0
	v_cmp_lt_i32_e64 s0, v117, v64
	s_delay_alu instid0(VALU_DEP_2) | instskip(NEXT) | instid1(VALU_DEP_2)
	v_perm_b32 v2, v135, v2, 0x5040100
	v_cndmask_b32_e64 v144, 0, v144, s0
	v_cmp_lt_i32_e64 s0, v116, v55
	s_delay_alu instid0(VALU_DEP_1) | instskip(SKIP_1) | instid1(VALU_DEP_2)
	v_cndmask_b32_e64 v1, 0, v1, s0
	v_cmp_lt_i32_e64 s0, v115, v54
	v_perm_b32 v1, v144, v1, 0x5040100
	s_delay_alu instid0(VALU_DEP_2) | instskip(SKIP_1) | instid1(VALU_DEP_1)
	v_cndmask_b32_e64 v145, 0, v145, s0
	v_cmp_lt_i32_e64 s0, v14, v43
	v_cndmask_b32_e64 v0, 0, v0, s0
	s_delay_alu instid0(VALU_DEP_1)
	v_perm_b32 v0, v145, v0, 0x5040100
.LBB128_37:                             ;   in Loop: Header=BB128_31 Depth=1
	s_or_b32 exec_lo, exec_lo, s8
	s_waitcnt vmcnt(0) lgkmcnt(0)
	;;#ASMSTART
	v_pk_mul_f16 v0, v113, v0;

	;;#ASMEND
	;;#ASMSTART
	v_pk_mul_f16 v1, v103, v1;

	;;#ASMEND
	;;#ASMSTART
	v_pk_mul_f16 v2, v102, v2;

	;;#ASMEND
	;;#ASMSTART
	v_pk_mul_f16 v3, v101, v3;

	;;#ASMEND
	;;#ASMSTART
	v_pk_add_f16 v0, v0, v1;

	;;#ASMEND
	;;#ASMSTART
	v_pk_add_f16 v0, v0, v2;

	;;#ASMEND
	;; [unrolled: 4-line block ×3, first 2 shown]
	v_and_b32_e32 v1, 0xffff, v0
	v_lshrrev_b32_e32 v0, 16, v0
	;;#ASMSTART
	v_cvt_f32_f16 v134, v1;
	;;#ASMEND
	;;#ASMSTART
	v_cvt_f32_f16 v135, v0;
	;;#ASMEND
	flat_load_b128 v[0:3], v[8:9] offset:1536
	s_and_saveexec_b32 s8, vcc_lo
	s_cbranch_execz .LBB128_39
; %bb.38:                               ;   in Loop: Header=BB128_31 Depth=1
	v_cmp_lt_i32_e64 s0, v129, v66
	s_waitcnt vmcnt(0) lgkmcnt(0)
	v_lshrrev_b32_e32 v144, 16, v3
	v_lshrrev_b32_e32 v145, 16, v2
	;; [unrolled: 1-line block ×4, first 2 shown]
	v_cndmask_b32_e64 v3, 0, v3, s0
	v_cmp_lt_i32_e64 s0, v128, v67
	s_delay_alu instid0(VALU_DEP_1) | instskip(SKIP_1) | instid1(VALU_DEP_2)
	v_cndmask_b32_e64 v144, 0, v144, s0
	v_cmp_lt_i32_e64 s0, v119, v21
	v_perm_b32 v3, v144, v3, 0x5040100
	s_delay_alu instid0(VALU_DEP_2) | instskip(SKIP_1) | instid1(VALU_DEP_1)
	v_cndmask_b32_e64 v145, 0, v145, s0
	v_cmp_lt_i32_e64 s0, v118, v65
	v_cndmask_b32_e64 v2, 0, v2, s0
	v_cmp_lt_i32_e64 s0, v117, v64
	s_delay_alu instid0(VALU_DEP_2) | instskip(NEXT) | instid1(VALU_DEP_2)
	v_perm_b32 v2, v145, v2, 0x5040100
	v_cndmask_b32_e64 v146, 0, v146, s0
	v_cmp_lt_i32_e64 s0, v116, v55
	s_delay_alu instid0(VALU_DEP_1) | instskip(SKIP_1) | instid1(VALU_DEP_2)
	v_cndmask_b32_e64 v1, 0, v1, s0
	v_cmp_lt_i32_e64 s0, v115, v54
	v_perm_b32 v1, v146, v1, 0x5040100
	s_delay_alu instid0(VALU_DEP_2) | instskip(SKIP_1) | instid1(VALU_DEP_1)
	v_cndmask_b32_e64 v147, 0, v147, s0
	v_cmp_lt_i32_e64 s0, v14, v43
	v_cndmask_b32_e64 v0, 0, v0, s0
	s_delay_alu instid0(VALU_DEP_1)
	v_perm_b32 v0, v147, v0, 0x5040100
.LBB128_39:                             ;   in Loop: Header=BB128_31 Depth=1
	s_or_b32 exec_lo, exec_lo, s8
	s_waitcnt vmcnt(0) lgkmcnt(0)
	;;#ASMSTART
	v_pk_mul_f16 v0, v113, v0;

	;;#ASMEND
	;;#ASMSTART
	v_pk_mul_f16 v1, v103, v1;

	;;#ASMEND
	;;#ASMSTART
	v_pk_mul_f16 v2, v102, v2;

	;;#ASMEND
	;;#ASMSTART
	v_pk_mul_f16 v3, v101, v3;

	;;#ASMEND
	;;#ASMSTART
	v_pk_add_f16 v0, v0, v1;

	;;#ASMEND
	;;#ASMSTART
	v_pk_add_f16 v0, v0, v2;

	;;#ASMEND
	;; [unrolled: 4-line block ×3, first 2 shown]
	v_and_b32_e32 v1, 0xffff, v0
	v_lshrrev_b32_e32 v0, 16, v0
	;;#ASMSTART
	v_cvt_f32_f16 v144, v1;
	;;#ASMEND
	;;#ASMSTART
	v_cvt_f32_f16 v145, v0;
	;;#ASMEND
	flat_load_b128 v[0:3], v[8:9] offset:2048
	s_and_saveexec_b32 s8, vcc_lo
	s_cbranch_execz .LBB128_41
; %bb.40:                               ;   in Loop: Header=BB128_31 Depth=1
	v_cmp_lt_i32_e64 s0, v129, v66
	s_waitcnt vmcnt(0) lgkmcnt(0)
	v_lshrrev_b32_e32 v146, 16, v3
	v_lshrrev_b32_e32 v147, 16, v2
	;; [unrolled: 1-line block ×4, first 2 shown]
	v_cndmask_b32_e64 v3, 0, v3, s0
	v_cmp_lt_i32_e64 s0, v128, v67
	s_delay_alu instid0(VALU_DEP_1) | instskip(SKIP_1) | instid1(VALU_DEP_2)
	v_cndmask_b32_e64 v146, 0, v146, s0
	v_cmp_lt_i32_e64 s0, v119, v21
	v_perm_b32 v3, v146, v3, 0x5040100
	s_delay_alu instid0(VALU_DEP_2) | instskip(SKIP_1) | instid1(VALU_DEP_1)
	v_cndmask_b32_e64 v147, 0, v147, s0
	v_cmp_lt_i32_e64 s0, v118, v65
	v_cndmask_b32_e64 v2, 0, v2, s0
	v_cmp_lt_i32_e64 s0, v117, v64
	s_delay_alu instid0(VALU_DEP_2) | instskip(NEXT) | instid1(VALU_DEP_2)
	v_perm_b32 v2, v147, v2, 0x5040100
	v_cndmask_b32_e64 v148, 0, v148, s0
	v_cmp_lt_i32_e64 s0, v116, v55
	s_delay_alu instid0(VALU_DEP_1) | instskip(SKIP_1) | instid1(VALU_DEP_2)
	v_cndmask_b32_e64 v1, 0, v1, s0
	v_cmp_lt_i32_e64 s0, v115, v54
	v_perm_b32 v1, v148, v1, 0x5040100
	s_delay_alu instid0(VALU_DEP_2) | instskip(SKIP_1) | instid1(VALU_DEP_1)
	v_cndmask_b32_e64 v149, 0, v149, s0
	v_cmp_lt_i32_e64 s0, v14, v43
	v_cndmask_b32_e64 v0, 0, v0, s0
	s_delay_alu instid0(VALU_DEP_1)
	v_perm_b32 v0, v149, v0, 0x5040100
.LBB128_41:                             ;   in Loop: Header=BB128_31 Depth=1
	s_or_b32 exec_lo, exec_lo, s8
	s_waitcnt vmcnt(0) lgkmcnt(0)
	;;#ASMSTART
	v_pk_mul_f16 v0, v113, v0;

	;;#ASMEND
	;;#ASMSTART
	v_pk_mul_f16 v1, v103, v1;

	;;#ASMEND
	;; [unrolled: 4-line block ×4, first 2 shown]
	;;#ASMSTART
	v_pk_add_f16 v0, v0, v1;

	;;#ASMEND
	;;#ASMSTART
	v_pk_add_f16 v0, v0, v2;

	;;#ASMEND
	;; [unrolled: 4-line block ×3, first 2 shown]
	v_and_b32_e32 v1, 0xffff, v0
	v_lshrrev_b32_e32 v0, 16, v0
	;;#ASMSTART
	v_cvt_f32_f16 v146, v1;
	;;#ASMEND
	;;#ASMSTART
	v_cvt_f32_f16 v147, v0;
	;;#ASMEND
	flat_load_b128 v[0:3], v[8:9] offset:2560
	s_and_saveexec_b32 s8, vcc_lo
	s_cbranch_execz .LBB128_43
; %bb.42:                               ;   in Loop: Header=BB128_31 Depth=1
	v_cmp_lt_i32_e64 s0, v129, v66
	s_waitcnt vmcnt(0) lgkmcnt(0)
	v_lshrrev_b32_e32 v148, 16, v3
	v_lshrrev_b32_e32 v149, 16, v2
	v_lshrrev_b32_e32 v150, 16, v1
	v_lshrrev_b32_e32 v151, 16, v0
	v_cndmask_b32_e64 v3, 0, v3, s0
	v_cmp_lt_i32_e64 s0, v128, v67
	s_delay_alu instid0(VALU_DEP_1) | instskip(SKIP_1) | instid1(VALU_DEP_2)
	v_cndmask_b32_e64 v148, 0, v148, s0
	v_cmp_lt_i32_e64 s0, v119, v21
	v_perm_b32 v3, v148, v3, 0x5040100
	s_delay_alu instid0(VALU_DEP_2) | instskip(SKIP_1) | instid1(VALU_DEP_1)
	v_cndmask_b32_e64 v149, 0, v149, s0
	v_cmp_lt_i32_e64 s0, v118, v65
	v_cndmask_b32_e64 v2, 0, v2, s0
	v_cmp_lt_i32_e64 s0, v117, v64
	s_delay_alu instid0(VALU_DEP_2) | instskip(NEXT) | instid1(VALU_DEP_2)
	v_perm_b32 v2, v149, v2, 0x5040100
	v_cndmask_b32_e64 v150, 0, v150, s0
	v_cmp_lt_i32_e64 s0, v116, v55
	s_delay_alu instid0(VALU_DEP_1) | instskip(SKIP_1) | instid1(VALU_DEP_2)
	v_cndmask_b32_e64 v1, 0, v1, s0
	v_cmp_lt_i32_e64 s0, v115, v54
	v_perm_b32 v1, v150, v1, 0x5040100
	s_delay_alu instid0(VALU_DEP_2) | instskip(SKIP_1) | instid1(VALU_DEP_1)
	v_cndmask_b32_e64 v151, 0, v151, s0
	v_cmp_lt_i32_e64 s0, v14, v43
	v_cndmask_b32_e64 v0, 0, v0, s0
	s_delay_alu instid0(VALU_DEP_1)
	v_perm_b32 v0, v151, v0, 0x5040100
.LBB128_43:                             ;   in Loop: Header=BB128_31 Depth=1
	s_or_b32 exec_lo, exec_lo, s8
	s_waitcnt vmcnt(0) lgkmcnt(0)
	;;#ASMSTART
	v_pk_mul_f16 v0, v113, v0;

	;;#ASMEND
	;;#ASMSTART
	v_pk_mul_f16 v1, v103, v1;

	;;#ASMEND
	;; [unrolled: 4-line block ×4, first 2 shown]
	;;#ASMSTART
	v_pk_add_f16 v0, v0, v1;

	;;#ASMEND
	;;#ASMSTART
	v_pk_add_f16 v0, v0, v2;

	;;#ASMEND
	;; [unrolled: 4-line block ×3, first 2 shown]
	v_and_b32_e32 v1, 0xffff, v0
	v_lshrrev_b32_e32 v0, 16, v0
	;;#ASMSTART
	v_cvt_f32_f16 v148, v1;
	;;#ASMEND
	;;#ASMSTART
	v_cvt_f32_f16 v149, v0;
	;;#ASMEND
	flat_load_b128 v[0:3], v[8:9] offset:3072
	s_and_saveexec_b32 s8, vcc_lo
	s_cbranch_execz .LBB128_45
; %bb.44:                               ;   in Loop: Header=BB128_31 Depth=1
	v_cmp_lt_i32_e64 s0, v129, v66
	s_waitcnt vmcnt(0) lgkmcnt(0)
	v_lshrrev_b32_e32 v150, 16, v3
	v_lshrrev_b32_e32 v151, 16, v2
	;; [unrolled: 1-line block ×4, first 2 shown]
	v_cndmask_b32_e64 v3, 0, v3, s0
	v_cmp_lt_i32_e64 s0, v128, v67
	s_delay_alu instid0(VALU_DEP_1) | instskip(SKIP_1) | instid1(VALU_DEP_2)
	v_cndmask_b32_e64 v150, 0, v150, s0
	v_cmp_lt_i32_e64 s0, v119, v21
	v_perm_b32 v3, v150, v3, 0x5040100
	s_delay_alu instid0(VALU_DEP_2) | instskip(SKIP_1) | instid1(VALU_DEP_1)
	v_cndmask_b32_e64 v151, 0, v151, s0
	v_cmp_lt_i32_e64 s0, v118, v65
	v_cndmask_b32_e64 v2, 0, v2, s0
	v_cmp_lt_i32_e64 s0, v117, v64
	s_delay_alu instid0(VALU_DEP_2) | instskip(NEXT) | instid1(VALU_DEP_2)
	v_perm_b32 v2, v151, v2, 0x5040100
	v_cndmask_b32_e64 v160, 0, v160, s0
	v_cmp_lt_i32_e64 s0, v116, v55
	s_delay_alu instid0(VALU_DEP_1) | instskip(SKIP_1) | instid1(VALU_DEP_2)
	v_cndmask_b32_e64 v1, 0, v1, s0
	v_cmp_lt_i32_e64 s0, v115, v54
	v_perm_b32 v1, v160, v1, 0x5040100
	s_delay_alu instid0(VALU_DEP_2) | instskip(SKIP_1) | instid1(VALU_DEP_1)
	v_cndmask_b32_e64 v161, 0, v161, s0
	v_cmp_lt_i32_e64 s0, v14, v43
	v_cndmask_b32_e64 v0, 0, v0, s0
	s_delay_alu instid0(VALU_DEP_1)
	v_perm_b32 v0, v161, v0, 0x5040100
.LBB128_45:                             ;   in Loop: Header=BB128_31 Depth=1
	s_or_b32 exec_lo, exec_lo, s8
	s_waitcnt vmcnt(0) lgkmcnt(0)
	;;#ASMSTART
	v_pk_mul_f16 v0, v113, v0;

	;;#ASMEND
	;;#ASMSTART
	v_pk_mul_f16 v1, v103, v1;

	;;#ASMEND
	;; [unrolled: 4-line block ×4, first 2 shown]
	;;#ASMSTART
	v_pk_add_f16 v0, v0, v1;

	;;#ASMEND
	;;#ASMSTART
	v_pk_add_f16 v0, v0, v2;

	;;#ASMEND
	;;#ASMSTART
	v_pk_add_f16 v0, v0, v3;

	;;#ASMEND
	v_and_b32_e32 v1, 0xffff, v0
	v_lshrrev_b32_e32 v0, 16, v0
	;;#ASMSTART
	v_cvt_f32_f16 v150, v1;
	;;#ASMEND
	;;#ASMSTART
	v_cvt_f32_f16 v151, v0;
	;;#ASMEND
	flat_load_b128 v[0:3], v[8:9] offset:3584
	s_and_saveexec_b32 s8, vcc_lo
	s_cbranch_execz .LBB128_47
; %bb.46:                               ;   in Loop: Header=BB128_31 Depth=1
	v_cmp_lt_i32_e64 s0, v129, v66
	s_waitcnt vmcnt(0) lgkmcnt(0)
	v_lshrrev_b32_e32 v8, 16, v3
	v_lshrrev_b32_e32 v9, 16, v2
	;; [unrolled: 1-line block ×4, first 2 shown]
	v_cndmask_b32_e64 v3, 0, v3, s0
	v_cmp_lt_i32_e64 s0, v128, v67
	s_delay_alu instid0(VALU_DEP_1) | instskip(SKIP_1) | instid1(VALU_DEP_2)
	v_cndmask_b32_e64 v8, 0, v8, s0
	v_cmp_lt_i32_e64 s0, v119, v21
	v_perm_b32 v3, v8, v3, 0x5040100
	s_delay_alu instid0(VALU_DEP_2) | instskip(SKIP_1) | instid1(VALU_DEP_1)
	v_cndmask_b32_e64 v9, 0, v9, s0
	v_cmp_lt_i32_e64 s0, v118, v65
	v_cndmask_b32_e64 v2, 0, v2, s0
	v_cmp_lt_i32_e64 s0, v117, v64
	s_delay_alu instid0(VALU_DEP_2) | instskip(NEXT) | instid1(VALU_DEP_2)
	v_perm_b32 v2, v9, v2, 0x5040100
	v_cndmask_b32_e64 v160, 0, v160, s0
	v_cmp_lt_i32_e64 s0, v116, v55
	s_delay_alu instid0(VALU_DEP_1) | instskip(SKIP_1) | instid1(VALU_DEP_2)
	v_cndmask_b32_e64 v1, 0, v1, s0
	v_cmp_lt_i32_e64 s0, v115, v54
	v_perm_b32 v1, v160, v1, 0x5040100
	s_delay_alu instid0(VALU_DEP_2) | instskip(SKIP_1) | instid1(VALU_DEP_1)
	v_cndmask_b32_e64 v161, 0, v161, s0
	v_cmp_lt_i32_e64 s0, v14, v43
	v_cndmask_b32_e64 v0, 0, v0, s0
	s_delay_alu instid0(VALU_DEP_1)
	v_perm_b32 v0, v161, v0, 0x5040100
.LBB128_47:                             ;   in Loop: Header=BB128_31 Depth=1
	s_or_b32 exec_lo, exec_lo, s8
	s_waitcnt vmcnt(0) lgkmcnt(0)
	;;#ASMSTART
	v_pk_mul_f16 v0, v113, v0;

	;;#ASMEND
	;;#ASMSTART
	v_pk_mul_f16 v1, v103, v1;

	;;#ASMEND
	;; [unrolled: 4-line block ×4, first 2 shown]
	;;#ASMSTART
	v_pk_add_f16 v0, v0, v1;

	;;#ASMEND
	;;#ASMSTART
	v_pk_add_f16 v0, v0, v2;

	;;#ASMEND
	;; [unrolled: 4-line block ×3, first 2 shown]
	v_lshrrev_b32_e32 v2, 16, v0
	v_and_b32_e32 v3, 0xffff, v0
	v_add_co_u32 v0, s0, v130, v69
	s_delay_alu instid0(VALU_DEP_1)
	v_add_co_ci_u32_e64 v1, s0, 0, v131, s0
	;;#ASMSTART
	v_cvt_f32_f16 v8, v3;
	;;#ASMEND
	;;#ASMSTART
	v_cvt_f32_f16 v9, v2;
	;;#ASMEND
	flat_load_b128 v[0:3], v[0:1]
	s_and_saveexec_b32 s8, vcc_lo
	s_cbranch_execz .LBB128_49
; %bb.48:                               ;   in Loop: Header=BB128_31 Depth=1
	v_cmp_lt_i32_e64 s0, v129, v66
	s_waitcnt vmcnt(0) lgkmcnt(0)
	v_lshrrev_b32_e32 v160, 16, v3
	v_lshrrev_b32_e32 v161, 16, v2
	;; [unrolled: 1-line block ×4, first 2 shown]
	v_cndmask_b32_e64 v3, 0, v3, s0
	v_cmp_lt_i32_e64 s0, v128, v67
	s_delay_alu instid0(VALU_DEP_1) | instskip(SKIP_1) | instid1(VALU_DEP_2)
	v_cndmask_b32_e64 v160, 0, v160, s0
	v_cmp_lt_i32_e64 s0, v119, v21
	v_perm_b32 v3, v160, v3, 0x5040100
	s_delay_alu instid0(VALU_DEP_2) | instskip(SKIP_1) | instid1(VALU_DEP_1)
	v_cndmask_b32_e64 v161, 0, v161, s0
	v_cmp_lt_i32_e64 s0, v118, v65
	v_cndmask_b32_e64 v2, 0, v2, s0
	v_cmp_lt_i32_e64 s0, v117, v64
	s_delay_alu instid0(VALU_DEP_2) | instskip(NEXT) | instid1(VALU_DEP_2)
	v_perm_b32 v2, v161, v2, 0x5040100
	v_cndmask_b32_e64 v162, 0, v162, s0
	v_cmp_lt_i32_e64 s0, v116, v55
	s_delay_alu instid0(VALU_DEP_1) | instskip(SKIP_1) | instid1(VALU_DEP_2)
	v_cndmask_b32_e64 v1, 0, v1, s0
	v_cmp_lt_i32_e64 s0, v115, v54
	v_perm_b32 v1, v162, v1, 0x5040100
	s_delay_alu instid0(VALU_DEP_2) | instskip(SKIP_1) | instid1(VALU_DEP_1)
	v_cndmask_b32_e64 v163, 0, v163, s0
	v_cmp_lt_i32_e64 s0, v14, v43
	v_cndmask_b32_e64 v0, 0, v0, s0
	s_delay_alu instid0(VALU_DEP_1)
	v_perm_b32 v0, v163, v0, 0x5040100
.LBB128_49:                             ;   in Loop: Header=BB128_31 Depth=1
	s_or_b32 exec_lo, exec_lo, s8
	s_waitcnt vmcnt(0) lgkmcnt(0)
	;;#ASMSTART
	v_pk_mul_f16 v0, v113, v0;

	;;#ASMEND
	;;#ASMSTART
	v_pk_mul_f16 v1, v103, v1;

	;;#ASMEND
	;;#ASMSTART
	v_pk_mul_f16 v2, v102, v2;

	;;#ASMEND
	;;#ASMSTART
	v_pk_mul_f16 v3, v101, v3;

	;;#ASMEND
	;;#ASMSTART
	v_pk_add_f16 v0, v0, v1;

	;;#ASMEND
	;;#ASMSTART
	v_pk_add_f16 v0, v0, v2;

	;;#ASMEND
	;; [unrolled: 4-line block ×3, first 2 shown]
	v_lshrrev_b32_e32 v2, 16, v0
	v_and_b32_e32 v3, 0xffff, v0
	v_add_co_u32 v0, s0, v130, v70
	s_delay_alu instid0(VALU_DEP_1)
	v_add_co_ci_u32_e64 v1, s0, 0, v131, s0
	;;#ASMSTART
	v_cvt_f32_f16 v160, v3;
	;;#ASMEND
	;;#ASMSTART
	v_cvt_f32_f16 v161, v2;
	;;#ASMEND
	flat_load_b128 v[0:3], v[0:1]
	s_and_saveexec_b32 s8, vcc_lo
	s_cbranch_execz .LBB128_51
; %bb.50:                               ;   in Loop: Header=BB128_31 Depth=1
	v_cmp_lt_i32_e64 s0, v129, v66
	s_waitcnt vmcnt(0) lgkmcnt(0)
	v_lshrrev_b32_e32 v162, 16, v3
	v_lshrrev_b32_e32 v163, 16, v2
	;; [unrolled: 1-line block ×4, first 2 shown]
	v_cndmask_b32_e64 v3, 0, v3, s0
	v_cmp_lt_i32_e64 s0, v128, v67
	s_delay_alu instid0(VALU_DEP_1) | instskip(SKIP_1) | instid1(VALU_DEP_2)
	v_cndmask_b32_e64 v162, 0, v162, s0
	v_cmp_lt_i32_e64 s0, v119, v21
	v_perm_b32 v3, v162, v3, 0x5040100
	s_delay_alu instid0(VALU_DEP_2) | instskip(SKIP_1) | instid1(VALU_DEP_1)
	v_cndmask_b32_e64 v163, 0, v163, s0
	v_cmp_lt_i32_e64 s0, v118, v65
	v_cndmask_b32_e64 v2, 0, v2, s0
	v_cmp_lt_i32_e64 s0, v117, v64
	s_delay_alu instid0(VALU_DEP_2) | instskip(NEXT) | instid1(VALU_DEP_2)
	v_perm_b32 v2, v163, v2, 0x5040100
	v_cndmask_b32_e64 v164, 0, v164, s0
	v_cmp_lt_i32_e64 s0, v116, v55
	s_delay_alu instid0(VALU_DEP_1) | instskip(SKIP_1) | instid1(VALU_DEP_2)
	v_cndmask_b32_e64 v1, 0, v1, s0
	v_cmp_lt_i32_e64 s0, v115, v54
	v_perm_b32 v1, v164, v1, 0x5040100
	s_delay_alu instid0(VALU_DEP_2) | instskip(SKIP_1) | instid1(VALU_DEP_1)
	v_cndmask_b32_e64 v165, 0, v165, s0
	v_cmp_lt_i32_e64 s0, v14, v43
	v_cndmask_b32_e64 v0, 0, v0, s0
	s_delay_alu instid0(VALU_DEP_1)
	v_perm_b32 v0, v165, v0, 0x5040100
.LBB128_51:                             ;   in Loop: Header=BB128_31 Depth=1
	s_or_b32 exec_lo, exec_lo, s8
	s_waitcnt vmcnt(0) lgkmcnt(0)
	;;#ASMSTART
	v_pk_mul_f16 v0, v113, v0;

	;;#ASMEND
	;;#ASMSTART
	v_pk_mul_f16 v1, v103, v1;

	;;#ASMEND
	;; [unrolled: 4-line block ×4, first 2 shown]
	;;#ASMSTART
	v_pk_add_f16 v0, v0, v1;

	;;#ASMEND
	;;#ASMSTART
	v_pk_add_f16 v0, v0, v2;

	;;#ASMEND
	;; [unrolled: 4-line block ×3, first 2 shown]
	v_lshrrev_b32_e32 v2, 16, v0
	v_and_b32_e32 v3, 0xffff, v0
	v_add_co_u32 v0, s0, v130, v71
	s_delay_alu instid0(VALU_DEP_1)
	v_add_co_ci_u32_e64 v1, s0, 0, v131, s0
	;;#ASMSTART
	v_cvt_f32_f16 v162, v3;
	;;#ASMEND
	;;#ASMSTART
	v_cvt_f32_f16 v163, v2;
	;;#ASMEND
	flat_load_b128 v[0:3], v[0:1]
	s_and_saveexec_b32 s8, vcc_lo
	s_cbranch_execz .LBB128_53
; %bb.52:                               ;   in Loop: Header=BB128_31 Depth=1
	v_cmp_lt_i32_e64 s0, v129, v66
	s_waitcnt vmcnt(0) lgkmcnt(0)
	v_lshrrev_b32_e32 v164, 16, v3
	v_lshrrev_b32_e32 v165, 16, v2
	;; [unrolled: 1-line block ×4, first 2 shown]
	v_cndmask_b32_e64 v3, 0, v3, s0
	v_cmp_lt_i32_e64 s0, v128, v67
	s_delay_alu instid0(VALU_DEP_1) | instskip(SKIP_1) | instid1(VALU_DEP_2)
	v_cndmask_b32_e64 v164, 0, v164, s0
	v_cmp_lt_i32_e64 s0, v119, v21
	v_perm_b32 v3, v164, v3, 0x5040100
	s_delay_alu instid0(VALU_DEP_2) | instskip(SKIP_1) | instid1(VALU_DEP_1)
	v_cndmask_b32_e64 v165, 0, v165, s0
	v_cmp_lt_i32_e64 s0, v118, v65
	v_cndmask_b32_e64 v2, 0, v2, s0
	v_cmp_lt_i32_e64 s0, v117, v64
	s_delay_alu instid0(VALU_DEP_2) | instskip(NEXT) | instid1(VALU_DEP_2)
	v_perm_b32 v2, v165, v2, 0x5040100
	v_cndmask_b32_e64 v166, 0, v166, s0
	v_cmp_lt_i32_e64 s0, v116, v55
	s_delay_alu instid0(VALU_DEP_1) | instskip(SKIP_1) | instid1(VALU_DEP_2)
	v_cndmask_b32_e64 v1, 0, v1, s0
	v_cmp_lt_i32_e64 s0, v115, v54
	v_perm_b32 v1, v166, v1, 0x5040100
	s_delay_alu instid0(VALU_DEP_2) | instskip(SKIP_1) | instid1(VALU_DEP_1)
	v_cndmask_b32_e64 v167, 0, v167, s0
	v_cmp_lt_i32_e64 s0, v14, v43
	v_cndmask_b32_e64 v0, 0, v0, s0
	s_delay_alu instid0(VALU_DEP_1)
	v_perm_b32 v0, v167, v0, 0x5040100
.LBB128_53:                             ;   in Loop: Header=BB128_31 Depth=1
	s_or_b32 exec_lo, exec_lo, s8
	s_waitcnt vmcnt(0) lgkmcnt(0)
	;;#ASMSTART
	v_pk_mul_f16 v0, v113, v0;

	;;#ASMEND
	;;#ASMSTART
	v_pk_mul_f16 v1, v103, v1;

	;;#ASMEND
	;; [unrolled: 4-line block ×4, first 2 shown]
	;;#ASMSTART
	v_pk_add_f16 v0, v0, v1;

	;;#ASMEND
	;;#ASMSTART
	v_pk_add_f16 v0, v0, v2;

	;;#ASMEND
	;; [unrolled: 4-line block ×3, first 2 shown]
	v_lshrrev_b32_e32 v2, 16, v0
	v_and_b32_e32 v3, 0xffff, v0
	v_add_co_u32 v0, s0, v130, v80
	s_delay_alu instid0(VALU_DEP_1)
	v_add_co_ci_u32_e64 v1, s0, 0, v131, s0
	;;#ASMSTART
	v_cvt_f32_f16 v164, v3;
	;;#ASMEND
	;;#ASMSTART
	v_cvt_f32_f16 v165, v2;
	;;#ASMEND
	flat_load_b128 v[0:3], v[0:1]
	s_and_saveexec_b32 s8, vcc_lo
	s_cbranch_execz .LBB128_55
; %bb.54:                               ;   in Loop: Header=BB128_31 Depth=1
	v_cmp_lt_i32_e64 s0, v129, v66
	s_waitcnt vmcnt(0) lgkmcnt(0)
	v_lshrrev_b32_e32 v166, 16, v3
	v_lshrrev_b32_e32 v167, 16, v2
	;; [unrolled: 1-line block ×4, first 2 shown]
	v_cndmask_b32_e64 v3, 0, v3, s0
	v_cmp_lt_i32_e64 s0, v128, v67
	s_delay_alu instid0(VALU_DEP_1) | instskip(SKIP_1) | instid1(VALU_DEP_2)
	v_cndmask_b32_e64 v166, 0, v166, s0
	v_cmp_lt_i32_e64 s0, v119, v21
	v_perm_b32 v3, v166, v3, 0x5040100
	s_delay_alu instid0(VALU_DEP_2) | instskip(SKIP_1) | instid1(VALU_DEP_1)
	v_cndmask_b32_e64 v167, 0, v167, s0
	v_cmp_lt_i32_e64 s0, v118, v65
	v_cndmask_b32_e64 v2, 0, v2, s0
	v_cmp_lt_i32_e64 s0, v117, v64
	s_delay_alu instid0(VALU_DEP_2) | instskip(NEXT) | instid1(VALU_DEP_2)
	v_perm_b32 v2, v167, v2, 0x5040100
	v_cndmask_b32_e64 v176, 0, v176, s0
	v_cmp_lt_i32_e64 s0, v116, v55
	s_delay_alu instid0(VALU_DEP_1) | instskip(SKIP_1) | instid1(VALU_DEP_2)
	v_cndmask_b32_e64 v1, 0, v1, s0
	v_cmp_lt_i32_e64 s0, v115, v54
	v_perm_b32 v1, v176, v1, 0x5040100
	s_delay_alu instid0(VALU_DEP_2) | instskip(SKIP_1) | instid1(VALU_DEP_1)
	v_cndmask_b32_e64 v177, 0, v177, s0
	v_cmp_lt_i32_e64 s0, v14, v43
	v_cndmask_b32_e64 v0, 0, v0, s0
	s_delay_alu instid0(VALU_DEP_1)
	v_perm_b32 v0, v177, v0, 0x5040100
.LBB128_55:                             ;   in Loop: Header=BB128_31 Depth=1
	s_or_b32 exec_lo, exec_lo, s8
	s_waitcnt vmcnt(0) lgkmcnt(0)
	;;#ASMSTART
	v_pk_mul_f16 v0, v113, v0;

	;;#ASMEND
	;;#ASMSTART
	v_pk_mul_f16 v1, v103, v1;

	;;#ASMEND
	;; [unrolled: 4-line block ×4, first 2 shown]
	;;#ASMSTART
	v_pk_add_f16 v0, v0, v1;

	;;#ASMEND
	;;#ASMSTART
	v_pk_add_f16 v0, v0, v2;

	;;#ASMEND
	;; [unrolled: 4-line block ×3, first 2 shown]
	v_lshrrev_b32_e32 v2, 16, v0
	v_and_b32_e32 v3, 0xffff, v0
	v_add_co_u32 v0, s0, v130, v81
	s_delay_alu instid0(VALU_DEP_1)
	v_add_co_ci_u32_e64 v1, s0, 0, v131, s0
	;;#ASMSTART
	v_cvt_f32_f16 v166, v3;
	;;#ASMEND
	;;#ASMSTART
	v_cvt_f32_f16 v167, v2;
	;;#ASMEND
	flat_load_b128 v[0:3], v[0:1]
	s_and_saveexec_b32 s8, vcc_lo
	s_cbranch_execz .LBB128_57
; %bb.56:                               ;   in Loop: Header=BB128_31 Depth=1
	v_cmp_lt_i32_e64 s0, v129, v66
	s_waitcnt vmcnt(0) lgkmcnt(0)
	v_lshrrev_b32_e32 v176, 16, v3
	v_lshrrev_b32_e32 v177, 16, v2
	;; [unrolled: 1-line block ×4, first 2 shown]
	v_cndmask_b32_e64 v3, 0, v3, s0
	v_cmp_lt_i32_e64 s0, v128, v67
	s_delay_alu instid0(VALU_DEP_1) | instskip(SKIP_1) | instid1(VALU_DEP_2)
	v_cndmask_b32_e64 v176, 0, v176, s0
	v_cmp_lt_i32_e64 s0, v119, v21
	v_perm_b32 v3, v176, v3, 0x5040100
	s_delay_alu instid0(VALU_DEP_2) | instskip(SKIP_1) | instid1(VALU_DEP_1)
	v_cndmask_b32_e64 v177, 0, v177, s0
	v_cmp_lt_i32_e64 s0, v118, v65
	v_cndmask_b32_e64 v2, 0, v2, s0
	v_cmp_lt_i32_e64 s0, v117, v64
	s_delay_alu instid0(VALU_DEP_2) | instskip(NEXT) | instid1(VALU_DEP_2)
	v_perm_b32 v2, v177, v2, 0x5040100
	v_cndmask_b32_e64 v178, 0, v178, s0
	v_cmp_lt_i32_e64 s0, v116, v55
	s_delay_alu instid0(VALU_DEP_1) | instskip(SKIP_1) | instid1(VALU_DEP_2)
	v_cndmask_b32_e64 v1, 0, v1, s0
	v_cmp_lt_i32_e64 s0, v115, v54
	v_perm_b32 v1, v178, v1, 0x5040100
	s_delay_alu instid0(VALU_DEP_2) | instskip(SKIP_1) | instid1(VALU_DEP_1)
	v_cndmask_b32_e64 v179, 0, v179, s0
	v_cmp_lt_i32_e64 s0, v14, v43
	v_cndmask_b32_e64 v0, 0, v0, s0
	s_delay_alu instid0(VALU_DEP_1)
	v_perm_b32 v0, v179, v0, 0x5040100
.LBB128_57:                             ;   in Loop: Header=BB128_31 Depth=1
	s_or_b32 exec_lo, exec_lo, s8
	s_waitcnt vmcnt(0) lgkmcnt(0)
	;;#ASMSTART
	v_pk_mul_f16 v0, v113, v0;

	;;#ASMEND
	;;#ASMSTART
	v_pk_mul_f16 v1, v103, v1;

	;;#ASMEND
	;; [unrolled: 4-line block ×4, first 2 shown]
	;;#ASMSTART
	v_pk_add_f16 v0, v0, v1;

	;;#ASMEND
	;;#ASMSTART
	v_pk_add_f16 v0, v0, v2;

	;;#ASMEND
	;; [unrolled: 4-line block ×3, first 2 shown]
	v_lshrrev_b32_e32 v2, 16, v0
	v_and_b32_e32 v3, 0xffff, v0
	v_add_co_u32 v0, s0, v130, v82
	s_delay_alu instid0(VALU_DEP_1)
	v_add_co_ci_u32_e64 v1, s0, 0, v131, s0
	;;#ASMSTART
	v_cvt_f32_f16 v176, v3;
	;;#ASMEND
	;;#ASMSTART
	v_cvt_f32_f16 v177, v2;
	;;#ASMEND
	flat_load_b128 v[0:3], v[0:1]
	s_and_saveexec_b32 s8, vcc_lo
	s_cbranch_execz .LBB128_59
; %bb.58:                               ;   in Loop: Header=BB128_31 Depth=1
	v_cmp_lt_i32_e64 s0, v129, v66
	s_waitcnt vmcnt(0) lgkmcnt(0)
	v_lshrrev_b32_e32 v178, 16, v3
	v_lshrrev_b32_e32 v179, 16, v2
	;; [unrolled: 1-line block ×4, first 2 shown]
	v_cndmask_b32_e64 v3, 0, v3, s0
	v_cmp_lt_i32_e64 s0, v128, v67
	s_delay_alu instid0(VALU_DEP_1) | instskip(SKIP_1) | instid1(VALU_DEP_2)
	v_cndmask_b32_e64 v178, 0, v178, s0
	v_cmp_lt_i32_e64 s0, v119, v21
	v_perm_b32 v3, v178, v3, 0x5040100
	s_delay_alu instid0(VALU_DEP_2) | instskip(SKIP_1) | instid1(VALU_DEP_1)
	v_cndmask_b32_e64 v179, 0, v179, s0
	v_cmp_lt_i32_e64 s0, v118, v65
	v_cndmask_b32_e64 v2, 0, v2, s0
	v_cmp_lt_i32_e64 s0, v117, v64
	s_delay_alu instid0(VALU_DEP_2) | instskip(NEXT) | instid1(VALU_DEP_2)
	v_perm_b32 v2, v179, v2, 0x5040100
	v_cndmask_b32_e64 v180, 0, v180, s0
	v_cmp_lt_i32_e64 s0, v116, v55
	s_delay_alu instid0(VALU_DEP_1) | instskip(SKIP_1) | instid1(VALU_DEP_2)
	v_cndmask_b32_e64 v1, 0, v1, s0
	v_cmp_lt_i32_e64 s0, v115, v54
	v_perm_b32 v1, v180, v1, 0x5040100
	s_delay_alu instid0(VALU_DEP_2) | instskip(SKIP_1) | instid1(VALU_DEP_1)
	v_cndmask_b32_e64 v181, 0, v181, s0
	v_cmp_lt_i32_e64 s0, v14, v43
	v_cndmask_b32_e64 v0, 0, v0, s0
	s_delay_alu instid0(VALU_DEP_1)
	v_perm_b32 v0, v181, v0, 0x5040100
.LBB128_59:                             ;   in Loop: Header=BB128_31 Depth=1
	s_or_b32 exec_lo, exec_lo, s8
	s_waitcnt vmcnt(0) lgkmcnt(0)
	;;#ASMSTART
	v_pk_mul_f16 v0, v113, v0;

	;;#ASMEND
	;;#ASMSTART
	v_pk_mul_f16 v1, v103, v1;

	;;#ASMEND
	;;#ASMSTART
	v_pk_mul_f16 v2, v102, v2;

	;;#ASMEND
	;;#ASMSTART
	v_pk_mul_f16 v3, v101, v3;

	;;#ASMEND
	;;#ASMSTART
	v_pk_add_f16 v0, v0, v1;

	;;#ASMEND
	;;#ASMSTART
	v_pk_add_f16 v0, v0, v2;

	;;#ASMEND
	;; [unrolled: 4-line block ×3, first 2 shown]
	v_lshrrev_b32_e32 v2, 16, v0
	v_and_b32_e32 v3, 0xffff, v0
	v_add_co_u32 v0, s0, v130, v83
	s_delay_alu instid0(VALU_DEP_1)
	v_add_co_ci_u32_e64 v1, s0, 0, v131, s0
	;;#ASMSTART
	v_cvt_f32_f16 v178, v3;
	;;#ASMEND
	;;#ASMSTART
	v_cvt_f32_f16 v179, v2;
	;;#ASMEND
	flat_load_b128 v[0:3], v[0:1]
	s_and_saveexec_b32 s8, vcc_lo
	s_cbranch_execz .LBB128_61
; %bb.60:                               ;   in Loop: Header=BB128_31 Depth=1
	v_cmp_lt_i32_e64 s0, v129, v66
	s_waitcnt vmcnt(0) lgkmcnt(0)
	v_lshrrev_b32_e32 v180, 16, v3
	v_lshrrev_b32_e32 v181, 16, v2
	;; [unrolled: 1-line block ×4, first 2 shown]
	v_cndmask_b32_e64 v3, 0, v3, s0
	v_cmp_lt_i32_e64 s0, v128, v67
	s_delay_alu instid0(VALU_DEP_1) | instskip(SKIP_1) | instid1(VALU_DEP_2)
	v_cndmask_b32_e64 v180, 0, v180, s0
	v_cmp_lt_i32_e64 s0, v119, v21
	v_perm_b32 v3, v180, v3, 0x5040100
	s_delay_alu instid0(VALU_DEP_2) | instskip(SKIP_1) | instid1(VALU_DEP_1)
	v_cndmask_b32_e64 v181, 0, v181, s0
	v_cmp_lt_i32_e64 s0, v118, v65
	v_cndmask_b32_e64 v2, 0, v2, s0
	v_cmp_lt_i32_e64 s0, v117, v64
	s_delay_alu instid0(VALU_DEP_2) | instskip(NEXT) | instid1(VALU_DEP_2)
	v_perm_b32 v2, v181, v2, 0x5040100
	v_cndmask_b32_e64 v182, 0, v182, s0
	v_cmp_lt_i32_e64 s0, v116, v55
	s_delay_alu instid0(VALU_DEP_1) | instskip(SKIP_1) | instid1(VALU_DEP_2)
	v_cndmask_b32_e64 v1, 0, v1, s0
	v_cmp_lt_i32_e64 s0, v115, v54
	v_perm_b32 v1, v182, v1, 0x5040100
	s_delay_alu instid0(VALU_DEP_2) | instskip(SKIP_1) | instid1(VALU_DEP_1)
	v_cndmask_b32_e64 v183, 0, v183, s0
	v_cmp_lt_i32_e64 s0, v14, v43
	v_cndmask_b32_e64 v0, 0, v0, s0
	s_delay_alu instid0(VALU_DEP_1)
	v_perm_b32 v0, v183, v0, 0x5040100
.LBB128_61:                             ;   in Loop: Header=BB128_31 Depth=1
	s_or_b32 exec_lo, exec_lo, s8
	s_waitcnt vmcnt(0) lgkmcnt(0)
	;;#ASMSTART
	v_pk_mul_f16 v0, v113, v0;

	;;#ASMEND
	;;#ASMSTART
	v_pk_mul_f16 v1, v103, v1;

	;;#ASMEND
	;; [unrolled: 4-line block ×4, first 2 shown]
	;;#ASMSTART
	v_pk_add_f16 v0, v0, v1;

	;;#ASMEND
	;;#ASMSTART
	v_pk_add_f16 v0, v0, v2;

	;;#ASMEND
	;; [unrolled: 4-line block ×3, first 2 shown]
	v_lshrrev_b32_e32 v2, 16, v0
	v_and_b32_e32 v3, 0xffff, v0
	v_add_co_u32 v0, s0, v130, v84
	s_delay_alu instid0(VALU_DEP_1)
	v_add_co_ci_u32_e64 v1, s0, 0, v131, s0
	;;#ASMSTART
	v_cvt_f32_f16 v180, v3;
	;;#ASMEND
	;;#ASMSTART
	v_cvt_f32_f16 v181, v2;
	;;#ASMEND
	flat_load_b128 v[0:3], v[0:1]
	s_and_saveexec_b32 s8, vcc_lo
	s_cbranch_execz .LBB128_63
; %bb.62:                               ;   in Loop: Header=BB128_31 Depth=1
	v_cmp_lt_i32_e64 s0, v129, v66
	s_waitcnt vmcnt(0) lgkmcnt(0)
	v_lshrrev_b32_e32 v182, 16, v3
	v_lshrrev_b32_e32 v183, 16, v2
	;; [unrolled: 1-line block ×4, first 2 shown]
	v_cndmask_b32_e64 v3, 0, v3, s0
	v_cmp_lt_i32_e64 s0, v128, v67
	s_delay_alu instid0(VALU_DEP_1) | instskip(SKIP_1) | instid1(VALU_DEP_2)
	v_cndmask_b32_e64 v182, 0, v182, s0
	v_cmp_lt_i32_e64 s0, v119, v21
	v_perm_b32 v3, v182, v3, 0x5040100
	s_delay_alu instid0(VALU_DEP_2) | instskip(SKIP_1) | instid1(VALU_DEP_1)
	v_cndmask_b32_e64 v183, 0, v183, s0
	v_cmp_lt_i32_e64 s0, v118, v65
	v_cndmask_b32_e64 v2, 0, v2, s0
	v_cmp_lt_i32_e64 s0, v117, v64
	s_delay_alu instid0(VALU_DEP_2) | instskip(NEXT) | instid1(VALU_DEP_2)
	v_perm_b32 v2, v183, v2, 0x5040100
	v_cndmask_b32_e64 v40, 0, v40, s0
	v_cmp_lt_i32_e64 s0, v116, v55
	s_delay_alu instid0(VALU_DEP_1) | instskip(SKIP_1) | instid1(VALU_DEP_2)
	v_cndmask_b32_e64 v1, 0, v1, s0
	v_cmp_lt_i32_e64 s0, v115, v54
	v_perm_b32 v1, v40, v1, 0x5040100
	s_delay_alu instid0(VALU_DEP_2) | instskip(SKIP_1) | instid1(VALU_DEP_1)
	v_cndmask_b32_e64 v45, 0, v45, s0
	v_cmp_lt_i32_e64 s0, v14, v43
	v_cndmask_b32_e64 v0, 0, v0, s0
	s_delay_alu instid0(VALU_DEP_1)
	v_perm_b32 v0, v45, v0, 0x5040100
.LBB128_63:                             ;   in Loop: Header=BB128_31 Depth=1
	s_or_b32 exec_lo, exec_lo, s8
	s_waitcnt vmcnt(0) lgkmcnt(0)
	;;#ASMSTART
	v_pk_mul_f16 v0, v113, v0;

	;;#ASMEND
	;;#ASMSTART
	v_pk_mul_f16 v1, v103, v1;

	;;#ASMEND
	;; [unrolled: 4-line block ×4, first 2 shown]
	;;#ASMSTART
	v_pk_add_f16 v0, v0, v1;

	;;#ASMEND
	;;#ASMSTART
	v_pk_add_f16 v0, v0, v2;

	;;#ASMEND
	;; [unrolled: 4-line block ×3, first 2 shown]
	v_lshrrev_b32_e32 v2, 16, v0
	v_and_b32_e32 v3, 0xffff, v0
	v_add_co_u32 v0, s0, v130, v85
	s_delay_alu instid0(VALU_DEP_1)
	v_add_co_ci_u32_e64 v1, s0, 0, v131, s0
	;;#ASMSTART
	v_cvt_f32_f16 v182, v3;
	;;#ASMEND
	;;#ASMSTART
	v_cvt_f32_f16 v183, v2;
	;;#ASMEND
	flat_load_b128 v[0:3], v[0:1]
	s_and_saveexec_b32 s8, vcc_lo
	s_cbranch_execz .LBB128_65
; %bb.64:                               ;   in Loop: Header=BB128_31 Depth=1
	v_cmp_lt_i32_e64 s0, v129, v66
	s_waitcnt vmcnt(0) lgkmcnt(0)
	v_lshrrev_b32_e32 v40, 16, v3
	v_lshrrev_b32_e32 v45, 16, v2
	;; [unrolled: 1-line block ×4, first 2 shown]
	v_cndmask_b32_e64 v3, 0, v3, s0
	v_cmp_lt_i32_e64 s0, v128, v67
	s_delay_alu instid0(VALU_DEP_1) | instskip(SKIP_1) | instid1(VALU_DEP_2)
	v_cndmask_b32_e64 v40, 0, v40, s0
	v_cmp_lt_i32_e64 s0, v119, v21
	v_perm_b32 v3, v40, v3, 0x5040100
	s_delay_alu instid0(VALU_DEP_2) | instskip(SKIP_1) | instid1(VALU_DEP_1)
	v_cndmask_b32_e64 v45, 0, v45, s0
	v_cmp_lt_i32_e64 s0, v118, v65
	v_cndmask_b32_e64 v2, 0, v2, s0
	v_cmp_lt_i32_e64 s0, v117, v64
	s_delay_alu instid0(VALU_DEP_2) | instskip(NEXT) | instid1(VALU_DEP_2)
	v_perm_b32 v2, v45, v2, 0x5040100
	v_cndmask_b32_e64 v46, 0, v46, s0
	v_cmp_lt_i32_e64 s0, v116, v55
	s_delay_alu instid0(VALU_DEP_1) | instskip(SKIP_1) | instid1(VALU_DEP_2)
	v_cndmask_b32_e64 v1, 0, v1, s0
	v_cmp_lt_i32_e64 s0, v115, v54
	v_perm_b32 v1, v46, v1, 0x5040100
	s_delay_alu instid0(VALU_DEP_2) | instskip(SKIP_1) | instid1(VALU_DEP_1)
	v_cndmask_b32_e64 v47, 0, v47, s0
	v_cmp_lt_i32_e64 s0, v14, v43
	v_cndmask_b32_e64 v0, 0, v0, s0
	s_delay_alu instid0(VALU_DEP_1)
	v_perm_b32 v0, v47, v0, 0x5040100
.LBB128_65:                             ;   in Loop: Header=BB128_31 Depth=1
	s_or_b32 exec_lo, exec_lo, s8
	s_waitcnt vmcnt(0) lgkmcnt(0)
	;;#ASMSTART
	v_pk_mul_f16 v0, v113, v0;

	;;#ASMEND
	;;#ASMSTART
	v_pk_mul_f16 v1, v103, v1;

	;;#ASMEND
	;; [unrolled: 4-line block ×4, first 2 shown]
	;;#ASMSTART
	v_pk_add_f16 v0, v0, v1;

	;;#ASMEND
	;;#ASMSTART
	v_pk_add_f16 v0, v0, v2;

	;;#ASMEND
	;; [unrolled: 4-line block ×3, first 2 shown]
	v_lshrrev_b32_e32 v2, 16, v0
	v_and_b32_e32 v3, 0xffff, v0
	v_add_co_u32 v0, s0, v130, v86
	s_delay_alu instid0(VALU_DEP_1)
	v_add_co_ci_u32_e64 v1, s0, 0, v131, s0
	;;#ASMSTART
	v_cvt_f32_f16 v40, v3;
	;;#ASMEND
	;;#ASMSTART
	v_cvt_f32_f16 v45, v2;
	;;#ASMEND
	flat_load_b128 v[0:3], v[0:1]
	s_and_saveexec_b32 s8, vcc_lo
	s_cbranch_execz .LBB128_67
; %bb.66:                               ;   in Loop: Header=BB128_31 Depth=1
	v_cmp_lt_i32_e64 s0, v129, v66
	s_waitcnt vmcnt(0) lgkmcnt(0)
	v_lshrrev_b32_e32 v46, 16, v3
	v_lshrrev_b32_e32 v47, 16, v2
	v_lshrrev_b32_e32 v56, 16, v1
	v_lshrrev_b32_e32 v57, 16, v0
	v_cndmask_b32_e64 v3, 0, v3, s0
	v_cmp_lt_i32_e64 s0, v128, v67
	s_delay_alu instid0(VALU_DEP_1) | instskip(SKIP_1) | instid1(VALU_DEP_2)
	v_cndmask_b32_e64 v46, 0, v46, s0
	v_cmp_lt_i32_e64 s0, v119, v21
	v_perm_b32 v3, v46, v3, 0x5040100
	s_delay_alu instid0(VALU_DEP_2) | instskip(SKIP_1) | instid1(VALU_DEP_1)
	v_cndmask_b32_e64 v47, 0, v47, s0
	v_cmp_lt_i32_e64 s0, v118, v65
	v_cndmask_b32_e64 v2, 0, v2, s0
	v_cmp_lt_i32_e64 s0, v117, v64
	s_delay_alu instid0(VALU_DEP_2) | instskip(NEXT) | instid1(VALU_DEP_2)
	v_perm_b32 v2, v47, v2, 0x5040100
	v_cndmask_b32_e64 v56, 0, v56, s0
	v_cmp_lt_i32_e64 s0, v116, v55
	s_delay_alu instid0(VALU_DEP_1) | instskip(SKIP_1) | instid1(VALU_DEP_2)
	v_cndmask_b32_e64 v1, 0, v1, s0
	v_cmp_lt_i32_e64 s0, v115, v54
	v_perm_b32 v1, v56, v1, 0x5040100
	s_delay_alu instid0(VALU_DEP_2) | instskip(SKIP_1) | instid1(VALU_DEP_1)
	v_cndmask_b32_e64 v57, 0, v57, s0
	v_cmp_lt_i32_e64 s0, v14, v43
	v_cndmask_b32_e64 v0, 0, v0, s0
	s_delay_alu instid0(VALU_DEP_1)
	v_perm_b32 v0, v57, v0, 0x5040100
.LBB128_67:                             ;   in Loop: Header=BB128_31 Depth=1
	s_or_b32 exec_lo, exec_lo, s8
	s_waitcnt vmcnt(0) lgkmcnt(0)
	;;#ASMSTART
	v_pk_mul_f16 v0, v113, v0;

	;;#ASMEND
	;;#ASMSTART
	v_pk_mul_f16 v1, v103, v1;

	;;#ASMEND
	;; [unrolled: 4-line block ×4, first 2 shown]
	;;#ASMSTART
	v_pk_add_f16 v0, v0, v1;

	;;#ASMEND
	;;#ASMSTART
	v_pk_add_f16 v0, v0, v2;

	;;#ASMEND
	;; [unrolled: 4-line block ×3, first 2 shown]
	v_lshrrev_b32_e32 v2, 16, v0
	v_and_b32_e32 v3, 0xffff, v0
	v_add_co_u32 v0, s0, v130, v87
	s_delay_alu instid0(VALU_DEP_1)
	v_add_co_ci_u32_e64 v1, s0, 0, v131, s0
	;;#ASMSTART
	v_cvt_f32_f16 v46, v3;
	;;#ASMEND
	;;#ASMSTART
	v_cvt_f32_f16 v47, v2;
	;;#ASMEND
	flat_load_b128 v[0:3], v[0:1]
	s_and_saveexec_b32 s8, vcc_lo
	s_cbranch_execz .LBB128_69
; %bb.68:                               ;   in Loop: Header=BB128_31 Depth=1
	v_cmp_lt_i32_e64 s0, v129, v66
	s_waitcnt vmcnt(0) lgkmcnt(0)
	v_lshrrev_b32_e32 v56, 16, v3
	v_lshrrev_b32_e32 v57, 16, v2
	v_lshrrev_b32_e32 v58, 16, v1
	v_lshrrev_b32_e32 v59, 16, v0
	v_cndmask_b32_e64 v3, 0, v3, s0
	v_cmp_lt_i32_e64 s0, v128, v67
	s_delay_alu instid0(VALU_DEP_1) | instskip(SKIP_1) | instid1(VALU_DEP_2)
	v_cndmask_b32_e64 v56, 0, v56, s0
	v_cmp_lt_i32_e64 s0, v119, v21
	v_perm_b32 v3, v56, v3, 0x5040100
	s_delay_alu instid0(VALU_DEP_2) | instskip(SKIP_1) | instid1(VALU_DEP_1)
	v_cndmask_b32_e64 v57, 0, v57, s0
	v_cmp_lt_i32_e64 s0, v118, v65
	v_cndmask_b32_e64 v2, 0, v2, s0
	v_cmp_lt_i32_e64 s0, v117, v64
	s_delay_alu instid0(VALU_DEP_2) | instskip(NEXT) | instid1(VALU_DEP_2)
	v_perm_b32 v2, v57, v2, 0x5040100
	v_cndmask_b32_e64 v58, 0, v58, s0
	v_cmp_lt_i32_e64 s0, v116, v55
	s_delay_alu instid0(VALU_DEP_1) | instskip(SKIP_1) | instid1(VALU_DEP_2)
	v_cndmask_b32_e64 v1, 0, v1, s0
	v_cmp_lt_i32_e64 s0, v115, v54
	v_perm_b32 v1, v58, v1, 0x5040100
	s_delay_alu instid0(VALU_DEP_2) | instskip(SKIP_1) | instid1(VALU_DEP_1)
	v_cndmask_b32_e64 v59, 0, v59, s0
	v_cmp_lt_i32_e64 s0, v14, v43
	v_cndmask_b32_e64 v0, 0, v0, s0
	s_delay_alu instid0(VALU_DEP_1)
	v_perm_b32 v0, v59, v0, 0x5040100
.LBB128_69:                             ;   in Loop: Header=BB128_31 Depth=1
	s_or_b32 exec_lo, exec_lo, s8
	s_waitcnt vmcnt(0) lgkmcnt(0)
	;;#ASMSTART
	v_pk_mul_f16 v0, v113, v0;

	;;#ASMEND
	;;#ASMSTART
	v_pk_mul_f16 v1, v103, v1;

	;;#ASMEND
	;; [unrolled: 4-line block ×4, first 2 shown]
	;;#ASMSTART
	v_pk_add_f16 v0, v0, v1;

	;;#ASMEND
	;;#ASMSTART
	v_pk_add_f16 v0, v0, v2;

	;;#ASMEND
	;; [unrolled: 4-line block ×3, first 2 shown]
	v_lshrrev_b32_e32 v2, 16, v0
	v_and_b32_e32 v3, 0xffff, v0
	v_add_co_u32 v0, s0, v130, v96
	s_delay_alu instid0(VALU_DEP_1)
	v_add_co_ci_u32_e64 v1, s0, 0, v131, s0
	;;#ASMSTART
	v_cvt_f32_f16 v56, v3;
	;;#ASMEND
	;;#ASMSTART
	v_cvt_f32_f16 v57, v2;
	;;#ASMEND
	flat_load_b128 v[0:3], v[0:1]
	s_and_saveexec_b32 s8, vcc_lo
	s_cbranch_execz .LBB128_71
; %bb.70:                               ;   in Loop: Header=BB128_31 Depth=1
	v_cmp_lt_i32_e64 s0, v129, v66
	s_waitcnt vmcnt(0) lgkmcnt(0)
	v_lshrrev_b32_e32 v58, 16, v3
	v_lshrrev_b32_e32 v59, 16, v2
	;; [unrolled: 1-line block ×4, first 2 shown]
	v_cndmask_b32_e64 v3, 0, v3, s0
	v_cmp_lt_i32_e64 s0, v128, v67
	s_delay_alu instid0(VALU_DEP_1) | instskip(SKIP_1) | instid1(VALU_DEP_2)
	v_cndmask_b32_e64 v58, 0, v58, s0
	v_cmp_lt_i32_e64 s0, v119, v21
	v_perm_b32 v3, v58, v3, 0x5040100
	s_delay_alu instid0(VALU_DEP_2) | instskip(SKIP_1) | instid1(VALU_DEP_1)
	v_cndmask_b32_e64 v59, 0, v59, s0
	v_cmp_lt_i32_e64 s0, v118, v65
	v_cndmask_b32_e64 v2, 0, v2, s0
	v_cmp_lt_i32_e64 s0, v117, v64
	s_delay_alu instid0(VALU_DEP_2) | instskip(NEXT) | instid1(VALU_DEP_2)
	v_perm_b32 v2, v59, v2, 0x5040100
	v_cndmask_b32_e64 v60, 0, v60, s0
	v_cmp_lt_i32_e64 s0, v116, v55
	s_delay_alu instid0(VALU_DEP_1) | instskip(SKIP_1) | instid1(VALU_DEP_2)
	v_cndmask_b32_e64 v1, 0, v1, s0
	v_cmp_lt_i32_e64 s0, v115, v54
	v_perm_b32 v1, v60, v1, 0x5040100
	s_delay_alu instid0(VALU_DEP_2) | instskip(SKIP_1) | instid1(VALU_DEP_1)
	v_cndmask_b32_e64 v61, 0, v61, s0
	v_cmp_lt_i32_e64 s0, v14, v43
	v_cndmask_b32_e64 v0, 0, v0, s0
	s_delay_alu instid0(VALU_DEP_1)
	v_perm_b32 v0, v61, v0, 0x5040100
.LBB128_71:                             ;   in Loop: Header=BB128_31 Depth=1
	s_or_b32 exec_lo, exec_lo, s8
	s_waitcnt vmcnt(0) lgkmcnt(0)
	;;#ASMSTART
	v_pk_mul_f16 v0, v113, v0;

	;;#ASMEND
	;;#ASMSTART
	v_pk_mul_f16 v1, v103, v1;

	;;#ASMEND
	;; [unrolled: 4-line block ×4, first 2 shown]
	;;#ASMSTART
	v_pk_add_f16 v0, v0, v1;

	;;#ASMEND
	;;#ASMSTART
	v_pk_add_f16 v0, v0, v2;

	;;#ASMEND
	;; [unrolled: 4-line block ×3, first 2 shown]
	v_lshrrev_b32_e32 v2, 16, v0
	v_and_b32_e32 v3, 0xffff, v0
	v_add_co_u32 v0, s0, v130, v97
	s_delay_alu instid0(VALU_DEP_1)
	v_add_co_ci_u32_e64 v1, s0, 0, v131, s0
	;;#ASMSTART
	v_cvt_f32_f16 v58, v3;
	;;#ASMEND
	;;#ASMSTART
	v_cvt_f32_f16 v59, v2;
	;;#ASMEND
	flat_load_b128 v[0:3], v[0:1]
	s_and_saveexec_b32 s8, vcc_lo
	s_cbranch_execz .LBB128_73
; %bb.72:                               ;   in Loop: Header=BB128_31 Depth=1
	v_cmp_lt_i32_e64 s0, v129, v66
	s_waitcnt vmcnt(0) lgkmcnt(0)
	v_lshrrev_b32_e32 v60, 16, v3
	v_lshrrev_b32_e32 v61, 16, v2
	;; [unrolled: 1-line block ×4, first 2 shown]
	v_cndmask_b32_e64 v3, 0, v3, s0
	v_cmp_lt_i32_e64 s0, v128, v67
	s_delay_alu instid0(VALU_DEP_1) | instskip(SKIP_1) | instid1(VALU_DEP_2)
	v_cndmask_b32_e64 v60, 0, v60, s0
	v_cmp_lt_i32_e64 s0, v119, v21
	v_perm_b32 v3, v60, v3, 0x5040100
	s_delay_alu instid0(VALU_DEP_2) | instskip(SKIP_1) | instid1(VALU_DEP_1)
	v_cndmask_b32_e64 v61, 0, v61, s0
	v_cmp_lt_i32_e64 s0, v118, v65
	v_cndmask_b32_e64 v2, 0, v2, s0
	v_cmp_lt_i32_e64 s0, v117, v64
	s_delay_alu instid0(VALU_DEP_2) | instskip(NEXT) | instid1(VALU_DEP_2)
	v_perm_b32 v2, v61, v2, 0x5040100
	v_cndmask_b32_e64 v62, 0, v62, s0
	v_cmp_lt_i32_e64 s0, v116, v55
	s_delay_alu instid0(VALU_DEP_1) | instskip(SKIP_1) | instid1(VALU_DEP_2)
	v_cndmask_b32_e64 v1, 0, v1, s0
	v_cmp_lt_i32_e64 s0, v115, v54
	v_perm_b32 v1, v62, v1, 0x5040100
	s_delay_alu instid0(VALU_DEP_2) | instskip(SKIP_1) | instid1(VALU_DEP_1)
	v_cndmask_b32_e64 v63, 0, v63, s0
	v_cmp_lt_i32_e64 s0, v14, v43
	v_cndmask_b32_e64 v0, 0, v0, s0
	s_delay_alu instid0(VALU_DEP_1)
	v_perm_b32 v0, v63, v0, 0x5040100
.LBB128_73:                             ;   in Loop: Header=BB128_31 Depth=1
	s_or_b32 exec_lo, exec_lo, s8
	s_waitcnt vmcnt(0) lgkmcnt(0)
	;;#ASMSTART
	v_pk_mul_f16 v0, v113, v0;

	;;#ASMEND
	;;#ASMSTART
	v_pk_mul_f16 v1, v103, v1;

	;;#ASMEND
	;; [unrolled: 4-line block ×4, first 2 shown]
	;;#ASMSTART
	v_pk_add_f16 v0, v0, v1;

	;;#ASMEND
	;;#ASMSTART
	v_pk_add_f16 v0, v0, v2;

	;;#ASMEND
	;; [unrolled: 4-line block ×3, first 2 shown]
	v_lshrrev_b32_e32 v2, 16, v0
	v_and_b32_e32 v3, 0xffff, v0
	v_add_co_u32 v0, s0, v130, v98
	s_delay_alu instid0(VALU_DEP_1)
	v_add_co_ci_u32_e64 v1, s0, 0, v131, s0
	;;#ASMSTART
	v_cvt_f32_f16 v60, v3;
	;;#ASMEND
	;;#ASMSTART
	v_cvt_f32_f16 v61, v2;
	;;#ASMEND
	flat_load_b128 v[0:3], v[0:1]
	s_and_saveexec_b32 s8, vcc_lo
	s_cbranch_execz .LBB128_75
; %bb.74:                               ;   in Loop: Header=BB128_31 Depth=1
	v_cmp_lt_i32_e64 s0, v129, v66
	s_waitcnt vmcnt(0) lgkmcnt(0)
	v_lshrrev_b32_e32 v62, 16, v3
	v_lshrrev_b32_e32 v63, 16, v2
	;; [unrolled: 1-line block ×4, first 2 shown]
	v_cndmask_b32_e64 v3, 0, v3, s0
	v_cmp_lt_i32_e64 s0, v128, v67
	s_delay_alu instid0(VALU_DEP_1) | instskip(SKIP_1) | instid1(VALU_DEP_2)
	v_cndmask_b32_e64 v62, 0, v62, s0
	v_cmp_lt_i32_e64 s0, v119, v21
	v_perm_b32 v3, v62, v3, 0x5040100
	s_delay_alu instid0(VALU_DEP_2) | instskip(SKIP_1) | instid1(VALU_DEP_1)
	v_cndmask_b32_e64 v63, 0, v63, s0
	v_cmp_lt_i32_e64 s0, v118, v65
	v_cndmask_b32_e64 v2, 0, v2, s0
	v_cmp_lt_i32_e64 s0, v117, v64
	s_delay_alu instid0(VALU_DEP_2) | instskip(NEXT) | instid1(VALU_DEP_2)
	v_perm_b32 v2, v63, v2, 0x5040100
	v_cndmask_b32_e64 v72, 0, v72, s0
	v_cmp_lt_i32_e64 s0, v116, v55
	s_delay_alu instid0(VALU_DEP_1) | instskip(SKIP_1) | instid1(VALU_DEP_2)
	v_cndmask_b32_e64 v1, 0, v1, s0
	v_cmp_lt_i32_e64 s0, v115, v54
	v_perm_b32 v1, v72, v1, 0x5040100
	s_delay_alu instid0(VALU_DEP_2) | instskip(SKIP_1) | instid1(VALU_DEP_1)
	v_cndmask_b32_e64 v73, 0, v73, s0
	v_cmp_lt_i32_e64 s0, v14, v43
	v_cndmask_b32_e64 v0, 0, v0, s0
	s_delay_alu instid0(VALU_DEP_1)
	v_perm_b32 v0, v73, v0, 0x5040100
.LBB128_75:                             ;   in Loop: Header=BB128_31 Depth=1
	s_or_b32 exec_lo, exec_lo, s8
	s_waitcnt vmcnt(0) lgkmcnt(0)
	;;#ASMSTART
	v_pk_mul_f16 v0, v113, v0;

	;;#ASMEND
	;;#ASMSTART
	v_pk_mul_f16 v1, v103, v1;

	;;#ASMEND
	;; [unrolled: 4-line block ×4, first 2 shown]
	;;#ASMSTART
	v_pk_add_f16 v0, v0, v1;

	;;#ASMEND
	;;#ASMSTART
	v_pk_add_f16 v0, v0, v2;

	;;#ASMEND
	;; [unrolled: 4-line block ×3, first 2 shown]
	v_lshrrev_b32_e32 v2, 16, v0
	v_and_b32_e32 v3, 0xffff, v0
	v_add_co_u32 v0, s0, v130, v99
	s_delay_alu instid0(VALU_DEP_1)
	v_add_co_ci_u32_e64 v1, s0, 0, v131, s0
	;;#ASMSTART
	v_cvt_f32_f16 v62, v3;
	;;#ASMEND
	;;#ASMSTART
	v_cvt_f32_f16 v63, v2;
	;;#ASMEND
	flat_load_b128 v[0:3], v[0:1]
	s_and_saveexec_b32 s8, vcc_lo
	s_cbranch_execz .LBB128_77
; %bb.76:                               ;   in Loop: Header=BB128_31 Depth=1
	v_cmp_lt_i32_e64 s0, v129, v66
	s_waitcnt vmcnt(0) lgkmcnt(0)
	v_lshrrev_b32_e32 v72, 16, v3
	v_lshrrev_b32_e32 v73, 16, v2
	;; [unrolled: 1-line block ×4, first 2 shown]
	v_cndmask_b32_e64 v3, 0, v3, s0
	v_cmp_lt_i32_e64 s0, v128, v67
	s_delay_alu instid0(VALU_DEP_1) | instskip(SKIP_1) | instid1(VALU_DEP_2)
	v_cndmask_b32_e64 v72, 0, v72, s0
	v_cmp_lt_i32_e64 s0, v119, v21
	v_perm_b32 v3, v72, v3, 0x5040100
	s_delay_alu instid0(VALU_DEP_2) | instskip(SKIP_1) | instid1(VALU_DEP_1)
	v_cndmask_b32_e64 v73, 0, v73, s0
	v_cmp_lt_i32_e64 s0, v118, v65
	v_cndmask_b32_e64 v2, 0, v2, s0
	v_cmp_lt_i32_e64 s0, v117, v64
	s_delay_alu instid0(VALU_DEP_2) | instskip(NEXT) | instid1(VALU_DEP_2)
	v_perm_b32 v2, v73, v2, 0x5040100
	v_cndmask_b32_e64 v74, 0, v74, s0
	v_cmp_lt_i32_e64 s0, v116, v55
	s_delay_alu instid0(VALU_DEP_1) | instskip(SKIP_1) | instid1(VALU_DEP_2)
	v_cndmask_b32_e64 v1, 0, v1, s0
	v_cmp_lt_i32_e64 s0, v115, v54
	v_perm_b32 v1, v74, v1, 0x5040100
	s_delay_alu instid0(VALU_DEP_2) | instskip(SKIP_1) | instid1(VALU_DEP_1)
	v_cndmask_b32_e64 v75, 0, v75, s0
	v_cmp_lt_i32_e64 s0, v14, v43
	v_cndmask_b32_e64 v0, 0, v0, s0
	s_delay_alu instid0(VALU_DEP_1)
	v_perm_b32 v0, v75, v0, 0x5040100
.LBB128_77:                             ;   in Loop: Header=BB128_31 Depth=1
	s_or_b32 exec_lo, exec_lo, s8
	s_waitcnt vmcnt(0) lgkmcnt(0)
	;;#ASMSTART
	v_pk_mul_f16 v0, v113, v0;

	;;#ASMEND
	;;#ASMSTART
	v_pk_mul_f16 v1, v103, v1;

	;;#ASMEND
	;; [unrolled: 4-line block ×4, first 2 shown]
	;;#ASMSTART
	v_pk_add_f16 v0, v0, v1;

	;;#ASMEND
	;;#ASMSTART
	v_pk_add_f16 v0, v0, v2;

	;;#ASMEND
	;; [unrolled: 4-line block ×3, first 2 shown]
	v_lshrrev_b32_e32 v2, 16, v0
	v_and_b32_e32 v3, 0xffff, v0
	v_add_co_u32 v0, s0, v130, v100
	s_delay_alu instid0(VALU_DEP_1)
	v_add_co_ci_u32_e64 v1, s0, 0, v131, s0
	;;#ASMSTART
	v_cvt_f32_f16 v130, v3;
	;;#ASMEND
	;;#ASMSTART
	v_cvt_f32_f16 v131, v2;
	;;#ASMEND
	flat_load_b128 v[0:3], v[0:1]
	s_and_saveexec_b32 s0, vcc_lo
	s_cbranch_execz .LBB128_30
; %bb.78:                               ;   in Loop: Header=BB128_31 Depth=1
	v_cmp_lt_i32_e32 vcc_lo, v129, v66
	s_waitcnt vmcnt(0) lgkmcnt(0)
	v_lshrrev_b32_e32 v72, 16, v3
	v_lshrrev_b32_e32 v73, 16, v2
	;; [unrolled: 1-line block ×3, first 2 shown]
	v_cndmask_b32_e32 v3, 0, v3, vcc_lo
	v_cmp_lt_i32_e32 vcc_lo, v128, v67
	v_cndmask_b32_e32 v128, 0, v72, vcc_lo
	v_cmp_lt_i32_e32 vcc_lo, v119, v21
	s_delay_alu instid0(VALU_DEP_2)
	v_perm_b32 v3, v128, v3, 0x5040100
	v_cndmask_b32_e32 v119, 0, v73, vcc_lo
	v_cmp_lt_i32_e32 vcc_lo, v118, v65
	v_lshrrev_b32_e32 v118, 16, v0
	v_cndmask_b32_e32 v2, 0, v2, vcc_lo
	v_cmp_lt_i32_e32 vcc_lo, v117, v64
	s_delay_alu instid0(VALU_DEP_2)
	v_perm_b32 v2, v119, v2, 0x5040100
	v_cndmask_b32_e32 v117, 0, v129, vcc_lo
	v_cmp_lt_i32_e32 vcc_lo, v116, v55
	v_cndmask_b32_e32 v1, 0, v1, vcc_lo
	v_cmp_lt_i32_e32 vcc_lo, v115, v54
	;; [unrolled: 2-line block ×3, first 2 shown]
	v_cndmask_b32_e32 v0, 0, v0, vcc_lo
	v_perm_b32 v1, v117, v1, 0x5040100
	s_delay_alu instid0(VALU_DEP_2)
	v_perm_b32 v0, v115, v0, 0x5040100
	s_branch .LBB128_30
.LBB128_79:
	s_or_b32 exec_lo, exec_lo, s5
	v_dual_mov_b32 v0, s6 :: v_dual_mov_b32 v1, s7
.LBB128_80:
	s_or_b32 exec_lo, exec_lo, s3
	s_delay_alu instid0(VALU_DEP_1)
	v_lshlrev_b64 v[0:1], 2, v[0:1]
	s_getpc_b64 s[6:7]
	s_add_u32 s6, s6, llvm.amdgcn.dynlds.offset.table@rel32@lo+4
	s_addc_u32 s7, s7, llvm.amdgcn.dynlds.offset.table@rel32@hi+12
	s_waitcnt lgkmcnt(0)
	s_waitcnt_vscnt null, 0x0
	s_barrier
	buffer_gl0_inv
	ds_bpermute_b32 v2, v16, v51
	v_add_co_u32 v0, vcc_lo, v0, s6
	v_add_co_ci_u32_e32 v1, vcc_lo, s7, v1, vcc_lo
	ds_bpermute_b32 v3, v16, v50
	ds_bpermute_b32 v9, v16, v37
	;; [unrolled: 1-line block ×3, first 2 shown]
	global_load_b32 v54, v[0:1], off
	ds_bpermute_b32 v0, v16, v49
	ds_bpermute_b32 v7, v16, v39
	;; [unrolled: 1-line block ×18, first 2 shown]
	s_waitcnt lgkmcnt(21)
	v_dual_add_f32 v2, v51, v2 :: v_dual_and_b32 v69, 0x3c3, v12
	ds_bpermute_b32 v70, v16, v23
	ds_bpermute_b32 v16, v16, v18
	s_waitcnt lgkmcnt(20)
	v_dual_add_f32 v3, v50, v3 :: v_dual_add_f32 v6, v48, v6
	s_waitcnt lgkmcnt(16)
	v_dual_add_f32 v9, v37, v9 :: v_dual_add_f32 v10, v36, v10
	;; [unrolled: 2-line block ×3, first 2 shown]
	v_dual_add_f32 v7, v39, v7 :: v_dual_add_f32 v8, v38, v8
	v_dual_add_f32 v15, v33, v15 :: v_dual_add_f32 v32, v32, v20
	v_add_f32_e32 v38, v19, v71
	ds_bpermute_b32 v19, v13, v2
	ds_bpermute_b32 v20, v13, v3
	;; [unrolled: 1-line block ×3, first 2 shown]
	s_waitcnt lgkmcnt(13)
	v_dual_add_f32 v11, v35, v11 :: v_dual_add_f32 v14, v34, v14
	s_waitcnt lgkmcnt(11)
	v_dual_add_f32 v31, v31, v21 :: v_dual_add_f32 v30, v30, v22
	;; [unrolled: 2-line block ×5, first 2 shown]
	s_waitcnt lgkmcnt(4)
	v_add_f32_e32 v37, v23, v70
	s_waitcnt lgkmcnt(3)
	v_add_f32_e32 v39, v18, v16
	v_cmp_eq_u32_e32 vcc_lo, 64, v69
	ds_bpermute_b32 v16, v13, v0
	ds_bpermute_b32 v18, v13, v1
	;; [unrolled: 1-line block ×20, first 2 shown]
	s_waitcnt lgkmcnt(21)
	v_dual_add_f32 v25, v2, v19 :: v_dual_add_f32 v24, v3, v20
	s_waitcnt lgkmcnt(20)
	v_add_f32_e32 v20, v9, v49
	ds_bpermute_b32 v81, v13, v37
	v_lshrrev_b32_e32 v53, 2, v42
	s_waitcnt lgkmcnt(19)
	v_dual_add_f32 v27, v0, v16 :: v_dual_add_f32 v26, v1, v18
	s_waitcnt lgkmcnt(17)
	v_dual_add_f32 v23, v6, v21 :: v_dual_add_f32 v22, v7, v22
	;; [unrolled: 2-line block ×3, first 2 shown]
	v_add_f32_e32 v19, v10, v50
	s_waitcnt lgkmcnt(12)
	v_dual_add_f32 v16, v14, v52 :: v_dual_add_f32 v15, v15, v55
	s_waitcnt lgkmcnt(10)
	v_dual_add_f32 v14, v32, v64 :: v_dual_add_f32 v13, v31, v65
	;; [unrolled: 2-line block ×7, first 2 shown]
	v_lshlrev_b32_e32 v29, 2, v53
	s_waitcnt vmcnt(0)
	v_mad_u32_u24 v28, 0x300, v41, v54
	s_and_saveexec_b32 s0, vcc_lo
	s_cbranch_execz .LBB128_82
; %bb.81:
	s_delay_alu instid0(VALU_DEP_1)
	v_add3_u32 v30, v28, v29, 0xfffffa00
	ds_store_2addr_b32 v30, v27, v26 offset1:8
	ds_store_2addr_b32 v30, v25, v24 offset0:16 offset1:24
	ds_store_2addr_b32 v30, v23, v22 offset0:32 offset1:40
	;; [unrolled: 1-line block ×11, first 2 shown]
.LBB128_82:
	s_or_b32 exec_lo, exec_lo, s0
	v_cmp_eq_u32_e32 vcc_lo, 0, v17
	s_mov_b32 s3, exec_lo
	s_waitcnt lgkmcnt(0)
	s_barrier
	buffer_gl0_inv
	v_cmpx_gt_u32_e32 64, v12
	s_cbranch_execz .LBB128_109
; %bb.83:
	s_and_saveexec_b32 s0, vcc_lo
	s_cbranch_execnz .LBB128_141
; %bb.84:
	s_or_b32 exec_lo, exec_lo, s0
	s_and_saveexec_b32 s0, vcc_lo
	s_cbranch_execnz .LBB128_142
.LBB128_85:
	s_or_b32 exec_lo, exec_lo, s0
	s_and_saveexec_b32 s0, vcc_lo
	s_cbranch_execnz .LBB128_143
.LBB128_86:
	s_or_b32 exec_lo, exec_lo, s0
	s_and_saveexec_b32 s0, vcc_lo
	s_cbranch_execnz .LBB128_144
.LBB128_87:
	s_or_b32 exec_lo, exec_lo, s0
	s_and_saveexec_b32 s0, vcc_lo
	s_cbranch_execnz .LBB128_145
.LBB128_88:
	s_or_b32 exec_lo, exec_lo, s0
	s_and_saveexec_b32 s0, vcc_lo
	s_cbranch_execnz .LBB128_146
.LBB128_89:
	s_or_b32 exec_lo, exec_lo, s0
	s_and_saveexec_b32 s0, vcc_lo
	s_cbranch_execnz .LBB128_147
.LBB128_90:
	s_or_b32 exec_lo, exec_lo, s0
	s_and_saveexec_b32 s0, vcc_lo
	s_cbranch_execnz .LBB128_148
.LBB128_91:
	s_or_b32 exec_lo, exec_lo, s0
	s_and_saveexec_b32 s0, vcc_lo
	s_cbranch_execnz .LBB128_149
.LBB128_92:
	s_or_b32 exec_lo, exec_lo, s0
	s_and_saveexec_b32 s0, vcc_lo
	s_cbranch_execnz .LBB128_150
.LBB128_93:
	s_or_b32 exec_lo, exec_lo, s0
	s_and_saveexec_b32 s0, vcc_lo
	s_cbranch_execnz .LBB128_151
.LBB128_94:
	s_or_b32 exec_lo, exec_lo, s0
	s_and_saveexec_b32 s0, vcc_lo
	s_cbranch_execnz .LBB128_152
.LBB128_95:
	s_or_b32 exec_lo, exec_lo, s0
	s_and_saveexec_b32 s0, vcc_lo
	s_cbranch_execnz .LBB128_153
.LBB128_96:
	s_or_b32 exec_lo, exec_lo, s0
	s_and_saveexec_b32 s0, vcc_lo
	s_cbranch_execnz .LBB128_154
.LBB128_97:
	s_or_b32 exec_lo, exec_lo, s0
	s_and_saveexec_b32 s0, vcc_lo
	s_cbranch_execnz .LBB128_155
.LBB128_98:
	s_or_b32 exec_lo, exec_lo, s0
	s_and_saveexec_b32 s0, vcc_lo
	s_cbranch_execnz .LBB128_156
.LBB128_99:
	s_or_b32 exec_lo, exec_lo, s0
	s_and_saveexec_b32 s0, vcc_lo
	s_cbranch_execnz .LBB128_157
.LBB128_100:
	s_or_b32 exec_lo, exec_lo, s0
	s_and_saveexec_b32 s0, vcc_lo
	s_cbranch_execnz .LBB128_158
.LBB128_101:
	s_or_b32 exec_lo, exec_lo, s0
	s_and_saveexec_b32 s0, vcc_lo
	s_cbranch_execnz .LBB128_159
.LBB128_102:
	s_or_b32 exec_lo, exec_lo, s0
	s_and_saveexec_b32 s0, vcc_lo
	s_cbranch_execnz .LBB128_160
.LBB128_103:
	s_or_b32 exec_lo, exec_lo, s0
	s_and_saveexec_b32 s0, vcc_lo
	s_cbranch_execnz .LBB128_161
.LBB128_104:
	s_or_b32 exec_lo, exec_lo, s0
	s_and_saveexec_b32 s0, vcc_lo
	s_cbranch_execnz .LBB128_162
.LBB128_105:
	s_or_b32 exec_lo, exec_lo, s0
	s_and_saveexec_b32 s0, vcc_lo
	s_cbranch_execnz .LBB128_163
.LBB128_106:
	s_or_b32 exec_lo, exec_lo, s0
	s_and_saveexec_b32 s0, vcc_lo
	s_cbranch_execz .LBB128_108
.LBB128_107:
	v_lshl_add_u32 v17, v53, 2, v28
	ds_load_b32 v17, v17 offset:736
	s_waitcnt lgkmcnt(0)
	v_add_f32_e32 v0, v17, v0
.LBB128_108:
	s_or_b32 exec_lo, exec_lo, s0
.LBB128_109:
	s_delay_alu instid0(SALU_CYCLE_1)
	s_or_b32 exec_lo, exec_lo, s3
	v_and_b32_e32 v17, 0x3e3, v12
	s_mov_b32 s3, exec_lo
	s_barrier
	buffer_gl0_inv
	v_cmpx_eq_u32_e32 32, v17
	s_cbranch_execz .LBB128_111
; %bb.110:
	v_add3_u32 v29, v28, v29, 0xfffffd00
	ds_store_2addr_b32 v29, v27, v26 offset1:8
	ds_store_2addr_b32 v29, v25, v24 offset0:16 offset1:24
	ds_store_2addr_b32 v29, v23, v22 offset0:32 offset1:40
	ds_store_2addr_b32 v29, v21, v20 offset0:48 offset1:56
	ds_store_2addr_b32 v29, v19, v18 offset0:64 offset1:72
	ds_store_2addr_b32 v29, v16, v15 offset0:80 offset1:88
	ds_store_2addr_b32 v29, v14, v13 offset0:96 offset1:104
	ds_store_2addr_b32 v29, v11, v10 offset0:112 offset1:120
	ds_store_2addr_b32 v29, v9, v8 offset0:128 offset1:136
	ds_store_2addr_b32 v29, v7, v6 offset0:144 offset1:152
	ds_store_2addr_b32 v29, v3, v2 offset0:160 offset1:168
	ds_store_2addr_b32 v29, v1, v0 offset0:176 offset1:184
.LBB128_111:
	s_or_b32 exec_lo, exec_lo, s3
	s_delay_alu instid0(SALU_CYCLE_1)
	s_mov_b32 s3, exec_lo
	s_waitcnt lgkmcnt(0)
	s_barrier
	buffer_gl0_inv
	v_cmpx_gt_u32_e32 32, v12
	s_cbranch_execz .LBB128_138
; %bb.112:
	v_lshl_add_u32 v28, v53, 2, v28
	s_and_saveexec_b32 s0, vcc_lo
	s_cbranch_execnz .LBB128_164
; %bb.113:
	s_or_b32 exec_lo, exec_lo, s0
	s_and_saveexec_b32 s0, vcc_lo
	s_cbranch_execnz .LBB128_165
.LBB128_114:
	s_or_b32 exec_lo, exec_lo, s0
	s_and_saveexec_b32 s0, vcc_lo
	s_cbranch_execnz .LBB128_166
.LBB128_115:
	s_or_b32 exec_lo, exec_lo, s0
	s_and_saveexec_b32 s0, vcc_lo
	s_cbranch_execnz .LBB128_167
.LBB128_116:
	s_or_b32 exec_lo, exec_lo, s0
	s_and_saveexec_b32 s0, vcc_lo
	s_cbranch_execnz .LBB128_168
.LBB128_117:
	s_or_b32 exec_lo, exec_lo, s0
	s_and_saveexec_b32 s0, vcc_lo
	s_cbranch_execnz .LBB128_169
.LBB128_118:
	s_or_b32 exec_lo, exec_lo, s0
	s_and_saveexec_b32 s0, vcc_lo
	s_cbranch_execnz .LBB128_170
.LBB128_119:
	s_or_b32 exec_lo, exec_lo, s0
	s_and_saveexec_b32 s0, vcc_lo
	s_cbranch_execnz .LBB128_171
.LBB128_120:
	s_or_b32 exec_lo, exec_lo, s0
	s_and_saveexec_b32 s0, vcc_lo
	s_cbranch_execnz .LBB128_172
.LBB128_121:
	s_or_b32 exec_lo, exec_lo, s0
	s_and_saveexec_b32 s0, vcc_lo
	s_cbranch_execnz .LBB128_173
.LBB128_122:
	s_or_b32 exec_lo, exec_lo, s0
	s_and_saveexec_b32 s0, vcc_lo
	s_cbranch_execnz .LBB128_174
.LBB128_123:
	s_or_b32 exec_lo, exec_lo, s0
	s_and_saveexec_b32 s0, vcc_lo
	s_cbranch_execnz .LBB128_175
.LBB128_124:
	s_or_b32 exec_lo, exec_lo, s0
	s_and_saveexec_b32 s0, vcc_lo
	s_cbranch_execnz .LBB128_176
.LBB128_125:
	s_or_b32 exec_lo, exec_lo, s0
	s_and_saveexec_b32 s0, vcc_lo
	s_cbranch_execnz .LBB128_177
.LBB128_126:
	s_or_b32 exec_lo, exec_lo, s0
	s_and_saveexec_b32 s0, vcc_lo
	s_cbranch_execnz .LBB128_178
.LBB128_127:
	s_or_b32 exec_lo, exec_lo, s0
	s_and_saveexec_b32 s0, vcc_lo
	s_cbranch_execnz .LBB128_179
.LBB128_128:
	s_or_b32 exec_lo, exec_lo, s0
	s_and_saveexec_b32 s0, vcc_lo
	s_cbranch_execnz .LBB128_180
.LBB128_129:
	s_or_b32 exec_lo, exec_lo, s0
	s_and_saveexec_b32 s0, vcc_lo
	s_cbranch_execnz .LBB128_181
.LBB128_130:
	s_or_b32 exec_lo, exec_lo, s0
	s_and_saveexec_b32 s0, vcc_lo
	s_cbranch_execnz .LBB128_182
.LBB128_131:
	s_or_b32 exec_lo, exec_lo, s0
	s_and_saveexec_b32 s0, vcc_lo
	s_cbranch_execnz .LBB128_183
.LBB128_132:
	s_or_b32 exec_lo, exec_lo, s0
	s_and_saveexec_b32 s0, vcc_lo
	s_cbranch_execnz .LBB128_184
.LBB128_133:
	s_or_b32 exec_lo, exec_lo, s0
	s_and_saveexec_b32 s0, vcc_lo
	s_cbranch_execnz .LBB128_185
.LBB128_134:
	s_or_b32 exec_lo, exec_lo, s0
	s_and_saveexec_b32 s0, vcc_lo
	s_cbranch_execnz .LBB128_186
.LBB128_135:
	s_or_b32 exec_lo, exec_lo, s0
	s_and_saveexec_b32 s0, vcc_lo
	s_cbranch_execz .LBB128_137
.LBB128_136:
	ds_load_b32 v28, v28 offset:736
	s_waitcnt lgkmcnt(0)
	v_add_f32_e32 v0, v28, v0
.LBB128_137:
	s_or_b32 exec_lo, exec_lo, s0
.LBB128_138:
	s_delay_alu instid0(SALU_CYCLE_1)
	s_or_b32 exec_lo, exec_lo, s3
	v_cmp_eq_u32_e32 vcc_lo, 0, v17
	s_barrier
	buffer_gl0_inv
	s_and_b32 exec_lo, exec_lo, vcc_lo
	s_cbranch_execz .LBB128_140
; %bb.139:
	s_mul_i32 s0, s2, 0xc0
	s_mul_i32 s2, s4, s1
	;; [unrolled: 1-line block ×3, first 2 shown]
	s_ashr_i32 s3, s2, 31
	s_ashr_i32 s5, s4, 31
	;; [unrolled: 1-line block ×3, first 2 shown]
	s_lshl_b64 s[2:3], s[2:3], 1
	s_lshl_b64 s[4:5], s[4:5], 1
	;; [unrolled: 1-line block ×3, first 2 shown]
	s_add_u32 s2, s4, s2
	s_addc_u32 s3, s5, s3
	s_add_u32 s0, s2, s0
	s_addc_u32 s1, s3, s1
	v_lshrrev_b32_e32 v12, 1, v12
	v_add_co_u32 v4, vcc_lo, s0, v4
	v_add_co_ci_u32_e32 v5, vcc_lo, s1, v5, vcc_lo
	s_delay_alu instid0(VALU_DEP_2) | instskip(NEXT) | instid1(VALU_DEP_2)
	v_add_co_u32 v4, vcc_lo, v4, v12
	v_add_co_ci_u32_e32 v5, vcc_lo, 0, v5, vcc_lo
	;;#ASMSTART
	v_cvt_f16_f32 v12, v27;

	;;#ASMEND
	flat_store_b16 v[4:5], v12
	;;#ASMSTART
	v_cvt_f16_f32 v12, v26;

	;;#ASMEND
	flat_store_b16 v[4:5], v12 offset:16
	;;#ASMSTART
	v_cvt_f16_f32 v12, v25;

	;;#ASMEND
	flat_store_b16 v[4:5], v12 offset:32
	;; [unrolled: 5-line block ×23, first 2 shown]
.LBB128_140:
	s_or_b32 exec_lo, exec_lo, s11
	s_clause 0x1f
	scratch_load_b32 v111, off, s32
	scratch_load_b32 v110, off, s32 offset:4
	scratch_load_b32 v109, off, s32 offset:8
	;; [unrolled: 1-line block ×31, first 2 shown]
	s_clause 0x7
	scratch_load_b32 v47, off, s32 offset:128
	scratch_load_b32 v46, off, s32 offset:132
	;; [unrolled: 1-line block ×8, first 2 shown]
	s_waitcnt vmcnt(0) lgkmcnt(0)
	s_setpc_b64 s[30:31]
.LBB128_141:
	v_lshl_add_u32 v17, v53, 2, v28
	ds_load_b32 v17, v17
	s_waitcnt lgkmcnt(0)
	v_add_f32_e32 v27, v17, v27
	s_or_b32 exec_lo, exec_lo, s0
	s_and_saveexec_b32 s0, vcc_lo
	s_cbranch_execz .LBB128_85
.LBB128_142:
	v_lshl_add_u32 v17, v53, 2, v28
	ds_load_b32 v17, v17 offset:32
	s_waitcnt lgkmcnt(0)
	v_add_f32_e32 v26, v17, v26
	s_or_b32 exec_lo, exec_lo, s0
	s_and_saveexec_b32 s0, vcc_lo
	s_cbranch_execz .LBB128_86
.LBB128_143:
	v_lshl_add_u32 v17, v53, 2, v28
	ds_load_b32 v17, v17 offset:64
	s_waitcnt lgkmcnt(0)
	v_add_f32_e32 v25, v17, v25
	s_or_b32 exec_lo, exec_lo, s0
	s_and_saveexec_b32 s0, vcc_lo
	s_cbranch_execz .LBB128_87
.LBB128_144:
	v_lshl_add_u32 v17, v53, 2, v28
	ds_load_b32 v17, v17 offset:96
	s_waitcnt lgkmcnt(0)
	v_add_f32_e32 v24, v17, v24
	s_or_b32 exec_lo, exec_lo, s0
	s_and_saveexec_b32 s0, vcc_lo
	s_cbranch_execz .LBB128_88
.LBB128_145:
	v_lshl_add_u32 v17, v53, 2, v28
	ds_load_b32 v17, v17 offset:128
	s_waitcnt lgkmcnt(0)
	v_add_f32_e32 v23, v17, v23
	s_or_b32 exec_lo, exec_lo, s0
	s_and_saveexec_b32 s0, vcc_lo
	s_cbranch_execz .LBB128_89
.LBB128_146:
	v_lshl_add_u32 v17, v53, 2, v28
	ds_load_b32 v17, v17 offset:160
	s_waitcnt lgkmcnt(0)
	v_add_f32_e32 v22, v17, v22
	s_or_b32 exec_lo, exec_lo, s0
	s_and_saveexec_b32 s0, vcc_lo
	s_cbranch_execz .LBB128_90
.LBB128_147:
	v_lshl_add_u32 v17, v53, 2, v28
	ds_load_b32 v17, v17 offset:192
	s_waitcnt lgkmcnt(0)
	v_add_f32_e32 v21, v17, v21
	s_or_b32 exec_lo, exec_lo, s0
	s_and_saveexec_b32 s0, vcc_lo
	s_cbranch_execz .LBB128_91
.LBB128_148:
	v_lshl_add_u32 v17, v53, 2, v28
	ds_load_b32 v17, v17 offset:224
	s_waitcnt lgkmcnt(0)
	v_add_f32_e32 v20, v17, v20
	s_or_b32 exec_lo, exec_lo, s0
	s_and_saveexec_b32 s0, vcc_lo
	s_cbranch_execz .LBB128_92
.LBB128_149:
	v_lshl_add_u32 v17, v53, 2, v28
	ds_load_b32 v17, v17 offset:256
	s_waitcnt lgkmcnt(0)
	v_add_f32_e32 v19, v17, v19
	s_or_b32 exec_lo, exec_lo, s0
	s_and_saveexec_b32 s0, vcc_lo
	s_cbranch_execz .LBB128_93
.LBB128_150:
	v_lshl_add_u32 v17, v53, 2, v28
	ds_load_b32 v17, v17 offset:288
	s_waitcnt lgkmcnt(0)
	v_add_f32_e32 v18, v17, v18
	s_or_b32 exec_lo, exec_lo, s0
	s_and_saveexec_b32 s0, vcc_lo
	s_cbranch_execz .LBB128_94
.LBB128_151:
	v_lshl_add_u32 v17, v53, 2, v28
	ds_load_b32 v17, v17 offset:320
	s_waitcnt lgkmcnt(0)
	v_add_f32_e32 v16, v17, v16
	s_or_b32 exec_lo, exec_lo, s0
	s_and_saveexec_b32 s0, vcc_lo
	s_cbranch_execz .LBB128_95
.LBB128_152:
	v_lshl_add_u32 v17, v53, 2, v28
	ds_load_b32 v17, v17 offset:352
	s_waitcnt lgkmcnt(0)
	v_add_f32_e32 v15, v17, v15
	s_or_b32 exec_lo, exec_lo, s0
	s_and_saveexec_b32 s0, vcc_lo
	s_cbranch_execz .LBB128_96
.LBB128_153:
	v_lshl_add_u32 v17, v53, 2, v28
	ds_load_b32 v17, v17 offset:384
	s_waitcnt lgkmcnt(0)
	v_add_f32_e32 v14, v17, v14
	s_or_b32 exec_lo, exec_lo, s0
	s_and_saveexec_b32 s0, vcc_lo
	s_cbranch_execz .LBB128_97
.LBB128_154:
	v_lshl_add_u32 v17, v53, 2, v28
	ds_load_b32 v17, v17 offset:416
	s_waitcnt lgkmcnt(0)
	v_add_f32_e32 v13, v17, v13
	s_or_b32 exec_lo, exec_lo, s0
	s_and_saveexec_b32 s0, vcc_lo
	s_cbranch_execz .LBB128_98
.LBB128_155:
	v_lshl_add_u32 v17, v53, 2, v28
	ds_load_b32 v17, v17 offset:448
	s_waitcnt lgkmcnt(0)
	v_add_f32_e32 v11, v17, v11
	s_or_b32 exec_lo, exec_lo, s0
	s_and_saveexec_b32 s0, vcc_lo
	s_cbranch_execz .LBB128_99
.LBB128_156:
	v_lshl_add_u32 v17, v53, 2, v28
	ds_load_b32 v17, v17 offset:480
	s_waitcnt lgkmcnt(0)
	v_add_f32_e32 v10, v17, v10
	s_or_b32 exec_lo, exec_lo, s0
	s_and_saveexec_b32 s0, vcc_lo
	s_cbranch_execz .LBB128_100
.LBB128_157:
	v_lshl_add_u32 v17, v53, 2, v28
	ds_load_b32 v17, v17 offset:512
	s_waitcnt lgkmcnt(0)
	v_add_f32_e32 v9, v17, v9
	s_or_b32 exec_lo, exec_lo, s0
	s_and_saveexec_b32 s0, vcc_lo
	s_cbranch_execz .LBB128_101
.LBB128_158:
	v_lshl_add_u32 v17, v53, 2, v28
	ds_load_b32 v17, v17 offset:544
	s_waitcnt lgkmcnt(0)
	v_add_f32_e32 v8, v17, v8
	s_or_b32 exec_lo, exec_lo, s0
	s_and_saveexec_b32 s0, vcc_lo
	s_cbranch_execz .LBB128_102
.LBB128_159:
	v_lshl_add_u32 v17, v53, 2, v28
	ds_load_b32 v17, v17 offset:576
	s_waitcnt lgkmcnt(0)
	v_add_f32_e32 v7, v17, v7
	s_or_b32 exec_lo, exec_lo, s0
	s_and_saveexec_b32 s0, vcc_lo
	s_cbranch_execz .LBB128_103
.LBB128_160:
	v_lshl_add_u32 v17, v53, 2, v28
	ds_load_b32 v17, v17 offset:608
	s_waitcnt lgkmcnt(0)
	v_add_f32_e32 v6, v17, v6
	s_or_b32 exec_lo, exec_lo, s0
	s_and_saveexec_b32 s0, vcc_lo
	s_cbranch_execz .LBB128_104
.LBB128_161:
	v_lshl_add_u32 v17, v53, 2, v28
	ds_load_b32 v17, v17 offset:640
	s_waitcnt lgkmcnt(0)
	v_add_f32_e32 v3, v17, v3
	s_or_b32 exec_lo, exec_lo, s0
	s_and_saveexec_b32 s0, vcc_lo
	s_cbranch_execz .LBB128_105
.LBB128_162:
	v_lshl_add_u32 v17, v53, 2, v28
	ds_load_b32 v17, v17 offset:672
	s_waitcnt lgkmcnt(0)
	v_add_f32_e32 v2, v17, v2
	s_or_b32 exec_lo, exec_lo, s0
	s_and_saveexec_b32 s0, vcc_lo
	s_cbranch_execz .LBB128_106
.LBB128_163:
	v_lshl_add_u32 v17, v53, 2, v28
	ds_load_b32 v17, v17 offset:704
	s_waitcnt lgkmcnt(0)
	v_add_f32_e32 v1, v17, v1
	s_or_b32 exec_lo, exec_lo, s0
	s_and_saveexec_b32 s0, vcc_lo
	s_cbranch_execnz .LBB128_107
	s_branch .LBB128_108
.LBB128_164:
	ds_load_b32 v29, v28
	s_waitcnt lgkmcnt(0)
	v_add_f32_e32 v27, v29, v27
	s_or_b32 exec_lo, exec_lo, s0
	s_and_saveexec_b32 s0, vcc_lo
	s_cbranch_execz .LBB128_114
.LBB128_165:
	ds_load_b32 v29, v28 offset:32
	s_waitcnt lgkmcnt(0)
	v_add_f32_e32 v26, v29, v26
	s_or_b32 exec_lo, exec_lo, s0
	s_and_saveexec_b32 s0, vcc_lo
	s_cbranch_execz .LBB128_115
.LBB128_166:
	ds_load_b32 v29, v28 offset:64
	s_waitcnt lgkmcnt(0)
	v_add_f32_e32 v25, v29, v25
	s_or_b32 exec_lo, exec_lo, s0
	s_and_saveexec_b32 s0, vcc_lo
	s_cbranch_execz .LBB128_116
.LBB128_167:
	ds_load_b32 v29, v28 offset:96
	s_waitcnt lgkmcnt(0)
	v_add_f32_e32 v24, v29, v24
	s_or_b32 exec_lo, exec_lo, s0
	s_and_saveexec_b32 s0, vcc_lo
	s_cbranch_execz .LBB128_117
.LBB128_168:
	ds_load_b32 v29, v28 offset:128
	s_waitcnt lgkmcnt(0)
	v_add_f32_e32 v23, v29, v23
	s_or_b32 exec_lo, exec_lo, s0
	s_and_saveexec_b32 s0, vcc_lo
	s_cbranch_execz .LBB128_118
.LBB128_169:
	ds_load_b32 v29, v28 offset:160
	s_waitcnt lgkmcnt(0)
	v_add_f32_e32 v22, v29, v22
	s_or_b32 exec_lo, exec_lo, s0
	s_and_saveexec_b32 s0, vcc_lo
	s_cbranch_execz .LBB128_119
.LBB128_170:
	ds_load_b32 v29, v28 offset:192
	s_waitcnt lgkmcnt(0)
	v_add_f32_e32 v21, v29, v21
	s_or_b32 exec_lo, exec_lo, s0
	s_and_saveexec_b32 s0, vcc_lo
	s_cbranch_execz .LBB128_120
.LBB128_171:
	ds_load_b32 v29, v28 offset:224
	s_waitcnt lgkmcnt(0)
	v_add_f32_e32 v20, v29, v20
	s_or_b32 exec_lo, exec_lo, s0
	s_and_saveexec_b32 s0, vcc_lo
	s_cbranch_execz .LBB128_121
.LBB128_172:
	ds_load_b32 v29, v28 offset:256
	s_waitcnt lgkmcnt(0)
	v_add_f32_e32 v19, v29, v19
	s_or_b32 exec_lo, exec_lo, s0
	s_and_saveexec_b32 s0, vcc_lo
	s_cbranch_execz .LBB128_122
.LBB128_173:
	ds_load_b32 v29, v28 offset:288
	s_waitcnt lgkmcnt(0)
	v_add_f32_e32 v18, v29, v18
	s_or_b32 exec_lo, exec_lo, s0
	s_and_saveexec_b32 s0, vcc_lo
	s_cbranch_execz .LBB128_123
.LBB128_174:
	ds_load_b32 v29, v28 offset:320
	s_waitcnt lgkmcnt(0)
	v_add_f32_e32 v16, v29, v16
	s_or_b32 exec_lo, exec_lo, s0
	s_and_saveexec_b32 s0, vcc_lo
	s_cbranch_execz .LBB128_124
.LBB128_175:
	ds_load_b32 v29, v28 offset:352
	s_waitcnt lgkmcnt(0)
	v_add_f32_e32 v15, v29, v15
	s_or_b32 exec_lo, exec_lo, s0
	s_and_saveexec_b32 s0, vcc_lo
	s_cbranch_execz .LBB128_125
.LBB128_176:
	ds_load_b32 v29, v28 offset:384
	s_waitcnt lgkmcnt(0)
	v_add_f32_e32 v14, v29, v14
	s_or_b32 exec_lo, exec_lo, s0
	s_and_saveexec_b32 s0, vcc_lo
	s_cbranch_execz .LBB128_126
.LBB128_177:
	ds_load_b32 v29, v28 offset:416
	s_waitcnt lgkmcnt(0)
	v_add_f32_e32 v13, v29, v13
	s_or_b32 exec_lo, exec_lo, s0
	s_and_saveexec_b32 s0, vcc_lo
	s_cbranch_execz .LBB128_127
.LBB128_178:
	ds_load_b32 v29, v28 offset:448
	s_waitcnt lgkmcnt(0)
	v_add_f32_e32 v11, v29, v11
	s_or_b32 exec_lo, exec_lo, s0
	s_and_saveexec_b32 s0, vcc_lo
	s_cbranch_execz .LBB128_128
.LBB128_179:
	ds_load_b32 v29, v28 offset:480
	s_waitcnt lgkmcnt(0)
	v_add_f32_e32 v10, v29, v10
	s_or_b32 exec_lo, exec_lo, s0
	s_and_saveexec_b32 s0, vcc_lo
	s_cbranch_execz .LBB128_129
.LBB128_180:
	ds_load_b32 v29, v28 offset:512
	s_waitcnt lgkmcnt(0)
	v_add_f32_e32 v9, v29, v9
	s_or_b32 exec_lo, exec_lo, s0
	s_and_saveexec_b32 s0, vcc_lo
	s_cbranch_execz .LBB128_130
.LBB128_181:
	ds_load_b32 v29, v28 offset:544
	s_waitcnt lgkmcnt(0)
	v_add_f32_e32 v8, v29, v8
	s_or_b32 exec_lo, exec_lo, s0
	s_and_saveexec_b32 s0, vcc_lo
	s_cbranch_execz .LBB128_131
.LBB128_182:
	ds_load_b32 v29, v28 offset:576
	s_waitcnt lgkmcnt(0)
	v_add_f32_e32 v7, v29, v7
	s_or_b32 exec_lo, exec_lo, s0
	s_and_saveexec_b32 s0, vcc_lo
	s_cbranch_execz .LBB128_132
.LBB128_183:
	ds_load_b32 v29, v28 offset:608
	s_waitcnt lgkmcnt(0)
	v_add_f32_e32 v6, v29, v6
	s_or_b32 exec_lo, exec_lo, s0
	s_and_saveexec_b32 s0, vcc_lo
	s_cbranch_execz .LBB128_133
.LBB128_184:
	ds_load_b32 v29, v28 offset:640
	s_waitcnt lgkmcnt(0)
	v_add_f32_e32 v3, v29, v3
	s_or_b32 exec_lo, exec_lo, s0
	s_and_saveexec_b32 s0, vcc_lo
	s_cbranch_execz .LBB128_134
.LBB128_185:
	ds_load_b32 v29, v28 offset:672
	s_waitcnt lgkmcnt(0)
	v_add_f32_e32 v2, v29, v2
	s_or_b32 exec_lo, exec_lo, s0
	s_and_saveexec_b32 s0, vcc_lo
	s_cbranch_execz .LBB128_135
.LBB128_186:
	ds_load_b32 v29, v28 offset:704
	s_waitcnt lgkmcnt(0)
	v_add_f32_e32 v1, v29, v1
	s_or_b32 exec_lo, exec_lo, s0
	s_and_saveexec_b32 s0, vcc_lo
	s_cbranch_execnz .LBB128_136
	s_branch .LBB128_137
.Lfunc_end128:
	.size	_ZN4vllm22paged_attention_kernelIttLi192ELi32ELi128ELNS_18Fp8KVCacheDataTypeE0ELb0ELi512EEEvPfS2_PT_PKS3_PKT0_S9_ifPKiSB_iPKfiiiSD_SD_iiiii, .Lfunc_end128-_ZN4vllm22paged_attention_kernelIttLi192ELi32ELi128ELNS_18Fp8KVCacheDataTypeE0ELb0ELi512EEEvPfS2_PT_PKS3_PKT0_S9_ifPKiSB_iPKfiiiSD_SD_iiiii
                                        ; -- End function
	.section	.AMDGPU.csdata,"",@progbits
; Function info:
; codeLenInByte = 30540
; NumSgprs: 35
; NumVgprs: 184
; ScratchSize: 164
; MemoryBound: 0
	.section	.text._ZN4vllm25paged_attention_v2_kernelIttLi192ELi32ELi128ELNS_18Fp8KVCacheDataTypeE0ELb0ELi512EEEvPfS2_PT_PKS3_PKT0_S9_ifPKiSB_iPKfiiiSD_SD_iiiii,"axG",@progbits,_ZN4vllm25paged_attention_v2_kernelIttLi192ELi32ELi128ELNS_18Fp8KVCacheDataTypeE0ELb0ELi512EEEvPfS2_PT_PKS3_PKT0_S9_ifPKiSB_iPKfiiiSD_SD_iiiii,comdat
	.protected	_ZN4vllm25paged_attention_v2_kernelIttLi192ELi32ELi128ELNS_18Fp8KVCacheDataTypeE0ELb0ELi512EEEvPfS2_PT_PKS3_PKT0_S9_ifPKiSB_iPKfiiiSD_SD_iiiii ; -- Begin function _ZN4vllm25paged_attention_v2_kernelIttLi192ELi32ELi128ELNS_18Fp8KVCacheDataTypeE0ELb0ELi512EEEvPfS2_PT_PKS3_PKT0_S9_ifPKiSB_iPKfiiiSD_SD_iiiii
	.globl	_ZN4vllm25paged_attention_v2_kernelIttLi192ELi32ELi128ELNS_18Fp8KVCacheDataTypeE0ELb0ELi512EEEvPfS2_PT_PKS3_PKT0_S9_ifPKiSB_iPKfiiiSD_SD_iiiii
	.p2align	8
	.type	_ZN4vllm25paged_attention_v2_kernelIttLi192ELi32ELi128ELNS_18Fp8KVCacheDataTypeE0ELb0ELi512EEEvPfS2_PT_PKS3_PKT0_S9_ifPKiSB_iPKfiiiSD_SD_iiiii,@function
_ZN4vllm25paged_attention_v2_kernelIttLi192ELi32ELi128ELNS_18Fp8KVCacheDataTypeE0ELb0ELi512EEEvPfS2_PT_PKS3_PKT0_S9_ifPKiSB_iPKfiiiSD_SD_iiiii: ; @_ZN4vllm25paged_attention_v2_kernelIttLi192ELi32ELi128ELNS_18Fp8KVCacheDataTypeE0ELb0ELi512EEEvPfS2_PT_PKS3_PKT0_S9_ifPKiSB_iPKfiiiSD_SD_iiiii
; %bb.0:
	s_mov_b32 s12, s13
	s_clause 0x5
	s_load_b256 s[24:31], s[0:1], 0x0
	s_load_b256 s[16:23], s[0:1], 0x20
	s_load_b64 s[2:3], s[0:1], 0x40
	s_load_b64 s[10:11], s[0:1], 0x50
	s_load_b32 s13, s[0:1], 0x48
	s_load_b128 s[4:7], s[0:1], 0x58
	v_mov_b32_e32 v31, v0
	s_add_u32 s8, s0, 0x90
	s_addc_u32 s9, s1, 0
	s_mov_b32 s32, 0
	s_getpc_b64 s[0:1]
	s_add_u32 s0, s0, _ZN4vllm22paged_attention_kernelIttLi192ELi32ELi128ELNS_18Fp8KVCacheDataTypeE0ELb0ELi512EEEvPfS2_PT_PKS3_PKT0_S9_ifPKiSB_iPKfiiiSD_SD_iiiii@rel32@lo+4
	s_addc_u32 s1, s1, _ZN4vllm22paged_attention_kernelIttLi192ELi32ELi128ELNS_18Fp8KVCacheDataTypeE0ELb0ELi512EEEvPfS2_PT_PKS3_PKT0_S9_ifPKiSB_iPKfiiiSD_SD_iiiii@rel32@hi+12
	s_waitcnt lgkmcnt(0)
	v_dual_mov_b32 v0, s24 :: v_dual_mov_b32 v1, s25
	v_dual_mov_b32 v2, s26 :: v_dual_mov_b32 v3, s27
	;; [unrolled: 1-line block ×12, first 2 shown]
	s_mov_b32 s13, s14
	s_mov_b32 s14, s15
	s_movk_i32 s15, 0x73
	s_swappc_b64 s[30:31], s[0:1]
	s_endpgm
	.section	.rodata,"a",@progbits
	.p2align	6, 0x0
	.amdhsa_kernel _ZN4vllm25paged_attention_v2_kernelIttLi192ELi32ELi128ELNS_18Fp8KVCacheDataTypeE0ELb0ELi512EEEvPfS2_PT_PKS3_PKT0_S9_ifPKiSB_iPKfiiiSD_SD_iiiii
		.amdhsa_group_segment_fixed_size 416
		.amdhsa_private_segment_fixed_size 164
		.amdhsa_kernarg_size 400
		.amdhsa_user_sgpr_count 13
		.amdhsa_user_sgpr_dispatch_ptr 0
		.amdhsa_user_sgpr_queue_ptr 0
		.amdhsa_user_sgpr_kernarg_segment_ptr 1
		.amdhsa_user_sgpr_dispatch_id 0
		.amdhsa_user_sgpr_private_segment_size 0
		.amdhsa_wavefront_size32 1
		.amdhsa_uses_dynamic_stack 0
		.amdhsa_enable_private_segment 1
		.amdhsa_system_sgpr_workgroup_id_x 1
		.amdhsa_system_sgpr_workgroup_id_y 1
		.amdhsa_system_sgpr_workgroup_id_z 1
		.amdhsa_system_sgpr_workgroup_info 0
		.amdhsa_system_vgpr_workitem_id 0
		.amdhsa_next_free_vgpr 184
		.amdhsa_next_free_sgpr 33
		.amdhsa_reserve_vcc 1
		.amdhsa_float_round_mode_32 0
		.amdhsa_float_round_mode_16_64 0
		.amdhsa_float_denorm_mode_32 3
		.amdhsa_float_denorm_mode_16_64 3
		.amdhsa_dx10_clamp 1
		.amdhsa_ieee_mode 1
		.amdhsa_fp16_overflow 0
		.amdhsa_workgroup_processor_mode 1
		.amdhsa_memory_ordered 1
		.amdhsa_forward_progress 0
		.amdhsa_shared_vgpr_count 0
		.amdhsa_exception_fp_ieee_invalid_op 0
		.amdhsa_exception_fp_denorm_src 0
		.amdhsa_exception_fp_ieee_div_zero 0
		.amdhsa_exception_fp_ieee_overflow 0
		.amdhsa_exception_fp_ieee_underflow 0
		.amdhsa_exception_fp_ieee_inexact 0
		.amdhsa_exception_int_div_zero 0
	.end_amdhsa_kernel
	.section	.text._ZN4vllm25paged_attention_v2_kernelIttLi192ELi32ELi128ELNS_18Fp8KVCacheDataTypeE0ELb0ELi512EEEvPfS2_PT_PKS3_PKT0_S9_ifPKiSB_iPKfiiiSD_SD_iiiii,"axG",@progbits,_ZN4vllm25paged_attention_v2_kernelIttLi192ELi32ELi128ELNS_18Fp8KVCacheDataTypeE0ELb0ELi512EEEvPfS2_PT_PKS3_PKT0_S9_ifPKiSB_iPKfiiiSD_SD_iiiii,comdat
.Lfunc_end129:
	.size	_ZN4vllm25paged_attention_v2_kernelIttLi192ELi32ELi128ELNS_18Fp8KVCacheDataTypeE0ELb0ELi512EEEvPfS2_PT_PKS3_PKT0_S9_ifPKiSB_iPKfiiiSD_SD_iiiii, .Lfunc_end129-_ZN4vllm25paged_attention_v2_kernelIttLi192ELi32ELi128ELNS_18Fp8KVCacheDataTypeE0ELb0ELi512EEEvPfS2_PT_PKS3_PKT0_S9_ifPKiSB_iPKfiiiSD_SD_iiiii
                                        ; -- End function
	.section	.AMDGPU.csdata,"",@progbits
; Kernel info:
; codeLenInByte = 216
; NumSgprs: 35
; NumVgprs: 184
; ScratchSize: 164
; MemoryBound: 0
; FloatMode: 240
; IeeeMode: 1
; LDSByteSize: 416 bytes/workgroup (compile time only)
; SGPRBlocks: 4
; VGPRBlocks: 22
; NumSGPRsForWavesPerEU: 35
; NumVGPRsForWavesPerEU: 184
; Occupancy: 8
; WaveLimiterHint : 1
; COMPUTE_PGM_RSRC2:SCRATCH_EN: 1
; COMPUTE_PGM_RSRC2:USER_SGPR: 13
; COMPUTE_PGM_RSRC2:TRAP_HANDLER: 0
; COMPUTE_PGM_RSRC2:TGID_X_EN: 1
; COMPUTE_PGM_RSRC2:TGID_Y_EN: 1
; COMPUTE_PGM_RSRC2:TGID_Z_EN: 1
; COMPUTE_PGM_RSRC2:TIDIG_COMP_CNT: 0
	.text
	.p2align	2                               ; -- Begin function _ZN4vllm22paged_attention_kernelIttLi256ELi32ELi128ELNS_18Fp8KVCacheDataTypeE0ELb0ELi512EEEvPfS2_PT_PKS3_PKT0_S9_ifPKiSB_iPKfiiiSD_SD_iiiii
	.type	_ZN4vllm22paged_attention_kernelIttLi256ELi32ELi128ELNS_18Fp8KVCacheDataTypeE0ELb0ELi512EEEvPfS2_PT_PKS3_PKT0_S9_ifPKiSB_iPKfiiiSD_SD_iiiii,@function
_ZN4vllm22paged_attention_kernelIttLi256ELi32ELi128ELNS_18Fp8KVCacheDataTypeE0ELb0ELi512EEEvPfS2_PT_PKS3_PKT0_S9_ifPKiSB_iPKfiiiSD_SD_iiiii: ; @_ZN4vllm22paged_attention_kernelIttLi256ELi32ELi128ELNS_18Fp8KVCacheDataTypeE0ELb0ELi512EEEvPfS2_PT_PKS3_PKT0_S9_ifPKiSB_iPKfiiiSD_SD_iiiii
; %bb.0:
	s_waitcnt vmcnt(0) expcnt(0) lgkmcnt(0)
	s_clause 0x1f
	scratch_store_b32 off, v40, s32 offset:284
	; meta instruction
	scratch_store_b32 off, v41, s32 offset:280
	; meta instruction
	;; [unrolled: 2-line block ×31, first 2 shown]
	scratch_store_b32 off, v95, s32 offset:160
	s_clause 0x1f
	scratch_store_b32 off, v104, s32 offset:156
	; meta instruction
	scratch_store_b32 off, v105, s32 offset:152
	; meta instruction
	;; [unrolled: 2-line block ×31, first 2 shown]
	scratch_store_b32 off, v159, s32 offset:32
	s_clause 0x7
	scratch_store_b32 off, v168, s32 offset:28
	; meta instruction
	scratch_store_b32 off, v169, s32 offset:24
	; meta instruction
	;; [unrolled: 2-line block ×7, first 2 shown]
	scratch_store_b32 off, v175, s32
	s_mov_b32 s10, s13
	s_ashr_i32 s11, s13, 31
	s_lshl_b32 s16, s14, 9
	s_lshl_b64 s[0:1], s[10:11], 2
	s_mov_b32 s11, exec_lo
	v_add_co_u32 v16, vcc_lo, v16, s0
	v_add_co_ci_u32_e32 v17, vcc_lo, s1, v17, vcc_lo
	flat_load_b32 v107, v[16:17]
	s_waitcnt vmcnt(0) lgkmcnt(0)
	v_cmpx_lt_i32_e64 s16, v107
	s_cbranch_execz .LBB130_172
; %bb.1:
	v_sub_nc_u32_e32 v16, 0, v12
	s_clause 0x1
	s_load_b32 s0, s[8:9], 0x10
	s_load_b32 s1, s[8:9], 0x0
	s_mov_b32 s6, s15
	v_mov_b32_e32 v120, 0
	v_max_i32_e32 v16, v12, v16
	s_delay_alu instid0(VALU_DEP_1) | instskip(SKIP_1) | instid1(VALU_DEP_2)
	v_cvt_f32_u32_e32 v17, v16
	v_sub_nc_u32_e32 v24, 0, v16
	v_rcp_iflag_f32_e32 v17, v17
	s_waitcnt lgkmcnt(0)
	s_lshr_b32 s0, s0, 16
	s_delay_alu instid0(SALU_CYCLE_1) | instskip(SKIP_3) | instid1(SALU_CYCLE_1)
	s_cmp_lg_u32 s0, 0
	s_waitcnt_depctr 0xfff
	v_mul_f32_e32 v17, 0x4f7ffffe, v17
	s_cselect_b32 s0, -1, 0
	s_cmp_lg_u32 s0, 0
	s_delay_alu instid0(VALU_DEP_1)
	v_cvt_u32_f32_e32 v17, v17
	s_addc_u32 s15, s1, 0
	s_mov_b32 s1, exec_lo
	s_abs_i32 s0, s15
	v_xor_b32_e32 v12, s15, v12
	v_mul_lo_u32 v24, v24, v17
	s_delay_alu instid0(VALU_DEP_2) | instskip(NEXT) | instid1(VALU_DEP_2)
	v_ashrrev_i32_e32 v12, 31, v12
	v_mul_hi_u32 v24, v17, v24
	s_delay_alu instid0(VALU_DEP_1) | instskip(NEXT) | instid1(VALU_DEP_1)
	v_add_nc_u32_e32 v17, v17, v24
	v_mul_hi_u32 v17, s0, v17
	s_delay_alu instid0(VALU_DEP_1) | instskip(SKIP_1) | instid1(VALU_DEP_2)
	v_mul_lo_u32 v24, v17, v16
	v_add_nc_u32_e32 v25, 1, v17
	v_sub_nc_u32_e32 v24, s0, v24
	s_abs_i32 s0, s12
	s_delay_alu instid0(VALU_DEP_1) | instskip(SKIP_1) | instid1(VALU_DEP_2)
	v_sub_nc_u32_e32 v26, v24, v16
	v_cmp_ge_u32_e32 vcc_lo, v24, v16
	v_dual_cndmask_b32 v17, v17, v25 :: v_dual_cndmask_b32 v24, v24, v26
	s_delay_alu instid0(VALU_DEP_1) | instskip(NEXT) | instid1(VALU_DEP_2)
	v_add_nc_u32_e32 v25, 1, v17
	v_cmp_ge_u32_e32 vcc_lo, v24, v16
	s_delay_alu instid0(VALU_DEP_2) | instskip(NEXT) | instid1(VALU_DEP_1)
	v_cndmask_b32_e32 v16, v17, v25, vcc_lo
	v_xor_b32_e32 v16, v16, v12
	s_delay_alu instid0(VALU_DEP_1) | instskip(NEXT) | instid1(VALU_DEP_1)
	v_sub_nc_u32_e32 v25, v16, v12
	v_sub_nc_u32_e32 v12, 0, v25
	s_delay_alu instid0(VALU_DEP_1) | instskip(NEXT) | instid1(VALU_DEP_1)
	v_max_i32_e32 v24, v25, v12
	v_cvt_f32_u32_e32 v12, v24
	v_sub_nc_u32_e32 v16, 0, v24
	s_delay_alu instid0(VALU_DEP_2) | instskip(SKIP_2) | instid1(VALU_DEP_1)
	v_rcp_iflag_f32_e32 v12, v12
	s_waitcnt_depctr 0xfff
	v_mul_f32_e32 v12, 0x4f7ffffe, v12
	v_cvt_u32_f32_e32 v12, v12
	s_delay_alu instid0(VALU_DEP_1) | instskip(NEXT) | instid1(VALU_DEP_1)
	v_mul_lo_u32 v16, v16, v12
	v_mul_hi_u32 v16, v12, v16
	s_delay_alu instid0(VALU_DEP_1) | instskip(NEXT) | instid1(VALU_DEP_1)
	v_add_nc_u32_e32 v12, v12, v16
	v_mad_u64_u32 v[16:17], null, s0, v12, 0
	v_cmpx_ne_u64_e32 0, v[19:20]
	s_cbranch_execz .LBB130_3
; %bb.2:
	s_ashr_i32 s13, s12, 31
	s_delay_alu instid0(SALU_CYCLE_1) | instskip(NEXT) | instid1(SALU_CYCLE_1)
	s_lshl_b64 s[2:3], s[12:13], 2
	v_add_co_u32 v19, vcc_lo, v19, s2
	v_add_co_ci_u32_e32 v20, vcc_lo, s3, v20, vcc_lo
	flat_load_b32 v120, v[19:20]
.LBB130_3:
	s_or_b32 exec_lo, exec_lo, s1
	v_and_b32_e32 v12, 0x3ff, v31
	v_ashrrev_i32_e32 v16, 31, v25
	s_ashr_i32 s1, s12, 31
	s_lshl_b32 s4, s12, 8
	s_mov_b32 s2, exec_lo
	v_cmpx_gt_u32_e32 32, v12
	s_cbranch_execz .LBB130_5
; %bb.4:
	v_mul_lo_u32 v19, s10, v21
	s_ashr_i32 s5, s4, 31
	v_lshlrev_b32_e32 v21, 4, v12
	s_lshl_b64 s[18:19], s[4:5], 1
	s_delay_alu instid0(VALU_DEP_2) | instskip(NEXT) | instid1(VALU_DEP_1)
	v_ashrrev_i32_e32 v20, 31, v19
	v_lshlrev_b64 v[19:20], 1, v[19:20]
	s_delay_alu instid0(VALU_DEP_1) | instskip(NEXT) | instid1(VALU_DEP_2)
	v_add_co_u32 v6, vcc_lo, v6, v19
	v_add_co_ci_u32_e32 v7, vcc_lo, v7, v20, vcc_lo
	s_delay_alu instid0(VALU_DEP_2) | instskip(NEXT) | instid1(VALU_DEP_2)
	v_add_co_u32 v6, vcc_lo, v6, s18
	v_add_co_ci_u32_e32 v7, vcc_lo, s19, v7, vcc_lo
	s_delay_alu instid0(VALU_DEP_2) | instskip(NEXT) | instid1(VALU_DEP_2)
	v_add_co_u32 v6, vcc_lo, v6, v21
	v_add_co_ci_u32_e32 v7, vcc_lo, 0, v7, vcc_lo
	flat_load_b128 v[25:28], v[6:7]
	s_waitcnt vmcnt(0) lgkmcnt(0)
	ds_store_b128 v21, v[25:28]
.LBB130_5:
	s_or_b32 exec_lo, exec_lo, s2
	v_mul_lo_u32 v6, v17, v24
	v_xor_b32_e32 v16, s1, v16
	s_clause 0x1
	s_load_b32 s3, s[8:9], 0x14
	s_load_b32 s5, s[8:9], 0x8
	v_lshrrev_b32_e32 v47, 5, v12
	s_lshl_b32 s2, s14, 4
	s_mov_b32 s8, exec_lo
	s_waitcnt vmcnt(0) lgkmcnt(0)
	s_waitcnt_vscnt null, 0x0
	s_barrier
	v_sub_nc_u32_e32 v6, s0, v6
	s_add_i32 s0, s2, 16
	v_lshlrev_b32_e32 v109, 5, v47
	buffer_gl0_inv
	v_and_b32_e32 v106, 31, v12
	v_sub_nc_u32_e32 v19, v6, v24
	v_cmp_ge_u32_e32 vcc_lo, v6, v24
	v_add_nc_u32_e32 v7, 1, v17
	v_mov_b32_e32 v121, 0xff7fffff
	s_delay_alu instid0(VALU_DEP_4) | instskip(NEXT) | instid1(VALU_DEP_3)
	v_dual_cndmask_b32 v6, v6, v19 :: v_dual_lshlrev_b32 v111, 2, v106
	v_cndmask_b32_e32 v7, v17, v7, vcc_lo
	v_add_nc_u32_e32 v17, 31, v107
	s_delay_alu instid0(VALU_DEP_3) | instskip(NEXT) | instid1(VALU_DEP_3)
	v_cmp_ge_u32_e32 vcc_lo, v6, v24
	v_add_nc_u32_e32 v19, 1, v7
	s_delay_alu instid0(VALU_DEP_3) | instskip(SKIP_1) | instid1(VALU_DEP_3)
	v_ashrrev_i32_e32 v20, 31, v17
	v_mul_lo_u32 v6, s10, v18
	v_cndmask_b32_e32 v7, v7, v19, vcc_lo
	s_delay_alu instid0(VALU_DEP_3) | instskip(SKIP_1) | instid1(VALU_DEP_3)
	v_lshrrev_b32_e32 v19, 27, v20
	v_add_nc_u32_e32 v20, s2, v47
	v_xor_b32_e32 v7, v7, v16
	s_delay_alu instid0(VALU_DEP_3) | instskip(NEXT) | instid1(VALU_DEP_3)
	v_add_nc_u32_e32 v17, v17, v19
	v_ashrrev_i32_e32 v21, 31, v20
	s_delay_alu instid0(VALU_DEP_3) | instskip(NEXT) | instid1(VALU_DEP_3)
	v_sub_nc_u32_e32 v16, v7, v16
	v_ashrrev_i32_e32 v110, 5, v17
	v_ashrrev_i32_e32 v7, 31, v6
	s_delay_alu instid0(VALU_DEP_3) | instskip(NEXT) | instid1(VALU_DEP_3)
	v_mul_lo_u32 v94, v16, v23
	v_min_i32_e32 v108, s0, v110
	s_delay_alu instid0(VALU_DEP_3) | instskip(NEXT) | instid1(VALU_DEP_2)
	v_lshlrev_b64 v[92:93], 2, v[6:7]
	v_cmp_ge_i32_e64 s0, v20, v108
	s_delay_alu instid0(VALU_DEP_4)
	v_ashrrev_i32_e32 v95, 31, v94
	v_cmpx_lt_i32_e64 v20, v108
	s_cbranch_execz .LBB130_9
; %bb.6:
	s_getpc_b64 s[18:19]
	s_add_u32 s18, s18, llvm.amdgcn.dynlds.offset.table@rel32@lo+4
	s_addc_u32 s19, s19, llvm.amdgcn.dynlds.offset.table@rel32@hi+12
	s_ashr_i32 s7, s6, 31
	v_lshlrev_b64 v[6:7], 1, v[94:95]
	s_lshl_b64 s[20:21], s[6:7], 2
	v_dual_mov_b32 v121, 0xff7fffff :: v_dual_lshlrev_b32 v16, 4, v106
	s_add_u32 s18, s20, s18
	s_addc_u32 s19, s21, s19
	s_delay_alu instid0(VALU_DEP_2) | instskip(SKIP_3) | instid1(VALU_DEP_3)
	v_add_co_u32 v8, vcc_lo, v8, v6
	s_load_b32 s7, s[18:19], 0x0
	v_add_co_ci_u32_e32 v9, vcc_lo, v9, v7, vcc_lo
	v_lshlrev_b64 v[6:7], 2, v[20:21]
	v_add_co_u32 v123, vcc_lo, v8, v16
	v_lshl_or_b32 v8, v47, 7, v111
	s_delay_alu instid0(VALU_DEP_4) | instskip(NEXT) | instid1(VALU_DEP_4)
	v_add_co_ci_u32_e32 v124, vcc_lo, 0, v9, vcc_lo
	v_add_co_u32 v6, s1, v92, v6
	s_delay_alu instid0(VALU_DEP_1) | instskip(SKIP_1) | instid1(VALU_DEP_3)
	v_add_co_ci_u32_e64 v7, s1, v93, v7, s1
	v_mov_b32_e32 v122, 0
	v_add_co_u32 v104, s1, v14, v6
	v_cmp_neq_f32_e32 vcc_lo, 0, v120
	s_delay_alu instid0(VALU_DEP_4)
	v_add_co_ci_u32_e64 v105, s1, v15, v7, s1
	v_sub_nc_u32_e32 v125, 1, v107
	s_waitcnt lgkmcnt(0)
	v_add_nc_u32_e32 v127, s7, v8
	v_add3_u32 v126, s16, v109, v106
	v_mov_b32_e32 v136, v20
	s_mov_b32 s7, 0
.LBB130_7:                              ; =>This Inner Loop Header: Depth=1
	flat_load_b32 v8, v[104:105]
	v_add_nc_u32_e32 v136, 4, v136
	s_waitcnt vmcnt(0) lgkmcnt(0)
	v_mad_i64_i32 v[6:7], null, v8, v22, 0
	v_add_nc_u32_e32 v8, v125, v126
	s_delay_alu instid0(VALU_DEP_1) | instskip(NEXT) | instid1(VALU_DEP_3)
	v_cvt_f32_i32_e32 v8, v8
	v_lshlrev_b64 v[6:7], 1, v[6:7]
	s_delay_alu instid0(VALU_DEP_2) | instskip(NEXT) | instid1(VALU_DEP_2)
	v_mul_f32_e32 v8, v120, v8
	v_add_co_u32 v6, s1, v123, v6
	s_delay_alu instid0(VALU_DEP_1)
	v_add_co_ci_u32_e64 v7, s1, v124, v7, s1
	s_clause 0x7
	flat_load_b128 v[138:141], v[6:7]
	flat_load_b128 v[88:91], v[6:7] offset:512
	flat_load_b128 v[76:79], v[6:7] offset:1024
	;; [unrolled: 1-line block ×7, first 2 shown]
	v_cndmask_b32_e32 v137, 0, v8, vcc_lo
	v_add_co_u32 v8, s1, 0x1000, v6
	s_delay_alu instid0(VALU_DEP_1)
	v_add_co_ci_u32_e64 v9, s1, 0, v7, s1
	s_clause 0x7
	flat_load_b128 v[180:183], v[8:9]
	flat_load_b128 v[176:179], v[8:9] offset:512
	flat_load_b128 v[164:167], v[8:9] offset:1024
	;; [unrolled: 1-line block ×7, first 2 shown]
	v_add_co_u32 v8, s1, 0x2000, v6
	s_delay_alu instid0(VALU_DEP_1) | instskip(SKIP_1) | instid1(VALU_DEP_1)
	v_add_co_ci_u32_e64 v9, s1, 0, v7, s1
	v_add_co_u32 v6, s1, 0x3000, v6
	v_add_co_ci_u32_e64 v7, s1, 0, v7, s1
	s_clause 0xf
	flat_load_b128 v[116:119], v[8:9]
	flat_load_b128 v[112:115], v[8:9] offset:512
	flat_load_b128 v[100:103], v[8:9] offset:1024
	;; [unrolled: 1-line block ×7, first 2 shown]
	flat_load_b128 v[52:55], v[6:7]
	flat_load_b128 v[48:51], v[6:7] offset:512
	flat_load_b128 v[35:38], v[6:7] offset:1024
	;; [unrolled: 1-line block ×7, first 2 shown]
	ds_load_b128 v[152:155], v122
	v_cmp_lt_i32_e64 s1, v126, v107
	v_add_nc_u32_e32 v126, 0x80, v126
	s_waitcnt lgkmcnt(0)
	v_lshrrev_b32_e32 v142, 16, v152
	v_and_b32_e32 v143, 0xffff, v152
	;;#ASMSTART
	v_cvt_f32_f16 v143, v143;
	;;#ASMEND
	;;#ASMSTART
	v_cvt_f32_f16 v142, v142;
	;;#ASMEND
	s_waitcnt vmcnt(31)
	v_lshrrev_b32_e32 v152, 16, v138
	v_and_b32_e32 v138, 0xffff, v138
	;;#ASMSTART
	v_cvt_f32_f16 v156, v138;
	;;#ASMEND
	v_lshrrev_b32_e32 v138, 16, v153
	v_and_b32_e32 v153, 0xffff, v153
	;;#ASMSTART
	v_cvt_f32_f16 v152, v152;
	;;#ASMEND
	;;#ASMSTART
	v_cvt_f32_f16 v153, v153;
	;;#ASMEND
	;; [unrolled: 3-line block ×3, first 2 shown]
	v_lshrrev_b32_e32 v138, 16, v139
	v_and_b32_e32 v139, 0xffff, v139
	;;#ASMSTART
	v_cvt_f32_f16 v158, v139;
	;;#ASMEND
	;;#ASMSTART
	v_cvt_f32_f16 v159, v138;
	;;#ASMEND
	v_lshrrev_b32_e32 v138, 16, v154
	v_and_b32_e32 v139, 0xffff, v154
	;;#ASMSTART
	v_cvt_f32_f16 v154, v139;
	;;#ASMEND
	;;#ASMSTART
	v_cvt_f32_f16 v168, v138;
	;;#ASMEND
	;; [unrolled: 8-line block ×5, first 2 shown]
	ds_load_b128 v[138:141], v122 offset:16
	s_waitcnt vmcnt(30)
	v_lshrrev_b32_e32 v175, 16, v88
	v_and_b32_e32 v88, 0xffff, v88
	s_waitcnt lgkmcnt(0)
	v_lshrrev_b32_e32 v174, 16, v138
	v_and_b32_e32 v138, 0xffff, v138
	;;#ASMSTART
	v_cvt_f32_f16 v138, v138;
	;;#ASMEND
	;;#ASMSTART
	v_cvt_f32_f16 v174, v174;
	;;#ASMEND
	;; [unrolled: 3-line block ×4, first 2 shown]
	v_mul_f32_e32 v88, v138, v88
	v_mul_f32_e32 v138, v174, v175
	s_delay_alu instid0(VALU_DEP_2) | instskip(NEXT) | instid1(VALU_DEP_2)
	v_fmac_f32_e32 v88, v143, v156
	v_fmac_f32_e32 v138, v142, v152
	v_lshrrev_b32_e32 v142, 16, v139
	v_and_b32_e32 v139, 0xffff, v139
	v_lshrrev_b32_e32 v143, 16, v89
	v_and_b32_e32 v89, 0xffff, v89
	;;#ASMSTART
	v_cvt_f32_f16 v139, v139;
	;;#ASMEND
	;;#ASMSTART
	v_cvt_f32_f16 v142, v142;
	;;#ASMEND
	;;#ASMSTART
	v_cvt_f32_f16 v89, v89;
	;;#ASMEND
	;;#ASMSTART
	v_cvt_f32_f16 v143, v143;
	;;#ASMEND
	v_mul_f32_e32 v89, v139, v89
	v_mul_f32_e32 v139, v142, v143
	v_lshrrev_b32_e32 v142, 16, v140
	v_and_b32_e32 v140, 0xffff, v140
	v_lshrrev_b32_e32 v143, 16, v90
	s_delay_alu instid0(VALU_DEP_4)
	v_dual_fmac_f32 v139, v157, v159 :: v_dual_and_b32 v90, 0xffff, v90
	;;#ASMSTART
	v_cvt_f32_f16 v140, v140;
	;;#ASMEND
	;;#ASMSTART
	v_cvt_f32_f16 v142, v142;
	;;#ASMEND
	;;#ASMSTART
	v_cvt_f32_f16 v90, v90;
	;;#ASMEND
	;;#ASMSTART
	v_cvt_f32_f16 v143, v143;
	;;#ASMEND
	v_mul_f32_e32 v140, v140, v90
	v_mul_f32_e32 v90, v142, v143
	v_lshrrev_b32_e32 v142, 16, v141
	v_and_b32_e32 v141, 0xffff, v141
	v_lshrrev_b32_e32 v143, 16, v91
	v_and_b32_e32 v91, 0xffff, v91
	;;#ASMSTART
	v_cvt_f32_f16 v141, v141;
	;;#ASMEND
	;;#ASMSTART
	v_cvt_f32_f16 v142, v142;
	;;#ASMEND
	;; [unrolled: 3-line block ×3, first 2 shown]
	s_delay_alu instid0(VALU_DEP_1) | instskip(SKIP_3) | instid1(VALU_DEP_3)
	v_mul_f32_e32 v91, v141, v91
	v_dual_fmac_f32 v89, v153, v158 :: v_dual_fmac_f32 v140, v154, v169
	;;#ASMSTART
	v_cvt_f32_f16 v143, v143;
	;;#ASMEND
	v_mul_f32_e32 v141, v142, v143
	v_fmac_f32_e32 v91, v155, v172
	ds_load_b128 v[152:155], v122 offset:32
	v_fmac_f32_e32 v90, v168, v170
	s_waitcnt lgkmcnt(0)
	v_lshrrev_b32_e32 v142, 16, v152
	v_and_b32_e32 v143, 0xffff, v152
	s_waitcnt vmcnt(29)
	v_lshrrev_b32_e32 v152, 16, v76
	v_and_b32_e32 v76, 0xffff, v76
	;;#ASMSTART
	v_cvt_f32_f16 v143, v143;
	;;#ASMEND
	;;#ASMSTART
	v_cvt_f32_f16 v142, v142;
	;;#ASMEND
	;;#ASMSTART
	v_cvt_f32_f16 v76, v76;
	;;#ASMEND
	;;#ASMSTART
	v_cvt_f32_f16 v152, v152;
	;;#ASMEND
	v_fmac_f32_e32 v88, v143, v76
	v_fmac_f32_e32 v138, v142, v152
	v_lshrrev_b32_e32 v76, 16, v153
	v_and_b32_e32 v142, 0xffff, v153
	v_lshrrev_b32_e32 v143, 16, v77
	v_and_b32_e32 v77, 0xffff, v77
	v_fmac_f32_e32 v141, v171, v173
	;;#ASMSTART
	v_cvt_f32_f16 v142, v142;
	;;#ASMEND
	;;#ASMSTART
	v_cvt_f32_f16 v76, v76;
	;;#ASMEND
	;; [unrolled: 3-line block ×4, first 2 shown]
	v_fmac_f32_e32 v89, v142, v77
	v_fmac_f32_e32 v139, v76, v143
	v_lshrrev_b32_e32 v76, 16, v154
	v_and_b32_e32 v77, 0xffff, v154
	v_lshrrev_b32_e32 v142, 16, v78
	v_and_b32_e32 v78, 0xffff, v78
	;;#ASMSTART
	v_cvt_f32_f16 v77, v77;
	;;#ASMEND
	;;#ASMSTART
	v_cvt_f32_f16 v76, v76;
	;;#ASMEND
	;; [unrolled: 3-line block ×4, first 2 shown]
	v_fmac_f32_e32 v140, v77, v78
	v_fmac_f32_e32 v90, v76, v142
	v_lshrrev_b32_e32 v76, 16, v155
	v_and_b32_e32 v77, 0xffff, v155
	v_lshrrev_b32_e32 v78, 16, v79
	v_and_b32_e32 v79, 0xffff, v79
	;;#ASMSTART
	v_cvt_f32_f16 v77, v77;
	;;#ASMEND
	;;#ASMSTART
	v_cvt_f32_f16 v76, v76;
	;;#ASMEND
	;; [unrolled: 3-line block ×4, first 2 shown]
	v_fmac_f32_e32 v91, v77, v79
	v_fmac_f32_e32 v141, v76, v78
	ds_load_b128 v[76:79], v122 offset:48
	s_waitcnt vmcnt(28)
	v_lshrrev_b32_e32 v143, 16, v72
	v_and_b32_e32 v72, 0xffff, v72
	s_waitcnt lgkmcnt(0)
	v_lshrrev_b32_e32 v142, 16, v76
	v_and_b32_e32 v76, 0xffff, v76
	;;#ASMSTART
	v_cvt_f32_f16 v76, v76;
	;;#ASMEND
	;;#ASMSTART
	v_cvt_f32_f16 v142, v142;
	;;#ASMEND
	;; [unrolled: 3-line block ×3, first 2 shown]
	s_delay_alu instid0(VALU_DEP_1)
	v_fmac_f32_e32 v88, v76, v72
	v_lshrrev_b32_e32 v72, 16, v77
	v_and_b32_e32 v76, 0xffff, v77
	v_lshrrev_b32_e32 v77, 16, v73
	v_and_b32_e32 v73, 0xffff, v73
	;;#ASMSTART
	v_cvt_f32_f16 v143, v143;
	;;#ASMEND
	;;#ASMSTART
	v_cvt_f32_f16 v76, v76;
	;;#ASMEND
	;; [unrolled: 3-line block ×4, first 2 shown]
	v_fmac_f32_e32 v138, v142, v143
	;;#ASMSTART
	v_cvt_f32_f16 v77, v77;
	;;#ASMEND
	v_fmac_f32_e32 v89, v76, v73
	v_fmac_f32_e32 v139, v72, v77
	v_lshrrev_b32_e32 v72, 16, v78
	v_and_b32_e32 v73, 0xffff, v78
	v_lshrrev_b32_e32 v76, 16, v74
	v_and_b32_e32 v74, 0xffff, v74
	;;#ASMSTART
	v_cvt_f32_f16 v73, v73;
	;;#ASMEND
	;;#ASMSTART
	v_cvt_f32_f16 v72, v72;
	;;#ASMEND
	;; [unrolled: 3-line block ×4, first 2 shown]
	v_fmac_f32_e32 v140, v73, v74
	v_fmac_f32_e32 v90, v72, v76
	v_lshrrev_b32_e32 v72, 16, v79
	v_and_b32_e32 v73, 0xffff, v79
	v_lshrrev_b32_e32 v74, 16, v75
	v_and_b32_e32 v75, 0xffff, v75
	;;#ASMSTART
	v_cvt_f32_f16 v73, v73;
	;;#ASMEND
	;;#ASMSTART
	v_cvt_f32_f16 v72, v72;
	;;#ASMEND
	;; [unrolled: 3-line block ×4, first 2 shown]
	v_fmac_f32_e32 v91, v73, v75
	v_fmac_f32_e32 v141, v72, v74
	ds_load_b128 v[72:75], v122 offset:64
	s_waitcnt vmcnt(27)
	v_lshrrev_b32_e32 v77, 16, v60
	v_and_b32_e32 v60, 0xffff, v60
	s_waitcnt lgkmcnt(0)
	v_lshrrev_b32_e32 v76, 16, v72
	v_and_b32_e32 v72, 0xffff, v72
	;;#ASMSTART
	v_cvt_f32_f16 v72, v72;
	;;#ASMEND
	;;#ASMSTART
	v_cvt_f32_f16 v76, v76;
	;;#ASMEND
	;; [unrolled: 3-line block ×3, first 2 shown]
	s_delay_alu instid0(VALU_DEP_1)
	v_fmac_f32_e32 v88, v72, v60
	v_and_b32_e32 v72, 0xffff, v73
	v_lshrrev_b32_e32 v60, 16, v73
	v_lshrrev_b32_e32 v73, 16, v61
	v_and_b32_e32 v61, 0xffff, v61
	;;#ASMSTART
	v_cvt_f32_f16 v77, v77;
	;;#ASMEND
	;;#ASMSTART
	v_cvt_f32_f16 v72, v72;
	;;#ASMEND
	;; [unrolled: 3-line block ×4, first 2 shown]
	v_fmac_f32_e32 v138, v76, v77
	;;#ASMSTART
	v_cvt_f32_f16 v73, v73;
	;;#ASMEND
	v_fmac_f32_e32 v89, v72, v61
	v_fmac_f32_e32 v139, v60, v73
	v_lshrrev_b32_e32 v60, 16, v74
	v_and_b32_e32 v61, 0xffff, v74
	v_lshrrev_b32_e32 v72, 16, v62
	v_and_b32_e32 v62, 0xffff, v62
	;;#ASMSTART
	v_cvt_f32_f16 v61, v61;
	;;#ASMEND
	;;#ASMSTART
	v_cvt_f32_f16 v60, v60;
	;;#ASMEND
	;; [unrolled: 3-line block ×4, first 2 shown]
	v_fmac_f32_e32 v140, v61, v62
	v_fmac_f32_e32 v90, v60, v72
	v_lshrrev_b32_e32 v60, 16, v75
	v_and_b32_e32 v61, 0xffff, v75
	v_lshrrev_b32_e32 v62, 16, v63
	v_and_b32_e32 v63, 0xffff, v63
	;;#ASMSTART
	v_cvt_f32_f16 v61, v61;
	;;#ASMEND
	;;#ASMSTART
	v_cvt_f32_f16 v60, v60;
	;;#ASMEND
	;; [unrolled: 3-line block ×4, first 2 shown]
	v_fmac_f32_e32 v91, v61, v63
	v_fmac_f32_e32 v141, v60, v62
	ds_load_b128 v[60:63], v122 offset:80
	s_waitcnt vmcnt(26)
	v_lshrrev_b32_e32 v73, 16, v56
	v_and_b32_e32 v56, 0xffff, v56
	s_waitcnt lgkmcnt(0)
	v_lshrrev_b32_e32 v72, 16, v60
	v_and_b32_e32 v60, 0xffff, v60
	;;#ASMSTART
	v_cvt_f32_f16 v60, v60;
	;;#ASMEND
	;;#ASMSTART
	v_cvt_f32_f16 v72, v72;
	;;#ASMEND
	;; [unrolled: 3-line block ×3, first 2 shown]
	s_delay_alu instid0(VALU_DEP_1)
	v_fmac_f32_e32 v88, v60, v56
	v_and_b32_e32 v60, 0xffff, v61
	v_lshrrev_b32_e32 v56, 16, v61
	v_lshrrev_b32_e32 v61, 16, v57
	v_and_b32_e32 v57, 0xffff, v57
	;;#ASMSTART
	v_cvt_f32_f16 v73, v73;
	;;#ASMEND
	;;#ASMSTART
	v_cvt_f32_f16 v60, v60;
	;;#ASMEND
	;; [unrolled: 3-line block ×4, first 2 shown]
	v_fmac_f32_e32 v138, v72, v73
	;;#ASMSTART
	v_cvt_f32_f16 v61, v61;
	;;#ASMEND
	v_fmac_f32_e32 v89, v60, v57
	v_fmac_f32_e32 v139, v56, v61
	v_lshrrev_b32_e32 v56, 16, v62
	v_and_b32_e32 v57, 0xffff, v62
	v_lshrrev_b32_e32 v60, 16, v58
	v_and_b32_e32 v58, 0xffff, v58
	;;#ASMSTART
	v_cvt_f32_f16 v57, v57;
	;;#ASMEND
	;;#ASMSTART
	v_cvt_f32_f16 v56, v56;
	;;#ASMEND
	;; [unrolled: 3-line block ×4, first 2 shown]
	v_fmac_f32_e32 v140, v57, v58
	v_fmac_f32_e32 v90, v56, v60
	v_lshrrev_b32_e32 v56, 16, v63
	v_and_b32_e32 v57, 0xffff, v63
	v_lshrrev_b32_e32 v58, 16, v59
	v_and_b32_e32 v59, 0xffff, v59
	;;#ASMSTART
	v_cvt_f32_f16 v57, v57;
	;;#ASMEND
	;;#ASMSTART
	v_cvt_f32_f16 v56, v56;
	;;#ASMEND
	;;#ASMSTART
	v_cvt_f32_f16 v59, v59;
	;;#ASMEND
	;;#ASMSTART
	v_cvt_f32_f16 v58, v58;
	;;#ASMEND
	v_fmac_f32_e32 v91, v57, v59
	v_fmac_f32_e32 v141, v56, v58
	ds_load_b128 v[56:59], v122 offset:96
	s_waitcnt vmcnt(25)
	v_lshrrev_b32_e32 v61, 16, v43
	v_and_b32_e32 v43, 0xffff, v43
	s_waitcnt lgkmcnt(0)
	v_lshrrev_b32_e32 v60, 16, v56
	v_and_b32_e32 v56, 0xffff, v56
	;;#ASMSTART
	v_cvt_f32_f16 v56, v56;
	;;#ASMEND
	;;#ASMSTART
	v_cvt_f32_f16 v60, v60;
	;;#ASMEND
	;; [unrolled: 3-line block ×3, first 2 shown]
	s_delay_alu instid0(VALU_DEP_1)
	v_fmac_f32_e32 v88, v56, v43
	v_lshrrev_b32_e32 v43, 16, v57
	v_and_b32_e32 v56, 0xffff, v57
	v_lshrrev_b32_e32 v57, 16, v44
	v_and_b32_e32 v44, 0xffff, v44
	;;#ASMSTART
	v_cvt_f32_f16 v61, v61;
	;;#ASMEND
	;;#ASMSTART
	v_cvt_f32_f16 v56, v56;
	;;#ASMEND
	;; [unrolled: 3-line block ×5, first 2 shown]
	v_dual_fmac_f32 v89, v56, v44 :: v_dual_and_b32 v44, 0xffff, v58
	v_fmac_f32_e32 v139, v43, v57
	v_lshrrev_b32_e32 v43, 16, v58
	;;#ASMSTART
	v_cvt_f32_f16 v44, v44;
	;;#ASMEND
	;;#ASMSTART
	v_cvt_f32_f16 v43, v43;
	;;#ASMEND
	v_lshrrev_b32_e32 v56, 16, v45
	v_and_b32_e32 v45, 0xffff, v45
	;;#ASMSTART
	v_cvt_f32_f16 v45, v45;
	;;#ASMEND
	;;#ASMSTART
	v_cvt_f32_f16 v56, v56;
	;;#ASMEND
	s_delay_alu instid0(VALU_DEP_1)
	v_fmac_f32_e32 v140, v44, v45
	v_fmac_f32_e32 v90, v43, v56
	v_lshrrev_b32_e32 v43, 16, v59
	v_and_b32_e32 v44, 0xffff, v59
	;;#ASMSTART
	v_cvt_f32_f16 v44, v44;
	;;#ASMEND
	;;#ASMSTART
	v_cvt_f32_f16 v43, v43;
	;;#ASMEND
	v_lshrrev_b32_e32 v45, 16, v46
	v_and_b32_e32 v46, 0xffff, v46
	;;#ASMSTART
	v_cvt_f32_f16 v46, v46;
	;;#ASMEND
	;;#ASMSTART
	v_cvt_f32_f16 v45, v45;
	;;#ASMEND
	s_delay_alu instid0(VALU_DEP_2) | instskip(NEXT) | instid1(VALU_DEP_2)
	v_fmac_f32_e32 v141, v43, v45
	v_fmac_f32_e32 v91, v44, v46
	ds_load_b128 v[43:46], v122 offset:112
	s_waitcnt vmcnt(24)
	v_lshrrev_b32_e32 v57, 16, v39
	v_dual_fmac_f32 v138, v60, v61 :: v_dual_and_b32 v39, 0xffff, v39
	s_waitcnt lgkmcnt(0)
	v_lshrrev_b32_e32 v56, 16, v43
	v_and_b32_e32 v43, 0xffff, v43
	;;#ASMSTART
	v_cvt_f32_f16 v43, v43;
	;;#ASMEND
	;;#ASMSTART
	v_cvt_f32_f16 v56, v56;
	;;#ASMEND
	;; [unrolled: 3-line block ×3, first 2 shown]
	s_delay_alu instid0(VALU_DEP_1)
	v_fmac_f32_e32 v88, v43, v39
	v_lshrrev_b32_e32 v39, 16, v44
	v_and_b32_e32 v43, 0xffff, v44
	v_lshrrev_b32_e32 v44, 16, v40
	v_and_b32_e32 v40, 0xffff, v40
	;;#ASMSTART
	v_cvt_f32_f16 v57, v57;
	;;#ASMEND
	;;#ASMSTART
	v_cvt_f32_f16 v43, v43;
	;;#ASMEND
	;; [unrolled: 3-line block ×5, first 2 shown]
	v_dual_fmac_f32 v89, v43, v40 :: v_dual_and_b32 v40, 0xffff, v45
	v_fmac_f32_e32 v139, v39, v44
	v_lshrrev_b32_e32 v39, 16, v45
	;;#ASMSTART
	v_cvt_f32_f16 v40, v40;
	;;#ASMEND
	;;#ASMSTART
	v_cvt_f32_f16 v39, v39;
	;;#ASMEND
	v_lshrrev_b32_e32 v43, 16, v41
	v_and_b32_e32 v41, 0xffff, v41
	;;#ASMSTART
	v_cvt_f32_f16 v41, v41;
	;;#ASMEND
	;;#ASMSTART
	v_cvt_f32_f16 v43, v43;
	;;#ASMEND
	s_delay_alu instid0(VALU_DEP_2) | instskip(NEXT) | instid1(VALU_DEP_2)
	v_fmac_f32_e32 v90, v39, v43
	v_fmac_f32_e32 v140, v40, v41
	v_lshrrev_b32_e32 v39, 16, v46
	v_and_b32_e32 v40, 0xffff, v46
	;;#ASMSTART
	v_cvt_f32_f16 v40, v40;
	;;#ASMEND
	;;#ASMSTART
	v_cvt_f32_f16 v39, v39;
	;;#ASMEND
	v_lshrrev_b32_e32 v41, 16, v42
	v_and_b32_e32 v42, 0xffff, v42
	;;#ASMSTART
	v_cvt_f32_f16 v42, v42;
	;;#ASMEND
	;;#ASMSTART
	v_cvt_f32_f16 v41, v41;
	;;#ASMEND
	s_delay_alu instid0(VALU_DEP_2) | instskip(NEXT) | instid1(VALU_DEP_2)
	v_fmac_f32_e32 v141, v39, v41
	v_fmac_f32_e32 v91, v40, v42
	ds_load_b128 v[39:42], v122 offset:128
	s_waitcnt vmcnt(23)
	v_lshrrev_b32_e32 v44, 16, v180
	v_and_b32_e32 v180, 0xffff, v180
	v_fmac_f32_e32 v138, v56, v57
	s_waitcnt lgkmcnt(0)
	v_lshrrev_b32_e32 v43, 16, v39
	v_and_b32_e32 v39, 0xffff, v39
	;;#ASMSTART
	v_cvt_f32_f16 v39, v39;
	;;#ASMEND
	;;#ASMSTART
	v_cvt_f32_f16 v43, v43;
	;;#ASMEND
	;; [unrolled: 3-line block ×3, first 2 shown]
	s_delay_alu instid0(VALU_DEP_1)
	v_fmac_f32_e32 v88, v39, v180
	v_and_b32_e32 v180, 0xffff, v40
	;;#ASMSTART
	v_cvt_f32_f16 v44, v44;
	;;#ASMEND
	v_lshrrev_b32_e32 v39, 16, v40
	;;#ASMSTART
	v_cvt_f32_f16 v180, v180;
	;;#ASMEND
	v_lshrrev_b32_e32 v40, 16, v181
	v_and_b32_e32 v181, 0xffff, v181
	;;#ASMSTART
	v_cvt_f32_f16 v39, v39;
	;;#ASMEND
	;;#ASMSTART
	v_cvt_f32_f16 v181, v181;
	;;#ASMEND
	;; [unrolled: 3-line block ×3, first 2 shown]
	s_delay_alu instid0(VALU_DEP_1)
	v_fmac_f32_e32 v89, v180, v181
	v_dual_fmac_f32 v139, v39, v40 :: v_dual_and_b32 v180, 0xffff, v41
	v_lshrrev_b32_e32 v39, 16, v41
	;;#ASMSTART
	v_cvt_f32_f16 v180, v180;
	;;#ASMEND
	v_lshrrev_b32_e32 v181, 16, v182
	v_and_b32_e32 v182, 0xffff, v182
	;;#ASMSTART
	v_cvt_f32_f16 v39, v39;
	;;#ASMEND
	;;#ASMSTART
	v_cvt_f32_f16 v182, v182;
	;;#ASMEND
	;; [unrolled: 3-line block ×3, first 2 shown]
	s_delay_alu instid0(VALU_DEP_1)
	v_fmac_f32_e32 v140, v180, v182
	v_and_b32_e32 v180, 0xffff, v42
	;;#ASMSTART
	v_cvt_f32_f16 v180, v180;
	;;#ASMEND
	v_fmac_f32_e32 v90, v39, v181
	v_lshrrev_b32_e32 v39, 16, v42
	v_lshrrev_b32_e32 v181, 16, v183
	v_and_b32_e32 v182, 0xffff, v183
	;;#ASMSTART
	v_cvt_f32_f16 v39, v39;
	;;#ASMEND
	;;#ASMSTART
	v_cvt_f32_f16 v182, v182;
	;;#ASMEND
	;; [unrolled: 3-line block ×3, first 2 shown]
	s_delay_alu instid0(VALU_DEP_1)
	v_fmac_f32_e32 v91, v180, v182
	v_fmac_f32_e32 v141, v39, v181
	ds_load_b128 v[180:183], v122 offset:144
	v_fmac_f32_e32 v138, v43, v44
	s_waitcnt vmcnt(22)
	v_lshrrev_b32_e32 v40, 16, v176
	v_and_b32_e32 v176, 0xffff, v176
	s_waitcnt lgkmcnt(0)
	v_lshrrev_b32_e32 v39, 16, v180
	v_and_b32_e32 v180, 0xffff, v180
	;;#ASMSTART
	v_cvt_f32_f16 v180, v180;
	;;#ASMEND
	;;#ASMSTART
	v_cvt_f32_f16 v39, v39;
	;;#ASMEND
	;;#ASMSTART
	v_cvt_f32_f16 v176, v176;
	;;#ASMEND
	;;#ASMSTART
	v_cvt_f32_f16 v40, v40;
	;;#ASMEND
	v_fmac_f32_e32 v88, v180, v176
	v_fmac_f32_e32 v138, v39, v40
	v_lshrrev_b32_e32 v39, 16, v181
	v_and_b32_e32 v176, 0xffff, v181
	v_lshrrev_b32_e32 v180, 16, v177
	v_and_b32_e32 v177, 0xffff, v177
	;;#ASMSTART
	v_cvt_f32_f16 v176, v176;
	;;#ASMEND
	;;#ASMSTART
	v_cvt_f32_f16 v39, v39;
	;;#ASMEND
	;;#ASMSTART
	v_cvt_f32_f16 v177, v177;
	;;#ASMEND
	;;#ASMSTART
	v_cvt_f32_f16 v180, v180;
	;;#ASMEND
	v_fmac_f32_e32 v89, v176, v177
	v_fmac_f32_e32 v139, v39, v180
	v_lshrrev_b32_e32 v39, 16, v182
	v_and_b32_e32 v176, 0xffff, v182
	;; [unrolled: 18-line block ×3, first 2 shown]
	v_lshrrev_b32_e32 v177, 16, v179
	v_and_b32_e32 v178, 0xffff, v179
	;;#ASMSTART
	v_cvt_f32_f16 v176, v176;
	;;#ASMEND
	;;#ASMSTART
	v_cvt_f32_f16 v39, v39;
	;;#ASMEND
	;;#ASMSTART
	v_cvt_f32_f16 v178, v178;
	;;#ASMEND
	;;#ASMSTART
	v_cvt_f32_f16 v177, v177;
	;;#ASMEND
	v_fmac_f32_e32 v91, v176, v178
	v_fmac_f32_e32 v141, v39, v177
	ds_load_b128 v[176:179], v122 offset:160
	s_waitcnt vmcnt(21)
	v_lshrrev_b32_e32 v180, 16, v164
	v_and_b32_e32 v164, 0xffff, v164
	s_waitcnt lgkmcnt(0)
	v_lshrrev_b32_e32 v39, 16, v176
	v_and_b32_e32 v176, 0xffff, v176
	;;#ASMSTART
	v_cvt_f32_f16 v176, v176;
	;;#ASMEND
	;;#ASMSTART
	v_cvt_f32_f16 v39, v39;
	;;#ASMEND
	;;#ASMSTART
	v_cvt_f32_f16 v164, v164;
	;;#ASMEND
	;;#ASMSTART
	v_cvt_f32_f16 v180, v180;
	;;#ASMEND
	v_fmac_f32_e32 v88, v176, v164
	v_fmac_f32_e32 v138, v39, v180
	v_lshrrev_b32_e32 v39, 16, v177
	v_and_b32_e32 v164, 0xffff, v177
	v_lshrrev_b32_e32 v176, 16, v165
	v_and_b32_e32 v165, 0xffff, v165
	;;#ASMSTART
	v_cvt_f32_f16 v164, v164;
	;;#ASMEND
	;;#ASMSTART
	v_cvt_f32_f16 v39, v39;
	;;#ASMEND
	;;#ASMSTART
	v_cvt_f32_f16 v165, v165;
	;;#ASMEND
	;;#ASMSTART
	v_cvt_f32_f16 v176, v176;
	;;#ASMEND
	v_fmac_f32_e32 v89, v164, v165
	v_fmac_f32_e32 v139, v39, v176
	v_lshrrev_b32_e32 v39, 16, v178
	v_and_b32_e32 v164, 0xffff, v178
	;; [unrolled: 18-line block ×3, first 2 shown]
	v_lshrrev_b32_e32 v165, 16, v167
	v_and_b32_e32 v166, 0xffff, v167
	;;#ASMSTART
	v_cvt_f32_f16 v164, v164;
	;;#ASMEND
	;;#ASMSTART
	v_cvt_f32_f16 v39, v39;
	;;#ASMEND
	;; [unrolled: 3-line block ×4, first 2 shown]
	v_fmac_f32_e32 v91, v164, v166
	v_fmac_f32_e32 v141, v39, v165
	ds_load_b128 v[164:167], v122 offset:176
	s_waitcnt vmcnt(20)
	v_lshrrev_b32_e32 v176, 16, v160
	v_and_b32_e32 v160, 0xffff, v160
	s_waitcnt lgkmcnt(0)
	v_lshrrev_b32_e32 v39, 16, v164
	v_and_b32_e32 v164, 0xffff, v164
	;;#ASMSTART
	v_cvt_f32_f16 v164, v164;
	;;#ASMEND
	;;#ASMSTART
	v_cvt_f32_f16 v39, v39;
	;;#ASMEND
	;;#ASMSTART
	v_cvt_f32_f16 v160, v160;
	;;#ASMEND
	;;#ASMSTART
	v_cvt_f32_f16 v176, v176;
	;;#ASMEND
	v_fmac_f32_e32 v88, v164, v160
	v_fmac_f32_e32 v138, v39, v176
	v_lshrrev_b32_e32 v39, 16, v165
	v_and_b32_e32 v160, 0xffff, v165
	v_lshrrev_b32_e32 v164, 16, v161
	v_and_b32_e32 v161, 0xffff, v161
	;;#ASMSTART
	v_cvt_f32_f16 v160, v160;
	;;#ASMEND
	;;#ASMSTART
	v_cvt_f32_f16 v39, v39;
	;;#ASMEND
	;;#ASMSTART
	v_cvt_f32_f16 v161, v161;
	;;#ASMEND
	;;#ASMSTART
	v_cvt_f32_f16 v164, v164;
	;;#ASMEND
	v_fmac_f32_e32 v89, v160, v161
	v_fmac_f32_e32 v139, v39, v164
	v_lshrrev_b32_e32 v39, 16, v166
	v_and_b32_e32 v160, 0xffff, v166
	;; [unrolled: 18-line block ×3, first 2 shown]
	v_lshrrev_b32_e32 v161, 16, v163
	v_and_b32_e32 v162, 0xffff, v163
	;;#ASMSTART
	v_cvt_f32_f16 v160, v160;
	;;#ASMEND
	;;#ASMSTART
	v_cvt_f32_f16 v39, v39;
	;;#ASMEND
	;; [unrolled: 3-line block ×4, first 2 shown]
	v_fmac_f32_e32 v91, v160, v162
	v_fmac_f32_e32 v141, v39, v161
	ds_load_b128 v[160:163], v122 offset:192
	s_waitcnt vmcnt(19)
	v_lshrrev_b32_e32 v164, 16, v148
	v_and_b32_e32 v148, 0xffff, v148
	s_waitcnt lgkmcnt(0)
	v_lshrrev_b32_e32 v39, 16, v160
	v_and_b32_e32 v160, 0xffff, v160
	;;#ASMSTART
	v_cvt_f32_f16 v160, v160;
	;;#ASMEND
	;;#ASMSTART
	v_cvt_f32_f16 v39, v39;
	;;#ASMEND
	;;#ASMSTART
	v_cvt_f32_f16 v148, v148;
	;;#ASMEND
	;;#ASMSTART
	v_cvt_f32_f16 v164, v164;
	;;#ASMEND
	v_fmac_f32_e32 v88, v160, v148
	v_fmac_f32_e32 v138, v39, v164
	v_lshrrev_b32_e32 v39, 16, v161
	v_and_b32_e32 v148, 0xffff, v161
	v_lshrrev_b32_e32 v160, 16, v149
	v_and_b32_e32 v149, 0xffff, v149
	;;#ASMSTART
	v_cvt_f32_f16 v148, v148;
	;;#ASMEND
	;;#ASMSTART
	v_cvt_f32_f16 v39, v39;
	;;#ASMEND
	;;#ASMSTART
	v_cvt_f32_f16 v149, v149;
	;;#ASMEND
	;;#ASMSTART
	v_cvt_f32_f16 v160, v160;
	;;#ASMEND
	v_fmac_f32_e32 v89, v148, v149
	v_fmac_f32_e32 v139, v39, v160
	v_lshrrev_b32_e32 v39, 16, v162
	v_and_b32_e32 v148, 0xffff, v162
	;; [unrolled: 18-line block ×3, first 2 shown]
	v_lshrrev_b32_e32 v149, 16, v151
	v_and_b32_e32 v150, 0xffff, v151
	;;#ASMSTART
	v_cvt_f32_f16 v148, v148;
	;;#ASMEND
	;;#ASMSTART
	v_cvt_f32_f16 v39, v39;
	;;#ASMEND
	;;#ASMSTART
	v_cvt_f32_f16 v150, v150;
	;;#ASMEND
	;;#ASMSTART
	v_cvt_f32_f16 v149, v149;
	;;#ASMEND
	v_fmac_f32_e32 v91, v148, v150
	v_fmac_f32_e32 v141, v39, v149
	ds_load_b128 v[148:151], v122 offset:208
	s_waitcnt vmcnt(18)
	v_lshrrev_b32_e32 v160, 16, v144
	v_and_b32_e32 v144, 0xffff, v144
	s_waitcnt lgkmcnt(0)
	v_lshrrev_b32_e32 v39, 16, v148
	v_and_b32_e32 v148, 0xffff, v148
	;;#ASMSTART
	v_cvt_f32_f16 v148, v148;
	;;#ASMEND
	;;#ASMSTART
	v_cvt_f32_f16 v39, v39;
	;;#ASMEND
	;;#ASMSTART
	v_cvt_f32_f16 v144, v144;
	;;#ASMEND
	;;#ASMSTART
	v_cvt_f32_f16 v160, v160;
	;;#ASMEND
	v_fmac_f32_e32 v88, v148, v144
	v_fmac_f32_e32 v138, v39, v160
	v_lshrrev_b32_e32 v39, 16, v149
	v_and_b32_e32 v144, 0xffff, v149
	v_lshrrev_b32_e32 v148, 16, v145
	v_and_b32_e32 v145, 0xffff, v145
	;;#ASMSTART
	v_cvt_f32_f16 v144, v144;
	;;#ASMEND
	;;#ASMSTART
	v_cvt_f32_f16 v39, v39;
	;;#ASMEND
	;;#ASMSTART
	v_cvt_f32_f16 v145, v145;
	;;#ASMEND
	;;#ASMSTART
	v_cvt_f32_f16 v148, v148;
	;;#ASMEND
	v_fmac_f32_e32 v89, v144, v145
	v_fmac_f32_e32 v139, v39, v148
	v_lshrrev_b32_e32 v39, 16, v150
	v_and_b32_e32 v144, 0xffff, v150
	v_lshrrev_b32_e32 v145, 16, v146
	v_and_b32_e32 v146, 0xffff, v146
	;;#ASMSTART
	v_cvt_f32_f16 v144, v144;
	;;#ASMEND
	;;#ASMSTART
	v_cvt_f32_f16 v39, v39;
	;;#ASMEND
	;;#ASMSTART
	v_cvt_f32_f16 v146, v146;
	;;#ASMEND
	;;#ASMSTART
	v_cvt_f32_f16 v145, v145;
	;;#ASMEND
	v_fmac_f32_e32 v140, v144, v146
	v_fmac_f32_e32 v90, v39, v145
	v_lshrrev_b32_e32 v39, 16, v151
	v_and_b32_e32 v144, 0xffff, v151
	v_lshrrev_b32_e32 v145, 16, v147
	v_and_b32_e32 v146, 0xffff, v147
	;;#ASMSTART
	v_cvt_f32_f16 v144, v144;
	;;#ASMEND
	;;#ASMSTART
	v_cvt_f32_f16 v39, v39;
	;;#ASMEND
	;; [unrolled: 3-line block ×4, first 2 shown]
	v_fmac_f32_e32 v91, v144, v146
	v_fmac_f32_e32 v141, v39, v145
	ds_load_b128 v[144:147], v122 offset:224
	s_waitcnt vmcnt(17)
	v_lshrrev_b32_e32 v148, 16, v132
	v_and_b32_e32 v132, 0xffff, v132
	s_waitcnt lgkmcnt(0)
	v_lshrrev_b32_e32 v39, 16, v144
	v_and_b32_e32 v144, 0xffff, v144
	;;#ASMSTART
	v_cvt_f32_f16 v144, v144;
	;;#ASMEND
	;;#ASMSTART
	v_cvt_f32_f16 v39, v39;
	;;#ASMEND
	;;#ASMSTART
	v_cvt_f32_f16 v132, v132;
	;;#ASMEND
	;;#ASMSTART
	v_cvt_f32_f16 v148, v148;
	;;#ASMEND
	v_fmac_f32_e32 v88, v144, v132
	v_fmac_f32_e32 v138, v39, v148
	v_lshrrev_b32_e32 v39, 16, v145
	v_and_b32_e32 v132, 0xffff, v145
	v_lshrrev_b32_e32 v144, 16, v133
	v_and_b32_e32 v133, 0xffff, v133
	;;#ASMSTART
	v_cvt_f32_f16 v132, v132;
	;;#ASMEND
	;;#ASMSTART
	v_cvt_f32_f16 v39, v39;
	;;#ASMEND
	;;#ASMSTART
	v_cvt_f32_f16 v133, v133;
	;;#ASMEND
	;;#ASMSTART
	v_cvt_f32_f16 v144, v144;
	;;#ASMEND
	v_fmac_f32_e32 v89, v132, v133
	v_fmac_f32_e32 v139, v39, v144
	v_lshrrev_b32_e32 v39, 16, v146
	v_and_b32_e32 v132, 0xffff, v146
	;; [unrolled: 18-line block ×3, first 2 shown]
	v_lshrrev_b32_e32 v133, 16, v135
	v_and_b32_e32 v134, 0xffff, v135
	;;#ASMSTART
	v_cvt_f32_f16 v132, v132;
	;;#ASMEND
	;;#ASMSTART
	v_cvt_f32_f16 v39, v39;
	;;#ASMEND
	;; [unrolled: 3-line block ×4, first 2 shown]
	v_fmac_f32_e32 v91, v132, v134
	v_fmac_f32_e32 v141, v39, v133
	ds_load_b128 v[132:135], v122 offset:240
	s_waitcnt vmcnt(16)
	v_lshrrev_b32_e32 v144, 16, v128
	v_and_b32_e32 v128, 0xffff, v128
	s_waitcnt lgkmcnt(0)
	v_lshrrev_b32_e32 v39, 16, v132
	v_and_b32_e32 v132, 0xffff, v132
	;;#ASMSTART
	v_cvt_f32_f16 v132, v132;
	;;#ASMEND
	;;#ASMSTART
	v_cvt_f32_f16 v39, v39;
	;;#ASMEND
	;;#ASMSTART
	v_cvt_f32_f16 v128, v128;
	;;#ASMEND
	;;#ASMSTART
	v_cvt_f32_f16 v144, v144;
	;;#ASMEND
	v_fmac_f32_e32 v88, v132, v128
	v_fmac_f32_e32 v138, v39, v144
	v_lshrrev_b32_e32 v39, 16, v133
	v_and_b32_e32 v128, 0xffff, v133
	v_lshrrev_b32_e32 v132, 16, v129
	v_and_b32_e32 v129, 0xffff, v129
	;;#ASMSTART
	v_cvt_f32_f16 v128, v128;
	;;#ASMEND
	;;#ASMSTART
	v_cvt_f32_f16 v39, v39;
	;;#ASMEND
	;;#ASMSTART
	v_cvt_f32_f16 v129, v129;
	;;#ASMEND
	;;#ASMSTART
	v_cvt_f32_f16 v132, v132;
	;;#ASMEND
	v_fmac_f32_e32 v89, v128, v129
	v_fmac_f32_e32 v139, v39, v132
	v_lshrrev_b32_e32 v39, 16, v134
	v_and_b32_e32 v128, 0xffff, v134
	v_lshrrev_b32_e32 v129, 16, v130
	v_and_b32_e32 v130, 0xffff, v130
	;;#ASMSTART
	v_cvt_f32_f16 v128, v128;
	;;#ASMEND
	;;#ASMSTART
	v_cvt_f32_f16 v39, v39;
	;;#ASMEND
	;;#ASMSTART
	v_cvt_f32_f16 v130, v130;
	;;#ASMEND
	;;#ASMSTART
	v_cvt_f32_f16 v129, v129;
	;;#ASMEND
	v_fmac_f32_e32 v140, v128, v130
	v_fmac_f32_e32 v90, v39, v129
	v_lshrrev_b32_e32 v39, 16, v135
	v_and_b32_e32 v128, 0xffff, v135
	v_lshrrev_b32_e32 v129, 16, v131
	v_and_b32_e32 v130, 0xffff, v131
	;;#ASMSTART
	v_cvt_f32_f16 v128, v128;
	;;#ASMEND
	;;#ASMSTART
	v_cvt_f32_f16 v39, v39;
	;;#ASMEND
	;; [unrolled: 3-line block ×4, first 2 shown]
	v_fmac_f32_e32 v91, v128, v130
	v_fmac_f32_e32 v141, v39, v129
	ds_load_b128 v[128:131], v122 offset:256
	s_waitcnt vmcnt(15)
	v_lshrrev_b32_e32 v132, 16, v116
	v_and_b32_e32 v116, 0xffff, v116
	s_waitcnt lgkmcnt(0)
	v_lshrrev_b32_e32 v39, 16, v128
	v_and_b32_e32 v128, 0xffff, v128
	;;#ASMSTART
	v_cvt_f32_f16 v128, v128;
	;;#ASMEND
	;;#ASMSTART
	v_cvt_f32_f16 v39, v39;
	;;#ASMEND
	;;#ASMSTART
	v_cvt_f32_f16 v116, v116;
	;;#ASMEND
	;;#ASMSTART
	v_cvt_f32_f16 v132, v132;
	;;#ASMEND
	v_fmac_f32_e32 v88, v128, v116
	v_fmac_f32_e32 v138, v39, v132
	v_lshrrev_b32_e32 v39, 16, v129
	v_and_b32_e32 v116, 0xffff, v129
	v_lshrrev_b32_e32 v128, 16, v117
	v_and_b32_e32 v117, 0xffff, v117
	;;#ASMSTART
	v_cvt_f32_f16 v116, v116;
	;;#ASMEND
	;;#ASMSTART
	v_cvt_f32_f16 v39, v39;
	;;#ASMEND
	;;#ASMSTART
	v_cvt_f32_f16 v117, v117;
	;;#ASMEND
	;;#ASMSTART
	v_cvt_f32_f16 v128, v128;
	;;#ASMEND
	v_fmac_f32_e32 v89, v116, v117
	v_fmac_f32_e32 v139, v39, v128
	v_lshrrev_b32_e32 v39, 16, v130
	v_and_b32_e32 v116, 0xffff, v130
	;; [unrolled: 18-line block ×3, first 2 shown]
	v_lshrrev_b32_e32 v117, 16, v119
	v_and_b32_e32 v118, 0xffff, v119
	;;#ASMSTART
	v_cvt_f32_f16 v116, v116;
	;;#ASMEND
	;;#ASMSTART
	v_cvt_f32_f16 v39, v39;
	;;#ASMEND
	;; [unrolled: 3-line block ×4, first 2 shown]
	v_fmac_f32_e32 v91, v116, v118
	v_fmac_f32_e32 v141, v39, v117
	ds_load_b128 v[116:119], v122 offset:272
	s_waitcnt vmcnt(14)
	v_lshrrev_b32_e32 v128, 16, v112
	v_and_b32_e32 v112, 0xffff, v112
	s_waitcnt lgkmcnt(0)
	v_lshrrev_b32_e32 v39, 16, v116
	v_and_b32_e32 v116, 0xffff, v116
	;;#ASMSTART
	v_cvt_f32_f16 v116, v116;
	;;#ASMEND
	;;#ASMSTART
	v_cvt_f32_f16 v39, v39;
	;;#ASMEND
	;;#ASMSTART
	v_cvt_f32_f16 v112, v112;
	;;#ASMEND
	;;#ASMSTART
	v_cvt_f32_f16 v128, v128;
	;;#ASMEND
	v_fmac_f32_e32 v88, v116, v112
	v_fmac_f32_e32 v138, v39, v128
	v_lshrrev_b32_e32 v39, 16, v117
	v_and_b32_e32 v112, 0xffff, v117
	v_lshrrev_b32_e32 v116, 16, v113
	v_and_b32_e32 v113, 0xffff, v113
	;;#ASMSTART
	v_cvt_f32_f16 v112, v112;
	;;#ASMEND
	;;#ASMSTART
	v_cvt_f32_f16 v39, v39;
	;;#ASMEND
	;;#ASMSTART
	v_cvt_f32_f16 v113, v113;
	;;#ASMEND
	;;#ASMSTART
	v_cvt_f32_f16 v116, v116;
	;;#ASMEND
	v_fmac_f32_e32 v89, v112, v113
	v_fmac_f32_e32 v139, v39, v116
	v_lshrrev_b32_e32 v39, 16, v118
	v_and_b32_e32 v112, 0xffff, v118
	;; [unrolled: 18-line block ×3, first 2 shown]
	v_lshrrev_b32_e32 v113, 16, v115
	v_and_b32_e32 v114, 0xffff, v115
	;;#ASMSTART
	v_cvt_f32_f16 v112, v112;
	;;#ASMEND
	;;#ASMSTART
	v_cvt_f32_f16 v39, v39;
	;;#ASMEND
	;; [unrolled: 3-line block ×4, first 2 shown]
	v_fmac_f32_e32 v91, v112, v114
	v_fmac_f32_e32 v141, v39, v113
	ds_load_b128 v[112:115], v122 offset:288
	s_waitcnt vmcnt(13)
	v_lshrrev_b32_e32 v116, 16, v100
	v_and_b32_e32 v100, 0xffff, v100
	s_waitcnt lgkmcnt(0)
	v_lshrrev_b32_e32 v39, 16, v112
	v_and_b32_e32 v112, 0xffff, v112
	;;#ASMSTART
	v_cvt_f32_f16 v112, v112;
	;;#ASMEND
	;;#ASMSTART
	v_cvt_f32_f16 v39, v39;
	;;#ASMEND
	;;#ASMSTART
	v_cvt_f32_f16 v100, v100;
	;;#ASMEND
	;;#ASMSTART
	v_cvt_f32_f16 v116, v116;
	;;#ASMEND
	v_fmac_f32_e32 v88, v112, v100
	v_fmac_f32_e32 v138, v39, v116
	v_lshrrev_b32_e32 v39, 16, v113
	v_and_b32_e32 v100, 0xffff, v113
	v_lshrrev_b32_e32 v112, 16, v101
	v_and_b32_e32 v101, 0xffff, v101
	;;#ASMSTART
	v_cvt_f32_f16 v100, v100;
	;;#ASMEND
	;;#ASMSTART
	v_cvt_f32_f16 v39, v39;
	;;#ASMEND
	;;#ASMSTART
	v_cvt_f32_f16 v101, v101;
	;;#ASMEND
	;;#ASMSTART
	v_cvt_f32_f16 v112, v112;
	;;#ASMEND
	v_fmac_f32_e32 v89, v100, v101
	v_fmac_f32_e32 v139, v39, v112
	v_lshrrev_b32_e32 v39, 16, v114
	v_and_b32_e32 v100, 0xffff, v114
	;; [unrolled: 18-line block ×3, first 2 shown]
	v_lshrrev_b32_e32 v101, 16, v103
	v_and_b32_e32 v102, 0xffff, v103
	;;#ASMSTART
	v_cvt_f32_f16 v100, v100;
	;;#ASMEND
	;;#ASMSTART
	v_cvt_f32_f16 v39, v39;
	;;#ASMEND
	;; [unrolled: 3-line block ×4, first 2 shown]
	v_fmac_f32_e32 v91, v100, v102
	v_fmac_f32_e32 v141, v39, v101
	ds_load_b128 v[100:103], v122 offset:304
	s_waitcnt vmcnt(12)
	v_lshrrev_b32_e32 v112, 16, v96
	v_and_b32_e32 v96, 0xffff, v96
	s_waitcnt lgkmcnt(0)
	v_lshrrev_b32_e32 v39, 16, v100
	v_and_b32_e32 v100, 0xffff, v100
	;;#ASMSTART
	v_cvt_f32_f16 v100, v100;
	;;#ASMEND
	;;#ASMSTART
	v_cvt_f32_f16 v39, v39;
	;;#ASMEND
	;;#ASMSTART
	v_cvt_f32_f16 v96, v96;
	;;#ASMEND
	;;#ASMSTART
	v_cvt_f32_f16 v112, v112;
	;;#ASMEND
	v_fmac_f32_e32 v88, v100, v96
	v_fmac_f32_e32 v138, v39, v112
	v_lshrrev_b32_e32 v39, 16, v101
	v_and_b32_e32 v96, 0xffff, v101
	v_lshrrev_b32_e32 v100, 16, v97
	v_and_b32_e32 v97, 0xffff, v97
	;;#ASMSTART
	v_cvt_f32_f16 v96, v96;
	;;#ASMEND
	;;#ASMSTART
	v_cvt_f32_f16 v39, v39;
	;;#ASMEND
	;;#ASMSTART
	v_cvt_f32_f16 v97, v97;
	;;#ASMEND
	;;#ASMSTART
	v_cvt_f32_f16 v100, v100;
	;;#ASMEND
	v_fmac_f32_e32 v89, v96, v97
	v_fmac_f32_e32 v139, v39, v100
	v_lshrrev_b32_e32 v39, 16, v102
	v_and_b32_e32 v96, 0xffff, v102
	;; [unrolled: 18-line block ×3, first 2 shown]
	v_lshrrev_b32_e32 v97, 16, v99
	v_and_b32_e32 v98, 0xffff, v99
	;;#ASMSTART
	v_cvt_f32_f16 v96, v96;
	;;#ASMEND
	;;#ASMSTART
	v_cvt_f32_f16 v39, v39;
	;;#ASMEND
	;; [unrolled: 3-line block ×4, first 2 shown]
	v_fmac_f32_e32 v91, v96, v98
	v_fmac_f32_e32 v141, v39, v97
	ds_load_b128 v[96:99], v122 offset:320
	s_waitcnt vmcnt(11)
	v_lshrrev_b32_e32 v100, 16, v84
	v_and_b32_e32 v84, 0xffff, v84
	s_waitcnt lgkmcnt(0)
	v_lshrrev_b32_e32 v39, 16, v96
	v_and_b32_e32 v96, 0xffff, v96
	;;#ASMSTART
	v_cvt_f32_f16 v96, v96;
	;;#ASMEND
	;;#ASMSTART
	v_cvt_f32_f16 v39, v39;
	;;#ASMEND
	;;#ASMSTART
	v_cvt_f32_f16 v84, v84;
	;;#ASMEND
	;;#ASMSTART
	v_cvt_f32_f16 v100, v100;
	;;#ASMEND
	v_fmac_f32_e32 v88, v96, v84
	v_fmac_f32_e32 v138, v39, v100
	v_lshrrev_b32_e32 v39, 16, v97
	v_and_b32_e32 v84, 0xffff, v97
	v_lshrrev_b32_e32 v96, 16, v85
	v_and_b32_e32 v85, 0xffff, v85
	;;#ASMSTART
	v_cvt_f32_f16 v84, v84;
	;;#ASMEND
	;;#ASMSTART
	v_cvt_f32_f16 v39, v39;
	;;#ASMEND
	;;#ASMSTART
	v_cvt_f32_f16 v85, v85;
	;;#ASMEND
	;;#ASMSTART
	v_cvt_f32_f16 v96, v96;
	;;#ASMEND
	v_fmac_f32_e32 v89, v84, v85
	v_fmac_f32_e32 v139, v39, v96
	v_lshrrev_b32_e32 v39, 16, v98
	v_and_b32_e32 v84, 0xffff, v98
	;; [unrolled: 18-line block ×3, first 2 shown]
	v_lshrrev_b32_e32 v85, 16, v87
	v_and_b32_e32 v86, 0xffff, v87
	;;#ASMSTART
	v_cvt_f32_f16 v84, v84;
	;;#ASMEND
	;;#ASMSTART
	v_cvt_f32_f16 v39, v39;
	;;#ASMEND
	;; [unrolled: 3-line block ×4, first 2 shown]
	v_fmac_f32_e32 v91, v84, v86
	v_fmac_f32_e32 v141, v39, v85
	ds_load_b128 v[84:87], v122 offset:336
	s_waitcnt vmcnt(10)
	v_lshrrev_b32_e32 v96, 16, v80
	v_and_b32_e32 v80, 0xffff, v80
	s_waitcnt lgkmcnt(0)
	v_lshrrev_b32_e32 v39, 16, v84
	v_and_b32_e32 v84, 0xffff, v84
	;;#ASMSTART
	v_cvt_f32_f16 v84, v84;
	;;#ASMEND
	;;#ASMSTART
	v_cvt_f32_f16 v39, v39;
	;;#ASMEND
	;;#ASMSTART
	v_cvt_f32_f16 v80, v80;
	;;#ASMEND
	;;#ASMSTART
	v_cvt_f32_f16 v96, v96;
	;;#ASMEND
	v_fmac_f32_e32 v88, v84, v80
	v_fmac_f32_e32 v138, v39, v96
	v_lshrrev_b32_e32 v39, 16, v85
	v_and_b32_e32 v80, 0xffff, v85
	v_lshrrev_b32_e32 v84, 16, v81
	v_and_b32_e32 v81, 0xffff, v81
	;;#ASMSTART
	v_cvt_f32_f16 v80, v80;
	;;#ASMEND
	;;#ASMSTART
	v_cvt_f32_f16 v39, v39;
	;;#ASMEND
	;;#ASMSTART
	v_cvt_f32_f16 v81, v81;
	;;#ASMEND
	;;#ASMSTART
	v_cvt_f32_f16 v84, v84;
	;;#ASMEND
	v_fmac_f32_e32 v89, v80, v81
	v_fmac_f32_e32 v139, v39, v84
	v_lshrrev_b32_e32 v39, 16, v86
	v_and_b32_e32 v80, 0xffff, v86
	;; [unrolled: 18-line block ×3, first 2 shown]
	v_lshrrev_b32_e32 v81, 16, v83
	v_and_b32_e32 v82, 0xffff, v83
	;;#ASMSTART
	v_cvt_f32_f16 v80, v80;
	;;#ASMEND
	;;#ASMSTART
	v_cvt_f32_f16 v39, v39;
	;;#ASMEND
	;; [unrolled: 3-line block ×4, first 2 shown]
	v_fmac_f32_e32 v91, v80, v82
	v_fmac_f32_e32 v141, v39, v81
	ds_load_b128 v[80:83], v122 offset:352
	s_waitcnt vmcnt(9)
	v_lshrrev_b32_e32 v84, 16, v68
	v_and_b32_e32 v68, 0xffff, v68
	s_waitcnt lgkmcnt(0)
	v_lshrrev_b32_e32 v39, 16, v80
	v_and_b32_e32 v80, 0xffff, v80
	;;#ASMSTART
	v_cvt_f32_f16 v80, v80;
	;;#ASMEND
	;;#ASMSTART
	v_cvt_f32_f16 v39, v39;
	;;#ASMEND
	;;#ASMSTART
	v_cvt_f32_f16 v68, v68;
	;;#ASMEND
	;;#ASMSTART
	v_cvt_f32_f16 v84, v84;
	;;#ASMEND
	v_fmac_f32_e32 v88, v80, v68
	v_fmac_f32_e32 v138, v39, v84
	v_lshrrev_b32_e32 v39, 16, v81
	v_and_b32_e32 v68, 0xffff, v81
	v_lshrrev_b32_e32 v80, 16, v69
	v_and_b32_e32 v69, 0xffff, v69
	;;#ASMSTART
	v_cvt_f32_f16 v68, v68;
	;;#ASMEND
	;;#ASMSTART
	v_cvt_f32_f16 v39, v39;
	;;#ASMEND
	;;#ASMSTART
	v_cvt_f32_f16 v69, v69;
	;;#ASMEND
	;;#ASMSTART
	v_cvt_f32_f16 v80, v80;
	;;#ASMEND
	v_fmac_f32_e32 v89, v68, v69
	v_fmac_f32_e32 v139, v39, v80
	v_lshrrev_b32_e32 v39, 16, v82
	v_and_b32_e32 v68, 0xffff, v82
	;; [unrolled: 18-line block ×3, first 2 shown]
	v_lshrrev_b32_e32 v69, 16, v71
	v_and_b32_e32 v70, 0xffff, v71
	;;#ASMSTART
	v_cvt_f32_f16 v68, v68;
	;;#ASMEND
	;;#ASMSTART
	v_cvt_f32_f16 v39, v39;
	;;#ASMEND
	;; [unrolled: 3-line block ×4, first 2 shown]
	v_fmac_f32_e32 v91, v68, v70
	v_fmac_f32_e32 v141, v39, v69
	ds_load_b128 v[68:71], v122 offset:368
	s_waitcnt vmcnt(8)
	v_lshrrev_b32_e32 v80, 16, v64
	v_and_b32_e32 v64, 0xffff, v64
	s_waitcnt lgkmcnt(0)
	v_lshrrev_b32_e32 v39, 16, v68
	v_and_b32_e32 v68, 0xffff, v68
	;;#ASMSTART
	v_cvt_f32_f16 v68, v68;
	;;#ASMEND
	;;#ASMSTART
	v_cvt_f32_f16 v39, v39;
	;;#ASMEND
	;;#ASMSTART
	v_cvt_f32_f16 v64, v64;
	;;#ASMEND
	;;#ASMSTART
	v_cvt_f32_f16 v80, v80;
	;;#ASMEND
	v_fmac_f32_e32 v88, v68, v64
	v_fmac_f32_e32 v138, v39, v80
	v_lshrrev_b32_e32 v39, 16, v69
	v_and_b32_e32 v64, 0xffff, v69
	v_lshrrev_b32_e32 v68, 16, v65
	v_and_b32_e32 v65, 0xffff, v65
	;;#ASMSTART
	v_cvt_f32_f16 v64, v64;
	;;#ASMEND
	;;#ASMSTART
	v_cvt_f32_f16 v39, v39;
	;;#ASMEND
	;;#ASMSTART
	v_cvt_f32_f16 v65, v65;
	;;#ASMEND
	;;#ASMSTART
	v_cvt_f32_f16 v68, v68;
	;;#ASMEND
	v_fmac_f32_e32 v89, v64, v65
	v_fmac_f32_e32 v139, v39, v68
	v_lshrrev_b32_e32 v39, 16, v70
	v_and_b32_e32 v64, 0xffff, v70
	;; [unrolled: 18-line block ×3, first 2 shown]
	v_lshrrev_b32_e32 v65, 16, v67
	v_and_b32_e32 v66, 0xffff, v67
	;;#ASMSTART
	v_cvt_f32_f16 v64, v64;
	;;#ASMEND
	;;#ASMSTART
	v_cvt_f32_f16 v39, v39;
	;;#ASMEND
	;; [unrolled: 3-line block ×4, first 2 shown]
	v_fmac_f32_e32 v91, v64, v66
	v_fmac_f32_e32 v141, v39, v65
	ds_load_b128 v[64:67], v122 offset:384
	s_waitcnt vmcnt(7)
	v_lshrrev_b32_e32 v68, 16, v52
	v_and_b32_e32 v52, 0xffff, v52
	s_waitcnt lgkmcnt(0)
	v_lshrrev_b32_e32 v39, 16, v64
	v_and_b32_e32 v64, 0xffff, v64
	;;#ASMSTART
	v_cvt_f32_f16 v64, v64;
	;;#ASMEND
	;;#ASMSTART
	v_cvt_f32_f16 v39, v39;
	;;#ASMEND
	;;#ASMSTART
	v_cvt_f32_f16 v52, v52;
	;;#ASMEND
	;;#ASMSTART
	v_cvt_f32_f16 v68, v68;
	;;#ASMEND
	v_fmac_f32_e32 v88, v64, v52
	v_fmac_f32_e32 v138, v39, v68
	v_lshrrev_b32_e32 v39, 16, v65
	v_and_b32_e32 v52, 0xffff, v65
	v_lshrrev_b32_e32 v64, 16, v53
	v_and_b32_e32 v53, 0xffff, v53
	;;#ASMSTART
	v_cvt_f32_f16 v52, v52;
	;;#ASMEND
	;;#ASMSTART
	v_cvt_f32_f16 v39, v39;
	;;#ASMEND
	;;#ASMSTART
	v_cvt_f32_f16 v53, v53;
	;;#ASMEND
	;;#ASMSTART
	v_cvt_f32_f16 v64, v64;
	;;#ASMEND
	v_fmac_f32_e32 v89, v52, v53
	v_fmac_f32_e32 v139, v39, v64
	v_lshrrev_b32_e32 v39, 16, v66
	v_and_b32_e32 v52, 0xffff, v66
	;; [unrolled: 18-line block ×3, first 2 shown]
	v_lshrrev_b32_e32 v53, 16, v55
	v_and_b32_e32 v54, 0xffff, v55
	;;#ASMSTART
	v_cvt_f32_f16 v52, v52;
	;;#ASMEND
	;;#ASMSTART
	v_cvt_f32_f16 v39, v39;
	;;#ASMEND
	;;#ASMSTART
	v_cvt_f32_f16 v54, v54;
	;;#ASMEND
	;;#ASMSTART
	v_cvt_f32_f16 v53, v53;
	;;#ASMEND
	v_fmac_f32_e32 v91, v52, v54
	v_fmac_f32_e32 v141, v39, v53
	ds_load_b128 v[52:55], v122 offset:400
	s_waitcnt vmcnt(6)
	v_lshrrev_b32_e32 v64, 16, v48
	v_and_b32_e32 v48, 0xffff, v48
	s_waitcnt lgkmcnt(0)
	v_lshrrev_b32_e32 v39, 16, v52
	v_and_b32_e32 v52, 0xffff, v52
	;;#ASMSTART
	v_cvt_f32_f16 v52, v52;
	;;#ASMEND
	;;#ASMSTART
	v_cvt_f32_f16 v39, v39;
	;;#ASMEND
	;;#ASMSTART
	v_cvt_f32_f16 v48, v48;
	;;#ASMEND
	;;#ASMSTART
	v_cvt_f32_f16 v64, v64;
	;;#ASMEND
	v_fmac_f32_e32 v88, v52, v48
	v_fmac_f32_e32 v138, v39, v64
	v_lshrrev_b32_e32 v39, 16, v53
	v_and_b32_e32 v48, 0xffff, v53
	v_lshrrev_b32_e32 v52, 16, v49
	v_and_b32_e32 v49, 0xffff, v49
	;;#ASMSTART
	v_cvt_f32_f16 v48, v48;
	;;#ASMEND
	;;#ASMSTART
	v_cvt_f32_f16 v39, v39;
	;;#ASMEND
	;;#ASMSTART
	v_cvt_f32_f16 v49, v49;
	;;#ASMEND
	;;#ASMSTART
	v_cvt_f32_f16 v52, v52;
	;;#ASMEND
	v_fmac_f32_e32 v89, v48, v49
	v_fmac_f32_e32 v139, v39, v52
	v_lshrrev_b32_e32 v39, 16, v54
	v_and_b32_e32 v48, 0xffff, v54
	;; [unrolled: 18-line block ×3, first 2 shown]
	v_lshrrev_b32_e32 v49, 16, v51
	v_and_b32_e32 v50, 0xffff, v51
	;;#ASMSTART
	v_cvt_f32_f16 v48, v48;
	;;#ASMEND
	;;#ASMSTART
	v_cvt_f32_f16 v39, v39;
	;;#ASMEND
	;; [unrolled: 3-line block ×4, first 2 shown]
	v_fmac_f32_e32 v91, v48, v50
	v_fmac_f32_e32 v141, v39, v49
	ds_load_b128 v[48:51], v122 offset:416
	s_waitcnt vmcnt(5)
	v_lshrrev_b32_e32 v52, 16, v35
	v_and_b32_e32 v35, 0xffff, v35
	s_waitcnt lgkmcnt(0)
	v_lshrrev_b32_e32 v39, 16, v48
	v_and_b32_e32 v48, 0xffff, v48
	;;#ASMSTART
	v_cvt_f32_f16 v48, v48;
	;;#ASMEND
	;;#ASMSTART
	v_cvt_f32_f16 v39, v39;
	;;#ASMEND
	;;#ASMSTART
	v_cvt_f32_f16 v35, v35;
	;;#ASMEND
	;;#ASMSTART
	v_cvt_f32_f16 v52, v52;
	;;#ASMEND
	v_fmac_f32_e32 v88, v48, v35
	v_fmac_f32_e32 v138, v39, v52
	v_lshrrev_b32_e32 v35, 16, v49
	v_and_b32_e32 v39, 0xffff, v49
	v_lshrrev_b32_e32 v48, 16, v36
	v_and_b32_e32 v36, 0xffff, v36
	;;#ASMSTART
	v_cvt_f32_f16 v39, v39;
	;;#ASMEND
	;;#ASMSTART
	v_cvt_f32_f16 v35, v35;
	;;#ASMEND
	;;#ASMSTART
	v_cvt_f32_f16 v36, v36;
	;;#ASMEND
	;;#ASMSTART
	v_cvt_f32_f16 v48, v48;
	;;#ASMEND
	v_fmac_f32_e32 v89, v39, v36
	v_fmac_f32_e32 v139, v35, v48
	v_lshrrev_b32_e32 v35, 16, v50
	v_and_b32_e32 v36, 0xffff, v50
	;; [unrolled: 18-line block ×3, first 2 shown]
	v_lshrrev_b32_e32 v37, 16, v38
	v_and_b32_e32 v38, 0xffff, v38
	;;#ASMSTART
	v_cvt_f32_f16 v36, v36;
	;;#ASMEND
	;;#ASMSTART
	v_cvt_f32_f16 v35, v35;
	;;#ASMEND
	;; [unrolled: 3-line block ×4, first 2 shown]
	v_fmac_f32_e32 v91, v36, v38
	v_fmac_f32_e32 v141, v35, v37
	ds_load_b128 v[35:38], v122 offset:432
	s_waitcnt vmcnt(4)
	v_lshrrev_b32_e32 v48, 16, v31
	v_and_b32_e32 v31, 0xffff, v31
	s_waitcnt lgkmcnt(0)
	v_lshrrev_b32_e32 v39, 16, v35
	v_and_b32_e32 v35, 0xffff, v35
	;;#ASMSTART
	v_cvt_f32_f16 v35, v35;
	;;#ASMEND
	;;#ASMSTART
	v_cvt_f32_f16 v39, v39;
	;;#ASMEND
	;; [unrolled: 3-line block ×3, first 2 shown]
	s_delay_alu instid0(VALU_DEP_1)
	v_fmac_f32_e32 v88, v35, v31
	v_lshrrev_b32_e32 v31, 16, v36
	v_and_b32_e32 v35, 0xffff, v36
	v_lshrrev_b32_e32 v36, 16, v32
	v_and_b32_e32 v32, 0xffff, v32
	;;#ASMSTART
	v_cvt_f32_f16 v48, v48;
	;;#ASMEND
	;;#ASMSTART
	v_cvt_f32_f16 v35, v35;
	;;#ASMEND
	;;#ASMSTART
	v_cvt_f32_f16 v31, v31;
	;;#ASMEND
	;;#ASMSTART
	v_cvt_f32_f16 v32, v32;
	;;#ASMEND
	;;#ASMSTART
	v_cvt_f32_f16 v36, v36;
	;;#ASMEND
	v_fmac_f32_e32 v89, v35, v32
	v_fmac_f32_e32 v139, v31, v36
	v_lshrrev_b32_e32 v31, 16, v37
	v_and_b32_e32 v32, 0xffff, v37
	v_lshrrev_b32_e32 v35, 16, v33
	v_and_b32_e32 v33, 0xffff, v33
	;;#ASMSTART
	v_cvt_f32_f16 v32, v32;
	;;#ASMEND
	;;#ASMSTART
	v_cvt_f32_f16 v31, v31;
	;;#ASMEND
	;; [unrolled: 3-line block ×4, first 2 shown]
	v_fmac_f32_e32 v140, v32, v33
	v_fmac_f32_e32 v90, v31, v35
	v_lshrrev_b32_e32 v31, 16, v38
	v_and_b32_e32 v32, 0xffff, v38
	v_lshrrev_b32_e32 v33, 16, v34
	v_and_b32_e32 v34, 0xffff, v34
	;;#ASMSTART
	v_cvt_f32_f16 v32, v32;
	;;#ASMEND
	;;#ASMSTART
	v_cvt_f32_f16 v31, v31;
	;;#ASMEND
	;; [unrolled: 3-line block ×4, first 2 shown]
	v_fmac_f32_e32 v91, v32, v34
	v_fmac_f32_e32 v141, v31, v33
	ds_load_b128 v[31:34], v122 offset:448
	s_waitcnt vmcnt(3)
	v_lshrrev_b32_e32 v36, 16, v27
	v_dual_fmac_f32 v138, v39, v48 :: v_dual_and_b32 v27, 0xffff, v27
	s_waitcnt lgkmcnt(0)
	v_lshrrev_b32_e32 v35, 16, v31
	v_and_b32_e32 v31, 0xffff, v31
	;;#ASMSTART
	v_cvt_f32_f16 v31, v31;
	;;#ASMEND
	;;#ASMSTART
	v_cvt_f32_f16 v35, v35;
	;;#ASMEND
	;;#ASMSTART
	v_cvt_f32_f16 v27, v27;
	;;#ASMEND
	s_delay_alu instid0(VALU_DEP_1)
	v_fmac_f32_e32 v88, v31, v27
	v_lshrrev_b32_e32 v27, 16, v32
	v_and_b32_e32 v31, 0xffff, v32
	v_lshrrev_b32_e32 v32, 16, v28
	v_and_b32_e32 v28, 0xffff, v28
	;;#ASMSTART
	v_cvt_f32_f16 v36, v36;
	;;#ASMEND
	;;#ASMSTART
	v_cvt_f32_f16 v31, v31;
	;;#ASMEND
	;; [unrolled: 3-line block ×5, first 2 shown]
	v_fmac_f32_e32 v89, v31, v28
	v_fmac_f32_e32 v139, v27, v32
	v_lshrrev_b32_e32 v27, 16, v33
	v_and_b32_e32 v28, 0xffff, v33
	v_lshrrev_b32_e32 v31, 16, v29
	v_and_b32_e32 v29, 0xffff, v29
	;;#ASMSTART
	v_cvt_f32_f16 v28, v28;
	;;#ASMEND
	;;#ASMSTART
	v_cvt_f32_f16 v27, v27;
	;;#ASMEND
	;; [unrolled: 3-line block ×4, first 2 shown]
	v_fmac_f32_e32 v140, v28, v29
	v_fmac_f32_e32 v90, v27, v31
	v_lshrrev_b32_e32 v27, 16, v34
	v_and_b32_e32 v28, 0xffff, v34
	v_lshrrev_b32_e32 v29, 16, v30
	v_and_b32_e32 v30, 0xffff, v30
	;;#ASMSTART
	v_cvt_f32_f16 v28, v28;
	;;#ASMEND
	;;#ASMSTART
	v_cvt_f32_f16 v27, v27;
	;;#ASMEND
	;; [unrolled: 3-line block ×4, first 2 shown]
	v_fmac_f32_e32 v91, v28, v30
	v_fmac_f32_e32 v141, v27, v29
	ds_load_b128 v[27:30], v122 offset:464
	s_waitcnt vmcnt(2)
	v_lshrrev_b32_e32 v32, 16, v23
	v_dual_fmac_f32 v138, v35, v36 :: v_dual_and_b32 v23, 0xffff, v23
	s_waitcnt lgkmcnt(0)
	v_lshrrev_b32_e32 v31, 16, v27
	v_and_b32_e32 v27, 0xffff, v27
	;;#ASMSTART
	v_cvt_f32_f16 v27, v27;
	;;#ASMEND
	;;#ASMSTART
	v_cvt_f32_f16 v31, v31;
	;;#ASMEND
	;; [unrolled: 3-line block ×3, first 2 shown]
	s_delay_alu instid0(VALU_DEP_1)
	v_fmac_f32_e32 v88, v27, v23
	v_lshrrev_b32_e32 v23, 16, v28
	v_and_b32_e32 v27, 0xffff, v28
	v_lshrrev_b32_e32 v28, 16, v24
	v_and_b32_e32 v24, 0xffff, v24
	;;#ASMSTART
	v_cvt_f32_f16 v32, v32;
	;;#ASMEND
	;;#ASMSTART
	v_cvt_f32_f16 v27, v27;
	;;#ASMEND
	;; [unrolled: 3-line block ×5, first 2 shown]
	v_fmac_f32_e32 v89, v27, v24
	v_fmac_f32_e32 v139, v23, v28
	v_lshrrev_b32_e32 v23, 16, v29
	v_and_b32_e32 v24, 0xffff, v29
	v_lshrrev_b32_e32 v27, 16, v25
	v_and_b32_e32 v25, 0xffff, v25
	;;#ASMSTART
	v_cvt_f32_f16 v24, v24;
	;;#ASMEND
	;;#ASMSTART
	v_cvt_f32_f16 v23, v23;
	;;#ASMEND
	;; [unrolled: 3-line block ×4, first 2 shown]
	v_fmac_f32_e32 v140, v24, v25
	v_fmac_f32_e32 v90, v23, v27
	v_lshrrev_b32_e32 v23, 16, v30
	v_and_b32_e32 v24, 0xffff, v30
	v_lshrrev_b32_e32 v25, 16, v26
	v_and_b32_e32 v26, 0xffff, v26
	;;#ASMSTART
	v_cvt_f32_f16 v24, v24;
	;;#ASMEND
	;;#ASMSTART
	v_cvt_f32_f16 v23, v23;
	;;#ASMEND
	;; [unrolled: 3-line block ×4, first 2 shown]
	v_fmac_f32_e32 v91, v24, v26
	v_fmac_f32_e32 v141, v23, v25
	ds_load_b128 v[23:26], v122 offset:480
	s_waitcnt vmcnt(1)
	v_lshrrev_b32_e32 v28, 16, v16
	v_and_b32_e32 v16, 0xffff, v16
	v_fmac_f32_e32 v138, v31, v32
	s_waitcnt lgkmcnt(0)
	v_lshrrev_b32_e32 v27, 16, v23
	v_and_b32_e32 v23, 0xffff, v23
	;;#ASMSTART
	v_cvt_f32_f16 v23, v23;
	;;#ASMEND
	;;#ASMSTART
	v_cvt_f32_f16 v27, v27;
	;;#ASMEND
	;; [unrolled: 3-line block ×3, first 2 shown]
	s_delay_alu instid0(VALU_DEP_1)
	v_fmac_f32_e32 v88, v23, v16
	v_lshrrev_b32_e32 v16, 16, v24
	v_and_b32_e32 v23, 0xffff, v24
	v_lshrrev_b32_e32 v24, 16, v17
	v_and_b32_e32 v17, 0xffff, v17
	;;#ASMSTART
	v_cvt_f32_f16 v28, v28;
	;;#ASMEND
	;;#ASMSTART
	v_cvt_f32_f16 v23, v23;
	;;#ASMEND
	;; [unrolled: 3-line block ×5, first 2 shown]
	v_fmac_f32_e32 v89, v23, v17
	v_fmac_f32_e32 v139, v16, v24
	v_lshrrev_b32_e32 v16, 16, v25
	v_and_b32_e32 v17, 0xffff, v25
	v_lshrrev_b32_e32 v23, 16, v18
	v_and_b32_e32 v18, 0xffff, v18
	;;#ASMSTART
	v_cvt_f32_f16 v17, v17;
	;;#ASMEND
	;;#ASMSTART
	v_cvt_f32_f16 v16, v16;
	;;#ASMEND
	;; [unrolled: 3-line block ×4, first 2 shown]
	v_fmac_f32_e32 v140, v17, v18
	v_fmac_f32_e32 v90, v16, v23
	v_lshrrev_b32_e32 v16, 16, v26
	v_and_b32_e32 v17, 0xffff, v26
	v_lshrrev_b32_e32 v18, 16, v19
	v_and_b32_e32 v19, 0xffff, v19
	;;#ASMSTART
	v_cvt_f32_f16 v17, v17;
	;;#ASMEND
	;;#ASMSTART
	v_cvt_f32_f16 v16, v16;
	;;#ASMEND
	;; [unrolled: 3-line block ×4, first 2 shown]
	v_fmac_f32_e32 v91, v17, v19
	v_fmac_f32_e32 v141, v16, v18
	ds_load_b128 v[16:19], v122 offset:496
	v_fmac_f32_e32 v138, v27, v28
	s_waitcnt vmcnt(0)
	v_lshrrev_b32_e32 v24, 16, v6
	v_and_b32_e32 v6, 0xffff, v6
	s_waitcnt lgkmcnt(0)
	v_lshrrev_b32_e32 v23, 16, v16
	v_and_b32_e32 v16, 0xffff, v16
	;;#ASMSTART
	v_cvt_f32_f16 v16, v16;
	;;#ASMEND
	;;#ASMSTART
	v_cvt_f32_f16 v23, v23;
	;;#ASMEND
	;; [unrolled: 3-line block ×3, first 2 shown]
	s_delay_alu instid0(VALU_DEP_1)
	v_fmac_f32_e32 v88, v16, v6
	v_lshrrev_b32_e32 v6, 16, v17
	v_and_b32_e32 v16, 0xffff, v17
	v_lshrrev_b32_e32 v17, 16, v7
	v_and_b32_e32 v7, 0xffff, v7
	;;#ASMSTART
	v_cvt_f32_f16 v24, v24;
	;;#ASMEND
	v_fmac_f32_e32 v138, v23, v24
	;;#ASMSTART
	v_cvt_f32_f16 v16, v16;
	;;#ASMEND
	;;#ASMSTART
	v_cvt_f32_f16 v6, v6;
	;;#ASMEND
	;; [unrolled: 3-line block ×4, first 2 shown]
	v_fmac_f32_e32 v89, v16, v7
	v_fmac_f32_e32 v139, v6, v17
	v_lshrrev_b32_e32 v6, 16, v18
	v_and_b32_e32 v7, 0xffff, v18
	;;#ASMSTART
	v_cvt_f32_f16 v7, v7;
	;;#ASMEND
	;;#ASMSTART
	v_cvt_f32_f16 v6, v6;
	;;#ASMEND
	v_lshrrev_b32_e32 v16, 16, v8
	v_and_b32_e32 v8, 0xffff, v8
	;;#ASMSTART
	v_cvt_f32_f16 v8, v8;
	;;#ASMEND
	;;#ASMSTART
	v_cvt_f32_f16 v16, v16;
	;;#ASMEND
	s_delay_alu instid0(VALU_DEP_1)
	v_fmac_f32_e32 v140, v7, v8
	v_fmac_f32_e32 v90, v6, v16
	v_lshrrev_b32_e32 v6, 16, v19
	v_and_b32_e32 v7, 0xffff, v19
	;;#ASMSTART
	v_cvt_f32_f16 v7, v7;
	;;#ASMEND
	;;#ASMSTART
	v_cvt_f32_f16 v6, v6;
	;;#ASMEND
	v_lshrrev_b32_e32 v8, 16, v9
	v_and_b32_e32 v9, 0xffff, v9
	;;#ASMSTART
	v_cvt_f32_f16 v9, v9;
	;;#ASMEND
	;;#ASMSTART
	v_cvt_f32_f16 v8, v8;
	;;#ASMEND
	s_delay_alu instid0(VALU_DEP_2) | instskip(NEXT) | instid1(VALU_DEP_2)
	v_dual_fmac_f32 v141, v6, v8 :: v_dual_add_f32 v6, v88, v138
	v_fmac_f32_e32 v91, v7, v9
	s_delay_alu instid0(VALU_DEP_2) | instskip(NEXT) | instid1(VALU_DEP_1)
	v_add_f32_e32 v6, v6, v89
	v_add_f32_e32 v6, v139, v6
	s_delay_alu instid0(VALU_DEP_1) | instskip(NEXT) | instid1(VALU_DEP_1)
	v_add_f32_e32 v6, v6, v140
	v_add_f32_e32 v6, v90, v6
	s_delay_alu instid0(VALU_DEP_1) | instskip(NEXT) | instid1(VALU_DEP_1)
	;; [unrolled: 3-line block ×3, first 2 shown]
	v_fmac_f32_e32 v137, v6, v13
	v_cndmask_b32_e64 v6, 0, v137, s1
	ds_store_b32 v127, v6
	v_dual_max_f32 v6, v121, v121 :: v_dual_add_nc_u32 v127, 0x200, v127
	s_delay_alu instid0(VALU_DEP_1) | instskip(NEXT) | instid1(VALU_DEP_1)
	v_max_f32_e32 v6, v6, v137
	v_cndmask_b32_e64 v121, v121, v6, s1
	v_add_co_u32 v104, s1, v104, 16
	s_delay_alu instid0(VALU_DEP_1) | instskip(SKIP_1) | instid1(VALU_DEP_1)
	v_add_co_ci_u32_e64 v105, s1, 0, v105, s1
	v_cmp_ge_i32_e64 s1, v136, v108
	s_or_b32 s7, s1, s7
	s_delay_alu instid0(SALU_CYCLE_1)
	s_and_not1_b32 exec_lo, exec_lo, s7
	s_cbranch_execnz .LBB130_7
; %bb.8:
	s_or_b32 exec_lo, exec_lo, s7
.LBB130_9:
	s_delay_alu instid0(SALU_CYCLE_1) | instskip(SKIP_3) | instid1(VALU_DEP_2)
	s_or_b32 exec_lo, exec_lo, s8
	v_mbcnt_lo_u32_b32 v6, -1, 0
	s_lshr_b32 s8, s3, 16
	v_max_f32_e32 v13, v121, v121
	v_xor_b32_e32 v7, 16, v6
	v_xor_b32_e32 v9, 8, v6
	;; [unrolled: 1-line block ×4, first 2 shown]
	s_delay_alu instid0(VALU_DEP_4) | instskip(SKIP_4) | instid1(VALU_DEP_2)
	v_cmp_gt_i32_e32 vcc_lo, 32, v7
	v_cndmask_b32_e32 v7, v6, v7, vcc_lo
	v_cmp_gt_i32_e32 vcc_lo, 32, v9
	v_cndmask_b32_e32 v9, v6, v9, vcc_lo
	v_cmp_gt_i32_e32 vcc_lo, 32, v16
	v_dual_cndmask_b32 v16, v6, v16 :: v_dual_lshlrev_b32 v9, 2, v9
	s_delay_alu instid0(VALU_DEP_1) | instskip(SKIP_1) | instid1(VALU_DEP_1)
	v_lshlrev_b32_e32 v17, 2, v16
	v_xor_b32_e32 v16, 2, v6
	v_cmp_gt_i32_e32 vcc_lo, 32, v16
	v_cndmask_b32_e32 v16, v6, v16, vcc_lo
	v_cmp_gt_i32_e32 vcc_lo, 32, v18
	s_delay_alu instid0(VALU_DEP_2)
	v_lshlrev_b32_e32 v16, 2, v16
	v_lshlrev_b32_e32 v8, 2, v7
	v_cndmask_b32_e32 v18, v6, v18, vcc_lo
	v_cmp_eq_u32_e32 vcc_lo, 0, v106
	ds_bpermute_b32 v7, v8, v121
	s_waitcnt lgkmcnt(0)
	v_max_f32_e32 v7, v7, v7
	s_delay_alu instid0(VALU_DEP_1) | instskip(SKIP_3) | instid1(VALU_DEP_1)
	v_max_f32_e32 v7, v13, v7
	ds_bpermute_b32 v13, v9, v7
	s_waitcnt lgkmcnt(0)
	v_max_f32_e32 v13, v13, v13
	v_max_f32_e32 v7, v7, v13
	ds_bpermute_b32 v13, v17, v7
	s_waitcnt lgkmcnt(0)
	v_max_f32_e32 v13, v13, v13
	s_delay_alu instid0(VALU_DEP_1) | instskip(SKIP_3) | instid1(VALU_DEP_1)
	v_max_f32_e32 v7, v7, v13
	ds_bpermute_b32 v13, v16, v7
	s_waitcnt lgkmcnt(0)
	v_max_f32_e32 v13, v13, v13
	v_dual_max_f32 v6, v7, v13 :: v_dual_lshlrev_b32 v13, 2, v18
	v_lshlrev_b32_e32 v18, 2, v47
	ds_bpermute_b32 v7, v13, v6
	s_and_saveexec_b32 s1, vcc_lo
	s_cbranch_execz .LBB130_11
; %bb.10:
	s_waitcnt lgkmcnt(0)
	v_dual_max_f32 v7, v7, v7 :: v_dual_max_f32 v6, v6, v6
	s_delay_alu instid0(VALU_DEP_1)
	v_max_f32_e32 v6, v6, v7
	ds_store_b32 v18, v6 offset:512
.LBB130_11:
	s_or_b32 exec_lo, exec_lo, s1
	v_cmp_gt_u32_e64 s1, 4, v106
	v_mov_b32_e32 v6, 0xff7fffff
	s_waitcnt lgkmcnt(0)
	s_barrier
	buffer_gl0_inv
	s_and_saveexec_b32 s3, s1
	s_cbranch_execz .LBB130_13
; %bb.12:
	ds_load_b32 v6, v111 offset:512
.LBB130_13:
	s_or_b32 exec_lo, exec_lo, s3
	s_waitcnt lgkmcnt(0)
	ds_bpermute_b32 v7, v16, v6
	v_max_f32_e32 v6, v6, v6
	v_subrev_nc_u32_e32 v23, s2, v108
	v_mov_b32_e32 v19, 0
	s_waitcnt lgkmcnt(0)
	v_max_f32_e32 v7, v7, v7
	s_delay_alu instid0(VALU_DEP_1) | instskip(SKIP_3) | instid1(VALU_DEP_1)
	v_max_f32_e32 v6, v6, v7
	ds_bpermute_b32 v7, v13, v6
	s_waitcnt lgkmcnt(0)
	v_max_f32_e32 v7, v7, v7
	v_max_f32_e32 v6, v6, v7
	v_lshl_add_u32 v7, v23, 5, s16
	ds_bpermute_b32 v6, v19, v6
	v_min_i32_e32 v7, v7, v107
	s_delay_alu instid0(VALU_DEP_1) | instskip(NEXT) | instid1(VALU_DEP_1)
	v_subrev_nc_u32_e32 v7, s16, v7
	v_cmp_lt_i32_e64 s2, v12, v7
	s_delay_alu instid0(VALU_DEP_1)
	s_and_saveexec_b32 s9, s2
	s_cbranch_execz .LBB130_17
; %bb.14:
	s_getpc_b64 s[18:19]
	s_add_u32 s18, s18, llvm.amdgcn.dynlds.offset.table@rel32@lo+4
	s_addc_u32 s19, s19, llvm.amdgcn.dynlds.offset.table@rel32@hi+12
	s_ashr_i32 s7, s6, 31
	v_dual_mov_b32 v19, 0 :: v_dual_mov_b32 v24, v12
	s_lshl_b64 s[20:21], s[6:7], 2
	s_mov_b32 s7, 0
	s_add_u32 s18, s20, s18
	s_addc_u32 s19, s21, s19
	s_load_b32 s3, s[18:19], 0x0
	s_waitcnt lgkmcnt(0)
	v_lshl_add_u32 v23, v12, 2, s3
	.p2align	6
.LBB130_15:                             ; =>This Inner Loop Header: Depth=1
	ds_load_b32 v25, v23
	v_add_nc_u32_e32 v24, 0x80, v24
	s_delay_alu instid0(VALU_DEP_1) | instskip(NEXT) | instid1(VALU_DEP_1)
	v_cmp_ge_i32_e64 s3, v24, v7
	s_or_b32 s7, s3, s7
	s_waitcnt lgkmcnt(0)
	v_sub_f32_e32 v25, v25, v6
	s_delay_alu instid0(VALU_DEP_1) | instskip(NEXT) | instid1(VALU_DEP_1)
	v_mul_f32_e32 v25, 0x3fb8aa3b, v25
	v_exp_f32_e32 v25, v25
	ds_store_b32 v23, v25
	v_add_f32_e32 v19, v19, v25
	v_add_nc_u32_e32 v23, 0x200, v23
	s_and_not1_b32 exec_lo, exec_lo, s7
	s_cbranch_execnz .LBB130_15
; %bb.16:
	s_or_b32 exec_lo, exec_lo, s7
.LBB130_17:
	s_delay_alu instid0(SALU_CYCLE_1)
	s_or_b32 exec_lo, exec_lo, s9
	ds_bpermute_b32 v8, v8, v19
	s_waitcnt lgkmcnt(0)
	v_add_f32_e32 v8, v19, v8
	ds_bpermute_b32 v9, v9, v8
	s_waitcnt lgkmcnt(0)
	v_add_f32_e32 v8, v8, v9
	;; [unrolled: 3-line block ×5, first 2 shown]
	s_and_saveexec_b32 s3, vcc_lo
	s_cbranch_execz .LBB130_19
; %bb.18:
	ds_store_b32 v18, v8 offset:528
.LBB130_19:
	s_or_b32 exec_lo, exec_lo, s3
	s_waitcnt lgkmcnt(0)
	s_barrier
	buffer_gl0_inv
	s_and_saveexec_b32 s3, s1
	s_cbranch_execz .LBB130_21
; %bb.20:
	ds_load_b32 v8, v111 offset:528
.LBB130_21:
	s_or_b32 exec_lo, exec_lo, s3
	s_waitcnt lgkmcnt(0)
	ds_bpermute_b32 v9, v16, v8
	s_waitcnt lgkmcnt(0)
	v_add_f32_e32 v8, v8, v9
	ds_bpermute_b32 v9, v13, v8
	s_waitcnt lgkmcnt(0)
	v_dual_add_f32 v8, v8, v9 :: v_dual_mov_b32 v9, 0
	ds_bpermute_b32 v8, v9, v8
	s_and_saveexec_b32 s1, s2
	s_cbranch_execz .LBB130_24
; %bb.22:
	s_waitcnt lgkmcnt(0)
	v_add_f32_e32 v17, 0x358637bd, v8
	s_getpc_b64 s[2:3]
	s_add_u32 s2, s2, llvm.amdgcn.dynlds.offset.table@rel32@lo+4
	s_addc_u32 s3, s3, llvm.amdgcn.dynlds.offset.table@rel32@hi+12
	s_ashr_i32 s7, s6, 31
	s_delay_alu instid0(SALU_CYCLE_1) | instskip(SKIP_4) | instid1(VALU_DEP_1)
	s_lshl_b64 s[18:19], s[6:7], 2
	v_div_scale_f32 v9, null, v17, v17, 1.0
	s_add_u32 s2, s18, s2
	s_addc_u32 s3, s19, s3
	s_load_b32 s2, s[2:3], 0x0
	v_rcp_f32_e32 v18, v9
	s_waitcnt_depctr 0xfff
	v_fma_f32 v19, -v9, v18, 1.0
	s_delay_alu instid0(VALU_DEP_1) | instskip(SKIP_1) | instid1(VALU_DEP_1)
	v_fmac_f32_e32 v18, v19, v18
	v_div_scale_f32 v23, vcc_lo, 1.0, v17, 1.0
	v_mul_f32_e32 v19, v23, v18
	s_delay_alu instid0(VALU_DEP_1) | instskip(NEXT) | instid1(VALU_DEP_1)
	v_fma_f32 v24, -v9, v19, v23
	v_fmac_f32_e32 v19, v24, v18
	s_delay_alu instid0(VALU_DEP_1) | instskip(NEXT) | instid1(VALU_DEP_1)
	v_fma_f32 v9, -v9, v19, v23
	v_div_fmas_f32 v18, v9, v18, v19
	s_waitcnt lgkmcnt(0)
	v_lshl_add_u32 v9, v12, 2, s2
	s_mov_b32 s2, 0
	s_delay_alu instid0(VALU_DEP_2)
	v_div_fixup_f32 v17, v18, v17, 1.0
	v_mov_b32_e32 v18, v12
.LBB130_23:                             ; =>This Inner Loop Header: Depth=1
	ds_load_b32 v19, v9
	s_waitcnt lgkmcnt(0)
	v_dual_mul_f32 v19, v17, v19 :: v_dual_add_nc_u32 v18, 0x80, v18
	s_delay_alu instid0(VALU_DEP_1) | instskip(SKIP_3) | instid1(SALU_CYCLE_1)
	v_cmp_ge_i32_e32 vcc_lo, v18, v7
	ds_store_b32 v9, v19
	v_add_nc_u32_e32 v9, 0x200, v9
	s_or_b32 s2, vcc_lo, s2
	s_and_not1_b32 exec_lo, exec_lo, s2
	s_cbranch_execnz .LBB130_23
.LBB130_24:
	s_or_b32 exec_lo, exec_lo, s1
	v_cmp_ne_u16_e64 s1, s8, 0
	s_waitcnt lgkmcnt(0)
	s_barrier
	buffer_gl0_inv
	s_cmp_lg_u32 s1, 0
	s_addc_u32 s1, s5, 0
	s_mov_b32 s5, exec_lo
	s_mul_i32 s2, s1, s10
	s_delay_alu instid0(SALU_CYCLE_1)
	s_mul_i32 s2, s2, s15
	v_cmpx_eq_u32_e32 0, v12
	s_cbranch_execz .LBB130_26
; %bb.25:
	s_mul_i32 s8, s1, s12
	s_ashr_i32 s15, s14, 31
	s_ashr_i32 s9, s8, 31
	;; [unrolled: 1-line block ×3, first 2 shown]
	s_lshl_b64 s[8:9], s[8:9], 2
	s_lshl_b64 s[12:13], s[14:15], 2
	;; [unrolled: 1-line block ×3, first 2 shown]
	s_add_u32 s3, s12, s8
	s_addc_u32 s7, s13, s9
	s_add_u32 s3, s3, s18
	s_addc_u32 s7, s7, s19
	v_add_co_u32 v2, vcc_lo, s3, v2
	v_add_co_ci_u32_e32 v3, vcc_lo, s7, v3, vcc_lo
	v_add_co_u32 v0, vcc_lo, s3, v0
	v_add_co_ci_u32_e32 v1, vcc_lo, s7, v1, vcc_lo
	flat_store_b32 v[2:3], v6
	flat_store_b32 v[0:1], v8
.LBB130_26:
	s_or_b32 exec_lo, exec_lo, s5
                                        ; implicit-def: $sgpr5
	s_and_saveexec_b32 s3, s0
	s_delay_alu instid0(SALU_CYCLE_1)
	s_xor_b32 s0, exec_lo, s3
; %bb.27:
	s_ashr_i32 s7, s6, 31
	s_mov_b32 s5, 0
                                        ; implicit-def: $vgpr107
                                        ; implicit-def: $vgpr110
                                        ; implicit-def: $vgpr108
                                        ; implicit-def: $vgpr20
                                        ; implicit-def: $vgpr10
                                        ; implicit-def: $vgpr11
                                        ; implicit-def: $vgpr14
                                        ; implicit-def: $vgpr15
                                        ; implicit-def: $vgpr22
                                        ; implicit-def: $vgpr94
                                        ; implicit-def: $vgpr92_vgpr93
                                        ; implicit-def: $vgpr109
; %bb.28:
	s_or_saveexec_b32 s3, s0
	v_dual_mov_b32 v65, s5 :: v_dual_mov_b32 v0, s6
	v_dual_mov_b32 v1, s7 :: v_dual_mov_b32 v68, s5
	v_dual_mov_b32 v66, s5 :: v_dual_and_b32 v17, 3, v12
	v_dual_mov_b32 v67, s5 :: v_dual_mov_b32 v64, s5
	v_dual_mov_b32 v55, s5 :: v_dual_mov_b32 v54, s5
	;; [unrolled: 1-line block ×14, first 2 shown]
	v_mov_b32_e32 v19, s5
	s_xor_b32 exec_lo, exec_lo, s3
	s_cbranch_execz .LBB130_96
; %bb.29:
	s_getpc_b64 s[8:9]
	s_add_u32 s8, s8, llvm.amdgcn.dynlds.offset.table@rel32@lo+4
	s_addc_u32 s9, s9, llvm.amdgcn.dynlds.offset.table@rel32@hi+12
	s_ashr_i32 s7, s6, 31
	v_lshlrev_b64 v[0:1], 1, v[94:95]
	s_lshl_b64 s[12:13], s[6:7], 2
	v_dual_mov_b32 v71, v107 :: v_dual_lshlrev_b32 v2, 3, v12
	s_add_u32 s8, s12, s8
	s_addc_u32 s9, s13, s9
	s_delay_alu instid0(VALU_DEP_2)
	v_add_co_u32 v10, vcc_lo, v10, v0
	s_load_b32 s0, s[8:9], 0x0
	v_add_co_ci_u32_e32 v11, vcc_lo, v11, v1, vcc_lo
	v_lshlrev_b64 v[0:1], 2, v[20:21]
	v_dual_mov_b32 v81, v107 :: v_dual_and_b32 v8, 0xf8, v2
	v_dual_mov_b32 v21, v107 :: v_dual_lshlrev_b32 v6, 5, v17
	v_dual_mov_b32 v18, 0 :: v_dual_and_b32 v3, 24, v2
	s_delay_alu instid0(VALU_DEP_4) | instskip(NEXT) | instid1(VALU_DEP_4)
	v_add_co_u32 v0, vcc_lo, v92, v0
	v_or_b32_e32 v9, 0x800, v8
	v_or_b32_e32 v19, 0x900, v8
	;; [unrolled: 1-line block ×24, first 2 shown]
	v_add_co_ci_u32_e32 v1, vcc_lo, v93, v1, vcc_lo
	v_lshl_or_b32 v52, v47, 7, v6
	v_add_co_u32 v6, vcc_lo, v14, v0
	v_dual_mov_b32 v70, v107 :: v_dual_add_nc_u32 v69, -1, v110
	v_mov_b32_e32 v80, v107
	v_dual_mov_b32 v82, v107 :: v_dual_lshlrev_b32 v85, 1, v9
	v_dual_mov_b32 v83, v107 :: v_dual_lshlrev_b32 v84, 1, v8
	v_add_co_ci_u32_e32 v7, vcc_lo, v15, v1, vcc_lo
	v_add3_u32 v14, s16, v109, v3
	s_waitcnt lgkmcnt(0)
	v_add_nc_u32_e32 v15, s0, v52
	v_dual_mov_b32 v19, 0 :: v_dual_lshlrev_b32 v86, 1, v19
	v_lshlrev_b32_e32 v87, 1, v23
	v_dual_mov_b32 v23, 0 :: v_dual_lshlrev_b32 v96, 1, v24
	v_lshlrev_b32_e32 v97, 1, v25
	;; [unrolled: 2-line block ×10, first 2 shown]
	v_dual_mov_b32 v49, 0 :: v_dual_lshlrev_b32 v130, 1, v50
	v_dual_mov_b32 v52, 0 :: v_dual_lshlrev_b32 v131, 1, v51
	;; [unrolled: 1-line block ×3, first 2 shown]
	v_mov_b32_e32 v24, 0
	v_mov_b32_e32 v26, 0
	;; [unrolled: 1-line block ×9, first 2 shown]
	v_dual_mov_b32 v50, 0 :: v_dual_mov_b32 v53, 0
	v_dual_mov_b32 v54, 0 :: v_dual_mov_b32 v55, 0
	v_mov_b32_e32 v64, 0
	v_dual_mov_b32 v66, 0 :: v_dual_mov_b32 v67, 0
	v_dual_mov_b32 v68, 0 :: v_dual_mov_b32 v65, 0
	s_mov_b32 s5, 0
	s_branch .LBB130_31
.LBB130_30:                             ;   in Loop: Header=BB130_31 Depth=1
	s_or_b32 exec_lo, exec_lo, s0
	v_dual_add_f32 v148, v126, v127 :: v_dual_add_f32 v149, v124, v125
	v_add_f32_e32 v147, v162, v163
	s_waitcnt vmcnt(0) lgkmcnt(0)
	;;#ASMSTART
	v_pk_mul_f16 v0, v145, v0;

	;;#ASMEND
	;;#ASMSTART
	v_pk_mul_f16 v1, v135, v1;

	;;#ASMEND
	v_dual_add_f32 v23, v23, v148 :: v_dual_add_f32 v150, v105, v109
	v_dual_add_f32 v24, v24, v149 :: v_dual_add_f32 v19, v19, v147
	v_dual_add_f32 v148, v120, v121 :: v_dual_add_f32 v147, v122, v123
	s_delay_alu instid0(VALU_DEP_3) | instskip(SKIP_1) | instid1(VALU_DEP_2)
	v_dual_add_f32 v28, v28, v150 :: v_dual_add_f32 v149, v110, v111
	;;#ASMSTART
	v_pk_mul_f16 v2, v134, v2;

	;;#ASMEND
	v_add_f32_e32 v26, v26, v148
	s_delay_alu instid0(VALU_DEP_3) | instskip(SKIP_3) | instid1(VALU_DEP_4)
	v_dual_add_f32 v148, v91, v92 :: v_dual_add_f32 v25, v25, v147
	v_add_f32_e32 v147, v93, v94
	v_add_f32_e32 v151, v95, v104
	;; [unrolled: 1-line block ×3, first 2 shown]
	v_dual_add_f32 v31, v31, v148 :: v_dual_add_f32 v148, v73, v74
	s_delay_alu instid0(VALU_DEP_4) | instskip(NEXT) | instid1(VALU_DEP_4)
	v_add_f32_e32 v30, v30, v147
	v_add_f32_e32 v29, v29, v151
	;; [unrolled: 1-line block ×4, first 2 shown]
	v_dual_add_f32 v149, v89, v90 :: v_dual_add_f32 v36, v36, v148
	v_add_f32_e32 v33, v33, v150
	v_dual_add_f32 v147, v75, v76 :: v_dual_add_f32 v150, v61, v62
	s_delay_alu instid0(VALU_DEP_3) | instskip(SKIP_2) | instid1(VALU_DEP_3)
	v_dual_add_f32 v32, v32, v149 :: v_dual_add_f32 v149, v63, v72
	v_add_f32_e32 v148, v46, v56
	;;#ASMSTART
	v_pk_mul_f16 v3, v133, v3;

	;;#ASMEND
	v_add_f32_e32 v38, v38, v150
	;;#ASMSTART
	v_pk_add_f16 v0, v0, v1;

	;;#ASMEND
	;;#ASMSTART
	v_pk_add_f16 v0, v0, v2;

	;;#ASMEND
	;; [unrolled: 4-line block ×3, first 2 shown]
	v_dual_add_f32 v3, v164, v165 :: v_dual_add_f32 v34, v34, v151
	v_add_f32_e32 v37, v37, v149
	v_dual_add_f32 v149, v44, v45 :: v_dual_add_f32 v2, v166, v167
	v_add_f32_e32 v35, v35, v147
	v_add_f32_e32 v147, v57, v58
	v_dual_add_f32 v49, v49, v148 :: v_dual_add_f32 v148, v178, v179
	v_add_f32_e32 v151, v59, v60
	v_dual_add_f32 v68, v68, v3 :: v_dual_and_b32 v1, 0xffff, v0
	v_lshrrev_b32_e32 v0, 16, v0
	;;#ASMSTART
	v_cvt_f32_f16 v1, v1;
	;;#ASMEND
	;;#ASMSTART
	v_cvt_f32_f16 v0, v0;
	;;#ASMEND
	v_add_f32_e32 v48, v48, v147
	v_dual_add_f32 v39, v39, v151 :: v_dual_add_f32 v8, v8, v9
	v_dual_add_f32 v151, v40, v41 :: v_dual_add_f32 v0, v1, v0
	v_dual_add_f32 v147, v180, v181 :: v_dual_add_nc_u32 v20, 4, v20
	v_add_f32_e32 v150, v42, v43
	v_add_f32_e32 v50, v50, v149
	;; [unrolled: 1-line block ×3, first 2 shown]
	v_dual_add_f32 v149, v176, v177 :: v_dual_add_f32 v18, v18, v0
	v_dual_add_f32 v53, v53, v8 :: v_dual_add_f32 v8, v144, v146
	v_cmp_ge_i32_e32 vcc_lo, v20, v108
	s_delay_alu instid0(VALU_DEP_3)
	v_add_f32_e32 v66, v66, v149
	v_add_co_u32 v6, s0, v6, 16
	v_dual_add_f32 v51, v51, v150 :: v_dual_add_f32 v64, v64, v148
	v_add_f32_e32 v52, v52, v151
	v_dual_add_f32 v54, v54, v9 :: v_dual_add_f32 v55, v55, v147
	v_add_nc_u32_e32 v14, 0x80, v14
	v_add_f32_e32 v67, v67, v2
	v_add_f32_e32 v65, v65, v8
	v_add_co_ci_u32_e64 v7, s0, 0, v7, s0
	v_add_nc_u32_e32 v15, 0x200, v15
	s_or_b32 s5, vcc_lo, s5
	s_delay_alu instid0(SALU_CYCLE_1)
	s_and_not1_b32 exec_lo, exec_lo, s5
	s_cbranch_execz .LBB130_95
.LBB130_31:                             ; =>This Inner Loop Header: Depth=1
	flat_load_b32 v133, v[6:7]
	ds_load_2addr_b64 v[0:3], v15 offset1:1
	ds_load_2addr_b64 v[145:148], v15 offset0:2 offset1:3
	s_waitcnt lgkmcnt(1)
	;;#ASMSTART
	v_cvt_f16_f32 v135, v0;

	;;#ASMEND
	v_or_b32_e32 v149, 3, v14
	v_or_b32_e32 v151, 5, v14
	v_or_b32_e32 v150, 4, v14
	v_or_b32_e32 v160, 7, v14
	v_or_b32_e32 v161, 6, v14
	s_waitcnt vmcnt(0)
	v_mad_i64_i32 v[8:9], null, v133, v22, 0
	;;#ASMSTART
	v_cvt_f16_f32 v133, v1;

	;;#ASMEND
	;;#ASMSTART
	v_cvt_f16_f32 v144, v2;

	;;#ASMEND
	;; [unrolled: 4-line block ×3, first 2 shown]
	s_waitcnt lgkmcnt(0)
	;;#ASMSTART
	v_cvt_f16_f32 v145, v145;

	;;#ASMEND
	;;#ASMSTART
	v_cvt_f16_f32 v146, v146;

	;;#ASMEND
	;; [unrolled: 4-line block ×3, first 2 shown]
	v_lshlrev_b64 v[8:9], 1, v[8:9]
	;;#ASMSTART
	v_cvt_f16_f32 v164, v148;

	;;#ASMEND
	v_add_nc_u32_e32 v147, 1, v14
	v_or_b32_e32 v148, 2, v14
	s_delay_alu instid0(VALU_DEP_3) | instskip(NEXT) | instid1(VALU_DEP_4)
	v_add_co_u32 v162, vcc_lo, v10, v8
	v_add_co_ci_u32_e32 v163, vcc_lo, v11, v9, vcc_lo
	s_delay_alu instid0(VALU_DEP_2) | instskip(NEXT) | instid1(VALU_DEP_2)
	v_add_co_u32 v8, vcc_lo, v162, v84
	v_add_co_ci_u32_e32 v9, vcc_lo, 0, v163, vcc_lo
	v_cmp_eq_u32_e32 vcc_lo, v69, v20
	flat_load_b128 v[0:3], v[8:9]
	s_and_saveexec_b32 s8, vcc_lo
	s_cbranch_execz .LBB130_33
; %bb.32:                               ;   in Loop: Header=BB130_31 Depth=1
	v_cmp_lt_i32_e64 s0, v161, v82
	s_waitcnt vmcnt(0) lgkmcnt(0)
	v_lshrrev_b32_e32 v166, 16, v3
	v_lshrrev_b32_e32 v167, 16, v2
	;; [unrolled: 1-line block ×4, first 2 shown]
	v_cndmask_b32_e64 v3, 0, v3, s0
	v_cmp_lt_i32_e64 s0, v160, v83
	s_delay_alu instid0(VALU_DEP_1) | instskip(SKIP_1) | instid1(VALU_DEP_2)
	v_cndmask_b32_e64 v166, 0, v166, s0
	v_cmp_lt_i32_e64 s0, v151, v21
	v_perm_b32 v3, v166, v3, 0x5040100
	s_delay_alu instid0(VALU_DEP_2) | instskip(SKIP_1) | instid1(VALU_DEP_1)
	v_cndmask_b32_e64 v167, 0, v167, s0
	v_cmp_lt_i32_e64 s0, v150, v81
	v_cndmask_b32_e64 v2, 0, v2, s0
	v_cmp_lt_i32_e64 s0, v149, v80
	s_delay_alu instid0(VALU_DEP_2) | instskip(NEXT) | instid1(VALU_DEP_2)
	v_perm_b32 v2, v167, v2, 0x5040100
	v_cndmask_b32_e64 v176, 0, v176, s0
	v_cmp_lt_i32_e64 s0, v148, v71
	s_delay_alu instid0(VALU_DEP_1) | instskip(SKIP_1) | instid1(VALU_DEP_2)
	v_cndmask_b32_e64 v1, 0, v1, s0
	v_cmp_lt_i32_e64 s0, v147, v70
	v_perm_b32 v1, v176, v1, 0x5040100
	s_delay_alu instid0(VALU_DEP_2) | instskip(SKIP_1) | instid1(VALU_DEP_1)
	v_cndmask_b32_e64 v177, 0, v177, s0
	v_cmp_lt_i32_e64 s0, v14, v107
	v_cndmask_b32_e64 v0, 0, v0, s0
	s_delay_alu instid0(VALU_DEP_1)
	v_perm_b32 v0, v177, v0, 0x5040100
.LBB130_33:                             ;   in Loop: Header=BB130_31 Depth=1
	s_or_b32 exec_lo, exec_lo, s8
	v_and_b32_e32 v135, 0xffff, v135
	v_and_b32_e32 v144, 0xffff, v144
	;; [unrolled: 1-line block ×4, first 2 shown]
	s_delay_alu instid0(VALU_DEP_4)
	v_lshl_or_b32 v145, v133, 16, v135
	s_waitcnt vmcnt(0) lgkmcnt(0)
	;;#ASMSTART
	v_pk_mul_f16 v0, v145, v0;

	;;#ASMEND
	v_lshl_or_b32 v135, v134, 16, v144
	v_lshl_or_b32 v134, v146, 16, v166
	;; [unrolled: 1-line block ×3, first 2 shown]
	;;#ASMSTART
	v_pk_mul_f16 v1, v135, v1;

	;;#ASMEND
	;;#ASMSTART
	v_pk_mul_f16 v2, v134, v2;

	;;#ASMEND
	;; [unrolled: 4-line block ×3, first 2 shown]
	;;#ASMSTART
	v_pk_add_f16 v0, v0, v1;

	;;#ASMEND
	;;#ASMSTART
	v_pk_add_f16 v0, v0, v2;

	;;#ASMEND
	;; [unrolled: 4-line block ×3, first 2 shown]
	v_and_b32_e32 v1, 0xffff, v0
	v_lshrrev_b32_e32 v0, 16, v0
	;;#ASMSTART
	v_cvt_f32_f16 v144, v1;
	;;#ASMEND
	;;#ASMSTART
	v_cvt_f32_f16 v146, v0;
	;;#ASMEND
	flat_load_b128 v[0:3], v[8:9] offset:512
	s_and_saveexec_b32 s8, vcc_lo
	s_cbranch_execz .LBB130_35
; %bb.34:                               ;   in Loop: Header=BB130_31 Depth=1
	v_cmp_lt_i32_e64 s0, v161, v82
	s_waitcnt vmcnt(0) lgkmcnt(0)
	v_lshrrev_b32_e32 v164, 16, v3
	v_lshrrev_b32_e32 v165, 16, v2
	;; [unrolled: 1-line block ×4, first 2 shown]
	v_cndmask_b32_e64 v3, 0, v3, s0
	v_cmp_lt_i32_e64 s0, v160, v83
	s_delay_alu instid0(VALU_DEP_1) | instskip(SKIP_1) | instid1(VALU_DEP_2)
	v_cndmask_b32_e64 v164, 0, v164, s0
	v_cmp_lt_i32_e64 s0, v151, v21
	v_perm_b32 v3, v164, v3, 0x5040100
	s_delay_alu instid0(VALU_DEP_2) | instskip(SKIP_1) | instid1(VALU_DEP_1)
	v_cndmask_b32_e64 v165, 0, v165, s0
	v_cmp_lt_i32_e64 s0, v150, v81
	v_cndmask_b32_e64 v2, 0, v2, s0
	v_cmp_lt_i32_e64 s0, v149, v80
	s_delay_alu instid0(VALU_DEP_2) | instskip(NEXT) | instid1(VALU_DEP_2)
	v_perm_b32 v2, v165, v2, 0x5040100
	v_cndmask_b32_e64 v166, 0, v166, s0
	v_cmp_lt_i32_e64 s0, v148, v71
	s_delay_alu instid0(VALU_DEP_1) | instskip(SKIP_1) | instid1(VALU_DEP_2)
	v_cndmask_b32_e64 v1, 0, v1, s0
	v_cmp_lt_i32_e64 s0, v147, v70
	v_perm_b32 v1, v166, v1, 0x5040100
	s_delay_alu instid0(VALU_DEP_2) | instskip(SKIP_1) | instid1(VALU_DEP_1)
	v_cndmask_b32_e64 v167, 0, v167, s0
	v_cmp_lt_i32_e64 s0, v14, v107
	v_cndmask_b32_e64 v0, 0, v0, s0
	s_delay_alu instid0(VALU_DEP_1)
	v_perm_b32 v0, v167, v0, 0x5040100
.LBB130_35:                             ;   in Loop: Header=BB130_31 Depth=1
	s_or_b32 exec_lo, exec_lo, s8
	s_waitcnt vmcnt(0) lgkmcnt(0)
	;;#ASMSTART
	v_pk_mul_f16 v0, v145, v0;

	;;#ASMEND
	;;#ASMSTART
	v_pk_mul_f16 v1, v135, v1;

	;;#ASMEND
	;; [unrolled: 4-line block ×4, first 2 shown]
	;;#ASMSTART
	v_pk_add_f16 v0, v0, v1;

	;;#ASMEND
	;;#ASMSTART
	v_pk_add_f16 v0, v0, v2;

	;;#ASMEND
	;; [unrolled: 4-line block ×3, first 2 shown]
	v_and_b32_e32 v1, 0xffff, v0
	v_lshrrev_b32_e32 v0, 16, v0
	;;#ASMSTART
	v_cvt_f32_f16 v164, v1;
	;;#ASMEND
	;;#ASMSTART
	v_cvt_f32_f16 v165, v0;
	;;#ASMEND
	flat_load_b128 v[0:3], v[8:9] offset:1024
	s_and_saveexec_b32 s8, vcc_lo
	s_cbranch_execz .LBB130_37
; %bb.36:                               ;   in Loop: Header=BB130_31 Depth=1
	v_cmp_lt_i32_e64 s0, v161, v82
	s_waitcnt vmcnt(0) lgkmcnt(0)
	v_lshrrev_b32_e32 v166, 16, v3
	v_lshrrev_b32_e32 v167, 16, v2
	;; [unrolled: 1-line block ×4, first 2 shown]
	v_cndmask_b32_e64 v3, 0, v3, s0
	v_cmp_lt_i32_e64 s0, v160, v83
	s_delay_alu instid0(VALU_DEP_1) | instskip(SKIP_1) | instid1(VALU_DEP_2)
	v_cndmask_b32_e64 v166, 0, v166, s0
	v_cmp_lt_i32_e64 s0, v151, v21
	v_perm_b32 v3, v166, v3, 0x5040100
	s_delay_alu instid0(VALU_DEP_2) | instskip(SKIP_1) | instid1(VALU_DEP_1)
	v_cndmask_b32_e64 v167, 0, v167, s0
	v_cmp_lt_i32_e64 s0, v150, v81
	v_cndmask_b32_e64 v2, 0, v2, s0
	v_cmp_lt_i32_e64 s0, v149, v80
	s_delay_alu instid0(VALU_DEP_2) | instskip(NEXT) | instid1(VALU_DEP_2)
	v_perm_b32 v2, v167, v2, 0x5040100
	v_cndmask_b32_e64 v176, 0, v176, s0
	v_cmp_lt_i32_e64 s0, v148, v71
	s_delay_alu instid0(VALU_DEP_1) | instskip(SKIP_1) | instid1(VALU_DEP_2)
	v_cndmask_b32_e64 v1, 0, v1, s0
	v_cmp_lt_i32_e64 s0, v147, v70
	v_perm_b32 v1, v176, v1, 0x5040100
	s_delay_alu instid0(VALU_DEP_2) | instskip(SKIP_1) | instid1(VALU_DEP_1)
	v_cndmask_b32_e64 v177, 0, v177, s0
	v_cmp_lt_i32_e64 s0, v14, v107
	v_cndmask_b32_e64 v0, 0, v0, s0
	s_delay_alu instid0(VALU_DEP_1)
	v_perm_b32 v0, v177, v0, 0x5040100
.LBB130_37:                             ;   in Loop: Header=BB130_31 Depth=1
	s_or_b32 exec_lo, exec_lo, s8
	s_waitcnt vmcnt(0) lgkmcnt(0)
	;;#ASMSTART
	v_pk_mul_f16 v0, v145, v0;

	;;#ASMEND
	;;#ASMSTART
	v_pk_mul_f16 v1, v135, v1;

	;;#ASMEND
	;; [unrolled: 4-line block ×4, first 2 shown]
	;;#ASMSTART
	v_pk_add_f16 v0, v0, v1;

	;;#ASMEND
	;;#ASMSTART
	v_pk_add_f16 v0, v0, v2;

	;;#ASMEND
	;; [unrolled: 4-line block ×3, first 2 shown]
	v_and_b32_e32 v1, 0xffff, v0
	v_lshrrev_b32_e32 v0, 16, v0
	;;#ASMSTART
	v_cvt_f32_f16 v166, v1;
	;;#ASMEND
	;;#ASMSTART
	v_cvt_f32_f16 v167, v0;
	;;#ASMEND
	flat_load_b128 v[0:3], v[8:9] offset:1536
	s_and_saveexec_b32 s8, vcc_lo
	s_cbranch_execz .LBB130_39
; %bb.38:                               ;   in Loop: Header=BB130_31 Depth=1
	v_cmp_lt_i32_e64 s0, v161, v82
	s_waitcnt vmcnt(0) lgkmcnt(0)
	v_lshrrev_b32_e32 v176, 16, v3
	v_lshrrev_b32_e32 v177, 16, v2
	;; [unrolled: 1-line block ×4, first 2 shown]
	v_cndmask_b32_e64 v3, 0, v3, s0
	v_cmp_lt_i32_e64 s0, v160, v83
	s_delay_alu instid0(VALU_DEP_1) | instskip(SKIP_1) | instid1(VALU_DEP_2)
	v_cndmask_b32_e64 v176, 0, v176, s0
	v_cmp_lt_i32_e64 s0, v151, v21
	v_perm_b32 v3, v176, v3, 0x5040100
	s_delay_alu instid0(VALU_DEP_2) | instskip(SKIP_1) | instid1(VALU_DEP_1)
	v_cndmask_b32_e64 v177, 0, v177, s0
	v_cmp_lt_i32_e64 s0, v150, v81
	v_cndmask_b32_e64 v2, 0, v2, s0
	v_cmp_lt_i32_e64 s0, v149, v80
	s_delay_alu instid0(VALU_DEP_2) | instskip(NEXT) | instid1(VALU_DEP_2)
	v_perm_b32 v2, v177, v2, 0x5040100
	v_cndmask_b32_e64 v178, 0, v178, s0
	v_cmp_lt_i32_e64 s0, v148, v71
	s_delay_alu instid0(VALU_DEP_1) | instskip(SKIP_1) | instid1(VALU_DEP_2)
	v_cndmask_b32_e64 v1, 0, v1, s0
	v_cmp_lt_i32_e64 s0, v147, v70
	v_perm_b32 v1, v178, v1, 0x5040100
	s_delay_alu instid0(VALU_DEP_2) | instskip(SKIP_1) | instid1(VALU_DEP_1)
	v_cndmask_b32_e64 v179, 0, v179, s0
	v_cmp_lt_i32_e64 s0, v14, v107
	v_cndmask_b32_e64 v0, 0, v0, s0
	s_delay_alu instid0(VALU_DEP_1)
	v_perm_b32 v0, v179, v0, 0x5040100
.LBB130_39:                             ;   in Loop: Header=BB130_31 Depth=1
	s_or_b32 exec_lo, exec_lo, s8
	s_waitcnt vmcnt(0) lgkmcnt(0)
	;;#ASMSTART
	v_pk_mul_f16 v0, v145, v0;

	;;#ASMEND
	;;#ASMSTART
	v_pk_mul_f16 v1, v135, v1;

	;;#ASMEND
	;; [unrolled: 4-line block ×4, first 2 shown]
	;;#ASMSTART
	v_pk_add_f16 v0, v0, v1;

	;;#ASMEND
	;;#ASMSTART
	v_pk_add_f16 v0, v0, v2;

	;;#ASMEND
	;;#ASMSTART
	v_pk_add_f16 v0, v0, v3;

	;;#ASMEND
	v_and_b32_e32 v1, 0xffff, v0
	v_lshrrev_b32_e32 v0, 16, v0
	;;#ASMSTART
	v_cvt_f32_f16 v176, v1;
	;;#ASMEND
	;;#ASMSTART
	v_cvt_f32_f16 v177, v0;
	;;#ASMEND
	flat_load_b128 v[0:3], v[8:9] offset:2048
	s_and_saveexec_b32 s8, vcc_lo
	s_cbranch_execz .LBB130_41
; %bb.40:                               ;   in Loop: Header=BB130_31 Depth=1
	v_cmp_lt_i32_e64 s0, v161, v82
	s_waitcnt vmcnt(0) lgkmcnt(0)
	v_lshrrev_b32_e32 v178, 16, v3
	v_lshrrev_b32_e32 v179, 16, v2
	v_lshrrev_b32_e32 v180, 16, v1
	v_lshrrev_b32_e32 v181, 16, v0
	v_cndmask_b32_e64 v3, 0, v3, s0
	v_cmp_lt_i32_e64 s0, v160, v83
	s_delay_alu instid0(VALU_DEP_1) | instskip(SKIP_1) | instid1(VALU_DEP_2)
	v_cndmask_b32_e64 v178, 0, v178, s0
	v_cmp_lt_i32_e64 s0, v151, v21
	v_perm_b32 v3, v178, v3, 0x5040100
	s_delay_alu instid0(VALU_DEP_2) | instskip(SKIP_1) | instid1(VALU_DEP_1)
	v_cndmask_b32_e64 v179, 0, v179, s0
	v_cmp_lt_i32_e64 s0, v150, v81
	v_cndmask_b32_e64 v2, 0, v2, s0
	v_cmp_lt_i32_e64 s0, v149, v80
	s_delay_alu instid0(VALU_DEP_2) | instskip(NEXT) | instid1(VALU_DEP_2)
	v_perm_b32 v2, v179, v2, 0x5040100
	v_cndmask_b32_e64 v180, 0, v180, s0
	v_cmp_lt_i32_e64 s0, v148, v71
	s_delay_alu instid0(VALU_DEP_1) | instskip(SKIP_1) | instid1(VALU_DEP_2)
	v_cndmask_b32_e64 v1, 0, v1, s0
	v_cmp_lt_i32_e64 s0, v147, v70
	v_perm_b32 v1, v180, v1, 0x5040100
	s_delay_alu instid0(VALU_DEP_2) | instskip(SKIP_1) | instid1(VALU_DEP_1)
	v_cndmask_b32_e64 v181, 0, v181, s0
	v_cmp_lt_i32_e64 s0, v14, v107
	v_cndmask_b32_e64 v0, 0, v0, s0
	s_delay_alu instid0(VALU_DEP_1)
	v_perm_b32 v0, v181, v0, 0x5040100
.LBB130_41:                             ;   in Loop: Header=BB130_31 Depth=1
	s_or_b32 exec_lo, exec_lo, s8
	s_waitcnt vmcnt(0) lgkmcnt(0)
	;;#ASMSTART
	v_pk_mul_f16 v0, v145, v0;

	;;#ASMEND
	;;#ASMSTART
	v_pk_mul_f16 v1, v135, v1;

	;;#ASMEND
	;; [unrolled: 4-line block ×4, first 2 shown]
	;;#ASMSTART
	v_pk_add_f16 v0, v0, v1;

	;;#ASMEND
	;;#ASMSTART
	v_pk_add_f16 v0, v0, v2;

	;;#ASMEND
	;; [unrolled: 4-line block ×3, first 2 shown]
	v_and_b32_e32 v1, 0xffff, v0
	v_lshrrev_b32_e32 v0, 16, v0
	;;#ASMSTART
	v_cvt_f32_f16 v178, v1;
	;;#ASMEND
	;;#ASMSTART
	v_cvt_f32_f16 v179, v0;
	;;#ASMEND
	flat_load_b128 v[0:3], v[8:9] offset:2560
	s_and_saveexec_b32 s8, vcc_lo
	s_cbranch_execz .LBB130_43
; %bb.42:                               ;   in Loop: Header=BB130_31 Depth=1
	v_cmp_lt_i32_e64 s0, v161, v82
	s_waitcnt vmcnt(0) lgkmcnt(0)
	v_lshrrev_b32_e32 v180, 16, v3
	v_lshrrev_b32_e32 v181, 16, v2
	;; [unrolled: 1-line block ×4, first 2 shown]
	v_cndmask_b32_e64 v3, 0, v3, s0
	v_cmp_lt_i32_e64 s0, v160, v83
	s_delay_alu instid0(VALU_DEP_1) | instskip(SKIP_1) | instid1(VALU_DEP_2)
	v_cndmask_b32_e64 v180, 0, v180, s0
	v_cmp_lt_i32_e64 s0, v151, v21
	v_perm_b32 v3, v180, v3, 0x5040100
	s_delay_alu instid0(VALU_DEP_2) | instskip(SKIP_1) | instid1(VALU_DEP_1)
	v_cndmask_b32_e64 v181, 0, v181, s0
	v_cmp_lt_i32_e64 s0, v150, v81
	v_cndmask_b32_e64 v2, 0, v2, s0
	v_cmp_lt_i32_e64 s0, v149, v80
	s_delay_alu instid0(VALU_DEP_2) | instskip(NEXT) | instid1(VALU_DEP_2)
	v_perm_b32 v2, v181, v2, 0x5040100
	v_cndmask_b32_e64 v182, 0, v182, s0
	v_cmp_lt_i32_e64 s0, v148, v71
	s_delay_alu instid0(VALU_DEP_1) | instskip(SKIP_1) | instid1(VALU_DEP_2)
	v_cndmask_b32_e64 v1, 0, v1, s0
	v_cmp_lt_i32_e64 s0, v147, v70
	v_perm_b32 v1, v182, v1, 0x5040100
	s_delay_alu instid0(VALU_DEP_2) | instskip(SKIP_1) | instid1(VALU_DEP_1)
	v_cndmask_b32_e64 v183, 0, v183, s0
	v_cmp_lt_i32_e64 s0, v14, v107
	v_cndmask_b32_e64 v0, 0, v0, s0
	s_delay_alu instid0(VALU_DEP_1)
	v_perm_b32 v0, v183, v0, 0x5040100
.LBB130_43:                             ;   in Loop: Header=BB130_31 Depth=1
	s_or_b32 exec_lo, exec_lo, s8
	s_waitcnt vmcnt(0) lgkmcnt(0)
	;;#ASMSTART
	v_pk_mul_f16 v0, v145, v0;

	;;#ASMEND
	;;#ASMSTART
	v_pk_mul_f16 v1, v135, v1;

	;;#ASMEND
	;; [unrolled: 4-line block ×4, first 2 shown]
	;;#ASMSTART
	v_pk_add_f16 v0, v0, v1;

	;;#ASMEND
	;;#ASMSTART
	v_pk_add_f16 v0, v0, v2;

	;;#ASMEND
	;; [unrolled: 4-line block ×3, first 2 shown]
	v_and_b32_e32 v1, 0xffff, v0
	v_lshrrev_b32_e32 v0, 16, v0
	;;#ASMSTART
	v_cvt_f32_f16 v180, v1;
	;;#ASMEND
	;;#ASMSTART
	v_cvt_f32_f16 v181, v0;
	;;#ASMEND
	flat_load_b128 v[0:3], v[8:9] offset:3072
	s_and_saveexec_b32 s8, vcc_lo
	s_cbranch_execz .LBB130_45
; %bb.44:                               ;   in Loop: Header=BB130_31 Depth=1
	v_cmp_lt_i32_e64 s0, v161, v82
	s_waitcnt vmcnt(0) lgkmcnt(0)
	v_lshrrev_b32_e32 v182, 16, v3
	v_lshrrev_b32_e32 v183, 16, v2
	;; [unrolled: 1-line block ×4, first 2 shown]
	v_cndmask_b32_e64 v3, 0, v3, s0
	v_cmp_lt_i32_e64 s0, v160, v83
	s_delay_alu instid0(VALU_DEP_1) | instskip(SKIP_1) | instid1(VALU_DEP_2)
	v_cndmask_b32_e64 v182, 0, v182, s0
	v_cmp_lt_i32_e64 s0, v151, v21
	v_perm_b32 v3, v182, v3, 0x5040100
	s_delay_alu instid0(VALU_DEP_2) | instskip(SKIP_1) | instid1(VALU_DEP_1)
	v_cndmask_b32_e64 v183, 0, v183, s0
	v_cmp_lt_i32_e64 s0, v150, v81
	v_cndmask_b32_e64 v2, 0, v2, s0
	v_cmp_lt_i32_e64 s0, v149, v80
	s_delay_alu instid0(VALU_DEP_2) | instskip(NEXT) | instid1(VALU_DEP_2)
	v_perm_b32 v2, v183, v2, 0x5040100
	v_cndmask_b32_e64 v40, 0, v40, s0
	v_cmp_lt_i32_e64 s0, v148, v71
	s_delay_alu instid0(VALU_DEP_1) | instskip(SKIP_1) | instid1(VALU_DEP_2)
	v_cndmask_b32_e64 v1, 0, v1, s0
	v_cmp_lt_i32_e64 s0, v147, v70
	v_perm_b32 v1, v40, v1, 0x5040100
	s_delay_alu instid0(VALU_DEP_2) | instskip(SKIP_1) | instid1(VALU_DEP_1)
	v_cndmask_b32_e64 v41, 0, v41, s0
	v_cmp_lt_i32_e64 s0, v14, v107
	v_cndmask_b32_e64 v0, 0, v0, s0
	s_delay_alu instid0(VALU_DEP_1)
	v_perm_b32 v0, v41, v0, 0x5040100
.LBB130_45:                             ;   in Loop: Header=BB130_31 Depth=1
	s_or_b32 exec_lo, exec_lo, s8
	s_waitcnt vmcnt(0) lgkmcnt(0)
	;;#ASMSTART
	v_pk_mul_f16 v0, v145, v0;

	;;#ASMEND
	;;#ASMSTART
	v_pk_mul_f16 v1, v135, v1;

	;;#ASMEND
	;; [unrolled: 4-line block ×4, first 2 shown]
	;;#ASMSTART
	v_pk_add_f16 v0, v0, v1;

	;;#ASMEND
	;;#ASMSTART
	v_pk_add_f16 v0, v0, v2;

	;;#ASMEND
	;; [unrolled: 4-line block ×3, first 2 shown]
	v_and_b32_e32 v1, 0xffff, v0
	v_lshrrev_b32_e32 v0, 16, v0
	;;#ASMSTART
	v_cvt_f32_f16 v182, v1;
	;;#ASMEND
	;;#ASMSTART
	v_cvt_f32_f16 v183, v0;
	;;#ASMEND
	flat_load_b128 v[0:3], v[8:9] offset:3584
	s_and_saveexec_b32 s8, vcc_lo
	s_cbranch_execz .LBB130_47
; %bb.46:                               ;   in Loop: Header=BB130_31 Depth=1
	v_cmp_lt_i32_e64 s0, v161, v82
	s_waitcnt vmcnt(0) lgkmcnt(0)
	v_lshrrev_b32_e32 v8, 16, v3
	v_lshrrev_b32_e32 v9, 16, v2
	;; [unrolled: 1-line block ×4, first 2 shown]
	v_cndmask_b32_e64 v3, 0, v3, s0
	v_cmp_lt_i32_e64 s0, v160, v83
	s_delay_alu instid0(VALU_DEP_1) | instskip(SKIP_1) | instid1(VALU_DEP_2)
	v_cndmask_b32_e64 v8, 0, v8, s0
	v_cmp_lt_i32_e64 s0, v151, v21
	v_perm_b32 v3, v8, v3, 0x5040100
	s_delay_alu instid0(VALU_DEP_2) | instskip(SKIP_1) | instid1(VALU_DEP_1)
	v_cndmask_b32_e64 v9, 0, v9, s0
	v_cmp_lt_i32_e64 s0, v150, v81
	v_cndmask_b32_e64 v2, 0, v2, s0
	v_cmp_lt_i32_e64 s0, v149, v80
	s_delay_alu instid0(VALU_DEP_2) | instskip(NEXT) | instid1(VALU_DEP_2)
	v_perm_b32 v2, v9, v2, 0x5040100
	v_cndmask_b32_e64 v40, 0, v40, s0
	v_cmp_lt_i32_e64 s0, v148, v71
	s_delay_alu instid0(VALU_DEP_1) | instskip(SKIP_1) | instid1(VALU_DEP_2)
	v_cndmask_b32_e64 v1, 0, v1, s0
	v_cmp_lt_i32_e64 s0, v147, v70
	v_perm_b32 v1, v40, v1, 0x5040100
	s_delay_alu instid0(VALU_DEP_2) | instskip(SKIP_1) | instid1(VALU_DEP_1)
	v_cndmask_b32_e64 v41, 0, v41, s0
	v_cmp_lt_i32_e64 s0, v14, v107
	v_cndmask_b32_e64 v0, 0, v0, s0
	s_delay_alu instid0(VALU_DEP_1)
	v_perm_b32 v0, v41, v0, 0x5040100
.LBB130_47:                             ;   in Loop: Header=BB130_31 Depth=1
	s_or_b32 exec_lo, exec_lo, s8
	s_waitcnt vmcnt(0) lgkmcnt(0)
	;;#ASMSTART
	v_pk_mul_f16 v0, v145, v0;

	;;#ASMEND
	;;#ASMSTART
	v_pk_mul_f16 v1, v135, v1;

	;;#ASMEND
	;; [unrolled: 4-line block ×4, first 2 shown]
	;;#ASMSTART
	v_pk_add_f16 v0, v0, v1;

	;;#ASMEND
	;;#ASMSTART
	v_pk_add_f16 v0, v0, v2;

	;;#ASMEND
	;; [unrolled: 4-line block ×3, first 2 shown]
	v_lshrrev_b32_e32 v2, 16, v0
	v_and_b32_e32 v3, 0xffff, v0
	v_add_co_u32 v0, s0, v162, v85
	s_delay_alu instid0(VALU_DEP_1)
	v_add_co_ci_u32_e64 v1, s0, 0, v163, s0
	;;#ASMSTART
	v_cvt_f32_f16 v8, v3;
	;;#ASMEND
	;;#ASMSTART
	v_cvt_f32_f16 v9, v2;
	;;#ASMEND
	flat_load_b128 v[0:3], v[0:1]
	s_and_saveexec_b32 s8, vcc_lo
	s_cbranch_execz .LBB130_49
; %bb.48:                               ;   in Loop: Header=BB130_31 Depth=1
	v_cmp_lt_i32_e64 s0, v161, v82
	s_waitcnt vmcnt(0) lgkmcnt(0)
	v_lshrrev_b32_e32 v40, 16, v3
	v_lshrrev_b32_e32 v41, 16, v2
	;; [unrolled: 1-line block ×4, first 2 shown]
	v_cndmask_b32_e64 v3, 0, v3, s0
	v_cmp_lt_i32_e64 s0, v160, v83
	s_delay_alu instid0(VALU_DEP_1) | instskip(SKIP_1) | instid1(VALU_DEP_2)
	v_cndmask_b32_e64 v40, 0, v40, s0
	v_cmp_lt_i32_e64 s0, v151, v21
	v_perm_b32 v3, v40, v3, 0x5040100
	s_delay_alu instid0(VALU_DEP_2) | instskip(SKIP_1) | instid1(VALU_DEP_1)
	v_cndmask_b32_e64 v41, 0, v41, s0
	v_cmp_lt_i32_e64 s0, v150, v81
	v_cndmask_b32_e64 v2, 0, v2, s0
	v_cmp_lt_i32_e64 s0, v149, v80
	s_delay_alu instid0(VALU_DEP_2) | instskip(NEXT) | instid1(VALU_DEP_2)
	v_perm_b32 v2, v41, v2, 0x5040100
	v_cndmask_b32_e64 v42, 0, v42, s0
	v_cmp_lt_i32_e64 s0, v148, v71
	s_delay_alu instid0(VALU_DEP_1) | instskip(SKIP_1) | instid1(VALU_DEP_2)
	v_cndmask_b32_e64 v1, 0, v1, s0
	v_cmp_lt_i32_e64 s0, v147, v70
	v_perm_b32 v1, v42, v1, 0x5040100
	s_delay_alu instid0(VALU_DEP_2) | instskip(SKIP_1) | instid1(VALU_DEP_1)
	v_cndmask_b32_e64 v43, 0, v43, s0
	v_cmp_lt_i32_e64 s0, v14, v107
	v_cndmask_b32_e64 v0, 0, v0, s0
	s_delay_alu instid0(VALU_DEP_1)
	v_perm_b32 v0, v43, v0, 0x5040100
.LBB130_49:                             ;   in Loop: Header=BB130_31 Depth=1
	s_or_b32 exec_lo, exec_lo, s8
	s_waitcnt vmcnt(0) lgkmcnt(0)
	;;#ASMSTART
	v_pk_mul_f16 v0, v145, v0;

	;;#ASMEND
	;;#ASMSTART
	v_pk_mul_f16 v1, v135, v1;

	;;#ASMEND
	;;#ASMSTART
	v_pk_mul_f16 v2, v134, v2;

	;;#ASMEND
	;;#ASMSTART
	v_pk_mul_f16 v3, v133, v3;

	;;#ASMEND
	;;#ASMSTART
	v_pk_add_f16 v0, v0, v1;

	;;#ASMEND
	;;#ASMSTART
	v_pk_add_f16 v0, v0, v2;

	;;#ASMEND
	;; [unrolled: 4-line block ×3, first 2 shown]
	v_lshrrev_b32_e32 v2, 16, v0
	v_and_b32_e32 v3, 0xffff, v0
	v_add_co_u32 v0, s0, v162, v86
	s_delay_alu instid0(VALU_DEP_1)
	v_add_co_ci_u32_e64 v1, s0, 0, v163, s0
	;;#ASMSTART
	v_cvt_f32_f16 v40, v3;
	;;#ASMEND
	;;#ASMSTART
	v_cvt_f32_f16 v41, v2;
	;;#ASMEND
	flat_load_b128 v[0:3], v[0:1]
	s_and_saveexec_b32 s8, vcc_lo
	s_cbranch_execz .LBB130_51
; %bb.50:                               ;   in Loop: Header=BB130_31 Depth=1
	v_cmp_lt_i32_e64 s0, v161, v82
	s_waitcnt vmcnt(0) lgkmcnt(0)
	v_lshrrev_b32_e32 v42, 16, v3
	v_lshrrev_b32_e32 v43, 16, v2
	;; [unrolled: 1-line block ×4, first 2 shown]
	v_cndmask_b32_e64 v3, 0, v3, s0
	v_cmp_lt_i32_e64 s0, v160, v83
	s_delay_alu instid0(VALU_DEP_1) | instskip(SKIP_1) | instid1(VALU_DEP_2)
	v_cndmask_b32_e64 v42, 0, v42, s0
	v_cmp_lt_i32_e64 s0, v151, v21
	v_perm_b32 v3, v42, v3, 0x5040100
	s_delay_alu instid0(VALU_DEP_2) | instskip(SKIP_1) | instid1(VALU_DEP_1)
	v_cndmask_b32_e64 v43, 0, v43, s0
	v_cmp_lt_i32_e64 s0, v150, v81
	v_cndmask_b32_e64 v2, 0, v2, s0
	v_cmp_lt_i32_e64 s0, v149, v80
	s_delay_alu instid0(VALU_DEP_2) | instskip(NEXT) | instid1(VALU_DEP_2)
	v_perm_b32 v2, v43, v2, 0x5040100
	v_cndmask_b32_e64 v44, 0, v44, s0
	v_cmp_lt_i32_e64 s0, v148, v71
	s_delay_alu instid0(VALU_DEP_1) | instskip(SKIP_1) | instid1(VALU_DEP_2)
	v_cndmask_b32_e64 v1, 0, v1, s0
	v_cmp_lt_i32_e64 s0, v147, v70
	v_perm_b32 v1, v44, v1, 0x5040100
	s_delay_alu instid0(VALU_DEP_2) | instskip(SKIP_1) | instid1(VALU_DEP_1)
	v_cndmask_b32_e64 v45, 0, v45, s0
	v_cmp_lt_i32_e64 s0, v14, v107
	v_cndmask_b32_e64 v0, 0, v0, s0
	s_delay_alu instid0(VALU_DEP_1)
	v_perm_b32 v0, v45, v0, 0x5040100
.LBB130_51:                             ;   in Loop: Header=BB130_31 Depth=1
	s_or_b32 exec_lo, exec_lo, s8
	s_waitcnt vmcnt(0) lgkmcnt(0)
	;;#ASMSTART
	v_pk_mul_f16 v0, v145, v0;

	;;#ASMEND
	;;#ASMSTART
	v_pk_mul_f16 v1, v135, v1;

	;;#ASMEND
	;; [unrolled: 4-line block ×4, first 2 shown]
	;;#ASMSTART
	v_pk_add_f16 v0, v0, v1;

	;;#ASMEND
	;;#ASMSTART
	v_pk_add_f16 v0, v0, v2;

	;;#ASMEND
	;; [unrolled: 4-line block ×3, first 2 shown]
	v_lshrrev_b32_e32 v2, 16, v0
	v_and_b32_e32 v3, 0xffff, v0
	v_add_co_u32 v0, s0, v162, v87
	s_delay_alu instid0(VALU_DEP_1)
	v_add_co_ci_u32_e64 v1, s0, 0, v163, s0
	;;#ASMSTART
	v_cvt_f32_f16 v42, v3;
	;;#ASMEND
	;;#ASMSTART
	v_cvt_f32_f16 v43, v2;
	;;#ASMEND
	flat_load_b128 v[0:3], v[0:1]
	s_and_saveexec_b32 s8, vcc_lo
	s_cbranch_execz .LBB130_53
; %bb.52:                               ;   in Loop: Header=BB130_31 Depth=1
	v_cmp_lt_i32_e64 s0, v161, v82
	s_waitcnt vmcnt(0) lgkmcnt(0)
	v_lshrrev_b32_e32 v44, 16, v3
	v_lshrrev_b32_e32 v45, 16, v2
	;; [unrolled: 1-line block ×4, first 2 shown]
	v_cndmask_b32_e64 v3, 0, v3, s0
	v_cmp_lt_i32_e64 s0, v160, v83
	s_delay_alu instid0(VALU_DEP_1) | instskip(SKIP_1) | instid1(VALU_DEP_2)
	v_cndmask_b32_e64 v44, 0, v44, s0
	v_cmp_lt_i32_e64 s0, v151, v21
	v_perm_b32 v3, v44, v3, 0x5040100
	s_delay_alu instid0(VALU_DEP_2) | instskip(SKIP_1) | instid1(VALU_DEP_1)
	v_cndmask_b32_e64 v45, 0, v45, s0
	v_cmp_lt_i32_e64 s0, v150, v81
	v_cndmask_b32_e64 v2, 0, v2, s0
	v_cmp_lt_i32_e64 s0, v149, v80
	s_delay_alu instid0(VALU_DEP_2) | instskip(NEXT) | instid1(VALU_DEP_2)
	v_perm_b32 v2, v45, v2, 0x5040100
	v_cndmask_b32_e64 v46, 0, v46, s0
	v_cmp_lt_i32_e64 s0, v148, v71
	s_delay_alu instid0(VALU_DEP_1) | instskip(SKIP_1) | instid1(VALU_DEP_2)
	v_cndmask_b32_e64 v1, 0, v1, s0
	v_cmp_lt_i32_e64 s0, v147, v70
	v_perm_b32 v1, v46, v1, 0x5040100
	s_delay_alu instid0(VALU_DEP_2) | instskip(SKIP_1) | instid1(VALU_DEP_1)
	v_cndmask_b32_e64 v56, 0, v56, s0
	v_cmp_lt_i32_e64 s0, v14, v107
	v_cndmask_b32_e64 v0, 0, v0, s0
	s_delay_alu instid0(VALU_DEP_1)
	v_perm_b32 v0, v56, v0, 0x5040100
.LBB130_53:                             ;   in Loop: Header=BB130_31 Depth=1
	s_or_b32 exec_lo, exec_lo, s8
	s_waitcnt vmcnt(0) lgkmcnt(0)
	;;#ASMSTART
	v_pk_mul_f16 v0, v145, v0;

	;;#ASMEND
	;;#ASMSTART
	v_pk_mul_f16 v1, v135, v1;

	;;#ASMEND
	;; [unrolled: 4-line block ×4, first 2 shown]
	;;#ASMSTART
	v_pk_add_f16 v0, v0, v1;

	;;#ASMEND
	;;#ASMSTART
	v_pk_add_f16 v0, v0, v2;

	;;#ASMEND
	;; [unrolled: 4-line block ×3, first 2 shown]
	v_lshrrev_b32_e32 v2, 16, v0
	v_and_b32_e32 v3, 0xffff, v0
	v_add_co_u32 v0, s0, v162, v96
	s_delay_alu instid0(VALU_DEP_1)
	v_add_co_ci_u32_e64 v1, s0, 0, v163, s0
	;;#ASMSTART
	v_cvt_f32_f16 v44, v3;
	;;#ASMEND
	;;#ASMSTART
	v_cvt_f32_f16 v45, v2;
	;;#ASMEND
	flat_load_b128 v[0:3], v[0:1]
	s_and_saveexec_b32 s8, vcc_lo
	s_cbranch_execz .LBB130_55
; %bb.54:                               ;   in Loop: Header=BB130_31 Depth=1
	v_cmp_lt_i32_e64 s0, v161, v82
	s_waitcnt vmcnt(0) lgkmcnt(0)
	v_lshrrev_b32_e32 v46, 16, v3
	v_lshrrev_b32_e32 v56, 16, v2
	;; [unrolled: 1-line block ×4, first 2 shown]
	v_cndmask_b32_e64 v3, 0, v3, s0
	v_cmp_lt_i32_e64 s0, v160, v83
	s_delay_alu instid0(VALU_DEP_1) | instskip(SKIP_1) | instid1(VALU_DEP_2)
	v_cndmask_b32_e64 v46, 0, v46, s0
	v_cmp_lt_i32_e64 s0, v151, v21
	v_perm_b32 v3, v46, v3, 0x5040100
	s_delay_alu instid0(VALU_DEP_2) | instskip(SKIP_1) | instid1(VALU_DEP_1)
	v_cndmask_b32_e64 v56, 0, v56, s0
	v_cmp_lt_i32_e64 s0, v150, v81
	v_cndmask_b32_e64 v2, 0, v2, s0
	v_cmp_lt_i32_e64 s0, v149, v80
	s_delay_alu instid0(VALU_DEP_2) | instskip(NEXT) | instid1(VALU_DEP_2)
	v_perm_b32 v2, v56, v2, 0x5040100
	v_cndmask_b32_e64 v57, 0, v57, s0
	v_cmp_lt_i32_e64 s0, v148, v71
	s_delay_alu instid0(VALU_DEP_1) | instskip(SKIP_1) | instid1(VALU_DEP_2)
	v_cndmask_b32_e64 v1, 0, v1, s0
	v_cmp_lt_i32_e64 s0, v147, v70
	v_perm_b32 v1, v57, v1, 0x5040100
	s_delay_alu instid0(VALU_DEP_2) | instskip(SKIP_1) | instid1(VALU_DEP_1)
	v_cndmask_b32_e64 v58, 0, v58, s0
	v_cmp_lt_i32_e64 s0, v14, v107
	v_cndmask_b32_e64 v0, 0, v0, s0
	s_delay_alu instid0(VALU_DEP_1)
	v_perm_b32 v0, v58, v0, 0x5040100
.LBB130_55:                             ;   in Loop: Header=BB130_31 Depth=1
	s_or_b32 exec_lo, exec_lo, s8
	s_waitcnt vmcnt(0) lgkmcnt(0)
	;;#ASMSTART
	v_pk_mul_f16 v0, v145, v0;

	;;#ASMEND
	;;#ASMSTART
	v_pk_mul_f16 v1, v135, v1;

	;;#ASMEND
	;; [unrolled: 4-line block ×4, first 2 shown]
	;;#ASMSTART
	v_pk_add_f16 v0, v0, v1;

	;;#ASMEND
	;;#ASMSTART
	v_pk_add_f16 v0, v0, v2;

	;;#ASMEND
	;; [unrolled: 4-line block ×3, first 2 shown]
	v_lshrrev_b32_e32 v2, 16, v0
	v_and_b32_e32 v3, 0xffff, v0
	v_add_co_u32 v0, s0, v162, v97
	s_delay_alu instid0(VALU_DEP_1)
	v_add_co_ci_u32_e64 v1, s0, 0, v163, s0
	;;#ASMSTART
	v_cvt_f32_f16 v46, v3;
	;;#ASMEND
	;;#ASMSTART
	v_cvt_f32_f16 v56, v2;
	;;#ASMEND
	flat_load_b128 v[0:3], v[0:1]
	s_and_saveexec_b32 s8, vcc_lo
	s_cbranch_execz .LBB130_57
; %bb.56:                               ;   in Loop: Header=BB130_31 Depth=1
	v_cmp_lt_i32_e64 s0, v161, v82
	s_waitcnt vmcnt(0) lgkmcnt(0)
	v_lshrrev_b32_e32 v57, 16, v3
	v_lshrrev_b32_e32 v58, 16, v2
	;; [unrolled: 1-line block ×4, first 2 shown]
	v_cndmask_b32_e64 v3, 0, v3, s0
	v_cmp_lt_i32_e64 s0, v160, v83
	s_delay_alu instid0(VALU_DEP_1) | instskip(SKIP_1) | instid1(VALU_DEP_2)
	v_cndmask_b32_e64 v57, 0, v57, s0
	v_cmp_lt_i32_e64 s0, v151, v21
	v_perm_b32 v3, v57, v3, 0x5040100
	s_delay_alu instid0(VALU_DEP_2) | instskip(SKIP_1) | instid1(VALU_DEP_1)
	v_cndmask_b32_e64 v58, 0, v58, s0
	v_cmp_lt_i32_e64 s0, v150, v81
	v_cndmask_b32_e64 v2, 0, v2, s0
	v_cmp_lt_i32_e64 s0, v149, v80
	s_delay_alu instid0(VALU_DEP_2) | instskip(NEXT) | instid1(VALU_DEP_2)
	v_perm_b32 v2, v58, v2, 0x5040100
	v_cndmask_b32_e64 v59, 0, v59, s0
	v_cmp_lt_i32_e64 s0, v148, v71
	s_delay_alu instid0(VALU_DEP_1) | instskip(SKIP_1) | instid1(VALU_DEP_2)
	v_cndmask_b32_e64 v1, 0, v1, s0
	v_cmp_lt_i32_e64 s0, v147, v70
	v_perm_b32 v1, v59, v1, 0x5040100
	s_delay_alu instid0(VALU_DEP_2) | instskip(SKIP_1) | instid1(VALU_DEP_1)
	v_cndmask_b32_e64 v60, 0, v60, s0
	v_cmp_lt_i32_e64 s0, v14, v107
	v_cndmask_b32_e64 v0, 0, v0, s0
	s_delay_alu instid0(VALU_DEP_1)
	v_perm_b32 v0, v60, v0, 0x5040100
.LBB130_57:                             ;   in Loop: Header=BB130_31 Depth=1
	s_or_b32 exec_lo, exec_lo, s8
	s_waitcnt vmcnt(0) lgkmcnt(0)
	;;#ASMSTART
	v_pk_mul_f16 v0, v145, v0;

	;;#ASMEND
	;;#ASMSTART
	v_pk_mul_f16 v1, v135, v1;

	;;#ASMEND
	;; [unrolled: 4-line block ×4, first 2 shown]
	;;#ASMSTART
	v_pk_add_f16 v0, v0, v1;

	;;#ASMEND
	;;#ASMSTART
	v_pk_add_f16 v0, v0, v2;

	;;#ASMEND
	;; [unrolled: 4-line block ×3, first 2 shown]
	v_lshrrev_b32_e32 v2, 16, v0
	v_and_b32_e32 v3, 0xffff, v0
	v_add_co_u32 v0, s0, v162, v98
	s_delay_alu instid0(VALU_DEP_1)
	v_add_co_ci_u32_e64 v1, s0, 0, v163, s0
	;;#ASMSTART
	v_cvt_f32_f16 v57, v3;
	;;#ASMEND
	;;#ASMSTART
	v_cvt_f32_f16 v58, v2;
	;;#ASMEND
	flat_load_b128 v[0:3], v[0:1]
	s_and_saveexec_b32 s8, vcc_lo
	s_cbranch_execz .LBB130_59
; %bb.58:                               ;   in Loop: Header=BB130_31 Depth=1
	v_cmp_lt_i32_e64 s0, v161, v82
	s_waitcnt vmcnt(0) lgkmcnt(0)
	v_lshrrev_b32_e32 v59, 16, v3
	v_lshrrev_b32_e32 v60, 16, v2
	;; [unrolled: 1-line block ×4, first 2 shown]
	v_cndmask_b32_e64 v3, 0, v3, s0
	v_cmp_lt_i32_e64 s0, v160, v83
	s_delay_alu instid0(VALU_DEP_1) | instskip(SKIP_1) | instid1(VALU_DEP_2)
	v_cndmask_b32_e64 v59, 0, v59, s0
	v_cmp_lt_i32_e64 s0, v151, v21
	v_perm_b32 v3, v59, v3, 0x5040100
	s_delay_alu instid0(VALU_DEP_2) | instskip(SKIP_1) | instid1(VALU_DEP_1)
	v_cndmask_b32_e64 v60, 0, v60, s0
	v_cmp_lt_i32_e64 s0, v150, v81
	v_cndmask_b32_e64 v2, 0, v2, s0
	v_cmp_lt_i32_e64 s0, v149, v80
	s_delay_alu instid0(VALU_DEP_2) | instskip(NEXT) | instid1(VALU_DEP_2)
	v_perm_b32 v2, v60, v2, 0x5040100
	v_cndmask_b32_e64 v61, 0, v61, s0
	v_cmp_lt_i32_e64 s0, v148, v71
	s_delay_alu instid0(VALU_DEP_1) | instskip(SKIP_1) | instid1(VALU_DEP_2)
	v_cndmask_b32_e64 v1, 0, v1, s0
	v_cmp_lt_i32_e64 s0, v147, v70
	v_perm_b32 v1, v61, v1, 0x5040100
	s_delay_alu instid0(VALU_DEP_2) | instskip(SKIP_1) | instid1(VALU_DEP_1)
	v_cndmask_b32_e64 v62, 0, v62, s0
	v_cmp_lt_i32_e64 s0, v14, v107
	v_cndmask_b32_e64 v0, 0, v0, s0
	s_delay_alu instid0(VALU_DEP_1)
	v_perm_b32 v0, v62, v0, 0x5040100
.LBB130_59:                             ;   in Loop: Header=BB130_31 Depth=1
	s_or_b32 exec_lo, exec_lo, s8
	s_waitcnt vmcnt(0) lgkmcnt(0)
	;;#ASMSTART
	v_pk_mul_f16 v0, v145, v0;

	;;#ASMEND
	;;#ASMSTART
	v_pk_mul_f16 v1, v135, v1;

	;;#ASMEND
	;; [unrolled: 4-line block ×4, first 2 shown]
	;;#ASMSTART
	v_pk_add_f16 v0, v0, v1;

	;;#ASMEND
	;;#ASMSTART
	v_pk_add_f16 v0, v0, v2;

	;;#ASMEND
	;; [unrolled: 4-line block ×3, first 2 shown]
	v_lshrrev_b32_e32 v2, 16, v0
	v_and_b32_e32 v3, 0xffff, v0
	v_add_co_u32 v0, s0, v162, v99
	s_delay_alu instid0(VALU_DEP_1)
	v_add_co_ci_u32_e64 v1, s0, 0, v163, s0
	;;#ASMSTART
	v_cvt_f32_f16 v59, v3;
	;;#ASMEND
	;;#ASMSTART
	v_cvt_f32_f16 v60, v2;
	;;#ASMEND
	flat_load_b128 v[0:3], v[0:1]
	s_and_saveexec_b32 s8, vcc_lo
	s_cbranch_execz .LBB130_61
; %bb.60:                               ;   in Loop: Header=BB130_31 Depth=1
	v_cmp_lt_i32_e64 s0, v161, v82
	s_waitcnt vmcnt(0) lgkmcnt(0)
	v_lshrrev_b32_e32 v61, 16, v3
	v_lshrrev_b32_e32 v62, 16, v2
	;; [unrolled: 1-line block ×4, first 2 shown]
	v_cndmask_b32_e64 v3, 0, v3, s0
	v_cmp_lt_i32_e64 s0, v160, v83
	s_delay_alu instid0(VALU_DEP_1) | instskip(SKIP_1) | instid1(VALU_DEP_2)
	v_cndmask_b32_e64 v61, 0, v61, s0
	v_cmp_lt_i32_e64 s0, v151, v21
	v_perm_b32 v3, v61, v3, 0x5040100
	s_delay_alu instid0(VALU_DEP_2) | instskip(SKIP_1) | instid1(VALU_DEP_1)
	v_cndmask_b32_e64 v62, 0, v62, s0
	v_cmp_lt_i32_e64 s0, v150, v81
	v_cndmask_b32_e64 v2, 0, v2, s0
	v_cmp_lt_i32_e64 s0, v149, v80
	s_delay_alu instid0(VALU_DEP_2) | instskip(NEXT) | instid1(VALU_DEP_2)
	v_perm_b32 v2, v62, v2, 0x5040100
	v_cndmask_b32_e64 v63, 0, v63, s0
	v_cmp_lt_i32_e64 s0, v148, v71
	s_delay_alu instid0(VALU_DEP_1) | instskip(SKIP_1) | instid1(VALU_DEP_2)
	v_cndmask_b32_e64 v1, 0, v1, s0
	v_cmp_lt_i32_e64 s0, v147, v70
	v_perm_b32 v1, v63, v1, 0x5040100
	s_delay_alu instid0(VALU_DEP_2) | instskip(SKIP_1) | instid1(VALU_DEP_1)
	v_cndmask_b32_e64 v72, 0, v72, s0
	v_cmp_lt_i32_e64 s0, v14, v107
	v_cndmask_b32_e64 v0, 0, v0, s0
	s_delay_alu instid0(VALU_DEP_1)
	v_perm_b32 v0, v72, v0, 0x5040100
.LBB130_61:                             ;   in Loop: Header=BB130_31 Depth=1
	s_or_b32 exec_lo, exec_lo, s8
	s_waitcnt vmcnt(0) lgkmcnt(0)
	;;#ASMSTART
	v_pk_mul_f16 v0, v145, v0;

	;;#ASMEND
	;;#ASMSTART
	v_pk_mul_f16 v1, v135, v1;

	;;#ASMEND
	;; [unrolled: 4-line block ×4, first 2 shown]
	;;#ASMSTART
	v_pk_add_f16 v0, v0, v1;

	;;#ASMEND
	;;#ASMSTART
	v_pk_add_f16 v0, v0, v2;

	;;#ASMEND
	;; [unrolled: 4-line block ×3, first 2 shown]
	v_lshrrev_b32_e32 v2, 16, v0
	v_and_b32_e32 v3, 0xffff, v0
	v_add_co_u32 v0, s0, v162, v100
	s_delay_alu instid0(VALU_DEP_1)
	v_add_co_ci_u32_e64 v1, s0, 0, v163, s0
	;;#ASMSTART
	v_cvt_f32_f16 v61, v3;
	;;#ASMEND
	;;#ASMSTART
	v_cvt_f32_f16 v62, v2;
	;;#ASMEND
	flat_load_b128 v[0:3], v[0:1]
	s_and_saveexec_b32 s8, vcc_lo
	s_cbranch_execz .LBB130_63
; %bb.62:                               ;   in Loop: Header=BB130_31 Depth=1
	v_cmp_lt_i32_e64 s0, v161, v82
	s_waitcnt vmcnt(0) lgkmcnt(0)
	v_lshrrev_b32_e32 v63, 16, v3
	v_lshrrev_b32_e32 v72, 16, v2
	;; [unrolled: 1-line block ×4, first 2 shown]
	v_cndmask_b32_e64 v3, 0, v3, s0
	v_cmp_lt_i32_e64 s0, v160, v83
	s_delay_alu instid0(VALU_DEP_1) | instskip(SKIP_1) | instid1(VALU_DEP_2)
	v_cndmask_b32_e64 v63, 0, v63, s0
	v_cmp_lt_i32_e64 s0, v151, v21
	v_perm_b32 v3, v63, v3, 0x5040100
	s_delay_alu instid0(VALU_DEP_2) | instskip(SKIP_1) | instid1(VALU_DEP_1)
	v_cndmask_b32_e64 v72, 0, v72, s0
	v_cmp_lt_i32_e64 s0, v150, v81
	v_cndmask_b32_e64 v2, 0, v2, s0
	v_cmp_lt_i32_e64 s0, v149, v80
	s_delay_alu instid0(VALU_DEP_2) | instskip(NEXT) | instid1(VALU_DEP_2)
	v_perm_b32 v2, v72, v2, 0x5040100
	v_cndmask_b32_e64 v73, 0, v73, s0
	v_cmp_lt_i32_e64 s0, v148, v71
	s_delay_alu instid0(VALU_DEP_1) | instskip(SKIP_1) | instid1(VALU_DEP_2)
	v_cndmask_b32_e64 v1, 0, v1, s0
	v_cmp_lt_i32_e64 s0, v147, v70
	v_perm_b32 v1, v73, v1, 0x5040100
	s_delay_alu instid0(VALU_DEP_2) | instskip(SKIP_1) | instid1(VALU_DEP_1)
	v_cndmask_b32_e64 v74, 0, v74, s0
	v_cmp_lt_i32_e64 s0, v14, v107
	v_cndmask_b32_e64 v0, 0, v0, s0
	s_delay_alu instid0(VALU_DEP_1)
	v_perm_b32 v0, v74, v0, 0x5040100
.LBB130_63:                             ;   in Loop: Header=BB130_31 Depth=1
	s_or_b32 exec_lo, exec_lo, s8
	s_waitcnt vmcnt(0) lgkmcnt(0)
	;;#ASMSTART
	v_pk_mul_f16 v0, v145, v0;

	;;#ASMEND
	;;#ASMSTART
	v_pk_mul_f16 v1, v135, v1;

	;;#ASMEND
	;; [unrolled: 4-line block ×4, first 2 shown]
	;;#ASMSTART
	v_pk_add_f16 v0, v0, v1;

	;;#ASMEND
	;;#ASMSTART
	v_pk_add_f16 v0, v0, v2;

	;;#ASMEND
	;;#ASMSTART
	v_pk_add_f16 v0, v0, v3;

	;;#ASMEND
	v_lshrrev_b32_e32 v2, 16, v0
	v_and_b32_e32 v3, 0xffff, v0
	v_add_co_u32 v0, s0, v162, v101
	s_delay_alu instid0(VALU_DEP_1)
	v_add_co_ci_u32_e64 v1, s0, 0, v163, s0
	;;#ASMSTART
	v_cvt_f32_f16 v63, v3;
	;;#ASMEND
	;;#ASMSTART
	v_cvt_f32_f16 v72, v2;
	;;#ASMEND
	flat_load_b128 v[0:3], v[0:1]
	s_and_saveexec_b32 s8, vcc_lo
	s_cbranch_execz .LBB130_65
; %bb.64:                               ;   in Loop: Header=BB130_31 Depth=1
	v_cmp_lt_i32_e64 s0, v161, v82
	s_waitcnt vmcnt(0) lgkmcnt(0)
	v_lshrrev_b32_e32 v73, 16, v3
	v_lshrrev_b32_e32 v74, 16, v2
	v_lshrrev_b32_e32 v75, 16, v1
	v_lshrrev_b32_e32 v76, 16, v0
	v_cndmask_b32_e64 v3, 0, v3, s0
	v_cmp_lt_i32_e64 s0, v160, v83
	s_delay_alu instid0(VALU_DEP_1) | instskip(SKIP_1) | instid1(VALU_DEP_2)
	v_cndmask_b32_e64 v73, 0, v73, s0
	v_cmp_lt_i32_e64 s0, v151, v21
	v_perm_b32 v3, v73, v3, 0x5040100
	s_delay_alu instid0(VALU_DEP_2) | instskip(SKIP_1) | instid1(VALU_DEP_1)
	v_cndmask_b32_e64 v74, 0, v74, s0
	v_cmp_lt_i32_e64 s0, v150, v81
	v_cndmask_b32_e64 v2, 0, v2, s0
	v_cmp_lt_i32_e64 s0, v149, v80
	s_delay_alu instid0(VALU_DEP_2) | instskip(NEXT) | instid1(VALU_DEP_2)
	v_perm_b32 v2, v74, v2, 0x5040100
	v_cndmask_b32_e64 v75, 0, v75, s0
	v_cmp_lt_i32_e64 s0, v148, v71
	s_delay_alu instid0(VALU_DEP_1) | instskip(SKIP_1) | instid1(VALU_DEP_2)
	v_cndmask_b32_e64 v1, 0, v1, s0
	v_cmp_lt_i32_e64 s0, v147, v70
	v_perm_b32 v1, v75, v1, 0x5040100
	s_delay_alu instid0(VALU_DEP_2) | instskip(SKIP_1) | instid1(VALU_DEP_1)
	v_cndmask_b32_e64 v76, 0, v76, s0
	v_cmp_lt_i32_e64 s0, v14, v107
	v_cndmask_b32_e64 v0, 0, v0, s0
	s_delay_alu instid0(VALU_DEP_1)
	v_perm_b32 v0, v76, v0, 0x5040100
.LBB130_65:                             ;   in Loop: Header=BB130_31 Depth=1
	s_or_b32 exec_lo, exec_lo, s8
	s_waitcnt vmcnt(0) lgkmcnt(0)
	;;#ASMSTART
	v_pk_mul_f16 v0, v145, v0;

	;;#ASMEND
	;;#ASMSTART
	v_pk_mul_f16 v1, v135, v1;

	;;#ASMEND
	;; [unrolled: 4-line block ×4, first 2 shown]
	;;#ASMSTART
	v_pk_add_f16 v0, v0, v1;

	;;#ASMEND
	;;#ASMSTART
	v_pk_add_f16 v0, v0, v2;

	;;#ASMEND
	;; [unrolled: 4-line block ×3, first 2 shown]
	v_lshrrev_b32_e32 v2, 16, v0
	v_and_b32_e32 v3, 0xffff, v0
	v_add_co_u32 v0, s0, v162, v102
	s_delay_alu instid0(VALU_DEP_1)
	v_add_co_ci_u32_e64 v1, s0, 0, v163, s0
	;;#ASMSTART
	v_cvt_f32_f16 v73, v3;
	;;#ASMEND
	;;#ASMSTART
	v_cvt_f32_f16 v74, v2;
	;;#ASMEND
	flat_load_b128 v[0:3], v[0:1]
	s_and_saveexec_b32 s8, vcc_lo
	s_cbranch_execz .LBB130_67
; %bb.66:                               ;   in Loop: Header=BB130_31 Depth=1
	v_cmp_lt_i32_e64 s0, v161, v82
	s_waitcnt vmcnt(0) lgkmcnt(0)
	v_lshrrev_b32_e32 v75, 16, v3
	v_lshrrev_b32_e32 v76, 16, v2
	v_lshrrev_b32_e32 v77, 16, v1
	v_lshrrev_b32_e32 v78, 16, v0
	v_cndmask_b32_e64 v3, 0, v3, s0
	v_cmp_lt_i32_e64 s0, v160, v83
	s_delay_alu instid0(VALU_DEP_1) | instskip(SKIP_1) | instid1(VALU_DEP_2)
	v_cndmask_b32_e64 v75, 0, v75, s0
	v_cmp_lt_i32_e64 s0, v151, v21
	v_perm_b32 v3, v75, v3, 0x5040100
	s_delay_alu instid0(VALU_DEP_2) | instskip(SKIP_1) | instid1(VALU_DEP_1)
	v_cndmask_b32_e64 v76, 0, v76, s0
	v_cmp_lt_i32_e64 s0, v150, v81
	v_cndmask_b32_e64 v2, 0, v2, s0
	v_cmp_lt_i32_e64 s0, v149, v80
	s_delay_alu instid0(VALU_DEP_2) | instskip(NEXT) | instid1(VALU_DEP_2)
	v_perm_b32 v2, v76, v2, 0x5040100
	v_cndmask_b32_e64 v77, 0, v77, s0
	v_cmp_lt_i32_e64 s0, v148, v71
	s_delay_alu instid0(VALU_DEP_1) | instskip(SKIP_1) | instid1(VALU_DEP_2)
	v_cndmask_b32_e64 v1, 0, v1, s0
	v_cmp_lt_i32_e64 s0, v147, v70
	v_perm_b32 v1, v77, v1, 0x5040100
	s_delay_alu instid0(VALU_DEP_2) | instskip(SKIP_1) | instid1(VALU_DEP_1)
	v_cndmask_b32_e64 v78, 0, v78, s0
	v_cmp_lt_i32_e64 s0, v14, v107
	v_cndmask_b32_e64 v0, 0, v0, s0
	s_delay_alu instid0(VALU_DEP_1)
	v_perm_b32 v0, v78, v0, 0x5040100
.LBB130_67:                             ;   in Loop: Header=BB130_31 Depth=1
	s_or_b32 exec_lo, exec_lo, s8
	s_waitcnt vmcnt(0) lgkmcnt(0)
	;;#ASMSTART
	v_pk_mul_f16 v0, v145, v0;

	;;#ASMEND
	;;#ASMSTART
	v_pk_mul_f16 v1, v135, v1;

	;;#ASMEND
	;; [unrolled: 4-line block ×4, first 2 shown]
	;;#ASMSTART
	v_pk_add_f16 v0, v0, v1;

	;;#ASMEND
	;;#ASMSTART
	v_pk_add_f16 v0, v0, v2;

	;;#ASMEND
	;; [unrolled: 4-line block ×3, first 2 shown]
	v_lshrrev_b32_e32 v2, 16, v0
	v_and_b32_e32 v3, 0xffff, v0
	v_add_co_u32 v0, s0, v162, v103
	s_delay_alu instid0(VALU_DEP_1)
	v_add_co_ci_u32_e64 v1, s0, 0, v163, s0
	;;#ASMSTART
	v_cvt_f32_f16 v75, v3;
	;;#ASMEND
	;;#ASMSTART
	v_cvt_f32_f16 v76, v2;
	;;#ASMEND
	flat_load_b128 v[0:3], v[0:1]
	s_and_saveexec_b32 s8, vcc_lo
	s_cbranch_execz .LBB130_69
; %bb.68:                               ;   in Loop: Header=BB130_31 Depth=1
	v_cmp_lt_i32_e64 s0, v161, v82
	s_waitcnt vmcnt(0) lgkmcnt(0)
	v_lshrrev_b32_e32 v77, 16, v3
	v_lshrrev_b32_e32 v78, 16, v2
	;; [unrolled: 1-line block ×4, first 2 shown]
	v_cndmask_b32_e64 v3, 0, v3, s0
	v_cmp_lt_i32_e64 s0, v160, v83
	s_delay_alu instid0(VALU_DEP_1) | instskip(SKIP_1) | instid1(VALU_DEP_2)
	v_cndmask_b32_e64 v77, 0, v77, s0
	v_cmp_lt_i32_e64 s0, v151, v21
	v_perm_b32 v3, v77, v3, 0x5040100
	s_delay_alu instid0(VALU_DEP_2) | instskip(SKIP_1) | instid1(VALU_DEP_1)
	v_cndmask_b32_e64 v78, 0, v78, s0
	v_cmp_lt_i32_e64 s0, v150, v81
	v_cndmask_b32_e64 v2, 0, v2, s0
	v_cmp_lt_i32_e64 s0, v149, v80
	s_delay_alu instid0(VALU_DEP_2) | instskip(NEXT) | instid1(VALU_DEP_2)
	v_perm_b32 v2, v78, v2, 0x5040100
	v_cndmask_b32_e64 v79, 0, v79, s0
	v_cmp_lt_i32_e64 s0, v148, v71
	s_delay_alu instid0(VALU_DEP_1) | instskip(SKIP_1) | instid1(VALU_DEP_2)
	v_cndmask_b32_e64 v1, 0, v1, s0
	v_cmp_lt_i32_e64 s0, v147, v70
	v_perm_b32 v1, v79, v1, 0x5040100
	s_delay_alu instid0(VALU_DEP_2) | instskip(SKIP_1) | instid1(VALU_DEP_1)
	v_cndmask_b32_e64 v88, 0, v88, s0
	v_cmp_lt_i32_e64 s0, v14, v107
	v_cndmask_b32_e64 v0, 0, v0, s0
	s_delay_alu instid0(VALU_DEP_1)
	v_perm_b32 v0, v88, v0, 0x5040100
.LBB130_69:                             ;   in Loop: Header=BB130_31 Depth=1
	s_or_b32 exec_lo, exec_lo, s8
	s_waitcnt vmcnt(0) lgkmcnt(0)
	;;#ASMSTART
	v_pk_mul_f16 v0, v145, v0;

	;;#ASMEND
	;;#ASMSTART
	v_pk_mul_f16 v1, v135, v1;

	;;#ASMEND
	;;#ASMSTART
	v_pk_mul_f16 v2, v134, v2;

	;;#ASMEND
	;;#ASMSTART
	v_pk_mul_f16 v3, v133, v3;

	;;#ASMEND
	;;#ASMSTART
	v_pk_add_f16 v0, v0, v1;

	;;#ASMEND
	;;#ASMSTART
	v_pk_add_f16 v0, v0, v2;

	;;#ASMEND
	;; [unrolled: 4-line block ×3, first 2 shown]
	v_lshrrev_b32_e32 v2, 16, v0
	v_and_b32_e32 v3, 0xffff, v0
	v_add_co_u32 v0, s0, v162, v112
	s_delay_alu instid0(VALU_DEP_1)
	v_add_co_ci_u32_e64 v1, s0, 0, v163, s0
	;;#ASMSTART
	v_cvt_f32_f16 v77, v3;
	;;#ASMEND
	;;#ASMSTART
	v_cvt_f32_f16 v78, v2;
	;;#ASMEND
	flat_load_b128 v[0:3], v[0:1]
	s_and_saveexec_b32 s8, vcc_lo
	s_cbranch_execz .LBB130_71
; %bb.70:                               ;   in Loop: Header=BB130_31 Depth=1
	v_cmp_lt_i32_e64 s0, v161, v82
	s_waitcnt vmcnt(0) lgkmcnt(0)
	v_lshrrev_b32_e32 v79, 16, v3
	v_lshrrev_b32_e32 v88, 16, v2
	;; [unrolled: 1-line block ×4, first 2 shown]
	v_cndmask_b32_e64 v3, 0, v3, s0
	v_cmp_lt_i32_e64 s0, v160, v83
	s_delay_alu instid0(VALU_DEP_1) | instskip(SKIP_1) | instid1(VALU_DEP_2)
	v_cndmask_b32_e64 v79, 0, v79, s0
	v_cmp_lt_i32_e64 s0, v151, v21
	v_perm_b32 v3, v79, v3, 0x5040100
	s_delay_alu instid0(VALU_DEP_2) | instskip(SKIP_1) | instid1(VALU_DEP_1)
	v_cndmask_b32_e64 v88, 0, v88, s0
	v_cmp_lt_i32_e64 s0, v150, v81
	v_cndmask_b32_e64 v2, 0, v2, s0
	v_cmp_lt_i32_e64 s0, v149, v80
	s_delay_alu instid0(VALU_DEP_2) | instskip(NEXT) | instid1(VALU_DEP_2)
	v_perm_b32 v2, v88, v2, 0x5040100
	v_cndmask_b32_e64 v89, 0, v89, s0
	v_cmp_lt_i32_e64 s0, v148, v71
	s_delay_alu instid0(VALU_DEP_1) | instskip(SKIP_1) | instid1(VALU_DEP_2)
	v_cndmask_b32_e64 v1, 0, v1, s0
	v_cmp_lt_i32_e64 s0, v147, v70
	v_perm_b32 v1, v89, v1, 0x5040100
	s_delay_alu instid0(VALU_DEP_2) | instskip(SKIP_1) | instid1(VALU_DEP_1)
	v_cndmask_b32_e64 v90, 0, v90, s0
	v_cmp_lt_i32_e64 s0, v14, v107
	v_cndmask_b32_e64 v0, 0, v0, s0
	s_delay_alu instid0(VALU_DEP_1)
	v_perm_b32 v0, v90, v0, 0x5040100
.LBB130_71:                             ;   in Loop: Header=BB130_31 Depth=1
	s_or_b32 exec_lo, exec_lo, s8
	s_waitcnt vmcnt(0) lgkmcnt(0)
	;;#ASMSTART
	v_pk_mul_f16 v0, v145, v0;

	;;#ASMEND
	;;#ASMSTART
	v_pk_mul_f16 v1, v135, v1;

	;;#ASMEND
	;; [unrolled: 4-line block ×4, first 2 shown]
	;;#ASMSTART
	v_pk_add_f16 v0, v0, v1;

	;;#ASMEND
	;;#ASMSTART
	v_pk_add_f16 v0, v0, v2;

	;;#ASMEND
	;; [unrolled: 4-line block ×3, first 2 shown]
	v_lshrrev_b32_e32 v2, 16, v0
	v_and_b32_e32 v3, 0xffff, v0
	v_add_co_u32 v0, s0, v162, v113
	s_delay_alu instid0(VALU_DEP_1)
	v_add_co_ci_u32_e64 v1, s0, 0, v163, s0
	;;#ASMSTART
	v_cvt_f32_f16 v79, v3;
	;;#ASMEND
	;;#ASMSTART
	v_cvt_f32_f16 v88, v2;
	;;#ASMEND
	flat_load_b128 v[0:3], v[0:1]
	s_and_saveexec_b32 s8, vcc_lo
	s_cbranch_execz .LBB130_73
; %bb.72:                               ;   in Loop: Header=BB130_31 Depth=1
	v_cmp_lt_i32_e64 s0, v161, v82
	s_waitcnt vmcnt(0) lgkmcnt(0)
	v_lshrrev_b32_e32 v89, 16, v3
	v_lshrrev_b32_e32 v90, 16, v2
	;; [unrolled: 1-line block ×4, first 2 shown]
	v_cndmask_b32_e64 v3, 0, v3, s0
	v_cmp_lt_i32_e64 s0, v160, v83
	s_delay_alu instid0(VALU_DEP_1) | instskip(SKIP_1) | instid1(VALU_DEP_2)
	v_cndmask_b32_e64 v89, 0, v89, s0
	v_cmp_lt_i32_e64 s0, v151, v21
	v_perm_b32 v3, v89, v3, 0x5040100
	s_delay_alu instid0(VALU_DEP_2) | instskip(SKIP_1) | instid1(VALU_DEP_1)
	v_cndmask_b32_e64 v90, 0, v90, s0
	v_cmp_lt_i32_e64 s0, v150, v81
	v_cndmask_b32_e64 v2, 0, v2, s0
	v_cmp_lt_i32_e64 s0, v149, v80
	s_delay_alu instid0(VALU_DEP_2) | instskip(NEXT) | instid1(VALU_DEP_2)
	v_perm_b32 v2, v90, v2, 0x5040100
	v_cndmask_b32_e64 v91, 0, v91, s0
	v_cmp_lt_i32_e64 s0, v148, v71
	s_delay_alu instid0(VALU_DEP_1) | instskip(SKIP_1) | instid1(VALU_DEP_2)
	v_cndmask_b32_e64 v1, 0, v1, s0
	v_cmp_lt_i32_e64 s0, v147, v70
	v_perm_b32 v1, v91, v1, 0x5040100
	s_delay_alu instid0(VALU_DEP_2) | instskip(SKIP_1) | instid1(VALU_DEP_1)
	v_cndmask_b32_e64 v92, 0, v92, s0
	v_cmp_lt_i32_e64 s0, v14, v107
	v_cndmask_b32_e64 v0, 0, v0, s0
	s_delay_alu instid0(VALU_DEP_1)
	v_perm_b32 v0, v92, v0, 0x5040100
.LBB130_73:                             ;   in Loop: Header=BB130_31 Depth=1
	s_or_b32 exec_lo, exec_lo, s8
	s_waitcnt vmcnt(0) lgkmcnt(0)
	;;#ASMSTART
	v_pk_mul_f16 v0, v145, v0;

	;;#ASMEND
	;;#ASMSTART
	v_pk_mul_f16 v1, v135, v1;

	;;#ASMEND
	;; [unrolled: 4-line block ×4, first 2 shown]
	;;#ASMSTART
	v_pk_add_f16 v0, v0, v1;

	;;#ASMEND
	;;#ASMSTART
	v_pk_add_f16 v0, v0, v2;

	;;#ASMEND
	;; [unrolled: 4-line block ×3, first 2 shown]
	v_lshrrev_b32_e32 v2, 16, v0
	v_and_b32_e32 v3, 0xffff, v0
	v_add_co_u32 v0, s0, v162, v114
	s_delay_alu instid0(VALU_DEP_1)
	v_add_co_ci_u32_e64 v1, s0, 0, v163, s0
	;;#ASMSTART
	v_cvt_f32_f16 v89, v3;
	;;#ASMEND
	;;#ASMSTART
	v_cvt_f32_f16 v90, v2;
	;;#ASMEND
	flat_load_b128 v[0:3], v[0:1]
	s_and_saveexec_b32 s8, vcc_lo
	s_cbranch_execz .LBB130_75
; %bb.74:                               ;   in Loop: Header=BB130_31 Depth=1
	v_cmp_lt_i32_e64 s0, v161, v82
	s_waitcnt vmcnt(0) lgkmcnt(0)
	v_lshrrev_b32_e32 v91, 16, v3
	v_lshrrev_b32_e32 v92, 16, v2
	;; [unrolled: 1-line block ×4, first 2 shown]
	v_cndmask_b32_e64 v3, 0, v3, s0
	v_cmp_lt_i32_e64 s0, v160, v83
	s_delay_alu instid0(VALU_DEP_1) | instskip(SKIP_1) | instid1(VALU_DEP_2)
	v_cndmask_b32_e64 v91, 0, v91, s0
	v_cmp_lt_i32_e64 s0, v151, v21
	v_perm_b32 v3, v91, v3, 0x5040100
	s_delay_alu instid0(VALU_DEP_2) | instskip(SKIP_1) | instid1(VALU_DEP_1)
	v_cndmask_b32_e64 v92, 0, v92, s0
	v_cmp_lt_i32_e64 s0, v150, v81
	v_cndmask_b32_e64 v2, 0, v2, s0
	v_cmp_lt_i32_e64 s0, v149, v80
	s_delay_alu instid0(VALU_DEP_2) | instskip(NEXT) | instid1(VALU_DEP_2)
	v_perm_b32 v2, v92, v2, 0x5040100
	v_cndmask_b32_e64 v93, 0, v93, s0
	v_cmp_lt_i32_e64 s0, v148, v71
	s_delay_alu instid0(VALU_DEP_1) | instskip(SKIP_1) | instid1(VALU_DEP_2)
	v_cndmask_b32_e64 v1, 0, v1, s0
	v_cmp_lt_i32_e64 s0, v147, v70
	v_perm_b32 v1, v93, v1, 0x5040100
	s_delay_alu instid0(VALU_DEP_2) | instskip(SKIP_1) | instid1(VALU_DEP_1)
	v_cndmask_b32_e64 v94, 0, v94, s0
	v_cmp_lt_i32_e64 s0, v14, v107
	v_cndmask_b32_e64 v0, 0, v0, s0
	s_delay_alu instid0(VALU_DEP_1)
	v_perm_b32 v0, v94, v0, 0x5040100
.LBB130_75:                             ;   in Loop: Header=BB130_31 Depth=1
	s_or_b32 exec_lo, exec_lo, s8
	s_waitcnt vmcnt(0) lgkmcnt(0)
	;;#ASMSTART
	v_pk_mul_f16 v0, v145, v0;

	;;#ASMEND
	;;#ASMSTART
	v_pk_mul_f16 v1, v135, v1;

	;;#ASMEND
	;; [unrolled: 4-line block ×4, first 2 shown]
	;;#ASMSTART
	v_pk_add_f16 v0, v0, v1;

	;;#ASMEND
	;;#ASMSTART
	v_pk_add_f16 v0, v0, v2;

	;;#ASMEND
	;; [unrolled: 4-line block ×3, first 2 shown]
	v_lshrrev_b32_e32 v2, 16, v0
	v_and_b32_e32 v3, 0xffff, v0
	v_add_co_u32 v0, s0, v162, v115
	s_delay_alu instid0(VALU_DEP_1)
	v_add_co_ci_u32_e64 v1, s0, 0, v163, s0
	;;#ASMSTART
	v_cvt_f32_f16 v91, v3;
	;;#ASMEND
	;;#ASMSTART
	v_cvt_f32_f16 v92, v2;
	;;#ASMEND
	flat_load_b128 v[0:3], v[0:1]
	s_and_saveexec_b32 s8, vcc_lo
	s_cbranch_execz .LBB130_77
; %bb.76:                               ;   in Loop: Header=BB130_31 Depth=1
	v_cmp_lt_i32_e64 s0, v161, v82
	s_waitcnt vmcnt(0) lgkmcnt(0)
	v_lshrrev_b32_e32 v93, 16, v3
	v_lshrrev_b32_e32 v94, 16, v2
	;; [unrolled: 1-line block ×4, first 2 shown]
	v_cndmask_b32_e64 v3, 0, v3, s0
	v_cmp_lt_i32_e64 s0, v160, v83
	s_delay_alu instid0(VALU_DEP_1) | instskip(SKIP_1) | instid1(VALU_DEP_2)
	v_cndmask_b32_e64 v93, 0, v93, s0
	v_cmp_lt_i32_e64 s0, v151, v21
	v_perm_b32 v3, v93, v3, 0x5040100
	s_delay_alu instid0(VALU_DEP_2) | instskip(SKIP_1) | instid1(VALU_DEP_1)
	v_cndmask_b32_e64 v94, 0, v94, s0
	v_cmp_lt_i32_e64 s0, v150, v81
	v_cndmask_b32_e64 v2, 0, v2, s0
	v_cmp_lt_i32_e64 s0, v149, v80
	s_delay_alu instid0(VALU_DEP_2) | instskip(NEXT) | instid1(VALU_DEP_2)
	v_perm_b32 v2, v94, v2, 0x5040100
	v_cndmask_b32_e64 v95, 0, v95, s0
	v_cmp_lt_i32_e64 s0, v148, v71
	s_delay_alu instid0(VALU_DEP_1) | instskip(SKIP_1) | instid1(VALU_DEP_2)
	v_cndmask_b32_e64 v1, 0, v1, s0
	v_cmp_lt_i32_e64 s0, v147, v70
	v_perm_b32 v1, v95, v1, 0x5040100
	s_delay_alu instid0(VALU_DEP_2) | instskip(SKIP_1) | instid1(VALU_DEP_1)
	v_cndmask_b32_e64 v104, 0, v104, s0
	v_cmp_lt_i32_e64 s0, v14, v107
	v_cndmask_b32_e64 v0, 0, v0, s0
	s_delay_alu instid0(VALU_DEP_1)
	v_perm_b32 v0, v104, v0, 0x5040100
.LBB130_77:                             ;   in Loop: Header=BB130_31 Depth=1
	s_or_b32 exec_lo, exec_lo, s8
	s_waitcnt vmcnt(0) lgkmcnt(0)
	;;#ASMSTART
	v_pk_mul_f16 v0, v145, v0;

	;;#ASMEND
	;;#ASMSTART
	v_pk_mul_f16 v1, v135, v1;

	;;#ASMEND
	;; [unrolled: 4-line block ×4, first 2 shown]
	;;#ASMSTART
	v_pk_add_f16 v0, v0, v1;

	;;#ASMEND
	;;#ASMSTART
	v_pk_add_f16 v0, v0, v2;

	;;#ASMEND
	;; [unrolled: 4-line block ×3, first 2 shown]
	v_lshrrev_b32_e32 v2, 16, v0
	v_and_b32_e32 v3, 0xffff, v0
	v_add_co_u32 v0, s0, v162, v116
	s_delay_alu instid0(VALU_DEP_1)
	v_add_co_ci_u32_e64 v1, s0, 0, v163, s0
	;;#ASMSTART
	v_cvt_f32_f16 v93, v3;
	;;#ASMEND
	;;#ASMSTART
	v_cvt_f32_f16 v94, v2;
	;;#ASMEND
	flat_load_b128 v[0:3], v[0:1]
	s_and_saveexec_b32 s8, vcc_lo
	s_cbranch_execz .LBB130_79
; %bb.78:                               ;   in Loop: Header=BB130_31 Depth=1
	v_cmp_lt_i32_e64 s0, v161, v82
	s_waitcnt vmcnt(0) lgkmcnt(0)
	v_lshrrev_b32_e32 v95, 16, v3
	v_lshrrev_b32_e32 v104, 16, v2
	;; [unrolled: 1-line block ×4, first 2 shown]
	v_cndmask_b32_e64 v3, 0, v3, s0
	v_cmp_lt_i32_e64 s0, v160, v83
	s_delay_alu instid0(VALU_DEP_1) | instskip(SKIP_1) | instid1(VALU_DEP_2)
	v_cndmask_b32_e64 v95, 0, v95, s0
	v_cmp_lt_i32_e64 s0, v151, v21
	v_perm_b32 v3, v95, v3, 0x5040100
	s_delay_alu instid0(VALU_DEP_2) | instskip(SKIP_1) | instid1(VALU_DEP_1)
	v_cndmask_b32_e64 v104, 0, v104, s0
	v_cmp_lt_i32_e64 s0, v150, v81
	v_cndmask_b32_e64 v2, 0, v2, s0
	v_cmp_lt_i32_e64 s0, v149, v80
	s_delay_alu instid0(VALU_DEP_2) | instskip(NEXT) | instid1(VALU_DEP_2)
	v_perm_b32 v2, v104, v2, 0x5040100
	v_cndmask_b32_e64 v105, 0, v105, s0
	v_cmp_lt_i32_e64 s0, v148, v71
	s_delay_alu instid0(VALU_DEP_1) | instskip(SKIP_1) | instid1(VALU_DEP_2)
	v_cndmask_b32_e64 v1, 0, v1, s0
	v_cmp_lt_i32_e64 s0, v147, v70
	v_perm_b32 v1, v105, v1, 0x5040100
	s_delay_alu instid0(VALU_DEP_2) | instskip(SKIP_1) | instid1(VALU_DEP_1)
	v_cndmask_b32_e64 v109, 0, v109, s0
	v_cmp_lt_i32_e64 s0, v14, v107
	v_cndmask_b32_e64 v0, 0, v0, s0
	s_delay_alu instid0(VALU_DEP_1)
	v_perm_b32 v0, v109, v0, 0x5040100
.LBB130_79:                             ;   in Loop: Header=BB130_31 Depth=1
	s_or_b32 exec_lo, exec_lo, s8
	s_waitcnt vmcnt(0) lgkmcnt(0)
	;;#ASMSTART
	v_pk_mul_f16 v0, v145, v0;

	;;#ASMEND
	;;#ASMSTART
	v_pk_mul_f16 v1, v135, v1;

	;;#ASMEND
	;; [unrolled: 4-line block ×4, first 2 shown]
	;;#ASMSTART
	v_pk_add_f16 v0, v0, v1;

	;;#ASMEND
	;;#ASMSTART
	v_pk_add_f16 v0, v0, v2;

	;;#ASMEND
	;;#ASMSTART
	v_pk_add_f16 v0, v0, v3;

	;;#ASMEND
	v_lshrrev_b32_e32 v2, 16, v0
	v_and_b32_e32 v3, 0xffff, v0
	v_add_co_u32 v0, s0, v162, v117
	s_delay_alu instid0(VALU_DEP_1)
	v_add_co_ci_u32_e64 v1, s0, 0, v163, s0
	;;#ASMSTART
	v_cvt_f32_f16 v95, v3;
	;;#ASMEND
	;;#ASMSTART
	v_cvt_f32_f16 v104, v2;
	;;#ASMEND
	flat_load_b128 v[0:3], v[0:1]
	s_and_saveexec_b32 s8, vcc_lo
	s_cbranch_execz .LBB130_81
; %bb.80:                               ;   in Loop: Header=BB130_31 Depth=1
	v_cmp_lt_i32_e64 s0, v161, v82
	s_waitcnt vmcnt(0) lgkmcnt(0)
	v_lshrrev_b32_e32 v105, 16, v3
	v_lshrrev_b32_e32 v109, 16, v2
	;; [unrolled: 1-line block ×4, first 2 shown]
	v_cndmask_b32_e64 v3, 0, v3, s0
	v_cmp_lt_i32_e64 s0, v160, v83
	s_delay_alu instid0(VALU_DEP_1) | instskip(SKIP_1) | instid1(VALU_DEP_2)
	v_cndmask_b32_e64 v105, 0, v105, s0
	v_cmp_lt_i32_e64 s0, v151, v21
	v_perm_b32 v3, v105, v3, 0x5040100
	s_delay_alu instid0(VALU_DEP_2) | instskip(SKIP_1) | instid1(VALU_DEP_1)
	v_cndmask_b32_e64 v109, 0, v109, s0
	v_cmp_lt_i32_e64 s0, v150, v81
	v_cndmask_b32_e64 v2, 0, v2, s0
	v_cmp_lt_i32_e64 s0, v149, v80
	s_delay_alu instid0(VALU_DEP_2) | instskip(NEXT) | instid1(VALU_DEP_2)
	v_perm_b32 v2, v109, v2, 0x5040100
	v_cndmask_b32_e64 v110, 0, v110, s0
	v_cmp_lt_i32_e64 s0, v148, v71
	s_delay_alu instid0(VALU_DEP_1) | instskip(SKIP_1) | instid1(VALU_DEP_2)
	v_cndmask_b32_e64 v1, 0, v1, s0
	v_cmp_lt_i32_e64 s0, v147, v70
	v_perm_b32 v1, v110, v1, 0x5040100
	s_delay_alu instid0(VALU_DEP_2) | instskip(SKIP_1) | instid1(VALU_DEP_1)
	v_cndmask_b32_e64 v111, 0, v111, s0
	v_cmp_lt_i32_e64 s0, v14, v107
	v_cndmask_b32_e64 v0, 0, v0, s0
	s_delay_alu instid0(VALU_DEP_1)
	v_perm_b32 v0, v111, v0, 0x5040100
.LBB130_81:                             ;   in Loop: Header=BB130_31 Depth=1
	s_or_b32 exec_lo, exec_lo, s8
	s_waitcnt vmcnt(0) lgkmcnt(0)
	;;#ASMSTART
	v_pk_mul_f16 v0, v145, v0;

	;;#ASMEND
	;;#ASMSTART
	v_pk_mul_f16 v1, v135, v1;

	;;#ASMEND
	;; [unrolled: 4-line block ×4, first 2 shown]
	;;#ASMSTART
	v_pk_add_f16 v0, v0, v1;

	;;#ASMEND
	;;#ASMSTART
	v_pk_add_f16 v0, v0, v2;

	;;#ASMEND
	;; [unrolled: 4-line block ×3, first 2 shown]
	v_lshrrev_b32_e32 v2, 16, v0
	v_and_b32_e32 v3, 0xffff, v0
	v_add_co_u32 v0, s0, v162, v118
	s_delay_alu instid0(VALU_DEP_1)
	v_add_co_ci_u32_e64 v1, s0, 0, v163, s0
	;;#ASMSTART
	v_cvt_f32_f16 v105, v3;
	;;#ASMEND
	;;#ASMSTART
	v_cvt_f32_f16 v109, v2;
	;;#ASMEND
	flat_load_b128 v[0:3], v[0:1]
	s_and_saveexec_b32 s8, vcc_lo
	s_cbranch_execz .LBB130_83
; %bb.82:                               ;   in Loop: Header=BB130_31 Depth=1
	v_cmp_lt_i32_e64 s0, v161, v82
	s_waitcnt vmcnt(0) lgkmcnt(0)
	v_lshrrev_b32_e32 v110, 16, v3
	v_lshrrev_b32_e32 v111, 16, v2
	;; [unrolled: 1-line block ×4, first 2 shown]
	v_cndmask_b32_e64 v3, 0, v3, s0
	v_cmp_lt_i32_e64 s0, v160, v83
	s_delay_alu instid0(VALU_DEP_1) | instskip(SKIP_1) | instid1(VALU_DEP_2)
	v_cndmask_b32_e64 v110, 0, v110, s0
	v_cmp_lt_i32_e64 s0, v151, v21
	v_perm_b32 v3, v110, v3, 0x5040100
	s_delay_alu instid0(VALU_DEP_2) | instskip(SKIP_1) | instid1(VALU_DEP_1)
	v_cndmask_b32_e64 v111, 0, v111, s0
	v_cmp_lt_i32_e64 s0, v150, v81
	v_cndmask_b32_e64 v2, 0, v2, s0
	v_cmp_lt_i32_e64 s0, v149, v80
	s_delay_alu instid0(VALU_DEP_2) | instskip(NEXT) | instid1(VALU_DEP_2)
	v_perm_b32 v2, v111, v2, 0x5040100
	v_cndmask_b32_e64 v120, 0, v120, s0
	v_cmp_lt_i32_e64 s0, v148, v71
	s_delay_alu instid0(VALU_DEP_1) | instskip(SKIP_1) | instid1(VALU_DEP_2)
	v_cndmask_b32_e64 v1, 0, v1, s0
	v_cmp_lt_i32_e64 s0, v147, v70
	v_perm_b32 v1, v120, v1, 0x5040100
	s_delay_alu instid0(VALU_DEP_2) | instskip(SKIP_1) | instid1(VALU_DEP_1)
	v_cndmask_b32_e64 v121, 0, v121, s0
	v_cmp_lt_i32_e64 s0, v14, v107
	v_cndmask_b32_e64 v0, 0, v0, s0
	s_delay_alu instid0(VALU_DEP_1)
	v_perm_b32 v0, v121, v0, 0x5040100
.LBB130_83:                             ;   in Loop: Header=BB130_31 Depth=1
	s_or_b32 exec_lo, exec_lo, s8
	s_waitcnt vmcnt(0) lgkmcnt(0)
	;;#ASMSTART
	v_pk_mul_f16 v0, v145, v0;

	;;#ASMEND
	;;#ASMSTART
	v_pk_mul_f16 v1, v135, v1;

	;;#ASMEND
	;; [unrolled: 4-line block ×4, first 2 shown]
	;;#ASMSTART
	v_pk_add_f16 v0, v0, v1;

	;;#ASMEND
	;;#ASMSTART
	v_pk_add_f16 v0, v0, v2;

	;;#ASMEND
	;; [unrolled: 4-line block ×3, first 2 shown]
	v_lshrrev_b32_e32 v2, 16, v0
	v_and_b32_e32 v3, 0xffff, v0
	v_add_co_u32 v0, s0, v162, v119
	s_delay_alu instid0(VALU_DEP_1)
	v_add_co_ci_u32_e64 v1, s0, 0, v163, s0
	;;#ASMSTART
	v_cvt_f32_f16 v110, v3;
	;;#ASMEND
	;;#ASMSTART
	v_cvt_f32_f16 v111, v2;
	;;#ASMEND
	flat_load_b128 v[0:3], v[0:1]
	s_and_saveexec_b32 s8, vcc_lo
	s_cbranch_execz .LBB130_85
; %bb.84:                               ;   in Loop: Header=BB130_31 Depth=1
	v_cmp_lt_i32_e64 s0, v161, v82
	s_waitcnt vmcnt(0) lgkmcnt(0)
	v_lshrrev_b32_e32 v120, 16, v3
	v_lshrrev_b32_e32 v121, 16, v2
	;; [unrolled: 1-line block ×4, first 2 shown]
	v_cndmask_b32_e64 v3, 0, v3, s0
	v_cmp_lt_i32_e64 s0, v160, v83
	s_delay_alu instid0(VALU_DEP_1) | instskip(SKIP_1) | instid1(VALU_DEP_2)
	v_cndmask_b32_e64 v120, 0, v120, s0
	v_cmp_lt_i32_e64 s0, v151, v21
	v_perm_b32 v3, v120, v3, 0x5040100
	s_delay_alu instid0(VALU_DEP_2) | instskip(SKIP_1) | instid1(VALU_DEP_1)
	v_cndmask_b32_e64 v121, 0, v121, s0
	v_cmp_lt_i32_e64 s0, v150, v81
	v_cndmask_b32_e64 v2, 0, v2, s0
	v_cmp_lt_i32_e64 s0, v149, v80
	s_delay_alu instid0(VALU_DEP_2) | instskip(NEXT) | instid1(VALU_DEP_2)
	v_perm_b32 v2, v121, v2, 0x5040100
	v_cndmask_b32_e64 v122, 0, v122, s0
	v_cmp_lt_i32_e64 s0, v148, v71
	s_delay_alu instid0(VALU_DEP_1) | instskip(SKIP_1) | instid1(VALU_DEP_2)
	v_cndmask_b32_e64 v1, 0, v1, s0
	v_cmp_lt_i32_e64 s0, v147, v70
	v_perm_b32 v1, v122, v1, 0x5040100
	s_delay_alu instid0(VALU_DEP_2) | instskip(SKIP_1) | instid1(VALU_DEP_1)
	v_cndmask_b32_e64 v123, 0, v123, s0
	v_cmp_lt_i32_e64 s0, v14, v107
	v_cndmask_b32_e64 v0, 0, v0, s0
	s_delay_alu instid0(VALU_DEP_1)
	v_perm_b32 v0, v123, v0, 0x5040100
.LBB130_85:                             ;   in Loop: Header=BB130_31 Depth=1
	s_or_b32 exec_lo, exec_lo, s8
	s_waitcnt vmcnt(0) lgkmcnt(0)
	;;#ASMSTART
	v_pk_mul_f16 v0, v145, v0;

	;;#ASMEND
	;;#ASMSTART
	v_pk_mul_f16 v1, v135, v1;

	;;#ASMEND
	;; [unrolled: 4-line block ×4, first 2 shown]
	;;#ASMSTART
	v_pk_add_f16 v0, v0, v1;

	;;#ASMEND
	;;#ASMSTART
	v_pk_add_f16 v0, v0, v2;

	;;#ASMEND
	;; [unrolled: 4-line block ×3, first 2 shown]
	v_lshrrev_b32_e32 v2, 16, v0
	v_and_b32_e32 v3, 0xffff, v0
	v_add_co_u32 v0, s0, v162, v128
	s_delay_alu instid0(VALU_DEP_1)
	v_add_co_ci_u32_e64 v1, s0, 0, v163, s0
	;;#ASMSTART
	v_cvt_f32_f16 v120, v3;
	;;#ASMEND
	;;#ASMSTART
	v_cvt_f32_f16 v121, v2;
	;;#ASMEND
	flat_load_b128 v[0:3], v[0:1]
	s_and_saveexec_b32 s8, vcc_lo
	s_cbranch_execz .LBB130_87
; %bb.86:                               ;   in Loop: Header=BB130_31 Depth=1
	v_cmp_lt_i32_e64 s0, v161, v82
	s_waitcnt vmcnt(0) lgkmcnt(0)
	v_lshrrev_b32_e32 v122, 16, v3
	v_lshrrev_b32_e32 v123, 16, v2
	;; [unrolled: 1-line block ×4, first 2 shown]
	v_cndmask_b32_e64 v3, 0, v3, s0
	v_cmp_lt_i32_e64 s0, v160, v83
	s_delay_alu instid0(VALU_DEP_1) | instskip(SKIP_1) | instid1(VALU_DEP_2)
	v_cndmask_b32_e64 v122, 0, v122, s0
	v_cmp_lt_i32_e64 s0, v151, v21
	v_perm_b32 v3, v122, v3, 0x5040100
	s_delay_alu instid0(VALU_DEP_2) | instskip(SKIP_1) | instid1(VALU_DEP_1)
	v_cndmask_b32_e64 v123, 0, v123, s0
	v_cmp_lt_i32_e64 s0, v150, v81
	v_cndmask_b32_e64 v2, 0, v2, s0
	v_cmp_lt_i32_e64 s0, v149, v80
	s_delay_alu instid0(VALU_DEP_2) | instskip(NEXT) | instid1(VALU_DEP_2)
	v_perm_b32 v2, v123, v2, 0x5040100
	v_cndmask_b32_e64 v124, 0, v124, s0
	v_cmp_lt_i32_e64 s0, v148, v71
	s_delay_alu instid0(VALU_DEP_1) | instskip(SKIP_1) | instid1(VALU_DEP_2)
	v_cndmask_b32_e64 v1, 0, v1, s0
	v_cmp_lt_i32_e64 s0, v147, v70
	v_perm_b32 v1, v124, v1, 0x5040100
	s_delay_alu instid0(VALU_DEP_2) | instskip(SKIP_1) | instid1(VALU_DEP_1)
	v_cndmask_b32_e64 v125, 0, v125, s0
	v_cmp_lt_i32_e64 s0, v14, v107
	v_cndmask_b32_e64 v0, 0, v0, s0
	s_delay_alu instid0(VALU_DEP_1)
	v_perm_b32 v0, v125, v0, 0x5040100
.LBB130_87:                             ;   in Loop: Header=BB130_31 Depth=1
	s_or_b32 exec_lo, exec_lo, s8
	s_waitcnt vmcnt(0) lgkmcnt(0)
	;;#ASMSTART
	v_pk_mul_f16 v0, v145, v0;

	;;#ASMEND
	;;#ASMSTART
	v_pk_mul_f16 v1, v135, v1;

	;;#ASMEND
	;; [unrolled: 4-line block ×4, first 2 shown]
	;;#ASMSTART
	v_pk_add_f16 v0, v0, v1;

	;;#ASMEND
	;;#ASMSTART
	v_pk_add_f16 v0, v0, v2;

	;;#ASMEND
	;; [unrolled: 4-line block ×3, first 2 shown]
	v_lshrrev_b32_e32 v2, 16, v0
	v_and_b32_e32 v3, 0xffff, v0
	v_add_co_u32 v0, s0, v162, v129
	s_delay_alu instid0(VALU_DEP_1)
	v_add_co_ci_u32_e64 v1, s0, 0, v163, s0
	;;#ASMSTART
	v_cvt_f32_f16 v122, v3;
	;;#ASMEND
	;;#ASMSTART
	v_cvt_f32_f16 v123, v2;
	;;#ASMEND
	flat_load_b128 v[0:3], v[0:1]
	s_and_saveexec_b32 s8, vcc_lo
	s_cbranch_execz .LBB130_89
; %bb.88:                               ;   in Loop: Header=BB130_31 Depth=1
	v_cmp_lt_i32_e64 s0, v161, v82
	s_waitcnt vmcnt(0) lgkmcnt(0)
	v_lshrrev_b32_e32 v124, 16, v3
	v_lshrrev_b32_e32 v125, 16, v2
	;; [unrolled: 1-line block ×4, first 2 shown]
	v_cndmask_b32_e64 v3, 0, v3, s0
	v_cmp_lt_i32_e64 s0, v160, v83
	s_delay_alu instid0(VALU_DEP_1) | instskip(SKIP_1) | instid1(VALU_DEP_2)
	v_cndmask_b32_e64 v124, 0, v124, s0
	v_cmp_lt_i32_e64 s0, v151, v21
	v_perm_b32 v3, v124, v3, 0x5040100
	s_delay_alu instid0(VALU_DEP_2) | instskip(SKIP_1) | instid1(VALU_DEP_1)
	v_cndmask_b32_e64 v125, 0, v125, s0
	v_cmp_lt_i32_e64 s0, v150, v81
	v_cndmask_b32_e64 v2, 0, v2, s0
	v_cmp_lt_i32_e64 s0, v149, v80
	s_delay_alu instid0(VALU_DEP_2) | instskip(NEXT) | instid1(VALU_DEP_2)
	v_perm_b32 v2, v125, v2, 0x5040100
	v_cndmask_b32_e64 v126, 0, v126, s0
	v_cmp_lt_i32_e64 s0, v148, v71
	s_delay_alu instid0(VALU_DEP_1) | instskip(SKIP_1) | instid1(VALU_DEP_2)
	v_cndmask_b32_e64 v1, 0, v1, s0
	v_cmp_lt_i32_e64 s0, v147, v70
	v_perm_b32 v1, v126, v1, 0x5040100
	s_delay_alu instid0(VALU_DEP_2) | instskip(SKIP_1) | instid1(VALU_DEP_1)
	v_cndmask_b32_e64 v127, 0, v127, s0
	v_cmp_lt_i32_e64 s0, v14, v107
	v_cndmask_b32_e64 v0, 0, v0, s0
	s_delay_alu instid0(VALU_DEP_1)
	v_perm_b32 v0, v127, v0, 0x5040100
.LBB130_89:                             ;   in Loop: Header=BB130_31 Depth=1
	s_or_b32 exec_lo, exec_lo, s8
	s_waitcnt vmcnt(0) lgkmcnt(0)
	;;#ASMSTART
	v_pk_mul_f16 v0, v145, v0;

	;;#ASMEND
	;;#ASMSTART
	v_pk_mul_f16 v1, v135, v1;

	;;#ASMEND
	;; [unrolled: 4-line block ×4, first 2 shown]
	;;#ASMSTART
	v_pk_add_f16 v0, v0, v1;

	;;#ASMEND
	;;#ASMSTART
	v_pk_add_f16 v0, v0, v2;

	;;#ASMEND
	;; [unrolled: 4-line block ×3, first 2 shown]
	v_lshrrev_b32_e32 v2, 16, v0
	v_and_b32_e32 v3, 0xffff, v0
	v_add_co_u32 v0, s0, v162, v130
	s_delay_alu instid0(VALU_DEP_1)
	v_add_co_ci_u32_e64 v1, s0, 0, v163, s0
	;;#ASMSTART
	v_cvt_f32_f16 v124, v3;
	;;#ASMEND
	;;#ASMSTART
	v_cvt_f32_f16 v125, v2;
	;;#ASMEND
	flat_load_b128 v[0:3], v[0:1]
	s_and_saveexec_b32 s8, vcc_lo
	s_cbranch_execz .LBB130_91
; %bb.90:                               ;   in Loop: Header=BB130_31 Depth=1
	v_cmp_lt_i32_e64 s0, v161, v82
	s_waitcnt vmcnt(0) lgkmcnt(0)
	v_lshrrev_b32_e32 v126, 16, v3
	v_lshrrev_b32_e32 v127, 16, v2
	;; [unrolled: 1-line block ×4, first 2 shown]
	v_cndmask_b32_e64 v3, 0, v3, s0
	v_cmp_lt_i32_e64 s0, v160, v83
	s_delay_alu instid0(VALU_DEP_1) | instskip(SKIP_1) | instid1(VALU_DEP_2)
	v_cndmask_b32_e64 v126, 0, v126, s0
	v_cmp_lt_i32_e64 s0, v151, v21
	v_perm_b32 v3, v126, v3, 0x5040100
	s_delay_alu instid0(VALU_DEP_2) | instskip(SKIP_1) | instid1(VALU_DEP_1)
	v_cndmask_b32_e64 v127, 0, v127, s0
	v_cmp_lt_i32_e64 s0, v150, v81
	v_cndmask_b32_e64 v2, 0, v2, s0
	v_cmp_lt_i32_e64 s0, v149, v80
	s_delay_alu instid0(VALU_DEP_2) | instskip(NEXT) | instid1(VALU_DEP_2)
	v_perm_b32 v2, v127, v2, 0x5040100
	v_cndmask_b32_e64 v136, 0, v136, s0
	v_cmp_lt_i32_e64 s0, v148, v71
	s_delay_alu instid0(VALU_DEP_1) | instskip(SKIP_1) | instid1(VALU_DEP_2)
	v_cndmask_b32_e64 v1, 0, v1, s0
	v_cmp_lt_i32_e64 s0, v147, v70
	v_perm_b32 v1, v136, v1, 0x5040100
	s_delay_alu instid0(VALU_DEP_2) | instskip(SKIP_1) | instid1(VALU_DEP_1)
	v_cndmask_b32_e64 v137, 0, v137, s0
	v_cmp_lt_i32_e64 s0, v14, v107
	v_cndmask_b32_e64 v0, 0, v0, s0
	s_delay_alu instid0(VALU_DEP_1)
	v_perm_b32 v0, v137, v0, 0x5040100
.LBB130_91:                             ;   in Loop: Header=BB130_31 Depth=1
	s_or_b32 exec_lo, exec_lo, s8
	s_waitcnt vmcnt(0) lgkmcnt(0)
	;;#ASMSTART
	v_pk_mul_f16 v0, v145, v0;

	;;#ASMEND
	;;#ASMSTART
	v_pk_mul_f16 v1, v135, v1;

	;;#ASMEND
	;; [unrolled: 4-line block ×4, first 2 shown]
	;;#ASMSTART
	v_pk_add_f16 v0, v0, v1;

	;;#ASMEND
	;;#ASMSTART
	v_pk_add_f16 v0, v0, v2;

	;;#ASMEND
	;; [unrolled: 4-line block ×3, first 2 shown]
	v_lshrrev_b32_e32 v2, 16, v0
	v_and_b32_e32 v3, 0xffff, v0
	v_add_co_u32 v0, s0, v162, v131
	s_delay_alu instid0(VALU_DEP_1)
	v_add_co_ci_u32_e64 v1, s0, 0, v163, s0
	;;#ASMSTART
	v_cvt_f32_f16 v126, v3;
	;;#ASMEND
	;;#ASMSTART
	v_cvt_f32_f16 v127, v2;
	;;#ASMEND
	flat_load_b128 v[0:3], v[0:1]
	s_and_saveexec_b32 s8, vcc_lo
	s_cbranch_execz .LBB130_93
; %bb.92:                               ;   in Loop: Header=BB130_31 Depth=1
	v_cmp_lt_i32_e64 s0, v161, v82
	s_waitcnt vmcnt(0) lgkmcnt(0)
	v_lshrrev_b32_e32 v136, 16, v3
	v_lshrrev_b32_e32 v137, 16, v2
	;; [unrolled: 1-line block ×4, first 2 shown]
	v_cndmask_b32_e64 v3, 0, v3, s0
	v_cmp_lt_i32_e64 s0, v160, v83
	s_delay_alu instid0(VALU_DEP_1) | instskip(SKIP_1) | instid1(VALU_DEP_2)
	v_cndmask_b32_e64 v136, 0, v136, s0
	v_cmp_lt_i32_e64 s0, v151, v21
	v_perm_b32 v3, v136, v3, 0x5040100
	s_delay_alu instid0(VALU_DEP_2) | instskip(SKIP_1) | instid1(VALU_DEP_1)
	v_cndmask_b32_e64 v137, 0, v137, s0
	v_cmp_lt_i32_e64 s0, v150, v81
	v_cndmask_b32_e64 v2, 0, v2, s0
	v_cmp_lt_i32_e64 s0, v149, v80
	s_delay_alu instid0(VALU_DEP_2) | instskip(NEXT) | instid1(VALU_DEP_2)
	v_perm_b32 v2, v137, v2, 0x5040100
	v_cndmask_b32_e64 v138, 0, v138, s0
	v_cmp_lt_i32_e64 s0, v148, v71
	s_delay_alu instid0(VALU_DEP_1) | instskip(SKIP_1) | instid1(VALU_DEP_2)
	v_cndmask_b32_e64 v1, 0, v1, s0
	v_cmp_lt_i32_e64 s0, v147, v70
	v_perm_b32 v1, v138, v1, 0x5040100
	s_delay_alu instid0(VALU_DEP_2) | instskip(SKIP_1) | instid1(VALU_DEP_1)
	v_cndmask_b32_e64 v139, 0, v139, s0
	v_cmp_lt_i32_e64 s0, v14, v107
	v_cndmask_b32_e64 v0, 0, v0, s0
	s_delay_alu instid0(VALU_DEP_1)
	v_perm_b32 v0, v139, v0, 0x5040100
.LBB130_93:                             ;   in Loop: Header=BB130_31 Depth=1
	s_or_b32 exec_lo, exec_lo, s8
	s_waitcnt vmcnt(0) lgkmcnt(0)
	;;#ASMSTART
	v_pk_mul_f16 v0, v145, v0;

	;;#ASMEND
	;;#ASMSTART
	v_pk_mul_f16 v1, v135, v1;

	;;#ASMEND
	;; [unrolled: 4-line block ×4, first 2 shown]
	;;#ASMSTART
	v_pk_add_f16 v0, v0, v1;

	;;#ASMEND
	;;#ASMSTART
	v_pk_add_f16 v0, v0, v2;

	;;#ASMEND
	;; [unrolled: 4-line block ×3, first 2 shown]
	v_lshrrev_b32_e32 v2, 16, v0
	v_and_b32_e32 v3, 0xffff, v0
	v_add_co_u32 v0, s0, v162, v132
	s_delay_alu instid0(VALU_DEP_1)
	v_add_co_ci_u32_e64 v1, s0, 0, v163, s0
	;;#ASMSTART
	v_cvt_f32_f16 v162, v3;
	;;#ASMEND
	;;#ASMSTART
	v_cvt_f32_f16 v163, v2;
	;;#ASMEND
	flat_load_b128 v[0:3], v[0:1]
	s_and_saveexec_b32 s0, vcc_lo
	s_cbranch_execz .LBB130_30
; %bb.94:                               ;   in Loop: Header=BB130_31 Depth=1
	v_cmp_lt_i32_e32 vcc_lo, v161, v82
	s_waitcnt vmcnt(0) lgkmcnt(0)
	v_lshrrev_b32_e32 v136, 16, v3
	v_lshrrev_b32_e32 v137, 16, v2
	;; [unrolled: 1-line block ×3, first 2 shown]
	v_cndmask_b32_e32 v3, 0, v3, vcc_lo
	v_cmp_lt_i32_e32 vcc_lo, v160, v83
	v_cndmask_b32_e32 v160, 0, v136, vcc_lo
	v_cmp_lt_i32_e32 vcc_lo, v151, v21
	s_delay_alu instid0(VALU_DEP_2)
	v_perm_b32 v3, v160, v3, 0x5040100
	v_cndmask_b32_e32 v151, 0, v137, vcc_lo
	v_cmp_lt_i32_e32 vcc_lo, v150, v81
	v_lshrrev_b32_e32 v150, 16, v0
	v_cndmask_b32_e32 v2, 0, v2, vcc_lo
	v_cmp_lt_i32_e32 vcc_lo, v149, v80
	s_delay_alu instid0(VALU_DEP_2)
	v_perm_b32 v2, v151, v2, 0x5040100
	v_cndmask_b32_e32 v149, 0, v161, vcc_lo
	v_cmp_lt_i32_e32 vcc_lo, v148, v71
	v_cndmask_b32_e32 v1, 0, v1, vcc_lo
	v_cmp_lt_i32_e32 vcc_lo, v147, v70
	;; [unrolled: 2-line block ×3, first 2 shown]
	v_cndmask_b32_e32 v0, 0, v0, vcc_lo
	v_perm_b32 v1, v149, v1, 0x5040100
	s_delay_alu instid0(VALU_DEP_2)
	v_perm_b32 v0, v147, v0, 0x5040100
	s_branch .LBB130_30
.LBB130_95:
	s_or_b32 exec_lo, exec_lo, s5
	v_dual_mov_b32 v0, s6 :: v_dual_mov_b32 v1, s7
.LBB130_96:
	s_or_b32 exec_lo, exec_lo, s3
	s_delay_alu instid0(VALU_DEP_1)
	v_lshlrev_b64 v[0:1], 2, v[0:1]
	s_getpc_b64 s[6:7]
	s_add_u32 s6, s6, llvm.amdgcn.dynlds.offset.table@rel32@lo+4
	s_addc_u32 s7, s7, llvm.amdgcn.dynlds.offset.table@rel32@hi+12
	s_waitcnt lgkmcnt(0)
	s_waitcnt_vscnt null, 0x0
	s_barrier
	buffer_gl0_inv
	ds_bpermute_b32 v2, v16, v67
	v_add_co_u32 v0, vcc_lo, v0, s6
	v_add_co_ci_u32_e32 v1, vcc_lo, s7, v1, vcc_lo
	ds_bpermute_b32 v3, v16, v66
	ds_bpermute_b32 v6, v16, v64
	;; [unrolled: 1-line block ×3, first 2 shown]
	global_load_b32 v70, v[0:1], off
	ds_bpermute_b32 v0, v16, v65
	ds_bpermute_b32 v1, v16, v68
	;; [unrolled: 1-line block ×28, first 2 shown]
	s_waitcnt lgkmcnt(26)
	v_dual_add_f32 v0, v65, v0 :: v_dual_add_f32 v1, v68, v1
	v_dual_add_f32 v2, v67, v2 :: v_dual_and_b32 v103, 0x3c3, v12
	s_waitcnt lgkmcnt(15)
	v_dual_add_f32 v37, v37, v71 :: v_dual_add_f32 v36, v36, v80
	v_dual_add_f32 v3, v66, v3 :: v_dual_add_f32 v6, v64, v6
	;; [unrolled: 1-line block ×7, first 2 shown]
	s_waitcnt lgkmcnt(0)
	v_dual_add_f32 v68, v19, v102 :: v_dual_add_f32 v71, v18, v16
	ds_bpermute_b32 v18, v13, v1
	v_dual_add_f32 v39, v35, v81 :: v_dual_add_f32 v48, v34, v82
	v_dual_add_f32 v49, v33, v83 :: v_dual_add_f32 v50, v32, v84
	;; [unrolled: 1-line block ×6, first 2 shown]
	v_add_f32_e32 v67, v23, v101
	ds_bpermute_b32 v16, v13, v0
	ds_bpermute_b32 v19, v13, v2
	;; [unrolled: 1-line block ×6, first 2 shown]
	s_waitcnt lgkmcnt(6)
	v_add_f32_e32 v34, v1, v18
	ds_bpermute_b32 v26, v13, v9
	ds_bpermute_b32 v27, v13, v10
	;; [unrolled: 1-line block ×25, first 2 shown]
	v_lshrrev_b32_e32 v69, 2, v106
	s_waitcnt lgkmcnt(28)
	v_dual_add_f32 v35, v0, v16 :: v_dual_add_f32 v32, v3, v22
	s_waitcnt lgkmcnt(26)
	v_dual_add_f32 v33, v2, v19 :: v_dual_add_f32 v30, v7, v24
	;; [unrolled: 2-line block ×9, first 2 shown]
	v_dual_add_f32 v16, v48, v97 :: v_dual_add_f32 v15, v49, v98
	v_dual_add_f32 v14, v50, v99 :: v_dual_add_f32 v13, v51, v100
	s_waitcnt lgkmcnt(4)
	v_dual_add_f32 v11, v52, v101 :: v_dual_add_f32 v6, v65, v115
	v_dual_add_f32 v9, v54, v112 :: v_dual_add_f32 v8, v55, v113
	s_waitcnt lgkmcnt(2)
	v_dual_add_f32 v7, v64, v114 :: v_dual_add_f32 v2, v67, v117
	s_waitcnt lgkmcnt(0)
	v_dual_add_f32 v3, v66, v116 :: v_dual_add_f32 v0, v71, v119
	v_add_f32_e32 v1, v68, v118
	s_mov_b32 s0, exec_lo
	s_waitcnt vmcnt(0)
	v_lshl_add_u32 v36, v47, 10, v70
	v_cmpx_eq_u32_e32 64, v103
	s_cbranch_execz .LBB130_98
; %bb.97:
	v_lshlrev_b32_e32 v37, 2, v69
	s_delay_alu instid0(VALU_DEP_1)
	v_add3_u32 v37, v36, v37, 0xfffff800
	ds_store_2addr_b32 v37, v35, v34 offset1:8
	ds_store_2addr_b32 v37, v33, v32 offset0:16 offset1:24
	ds_store_2addr_b32 v37, v31, v30 offset0:32 offset1:40
	;; [unrolled: 1-line block ×15, first 2 shown]
.LBB130_98:
	s_or_b32 exec_lo, exec_lo, s0
	v_cmp_eq_u32_e32 vcc_lo, 0, v17
	s_mov_b32 s3, exec_lo
	s_waitcnt lgkmcnt(0)
	s_barrier
	buffer_gl0_inv
	v_cmpx_gt_u32_e32 64, v12
	s_cbranch_execz .LBB130_133
; %bb.99:
	s_and_saveexec_b32 s0, vcc_lo
	s_cbranch_execnz .LBB130_173
; %bb.100:
	s_or_b32 exec_lo, exec_lo, s0
	s_and_saveexec_b32 s0, vcc_lo
	s_cbranch_execnz .LBB130_174
.LBB130_101:
	s_or_b32 exec_lo, exec_lo, s0
	s_and_saveexec_b32 s0, vcc_lo
	s_cbranch_execnz .LBB130_175
.LBB130_102:
	s_or_b32 exec_lo, exec_lo, s0
	s_and_saveexec_b32 s0, vcc_lo
	s_cbranch_execnz .LBB130_176
.LBB130_103:
	s_or_b32 exec_lo, exec_lo, s0
	s_and_saveexec_b32 s0, vcc_lo
	s_cbranch_execnz .LBB130_177
.LBB130_104:
	s_or_b32 exec_lo, exec_lo, s0
	s_and_saveexec_b32 s0, vcc_lo
	s_cbranch_execnz .LBB130_178
.LBB130_105:
	s_or_b32 exec_lo, exec_lo, s0
	s_and_saveexec_b32 s0, vcc_lo
	s_cbranch_execnz .LBB130_179
.LBB130_106:
	s_or_b32 exec_lo, exec_lo, s0
	s_and_saveexec_b32 s0, vcc_lo
	s_cbranch_execnz .LBB130_180
.LBB130_107:
	s_or_b32 exec_lo, exec_lo, s0
	s_and_saveexec_b32 s0, vcc_lo
	s_cbranch_execnz .LBB130_181
.LBB130_108:
	s_or_b32 exec_lo, exec_lo, s0
	s_and_saveexec_b32 s0, vcc_lo
	s_cbranch_execnz .LBB130_182
.LBB130_109:
	s_or_b32 exec_lo, exec_lo, s0
	s_and_saveexec_b32 s0, vcc_lo
	s_cbranch_execnz .LBB130_183
.LBB130_110:
	s_or_b32 exec_lo, exec_lo, s0
	s_and_saveexec_b32 s0, vcc_lo
	s_cbranch_execnz .LBB130_184
.LBB130_111:
	s_or_b32 exec_lo, exec_lo, s0
	s_and_saveexec_b32 s0, vcc_lo
	s_cbranch_execnz .LBB130_185
.LBB130_112:
	s_or_b32 exec_lo, exec_lo, s0
	s_and_saveexec_b32 s0, vcc_lo
	s_cbranch_execnz .LBB130_186
.LBB130_113:
	s_or_b32 exec_lo, exec_lo, s0
	s_and_saveexec_b32 s0, vcc_lo
	s_cbranch_execnz .LBB130_187
.LBB130_114:
	s_or_b32 exec_lo, exec_lo, s0
	s_and_saveexec_b32 s0, vcc_lo
	s_cbranch_execnz .LBB130_188
.LBB130_115:
	s_or_b32 exec_lo, exec_lo, s0
	s_and_saveexec_b32 s0, vcc_lo
	s_cbranch_execnz .LBB130_189
.LBB130_116:
	s_or_b32 exec_lo, exec_lo, s0
	s_and_saveexec_b32 s0, vcc_lo
	s_cbranch_execnz .LBB130_190
.LBB130_117:
	s_or_b32 exec_lo, exec_lo, s0
	s_and_saveexec_b32 s0, vcc_lo
	s_cbranch_execnz .LBB130_191
.LBB130_118:
	s_or_b32 exec_lo, exec_lo, s0
	s_and_saveexec_b32 s0, vcc_lo
	s_cbranch_execnz .LBB130_192
.LBB130_119:
	s_or_b32 exec_lo, exec_lo, s0
	s_and_saveexec_b32 s0, vcc_lo
	s_cbranch_execnz .LBB130_193
.LBB130_120:
	s_or_b32 exec_lo, exec_lo, s0
	s_and_saveexec_b32 s0, vcc_lo
	s_cbranch_execnz .LBB130_194
.LBB130_121:
	s_or_b32 exec_lo, exec_lo, s0
	s_and_saveexec_b32 s0, vcc_lo
	s_cbranch_execnz .LBB130_195
.LBB130_122:
	s_or_b32 exec_lo, exec_lo, s0
	s_and_saveexec_b32 s0, vcc_lo
	s_cbranch_execnz .LBB130_196
.LBB130_123:
	s_or_b32 exec_lo, exec_lo, s0
	s_and_saveexec_b32 s0, vcc_lo
	s_cbranch_execnz .LBB130_197
.LBB130_124:
	s_or_b32 exec_lo, exec_lo, s0
	s_and_saveexec_b32 s0, vcc_lo
	s_cbranch_execnz .LBB130_198
.LBB130_125:
	s_or_b32 exec_lo, exec_lo, s0
	s_and_saveexec_b32 s0, vcc_lo
	s_cbranch_execnz .LBB130_199
.LBB130_126:
	s_or_b32 exec_lo, exec_lo, s0
	s_and_saveexec_b32 s0, vcc_lo
	s_cbranch_execnz .LBB130_200
.LBB130_127:
	s_or_b32 exec_lo, exec_lo, s0
	s_and_saveexec_b32 s0, vcc_lo
	s_cbranch_execnz .LBB130_201
.LBB130_128:
	s_or_b32 exec_lo, exec_lo, s0
	s_and_saveexec_b32 s0, vcc_lo
	s_cbranch_execnz .LBB130_202
.LBB130_129:
	s_or_b32 exec_lo, exec_lo, s0
	s_and_saveexec_b32 s0, vcc_lo
	s_cbranch_execnz .LBB130_203
.LBB130_130:
	s_or_b32 exec_lo, exec_lo, s0
	s_and_saveexec_b32 s0, vcc_lo
	s_cbranch_execz .LBB130_132
.LBB130_131:
	v_lshl_add_u32 v17, v69, 2, v36
	ds_load_b32 v17, v17 offset:992
	s_waitcnt lgkmcnt(0)
	v_add_f32_e32 v0, v17, v0
.LBB130_132:
	s_or_b32 exec_lo, exec_lo, s0
.LBB130_133:
	s_delay_alu instid0(SALU_CYCLE_1)
	s_or_b32 exec_lo, exec_lo, s3
	v_and_b32_e32 v17, 0x3e3, v12
	s_mov_b32 s3, exec_lo
	s_barrier
	buffer_gl0_inv
	v_cmpx_eq_u32_e32 32, v17
	s_cbranch_execz .LBB130_135
; %bb.134:
	v_lshl_add_u32 v37, v69, 2, v70
	ds_store_2addr_b32 v37, v35, v34 offset1:8
	ds_store_2addr_b32 v37, v33, v32 offset0:16 offset1:24
	ds_store_2addr_b32 v37, v31, v30 offset0:32 offset1:40
	;; [unrolled: 1-line block ×15, first 2 shown]
.LBB130_135:
	s_or_b32 exec_lo, exec_lo, s3
	s_delay_alu instid0(SALU_CYCLE_1)
	s_mov_b32 s3, exec_lo
	s_waitcnt lgkmcnt(0)
	s_barrier
	buffer_gl0_inv
	v_cmpx_gt_u32_e32 32, v12
	s_cbranch_execz .LBB130_170
; %bb.136:
	v_lshl_add_u32 v36, v69, 2, v36
	s_and_saveexec_b32 s0, vcc_lo
	s_cbranch_execnz .LBB130_204
; %bb.137:
	s_or_b32 exec_lo, exec_lo, s0
	s_and_saveexec_b32 s0, vcc_lo
	s_cbranch_execnz .LBB130_205
.LBB130_138:
	s_or_b32 exec_lo, exec_lo, s0
	s_and_saveexec_b32 s0, vcc_lo
	s_cbranch_execnz .LBB130_206
.LBB130_139:
	s_or_b32 exec_lo, exec_lo, s0
	s_and_saveexec_b32 s0, vcc_lo
	s_cbranch_execnz .LBB130_207
.LBB130_140:
	s_or_b32 exec_lo, exec_lo, s0
	s_and_saveexec_b32 s0, vcc_lo
	s_cbranch_execnz .LBB130_208
.LBB130_141:
	s_or_b32 exec_lo, exec_lo, s0
	s_and_saveexec_b32 s0, vcc_lo
	s_cbranch_execnz .LBB130_209
.LBB130_142:
	s_or_b32 exec_lo, exec_lo, s0
	s_and_saveexec_b32 s0, vcc_lo
	s_cbranch_execnz .LBB130_210
.LBB130_143:
	s_or_b32 exec_lo, exec_lo, s0
	s_and_saveexec_b32 s0, vcc_lo
	s_cbranch_execnz .LBB130_211
.LBB130_144:
	s_or_b32 exec_lo, exec_lo, s0
	s_and_saveexec_b32 s0, vcc_lo
	s_cbranch_execnz .LBB130_212
.LBB130_145:
	s_or_b32 exec_lo, exec_lo, s0
	s_and_saveexec_b32 s0, vcc_lo
	s_cbranch_execnz .LBB130_213
.LBB130_146:
	s_or_b32 exec_lo, exec_lo, s0
	s_and_saveexec_b32 s0, vcc_lo
	s_cbranch_execnz .LBB130_214
.LBB130_147:
	s_or_b32 exec_lo, exec_lo, s0
	s_and_saveexec_b32 s0, vcc_lo
	s_cbranch_execnz .LBB130_215
.LBB130_148:
	s_or_b32 exec_lo, exec_lo, s0
	s_and_saveexec_b32 s0, vcc_lo
	s_cbranch_execnz .LBB130_216
.LBB130_149:
	s_or_b32 exec_lo, exec_lo, s0
	s_and_saveexec_b32 s0, vcc_lo
	s_cbranch_execnz .LBB130_217
.LBB130_150:
	s_or_b32 exec_lo, exec_lo, s0
	s_and_saveexec_b32 s0, vcc_lo
	s_cbranch_execnz .LBB130_218
.LBB130_151:
	s_or_b32 exec_lo, exec_lo, s0
	s_and_saveexec_b32 s0, vcc_lo
	s_cbranch_execnz .LBB130_219
.LBB130_152:
	s_or_b32 exec_lo, exec_lo, s0
	s_and_saveexec_b32 s0, vcc_lo
	s_cbranch_execnz .LBB130_220
.LBB130_153:
	s_or_b32 exec_lo, exec_lo, s0
	s_and_saveexec_b32 s0, vcc_lo
	s_cbranch_execnz .LBB130_221
.LBB130_154:
	s_or_b32 exec_lo, exec_lo, s0
	s_and_saveexec_b32 s0, vcc_lo
	s_cbranch_execnz .LBB130_222
.LBB130_155:
	s_or_b32 exec_lo, exec_lo, s0
	s_and_saveexec_b32 s0, vcc_lo
	s_cbranch_execnz .LBB130_223
.LBB130_156:
	s_or_b32 exec_lo, exec_lo, s0
	s_and_saveexec_b32 s0, vcc_lo
	s_cbranch_execnz .LBB130_224
.LBB130_157:
	s_or_b32 exec_lo, exec_lo, s0
	s_and_saveexec_b32 s0, vcc_lo
	s_cbranch_execnz .LBB130_225
.LBB130_158:
	s_or_b32 exec_lo, exec_lo, s0
	s_and_saveexec_b32 s0, vcc_lo
	s_cbranch_execnz .LBB130_226
.LBB130_159:
	s_or_b32 exec_lo, exec_lo, s0
	s_and_saveexec_b32 s0, vcc_lo
	s_cbranch_execnz .LBB130_227
.LBB130_160:
	s_or_b32 exec_lo, exec_lo, s0
	s_and_saveexec_b32 s0, vcc_lo
	s_cbranch_execnz .LBB130_228
.LBB130_161:
	s_or_b32 exec_lo, exec_lo, s0
	s_and_saveexec_b32 s0, vcc_lo
	s_cbranch_execnz .LBB130_229
.LBB130_162:
	s_or_b32 exec_lo, exec_lo, s0
	s_and_saveexec_b32 s0, vcc_lo
	s_cbranch_execnz .LBB130_230
.LBB130_163:
	s_or_b32 exec_lo, exec_lo, s0
	s_and_saveexec_b32 s0, vcc_lo
	s_cbranch_execnz .LBB130_231
.LBB130_164:
	s_or_b32 exec_lo, exec_lo, s0
	s_and_saveexec_b32 s0, vcc_lo
	s_cbranch_execnz .LBB130_232
.LBB130_165:
	s_or_b32 exec_lo, exec_lo, s0
	s_and_saveexec_b32 s0, vcc_lo
	s_cbranch_execnz .LBB130_233
.LBB130_166:
	s_or_b32 exec_lo, exec_lo, s0
	s_and_saveexec_b32 s0, vcc_lo
	s_cbranch_execnz .LBB130_234
.LBB130_167:
	s_or_b32 exec_lo, exec_lo, s0
	s_and_saveexec_b32 s0, vcc_lo
	s_cbranch_execz .LBB130_169
.LBB130_168:
	ds_load_b32 v36, v36 offset:992
	s_waitcnt lgkmcnt(0)
	v_add_f32_e32 v0, v36, v0
.LBB130_169:
	s_or_b32 exec_lo, exec_lo, s0
.LBB130_170:
	s_delay_alu instid0(SALU_CYCLE_1)
	s_or_b32 exec_lo, exec_lo, s3
	v_cmp_eq_u32_e32 vcc_lo, 0, v17
	s_barrier
	buffer_gl0_inv
	s_and_b32 exec_lo, exec_lo, vcc_lo
	s_cbranch_execz .LBB130_172
; %bb.171:
	s_lshl_b32 s0, s2, 8
	s_mul_i32 s2, s4, s1
	s_lshl_b32 s4, s14, 8
	s_ashr_i32 s3, s2, 31
	s_ashr_i32 s5, s4, 31
	;; [unrolled: 1-line block ×3, first 2 shown]
	s_lshl_b64 s[2:3], s[2:3], 1
	s_lshl_b64 s[4:5], s[4:5], 1
	;; [unrolled: 1-line block ×3, first 2 shown]
	s_add_u32 s2, s4, s2
	s_addc_u32 s3, s5, s3
	s_add_u32 s0, s2, s0
	s_addc_u32 s1, s3, s1
	v_lshrrev_b32_e32 v12, 1, v12
	v_add_co_u32 v4, vcc_lo, s0, v4
	v_add_co_ci_u32_e32 v5, vcc_lo, s1, v5, vcc_lo
	s_delay_alu instid0(VALU_DEP_2) | instskip(NEXT) | instid1(VALU_DEP_2)
	v_add_co_u32 v4, vcc_lo, v4, v12
	v_add_co_ci_u32_e32 v5, vcc_lo, 0, v5, vcc_lo
	;;#ASMSTART
	v_cvt_f16_f32 v12, v35;

	;;#ASMEND
	flat_store_b16 v[4:5], v12
	;;#ASMSTART
	v_cvt_f16_f32 v12, v34;

	;;#ASMEND
	flat_store_b16 v[4:5], v12 offset:16
	;;#ASMSTART
	v_cvt_f16_f32 v12, v33;

	;;#ASMEND
	flat_store_b16 v[4:5], v12 offset:32
	;; [unrolled: 5-line block ×31, first 2 shown]
.LBB130_172:
	s_or_b32 exec_lo, exec_lo, s11
	s_clause 0x1f
	scratch_load_b32 v175, off, s32
	scratch_load_b32 v174, off, s32 offset:4
	scratch_load_b32 v173, off, s32 offset:8
	;; [unrolled: 1-line block ×31, first 2 shown]
	s_clause 0x1f
	scratch_load_b32 v111, off, s32 offset:128
	scratch_load_b32 v110, off, s32 offset:132
	;; [unrolled: 1-line block ×32, first 2 shown]
	s_clause 0x7
	scratch_load_b32 v47, off, s32 offset:256
	scratch_load_b32 v46, off, s32 offset:260
	;; [unrolled: 1-line block ×8, first 2 shown]
	s_waitcnt vmcnt(0) lgkmcnt(0)
	s_setpc_b64 s[30:31]
.LBB130_173:
	v_lshl_add_u32 v17, v69, 2, v36
	ds_load_b32 v17, v17
	s_waitcnt lgkmcnt(0)
	v_add_f32_e32 v35, v17, v35
	s_or_b32 exec_lo, exec_lo, s0
	s_and_saveexec_b32 s0, vcc_lo
	s_cbranch_execz .LBB130_101
.LBB130_174:
	v_lshl_add_u32 v17, v69, 2, v36
	ds_load_b32 v17, v17 offset:32
	s_waitcnt lgkmcnt(0)
	v_add_f32_e32 v34, v17, v34
	s_or_b32 exec_lo, exec_lo, s0
	s_and_saveexec_b32 s0, vcc_lo
	s_cbranch_execz .LBB130_102
.LBB130_175:
	v_lshl_add_u32 v17, v69, 2, v36
	ds_load_b32 v17, v17 offset:64
	s_waitcnt lgkmcnt(0)
	v_add_f32_e32 v33, v17, v33
	s_or_b32 exec_lo, exec_lo, s0
	s_and_saveexec_b32 s0, vcc_lo
	s_cbranch_execz .LBB130_103
.LBB130_176:
	v_lshl_add_u32 v17, v69, 2, v36
	ds_load_b32 v17, v17 offset:96
	s_waitcnt lgkmcnt(0)
	v_add_f32_e32 v32, v17, v32
	s_or_b32 exec_lo, exec_lo, s0
	s_and_saveexec_b32 s0, vcc_lo
	s_cbranch_execz .LBB130_104
.LBB130_177:
	v_lshl_add_u32 v17, v69, 2, v36
	ds_load_b32 v17, v17 offset:128
	s_waitcnt lgkmcnt(0)
	v_add_f32_e32 v31, v17, v31
	s_or_b32 exec_lo, exec_lo, s0
	s_and_saveexec_b32 s0, vcc_lo
	s_cbranch_execz .LBB130_105
.LBB130_178:
	v_lshl_add_u32 v17, v69, 2, v36
	ds_load_b32 v17, v17 offset:160
	s_waitcnt lgkmcnt(0)
	v_add_f32_e32 v30, v17, v30
	s_or_b32 exec_lo, exec_lo, s0
	s_and_saveexec_b32 s0, vcc_lo
	s_cbranch_execz .LBB130_106
.LBB130_179:
	v_lshl_add_u32 v17, v69, 2, v36
	ds_load_b32 v17, v17 offset:192
	s_waitcnt lgkmcnt(0)
	v_add_f32_e32 v29, v17, v29
	s_or_b32 exec_lo, exec_lo, s0
	s_and_saveexec_b32 s0, vcc_lo
	s_cbranch_execz .LBB130_107
.LBB130_180:
	v_lshl_add_u32 v17, v69, 2, v36
	ds_load_b32 v17, v17 offset:224
	s_waitcnt lgkmcnt(0)
	v_add_f32_e32 v28, v17, v28
	s_or_b32 exec_lo, exec_lo, s0
	s_and_saveexec_b32 s0, vcc_lo
	s_cbranch_execz .LBB130_108
.LBB130_181:
	v_lshl_add_u32 v17, v69, 2, v36
	ds_load_b32 v17, v17 offset:256
	s_waitcnt lgkmcnt(0)
	v_add_f32_e32 v27, v17, v27
	s_or_b32 exec_lo, exec_lo, s0
	s_and_saveexec_b32 s0, vcc_lo
	s_cbranch_execz .LBB130_109
.LBB130_182:
	v_lshl_add_u32 v17, v69, 2, v36
	ds_load_b32 v17, v17 offset:288
	s_waitcnt lgkmcnt(0)
	v_add_f32_e32 v26, v17, v26
	s_or_b32 exec_lo, exec_lo, s0
	s_and_saveexec_b32 s0, vcc_lo
	s_cbranch_execz .LBB130_110
.LBB130_183:
	v_lshl_add_u32 v17, v69, 2, v36
	ds_load_b32 v17, v17 offset:320
	s_waitcnt lgkmcnt(0)
	v_add_f32_e32 v25, v17, v25
	s_or_b32 exec_lo, exec_lo, s0
	s_and_saveexec_b32 s0, vcc_lo
	s_cbranch_execz .LBB130_111
.LBB130_184:
	v_lshl_add_u32 v17, v69, 2, v36
	ds_load_b32 v17, v17 offset:352
	s_waitcnt lgkmcnt(0)
	v_add_f32_e32 v24, v17, v24
	s_or_b32 exec_lo, exec_lo, s0
	s_and_saveexec_b32 s0, vcc_lo
	s_cbranch_execz .LBB130_112
.LBB130_185:
	v_lshl_add_u32 v17, v69, 2, v36
	ds_load_b32 v17, v17 offset:384
	s_waitcnt lgkmcnt(0)
	v_add_f32_e32 v23, v17, v23
	s_or_b32 exec_lo, exec_lo, s0
	s_and_saveexec_b32 s0, vcc_lo
	s_cbranch_execz .LBB130_113
.LBB130_186:
	v_lshl_add_u32 v17, v69, 2, v36
	ds_load_b32 v17, v17 offset:416
	s_waitcnt lgkmcnt(0)
	v_add_f32_e32 v22, v17, v22
	s_or_b32 exec_lo, exec_lo, s0
	s_and_saveexec_b32 s0, vcc_lo
	s_cbranch_execz .LBB130_114
.LBB130_187:
	v_lshl_add_u32 v17, v69, 2, v36
	ds_load_b32 v17, v17 offset:448
	s_waitcnt lgkmcnt(0)
	v_add_f32_e32 v21, v17, v21
	s_or_b32 exec_lo, exec_lo, s0
	s_and_saveexec_b32 s0, vcc_lo
	s_cbranch_execz .LBB130_115
.LBB130_188:
	v_lshl_add_u32 v17, v69, 2, v36
	ds_load_b32 v17, v17 offset:480
	s_waitcnt lgkmcnt(0)
	v_add_f32_e32 v20, v17, v20
	s_or_b32 exec_lo, exec_lo, s0
	s_and_saveexec_b32 s0, vcc_lo
	s_cbranch_execz .LBB130_116
.LBB130_189:
	v_lshl_add_u32 v17, v69, 2, v36
	ds_load_b32 v17, v17 offset:512
	s_waitcnt lgkmcnt(0)
	v_add_f32_e32 v19, v17, v19
	s_or_b32 exec_lo, exec_lo, s0
	s_and_saveexec_b32 s0, vcc_lo
	s_cbranch_execz .LBB130_117
.LBB130_190:
	v_lshl_add_u32 v17, v69, 2, v36
	ds_load_b32 v17, v17 offset:544
	s_waitcnt lgkmcnt(0)
	v_add_f32_e32 v18, v17, v18
	s_or_b32 exec_lo, exec_lo, s0
	s_and_saveexec_b32 s0, vcc_lo
	s_cbranch_execz .LBB130_118
.LBB130_191:
	v_lshl_add_u32 v17, v69, 2, v36
	ds_load_b32 v17, v17 offset:576
	s_waitcnt lgkmcnt(0)
	v_add_f32_e32 v16, v17, v16
	s_or_b32 exec_lo, exec_lo, s0
	s_and_saveexec_b32 s0, vcc_lo
	s_cbranch_execz .LBB130_119
.LBB130_192:
	v_lshl_add_u32 v17, v69, 2, v36
	ds_load_b32 v17, v17 offset:608
	s_waitcnt lgkmcnt(0)
	v_add_f32_e32 v15, v17, v15
	s_or_b32 exec_lo, exec_lo, s0
	s_and_saveexec_b32 s0, vcc_lo
	s_cbranch_execz .LBB130_120
.LBB130_193:
	v_lshl_add_u32 v17, v69, 2, v36
	ds_load_b32 v17, v17 offset:640
	s_waitcnt lgkmcnt(0)
	v_add_f32_e32 v14, v17, v14
	s_or_b32 exec_lo, exec_lo, s0
	s_and_saveexec_b32 s0, vcc_lo
	s_cbranch_execz .LBB130_121
.LBB130_194:
	v_lshl_add_u32 v17, v69, 2, v36
	ds_load_b32 v17, v17 offset:672
	s_waitcnt lgkmcnt(0)
	v_add_f32_e32 v13, v17, v13
	s_or_b32 exec_lo, exec_lo, s0
	s_and_saveexec_b32 s0, vcc_lo
	s_cbranch_execz .LBB130_122
.LBB130_195:
	v_lshl_add_u32 v17, v69, 2, v36
	ds_load_b32 v17, v17 offset:704
	s_waitcnt lgkmcnt(0)
	v_add_f32_e32 v11, v17, v11
	s_or_b32 exec_lo, exec_lo, s0
	s_and_saveexec_b32 s0, vcc_lo
	s_cbranch_execz .LBB130_123
.LBB130_196:
	v_lshl_add_u32 v17, v69, 2, v36
	ds_load_b32 v17, v17 offset:736
	s_waitcnt lgkmcnt(0)
	v_add_f32_e32 v10, v17, v10
	s_or_b32 exec_lo, exec_lo, s0
	s_and_saveexec_b32 s0, vcc_lo
	s_cbranch_execz .LBB130_124
.LBB130_197:
	v_lshl_add_u32 v17, v69, 2, v36
	ds_load_b32 v17, v17 offset:768
	s_waitcnt lgkmcnt(0)
	v_add_f32_e32 v9, v17, v9
	s_or_b32 exec_lo, exec_lo, s0
	s_and_saveexec_b32 s0, vcc_lo
	s_cbranch_execz .LBB130_125
.LBB130_198:
	v_lshl_add_u32 v17, v69, 2, v36
	ds_load_b32 v17, v17 offset:800
	s_waitcnt lgkmcnt(0)
	v_add_f32_e32 v8, v17, v8
	s_or_b32 exec_lo, exec_lo, s0
	s_and_saveexec_b32 s0, vcc_lo
	s_cbranch_execz .LBB130_126
.LBB130_199:
	v_lshl_add_u32 v17, v69, 2, v36
	ds_load_b32 v17, v17 offset:832
	s_waitcnt lgkmcnt(0)
	v_add_f32_e32 v7, v17, v7
	s_or_b32 exec_lo, exec_lo, s0
	s_and_saveexec_b32 s0, vcc_lo
	s_cbranch_execz .LBB130_127
.LBB130_200:
	v_lshl_add_u32 v17, v69, 2, v36
	ds_load_b32 v17, v17 offset:864
	s_waitcnt lgkmcnt(0)
	v_add_f32_e32 v6, v17, v6
	s_or_b32 exec_lo, exec_lo, s0
	s_and_saveexec_b32 s0, vcc_lo
	s_cbranch_execz .LBB130_128
.LBB130_201:
	v_lshl_add_u32 v17, v69, 2, v36
	ds_load_b32 v17, v17 offset:896
	s_waitcnt lgkmcnt(0)
	v_add_f32_e32 v3, v17, v3
	s_or_b32 exec_lo, exec_lo, s0
	s_and_saveexec_b32 s0, vcc_lo
	s_cbranch_execz .LBB130_129
.LBB130_202:
	v_lshl_add_u32 v17, v69, 2, v36
	ds_load_b32 v17, v17 offset:928
	s_waitcnt lgkmcnt(0)
	v_add_f32_e32 v2, v17, v2
	s_or_b32 exec_lo, exec_lo, s0
	s_and_saveexec_b32 s0, vcc_lo
	s_cbranch_execz .LBB130_130
.LBB130_203:
	v_lshl_add_u32 v17, v69, 2, v36
	ds_load_b32 v17, v17 offset:960
	s_waitcnt lgkmcnt(0)
	v_add_f32_e32 v1, v17, v1
	s_or_b32 exec_lo, exec_lo, s0
	s_and_saveexec_b32 s0, vcc_lo
	s_cbranch_execnz .LBB130_131
	s_branch .LBB130_132
.LBB130_204:
	ds_load_b32 v37, v36
	s_waitcnt lgkmcnt(0)
	v_add_f32_e32 v35, v37, v35
	s_or_b32 exec_lo, exec_lo, s0
	s_and_saveexec_b32 s0, vcc_lo
	s_cbranch_execz .LBB130_138
.LBB130_205:
	ds_load_b32 v37, v36 offset:32
	s_waitcnt lgkmcnt(0)
	v_add_f32_e32 v34, v37, v34
	s_or_b32 exec_lo, exec_lo, s0
	s_and_saveexec_b32 s0, vcc_lo
	s_cbranch_execz .LBB130_139
.LBB130_206:
	ds_load_b32 v37, v36 offset:64
	s_waitcnt lgkmcnt(0)
	v_add_f32_e32 v33, v37, v33
	s_or_b32 exec_lo, exec_lo, s0
	s_and_saveexec_b32 s0, vcc_lo
	s_cbranch_execz .LBB130_140
.LBB130_207:
	ds_load_b32 v37, v36 offset:96
	s_waitcnt lgkmcnt(0)
	v_add_f32_e32 v32, v37, v32
	s_or_b32 exec_lo, exec_lo, s0
	s_and_saveexec_b32 s0, vcc_lo
	s_cbranch_execz .LBB130_141
.LBB130_208:
	ds_load_b32 v37, v36 offset:128
	s_waitcnt lgkmcnt(0)
	v_add_f32_e32 v31, v37, v31
	s_or_b32 exec_lo, exec_lo, s0
	s_and_saveexec_b32 s0, vcc_lo
	s_cbranch_execz .LBB130_142
.LBB130_209:
	ds_load_b32 v37, v36 offset:160
	s_waitcnt lgkmcnt(0)
	v_add_f32_e32 v30, v37, v30
	s_or_b32 exec_lo, exec_lo, s0
	s_and_saveexec_b32 s0, vcc_lo
	s_cbranch_execz .LBB130_143
.LBB130_210:
	ds_load_b32 v37, v36 offset:192
	s_waitcnt lgkmcnt(0)
	v_add_f32_e32 v29, v37, v29
	s_or_b32 exec_lo, exec_lo, s0
	s_and_saveexec_b32 s0, vcc_lo
	s_cbranch_execz .LBB130_144
.LBB130_211:
	ds_load_b32 v37, v36 offset:224
	s_waitcnt lgkmcnt(0)
	v_add_f32_e32 v28, v37, v28
	s_or_b32 exec_lo, exec_lo, s0
	s_and_saveexec_b32 s0, vcc_lo
	s_cbranch_execz .LBB130_145
.LBB130_212:
	ds_load_b32 v37, v36 offset:256
	s_waitcnt lgkmcnt(0)
	v_add_f32_e32 v27, v37, v27
	s_or_b32 exec_lo, exec_lo, s0
	s_and_saveexec_b32 s0, vcc_lo
	s_cbranch_execz .LBB130_146
.LBB130_213:
	ds_load_b32 v37, v36 offset:288
	s_waitcnt lgkmcnt(0)
	v_add_f32_e32 v26, v37, v26
	s_or_b32 exec_lo, exec_lo, s0
	s_and_saveexec_b32 s0, vcc_lo
	s_cbranch_execz .LBB130_147
.LBB130_214:
	ds_load_b32 v37, v36 offset:320
	s_waitcnt lgkmcnt(0)
	v_add_f32_e32 v25, v37, v25
	s_or_b32 exec_lo, exec_lo, s0
	s_and_saveexec_b32 s0, vcc_lo
	s_cbranch_execz .LBB130_148
.LBB130_215:
	ds_load_b32 v37, v36 offset:352
	s_waitcnt lgkmcnt(0)
	v_add_f32_e32 v24, v37, v24
	s_or_b32 exec_lo, exec_lo, s0
	s_and_saveexec_b32 s0, vcc_lo
	s_cbranch_execz .LBB130_149
.LBB130_216:
	ds_load_b32 v37, v36 offset:384
	s_waitcnt lgkmcnt(0)
	v_add_f32_e32 v23, v37, v23
	s_or_b32 exec_lo, exec_lo, s0
	s_and_saveexec_b32 s0, vcc_lo
	s_cbranch_execz .LBB130_150
.LBB130_217:
	ds_load_b32 v37, v36 offset:416
	s_waitcnt lgkmcnt(0)
	v_add_f32_e32 v22, v37, v22
	s_or_b32 exec_lo, exec_lo, s0
	s_and_saveexec_b32 s0, vcc_lo
	s_cbranch_execz .LBB130_151
.LBB130_218:
	ds_load_b32 v37, v36 offset:448
	s_waitcnt lgkmcnt(0)
	v_add_f32_e32 v21, v37, v21
	s_or_b32 exec_lo, exec_lo, s0
	s_and_saveexec_b32 s0, vcc_lo
	s_cbranch_execz .LBB130_152
.LBB130_219:
	ds_load_b32 v37, v36 offset:480
	s_waitcnt lgkmcnt(0)
	v_add_f32_e32 v20, v37, v20
	s_or_b32 exec_lo, exec_lo, s0
	s_and_saveexec_b32 s0, vcc_lo
	s_cbranch_execz .LBB130_153
.LBB130_220:
	ds_load_b32 v37, v36 offset:512
	s_waitcnt lgkmcnt(0)
	v_add_f32_e32 v19, v37, v19
	s_or_b32 exec_lo, exec_lo, s0
	s_and_saveexec_b32 s0, vcc_lo
	s_cbranch_execz .LBB130_154
.LBB130_221:
	ds_load_b32 v37, v36 offset:544
	s_waitcnt lgkmcnt(0)
	v_add_f32_e32 v18, v37, v18
	s_or_b32 exec_lo, exec_lo, s0
	s_and_saveexec_b32 s0, vcc_lo
	s_cbranch_execz .LBB130_155
.LBB130_222:
	ds_load_b32 v37, v36 offset:576
	s_waitcnt lgkmcnt(0)
	v_add_f32_e32 v16, v37, v16
	s_or_b32 exec_lo, exec_lo, s0
	s_and_saveexec_b32 s0, vcc_lo
	s_cbranch_execz .LBB130_156
.LBB130_223:
	ds_load_b32 v37, v36 offset:608
	s_waitcnt lgkmcnt(0)
	v_add_f32_e32 v15, v37, v15
	s_or_b32 exec_lo, exec_lo, s0
	s_and_saveexec_b32 s0, vcc_lo
	s_cbranch_execz .LBB130_157
.LBB130_224:
	ds_load_b32 v37, v36 offset:640
	s_waitcnt lgkmcnt(0)
	v_add_f32_e32 v14, v37, v14
	s_or_b32 exec_lo, exec_lo, s0
	s_and_saveexec_b32 s0, vcc_lo
	s_cbranch_execz .LBB130_158
.LBB130_225:
	ds_load_b32 v37, v36 offset:672
	s_waitcnt lgkmcnt(0)
	v_add_f32_e32 v13, v37, v13
	s_or_b32 exec_lo, exec_lo, s0
	s_and_saveexec_b32 s0, vcc_lo
	s_cbranch_execz .LBB130_159
.LBB130_226:
	ds_load_b32 v37, v36 offset:704
	s_waitcnt lgkmcnt(0)
	v_add_f32_e32 v11, v37, v11
	s_or_b32 exec_lo, exec_lo, s0
	s_and_saveexec_b32 s0, vcc_lo
	s_cbranch_execz .LBB130_160
.LBB130_227:
	ds_load_b32 v37, v36 offset:736
	s_waitcnt lgkmcnt(0)
	v_add_f32_e32 v10, v37, v10
	s_or_b32 exec_lo, exec_lo, s0
	s_and_saveexec_b32 s0, vcc_lo
	s_cbranch_execz .LBB130_161
.LBB130_228:
	ds_load_b32 v37, v36 offset:768
	s_waitcnt lgkmcnt(0)
	v_add_f32_e32 v9, v37, v9
	s_or_b32 exec_lo, exec_lo, s0
	s_and_saveexec_b32 s0, vcc_lo
	s_cbranch_execz .LBB130_162
.LBB130_229:
	ds_load_b32 v37, v36 offset:800
	s_waitcnt lgkmcnt(0)
	v_add_f32_e32 v8, v37, v8
	s_or_b32 exec_lo, exec_lo, s0
	s_and_saveexec_b32 s0, vcc_lo
	s_cbranch_execz .LBB130_163
.LBB130_230:
	ds_load_b32 v37, v36 offset:832
	s_waitcnt lgkmcnt(0)
	v_add_f32_e32 v7, v37, v7
	s_or_b32 exec_lo, exec_lo, s0
	s_and_saveexec_b32 s0, vcc_lo
	s_cbranch_execz .LBB130_164
.LBB130_231:
	ds_load_b32 v37, v36 offset:864
	s_waitcnt lgkmcnt(0)
	v_add_f32_e32 v6, v37, v6
	s_or_b32 exec_lo, exec_lo, s0
	s_and_saveexec_b32 s0, vcc_lo
	s_cbranch_execz .LBB130_165
.LBB130_232:
	ds_load_b32 v37, v36 offset:896
	s_waitcnt lgkmcnt(0)
	v_add_f32_e32 v3, v37, v3
	s_or_b32 exec_lo, exec_lo, s0
	s_and_saveexec_b32 s0, vcc_lo
	s_cbranch_execz .LBB130_166
.LBB130_233:
	ds_load_b32 v37, v36 offset:928
	s_waitcnt lgkmcnt(0)
	v_add_f32_e32 v2, v37, v2
	s_or_b32 exec_lo, exec_lo, s0
	s_and_saveexec_b32 s0, vcc_lo
	s_cbranch_execz .LBB130_167
.LBB130_234:
	ds_load_b32 v37, v36 offset:960
	s_waitcnt lgkmcnt(0)
	v_add_f32_e32 v1, v37, v1
	s_or_b32 exec_lo, exec_lo, s0
	s_and_saveexec_b32 s0, vcc_lo
	s_cbranch_execnz .LBB130_168
	s_branch .LBB130_169
.Lfunc_end130:
	.size	_ZN4vllm22paged_attention_kernelIttLi256ELi32ELi128ELNS_18Fp8KVCacheDataTypeE0ELb0ELi512EEEvPfS2_PT_PKS3_PKT0_S9_ifPKiSB_iPKfiiiSD_SD_iiiii, .Lfunc_end130-_ZN4vllm22paged_attention_kernelIttLi256ELi32ELi128ELNS_18Fp8KVCacheDataTypeE0ELb0ELi512EEEvPfS2_PT_PKS3_PKT0_S9_ifPKiSB_iPKfiiiSD_SD_iiiii
                                        ; -- End function
	.section	.AMDGPU.csdata,"",@progbits
; Function info:
; codeLenInByte = 39832
; NumSgprs: 35
; NumVgprs: 184
; ScratchSize: 292
; MemoryBound: 0
	.section	.text._ZN4vllm25paged_attention_v2_kernelIttLi256ELi32ELi128ELNS_18Fp8KVCacheDataTypeE0ELb0ELi512EEEvPfS2_PT_PKS3_PKT0_S9_ifPKiSB_iPKfiiiSD_SD_iiiii,"axG",@progbits,_ZN4vllm25paged_attention_v2_kernelIttLi256ELi32ELi128ELNS_18Fp8KVCacheDataTypeE0ELb0ELi512EEEvPfS2_PT_PKS3_PKT0_S9_ifPKiSB_iPKfiiiSD_SD_iiiii,comdat
	.protected	_ZN4vllm25paged_attention_v2_kernelIttLi256ELi32ELi128ELNS_18Fp8KVCacheDataTypeE0ELb0ELi512EEEvPfS2_PT_PKS3_PKT0_S9_ifPKiSB_iPKfiiiSD_SD_iiiii ; -- Begin function _ZN4vllm25paged_attention_v2_kernelIttLi256ELi32ELi128ELNS_18Fp8KVCacheDataTypeE0ELb0ELi512EEEvPfS2_PT_PKS3_PKT0_S9_ifPKiSB_iPKfiiiSD_SD_iiiii
	.globl	_ZN4vllm25paged_attention_v2_kernelIttLi256ELi32ELi128ELNS_18Fp8KVCacheDataTypeE0ELb0ELi512EEEvPfS2_PT_PKS3_PKT0_S9_ifPKiSB_iPKfiiiSD_SD_iiiii
	.p2align	8
	.type	_ZN4vllm25paged_attention_v2_kernelIttLi256ELi32ELi128ELNS_18Fp8KVCacheDataTypeE0ELb0ELi512EEEvPfS2_PT_PKS3_PKT0_S9_ifPKiSB_iPKfiiiSD_SD_iiiii,@function
_ZN4vllm25paged_attention_v2_kernelIttLi256ELi32ELi128ELNS_18Fp8KVCacheDataTypeE0ELb0ELi512EEEvPfS2_PT_PKS3_PKT0_S9_ifPKiSB_iPKfiiiSD_SD_iiiii: ; @_ZN4vllm25paged_attention_v2_kernelIttLi256ELi32ELi128ELNS_18Fp8KVCacheDataTypeE0ELb0ELi512EEEvPfS2_PT_PKS3_PKT0_S9_ifPKiSB_iPKfiiiSD_SD_iiiii
; %bb.0:
	s_mov_b32 s12, s13
	s_clause 0x5
	s_load_b256 s[24:31], s[0:1], 0x0
	s_load_b256 s[16:23], s[0:1], 0x20
	s_load_b64 s[2:3], s[0:1], 0x40
	s_load_b64 s[10:11], s[0:1], 0x50
	s_load_b32 s13, s[0:1], 0x48
	s_load_b128 s[4:7], s[0:1], 0x58
	v_mov_b32_e32 v31, v0
	s_add_u32 s8, s0, 0x90
	s_addc_u32 s9, s1, 0
	s_mov_b32 s32, 0
	s_getpc_b64 s[0:1]
	s_add_u32 s0, s0, _ZN4vllm22paged_attention_kernelIttLi256ELi32ELi128ELNS_18Fp8KVCacheDataTypeE0ELb0ELi512EEEvPfS2_PT_PKS3_PKT0_S9_ifPKiSB_iPKfiiiSD_SD_iiiii@rel32@lo+4
	s_addc_u32 s1, s1, _ZN4vllm22paged_attention_kernelIttLi256ELi32ELi128ELNS_18Fp8KVCacheDataTypeE0ELb0ELi512EEEvPfS2_PT_PKS3_PKT0_S9_ifPKiSB_iPKfiiiSD_SD_iiiii@rel32@hi+12
	s_waitcnt lgkmcnt(0)
	v_dual_mov_b32 v0, s24 :: v_dual_mov_b32 v1, s25
	v_dual_mov_b32 v2, s26 :: v_dual_mov_b32 v3, s27
	;; [unrolled: 1-line block ×12, first 2 shown]
	s_mov_b32 s13, s14
	s_mov_b32 s14, s15
	s_movk_i32 s15, 0x75
	s_swappc_b64 s[30:31], s[0:1]
	s_endpgm
	.section	.rodata,"a",@progbits
	.p2align	6, 0x0
	.amdhsa_kernel _ZN4vllm25paged_attention_v2_kernelIttLi256ELi32ELi128ELNS_18Fp8KVCacheDataTypeE0ELb0ELi512EEEvPfS2_PT_PKS3_PKT0_S9_ifPKiSB_iPKfiiiSD_SD_iiiii
		.amdhsa_group_segment_fixed_size 544
		.amdhsa_private_segment_fixed_size 292
		.amdhsa_kernarg_size 400
		.amdhsa_user_sgpr_count 13
		.amdhsa_user_sgpr_dispatch_ptr 0
		.amdhsa_user_sgpr_queue_ptr 0
		.amdhsa_user_sgpr_kernarg_segment_ptr 1
		.amdhsa_user_sgpr_dispatch_id 0
		.amdhsa_user_sgpr_private_segment_size 0
		.amdhsa_wavefront_size32 1
		.amdhsa_uses_dynamic_stack 0
		.amdhsa_enable_private_segment 1
		.amdhsa_system_sgpr_workgroup_id_x 1
		.amdhsa_system_sgpr_workgroup_id_y 1
		.amdhsa_system_sgpr_workgroup_id_z 1
		.amdhsa_system_sgpr_workgroup_info 0
		.amdhsa_system_vgpr_workitem_id 0
		.amdhsa_next_free_vgpr 184
		.amdhsa_next_free_sgpr 33
		.amdhsa_reserve_vcc 1
		.amdhsa_float_round_mode_32 0
		.amdhsa_float_round_mode_16_64 0
		.amdhsa_float_denorm_mode_32 3
		.amdhsa_float_denorm_mode_16_64 3
		.amdhsa_dx10_clamp 1
		.amdhsa_ieee_mode 1
		.amdhsa_fp16_overflow 0
		.amdhsa_workgroup_processor_mode 1
		.amdhsa_memory_ordered 1
		.amdhsa_forward_progress 0
		.amdhsa_shared_vgpr_count 0
		.amdhsa_exception_fp_ieee_invalid_op 0
		.amdhsa_exception_fp_denorm_src 0
		.amdhsa_exception_fp_ieee_div_zero 0
		.amdhsa_exception_fp_ieee_overflow 0
		.amdhsa_exception_fp_ieee_underflow 0
		.amdhsa_exception_fp_ieee_inexact 0
		.amdhsa_exception_int_div_zero 0
	.end_amdhsa_kernel
	.section	.text._ZN4vllm25paged_attention_v2_kernelIttLi256ELi32ELi128ELNS_18Fp8KVCacheDataTypeE0ELb0ELi512EEEvPfS2_PT_PKS3_PKT0_S9_ifPKiSB_iPKfiiiSD_SD_iiiii,"axG",@progbits,_ZN4vllm25paged_attention_v2_kernelIttLi256ELi32ELi128ELNS_18Fp8KVCacheDataTypeE0ELb0ELi512EEEvPfS2_PT_PKS3_PKT0_S9_ifPKiSB_iPKfiiiSD_SD_iiiii,comdat
.Lfunc_end131:
	.size	_ZN4vllm25paged_attention_v2_kernelIttLi256ELi32ELi128ELNS_18Fp8KVCacheDataTypeE0ELb0ELi512EEEvPfS2_PT_PKS3_PKT0_S9_ifPKiSB_iPKfiiiSD_SD_iiiii, .Lfunc_end131-_ZN4vllm25paged_attention_v2_kernelIttLi256ELi32ELi128ELNS_18Fp8KVCacheDataTypeE0ELb0ELi512EEEvPfS2_PT_PKS3_PKT0_S9_ifPKiSB_iPKfiiiSD_SD_iiiii
                                        ; -- End function
	.section	.AMDGPU.csdata,"",@progbits
; Kernel info:
; codeLenInByte = 216
; NumSgprs: 35
; NumVgprs: 184
; ScratchSize: 292
; MemoryBound: 0
; FloatMode: 240
; IeeeMode: 1
; LDSByteSize: 544 bytes/workgroup (compile time only)
; SGPRBlocks: 4
; VGPRBlocks: 22
; NumSGPRsForWavesPerEU: 35
; NumVGPRsForWavesPerEU: 184
; Occupancy: 8
; WaveLimiterHint : 1
; COMPUTE_PGM_RSRC2:SCRATCH_EN: 1
; COMPUTE_PGM_RSRC2:USER_SGPR: 13
; COMPUTE_PGM_RSRC2:TRAP_HANDLER: 0
; COMPUTE_PGM_RSRC2:TGID_X_EN: 1
; COMPUTE_PGM_RSRC2:TGID_Y_EN: 1
; COMPUTE_PGM_RSRC2:TGID_Z_EN: 1
; COMPUTE_PGM_RSRC2:TIDIG_COMP_CNT: 0
	.section	.text._ZN4vllm25paged_attention_v2_kernelI14__hip_bfloat16S1_Li32ELi8ELi128ELNS_18Fp8KVCacheDataTypeE0ELb1ELi512EEEvPfS3_PT_PKS4_PKT0_SA_ifPKiSC_iPKfiiiSE_SE_iiiii,"axG",@progbits,_ZN4vllm25paged_attention_v2_kernelI14__hip_bfloat16S1_Li32ELi8ELi128ELNS_18Fp8KVCacheDataTypeE0ELb1ELi512EEEvPfS3_PT_PKS4_PKT0_SA_ifPKiSC_iPKfiiiSE_SE_iiiii,comdat
	.protected	_ZN4vllm25paged_attention_v2_kernelI14__hip_bfloat16S1_Li32ELi8ELi128ELNS_18Fp8KVCacheDataTypeE0ELb1ELi512EEEvPfS3_PT_PKS4_PKT0_SA_ifPKiSC_iPKfiiiSE_SE_iiiii ; -- Begin function _ZN4vllm25paged_attention_v2_kernelI14__hip_bfloat16S1_Li32ELi8ELi128ELNS_18Fp8KVCacheDataTypeE0ELb1ELi512EEEvPfS3_PT_PKS4_PKT0_SA_ifPKiSC_iPKfiiiSE_SE_iiiii
	.globl	_ZN4vllm25paged_attention_v2_kernelI14__hip_bfloat16S1_Li32ELi8ELi128ELNS_18Fp8KVCacheDataTypeE0ELb1ELi512EEEvPfS3_PT_PKS4_PKT0_SA_ifPKiSC_iPKfiiiSE_SE_iiiii
	.p2align	8
	.type	_ZN4vllm25paged_attention_v2_kernelI14__hip_bfloat16S1_Li32ELi8ELi128ELNS_18Fp8KVCacheDataTypeE0ELb1ELi512EEEvPfS3_PT_PKS4_PKT0_SA_ifPKiSC_iPKfiiiSE_SE_iiiii,@function
_ZN4vllm25paged_attention_v2_kernelI14__hip_bfloat16S1_Li32ELi8ELi128ELNS_18Fp8KVCacheDataTypeE0ELb1ELi512EEEvPfS3_PT_PKS4_PKT0_SA_ifPKiSC_iPKfiiiSE_SE_iiiii: ; @_ZN4vllm25paged_attention_v2_kernelI14__hip_bfloat16S1_Li32ELi8ELi128ELNS_18Fp8KVCacheDataTypeE0ELb1ELi512EEEvPfS3_PT_PKS4_PKT0_SA_ifPKiSC_iPKfiiiSE_SE_iiiii
; %bb.0:
	s_load_b64 s[2:3], s[0:1], 0x40
	s_mov_b32 s12, s15
	s_ashr_i32 s15, s14, 31
	s_delay_alu instid0(SALU_CYCLE_1)
	s_lshl_b64 s[4:5], s[14:15], 2
	s_waitcnt lgkmcnt(0)
	s_add_u32 s2, s2, s4
	s_addc_u32 s3, s3, s5
	s_lshl_b32 s38, s12, 9
	s_load_b32 s15, s[2:3], 0x0
	s_waitcnt lgkmcnt(0)
	s_cmp_ge_i32 s38, s15
	s_cbranch_scc1 .LBB132_122
; %bb.1:
	s_mov_b32 s24, s13
	s_clause 0x1
	s_load_b32 s13, s[0:1], 0x90
	s_load_b64 s[36:37], s[0:1], 0x30
	s_mov_b32 s40, 0
	s_waitcnt lgkmcnt(0)
	s_abs_i32 s5, s13
	s_abs_i32 s2, s36
	s_delay_alu instid0(SALU_CYCLE_1) | instskip(SKIP_1) | instid1(VALU_DEP_1)
	v_cvt_f32_u32_e32 v1, s2
	s_sub_i32 s4, 0, s2
	v_rcp_iflag_f32_e32 v1, v1
	s_waitcnt_depctr 0xfff
	v_mul_f32_e32 v1, 0x4f7ffffe, v1
	s_delay_alu instid0(VALU_DEP_1) | instskip(NEXT) | instid1(VALU_DEP_1)
	v_cvt_u32_f32_e32 v1, v1
	v_readfirstlane_b32 s3, v1
	s_delay_alu instid0(VALU_DEP_1) | instskip(NEXT) | instid1(SALU_CYCLE_1)
	s_mul_i32 s4, s4, s3
	s_mul_hi_u32 s4, s3, s4
	s_delay_alu instid0(SALU_CYCLE_1) | instskip(SKIP_4) | instid1(SALU_CYCLE_1)
	s_add_i32 s3, s3, s4
	s_xor_b32 s4, s13, s36
	s_mul_hi_u32 s3, s5, s3
	s_ashr_i32 s4, s4, 31
	s_mul_i32 s6, s3, s2
	s_sub_i32 s5, s5, s6
	s_add_i32 s6, s3, 1
	s_sub_i32 s7, s5, s2
	s_cmp_ge_u32 s5, s2
	s_cselect_b32 s3, s6, s3
	s_cselect_b32 s5, s7, s5
	s_add_i32 s6, s3, 1
	s_cmp_ge_u32 s5, s2
	s_cselect_b32 s2, s6, s3
	s_abs_i32 s17, s24
	s_xor_b32 s2, s2, s4
	s_delay_alu instid0(SALU_CYCLE_1) | instskip(SKIP_2) | instid1(SALU_CYCLE_1)
	s_sub_i32 s8, s2, s4
	s_load_b64 s[2:3], s[0:1], 0x50
	s_abs_i32 s16, s8
	v_cvt_f32_u32_e32 v1, s16
	s_sub_i32 s5, 0, s16
	s_delay_alu instid0(VALU_DEP_1) | instskip(SKIP_2) | instid1(VALU_DEP_1)
	v_rcp_iflag_f32_e32 v1, v1
	s_waitcnt_depctr 0xfff
	v_mul_f32_e32 v1, 0x4f7ffffe, v1
	v_cvt_u32_f32_e32 v1, v1
	s_delay_alu instid0(VALU_DEP_1) | instskip(NEXT) | instid1(VALU_DEP_1)
	v_readfirstlane_b32 s4, v1
	s_mul_i32 s5, s5, s4
	s_delay_alu instid0(SALU_CYCLE_1) | instskip(NEXT) | instid1(SALU_CYCLE_1)
	s_mul_hi_u32 s5, s4, s5
	s_add_i32 s4, s4, s5
	s_waitcnt lgkmcnt(0)
	s_cmp_eq_u64 s[2:3], 0
	s_mul_hi_u32 s18, s17, s4
	s_cbranch_scc1 .LBB132_3
; %bb.2:
	s_ashr_i32 s25, s24, 31
	s_delay_alu instid0(SALU_CYCLE_1) | instskip(NEXT) | instid1(SALU_CYCLE_1)
	s_lshl_b64 s[4:5], s[24:25], 2
	s_add_u32 s2, s2, s4
	s_addc_u32 s3, s3, s5
	s_load_b32 s40, s[2:3], 0x0
.LBB132_3:
	s_load_b128 s[4:7], s[0:1], 0x58
	v_and_b32_e32 v1, 3, v0
	v_lshlrev_b32_e32 v2, 2, v0
	s_ashr_i32 s2, s24, 31
	s_ashr_i32 s3, s8, 31
	s_lshl_b32 s20, s24, 5
	s_waitcnt lgkmcnt(0)
	s_mov_b32 s7, exec_lo
	v_cmpx_gt_u32_e32 16, v0
	s_cbranch_execz .LBB132_5
; %bb.4:
	s_load_b64 s[8:9], s[0:1], 0x18
	s_mul_i32 s10, s14, s4
	v_and_b32_e32 v4, 0x3fc, v0
	s_ashr_i32 s11, s10, 31
	s_delay_alu instid0(SALU_CYCLE_1) | instskip(NEXT) | instid1(VALU_DEP_1)
	s_lshl_b64 s[10:11], s[10:11], 1
	v_lshl_add_u32 v4, v1, 4, v4
	s_waitcnt lgkmcnt(0)
	s_add_u32 s4, s8, s10
	s_addc_u32 s10, s9, s11
	s_ashr_i32 s21, s20, 31
	s_delay_alu instid0(SALU_CYCLE_1) | instskip(NEXT) | instid1(SALU_CYCLE_1)
	s_lshl_b64 s[8:9], s[20:21], 1
	s_add_u32 s8, s4, s8
	s_addc_u32 s9, s10, s9
	global_load_b32 v3, v2, s[8:9]
	s_waitcnt vmcnt(0)
	ds_store_b32 v4, v3
.LBB132_5:
	s_or_b32 exec_lo, exec_lo, s7
	s_load_b128 s[8:11], s[0:1], 0x78
	s_mul_i32 s4, s18, s16
	s_xor_b32 s2, s2, s3
	s_sub_i32 s3, s17, s4
	s_add_i32 s4, s18, 1
	s_sub_i32 s7, s3, s16
	s_cmp_ge_u32 s3, s16
	s_mov_b32 s17, -1
	s_cselect_b32 s4, s4, s18
	s_cselect_b32 s3, s7, s3
	s_add_i32 s7, s4, 1
	s_cmp_ge_u32 s3, s16
	s_waitcnt lgkmcnt(0)
	s_cselect_b32 s3, s7, s4
	s_load_b32 s4, s[0:1], 0x88
	s_xor_b32 s3, s3, s2
	s_add_i32 s16, s15, -1
	s_sub_i32 s3, s3, s2
	s_abs_i32 s7, s16
	s_waitcnt lgkmcnt(0)
	s_barrier
	s_abs_i32 s21, s11
	buffer_gl0_inv
	v_cvt_f32_u32_e32 v3, s21
	s_sub_i32 s2, 0, s21
                                        ; implicit-def: $sgpr33
	s_delay_alu instid0(VALU_DEP_1) | instskip(SKIP_2) | instid1(VALU_DEP_1)
	v_rcp_iflag_f32_e32 v3, v3
	s_waitcnt_depctr 0xfff
	v_mul_f32_e32 v3, 0x4f7ffffe, v3
	v_cvt_u32_f32_e32 v3, v3
	s_delay_alu instid0(VALU_DEP_1) | instskip(NEXT) | instid1(VALU_DEP_1)
	v_readfirstlane_b32 s25, v3
	s_mul_i32 s2, s2, s25
	s_delay_alu instid0(SALU_CYCLE_1) | instskip(NEXT) | instid1(SALU_CYCLE_1)
	s_mul_hi_u32 s2, s25, s2
	s_add_i32 s25, s25, s2
	s_cmp_lt_i32 s4, 0
	s_mul_hi_u32 s2, s7, s25
	s_cbranch_scc0 .LBB132_7
; %bb.6:
	s_mul_i32 s17, s8, s36
	s_delay_alu instid0(SALU_CYCLE_1) | instskip(NEXT) | instid1(SALU_CYCLE_1)
	s_add_i32 s17, s3, s17
	s_mul_i32 s17, s17, s4
	s_delay_alu instid0(SALU_CYCLE_1)
	s_sub_i32 s33, 1, s17
	s_mov_b32 s17, 0
.LBB132_7:
	s_load_b64 s[26:27], s[0:1], 0x38
	s_ashr_i32 s28, s16, 31
	s_and_not1_b32 vcc_lo, exec_lo, s17
	s_ashr_i32 s11, s11, 31
	s_cbranch_vccnz .LBB132_9
; %bb.8:
	s_mul_i32 s8, s13, s8
	s_delay_alu instid0(SALU_CYCLE_1) | instskip(NEXT) | instid1(SALU_CYCLE_1)
	s_add_i32 s8, s8, s24
	s_mul_i32 s4, s8, s4
	s_delay_alu instid0(SALU_CYCLE_1)
	s_add_i32 s33, s4, 1
.LBB132_9:
	s_clause 0x4
	s_load_b32 s8, s[0:1], 0x48
	s_load_b64 s[30:31], s[0:1], 0x28
	s_load_b32 s4, s[0:1], 0x98
	s_load_b128 s[16:19], s[0:1], 0x0
	s_load_b64 s[22:23], s[0:1], 0x10
	s_xor_b32 s34, s28, s11
	s_mul_i32 s28, s2, s21
	s_add_i32 s35, s2, 1
	s_sub_i32 s7, s7, s28
	v_lshrrev_b32_e32 v12, 5, v0
	v_mov_b32_e32 v4, 0xff7fffff
	v_mbcnt_lo_u32_b32 v3, -1, 0
	s_delay_alu instid0(VALU_DEP_3)
	v_lshl_add_u32 v13, v12, 3, s38
	s_waitcnt lgkmcnt(0)
	s_mul_i32 s28, s14, s8
	s_sub_i32 s8, s7, s21
	s_ashr_i32 s29, s28, 31
	s_cmp_ge_u32 s7, s21
	s_cselect_b32 s2, s35, s2
	s_cselect_b32 s7, s8, s7
	s_add_i32 s8, s2, 1
	s_cmp_ge_u32 s7, s21
	s_cselect_b32 s2, s8, s2
	s_add_i32 s8, s15, 7
	s_lshl_b32 s7, s12, 6
	s_ashr_i32 s35, s8, 31
	v_or_b32_e32 v9, s7, v12
	s_lshr_b32 s35, s35, 29
	s_xor_b32 s39, s2, s34
	s_add_i32 s8, s8, s35
	s_add_i32 s35, s7, 64
	s_ashr_i32 s36, s8, 3
	v_ashrrev_i32_e32 v10, 31, v9
	s_min_i32 s8, s35, s36
	s_sub_i32 s39, s39, s34
	v_cmp_gt_i32_e64 s2, s8, v9
	s_mul_i32 s34, s3, s6
	s_delay_alu instid0(VALU_DEP_1)
	s_and_saveexec_b32 s6, s2
	s_cbranch_execz .LBB132_19
; %bb.10:
	s_load_b64 s[0:1], s[0:1], 0x20
	s_ashr_i32 s35, s34, 31
	v_bfe_u32 v5, v0, 2, 3
	s_lshl_b64 s[42:43], s[34:35], 1
	s_sub_i32 s35, s39, s9
	v_cmp_eq_u32_e32 vcc_lo, 0, v1
	v_dual_mov_b32 v8, 0xff7fffff :: v_dual_and_b32 v17, 12, v2
	v_subrev_nc_u32_e32 v18, s15, v5
	v_lshlrev_b32_e32 v6, 4, v1
	v_lshlrev_b64 v[1:2], 2, v[9:10]
	v_lshl_add_u32 v7, v12, 3, s38
	v_xor_b32_e32 v11, 2, v3
	v_xor_b32_e32 v14, 1, v3
	v_lshlrev_b32_e32 v21, 4, v5
	s_waitcnt lgkmcnt(0)
	s_add_u32 s3, s0, s42
	s_addc_u32 s1, s1, s43
	s_abs_i32 s41, s10
	v_cmp_neq_f32_e64 s0, s40, 0
	v_cvt_f32_u32_e32 v4, s41
	s_sub_i32 s42, 0, s41
	s_delay_alu instid0(VALU_DEP_1) | instskip(SKIP_2) | instid1(VALU_DEP_1)
	v_rcp_iflag_f32_e32 v4, v4
	s_waitcnt_depctr 0xfff
	v_dual_mul_f32 v16, 0x4f7ffffe, v4 :: v_dual_lshlrev_b32 v15, 2, v5
	v_lshl_or_b32 v19, v12, 5, v15
	v_dual_mov_b32 v4, 0xff7fffff :: v_dual_add_nc_u32 v15, 1, v18
	s_delay_alu instid0(VALU_DEP_3) | instskip(NEXT) | instid1(VALU_DEP_3)
	v_cvt_u32_f32_e32 v20, v16
	v_add_nc_u32_e32 v16, 0x60, v19
	v_add_co_u32 v19, s3, s3, v21
	s_delay_alu instid0(VALU_DEP_1) | instskip(NEXT) | instid1(VALU_DEP_4)
	v_add_co_ci_u32_e64 v21, null, s1, 0, s3
	v_mul_lo_u32 v18, s42, v20
	s_lshl_b64 s[42:43], s[28:29], 2
	s_delay_alu instid0(SALU_CYCLE_1) | instskip(SKIP_2) | instid1(VALU_DEP_1)
	s_add_u32 s1, s26, s42
	s_addc_u32 s3, s27, s43
	v_add_co_u32 v1, s1, s1, v1
	v_add_co_ci_u32_e64 v2, s1, s3, v2, s1
	s_delay_alu instid0(VALU_DEP_3) | instskip(SKIP_1) | instid1(VALU_DEP_1)
	v_mul_hi_u32 v22, v20, v18
	v_add_co_u32 v17, s1, v19, v17
	v_add_co_ci_u32_e64 v18, s1, 0, v21, s1
	s_mov_b32 s42, 0
	s_mov_b32 s43, s5
	s_delay_alu instid0(VALU_DEP_3)
	v_dual_mov_b32 v20, v9 :: v_dual_add_nc_u32 v19, v20, v22
	s_branch .LBB132_13
.LBB132_11:                             ;   in Loop: Header=BB132_13 Depth=1
	s_or_b32 exec_lo, exec_lo, s44
.LBB132_12:                             ;   in Loop: Header=BB132_13 Depth=1
	s_delay_alu instid0(SALU_CYCLE_1) | instskip(SKIP_2) | instid1(VALU_DEP_1)
	s_or_b32 exec_lo, exec_lo, s3
	v_add_nc_u32_e32 v20, 4, v20
	v_add_co_u32 v1, s3, v1, 16
	v_add_co_ci_u32_e64 v2, s3, 0, v2, s3
	s_delay_alu instid0(VALU_DEP_3) | instskip(SKIP_2) | instid1(VALU_DEP_3)
	v_cmp_le_i32_e64 s1, s8, v20
	v_add_nc_u32_e32 v7, 32, v7
	v_add_nc_u32_e32 v16, 0x80, v16
	s_or_b32 s42, s1, s42
	s_delay_alu instid0(SALU_CYCLE_1)
	s_and_not1_b32 exec_lo, exec_lo, s42
	s_cbranch_execz .LBB132_18
.LBB132_13:                             ; =>This Inner Loop Header: Depth=1
	v_sub_nc_u32_e32 v21, 0, v7
	s_delay_alu instid0(VALU_DEP_1) | instskip(SKIP_1) | instid1(VALU_DEP_1)
	v_max_i32_e32 v21, v7, v21
	s_waitcnt lgkmcnt(0)
	v_mul_hi_u32 v22, v21, s25
	s_delay_alu instid0(VALU_DEP_1) | instskip(NEXT) | instid1(VALU_DEP_1)
	v_mul_lo_u32 v23, v22, s21
	v_sub_nc_u32_e32 v21, v21, v23
	v_add_nc_u32_e32 v23, 1, v22
	s_delay_alu instid0(VALU_DEP_2) | instskip(SKIP_1) | instid1(VALU_DEP_1)
	v_subrev_nc_u32_e32 v24, s21, v21
	v_cmp_le_u32_e64 s1, s21, v21
	v_cndmask_b32_e64 v22, v22, v23, s1
	s_delay_alu instid0(VALU_DEP_3) | instskip(SKIP_1) | instid1(VALU_DEP_3)
	v_cndmask_b32_e64 v21, v21, v24, s1
	v_ashrrev_i32_e32 v23, 31, v7
	v_add_nc_u32_e32 v24, 1, v22
	s_delay_alu instid0(VALU_DEP_3) | instskip(NEXT) | instid1(VALU_DEP_3)
	v_cmp_le_u32_e64 s1, s21, v21
	v_xor_b32_e32 v23, s11, v23
	s_delay_alu instid0(VALU_DEP_2) | instskip(NEXT) | instid1(VALU_DEP_1)
	v_cndmask_b32_e64 v21, v22, v24, s1
	v_xor_b32_e32 v21, v21, v23
	s_delay_alu instid0(VALU_DEP_1) | instskip(NEXT) | instid1(VALU_DEP_1)
	v_sub_nc_u32_e32 v21, v21, v23
	v_add_nc_u32_e32 v22, s33, v21
	v_cmp_ge_i32_e64 s3, s35, v21
	s_delay_alu instid0(VALU_DEP_2) | instskip(NEXT) | instid1(VALU_DEP_1)
	v_sub_nc_u32_e32 v23, 0, v22
	v_max_i32_e32 v23, v22, v23
	v_ashrrev_i32_e32 v22, 31, v22
	s_delay_alu instid0(VALU_DEP_2) | instskip(NEXT) | instid1(VALU_DEP_1)
	v_mul_hi_u32 v24, v23, v19
	v_mul_lo_u32 v24, v24, s41
	s_delay_alu instid0(VALU_DEP_1) | instskip(NEXT) | instid1(VALU_DEP_1)
	v_sub_nc_u32_e32 v23, v23, v24
	v_subrev_nc_u32_e32 v24, s41, v23
	v_cmp_le_u32_e64 s1, s41, v23
	s_delay_alu instid0(VALU_DEP_1) | instskip(NEXT) | instid1(VALU_DEP_1)
	v_cndmask_b32_e64 v23, v23, v24, s1
	v_subrev_nc_u32_e32 v24, s41, v23
	v_cmp_le_u32_e64 s1, s41, v23
	s_delay_alu instid0(VALU_DEP_1) | instskip(NEXT) | instid1(VALU_DEP_1)
	v_cndmask_b32_e64 v23, v23, v24, s1
	v_xor_b32_e32 v23, v23, v22
	s_delay_alu instid0(VALU_DEP_1) | instskip(NEXT) | instid1(VALU_DEP_1)
	v_sub_nc_u32_e32 v22, v23, v22
	v_cmp_ne_u32_e64 s1, 0, v22
	s_delay_alu instid0(VALU_DEP_1) | instskip(NEXT) | instid1(SALU_CYCLE_1)
	s_and_b32 s1, s1, s3
	s_and_b32 s44, vcc_lo, s1
	s_delay_alu instid0(SALU_CYCLE_1)
	s_and_saveexec_b32 s3, s44
	s_cbranch_execz .LBB132_15
; %bb.14:                               ;   in Loop: Header=BB132_13 Depth=1
	ds_store_b32 v16, v8
.LBB132_15:                             ;   in Loop: Header=BB132_13 Depth=1
	s_or_b32 exec_lo, exec_lo, s3
	s_xor_b32 s1, s1, -1
	s_delay_alu instid0(SALU_CYCLE_1)
	s_and_saveexec_b32 s3, s1
	s_cbranch_execz .LBB132_12
; %bb.16:                               ;   in Loop: Header=BB132_13 Depth=1
	global_load_b32 v23, v[1:2], off
	s_waitcnt vmcnt(0)
	v_mad_i64_i32 v[21:22], null, v23, s43, 0
	s_delay_alu instid0(VALU_DEP_1) | instskip(NEXT) | instid1(VALU_DEP_1)
	v_lshlrev_b64 v[21:22], 1, v[21:22]
	v_add_co_u32 v21, s1, v17, v21
	s_delay_alu instid0(VALU_DEP_1)
	v_add_co_ci_u32_e64 v22, s1, v18, v22, s1
	v_cmp_gt_i32_e64 s1, 32, v11
	s_clause 0x3
	global_load_b32 v25, v[21:22], off offset:128
	global_load_b32 v26, v[21:22], off
	global_load_b32 v27, v[21:22], off offset:256
	global_load_b32 v28, v[21:22], off offset:384
	ds_load_b128 v[21:24], v6
	s_waitcnt lgkmcnt(0)
	v_lshlrev_b32_e32 v30, 16, v22
	v_and_b32_e32 v22, 0xffff0000, v22
	v_lshlrev_b32_e32 v32, 16, v24
	s_waitcnt vmcnt(2)
	v_lshlrev_b32_e32 v34, 16, v26
	v_lshlrev_b32_e32 v33, 16, v25
	;; [unrolled: 1-line block ×3, first 2 shown]
	v_and_b32_e32 v26, 0xffff0000, v26
	s_delay_alu instid0(VALU_DEP_3) | instskip(SKIP_2) | instid1(VALU_DEP_1)
	v_dual_mul_f32 v30, v30, v33 :: v_dual_and_b32 v23, 0xffff0000, v23
	v_and_b32_e32 v25, 0xffff0000, v25
	s_waitcnt vmcnt(1)
	v_dual_mul_f32 v22, v22, v25 :: v_dual_lshlrev_b32 v25, 16, v27
	v_lshlrev_b32_e32 v29, 16, v21
	v_and_b32_e32 v21, 0xffff0000, v21
	s_delay_alu instid0(VALU_DEP_1) | instskip(NEXT) | instid1(VALU_DEP_3)
	v_fmac_f32_e32 v22, v21, v26
	v_dual_fmac_f32 v30, v29, v34 :: v_dual_and_b32 v21, 0xffff0000, v24
	s_waitcnt vmcnt(0)
	v_and_b32_e32 v26, 0xffff0000, v28
	v_and_b32_e32 v27, 0xffff0000, v27
	v_lshlrev_b32_e32 v24, 16, v28
	v_fmac_f32_e32 v30, v31, v25
	s_delay_alu instid0(VALU_DEP_3) | instskip(SKIP_1) | instid1(VALU_DEP_3)
	v_fmac_f32_e32 v22, v23, v27
	v_cndmask_b32_e64 v23, v3, v11, s1
	v_fmac_f32_e32 v30, v32, v24
	v_cmp_gt_i32_e64 s1, 32, v14
	s_delay_alu instid0(VALU_DEP_3) | instskip(NEXT) | instid1(VALU_DEP_2)
	v_dual_fmac_f32 v22, v21, v26 :: v_dual_lshlrev_b32 v21, 2, v23
	v_cndmask_b32_e64 v23, v3, v14, s1
	s_delay_alu instid0(VALU_DEP_1)
	v_dual_add_f32 v22, v30, v22 :: v_dual_lshlrev_b32 v23, 2, v23
	ds_bpermute_b32 v21, v21, v22
	s_waitcnt lgkmcnt(0)
	v_add_f32_e32 v21, v22, v21
	ds_bpermute_b32 v22, v23, v21
	s_and_saveexec_b32 s44, vcc_lo
	s_cbranch_execz .LBB132_11
; %bb.17:                               ;   in Loop: Header=BB132_13 Depth=1
	s_waitcnt lgkmcnt(0)
	v_add_f32_e32 v21, v21, v22
	v_add_nc_u32_e32 v23, v15, v7
	s_delay_alu instid0(VALU_DEP_1) | instskip(NEXT) | instid1(VALU_DEP_1)
	v_cvt_f32_i32_e32 v23, v23
	v_mul_f32_e32 v23, s40, v23
	s_delay_alu instid0(VALU_DEP_1) | instskip(NEXT) | instid1(VALU_DEP_1)
	v_cndmask_b32_e64 v22, 0, v23, s0
	v_dual_max_f32 v23, v4, v4 :: v_dual_fmac_f32 v22, s37, v21
	v_add_nc_u32_e32 v21, v5, v7
	s_delay_alu instid0(VALU_DEP_2) | instskip(NEXT) | instid1(VALU_DEP_2)
	v_max_f32_e32 v23, v23, v22
	v_cmp_gt_i32_e64 s1, s15, v21
	s_delay_alu instid0(VALU_DEP_1) | instskip(NEXT) | instid1(VALU_DEP_3)
	v_cndmask_b32_e64 v21, 0, v22, s1
	v_cndmask_b32_e64 v4, v4, v23, s1
	ds_store_b32 v16, v21
	s_branch .LBB132_11
.LBB132_18:
	s_or_b32 exec_lo, exec_lo, s42
.LBB132_19:
	s_delay_alu instid0(SALU_CYCLE_1) | instskip(SKIP_4) | instid1(VALU_DEP_4)
	s_or_b32 exec_lo, exec_lo, s6
	v_xor_b32_e32 v1, 16, v3
	v_xor_b32_e32 v5, 8, v3
	v_max_f32_e32 v6, v4, v4
	v_and_b32_e32 v14, 31, v0
	v_cmp_gt_i32_e32 vcc_lo, 32, v1
	v_cndmask_b32_e32 v1, v3, v1, vcc_lo
	v_cmp_gt_i32_e32 vcc_lo, 32, v5
	s_delay_alu instid0(VALU_DEP_2) | instskip(SKIP_4) | instid1(VALU_DEP_1)
	v_lshlrev_b32_e32 v2, 2, v1
	ds_bpermute_b32 v1, v2, v4
	v_cndmask_b32_e32 v4, v3, v5, vcc_lo
	s_waitcnt lgkmcnt(0)
	v_max_f32_e32 v1, v1, v1
	v_max_f32_e32 v1, v6, v1
	v_xor_b32_e32 v6, 4, v3
	s_delay_alu instid0(VALU_DEP_1) | instskip(SKIP_2) | instid1(VALU_DEP_2)
	v_cmp_gt_i32_e32 vcc_lo, 32, v6
	v_cndmask_b32_e32 v6, v3, v6, vcc_lo
	v_cmp_eq_u32_e32 vcc_lo, 0, v14
	v_lshlrev_b32_e32 v7, 2, v6
	v_lshlrev_b32_e32 v4, 2, v4
	ds_bpermute_b32 v5, v4, v1
	s_waitcnt lgkmcnt(0)
	v_max_f32_e32 v5, v5, v5
	s_delay_alu instid0(VALU_DEP_1)
	v_max_f32_e32 v1, v1, v5
	v_lshlrev_b32_e32 v5, 2, v12
	ds_bpermute_b32 v6, v7, v1
	s_and_saveexec_b32 s0, vcc_lo
	s_cbranch_execz .LBB132_21
; %bb.20:
	s_waitcnt lgkmcnt(0)
	v_dual_max_f32 v6, v6, v6 :: v_dual_max_f32 v1, v1, v1
	s_delay_alu instid0(VALU_DEP_1)
	v_max_f32_e32 v1, v1, v6
	ds_store_b32 v5, v1 offset:64
.LBB132_21:
	s_or_b32 exec_lo, exec_lo, s0
	v_cmp_gt_u32_e64 s0, 4, v14
	s_waitcnt lgkmcnt(0)
	v_dual_mov_b32 v1, 0xff7fffff :: v_dual_lshlrev_b32 v6, 2, v14
	s_barrier
	buffer_gl0_inv
	s_and_saveexec_b32 s1, s0
	s_cbranch_execz .LBB132_23
; %bb.22:
	ds_load_b32 v1, v6 offset:64
.LBB132_23:
	s_or_b32 exec_lo, exec_lo, s1
	v_xor_b32_e32 v8, 2, v3
	v_xor_b32_e32 v15, 1, v3
	s_delay_alu instid0(VALU_DEP_2) | instskip(NEXT) | instid1(VALU_DEP_1)
	v_cmp_gt_i32_e64 s1, 32, v8
	v_cndmask_b32_e64 v8, v3, v8, s1
	s_delay_alu instid0(VALU_DEP_3) | instskip(NEXT) | instid1(VALU_DEP_2)
	v_cmp_gt_i32_e64 s1, 32, v15
	v_lshlrev_b32_e32 v8, 2, v8
	s_delay_alu instid0(VALU_DEP_2) | instskip(SKIP_1) | instid1(SALU_CYCLE_1)
	v_cndmask_b32_e64 v3, v3, v15, s1
	s_sub_i32 s1, s8, s7
	s_lshl_b32 s1, s1, 3
	s_waitcnt lgkmcnt(0)
	ds_bpermute_b32 v11, v8, v1
	v_max_f32_e32 v1, v1, v1
	s_add_i32 s1, s1, s38
	s_delay_alu instid0(SALU_CYCLE_1) | instskip(NEXT) | instid1(SALU_CYCLE_1)
	s_min_i32 s1, s1, s15
	s_sub_i32 s6, s1, s38
	s_delay_alu instid0(SALU_CYCLE_1) | instskip(SKIP_3) | instid1(VALU_DEP_2)
	v_cmp_gt_i32_e64 s1, s6, v0
	s_waitcnt lgkmcnt(0)
	v_max_f32_e32 v15, v11, v11
	v_lshlrev_b32_e32 v11, 2, v3
	v_max_f32_e32 v1, v1, v15
	v_mov_b32_e32 v15, 0
	ds_bpermute_b32 v3, v11, v1
	s_waitcnt lgkmcnt(0)
	v_max_f32_e32 v3, v3, v3
	s_delay_alu instid0(VALU_DEP_1)
	v_max_f32_e32 v1, v1, v3
	v_lshl_add_u32 v3, v0, 2, 0x60
	ds_bpermute_b32 v1, v15, v1
	s_and_saveexec_b32 s7, s1
	s_cbranch_execz .LBB132_27
; %bb.24:
	v_lshl_add_u32 v16, v0, 2, 0x60
	v_mov_b32_e32 v15, 0
	v_mov_b32_e32 v17, v0
	s_mov_b32 s35, 0
	.p2align	6
.LBB132_25:                             ; =>This Inner Loop Header: Depth=1
	ds_load_b32 v18, v16
	v_add_nc_u32_e32 v17, 0x80, v17
	s_delay_alu instid0(VALU_DEP_1) | instskip(NEXT) | instid1(VALU_DEP_1)
	v_cmp_le_i32_e64 s3, s6, v17
	s_or_b32 s35, s3, s35
	s_waitcnt lgkmcnt(0)
	v_sub_f32_e32 v18, v18, v1
	s_delay_alu instid0(VALU_DEP_1) | instskip(NEXT) | instid1(VALU_DEP_1)
	v_mul_f32_e32 v18, 0x3fb8aa3b, v18
	v_exp_f32_e32 v18, v18
	ds_store_b32 v16, v18
	v_dual_add_f32 v15, v15, v18 :: v_dual_add_nc_u32 v16, 0x200, v16
	s_and_not1_b32 exec_lo, exec_lo, s35
	s_cbranch_execnz .LBB132_25
; %bb.26:
	s_or_b32 exec_lo, exec_lo, s35
.LBB132_27:
	s_delay_alu instid0(SALU_CYCLE_1)
	s_or_b32 exec_lo, exec_lo, s7
	ds_bpermute_b32 v2, v2, v15
	s_waitcnt lgkmcnt(0)
	v_add_f32_e32 v2, v15, v2
	ds_bpermute_b32 v4, v4, v2
	s_waitcnt lgkmcnt(0)
	v_add_f32_e32 v2, v2, v4
	;; [unrolled: 3-line block ×5, first 2 shown]
	s_and_saveexec_b32 s3, vcc_lo
	s_cbranch_execz .LBB132_29
; %bb.28:
	ds_store_b32 v5, v2 offset:80
.LBB132_29:
	s_or_b32 exec_lo, exec_lo, s3
	s_waitcnt lgkmcnt(0)
	s_barrier
	buffer_gl0_inv
	s_and_saveexec_b32 s3, s0
	s_cbranch_execz .LBB132_31
; %bb.30:
	ds_load_b32 v2, v6 offset:80
.LBB132_31:
	s_or_b32 exec_lo, exec_lo, s3
	s_waitcnt lgkmcnt(0)
	ds_bpermute_b32 v4, v8, v2
	s_waitcnt lgkmcnt(0)
	v_add_f32_e32 v2, v2, v4
	ds_bpermute_b32 v4, v11, v2
	s_waitcnt lgkmcnt(0)
	v_add_f32_e32 v2, v2, v4
	v_mov_b32_e32 v4, 0
	ds_bpermute_b32 v2, v4, v2
	s_and_saveexec_b32 s0, s1
	s_cbranch_execz .LBB132_34
; %bb.32:
	s_waitcnt lgkmcnt(0)
	v_add_f32_e32 v4, 0x358637bd, v2
	s_mov_b32 s1, 0
	s_delay_alu instid0(VALU_DEP_1) | instskip(SKIP_1) | instid1(VALU_DEP_2)
	v_div_scale_f32 v5, null, v4, v4, 1.0
	v_div_scale_f32 v8, vcc_lo, 1.0, v4, 1.0
	v_rcp_f32_e32 v6, v5
	s_waitcnt_depctr 0xfff
	v_fma_f32 v7, -v5, v6, 1.0
	s_delay_alu instid0(VALU_DEP_1) | instskip(NEXT) | instid1(VALU_DEP_1)
	v_fmac_f32_e32 v6, v7, v6
	v_mul_f32_e32 v7, v8, v6
	s_delay_alu instid0(VALU_DEP_1) | instskip(NEXT) | instid1(VALU_DEP_1)
	v_fma_f32 v11, -v5, v7, v8
	v_fmac_f32_e32 v7, v11, v6
	s_delay_alu instid0(VALU_DEP_1) | instskip(NEXT) | instid1(VALU_DEP_1)
	v_fma_f32 v5, -v5, v7, v8
	v_div_fmas_f32 v5, v5, v6, v7
	s_delay_alu instid0(VALU_DEP_1)
	v_div_fixup_f32 v4, v5, v4, 1.0
	v_mov_b32_e32 v5, v0
.LBB132_33:                             ; =>This Inner Loop Header: Depth=1
	ds_load_b32 v6, v3
	s_waitcnt lgkmcnt(0)
	v_dual_mul_f32 v6, v4, v6 :: v_dual_add_nc_u32 v5, 0x80, v5
	s_delay_alu instid0(VALU_DEP_1) | instskip(SKIP_3) | instid1(SALU_CYCLE_1)
	v_cmp_le_i32_e32 vcc_lo, s6, v5
	ds_store_b32 v3, v6
	v_add_nc_u32_e32 v3, 0x200, v3
	s_or_b32 s1, vcc_lo, s1
	s_and_not1_b32 exec_lo, exec_lo, s1
	s_cbranch_execnz .LBB132_33
.LBB132_34:
	s_or_b32 exec_lo, exec_lo, s0
	s_mul_i32 s0, s4, s14
	s_waitcnt lgkmcnt(0)
	s_mul_i32 s6, s0, s13
	s_mov_b32 s0, exec_lo
	s_barrier
	buffer_gl0_inv
	v_cmpx_eq_u32_e32 0, v0
	s_cbranch_execz .LBB132_36
; %bb.35:
	s_ashr_i32 s7, s6, 31
	s_mul_i32 s42, s4, s24
	s_lshl_b64 s[40:41], s[6:7], 2
	v_mov_b32_e32 v3, 0
	s_add_u32 s1, s18, s40
	s_addc_u32 s3, s19, s41
	s_ashr_i32 s43, s42, 31
	s_delay_alu instid0(SALU_CYCLE_1) | instskip(NEXT) | instid1(SALU_CYCLE_1)
	s_lshl_b64 s[18:19], s[42:43], 2
	s_add_u32 s1, s1, s18
	s_addc_u32 s3, s3, s19
	s_ashr_i32 s13, s12, 31
	s_delay_alu instid0(SALU_CYCLE_1) | instskip(NEXT) | instid1(SALU_CYCLE_1)
	s_lshl_b64 s[42:43], s[12:13], 2
	s_add_u32 s44, s1, s42
	s_addc_u32 s45, s3, s43
	s_add_u32 s1, s16, s40
	s_addc_u32 s3, s17, s41
	;; [unrolled: 2-line block ×4, first 2 shown]
	s_clause 0x1
	global_store_b32 v3, v1, s[44:45]
	global_store_b32 v3, v2, s[16:17]
.LBB132_36:
	s_or_b32 exec_lo, exec_lo, s0
	v_mov_b32_e32 v15, 0
	s_and_saveexec_b32 s1, s2
	s_cbranch_execz .LBB132_108
; %bb.37:
	s_ashr_i32 s35, s34, 31
	s_sub_i32 s2, s39, s9
	s_lshl_b64 s[16:17], s[34:35], 1
	v_lshlrev_b32_e32 v5, 4, v14
	s_add_u32 s0, s30, s16
	s_addc_u32 s9, s31, s17
	s_abs_i32 s3, s10
	s_lshl_b64 s[16:17], s[28:29], 2
	v_cvt_f32_u32_e32 v1, s3
	s_sub_i32 s7, 0, s3
	v_add_co_u32 v17, s0, s0, v5
	s_delay_alu instid0(VALU_DEP_1) | instskip(NEXT) | instid1(VALU_DEP_3)
	v_add_co_ci_u32_e64 v18, null, s9, 0, s0
	v_rcp_iflag_f32_e32 v1, v1
	v_lshl_add_u32 v16, v12, 5, 0x60
	v_mov_b32_e32 v15, 0
	s_waitcnt_depctr 0xfff
	v_mul_f32_e32 v1, 0x4f7ffffe, v1
	s_delay_alu instid0(VALU_DEP_1) | instskip(SKIP_1) | instid1(VALU_DEP_2)
	v_cvt_u32_f32_e32 v3, v1
	v_lshlrev_b64 v[1:2], 2, v[9:10]
	v_mul_lo_u32 v4, s7, v3
	s_add_i32 s7, s36, -1
	s_add_u32 s0, s26, s16
	s_addc_u32 s9, s27, s17
	s_delay_alu instid0(VALU_DEP_2) | instskip(SKIP_1) | instid1(VALU_DEP_3)
	v_add_co_u32 v10, vcc_lo, s0, v1
	v_add_co_ci_u32_e32 v11, vcc_lo, s9, v2, vcc_lo
	v_mul_hi_u32 v4, v3, v4
	s_mov_b32 s9, s5
	s_mov_b32 s5, 0
	s_delay_alu instid0(VALU_DEP_1)
	v_add_nc_u32_e32 v19, v3, v4
	s_branch .LBB132_40
.LBB132_38:                             ;   in Loop: Header=BB132_40 Depth=1
	s_or_b32 exec_lo, exec_lo, s10
	v_and_b32_e32 v3, 0xffff0000, v3
	v_and_b32_e32 v4, 0xffff0000, v4
	;; [unrolled: 1-line block ×3, first 2 shown]
	s_delay_alu instid0(VALU_DEP_1) | instskip(SKIP_2) | instid1(VALU_DEP_1)
	v_dual_add_f32 v3, v3, v7 :: v_dual_and_b32 v6, 0xffff0000, v20
	v_and_b32_e32 v8, 0xffff0000, v22
	v_and_b32_e32 v2, 0xffff0000, v2
	v_dual_add_f32 v2, v2, v6 :: v_dual_and_b32 v1, 0xffff0000, v1
	s_delay_alu instid0(VALU_DEP_1) | instskip(NEXT) | instid1(VALU_DEP_1)
	v_add_f32_e32 v1, v1, v8
	v_dual_add_f32 v1, v1, v2 :: v_dual_and_b32 v2, 0xffff0000, v5
	s_delay_alu instid0(VALU_DEP_1) | instskip(NEXT) | instid1(VALU_DEP_1)
	v_dual_add_f32 v1, v1, v3 :: v_dual_add_f32 v2, v4, v2
	v_add_f32_e32 v1, v1, v2
	s_delay_alu instid0(VALU_DEP_1)
	v_add_f32_e32 v15, v15, v1
.LBB132_39:                             ;   in Loop: Header=BB132_40 Depth=1
	s_or_b32 exec_lo, exec_lo, s0
	v_add_nc_u32_e32 v9, 4, v9
	v_add_co_u32 v10, s0, v10, 16
	s_delay_alu instid0(VALU_DEP_1) | instskip(NEXT) | instid1(VALU_DEP_3)
	v_add_co_ci_u32_e64 v11, s0, 0, v11, s0
	v_cmp_le_i32_e32 vcc_lo, s8, v9
	v_add_nc_u32_e32 v13, 32, v13
	v_add_nc_u32_e32 v16, 0x80, v16
	s_or_b32 s5, vcc_lo, s5
	s_delay_alu instid0(SALU_CYCLE_1)
	s_and_not1_b32 exec_lo, exec_lo, s5
	s_cbranch_execz .LBB132_107
.LBB132_40:                             ; =>This Inner Loop Header: Depth=1
	v_sub_nc_u32_e32 v1, 0, v13
	s_delay_alu instid0(VALU_DEP_1) | instskip(NEXT) | instid1(VALU_DEP_1)
	v_max_i32_e32 v1, v13, v1
	v_mul_hi_u32 v2, v1, s25
	s_delay_alu instid0(VALU_DEP_1) | instskip(NEXT) | instid1(VALU_DEP_1)
	v_mul_lo_u32 v3, v2, s21
	v_sub_nc_u32_e32 v1, v1, v3
	v_add_nc_u32_e32 v3, 1, v2
	s_delay_alu instid0(VALU_DEP_2) | instskip(SKIP_1) | instid1(VALU_DEP_2)
	v_subrev_nc_u32_e32 v4, s21, v1
	v_cmp_le_u32_e32 vcc_lo, s21, v1
	v_dual_cndmask_b32 v2, v2, v3 :: v_dual_cndmask_b32 v1, v1, v4
	v_ashrrev_i32_e32 v3, 31, v13
	s_delay_alu instid0(VALU_DEP_2) | instskip(NEXT) | instid1(VALU_DEP_3)
	v_add_nc_u32_e32 v4, 1, v2
	v_cmp_le_u32_e32 vcc_lo, s21, v1
	s_delay_alu instid0(VALU_DEP_3) | instskip(NEXT) | instid1(VALU_DEP_3)
	v_xor_b32_e32 v3, s11, v3
	v_cndmask_b32_e32 v1, v2, v4, vcc_lo
	s_delay_alu instid0(VALU_DEP_1) | instskip(NEXT) | instid1(VALU_DEP_1)
	v_xor_b32_e32 v1, v1, v3
	v_sub_nc_u32_e32 v1, v1, v3
	s_delay_alu instid0(VALU_DEP_1) | instskip(SKIP_1) | instid1(VALU_DEP_2)
	v_add_nc_u32_e32 v2, s33, v1
	v_cmp_lt_i32_e64 s0, s2, v1
	v_sub_nc_u32_e32 v3, 0, v2
	s_delay_alu instid0(VALU_DEP_1) | instskip(NEXT) | instid1(VALU_DEP_1)
	v_max_i32_e32 v3, v2, v3
	v_mul_hi_u32 v4, v3, v19
	s_delay_alu instid0(VALU_DEP_1) | instskip(NEXT) | instid1(VALU_DEP_1)
	v_mul_lo_u32 v4, v4, s3
	v_sub_nc_u32_e32 v3, v3, v4
	s_delay_alu instid0(VALU_DEP_1) | instskip(SKIP_1) | instid1(VALU_DEP_2)
	v_subrev_nc_u32_e32 v4, s3, v3
	v_cmp_le_u32_e32 vcc_lo, s3, v3
	v_cndmask_b32_e32 v3, v3, v4, vcc_lo
	v_ashrrev_i32_e32 v2, 31, v2
	s_delay_alu instid0(VALU_DEP_2) | instskip(SKIP_1) | instid1(VALU_DEP_2)
	v_subrev_nc_u32_e32 v4, s3, v3
	v_cmp_le_u32_e32 vcc_lo, s3, v3
	v_cndmask_b32_e32 v3, v3, v4, vcc_lo
	s_delay_alu instid0(VALU_DEP_1) | instskip(NEXT) | instid1(VALU_DEP_1)
	v_xor_b32_e32 v3, v3, v2
	v_sub_nc_u32_e32 v2, v3, v2
	s_delay_alu instid0(VALU_DEP_1) | instskip(SKIP_1) | instid1(SALU_CYCLE_1)
	v_cmp_eq_u32_e32 vcc_lo, 0, v2
	s_or_b32 s10, vcc_lo, s0
	s_and_saveexec_b32 s0, s10
	s_cbranch_execz .LBB132_39
; %bb.41:                               ;   in Loop: Header=BB132_40 Depth=1
	global_load_b32 v24, v[10:11], off
	ds_load_2addr_b64 v[5:8], v16 offset1:1
	ds_load_2addr_b64 v[1:4], v16 offset0:2 offset1:3
	s_mov_b32 s10, exec_lo
                                        ; implicit-def: $vgpr23
	s_waitcnt lgkmcnt(1)
	v_and_b32_e32 v20, 0x7f800000, v5
	s_delay_alu instid0(VALU_DEP_1)
	v_cmpx_ne_u32_e32 0x7f800000, v20
	s_xor_b32 s10, exec_lo, s10
; %bb.42:                               ;   in Loop: Header=BB132_40 Depth=1
	v_bfe_u32 v20, v5, 16, 1
	s_delay_alu instid0(VALU_DEP_1)
	v_add3_u32 v23, v5, v20, 0x7fff
; %bb.43:                               ;   in Loop: Header=BB132_40 Depth=1
	s_and_not1_saveexec_b32 s10, s10
; %bb.44:                               ;   in Loop: Header=BB132_40 Depth=1
	v_and_b32_e32 v20, 0xffff, v5
	v_or_b32_e32 v21, 0x10000, v5
	s_delay_alu instid0(VALU_DEP_2) | instskip(NEXT) | instid1(VALU_DEP_2)
	v_cmp_eq_u32_e32 vcc_lo, 0, v20
	v_cndmask_b32_e32 v23, v21, v5, vcc_lo
; %bb.45:                               ;   in Loop: Header=BB132_40 Depth=1
	s_or_b32 exec_lo, exec_lo, s10
	v_and_b32_e32 v5, 0x7f800000, v6
	s_mov_b32 s10, exec_lo
                                        ; implicit-def: $vgpr22
	s_delay_alu instid0(VALU_DEP_1)
	v_cmpx_ne_u32_e32 0x7f800000, v5
	s_xor_b32 s10, exec_lo, s10
; %bb.46:                               ;   in Loop: Header=BB132_40 Depth=1
	v_bfe_u32 v5, v6, 16, 1
	s_delay_alu instid0(VALU_DEP_1)
	v_add3_u32 v22, v6, v5, 0x7fff
; %bb.47:                               ;   in Loop: Header=BB132_40 Depth=1
	s_and_not1_saveexec_b32 s10, s10
; %bb.48:                               ;   in Loop: Header=BB132_40 Depth=1
	v_and_b32_e32 v5, 0xffff, v6
	v_or_b32_e32 v20, 0x10000, v6
	s_delay_alu instid0(VALU_DEP_2) | instskip(NEXT) | instid1(VALU_DEP_2)
	v_cmp_eq_u32_e32 vcc_lo, 0, v5
	v_cndmask_b32_e32 v22, v20, v6, vcc_lo
; %bb.49:                               ;   in Loop: Header=BB132_40 Depth=1
	s_or_b32 exec_lo, exec_lo, s10
	v_and_b32_e32 v5, 0x7f800000, v7
	s_mov_b32 s10, exec_lo
                                        ; implicit-def: $vgpr21
	s_delay_alu instid0(VALU_DEP_1)
	v_cmpx_ne_u32_e32 0x7f800000, v5
	s_xor_b32 s10, exec_lo, s10
; %bb.50:                               ;   in Loop: Header=BB132_40 Depth=1
	v_bfe_u32 v5, v7, 16, 1
	s_delay_alu instid0(VALU_DEP_1)
	v_add3_u32 v21, v7, v5, 0x7fff
; %bb.51:                               ;   in Loop: Header=BB132_40 Depth=1
	s_and_not1_saveexec_b32 s10, s10
; %bb.52:                               ;   in Loop: Header=BB132_40 Depth=1
	v_and_b32_e32 v5, 0xffff, v7
	v_or_b32_e32 v6, 0x10000, v7
	s_delay_alu instid0(VALU_DEP_2) | instskip(NEXT) | instid1(VALU_DEP_2)
	v_cmp_eq_u32_e32 vcc_lo, 0, v5
	v_cndmask_b32_e32 v21, v6, v7, vcc_lo
; %bb.53:                               ;   in Loop: Header=BB132_40 Depth=1
	s_or_b32 exec_lo, exec_lo, s10
	v_and_b32_e32 v5, 0x7f800000, v8
	s_mov_b32 s10, exec_lo
                                        ; implicit-def: $vgpr20
	s_delay_alu instid0(VALU_DEP_1)
	v_cmpx_ne_u32_e32 0x7f800000, v5
	s_xor_b32 s10, exec_lo, s10
; %bb.54:                               ;   in Loop: Header=BB132_40 Depth=1
	v_bfe_u32 v5, v8, 16, 1
	s_delay_alu instid0(VALU_DEP_1)
	v_add3_u32 v20, v8, v5, 0x7fff
                                        ; implicit-def: $vgpr5_vgpr6_vgpr7_vgpr8
; %bb.55:                               ;   in Loop: Header=BB132_40 Depth=1
	s_and_not1_saveexec_b32 s10, s10
; %bb.56:                               ;   in Loop: Header=BB132_40 Depth=1
	v_and_b32_e32 v5, 0xffff, v8
	v_or_b32_e32 v6, 0x10000, v8
	s_delay_alu instid0(VALU_DEP_2) | instskip(NEXT) | instid1(VALU_DEP_2)
	v_cmp_eq_u32_e32 vcc_lo, 0, v5
	v_cndmask_b32_e32 v20, v6, v8, vcc_lo
; %bb.57:                               ;   in Loop: Header=BB132_40 Depth=1
	s_or_b32 exec_lo, exec_lo, s10
	s_waitcnt lgkmcnt(0)
	v_and_b32_e32 v5, 0x7f800000, v1
	s_mov_b32 s10, exec_lo
                                        ; implicit-def: $vgpr8
	s_delay_alu instid0(VALU_DEP_1)
	v_cmpx_ne_u32_e32 0x7f800000, v5
	s_xor_b32 s10, exec_lo, s10
; %bb.58:                               ;   in Loop: Header=BB132_40 Depth=1
	v_bfe_u32 v5, v1, 16, 1
	s_delay_alu instid0(VALU_DEP_1)
	v_add3_u32 v8, v1, v5, 0x7fff
; %bb.59:                               ;   in Loop: Header=BB132_40 Depth=1
	s_and_not1_saveexec_b32 s10, s10
; %bb.60:                               ;   in Loop: Header=BB132_40 Depth=1
	v_and_b32_e32 v5, 0xffff, v1
	v_or_b32_e32 v6, 0x10000, v1
	s_delay_alu instid0(VALU_DEP_2) | instskip(NEXT) | instid1(VALU_DEP_2)
	v_cmp_eq_u32_e32 vcc_lo, 0, v5
	v_cndmask_b32_e32 v8, v6, v1, vcc_lo
; %bb.61:                               ;   in Loop: Header=BB132_40 Depth=1
	s_or_b32 exec_lo, exec_lo, s10
	v_and_b32_e32 v1, 0x7f800000, v2
	s_mov_b32 s10, exec_lo
                                        ; implicit-def: $vgpr7
	s_delay_alu instid0(VALU_DEP_1)
	v_cmpx_ne_u32_e32 0x7f800000, v1
	s_xor_b32 s10, exec_lo, s10
; %bb.62:                               ;   in Loop: Header=BB132_40 Depth=1
	v_bfe_u32 v1, v2, 16, 1
	s_delay_alu instid0(VALU_DEP_1)
	v_add3_u32 v7, v2, v1, 0x7fff
; %bb.63:                               ;   in Loop: Header=BB132_40 Depth=1
	s_and_not1_saveexec_b32 s10, s10
; %bb.64:                               ;   in Loop: Header=BB132_40 Depth=1
	v_and_b32_e32 v1, 0xffff, v2
	v_or_b32_e32 v5, 0x10000, v2
	s_delay_alu instid0(VALU_DEP_2) | instskip(NEXT) | instid1(VALU_DEP_2)
	v_cmp_eq_u32_e32 vcc_lo, 0, v1
	v_cndmask_b32_e32 v7, v5, v2, vcc_lo
; %bb.65:                               ;   in Loop: Header=BB132_40 Depth=1
	s_or_b32 exec_lo, exec_lo, s10
	v_and_b32_e32 v1, 0x7f800000, v3
	s_mov_b32 s10, exec_lo
                                        ; implicit-def: $vgpr6
	s_delay_alu instid0(VALU_DEP_1)
	v_cmpx_ne_u32_e32 0x7f800000, v1
	s_xor_b32 s10, exec_lo, s10
; %bb.66:                               ;   in Loop: Header=BB132_40 Depth=1
	v_bfe_u32 v1, v3, 16, 1
	s_delay_alu instid0(VALU_DEP_1)
	v_add3_u32 v6, v3, v1, 0x7fff
; %bb.67:                               ;   in Loop: Header=BB132_40 Depth=1
	s_and_not1_saveexec_b32 s10, s10
; %bb.68:                               ;   in Loop: Header=BB132_40 Depth=1
	v_and_b32_e32 v1, 0xffff, v3
	v_or_b32_e32 v2, 0x10000, v3
	s_delay_alu instid0(VALU_DEP_2) | instskip(NEXT) | instid1(VALU_DEP_2)
	v_cmp_eq_u32_e32 vcc_lo, 0, v1
	v_cndmask_b32_e32 v6, v2, v3, vcc_lo
; %bb.69:                               ;   in Loop: Header=BB132_40 Depth=1
	s_or_b32 exec_lo, exec_lo, s10
	v_and_b32_e32 v1, 0x7f800000, v4
	s_mov_b32 s10, exec_lo
                                        ; implicit-def: $vgpr5
	s_delay_alu instid0(VALU_DEP_1)
	v_cmpx_ne_u32_e32 0x7f800000, v1
	s_xor_b32 s10, exec_lo, s10
; %bb.70:                               ;   in Loop: Header=BB132_40 Depth=1
	v_bfe_u32 v1, v4, 16, 1
	s_delay_alu instid0(VALU_DEP_1)
	v_add3_u32 v5, v4, v1, 0x7fff
                                        ; implicit-def: $vgpr1_vgpr2_vgpr3_vgpr4
; %bb.71:                               ;   in Loop: Header=BB132_40 Depth=1
	s_and_not1_saveexec_b32 s10, s10
; %bb.72:                               ;   in Loop: Header=BB132_40 Depth=1
	v_and_b32_e32 v1, 0xffff, v4
	v_or_b32_e32 v2, 0x10000, v4
	s_delay_alu instid0(VALU_DEP_2) | instskip(NEXT) | instid1(VALU_DEP_2)
	v_cmp_eq_u32_e32 vcc_lo, 0, v1
	v_cndmask_b32_e32 v5, v2, v4, vcc_lo
; %bb.73:                               ;   in Loop: Header=BB132_40 Depth=1
	s_or_b32 exec_lo, exec_lo, s10
	s_waitcnt vmcnt(0)
	v_mad_i64_i32 v[1:2], null, v24, s9, 0
	s_mov_b32 s10, exec_lo
	s_delay_alu instid0(VALU_DEP_1) | instskip(NEXT) | instid1(VALU_DEP_1)
	v_lshlrev_b64 v[1:2], 1, v[1:2]
	v_add_co_u32 v1, vcc_lo, v17, v1
	s_delay_alu instid0(VALU_DEP_2)
	v_add_co_ci_u32_e32 v2, vcc_lo, v18, v2, vcc_lo
	global_load_b128 v[1:4], v[1:2], off
	s_waitcnt vmcnt(0)
	v_lshrrev_b32_e32 v27, 16, v1
	v_lshrrev_b32_e32 v26, 16, v2
	;; [unrolled: 1-line block ×4, first 2 shown]
	v_cmpx_eq_u32_e64 s7, v9
	s_cbranch_execz .LBB132_75
; %bb.74:                               ;   in Loop: Header=BB132_40 Depth=1
	v_add_nc_u32_e32 v28, 1, v13
	v_cmp_gt_i32_e32 vcc_lo, s15, v13
	v_add_nc_u32_e32 v29, 2, v13
	v_add_nc_u32_e32 v30, 3, v13
	v_cndmask_b32_e32 v1, 0, v1, vcc_lo
	v_cmp_gt_i32_e32 vcc_lo, s15, v28
	v_dual_cndmask_b32 v27, 0, v27 :: v_dual_add_nc_u32 v28, 4, v13
	v_cmp_gt_i32_e32 vcc_lo, s15, v29
	v_dual_cndmask_b32 v2, 0, v2 :: v_dual_add_nc_u32 v29, 5, v13
	v_cmp_gt_i32_e32 vcc_lo, s15, v30
	v_add_nc_u32_e32 v30, 6, v13
	v_cndmask_b32_e32 v26, 0, v26, vcc_lo
	v_cmp_gt_i32_e32 vcc_lo, s15, v28
	v_dual_cndmask_b32 v3, 0, v3 :: v_dual_add_nc_u32 v28, 7, v13
	v_cmp_gt_i32_e32 vcc_lo, s15, v29
	v_cndmask_b32_e32 v25, 0, v25, vcc_lo
	v_cmp_gt_i32_e32 vcc_lo, s15, v30
	v_cndmask_b32_e32 v4, 0, v4, vcc_lo
	;; [unrolled: 2-line block ×3, first 2 shown]
.LBB132_75:                             ;   in Loop: Header=BB132_40 Depth=1
	s_or_b32 exec_lo, exec_lo, s10
	v_and_b32_e32 v23, 0xffff0000, v23
	v_lshlrev_b32_e32 v1, 16, v1
	s_delay_alu instid0(VALU_DEP_1) | instskip(NEXT) | instid1(VALU_DEP_1)
	v_mul_f32_e32 v23, v23, v1
	v_and_b32_e32 v1, 0x7f800000, v23
	s_delay_alu instid0(VALU_DEP_1) | instskip(SKIP_1) | instid1(SALU_CYCLE_1)
	v_cmp_ne_u32_e32 vcc_lo, 0x7f800000, v1
                                        ; implicit-def: $vgpr1
	s_and_saveexec_b32 s10, vcc_lo
	s_xor_b32 s10, exec_lo, s10
; %bb.76:                               ;   in Loop: Header=BB132_40 Depth=1
	v_bfe_u32 v1, v23, 16, 1
	s_delay_alu instid0(VALU_DEP_1)
	v_add3_u32 v1, v23, v1, 0x7fff
                                        ; implicit-def: $vgpr23
; %bb.77:                               ;   in Loop: Header=BB132_40 Depth=1
	s_and_not1_saveexec_b32 s10, s10
; %bb.78:                               ;   in Loop: Header=BB132_40 Depth=1
	v_and_b32_e32 v1, 0xffff, v23
	v_or_b32_e32 v28, 0x10000, v23
	s_delay_alu instid0(VALU_DEP_2) | instskip(NEXT) | instid1(VALU_DEP_2)
	v_cmp_eq_u32_e32 vcc_lo, 0, v1
	v_cndmask_b32_e32 v1, v28, v23, vcc_lo
; %bb.79:                               ;   in Loop: Header=BB132_40 Depth=1
	s_or_b32 exec_lo, exec_lo, s10
	v_and_b32_e32 v22, 0xffff0000, v22
	v_lshlrev_b32_e32 v23, 16, v27
	s_delay_alu instid0(VALU_DEP_1) | instskip(NEXT) | instid1(VALU_DEP_1)
	v_mul_f32_e32 v23, v22, v23
	v_and_b32_e32 v22, 0x7f800000, v23
	s_delay_alu instid0(VALU_DEP_1) | instskip(SKIP_1) | instid1(SALU_CYCLE_1)
	v_cmp_ne_u32_e32 vcc_lo, 0x7f800000, v22
                                        ; implicit-def: $vgpr22
	s_and_saveexec_b32 s10, vcc_lo
	s_xor_b32 s10, exec_lo, s10
; %bb.80:                               ;   in Loop: Header=BB132_40 Depth=1
	v_bfe_u32 v22, v23, 16, 1
	s_delay_alu instid0(VALU_DEP_1)
	v_add3_u32 v22, v23, v22, 0x7fff
                                        ; implicit-def: $vgpr23
; %bb.81:                               ;   in Loop: Header=BB132_40 Depth=1
	s_and_not1_saveexec_b32 s10, s10
; %bb.82:                               ;   in Loop: Header=BB132_40 Depth=1
	v_and_b32_e32 v22, 0xffff, v23
	v_or_b32_e32 v27, 0x10000, v23
	s_delay_alu instid0(VALU_DEP_2) | instskip(NEXT) | instid1(VALU_DEP_2)
	v_cmp_eq_u32_e32 vcc_lo, 0, v22
	v_cndmask_b32_e32 v22, v27, v23, vcc_lo
; %bb.83:                               ;   in Loop: Header=BB132_40 Depth=1
	s_or_b32 exec_lo, exec_lo, s10
	v_and_b32_e32 v21, 0xffff0000, v21
	v_lshlrev_b32_e32 v2, 16, v2
	s_delay_alu instid0(VALU_DEP_1) | instskip(NEXT) | instid1(VALU_DEP_1)
	v_mul_f32_e32 v21, v21, v2
	v_and_b32_e32 v2, 0x7f800000, v21
	s_delay_alu instid0(VALU_DEP_1) | instskip(SKIP_1) | instid1(SALU_CYCLE_1)
	v_cmp_ne_u32_e32 vcc_lo, 0x7f800000, v2
                                        ; implicit-def: $vgpr2
	s_and_saveexec_b32 s10, vcc_lo
	s_xor_b32 s10, exec_lo, s10
; %bb.84:                               ;   in Loop: Header=BB132_40 Depth=1
	v_bfe_u32 v2, v21, 16, 1
	s_delay_alu instid0(VALU_DEP_1)
	v_add3_u32 v2, v21, v2, 0x7fff
                                        ; implicit-def: $vgpr21
; %bb.85:                               ;   in Loop: Header=BB132_40 Depth=1
	s_and_not1_saveexec_b32 s10, s10
; %bb.86:                               ;   in Loop: Header=BB132_40 Depth=1
	v_and_b32_e32 v2, 0xffff, v21
	v_or_b32_e32 v23, 0x10000, v21
	s_delay_alu instid0(VALU_DEP_2) | instskip(NEXT) | instid1(VALU_DEP_2)
	v_cmp_eq_u32_e32 vcc_lo, 0, v2
	v_cndmask_b32_e32 v2, v23, v21, vcc_lo
; %bb.87:                               ;   in Loop: Header=BB132_40 Depth=1
	s_or_b32 exec_lo, exec_lo, s10
	v_and_b32_e32 v20, 0xffff0000, v20
	v_lshlrev_b32_e32 v21, 16, v26
	s_delay_alu instid0(VALU_DEP_1) | instskip(NEXT) | instid1(VALU_DEP_1)
	v_mul_f32_e32 v21, v20, v21
	v_and_b32_e32 v20, 0x7f800000, v21
	s_delay_alu instid0(VALU_DEP_1) | instskip(SKIP_1) | instid1(SALU_CYCLE_1)
	v_cmp_ne_u32_e32 vcc_lo, 0x7f800000, v20
                                        ; implicit-def: $vgpr20
	s_and_saveexec_b32 s10, vcc_lo
	s_xor_b32 s10, exec_lo, s10
; %bb.88:                               ;   in Loop: Header=BB132_40 Depth=1
	v_bfe_u32 v20, v21, 16, 1
	s_delay_alu instid0(VALU_DEP_1)
	v_add3_u32 v20, v21, v20, 0x7fff
                                        ; implicit-def: $vgpr21
; %bb.89:                               ;   in Loop: Header=BB132_40 Depth=1
	s_and_not1_saveexec_b32 s10, s10
; %bb.90:                               ;   in Loop: Header=BB132_40 Depth=1
	v_and_b32_e32 v20, 0xffff, v21
	v_or_b32_e32 v23, 0x10000, v21
	s_delay_alu instid0(VALU_DEP_2) | instskip(NEXT) | instid1(VALU_DEP_2)
	v_cmp_eq_u32_e32 vcc_lo, 0, v20
	v_cndmask_b32_e32 v20, v23, v21, vcc_lo
; %bb.91:                               ;   in Loop: Header=BB132_40 Depth=1
	s_or_b32 exec_lo, exec_lo, s10
	v_and_b32_e32 v8, 0xffff0000, v8
	v_lshlrev_b32_e32 v3, 16, v3
	s_delay_alu instid0(VALU_DEP_1) | instskip(NEXT) | instid1(VALU_DEP_1)
	v_mul_f32_e32 v8, v8, v3
	v_and_b32_e32 v3, 0x7f800000, v8
	s_delay_alu instid0(VALU_DEP_1) | instskip(SKIP_1) | instid1(SALU_CYCLE_1)
	v_cmp_ne_u32_e32 vcc_lo, 0x7f800000, v3
                                        ; implicit-def: $vgpr3
	s_and_saveexec_b32 s10, vcc_lo
	s_xor_b32 s10, exec_lo, s10
; %bb.92:                               ;   in Loop: Header=BB132_40 Depth=1
	v_bfe_u32 v3, v8, 16, 1
	s_delay_alu instid0(VALU_DEP_1)
	v_add3_u32 v3, v8, v3, 0x7fff
                                        ; implicit-def: $vgpr8
; %bb.93:                               ;   in Loop: Header=BB132_40 Depth=1
	s_and_not1_saveexec_b32 s10, s10
; %bb.94:                               ;   in Loop: Header=BB132_40 Depth=1
	v_and_b32_e32 v3, 0xffff, v8
	v_or_b32_e32 v21, 0x10000, v8
	s_delay_alu instid0(VALU_DEP_2) | instskip(NEXT) | instid1(VALU_DEP_2)
	v_cmp_eq_u32_e32 vcc_lo, 0, v3
	v_cndmask_b32_e32 v3, v21, v8, vcc_lo
; %bb.95:                               ;   in Loop: Header=BB132_40 Depth=1
	s_or_b32 exec_lo, exec_lo, s10
	v_and_b32_e32 v7, 0xffff0000, v7
	v_lshlrev_b32_e32 v8, 16, v25
	s_delay_alu instid0(VALU_DEP_1) | instskip(NEXT) | instid1(VALU_DEP_1)
	v_mul_f32_e32 v8, v7, v8
	v_and_b32_e32 v7, 0x7f800000, v8
	s_delay_alu instid0(VALU_DEP_1) | instskip(SKIP_1) | instid1(SALU_CYCLE_1)
	v_cmp_ne_u32_e32 vcc_lo, 0x7f800000, v7
                                        ; implicit-def: $vgpr7
	s_and_saveexec_b32 s10, vcc_lo
	s_xor_b32 s10, exec_lo, s10
; %bb.96:                               ;   in Loop: Header=BB132_40 Depth=1
	v_bfe_u32 v7, v8, 16, 1
	s_delay_alu instid0(VALU_DEP_1)
	v_add3_u32 v7, v8, v7, 0x7fff
                                        ; implicit-def: $vgpr8
; %bb.97:                               ;   in Loop: Header=BB132_40 Depth=1
	s_and_not1_saveexec_b32 s10, s10
; %bb.98:                               ;   in Loop: Header=BB132_40 Depth=1
	v_and_b32_e32 v7, 0xffff, v8
	v_or_b32_e32 v21, 0x10000, v8
	s_delay_alu instid0(VALU_DEP_2) | instskip(NEXT) | instid1(VALU_DEP_2)
	v_cmp_eq_u32_e32 vcc_lo, 0, v7
	v_cndmask_b32_e32 v7, v21, v8, vcc_lo
; %bb.99:                               ;   in Loop: Header=BB132_40 Depth=1
	s_or_b32 exec_lo, exec_lo, s10
	v_and_b32_e32 v6, 0xffff0000, v6
	v_lshlrev_b32_e32 v4, 16, v4
	s_delay_alu instid0(VALU_DEP_1) | instskip(NEXT) | instid1(VALU_DEP_1)
	v_mul_f32_e32 v6, v6, v4
	v_and_b32_e32 v4, 0x7f800000, v6
	s_delay_alu instid0(VALU_DEP_1) | instskip(SKIP_1) | instid1(SALU_CYCLE_1)
	v_cmp_ne_u32_e32 vcc_lo, 0x7f800000, v4
                                        ; implicit-def: $vgpr4
	s_and_saveexec_b32 s10, vcc_lo
	s_xor_b32 s10, exec_lo, s10
; %bb.100:                              ;   in Loop: Header=BB132_40 Depth=1
	v_bfe_u32 v4, v6, 16, 1
	s_delay_alu instid0(VALU_DEP_1)
	v_add3_u32 v4, v6, v4, 0x7fff
                                        ; implicit-def: $vgpr6
; %bb.101:                              ;   in Loop: Header=BB132_40 Depth=1
	s_and_not1_saveexec_b32 s10, s10
; %bb.102:                              ;   in Loop: Header=BB132_40 Depth=1
	v_and_b32_e32 v4, 0xffff, v6
	v_or_b32_e32 v8, 0x10000, v6
	s_delay_alu instid0(VALU_DEP_2) | instskip(NEXT) | instid1(VALU_DEP_2)
	v_cmp_eq_u32_e32 vcc_lo, 0, v4
	v_cndmask_b32_e32 v4, v8, v6, vcc_lo
; %bb.103:                              ;   in Loop: Header=BB132_40 Depth=1
	s_or_b32 exec_lo, exec_lo, s10
	v_and_b32_e32 v5, 0xffff0000, v5
	v_lshlrev_b32_e32 v6, 16, v24
	s_delay_alu instid0(VALU_DEP_1) | instskip(NEXT) | instid1(VALU_DEP_1)
	v_mul_f32_e32 v6, v5, v6
	v_and_b32_e32 v5, 0x7f800000, v6
	s_delay_alu instid0(VALU_DEP_1) | instskip(SKIP_1) | instid1(SALU_CYCLE_1)
	v_cmp_ne_u32_e32 vcc_lo, 0x7f800000, v5
                                        ; implicit-def: $vgpr5
	s_and_saveexec_b32 s10, vcc_lo
	s_xor_b32 s10, exec_lo, s10
; %bb.104:                              ;   in Loop: Header=BB132_40 Depth=1
	v_bfe_u32 v5, v6, 16, 1
	s_delay_alu instid0(VALU_DEP_1)
	v_add3_u32 v5, v6, v5, 0x7fff
                                        ; implicit-def: $vgpr6
; %bb.105:                              ;   in Loop: Header=BB132_40 Depth=1
	s_and_not1_saveexec_b32 s10, s10
	s_cbranch_execz .LBB132_38
; %bb.106:                              ;   in Loop: Header=BB132_40 Depth=1
	v_and_b32_e32 v5, 0xffff, v6
	v_or_b32_e32 v8, 0x10000, v6
	s_delay_alu instid0(VALU_DEP_2) | instskip(NEXT) | instid1(VALU_DEP_2)
	v_cmp_eq_u32_e32 vcc_lo, 0, v5
	v_cndmask_b32_e32 v5, v8, v6, vcc_lo
	s_branch .LBB132_38
.LBB132_107:
	s_or_b32 exec_lo, exec_lo, s5
.LBB132_108:
	s_delay_alu instid0(SALU_CYCLE_1)
	s_or_b32 exec_lo, exec_lo, s1
	v_and_b32_e32 v2, 0x3c0, v0
	v_lshl_add_u32 v1, v14, 2, 0x60
	s_mov_b32 s0, exec_lo
	s_waitcnt_vscnt null, 0x0
	s_barrier
	buffer_gl0_inv
	v_cmpx_eq_u32_e32 64, v2
	s_cbranch_execz .LBB132_110
; %bb.109:
	v_lshlrev_b32_e32 v2, 7, v12
	s_delay_alu instid0(VALU_DEP_1)
	v_add3_u32 v2, v1, v2, 0xffffff00
	ds_store_b32 v2, v15
.LBB132_110:
	s_or_b32 exec_lo, exec_lo, s0
	v_and_b32_e32 v3, 0x3e0, v0
	s_mov_b32 s0, exec_lo
	s_waitcnt lgkmcnt(0)
	s_barrier
	buffer_gl0_inv
	v_lshl_add_u32 v2, v3, 2, v1
	v_cmpx_gt_u32_e32 64, v0
	s_cbranch_execz .LBB132_112
; %bb.111:
	ds_load_b32 v4, v2
	s_waitcnt lgkmcnt(0)
	v_add_f32_e32 v15, v15, v4
.LBB132_112:
	s_or_b32 exec_lo, exec_lo, s0
	s_delay_alu instid0(SALU_CYCLE_1)
	s_mov_b32 s0, exec_lo
	s_barrier
	buffer_gl0_inv
	v_cmpx_eq_u32_e32 32, v3
	s_cbranch_execz .LBB132_114
; %bb.113:
	ds_store_b32 v1, v15
.LBB132_114:
	s_or_b32 exec_lo, exec_lo, s0
	v_cmp_gt_u32_e32 vcc_lo, 32, v0
	s_waitcnt lgkmcnt(0)
	s_barrier
	buffer_gl0_inv
	s_and_saveexec_b32 s0, vcc_lo
	s_cbranch_execz .LBB132_116
; %bb.115:
	ds_load_b32 v0, v2
	s_waitcnt lgkmcnt(0)
	v_add_f32_e32 v15, v15, v0
.LBB132_116:
	s_or_b32 exec_lo, exec_lo, s0
	s_barrier
	buffer_gl0_inv
	s_and_saveexec_b32 s0, vcc_lo
	s_cbranch_execz .LBB132_122
; %bb.117:
	v_and_b32_e32 v0, 0x7f800000, v15
	s_delay_alu instid0(VALU_DEP_1) | instskip(SKIP_1) | instid1(SALU_CYCLE_1)
	v_cmp_ne_u32_e32 vcc_lo, 0x7f800000, v0
                                        ; implicit-def: $vgpr0
	s_and_saveexec_b32 s0, vcc_lo
	s_xor_b32 s0, exec_lo, s0
; %bb.118:
	v_bfe_u32 v0, v15, 16, 1
	s_delay_alu instid0(VALU_DEP_1)
	v_add3_u32 v0, v15, v0, 0x7fff
                                        ; implicit-def: $vgpr15
; %bb.119:
	s_and_not1_saveexec_b32 s0, s0
; %bb.120:
	v_and_b32_e32 v0, 0xffff, v15
	v_or_b32_e32 v1, 0x10000, v15
	s_delay_alu instid0(VALU_DEP_2) | instskip(NEXT) | instid1(VALU_DEP_2)
	v_cmp_eq_u32_e32 vcc_lo, 0, v0
	v_cndmask_b32_e32 v0, v1, v15, vcc_lo
; %bb.121:
	s_or_b32 exec_lo, exec_lo, s0
	s_lshl_b32 s0, s6, 5
	s_mul_i32 s2, s4, s20
	s_ashr_i32 s1, s0, 31
	v_lshlrev_b32_e32 v1, 1, v14
	s_lshl_b64 s[0:1], s[0:1], 1
	s_delay_alu instid0(SALU_CYCLE_1) | instskip(SKIP_2) | instid1(SALU_CYCLE_1)
	s_add_u32 s4, s22, s0
	s_addc_u32 s5, s23, s1
	s_ashr_i32 s3, s2, 31
	s_lshl_b64 s[0:1], s[2:3], 1
	s_delay_alu instid0(SALU_CYCLE_1) | instskip(SKIP_2) | instid1(SALU_CYCLE_1)
	s_add_u32 s2, s4, s0
	s_addc_u32 s3, s5, s1
	s_lshl_b32 s0, s12, 5
	s_ashr_i32 s1, s0, 31
	s_delay_alu instid0(SALU_CYCLE_1) | instskip(NEXT) | instid1(SALU_CYCLE_1)
	s_lshl_b64 s[0:1], s[0:1], 1
	s_add_u32 s0, s2, s0
	s_addc_u32 s1, s3, s1
	global_store_d16_hi_b16 v1, v0, s[0:1]
.LBB132_122:
	s_nop 0
	s_sendmsg sendmsg(MSG_DEALLOC_VGPRS)
	s_endpgm
	.section	.rodata,"a",@progbits
	.p2align	6, 0x0
	.amdhsa_kernel _ZN4vllm25paged_attention_v2_kernelI14__hip_bfloat16S1_Li32ELi8ELi128ELNS_18Fp8KVCacheDataTypeE0ELb1ELi512EEEvPfS3_PT_PKS4_PKT0_SA_ifPKiSC_iPKfiiiSE_SE_iiiii
		.amdhsa_group_segment_fixed_size 96
		.amdhsa_private_segment_fixed_size 0
		.amdhsa_kernarg_size 400
		.amdhsa_user_sgpr_count 13
		.amdhsa_user_sgpr_dispatch_ptr 0
		.amdhsa_user_sgpr_queue_ptr 0
		.amdhsa_user_sgpr_kernarg_segment_ptr 1
		.amdhsa_user_sgpr_dispatch_id 0
		.amdhsa_user_sgpr_private_segment_size 0
		.amdhsa_wavefront_size32 1
		.amdhsa_uses_dynamic_stack 0
		.amdhsa_enable_private_segment 0
		.amdhsa_system_sgpr_workgroup_id_x 1
		.amdhsa_system_sgpr_workgroup_id_y 1
		.amdhsa_system_sgpr_workgroup_id_z 1
		.amdhsa_system_sgpr_workgroup_info 0
		.amdhsa_system_vgpr_workitem_id 0
		.amdhsa_next_free_vgpr 35
		.amdhsa_next_free_sgpr 46
		.amdhsa_reserve_vcc 1
		.amdhsa_float_round_mode_32 0
		.amdhsa_float_round_mode_16_64 0
		.amdhsa_float_denorm_mode_32 3
		.amdhsa_float_denorm_mode_16_64 3
		.amdhsa_dx10_clamp 1
		.amdhsa_ieee_mode 1
		.amdhsa_fp16_overflow 0
		.amdhsa_workgroup_processor_mode 1
		.amdhsa_memory_ordered 1
		.amdhsa_forward_progress 0
		.amdhsa_shared_vgpr_count 0
		.amdhsa_exception_fp_ieee_invalid_op 0
		.amdhsa_exception_fp_denorm_src 0
		.amdhsa_exception_fp_ieee_div_zero 0
		.amdhsa_exception_fp_ieee_overflow 0
		.amdhsa_exception_fp_ieee_underflow 0
		.amdhsa_exception_fp_ieee_inexact 0
		.amdhsa_exception_int_div_zero 0
	.end_amdhsa_kernel
	.section	.text._ZN4vllm25paged_attention_v2_kernelI14__hip_bfloat16S1_Li32ELi8ELi128ELNS_18Fp8KVCacheDataTypeE0ELb1ELi512EEEvPfS3_PT_PKS4_PKT0_SA_ifPKiSC_iPKfiiiSE_SE_iiiii,"axG",@progbits,_ZN4vllm25paged_attention_v2_kernelI14__hip_bfloat16S1_Li32ELi8ELi128ELNS_18Fp8KVCacheDataTypeE0ELb1ELi512EEEvPfS3_PT_PKS4_PKT0_SA_ifPKiSC_iPKfiiiSE_SE_iiiii,comdat
.Lfunc_end132:
	.size	_ZN4vllm25paged_attention_v2_kernelI14__hip_bfloat16S1_Li32ELi8ELi128ELNS_18Fp8KVCacheDataTypeE0ELb1ELi512EEEvPfS3_PT_PKS4_PKT0_SA_ifPKiSC_iPKfiiiSE_SE_iiiii, .Lfunc_end132-_ZN4vllm25paged_attention_v2_kernelI14__hip_bfloat16S1_Li32ELi8ELi128ELNS_18Fp8KVCacheDataTypeE0ELb1ELi512EEEvPfS3_PT_PKS4_PKT0_SA_ifPKiSC_iPKfiiiSE_SE_iiiii
                                        ; -- End function
	.section	.AMDGPU.csdata,"",@progbits
; Kernel info:
; codeLenInByte = 5888
; NumSgprs: 48
; NumVgprs: 35
; ScratchSize: 0
; MemoryBound: 0
; FloatMode: 240
; IeeeMode: 1
; LDSByteSize: 96 bytes/workgroup (compile time only)
; SGPRBlocks: 5
; VGPRBlocks: 4
; NumSGPRsForWavesPerEU: 48
; NumVGPRsForWavesPerEU: 35
; Occupancy: 16
; WaveLimiterHint : 1
; COMPUTE_PGM_RSRC2:SCRATCH_EN: 0
; COMPUTE_PGM_RSRC2:USER_SGPR: 13
; COMPUTE_PGM_RSRC2:TRAP_HANDLER: 0
; COMPUTE_PGM_RSRC2:TGID_X_EN: 1
; COMPUTE_PGM_RSRC2:TGID_Y_EN: 1
; COMPUTE_PGM_RSRC2:TGID_Z_EN: 1
; COMPUTE_PGM_RSRC2:TIDIG_COMP_CNT: 0
	.section	.text._ZN4vllm32paged_attention_v2_reduce_kernelI14__hip_bfloat16Li32ELi128ELi512EEEvPT_PKfS5_PKS2_PKii,"axG",@progbits,_ZN4vllm32paged_attention_v2_reduce_kernelI14__hip_bfloat16Li32ELi128ELi512EEEvPT_PKfS5_PKS2_PKii,comdat
	.protected	_ZN4vllm32paged_attention_v2_reduce_kernelI14__hip_bfloat16Li32ELi128ELi512EEEvPT_PKfS5_PKS2_PKii ; -- Begin function _ZN4vllm32paged_attention_v2_reduce_kernelI14__hip_bfloat16Li32ELi128ELi512EEEvPT_PKfS5_PKS2_PKii
	.globl	_ZN4vllm32paged_attention_v2_reduce_kernelI14__hip_bfloat16Li32ELi128ELi512EEEvPT_PKfS5_PKS2_PKii
	.p2align	8
	.type	_ZN4vllm32paged_attention_v2_reduce_kernelI14__hip_bfloat16Li32ELi128ELi512EEEvPT_PKfS5_PKS2_PKii,@function
_ZN4vllm32paged_attention_v2_reduce_kernelI14__hip_bfloat16Li32ELi128ELi512EEEvPT_PKfS5_PKS2_PKii: ; @_ZN4vllm32paged_attention_v2_reduce_kernelI14__hip_bfloat16Li32ELi128ELi512EEEvPT_PKfS5_PKS2_PKii
; %bb.0:
	s_load_b128 s[4:7], s[0:1], 0x18
	s_add_u32 s8, s0, 48
	s_mov_b32 s10, s15
	s_addc_u32 s9, s1, 0
	s_ashr_i32 s11, s15, 31
	s_delay_alu instid0(SALU_CYCLE_1)
	s_lshl_b64 s[2:3], s[10:11], 2
	s_waitcnt lgkmcnt(0)
	s_add_u32 s2, s6, s2
	s_addc_u32 s3, s7, s3
	s_load_b32 s20, s[2:3], 0x0
	s_clause 0x2
	s_load_b64 s[6:7], s[0:1], 0x0
	s_load_b32 s11, s[0:1], 0x28
	s_load_b32 s15, s[0:1], 0x30
	s_waitcnt lgkmcnt(0)
	s_add_i32 s2, s20, -1
	s_delay_alu instid0(SALU_CYCLE_1)
	s_cmpk_gt_u32 s2, 0x1ff
	s_mov_b32 s2, -1
	s_cbranch_scc0 .LBB133_30
; %bb.1:
	s_load_b64 s[2:3], s[0:1], 0x8
	s_add_i32 s12, s20, 0x1ff
	s_mul_i32 s18, s15, s10
	s_ashr_i32 s13, s12, 31
	v_dual_mov_b32 v4, 0xff7fffff :: v_dual_lshlrev_b32 v3, 2, v0
	s_lshr_b32 s13, s13, 23
	s_mul_i32 s16, s14, s11
	s_add_i32 s12, s12, s13
	s_ashr_i32 s17, s16, 31
	s_ashr_i32 s19, s12, 9
	s_mul_i32 s12, s18, s11
	v_cmp_gt_i32_e32 vcc_lo, s19, v0
	s_ashr_i32 s13, s12, 31
	s_and_saveexec_b32 s21, vcc_lo
	s_cbranch_execz .LBB133_5
; %bb.2:
	s_load_b32 s28, s[8:9], 0xc
	s_load_b64 s[22:23], s[0:1], 0x10
	s_lshl_b64 s[24:25], s[12:13], 2
	s_lshl_b64 s[26:27], s[16:17], 2
	v_dual_mov_b32 v4, 0xff7fffff :: v_dual_add_nc_u32 v5, 32, v3
	v_mov_b32_e32 v6, v0
	s_waitcnt lgkmcnt(0)
	s_and_b32 s1, s28, 0xffff
	s_add_u32 s0, s24, s26
	s_addc_u32 s24, s25, s27
	s_add_u32 s0, s22, s0
	s_addc_u32 s22, s23, s24
	v_add_co_u32 v1, s0, s0, v3
	s_delay_alu instid0(VALU_DEP_1)
	v_add_co_ci_u32_e64 v2, null, s22, 0, s0
	s_mov_b32 s22, 0
	s_lshl_b32 s23, s1, 2
	.p2align	6
.LBB133_3:                              ; =>This Inner Loop Header: Depth=1
	global_load_b32 v7, v[1:2], off
	v_add_nc_u32_e32 v6, s1, v6
	v_max_f32_e32 v4, v4, v4
	v_add_co_u32 v1, s0, v1, s23
	s_delay_alu instid0(VALU_DEP_1) | instskip(NEXT) | instid1(VALU_DEP_4)
	v_add_co_ci_u32_e64 v2, s0, 0, v2, s0
	v_cmp_le_i32_e64 s0, s19, v6
	s_delay_alu instid0(VALU_DEP_1)
	s_or_b32 s22, s0, s22
	s_waitcnt vmcnt(0)
	v_max_f32_e32 v8, v7, v7
	ds_store_b32 v5, v7
	v_dual_max_f32 v4, v4, v8 :: v_dual_add_nc_u32 v5, s23, v5
	s_and_not1_b32 exec_lo, exec_lo, s22
	s_cbranch_execnz .LBB133_3
; %bb.4:
	s_or_b32 exec_lo, exec_lo, s22
.LBB133_5:
	s_delay_alu instid0(SALU_CYCLE_1)
	s_or_b32 exec_lo, exec_lo, s21
	v_mbcnt_lo_u32_b32 v1, -1, 0
	s_waitcnt lgkmcnt(0)
	s_barrier
	buffer_gl0_inv
	v_xor_b32_e32 v2, 16, v1
	v_xor_b32_e32 v5, 8, v1
	s_delay_alu instid0(VALU_DEP_2) | instskip(NEXT) | instid1(VALU_DEP_1)
	v_cmp_gt_i32_e64 s0, 32, v2
	v_cndmask_b32_e64 v2, v1, v2, s0
	s_delay_alu instid0(VALU_DEP_3) | instskip(NEXT) | instid1(VALU_DEP_2)
	v_cmp_gt_i32_e64 s0, 32, v5
	v_lshlrev_b32_e32 v6, 2, v2
	s_delay_alu instid0(VALU_DEP_2) | instskip(SKIP_3) | instid1(VALU_DEP_1)
	v_cndmask_b32_e64 v5, v1, v5, s0
	ds_bpermute_b32 v2, v6, v4
	v_dual_max_f32 v4, v4, v4 :: v_dual_lshlrev_b32 v7, 2, v5
	v_xor_b32_e32 v5, 4, v1
	v_cmp_gt_i32_e64 s0, 32, v5
	s_delay_alu instid0(VALU_DEP_1) | instskip(NEXT) | instid1(VALU_DEP_1)
	v_cndmask_b32_e64 v5, v1, v5, s0
	v_lshlrev_b32_e32 v8, 2, v5
	v_xor_b32_e32 v5, 2, v1
	s_waitcnt lgkmcnt(0)
	v_max_f32_e32 v2, v2, v2
	s_delay_alu instid0(VALU_DEP_2) | instskip(NEXT) | instid1(VALU_DEP_2)
	v_cmp_gt_i32_e64 s0, 32, v5
	v_max_f32_e32 v2, v4, v2
	s_delay_alu instid0(VALU_DEP_2) | instskip(SKIP_3) | instid1(VALU_DEP_1)
	v_cndmask_b32_e64 v5, v1, v5, s0
	ds_bpermute_b32 v4, v7, v2
	s_waitcnt lgkmcnt(0)
	v_max_f32_e32 v4, v4, v4
	v_max_f32_e32 v2, v2, v4
	ds_bpermute_b32 v4, v8, v2
	s_waitcnt lgkmcnt(0)
	v_dual_max_f32 v9, v4, v4 :: v_dual_lshlrev_b32 v4, 2, v5
	s_delay_alu instid0(VALU_DEP_1) | instskip(SKIP_3) | instid1(VALU_DEP_1)
	v_max_f32_e32 v2, v2, v9
	v_xor_b32_e32 v9, 1, v1
	ds_bpermute_b32 v5, v4, v2
	v_cmp_gt_i32_e64 s0, 32, v9
	v_cndmask_b32_e64 v1, v1, v9, s0
	v_lshrrev_b32_e32 v9, 5, v0
	s_delay_alu instid0(VALU_DEP_1) | instskip(SKIP_2) | instid1(VALU_DEP_1)
	v_lshlrev_b32_e32 v9, 2, v9
	s_waitcnt lgkmcnt(0)
	v_max_f32_e32 v5, v5, v5
	v_max_f32_e32 v2, v2, v5
	v_lshlrev_b32_e32 v5, 2, v1
	v_and_b32_e32 v1, 31, v0
	ds_bpermute_b32 v10, v5, v2
	v_cmp_eq_u32_e64 s0, 0, v1
	s_delay_alu instid0(VALU_DEP_1)
	s_and_saveexec_b32 s1, s0
	s_cbranch_execz .LBB133_7
; %bb.6:
	s_waitcnt lgkmcnt(0)
	v_max_f32_e32 v10, v10, v10
	v_max_f32_e32 v2, v2, v2
	s_delay_alu instid0(VALU_DEP_1)
	v_max_f32_e32 v2, v2, v10
	ds_store_b32 v9, v2
.LBB133_7:
	s_or_b32 exec_lo, exec_lo, s1
	v_cmp_gt_u32_e64 s1, 4, v1
	v_mov_b32_e32 v2, 0xff7fffff
	s_waitcnt lgkmcnt(0)
	v_lshlrev_b32_e32 v10, 2, v1
	s_barrier
	buffer_gl0_inv
	s_and_saveexec_b32 s21, s1
	s_cbranch_execz .LBB133_9
; %bb.8:
	ds_load_b32 v2, v10
.LBB133_9:
	s_or_b32 exec_lo, exec_lo, s21
	s_waitcnt lgkmcnt(0)
	ds_bpermute_b32 v1, v4, v2
	v_max_f32_e32 v2, v2, v2
	s_lshl_b32 s21, s19, 2
	s_waitcnt lgkmcnt(0)
	v_dual_mov_b32 v12, 0 :: v_dual_max_f32 v1, v1, v1
	s_delay_alu instid0(VALU_DEP_1) | instskip(SKIP_3) | instid1(VALU_DEP_1)
	v_max_f32_e32 v1, v2, v1
	ds_bpermute_b32 v2, v5, v1
	s_waitcnt lgkmcnt(0)
	v_max_f32_e32 v2, v2, v2
	v_max_f32_e32 v1, v1, v2
	ds_bpermute_b32 v11, v12, v1
	s_and_saveexec_b32 s22, vcc_lo
	s_cbranch_execz .LBB133_13
; %bb.10:
	s_load_b32 s23, s[8:9], 0xc
	s_lshl_b64 s[24:25], s[12:13], 2
	s_lshl_b64 s[26:27], s[16:17], 2
	v_dual_mov_b32 v12, 0 :: v_dual_add_nc_u32 v13, 32, v3
	s_waitcnt lgkmcnt(0)
	s_and_b32 s13, s23, 0xffff
	s_add_u32 s17, s24, s26
	s_addc_u32 s23, s25, s27
	s_add_u32 s2, s2, s17
	s_addc_u32 s3, s3, s23
	v_add_co_u32 v1, s2, s2, v3
	s_delay_alu instid0(VALU_DEP_1)
	v_add_co_ci_u32_e64 v2, null, s3, 0, s2
	v_mov_b32_e32 v3, v0
	s_mov_b32 s3, 0
	s_lshl_b32 s17, s13, 2
	s_set_inst_prefetch_distance 0x1
	.p2align	6
.LBB133_11:                             ; =>This Inner Loop Header: Depth=1
	global_load_b32 v14, v[1:2], off
	ds_load_b32 v15, v13
	v_add_nc_u32_e32 v3, s13, v3
	s_waitcnt lgkmcnt(0)
	v_sub_f32_e32 v15, v15, v11
	s_delay_alu instid0(VALU_DEP_1) | instskip(NEXT) | instid1(VALU_DEP_1)
	v_mul_f32_e32 v16, 0x3fb8aa3b, v15
	v_fma_f32 v17, 0x3fb8aa3b, v15, -v16
	v_rndne_f32_e32 v18, v16
	s_delay_alu instid0(VALU_DEP_1) | instskip(SKIP_1) | instid1(VALU_DEP_4)
	v_sub_f32_e32 v16, v16, v18
	v_cmp_ngt_f32_e32 vcc_lo, 0xc2ce8ed0, v15
	v_fmac_f32_e32 v17, 0x32a5705f, v15
	v_cmp_nlt_f32_e64 s2, 0x42b17218, v15
	s_delay_alu instid0(VALU_DEP_2) | instskip(SKIP_1) | instid1(VALU_DEP_2)
	v_add_f32_e32 v16, v16, v17
	v_cvt_i32_f32_e32 v17, v18
	v_exp_f32_e32 v16, v16
	s_waitcnt_depctr 0xfff
	v_ldexp_f32 v16, v16, v17
	s_delay_alu instid0(VALU_DEP_1) | instskip(SKIP_2) | instid1(VALU_DEP_3)
	v_dual_cndmask_b32 v16, 0, v16 :: v_dual_add_nc_u32 v17, s21, v13
	v_add_co_u32 v1, vcc_lo, v1, s17
	v_add_co_ci_u32_e32 v2, vcc_lo, 0, v2, vcc_lo
	v_cndmask_b32_e64 v15, 0x7f800000, v16, s2
	v_cmp_le_i32_e32 vcc_lo, s19, v3
	v_add_nc_u32_e32 v13, s17, v13
	s_or_b32 s3, vcc_lo, s3
	s_waitcnt vmcnt(0)
	v_mul_f32_e32 v16, v14, v15
	v_fmac_f32_e32 v12, v14, v15
	ds_store_b32 v17, v16
	s_and_not1_b32 exec_lo, exec_lo, s3
	s_cbranch_execnz .LBB133_11
; %bb.12:
	s_set_inst_prefetch_distance 0x2
	s_or_b32 exec_lo, exec_lo, s3
.LBB133_13:
	s_delay_alu instid0(SALU_CYCLE_1)
	s_or_b32 exec_lo, exec_lo, s22
	ds_bpermute_b32 v1, v6, v12
	s_waitcnt lgkmcnt(0)
	s_barrier
	buffer_gl0_inv
	v_add_f32_e32 v1, v12, v1
	ds_bpermute_b32 v2, v7, v1
	s_waitcnt lgkmcnt(0)
	v_add_f32_e32 v1, v1, v2
	ds_bpermute_b32 v2, v8, v1
	s_waitcnt lgkmcnt(0)
	;; [unrolled: 3-line block ×4, first 2 shown]
	v_add_f32_e32 v1, v1, v2
	s_and_saveexec_b32 s2, s0
	s_cbranch_execz .LBB133_15
; %bb.14:
	ds_store_b32 v9, v1 offset:16
.LBB133_15:
	s_or_b32 exec_lo, exec_lo, s2
	s_waitcnt lgkmcnt(0)
	s_barrier
	buffer_gl0_inv
	s_and_saveexec_b32 s0, s1
	s_cbranch_execz .LBB133_17
; %bb.16:
	ds_load_b32 v1, v10 offset:16
.LBB133_17:
	s_or_b32 exec_lo, exec_lo, s0
	s_waitcnt lgkmcnt(0)
	ds_bpermute_b32 v2, v4, v1
	s_mov_b32 s0, exec_lo
	s_waitcnt lgkmcnt(0)
	v_add_f32_e32 v1, v1, v2
	ds_bpermute_b32 v2, v5, v1
	s_waitcnt lgkmcnt(0)
	v_dual_add_f32 v1, v1, v2 :: v_dual_mov_b32 v2, 0
	ds_bpermute_b32 v2, v2, v1
	v_cmpx_gt_u32_e32 32, v0
	s_cbranch_execz .LBB133_29
; %bb.18:
	s_cmp_gt_i32 s20, 0
	s_mov_b32 s1, 0
	s_cbranch_scc1 .LBB133_20
; %bb.19:
	v_mov_b32_e32 v1, 0
	s_branch .LBB133_21
.LBB133_20:
	s_mov_b32 s1, -1
.LBB133_21:
	s_delay_alu instid0(SALU_CYCLE_1) | instskip(SKIP_1) | instid1(VALU_DEP_2)
	v_cndmask_b32_e64 v3, 0, 1, s1
	v_mov_b32_e32 v4, s1
	v_cmp_ne_u32_e32 vcc_lo, 1, v3
	s_cbranch_vccnz .LBB133_24
; %bb.22:
	s_waitcnt lgkmcnt(0)
	v_add_f32_e32 v4, 0x358637bd, v2
	s_lshl_b32 s12, s12, 5
	s_lshl_b32 s16, s16, 5
	s_ashr_i32 s13, s12, 31
	s_ashr_i32 s17, s16, 31
	v_div_scale_f32 v2, null, v4, v4, 1.0
	s_lshl_b64 s[12:13], s[12:13], 1
	s_lshl_b64 s[16:17], s[16:17], 1
	s_max_i32 s1, s19, 1
	s_delay_alu instid0(VALU_DEP_1)
	v_rcp_f32_e32 v3, v2
	s_add_i32 s2, s21, 32
	s_add_u32 s3, s12, s16
	s_addc_u32 s12, s13, s17
	s_add_u32 s3, s4, s3
	s_addc_u32 s12, s5, s12
	s_waitcnt_depctr 0xfff
	v_fma_f32 v1, -v2, v3, 1.0
	s_delay_alu instid0(VALU_DEP_1) | instskip(SKIP_1) | instid1(VALU_DEP_1)
	v_fmac_f32_e32 v3, v1, v3
	v_div_scale_f32 v5, vcc_lo, 1.0, v4, 1.0
	v_dual_mov_b32 v1, 0 :: v_dual_mul_f32 v6, v5, v3
	s_delay_alu instid0(VALU_DEP_1) | instskip(NEXT) | instid1(VALU_DEP_1)
	v_fma_f32 v7, -v2, v6, v5
	v_dual_fmac_f32 v6, v7, v3 :: v_dual_lshlrev_b32 v7, 1, v0
	s_delay_alu instid0(VALU_DEP_1) | instskip(NEXT) | instid1(VALU_DEP_1)
	v_fma_f32 v2, -v2, v6, v5
	v_div_fmas_f32 v5, v2, v3, v6
	s_delay_alu instid0(VALU_DEP_3) | instskip(NEXT) | instid1(VALU_DEP_1)
	v_add_co_u32 v2, s3, s3, v7
	v_add_co_ci_u32_e64 v3, null, s12, 0, s3
	s_delay_alu instid0(VALU_DEP_3)
	v_div_fixup_f32 v5, v5, v4, 1.0
	v_mov_b32_e32 v4, v1
.LBB133_23:                             ; =>This Inner Loop Header: Depth=1
	global_load_u16 v6, v[2:3], off
	v_mov_b32_e32 v7, s2
	v_add_co_u32 v2, vcc_lo, v2, 64
	v_add_co_ci_u32_e32 v3, vcc_lo, 0, v3, vcc_lo
	s_add_i32 s1, s1, -1
	s_add_i32 s2, s2, 4
	s_cmp_eq_u32 s1, 0
	s_waitcnt vmcnt(0)
	v_lshlrev_b32_e32 v6, 16, v6
	ds_load_b32 v7, v7
	s_waitcnt lgkmcnt(0)
	v_mul_f32_e32 v6, v7, v6
	s_delay_alu instid0(VALU_DEP_1)
	v_fmac_f32_e32 v4, v5, v6
	s_cbranch_scc0 .LBB133_23
.LBB133_24:
	s_waitcnt lgkmcnt(0)
	s_delay_alu instid0(VALU_DEP_1) | instskip(NEXT) | instid1(VALU_DEP_1)
	v_and_b32_e32 v2, 0x7f800000, v4
	v_cmp_ne_u32_e32 vcc_lo, 0x7f800000, v2
                                        ; implicit-def: $vgpr2
	s_and_saveexec_b32 s1, vcc_lo
	s_delay_alu instid0(SALU_CYCLE_1)
	s_xor_b32 s1, exec_lo, s1
; %bb.25:
	v_bfe_u32 v2, v4, 16, 1
	s_delay_alu instid0(VALU_DEP_1)
	v_add3_u32 v2, v4, v2, 0x7fff
                                        ; implicit-def: $vgpr4
; %bb.26:
	s_and_not1_saveexec_b32 s1, s1
; %bb.27:
	v_and_b32_e32 v2, 0xffff, v4
	v_or_b32_e32 v3, 0x10000, v4
	s_delay_alu instid0(VALU_DEP_2) | instskip(NEXT) | instid1(VALU_DEP_2)
	v_cmp_eq_u32_e32 vcc_lo, 0, v2
	v_cndmask_b32_e32 v2, v3, v4, vcc_lo
; %bb.28:
	s_or_b32 exec_lo, exec_lo, s1
	s_lshl_b32 s2, s18, 5
	v_lshlrev_b64 v[3:4], 1, v[0:1]
	s_ashr_i32 s3, s2, 31
	s_delay_alu instid0(SALU_CYCLE_1) | instskip(NEXT) | instid1(SALU_CYCLE_1)
	s_lshl_b64 s[2:3], s[2:3], 1
	s_add_u32 s1, s6, s2
	s_addc_u32 s12, s7, s3
	s_lshl_b32 s2, s14, 5
	s_delay_alu instid0(SALU_CYCLE_1) | instskip(NEXT) | instid1(SALU_CYCLE_1)
	s_ashr_i32 s3, s2, 31
	s_lshl_b64 s[2:3], s[2:3], 1
	s_delay_alu instid0(SALU_CYCLE_1)
	s_add_u32 s1, s1, s2
	s_addc_u32 s2, s12, s3
	v_add_co_u32 v3, vcc_lo, s1, v3
	v_add_co_ci_u32_e32 v4, vcc_lo, s2, v4, vcc_lo
	global_store_d16_hi_b16 v[3:4], v2, off
.LBB133_29:
	s_or_b32 exec_lo, exec_lo, s0
	s_mov_b32 s2, 0
.LBB133_30:
	s_delay_alu instid0(SALU_CYCLE_1)
	s_and_b32 vcc_lo, exec_lo, s2
	s_cbranch_vccz .LBB133_39
; %bb.31:
	s_mov_b32 s0, exec_lo
	v_cmpx_gt_u32_e32 32, v0
	s_cbranch_execz .LBB133_39
; %bb.32:
	s_mul_i32 s15, s15, s10
	s_load_b32 s8, s[8:9], 0xc
	s_lshl_b32 s0, s15, 5
	s_delay_alu instid0(SALU_CYCLE_1) | instskip(NEXT) | instid1(SALU_CYCLE_1)
	s_ashr_i32 s1, s0, 31
	s_lshl_b64 s[0:1], s[0:1], 1
	s_delay_alu instid0(SALU_CYCLE_1) | instskip(SKIP_4) | instid1(SALU_CYCLE_1)
	s_add_u32 s6, s6, s0
	s_addc_u32 s7, s7, s1
	s_lshl_b32 s0, s14, 5
	s_mul_i32 s14, s14, s11
	s_ashr_i32 s1, s0, 31
	s_lshl_b64 s[2:3], s[0:1], 1
	s_mul_i32 s0, s11, s15
	s_add_u32 s1, s6, s2
	s_addc_u32 s2, s7, s3
	s_lshl_b32 s6, s0, 5
	s_delay_alu instid0(SALU_CYCLE_1) | instskip(NEXT) | instid1(SALU_CYCLE_1)
	s_ashr_i32 s7, s6, 31
	s_lshl_b64 s[6:7], s[6:7], 1
	s_delay_alu instid0(SALU_CYCLE_1) | instskip(SKIP_4) | instid1(SALU_CYCLE_1)
	s_add_u32 s0, s4, s6
	s_addc_u32 s6, s5, s7
	s_lshl_b32 s4, s14, 5
	s_mov_b32 s7, 0
	s_ashr_i32 s5, s4, 31
	s_lshl_b64 s[4:5], s[4:5], 1
	s_delay_alu instid0(SALU_CYCLE_1) | instskip(SKIP_3) | instid1(SALU_CYCLE_1)
	s_add_u32 s3, s0, s4
	s_addc_u32 s4, s6, s5
	s_waitcnt lgkmcnt(0)
	s_and_b32 s5, s8, 0xffff
	v_cvt_f32_u32_e32 v1, s5
	s_cmp_eq_u32 s5, 1
	v_add_nc_u32_e32 v3, s5, v0
	s_cselect_b32 s6, -1, 0
	s_sub_i32 s0, 0, s5
	v_rcp_iflag_f32_e32 v1, v1
	s_delay_alu instid0(VALU_DEP_1) | instskip(SKIP_3) | instid1(VALU_DEP_1)
	v_cmp_gt_u32_e32 vcc_lo, 32, v3
	v_max_u32_e32 v4, 32, v3
	s_waitcnt_depctr 0xfff
	v_mul_f32_e32 v1, 0x4f7ffffe, v1
	v_cvt_u32_f32_e32 v1, v1
	s_delay_alu instid0(VALU_DEP_1) | instskip(SKIP_1) | instid1(VALU_DEP_1)
	v_mul_lo_u32 v2, s0, v1
	v_add_co_ci_u32_e64 v3, s0, s5, v0, vcc_lo
	v_sub_nc_u32_e32 v3, v4, v3
	s_delay_alu instid0(VALU_DEP_3) | instskip(NEXT) | instid1(VALU_DEP_1)
	v_mul_hi_u32 v2, v1, v2
	v_add_nc_u32_e32 v1, v1, v2
	s_delay_alu instid0(VALU_DEP_1) | instskip(NEXT) | instid1(VALU_DEP_1)
	v_mul_hi_u32 v1, v3, v1
	v_mul_lo_u32 v2, v1, s5
	s_delay_alu instid0(VALU_DEP_1) | instskip(SKIP_1) | instid1(VALU_DEP_2)
	v_sub_nc_u32_e32 v2, v3, v2
	v_add_nc_u32_e32 v3, 1, v1
	v_subrev_nc_u32_e32 v4, s5, v2
	v_cmp_le_u32_e64 s0, s5, v2
	s_delay_alu instid0(VALU_DEP_1) | instskip(NEXT) | instid1(VALU_DEP_3)
	v_cndmask_b32_e64 v1, v1, v3, s0
	v_cndmask_b32_e64 v2, v2, v4, s0
	s_delay_alu instid0(VALU_DEP_2) | instskip(NEXT) | instid1(VALU_DEP_2)
	v_add_nc_u32_e32 v3, 1, v1
	v_cmp_le_u32_e64 s0, s5, v2
	s_delay_alu instid0(VALU_DEP_1) | instskip(SKIP_1) | instid1(VALU_DEP_1)
	v_cndmask_b32_e64 v1, v1, v3, s0
	s_mov_b32 s0, -1
	v_add_co_ci_u32_e32 v3, vcc_lo, 1, v1, vcc_lo
	s_delay_alu instid0(VALU_DEP_1) | instskip(SKIP_1) | instid1(SALU_CYCLE_1)
	v_cmp_lt_u32_e32 vcc_lo, 15, v3
	s_and_b32 s8, vcc_lo, s6
	s_and_saveexec_b32 s6, s8
	s_cbranch_execz .LBB133_36
; %bb.33:
	v_dual_mov_b32 v1, v0 :: v_dual_and_b32 v4, -16, v3
	s_delay_alu instid0(VALU_DEP_1)
	v_dual_mov_b32 v2, 0 :: v_dual_mov_b32 v5, v4
	.p2align	6
.LBB133_34:                             ; =>This Inner Loop Header: Depth=1
	s_delay_alu instid0(VALU_DEP_1) | instskip(NEXT) | instid1(VALU_DEP_2)
	v_lshlrev_b64 v[14:15], 1, v[1:2]
	v_add_nc_u32_e32 v5, -16, v5
	v_add_nc_u32_e32 v1, 16, v1
	s_delay_alu instid0(VALU_DEP_3) | instskip(NEXT) | instid1(VALU_DEP_4)
	v_add_co_u32 v10, vcc_lo, s3, v14
	v_add_co_ci_u32_e32 v11, vcc_lo, s4, v15, vcc_lo
	s_delay_alu instid0(VALU_DEP_4)
	v_cmp_eq_u32_e32 vcc_lo, 0, v5
	v_add_co_u32 v14, s0, s1, v14
	s_clause 0x1
	global_load_b128 v[6:9], v[10:11], off
	global_load_b128 v[10:13], v[10:11], off offset:16
	v_add_co_ci_u32_e64 v15, s0, s2, v15, s0
	s_or_b32 s7, vcc_lo, s7
	s_waitcnt vmcnt(1)
	global_store_b128 v[14:15], v[6:9], off
	s_waitcnt vmcnt(0)
	global_store_b128 v[14:15], v[10:13], off offset:16
	s_and_not1_b32 exec_lo, exec_lo, s7
	s_cbranch_execnz .LBB133_34
; %bb.35:
	s_or_b32 exec_lo, exec_lo, s7
	v_cmp_ne_u32_e32 vcc_lo, v3, v4
	v_add_nc_u32_e32 v0, v0, v4
	s_or_not1_b32 s0, vcc_lo, exec_lo
.LBB133_36:
	s_or_b32 exec_lo, exec_lo, s6
	s_delay_alu instid0(SALU_CYCLE_1)
	s_and_b32 exec_lo, exec_lo, s0
	s_cbranch_execz .LBB133_39
; %bb.37:
	v_mov_b32_e32 v1, 0
	s_mov_b32 s6, 0
	s_lshl_b32 s7, s5, 1
	s_delay_alu instid0(VALU_DEP_1)
	v_lshlrev_b64 v[1:2], 1, v[0:1]
	.p2align	6
.LBB133_38:                             ; =>This Inner Loop Header: Depth=1
	s_delay_alu instid0(VALU_DEP_1) | instskip(NEXT) | instid1(VALU_DEP_2)
	v_add_co_u32 v3, vcc_lo, s3, v1
	v_add_co_ci_u32_e32 v4, vcc_lo, s4, v2, vcc_lo
	v_add_nc_u32_e32 v0, s5, v0
	global_load_u16 v5, v[3:4], off
	v_add_co_u32 v3, vcc_lo, s1, v1
	v_add_co_ci_u32_e32 v4, vcc_lo, s2, v2, vcc_lo
	v_cmp_lt_u32_e32 vcc_lo, 31, v0
	v_add_co_u32 v1, s0, v1, s7
	s_delay_alu instid0(VALU_DEP_1)
	v_add_co_ci_u32_e64 v2, s0, 0, v2, s0
	s_or_b32 s6, vcc_lo, s6
	s_waitcnt vmcnt(0)
	global_store_b16 v[3:4], v5, off
	s_and_not1_b32 exec_lo, exec_lo, s6
	s_cbranch_execnz .LBB133_38
.LBB133_39:
	s_nop 0
	s_sendmsg sendmsg(MSG_DEALLOC_VGPRS)
	s_endpgm
	.section	.rodata,"a",@progbits
	.p2align	6, 0x0
	.amdhsa_kernel _ZN4vllm32paged_attention_v2_reduce_kernelI14__hip_bfloat16Li32ELi128ELi512EEEvPT_PKfS5_PKS2_PKii
		.amdhsa_group_segment_fixed_size 32
		.amdhsa_private_segment_fixed_size 0
		.amdhsa_kernarg_size 304
		.amdhsa_user_sgpr_count 14
		.amdhsa_user_sgpr_dispatch_ptr 0
		.amdhsa_user_sgpr_queue_ptr 0
		.amdhsa_user_sgpr_kernarg_segment_ptr 1
		.amdhsa_user_sgpr_dispatch_id 0
		.amdhsa_user_sgpr_private_segment_size 0
		.amdhsa_wavefront_size32 1
		.amdhsa_uses_dynamic_stack 0
		.amdhsa_enable_private_segment 0
		.amdhsa_system_sgpr_workgroup_id_x 1
		.amdhsa_system_sgpr_workgroup_id_y 1
		.amdhsa_system_sgpr_workgroup_id_z 0
		.amdhsa_system_sgpr_workgroup_info 0
		.amdhsa_system_vgpr_workitem_id 0
		.amdhsa_next_free_vgpr 19
		.amdhsa_next_free_sgpr 29
		.amdhsa_reserve_vcc 1
		.amdhsa_float_round_mode_32 0
		.amdhsa_float_round_mode_16_64 0
		.amdhsa_float_denorm_mode_32 3
		.amdhsa_float_denorm_mode_16_64 3
		.amdhsa_dx10_clamp 1
		.amdhsa_ieee_mode 1
		.amdhsa_fp16_overflow 0
		.amdhsa_workgroup_processor_mode 1
		.amdhsa_memory_ordered 1
		.amdhsa_forward_progress 0
		.amdhsa_shared_vgpr_count 0
		.amdhsa_exception_fp_ieee_invalid_op 0
		.amdhsa_exception_fp_denorm_src 0
		.amdhsa_exception_fp_ieee_div_zero 0
		.amdhsa_exception_fp_ieee_overflow 0
		.amdhsa_exception_fp_ieee_underflow 0
		.amdhsa_exception_fp_ieee_inexact 0
		.amdhsa_exception_int_div_zero 0
	.end_amdhsa_kernel
	.section	.text._ZN4vllm32paged_attention_v2_reduce_kernelI14__hip_bfloat16Li32ELi128ELi512EEEvPT_PKfS5_PKS2_PKii,"axG",@progbits,_ZN4vllm32paged_attention_v2_reduce_kernelI14__hip_bfloat16Li32ELi128ELi512EEEvPT_PKfS5_PKS2_PKii,comdat
.Lfunc_end133:
	.size	_ZN4vllm32paged_attention_v2_reduce_kernelI14__hip_bfloat16Li32ELi128ELi512EEEvPT_PKfS5_PKS2_PKii, .Lfunc_end133-_ZN4vllm32paged_attention_v2_reduce_kernelI14__hip_bfloat16Li32ELi128ELi512EEEvPT_PKfS5_PKS2_PKii
                                        ; -- End function
	.section	.AMDGPU.csdata,"",@progbits
; Kernel info:
; codeLenInByte = 2500
; NumSgprs: 31
; NumVgprs: 19
; ScratchSize: 0
; MemoryBound: 0
; FloatMode: 240
; IeeeMode: 1
; LDSByteSize: 32 bytes/workgroup (compile time only)
; SGPRBlocks: 3
; VGPRBlocks: 2
; NumSGPRsForWavesPerEU: 31
; NumVGPRsForWavesPerEU: 19
; Occupancy: 16
; WaveLimiterHint : 0
; COMPUTE_PGM_RSRC2:SCRATCH_EN: 0
; COMPUTE_PGM_RSRC2:USER_SGPR: 14
; COMPUTE_PGM_RSRC2:TRAP_HANDLER: 0
; COMPUTE_PGM_RSRC2:TGID_X_EN: 1
; COMPUTE_PGM_RSRC2:TGID_Y_EN: 1
; COMPUTE_PGM_RSRC2:TGID_Z_EN: 0
; COMPUTE_PGM_RSRC2:TIDIG_COMP_CNT: 0
	.section	.text._ZN4vllm25paged_attention_v2_kernelI14__hip_bfloat16S1_Li64ELi8ELi128ELNS_18Fp8KVCacheDataTypeE0ELb1ELi512EEEvPfS3_PT_PKS4_PKT0_SA_ifPKiSC_iPKfiiiSE_SE_iiiii,"axG",@progbits,_ZN4vllm25paged_attention_v2_kernelI14__hip_bfloat16S1_Li64ELi8ELi128ELNS_18Fp8KVCacheDataTypeE0ELb1ELi512EEEvPfS3_PT_PKS4_PKT0_SA_ifPKiSC_iPKfiiiSE_SE_iiiii,comdat
	.protected	_ZN4vllm25paged_attention_v2_kernelI14__hip_bfloat16S1_Li64ELi8ELi128ELNS_18Fp8KVCacheDataTypeE0ELb1ELi512EEEvPfS3_PT_PKS4_PKT0_SA_ifPKiSC_iPKfiiiSE_SE_iiiii ; -- Begin function _ZN4vllm25paged_attention_v2_kernelI14__hip_bfloat16S1_Li64ELi8ELi128ELNS_18Fp8KVCacheDataTypeE0ELb1ELi512EEEvPfS3_PT_PKS4_PKT0_SA_ifPKiSC_iPKfiiiSE_SE_iiiii
	.globl	_ZN4vllm25paged_attention_v2_kernelI14__hip_bfloat16S1_Li64ELi8ELi128ELNS_18Fp8KVCacheDataTypeE0ELb1ELi512EEEvPfS3_PT_PKS4_PKT0_SA_ifPKiSC_iPKfiiiSE_SE_iiiii
	.p2align	8
	.type	_ZN4vllm25paged_attention_v2_kernelI14__hip_bfloat16S1_Li64ELi8ELi128ELNS_18Fp8KVCacheDataTypeE0ELb1ELi512EEEvPfS3_PT_PKS4_PKT0_SA_ifPKiSC_iPKfiiiSE_SE_iiiii,@function
_ZN4vllm25paged_attention_v2_kernelI14__hip_bfloat16S1_Li64ELi8ELi128ELNS_18Fp8KVCacheDataTypeE0ELb1ELi512EEEvPfS3_PT_PKS4_PKT0_SA_ifPKiSC_iPKfiiiSE_SE_iiiii: ; @_ZN4vllm25paged_attention_v2_kernelI14__hip_bfloat16S1_Li64ELi8ELi128ELNS_18Fp8KVCacheDataTypeE0ELb1ELi512EEEvPfS3_PT_PKS4_PKT0_SA_ifPKiSC_iPKfiiiSE_SE_iiiii
; %bb.0:
	s_load_b64 s[2:3], s[0:1], 0x40
	s_mov_b32 s22, s15
	s_ashr_i32 s15, s14, 31
	s_delay_alu instid0(SALU_CYCLE_1)
	s_lshl_b64 s[4:5], s[14:15], 2
	s_waitcnt lgkmcnt(0)
	s_add_u32 s2, s2, s4
	s_addc_u32 s3, s3, s5
	s_lshl_b32 s39, s22, 9
	s_load_b32 s15, s[2:3], 0x0
	s_waitcnt lgkmcnt(0)
	s_cmp_ge_i32 s39, s15
	s_cbranch_scc1 .LBB134_160
; %bb.1:
	s_clause 0x1
	s_load_b32 s23, s[0:1], 0x90
	s_load_b64 s[36:37], s[0:1], 0x30
	s_mov_b32 s24, s13
	s_mov_b32 s42, 0
	s_waitcnt lgkmcnt(0)
	s_abs_i32 s5, s23
	s_abs_i32 s2, s36
	s_delay_alu instid0(SALU_CYCLE_1) | instskip(SKIP_1) | instid1(VALU_DEP_1)
	v_cvt_f32_u32_e32 v1, s2
	s_sub_i32 s4, 0, s2
	v_rcp_iflag_f32_e32 v1, v1
	s_waitcnt_depctr 0xfff
	v_mul_f32_e32 v1, 0x4f7ffffe, v1
	s_delay_alu instid0(VALU_DEP_1) | instskip(NEXT) | instid1(VALU_DEP_1)
	v_cvt_u32_f32_e32 v1, v1
	v_readfirstlane_b32 s3, v1
	s_delay_alu instid0(VALU_DEP_1) | instskip(NEXT) | instid1(SALU_CYCLE_1)
	s_mul_i32 s4, s4, s3
	s_mul_hi_u32 s4, s3, s4
	s_delay_alu instid0(SALU_CYCLE_1) | instskip(SKIP_4) | instid1(SALU_CYCLE_1)
	s_add_i32 s3, s3, s4
	s_xor_b32 s4, s23, s36
	s_mul_hi_u32 s3, s5, s3
	s_ashr_i32 s4, s4, 31
	s_mul_i32 s6, s3, s2
	s_sub_i32 s5, s5, s6
	s_add_i32 s6, s3, 1
	s_sub_i32 s7, s5, s2
	s_cmp_ge_u32 s5, s2
	s_cselect_b32 s3, s6, s3
	s_cselect_b32 s5, s7, s5
	s_add_i32 s6, s3, 1
	s_cmp_ge_u32 s5, s2
	s_cselect_b32 s2, s6, s3
	s_abs_i32 s17, s13
	s_xor_b32 s2, s2, s4
	s_delay_alu instid0(SALU_CYCLE_1) | instskip(SKIP_2) | instid1(SALU_CYCLE_1)
	s_sub_i32 s8, s2, s4
	s_load_b64 s[2:3], s[0:1], 0x50
	s_abs_i32 s16, s8
	v_cvt_f32_u32_e32 v1, s16
	s_sub_i32 s5, 0, s16
	s_delay_alu instid0(VALU_DEP_1) | instskip(SKIP_2) | instid1(VALU_DEP_1)
	v_rcp_iflag_f32_e32 v1, v1
	s_waitcnt_depctr 0xfff
	v_mul_f32_e32 v1, 0x4f7ffffe, v1
	v_cvt_u32_f32_e32 v1, v1
	s_delay_alu instid0(VALU_DEP_1) | instskip(NEXT) | instid1(VALU_DEP_1)
	v_readfirstlane_b32 s4, v1
	s_mul_i32 s5, s5, s4
	s_delay_alu instid0(SALU_CYCLE_1) | instskip(NEXT) | instid1(SALU_CYCLE_1)
	s_mul_hi_u32 s5, s4, s5
	s_add_i32 s4, s4, s5
	s_waitcnt lgkmcnt(0)
	s_cmp_eq_u64 s[2:3], 0
	s_mul_hi_u32 s18, s17, s4
	s_cbranch_scc1 .LBB134_3
; %bb.2:
	s_ashr_i32 s25, s24, 31
	s_delay_alu instid0(SALU_CYCLE_1) | instskip(NEXT) | instid1(SALU_CYCLE_1)
	s_lshl_b64 s[4:5], s[24:25], 2
	s_add_u32 s2, s2, s4
	s_addc_u32 s3, s3, s5
	s_load_b32 s42, s[2:3], 0x0
.LBB134_3:
	s_load_b128 s[4:7], s[0:1], 0x58
	v_and_b32_e32 v1, 3, v0
	v_cmp_gt_u32_e64 s2, 32, v0
	v_lshlrev_b32_e32 v2, 2, v0
	s_ashr_i32 s3, s24, 31
	s_waitcnt lgkmcnt(0)
	s_ashr_i32 s7, s8, 31
	s_lshl_b32 s12, s24, 6
	s_and_saveexec_b32 s8, s2
	s_cbranch_execz .LBB134_5
; %bb.4:
	s_load_b64 s[10:11], s[0:1], 0x18
	s_mul_i32 s20, s14, s4
	v_and_b32_e32 v4, 0x3fc, v0
	s_ashr_i32 s21, s20, 31
	s_delay_alu instid0(SALU_CYCLE_1) | instskip(NEXT) | instid1(VALU_DEP_1)
	s_lshl_b64 s[20:21], s[20:21], 1
	v_lshl_add_u32 v4, v1, 5, v4
	s_waitcnt lgkmcnt(0)
	s_add_u32 s4, s10, s20
	s_addc_u32 s9, s11, s21
	s_ashr_i32 s13, s12, 31
	s_delay_alu instid0(SALU_CYCLE_1) | instskip(NEXT) | instid1(SALU_CYCLE_1)
	s_lshl_b64 s[10:11], s[12:13], 1
	s_add_u32 s10, s4, s10
	s_addc_u32 s11, s9, s11
	global_load_b32 v3, v2, s[10:11]
	s_waitcnt vmcnt(0)
	ds_store_b32 v4, v3
.LBB134_5:
	s_or_b32 exec_lo, exec_lo, s8
	s_load_b128 s[8:11], s[0:1], 0x78
	s_mul_i32 s4, s18, s16
	s_xor_b32 s3, s3, s7
	s_sub_i32 s4, s17, s4
	s_add_i32 s7, s18, 1
	s_sub_i32 s13, s4, s16
	s_cmp_ge_u32 s4, s16
	s_waitcnt lgkmcnt(0)
	s_cselect_b32 s7, s7, s18
	s_cselect_b32 s4, s13, s4
	s_add_i32 s13, s7, 1
	s_cmp_ge_u32 s4, s16
	s_load_b32 s16, s[0:1], 0x88
	s_cselect_b32 s4, s13, s7
	s_add_i32 s17, s15, -1
	s_xor_b32 s4, s4, s3
	s_abs_i32 s7, s17
	s_sub_i32 s4, s4, s3
	s_mov_b32 s18, -1
	s_waitcnt lgkmcnt(0)
	s_barrier
	s_abs_i32 s13, s11
	buffer_gl0_inv
	v_cvt_f32_u32_e32 v3, s13
	s_sub_i32 s3, 0, s13
                                        ; implicit-def: $sgpr33
	s_delay_alu instid0(VALU_DEP_1) | instskip(SKIP_2) | instid1(VALU_DEP_1)
	v_rcp_iflag_f32_e32 v3, v3
	s_waitcnt_depctr 0xfff
	v_mul_f32_e32 v3, 0x4f7ffffe, v3
	v_cvt_u32_f32_e32 v3, v3
	s_delay_alu instid0(VALU_DEP_1) | instskip(NEXT) | instid1(VALU_DEP_1)
	v_readfirstlane_b32 s25, v3
	s_mul_i32 s3, s3, s25
	s_delay_alu instid0(SALU_CYCLE_1) | instskip(NEXT) | instid1(SALU_CYCLE_1)
	s_mul_hi_u32 s3, s25, s3
	s_add_i32 s25, s25, s3
	s_cmp_lt_i32 s16, 0
	s_mul_hi_u32 s3, s7, s25
	s_cbranch_scc0 .LBB134_7
; %bb.6:
	s_mul_i32 s18, s8, s36
	s_delay_alu instid0(SALU_CYCLE_1) | instskip(NEXT) | instid1(SALU_CYCLE_1)
	s_add_i32 s18, s4, s18
	s_mul_i32 s18, s18, s16
	s_delay_alu instid0(SALU_CYCLE_1)
	s_sub_i32 s33, 1, s18
	s_mov_b32 s18, 0
.LBB134_7:
	s_load_b64 s[26:27], s[0:1], 0x38
	s_ashr_i32 s28, s17, 31
	s_and_not1_b32 vcc_lo, exec_lo, s18
	s_ashr_i32 s36, s11, 31
	s_cbranch_vccnz .LBB134_9
; %bb.8:
	s_mul_i32 s8, s23, s8
	s_delay_alu instid0(SALU_CYCLE_1) | instskip(NEXT) | instid1(SALU_CYCLE_1)
	s_add_i32 s8, s8, s24
	s_mul_i32 s8, s8, s16
	s_delay_alu instid0(SALU_CYCLE_1)
	s_add_i32 s33, s8, 1
.LBB134_9:
	s_clause 0x4
	s_load_b32 s8, s[0:1], 0x48
	s_load_b64 s[30:31], s[0:1], 0x28
	s_load_b32 s11, s[0:1], 0x98
	s_load_b128 s[16:19], s[0:1], 0x0
	s_load_b64 s[20:21], s[0:1], 0x10
	s_xor_b32 s34, s28, s36
	s_mul_i32 s28, s3, s13
	s_add_i32 s35, s3, 1
	s_sub_i32 s7, s7, s28
	v_lshrrev_b32_e32 v14, 5, v0
	v_mov_b32_e32 v4, 0xff7fffff
	v_mbcnt_lo_u32_b32 v3, -1, 0
	s_delay_alu instid0(VALU_DEP_3)
	v_lshl_add_u32 v15, v14, 3, s39
	s_waitcnt lgkmcnt(0)
	s_mul_i32 s28, s14, s8
	s_sub_i32 s8, s7, s13
	s_ashr_i32 s29, s28, 31
	s_cmp_ge_u32 s7, s13
	s_cselect_b32 s3, s35, s3
	s_cselect_b32 s7, s8, s7
	s_add_i32 s8, s3, 1
	s_cmp_ge_u32 s7, s13
	s_cselect_b32 s3, s8, s3
	s_add_i32 s7, s15, 7
	s_lshl_b32 s8, s22, 6
	s_ashr_i32 s35, s7, 31
	v_or_b32_e32 v9, s8, v14
	s_lshr_b32 s35, s35, 29
	s_delay_alu instid0(SALU_CYCLE_1)
	s_add_i32 s7, s7, s35
	s_add_i32 s35, s8, 64
	s_ashr_i32 s40, s7, 3
	s_xor_b32 s7, s3, s34
	s_min_i32 s38, s35, s40
	v_ashrrev_i32_e32 v10, 31, v9
	v_cmp_gt_i32_e64 s3, s38, v9
	s_sub_i32 s41, s7, s34
	s_mul_i32 s34, s4, s6
	s_delay_alu instid0(VALU_DEP_1)
	s_and_saveexec_b32 s6, s3
	s_cbranch_execz .LBB134_19
; %bb.10:
	s_load_b64 s[0:1], s[0:1], 0x20
	s_ashr_i32 s35, s34, 31
	s_sub_i32 s7, s41, s9
	s_lshl_b64 s[44:45], s[34:35], 1
	v_bfe_u32 v5, v0, 2, 3
	v_cmp_eq_u32_e32 vcc_lo, 0, v1
	v_dual_mov_b32 v8, 0xff7fffff :: v_dual_and_b32 v17, 12, v2
	v_lshlrev_b32_e32 v6, 5, v1
	s_delay_alu instid0(VALU_DEP_4)
	v_subrev_nc_u32_e32 v18, s15, v5
	v_lshlrev_b64 v[1:2], 2, v[9:10]
	v_lshl_add_u32 v7, v14, 3, s39
	v_xor_b32_e32 v11, 2, v3
	v_xor_b32_e32 v12, 1, v3
	v_lshlrev_b32_e32 v21, 4, v5
	s_waitcnt lgkmcnt(0)
	s_add_u32 s4, s0, s44
	s_addc_u32 s1, s1, s45
	s_abs_i32 s35, s10
	s_lshl_b64 s[44:45], s[28:29], 2
	v_cvt_f32_u32_e32 v4, s35
	s_sub_i32 s43, 0, s35
	v_cmp_neq_f32_e64 s0, s42, 0
	s_delay_alu instid0(VALU_DEP_2) | instskip(SKIP_2) | instid1(VALU_DEP_1)
	v_rcp_iflag_f32_e32 v4, v4
	s_waitcnt_depctr 0xfff
	v_dual_mul_f32 v16, 0x4f7ffffe, v4 :: v_dual_lshlrev_b32 v13, 2, v5
	v_lshl_or_b32 v19, v14, 5, v13
	v_dual_mov_b32 v4, 0xff7fffff :: v_dual_add_nc_u32 v13, 1, v18
	s_delay_alu instid0(VALU_DEP_3) | instskip(NEXT) | instid1(VALU_DEP_3)
	v_cvt_u32_f32_e32 v20, v16
	v_add_nc_u32_e32 v16, 0xa0, v19
	v_add_co_u32 v19, s4, s4, v21
	s_delay_alu instid0(VALU_DEP_1) | instskip(NEXT) | instid1(VALU_DEP_4)
	v_add_co_ci_u32_e64 v21, null, s1, 0, s4
	v_mul_lo_u32 v18, s43, v20
	s_add_u32 s1, s26, s44
	s_addc_u32 s4, s27, s45
	v_add_co_u32 v1, s1, s1, v1
	s_delay_alu instid0(VALU_DEP_1) | instskip(SKIP_1) | instid1(VALU_DEP_4)
	v_add_co_ci_u32_e64 v2, s1, s4, v2, s1
	v_add_co_u32 v17, s1, v19, v17
	v_mul_hi_u32 v22, v20, v18
	v_add_co_ci_u32_e64 v18, s1, 0, v21, s1
	s_mov_b32 s43, 0
	s_mov_b32 s44, s5
	s_delay_alu instid0(VALU_DEP_2)
	v_dual_mov_b32 v20, v9 :: v_dual_add_nc_u32 v19, v20, v22
	s_branch .LBB134_13
.LBB134_11:                             ;   in Loop: Header=BB134_13 Depth=1
	s_or_b32 exec_lo, exec_lo, s45
.LBB134_12:                             ;   in Loop: Header=BB134_13 Depth=1
	s_delay_alu instid0(SALU_CYCLE_1) | instskip(SKIP_2) | instid1(VALU_DEP_1)
	s_or_b32 exec_lo, exec_lo, s4
	v_add_nc_u32_e32 v20, 4, v20
	v_add_co_u32 v1, s4, v1, 16
	v_add_co_ci_u32_e64 v2, s4, 0, v2, s4
	s_delay_alu instid0(VALU_DEP_3) | instskip(SKIP_2) | instid1(VALU_DEP_3)
	v_cmp_le_i32_e64 s1, s38, v20
	v_add_nc_u32_e32 v7, 32, v7
	v_add_nc_u32_e32 v16, 0x80, v16
	s_or_b32 s43, s1, s43
	s_delay_alu instid0(SALU_CYCLE_1)
	s_and_not1_b32 exec_lo, exec_lo, s43
	s_cbranch_execz .LBB134_18
.LBB134_13:                             ; =>This Inner Loop Header: Depth=1
	v_sub_nc_u32_e32 v21, 0, v7
	s_delay_alu instid0(VALU_DEP_1) | instskip(SKIP_1) | instid1(VALU_DEP_1)
	v_max_i32_e32 v21, v7, v21
	s_waitcnt lgkmcnt(0)
	v_mul_hi_u32 v22, v21, s25
	s_delay_alu instid0(VALU_DEP_1) | instskip(NEXT) | instid1(VALU_DEP_1)
	v_mul_lo_u32 v23, v22, s13
	v_sub_nc_u32_e32 v21, v21, v23
	v_add_nc_u32_e32 v23, 1, v22
	s_delay_alu instid0(VALU_DEP_2) | instskip(SKIP_1) | instid1(VALU_DEP_1)
	v_subrev_nc_u32_e32 v24, s13, v21
	v_cmp_le_u32_e64 s1, s13, v21
	v_cndmask_b32_e64 v22, v22, v23, s1
	s_delay_alu instid0(VALU_DEP_3) | instskip(SKIP_1) | instid1(VALU_DEP_3)
	v_cndmask_b32_e64 v21, v21, v24, s1
	v_ashrrev_i32_e32 v23, 31, v7
	v_add_nc_u32_e32 v24, 1, v22
	s_delay_alu instid0(VALU_DEP_3) | instskip(NEXT) | instid1(VALU_DEP_3)
	v_cmp_le_u32_e64 s1, s13, v21
	v_xor_b32_e32 v23, s36, v23
	s_delay_alu instid0(VALU_DEP_2) | instskip(NEXT) | instid1(VALU_DEP_1)
	v_cndmask_b32_e64 v21, v22, v24, s1
	v_xor_b32_e32 v21, v21, v23
	s_delay_alu instid0(VALU_DEP_1) | instskip(NEXT) | instid1(VALU_DEP_1)
	v_sub_nc_u32_e32 v21, v21, v23
	v_add_nc_u32_e32 v22, s33, v21
	v_cmp_ge_i32_e64 s4, s7, v21
	s_delay_alu instid0(VALU_DEP_2) | instskip(NEXT) | instid1(VALU_DEP_1)
	v_sub_nc_u32_e32 v23, 0, v22
	v_max_i32_e32 v23, v22, v23
	v_ashrrev_i32_e32 v22, 31, v22
	s_delay_alu instid0(VALU_DEP_2) | instskip(NEXT) | instid1(VALU_DEP_1)
	v_mul_hi_u32 v24, v23, v19
	v_mul_lo_u32 v24, v24, s35
	s_delay_alu instid0(VALU_DEP_1) | instskip(NEXT) | instid1(VALU_DEP_1)
	v_sub_nc_u32_e32 v23, v23, v24
	v_subrev_nc_u32_e32 v24, s35, v23
	v_cmp_le_u32_e64 s1, s35, v23
	s_delay_alu instid0(VALU_DEP_1) | instskip(NEXT) | instid1(VALU_DEP_1)
	v_cndmask_b32_e64 v23, v23, v24, s1
	v_subrev_nc_u32_e32 v24, s35, v23
	v_cmp_le_u32_e64 s1, s35, v23
	s_delay_alu instid0(VALU_DEP_1) | instskip(NEXT) | instid1(VALU_DEP_1)
	v_cndmask_b32_e64 v23, v23, v24, s1
	v_xor_b32_e32 v23, v23, v22
	s_delay_alu instid0(VALU_DEP_1) | instskip(NEXT) | instid1(VALU_DEP_1)
	v_sub_nc_u32_e32 v22, v23, v22
	v_cmp_ne_u32_e64 s1, 0, v22
	s_delay_alu instid0(VALU_DEP_1) | instskip(NEXT) | instid1(SALU_CYCLE_1)
	s_and_b32 s1, s1, s4
	s_and_b32 s45, vcc_lo, s1
	s_delay_alu instid0(SALU_CYCLE_1)
	s_and_saveexec_b32 s4, s45
	s_cbranch_execz .LBB134_15
; %bb.14:                               ;   in Loop: Header=BB134_13 Depth=1
	ds_store_b32 v16, v8
.LBB134_15:                             ;   in Loop: Header=BB134_13 Depth=1
	s_or_b32 exec_lo, exec_lo, s4
	s_xor_b32 s1, s1, -1
	s_delay_alu instid0(SALU_CYCLE_1)
	s_and_saveexec_b32 s4, s1
	s_cbranch_execz .LBB134_12
; %bb.16:                               ;   in Loop: Header=BB134_13 Depth=1
	global_load_b32 v23, v[1:2], off
	s_waitcnt vmcnt(0)
	v_mad_i64_i32 v[21:22], null, v23, s44, 0
	s_delay_alu instid0(VALU_DEP_1) | instskip(NEXT) | instid1(VALU_DEP_1)
	v_lshlrev_b64 v[21:22], 1, v[21:22]
	v_add_co_u32 v21, s1, v17, v21
	s_delay_alu instid0(VALU_DEP_1)
	v_add_co_ci_u32_e64 v22, s1, v18, v22, s1
	v_cmp_gt_i32_e64 s1, 32, v11
	s_clause 0x7
	global_load_b32 v29, v[21:22], off offset:128
	global_load_b32 v30, v[21:22], off
	global_load_b32 v31, v[21:22], off offset:256
	global_load_b32 v32, v[21:22], off offset:384
	;; [unrolled: 1-line block ×6, first 2 shown]
	ds_load_b128 v[21:24], v6
	ds_load_b128 v[25:28], v6 offset:16
	s_waitcnt lgkmcnt(1)
	v_lshlrev_b32_e32 v38, 16, v22
	v_lshlrev_b32_e32 v40, 16, v24
	v_and_b32_e32 v22, 0xffff0000, v22
	s_waitcnt lgkmcnt(0)
	v_lshlrev_b32_e32 v42, 16, v26
	v_lshlrev_b32_e32 v44, 16, v28
	s_waitcnt vmcnt(7)
	v_lshlrev_b32_e32 v45, 16, v29
	v_and_b32_e32 v29, 0xffff0000, v29
	v_lshlrev_b32_e32 v43, 16, v27
	s_waitcnt vmcnt(6)
	v_lshlrev_b32_e32 v46, 16, v30
	v_and_b32_e32 v30, 0xffff0000, v30
	v_dual_mul_f32 v22, v22, v29 :: v_dual_lshlrev_b32 v39, 16, v23
	v_lshlrev_b32_e32 v37, 16, v21
	v_and_b32_e32 v21, 0xffff0000, v21
	s_delay_alu instid0(VALU_DEP_1)
	v_dual_fmac_f32 v22, v21, v30 :: v_dual_and_b32 v21, 0xffff0000, v24
	s_waitcnt vmcnt(4)
	v_and_b32_e32 v30, 0xffff0000, v32
	v_lshlrev_b32_e32 v29, 16, v31
	v_and_b32_e32 v23, 0xffff0000, v23
	v_and_b32_e32 v31, 0xffff0000, v31
	v_lshlrev_b32_e32 v24, 16, v32
	s_delay_alu instid0(VALU_DEP_2) | instskip(SKIP_1) | instid1(VALU_DEP_2)
	v_fmac_f32_e32 v22, v23, v31
	v_mul_f32_e32 v38, v38, v45
	v_dual_fmac_f32 v22, v21, v30 :: v_dual_lshlrev_b32 v41, 16, v25
	s_delay_alu instid0(VALU_DEP_2)
	v_fmac_f32_e32 v38, v37, v46
	v_and_b32_e32 v21, 0xffff0000, v26
	s_waitcnt vmcnt(2)
	v_and_b32_e32 v26, 0xffff0000, v34
	v_and_b32_e32 v23, 0xffff0000, v25
	v_fmac_f32_e32 v38, v39, v29
	s_delay_alu instid0(VALU_DEP_1) | instskip(NEXT) | instid1(VALU_DEP_1)
	v_dual_fmac_f32 v38, v40, v24 :: v_dual_and_b32 v29, 0xffff0000, v33
	v_fmac_f32_e32 v22, v23, v29
	v_lshlrev_b32_e32 v24, 16, v34
	s_delay_alu instid0(VALU_DEP_2) | instskip(SKIP_4) | instid1(VALU_DEP_1)
	v_dual_fmac_f32 v22, v21, v26 :: v_dual_and_b32 v21, 0xffff0000, v28
	s_waitcnt vmcnt(0)
	v_and_b32_e32 v26, 0xffff0000, v36
	v_and_b32_e32 v23, 0xffff0000, v27
	;; [unrolled: 1-line block ×3, first 2 shown]
	v_dual_fmac_f32 v22, v23, v27 :: v_dual_lshlrev_b32 v25, 16, v33
	s_delay_alu instid0(VALU_DEP_1) | instskip(SKIP_2) | instid1(VALU_DEP_4)
	v_fmac_f32_e32 v38, v41, v25
	v_cndmask_b32_e64 v23, v3, v11, s1
	v_cmp_gt_i32_e64 s1, 32, v12
	v_dual_fmac_f32 v22, v21, v26 :: v_dual_lshlrev_b32 v25, 16, v35
	s_delay_alu instid0(VALU_DEP_4) | instskip(SKIP_3) | instid1(VALU_DEP_1)
	v_fmac_f32_e32 v38, v42, v24
	v_lshlrev_b32_e32 v24, 16, v36
	v_lshlrev_b32_e32 v21, 2, v23
	v_cndmask_b32_e64 v23, v3, v12, s1
	v_dual_fmac_f32 v38, v43, v25 :: v_dual_lshlrev_b32 v23, 2, v23
	s_delay_alu instid0(VALU_DEP_1) | instskip(NEXT) | instid1(VALU_DEP_1)
	v_fmac_f32_e32 v38, v44, v24
	v_add_f32_e32 v22, v38, v22
	ds_bpermute_b32 v21, v21, v22
	s_waitcnt lgkmcnt(0)
	v_add_f32_e32 v21, v22, v21
	ds_bpermute_b32 v22, v23, v21
	s_and_saveexec_b32 s45, vcc_lo
	s_cbranch_execz .LBB134_11
; %bb.17:                               ;   in Loop: Header=BB134_13 Depth=1
	s_waitcnt lgkmcnt(0)
	v_add_f32_e32 v21, v21, v22
	v_add_nc_u32_e32 v23, v13, v7
	s_delay_alu instid0(VALU_DEP_1) | instskip(NEXT) | instid1(VALU_DEP_1)
	v_cvt_f32_i32_e32 v23, v23
	v_mul_f32_e32 v23, s42, v23
	s_delay_alu instid0(VALU_DEP_1) | instskip(NEXT) | instid1(VALU_DEP_1)
	v_cndmask_b32_e64 v22, 0, v23, s0
	v_dual_max_f32 v23, v4, v4 :: v_dual_fmac_f32 v22, s37, v21
	v_add_nc_u32_e32 v21, v5, v7
	s_delay_alu instid0(VALU_DEP_2) | instskip(NEXT) | instid1(VALU_DEP_2)
	v_max_f32_e32 v23, v23, v22
	v_cmp_gt_i32_e64 s1, s15, v21
	s_delay_alu instid0(VALU_DEP_1) | instskip(NEXT) | instid1(VALU_DEP_3)
	v_cndmask_b32_e64 v21, 0, v22, s1
	v_cndmask_b32_e64 v4, v4, v23, s1
	ds_store_b32 v16, v21
	s_branch .LBB134_11
.LBB134_18:
	s_or_b32 exec_lo, exec_lo, s43
.LBB134_19:
	s_delay_alu instid0(SALU_CYCLE_1) | instskip(SKIP_4) | instid1(VALU_DEP_4)
	s_or_b32 exec_lo, exec_lo, s6
	v_xor_b32_e32 v1, 16, v3
	v_xor_b32_e32 v5, 8, v3
	v_max_f32_e32 v6, v4, v4
	v_and_b32_e32 v16, 31, v0
	v_cmp_gt_i32_e32 vcc_lo, 32, v1
	v_cndmask_b32_e32 v1, v3, v1, vcc_lo
	v_cmp_gt_i32_e32 vcc_lo, 32, v5
	s_delay_alu instid0(VALU_DEP_2) | instskip(SKIP_3) | instid1(VALU_DEP_1)
	v_lshlrev_b32_e32 v2, 2, v1
	ds_bpermute_b32 v1, v2, v4
	v_cndmask_b32_e32 v4, v3, v5, vcc_lo
	s_waitcnt lgkmcnt(0)
	v_dual_max_f32 v1, v1, v1 :: v_dual_lshlrev_b32 v4, 2, v4
	s_delay_alu instid0(VALU_DEP_1) | instskip(SKIP_1) | instid1(VALU_DEP_1)
	v_max_f32_e32 v1, v6, v1
	v_xor_b32_e32 v6, 4, v3
	v_cmp_gt_i32_e32 vcc_lo, 32, v6
	v_cndmask_b32_e32 v6, v3, v6, vcc_lo
	ds_bpermute_b32 v5, v4, v1
	v_cmp_eq_u32_e32 vcc_lo, 0, v16
	s_waitcnt lgkmcnt(0)
	v_dual_max_f32 v5, v5, v5 :: v_dual_lshlrev_b32 v6, 2, v6
	s_delay_alu instid0(VALU_DEP_1)
	v_max_f32_e32 v1, v1, v5
	v_lshlrev_b32_e32 v5, 2, v14
	ds_bpermute_b32 v7, v6, v1
	s_and_saveexec_b32 s0, vcc_lo
	s_cbranch_execz .LBB134_21
; %bb.20:
	s_waitcnt lgkmcnt(0)
	v_max_f32_e32 v7, v7, v7
	v_max_f32_e32 v1, v1, v1
	s_delay_alu instid0(VALU_DEP_1)
	v_max_f32_e32 v1, v1, v7
	ds_store_b32 v5, v1 offset:128
.LBB134_21:
	s_or_b32 exec_lo, exec_lo, s0
	v_cmp_gt_u32_e64 s0, 4, v16
	v_dual_mov_b32 v1, 0xff7fffff :: v_dual_lshlrev_b32 v18, 2, v16
	s_waitcnt lgkmcnt(0)
	s_barrier
	buffer_gl0_inv
	s_and_saveexec_b32 s1, s0
	s_cbranch_execz .LBB134_23
; %bb.22:
	ds_load_b32 v1, v18 offset:128
.LBB134_23:
	s_or_b32 exec_lo, exec_lo, s1
	v_xor_b32_e32 v7, 2, v3
	v_xor_b32_e32 v11, 1, v3
	v_lshl_add_u32 v17, v0, 2, 0xa0
	s_delay_alu instid0(VALU_DEP_3) | instskip(NEXT) | instid1(VALU_DEP_1)
	v_cmp_gt_i32_e64 s1, 32, v7
	v_cndmask_b32_e64 v7, v3, v7, s1
	s_delay_alu instid0(VALU_DEP_4) | instskip(NEXT) | instid1(VALU_DEP_2)
	v_cmp_gt_i32_e64 s1, 32, v11
	v_lshlrev_b32_e32 v7, 2, v7
	s_delay_alu instid0(VALU_DEP_2) | instskip(SKIP_1) | instid1(SALU_CYCLE_1)
	v_cndmask_b32_e64 v3, v3, v11, s1
	s_sub_i32 s1, s38, s8
	s_lshl_b32 s1, s1, 3
	s_waitcnt lgkmcnt(0)
	ds_bpermute_b32 v8, v7, v1
	v_max_f32_e32 v1, v1, v1
	v_lshlrev_b32_e32 v3, 2, v3
	s_add_i32 s1, s1, s39
	s_delay_alu instid0(SALU_CYCLE_1) | instskip(NEXT) | instid1(SALU_CYCLE_1)
	s_min_i32 s1, s1, s15
	s_sub_i32 s6, s1, s39
	s_delay_alu instid0(SALU_CYCLE_1) | instskip(SKIP_2) | instid1(VALU_DEP_1)
	v_cmp_gt_i32_e64 s1, s6, v0
	s_waitcnt lgkmcnt(0)
	v_max_f32_e32 v8, v8, v8
	v_max_f32_e32 v1, v1, v8
	ds_bpermute_b32 v8, v3, v1
	s_waitcnt lgkmcnt(0)
	v_max_f32_e32 v8, v8, v8
	s_delay_alu instid0(VALU_DEP_1)
	v_dual_max_f32 v1, v1, v8 :: v_dual_mov_b32 v8, 0
	ds_bpermute_b32 v1, v8, v1
	s_and_saveexec_b32 s7, s1
	s_cbranch_execz .LBB134_27
; %bb.24:
	v_lshl_add_u32 v11, v0, 2, 0xa0
	v_mov_b32_e32 v8, 0
	v_mov_b32_e32 v12, v0
	s_mov_b32 s35, 0
	.p2align	6
.LBB134_25:                             ; =>This Inner Loop Header: Depth=1
	ds_load_b32 v13, v11
	v_add_nc_u32_e32 v12, 0x80, v12
	s_delay_alu instid0(VALU_DEP_1) | instskip(NEXT) | instid1(VALU_DEP_1)
	v_cmp_le_i32_e64 s4, s6, v12
	s_or_b32 s35, s4, s35
	s_waitcnt lgkmcnt(0)
	v_sub_f32_e32 v13, v13, v1
	s_delay_alu instid0(VALU_DEP_1) | instskip(NEXT) | instid1(VALU_DEP_1)
	v_mul_f32_e32 v13, 0x3fb8aa3b, v13
	v_exp_f32_e32 v13, v13
	ds_store_b32 v11, v13
	v_dual_add_f32 v8, v8, v13 :: v_dual_add_nc_u32 v11, 0x200, v11
	s_and_not1_b32 exec_lo, exec_lo, s35
	s_cbranch_execnz .LBB134_25
; %bb.26:
	s_or_b32 exec_lo, exec_lo, s35
.LBB134_27:
	s_delay_alu instid0(SALU_CYCLE_1)
	s_or_b32 exec_lo, exec_lo, s7
	ds_bpermute_b32 v2, v2, v8
	s_waitcnt lgkmcnt(0)
	v_add_f32_e32 v2, v8, v2
	ds_bpermute_b32 v4, v4, v2
	s_waitcnt lgkmcnt(0)
	v_add_f32_e32 v2, v2, v4
	ds_bpermute_b32 v4, v6, v2
	s_waitcnt lgkmcnt(0)
	v_add_f32_e32 v2, v2, v4
	ds_bpermute_b32 v4, v7, v2
	s_waitcnt lgkmcnt(0)
	v_add_f32_e32 v2, v2, v4
	ds_bpermute_b32 v4, v3, v2
	s_waitcnt lgkmcnt(0)
	v_add_f32_e32 v2, v2, v4
	s_and_saveexec_b32 s4, vcc_lo
	s_cbranch_execz .LBB134_29
; %bb.28:
	ds_store_b32 v5, v2 offset:144
.LBB134_29:
	s_or_b32 exec_lo, exec_lo, s4
	s_waitcnt lgkmcnt(0)
	s_barrier
	buffer_gl0_inv
	s_and_saveexec_b32 s4, s0
	s_cbranch_execz .LBB134_31
; %bb.30:
	ds_load_b32 v2, v18 offset:144
.LBB134_31:
	s_or_b32 exec_lo, exec_lo, s4
	s_waitcnt lgkmcnt(0)
	ds_bpermute_b32 v4, v7, v2
	s_waitcnt lgkmcnt(0)
	v_add_f32_e32 v2, v2, v4
	ds_bpermute_b32 v3, v3, v2
	s_waitcnt lgkmcnt(0)
	v_dual_add_f32 v2, v2, v3 :: v_dual_mov_b32 v3, 0
	ds_bpermute_b32 v2, v3, v2
	s_and_saveexec_b32 s0, s1
	s_cbranch_execz .LBB134_34
; %bb.32:
	s_waitcnt lgkmcnt(0)
	v_add_f32_e32 v4, 0x358637bd, v2
	s_mov_b32 s1, 0
	s_delay_alu instid0(VALU_DEP_1) | instskip(NEXT) | instid1(VALU_DEP_1)
	v_div_scale_f32 v3, null, v4, v4, 1.0
	v_rcp_f32_e32 v5, v3
	s_waitcnt_depctr 0xfff
	v_fma_f32 v6, -v3, v5, 1.0
	s_delay_alu instid0(VALU_DEP_1) | instskip(SKIP_1) | instid1(VALU_DEP_1)
	v_fmac_f32_e32 v5, v6, v5
	v_div_scale_f32 v7, vcc_lo, 1.0, v4, 1.0
	v_mul_f32_e32 v6, v7, v5
	s_delay_alu instid0(VALU_DEP_1) | instskip(NEXT) | instid1(VALU_DEP_1)
	v_fma_f32 v8, -v3, v6, v7
	v_fmac_f32_e32 v6, v8, v5
	s_delay_alu instid0(VALU_DEP_1) | instskip(NEXT) | instid1(VALU_DEP_1)
	v_fma_f32 v3, -v3, v6, v7
	v_div_fmas_f32 v5, v3, v5, v6
	v_mov_b32_e32 v3, v17
	s_delay_alu instid0(VALU_DEP_2)
	v_div_fixup_f32 v4, v5, v4, 1.0
	v_mov_b32_e32 v5, v0
.LBB134_33:                             ; =>This Inner Loop Header: Depth=1
	ds_load_b32 v6, v3
	s_waitcnt lgkmcnt(0)
	v_dual_mul_f32 v6, v4, v6 :: v_dual_add_nc_u32 v5, 0x80, v5
	s_delay_alu instid0(VALU_DEP_1) | instskip(SKIP_3) | instid1(SALU_CYCLE_1)
	v_cmp_le_i32_e32 vcc_lo, s6, v5
	ds_store_b32 v3, v6
	v_add_nc_u32_e32 v3, 0x200, v3
	s_or_b32 s1, vcc_lo, s1
	s_and_not1_b32 exec_lo, exec_lo, s1
	s_cbranch_execnz .LBB134_33
.LBB134_34:
	s_or_b32 exec_lo, exec_lo, s0
	s_mul_i32 s0, s11, s14
	s_waitcnt lgkmcnt(0)
	s_mul_i32 s6, s0, s23
	s_mov_b32 s0, exec_lo
	s_barrier
	buffer_gl0_inv
	v_cmpx_eq_u32_e32 0, v0
	s_cbranch_execz .LBB134_36
; %bb.35:
	s_ashr_i32 s7, s6, 31
	s_mul_i32 s44, s11, s24
	s_lshl_b64 s[42:43], s[6:7], 2
	v_mov_b32_e32 v3, 0
	s_add_u32 s1, s18, s42
	s_addc_u32 s4, s19, s43
	s_ashr_i32 s45, s44, 31
	s_delay_alu instid0(SALU_CYCLE_1) | instskip(NEXT) | instid1(SALU_CYCLE_1)
	s_lshl_b64 s[18:19], s[44:45], 2
	s_add_u32 s1, s1, s18
	s_addc_u32 s4, s4, s19
	s_ashr_i32 s23, s22, 31
	s_delay_alu instid0(SALU_CYCLE_1) | instskip(NEXT) | instid1(SALU_CYCLE_1)
	s_lshl_b64 s[22:23], s[22:23], 2
	s_add_u32 s44, s1, s22
	s_addc_u32 s45, s4, s23
	s_add_u32 s1, s16, s42
	s_addc_u32 s4, s17, s43
	;; [unrolled: 2-line block ×4, first 2 shown]
	s_clause 0x1
	global_store_b32 v3, v1, s[44:45]
	global_store_b32 v3, v2, s[16:17]
.LBB134_36:
	s_or_b32 exec_lo, exec_lo, s0
	v_mov_b32_e32 v11, 0
	v_mov_b32_e32 v19, 0
	s_mov_b32 s4, 0
	s_and_saveexec_b32 s1, s3
	s_cbranch_execz .LBB134_142
; %bb.37:
	s_ashr_i32 s35, s34, 31
	s_sub_i32 s3, s41, s9
	s_lshl_b64 s[16:17], s[34:35], 1
	v_lshlrev_b32_e32 v5, 4, v16
	s_add_u32 s0, s30, s16
	s_addc_u32 s14, s31, s17
	s_abs_i32 s7, s10
	s_lshl_b64 s[16:17], s[28:29], 2
	v_cvt_f32_u32_e32 v1, s7
	s_sub_i32 s9, 0, s7
	v_add_co_u32 v20, s0, s0, v5
	v_mov_b32_e32 v19, 0
	s_delay_alu instid0(VALU_DEP_3) | instskip(SKIP_1) | instid1(VALU_DEP_2)
	v_rcp_iflag_f32_e32 v1, v1
	v_add_co_ci_u32_e64 v21, null, s14, 0, s0
	v_mov_b32_e32 v11, v19
	s_waitcnt_depctr 0xfff
	v_mul_f32_e32 v1, 0x4f7ffffe, v1
	s_delay_alu instid0(VALU_DEP_1) | instskip(SKIP_2) | instid1(VALU_DEP_3)
	v_cvt_u32_f32_e32 v3, v1
	v_lshlrev_b64 v[1:2], 2, v[9:10]
	v_lshl_add_u32 v10, v14, 5, 0xa0
	v_mul_lo_u32 v4, s9, v3
	s_add_i32 s9, s40, -1
	s_add_u32 s0, s26, s16
	s_addc_u32 s10, s27, s17
	v_add_co_u32 v12, vcc_lo, s0, v1
	v_add_co_ci_u32_e32 v13, vcc_lo, s10, v2, vcc_lo
	s_delay_alu instid0(VALU_DEP_3) | instskip(NEXT) | instid1(VALU_DEP_1)
	v_mul_hi_u32 v4, v3, v4
	v_add_nc_u32_e32 v22, v3, v4
	s_branch .LBB134_40
.LBB134_38:                             ;   in Loop: Header=BB134_40 Depth=1
	s_or_b32 exec_lo, exec_lo, s0
	v_and_b32_e32 v28, 0xffff0000, v28
	v_and_b32_e32 v6, 0xffff0000, v6
	;; [unrolled: 1-line block ×6, first 2 shown]
	s_delay_alu instid0(VALU_DEP_4) | instskip(SKIP_1) | instid1(VALU_DEP_4)
	v_dual_add_f32 v2, v2, v28 :: v_dual_and_b32 v23, 0xffff0000, v23
	v_and_b32_e32 v27, 0xffff0000, v27
	v_add_f32_e32 v1, v1, v6
	v_and_b32_e32 v25, 0xffff0000, v25
	v_and_b32_e32 v8, 0xffff0000, v8
	s_delay_alu instid0(VALU_DEP_3) | instskip(SKIP_3) | instid1(VALU_DEP_3)
	v_dual_add_f32 v1, v1, v2 :: v_dual_and_b32 v30, 0xffff0000, v35
	v_and_b32_e32 v7, 0xffff0000, v7
	v_and_b32_e32 v26, 0xffff0000, v26
	;; [unrolled: 1-line block ×3, first 2 shown]
	v_add_f32_e32 v7, v7, v8
	v_dual_add_f32 v8, v23, v24 :: v_dual_and_b32 v23, 0xffff0000, v29
	s_delay_alu instid0(VALU_DEP_1) | instskip(NEXT) | instid1(VALU_DEP_2)
	v_dual_add_f32 v6, v7, v8 :: v_dual_add_f32 v7, v25, v26
	v_dual_add_f32 v2, v3, v23 :: v_dual_and_b32 v3, 0xffff0000, v5
	s_delay_alu instid0(VALU_DEP_2) | instskip(NEXT) | instid1(VALU_DEP_2)
	v_dual_add_f32 v5, v6, v7 :: v_dual_add_f32 v6, v27, v30
	v_dual_add_f32 v1, v1, v2 :: v_dual_add_f32 v2, v4, v3
	s_delay_alu instid0(VALU_DEP_2) | instskip(NEXT) | instid1(VALU_DEP_2)
	v_add_f32_e32 v3, v5, v6
	v_add_f32_e32 v1, v1, v2
	s_delay_alu instid0(VALU_DEP_2) | instskip(NEXT) | instid1(VALU_DEP_2)
	v_add_f32_e32 v19, v19, v3
	v_add_f32_e32 v11, v11, v1
.LBB134_39:                             ;   in Loop: Header=BB134_40 Depth=1
	s_or_b32 exec_lo, exec_lo, s10
	v_add_nc_u32_e32 v9, 4, v9
	v_add_co_u32 v12, s0, v12, 16
	s_delay_alu instid0(VALU_DEP_1) | instskip(NEXT) | instid1(VALU_DEP_3)
	v_add_co_ci_u32_e64 v13, s0, 0, v13, s0
	v_cmp_le_i32_e32 vcc_lo, s38, v9
	v_add_nc_u32_e32 v15, 32, v15
	v_add_nc_u32_e32 v10, 0x80, v10
	s_or_b32 s4, vcc_lo, s4
	s_delay_alu instid0(SALU_CYCLE_1)
	s_and_not1_b32 exec_lo, exec_lo, s4
	s_cbranch_execz .LBB134_141
.LBB134_40:                             ; =>This Inner Loop Header: Depth=1
	v_sub_nc_u32_e32 v1, 0, v15
	s_delay_alu instid0(VALU_DEP_1) | instskip(NEXT) | instid1(VALU_DEP_1)
	v_max_i32_e32 v1, v15, v1
	v_mul_hi_u32 v2, v1, s25
	s_delay_alu instid0(VALU_DEP_1) | instskip(NEXT) | instid1(VALU_DEP_1)
	v_mul_lo_u32 v3, v2, s13
	v_sub_nc_u32_e32 v1, v1, v3
	v_add_nc_u32_e32 v3, 1, v2
	s_delay_alu instid0(VALU_DEP_2) | instskip(SKIP_1) | instid1(VALU_DEP_2)
	v_subrev_nc_u32_e32 v4, s13, v1
	v_cmp_le_u32_e32 vcc_lo, s13, v1
	v_dual_cndmask_b32 v2, v2, v3 :: v_dual_cndmask_b32 v1, v1, v4
	v_ashrrev_i32_e32 v3, 31, v15
	s_delay_alu instid0(VALU_DEP_2) | instskip(NEXT) | instid1(VALU_DEP_3)
	v_add_nc_u32_e32 v4, 1, v2
	v_cmp_le_u32_e32 vcc_lo, s13, v1
	s_delay_alu instid0(VALU_DEP_3) | instskip(NEXT) | instid1(VALU_DEP_3)
	v_xor_b32_e32 v3, s36, v3
	v_cndmask_b32_e32 v1, v2, v4, vcc_lo
	s_delay_alu instid0(VALU_DEP_1) | instskip(NEXT) | instid1(VALU_DEP_1)
	v_xor_b32_e32 v1, v1, v3
	v_sub_nc_u32_e32 v1, v1, v3
	s_delay_alu instid0(VALU_DEP_1) | instskip(SKIP_1) | instid1(VALU_DEP_2)
	v_add_nc_u32_e32 v2, s33, v1
	v_cmp_lt_i32_e64 s0, s3, v1
	v_sub_nc_u32_e32 v3, 0, v2
	s_delay_alu instid0(VALU_DEP_1) | instskip(NEXT) | instid1(VALU_DEP_1)
	v_max_i32_e32 v3, v2, v3
	v_mul_hi_u32 v4, v3, v22
	s_delay_alu instid0(VALU_DEP_1) | instskip(NEXT) | instid1(VALU_DEP_1)
	v_mul_lo_u32 v4, v4, s7
	v_sub_nc_u32_e32 v3, v3, v4
	s_delay_alu instid0(VALU_DEP_1) | instskip(SKIP_1) | instid1(VALU_DEP_2)
	v_subrev_nc_u32_e32 v4, s7, v3
	v_cmp_le_u32_e32 vcc_lo, s7, v3
	v_cndmask_b32_e32 v3, v3, v4, vcc_lo
	v_ashrrev_i32_e32 v2, 31, v2
	s_delay_alu instid0(VALU_DEP_2) | instskip(SKIP_1) | instid1(VALU_DEP_2)
	v_subrev_nc_u32_e32 v4, s7, v3
	v_cmp_le_u32_e32 vcc_lo, s7, v3
	v_cndmask_b32_e32 v3, v3, v4, vcc_lo
	s_delay_alu instid0(VALU_DEP_1) | instskip(NEXT) | instid1(VALU_DEP_1)
	v_xor_b32_e32 v3, v3, v2
	v_sub_nc_u32_e32 v2, v3, v2
	s_delay_alu instid0(VALU_DEP_1) | instskip(SKIP_1) | instid1(SALU_CYCLE_1)
	v_cmp_eq_u32_e32 vcc_lo, 0, v2
	s_or_b32 s0, vcc_lo, s0
	s_and_saveexec_b32 s10, s0
	s_cbranch_execz .LBB134_39
; %bb.41:                               ;   in Loop: Header=BB134_40 Depth=1
	global_load_b32 v28, v[12:13], off
	ds_load_2addr_b64 v[5:8], v10 offset1:1
	ds_load_2addr_b64 v[1:4], v10 offset0:2 offset1:3
	s_mov_b32 s0, exec_lo
                                        ; implicit-def: $vgpr36
	s_waitcnt lgkmcnt(1)
	v_and_b32_e32 v23, 0x7f800000, v5
	s_delay_alu instid0(VALU_DEP_1)
	v_cmpx_ne_u32_e32 0x7f800000, v23
	s_xor_b32 s0, exec_lo, s0
; %bb.42:                               ;   in Loop: Header=BB134_40 Depth=1
	v_bfe_u32 v23, v5, 16, 1
	s_delay_alu instid0(VALU_DEP_1)
	v_add3_u32 v36, v5, v23, 0x7fff
; %bb.43:                               ;   in Loop: Header=BB134_40 Depth=1
	s_and_not1_saveexec_b32 s0, s0
; %bb.44:                               ;   in Loop: Header=BB134_40 Depth=1
	v_and_b32_e32 v23, 0xffff, v5
	v_or_b32_e32 v24, 0x10000, v5
	s_delay_alu instid0(VALU_DEP_2) | instskip(NEXT) | instid1(VALU_DEP_2)
	v_cmp_eq_u32_e32 vcc_lo, 0, v23
	v_cndmask_b32_e32 v36, v24, v5, vcc_lo
; %bb.45:                               ;   in Loop: Header=BB134_40 Depth=1
	s_or_b32 exec_lo, exec_lo, s0
	v_and_b32_e32 v5, 0x7f800000, v6
	s_mov_b32 s0, exec_lo
                                        ; implicit-def: $vgpr37
	s_delay_alu instid0(VALU_DEP_1)
	v_cmpx_ne_u32_e32 0x7f800000, v5
	s_xor_b32 s0, exec_lo, s0
; %bb.46:                               ;   in Loop: Header=BB134_40 Depth=1
	v_bfe_u32 v5, v6, 16, 1
	s_delay_alu instid0(VALU_DEP_1)
	v_add3_u32 v37, v6, v5, 0x7fff
; %bb.47:                               ;   in Loop: Header=BB134_40 Depth=1
	s_and_not1_saveexec_b32 s0, s0
; %bb.48:                               ;   in Loop: Header=BB134_40 Depth=1
	v_and_b32_e32 v5, 0xffff, v6
	v_or_b32_e32 v23, 0x10000, v6
	s_delay_alu instid0(VALU_DEP_2) | instskip(NEXT) | instid1(VALU_DEP_2)
	v_cmp_eq_u32_e32 vcc_lo, 0, v5
	v_cndmask_b32_e32 v37, v23, v6, vcc_lo
; %bb.49:                               ;   in Loop: Header=BB134_40 Depth=1
	s_or_b32 exec_lo, exec_lo, s0
	v_and_b32_e32 v5, 0x7f800000, v7
	s_mov_b32 s0, exec_lo
                                        ; implicit-def: $vgpr23
	s_delay_alu instid0(VALU_DEP_1)
	v_cmpx_ne_u32_e32 0x7f800000, v5
	s_xor_b32 s0, exec_lo, s0
; %bb.50:                               ;   in Loop: Header=BB134_40 Depth=1
	v_bfe_u32 v5, v7, 16, 1
	s_delay_alu instid0(VALU_DEP_1)
	v_add3_u32 v23, v7, v5, 0x7fff
; %bb.51:                               ;   in Loop: Header=BB134_40 Depth=1
	s_and_not1_saveexec_b32 s0, s0
; %bb.52:                               ;   in Loop: Header=BB134_40 Depth=1
	v_and_b32_e32 v5, 0xffff, v7
	v_or_b32_e32 v6, 0x10000, v7
	s_delay_alu instid0(VALU_DEP_2) | instskip(NEXT) | instid1(VALU_DEP_2)
	v_cmp_eq_u32_e32 vcc_lo, 0, v5
	v_cndmask_b32_e32 v23, v6, v7, vcc_lo
; %bb.53:                               ;   in Loop: Header=BB134_40 Depth=1
	s_or_b32 exec_lo, exec_lo, s0
	v_and_b32_e32 v5, 0x7f800000, v8
	s_mov_b32 s0, exec_lo
                                        ; implicit-def: $vgpr24
	s_delay_alu instid0(VALU_DEP_1)
	v_cmpx_ne_u32_e32 0x7f800000, v5
	s_xor_b32 s0, exec_lo, s0
; %bb.54:                               ;   in Loop: Header=BB134_40 Depth=1
	v_bfe_u32 v5, v8, 16, 1
	s_delay_alu instid0(VALU_DEP_1)
	v_add3_u32 v24, v8, v5, 0x7fff
                                        ; implicit-def: $vgpr5_vgpr6_vgpr7_vgpr8
; %bb.55:                               ;   in Loop: Header=BB134_40 Depth=1
	s_and_not1_saveexec_b32 s0, s0
; %bb.56:                               ;   in Loop: Header=BB134_40 Depth=1
	v_and_b32_e32 v5, 0xffff, v8
	v_or_b32_e32 v6, 0x10000, v8
	s_delay_alu instid0(VALU_DEP_2) | instskip(NEXT) | instid1(VALU_DEP_2)
	v_cmp_eq_u32_e32 vcc_lo, 0, v5
	v_cndmask_b32_e32 v24, v6, v8, vcc_lo
; %bb.57:                               ;   in Loop: Header=BB134_40 Depth=1
	s_or_b32 exec_lo, exec_lo, s0
	s_waitcnt lgkmcnt(0)
	v_and_b32_e32 v5, 0x7f800000, v1
	s_mov_b32 s0, exec_lo
                                        ; implicit-def: $vgpr25
	s_delay_alu instid0(VALU_DEP_1)
	v_cmpx_ne_u32_e32 0x7f800000, v5
	s_xor_b32 s0, exec_lo, s0
; %bb.58:                               ;   in Loop: Header=BB134_40 Depth=1
	v_bfe_u32 v5, v1, 16, 1
	s_delay_alu instid0(VALU_DEP_1)
	v_add3_u32 v25, v1, v5, 0x7fff
; %bb.59:                               ;   in Loop: Header=BB134_40 Depth=1
	s_and_not1_saveexec_b32 s0, s0
; %bb.60:                               ;   in Loop: Header=BB134_40 Depth=1
	v_and_b32_e32 v5, 0xffff, v1
	v_or_b32_e32 v6, 0x10000, v1
	s_delay_alu instid0(VALU_DEP_2) | instskip(NEXT) | instid1(VALU_DEP_2)
	v_cmp_eq_u32_e32 vcc_lo, 0, v5
	v_cndmask_b32_e32 v25, v6, v1, vcc_lo
; %bb.61:                               ;   in Loop: Header=BB134_40 Depth=1
	s_or_b32 exec_lo, exec_lo, s0
	v_and_b32_e32 v1, 0x7f800000, v2
	s_mov_b32 s0, exec_lo
                                        ; implicit-def: $vgpr26
	s_delay_alu instid0(VALU_DEP_1)
	v_cmpx_ne_u32_e32 0x7f800000, v1
	s_xor_b32 s0, exec_lo, s0
; %bb.62:                               ;   in Loop: Header=BB134_40 Depth=1
	v_bfe_u32 v1, v2, 16, 1
	s_delay_alu instid0(VALU_DEP_1)
	v_add3_u32 v26, v2, v1, 0x7fff
; %bb.63:                               ;   in Loop: Header=BB134_40 Depth=1
	s_and_not1_saveexec_b32 s0, s0
; %bb.64:                               ;   in Loop: Header=BB134_40 Depth=1
	v_and_b32_e32 v1, 0xffff, v2
	v_or_b32_e32 v5, 0x10000, v2
	s_delay_alu instid0(VALU_DEP_2) | instskip(NEXT) | instid1(VALU_DEP_2)
	v_cmp_eq_u32_e32 vcc_lo, 0, v1
	v_cndmask_b32_e32 v26, v5, v2, vcc_lo
; %bb.65:                               ;   in Loop: Header=BB134_40 Depth=1
	s_or_b32 exec_lo, exec_lo, s0
	v_and_b32_e32 v1, 0x7f800000, v3
	s_mov_b32 s0, exec_lo
                                        ; implicit-def: $vgpr27
	s_delay_alu instid0(VALU_DEP_1)
	v_cmpx_ne_u32_e32 0x7f800000, v1
	s_xor_b32 s0, exec_lo, s0
; %bb.66:                               ;   in Loop: Header=BB134_40 Depth=1
	v_bfe_u32 v1, v3, 16, 1
	s_delay_alu instid0(VALU_DEP_1)
	v_add3_u32 v27, v3, v1, 0x7fff
; %bb.67:                               ;   in Loop: Header=BB134_40 Depth=1
	s_and_not1_saveexec_b32 s0, s0
; %bb.68:                               ;   in Loop: Header=BB134_40 Depth=1
	v_and_b32_e32 v1, 0xffff, v3
	v_or_b32_e32 v2, 0x10000, v3
	s_delay_alu instid0(VALU_DEP_2) | instskip(NEXT) | instid1(VALU_DEP_2)
	v_cmp_eq_u32_e32 vcc_lo, 0, v1
	v_cndmask_b32_e32 v27, v2, v3, vcc_lo
; %bb.69:                               ;   in Loop: Header=BB134_40 Depth=1
	s_or_b32 exec_lo, exec_lo, s0
	v_and_b32_e32 v1, 0x7f800000, v4
	s_mov_b32 s0, exec_lo
                                        ; implicit-def: $vgpr35
	s_delay_alu instid0(VALU_DEP_1)
	v_cmpx_ne_u32_e32 0x7f800000, v1
	s_xor_b32 s0, exec_lo, s0
; %bb.70:                               ;   in Loop: Header=BB134_40 Depth=1
	v_bfe_u32 v1, v4, 16, 1
	s_delay_alu instid0(VALU_DEP_1)
	v_add3_u32 v35, v4, v1, 0x7fff
                                        ; implicit-def: $vgpr1_vgpr2_vgpr3_vgpr4
; %bb.71:                               ;   in Loop: Header=BB134_40 Depth=1
	s_and_not1_saveexec_b32 s0, s0
; %bb.72:                               ;   in Loop: Header=BB134_40 Depth=1
	v_and_b32_e32 v1, 0xffff, v4
	v_or_b32_e32 v2, 0x10000, v4
	s_delay_alu instid0(VALU_DEP_2) | instskip(NEXT) | instid1(VALU_DEP_2)
	v_cmp_eq_u32_e32 vcc_lo, 0, v1
	v_cndmask_b32_e32 v35, v2, v4, vcc_lo
; %bb.73:                               ;   in Loop: Header=BB134_40 Depth=1
	s_or_b32 exec_lo, exec_lo, s0
	s_waitcnt vmcnt(0)
	v_mad_i64_i32 v[1:2], null, v28, s5, 0
	v_add_nc_u32_e32 v34, 1, v15
	v_add_nc_u32_e32 v33, 2, v15
	;; [unrolled: 1-line block ×6, first 2 shown]
	v_lshlrev_b64 v[1:2], 1, v[1:2]
	v_add_nc_u32_e32 v32, 7, v15
	s_delay_alu instid0(VALU_DEP_2) | instskip(NEXT) | instid1(VALU_DEP_3)
	v_add_co_u32 v5, vcc_lo, v20, v1
	v_add_co_ci_u32_e32 v6, vcc_lo, v21, v2, vcc_lo
	v_cmp_eq_u32_e32 vcc_lo, s9, v9
	global_load_b128 v[1:4], v[5:6], off
	s_waitcnt vmcnt(0)
	v_lshrrev_b32_e32 v8, 16, v1
	v_lshrrev_b32_e32 v40, 16, v2
	;; [unrolled: 1-line block ×4, first 2 shown]
	s_and_saveexec_b32 s14, vcc_lo
	s_cbranch_execz .LBB134_75
; %bb.74:                               ;   in Loop: Header=BB134_40 Depth=1
	v_cmp_gt_i32_e64 s0, s15, v15
	s_delay_alu instid0(VALU_DEP_1) | instskip(SKIP_1) | instid1(VALU_DEP_1)
	v_cndmask_b32_e64 v1, 0, v1, s0
	v_cmp_gt_i32_e64 s0, s15, v34
	v_cndmask_b32_e64 v8, 0, v8, s0
	v_cmp_gt_i32_e64 s0, s15, v33
	s_delay_alu instid0(VALU_DEP_1) | instskip(SKIP_1) | instid1(VALU_DEP_1)
	v_cndmask_b32_e64 v2, 0, v2, s0
	v_cmp_gt_i32_e64 s0, s15, v31
	v_cndmask_b32_e64 v40, 0, v40, s0
	;; [unrolled: 5-line block ×4, first 2 shown]
.LBB134_75:                             ;   in Loop: Header=BB134_40 Depth=1
	s_or_b32 exec_lo, exec_lo, s14
	v_and_b32_e32 v36, 0xffff0000, v36
	v_lshlrev_b32_e32 v1, 16, v1
	s_delay_alu instid0(VALU_DEP_1) | instskip(NEXT) | instid1(VALU_DEP_1)
	v_mul_f32_e32 v1, v36, v1
	v_and_b32_e32 v7, 0x7f800000, v1
	s_delay_alu instid0(VALU_DEP_1) | instskip(NEXT) | instid1(VALU_DEP_1)
	v_cmp_ne_u32_e64 s0, 0x7f800000, v7
                                        ; implicit-def: $vgpr7
	s_and_saveexec_b32 s14, s0
	s_delay_alu instid0(SALU_CYCLE_1)
	s_xor_b32 s0, exec_lo, s14
; %bb.76:                               ;   in Loop: Header=BB134_40 Depth=1
	v_bfe_u32 v7, v1, 16, 1
	s_delay_alu instid0(VALU_DEP_1)
	v_add3_u32 v7, v1, v7, 0x7fff
                                        ; implicit-def: $vgpr1
; %bb.77:                               ;   in Loop: Header=BB134_40 Depth=1
	s_and_not1_saveexec_b32 s14, s0
; %bb.78:                               ;   in Loop: Header=BB134_40 Depth=1
	v_and_b32_e32 v7, 0xffff, v1
	v_or_b32_e32 v38, 0x10000, v1
	s_delay_alu instid0(VALU_DEP_2) | instskip(NEXT) | instid1(VALU_DEP_1)
	v_cmp_eq_u32_e64 s0, 0, v7
	v_cndmask_b32_e64 v7, v38, v1, s0
; %bb.79:                               ;   in Loop: Header=BB134_40 Depth=1
	s_or_b32 exec_lo, exec_lo, s14
	v_and_b32_e32 v37, 0xffff0000, v37
	v_lshlrev_b32_e32 v1, 16, v8
	s_delay_alu instid0(VALU_DEP_1) | instskip(NEXT) | instid1(VALU_DEP_1)
	v_mul_f32_e32 v1, v37, v1
	v_and_b32_e32 v8, 0x7f800000, v1
	s_delay_alu instid0(VALU_DEP_1) | instskip(NEXT) | instid1(VALU_DEP_1)
	v_cmp_ne_u32_e64 s0, 0x7f800000, v8
                                        ; implicit-def: $vgpr8
	s_and_saveexec_b32 s14, s0
	s_delay_alu instid0(SALU_CYCLE_1)
	s_xor_b32 s0, exec_lo, s14
; %bb.80:                               ;   in Loop: Header=BB134_40 Depth=1
	v_bfe_u32 v8, v1, 16, 1
	s_delay_alu instid0(VALU_DEP_1)
	v_add3_u32 v8, v1, v8, 0x7fff
                                        ; implicit-def: $vgpr1
; %bb.81:                               ;   in Loop: Header=BB134_40 Depth=1
	s_and_not1_saveexec_b32 s14, s0
; %bb.82:                               ;   in Loop: Header=BB134_40 Depth=1
	v_and_b32_e32 v8, 0xffff, v1
	v_or_b32_e32 v38, 0x10000, v1
	s_delay_alu instid0(VALU_DEP_2) | instskip(NEXT) | instid1(VALU_DEP_1)
	v_cmp_eq_u32_e64 s0, 0, v8
	v_cndmask_b32_e64 v8, v38, v1, s0
; %bb.83:                               ;   in Loop: Header=BB134_40 Depth=1
	s_or_b32 exec_lo, exec_lo, s14
	v_and_b32_e32 v38, 0xffff0000, v23
	v_lshlrev_b32_e32 v1, 16, v2
                                        ; implicit-def: $vgpr23
	s_delay_alu instid0(VALU_DEP_1) | instskip(NEXT) | instid1(VALU_DEP_1)
	v_mul_f32_e32 v1, v38, v1
	v_and_b32_e32 v2, 0x7f800000, v1
	s_delay_alu instid0(VALU_DEP_1) | instskip(NEXT) | instid1(VALU_DEP_1)
	v_cmp_ne_u32_e64 s0, 0x7f800000, v2
	s_and_saveexec_b32 s14, s0
	s_delay_alu instid0(SALU_CYCLE_1)
	s_xor_b32 s0, exec_lo, s14
; %bb.84:                               ;   in Loop: Header=BB134_40 Depth=1
	v_bfe_u32 v2, v1, 16, 1
	s_delay_alu instid0(VALU_DEP_1)
	v_add3_u32 v23, v1, v2, 0x7fff
                                        ; implicit-def: $vgpr1
; %bb.85:                               ;   in Loop: Header=BB134_40 Depth=1
	s_and_not1_saveexec_b32 s14, s0
; %bb.86:                               ;   in Loop: Header=BB134_40 Depth=1
	v_and_b32_e32 v2, 0xffff, v1
	v_or_b32_e32 v23, 0x10000, v1
	s_delay_alu instid0(VALU_DEP_2) | instskip(NEXT) | instid1(VALU_DEP_1)
	v_cmp_eq_u32_e64 s0, 0, v2
	v_cndmask_b32_e64 v23, v23, v1, s0
; %bb.87:                               ;   in Loop: Header=BB134_40 Depth=1
	s_or_b32 exec_lo, exec_lo, s14
	v_and_b32_e32 v39, 0xffff0000, v24
	v_lshlrev_b32_e32 v1, 16, v40
                                        ; implicit-def: $vgpr24
	s_delay_alu instid0(VALU_DEP_1) | instskip(NEXT) | instid1(VALU_DEP_1)
	v_mul_f32_e32 v1, v39, v1
	v_and_b32_e32 v2, 0x7f800000, v1
	s_delay_alu instid0(VALU_DEP_1) | instskip(NEXT) | instid1(VALU_DEP_1)
	v_cmp_ne_u32_e64 s0, 0x7f800000, v2
	s_and_saveexec_b32 s14, s0
	s_delay_alu instid0(SALU_CYCLE_1)
	s_xor_b32 s0, exec_lo, s14
; %bb.88:                               ;   in Loop: Header=BB134_40 Depth=1
	v_bfe_u32 v2, v1, 16, 1
	s_delay_alu instid0(VALU_DEP_1)
	v_add3_u32 v24, v1, v2, 0x7fff
                                        ; implicit-def: $vgpr1
; %bb.89:                               ;   in Loop: Header=BB134_40 Depth=1
	s_and_not1_saveexec_b32 s14, s0
; %bb.90:                               ;   in Loop: Header=BB134_40 Depth=1
	v_and_b32_e32 v2, 0xffff, v1
	v_or_b32_e32 v24, 0x10000, v1
	s_delay_alu instid0(VALU_DEP_2) | instskip(NEXT) | instid1(VALU_DEP_1)
	v_cmp_eq_u32_e64 s0, 0, v2
	v_cndmask_b32_e64 v24, v24, v1, s0
; %bb.91:                               ;   in Loop: Header=BB134_40 Depth=1
	s_or_b32 exec_lo, exec_lo, s14
	v_and_b32_e32 v40, 0xffff0000, v25
	v_lshlrev_b32_e32 v1, 16, v3
                                        ; implicit-def: $vgpr25
	s_delay_alu instid0(VALU_DEP_1) | instskip(NEXT) | instid1(VALU_DEP_1)
	v_mul_f32_e32 v1, v40, v1
	v_and_b32_e32 v2, 0x7f800000, v1
	s_delay_alu instid0(VALU_DEP_1) | instskip(NEXT) | instid1(VALU_DEP_1)
	v_cmp_ne_u32_e64 s0, 0x7f800000, v2
	s_and_saveexec_b32 s14, s0
	s_delay_alu instid0(SALU_CYCLE_1)
	s_xor_b32 s0, exec_lo, s14
; %bb.92:                               ;   in Loop: Header=BB134_40 Depth=1
	v_bfe_u32 v2, v1, 16, 1
	s_delay_alu instid0(VALU_DEP_1)
	v_add3_u32 v25, v1, v2, 0x7fff
                                        ; implicit-def: $vgpr1
; %bb.93:                               ;   in Loop: Header=BB134_40 Depth=1
	s_and_not1_saveexec_b32 s14, s0
; %bb.94:                               ;   in Loop: Header=BB134_40 Depth=1
	v_and_b32_e32 v2, 0xffff, v1
	v_or_b32_e32 v3, 0x10000, v1
	s_delay_alu instid0(VALU_DEP_2) | instskip(NEXT) | instid1(VALU_DEP_1)
	v_cmp_eq_u32_e64 s0, 0, v2
	v_cndmask_b32_e64 v25, v3, v1, s0
; %bb.95:                               ;   in Loop: Header=BB134_40 Depth=1
	s_or_b32 exec_lo, exec_lo, s14
	v_and_b32_e32 v41, 0xffff0000, v26
	v_lshlrev_b32_e32 v1, 16, v42
                                        ; implicit-def: $vgpr26
	s_delay_alu instid0(VALU_DEP_1) | instskip(NEXT) | instid1(VALU_DEP_1)
	v_mul_f32_e32 v1, v41, v1
	v_and_b32_e32 v2, 0x7f800000, v1
	s_delay_alu instid0(VALU_DEP_1) | instskip(NEXT) | instid1(VALU_DEP_1)
	v_cmp_ne_u32_e64 s0, 0x7f800000, v2
	s_and_saveexec_b32 s14, s0
	s_delay_alu instid0(SALU_CYCLE_1)
	s_xor_b32 s0, exec_lo, s14
; %bb.96:                               ;   in Loop: Header=BB134_40 Depth=1
	v_bfe_u32 v2, v1, 16, 1
	s_delay_alu instid0(VALU_DEP_1)
	v_add3_u32 v26, v1, v2, 0x7fff
                                        ; implicit-def: $vgpr1
; %bb.97:                               ;   in Loop: Header=BB134_40 Depth=1
	s_and_not1_saveexec_b32 s14, s0
; %bb.98:                               ;   in Loop: Header=BB134_40 Depth=1
	v_and_b32_e32 v2, 0xffff, v1
	v_or_b32_e32 v3, 0x10000, v1
	s_delay_alu instid0(VALU_DEP_2) | instskip(NEXT) | instid1(VALU_DEP_1)
	v_cmp_eq_u32_e64 s0, 0, v2
	v_cndmask_b32_e64 v26, v3, v1, s0
; %bb.99:                               ;   in Loop: Header=BB134_40 Depth=1
	s_or_b32 exec_lo, exec_lo, s14
	v_and_b32_e32 v42, 0xffff0000, v27
	v_lshlrev_b32_e32 v1, 16, v4
                                        ; implicit-def: $vgpr27
	s_delay_alu instid0(VALU_DEP_1) | instskip(NEXT) | instid1(VALU_DEP_1)
	v_mul_f32_e32 v1, v42, v1
	v_and_b32_e32 v2, 0x7f800000, v1
	s_delay_alu instid0(VALU_DEP_1) | instskip(NEXT) | instid1(VALU_DEP_1)
	v_cmp_ne_u32_e64 s0, 0x7f800000, v2
	s_and_saveexec_b32 s14, s0
	s_delay_alu instid0(SALU_CYCLE_1)
	s_xor_b32 s0, exec_lo, s14
; %bb.100:                              ;   in Loop: Header=BB134_40 Depth=1
	v_bfe_u32 v2, v1, 16, 1
	s_delay_alu instid0(VALU_DEP_1)
	v_add3_u32 v27, v1, v2, 0x7fff
                                        ; implicit-def: $vgpr1
; %bb.101:                              ;   in Loop: Header=BB134_40 Depth=1
	s_and_not1_saveexec_b32 s14, s0
; %bb.102:                              ;   in Loop: Header=BB134_40 Depth=1
	v_and_b32_e32 v2, 0xffff, v1
	v_or_b32_e32 v3, 0x10000, v1
	s_delay_alu instid0(VALU_DEP_2) | instskip(NEXT) | instid1(VALU_DEP_1)
	v_cmp_eq_u32_e64 s0, 0, v2
	v_cndmask_b32_e64 v27, v3, v1, s0
; %bb.103:                              ;   in Loop: Header=BB134_40 Depth=1
	s_or_b32 exec_lo, exec_lo, s14
	v_and_b32_e32 v43, 0xffff0000, v35
	v_lshlrev_b32_e32 v1, 16, v44
                                        ; implicit-def: $vgpr35
	s_delay_alu instid0(VALU_DEP_1) | instskip(NEXT) | instid1(VALU_DEP_1)
	v_mul_f32_e32 v1, v43, v1
	v_and_b32_e32 v2, 0x7f800000, v1
	s_delay_alu instid0(VALU_DEP_1) | instskip(NEXT) | instid1(VALU_DEP_1)
	v_cmp_ne_u32_e64 s0, 0x7f800000, v2
	s_and_saveexec_b32 s14, s0
	s_delay_alu instid0(SALU_CYCLE_1)
	s_xor_b32 s0, exec_lo, s14
; %bb.104:                              ;   in Loop: Header=BB134_40 Depth=1
	v_bfe_u32 v2, v1, 16, 1
	s_delay_alu instid0(VALU_DEP_1)
	v_add3_u32 v35, v1, v2, 0x7fff
                                        ; implicit-def: $vgpr1
; %bb.105:                              ;   in Loop: Header=BB134_40 Depth=1
	s_and_not1_saveexec_b32 s14, s0
; %bb.106:                              ;   in Loop: Header=BB134_40 Depth=1
	v_and_b32_e32 v2, 0xffff, v1
	v_or_b32_e32 v3, 0x10000, v1
	s_delay_alu instid0(VALU_DEP_2) | instskip(NEXT) | instid1(VALU_DEP_1)
	v_cmp_eq_u32_e64 s0, 0, v2
	v_cndmask_b32_e64 v35, v3, v1, s0
; %bb.107:                              ;   in Loop: Header=BB134_40 Depth=1
	s_or_b32 exec_lo, exec_lo, s14
	global_load_b128 v[1:4], v[5:6], off offset:512
	s_waitcnt vmcnt(0)
	v_lshrrev_b32_e32 v6, 16, v1
	v_lshrrev_b32_e32 v45, 16, v2
	;; [unrolled: 1-line block ×4, first 2 shown]
	s_and_saveexec_b32 s0, vcc_lo
	s_cbranch_execz .LBB134_109
; %bb.108:                              ;   in Loop: Header=BB134_40 Depth=1
	v_cmp_gt_i32_e32 vcc_lo, s15, v15
	v_cndmask_b32_e32 v1, 0, v1, vcc_lo
	v_cmp_gt_i32_e32 vcc_lo, s15, v34
	v_cndmask_b32_e32 v6, 0, v6, vcc_lo
	;; [unrolled: 2-line block ×8, first 2 shown]
.LBB134_109:                            ;   in Loop: Header=BB134_40 Depth=1
	s_or_b32 exec_lo, exec_lo, s0
	v_lshlrev_b32_e32 v1, 16, v1
	s_delay_alu instid0(VALU_DEP_1) | instskip(NEXT) | instid1(VALU_DEP_1)
	v_mul_f32_e32 v28, v36, v1
	v_and_b32_e32 v1, 0x7f800000, v28
	s_delay_alu instid0(VALU_DEP_1) | instskip(SKIP_1) | instid1(SALU_CYCLE_1)
	v_cmp_ne_u32_e32 vcc_lo, 0x7f800000, v1
                                        ; implicit-def: $vgpr1
	s_and_saveexec_b32 s0, vcc_lo
	s_xor_b32 s0, exec_lo, s0
; %bb.110:                              ;   in Loop: Header=BB134_40 Depth=1
	v_bfe_u32 v1, v28, 16, 1
	s_delay_alu instid0(VALU_DEP_1)
	v_add3_u32 v1, v28, v1, 0x7fff
                                        ; implicit-def: $vgpr28
; %bb.111:                              ;   in Loop: Header=BB134_40 Depth=1
	s_and_not1_saveexec_b32 s0, s0
; %bb.112:                              ;   in Loop: Header=BB134_40 Depth=1
	v_and_b32_e32 v1, 0xffff, v28
	v_or_b32_e32 v29, 0x10000, v28
	s_delay_alu instid0(VALU_DEP_2) | instskip(NEXT) | instid1(VALU_DEP_2)
	v_cmp_eq_u32_e32 vcc_lo, 0, v1
	v_cndmask_b32_e32 v1, v29, v28, vcc_lo
; %bb.113:                              ;   in Loop: Header=BB134_40 Depth=1
	s_or_b32 exec_lo, exec_lo, s0
	v_lshlrev_b32_e32 v6, 16, v6
	s_delay_alu instid0(VALU_DEP_1) | instskip(NEXT) | instid1(VALU_DEP_1)
	v_mul_f32_e32 v28, v37, v6
	v_and_b32_e32 v6, 0x7f800000, v28
	s_delay_alu instid0(VALU_DEP_1) | instskip(SKIP_1) | instid1(SALU_CYCLE_1)
	v_cmp_ne_u32_e32 vcc_lo, 0x7f800000, v6
                                        ; implicit-def: $vgpr6
	s_and_saveexec_b32 s0, vcc_lo
	s_xor_b32 s0, exec_lo, s0
; %bb.114:                              ;   in Loop: Header=BB134_40 Depth=1
	v_bfe_u32 v6, v28, 16, 1
	s_delay_alu instid0(VALU_DEP_1)
	v_add3_u32 v6, v28, v6, 0x7fff
                                        ; implicit-def: $vgpr28
; %bb.115:                              ;   in Loop: Header=BB134_40 Depth=1
	s_and_not1_saveexec_b32 s0, s0
; %bb.116:                              ;   in Loop: Header=BB134_40 Depth=1
	v_and_b32_e32 v6, 0xffff, v28
	v_or_b32_e32 v29, 0x10000, v28
	s_delay_alu instid0(VALU_DEP_2) | instskip(NEXT) | instid1(VALU_DEP_2)
	v_cmp_eq_u32_e32 vcc_lo, 0, v6
	v_cndmask_b32_e32 v6, v29, v28, vcc_lo
; %bb.117:                              ;   in Loop: Header=BB134_40 Depth=1
	s_or_b32 exec_lo, exec_lo, s0
	v_lshlrev_b32_e32 v2, 16, v2
	s_delay_alu instid0(VALU_DEP_1) | instskip(NEXT) | instid1(VALU_DEP_1)
	v_mul_f32_e32 v28, v38, v2
	v_and_b32_e32 v2, 0x7f800000, v28
	s_delay_alu instid0(VALU_DEP_1) | instskip(SKIP_1) | instid1(SALU_CYCLE_1)
	v_cmp_ne_u32_e32 vcc_lo, 0x7f800000, v2
                                        ; implicit-def: $vgpr2
	s_and_saveexec_b32 s0, vcc_lo
	s_xor_b32 s0, exec_lo, s0
; %bb.118:                              ;   in Loop: Header=BB134_40 Depth=1
	v_bfe_u32 v2, v28, 16, 1
	s_delay_alu instid0(VALU_DEP_1)
	v_add3_u32 v2, v28, v2, 0x7fff
                                        ; implicit-def: $vgpr28
; %bb.119:                              ;   in Loop: Header=BB134_40 Depth=1
	s_and_not1_saveexec_b32 s0, s0
; %bb.120:                              ;   in Loop: Header=BB134_40 Depth=1
	v_and_b32_e32 v2, 0xffff, v28
	v_or_b32_e32 v29, 0x10000, v28
	s_delay_alu instid0(VALU_DEP_2) | instskip(NEXT) | instid1(VALU_DEP_2)
	v_cmp_eq_u32_e32 vcc_lo, 0, v2
	v_cndmask_b32_e32 v2, v29, v28, vcc_lo
; %bb.121:                              ;   in Loop: Header=BB134_40 Depth=1
	s_or_b32 exec_lo, exec_lo, s0
	v_lshlrev_b32_e32 v28, 16, v45
	s_delay_alu instid0(VALU_DEP_1) | instskip(NEXT) | instid1(VALU_DEP_1)
	v_mul_f32_e32 v29, v39, v28
	v_and_b32_e32 v28, 0x7f800000, v29
	s_delay_alu instid0(VALU_DEP_1) | instskip(SKIP_1) | instid1(SALU_CYCLE_1)
	v_cmp_ne_u32_e32 vcc_lo, 0x7f800000, v28
                                        ; implicit-def: $vgpr28
	s_and_saveexec_b32 s0, vcc_lo
	s_xor_b32 s0, exec_lo, s0
; %bb.122:                              ;   in Loop: Header=BB134_40 Depth=1
	v_bfe_u32 v28, v29, 16, 1
	s_delay_alu instid0(VALU_DEP_1)
	v_add3_u32 v28, v29, v28, 0x7fff
                                        ; implicit-def: $vgpr29
; %bb.123:                              ;   in Loop: Header=BB134_40 Depth=1
	s_and_not1_saveexec_b32 s0, s0
; %bb.124:                              ;   in Loop: Header=BB134_40 Depth=1
	v_and_b32_e32 v28, 0xffff, v29
	v_or_b32_e32 v30, 0x10000, v29
	s_delay_alu instid0(VALU_DEP_2) | instskip(NEXT) | instid1(VALU_DEP_2)
	v_cmp_eq_u32_e32 vcc_lo, 0, v28
	v_cndmask_b32_e32 v28, v30, v29, vcc_lo
; %bb.125:                              ;   in Loop: Header=BB134_40 Depth=1
	s_or_b32 exec_lo, exec_lo, s0
	v_lshlrev_b32_e32 v3, 16, v3
	s_delay_alu instid0(VALU_DEP_1) | instskip(NEXT) | instid1(VALU_DEP_1)
	v_mul_f32_e32 v29, v40, v3
	v_and_b32_e32 v3, 0x7f800000, v29
	s_delay_alu instid0(VALU_DEP_1) | instskip(SKIP_1) | instid1(SALU_CYCLE_1)
	v_cmp_ne_u32_e32 vcc_lo, 0x7f800000, v3
                                        ; implicit-def: $vgpr3
	s_and_saveexec_b32 s0, vcc_lo
	s_xor_b32 s0, exec_lo, s0
; %bb.126:                              ;   in Loop: Header=BB134_40 Depth=1
	v_bfe_u32 v3, v29, 16, 1
	s_delay_alu instid0(VALU_DEP_1)
	v_add3_u32 v3, v29, v3, 0x7fff
                                        ; implicit-def: $vgpr29
; %bb.127:                              ;   in Loop: Header=BB134_40 Depth=1
	s_and_not1_saveexec_b32 s0, s0
; %bb.128:                              ;   in Loop: Header=BB134_40 Depth=1
	v_and_b32_e32 v3, 0xffff, v29
	v_or_b32_e32 v30, 0x10000, v29
	s_delay_alu instid0(VALU_DEP_2) | instskip(NEXT) | instid1(VALU_DEP_2)
	v_cmp_eq_u32_e32 vcc_lo, 0, v3
	v_cndmask_b32_e32 v3, v30, v29, vcc_lo
; %bb.129:                              ;   in Loop: Header=BB134_40 Depth=1
	s_or_b32 exec_lo, exec_lo, s0
	v_lshlrev_b32_e32 v29, 16, v44
	s_delay_alu instid0(VALU_DEP_1) | instskip(NEXT) | instid1(VALU_DEP_1)
	v_mul_f32_e32 v30, v41, v29
	v_and_b32_e32 v29, 0x7f800000, v30
	s_delay_alu instid0(VALU_DEP_1) | instskip(SKIP_1) | instid1(SALU_CYCLE_1)
	v_cmp_ne_u32_e32 vcc_lo, 0x7f800000, v29
                                        ; implicit-def: $vgpr29
	s_and_saveexec_b32 s0, vcc_lo
	s_xor_b32 s0, exec_lo, s0
; %bb.130:                              ;   in Loop: Header=BB134_40 Depth=1
	v_bfe_u32 v29, v30, 16, 1
	s_delay_alu instid0(VALU_DEP_1)
	v_add3_u32 v29, v30, v29, 0x7fff
                                        ; implicit-def: $vgpr30
; %bb.131:                              ;   in Loop: Header=BB134_40 Depth=1
	s_and_not1_saveexec_b32 s0, s0
; %bb.132:                              ;   in Loop: Header=BB134_40 Depth=1
	v_and_b32_e32 v29, 0xffff, v30
	v_or_b32_e32 v31, 0x10000, v30
	s_delay_alu instid0(VALU_DEP_2) | instskip(NEXT) | instid1(VALU_DEP_2)
	v_cmp_eq_u32_e32 vcc_lo, 0, v29
	v_cndmask_b32_e32 v29, v31, v30, vcc_lo
; %bb.133:                              ;   in Loop: Header=BB134_40 Depth=1
	s_or_b32 exec_lo, exec_lo, s0
	v_lshlrev_b32_e32 v4, 16, v4
	s_delay_alu instid0(VALU_DEP_1) | instskip(NEXT) | instid1(VALU_DEP_1)
	v_mul_f32_e32 v30, v42, v4
	v_and_b32_e32 v4, 0x7f800000, v30
	s_delay_alu instid0(VALU_DEP_1) | instskip(SKIP_1) | instid1(SALU_CYCLE_1)
	v_cmp_ne_u32_e32 vcc_lo, 0x7f800000, v4
                                        ; implicit-def: $vgpr4
	s_and_saveexec_b32 s0, vcc_lo
	s_xor_b32 s0, exec_lo, s0
; %bb.134:                              ;   in Loop: Header=BB134_40 Depth=1
	v_bfe_u32 v4, v30, 16, 1
	s_delay_alu instid0(VALU_DEP_1)
	v_add3_u32 v4, v30, v4, 0x7fff
                                        ; implicit-def: $vgpr30
; %bb.135:                              ;   in Loop: Header=BB134_40 Depth=1
	s_and_not1_saveexec_b32 s0, s0
; %bb.136:                              ;   in Loop: Header=BB134_40 Depth=1
	v_and_b32_e32 v4, 0xffff, v30
	v_or_b32_e32 v31, 0x10000, v30
	s_delay_alu instid0(VALU_DEP_2) | instskip(NEXT) | instid1(VALU_DEP_2)
	v_cmp_eq_u32_e32 vcc_lo, 0, v4
	v_cndmask_b32_e32 v4, v31, v30, vcc_lo
; %bb.137:                              ;   in Loop: Header=BB134_40 Depth=1
	s_or_b32 exec_lo, exec_lo, s0
	v_lshlrev_b32_e32 v5, 16, v5
	s_delay_alu instid0(VALU_DEP_1) | instskip(NEXT) | instid1(VALU_DEP_1)
	v_mul_f32_e32 v30, v43, v5
	v_and_b32_e32 v5, 0x7f800000, v30
	s_delay_alu instid0(VALU_DEP_1) | instskip(SKIP_1) | instid1(SALU_CYCLE_1)
	v_cmp_ne_u32_e32 vcc_lo, 0x7f800000, v5
                                        ; implicit-def: $vgpr5
	s_and_saveexec_b32 s0, vcc_lo
	s_xor_b32 s0, exec_lo, s0
; %bb.138:                              ;   in Loop: Header=BB134_40 Depth=1
	v_bfe_u32 v5, v30, 16, 1
	s_delay_alu instid0(VALU_DEP_1)
	v_add3_u32 v5, v30, v5, 0x7fff
                                        ; implicit-def: $vgpr30
; %bb.139:                              ;   in Loop: Header=BB134_40 Depth=1
	s_and_not1_saveexec_b32 s0, s0
	s_cbranch_execz .LBB134_38
; %bb.140:                              ;   in Loop: Header=BB134_40 Depth=1
	v_and_b32_e32 v5, 0xffff, v30
	v_or_b32_e32 v31, 0x10000, v30
	s_delay_alu instid0(VALU_DEP_2) | instskip(NEXT) | instid1(VALU_DEP_2)
	v_cmp_eq_u32_e32 vcc_lo, 0, v5
	v_cndmask_b32_e32 v5, v31, v30, vcc_lo
	s_branch .LBB134_38
.LBB134_141:
	s_or_b32 exec_lo, exec_lo, s4
.LBB134_142:
	s_delay_alu instid0(SALU_CYCLE_1)
	s_or_b32 exec_lo, exec_lo, s1
	v_and_b32_e32 v2, 0x3c0, v0
	v_lshl_add_u32 v1, v14, 8, 0xa0
	s_mov_b32 s0, exec_lo
	s_waitcnt_vscnt null, 0x0
	s_barrier
	buffer_gl0_inv
	v_cmpx_eq_u32_e32 64, v2
	s_cbranch_execz .LBB134_144
; %bb.143:
	v_add3_u32 v2, v1, v18, 0xfffffe00
	ds_store_2addr_b32 v2, v19, v11 offset1:32
.LBB134_144:
	s_or_b32 exec_lo, exec_lo, s0
	v_lshl_add_u32 v2, v16, 2, v1
	s_mov_b32 s0, exec_lo
	s_waitcnt lgkmcnt(0)
	s_barrier
	buffer_gl0_inv
	v_cmpx_gt_u32_e32 64, v0
	s_cbranch_execz .LBB134_146
; %bb.145:
	v_lshl_or_b32 v3, v0, 2, 0x80
	s_delay_alu instid0(VALU_DEP_1)
	v_add_nc_u32_e32 v3, v1, v3
	ds_load_b32 v4, v2
	ds_load_b32 v3, v3
	s_waitcnt lgkmcnt(1)
	v_add_f32_e32 v19, v19, v4
	s_waitcnt lgkmcnt(0)
	v_add_f32_e32 v11, v11, v3
.LBB134_146:
	s_or_b32 exec_lo, exec_lo, s0
	v_and_b32_e32 v3, 0x3e0, v0
	s_mov_b32 s0, exec_lo
	s_barrier
	buffer_gl0_inv
	v_cmpx_eq_u32_e32 32, v3
	s_cbranch_execz .LBB134_148
; %bb.147:
	v_lshl_add_u32 v3, v16, 2, 0xa0
	ds_store_b32 v3, v19
	ds_store_b32 v17, v11
.LBB134_148:
	s_or_b32 exec_lo, exec_lo, s0
	s_waitcnt lgkmcnt(0)
	s_barrier
	buffer_gl0_inv
	s_and_saveexec_b32 s0, s2
	s_cbranch_execz .LBB134_150
; %bb.149:
	v_lshl_add_u32 v1, v0, 2, v1
	ds_load_b32 v2, v2
	ds_load_b32 v1, v1 offset:128
	s_waitcnt lgkmcnt(1)
	v_add_f32_e32 v19, v19, v2
	s_waitcnt lgkmcnt(0)
	v_add_f32_e32 v11, v11, v1
.LBB134_150:
	s_or_b32 exec_lo, exec_lo, s0
	s_barrier
	buffer_gl0_inv
	s_and_saveexec_b32 s0, s2
	s_cbranch_execz .LBB134_160
; %bb.151:
	v_and_b32_e32 v1, 0x7f800000, v19
	s_mov_b32 s0, exec_lo
                                        ; implicit-def: $vgpr2
	s_delay_alu instid0(VALU_DEP_1)
	v_cmpx_ne_u32_e32 0x7f800000, v1
	s_xor_b32 s0, exec_lo, s0
; %bb.152:
	v_bfe_u32 v1, v19, 16, 1
	s_delay_alu instid0(VALU_DEP_1)
	v_add3_u32 v2, v19, v1, 0x7fff
; %bb.153:
	s_and_not1_saveexec_b32 s0, s0
; %bb.154:
	v_and_b32_e32 v1, 0xffff, v19
	v_or_b32_e32 v2, 0x10000, v19
	s_delay_alu instid0(VALU_DEP_2) | instskip(NEXT) | instid1(VALU_DEP_2)
	v_cmp_eq_u32_e32 vcc_lo, 0, v1
	v_cndmask_b32_e32 v2, v2, v19, vcc_lo
; %bb.155:
	s_or_b32 exec_lo, exec_lo, s0
	s_lshl_b32 s0, s6, 6
	s_mul_i32 s2, s11, s12
	s_ashr_i32 s1, s0, 31
	v_lshlrev_b32_e32 v3, 1, v0
	s_lshl_b64 s[0:1], s[0:1], 1
	v_and_b32_e32 v4, 0x7f800000, v11
	s_add_u32 s4, s20, s0
	s_addc_u32 s5, s21, s1
	s_ashr_i32 s3, s2, 31
	s_delay_alu instid0(SALU_CYCLE_1) | instskip(NEXT) | instid1(SALU_CYCLE_1)
	s_lshl_b64 s[0:1], s[2:3], 1
	s_add_u32 s2, s4, s0
	s_addc_u32 s3, s5, s1
	s_ashr_i32 s9, s8, 31
	s_delay_alu instid0(SALU_CYCLE_1) | instskip(NEXT) | instid1(SALU_CYCLE_1)
	s_lshl_b64 s[0:1], s[8:9], 1
	s_add_u32 s0, s2, s0
	s_addc_u32 s1, s3, s1
	v_add_co_u32 v0, s2, s0, v3
	s_delay_alu instid0(VALU_DEP_1)
	v_add_co_ci_u32_e64 v1, null, s1, 0, s2
	global_store_d16_hi_b16 v3, v2, s[0:1]
	s_mov_b32 s0, exec_lo
                                        ; implicit-def: $vgpr2
	v_cmpx_ne_u32_e32 0x7f800000, v4
	s_xor_b32 s0, exec_lo, s0
; %bb.156:
	v_bfe_u32 v2, v11, 16, 1
	s_delay_alu instid0(VALU_DEP_1)
	v_add3_u32 v2, v11, v2, 0x7fff
                                        ; implicit-def: $vgpr10_vgpr11
; %bb.157:
	s_and_not1_saveexec_b32 s0, s0
; %bb.158:
	v_and_b32_e32 v2, 0xffff, v11
	v_or_b32_e32 v3, 0x10000, v11
	s_delay_alu instid0(VALU_DEP_2) | instskip(NEXT) | instid1(VALU_DEP_2)
	v_cmp_eq_u32_e32 vcc_lo, 0, v2
	v_cndmask_b32_e32 v2, v3, v11, vcc_lo
; %bb.159:
	s_or_b32 exec_lo, exec_lo, s0
	global_store_d16_hi_b16 v[0:1], v2, off offset:64
.LBB134_160:
	s_nop 0
	s_sendmsg sendmsg(MSG_DEALLOC_VGPRS)
	s_endpgm
	.section	.rodata,"a",@progbits
	.p2align	6, 0x0
	.amdhsa_kernel _ZN4vllm25paged_attention_v2_kernelI14__hip_bfloat16S1_Li64ELi8ELi128ELNS_18Fp8KVCacheDataTypeE0ELb1ELi512EEEvPfS3_PT_PKS4_PKT0_SA_ifPKiSC_iPKfiiiSE_SE_iiiii
		.amdhsa_group_segment_fixed_size 160
		.amdhsa_private_segment_fixed_size 0
		.amdhsa_kernarg_size 400
		.amdhsa_user_sgpr_count 13
		.amdhsa_user_sgpr_dispatch_ptr 0
		.amdhsa_user_sgpr_queue_ptr 0
		.amdhsa_user_sgpr_kernarg_segment_ptr 1
		.amdhsa_user_sgpr_dispatch_id 0
		.amdhsa_user_sgpr_private_segment_size 0
		.amdhsa_wavefront_size32 1
		.amdhsa_uses_dynamic_stack 0
		.amdhsa_enable_private_segment 0
		.amdhsa_system_sgpr_workgroup_id_x 1
		.amdhsa_system_sgpr_workgroup_id_y 1
		.amdhsa_system_sgpr_workgroup_id_z 1
		.amdhsa_system_sgpr_workgroup_info 0
		.amdhsa_system_vgpr_workitem_id 0
		.amdhsa_next_free_vgpr 47
		.amdhsa_next_free_sgpr 46
		.amdhsa_reserve_vcc 1
		.amdhsa_float_round_mode_32 0
		.amdhsa_float_round_mode_16_64 0
		.amdhsa_float_denorm_mode_32 3
		.amdhsa_float_denorm_mode_16_64 3
		.amdhsa_dx10_clamp 1
		.amdhsa_ieee_mode 1
		.amdhsa_fp16_overflow 0
		.amdhsa_workgroup_processor_mode 1
		.amdhsa_memory_ordered 1
		.amdhsa_forward_progress 0
		.amdhsa_shared_vgpr_count 0
		.amdhsa_exception_fp_ieee_invalid_op 0
		.amdhsa_exception_fp_denorm_src 0
		.amdhsa_exception_fp_ieee_div_zero 0
		.amdhsa_exception_fp_ieee_overflow 0
		.amdhsa_exception_fp_ieee_underflow 0
		.amdhsa_exception_fp_ieee_inexact 0
		.amdhsa_exception_int_div_zero 0
	.end_amdhsa_kernel
	.section	.text._ZN4vllm25paged_attention_v2_kernelI14__hip_bfloat16S1_Li64ELi8ELi128ELNS_18Fp8KVCacheDataTypeE0ELb1ELi512EEEvPfS3_PT_PKS4_PKT0_SA_ifPKiSC_iPKfiiiSE_SE_iiiii,"axG",@progbits,_ZN4vllm25paged_attention_v2_kernelI14__hip_bfloat16S1_Li64ELi8ELi128ELNS_18Fp8KVCacheDataTypeE0ELb1ELi512EEEvPfS3_PT_PKS4_PKT0_SA_ifPKiSC_iPKfiiiSE_SE_iiiii,comdat
.Lfunc_end134:
	.size	_ZN4vllm25paged_attention_v2_kernelI14__hip_bfloat16S1_Li64ELi8ELi128ELNS_18Fp8KVCacheDataTypeE0ELb1ELi512EEEvPfS3_PT_PKS4_PKT0_SA_ifPKiSC_iPKfiiiSE_SE_iiiii, .Lfunc_end134-_ZN4vllm25paged_attention_v2_kernelI14__hip_bfloat16S1_Li64ELi8ELi128ELNS_18Fp8KVCacheDataTypeE0ELb1ELi512EEEvPfS3_PT_PKS4_PKT0_SA_ifPKiSC_iPKfiiiSE_SE_iiiii
                                        ; -- End function
	.section	.AMDGPU.csdata,"",@progbits
; Kernel info:
; codeLenInByte = 7468
; NumSgprs: 48
; NumVgprs: 47
; ScratchSize: 0
; MemoryBound: 0
; FloatMode: 240
; IeeeMode: 1
; LDSByteSize: 160 bytes/workgroup (compile time only)
; SGPRBlocks: 5
; VGPRBlocks: 5
; NumSGPRsForWavesPerEU: 48
; NumVGPRsForWavesPerEU: 47
; Occupancy: 16
; WaveLimiterHint : 1
; COMPUTE_PGM_RSRC2:SCRATCH_EN: 0
; COMPUTE_PGM_RSRC2:USER_SGPR: 13
; COMPUTE_PGM_RSRC2:TRAP_HANDLER: 0
; COMPUTE_PGM_RSRC2:TGID_X_EN: 1
; COMPUTE_PGM_RSRC2:TGID_Y_EN: 1
; COMPUTE_PGM_RSRC2:TGID_Z_EN: 1
; COMPUTE_PGM_RSRC2:TIDIG_COMP_CNT: 0
	.section	.text._ZN4vllm32paged_attention_v2_reduce_kernelI14__hip_bfloat16Li64ELi128ELi512EEEvPT_PKfS5_PKS2_PKii,"axG",@progbits,_ZN4vllm32paged_attention_v2_reduce_kernelI14__hip_bfloat16Li64ELi128ELi512EEEvPT_PKfS5_PKS2_PKii,comdat
	.protected	_ZN4vllm32paged_attention_v2_reduce_kernelI14__hip_bfloat16Li64ELi128ELi512EEEvPT_PKfS5_PKS2_PKii ; -- Begin function _ZN4vllm32paged_attention_v2_reduce_kernelI14__hip_bfloat16Li64ELi128ELi512EEEvPT_PKfS5_PKS2_PKii
	.globl	_ZN4vllm32paged_attention_v2_reduce_kernelI14__hip_bfloat16Li64ELi128ELi512EEEvPT_PKfS5_PKS2_PKii
	.p2align	8
	.type	_ZN4vllm32paged_attention_v2_reduce_kernelI14__hip_bfloat16Li64ELi128ELi512EEEvPT_PKfS5_PKS2_PKii,@function
_ZN4vllm32paged_attention_v2_reduce_kernelI14__hip_bfloat16Li64ELi128ELi512EEEvPT_PKfS5_PKS2_PKii: ; @_ZN4vllm32paged_attention_v2_reduce_kernelI14__hip_bfloat16Li64ELi128ELi512EEEvPT_PKfS5_PKS2_PKii
; %bb.0:
	s_load_b128 s[4:7], s[0:1], 0x18
	s_add_u32 s8, s0, 48
	s_mov_b32 s10, s15
	s_addc_u32 s9, s1, 0
	s_ashr_i32 s11, s15, 31
	s_delay_alu instid0(SALU_CYCLE_1)
	s_lshl_b64 s[2:3], s[10:11], 2
	s_waitcnt lgkmcnt(0)
	s_add_u32 s2, s6, s2
	s_addc_u32 s3, s7, s3
	s_load_b32 s20, s[2:3], 0x0
	s_clause 0x2
	s_load_b64 s[6:7], s[0:1], 0x0
	s_load_b32 s11, s[0:1], 0x28
	s_load_b32 s15, s[0:1], 0x30
	s_waitcnt lgkmcnt(0)
	s_add_i32 s2, s20, -1
	s_delay_alu instid0(SALU_CYCLE_1)
	s_cmpk_gt_u32 s2, 0x1ff
	s_mov_b32 s2, -1
	s_cbranch_scc0 .LBB135_30
; %bb.1:
	s_load_b64 s[2:3], s[0:1], 0x8
	s_add_i32 s12, s20, 0x1ff
	s_mul_i32 s18, s15, s10
	s_ashr_i32 s13, s12, 31
	v_dual_mov_b32 v4, 0xff7fffff :: v_dual_lshlrev_b32 v3, 2, v0
	s_lshr_b32 s13, s13, 23
	s_mul_i32 s16, s14, s11
	s_add_i32 s12, s12, s13
	s_ashr_i32 s17, s16, 31
	s_ashr_i32 s19, s12, 9
	s_mul_i32 s12, s18, s11
	v_cmp_gt_i32_e32 vcc_lo, s19, v0
	s_ashr_i32 s13, s12, 31
	s_and_saveexec_b32 s21, vcc_lo
	s_cbranch_execz .LBB135_5
; %bb.2:
	s_load_b32 s28, s[8:9], 0xc
	s_load_b64 s[22:23], s[0:1], 0x10
	s_lshl_b64 s[24:25], s[12:13], 2
	s_lshl_b64 s[26:27], s[16:17], 2
	v_dual_mov_b32 v4, 0xff7fffff :: v_dual_add_nc_u32 v5, 32, v3
	v_mov_b32_e32 v6, v0
	s_waitcnt lgkmcnt(0)
	s_and_b32 s1, s28, 0xffff
	s_add_u32 s0, s24, s26
	s_addc_u32 s24, s25, s27
	s_add_u32 s0, s22, s0
	s_addc_u32 s22, s23, s24
	v_add_co_u32 v1, s0, s0, v3
	s_delay_alu instid0(VALU_DEP_1)
	v_add_co_ci_u32_e64 v2, null, s22, 0, s0
	s_mov_b32 s22, 0
	s_lshl_b32 s23, s1, 2
	.p2align	6
.LBB135_3:                              ; =>This Inner Loop Header: Depth=1
	global_load_b32 v7, v[1:2], off
	v_add_nc_u32_e32 v6, s1, v6
	v_max_f32_e32 v4, v4, v4
	v_add_co_u32 v1, s0, v1, s23
	s_delay_alu instid0(VALU_DEP_1) | instskip(NEXT) | instid1(VALU_DEP_4)
	v_add_co_ci_u32_e64 v2, s0, 0, v2, s0
	v_cmp_le_i32_e64 s0, s19, v6
	s_delay_alu instid0(VALU_DEP_1)
	s_or_b32 s22, s0, s22
	s_waitcnt vmcnt(0)
	v_max_f32_e32 v8, v7, v7
	ds_store_b32 v5, v7
	v_dual_max_f32 v4, v4, v8 :: v_dual_add_nc_u32 v5, s23, v5
	s_and_not1_b32 exec_lo, exec_lo, s22
	s_cbranch_execnz .LBB135_3
; %bb.4:
	s_or_b32 exec_lo, exec_lo, s22
.LBB135_5:
	s_delay_alu instid0(SALU_CYCLE_1)
	s_or_b32 exec_lo, exec_lo, s21
	v_mbcnt_lo_u32_b32 v1, -1, 0
	s_waitcnt lgkmcnt(0)
	s_barrier
	buffer_gl0_inv
	v_xor_b32_e32 v2, 16, v1
	v_xor_b32_e32 v5, 8, v1
	s_delay_alu instid0(VALU_DEP_2) | instskip(NEXT) | instid1(VALU_DEP_1)
	v_cmp_gt_i32_e64 s0, 32, v2
	v_cndmask_b32_e64 v2, v1, v2, s0
	s_delay_alu instid0(VALU_DEP_3) | instskip(NEXT) | instid1(VALU_DEP_2)
	v_cmp_gt_i32_e64 s0, 32, v5
	v_lshlrev_b32_e32 v6, 2, v2
	s_delay_alu instid0(VALU_DEP_2) | instskip(SKIP_3) | instid1(VALU_DEP_1)
	v_cndmask_b32_e64 v5, v1, v5, s0
	ds_bpermute_b32 v2, v6, v4
	v_dual_max_f32 v4, v4, v4 :: v_dual_lshlrev_b32 v7, 2, v5
	v_xor_b32_e32 v5, 4, v1
	v_cmp_gt_i32_e64 s0, 32, v5
	s_delay_alu instid0(VALU_DEP_1) | instskip(NEXT) | instid1(VALU_DEP_1)
	v_cndmask_b32_e64 v5, v1, v5, s0
	v_lshlrev_b32_e32 v8, 2, v5
	v_xor_b32_e32 v5, 2, v1
	s_waitcnt lgkmcnt(0)
	v_max_f32_e32 v2, v2, v2
	s_delay_alu instid0(VALU_DEP_2) | instskip(NEXT) | instid1(VALU_DEP_2)
	v_cmp_gt_i32_e64 s0, 32, v5
	v_max_f32_e32 v2, v4, v2
	s_delay_alu instid0(VALU_DEP_2) | instskip(SKIP_3) | instid1(VALU_DEP_1)
	v_cndmask_b32_e64 v5, v1, v5, s0
	ds_bpermute_b32 v4, v7, v2
	s_waitcnt lgkmcnt(0)
	v_max_f32_e32 v4, v4, v4
	v_max_f32_e32 v2, v2, v4
	ds_bpermute_b32 v4, v8, v2
	s_waitcnt lgkmcnt(0)
	v_dual_max_f32 v9, v4, v4 :: v_dual_lshlrev_b32 v4, 2, v5
	s_delay_alu instid0(VALU_DEP_1) | instskip(SKIP_3) | instid1(VALU_DEP_1)
	v_max_f32_e32 v2, v2, v9
	v_xor_b32_e32 v9, 1, v1
	ds_bpermute_b32 v5, v4, v2
	v_cmp_gt_i32_e64 s0, 32, v9
	v_cndmask_b32_e64 v1, v1, v9, s0
	v_lshrrev_b32_e32 v9, 5, v0
	s_delay_alu instid0(VALU_DEP_1) | instskip(SKIP_2) | instid1(VALU_DEP_1)
	v_lshlrev_b32_e32 v9, 2, v9
	s_waitcnt lgkmcnt(0)
	v_max_f32_e32 v5, v5, v5
	v_max_f32_e32 v2, v2, v5
	v_lshlrev_b32_e32 v5, 2, v1
	v_and_b32_e32 v1, 31, v0
	ds_bpermute_b32 v10, v5, v2
	v_cmp_eq_u32_e64 s0, 0, v1
	s_delay_alu instid0(VALU_DEP_1)
	s_and_saveexec_b32 s1, s0
	s_cbranch_execz .LBB135_7
; %bb.6:
	s_waitcnt lgkmcnt(0)
	v_max_f32_e32 v10, v10, v10
	v_max_f32_e32 v2, v2, v2
	s_delay_alu instid0(VALU_DEP_1)
	v_max_f32_e32 v2, v2, v10
	ds_store_b32 v9, v2
.LBB135_7:
	s_or_b32 exec_lo, exec_lo, s1
	v_cmp_gt_u32_e64 s1, 4, v1
	v_mov_b32_e32 v2, 0xff7fffff
	s_waitcnt lgkmcnt(0)
	v_lshlrev_b32_e32 v10, 2, v1
	s_barrier
	buffer_gl0_inv
	s_and_saveexec_b32 s21, s1
	s_cbranch_execz .LBB135_9
; %bb.8:
	ds_load_b32 v2, v10
.LBB135_9:
	s_or_b32 exec_lo, exec_lo, s21
	s_waitcnt lgkmcnt(0)
	ds_bpermute_b32 v1, v4, v2
	v_max_f32_e32 v2, v2, v2
	s_lshl_b32 s21, s19, 2
	s_waitcnt lgkmcnt(0)
	v_dual_mov_b32 v12, 0 :: v_dual_max_f32 v1, v1, v1
	s_delay_alu instid0(VALU_DEP_1) | instskip(SKIP_3) | instid1(VALU_DEP_1)
	v_max_f32_e32 v1, v2, v1
	ds_bpermute_b32 v2, v5, v1
	s_waitcnt lgkmcnt(0)
	v_max_f32_e32 v2, v2, v2
	v_max_f32_e32 v1, v1, v2
	ds_bpermute_b32 v11, v12, v1
	s_and_saveexec_b32 s22, vcc_lo
	s_cbranch_execz .LBB135_13
; %bb.10:
	s_load_b32 s23, s[8:9], 0xc
	s_lshl_b64 s[24:25], s[12:13], 2
	s_lshl_b64 s[26:27], s[16:17], 2
	v_dual_mov_b32 v12, 0 :: v_dual_add_nc_u32 v13, 32, v3
	s_waitcnt lgkmcnt(0)
	s_and_b32 s13, s23, 0xffff
	s_add_u32 s17, s24, s26
	s_addc_u32 s23, s25, s27
	s_add_u32 s2, s2, s17
	s_addc_u32 s3, s3, s23
	v_add_co_u32 v1, s2, s2, v3
	s_delay_alu instid0(VALU_DEP_1)
	v_add_co_ci_u32_e64 v2, null, s3, 0, s2
	v_mov_b32_e32 v3, v0
	s_mov_b32 s3, 0
	s_lshl_b32 s17, s13, 2
	s_set_inst_prefetch_distance 0x1
	.p2align	6
.LBB135_11:                             ; =>This Inner Loop Header: Depth=1
	global_load_b32 v14, v[1:2], off
	ds_load_b32 v15, v13
	v_add_nc_u32_e32 v3, s13, v3
	s_waitcnt lgkmcnt(0)
	v_sub_f32_e32 v15, v15, v11
	s_delay_alu instid0(VALU_DEP_1) | instskip(NEXT) | instid1(VALU_DEP_1)
	v_mul_f32_e32 v16, 0x3fb8aa3b, v15
	v_fma_f32 v17, 0x3fb8aa3b, v15, -v16
	v_rndne_f32_e32 v18, v16
	s_delay_alu instid0(VALU_DEP_1) | instskip(SKIP_1) | instid1(VALU_DEP_4)
	v_sub_f32_e32 v16, v16, v18
	v_cmp_ngt_f32_e32 vcc_lo, 0xc2ce8ed0, v15
	v_fmac_f32_e32 v17, 0x32a5705f, v15
	v_cmp_nlt_f32_e64 s2, 0x42b17218, v15
	s_delay_alu instid0(VALU_DEP_2) | instskip(SKIP_1) | instid1(VALU_DEP_2)
	v_add_f32_e32 v16, v16, v17
	v_cvt_i32_f32_e32 v17, v18
	v_exp_f32_e32 v16, v16
	s_waitcnt_depctr 0xfff
	v_ldexp_f32 v16, v16, v17
	s_delay_alu instid0(VALU_DEP_1) | instskip(SKIP_2) | instid1(VALU_DEP_3)
	v_dual_cndmask_b32 v16, 0, v16 :: v_dual_add_nc_u32 v17, s21, v13
	v_add_co_u32 v1, vcc_lo, v1, s17
	v_add_co_ci_u32_e32 v2, vcc_lo, 0, v2, vcc_lo
	v_cndmask_b32_e64 v15, 0x7f800000, v16, s2
	v_cmp_le_i32_e32 vcc_lo, s19, v3
	v_add_nc_u32_e32 v13, s17, v13
	s_or_b32 s3, vcc_lo, s3
	s_waitcnt vmcnt(0)
	v_mul_f32_e32 v16, v14, v15
	v_fmac_f32_e32 v12, v14, v15
	ds_store_b32 v17, v16
	s_and_not1_b32 exec_lo, exec_lo, s3
	s_cbranch_execnz .LBB135_11
; %bb.12:
	s_set_inst_prefetch_distance 0x2
	s_or_b32 exec_lo, exec_lo, s3
.LBB135_13:
	s_delay_alu instid0(SALU_CYCLE_1)
	s_or_b32 exec_lo, exec_lo, s22
	ds_bpermute_b32 v1, v6, v12
	s_waitcnt lgkmcnt(0)
	s_barrier
	buffer_gl0_inv
	v_add_f32_e32 v1, v12, v1
	ds_bpermute_b32 v2, v7, v1
	s_waitcnt lgkmcnt(0)
	v_add_f32_e32 v1, v1, v2
	ds_bpermute_b32 v2, v8, v1
	s_waitcnt lgkmcnt(0)
	;; [unrolled: 3-line block ×4, first 2 shown]
	v_add_f32_e32 v1, v1, v2
	s_and_saveexec_b32 s2, s0
	s_cbranch_execz .LBB135_15
; %bb.14:
	ds_store_b32 v9, v1 offset:16
.LBB135_15:
	s_or_b32 exec_lo, exec_lo, s2
	s_waitcnt lgkmcnt(0)
	s_barrier
	buffer_gl0_inv
	s_and_saveexec_b32 s0, s1
	s_cbranch_execz .LBB135_17
; %bb.16:
	ds_load_b32 v1, v10 offset:16
.LBB135_17:
	s_or_b32 exec_lo, exec_lo, s0
	s_waitcnt lgkmcnt(0)
	ds_bpermute_b32 v2, v4, v1
	s_mov_b32 s0, exec_lo
	s_waitcnt lgkmcnt(0)
	v_add_f32_e32 v1, v1, v2
	ds_bpermute_b32 v2, v5, v1
	s_waitcnt lgkmcnt(0)
	v_dual_add_f32 v1, v1, v2 :: v_dual_mov_b32 v2, 0
	ds_bpermute_b32 v2, v2, v1
	v_cmpx_gt_u32_e32 64, v0
	s_cbranch_execz .LBB135_29
; %bb.18:
	s_cmp_gt_i32 s20, 0
	s_mov_b32 s1, 0
	s_cbranch_scc1 .LBB135_20
; %bb.19:
	v_mov_b32_e32 v1, 0
	s_branch .LBB135_21
.LBB135_20:
	s_mov_b32 s1, -1
.LBB135_21:
	s_delay_alu instid0(SALU_CYCLE_1) | instskip(SKIP_1) | instid1(VALU_DEP_2)
	v_cndmask_b32_e64 v3, 0, 1, s1
	v_mov_b32_e32 v4, s1
	v_cmp_ne_u32_e32 vcc_lo, 1, v3
	s_cbranch_vccnz .LBB135_24
; %bb.22:
	s_waitcnt lgkmcnt(0)
	v_add_f32_e32 v4, 0x358637bd, v2
	s_lshl_b32 s12, s12, 6
	s_lshl_b32 s16, s16, 6
	s_ashr_i32 s13, s12, 31
	s_ashr_i32 s17, s16, 31
	v_div_scale_f32 v2, null, v4, v4, 1.0
	s_lshl_b64 s[12:13], s[12:13], 1
	s_lshl_b64 s[16:17], s[16:17], 1
	s_max_i32 s1, s19, 1
	s_delay_alu instid0(VALU_DEP_1)
	v_rcp_f32_e32 v3, v2
	s_add_i32 s2, s21, 32
	s_add_u32 s3, s12, s16
	s_addc_u32 s12, s13, s17
	s_add_u32 s3, s4, s3
	s_addc_u32 s12, s5, s12
	s_waitcnt_depctr 0xfff
	v_fma_f32 v1, -v2, v3, 1.0
	s_delay_alu instid0(VALU_DEP_1) | instskip(SKIP_1) | instid1(VALU_DEP_1)
	v_fmac_f32_e32 v3, v1, v3
	v_div_scale_f32 v5, vcc_lo, 1.0, v4, 1.0
	v_dual_mov_b32 v1, 0 :: v_dual_mul_f32 v6, v5, v3
	s_delay_alu instid0(VALU_DEP_1) | instskip(NEXT) | instid1(VALU_DEP_1)
	v_fma_f32 v7, -v2, v6, v5
	v_dual_fmac_f32 v6, v7, v3 :: v_dual_lshlrev_b32 v7, 1, v0
	s_delay_alu instid0(VALU_DEP_1) | instskip(NEXT) | instid1(VALU_DEP_1)
	v_fma_f32 v2, -v2, v6, v5
	v_div_fmas_f32 v5, v2, v3, v6
	s_delay_alu instid0(VALU_DEP_3) | instskip(NEXT) | instid1(VALU_DEP_1)
	v_add_co_u32 v2, s3, s3, v7
	v_add_co_ci_u32_e64 v3, null, s12, 0, s3
	s_delay_alu instid0(VALU_DEP_3)
	v_div_fixup_f32 v5, v5, v4, 1.0
	v_mov_b32_e32 v4, v1
.LBB135_23:                             ; =>This Inner Loop Header: Depth=1
	global_load_u16 v6, v[2:3], off
	v_mov_b32_e32 v7, s2
	v_add_co_u32 v2, vcc_lo, 0x80, v2
	v_add_co_ci_u32_e32 v3, vcc_lo, 0, v3, vcc_lo
	s_add_i32 s1, s1, -1
	s_add_i32 s2, s2, 4
	s_cmp_eq_u32 s1, 0
	s_waitcnt vmcnt(0)
	v_lshlrev_b32_e32 v6, 16, v6
	ds_load_b32 v7, v7
	s_waitcnt lgkmcnt(0)
	v_mul_f32_e32 v6, v7, v6
	s_delay_alu instid0(VALU_DEP_1)
	v_fmac_f32_e32 v4, v5, v6
	s_cbranch_scc0 .LBB135_23
.LBB135_24:
	s_waitcnt lgkmcnt(0)
	s_delay_alu instid0(VALU_DEP_1) | instskip(NEXT) | instid1(VALU_DEP_1)
	v_and_b32_e32 v2, 0x7f800000, v4
	v_cmp_ne_u32_e32 vcc_lo, 0x7f800000, v2
                                        ; implicit-def: $vgpr2
	s_and_saveexec_b32 s1, vcc_lo
	s_delay_alu instid0(SALU_CYCLE_1)
	s_xor_b32 s1, exec_lo, s1
; %bb.25:
	v_bfe_u32 v2, v4, 16, 1
	s_delay_alu instid0(VALU_DEP_1)
	v_add3_u32 v2, v4, v2, 0x7fff
                                        ; implicit-def: $vgpr4
; %bb.26:
	s_and_not1_saveexec_b32 s1, s1
; %bb.27:
	v_and_b32_e32 v2, 0xffff, v4
	v_or_b32_e32 v3, 0x10000, v4
	s_delay_alu instid0(VALU_DEP_2) | instskip(NEXT) | instid1(VALU_DEP_2)
	v_cmp_eq_u32_e32 vcc_lo, 0, v2
	v_cndmask_b32_e32 v2, v3, v4, vcc_lo
; %bb.28:
	s_or_b32 exec_lo, exec_lo, s1
	s_lshl_b32 s2, s18, 6
	v_lshlrev_b64 v[3:4], 1, v[0:1]
	s_ashr_i32 s3, s2, 31
	s_delay_alu instid0(SALU_CYCLE_1) | instskip(NEXT) | instid1(SALU_CYCLE_1)
	s_lshl_b64 s[2:3], s[2:3], 1
	s_add_u32 s1, s6, s2
	s_addc_u32 s12, s7, s3
	s_lshl_b32 s2, s14, 6
	s_delay_alu instid0(SALU_CYCLE_1) | instskip(NEXT) | instid1(SALU_CYCLE_1)
	s_ashr_i32 s3, s2, 31
	s_lshl_b64 s[2:3], s[2:3], 1
	s_delay_alu instid0(SALU_CYCLE_1)
	s_add_u32 s1, s1, s2
	s_addc_u32 s2, s12, s3
	v_add_co_u32 v3, vcc_lo, s1, v3
	v_add_co_ci_u32_e32 v4, vcc_lo, s2, v4, vcc_lo
	global_store_d16_hi_b16 v[3:4], v2, off
.LBB135_29:
	s_or_b32 exec_lo, exec_lo, s0
	s_mov_b32 s2, 0
.LBB135_30:
	s_delay_alu instid0(SALU_CYCLE_1)
	s_and_b32 vcc_lo, exec_lo, s2
	s_cbranch_vccz .LBB135_39
; %bb.31:
	s_mov_b32 s0, exec_lo
	v_cmpx_gt_u32_e32 64, v0
	s_cbranch_execz .LBB135_39
; %bb.32:
	s_mul_i32 s15, s15, s10
	s_load_b32 s8, s[8:9], 0xc
	s_lshl_b32 s0, s15, 6
	s_delay_alu instid0(SALU_CYCLE_1) | instskip(NEXT) | instid1(SALU_CYCLE_1)
	s_ashr_i32 s1, s0, 31
	s_lshl_b64 s[0:1], s[0:1], 1
	s_delay_alu instid0(SALU_CYCLE_1) | instskip(SKIP_4) | instid1(SALU_CYCLE_1)
	s_add_u32 s6, s6, s0
	s_addc_u32 s7, s7, s1
	s_lshl_b32 s0, s14, 6
	s_mul_i32 s14, s14, s11
	s_ashr_i32 s1, s0, 31
	s_lshl_b64 s[2:3], s[0:1], 1
	s_mul_i32 s0, s11, s15
	s_add_u32 s1, s6, s2
	s_addc_u32 s2, s7, s3
	s_lshl_b32 s6, s0, 6
	s_delay_alu instid0(SALU_CYCLE_1) | instskip(NEXT) | instid1(SALU_CYCLE_1)
	s_ashr_i32 s7, s6, 31
	s_lshl_b64 s[6:7], s[6:7], 1
	s_delay_alu instid0(SALU_CYCLE_1) | instskip(SKIP_4) | instid1(SALU_CYCLE_1)
	s_add_u32 s0, s4, s6
	s_addc_u32 s6, s5, s7
	s_lshl_b32 s4, s14, 6
	s_mov_b32 s7, 0
	s_ashr_i32 s5, s4, 31
	s_lshl_b64 s[4:5], s[4:5], 1
	s_delay_alu instid0(SALU_CYCLE_1) | instskip(SKIP_3) | instid1(SALU_CYCLE_1)
	s_add_u32 s3, s0, s4
	s_addc_u32 s4, s6, s5
	s_waitcnt lgkmcnt(0)
	s_and_b32 s5, s8, 0xffff
	v_cvt_f32_u32_e32 v1, s5
	s_cmp_eq_u32 s5, 1
	v_add_nc_u32_e32 v3, s5, v0
	s_cselect_b32 s6, -1, 0
	s_sub_i32 s0, 0, s5
	v_rcp_iflag_f32_e32 v1, v1
	s_delay_alu instid0(VALU_DEP_1) | instskip(SKIP_3) | instid1(VALU_DEP_1)
	v_cmp_gt_u32_e32 vcc_lo, 64, v3
	v_max_u32_e32 v4, 64, v3
	s_waitcnt_depctr 0xfff
	v_mul_f32_e32 v1, 0x4f7ffffe, v1
	v_cvt_u32_f32_e32 v1, v1
	s_delay_alu instid0(VALU_DEP_1) | instskip(SKIP_1) | instid1(VALU_DEP_1)
	v_mul_lo_u32 v2, s0, v1
	v_add_co_ci_u32_e64 v3, s0, s5, v0, vcc_lo
	v_sub_nc_u32_e32 v3, v4, v3
	s_delay_alu instid0(VALU_DEP_3) | instskip(NEXT) | instid1(VALU_DEP_1)
	v_mul_hi_u32 v2, v1, v2
	v_add_nc_u32_e32 v1, v1, v2
	s_delay_alu instid0(VALU_DEP_1) | instskip(NEXT) | instid1(VALU_DEP_1)
	v_mul_hi_u32 v1, v3, v1
	v_mul_lo_u32 v2, v1, s5
	s_delay_alu instid0(VALU_DEP_1) | instskip(SKIP_1) | instid1(VALU_DEP_2)
	v_sub_nc_u32_e32 v2, v3, v2
	v_add_nc_u32_e32 v3, 1, v1
	v_subrev_nc_u32_e32 v4, s5, v2
	v_cmp_le_u32_e64 s0, s5, v2
	s_delay_alu instid0(VALU_DEP_1) | instskip(NEXT) | instid1(VALU_DEP_3)
	v_cndmask_b32_e64 v1, v1, v3, s0
	v_cndmask_b32_e64 v2, v2, v4, s0
	s_delay_alu instid0(VALU_DEP_2) | instskip(NEXT) | instid1(VALU_DEP_2)
	v_add_nc_u32_e32 v3, 1, v1
	v_cmp_le_u32_e64 s0, s5, v2
	s_delay_alu instid0(VALU_DEP_1) | instskip(SKIP_1) | instid1(VALU_DEP_1)
	v_cndmask_b32_e64 v1, v1, v3, s0
	s_mov_b32 s0, -1
	v_add_co_ci_u32_e32 v3, vcc_lo, 1, v1, vcc_lo
	s_delay_alu instid0(VALU_DEP_1) | instskip(SKIP_1) | instid1(SALU_CYCLE_1)
	v_cmp_lt_u32_e32 vcc_lo, 15, v3
	s_and_b32 s8, vcc_lo, s6
	s_and_saveexec_b32 s6, s8
	s_cbranch_execz .LBB135_36
; %bb.33:
	v_dual_mov_b32 v1, v0 :: v_dual_and_b32 v4, -16, v3
	s_delay_alu instid0(VALU_DEP_1)
	v_dual_mov_b32 v2, 0 :: v_dual_mov_b32 v5, v4
	.p2align	6
.LBB135_34:                             ; =>This Inner Loop Header: Depth=1
	s_delay_alu instid0(VALU_DEP_1) | instskip(NEXT) | instid1(VALU_DEP_2)
	v_lshlrev_b64 v[14:15], 1, v[1:2]
	v_add_nc_u32_e32 v5, -16, v5
	v_add_nc_u32_e32 v1, 16, v1
	s_delay_alu instid0(VALU_DEP_3) | instskip(NEXT) | instid1(VALU_DEP_4)
	v_add_co_u32 v10, vcc_lo, s3, v14
	v_add_co_ci_u32_e32 v11, vcc_lo, s4, v15, vcc_lo
	s_delay_alu instid0(VALU_DEP_4)
	v_cmp_eq_u32_e32 vcc_lo, 0, v5
	v_add_co_u32 v14, s0, s1, v14
	s_clause 0x1
	global_load_b128 v[6:9], v[10:11], off
	global_load_b128 v[10:13], v[10:11], off offset:16
	v_add_co_ci_u32_e64 v15, s0, s2, v15, s0
	s_or_b32 s7, vcc_lo, s7
	s_waitcnt vmcnt(1)
	global_store_b128 v[14:15], v[6:9], off
	s_waitcnt vmcnt(0)
	global_store_b128 v[14:15], v[10:13], off offset:16
	s_and_not1_b32 exec_lo, exec_lo, s7
	s_cbranch_execnz .LBB135_34
; %bb.35:
	s_or_b32 exec_lo, exec_lo, s7
	v_cmp_ne_u32_e32 vcc_lo, v3, v4
	v_add_nc_u32_e32 v0, v0, v4
	s_or_not1_b32 s0, vcc_lo, exec_lo
.LBB135_36:
	s_or_b32 exec_lo, exec_lo, s6
	s_delay_alu instid0(SALU_CYCLE_1)
	s_and_b32 exec_lo, exec_lo, s0
	s_cbranch_execz .LBB135_39
; %bb.37:
	v_mov_b32_e32 v1, 0
	s_mov_b32 s6, 0
	s_lshl_b32 s7, s5, 1
	s_delay_alu instid0(VALU_DEP_1)
	v_lshlrev_b64 v[1:2], 1, v[0:1]
	.p2align	6
.LBB135_38:                             ; =>This Inner Loop Header: Depth=1
	s_delay_alu instid0(VALU_DEP_1) | instskip(NEXT) | instid1(VALU_DEP_2)
	v_add_co_u32 v3, vcc_lo, s3, v1
	v_add_co_ci_u32_e32 v4, vcc_lo, s4, v2, vcc_lo
	v_add_nc_u32_e32 v0, s5, v0
	global_load_u16 v5, v[3:4], off
	v_add_co_u32 v3, vcc_lo, s1, v1
	v_add_co_ci_u32_e32 v4, vcc_lo, s2, v2, vcc_lo
	v_cmp_lt_u32_e32 vcc_lo, 63, v0
	v_add_co_u32 v1, s0, v1, s7
	s_delay_alu instid0(VALU_DEP_1)
	v_add_co_ci_u32_e64 v2, s0, 0, v2, s0
	s_or_b32 s6, vcc_lo, s6
	s_waitcnt vmcnt(0)
	global_store_b16 v[3:4], v5, off
	s_and_not1_b32 exec_lo, exec_lo, s6
	s_cbranch_execnz .LBB135_38
.LBB135_39:
	s_nop 0
	s_sendmsg sendmsg(MSG_DEALLOC_VGPRS)
	s_endpgm
	.section	.rodata,"a",@progbits
	.p2align	6, 0x0
	.amdhsa_kernel _ZN4vllm32paged_attention_v2_reduce_kernelI14__hip_bfloat16Li64ELi128ELi512EEEvPT_PKfS5_PKS2_PKii
		.amdhsa_group_segment_fixed_size 32
		.amdhsa_private_segment_fixed_size 0
		.amdhsa_kernarg_size 304
		.amdhsa_user_sgpr_count 14
		.amdhsa_user_sgpr_dispatch_ptr 0
		.amdhsa_user_sgpr_queue_ptr 0
		.amdhsa_user_sgpr_kernarg_segment_ptr 1
		.amdhsa_user_sgpr_dispatch_id 0
		.amdhsa_user_sgpr_private_segment_size 0
		.amdhsa_wavefront_size32 1
		.amdhsa_uses_dynamic_stack 0
		.amdhsa_enable_private_segment 0
		.amdhsa_system_sgpr_workgroup_id_x 1
		.amdhsa_system_sgpr_workgroup_id_y 1
		.amdhsa_system_sgpr_workgroup_id_z 0
		.amdhsa_system_sgpr_workgroup_info 0
		.amdhsa_system_vgpr_workitem_id 0
		.amdhsa_next_free_vgpr 19
		.amdhsa_next_free_sgpr 29
		.amdhsa_reserve_vcc 1
		.amdhsa_float_round_mode_32 0
		.amdhsa_float_round_mode_16_64 0
		.amdhsa_float_denorm_mode_32 3
		.amdhsa_float_denorm_mode_16_64 3
		.amdhsa_dx10_clamp 1
		.amdhsa_ieee_mode 1
		.amdhsa_fp16_overflow 0
		.amdhsa_workgroup_processor_mode 1
		.amdhsa_memory_ordered 1
		.amdhsa_forward_progress 0
		.amdhsa_shared_vgpr_count 0
		.amdhsa_exception_fp_ieee_invalid_op 0
		.amdhsa_exception_fp_denorm_src 0
		.amdhsa_exception_fp_ieee_div_zero 0
		.amdhsa_exception_fp_ieee_overflow 0
		.amdhsa_exception_fp_ieee_underflow 0
		.amdhsa_exception_fp_ieee_inexact 0
		.amdhsa_exception_int_div_zero 0
	.end_amdhsa_kernel
	.section	.text._ZN4vllm32paged_attention_v2_reduce_kernelI14__hip_bfloat16Li64ELi128ELi512EEEvPT_PKfS5_PKS2_PKii,"axG",@progbits,_ZN4vllm32paged_attention_v2_reduce_kernelI14__hip_bfloat16Li64ELi128ELi512EEEvPT_PKfS5_PKS2_PKii,comdat
.Lfunc_end135:
	.size	_ZN4vllm32paged_attention_v2_reduce_kernelI14__hip_bfloat16Li64ELi128ELi512EEEvPT_PKfS5_PKS2_PKii, .Lfunc_end135-_ZN4vllm32paged_attention_v2_reduce_kernelI14__hip_bfloat16Li64ELi128ELi512EEEvPT_PKfS5_PKS2_PKii
                                        ; -- End function
	.section	.AMDGPU.csdata,"",@progbits
; Kernel info:
; codeLenInByte = 2504
; NumSgprs: 31
; NumVgprs: 19
; ScratchSize: 0
; MemoryBound: 0
; FloatMode: 240
; IeeeMode: 1
; LDSByteSize: 32 bytes/workgroup (compile time only)
; SGPRBlocks: 3
; VGPRBlocks: 2
; NumSGPRsForWavesPerEU: 31
; NumVGPRsForWavesPerEU: 19
; Occupancy: 16
; WaveLimiterHint : 0
; COMPUTE_PGM_RSRC2:SCRATCH_EN: 0
; COMPUTE_PGM_RSRC2:USER_SGPR: 14
; COMPUTE_PGM_RSRC2:TRAP_HANDLER: 0
; COMPUTE_PGM_RSRC2:TGID_X_EN: 1
; COMPUTE_PGM_RSRC2:TGID_Y_EN: 1
; COMPUTE_PGM_RSRC2:TGID_Z_EN: 0
; COMPUTE_PGM_RSRC2:TIDIG_COMP_CNT: 0
	.section	.text._ZN4vllm25paged_attention_v2_kernelI14__hip_bfloat16S1_Li80ELi8ELi128ELNS_18Fp8KVCacheDataTypeE0ELb1ELi512EEEvPfS3_PT_PKS4_PKT0_SA_ifPKiSC_iPKfiiiSE_SE_iiiii,"axG",@progbits,_ZN4vllm25paged_attention_v2_kernelI14__hip_bfloat16S1_Li80ELi8ELi128ELNS_18Fp8KVCacheDataTypeE0ELb1ELi512EEEvPfS3_PT_PKS4_PKT0_SA_ifPKiSC_iPKfiiiSE_SE_iiiii,comdat
	.protected	_ZN4vllm25paged_attention_v2_kernelI14__hip_bfloat16S1_Li80ELi8ELi128ELNS_18Fp8KVCacheDataTypeE0ELb1ELi512EEEvPfS3_PT_PKS4_PKT0_SA_ifPKiSC_iPKfiiiSE_SE_iiiii ; -- Begin function _ZN4vllm25paged_attention_v2_kernelI14__hip_bfloat16S1_Li80ELi8ELi128ELNS_18Fp8KVCacheDataTypeE0ELb1ELi512EEEvPfS3_PT_PKS4_PKT0_SA_ifPKiSC_iPKfiiiSE_SE_iiiii
	.globl	_ZN4vllm25paged_attention_v2_kernelI14__hip_bfloat16S1_Li80ELi8ELi128ELNS_18Fp8KVCacheDataTypeE0ELb1ELi512EEEvPfS3_PT_PKS4_PKT0_SA_ifPKiSC_iPKfiiiSE_SE_iiiii
	.p2align	8
	.type	_ZN4vllm25paged_attention_v2_kernelI14__hip_bfloat16S1_Li80ELi8ELi128ELNS_18Fp8KVCacheDataTypeE0ELb1ELi512EEEvPfS3_PT_PKS4_PKT0_SA_ifPKiSC_iPKfiiiSE_SE_iiiii,@function
_ZN4vllm25paged_attention_v2_kernelI14__hip_bfloat16S1_Li80ELi8ELi128ELNS_18Fp8KVCacheDataTypeE0ELb1ELi512EEEvPfS3_PT_PKS4_PKT0_SA_ifPKiSC_iPKfiiiSE_SE_iiiii: ; @_ZN4vllm25paged_attention_v2_kernelI14__hip_bfloat16S1_Li80ELi8ELi128ELNS_18Fp8KVCacheDataTypeE0ELb1ELi512EEEvPfS3_PT_PKS4_PKT0_SA_ifPKiSC_iPKfiiiSE_SE_iiiii
; %bb.0:
	s_load_b64 s[2:3], s[0:1], 0x40
	s_mov_b32 s20, s15
	s_ashr_i32 s15, s14, 31
	s_delay_alu instid0(SALU_CYCLE_1)
	s_lshl_b64 s[4:5], s[14:15], 2
	s_waitcnt lgkmcnt(0)
	s_add_u32 s2, s2, s4
	s_addc_u32 s3, s3, s5
	s_lshl_b32 s39, s20, 9
	s_load_b32 s15, s[2:3], 0x0
	s_waitcnt lgkmcnt(0)
	s_cmp_ge_i32 s39, s15
	s_cbranch_scc1 .LBB136_207
; %bb.1:
	s_mov_b32 s26, s13
	s_clause 0x1
	s_load_b32 s21, s[0:1], 0x90
	s_load_b64 s[12:13], s[0:1], 0x30
	s_mov_b32 s41, 0
	s_waitcnt lgkmcnt(0)
	s_abs_i32 s5, s21
	s_abs_i32 s2, s12
	s_delay_alu instid0(SALU_CYCLE_1) | instskip(SKIP_1) | instid1(VALU_DEP_1)
	v_cvt_f32_u32_e32 v1, s2
	s_sub_i32 s4, 0, s2
	v_rcp_iflag_f32_e32 v1, v1
	s_waitcnt_depctr 0xfff
	v_mul_f32_e32 v1, 0x4f7ffffe, v1
	s_delay_alu instid0(VALU_DEP_1) | instskip(NEXT) | instid1(VALU_DEP_1)
	v_cvt_u32_f32_e32 v1, v1
	v_readfirstlane_b32 s3, v1
	s_delay_alu instid0(VALU_DEP_1) | instskip(NEXT) | instid1(SALU_CYCLE_1)
	s_mul_i32 s4, s4, s3
	s_mul_hi_u32 s4, s3, s4
	s_delay_alu instid0(SALU_CYCLE_1) | instskip(SKIP_4) | instid1(SALU_CYCLE_1)
	s_add_i32 s3, s3, s4
	s_xor_b32 s4, s21, s12
	s_mul_hi_u32 s3, s5, s3
	s_ashr_i32 s4, s4, 31
	s_mul_i32 s6, s3, s2
	s_sub_i32 s5, s5, s6
	s_add_i32 s6, s3, 1
	s_sub_i32 s7, s5, s2
	s_cmp_ge_u32 s5, s2
	s_cselect_b32 s3, s6, s3
	s_cselect_b32 s5, s7, s5
	s_add_i32 s6, s3, 1
	s_cmp_ge_u32 s5, s2
	s_cselect_b32 s2, s6, s3
	s_abs_i32 s17, s26
	s_xor_b32 s2, s2, s4
	s_delay_alu instid0(SALU_CYCLE_1) | instskip(SKIP_2) | instid1(SALU_CYCLE_1)
	s_sub_i32 s8, s2, s4
	s_load_b64 s[2:3], s[0:1], 0x50
	s_abs_i32 s16, s8
	v_cvt_f32_u32_e32 v1, s16
	s_sub_i32 s5, 0, s16
	s_delay_alu instid0(VALU_DEP_1) | instskip(SKIP_2) | instid1(VALU_DEP_1)
	v_rcp_iflag_f32_e32 v1, v1
	s_waitcnt_depctr 0xfff
	v_mul_f32_e32 v1, 0x4f7ffffe, v1
	v_cvt_u32_f32_e32 v1, v1
	s_delay_alu instid0(VALU_DEP_1) | instskip(NEXT) | instid1(VALU_DEP_1)
	v_readfirstlane_b32 s4, v1
	s_mul_i32 s5, s5, s4
	s_delay_alu instid0(SALU_CYCLE_1) | instskip(NEXT) | instid1(SALU_CYCLE_1)
	s_mul_hi_u32 s5, s4, s5
	s_add_i32 s4, s4, s5
	s_waitcnt lgkmcnt(0)
	s_cmp_eq_u64 s[2:3], 0
	s_mul_hi_u32 s18, s17, s4
	s_cbranch_scc1 .LBB136_3
; %bb.2:
	s_ashr_i32 s27, s26, 31
	s_delay_alu instid0(SALU_CYCLE_1) | instskip(NEXT) | instid1(SALU_CYCLE_1)
	s_lshl_b64 s[4:5], s[26:27], 2
	s_add_u32 s2, s2, s4
	s_addc_u32 s3, s3, s5
	s_load_b32 s41, s[2:3], 0x0
.LBB136_3:
	s_load_b128 s[4:7], s[0:1], 0x58
	v_and_b32_e32 v1, 3, v0
	v_lshlrev_b32_e32 v2, 2, v0
	s_ashr_i32 s2, s26, 31
	s_ashr_i32 s3, s8, 31
	s_mul_i32 s22, s26, 0x50
	s_waitcnt lgkmcnt(0)
	s_mov_b32 s7, exec_lo
	v_cmpx_gt_u32_e32 40, v0
	s_cbranch_execz .LBB136_5
; %bb.4:
	s_load_b64 s[8:9], s[0:1], 0x18
	s_mul_i32 s10, s14, s4
	v_and_b32_e32 v4, 0x3fc, v0
	s_ashr_i32 s11, s10, 31
	s_delay_alu instid0(SALU_CYCLE_1) | instskip(NEXT) | instid1(VALU_DEP_1)
	s_lshl_b64 s[10:11], s[10:11], 1
	v_mad_u32_u24 v4, v1, 40, v4
	s_waitcnt lgkmcnt(0)
	s_add_u32 s4, s8, s10
	s_addc_u32 s10, s9, s11
	s_ashr_i32 s23, s22, 31
	s_delay_alu instid0(SALU_CYCLE_1) | instskip(NEXT) | instid1(SALU_CYCLE_1)
	s_lshl_b64 s[8:9], s[22:23], 1
	s_add_u32 s8, s4, s8
	s_addc_u32 s9, s10, s9
	global_load_b32 v3, v2, s[8:9]
	s_waitcnt vmcnt(0)
	ds_store_b32 v4, v3
.LBB136_5:
	s_or_b32 exec_lo, exec_lo, s7
	s_load_b128 s[8:11], s[0:1], 0x78
	s_mul_i32 s4, s18, s16
	s_xor_b32 s2, s2, s3
	s_sub_i32 s3, s17, s4
	s_add_i32 s4, s18, 1
	s_sub_i32 s7, s3, s16
	s_cmp_ge_u32 s3, s16
	s_mov_b32 s17, -1
	s_cselect_b32 s4, s4, s18
	s_cselect_b32 s3, s7, s3
	s_add_i32 s7, s4, 1
	s_cmp_ge_u32 s3, s16
	s_waitcnt lgkmcnt(0)
	s_cselect_b32 s3, s7, s4
	s_load_b32 s4, s[0:1], 0x88
	s_xor_b32 s3, s3, s2
	s_add_i32 s16, s15, -1
	s_sub_i32 s3, s3, s2
	s_abs_i32 s7, s16
	s_waitcnt lgkmcnt(0)
	s_barrier
	s_abs_i32 s23, s11
	buffer_gl0_inv
	v_cvt_f32_u32_e32 v3, s23
	s_sub_i32 s2, 0, s23
                                        ; implicit-def: $sgpr33
	s_delay_alu instid0(VALU_DEP_1) | instskip(SKIP_2) | instid1(VALU_DEP_1)
	v_rcp_iflag_f32_e32 v3, v3
	s_waitcnt_depctr 0xfff
	v_mul_f32_e32 v3, 0x4f7ffffe, v3
	v_cvt_u32_f32_e32 v3, v3
	s_delay_alu instid0(VALU_DEP_1) | instskip(NEXT) | instid1(VALU_DEP_1)
	v_readfirstlane_b32 s27, v3
	s_mul_i32 s2, s2, s27
	s_delay_alu instid0(SALU_CYCLE_1) | instskip(NEXT) | instid1(SALU_CYCLE_1)
	s_mul_hi_u32 s2, s27, s2
	s_add_i32 s27, s27, s2
	s_cmp_lt_i32 s4, 0
	s_mul_hi_u32 s2, s7, s27
	s_cbranch_scc0 .LBB136_7
; %bb.6:
	s_mul_i32 s12, s8, s12
	s_mov_b32 s17, 0
	s_add_i32 s12, s3, s12
	s_delay_alu instid0(SALU_CYCLE_1) | instskip(NEXT) | instid1(SALU_CYCLE_1)
	s_mul_i32 s12, s12, s4
	s_sub_i32 s33, 1, s12
.LBB136_7:
	s_load_b64 s[28:29], s[0:1], 0x38
	s_ashr_i32 s12, s16, 31
	s_and_not1_b32 vcc_lo, exec_lo, s17
	s_ashr_i32 s11, s11, 31
	s_cbranch_vccnz .LBB136_9
; %bb.8:
	s_mul_i32 s8, s21, s8
	s_delay_alu instid0(SALU_CYCLE_1) | instskip(NEXT) | instid1(SALU_CYCLE_1)
	s_add_i32 s8, s8, s26
	s_mul_i32 s4, s8, s4
	s_delay_alu instid0(SALU_CYCLE_1)
	s_add_i32 s33, s4, 1
.LBB136_9:
	s_clause 0x4
	s_load_b32 s8, s[0:1], 0x48
	s_load_b64 s[34:35], s[0:1], 0x28
	s_load_b32 s4, s[0:1], 0x98
	s_load_b128 s[16:19], s[0:1], 0x0
	s_load_b64 s[24:25], s[0:1], 0x10
	s_mul_i32 s30, s2, s23
	s_xor_b32 s12, s12, s11
	s_sub_i32 s7, s7, s30
	s_add_i32 s36, s2, 1
	v_lshrrev_b32_e32 v15, 5, v0
	v_mov_b32_e32 v4, 0xff7fffff
	v_mbcnt_lo_u32_b32 v3, -1, 0
	s_delay_alu instid0(VALU_DEP_3)
	v_lshl_add_u32 v16, v15, 3, s39
	s_waitcnt lgkmcnt(0)
	s_mul_i32 s30, s14, s8
	s_sub_i32 s8, s7, s23
	s_ashr_i32 s31, s30, 31
	s_cmp_ge_u32 s7, s23
	s_cselect_b32 s2, s36, s2
	s_cselect_b32 s7, s8, s7
	s_add_i32 s8, s2, 1
	s_cmp_ge_u32 s7, s23
	s_cselect_b32 s2, s8, s2
	s_add_i32 s8, s15, 7
	s_lshl_b32 s7, s20, 6
	s_ashr_i32 s36, s8, 31
	v_or_b32_e32 v12, s7, v15
	s_lshr_b32 s36, s36, 29
	s_delay_alu instid0(SALU_CYCLE_1)
	s_add_i32 s8, s8, s36
	s_add_i32 s36, s7, 64
	s_ashr_i32 s40, s8, 3
	s_xor_b32 s8, s2, s12
	s_min_i32 s38, s36, s40
	v_ashrrev_i32_e32 v13, 31, v12
	v_cmp_gt_i32_e64 s2, s38, v12
	s_sub_i32 s8, s8, s12
	s_mul_i32 s36, s3, s6
	s_delay_alu instid0(VALU_DEP_1)
	s_and_saveexec_b32 s6, s2
	s_cbranch_execz .LBB136_19
; %bb.10:
	s_load_b64 s[0:1], s[0:1], 0x20
	s_ashr_i32 s37, s36, 31
	s_sub_i32 s12, s8, s9
	s_lshl_b64 s[42:43], s[36:37], 1
	v_bfe_u32 v5, v0, 2, 3
	v_cmp_eq_u32_e32 vcc_lo, 0, v1
	v_dual_mov_b32 v8, 0xff7fffff :: v_dual_and_b32 v17, 12, v2
	v_mul_u32_u24_e32 v6, 40, v1
	s_delay_alu instid0(VALU_DEP_4)
	v_subrev_nc_u32_e32 v18, s15, v5
	v_lshlrev_b64 v[1:2], 2, v[12:13]
	v_lshl_add_u32 v7, v15, 3, s39
	v_xor_b32_e32 v9, 2, v3
	v_xor_b32_e32 v10, 1, v3
	v_lshlrev_b32_e32 v21, 4, v5
	s_waitcnt lgkmcnt(0)
	s_add_u32 s3, s0, s42
	s_addc_u32 s1, s1, s43
	s_abs_i32 s37, s10
	v_cmp_neq_f32_e64 s0, s41, 0
	v_cvt_f32_u32_e32 v4, s37
	s_sub_i32 s42, 0, s37
	s_delay_alu instid0(VALU_DEP_1) | instskip(SKIP_2) | instid1(VALU_DEP_1)
	v_rcp_iflag_f32_e32 v4, v4
	s_waitcnt_depctr 0xfff
	v_dual_mul_f32 v14, 0x4f7ffffe, v4 :: v_dual_lshlrev_b32 v11, 2, v5
	v_lshl_or_b32 v19, v15, 5, v11
	v_dual_mov_b32 v4, 0xff7fffff :: v_dual_add_nc_u32 v11, 1, v18
	s_delay_alu instid0(VALU_DEP_3) | instskip(NEXT) | instid1(VALU_DEP_3)
	v_cvt_u32_f32_e32 v20, v14
	v_add_nc_u32_e32 v14, 0xc0, v19
	v_add_co_u32 v19, s3, s3, v21
	s_delay_alu instid0(VALU_DEP_1) | instskip(NEXT) | instid1(VALU_DEP_4)
	v_add_co_ci_u32_e64 v21, null, s1, 0, s3
	v_mul_lo_u32 v18, s42, v20
	s_lshl_b64 s[42:43], s[30:31], 2
	s_delay_alu instid0(SALU_CYCLE_1) | instskip(SKIP_2) | instid1(VALU_DEP_1)
	s_add_u32 s1, s28, s42
	s_addc_u32 s3, s29, s43
	v_add_co_u32 v1, s1, s1, v1
	v_add_co_ci_u32_e64 v2, s1, s3, v2, s1
	s_delay_alu instid0(VALU_DEP_3) | instskip(SKIP_1) | instid1(VALU_DEP_1)
	v_mul_hi_u32 v22, v20, v18
	v_add_co_u32 v17, s1, v19, v17
	v_add_co_ci_u32_e64 v18, s1, 0, v21, s1
	s_mov_b32 s42, 0
	s_mov_b32 s43, s5
	s_delay_alu instid0(VALU_DEP_3)
	v_add_nc_u32_e32 v19, v20, v22
	v_mov_b32_e32 v20, v12
	s_branch .LBB136_13
.LBB136_11:                             ;   in Loop: Header=BB136_13 Depth=1
	s_or_b32 exec_lo, exec_lo, s44
.LBB136_12:                             ;   in Loop: Header=BB136_13 Depth=1
	s_delay_alu instid0(SALU_CYCLE_1) | instskip(SKIP_2) | instid1(VALU_DEP_1)
	s_or_b32 exec_lo, exec_lo, s3
	v_add_nc_u32_e32 v20, 4, v20
	v_add_co_u32 v1, s3, v1, 16
	v_add_co_ci_u32_e64 v2, s3, 0, v2, s3
	s_delay_alu instid0(VALU_DEP_3) | instskip(SKIP_2) | instid1(VALU_DEP_3)
	v_cmp_le_i32_e64 s1, s38, v20
	v_add_nc_u32_e32 v7, 32, v7
	v_add_nc_u32_e32 v14, 0x80, v14
	s_or_b32 s42, s1, s42
	s_delay_alu instid0(SALU_CYCLE_1)
	s_and_not1_b32 exec_lo, exec_lo, s42
	s_cbranch_execz .LBB136_18
.LBB136_13:                             ; =>This Inner Loop Header: Depth=1
	v_sub_nc_u32_e32 v21, 0, v7
	s_delay_alu instid0(VALU_DEP_1) | instskip(SKIP_1) | instid1(VALU_DEP_1)
	v_max_i32_e32 v21, v7, v21
	s_waitcnt lgkmcnt(0)
	v_mul_hi_u32 v22, v21, s27
	s_delay_alu instid0(VALU_DEP_1) | instskip(NEXT) | instid1(VALU_DEP_1)
	v_mul_lo_u32 v23, v22, s23
	v_sub_nc_u32_e32 v21, v21, v23
	v_add_nc_u32_e32 v23, 1, v22
	s_delay_alu instid0(VALU_DEP_2) | instskip(SKIP_1) | instid1(VALU_DEP_1)
	v_subrev_nc_u32_e32 v24, s23, v21
	v_cmp_le_u32_e64 s1, s23, v21
	v_cndmask_b32_e64 v22, v22, v23, s1
	s_delay_alu instid0(VALU_DEP_3) | instskip(SKIP_1) | instid1(VALU_DEP_3)
	v_cndmask_b32_e64 v21, v21, v24, s1
	v_ashrrev_i32_e32 v23, 31, v7
	v_add_nc_u32_e32 v24, 1, v22
	s_delay_alu instid0(VALU_DEP_3) | instskip(NEXT) | instid1(VALU_DEP_3)
	v_cmp_le_u32_e64 s1, s23, v21
	v_xor_b32_e32 v23, s11, v23
	s_delay_alu instid0(VALU_DEP_2) | instskip(NEXT) | instid1(VALU_DEP_1)
	v_cndmask_b32_e64 v21, v22, v24, s1
	v_xor_b32_e32 v21, v21, v23
	s_delay_alu instid0(VALU_DEP_1) | instskip(NEXT) | instid1(VALU_DEP_1)
	v_sub_nc_u32_e32 v21, v21, v23
	v_add_nc_u32_e32 v22, s33, v21
	v_cmp_ge_i32_e64 s3, s12, v21
	s_delay_alu instid0(VALU_DEP_2) | instskip(NEXT) | instid1(VALU_DEP_1)
	v_sub_nc_u32_e32 v23, 0, v22
	v_max_i32_e32 v23, v22, v23
	v_ashrrev_i32_e32 v22, 31, v22
	s_delay_alu instid0(VALU_DEP_2) | instskip(NEXT) | instid1(VALU_DEP_1)
	v_mul_hi_u32 v24, v23, v19
	v_mul_lo_u32 v24, v24, s37
	s_delay_alu instid0(VALU_DEP_1) | instskip(NEXT) | instid1(VALU_DEP_1)
	v_sub_nc_u32_e32 v23, v23, v24
	v_subrev_nc_u32_e32 v24, s37, v23
	v_cmp_le_u32_e64 s1, s37, v23
	s_delay_alu instid0(VALU_DEP_1) | instskip(NEXT) | instid1(VALU_DEP_1)
	v_cndmask_b32_e64 v23, v23, v24, s1
	v_subrev_nc_u32_e32 v24, s37, v23
	v_cmp_le_u32_e64 s1, s37, v23
	s_delay_alu instid0(VALU_DEP_1) | instskip(NEXT) | instid1(VALU_DEP_1)
	v_cndmask_b32_e64 v23, v23, v24, s1
	v_xor_b32_e32 v23, v23, v22
	s_delay_alu instid0(VALU_DEP_1) | instskip(NEXT) | instid1(VALU_DEP_1)
	v_sub_nc_u32_e32 v22, v23, v22
	v_cmp_ne_u32_e64 s1, 0, v22
	s_delay_alu instid0(VALU_DEP_1) | instskip(NEXT) | instid1(SALU_CYCLE_1)
	s_and_b32 s1, s1, s3
	s_and_b32 s44, vcc_lo, s1
	s_delay_alu instid0(SALU_CYCLE_1)
	s_and_saveexec_b32 s3, s44
	s_cbranch_execz .LBB136_15
; %bb.14:                               ;   in Loop: Header=BB136_13 Depth=1
	ds_store_b32 v14, v8
.LBB136_15:                             ;   in Loop: Header=BB136_13 Depth=1
	s_or_b32 exec_lo, exec_lo, s3
	s_xor_b32 s1, s1, -1
	s_delay_alu instid0(SALU_CYCLE_1)
	s_and_saveexec_b32 s3, s1
	s_cbranch_execz .LBB136_12
; %bb.16:                               ;   in Loop: Header=BB136_13 Depth=1
	global_load_b32 v23, v[1:2], off
	s_waitcnt vmcnt(0)
	v_mad_i64_i32 v[21:22], null, v23, s43, 0
	s_delay_alu instid0(VALU_DEP_1) | instskip(NEXT) | instid1(VALU_DEP_1)
	v_lshlrev_b64 v[21:22], 1, v[21:22]
	v_add_co_u32 v21, s1, v17, v21
	s_delay_alu instid0(VALU_DEP_1)
	v_add_co_ci_u32_e64 v22, s1, v18, v22, s1
	v_cmp_gt_i32_e64 s1, 32, v9
	s_clause 0x9
	global_load_b32 v31, v[21:22], off offset:128
	global_load_b32 v32, v[21:22], off
	global_load_b32 v33, v[21:22], off offset:256
	global_load_b32 v34, v[21:22], off offset:384
	;; [unrolled: 1-line block ×8, first 2 shown]
	ds_load_2addr_b64 v[21:24], v6 offset1:1
	ds_load_2addr_b64 v[25:28], v6 offset0:2 offset1:3
	ds_load_b64 v[29:30], v6 offset:32
	s_waitcnt lgkmcnt(2)
	v_lshlrev_b32_e32 v42, 16, v22
	v_lshlrev_b32_e32 v44, 16, v24
	v_and_b32_e32 v22, 0xffff0000, v22
	s_waitcnt lgkmcnt(1)
	v_lshlrev_b32_e32 v46, 16, v26
	v_lshlrev_b32_e32 v48, 16, v28
	s_waitcnt lgkmcnt(0)
	v_lshlrev_b32_e32 v50, 16, v30
	s_waitcnt vmcnt(9)
	v_lshlrev_b32_e32 v51, 16, v31
	v_lshlrev_b32_e32 v41, 16, v21
	v_and_b32_e32 v31, 0xffff0000, v31
	s_waitcnt vmcnt(8)
	v_lshlrev_b32_e32 v52, 16, v32
	v_dual_mul_f32 v42, v42, v51 :: v_dual_lshlrev_b32 v45, 16, v25
	v_lshlrev_b32_e32 v43, 16, v23
	s_waitcnt vmcnt(7)
	v_dual_mul_f32 v22, v22, v31 :: v_dual_lshlrev_b32 v31, 16, v33
	v_and_b32_e32 v32, 0xffff0000, v32
	v_dual_fmac_f32 v42, v41, v52 :: v_dual_lshlrev_b32 v49, 16, v29
	s_delay_alu instid0(VALU_DEP_1) | instskip(SKIP_3) | instid1(VALU_DEP_1)
	v_dual_fmac_f32 v42, v43, v31 :: v_dual_and_b32 v33, 0xffff0000, v33
	s_waitcnt vmcnt(5)
	v_and_b32_e32 v31, 0xffff0000, v35
	v_and_b32_e32 v21, 0xffff0000, v21
	v_dual_fmac_f32 v22, v21, v32 :: v_dual_lshlrev_b32 v47, 16, v27
	v_and_b32_e32 v21, 0xffff0000, v24
	v_lshlrev_b32_e32 v24, 16, v34
	v_and_b32_e32 v32, 0xffff0000, v34
	s_delay_alu instid0(VALU_DEP_2) | instskip(SKIP_2) | instid1(VALU_DEP_2)
	v_dual_fmac_f32 v42, v44, v24 :: v_dual_and_b32 v23, 0xffff0000, v23
	s_waitcnt vmcnt(4)
	v_lshlrev_b32_e32 v24, 16, v36
	v_fmac_f32_e32 v22, v23, v33
	v_and_b32_e32 v23, 0xffff0000, v25
	v_lshlrev_b32_e32 v25, 16, v35
	s_delay_alu instid0(VALU_DEP_1) | instskip(SKIP_2) | instid1(VALU_DEP_2)
	v_fmac_f32_e32 v42, v45, v25
	s_waitcnt vmcnt(3)
	v_dual_fmac_f32 v22, v21, v32 :: v_dual_lshlrev_b32 v25, 16, v37
	v_fmac_f32_e32 v42, v46, v24
	s_waitcnt vmcnt(2)
	v_lshlrev_b32_e32 v24, 16, v38
	s_waitcnt vmcnt(1)
	s_delay_alu instid0(VALU_DEP_2) | instskip(NEXT) | instid1(VALU_DEP_1)
	v_dual_fmac_f32 v42, v47, v25 :: v_dual_lshlrev_b32 v25, 16, v39
	v_fmac_f32_e32 v42, v48, v24
	v_fmac_f32_e32 v22, v23, v31
	v_and_b32_e32 v23, 0xffff0000, v27
	s_waitcnt vmcnt(0)
	v_lshlrev_b32_e32 v24, 16, v40
	v_fmac_f32_e32 v42, v49, v25
	s_delay_alu instid0(VALU_DEP_1) | instskip(SKIP_2) | instid1(VALU_DEP_1)
	v_dual_fmac_f32 v42, v50, v24 :: v_dual_and_b32 v27, 0xffff0000, v37
	v_and_b32_e32 v21, 0xffff0000, v26
	v_and_b32_e32 v26, 0xffff0000, v36
	v_dual_fmac_f32 v22, v21, v26 :: v_dual_and_b32 v21, 0xffff0000, v28
	v_and_b32_e32 v26, 0xffff0000, v38
	s_delay_alu instid0(VALU_DEP_2) | instskip(NEXT) | instid1(VALU_DEP_1)
	v_fmac_f32_e32 v22, v23, v27
	v_dual_fmac_f32 v22, v21, v26 :: v_dual_and_b32 v27, 0xffff0000, v39
	v_and_b32_e32 v21, 0xffff0000, v30
	v_and_b32_e32 v26, 0xffff0000, v40
	;; [unrolled: 1-line block ×3, first 2 shown]
	s_delay_alu instid0(VALU_DEP_1) | instskip(SKIP_2) | instid1(VALU_DEP_2)
	v_fmac_f32_e32 v22, v23, v27
	v_cndmask_b32_e64 v23, v3, v9, s1
	v_cmp_gt_i32_e64 s1, 32, v10
	v_dual_fmac_f32 v22, v21, v26 :: v_dual_lshlrev_b32 v21, 2, v23
	s_delay_alu instid0(VALU_DEP_2) | instskip(NEXT) | instid1(VALU_DEP_1)
	v_cndmask_b32_e64 v23, v3, v10, s1
	v_dual_add_f32 v22, v42, v22 :: v_dual_lshlrev_b32 v23, 2, v23
	ds_bpermute_b32 v21, v21, v22
	s_waitcnt lgkmcnt(0)
	v_add_f32_e32 v21, v22, v21
	ds_bpermute_b32 v22, v23, v21
	s_and_saveexec_b32 s44, vcc_lo
	s_cbranch_execz .LBB136_11
; %bb.17:                               ;   in Loop: Header=BB136_13 Depth=1
	s_waitcnt lgkmcnt(0)
	v_add_f32_e32 v21, v21, v22
	v_add_nc_u32_e32 v23, v11, v7
	s_delay_alu instid0(VALU_DEP_1) | instskip(NEXT) | instid1(VALU_DEP_1)
	v_cvt_f32_i32_e32 v23, v23
	v_mul_f32_e32 v23, s41, v23
	s_delay_alu instid0(VALU_DEP_1) | instskip(NEXT) | instid1(VALU_DEP_1)
	v_cndmask_b32_e64 v22, 0, v23, s0
	v_dual_max_f32 v23, v4, v4 :: v_dual_fmac_f32 v22, s13, v21
	v_add_nc_u32_e32 v21, v5, v7
	s_delay_alu instid0(VALU_DEP_2) | instskip(NEXT) | instid1(VALU_DEP_2)
	v_max_f32_e32 v23, v23, v22
	v_cmp_gt_i32_e64 s1, s15, v21
	s_delay_alu instid0(VALU_DEP_1) | instskip(NEXT) | instid1(VALU_DEP_3)
	v_cndmask_b32_e64 v21, 0, v22, s1
	v_cndmask_b32_e64 v4, v4, v23, s1
	ds_store_b32 v14, v21
	s_branch .LBB136_11
.LBB136_18:
	s_or_b32 exec_lo, exec_lo, s42
.LBB136_19:
	s_delay_alu instid0(SALU_CYCLE_1) | instskip(SKIP_4) | instid1(VALU_DEP_4)
	s_or_b32 exec_lo, exec_lo, s6
	v_xor_b32_e32 v1, 16, v3
	v_xor_b32_e32 v5, 8, v3
	v_max_f32_e32 v6, v4, v4
	v_and_b32_e32 v17, 31, v0
	v_cmp_gt_i32_e32 vcc_lo, 32, v1
	v_cndmask_b32_e32 v1, v3, v1, vcc_lo
	v_cmp_gt_i32_e32 vcc_lo, 32, v5
	s_delay_alu instid0(VALU_DEP_2) | instskip(SKIP_3) | instid1(VALU_DEP_1)
	v_lshlrev_b32_e32 v2, 2, v1
	ds_bpermute_b32 v1, v2, v4
	v_cndmask_b32_e32 v4, v3, v5, vcc_lo
	s_waitcnt lgkmcnt(0)
	v_dual_max_f32 v1, v1, v1 :: v_dual_lshlrev_b32 v4, 2, v4
	s_delay_alu instid0(VALU_DEP_1) | instskip(SKIP_1) | instid1(VALU_DEP_1)
	v_max_f32_e32 v1, v6, v1
	v_xor_b32_e32 v6, 4, v3
	v_cmp_gt_i32_e32 vcc_lo, 32, v6
	v_cndmask_b32_e32 v6, v3, v6, vcc_lo
	ds_bpermute_b32 v5, v4, v1
	v_cmp_eq_u32_e32 vcc_lo, 0, v17
	s_waitcnt lgkmcnt(0)
	v_dual_max_f32 v5, v5, v5 :: v_dual_lshlrev_b32 v6, 2, v6
	s_delay_alu instid0(VALU_DEP_1)
	v_max_f32_e32 v1, v1, v5
	v_lshlrev_b32_e32 v5, 2, v15
	ds_bpermute_b32 v7, v6, v1
	s_and_saveexec_b32 s0, vcc_lo
	s_cbranch_execz .LBB136_21
; %bb.20:
	s_waitcnt lgkmcnt(0)
	v_max_f32_e32 v7, v7, v7
	v_max_f32_e32 v1, v1, v1
	s_delay_alu instid0(VALU_DEP_1)
	v_max_f32_e32 v1, v1, v7
	ds_store_b32 v5, v1 offset:160
.LBB136_21:
	s_or_b32 exec_lo, exec_lo, s0
	v_cmp_gt_u32_e64 s0, 4, v17
	v_dual_mov_b32 v1, 0xff7fffff :: v_dual_lshlrev_b32 v18, 2, v17
	s_waitcnt lgkmcnt(0)
	s_barrier
	buffer_gl0_inv
	s_and_saveexec_b32 s1, s0
	s_cbranch_execz .LBB136_23
; %bb.22:
	ds_load_b32 v1, v18 offset:160
.LBB136_23:
	s_or_b32 exec_lo, exec_lo, s1
	v_xor_b32_e32 v7, 2, v3
	v_xor_b32_e32 v9, 1, v3
	s_delay_alu instid0(VALU_DEP_2) | instskip(NEXT) | instid1(VALU_DEP_1)
	v_cmp_gt_i32_e64 s1, 32, v7
	v_cndmask_b32_e64 v7, v3, v7, s1
	s_delay_alu instid0(VALU_DEP_3) | instskip(NEXT) | instid1(VALU_DEP_2)
	v_cmp_gt_i32_e64 s1, 32, v9
	v_lshlrev_b32_e32 v7, 2, v7
	s_delay_alu instid0(VALU_DEP_2) | instskip(SKIP_1) | instid1(SALU_CYCLE_1)
	v_cndmask_b32_e64 v3, v3, v9, s1
	s_sub_i32 s1, s38, s7
	s_lshl_b32 s1, s1, 3
	s_waitcnt lgkmcnt(0)
	ds_bpermute_b32 v8, v7, v1
	v_max_f32_e32 v1, v1, v1
	s_add_i32 s1, s1, s39
	s_delay_alu instid0(SALU_CYCLE_1) | instskip(NEXT) | instid1(SALU_CYCLE_1)
	s_min_i32 s1, s1, s15
	s_sub_i32 s6, s1, s39
	s_delay_alu instid0(SALU_CYCLE_1) | instskip(SKIP_2) | instid1(VALU_DEP_1)
	v_cmp_gt_i32_e64 s1, s6, v0
	s_waitcnt lgkmcnt(0)
	v_dual_max_f32 v9, v8, v8 :: v_dual_lshlrev_b32 v8, 2, v3
	v_max_f32_e32 v1, v1, v9
	v_mov_b32_e32 v9, 0
	ds_bpermute_b32 v3, v8, v1
	s_waitcnt lgkmcnt(0)
	v_max_f32_e32 v3, v3, v3
	s_delay_alu instid0(VALU_DEP_1)
	v_max_f32_e32 v1, v1, v3
	v_lshl_add_u32 v3, v0, 2, 0xc0
	ds_bpermute_b32 v1, v9, v1
	s_and_saveexec_b32 s7, s1
	s_cbranch_execz .LBB136_27
; %bb.24:
	v_lshl_add_u32 v10, v0, 2, 0xc0
	v_mov_b32_e32 v9, 0
	v_mov_b32_e32 v11, v0
	s_mov_b32 s12, 0
	.p2align	6
.LBB136_25:                             ; =>This Inner Loop Header: Depth=1
	ds_load_b32 v14, v10
	v_add_nc_u32_e32 v11, 0x80, v11
	s_delay_alu instid0(VALU_DEP_1) | instskip(NEXT) | instid1(VALU_DEP_1)
	v_cmp_le_i32_e64 s3, s6, v11
	s_or_b32 s12, s3, s12
	s_waitcnt lgkmcnt(0)
	v_sub_f32_e32 v14, v14, v1
	s_delay_alu instid0(VALU_DEP_1) | instskip(NEXT) | instid1(VALU_DEP_1)
	v_mul_f32_e32 v14, 0x3fb8aa3b, v14
	v_exp_f32_e32 v14, v14
	ds_store_b32 v10, v14
	v_add_f32_e32 v9, v9, v14
	v_add_nc_u32_e32 v10, 0x200, v10
	s_and_not1_b32 exec_lo, exec_lo, s12
	s_cbranch_execnz .LBB136_25
; %bb.26:
	s_or_b32 exec_lo, exec_lo, s12
.LBB136_27:
	s_delay_alu instid0(SALU_CYCLE_1)
	s_or_b32 exec_lo, exec_lo, s7
	ds_bpermute_b32 v2, v2, v9
	s_waitcnt lgkmcnt(0)
	v_add_f32_e32 v2, v9, v2
	ds_bpermute_b32 v4, v4, v2
	s_waitcnt lgkmcnt(0)
	v_add_f32_e32 v2, v2, v4
	;; [unrolled: 3-line block ×5, first 2 shown]
	s_and_saveexec_b32 s3, vcc_lo
	s_cbranch_execz .LBB136_29
; %bb.28:
	ds_store_b32 v5, v2 offset:176
.LBB136_29:
	s_or_b32 exec_lo, exec_lo, s3
	s_waitcnt lgkmcnt(0)
	s_barrier
	buffer_gl0_inv
	s_and_saveexec_b32 s3, s0
	s_cbranch_execz .LBB136_31
; %bb.30:
	ds_load_b32 v2, v18 offset:176
.LBB136_31:
	s_or_b32 exec_lo, exec_lo, s3
	s_waitcnt lgkmcnt(0)
	ds_bpermute_b32 v4, v7, v2
	s_waitcnt lgkmcnt(0)
	v_add_f32_e32 v2, v2, v4
	ds_bpermute_b32 v4, v8, v2
	s_waitcnt lgkmcnt(0)
	v_add_f32_e32 v2, v2, v4
	v_mov_b32_e32 v4, 0
	ds_bpermute_b32 v2, v4, v2
	s_and_saveexec_b32 s0, s1
	s_cbranch_execz .LBB136_34
; %bb.32:
	s_waitcnt lgkmcnt(0)
	v_add_f32_e32 v4, 0x358637bd, v2
	s_mov_b32 s1, 0
	s_delay_alu instid0(VALU_DEP_1) | instskip(SKIP_1) | instid1(VALU_DEP_2)
	v_div_scale_f32 v5, null, v4, v4, 1.0
	v_div_scale_f32 v8, vcc_lo, 1.0, v4, 1.0
	v_rcp_f32_e32 v6, v5
	s_waitcnt_depctr 0xfff
	v_fma_f32 v7, -v5, v6, 1.0
	s_delay_alu instid0(VALU_DEP_1) | instskip(NEXT) | instid1(VALU_DEP_1)
	v_fmac_f32_e32 v6, v7, v6
	v_mul_f32_e32 v7, v8, v6
	s_delay_alu instid0(VALU_DEP_1) | instskip(NEXT) | instid1(VALU_DEP_1)
	v_fma_f32 v9, -v5, v7, v8
	v_fmac_f32_e32 v7, v9, v6
	s_delay_alu instid0(VALU_DEP_1) | instskip(NEXT) | instid1(VALU_DEP_1)
	v_fma_f32 v5, -v5, v7, v8
	v_div_fmas_f32 v5, v5, v6, v7
	s_delay_alu instid0(VALU_DEP_1)
	v_div_fixup_f32 v4, v5, v4, 1.0
	v_mov_b32_e32 v5, v0
.LBB136_33:                             ; =>This Inner Loop Header: Depth=1
	ds_load_b32 v6, v3
	s_waitcnt lgkmcnt(0)
	v_dual_mul_f32 v6, v4, v6 :: v_dual_add_nc_u32 v5, 0x80, v5
	s_delay_alu instid0(VALU_DEP_1) | instskip(SKIP_3) | instid1(SALU_CYCLE_1)
	v_cmp_le_i32_e32 vcc_lo, s6, v5
	ds_store_b32 v3, v6
	v_add_nc_u32_e32 v3, 0x200, v3
	s_or_b32 s1, vcc_lo, s1
	s_and_not1_b32 exec_lo, exec_lo, s1
	s_cbranch_execnz .LBB136_33
.LBB136_34:
	s_or_b32 exec_lo, exec_lo, s0
	s_mul_i32 s0, s4, s14
	s_mov_b32 s12, 0
	s_mul_i32 s6, s0, s21
	s_mov_b32 s0, exec_lo
	s_waitcnt lgkmcnt(0)
	s_barrier
	buffer_gl0_inv
	v_cmpx_eq_u32_e32 0, v0
	s_cbranch_execz .LBB136_36
; %bb.35:
	s_ashr_i32 s7, s6, 31
	s_mul_i32 s44, s4, s26
	s_lshl_b64 s[42:43], s[6:7], 2
	v_mov_b32_e32 v3, 0
	s_add_u32 s1, s18, s42
	s_addc_u32 s3, s19, s43
	s_ashr_i32 s45, s44, 31
	s_delay_alu instid0(SALU_CYCLE_1) | instskip(NEXT) | instid1(SALU_CYCLE_1)
	s_lshl_b64 s[18:19], s[44:45], 2
	s_add_u32 s1, s1, s18
	s_addc_u32 s3, s3, s19
	s_ashr_i32 s21, s20, 31
	s_delay_alu instid0(SALU_CYCLE_1) | instskip(NEXT) | instid1(SALU_CYCLE_1)
	s_lshl_b64 s[44:45], s[20:21], 2
	s_add_u32 s46, s1, s44
	s_addc_u32 s47, s3, s45
	s_add_u32 s1, s16, s42
	s_addc_u32 s3, s17, s43
	;; [unrolled: 2-line block ×4, first 2 shown]
	s_clause 0x1
	global_store_b32 v3, v1, s[46:47]
	global_store_b32 v3, v2, s[16:17]
.LBB136_36:
	s_or_b32 exec_lo, exec_lo, s0
	s_mov_b32 s13, s12
	s_mov_b32 s14, s12
	v_dual_mov_b32 v9, s12 :: v_dual_mov_b32 v10, s13
	v_mov_b32_e32 v11, s14
	v_or_b32_e32 v19, 64, v17
	s_and_saveexec_b32 s3, s2
	s_cbranch_execz .LBB136_178
; %bb.37:
	s_ashr_i32 s37, s36, 31
	s_sub_i32 s2, s8, s9
	s_lshl_b64 s[0:1], s[36:37], 1
	s_mov_b32 s8, 0
	s_add_u32 s7, s34, s0
	s_addc_u32 s12, s35, s1
	s_abs_i32 s13, s10
	s_mov_b32 s9, s8
	v_cvt_f32_u32_e32 v1, s13
	s_mov_b32 s10, s8
	s_sub_i32 s0, 0, s13
	v_mov_b32_e32 v11, s10
	v_lshlrev_b32_e32 v3, 3, v17
	v_rcp_iflag_f32_e32 v1, v1
	v_lshlrev_b32_e32 v5, 3, v19
	v_mov_b32_e32 v9, s8
	v_cmp_gt_u32_e32 vcc_lo, 0x50, v19
	v_lshl_add_u32 v20, v15, 5, 0xc0
	v_lshlrev_b32_e32 v21, 1, v3
	v_dual_mov_b32 v10, s9 :: v_dual_lshlrev_b32 v23, 1, v5
	s_add_i32 s9, s40, -1
	s_delay_alu instid0(TRANS32_DEP_1) | instskip(NEXT) | instid1(VALU_DEP_1)
	v_mul_f32_e32 v1, 0x4f7ffffe, v1
	v_cvt_u32_f32_e32 v4, v1
	v_lshlrev_b64 v[1:2], 2, v[12:13]
	s_delay_alu instid0(VALU_DEP_2) | instskip(SKIP_1) | instid1(SALU_CYCLE_1)
	v_mul_lo_u32 v6, s0, v4
	s_lshl_b64 s[0:1], s[30:31], 2
	s_add_u32 s0, s28, s0
	s_addc_u32 s1, s29, s1
	s_delay_alu instid0(VALU_DEP_2) | instskip(NEXT) | instid1(VALU_DEP_1)
	v_add_co_u32 v13, s0, s0, v1
	v_add_co_ci_u32_e64 v14, s0, s1, v2, s0
	s_delay_alu instid0(VALU_DEP_3) | instskip(NEXT) | instid1(VALU_DEP_1)
	v_mul_hi_u32 v6, v4, v6
	v_add_nc_u32_e32 v22, v4, v6
	s_branch .LBB136_41
.LBB136_38:                             ;   in Loop: Header=BB136_41 Depth=1
	s_or_b32 exec_lo, exec_lo, s1
	v_and_b32_e32 v6, 0xffff0000, v6
	v_and_b32_e32 v3, 0xffff0000, v3
	s_delay_alu instid0(VALU_DEP_1) | instskip(SKIP_3) | instid1(VALU_DEP_1)
	v_dual_add_f32 v3, v3, v6 :: v_dual_and_b32 v4, 0xffff0000, v4
	v_and_b32_e32 v1, 0xffff0000, v1
	v_and_b32_e32 v2, 0xffff0000, v2
	v_and_b32_e32 v7, 0xffff0000, v7
	v_dual_add_f32 v1, v1, v7 :: v_dual_and_b32 v8, 0xffff0000, v8
	s_delay_alu instid0(VALU_DEP_1) | instskip(NEXT) | instid1(VALU_DEP_1)
	v_add_f32_e32 v2, v2, v8
	v_dual_add_f32 v1, v1, v2 :: v_dual_and_b32 v2, 0xffff0000, v5
	s_delay_alu instid0(VALU_DEP_1) | instskip(NEXT) | instid1(VALU_DEP_1)
	v_dual_add_f32 v1, v1, v3 :: v_dual_add_f32 v2, v4, v2
	v_add_f32_e32 v1, v1, v2
	s_delay_alu instid0(VALU_DEP_1)
	v_add_f32_e32 v11, v11, v1
.LBB136_39:                             ;   in Loop: Header=BB136_41 Depth=1
	s_or_b32 exec_lo, exec_lo, s14
.LBB136_40:                             ;   in Loop: Header=BB136_41 Depth=1
	s_delay_alu instid0(SALU_CYCLE_1) | instskip(SKIP_2) | instid1(VALU_DEP_1)
	s_or_b32 exec_lo, exec_lo, s10
	v_add_nc_u32_e32 v12, 4, v12
	v_add_co_u32 v13, s1, v13, 16
	v_add_co_ci_u32_e64 v14, s1, 0, v14, s1
	s_delay_alu instid0(VALU_DEP_3) | instskip(SKIP_2) | instid1(VALU_DEP_3)
	v_cmp_le_i32_e64 s0, s38, v12
	v_add_nc_u32_e32 v16, 32, v16
	v_add_nc_u32_e32 v20, 0x80, v20
	s_or_b32 s8, s0, s8
	s_delay_alu instid0(SALU_CYCLE_1)
	s_and_not1_b32 exec_lo, exec_lo, s8
	s_cbranch_execz .LBB136_177
.LBB136_41:                             ; =>This Inner Loop Header: Depth=1
	v_sub_nc_u32_e32 v1, 0, v16
	s_delay_alu instid0(VALU_DEP_1) | instskip(NEXT) | instid1(VALU_DEP_1)
	v_max_i32_e32 v1, v16, v1
	v_mul_hi_u32 v2, v1, s27
	s_delay_alu instid0(VALU_DEP_1) | instskip(NEXT) | instid1(VALU_DEP_1)
	v_mul_lo_u32 v3, v2, s23
	v_sub_nc_u32_e32 v1, v1, v3
	v_add_nc_u32_e32 v3, 1, v2
	s_delay_alu instid0(VALU_DEP_2) | instskip(SKIP_1) | instid1(VALU_DEP_1)
	v_subrev_nc_u32_e32 v4, s23, v1
	v_cmp_le_u32_e64 s0, s23, v1
	v_cndmask_b32_e64 v2, v2, v3, s0
	s_delay_alu instid0(VALU_DEP_3) | instskip(SKIP_1) | instid1(VALU_DEP_3)
	v_cndmask_b32_e64 v1, v1, v4, s0
	v_ashrrev_i32_e32 v3, 31, v16
	v_add_nc_u32_e32 v4, 1, v2
	s_delay_alu instid0(VALU_DEP_3) | instskip(NEXT) | instid1(VALU_DEP_3)
	v_cmp_le_u32_e64 s0, s23, v1
	v_xor_b32_e32 v3, s11, v3
	s_delay_alu instid0(VALU_DEP_2) | instskip(NEXT) | instid1(VALU_DEP_1)
	v_cndmask_b32_e64 v1, v2, v4, s0
	v_xor_b32_e32 v1, v1, v3
	s_delay_alu instid0(VALU_DEP_1) | instskip(NEXT) | instid1(VALU_DEP_1)
	v_sub_nc_u32_e32 v1, v1, v3
	v_add_nc_u32_e32 v2, s33, v1
	v_cmp_lt_i32_e64 s1, s2, v1
	s_delay_alu instid0(VALU_DEP_2) | instskip(NEXT) | instid1(VALU_DEP_1)
	v_sub_nc_u32_e32 v3, 0, v2
	v_max_i32_e32 v3, v2, v3
	v_ashrrev_i32_e32 v2, 31, v2
	s_delay_alu instid0(VALU_DEP_2) | instskip(NEXT) | instid1(VALU_DEP_1)
	v_mul_hi_u32 v4, v3, v22
	v_mul_lo_u32 v4, v4, s13
	s_delay_alu instid0(VALU_DEP_1) | instskip(NEXT) | instid1(VALU_DEP_1)
	v_sub_nc_u32_e32 v3, v3, v4
	v_subrev_nc_u32_e32 v4, s13, v3
	v_cmp_le_u32_e64 s0, s13, v3
	s_delay_alu instid0(VALU_DEP_1) | instskip(NEXT) | instid1(VALU_DEP_1)
	v_cndmask_b32_e64 v3, v3, v4, s0
	v_subrev_nc_u32_e32 v4, s13, v3
	v_cmp_le_u32_e64 s0, s13, v3
	s_delay_alu instid0(VALU_DEP_1) | instskip(NEXT) | instid1(VALU_DEP_1)
	v_cndmask_b32_e64 v3, v3, v4, s0
	v_xor_b32_e32 v3, v3, v2
	s_delay_alu instid0(VALU_DEP_1) | instskip(NEXT) | instid1(VALU_DEP_1)
	v_sub_nc_u32_e32 v2, v3, v2
	v_cmp_eq_u32_e64 s0, 0, v2
	s_delay_alu instid0(VALU_DEP_1) | instskip(NEXT) | instid1(SALU_CYCLE_1)
	s_or_b32 s0, s0, s1
	s_and_saveexec_b32 s10, s0
	s_cbranch_execz .LBB136_40
; %bb.42:                               ;   in Loop: Header=BB136_41 Depth=1
	global_load_b32 v32, v[13:14], off
	ds_load_2addr_b64 v[5:8], v20 offset1:1
	ds_load_2addr_b64 v[1:4], v20 offset0:2 offset1:3
	s_waitcnt lgkmcnt(1)
	v_and_b32_e32 v24, 0x7f800000, v5
	s_delay_alu instid0(VALU_DEP_1) | instskip(NEXT) | instid1(VALU_DEP_1)
	v_cmp_ne_u32_e64 s0, 0x7f800000, v24
                                        ; implicit-def: $vgpr24
	s_and_saveexec_b32 s1, s0
	s_delay_alu instid0(SALU_CYCLE_1)
	s_xor_b32 s0, exec_lo, s1
; %bb.43:                               ;   in Loop: Header=BB136_41 Depth=1
	v_bfe_u32 v24, v5, 16, 1
	s_delay_alu instid0(VALU_DEP_1)
	v_add3_u32 v24, v5, v24, 0x7fff
; %bb.44:                               ;   in Loop: Header=BB136_41 Depth=1
	s_and_not1_saveexec_b32 s1, s0
; %bb.45:                               ;   in Loop: Header=BB136_41 Depth=1
	v_and_b32_e32 v24, 0xffff, v5
	v_or_b32_e32 v25, 0x10000, v5
	s_delay_alu instid0(VALU_DEP_2) | instskip(NEXT) | instid1(VALU_DEP_1)
	v_cmp_eq_u32_e64 s0, 0, v24
	v_cndmask_b32_e64 v24, v25, v5, s0
; %bb.46:                               ;   in Loop: Header=BB136_41 Depth=1
	s_or_b32 exec_lo, exec_lo, s1
	v_and_b32_e32 v5, 0x7f800000, v6
                                        ; implicit-def: $vgpr25
	s_delay_alu instid0(VALU_DEP_1) | instskip(NEXT) | instid1(VALU_DEP_1)
	v_cmp_ne_u32_e64 s0, 0x7f800000, v5
	s_and_saveexec_b32 s1, s0
	s_delay_alu instid0(SALU_CYCLE_1)
	s_xor_b32 s0, exec_lo, s1
; %bb.47:                               ;   in Loop: Header=BB136_41 Depth=1
	v_bfe_u32 v5, v6, 16, 1
	s_delay_alu instid0(VALU_DEP_1)
	v_add3_u32 v25, v6, v5, 0x7fff
; %bb.48:                               ;   in Loop: Header=BB136_41 Depth=1
	s_and_not1_saveexec_b32 s1, s0
; %bb.49:                               ;   in Loop: Header=BB136_41 Depth=1
	v_and_b32_e32 v5, 0xffff, v6
	v_or_b32_e32 v25, 0x10000, v6
	s_delay_alu instid0(VALU_DEP_2) | instskip(NEXT) | instid1(VALU_DEP_1)
	v_cmp_eq_u32_e64 s0, 0, v5
	v_cndmask_b32_e64 v25, v25, v6, s0
; %bb.50:                               ;   in Loop: Header=BB136_41 Depth=1
	s_or_b32 exec_lo, exec_lo, s1
	v_and_b32_e32 v5, 0x7f800000, v7
                                        ; implicit-def: $vgpr26
	s_delay_alu instid0(VALU_DEP_1) | instskip(NEXT) | instid1(VALU_DEP_1)
	v_cmp_ne_u32_e64 s0, 0x7f800000, v5
	s_and_saveexec_b32 s1, s0
	s_delay_alu instid0(SALU_CYCLE_1)
	s_xor_b32 s0, exec_lo, s1
; %bb.51:                               ;   in Loop: Header=BB136_41 Depth=1
	v_bfe_u32 v5, v7, 16, 1
	s_delay_alu instid0(VALU_DEP_1)
	v_add3_u32 v26, v7, v5, 0x7fff
; %bb.52:                               ;   in Loop: Header=BB136_41 Depth=1
	s_and_not1_saveexec_b32 s1, s0
; %bb.53:                               ;   in Loop: Header=BB136_41 Depth=1
	v_and_b32_e32 v5, 0xffff, v7
	v_or_b32_e32 v6, 0x10000, v7
	s_delay_alu instid0(VALU_DEP_2) | instskip(NEXT) | instid1(VALU_DEP_1)
	v_cmp_eq_u32_e64 s0, 0, v5
	v_cndmask_b32_e64 v26, v6, v7, s0
; %bb.54:                               ;   in Loop: Header=BB136_41 Depth=1
	s_or_b32 exec_lo, exec_lo, s1
	v_and_b32_e32 v5, 0x7f800000, v8
                                        ; implicit-def: $vgpr27
	s_delay_alu instid0(VALU_DEP_1) | instskip(NEXT) | instid1(VALU_DEP_1)
	v_cmp_ne_u32_e64 s0, 0x7f800000, v5
	s_and_saveexec_b32 s1, s0
	s_delay_alu instid0(SALU_CYCLE_1)
	s_xor_b32 s0, exec_lo, s1
; %bb.55:                               ;   in Loop: Header=BB136_41 Depth=1
	v_bfe_u32 v5, v8, 16, 1
	s_delay_alu instid0(VALU_DEP_1)
	v_add3_u32 v27, v8, v5, 0x7fff
                                        ; implicit-def: $vgpr5_vgpr6_vgpr7_vgpr8
; %bb.56:                               ;   in Loop: Header=BB136_41 Depth=1
	s_and_not1_saveexec_b32 s1, s0
; %bb.57:                               ;   in Loop: Header=BB136_41 Depth=1
	v_and_b32_e32 v5, 0xffff, v8
	v_or_b32_e32 v6, 0x10000, v8
	s_delay_alu instid0(VALU_DEP_2) | instskip(NEXT) | instid1(VALU_DEP_1)
	v_cmp_eq_u32_e64 s0, 0, v5
	v_cndmask_b32_e64 v27, v6, v8, s0
; %bb.58:                               ;   in Loop: Header=BB136_41 Depth=1
	s_or_b32 exec_lo, exec_lo, s1
	s_waitcnt lgkmcnt(0)
	v_and_b32_e32 v5, 0x7f800000, v1
                                        ; implicit-def: $vgpr28
	s_delay_alu instid0(VALU_DEP_1) | instskip(NEXT) | instid1(VALU_DEP_1)
	v_cmp_ne_u32_e64 s0, 0x7f800000, v5
	s_and_saveexec_b32 s1, s0
	s_delay_alu instid0(SALU_CYCLE_1)
	s_xor_b32 s0, exec_lo, s1
; %bb.59:                               ;   in Loop: Header=BB136_41 Depth=1
	v_bfe_u32 v5, v1, 16, 1
	s_delay_alu instid0(VALU_DEP_1)
	v_add3_u32 v28, v1, v5, 0x7fff
; %bb.60:                               ;   in Loop: Header=BB136_41 Depth=1
	s_and_not1_saveexec_b32 s1, s0
; %bb.61:                               ;   in Loop: Header=BB136_41 Depth=1
	v_and_b32_e32 v5, 0xffff, v1
	v_or_b32_e32 v6, 0x10000, v1
	s_delay_alu instid0(VALU_DEP_2) | instskip(NEXT) | instid1(VALU_DEP_1)
	v_cmp_eq_u32_e64 s0, 0, v5
	v_cndmask_b32_e64 v28, v6, v1, s0
; %bb.62:                               ;   in Loop: Header=BB136_41 Depth=1
	s_or_b32 exec_lo, exec_lo, s1
	v_and_b32_e32 v1, 0x7f800000, v2
                                        ; implicit-def: $vgpr29
	s_delay_alu instid0(VALU_DEP_1) | instskip(NEXT) | instid1(VALU_DEP_1)
	v_cmp_ne_u32_e64 s0, 0x7f800000, v1
	s_and_saveexec_b32 s1, s0
	s_delay_alu instid0(SALU_CYCLE_1)
	s_xor_b32 s0, exec_lo, s1
; %bb.63:                               ;   in Loop: Header=BB136_41 Depth=1
	v_bfe_u32 v1, v2, 16, 1
	s_delay_alu instid0(VALU_DEP_1)
	v_add3_u32 v29, v2, v1, 0x7fff
; %bb.64:                               ;   in Loop: Header=BB136_41 Depth=1
	s_and_not1_saveexec_b32 s1, s0
; %bb.65:                               ;   in Loop: Header=BB136_41 Depth=1
	v_and_b32_e32 v1, 0xffff, v2
	v_or_b32_e32 v5, 0x10000, v2
	s_delay_alu instid0(VALU_DEP_2) | instskip(NEXT) | instid1(VALU_DEP_1)
	v_cmp_eq_u32_e64 s0, 0, v1
	v_cndmask_b32_e64 v29, v5, v2, s0
; %bb.66:                               ;   in Loop: Header=BB136_41 Depth=1
	s_or_b32 exec_lo, exec_lo, s1
	v_and_b32_e32 v1, 0x7f800000, v3
                                        ; implicit-def: $vgpr30
	s_delay_alu instid0(VALU_DEP_1) | instskip(NEXT) | instid1(VALU_DEP_1)
	v_cmp_ne_u32_e64 s0, 0x7f800000, v1
	s_and_saveexec_b32 s1, s0
	s_delay_alu instid0(SALU_CYCLE_1)
	s_xor_b32 s0, exec_lo, s1
; %bb.67:                               ;   in Loop: Header=BB136_41 Depth=1
	v_bfe_u32 v1, v3, 16, 1
	s_delay_alu instid0(VALU_DEP_1)
	v_add3_u32 v30, v3, v1, 0x7fff
; %bb.68:                               ;   in Loop: Header=BB136_41 Depth=1
	s_and_not1_saveexec_b32 s1, s0
; %bb.69:                               ;   in Loop: Header=BB136_41 Depth=1
	v_and_b32_e32 v1, 0xffff, v3
	v_or_b32_e32 v2, 0x10000, v3
	s_delay_alu instid0(VALU_DEP_2) | instskip(NEXT) | instid1(VALU_DEP_1)
	v_cmp_eq_u32_e64 s0, 0, v1
	v_cndmask_b32_e64 v30, v2, v3, s0
; %bb.70:                               ;   in Loop: Header=BB136_41 Depth=1
	s_or_b32 exec_lo, exec_lo, s1
	v_and_b32_e32 v1, 0x7f800000, v4
                                        ; implicit-def: $vgpr31
	s_delay_alu instid0(VALU_DEP_1) | instskip(NEXT) | instid1(VALU_DEP_1)
	v_cmp_ne_u32_e64 s0, 0x7f800000, v1
	s_and_saveexec_b32 s1, s0
	s_delay_alu instid0(SALU_CYCLE_1)
	s_xor_b32 s0, exec_lo, s1
; %bb.71:                               ;   in Loop: Header=BB136_41 Depth=1
	v_bfe_u32 v1, v4, 16, 1
	s_delay_alu instid0(VALU_DEP_1)
	v_add3_u32 v31, v4, v1, 0x7fff
                                        ; implicit-def: $vgpr1_vgpr2_vgpr3_vgpr4
; %bb.72:                               ;   in Loop: Header=BB136_41 Depth=1
	s_and_not1_saveexec_b32 s1, s0
; %bb.73:                               ;   in Loop: Header=BB136_41 Depth=1
	v_and_b32_e32 v1, 0xffff, v4
	v_or_b32_e32 v2, 0x10000, v4
	s_delay_alu instid0(VALU_DEP_2) | instskip(NEXT) | instid1(VALU_DEP_1)
	v_cmp_eq_u32_e64 s0, 0, v1
	v_cndmask_b32_e64 v31, v2, v4, s0
; %bb.74:                               ;   in Loop: Header=BB136_41 Depth=1
	s_or_b32 exec_lo, exec_lo, s1
	s_waitcnt vmcnt(0)
	v_mad_i64_i32 v[1:2], null, v32, s5, 0
	s_delay_alu instid0(VALU_DEP_1) | instskip(NEXT) | instid1(VALU_DEP_1)
	v_lshlrev_b64 v[1:2], 1, v[1:2]
	v_add_co_u32 v7, s0, s7, v1
	s_delay_alu instid0(VALU_DEP_1) | instskip(NEXT) | instid1(VALU_DEP_2)
	v_add_co_ci_u32_e64 v8, s0, s12, v2, s0
	v_add_co_u32 v5, s0, v7, v21
	s_delay_alu instid0(VALU_DEP_1)
	v_add_co_ci_u32_e64 v6, s0, 0, v8, s0
	v_cmp_eq_u32_e64 s0, s9, v12
	global_load_b128 v[1:4], v[5:6], off
	s_waitcnt vmcnt(0)
	v_lshrrev_b32_e32 v33, 16, v1
	v_lshrrev_b32_e32 v35, 16, v2
	;; [unrolled: 1-line block ×4, first 2 shown]
	s_and_saveexec_b32 s14, s0
	s_cbranch_execz .LBB136_76
; %bb.75:                               ;   in Loop: Header=BB136_41 Depth=1
	v_add_nc_u32_e32 v32, 1, v16
	v_cmp_gt_i32_e64 s1, s15, v16
	v_add_nc_u32_e32 v34, 2, v16
	v_add_nc_u32_e32 v36, 3, v16
	s_delay_alu instid0(VALU_DEP_3) | instskip(SKIP_2) | instid1(VALU_DEP_2)
	v_cndmask_b32_e64 v1, 0, v1, s1
	v_cmp_gt_i32_e64 s1, s15, v32
	v_add_nc_u32_e32 v32, 4, v16
	v_cndmask_b32_e64 v33, 0, v33, s1
	v_cmp_gt_i32_e64 s1, s15, v34
	v_add_nc_u32_e32 v34, 5, v16
	s_delay_alu instid0(VALU_DEP_2) | instskip(SKIP_2) | instid1(VALU_DEP_2)
	v_cndmask_b32_e64 v2, 0, v2, s1
	v_cmp_gt_i32_e64 s1, s15, v36
	v_add_nc_u32_e32 v36, 6, v16
	v_cndmask_b32_e64 v35, 0, v35, s1
	v_cmp_gt_i32_e64 s1, s15, v32
	v_add_nc_u32_e32 v32, 7, v16
	s_delay_alu instid0(VALU_DEP_2) | instskip(SKIP_1) | instid1(VALU_DEP_1)
	v_cndmask_b32_e64 v3, 0, v3, s1
	v_cmp_gt_i32_e64 s1, s15, v34
	v_cndmask_b32_e64 v37, 0, v37, s1
	v_cmp_gt_i32_e64 s1, s15, v36
	s_delay_alu instid0(VALU_DEP_1) | instskip(SKIP_1) | instid1(VALU_DEP_1)
	v_cndmask_b32_e64 v4, 0, v4, s1
	v_cmp_gt_i32_e64 s1, s15, v32
	v_cndmask_b32_e64 v39, 0, v39, s1
.LBB136_76:                             ;   in Loop: Header=BB136_41 Depth=1
	s_or_b32 exec_lo, exec_lo, s14
	v_and_b32_e32 v24, 0xffff0000, v24
	v_lshlrev_b32_e32 v1, 16, v1
	s_delay_alu instid0(VALU_DEP_1) | instskip(NEXT) | instid1(VALU_DEP_1)
	v_mul_f32_e32 v1, v24, v1
	v_and_b32_e32 v32, 0x7f800000, v1
	s_delay_alu instid0(VALU_DEP_1) | instskip(NEXT) | instid1(VALU_DEP_1)
	v_cmp_ne_u32_e64 s1, 0x7f800000, v32
                                        ; implicit-def: $vgpr32
	s_and_saveexec_b32 s14, s1
	s_delay_alu instid0(SALU_CYCLE_1)
	s_xor_b32 s1, exec_lo, s14
; %bb.77:                               ;   in Loop: Header=BB136_41 Depth=1
	v_bfe_u32 v32, v1, 16, 1
	s_delay_alu instid0(VALU_DEP_1)
	v_add3_u32 v32, v1, v32, 0x7fff
                                        ; implicit-def: $vgpr1
; %bb.78:                               ;   in Loop: Header=BB136_41 Depth=1
	s_and_not1_saveexec_b32 s14, s1
; %bb.79:                               ;   in Loop: Header=BB136_41 Depth=1
	v_and_b32_e32 v32, 0xffff, v1
	v_or_b32_e32 v34, 0x10000, v1
	s_delay_alu instid0(VALU_DEP_2) | instskip(NEXT) | instid1(VALU_DEP_1)
	v_cmp_eq_u32_e64 s1, 0, v32
	v_cndmask_b32_e64 v32, v34, v1, s1
; %bb.80:                               ;   in Loop: Header=BB136_41 Depth=1
	s_or_b32 exec_lo, exec_lo, s14
	v_and_b32_e32 v25, 0xffff0000, v25
	v_lshlrev_b32_e32 v1, 16, v33
	s_delay_alu instid0(VALU_DEP_1) | instskip(NEXT) | instid1(VALU_DEP_1)
	v_mul_f32_e32 v1, v25, v1
	v_and_b32_e32 v33, 0x7f800000, v1
	s_delay_alu instid0(VALU_DEP_1) | instskip(NEXT) | instid1(VALU_DEP_1)
	v_cmp_ne_u32_e64 s1, 0x7f800000, v33
                                        ; implicit-def: $vgpr33
	s_and_saveexec_b32 s14, s1
	s_delay_alu instid0(SALU_CYCLE_1)
	s_xor_b32 s1, exec_lo, s14
; %bb.81:                               ;   in Loop: Header=BB136_41 Depth=1
	v_bfe_u32 v33, v1, 16, 1
	s_delay_alu instid0(VALU_DEP_1)
	v_add3_u32 v33, v1, v33, 0x7fff
                                        ; implicit-def: $vgpr1
; %bb.82:                               ;   in Loop: Header=BB136_41 Depth=1
	s_and_not1_saveexec_b32 s14, s1
; %bb.83:                               ;   in Loop: Header=BB136_41 Depth=1
	v_and_b32_e32 v33, 0xffff, v1
	v_or_b32_e32 v34, 0x10000, v1
	s_delay_alu instid0(VALU_DEP_2) | instskip(NEXT) | instid1(VALU_DEP_1)
	v_cmp_eq_u32_e64 s1, 0, v33
	v_cndmask_b32_e64 v33, v34, v1, s1
; %bb.84:                               ;   in Loop: Header=BB136_41 Depth=1
	s_or_b32 exec_lo, exec_lo, s14
	v_and_b32_e32 v26, 0xffff0000, v26
	v_lshlrev_b32_e32 v1, 16, v2
                                        ; implicit-def: $vgpr34
	s_delay_alu instid0(VALU_DEP_1) | instskip(NEXT) | instid1(VALU_DEP_1)
	v_mul_f32_e32 v1, v26, v1
	v_and_b32_e32 v2, 0x7f800000, v1
	s_delay_alu instid0(VALU_DEP_1) | instskip(NEXT) | instid1(VALU_DEP_1)
	v_cmp_ne_u32_e64 s1, 0x7f800000, v2
	s_and_saveexec_b32 s14, s1
	s_delay_alu instid0(SALU_CYCLE_1)
	s_xor_b32 s1, exec_lo, s14
; %bb.85:                               ;   in Loop: Header=BB136_41 Depth=1
	v_bfe_u32 v2, v1, 16, 1
	s_delay_alu instid0(VALU_DEP_1)
	v_add3_u32 v34, v1, v2, 0x7fff
                                        ; implicit-def: $vgpr1
; %bb.86:                               ;   in Loop: Header=BB136_41 Depth=1
	s_and_not1_saveexec_b32 s14, s1
; %bb.87:                               ;   in Loop: Header=BB136_41 Depth=1
	v_and_b32_e32 v2, 0xffff, v1
	v_or_b32_e32 v34, 0x10000, v1
	s_delay_alu instid0(VALU_DEP_2) | instskip(NEXT) | instid1(VALU_DEP_1)
	v_cmp_eq_u32_e64 s1, 0, v2
	v_cndmask_b32_e64 v34, v34, v1, s1
; %bb.88:                               ;   in Loop: Header=BB136_41 Depth=1
	s_or_b32 exec_lo, exec_lo, s14
	v_and_b32_e32 v27, 0xffff0000, v27
	v_lshlrev_b32_e32 v1, 16, v35
                                        ; implicit-def: $vgpr35
	s_delay_alu instid0(VALU_DEP_1) | instskip(NEXT) | instid1(VALU_DEP_1)
	v_mul_f32_e32 v1, v27, v1
	v_and_b32_e32 v2, 0x7f800000, v1
	s_delay_alu instid0(VALU_DEP_1) | instskip(NEXT) | instid1(VALU_DEP_1)
	v_cmp_ne_u32_e64 s1, 0x7f800000, v2
	s_and_saveexec_b32 s14, s1
	s_delay_alu instid0(SALU_CYCLE_1)
	s_xor_b32 s1, exec_lo, s14
; %bb.89:                               ;   in Loop: Header=BB136_41 Depth=1
	v_bfe_u32 v2, v1, 16, 1
	s_delay_alu instid0(VALU_DEP_1)
	v_add3_u32 v35, v1, v2, 0x7fff
                                        ; implicit-def: $vgpr1
; %bb.90:                               ;   in Loop: Header=BB136_41 Depth=1
	s_and_not1_saveexec_b32 s14, s1
; %bb.91:                               ;   in Loop: Header=BB136_41 Depth=1
	v_and_b32_e32 v2, 0xffff, v1
	v_or_b32_e32 v35, 0x10000, v1
	s_delay_alu instid0(VALU_DEP_2) | instskip(NEXT) | instid1(VALU_DEP_1)
	v_cmp_eq_u32_e64 s1, 0, v2
	v_cndmask_b32_e64 v35, v35, v1, s1
; %bb.92:                               ;   in Loop: Header=BB136_41 Depth=1
	s_or_b32 exec_lo, exec_lo, s14
	v_and_b32_e32 v28, 0xffff0000, v28
	v_lshlrev_b32_e32 v1, 16, v3
                                        ; implicit-def: $vgpr36
	s_delay_alu instid0(VALU_DEP_1) | instskip(NEXT) | instid1(VALU_DEP_1)
	v_mul_f32_e32 v1, v28, v1
	v_and_b32_e32 v2, 0x7f800000, v1
	s_delay_alu instid0(VALU_DEP_1) | instskip(NEXT) | instid1(VALU_DEP_1)
	v_cmp_ne_u32_e64 s1, 0x7f800000, v2
	s_and_saveexec_b32 s14, s1
	s_delay_alu instid0(SALU_CYCLE_1)
	s_xor_b32 s1, exec_lo, s14
; %bb.93:                               ;   in Loop: Header=BB136_41 Depth=1
	v_bfe_u32 v2, v1, 16, 1
	s_delay_alu instid0(VALU_DEP_1)
	v_add3_u32 v36, v1, v2, 0x7fff
                                        ; implicit-def: $vgpr1
; %bb.94:                               ;   in Loop: Header=BB136_41 Depth=1
	s_and_not1_saveexec_b32 s14, s1
; %bb.95:                               ;   in Loop: Header=BB136_41 Depth=1
	v_and_b32_e32 v2, 0xffff, v1
	v_or_b32_e32 v3, 0x10000, v1
	s_delay_alu instid0(VALU_DEP_2) | instskip(NEXT) | instid1(VALU_DEP_1)
	v_cmp_eq_u32_e64 s1, 0, v2
	v_cndmask_b32_e64 v36, v3, v1, s1
; %bb.96:                               ;   in Loop: Header=BB136_41 Depth=1
	s_or_b32 exec_lo, exec_lo, s14
	v_and_b32_e32 v29, 0xffff0000, v29
	v_lshlrev_b32_e32 v1, 16, v37
                                        ; implicit-def: $vgpr37
	s_delay_alu instid0(VALU_DEP_1) | instskip(NEXT) | instid1(VALU_DEP_1)
	v_mul_f32_e32 v1, v29, v1
	v_and_b32_e32 v2, 0x7f800000, v1
	s_delay_alu instid0(VALU_DEP_1) | instskip(NEXT) | instid1(VALU_DEP_1)
	v_cmp_ne_u32_e64 s1, 0x7f800000, v2
	s_and_saveexec_b32 s14, s1
	s_delay_alu instid0(SALU_CYCLE_1)
	s_xor_b32 s1, exec_lo, s14
; %bb.97:                               ;   in Loop: Header=BB136_41 Depth=1
	v_bfe_u32 v2, v1, 16, 1
	s_delay_alu instid0(VALU_DEP_1)
	v_add3_u32 v37, v1, v2, 0x7fff
                                        ; implicit-def: $vgpr1
; %bb.98:                               ;   in Loop: Header=BB136_41 Depth=1
	s_and_not1_saveexec_b32 s14, s1
; %bb.99:                               ;   in Loop: Header=BB136_41 Depth=1
	v_and_b32_e32 v2, 0xffff, v1
	v_or_b32_e32 v3, 0x10000, v1
	s_delay_alu instid0(VALU_DEP_2) | instskip(NEXT) | instid1(VALU_DEP_1)
	v_cmp_eq_u32_e64 s1, 0, v2
	v_cndmask_b32_e64 v37, v3, v1, s1
; %bb.100:                              ;   in Loop: Header=BB136_41 Depth=1
	s_or_b32 exec_lo, exec_lo, s14
	v_and_b32_e32 v30, 0xffff0000, v30
	v_lshlrev_b32_e32 v1, 16, v4
                                        ; implicit-def: $vgpr38
	s_delay_alu instid0(VALU_DEP_1) | instskip(NEXT) | instid1(VALU_DEP_1)
	v_mul_f32_e32 v1, v30, v1
	v_and_b32_e32 v2, 0x7f800000, v1
	s_delay_alu instid0(VALU_DEP_1) | instskip(NEXT) | instid1(VALU_DEP_1)
	v_cmp_ne_u32_e64 s1, 0x7f800000, v2
	s_and_saveexec_b32 s14, s1
	s_delay_alu instid0(SALU_CYCLE_1)
	s_xor_b32 s1, exec_lo, s14
; %bb.101:                              ;   in Loop: Header=BB136_41 Depth=1
	v_bfe_u32 v2, v1, 16, 1
	s_delay_alu instid0(VALU_DEP_1)
	v_add3_u32 v38, v1, v2, 0x7fff
                                        ; implicit-def: $vgpr1
; %bb.102:                              ;   in Loop: Header=BB136_41 Depth=1
	s_and_not1_saveexec_b32 s14, s1
; %bb.103:                              ;   in Loop: Header=BB136_41 Depth=1
	v_and_b32_e32 v2, 0xffff, v1
	v_or_b32_e32 v3, 0x10000, v1
	s_delay_alu instid0(VALU_DEP_2) | instskip(NEXT) | instid1(VALU_DEP_1)
	v_cmp_eq_u32_e64 s1, 0, v2
	v_cndmask_b32_e64 v38, v3, v1, s1
; %bb.104:                              ;   in Loop: Header=BB136_41 Depth=1
	s_or_b32 exec_lo, exec_lo, s14
	v_and_b32_e32 v31, 0xffff0000, v31
	v_lshlrev_b32_e32 v1, 16, v39
                                        ; implicit-def: $vgpr39
	s_delay_alu instid0(VALU_DEP_1) | instskip(NEXT) | instid1(VALU_DEP_1)
	v_mul_f32_e32 v1, v31, v1
	v_and_b32_e32 v2, 0x7f800000, v1
	s_delay_alu instid0(VALU_DEP_1) | instskip(NEXT) | instid1(VALU_DEP_1)
	v_cmp_ne_u32_e64 s1, 0x7f800000, v2
	s_and_saveexec_b32 s14, s1
	s_delay_alu instid0(SALU_CYCLE_1)
	s_xor_b32 s1, exec_lo, s14
; %bb.105:                              ;   in Loop: Header=BB136_41 Depth=1
	v_bfe_u32 v2, v1, 16, 1
	s_delay_alu instid0(VALU_DEP_1)
	v_add3_u32 v39, v1, v2, 0x7fff
                                        ; implicit-def: $vgpr1
; %bb.106:                              ;   in Loop: Header=BB136_41 Depth=1
	s_and_not1_saveexec_b32 s14, s1
; %bb.107:                              ;   in Loop: Header=BB136_41 Depth=1
	v_and_b32_e32 v2, 0xffff, v1
	v_or_b32_e32 v3, 0x10000, v1
	s_delay_alu instid0(VALU_DEP_2) | instskip(NEXT) | instid1(VALU_DEP_1)
	v_cmp_eq_u32_e64 s1, 0, v2
	v_cndmask_b32_e64 v39, v3, v1, s1
; %bb.108:                              ;   in Loop: Header=BB136_41 Depth=1
	s_or_b32 exec_lo, exec_lo, s14
	global_load_b128 v[1:4], v[5:6], off offset:512
	s_waitcnt vmcnt(0)
	v_lshrrev_b32_e32 v6, 16, v1
	v_lshrrev_b32_e32 v41, 16, v2
	;; [unrolled: 1-line block ×4, first 2 shown]
	s_and_saveexec_b32 s14, s0
	s_cbranch_execz .LBB136_110
; %bb.109:                              ;   in Loop: Header=BB136_41 Depth=1
	v_add_nc_u32_e32 v42, 1, v16
	v_cmp_gt_i32_e64 s1, s15, v16
	v_add_nc_u32_e32 v43, 2, v16
	v_add_nc_u32_e32 v44, 3, v16
	s_delay_alu instid0(VALU_DEP_3) | instskip(SKIP_2) | instid1(VALU_DEP_2)
	v_cndmask_b32_e64 v1, 0, v1, s1
	v_cmp_gt_i32_e64 s1, s15, v42
	v_add_nc_u32_e32 v42, 4, v16
	v_cndmask_b32_e64 v6, 0, v6, s1
	v_cmp_gt_i32_e64 s1, s15, v43
	v_add_nc_u32_e32 v43, 5, v16
	s_delay_alu instid0(VALU_DEP_2) | instskip(SKIP_2) | instid1(VALU_DEP_2)
	v_cndmask_b32_e64 v2, 0, v2, s1
	v_cmp_gt_i32_e64 s1, s15, v44
	v_add_nc_u32_e32 v44, 6, v16
	v_cndmask_b32_e64 v41, 0, v41, s1
	v_cmp_gt_i32_e64 s1, s15, v42
	v_add_nc_u32_e32 v42, 7, v16
	s_delay_alu instid0(VALU_DEP_2) | instskip(SKIP_1) | instid1(VALU_DEP_1)
	v_cndmask_b32_e64 v3, 0, v3, s1
	v_cmp_gt_i32_e64 s1, s15, v43
	v_cndmask_b32_e64 v40, 0, v40, s1
	v_cmp_gt_i32_e64 s1, s15, v44
	s_delay_alu instid0(VALU_DEP_1) | instskip(SKIP_1) | instid1(VALU_DEP_1)
	v_cndmask_b32_e64 v4, 0, v4, s1
	v_cmp_gt_i32_e64 s1, s15, v42
	v_cndmask_b32_e64 v5, 0, v5, s1
.LBB136_110:                            ;   in Loop: Header=BB136_41 Depth=1
	s_or_b32 exec_lo, exec_lo, s14
	v_lshlrev_b32_e32 v1, 16, v1
	s_delay_alu instid0(VALU_DEP_1) | instskip(NEXT) | instid1(VALU_DEP_1)
	v_mul_f32_e32 v42, v24, v1
	v_and_b32_e32 v1, 0x7f800000, v42
	s_delay_alu instid0(VALU_DEP_1) | instskip(NEXT) | instid1(VALU_DEP_1)
	v_cmp_ne_u32_e64 s1, 0x7f800000, v1
                                        ; implicit-def: $vgpr1
	s_and_saveexec_b32 s14, s1
	s_delay_alu instid0(SALU_CYCLE_1)
	s_xor_b32 s1, exec_lo, s14
; %bb.111:                              ;   in Loop: Header=BB136_41 Depth=1
	v_bfe_u32 v1, v42, 16, 1
	s_delay_alu instid0(VALU_DEP_1)
	v_add3_u32 v1, v42, v1, 0x7fff
                                        ; implicit-def: $vgpr42
; %bb.112:                              ;   in Loop: Header=BB136_41 Depth=1
	s_and_not1_saveexec_b32 s14, s1
; %bb.113:                              ;   in Loop: Header=BB136_41 Depth=1
	v_and_b32_e32 v1, 0xffff, v42
	v_or_b32_e32 v43, 0x10000, v42
	s_delay_alu instid0(VALU_DEP_2) | instskip(NEXT) | instid1(VALU_DEP_1)
	v_cmp_eq_u32_e64 s1, 0, v1
	v_cndmask_b32_e64 v1, v43, v42, s1
; %bb.114:                              ;   in Loop: Header=BB136_41 Depth=1
	s_or_b32 exec_lo, exec_lo, s14
	v_lshlrev_b32_e32 v6, 16, v6
	s_delay_alu instid0(VALU_DEP_1) | instskip(NEXT) | instid1(VALU_DEP_1)
	v_mul_f32_e32 v42, v25, v6
	v_and_b32_e32 v6, 0x7f800000, v42
	s_delay_alu instid0(VALU_DEP_1) | instskip(NEXT) | instid1(VALU_DEP_1)
	v_cmp_ne_u32_e64 s1, 0x7f800000, v6
                                        ; implicit-def: $vgpr6
	s_and_saveexec_b32 s14, s1
	s_delay_alu instid0(SALU_CYCLE_1)
	s_xor_b32 s1, exec_lo, s14
; %bb.115:                              ;   in Loop: Header=BB136_41 Depth=1
	v_bfe_u32 v6, v42, 16, 1
	s_delay_alu instid0(VALU_DEP_1)
	v_add3_u32 v6, v42, v6, 0x7fff
                                        ; implicit-def: $vgpr42
; %bb.116:                              ;   in Loop: Header=BB136_41 Depth=1
	s_and_not1_saveexec_b32 s14, s1
; %bb.117:                              ;   in Loop: Header=BB136_41 Depth=1
	v_and_b32_e32 v6, 0xffff, v42
	v_or_b32_e32 v43, 0x10000, v42
	s_delay_alu instid0(VALU_DEP_2) | instskip(NEXT) | instid1(VALU_DEP_1)
	v_cmp_eq_u32_e64 s1, 0, v6
	v_cndmask_b32_e64 v6, v43, v42, s1
; %bb.118:                              ;   in Loop: Header=BB136_41 Depth=1
	s_or_b32 exec_lo, exec_lo, s14
	v_lshlrev_b32_e32 v2, 16, v2
	s_delay_alu instid0(VALU_DEP_1) | instskip(NEXT) | instid1(VALU_DEP_1)
	v_mul_f32_e32 v42, v26, v2
	v_and_b32_e32 v2, 0x7f800000, v42
	s_delay_alu instid0(VALU_DEP_1) | instskip(NEXT) | instid1(VALU_DEP_1)
	v_cmp_ne_u32_e64 s1, 0x7f800000, v2
                                        ; implicit-def: $vgpr2
	s_and_saveexec_b32 s14, s1
	s_delay_alu instid0(SALU_CYCLE_1)
	s_xor_b32 s1, exec_lo, s14
; %bb.119:                              ;   in Loop: Header=BB136_41 Depth=1
	v_bfe_u32 v2, v42, 16, 1
	s_delay_alu instid0(VALU_DEP_1)
	v_add3_u32 v2, v42, v2, 0x7fff
                                        ; implicit-def: $vgpr42
; %bb.120:                              ;   in Loop: Header=BB136_41 Depth=1
	s_and_not1_saveexec_b32 s14, s1
; %bb.121:                              ;   in Loop: Header=BB136_41 Depth=1
	v_and_b32_e32 v2, 0xffff, v42
	v_or_b32_e32 v43, 0x10000, v42
	s_delay_alu instid0(VALU_DEP_2) | instskip(NEXT) | instid1(VALU_DEP_1)
	v_cmp_eq_u32_e64 s1, 0, v2
	v_cndmask_b32_e64 v2, v43, v42, s1
; %bb.122:                              ;   in Loop: Header=BB136_41 Depth=1
	s_or_b32 exec_lo, exec_lo, s14
	v_lshlrev_b32_e32 v41, 16, v41
	s_delay_alu instid0(VALU_DEP_1) | instskip(NEXT) | instid1(VALU_DEP_1)
	v_mul_f32_e32 v42, v27, v41
	v_and_b32_e32 v41, 0x7f800000, v42
	s_delay_alu instid0(VALU_DEP_1) | instskip(NEXT) | instid1(VALU_DEP_1)
	v_cmp_ne_u32_e64 s1, 0x7f800000, v41
                                        ; implicit-def: $vgpr41
	s_and_saveexec_b32 s14, s1
	s_delay_alu instid0(SALU_CYCLE_1)
	s_xor_b32 s1, exec_lo, s14
; %bb.123:                              ;   in Loop: Header=BB136_41 Depth=1
	v_bfe_u32 v41, v42, 16, 1
	s_delay_alu instid0(VALU_DEP_1)
	v_add3_u32 v41, v42, v41, 0x7fff
                                        ; implicit-def: $vgpr42
; %bb.124:                              ;   in Loop: Header=BB136_41 Depth=1
	s_and_not1_saveexec_b32 s14, s1
; %bb.125:                              ;   in Loop: Header=BB136_41 Depth=1
	v_and_b32_e32 v41, 0xffff, v42
	v_or_b32_e32 v43, 0x10000, v42
	s_delay_alu instid0(VALU_DEP_2) | instskip(NEXT) | instid1(VALU_DEP_1)
	v_cmp_eq_u32_e64 s1, 0, v41
	v_cndmask_b32_e64 v41, v43, v42, s1
; %bb.126:                              ;   in Loop: Header=BB136_41 Depth=1
	s_or_b32 exec_lo, exec_lo, s14
	v_lshlrev_b32_e32 v3, 16, v3
	s_delay_alu instid0(VALU_DEP_1) | instskip(NEXT) | instid1(VALU_DEP_1)
	v_mul_f32_e32 v42, v28, v3
	v_and_b32_e32 v3, 0x7f800000, v42
	s_delay_alu instid0(VALU_DEP_1) | instskip(NEXT) | instid1(VALU_DEP_1)
	v_cmp_ne_u32_e64 s1, 0x7f800000, v3
                                        ; implicit-def: $vgpr3
	s_and_saveexec_b32 s14, s1
	s_delay_alu instid0(SALU_CYCLE_1)
	s_xor_b32 s1, exec_lo, s14
; %bb.127:                              ;   in Loop: Header=BB136_41 Depth=1
	v_bfe_u32 v3, v42, 16, 1
	s_delay_alu instid0(VALU_DEP_1)
	v_add3_u32 v3, v42, v3, 0x7fff
                                        ; implicit-def: $vgpr42
; %bb.128:                              ;   in Loop: Header=BB136_41 Depth=1
	s_and_not1_saveexec_b32 s14, s1
; %bb.129:                              ;   in Loop: Header=BB136_41 Depth=1
	v_and_b32_e32 v3, 0xffff, v42
	v_or_b32_e32 v43, 0x10000, v42
	s_delay_alu instid0(VALU_DEP_2) | instskip(NEXT) | instid1(VALU_DEP_1)
	v_cmp_eq_u32_e64 s1, 0, v3
	v_cndmask_b32_e64 v3, v43, v42, s1
; %bb.130:                              ;   in Loop: Header=BB136_41 Depth=1
	s_or_b32 exec_lo, exec_lo, s14
	v_lshlrev_b32_e32 v40, 16, v40
	s_delay_alu instid0(VALU_DEP_1) | instskip(NEXT) | instid1(VALU_DEP_1)
	v_mul_f32_e32 v42, v29, v40
	v_and_b32_e32 v40, 0x7f800000, v42
	s_delay_alu instid0(VALU_DEP_1) | instskip(NEXT) | instid1(VALU_DEP_1)
	v_cmp_ne_u32_e64 s1, 0x7f800000, v40
                                        ; implicit-def: $vgpr40
	s_and_saveexec_b32 s14, s1
	s_delay_alu instid0(SALU_CYCLE_1)
	s_xor_b32 s1, exec_lo, s14
; %bb.131:                              ;   in Loop: Header=BB136_41 Depth=1
	v_bfe_u32 v40, v42, 16, 1
	s_delay_alu instid0(VALU_DEP_1)
	v_add3_u32 v40, v42, v40, 0x7fff
                                        ; implicit-def: $vgpr42
; %bb.132:                              ;   in Loop: Header=BB136_41 Depth=1
	s_and_not1_saveexec_b32 s14, s1
; %bb.133:                              ;   in Loop: Header=BB136_41 Depth=1
	v_and_b32_e32 v40, 0xffff, v42
	v_or_b32_e32 v43, 0x10000, v42
	s_delay_alu instid0(VALU_DEP_2) | instskip(NEXT) | instid1(VALU_DEP_1)
	v_cmp_eq_u32_e64 s1, 0, v40
	v_cndmask_b32_e64 v40, v43, v42, s1
; %bb.134:                              ;   in Loop: Header=BB136_41 Depth=1
	s_or_b32 exec_lo, exec_lo, s14
	v_lshlrev_b32_e32 v4, 16, v4
	s_delay_alu instid0(VALU_DEP_1) | instskip(NEXT) | instid1(VALU_DEP_1)
	v_mul_f32_e32 v42, v30, v4
	v_and_b32_e32 v4, 0x7f800000, v42
	s_delay_alu instid0(VALU_DEP_1) | instskip(NEXT) | instid1(VALU_DEP_1)
	v_cmp_ne_u32_e64 s1, 0x7f800000, v4
                                        ; implicit-def: $vgpr4
	s_and_saveexec_b32 s14, s1
	s_delay_alu instid0(SALU_CYCLE_1)
	s_xor_b32 s1, exec_lo, s14
; %bb.135:                              ;   in Loop: Header=BB136_41 Depth=1
	v_bfe_u32 v4, v42, 16, 1
	s_delay_alu instid0(VALU_DEP_1)
	v_add3_u32 v4, v42, v4, 0x7fff
                                        ; implicit-def: $vgpr42
; %bb.136:                              ;   in Loop: Header=BB136_41 Depth=1
	s_and_not1_saveexec_b32 s14, s1
; %bb.137:                              ;   in Loop: Header=BB136_41 Depth=1
	v_and_b32_e32 v4, 0xffff, v42
	v_or_b32_e32 v43, 0x10000, v42
	s_delay_alu instid0(VALU_DEP_2) | instskip(NEXT) | instid1(VALU_DEP_1)
	v_cmp_eq_u32_e64 s1, 0, v4
	v_cndmask_b32_e64 v4, v43, v42, s1
; %bb.138:                              ;   in Loop: Header=BB136_41 Depth=1
	s_or_b32 exec_lo, exec_lo, s14
	v_lshlrev_b32_e32 v5, 16, v5
	s_delay_alu instid0(VALU_DEP_1) | instskip(NEXT) | instid1(VALU_DEP_1)
	v_mul_f32_e32 v42, v31, v5
	v_and_b32_e32 v5, 0x7f800000, v42
	s_delay_alu instid0(VALU_DEP_1) | instskip(NEXT) | instid1(VALU_DEP_1)
	v_cmp_ne_u32_e64 s1, 0x7f800000, v5
                                        ; implicit-def: $vgpr5
	s_and_saveexec_b32 s14, s1
	s_delay_alu instid0(SALU_CYCLE_1)
	s_xor_b32 s1, exec_lo, s14
; %bb.139:                              ;   in Loop: Header=BB136_41 Depth=1
	v_bfe_u32 v5, v42, 16, 1
	s_delay_alu instid0(VALU_DEP_1)
	v_add3_u32 v5, v42, v5, 0x7fff
                                        ; implicit-def: $vgpr42
; %bb.140:                              ;   in Loop: Header=BB136_41 Depth=1
	s_and_not1_saveexec_b32 s14, s1
; %bb.141:                              ;   in Loop: Header=BB136_41 Depth=1
	v_and_b32_e32 v5, 0xffff, v42
	v_or_b32_e32 v43, 0x10000, v42
	s_delay_alu instid0(VALU_DEP_2) | instskip(NEXT) | instid1(VALU_DEP_1)
	v_cmp_eq_u32_e64 s1, 0, v5
	v_cndmask_b32_e64 v5, v43, v42, s1
; %bb.142:                              ;   in Loop: Header=BB136_41 Depth=1
	s_or_b32 exec_lo, exec_lo, s14
	v_and_b32_e32 v6, 0xffff0000, v6
	v_and_b32_e32 v1, 0xffff0000, v1
	;; [unrolled: 1-line block ×6, first 2 shown]
	v_dual_add_f32 v1, v1, v6 :: v_dual_and_b32 v32, 0xffff0000, v32
	v_and_b32_e32 v38, 0xffff0000, v38
	s_delay_alu instid0(VALU_DEP_4) | instskip(SKIP_2) | instid1(VALU_DEP_2)
	v_dual_add_f32 v2, v2, v41 :: v_dual_and_b32 v39, 0xffff0000, v39
	v_and_b32_e32 v33, 0xffff0000, v33
	v_and_b32_e32 v35, 0xffff0000, v35
	v_dual_add_f32 v1, v1, v2 :: v_dual_add_f32 v32, v32, v33
	s_delay_alu instid0(VALU_DEP_2) | instskip(SKIP_1) | instid1(VALU_DEP_2)
	v_dual_add_f32 v33, v34, v35 :: v_dual_and_b32 v36, 0xffff0000, v36
	v_and_b32_e32 v34, 0xffff0000, v40
	v_dual_add_f32 v6, v32, v33 :: v_dual_and_b32 v3, 0xffff0000, v3
	s_delay_alu instid0(VALU_DEP_1) | instskip(SKIP_1) | instid1(VALU_DEP_2)
	v_dual_add_f32 v2, v3, v34 :: v_dual_and_b32 v37, 0xffff0000, v37
	v_and_b32_e32 v3, 0xffff0000, v5
	v_dual_add_f32 v32, v36, v37 :: v_dual_add_f32 v1, v1, v2
	s_delay_alu instid0(VALU_DEP_1) | instskip(NEXT) | instid1(VALU_DEP_1)
	v_dual_add_f32 v2, v4, v3 :: v_dual_add_f32 v5, v6, v32
	v_dual_add_f32 v6, v38, v39 :: v_dual_add_f32 v1, v1, v2
	s_delay_alu instid0(VALU_DEP_1) | instskip(NEXT) | instid1(VALU_DEP_1)
	v_dual_add_f32 v3, v5, v6 :: v_dual_add_f32 v10, v10, v1
	v_add_f32_e32 v9, v9, v3
	s_and_saveexec_b32 s14, vcc_lo
	s_cbranch_execz .LBB136_39
; %bb.143:                              ;   in Loop: Header=BB136_41 Depth=1
	v_add_co_u32 v1, s1, v7, v23
	s_delay_alu instid0(VALU_DEP_1)
	v_add_co_ci_u32_e64 v2, s1, 0, v8, s1
	global_load_b128 v[1:4], v[1:2], off
	s_waitcnt vmcnt(0)
	v_lshrrev_b32_e32 v7, 16, v1
	v_lshrrev_b32_e32 v8, 16, v2
	;; [unrolled: 1-line block ×4, first 2 shown]
	s_and_saveexec_b32 s1, s0
	s_cbranch_execz .LBB136_145
; %bb.144:                              ;   in Loop: Header=BB136_41 Depth=1
	v_add_nc_u32_e32 v32, 1, v16
	v_cmp_gt_i32_e64 s0, s15, v16
	v_add_nc_u32_e32 v33, 2, v16
	v_add_nc_u32_e32 v34, 3, v16
	s_delay_alu instid0(VALU_DEP_3) | instskip(SKIP_2) | instid1(VALU_DEP_2)
	v_cndmask_b32_e64 v1, 0, v1, s0
	v_cmp_gt_i32_e64 s0, s15, v32
	v_add_nc_u32_e32 v32, 4, v16
	v_cndmask_b32_e64 v7, 0, v7, s0
	v_cmp_gt_i32_e64 s0, s15, v33
	v_add_nc_u32_e32 v33, 5, v16
	s_delay_alu instid0(VALU_DEP_2) | instskip(SKIP_2) | instid1(VALU_DEP_2)
	v_cndmask_b32_e64 v2, 0, v2, s0
	v_cmp_gt_i32_e64 s0, s15, v34
	v_add_nc_u32_e32 v34, 6, v16
	v_cndmask_b32_e64 v8, 0, v8, s0
	v_cmp_gt_i32_e64 s0, s15, v32
	v_add_nc_u32_e32 v32, 7, v16
	s_delay_alu instid0(VALU_DEP_2) | instskip(SKIP_1) | instid1(VALU_DEP_1)
	v_cndmask_b32_e64 v3, 0, v3, s0
	v_cmp_gt_i32_e64 s0, s15, v33
	v_cndmask_b32_e64 v6, 0, v6, s0
	v_cmp_gt_i32_e64 s0, s15, v34
	s_delay_alu instid0(VALU_DEP_1) | instskip(SKIP_1) | instid1(VALU_DEP_1)
	v_cndmask_b32_e64 v4, 0, v4, s0
	v_cmp_gt_i32_e64 s0, s15, v32
	v_cndmask_b32_e64 v5, 0, v5, s0
.LBB136_145:                            ;   in Loop: Header=BB136_41 Depth=1
	s_or_b32 exec_lo, exec_lo, s1
	v_lshlrev_b32_e32 v1, 16, v1
	s_delay_alu instid0(VALU_DEP_1) | instskip(NEXT) | instid1(VALU_DEP_1)
	v_mul_f32_e32 v24, v24, v1
	v_and_b32_e32 v1, 0x7f800000, v24
	s_delay_alu instid0(VALU_DEP_1) | instskip(NEXT) | instid1(VALU_DEP_1)
	v_cmp_ne_u32_e64 s0, 0x7f800000, v1
                                        ; implicit-def: $vgpr1
	s_and_saveexec_b32 s1, s0
	s_delay_alu instid0(SALU_CYCLE_1)
	s_xor_b32 s0, exec_lo, s1
; %bb.146:                              ;   in Loop: Header=BB136_41 Depth=1
	v_bfe_u32 v1, v24, 16, 1
	s_delay_alu instid0(VALU_DEP_1)
	v_add3_u32 v1, v24, v1, 0x7fff
                                        ; implicit-def: $vgpr24
; %bb.147:                              ;   in Loop: Header=BB136_41 Depth=1
	s_and_not1_saveexec_b32 s1, s0
; %bb.148:                              ;   in Loop: Header=BB136_41 Depth=1
	v_and_b32_e32 v1, 0xffff, v24
	v_or_b32_e32 v32, 0x10000, v24
	s_delay_alu instid0(VALU_DEP_2) | instskip(NEXT) | instid1(VALU_DEP_1)
	v_cmp_eq_u32_e64 s0, 0, v1
	v_cndmask_b32_e64 v1, v32, v24, s0
; %bb.149:                              ;   in Loop: Header=BB136_41 Depth=1
	s_or_b32 exec_lo, exec_lo, s1
	v_lshlrev_b32_e32 v7, 16, v7
	s_delay_alu instid0(VALU_DEP_1) | instskip(NEXT) | instid1(VALU_DEP_1)
	v_mul_f32_e32 v24, v25, v7
	v_and_b32_e32 v7, 0x7f800000, v24
	s_delay_alu instid0(VALU_DEP_1) | instskip(NEXT) | instid1(VALU_DEP_1)
	v_cmp_ne_u32_e64 s0, 0x7f800000, v7
                                        ; implicit-def: $vgpr7
	s_and_saveexec_b32 s1, s0
	s_delay_alu instid0(SALU_CYCLE_1)
	s_xor_b32 s0, exec_lo, s1
; %bb.150:                              ;   in Loop: Header=BB136_41 Depth=1
	v_bfe_u32 v7, v24, 16, 1
	s_delay_alu instid0(VALU_DEP_1)
	v_add3_u32 v7, v24, v7, 0x7fff
                                        ; implicit-def: $vgpr24
; %bb.151:                              ;   in Loop: Header=BB136_41 Depth=1
	s_and_not1_saveexec_b32 s1, s0
; %bb.152:                              ;   in Loop: Header=BB136_41 Depth=1
	v_and_b32_e32 v7, 0xffff, v24
	v_or_b32_e32 v25, 0x10000, v24
	s_delay_alu instid0(VALU_DEP_2) | instskip(NEXT) | instid1(VALU_DEP_1)
	v_cmp_eq_u32_e64 s0, 0, v7
	v_cndmask_b32_e64 v7, v25, v24, s0
; %bb.153:                              ;   in Loop: Header=BB136_41 Depth=1
	s_or_b32 exec_lo, exec_lo, s1
	v_lshlrev_b32_e32 v2, 16, v2
	s_delay_alu instid0(VALU_DEP_1) | instskip(NEXT) | instid1(VALU_DEP_1)
	v_mul_f32_e32 v24, v26, v2
	v_and_b32_e32 v2, 0x7f800000, v24
	s_delay_alu instid0(VALU_DEP_1) | instskip(NEXT) | instid1(VALU_DEP_1)
	v_cmp_ne_u32_e64 s0, 0x7f800000, v2
                                        ; implicit-def: $vgpr2
	s_and_saveexec_b32 s1, s0
	s_delay_alu instid0(SALU_CYCLE_1)
	s_xor_b32 s0, exec_lo, s1
; %bb.154:                              ;   in Loop: Header=BB136_41 Depth=1
	v_bfe_u32 v2, v24, 16, 1
	s_delay_alu instid0(VALU_DEP_1)
	v_add3_u32 v2, v24, v2, 0x7fff
                                        ; implicit-def: $vgpr24
; %bb.155:                              ;   in Loop: Header=BB136_41 Depth=1
	s_and_not1_saveexec_b32 s1, s0
; %bb.156:                              ;   in Loop: Header=BB136_41 Depth=1
	v_and_b32_e32 v2, 0xffff, v24
	v_or_b32_e32 v25, 0x10000, v24
	s_delay_alu instid0(VALU_DEP_2) | instskip(NEXT) | instid1(VALU_DEP_1)
	v_cmp_eq_u32_e64 s0, 0, v2
	v_cndmask_b32_e64 v2, v25, v24, s0
; %bb.157:                              ;   in Loop: Header=BB136_41 Depth=1
	s_or_b32 exec_lo, exec_lo, s1
	v_lshlrev_b32_e32 v8, 16, v8
	s_delay_alu instid0(VALU_DEP_1) | instskip(NEXT) | instid1(VALU_DEP_1)
	v_mul_f32_e32 v24, v27, v8
	v_and_b32_e32 v8, 0x7f800000, v24
	s_delay_alu instid0(VALU_DEP_1) | instskip(NEXT) | instid1(VALU_DEP_1)
	v_cmp_ne_u32_e64 s0, 0x7f800000, v8
                                        ; implicit-def: $vgpr8
	s_and_saveexec_b32 s1, s0
	s_delay_alu instid0(SALU_CYCLE_1)
	s_xor_b32 s0, exec_lo, s1
; %bb.158:                              ;   in Loop: Header=BB136_41 Depth=1
	v_bfe_u32 v8, v24, 16, 1
	s_delay_alu instid0(VALU_DEP_1)
	v_add3_u32 v8, v24, v8, 0x7fff
                                        ; implicit-def: $vgpr24
; %bb.159:                              ;   in Loop: Header=BB136_41 Depth=1
	s_and_not1_saveexec_b32 s1, s0
; %bb.160:                              ;   in Loop: Header=BB136_41 Depth=1
	v_and_b32_e32 v8, 0xffff, v24
	v_or_b32_e32 v25, 0x10000, v24
	s_delay_alu instid0(VALU_DEP_2) | instskip(NEXT) | instid1(VALU_DEP_1)
	v_cmp_eq_u32_e64 s0, 0, v8
	v_cndmask_b32_e64 v8, v25, v24, s0
; %bb.161:                              ;   in Loop: Header=BB136_41 Depth=1
	s_or_b32 exec_lo, exec_lo, s1
	v_lshlrev_b32_e32 v3, 16, v3
	s_delay_alu instid0(VALU_DEP_1) | instskip(NEXT) | instid1(VALU_DEP_1)
	v_mul_f32_e32 v24, v28, v3
	v_and_b32_e32 v3, 0x7f800000, v24
	s_delay_alu instid0(VALU_DEP_1) | instskip(NEXT) | instid1(VALU_DEP_1)
	v_cmp_ne_u32_e64 s0, 0x7f800000, v3
                                        ; implicit-def: $vgpr3
	s_and_saveexec_b32 s1, s0
	s_delay_alu instid0(SALU_CYCLE_1)
	s_xor_b32 s0, exec_lo, s1
; %bb.162:                              ;   in Loop: Header=BB136_41 Depth=1
	v_bfe_u32 v3, v24, 16, 1
	s_delay_alu instid0(VALU_DEP_1)
	v_add3_u32 v3, v24, v3, 0x7fff
                                        ; implicit-def: $vgpr24
; %bb.163:                              ;   in Loop: Header=BB136_41 Depth=1
	s_and_not1_saveexec_b32 s1, s0
; %bb.164:                              ;   in Loop: Header=BB136_41 Depth=1
	v_and_b32_e32 v3, 0xffff, v24
	v_or_b32_e32 v25, 0x10000, v24
	s_delay_alu instid0(VALU_DEP_2) | instskip(NEXT) | instid1(VALU_DEP_1)
	v_cmp_eq_u32_e64 s0, 0, v3
	v_cndmask_b32_e64 v3, v25, v24, s0
; %bb.165:                              ;   in Loop: Header=BB136_41 Depth=1
	s_or_b32 exec_lo, exec_lo, s1
	v_lshlrev_b32_e32 v6, 16, v6
	s_delay_alu instid0(VALU_DEP_1) | instskip(NEXT) | instid1(VALU_DEP_1)
	v_mul_f32_e32 v24, v29, v6
	v_and_b32_e32 v6, 0x7f800000, v24
	s_delay_alu instid0(VALU_DEP_1) | instskip(NEXT) | instid1(VALU_DEP_1)
	v_cmp_ne_u32_e64 s0, 0x7f800000, v6
                                        ; implicit-def: $vgpr6
	s_and_saveexec_b32 s1, s0
	s_delay_alu instid0(SALU_CYCLE_1)
	s_xor_b32 s0, exec_lo, s1
; %bb.166:                              ;   in Loop: Header=BB136_41 Depth=1
	v_bfe_u32 v6, v24, 16, 1
	s_delay_alu instid0(VALU_DEP_1)
	v_add3_u32 v6, v24, v6, 0x7fff
                                        ; implicit-def: $vgpr24
; %bb.167:                              ;   in Loop: Header=BB136_41 Depth=1
	s_and_not1_saveexec_b32 s1, s0
; %bb.168:                              ;   in Loop: Header=BB136_41 Depth=1
	v_and_b32_e32 v6, 0xffff, v24
	v_or_b32_e32 v25, 0x10000, v24
	s_delay_alu instid0(VALU_DEP_2) | instskip(NEXT) | instid1(VALU_DEP_1)
	v_cmp_eq_u32_e64 s0, 0, v6
	v_cndmask_b32_e64 v6, v25, v24, s0
; %bb.169:                              ;   in Loop: Header=BB136_41 Depth=1
	s_or_b32 exec_lo, exec_lo, s1
	v_lshlrev_b32_e32 v4, 16, v4
	s_delay_alu instid0(VALU_DEP_1) | instskip(NEXT) | instid1(VALU_DEP_1)
	v_mul_f32_e32 v24, v30, v4
	v_and_b32_e32 v4, 0x7f800000, v24
	s_delay_alu instid0(VALU_DEP_1) | instskip(NEXT) | instid1(VALU_DEP_1)
	v_cmp_ne_u32_e64 s0, 0x7f800000, v4
                                        ; implicit-def: $vgpr4
	s_and_saveexec_b32 s1, s0
	s_delay_alu instid0(SALU_CYCLE_1)
	s_xor_b32 s0, exec_lo, s1
; %bb.170:                              ;   in Loop: Header=BB136_41 Depth=1
	v_bfe_u32 v4, v24, 16, 1
	s_delay_alu instid0(VALU_DEP_1)
	v_add3_u32 v4, v24, v4, 0x7fff
                                        ; implicit-def: $vgpr24
; %bb.171:                              ;   in Loop: Header=BB136_41 Depth=1
	s_and_not1_saveexec_b32 s1, s0
; %bb.172:                              ;   in Loop: Header=BB136_41 Depth=1
	v_and_b32_e32 v4, 0xffff, v24
	v_or_b32_e32 v25, 0x10000, v24
	s_delay_alu instid0(VALU_DEP_2) | instskip(NEXT) | instid1(VALU_DEP_1)
	v_cmp_eq_u32_e64 s0, 0, v4
	v_cndmask_b32_e64 v4, v25, v24, s0
; %bb.173:                              ;   in Loop: Header=BB136_41 Depth=1
	s_or_b32 exec_lo, exec_lo, s1
	v_lshlrev_b32_e32 v5, 16, v5
	s_delay_alu instid0(VALU_DEP_1) | instskip(NEXT) | instid1(VALU_DEP_1)
	v_mul_f32_e32 v24, v31, v5
	v_and_b32_e32 v5, 0x7f800000, v24
	s_delay_alu instid0(VALU_DEP_1) | instskip(NEXT) | instid1(VALU_DEP_1)
	v_cmp_ne_u32_e64 s0, 0x7f800000, v5
                                        ; implicit-def: $vgpr5
	s_and_saveexec_b32 s1, s0
	s_delay_alu instid0(SALU_CYCLE_1)
	s_xor_b32 s0, exec_lo, s1
; %bb.174:                              ;   in Loop: Header=BB136_41 Depth=1
	v_bfe_u32 v5, v24, 16, 1
	s_delay_alu instid0(VALU_DEP_1)
	v_add3_u32 v5, v24, v5, 0x7fff
                                        ; implicit-def: $vgpr24
; %bb.175:                              ;   in Loop: Header=BB136_41 Depth=1
	s_and_not1_saveexec_b32 s1, s0
	s_cbranch_execz .LBB136_38
; %bb.176:                              ;   in Loop: Header=BB136_41 Depth=1
	v_and_b32_e32 v5, 0xffff, v24
	v_or_b32_e32 v25, 0x10000, v24
	s_delay_alu instid0(VALU_DEP_2) | instskip(NEXT) | instid1(VALU_DEP_1)
	v_cmp_eq_u32_e64 s0, 0, v5
	v_cndmask_b32_e64 v5, v25, v24, s0
	s_branch .LBB136_38
.LBB136_177:
	s_or_b32 exec_lo, exec_lo, s8
.LBB136_178:
	s_delay_alu instid0(SALU_CYCLE_1)
	s_or_b32 exec_lo, exec_lo, s3
	s_movk_i32 s0, 0x140
	v_and_b32_e32 v2, 0x3c0, v0
	v_mad_u32_u24 v1, v15, s0, 0xc0
	s_mov_b32 s0, exec_lo
	s_waitcnt_vscnt null, 0x0
	s_barrier
	buffer_gl0_inv
	v_cmpx_eq_u32_e32 64, v2
	s_cbranch_execz .LBB136_181
; %bb.179:
	v_add3_u32 v2, v1, v18, 0xfffffd80
	v_cmp_gt_u32_e32 vcc_lo, 0x50, v19
	ds_store_2addr_b32 v2, v9, v10 offset1:32
	s_and_b32 exec_lo, exec_lo, vcc_lo
	s_cbranch_execz .LBB136_181
; %bb.180:
	ds_store_b32 v2, v11 offset:256
.LBB136_181:
	s_or_b32 exec_lo, exec_lo, s0
	v_lshl_add_u32 v3, v17, 2, v1
	s_mov_b32 s0, exec_lo
	s_waitcnt lgkmcnt(0)
	s_barrier
	buffer_gl0_inv
	v_cmpx_gt_u32_e32 64, v0
	s_cbranch_execz .LBB136_185
; %bb.182:
	v_lshl_or_b32 v2, v0, 2, 0x80
	s_mov_b32 s1, exec_lo
	s_delay_alu instid0(VALU_DEP_1)
	v_add_nc_u32_e32 v2, v1, v2
	ds_load_b32 v4, v3
	ds_load_b32 v2, v2
	s_waitcnt lgkmcnt(0)
	v_dual_add_f32 v9, v9, v4 :: v_dual_add_f32 v10, v10, v2
	v_cmpx_gt_u32_e32 0x50, v19
	s_cbranch_execz .LBB136_184
; %bb.183:
	ds_load_b32 v2, v3 offset:256
	s_waitcnt lgkmcnt(0)
	v_add_f32_e32 v11, v11, v2
.LBB136_184:
	s_or_b32 exec_lo, exec_lo, s1
.LBB136_185:
	s_delay_alu instid0(SALU_CYCLE_1)
	s_or_b32 exec_lo, exec_lo, s0
	v_and_b32_e32 v2, 0x3e0, v0
	s_mov_b32 s0, exec_lo
	s_barrier
	buffer_gl0_inv
	v_cmpx_eq_u32_e32 32, v2
	s_cbranch_execz .LBB136_188
; %bb.186:
	v_add_nc_u32_e32 v4, 0xfffffec0, v1
	v_cmp_gt_u32_e32 vcc_lo, 0x50, v19
	s_delay_alu instid0(VALU_DEP_2)
	v_lshl_add_u32 v2, v17, 2, v4
	v_lshl_add_u32 v4, v0, 2, v4
	ds_store_b32 v2, v9
	ds_store_b32 v4, v10
	s_and_b32 exec_lo, exec_lo, vcc_lo
	s_cbranch_execz .LBB136_188
; %bb.187:
	ds_store_b32 v2, v11 offset:256
.LBB136_188:
	s_or_b32 exec_lo, exec_lo, s0
	v_cmp_gt_u32_e32 vcc_lo, 32, v0
	v_or_b32_e32 v2, 64, v0
	s_waitcnt lgkmcnt(0)
	s_barrier
	buffer_gl0_inv
	s_and_saveexec_b32 s1, vcc_lo
	s_cbranch_execz .LBB136_192
; %bb.189:
	v_lshl_add_u32 v1, v0, 2, v1
	s_mov_b32 s2, exec_lo
	ds_load_b32 v3, v3
	ds_load_b32 v4, v1 offset:128
	s_waitcnt lgkmcnt(0)
	v_dual_add_f32 v9, v9, v3 :: v_dual_add_f32 v10, v10, v4
	v_cmpx_gt_u32_e32 0x50, v2
	s_cbranch_execz .LBB136_191
; %bb.190:
	ds_load_b32 v1, v1 offset:256
	s_waitcnt lgkmcnt(0)
	v_add_f32_e32 v11, v11, v1
.LBB136_191:
	s_or_b32 exec_lo, exec_lo, s2
.LBB136_192:
	s_delay_alu instid0(SALU_CYCLE_1)
	s_or_b32 exec_lo, exec_lo, s1
	s_barrier
	buffer_gl0_inv
	s_and_saveexec_b32 s0, vcc_lo
	s_cbranch_execz .LBB136_207
; %bb.193:
	v_and_b32_e32 v1, 0x7f800000, v9
	s_mov_b32 s0, exec_lo
                                        ; implicit-def: $vgpr3
	s_delay_alu instid0(VALU_DEP_1)
	v_cmpx_ne_u32_e32 0x7f800000, v1
	s_xor_b32 s0, exec_lo, s0
; %bb.194:
	v_bfe_u32 v1, v9, 16, 1
	s_delay_alu instid0(VALU_DEP_1)
	v_add3_u32 v3, v9, v1, 0x7fff
; %bb.195:
	s_and_not1_saveexec_b32 s0, s0
; %bb.196:
	v_and_b32_e32 v1, 0xffff, v9
	v_or_b32_e32 v3, 0x10000, v9
	s_delay_alu instid0(VALU_DEP_2) | instskip(NEXT) | instid1(VALU_DEP_2)
	v_cmp_eq_u32_e32 vcc_lo, 0, v1
	v_cndmask_b32_e32 v3, v3, v9, vcc_lo
; %bb.197:
	s_or_b32 exec_lo, exec_lo, s0
	s_mul_i32 s0, s6, 0x50
	s_mul_i32 s2, s4, s22
	s_ashr_i32 s1, s0, 31
	v_lshlrev_b32_e32 v4, 1, v0
	s_lshl_b64 s[0:1], s[0:1], 1
	v_and_b32_e32 v5, 0x7f800000, v10
	s_add_u32 s4, s24, s0
	s_addc_u32 s5, s25, s1
	s_ashr_i32 s3, s2, 31
	s_delay_alu instid0(SALU_CYCLE_1) | instskip(SKIP_4) | instid1(SALU_CYCLE_1)
	s_lshl_b64 s[0:1], s[2:3], 1
	s_mul_i32 s2, s20, 0x50
	s_add_u32 s4, s4, s0
	s_addc_u32 s5, s5, s1
	s_ashr_i32 s3, s2, 31
	s_lshl_b64 s[0:1], s[2:3], 1
	s_delay_alu instid0(SALU_CYCLE_1) | instskip(SKIP_2) | instid1(VALU_DEP_1)
	s_add_u32 s0, s4, s0
	s_addc_u32 s1, s5, s1
	v_add_co_u32 v0, s2, s0, v4
	v_add_co_ci_u32_e64 v1, null, s1, 0, s2
	global_store_d16_hi_b16 v4, v3, s[0:1]
	s_mov_b32 s0, exec_lo
                                        ; implicit-def: $vgpr3
	v_cmpx_ne_u32_e32 0x7f800000, v5
	s_xor_b32 s0, exec_lo, s0
; %bb.198:
	v_bfe_u32 v3, v10, 16, 1
	s_delay_alu instid0(VALU_DEP_1)
	v_add3_u32 v3, v10, v3, 0x7fff
; %bb.199:
	s_and_not1_saveexec_b32 s0, s0
; %bb.200:
	v_and_b32_e32 v3, 0xffff, v10
	v_or_b32_e32 v4, 0x10000, v10
	s_delay_alu instid0(VALU_DEP_2) | instskip(NEXT) | instid1(VALU_DEP_2)
	v_cmp_eq_u32_e32 vcc_lo, 0, v3
	v_cndmask_b32_e32 v3, v4, v10, vcc_lo
; %bb.201:
	s_or_b32 exec_lo, exec_lo, s0
	v_cmp_gt_u32_e32 vcc_lo, 0x50, v2
	global_store_d16_hi_b16 v[0:1], v3, off offset:64
	s_and_b32 exec_lo, exec_lo, vcc_lo
	s_cbranch_execz .LBB136_207
; %bb.202:
	v_and_b32_e32 v2, 0x7f800000, v11
	s_delay_alu instid0(VALU_DEP_1) | instskip(SKIP_1) | instid1(SALU_CYCLE_1)
	v_cmp_ne_u32_e32 vcc_lo, 0x7f800000, v2
                                        ; implicit-def: $vgpr2
	s_and_saveexec_b32 s0, vcc_lo
	s_xor_b32 s0, exec_lo, s0
; %bb.203:
	v_bfe_u32 v2, v11, 16, 1
	s_delay_alu instid0(VALU_DEP_1)
	v_add3_u32 v2, v11, v2, 0x7fff
                                        ; implicit-def: $vgpr9_vgpr10_vgpr11
; %bb.204:
	s_and_not1_saveexec_b32 s0, s0
; %bb.205:
	v_and_b32_e32 v2, 0xffff, v11
	v_or_b32_e32 v3, 0x10000, v11
	s_delay_alu instid0(VALU_DEP_2) | instskip(NEXT) | instid1(VALU_DEP_2)
	v_cmp_eq_u32_e32 vcc_lo, 0, v2
	v_cndmask_b32_e32 v2, v3, v11, vcc_lo
; %bb.206:
	s_or_b32 exec_lo, exec_lo, s0
	global_store_d16_hi_b16 v[0:1], v2, off offset:128
.LBB136_207:
	s_nop 0
	s_sendmsg sendmsg(MSG_DEALLOC_VGPRS)
	s_endpgm
	.section	.rodata,"a",@progbits
	.p2align	6, 0x0
	.amdhsa_kernel _ZN4vllm25paged_attention_v2_kernelI14__hip_bfloat16S1_Li80ELi8ELi128ELNS_18Fp8KVCacheDataTypeE0ELb1ELi512EEEvPfS3_PT_PKS4_PKT0_SA_ifPKiSC_iPKfiiiSE_SE_iiiii
		.amdhsa_group_segment_fixed_size 192
		.amdhsa_private_segment_fixed_size 0
		.amdhsa_kernarg_size 400
		.amdhsa_user_sgpr_count 13
		.amdhsa_user_sgpr_dispatch_ptr 0
		.amdhsa_user_sgpr_queue_ptr 0
		.amdhsa_user_sgpr_kernarg_segment_ptr 1
		.amdhsa_user_sgpr_dispatch_id 0
		.amdhsa_user_sgpr_private_segment_size 0
		.amdhsa_wavefront_size32 1
		.amdhsa_uses_dynamic_stack 0
		.amdhsa_enable_private_segment 0
		.amdhsa_system_sgpr_workgroup_id_x 1
		.amdhsa_system_sgpr_workgroup_id_y 1
		.amdhsa_system_sgpr_workgroup_id_z 1
		.amdhsa_system_sgpr_workgroup_info 0
		.amdhsa_system_vgpr_workitem_id 0
		.amdhsa_next_free_vgpr 53
		.amdhsa_next_free_sgpr 48
		.amdhsa_reserve_vcc 1
		.amdhsa_float_round_mode_32 0
		.amdhsa_float_round_mode_16_64 0
		.amdhsa_float_denorm_mode_32 3
		.amdhsa_float_denorm_mode_16_64 3
		.amdhsa_dx10_clamp 1
		.amdhsa_ieee_mode 1
		.amdhsa_fp16_overflow 0
		.amdhsa_workgroup_processor_mode 1
		.amdhsa_memory_ordered 1
		.amdhsa_forward_progress 0
		.amdhsa_shared_vgpr_count 0
		.amdhsa_exception_fp_ieee_invalid_op 0
		.amdhsa_exception_fp_denorm_src 0
		.amdhsa_exception_fp_ieee_div_zero 0
		.amdhsa_exception_fp_ieee_overflow 0
		.amdhsa_exception_fp_ieee_underflow 0
		.amdhsa_exception_fp_ieee_inexact 0
		.amdhsa_exception_int_div_zero 0
	.end_amdhsa_kernel
	.section	.text._ZN4vllm25paged_attention_v2_kernelI14__hip_bfloat16S1_Li80ELi8ELi128ELNS_18Fp8KVCacheDataTypeE0ELb1ELi512EEEvPfS3_PT_PKS4_PKT0_SA_ifPKiSC_iPKfiiiSE_SE_iiiii,"axG",@progbits,_ZN4vllm25paged_attention_v2_kernelI14__hip_bfloat16S1_Li80ELi8ELi128ELNS_18Fp8KVCacheDataTypeE0ELb1ELi512EEEvPfS3_PT_PKS4_PKT0_SA_ifPKiSC_iPKfiiiSE_SE_iiiii,comdat
.Lfunc_end136:
	.size	_ZN4vllm25paged_attention_v2_kernelI14__hip_bfloat16S1_Li80ELi8ELi128ELNS_18Fp8KVCacheDataTypeE0ELb1ELi512EEEvPfS3_PT_PKS4_PKT0_SA_ifPKiSC_iPKfiiiSE_SE_iiiii, .Lfunc_end136-_ZN4vllm25paged_attention_v2_kernelI14__hip_bfloat16S1_Li80ELi8ELi128ELNS_18Fp8KVCacheDataTypeE0ELb1ELi512EEEvPfS3_PT_PKS4_PKT0_SA_ifPKiSC_iPKfiiiSE_SE_iiiii
                                        ; -- End function
	.section	.AMDGPU.csdata,"",@progbits
; Kernel info:
; codeLenInByte = 9608
; NumSgprs: 50
; NumVgprs: 53
; ScratchSize: 0
; MemoryBound: 0
; FloatMode: 240
; IeeeMode: 1
; LDSByteSize: 192 bytes/workgroup (compile time only)
; SGPRBlocks: 6
; VGPRBlocks: 6
; NumSGPRsForWavesPerEU: 50
; NumVGPRsForWavesPerEU: 53
; Occupancy: 16
; WaveLimiterHint : 1
; COMPUTE_PGM_RSRC2:SCRATCH_EN: 0
; COMPUTE_PGM_RSRC2:USER_SGPR: 13
; COMPUTE_PGM_RSRC2:TRAP_HANDLER: 0
; COMPUTE_PGM_RSRC2:TGID_X_EN: 1
; COMPUTE_PGM_RSRC2:TGID_Y_EN: 1
; COMPUTE_PGM_RSRC2:TGID_Z_EN: 1
; COMPUTE_PGM_RSRC2:TIDIG_COMP_CNT: 0
	.section	.text._ZN4vllm32paged_attention_v2_reduce_kernelI14__hip_bfloat16Li80ELi128ELi512EEEvPT_PKfS5_PKS2_PKii,"axG",@progbits,_ZN4vllm32paged_attention_v2_reduce_kernelI14__hip_bfloat16Li80ELi128ELi512EEEvPT_PKfS5_PKS2_PKii,comdat
	.protected	_ZN4vllm32paged_attention_v2_reduce_kernelI14__hip_bfloat16Li80ELi128ELi512EEEvPT_PKfS5_PKS2_PKii ; -- Begin function _ZN4vllm32paged_attention_v2_reduce_kernelI14__hip_bfloat16Li80ELi128ELi512EEEvPT_PKfS5_PKS2_PKii
	.globl	_ZN4vllm32paged_attention_v2_reduce_kernelI14__hip_bfloat16Li80ELi128ELi512EEEvPT_PKfS5_PKS2_PKii
	.p2align	8
	.type	_ZN4vllm32paged_attention_v2_reduce_kernelI14__hip_bfloat16Li80ELi128ELi512EEEvPT_PKfS5_PKS2_PKii,@function
_ZN4vllm32paged_attention_v2_reduce_kernelI14__hip_bfloat16Li80ELi128ELi512EEEvPT_PKfS5_PKS2_PKii: ; @_ZN4vllm32paged_attention_v2_reduce_kernelI14__hip_bfloat16Li80ELi128ELi512EEEvPT_PKfS5_PKS2_PKii
; %bb.0:
	s_load_b128 s[4:7], s[0:1], 0x18
	s_add_u32 s8, s0, 48
	s_mov_b32 s10, s15
	s_addc_u32 s9, s1, 0
	s_ashr_i32 s11, s15, 31
	s_delay_alu instid0(SALU_CYCLE_1)
	s_lshl_b64 s[2:3], s[10:11], 2
	s_waitcnt lgkmcnt(0)
	s_add_u32 s2, s6, s2
	s_addc_u32 s3, s7, s3
	s_load_b32 s20, s[2:3], 0x0
	s_clause 0x2
	s_load_b64 s[6:7], s[0:1], 0x0
	s_load_b32 s11, s[0:1], 0x28
	s_load_b32 s15, s[0:1], 0x30
	s_waitcnt lgkmcnt(0)
	s_add_i32 s2, s20, -1
	s_delay_alu instid0(SALU_CYCLE_1)
	s_cmpk_gt_u32 s2, 0x1ff
	s_mov_b32 s2, -1
	s_cbranch_scc0 .LBB137_30
; %bb.1:
	s_load_b64 s[2:3], s[0:1], 0x8
	s_add_i32 s12, s20, 0x1ff
	s_mul_i32 s18, s15, s10
	s_ashr_i32 s13, s12, 31
	v_dual_mov_b32 v4, 0xff7fffff :: v_dual_lshlrev_b32 v3, 2, v0
	s_lshr_b32 s13, s13, 23
	s_mul_i32 s16, s14, s11
	s_add_i32 s12, s12, s13
	s_ashr_i32 s17, s16, 31
	s_ashr_i32 s19, s12, 9
	s_mul_i32 s12, s18, s11
	v_cmp_gt_i32_e32 vcc_lo, s19, v0
	s_ashr_i32 s13, s12, 31
	s_and_saveexec_b32 s21, vcc_lo
	s_cbranch_execz .LBB137_5
; %bb.2:
	s_load_b32 s28, s[8:9], 0xc
	s_load_b64 s[22:23], s[0:1], 0x10
	s_lshl_b64 s[24:25], s[12:13], 2
	s_lshl_b64 s[26:27], s[16:17], 2
	v_dual_mov_b32 v4, 0xff7fffff :: v_dual_add_nc_u32 v5, 32, v3
	v_mov_b32_e32 v6, v0
	s_waitcnt lgkmcnt(0)
	s_and_b32 s1, s28, 0xffff
	s_add_u32 s0, s24, s26
	s_addc_u32 s24, s25, s27
	s_add_u32 s0, s22, s0
	s_addc_u32 s22, s23, s24
	v_add_co_u32 v1, s0, s0, v3
	s_delay_alu instid0(VALU_DEP_1)
	v_add_co_ci_u32_e64 v2, null, s22, 0, s0
	s_mov_b32 s22, 0
	s_lshl_b32 s23, s1, 2
	.p2align	6
.LBB137_3:                              ; =>This Inner Loop Header: Depth=1
	global_load_b32 v7, v[1:2], off
	v_add_nc_u32_e32 v6, s1, v6
	v_max_f32_e32 v4, v4, v4
	v_add_co_u32 v1, s0, v1, s23
	s_delay_alu instid0(VALU_DEP_1) | instskip(NEXT) | instid1(VALU_DEP_4)
	v_add_co_ci_u32_e64 v2, s0, 0, v2, s0
	v_cmp_le_i32_e64 s0, s19, v6
	s_delay_alu instid0(VALU_DEP_1)
	s_or_b32 s22, s0, s22
	s_waitcnt vmcnt(0)
	v_max_f32_e32 v8, v7, v7
	ds_store_b32 v5, v7
	v_dual_max_f32 v4, v4, v8 :: v_dual_add_nc_u32 v5, s23, v5
	s_and_not1_b32 exec_lo, exec_lo, s22
	s_cbranch_execnz .LBB137_3
; %bb.4:
	s_or_b32 exec_lo, exec_lo, s22
.LBB137_5:
	s_delay_alu instid0(SALU_CYCLE_1)
	s_or_b32 exec_lo, exec_lo, s21
	v_mbcnt_lo_u32_b32 v1, -1, 0
	s_waitcnt lgkmcnt(0)
	s_barrier
	buffer_gl0_inv
	v_xor_b32_e32 v2, 16, v1
	v_xor_b32_e32 v5, 8, v1
	s_delay_alu instid0(VALU_DEP_2) | instskip(NEXT) | instid1(VALU_DEP_1)
	v_cmp_gt_i32_e64 s0, 32, v2
	v_cndmask_b32_e64 v2, v1, v2, s0
	s_delay_alu instid0(VALU_DEP_3) | instskip(NEXT) | instid1(VALU_DEP_2)
	v_cmp_gt_i32_e64 s0, 32, v5
	v_lshlrev_b32_e32 v6, 2, v2
	s_delay_alu instid0(VALU_DEP_2) | instskip(SKIP_3) | instid1(VALU_DEP_1)
	v_cndmask_b32_e64 v5, v1, v5, s0
	ds_bpermute_b32 v2, v6, v4
	v_dual_max_f32 v4, v4, v4 :: v_dual_lshlrev_b32 v7, 2, v5
	v_xor_b32_e32 v5, 4, v1
	v_cmp_gt_i32_e64 s0, 32, v5
	s_delay_alu instid0(VALU_DEP_1) | instskip(NEXT) | instid1(VALU_DEP_1)
	v_cndmask_b32_e64 v5, v1, v5, s0
	v_lshlrev_b32_e32 v8, 2, v5
	v_xor_b32_e32 v5, 2, v1
	s_waitcnt lgkmcnt(0)
	v_max_f32_e32 v2, v2, v2
	s_delay_alu instid0(VALU_DEP_2) | instskip(NEXT) | instid1(VALU_DEP_2)
	v_cmp_gt_i32_e64 s0, 32, v5
	v_max_f32_e32 v2, v4, v2
	s_delay_alu instid0(VALU_DEP_2) | instskip(SKIP_3) | instid1(VALU_DEP_1)
	v_cndmask_b32_e64 v5, v1, v5, s0
	ds_bpermute_b32 v4, v7, v2
	s_waitcnt lgkmcnt(0)
	v_max_f32_e32 v4, v4, v4
	v_max_f32_e32 v2, v2, v4
	ds_bpermute_b32 v4, v8, v2
	s_waitcnt lgkmcnt(0)
	v_dual_max_f32 v9, v4, v4 :: v_dual_lshlrev_b32 v4, 2, v5
	s_delay_alu instid0(VALU_DEP_1) | instskip(SKIP_3) | instid1(VALU_DEP_1)
	v_max_f32_e32 v2, v2, v9
	v_xor_b32_e32 v9, 1, v1
	ds_bpermute_b32 v5, v4, v2
	v_cmp_gt_i32_e64 s0, 32, v9
	v_cndmask_b32_e64 v1, v1, v9, s0
	v_lshrrev_b32_e32 v9, 5, v0
	s_delay_alu instid0(VALU_DEP_1) | instskip(SKIP_2) | instid1(VALU_DEP_1)
	v_lshlrev_b32_e32 v9, 2, v9
	s_waitcnt lgkmcnt(0)
	v_max_f32_e32 v5, v5, v5
	v_max_f32_e32 v2, v2, v5
	v_lshlrev_b32_e32 v5, 2, v1
	v_and_b32_e32 v1, 31, v0
	ds_bpermute_b32 v10, v5, v2
	v_cmp_eq_u32_e64 s0, 0, v1
	s_delay_alu instid0(VALU_DEP_1)
	s_and_saveexec_b32 s1, s0
	s_cbranch_execz .LBB137_7
; %bb.6:
	s_waitcnt lgkmcnt(0)
	v_max_f32_e32 v10, v10, v10
	v_max_f32_e32 v2, v2, v2
	s_delay_alu instid0(VALU_DEP_1)
	v_max_f32_e32 v2, v2, v10
	ds_store_b32 v9, v2
.LBB137_7:
	s_or_b32 exec_lo, exec_lo, s1
	v_cmp_gt_u32_e64 s1, 4, v1
	v_mov_b32_e32 v2, 0xff7fffff
	s_waitcnt lgkmcnt(0)
	v_lshlrev_b32_e32 v10, 2, v1
	s_barrier
	buffer_gl0_inv
	s_and_saveexec_b32 s21, s1
	s_cbranch_execz .LBB137_9
; %bb.8:
	ds_load_b32 v2, v10
.LBB137_9:
	s_or_b32 exec_lo, exec_lo, s21
	s_waitcnt lgkmcnt(0)
	ds_bpermute_b32 v1, v4, v2
	v_max_f32_e32 v2, v2, v2
	s_lshl_b32 s21, s19, 2
	s_waitcnt lgkmcnt(0)
	v_dual_mov_b32 v12, 0 :: v_dual_max_f32 v1, v1, v1
	s_delay_alu instid0(VALU_DEP_1) | instskip(SKIP_3) | instid1(VALU_DEP_1)
	v_max_f32_e32 v1, v2, v1
	ds_bpermute_b32 v2, v5, v1
	s_waitcnt lgkmcnt(0)
	v_max_f32_e32 v2, v2, v2
	v_max_f32_e32 v1, v1, v2
	ds_bpermute_b32 v11, v12, v1
	s_and_saveexec_b32 s22, vcc_lo
	s_cbranch_execz .LBB137_13
; %bb.10:
	s_load_b32 s23, s[8:9], 0xc
	s_lshl_b64 s[24:25], s[12:13], 2
	s_lshl_b64 s[26:27], s[16:17], 2
	v_dual_mov_b32 v12, 0 :: v_dual_add_nc_u32 v13, 32, v3
	s_waitcnt lgkmcnt(0)
	s_and_b32 s13, s23, 0xffff
	s_add_u32 s17, s24, s26
	s_addc_u32 s23, s25, s27
	s_add_u32 s2, s2, s17
	s_addc_u32 s3, s3, s23
	v_add_co_u32 v1, s2, s2, v3
	s_delay_alu instid0(VALU_DEP_1)
	v_add_co_ci_u32_e64 v2, null, s3, 0, s2
	v_mov_b32_e32 v3, v0
	s_mov_b32 s3, 0
	s_lshl_b32 s17, s13, 2
	s_set_inst_prefetch_distance 0x1
	.p2align	6
.LBB137_11:                             ; =>This Inner Loop Header: Depth=1
	global_load_b32 v14, v[1:2], off
	ds_load_b32 v15, v13
	v_add_nc_u32_e32 v3, s13, v3
	s_waitcnt lgkmcnt(0)
	v_sub_f32_e32 v15, v15, v11
	s_delay_alu instid0(VALU_DEP_1) | instskip(NEXT) | instid1(VALU_DEP_1)
	v_mul_f32_e32 v16, 0x3fb8aa3b, v15
	v_fma_f32 v17, 0x3fb8aa3b, v15, -v16
	v_rndne_f32_e32 v18, v16
	s_delay_alu instid0(VALU_DEP_1) | instskip(SKIP_1) | instid1(VALU_DEP_4)
	v_sub_f32_e32 v16, v16, v18
	v_cmp_ngt_f32_e32 vcc_lo, 0xc2ce8ed0, v15
	v_fmac_f32_e32 v17, 0x32a5705f, v15
	v_cmp_nlt_f32_e64 s2, 0x42b17218, v15
	s_delay_alu instid0(VALU_DEP_2) | instskip(SKIP_1) | instid1(VALU_DEP_2)
	v_add_f32_e32 v16, v16, v17
	v_cvt_i32_f32_e32 v17, v18
	v_exp_f32_e32 v16, v16
	s_waitcnt_depctr 0xfff
	v_ldexp_f32 v16, v16, v17
	s_delay_alu instid0(VALU_DEP_1) | instskip(SKIP_2) | instid1(VALU_DEP_3)
	v_dual_cndmask_b32 v16, 0, v16 :: v_dual_add_nc_u32 v17, s21, v13
	v_add_co_u32 v1, vcc_lo, v1, s17
	v_add_co_ci_u32_e32 v2, vcc_lo, 0, v2, vcc_lo
	v_cndmask_b32_e64 v15, 0x7f800000, v16, s2
	v_cmp_le_i32_e32 vcc_lo, s19, v3
	v_add_nc_u32_e32 v13, s17, v13
	s_or_b32 s3, vcc_lo, s3
	s_waitcnt vmcnt(0)
	v_mul_f32_e32 v16, v14, v15
	v_fmac_f32_e32 v12, v14, v15
	ds_store_b32 v17, v16
	s_and_not1_b32 exec_lo, exec_lo, s3
	s_cbranch_execnz .LBB137_11
; %bb.12:
	s_set_inst_prefetch_distance 0x2
	s_or_b32 exec_lo, exec_lo, s3
.LBB137_13:
	s_delay_alu instid0(SALU_CYCLE_1)
	s_or_b32 exec_lo, exec_lo, s22
	ds_bpermute_b32 v1, v6, v12
	s_waitcnt lgkmcnt(0)
	s_barrier
	buffer_gl0_inv
	v_add_f32_e32 v1, v12, v1
	ds_bpermute_b32 v2, v7, v1
	s_waitcnt lgkmcnt(0)
	v_add_f32_e32 v1, v1, v2
	ds_bpermute_b32 v2, v8, v1
	s_waitcnt lgkmcnt(0)
	;; [unrolled: 3-line block ×4, first 2 shown]
	v_add_f32_e32 v1, v1, v2
	s_and_saveexec_b32 s2, s0
	s_cbranch_execz .LBB137_15
; %bb.14:
	ds_store_b32 v9, v1 offset:16
.LBB137_15:
	s_or_b32 exec_lo, exec_lo, s2
	s_waitcnt lgkmcnt(0)
	s_barrier
	buffer_gl0_inv
	s_and_saveexec_b32 s0, s1
	s_cbranch_execz .LBB137_17
; %bb.16:
	ds_load_b32 v1, v10 offset:16
.LBB137_17:
	s_or_b32 exec_lo, exec_lo, s0
	s_waitcnt lgkmcnt(0)
	ds_bpermute_b32 v2, v4, v1
	s_mov_b32 s0, exec_lo
	s_waitcnt lgkmcnt(0)
	v_add_f32_e32 v1, v1, v2
	ds_bpermute_b32 v2, v5, v1
	s_waitcnt lgkmcnt(0)
	v_dual_add_f32 v1, v1, v2 :: v_dual_mov_b32 v2, 0
	ds_bpermute_b32 v2, v2, v1
	v_cmpx_gt_u32_e32 0x50, v0
	s_cbranch_execz .LBB137_29
; %bb.18:
	s_cmp_gt_i32 s20, 0
	s_mov_b32 s1, 0
	s_cbranch_scc1 .LBB137_20
; %bb.19:
	v_mov_b32_e32 v1, 0
	s_branch .LBB137_21
.LBB137_20:
	s_mov_b32 s1, -1
.LBB137_21:
	s_delay_alu instid0(SALU_CYCLE_1) | instskip(SKIP_1) | instid1(VALU_DEP_2)
	v_cndmask_b32_e64 v3, 0, 1, s1
	v_mov_b32_e32 v4, s1
	v_cmp_ne_u32_e32 vcc_lo, 1, v3
	s_cbranch_vccnz .LBB137_24
; %bb.22:
	s_waitcnt lgkmcnt(0)
	v_add_f32_e32 v4, 0x358637bd, v2
	s_mulk_i32 s12, 0x50
	s_mulk_i32 s16, 0x50
	s_ashr_i32 s13, s12, 31
	s_ashr_i32 s17, s16, 31
	v_div_scale_f32 v2, null, v4, v4, 1.0
	s_lshl_b64 s[12:13], s[12:13], 1
	s_lshl_b64 s[16:17], s[16:17], 1
	s_max_i32 s1, s19, 1
	s_delay_alu instid0(VALU_DEP_1)
	v_rcp_f32_e32 v3, v2
	s_add_i32 s2, s21, 32
	s_add_u32 s3, s12, s16
	s_addc_u32 s12, s13, s17
	s_add_u32 s3, s4, s3
	s_addc_u32 s12, s5, s12
	s_waitcnt_depctr 0xfff
	v_fma_f32 v1, -v2, v3, 1.0
	s_delay_alu instid0(VALU_DEP_1) | instskip(SKIP_1) | instid1(VALU_DEP_1)
	v_fmac_f32_e32 v3, v1, v3
	v_div_scale_f32 v5, vcc_lo, 1.0, v4, 1.0
	v_dual_mov_b32 v1, 0 :: v_dual_mul_f32 v6, v5, v3
	s_delay_alu instid0(VALU_DEP_1) | instskip(NEXT) | instid1(VALU_DEP_1)
	v_fma_f32 v7, -v2, v6, v5
	v_dual_fmac_f32 v6, v7, v3 :: v_dual_lshlrev_b32 v7, 1, v0
	s_delay_alu instid0(VALU_DEP_1) | instskip(NEXT) | instid1(VALU_DEP_1)
	v_fma_f32 v2, -v2, v6, v5
	v_div_fmas_f32 v5, v2, v3, v6
	s_delay_alu instid0(VALU_DEP_3) | instskip(NEXT) | instid1(VALU_DEP_1)
	v_add_co_u32 v2, s3, s3, v7
	v_add_co_ci_u32_e64 v3, null, s12, 0, s3
	s_delay_alu instid0(VALU_DEP_3)
	v_div_fixup_f32 v5, v5, v4, 1.0
	v_mov_b32_e32 v4, v1
.LBB137_23:                             ; =>This Inner Loop Header: Depth=1
	global_load_u16 v6, v[2:3], off
	v_mov_b32_e32 v7, s2
	v_add_co_u32 v2, vcc_lo, 0xa0, v2
	v_add_co_ci_u32_e32 v3, vcc_lo, 0, v3, vcc_lo
	s_add_i32 s1, s1, -1
	s_add_i32 s2, s2, 4
	s_cmp_eq_u32 s1, 0
	s_waitcnt vmcnt(0)
	v_lshlrev_b32_e32 v6, 16, v6
	ds_load_b32 v7, v7
	s_waitcnt lgkmcnt(0)
	v_mul_f32_e32 v6, v7, v6
	s_delay_alu instid0(VALU_DEP_1)
	v_fmac_f32_e32 v4, v5, v6
	s_cbranch_scc0 .LBB137_23
.LBB137_24:
	s_waitcnt lgkmcnt(0)
	s_delay_alu instid0(VALU_DEP_1) | instskip(NEXT) | instid1(VALU_DEP_1)
	v_and_b32_e32 v2, 0x7f800000, v4
	v_cmp_ne_u32_e32 vcc_lo, 0x7f800000, v2
                                        ; implicit-def: $vgpr2
	s_and_saveexec_b32 s1, vcc_lo
	s_delay_alu instid0(SALU_CYCLE_1)
	s_xor_b32 s1, exec_lo, s1
; %bb.25:
	v_bfe_u32 v2, v4, 16, 1
	s_delay_alu instid0(VALU_DEP_1)
	v_add3_u32 v2, v4, v2, 0x7fff
                                        ; implicit-def: $vgpr4
; %bb.26:
	s_and_not1_saveexec_b32 s1, s1
; %bb.27:
	v_and_b32_e32 v2, 0xffff, v4
	v_or_b32_e32 v3, 0x10000, v4
	s_delay_alu instid0(VALU_DEP_2) | instskip(NEXT) | instid1(VALU_DEP_2)
	v_cmp_eq_u32_e32 vcc_lo, 0, v2
	v_cndmask_b32_e32 v2, v3, v4, vcc_lo
; %bb.28:
	s_or_b32 exec_lo, exec_lo, s1
	s_mul_i32 s2, s18, 0x50
	s_mul_i32 s12, s14, 0x50
	s_ashr_i32 s3, s2, 31
	v_lshlrev_b64 v[3:4], 1, v[0:1]
	s_lshl_b64 s[2:3], s[2:3], 1
	s_delay_alu instid0(SALU_CYCLE_1) | instskip(SKIP_2) | instid1(SALU_CYCLE_1)
	s_add_u32 s1, s6, s2
	s_addc_u32 s16, s7, s3
	s_ashr_i32 s13, s12, 31
	s_lshl_b64 s[2:3], s[12:13], 1
	s_delay_alu instid0(SALU_CYCLE_1)
	s_add_u32 s1, s1, s2
	s_addc_u32 s2, s16, s3
	v_add_co_u32 v3, vcc_lo, s1, v3
	v_add_co_ci_u32_e32 v4, vcc_lo, s2, v4, vcc_lo
	global_store_d16_hi_b16 v[3:4], v2, off
.LBB137_29:
	s_or_b32 exec_lo, exec_lo, s0
	s_mov_b32 s2, 0
.LBB137_30:
	s_delay_alu instid0(SALU_CYCLE_1)
	s_and_b32 vcc_lo, exec_lo, s2
	s_cbranch_vccz .LBB137_39
; %bb.31:
	s_mov_b32 s0, exec_lo
	v_cmpx_gt_u32_e32 0x50, v0
	s_cbranch_execz .LBB137_39
; %bb.32:
	s_mul_i32 s0, s15, s10
	s_load_b32 s10, s[8:9], 0xc
	s_mulk_i32 s0, 0x50
	s_mul_i32 s12, s14, 0x50
	s_ashr_i32 s1, s0, 31
	s_mul_i32 s8, s12, s11
	s_lshl_b64 s[2:3], s[0:1], 1
	s_delay_alu instid0(SALU_CYCLE_1) | instskip(SKIP_4) | instid1(SALU_CYCLE_1)
	s_add_u32 s1, s6, s2
	s_addc_u32 s7, s7, s3
	s_ashr_i32 s13, s12, 31
	s_mul_i32 s6, s0, s11
	s_lshl_b64 s[2:3], s[12:13], 1
	s_add_u32 s1, s1, s2
	s_addc_u32 s2, s7, s3
	s_ashr_i32 s7, s6, 31
	s_delay_alu instid0(SALU_CYCLE_1) | instskip(NEXT) | instid1(SALU_CYCLE_1)
	s_lshl_b64 s[6:7], s[6:7], 1
	s_add_u32 s0, s4, s6
	s_addc_u32 s6, s5, s7
	s_ashr_i32 s9, s8, 31
	s_mov_b32 s7, 0
	s_lshl_b64 s[4:5], s[8:9], 1
	s_delay_alu instid0(SALU_CYCLE_1) | instskip(SKIP_3) | instid1(SALU_CYCLE_1)
	s_add_u32 s3, s0, s4
	s_addc_u32 s4, s6, s5
	s_waitcnt lgkmcnt(0)
	s_and_b32 s5, s10, 0xffff
	v_cvt_f32_u32_e32 v1, s5
	s_cmp_eq_u32 s5, 1
	v_add_nc_u32_e32 v3, s5, v0
	s_cselect_b32 s6, -1, 0
	s_sub_i32 s0, 0, s5
	v_rcp_iflag_f32_e32 v1, v1
	s_delay_alu instid0(VALU_DEP_1) | instskip(SKIP_3) | instid1(VALU_DEP_1)
	v_cmp_gt_u32_e32 vcc_lo, 0x50, v3
	v_max_u32_e32 v4, 0x50, v3
	s_waitcnt_depctr 0xfff
	v_mul_f32_e32 v1, 0x4f7ffffe, v1
	v_cvt_u32_f32_e32 v1, v1
	s_delay_alu instid0(VALU_DEP_1) | instskip(SKIP_1) | instid1(VALU_DEP_1)
	v_mul_lo_u32 v2, s0, v1
	v_add_co_ci_u32_e64 v3, s0, s5, v0, vcc_lo
	v_sub_nc_u32_e32 v3, v4, v3
	s_delay_alu instid0(VALU_DEP_3) | instskip(NEXT) | instid1(VALU_DEP_1)
	v_mul_hi_u32 v2, v1, v2
	v_add_nc_u32_e32 v1, v1, v2
	s_delay_alu instid0(VALU_DEP_1) | instskip(NEXT) | instid1(VALU_DEP_1)
	v_mul_hi_u32 v1, v3, v1
	v_mul_lo_u32 v2, v1, s5
	s_delay_alu instid0(VALU_DEP_1) | instskip(SKIP_1) | instid1(VALU_DEP_2)
	v_sub_nc_u32_e32 v2, v3, v2
	v_add_nc_u32_e32 v3, 1, v1
	v_subrev_nc_u32_e32 v4, s5, v2
	v_cmp_le_u32_e64 s0, s5, v2
	s_delay_alu instid0(VALU_DEP_1) | instskip(NEXT) | instid1(VALU_DEP_3)
	v_cndmask_b32_e64 v1, v1, v3, s0
	v_cndmask_b32_e64 v2, v2, v4, s0
	s_delay_alu instid0(VALU_DEP_2) | instskip(NEXT) | instid1(VALU_DEP_2)
	v_add_nc_u32_e32 v3, 1, v1
	v_cmp_le_u32_e64 s0, s5, v2
	s_delay_alu instid0(VALU_DEP_1) | instskip(SKIP_1) | instid1(VALU_DEP_1)
	v_cndmask_b32_e64 v1, v1, v3, s0
	s_mov_b32 s0, -1
	v_add_co_ci_u32_e32 v3, vcc_lo, 1, v1, vcc_lo
	s_delay_alu instid0(VALU_DEP_1) | instskip(SKIP_1) | instid1(SALU_CYCLE_1)
	v_cmp_lt_u32_e32 vcc_lo, 15, v3
	s_and_b32 s8, vcc_lo, s6
	s_and_saveexec_b32 s6, s8
	s_cbranch_execz .LBB137_36
; %bb.33:
	v_dual_mov_b32 v1, v0 :: v_dual_and_b32 v4, -16, v3
	s_delay_alu instid0(VALU_DEP_1)
	v_dual_mov_b32 v2, 0 :: v_dual_mov_b32 v5, v4
	.p2align	6
.LBB137_34:                             ; =>This Inner Loop Header: Depth=1
	s_delay_alu instid0(VALU_DEP_1) | instskip(NEXT) | instid1(VALU_DEP_2)
	v_lshlrev_b64 v[14:15], 1, v[1:2]
	v_add_nc_u32_e32 v5, -16, v5
	v_add_nc_u32_e32 v1, 16, v1
	s_delay_alu instid0(VALU_DEP_3) | instskip(NEXT) | instid1(VALU_DEP_4)
	v_add_co_u32 v10, vcc_lo, s3, v14
	v_add_co_ci_u32_e32 v11, vcc_lo, s4, v15, vcc_lo
	s_delay_alu instid0(VALU_DEP_4)
	v_cmp_eq_u32_e32 vcc_lo, 0, v5
	v_add_co_u32 v14, s0, s1, v14
	s_clause 0x1
	global_load_b128 v[6:9], v[10:11], off
	global_load_b128 v[10:13], v[10:11], off offset:16
	v_add_co_ci_u32_e64 v15, s0, s2, v15, s0
	s_or_b32 s7, vcc_lo, s7
	s_waitcnt vmcnt(1)
	global_store_b128 v[14:15], v[6:9], off
	s_waitcnt vmcnt(0)
	global_store_b128 v[14:15], v[10:13], off offset:16
	s_and_not1_b32 exec_lo, exec_lo, s7
	s_cbranch_execnz .LBB137_34
; %bb.35:
	s_or_b32 exec_lo, exec_lo, s7
	v_cmp_ne_u32_e32 vcc_lo, v3, v4
	v_add_nc_u32_e32 v0, v0, v4
	s_or_not1_b32 s0, vcc_lo, exec_lo
.LBB137_36:
	s_or_b32 exec_lo, exec_lo, s6
	s_delay_alu instid0(SALU_CYCLE_1)
	s_and_b32 exec_lo, exec_lo, s0
	s_cbranch_execz .LBB137_39
; %bb.37:
	v_mov_b32_e32 v1, 0
	s_mov_b32 s6, 0
	s_lshl_b32 s7, s5, 1
	s_delay_alu instid0(VALU_DEP_1)
	v_lshlrev_b64 v[1:2], 1, v[0:1]
	.p2align	6
.LBB137_38:                             ; =>This Inner Loop Header: Depth=1
	s_delay_alu instid0(VALU_DEP_1) | instskip(NEXT) | instid1(VALU_DEP_2)
	v_add_co_u32 v3, vcc_lo, s3, v1
	v_add_co_ci_u32_e32 v4, vcc_lo, s4, v2, vcc_lo
	v_add_nc_u32_e32 v0, s5, v0
	global_load_u16 v5, v[3:4], off
	v_add_co_u32 v3, vcc_lo, s1, v1
	v_add_co_ci_u32_e32 v4, vcc_lo, s2, v2, vcc_lo
	v_cmp_lt_u32_e32 vcc_lo, 0x4f, v0
	v_add_co_u32 v1, s0, v1, s7
	s_delay_alu instid0(VALU_DEP_1)
	v_add_co_ci_u32_e64 v2, s0, 0, v2, s0
	s_or_b32 s6, vcc_lo, s6
	s_waitcnt vmcnt(0)
	global_store_b16 v[3:4], v5, off
	s_and_not1_b32 exec_lo, exec_lo, s6
	s_cbranch_execnz .LBB137_38
.LBB137_39:
	s_nop 0
	s_sendmsg sendmsg(MSG_DEALLOC_VGPRS)
	s_endpgm
	.section	.rodata,"a",@progbits
	.p2align	6, 0x0
	.amdhsa_kernel _ZN4vllm32paged_attention_v2_reduce_kernelI14__hip_bfloat16Li80ELi128ELi512EEEvPT_PKfS5_PKS2_PKii
		.amdhsa_group_segment_fixed_size 32
		.amdhsa_private_segment_fixed_size 0
		.amdhsa_kernarg_size 304
		.amdhsa_user_sgpr_count 14
		.amdhsa_user_sgpr_dispatch_ptr 0
		.amdhsa_user_sgpr_queue_ptr 0
		.amdhsa_user_sgpr_kernarg_segment_ptr 1
		.amdhsa_user_sgpr_dispatch_id 0
		.amdhsa_user_sgpr_private_segment_size 0
		.amdhsa_wavefront_size32 1
		.amdhsa_uses_dynamic_stack 0
		.amdhsa_enable_private_segment 0
		.amdhsa_system_sgpr_workgroup_id_x 1
		.amdhsa_system_sgpr_workgroup_id_y 1
		.amdhsa_system_sgpr_workgroup_id_z 0
		.amdhsa_system_sgpr_workgroup_info 0
		.amdhsa_system_vgpr_workitem_id 0
		.amdhsa_next_free_vgpr 19
		.amdhsa_next_free_sgpr 29
		.amdhsa_reserve_vcc 1
		.amdhsa_float_round_mode_32 0
		.amdhsa_float_round_mode_16_64 0
		.amdhsa_float_denorm_mode_32 3
		.amdhsa_float_denorm_mode_16_64 3
		.amdhsa_dx10_clamp 1
		.amdhsa_ieee_mode 1
		.amdhsa_fp16_overflow 0
		.amdhsa_workgroup_processor_mode 1
		.amdhsa_memory_ordered 1
		.amdhsa_forward_progress 0
		.amdhsa_shared_vgpr_count 0
		.amdhsa_exception_fp_ieee_invalid_op 0
		.amdhsa_exception_fp_denorm_src 0
		.amdhsa_exception_fp_ieee_div_zero 0
		.amdhsa_exception_fp_ieee_overflow 0
		.amdhsa_exception_fp_ieee_underflow 0
		.amdhsa_exception_fp_ieee_inexact 0
		.amdhsa_exception_int_div_zero 0
	.end_amdhsa_kernel
	.section	.text._ZN4vllm32paged_attention_v2_reduce_kernelI14__hip_bfloat16Li80ELi128ELi512EEEvPT_PKfS5_PKS2_PKii,"axG",@progbits,_ZN4vllm32paged_attention_v2_reduce_kernelI14__hip_bfloat16Li80ELi128ELi512EEEvPT_PKfS5_PKS2_PKii,comdat
.Lfunc_end137:
	.size	_ZN4vllm32paged_attention_v2_reduce_kernelI14__hip_bfloat16Li80ELi128ELi512EEEvPT_PKfS5_PKS2_PKii, .Lfunc_end137-_ZN4vllm32paged_attention_v2_reduce_kernelI14__hip_bfloat16Li80ELi128ELi512EEEvPT_PKfS5_PKS2_PKii
                                        ; -- End function
	.section	.AMDGPU.csdata,"",@progbits
; Kernel info:
; codeLenInByte = 2516
; NumSgprs: 31
; NumVgprs: 19
; ScratchSize: 0
; MemoryBound: 0
; FloatMode: 240
; IeeeMode: 1
; LDSByteSize: 32 bytes/workgroup (compile time only)
; SGPRBlocks: 3
; VGPRBlocks: 2
; NumSGPRsForWavesPerEU: 31
; NumVGPRsForWavesPerEU: 19
; Occupancy: 16
; WaveLimiterHint : 0
; COMPUTE_PGM_RSRC2:SCRATCH_EN: 0
; COMPUTE_PGM_RSRC2:USER_SGPR: 14
; COMPUTE_PGM_RSRC2:TRAP_HANDLER: 0
; COMPUTE_PGM_RSRC2:TGID_X_EN: 1
; COMPUTE_PGM_RSRC2:TGID_Y_EN: 1
; COMPUTE_PGM_RSRC2:TGID_Z_EN: 0
; COMPUTE_PGM_RSRC2:TIDIG_COMP_CNT: 0
	.section	.text._ZN4vllm25paged_attention_v2_kernelI14__hip_bfloat16S1_Li96ELi8ELi128ELNS_18Fp8KVCacheDataTypeE0ELb1ELi512EEEvPfS3_PT_PKS4_PKT0_SA_ifPKiSC_iPKfiiiSE_SE_iiiii,"axG",@progbits,_ZN4vllm25paged_attention_v2_kernelI14__hip_bfloat16S1_Li96ELi8ELi128ELNS_18Fp8KVCacheDataTypeE0ELb1ELi512EEEvPfS3_PT_PKS4_PKT0_SA_ifPKiSC_iPKfiiiSE_SE_iiiii,comdat
	.protected	_ZN4vllm25paged_attention_v2_kernelI14__hip_bfloat16S1_Li96ELi8ELi128ELNS_18Fp8KVCacheDataTypeE0ELb1ELi512EEEvPfS3_PT_PKS4_PKT0_SA_ifPKiSC_iPKfiiiSE_SE_iiiii ; -- Begin function _ZN4vllm25paged_attention_v2_kernelI14__hip_bfloat16S1_Li96ELi8ELi128ELNS_18Fp8KVCacheDataTypeE0ELb1ELi512EEEvPfS3_PT_PKS4_PKT0_SA_ifPKiSC_iPKfiiiSE_SE_iiiii
	.globl	_ZN4vllm25paged_attention_v2_kernelI14__hip_bfloat16S1_Li96ELi8ELi128ELNS_18Fp8KVCacheDataTypeE0ELb1ELi512EEEvPfS3_PT_PKS4_PKT0_SA_ifPKiSC_iPKfiiiSE_SE_iiiii
	.p2align	8
	.type	_ZN4vllm25paged_attention_v2_kernelI14__hip_bfloat16S1_Li96ELi8ELi128ELNS_18Fp8KVCacheDataTypeE0ELb1ELi512EEEvPfS3_PT_PKS4_PKT0_SA_ifPKiSC_iPKfiiiSE_SE_iiiii,@function
_ZN4vllm25paged_attention_v2_kernelI14__hip_bfloat16S1_Li96ELi8ELi128ELNS_18Fp8KVCacheDataTypeE0ELb1ELi512EEEvPfS3_PT_PKS4_PKT0_SA_ifPKiSC_iPKfiiiSE_SE_iiiii: ; @_ZN4vllm25paged_attention_v2_kernelI14__hip_bfloat16S1_Li96ELi8ELi128ELNS_18Fp8KVCacheDataTypeE0ELb1ELi512EEEvPfS3_PT_PKS4_PKT0_SA_ifPKiSC_iPKfiiiSE_SE_iiiii
; %bb.0:
	s_load_b64 s[2:3], s[0:1], 0x40
	s_mov_b32 s12, s15
	s_ashr_i32 s15, s14, 31
	s_delay_alu instid0(SALU_CYCLE_1)
	s_lshl_b64 s[4:5], s[14:15], 2
	s_waitcnt lgkmcnt(0)
	s_add_u32 s2, s2, s4
	s_addc_u32 s3, s3, s5
	s_lshl_b32 s38, s12, 9
	s_load_b32 s15, s[2:3], 0x0
	s_waitcnt lgkmcnt(0)
	s_cmp_ge_i32 s38, s15
	s_cbranch_scc1 .LBB138_198
; %bb.1:
	s_mov_b32 s24, s13
	s_clause 0x1
	s_load_b32 s13, s[0:1], 0x90
	s_load_b64 s[36:37], s[0:1], 0x30
	s_mov_b32 s40, 0
	s_waitcnt lgkmcnt(0)
	s_abs_i32 s5, s13
	s_abs_i32 s2, s36
	s_delay_alu instid0(SALU_CYCLE_1) | instskip(SKIP_1) | instid1(VALU_DEP_1)
	v_cvt_f32_u32_e32 v1, s2
	s_sub_i32 s4, 0, s2
	v_rcp_iflag_f32_e32 v1, v1
	s_waitcnt_depctr 0xfff
	v_mul_f32_e32 v1, 0x4f7ffffe, v1
	s_delay_alu instid0(VALU_DEP_1) | instskip(NEXT) | instid1(VALU_DEP_1)
	v_cvt_u32_f32_e32 v1, v1
	v_readfirstlane_b32 s3, v1
	s_delay_alu instid0(VALU_DEP_1) | instskip(NEXT) | instid1(SALU_CYCLE_1)
	s_mul_i32 s4, s4, s3
	s_mul_hi_u32 s4, s3, s4
	s_delay_alu instid0(SALU_CYCLE_1) | instskip(SKIP_4) | instid1(SALU_CYCLE_1)
	s_add_i32 s3, s3, s4
	s_xor_b32 s4, s13, s36
	s_mul_hi_u32 s3, s5, s3
	s_ashr_i32 s4, s4, 31
	s_mul_i32 s6, s3, s2
	s_sub_i32 s5, s5, s6
	s_add_i32 s6, s3, 1
	s_sub_i32 s7, s5, s2
	s_cmp_ge_u32 s5, s2
	s_cselect_b32 s3, s6, s3
	s_cselect_b32 s5, s7, s5
	s_add_i32 s6, s3, 1
	s_cmp_ge_u32 s5, s2
	s_cselect_b32 s2, s6, s3
	s_abs_i32 s17, s24
	s_xor_b32 s2, s2, s4
	s_delay_alu instid0(SALU_CYCLE_1) | instskip(SKIP_2) | instid1(SALU_CYCLE_1)
	s_sub_i32 s8, s2, s4
	s_load_b64 s[2:3], s[0:1], 0x50
	s_abs_i32 s16, s8
	v_cvt_f32_u32_e32 v1, s16
	s_sub_i32 s5, 0, s16
	s_delay_alu instid0(VALU_DEP_1) | instskip(SKIP_2) | instid1(VALU_DEP_1)
	v_rcp_iflag_f32_e32 v1, v1
	s_waitcnt_depctr 0xfff
	v_mul_f32_e32 v1, 0x4f7ffffe, v1
	v_cvt_u32_f32_e32 v1, v1
	s_delay_alu instid0(VALU_DEP_1) | instskip(NEXT) | instid1(VALU_DEP_1)
	v_readfirstlane_b32 s4, v1
	s_mul_i32 s5, s5, s4
	s_delay_alu instid0(SALU_CYCLE_1) | instskip(NEXT) | instid1(SALU_CYCLE_1)
	s_mul_hi_u32 s5, s4, s5
	s_add_i32 s4, s4, s5
	s_waitcnt lgkmcnt(0)
	s_cmp_eq_u64 s[2:3], 0
	s_mul_hi_u32 s18, s17, s4
	s_cbranch_scc1 .LBB138_3
; %bb.2:
	s_ashr_i32 s25, s24, 31
	s_delay_alu instid0(SALU_CYCLE_1) | instskip(NEXT) | instid1(SALU_CYCLE_1)
	s_lshl_b64 s[4:5], s[24:25], 2
	s_add_u32 s2, s2, s4
	s_addc_u32 s3, s3, s5
	s_load_b32 s40, s[2:3], 0x0
.LBB138_3:
	s_load_b128 s[4:7], s[0:1], 0x58
	v_and_b32_e32 v1, 3, v0
	v_lshlrev_b32_e32 v2, 2, v0
	s_ashr_i32 s2, s24, 31
	s_ashr_i32 s3, s8, 31
	s_mul_i32 s20, s24, 0x60
	s_waitcnt lgkmcnt(0)
	s_mov_b32 s7, exec_lo
	v_cmpx_gt_u32_e32 48, v0
	s_cbranch_execz .LBB138_5
; %bb.4:
	s_load_b64 s[8:9], s[0:1], 0x18
	s_mul_i32 s10, s14, s4
	v_and_b32_e32 v4, 0x3fc, v0
	s_ashr_i32 s11, s10, 31
	s_delay_alu instid0(SALU_CYCLE_1) | instskip(NEXT) | instid1(VALU_DEP_1)
	s_lshl_b64 s[10:11], s[10:11], 1
	v_mad_u32_u24 v4, v1, 48, v4
	s_waitcnt lgkmcnt(0)
	s_add_u32 s4, s8, s10
	s_addc_u32 s10, s9, s11
	s_ashr_i32 s21, s20, 31
	s_delay_alu instid0(SALU_CYCLE_1) | instskip(NEXT) | instid1(SALU_CYCLE_1)
	s_lshl_b64 s[8:9], s[20:21], 1
	s_add_u32 s8, s4, s8
	s_addc_u32 s9, s10, s9
	global_load_b32 v3, v2, s[8:9]
	s_waitcnt vmcnt(0)
	ds_store_b32 v4, v3
.LBB138_5:
	s_or_b32 exec_lo, exec_lo, s7
	s_load_b128 s[8:11], s[0:1], 0x78
	s_mul_i32 s4, s18, s16
	s_xor_b32 s2, s2, s3
	s_sub_i32 s3, s17, s4
	s_add_i32 s4, s18, 1
	s_sub_i32 s7, s3, s16
	s_cmp_ge_u32 s3, s16
	s_mov_b32 s17, -1
	s_cselect_b32 s4, s4, s18
	s_cselect_b32 s3, s7, s3
	s_add_i32 s7, s4, 1
	s_cmp_ge_u32 s3, s16
	s_waitcnt lgkmcnt(0)
	s_cselect_b32 s3, s7, s4
	s_load_b32 s4, s[0:1], 0x88
	s_xor_b32 s3, s3, s2
	s_add_i32 s16, s15, -1
	s_sub_i32 s3, s3, s2
	s_abs_i32 s7, s16
	s_waitcnt lgkmcnt(0)
	s_barrier
	s_abs_i32 s21, s11
	buffer_gl0_inv
	v_cvt_f32_u32_e32 v3, s21
	s_sub_i32 s2, 0, s21
                                        ; implicit-def: $sgpr33
	s_delay_alu instid0(VALU_DEP_1) | instskip(SKIP_2) | instid1(VALU_DEP_1)
	v_rcp_iflag_f32_e32 v3, v3
	s_waitcnt_depctr 0xfff
	v_mul_f32_e32 v3, 0x4f7ffffe, v3
	v_cvt_u32_f32_e32 v3, v3
	s_delay_alu instid0(VALU_DEP_1) | instskip(NEXT) | instid1(VALU_DEP_1)
	v_readfirstlane_b32 s25, v3
	s_mul_i32 s2, s2, s25
	s_delay_alu instid0(SALU_CYCLE_1) | instskip(NEXT) | instid1(SALU_CYCLE_1)
	s_mul_hi_u32 s2, s25, s2
	s_add_i32 s25, s25, s2
	s_cmp_lt_i32 s4, 0
	s_mul_hi_u32 s2, s7, s25
	s_cbranch_scc0 .LBB138_7
; %bb.6:
	s_mul_i32 s17, s8, s36
	s_delay_alu instid0(SALU_CYCLE_1) | instskip(NEXT) | instid1(SALU_CYCLE_1)
	s_add_i32 s17, s3, s17
	s_mul_i32 s17, s17, s4
	s_delay_alu instid0(SALU_CYCLE_1)
	s_sub_i32 s33, 1, s17
	s_mov_b32 s17, 0
.LBB138_7:
	s_load_b64 s[26:27], s[0:1], 0x38
	s_ashr_i32 s28, s16, 31
	s_and_not1_b32 vcc_lo, exec_lo, s17
	s_ashr_i32 s11, s11, 31
	s_cbranch_vccnz .LBB138_9
; %bb.8:
	s_mul_i32 s8, s13, s8
	s_delay_alu instid0(SALU_CYCLE_1) | instskip(NEXT) | instid1(SALU_CYCLE_1)
	s_add_i32 s8, s8, s24
	s_mul_i32 s4, s8, s4
	s_delay_alu instid0(SALU_CYCLE_1)
	s_add_i32 s33, s4, 1
.LBB138_9:
	s_clause 0x4
	s_load_b32 s8, s[0:1], 0x48
	s_load_b64 s[30:31], s[0:1], 0x28
	s_load_b32 s4, s[0:1], 0x98
	s_load_b128 s[16:19], s[0:1], 0x0
	s_load_b64 s[22:23], s[0:1], 0x10
	s_xor_b32 s34, s28, s11
	s_mul_i32 s28, s2, s21
	s_add_i32 s35, s2, 1
	s_sub_i32 s7, s7, s28
	v_lshrrev_b32_e32 v13, 5, v0
	v_mov_b32_e32 v4, 0xff7fffff
	v_mbcnt_lo_u32_b32 v3, -1, 0
	s_delay_alu instid0(VALU_DEP_3)
	v_lshl_add_u32 v14, v13, 3, s38
	s_waitcnt lgkmcnt(0)
	s_mul_i32 s28, s14, s8
	s_sub_i32 s8, s7, s21
	s_ashr_i32 s29, s28, 31
	s_cmp_ge_u32 s7, s21
	s_cselect_b32 s2, s35, s2
	s_cselect_b32 s7, s8, s7
	s_add_i32 s8, s2, 1
	s_cmp_ge_u32 s7, s21
	s_cselect_b32 s2, s8, s2
	s_add_i32 s8, s15, 7
	s_lshl_b32 s7, s12, 6
	s_ashr_i32 s35, s8, 31
	v_or_b32_e32 v10, s7, v13
	s_lshr_b32 s35, s35, 29
	s_xor_b32 s39, s2, s34
	s_add_i32 s8, s8, s35
	s_add_i32 s35, s7, 64
	s_ashr_i32 s36, s8, 3
	v_ashrrev_i32_e32 v11, 31, v10
	s_min_i32 s8, s35, s36
	s_sub_i32 s39, s39, s34
	v_cmp_gt_i32_e64 s2, s8, v10
	s_mul_i32 s34, s3, s6
	s_delay_alu instid0(VALU_DEP_1)
	s_and_saveexec_b32 s6, s2
	s_cbranch_execz .LBB138_19
; %bb.10:
	s_load_b64 s[0:1], s[0:1], 0x20
	s_ashr_i32 s35, s34, 31
	v_bfe_u32 v5, v0, 2, 3
	s_lshl_b64 s[42:43], s[34:35], 1
	s_sub_i32 s35, s39, s9
	v_cmp_eq_u32_e32 vcc_lo, 0, v1
	v_dual_mov_b32 v8, 0xff7fffff :: v_dual_and_b32 v17, 12, v2
	v_subrev_nc_u32_e32 v18, s15, v5
	v_mul_u32_u24_e32 v6, 48, v1
	v_lshlrev_b64 v[1:2], 2, v[10:11]
	v_lshl_add_u32 v7, v13, 3, s38
	v_xor_b32_e32 v9, 2, v3
	v_xor_b32_e32 v12, 1, v3
	v_lshlrev_b32_e32 v21, 4, v5
	s_waitcnt lgkmcnt(0)
	s_add_u32 s3, s0, s42
	s_addc_u32 s1, s1, s43
	s_abs_i32 s41, s10
	v_cmp_neq_f32_e64 s0, s40, 0
	v_cvt_f32_u32_e32 v4, s41
	s_sub_i32 s42, 0, s41
	s_delay_alu instid0(VALU_DEP_1) | instskip(SKIP_2) | instid1(VALU_DEP_1)
	v_rcp_iflag_f32_e32 v4, v4
	s_waitcnt_depctr 0xfff
	v_dual_mul_f32 v16, 0x4f7ffffe, v4 :: v_dual_lshlrev_b32 v15, 2, v5
	v_lshl_or_b32 v19, v13, 5, v15
	v_dual_mov_b32 v4, 0xff7fffff :: v_dual_add_nc_u32 v15, 1, v18
	s_delay_alu instid0(VALU_DEP_3) | instskip(NEXT) | instid1(VALU_DEP_3)
	v_cvt_u32_f32_e32 v20, v16
	v_add_nc_u32_e32 v16, 0xe0, v19
	v_add_co_u32 v19, s3, s3, v21
	s_delay_alu instid0(VALU_DEP_1) | instskip(NEXT) | instid1(VALU_DEP_4)
	v_add_co_ci_u32_e64 v21, null, s1, 0, s3
	v_mul_lo_u32 v18, s42, v20
	s_lshl_b64 s[42:43], s[28:29], 2
	s_delay_alu instid0(SALU_CYCLE_1) | instskip(SKIP_2) | instid1(VALU_DEP_1)
	s_add_u32 s1, s26, s42
	s_addc_u32 s3, s27, s43
	v_add_co_u32 v1, s1, s1, v1
	v_add_co_ci_u32_e64 v2, s1, s3, v2, s1
	s_delay_alu instid0(VALU_DEP_3) | instskip(SKIP_1) | instid1(VALU_DEP_1)
	v_mul_hi_u32 v22, v20, v18
	v_add_co_u32 v17, s1, v19, v17
	v_add_co_ci_u32_e64 v18, s1, 0, v21, s1
	s_mov_b32 s42, 0
	s_mov_b32 s43, s5
	s_delay_alu instid0(VALU_DEP_3)
	v_dual_mov_b32 v20, v10 :: v_dual_add_nc_u32 v19, v20, v22
	s_branch .LBB138_13
.LBB138_11:                             ;   in Loop: Header=BB138_13 Depth=1
	s_or_b32 exec_lo, exec_lo, s44
.LBB138_12:                             ;   in Loop: Header=BB138_13 Depth=1
	s_delay_alu instid0(SALU_CYCLE_1) | instskip(SKIP_2) | instid1(VALU_DEP_1)
	s_or_b32 exec_lo, exec_lo, s3
	v_add_nc_u32_e32 v20, 4, v20
	v_add_co_u32 v1, s3, v1, 16
	v_add_co_ci_u32_e64 v2, s3, 0, v2, s3
	s_delay_alu instid0(VALU_DEP_3) | instskip(SKIP_2) | instid1(VALU_DEP_3)
	v_cmp_le_i32_e64 s1, s8, v20
	v_add_nc_u32_e32 v7, 32, v7
	v_add_nc_u32_e32 v16, 0x80, v16
	s_or_b32 s42, s1, s42
	s_delay_alu instid0(SALU_CYCLE_1)
	s_and_not1_b32 exec_lo, exec_lo, s42
	s_cbranch_execz .LBB138_18
.LBB138_13:                             ; =>This Inner Loop Header: Depth=1
	v_sub_nc_u32_e32 v21, 0, v7
	s_delay_alu instid0(VALU_DEP_1) | instskip(SKIP_1) | instid1(VALU_DEP_1)
	v_max_i32_e32 v21, v7, v21
	s_waitcnt lgkmcnt(0)
	v_mul_hi_u32 v22, v21, s25
	s_delay_alu instid0(VALU_DEP_1) | instskip(NEXT) | instid1(VALU_DEP_1)
	v_mul_lo_u32 v23, v22, s21
	v_sub_nc_u32_e32 v21, v21, v23
	v_add_nc_u32_e32 v23, 1, v22
	s_delay_alu instid0(VALU_DEP_2) | instskip(SKIP_1) | instid1(VALU_DEP_1)
	v_subrev_nc_u32_e32 v24, s21, v21
	v_cmp_le_u32_e64 s1, s21, v21
	v_cndmask_b32_e64 v22, v22, v23, s1
	s_delay_alu instid0(VALU_DEP_3) | instskip(SKIP_1) | instid1(VALU_DEP_3)
	v_cndmask_b32_e64 v21, v21, v24, s1
	v_ashrrev_i32_e32 v23, 31, v7
	v_add_nc_u32_e32 v24, 1, v22
	s_delay_alu instid0(VALU_DEP_3) | instskip(NEXT) | instid1(VALU_DEP_3)
	v_cmp_le_u32_e64 s1, s21, v21
	v_xor_b32_e32 v23, s11, v23
	s_delay_alu instid0(VALU_DEP_2) | instskip(NEXT) | instid1(VALU_DEP_1)
	v_cndmask_b32_e64 v21, v22, v24, s1
	v_xor_b32_e32 v21, v21, v23
	s_delay_alu instid0(VALU_DEP_1) | instskip(NEXT) | instid1(VALU_DEP_1)
	v_sub_nc_u32_e32 v21, v21, v23
	v_add_nc_u32_e32 v22, s33, v21
	v_cmp_ge_i32_e64 s3, s35, v21
	s_delay_alu instid0(VALU_DEP_2) | instskip(NEXT) | instid1(VALU_DEP_1)
	v_sub_nc_u32_e32 v23, 0, v22
	v_max_i32_e32 v23, v22, v23
	v_ashrrev_i32_e32 v22, 31, v22
	s_delay_alu instid0(VALU_DEP_2) | instskip(NEXT) | instid1(VALU_DEP_1)
	v_mul_hi_u32 v24, v23, v19
	v_mul_lo_u32 v24, v24, s41
	s_delay_alu instid0(VALU_DEP_1) | instskip(NEXT) | instid1(VALU_DEP_1)
	v_sub_nc_u32_e32 v23, v23, v24
	v_subrev_nc_u32_e32 v24, s41, v23
	v_cmp_le_u32_e64 s1, s41, v23
	s_delay_alu instid0(VALU_DEP_1) | instskip(NEXT) | instid1(VALU_DEP_1)
	v_cndmask_b32_e64 v23, v23, v24, s1
	v_subrev_nc_u32_e32 v24, s41, v23
	v_cmp_le_u32_e64 s1, s41, v23
	s_delay_alu instid0(VALU_DEP_1) | instskip(NEXT) | instid1(VALU_DEP_1)
	v_cndmask_b32_e64 v23, v23, v24, s1
	v_xor_b32_e32 v23, v23, v22
	s_delay_alu instid0(VALU_DEP_1) | instskip(NEXT) | instid1(VALU_DEP_1)
	v_sub_nc_u32_e32 v22, v23, v22
	v_cmp_ne_u32_e64 s1, 0, v22
	s_delay_alu instid0(VALU_DEP_1) | instskip(NEXT) | instid1(SALU_CYCLE_1)
	s_and_b32 s1, s1, s3
	s_and_b32 s44, vcc_lo, s1
	s_delay_alu instid0(SALU_CYCLE_1)
	s_and_saveexec_b32 s3, s44
	s_cbranch_execz .LBB138_15
; %bb.14:                               ;   in Loop: Header=BB138_13 Depth=1
	ds_store_b32 v16, v8
.LBB138_15:                             ;   in Loop: Header=BB138_13 Depth=1
	s_or_b32 exec_lo, exec_lo, s3
	s_xor_b32 s1, s1, -1
	s_delay_alu instid0(SALU_CYCLE_1)
	s_and_saveexec_b32 s3, s1
	s_cbranch_execz .LBB138_12
; %bb.16:                               ;   in Loop: Header=BB138_13 Depth=1
	global_load_b32 v23, v[1:2], off
	s_waitcnt vmcnt(0)
	v_mad_i64_i32 v[21:22], null, v23, s43, 0
	s_delay_alu instid0(VALU_DEP_1) | instskip(NEXT) | instid1(VALU_DEP_1)
	v_lshlrev_b64 v[21:22], 1, v[21:22]
	v_add_co_u32 v21, s1, v17, v21
	s_delay_alu instid0(VALU_DEP_1)
	v_add_co_ci_u32_e64 v22, s1, v18, v22, s1
	v_cmp_gt_i32_e64 s1, 32, v9
	s_clause 0xb
	global_load_b32 v33, v[21:22], off offset:128
	global_load_b32 v34, v[21:22], off
	global_load_b32 v35, v[21:22], off offset:256
	global_load_b32 v36, v[21:22], off offset:384
	global_load_b32 v37, v[21:22], off offset:512
	global_load_b32 v38, v[21:22], off offset:640
	global_load_b32 v39, v[21:22], off offset:768
	global_load_b32 v40, v[21:22], off offset:896
	global_load_b32 v41, v[21:22], off offset:1024
	global_load_b32 v42, v[21:22], off offset:1152
	global_load_b32 v43, v[21:22], off offset:1280
	global_load_b32 v44, v[21:22], off offset:1408
	ds_load_b128 v[21:24], v6
	ds_load_b128 v[25:28], v6 offset:16
	ds_load_b128 v[29:32], v6 offset:32
	s_waitcnt lgkmcnt(2)
	v_lshlrev_b32_e32 v46, 16, v22
	v_lshlrev_b32_e32 v48, 16, v24
	v_and_b32_e32 v22, 0xffff0000, v22
	s_waitcnt lgkmcnt(1)
	v_lshlrev_b32_e32 v50, 16, v26
	v_lshlrev_b32_e32 v52, 16, v28
	s_waitcnt lgkmcnt(0)
	v_lshlrev_b32_e32 v54, 16, v30
	v_lshlrev_b32_e32 v56, 16, v32
	s_waitcnt vmcnt(11)
	v_lshlrev_b32_e32 v57, 16, v33
	v_and_b32_e32 v33, 0xffff0000, v33
	v_lshlrev_b32_e32 v47, 16, v23
	v_lshlrev_b32_e32 v51, 16, v27
	s_waitcnt vmcnt(10)
	v_lshlrev_b32_e32 v58, 16, v34
	v_and_b32_e32 v34, 0xffff0000, v34
	v_mul_f32_e32 v22, v22, v33
	v_lshlrev_b32_e32 v45, 16, v21
	v_and_b32_e32 v21, 0xffff0000, v21
	s_waitcnt vmcnt(9)
	v_dual_mul_f32 v46, v46, v57 :: v_dual_lshlrev_b32 v33, 16, v35
	s_delay_alu instid0(VALU_DEP_2) | instskip(NEXT) | instid1(VALU_DEP_2)
	v_dual_fmac_f32 v22, v21, v34 :: v_dual_lshlrev_b32 v49, 16, v25
	v_dual_fmac_f32 v46, v45, v58 :: v_dual_lshlrev_b32 v55, 16, v31
	v_and_b32_e32 v21, 0xffff0000, v24
	s_waitcnt vmcnt(8)
	v_lshlrev_b32_e32 v24, 16, v36
	v_and_b32_e32 v34, 0xffff0000, v36
	v_fmac_f32_e32 v46, v47, v33
	s_waitcnt vmcnt(7)
	v_and_b32_e32 v33, 0xffff0000, v37
	s_delay_alu instid0(VALU_DEP_2) | instskip(SKIP_4) | instid1(VALU_DEP_3)
	v_dual_fmac_f32 v46, v48, v24 :: v_dual_and_b32 v35, 0xffff0000, v35
	v_and_b32_e32 v23, 0xffff0000, v23
	v_lshlrev_b32_e32 v53, 16, v29
	s_waitcnt vmcnt(6)
	v_lshlrev_b32_e32 v24, 16, v38
	v_dual_fmac_f32 v22, v23, v35 :: v_dual_and_b32 v23, 0xffff0000, v25
	v_lshlrev_b32_e32 v25, 16, v37
	s_waitcnt vmcnt(5)
	s_delay_alu instid0(VALU_DEP_1) | instskip(NEXT) | instid1(VALU_DEP_1)
	v_dual_fmac_f32 v46, v49, v25 :: v_dual_lshlrev_b32 v25, 16, v39
	v_fmac_f32_e32 v46, v50, v24
	s_waitcnt vmcnt(4)
	v_lshlrev_b32_e32 v24, 16, v40
	s_delay_alu instid0(VALU_DEP_2) | instskip(SKIP_2) | instid1(VALU_DEP_2)
	v_fmac_f32_e32 v46, v51, v25
	s_waitcnt vmcnt(3)
	v_dual_fmac_f32 v22, v21, v34 :: v_dual_lshlrev_b32 v25, 16, v41
	v_dual_fmac_f32 v46, v52, v24 :: v_dual_and_b32 v21, 0xffff0000, v26
	s_waitcnt vmcnt(2)
	v_lshlrev_b32_e32 v24, 16, v42
	v_and_b32_e32 v26, 0xffff0000, v38
	v_fmac_f32_e32 v22, v23, v33
	v_dual_fmac_f32 v46, v53, v25 :: v_dual_and_b32 v23, 0xffff0000, v27
	s_waitcnt vmcnt(1)
	s_delay_alu instid0(VALU_DEP_2) | instskip(NEXT) | instid1(VALU_DEP_2)
	v_dual_fmac_f32 v22, v21, v26 :: v_dual_lshlrev_b32 v25, 16, v43
	v_dual_fmac_f32 v46, v54, v24 :: v_dual_and_b32 v27, 0xffff0000, v39
	s_waitcnt vmcnt(0)
	v_lshlrev_b32_e32 v24, 16, v44
	v_and_b32_e32 v26, 0xffff0000, v40
	s_delay_alu instid0(VALU_DEP_3) | instskip(SKIP_1) | instid1(VALU_DEP_2)
	v_fmac_f32_e32 v46, v55, v25
	v_dual_fmac_f32 v22, v23, v27 :: v_dual_and_b32 v23, 0xffff0000, v29
	v_dual_fmac_f32 v46, v56, v24 :: v_dual_and_b32 v27, 0xffff0000, v41
	v_and_b32_e32 v21, 0xffff0000, v28
	s_delay_alu instid0(VALU_DEP_1) | instskip(SKIP_2) | instid1(VALU_DEP_3)
	v_fmac_f32_e32 v22, v21, v26
	v_and_b32_e32 v21, 0xffff0000, v30
	v_and_b32_e32 v26, 0xffff0000, v42
	v_fmac_f32_e32 v22, v23, v27
	v_and_b32_e32 v23, 0xffff0000, v31
	s_delay_alu instid0(VALU_DEP_2) | instskip(SKIP_2) | instid1(VALU_DEP_3)
	v_dual_fmac_f32 v22, v21, v26 :: v_dual_and_b32 v27, 0xffff0000, v43
	v_and_b32_e32 v21, 0xffff0000, v32
	v_and_b32_e32 v26, 0xffff0000, v44
	v_fmac_f32_e32 v22, v23, v27
	v_cndmask_b32_e64 v23, v3, v9, s1
	v_cmp_gt_i32_e64 s1, 32, v12
	s_delay_alu instid0(VALU_DEP_2) | instskip(NEXT) | instid1(VALU_DEP_2)
	v_dual_fmac_f32 v22, v21, v26 :: v_dual_lshlrev_b32 v21, 2, v23
	v_cndmask_b32_e64 v23, v3, v12, s1
	s_delay_alu instid0(VALU_DEP_1)
	v_dual_add_f32 v22, v46, v22 :: v_dual_lshlrev_b32 v23, 2, v23
	ds_bpermute_b32 v21, v21, v22
	s_waitcnt lgkmcnt(0)
	v_add_f32_e32 v21, v22, v21
	ds_bpermute_b32 v22, v23, v21
	s_and_saveexec_b32 s44, vcc_lo
	s_cbranch_execz .LBB138_11
; %bb.17:                               ;   in Loop: Header=BB138_13 Depth=1
	s_waitcnt lgkmcnt(0)
	v_add_f32_e32 v21, v21, v22
	v_add_nc_u32_e32 v23, v15, v7
	s_delay_alu instid0(VALU_DEP_1) | instskip(NEXT) | instid1(VALU_DEP_1)
	v_cvt_f32_i32_e32 v23, v23
	v_mul_f32_e32 v23, s40, v23
	s_delay_alu instid0(VALU_DEP_1) | instskip(NEXT) | instid1(VALU_DEP_1)
	v_cndmask_b32_e64 v22, 0, v23, s0
	v_dual_max_f32 v23, v4, v4 :: v_dual_fmac_f32 v22, s37, v21
	v_add_nc_u32_e32 v21, v5, v7
	s_delay_alu instid0(VALU_DEP_2) | instskip(NEXT) | instid1(VALU_DEP_2)
	v_max_f32_e32 v23, v23, v22
	v_cmp_gt_i32_e64 s1, s15, v21
	s_delay_alu instid0(VALU_DEP_1) | instskip(NEXT) | instid1(VALU_DEP_3)
	v_cndmask_b32_e64 v21, 0, v22, s1
	v_cndmask_b32_e64 v4, v4, v23, s1
	ds_store_b32 v16, v21
	s_branch .LBB138_11
.LBB138_18:
	s_or_b32 exec_lo, exec_lo, s42
.LBB138_19:
	s_delay_alu instid0(SALU_CYCLE_1) | instskip(SKIP_4) | instid1(VALU_DEP_4)
	s_or_b32 exec_lo, exec_lo, s6
	v_xor_b32_e32 v1, 16, v3
	v_xor_b32_e32 v5, 8, v3
	v_max_f32_e32 v6, v4, v4
	v_and_b32_e32 v15, 31, v0
	v_cmp_gt_i32_e32 vcc_lo, 32, v1
	v_cndmask_b32_e32 v1, v3, v1, vcc_lo
	v_cmp_gt_i32_e32 vcc_lo, 32, v5
	s_delay_alu instid0(VALU_DEP_2) | instskip(SKIP_3) | instid1(VALU_DEP_1)
	v_lshlrev_b32_e32 v2, 2, v1
	ds_bpermute_b32 v1, v2, v4
	v_cndmask_b32_e32 v4, v3, v5, vcc_lo
	s_waitcnt lgkmcnt(0)
	v_dual_max_f32 v1, v1, v1 :: v_dual_lshlrev_b32 v4, 2, v4
	s_delay_alu instid0(VALU_DEP_1) | instskip(SKIP_1) | instid1(VALU_DEP_1)
	v_max_f32_e32 v1, v6, v1
	v_xor_b32_e32 v6, 4, v3
	v_cmp_gt_i32_e32 vcc_lo, 32, v6
	v_cndmask_b32_e32 v6, v3, v6, vcc_lo
	ds_bpermute_b32 v5, v4, v1
	v_cmp_eq_u32_e32 vcc_lo, 0, v15
	s_waitcnt lgkmcnt(0)
	v_dual_max_f32 v5, v5, v5 :: v_dual_lshlrev_b32 v6, 2, v6
	s_delay_alu instid0(VALU_DEP_1)
	v_max_f32_e32 v1, v1, v5
	v_lshlrev_b32_e32 v5, 2, v13
	ds_bpermute_b32 v7, v6, v1
	s_and_saveexec_b32 s0, vcc_lo
	s_cbranch_execz .LBB138_21
; %bb.20:
	s_waitcnt lgkmcnt(0)
	v_max_f32_e32 v7, v7, v7
	v_max_f32_e32 v1, v1, v1
	s_delay_alu instid0(VALU_DEP_1)
	v_max_f32_e32 v1, v1, v7
	ds_store_b32 v5, v1 offset:192
.LBB138_21:
	s_or_b32 exec_lo, exec_lo, s0
	v_cmp_gt_u32_e64 s0, 4, v15
	v_dual_mov_b32 v1, 0xff7fffff :: v_dual_lshlrev_b32 v16, 2, v15
	s_waitcnt lgkmcnt(0)
	s_barrier
	buffer_gl0_inv
	s_and_saveexec_b32 s1, s0
	s_cbranch_execz .LBB138_23
; %bb.22:
	ds_load_b32 v1, v16 offset:192
.LBB138_23:
	s_or_b32 exec_lo, exec_lo, s1
	v_xor_b32_e32 v7, 2, v3
	v_xor_b32_e32 v9, 1, v3
	s_delay_alu instid0(VALU_DEP_2) | instskip(NEXT) | instid1(VALU_DEP_1)
	v_cmp_gt_i32_e64 s1, 32, v7
	v_cndmask_b32_e64 v7, v3, v7, s1
	s_delay_alu instid0(VALU_DEP_3) | instskip(NEXT) | instid1(VALU_DEP_2)
	v_cmp_gt_i32_e64 s1, 32, v9
	v_lshlrev_b32_e32 v7, 2, v7
	s_delay_alu instid0(VALU_DEP_2) | instskip(SKIP_1) | instid1(SALU_CYCLE_1)
	v_cndmask_b32_e64 v3, v3, v9, s1
	s_sub_i32 s1, s8, s7
	s_lshl_b32 s1, s1, 3
	s_waitcnt lgkmcnt(0)
	ds_bpermute_b32 v8, v7, v1
	v_max_f32_e32 v1, v1, v1
	s_add_i32 s1, s1, s38
	s_delay_alu instid0(SALU_CYCLE_1) | instskip(NEXT) | instid1(SALU_CYCLE_1)
	s_min_i32 s1, s1, s15
	s_sub_i32 s6, s1, s38
	s_delay_alu instid0(SALU_CYCLE_1) | instskip(SKIP_2) | instid1(VALU_DEP_1)
	v_cmp_gt_i32_e64 s1, s6, v0
	s_waitcnt lgkmcnt(0)
	v_dual_max_f32 v9, v8, v8 :: v_dual_lshlrev_b32 v8, 2, v3
	v_max_f32_e32 v1, v1, v9
	v_mov_b32_e32 v9, 0
	ds_bpermute_b32 v3, v8, v1
	s_waitcnt lgkmcnt(0)
	v_max_f32_e32 v3, v3, v3
	s_delay_alu instid0(VALU_DEP_1)
	v_max_f32_e32 v1, v1, v3
	v_lshl_add_u32 v3, v0, 2, 0xe0
	ds_bpermute_b32 v1, v9, v1
	s_and_saveexec_b32 s7, s1
	s_cbranch_execz .LBB138_27
; %bb.24:
	v_lshl_add_u32 v12, v0, 2, 0xe0
	v_mov_b32_e32 v9, 0
	v_mov_b32_e32 v17, v0
	s_mov_b32 s35, 0
	.p2align	6
.LBB138_25:                             ; =>This Inner Loop Header: Depth=1
	ds_load_b32 v18, v12
	v_add_nc_u32_e32 v17, 0x80, v17
	s_delay_alu instid0(VALU_DEP_1) | instskip(NEXT) | instid1(VALU_DEP_1)
	v_cmp_le_i32_e64 s3, s6, v17
	s_or_b32 s35, s3, s35
	s_waitcnt lgkmcnt(0)
	v_sub_f32_e32 v18, v18, v1
	s_delay_alu instid0(VALU_DEP_1) | instskip(NEXT) | instid1(VALU_DEP_1)
	v_mul_f32_e32 v18, 0x3fb8aa3b, v18
	v_exp_f32_e32 v18, v18
	ds_store_b32 v12, v18
	v_dual_add_f32 v9, v9, v18 :: v_dual_add_nc_u32 v12, 0x200, v12
	s_and_not1_b32 exec_lo, exec_lo, s35
	s_cbranch_execnz .LBB138_25
; %bb.26:
	s_or_b32 exec_lo, exec_lo, s35
.LBB138_27:
	s_delay_alu instid0(SALU_CYCLE_1)
	s_or_b32 exec_lo, exec_lo, s7
	ds_bpermute_b32 v2, v2, v9
	s_waitcnt lgkmcnt(0)
	v_add_f32_e32 v2, v9, v2
	ds_bpermute_b32 v4, v4, v2
	s_waitcnt lgkmcnt(0)
	v_add_f32_e32 v2, v2, v4
	;; [unrolled: 3-line block ×5, first 2 shown]
	s_and_saveexec_b32 s3, vcc_lo
	s_cbranch_execz .LBB138_29
; %bb.28:
	ds_store_b32 v5, v2 offset:208
.LBB138_29:
	s_or_b32 exec_lo, exec_lo, s3
	s_waitcnt lgkmcnt(0)
	s_barrier
	buffer_gl0_inv
	s_and_saveexec_b32 s3, s0
	s_cbranch_execz .LBB138_31
; %bb.30:
	ds_load_b32 v2, v16 offset:208
.LBB138_31:
	s_or_b32 exec_lo, exec_lo, s3
	s_waitcnt lgkmcnt(0)
	ds_bpermute_b32 v4, v7, v2
	s_waitcnt lgkmcnt(0)
	v_add_f32_e32 v2, v2, v4
	ds_bpermute_b32 v4, v8, v2
	s_waitcnt lgkmcnt(0)
	v_add_f32_e32 v2, v2, v4
	v_mov_b32_e32 v4, 0
	ds_bpermute_b32 v2, v4, v2
	s_and_saveexec_b32 s0, s1
	s_cbranch_execz .LBB138_34
; %bb.32:
	s_waitcnt lgkmcnt(0)
	v_add_f32_e32 v4, 0x358637bd, v2
	s_mov_b32 s1, 0
	s_delay_alu instid0(VALU_DEP_1) | instskip(SKIP_1) | instid1(VALU_DEP_2)
	v_div_scale_f32 v5, null, v4, v4, 1.0
	v_div_scale_f32 v8, vcc_lo, 1.0, v4, 1.0
	v_rcp_f32_e32 v6, v5
	s_waitcnt_depctr 0xfff
	v_fma_f32 v7, -v5, v6, 1.0
	s_delay_alu instid0(VALU_DEP_1) | instskip(NEXT) | instid1(VALU_DEP_1)
	v_fmac_f32_e32 v6, v7, v6
	v_mul_f32_e32 v7, v8, v6
	s_delay_alu instid0(VALU_DEP_1) | instskip(NEXT) | instid1(VALU_DEP_1)
	v_fma_f32 v9, -v5, v7, v8
	v_fmac_f32_e32 v7, v9, v6
	s_delay_alu instid0(VALU_DEP_1) | instskip(NEXT) | instid1(VALU_DEP_1)
	v_fma_f32 v5, -v5, v7, v8
	v_div_fmas_f32 v5, v5, v6, v7
	s_delay_alu instid0(VALU_DEP_1)
	v_div_fixup_f32 v4, v5, v4, 1.0
	v_mov_b32_e32 v5, v0
.LBB138_33:                             ; =>This Inner Loop Header: Depth=1
	ds_load_b32 v6, v3
	s_waitcnt lgkmcnt(0)
	v_dual_mul_f32 v6, v4, v6 :: v_dual_add_nc_u32 v5, 0x80, v5
	s_delay_alu instid0(VALU_DEP_1) | instskip(SKIP_3) | instid1(SALU_CYCLE_1)
	v_cmp_le_i32_e32 vcc_lo, s6, v5
	ds_store_b32 v3, v6
	v_add_nc_u32_e32 v3, 0x200, v3
	s_or_b32 s1, vcc_lo, s1
	s_and_not1_b32 exec_lo, exec_lo, s1
	s_cbranch_execnz .LBB138_33
.LBB138_34:
	s_or_b32 exec_lo, exec_lo, s0
	s_mul_i32 s0, s4, s14
	s_waitcnt lgkmcnt(0)
	s_mul_i32 s6, s0, s13
	s_mov_b32 s0, exec_lo
	s_barrier
	buffer_gl0_inv
	v_cmpx_eq_u32_e32 0, v0
	s_cbranch_execz .LBB138_36
; %bb.35:
	s_ashr_i32 s7, s6, 31
	s_mul_i32 s42, s4, s24
	s_lshl_b64 s[40:41], s[6:7], 2
	v_mov_b32_e32 v3, 0
	s_add_u32 s1, s18, s40
	s_addc_u32 s3, s19, s41
	s_ashr_i32 s43, s42, 31
	s_delay_alu instid0(SALU_CYCLE_1) | instskip(NEXT) | instid1(SALU_CYCLE_1)
	s_lshl_b64 s[18:19], s[42:43], 2
	s_add_u32 s1, s1, s18
	s_addc_u32 s3, s3, s19
	s_ashr_i32 s13, s12, 31
	s_delay_alu instid0(SALU_CYCLE_1) | instskip(NEXT) | instid1(SALU_CYCLE_1)
	s_lshl_b64 s[42:43], s[12:13], 2
	s_add_u32 s44, s1, s42
	s_addc_u32 s45, s3, s43
	s_add_u32 s1, s16, s40
	s_addc_u32 s3, s17, s41
	;; [unrolled: 2-line block ×4, first 2 shown]
	s_clause 0x1
	global_store_b32 v3, v1, s[44:45]
	global_store_b32 v3, v2, s[16:17]
.LBB138_36:
	s_or_b32 exec_lo, exec_lo, s0
	v_dual_mov_b32 v9, 0 :: v_dual_mov_b32 v18, 0
	v_mov_b32_e32 v17, 0
	s_mov_b32 s3, 0
	s_and_saveexec_b32 s1, s2
	s_cbranch_execz .LBB138_176
; %bb.37:
	s_ashr_i32 s35, s34, 31
	s_sub_i32 s2, s39, s9
	s_lshl_b64 s[16:17], s[34:35], 1
	v_lshlrev_b32_e32 v5, 4, v15
	s_add_u32 s0, s30, s16
	s_addc_u32 s13, s31, s17
	s_abs_i32 s7, s10
	s_lshl_b64 s[16:17], s[28:29], 2
	v_cvt_f32_u32_e32 v1, s7
	s_sub_i32 s9, 0, s7
	v_add_co_u32 v20, s0, s0, v5
	s_delay_alu instid0(VALU_DEP_1) | instskip(NEXT) | instid1(VALU_DEP_3)
	v_add_co_ci_u32_e64 v21, null, s13, 0, s0
	v_rcp_iflag_f32_e32 v1, v1
	v_lshl_add_u32 v19, v13, 5, 0xe0
	v_mov_b32_e32 v18, 0
	s_delay_alu instid0(VALU_DEP_1) | instskip(SKIP_2) | instid1(VALU_DEP_1)
	v_mov_b32_e32 v9, v18
	s_waitcnt_depctr 0xfff
	v_mul_f32_e32 v1, 0x4f7ffffe, v1
	v_cvt_u32_f32_e32 v3, v1
	v_lshlrev_b64 v[1:2], 2, v[10:11]
	s_delay_alu instid0(VALU_DEP_2) | instskip(SKIP_3) | instid1(VALU_DEP_2)
	v_mul_lo_u32 v4, s9, v3
	s_add_i32 s9, s36, -1
	s_add_u32 s0, s26, s16
	s_addc_u32 s10, s27, s17
	v_add_co_u32 v11, vcc_lo, s0, v1
	v_add_co_ci_u32_e32 v12, vcc_lo, s10, v2, vcc_lo
	s_delay_alu instid0(VALU_DEP_3) | instskip(NEXT) | instid1(VALU_DEP_1)
	v_mul_hi_u32 v4, v3, v4
	v_dual_mov_b32 v17, v18 :: v_dual_add_nc_u32 v22, v3, v4
	s_branch .LBB138_40
.LBB138_38:                             ;   in Loop: Header=BB138_40 Depth=1
	s_or_b32 exec_lo, exec_lo, s0
	v_and_b32_e32 v23, 0xffff0000, v23
	v_and_b32_e32 v8, 0xffff0000, v8
	;; [unrolled: 1-line block ×9, first 2 shown]
	v_add_f32_e32 v7, v7, v8
	v_add_f32_e32 v8, v23, v24
	v_and_b32_e32 v33, 0xffff0000, v44
	v_and_b32_e32 v31, 0xffff0000, v47
	;; [unrolled: 1-line block ×4, first 2 shown]
	s_delay_alu instid0(VALU_DEP_4) | instskip(NEXT) | instid1(VALU_DEP_4)
	v_dual_add_f32 v32, v33, v32 :: v_dual_and_b32 v3, 0xffff0000, v3
	v_add_f32_e32 v31, v34, v31
	v_dual_add_f32 v34, v36, v35 :: v_dual_and_b32 v1, 0xffff0000, v1
	v_and_b32_e32 v25, 0xffff0000, v25
	s_delay_alu instid0(VALU_DEP_3) | instskip(NEXT) | instid1(VALU_DEP_1)
	v_add_f32_e32 v31, v32, v31
	v_dual_add_f32 v31, v31, v34 :: v_dual_and_b32 v4, 0xffff0000, v4
	v_and_b32_e32 v23, 0xffff0000, v30
	v_and_b32_e32 v29, 0xffff0000, v29
	s_delay_alu instid0(VALU_DEP_1) | instskip(SKIP_1) | instid1(VALU_DEP_1)
	v_dual_add_f32 v2, v2, v29 :: v_dual_and_b32 v33, 0xffff0000, v50
	v_and_b32_e32 v6, 0xffff0000, v6
	v_dual_add_f32 v1, v1, v6 :: v_dual_and_b32 v32, 0xffff0000, v51
	v_dual_add_f32 v6, v7, v8 :: v_dual_add_f32 v7, v25, v26
	s_delay_alu instid0(VALU_DEP_2) | instskip(SKIP_1) | instid1(VALU_DEP_2)
	v_dual_add_f32 v1, v1, v2 :: v_dual_add_f32 v2, v3, v23
	v_and_b32_e32 v28, 0xffff0000, v28
	v_dual_add_f32 v6, v6, v7 :: v_dual_add_f32 v1, v1, v2
	s_delay_alu instid0(VALU_DEP_2) | instskip(SKIP_1) | instid1(VALU_DEP_1)
	v_add_f32_e32 v7, v27, v28
	v_and_b32_e32 v3, 0xffff0000, v5
	v_dual_add_f32 v5, v33, v32 :: v_dual_add_f32 v2, v4, v3
	s_delay_alu instid0(VALU_DEP_1) | instskip(NEXT) | instid1(VALU_DEP_1)
	v_dual_add_f32 v4, v6, v7 :: v_dual_add_f32 v3, v31, v5
	v_dual_add_f32 v1, v1, v2 :: v_dual_add_f32 v18, v18, v4
	s_delay_alu instid0(VALU_DEP_2) | instskip(NEXT) | instid1(VALU_DEP_2)
	v_add_f32_e32 v17, v17, v3
	v_add_f32_e32 v9, v9, v1
.LBB138_39:                             ;   in Loop: Header=BB138_40 Depth=1
	s_or_b32 exec_lo, exec_lo, s10
	v_add_nc_u32_e32 v10, 4, v10
	v_add_co_u32 v11, s0, v11, 16
	s_delay_alu instid0(VALU_DEP_1) | instskip(NEXT) | instid1(VALU_DEP_3)
	v_add_co_ci_u32_e64 v12, s0, 0, v12, s0
	v_cmp_le_i32_e32 vcc_lo, s8, v10
	v_add_nc_u32_e32 v14, 32, v14
	v_add_nc_u32_e32 v19, 0x80, v19
	s_or_b32 s3, vcc_lo, s3
	s_delay_alu instid0(SALU_CYCLE_1)
	s_and_not1_b32 exec_lo, exec_lo, s3
	s_cbranch_execz .LBB138_175
.LBB138_40:                             ; =>This Inner Loop Header: Depth=1
	v_sub_nc_u32_e32 v1, 0, v14
	s_delay_alu instid0(VALU_DEP_1) | instskip(NEXT) | instid1(VALU_DEP_1)
	v_max_i32_e32 v1, v14, v1
	v_mul_hi_u32 v2, v1, s25
	s_delay_alu instid0(VALU_DEP_1) | instskip(NEXT) | instid1(VALU_DEP_1)
	v_mul_lo_u32 v3, v2, s21
	v_sub_nc_u32_e32 v1, v1, v3
	v_add_nc_u32_e32 v3, 1, v2
	s_delay_alu instid0(VALU_DEP_2) | instskip(SKIP_1) | instid1(VALU_DEP_2)
	v_subrev_nc_u32_e32 v4, s21, v1
	v_cmp_le_u32_e32 vcc_lo, s21, v1
	v_dual_cndmask_b32 v2, v2, v3 :: v_dual_cndmask_b32 v1, v1, v4
	v_ashrrev_i32_e32 v3, 31, v14
	s_delay_alu instid0(VALU_DEP_2) | instskip(NEXT) | instid1(VALU_DEP_3)
	v_add_nc_u32_e32 v4, 1, v2
	v_cmp_le_u32_e32 vcc_lo, s21, v1
	s_delay_alu instid0(VALU_DEP_3) | instskip(NEXT) | instid1(VALU_DEP_3)
	v_xor_b32_e32 v3, s11, v3
	v_cndmask_b32_e32 v1, v2, v4, vcc_lo
	s_delay_alu instid0(VALU_DEP_1) | instskip(NEXT) | instid1(VALU_DEP_1)
	v_xor_b32_e32 v1, v1, v3
	v_sub_nc_u32_e32 v1, v1, v3
	s_delay_alu instid0(VALU_DEP_1) | instskip(SKIP_1) | instid1(VALU_DEP_2)
	v_add_nc_u32_e32 v2, s33, v1
	v_cmp_lt_i32_e64 s0, s2, v1
	v_sub_nc_u32_e32 v3, 0, v2
	s_delay_alu instid0(VALU_DEP_1) | instskip(NEXT) | instid1(VALU_DEP_1)
	v_max_i32_e32 v3, v2, v3
	v_mul_hi_u32 v4, v3, v22
	s_delay_alu instid0(VALU_DEP_1) | instskip(NEXT) | instid1(VALU_DEP_1)
	v_mul_lo_u32 v4, v4, s7
	v_sub_nc_u32_e32 v3, v3, v4
	s_delay_alu instid0(VALU_DEP_1) | instskip(SKIP_1) | instid1(VALU_DEP_2)
	v_subrev_nc_u32_e32 v4, s7, v3
	v_cmp_le_u32_e32 vcc_lo, s7, v3
	v_cndmask_b32_e32 v3, v3, v4, vcc_lo
	v_ashrrev_i32_e32 v2, 31, v2
	s_delay_alu instid0(VALU_DEP_2) | instskip(SKIP_1) | instid1(VALU_DEP_2)
	v_subrev_nc_u32_e32 v4, s7, v3
	v_cmp_le_u32_e32 vcc_lo, s7, v3
	v_cndmask_b32_e32 v3, v3, v4, vcc_lo
	s_delay_alu instid0(VALU_DEP_1) | instskip(NEXT) | instid1(VALU_DEP_1)
	v_xor_b32_e32 v3, v3, v2
	v_sub_nc_u32_e32 v2, v3, v2
	s_delay_alu instid0(VALU_DEP_1) | instskip(SKIP_1) | instid1(SALU_CYCLE_1)
	v_cmp_eq_u32_e32 vcc_lo, 0, v2
	s_or_b32 s0, vcc_lo, s0
	s_and_saveexec_b32 s10, s0
	s_cbranch_execz .LBB138_39
; %bb.41:                               ;   in Loop: Header=BB138_40 Depth=1
	global_load_b32 v29, v[11:12], off
	ds_load_2addr_b64 v[5:8], v19 offset1:1
	ds_load_2addr_b64 v[1:4], v19 offset0:2 offset1:3
	s_mov_b32 s0, exec_lo
                                        ; implicit-def: $vgpr36
	s_waitcnt lgkmcnt(1)
	v_and_b32_e32 v23, 0x7f800000, v5
	s_delay_alu instid0(VALU_DEP_1)
	v_cmpx_ne_u32_e32 0x7f800000, v23
	s_xor_b32 s0, exec_lo, s0
; %bb.42:                               ;   in Loop: Header=BB138_40 Depth=1
	v_bfe_u32 v23, v5, 16, 1
	s_delay_alu instid0(VALU_DEP_1)
	v_add3_u32 v36, v5, v23, 0x7fff
; %bb.43:                               ;   in Loop: Header=BB138_40 Depth=1
	s_and_not1_saveexec_b32 s0, s0
; %bb.44:                               ;   in Loop: Header=BB138_40 Depth=1
	v_and_b32_e32 v23, 0xffff, v5
	v_or_b32_e32 v24, 0x10000, v5
	s_delay_alu instid0(VALU_DEP_2) | instskip(NEXT) | instid1(VALU_DEP_2)
	v_cmp_eq_u32_e32 vcc_lo, 0, v23
	v_cndmask_b32_e32 v36, v24, v5, vcc_lo
; %bb.45:                               ;   in Loop: Header=BB138_40 Depth=1
	s_or_b32 exec_lo, exec_lo, s0
	v_and_b32_e32 v5, 0x7f800000, v6
	s_mov_b32 s0, exec_lo
                                        ; implicit-def: $vgpr37
	s_delay_alu instid0(VALU_DEP_1)
	v_cmpx_ne_u32_e32 0x7f800000, v5
	s_xor_b32 s0, exec_lo, s0
; %bb.46:                               ;   in Loop: Header=BB138_40 Depth=1
	v_bfe_u32 v5, v6, 16, 1
	s_delay_alu instid0(VALU_DEP_1)
	v_add3_u32 v37, v6, v5, 0x7fff
; %bb.47:                               ;   in Loop: Header=BB138_40 Depth=1
	s_and_not1_saveexec_b32 s0, s0
; %bb.48:                               ;   in Loop: Header=BB138_40 Depth=1
	v_and_b32_e32 v5, 0xffff, v6
	v_or_b32_e32 v23, 0x10000, v6
	s_delay_alu instid0(VALU_DEP_2) | instskip(NEXT) | instid1(VALU_DEP_2)
	v_cmp_eq_u32_e32 vcc_lo, 0, v5
	v_cndmask_b32_e32 v37, v23, v6, vcc_lo
; %bb.49:                               ;   in Loop: Header=BB138_40 Depth=1
	s_or_b32 exec_lo, exec_lo, s0
	v_and_b32_e32 v5, 0x7f800000, v7
	s_mov_b32 s0, exec_lo
                                        ; implicit-def: $vgpr23
	s_delay_alu instid0(VALU_DEP_1)
	v_cmpx_ne_u32_e32 0x7f800000, v5
	s_xor_b32 s0, exec_lo, s0
; %bb.50:                               ;   in Loop: Header=BB138_40 Depth=1
	v_bfe_u32 v5, v7, 16, 1
	s_delay_alu instid0(VALU_DEP_1)
	v_add3_u32 v23, v7, v5, 0x7fff
; %bb.51:                               ;   in Loop: Header=BB138_40 Depth=1
	s_and_not1_saveexec_b32 s0, s0
; %bb.52:                               ;   in Loop: Header=BB138_40 Depth=1
	v_and_b32_e32 v5, 0xffff, v7
	v_or_b32_e32 v6, 0x10000, v7
	s_delay_alu instid0(VALU_DEP_2) | instskip(NEXT) | instid1(VALU_DEP_2)
	v_cmp_eq_u32_e32 vcc_lo, 0, v5
	v_cndmask_b32_e32 v23, v6, v7, vcc_lo
; %bb.53:                               ;   in Loop: Header=BB138_40 Depth=1
	s_or_b32 exec_lo, exec_lo, s0
	v_and_b32_e32 v5, 0x7f800000, v8
	s_mov_b32 s0, exec_lo
                                        ; implicit-def: $vgpr24
	s_delay_alu instid0(VALU_DEP_1)
	v_cmpx_ne_u32_e32 0x7f800000, v5
	s_xor_b32 s0, exec_lo, s0
; %bb.54:                               ;   in Loop: Header=BB138_40 Depth=1
	v_bfe_u32 v5, v8, 16, 1
	s_delay_alu instid0(VALU_DEP_1)
	v_add3_u32 v24, v8, v5, 0x7fff
                                        ; implicit-def: $vgpr5_vgpr6_vgpr7_vgpr8
; %bb.55:                               ;   in Loop: Header=BB138_40 Depth=1
	s_and_not1_saveexec_b32 s0, s0
; %bb.56:                               ;   in Loop: Header=BB138_40 Depth=1
	v_and_b32_e32 v5, 0xffff, v8
	v_or_b32_e32 v6, 0x10000, v8
	s_delay_alu instid0(VALU_DEP_2) | instskip(NEXT) | instid1(VALU_DEP_2)
	v_cmp_eq_u32_e32 vcc_lo, 0, v5
	v_cndmask_b32_e32 v24, v6, v8, vcc_lo
; %bb.57:                               ;   in Loop: Header=BB138_40 Depth=1
	s_or_b32 exec_lo, exec_lo, s0
	s_waitcnt lgkmcnt(0)
	v_and_b32_e32 v5, 0x7f800000, v1
	s_mov_b32 s0, exec_lo
                                        ; implicit-def: $vgpr25
	s_delay_alu instid0(VALU_DEP_1)
	v_cmpx_ne_u32_e32 0x7f800000, v5
	s_xor_b32 s0, exec_lo, s0
; %bb.58:                               ;   in Loop: Header=BB138_40 Depth=1
	v_bfe_u32 v5, v1, 16, 1
	s_delay_alu instid0(VALU_DEP_1)
	v_add3_u32 v25, v1, v5, 0x7fff
; %bb.59:                               ;   in Loop: Header=BB138_40 Depth=1
	s_and_not1_saveexec_b32 s0, s0
; %bb.60:                               ;   in Loop: Header=BB138_40 Depth=1
	v_and_b32_e32 v5, 0xffff, v1
	v_or_b32_e32 v6, 0x10000, v1
	s_delay_alu instid0(VALU_DEP_2) | instskip(NEXT) | instid1(VALU_DEP_2)
	v_cmp_eq_u32_e32 vcc_lo, 0, v5
	v_cndmask_b32_e32 v25, v6, v1, vcc_lo
; %bb.61:                               ;   in Loop: Header=BB138_40 Depth=1
	s_or_b32 exec_lo, exec_lo, s0
	v_and_b32_e32 v1, 0x7f800000, v2
	s_mov_b32 s0, exec_lo
                                        ; implicit-def: $vgpr26
	s_delay_alu instid0(VALU_DEP_1)
	v_cmpx_ne_u32_e32 0x7f800000, v1
	s_xor_b32 s0, exec_lo, s0
; %bb.62:                               ;   in Loop: Header=BB138_40 Depth=1
	v_bfe_u32 v1, v2, 16, 1
	s_delay_alu instid0(VALU_DEP_1)
	v_add3_u32 v26, v2, v1, 0x7fff
; %bb.63:                               ;   in Loop: Header=BB138_40 Depth=1
	s_and_not1_saveexec_b32 s0, s0
; %bb.64:                               ;   in Loop: Header=BB138_40 Depth=1
	v_and_b32_e32 v1, 0xffff, v2
	v_or_b32_e32 v5, 0x10000, v2
	s_delay_alu instid0(VALU_DEP_2) | instskip(NEXT) | instid1(VALU_DEP_2)
	v_cmp_eq_u32_e32 vcc_lo, 0, v1
	v_cndmask_b32_e32 v26, v5, v2, vcc_lo
; %bb.65:                               ;   in Loop: Header=BB138_40 Depth=1
	s_or_b32 exec_lo, exec_lo, s0
	v_and_b32_e32 v1, 0x7f800000, v3
	s_mov_b32 s0, exec_lo
                                        ; implicit-def: $vgpr27
	s_delay_alu instid0(VALU_DEP_1)
	v_cmpx_ne_u32_e32 0x7f800000, v1
	s_xor_b32 s0, exec_lo, s0
; %bb.66:                               ;   in Loop: Header=BB138_40 Depth=1
	v_bfe_u32 v1, v3, 16, 1
	s_delay_alu instid0(VALU_DEP_1)
	v_add3_u32 v27, v3, v1, 0x7fff
; %bb.67:                               ;   in Loop: Header=BB138_40 Depth=1
	s_and_not1_saveexec_b32 s0, s0
; %bb.68:                               ;   in Loop: Header=BB138_40 Depth=1
	v_and_b32_e32 v1, 0xffff, v3
	v_or_b32_e32 v2, 0x10000, v3
	s_delay_alu instid0(VALU_DEP_2) | instskip(NEXT) | instid1(VALU_DEP_2)
	v_cmp_eq_u32_e32 vcc_lo, 0, v1
	v_cndmask_b32_e32 v27, v2, v3, vcc_lo
; %bb.69:                               ;   in Loop: Header=BB138_40 Depth=1
	s_or_b32 exec_lo, exec_lo, s0
	v_and_b32_e32 v1, 0x7f800000, v4
	s_mov_b32 s0, exec_lo
                                        ; implicit-def: $vgpr28
	s_delay_alu instid0(VALU_DEP_1)
	v_cmpx_ne_u32_e32 0x7f800000, v1
	s_xor_b32 s0, exec_lo, s0
; %bb.70:                               ;   in Loop: Header=BB138_40 Depth=1
	v_bfe_u32 v1, v4, 16, 1
	s_delay_alu instid0(VALU_DEP_1)
	v_add3_u32 v28, v4, v1, 0x7fff
                                        ; implicit-def: $vgpr1_vgpr2_vgpr3_vgpr4
; %bb.71:                               ;   in Loop: Header=BB138_40 Depth=1
	s_and_not1_saveexec_b32 s0, s0
; %bb.72:                               ;   in Loop: Header=BB138_40 Depth=1
	v_and_b32_e32 v1, 0xffff, v4
	v_or_b32_e32 v2, 0x10000, v4
	s_delay_alu instid0(VALU_DEP_2) | instskip(NEXT) | instid1(VALU_DEP_2)
	v_cmp_eq_u32_e32 vcc_lo, 0, v1
	v_cndmask_b32_e32 v28, v2, v4, vcc_lo
; %bb.73:                               ;   in Loop: Header=BB138_40 Depth=1
	s_or_b32 exec_lo, exec_lo, s0
	s_waitcnt vmcnt(0)
	v_mad_i64_i32 v[1:2], null, v29, s5, 0
	v_add_nc_u32_e32 v35, 1, v14
	v_add_nc_u32_e32 v34, 2, v14
	v_add_nc_u32_e32 v32, 3, v14
	v_add_nc_u32_e32 v31, 4, v14
	v_add_nc_u32_e32 v30, 5, v14
	v_add_nc_u32_e32 v29, 6, v14
	v_lshlrev_b64 v[1:2], 1, v[1:2]
	v_add_nc_u32_e32 v33, 7, v14
	s_delay_alu instid0(VALU_DEP_2) | instskip(NEXT) | instid1(VALU_DEP_3)
	v_add_co_u32 v5, vcc_lo, v20, v1
	v_add_co_ci_u32_e32 v6, vcc_lo, v21, v2, vcc_lo
	v_cmp_eq_u32_e32 vcc_lo, s9, v10
	global_load_b128 v[1:4], v[5:6], off
	s_waitcnt vmcnt(0)
	v_lshrrev_b32_e32 v8, 16, v1
	v_lshrrev_b32_e32 v40, 16, v2
	;; [unrolled: 1-line block ×4, first 2 shown]
	s_and_saveexec_b32 s13, vcc_lo
	s_cbranch_execz .LBB138_75
; %bb.74:                               ;   in Loop: Header=BB138_40 Depth=1
	v_cmp_gt_i32_e64 s0, s15, v14
	s_delay_alu instid0(VALU_DEP_1) | instskip(SKIP_1) | instid1(VALU_DEP_1)
	v_cndmask_b32_e64 v1, 0, v1, s0
	v_cmp_gt_i32_e64 s0, s15, v35
	v_cndmask_b32_e64 v8, 0, v8, s0
	v_cmp_gt_i32_e64 s0, s15, v34
	s_delay_alu instid0(VALU_DEP_1) | instskip(SKIP_1) | instid1(VALU_DEP_1)
	v_cndmask_b32_e64 v2, 0, v2, s0
	v_cmp_gt_i32_e64 s0, s15, v32
	v_cndmask_b32_e64 v40, 0, v40, s0
	;; [unrolled: 5-line block ×4, first 2 shown]
.LBB138_75:                             ;   in Loop: Header=BB138_40 Depth=1
	s_or_b32 exec_lo, exec_lo, s13
	v_and_b32_e32 v36, 0xffff0000, v36
	v_lshlrev_b32_e32 v1, 16, v1
	s_delay_alu instid0(VALU_DEP_1) | instskip(NEXT) | instid1(VALU_DEP_1)
	v_mul_f32_e32 v1, v36, v1
	v_and_b32_e32 v7, 0x7f800000, v1
	s_delay_alu instid0(VALU_DEP_1) | instskip(NEXT) | instid1(VALU_DEP_1)
	v_cmp_ne_u32_e64 s0, 0x7f800000, v7
                                        ; implicit-def: $vgpr7
	s_and_saveexec_b32 s13, s0
	s_delay_alu instid0(SALU_CYCLE_1)
	s_xor_b32 s0, exec_lo, s13
; %bb.76:                               ;   in Loop: Header=BB138_40 Depth=1
	v_bfe_u32 v7, v1, 16, 1
	s_delay_alu instid0(VALU_DEP_1)
	v_add3_u32 v7, v1, v7, 0x7fff
                                        ; implicit-def: $vgpr1
; %bb.77:                               ;   in Loop: Header=BB138_40 Depth=1
	s_and_not1_saveexec_b32 s13, s0
; %bb.78:                               ;   in Loop: Header=BB138_40 Depth=1
	v_and_b32_e32 v7, 0xffff, v1
	v_or_b32_e32 v38, 0x10000, v1
	s_delay_alu instid0(VALU_DEP_2) | instskip(NEXT) | instid1(VALU_DEP_1)
	v_cmp_eq_u32_e64 s0, 0, v7
	v_cndmask_b32_e64 v7, v38, v1, s0
; %bb.79:                               ;   in Loop: Header=BB138_40 Depth=1
	s_or_b32 exec_lo, exec_lo, s13
	v_and_b32_e32 v37, 0xffff0000, v37
	v_lshlrev_b32_e32 v1, 16, v8
	s_delay_alu instid0(VALU_DEP_1) | instskip(NEXT) | instid1(VALU_DEP_1)
	v_mul_f32_e32 v1, v37, v1
	v_and_b32_e32 v8, 0x7f800000, v1
	s_delay_alu instid0(VALU_DEP_1) | instskip(NEXT) | instid1(VALU_DEP_1)
	v_cmp_ne_u32_e64 s0, 0x7f800000, v8
                                        ; implicit-def: $vgpr8
	s_and_saveexec_b32 s13, s0
	s_delay_alu instid0(SALU_CYCLE_1)
	s_xor_b32 s0, exec_lo, s13
; %bb.80:                               ;   in Loop: Header=BB138_40 Depth=1
	v_bfe_u32 v8, v1, 16, 1
	s_delay_alu instid0(VALU_DEP_1)
	v_add3_u32 v8, v1, v8, 0x7fff
                                        ; implicit-def: $vgpr1
; %bb.81:                               ;   in Loop: Header=BB138_40 Depth=1
	s_and_not1_saveexec_b32 s13, s0
; %bb.82:                               ;   in Loop: Header=BB138_40 Depth=1
	v_and_b32_e32 v8, 0xffff, v1
	v_or_b32_e32 v38, 0x10000, v1
	s_delay_alu instid0(VALU_DEP_2) | instskip(NEXT) | instid1(VALU_DEP_1)
	v_cmp_eq_u32_e64 s0, 0, v8
	v_cndmask_b32_e64 v8, v38, v1, s0
; %bb.83:                               ;   in Loop: Header=BB138_40 Depth=1
	s_or_b32 exec_lo, exec_lo, s13
	v_and_b32_e32 v38, 0xffff0000, v23
	v_lshlrev_b32_e32 v1, 16, v2
                                        ; implicit-def: $vgpr23
	s_delay_alu instid0(VALU_DEP_1) | instskip(NEXT) | instid1(VALU_DEP_1)
	v_mul_f32_e32 v1, v38, v1
	v_and_b32_e32 v2, 0x7f800000, v1
	s_delay_alu instid0(VALU_DEP_1) | instskip(NEXT) | instid1(VALU_DEP_1)
	v_cmp_ne_u32_e64 s0, 0x7f800000, v2
	s_and_saveexec_b32 s13, s0
	s_delay_alu instid0(SALU_CYCLE_1)
	s_xor_b32 s0, exec_lo, s13
; %bb.84:                               ;   in Loop: Header=BB138_40 Depth=1
	v_bfe_u32 v2, v1, 16, 1
	s_delay_alu instid0(VALU_DEP_1)
	v_add3_u32 v23, v1, v2, 0x7fff
                                        ; implicit-def: $vgpr1
; %bb.85:                               ;   in Loop: Header=BB138_40 Depth=1
	s_and_not1_saveexec_b32 s13, s0
; %bb.86:                               ;   in Loop: Header=BB138_40 Depth=1
	v_and_b32_e32 v2, 0xffff, v1
	v_or_b32_e32 v23, 0x10000, v1
	s_delay_alu instid0(VALU_DEP_2) | instskip(NEXT) | instid1(VALU_DEP_1)
	v_cmp_eq_u32_e64 s0, 0, v2
	v_cndmask_b32_e64 v23, v23, v1, s0
; %bb.87:                               ;   in Loop: Header=BB138_40 Depth=1
	s_or_b32 exec_lo, exec_lo, s13
	v_and_b32_e32 v39, 0xffff0000, v24
	v_lshlrev_b32_e32 v1, 16, v40
                                        ; implicit-def: $vgpr24
	s_delay_alu instid0(VALU_DEP_1) | instskip(NEXT) | instid1(VALU_DEP_1)
	v_mul_f32_e32 v1, v39, v1
	v_and_b32_e32 v2, 0x7f800000, v1
	s_delay_alu instid0(VALU_DEP_1) | instskip(NEXT) | instid1(VALU_DEP_1)
	v_cmp_ne_u32_e64 s0, 0x7f800000, v2
	s_and_saveexec_b32 s13, s0
	s_delay_alu instid0(SALU_CYCLE_1)
	s_xor_b32 s0, exec_lo, s13
; %bb.88:                               ;   in Loop: Header=BB138_40 Depth=1
	v_bfe_u32 v2, v1, 16, 1
	s_delay_alu instid0(VALU_DEP_1)
	v_add3_u32 v24, v1, v2, 0x7fff
                                        ; implicit-def: $vgpr1
; %bb.89:                               ;   in Loop: Header=BB138_40 Depth=1
	s_and_not1_saveexec_b32 s13, s0
; %bb.90:                               ;   in Loop: Header=BB138_40 Depth=1
	v_and_b32_e32 v2, 0xffff, v1
	v_or_b32_e32 v24, 0x10000, v1
	s_delay_alu instid0(VALU_DEP_2) | instskip(NEXT) | instid1(VALU_DEP_1)
	v_cmp_eq_u32_e64 s0, 0, v2
	v_cndmask_b32_e64 v24, v24, v1, s0
; %bb.91:                               ;   in Loop: Header=BB138_40 Depth=1
	s_or_b32 exec_lo, exec_lo, s13
	v_and_b32_e32 v40, 0xffff0000, v25
	v_lshlrev_b32_e32 v1, 16, v3
                                        ; implicit-def: $vgpr25
	s_delay_alu instid0(VALU_DEP_1) | instskip(NEXT) | instid1(VALU_DEP_1)
	v_mul_f32_e32 v1, v40, v1
	v_and_b32_e32 v2, 0x7f800000, v1
	s_delay_alu instid0(VALU_DEP_1) | instskip(NEXT) | instid1(VALU_DEP_1)
	v_cmp_ne_u32_e64 s0, 0x7f800000, v2
	s_and_saveexec_b32 s13, s0
	s_delay_alu instid0(SALU_CYCLE_1)
	s_xor_b32 s0, exec_lo, s13
; %bb.92:                               ;   in Loop: Header=BB138_40 Depth=1
	v_bfe_u32 v2, v1, 16, 1
	s_delay_alu instid0(VALU_DEP_1)
	v_add3_u32 v25, v1, v2, 0x7fff
                                        ; implicit-def: $vgpr1
; %bb.93:                               ;   in Loop: Header=BB138_40 Depth=1
	s_and_not1_saveexec_b32 s13, s0
; %bb.94:                               ;   in Loop: Header=BB138_40 Depth=1
	v_and_b32_e32 v2, 0xffff, v1
	v_or_b32_e32 v3, 0x10000, v1
	s_delay_alu instid0(VALU_DEP_2) | instskip(NEXT) | instid1(VALU_DEP_1)
	v_cmp_eq_u32_e64 s0, 0, v2
	v_cndmask_b32_e64 v25, v3, v1, s0
; %bb.95:                               ;   in Loop: Header=BB138_40 Depth=1
	s_or_b32 exec_lo, exec_lo, s13
	v_and_b32_e32 v41, 0xffff0000, v26
	v_lshlrev_b32_e32 v1, 16, v42
                                        ; implicit-def: $vgpr26
	s_delay_alu instid0(VALU_DEP_1) | instskip(NEXT) | instid1(VALU_DEP_1)
	v_mul_f32_e32 v1, v41, v1
	v_and_b32_e32 v2, 0x7f800000, v1
	s_delay_alu instid0(VALU_DEP_1) | instskip(NEXT) | instid1(VALU_DEP_1)
	v_cmp_ne_u32_e64 s0, 0x7f800000, v2
	s_and_saveexec_b32 s13, s0
	s_delay_alu instid0(SALU_CYCLE_1)
	s_xor_b32 s0, exec_lo, s13
; %bb.96:                               ;   in Loop: Header=BB138_40 Depth=1
	v_bfe_u32 v2, v1, 16, 1
	s_delay_alu instid0(VALU_DEP_1)
	v_add3_u32 v26, v1, v2, 0x7fff
                                        ; implicit-def: $vgpr1
; %bb.97:                               ;   in Loop: Header=BB138_40 Depth=1
	s_and_not1_saveexec_b32 s13, s0
; %bb.98:                               ;   in Loop: Header=BB138_40 Depth=1
	v_and_b32_e32 v2, 0xffff, v1
	v_or_b32_e32 v3, 0x10000, v1
	s_delay_alu instid0(VALU_DEP_2) | instskip(NEXT) | instid1(VALU_DEP_1)
	v_cmp_eq_u32_e64 s0, 0, v2
	v_cndmask_b32_e64 v26, v3, v1, s0
; %bb.99:                               ;   in Loop: Header=BB138_40 Depth=1
	s_or_b32 exec_lo, exec_lo, s13
	v_and_b32_e32 v42, 0xffff0000, v27
	v_lshlrev_b32_e32 v1, 16, v4
                                        ; implicit-def: $vgpr27
	s_delay_alu instid0(VALU_DEP_1) | instskip(NEXT) | instid1(VALU_DEP_1)
	v_mul_f32_e32 v1, v42, v1
	v_and_b32_e32 v2, 0x7f800000, v1
	s_delay_alu instid0(VALU_DEP_1) | instskip(NEXT) | instid1(VALU_DEP_1)
	v_cmp_ne_u32_e64 s0, 0x7f800000, v2
	s_and_saveexec_b32 s13, s0
	s_delay_alu instid0(SALU_CYCLE_1)
	s_xor_b32 s0, exec_lo, s13
; %bb.100:                              ;   in Loop: Header=BB138_40 Depth=1
	v_bfe_u32 v2, v1, 16, 1
	s_delay_alu instid0(VALU_DEP_1)
	v_add3_u32 v27, v1, v2, 0x7fff
                                        ; implicit-def: $vgpr1
; %bb.101:                              ;   in Loop: Header=BB138_40 Depth=1
	s_and_not1_saveexec_b32 s13, s0
; %bb.102:                              ;   in Loop: Header=BB138_40 Depth=1
	v_and_b32_e32 v2, 0xffff, v1
	v_or_b32_e32 v3, 0x10000, v1
	s_delay_alu instid0(VALU_DEP_2) | instskip(NEXT) | instid1(VALU_DEP_1)
	v_cmp_eq_u32_e64 s0, 0, v2
	v_cndmask_b32_e64 v27, v3, v1, s0
; %bb.103:                              ;   in Loop: Header=BB138_40 Depth=1
	s_or_b32 exec_lo, exec_lo, s13
	v_and_b32_e32 v43, 0xffff0000, v28
	v_lshlrev_b32_e32 v1, 16, v44
                                        ; implicit-def: $vgpr28
	s_delay_alu instid0(VALU_DEP_1) | instskip(NEXT) | instid1(VALU_DEP_1)
	v_mul_f32_e32 v1, v43, v1
	v_and_b32_e32 v2, 0x7f800000, v1
	s_delay_alu instid0(VALU_DEP_1) | instskip(NEXT) | instid1(VALU_DEP_1)
	v_cmp_ne_u32_e64 s0, 0x7f800000, v2
	s_and_saveexec_b32 s13, s0
	s_delay_alu instid0(SALU_CYCLE_1)
	s_xor_b32 s0, exec_lo, s13
; %bb.104:                              ;   in Loop: Header=BB138_40 Depth=1
	v_bfe_u32 v2, v1, 16, 1
	s_delay_alu instid0(VALU_DEP_1)
	v_add3_u32 v28, v1, v2, 0x7fff
                                        ; implicit-def: $vgpr1
; %bb.105:                              ;   in Loop: Header=BB138_40 Depth=1
	s_and_not1_saveexec_b32 s13, s0
; %bb.106:                              ;   in Loop: Header=BB138_40 Depth=1
	v_and_b32_e32 v2, 0xffff, v1
	v_or_b32_e32 v3, 0x10000, v1
	s_delay_alu instid0(VALU_DEP_2) | instskip(NEXT) | instid1(VALU_DEP_1)
	v_cmp_eq_u32_e64 s0, 0, v2
	v_cndmask_b32_e64 v28, v3, v1, s0
; %bb.107:                              ;   in Loop: Header=BB138_40 Depth=1
	s_or_b32 exec_lo, exec_lo, s13
	global_load_b128 v[1:4], v[5:6], off offset:512
	s_waitcnt vmcnt(0)
	v_lshrrev_b32_e32 v45, 16, v1
	v_lshrrev_b32_e32 v47, 16, v2
	;; [unrolled: 1-line block ×4, first 2 shown]
	s_and_saveexec_b32 s13, vcc_lo
	s_cbranch_execz .LBB138_109
; %bb.108:                              ;   in Loop: Header=BB138_40 Depth=1
	v_cmp_gt_i32_e64 s0, s15, v14
	s_delay_alu instid0(VALU_DEP_1) | instskip(SKIP_1) | instid1(VALU_DEP_1)
	v_cndmask_b32_e64 v1, 0, v1, s0
	v_cmp_gt_i32_e64 s0, s15, v35
	v_cndmask_b32_e64 v45, 0, v45, s0
	v_cmp_gt_i32_e64 s0, s15, v34
	s_delay_alu instid0(VALU_DEP_1) | instskip(SKIP_1) | instid1(VALU_DEP_1)
	v_cndmask_b32_e64 v2, 0, v2, s0
	v_cmp_gt_i32_e64 s0, s15, v32
	v_cndmask_b32_e64 v47, 0, v47, s0
	;; [unrolled: 5-line block ×4, first 2 shown]
.LBB138_109:                            ;   in Loop: Header=BB138_40 Depth=1
	s_or_b32 exec_lo, exec_lo, s13
	v_lshlrev_b32_e32 v1, 16, v1
	s_delay_alu instid0(VALU_DEP_1) | instskip(NEXT) | instid1(VALU_DEP_1)
	v_mul_f32_e32 v1, v36, v1
	v_and_b32_e32 v44, 0x7f800000, v1
	s_delay_alu instid0(VALU_DEP_1) | instskip(NEXT) | instid1(VALU_DEP_1)
	v_cmp_ne_u32_e64 s0, 0x7f800000, v44
                                        ; implicit-def: $vgpr44
	s_and_saveexec_b32 s13, s0
	s_delay_alu instid0(SALU_CYCLE_1)
	s_xor_b32 s0, exec_lo, s13
; %bb.110:                              ;   in Loop: Header=BB138_40 Depth=1
	v_bfe_u32 v44, v1, 16, 1
	s_delay_alu instid0(VALU_DEP_1)
	v_add3_u32 v44, v1, v44, 0x7fff
                                        ; implicit-def: $vgpr1
; %bb.111:                              ;   in Loop: Header=BB138_40 Depth=1
	s_and_not1_saveexec_b32 s13, s0
; %bb.112:                              ;   in Loop: Header=BB138_40 Depth=1
	v_and_b32_e32 v44, 0xffff, v1
	v_or_b32_e32 v46, 0x10000, v1
	s_delay_alu instid0(VALU_DEP_2) | instskip(NEXT) | instid1(VALU_DEP_1)
	v_cmp_eq_u32_e64 s0, 0, v44
	v_cndmask_b32_e64 v44, v46, v1, s0
; %bb.113:                              ;   in Loop: Header=BB138_40 Depth=1
	s_or_b32 exec_lo, exec_lo, s13
	v_lshlrev_b32_e32 v1, 16, v45
	s_delay_alu instid0(VALU_DEP_1) | instskip(NEXT) | instid1(VALU_DEP_1)
	v_mul_f32_e32 v1, v37, v1
	v_and_b32_e32 v45, 0x7f800000, v1
	s_delay_alu instid0(VALU_DEP_1) | instskip(NEXT) | instid1(VALU_DEP_1)
	v_cmp_ne_u32_e64 s0, 0x7f800000, v45
                                        ; implicit-def: $vgpr45
	s_and_saveexec_b32 s13, s0
	s_delay_alu instid0(SALU_CYCLE_1)
	s_xor_b32 s0, exec_lo, s13
; %bb.114:                              ;   in Loop: Header=BB138_40 Depth=1
	v_bfe_u32 v45, v1, 16, 1
	s_delay_alu instid0(VALU_DEP_1)
	v_add3_u32 v45, v1, v45, 0x7fff
                                        ; implicit-def: $vgpr1
; %bb.115:                              ;   in Loop: Header=BB138_40 Depth=1
	s_and_not1_saveexec_b32 s13, s0
; %bb.116:                              ;   in Loop: Header=BB138_40 Depth=1
	v_and_b32_e32 v45, 0xffff, v1
	v_or_b32_e32 v46, 0x10000, v1
	s_delay_alu instid0(VALU_DEP_2) | instskip(NEXT) | instid1(VALU_DEP_1)
	v_cmp_eq_u32_e64 s0, 0, v45
	v_cndmask_b32_e64 v45, v46, v1, s0
; %bb.117:                              ;   in Loop: Header=BB138_40 Depth=1
	s_or_b32 exec_lo, exec_lo, s13
	v_lshlrev_b32_e32 v1, 16, v2
                                        ; implicit-def: $vgpr46
	s_delay_alu instid0(VALU_DEP_1) | instskip(NEXT) | instid1(VALU_DEP_1)
	v_mul_f32_e32 v1, v38, v1
	v_and_b32_e32 v2, 0x7f800000, v1
	s_delay_alu instid0(VALU_DEP_1) | instskip(NEXT) | instid1(VALU_DEP_1)
	v_cmp_ne_u32_e64 s0, 0x7f800000, v2
	s_and_saveexec_b32 s13, s0
	s_delay_alu instid0(SALU_CYCLE_1)
	s_xor_b32 s0, exec_lo, s13
; %bb.118:                              ;   in Loop: Header=BB138_40 Depth=1
	v_bfe_u32 v2, v1, 16, 1
	s_delay_alu instid0(VALU_DEP_1)
	v_add3_u32 v46, v1, v2, 0x7fff
                                        ; implicit-def: $vgpr1
; %bb.119:                              ;   in Loop: Header=BB138_40 Depth=1
	s_and_not1_saveexec_b32 s13, s0
; %bb.120:                              ;   in Loop: Header=BB138_40 Depth=1
	v_and_b32_e32 v2, 0xffff, v1
	v_or_b32_e32 v46, 0x10000, v1
	s_delay_alu instid0(VALU_DEP_2) | instskip(NEXT) | instid1(VALU_DEP_1)
	v_cmp_eq_u32_e64 s0, 0, v2
	v_cndmask_b32_e64 v46, v46, v1, s0
; %bb.121:                              ;   in Loop: Header=BB138_40 Depth=1
	s_or_b32 exec_lo, exec_lo, s13
	v_lshlrev_b32_e32 v1, 16, v47
                                        ; implicit-def: $vgpr47
	s_delay_alu instid0(VALU_DEP_1) | instskip(NEXT) | instid1(VALU_DEP_1)
	v_mul_f32_e32 v1, v39, v1
	v_and_b32_e32 v2, 0x7f800000, v1
	s_delay_alu instid0(VALU_DEP_1) | instskip(NEXT) | instid1(VALU_DEP_1)
	v_cmp_ne_u32_e64 s0, 0x7f800000, v2
	s_and_saveexec_b32 s13, s0
	s_delay_alu instid0(SALU_CYCLE_1)
	s_xor_b32 s0, exec_lo, s13
; %bb.122:                              ;   in Loop: Header=BB138_40 Depth=1
	v_bfe_u32 v2, v1, 16, 1
	s_delay_alu instid0(VALU_DEP_1)
	v_add3_u32 v47, v1, v2, 0x7fff
                                        ; implicit-def: $vgpr1
; %bb.123:                              ;   in Loop: Header=BB138_40 Depth=1
	s_and_not1_saveexec_b32 s13, s0
; %bb.124:                              ;   in Loop: Header=BB138_40 Depth=1
	v_and_b32_e32 v2, 0xffff, v1
	v_or_b32_e32 v47, 0x10000, v1
	s_delay_alu instid0(VALU_DEP_2) | instskip(NEXT) | instid1(VALU_DEP_1)
	v_cmp_eq_u32_e64 s0, 0, v2
	v_cndmask_b32_e64 v47, v47, v1, s0
; %bb.125:                              ;   in Loop: Header=BB138_40 Depth=1
	s_or_b32 exec_lo, exec_lo, s13
	v_lshlrev_b32_e32 v1, 16, v3
                                        ; implicit-def: $vgpr48
	s_delay_alu instid0(VALU_DEP_1) | instskip(NEXT) | instid1(VALU_DEP_1)
	v_mul_f32_e32 v1, v40, v1
	v_and_b32_e32 v2, 0x7f800000, v1
	s_delay_alu instid0(VALU_DEP_1) | instskip(NEXT) | instid1(VALU_DEP_1)
	v_cmp_ne_u32_e64 s0, 0x7f800000, v2
	s_and_saveexec_b32 s13, s0
	s_delay_alu instid0(SALU_CYCLE_1)
	s_xor_b32 s0, exec_lo, s13
; %bb.126:                              ;   in Loop: Header=BB138_40 Depth=1
	v_bfe_u32 v2, v1, 16, 1
	s_delay_alu instid0(VALU_DEP_1)
	v_add3_u32 v48, v1, v2, 0x7fff
                                        ; implicit-def: $vgpr1
; %bb.127:                              ;   in Loop: Header=BB138_40 Depth=1
	s_and_not1_saveexec_b32 s13, s0
; %bb.128:                              ;   in Loop: Header=BB138_40 Depth=1
	v_and_b32_e32 v2, 0xffff, v1
	v_or_b32_e32 v3, 0x10000, v1
	s_delay_alu instid0(VALU_DEP_2) | instskip(NEXT) | instid1(VALU_DEP_1)
	v_cmp_eq_u32_e64 s0, 0, v2
	v_cndmask_b32_e64 v48, v3, v1, s0
; %bb.129:                              ;   in Loop: Header=BB138_40 Depth=1
	s_or_b32 exec_lo, exec_lo, s13
	v_lshlrev_b32_e32 v1, 16, v49
                                        ; implicit-def: $vgpr49
	s_delay_alu instid0(VALU_DEP_1) | instskip(NEXT) | instid1(VALU_DEP_1)
	v_mul_f32_e32 v1, v41, v1
	v_and_b32_e32 v2, 0x7f800000, v1
	s_delay_alu instid0(VALU_DEP_1) | instskip(NEXT) | instid1(VALU_DEP_1)
	v_cmp_ne_u32_e64 s0, 0x7f800000, v2
	s_and_saveexec_b32 s13, s0
	s_delay_alu instid0(SALU_CYCLE_1)
	s_xor_b32 s0, exec_lo, s13
; %bb.130:                              ;   in Loop: Header=BB138_40 Depth=1
	v_bfe_u32 v2, v1, 16, 1
	s_delay_alu instid0(VALU_DEP_1)
	v_add3_u32 v49, v1, v2, 0x7fff
                                        ; implicit-def: $vgpr1
; %bb.131:                              ;   in Loop: Header=BB138_40 Depth=1
	s_and_not1_saveexec_b32 s13, s0
; %bb.132:                              ;   in Loop: Header=BB138_40 Depth=1
	v_and_b32_e32 v2, 0xffff, v1
	v_or_b32_e32 v3, 0x10000, v1
	s_delay_alu instid0(VALU_DEP_2) | instskip(NEXT) | instid1(VALU_DEP_1)
	v_cmp_eq_u32_e64 s0, 0, v2
	v_cndmask_b32_e64 v49, v3, v1, s0
; %bb.133:                              ;   in Loop: Header=BB138_40 Depth=1
	s_or_b32 exec_lo, exec_lo, s13
	v_lshlrev_b32_e32 v1, 16, v4
                                        ; implicit-def: $vgpr50
	s_delay_alu instid0(VALU_DEP_1) | instskip(NEXT) | instid1(VALU_DEP_1)
	v_mul_f32_e32 v1, v42, v1
	v_and_b32_e32 v2, 0x7f800000, v1
	s_delay_alu instid0(VALU_DEP_1) | instskip(NEXT) | instid1(VALU_DEP_1)
	v_cmp_ne_u32_e64 s0, 0x7f800000, v2
	s_and_saveexec_b32 s13, s0
	s_delay_alu instid0(SALU_CYCLE_1)
	s_xor_b32 s0, exec_lo, s13
; %bb.134:                              ;   in Loop: Header=BB138_40 Depth=1
	v_bfe_u32 v2, v1, 16, 1
	s_delay_alu instid0(VALU_DEP_1)
	v_add3_u32 v50, v1, v2, 0x7fff
                                        ; implicit-def: $vgpr1
; %bb.135:                              ;   in Loop: Header=BB138_40 Depth=1
	s_and_not1_saveexec_b32 s13, s0
; %bb.136:                              ;   in Loop: Header=BB138_40 Depth=1
	v_and_b32_e32 v2, 0xffff, v1
	v_or_b32_e32 v3, 0x10000, v1
	s_delay_alu instid0(VALU_DEP_2) | instskip(NEXT) | instid1(VALU_DEP_1)
	v_cmp_eq_u32_e64 s0, 0, v2
	v_cndmask_b32_e64 v50, v3, v1, s0
; %bb.137:                              ;   in Loop: Header=BB138_40 Depth=1
	s_or_b32 exec_lo, exec_lo, s13
	v_lshlrev_b32_e32 v1, 16, v51
                                        ; implicit-def: $vgpr51
	s_delay_alu instid0(VALU_DEP_1) | instskip(NEXT) | instid1(VALU_DEP_1)
	v_mul_f32_e32 v1, v43, v1
	v_and_b32_e32 v2, 0x7f800000, v1
	s_delay_alu instid0(VALU_DEP_1) | instskip(NEXT) | instid1(VALU_DEP_1)
	v_cmp_ne_u32_e64 s0, 0x7f800000, v2
	s_and_saveexec_b32 s13, s0
	s_delay_alu instid0(SALU_CYCLE_1)
	s_xor_b32 s0, exec_lo, s13
; %bb.138:                              ;   in Loop: Header=BB138_40 Depth=1
	v_bfe_u32 v2, v1, 16, 1
	s_delay_alu instid0(VALU_DEP_1)
	v_add3_u32 v51, v1, v2, 0x7fff
                                        ; implicit-def: $vgpr1
; %bb.139:                              ;   in Loop: Header=BB138_40 Depth=1
	s_and_not1_saveexec_b32 s13, s0
; %bb.140:                              ;   in Loop: Header=BB138_40 Depth=1
	v_and_b32_e32 v2, 0xffff, v1
	v_or_b32_e32 v3, 0x10000, v1
	s_delay_alu instid0(VALU_DEP_2) | instskip(NEXT) | instid1(VALU_DEP_1)
	v_cmp_eq_u32_e64 s0, 0, v2
	v_cndmask_b32_e64 v51, v3, v1, s0
; %bb.141:                              ;   in Loop: Header=BB138_40 Depth=1
	s_or_b32 exec_lo, exec_lo, s13
	global_load_b128 v[1:4], v[5:6], off offset:1024
	s_waitcnt vmcnt(0)
	v_lshrrev_b32_e32 v6, 16, v1
	v_lshrrev_b32_e32 v53, 16, v2
	;; [unrolled: 1-line block ×4, first 2 shown]
	s_and_saveexec_b32 s0, vcc_lo
	s_cbranch_execz .LBB138_143
; %bb.142:                              ;   in Loop: Header=BB138_40 Depth=1
	v_cmp_gt_i32_e32 vcc_lo, s15, v14
	v_cndmask_b32_e32 v1, 0, v1, vcc_lo
	v_cmp_gt_i32_e32 vcc_lo, s15, v35
	v_cndmask_b32_e32 v6, 0, v6, vcc_lo
	;; [unrolled: 2-line block ×8, first 2 shown]
.LBB138_143:                            ;   in Loop: Header=BB138_40 Depth=1
	s_or_b32 exec_lo, exec_lo, s0
	v_lshlrev_b32_e32 v1, 16, v1
	s_delay_alu instid0(VALU_DEP_1) | instskip(NEXT) | instid1(VALU_DEP_1)
	v_mul_f32_e32 v29, v36, v1
	v_and_b32_e32 v1, 0x7f800000, v29
	s_delay_alu instid0(VALU_DEP_1) | instskip(SKIP_1) | instid1(SALU_CYCLE_1)
	v_cmp_ne_u32_e32 vcc_lo, 0x7f800000, v1
                                        ; implicit-def: $vgpr1
	s_and_saveexec_b32 s0, vcc_lo
	s_xor_b32 s0, exec_lo, s0
; %bb.144:                              ;   in Loop: Header=BB138_40 Depth=1
	v_bfe_u32 v1, v29, 16, 1
	s_delay_alu instid0(VALU_DEP_1)
	v_add3_u32 v1, v29, v1, 0x7fff
                                        ; implicit-def: $vgpr29
; %bb.145:                              ;   in Loop: Header=BB138_40 Depth=1
	s_and_not1_saveexec_b32 s0, s0
; %bb.146:                              ;   in Loop: Header=BB138_40 Depth=1
	v_and_b32_e32 v1, 0xffff, v29
	v_or_b32_e32 v30, 0x10000, v29
	s_delay_alu instid0(VALU_DEP_2) | instskip(NEXT) | instid1(VALU_DEP_2)
	v_cmp_eq_u32_e32 vcc_lo, 0, v1
	v_cndmask_b32_e32 v1, v30, v29, vcc_lo
; %bb.147:                              ;   in Loop: Header=BB138_40 Depth=1
	s_or_b32 exec_lo, exec_lo, s0
	v_lshlrev_b32_e32 v6, 16, v6
	s_delay_alu instid0(VALU_DEP_1) | instskip(NEXT) | instid1(VALU_DEP_1)
	v_mul_f32_e32 v29, v37, v6
	v_and_b32_e32 v6, 0x7f800000, v29
	s_delay_alu instid0(VALU_DEP_1) | instskip(SKIP_1) | instid1(SALU_CYCLE_1)
	v_cmp_ne_u32_e32 vcc_lo, 0x7f800000, v6
                                        ; implicit-def: $vgpr6
	s_and_saveexec_b32 s0, vcc_lo
	s_xor_b32 s0, exec_lo, s0
; %bb.148:                              ;   in Loop: Header=BB138_40 Depth=1
	v_bfe_u32 v6, v29, 16, 1
	s_delay_alu instid0(VALU_DEP_1)
	v_add3_u32 v6, v29, v6, 0x7fff
                                        ; implicit-def: $vgpr29
; %bb.149:                              ;   in Loop: Header=BB138_40 Depth=1
	s_and_not1_saveexec_b32 s0, s0
; %bb.150:                              ;   in Loop: Header=BB138_40 Depth=1
	v_and_b32_e32 v6, 0xffff, v29
	v_or_b32_e32 v30, 0x10000, v29
	s_delay_alu instid0(VALU_DEP_2) | instskip(NEXT) | instid1(VALU_DEP_2)
	v_cmp_eq_u32_e32 vcc_lo, 0, v6
	v_cndmask_b32_e32 v6, v30, v29, vcc_lo
; %bb.151:                              ;   in Loop: Header=BB138_40 Depth=1
	s_or_b32 exec_lo, exec_lo, s0
	v_lshlrev_b32_e32 v2, 16, v2
	s_delay_alu instid0(VALU_DEP_1) | instskip(NEXT) | instid1(VALU_DEP_1)
	v_mul_f32_e32 v29, v38, v2
	v_and_b32_e32 v2, 0x7f800000, v29
	s_delay_alu instid0(VALU_DEP_1) | instskip(SKIP_1) | instid1(SALU_CYCLE_1)
	v_cmp_ne_u32_e32 vcc_lo, 0x7f800000, v2
                                        ; implicit-def: $vgpr2
	s_and_saveexec_b32 s0, vcc_lo
	s_xor_b32 s0, exec_lo, s0
; %bb.152:                              ;   in Loop: Header=BB138_40 Depth=1
	v_bfe_u32 v2, v29, 16, 1
	s_delay_alu instid0(VALU_DEP_1)
	v_add3_u32 v2, v29, v2, 0x7fff
                                        ; implicit-def: $vgpr29
; %bb.153:                              ;   in Loop: Header=BB138_40 Depth=1
	s_and_not1_saveexec_b32 s0, s0
; %bb.154:                              ;   in Loop: Header=BB138_40 Depth=1
	v_and_b32_e32 v2, 0xffff, v29
	v_or_b32_e32 v30, 0x10000, v29
	s_delay_alu instid0(VALU_DEP_2) | instskip(NEXT) | instid1(VALU_DEP_2)
	v_cmp_eq_u32_e32 vcc_lo, 0, v2
	v_cndmask_b32_e32 v2, v30, v29, vcc_lo
; %bb.155:                              ;   in Loop: Header=BB138_40 Depth=1
	s_or_b32 exec_lo, exec_lo, s0
	v_lshlrev_b32_e32 v29, 16, v53
	s_delay_alu instid0(VALU_DEP_1) | instskip(NEXT) | instid1(VALU_DEP_1)
	v_mul_f32_e32 v30, v39, v29
	v_and_b32_e32 v29, 0x7f800000, v30
	s_delay_alu instid0(VALU_DEP_1) | instskip(SKIP_1) | instid1(SALU_CYCLE_1)
	v_cmp_ne_u32_e32 vcc_lo, 0x7f800000, v29
                                        ; implicit-def: $vgpr29
	s_and_saveexec_b32 s0, vcc_lo
	s_xor_b32 s0, exec_lo, s0
; %bb.156:                              ;   in Loop: Header=BB138_40 Depth=1
	v_bfe_u32 v29, v30, 16, 1
	s_delay_alu instid0(VALU_DEP_1)
	v_add3_u32 v29, v30, v29, 0x7fff
                                        ; implicit-def: $vgpr30
; %bb.157:                              ;   in Loop: Header=BB138_40 Depth=1
	s_and_not1_saveexec_b32 s0, s0
; %bb.158:                              ;   in Loop: Header=BB138_40 Depth=1
	v_and_b32_e32 v29, 0xffff, v30
	v_or_b32_e32 v31, 0x10000, v30
	s_delay_alu instid0(VALU_DEP_2) | instskip(NEXT) | instid1(VALU_DEP_2)
	v_cmp_eq_u32_e32 vcc_lo, 0, v29
	v_cndmask_b32_e32 v29, v31, v30, vcc_lo
; %bb.159:                              ;   in Loop: Header=BB138_40 Depth=1
	s_or_b32 exec_lo, exec_lo, s0
	v_lshlrev_b32_e32 v3, 16, v3
	s_delay_alu instid0(VALU_DEP_1) | instskip(NEXT) | instid1(VALU_DEP_1)
	v_mul_f32_e32 v30, v40, v3
	v_and_b32_e32 v3, 0x7f800000, v30
	s_delay_alu instid0(VALU_DEP_1) | instskip(SKIP_1) | instid1(SALU_CYCLE_1)
	v_cmp_ne_u32_e32 vcc_lo, 0x7f800000, v3
                                        ; implicit-def: $vgpr3
	s_and_saveexec_b32 s0, vcc_lo
	s_xor_b32 s0, exec_lo, s0
; %bb.160:                              ;   in Loop: Header=BB138_40 Depth=1
	v_bfe_u32 v3, v30, 16, 1
	s_delay_alu instid0(VALU_DEP_1)
	v_add3_u32 v3, v30, v3, 0x7fff
                                        ; implicit-def: $vgpr30
; %bb.161:                              ;   in Loop: Header=BB138_40 Depth=1
	s_and_not1_saveexec_b32 s0, s0
; %bb.162:                              ;   in Loop: Header=BB138_40 Depth=1
	v_and_b32_e32 v3, 0xffff, v30
	v_or_b32_e32 v31, 0x10000, v30
	s_delay_alu instid0(VALU_DEP_2) | instskip(NEXT) | instid1(VALU_DEP_2)
	v_cmp_eq_u32_e32 vcc_lo, 0, v3
	v_cndmask_b32_e32 v3, v31, v30, vcc_lo
; %bb.163:                              ;   in Loop: Header=BB138_40 Depth=1
	s_or_b32 exec_lo, exec_lo, s0
	v_lshlrev_b32_e32 v30, 16, v52
	s_delay_alu instid0(VALU_DEP_1) | instskip(NEXT) | instid1(VALU_DEP_1)
	v_mul_f32_e32 v31, v41, v30
	v_and_b32_e32 v30, 0x7f800000, v31
	s_delay_alu instid0(VALU_DEP_1) | instskip(SKIP_1) | instid1(SALU_CYCLE_1)
	v_cmp_ne_u32_e32 vcc_lo, 0x7f800000, v30
                                        ; implicit-def: $vgpr30
	s_and_saveexec_b32 s0, vcc_lo
	s_xor_b32 s0, exec_lo, s0
; %bb.164:                              ;   in Loop: Header=BB138_40 Depth=1
	v_bfe_u32 v30, v31, 16, 1
	s_delay_alu instid0(VALU_DEP_1)
	v_add3_u32 v30, v31, v30, 0x7fff
                                        ; implicit-def: $vgpr31
; %bb.165:                              ;   in Loop: Header=BB138_40 Depth=1
	s_and_not1_saveexec_b32 s0, s0
; %bb.166:                              ;   in Loop: Header=BB138_40 Depth=1
	v_and_b32_e32 v30, 0xffff, v31
	v_or_b32_e32 v32, 0x10000, v31
	s_delay_alu instid0(VALU_DEP_2) | instskip(NEXT) | instid1(VALU_DEP_2)
	v_cmp_eq_u32_e32 vcc_lo, 0, v30
	v_cndmask_b32_e32 v30, v32, v31, vcc_lo
; %bb.167:                              ;   in Loop: Header=BB138_40 Depth=1
	s_or_b32 exec_lo, exec_lo, s0
	v_lshlrev_b32_e32 v4, 16, v4
	s_delay_alu instid0(VALU_DEP_1) | instskip(NEXT) | instid1(VALU_DEP_1)
	v_mul_f32_e32 v31, v42, v4
	v_and_b32_e32 v4, 0x7f800000, v31
	s_delay_alu instid0(VALU_DEP_1) | instskip(SKIP_1) | instid1(SALU_CYCLE_1)
	v_cmp_ne_u32_e32 vcc_lo, 0x7f800000, v4
                                        ; implicit-def: $vgpr4
	s_and_saveexec_b32 s0, vcc_lo
	s_xor_b32 s0, exec_lo, s0
; %bb.168:                              ;   in Loop: Header=BB138_40 Depth=1
	v_bfe_u32 v4, v31, 16, 1
	s_delay_alu instid0(VALU_DEP_1)
	v_add3_u32 v4, v31, v4, 0x7fff
                                        ; implicit-def: $vgpr31
; %bb.169:                              ;   in Loop: Header=BB138_40 Depth=1
	s_and_not1_saveexec_b32 s0, s0
; %bb.170:                              ;   in Loop: Header=BB138_40 Depth=1
	v_and_b32_e32 v4, 0xffff, v31
	v_or_b32_e32 v32, 0x10000, v31
	s_delay_alu instid0(VALU_DEP_2) | instskip(NEXT) | instid1(VALU_DEP_2)
	v_cmp_eq_u32_e32 vcc_lo, 0, v4
	v_cndmask_b32_e32 v4, v32, v31, vcc_lo
; %bb.171:                              ;   in Loop: Header=BB138_40 Depth=1
	s_or_b32 exec_lo, exec_lo, s0
	v_lshlrev_b32_e32 v5, 16, v5
	s_delay_alu instid0(VALU_DEP_1) | instskip(NEXT) | instid1(VALU_DEP_1)
	v_mul_f32_e32 v31, v43, v5
	v_and_b32_e32 v5, 0x7f800000, v31
	s_delay_alu instid0(VALU_DEP_1) | instskip(SKIP_1) | instid1(SALU_CYCLE_1)
	v_cmp_ne_u32_e32 vcc_lo, 0x7f800000, v5
                                        ; implicit-def: $vgpr5
	s_and_saveexec_b32 s0, vcc_lo
	s_xor_b32 s0, exec_lo, s0
; %bb.172:                              ;   in Loop: Header=BB138_40 Depth=1
	v_bfe_u32 v5, v31, 16, 1
	s_delay_alu instid0(VALU_DEP_1)
	v_add3_u32 v5, v31, v5, 0x7fff
                                        ; implicit-def: $vgpr31
; %bb.173:                              ;   in Loop: Header=BB138_40 Depth=1
	s_and_not1_saveexec_b32 s0, s0
	s_cbranch_execz .LBB138_38
; %bb.174:                              ;   in Loop: Header=BB138_40 Depth=1
	v_and_b32_e32 v5, 0xffff, v31
	v_or_b32_e32 v32, 0x10000, v31
	s_delay_alu instid0(VALU_DEP_2) | instskip(NEXT) | instid1(VALU_DEP_2)
	v_cmp_eq_u32_e32 vcc_lo, 0, v5
	v_cndmask_b32_e32 v5, v32, v31, vcc_lo
	s_branch .LBB138_38
.LBB138_175:
	s_or_b32 exec_lo, exec_lo, s3
.LBB138_176:
	s_delay_alu instid0(SALU_CYCLE_1)
	s_or_b32 exec_lo, exec_lo, s1
	s_movk_i32 s0, 0x180
	v_and_b32_e32 v2, 0x3c0, v0
	v_mad_u32_u24 v1, v13, s0, 0xe0
	s_mov_b32 s0, exec_lo
	s_waitcnt_vscnt null, 0x0
	s_barrier
	buffer_gl0_inv
	v_cmpx_eq_u32_e32 64, v2
	s_cbranch_execz .LBB138_178
; %bb.177:
	v_add3_u32 v2, v1, v16, 0xfffffd00
	ds_store_2addr_b32 v2, v18, v17 offset1:32
	ds_store_b32 v2, v9 offset:256
.LBB138_178:
	s_or_b32 exec_lo, exec_lo, s0
	v_lshl_add_u32 v2, v15, 2, v1
	s_mov_b32 s0, exec_lo
	s_waitcnt lgkmcnt(0)
	s_barrier
	buffer_gl0_inv
	v_cmpx_gt_u32_e32 64, v0
	s_cbranch_execz .LBB138_180
; %bb.179:
	v_lshl_or_b32 v3, v0, 2, 0x80
	s_delay_alu instid0(VALU_DEP_1)
	v_add_nc_u32_e32 v5, v1, v3
	ds_load_2addr_stride64_b32 v[3:4], v2 offset1:1
	ds_load_b32 v5, v5
	s_waitcnt lgkmcnt(0)
	v_dual_add_f32 v18, v18, v3 :: v_dual_add_f32 v17, v17, v5
	v_add_f32_e32 v9, v9, v4
.LBB138_180:
	s_or_b32 exec_lo, exec_lo, s0
	v_and_b32_e32 v3, 0x3e0, v0
	s_mov_b32 s0, exec_lo
	s_barrier
	buffer_gl0_inv
	v_cmpx_eq_u32_e32 32, v3
	s_cbranch_execz .LBB138_182
; %bb.181:
	v_add_nc_u32_e32 v3, 0xfffffe80, v1
	s_delay_alu instid0(VALU_DEP_1)
	v_lshl_add_u32 v4, v15, 2, v3
	v_lshl_add_u32 v3, v0, 2, v3
	ds_store_b32 v4, v18
	ds_store_b32 v3, v17
	ds_store_b32 v4, v9 offset:256
.LBB138_182:
	s_or_b32 exec_lo, exec_lo, s0
	v_cmp_gt_u32_e32 vcc_lo, 32, v0
	s_waitcnt lgkmcnt(0)
	s_barrier
	buffer_gl0_inv
	s_and_saveexec_b32 s0, vcc_lo
	s_cbranch_execz .LBB138_184
; %bb.183:
	v_lshl_add_u32 v1, v0, 2, v1
	ds_load_b32 v3, v2
	ds_load_2addr_b32 v[1:2], v1 offset0:32 offset1:64
	s_waitcnt lgkmcnt(0)
	v_dual_add_f32 v18, v18, v3 :: v_dual_add_f32 v17, v17, v1
	v_add_f32_e32 v9, v9, v2
.LBB138_184:
	s_or_b32 exec_lo, exec_lo, s0
	s_barrier
	buffer_gl0_inv
	s_and_saveexec_b32 s0, vcc_lo
	s_cbranch_execz .LBB138_198
; %bb.185:
	v_and_b32_e32 v1, 0x7f800000, v18
	s_mov_b32 s0, exec_lo
                                        ; implicit-def: $vgpr2
	s_delay_alu instid0(VALU_DEP_1)
	v_cmpx_ne_u32_e32 0x7f800000, v1
	s_xor_b32 s0, exec_lo, s0
; %bb.186:
	v_bfe_u32 v1, v18, 16, 1
	s_delay_alu instid0(VALU_DEP_1)
	v_add3_u32 v2, v18, v1, 0x7fff
; %bb.187:
	s_and_not1_saveexec_b32 s0, s0
; %bb.188:
	v_and_b32_e32 v1, 0xffff, v18
	v_or_b32_e32 v2, 0x10000, v18
	s_delay_alu instid0(VALU_DEP_2) | instskip(NEXT) | instid1(VALU_DEP_2)
	v_cmp_eq_u32_e32 vcc_lo, 0, v1
	v_cndmask_b32_e32 v2, v2, v18, vcc_lo
; %bb.189:
	s_or_b32 exec_lo, exec_lo, s0
	s_mul_i32 s0, s6, 0x60
	s_mul_i32 s2, s4, s20
	s_ashr_i32 s1, s0, 31
	v_lshlrev_b32_e32 v3, 1, v0
	s_lshl_b64 s[0:1], s[0:1], 1
	v_and_b32_e32 v4, 0x7f800000, v17
	s_add_u32 s4, s22, s0
	s_addc_u32 s5, s23, s1
	s_ashr_i32 s3, s2, 31
	s_delay_alu instid0(SALU_CYCLE_1) | instskip(SKIP_4) | instid1(SALU_CYCLE_1)
	s_lshl_b64 s[0:1], s[2:3], 1
	s_mul_i32 s2, s12, 0x60
	s_add_u32 s4, s4, s0
	s_addc_u32 s5, s5, s1
	s_ashr_i32 s3, s2, 31
	s_lshl_b64 s[0:1], s[2:3], 1
	s_delay_alu instid0(SALU_CYCLE_1) | instskip(SKIP_2) | instid1(VALU_DEP_1)
	s_add_u32 s0, s4, s0
	s_addc_u32 s1, s5, s1
	v_add_co_u32 v0, s2, s0, v3
	v_add_co_ci_u32_e64 v1, null, s1, 0, s2
	global_store_d16_hi_b16 v3, v2, s[0:1]
	s_mov_b32 s0, exec_lo
                                        ; implicit-def: $vgpr2
	v_cmpx_ne_u32_e32 0x7f800000, v4
	s_xor_b32 s0, exec_lo, s0
; %bb.190:
	v_bfe_u32 v2, v17, 16, 1
	s_delay_alu instid0(VALU_DEP_1)
	v_add3_u32 v2, v17, v2, 0x7fff
; %bb.191:
	s_and_not1_saveexec_b32 s0, s0
; %bb.192:
	v_and_b32_e32 v2, 0xffff, v17
	v_or_b32_e32 v3, 0x10000, v17
	s_delay_alu instid0(VALU_DEP_2) | instskip(NEXT) | instid1(VALU_DEP_2)
	v_cmp_eq_u32_e32 vcc_lo, 0, v2
	v_cndmask_b32_e32 v2, v3, v17, vcc_lo
; %bb.193:
	s_or_b32 exec_lo, exec_lo, s0
	v_and_b32_e32 v3, 0x7f800000, v9
	s_mov_b32 s0, exec_lo
	global_store_d16_hi_b16 v[0:1], v2, off offset:64
                                        ; implicit-def: $vgpr2
	v_cmpx_ne_u32_e32 0x7f800000, v3
	s_xor_b32 s0, exec_lo, s0
; %bb.194:
	v_bfe_u32 v2, v9, 16, 1
	s_delay_alu instid0(VALU_DEP_1)
	v_add3_u32 v2, v9, v2, 0x7fff
                                        ; implicit-def: $vgpr7_vgpr8_vgpr9
; %bb.195:
	s_and_not1_saveexec_b32 s0, s0
; %bb.196:
	v_and_b32_e32 v2, 0xffff, v9
	v_or_b32_e32 v3, 0x10000, v9
	s_delay_alu instid0(VALU_DEP_2) | instskip(NEXT) | instid1(VALU_DEP_2)
	v_cmp_eq_u32_e32 vcc_lo, 0, v2
	v_cndmask_b32_e32 v2, v3, v9, vcc_lo
; %bb.197:
	s_or_b32 exec_lo, exec_lo, s0
	global_store_d16_hi_b16 v[0:1], v2, off offset:128
.LBB138_198:
	s_nop 0
	s_sendmsg sendmsg(MSG_DEALLOC_VGPRS)
	s_endpgm
	.section	.rodata,"a",@progbits
	.p2align	6, 0x0
	.amdhsa_kernel _ZN4vllm25paged_attention_v2_kernelI14__hip_bfloat16S1_Li96ELi8ELi128ELNS_18Fp8KVCacheDataTypeE0ELb1ELi512EEEvPfS3_PT_PKS4_PKT0_SA_ifPKiSC_iPKfiiiSE_SE_iiiii
		.amdhsa_group_segment_fixed_size 224
		.amdhsa_private_segment_fixed_size 0
		.amdhsa_kernarg_size 400
		.amdhsa_user_sgpr_count 13
		.amdhsa_user_sgpr_dispatch_ptr 0
		.amdhsa_user_sgpr_queue_ptr 0
		.amdhsa_user_sgpr_kernarg_segment_ptr 1
		.amdhsa_user_sgpr_dispatch_id 0
		.amdhsa_user_sgpr_private_segment_size 0
		.amdhsa_wavefront_size32 1
		.amdhsa_uses_dynamic_stack 0
		.amdhsa_enable_private_segment 0
		.amdhsa_system_sgpr_workgroup_id_x 1
		.amdhsa_system_sgpr_workgroup_id_y 1
		.amdhsa_system_sgpr_workgroup_id_z 1
		.amdhsa_system_sgpr_workgroup_info 0
		.amdhsa_system_vgpr_workitem_id 0
		.amdhsa_next_free_vgpr 59
		.amdhsa_next_free_sgpr 46
		.amdhsa_reserve_vcc 1
		.amdhsa_float_round_mode_32 0
		.amdhsa_float_round_mode_16_64 0
		.amdhsa_float_denorm_mode_32 3
		.amdhsa_float_denorm_mode_16_64 3
		.amdhsa_dx10_clamp 1
		.amdhsa_ieee_mode 1
		.amdhsa_fp16_overflow 0
		.amdhsa_workgroup_processor_mode 1
		.amdhsa_memory_ordered 1
		.amdhsa_forward_progress 0
		.amdhsa_shared_vgpr_count 0
		.amdhsa_exception_fp_ieee_invalid_op 0
		.amdhsa_exception_fp_denorm_src 0
		.amdhsa_exception_fp_ieee_div_zero 0
		.amdhsa_exception_fp_ieee_overflow 0
		.amdhsa_exception_fp_ieee_underflow 0
		.amdhsa_exception_fp_ieee_inexact 0
		.amdhsa_exception_int_div_zero 0
	.end_amdhsa_kernel
	.section	.text._ZN4vllm25paged_attention_v2_kernelI14__hip_bfloat16S1_Li96ELi8ELi128ELNS_18Fp8KVCacheDataTypeE0ELb1ELi512EEEvPfS3_PT_PKS4_PKT0_SA_ifPKiSC_iPKfiiiSE_SE_iiiii,"axG",@progbits,_ZN4vllm25paged_attention_v2_kernelI14__hip_bfloat16S1_Li96ELi8ELi128ELNS_18Fp8KVCacheDataTypeE0ELb1ELi512EEEvPfS3_PT_PKS4_PKT0_SA_ifPKiSC_iPKfiiiSE_SE_iiiii,comdat
.Lfunc_end138:
	.size	_ZN4vllm25paged_attention_v2_kernelI14__hip_bfloat16S1_Li96ELi8ELi128ELNS_18Fp8KVCacheDataTypeE0ELb1ELi512EEEvPfS3_PT_PKS4_PKT0_SA_ifPKiSC_iPKfiiiSE_SE_iiiii, .Lfunc_end138-_ZN4vllm25paged_attention_v2_kernelI14__hip_bfloat16S1_Li96ELi8ELi128ELNS_18Fp8KVCacheDataTypeE0ELb1ELi512EEEvPfS3_PT_PKS4_PKT0_SA_ifPKiSC_iPKfiiiSE_SE_iiiii
                                        ; -- End function
	.section	.AMDGPU.csdata,"",@progbits
; Kernel info:
; codeLenInByte = 9032
; NumSgprs: 48
; NumVgprs: 59
; ScratchSize: 0
; MemoryBound: 0
; FloatMode: 240
; IeeeMode: 1
; LDSByteSize: 224 bytes/workgroup (compile time only)
; SGPRBlocks: 5
; VGPRBlocks: 7
; NumSGPRsForWavesPerEU: 48
; NumVGPRsForWavesPerEU: 59
; Occupancy: 16
; WaveLimiterHint : 1
; COMPUTE_PGM_RSRC2:SCRATCH_EN: 0
; COMPUTE_PGM_RSRC2:USER_SGPR: 13
; COMPUTE_PGM_RSRC2:TRAP_HANDLER: 0
; COMPUTE_PGM_RSRC2:TGID_X_EN: 1
; COMPUTE_PGM_RSRC2:TGID_Y_EN: 1
; COMPUTE_PGM_RSRC2:TGID_Z_EN: 1
; COMPUTE_PGM_RSRC2:TIDIG_COMP_CNT: 0
	.section	.text._ZN4vllm32paged_attention_v2_reduce_kernelI14__hip_bfloat16Li96ELi128ELi512EEEvPT_PKfS5_PKS2_PKii,"axG",@progbits,_ZN4vllm32paged_attention_v2_reduce_kernelI14__hip_bfloat16Li96ELi128ELi512EEEvPT_PKfS5_PKS2_PKii,comdat
	.protected	_ZN4vllm32paged_attention_v2_reduce_kernelI14__hip_bfloat16Li96ELi128ELi512EEEvPT_PKfS5_PKS2_PKii ; -- Begin function _ZN4vllm32paged_attention_v2_reduce_kernelI14__hip_bfloat16Li96ELi128ELi512EEEvPT_PKfS5_PKS2_PKii
	.globl	_ZN4vllm32paged_attention_v2_reduce_kernelI14__hip_bfloat16Li96ELi128ELi512EEEvPT_PKfS5_PKS2_PKii
	.p2align	8
	.type	_ZN4vllm32paged_attention_v2_reduce_kernelI14__hip_bfloat16Li96ELi128ELi512EEEvPT_PKfS5_PKS2_PKii,@function
_ZN4vllm32paged_attention_v2_reduce_kernelI14__hip_bfloat16Li96ELi128ELi512EEEvPT_PKfS5_PKS2_PKii: ; @_ZN4vllm32paged_attention_v2_reduce_kernelI14__hip_bfloat16Li96ELi128ELi512EEEvPT_PKfS5_PKS2_PKii
; %bb.0:
	s_load_b128 s[4:7], s[0:1], 0x18
	s_add_u32 s8, s0, 48
	s_mov_b32 s10, s15
	s_addc_u32 s9, s1, 0
	s_ashr_i32 s11, s15, 31
	s_delay_alu instid0(SALU_CYCLE_1)
	s_lshl_b64 s[2:3], s[10:11], 2
	s_waitcnt lgkmcnt(0)
	s_add_u32 s2, s6, s2
	s_addc_u32 s3, s7, s3
	s_load_b32 s20, s[2:3], 0x0
	s_clause 0x2
	s_load_b64 s[6:7], s[0:1], 0x0
	s_load_b32 s11, s[0:1], 0x28
	s_load_b32 s15, s[0:1], 0x30
	s_waitcnt lgkmcnt(0)
	s_add_i32 s2, s20, -1
	s_delay_alu instid0(SALU_CYCLE_1)
	s_cmpk_gt_u32 s2, 0x1ff
	s_mov_b32 s2, -1
	s_cbranch_scc0 .LBB139_30
; %bb.1:
	s_load_b64 s[2:3], s[0:1], 0x8
	s_add_i32 s12, s20, 0x1ff
	s_mul_i32 s18, s15, s10
	s_ashr_i32 s13, s12, 31
	v_dual_mov_b32 v4, 0xff7fffff :: v_dual_lshlrev_b32 v3, 2, v0
	s_lshr_b32 s13, s13, 23
	s_mul_i32 s16, s14, s11
	s_add_i32 s12, s12, s13
	s_ashr_i32 s17, s16, 31
	s_ashr_i32 s19, s12, 9
	s_mul_i32 s12, s18, s11
	v_cmp_gt_i32_e32 vcc_lo, s19, v0
	s_ashr_i32 s13, s12, 31
	s_and_saveexec_b32 s21, vcc_lo
	s_cbranch_execz .LBB139_5
; %bb.2:
	s_load_b32 s28, s[8:9], 0xc
	s_load_b64 s[22:23], s[0:1], 0x10
	s_lshl_b64 s[24:25], s[12:13], 2
	s_lshl_b64 s[26:27], s[16:17], 2
	v_dual_mov_b32 v4, 0xff7fffff :: v_dual_add_nc_u32 v5, 32, v3
	v_mov_b32_e32 v6, v0
	s_waitcnt lgkmcnt(0)
	s_and_b32 s1, s28, 0xffff
	s_add_u32 s0, s24, s26
	s_addc_u32 s24, s25, s27
	s_add_u32 s0, s22, s0
	s_addc_u32 s22, s23, s24
	v_add_co_u32 v1, s0, s0, v3
	s_delay_alu instid0(VALU_DEP_1)
	v_add_co_ci_u32_e64 v2, null, s22, 0, s0
	s_mov_b32 s22, 0
	s_lshl_b32 s23, s1, 2
	.p2align	6
.LBB139_3:                              ; =>This Inner Loop Header: Depth=1
	global_load_b32 v7, v[1:2], off
	v_add_nc_u32_e32 v6, s1, v6
	v_max_f32_e32 v4, v4, v4
	v_add_co_u32 v1, s0, v1, s23
	s_delay_alu instid0(VALU_DEP_1) | instskip(NEXT) | instid1(VALU_DEP_4)
	v_add_co_ci_u32_e64 v2, s0, 0, v2, s0
	v_cmp_le_i32_e64 s0, s19, v6
	s_delay_alu instid0(VALU_DEP_1)
	s_or_b32 s22, s0, s22
	s_waitcnt vmcnt(0)
	v_max_f32_e32 v8, v7, v7
	ds_store_b32 v5, v7
	v_dual_max_f32 v4, v4, v8 :: v_dual_add_nc_u32 v5, s23, v5
	s_and_not1_b32 exec_lo, exec_lo, s22
	s_cbranch_execnz .LBB139_3
; %bb.4:
	s_or_b32 exec_lo, exec_lo, s22
.LBB139_5:
	s_delay_alu instid0(SALU_CYCLE_1)
	s_or_b32 exec_lo, exec_lo, s21
	v_mbcnt_lo_u32_b32 v1, -1, 0
	s_waitcnt lgkmcnt(0)
	s_barrier
	buffer_gl0_inv
	v_xor_b32_e32 v2, 16, v1
	v_xor_b32_e32 v5, 8, v1
	s_delay_alu instid0(VALU_DEP_2) | instskip(NEXT) | instid1(VALU_DEP_1)
	v_cmp_gt_i32_e64 s0, 32, v2
	v_cndmask_b32_e64 v2, v1, v2, s0
	s_delay_alu instid0(VALU_DEP_3) | instskip(NEXT) | instid1(VALU_DEP_2)
	v_cmp_gt_i32_e64 s0, 32, v5
	v_lshlrev_b32_e32 v6, 2, v2
	s_delay_alu instid0(VALU_DEP_2) | instskip(SKIP_3) | instid1(VALU_DEP_1)
	v_cndmask_b32_e64 v5, v1, v5, s0
	ds_bpermute_b32 v2, v6, v4
	v_dual_max_f32 v4, v4, v4 :: v_dual_lshlrev_b32 v7, 2, v5
	v_xor_b32_e32 v5, 4, v1
	v_cmp_gt_i32_e64 s0, 32, v5
	s_delay_alu instid0(VALU_DEP_1) | instskip(NEXT) | instid1(VALU_DEP_1)
	v_cndmask_b32_e64 v5, v1, v5, s0
	v_lshlrev_b32_e32 v8, 2, v5
	v_xor_b32_e32 v5, 2, v1
	s_waitcnt lgkmcnt(0)
	v_max_f32_e32 v2, v2, v2
	s_delay_alu instid0(VALU_DEP_2) | instskip(NEXT) | instid1(VALU_DEP_2)
	v_cmp_gt_i32_e64 s0, 32, v5
	v_max_f32_e32 v2, v4, v2
	s_delay_alu instid0(VALU_DEP_2) | instskip(SKIP_3) | instid1(VALU_DEP_1)
	v_cndmask_b32_e64 v5, v1, v5, s0
	ds_bpermute_b32 v4, v7, v2
	s_waitcnt lgkmcnt(0)
	v_max_f32_e32 v4, v4, v4
	v_max_f32_e32 v2, v2, v4
	ds_bpermute_b32 v4, v8, v2
	s_waitcnt lgkmcnt(0)
	v_dual_max_f32 v9, v4, v4 :: v_dual_lshlrev_b32 v4, 2, v5
	s_delay_alu instid0(VALU_DEP_1) | instskip(SKIP_3) | instid1(VALU_DEP_1)
	v_max_f32_e32 v2, v2, v9
	v_xor_b32_e32 v9, 1, v1
	ds_bpermute_b32 v5, v4, v2
	v_cmp_gt_i32_e64 s0, 32, v9
	v_cndmask_b32_e64 v1, v1, v9, s0
	v_lshrrev_b32_e32 v9, 5, v0
	s_delay_alu instid0(VALU_DEP_1) | instskip(SKIP_2) | instid1(VALU_DEP_1)
	v_lshlrev_b32_e32 v9, 2, v9
	s_waitcnt lgkmcnt(0)
	v_max_f32_e32 v5, v5, v5
	v_max_f32_e32 v2, v2, v5
	v_lshlrev_b32_e32 v5, 2, v1
	v_and_b32_e32 v1, 31, v0
	ds_bpermute_b32 v10, v5, v2
	v_cmp_eq_u32_e64 s0, 0, v1
	s_delay_alu instid0(VALU_DEP_1)
	s_and_saveexec_b32 s1, s0
	s_cbranch_execz .LBB139_7
; %bb.6:
	s_waitcnt lgkmcnt(0)
	v_max_f32_e32 v10, v10, v10
	v_max_f32_e32 v2, v2, v2
	s_delay_alu instid0(VALU_DEP_1)
	v_max_f32_e32 v2, v2, v10
	ds_store_b32 v9, v2
.LBB139_7:
	s_or_b32 exec_lo, exec_lo, s1
	v_cmp_gt_u32_e64 s1, 4, v1
	v_mov_b32_e32 v2, 0xff7fffff
	s_waitcnt lgkmcnt(0)
	v_lshlrev_b32_e32 v10, 2, v1
	s_barrier
	buffer_gl0_inv
	s_and_saveexec_b32 s21, s1
	s_cbranch_execz .LBB139_9
; %bb.8:
	ds_load_b32 v2, v10
.LBB139_9:
	s_or_b32 exec_lo, exec_lo, s21
	s_waitcnt lgkmcnt(0)
	ds_bpermute_b32 v1, v4, v2
	v_max_f32_e32 v2, v2, v2
	s_lshl_b32 s21, s19, 2
	s_waitcnt lgkmcnt(0)
	v_dual_mov_b32 v12, 0 :: v_dual_max_f32 v1, v1, v1
	s_delay_alu instid0(VALU_DEP_1) | instskip(SKIP_3) | instid1(VALU_DEP_1)
	v_max_f32_e32 v1, v2, v1
	ds_bpermute_b32 v2, v5, v1
	s_waitcnt lgkmcnt(0)
	v_max_f32_e32 v2, v2, v2
	v_max_f32_e32 v1, v1, v2
	ds_bpermute_b32 v11, v12, v1
	s_and_saveexec_b32 s22, vcc_lo
	s_cbranch_execz .LBB139_13
; %bb.10:
	s_load_b32 s23, s[8:9], 0xc
	s_lshl_b64 s[24:25], s[12:13], 2
	s_lshl_b64 s[26:27], s[16:17], 2
	v_dual_mov_b32 v12, 0 :: v_dual_add_nc_u32 v13, 32, v3
	s_waitcnt lgkmcnt(0)
	s_and_b32 s13, s23, 0xffff
	s_add_u32 s17, s24, s26
	s_addc_u32 s23, s25, s27
	s_add_u32 s2, s2, s17
	s_addc_u32 s3, s3, s23
	v_add_co_u32 v1, s2, s2, v3
	s_delay_alu instid0(VALU_DEP_1)
	v_add_co_ci_u32_e64 v2, null, s3, 0, s2
	v_mov_b32_e32 v3, v0
	s_mov_b32 s3, 0
	s_lshl_b32 s17, s13, 2
	s_set_inst_prefetch_distance 0x1
	.p2align	6
.LBB139_11:                             ; =>This Inner Loop Header: Depth=1
	global_load_b32 v14, v[1:2], off
	ds_load_b32 v15, v13
	v_add_nc_u32_e32 v3, s13, v3
	s_waitcnt lgkmcnt(0)
	v_sub_f32_e32 v15, v15, v11
	s_delay_alu instid0(VALU_DEP_1) | instskip(NEXT) | instid1(VALU_DEP_1)
	v_mul_f32_e32 v16, 0x3fb8aa3b, v15
	v_fma_f32 v17, 0x3fb8aa3b, v15, -v16
	v_rndne_f32_e32 v18, v16
	s_delay_alu instid0(VALU_DEP_1) | instskip(SKIP_1) | instid1(VALU_DEP_4)
	v_sub_f32_e32 v16, v16, v18
	v_cmp_ngt_f32_e32 vcc_lo, 0xc2ce8ed0, v15
	v_fmac_f32_e32 v17, 0x32a5705f, v15
	v_cmp_nlt_f32_e64 s2, 0x42b17218, v15
	s_delay_alu instid0(VALU_DEP_2) | instskip(SKIP_1) | instid1(VALU_DEP_2)
	v_add_f32_e32 v16, v16, v17
	v_cvt_i32_f32_e32 v17, v18
	v_exp_f32_e32 v16, v16
	s_waitcnt_depctr 0xfff
	v_ldexp_f32 v16, v16, v17
	s_delay_alu instid0(VALU_DEP_1) | instskip(SKIP_2) | instid1(VALU_DEP_3)
	v_dual_cndmask_b32 v16, 0, v16 :: v_dual_add_nc_u32 v17, s21, v13
	v_add_co_u32 v1, vcc_lo, v1, s17
	v_add_co_ci_u32_e32 v2, vcc_lo, 0, v2, vcc_lo
	v_cndmask_b32_e64 v15, 0x7f800000, v16, s2
	v_cmp_le_i32_e32 vcc_lo, s19, v3
	v_add_nc_u32_e32 v13, s17, v13
	s_or_b32 s3, vcc_lo, s3
	s_waitcnt vmcnt(0)
	v_mul_f32_e32 v16, v14, v15
	v_fmac_f32_e32 v12, v14, v15
	ds_store_b32 v17, v16
	s_and_not1_b32 exec_lo, exec_lo, s3
	s_cbranch_execnz .LBB139_11
; %bb.12:
	s_set_inst_prefetch_distance 0x2
	s_or_b32 exec_lo, exec_lo, s3
.LBB139_13:
	s_delay_alu instid0(SALU_CYCLE_1)
	s_or_b32 exec_lo, exec_lo, s22
	ds_bpermute_b32 v1, v6, v12
	s_waitcnt lgkmcnt(0)
	s_barrier
	buffer_gl0_inv
	v_add_f32_e32 v1, v12, v1
	ds_bpermute_b32 v2, v7, v1
	s_waitcnt lgkmcnt(0)
	v_add_f32_e32 v1, v1, v2
	ds_bpermute_b32 v2, v8, v1
	s_waitcnt lgkmcnt(0)
	v_add_f32_e32 v1, v1, v2
	ds_bpermute_b32 v2, v4, v1
	s_waitcnt lgkmcnt(0)
	v_add_f32_e32 v1, v1, v2
	ds_bpermute_b32 v2, v5, v1
	s_waitcnt lgkmcnt(0)
	v_add_f32_e32 v1, v1, v2
	s_and_saveexec_b32 s2, s0
	s_cbranch_execz .LBB139_15
; %bb.14:
	ds_store_b32 v9, v1 offset:16
.LBB139_15:
	s_or_b32 exec_lo, exec_lo, s2
	s_waitcnt lgkmcnt(0)
	s_barrier
	buffer_gl0_inv
	s_and_saveexec_b32 s0, s1
	s_cbranch_execz .LBB139_17
; %bb.16:
	ds_load_b32 v1, v10 offset:16
.LBB139_17:
	s_or_b32 exec_lo, exec_lo, s0
	s_waitcnt lgkmcnt(0)
	ds_bpermute_b32 v2, v4, v1
	s_mov_b32 s0, exec_lo
	s_waitcnt lgkmcnt(0)
	v_add_f32_e32 v1, v1, v2
	ds_bpermute_b32 v2, v5, v1
	s_waitcnt lgkmcnt(0)
	v_dual_add_f32 v1, v1, v2 :: v_dual_mov_b32 v2, 0
	ds_bpermute_b32 v2, v2, v1
	v_cmpx_gt_u32_e32 0x60, v0
	s_cbranch_execz .LBB139_29
; %bb.18:
	s_cmp_gt_i32 s20, 0
	s_mov_b32 s1, 0
	s_cbranch_scc1 .LBB139_20
; %bb.19:
	v_mov_b32_e32 v1, 0
	s_branch .LBB139_21
.LBB139_20:
	s_mov_b32 s1, -1
.LBB139_21:
	s_delay_alu instid0(SALU_CYCLE_1) | instskip(SKIP_1) | instid1(VALU_DEP_2)
	v_cndmask_b32_e64 v3, 0, 1, s1
	v_mov_b32_e32 v4, s1
	v_cmp_ne_u32_e32 vcc_lo, 1, v3
	s_cbranch_vccnz .LBB139_24
; %bb.22:
	s_waitcnt lgkmcnt(0)
	v_add_f32_e32 v4, 0x358637bd, v2
	s_mulk_i32 s12, 0x60
	s_mulk_i32 s16, 0x60
	s_ashr_i32 s13, s12, 31
	s_ashr_i32 s17, s16, 31
	v_div_scale_f32 v2, null, v4, v4, 1.0
	s_lshl_b64 s[12:13], s[12:13], 1
	s_lshl_b64 s[16:17], s[16:17], 1
	s_max_i32 s1, s19, 1
	s_delay_alu instid0(VALU_DEP_1)
	v_rcp_f32_e32 v3, v2
	s_add_i32 s2, s21, 32
	s_add_u32 s3, s12, s16
	s_addc_u32 s12, s13, s17
	s_add_u32 s3, s4, s3
	s_addc_u32 s12, s5, s12
	s_waitcnt_depctr 0xfff
	v_fma_f32 v1, -v2, v3, 1.0
	s_delay_alu instid0(VALU_DEP_1) | instskip(SKIP_1) | instid1(VALU_DEP_1)
	v_fmac_f32_e32 v3, v1, v3
	v_div_scale_f32 v5, vcc_lo, 1.0, v4, 1.0
	v_dual_mov_b32 v1, 0 :: v_dual_mul_f32 v6, v5, v3
	s_delay_alu instid0(VALU_DEP_1) | instskip(NEXT) | instid1(VALU_DEP_1)
	v_fma_f32 v7, -v2, v6, v5
	v_dual_fmac_f32 v6, v7, v3 :: v_dual_lshlrev_b32 v7, 1, v0
	s_delay_alu instid0(VALU_DEP_1) | instskip(NEXT) | instid1(VALU_DEP_1)
	v_fma_f32 v2, -v2, v6, v5
	v_div_fmas_f32 v5, v2, v3, v6
	s_delay_alu instid0(VALU_DEP_3) | instskip(NEXT) | instid1(VALU_DEP_1)
	v_add_co_u32 v2, s3, s3, v7
	v_add_co_ci_u32_e64 v3, null, s12, 0, s3
	s_delay_alu instid0(VALU_DEP_3)
	v_div_fixup_f32 v5, v5, v4, 1.0
	v_mov_b32_e32 v4, v1
.LBB139_23:                             ; =>This Inner Loop Header: Depth=1
	global_load_u16 v6, v[2:3], off
	v_mov_b32_e32 v7, s2
	v_add_co_u32 v2, vcc_lo, 0xc0, v2
	v_add_co_ci_u32_e32 v3, vcc_lo, 0, v3, vcc_lo
	s_add_i32 s1, s1, -1
	s_add_i32 s2, s2, 4
	s_cmp_eq_u32 s1, 0
	s_waitcnt vmcnt(0)
	v_lshlrev_b32_e32 v6, 16, v6
	ds_load_b32 v7, v7
	s_waitcnt lgkmcnt(0)
	v_mul_f32_e32 v6, v7, v6
	s_delay_alu instid0(VALU_DEP_1)
	v_fmac_f32_e32 v4, v5, v6
	s_cbranch_scc0 .LBB139_23
.LBB139_24:
	s_waitcnt lgkmcnt(0)
	s_delay_alu instid0(VALU_DEP_1) | instskip(NEXT) | instid1(VALU_DEP_1)
	v_and_b32_e32 v2, 0x7f800000, v4
	v_cmp_ne_u32_e32 vcc_lo, 0x7f800000, v2
                                        ; implicit-def: $vgpr2
	s_and_saveexec_b32 s1, vcc_lo
	s_delay_alu instid0(SALU_CYCLE_1)
	s_xor_b32 s1, exec_lo, s1
; %bb.25:
	v_bfe_u32 v2, v4, 16, 1
	s_delay_alu instid0(VALU_DEP_1)
	v_add3_u32 v2, v4, v2, 0x7fff
                                        ; implicit-def: $vgpr4
; %bb.26:
	s_and_not1_saveexec_b32 s1, s1
; %bb.27:
	v_and_b32_e32 v2, 0xffff, v4
	v_or_b32_e32 v3, 0x10000, v4
	s_delay_alu instid0(VALU_DEP_2) | instskip(NEXT) | instid1(VALU_DEP_2)
	v_cmp_eq_u32_e32 vcc_lo, 0, v2
	v_cndmask_b32_e32 v2, v3, v4, vcc_lo
; %bb.28:
	s_or_b32 exec_lo, exec_lo, s1
	s_mul_i32 s2, s18, 0x60
	s_mul_i32 s12, s14, 0x60
	s_ashr_i32 s3, s2, 31
	v_lshlrev_b64 v[3:4], 1, v[0:1]
	s_lshl_b64 s[2:3], s[2:3], 1
	s_delay_alu instid0(SALU_CYCLE_1) | instskip(SKIP_2) | instid1(SALU_CYCLE_1)
	s_add_u32 s1, s6, s2
	s_addc_u32 s16, s7, s3
	s_ashr_i32 s13, s12, 31
	s_lshl_b64 s[2:3], s[12:13], 1
	s_delay_alu instid0(SALU_CYCLE_1)
	s_add_u32 s1, s1, s2
	s_addc_u32 s2, s16, s3
	v_add_co_u32 v3, vcc_lo, s1, v3
	v_add_co_ci_u32_e32 v4, vcc_lo, s2, v4, vcc_lo
	global_store_d16_hi_b16 v[3:4], v2, off
.LBB139_29:
	s_or_b32 exec_lo, exec_lo, s0
	s_mov_b32 s2, 0
.LBB139_30:
	s_delay_alu instid0(SALU_CYCLE_1)
	s_and_b32 vcc_lo, exec_lo, s2
	s_cbranch_vccz .LBB139_39
; %bb.31:
	s_mov_b32 s0, exec_lo
	v_cmpx_gt_u32_e32 0x60, v0
	s_cbranch_execz .LBB139_39
; %bb.32:
	s_mul_i32 s0, s15, s10
	s_load_b32 s10, s[8:9], 0xc
	s_mulk_i32 s0, 0x60
	s_mul_i32 s12, s14, 0x60
	s_ashr_i32 s1, s0, 31
	s_mul_i32 s8, s12, s11
	s_lshl_b64 s[2:3], s[0:1], 1
	s_delay_alu instid0(SALU_CYCLE_1) | instskip(SKIP_4) | instid1(SALU_CYCLE_1)
	s_add_u32 s1, s6, s2
	s_addc_u32 s7, s7, s3
	s_ashr_i32 s13, s12, 31
	s_mul_i32 s6, s0, s11
	s_lshl_b64 s[2:3], s[12:13], 1
	s_add_u32 s1, s1, s2
	s_addc_u32 s2, s7, s3
	s_ashr_i32 s7, s6, 31
	s_delay_alu instid0(SALU_CYCLE_1) | instskip(NEXT) | instid1(SALU_CYCLE_1)
	s_lshl_b64 s[6:7], s[6:7], 1
	s_add_u32 s0, s4, s6
	s_addc_u32 s6, s5, s7
	s_ashr_i32 s9, s8, 31
	s_mov_b32 s7, 0
	s_lshl_b64 s[4:5], s[8:9], 1
	s_delay_alu instid0(SALU_CYCLE_1) | instskip(SKIP_3) | instid1(SALU_CYCLE_1)
	s_add_u32 s3, s0, s4
	s_addc_u32 s4, s6, s5
	s_waitcnt lgkmcnt(0)
	s_and_b32 s5, s10, 0xffff
	v_cvt_f32_u32_e32 v1, s5
	s_cmp_eq_u32 s5, 1
	v_add_nc_u32_e32 v3, s5, v0
	s_cselect_b32 s6, -1, 0
	s_sub_i32 s0, 0, s5
	v_rcp_iflag_f32_e32 v1, v1
	s_delay_alu instid0(VALU_DEP_1) | instskip(SKIP_3) | instid1(VALU_DEP_1)
	v_cmp_gt_u32_e32 vcc_lo, 0x60, v3
	v_max_u32_e32 v4, 0x60, v3
	s_waitcnt_depctr 0xfff
	v_mul_f32_e32 v1, 0x4f7ffffe, v1
	v_cvt_u32_f32_e32 v1, v1
	s_delay_alu instid0(VALU_DEP_1) | instskip(SKIP_1) | instid1(VALU_DEP_1)
	v_mul_lo_u32 v2, s0, v1
	v_add_co_ci_u32_e64 v3, s0, s5, v0, vcc_lo
	v_sub_nc_u32_e32 v3, v4, v3
	s_delay_alu instid0(VALU_DEP_3) | instskip(NEXT) | instid1(VALU_DEP_1)
	v_mul_hi_u32 v2, v1, v2
	v_add_nc_u32_e32 v1, v1, v2
	s_delay_alu instid0(VALU_DEP_1) | instskip(NEXT) | instid1(VALU_DEP_1)
	v_mul_hi_u32 v1, v3, v1
	v_mul_lo_u32 v2, v1, s5
	s_delay_alu instid0(VALU_DEP_1) | instskip(SKIP_1) | instid1(VALU_DEP_2)
	v_sub_nc_u32_e32 v2, v3, v2
	v_add_nc_u32_e32 v3, 1, v1
	v_subrev_nc_u32_e32 v4, s5, v2
	v_cmp_le_u32_e64 s0, s5, v2
	s_delay_alu instid0(VALU_DEP_1) | instskip(NEXT) | instid1(VALU_DEP_3)
	v_cndmask_b32_e64 v1, v1, v3, s0
	v_cndmask_b32_e64 v2, v2, v4, s0
	s_delay_alu instid0(VALU_DEP_2) | instskip(NEXT) | instid1(VALU_DEP_2)
	v_add_nc_u32_e32 v3, 1, v1
	v_cmp_le_u32_e64 s0, s5, v2
	s_delay_alu instid0(VALU_DEP_1) | instskip(SKIP_1) | instid1(VALU_DEP_1)
	v_cndmask_b32_e64 v1, v1, v3, s0
	s_mov_b32 s0, -1
	v_add_co_ci_u32_e32 v3, vcc_lo, 1, v1, vcc_lo
	s_delay_alu instid0(VALU_DEP_1) | instskip(SKIP_1) | instid1(SALU_CYCLE_1)
	v_cmp_lt_u32_e32 vcc_lo, 15, v3
	s_and_b32 s8, vcc_lo, s6
	s_and_saveexec_b32 s6, s8
	s_cbranch_execz .LBB139_36
; %bb.33:
	v_dual_mov_b32 v1, v0 :: v_dual_and_b32 v4, -16, v3
	s_delay_alu instid0(VALU_DEP_1)
	v_dual_mov_b32 v2, 0 :: v_dual_mov_b32 v5, v4
	.p2align	6
.LBB139_34:                             ; =>This Inner Loop Header: Depth=1
	s_delay_alu instid0(VALU_DEP_1) | instskip(NEXT) | instid1(VALU_DEP_2)
	v_lshlrev_b64 v[14:15], 1, v[1:2]
	v_add_nc_u32_e32 v5, -16, v5
	v_add_nc_u32_e32 v1, 16, v1
	s_delay_alu instid0(VALU_DEP_3) | instskip(NEXT) | instid1(VALU_DEP_4)
	v_add_co_u32 v10, vcc_lo, s3, v14
	v_add_co_ci_u32_e32 v11, vcc_lo, s4, v15, vcc_lo
	s_delay_alu instid0(VALU_DEP_4)
	v_cmp_eq_u32_e32 vcc_lo, 0, v5
	v_add_co_u32 v14, s0, s1, v14
	s_clause 0x1
	global_load_b128 v[6:9], v[10:11], off
	global_load_b128 v[10:13], v[10:11], off offset:16
	v_add_co_ci_u32_e64 v15, s0, s2, v15, s0
	s_or_b32 s7, vcc_lo, s7
	s_waitcnt vmcnt(1)
	global_store_b128 v[14:15], v[6:9], off
	s_waitcnt vmcnt(0)
	global_store_b128 v[14:15], v[10:13], off offset:16
	s_and_not1_b32 exec_lo, exec_lo, s7
	s_cbranch_execnz .LBB139_34
; %bb.35:
	s_or_b32 exec_lo, exec_lo, s7
	v_cmp_ne_u32_e32 vcc_lo, v3, v4
	v_add_nc_u32_e32 v0, v0, v4
	s_or_not1_b32 s0, vcc_lo, exec_lo
.LBB139_36:
	s_or_b32 exec_lo, exec_lo, s6
	s_delay_alu instid0(SALU_CYCLE_1)
	s_and_b32 exec_lo, exec_lo, s0
	s_cbranch_execz .LBB139_39
; %bb.37:
	v_mov_b32_e32 v1, 0
	s_mov_b32 s6, 0
	s_lshl_b32 s7, s5, 1
	s_delay_alu instid0(VALU_DEP_1)
	v_lshlrev_b64 v[1:2], 1, v[0:1]
	.p2align	6
.LBB139_38:                             ; =>This Inner Loop Header: Depth=1
	s_delay_alu instid0(VALU_DEP_1) | instskip(NEXT) | instid1(VALU_DEP_2)
	v_add_co_u32 v3, vcc_lo, s3, v1
	v_add_co_ci_u32_e32 v4, vcc_lo, s4, v2, vcc_lo
	v_add_nc_u32_e32 v0, s5, v0
	global_load_u16 v5, v[3:4], off
	v_add_co_u32 v3, vcc_lo, s1, v1
	v_add_co_ci_u32_e32 v4, vcc_lo, s2, v2, vcc_lo
	v_cmp_lt_u32_e32 vcc_lo, 0x5f, v0
	v_add_co_u32 v1, s0, v1, s7
	s_delay_alu instid0(VALU_DEP_1)
	v_add_co_ci_u32_e64 v2, s0, 0, v2, s0
	s_or_b32 s6, vcc_lo, s6
	s_waitcnt vmcnt(0)
	global_store_b16 v[3:4], v5, off
	s_and_not1_b32 exec_lo, exec_lo, s6
	s_cbranch_execnz .LBB139_38
.LBB139_39:
	s_nop 0
	s_sendmsg sendmsg(MSG_DEALLOC_VGPRS)
	s_endpgm
	.section	.rodata,"a",@progbits
	.p2align	6, 0x0
	.amdhsa_kernel _ZN4vllm32paged_attention_v2_reduce_kernelI14__hip_bfloat16Li96ELi128ELi512EEEvPT_PKfS5_PKS2_PKii
		.amdhsa_group_segment_fixed_size 32
		.amdhsa_private_segment_fixed_size 0
		.amdhsa_kernarg_size 304
		.amdhsa_user_sgpr_count 14
		.amdhsa_user_sgpr_dispatch_ptr 0
		.amdhsa_user_sgpr_queue_ptr 0
		.amdhsa_user_sgpr_kernarg_segment_ptr 1
		.amdhsa_user_sgpr_dispatch_id 0
		.amdhsa_user_sgpr_private_segment_size 0
		.amdhsa_wavefront_size32 1
		.amdhsa_uses_dynamic_stack 0
		.amdhsa_enable_private_segment 0
		.amdhsa_system_sgpr_workgroup_id_x 1
		.amdhsa_system_sgpr_workgroup_id_y 1
		.amdhsa_system_sgpr_workgroup_id_z 0
		.amdhsa_system_sgpr_workgroup_info 0
		.amdhsa_system_vgpr_workitem_id 0
		.amdhsa_next_free_vgpr 19
		.amdhsa_next_free_sgpr 29
		.amdhsa_reserve_vcc 1
		.amdhsa_float_round_mode_32 0
		.amdhsa_float_round_mode_16_64 0
		.amdhsa_float_denorm_mode_32 3
		.amdhsa_float_denorm_mode_16_64 3
		.amdhsa_dx10_clamp 1
		.amdhsa_ieee_mode 1
		.amdhsa_fp16_overflow 0
		.amdhsa_workgroup_processor_mode 1
		.amdhsa_memory_ordered 1
		.amdhsa_forward_progress 0
		.amdhsa_shared_vgpr_count 0
		.amdhsa_exception_fp_ieee_invalid_op 0
		.amdhsa_exception_fp_denorm_src 0
		.amdhsa_exception_fp_ieee_div_zero 0
		.amdhsa_exception_fp_ieee_overflow 0
		.amdhsa_exception_fp_ieee_underflow 0
		.amdhsa_exception_fp_ieee_inexact 0
		.amdhsa_exception_int_div_zero 0
	.end_amdhsa_kernel
	.section	.text._ZN4vllm32paged_attention_v2_reduce_kernelI14__hip_bfloat16Li96ELi128ELi512EEEvPT_PKfS5_PKS2_PKii,"axG",@progbits,_ZN4vllm32paged_attention_v2_reduce_kernelI14__hip_bfloat16Li96ELi128ELi512EEEvPT_PKfS5_PKS2_PKii,comdat
.Lfunc_end139:
	.size	_ZN4vllm32paged_attention_v2_reduce_kernelI14__hip_bfloat16Li96ELi128ELi512EEEvPT_PKfS5_PKS2_PKii, .Lfunc_end139-_ZN4vllm32paged_attention_v2_reduce_kernelI14__hip_bfloat16Li96ELi128ELi512EEEvPT_PKfS5_PKS2_PKii
                                        ; -- End function
	.section	.AMDGPU.csdata,"",@progbits
; Kernel info:
; codeLenInByte = 2516
; NumSgprs: 31
; NumVgprs: 19
; ScratchSize: 0
; MemoryBound: 0
; FloatMode: 240
; IeeeMode: 1
; LDSByteSize: 32 bytes/workgroup (compile time only)
; SGPRBlocks: 3
; VGPRBlocks: 2
; NumSGPRsForWavesPerEU: 31
; NumVGPRsForWavesPerEU: 19
; Occupancy: 16
; WaveLimiterHint : 0
; COMPUTE_PGM_RSRC2:SCRATCH_EN: 0
; COMPUTE_PGM_RSRC2:USER_SGPR: 14
; COMPUTE_PGM_RSRC2:TRAP_HANDLER: 0
; COMPUTE_PGM_RSRC2:TGID_X_EN: 1
; COMPUTE_PGM_RSRC2:TGID_Y_EN: 1
; COMPUTE_PGM_RSRC2:TGID_Z_EN: 0
; COMPUTE_PGM_RSRC2:TIDIG_COMP_CNT: 0
	.section	.text._ZN4vllm25paged_attention_v2_kernelI14__hip_bfloat16S1_Li112ELi8ELi128ELNS_18Fp8KVCacheDataTypeE0ELb1ELi512EEEvPfS3_PT_PKS4_PKT0_SA_ifPKiSC_iPKfiiiSE_SE_iiiii,"axG",@progbits,_ZN4vllm25paged_attention_v2_kernelI14__hip_bfloat16S1_Li112ELi8ELi128ELNS_18Fp8KVCacheDataTypeE0ELb1ELi512EEEvPfS3_PT_PKS4_PKT0_SA_ifPKiSC_iPKfiiiSE_SE_iiiii,comdat
	.protected	_ZN4vllm25paged_attention_v2_kernelI14__hip_bfloat16S1_Li112ELi8ELi128ELNS_18Fp8KVCacheDataTypeE0ELb1ELi512EEEvPfS3_PT_PKS4_PKT0_SA_ifPKiSC_iPKfiiiSE_SE_iiiii ; -- Begin function _ZN4vllm25paged_attention_v2_kernelI14__hip_bfloat16S1_Li112ELi8ELi128ELNS_18Fp8KVCacheDataTypeE0ELb1ELi512EEEvPfS3_PT_PKS4_PKT0_SA_ifPKiSC_iPKfiiiSE_SE_iiiii
	.globl	_ZN4vllm25paged_attention_v2_kernelI14__hip_bfloat16S1_Li112ELi8ELi128ELNS_18Fp8KVCacheDataTypeE0ELb1ELi512EEEvPfS3_PT_PKS4_PKT0_SA_ifPKiSC_iPKfiiiSE_SE_iiiii
	.p2align	8
	.type	_ZN4vllm25paged_attention_v2_kernelI14__hip_bfloat16S1_Li112ELi8ELi128ELNS_18Fp8KVCacheDataTypeE0ELb1ELi512EEEvPfS3_PT_PKS4_PKT0_SA_ifPKiSC_iPKfiiiSE_SE_iiiii,@function
_ZN4vllm25paged_attention_v2_kernelI14__hip_bfloat16S1_Li112ELi8ELi128ELNS_18Fp8KVCacheDataTypeE0ELb1ELi512EEEvPfS3_PT_PKS4_PKT0_SA_ifPKiSC_iPKfiiiSE_SE_iiiii: ; @_ZN4vllm25paged_attention_v2_kernelI14__hip_bfloat16S1_Li112ELi8ELi128ELNS_18Fp8KVCacheDataTypeE0ELb1ELi512EEEvPfS3_PT_PKS4_PKT0_SA_ifPKiSC_iPKfiiiSE_SE_iiiii
; %bb.0:
	s_load_b64 s[2:3], s[0:1], 0x40
	s_mov_b32 s20, s15
	s_ashr_i32 s15, s14, 31
	s_delay_alu instid0(SALU_CYCLE_1)
	s_lshl_b64 s[4:5], s[14:15], 2
	s_waitcnt lgkmcnt(0)
	s_add_u32 s2, s2, s4
	s_addc_u32 s3, s3, s5
	s_lshl_b32 s21, s20, 9
	s_load_b32 s33, s[2:3], 0x0
	s_waitcnt lgkmcnt(0)
	s_cmp_ge_i32 s21, s33
	s_cbranch_scc1 .LBB140_245
; %bb.1:
	s_mov_b32 s26, s13
	s_clause 0x1
	s_load_b32 s15, s[0:1], 0x90
	s_load_b64 s[12:13], s[0:1], 0x30
	s_mov_b32 s42, 0
	s_waitcnt lgkmcnt(0)
	s_abs_i32 s5, s15
	s_abs_i32 s2, s12
	s_delay_alu instid0(SALU_CYCLE_1) | instskip(SKIP_1) | instid1(VALU_DEP_1)
	v_cvt_f32_u32_e32 v1, s2
	s_sub_i32 s4, 0, s2
	v_rcp_iflag_f32_e32 v1, v1
	s_waitcnt_depctr 0xfff
	v_mul_f32_e32 v1, 0x4f7ffffe, v1
	s_delay_alu instid0(VALU_DEP_1) | instskip(NEXT) | instid1(VALU_DEP_1)
	v_cvt_u32_f32_e32 v1, v1
	v_readfirstlane_b32 s3, v1
	s_delay_alu instid0(VALU_DEP_1) | instskip(NEXT) | instid1(SALU_CYCLE_1)
	s_mul_i32 s4, s4, s3
	s_mul_hi_u32 s4, s3, s4
	s_delay_alu instid0(SALU_CYCLE_1) | instskip(SKIP_4) | instid1(SALU_CYCLE_1)
	s_add_i32 s3, s3, s4
	s_xor_b32 s4, s15, s12
	s_mul_hi_u32 s3, s5, s3
	s_ashr_i32 s4, s4, 31
	s_mul_i32 s6, s3, s2
	s_sub_i32 s5, s5, s6
	s_add_i32 s6, s3, 1
	s_sub_i32 s7, s5, s2
	s_cmp_ge_u32 s5, s2
	s_cselect_b32 s3, s6, s3
	s_cselect_b32 s5, s7, s5
	s_add_i32 s6, s3, 1
	s_cmp_ge_u32 s5, s2
	s_cselect_b32 s2, s6, s3
	s_abs_i32 s17, s26
	s_xor_b32 s2, s2, s4
	s_delay_alu instid0(SALU_CYCLE_1) | instskip(SKIP_2) | instid1(SALU_CYCLE_1)
	s_sub_i32 s4, s2, s4
	s_load_b64 s[2:3], s[0:1], 0x50
	s_abs_i32 s16, s4
	v_cvt_f32_u32_e32 v1, s16
	s_sub_i32 s6, 0, s16
	s_delay_alu instid0(VALU_DEP_1) | instskip(SKIP_2) | instid1(VALU_DEP_1)
	v_rcp_iflag_f32_e32 v1, v1
	s_waitcnt_depctr 0xfff
	v_mul_f32_e32 v1, 0x4f7ffffe, v1
	v_cvt_u32_f32_e32 v1, v1
	s_delay_alu instid0(VALU_DEP_1) | instskip(NEXT) | instid1(VALU_DEP_1)
	v_readfirstlane_b32 s5, v1
	s_mul_i32 s6, s6, s5
	s_delay_alu instid0(SALU_CYCLE_1) | instskip(NEXT) | instid1(SALU_CYCLE_1)
	s_mul_hi_u32 s6, s5, s6
	s_add_i32 s5, s5, s6
	s_waitcnt lgkmcnt(0)
	s_cmp_eq_u64 s[2:3], 0
	s_mul_hi_u32 s18, s17, s5
	s_cbranch_scc1 .LBB140_3
; %bb.2:
	s_ashr_i32 s27, s26, 31
	s_delay_alu instid0(SALU_CYCLE_1) | instskip(NEXT) | instid1(SALU_CYCLE_1)
	s_lshl_b64 s[6:7], s[26:27], 2
	s_add_u32 s2, s2, s6
	s_addc_u32 s3, s3, s7
	s_load_b32 s42, s[2:3], 0x0
.LBB140_3:
	s_load_b128 s[8:11], s[0:1], 0x58
	v_and_b32_e32 v1, 3, v0
	v_lshlrev_b32_e32 v2, 2, v0
	s_ashr_i32 s2, s26, 31
	s_ashr_i32 s3, s4, 31
	s_mul_i32 s22, s26, 0x70
	s_mov_b32 s4, exec_lo
	v_cmpx_gt_u32_e32 56, v0
	s_cbranch_execz .LBB140_5
; %bb.4:
	s_load_b64 s[6:7], s[0:1], 0x18
	s_waitcnt lgkmcnt(0)
	s_mul_i32 s24, s14, s8
	v_and_b32_e32 v4, 0x3fc, v0
	s_ashr_i32 s25, s24, 31
	s_delay_alu instid0(SALU_CYCLE_1) | instskip(NEXT) | instid1(VALU_DEP_1)
	s_lshl_b64 s[24:25], s[24:25], 1
	v_mad_u32_u24 v4, v1, 56, v4
	s_add_u32 s5, s6, s24
	s_addc_u32 s8, s7, s25
	s_ashr_i32 s23, s22, 31
	s_delay_alu instid0(SALU_CYCLE_1) | instskip(NEXT) | instid1(SALU_CYCLE_1)
	s_lshl_b64 s[6:7], s[22:23], 1
	s_add_u32 s6, s5, s6
	s_addc_u32 s7, s8, s7
	global_load_b32 v3, v2, s[6:7]
	s_waitcnt vmcnt(0)
	ds_store_b32 v4, v3
.LBB140_5:
	s_or_b32 exec_lo, exec_lo, s4
	s_load_b128 s[4:7], s[0:1], 0x78
	s_waitcnt lgkmcnt(0)
	s_mul_i32 s8, s18, s16
	s_xor_b32 s2, s2, s3
	s_sub_i32 s3, s17, s8
	s_add_i32 s8, s18, 1
	s_sub_i32 s11, s3, s16
	s_cmp_ge_u32 s3, s16
	s_mov_b32 s17, -1
	s_cselect_b32 s8, s8, s18
	s_cselect_b32 s3, s11, s3
	s_add_i32 s11, s8, 1
	s_cmp_ge_u32 s3, s16
	s_cselect_b32 s3, s11, s8
	s_load_b32 s8, s[0:1], 0x88
	s_xor_b32 s3, s3, s2
	s_add_i32 s16, s33, -1
	s_sub_i32 s3, s3, s2
	s_abs_i32 s11, s16
	s_waitcnt lgkmcnt(0)
	s_barrier
	s_abs_i32 s23, s7
	buffer_gl0_inv
	v_cvt_f32_u32_e32 v3, s23
	s_sub_i32 s2, 0, s23
                                        ; implicit-def: $sgpr38
	s_delay_alu instid0(VALU_DEP_1) | instskip(SKIP_2) | instid1(VALU_DEP_1)
	v_rcp_iflag_f32_e32 v3, v3
	s_waitcnt_depctr 0xfff
	v_mul_f32_e32 v3, 0x4f7ffffe, v3
	v_cvt_u32_f32_e32 v3, v3
	s_delay_alu instid0(VALU_DEP_1) | instskip(NEXT) | instid1(VALU_DEP_1)
	v_readfirstlane_b32 s27, v3
	s_mul_i32 s2, s2, s27
	s_delay_alu instid0(SALU_CYCLE_1) | instskip(NEXT) | instid1(SALU_CYCLE_1)
	s_mul_hi_u32 s2, s27, s2
	s_add_i32 s27, s27, s2
	s_cmp_lt_i32 s8, 0
	s_mul_hi_u32 s2, s11, s27
	s_cbranch_scc0 .LBB140_7
; %bb.6:
	s_mul_i32 s12, s4, s12
	s_mov_b32 s17, 0
	s_add_i32 s12, s3, s12
	s_delay_alu instid0(SALU_CYCLE_1) | instskip(NEXT) | instid1(SALU_CYCLE_1)
	s_mul_i32 s12, s12, s8
	s_sub_i32 s38, 1, s12
.LBB140_7:
	s_load_b64 s[28:29], s[0:1], 0x38
	s_ashr_i32 s12, s16, 31
	s_and_not1_b32 vcc_lo, exec_lo, s17
	s_ashr_i32 s39, s7, 31
	s_cbranch_vccnz .LBB140_9
; %bb.8:
	s_mul_i32 s4, s15, s4
	s_delay_alu instid0(SALU_CYCLE_1) | instskip(NEXT) | instid1(SALU_CYCLE_1)
	s_add_i32 s4, s4, s26
	s_mul_i32 s4, s4, s8
	s_delay_alu instid0(SALU_CYCLE_1)
	s_add_i32 s38, s4, 1
.LBB140_9:
	s_clause 0x4
	s_load_b32 s4, s[0:1], 0x48
	s_load_b64 s[34:35], s[0:1], 0x28
	s_load_b32 s8, s[0:1], 0x98
	s_load_b128 s[16:19], s[0:1], 0x0
	s_load_b64 s[24:25], s[0:1], 0x10
	s_mul_i32 s7, s2, s23
	s_xor_b32 s12, s12, s39
	s_sub_i32 s7, s11, s7
	s_add_i32 s36, s2, 1
	v_lshrrev_b32_e32 v16, 5, v0
	v_mov_b32_e32 v4, 0xff7fffff
	v_mbcnt_lo_u32_b32 v3, -1, 0
	s_delay_alu instid0(VALU_DEP_3)
	v_lshl_add_u32 v17, v16, 3, s21
	s_waitcnt lgkmcnt(0)
	s_mul_i32 s30, s14, s4
	s_sub_i32 s4, s7, s23
	s_ashr_i32 s31, s30, 31
	s_cmp_ge_u32 s7, s23
	s_cselect_b32 s2, s36, s2
	s_cselect_b32 s4, s4, s7
	s_add_i32 s7, s2, 1
	s_cmp_ge_u32 s4, s23
	s_mul_i32 s36, s3, s10
	s_cselect_b32 s2, s7, s2
	s_add_i32 s4, s33, 7
	s_lshl_b32 s7, s20, 6
	s_ashr_i32 s11, s4, 31
	v_or_b32_e32 v13, s7, v16
	s_lshr_b32 s11, s11, 29
	s_delay_alu instid0(SALU_CYCLE_1)
	s_add_i32 s4, s4, s11
	s_add_i32 s11, s7, 64
	s_ashr_i32 s41, s4, 3
	s_xor_b32 s4, s2, s12
	s_min_i32 s40, s11, s41
	v_ashrrev_i32_e32 v14, 31, v13
	v_cmp_gt_i32_e64 s2, s40, v13
	s_sub_i32 s4, s4, s12
	s_delay_alu instid0(VALU_DEP_1)
	s_and_saveexec_b32 s10, s2
	s_cbranch_execz .LBB140_19
; %bb.10:
	s_load_b64 s[0:1], s[0:1], 0x20
	s_ashr_i32 s37, s36, 31
	s_sub_i32 s11, s4, s5
	s_lshl_b64 s[44:45], s[36:37], 1
	v_bfe_u32 v5, v0, 2, 3
	v_cmp_eq_u32_e32 vcc_lo, 0, v1
	v_dual_mov_b32 v8, 0xff7fffff :: v_dual_and_b32 v15, 12, v2
	v_mul_u32_u24_e32 v6, 56, v1
	s_delay_alu instid0(VALU_DEP_4)
	v_subrev_nc_u32_e32 v18, s33, v5
	v_lshlrev_b64 v[1:2], 2, v[13:14]
	v_lshl_add_u32 v7, v16, 3, s21
	v_xor_b32_e32 v9, 2, v3
	v_xor_b32_e32 v10, 1, v3
	s_mov_b32 s43, s9
	v_lshlrev_b32_e32 v21, 4, v5
	s_waitcnt lgkmcnt(0)
	s_add_u32 s3, s0, s44
	s_addc_u32 s1, s1, s45
	s_abs_i32 s12, s6
	s_lshl_b64 s[44:45], s[30:31], 2
	v_cvt_f32_u32_e32 v4, s12
	s_sub_i32 s37, 0, s12
	v_cmp_neq_f32_e64 s0, s42, 0
	s_delay_alu instid0(VALU_DEP_2) | instskip(SKIP_2) | instid1(VALU_DEP_1)
	v_rcp_iflag_f32_e32 v4, v4
	s_waitcnt_depctr 0xfff
	v_dual_mul_f32 v12, 0x4f7ffffe, v4 :: v_dual_lshlrev_b32 v11, 2, v5
	v_lshl_or_b32 v19, v16, 5, v11
	v_dual_mov_b32 v4, 0xff7fffff :: v_dual_add_nc_u32 v11, 1, v18
	s_delay_alu instid0(VALU_DEP_3) | instskip(NEXT) | instid1(VALU_DEP_3)
	v_cvt_u32_f32_e32 v20, v12
	v_add_nc_u32_e32 v12, 0x100, v19
	v_add_co_u32 v19, s3, s3, v21
	s_delay_alu instid0(VALU_DEP_1) | instskip(NEXT) | instid1(VALU_DEP_4)
	v_add_co_ci_u32_e64 v21, null, s1, 0, s3
	v_mul_lo_u32 v18, s37, v20
	s_add_u32 s1, s28, s44
	s_addc_u32 s3, s29, s45
	v_add_co_u32 v1, s1, s1, v1
	s_delay_alu instid0(VALU_DEP_1) | instskip(SKIP_1) | instid1(VALU_DEP_4)
	v_add_co_ci_u32_e64 v2, s1, s3, v2, s1
	v_add_co_u32 v15, s1, v19, v15
	v_mul_hi_u32 v22, v20, v18
	v_add_co_ci_u32_e64 v18, s1, 0, v21, s1
	s_mov_b32 s37, 0
	s_delay_alu instid0(VALU_DEP_2)
	v_dual_mov_b32 v20, v13 :: v_dual_add_nc_u32 v19, v20, v22
	s_branch .LBB140_13
.LBB140_11:                             ;   in Loop: Header=BB140_13 Depth=1
	s_or_b32 exec_lo, exec_lo, s44
.LBB140_12:                             ;   in Loop: Header=BB140_13 Depth=1
	s_delay_alu instid0(SALU_CYCLE_1) | instskip(SKIP_2) | instid1(VALU_DEP_1)
	s_or_b32 exec_lo, exec_lo, s3
	v_add_nc_u32_e32 v20, 4, v20
	v_add_co_u32 v1, s3, v1, 16
	v_add_co_ci_u32_e64 v2, s3, 0, v2, s3
	s_delay_alu instid0(VALU_DEP_3) | instskip(SKIP_2) | instid1(VALU_DEP_3)
	v_cmp_le_i32_e64 s1, s40, v20
	v_add_nc_u32_e32 v7, 32, v7
	v_add_nc_u32_e32 v12, 0x80, v12
	s_or_b32 s37, s1, s37
	s_delay_alu instid0(SALU_CYCLE_1)
	s_and_not1_b32 exec_lo, exec_lo, s37
	s_cbranch_execz .LBB140_18
.LBB140_13:                             ; =>This Inner Loop Header: Depth=1
	v_sub_nc_u32_e32 v21, 0, v7
	s_delay_alu instid0(VALU_DEP_1) | instskip(SKIP_1) | instid1(VALU_DEP_1)
	v_max_i32_e32 v21, v7, v21
	s_waitcnt lgkmcnt(0)
	v_mul_hi_u32 v22, v21, s27
	s_delay_alu instid0(VALU_DEP_1) | instskip(NEXT) | instid1(VALU_DEP_1)
	v_mul_lo_u32 v23, v22, s23
	v_sub_nc_u32_e32 v21, v21, v23
	v_add_nc_u32_e32 v23, 1, v22
	s_delay_alu instid0(VALU_DEP_2) | instskip(SKIP_1) | instid1(VALU_DEP_1)
	v_subrev_nc_u32_e32 v24, s23, v21
	v_cmp_le_u32_e64 s1, s23, v21
	v_cndmask_b32_e64 v22, v22, v23, s1
	s_delay_alu instid0(VALU_DEP_3) | instskip(SKIP_1) | instid1(VALU_DEP_3)
	v_cndmask_b32_e64 v21, v21, v24, s1
	v_ashrrev_i32_e32 v23, 31, v7
	v_add_nc_u32_e32 v24, 1, v22
	s_delay_alu instid0(VALU_DEP_3) | instskip(NEXT) | instid1(VALU_DEP_3)
	v_cmp_le_u32_e64 s1, s23, v21
	v_xor_b32_e32 v23, s39, v23
	s_delay_alu instid0(VALU_DEP_2) | instskip(NEXT) | instid1(VALU_DEP_1)
	v_cndmask_b32_e64 v21, v22, v24, s1
	v_xor_b32_e32 v21, v21, v23
	s_delay_alu instid0(VALU_DEP_1) | instskip(NEXT) | instid1(VALU_DEP_1)
	v_sub_nc_u32_e32 v21, v21, v23
	v_add_nc_u32_e32 v22, s38, v21
	v_cmp_ge_i32_e64 s3, s11, v21
	s_delay_alu instid0(VALU_DEP_2) | instskip(NEXT) | instid1(VALU_DEP_1)
	v_sub_nc_u32_e32 v23, 0, v22
	v_max_i32_e32 v23, v22, v23
	v_ashrrev_i32_e32 v22, 31, v22
	s_delay_alu instid0(VALU_DEP_2) | instskip(NEXT) | instid1(VALU_DEP_1)
	v_mul_hi_u32 v24, v23, v19
	v_mul_lo_u32 v24, v24, s12
	s_delay_alu instid0(VALU_DEP_1) | instskip(NEXT) | instid1(VALU_DEP_1)
	v_sub_nc_u32_e32 v23, v23, v24
	v_subrev_nc_u32_e32 v24, s12, v23
	v_cmp_le_u32_e64 s1, s12, v23
	s_delay_alu instid0(VALU_DEP_1) | instskip(NEXT) | instid1(VALU_DEP_1)
	v_cndmask_b32_e64 v23, v23, v24, s1
	v_subrev_nc_u32_e32 v24, s12, v23
	v_cmp_le_u32_e64 s1, s12, v23
	s_delay_alu instid0(VALU_DEP_1) | instskip(NEXT) | instid1(VALU_DEP_1)
	v_cndmask_b32_e64 v23, v23, v24, s1
	v_xor_b32_e32 v23, v23, v22
	s_delay_alu instid0(VALU_DEP_1) | instskip(NEXT) | instid1(VALU_DEP_1)
	v_sub_nc_u32_e32 v22, v23, v22
	v_cmp_ne_u32_e64 s1, 0, v22
	s_delay_alu instid0(VALU_DEP_1) | instskip(NEXT) | instid1(SALU_CYCLE_1)
	s_and_b32 s1, s1, s3
	s_and_b32 s44, vcc_lo, s1
	s_delay_alu instid0(SALU_CYCLE_1)
	s_and_saveexec_b32 s3, s44
	s_cbranch_execz .LBB140_15
; %bb.14:                               ;   in Loop: Header=BB140_13 Depth=1
	ds_store_b32 v12, v8
.LBB140_15:                             ;   in Loop: Header=BB140_13 Depth=1
	s_or_b32 exec_lo, exec_lo, s3
	s_xor_b32 s1, s1, -1
	s_delay_alu instid0(SALU_CYCLE_1)
	s_and_saveexec_b32 s3, s1
	s_cbranch_execz .LBB140_12
; %bb.16:                               ;   in Loop: Header=BB140_13 Depth=1
	global_load_b32 v23, v[1:2], off
	s_waitcnt vmcnt(0)
	v_mad_i64_i32 v[21:22], null, v23, s43, 0
	s_delay_alu instid0(VALU_DEP_1) | instskip(NEXT) | instid1(VALU_DEP_1)
	v_lshlrev_b64 v[21:22], 1, v[21:22]
	v_add_co_u32 v21, s1, v15, v21
	s_delay_alu instid0(VALU_DEP_1)
	v_add_co_ci_u32_e64 v22, s1, v18, v22, s1
	v_cmp_gt_i32_e64 s1, 32, v9
	s_clause 0xd
	global_load_b32 v35, v[21:22], off offset:128
	global_load_b32 v36, v[21:22], off
	global_load_b32 v37, v[21:22], off offset:256
	global_load_b32 v38, v[21:22], off offset:384
	;; [unrolled: 1-line block ×12, first 2 shown]
	ds_load_2addr_b64 v[21:24], v6 offset1:1
	ds_load_2addr_b64 v[25:28], v6 offset0:2 offset1:3
	ds_load_2addr_b64 v[29:32], v6 offset0:4 offset1:5
	ds_load_b64 v[33:34], v6 offset:48
	s_waitcnt lgkmcnt(3)
	v_lshlrev_b32_e32 v50, 16, v22
	v_and_b32_e32 v22, 0xffff0000, v22
	v_lshlrev_b32_e32 v52, 16, v24
	s_waitcnt lgkmcnt(2)
	v_lshlrev_b32_e32 v54, 16, v26
	v_lshlrev_b32_e32 v56, 16, v28
	s_waitcnt lgkmcnt(0)
	v_lshlrev_b32_e32 v62, 16, v34
	v_lshlrev_b32_e32 v58, 16, v30
	;; [unrolled: 1-line block ×3, first 2 shown]
	s_waitcnt vmcnt(13)
	v_lshlrev_b32_e32 v63, 16, v35
	v_lshlrev_b32_e32 v49, 16, v21
	v_and_b32_e32 v35, 0xffff0000, v35
	s_waitcnt vmcnt(12)
	v_lshlrev_b32_e32 v64, 16, v36
	v_dual_mul_f32 v50, v50, v63 :: v_dual_lshlrev_b32 v53, 16, v25
	v_lshlrev_b32_e32 v51, 16, v23
	s_waitcnt vmcnt(11)
	v_dual_mul_f32 v22, v22, v35 :: v_dual_lshlrev_b32 v35, 16, v37
	v_and_b32_e32 v36, 0xffff0000, v36
	v_dual_fmac_f32 v50, v49, v64 :: v_dual_lshlrev_b32 v57, 16, v29
	s_delay_alu instid0(VALU_DEP_1) | instskip(SKIP_3) | instid1(VALU_DEP_1)
	v_dual_fmac_f32 v50, v51, v35 :: v_dual_and_b32 v37, 0xffff0000, v37
	s_waitcnt vmcnt(9)
	v_and_b32_e32 v35, 0xffff0000, v39
	v_and_b32_e32 v21, 0xffff0000, v21
	v_dual_fmac_f32 v22, v21, v36 :: v_dual_lshlrev_b32 v55, 16, v27
	v_and_b32_e32 v21, 0xffff0000, v24
	v_lshlrev_b32_e32 v24, 16, v38
	v_lshlrev_b32_e32 v61, 16, v33
	v_and_b32_e32 v36, 0xffff0000, v38
	s_delay_alu instid0(VALU_DEP_3) | instskip(SKIP_3) | instid1(VALU_DEP_1)
	v_fmac_f32_e32 v50, v52, v24
	s_waitcnt vmcnt(8)
	v_lshlrev_b32_e32 v24, 16, v40
	v_and_b32_e32 v23, 0xffff0000, v23
	v_dual_fmac_f32 v22, v23, v37 :: v_dual_lshlrev_b32 v59, 16, v31
	v_and_b32_e32 v23, 0xffff0000, v25
	v_lshlrev_b32_e32 v25, 16, v39
	s_delay_alu instid0(VALU_DEP_1) | instskip(SKIP_1) | instid1(VALU_DEP_1)
	v_fmac_f32_e32 v50, v53, v25
	s_waitcnt vmcnt(7)
	v_dual_fmac_f32 v50, v54, v24 :: v_dual_lshlrev_b32 v25, 16, v41
	s_waitcnt vmcnt(6)
	v_lshlrev_b32_e32 v24, 16, v42
	s_waitcnt vmcnt(5)
	s_delay_alu instid0(VALU_DEP_2) | instskip(SKIP_2) | instid1(VALU_DEP_3)
	v_dual_fmac_f32 v50, v55, v25 :: v_dual_lshlrev_b32 v25, 16, v43
	v_dual_fmac_f32 v22, v21, v36 :: v_dual_and_b32 v21, 0xffff0000, v26
	v_and_b32_e32 v26, 0xffff0000, v40
	v_fmac_f32_e32 v50, v56, v24
	s_waitcnt vmcnt(4)
	v_lshlrev_b32_e32 v24, 16, v44
	s_delay_alu instid0(VALU_DEP_2) | instskip(SKIP_3) | instid1(VALU_DEP_3)
	v_fmac_f32_e32 v50, v57, v25
	v_fmac_f32_e32 v22, v23, v35
	v_and_b32_e32 v23, 0xffff0000, v27
	s_waitcnt vmcnt(3)
	v_dual_fmac_f32 v50, v58, v24 :: v_dual_lshlrev_b32 v25, 16, v45
	s_delay_alu instid0(VALU_DEP_3)
	v_dual_fmac_f32 v22, v21, v26 :: v_dual_and_b32 v21, 0xffff0000, v28
	s_waitcnt vmcnt(2)
	v_lshlrev_b32_e32 v24, 16, v46
	v_and_b32_e32 v26, 0xffff0000, v42
	v_fmac_f32_e32 v50, v59, v25
	v_and_b32_e32 v27, 0xffff0000, v41
	s_waitcnt vmcnt(1)
	s_delay_alu instid0(VALU_DEP_2) | instskip(NEXT) | instid1(VALU_DEP_2)
	v_dual_fmac_f32 v50, v60, v24 :: v_dual_lshlrev_b32 v25, 16, v47
	v_dual_fmac_f32 v22, v23, v27 :: v_dual_and_b32 v23, 0xffff0000, v29
	v_and_b32_e32 v27, 0xffff0000, v43
	s_waitcnt vmcnt(0)
	v_lshlrev_b32_e32 v24, 16, v48
	v_fmac_f32_e32 v50, v61, v25
	v_fmac_f32_e32 v22, v21, v26
	v_and_b32_e32 v26, 0xffff0000, v44
	s_delay_alu instid0(VALU_DEP_3) | instskip(NEXT) | instid1(VALU_DEP_3)
	v_fmac_f32_e32 v50, v62, v24
	v_fmac_f32_e32 v22, v23, v27
	v_and_b32_e32 v23, 0xffff0000, v31
	v_and_b32_e32 v27, 0xffff0000, v45
	;; [unrolled: 1-line block ×3, first 2 shown]
	s_delay_alu instid0(VALU_DEP_1) | instskip(SKIP_1) | instid1(VALU_DEP_2)
	v_dual_fmac_f32 v22, v21, v26 :: v_dual_and_b32 v21, 0xffff0000, v32
	v_and_b32_e32 v26, 0xffff0000, v46
	v_dual_fmac_f32 v22, v23, v27 :: v_dual_and_b32 v23, 0xffff0000, v33
	s_delay_alu instid0(VALU_DEP_1) | instskip(SKIP_2) | instid1(VALU_DEP_3)
	v_dual_fmac_f32 v22, v21, v26 :: v_dual_and_b32 v27, 0xffff0000, v47
	v_and_b32_e32 v21, 0xffff0000, v34
	v_and_b32_e32 v26, 0xffff0000, v48
	v_fmac_f32_e32 v22, v23, v27
	v_cndmask_b32_e64 v23, v3, v9, s1
	v_cmp_gt_i32_e64 s1, 32, v10
	s_delay_alu instid0(VALU_DEP_2) | instskip(NEXT) | instid1(VALU_DEP_2)
	v_dual_fmac_f32 v22, v21, v26 :: v_dual_lshlrev_b32 v21, 2, v23
	v_cndmask_b32_e64 v23, v3, v10, s1
	s_delay_alu instid0(VALU_DEP_1)
	v_dual_add_f32 v22, v50, v22 :: v_dual_lshlrev_b32 v23, 2, v23
	ds_bpermute_b32 v21, v21, v22
	s_waitcnt lgkmcnt(0)
	v_add_f32_e32 v21, v22, v21
	ds_bpermute_b32 v22, v23, v21
	s_and_saveexec_b32 s44, vcc_lo
	s_cbranch_execz .LBB140_11
; %bb.17:                               ;   in Loop: Header=BB140_13 Depth=1
	s_waitcnt lgkmcnt(0)
	v_add_f32_e32 v21, v21, v22
	v_add_nc_u32_e32 v23, v11, v7
	s_delay_alu instid0(VALU_DEP_1) | instskip(NEXT) | instid1(VALU_DEP_1)
	v_cvt_f32_i32_e32 v23, v23
	v_mul_f32_e32 v23, s42, v23
	s_delay_alu instid0(VALU_DEP_1) | instskip(NEXT) | instid1(VALU_DEP_1)
	v_cndmask_b32_e64 v22, 0, v23, s0
	v_dual_max_f32 v23, v4, v4 :: v_dual_fmac_f32 v22, s13, v21
	v_add_nc_u32_e32 v21, v5, v7
	s_delay_alu instid0(VALU_DEP_2) | instskip(NEXT) | instid1(VALU_DEP_2)
	v_max_f32_e32 v23, v23, v22
	v_cmp_gt_i32_e64 s1, s33, v21
	s_delay_alu instid0(VALU_DEP_1) | instskip(NEXT) | instid1(VALU_DEP_3)
	v_cndmask_b32_e64 v21, 0, v22, s1
	v_cndmask_b32_e64 v4, v4, v23, s1
	ds_store_b32 v12, v21
	s_branch .LBB140_11
.LBB140_18:
	s_or_b32 exec_lo, exec_lo, s37
.LBB140_19:
	s_delay_alu instid0(SALU_CYCLE_1) | instskip(SKIP_4) | instid1(VALU_DEP_4)
	s_or_b32 exec_lo, exec_lo, s10
	v_xor_b32_e32 v1, 16, v3
	v_xor_b32_e32 v5, 8, v3
	v_max_f32_e32 v6, v4, v4
	v_and_b32_e32 v18, 31, v0
	v_cmp_gt_i32_e32 vcc_lo, 32, v1
	v_cndmask_b32_e32 v1, v3, v1, vcc_lo
	v_cmp_gt_i32_e32 vcc_lo, 32, v5
	s_delay_alu instid0(VALU_DEP_2) | instskip(SKIP_4) | instid1(VALU_DEP_1)
	v_lshlrev_b32_e32 v2, 2, v1
	ds_bpermute_b32 v1, v2, v4
	v_cndmask_b32_e32 v4, v3, v5, vcc_lo
	s_waitcnt lgkmcnt(0)
	v_max_f32_e32 v1, v1, v1
	v_max_f32_e32 v1, v6, v1
	v_xor_b32_e32 v6, 4, v3
	s_delay_alu instid0(VALU_DEP_1) | instskip(SKIP_2) | instid1(VALU_DEP_2)
	v_cmp_gt_i32_e32 vcc_lo, 32, v6
	v_cndmask_b32_e32 v6, v3, v6, vcc_lo
	v_cmp_eq_u32_e32 vcc_lo, 0, v18
	v_lshlrev_b32_e32 v7, 2, v6
	v_lshlrev_b32_e32 v4, 2, v4
	ds_bpermute_b32 v5, v4, v1
	s_waitcnt lgkmcnt(0)
	v_max_f32_e32 v5, v5, v5
	s_delay_alu instid0(VALU_DEP_1)
	v_max_f32_e32 v1, v1, v5
	v_lshlrev_b32_e32 v5, 2, v16
	ds_bpermute_b32 v6, v7, v1
	s_and_saveexec_b32 s0, vcc_lo
	s_cbranch_execz .LBB140_21
; %bb.20:
	s_waitcnt lgkmcnt(0)
	v_dual_max_f32 v6, v6, v6 :: v_dual_max_f32 v1, v1, v1
	s_delay_alu instid0(VALU_DEP_1)
	v_max_f32_e32 v1, v1, v6
	ds_store_b32 v5, v1 offset:224
.LBB140_21:
	s_or_b32 exec_lo, exec_lo, s0
	v_cmp_gt_u32_e64 s0, 4, v18
	s_waitcnt lgkmcnt(0)
	v_dual_mov_b32 v1, 0xff7fffff :: v_dual_lshlrev_b32 v6, 2, v18
	s_barrier
	buffer_gl0_inv
	s_and_saveexec_b32 s1, s0
	s_cbranch_execz .LBB140_23
; %bb.22:
	ds_load_b32 v1, v6 offset:224
.LBB140_23:
	s_or_b32 exec_lo, exec_lo, s1
	v_xor_b32_e32 v8, 2, v3
	v_xor_b32_e32 v10, 1, v3
	s_delay_alu instid0(VALU_DEP_2) | instskip(NEXT) | instid1(VALU_DEP_1)
	v_cmp_gt_i32_e64 s1, 32, v8
	v_cndmask_b32_e64 v8, v3, v8, s1
	s_delay_alu instid0(VALU_DEP_3) | instskip(NEXT) | instid1(VALU_DEP_2)
	v_cmp_gt_i32_e64 s1, 32, v10
	v_lshlrev_b32_e32 v8, 2, v8
	s_delay_alu instid0(VALU_DEP_2) | instskip(SKIP_1) | instid1(SALU_CYCLE_1)
	v_cndmask_b32_e64 v3, v3, v10, s1
	s_sub_i32 s1, s40, s7
	s_lshl_b32 s1, s1, 3
	s_waitcnt lgkmcnt(0)
	ds_bpermute_b32 v9, v8, v1
	v_max_f32_e32 v1, v1, v1
	s_add_i32 s1, s1, s21
	s_delay_alu instid0(SALU_CYCLE_1) | instskip(NEXT) | instid1(SALU_CYCLE_1)
	s_min_i32 s1, s1, s33
	s_sub_i32 s7, s1, s21
	s_delay_alu instid0(SALU_CYCLE_1) | instskip(SKIP_2) | instid1(VALU_DEP_1)
	v_cmp_gt_i32_e64 s1, s7, v0
	s_waitcnt lgkmcnt(0)
	v_dual_max_f32 v10, v9, v9 :: v_dual_lshlrev_b32 v9, 2, v3
	v_dual_max_f32 v1, v1, v10 :: v_dual_mov_b32 v10, 0
	ds_bpermute_b32 v3, v9, v1
	s_waitcnt lgkmcnt(0)
	v_max_f32_e32 v3, v3, v3
	s_delay_alu instid0(VALU_DEP_1)
	v_max_f32_e32 v1, v1, v3
	v_lshl_add_u32 v3, v0, 2, 0x100
	ds_bpermute_b32 v1, v10, v1
	s_and_saveexec_b32 s10, s1
	s_cbranch_execz .LBB140_27
; %bb.24:
	v_lshl_add_u32 v11, v0, 2, 0x100
	v_mov_b32_e32 v10, 0
	v_mov_b32_e32 v12, v0
	s_mov_b32 s11, 0
	.p2align	6
.LBB140_25:                             ; =>This Inner Loop Header: Depth=1
	ds_load_b32 v15, v11
	v_add_nc_u32_e32 v12, 0x80, v12
	s_delay_alu instid0(VALU_DEP_1) | instskip(NEXT) | instid1(VALU_DEP_1)
	v_cmp_le_i32_e64 s3, s7, v12
	s_or_b32 s11, s3, s11
	s_waitcnt lgkmcnt(0)
	v_sub_f32_e32 v15, v15, v1
	s_delay_alu instid0(VALU_DEP_1) | instskip(NEXT) | instid1(VALU_DEP_1)
	v_mul_f32_e32 v15, 0x3fb8aa3b, v15
	v_exp_f32_e32 v15, v15
	ds_store_b32 v11, v15
	v_add_f32_e32 v10, v10, v15
	v_add_nc_u32_e32 v11, 0x200, v11
	s_and_not1_b32 exec_lo, exec_lo, s11
	s_cbranch_execnz .LBB140_25
; %bb.26:
	s_or_b32 exec_lo, exec_lo, s11
.LBB140_27:
	s_delay_alu instid0(SALU_CYCLE_1)
	s_or_b32 exec_lo, exec_lo, s10
	ds_bpermute_b32 v2, v2, v10
	s_waitcnt lgkmcnt(0)
	v_add_f32_e32 v2, v10, v2
	ds_bpermute_b32 v4, v4, v2
	s_waitcnt lgkmcnt(0)
	v_add_f32_e32 v2, v2, v4
	;; [unrolled: 3-line block ×5, first 2 shown]
	s_and_saveexec_b32 s3, vcc_lo
	s_cbranch_execz .LBB140_29
; %bb.28:
	ds_store_b32 v5, v2 offset:240
.LBB140_29:
	s_or_b32 exec_lo, exec_lo, s3
	s_waitcnt lgkmcnt(0)
	s_barrier
	buffer_gl0_inv
	s_and_saveexec_b32 s3, s0
	s_cbranch_execz .LBB140_31
; %bb.30:
	ds_load_b32 v2, v6 offset:240
.LBB140_31:
	s_or_b32 exec_lo, exec_lo, s3
	s_waitcnt lgkmcnt(0)
	ds_bpermute_b32 v4, v8, v2
	s_waitcnt lgkmcnt(0)
	v_add_f32_e32 v2, v2, v4
	ds_bpermute_b32 v4, v9, v2
	s_waitcnt lgkmcnt(0)
	v_add_f32_e32 v2, v2, v4
	v_mov_b32_e32 v4, 0
	ds_bpermute_b32 v2, v4, v2
	s_and_saveexec_b32 s0, s1
	s_cbranch_execz .LBB140_34
; %bb.32:
	s_waitcnt lgkmcnt(0)
	v_add_f32_e32 v4, 0x358637bd, v2
	s_mov_b32 s1, 0
	s_delay_alu instid0(VALU_DEP_1) | instskip(SKIP_1) | instid1(VALU_DEP_2)
	v_div_scale_f32 v5, null, v4, v4, 1.0
	v_div_scale_f32 v8, vcc_lo, 1.0, v4, 1.0
	v_rcp_f32_e32 v6, v5
	s_waitcnt_depctr 0xfff
	v_fma_f32 v7, -v5, v6, 1.0
	s_delay_alu instid0(VALU_DEP_1) | instskip(NEXT) | instid1(VALU_DEP_1)
	v_fmac_f32_e32 v6, v7, v6
	v_mul_f32_e32 v7, v8, v6
	s_delay_alu instid0(VALU_DEP_1) | instskip(NEXT) | instid1(VALU_DEP_1)
	v_fma_f32 v9, -v5, v7, v8
	v_fmac_f32_e32 v7, v9, v6
	s_delay_alu instid0(VALU_DEP_1) | instskip(NEXT) | instid1(VALU_DEP_1)
	v_fma_f32 v5, -v5, v7, v8
	v_div_fmas_f32 v5, v5, v6, v7
	s_delay_alu instid0(VALU_DEP_1)
	v_div_fixup_f32 v4, v5, v4, 1.0
	v_mov_b32_e32 v5, v0
.LBB140_33:                             ; =>This Inner Loop Header: Depth=1
	ds_load_b32 v6, v3
	s_waitcnt lgkmcnt(0)
	v_dual_mul_f32 v6, v4, v6 :: v_dual_add_nc_u32 v5, 0x80, v5
	s_delay_alu instid0(VALU_DEP_1) | instskip(SKIP_3) | instid1(SALU_CYCLE_1)
	v_cmp_le_i32_e32 vcc_lo, s7, v5
	ds_store_b32 v3, v6
	v_add_nc_u32_e32 v3, 0x200, v3
	s_or_b32 s1, vcc_lo, s1
	s_and_not1_b32 exec_lo, exec_lo, s1
	s_cbranch_execnz .LBB140_33
.LBB140_34:
	s_or_b32 exec_lo, exec_lo, s0
	s_mul_i32 s0, s8, s14
	s_mov_b32 s12, 0
	s_mul_i32 s10, s0, s15
	s_mov_b32 s0, exec_lo
	s_waitcnt lgkmcnt(0)
	s_barrier
	buffer_gl0_inv
	v_cmpx_eq_u32_e32 0, v0
	s_cbranch_execz .LBB140_36
; %bb.35:
	s_ashr_i32 s11, s10, 31
	s_mul_i32 s42, s8, s26
	s_lshl_b64 s[14:15], s[10:11], 2
	v_mov_b32_e32 v3, 0
	s_add_u32 s1, s18, s14
	s_addc_u32 s3, s19, s15
	s_ashr_i32 s43, s42, 31
	s_delay_alu instid0(SALU_CYCLE_1) | instskip(NEXT) | instid1(SALU_CYCLE_1)
	s_lshl_b64 s[18:19], s[42:43], 2
	s_add_u32 s1, s1, s18
	s_addc_u32 s3, s3, s19
	s_ashr_i32 s21, s20, 31
	s_delay_alu instid0(SALU_CYCLE_1) | instskip(NEXT) | instid1(SALU_CYCLE_1)
	s_lshl_b64 s[42:43], s[20:21], 2
	s_add_u32 s44, s1, s42
	s_addc_u32 s45, s3, s43
	s_add_u32 s1, s16, s14
	s_addc_u32 s3, s17, s15
	;; [unrolled: 2-line block ×4, first 2 shown]
	s_clause 0x1
	global_store_b32 v3, v1, s[44:45]
	global_store_b32 v3, v2, s[14:15]
.LBB140_36:
	s_or_b32 exec_lo, exec_lo, s0
	s_mov_b32 s13, s12
	s_mov_b32 s14, s12
	s_mov_b32 s15, s12
	v_dual_mov_b32 v1, s12 :: v_dual_mov_b32 v2, s13
	v_dual_mov_b32 v3, s14 :: v_dual_mov_b32 v4, s15
	s_and_saveexec_b32 s3, s2
	s_cbranch_execz .LBB140_212
; %bb.37:
	s_ashr_i32 s37, s36, 31
	s_sub_i32 s2, s4, s5
	s_lshl_b64 s[0:1], s[36:37], 1
	s_mov_b32 s4, 0
	s_add_u32 s11, s34, s0
	s_addc_u32 s12, s35, s1
	s_abs_i32 s13, s6
	s_mov_b32 s5, s4
	v_cvt_f32_u32_e32 v1, s13
	s_mov_b32 s6, s4
	s_mov_b32 s7, s4
	s_sub_i32 s0, 0, s13
	v_or_b32_e32 v8, 0x60, v18
	v_rcp_iflag_f32_e32 v1, v1
	v_lshlrev_b64 v[5:6], 2, v[13:14]
	v_lshlrev_b32_e32 v7, 3, v18
	v_lshl_add_u32 v19, v16, 5, 0x100
	v_cmp_gt_u32_e32 vcc_lo, 0x70, v8
	s_waitcnt_depctr 0xfff
	v_dual_mul_f32 v1, 0x4f7ffffe, v1 :: v_dual_lshlrev_b32 v8, 3, v8
	s_delay_alu instid0(VALU_DEP_1) | instskip(NEXT) | instid1(VALU_DEP_2)
	v_lshlrev_b32_e32 v22, 1, v8
	v_cvt_u32_f32_e32 v9, v1
	v_dual_mov_b32 v1, s4 :: v_dual_mov_b32 v2, s5
	v_dual_mov_b32 v4, s7 :: v_dual_mov_b32 v3, s6
	v_lshlrev_b32_e32 v20, 1, v7
	s_delay_alu instid0(VALU_DEP_4)
	v_mul_lo_u32 v10, s0, v9
	s_lshl_b64 s[0:1], s[30:31], 2
	s_add_i32 s5, s41, -1
	s_add_u32 s0, s28, s0
	s_addc_u32 s1, s29, s1
	v_add_co_u32 v14, s0, s0, v5
	s_delay_alu instid0(VALU_DEP_1) | instskip(NEXT) | instid1(VALU_DEP_3)
	v_add_co_ci_u32_e64 v15, s0, s1, v6, s0
	v_mul_hi_u32 v10, v9, v10
	s_mov_b32 s6, s9
	s_delay_alu instid0(VALU_DEP_1)
	v_add_nc_u32_e32 v21, v9, v10
	s_branch .LBB140_41
.LBB140_38:                             ;   in Loop: Header=BB140_41 Depth=1
	s_or_b32 exec_lo, exec_lo, s1
	v_and_b32_e32 v10, 0xffff0000, v10
	v_and_b32_e32 v7, 0xffff0000, v7
	s_delay_alu instid0(VALU_DEP_1) | instskip(SKIP_3) | instid1(VALU_DEP_1)
	v_dual_add_f32 v7, v7, v10 :: v_dual_and_b32 v8, 0xffff0000, v8
	v_and_b32_e32 v5, 0xffff0000, v5
	v_and_b32_e32 v6, 0xffff0000, v6
	v_and_b32_e32 v11, 0xffff0000, v11
	v_dual_add_f32 v5, v5, v11 :: v_dual_and_b32 v12, 0xffff0000, v12
	s_delay_alu instid0(VALU_DEP_1) | instskip(NEXT) | instid1(VALU_DEP_1)
	v_add_f32_e32 v6, v6, v12
	v_dual_add_f32 v5, v5, v6 :: v_dual_and_b32 v6, 0xffff0000, v9
	s_delay_alu instid0(VALU_DEP_1) | instskip(NEXT) | instid1(VALU_DEP_1)
	v_dual_add_f32 v5, v5, v7 :: v_dual_add_f32 v6, v8, v6
	v_add_f32_e32 v5, v5, v6
	s_delay_alu instid0(VALU_DEP_1)
	v_add_f32_e32 v4, v4, v5
.LBB140_39:                             ;   in Loop: Header=BB140_41 Depth=1
	s_or_b32 exec_lo, exec_lo, s9
.LBB140_40:                             ;   in Loop: Header=BB140_41 Depth=1
	s_delay_alu instid0(SALU_CYCLE_1) | instskip(SKIP_2) | instid1(VALU_DEP_1)
	s_or_b32 exec_lo, exec_lo, s7
	v_add_nc_u32_e32 v13, 4, v13
	v_add_co_u32 v14, s1, v14, 16
	v_add_co_ci_u32_e64 v15, s1, 0, v15, s1
	s_delay_alu instid0(VALU_DEP_3) | instskip(SKIP_2) | instid1(VALU_DEP_3)
	v_cmp_le_i32_e64 s0, s40, v13
	v_add_nc_u32_e32 v17, 32, v17
	v_add_nc_u32_e32 v19, 0x80, v19
	s_or_b32 s4, s0, s4
	s_delay_alu instid0(SALU_CYCLE_1)
	s_and_not1_b32 exec_lo, exec_lo, s4
	s_cbranch_execz .LBB140_211
.LBB140_41:                             ; =>This Inner Loop Header: Depth=1
	v_sub_nc_u32_e32 v5, 0, v17
	s_delay_alu instid0(VALU_DEP_1) | instskip(NEXT) | instid1(VALU_DEP_1)
	v_max_i32_e32 v5, v17, v5
	v_mul_hi_u32 v6, v5, s27
	s_delay_alu instid0(VALU_DEP_1) | instskip(NEXT) | instid1(VALU_DEP_1)
	v_mul_lo_u32 v7, v6, s23
	v_sub_nc_u32_e32 v5, v5, v7
	v_add_nc_u32_e32 v7, 1, v6
	s_delay_alu instid0(VALU_DEP_2) | instskip(SKIP_1) | instid1(VALU_DEP_1)
	v_subrev_nc_u32_e32 v8, s23, v5
	v_cmp_le_u32_e64 s0, s23, v5
	v_cndmask_b32_e64 v6, v6, v7, s0
	s_delay_alu instid0(VALU_DEP_3) | instskip(SKIP_1) | instid1(VALU_DEP_3)
	v_cndmask_b32_e64 v5, v5, v8, s0
	v_ashrrev_i32_e32 v7, 31, v17
	v_add_nc_u32_e32 v8, 1, v6
	s_delay_alu instid0(VALU_DEP_3) | instskip(NEXT) | instid1(VALU_DEP_3)
	v_cmp_le_u32_e64 s0, s23, v5
	v_xor_b32_e32 v7, s39, v7
	s_delay_alu instid0(VALU_DEP_2) | instskip(NEXT) | instid1(VALU_DEP_1)
	v_cndmask_b32_e64 v5, v6, v8, s0
	v_xor_b32_e32 v5, v5, v7
	s_delay_alu instid0(VALU_DEP_1) | instskip(NEXT) | instid1(VALU_DEP_1)
	v_sub_nc_u32_e32 v5, v5, v7
	v_add_nc_u32_e32 v6, s38, v5
	v_cmp_lt_i32_e64 s1, s2, v5
	s_delay_alu instid0(VALU_DEP_2) | instskip(NEXT) | instid1(VALU_DEP_1)
	v_sub_nc_u32_e32 v7, 0, v6
	v_max_i32_e32 v7, v6, v7
	v_ashrrev_i32_e32 v6, 31, v6
	s_delay_alu instid0(VALU_DEP_2) | instskip(NEXT) | instid1(VALU_DEP_1)
	v_mul_hi_u32 v8, v7, v21
	v_mul_lo_u32 v8, v8, s13
	s_delay_alu instid0(VALU_DEP_1) | instskip(NEXT) | instid1(VALU_DEP_1)
	v_sub_nc_u32_e32 v7, v7, v8
	v_subrev_nc_u32_e32 v8, s13, v7
	v_cmp_le_u32_e64 s0, s13, v7
	s_delay_alu instid0(VALU_DEP_1) | instskip(NEXT) | instid1(VALU_DEP_1)
	v_cndmask_b32_e64 v7, v7, v8, s0
	v_subrev_nc_u32_e32 v8, s13, v7
	v_cmp_le_u32_e64 s0, s13, v7
	s_delay_alu instid0(VALU_DEP_1) | instskip(NEXT) | instid1(VALU_DEP_1)
	v_cndmask_b32_e64 v7, v7, v8, s0
	v_xor_b32_e32 v7, v7, v6
	s_delay_alu instid0(VALU_DEP_1) | instskip(NEXT) | instid1(VALU_DEP_1)
	v_sub_nc_u32_e32 v6, v7, v6
	v_cmp_eq_u32_e64 s0, 0, v6
	s_delay_alu instid0(VALU_DEP_1) | instskip(NEXT) | instid1(SALU_CYCLE_1)
	s_or_b32 s0, s0, s1
	s_and_saveexec_b32 s7, s0
	s_cbranch_execz .LBB140_40
; %bb.42:                               ;   in Loop: Header=BB140_41 Depth=1
	global_load_b32 v31, v[14:15], off
	ds_load_2addr_b64 v[9:12], v19 offset1:1
	ds_load_2addr_b64 v[5:8], v19 offset0:2 offset1:3
	s_waitcnt lgkmcnt(1)
	v_and_b32_e32 v23, 0x7f800000, v9
	s_delay_alu instid0(VALU_DEP_1) | instskip(NEXT) | instid1(VALU_DEP_1)
	v_cmp_ne_u32_e64 s0, 0x7f800000, v23
                                        ; implicit-def: $vgpr23
	s_and_saveexec_b32 s1, s0
	s_delay_alu instid0(SALU_CYCLE_1)
	s_xor_b32 s0, exec_lo, s1
; %bb.43:                               ;   in Loop: Header=BB140_41 Depth=1
	v_bfe_u32 v23, v9, 16, 1
	s_delay_alu instid0(VALU_DEP_1)
	v_add3_u32 v23, v9, v23, 0x7fff
; %bb.44:                               ;   in Loop: Header=BB140_41 Depth=1
	s_and_not1_saveexec_b32 s1, s0
; %bb.45:                               ;   in Loop: Header=BB140_41 Depth=1
	v_and_b32_e32 v23, 0xffff, v9
	v_or_b32_e32 v24, 0x10000, v9
	s_delay_alu instid0(VALU_DEP_2) | instskip(NEXT) | instid1(VALU_DEP_1)
	v_cmp_eq_u32_e64 s0, 0, v23
	v_cndmask_b32_e64 v23, v24, v9, s0
; %bb.46:                               ;   in Loop: Header=BB140_41 Depth=1
	s_or_b32 exec_lo, exec_lo, s1
	v_and_b32_e32 v9, 0x7f800000, v10
                                        ; implicit-def: $vgpr24
	s_delay_alu instid0(VALU_DEP_1) | instskip(NEXT) | instid1(VALU_DEP_1)
	v_cmp_ne_u32_e64 s0, 0x7f800000, v9
	s_and_saveexec_b32 s1, s0
	s_delay_alu instid0(SALU_CYCLE_1)
	s_xor_b32 s0, exec_lo, s1
; %bb.47:                               ;   in Loop: Header=BB140_41 Depth=1
	v_bfe_u32 v9, v10, 16, 1
	s_delay_alu instid0(VALU_DEP_1)
	v_add3_u32 v24, v10, v9, 0x7fff
; %bb.48:                               ;   in Loop: Header=BB140_41 Depth=1
	s_and_not1_saveexec_b32 s1, s0
; %bb.49:                               ;   in Loop: Header=BB140_41 Depth=1
	v_and_b32_e32 v9, 0xffff, v10
	v_or_b32_e32 v24, 0x10000, v10
	s_delay_alu instid0(VALU_DEP_2) | instskip(NEXT) | instid1(VALU_DEP_1)
	v_cmp_eq_u32_e64 s0, 0, v9
	v_cndmask_b32_e64 v24, v24, v10, s0
; %bb.50:                               ;   in Loop: Header=BB140_41 Depth=1
	s_or_b32 exec_lo, exec_lo, s1
	v_and_b32_e32 v9, 0x7f800000, v11
                                        ; implicit-def: $vgpr25
	s_delay_alu instid0(VALU_DEP_1) | instskip(NEXT) | instid1(VALU_DEP_1)
	v_cmp_ne_u32_e64 s0, 0x7f800000, v9
	s_and_saveexec_b32 s1, s0
	s_delay_alu instid0(SALU_CYCLE_1)
	s_xor_b32 s0, exec_lo, s1
; %bb.51:                               ;   in Loop: Header=BB140_41 Depth=1
	v_bfe_u32 v9, v11, 16, 1
	s_delay_alu instid0(VALU_DEP_1)
	v_add3_u32 v25, v11, v9, 0x7fff
; %bb.52:                               ;   in Loop: Header=BB140_41 Depth=1
	s_and_not1_saveexec_b32 s1, s0
; %bb.53:                               ;   in Loop: Header=BB140_41 Depth=1
	v_and_b32_e32 v9, 0xffff, v11
	v_or_b32_e32 v10, 0x10000, v11
	s_delay_alu instid0(VALU_DEP_2) | instskip(NEXT) | instid1(VALU_DEP_1)
	v_cmp_eq_u32_e64 s0, 0, v9
	v_cndmask_b32_e64 v25, v10, v11, s0
; %bb.54:                               ;   in Loop: Header=BB140_41 Depth=1
	s_or_b32 exec_lo, exec_lo, s1
	v_and_b32_e32 v9, 0x7f800000, v12
                                        ; implicit-def: $vgpr26
	s_delay_alu instid0(VALU_DEP_1) | instskip(NEXT) | instid1(VALU_DEP_1)
	v_cmp_ne_u32_e64 s0, 0x7f800000, v9
	s_and_saveexec_b32 s1, s0
	s_delay_alu instid0(SALU_CYCLE_1)
	s_xor_b32 s0, exec_lo, s1
; %bb.55:                               ;   in Loop: Header=BB140_41 Depth=1
	v_bfe_u32 v9, v12, 16, 1
	s_delay_alu instid0(VALU_DEP_1)
	v_add3_u32 v26, v12, v9, 0x7fff
                                        ; implicit-def: $vgpr9_vgpr10_vgpr11_vgpr12
; %bb.56:                               ;   in Loop: Header=BB140_41 Depth=1
	s_and_not1_saveexec_b32 s1, s0
; %bb.57:                               ;   in Loop: Header=BB140_41 Depth=1
	v_and_b32_e32 v9, 0xffff, v12
	v_or_b32_e32 v10, 0x10000, v12
	s_delay_alu instid0(VALU_DEP_2) | instskip(NEXT) | instid1(VALU_DEP_1)
	v_cmp_eq_u32_e64 s0, 0, v9
	v_cndmask_b32_e64 v26, v10, v12, s0
; %bb.58:                               ;   in Loop: Header=BB140_41 Depth=1
	s_or_b32 exec_lo, exec_lo, s1
	s_waitcnt lgkmcnt(0)
	v_and_b32_e32 v9, 0x7f800000, v5
                                        ; implicit-def: $vgpr27
	s_delay_alu instid0(VALU_DEP_1) | instskip(NEXT) | instid1(VALU_DEP_1)
	v_cmp_ne_u32_e64 s0, 0x7f800000, v9
	s_and_saveexec_b32 s1, s0
	s_delay_alu instid0(SALU_CYCLE_1)
	s_xor_b32 s0, exec_lo, s1
; %bb.59:                               ;   in Loop: Header=BB140_41 Depth=1
	v_bfe_u32 v9, v5, 16, 1
	s_delay_alu instid0(VALU_DEP_1)
	v_add3_u32 v27, v5, v9, 0x7fff
; %bb.60:                               ;   in Loop: Header=BB140_41 Depth=1
	s_and_not1_saveexec_b32 s1, s0
; %bb.61:                               ;   in Loop: Header=BB140_41 Depth=1
	v_and_b32_e32 v9, 0xffff, v5
	v_or_b32_e32 v10, 0x10000, v5
	s_delay_alu instid0(VALU_DEP_2) | instskip(NEXT) | instid1(VALU_DEP_1)
	v_cmp_eq_u32_e64 s0, 0, v9
	v_cndmask_b32_e64 v27, v10, v5, s0
; %bb.62:                               ;   in Loop: Header=BB140_41 Depth=1
	s_or_b32 exec_lo, exec_lo, s1
	v_and_b32_e32 v5, 0x7f800000, v6
                                        ; implicit-def: $vgpr28
	s_delay_alu instid0(VALU_DEP_1) | instskip(NEXT) | instid1(VALU_DEP_1)
	v_cmp_ne_u32_e64 s0, 0x7f800000, v5
	s_and_saveexec_b32 s1, s0
	s_delay_alu instid0(SALU_CYCLE_1)
	s_xor_b32 s0, exec_lo, s1
; %bb.63:                               ;   in Loop: Header=BB140_41 Depth=1
	v_bfe_u32 v5, v6, 16, 1
	s_delay_alu instid0(VALU_DEP_1)
	v_add3_u32 v28, v6, v5, 0x7fff
; %bb.64:                               ;   in Loop: Header=BB140_41 Depth=1
	s_and_not1_saveexec_b32 s1, s0
; %bb.65:                               ;   in Loop: Header=BB140_41 Depth=1
	v_and_b32_e32 v5, 0xffff, v6
	v_or_b32_e32 v9, 0x10000, v6
	s_delay_alu instid0(VALU_DEP_2) | instskip(NEXT) | instid1(VALU_DEP_1)
	v_cmp_eq_u32_e64 s0, 0, v5
	v_cndmask_b32_e64 v28, v9, v6, s0
; %bb.66:                               ;   in Loop: Header=BB140_41 Depth=1
	s_or_b32 exec_lo, exec_lo, s1
	v_and_b32_e32 v5, 0x7f800000, v7
                                        ; implicit-def: $vgpr29
	s_delay_alu instid0(VALU_DEP_1) | instskip(NEXT) | instid1(VALU_DEP_1)
	v_cmp_ne_u32_e64 s0, 0x7f800000, v5
	s_and_saveexec_b32 s1, s0
	s_delay_alu instid0(SALU_CYCLE_1)
	s_xor_b32 s0, exec_lo, s1
; %bb.67:                               ;   in Loop: Header=BB140_41 Depth=1
	v_bfe_u32 v5, v7, 16, 1
	s_delay_alu instid0(VALU_DEP_1)
	v_add3_u32 v29, v7, v5, 0x7fff
; %bb.68:                               ;   in Loop: Header=BB140_41 Depth=1
	s_and_not1_saveexec_b32 s1, s0
; %bb.69:                               ;   in Loop: Header=BB140_41 Depth=1
	v_and_b32_e32 v5, 0xffff, v7
	v_or_b32_e32 v6, 0x10000, v7
	s_delay_alu instid0(VALU_DEP_2) | instskip(NEXT) | instid1(VALU_DEP_1)
	v_cmp_eq_u32_e64 s0, 0, v5
	v_cndmask_b32_e64 v29, v6, v7, s0
; %bb.70:                               ;   in Loop: Header=BB140_41 Depth=1
	s_or_b32 exec_lo, exec_lo, s1
	v_and_b32_e32 v5, 0x7f800000, v8
                                        ; implicit-def: $vgpr30
	s_delay_alu instid0(VALU_DEP_1) | instskip(NEXT) | instid1(VALU_DEP_1)
	v_cmp_ne_u32_e64 s0, 0x7f800000, v5
	s_and_saveexec_b32 s1, s0
	s_delay_alu instid0(SALU_CYCLE_1)
	s_xor_b32 s0, exec_lo, s1
; %bb.71:                               ;   in Loop: Header=BB140_41 Depth=1
	v_bfe_u32 v5, v8, 16, 1
	s_delay_alu instid0(VALU_DEP_1)
	v_add3_u32 v30, v8, v5, 0x7fff
                                        ; implicit-def: $vgpr5_vgpr6_vgpr7_vgpr8
; %bb.72:                               ;   in Loop: Header=BB140_41 Depth=1
	s_and_not1_saveexec_b32 s1, s0
; %bb.73:                               ;   in Loop: Header=BB140_41 Depth=1
	v_and_b32_e32 v5, 0xffff, v8
	v_or_b32_e32 v6, 0x10000, v8
	s_delay_alu instid0(VALU_DEP_2) | instskip(NEXT) | instid1(VALU_DEP_1)
	v_cmp_eq_u32_e64 s0, 0, v5
	v_cndmask_b32_e64 v30, v6, v8, s0
; %bb.74:                               ;   in Loop: Header=BB140_41 Depth=1
	s_or_b32 exec_lo, exec_lo, s1
	s_waitcnt vmcnt(0)
	v_mad_i64_i32 v[5:6], null, v31, s6, 0
	s_delay_alu instid0(VALU_DEP_1) | instskip(NEXT) | instid1(VALU_DEP_1)
	v_lshlrev_b64 v[5:6], 1, v[5:6]
	v_add_co_u32 v11, s0, s11, v5
	s_delay_alu instid0(VALU_DEP_1) | instskip(NEXT) | instid1(VALU_DEP_2)
	v_add_co_ci_u32_e64 v12, s0, s12, v6, s0
	v_add_co_u32 v9, s0, v11, v20
	s_delay_alu instid0(VALU_DEP_1)
	v_add_co_ci_u32_e64 v10, s0, 0, v12, s0
	v_cmp_eq_u32_e64 s0, s5, v13
	global_load_b128 v[5:8], v[9:10], off
	s_waitcnt vmcnt(0)
	v_lshrrev_b32_e32 v32, 16, v5
	v_lshrrev_b32_e32 v34, 16, v6
	;; [unrolled: 1-line block ×4, first 2 shown]
	s_and_saveexec_b32 s9, s0
	s_cbranch_execz .LBB140_76
; %bb.75:                               ;   in Loop: Header=BB140_41 Depth=1
	v_add_nc_u32_e32 v31, 1, v17
	v_cmp_gt_i32_e64 s1, s33, v17
	v_add_nc_u32_e32 v33, 2, v17
	v_add_nc_u32_e32 v35, 3, v17
	s_delay_alu instid0(VALU_DEP_3) | instskip(SKIP_2) | instid1(VALU_DEP_2)
	v_cndmask_b32_e64 v5, 0, v5, s1
	v_cmp_gt_i32_e64 s1, s33, v31
	v_add_nc_u32_e32 v31, 4, v17
	v_cndmask_b32_e64 v32, 0, v32, s1
	v_cmp_gt_i32_e64 s1, s33, v33
	v_add_nc_u32_e32 v33, 5, v17
	s_delay_alu instid0(VALU_DEP_2) | instskip(SKIP_2) | instid1(VALU_DEP_2)
	v_cndmask_b32_e64 v6, 0, v6, s1
	v_cmp_gt_i32_e64 s1, s33, v35
	v_add_nc_u32_e32 v35, 6, v17
	v_cndmask_b32_e64 v34, 0, v34, s1
	v_cmp_gt_i32_e64 s1, s33, v31
	v_add_nc_u32_e32 v31, 7, v17
	s_delay_alu instid0(VALU_DEP_2) | instskip(SKIP_1) | instid1(VALU_DEP_1)
	v_cndmask_b32_e64 v7, 0, v7, s1
	v_cmp_gt_i32_e64 s1, s33, v33
	v_cndmask_b32_e64 v36, 0, v36, s1
	v_cmp_gt_i32_e64 s1, s33, v35
	s_delay_alu instid0(VALU_DEP_1) | instskip(SKIP_1) | instid1(VALU_DEP_1)
	v_cndmask_b32_e64 v8, 0, v8, s1
	v_cmp_gt_i32_e64 s1, s33, v31
	v_cndmask_b32_e64 v38, 0, v38, s1
.LBB140_76:                             ;   in Loop: Header=BB140_41 Depth=1
	s_or_b32 exec_lo, exec_lo, s9
	v_and_b32_e32 v23, 0xffff0000, v23
	v_lshlrev_b32_e32 v5, 16, v5
	s_delay_alu instid0(VALU_DEP_1) | instskip(NEXT) | instid1(VALU_DEP_1)
	v_mul_f32_e32 v5, v23, v5
	v_and_b32_e32 v31, 0x7f800000, v5
	s_delay_alu instid0(VALU_DEP_1) | instskip(NEXT) | instid1(VALU_DEP_1)
	v_cmp_ne_u32_e64 s1, 0x7f800000, v31
                                        ; implicit-def: $vgpr31
	s_and_saveexec_b32 s9, s1
	s_delay_alu instid0(SALU_CYCLE_1)
	s_xor_b32 s1, exec_lo, s9
; %bb.77:                               ;   in Loop: Header=BB140_41 Depth=1
	v_bfe_u32 v31, v5, 16, 1
	s_delay_alu instid0(VALU_DEP_1)
	v_add3_u32 v31, v5, v31, 0x7fff
                                        ; implicit-def: $vgpr5
; %bb.78:                               ;   in Loop: Header=BB140_41 Depth=1
	s_and_not1_saveexec_b32 s9, s1
; %bb.79:                               ;   in Loop: Header=BB140_41 Depth=1
	v_and_b32_e32 v31, 0xffff, v5
	v_or_b32_e32 v33, 0x10000, v5
	s_delay_alu instid0(VALU_DEP_2) | instskip(NEXT) | instid1(VALU_DEP_1)
	v_cmp_eq_u32_e64 s1, 0, v31
	v_cndmask_b32_e64 v31, v33, v5, s1
; %bb.80:                               ;   in Loop: Header=BB140_41 Depth=1
	s_or_b32 exec_lo, exec_lo, s9
	v_and_b32_e32 v24, 0xffff0000, v24
	v_lshlrev_b32_e32 v5, 16, v32
	s_delay_alu instid0(VALU_DEP_1) | instskip(NEXT) | instid1(VALU_DEP_1)
	v_mul_f32_e32 v5, v24, v5
	v_and_b32_e32 v32, 0x7f800000, v5
	s_delay_alu instid0(VALU_DEP_1) | instskip(NEXT) | instid1(VALU_DEP_1)
	v_cmp_ne_u32_e64 s1, 0x7f800000, v32
                                        ; implicit-def: $vgpr32
	s_and_saveexec_b32 s9, s1
	s_delay_alu instid0(SALU_CYCLE_1)
	s_xor_b32 s1, exec_lo, s9
; %bb.81:                               ;   in Loop: Header=BB140_41 Depth=1
	v_bfe_u32 v32, v5, 16, 1
	s_delay_alu instid0(VALU_DEP_1)
	v_add3_u32 v32, v5, v32, 0x7fff
                                        ; implicit-def: $vgpr5
; %bb.82:                               ;   in Loop: Header=BB140_41 Depth=1
	s_and_not1_saveexec_b32 s9, s1
; %bb.83:                               ;   in Loop: Header=BB140_41 Depth=1
	v_and_b32_e32 v32, 0xffff, v5
	v_or_b32_e32 v33, 0x10000, v5
	s_delay_alu instid0(VALU_DEP_2) | instskip(NEXT) | instid1(VALU_DEP_1)
	v_cmp_eq_u32_e64 s1, 0, v32
	v_cndmask_b32_e64 v32, v33, v5, s1
; %bb.84:                               ;   in Loop: Header=BB140_41 Depth=1
	s_or_b32 exec_lo, exec_lo, s9
	v_and_b32_e32 v25, 0xffff0000, v25
	v_lshlrev_b32_e32 v5, 16, v6
                                        ; implicit-def: $vgpr33
	s_delay_alu instid0(VALU_DEP_1) | instskip(NEXT) | instid1(VALU_DEP_1)
	v_mul_f32_e32 v5, v25, v5
	v_and_b32_e32 v6, 0x7f800000, v5
	s_delay_alu instid0(VALU_DEP_1) | instskip(NEXT) | instid1(VALU_DEP_1)
	v_cmp_ne_u32_e64 s1, 0x7f800000, v6
	s_and_saveexec_b32 s9, s1
	s_delay_alu instid0(SALU_CYCLE_1)
	s_xor_b32 s1, exec_lo, s9
; %bb.85:                               ;   in Loop: Header=BB140_41 Depth=1
	v_bfe_u32 v6, v5, 16, 1
	s_delay_alu instid0(VALU_DEP_1)
	v_add3_u32 v33, v5, v6, 0x7fff
                                        ; implicit-def: $vgpr5
; %bb.86:                               ;   in Loop: Header=BB140_41 Depth=1
	s_and_not1_saveexec_b32 s9, s1
; %bb.87:                               ;   in Loop: Header=BB140_41 Depth=1
	v_and_b32_e32 v6, 0xffff, v5
	v_or_b32_e32 v33, 0x10000, v5
	s_delay_alu instid0(VALU_DEP_2) | instskip(NEXT) | instid1(VALU_DEP_1)
	v_cmp_eq_u32_e64 s1, 0, v6
	v_cndmask_b32_e64 v33, v33, v5, s1
; %bb.88:                               ;   in Loop: Header=BB140_41 Depth=1
	s_or_b32 exec_lo, exec_lo, s9
	v_and_b32_e32 v26, 0xffff0000, v26
	v_lshlrev_b32_e32 v5, 16, v34
                                        ; implicit-def: $vgpr34
	s_delay_alu instid0(VALU_DEP_1) | instskip(NEXT) | instid1(VALU_DEP_1)
	v_mul_f32_e32 v5, v26, v5
	v_and_b32_e32 v6, 0x7f800000, v5
	s_delay_alu instid0(VALU_DEP_1) | instskip(NEXT) | instid1(VALU_DEP_1)
	v_cmp_ne_u32_e64 s1, 0x7f800000, v6
	s_and_saveexec_b32 s9, s1
	s_delay_alu instid0(SALU_CYCLE_1)
	s_xor_b32 s1, exec_lo, s9
; %bb.89:                               ;   in Loop: Header=BB140_41 Depth=1
	v_bfe_u32 v6, v5, 16, 1
	s_delay_alu instid0(VALU_DEP_1)
	v_add3_u32 v34, v5, v6, 0x7fff
                                        ; implicit-def: $vgpr5
; %bb.90:                               ;   in Loop: Header=BB140_41 Depth=1
	s_and_not1_saveexec_b32 s9, s1
; %bb.91:                               ;   in Loop: Header=BB140_41 Depth=1
	v_and_b32_e32 v6, 0xffff, v5
	v_or_b32_e32 v34, 0x10000, v5
	s_delay_alu instid0(VALU_DEP_2) | instskip(NEXT) | instid1(VALU_DEP_1)
	v_cmp_eq_u32_e64 s1, 0, v6
	v_cndmask_b32_e64 v34, v34, v5, s1
; %bb.92:                               ;   in Loop: Header=BB140_41 Depth=1
	s_or_b32 exec_lo, exec_lo, s9
	v_and_b32_e32 v27, 0xffff0000, v27
	v_lshlrev_b32_e32 v5, 16, v7
                                        ; implicit-def: $vgpr35
	s_delay_alu instid0(VALU_DEP_1) | instskip(NEXT) | instid1(VALU_DEP_1)
	v_mul_f32_e32 v5, v27, v5
	v_and_b32_e32 v6, 0x7f800000, v5
	s_delay_alu instid0(VALU_DEP_1) | instskip(NEXT) | instid1(VALU_DEP_1)
	v_cmp_ne_u32_e64 s1, 0x7f800000, v6
	s_and_saveexec_b32 s9, s1
	s_delay_alu instid0(SALU_CYCLE_1)
	s_xor_b32 s1, exec_lo, s9
; %bb.93:                               ;   in Loop: Header=BB140_41 Depth=1
	v_bfe_u32 v6, v5, 16, 1
	s_delay_alu instid0(VALU_DEP_1)
	v_add3_u32 v35, v5, v6, 0x7fff
                                        ; implicit-def: $vgpr5
; %bb.94:                               ;   in Loop: Header=BB140_41 Depth=1
	s_and_not1_saveexec_b32 s9, s1
; %bb.95:                               ;   in Loop: Header=BB140_41 Depth=1
	v_and_b32_e32 v6, 0xffff, v5
	v_or_b32_e32 v7, 0x10000, v5
	s_delay_alu instid0(VALU_DEP_2) | instskip(NEXT) | instid1(VALU_DEP_1)
	v_cmp_eq_u32_e64 s1, 0, v6
	v_cndmask_b32_e64 v35, v7, v5, s1
; %bb.96:                               ;   in Loop: Header=BB140_41 Depth=1
	s_or_b32 exec_lo, exec_lo, s9
	v_and_b32_e32 v28, 0xffff0000, v28
	v_lshlrev_b32_e32 v5, 16, v36
                                        ; implicit-def: $vgpr36
	s_delay_alu instid0(VALU_DEP_1) | instskip(NEXT) | instid1(VALU_DEP_1)
	v_mul_f32_e32 v5, v28, v5
	v_and_b32_e32 v6, 0x7f800000, v5
	s_delay_alu instid0(VALU_DEP_1) | instskip(NEXT) | instid1(VALU_DEP_1)
	v_cmp_ne_u32_e64 s1, 0x7f800000, v6
	s_and_saveexec_b32 s9, s1
	s_delay_alu instid0(SALU_CYCLE_1)
	s_xor_b32 s1, exec_lo, s9
; %bb.97:                               ;   in Loop: Header=BB140_41 Depth=1
	v_bfe_u32 v6, v5, 16, 1
	s_delay_alu instid0(VALU_DEP_1)
	v_add3_u32 v36, v5, v6, 0x7fff
                                        ; implicit-def: $vgpr5
; %bb.98:                               ;   in Loop: Header=BB140_41 Depth=1
	s_and_not1_saveexec_b32 s9, s1
; %bb.99:                               ;   in Loop: Header=BB140_41 Depth=1
	v_and_b32_e32 v6, 0xffff, v5
	v_or_b32_e32 v7, 0x10000, v5
	s_delay_alu instid0(VALU_DEP_2) | instskip(NEXT) | instid1(VALU_DEP_1)
	v_cmp_eq_u32_e64 s1, 0, v6
	v_cndmask_b32_e64 v36, v7, v5, s1
; %bb.100:                              ;   in Loop: Header=BB140_41 Depth=1
	s_or_b32 exec_lo, exec_lo, s9
	v_and_b32_e32 v29, 0xffff0000, v29
	v_lshlrev_b32_e32 v5, 16, v8
                                        ; implicit-def: $vgpr37
	s_delay_alu instid0(VALU_DEP_1) | instskip(NEXT) | instid1(VALU_DEP_1)
	v_mul_f32_e32 v5, v29, v5
	v_and_b32_e32 v6, 0x7f800000, v5
	s_delay_alu instid0(VALU_DEP_1) | instskip(NEXT) | instid1(VALU_DEP_1)
	v_cmp_ne_u32_e64 s1, 0x7f800000, v6
	s_and_saveexec_b32 s9, s1
	s_delay_alu instid0(SALU_CYCLE_1)
	s_xor_b32 s1, exec_lo, s9
; %bb.101:                              ;   in Loop: Header=BB140_41 Depth=1
	v_bfe_u32 v6, v5, 16, 1
	s_delay_alu instid0(VALU_DEP_1)
	v_add3_u32 v37, v5, v6, 0x7fff
                                        ; implicit-def: $vgpr5
; %bb.102:                              ;   in Loop: Header=BB140_41 Depth=1
	s_and_not1_saveexec_b32 s9, s1
; %bb.103:                              ;   in Loop: Header=BB140_41 Depth=1
	v_and_b32_e32 v6, 0xffff, v5
	v_or_b32_e32 v7, 0x10000, v5
	s_delay_alu instid0(VALU_DEP_2) | instskip(NEXT) | instid1(VALU_DEP_1)
	v_cmp_eq_u32_e64 s1, 0, v6
	v_cndmask_b32_e64 v37, v7, v5, s1
; %bb.104:                              ;   in Loop: Header=BB140_41 Depth=1
	s_or_b32 exec_lo, exec_lo, s9
	v_and_b32_e32 v30, 0xffff0000, v30
	v_lshlrev_b32_e32 v5, 16, v38
                                        ; implicit-def: $vgpr38
	s_delay_alu instid0(VALU_DEP_1) | instskip(NEXT) | instid1(VALU_DEP_1)
	v_mul_f32_e32 v5, v30, v5
	v_and_b32_e32 v6, 0x7f800000, v5
	s_delay_alu instid0(VALU_DEP_1) | instskip(NEXT) | instid1(VALU_DEP_1)
	v_cmp_ne_u32_e64 s1, 0x7f800000, v6
	s_and_saveexec_b32 s9, s1
	s_delay_alu instid0(SALU_CYCLE_1)
	s_xor_b32 s1, exec_lo, s9
; %bb.105:                              ;   in Loop: Header=BB140_41 Depth=1
	v_bfe_u32 v6, v5, 16, 1
	s_delay_alu instid0(VALU_DEP_1)
	v_add3_u32 v38, v5, v6, 0x7fff
                                        ; implicit-def: $vgpr5
; %bb.106:                              ;   in Loop: Header=BB140_41 Depth=1
	s_and_not1_saveexec_b32 s9, s1
; %bb.107:                              ;   in Loop: Header=BB140_41 Depth=1
	v_and_b32_e32 v6, 0xffff, v5
	v_or_b32_e32 v7, 0x10000, v5
	s_delay_alu instid0(VALU_DEP_2) | instskip(NEXT) | instid1(VALU_DEP_1)
	v_cmp_eq_u32_e64 s1, 0, v6
	v_cndmask_b32_e64 v38, v7, v5, s1
; %bb.108:                              ;   in Loop: Header=BB140_41 Depth=1
	s_or_b32 exec_lo, exec_lo, s9
	global_load_b128 v[5:8], v[9:10], off offset:512
	s_waitcnt vmcnt(0)
	v_lshrrev_b32_e32 v40, 16, v5
	v_lshrrev_b32_e32 v42, 16, v6
	v_lshrrev_b32_e32 v44, 16, v7
	v_lshrrev_b32_e32 v46, 16, v8
	s_and_saveexec_b32 s9, s0
	s_cbranch_execz .LBB140_110
; %bb.109:                              ;   in Loop: Header=BB140_41 Depth=1
	v_add_nc_u32_e32 v39, 1, v17
	v_cmp_gt_i32_e64 s1, s33, v17
	v_add_nc_u32_e32 v41, 2, v17
	v_add_nc_u32_e32 v43, 3, v17
	s_delay_alu instid0(VALU_DEP_3) | instskip(SKIP_2) | instid1(VALU_DEP_2)
	v_cndmask_b32_e64 v5, 0, v5, s1
	v_cmp_gt_i32_e64 s1, s33, v39
	v_add_nc_u32_e32 v39, 4, v17
	v_cndmask_b32_e64 v40, 0, v40, s1
	v_cmp_gt_i32_e64 s1, s33, v41
	v_add_nc_u32_e32 v41, 5, v17
	s_delay_alu instid0(VALU_DEP_2) | instskip(SKIP_2) | instid1(VALU_DEP_2)
	v_cndmask_b32_e64 v6, 0, v6, s1
	v_cmp_gt_i32_e64 s1, s33, v43
	v_add_nc_u32_e32 v43, 6, v17
	v_cndmask_b32_e64 v42, 0, v42, s1
	v_cmp_gt_i32_e64 s1, s33, v39
	v_add_nc_u32_e32 v39, 7, v17
	s_delay_alu instid0(VALU_DEP_2) | instskip(SKIP_1) | instid1(VALU_DEP_1)
	v_cndmask_b32_e64 v7, 0, v7, s1
	v_cmp_gt_i32_e64 s1, s33, v41
	v_cndmask_b32_e64 v44, 0, v44, s1
	v_cmp_gt_i32_e64 s1, s33, v43
	s_delay_alu instid0(VALU_DEP_1) | instskip(SKIP_1) | instid1(VALU_DEP_1)
	v_cndmask_b32_e64 v8, 0, v8, s1
	v_cmp_gt_i32_e64 s1, s33, v39
	v_cndmask_b32_e64 v46, 0, v46, s1
.LBB140_110:                            ;   in Loop: Header=BB140_41 Depth=1
	s_or_b32 exec_lo, exec_lo, s9
	v_lshlrev_b32_e32 v5, 16, v5
	s_delay_alu instid0(VALU_DEP_1) | instskip(NEXT) | instid1(VALU_DEP_1)
	v_mul_f32_e32 v5, v23, v5
	v_and_b32_e32 v39, 0x7f800000, v5
	s_delay_alu instid0(VALU_DEP_1) | instskip(NEXT) | instid1(VALU_DEP_1)
	v_cmp_ne_u32_e64 s1, 0x7f800000, v39
                                        ; implicit-def: $vgpr39
	s_and_saveexec_b32 s9, s1
	s_delay_alu instid0(SALU_CYCLE_1)
	s_xor_b32 s1, exec_lo, s9
; %bb.111:                              ;   in Loop: Header=BB140_41 Depth=1
	v_bfe_u32 v39, v5, 16, 1
	s_delay_alu instid0(VALU_DEP_1)
	v_add3_u32 v39, v5, v39, 0x7fff
                                        ; implicit-def: $vgpr5
; %bb.112:                              ;   in Loop: Header=BB140_41 Depth=1
	s_and_not1_saveexec_b32 s9, s1
; %bb.113:                              ;   in Loop: Header=BB140_41 Depth=1
	v_and_b32_e32 v39, 0xffff, v5
	v_or_b32_e32 v41, 0x10000, v5
	s_delay_alu instid0(VALU_DEP_2) | instskip(NEXT) | instid1(VALU_DEP_1)
	v_cmp_eq_u32_e64 s1, 0, v39
	v_cndmask_b32_e64 v39, v41, v5, s1
; %bb.114:                              ;   in Loop: Header=BB140_41 Depth=1
	s_or_b32 exec_lo, exec_lo, s9
	v_lshlrev_b32_e32 v5, 16, v40
	s_delay_alu instid0(VALU_DEP_1) | instskip(NEXT) | instid1(VALU_DEP_1)
	v_mul_f32_e32 v5, v24, v5
	v_and_b32_e32 v40, 0x7f800000, v5
	s_delay_alu instid0(VALU_DEP_1) | instskip(NEXT) | instid1(VALU_DEP_1)
	v_cmp_ne_u32_e64 s1, 0x7f800000, v40
                                        ; implicit-def: $vgpr40
	s_and_saveexec_b32 s9, s1
	s_delay_alu instid0(SALU_CYCLE_1)
	s_xor_b32 s1, exec_lo, s9
; %bb.115:                              ;   in Loop: Header=BB140_41 Depth=1
	v_bfe_u32 v40, v5, 16, 1
	s_delay_alu instid0(VALU_DEP_1)
	v_add3_u32 v40, v5, v40, 0x7fff
                                        ; implicit-def: $vgpr5
; %bb.116:                              ;   in Loop: Header=BB140_41 Depth=1
	s_and_not1_saveexec_b32 s9, s1
; %bb.117:                              ;   in Loop: Header=BB140_41 Depth=1
	v_and_b32_e32 v40, 0xffff, v5
	v_or_b32_e32 v41, 0x10000, v5
	s_delay_alu instid0(VALU_DEP_2) | instskip(NEXT) | instid1(VALU_DEP_1)
	v_cmp_eq_u32_e64 s1, 0, v40
	v_cndmask_b32_e64 v40, v41, v5, s1
; %bb.118:                              ;   in Loop: Header=BB140_41 Depth=1
	s_or_b32 exec_lo, exec_lo, s9
	v_lshlrev_b32_e32 v5, 16, v6
                                        ; implicit-def: $vgpr41
	s_delay_alu instid0(VALU_DEP_1) | instskip(NEXT) | instid1(VALU_DEP_1)
	v_mul_f32_e32 v5, v25, v5
	v_and_b32_e32 v6, 0x7f800000, v5
	s_delay_alu instid0(VALU_DEP_1) | instskip(NEXT) | instid1(VALU_DEP_1)
	v_cmp_ne_u32_e64 s1, 0x7f800000, v6
	s_and_saveexec_b32 s9, s1
	s_delay_alu instid0(SALU_CYCLE_1)
	s_xor_b32 s1, exec_lo, s9
; %bb.119:                              ;   in Loop: Header=BB140_41 Depth=1
	v_bfe_u32 v6, v5, 16, 1
	s_delay_alu instid0(VALU_DEP_1)
	v_add3_u32 v41, v5, v6, 0x7fff
                                        ; implicit-def: $vgpr5
; %bb.120:                              ;   in Loop: Header=BB140_41 Depth=1
	s_and_not1_saveexec_b32 s9, s1
; %bb.121:                              ;   in Loop: Header=BB140_41 Depth=1
	v_and_b32_e32 v6, 0xffff, v5
	v_or_b32_e32 v41, 0x10000, v5
	s_delay_alu instid0(VALU_DEP_2) | instskip(NEXT) | instid1(VALU_DEP_1)
	v_cmp_eq_u32_e64 s1, 0, v6
	v_cndmask_b32_e64 v41, v41, v5, s1
; %bb.122:                              ;   in Loop: Header=BB140_41 Depth=1
	s_or_b32 exec_lo, exec_lo, s9
	v_lshlrev_b32_e32 v5, 16, v42
                                        ; implicit-def: $vgpr42
	s_delay_alu instid0(VALU_DEP_1) | instskip(NEXT) | instid1(VALU_DEP_1)
	v_mul_f32_e32 v5, v26, v5
	v_and_b32_e32 v6, 0x7f800000, v5
	s_delay_alu instid0(VALU_DEP_1) | instskip(NEXT) | instid1(VALU_DEP_1)
	v_cmp_ne_u32_e64 s1, 0x7f800000, v6
	s_and_saveexec_b32 s9, s1
	s_delay_alu instid0(SALU_CYCLE_1)
	s_xor_b32 s1, exec_lo, s9
; %bb.123:                              ;   in Loop: Header=BB140_41 Depth=1
	v_bfe_u32 v6, v5, 16, 1
	s_delay_alu instid0(VALU_DEP_1)
	v_add3_u32 v42, v5, v6, 0x7fff
                                        ; implicit-def: $vgpr5
; %bb.124:                              ;   in Loop: Header=BB140_41 Depth=1
	s_and_not1_saveexec_b32 s9, s1
; %bb.125:                              ;   in Loop: Header=BB140_41 Depth=1
	v_and_b32_e32 v6, 0xffff, v5
	v_or_b32_e32 v42, 0x10000, v5
	s_delay_alu instid0(VALU_DEP_2) | instskip(NEXT) | instid1(VALU_DEP_1)
	v_cmp_eq_u32_e64 s1, 0, v6
	v_cndmask_b32_e64 v42, v42, v5, s1
; %bb.126:                              ;   in Loop: Header=BB140_41 Depth=1
	s_or_b32 exec_lo, exec_lo, s9
	v_lshlrev_b32_e32 v5, 16, v7
                                        ; implicit-def: $vgpr43
	s_delay_alu instid0(VALU_DEP_1) | instskip(NEXT) | instid1(VALU_DEP_1)
	v_mul_f32_e32 v5, v27, v5
	v_and_b32_e32 v6, 0x7f800000, v5
	s_delay_alu instid0(VALU_DEP_1) | instskip(NEXT) | instid1(VALU_DEP_1)
	v_cmp_ne_u32_e64 s1, 0x7f800000, v6
	s_and_saveexec_b32 s9, s1
	s_delay_alu instid0(SALU_CYCLE_1)
	s_xor_b32 s1, exec_lo, s9
; %bb.127:                              ;   in Loop: Header=BB140_41 Depth=1
	v_bfe_u32 v6, v5, 16, 1
	s_delay_alu instid0(VALU_DEP_1)
	v_add3_u32 v43, v5, v6, 0x7fff
                                        ; implicit-def: $vgpr5
; %bb.128:                              ;   in Loop: Header=BB140_41 Depth=1
	s_and_not1_saveexec_b32 s9, s1
; %bb.129:                              ;   in Loop: Header=BB140_41 Depth=1
	v_and_b32_e32 v6, 0xffff, v5
	v_or_b32_e32 v7, 0x10000, v5
	s_delay_alu instid0(VALU_DEP_2) | instskip(NEXT) | instid1(VALU_DEP_1)
	v_cmp_eq_u32_e64 s1, 0, v6
	v_cndmask_b32_e64 v43, v7, v5, s1
; %bb.130:                              ;   in Loop: Header=BB140_41 Depth=1
	s_or_b32 exec_lo, exec_lo, s9
	v_lshlrev_b32_e32 v5, 16, v44
                                        ; implicit-def: $vgpr44
	s_delay_alu instid0(VALU_DEP_1) | instskip(NEXT) | instid1(VALU_DEP_1)
	v_mul_f32_e32 v5, v28, v5
	v_and_b32_e32 v6, 0x7f800000, v5
	s_delay_alu instid0(VALU_DEP_1) | instskip(NEXT) | instid1(VALU_DEP_1)
	v_cmp_ne_u32_e64 s1, 0x7f800000, v6
	s_and_saveexec_b32 s9, s1
	s_delay_alu instid0(SALU_CYCLE_1)
	s_xor_b32 s1, exec_lo, s9
; %bb.131:                              ;   in Loop: Header=BB140_41 Depth=1
	v_bfe_u32 v6, v5, 16, 1
	s_delay_alu instid0(VALU_DEP_1)
	v_add3_u32 v44, v5, v6, 0x7fff
                                        ; implicit-def: $vgpr5
; %bb.132:                              ;   in Loop: Header=BB140_41 Depth=1
	s_and_not1_saveexec_b32 s9, s1
; %bb.133:                              ;   in Loop: Header=BB140_41 Depth=1
	v_and_b32_e32 v6, 0xffff, v5
	v_or_b32_e32 v7, 0x10000, v5
	s_delay_alu instid0(VALU_DEP_2) | instskip(NEXT) | instid1(VALU_DEP_1)
	v_cmp_eq_u32_e64 s1, 0, v6
	v_cndmask_b32_e64 v44, v7, v5, s1
; %bb.134:                              ;   in Loop: Header=BB140_41 Depth=1
	s_or_b32 exec_lo, exec_lo, s9
	v_lshlrev_b32_e32 v5, 16, v8
                                        ; implicit-def: $vgpr45
	s_delay_alu instid0(VALU_DEP_1) | instskip(NEXT) | instid1(VALU_DEP_1)
	v_mul_f32_e32 v5, v29, v5
	v_and_b32_e32 v6, 0x7f800000, v5
	s_delay_alu instid0(VALU_DEP_1) | instskip(NEXT) | instid1(VALU_DEP_1)
	v_cmp_ne_u32_e64 s1, 0x7f800000, v6
	s_and_saveexec_b32 s9, s1
	s_delay_alu instid0(SALU_CYCLE_1)
	s_xor_b32 s1, exec_lo, s9
; %bb.135:                              ;   in Loop: Header=BB140_41 Depth=1
	v_bfe_u32 v6, v5, 16, 1
	s_delay_alu instid0(VALU_DEP_1)
	v_add3_u32 v45, v5, v6, 0x7fff
                                        ; implicit-def: $vgpr5
; %bb.136:                              ;   in Loop: Header=BB140_41 Depth=1
	s_and_not1_saveexec_b32 s9, s1
; %bb.137:                              ;   in Loop: Header=BB140_41 Depth=1
	v_and_b32_e32 v6, 0xffff, v5
	v_or_b32_e32 v7, 0x10000, v5
	s_delay_alu instid0(VALU_DEP_2) | instskip(NEXT) | instid1(VALU_DEP_1)
	v_cmp_eq_u32_e64 s1, 0, v6
	v_cndmask_b32_e64 v45, v7, v5, s1
; %bb.138:                              ;   in Loop: Header=BB140_41 Depth=1
	s_or_b32 exec_lo, exec_lo, s9
	v_lshlrev_b32_e32 v5, 16, v46
                                        ; implicit-def: $vgpr46
	s_delay_alu instid0(VALU_DEP_1) | instskip(NEXT) | instid1(VALU_DEP_1)
	v_mul_f32_e32 v5, v30, v5
	v_and_b32_e32 v6, 0x7f800000, v5
	s_delay_alu instid0(VALU_DEP_1) | instskip(NEXT) | instid1(VALU_DEP_1)
	v_cmp_ne_u32_e64 s1, 0x7f800000, v6
	s_and_saveexec_b32 s9, s1
	s_delay_alu instid0(SALU_CYCLE_1)
	s_xor_b32 s1, exec_lo, s9
; %bb.139:                              ;   in Loop: Header=BB140_41 Depth=1
	v_bfe_u32 v6, v5, 16, 1
	s_delay_alu instid0(VALU_DEP_1)
	v_add3_u32 v46, v5, v6, 0x7fff
                                        ; implicit-def: $vgpr5
; %bb.140:                              ;   in Loop: Header=BB140_41 Depth=1
	s_and_not1_saveexec_b32 s9, s1
; %bb.141:                              ;   in Loop: Header=BB140_41 Depth=1
	v_and_b32_e32 v6, 0xffff, v5
	v_or_b32_e32 v7, 0x10000, v5
	s_delay_alu instid0(VALU_DEP_2) | instskip(NEXT) | instid1(VALU_DEP_1)
	v_cmp_eq_u32_e64 s1, 0, v6
	v_cndmask_b32_e64 v46, v7, v5, s1
; %bb.142:                              ;   in Loop: Header=BB140_41 Depth=1
	s_or_b32 exec_lo, exec_lo, s9
	global_load_b128 v[5:8], v[9:10], off offset:1024
	s_waitcnt vmcnt(0)
	v_lshrrev_b32_e32 v10, 16, v5
	v_lshrrev_b32_e32 v48, 16, v6
	;; [unrolled: 1-line block ×4, first 2 shown]
	s_and_saveexec_b32 s9, s0
	s_cbranch_execz .LBB140_144
; %bb.143:                              ;   in Loop: Header=BB140_41 Depth=1
	v_add_nc_u32_e32 v49, 1, v17
	v_cmp_gt_i32_e64 s1, s33, v17
	v_add_nc_u32_e32 v50, 2, v17
	v_add_nc_u32_e32 v51, 3, v17
	s_delay_alu instid0(VALU_DEP_3) | instskip(SKIP_2) | instid1(VALU_DEP_2)
	v_cndmask_b32_e64 v5, 0, v5, s1
	v_cmp_gt_i32_e64 s1, s33, v49
	v_add_nc_u32_e32 v49, 4, v17
	v_cndmask_b32_e64 v10, 0, v10, s1
	v_cmp_gt_i32_e64 s1, s33, v50
	v_add_nc_u32_e32 v50, 5, v17
	s_delay_alu instid0(VALU_DEP_2) | instskip(SKIP_2) | instid1(VALU_DEP_2)
	v_cndmask_b32_e64 v6, 0, v6, s1
	v_cmp_gt_i32_e64 s1, s33, v51
	v_add_nc_u32_e32 v51, 6, v17
	v_cndmask_b32_e64 v48, 0, v48, s1
	v_cmp_gt_i32_e64 s1, s33, v49
	v_add_nc_u32_e32 v49, 7, v17
	s_delay_alu instid0(VALU_DEP_2) | instskip(SKIP_1) | instid1(VALU_DEP_1)
	v_cndmask_b32_e64 v7, 0, v7, s1
	v_cmp_gt_i32_e64 s1, s33, v50
	v_cndmask_b32_e64 v47, 0, v47, s1
	v_cmp_gt_i32_e64 s1, s33, v51
	s_delay_alu instid0(VALU_DEP_1) | instskip(SKIP_1) | instid1(VALU_DEP_1)
	v_cndmask_b32_e64 v8, 0, v8, s1
	v_cmp_gt_i32_e64 s1, s33, v49
	v_cndmask_b32_e64 v9, 0, v9, s1
.LBB140_144:                            ;   in Loop: Header=BB140_41 Depth=1
	s_or_b32 exec_lo, exec_lo, s9
	v_lshlrev_b32_e32 v5, 16, v5
	s_delay_alu instid0(VALU_DEP_1) | instskip(NEXT) | instid1(VALU_DEP_1)
	v_mul_f32_e32 v49, v23, v5
	v_and_b32_e32 v5, 0x7f800000, v49
	s_delay_alu instid0(VALU_DEP_1) | instskip(NEXT) | instid1(VALU_DEP_1)
	v_cmp_ne_u32_e64 s1, 0x7f800000, v5
                                        ; implicit-def: $vgpr5
	s_and_saveexec_b32 s9, s1
	s_delay_alu instid0(SALU_CYCLE_1)
	s_xor_b32 s1, exec_lo, s9
; %bb.145:                              ;   in Loop: Header=BB140_41 Depth=1
	v_bfe_u32 v5, v49, 16, 1
	s_delay_alu instid0(VALU_DEP_1)
	v_add3_u32 v5, v49, v5, 0x7fff
                                        ; implicit-def: $vgpr49
; %bb.146:                              ;   in Loop: Header=BB140_41 Depth=1
	s_and_not1_saveexec_b32 s9, s1
; %bb.147:                              ;   in Loop: Header=BB140_41 Depth=1
	v_and_b32_e32 v5, 0xffff, v49
	v_or_b32_e32 v50, 0x10000, v49
	s_delay_alu instid0(VALU_DEP_2) | instskip(NEXT) | instid1(VALU_DEP_1)
	v_cmp_eq_u32_e64 s1, 0, v5
	v_cndmask_b32_e64 v5, v50, v49, s1
; %bb.148:                              ;   in Loop: Header=BB140_41 Depth=1
	s_or_b32 exec_lo, exec_lo, s9
	v_lshlrev_b32_e32 v10, 16, v10
	s_delay_alu instid0(VALU_DEP_1) | instskip(NEXT) | instid1(VALU_DEP_1)
	v_mul_f32_e32 v49, v24, v10
	v_and_b32_e32 v10, 0x7f800000, v49
	s_delay_alu instid0(VALU_DEP_1) | instskip(NEXT) | instid1(VALU_DEP_1)
	v_cmp_ne_u32_e64 s1, 0x7f800000, v10
                                        ; implicit-def: $vgpr10
	s_and_saveexec_b32 s9, s1
	s_delay_alu instid0(SALU_CYCLE_1)
	s_xor_b32 s1, exec_lo, s9
; %bb.149:                              ;   in Loop: Header=BB140_41 Depth=1
	v_bfe_u32 v10, v49, 16, 1
	s_delay_alu instid0(VALU_DEP_1)
	v_add3_u32 v10, v49, v10, 0x7fff
                                        ; implicit-def: $vgpr49
; %bb.150:                              ;   in Loop: Header=BB140_41 Depth=1
	s_and_not1_saveexec_b32 s9, s1
; %bb.151:                              ;   in Loop: Header=BB140_41 Depth=1
	v_and_b32_e32 v10, 0xffff, v49
	v_or_b32_e32 v50, 0x10000, v49
	s_delay_alu instid0(VALU_DEP_2) | instskip(NEXT) | instid1(VALU_DEP_1)
	v_cmp_eq_u32_e64 s1, 0, v10
	v_cndmask_b32_e64 v10, v50, v49, s1
; %bb.152:                              ;   in Loop: Header=BB140_41 Depth=1
	s_or_b32 exec_lo, exec_lo, s9
	v_lshlrev_b32_e32 v6, 16, v6
	s_delay_alu instid0(VALU_DEP_1) | instskip(NEXT) | instid1(VALU_DEP_1)
	v_mul_f32_e32 v49, v25, v6
	v_and_b32_e32 v6, 0x7f800000, v49
	s_delay_alu instid0(VALU_DEP_1) | instskip(NEXT) | instid1(VALU_DEP_1)
	v_cmp_ne_u32_e64 s1, 0x7f800000, v6
                                        ; implicit-def: $vgpr6
	s_and_saveexec_b32 s9, s1
	s_delay_alu instid0(SALU_CYCLE_1)
	s_xor_b32 s1, exec_lo, s9
; %bb.153:                              ;   in Loop: Header=BB140_41 Depth=1
	v_bfe_u32 v6, v49, 16, 1
	s_delay_alu instid0(VALU_DEP_1)
	v_add3_u32 v6, v49, v6, 0x7fff
                                        ; implicit-def: $vgpr49
; %bb.154:                              ;   in Loop: Header=BB140_41 Depth=1
	s_and_not1_saveexec_b32 s9, s1
; %bb.155:                              ;   in Loop: Header=BB140_41 Depth=1
	v_and_b32_e32 v6, 0xffff, v49
	v_or_b32_e32 v50, 0x10000, v49
	s_delay_alu instid0(VALU_DEP_2) | instskip(NEXT) | instid1(VALU_DEP_1)
	v_cmp_eq_u32_e64 s1, 0, v6
	v_cndmask_b32_e64 v6, v50, v49, s1
; %bb.156:                              ;   in Loop: Header=BB140_41 Depth=1
	s_or_b32 exec_lo, exec_lo, s9
	v_lshlrev_b32_e32 v48, 16, v48
	s_delay_alu instid0(VALU_DEP_1) | instskip(NEXT) | instid1(VALU_DEP_1)
	v_mul_f32_e32 v49, v26, v48
	v_and_b32_e32 v48, 0x7f800000, v49
	s_delay_alu instid0(VALU_DEP_1) | instskip(NEXT) | instid1(VALU_DEP_1)
	v_cmp_ne_u32_e64 s1, 0x7f800000, v48
                                        ; implicit-def: $vgpr48
	s_and_saveexec_b32 s9, s1
	s_delay_alu instid0(SALU_CYCLE_1)
	s_xor_b32 s1, exec_lo, s9
; %bb.157:                              ;   in Loop: Header=BB140_41 Depth=1
	v_bfe_u32 v48, v49, 16, 1
	s_delay_alu instid0(VALU_DEP_1)
	v_add3_u32 v48, v49, v48, 0x7fff
                                        ; implicit-def: $vgpr49
; %bb.158:                              ;   in Loop: Header=BB140_41 Depth=1
	s_and_not1_saveexec_b32 s9, s1
; %bb.159:                              ;   in Loop: Header=BB140_41 Depth=1
	v_and_b32_e32 v48, 0xffff, v49
	v_or_b32_e32 v50, 0x10000, v49
	s_delay_alu instid0(VALU_DEP_2) | instskip(NEXT) | instid1(VALU_DEP_1)
	v_cmp_eq_u32_e64 s1, 0, v48
	v_cndmask_b32_e64 v48, v50, v49, s1
; %bb.160:                              ;   in Loop: Header=BB140_41 Depth=1
	s_or_b32 exec_lo, exec_lo, s9
	v_lshlrev_b32_e32 v7, 16, v7
	s_delay_alu instid0(VALU_DEP_1) | instskip(NEXT) | instid1(VALU_DEP_1)
	v_mul_f32_e32 v49, v27, v7
	v_and_b32_e32 v7, 0x7f800000, v49
	s_delay_alu instid0(VALU_DEP_1) | instskip(NEXT) | instid1(VALU_DEP_1)
	v_cmp_ne_u32_e64 s1, 0x7f800000, v7
                                        ; implicit-def: $vgpr7
	s_and_saveexec_b32 s9, s1
	s_delay_alu instid0(SALU_CYCLE_1)
	s_xor_b32 s1, exec_lo, s9
; %bb.161:                              ;   in Loop: Header=BB140_41 Depth=1
	v_bfe_u32 v7, v49, 16, 1
	s_delay_alu instid0(VALU_DEP_1)
	v_add3_u32 v7, v49, v7, 0x7fff
                                        ; implicit-def: $vgpr49
; %bb.162:                              ;   in Loop: Header=BB140_41 Depth=1
	s_and_not1_saveexec_b32 s9, s1
; %bb.163:                              ;   in Loop: Header=BB140_41 Depth=1
	v_and_b32_e32 v7, 0xffff, v49
	v_or_b32_e32 v50, 0x10000, v49
	s_delay_alu instid0(VALU_DEP_2) | instskip(NEXT) | instid1(VALU_DEP_1)
	v_cmp_eq_u32_e64 s1, 0, v7
	v_cndmask_b32_e64 v7, v50, v49, s1
; %bb.164:                              ;   in Loop: Header=BB140_41 Depth=1
	s_or_b32 exec_lo, exec_lo, s9
	v_lshlrev_b32_e32 v47, 16, v47
	s_delay_alu instid0(VALU_DEP_1) | instskip(NEXT) | instid1(VALU_DEP_1)
	v_mul_f32_e32 v49, v28, v47
	v_and_b32_e32 v47, 0x7f800000, v49
	s_delay_alu instid0(VALU_DEP_1) | instskip(NEXT) | instid1(VALU_DEP_1)
	v_cmp_ne_u32_e64 s1, 0x7f800000, v47
                                        ; implicit-def: $vgpr47
	s_and_saveexec_b32 s9, s1
	s_delay_alu instid0(SALU_CYCLE_1)
	s_xor_b32 s1, exec_lo, s9
; %bb.165:                              ;   in Loop: Header=BB140_41 Depth=1
	v_bfe_u32 v47, v49, 16, 1
	s_delay_alu instid0(VALU_DEP_1)
	v_add3_u32 v47, v49, v47, 0x7fff
                                        ; implicit-def: $vgpr49
; %bb.166:                              ;   in Loop: Header=BB140_41 Depth=1
	s_and_not1_saveexec_b32 s9, s1
; %bb.167:                              ;   in Loop: Header=BB140_41 Depth=1
	v_and_b32_e32 v47, 0xffff, v49
	v_or_b32_e32 v50, 0x10000, v49
	s_delay_alu instid0(VALU_DEP_2) | instskip(NEXT) | instid1(VALU_DEP_1)
	v_cmp_eq_u32_e64 s1, 0, v47
	v_cndmask_b32_e64 v47, v50, v49, s1
; %bb.168:                              ;   in Loop: Header=BB140_41 Depth=1
	s_or_b32 exec_lo, exec_lo, s9
	v_lshlrev_b32_e32 v8, 16, v8
	s_delay_alu instid0(VALU_DEP_1) | instskip(NEXT) | instid1(VALU_DEP_1)
	v_mul_f32_e32 v49, v29, v8
	v_and_b32_e32 v8, 0x7f800000, v49
	s_delay_alu instid0(VALU_DEP_1) | instskip(NEXT) | instid1(VALU_DEP_1)
	v_cmp_ne_u32_e64 s1, 0x7f800000, v8
                                        ; implicit-def: $vgpr8
	s_and_saveexec_b32 s9, s1
	s_delay_alu instid0(SALU_CYCLE_1)
	s_xor_b32 s1, exec_lo, s9
; %bb.169:                              ;   in Loop: Header=BB140_41 Depth=1
	v_bfe_u32 v8, v49, 16, 1
	s_delay_alu instid0(VALU_DEP_1)
	v_add3_u32 v8, v49, v8, 0x7fff
                                        ; implicit-def: $vgpr49
; %bb.170:                              ;   in Loop: Header=BB140_41 Depth=1
	s_and_not1_saveexec_b32 s9, s1
; %bb.171:                              ;   in Loop: Header=BB140_41 Depth=1
	v_and_b32_e32 v8, 0xffff, v49
	v_or_b32_e32 v50, 0x10000, v49
	s_delay_alu instid0(VALU_DEP_2) | instskip(NEXT) | instid1(VALU_DEP_1)
	v_cmp_eq_u32_e64 s1, 0, v8
	v_cndmask_b32_e64 v8, v50, v49, s1
; %bb.172:                              ;   in Loop: Header=BB140_41 Depth=1
	s_or_b32 exec_lo, exec_lo, s9
	v_lshlrev_b32_e32 v9, 16, v9
	s_delay_alu instid0(VALU_DEP_1) | instskip(NEXT) | instid1(VALU_DEP_1)
	v_mul_f32_e32 v49, v30, v9
	v_and_b32_e32 v9, 0x7f800000, v49
	s_delay_alu instid0(VALU_DEP_1) | instskip(NEXT) | instid1(VALU_DEP_1)
	v_cmp_ne_u32_e64 s1, 0x7f800000, v9
                                        ; implicit-def: $vgpr9
	s_and_saveexec_b32 s9, s1
	s_delay_alu instid0(SALU_CYCLE_1)
	s_xor_b32 s1, exec_lo, s9
; %bb.173:                              ;   in Loop: Header=BB140_41 Depth=1
	v_bfe_u32 v9, v49, 16, 1
	s_delay_alu instid0(VALU_DEP_1)
	v_add3_u32 v9, v49, v9, 0x7fff
                                        ; implicit-def: $vgpr49
; %bb.174:                              ;   in Loop: Header=BB140_41 Depth=1
	s_and_not1_saveexec_b32 s9, s1
; %bb.175:                              ;   in Loop: Header=BB140_41 Depth=1
	v_and_b32_e32 v9, 0xffff, v49
	v_or_b32_e32 v50, 0x10000, v49
	s_delay_alu instid0(VALU_DEP_2) | instskip(NEXT) | instid1(VALU_DEP_1)
	v_cmp_eq_u32_e64 s1, 0, v9
	v_cndmask_b32_e64 v9, v50, v49, s1
; %bb.176:                              ;   in Loop: Header=BB140_41 Depth=1
	s_or_b32 exec_lo, exec_lo, s9
	v_and_b32_e32 v10, 0xffff0000, v10
	v_and_b32_e32 v5, 0xffff0000, v5
	;; [unrolled: 1-line block ×6, first 2 shown]
	v_add_f32_e32 v5, v5, v10
	v_and_b32_e32 v33, 0xffff0000, v33
	v_and_b32_e32 v31, 0xffff0000, v31
	;; [unrolled: 1-line block ×5, first 2 shown]
	s_delay_alu instid0(VALU_DEP_3) | instskip(SKIP_2) | instid1(VALU_DEP_3)
	v_dual_add_f32 v31, v31, v32 :: v_dual_add_f32 v32, v33, v34
	v_and_b32_e32 v33, 0xffff0000, v37
	v_and_b32_e32 v37, 0xffff0000, v42
	v_dual_add_f32 v31, v31, v32 :: v_dual_and_b32 v32, 0xffff0000, v38
	v_and_b32_e32 v38, 0xffff0000, v40
	s_delay_alu instid0(VALU_DEP_1) | instskip(SKIP_1) | instid1(VALU_DEP_1)
	v_add_f32_e32 v38, v39, v38
	v_add_f32_e32 v34, v35, v36
	v_dual_add_f32 v31, v31, v34 :: v_dual_and_b32 v42, 0xffff0000, v48
	s_delay_alu instid0(VALU_DEP_1) | instskip(SKIP_2) | instid1(VALU_DEP_3)
	v_add_f32_e32 v6, v6, v42
	v_and_b32_e32 v34, 0xffff0000, v41
	v_and_b32_e32 v35, 0xffff0000, v44
	v_dual_add_f32 v5, v5, v6 :: v_dual_and_b32 v36, 0xffff0000, v43
	s_delay_alu instid0(VALU_DEP_3) | instskip(NEXT) | instid1(VALU_DEP_1)
	v_dual_add_f32 v34, v34, v37 :: v_dual_and_b32 v37, 0xffff0000, v47
	v_add_f32_e32 v10, v38, v34
	s_delay_alu instid0(VALU_DEP_3) | instskip(NEXT) | instid1(VALU_DEP_1)
	v_add_f32_e32 v34, v36, v35
	v_dual_add_f32 v10, v10, v34 :: v_dual_and_b32 v7, 0xffff0000, v7
	s_delay_alu instid0(VALU_DEP_1) | instskip(SKIP_2) | instid1(VALU_DEP_2)
	v_dual_add_f32 v6, v7, v37 :: v_dual_and_b32 v41, 0xffff0000, v46
	v_and_b32_e32 v7, 0xffff0000, v9
	v_add_f32_e32 v9, v33, v32
	v_dual_add_f32 v5, v5, v6 :: v_dual_add_f32 v6, v8, v7
	v_and_b32_e32 v40, 0xffff0000, v45
	s_delay_alu instid0(VALU_DEP_3) | instskip(NEXT) | instid1(VALU_DEP_2)
	v_add_f32_e32 v7, v31, v9
	v_dual_add_f32 v5, v5, v6 :: v_dual_add_f32 v32, v40, v41
	s_delay_alu instid0(VALU_DEP_2) | instskip(NEXT) | instid1(VALU_DEP_2)
	v_add_f32_e32 v1, v1, v7
	v_dual_add_f32 v3, v3, v5 :: v_dual_add_f32 v8, v10, v32
	s_delay_alu instid0(VALU_DEP_1)
	v_add_f32_e32 v2, v2, v8
	s_and_saveexec_b32 s9, vcc_lo
	s_cbranch_execz .LBB140_39
; %bb.177:                              ;   in Loop: Header=BB140_41 Depth=1
	v_add_co_u32 v5, s1, v11, v22
	s_delay_alu instid0(VALU_DEP_1)
	v_add_co_ci_u32_e64 v6, s1, 0, v12, s1
	global_load_b128 v[5:8], v[5:6], off
	s_waitcnt vmcnt(0)
	v_lshrrev_b32_e32 v11, 16, v5
	v_lshrrev_b32_e32 v12, 16, v6
	;; [unrolled: 1-line block ×4, first 2 shown]
	s_and_saveexec_b32 s1, s0
	s_cbranch_execz .LBB140_179
; %bb.178:                              ;   in Loop: Header=BB140_41 Depth=1
	v_add_nc_u32_e32 v31, 1, v17
	v_cmp_gt_i32_e64 s0, s33, v17
	v_add_nc_u32_e32 v32, 2, v17
	v_add_nc_u32_e32 v33, 3, v17
	s_delay_alu instid0(VALU_DEP_3) | instskip(SKIP_2) | instid1(VALU_DEP_2)
	v_cndmask_b32_e64 v5, 0, v5, s0
	v_cmp_gt_i32_e64 s0, s33, v31
	v_add_nc_u32_e32 v31, 4, v17
	v_cndmask_b32_e64 v11, 0, v11, s0
	v_cmp_gt_i32_e64 s0, s33, v32
	v_add_nc_u32_e32 v32, 5, v17
	s_delay_alu instid0(VALU_DEP_2) | instskip(SKIP_2) | instid1(VALU_DEP_2)
	v_cndmask_b32_e64 v6, 0, v6, s0
	v_cmp_gt_i32_e64 s0, s33, v33
	v_add_nc_u32_e32 v33, 6, v17
	v_cndmask_b32_e64 v12, 0, v12, s0
	v_cmp_gt_i32_e64 s0, s33, v31
	v_add_nc_u32_e32 v31, 7, v17
	s_delay_alu instid0(VALU_DEP_2) | instskip(SKIP_1) | instid1(VALU_DEP_1)
	v_cndmask_b32_e64 v7, 0, v7, s0
	v_cmp_gt_i32_e64 s0, s33, v32
	v_cndmask_b32_e64 v10, 0, v10, s0
	v_cmp_gt_i32_e64 s0, s33, v33
	s_delay_alu instid0(VALU_DEP_1) | instskip(SKIP_1) | instid1(VALU_DEP_1)
	v_cndmask_b32_e64 v8, 0, v8, s0
	v_cmp_gt_i32_e64 s0, s33, v31
	v_cndmask_b32_e64 v9, 0, v9, s0
.LBB140_179:                            ;   in Loop: Header=BB140_41 Depth=1
	s_or_b32 exec_lo, exec_lo, s1
	v_lshlrev_b32_e32 v5, 16, v5
	s_delay_alu instid0(VALU_DEP_1) | instskip(NEXT) | instid1(VALU_DEP_1)
	v_mul_f32_e32 v23, v23, v5
	v_and_b32_e32 v5, 0x7f800000, v23
	s_delay_alu instid0(VALU_DEP_1) | instskip(NEXT) | instid1(VALU_DEP_1)
	v_cmp_ne_u32_e64 s0, 0x7f800000, v5
                                        ; implicit-def: $vgpr5
	s_and_saveexec_b32 s1, s0
	s_delay_alu instid0(SALU_CYCLE_1)
	s_xor_b32 s0, exec_lo, s1
; %bb.180:                              ;   in Loop: Header=BB140_41 Depth=1
	v_bfe_u32 v5, v23, 16, 1
	s_delay_alu instid0(VALU_DEP_1)
	v_add3_u32 v5, v23, v5, 0x7fff
                                        ; implicit-def: $vgpr23
; %bb.181:                              ;   in Loop: Header=BB140_41 Depth=1
	s_and_not1_saveexec_b32 s1, s0
; %bb.182:                              ;   in Loop: Header=BB140_41 Depth=1
	v_and_b32_e32 v5, 0xffff, v23
	v_or_b32_e32 v31, 0x10000, v23
	s_delay_alu instid0(VALU_DEP_2) | instskip(NEXT) | instid1(VALU_DEP_1)
	v_cmp_eq_u32_e64 s0, 0, v5
	v_cndmask_b32_e64 v5, v31, v23, s0
; %bb.183:                              ;   in Loop: Header=BB140_41 Depth=1
	s_or_b32 exec_lo, exec_lo, s1
	v_lshlrev_b32_e32 v11, 16, v11
	s_delay_alu instid0(VALU_DEP_1) | instskip(NEXT) | instid1(VALU_DEP_1)
	v_mul_f32_e32 v23, v24, v11
	v_and_b32_e32 v11, 0x7f800000, v23
	s_delay_alu instid0(VALU_DEP_1) | instskip(NEXT) | instid1(VALU_DEP_1)
	v_cmp_ne_u32_e64 s0, 0x7f800000, v11
                                        ; implicit-def: $vgpr11
	s_and_saveexec_b32 s1, s0
	s_delay_alu instid0(SALU_CYCLE_1)
	s_xor_b32 s0, exec_lo, s1
; %bb.184:                              ;   in Loop: Header=BB140_41 Depth=1
	v_bfe_u32 v11, v23, 16, 1
	s_delay_alu instid0(VALU_DEP_1)
	v_add3_u32 v11, v23, v11, 0x7fff
                                        ; implicit-def: $vgpr23
; %bb.185:                              ;   in Loop: Header=BB140_41 Depth=1
	s_and_not1_saveexec_b32 s1, s0
; %bb.186:                              ;   in Loop: Header=BB140_41 Depth=1
	v_and_b32_e32 v11, 0xffff, v23
	v_or_b32_e32 v24, 0x10000, v23
	s_delay_alu instid0(VALU_DEP_2) | instskip(NEXT) | instid1(VALU_DEP_1)
	v_cmp_eq_u32_e64 s0, 0, v11
	v_cndmask_b32_e64 v11, v24, v23, s0
; %bb.187:                              ;   in Loop: Header=BB140_41 Depth=1
	s_or_b32 exec_lo, exec_lo, s1
	v_lshlrev_b32_e32 v6, 16, v6
	s_delay_alu instid0(VALU_DEP_1) | instskip(NEXT) | instid1(VALU_DEP_1)
	v_mul_f32_e32 v23, v25, v6
	v_and_b32_e32 v6, 0x7f800000, v23
	s_delay_alu instid0(VALU_DEP_1) | instskip(NEXT) | instid1(VALU_DEP_1)
	v_cmp_ne_u32_e64 s0, 0x7f800000, v6
                                        ; implicit-def: $vgpr6
	s_and_saveexec_b32 s1, s0
	s_delay_alu instid0(SALU_CYCLE_1)
	s_xor_b32 s0, exec_lo, s1
; %bb.188:                              ;   in Loop: Header=BB140_41 Depth=1
	v_bfe_u32 v6, v23, 16, 1
	s_delay_alu instid0(VALU_DEP_1)
	v_add3_u32 v6, v23, v6, 0x7fff
                                        ; implicit-def: $vgpr23
; %bb.189:                              ;   in Loop: Header=BB140_41 Depth=1
	s_and_not1_saveexec_b32 s1, s0
; %bb.190:                              ;   in Loop: Header=BB140_41 Depth=1
	v_and_b32_e32 v6, 0xffff, v23
	v_or_b32_e32 v24, 0x10000, v23
	s_delay_alu instid0(VALU_DEP_2) | instskip(NEXT) | instid1(VALU_DEP_1)
	v_cmp_eq_u32_e64 s0, 0, v6
	v_cndmask_b32_e64 v6, v24, v23, s0
; %bb.191:                              ;   in Loop: Header=BB140_41 Depth=1
	s_or_b32 exec_lo, exec_lo, s1
	v_lshlrev_b32_e32 v12, 16, v12
	s_delay_alu instid0(VALU_DEP_1) | instskip(NEXT) | instid1(VALU_DEP_1)
	v_mul_f32_e32 v23, v26, v12
	v_and_b32_e32 v12, 0x7f800000, v23
	s_delay_alu instid0(VALU_DEP_1) | instskip(NEXT) | instid1(VALU_DEP_1)
	v_cmp_ne_u32_e64 s0, 0x7f800000, v12
                                        ; implicit-def: $vgpr12
	s_and_saveexec_b32 s1, s0
	s_delay_alu instid0(SALU_CYCLE_1)
	s_xor_b32 s0, exec_lo, s1
; %bb.192:                              ;   in Loop: Header=BB140_41 Depth=1
	v_bfe_u32 v12, v23, 16, 1
	s_delay_alu instid0(VALU_DEP_1)
	v_add3_u32 v12, v23, v12, 0x7fff
                                        ; implicit-def: $vgpr23
; %bb.193:                              ;   in Loop: Header=BB140_41 Depth=1
	s_and_not1_saveexec_b32 s1, s0
; %bb.194:                              ;   in Loop: Header=BB140_41 Depth=1
	v_and_b32_e32 v12, 0xffff, v23
	v_or_b32_e32 v24, 0x10000, v23
	s_delay_alu instid0(VALU_DEP_2) | instskip(NEXT) | instid1(VALU_DEP_1)
	v_cmp_eq_u32_e64 s0, 0, v12
	v_cndmask_b32_e64 v12, v24, v23, s0
; %bb.195:                              ;   in Loop: Header=BB140_41 Depth=1
	s_or_b32 exec_lo, exec_lo, s1
	v_lshlrev_b32_e32 v7, 16, v7
	s_delay_alu instid0(VALU_DEP_1) | instskip(NEXT) | instid1(VALU_DEP_1)
	v_mul_f32_e32 v23, v27, v7
	v_and_b32_e32 v7, 0x7f800000, v23
	s_delay_alu instid0(VALU_DEP_1) | instskip(NEXT) | instid1(VALU_DEP_1)
	v_cmp_ne_u32_e64 s0, 0x7f800000, v7
                                        ; implicit-def: $vgpr7
	s_and_saveexec_b32 s1, s0
	s_delay_alu instid0(SALU_CYCLE_1)
	s_xor_b32 s0, exec_lo, s1
; %bb.196:                              ;   in Loop: Header=BB140_41 Depth=1
	v_bfe_u32 v7, v23, 16, 1
	s_delay_alu instid0(VALU_DEP_1)
	v_add3_u32 v7, v23, v7, 0x7fff
                                        ; implicit-def: $vgpr23
; %bb.197:                              ;   in Loop: Header=BB140_41 Depth=1
	s_and_not1_saveexec_b32 s1, s0
; %bb.198:                              ;   in Loop: Header=BB140_41 Depth=1
	v_and_b32_e32 v7, 0xffff, v23
	v_or_b32_e32 v24, 0x10000, v23
	s_delay_alu instid0(VALU_DEP_2) | instskip(NEXT) | instid1(VALU_DEP_1)
	v_cmp_eq_u32_e64 s0, 0, v7
	v_cndmask_b32_e64 v7, v24, v23, s0
; %bb.199:                              ;   in Loop: Header=BB140_41 Depth=1
	s_or_b32 exec_lo, exec_lo, s1
	v_lshlrev_b32_e32 v10, 16, v10
	s_delay_alu instid0(VALU_DEP_1) | instskip(NEXT) | instid1(VALU_DEP_1)
	v_mul_f32_e32 v23, v28, v10
	v_and_b32_e32 v10, 0x7f800000, v23
	s_delay_alu instid0(VALU_DEP_1) | instskip(NEXT) | instid1(VALU_DEP_1)
	v_cmp_ne_u32_e64 s0, 0x7f800000, v10
                                        ; implicit-def: $vgpr10
	s_and_saveexec_b32 s1, s0
	s_delay_alu instid0(SALU_CYCLE_1)
	s_xor_b32 s0, exec_lo, s1
; %bb.200:                              ;   in Loop: Header=BB140_41 Depth=1
	v_bfe_u32 v10, v23, 16, 1
	s_delay_alu instid0(VALU_DEP_1)
	v_add3_u32 v10, v23, v10, 0x7fff
                                        ; implicit-def: $vgpr23
; %bb.201:                              ;   in Loop: Header=BB140_41 Depth=1
	s_and_not1_saveexec_b32 s1, s0
; %bb.202:                              ;   in Loop: Header=BB140_41 Depth=1
	v_and_b32_e32 v10, 0xffff, v23
	v_or_b32_e32 v24, 0x10000, v23
	s_delay_alu instid0(VALU_DEP_2) | instskip(NEXT) | instid1(VALU_DEP_1)
	v_cmp_eq_u32_e64 s0, 0, v10
	v_cndmask_b32_e64 v10, v24, v23, s0
; %bb.203:                              ;   in Loop: Header=BB140_41 Depth=1
	s_or_b32 exec_lo, exec_lo, s1
	v_lshlrev_b32_e32 v8, 16, v8
	s_delay_alu instid0(VALU_DEP_1) | instskip(NEXT) | instid1(VALU_DEP_1)
	v_mul_f32_e32 v23, v29, v8
	v_and_b32_e32 v8, 0x7f800000, v23
	s_delay_alu instid0(VALU_DEP_1) | instskip(NEXT) | instid1(VALU_DEP_1)
	v_cmp_ne_u32_e64 s0, 0x7f800000, v8
                                        ; implicit-def: $vgpr8
	s_and_saveexec_b32 s1, s0
	s_delay_alu instid0(SALU_CYCLE_1)
	s_xor_b32 s0, exec_lo, s1
; %bb.204:                              ;   in Loop: Header=BB140_41 Depth=1
	v_bfe_u32 v8, v23, 16, 1
	s_delay_alu instid0(VALU_DEP_1)
	v_add3_u32 v8, v23, v8, 0x7fff
                                        ; implicit-def: $vgpr23
; %bb.205:                              ;   in Loop: Header=BB140_41 Depth=1
	s_and_not1_saveexec_b32 s1, s0
; %bb.206:                              ;   in Loop: Header=BB140_41 Depth=1
	v_and_b32_e32 v8, 0xffff, v23
	v_or_b32_e32 v24, 0x10000, v23
	s_delay_alu instid0(VALU_DEP_2) | instskip(NEXT) | instid1(VALU_DEP_1)
	v_cmp_eq_u32_e64 s0, 0, v8
	v_cndmask_b32_e64 v8, v24, v23, s0
; %bb.207:                              ;   in Loop: Header=BB140_41 Depth=1
	s_or_b32 exec_lo, exec_lo, s1
	v_lshlrev_b32_e32 v9, 16, v9
	s_delay_alu instid0(VALU_DEP_1) | instskip(NEXT) | instid1(VALU_DEP_1)
	v_mul_f32_e32 v23, v30, v9
	v_and_b32_e32 v9, 0x7f800000, v23
	s_delay_alu instid0(VALU_DEP_1) | instskip(NEXT) | instid1(VALU_DEP_1)
	v_cmp_ne_u32_e64 s0, 0x7f800000, v9
                                        ; implicit-def: $vgpr9
	s_and_saveexec_b32 s1, s0
	s_delay_alu instid0(SALU_CYCLE_1)
	s_xor_b32 s0, exec_lo, s1
; %bb.208:                              ;   in Loop: Header=BB140_41 Depth=1
	v_bfe_u32 v9, v23, 16, 1
	s_delay_alu instid0(VALU_DEP_1)
	v_add3_u32 v9, v23, v9, 0x7fff
                                        ; implicit-def: $vgpr23
; %bb.209:                              ;   in Loop: Header=BB140_41 Depth=1
	s_and_not1_saveexec_b32 s1, s0
	s_cbranch_execz .LBB140_38
; %bb.210:                              ;   in Loop: Header=BB140_41 Depth=1
	v_and_b32_e32 v9, 0xffff, v23
	v_or_b32_e32 v24, 0x10000, v23
	s_delay_alu instid0(VALU_DEP_2) | instskip(NEXT) | instid1(VALU_DEP_1)
	v_cmp_eq_u32_e64 s0, 0, v9
	v_cndmask_b32_e64 v9, v24, v23, s0
	s_branch .LBB140_38
.LBB140_211:
	s_or_b32 exec_lo, exec_lo, s4
.LBB140_212:
	s_delay_alu instid0(SALU_CYCLE_1)
	s_or_b32 exec_lo, exec_lo, s3
	s_movk_i32 s0, 0x1c0
	v_and_b32_e32 v6, 0x3c0, v0
	v_mad_u32_u24 v5, v16, s0, 0x100
	v_or_b32_e32 v7, 0x60, v0
	s_mov_b32 s0, exec_lo
	s_waitcnt_vscnt null, 0x0
	s_barrier
	buffer_gl0_inv
	v_cmpx_eq_u32_e32 64, v6
	s_cbranch_execz .LBB140_215
; %bb.213:
	v_add_nc_u32_e32 v6, 0xfffffc80, v5
	v_cmp_gt_u32_e32 vcc_lo, 0x70, v7
	s_delay_alu instid0(VALU_DEP_2)
	v_lshl_add_u32 v8, v18, 2, v6
	ds_store_2addr_b32 v8, v1, v2 offset1:32
	ds_store_b32 v8, v3 offset:256
	s_and_b32 exec_lo, exec_lo, vcc_lo
	s_cbranch_execz .LBB140_215
; %bb.214:
	v_lshl_add_u32 v6, v7, 2, v6
	ds_store_b32 v6, v4
.LBB140_215:
	s_or_b32 exec_lo, exec_lo, s0
	v_lshl_add_u32 v6, v18, 2, v5
	s_mov_b32 s0, exec_lo
	s_waitcnt lgkmcnt(0)
	s_barrier
	buffer_gl0_inv
	v_cmpx_gt_u32_e32 64, v0
	s_cbranch_execz .LBB140_219
; %bb.216:
	v_lshl_or_b32 v8, v0, 2, 0x80
	s_mov_b32 s1, exec_lo
	s_delay_alu instid0(VALU_DEP_1)
	v_add_nc_u32_e32 v10, v5, v8
	ds_load_2addr_stride64_b32 v[8:9], v6 offset1:1
	ds_load_b32 v10, v10
	s_waitcnt lgkmcnt(1)
	v_add_f32_e32 v3, v3, v9
	s_waitcnt lgkmcnt(0)
	v_dual_add_f32 v1, v1, v8 :: v_dual_add_f32 v2, v2, v10
	v_cmpx_gt_u32_e32 0x70, v7
	s_cbranch_execz .LBB140_218
; %bb.217:
	v_lshl_add_u32 v8, v7, 2, v5
	ds_load_b32 v8, v8
	s_waitcnt lgkmcnt(0)
	v_add_f32_e32 v4, v4, v8
.LBB140_218:
	s_or_b32 exec_lo, exec_lo, s1
.LBB140_219:
	s_delay_alu instid0(SALU_CYCLE_1)
	s_or_b32 exec_lo, exec_lo, s0
	v_and_b32_e32 v8, 0x3e0, v0
	s_mov_b32 s0, exec_lo
	s_barrier
	buffer_gl0_inv
	v_cmpx_eq_u32_e32 32, v8
	s_cbranch_execz .LBB140_222
; %bb.220:
	v_add_nc_u32_e32 v8, 0xfffffe40, v5
	v_cmp_gt_u32_e32 vcc_lo, 0x70, v7
	s_delay_alu instid0(VALU_DEP_2)
	v_lshl_add_u32 v9, v18, 2, v8
	v_lshl_add_u32 v10, v0, 2, v8
	ds_store_b32 v9, v1
	ds_store_b32 v10, v2
	ds_store_b32 v9, v3 offset:256
	s_and_b32 exec_lo, exec_lo, vcc_lo
	s_cbranch_execz .LBB140_222
; %bb.221:
	v_lshl_add_u32 v8, v7, 2, v8
	ds_store_b32 v8, v4
.LBB140_222:
	s_or_b32 exec_lo, exec_lo, s0
	v_cmp_gt_u32_e32 vcc_lo, 32, v0
	s_waitcnt lgkmcnt(0)
	s_barrier
	buffer_gl0_inv
	s_and_saveexec_b32 s1, vcc_lo
	s_cbranch_execz .LBB140_226
; %bb.223:
	v_lshl_add_u32 v5, v0, 2, v5
	s_mov_b32 s2, exec_lo
	ds_load_b32 v6, v6
	ds_load_2addr_b32 v[8:9], v5 offset0:32 offset1:64
	s_waitcnt lgkmcnt(0)
	v_dual_add_f32 v1, v1, v6 :: v_dual_add_f32 v2, v2, v8
	v_add_f32_e32 v3, v3, v9
	v_cmpx_gt_u32_e32 0x70, v7
	s_cbranch_execz .LBB140_225
; %bb.224:
	ds_load_b32 v5, v5 offset:384
	s_waitcnt lgkmcnt(0)
	v_add_f32_e32 v4, v4, v5
.LBB140_225:
	s_or_b32 exec_lo, exec_lo, s2
.LBB140_226:
	s_delay_alu instid0(SALU_CYCLE_1)
	s_or_b32 exec_lo, exec_lo, s1
	s_barrier
	buffer_gl0_inv
	s_and_saveexec_b32 s0, vcc_lo
	s_cbranch_execz .LBB140_245
; %bb.227:
	v_and_b32_e32 v5, 0x7f800000, v1
	s_mov_b32 s0, exec_lo
                                        ; implicit-def: $vgpr8
	s_delay_alu instid0(VALU_DEP_1)
	v_cmpx_ne_u32_e32 0x7f800000, v5
	s_xor_b32 s0, exec_lo, s0
; %bb.228:
	v_bfe_u32 v5, v1, 16, 1
	s_delay_alu instid0(VALU_DEP_1)
	v_add3_u32 v8, v1, v5, 0x7fff
; %bb.229:
	s_and_not1_saveexec_b32 s0, s0
; %bb.230:
	v_and_b32_e32 v5, 0xffff, v1
	v_or_b32_e32 v6, 0x10000, v1
	s_delay_alu instid0(VALU_DEP_2) | instskip(NEXT) | instid1(VALU_DEP_2)
	v_cmp_eq_u32_e32 vcc_lo, 0, v5
	v_cndmask_b32_e32 v8, v6, v1, vcc_lo
; %bb.231:
	s_or_b32 exec_lo, exec_lo, s0
	s_mul_i32 s0, s10, 0x70
	s_mul_i32 s2, s8, s22
	s_ashr_i32 s1, s0, 31
	v_lshlrev_b32_e32 v0, 1, v0
	s_lshl_b64 s[0:1], s[0:1], 1
	v_and_b32_e32 v1, 0x7f800000, v2
	s_add_u32 s4, s24, s0
	s_addc_u32 s5, s25, s1
	s_ashr_i32 s3, s2, 31
	s_delay_alu instid0(SALU_CYCLE_1) | instskip(SKIP_4) | instid1(SALU_CYCLE_1)
	s_lshl_b64 s[0:1], s[2:3], 1
	s_mul_i32 s2, s20, 0x70
	s_add_u32 s4, s4, s0
	s_addc_u32 s5, s5, s1
	s_ashr_i32 s3, s2, 31
	s_lshl_b64 s[0:1], s[2:3], 1
	s_delay_alu instid0(SALU_CYCLE_1) | instskip(SKIP_2) | instid1(VALU_DEP_1)
	s_add_u32 s0, s4, s0
	s_addc_u32 s1, s5, s1
	v_add_co_u32 v5, s2, s0, v0
	v_add_co_ci_u32_e64 v6, null, s1, 0, s2
	global_store_d16_hi_b16 v0, v8, s[0:1]
	s_mov_b32 s0, exec_lo
                                        ; implicit-def: $vgpr0
	v_cmpx_ne_u32_e32 0x7f800000, v1
	s_xor_b32 s0, exec_lo, s0
; %bb.232:
	v_bfe_u32 v0, v2, 16, 1
	s_delay_alu instid0(VALU_DEP_1)
	v_add3_u32 v0, v2, v0, 0x7fff
; %bb.233:
	s_and_not1_saveexec_b32 s0, s0
; %bb.234:
	v_and_b32_e32 v0, 0xffff, v2
	v_or_b32_e32 v1, 0x10000, v2
	s_delay_alu instid0(VALU_DEP_2) | instskip(NEXT) | instid1(VALU_DEP_2)
	v_cmp_eq_u32_e32 vcc_lo, 0, v0
	v_cndmask_b32_e32 v0, v1, v2, vcc_lo
; %bb.235:
	s_or_b32 exec_lo, exec_lo, s0
	v_and_b32_e32 v1, 0x7f800000, v3
	s_mov_b32 s0, exec_lo
	global_store_d16_hi_b16 v[5:6], v0, off offset:64
                                        ; implicit-def: $vgpr0
	v_cmpx_ne_u32_e32 0x7f800000, v1
	s_xor_b32 s0, exec_lo, s0
; %bb.236:
	v_bfe_u32 v0, v3, 16, 1
	s_delay_alu instid0(VALU_DEP_1)
	v_add3_u32 v0, v3, v0, 0x7fff
; %bb.237:
	s_and_not1_saveexec_b32 s0, s0
; %bb.238:
	v_and_b32_e32 v0, 0xffff, v3
	v_or_b32_e32 v1, 0x10000, v3
	s_delay_alu instid0(VALU_DEP_2) | instskip(NEXT) | instid1(VALU_DEP_2)
	v_cmp_eq_u32_e32 vcc_lo, 0, v0
	v_cndmask_b32_e32 v0, v1, v3, vcc_lo
; %bb.239:
	s_or_b32 exec_lo, exec_lo, s0
	v_cmp_gt_u32_e32 vcc_lo, 0x70, v7
	global_store_d16_hi_b16 v[5:6], v0, off offset:128
	s_and_b32 exec_lo, exec_lo, vcc_lo
	s_cbranch_execz .LBB140_245
; %bb.240:
	v_and_b32_e32 v0, 0x7f800000, v4
	s_delay_alu instid0(VALU_DEP_1) | instskip(SKIP_1) | instid1(SALU_CYCLE_1)
	v_cmp_ne_u32_e32 vcc_lo, 0x7f800000, v0
                                        ; implicit-def: $vgpr0
	s_and_saveexec_b32 s0, vcc_lo
	s_xor_b32 s0, exec_lo, s0
; %bb.241:
	v_bfe_u32 v0, v4, 16, 1
	s_delay_alu instid0(VALU_DEP_1)
	v_add3_u32 v0, v4, v0, 0x7fff
                                        ; implicit-def: $vgpr1_vgpr2_vgpr3_vgpr4
; %bb.242:
	s_and_not1_saveexec_b32 s0, s0
; %bb.243:
	v_and_b32_e32 v0, 0xffff, v4
	v_or_b32_e32 v1, 0x10000, v4
	s_delay_alu instid0(VALU_DEP_2) | instskip(NEXT) | instid1(VALU_DEP_2)
	v_cmp_eq_u32_e32 vcc_lo, 0, v0
	v_cndmask_b32_e32 v0, v1, v4, vcc_lo
; %bb.244:
	s_or_b32 exec_lo, exec_lo, s0
	global_store_d16_hi_b16 v[5:6], v0, off offset:192
.LBB140_245:
	s_nop 0
	s_sendmsg sendmsg(MSG_DEALLOC_VGPRS)
	s_endpgm
	.section	.rodata,"a",@progbits
	.p2align	6, 0x0
	.amdhsa_kernel _ZN4vllm25paged_attention_v2_kernelI14__hip_bfloat16S1_Li112ELi8ELi128ELNS_18Fp8KVCacheDataTypeE0ELb1ELi512EEEvPfS3_PT_PKS4_PKT0_SA_ifPKiSC_iPKfiiiSE_SE_iiiii
		.amdhsa_group_segment_fixed_size 256
		.amdhsa_private_segment_fixed_size 0
		.amdhsa_kernarg_size 400
		.amdhsa_user_sgpr_count 13
		.amdhsa_user_sgpr_dispatch_ptr 0
		.amdhsa_user_sgpr_queue_ptr 0
		.amdhsa_user_sgpr_kernarg_segment_ptr 1
		.amdhsa_user_sgpr_dispatch_id 0
		.amdhsa_user_sgpr_private_segment_size 0
		.amdhsa_wavefront_size32 1
		.amdhsa_uses_dynamic_stack 0
		.amdhsa_enable_private_segment 0
		.amdhsa_system_sgpr_workgroup_id_x 1
		.amdhsa_system_sgpr_workgroup_id_y 1
		.amdhsa_system_sgpr_workgroup_id_z 1
		.amdhsa_system_sgpr_workgroup_info 0
		.amdhsa_system_vgpr_workitem_id 0
		.amdhsa_next_free_vgpr 65
		.amdhsa_next_free_sgpr 46
		.amdhsa_reserve_vcc 1
		.amdhsa_float_round_mode_32 0
		.amdhsa_float_round_mode_16_64 0
		.amdhsa_float_denorm_mode_32 3
		.amdhsa_float_denorm_mode_16_64 3
		.amdhsa_dx10_clamp 1
		.amdhsa_ieee_mode 1
		.amdhsa_fp16_overflow 0
		.amdhsa_workgroup_processor_mode 1
		.amdhsa_memory_ordered 1
		.amdhsa_forward_progress 0
		.amdhsa_shared_vgpr_count 0
		.amdhsa_exception_fp_ieee_invalid_op 0
		.amdhsa_exception_fp_denorm_src 0
		.amdhsa_exception_fp_ieee_div_zero 0
		.amdhsa_exception_fp_ieee_overflow 0
		.amdhsa_exception_fp_ieee_underflow 0
		.amdhsa_exception_fp_ieee_inexact 0
		.amdhsa_exception_int_div_zero 0
	.end_amdhsa_kernel
	.section	.text._ZN4vllm25paged_attention_v2_kernelI14__hip_bfloat16S1_Li112ELi8ELi128ELNS_18Fp8KVCacheDataTypeE0ELb1ELi512EEEvPfS3_PT_PKS4_PKT0_SA_ifPKiSC_iPKfiiiSE_SE_iiiii,"axG",@progbits,_ZN4vllm25paged_attention_v2_kernelI14__hip_bfloat16S1_Li112ELi8ELi128ELNS_18Fp8KVCacheDataTypeE0ELb1ELi512EEEvPfS3_PT_PKS4_PKT0_SA_ifPKiSC_iPKfiiiSE_SE_iiiii,comdat
.Lfunc_end140:
	.size	_ZN4vllm25paged_attention_v2_kernelI14__hip_bfloat16S1_Li112ELi8ELi128ELNS_18Fp8KVCacheDataTypeE0ELb1ELi512EEEvPfS3_PT_PKS4_PKT0_SA_ifPKiSC_iPKfiiiSE_SE_iiiii, .Lfunc_end140-_ZN4vllm25paged_attention_v2_kernelI14__hip_bfloat16S1_Li112ELi8ELi128ELNS_18Fp8KVCacheDataTypeE0ELb1ELi512EEEvPfS3_PT_PKS4_PKT0_SA_ifPKiSC_iPKfiiiSE_SE_iiiii
                                        ; -- End function
	.section	.AMDGPU.csdata,"",@progbits
; Kernel info:
; codeLenInByte = 11236
; NumSgprs: 48
; NumVgprs: 65
; ScratchSize: 0
; MemoryBound: 0
; FloatMode: 240
; IeeeMode: 1
; LDSByteSize: 256 bytes/workgroup (compile time only)
; SGPRBlocks: 5
; VGPRBlocks: 8
; NumSGPRsForWavesPerEU: 48
; NumVGPRsForWavesPerEU: 65
; Occupancy: 16
; WaveLimiterHint : 1
; COMPUTE_PGM_RSRC2:SCRATCH_EN: 0
; COMPUTE_PGM_RSRC2:USER_SGPR: 13
; COMPUTE_PGM_RSRC2:TRAP_HANDLER: 0
; COMPUTE_PGM_RSRC2:TGID_X_EN: 1
; COMPUTE_PGM_RSRC2:TGID_Y_EN: 1
; COMPUTE_PGM_RSRC2:TGID_Z_EN: 1
; COMPUTE_PGM_RSRC2:TIDIG_COMP_CNT: 0
	.section	.text._ZN4vllm32paged_attention_v2_reduce_kernelI14__hip_bfloat16Li112ELi128ELi512EEEvPT_PKfS5_PKS2_PKii,"axG",@progbits,_ZN4vllm32paged_attention_v2_reduce_kernelI14__hip_bfloat16Li112ELi128ELi512EEEvPT_PKfS5_PKS2_PKii,comdat
	.protected	_ZN4vllm32paged_attention_v2_reduce_kernelI14__hip_bfloat16Li112ELi128ELi512EEEvPT_PKfS5_PKS2_PKii ; -- Begin function _ZN4vllm32paged_attention_v2_reduce_kernelI14__hip_bfloat16Li112ELi128ELi512EEEvPT_PKfS5_PKS2_PKii
	.globl	_ZN4vllm32paged_attention_v2_reduce_kernelI14__hip_bfloat16Li112ELi128ELi512EEEvPT_PKfS5_PKS2_PKii
	.p2align	8
	.type	_ZN4vllm32paged_attention_v2_reduce_kernelI14__hip_bfloat16Li112ELi128ELi512EEEvPT_PKfS5_PKS2_PKii,@function
_ZN4vllm32paged_attention_v2_reduce_kernelI14__hip_bfloat16Li112ELi128ELi512EEEvPT_PKfS5_PKS2_PKii: ; @_ZN4vllm32paged_attention_v2_reduce_kernelI14__hip_bfloat16Li112ELi128ELi512EEEvPT_PKfS5_PKS2_PKii
; %bb.0:
	s_load_b128 s[4:7], s[0:1], 0x18
	s_add_u32 s8, s0, 48
	s_mov_b32 s10, s15
	s_addc_u32 s9, s1, 0
	s_ashr_i32 s11, s15, 31
	s_delay_alu instid0(SALU_CYCLE_1)
	s_lshl_b64 s[2:3], s[10:11], 2
	s_waitcnt lgkmcnt(0)
	s_add_u32 s2, s6, s2
	s_addc_u32 s3, s7, s3
	s_load_b32 s20, s[2:3], 0x0
	s_clause 0x2
	s_load_b64 s[6:7], s[0:1], 0x0
	s_load_b32 s11, s[0:1], 0x28
	s_load_b32 s15, s[0:1], 0x30
	s_waitcnt lgkmcnt(0)
	s_add_i32 s2, s20, -1
	s_delay_alu instid0(SALU_CYCLE_1)
	s_cmpk_gt_u32 s2, 0x1ff
	s_mov_b32 s2, -1
	s_cbranch_scc0 .LBB141_30
; %bb.1:
	s_load_b64 s[2:3], s[0:1], 0x8
	s_add_i32 s12, s20, 0x1ff
	s_mul_i32 s18, s15, s10
	s_ashr_i32 s13, s12, 31
	v_dual_mov_b32 v4, 0xff7fffff :: v_dual_lshlrev_b32 v3, 2, v0
	s_lshr_b32 s13, s13, 23
	s_mul_i32 s16, s14, s11
	s_add_i32 s12, s12, s13
	s_ashr_i32 s17, s16, 31
	s_ashr_i32 s19, s12, 9
	s_mul_i32 s12, s18, s11
	v_cmp_gt_i32_e32 vcc_lo, s19, v0
	s_ashr_i32 s13, s12, 31
	s_and_saveexec_b32 s21, vcc_lo
	s_cbranch_execz .LBB141_5
; %bb.2:
	s_load_b32 s28, s[8:9], 0xc
	s_load_b64 s[22:23], s[0:1], 0x10
	s_lshl_b64 s[24:25], s[12:13], 2
	s_lshl_b64 s[26:27], s[16:17], 2
	v_dual_mov_b32 v4, 0xff7fffff :: v_dual_add_nc_u32 v5, 32, v3
	v_mov_b32_e32 v6, v0
	s_waitcnt lgkmcnt(0)
	s_and_b32 s1, s28, 0xffff
	s_add_u32 s0, s24, s26
	s_addc_u32 s24, s25, s27
	s_add_u32 s0, s22, s0
	s_addc_u32 s22, s23, s24
	v_add_co_u32 v1, s0, s0, v3
	s_delay_alu instid0(VALU_DEP_1)
	v_add_co_ci_u32_e64 v2, null, s22, 0, s0
	s_mov_b32 s22, 0
	s_lshl_b32 s23, s1, 2
	.p2align	6
.LBB141_3:                              ; =>This Inner Loop Header: Depth=1
	global_load_b32 v7, v[1:2], off
	v_add_nc_u32_e32 v6, s1, v6
	v_max_f32_e32 v4, v4, v4
	v_add_co_u32 v1, s0, v1, s23
	s_delay_alu instid0(VALU_DEP_1) | instskip(NEXT) | instid1(VALU_DEP_4)
	v_add_co_ci_u32_e64 v2, s0, 0, v2, s0
	v_cmp_le_i32_e64 s0, s19, v6
	s_delay_alu instid0(VALU_DEP_1)
	s_or_b32 s22, s0, s22
	s_waitcnt vmcnt(0)
	v_max_f32_e32 v8, v7, v7
	ds_store_b32 v5, v7
	v_dual_max_f32 v4, v4, v8 :: v_dual_add_nc_u32 v5, s23, v5
	s_and_not1_b32 exec_lo, exec_lo, s22
	s_cbranch_execnz .LBB141_3
; %bb.4:
	s_or_b32 exec_lo, exec_lo, s22
.LBB141_5:
	s_delay_alu instid0(SALU_CYCLE_1)
	s_or_b32 exec_lo, exec_lo, s21
	v_mbcnt_lo_u32_b32 v1, -1, 0
	s_waitcnt lgkmcnt(0)
	s_barrier
	buffer_gl0_inv
	v_xor_b32_e32 v2, 16, v1
	v_xor_b32_e32 v5, 8, v1
	s_delay_alu instid0(VALU_DEP_2) | instskip(NEXT) | instid1(VALU_DEP_1)
	v_cmp_gt_i32_e64 s0, 32, v2
	v_cndmask_b32_e64 v2, v1, v2, s0
	s_delay_alu instid0(VALU_DEP_3) | instskip(NEXT) | instid1(VALU_DEP_2)
	v_cmp_gt_i32_e64 s0, 32, v5
	v_lshlrev_b32_e32 v6, 2, v2
	s_delay_alu instid0(VALU_DEP_2) | instskip(SKIP_3) | instid1(VALU_DEP_1)
	v_cndmask_b32_e64 v5, v1, v5, s0
	ds_bpermute_b32 v2, v6, v4
	v_dual_max_f32 v4, v4, v4 :: v_dual_lshlrev_b32 v7, 2, v5
	v_xor_b32_e32 v5, 4, v1
	v_cmp_gt_i32_e64 s0, 32, v5
	s_delay_alu instid0(VALU_DEP_1) | instskip(NEXT) | instid1(VALU_DEP_1)
	v_cndmask_b32_e64 v5, v1, v5, s0
	v_lshlrev_b32_e32 v8, 2, v5
	v_xor_b32_e32 v5, 2, v1
	s_waitcnt lgkmcnt(0)
	v_max_f32_e32 v2, v2, v2
	s_delay_alu instid0(VALU_DEP_2) | instskip(NEXT) | instid1(VALU_DEP_2)
	v_cmp_gt_i32_e64 s0, 32, v5
	v_max_f32_e32 v2, v4, v2
	s_delay_alu instid0(VALU_DEP_2) | instskip(SKIP_3) | instid1(VALU_DEP_1)
	v_cndmask_b32_e64 v5, v1, v5, s0
	ds_bpermute_b32 v4, v7, v2
	s_waitcnt lgkmcnt(0)
	v_max_f32_e32 v4, v4, v4
	v_max_f32_e32 v2, v2, v4
	ds_bpermute_b32 v4, v8, v2
	s_waitcnt lgkmcnt(0)
	v_dual_max_f32 v9, v4, v4 :: v_dual_lshlrev_b32 v4, 2, v5
	s_delay_alu instid0(VALU_DEP_1) | instskip(SKIP_3) | instid1(VALU_DEP_1)
	v_max_f32_e32 v2, v2, v9
	v_xor_b32_e32 v9, 1, v1
	ds_bpermute_b32 v5, v4, v2
	v_cmp_gt_i32_e64 s0, 32, v9
	v_cndmask_b32_e64 v1, v1, v9, s0
	v_lshrrev_b32_e32 v9, 5, v0
	s_delay_alu instid0(VALU_DEP_1) | instskip(SKIP_2) | instid1(VALU_DEP_1)
	v_lshlrev_b32_e32 v9, 2, v9
	s_waitcnt lgkmcnt(0)
	v_max_f32_e32 v5, v5, v5
	v_max_f32_e32 v2, v2, v5
	v_lshlrev_b32_e32 v5, 2, v1
	v_and_b32_e32 v1, 31, v0
	ds_bpermute_b32 v10, v5, v2
	v_cmp_eq_u32_e64 s0, 0, v1
	s_delay_alu instid0(VALU_DEP_1)
	s_and_saveexec_b32 s1, s0
	s_cbranch_execz .LBB141_7
; %bb.6:
	s_waitcnt lgkmcnt(0)
	v_max_f32_e32 v10, v10, v10
	v_max_f32_e32 v2, v2, v2
	s_delay_alu instid0(VALU_DEP_1)
	v_max_f32_e32 v2, v2, v10
	ds_store_b32 v9, v2
.LBB141_7:
	s_or_b32 exec_lo, exec_lo, s1
	v_cmp_gt_u32_e64 s1, 4, v1
	v_mov_b32_e32 v2, 0xff7fffff
	s_waitcnt lgkmcnt(0)
	v_lshlrev_b32_e32 v10, 2, v1
	s_barrier
	buffer_gl0_inv
	s_and_saveexec_b32 s21, s1
	s_cbranch_execz .LBB141_9
; %bb.8:
	ds_load_b32 v2, v10
.LBB141_9:
	s_or_b32 exec_lo, exec_lo, s21
	s_waitcnt lgkmcnt(0)
	ds_bpermute_b32 v1, v4, v2
	v_max_f32_e32 v2, v2, v2
	s_lshl_b32 s21, s19, 2
	s_waitcnt lgkmcnt(0)
	v_dual_mov_b32 v12, 0 :: v_dual_max_f32 v1, v1, v1
	s_delay_alu instid0(VALU_DEP_1) | instskip(SKIP_3) | instid1(VALU_DEP_1)
	v_max_f32_e32 v1, v2, v1
	ds_bpermute_b32 v2, v5, v1
	s_waitcnt lgkmcnt(0)
	v_max_f32_e32 v2, v2, v2
	v_max_f32_e32 v1, v1, v2
	ds_bpermute_b32 v11, v12, v1
	s_and_saveexec_b32 s22, vcc_lo
	s_cbranch_execz .LBB141_13
; %bb.10:
	s_load_b32 s23, s[8:9], 0xc
	s_lshl_b64 s[24:25], s[12:13], 2
	s_lshl_b64 s[26:27], s[16:17], 2
	v_dual_mov_b32 v12, 0 :: v_dual_add_nc_u32 v13, 32, v3
	s_waitcnt lgkmcnt(0)
	s_and_b32 s13, s23, 0xffff
	s_add_u32 s17, s24, s26
	s_addc_u32 s23, s25, s27
	s_add_u32 s2, s2, s17
	s_addc_u32 s3, s3, s23
	v_add_co_u32 v1, s2, s2, v3
	s_delay_alu instid0(VALU_DEP_1)
	v_add_co_ci_u32_e64 v2, null, s3, 0, s2
	v_mov_b32_e32 v3, v0
	s_mov_b32 s3, 0
	s_lshl_b32 s17, s13, 2
	s_set_inst_prefetch_distance 0x1
	.p2align	6
.LBB141_11:                             ; =>This Inner Loop Header: Depth=1
	global_load_b32 v14, v[1:2], off
	ds_load_b32 v15, v13
	v_add_nc_u32_e32 v3, s13, v3
	s_waitcnt lgkmcnt(0)
	v_sub_f32_e32 v15, v15, v11
	s_delay_alu instid0(VALU_DEP_1) | instskip(NEXT) | instid1(VALU_DEP_1)
	v_mul_f32_e32 v16, 0x3fb8aa3b, v15
	v_fma_f32 v17, 0x3fb8aa3b, v15, -v16
	v_rndne_f32_e32 v18, v16
	s_delay_alu instid0(VALU_DEP_1) | instskip(SKIP_1) | instid1(VALU_DEP_4)
	v_sub_f32_e32 v16, v16, v18
	v_cmp_ngt_f32_e32 vcc_lo, 0xc2ce8ed0, v15
	v_fmac_f32_e32 v17, 0x32a5705f, v15
	v_cmp_nlt_f32_e64 s2, 0x42b17218, v15
	s_delay_alu instid0(VALU_DEP_2) | instskip(SKIP_1) | instid1(VALU_DEP_2)
	v_add_f32_e32 v16, v16, v17
	v_cvt_i32_f32_e32 v17, v18
	v_exp_f32_e32 v16, v16
	s_waitcnt_depctr 0xfff
	v_ldexp_f32 v16, v16, v17
	s_delay_alu instid0(VALU_DEP_1) | instskip(SKIP_2) | instid1(VALU_DEP_3)
	v_dual_cndmask_b32 v16, 0, v16 :: v_dual_add_nc_u32 v17, s21, v13
	v_add_co_u32 v1, vcc_lo, v1, s17
	v_add_co_ci_u32_e32 v2, vcc_lo, 0, v2, vcc_lo
	v_cndmask_b32_e64 v15, 0x7f800000, v16, s2
	v_cmp_le_i32_e32 vcc_lo, s19, v3
	v_add_nc_u32_e32 v13, s17, v13
	s_or_b32 s3, vcc_lo, s3
	s_waitcnt vmcnt(0)
	v_mul_f32_e32 v16, v14, v15
	v_fmac_f32_e32 v12, v14, v15
	ds_store_b32 v17, v16
	s_and_not1_b32 exec_lo, exec_lo, s3
	s_cbranch_execnz .LBB141_11
; %bb.12:
	s_set_inst_prefetch_distance 0x2
	s_or_b32 exec_lo, exec_lo, s3
.LBB141_13:
	s_delay_alu instid0(SALU_CYCLE_1)
	s_or_b32 exec_lo, exec_lo, s22
	ds_bpermute_b32 v1, v6, v12
	s_waitcnt lgkmcnt(0)
	s_barrier
	buffer_gl0_inv
	v_add_f32_e32 v1, v12, v1
	ds_bpermute_b32 v2, v7, v1
	s_waitcnt lgkmcnt(0)
	v_add_f32_e32 v1, v1, v2
	ds_bpermute_b32 v2, v8, v1
	s_waitcnt lgkmcnt(0)
	;; [unrolled: 3-line block ×4, first 2 shown]
	v_add_f32_e32 v1, v1, v2
	s_and_saveexec_b32 s2, s0
	s_cbranch_execz .LBB141_15
; %bb.14:
	ds_store_b32 v9, v1 offset:16
.LBB141_15:
	s_or_b32 exec_lo, exec_lo, s2
	s_waitcnt lgkmcnt(0)
	s_barrier
	buffer_gl0_inv
	s_and_saveexec_b32 s0, s1
	s_cbranch_execz .LBB141_17
; %bb.16:
	ds_load_b32 v1, v10 offset:16
.LBB141_17:
	s_or_b32 exec_lo, exec_lo, s0
	s_waitcnt lgkmcnt(0)
	ds_bpermute_b32 v2, v4, v1
	s_mov_b32 s0, exec_lo
	s_waitcnt lgkmcnt(0)
	v_add_f32_e32 v1, v1, v2
	ds_bpermute_b32 v2, v5, v1
	s_waitcnt lgkmcnt(0)
	v_dual_add_f32 v1, v1, v2 :: v_dual_mov_b32 v2, 0
	ds_bpermute_b32 v2, v2, v1
	v_cmpx_gt_u32_e32 0x70, v0
	s_cbranch_execz .LBB141_29
; %bb.18:
	s_cmp_gt_i32 s20, 0
	s_mov_b32 s1, 0
	s_cbranch_scc1 .LBB141_20
; %bb.19:
	v_mov_b32_e32 v1, 0
	s_branch .LBB141_21
.LBB141_20:
	s_mov_b32 s1, -1
.LBB141_21:
	s_delay_alu instid0(SALU_CYCLE_1) | instskip(SKIP_1) | instid1(VALU_DEP_2)
	v_cndmask_b32_e64 v3, 0, 1, s1
	v_mov_b32_e32 v4, s1
	v_cmp_ne_u32_e32 vcc_lo, 1, v3
	s_cbranch_vccnz .LBB141_24
; %bb.22:
	s_waitcnt lgkmcnt(0)
	v_add_f32_e32 v4, 0x358637bd, v2
	s_mulk_i32 s12, 0x70
	s_mulk_i32 s16, 0x70
	s_ashr_i32 s13, s12, 31
	s_ashr_i32 s17, s16, 31
	v_div_scale_f32 v2, null, v4, v4, 1.0
	s_lshl_b64 s[12:13], s[12:13], 1
	s_lshl_b64 s[16:17], s[16:17], 1
	s_max_i32 s1, s19, 1
	s_delay_alu instid0(VALU_DEP_1)
	v_rcp_f32_e32 v3, v2
	s_add_i32 s2, s21, 32
	s_add_u32 s3, s12, s16
	s_addc_u32 s12, s13, s17
	s_add_u32 s3, s4, s3
	s_addc_u32 s12, s5, s12
	s_waitcnt_depctr 0xfff
	v_fma_f32 v1, -v2, v3, 1.0
	s_delay_alu instid0(VALU_DEP_1) | instskip(SKIP_1) | instid1(VALU_DEP_1)
	v_fmac_f32_e32 v3, v1, v3
	v_div_scale_f32 v5, vcc_lo, 1.0, v4, 1.0
	v_dual_mov_b32 v1, 0 :: v_dual_mul_f32 v6, v5, v3
	s_delay_alu instid0(VALU_DEP_1) | instskip(NEXT) | instid1(VALU_DEP_1)
	v_fma_f32 v7, -v2, v6, v5
	v_dual_fmac_f32 v6, v7, v3 :: v_dual_lshlrev_b32 v7, 1, v0
	s_delay_alu instid0(VALU_DEP_1) | instskip(NEXT) | instid1(VALU_DEP_1)
	v_fma_f32 v2, -v2, v6, v5
	v_div_fmas_f32 v5, v2, v3, v6
	s_delay_alu instid0(VALU_DEP_3) | instskip(NEXT) | instid1(VALU_DEP_1)
	v_add_co_u32 v2, s3, s3, v7
	v_add_co_ci_u32_e64 v3, null, s12, 0, s3
	s_delay_alu instid0(VALU_DEP_3)
	v_div_fixup_f32 v5, v5, v4, 1.0
	v_mov_b32_e32 v4, v1
.LBB141_23:                             ; =>This Inner Loop Header: Depth=1
	global_load_u16 v6, v[2:3], off
	v_mov_b32_e32 v7, s2
	v_add_co_u32 v2, vcc_lo, 0xe0, v2
	v_add_co_ci_u32_e32 v3, vcc_lo, 0, v3, vcc_lo
	s_add_i32 s1, s1, -1
	s_add_i32 s2, s2, 4
	s_cmp_eq_u32 s1, 0
	s_waitcnt vmcnt(0)
	v_lshlrev_b32_e32 v6, 16, v6
	ds_load_b32 v7, v7
	s_waitcnt lgkmcnt(0)
	v_mul_f32_e32 v6, v7, v6
	s_delay_alu instid0(VALU_DEP_1)
	v_fmac_f32_e32 v4, v5, v6
	s_cbranch_scc0 .LBB141_23
.LBB141_24:
	s_waitcnt lgkmcnt(0)
	s_delay_alu instid0(VALU_DEP_1) | instskip(NEXT) | instid1(VALU_DEP_1)
	v_and_b32_e32 v2, 0x7f800000, v4
	v_cmp_ne_u32_e32 vcc_lo, 0x7f800000, v2
                                        ; implicit-def: $vgpr2
	s_and_saveexec_b32 s1, vcc_lo
	s_delay_alu instid0(SALU_CYCLE_1)
	s_xor_b32 s1, exec_lo, s1
; %bb.25:
	v_bfe_u32 v2, v4, 16, 1
	s_delay_alu instid0(VALU_DEP_1)
	v_add3_u32 v2, v4, v2, 0x7fff
                                        ; implicit-def: $vgpr4
; %bb.26:
	s_and_not1_saveexec_b32 s1, s1
; %bb.27:
	v_and_b32_e32 v2, 0xffff, v4
	v_or_b32_e32 v3, 0x10000, v4
	s_delay_alu instid0(VALU_DEP_2) | instskip(NEXT) | instid1(VALU_DEP_2)
	v_cmp_eq_u32_e32 vcc_lo, 0, v2
	v_cndmask_b32_e32 v2, v3, v4, vcc_lo
; %bb.28:
	s_or_b32 exec_lo, exec_lo, s1
	s_mul_i32 s2, s18, 0x70
	s_mul_i32 s12, s14, 0x70
	s_ashr_i32 s3, s2, 31
	v_lshlrev_b64 v[3:4], 1, v[0:1]
	s_lshl_b64 s[2:3], s[2:3], 1
	s_delay_alu instid0(SALU_CYCLE_1) | instskip(SKIP_2) | instid1(SALU_CYCLE_1)
	s_add_u32 s1, s6, s2
	s_addc_u32 s16, s7, s3
	s_ashr_i32 s13, s12, 31
	s_lshl_b64 s[2:3], s[12:13], 1
	s_delay_alu instid0(SALU_CYCLE_1)
	s_add_u32 s1, s1, s2
	s_addc_u32 s2, s16, s3
	v_add_co_u32 v3, vcc_lo, s1, v3
	v_add_co_ci_u32_e32 v4, vcc_lo, s2, v4, vcc_lo
	global_store_d16_hi_b16 v[3:4], v2, off
.LBB141_29:
	s_or_b32 exec_lo, exec_lo, s0
	s_mov_b32 s2, 0
.LBB141_30:
	s_delay_alu instid0(SALU_CYCLE_1)
	s_and_b32 vcc_lo, exec_lo, s2
	s_cbranch_vccz .LBB141_39
; %bb.31:
	s_mov_b32 s0, exec_lo
	v_cmpx_gt_u32_e32 0x70, v0
	s_cbranch_execz .LBB141_39
; %bb.32:
	s_mul_i32 s0, s15, s10
	s_load_b32 s10, s[8:9], 0xc
	s_mulk_i32 s0, 0x70
	s_mul_i32 s12, s14, 0x70
	s_ashr_i32 s1, s0, 31
	s_mul_i32 s8, s12, s11
	s_lshl_b64 s[2:3], s[0:1], 1
	s_delay_alu instid0(SALU_CYCLE_1) | instskip(SKIP_4) | instid1(SALU_CYCLE_1)
	s_add_u32 s1, s6, s2
	s_addc_u32 s7, s7, s3
	s_ashr_i32 s13, s12, 31
	s_mul_i32 s6, s0, s11
	s_lshl_b64 s[2:3], s[12:13], 1
	s_add_u32 s1, s1, s2
	s_addc_u32 s2, s7, s3
	s_ashr_i32 s7, s6, 31
	s_delay_alu instid0(SALU_CYCLE_1) | instskip(NEXT) | instid1(SALU_CYCLE_1)
	s_lshl_b64 s[6:7], s[6:7], 1
	s_add_u32 s0, s4, s6
	s_addc_u32 s6, s5, s7
	s_ashr_i32 s9, s8, 31
	s_mov_b32 s7, 0
	s_lshl_b64 s[4:5], s[8:9], 1
	s_delay_alu instid0(SALU_CYCLE_1) | instskip(SKIP_3) | instid1(SALU_CYCLE_1)
	s_add_u32 s3, s0, s4
	s_addc_u32 s4, s6, s5
	s_waitcnt lgkmcnt(0)
	s_and_b32 s5, s10, 0xffff
	v_cvt_f32_u32_e32 v1, s5
	s_cmp_eq_u32 s5, 1
	v_add_nc_u32_e32 v3, s5, v0
	s_cselect_b32 s6, -1, 0
	s_sub_i32 s0, 0, s5
	v_rcp_iflag_f32_e32 v1, v1
	s_delay_alu instid0(VALU_DEP_1) | instskip(SKIP_3) | instid1(VALU_DEP_1)
	v_cmp_gt_u32_e32 vcc_lo, 0x70, v3
	v_max_u32_e32 v4, 0x70, v3
	s_waitcnt_depctr 0xfff
	v_mul_f32_e32 v1, 0x4f7ffffe, v1
	v_cvt_u32_f32_e32 v1, v1
	s_delay_alu instid0(VALU_DEP_1) | instskip(SKIP_1) | instid1(VALU_DEP_1)
	v_mul_lo_u32 v2, s0, v1
	v_add_co_ci_u32_e64 v3, s0, s5, v0, vcc_lo
	v_sub_nc_u32_e32 v3, v4, v3
	s_delay_alu instid0(VALU_DEP_3) | instskip(NEXT) | instid1(VALU_DEP_1)
	v_mul_hi_u32 v2, v1, v2
	v_add_nc_u32_e32 v1, v1, v2
	s_delay_alu instid0(VALU_DEP_1) | instskip(NEXT) | instid1(VALU_DEP_1)
	v_mul_hi_u32 v1, v3, v1
	v_mul_lo_u32 v2, v1, s5
	s_delay_alu instid0(VALU_DEP_1) | instskip(SKIP_1) | instid1(VALU_DEP_2)
	v_sub_nc_u32_e32 v2, v3, v2
	v_add_nc_u32_e32 v3, 1, v1
	v_subrev_nc_u32_e32 v4, s5, v2
	v_cmp_le_u32_e64 s0, s5, v2
	s_delay_alu instid0(VALU_DEP_1) | instskip(NEXT) | instid1(VALU_DEP_3)
	v_cndmask_b32_e64 v1, v1, v3, s0
	v_cndmask_b32_e64 v2, v2, v4, s0
	s_delay_alu instid0(VALU_DEP_2) | instskip(NEXT) | instid1(VALU_DEP_2)
	v_add_nc_u32_e32 v3, 1, v1
	v_cmp_le_u32_e64 s0, s5, v2
	s_delay_alu instid0(VALU_DEP_1) | instskip(SKIP_1) | instid1(VALU_DEP_1)
	v_cndmask_b32_e64 v1, v1, v3, s0
	s_mov_b32 s0, -1
	v_add_co_ci_u32_e32 v3, vcc_lo, 1, v1, vcc_lo
	s_delay_alu instid0(VALU_DEP_1) | instskip(SKIP_1) | instid1(SALU_CYCLE_1)
	v_cmp_lt_u32_e32 vcc_lo, 15, v3
	s_and_b32 s8, vcc_lo, s6
	s_and_saveexec_b32 s6, s8
	s_cbranch_execz .LBB141_36
; %bb.33:
	v_dual_mov_b32 v1, v0 :: v_dual_and_b32 v4, -16, v3
	s_delay_alu instid0(VALU_DEP_1)
	v_dual_mov_b32 v2, 0 :: v_dual_mov_b32 v5, v4
	.p2align	6
.LBB141_34:                             ; =>This Inner Loop Header: Depth=1
	s_delay_alu instid0(VALU_DEP_1) | instskip(NEXT) | instid1(VALU_DEP_2)
	v_lshlrev_b64 v[14:15], 1, v[1:2]
	v_add_nc_u32_e32 v5, -16, v5
	v_add_nc_u32_e32 v1, 16, v1
	s_delay_alu instid0(VALU_DEP_3) | instskip(NEXT) | instid1(VALU_DEP_4)
	v_add_co_u32 v10, vcc_lo, s3, v14
	v_add_co_ci_u32_e32 v11, vcc_lo, s4, v15, vcc_lo
	s_delay_alu instid0(VALU_DEP_4)
	v_cmp_eq_u32_e32 vcc_lo, 0, v5
	v_add_co_u32 v14, s0, s1, v14
	s_clause 0x1
	global_load_b128 v[6:9], v[10:11], off
	global_load_b128 v[10:13], v[10:11], off offset:16
	v_add_co_ci_u32_e64 v15, s0, s2, v15, s0
	s_or_b32 s7, vcc_lo, s7
	s_waitcnt vmcnt(1)
	global_store_b128 v[14:15], v[6:9], off
	s_waitcnt vmcnt(0)
	global_store_b128 v[14:15], v[10:13], off offset:16
	s_and_not1_b32 exec_lo, exec_lo, s7
	s_cbranch_execnz .LBB141_34
; %bb.35:
	s_or_b32 exec_lo, exec_lo, s7
	v_cmp_ne_u32_e32 vcc_lo, v3, v4
	v_add_nc_u32_e32 v0, v0, v4
	s_or_not1_b32 s0, vcc_lo, exec_lo
.LBB141_36:
	s_or_b32 exec_lo, exec_lo, s6
	s_delay_alu instid0(SALU_CYCLE_1)
	s_and_b32 exec_lo, exec_lo, s0
	s_cbranch_execz .LBB141_39
; %bb.37:
	v_mov_b32_e32 v1, 0
	s_mov_b32 s6, 0
	s_lshl_b32 s7, s5, 1
	s_delay_alu instid0(VALU_DEP_1)
	v_lshlrev_b64 v[1:2], 1, v[0:1]
	.p2align	6
.LBB141_38:                             ; =>This Inner Loop Header: Depth=1
	s_delay_alu instid0(VALU_DEP_1) | instskip(NEXT) | instid1(VALU_DEP_2)
	v_add_co_u32 v3, vcc_lo, s3, v1
	v_add_co_ci_u32_e32 v4, vcc_lo, s4, v2, vcc_lo
	v_add_nc_u32_e32 v0, s5, v0
	global_load_u16 v5, v[3:4], off
	v_add_co_u32 v3, vcc_lo, s1, v1
	v_add_co_ci_u32_e32 v4, vcc_lo, s2, v2, vcc_lo
	v_cmp_lt_u32_e32 vcc_lo, 0x6f, v0
	v_add_co_u32 v1, s0, v1, s7
	s_delay_alu instid0(VALU_DEP_1)
	v_add_co_ci_u32_e64 v2, s0, 0, v2, s0
	s_or_b32 s6, vcc_lo, s6
	s_waitcnt vmcnt(0)
	global_store_b16 v[3:4], v5, off
	s_and_not1_b32 exec_lo, exec_lo, s6
	s_cbranch_execnz .LBB141_38
.LBB141_39:
	s_nop 0
	s_sendmsg sendmsg(MSG_DEALLOC_VGPRS)
	s_endpgm
	.section	.rodata,"a",@progbits
	.p2align	6, 0x0
	.amdhsa_kernel _ZN4vllm32paged_attention_v2_reduce_kernelI14__hip_bfloat16Li112ELi128ELi512EEEvPT_PKfS5_PKS2_PKii
		.amdhsa_group_segment_fixed_size 32
		.amdhsa_private_segment_fixed_size 0
		.amdhsa_kernarg_size 304
		.amdhsa_user_sgpr_count 14
		.amdhsa_user_sgpr_dispatch_ptr 0
		.amdhsa_user_sgpr_queue_ptr 0
		.amdhsa_user_sgpr_kernarg_segment_ptr 1
		.amdhsa_user_sgpr_dispatch_id 0
		.amdhsa_user_sgpr_private_segment_size 0
		.amdhsa_wavefront_size32 1
		.amdhsa_uses_dynamic_stack 0
		.amdhsa_enable_private_segment 0
		.amdhsa_system_sgpr_workgroup_id_x 1
		.amdhsa_system_sgpr_workgroup_id_y 1
		.amdhsa_system_sgpr_workgroup_id_z 0
		.amdhsa_system_sgpr_workgroup_info 0
		.amdhsa_system_vgpr_workitem_id 0
		.amdhsa_next_free_vgpr 19
		.amdhsa_next_free_sgpr 29
		.amdhsa_reserve_vcc 1
		.amdhsa_float_round_mode_32 0
		.amdhsa_float_round_mode_16_64 0
		.amdhsa_float_denorm_mode_32 3
		.amdhsa_float_denorm_mode_16_64 3
		.amdhsa_dx10_clamp 1
		.amdhsa_ieee_mode 1
		.amdhsa_fp16_overflow 0
		.amdhsa_workgroup_processor_mode 1
		.amdhsa_memory_ordered 1
		.amdhsa_forward_progress 0
		.amdhsa_shared_vgpr_count 0
		.amdhsa_exception_fp_ieee_invalid_op 0
		.amdhsa_exception_fp_denorm_src 0
		.amdhsa_exception_fp_ieee_div_zero 0
		.amdhsa_exception_fp_ieee_overflow 0
		.amdhsa_exception_fp_ieee_underflow 0
		.amdhsa_exception_fp_ieee_inexact 0
		.amdhsa_exception_int_div_zero 0
	.end_amdhsa_kernel
	.section	.text._ZN4vllm32paged_attention_v2_reduce_kernelI14__hip_bfloat16Li112ELi128ELi512EEEvPT_PKfS5_PKS2_PKii,"axG",@progbits,_ZN4vllm32paged_attention_v2_reduce_kernelI14__hip_bfloat16Li112ELi128ELi512EEEvPT_PKfS5_PKS2_PKii,comdat
.Lfunc_end141:
	.size	_ZN4vllm32paged_attention_v2_reduce_kernelI14__hip_bfloat16Li112ELi128ELi512EEEvPT_PKfS5_PKS2_PKii, .Lfunc_end141-_ZN4vllm32paged_attention_v2_reduce_kernelI14__hip_bfloat16Li112ELi128ELi512EEEvPT_PKfS5_PKS2_PKii
                                        ; -- End function
	.section	.AMDGPU.csdata,"",@progbits
; Kernel info:
; codeLenInByte = 2516
; NumSgprs: 31
; NumVgprs: 19
; ScratchSize: 0
; MemoryBound: 0
; FloatMode: 240
; IeeeMode: 1
; LDSByteSize: 32 bytes/workgroup (compile time only)
; SGPRBlocks: 3
; VGPRBlocks: 2
; NumSGPRsForWavesPerEU: 31
; NumVGPRsForWavesPerEU: 19
; Occupancy: 16
; WaveLimiterHint : 0
; COMPUTE_PGM_RSRC2:SCRATCH_EN: 0
; COMPUTE_PGM_RSRC2:USER_SGPR: 14
; COMPUTE_PGM_RSRC2:TRAP_HANDLER: 0
; COMPUTE_PGM_RSRC2:TGID_X_EN: 1
; COMPUTE_PGM_RSRC2:TGID_Y_EN: 1
; COMPUTE_PGM_RSRC2:TGID_Z_EN: 0
; COMPUTE_PGM_RSRC2:TIDIG_COMP_CNT: 0
	.section	.text._ZN4vllm25paged_attention_v2_kernelI14__hip_bfloat16S1_Li120ELi8ELi128ELNS_18Fp8KVCacheDataTypeE0ELb1ELi512EEEvPfS3_PT_PKS4_PKT0_SA_ifPKiSC_iPKfiiiSE_SE_iiiii,"axG",@progbits,_ZN4vllm25paged_attention_v2_kernelI14__hip_bfloat16S1_Li120ELi8ELi128ELNS_18Fp8KVCacheDataTypeE0ELb1ELi512EEEvPfS3_PT_PKS4_PKT0_SA_ifPKiSC_iPKfiiiSE_SE_iiiii,comdat
	.protected	_ZN4vllm25paged_attention_v2_kernelI14__hip_bfloat16S1_Li120ELi8ELi128ELNS_18Fp8KVCacheDataTypeE0ELb1ELi512EEEvPfS3_PT_PKS4_PKT0_SA_ifPKiSC_iPKfiiiSE_SE_iiiii ; -- Begin function _ZN4vllm25paged_attention_v2_kernelI14__hip_bfloat16S1_Li120ELi8ELi128ELNS_18Fp8KVCacheDataTypeE0ELb1ELi512EEEvPfS3_PT_PKS4_PKT0_SA_ifPKiSC_iPKfiiiSE_SE_iiiii
	.globl	_ZN4vllm25paged_attention_v2_kernelI14__hip_bfloat16S1_Li120ELi8ELi128ELNS_18Fp8KVCacheDataTypeE0ELb1ELi512EEEvPfS3_PT_PKS4_PKT0_SA_ifPKiSC_iPKfiiiSE_SE_iiiii
	.p2align	8
	.type	_ZN4vllm25paged_attention_v2_kernelI14__hip_bfloat16S1_Li120ELi8ELi128ELNS_18Fp8KVCacheDataTypeE0ELb1ELi512EEEvPfS3_PT_PKS4_PKT0_SA_ifPKiSC_iPKfiiiSE_SE_iiiii,@function
_ZN4vllm25paged_attention_v2_kernelI14__hip_bfloat16S1_Li120ELi8ELi128ELNS_18Fp8KVCacheDataTypeE0ELb1ELi512EEEvPfS3_PT_PKS4_PKT0_SA_ifPKiSC_iPKfiiiSE_SE_iiiii: ; @_ZN4vllm25paged_attention_v2_kernelI14__hip_bfloat16S1_Li120ELi8ELi128ELNS_18Fp8KVCacheDataTypeE0ELb1ELi512EEEvPfS3_PT_PKS4_PKT0_SA_ifPKiSC_iPKfiiiSE_SE_iiiii
; %bb.0:
	s_load_b64 s[2:3], s[0:1], 0x40
	s_mov_b32 s20, s15
	s_ashr_i32 s15, s14, 31
	s_delay_alu instid0(SALU_CYCLE_1)
	s_lshl_b64 s[4:5], s[14:15], 2
	s_waitcnt lgkmcnt(0)
	s_add_u32 s2, s2, s4
	s_addc_u32 s3, s3, s5
	s_lshl_b32 s21, s20, 9
	s_load_b32 s33, s[2:3], 0x0
	s_waitcnt lgkmcnt(0)
	s_cmp_ge_i32 s21, s33
	s_cbranch_scc1 .LBB142_245
; %bb.1:
	s_mov_b32 s26, s13
	s_clause 0x1
	s_load_b32 s15, s[0:1], 0x90
	s_load_b64 s[12:13], s[0:1], 0x30
	s_mov_b32 s42, 0
	s_waitcnt lgkmcnt(0)
	s_abs_i32 s5, s15
	s_abs_i32 s2, s12
	s_delay_alu instid0(SALU_CYCLE_1) | instskip(SKIP_1) | instid1(VALU_DEP_1)
	v_cvt_f32_u32_e32 v1, s2
	s_sub_i32 s4, 0, s2
	v_rcp_iflag_f32_e32 v1, v1
	s_waitcnt_depctr 0xfff
	v_mul_f32_e32 v1, 0x4f7ffffe, v1
	s_delay_alu instid0(VALU_DEP_1) | instskip(NEXT) | instid1(VALU_DEP_1)
	v_cvt_u32_f32_e32 v1, v1
	v_readfirstlane_b32 s3, v1
	s_delay_alu instid0(VALU_DEP_1) | instskip(NEXT) | instid1(SALU_CYCLE_1)
	s_mul_i32 s4, s4, s3
	s_mul_hi_u32 s4, s3, s4
	s_delay_alu instid0(SALU_CYCLE_1) | instskip(SKIP_4) | instid1(SALU_CYCLE_1)
	s_add_i32 s3, s3, s4
	s_xor_b32 s4, s15, s12
	s_mul_hi_u32 s3, s5, s3
	s_ashr_i32 s4, s4, 31
	s_mul_i32 s6, s3, s2
	s_sub_i32 s5, s5, s6
	s_add_i32 s6, s3, 1
	s_sub_i32 s7, s5, s2
	s_cmp_ge_u32 s5, s2
	s_cselect_b32 s3, s6, s3
	s_cselect_b32 s5, s7, s5
	s_add_i32 s6, s3, 1
	s_cmp_ge_u32 s5, s2
	s_cselect_b32 s2, s6, s3
	s_abs_i32 s17, s26
	s_xor_b32 s2, s2, s4
	s_delay_alu instid0(SALU_CYCLE_1) | instskip(SKIP_2) | instid1(SALU_CYCLE_1)
	s_sub_i32 s4, s2, s4
	s_load_b64 s[2:3], s[0:1], 0x50
	s_abs_i32 s16, s4
	v_cvt_f32_u32_e32 v1, s16
	s_sub_i32 s6, 0, s16
	s_delay_alu instid0(VALU_DEP_1) | instskip(SKIP_2) | instid1(VALU_DEP_1)
	v_rcp_iflag_f32_e32 v1, v1
	s_waitcnt_depctr 0xfff
	v_mul_f32_e32 v1, 0x4f7ffffe, v1
	v_cvt_u32_f32_e32 v1, v1
	s_delay_alu instid0(VALU_DEP_1) | instskip(NEXT) | instid1(VALU_DEP_1)
	v_readfirstlane_b32 s5, v1
	s_mul_i32 s6, s6, s5
	s_delay_alu instid0(SALU_CYCLE_1) | instskip(NEXT) | instid1(SALU_CYCLE_1)
	s_mul_hi_u32 s6, s5, s6
	s_add_i32 s5, s5, s6
	s_waitcnt lgkmcnt(0)
	s_cmp_eq_u64 s[2:3], 0
	s_mul_hi_u32 s18, s17, s5
	s_cbranch_scc1 .LBB142_3
; %bb.2:
	s_ashr_i32 s27, s26, 31
	s_delay_alu instid0(SALU_CYCLE_1) | instskip(NEXT) | instid1(SALU_CYCLE_1)
	s_lshl_b64 s[6:7], s[26:27], 2
	s_add_u32 s2, s2, s6
	s_addc_u32 s3, s3, s7
	s_load_b32 s42, s[2:3], 0x0
.LBB142_3:
	s_load_b128 s[8:11], s[0:1], 0x58
	v_and_b32_e32 v1, 3, v0
	v_lshlrev_b32_e32 v2, 2, v0
	s_ashr_i32 s2, s26, 31
	s_ashr_i32 s3, s4, 31
	s_mul_i32 s22, s26, 0x78
	s_mov_b32 s4, exec_lo
	v_cmpx_gt_u32_e32 60, v0
	s_cbranch_execz .LBB142_5
; %bb.4:
	s_load_b64 s[6:7], s[0:1], 0x18
	s_waitcnt lgkmcnt(0)
	s_mul_i32 s24, s14, s8
	v_and_b32_e32 v4, 0x3fc, v0
	s_ashr_i32 s25, s24, 31
	s_delay_alu instid0(SALU_CYCLE_1) | instskip(NEXT) | instid1(VALU_DEP_1)
	s_lshl_b64 s[24:25], s[24:25], 1
	v_mad_u32_u24 v4, v1, 60, v4
	s_add_u32 s5, s6, s24
	s_addc_u32 s8, s7, s25
	s_ashr_i32 s23, s22, 31
	s_delay_alu instid0(SALU_CYCLE_1) | instskip(NEXT) | instid1(SALU_CYCLE_1)
	s_lshl_b64 s[6:7], s[22:23], 1
	s_add_u32 s6, s5, s6
	s_addc_u32 s7, s8, s7
	global_load_b32 v3, v2, s[6:7]
	s_waitcnt vmcnt(0)
	ds_store_b32 v4, v3
.LBB142_5:
	s_or_b32 exec_lo, exec_lo, s4
	s_load_b128 s[4:7], s[0:1], 0x78
	s_waitcnt lgkmcnt(0)
	s_mul_i32 s8, s18, s16
	s_xor_b32 s2, s2, s3
	s_sub_i32 s3, s17, s8
	s_add_i32 s8, s18, 1
	s_sub_i32 s11, s3, s16
	s_cmp_ge_u32 s3, s16
	s_mov_b32 s17, -1
	s_cselect_b32 s8, s8, s18
	s_cselect_b32 s3, s11, s3
	s_add_i32 s11, s8, 1
	s_cmp_ge_u32 s3, s16
	s_cselect_b32 s3, s11, s8
	s_load_b32 s8, s[0:1], 0x88
	s_xor_b32 s3, s3, s2
	s_add_i32 s16, s33, -1
	s_sub_i32 s3, s3, s2
	s_abs_i32 s11, s16
	s_waitcnt lgkmcnt(0)
	s_barrier
	s_abs_i32 s23, s7
	buffer_gl0_inv
	v_cvt_f32_u32_e32 v3, s23
	s_sub_i32 s2, 0, s23
                                        ; implicit-def: $sgpr38
	s_delay_alu instid0(VALU_DEP_1) | instskip(SKIP_2) | instid1(VALU_DEP_1)
	v_rcp_iflag_f32_e32 v3, v3
	s_waitcnt_depctr 0xfff
	v_mul_f32_e32 v3, 0x4f7ffffe, v3
	v_cvt_u32_f32_e32 v3, v3
	s_delay_alu instid0(VALU_DEP_1) | instskip(NEXT) | instid1(VALU_DEP_1)
	v_readfirstlane_b32 s27, v3
	s_mul_i32 s2, s2, s27
	s_delay_alu instid0(SALU_CYCLE_1) | instskip(NEXT) | instid1(SALU_CYCLE_1)
	s_mul_hi_u32 s2, s27, s2
	s_add_i32 s27, s27, s2
	s_cmp_lt_i32 s8, 0
	s_mul_hi_u32 s2, s11, s27
	s_cbranch_scc0 .LBB142_7
; %bb.6:
	s_mul_i32 s12, s4, s12
	s_mov_b32 s17, 0
	s_add_i32 s12, s3, s12
	s_delay_alu instid0(SALU_CYCLE_1) | instskip(NEXT) | instid1(SALU_CYCLE_1)
	s_mul_i32 s12, s12, s8
	s_sub_i32 s38, 1, s12
.LBB142_7:
	s_load_b64 s[28:29], s[0:1], 0x38
	s_ashr_i32 s12, s16, 31
	s_and_not1_b32 vcc_lo, exec_lo, s17
	s_ashr_i32 s39, s7, 31
	s_cbranch_vccnz .LBB142_9
; %bb.8:
	s_mul_i32 s4, s15, s4
	s_delay_alu instid0(SALU_CYCLE_1) | instskip(NEXT) | instid1(SALU_CYCLE_1)
	s_add_i32 s4, s4, s26
	s_mul_i32 s4, s4, s8
	s_delay_alu instid0(SALU_CYCLE_1)
	s_add_i32 s38, s4, 1
.LBB142_9:
	s_clause 0x4
	s_load_b32 s4, s[0:1], 0x48
	s_load_b64 s[34:35], s[0:1], 0x28
	s_load_b32 s8, s[0:1], 0x98
	s_load_b128 s[16:19], s[0:1], 0x0
	s_load_b64 s[24:25], s[0:1], 0x10
	s_mul_i32 s7, s2, s23
	s_xor_b32 s12, s12, s39
	s_sub_i32 s7, s11, s7
	s_add_i32 s36, s2, 1
	v_lshrrev_b32_e32 v16, 5, v0
	v_mov_b32_e32 v4, 0xff7fffff
	v_mbcnt_lo_u32_b32 v3, -1, 0
	s_delay_alu instid0(VALU_DEP_3)
	v_lshl_add_u32 v17, v16, 3, s21
	s_waitcnt lgkmcnt(0)
	s_mul_i32 s30, s14, s4
	s_sub_i32 s4, s7, s23
	s_ashr_i32 s31, s30, 31
	s_cmp_ge_u32 s7, s23
	s_cselect_b32 s2, s36, s2
	s_cselect_b32 s4, s4, s7
	s_add_i32 s7, s2, 1
	s_cmp_ge_u32 s4, s23
	s_mul_i32 s36, s3, s10
	s_cselect_b32 s2, s7, s2
	s_add_i32 s4, s33, 7
	s_lshl_b32 s7, s20, 6
	s_ashr_i32 s11, s4, 31
	v_or_b32_e32 v13, s7, v16
	s_lshr_b32 s11, s11, 29
	s_delay_alu instid0(SALU_CYCLE_1)
	s_add_i32 s4, s4, s11
	s_add_i32 s11, s7, 64
	s_ashr_i32 s41, s4, 3
	s_xor_b32 s4, s2, s12
	s_min_i32 s40, s11, s41
	v_ashrrev_i32_e32 v14, 31, v13
	v_cmp_gt_i32_e64 s2, s40, v13
	s_sub_i32 s4, s4, s12
	s_delay_alu instid0(VALU_DEP_1)
	s_and_saveexec_b32 s10, s2
	s_cbranch_execz .LBB142_19
; %bb.10:
	s_load_b64 s[0:1], s[0:1], 0x20
	s_ashr_i32 s37, s36, 31
	s_sub_i32 s11, s4, s5
	s_lshl_b64 s[44:45], s[36:37], 1
	v_bfe_u32 v5, v0, 2, 3
	v_cmp_eq_u32_e32 vcc_lo, 0, v1
	v_dual_mov_b32 v8, 0xff7fffff :: v_dual_and_b32 v15, 12, v2
	v_mul_u32_u24_e32 v6, 60, v1
	s_delay_alu instid0(VALU_DEP_4)
	v_subrev_nc_u32_e32 v18, s33, v5
	v_lshlrev_b64 v[1:2], 2, v[13:14]
	v_lshl_add_u32 v7, v16, 3, s21
	v_xor_b32_e32 v9, 2, v3
	v_xor_b32_e32 v10, 1, v3
	s_mov_b32 s43, s9
	v_lshlrev_b32_e32 v21, 4, v5
	s_waitcnt lgkmcnt(0)
	s_add_u32 s3, s0, s44
	s_addc_u32 s1, s1, s45
	s_abs_i32 s12, s6
	s_lshl_b64 s[44:45], s[30:31], 2
	v_cvt_f32_u32_e32 v4, s12
	s_sub_i32 s37, 0, s12
	v_cmp_neq_f32_e64 s0, s42, 0
	s_delay_alu instid0(VALU_DEP_2) | instskip(SKIP_2) | instid1(VALU_DEP_1)
	v_rcp_iflag_f32_e32 v4, v4
	s_waitcnt_depctr 0xfff
	v_dual_mul_f32 v12, 0x4f7ffffe, v4 :: v_dual_lshlrev_b32 v11, 2, v5
	v_lshl_or_b32 v19, v16, 5, v11
	v_dual_mov_b32 v4, 0xff7fffff :: v_dual_add_nc_u32 v11, 1, v18
	s_delay_alu instid0(VALU_DEP_3) | instskip(NEXT) | instid1(VALU_DEP_3)
	v_cvt_u32_f32_e32 v20, v12
	v_add_nc_u32_e32 v12, 0x110, v19
	v_add_co_u32 v19, s3, s3, v21
	s_delay_alu instid0(VALU_DEP_1) | instskip(NEXT) | instid1(VALU_DEP_4)
	v_add_co_ci_u32_e64 v21, null, s1, 0, s3
	v_mul_lo_u32 v18, s37, v20
	s_add_u32 s1, s28, s44
	s_addc_u32 s3, s29, s45
	v_add_co_u32 v1, s1, s1, v1
	s_delay_alu instid0(VALU_DEP_1) | instskip(SKIP_1) | instid1(VALU_DEP_4)
	v_add_co_ci_u32_e64 v2, s1, s3, v2, s1
	v_add_co_u32 v15, s1, v19, v15
	v_mul_hi_u32 v22, v20, v18
	v_add_co_ci_u32_e64 v18, s1, 0, v21, s1
	s_mov_b32 s37, 0
	s_delay_alu instid0(VALU_DEP_2)
	v_dual_mov_b32 v20, v13 :: v_dual_add_nc_u32 v19, v20, v22
	s_branch .LBB142_13
.LBB142_11:                             ;   in Loop: Header=BB142_13 Depth=1
	s_or_b32 exec_lo, exec_lo, s44
.LBB142_12:                             ;   in Loop: Header=BB142_13 Depth=1
	s_delay_alu instid0(SALU_CYCLE_1) | instskip(SKIP_2) | instid1(VALU_DEP_1)
	s_or_b32 exec_lo, exec_lo, s3
	v_add_nc_u32_e32 v20, 4, v20
	v_add_co_u32 v1, s3, v1, 16
	v_add_co_ci_u32_e64 v2, s3, 0, v2, s3
	s_delay_alu instid0(VALU_DEP_3) | instskip(SKIP_2) | instid1(VALU_DEP_3)
	v_cmp_le_i32_e64 s1, s40, v20
	v_add_nc_u32_e32 v7, 32, v7
	v_add_nc_u32_e32 v12, 0x80, v12
	s_or_b32 s37, s1, s37
	s_delay_alu instid0(SALU_CYCLE_1)
	s_and_not1_b32 exec_lo, exec_lo, s37
	s_cbranch_execz .LBB142_18
.LBB142_13:                             ; =>This Inner Loop Header: Depth=1
	v_sub_nc_u32_e32 v21, 0, v7
	s_delay_alu instid0(VALU_DEP_1) | instskip(SKIP_1) | instid1(VALU_DEP_1)
	v_max_i32_e32 v21, v7, v21
	s_waitcnt lgkmcnt(0)
	v_mul_hi_u32 v22, v21, s27
	s_delay_alu instid0(VALU_DEP_1) | instskip(NEXT) | instid1(VALU_DEP_1)
	v_mul_lo_u32 v23, v22, s23
	v_sub_nc_u32_e32 v21, v21, v23
	v_add_nc_u32_e32 v23, 1, v22
	s_delay_alu instid0(VALU_DEP_2) | instskip(SKIP_1) | instid1(VALU_DEP_1)
	v_subrev_nc_u32_e32 v24, s23, v21
	v_cmp_le_u32_e64 s1, s23, v21
	v_cndmask_b32_e64 v22, v22, v23, s1
	s_delay_alu instid0(VALU_DEP_3) | instskip(SKIP_1) | instid1(VALU_DEP_3)
	v_cndmask_b32_e64 v21, v21, v24, s1
	v_ashrrev_i32_e32 v23, 31, v7
	v_add_nc_u32_e32 v24, 1, v22
	s_delay_alu instid0(VALU_DEP_3) | instskip(NEXT) | instid1(VALU_DEP_3)
	v_cmp_le_u32_e64 s1, s23, v21
	v_xor_b32_e32 v23, s39, v23
	s_delay_alu instid0(VALU_DEP_2) | instskip(NEXT) | instid1(VALU_DEP_1)
	v_cndmask_b32_e64 v21, v22, v24, s1
	v_xor_b32_e32 v21, v21, v23
	s_delay_alu instid0(VALU_DEP_1) | instskip(NEXT) | instid1(VALU_DEP_1)
	v_sub_nc_u32_e32 v21, v21, v23
	v_add_nc_u32_e32 v22, s38, v21
	v_cmp_ge_i32_e64 s3, s11, v21
	s_delay_alu instid0(VALU_DEP_2) | instskip(NEXT) | instid1(VALU_DEP_1)
	v_sub_nc_u32_e32 v23, 0, v22
	v_max_i32_e32 v23, v22, v23
	v_ashrrev_i32_e32 v22, 31, v22
	s_delay_alu instid0(VALU_DEP_2) | instskip(NEXT) | instid1(VALU_DEP_1)
	v_mul_hi_u32 v24, v23, v19
	v_mul_lo_u32 v24, v24, s12
	s_delay_alu instid0(VALU_DEP_1) | instskip(NEXT) | instid1(VALU_DEP_1)
	v_sub_nc_u32_e32 v23, v23, v24
	v_subrev_nc_u32_e32 v24, s12, v23
	v_cmp_le_u32_e64 s1, s12, v23
	s_delay_alu instid0(VALU_DEP_1) | instskip(NEXT) | instid1(VALU_DEP_1)
	v_cndmask_b32_e64 v23, v23, v24, s1
	v_subrev_nc_u32_e32 v24, s12, v23
	v_cmp_le_u32_e64 s1, s12, v23
	s_delay_alu instid0(VALU_DEP_1) | instskip(NEXT) | instid1(VALU_DEP_1)
	v_cndmask_b32_e64 v23, v23, v24, s1
	v_xor_b32_e32 v23, v23, v22
	s_delay_alu instid0(VALU_DEP_1) | instskip(NEXT) | instid1(VALU_DEP_1)
	v_sub_nc_u32_e32 v22, v23, v22
	v_cmp_ne_u32_e64 s1, 0, v22
	s_delay_alu instid0(VALU_DEP_1) | instskip(NEXT) | instid1(SALU_CYCLE_1)
	s_and_b32 s1, s1, s3
	s_and_b32 s44, vcc_lo, s1
	s_delay_alu instid0(SALU_CYCLE_1)
	s_and_saveexec_b32 s3, s44
	s_cbranch_execz .LBB142_15
; %bb.14:                               ;   in Loop: Header=BB142_13 Depth=1
	ds_store_b32 v12, v8
.LBB142_15:                             ;   in Loop: Header=BB142_13 Depth=1
	s_or_b32 exec_lo, exec_lo, s3
	s_xor_b32 s1, s1, -1
	s_delay_alu instid0(SALU_CYCLE_1)
	s_and_saveexec_b32 s3, s1
	s_cbranch_execz .LBB142_12
; %bb.16:                               ;   in Loop: Header=BB142_13 Depth=1
	global_load_b32 v23, v[1:2], off
	s_waitcnt vmcnt(0)
	v_mad_i64_i32 v[21:22], null, v23, s43, 0
	s_delay_alu instid0(VALU_DEP_1) | instskip(NEXT) | instid1(VALU_DEP_1)
	v_lshlrev_b64 v[21:22], 1, v[21:22]
	v_add_co_u32 v21, s1, v15, v21
	s_delay_alu instid0(VALU_DEP_1)
	v_add_co_ci_u32_e64 v22, s1, v18, v22, s1
	v_cmp_gt_i32_e64 s1, 32, v9
	s_clause 0xe
	global_load_b32 v35, v[21:22], off offset:128
	global_load_b32 v36, v[21:22], off
	global_load_b32 v37, v[21:22], off offset:256
	global_load_b32 v38, v[21:22], off offset:384
	;; [unrolled: 1-line block ×13, first 2 shown]
	ds_load_2addr_b32 v[21:22], v6 offset1:1
	ds_load_2addr_b32 v[23:24], v6 offset0:2 offset1:3
	ds_load_2addr_b32 v[25:26], v6 offset0:4 offset1:5
	;; [unrolled: 1-line block ×6, first 2 shown]
	ds_load_b32 v50, v6 offset:56
	s_waitcnt lgkmcnt(7)
	v_lshlrev_b32_e32 v52, 16, v22
	v_and_b32_e32 v22, 0xffff0000, v22
	s_waitcnt lgkmcnt(6)
	v_lshlrev_b32_e32 v54, 16, v24
	s_waitcnt lgkmcnt(5)
	v_lshlrev_b32_e32 v56, 16, v26
	;; [unrolled: 2-line block ×5, first 2 shown]
	v_lshlrev_b32_e32 v62, 16, v32
	s_waitcnt vmcnt(14)
	v_lshlrev_b32_e32 v66, 16, v35
	v_lshlrev_b32_e32 v51, 16, v21
	v_and_b32_e32 v35, 0xffff0000, v35
	s_waitcnt vmcnt(13)
	v_lshlrev_b32_e32 v67, 16, v36
	v_dual_mul_f32 v52, v52, v66 :: v_dual_lshlrev_b32 v55, 16, v25
	v_lshlrev_b32_e32 v59, 16, v29
	v_and_b32_e32 v21, 0xffff0000, v21
	v_and_b32_e32 v36, 0xffff0000, v36
	v_mul_f32_e32 v22, v22, v35
	v_lshlrev_b32_e32 v53, 16, v23
	s_waitcnt vmcnt(12)
	v_dual_fmac_f32 v52, v51, v67 :: v_dual_lshlrev_b32 v35, 16, v37
	s_delay_alu instid0(VALU_DEP_3)
	v_dual_fmac_f32 v22, v21, v36 :: v_dual_and_b32 v37, 0xffff0000, v37
	v_lshlrev_b32_e32 v63, 16, v33
	v_and_b32_e32 v21, 0xffff0000, v24
	s_waitcnt vmcnt(11)
	v_lshlrev_b32_e32 v24, 16, v38
	v_fmac_f32_e32 v52, v53, v35
	v_lshlrev_b32_e32 v61, 16, v31
	v_and_b32_e32 v36, 0xffff0000, v38
	s_delay_alu instid0(VALU_DEP_3) | instskip(SKIP_3) | instid1(VALU_DEP_1)
	v_fmac_f32_e32 v52, v54, v24
	s_waitcnt vmcnt(9)
	v_lshlrev_b32_e32 v24, 16, v40
	v_and_b32_e32 v23, 0xffff0000, v23
	v_dual_fmac_f32 v22, v23, v37 :: v_dual_lshlrev_b32 v57, 16, v27
	v_and_b32_e32 v23, 0xffff0000, v25
	v_lshlrev_b32_e32 v25, 16, v39
	s_delay_alu instid0(VALU_DEP_1) | instskip(SKIP_1) | instid1(VALU_DEP_1)
	v_fmac_f32_e32 v52, v55, v25
	s_waitcnt vmcnt(8)
	v_dual_fmac_f32 v52, v56, v24 :: v_dual_lshlrev_b32 v25, 16, v41
	s_waitcnt vmcnt(7)
	v_lshlrev_b32_e32 v24, 16, v42
	s_waitcnt vmcnt(6)
	s_delay_alu instid0(VALU_DEP_2) | instskip(SKIP_2) | instid1(VALU_DEP_2)
	v_dual_fmac_f32 v52, v57, v25 :: v_dual_lshlrev_b32 v25, 16, v43
	s_waitcnt lgkmcnt(0)
	v_dual_fmac_f32 v22, v21, v36 :: v_dual_lshlrev_b32 v65, 16, v50
	v_dual_fmac_f32 v52, v58, v24 :: v_dual_and_b32 v21, 0xffff0000, v26
	v_and_b32_e32 v35, 0xffff0000, v39
	s_waitcnt vmcnt(5)
	v_lshlrev_b32_e32 v24, 16, v44
	v_and_b32_e32 v26, 0xffff0000, v40
	v_fmac_f32_e32 v52, v59, v25
	s_waitcnt vmcnt(4)
	v_dual_fmac_f32 v22, v23, v35 :: v_dual_lshlrev_b32 v25, 16, v45
	s_delay_alu instid0(VALU_DEP_2) | instskip(NEXT) | instid1(VALU_DEP_2)
	v_dual_fmac_f32 v52, v60, v24 :: v_dual_and_b32 v23, 0xffff0000, v27
	v_dual_fmac_f32 v22, v21, v26 :: v_dual_and_b32 v21, 0xffff0000, v28
	s_waitcnt vmcnt(3)
	v_lshlrev_b32_e32 v24, 16, v46
	v_and_b32_e32 v26, 0xffff0000, v42
	v_fmac_f32_e32 v52, v61, v25
	v_and_b32_e32 v27, 0xffff0000, v41
	s_waitcnt vmcnt(2)
	s_delay_alu instid0(VALU_DEP_2) | instskip(NEXT) | instid1(VALU_DEP_2)
	v_dual_fmac_f32 v52, v62, v24 :: v_dual_lshlrev_b32 v25, 16, v47
	v_dual_fmac_f32 v22, v23, v27 :: v_dual_and_b32 v23, 0xffff0000, v29
	v_and_b32_e32 v27, 0xffff0000, v43
	s_waitcnt vmcnt(1)
	v_lshlrev_b32_e32 v24, 16, v48
	v_fmac_f32_e32 v52, v63, v25
	v_fmac_f32_e32 v22, v21, v26
	v_and_b32_e32 v21, 0xffff0000, v30
	v_and_b32_e32 v26, 0xffff0000, v44
	s_waitcnt vmcnt(0)
	v_dual_fmac_f32 v52, v64, v24 :: v_dual_lshlrev_b32 v25, 16, v49
	v_fmac_f32_e32 v22, v23, v27
	s_delay_alu instid0(VALU_DEP_2) | instskip(NEXT) | instid1(VALU_DEP_2)
	v_dual_fmac_f32 v52, v65, v25 :: v_dual_and_b32 v23, 0xffff0000, v31
	v_dual_fmac_f32 v22, v21, v26 :: v_dual_and_b32 v27, 0xffff0000, v45
	v_and_b32_e32 v21, 0xffff0000, v32
	v_and_b32_e32 v26, 0xffff0000, v46
	s_delay_alu instid0(VALU_DEP_3) | instskip(NEXT) | instid1(VALU_DEP_1)
	v_dual_fmac_f32 v22, v23, v27 :: v_dual_and_b32 v23, 0xffff0000, v33
	v_dual_fmac_f32 v22, v21, v26 :: v_dual_and_b32 v27, 0xffff0000, v47
	v_and_b32_e32 v21, 0xffff0000, v34
	v_and_b32_e32 v26, 0xffff0000, v48
	s_delay_alu instid0(VALU_DEP_3) | instskip(NEXT) | instid1(VALU_DEP_1)
	v_dual_fmac_f32 v22, v23, v27 :: v_dual_and_b32 v23, 0xffff0000, v50
	v_dual_fmac_f32 v22, v21, v26 :: v_dual_and_b32 v27, 0xffff0000, v49
	v_cndmask_b32_e64 v21, v3, v9, s1
	v_cmp_gt_i32_e64 s1, 32, v10
	s_delay_alu instid0(VALU_DEP_2) | instskip(NEXT) | instid1(VALU_DEP_2)
	v_dual_fmac_f32 v22, v23, v27 :: v_dual_lshlrev_b32 v21, 2, v21
	v_cndmask_b32_e64 v23, v3, v10, s1
	s_delay_alu instid0(VALU_DEP_1)
	v_dual_add_f32 v22, v52, v22 :: v_dual_lshlrev_b32 v23, 2, v23
	ds_bpermute_b32 v21, v21, v22
	s_waitcnt lgkmcnt(0)
	v_add_f32_e32 v21, v22, v21
	ds_bpermute_b32 v22, v23, v21
	s_and_saveexec_b32 s44, vcc_lo
	s_cbranch_execz .LBB142_11
; %bb.17:                               ;   in Loop: Header=BB142_13 Depth=1
	s_waitcnt lgkmcnt(0)
	v_add_f32_e32 v21, v21, v22
	v_add_nc_u32_e32 v23, v11, v7
	s_delay_alu instid0(VALU_DEP_1) | instskip(NEXT) | instid1(VALU_DEP_1)
	v_cvt_f32_i32_e32 v23, v23
	v_mul_f32_e32 v23, s42, v23
	s_delay_alu instid0(VALU_DEP_1) | instskip(NEXT) | instid1(VALU_DEP_1)
	v_cndmask_b32_e64 v22, 0, v23, s0
	v_dual_max_f32 v23, v4, v4 :: v_dual_fmac_f32 v22, s13, v21
	v_add_nc_u32_e32 v21, v5, v7
	s_delay_alu instid0(VALU_DEP_2) | instskip(NEXT) | instid1(VALU_DEP_2)
	v_max_f32_e32 v23, v23, v22
	v_cmp_gt_i32_e64 s1, s33, v21
	s_delay_alu instid0(VALU_DEP_1) | instskip(NEXT) | instid1(VALU_DEP_3)
	v_cndmask_b32_e64 v21, 0, v22, s1
	v_cndmask_b32_e64 v4, v4, v23, s1
	ds_store_b32 v12, v21
	s_branch .LBB142_11
.LBB142_18:
	s_or_b32 exec_lo, exec_lo, s37
.LBB142_19:
	s_delay_alu instid0(SALU_CYCLE_1) | instskip(SKIP_4) | instid1(VALU_DEP_4)
	s_or_b32 exec_lo, exec_lo, s10
	v_xor_b32_e32 v1, 16, v3
	v_xor_b32_e32 v5, 8, v3
	v_max_f32_e32 v6, v4, v4
	v_and_b32_e32 v18, 31, v0
	v_cmp_gt_i32_e32 vcc_lo, 32, v1
	v_cndmask_b32_e32 v1, v3, v1, vcc_lo
	v_cmp_gt_i32_e32 vcc_lo, 32, v5
	s_delay_alu instid0(VALU_DEP_2) | instskip(SKIP_4) | instid1(VALU_DEP_1)
	v_lshlrev_b32_e32 v2, 2, v1
	ds_bpermute_b32 v1, v2, v4
	v_cndmask_b32_e32 v4, v3, v5, vcc_lo
	s_waitcnt lgkmcnt(0)
	v_max_f32_e32 v1, v1, v1
	v_max_f32_e32 v1, v6, v1
	v_xor_b32_e32 v6, 4, v3
	s_delay_alu instid0(VALU_DEP_1) | instskip(SKIP_2) | instid1(VALU_DEP_2)
	v_cmp_gt_i32_e32 vcc_lo, 32, v6
	v_cndmask_b32_e32 v6, v3, v6, vcc_lo
	v_cmp_eq_u32_e32 vcc_lo, 0, v18
	v_lshlrev_b32_e32 v7, 2, v6
	v_lshlrev_b32_e32 v4, 2, v4
	ds_bpermute_b32 v5, v4, v1
	s_waitcnt lgkmcnt(0)
	v_max_f32_e32 v5, v5, v5
	s_delay_alu instid0(VALU_DEP_1)
	v_max_f32_e32 v1, v1, v5
	v_lshlrev_b32_e32 v5, 2, v16
	ds_bpermute_b32 v6, v7, v1
	s_and_saveexec_b32 s0, vcc_lo
	s_cbranch_execz .LBB142_21
; %bb.20:
	s_waitcnt lgkmcnt(0)
	v_dual_max_f32 v6, v6, v6 :: v_dual_max_f32 v1, v1, v1
	s_delay_alu instid0(VALU_DEP_1)
	v_max_f32_e32 v1, v1, v6
	ds_store_b32 v5, v1 offset:240
.LBB142_21:
	s_or_b32 exec_lo, exec_lo, s0
	v_cmp_gt_u32_e64 s0, 4, v18
	s_waitcnt lgkmcnt(0)
	v_dual_mov_b32 v1, 0xff7fffff :: v_dual_lshlrev_b32 v6, 2, v18
	s_barrier
	buffer_gl0_inv
	s_and_saveexec_b32 s1, s0
	s_cbranch_execz .LBB142_23
; %bb.22:
	ds_load_b32 v1, v6 offset:240
.LBB142_23:
	s_or_b32 exec_lo, exec_lo, s1
	v_xor_b32_e32 v8, 2, v3
	v_xor_b32_e32 v10, 1, v3
	s_delay_alu instid0(VALU_DEP_2) | instskip(NEXT) | instid1(VALU_DEP_1)
	v_cmp_gt_i32_e64 s1, 32, v8
	v_cndmask_b32_e64 v8, v3, v8, s1
	s_delay_alu instid0(VALU_DEP_3) | instskip(NEXT) | instid1(VALU_DEP_2)
	v_cmp_gt_i32_e64 s1, 32, v10
	v_lshlrev_b32_e32 v8, 2, v8
	s_delay_alu instid0(VALU_DEP_2) | instskip(SKIP_1) | instid1(SALU_CYCLE_1)
	v_cndmask_b32_e64 v3, v3, v10, s1
	s_sub_i32 s1, s40, s7
	s_lshl_b32 s1, s1, 3
	s_waitcnt lgkmcnt(0)
	ds_bpermute_b32 v9, v8, v1
	v_max_f32_e32 v1, v1, v1
	s_add_i32 s1, s1, s21
	s_delay_alu instid0(SALU_CYCLE_1) | instskip(NEXT) | instid1(SALU_CYCLE_1)
	s_min_i32 s1, s1, s33
	s_sub_i32 s7, s1, s21
	s_delay_alu instid0(SALU_CYCLE_1) | instskip(SKIP_2) | instid1(VALU_DEP_1)
	v_cmp_gt_i32_e64 s1, s7, v0
	s_waitcnt lgkmcnt(0)
	v_dual_max_f32 v10, v9, v9 :: v_dual_lshlrev_b32 v9, 2, v3
	v_dual_max_f32 v1, v1, v10 :: v_dual_mov_b32 v10, 0
	ds_bpermute_b32 v3, v9, v1
	s_waitcnt lgkmcnt(0)
	v_max_f32_e32 v3, v3, v3
	s_delay_alu instid0(VALU_DEP_1)
	v_max_f32_e32 v1, v1, v3
	v_lshl_add_u32 v3, v0, 2, 0x110
	ds_bpermute_b32 v1, v10, v1
	s_and_saveexec_b32 s10, s1
	s_cbranch_execz .LBB142_27
; %bb.24:
	v_lshl_add_u32 v11, v0, 2, 0x110
	v_mov_b32_e32 v10, 0
	v_mov_b32_e32 v12, v0
	s_mov_b32 s11, 0
	.p2align	6
.LBB142_25:                             ; =>This Inner Loop Header: Depth=1
	ds_load_b32 v15, v11
	v_add_nc_u32_e32 v12, 0x80, v12
	s_delay_alu instid0(VALU_DEP_1) | instskip(NEXT) | instid1(VALU_DEP_1)
	v_cmp_le_i32_e64 s3, s7, v12
	s_or_b32 s11, s3, s11
	s_waitcnt lgkmcnt(0)
	v_sub_f32_e32 v15, v15, v1
	s_delay_alu instid0(VALU_DEP_1) | instskip(NEXT) | instid1(VALU_DEP_1)
	v_mul_f32_e32 v15, 0x3fb8aa3b, v15
	v_exp_f32_e32 v15, v15
	ds_store_b32 v11, v15
	v_add_f32_e32 v10, v10, v15
	v_add_nc_u32_e32 v11, 0x200, v11
	s_and_not1_b32 exec_lo, exec_lo, s11
	s_cbranch_execnz .LBB142_25
; %bb.26:
	s_or_b32 exec_lo, exec_lo, s11
.LBB142_27:
	s_delay_alu instid0(SALU_CYCLE_1)
	s_or_b32 exec_lo, exec_lo, s10
	ds_bpermute_b32 v2, v2, v10
	s_waitcnt lgkmcnt(0)
	v_add_f32_e32 v2, v10, v2
	ds_bpermute_b32 v4, v4, v2
	s_waitcnt lgkmcnt(0)
	v_add_f32_e32 v2, v2, v4
	;; [unrolled: 3-line block ×5, first 2 shown]
	s_and_saveexec_b32 s3, vcc_lo
	s_cbranch_execz .LBB142_29
; %bb.28:
	ds_store_b32 v5, v2 offset:256
.LBB142_29:
	s_or_b32 exec_lo, exec_lo, s3
	s_waitcnt lgkmcnt(0)
	s_barrier
	buffer_gl0_inv
	s_and_saveexec_b32 s3, s0
	s_cbranch_execz .LBB142_31
; %bb.30:
	ds_load_b32 v2, v6 offset:256
.LBB142_31:
	s_or_b32 exec_lo, exec_lo, s3
	s_waitcnt lgkmcnt(0)
	ds_bpermute_b32 v4, v8, v2
	s_waitcnt lgkmcnt(0)
	v_add_f32_e32 v2, v2, v4
	ds_bpermute_b32 v4, v9, v2
	s_waitcnt lgkmcnt(0)
	v_add_f32_e32 v2, v2, v4
	v_mov_b32_e32 v4, 0
	ds_bpermute_b32 v2, v4, v2
	s_and_saveexec_b32 s0, s1
	s_cbranch_execz .LBB142_34
; %bb.32:
	s_waitcnt lgkmcnt(0)
	v_add_f32_e32 v4, 0x358637bd, v2
	s_mov_b32 s1, 0
	s_delay_alu instid0(VALU_DEP_1) | instskip(SKIP_1) | instid1(VALU_DEP_2)
	v_div_scale_f32 v5, null, v4, v4, 1.0
	v_div_scale_f32 v8, vcc_lo, 1.0, v4, 1.0
	v_rcp_f32_e32 v6, v5
	s_waitcnt_depctr 0xfff
	v_fma_f32 v7, -v5, v6, 1.0
	s_delay_alu instid0(VALU_DEP_1) | instskip(NEXT) | instid1(VALU_DEP_1)
	v_fmac_f32_e32 v6, v7, v6
	v_mul_f32_e32 v7, v8, v6
	s_delay_alu instid0(VALU_DEP_1) | instskip(NEXT) | instid1(VALU_DEP_1)
	v_fma_f32 v9, -v5, v7, v8
	v_fmac_f32_e32 v7, v9, v6
	s_delay_alu instid0(VALU_DEP_1) | instskip(NEXT) | instid1(VALU_DEP_1)
	v_fma_f32 v5, -v5, v7, v8
	v_div_fmas_f32 v5, v5, v6, v7
	s_delay_alu instid0(VALU_DEP_1)
	v_div_fixup_f32 v4, v5, v4, 1.0
	v_mov_b32_e32 v5, v0
.LBB142_33:                             ; =>This Inner Loop Header: Depth=1
	ds_load_b32 v6, v3
	s_waitcnt lgkmcnt(0)
	v_dual_mul_f32 v6, v4, v6 :: v_dual_add_nc_u32 v5, 0x80, v5
	s_delay_alu instid0(VALU_DEP_1) | instskip(SKIP_3) | instid1(SALU_CYCLE_1)
	v_cmp_le_i32_e32 vcc_lo, s7, v5
	ds_store_b32 v3, v6
	v_add_nc_u32_e32 v3, 0x200, v3
	s_or_b32 s1, vcc_lo, s1
	s_and_not1_b32 exec_lo, exec_lo, s1
	s_cbranch_execnz .LBB142_33
.LBB142_34:
	s_or_b32 exec_lo, exec_lo, s0
	s_mul_i32 s0, s8, s14
	s_mov_b32 s12, 0
	s_mul_i32 s10, s0, s15
	s_mov_b32 s0, exec_lo
	s_waitcnt lgkmcnt(0)
	s_barrier
	buffer_gl0_inv
	v_cmpx_eq_u32_e32 0, v0
	s_cbranch_execz .LBB142_36
; %bb.35:
	s_ashr_i32 s11, s10, 31
	s_mul_i32 s42, s8, s26
	s_lshl_b64 s[14:15], s[10:11], 2
	v_mov_b32_e32 v3, 0
	s_add_u32 s1, s18, s14
	s_addc_u32 s3, s19, s15
	s_ashr_i32 s43, s42, 31
	s_delay_alu instid0(SALU_CYCLE_1) | instskip(NEXT) | instid1(SALU_CYCLE_1)
	s_lshl_b64 s[18:19], s[42:43], 2
	s_add_u32 s1, s1, s18
	s_addc_u32 s3, s3, s19
	s_ashr_i32 s21, s20, 31
	s_delay_alu instid0(SALU_CYCLE_1) | instskip(NEXT) | instid1(SALU_CYCLE_1)
	s_lshl_b64 s[42:43], s[20:21], 2
	s_add_u32 s44, s1, s42
	s_addc_u32 s45, s3, s43
	s_add_u32 s1, s16, s14
	s_addc_u32 s3, s17, s15
	s_add_u32 s1, s1, s18
	s_addc_u32 s3, s3, s19
	s_add_u32 s14, s1, s42
	s_addc_u32 s15, s3, s43
	s_clause 0x1
	global_store_b32 v3, v1, s[44:45]
	global_store_b32 v3, v2, s[14:15]
.LBB142_36:
	s_or_b32 exec_lo, exec_lo, s0
	s_mov_b32 s13, s12
	s_mov_b32 s14, s12
	;; [unrolled: 1-line block ×3, first 2 shown]
	v_dual_mov_b32 v1, s12 :: v_dual_mov_b32 v2, s13
	v_dual_mov_b32 v3, s14 :: v_dual_mov_b32 v4, s15
	s_and_saveexec_b32 s3, s2
	s_cbranch_execz .LBB142_212
; %bb.37:
	s_ashr_i32 s37, s36, 31
	s_sub_i32 s2, s4, s5
	s_lshl_b64 s[0:1], s[36:37], 1
	s_mov_b32 s4, 0
	s_add_u32 s11, s34, s0
	s_addc_u32 s12, s35, s1
	s_abs_i32 s13, s6
	s_mov_b32 s5, s4
	v_cvt_f32_u32_e32 v1, s13
	s_mov_b32 s6, s4
	s_mov_b32 s7, s4
	s_sub_i32 s0, 0, s13
	v_or_b32_e32 v8, 0x60, v18
	v_rcp_iflag_f32_e32 v1, v1
	v_lshlrev_b64 v[5:6], 2, v[13:14]
	v_lshlrev_b32_e32 v7, 3, v18
	v_lshl_add_u32 v19, v16, 5, 0x110
	v_cmp_gt_u32_e32 vcc_lo, 0x78, v8
	s_waitcnt_depctr 0xfff
	v_dual_mul_f32 v1, 0x4f7ffffe, v1 :: v_dual_lshlrev_b32 v8, 3, v8
	s_delay_alu instid0(VALU_DEP_1) | instskip(NEXT) | instid1(VALU_DEP_2)
	v_lshlrev_b32_e32 v22, 1, v8
	v_cvt_u32_f32_e32 v9, v1
	v_dual_mov_b32 v1, s4 :: v_dual_mov_b32 v2, s5
	v_dual_mov_b32 v4, s7 :: v_dual_mov_b32 v3, s6
	v_lshlrev_b32_e32 v20, 1, v7
	s_delay_alu instid0(VALU_DEP_4)
	v_mul_lo_u32 v10, s0, v9
	s_lshl_b64 s[0:1], s[30:31], 2
	s_add_i32 s5, s41, -1
	s_add_u32 s0, s28, s0
	s_addc_u32 s1, s29, s1
	v_add_co_u32 v14, s0, s0, v5
	s_delay_alu instid0(VALU_DEP_1) | instskip(NEXT) | instid1(VALU_DEP_3)
	v_add_co_ci_u32_e64 v15, s0, s1, v6, s0
	v_mul_hi_u32 v10, v9, v10
	s_mov_b32 s6, s9
	s_delay_alu instid0(VALU_DEP_1)
	v_add_nc_u32_e32 v21, v9, v10
	s_branch .LBB142_41
.LBB142_38:                             ;   in Loop: Header=BB142_41 Depth=1
	s_or_b32 exec_lo, exec_lo, s1
	v_and_b32_e32 v10, 0xffff0000, v10
	v_and_b32_e32 v7, 0xffff0000, v7
	s_delay_alu instid0(VALU_DEP_1) | instskip(SKIP_3) | instid1(VALU_DEP_1)
	v_dual_add_f32 v7, v7, v10 :: v_dual_and_b32 v8, 0xffff0000, v8
	v_and_b32_e32 v5, 0xffff0000, v5
	v_and_b32_e32 v6, 0xffff0000, v6
	;; [unrolled: 1-line block ×3, first 2 shown]
	v_dual_add_f32 v5, v5, v11 :: v_dual_and_b32 v12, 0xffff0000, v12
	s_delay_alu instid0(VALU_DEP_1) | instskip(NEXT) | instid1(VALU_DEP_1)
	v_add_f32_e32 v6, v6, v12
	v_dual_add_f32 v5, v5, v6 :: v_dual_and_b32 v6, 0xffff0000, v9
	s_delay_alu instid0(VALU_DEP_1) | instskip(NEXT) | instid1(VALU_DEP_1)
	v_dual_add_f32 v5, v5, v7 :: v_dual_add_f32 v6, v8, v6
	v_add_f32_e32 v5, v5, v6
	s_delay_alu instid0(VALU_DEP_1)
	v_add_f32_e32 v4, v4, v5
.LBB142_39:                             ;   in Loop: Header=BB142_41 Depth=1
	s_or_b32 exec_lo, exec_lo, s9
.LBB142_40:                             ;   in Loop: Header=BB142_41 Depth=1
	s_delay_alu instid0(SALU_CYCLE_1) | instskip(SKIP_2) | instid1(VALU_DEP_1)
	s_or_b32 exec_lo, exec_lo, s7
	v_add_nc_u32_e32 v13, 4, v13
	v_add_co_u32 v14, s1, v14, 16
	v_add_co_ci_u32_e64 v15, s1, 0, v15, s1
	s_delay_alu instid0(VALU_DEP_3) | instskip(SKIP_2) | instid1(VALU_DEP_3)
	v_cmp_le_i32_e64 s0, s40, v13
	v_add_nc_u32_e32 v17, 32, v17
	v_add_nc_u32_e32 v19, 0x80, v19
	s_or_b32 s4, s0, s4
	s_delay_alu instid0(SALU_CYCLE_1)
	s_and_not1_b32 exec_lo, exec_lo, s4
	s_cbranch_execz .LBB142_211
.LBB142_41:                             ; =>This Inner Loop Header: Depth=1
	v_sub_nc_u32_e32 v5, 0, v17
	s_delay_alu instid0(VALU_DEP_1) | instskip(NEXT) | instid1(VALU_DEP_1)
	v_max_i32_e32 v5, v17, v5
	v_mul_hi_u32 v6, v5, s27
	s_delay_alu instid0(VALU_DEP_1) | instskip(NEXT) | instid1(VALU_DEP_1)
	v_mul_lo_u32 v7, v6, s23
	v_sub_nc_u32_e32 v5, v5, v7
	v_add_nc_u32_e32 v7, 1, v6
	s_delay_alu instid0(VALU_DEP_2) | instskip(SKIP_1) | instid1(VALU_DEP_1)
	v_subrev_nc_u32_e32 v8, s23, v5
	v_cmp_le_u32_e64 s0, s23, v5
	v_cndmask_b32_e64 v6, v6, v7, s0
	s_delay_alu instid0(VALU_DEP_3) | instskip(SKIP_1) | instid1(VALU_DEP_3)
	v_cndmask_b32_e64 v5, v5, v8, s0
	v_ashrrev_i32_e32 v7, 31, v17
	v_add_nc_u32_e32 v8, 1, v6
	s_delay_alu instid0(VALU_DEP_3) | instskip(NEXT) | instid1(VALU_DEP_3)
	v_cmp_le_u32_e64 s0, s23, v5
	v_xor_b32_e32 v7, s39, v7
	s_delay_alu instid0(VALU_DEP_2) | instskip(NEXT) | instid1(VALU_DEP_1)
	v_cndmask_b32_e64 v5, v6, v8, s0
	v_xor_b32_e32 v5, v5, v7
	s_delay_alu instid0(VALU_DEP_1) | instskip(NEXT) | instid1(VALU_DEP_1)
	v_sub_nc_u32_e32 v5, v5, v7
	v_add_nc_u32_e32 v6, s38, v5
	v_cmp_lt_i32_e64 s1, s2, v5
	s_delay_alu instid0(VALU_DEP_2) | instskip(NEXT) | instid1(VALU_DEP_1)
	v_sub_nc_u32_e32 v7, 0, v6
	v_max_i32_e32 v7, v6, v7
	v_ashrrev_i32_e32 v6, 31, v6
	s_delay_alu instid0(VALU_DEP_2) | instskip(NEXT) | instid1(VALU_DEP_1)
	v_mul_hi_u32 v8, v7, v21
	v_mul_lo_u32 v8, v8, s13
	s_delay_alu instid0(VALU_DEP_1) | instskip(NEXT) | instid1(VALU_DEP_1)
	v_sub_nc_u32_e32 v7, v7, v8
	v_subrev_nc_u32_e32 v8, s13, v7
	v_cmp_le_u32_e64 s0, s13, v7
	s_delay_alu instid0(VALU_DEP_1) | instskip(NEXT) | instid1(VALU_DEP_1)
	v_cndmask_b32_e64 v7, v7, v8, s0
	v_subrev_nc_u32_e32 v8, s13, v7
	v_cmp_le_u32_e64 s0, s13, v7
	s_delay_alu instid0(VALU_DEP_1) | instskip(NEXT) | instid1(VALU_DEP_1)
	v_cndmask_b32_e64 v7, v7, v8, s0
	v_xor_b32_e32 v7, v7, v6
	s_delay_alu instid0(VALU_DEP_1) | instskip(NEXT) | instid1(VALU_DEP_1)
	v_sub_nc_u32_e32 v6, v7, v6
	v_cmp_eq_u32_e64 s0, 0, v6
	s_delay_alu instid0(VALU_DEP_1) | instskip(NEXT) | instid1(SALU_CYCLE_1)
	s_or_b32 s0, s0, s1
	s_and_saveexec_b32 s7, s0
	s_cbranch_execz .LBB142_40
; %bb.42:                               ;   in Loop: Header=BB142_41 Depth=1
	global_load_b32 v31, v[14:15], off
	ds_load_2addr_b64 v[9:12], v19 offset1:1
	ds_load_2addr_b64 v[5:8], v19 offset0:2 offset1:3
	s_waitcnt lgkmcnt(1)
	v_and_b32_e32 v23, 0x7f800000, v9
	s_delay_alu instid0(VALU_DEP_1) | instskip(NEXT) | instid1(VALU_DEP_1)
	v_cmp_ne_u32_e64 s0, 0x7f800000, v23
                                        ; implicit-def: $vgpr23
	s_and_saveexec_b32 s1, s0
	s_delay_alu instid0(SALU_CYCLE_1)
	s_xor_b32 s0, exec_lo, s1
; %bb.43:                               ;   in Loop: Header=BB142_41 Depth=1
	v_bfe_u32 v23, v9, 16, 1
	s_delay_alu instid0(VALU_DEP_1)
	v_add3_u32 v23, v9, v23, 0x7fff
; %bb.44:                               ;   in Loop: Header=BB142_41 Depth=1
	s_and_not1_saveexec_b32 s1, s0
; %bb.45:                               ;   in Loop: Header=BB142_41 Depth=1
	v_and_b32_e32 v23, 0xffff, v9
	v_or_b32_e32 v24, 0x10000, v9
	s_delay_alu instid0(VALU_DEP_2) | instskip(NEXT) | instid1(VALU_DEP_1)
	v_cmp_eq_u32_e64 s0, 0, v23
	v_cndmask_b32_e64 v23, v24, v9, s0
; %bb.46:                               ;   in Loop: Header=BB142_41 Depth=1
	s_or_b32 exec_lo, exec_lo, s1
	v_and_b32_e32 v9, 0x7f800000, v10
                                        ; implicit-def: $vgpr24
	s_delay_alu instid0(VALU_DEP_1) | instskip(NEXT) | instid1(VALU_DEP_1)
	v_cmp_ne_u32_e64 s0, 0x7f800000, v9
	s_and_saveexec_b32 s1, s0
	s_delay_alu instid0(SALU_CYCLE_1)
	s_xor_b32 s0, exec_lo, s1
; %bb.47:                               ;   in Loop: Header=BB142_41 Depth=1
	v_bfe_u32 v9, v10, 16, 1
	s_delay_alu instid0(VALU_DEP_1)
	v_add3_u32 v24, v10, v9, 0x7fff
; %bb.48:                               ;   in Loop: Header=BB142_41 Depth=1
	s_and_not1_saveexec_b32 s1, s0
; %bb.49:                               ;   in Loop: Header=BB142_41 Depth=1
	v_and_b32_e32 v9, 0xffff, v10
	v_or_b32_e32 v24, 0x10000, v10
	s_delay_alu instid0(VALU_DEP_2) | instskip(NEXT) | instid1(VALU_DEP_1)
	v_cmp_eq_u32_e64 s0, 0, v9
	v_cndmask_b32_e64 v24, v24, v10, s0
; %bb.50:                               ;   in Loop: Header=BB142_41 Depth=1
	s_or_b32 exec_lo, exec_lo, s1
	v_and_b32_e32 v9, 0x7f800000, v11
                                        ; implicit-def: $vgpr25
	s_delay_alu instid0(VALU_DEP_1) | instskip(NEXT) | instid1(VALU_DEP_1)
	v_cmp_ne_u32_e64 s0, 0x7f800000, v9
	s_and_saveexec_b32 s1, s0
	s_delay_alu instid0(SALU_CYCLE_1)
	s_xor_b32 s0, exec_lo, s1
; %bb.51:                               ;   in Loop: Header=BB142_41 Depth=1
	v_bfe_u32 v9, v11, 16, 1
	s_delay_alu instid0(VALU_DEP_1)
	v_add3_u32 v25, v11, v9, 0x7fff
; %bb.52:                               ;   in Loop: Header=BB142_41 Depth=1
	s_and_not1_saveexec_b32 s1, s0
; %bb.53:                               ;   in Loop: Header=BB142_41 Depth=1
	v_and_b32_e32 v9, 0xffff, v11
	v_or_b32_e32 v10, 0x10000, v11
	s_delay_alu instid0(VALU_DEP_2) | instskip(NEXT) | instid1(VALU_DEP_1)
	v_cmp_eq_u32_e64 s0, 0, v9
	v_cndmask_b32_e64 v25, v10, v11, s0
; %bb.54:                               ;   in Loop: Header=BB142_41 Depth=1
	s_or_b32 exec_lo, exec_lo, s1
	v_and_b32_e32 v9, 0x7f800000, v12
                                        ; implicit-def: $vgpr26
	s_delay_alu instid0(VALU_DEP_1) | instskip(NEXT) | instid1(VALU_DEP_1)
	v_cmp_ne_u32_e64 s0, 0x7f800000, v9
	s_and_saveexec_b32 s1, s0
	s_delay_alu instid0(SALU_CYCLE_1)
	s_xor_b32 s0, exec_lo, s1
; %bb.55:                               ;   in Loop: Header=BB142_41 Depth=1
	v_bfe_u32 v9, v12, 16, 1
	s_delay_alu instid0(VALU_DEP_1)
	v_add3_u32 v26, v12, v9, 0x7fff
                                        ; implicit-def: $vgpr9_vgpr10_vgpr11_vgpr12
; %bb.56:                               ;   in Loop: Header=BB142_41 Depth=1
	s_and_not1_saveexec_b32 s1, s0
; %bb.57:                               ;   in Loop: Header=BB142_41 Depth=1
	v_and_b32_e32 v9, 0xffff, v12
	v_or_b32_e32 v10, 0x10000, v12
	s_delay_alu instid0(VALU_DEP_2) | instskip(NEXT) | instid1(VALU_DEP_1)
	v_cmp_eq_u32_e64 s0, 0, v9
	v_cndmask_b32_e64 v26, v10, v12, s0
; %bb.58:                               ;   in Loop: Header=BB142_41 Depth=1
	s_or_b32 exec_lo, exec_lo, s1
	s_waitcnt lgkmcnt(0)
	v_and_b32_e32 v9, 0x7f800000, v5
                                        ; implicit-def: $vgpr27
	s_delay_alu instid0(VALU_DEP_1) | instskip(NEXT) | instid1(VALU_DEP_1)
	v_cmp_ne_u32_e64 s0, 0x7f800000, v9
	s_and_saveexec_b32 s1, s0
	s_delay_alu instid0(SALU_CYCLE_1)
	s_xor_b32 s0, exec_lo, s1
; %bb.59:                               ;   in Loop: Header=BB142_41 Depth=1
	v_bfe_u32 v9, v5, 16, 1
	s_delay_alu instid0(VALU_DEP_1)
	v_add3_u32 v27, v5, v9, 0x7fff
; %bb.60:                               ;   in Loop: Header=BB142_41 Depth=1
	s_and_not1_saveexec_b32 s1, s0
; %bb.61:                               ;   in Loop: Header=BB142_41 Depth=1
	v_and_b32_e32 v9, 0xffff, v5
	v_or_b32_e32 v10, 0x10000, v5
	s_delay_alu instid0(VALU_DEP_2) | instskip(NEXT) | instid1(VALU_DEP_1)
	v_cmp_eq_u32_e64 s0, 0, v9
	v_cndmask_b32_e64 v27, v10, v5, s0
; %bb.62:                               ;   in Loop: Header=BB142_41 Depth=1
	s_or_b32 exec_lo, exec_lo, s1
	v_and_b32_e32 v5, 0x7f800000, v6
                                        ; implicit-def: $vgpr28
	s_delay_alu instid0(VALU_DEP_1) | instskip(NEXT) | instid1(VALU_DEP_1)
	v_cmp_ne_u32_e64 s0, 0x7f800000, v5
	s_and_saveexec_b32 s1, s0
	s_delay_alu instid0(SALU_CYCLE_1)
	s_xor_b32 s0, exec_lo, s1
; %bb.63:                               ;   in Loop: Header=BB142_41 Depth=1
	v_bfe_u32 v5, v6, 16, 1
	s_delay_alu instid0(VALU_DEP_1)
	v_add3_u32 v28, v6, v5, 0x7fff
; %bb.64:                               ;   in Loop: Header=BB142_41 Depth=1
	s_and_not1_saveexec_b32 s1, s0
; %bb.65:                               ;   in Loop: Header=BB142_41 Depth=1
	v_and_b32_e32 v5, 0xffff, v6
	v_or_b32_e32 v9, 0x10000, v6
	s_delay_alu instid0(VALU_DEP_2) | instskip(NEXT) | instid1(VALU_DEP_1)
	v_cmp_eq_u32_e64 s0, 0, v5
	v_cndmask_b32_e64 v28, v9, v6, s0
; %bb.66:                               ;   in Loop: Header=BB142_41 Depth=1
	s_or_b32 exec_lo, exec_lo, s1
	v_and_b32_e32 v5, 0x7f800000, v7
                                        ; implicit-def: $vgpr29
	s_delay_alu instid0(VALU_DEP_1) | instskip(NEXT) | instid1(VALU_DEP_1)
	v_cmp_ne_u32_e64 s0, 0x7f800000, v5
	s_and_saveexec_b32 s1, s0
	s_delay_alu instid0(SALU_CYCLE_1)
	s_xor_b32 s0, exec_lo, s1
; %bb.67:                               ;   in Loop: Header=BB142_41 Depth=1
	v_bfe_u32 v5, v7, 16, 1
	s_delay_alu instid0(VALU_DEP_1)
	v_add3_u32 v29, v7, v5, 0x7fff
; %bb.68:                               ;   in Loop: Header=BB142_41 Depth=1
	s_and_not1_saveexec_b32 s1, s0
; %bb.69:                               ;   in Loop: Header=BB142_41 Depth=1
	v_and_b32_e32 v5, 0xffff, v7
	v_or_b32_e32 v6, 0x10000, v7
	s_delay_alu instid0(VALU_DEP_2) | instskip(NEXT) | instid1(VALU_DEP_1)
	v_cmp_eq_u32_e64 s0, 0, v5
	v_cndmask_b32_e64 v29, v6, v7, s0
; %bb.70:                               ;   in Loop: Header=BB142_41 Depth=1
	s_or_b32 exec_lo, exec_lo, s1
	v_and_b32_e32 v5, 0x7f800000, v8
                                        ; implicit-def: $vgpr30
	s_delay_alu instid0(VALU_DEP_1) | instskip(NEXT) | instid1(VALU_DEP_1)
	v_cmp_ne_u32_e64 s0, 0x7f800000, v5
	s_and_saveexec_b32 s1, s0
	s_delay_alu instid0(SALU_CYCLE_1)
	s_xor_b32 s0, exec_lo, s1
; %bb.71:                               ;   in Loop: Header=BB142_41 Depth=1
	v_bfe_u32 v5, v8, 16, 1
	s_delay_alu instid0(VALU_DEP_1)
	v_add3_u32 v30, v8, v5, 0x7fff
                                        ; implicit-def: $vgpr5_vgpr6_vgpr7_vgpr8
; %bb.72:                               ;   in Loop: Header=BB142_41 Depth=1
	s_and_not1_saveexec_b32 s1, s0
; %bb.73:                               ;   in Loop: Header=BB142_41 Depth=1
	v_and_b32_e32 v5, 0xffff, v8
	v_or_b32_e32 v6, 0x10000, v8
	s_delay_alu instid0(VALU_DEP_2) | instskip(NEXT) | instid1(VALU_DEP_1)
	v_cmp_eq_u32_e64 s0, 0, v5
	v_cndmask_b32_e64 v30, v6, v8, s0
; %bb.74:                               ;   in Loop: Header=BB142_41 Depth=1
	s_or_b32 exec_lo, exec_lo, s1
	s_waitcnt vmcnt(0)
	v_mad_i64_i32 v[5:6], null, v31, s6, 0
	s_delay_alu instid0(VALU_DEP_1) | instskip(NEXT) | instid1(VALU_DEP_1)
	v_lshlrev_b64 v[5:6], 1, v[5:6]
	v_add_co_u32 v11, s0, s11, v5
	s_delay_alu instid0(VALU_DEP_1) | instskip(NEXT) | instid1(VALU_DEP_2)
	v_add_co_ci_u32_e64 v12, s0, s12, v6, s0
	v_add_co_u32 v9, s0, v11, v20
	s_delay_alu instid0(VALU_DEP_1)
	v_add_co_ci_u32_e64 v10, s0, 0, v12, s0
	v_cmp_eq_u32_e64 s0, s5, v13
	global_load_b128 v[5:8], v[9:10], off
	s_waitcnt vmcnt(0)
	v_lshrrev_b32_e32 v32, 16, v5
	v_lshrrev_b32_e32 v34, 16, v6
	;; [unrolled: 1-line block ×4, first 2 shown]
	s_and_saveexec_b32 s9, s0
	s_cbranch_execz .LBB142_76
; %bb.75:                               ;   in Loop: Header=BB142_41 Depth=1
	v_add_nc_u32_e32 v31, 1, v17
	v_cmp_gt_i32_e64 s1, s33, v17
	v_add_nc_u32_e32 v33, 2, v17
	v_add_nc_u32_e32 v35, 3, v17
	s_delay_alu instid0(VALU_DEP_3) | instskip(SKIP_2) | instid1(VALU_DEP_2)
	v_cndmask_b32_e64 v5, 0, v5, s1
	v_cmp_gt_i32_e64 s1, s33, v31
	v_add_nc_u32_e32 v31, 4, v17
	v_cndmask_b32_e64 v32, 0, v32, s1
	v_cmp_gt_i32_e64 s1, s33, v33
	v_add_nc_u32_e32 v33, 5, v17
	s_delay_alu instid0(VALU_DEP_2) | instskip(SKIP_2) | instid1(VALU_DEP_2)
	v_cndmask_b32_e64 v6, 0, v6, s1
	v_cmp_gt_i32_e64 s1, s33, v35
	v_add_nc_u32_e32 v35, 6, v17
	v_cndmask_b32_e64 v34, 0, v34, s1
	v_cmp_gt_i32_e64 s1, s33, v31
	v_add_nc_u32_e32 v31, 7, v17
	s_delay_alu instid0(VALU_DEP_2) | instskip(SKIP_1) | instid1(VALU_DEP_1)
	v_cndmask_b32_e64 v7, 0, v7, s1
	v_cmp_gt_i32_e64 s1, s33, v33
	v_cndmask_b32_e64 v36, 0, v36, s1
	v_cmp_gt_i32_e64 s1, s33, v35
	s_delay_alu instid0(VALU_DEP_1) | instskip(SKIP_1) | instid1(VALU_DEP_1)
	v_cndmask_b32_e64 v8, 0, v8, s1
	v_cmp_gt_i32_e64 s1, s33, v31
	v_cndmask_b32_e64 v38, 0, v38, s1
.LBB142_76:                             ;   in Loop: Header=BB142_41 Depth=1
	s_or_b32 exec_lo, exec_lo, s9
	v_and_b32_e32 v23, 0xffff0000, v23
	v_lshlrev_b32_e32 v5, 16, v5
	s_delay_alu instid0(VALU_DEP_1) | instskip(NEXT) | instid1(VALU_DEP_1)
	v_mul_f32_e32 v5, v23, v5
	v_and_b32_e32 v31, 0x7f800000, v5
	s_delay_alu instid0(VALU_DEP_1) | instskip(NEXT) | instid1(VALU_DEP_1)
	v_cmp_ne_u32_e64 s1, 0x7f800000, v31
                                        ; implicit-def: $vgpr31
	s_and_saveexec_b32 s9, s1
	s_delay_alu instid0(SALU_CYCLE_1)
	s_xor_b32 s1, exec_lo, s9
; %bb.77:                               ;   in Loop: Header=BB142_41 Depth=1
	v_bfe_u32 v31, v5, 16, 1
	s_delay_alu instid0(VALU_DEP_1)
	v_add3_u32 v31, v5, v31, 0x7fff
                                        ; implicit-def: $vgpr5
; %bb.78:                               ;   in Loop: Header=BB142_41 Depth=1
	s_and_not1_saveexec_b32 s9, s1
; %bb.79:                               ;   in Loop: Header=BB142_41 Depth=1
	v_and_b32_e32 v31, 0xffff, v5
	v_or_b32_e32 v33, 0x10000, v5
	s_delay_alu instid0(VALU_DEP_2) | instskip(NEXT) | instid1(VALU_DEP_1)
	v_cmp_eq_u32_e64 s1, 0, v31
	v_cndmask_b32_e64 v31, v33, v5, s1
; %bb.80:                               ;   in Loop: Header=BB142_41 Depth=1
	s_or_b32 exec_lo, exec_lo, s9
	v_and_b32_e32 v24, 0xffff0000, v24
	v_lshlrev_b32_e32 v5, 16, v32
	s_delay_alu instid0(VALU_DEP_1) | instskip(NEXT) | instid1(VALU_DEP_1)
	v_mul_f32_e32 v5, v24, v5
	v_and_b32_e32 v32, 0x7f800000, v5
	s_delay_alu instid0(VALU_DEP_1) | instskip(NEXT) | instid1(VALU_DEP_1)
	v_cmp_ne_u32_e64 s1, 0x7f800000, v32
                                        ; implicit-def: $vgpr32
	s_and_saveexec_b32 s9, s1
	s_delay_alu instid0(SALU_CYCLE_1)
	s_xor_b32 s1, exec_lo, s9
; %bb.81:                               ;   in Loop: Header=BB142_41 Depth=1
	v_bfe_u32 v32, v5, 16, 1
	s_delay_alu instid0(VALU_DEP_1)
	v_add3_u32 v32, v5, v32, 0x7fff
                                        ; implicit-def: $vgpr5
; %bb.82:                               ;   in Loop: Header=BB142_41 Depth=1
	s_and_not1_saveexec_b32 s9, s1
; %bb.83:                               ;   in Loop: Header=BB142_41 Depth=1
	v_and_b32_e32 v32, 0xffff, v5
	v_or_b32_e32 v33, 0x10000, v5
	s_delay_alu instid0(VALU_DEP_2) | instskip(NEXT) | instid1(VALU_DEP_1)
	v_cmp_eq_u32_e64 s1, 0, v32
	v_cndmask_b32_e64 v32, v33, v5, s1
; %bb.84:                               ;   in Loop: Header=BB142_41 Depth=1
	s_or_b32 exec_lo, exec_lo, s9
	v_and_b32_e32 v25, 0xffff0000, v25
	v_lshlrev_b32_e32 v5, 16, v6
                                        ; implicit-def: $vgpr33
	s_delay_alu instid0(VALU_DEP_1) | instskip(NEXT) | instid1(VALU_DEP_1)
	v_mul_f32_e32 v5, v25, v5
	v_and_b32_e32 v6, 0x7f800000, v5
	s_delay_alu instid0(VALU_DEP_1) | instskip(NEXT) | instid1(VALU_DEP_1)
	v_cmp_ne_u32_e64 s1, 0x7f800000, v6
	s_and_saveexec_b32 s9, s1
	s_delay_alu instid0(SALU_CYCLE_1)
	s_xor_b32 s1, exec_lo, s9
; %bb.85:                               ;   in Loop: Header=BB142_41 Depth=1
	v_bfe_u32 v6, v5, 16, 1
	s_delay_alu instid0(VALU_DEP_1)
	v_add3_u32 v33, v5, v6, 0x7fff
                                        ; implicit-def: $vgpr5
; %bb.86:                               ;   in Loop: Header=BB142_41 Depth=1
	s_and_not1_saveexec_b32 s9, s1
; %bb.87:                               ;   in Loop: Header=BB142_41 Depth=1
	v_and_b32_e32 v6, 0xffff, v5
	v_or_b32_e32 v33, 0x10000, v5
	s_delay_alu instid0(VALU_DEP_2) | instskip(NEXT) | instid1(VALU_DEP_1)
	v_cmp_eq_u32_e64 s1, 0, v6
	v_cndmask_b32_e64 v33, v33, v5, s1
; %bb.88:                               ;   in Loop: Header=BB142_41 Depth=1
	s_or_b32 exec_lo, exec_lo, s9
	v_and_b32_e32 v26, 0xffff0000, v26
	v_lshlrev_b32_e32 v5, 16, v34
                                        ; implicit-def: $vgpr34
	s_delay_alu instid0(VALU_DEP_1) | instskip(NEXT) | instid1(VALU_DEP_1)
	v_mul_f32_e32 v5, v26, v5
	v_and_b32_e32 v6, 0x7f800000, v5
	s_delay_alu instid0(VALU_DEP_1) | instskip(NEXT) | instid1(VALU_DEP_1)
	v_cmp_ne_u32_e64 s1, 0x7f800000, v6
	s_and_saveexec_b32 s9, s1
	s_delay_alu instid0(SALU_CYCLE_1)
	s_xor_b32 s1, exec_lo, s9
; %bb.89:                               ;   in Loop: Header=BB142_41 Depth=1
	v_bfe_u32 v6, v5, 16, 1
	s_delay_alu instid0(VALU_DEP_1)
	v_add3_u32 v34, v5, v6, 0x7fff
                                        ; implicit-def: $vgpr5
; %bb.90:                               ;   in Loop: Header=BB142_41 Depth=1
	s_and_not1_saveexec_b32 s9, s1
; %bb.91:                               ;   in Loop: Header=BB142_41 Depth=1
	v_and_b32_e32 v6, 0xffff, v5
	v_or_b32_e32 v34, 0x10000, v5
	s_delay_alu instid0(VALU_DEP_2) | instskip(NEXT) | instid1(VALU_DEP_1)
	v_cmp_eq_u32_e64 s1, 0, v6
	v_cndmask_b32_e64 v34, v34, v5, s1
; %bb.92:                               ;   in Loop: Header=BB142_41 Depth=1
	s_or_b32 exec_lo, exec_lo, s9
	v_and_b32_e32 v27, 0xffff0000, v27
	v_lshlrev_b32_e32 v5, 16, v7
                                        ; implicit-def: $vgpr35
	s_delay_alu instid0(VALU_DEP_1) | instskip(NEXT) | instid1(VALU_DEP_1)
	v_mul_f32_e32 v5, v27, v5
	v_and_b32_e32 v6, 0x7f800000, v5
	s_delay_alu instid0(VALU_DEP_1) | instskip(NEXT) | instid1(VALU_DEP_1)
	v_cmp_ne_u32_e64 s1, 0x7f800000, v6
	s_and_saveexec_b32 s9, s1
	s_delay_alu instid0(SALU_CYCLE_1)
	s_xor_b32 s1, exec_lo, s9
; %bb.93:                               ;   in Loop: Header=BB142_41 Depth=1
	v_bfe_u32 v6, v5, 16, 1
	s_delay_alu instid0(VALU_DEP_1)
	v_add3_u32 v35, v5, v6, 0x7fff
                                        ; implicit-def: $vgpr5
; %bb.94:                               ;   in Loop: Header=BB142_41 Depth=1
	s_and_not1_saveexec_b32 s9, s1
; %bb.95:                               ;   in Loop: Header=BB142_41 Depth=1
	v_and_b32_e32 v6, 0xffff, v5
	v_or_b32_e32 v7, 0x10000, v5
	s_delay_alu instid0(VALU_DEP_2) | instskip(NEXT) | instid1(VALU_DEP_1)
	v_cmp_eq_u32_e64 s1, 0, v6
	v_cndmask_b32_e64 v35, v7, v5, s1
; %bb.96:                               ;   in Loop: Header=BB142_41 Depth=1
	s_or_b32 exec_lo, exec_lo, s9
	v_and_b32_e32 v28, 0xffff0000, v28
	v_lshlrev_b32_e32 v5, 16, v36
                                        ; implicit-def: $vgpr36
	s_delay_alu instid0(VALU_DEP_1) | instskip(NEXT) | instid1(VALU_DEP_1)
	v_mul_f32_e32 v5, v28, v5
	v_and_b32_e32 v6, 0x7f800000, v5
	s_delay_alu instid0(VALU_DEP_1) | instskip(NEXT) | instid1(VALU_DEP_1)
	v_cmp_ne_u32_e64 s1, 0x7f800000, v6
	s_and_saveexec_b32 s9, s1
	s_delay_alu instid0(SALU_CYCLE_1)
	s_xor_b32 s1, exec_lo, s9
; %bb.97:                               ;   in Loop: Header=BB142_41 Depth=1
	v_bfe_u32 v6, v5, 16, 1
	s_delay_alu instid0(VALU_DEP_1)
	v_add3_u32 v36, v5, v6, 0x7fff
                                        ; implicit-def: $vgpr5
; %bb.98:                               ;   in Loop: Header=BB142_41 Depth=1
	s_and_not1_saveexec_b32 s9, s1
; %bb.99:                               ;   in Loop: Header=BB142_41 Depth=1
	v_and_b32_e32 v6, 0xffff, v5
	v_or_b32_e32 v7, 0x10000, v5
	s_delay_alu instid0(VALU_DEP_2) | instskip(NEXT) | instid1(VALU_DEP_1)
	v_cmp_eq_u32_e64 s1, 0, v6
	v_cndmask_b32_e64 v36, v7, v5, s1
; %bb.100:                              ;   in Loop: Header=BB142_41 Depth=1
	s_or_b32 exec_lo, exec_lo, s9
	v_and_b32_e32 v29, 0xffff0000, v29
	v_lshlrev_b32_e32 v5, 16, v8
                                        ; implicit-def: $vgpr37
	s_delay_alu instid0(VALU_DEP_1) | instskip(NEXT) | instid1(VALU_DEP_1)
	v_mul_f32_e32 v5, v29, v5
	v_and_b32_e32 v6, 0x7f800000, v5
	s_delay_alu instid0(VALU_DEP_1) | instskip(NEXT) | instid1(VALU_DEP_1)
	v_cmp_ne_u32_e64 s1, 0x7f800000, v6
	s_and_saveexec_b32 s9, s1
	s_delay_alu instid0(SALU_CYCLE_1)
	s_xor_b32 s1, exec_lo, s9
; %bb.101:                              ;   in Loop: Header=BB142_41 Depth=1
	v_bfe_u32 v6, v5, 16, 1
	s_delay_alu instid0(VALU_DEP_1)
	v_add3_u32 v37, v5, v6, 0x7fff
                                        ; implicit-def: $vgpr5
; %bb.102:                              ;   in Loop: Header=BB142_41 Depth=1
	s_and_not1_saveexec_b32 s9, s1
; %bb.103:                              ;   in Loop: Header=BB142_41 Depth=1
	v_and_b32_e32 v6, 0xffff, v5
	v_or_b32_e32 v7, 0x10000, v5
	s_delay_alu instid0(VALU_DEP_2) | instskip(NEXT) | instid1(VALU_DEP_1)
	v_cmp_eq_u32_e64 s1, 0, v6
	v_cndmask_b32_e64 v37, v7, v5, s1
; %bb.104:                              ;   in Loop: Header=BB142_41 Depth=1
	s_or_b32 exec_lo, exec_lo, s9
	v_and_b32_e32 v30, 0xffff0000, v30
	v_lshlrev_b32_e32 v5, 16, v38
                                        ; implicit-def: $vgpr38
	s_delay_alu instid0(VALU_DEP_1) | instskip(NEXT) | instid1(VALU_DEP_1)
	v_mul_f32_e32 v5, v30, v5
	v_and_b32_e32 v6, 0x7f800000, v5
	s_delay_alu instid0(VALU_DEP_1) | instskip(NEXT) | instid1(VALU_DEP_1)
	v_cmp_ne_u32_e64 s1, 0x7f800000, v6
	s_and_saveexec_b32 s9, s1
	s_delay_alu instid0(SALU_CYCLE_1)
	s_xor_b32 s1, exec_lo, s9
; %bb.105:                              ;   in Loop: Header=BB142_41 Depth=1
	v_bfe_u32 v6, v5, 16, 1
	s_delay_alu instid0(VALU_DEP_1)
	v_add3_u32 v38, v5, v6, 0x7fff
                                        ; implicit-def: $vgpr5
; %bb.106:                              ;   in Loop: Header=BB142_41 Depth=1
	s_and_not1_saveexec_b32 s9, s1
; %bb.107:                              ;   in Loop: Header=BB142_41 Depth=1
	v_and_b32_e32 v6, 0xffff, v5
	v_or_b32_e32 v7, 0x10000, v5
	s_delay_alu instid0(VALU_DEP_2) | instskip(NEXT) | instid1(VALU_DEP_1)
	v_cmp_eq_u32_e64 s1, 0, v6
	v_cndmask_b32_e64 v38, v7, v5, s1
; %bb.108:                              ;   in Loop: Header=BB142_41 Depth=1
	s_or_b32 exec_lo, exec_lo, s9
	global_load_b128 v[5:8], v[9:10], off offset:512
	s_waitcnt vmcnt(0)
	v_lshrrev_b32_e32 v40, 16, v5
	v_lshrrev_b32_e32 v42, 16, v6
	;; [unrolled: 1-line block ×4, first 2 shown]
	s_and_saveexec_b32 s9, s0
	s_cbranch_execz .LBB142_110
; %bb.109:                              ;   in Loop: Header=BB142_41 Depth=1
	v_add_nc_u32_e32 v39, 1, v17
	v_cmp_gt_i32_e64 s1, s33, v17
	v_add_nc_u32_e32 v41, 2, v17
	v_add_nc_u32_e32 v43, 3, v17
	s_delay_alu instid0(VALU_DEP_3) | instskip(SKIP_2) | instid1(VALU_DEP_2)
	v_cndmask_b32_e64 v5, 0, v5, s1
	v_cmp_gt_i32_e64 s1, s33, v39
	v_add_nc_u32_e32 v39, 4, v17
	v_cndmask_b32_e64 v40, 0, v40, s1
	v_cmp_gt_i32_e64 s1, s33, v41
	v_add_nc_u32_e32 v41, 5, v17
	s_delay_alu instid0(VALU_DEP_2) | instskip(SKIP_2) | instid1(VALU_DEP_2)
	v_cndmask_b32_e64 v6, 0, v6, s1
	v_cmp_gt_i32_e64 s1, s33, v43
	v_add_nc_u32_e32 v43, 6, v17
	v_cndmask_b32_e64 v42, 0, v42, s1
	v_cmp_gt_i32_e64 s1, s33, v39
	v_add_nc_u32_e32 v39, 7, v17
	s_delay_alu instid0(VALU_DEP_2) | instskip(SKIP_1) | instid1(VALU_DEP_1)
	v_cndmask_b32_e64 v7, 0, v7, s1
	v_cmp_gt_i32_e64 s1, s33, v41
	v_cndmask_b32_e64 v44, 0, v44, s1
	v_cmp_gt_i32_e64 s1, s33, v43
	s_delay_alu instid0(VALU_DEP_1) | instskip(SKIP_1) | instid1(VALU_DEP_1)
	v_cndmask_b32_e64 v8, 0, v8, s1
	v_cmp_gt_i32_e64 s1, s33, v39
	v_cndmask_b32_e64 v46, 0, v46, s1
.LBB142_110:                            ;   in Loop: Header=BB142_41 Depth=1
	s_or_b32 exec_lo, exec_lo, s9
	v_lshlrev_b32_e32 v5, 16, v5
	s_delay_alu instid0(VALU_DEP_1) | instskip(NEXT) | instid1(VALU_DEP_1)
	v_mul_f32_e32 v5, v23, v5
	v_and_b32_e32 v39, 0x7f800000, v5
	s_delay_alu instid0(VALU_DEP_1) | instskip(NEXT) | instid1(VALU_DEP_1)
	v_cmp_ne_u32_e64 s1, 0x7f800000, v39
                                        ; implicit-def: $vgpr39
	s_and_saveexec_b32 s9, s1
	s_delay_alu instid0(SALU_CYCLE_1)
	s_xor_b32 s1, exec_lo, s9
; %bb.111:                              ;   in Loop: Header=BB142_41 Depth=1
	v_bfe_u32 v39, v5, 16, 1
	s_delay_alu instid0(VALU_DEP_1)
	v_add3_u32 v39, v5, v39, 0x7fff
                                        ; implicit-def: $vgpr5
; %bb.112:                              ;   in Loop: Header=BB142_41 Depth=1
	s_and_not1_saveexec_b32 s9, s1
; %bb.113:                              ;   in Loop: Header=BB142_41 Depth=1
	v_and_b32_e32 v39, 0xffff, v5
	v_or_b32_e32 v41, 0x10000, v5
	s_delay_alu instid0(VALU_DEP_2) | instskip(NEXT) | instid1(VALU_DEP_1)
	v_cmp_eq_u32_e64 s1, 0, v39
	v_cndmask_b32_e64 v39, v41, v5, s1
; %bb.114:                              ;   in Loop: Header=BB142_41 Depth=1
	s_or_b32 exec_lo, exec_lo, s9
	v_lshlrev_b32_e32 v5, 16, v40
	s_delay_alu instid0(VALU_DEP_1) | instskip(NEXT) | instid1(VALU_DEP_1)
	v_mul_f32_e32 v5, v24, v5
	v_and_b32_e32 v40, 0x7f800000, v5
	s_delay_alu instid0(VALU_DEP_1) | instskip(NEXT) | instid1(VALU_DEP_1)
	v_cmp_ne_u32_e64 s1, 0x7f800000, v40
                                        ; implicit-def: $vgpr40
	s_and_saveexec_b32 s9, s1
	s_delay_alu instid0(SALU_CYCLE_1)
	s_xor_b32 s1, exec_lo, s9
; %bb.115:                              ;   in Loop: Header=BB142_41 Depth=1
	v_bfe_u32 v40, v5, 16, 1
	s_delay_alu instid0(VALU_DEP_1)
	v_add3_u32 v40, v5, v40, 0x7fff
                                        ; implicit-def: $vgpr5
; %bb.116:                              ;   in Loop: Header=BB142_41 Depth=1
	s_and_not1_saveexec_b32 s9, s1
; %bb.117:                              ;   in Loop: Header=BB142_41 Depth=1
	v_and_b32_e32 v40, 0xffff, v5
	v_or_b32_e32 v41, 0x10000, v5
	s_delay_alu instid0(VALU_DEP_2) | instskip(NEXT) | instid1(VALU_DEP_1)
	v_cmp_eq_u32_e64 s1, 0, v40
	v_cndmask_b32_e64 v40, v41, v5, s1
; %bb.118:                              ;   in Loop: Header=BB142_41 Depth=1
	s_or_b32 exec_lo, exec_lo, s9
	v_lshlrev_b32_e32 v5, 16, v6
                                        ; implicit-def: $vgpr41
	s_delay_alu instid0(VALU_DEP_1) | instskip(NEXT) | instid1(VALU_DEP_1)
	v_mul_f32_e32 v5, v25, v5
	v_and_b32_e32 v6, 0x7f800000, v5
	s_delay_alu instid0(VALU_DEP_1) | instskip(NEXT) | instid1(VALU_DEP_1)
	v_cmp_ne_u32_e64 s1, 0x7f800000, v6
	s_and_saveexec_b32 s9, s1
	s_delay_alu instid0(SALU_CYCLE_1)
	s_xor_b32 s1, exec_lo, s9
; %bb.119:                              ;   in Loop: Header=BB142_41 Depth=1
	v_bfe_u32 v6, v5, 16, 1
	s_delay_alu instid0(VALU_DEP_1)
	v_add3_u32 v41, v5, v6, 0x7fff
                                        ; implicit-def: $vgpr5
; %bb.120:                              ;   in Loop: Header=BB142_41 Depth=1
	s_and_not1_saveexec_b32 s9, s1
; %bb.121:                              ;   in Loop: Header=BB142_41 Depth=1
	v_and_b32_e32 v6, 0xffff, v5
	v_or_b32_e32 v41, 0x10000, v5
	s_delay_alu instid0(VALU_DEP_2) | instskip(NEXT) | instid1(VALU_DEP_1)
	v_cmp_eq_u32_e64 s1, 0, v6
	v_cndmask_b32_e64 v41, v41, v5, s1
; %bb.122:                              ;   in Loop: Header=BB142_41 Depth=1
	s_or_b32 exec_lo, exec_lo, s9
	v_lshlrev_b32_e32 v5, 16, v42
                                        ; implicit-def: $vgpr42
	s_delay_alu instid0(VALU_DEP_1) | instskip(NEXT) | instid1(VALU_DEP_1)
	v_mul_f32_e32 v5, v26, v5
	v_and_b32_e32 v6, 0x7f800000, v5
	s_delay_alu instid0(VALU_DEP_1) | instskip(NEXT) | instid1(VALU_DEP_1)
	v_cmp_ne_u32_e64 s1, 0x7f800000, v6
	s_and_saveexec_b32 s9, s1
	s_delay_alu instid0(SALU_CYCLE_1)
	s_xor_b32 s1, exec_lo, s9
; %bb.123:                              ;   in Loop: Header=BB142_41 Depth=1
	v_bfe_u32 v6, v5, 16, 1
	s_delay_alu instid0(VALU_DEP_1)
	v_add3_u32 v42, v5, v6, 0x7fff
                                        ; implicit-def: $vgpr5
; %bb.124:                              ;   in Loop: Header=BB142_41 Depth=1
	s_and_not1_saveexec_b32 s9, s1
; %bb.125:                              ;   in Loop: Header=BB142_41 Depth=1
	v_and_b32_e32 v6, 0xffff, v5
	v_or_b32_e32 v42, 0x10000, v5
	s_delay_alu instid0(VALU_DEP_2) | instskip(NEXT) | instid1(VALU_DEP_1)
	v_cmp_eq_u32_e64 s1, 0, v6
	v_cndmask_b32_e64 v42, v42, v5, s1
; %bb.126:                              ;   in Loop: Header=BB142_41 Depth=1
	s_or_b32 exec_lo, exec_lo, s9
	v_lshlrev_b32_e32 v5, 16, v7
                                        ; implicit-def: $vgpr43
	s_delay_alu instid0(VALU_DEP_1) | instskip(NEXT) | instid1(VALU_DEP_1)
	v_mul_f32_e32 v5, v27, v5
	v_and_b32_e32 v6, 0x7f800000, v5
	s_delay_alu instid0(VALU_DEP_1) | instskip(NEXT) | instid1(VALU_DEP_1)
	v_cmp_ne_u32_e64 s1, 0x7f800000, v6
	s_and_saveexec_b32 s9, s1
	s_delay_alu instid0(SALU_CYCLE_1)
	s_xor_b32 s1, exec_lo, s9
; %bb.127:                              ;   in Loop: Header=BB142_41 Depth=1
	v_bfe_u32 v6, v5, 16, 1
	s_delay_alu instid0(VALU_DEP_1)
	v_add3_u32 v43, v5, v6, 0x7fff
                                        ; implicit-def: $vgpr5
; %bb.128:                              ;   in Loop: Header=BB142_41 Depth=1
	s_and_not1_saveexec_b32 s9, s1
; %bb.129:                              ;   in Loop: Header=BB142_41 Depth=1
	v_and_b32_e32 v6, 0xffff, v5
	v_or_b32_e32 v7, 0x10000, v5
	s_delay_alu instid0(VALU_DEP_2) | instskip(NEXT) | instid1(VALU_DEP_1)
	v_cmp_eq_u32_e64 s1, 0, v6
	v_cndmask_b32_e64 v43, v7, v5, s1
; %bb.130:                              ;   in Loop: Header=BB142_41 Depth=1
	s_or_b32 exec_lo, exec_lo, s9
	v_lshlrev_b32_e32 v5, 16, v44
                                        ; implicit-def: $vgpr44
	s_delay_alu instid0(VALU_DEP_1) | instskip(NEXT) | instid1(VALU_DEP_1)
	v_mul_f32_e32 v5, v28, v5
	v_and_b32_e32 v6, 0x7f800000, v5
	s_delay_alu instid0(VALU_DEP_1) | instskip(NEXT) | instid1(VALU_DEP_1)
	v_cmp_ne_u32_e64 s1, 0x7f800000, v6
	s_and_saveexec_b32 s9, s1
	s_delay_alu instid0(SALU_CYCLE_1)
	s_xor_b32 s1, exec_lo, s9
; %bb.131:                              ;   in Loop: Header=BB142_41 Depth=1
	v_bfe_u32 v6, v5, 16, 1
	s_delay_alu instid0(VALU_DEP_1)
	v_add3_u32 v44, v5, v6, 0x7fff
                                        ; implicit-def: $vgpr5
; %bb.132:                              ;   in Loop: Header=BB142_41 Depth=1
	s_and_not1_saveexec_b32 s9, s1
; %bb.133:                              ;   in Loop: Header=BB142_41 Depth=1
	v_and_b32_e32 v6, 0xffff, v5
	v_or_b32_e32 v7, 0x10000, v5
	s_delay_alu instid0(VALU_DEP_2) | instskip(NEXT) | instid1(VALU_DEP_1)
	v_cmp_eq_u32_e64 s1, 0, v6
	v_cndmask_b32_e64 v44, v7, v5, s1
; %bb.134:                              ;   in Loop: Header=BB142_41 Depth=1
	s_or_b32 exec_lo, exec_lo, s9
	v_lshlrev_b32_e32 v5, 16, v8
                                        ; implicit-def: $vgpr45
	s_delay_alu instid0(VALU_DEP_1) | instskip(NEXT) | instid1(VALU_DEP_1)
	v_mul_f32_e32 v5, v29, v5
	v_and_b32_e32 v6, 0x7f800000, v5
	s_delay_alu instid0(VALU_DEP_1) | instskip(NEXT) | instid1(VALU_DEP_1)
	v_cmp_ne_u32_e64 s1, 0x7f800000, v6
	s_and_saveexec_b32 s9, s1
	s_delay_alu instid0(SALU_CYCLE_1)
	s_xor_b32 s1, exec_lo, s9
; %bb.135:                              ;   in Loop: Header=BB142_41 Depth=1
	v_bfe_u32 v6, v5, 16, 1
	s_delay_alu instid0(VALU_DEP_1)
	v_add3_u32 v45, v5, v6, 0x7fff
                                        ; implicit-def: $vgpr5
; %bb.136:                              ;   in Loop: Header=BB142_41 Depth=1
	s_and_not1_saveexec_b32 s9, s1
; %bb.137:                              ;   in Loop: Header=BB142_41 Depth=1
	v_and_b32_e32 v6, 0xffff, v5
	v_or_b32_e32 v7, 0x10000, v5
	s_delay_alu instid0(VALU_DEP_2) | instskip(NEXT) | instid1(VALU_DEP_1)
	v_cmp_eq_u32_e64 s1, 0, v6
	v_cndmask_b32_e64 v45, v7, v5, s1
; %bb.138:                              ;   in Loop: Header=BB142_41 Depth=1
	s_or_b32 exec_lo, exec_lo, s9
	v_lshlrev_b32_e32 v5, 16, v46
                                        ; implicit-def: $vgpr46
	s_delay_alu instid0(VALU_DEP_1) | instskip(NEXT) | instid1(VALU_DEP_1)
	v_mul_f32_e32 v5, v30, v5
	v_and_b32_e32 v6, 0x7f800000, v5
	s_delay_alu instid0(VALU_DEP_1) | instskip(NEXT) | instid1(VALU_DEP_1)
	v_cmp_ne_u32_e64 s1, 0x7f800000, v6
	s_and_saveexec_b32 s9, s1
	s_delay_alu instid0(SALU_CYCLE_1)
	s_xor_b32 s1, exec_lo, s9
; %bb.139:                              ;   in Loop: Header=BB142_41 Depth=1
	v_bfe_u32 v6, v5, 16, 1
	s_delay_alu instid0(VALU_DEP_1)
	v_add3_u32 v46, v5, v6, 0x7fff
                                        ; implicit-def: $vgpr5
; %bb.140:                              ;   in Loop: Header=BB142_41 Depth=1
	s_and_not1_saveexec_b32 s9, s1
; %bb.141:                              ;   in Loop: Header=BB142_41 Depth=1
	v_and_b32_e32 v6, 0xffff, v5
	v_or_b32_e32 v7, 0x10000, v5
	s_delay_alu instid0(VALU_DEP_2) | instskip(NEXT) | instid1(VALU_DEP_1)
	v_cmp_eq_u32_e64 s1, 0, v6
	v_cndmask_b32_e64 v46, v7, v5, s1
; %bb.142:                              ;   in Loop: Header=BB142_41 Depth=1
	s_or_b32 exec_lo, exec_lo, s9
	global_load_b128 v[5:8], v[9:10], off offset:1024
	s_waitcnt vmcnt(0)
	v_lshrrev_b32_e32 v10, 16, v5
	v_lshrrev_b32_e32 v48, 16, v6
	;; [unrolled: 1-line block ×4, first 2 shown]
	s_and_saveexec_b32 s9, s0
	s_cbranch_execz .LBB142_144
; %bb.143:                              ;   in Loop: Header=BB142_41 Depth=1
	v_add_nc_u32_e32 v49, 1, v17
	v_cmp_gt_i32_e64 s1, s33, v17
	v_add_nc_u32_e32 v50, 2, v17
	v_add_nc_u32_e32 v51, 3, v17
	s_delay_alu instid0(VALU_DEP_3) | instskip(SKIP_2) | instid1(VALU_DEP_2)
	v_cndmask_b32_e64 v5, 0, v5, s1
	v_cmp_gt_i32_e64 s1, s33, v49
	v_add_nc_u32_e32 v49, 4, v17
	v_cndmask_b32_e64 v10, 0, v10, s1
	v_cmp_gt_i32_e64 s1, s33, v50
	v_add_nc_u32_e32 v50, 5, v17
	s_delay_alu instid0(VALU_DEP_2) | instskip(SKIP_2) | instid1(VALU_DEP_2)
	v_cndmask_b32_e64 v6, 0, v6, s1
	v_cmp_gt_i32_e64 s1, s33, v51
	v_add_nc_u32_e32 v51, 6, v17
	v_cndmask_b32_e64 v48, 0, v48, s1
	v_cmp_gt_i32_e64 s1, s33, v49
	v_add_nc_u32_e32 v49, 7, v17
	s_delay_alu instid0(VALU_DEP_2) | instskip(SKIP_1) | instid1(VALU_DEP_1)
	v_cndmask_b32_e64 v7, 0, v7, s1
	v_cmp_gt_i32_e64 s1, s33, v50
	v_cndmask_b32_e64 v47, 0, v47, s1
	v_cmp_gt_i32_e64 s1, s33, v51
	s_delay_alu instid0(VALU_DEP_1) | instskip(SKIP_1) | instid1(VALU_DEP_1)
	v_cndmask_b32_e64 v8, 0, v8, s1
	v_cmp_gt_i32_e64 s1, s33, v49
	v_cndmask_b32_e64 v9, 0, v9, s1
.LBB142_144:                            ;   in Loop: Header=BB142_41 Depth=1
	s_or_b32 exec_lo, exec_lo, s9
	v_lshlrev_b32_e32 v5, 16, v5
	s_delay_alu instid0(VALU_DEP_1) | instskip(NEXT) | instid1(VALU_DEP_1)
	v_mul_f32_e32 v49, v23, v5
	v_and_b32_e32 v5, 0x7f800000, v49
	s_delay_alu instid0(VALU_DEP_1) | instskip(NEXT) | instid1(VALU_DEP_1)
	v_cmp_ne_u32_e64 s1, 0x7f800000, v5
                                        ; implicit-def: $vgpr5
	s_and_saveexec_b32 s9, s1
	s_delay_alu instid0(SALU_CYCLE_1)
	s_xor_b32 s1, exec_lo, s9
; %bb.145:                              ;   in Loop: Header=BB142_41 Depth=1
	v_bfe_u32 v5, v49, 16, 1
	s_delay_alu instid0(VALU_DEP_1)
	v_add3_u32 v5, v49, v5, 0x7fff
                                        ; implicit-def: $vgpr49
; %bb.146:                              ;   in Loop: Header=BB142_41 Depth=1
	s_and_not1_saveexec_b32 s9, s1
; %bb.147:                              ;   in Loop: Header=BB142_41 Depth=1
	v_and_b32_e32 v5, 0xffff, v49
	v_or_b32_e32 v50, 0x10000, v49
	s_delay_alu instid0(VALU_DEP_2) | instskip(NEXT) | instid1(VALU_DEP_1)
	v_cmp_eq_u32_e64 s1, 0, v5
	v_cndmask_b32_e64 v5, v50, v49, s1
; %bb.148:                              ;   in Loop: Header=BB142_41 Depth=1
	s_or_b32 exec_lo, exec_lo, s9
	v_lshlrev_b32_e32 v10, 16, v10
	s_delay_alu instid0(VALU_DEP_1) | instskip(NEXT) | instid1(VALU_DEP_1)
	v_mul_f32_e32 v49, v24, v10
	v_and_b32_e32 v10, 0x7f800000, v49
	s_delay_alu instid0(VALU_DEP_1) | instskip(NEXT) | instid1(VALU_DEP_1)
	v_cmp_ne_u32_e64 s1, 0x7f800000, v10
                                        ; implicit-def: $vgpr10
	s_and_saveexec_b32 s9, s1
	s_delay_alu instid0(SALU_CYCLE_1)
	s_xor_b32 s1, exec_lo, s9
; %bb.149:                              ;   in Loop: Header=BB142_41 Depth=1
	v_bfe_u32 v10, v49, 16, 1
	s_delay_alu instid0(VALU_DEP_1)
	v_add3_u32 v10, v49, v10, 0x7fff
                                        ; implicit-def: $vgpr49
; %bb.150:                              ;   in Loop: Header=BB142_41 Depth=1
	s_and_not1_saveexec_b32 s9, s1
; %bb.151:                              ;   in Loop: Header=BB142_41 Depth=1
	v_and_b32_e32 v10, 0xffff, v49
	v_or_b32_e32 v50, 0x10000, v49
	s_delay_alu instid0(VALU_DEP_2) | instskip(NEXT) | instid1(VALU_DEP_1)
	v_cmp_eq_u32_e64 s1, 0, v10
	v_cndmask_b32_e64 v10, v50, v49, s1
; %bb.152:                              ;   in Loop: Header=BB142_41 Depth=1
	s_or_b32 exec_lo, exec_lo, s9
	v_lshlrev_b32_e32 v6, 16, v6
	s_delay_alu instid0(VALU_DEP_1) | instskip(NEXT) | instid1(VALU_DEP_1)
	v_mul_f32_e32 v49, v25, v6
	v_and_b32_e32 v6, 0x7f800000, v49
	s_delay_alu instid0(VALU_DEP_1) | instskip(NEXT) | instid1(VALU_DEP_1)
	v_cmp_ne_u32_e64 s1, 0x7f800000, v6
                                        ; implicit-def: $vgpr6
	s_and_saveexec_b32 s9, s1
	s_delay_alu instid0(SALU_CYCLE_1)
	s_xor_b32 s1, exec_lo, s9
; %bb.153:                              ;   in Loop: Header=BB142_41 Depth=1
	v_bfe_u32 v6, v49, 16, 1
	s_delay_alu instid0(VALU_DEP_1)
	v_add3_u32 v6, v49, v6, 0x7fff
                                        ; implicit-def: $vgpr49
; %bb.154:                              ;   in Loop: Header=BB142_41 Depth=1
	s_and_not1_saveexec_b32 s9, s1
; %bb.155:                              ;   in Loop: Header=BB142_41 Depth=1
	v_and_b32_e32 v6, 0xffff, v49
	v_or_b32_e32 v50, 0x10000, v49
	s_delay_alu instid0(VALU_DEP_2) | instskip(NEXT) | instid1(VALU_DEP_1)
	v_cmp_eq_u32_e64 s1, 0, v6
	v_cndmask_b32_e64 v6, v50, v49, s1
; %bb.156:                              ;   in Loop: Header=BB142_41 Depth=1
	s_or_b32 exec_lo, exec_lo, s9
	v_lshlrev_b32_e32 v48, 16, v48
	s_delay_alu instid0(VALU_DEP_1) | instskip(NEXT) | instid1(VALU_DEP_1)
	v_mul_f32_e32 v49, v26, v48
	v_and_b32_e32 v48, 0x7f800000, v49
	s_delay_alu instid0(VALU_DEP_1) | instskip(NEXT) | instid1(VALU_DEP_1)
	v_cmp_ne_u32_e64 s1, 0x7f800000, v48
                                        ; implicit-def: $vgpr48
	s_and_saveexec_b32 s9, s1
	s_delay_alu instid0(SALU_CYCLE_1)
	s_xor_b32 s1, exec_lo, s9
; %bb.157:                              ;   in Loop: Header=BB142_41 Depth=1
	v_bfe_u32 v48, v49, 16, 1
	s_delay_alu instid0(VALU_DEP_1)
	v_add3_u32 v48, v49, v48, 0x7fff
                                        ; implicit-def: $vgpr49
; %bb.158:                              ;   in Loop: Header=BB142_41 Depth=1
	s_and_not1_saveexec_b32 s9, s1
; %bb.159:                              ;   in Loop: Header=BB142_41 Depth=1
	v_and_b32_e32 v48, 0xffff, v49
	v_or_b32_e32 v50, 0x10000, v49
	s_delay_alu instid0(VALU_DEP_2) | instskip(NEXT) | instid1(VALU_DEP_1)
	v_cmp_eq_u32_e64 s1, 0, v48
	v_cndmask_b32_e64 v48, v50, v49, s1
; %bb.160:                              ;   in Loop: Header=BB142_41 Depth=1
	s_or_b32 exec_lo, exec_lo, s9
	v_lshlrev_b32_e32 v7, 16, v7
	s_delay_alu instid0(VALU_DEP_1) | instskip(NEXT) | instid1(VALU_DEP_1)
	v_mul_f32_e32 v49, v27, v7
	v_and_b32_e32 v7, 0x7f800000, v49
	s_delay_alu instid0(VALU_DEP_1) | instskip(NEXT) | instid1(VALU_DEP_1)
	v_cmp_ne_u32_e64 s1, 0x7f800000, v7
                                        ; implicit-def: $vgpr7
	s_and_saveexec_b32 s9, s1
	s_delay_alu instid0(SALU_CYCLE_1)
	s_xor_b32 s1, exec_lo, s9
; %bb.161:                              ;   in Loop: Header=BB142_41 Depth=1
	v_bfe_u32 v7, v49, 16, 1
	s_delay_alu instid0(VALU_DEP_1)
	v_add3_u32 v7, v49, v7, 0x7fff
                                        ; implicit-def: $vgpr49
; %bb.162:                              ;   in Loop: Header=BB142_41 Depth=1
	s_and_not1_saveexec_b32 s9, s1
; %bb.163:                              ;   in Loop: Header=BB142_41 Depth=1
	v_and_b32_e32 v7, 0xffff, v49
	v_or_b32_e32 v50, 0x10000, v49
	s_delay_alu instid0(VALU_DEP_2) | instskip(NEXT) | instid1(VALU_DEP_1)
	v_cmp_eq_u32_e64 s1, 0, v7
	v_cndmask_b32_e64 v7, v50, v49, s1
; %bb.164:                              ;   in Loop: Header=BB142_41 Depth=1
	s_or_b32 exec_lo, exec_lo, s9
	v_lshlrev_b32_e32 v47, 16, v47
	s_delay_alu instid0(VALU_DEP_1) | instskip(NEXT) | instid1(VALU_DEP_1)
	v_mul_f32_e32 v49, v28, v47
	v_and_b32_e32 v47, 0x7f800000, v49
	s_delay_alu instid0(VALU_DEP_1) | instskip(NEXT) | instid1(VALU_DEP_1)
	v_cmp_ne_u32_e64 s1, 0x7f800000, v47
                                        ; implicit-def: $vgpr47
	s_and_saveexec_b32 s9, s1
	s_delay_alu instid0(SALU_CYCLE_1)
	s_xor_b32 s1, exec_lo, s9
; %bb.165:                              ;   in Loop: Header=BB142_41 Depth=1
	v_bfe_u32 v47, v49, 16, 1
	s_delay_alu instid0(VALU_DEP_1)
	v_add3_u32 v47, v49, v47, 0x7fff
                                        ; implicit-def: $vgpr49
; %bb.166:                              ;   in Loop: Header=BB142_41 Depth=1
	s_and_not1_saveexec_b32 s9, s1
; %bb.167:                              ;   in Loop: Header=BB142_41 Depth=1
	v_and_b32_e32 v47, 0xffff, v49
	v_or_b32_e32 v50, 0x10000, v49
	s_delay_alu instid0(VALU_DEP_2) | instskip(NEXT) | instid1(VALU_DEP_1)
	v_cmp_eq_u32_e64 s1, 0, v47
	v_cndmask_b32_e64 v47, v50, v49, s1
; %bb.168:                              ;   in Loop: Header=BB142_41 Depth=1
	s_or_b32 exec_lo, exec_lo, s9
	v_lshlrev_b32_e32 v8, 16, v8
	s_delay_alu instid0(VALU_DEP_1) | instskip(NEXT) | instid1(VALU_DEP_1)
	v_mul_f32_e32 v49, v29, v8
	v_and_b32_e32 v8, 0x7f800000, v49
	s_delay_alu instid0(VALU_DEP_1) | instskip(NEXT) | instid1(VALU_DEP_1)
	v_cmp_ne_u32_e64 s1, 0x7f800000, v8
                                        ; implicit-def: $vgpr8
	s_and_saveexec_b32 s9, s1
	s_delay_alu instid0(SALU_CYCLE_1)
	s_xor_b32 s1, exec_lo, s9
; %bb.169:                              ;   in Loop: Header=BB142_41 Depth=1
	v_bfe_u32 v8, v49, 16, 1
	s_delay_alu instid0(VALU_DEP_1)
	v_add3_u32 v8, v49, v8, 0x7fff
                                        ; implicit-def: $vgpr49
; %bb.170:                              ;   in Loop: Header=BB142_41 Depth=1
	s_and_not1_saveexec_b32 s9, s1
; %bb.171:                              ;   in Loop: Header=BB142_41 Depth=1
	v_and_b32_e32 v8, 0xffff, v49
	v_or_b32_e32 v50, 0x10000, v49
	s_delay_alu instid0(VALU_DEP_2) | instskip(NEXT) | instid1(VALU_DEP_1)
	v_cmp_eq_u32_e64 s1, 0, v8
	v_cndmask_b32_e64 v8, v50, v49, s1
; %bb.172:                              ;   in Loop: Header=BB142_41 Depth=1
	s_or_b32 exec_lo, exec_lo, s9
	v_lshlrev_b32_e32 v9, 16, v9
	s_delay_alu instid0(VALU_DEP_1) | instskip(NEXT) | instid1(VALU_DEP_1)
	v_mul_f32_e32 v49, v30, v9
	v_and_b32_e32 v9, 0x7f800000, v49
	s_delay_alu instid0(VALU_DEP_1) | instskip(NEXT) | instid1(VALU_DEP_1)
	v_cmp_ne_u32_e64 s1, 0x7f800000, v9
                                        ; implicit-def: $vgpr9
	s_and_saveexec_b32 s9, s1
	s_delay_alu instid0(SALU_CYCLE_1)
	s_xor_b32 s1, exec_lo, s9
; %bb.173:                              ;   in Loop: Header=BB142_41 Depth=1
	v_bfe_u32 v9, v49, 16, 1
	s_delay_alu instid0(VALU_DEP_1)
	v_add3_u32 v9, v49, v9, 0x7fff
                                        ; implicit-def: $vgpr49
; %bb.174:                              ;   in Loop: Header=BB142_41 Depth=1
	s_and_not1_saveexec_b32 s9, s1
; %bb.175:                              ;   in Loop: Header=BB142_41 Depth=1
	v_and_b32_e32 v9, 0xffff, v49
	v_or_b32_e32 v50, 0x10000, v49
	s_delay_alu instid0(VALU_DEP_2) | instskip(NEXT) | instid1(VALU_DEP_1)
	v_cmp_eq_u32_e64 s1, 0, v9
	v_cndmask_b32_e64 v9, v50, v49, s1
; %bb.176:                              ;   in Loop: Header=BB142_41 Depth=1
	s_or_b32 exec_lo, exec_lo, s9
	v_and_b32_e32 v10, 0xffff0000, v10
	v_and_b32_e32 v5, 0xffff0000, v5
	;; [unrolled: 1-line block ×6, first 2 shown]
	v_add_f32_e32 v5, v5, v10
	v_and_b32_e32 v33, 0xffff0000, v33
	v_and_b32_e32 v31, 0xffff0000, v31
	;; [unrolled: 1-line block ×5, first 2 shown]
	s_delay_alu instid0(VALU_DEP_3) | instskip(SKIP_2) | instid1(VALU_DEP_3)
	v_dual_add_f32 v31, v31, v32 :: v_dual_add_f32 v32, v33, v34
	v_and_b32_e32 v33, 0xffff0000, v37
	v_and_b32_e32 v37, 0xffff0000, v42
	v_dual_add_f32 v31, v31, v32 :: v_dual_and_b32 v32, 0xffff0000, v38
	v_and_b32_e32 v38, 0xffff0000, v40
	s_delay_alu instid0(VALU_DEP_1) | instskip(SKIP_1) | instid1(VALU_DEP_1)
	v_add_f32_e32 v38, v39, v38
	v_add_f32_e32 v34, v35, v36
	v_dual_add_f32 v31, v31, v34 :: v_dual_and_b32 v42, 0xffff0000, v48
	s_delay_alu instid0(VALU_DEP_1) | instskip(SKIP_2) | instid1(VALU_DEP_3)
	v_add_f32_e32 v6, v6, v42
	v_and_b32_e32 v34, 0xffff0000, v41
	v_and_b32_e32 v35, 0xffff0000, v44
	v_dual_add_f32 v5, v5, v6 :: v_dual_and_b32 v36, 0xffff0000, v43
	s_delay_alu instid0(VALU_DEP_3) | instskip(NEXT) | instid1(VALU_DEP_1)
	v_dual_add_f32 v34, v34, v37 :: v_dual_and_b32 v37, 0xffff0000, v47
	v_add_f32_e32 v10, v38, v34
	s_delay_alu instid0(VALU_DEP_3) | instskip(NEXT) | instid1(VALU_DEP_1)
	v_add_f32_e32 v34, v36, v35
	v_dual_add_f32 v10, v10, v34 :: v_dual_and_b32 v7, 0xffff0000, v7
	s_delay_alu instid0(VALU_DEP_1) | instskip(SKIP_2) | instid1(VALU_DEP_2)
	v_dual_add_f32 v6, v7, v37 :: v_dual_and_b32 v41, 0xffff0000, v46
	v_and_b32_e32 v7, 0xffff0000, v9
	v_add_f32_e32 v9, v33, v32
	v_dual_add_f32 v5, v5, v6 :: v_dual_add_f32 v6, v8, v7
	v_and_b32_e32 v40, 0xffff0000, v45
	s_delay_alu instid0(VALU_DEP_3) | instskip(NEXT) | instid1(VALU_DEP_2)
	v_add_f32_e32 v7, v31, v9
	v_dual_add_f32 v5, v5, v6 :: v_dual_add_f32 v32, v40, v41
	s_delay_alu instid0(VALU_DEP_2) | instskip(NEXT) | instid1(VALU_DEP_2)
	v_add_f32_e32 v1, v1, v7
	v_dual_add_f32 v3, v3, v5 :: v_dual_add_f32 v8, v10, v32
	s_delay_alu instid0(VALU_DEP_1)
	v_add_f32_e32 v2, v2, v8
	s_and_saveexec_b32 s9, vcc_lo
	s_cbranch_execz .LBB142_39
; %bb.177:                              ;   in Loop: Header=BB142_41 Depth=1
	v_add_co_u32 v5, s1, v11, v22
	s_delay_alu instid0(VALU_DEP_1)
	v_add_co_ci_u32_e64 v6, s1, 0, v12, s1
	global_load_b128 v[5:8], v[5:6], off
	s_waitcnt vmcnt(0)
	v_lshrrev_b32_e32 v11, 16, v5
	v_lshrrev_b32_e32 v12, 16, v6
	;; [unrolled: 1-line block ×4, first 2 shown]
	s_and_saveexec_b32 s1, s0
	s_cbranch_execz .LBB142_179
; %bb.178:                              ;   in Loop: Header=BB142_41 Depth=1
	v_add_nc_u32_e32 v31, 1, v17
	v_cmp_gt_i32_e64 s0, s33, v17
	v_add_nc_u32_e32 v32, 2, v17
	v_add_nc_u32_e32 v33, 3, v17
	s_delay_alu instid0(VALU_DEP_3) | instskip(SKIP_2) | instid1(VALU_DEP_2)
	v_cndmask_b32_e64 v5, 0, v5, s0
	v_cmp_gt_i32_e64 s0, s33, v31
	v_add_nc_u32_e32 v31, 4, v17
	v_cndmask_b32_e64 v11, 0, v11, s0
	v_cmp_gt_i32_e64 s0, s33, v32
	v_add_nc_u32_e32 v32, 5, v17
	s_delay_alu instid0(VALU_DEP_2) | instskip(SKIP_2) | instid1(VALU_DEP_2)
	v_cndmask_b32_e64 v6, 0, v6, s0
	v_cmp_gt_i32_e64 s0, s33, v33
	v_add_nc_u32_e32 v33, 6, v17
	v_cndmask_b32_e64 v12, 0, v12, s0
	v_cmp_gt_i32_e64 s0, s33, v31
	v_add_nc_u32_e32 v31, 7, v17
	s_delay_alu instid0(VALU_DEP_2) | instskip(SKIP_1) | instid1(VALU_DEP_1)
	v_cndmask_b32_e64 v7, 0, v7, s0
	v_cmp_gt_i32_e64 s0, s33, v32
	v_cndmask_b32_e64 v10, 0, v10, s0
	v_cmp_gt_i32_e64 s0, s33, v33
	s_delay_alu instid0(VALU_DEP_1) | instskip(SKIP_1) | instid1(VALU_DEP_1)
	v_cndmask_b32_e64 v8, 0, v8, s0
	v_cmp_gt_i32_e64 s0, s33, v31
	v_cndmask_b32_e64 v9, 0, v9, s0
.LBB142_179:                            ;   in Loop: Header=BB142_41 Depth=1
	s_or_b32 exec_lo, exec_lo, s1
	v_lshlrev_b32_e32 v5, 16, v5
	s_delay_alu instid0(VALU_DEP_1) | instskip(NEXT) | instid1(VALU_DEP_1)
	v_mul_f32_e32 v23, v23, v5
	v_and_b32_e32 v5, 0x7f800000, v23
	s_delay_alu instid0(VALU_DEP_1) | instskip(NEXT) | instid1(VALU_DEP_1)
	v_cmp_ne_u32_e64 s0, 0x7f800000, v5
                                        ; implicit-def: $vgpr5
	s_and_saveexec_b32 s1, s0
	s_delay_alu instid0(SALU_CYCLE_1)
	s_xor_b32 s0, exec_lo, s1
; %bb.180:                              ;   in Loop: Header=BB142_41 Depth=1
	v_bfe_u32 v5, v23, 16, 1
	s_delay_alu instid0(VALU_DEP_1)
	v_add3_u32 v5, v23, v5, 0x7fff
                                        ; implicit-def: $vgpr23
; %bb.181:                              ;   in Loop: Header=BB142_41 Depth=1
	s_and_not1_saveexec_b32 s1, s0
; %bb.182:                              ;   in Loop: Header=BB142_41 Depth=1
	v_and_b32_e32 v5, 0xffff, v23
	v_or_b32_e32 v31, 0x10000, v23
	s_delay_alu instid0(VALU_DEP_2) | instskip(NEXT) | instid1(VALU_DEP_1)
	v_cmp_eq_u32_e64 s0, 0, v5
	v_cndmask_b32_e64 v5, v31, v23, s0
; %bb.183:                              ;   in Loop: Header=BB142_41 Depth=1
	s_or_b32 exec_lo, exec_lo, s1
	v_lshlrev_b32_e32 v11, 16, v11
	s_delay_alu instid0(VALU_DEP_1) | instskip(NEXT) | instid1(VALU_DEP_1)
	v_mul_f32_e32 v23, v24, v11
	v_and_b32_e32 v11, 0x7f800000, v23
	s_delay_alu instid0(VALU_DEP_1) | instskip(NEXT) | instid1(VALU_DEP_1)
	v_cmp_ne_u32_e64 s0, 0x7f800000, v11
                                        ; implicit-def: $vgpr11
	s_and_saveexec_b32 s1, s0
	s_delay_alu instid0(SALU_CYCLE_1)
	s_xor_b32 s0, exec_lo, s1
; %bb.184:                              ;   in Loop: Header=BB142_41 Depth=1
	v_bfe_u32 v11, v23, 16, 1
	s_delay_alu instid0(VALU_DEP_1)
	v_add3_u32 v11, v23, v11, 0x7fff
                                        ; implicit-def: $vgpr23
; %bb.185:                              ;   in Loop: Header=BB142_41 Depth=1
	s_and_not1_saveexec_b32 s1, s0
; %bb.186:                              ;   in Loop: Header=BB142_41 Depth=1
	v_and_b32_e32 v11, 0xffff, v23
	v_or_b32_e32 v24, 0x10000, v23
	s_delay_alu instid0(VALU_DEP_2) | instskip(NEXT) | instid1(VALU_DEP_1)
	v_cmp_eq_u32_e64 s0, 0, v11
	v_cndmask_b32_e64 v11, v24, v23, s0
; %bb.187:                              ;   in Loop: Header=BB142_41 Depth=1
	s_or_b32 exec_lo, exec_lo, s1
	v_lshlrev_b32_e32 v6, 16, v6
	s_delay_alu instid0(VALU_DEP_1) | instskip(NEXT) | instid1(VALU_DEP_1)
	v_mul_f32_e32 v23, v25, v6
	v_and_b32_e32 v6, 0x7f800000, v23
	s_delay_alu instid0(VALU_DEP_1) | instskip(NEXT) | instid1(VALU_DEP_1)
	v_cmp_ne_u32_e64 s0, 0x7f800000, v6
                                        ; implicit-def: $vgpr6
	s_and_saveexec_b32 s1, s0
	s_delay_alu instid0(SALU_CYCLE_1)
	s_xor_b32 s0, exec_lo, s1
; %bb.188:                              ;   in Loop: Header=BB142_41 Depth=1
	v_bfe_u32 v6, v23, 16, 1
	s_delay_alu instid0(VALU_DEP_1)
	v_add3_u32 v6, v23, v6, 0x7fff
                                        ; implicit-def: $vgpr23
; %bb.189:                              ;   in Loop: Header=BB142_41 Depth=1
	s_and_not1_saveexec_b32 s1, s0
; %bb.190:                              ;   in Loop: Header=BB142_41 Depth=1
	v_and_b32_e32 v6, 0xffff, v23
	v_or_b32_e32 v24, 0x10000, v23
	s_delay_alu instid0(VALU_DEP_2) | instskip(NEXT) | instid1(VALU_DEP_1)
	v_cmp_eq_u32_e64 s0, 0, v6
	v_cndmask_b32_e64 v6, v24, v23, s0
; %bb.191:                              ;   in Loop: Header=BB142_41 Depth=1
	s_or_b32 exec_lo, exec_lo, s1
	v_lshlrev_b32_e32 v12, 16, v12
	s_delay_alu instid0(VALU_DEP_1) | instskip(NEXT) | instid1(VALU_DEP_1)
	v_mul_f32_e32 v23, v26, v12
	v_and_b32_e32 v12, 0x7f800000, v23
	s_delay_alu instid0(VALU_DEP_1) | instskip(NEXT) | instid1(VALU_DEP_1)
	v_cmp_ne_u32_e64 s0, 0x7f800000, v12
                                        ; implicit-def: $vgpr12
	s_and_saveexec_b32 s1, s0
	s_delay_alu instid0(SALU_CYCLE_1)
	s_xor_b32 s0, exec_lo, s1
; %bb.192:                              ;   in Loop: Header=BB142_41 Depth=1
	v_bfe_u32 v12, v23, 16, 1
	s_delay_alu instid0(VALU_DEP_1)
	v_add3_u32 v12, v23, v12, 0x7fff
                                        ; implicit-def: $vgpr23
; %bb.193:                              ;   in Loop: Header=BB142_41 Depth=1
	s_and_not1_saveexec_b32 s1, s0
; %bb.194:                              ;   in Loop: Header=BB142_41 Depth=1
	v_and_b32_e32 v12, 0xffff, v23
	v_or_b32_e32 v24, 0x10000, v23
	s_delay_alu instid0(VALU_DEP_2) | instskip(NEXT) | instid1(VALU_DEP_1)
	v_cmp_eq_u32_e64 s0, 0, v12
	v_cndmask_b32_e64 v12, v24, v23, s0
; %bb.195:                              ;   in Loop: Header=BB142_41 Depth=1
	s_or_b32 exec_lo, exec_lo, s1
	v_lshlrev_b32_e32 v7, 16, v7
	s_delay_alu instid0(VALU_DEP_1) | instskip(NEXT) | instid1(VALU_DEP_1)
	v_mul_f32_e32 v23, v27, v7
	v_and_b32_e32 v7, 0x7f800000, v23
	s_delay_alu instid0(VALU_DEP_1) | instskip(NEXT) | instid1(VALU_DEP_1)
	v_cmp_ne_u32_e64 s0, 0x7f800000, v7
                                        ; implicit-def: $vgpr7
	s_and_saveexec_b32 s1, s0
	s_delay_alu instid0(SALU_CYCLE_1)
	s_xor_b32 s0, exec_lo, s1
; %bb.196:                              ;   in Loop: Header=BB142_41 Depth=1
	v_bfe_u32 v7, v23, 16, 1
	s_delay_alu instid0(VALU_DEP_1)
	v_add3_u32 v7, v23, v7, 0x7fff
                                        ; implicit-def: $vgpr23
; %bb.197:                              ;   in Loop: Header=BB142_41 Depth=1
	s_and_not1_saveexec_b32 s1, s0
; %bb.198:                              ;   in Loop: Header=BB142_41 Depth=1
	v_and_b32_e32 v7, 0xffff, v23
	v_or_b32_e32 v24, 0x10000, v23
	s_delay_alu instid0(VALU_DEP_2) | instskip(NEXT) | instid1(VALU_DEP_1)
	v_cmp_eq_u32_e64 s0, 0, v7
	v_cndmask_b32_e64 v7, v24, v23, s0
; %bb.199:                              ;   in Loop: Header=BB142_41 Depth=1
	s_or_b32 exec_lo, exec_lo, s1
	v_lshlrev_b32_e32 v10, 16, v10
	s_delay_alu instid0(VALU_DEP_1) | instskip(NEXT) | instid1(VALU_DEP_1)
	v_mul_f32_e32 v23, v28, v10
	v_and_b32_e32 v10, 0x7f800000, v23
	s_delay_alu instid0(VALU_DEP_1) | instskip(NEXT) | instid1(VALU_DEP_1)
	v_cmp_ne_u32_e64 s0, 0x7f800000, v10
                                        ; implicit-def: $vgpr10
	s_and_saveexec_b32 s1, s0
	s_delay_alu instid0(SALU_CYCLE_1)
	s_xor_b32 s0, exec_lo, s1
; %bb.200:                              ;   in Loop: Header=BB142_41 Depth=1
	v_bfe_u32 v10, v23, 16, 1
	s_delay_alu instid0(VALU_DEP_1)
	v_add3_u32 v10, v23, v10, 0x7fff
                                        ; implicit-def: $vgpr23
; %bb.201:                              ;   in Loop: Header=BB142_41 Depth=1
	s_and_not1_saveexec_b32 s1, s0
; %bb.202:                              ;   in Loop: Header=BB142_41 Depth=1
	v_and_b32_e32 v10, 0xffff, v23
	v_or_b32_e32 v24, 0x10000, v23
	s_delay_alu instid0(VALU_DEP_2) | instskip(NEXT) | instid1(VALU_DEP_1)
	v_cmp_eq_u32_e64 s0, 0, v10
	v_cndmask_b32_e64 v10, v24, v23, s0
; %bb.203:                              ;   in Loop: Header=BB142_41 Depth=1
	s_or_b32 exec_lo, exec_lo, s1
	v_lshlrev_b32_e32 v8, 16, v8
	s_delay_alu instid0(VALU_DEP_1) | instskip(NEXT) | instid1(VALU_DEP_1)
	v_mul_f32_e32 v23, v29, v8
	v_and_b32_e32 v8, 0x7f800000, v23
	s_delay_alu instid0(VALU_DEP_1) | instskip(NEXT) | instid1(VALU_DEP_1)
	v_cmp_ne_u32_e64 s0, 0x7f800000, v8
                                        ; implicit-def: $vgpr8
	s_and_saveexec_b32 s1, s0
	s_delay_alu instid0(SALU_CYCLE_1)
	s_xor_b32 s0, exec_lo, s1
; %bb.204:                              ;   in Loop: Header=BB142_41 Depth=1
	v_bfe_u32 v8, v23, 16, 1
	s_delay_alu instid0(VALU_DEP_1)
	v_add3_u32 v8, v23, v8, 0x7fff
                                        ; implicit-def: $vgpr23
; %bb.205:                              ;   in Loop: Header=BB142_41 Depth=1
	s_and_not1_saveexec_b32 s1, s0
; %bb.206:                              ;   in Loop: Header=BB142_41 Depth=1
	v_and_b32_e32 v8, 0xffff, v23
	v_or_b32_e32 v24, 0x10000, v23
	s_delay_alu instid0(VALU_DEP_2) | instskip(NEXT) | instid1(VALU_DEP_1)
	v_cmp_eq_u32_e64 s0, 0, v8
	v_cndmask_b32_e64 v8, v24, v23, s0
; %bb.207:                              ;   in Loop: Header=BB142_41 Depth=1
	s_or_b32 exec_lo, exec_lo, s1
	v_lshlrev_b32_e32 v9, 16, v9
	s_delay_alu instid0(VALU_DEP_1) | instskip(NEXT) | instid1(VALU_DEP_1)
	v_mul_f32_e32 v23, v30, v9
	v_and_b32_e32 v9, 0x7f800000, v23
	s_delay_alu instid0(VALU_DEP_1) | instskip(NEXT) | instid1(VALU_DEP_1)
	v_cmp_ne_u32_e64 s0, 0x7f800000, v9
                                        ; implicit-def: $vgpr9
	s_and_saveexec_b32 s1, s0
	s_delay_alu instid0(SALU_CYCLE_1)
	s_xor_b32 s0, exec_lo, s1
; %bb.208:                              ;   in Loop: Header=BB142_41 Depth=1
	v_bfe_u32 v9, v23, 16, 1
	s_delay_alu instid0(VALU_DEP_1)
	v_add3_u32 v9, v23, v9, 0x7fff
                                        ; implicit-def: $vgpr23
; %bb.209:                              ;   in Loop: Header=BB142_41 Depth=1
	s_and_not1_saveexec_b32 s1, s0
	s_cbranch_execz .LBB142_38
; %bb.210:                              ;   in Loop: Header=BB142_41 Depth=1
	v_and_b32_e32 v9, 0xffff, v23
	v_or_b32_e32 v24, 0x10000, v23
	s_delay_alu instid0(VALU_DEP_2) | instskip(NEXT) | instid1(VALU_DEP_1)
	v_cmp_eq_u32_e64 s0, 0, v9
	v_cndmask_b32_e64 v9, v24, v23, s0
	s_branch .LBB142_38
.LBB142_211:
	s_or_b32 exec_lo, exec_lo, s4
.LBB142_212:
	s_delay_alu instid0(SALU_CYCLE_1)
	s_or_b32 exec_lo, exec_lo, s3
	s_movk_i32 s0, 0x1e0
	v_and_b32_e32 v6, 0x3c0, v0
	v_mad_u32_u24 v5, v16, s0, 0x110
	v_or_b32_e32 v7, 0x60, v0
	s_mov_b32 s0, exec_lo
	s_waitcnt_vscnt null, 0x0
	s_barrier
	buffer_gl0_inv
	v_cmpx_eq_u32_e32 64, v6
	s_cbranch_execz .LBB142_215
; %bb.213:
	v_add_nc_u32_e32 v6, 0xfffffc40, v5
	v_cmp_gt_u32_e32 vcc_lo, 0x78, v7
	s_delay_alu instid0(VALU_DEP_2)
	v_lshl_add_u32 v8, v18, 2, v6
	ds_store_2addr_b32 v8, v1, v2 offset1:32
	ds_store_b32 v8, v3 offset:256
	s_and_b32 exec_lo, exec_lo, vcc_lo
	s_cbranch_execz .LBB142_215
; %bb.214:
	v_lshl_add_u32 v6, v7, 2, v6
	ds_store_b32 v6, v4
.LBB142_215:
	s_or_b32 exec_lo, exec_lo, s0
	v_lshl_add_u32 v6, v18, 2, v5
	s_mov_b32 s0, exec_lo
	s_waitcnt lgkmcnt(0)
	s_barrier
	buffer_gl0_inv
	v_cmpx_gt_u32_e32 64, v0
	s_cbranch_execz .LBB142_219
; %bb.216:
	v_lshl_or_b32 v8, v0, 2, 0x80
	s_mov_b32 s1, exec_lo
	s_delay_alu instid0(VALU_DEP_1)
	v_add_nc_u32_e32 v10, v5, v8
	ds_load_2addr_stride64_b32 v[8:9], v6 offset1:1
	ds_load_b32 v10, v10
	s_waitcnt lgkmcnt(1)
	v_add_f32_e32 v3, v3, v9
	s_waitcnt lgkmcnt(0)
	v_dual_add_f32 v1, v1, v8 :: v_dual_add_f32 v2, v2, v10
	v_cmpx_gt_u32_e32 0x78, v7
	s_cbranch_execz .LBB142_218
; %bb.217:
	v_lshl_add_u32 v8, v7, 2, v5
	ds_load_b32 v8, v8
	s_waitcnt lgkmcnt(0)
	v_add_f32_e32 v4, v4, v8
.LBB142_218:
	s_or_b32 exec_lo, exec_lo, s1
.LBB142_219:
	s_delay_alu instid0(SALU_CYCLE_1)
	s_or_b32 exec_lo, exec_lo, s0
	v_and_b32_e32 v8, 0x3e0, v0
	s_mov_b32 s0, exec_lo
	s_barrier
	buffer_gl0_inv
	v_cmpx_eq_u32_e32 32, v8
	s_cbranch_execz .LBB142_222
; %bb.220:
	v_add_nc_u32_e32 v8, 0xfffffe20, v5
	v_cmp_gt_u32_e32 vcc_lo, 0x78, v7
	s_delay_alu instid0(VALU_DEP_2)
	v_lshl_add_u32 v9, v18, 2, v8
	v_lshl_add_u32 v10, v0, 2, v8
	ds_store_b32 v9, v1
	ds_store_b32 v10, v2
	ds_store_b32 v9, v3 offset:256
	s_and_b32 exec_lo, exec_lo, vcc_lo
	s_cbranch_execz .LBB142_222
; %bb.221:
	v_lshl_add_u32 v8, v7, 2, v8
	ds_store_b32 v8, v4
.LBB142_222:
	s_or_b32 exec_lo, exec_lo, s0
	v_cmp_gt_u32_e32 vcc_lo, 32, v0
	s_waitcnt lgkmcnt(0)
	s_barrier
	buffer_gl0_inv
	s_and_saveexec_b32 s1, vcc_lo
	s_cbranch_execz .LBB142_226
; %bb.223:
	v_lshl_add_u32 v5, v0, 2, v5
	s_mov_b32 s2, exec_lo
	ds_load_b32 v6, v6
	ds_load_2addr_b32 v[8:9], v5 offset0:32 offset1:64
	s_waitcnt lgkmcnt(0)
	v_dual_add_f32 v1, v1, v6 :: v_dual_add_f32 v2, v2, v8
	v_add_f32_e32 v3, v3, v9
	v_cmpx_gt_u32_e32 0x78, v7
	s_cbranch_execz .LBB142_225
; %bb.224:
	ds_load_b32 v5, v5 offset:384
	s_waitcnt lgkmcnt(0)
	v_add_f32_e32 v4, v4, v5
.LBB142_225:
	s_or_b32 exec_lo, exec_lo, s2
.LBB142_226:
	s_delay_alu instid0(SALU_CYCLE_1)
	s_or_b32 exec_lo, exec_lo, s1
	s_barrier
	buffer_gl0_inv
	s_and_saveexec_b32 s0, vcc_lo
	s_cbranch_execz .LBB142_245
; %bb.227:
	v_and_b32_e32 v5, 0x7f800000, v1
	s_mov_b32 s0, exec_lo
                                        ; implicit-def: $vgpr8
	s_delay_alu instid0(VALU_DEP_1)
	v_cmpx_ne_u32_e32 0x7f800000, v5
	s_xor_b32 s0, exec_lo, s0
; %bb.228:
	v_bfe_u32 v5, v1, 16, 1
	s_delay_alu instid0(VALU_DEP_1)
	v_add3_u32 v8, v1, v5, 0x7fff
; %bb.229:
	s_and_not1_saveexec_b32 s0, s0
; %bb.230:
	v_and_b32_e32 v5, 0xffff, v1
	v_or_b32_e32 v6, 0x10000, v1
	s_delay_alu instid0(VALU_DEP_2) | instskip(NEXT) | instid1(VALU_DEP_2)
	v_cmp_eq_u32_e32 vcc_lo, 0, v5
	v_cndmask_b32_e32 v8, v6, v1, vcc_lo
; %bb.231:
	s_or_b32 exec_lo, exec_lo, s0
	s_mul_i32 s0, s10, 0x78
	s_mul_i32 s2, s8, s22
	s_ashr_i32 s1, s0, 31
	v_lshlrev_b32_e32 v0, 1, v0
	s_lshl_b64 s[0:1], s[0:1], 1
	v_and_b32_e32 v1, 0x7f800000, v2
	s_add_u32 s4, s24, s0
	s_addc_u32 s5, s25, s1
	s_ashr_i32 s3, s2, 31
	s_delay_alu instid0(SALU_CYCLE_1) | instskip(SKIP_4) | instid1(SALU_CYCLE_1)
	s_lshl_b64 s[0:1], s[2:3], 1
	s_mul_i32 s2, s20, 0x78
	s_add_u32 s4, s4, s0
	s_addc_u32 s5, s5, s1
	s_ashr_i32 s3, s2, 31
	s_lshl_b64 s[0:1], s[2:3], 1
	s_delay_alu instid0(SALU_CYCLE_1) | instskip(SKIP_2) | instid1(VALU_DEP_1)
	s_add_u32 s0, s4, s0
	s_addc_u32 s1, s5, s1
	v_add_co_u32 v5, s2, s0, v0
	v_add_co_ci_u32_e64 v6, null, s1, 0, s2
	global_store_d16_hi_b16 v0, v8, s[0:1]
	s_mov_b32 s0, exec_lo
                                        ; implicit-def: $vgpr0
	v_cmpx_ne_u32_e32 0x7f800000, v1
	s_xor_b32 s0, exec_lo, s0
; %bb.232:
	v_bfe_u32 v0, v2, 16, 1
	s_delay_alu instid0(VALU_DEP_1)
	v_add3_u32 v0, v2, v0, 0x7fff
; %bb.233:
	s_and_not1_saveexec_b32 s0, s0
; %bb.234:
	v_and_b32_e32 v0, 0xffff, v2
	v_or_b32_e32 v1, 0x10000, v2
	s_delay_alu instid0(VALU_DEP_2) | instskip(NEXT) | instid1(VALU_DEP_2)
	v_cmp_eq_u32_e32 vcc_lo, 0, v0
	v_cndmask_b32_e32 v0, v1, v2, vcc_lo
; %bb.235:
	s_or_b32 exec_lo, exec_lo, s0
	v_and_b32_e32 v1, 0x7f800000, v3
	s_mov_b32 s0, exec_lo
	global_store_d16_hi_b16 v[5:6], v0, off offset:64
                                        ; implicit-def: $vgpr0
	v_cmpx_ne_u32_e32 0x7f800000, v1
	s_xor_b32 s0, exec_lo, s0
; %bb.236:
	v_bfe_u32 v0, v3, 16, 1
	s_delay_alu instid0(VALU_DEP_1)
	v_add3_u32 v0, v3, v0, 0x7fff
; %bb.237:
	s_and_not1_saveexec_b32 s0, s0
; %bb.238:
	v_and_b32_e32 v0, 0xffff, v3
	v_or_b32_e32 v1, 0x10000, v3
	s_delay_alu instid0(VALU_DEP_2) | instskip(NEXT) | instid1(VALU_DEP_2)
	v_cmp_eq_u32_e32 vcc_lo, 0, v0
	v_cndmask_b32_e32 v0, v1, v3, vcc_lo
; %bb.239:
	s_or_b32 exec_lo, exec_lo, s0
	v_cmp_gt_u32_e32 vcc_lo, 0x78, v7
	global_store_d16_hi_b16 v[5:6], v0, off offset:128
	s_and_b32 exec_lo, exec_lo, vcc_lo
	s_cbranch_execz .LBB142_245
; %bb.240:
	v_and_b32_e32 v0, 0x7f800000, v4
	s_delay_alu instid0(VALU_DEP_1) | instskip(SKIP_1) | instid1(SALU_CYCLE_1)
	v_cmp_ne_u32_e32 vcc_lo, 0x7f800000, v0
                                        ; implicit-def: $vgpr0
	s_and_saveexec_b32 s0, vcc_lo
	s_xor_b32 s0, exec_lo, s0
; %bb.241:
	v_bfe_u32 v0, v4, 16, 1
	s_delay_alu instid0(VALU_DEP_1)
	v_add3_u32 v0, v4, v0, 0x7fff
                                        ; implicit-def: $vgpr1_vgpr2_vgpr3_vgpr4
; %bb.242:
	s_and_not1_saveexec_b32 s0, s0
; %bb.243:
	v_and_b32_e32 v0, 0xffff, v4
	v_or_b32_e32 v1, 0x10000, v4
	s_delay_alu instid0(VALU_DEP_2) | instskip(NEXT) | instid1(VALU_DEP_2)
	v_cmp_eq_u32_e32 vcc_lo, 0, v0
	v_cndmask_b32_e32 v0, v1, v4, vcc_lo
; %bb.244:
	s_or_b32 exec_lo, exec_lo, s0
	global_store_d16_hi_b16 v[5:6], v0, off offset:192
.LBB142_245:
	s_nop 0
	s_sendmsg sendmsg(MSG_DEALLOC_VGPRS)
	s_endpgm
	.section	.rodata,"a",@progbits
	.p2align	6, 0x0
	.amdhsa_kernel _ZN4vllm25paged_attention_v2_kernelI14__hip_bfloat16S1_Li120ELi8ELi128ELNS_18Fp8KVCacheDataTypeE0ELb1ELi512EEEvPfS3_PT_PKS4_PKT0_SA_ifPKiSC_iPKfiiiSE_SE_iiiii
		.amdhsa_group_segment_fixed_size 272
		.amdhsa_private_segment_fixed_size 0
		.amdhsa_kernarg_size 400
		.amdhsa_user_sgpr_count 13
		.amdhsa_user_sgpr_dispatch_ptr 0
		.amdhsa_user_sgpr_queue_ptr 0
		.amdhsa_user_sgpr_kernarg_segment_ptr 1
		.amdhsa_user_sgpr_dispatch_id 0
		.amdhsa_user_sgpr_private_segment_size 0
		.amdhsa_wavefront_size32 1
		.amdhsa_uses_dynamic_stack 0
		.amdhsa_enable_private_segment 0
		.amdhsa_system_sgpr_workgroup_id_x 1
		.amdhsa_system_sgpr_workgroup_id_y 1
		.amdhsa_system_sgpr_workgroup_id_z 1
		.amdhsa_system_sgpr_workgroup_info 0
		.amdhsa_system_vgpr_workitem_id 0
		.amdhsa_next_free_vgpr 68
		.amdhsa_next_free_sgpr 46
		.amdhsa_reserve_vcc 1
		.amdhsa_float_round_mode_32 0
		.amdhsa_float_round_mode_16_64 0
		.amdhsa_float_denorm_mode_32 3
		.amdhsa_float_denorm_mode_16_64 3
		.amdhsa_dx10_clamp 1
		.amdhsa_ieee_mode 1
		.amdhsa_fp16_overflow 0
		.amdhsa_workgroup_processor_mode 1
		.amdhsa_memory_ordered 1
		.amdhsa_forward_progress 0
		.amdhsa_shared_vgpr_count 0
		.amdhsa_exception_fp_ieee_invalid_op 0
		.amdhsa_exception_fp_denorm_src 0
		.amdhsa_exception_fp_ieee_div_zero 0
		.amdhsa_exception_fp_ieee_overflow 0
		.amdhsa_exception_fp_ieee_underflow 0
		.amdhsa_exception_fp_ieee_inexact 0
		.amdhsa_exception_int_div_zero 0
	.end_amdhsa_kernel
	.section	.text._ZN4vllm25paged_attention_v2_kernelI14__hip_bfloat16S1_Li120ELi8ELi128ELNS_18Fp8KVCacheDataTypeE0ELb1ELi512EEEvPfS3_PT_PKS4_PKT0_SA_ifPKiSC_iPKfiiiSE_SE_iiiii,"axG",@progbits,_ZN4vllm25paged_attention_v2_kernelI14__hip_bfloat16S1_Li120ELi8ELi128ELNS_18Fp8KVCacheDataTypeE0ELb1ELi512EEEvPfS3_PT_PKS4_PKT0_SA_ifPKiSC_iPKfiiiSE_SE_iiiii,comdat
.Lfunc_end142:
	.size	_ZN4vllm25paged_attention_v2_kernelI14__hip_bfloat16S1_Li120ELi8ELi128ELNS_18Fp8KVCacheDataTypeE0ELb1ELi512EEEvPfS3_PT_PKS4_PKT0_SA_ifPKiSC_iPKfiiiSE_SE_iiiii, .Lfunc_end142-_ZN4vllm25paged_attention_v2_kernelI14__hip_bfloat16S1_Li120ELi8ELi128ELNS_18Fp8KVCacheDataTypeE0ELb1ELi512EEEvPfS3_PT_PKS4_PKT0_SA_ifPKiSC_iPKfiiiSE_SE_iiiii
                                        ; -- End function
	.section	.AMDGPU.csdata,"",@progbits
; Kernel info:
; codeLenInByte = 11324
; NumSgprs: 48
; NumVgprs: 68
; ScratchSize: 0
; MemoryBound: 0
; FloatMode: 240
; IeeeMode: 1
; LDSByteSize: 272 bytes/workgroup (compile time only)
; SGPRBlocks: 5
; VGPRBlocks: 8
; NumSGPRsForWavesPerEU: 48
; NumVGPRsForWavesPerEU: 68
; Occupancy: 16
; WaveLimiterHint : 1
; COMPUTE_PGM_RSRC2:SCRATCH_EN: 0
; COMPUTE_PGM_RSRC2:USER_SGPR: 13
; COMPUTE_PGM_RSRC2:TRAP_HANDLER: 0
; COMPUTE_PGM_RSRC2:TGID_X_EN: 1
; COMPUTE_PGM_RSRC2:TGID_Y_EN: 1
; COMPUTE_PGM_RSRC2:TGID_Z_EN: 1
; COMPUTE_PGM_RSRC2:TIDIG_COMP_CNT: 0
	.section	.text._ZN4vllm32paged_attention_v2_reduce_kernelI14__hip_bfloat16Li120ELi128ELi512EEEvPT_PKfS5_PKS2_PKii,"axG",@progbits,_ZN4vllm32paged_attention_v2_reduce_kernelI14__hip_bfloat16Li120ELi128ELi512EEEvPT_PKfS5_PKS2_PKii,comdat
	.protected	_ZN4vllm32paged_attention_v2_reduce_kernelI14__hip_bfloat16Li120ELi128ELi512EEEvPT_PKfS5_PKS2_PKii ; -- Begin function _ZN4vllm32paged_attention_v2_reduce_kernelI14__hip_bfloat16Li120ELi128ELi512EEEvPT_PKfS5_PKS2_PKii
	.globl	_ZN4vllm32paged_attention_v2_reduce_kernelI14__hip_bfloat16Li120ELi128ELi512EEEvPT_PKfS5_PKS2_PKii
	.p2align	8
	.type	_ZN4vllm32paged_attention_v2_reduce_kernelI14__hip_bfloat16Li120ELi128ELi512EEEvPT_PKfS5_PKS2_PKii,@function
_ZN4vllm32paged_attention_v2_reduce_kernelI14__hip_bfloat16Li120ELi128ELi512EEEvPT_PKfS5_PKS2_PKii: ; @_ZN4vllm32paged_attention_v2_reduce_kernelI14__hip_bfloat16Li120ELi128ELi512EEEvPT_PKfS5_PKS2_PKii
; %bb.0:
	s_load_b128 s[4:7], s[0:1], 0x18
	s_add_u32 s8, s0, 48
	s_mov_b32 s10, s15
	s_addc_u32 s9, s1, 0
	s_ashr_i32 s11, s15, 31
	s_delay_alu instid0(SALU_CYCLE_1)
	s_lshl_b64 s[2:3], s[10:11], 2
	s_waitcnt lgkmcnt(0)
	s_add_u32 s2, s6, s2
	s_addc_u32 s3, s7, s3
	s_load_b32 s20, s[2:3], 0x0
	s_clause 0x2
	s_load_b64 s[6:7], s[0:1], 0x0
	s_load_b32 s11, s[0:1], 0x28
	s_load_b32 s15, s[0:1], 0x30
	s_waitcnt lgkmcnt(0)
	s_add_i32 s2, s20, -1
	s_delay_alu instid0(SALU_CYCLE_1)
	s_cmpk_gt_u32 s2, 0x1ff
	s_mov_b32 s2, -1
	s_cbranch_scc0 .LBB143_30
; %bb.1:
	s_load_b64 s[2:3], s[0:1], 0x8
	s_add_i32 s12, s20, 0x1ff
	s_mul_i32 s18, s15, s10
	s_ashr_i32 s13, s12, 31
	v_dual_mov_b32 v4, 0xff7fffff :: v_dual_lshlrev_b32 v3, 2, v0
	s_lshr_b32 s13, s13, 23
	s_mul_i32 s16, s14, s11
	s_add_i32 s12, s12, s13
	s_ashr_i32 s17, s16, 31
	s_ashr_i32 s19, s12, 9
	s_mul_i32 s12, s18, s11
	v_cmp_gt_i32_e32 vcc_lo, s19, v0
	s_ashr_i32 s13, s12, 31
	s_and_saveexec_b32 s21, vcc_lo
	s_cbranch_execz .LBB143_5
; %bb.2:
	s_load_b32 s28, s[8:9], 0xc
	s_load_b64 s[22:23], s[0:1], 0x10
	s_lshl_b64 s[24:25], s[12:13], 2
	s_lshl_b64 s[26:27], s[16:17], 2
	v_dual_mov_b32 v4, 0xff7fffff :: v_dual_add_nc_u32 v5, 32, v3
	v_mov_b32_e32 v6, v0
	s_waitcnt lgkmcnt(0)
	s_and_b32 s1, s28, 0xffff
	s_add_u32 s0, s24, s26
	s_addc_u32 s24, s25, s27
	s_add_u32 s0, s22, s0
	s_addc_u32 s22, s23, s24
	v_add_co_u32 v1, s0, s0, v3
	s_delay_alu instid0(VALU_DEP_1)
	v_add_co_ci_u32_e64 v2, null, s22, 0, s0
	s_mov_b32 s22, 0
	s_lshl_b32 s23, s1, 2
	.p2align	6
.LBB143_3:                              ; =>This Inner Loop Header: Depth=1
	global_load_b32 v7, v[1:2], off
	v_add_nc_u32_e32 v6, s1, v6
	v_max_f32_e32 v4, v4, v4
	v_add_co_u32 v1, s0, v1, s23
	s_delay_alu instid0(VALU_DEP_1) | instskip(NEXT) | instid1(VALU_DEP_4)
	v_add_co_ci_u32_e64 v2, s0, 0, v2, s0
	v_cmp_le_i32_e64 s0, s19, v6
	s_delay_alu instid0(VALU_DEP_1)
	s_or_b32 s22, s0, s22
	s_waitcnt vmcnt(0)
	v_max_f32_e32 v8, v7, v7
	ds_store_b32 v5, v7
	v_dual_max_f32 v4, v4, v8 :: v_dual_add_nc_u32 v5, s23, v5
	s_and_not1_b32 exec_lo, exec_lo, s22
	s_cbranch_execnz .LBB143_3
; %bb.4:
	s_or_b32 exec_lo, exec_lo, s22
.LBB143_5:
	s_delay_alu instid0(SALU_CYCLE_1)
	s_or_b32 exec_lo, exec_lo, s21
	v_mbcnt_lo_u32_b32 v1, -1, 0
	s_waitcnt lgkmcnt(0)
	s_barrier
	buffer_gl0_inv
	v_xor_b32_e32 v2, 16, v1
	v_xor_b32_e32 v5, 8, v1
	s_delay_alu instid0(VALU_DEP_2) | instskip(NEXT) | instid1(VALU_DEP_1)
	v_cmp_gt_i32_e64 s0, 32, v2
	v_cndmask_b32_e64 v2, v1, v2, s0
	s_delay_alu instid0(VALU_DEP_3) | instskip(NEXT) | instid1(VALU_DEP_2)
	v_cmp_gt_i32_e64 s0, 32, v5
	v_lshlrev_b32_e32 v6, 2, v2
	s_delay_alu instid0(VALU_DEP_2) | instskip(SKIP_3) | instid1(VALU_DEP_1)
	v_cndmask_b32_e64 v5, v1, v5, s0
	ds_bpermute_b32 v2, v6, v4
	v_dual_max_f32 v4, v4, v4 :: v_dual_lshlrev_b32 v7, 2, v5
	v_xor_b32_e32 v5, 4, v1
	v_cmp_gt_i32_e64 s0, 32, v5
	s_delay_alu instid0(VALU_DEP_1) | instskip(NEXT) | instid1(VALU_DEP_1)
	v_cndmask_b32_e64 v5, v1, v5, s0
	v_lshlrev_b32_e32 v8, 2, v5
	v_xor_b32_e32 v5, 2, v1
	s_waitcnt lgkmcnt(0)
	v_max_f32_e32 v2, v2, v2
	s_delay_alu instid0(VALU_DEP_2) | instskip(NEXT) | instid1(VALU_DEP_2)
	v_cmp_gt_i32_e64 s0, 32, v5
	v_max_f32_e32 v2, v4, v2
	s_delay_alu instid0(VALU_DEP_2) | instskip(SKIP_3) | instid1(VALU_DEP_1)
	v_cndmask_b32_e64 v5, v1, v5, s0
	ds_bpermute_b32 v4, v7, v2
	s_waitcnt lgkmcnt(0)
	v_max_f32_e32 v4, v4, v4
	v_max_f32_e32 v2, v2, v4
	ds_bpermute_b32 v4, v8, v2
	s_waitcnt lgkmcnt(0)
	v_dual_max_f32 v9, v4, v4 :: v_dual_lshlrev_b32 v4, 2, v5
	s_delay_alu instid0(VALU_DEP_1) | instskip(SKIP_3) | instid1(VALU_DEP_1)
	v_max_f32_e32 v2, v2, v9
	v_xor_b32_e32 v9, 1, v1
	ds_bpermute_b32 v5, v4, v2
	v_cmp_gt_i32_e64 s0, 32, v9
	v_cndmask_b32_e64 v1, v1, v9, s0
	v_lshrrev_b32_e32 v9, 5, v0
	s_delay_alu instid0(VALU_DEP_1) | instskip(SKIP_2) | instid1(VALU_DEP_1)
	v_lshlrev_b32_e32 v9, 2, v9
	s_waitcnt lgkmcnt(0)
	v_max_f32_e32 v5, v5, v5
	v_max_f32_e32 v2, v2, v5
	v_lshlrev_b32_e32 v5, 2, v1
	v_and_b32_e32 v1, 31, v0
	ds_bpermute_b32 v10, v5, v2
	v_cmp_eq_u32_e64 s0, 0, v1
	s_delay_alu instid0(VALU_DEP_1)
	s_and_saveexec_b32 s1, s0
	s_cbranch_execz .LBB143_7
; %bb.6:
	s_waitcnt lgkmcnt(0)
	v_max_f32_e32 v10, v10, v10
	v_max_f32_e32 v2, v2, v2
	s_delay_alu instid0(VALU_DEP_1)
	v_max_f32_e32 v2, v2, v10
	ds_store_b32 v9, v2
.LBB143_7:
	s_or_b32 exec_lo, exec_lo, s1
	v_cmp_gt_u32_e64 s1, 4, v1
	v_mov_b32_e32 v2, 0xff7fffff
	s_waitcnt lgkmcnt(0)
	v_lshlrev_b32_e32 v10, 2, v1
	s_barrier
	buffer_gl0_inv
	s_and_saveexec_b32 s21, s1
	s_cbranch_execz .LBB143_9
; %bb.8:
	ds_load_b32 v2, v10
.LBB143_9:
	s_or_b32 exec_lo, exec_lo, s21
	s_waitcnt lgkmcnt(0)
	ds_bpermute_b32 v1, v4, v2
	v_max_f32_e32 v2, v2, v2
	s_lshl_b32 s21, s19, 2
	s_waitcnt lgkmcnt(0)
	v_dual_mov_b32 v12, 0 :: v_dual_max_f32 v1, v1, v1
	s_delay_alu instid0(VALU_DEP_1) | instskip(SKIP_3) | instid1(VALU_DEP_1)
	v_max_f32_e32 v1, v2, v1
	ds_bpermute_b32 v2, v5, v1
	s_waitcnt lgkmcnt(0)
	v_max_f32_e32 v2, v2, v2
	v_max_f32_e32 v1, v1, v2
	ds_bpermute_b32 v11, v12, v1
	s_and_saveexec_b32 s22, vcc_lo
	s_cbranch_execz .LBB143_13
; %bb.10:
	s_load_b32 s23, s[8:9], 0xc
	s_lshl_b64 s[24:25], s[12:13], 2
	s_lshl_b64 s[26:27], s[16:17], 2
	v_dual_mov_b32 v12, 0 :: v_dual_add_nc_u32 v13, 32, v3
	s_waitcnt lgkmcnt(0)
	s_and_b32 s13, s23, 0xffff
	s_add_u32 s17, s24, s26
	s_addc_u32 s23, s25, s27
	s_add_u32 s2, s2, s17
	s_addc_u32 s3, s3, s23
	v_add_co_u32 v1, s2, s2, v3
	s_delay_alu instid0(VALU_DEP_1)
	v_add_co_ci_u32_e64 v2, null, s3, 0, s2
	v_mov_b32_e32 v3, v0
	s_mov_b32 s3, 0
	s_lshl_b32 s17, s13, 2
	s_set_inst_prefetch_distance 0x1
	.p2align	6
.LBB143_11:                             ; =>This Inner Loop Header: Depth=1
	global_load_b32 v14, v[1:2], off
	ds_load_b32 v15, v13
	v_add_nc_u32_e32 v3, s13, v3
	s_waitcnt lgkmcnt(0)
	v_sub_f32_e32 v15, v15, v11
	s_delay_alu instid0(VALU_DEP_1) | instskip(NEXT) | instid1(VALU_DEP_1)
	v_mul_f32_e32 v16, 0x3fb8aa3b, v15
	v_fma_f32 v17, 0x3fb8aa3b, v15, -v16
	v_rndne_f32_e32 v18, v16
	s_delay_alu instid0(VALU_DEP_1) | instskip(SKIP_1) | instid1(VALU_DEP_4)
	v_sub_f32_e32 v16, v16, v18
	v_cmp_ngt_f32_e32 vcc_lo, 0xc2ce8ed0, v15
	v_fmac_f32_e32 v17, 0x32a5705f, v15
	v_cmp_nlt_f32_e64 s2, 0x42b17218, v15
	s_delay_alu instid0(VALU_DEP_2) | instskip(SKIP_1) | instid1(VALU_DEP_2)
	v_add_f32_e32 v16, v16, v17
	v_cvt_i32_f32_e32 v17, v18
	v_exp_f32_e32 v16, v16
	s_waitcnt_depctr 0xfff
	v_ldexp_f32 v16, v16, v17
	s_delay_alu instid0(VALU_DEP_1) | instskip(SKIP_2) | instid1(VALU_DEP_3)
	v_dual_cndmask_b32 v16, 0, v16 :: v_dual_add_nc_u32 v17, s21, v13
	v_add_co_u32 v1, vcc_lo, v1, s17
	v_add_co_ci_u32_e32 v2, vcc_lo, 0, v2, vcc_lo
	v_cndmask_b32_e64 v15, 0x7f800000, v16, s2
	v_cmp_le_i32_e32 vcc_lo, s19, v3
	v_add_nc_u32_e32 v13, s17, v13
	s_or_b32 s3, vcc_lo, s3
	s_waitcnt vmcnt(0)
	v_mul_f32_e32 v16, v14, v15
	v_fmac_f32_e32 v12, v14, v15
	ds_store_b32 v17, v16
	s_and_not1_b32 exec_lo, exec_lo, s3
	s_cbranch_execnz .LBB143_11
; %bb.12:
	s_set_inst_prefetch_distance 0x2
	s_or_b32 exec_lo, exec_lo, s3
.LBB143_13:
	s_delay_alu instid0(SALU_CYCLE_1)
	s_or_b32 exec_lo, exec_lo, s22
	ds_bpermute_b32 v1, v6, v12
	s_waitcnt lgkmcnt(0)
	s_barrier
	buffer_gl0_inv
	v_add_f32_e32 v1, v12, v1
	ds_bpermute_b32 v2, v7, v1
	s_waitcnt lgkmcnt(0)
	v_add_f32_e32 v1, v1, v2
	ds_bpermute_b32 v2, v8, v1
	s_waitcnt lgkmcnt(0)
	;; [unrolled: 3-line block ×4, first 2 shown]
	v_add_f32_e32 v1, v1, v2
	s_and_saveexec_b32 s2, s0
	s_cbranch_execz .LBB143_15
; %bb.14:
	ds_store_b32 v9, v1 offset:16
.LBB143_15:
	s_or_b32 exec_lo, exec_lo, s2
	s_waitcnt lgkmcnt(0)
	s_barrier
	buffer_gl0_inv
	s_and_saveexec_b32 s0, s1
	s_cbranch_execz .LBB143_17
; %bb.16:
	ds_load_b32 v1, v10 offset:16
.LBB143_17:
	s_or_b32 exec_lo, exec_lo, s0
	s_waitcnt lgkmcnt(0)
	ds_bpermute_b32 v2, v4, v1
	s_mov_b32 s0, exec_lo
	s_waitcnt lgkmcnt(0)
	v_add_f32_e32 v1, v1, v2
	ds_bpermute_b32 v2, v5, v1
	s_waitcnt lgkmcnt(0)
	v_dual_add_f32 v1, v1, v2 :: v_dual_mov_b32 v2, 0
	ds_bpermute_b32 v2, v2, v1
	v_cmpx_gt_u32_e32 0x78, v0
	s_cbranch_execz .LBB143_29
; %bb.18:
	s_cmp_gt_i32 s20, 0
	s_mov_b32 s1, 0
	s_cbranch_scc1 .LBB143_20
; %bb.19:
	v_mov_b32_e32 v1, 0
	s_branch .LBB143_21
.LBB143_20:
	s_mov_b32 s1, -1
.LBB143_21:
	s_delay_alu instid0(SALU_CYCLE_1) | instskip(SKIP_1) | instid1(VALU_DEP_2)
	v_cndmask_b32_e64 v3, 0, 1, s1
	v_mov_b32_e32 v4, s1
	v_cmp_ne_u32_e32 vcc_lo, 1, v3
	s_cbranch_vccnz .LBB143_24
; %bb.22:
	s_waitcnt lgkmcnt(0)
	v_add_f32_e32 v4, 0x358637bd, v2
	s_mulk_i32 s12, 0x78
	s_mulk_i32 s16, 0x78
	s_ashr_i32 s13, s12, 31
	s_ashr_i32 s17, s16, 31
	v_div_scale_f32 v2, null, v4, v4, 1.0
	s_lshl_b64 s[12:13], s[12:13], 1
	s_lshl_b64 s[16:17], s[16:17], 1
	s_max_i32 s1, s19, 1
	s_delay_alu instid0(VALU_DEP_1)
	v_rcp_f32_e32 v3, v2
	s_add_i32 s2, s21, 32
	s_add_u32 s3, s12, s16
	s_addc_u32 s12, s13, s17
	s_add_u32 s3, s4, s3
	s_addc_u32 s12, s5, s12
	s_waitcnt_depctr 0xfff
	v_fma_f32 v1, -v2, v3, 1.0
	s_delay_alu instid0(VALU_DEP_1) | instskip(SKIP_1) | instid1(VALU_DEP_1)
	v_fmac_f32_e32 v3, v1, v3
	v_div_scale_f32 v5, vcc_lo, 1.0, v4, 1.0
	v_dual_mov_b32 v1, 0 :: v_dual_mul_f32 v6, v5, v3
	s_delay_alu instid0(VALU_DEP_1) | instskip(NEXT) | instid1(VALU_DEP_1)
	v_fma_f32 v7, -v2, v6, v5
	v_dual_fmac_f32 v6, v7, v3 :: v_dual_lshlrev_b32 v7, 1, v0
	s_delay_alu instid0(VALU_DEP_1) | instskip(NEXT) | instid1(VALU_DEP_1)
	v_fma_f32 v2, -v2, v6, v5
	v_div_fmas_f32 v5, v2, v3, v6
	s_delay_alu instid0(VALU_DEP_3) | instskip(NEXT) | instid1(VALU_DEP_1)
	v_add_co_u32 v2, s3, s3, v7
	v_add_co_ci_u32_e64 v3, null, s12, 0, s3
	s_delay_alu instid0(VALU_DEP_3)
	v_div_fixup_f32 v5, v5, v4, 1.0
	v_mov_b32_e32 v4, v1
.LBB143_23:                             ; =>This Inner Loop Header: Depth=1
	global_load_u16 v6, v[2:3], off
	v_mov_b32_e32 v7, s2
	v_add_co_u32 v2, vcc_lo, 0xf0, v2
	v_add_co_ci_u32_e32 v3, vcc_lo, 0, v3, vcc_lo
	s_add_i32 s1, s1, -1
	s_add_i32 s2, s2, 4
	s_cmp_eq_u32 s1, 0
	s_waitcnt vmcnt(0)
	v_lshlrev_b32_e32 v6, 16, v6
	ds_load_b32 v7, v7
	s_waitcnt lgkmcnt(0)
	v_mul_f32_e32 v6, v7, v6
	s_delay_alu instid0(VALU_DEP_1)
	v_fmac_f32_e32 v4, v5, v6
	s_cbranch_scc0 .LBB143_23
.LBB143_24:
	s_waitcnt lgkmcnt(0)
	s_delay_alu instid0(VALU_DEP_1) | instskip(NEXT) | instid1(VALU_DEP_1)
	v_and_b32_e32 v2, 0x7f800000, v4
	v_cmp_ne_u32_e32 vcc_lo, 0x7f800000, v2
                                        ; implicit-def: $vgpr2
	s_and_saveexec_b32 s1, vcc_lo
	s_delay_alu instid0(SALU_CYCLE_1)
	s_xor_b32 s1, exec_lo, s1
; %bb.25:
	v_bfe_u32 v2, v4, 16, 1
	s_delay_alu instid0(VALU_DEP_1)
	v_add3_u32 v2, v4, v2, 0x7fff
                                        ; implicit-def: $vgpr4
; %bb.26:
	s_and_not1_saveexec_b32 s1, s1
; %bb.27:
	v_and_b32_e32 v2, 0xffff, v4
	v_or_b32_e32 v3, 0x10000, v4
	s_delay_alu instid0(VALU_DEP_2) | instskip(NEXT) | instid1(VALU_DEP_2)
	v_cmp_eq_u32_e32 vcc_lo, 0, v2
	v_cndmask_b32_e32 v2, v3, v4, vcc_lo
; %bb.28:
	s_or_b32 exec_lo, exec_lo, s1
	s_mul_i32 s2, s18, 0x78
	s_mul_i32 s12, s14, 0x78
	s_ashr_i32 s3, s2, 31
	v_lshlrev_b64 v[3:4], 1, v[0:1]
	s_lshl_b64 s[2:3], s[2:3], 1
	s_delay_alu instid0(SALU_CYCLE_1) | instskip(SKIP_2) | instid1(SALU_CYCLE_1)
	s_add_u32 s1, s6, s2
	s_addc_u32 s16, s7, s3
	s_ashr_i32 s13, s12, 31
	s_lshl_b64 s[2:3], s[12:13], 1
	s_delay_alu instid0(SALU_CYCLE_1)
	s_add_u32 s1, s1, s2
	s_addc_u32 s2, s16, s3
	v_add_co_u32 v3, vcc_lo, s1, v3
	v_add_co_ci_u32_e32 v4, vcc_lo, s2, v4, vcc_lo
	global_store_d16_hi_b16 v[3:4], v2, off
.LBB143_29:
	s_or_b32 exec_lo, exec_lo, s0
	s_mov_b32 s2, 0
.LBB143_30:
	s_delay_alu instid0(SALU_CYCLE_1)
	s_and_b32 vcc_lo, exec_lo, s2
	s_cbranch_vccz .LBB143_39
; %bb.31:
	s_mov_b32 s0, exec_lo
	v_cmpx_gt_u32_e32 0x78, v0
	s_cbranch_execz .LBB143_39
; %bb.32:
	s_mul_i32 s0, s15, s10
	s_load_b32 s10, s[8:9], 0xc
	s_mulk_i32 s0, 0x78
	s_mul_i32 s12, s14, 0x78
	s_ashr_i32 s1, s0, 31
	s_mul_i32 s8, s12, s11
	s_lshl_b64 s[2:3], s[0:1], 1
	s_delay_alu instid0(SALU_CYCLE_1) | instskip(SKIP_4) | instid1(SALU_CYCLE_1)
	s_add_u32 s1, s6, s2
	s_addc_u32 s7, s7, s3
	s_ashr_i32 s13, s12, 31
	s_mul_i32 s6, s0, s11
	s_lshl_b64 s[2:3], s[12:13], 1
	s_add_u32 s1, s1, s2
	s_addc_u32 s2, s7, s3
	s_ashr_i32 s7, s6, 31
	s_delay_alu instid0(SALU_CYCLE_1) | instskip(NEXT) | instid1(SALU_CYCLE_1)
	s_lshl_b64 s[6:7], s[6:7], 1
	s_add_u32 s0, s4, s6
	s_addc_u32 s6, s5, s7
	s_ashr_i32 s9, s8, 31
	s_mov_b32 s7, 0
	s_lshl_b64 s[4:5], s[8:9], 1
	s_delay_alu instid0(SALU_CYCLE_1) | instskip(SKIP_3) | instid1(SALU_CYCLE_1)
	s_add_u32 s3, s0, s4
	s_addc_u32 s4, s6, s5
	s_waitcnt lgkmcnt(0)
	s_and_b32 s5, s10, 0xffff
	v_cvt_f32_u32_e32 v1, s5
	s_cmp_eq_u32 s5, 1
	v_add_nc_u32_e32 v3, s5, v0
	s_cselect_b32 s6, -1, 0
	s_sub_i32 s0, 0, s5
	v_rcp_iflag_f32_e32 v1, v1
	s_delay_alu instid0(VALU_DEP_1) | instskip(SKIP_3) | instid1(VALU_DEP_1)
	v_cmp_gt_u32_e32 vcc_lo, 0x78, v3
	v_max_u32_e32 v4, 0x78, v3
	s_waitcnt_depctr 0xfff
	v_mul_f32_e32 v1, 0x4f7ffffe, v1
	v_cvt_u32_f32_e32 v1, v1
	s_delay_alu instid0(VALU_DEP_1) | instskip(SKIP_1) | instid1(VALU_DEP_1)
	v_mul_lo_u32 v2, s0, v1
	v_add_co_ci_u32_e64 v3, s0, s5, v0, vcc_lo
	v_sub_nc_u32_e32 v3, v4, v3
	s_delay_alu instid0(VALU_DEP_3) | instskip(NEXT) | instid1(VALU_DEP_1)
	v_mul_hi_u32 v2, v1, v2
	v_add_nc_u32_e32 v1, v1, v2
	s_delay_alu instid0(VALU_DEP_1) | instskip(NEXT) | instid1(VALU_DEP_1)
	v_mul_hi_u32 v1, v3, v1
	v_mul_lo_u32 v2, v1, s5
	s_delay_alu instid0(VALU_DEP_1) | instskip(SKIP_1) | instid1(VALU_DEP_2)
	v_sub_nc_u32_e32 v2, v3, v2
	v_add_nc_u32_e32 v3, 1, v1
	v_subrev_nc_u32_e32 v4, s5, v2
	v_cmp_le_u32_e64 s0, s5, v2
	s_delay_alu instid0(VALU_DEP_1) | instskip(NEXT) | instid1(VALU_DEP_3)
	v_cndmask_b32_e64 v1, v1, v3, s0
	v_cndmask_b32_e64 v2, v2, v4, s0
	s_delay_alu instid0(VALU_DEP_2) | instskip(NEXT) | instid1(VALU_DEP_2)
	v_add_nc_u32_e32 v3, 1, v1
	v_cmp_le_u32_e64 s0, s5, v2
	s_delay_alu instid0(VALU_DEP_1) | instskip(SKIP_1) | instid1(VALU_DEP_1)
	v_cndmask_b32_e64 v1, v1, v3, s0
	s_mov_b32 s0, -1
	v_add_co_ci_u32_e32 v3, vcc_lo, 1, v1, vcc_lo
	s_delay_alu instid0(VALU_DEP_1) | instskip(SKIP_1) | instid1(SALU_CYCLE_1)
	v_cmp_lt_u32_e32 vcc_lo, 15, v3
	s_and_b32 s8, vcc_lo, s6
	s_and_saveexec_b32 s6, s8
	s_cbranch_execz .LBB143_36
; %bb.33:
	v_dual_mov_b32 v1, v0 :: v_dual_and_b32 v4, -16, v3
	s_delay_alu instid0(VALU_DEP_1)
	v_dual_mov_b32 v2, 0 :: v_dual_mov_b32 v5, v4
	.p2align	6
.LBB143_34:                             ; =>This Inner Loop Header: Depth=1
	s_delay_alu instid0(VALU_DEP_1) | instskip(NEXT) | instid1(VALU_DEP_2)
	v_lshlrev_b64 v[14:15], 1, v[1:2]
	v_add_nc_u32_e32 v5, -16, v5
	v_add_nc_u32_e32 v1, 16, v1
	s_delay_alu instid0(VALU_DEP_3) | instskip(NEXT) | instid1(VALU_DEP_4)
	v_add_co_u32 v10, vcc_lo, s3, v14
	v_add_co_ci_u32_e32 v11, vcc_lo, s4, v15, vcc_lo
	s_delay_alu instid0(VALU_DEP_4)
	v_cmp_eq_u32_e32 vcc_lo, 0, v5
	v_add_co_u32 v14, s0, s1, v14
	s_clause 0x1
	global_load_b128 v[6:9], v[10:11], off
	global_load_b128 v[10:13], v[10:11], off offset:16
	v_add_co_ci_u32_e64 v15, s0, s2, v15, s0
	s_or_b32 s7, vcc_lo, s7
	s_waitcnt vmcnt(1)
	global_store_b128 v[14:15], v[6:9], off
	s_waitcnt vmcnt(0)
	global_store_b128 v[14:15], v[10:13], off offset:16
	s_and_not1_b32 exec_lo, exec_lo, s7
	s_cbranch_execnz .LBB143_34
; %bb.35:
	s_or_b32 exec_lo, exec_lo, s7
	v_cmp_ne_u32_e32 vcc_lo, v3, v4
	v_add_nc_u32_e32 v0, v0, v4
	s_or_not1_b32 s0, vcc_lo, exec_lo
.LBB143_36:
	s_or_b32 exec_lo, exec_lo, s6
	s_delay_alu instid0(SALU_CYCLE_1)
	s_and_b32 exec_lo, exec_lo, s0
	s_cbranch_execz .LBB143_39
; %bb.37:
	v_mov_b32_e32 v1, 0
	s_mov_b32 s6, 0
	s_lshl_b32 s7, s5, 1
	s_delay_alu instid0(VALU_DEP_1)
	v_lshlrev_b64 v[1:2], 1, v[0:1]
	.p2align	6
.LBB143_38:                             ; =>This Inner Loop Header: Depth=1
	s_delay_alu instid0(VALU_DEP_1) | instskip(NEXT) | instid1(VALU_DEP_2)
	v_add_co_u32 v3, vcc_lo, s3, v1
	v_add_co_ci_u32_e32 v4, vcc_lo, s4, v2, vcc_lo
	v_add_nc_u32_e32 v0, s5, v0
	global_load_u16 v5, v[3:4], off
	v_add_co_u32 v3, vcc_lo, s1, v1
	v_add_co_ci_u32_e32 v4, vcc_lo, s2, v2, vcc_lo
	v_cmp_lt_u32_e32 vcc_lo, 0x77, v0
	v_add_co_u32 v1, s0, v1, s7
	s_delay_alu instid0(VALU_DEP_1)
	v_add_co_ci_u32_e64 v2, s0, 0, v2, s0
	s_or_b32 s6, vcc_lo, s6
	s_waitcnt vmcnt(0)
	global_store_b16 v[3:4], v5, off
	s_and_not1_b32 exec_lo, exec_lo, s6
	s_cbranch_execnz .LBB143_38
.LBB143_39:
	s_nop 0
	s_sendmsg sendmsg(MSG_DEALLOC_VGPRS)
	s_endpgm
	.section	.rodata,"a",@progbits
	.p2align	6, 0x0
	.amdhsa_kernel _ZN4vllm32paged_attention_v2_reduce_kernelI14__hip_bfloat16Li120ELi128ELi512EEEvPT_PKfS5_PKS2_PKii
		.amdhsa_group_segment_fixed_size 32
		.amdhsa_private_segment_fixed_size 0
		.amdhsa_kernarg_size 304
		.amdhsa_user_sgpr_count 14
		.amdhsa_user_sgpr_dispatch_ptr 0
		.amdhsa_user_sgpr_queue_ptr 0
		.amdhsa_user_sgpr_kernarg_segment_ptr 1
		.amdhsa_user_sgpr_dispatch_id 0
		.amdhsa_user_sgpr_private_segment_size 0
		.amdhsa_wavefront_size32 1
		.amdhsa_uses_dynamic_stack 0
		.amdhsa_enable_private_segment 0
		.amdhsa_system_sgpr_workgroup_id_x 1
		.amdhsa_system_sgpr_workgroup_id_y 1
		.amdhsa_system_sgpr_workgroup_id_z 0
		.amdhsa_system_sgpr_workgroup_info 0
		.amdhsa_system_vgpr_workitem_id 0
		.amdhsa_next_free_vgpr 19
		.amdhsa_next_free_sgpr 29
		.amdhsa_reserve_vcc 1
		.amdhsa_float_round_mode_32 0
		.amdhsa_float_round_mode_16_64 0
		.amdhsa_float_denorm_mode_32 3
		.amdhsa_float_denorm_mode_16_64 3
		.amdhsa_dx10_clamp 1
		.amdhsa_ieee_mode 1
		.amdhsa_fp16_overflow 0
		.amdhsa_workgroup_processor_mode 1
		.amdhsa_memory_ordered 1
		.amdhsa_forward_progress 0
		.amdhsa_shared_vgpr_count 0
		.amdhsa_exception_fp_ieee_invalid_op 0
		.amdhsa_exception_fp_denorm_src 0
		.amdhsa_exception_fp_ieee_div_zero 0
		.amdhsa_exception_fp_ieee_overflow 0
		.amdhsa_exception_fp_ieee_underflow 0
		.amdhsa_exception_fp_ieee_inexact 0
		.amdhsa_exception_int_div_zero 0
	.end_amdhsa_kernel
	.section	.text._ZN4vllm32paged_attention_v2_reduce_kernelI14__hip_bfloat16Li120ELi128ELi512EEEvPT_PKfS5_PKS2_PKii,"axG",@progbits,_ZN4vllm32paged_attention_v2_reduce_kernelI14__hip_bfloat16Li120ELi128ELi512EEEvPT_PKfS5_PKS2_PKii,comdat
.Lfunc_end143:
	.size	_ZN4vllm32paged_attention_v2_reduce_kernelI14__hip_bfloat16Li120ELi128ELi512EEEvPT_PKfS5_PKS2_PKii, .Lfunc_end143-_ZN4vllm32paged_attention_v2_reduce_kernelI14__hip_bfloat16Li120ELi128ELi512EEEvPT_PKfS5_PKS2_PKii
                                        ; -- End function
	.section	.AMDGPU.csdata,"",@progbits
; Kernel info:
; codeLenInByte = 2516
; NumSgprs: 31
; NumVgprs: 19
; ScratchSize: 0
; MemoryBound: 0
; FloatMode: 240
; IeeeMode: 1
; LDSByteSize: 32 bytes/workgroup (compile time only)
; SGPRBlocks: 3
; VGPRBlocks: 2
; NumSGPRsForWavesPerEU: 31
; NumVGPRsForWavesPerEU: 19
; Occupancy: 16
; WaveLimiterHint : 0
; COMPUTE_PGM_RSRC2:SCRATCH_EN: 0
; COMPUTE_PGM_RSRC2:USER_SGPR: 14
; COMPUTE_PGM_RSRC2:TRAP_HANDLER: 0
; COMPUTE_PGM_RSRC2:TGID_X_EN: 1
; COMPUTE_PGM_RSRC2:TGID_Y_EN: 1
; COMPUTE_PGM_RSRC2:TGID_Z_EN: 0
; COMPUTE_PGM_RSRC2:TIDIG_COMP_CNT: 0
	.section	.text._ZN4vllm25paged_attention_v2_kernelI14__hip_bfloat16S1_Li128ELi8ELi128ELNS_18Fp8KVCacheDataTypeE0ELb1ELi512EEEvPfS3_PT_PKS4_PKT0_SA_ifPKiSC_iPKfiiiSE_SE_iiiii,"axG",@progbits,_ZN4vllm25paged_attention_v2_kernelI14__hip_bfloat16S1_Li128ELi8ELi128ELNS_18Fp8KVCacheDataTypeE0ELb1ELi512EEEvPfS3_PT_PKS4_PKT0_SA_ifPKiSC_iPKfiiiSE_SE_iiiii,comdat
	.protected	_ZN4vllm25paged_attention_v2_kernelI14__hip_bfloat16S1_Li128ELi8ELi128ELNS_18Fp8KVCacheDataTypeE0ELb1ELi512EEEvPfS3_PT_PKS4_PKT0_SA_ifPKiSC_iPKfiiiSE_SE_iiiii ; -- Begin function _ZN4vllm25paged_attention_v2_kernelI14__hip_bfloat16S1_Li128ELi8ELi128ELNS_18Fp8KVCacheDataTypeE0ELb1ELi512EEEvPfS3_PT_PKS4_PKT0_SA_ifPKiSC_iPKfiiiSE_SE_iiiii
	.globl	_ZN4vllm25paged_attention_v2_kernelI14__hip_bfloat16S1_Li128ELi8ELi128ELNS_18Fp8KVCacheDataTypeE0ELb1ELi512EEEvPfS3_PT_PKS4_PKT0_SA_ifPKiSC_iPKfiiiSE_SE_iiiii
	.p2align	8
	.type	_ZN4vllm25paged_attention_v2_kernelI14__hip_bfloat16S1_Li128ELi8ELi128ELNS_18Fp8KVCacheDataTypeE0ELb1ELi512EEEvPfS3_PT_PKS4_PKT0_SA_ifPKiSC_iPKfiiiSE_SE_iiiii,@function
_ZN4vllm25paged_attention_v2_kernelI14__hip_bfloat16S1_Li128ELi8ELi128ELNS_18Fp8KVCacheDataTypeE0ELb1ELi512EEEvPfS3_PT_PKS4_PKT0_SA_ifPKiSC_iPKfiiiSE_SE_iiiii: ; @_ZN4vllm25paged_attention_v2_kernelI14__hip_bfloat16S1_Li128ELi8ELi128ELNS_18Fp8KVCacheDataTypeE0ELb1ELi512EEEvPfS3_PT_PKS4_PKT0_SA_ifPKiSC_iPKfiiiSE_SE_iiiii
; %bb.0:
	s_load_b64 s[2:3], s[0:1], 0x40
	s_mov_b32 s12, s15
	s_ashr_i32 s15, s14, 31
	s_delay_alu instid0(SALU_CYCLE_1)
	s_lshl_b64 s[4:5], s[14:15], 2
	s_waitcnt lgkmcnt(0)
	s_add_u32 s2, s2, s4
	s_addc_u32 s3, s3, s5
	s_lshl_b32 s38, s12, 9
	s_load_b32 s15, s[2:3], 0x0
	s_waitcnt lgkmcnt(0)
	s_cmp_ge_i32 s38, s15
	s_cbranch_scc1 .LBB144_236
; %bb.1:
	s_mov_b32 s24, s13
	s_clause 0x1
	s_load_b32 s13, s[0:1], 0x90
	s_load_b64 s[36:37], s[0:1], 0x30
	s_mov_b32 s41, 0
	s_waitcnt lgkmcnt(0)
	s_abs_i32 s5, s13
	s_abs_i32 s2, s36
	s_delay_alu instid0(SALU_CYCLE_1) | instskip(SKIP_1) | instid1(VALU_DEP_1)
	v_cvt_f32_u32_e32 v1, s2
	s_sub_i32 s4, 0, s2
	v_rcp_iflag_f32_e32 v1, v1
	s_waitcnt_depctr 0xfff
	v_mul_f32_e32 v1, 0x4f7ffffe, v1
	s_delay_alu instid0(VALU_DEP_1) | instskip(NEXT) | instid1(VALU_DEP_1)
	v_cvt_u32_f32_e32 v1, v1
	v_readfirstlane_b32 s3, v1
	s_delay_alu instid0(VALU_DEP_1) | instskip(NEXT) | instid1(SALU_CYCLE_1)
	s_mul_i32 s4, s4, s3
	s_mul_hi_u32 s4, s3, s4
	s_delay_alu instid0(SALU_CYCLE_1) | instskip(SKIP_4) | instid1(SALU_CYCLE_1)
	s_add_i32 s3, s3, s4
	s_xor_b32 s4, s13, s36
	s_mul_hi_u32 s3, s5, s3
	s_ashr_i32 s4, s4, 31
	s_mul_i32 s6, s3, s2
	s_sub_i32 s5, s5, s6
	s_add_i32 s6, s3, 1
	s_sub_i32 s7, s5, s2
	s_cmp_ge_u32 s5, s2
	s_cselect_b32 s3, s6, s3
	s_cselect_b32 s5, s7, s5
	s_add_i32 s6, s3, 1
	s_cmp_ge_u32 s5, s2
	s_cselect_b32 s2, s6, s3
	s_abs_i32 s17, s24
	s_xor_b32 s2, s2, s4
	s_delay_alu instid0(SALU_CYCLE_1) | instskip(SKIP_2) | instid1(SALU_CYCLE_1)
	s_sub_i32 s8, s2, s4
	s_load_b64 s[2:3], s[0:1], 0x50
	s_abs_i32 s16, s8
	v_cvt_f32_u32_e32 v1, s16
	s_sub_i32 s5, 0, s16
	s_delay_alu instid0(VALU_DEP_1) | instskip(SKIP_2) | instid1(VALU_DEP_1)
	v_rcp_iflag_f32_e32 v1, v1
	s_waitcnt_depctr 0xfff
	v_mul_f32_e32 v1, 0x4f7ffffe, v1
	v_cvt_u32_f32_e32 v1, v1
	s_delay_alu instid0(VALU_DEP_1) | instskip(NEXT) | instid1(VALU_DEP_1)
	v_readfirstlane_b32 s4, v1
	s_mul_i32 s5, s5, s4
	s_delay_alu instid0(SALU_CYCLE_1) | instskip(NEXT) | instid1(SALU_CYCLE_1)
	s_mul_hi_u32 s5, s4, s5
	s_add_i32 s4, s4, s5
	s_waitcnt lgkmcnt(0)
	s_cmp_eq_u64 s[2:3], 0
	s_mul_hi_u32 s18, s17, s4
	s_cbranch_scc1 .LBB144_3
; %bb.2:
	s_ashr_i32 s25, s24, 31
	s_delay_alu instid0(SALU_CYCLE_1) | instskip(NEXT) | instid1(SALU_CYCLE_1)
	s_lshl_b64 s[4:5], s[24:25], 2
	s_add_u32 s2, s2, s4
	s_addc_u32 s3, s3, s5
	s_load_b32 s41, s[2:3], 0x0
.LBB144_3:
	s_load_b128 s[4:7], s[0:1], 0x58
	v_and_b32_e32 v3, 3, v0
	v_cmp_gt_u32_e64 s2, 64, v0
	v_lshlrev_b32_e32 v14, 2, v0
	s_ashr_i32 s3, s24, 31
	s_waitcnt lgkmcnt(0)
	s_ashr_i32 s7, s8, 31
	s_lshl_b32 s20, s24, 7
	s_and_saveexec_b32 s8, s2
	s_cbranch_execz .LBB144_5
; %bb.4:
	s_load_b64 s[10:11], s[0:1], 0x18
	s_mul_i32 s22, s14, s4
	v_and_b32_e32 v2, 0x3fc, v0
	s_ashr_i32 s23, s22, 31
	s_delay_alu instid0(SALU_CYCLE_1) | instskip(NEXT) | instid1(VALU_DEP_1)
	s_lshl_b64 s[22:23], s[22:23], 1
	v_lshl_add_u32 v2, v3, 6, v2
	s_waitcnt lgkmcnt(0)
	s_add_u32 s4, s10, s22
	s_addc_u32 s9, s11, s23
	s_ashr_i32 s21, s20, 31
	s_delay_alu instid0(SALU_CYCLE_1) | instskip(NEXT) | instid1(SALU_CYCLE_1)
	s_lshl_b64 s[10:11], s[20:21], 1
	s_add_u32 s10, s4, s10
	s_addc_u32 s11, s9, s11
	global_load_b32 v1, v14, s[10:11]
	s_waitcnt vmcnt(0)
	ds_store_b32 v2, v1
.LBB144_5:
	s_or_b32 exec_lo, exec_lo, s8
	s_load_b128 s[8:11], s[0:1], 0x78
	s_mul_i32 s4, s18, s16
	s_xor_b32 s3, s3, s7
	s_sub_i32 s4, s17, s4
	s_add_i32 s7, s18, 1
	s_sub_i32 s17, s4, s16
	s_cmp_ge_u32 s4, s16
	s_waitcnt lgkmcnt(0)
	s_cselect_b32 s7, s7, s18
	s_cselect_b32 s4, s17, s4
	s_add_i32 s17, s7, 1
	s_cmp_ge_u32 s4, s16
	s_load_b32 s16, s[0:1], 0x88
	s_cselect_b32 s4, s17, s7
	s_add_i32 s17, s15, -1
	s_xor_b32 s4, s4, s3
	s_abs_i32 s7, s17
	s_sub_i32 s4, s4, s3
	s_mov_b32 s18, -1
	s_waitcnt lgkmcnt(0)
	s_barrier
	s_abs_i32 s21, s11
	buffer_gl0_inv
	v_cvt_f32_u32_e32 v1, s21
	s_sub_i32 s3, 0, s21
                                        ; implicit-def: $sgpr33
	s_delay_alu instid0(VALU_DEP_1) | instskip(SKIP_2) | instid1(VALU_DEP_1)
	v_rcp_iflag_f32_e32 v1, v1
	s_waitcnt_depctr 0xfff
	v_mul_f32_e32 v1, 0x4f7ffffe, v1
	v_cvt_u32_f32_e32 v1, v1
	s_delay_alu instid0(VALU_DEP_1) | instskip(NEXT) | instid1(VALU_DEP_1)
	v_readfirstlane_b32 s25, v1
	s_mul_i32 s3, s3, s25
	s_delay_alu instid0(SALU_CYCLE_1) | instskip(NEXT) | instid1(SALU_CYCLE_1)
	s_mul_hi_u32 s3, s25, s3
	s_add_i32 s25, s25, s3
	s_cmp_lt_i32 s16, 0
	s_mul_hi_u32 s3, s7, s25
	s_cbranch_scc0 .LBB144_7
; %bb.6:
	s_mul_i32 s18, s8, s36
	s_delay_alu instid0(SALU_CYCLE_1) | instskip(NEXT) | instid1(SALU_CYCLE_1)
	s_add_i32 s18, s4, s18
	s_mul_i32 s18, s18, s16
	s_delay_alu instid0(SALU_CYCLE_1)
	s_sub_i32 s33, 1, s18
	s_mov_b32 s18, 0
.LBB144_7:
	s_load_b64 s[26:27], s[0:1], 0x38
	s_ashr_i32 s28, s17, 31
	s_and_not1_b32 vcc_lo, exec_lo, s18
	s_ashr_i32 s11, s11, 31
	s_cbranch_vccnz .LBB144_9
; %bb.8:
	s_mul_i32 s8, s13, s8
	s_delay_alu instid0(SALU_CYCLE_1) | instskip(NEXT) | instid1(SALU_CYCLE_1)
	s_add_i32 s8, s8, s24
	s_mul_i32 s8, s8, s16
	s_delay_alu instid0(SALU_CYCLE_1)
	s_add_i32 s33, s8, 1
.LBB144_9:
	s_clause 0x4
	s_load_b32 s29, s[0:1], 0x48
	s_load_b64 s[30:31], s[0:1], 0x28
	s_load_b32 s8, s[0:1], 0x98
	s_load_b128 s[16:19], s[0:1], 0x0
	s_load_b64 s[22:23], s[0:1], 0x10
	s_xor_b32 s34, s28, s11
	s_mul_i32 s28, s3, s21
	s_add_i32 s35, s3, 1
	s_sub_i32 s7, s7, s28
	v_lshrrev_b32_e32 v15, 5, v0
	s_sub_i32 s36, s7, s21
	v_mov_b32_e32 v6, 0xff7fffff
	v_mbcnt_lo_u32_b32 v5, -1, 0
	s_delay_alu instid0(VALU_DEP_3) | instskip(SKIP_2) | instid1(SALU_CYCLE_1)
	v_lshl_add_u32 v16, v15, 3, s38
	s_waitcnt lgkmcnt(0)
	s_mul_i32 s28, s14, s29
	s_ashr_i32 s29, s28, 31
	s_cmp_ge_u32 s7, s21
	s_cselect_b32 s3, s35, s3
	s_cselect_b32 s7, s36, s7
	s_add_i32 s35, s3, 1
	s_cmp_ge_u32 s7, s21
	s_cselect_b32 s3, s35, s3
	s_add_i32 s35, s15, 7
	s_lshl_b32 s7, s12, 6
	s_ashr_i32 s36, s35, 31
	v_or_b32_e32 v1, s7, v15
	s_lshr_b32 s36, s36, 29
	s_delay_alu instid0(SALU_CYCLE_1)
	s_add_i32 s35, s35, s36
	s_add_i32 s36, s7, 64
	s_ashr_i32 s39, s35, 3
	s_xor_b32 s35, s3, s34
	s_min_i32 s36, s36, s39
	v_ashrrev_i32_e32 v2, 31, v1
	v_cmp_gt_i32_e64 s3, s36, v1
	s_sub_i32 s40, s35, s34
	s_mul_i32 s34, s4, s6
	s_delay_alu instid0(VALU_DEP_1)
	s_and_saveexec_b32 s6, s3
	s_cbranch_execz .LBB144_19
; %bb.10:
	s_load_b64 s[0:1], s[0:1], 0x20
	s_ashr_i32 s35, s34, 31
	v_bfe_u32 v7, v0, 2, 3
	s_lshl_b64 s[42:43], s[34:35], 1
	s_sub_i32 s35, s40, s9
	v_mov_b32_e32 v10, 0xff7fffff
	v_cmp_eq_u32_e32 vcc_lo, 0, v3
	v_lshlrev_b32_e32 v13, 2, v7
	v_subrev_nc_u32_e32 v19, s15, v7
	v_lshlrev_b32_e32 v22, 4, v7
	v_and_b32_e32 v18, 12, v14
	v_lshl_add_u32 v9, v15, 3, s38
	v_lshl_or_b32 v20, v15, 5, v13
	v_xor_b32_e32 v11, 2, v5
	v_xor_b32_e32 v12, 1, v5
	v_add_nc_u32_e32 v13, 1, v19
	s_waitcnt lgkmcnt(0)
	s_add_u32 s4, s0, s42
	s_addc_u32 s1, s1, s43
	s_abs_i32 s42, s10
	s_lshl_b64 s[44:45], s[28:29], 2
	v_cvt_f32_u32_e32 v4, s42
	s_sub_i32 s43, 0, s42
	v_cmp_neq_f32_e64 s0, s41, 0
	s_delay_alu instid0(VALU_DEP_2)
	v_rcp_iflag_f32_e32 v6, v4
	v_lshlrev_b32_e32 v8, 6, v3
	v_lshlrev_b64 v[3:4], 2, v[1:2]
	s_waitcnt_depctr 0xfff
	v_mul_f32_e32 v17, 0x4f7ffffe, v6
	v_mov_b32_e32 v6, 0xff7fffff
	s_delay_alu instid0(VALU_DEP_2) | instskip(SKIP_2) | instid1(VALU_DEP_1)
	v_cvt_u32_f32_e32 v21, v17
	v_add_nc_u32_e32 v17, 0x120, v20
	v_add_co_u32 v20, s4, s4, v22
	v_add_co_ci_u32_e64 v22, null, s1, 0, s4
	s_delay_alu instid0(VALU_DEP_4) | instskip(SKIP_3) | instid1(VALU_DEP_1)
	v_mul_lo_u32 v19, s43, v21
	s_add_u32 s1, s26, s44
	s_addc_u32 s4, s27, s45
	v_add_co_u32 v3, s1, s1, v3
	v_add_co_ci_u32_e64 v4, s1, s4, v4, s1
	v_add_co_u32 v18, s1, v20, v18
	s_delay_alu instid0(VALU_DEP_4) | instskip(SKIP_3) | instid1(VALU_DEP_2)
	v_mul_hi_u32 v23, v21, v19
	v_add_co_ci_u32_e64 v19, s1, 0, v22, s1
	s_mov_b32 s43, 0
	s_mov_b32 s44, s5
	v_add_nc_u32_e32 v20, v21, v23
	v_mov_b32_e32 v21, v1
	s_branch .LBB144_13
.LBB144_11:                             ;   in Loop: Header=BB144_13 Depth=1
	s_or_b32 exec_lo, exec_lo, s45
.LBB144_12:                             ;   in Loop: Header=BB144_13 Depth=1
	s_delay_alu instid0(SALU_CYCLE_1) | instskip(SKIP_2) | instid1(VALU_DEP_1)
	s_or_b32 exec_lo, exec_lo, s4
	v_add_nc_u32_e32 v21, 4, v21
	v_add_co_u32 v3, s4, v3, 16
	v_add_co_ci_u32_e64 v4, s4, 0, v4, s4
	s_delay_alu instid0(VALU_DEP_3) | instskip(SKIP_2) | instid1(VALU_DEP_3)
	v_cmp_le_i32_e64 s1, s36, v21
	v_add_nc_u32_e32 v9, 32, v9
	v_add_nc_u32_e32 v17, 0x80, v17
	s_or_b32 s43, s1, s43
	s_delay_alu instid0(SALU_CYCLE_1)
	s_and_not1_b32 exec_lo, exec_lo, s43
	s_cbranch_execz .LBB144_18
.LBB144_13:                             ; =>This Inner Loop Header: Depth=1
	v_sub_nc_u32_e32 v22, 0, v9
	s_delay_alu instid0(VALU_DEP_1) | instskip(SKIP_1) | instid1(VALU_DEP_1)
	v_max_i32_e32 v22, v9, v22
	s_waitcnt lgkmcnt(0)
	v_mul_hi_u32 v23, v22, s25
	s_delay_alu instid0(VALU_DEP_1) | instskip(NEXT) | instid1(VALU_DEP_1)
	v_mul_lo_u32 v24, v23, s21
	v_sub_nc_u32_e32 v22, v22, v24
	v_add_nc_u32_e32 v24, 1, v23
	s_delay_alu instid0(VALU_DEP_2) | instskip(SKIP_1) | instid1(VALU_DEP_1)
	v_subrev_nc_u32_e32 v25, s21, v22
	v_cmp_le_u32_e64 s1, s21, v22
	v_cndmask_b32_e64 v23, v23, v24, s1
	s_delay_alu instid0(VALU_DEP_3) | instskip(SKIP_1) | instid1(VALU_DEP_3)
	v_cndmask_b32_e64 v22, v22, v25, s1
	v_ashrrev_i32_e32 v24, 31, v9
	v_add_nc_u32_e32 v25, 1, v23
	s_delay_alu instid0(VALU_DEP_3) | instskip(NEXT) | instid1(VALU_DEP_3)
	v_cmp_le_u32_e64 s1, s21, v22
	v_xor_b32_e32 v24, s11, v24
	s_delay_alu instid0(VALU_DEP_2) | instskip(NEXT) | instid1(VALU_DEP_1)
	v_cndmask_b32_e64 v22, v23, v25, s1
	v_xor_b32_e32 v22, v22, v24
	s_delay_alu instid0(VALU_DEP_1) | instskip(NEXT) | instid1(VALU_DEP_1)
	v_sub_nc_u32_e32 v22, v22, v24
	v_add_nc_u32_e32 v23, s33, v22
	v_cmp_ge_i32_e64 s4, s35, v22
	s_delay_alu instid0(VALU_DEP_2) | instskip(NEXT) | instid1(VALU_DEP_1)
	v_sub_nc_u32_e32 v24, 0, v23
	v_max_i32_e32 v24, v23, v24
	v_ashrrev_i32_e32 v23, 31, v23
	s_delay_alu instid0(VALU_DEP_2) | instskip(NEXT) | instid1(VALU_DEP_1)
	v_mul_hi_u32 v25, v24, v20
	v_mul_lo_u32 v25, v25, s42
	s_delay_alu instid0(VALU_DEP_1) | instskip(NEXT) | instid1(VALU_DEP_1)
	v_sub_nc_u32_e32 v24, v24, v25
	v_subrev_nc_u32_e32 v25, s42, v24
	v_cmp_le_u32_e64 s1, s42, v24
	s_delay_alu instid0(VALU_DEP_1) | instskip(NEXT) | instid1(VALU_DEP_1)
	v_cndmask_b32_e64 v24, v24, v25, s1
	v_subrev_nc_u32_e32 v25, s42, v24
	v_cmp_le_u32_e64 s1, s42, v24
	s_delay_alu instid0(VALU_DEP_1) | instskip(NEXT) | instid1(VALU_DEP_1)
	v_cndmask_b32_e64 v24, v24, v25, s1
	v_xor_b32_e32 v24, v24, v23
	s_delay_alu instid0(VALU_DEP_1) | instskip(NEXT) | instid1(VALU_DEP_1)
	v_sub_nc_u32_e32 v23, v24, v23
	v_cmp_ne_u32_e64 s1, 0, v23
	s_delay_alu instid0(VALU_DEP_1) | instskip(NEXT) | instid1(SALU_CYCLE_1)
	s_and_b32 s1, s1, s4
	s_and_b32 s45, vcc_lo, s1
	s_delay_alu instid0(SALU_CYCLE_1)
	s_and_saveexec_b32 s4, s45
	s_cbranch_execz .LBB144_15
; %bb.14:                               ;   in Loop: Header=BB144_13 Depth=1
	ds_store_b32 v17, v10
.LBB144_15:                             ;   in Loop: Header=BB144_13 Depth=1
	s_or_b32 exec_lo, exec_lo, s4
	s_xor_b32 s1, s1, -1
	s_delay_alu instid0(SALU_CYCLE_1)
	s_and_saveexec_b32 s4, s1
	s_cbranch_execz .LBB144_12
; %bb.16:                               ;   in Loop: Header=BB144_13 Depth=1
	global_load_b32 v24, v[3:4], off
	s_waitcnt vmcnt(0)
	v_mad_i64_i32 v[22:23], null, v24, s44, 0
	s_delay_alu instid0(VALU_DEP_1) | instskip(NEXT) | instid1(VALU_DEP_1)
	v_lshlrev_b64 v[22:23], 1, v[22:23]
	v_add_co_u32 v22, s1, v18, v22
	s_delay_alu instid0(VALU_DEP_1)
	v_add_co_ci_u32_e64 v23, s1, v19, v23, s1
	v_cmp_gt_i32_e64 s1, 32, v11
	s_clause 0xf
	global_load_b32 v38, v[22:23], off offset:128
	global_load_b32 v39, v[22:23], off
	global_load_b32 v40, v[22:23], off offset:256
	global_load_b32 v41, v[22:23], off offset:384
	;; [unrolled: 1-line block ×14, first 2 shown]
	ds_load_b128 v[22:25], v8
	ds_load_b128 v[26:29], v8 offset:16
	ds_load_b128 v[30:33], v8 offset:32
	;; [unrolled: 1-line block ×3, first 2 shown]
	s_waitcnt lgkmcnt(3)
	v_lshlrev_b32_e32 v55, 16, v23
	s_waitcnt lgkmcnt(2)
	v_lshlrev_b32_e32 v59, 16, v27
	v_and_b32_e32 v23, 0xffff0000, v23
	v_lshlrev_b32_e32 v57, 16, v25
	v_lshlrev_b32_e32 v61, 16, v29
	s_waitcnt lgkmcnt(1)
	v_lshlrev_b32_e32 v65, 16, v33
	v_lshlrev_b32_e32 v63, 16, v31
	s_waitcnt lgkmcnt(0)
	v_lshlrev_b32_e32 v69, 16, v37
	v_lshlrev_b32_e32 v67, 16, v35
	s_waitcnt vmcnt(15)
	v_lshlrev_b32_e32 v70, 16, v38
	v_and_b32_e32 v38, 0xffff0000, v38
	v_lshlrev_b32_e32 v56, 16, v24
	v_lshlrev_b32_e32 v60, 16, v28
	s_waitcnt vmcnt(14)
	v_lshlrev_b32_e32 v71, 16, v39
	v_and_b32_e32 v39, 0xffff0000, v39
	v_mul_f32_e32 v23, v23, v38
	v_lshlrev_b32_e32 v54, 16, v22
	v_and_b32_e32 v22, 0xffff0000, v22
	s_waitcnt vmcnt(13)
	v_dual_mul_f32 v55, v55, v70 :: v_dual_lshlrev_b32 v38, 16, v40
	s_delay_alu instid0(VALU_DEP_2) | instskip(NEXT) | instid1(VALU_DEP_2)
	v_dual_fmac_f32 v23, v22, v39 :: v_dual_lshlrev_b32 v58, 16, v26
	v_dual_fmac_f32 v55, v54, v71 :: v_dual_lshlrev_b32 v64, 16, v32
	v_and_b32_e32 v22, 0xffff0000, v25
	s_waitcnt vmcnt(12)
	v_lshlrev_b32_e32 v25, 16, v41
	v_and_b32_e32 v39, 0xffff0000, v41
	v_fmac_f32_e32 v55, v56, v38
	v_lshlrev_b32_e32 v66, 16, v34
	s_waitcnt vmcnt(11)
	v_and_b32_e32 v38, 0xffff0000, v42
	s_delay_alu instid0(VALU_DEP_3) | instskip(SKIP_4) | instid1(VALU_DEP_3)
	v_dual_fmac_f32 v55, v57, v25 :: v_dual_and_b32 v40, 0xffff0000, v40
	v_and_b32_e32 v24, 0xffff0000, v24
	v_lshlrev_b32_e32 v62, 16, v30
	s_waitcnt vmcnt(10)
	v_lshlrev_b32_e32 v25, 16, v43
	v_dual_fmac_f32 v23, v24, v40 :: v_dual_and_b32 v24, 0xffff0000, v26
	v_lshlrev_b32_e32 v26, 16, v42
	s_waitcnt vmcnt(9)
	s_delay_alu instid0(VALU_DEP_1) | instskip(NEXT) | instid1(VALU_DEP_1)
	v_dual_fmac_f32 v55, v58, v26 :: v_dual_lshlrev_b32 v26, 16, v44
	v_fmac_f32_e32 v55, v59, v25
	s_waitcnt vmcnt(8)
	v_lshlrev_b32_e32 v25, 16, v45
	s_delay_alu instid0(VALU_DEP_2) | instskip(SKIP_1) | instid1(VALU_DEP_1)
	v_fmac_f32_e32 v55, v60, v26
	s_waitcnt vmcnt(7)
	v_dual_fmac_f32 v55, v61, v25 :: v_dual_lshlrev_b32 v26, 16, v46
	s_waitcnt vmcnt(6)
	v_lshlrev_b32_e32 v25, 16, v47
	s_delay_alu instid0(VALU_DEP_2)
	v_dual_fmac_f32 v55, v62, v26 :: v_dual_lshlrev_b32 v68, 16, v36
	v_fmac_f32_e32 v23, v22, v39
	v_and_b32_e32 v22, 0xffff0000, v27
	v_and_b32_e32 v27, 0xffff0000, v43
	s_waitcnt vmcnt(5)
	v_dual_fmac_f32 v55, v63, v25 :: v_dual_lshlrev_b32 v26, 16, v48
	v_dual_fmac_f32 v23, v24, v38 :: v_dual_and_b32 v24, 0xffff0000, v28
	v_and_b32_e32 v28, 0xffff0000, v44
	s_waitcnt vmcnt(4)
	v_lshlrev_b32_e32 v25, 16, v49
	v_fmac_f32_e32 v55, v64, v26
	v_dual_fmac_f32 v23, v22, v27 :: v_dual_and_b32 v22, 0xffff0000, v29
	v_and_b32_e32 v27, 0xffff0000, v45
	s_waitcnt vmcnt(3)
	s_delay_alu instid0(VALU_DEP_3) | instskip(NEXT) | instid1(VALU_DEP_3)
	v_dual_fmac_f32 v55, v65, v25 :: v_dual_lshlrev_b32 v26, 16, v50
	v_dual_fmac_f32 v23, v24, v28 :: v_dual_and_b32 v24, 0xffff0000, v30
	s_waitcnt vmcnt(2)
	v_lshlrev_b32_e32 v25, 16, v51
	s_delay_alu instid0(VALU_DEP_3) | instskip(NEXT) | instid1(VALU_DEP_3)
	v_fmac_f32_e32 v55, v66, v26
	v_dual_fmac_f32 v23, v22, v27 :: v_dual_and_b32 v28, 0xffff0000, v46
	v_and_b32_e32 v22, 0xffff0000, v31
	v_and_b32_e32 v27, 0xffff0000, v47
	s_waitcnt vmcnt(1)
	v_dual_fmac_f32 v55, v67, v25 :: v_dual_lshlrev_b32 v26, 16, v52
	v_fmac_f32_e32 v23, v24, v28
	v_and_b32_e32 v24, 0xffff0000, v32
	v_and_b32_e32 v28, 0xffff0000, v48
	s_waitcnt vmcnt(0)
	v_lshlrev_b32_e32 v25, 16, v53
	v_fmac_f32_e32 v55, v68, v26
	v_dual_fmac_f32 v23, v22, v27 :: v_dual_and_b32 v22, 0xffff0000, v33
	v_and_b32_e32 v27, 0xffff0000, v49
	s_delay_alu instid0(VALU_DEP_3) | instskip(NEXT) | instid1(VALU_DEP_3)
	v_fmac_f32_e32 v55, v69, v25
	v_dual_fmac_f32 v23, v24, v28 :: v_dual_and_b32 v24, 0xffff0000, v34
	s_delay_alu instid0(VALU_DEP_1) | instskip(SKIP_2) | instid1(VALU_DEP_3)
	v_dual_fmac_f32 v23, v22, v27 :: v_dual_and_b32 v28, 0xffff0000, v50
	v_and_b32_e32 v22, 0xffff0000, v35
	v_and_b32_e32 v27, 0xffff0000, v51
	v_fmac_f32_e32 v23, v24, v28
	v_and_b32_e32 v24, 0xffff0000, v36
	s_delay_alu instid0(VALU_DEP_2) | instskip(SKIP_2) | instid1(VALU_DEP_3)
	v_dual_fmac_f32 v23, v22, v27 :: v_dual_and_b32 v28, 0xffff0000, v52
	v_and_b32_e32 v22, 0xffff0000, v37
	v_and_b32_e32 v27, 0xffff0000, v53
	v_fmac_f32_e32 v23, v24, v28
	v_cndmask_b32_e64 v24, v5, v11, s1
	v_cmp_gt_i32_e64 s1, 32, v12
	s_delay_alu instid0(VALU_DEP_2) | instskip(NEXT) | instid1(VALU_DEP_2)
	v_dual_fmac_f32 v23, v22, v27 :: v_dual_lshlrev_b32 v22, 2, v24
	v_cndmask_b32_e64 v24, v5, v12, s1
	s_delay_alu instid0(VALU_DEP_1)
	v_dual_add_f32 v23, v55, v23 :: v_dual_lshlrev_b32 v24, 2, v24
	ds_bpermute_b32 v22, v22, v23
	s_waitcnt lgkmcnt(0)
	v_add_f32_e32 v22, v23, v22
	ds_bpermute_b32 v23, v24, v22
	s_and_saveexec_b32 s45, vcc_lo
	s_cbranch_execz .LBB144_11
; %bb.17:                               ;   in Loop: Header=BB144_13 Depth=1
	s_waitcnt lgkmcnt(0)
	v_add_f32_e32 v22, v22, v23
	v_add_nc_u32_e32 v24, v13, v9
	s_delay_alu instid0(VALU_DEP_1) | instskip(NEXT) | instid1(VALU_DEP_1)
	v_cvt_f32_i32_e32 v24, v24
	v_mul_f32_e32 v24, s41, v24
	s_delay_alu instid0(VALU_DEP_1) | instskip(SKIP_1) | instid1(VALU_DEP_2)
	v_cndmask_b32_e64 v23, 0, v24, s0
	v_max_f32_e32 v24, v6, v6
	v_dual_fmac_f32 v23, s37, v22 :: v_dual_add_nc_u32 v22, v7, v9
	s_delay_alu instid0(VALU_DEP_1) | instskip(NEXT) | instid1(VALU_DEP_2)
	v_max_f32_e32 v24, v24, v23
	v_cmp_gt_i32_e64 s1, s15, v22
	s_delay_alu instid0(VALU_DEP_1) | instskip(NEXT) | instid1(VALU_DEP_3)
	v_cndmask_b32_e64 v22, 0, v23, s1
	v_cndmask_b32_e64 v6, v6, v24, s1
	ds_store_b32 v17, v22
	s_branch .LBB144_11
.LBB144_18:
	s_or_b32 exec_lo, exec_lo, s43
.LBB144_19:
	s_delay_alu instid0(SALU_CYCLE_1) | instskip(SKIP_3) | instid1(VALU_DEP_3)
	s_or_b32 exec_lo, exec_lo, s6
	v_xor_b32_e32 v3, 16, v5
	v_xor_b32_e32 v7, 8, v5
	v_dual_max_f32 v8, v6, v6 :: v_dual_and_b32 v17, 31, v0
	v_cmp_gt_i32_e32 vcc_lo, 32, v3
	v_cndmask_b32_e32 v3, v5, v3, vcc_lo
	s_delay_alu instid0(VALU_DEP_4) | instskip(NEXT) | instid1(VALU_DEP_2)
	v_cmp_gt_i32_e32 vcc_lo, 32, v7
	v_lshlrev_b32_e32 v4, 2, v3
	ds_bpermute_b32 v3, v4, v6
	v_cndmask_b32_e32 v6, v5, v7, vcc_lo
	s_waitcnt lgkmcnt(0)
	v_max_f32_e32 v3, v3, v3
	s_delay_alu instid0(VALU_DEP_1) | instskip(SKIP_1) | instid1(VALU_DEP_1)
	v_max_f32_e32 v3, v8, v3
	v_xor_b32_e32 v8, 4, v5
	v_cmp_gt_i32_e32 vcc_lo, 32, v8
	v_cndmask_b32_e32 v8, v5, v8, vcc_lo
	v_cmp_eq_u32_e32 vcc_lo, 0, v17
	s_delay_alu instid0(VALU_DEP_2) | instskip(SKIP_4) | instid1(VALU_DEP_1)
	v_lshlrev_b32_e32 v9, 2, v8
	v_lshlrev_b32_e32 v6, 2, v6
	ds_bpermute_b32 v7, v6, v3
	s_waitcnt lgkmcnt(0)
	v_max_f32_e32 v7, v7, v7
	v_max_f32_e32 v3, v3, v7
	v_lshlrev_b32_e32 v7, 2, v15
	ds_bpermute_b32 v8, v9, v3
	s_and_saveexec_b32 s0, vcc_lo
	s_cbranch_execz .LBB144_21
; %bb.20:
	s_waitcnt lgkmcnt(0)
	v_dual_max_f32 v8, v8, v8 :: v_dual_max_f32 v3, v3, v3
	s_delay_alu instid0(VALU_DEP_1)
	v_max_f32_e32 v3, v3, v8
	ds_store_b32 v7, v3 offset:256
.LBB144_21:
	s_or_b32 exec_lo, exec_lo, s0
	v_cmp_gt_u32_e64 s0, 4, v17
	s_waitcnt lgkmcnt(0)
	v_dual_mov_b32 v3, 0xff7fffff :: v_dual_lshlrev_b32 v8, 2, v17
	s_barrier
	buffer_gl0_inv
	s_and_saveexec_b32 s1, s0
	s_cbranch_execz .LBB144_23
; %bb.22:
	ds_load_b32 v3, v8 offset:256
.LBB144_23:
	s_or_b32 exec_lo, exec_lo, s1
	v_xor_b32_e32 v10, 2, v5
	v_xor_b32_e32 v12, 1, v5
	s_delay_alu instid0(VALU_DEP_2) | instskip(NEXT) | instid1(VALU_DEP_1)
	v_cmp_gt_i32_e64 s1, 32, v10
	v_cndmask_b32_e64 v10, v5, v10, s1
	s_delay_alu instid0(VALU_DEP_3) | instskip(NEXT) | instid1(VALU_DEP_2)
	v_cmp_gt_i32_e64 s1, 32, v12
	v_lshlrev_b32_e32 v10, 2, v10
	s_delay_alu instid0(VALU_DEP_2) | instskip(SKIP_1) | instid1(SALU_CYCLE_1)
	v_cndmask_b32_e64 v5, v5, v12, s1
	s_sub_i32 s1, s36, s7
	s_lshl_b32 s1, s1, 3
	s_waitcnt lgkmcnt(0)
	ds_bpermute_b32 v11, v10, v3
	v_max_f32_e32 v3, v3, v3
	s_add_i32 s1, s1, s38
	s_delay_alu instid0(SALU_CYCLE_1) | instskip(NEXT) | instid1(SALU_CYCLE_1)
	s_min_i32 s1, s1, s15
	s_sub_i32 s6, s1, s38
	s_delay_alu instid0(SALU_CYCLE_1) | instskip(SKIP_2) | instid1(VALU_DEP_1)
	v_cmp_gt_i32_e64 s1, s6, v0
	s_waitcnt lgkmcnt(0)
	v_dual_max_f32 v12, v11, v11 :: v_dual_lshlrev_b32 v11, 2, v5
	v_dual_max_f32 v3, v3, v12 :: v_dual_mov_b32 v12, 0
	ds_bpermute_b32 v5, v11, v3
	s_waitcnt lgkmcnt(0)
	v_max_f32_e32 v5, v5, v5
	s_delay_alu instid0(VALU_DEP_1)
	v_max_f32_e32 v3, v3, v5
	v_lshl_add_u32 v5, v0, 2, 0x120
	ds_bpermute_b32 v3, v12, v3
	s_and_saveexec_b32 s7, s1
	s_cbranch_execz .LBB144_27
; %bb.24:
	v_lshl_add_u32 v13, v0, 2, 0x120
	v_mov_b32_e32 v12, 0
	v_mov_b32_e32 v18, v0
	s_mov_b32 s35, 0
	.p2align	6
.LBB144_25:                             ; =>This Inner Loop Header: Depth=1
	ds_load_b32 v19, v13
	v_add_nc_u32_e32 v18, 0x80, v18
	s_delay_alu instid0(VALU_DEP_1) | instskip(NEXT) | instid1(VALU_DEP_1)
	v_cmp_le_i32_e64 s4, s6, v18
	s_or_b32 s35, s4, s35
	s_waitcnt lgkmcnt(0)
	v_sub_f32_e32 v19, v19, v3
	s_delay_alu instid0(VALU_DEP_1) | instskip(NEXT) | instid1(VALU_DEP_1)
	v_mul_f32_e32 v19, 0x3fb8aa3b, v19
	v_exp_f32_e32 v19, v19
	ds_store_b32 v13, v19
	v_dual_add_f32 v12, v12, v19 :: v_dual_add_nc_u32 v13, 0x200, v13
	s_and_not1_b32 exec_lo, exec_lo, s35
	s_cbranch_execnz .LBB144_25
; %bb.26:
	s_or_b32 exec_lo, exec_lo, s35
.LBB144_27:
	s_delay_alu instid0(SALU_CYCLE_1)
	s_or_b32 exec_lo, exec_lo, s7
	ds_bpermute_b32 v4, v4, v12
	s_waitcnt lgkmcnt(0)
	v_add_f32_e32 v4, v12, v4
	ds_bpermute_b32 v6, v6, v4
	s_waitcnt lgkmcnt(0)
	v_add_f32_e32 v4, v4, v6
	;; [unrolled: 3-line block ×5, first 2 shown]
	s_and_saveexec_b32 s4, vcc_lo
	s_cbranch_execz .LBB144_29
; %bb.28:
	ds_store_b32 v7, v4 offset:272
.LBB144_29:
	s_or_b32 exec_lo, exec_lo, s4
	s_waitcnt lgkmcnt(0)
	s_barrier
	buffer_gl0_inv
	s_and_saveexec_b32 s4, s0
	s_cbranch_execz .LBB144_31
; %bb.30:
	ds_load_b32 v4, v8 offset:272
.LBB144_31:
	s_or_b32 exec_lo, exec_lo, s4
	s_waitcnt lgkmcnt(0)
	ds_bpermute_b32 v6, v10, v4
	s_waitcnt lgkmcnt(0)
	v_add_f32_e32 v4, v4, v6
	ds_bpermute_b32 v6, v11, v4
	s_waitcnt lgkmcnt(0)
	v_add_f32_e32 v4, v4, v6
	v_mov_b32_e32 v6, 0
	ds_bpermute_b32 v4, v6, v4
	s_and_saveexec_b32 s0, s1
	s_cbranch_execz .LBB144_34
; %bb.32:
	s_waitcnt lgkmcnt(0)
	v_add_f32_e32 v6, 0x358637bd, v4
	s_mov_b32 s1, 0
	s_delay_alu instid0(VALU_DEP_1) | instskip(SKIP_1) | instid1(VALU_DEP_2)
	v_div_scale_f32 v7, null, v6, v6, 1.0
	v_div_scale_f32 v10, vcc_lo, 1.0, v6, 1.0
	v_rcp_f32_e32 v8, v7
	s_waitcnt_depctr 0xfff
	v_fma_f32 v9, -v7, v8, 1.0
	s_delay_alu instid0(VALU_DEP_1) | instskip(NEXT) | instid1(VALU_DEP_1)
	v_fmac_f32_e32 v8, v9, v8
	v_mul_f32_e32 v9, v10, v8
	s_delay_alu instid0(VALU_DEP_1) | instskip(NEXT) | instid1(VALU_DEP_1)
	v_fma_f32 v11, -v7, v9, v10
	v_fmac_f32_e32 v9, v11, v8
	s_delay_alu instid0(VALU_DEP_1) | instskip(NEXT) | instid1(VALU_DEP_1)
	v_fma_f32 v7, -v7, v9, v10
	v_div_fmas_f32 v7, v7, v8, v9
	s_delay_alu instid0(VALU_DEP_1)
	v_div_fixup_f32 v6, v7, v6, 1.0
	v_mov_b32_e32 v7, v0
.LBB144_33:                             ; =>This Inner Loop Header: Depth=1
	ds_load_b32 v8, v5
	s_waitcnt lgkmcnt(0)
	v_dual_mul_f32 v8, v6, v8 :: v_dual_add_nc_u32 v7, 0x80, v7
	s_delay_alu instid0(VALU_DEP_1) | instskip(SKIP_3) | instid1(SALU_CYCLE_1)
	v_cmp_le_i32_e32 vcc_lo, s6, v7
	ds_store_b32 v5, v8
	v_add_nc_u32_e32 v5, 0x200, v5
	s_or_b32 s1, vcc_lo, s1
	s_and_not1_b32 exec_lo, exec_lo, s1
	s_cbranch_execnz .LBB144_33
.LBB144_34:
	s_or_b32 exec_lo, exec_lo, s0
	s_mul_i32 s0, s8, s14
	s_waitcnt lgkmcnt(0)
	s_mul_i32 s6, s0, s13
	s_mov_b32 s0, exec_lo
	s_barrier
	buffer_gl0_inv
	v_cmpx_eq_u32_e32 0, v0
	s_cbranch_execz .LBB144_36
; %bb.35:
	s_ashr_i32 s7, s6, 31
	s_mul_i32 s44, s8, s24
	s_lshl_b64 s[42:43], s[6:7], 2
	v_mov_b32_e32 v5, 0
	s_add_u32 s1, s18, s42
	s_addc_u32 s4, s19, s43
	s_ashr_i32 s45, s44, 31
	s_delay_alu instid0(SALU_CYCLE_1) | instskip(NEXT) | instid1(SALU_CYCLE_1)
	s_lshl_b64 s[18:19], s[44:45], 2
	s_add_u32 s1, s1, s18
	s_addc_u32 s4, s4, s19
	s_ashr_i32 s13, s12, 31
	s_delay_alu instid0(SALU_CYCLE_1) | instskip(NEXT) | instid1(SALU_CYCLE_1)
	s_lshl_b64 s[44:45], s[12:13], 2
	s_add_u32 s46, s1, s44
	s_addc_u32 s47, s4, s45
	s_add_u32 s1, s16, s42
	s_addc_u32 s4, s17, s43
	;; [unrolled: 2-line block ×4, first 2 shown]
	s_clause 0x1
	global_store_b32 v5, v3, s[46:47]
	global_store_b32 v5, v4, s[16:17]
.LBB144_36:
	s_or_b32 exec_lo, exec_lo, s0
	v_dual_mov_b32 v3, 0 :: v_dual_mov_b32 v18, 0
	v_dual_mov_b32 v19, 0 :: v_dual_mov_b32 v20, 0
	s_mov_b32 s4, 0
	s_and_saveexec_b32 s1, s3
	s_cbranch_execz .LBB144_210
; %bb.37:
	s_ashr_i32 s35, s34, 31
	s_sub_i32 s3, s40, s9
	s_lshl_b64 s[16:17], s[34:35], 1
	v_lshlrev_b32_e32 v6, 4, v17
	s_add_u32 s0, s30, s16
	s_addc_u32 s13, s31, s17
	s_abs_i32 s7, s10
	s_lshl_b64 s[16:17], s[28:29], 2
	v_cvt_f32_u32_e32 v3, s7
	s_sub_i32 s9, 0, s7
	v_add_co_u32 v21, s0, s0, v6
	s_delay_alu instid0(VALU_DEP_1) | instskip(NEXT) | instid1(VALU_DEP_3)
	v_add_co_ci_u32_e64 v22, null, s13, 0, s0
	v_rcp_iflag_f32_e32 v3, v3
	s_waitcnt_depctr 0xfff
	v_mul_f32_e32 v3, 0x4f7ffffe, v3
	s_delay_alu instid0(VALU_DEP_1) | instskip(SKIP_2) | instid1(VALU_DEP_3)
	v_cvt_u32_f32_e32 v5, v3
	v_lshlrev_b64 v[3:4], 2, v[1:2]
	v_lshl_add_u32 v2, v15, 5, 0x120
	v_mul_lo_u32 v7, s9, v5
	s_add_i32 s9, s39, -1
	s_add_u32 s0, s26, s16
	s_addc_u32 s10, s27, s17
	v_add_co_u32 v12, vcc_lo, s0, v3
	v_add_co_ci_u32_e32 v13, vcc_lo, s10, v4, vcc_lo
	s_delay_alu instid0(VALU_DEP_3) | instskip(NEXT) | instid1(VALU_DEP_1)
	v_mul_hi_u32 v7, v5, v7
	v_dual_mov_b32 v20, 0 :: v_dual_add_nc_u32 v23, v5, v7
	s_delay_alu instid0(VALU_DEP_1)
	v_mov_b32_e32 v19, v20
	v_mov_b32_e32 v18, v20
	;; [unrolled: 1-line block ×3, first 2 shown]
	s_branch .LBB144_40
.LBB144_38:                             ;   in Loop: Header=BB144_40 Depth=1
	s_or_b32 exec_lo, exec_lo, s0
	v_and_b32_e32 v30, 0xffff0000, v30
	v_and_b32_e32 v8, 0xffff0000, v8
	;; [unrolled: 1-line block ×7, first 2 shown]
	v_dual_add_f32 v4, v4, v8 :: v_dual_and_b32 v27, 0xffff0000, v27
	v_dual_add_f32 v5, v5, v30 :: v_dual_and_b32 v34, 0xffff0000, v53
	v_and_b32_e32 v32, 0xffff0000, v56
	v_and_b32_e32 v39, 0xffff0000, v47
	;; [unrolled: 1-line block ×3, first 2 shown]
	s_delay_alu instid0(VALU_DEP_4) | instskip(SKIP_4) | instid1(VALU_DEP_4)
	v_dual_add_f32 v33, v34, v33 :: v_dual_and_b32 v24, 0xffff0000, v24
	v_and_b32_e32 v34, 0xffff0000, v48
	v_dual_add_f32 v4, v4, v5 :: v_dual_and_b32 v11, 0xffff0000, v11
	v_and_b32_e32 v10, 0xffff0000, v10
	v_and_b32_e32 v25, 0xffff0000, v25
	v_dual_add_f32 v34, v39, v34 :: v_dual_and_b32 v37, 0xffff0000, v57
	v_dual_add_f32 v32, v35, v32 :: v_dual_and_b32 v35, 0xffff0000, v46
	s_delay_alu instid0(VALU_DEP_4) | instskip(NEXT) | instid1(VALU_DEP_4)
	v_add_f32_e32 v10, v10, v11
	v_dual_add_f32 v11, v24, v25 :: v_dual_and_b32 v26, 0xffff0000, v26
	v_and_b32_e32 v24, 0xffff0000, v31
	v_and_b32_e32 v6, 0xffff0000, v6
	v_dual_add_f32 v32, v33, v32 :: v_dual_and_b32 v33, 0xffff0000, v50
	v_dual_add_f32 v35, v38, v35 :: v_dual_and_b32 v38, 0xffff0000, v49
	s_delay_alu instid0(VALU_DEP_3) | instskip(SKIP_1) | instid1(VALU_DEP_3)
	v_dual_add_f32 v5, v6, v24 :: v_dual_and_b32 v36, 0xffff0000, v58
	v_add_f32_e32 v8, v10, v11
	v_dual_add_f32 v34, v35, v34 :: v_dual_add_f32 v33, v38, v33
	v_add_f32_e32 v10, v26, v27
	s_delay_alu instid0(VALU_DEP_4) | instskip(SKIP_2) | instid1(VALU_DEP_4)
	v_add_f32_e32 v36, v37, v36
	v_and_b32_e32 v37, 0xffff0000, v60
	v_and_b32_e32 v29, 0xffff0000, v29
	v_dual_add_f32 v33, v34, v33 :: v_dual_add_f32 v8, v8, v10
	s_delay_alu instid0(VALU_DEP_4) | instskip(NEXT) | instid1(VALU_DEP_4)
	v_add_f32_e32 v32, v32, v36
	v_add_f32_e32 v35, v40, v37
	v_and_b32_e32 v37, 0xffff0000, v52
	v_and_b32_e32 v7, 0xffff0000, v7
	v_and_b32_e32 v6, 0xffff0000, v9
	v_and_b32_e32 v36, 0xffff0000, v51
	s_delay_alu instid0(VALU_DEP_2) | instskip(NEXT) | instid1(VALU_DEP_2)
	v_dual_add_f32 v4, v4, v5 :: v_dual_add_f32 v5, v7, v6
	v_add_f32_e32 v9, v36, v37
	v_add_f32_e32 v6, v32, v35
	s_delay_alu instid0(VALU_DEP_3) | instskip(NEXT) | instid1(VALU_DEP_3)
	v_add_f32_e32 v4, v4, v5
	v_dual_add_f32 v7, v33, v9 :: v_dual_and_b32 v28, 0xffff0000, v28
	s_delay_alu instid0(VALU_DEP_2) | instskip(NEXT) | instid1(VALU_DEP_2)
	v_dual_add_f32 v18, v18, v6 :: v_dual_add_f32 v3, v3, v4
	v_dual_add_f32 v19, v19, v7 :: v_dual_add_f32 v10, v28, v29
	s_delay_alu instid0(VALU_DEP_1) | instskip(NEXT) | instid1(VALU_DEP_1)
	v_add_f32_e32 v8, v8, v10
	v_add_f32_e32 v20, v20, v8
.LBB144_39:                             ;   in Loop: Header=BB144_40 Depth=1
	s_or_b32 exec_lo, exec_lo, s10
	v_add_nc_u32_e32 v1, 4, v1
	v_add_co_u32 v12, s0, v12, 16
	s_delay_alu instid0(VALU_DEP_1) | instskip(NEXT) | instid1(VALU_DEP_3)
	v_add_co_ci_u32_e64 v13, s0, 0, v13, s0
	v_cmp_le_i32_e32 vcc_lo, s36, v1
	v_add_nc_u32_e32 v16, 32, v16
	v_add_nc_u32_e32 v2, 0x80, v2
	s_or_b32 s4, vcc_lo, s4
	s_delay_alu instid0(SALU_CYCLE_1)
	s_and_not1_b32 exec_lo, exec_lo, s4
	s_cbranch_execz .LBB144_209
.LBB144_40:                             ; =>This Inner Loop Header: Depth=1
	v_sub_nc_u32_e32 v4, 0, v16
	s_delay_alu instid0(VALU_DEP_1) | instskip(NEXT) | instid1(VALU_DEP_1)
	v_max_i32_e32 v4, v16, v4
	v_mul_hi_u32 v5, v4, s25
	s_delay_alu instid0(VALU_DEP_1) | instskip(NEXT) | instid1(VALU_DEP_1)
	v_mul_lo_u32 v6, v5, s21
	v_sub_nc_u32_e32 v4, v4, v6
	v_add_nc_u32_e32 v6, 1, v5
	s_delay_alu instid0(VALU_DEP_2) | instskip(SKIP_1) | instid1(VALU_DEP_2)
	v_subrev_nc_u32_e32 v7, s21, v4
	v_cmp_le_u32_e32 vcc_lo, s21, v4
	v_dual_cndmask_b32 v5, v5, v6 :: v_dual_cndmask_b32 v4, v4, v7
	v_ashrrev_i32_e32 v6, 31, v16
	s_delay_alu instid0(VALU_DEP_2) | instskip(NEXT) | instid1(VALU_DEP_3)
	v_add_nc_u32_e32 v7, 1, v5
	v_cmp_le_u32_e32 vcc_lo, s21, v4
	s_delay_alu instid0(VALU_DEP_3) | instskip(NEXT) | instid1(VALU_DEP_3)
	v_xor_b32_e32 v6, s11, v6
	v_cndmask_b32_e32 v4, v5, v7, vcc_lo
	s_delay_alu instid0(VALU_DEP_1) | instskip(NEXT) | instid1(VALU_DEP_1)
	v_xor_b32_e32 v4, v4, v6
	v_sub_nc_u32_e32 v4, v4, v6
	s_delay_alu instid0(VALU_DEP_1) | instskip(SKIP_1) | instid1(VALU_DEP_2)
	v_add_nc_u32_e32 v5, s33, v4
	v_cmp_lt_i32_e64 s0, s3, v4
	v_sub_nc_u32_e32 v6, 0, v5
	s_delay_alu instid0(VALU_DEP_1) | instskip(NEXT) | instid1(VALU_DEP_1)
	v_max_i32_e32 v6, v5, v6
	v_mul_hi_u32 v7, v6, v23
	s_delay_alu instid0(VALU_DEP_1) | instskip(NEXT) | instid1(VALU_DEP_1)
	v_mul_lo_u32 v7, v7, s7
	v_sub_nc_u32_e32 v6, v6, v7
	s_delay_alu instid0(VALU_DEP_1) | instskip(SKIP_1) | instid1(VALU_DEP_2)
	v_subrev_nc_u32_e32 v7, s7, v6
	v_cmp_le_u32_e32 vcc_lo, s7, v6
	v_cndmask_b32_e32 v6, v6, v7, vcc_lo
	v_ashrrev_i32_e32 v5, 31, v5
	s_delay_alu instid0(VALU_DEP_2) | instskip(SKIP_1) | instid1(VALU_DEP_2)
	v_subrev_nc_u32_e32 v7, s7, v6
	v_cmp_le_u32_e32 vcc_lo, s7, v6
	v_cndmask_b32_e32 v6, v6, v7, vcc_lo
	s_delay_alu instid0(VALU_DEP_1) | instskip(NEXT) | instid1(VALU_DEP_1)
	v_xor_b32_e32 v6, v6, v5
	v_sub_nc_u32_e32 v5, v6, v5
	s_delay_alu instid0(VALU_DEP_1) | instskip(SKIP_1) | instid1(SALU_CYCLE_1)
	v_cmp_eq_u32_e32 vcc_lo, 0, v5
	s_or_b32 s0, vcc_lo, s0
	s_and_saveexec_b32 s10, s0
	s_cbranch_execz .LBB144_39
; %bb.41:                               ;   in Loop: Header=BB144_40 Depth=1
	global_load_b32 v30, v[12:13], off
	ds_load_2addr_b64 v[8:11], v2 offset1:1
	ds_load_2addr_b64 v[4:7], v2 offset0:2 offset1:3
	s_mov_b32 s0, exec_lo
                                        ; implicit-def: $vgpr37
	s_waitcnt lgkmcnt(1)
	v_and_b32_e32 v24, 0x7f800000, v8
	s_delay_alu instid0(VALU_DEP_1)
	v_cmpx_ne_u32_e32 0x7f800000, v24
	s_xor_b32 s0, exec_lo, s0
; %bb.42:                               ;   in Loop: Header=BB144_40 Depth=1
	v_bfe_u32 v24, v8, 16, 1
	s_delay_alu instid0(VALU_DEP_1)
	v_add3_u32 v37, v8, v24, 0x7fff
; %bb.43:                               ;   in Loop: Header=BB144_40 Depth=1
	s_and_not1_saveexec_b32 s0, s0
; %bb.44:                               ;   in Loop: Header=BB144_40 Depth=1
	v_and_b32_e32 v24, 0xffff, v8
	v_or_b32_e32 v25, 0x10000, v8
	s_delay_alu instid0(VALU_DEP_2) | instskip(NEXT) | instid1(VALU_DEP_2)
	v_cmp_eq_u32_e32 vcc_lo, 0, v24
	v_cndmask_b32_e32 v37, v25, v8, vcc_lo
; %bb.45:                               ;   in Loop: Header=BB144_40 Depth=1
	s_or_b32 exec_lo, exec_lo, s0
	v_and_b32_e32 v8, 0x7f800000, v9
	s_mov_b32 s0, exec_lo
                                        ; implicit-def: $vgpr38
	s_delay_alu instid0(VALU_DEP_1)
	v_cmpx_ne_u32_e32 0x7f800000, v8
	s_xor_b32 s0, exec_lo, s0
; %bb.46:                               ;   in Loop: Header=BB144_40 Depth=1
	v_bfe_u32 v8, v9, 16, 1
	s_delay_alu instid0(VALU_DEP_1)
	v_add3_u32 v38, v9, v8, 0x7fff
; %bb.47:                               ;   in Loop: Header=BB144_40 Depth=1
	s_and_not1_saveexec_b32 s0, s0
; %bb.48:                               ;   in Loop: Header=BB144_40 Depth=1
	v_and_b32_e32 v8, 0xffff, v9
	v_or_b32_e32 v24, 0x10000, v9
	s_delay_alu instid0(VALU_DEP_2) | instskip(NEXT) | instid1(VALU_DEP_2)
	v_cmp_eq_u32_e32 vcc_lo, 0, v8
	v_cndmask_b32_e32 v38, v24, v9, vcc_lo
; %bb.49:                               ;   in Loop: Header=BB144_40 Depth=1
	s_or_b32 exec_lo, exec_lo, s0
	v_and_b32_e32 v8, 0x7f800000, v10
	s_mov_b32 s0, exec_lo
                                        ; implicit-def: $vgpr24
	s_delay_alu instid0(VALU_DEP_1)
	v_cmpx_ne_u32_e32 0x7f800000, v8
	s_xor_b32 s0, exec_lo, s0
; %bb.50:                               ;   in Loop: Header=BB144_40 Depth=1
	v_bfe_u32 v8, v10, 16, 1
	s_delay_alu instid0(VALU_DEP_1)
	v_add3_u32 v24, v10, v8, 0x7fff
; %bb.51:                               ;   in Loop: Header=BB144_40 Depth=1
	s_and_not1_saveexec_b32 s0, s0
; %bb.52:                               ;   in Loop: Header=BB144_40 Depth=1
	v_and_b32_e32 v8, 0xffff, v10
	v_or_b32_e32 v9, 0x10000, v10
	s_delay_alu instid0(VALU_DEP_2) | instskip(NEXT) | instid1(VALU_DEP_2)
	v_cmp_eq_u32_e32 vcc_lo, 0, v8
	v_cndmask_b32_e32 v24, v9, v10, vcc_lo
; %bb.53:                               ;   in Loop: Header=BB144_40 Depth=1
	s_or_b32 exec_lo, exec_lo, s0
	v_and_b32_e32 v8, 0x7f800000, v11
	s_mov_b32 s0, exec_lo
                                        ; implicit-def: $vgpr25
	s_delay_alu instid0(VALU_DEP_1)
	v_cmpx_ne_u32_e32 0x7f800000, v8
	s_xor_b32 s0, exec_lo, s0
; %bb.54:                               ;   in Loop: Header=BB144_40 Depth=1
	v_bfe_u32 v8, v11, 16, 1
	s_delay_alu instid0(VALU_DEP_1)
	v_add3_u32 v25, v11, v8, 0x7fff
                                        ; implicit-def: $vgpr8_vgpr9_vgpr10_vgpr11
; %bb.55:                               ;   in Loop: Header=BB144_40 Depth=1
	s_and_not1_saveexec_b32 s0, s0
; %bb.56:                               ;   in Loop: Header=BB144_40 Depth=1
	v_and_b32_e32 v8, 0xffff, v11
	v_or_b32_e32 v9, 0x10000, v11
	s_delay_alu instid0(VALU_DEP_2) | instskip(NEXT) | instid1(VALU_DEP_2)
	v_cmp_eq_u32_e32 vcc_lo, 0, v8
	v_cndmask_b32_e32 v25, v9, v11, vcc_lo
; %bb.57:                               ;   in Loop: Header=BB144_40 Depth=1
	s_or_b32 exec_lo, exec_lo, s0
	s_waitcnt lgkmcnt(0)
	v_and_b32_e32 v8, 0x7f800000, v4
	s_mov_b32 s0, exec_lo
                                        ; implicit-def: $vgpr26
	s_delay_alu instid0(VALU_DEP_1)
	v_cmpx_ne_u32_e32 0x7f800000, v8
	s_xor_b32 s0, exec_lo, s0
; %bb.58:                               ;   in Loop: Header=BB144_40 Depth=1
	v_bfe_u32 v8, v4, 16, 1
	s_delay_alu instid0(VALU_DEP_1)
	v_add3_u32 v26, v4, v8, 0x7fff
; %bb.59:                               ;   in Loop: Header=BB144_40 Depth=1
	s_and_not1_saveexec_b32 s0, s0
; %bb.60:                               ;   in Loop: Header=BB144_40 Depth=1
	v_and_b32_e32 v8, 0xffff, v4
	v_or_b32_e32 v9, 0x10000, v4
	s_delay_alu instid0(VALU_DEP_2) | instskip(NEXT) | instid1(VALU_DEP_2)
	v_cmp_eq_u32_e32 vcc_lo, 0, v8
	v_cndmask_b32_e32 v26, v9, v4, vcc_lo
; %bb.61:                               ;   in Loop: Header=BB144_40 Depth=1
	s_or_b32 exec_lo, exec_lo, s0
	v_and_b32_e32 v4, 0x7f800000, v5
	s_mov_b32 s0, exec_lo
                                        ; implicit-def: $vgpr27
	s_delay_alu instid0(VALU_DEP_1)
	v_cmpx_ne_u32_e32 0x7f800000, v4
	s_xor_b32 s0, exec_lo, s0
; %bb.62:                               ;   in Loop: Header=BB144_40 Depth=1
	v_bfe_u32 v4, v5, 16, 1
	s_delay_alu instid0(VALU_DEP_1)
	v_add3_u32 v27, v5, v4, 0x7fff
; %bb.63:                               ;   in Loop: Header=BB144_40 Depth=1
	s_and_not1_saveexec_b32 s0, s0
; %bb.64:                               ;   in Loop: Header=BB144_40 Depth=1
	v_and_b32_e32 v4, 0xffff, v5
	v_or_b32_e32 v8, 0x10000, v5
	s_delay_alu instid0(VALU_DEP_2) | instskip(NEXT) | instid1(VALU_DEP_2)
	v_cmp_eq_u32_e32 vcc_lo, 0, v4
	v_cndmask_b32_e32 v27, v8, v5, vcc_lo
; %bb.65:                               ;   in Loop: Header=BB144_40 Depth=1
	s_or_b32 exec_lo, exec_lo, s0
	v_and_b32_e32 v4, 0x7f800000, v6
	s_mov_b32 s0, exec_lo
                                        ; implicit-def: $vgpr28
	s_delay_alu instid0(VALU_DEP_1)
	v_cmpx_ne_u32_e32 0x7f800000, v4
	s_xor_b32 s0, exec_lo, s0
; %bb.66:                               ;   in Loop: Header=BB144_40 Depth=1
	v_bfe_u32 v4, v6, 16, 1
	s_delay_alu instid0(VALU_DEP_1)
	v_add3_u32 v28, v6, v4, 0x7fff
; %bb.67:                               ;   in Loop: Header=BB144_40 Depth=1
	s_and_not1_saveexec_b32 s0, s0
; %bb.68:                               ;   in Loop: Header=BB144_40 Depth=1
	v_and_b32_e32 v4, 0xffff, v6
	v_or_b32_e32 v5, 0x10000, v6
	s_delay_alu instid0(VALU_DEP_2) | instskip(NEXT) | instid1(VALU_DEP_2)
	v_cmp_eq_u32_e32 vcc_lo, 0, v4
	v_cndmask_b32_e32 v28, v5, v6, vcc_lo
; %bb.69:                               ;   in Loop: Header=BB144_40 Depth=1
	s_or_b32 exec_lo, exec_lo, s0
	v_and_b32_e32 v4, 0x7f800000, v7
	s_mov_b32 s0, exec_lo
                                        ; implicit-def: $vgpr29
	s_delay_alu instid0(VALU_DEP_1)
	v_cmpx_ne_u32_e32 0x7f800000, v4
	s_xor_b32 s0, exec_lo, s0
; %bb.70:                               ;   in Loop: Header=BB144_40 Depth=1
	v_bfe_u32 v4, v7, 16, 1
	s_delay_alu instid0(VALU_DEP_1)
	v_add3_u32 v29, v7, v4, 0x7fff
                                        ; implicit-def: $vgpr4_vgpr5_vgpr6_vgpr7
; %bb.71:                               ;   in Loop: Header=BB144_40 Depth=1
	s_and_not1_saveexec_b32 s0, s0
; %bb.72:                               ;   in Loop: Header=BB144_40 Depth=1
	v_and_b32_e32 v4, 0xffff, v7
	v_or_b32_e32 v5, 0x10000, v7
	s_delay_alu instid0(VALU_DEP_2) | instskip(NEXT) | instid1(VALU_DEP_2)
	v_cmp_eq_u32_e32 vcc_lo, 0, v4
	v_cndmask_b32_e32 v29, v5, v7, vcc_lo
; %bb.73:                               ;   in Loop: Header=BB144_40 Depth=1
	s_or_b32 exec_lo, exec_lo, s0
	s_waitcnt vmcnt(0)
	v_mad_i64_i32 v[4:5], null, v30, s5, 0
	v_add_nc_u32_e32 v36, 1, v16
	v_add_nc_u32_e32 v35, 2, v16
	;; [unrolled: 1-line block ×6, first 2 shown]
	v_lshlrev_b64 v[4:5], 1, v[4:5]
	v_add_nc_u32_e32 v34, 7, v16
	s_delay_alu instid0(VALU_DEP_2) | instskip(NEXT) | instid1(VALU_DEP_3)
	v_add_co_u32 v8, vcc_lo, v21, v4
	v_add_co_ci_u32_e32 v9, vcc_lo, v22, v5, vcc_lo
	v_cmp_eq_u32_e32 vcc_lo, s9, v1
	global_load_b128 v[4:7], v[8:9], off
	s_waitcnt vmcnt(0)
	v_lshrrev_b32_e32 v11, 16, v4
	v_lshrrev_b32_e32 v41, 16, v5
	v_lshrrev_b32_e32 v43, 16, v6
	v_lshrrev_b32_e32 v45, 16, v7
	s_and_saveexec_b32 s13, vcc_lo
	s_cbranch_execz .LBB144_75
; %bb.74:                               ;   in Loop: Header=BB144_40 Depth=1
	v_cmp_gt_i32_e64 s0, s15, v16
	s_delay_alu instid0(VALU_DEP_1) | instskip(SKIP_1) | instid1(VALU_DEP_1)
	v_cndmask_b32_e64 v4, 0, v4, s0
	v_cmp_gt_i32_e64 s0, s15, v36
	v_cndmask_b32_e64 v11, 0, v11, s0
	v_cmp_gt_i32_e64 s0, s15, v35
	s_delay_alu instid0(VALU_DEP_1) | instskip(SKIP_1) | instid1(VALU_DEP_1)
	v_cndmask_b32_e64 v5, 0, v5, s0
	v_cmp_gt_i32_e64 s0, s15, v33
	v_cndmask_b32_e64 v41, 0, v41, s0
	v_cmp_gt_i32_e64 s0, s15, v32
	s_delay_alu instid0(VALU_DEP_1) | instskip(SKIP_1) | instid1(VALU_DEP_1)
	v_cndmask_b32_e64 v6, 0, v6, s0
	v_cmp_gt_i32_e64 s0, s15, v31
	v_cndmask_b32_e64 v43, 0, v43, s0
	v_cmp_gt_i32_e64 s0, s15, v30
	s_delay_alu instid0(VALU_DEP_1) | instskip(SKIP_1) | instid1(VALU_DEP_1)
	v_cndmask_b32_e64 v7, 0, v7, s0
	v_cmp_gt_i32_e64 s0, s15, v34
	v_cndmask_b32_e64 v45, 0, v45, s0
.LBB144_75:                             ;   in Loop: Header=BB144_40 Depth=1
	s_or_b32 exec_lo, exec_lo, s13
	v_and_b32_e32 v37, 0xffff0000, v37
	v_lshlrev_b32_e32 v4, 16, v4
	s_delay_alu instid0(VALU_DEP_1) | instskip(NEXT) | instid1(VALU_DEP_1)
	v_mul_f32_e32 v4, v37, v4
	v_and_b32_e32 v10, 0x7f800000, v4
	s_delay_alu instid0(VALU_DEP_1) | instskip(NEXT) | instid1(VALU_DEP_1)
	v_cmp_ne_u32_e64 s0, 0x7f800000, v10
                                        ; implicit-def: $vgpr10
	s_and_saveexec_b32 s13, s0
	s_delay_alu instid0(SALU_CYCLE_1)
	s_xor_b32 s0, exec_lo, s13
; %bb.76:                               ;   in Loop: Header=BB144_40 Depth=1
	v_bfe_u32 v10, v4, 16, 1
	s_delay_alu instid0(VALU_DEP_1)
	v_add3_u32 v10, v4, v10, 0x7fff
                                        ; implicit-def: $vgpr4
; %bb.77:                               ;   in Loop: Header=BB144_40 Depth=1
	s_and_not1_saveexec_b32 s13, s0
; %bb.78:                               ;   in Loop: Header=BB144_40 Depth=1
	v_and_b32_e32 v10, 0xffff, v4
	v_or_b32_e32 v39, 0x10000, v4
	s_delay_alu instid0(VALU_DEP_2) | instskip(NEXT) | instid1(VALU_DEP_1)
	v_cmp_eq_u32_e64 s0, 0, v10
	v_cndmask_b32_e64 v10, v39, v4, s0
; %bb.79:                               ;   in Loop: Header=BB144_40 Depth=1
	s_or_b32 exec_lo, exec_lo, s13
	v_and_b32_e32 v38, 0xffff0000, v38
	v_lshlrev_b32_e32 v4, 16, v11
	s_delay_alu instid0(VALU_DEP_1) | instskip(NEXT) | instid1(VALU_DEP_1)
	v_mul_f32_e32 v4, v38, v4
	v_and_b32_e32 v11, 0x7f800000, v4
	s_delay_alu instid0(VALU_DEP_1) | instskip(NEXT) | instid1(VALU_DEP_1)
	v_cmp_ne_u32_e64 s0, 0x7f800000, v11
                                        ; implicit-def: $vgpr11
	s_and_saveexec_b32 s13, s0
	s_delay_alu instid0(SALU_CYCLE_1)
	s_xor_b32 s0, exec_lo, s13
; %bb.80:                               ;   in Loop: Header=BB144_40 Depth=1
	v_bfe_u32 v11, v4, 16, 1
	s_delay_alu instid0(VALU_DEP_1)
	v_add3_u32 v11, v4, v11, 0x7fff
                                        ; implicit-def: $vgpr4
; %bb.81:                               ;   in Loop: Header=BB144_40 Depth=1
	s_and_not1_saveexec_b32 s13, s0
; %bb.82:                               ;   in Loop: Header=BB144_40 Depth=1
	v_and_b32_e32 v11, 0xffff, v4
	v_or_b32_e32 v39, 0x10000, v4
	s_delay_alu instid0(VALU_DEP_2) | instskip(NEXT) | instid1(VALU_DEP_1)
	v_cmp_eq_u32_e64 s0, 0, v11
	v_cndmask_b32_e64 v11, v39, v4, s0
; %bb.83:                               ;   in Loop: Header=BB144_40 Depth=1
	s_or_b32 exec_lo, exec_lo, s13
	v_and_b32_e32 v39, 0xffff0000, v24
	v_lshlrev_b32_e32 v4, 16, v5
                                        ; implicit-def: $vgpr24
	s_delay_alu instid0(VALU_DEP_1) | instskip(NEXT) | instid1(VALU_DEP_1)
	v_mul_f32_e32 v4, v39, v4
	v_and_b32_e32 v5, 0x7f800000, v4
	s_delay_alu instid0(VALU_DEP_1) | instskip(NEXT) | instid1(VALU_DEP_1)
	v_cmp_ne_u32_e64 s0, 0x7f800000, v5
	s_and_saveexec_b32 s13, s0
	s_delay_alu instid0(SALU_CYCLE_1)
	s_xor_b32 s0, exec_lo, s13
; %bb.84:                               ;   in Loop: Header=BB144_40 Depth=1
	v_bfe_u32 v5, v4, 16, 1
	s_delay_alu instid0(VALU_DEP_1)
	v_add3_u32 v24, v4, v5, 0x7fff
                                        ; implicit-def: $vgpr4
; %bb.85:                               ;   in Loop: Header=BB144_40 Depth=1
	s_and_not1_saveexec_b32 s13, s0
; %bb.86:                               ;   in Loop: Header=BB144_40 Depth=1
	v_and_b32_e32 v5, 0xffff, v4
	v_or_b32_e32 v24, 0x10000, v4
	s_delay_alu instid0(VALU_DEP_2) | instskip(NEXT) | instid1(VALU_DEP_1)
	v_cmp_eq_u32_e64 s0, 0, v5
	v_cndmask_b32_e64 v24, v24, v4, s0
; %bb.87:                               ;   in Loop: Header=BB144_40 Depth=1
	s_or_b32 exec_lo, exec_lo, s13
	v_and_b32_e32 v40, 0xffff0000, v25
	v_lshlrev_b32_e32 v4, 16, v41
                                        ; implicit-def: $vgpr25
	s_delay_alu instid0(VALU_DEP_1) | instskip(NEXT) | instid1(VALU_DEP_1)
	v_mul_f32_e32 v4, v40, v4
	v_and_b32_e32 v5, 0x7f800000, v4
	s_delay_alu instid0(VALU_DEP_1) | instskip(NEXT) | instid1(VALU_DEP_1)
	v_cmp_ne_u32_e64 s0, 0x7f800000, v5
	s_and_saveexec_b32 s13, s0
	s_delay_alu instid0(SALU_CYCLE_1)
	s_xor_b32 s0, exec_lo, s13
; %bb.88:                               ;   in Loop: Header=BB144_40 Depth=1
	v_bfe_u32 v5, v4, 16, 1
	s_delay_alu instid0(VALU_DEP_1)
	v_add3_u32 v25, v4, v5, 0x7fff
                                        ; implicit-def: $vgpr4
; %bb.89:                               ;   in Loop: Header=BB144_40 Depth=1
	s_and_not1_saveexec_b32 s13, s0
; %bb.90:                               ;   in Loop: Header=BB144_40 Depth=1
	v_and_b32_e32 v5, 0xffff, v4
	v_or_b32_e32 v25, 0x10000, v4
	s_delay_alu instid0(VALU_DEP_2) | instskip(NEXT) | instid1(VALU_DEP_1)
	v_cmp_eq_u32_e64 s0, 0, v5
	v_cndmask_b32_e64 v25, v25, v4, s0
; %bb.91:                               ;   in Loop: Header=BB144_40 Depth=1
	s_or_b32 exec_lo, exec_lo, s13
	v_and_b32_e32 v41, 0xffff0000, v26
	v_lshlrev_b32_e32 v4, 16, v6
                                        ; implicit-def: $vgpr26
	s_delay_alu instid0(VALU_DEP_1) | instskip(NEXT) | instid1(VALU_DEP_1)
	v_mul_f32_e32 v4, v41, v4
	v_and_b32_e32 v5, 0x7f800000, v4
	s_delay_alu instid0(VALU_DEP_1) | instskip(NEXT) | instid1(VALU_DEP_1)
	v_cmp_ne_u32_e64 s0, 0x7f800000, v5
	s_and_saveexec_b32 s13, s0
	s_delay_alu instid0(SALU_CYCLE_1)
	s_xor_b32 s0, exec_lo, s13
; %bb.92:                               ;   in Loop: Header=BB144_40 Depth=1
	v_bfe_u32 v5, v4, 16, 1
	s_delay_alu instid0(VALU_DEP_1)
	v_add3_u32 v26, v4, v5, 0x7fff
                                        ; implicit-def: $vgpr4
; %bb.93:                               ;   in Loop: Header=BB144_40 Depth=1
	s_and_not1_saveexec_b32 s13, s0
; %bb.94:                               ;   in Loop: Header=BB144_40 Depth=1
	v_and_b32_e32 v5, 0xffff, v4
	v_or_b32_e32 v6, 0x10000, v4
	s_delay_alu instid0(VALU_DEP_2) | instskip(NEXT) | instid1(VALU_DEP_1)
	v_cmp_eq_u32_e64 s0, 0, v5
	v_cndmask_b32_e64 v26, v6, v4, s0
; %bb.95:                               ;   in Loop: Header=BB144_40 Depth=1
	s_or_b32 exec_lo, exec_lo, s13
	v_and_b32_e32 v42, 0xffff0000, v27
	v_lshlrev_b32_e32 v4, 16, v43
                                        ; implicit-def: $vgpr27
	s_delay_alu instid0(VALU_DEP_1) | instskip(NEXT) | instid1(VALU_DEP_1)
	v_mul_f32_e32 v4, v42, v4
	v_and_b32_e32 v5, 0x7f800000, v4
	s_delay_alu instid0(VALU_DEP_1) | instskip(NEXT) | instid1(VALU_DEP_1)
	v_cmp_ne_u32_e64 s0, 0x7f800000, v5
	s_and_saveexec_b32 s13, s0
	s_delay_alu instid0(SALU_CYCLE_1)
	s_xor_b32 s0, exec_lo, s13
; %bb.96:                               ;   in Loop: Header=BB144_40 Depth=1
	v_bfe_u32 v5, v4, 16, 1
	s_delay_alu instid0(VALU_DEP_1)
	v_add3_u32 v27, v4, v5, 0x7fff
                                        ; implicit-def: $vgpr4
; %bb.97:                               ;   in Loop: Header=BB144_40 Depth=1
	s_and_not1_saveexec_b32 s13, s0
; %bb.98:                               ;   in Loop: Header=BB144_40 Depth=1
	v_and_b32_e32 v5, 0xffff, v4
	v_or_b32_e32 v6, 0x10000, v4
	s_delay_alu instid0(VALU_DEP_2) | instskip(NEXT) | instid1(VALU_DEP_1)
	v_cmp_eq_u32_e64 s0, 0, v5
	v_cndmask_b32_e64 v27, v6, v4, s0
; %bb.99:                               ;   in Loop: Header=BB144_40 Depth=1
	s_or_b32 exec_lo, exec_lo, s13
	v_and_b32_e32 v43, 0xffff0000, v28
	v_lshlrev_b32_e32 v4, 16, v7
                                        ; implicit-def: $vgpr28
	s_delay_alu instid0(VALU_DEP_1) | instskip(NEXT) | instid1(VALU_DEP_1)
	v_mul_f32_e32 v4, v43, v4
	v_and_b32_e32 v5, 0x7f800000, v4
	s_delay_alu instid0(VALU_DEP_1) | instskip(NEXT) | instid1(VALU_DEP_1)
	v_cmp_ne_u32_e64 s0, 0x7f800000, v5
	s_and_saveexec_b32 s13, s0
	s_delay_alu instid0(SALU_CYCLE_1)
	s_xor_b32 s0, exec_lo, s13
; %bb.100:                              ;   in Loop: Header=BB144_40 Depth=1
	v_bfe_u32 v5, v4, 16, 1
	s_delay_alu instid0(VALU_DEP_1)
	v_add3_u32 v28, v4, v5, 0x7fff
                                        ; implicit-def: $vgpr4
; %bb.101:                              ;   in Loop: Header=BB144_40 Depth=1
	s_and_not1_saveexec_b32 s13, s0
; %bb.102:                              ;   in Loop: Header=BB144_40 Depth=1
	v_and_b32_e32 v5, 0xffff, v4
	v_or_b32_e32 v6, 0x10000, v4
	s_delay_alu instid0(VALU_DEP_2) | instskip(NEXT) | instid1(VALU_DEP_1)
	v_cmp_eq_u32_e64 s0, 0, v5
	v_cndmask_b32_e64 v28, v6, v4, s0
; %bb.103:                              ;   in Loop: Header=BB144_40 Depth=1
	s_or_b32 exec_lo, exec_lo, s13
	v_and_b32_e32 v44, 0xffff0000, v29
	v_lshlrev_b32_e32 v4, 16, v45
                                        ; implicit-def: $vgpr29
	s_delay_alu instid0(VALU_DEP_1) | instskip(NEXT) | instid1(VALU_DEP_1)
	v_mul_f32_e32 v4, v44, v4
	v_and_b32_e32 v5, 0x7f800000, v4
	s_delay_alu instid0(VALU_DEP_1) | instskip(NEXT) | instid1(VALU_DEP_1)
	v_cmp_ne_u32_e64 s0, 0x7f800000, v5
	s_and_saveexec_b32 s13, s0
	s_delay_alu instid0(SALU_CYCLE_1)
	s_xor_b32 s0, exec_lo, s13
; %bb.104:                              ;   in Loop: Header=BB144_40 Depth=1
	v_bfe_u32 v5, v4, 16, 1
	s_delay_alu instid0(VALU_DEP_1)
	v_add3_u32 v29, v4, v5, 0x7fff
                                        ; implicit-def: $vgpr4
; %bb.105:                              ;   in Loop: Header=BB144_40 Depth=1
	s_and_not1_saveexec_b32 s13, s0
; %bb.106:                              ;   in Loop: Header=BB144_40 Depth=1
	v_and_b32_e32 v5, 0xffff, v4
	v_or_b32_e32 v6, 0x10000, v4
	s_delay_alu instid0(VALU_DEP_2) | instskip(NEXT) | instid1(VALU_DEP_1)
	v_cmp_eq_u32_e64 s0, 0, v5
	v_cndmask_b32_e64 v29, v6, v4, s0
; %bb.107:                              ;   in Loop: Header=BB144_40 Depth=1
	s_or_b32 exec_lo, exec_lo, s13
	global_load_b128 v[4:7], v[8:9], off offset:512
	s_waitcnt vmcnt(0)
	v_lshrrev_b32_e32 v46, 16, v4
	v_lshrrev_b32_e32 v48, 16, v5
	;; [unrolled: 1-line block ×4, first 2 shown]
	s_and_saveexec_b32 s13, vcc_lo
	s_cbranch_execz .LBB144_109
; %bb.108:                              ;   in Loop: Header=BB144_40 Depth=1
	v_cmp_gt_i32_e64 s0, s15, v16
	s_delay_alu instid0(VALU_DEP_1) | instskip(SKIP_1) | instid1(VALU_DEP_1)
	v_cndmask_b32_e64 v4, 0, v4, s0
	v_cmp_gt_i32_e64 s0, s15, v36
	v_cndmask_b32_e64 v46, 0, v46, s0
	v_cmp_gt_i32_e64 s0, s15, v35
	s_delay_alu instid0(VALU_DEP_1) | instskip(SKIP_1) | instid1(VALU_DEP_1)
	v_cndmask_b32_e64 v5, 0, v5, s0
	v_cmp_gt_i32_e64 s0, s15, v33
	v_cndmask_b32_e64 v48, 0, v48, s0
	;; [unrolled: 5-line block ×4, first 2 shown]
.LBB144_109:                            ;   in Loop: Header=BB144_40 Depth=1
	s_or_b32 exec_lo, exec_lo, s13
	v_lshlrev_b32_e32 v4, 16, v4
	s_delay_alu instid0(VALU_DEP_1) | instskip(NEXT) | instid1(VALU_DEP_1)
	v_mul_f32_e32 v4, v37, v4
	v_and_b32_e32 v45, 0x7f800000, v4
	s_delay_alu instid0(VALU_DEP_1) | instskip(NEXT) | instid1(VALU_DEP_1)
	v_cmp_ne_u32_e64 s0, 0x7f800000, v45
                                        ; implicit-def: $vgpr45
	s_and_saveexec_b32 s13, s0
	s_delay_alu instid0(SALU_CYCLE_1)
	s_xor_b32 s0, exec_lo, s13
; %bb.110:                              ;   in Loop: Header=BB144_40 Depth=1
	v_bfe_u32 v45, v4, 16, 1
	s_delay_alu instid0(VALU_DEP_1)
	v_add3_u32 v45, v4, v45, 0x7fff
                                        ; implicit-def: $vgpr4
; %bb.111:                              ;   in Loop: Header=BB144_40 Depth=1
	s_and_not1_saveexec_b32 s13, s0
; %bb.112:                              ;   in Loop: Header=BB144_40 Depth=1
	v_and_b32_e32 v45, 0xffff, v4
	v_or_b32_e32 v47, 0x10000, v4
	s_delay_alu instid0(VALU_DEP_2) | instskip(NEXT) | instid1(VALU_DEP_1)
	v_cmp_eq_u32_e64 s0, 0, v45
	v_cndmask_b32_e64 v45, v47, v4, s0
; %bb.113:                              ;   in Loop: Header=BB144_40 Depth=1
	s_or_b32 exec_lo, exec_lo, s13
	v_lshlrev_b32_e32 v4, 16, v46
	s_delay_alu instid0(VALU_DEP_1) | instskip(NEXT) | instid1(VALU_DEP_1)
	v_mul_f32_e32 v4, v38, v4
	v_and_b32_e32 v46, 0x7f800000, v4
	s_delay_alu instid0(VALU_DEP_1) | instskip(NEXT) | instid1(VALU_DEP_1)
	v_cmp_ne_u32_e64 s0, 0x7f800000, v46
                                        ; implicit-def: $vgpr46
	s_and_saveexec_b32 s13, s0
	s_delay_alu instid0(SALU_CYCLE_1)
	s_xor_b32 s0, exec_lo, s13
; %bb.114:                              ;   in Loop: Header=BB144_40 Depth=1
	v_bfe_u32 v46, v4, 16, 1
	s_delay_alu instid0(VALU_DEP_1)
	v_add3_u32 v46, v4, v46, 0x7fff
                                        ; implicit-def: $vgpr4
; %bb.115:                              ;   in Loop: Header=BB144_40 Depth=1
	s_and_not1_saveexec_b32 s13, s0
; %bb.116:                              ;   in Loop: Header=BB144_40 Depth=1
	v_and_b32_e32 v46, 0xffff, v4
	v_or_b32_e32 v47, 0x10000, v4
	s_delay_alu instid0(VALU_DEP_2) | instskip(NEXT) | instid1(VALU_DEP_1)
	v_cmp_eq_u32_e64 s0, 0, v46
	v_cndmask_b32_e64 v46, v47, v4, s0
; %bb.117:                              ;   in Loop: Header=BB144_40 Depth=1
	s_or_b32 exec_lo, exec_lo, s13
	v_lshlrev_b32_e32 v4, 16, v5
                                        ; implicit-def: $vgpr47
	s_delay_alu instid0(VALU_DEP_1) | instskip(NEXT) | instid1(VALU_DEP_1)
	v_mul_f32_e32 v4, v39, v4
	v_and_b32_e32 v5, 0x7f800000, v4
	s_delay_alu instid0(VALU_DEP_1) | instskip(NEXT) | instid1(VALU_DEP_1)
	v_cmp_ne_u32_e64 s0, 0x7f800000, v5
	s_and_saveexec_b32 s13, s0
	s_delay_alu instid0(SALU_CYCLE_1)
	s_xor_b32 s0, exec_lo, s13
; %bb.118:                              ;   in Loop: Header=BB144_40 Depth=1
	v_bfe_u32 v5, v4, 16, 1
	s_delay_alu instid0(VALU_DEP_1)
	v_add3_u32 v47, v4, v5, 0x7fff
                                        ; implicit-def: $vgpr4
; %bb.119:                              ;   in Loop: Header=BB144_40 Depth=1
	s_and_not1_saveexec_b32 s13, s0
; %bb.120:                              ;   in Loop: Header=BB144_40 Depth=1
	v_and_b32_e32 v5, 0xffff, v4
	v_or_b32_e32 v47, 0x10000, v4
	s_delay_alu instid0(VALU_DEP_2) | instskip(NEXT) | instid1(VALU_DEP_1)
	v_cmp_eq_u32_e64 s0, 0, v5
	v_cndmask_b32_e64 v47, v47, v4, s0
; %bb.121:                              ;   in Loop: Header=BB144_40 Depth=1
	s_or_b32 exec_lo, exec_lo, s13
	v_lshlrev_b32_e32 v4, 16, v48
                                        ; implicit-def: $vgpr48
	s_delay_alu instid0(VALU_DEP_1) | instskip(NEXT) | instid1(VALU_DEP_1)
	v_mul_f32_e32 v4, v40, v4
	v_and_b32_e32 v5, 0x7f800000, v4
	s_delay_alu instid0(VALU_DEP_1) | instskip(NEXT) | instid1(VALU_DEP_1)
	v_cmp_ne_u32_e64 s0, 0x7f800000, v5
	s_and_saveexec_b32 s13, s0
	s_delay_alu instid0(SALU_CYCLE_1)
	s_xor_b32 s0, exec_lo, s13
; %bb.122:                              ;   in Loop: Header=BB144_40 Depth=1
	v_bfe_u32 v5, v4, 16, 1
	s_delay_alu instid0(VALU_DEP_1)
	v_add3_u32 v48, v4, v5, 0x7fff
                                        ; implicit-def: $vgpr4
; %bb.123:                              ;   in Loop: Header=BB144_40 Depth=1
	s_and_not1_saveexec_b32 s13, s0
; %bb.124:                              ;   in Loop: Header=BB144_40 Depth=1
	v_and_b32_e32 v5, 0xffff, v4
	v_or_b32_e32 v48, 0x10000, v4
	s_delay_alu instid0(VALU_DEP_2) | instskip(NEXT) | instid1(VALU_DEP_1)
	v_cmp_eq_u32_e64 s0, 0, v5
	v_cndmask_b32_e64 v48, v48, v4, s0
; %bb.125:                              ;   in Loop: Header=BB144_40 Depth=1
	s_or_b32 exec_lo, exec_lo, s13
	v_lshlrev_b32_e32 v4, 16, v6
                                        ; implicit-def: $vgpr49
	s_delay_alu instid0(VALU_DEP_1) | instskip(NEXT) | instid1(VALU_DEP_1)
	v_mul_f32_e32 v4, v41, v4
	v_and_b32_e32 v5, 0x7f800000, v4
	s_delay_alu instid0(VALU_DEP_1) | instskip(NEXT) | instid1(VALU_DEP_1)
	v_cmp_ne_u32_e64 s0, 0x7f800000, v5
	s_and_saveexec_b32 s13, s0
	s_delay_alu instid0(SALU_CYCLE_1)
	s_xor_b32 s0, exec_lo, s13
; %bb.126:                              ;   in Loop: Header=BB144_40 Depth=1
	v_bfe_u32 v5, v4, 16, 1
	s_delay_alu instid0(VALU_DEP_1)
	v_add3_u32 v49, v4, v5, 0x7fff
                                        ; implicit-def: $vgpr4
; %bb.127:                              ;   in Loop: Header=BB144_40 Depth=1
	s_and_not1_saveexec_b32 s13, s0
; %bb.128:                              ;   in Loop: Header=BB144_40 Depth=1
	v_and_b32_e32 v5, 0xffff, v4
	v_or_b32_e32 v6, 0x10000, v4
	s_delay_alu instid0(VALU_DEP_2) | instskip(NEXT) | instid1(VALU_DEP_1)
	v_cmp_eq_u32_e64 s0, 0, v5
	v_cndmask_b32_e64 v49, v6, v4, s0
; %bb.129:                              ;   in Loop: Header=BB144_40 Depth=1
	s_or_b32 exec_lo, exec_lo, s13
	v_lshlrev_b32_e32 v4, 16, v50
                                        ; implicit-def: $vgpr50
	s_delay_alu instid0(VALU_DEP_1) | instskip(NEXT) | instid1(VALU_DEP_1)
	v_mul_f32_e32 v4, v42, v4
	v_and_b32_e32 v5, 0x7f800000, v4
	s_delay_alu instid0(VALU_DEP_1) | instskip(NEXT) | instid1(VALU_DEP_1)
	v_cmp_ne_u32_e64 s0, 0x7f800000, v5
	s_and_saveexec_b32 s13, s0
	s_delay_alu instid0(SALU_CYCLE_1)
	s_xor_b32 s0, exec_lo, s13
; %bb.130:                              ;   in Loop: Header=BB144_40 Depth=1
	v_bfe_u32 v5, v4, 16, 1
	s_delay_alu instid0(VALU_DEP_1)
	v_add3_u32 v50, v4, v5, 0x7fff
                                        ; implicit-def: $vgpr4
; %bb.131:                              ;   in Loop: Header=BB144_40 Depth=1
	s_and_not1_saveexec_b32 s13, s0
; %bb.132:                              ;   in Loop: Header=BB144_40 Depth=1
	v_and_b32_e32 v5, 0xffff, v4
	v_or_b32_e32 v6, 0x10000, v4
	s_delay_alu instid0(VALU_DEP_2) | instskip(NEXT) | instid1(VALU_DEP_1)
	v_cmp_eq_u32_e64 s0, 0, v5
	v_cndmask_b32_e64 v50, v6, v4, s0
; %bb.133:                              ;   in Loop: Header=BB144_40 Depth=1
	s_or_b32 exec_lo, exec_lo, s13
	v_lshlrev_b32_e32 v4, 16, v7
                                        ; implicit-def: $vgpr51
	s_delay_alu instid0(VALU_DEP_1) | instskip(NEXT) | instid1(VALU_DEP_1)
	v_mul_f32_e32 v4, v43, v4
	v_and_b32_e32 v5, 0x7f800000, v4
	s_delay_alu instid0(VALU_DEP_1) | instskip(NEXT) | instid1(VALU_DEP_1)
	v_cmp_ne_u32_e64 s0, 0x7f800000, v5
	s_and_saveexec_b32 s13, s0
	s_delay_alu instid0(SALU_CYCLE_1)
	s_xor_b32 s0, exec_lo, s13
; %bb.134:                              ;   in Loop: Header=BB144_40 Depth=1
	v_bfe_u32 v5, v4, 16, 1
	s_delay_alu instid0(VALU_DEP_1)
	v_add3_u32 v51, v4, v5, 0x7fff
                                        ; implicit-def: $vgpr4
; %bb.135:                              ;   in Loop: Header=BB144_40 Depth=1
	s_and_not1_saveexec_b32 s13, s0
; %bb.136:                              ;   in Loop: Header=BB144_40 Depth=1
	v_and_b32_e32 v5, 0xffff, v4
	v_or_b32_e32 v6, 0x10000, v4
	s_delay_alu instid0(VALU_DEP_2) | instskip(NEXT) | instid1(VALU_DEP_1)
	v_cmp_eq_u32_e64 s0, 0, v5
	v_cndmask_b32_e64 v51, v6, v4, s0
; %bb.137:                              ;   in Loop: Header=BB144_40 Depth=1
	s_or_b32 exec_lo, exec_lo, s13
	v_lshlrev_b32_e32 v4, 16, v52
                                        ; implicit-def: $vgpr52
	s_delay_alu instid0(VALU_DEP_1) | instskip(NEXT) | instid1(VALU_DEP_1)
	v_mul_f32_e32 v4, v44, v4
	v_and_b32_e32 v5, 0x7f800000, v4
	s_delay_alu instid0(VALU_DEP_1) | instskip(NEXT) | instid1(VALU_DEP_1)
	v_cmp_ne_u32_e64 s0, 0x7f800000, v5
	s_and_saveexec_b32 s13, s0
	s_delay_alu instid0(SALU_CYCLE_1)
	s_xor_b32 s0, exec_lo, s13
; %bb.138:                              ;   in Loop: Header=BB144_40 Depth=1
	v_bfe_u32 v5, v4, 16, 1
	s_delay_alu instid0(VALU_DEP_1)
	v_add3_u32 v52, v4, v5, 0x7fff
                                        ; implicit-def: $vgpr4
; %bb.139:                              ;   in Loop: Header=BB144_40 Depth=1
	s_and_not1_saveexec_b32 s13, s0
; %bb.140:                              ;   in Loop: Header=BB144_40 Depth=1
	v_and_b32_e32 v5, 0xffff, v4
	v_or_b32_e32 v6, 0x10000, v4
	s_delay_alu instid0(VALU_DEP_2) | instskip(NEXT) | instid1(VALU_DEP_1)
	v_cmp_eq_u32_e64 s0, 0, v5
	v_cndmask_b32_e64 v52, v6, v4, s0
; %bb.141:                              ;   in Loop: Header=BB144_40 Depth=1
	s_or_b32 exec_lo, exec_lo, s13
	global_load_b128 v[4:7], v[8:9], off offset:1024
	s_waitcnt vmcnt(0)
	v_lshrrev_b32_e32 v54, 16, v4
	v_lshrrev_b32_e32 v56, 16, v5
	;; [unrolled: 1-line block ×4, first 2 shown]
	s_and_saveexec_b32 s13, vcc_lo
	s_cbranch_execz .LBB144_143
; %bb.142:                              ;   in Loop: Header=BB144_40 Depth=1
	v_cmp_gt_i32_e64 s0, s15, v16
	s_delay_alu instid0(VALU_DEP_1) | instskip(SKIP_1) | instid1(VALU_DEP_1)
	v_cndmask_b32_e64 v4, 0, v4, s0
	v_cmp_gt_i32_e64 s0, s15, v36
	v_cndmask_b32_e64 v54, 0, v54, s0
	v_cmp_gt_i32_e64 s0, s15, v35
	s_delay_alu instid0(VALU_DEP_1) | instskip(SKIP_1) | instid1(VALU_DEP_1)
	v_cndmask_b32_e64 v5, 0, v5, s0
	v_cmp_gt_i32_e64 s0, s15, v33
	v_cndmask_b32_e64 v56, 0, v56, s0
	;; [unrolled: 5-line block ×4, first 2 shown]
.LBB144_143:                            ;   in Loop: Header=BB144_40 Depth=1
	s_or_b32 exec_lo, exec_lo, s13
	v_lshlrev_b32_e32 v4, 16, v4
	s_delay_alu instid0(VALU_DEP_1) | instskip(NEXT) | instid1(VALU_DEP_1)
	v_mul_f32_e32 v4, v37, v4
	v_and_b32_e32 v53, 0x7f800000, v4
	s_delay_alu instid0(VALU_DEP_1) | instskip(NEXT) | instid1(VALU_DEP_1)
	v_cmp_ne_u32_e64 s0, 0x7f800000, v53
                                        ; implicit-def: $vgpr53
	s_and_saveexec_b32 s13, s0
	s_delay_alu instid0(SALU_CYCLE_1)
	s_xor_b32 s0, exec_lo, s13
; %bb.144:                              ;   in Loop: Header=BB144_40 Depth=1
	v_bfe_u32 v53, v4, 16, 1
	s_delay_alu instid0(VALU_DEP_1)
	v_add3_u32 v53, v4, v53, 0x7fff
                                        ; implicit-def: $vgpr4
; %bb.145:                              ;   in Loop: Header=BB144_40 Depth=1
	s_and_not1_saveexec_b32 s13, s0
; %bb.146:                              ;   in Loop: Header=BB144_40 Depth=1
	v_and_b32_e32 v53, 0xffff, v4
	v_or_b32_e32 v55, 0x10000, v4
	s_delay_alu instid0(VALU_DEP_2) | instskip(NEXT) | instid1(VALU_DEP_1)
	v_cmp_eq_u32_e64 s0, 0, v53
	v_cndmask_b32_e64 v53, v55, v4, s0
; %bb.147:                              ;   in Loop: Header=BB144_40 Depth=1
	s_or_b32 exec_lo, exec_lo, s13
	v_lshlrev_b32_e32 v4, 16, v54
	s_delay_alu instid0(VALU_DEP_1) | instskip(NEXT) | instid1(VALU_DEP_1)
	v_mul_f32_e32 v4, v38, v4
	v_and_b32_e32 v54, 0x7f800000, v4
	s_delay_alu instid0(VALU_DEP_1) | instskip(NEXT) | instid1(VALU_DEP_1)
	v_cmp_ne_u32_e64 s0, 0x7f800000, v54
                                        ; implicit-def: $vgpr54
	s_and_saveexec_b32 s13, s0
	s_delay_alu instid0(SALU_CYCLE_1)
	s_xor_b32 s0, exec_lo, s13
; %bb.148:                              ;   in Loop: Header=BB144_40 Depth=1
	v_bfe_u32 v54, v4, 16, 1
	s_delay_alu instid0(VALU_DEP_1)
	v_add3_u32 v54, v4, v54, 0x7fff
                                        ; implicit-def: $vgpr4
; %bb.149:                              ;   in Loop: Header=BB144_40 Depth=1
	s_and_not1_saveexec_b32 s13, s0
; %bb.150:                              ;   in Loop: Header=BB144_40 Depth=1
	v_and_b32_e32 v54, 0xffff, v4
	v_or_b32_e32 v55, 0x10000, v4
	s_delay_alu instid0(VALU_DEP_2) | instskip(NEXT) | instid1(VALU_DEP_1)
	v_cmp_eq_u32_e64 s0, 0, v54
	v_cndmask_b32_e64 v54, v55, v4, s0
; %bb.151:                              ;   in Loop: Header=BB144_40 Depth=1
	s_or_b32 exec_lo, exec_lo, s13
	v_lshlrev_b32_e32 v4, 16, v5
                                        ; implicit-def: $vgpr55
	s_delay_alu instid0(VALU_DEP_1) | instskip(NEXT) | instid1(VALU_DEP_1)
	v_mul_f32_e32 v4, v39, v4
	v_and_b32_e32 v5, 0x7f800000, v4
	s_delay_alu instid0(VALU_DEP_1) | instskip(NEXT) | instid1(VALU_DEP_1)
	v_cmp_ne_u32_e64 s0, 0x7f800000, v5
	s_and_saveexec_b32 s13, s0
	s_delay_alu instid0(SALU_CYCLE_1)
	s_xor_b32 s0, exec_lo, s13
; %bb.152:                              ;   in Loop: Header=BB144_40 Depth=1
	v_bfe_u32 v5, v4, 16, 1
	s_delay_alu instid0(VALU_DEP_1)
	v_add3_u32 v55, v4, v5, 0x7fff
                                        ; implicit-def: $vgpr4
; %bb.153:                              ;   in Loop: Header=BB144_40 Depth=1
	s_and_not1_saveexec_b32 s13, s0
; %bb.154:                              ;   in Loop: Header=BB144_40 Depth=1
	v_and_b32_e32 v5, 0xffff, v4
	v_or_b32_e32 v55, 0x10000, v4
	s_delay_alu instid0(VALU_DEP_2) | instskip(NEXT) | instid1(VALU_DEP_1)
	v_cmp_eq_u32_e64 s0, 0, v5
	v_cndmask_b32_e64 v55, v55, v4, s0
; %bb.155:                              ;   in Loop: Header=BB144_40 Depth=1
	s_or_b32 exec_lo, exec_lo, s13
	v_lshlrev_b32_e32 v4, 16, v56
                                        ; implicit-def: $vgpr56
	s_delay_alu instid0(VALU_DEP_1) | instskip(NEXT) | instid1(VALU_DEP_1)
	v_mul_f32_e32 v4, v40, v4
	v_and_b32_e32 v5, 0x7f800000, v4
	s_delay_alu instid0(VALU_DEP_1) | instskip(NEXT) | instid1(VALU_DEP_1)
	v_cmp_ne_u32_e64 s0, 0x7f800000, v5
	s_and_saveexec_b32 s13, s0
	s_delay_alu instid0(SALU_CYCLE_1)
	s_xor_b32 s0, exec_lo, s13
; %bb.156:                              ;   in Loop: Header=BB144_40 Depth=1
	v_bfe_u32 v5, v4, 16, 1
	s_delay_alu instid0(VALU_DEP_1)
	v_add3_u32 v56, v4, v5, 0x7fff
                                        ; implicit-def: $vgpr4
; %bb.157:                              ;   in Loop: Header=BB144_40 Depth=1
	s_and_not1_saveexec_b32 s13, s0
; %bb.158:                              ;   in Loop: Header=BB144_40 Depth=1
	v_and_b32_e32 v5, 0xffff, v4
	v_or_b32_e32 v56, 0x10000, v4
	s_delay_alu instid0(VALU_DEP_2) | instskip(NEXT) | instid1(VALU_DEP_1)
	v_cmp_eq_u32_e64 s0, 0, v5
	v_cndmask_b32_e64 v56, v56, v4, s0
; %bb.159:                              ;   in Loop: Header=BB144_40 Depth=1
	s_or_b32 exec_lo, exec_lo, s13
	v_lshlrev_b32_e32 v4, 16, v6
                                        ; implicit-def: $vgpr57
	s_delay_alu instid0(VALU_DEP_1) | instskip(NEXT) | instid1(VALU_DEP_1)
	v_mul_f32_e32 v4, v41, v4
	v_and_b32_e32 v5, 0x7f800000, v4
	s_delay_alu instid0(VALU_DEP_1) | instskip(NEXT) | instid1(VALU_DEP_1)
	v_cmp_ne_u32_e64 s0, 0x7f800000, v5
	s_and_saveexec_b32 s13, s0
	s_delay_alu instid0(SALU_CYCLE_1)
	s_xor_b32 s0, exec_lo, s13
; %bb.160:                              ;   in Loop: Header=BB144_40 Depth=1
	v_bfe_u32 v5, v4, 16, 1
	s_delay_alu instid0(VALU_DEP_1)
	v_add3_u32 v57, v4, v5, 0x7fff
                                        ; implicit-def: $vgpr4
; %bb.161:                              ;   in Loop: Header=BB144_40 Depth=1
	s_and_not1_saveexec_b32 s13, s0
; %bb.162:                              ;   in Loop: Header=BB144_40 Depth=1
	v_and_b32_e32 v5, 0xffff, v4
	v_or_b32_e32 v6, 0x10000, v4
	s_delay_alu instid0(VALU_DEP_2) | instskip(NEXT) | instid1(VALU_DEP_1)
	v_cmp_eq_u32_e64 s0, 0, v5
	v_cndmask_b32_e64 v57, v6, v4, s0
; %bb.163:                              ;   in Loop: Header=BB144_40 Depth=1
	s_or_b32 exec_lo, exec_lo, s13
	v_lshlrev_b32_e32 v4, 16, v58
                                        ; implicit-def: $vgpr58
	s_delay_alu instid0(VALU_DEP_1) | instskip(NEXT) | instid1(VALU_DEP_1)
	v_mul_f32_e32 v4, v42, v4
	v_and_b32_e32 v5, 0x7f800000, v4
	s_delay_alu instid0(VALU_DEP_1) | instskip(NEXT) | instid1(VALU_DEP_1)
	v_cmp_ne_u32_e64 s0, 0x7f800000, v5
	s_and_saveexec_b32 s13, s0
	s_delay_alu instid0(SALU_CYCLE_1)
	s_xor_b32 s0, exec_lo, s13
; %bb.164:                              ;   in Loop: Header=BB144_40 Depth=1
	v_bfe_u32 v5, v4, 16, 1
	s_delay_alu instid0(VALU_DEP_1)
	v_add3_u32 v58, v4, v5, 0x7fff
                                        ; implicit-def: $vgpr4
; %bb.165:                              ;   in Loop: Header=BB144_40 Depth=1
	s_and_not1_saveexec_b32 s13, s0
; %bb.166:                              ;   in Loop: Header=BB144_40 Depth=1
	v_and_b32_e32 v5, 0xffff, v4
	v_or_b32_e32 v6, 0x10000, v4
	s_delay_alu instid0(VALU_DEP_2) | instskip(NEXT) | instid1(VALU_DEP_1)
	v_cmp_eq_u32_e64 s0, 0, v5
	v_cndmask_b32_e64 v58, v6, v4, s0
; %bb.167:                              ;   in Loop: Header=BB144_40 Depth=1
	s_or_b32 exec_lo, exec_lo, s13
	v_lshlrev_b32_e32 v4, 16, v7
                                        ; implicit-def: $vgpr59
	s_delay_alu instid0(VALU_DEP_1) | instskip(NEXT) | instid1(VALU_DEP_1)
	v_mul_f32_e32 v4, v43, v4
	v_and_b32_e32 v5, 0x7f800000, v4
	s_delay_alu instid0(VALU_DEP_1) | instskip(NEXT) | instid1(VALU_DEP_1)
	v_cmp_ne_u32_e64 s0, 0x7f800000, v5
	s_and_saveexec_b32 s13, s0
	s_delay_alu instid0(SALU_CYCLE_1)
	s_xor_b32 s0, exec_lo, s13
; %bb.168:                              ;   in Loop: Header=BB144_40 Depth=1
	v_bfe_u32 v5, v4, 16, 1
	s_delay_alu instid0(VALU_DEP_1)
	v_add3_u32 v59, v4, v5, 0x7fff
                                        ; implicit-def: $vgpr4
; %bb.169:                              ;   in Loop: Header=BB144_40 Depth=1
	s_and_not1_saveexec_b32 s13, s0
; %bb.170:                              ;   in Loop: Header=BB144_40 Depth=1
	v_and_b32_e32 v5, 0xffff, v4
	v_or_b32_e32 v6, 0x10000, v4
	s_delay_alu instid0(VALU_DEP_2) | instskip(NEXT) | instid1(VALU_DEP_1)
	v_cmp_eq_u32_e64 s0, 0, v5
	v_cndmask_b32_e64 v59, v6, v4, s0
; %bb.171:                              ;   in Loop: Header=BB144_40 Depth=1
	s_or_b32 exec_lo, exec_lo, s13
	v_lshlrev_b32_e32 v4, 16, v60
                                        ; implicit-def: $vgpr60
	s_delay_alu instid0(VALU_DEP_1) | instskip(NEXT) | instid1(VALU_DEP_1)
	v_mul_f32_e32 v4, v44, v4
	v_and_b32_e32 v5, 0x7f800000, v4
	s_delay_alu instid0(VALU_DEP_1) | instskip(NEXT) | instid1(VALU_DEP_1)
	v_cmp_ne_u32_e64 s0, 0x7f800000, v5
	s_and_saveexec_b32 s13, s0
	s_delay_alu instid0(SALU_CYCLE_1)
	s_xor_b32 s0, exec_lo, s13
; %bb.172:                              ;   in Loop: Header=BB144_40 Depth=1
	v_bfe_u32 v5, v4, 16, 1
	s_delay_alu instid0(VALU_DEP_1)
	v_add3_u32 v60, v4, v5, 0x7fff
                                        ; implicit-def: $vgpr4
; %bb.173:                              ;   in Loop: Header=BB144_40 Depth=1
	s_and_not1_saveexec_b32 s13, s0
; %bb.174:                              ;   in Loop: Header=BB144_40 Depth=1
	v_and_b32_e32 v5, 0xffff, v4
	v_or_b32_e32 v6, 0x10000, v4
	s_delay_alu instid0(VALU_DEP_2) | instskip(NEXT) | instid1(VALU_DEP_1)
	v_cmp_eq_u32_e64 s0, 0, v5
	v_cndmask_b32_e64 v60, v6, v4, s0
; %bb.175:                              ;   in Loop: Header=BB144_40 Depth=1
	s_or_b32 exec_lo, exec_lo, s13
	global_load_b128 v[4:7], v[8:9], off offset:1536
	s_waitcnt vmcnt(0)
	v_lshrrev_b32_e32 v8, 16, v4
	v_lshrrev_b32_e32 v62, 16, v5
	;; [unrolled: 1-line block ×4, first 2 shown]
	s_and_saveexec_b32 s0, vcc_lo
	s_cbranch_execz .LBB144_177
; %bb.176:                              ;   in Loop: Header=BB144_40 Depth=1
	v_cmp_gt_i32_e32 vcc_lo, s15, v16
	v_cndmask_b32_e32 v4, 0, v4, vcc_lo
	v_cmp_gt_i32_e32 vcc_lo, s15, v36
	v_cndmask_b32_e32 v8, 0, v8, vcc_lo
	;; [unrolled: 2-line block ×8, first 2 shown]
.LBB144_177:                            ;   in Loop: Header=BB144_40 Depth=1
	s_or_b32 exec_lo, exec_lo, s0
	v_lshlrev_b32_e32 v4, 16, v4
	s_delay_alu instid0(VALU_DEP_1) | instskip(NEXT) | instid1(VALU_DEP_1)
	v_mul_f32_e32 v30, v37, v4
	v_and_b32_e32 v4, 0x7f800000, v30
	s_delay_alu instid0(VALU_DEP_1) | instskip(SKIP_1) | instid1(SALU_CYCLE_1)
	v_cmp_ne_u32_e32 vcc_lo, 0x7f800000, v4
                                        ; implicit-def: $vgpr4
	s_and_saveexec_b32 s0, vcc_lo
	s_xor_b32 s0, exec_lo, s0
; %bb.178:                              ;   in Loop: Header=BB144_40 Depth=1
	v_bfe_u32 v4, v30, 16, 1
	s_delay_alu instid0(VALU_DEP_1)
	v_add3_u32 v4, v30, v4, 0x7fff
                                        ; implicit-def: $vgpr30
; %bb.179:                              ;   in Loop: Header=BB144_40 Depth=1
	s_and_not1_saveexec_b32 s0, s0
; %bb.180:                              ;   in Loop: Header=BB144_40 Depth=1
	v_and_b32_e32 v4, 0xffff, v30
	v_or_b32_e32 v31, 0x10000, v30
	s_delay_alu instid0(VALU_DEP_2) | instskip(NEXT) | instid1(VALU_DEP_2)
	v_cmp_eq_u32_e32 vcc_lo, 0, v4
	v_cndmask_b32_e32 v4, v31, v30, vcc_lo
; %bb.181:                              ;   in Loop: Header=BB144_40 Depth=1
	s_or_b32 exec_lo, exec_lo, s0
	v_lshlrev_b32_e32 v8, 16, v8
	s_delay_alu instid0(VALU_DEP_1) | instskip(NEXT) | instid1(VALU_DEP_1)
	v_mul_f32_e32 v30, v38, v8
	v_and_b32_e32 v8, 0x7f800000, v30
	s_delay_alu instid0(VALU_DEP_1) | instskip(SKIP_1) | instid1(SALU_CYCLE_1)
	v_cmp_ne_u32_e32 vcc_lo, 0x7f800000, v8
                                        ; implicit-def: $vgpr8
	s_and_saveexec_b32 s0, vcc_lo
	s_xor_b32 s0, exec_lo, s0
; %bb.182:                              ;   in Loop: Header=BB144_40 Depth=1
	v_bfe_u32 v8, v30, 16, 1
	s_delay_alu instid0(VALU_DEP_1)
	v_add3_u32 v8, v30, v8, 0x7fff
                                        ; implicit-def: $vgpr30
; %bb.183:                              ;   in Loop: Header=BB144_40 Depth=1
	s_and_not1_saveexec_b32 s0, s0
; %bb.184:                              ;   in Loop: Header=BB144_40 Depth=1
	v_and_b32_e32 v8, 0xffff, v30
	v_or_b32_e32 v31, 0x10000, v30
	s_delay_alu instid0(VALU_DEP_2) | instskip(NEXT) | instid1(VALU_DEP_2)
	v_cmp_eq_u32_e32 vcc_lo, 0, v8
	v_cndmask_b32_e32 v8, v31, v30, vcc_lo
; %bb.185:                              ;   in Loop: Header=BB144_40 Depth=1
	s_or_b32 exec_lo, exec_lo, s0
	v_lshlrev_b32_e32 v5, 16, v5
	s_delay_alu instid0(VALU_DEP_1) | instskip(NEXT) | instid1(VALU_DEP_1)
	v_mul_f32_e32 v30, v39, v5
	v_and_b32_e32 v5, 0x7f800000, v30
	s_delay_alu instid0(VALU_DEP_1) | instskip(SKIP_1) | instid1(SALU_CYCLE_1)
	v_cmp_ne_u32_e32 vcc_lo, 0x7f800000, v5
                                        ; implicit-def: $vgpr5
	s_and_saveexec_b32 s0, vcc_lo
	s_xor_b32 s0, exec_lo, s0
; %bb.186:                              ;   in Loop: Header=BB144_40 Depth=1
	v_bfe_u32 v5, v30, 16, 1
	s_delay_alu instid0(VALU_DEP_1)
	v_add3_u32 v5, v30, v5, 0x7fff
                                        ; implicit-def: $vgpr30
; %bb.187:                              ;   in Loop: Header=BB144_40 Depth=1
	s_and_not1_saveexec_b32 s0, s0
; %bb.188:                              ;   in Loop: Header=BB144_40 Depth=1
	v_and_b32_e32 v5, 0xffff, v30
	v_or_b32_e32 v31, 0x10000, v30
	s_delay_alu instid0(VALU_DEP_2) | instskip(NEXT) | instid1(VALU_DEP_2)
	v_cmp_eq_u32_e32 vcc_lo, 0, v5
	v_cndmask_b32_e32 v5, v31, v30, vcc_lo
; %bb.189:                              ;   in Loop: Header=BB144_40 Depth=1
	s_or_b32 exec_lo, exec_lo, s0
	v_lshlrev_b32_e32 v30, 16, v62
	s_delay_alu instid0(VALU_DEP_1) | instskip(NEXT) | instid1(VALU_DEP_1)
	v_mul_f32_e32 v31, v40, v30
	v_and_b32_e32 v30, 0x7f800000, v31
	s_delay_alu instid0(VALU_DEP_1) | instskip(SKIP_1) | instid1(SALU_CYCLE_1)
	v_cmp_ne_u32_e32 vcc_lo, 0x7f800000, v30
                                        ; implicit-def: $vgpr30
	s_and_saveexec_b32 s0, vcc_lo
	s_xor_b32 s0, exec_lo, s0
; %bb.190:                              ;   in Loop: Header=BB144_40 Depth=1
	v_bfe_u32 v30, v31, 16, 1
	s_delay_alu instid0(VALU_DEP_1)
	v_add3_u32 v30, v31, v30, 0x7fff
                                        ; implicit-def: $vgpr31
; %bb.191:                              ;   in Loop: Header=BB144_40 Depth=1
	s_and_not1_saveexec_b32 s0, s0
; %bb.192:                              ;   in Loop: Header=BB144_40 Depth=1
	v_and_b32_e32 v30, 0xffff, v31
	v_or_b32_e32 v32, 0x10000, v31
	s_delay_alu instid0(VALU_DEP_2) | instskip(NEXT) | instid1(VALU_DEP_2)
	v_cmp_eq_u32_e32 vcc_lo, 0, v30
	v_cndmask_b32_e32 v30, v32, v31, vcc_lo
; %bb.193:                              ;   in Loop: Header=BB144_40 Depth=1
	s_or_b32 exec_lo, exec_lo, s0
	v_lshlrev_b32_e32 v6, 16, v6
	s_delay_alu instid0(VALU_DEP_1) | instskip(NEXT) | instid1(VALU_DEP_1)
	v_mul_f32_e32 v31, v41, v6
	v_and_b32_e32 v6, 0x7f800000, v31
	s_delay_alu instid0(VALU_DEP_1) | instskip(SKIP_1) | instid1(SALU_CYCLE_1)
	v_cmp_ne_u32_e32 vcc_lo, 0x7f800000, v6
                                        ; implicit-def: $vgpr6
	s_and_saveexec_b32 s0, vcc_lo
	s_xor_b32 s0, exec_lo, s0
; %bb.194:                              ;   in Loop: Header=BB144_40 Depth=1
	v_bfe_u32 v6, v31, 16, 1
	s_delay_alu instid0(VALU_DEP_1)
	v_add3_u32 v6, v31, v6, 0x7fff
                                        ; implicit-def: $vgpr31
; %bb.195:                              ;   in Loop: Header=BB144_40 Depth=1
	s_and_not1_saveexec_b32 s0, s0
; %bb.196:                              ;   in Loop: Header=BB144_40 Depth=1
	v_and_b32_e32 v6, 0xffff, v31
	v_or_b32_e32 v32, 0x10000, v31
	s_delay_alu instid0(VALU_DEP_2) | instskip(NEXT) | instid1(VALU_DEP_2)
	v_cmp_eq_u32_e32 vcc_lo, 0, v6
	v_cndmask_b32_e32 v6, v32, v31, vcc_lo
; %bb.197:                              ;   in Loop: Header=BB144_40 Depth=1
	s_or_b32 exec_lo, exec_lo, s0
	v_lshlrev_b32_e32 v31, 16, v61
	s_delay_alu instid0(VALU_DEP_1) | instskip(NEXT) | instid1(VALU_DEP_1)
	v_mul_f32_e32 v32, v42, v31
	v_and_b32_e32 v31, 0x7f800000, v32
	s_delay_alu instid0(VALU_DEP_1) | instskip(SKIP_1) | instid1(SALU_CYCLE_1)
	v_cmp_ne_u32_e32 vcc_lo, 0x7f800000, v31
                                        ; implicit-def: $vgpr31
	s_and_saveexec_b32 s0, vcc_lo
	s_xor_b32 s0, exec_lo, s0
; %bb.198:                              ;   in Loop: Header=BB144_40 Depth=1
	v_bfe_u32 v31, v32, 16, 1
	s_delay_alu instid0(VALU_DEP_1)
	v_add3_u32 v31, v32, v31, 0x7fff
                                        ; implicit-def: $vgpr32
; %bb.199:                              ;   in Loop: Header=BB144_40 Depth=1
	s_and_not1_saveexec_b32 s0, s0
; %bb.200:                              ;   in Loop: Header=BB144_40 Depth=1
	v_and_b32_e32 v31, 0xffff, v32
	v_or_b32_e32 v33, 0x10000, v32
	s_delay_alu instid0(VALU_DEP_2) | instskip(NEXT) | instid1(VALU_DEP_2)
	v_cmp_eq_u32_e32 vcc_lo, 0, v31
	v_cndmask_b32_e32 v31, v33, v32, vcc_lo
; %bb.201:                              ;   in Loop: Header=BB144_40 Depth=1
	s_or_b32 exec_lo, exec_lo, s0
	v_lshlrev_b32_e32 v7, 16, v7
	s_delay_alu instid0(VALU_DEP_1) | instskip(NEXT) | instid1(VALU_DEP_1)
	v_mul_f32_e32 v32, v43, v7
	v_and_b32_e32 v7, 0x7f800000, v32
	s_delay_alu instid0(VALU_DEP_1) | instskip(SKIP_1) | instid1(SALU_CYCLE_1)
	v_cmp_ne_u32_e32 vcc_lo, 0x7f800000, v7
                                        ; implicit-def: $vgpr7
	s_and_saveexec_b32 s0, vcc_lo
	s_xor_b32 s0, exec_lo, s0
; %bb.202:                              ;   in Loop: Header=BB144_40 Depth=1
	v_bfe_u32 v7, v32, 16, 1
	s_delay_alu instid0(VALU_DEP_1)
	v_add3_u32 v7, v32, v7, 0x7fff
                                        ; implicit-def: $vgpr32
; %bb.203:                              ;   in Loop: Header=BB144_40 Depth=1
	s_and_not1_saveexec_b32 s0, s0
; %bb.204:                              ;   in Loop: Header=BB144_40 Depth=1
	v_and_b32_e32 v7, 0xffff, v32
	v_or_b32_e32 v33, 0x10000, v32
	s_delay_alu instid0(VALU_DEP_2) | instskip(NEXT) | instid1(VALU_DEP_2)
	v_cmp_eq_u32_e32 vcc_lo, 0, v7
	v_cndmask_b32_e32 v7, v33, v32, vcc_lo
; %bb.205:                              ;   in Loop: Header=BB144_40 Depth=1
	s_or_b32 exec_lo, exec_lo, s0
	v_lshlrev_b32_e32 v9, 16, v9
	s_delay_alu instid0(VALU_DEP_1) | instskip(NEXT) | instid1(VALU_DEP_1)
	v_mul_f32_e32 v32, v44, v9
	v_and_b32_e32 v9, 0x7f800000, v32
	s_delay_alu instid0(VALU_DEP_1) | instskip(SKIP_1) | instid1(SALU_CYCLE_1)
	v_cmp_ne_u32_e32 vcc_lo, 0x7f800000, v9
                                        ; implicit-def: $vgpr9
	s_and_saveexec_b32 s0, vcc_lo
	s_xor_b32 s0, exec_lo, s0
; %bb.206:                              ;   in Loop: Header=BB144_40 Depth=1
	v_bfe_u32 v9, v32, 16, 1
	s_delay_alu instid0(VALU_DEP_1)
	v_add3_u32 v9, v32, v9, 0x7fff
                                        ; implicit-def: $vgpr32
; %bb.207:                              ;   in Loop: Header=BB144_40 Depth=1
	s_and_not1_saveexec_b32 s0, s0
	s_cbranch_execz .LBB144_38
; %bb.208:                              ;   in Loop: Header=BB144_40 Depth=1
	v_and_b32_e32 v9, 0xffff, v32
	v_or_b32_e32 v33, 0x10000, v32
	s_delay_alu instid0(VALU_DEP_2) | instskip(NEXT) | instid1(VALU_DEP_2)
	v_cmp_eq_u32_e32 vcc_lo, 0, v9
	v_cndmask_b32_e32 v9, v33, v32, vcc_lo
	s_branch .LBB144_38
.LBB144_209:
	s_or_b32 exec_lo, exec_lo, s4
.LBB144_210:
	s_delay_alu instid0(SALU_CYCLE_1)
	s_or_b32 exec_lo, exec_lo, s1
	v_and_b32_e32 v2, 0x3c0, v0
	v_lshl_add_u32 v1, v15, 9, 0x120
	s_mov_b32 s0, exec_lo
	s_waitcnt_vscnt null, 0x0
	s_barrier
	buffer_gl0_inv
	v_cmpx_eq_u32_e32 64, v2
	s_cbranch_execz .LBB144_212
; %bb.211:
	v_add_nc_u32_e32 v2, 0xfffffc00, v1
	v_lshl_or_b32 v4, v0, 2, 0x180
	s_delay_alu instid0(VALU_DEP_2) | instskip(NEXT) | instid1(VALU_DEP_2)
	v_lshl_add_u32 v5, v17, 2, v2
	v_add_nc_u32_e32 v2, v2, v4
	ds_store_2addr_b32 v5, v20, v19 offset1:32
	ds_store_b32 v5, v18 offset:256
	ds_store_b32 v2, v3
.LBB144_212:
	s_or_b32 exec_lo, exec_lo, s0
	v_lshl_add_u32 v2, v17, 2, v1
	s_waitcnt lgkmcnt(0)
	s_barrier
	buffer_gl0_inv
	s_and_saveexec_b32 s0, s2
	s_cbranch_execz .LBB144_214
; %bb.213:
	v_or_b32_e32 v4, 0x80, v14
	v_or_b32_e32 v5, 0x180, v14
	s_delay_alu instid0(VALU_DEP_2) | instskip(NEXT) | instid1(VALU_DEP_2)
	v_add_nc_u32_e32 v6, v1, v4
	v_add_nc_u32_e32 v7, v1, v5
	ds_load_2addr_stride64_b32 v[4:5], v2 offset1:1
	ds_load_b32 v6, v6
	ds_load_b32 v7, v7
	s_waitcnt lgkmcnt(2)
	v_add_f32_e32 v20, v20, v4
	s_waitcnt lgkmcnt(1)
	v_dual_add_f32 v18, v18, v5 :: v_dual_add_f32 v19, v19, v6
	s_waitcnt lgkmcnt(0)
	v_add_f32_e32 v3, v3, v7
.LBB144_214:
	s_or_b32 exec_lo, exec_lo, s0
	v_and_b32_e32 v4, 0x3e0, v0
	s_mov_b32 s0, exec_lo
	s_barrier
	buffer_gl0_inv
	v_cmpx_eq_u32_e32 32, v4
	s_cbranch_execz .LBB144_216
; %bb.215:
	v_or_b32_e32 v4, 0x180, v14
	v_lshl_add_u32 v5, v17, 2, 0x120
	v_add_nc_u32_e32 v6, 0x120, v14
	s_delay_alu instid0(VALU_DEP_3)
	v_add_nc_u32_e32 v4, 0x120, v4
	ds_store_b32 v5, v20
	ds_store_b32 v6, v19
	ds_store_b32 v5, v18 offset:256
	ds_store_b32 v4, v3
.LBB144_216:
	s_or_b32 exec_lo, exec_lo, s0
	v_cmp_gt_u32_e32 vcc_lo, 32, v0
	s_waitcnt lgkmcnt(0)
	s_barrier
	buffer_gl0_inv
	s_and_saveexec_b32 s0, vcc_lo
	s_cbranch_execz .LBB144_218
; %bb.217:
	v_lshl_add_u32 v4, v0, 2, v1
	ds_load_b32 v5, v2
	ds_load_2addr_b32 v[1:2], v4 offset0:32 offset1:64
	ds_load_b32 v4, v4 offset:384
	s_waitcnt lgkmcnt(2)
	v_add_f32_e32 v20, v20, v5
	s_waitcnt lgkmcnt(1)
	v_dual_add_f32 v19, v19, v1 :: v_dual_add_f32 v18, v18, v2
	s_waitcnt lgkmcnt(0)
	v_add_f32_e32 v3, v3, v4
.LBB144_218:
	s_or_b32 exec_lo, exec_lo, s0
	s_barrier
	buffer_gl0_inv
	s_and_saveexec_b32 s0, vcc_lo
	s_cbranch_execz .LBB144_236
; %bb.219:
	v_and_b32_e32 v1, 0x7f800000, v20
	s_delay_alu instid0(VALU_DEP_1) | instskip(SKIP_1) | instid1(SALU_CYCLE_1)
	v_cmp_ne_u32_e32 vcc_lo, 0x7f800000, v1
                                        ; implicit-def: $vgpr1
	s_and_saveexec_b32 s0, vcc_lo
	s_xor_b32 s0, exec_lo, s0
; %bb.220:
	v_bfe_u32 v1, v20, 16, 1
	s_delay_alu instid0(VALU_DEP_1)
	v_add3_u32 v1, v20, v1, 0x7fff
; %bb.221:
	s_and_not1_saveexec_b32 s0, s0
; %bb.222:
	v_and_b32_e32 v1, 0xffff, v20
	v_or_b32_e32 v2, 0x10000, v20
	s_delay_alu instid0(VALU_DEP_2) | instskip(NEXT) | instid1(VALU_DEP_2)
	v_cmp_eq_u32_e32 vcc_lo, 0, v1
	v_cndmask_b32_e32 v1, v2, v20, vcc_lo
; %bb.223:
	s_or_b32 exec_lo, exec_lo, s0
	s_lshl_b32 s0, s6, 7
	s_mul_i32 s2, s8, s20
	s_ashr_i32 s1, s0, 31
	v_lshlrev_b32_e32 v0, 1, v0
	s_lshl_b64 s[0:1], s[0:1], 1
	v_and_b32_e32 v2, 0x7f800000, v19
	s_add_u32 s4, s22, s0
	s_addc_u32 s5, s23, s1
	s_ashr_i32 s3, s2, 31
	s_delay_alu instid0(SALU_CYCLE_1) | instskip(NEXT) | instid1(SALU_CYCLE_1)
	s_lshl_b64 s[0:1], s[2:3], 1
	s_add_u32 s2, s4, s0
	s_addc_u32 s3, s5, s1
	s_lshl_b32 s0, s12, 7
	s_delay_alu instid0(SALU_CYCLE_1) | instskip(NEXT) | instid1(SALU_CYCLE_1)
	s_ashr_i32 s1, s0, 31
	s_lshl_b64 s[0:1], s[0:1], 1
	s_delay_alu instid0(SALU_CYCLE_1) | instskip(SKIP_2) | instid1(VALU_DEP_1)
	s_add_u32 s0, s2, s0
	s_addc_u32 s1, s3, s1
	v_add_co_u32 v4, s2, s0, v0
	v_add_co_ci_u32_e64 v5, null, s1, 0, s2
	global_store_d16_hi_b16 v0, v1, s[0:1]
	s_mov_b32 s0, exec_lo
                                        ; implicit-def: $vgpr0
	v_cmpx_ne_u32_e32 0x7f800000, v2
	s_xor_b32 s0, exec_lo, s0
; %bb.224:
	v_bfe_u32 v0, v19, 16, 1
	s_delay_alu instid0(VALU_DEP_1)
	v_add3_u32 v0, v19, v0, 0x7fff
; %bb.225:
	s_and_not1_saveexec_b32 s0, s0
; %bb.226:
	v_and_b32_e32 v0, 0xffff, v19
	v_or_b32_e32 v1, 0x10000, v19
	s_delay_alu instid0(VALU_DEP_2) | instskip(NEXT) | instid1(VALU_DEP_2)
	v_cmp_eq_u32_e32 vcc_lo, 0, v0
	v_cndmask_b32_e32 v0, v1, v19, vcc_lo
; %bb.227:
	s_or_b32 exec_lo, exec_lo, s0
	v_and_b32_e32 v1, 0x7f800000, v18
	s_mov_b32 s0, exec_lo
	global_store_d16_hi_b16 v[4:5], v0, off offset:64
                                        ; implicit-def: $vgpr0
	v_cmpx_ne_u32_e32 0x7f800000, v1
	s_xor_b32 s0, exec_lo, s0
; %bb.228:
	v_bfe_u32 v0, v18, 16, 1
	s_delay_alu instid0(VALU_DEP_1)
	v_add3_u32 v0, v18, v0, 0x7fff
; %bb.229:
	s_and_not1_saveexec_b32 s0, s0
; %bb.230:
	v_and_b32_e32 v0, 0xffff, v18
	v_or_b32_e32 v1, 0x10000, v18
	s_delay_alu instid0(VALU_DEP_2) | instskip(NEXT) | instid1(VALU_DEP_2)
	v_cmp_eq_u32_e32 vcc_lo, 0, v0
	v_cndmask_b32_e32 v0, v1, v18, vcc_lo
; %bb.231:
	s_or_b32 exec_lo, exec_lo, s0
	v_and_b32_e32 v1, 0x7f800000, v3
	s_mov_b32 s0, exec_lo
	global_store_d16_hi_b16 v[4:5], v0, off offset:128
                                        ; implicit-def: $vgpr6
	v_cmpx_ne_u32_e32 0x7f800000, v1
	s_xor_b32 s0, exec_lo, s0
; %bb.232:
	v_bfe_u32 v0, v3, 16, 1
	s_delay_alu instid0(VALU_DEP_1)
	v_add3_u32 v6, v3, v0, 0x7fff
                                        ; implicit-def: $vgpr0_vgpr1_vgpr2_vgpr3
; %bb.233:
	s_and_not1_saveexec_b32 s0, s0
; %bb.234:
	v_and_b32_e32 v0, 0xffff, v3
	v_or_b32_e32 v1, 0x10000, v3
	s_delay_alu instid0(VALU_DEP_2) | instskip(NEXT) | instid1(VALU_DEP_2)
	v_cmp_eq_u32_e32 vcc_lo, 0, v0
	v_cndmask_b32_e32 v6, v1, v3, vcc_lo
; %bb.235:
	s_or_b32 exec_lo, exec_lo, s0
	global_store_d16_hi_b16 v[4:5], v6, off offset:192
.LBB144_236:
	s_nop 0
	s_sendmsg sendmsg(MSG_DEALLOC_VGPRS)
	s_endpgm
	.section	.rodata,"a",@progbits
	.p2align	6, 0x0
	.amdhsa_kernel _ZN4vllm25paged_attention_v2_kernelI14__hip_bfloat16S1_Li128ELi8ELi128ELNS_18Fp8KVCacheDataTypeE0ELb1ELi512EEEvPfS3_PT_PKS4_PKT0_SA_ifPKiSC_iPKfiiiSE_SE_iiiii
		.amdhsa_group_segment_fixed_size 288
		.amdhsa_private_segment_fixed_size 0
		.amdhsa_kernarg_size 400
		.amdhsa_user_sgpr_count 13
		.amdhsa_user_sgpr_dispatch_ptr 0
		.amdhsa_user_sgpr_queue_ptr 0
		.amdhsa_user_sgpr_kernarg_segment_ptr 1
		.amdhsa_user_sgpr_dispatch_id 0
		.amdhsa_user_sgpr_private_segment_size 0
		.amdhsa_wavefront_size32 1
		.amdhsa_uses_dynamic_stack 0
		.amdhsa_enable_private_segment 0
		.amdhsa_system_sgpr_workgroup_id_x 1
		.amdhsa_system_sgpr_workgroup_id_y 1
		.amdhsa_system_sgpr_workgroup_id_z 1
		.amdhsa_system_sgpr_workgroup_info 0
		.amdhsa_system_vgpr_workitem_id 0
		.amdhsa_next_free_vgpr 72
		.amdhsa_next_free_sgpr 48
		.amdhsa_reserve_vcc 1
		.amdhsa_float_round_mode_32 0
		.amdhsa_float_round_mode_16_64 0
		.amdhsa_float_denorm_mode_32 3
		.amdhsa_float_denorm_mode_16_64 3
		.amdhsa_dx10_clamp 1
		.amdhsa_ieee_mode 1
		.amdhsa_fp16_overflow 0
		.amdhsa_workgroup_processor_mode 1
		.amdhsa_memory_ordered 1
		.amdhsa_forward_progress 0
		.amdhsa_shared_vgpr_count 0
		.amdhsa_exception_fp_ieee_invalid_op 0
		.amdhsa_exception_fp_denorm_src 0
		.amdhsa_exception_fp_ieee_div_zero 0
		.amdhsa_exception_fp_ieee_overflow 0
		.amdhsa_exception_fp_ieee_underflow 0
		.amdhsa_exception_fp_ieee_inexact 0
		.amdhsa_exception_int_div_zero 0
	.end_amdhsa_kernel
	.section	.text._ZN4vllm25paged_attention_v2_kernelI14__hip_bfloat16S1_Li128ELi8ELi128ELNS_18Fp8KVCacheDataTypeE0ELb1ELi512EEEvPfS3_PT_PKS4_PKT0_SA_ifPKiSC_iPKfiiiSE_SE_iiiii,"axG",@progbits,_ZN4vllm25paged_attention_v2_kernelI14__hip_bfloat16S1_Li128ELi8ELi128ELNS_18Fp8KVCacheDataTypeE0ELb1ELi512EEEvPfS3_PT_PKS4_PKT0_SA_ifPKiSC_iPKfiiiSE_SE_iiiii,comdat
.Lfunc_end144:
	.size	_ZN4vllm25paged_attention_v2_kernelI14__hip_bfloat16S1_Li128ELi8ELi128ELNS_18Fp8KVCacheDataTypeE0ELb1ELi512EEEvPfS3_PT_PKS4_PKT0_SA_ifPKiSC_iPKfiiiSE_SE_iiiii, .Lfunc_end144-_ZN4vllm25paged_attention_v2_kernelI14__hip_bfloat16S1_Li128ELi8ELi128ELNS_18Fp8KVCacheDataTypeE0ELb1ELi512EEEvPfS3_PT_PKS4_PKT0_SA_ifPKiSC_iPKfiiiSE_SE_iiiii
                                        ; -- End function
	.section	.AMDGPU.csdata,"",@progbits
; Kernel info:
; codeLenInByte = 10628
; NumSgprs: 50
; NumVgprs: 72
; ScratchSize: 0
; MemoryBound: 0
; FloatMode: 240
; IeeeMode: 1
; LDSByteSize: 288 bytes/workgroup (compile time only)
; SGPRBlocks: 6
; VGPRBlocks: 8
; NumSGPRsForWavesPerEU: 50
; NumVGPRsForWavesPerEU: 72
; Occupancy: 16
; WaveLimiterHint : 1
; COMPUTE_PGM_RSRC2:SCRATCH_EN: 0
; COMPUTE_PGM_RSRC2:USER_SGPR: 13
; COMPUTE_PGM_RSRC2:TRAP_HANDLER: 0
; COMPUTE_PGM_RSRC2:TGID_X_EN: 1
; COMPUTE_PGM_RSRC2:TGID_Y_EN: 1
; COMPUTE_PGM_RSRC2:TGID_Z_EN: 1
; COMPUTE_PGM_RSRC2:TIDIG_COMP_CNT: 0
	.section	.text._ZN4vllm32paged_attention_v2_reduce_kernelI14__hip_bfloat16Li128ELi128ELi512EEEvPT_PKfS5_PKS2_PKii,"axG",@progbits,_ZN4vllm32paged_attention_v2_reduce_kernelI14__hip_bfloat16Li128ELi128ELi512EEEvPT_PKfS5_PKS2_PKii,comdat
	.protected	_ZN4vllm32paged_attention_v2_reduce_kernelI14__hip_bfloat16Li128ELi128ELi512EEEvPT_PKfS5_PKS2_PKii ; -- Begin function _ZN4vllm32paged_attention_v2_reduce_kernelI14__hip_bfloat16Li128ELi128ELi512EEEvPT_PKfS5_PKS2_PKii
	.globl	_ZN4vllm32paged_attention_v2_reduce_kernelI14__hip_bfloat16Li128ELi128ELi512EEEvPT_PKfS5_PKS2_PKii
	.p2align	8
	.type	_ZN4vllm32paged_attention_v2_reduce_kernelI14__hip_bfloat16Li128ELi128ELi512EEEvPT_PKfS5_PKS2_PKii,@function
_ZN4vllm32paged_attention_v2_reduce_kernelI14__hip_bfloat16Li128ELi128ELi512EEEvPT_PKfS5_PKS2_PKii: ; @_ZN4vllm32paged_attention_v2_reduce_kernelI14__hip_bfloat16Li128ELi128ELi512EEEvPT_PKfS5_PKS2_PKii
; %bb.0:
	s_load_b128 s[4:7], s[0:1], 0x18
	s_add_u32 s8, s0, 48
	s_mov_b32 s10, s15
	s_addc_u32 s9, s1, 0
	s_ashr_i32 s11, s15, 31
	s_delay_alu instid0(SALU_CYCLE_1)
	s_lshl_b64 s[2:3], s[10:11], 2
	s_waitcnt lgkmcnt(0)
	s_add_u32 s2, s6, s2
	s_addc_u32 s3, s7, s3
	s_load_b32 s20, s[2:3], 0x0
	s_clause 0x2
	s_load_b64 s[6:7], s[0:1], 0x0
	s_load_b32 s11, s[0:1], 0x28
	s_load_b32 s15, s[0:1], 0x30
	s_waitcnt lgkmcnt(0)
	s_add_i32 s2, s20, -1
	s_delay_alu instid0(SALU_CYCLE_1)
	s_cmpk_gt_u32 s2, 0x1ff
	s_mov_b32 s2, -1
	s_cbranch_scc0 .LBB145_30
; %bb.1:
	s_load_b64 s[2:3], s[0:1], 0x8
	s_add_i32 s12, s20, 0x1ff
	s_mul_i32 s18, s15, s10
	s_ashr_i32 s13, s12, 31
	v_dual_mov_b32 v4, 0xff7fffff :: v_dual_lshlrev_b32 v3, 2, v0
	s_lshr_b32 s13, s13, 23
	s_mul_i32 s16, s14, s11
	s_add_i32 s12, s12, s13
	s_ashr_i32 s17, s16, 31
	s_ashr_i32 s19, s12, 9
	s_mul_i32 s12, s18, s11
	v_cmp_gt_i32_e32 vcc_lo, s19, v0
	s_ashr_i32 s13, s12, 31
	s_and_saveexec_b32 s21, vcc_lo
	s_cbranch_execz .LBB145_5
; %bb.2:
	s_load_b32 s28, s[8:9], 0xc
	s_load_b64 s[22:23], s[0:1], 0x10
	s_lshl_b64 s[24:25], s[12:13], 2
	s_lshl_b64 s[26:27], s[16:17], 2
	v_dual_mov_b32 v4, 0xff7fffff :: v_dual_add_nc_u32 v5, 32, v3
	v_mov_b32_e32 v6, v0
	s_waitcnt lgkmcnt(0)
	s_and_b32 s1, s28, 0xffff
	s_add_u32 s0, s24, s26
	s_addc_u32 s24, s25, s27
	s_add_u32 s0, s22, s0
	s_addc_u32 s22, s23, s24
	v_add_co_u32 v1, s0, s0, v3
	s_delay_alu instid0(VALU_DEP_1)
	v_add_co_ci_u32_e64 v2, null, s22, 0, s0
	s_mov_b32 s22, 0
	s_lshl_b32 s23, s1, 2
	.p2align	6
.LBB145_3:                              ; =>This Inner Loop Header: Depth=1
	global_load_b32 v7, v[1:2], off
	v_add_nc_u32_e32 v6, s1, v6
	v_max_f32_e32 v4, v4, v4
	v_add_co_u32 v1, s0, v1, s23
	s_delay_alu instid0(VALU_DEP_1) | instskip(NEXT) | instid1(VALU_DEP_4)
	v_add_co_ci_u32_e64 v2, s0, 0, v2, s0
	v_cmp_le_i32_e64 s0, s19, v6
	s_delay_alu instid0(VALU_DEP_1)
	s_or_b32 s22, s0, s22
	s_waitcnt vmcnt(0)
	v_max_f32_e32 v8, v7, v7
	ds_store_b32 v5, v7
	v_dual_max_f32 v4, v4, v8 :: v_dual_add_nc_u32 v5, s23, v5
	s_and_not1_b32 exec_lo, exec_lo, s22
	s_cbranch_execnz .LBB145_3
; %bb.4:
	s_or_b32 exec_lo, exec_lo, s22
.LBB145_5:
	s_delay_alu instid0(SALU_CYCLE_1)
	s_or_b32 exec_lo, exec_lo, s21
	v_mbcnt_lo_u32_b32 v1, -1, 0
	s_waitcnt lgkmcnt(0)
	s_barrier
	buffer_gl0_inv
	v_xor_b32_e32 v2, 16, v1
	v_xor_b32_e32 v5, 8, v1
	s_delay_alu instid0(VALU_DEP_2) | instskip(NEXT) | instid1(VALU_DEP_1)
	v_cmp_gt_i32_e64 s0, 32, v2
	v_cndmask_b32_e64 v2, v1, v2, s0
	s_delay_alu instid0(VALU_DEP_3) | instskip(NEXT) | instid1(VALU_DEP_2)
	v_cmp_gt_i32_e64 s0, 32, v5
	v_lshlrev_b32_e32 v6, 2, v2
	s_delay_alu instid0(VALU_DEP_2) | instskip(SKIP_3) | instid1(VALU_DEP_1)
	v_cndmask_b32_e64 v5, v1, v5, s0
	ds_bpermute_b32 v2, v6, v4
	v_dual_max_f32 v4, v4, v4 :: v_dual_lshlrev_b32 v7, 2, v5
	v_xor_b32_e32 v5, 4, v1
	v_cmp_gt_i32_e64 s0, 32, v5
	s_delay_alu instid0(VALU_DEP_1) | instskip(NEXT) | instid1(VALU_DEP_1)
	v_cndmask_b32_e64 v5, v1, v5, s0
	v_lshlrev_b32_e32 v8, 2, v5
	v_xor_b32_e32 v5, 2, v1
	s_waitcnt lgkmcnt(0)
	v_max_f32_e32 v2, v2, v2
	s_delay_alu instid0(VALU_DEP_2) | instskip(NEXT) | instid1(VALU_DEP_2)
	v_cmp_gt_i32_e64 s0, 32, v5
	v_max_f32_e32 v2, v4, v2
	s_delay_alu instid0(VALU_DEP_2) | instskip(SKIP_3) | instid1(VALU_DEP_1)
	v_cndmask_b32_e64 v5, v1, v5, s0
	ds_bpermute_b32 v4, v7, v2
	s_waitcnt lgkmcnt(0)
	v_max_f32_e32 v4, v4, v4
	v_max_f32_e32 v2, v2, v4
	ds_bpermute_b32 v4, v8, v2
	s_waitcnt lgkmcnt(0)
	v_dual_max_f32 v9, v4, v4 :: v_dual_lshlrev_b32 v4, 2, v5
	s_delay_alu instid0(VALU_DEP_1) | instskip(SKIP_3) | instid1(VALU_DEP_1)
	v_max_f32_e32 v2, v2, v9
	v_xor_b32_e32 v9, 1, v1
	ds_bpermute_b32 v5, v4, v2
	v_cmp_gt_i32_e64 s0, 32, v9
	v_cndmask_b32_e64 v1, v1, v9, s0
	v_lshrrev_b32_e32 v9, 5, v0
	s_delay_alu instid0(VALU_DEP_1) | instskip(SKIP_2) | instid1(VALU_DEP_1)
	v_lshlrev_b32_e32 v9, 2, v9
	s_waitcnt lgkmcnt(0)
	v_max_f32_e32 v5, v5, v5
	v_max_f32_e32 v2, v2, v5
	v_lshlrev_b32_e32 v5, 2, v1
	v_and_b32_e32 v1, 31, v0
	ds_bpermute_b32 v10, v5, v2
	v_cmp_eq_u32_e64 s0, 0, v1
	s_delay_alu instid0(VALU_DEP_1)
	s_and_saveexec_b32 s1, s0
	s_cbranch_execz .LBB145_7
; %bb.6:
	s_waitcnt lgkmcnt(0)
	v_max_f32_e32 v10, v10, v10
	v_max_f32_e32 v2, v2, v2
	s_delay_alu instid0(VALU_DEP_1)
	v_max_f32_e32 v2, v2, v10
	ds_store_b32 v9, v2
.LBB145_7:
	s_or_b32 exec_lo, exec_lo, s1
	v_cmp_gt_u32_e64 s1, 4, v1
	v_mov_b32_e32 v2, 0xff7fffff
	s_waitcnt lgkmcnt(0)
	v_lshlrev_b32_e32 v10, 2, v1
	s_barrier
	buffer_gl0_inv
	s_and_saveexec_b32 s21, s1
	s_cbranch_execz .LBB145_9
; %bb.8:
	ds_load_b32 v2, v10
.LBB145_9:
	s_or_b32 exec_lo, exec_lo, s21
	s_waitcnt lgkmcnt(0)
	ds_bpermute_b32 v1, v4, v2
	v_max_f32_e32 v2, v2, v2
	s_lshl_b32 s21, s19, 2
	s_waitcnt lgkmcnt(0)
	v_dual_mov_b32 v12, 0 :: v_dual_max_f32 v1, v1, v1
	s_delay_alu instid0(VALU_DEP_1) | instskip(SKIP_3) | instid1(VALU_DEP_1)
	v_max_f32_e32 v1, v2, v1
	ds_bpermute_b32 v2, v5, v1
	s_waitcnt lgkmcnt(0)
	v_max_f32_e32 v2, v2, v2
	v_max_f32_e32 v1, v1, v2
	ds_bpermute_b32 v11, v12, v1
	s_and_saveexec_b32 s22, vcc_lo
	s_cbranch_execz .LBB145_13
; %bb.10:
	s_load_b32 s23, s[8:9], 0xc
	s_lshl_b64 s[24:25], s[12:13], 2
	s_lshl_b64 s[26:27], s[16:17], 2
	v_dual_mov_b32 v12, 0 :: v_dual_add_nc_u32 v13, 32, v3
	s_waitcnt lgkmcnt(0)
	s_and_b32 s13, s23, 0xffff
	s_add_u32 s17, s24, s26
	s_addc_u32 s23, s25, s27
	s_add_u32 s2, s2, s17
	s_addc_u32 s3, s3, s23
	v_add_co_u32 v1, s2, s2, v3
	s_delay_alu instid0(VALU_DEP_1)
	v_add_co_ci_u32_e64 v2, null, s3, 0, s2
	v_mov_b32_e32 v3, v0
	s_mov_b32 s3, 0
	s_lshl_b32 s17, s13, 2
	s_set_inst_prefetch_distance 0x1
	.p2align	6
.LBB145_11:                             ; =>This Inner Loop Header: Depth=1
	global_load_b32 v14, v[1:2], off
	ds_load_b32 v15, v13
	v_add_nc_u32_e32 v3, s13, v3
	s_waitcnt lgkmcnt(0)
	v_sub_f32_e32 v15, v15, v11
	s_delay_alu instid0(VALU_DEP_1) | instskip(NEXT) | instid1(VALU_DEP_1)
	v_mul_f32_e32 v16, 0x3fb8aa3b, v15
	v_fma_f32 v17, 0x3fb8aa3b, v15, -v16
	v_rndne_f32_e32 v18, v16
	s_delay_alu instid0(VALU_DEP_1) | instskip(SKIP_1) | instid1(VALU_DEP_4)
	v_sub_f32_e32 v16, v16, v18
	v_cmp_ngt_f32_e32 vcc_lo, 0xc2ce8ed0, v15
	v_fmac_f32_e32 v17, 0x32a5705f, v15
	v_cmp_nlt_f32_e64 s2, 0x42b17218, v15
	s_delay_alu instid0(VALU_DEP_2) | instskip(SKIP_1) | instid1(VALU_DEP_2)
	v_add_f32_e32 v16, v16, v17
	v_cvt_i32_f32_e32 v17, v18
	v_exp_f32_e32 v16, v16
	s_waitcnt_depctr 0xfff
	v_ldexp_f32 v16, v16, v17
	s_delay_alu instid0(VALU_DEP_1) | instskip(SKIP_2) | instid1(VALU_DEP_3)
	v_dual_cndmask_b32 v16, 0, v16 :: v_dual_add_nc_u32 v17, s21, v13
	v_add_co_u32 v1, vcc_lo, v1, s17
	v_add_co_ci_u32_e32 v2, vcc_lo, 0, v2, vcc_lo
	v_cndmask_b32_e64 v15, 0x7f800000, v16, s2
	v_cmp_le_i32_e32 vcc_lo, s19, v3
	v_add_nc_u32_e32 v13, s17, v13
	s_or_b32 s3, vcc_lo, s3
	s_waitcnt vmcnt(0)
	v_mul_f32_e32 v16, v14, v15
	v_fmac_f32_e32 v12, v14, v15
	ds_store_b32 v17, v16
	s_and_not1_b32 exec_lo, exec_lo, s3
	s_cbranch_execnz .LBB145_11
; %bb.12:
	s_set_inst_prefetch_distance 0x2
	s_or_b32 exec_lo, exec_lo, s3
.LBB145_13:
	s_delay_alu instid0(SALU_CYCLE_1)
	s_or_b32 exec_lo, exec_lo, s22
	ds_bpermute_b32 v1, v6, v12
	s_waitcnt lgkmcnt(0)
	s_barrier
	buffer_gl0_inv
	v_add_f32_e32 v1, v12, v1
	ds_bpermute_b32 v2, v7, v1
	s_waitcnt lgkmcnt(0)
	v_add_f32_e32 v1, v1, v2
	ds_bpermute_b32 v2, v8, v1
	s_waitcnt lgkmcnt(0)
	;; [unrolled: 3-line block ×4, first 2 shown]
	v_add_f32_e32 v1, v1, v2
	s_and_saveexec_b32 s2, s0
	s_cbranch_execz .LBB145_15
; %bb.14:
	ds_store_b32 v9, v1 offset:16
.LBB145_15:
	s_or_b32 exec_lo, exec_lo, s2
	s_waitcnt lgkmcnt(0)
	s_barrier
	buffer_gl0_inv
	s_and_saveexec_b32 s0, s1
	s_cbranch_execz .LBB145_17
; %bb.16:
	ds_load_b32 v1, v10 offset:16
.LBB145_17:
	s_or_b32 exec_lo, exec_lo, s0
	s_waitcnt lgkmcnt(0)
	ds_bpermute_b32 v2, v4, v1
	s_mov_b32 s0, exec_lo
	s_waitcnt lgkmcnt(0)
	v_add_f32_e32 v1, v1, v2
	ds_bpermute_b32 v2, v5, v1
	s_waitcnt lgkmcnt(0)
	v_dual_add_f32 v1, v1, v2 :: v_dual_mov_b32 v2, 0
	ds_bpermute_b32 v2, v2, v1
	v_cmpx_gt_u32_e32 0x80, v0
	s_cbranch_execz .LBB145_29
; %bb.18:
	s_cmp_gt_i32 s20, 0
	s_mov_b32 s1, 0
	s_cbranch_scc1 .LBB145_20
; %bb.19:
	v_mov_b32_e32 v1, 0
	s_branch .LBB145_21
.LBB145_20:
	s_mov_b32 s1, -1
.LBB145_21:
	s_delay_alu instid0(SALU_CYCLE_1) | instskip(SKIP_1) | instid1(VALU_DEP_2)
	v_cndmask_b32_e64 v3, 0, 1, s1
	v_mov_b32_e32 v4, s1
	v_cmp_ne_u32_e32 vcc_lo, 1, v3
	s_cbranch_vccnz .LBB145_24
; %bb.22:
	s_waitcnt lgkmcnt(0)
	v_add_f32_e32 v4, 0x358637bd, v2
	s_lshl_b32 s12, s12, 7
	s_lshl_b32 s16, s16, 7
	s_ashr_i32 s13, s12, 31
	s_ashr_i32 s17, s16, 31
	v_div_scale_f32 v2, null, v4, v4, 1.0
	s_lshl_b64 s[12:13], s[12:13], 1
	s_lshl_b64 s[16:17], s[16:17], 1
	s_max_i32 s1, s19, 1
	s_delay_alu instid0(VALU_DEP_1)
	v_rcp_f32_e32 v3, v2
	s_add_i32 s2, s21, 32
	s_add_u32 s3, s12, s16
	s_addc_u32 s12, s13, s17
	s_add_u32 s3, s4, s3
	s_addc_u32 s12, s5, s12
	s_waitcnt_depctr 0xfff
	v_fma_f32 v1, -v2, v3, 1.0
	s_delay_alu instid0(VALU_DEP_1) | instskip(SKIP_1) | instid1(VALU_DEP_1)
	v_fmac_f32_e32 v3, v1, v3
	v_div_scale_f32 v5, vcc_lo, 1.0, v4, 1.0
	v_dual_mov_b32 v1, 0 :: v_dual_mul_f32 v6, v5, v3
	s_delay_alu instid0(VALU_DEP_1) | instskip(NEXT) | instid1(VALU_DEP_1)
	v_fma_f32 v7, -v2, v6, v5
	v_dual_fmac_f32 v6, v7, v3 :: v_dual_lshlrev_b32 v7, 1, v0
	s_delay_alu instid0(VALU_DEP_1) | instskip(NEXT) | instid1(VALU_DEP_1)
	v_fma_f32 v2, -v2, v6, v5
	v_div_fmas_f32 v5, v2, v3, v6
	s_delay_alu instid0(VALU_DEP_3) | instskip(NEXT) | instid1(VALU_DEP_1)
	v_add_co_u32 v2, s3, s3, v7
	v_add_co_ci_u32_e64 v3, null, s12, 0, s3
	s_delay_alu instid0(VALU_DEP_3)
	v_div_fixup_f32 v5, v5, v4, 1.0
	v_mov_b32_e32 v4, v1
.LBB145_23:                             ; =>This Inner Loop Header: Depth=1
	global_load_u16 v6, v[2:3], off
	v_mov_b32_e32 v7, s2
	v_add_co_u32 v2, vcc_lo, 0x100, v2
	v_add_co_ci_u32_e32 v3, vcc_lo, 0, v3, vcc_lo
	s_add_i32 s1, s1, -1
	s_add_i32 s2, s2, 4
	s_cmp_eq_u32 s1, 0
	s_waitcnt vmcnt(0)
	v_lshlrev_b32_e32 v6, 16, v6
	ds_load_b32 v7, v7
	s_waitcnt lgkmcnt(0)
	v_mul_f32_e32 v6, v7, v6
	s_delay_alu instid0(VALU_DEP_1)
	v_fmac_f32_e32 v4, v5, v6
	s_cbranch_scc0 .LBB145_23
.LBB145_24:
	s_waitcnt lgkmcnt(0)
	s_delay_alu instid0(VALU_DEP_1) | instskip(NEXT) | instid1(VALU_DEP_1)
	v_and_b32_e32 v2, 0x7f800000, v4
	v_cmp_ne_u32_e32 vcc_lo, 0x7f800000, v2
                                        ; implicit-def: $vgpr2
	s_and_saveexec_b32 s1, vcc_lo
	s_delay_alu instid0(SALU_CYCLE_1)
	s_xor_b32 s1, exec_lo, s1
; %bb.25:
	v_bfe_u32 v2, v4, 16, 1
	s_delay_alu instid0(VALU_DEP_1)
	v_add3_u32 v2, v4, v2, 0x7fff
                                        ; implicit-def: $vgpr4
; %bb.26:
	s_and_not1_saveexec_b32 s1, s1
; %bb.27:
	v_and_b32_e32 v2, 0xffff, v4
	v_or_b32_e32 v3, 0x10000, v4
	s_delay_alu instid0(VALU_DEP_2) | instskip(NEXT) | instid1(VALU_DEP_2)
	v_cmp_eq_u32_e32 vcc_lo, 0, v2
	v_cndmask_b32_e32 v2, v3, v4, vcc_lo
; %bb.28:
	s_or_b32 exec_lo, exec_lo, s1
	s_lshl_b32 s2, s18, 7
	v_lshlrev_b64 v[3:4], 1, v[0:1]
	s_ashr_i32 s3, s2, 31
	s_delay_alu instid0(SALU_CYCLE_1) | instskip(NEXT) | instid1(SALU_CYCLE_1)
	s_lshl_b64 s[2:3], s[2:3], 1
	s_add_u32 s1, s6, s2
	s_addc_u32 s12, s7, s3
	s_lshl_b32 s2, s14, 7
	s_delay_alu instid0(SALU_CYCLE_1) | instskip(NEXT) | instid1(SALU_CYCLE_1)
	s_ashr_i32 s3, s2, 31
	s_lshl_b64 s[2:3], s[2:3], 1
	s_delay_alu instid0(SALU_CYCLE_1)
	s_add_u32 s1, s1, s2
	s_addc_u32 s2, s12, s3
	v_add_co_u32 v3, vcc_lo, s1, v3
	v_add_co_ci_u32_e32 v4, vcc_lo, s2, v4, vcc_lo
	global_store_d16_hi_b16 v[3:4], v2, off
.LBB145_29:
	s_or_b32 exec_lo, exec_lo, s0
	s_mov_b32 s2, 0
.LBB145_30:
	s_delay_alu instid0(SALU_CYCLE_1)
	s_and_b32 vcc_lo, exec_lo, s2
	s_cbranch_vccz .LBB145_39
; %bb.31:
	s_mov_b32 s0, exec_lo
	v_cmpx_gt_u32_e32 0x80, v0
	s_cbranch_execz .LBB145_39
; %bb.32:
	s_mul_i32 s15, s15, s10
	s_load_b32 s8, s[8:9], 0xc
	s_lshl_b32 s0, s15, 7
	s_delay_alu instid0(SALU_CYCLE_1) | instskip(NEXT) | instid1(SALU_CYCLE_1)
	s_ashr_i32 s1, s0, 31
	s_lshl_b64 s[0:1], s[0:1], 1
	s_delay_alu instid0(SALU_CYCLE_1) | instskip(SKIP_4) | instid1(SALU_CYCLE_1)
	s_add_u32 s6, s6, s0
	s_addc_u32 s7, s7, s1
	s_lshl_b32 s0, s14, 7
	s_mul_i32 s14, s14, s11
	s_ashr_i32 s1, s0, 31
	s_lshl_b64 s[2:3], s[0:1], 1
	s_mul_i32 s0, s11, s15
	s_add_u32 s1, s6, s2
	s_addc_u32 s2, s7, s3
	s_lshl_b32 s6, s0, 7
	s_delay_alu instid0(SALU_CYCLE_1) | instskip(NEXT) | instid1(SALU_CYCLE_1)
	s_ashr_i32 s7, s6, 31
	s_lshl_b64 s[6:7], s[6:7], 1
	s_delay_alu instid0(SALU_CYCLE_1) | instskip(SKIP_4) | instid1(SALU_CYCLE_1)
	s_add_u32 s0, s4, s6
	s_addc_u32 s6, s5, s7
	s_lshl_b32 s4, s14, 7
	s_mov_b32 s7, 0
	s_ashr_i32 s5, s4, 31
	s_lshl_b64 s[4:5], s[4:5], 1
	s_delay_alu instid0(SALU_CYCLE_1) | instskip(SKIP_3) | instid1(SALU_CYCLE_1)
	s_add_u32 s3, s0, s4
	s_addc_u32 s4, s6, s5
	s_waitcnt lgkmcnt(0)
	s_and_b32 s5, s8, 0xffff
	v_cvt_f32_u32_e32 v1, s5
	s_cmp_eq_u32 s5, 1
	v_add_nc_u32_e32 v3, s5, v0
	s_cselect_b32 s6, -1, 0
	s_sub_i32 s0, 0, s5
	v_rcp_iflag_f32_e32 v1, v1
	s_delay_alu instid0(VALU_DEP_1) | instskip(SKIP_3) | instid1(VALU_DEP_1)
	v_cmp_gt_u32_e32 vcc_lo, 0x80, v3
	v_max_u32_e32 v4, 0x80, v3
	s_waitcnt_depctr 0xfff
	v_mul_f32_e32 v1, 0x4f7ffffe, v1
	v_cvt_u32_f32_e32 v1, v1
	s_delay_alu instid0(VALU_DEP_1) | instskip(SKIP_1) | instid1(VALU_DEP_1)
	v_mul_lo_u32 v2, s0, v1
	v_add_co_ci_u32_e64 v3, s0, s5, v0, vcc_lo
	v_sub_nc_u32_e32 v3, v4, v3
	s_delay_alu instid0(VALU_DEP_3) | instskip(NEXT) | instid1(VALU_DEP_1)
	v_mul_hi_u32 v2, v1, v2
	v_add_nc_u32_e32 v1, v1, v2
	s_delay_alu instid0(VALU_DEP_1) | instskip(NEXT) | instid1(VALU_DEP_1)
	v_mul_hi_u32 v1, v3, v1
	v_mul_lo_u32 v2, v1, s5
	s_delay_alu instid0(VALU_DEP_1) | instskip(SKIP_1) | instid1(VALU_DEP_2)
	v_sub_nc_u32_e32 v2, v3, v2
	v_add_nc_u32_e32 v3, 1, v1
	v_subrev_nc_u32_e32 v4, s5, v2
	v_cmp_le_u32_e64 s0, s5, v2
	s_delay_alu instid0(VALU_DEP_1) | instskip(NEXT) | instid1(VALU_DEP_3)
	v_cndmask_b32_e64 v1, v1, v3, s0
	v_cndmask_b32_e64 v2, v2, v4, s0
	s_delay_alu instid0(VALU_DEP_2) | instskip(NEXT) | instid1(VALU_DEP_2)
	v_add_nc_u32_e32 v3, 1, v1
	v_cmp_le_u32_e64 s0, s5, v2
	s_delay_alu instid0(VALU_DEP_1) | instskip(SKIP_1) | instid1(VALU_DEP_1)
	v_cndmask_b32_e64 v1, v1, v3, s0
	s_mov_b32 s0, -1
	v_add_co_ci_u32_e32 v3, vcc_lo, 1, v1, vcc_lo
	s_delay_alu instid0(VALU_DEP_1) | instskip(SKIP_1) | instid1(SALU_CYCLE_1)
	v_cmp_lt_u32_e32 vcc_lo, 15, v3
	s_and_b32 s8, vcc_lo, s6
	s_and_saveexec_b32 s6, s8
	s_cbranch_execz .LBB145_36
; %bb.33:
	v_dual_mov_b32 v1, v0 :: v_dual_and_b32 v4, -16, v3
	s_delay_alu instid0(VALU_DEP_1)
	v_dual_mov_b32 v2, 0 :: v_dual_mov_b32 v5, v4
	.p2align	6
.LBB145_34:                             ; =>This Inner Loop Header: Depth=1
	s_delay_alu instid0(VALU_DEP_1) | instskip(NEXT) | instid1(VALU_DEP_2)
	v_lshlrev_b64 v[14:15], 1, v[1:2]
	v_add_nc_u32_e32 v5, -16, v5
	v_add_nc_u32_e32 v1, 16, v1
	s_delay_alu instid0(VALU_DEP_3) | instskip(NEXT) | instid1(VALU_DEP_4)
	v_add_co_u32 v10, vcc_lo, s3, v14
	v_add_co_ci_u32_e32 v11, vcc_lo, s4, v15, vcc_lo
	s_delay_alu instid0(VALU_DEP_4)
	v_cmp_eq_u32_e32 vcc_lo, 0, v5
	v_add_co_u32 v14, s0, s1, v14
	s_clause 0x1
	global_load_b128 v[6:9], v[10:11], off
	global_load_b128 v[10:13], v[10:11], off offset:16
	v_add_co_ci_u32_e64 v15, s0, s2, v15, s0
	s_or_b32 s7, vcc_lo, s7
	s_waitcnt vmcnt(1)
	global_store_b128 v[14:15], v[6:9], off
	s_waitcnt vmcnt(0)
	global_store_b128 v[14:15], v[10:13], off offset:16
	s_and_not1_b32 exec_lo, exec_lo, s7
	s_cbranch_execnz .LBB145_34
; %bb.35:
	s_or_b32 exec_lo, exec_lo, s7
	v_cmp_ne_u32_e32 vcc_lo, v3, v4
	v_add_nc_u32_e32 v0, v0, v4
	s_or_not1_b32 s0, vcc_lo, exec_lo
.LBB145_36:
	s_or_b32 exec_lo, exec_lo, s6
	s_delay_alu instid0(SALU_CYCLE_1)
	s_and_b32 exec_lo, exec_lo, s0
	s_cbranch_execz .LBB145_39
; %bb.37:
	v_mov_b32_e32 v1, 0
	s_mov_b32 s6, 0
	s_lshl_b32 s7, s5, 1
	s_delay_alu instid0(VALU_DEP_1)
	v_lshlrev_b64 v[1:2], 1, v[0:1]
	.p2align	6
.LBB145_38:                             ; =>This Inner Loop Header: Depth=1
	s_delay_alu instid0(VALU_DEP_1) | instskip(NEXT) | instid1(VALU_DEP_2)
	v_add_co_u32 v3, vcc_lo, s3, v1
	v_add_co_ci_u32_e32 v4, vcc_lo, s4, v2, vcc_lo
	v_add_nc_u32_e32 v0, s5, v0
	global_load_u16 v5, v[3:4], off
	v_add_co_u32 v3, vcc_lo, s1, v1
	v_add_co_ci_u32_e32 v4, vcc_lo, s2, v2, vcc_lo
	v_cmp_lt_u32_e32 vcc_lo, 0x7f, v0
	v_add_co_u32 v1, s0, v1, s7
	s_delay_alu instid0(VALU_DEP_1)
	v_add_co_ci_u32_e64 v2, s0, 0, v2, s0
	s_or_b32 s6, vcc_lo, s6
	s_waitcnt vmcnt(0)
	global_store_b16 v[3:4], v5, off
	s_and_not1_b32 exec_lo, exec_lo, s6
	s_cbranch_execnz .LBB145_38
.LBB145_39:
	s_nop 0
	s_sendmsg sendmsg(MSG_DEALLOC_VGPRS)
	s_endpgm
	.section	.rodata,"a",@progbits
	.p2align	6, 0x0
	.amdhsa_kernel _ZN4vllm32paged_attention_v2_reduce_kernelI14__hip_bfloat16Li128ELi128ELi512EEEvPT_PKfS5_PKS2_PKii
		.amdhsa_group_segment_fixed_size 32
		.amdhsa_private_segment_fixed_size 0
		.amdhsa_kernarg_size 304
		.amdhsa_user_sgpr_count 14
		.amdhsa_user_sgpr_dispatch_ptr 0
		.amdhsa_user_sgpr_queue_ptr 0
		.amdhsa_user_sgpr_kernarg_segment_ptr 1
		.amdhsa_user_sgpr_dispatch_id 0
		.amdhsa_user_sgpr_private_segment_size 0
		.amdhsa_wavefront_size32 1
		.amdhsa_uses_dynamic_stack 0
		.amdhsa_enable_private_segment 0
		.amdhsa_system_sgpr_workgroup_id_x 1
		.amdhsa_system_sgpr_workgroup_id_y 1
		.amdhsa_system_sgpr_workgroup_id_z 0
		.amdhsa_system_sgpr_workgroup_info 0
		.amdhsa_system_vgpr_workitem_id 0
		.amdhsa_next_free_vgpr 19
		.amdhsa_next_free_sgpr 29
		.amdhsa_reserve_vcc 1
		.amdhsa_float_round_mode_32 0
		.amdhsa_float_round_mode_16_64 0
		.amdhsa_float_denorm_mode_32 3
		.amdhsa_float_denorm_mode_16_64 3
		.amdhsa_dx10_clamp 1
		.amdhsa_ieee_mode 1
		.amdhsa_fp16_overflow 0
		.amdhsa_workgroup_processor_mode 1
		.amdhsa_memory_ordered 1
		.amdhsa_forward_progress 0
		.amdhsa_shared_vgpr_count 0
		.amdhsa_exception_fp_ieee_invalid_op 0
		.amdhsa_exception_fp_denorm_src 0
		.amdhsa_exception_fp_ieee_div_zero 0
		.amdhsa_exception_fp_ieee_overflow 0
		.amdhsa_exception_fp_ieee_underflow 0
		.amdhsa_exception_fp_ieee_inexact 0
		.amdhsa_exception_int_div_zero 0
	.end_amdhsa_kernel
	.section	.text._ZN4vllm32paged_attention_v2_reduce_kernelI14__hip_bfloat16Li128ELi128ELi512EEEvPT_PKfS5_PKS2_PKii,"axG",@progbits,_ZN4vllm32paged_attention_v2_reduce_kernelI14__hip_bfloat16Li128ELi128ELi512EEEvPT_PKfS5_PKS2_PKii,comdat
.Lfunc_end145:
	.size	_ZN4vllm32paged_attention_v2_reduce_kernelI14__hip_bfloat16Li128ELi128ELi512EEEvPT_PKfS5_PKS2_PKii, .Lfunc_end145-_ZN4vllm32paged_attention_v2_reduce_kernelI14__hip_bfloat16Li128ELi128ELi512EEEvPT_PKfS5_PKS2_PKii
                                        ; -- End function
	.section	.AMDGPU.csdata,"",@progbits
; Kernel info:
; codeLenInByte = 2524
; NumSgprs: 31
; NumVgprs: 19
; ScratchSize: 0
; MemoryBound: 0
; FloatMode: 240
; IeeeMode: 1
; LDSByteSize: 32 bytes/workgroup (compile time only)
; SGPRBlocks: 3
; VGPRBlocks: 2
; NumSGPRsForWavesPerEU: 31
; NumVGPRsForWavesPerEU: 19
; Occupancy: 16
; WaveLimiterHint : 0
; COMPUTE_PGM_RSRC2:SCRATCH_EN: 0
; COMPUTE_PGM_RSRC2:USER_SGPR: 14
; COMPUTE_PGM_RSRC2:TRAP_HANDLER: 0
; COMPUTE_PGM_RSRC2:TGID_X_EN: 1
; COMPUTE_PGM_RSRC2:TGID_Y_EN: 1
; COMPUTE_PGM_RSRC2:TGID_Z_EN: 0
; COMPUTE_PGM_RSRC2:TIDIG_COMP_CNT: 0
	.section	.text._ZN4vllm25paged_attention_v2_kernelI14__hip_bfloat16S1_Li192ELi8ELi128ELNS_18Fp8KVCacheDataTypeE0ELb1ELi512EEEvPfS3_PT_PKS4_PKT0_SA_ifPKiSC_iPKfiiiSE_SE_iiiii,"axG",@progbits,_ZN4vllm25paged_attention_v2_kernelI14__hip_bfloat16S1_Li192ELi8ELi128ELNS_18Fp8KVCacheDataTypeE0ELb1ELi512EEEvPfS3_PT_PKS4_PKT0_SA_ifPKiSC_iPKfiiiSE_SE_iiiii,comdat
	.protected	_ZN4vllm25paged_attention_v2_kernelI14__hip_bfloat16S1_Li192ELi8ELi128ELNS_18Fp8KVCacheDataTypeE0ELb1ELi512EEEvPfS3_PT_PKS4_PKT0_SA_ifPKiSC_iPKfiiiSE_SE_iiiii ; -- Begin function _ZN4vllm25paged_attention_v2_kernelI14__hip_bfloat16S1_Li192ELi8ELi128ELNS_18Fp8KVCacheDataTypeE0ELb1ELi512EEEvPfS3_PT_PKS4_PKT0_SA_ifPKiSC_iPKfiiiSE_SE_iiiii
	.globl	_ZN4vllm25paged_attention_v2_kernelI14__hip_bfloat16S1_Li192ELi8ELi128ELNS_18Fp8KVCacheDataTypeE0ELb1ELi512EEEvPfS3_PT_PKS4_PKT0_SA_ifPKiSC_iPKfiiiSE_SE_iiiii
	.p2align	8
	.type	_ZN4vllm25paged_attention_v2_kernelI14__hip_bfloat16S1_Li192ELi8ELi128ELNS_18Fp8KVCacheDataTypeE0ELb1ELi512EEEvPfS3_PT_PKS4_PKT0_SA_ifPKiSC_iPKfiiiSE_SE_iiiii,@function
_ZN4vllm25paged_attention_v2_kernelI14__hip_bfloat16S1_Li192ELi8ELi128ELNS_18Fp8KVCacheDataTypeE0ELb1ELi512EEEvPfS3_PT_PKS4_PKT0_SA_ifPKiSC_iPKfiiiSE_SE_iiiii: ; @_ZN4vllm25paged_attention_v2_kernelI14__hip_bfloat16S1_Li192ELi8ELi128ELNS_18Fp8KVCacheDataTypeE0ELb1ELi512EEEvPfS3_PT_PKS4_PKT0_SA_ifPKiSC_iPKfiiiSE_SE_iiiii
; %bb.0:
	s_load_b64 s[2:3], s[0:1], 0x40
	s_mov_b32 s12, s15
	s_ashr_i32 s15, s14, 31
	s_delay_alu instid0(SALU_CYCLE_1)
	s_lshl_b64 s[4:5], s[14:15], 2
	s_waitcnt lgkmcnt(0)
	s_add_u32 s2, s2, s4
	s_addc_u32 s3, s3, s5
	s_lshl_b32 s38, s12, 9
	s_load_b32 s15, s[2:3], 0x0
	s_waitcnt lgkmcnt(0)
	s_cmp_ge_i32 s38, s15
	s_cbranch_scc1 .LBB146_312
; %bb.1:
	s_mov_b32 s24, s13
	s_clause 0x1
	s_load_b32 s13, s[0:1], 0x90
	s_load_b64 s[36:37], s[0:1], 0x30
	s_mov_b32 s40, 0
	s_waitcnt lgkmcnt(0)
	s_abs_i32 s5, s13
	s_abs_i32 s2, s36
	s_delay_alu instid0(SALU_CYCLE_1) | instskip(SKIP_1) | instid1(VALU_DEP_1)
	v_cvt_f32_u32_e32 v1, s2
	s_sub_i32 s4, 0, s2
	v_rcp_iflag_f32_e32 v1, v1
	s_waitcnt_depctr 0xfff
	v_mul_f32_e32 v1, 0x4f7ffffe, v1
	s_delay_alu instid0(VALU_DEP_1) | instskip(NEXT) | instid1(VALU_DEP_1)
	v_cvt_u32_f32_e32 v1, v1
	v_readfirstlane_b32 s3, v1
	s_delay_alu instid0(VALU_DEP_1) | instskip(NEXT) | instid1(SALU_CYCLE_1)
	s_mul_i32 s4, s4, s3
	s_mul_hi_u32 s4, s3, s4
	s_delay_alu instid0(SALU_CYCLE_1) | instskip(SKIP_4) | instid1(SALU_CYCLE_1)
	s_add_i32 s3, s3, s4
	s_xor_b32 s4, s13, s36
	s_mul_hi_u32 s3, s5, s3
	s_ashr_i32 s4, s4, 31
	s_mul_i32 s6, s3, s2
	s_sub_i32 s5, s5, s6
	s_add_i32 s6, s3, 1
	s_sub_i32 s7, s5, s2
	s_cmp_ge_u32 s5, s2
	s_cselect_b32 s3, s6, s3
	s_cselect_b32 s5, s7, s5
	s_add_i32 s6, s3, 1
	s_cmp_ge_u32 s5, s2
	s_cselect_b32 s2, s6, s3
	s_abs_i32 s17, s24
	s_xor_b32 s2, s2, s4
	s_delay_alu instid0(SALU_CYCLE_1) | instskip(SKIP_2) | instid1(SALU_CYCLE_1)
	s_sub_i32 s8, s2, s4
	s_load_b64 s[2:3], s[0:1], 0x50
	s_abs_i32 s16, s8
	v_cvt_f32_u32_e32 v1, s16
	s_sub_i32 s5, 0, s16
	s_delay_alu instid0(VALU_DEP_1) | instskip(SKIP_2) | instid1(VALU_DEP_1)
	v_rcp_iflag_f32_e32 v1, v1
	s_waitcnt_depctr 0xfff
	v_mul_f32_e32 v1, 0x4f7ffffe, v1
	v_cvt_u32_f32_e32 v1, v1
	s_delay_alu instid0(VALU_DEP_1) | instskip(NEXT) | instid1(VALU_DEP_1)
	v_readfirstlane_b32 s4, v1
	s_mul_i32 s5, s5, s4
	s_delay_alu instid0(SALU_CYCLE_1) | instskip(NEXT) | instid1(SALU_CYCLE_1)
	s_mul_hi_u32 s5, s4, s5
	s_add_i32 s4, s4, s5
	s_waitcnt lgkmcnt(0)
	s_cmp_eq_u64 s[2:3], 0
	s_mul_hi_u32 s18, s17, s4
	s_cbranch_scc1 .LBB146_3
; %bb.2:
	s_ashr_i32 s25, s24, 31
	s_delay_alu instid0(SALU_CYCLE_1) | instskip(NEXT) | instid1(SALU_CYCLE_1)
	s_lshl_b64 s[4:5], s[24:25], 2
	s_add_u32 s2, s2, s4
	s_addc_u32 s3, s3, s5
	s_load_b32 s40, s[2:3], 0x0
.LBB146_3:
	s_load_b128 s[4:7], s[0:1], 0x58
	v_and_b32_e32 v1, 3, v0
	v_lshlrev_b32_e32 v13, 2, v0
	s_ashr_i32 s2, s24, 31
	s_ashr_i32 s3, s8, 31
	s_mul_i32 s20, s24, 0xc0
	s_waitcnt lgkmcnt(0)
	s_mov_b32 s7, exec_lo
	v_cmpx_gt_u32_e32 0x60, v0
	s_cbranch_execz .LBB146_5
; %bb.4:
	s_load_b64 s[8:9], s[0:1], 0x18
	s_mul_i32 s10, s14, s4
	v_and_b32_e32 v3, 0x3fc, v0
	s_ashr_i32 s11, s10, 31
	s_delay_alu instid0(SALU_CYCLE_1) | instskip(NEXT) | instid1(VALU_DEP_1)
	s_lshl_b64 s[10:11], s[10:11], 1
	v_mad_u32_u24 v3, 0x60, v1, v3
	s_waitcnt lgkmcnt(0)
	s_add_u32 s4, s8, s10
	s_addc_u32 s10, s9, s11
	s_ashr_i32 s21, s20, 31
	s_delay_alu instid0(SALU_CYCLE_1) | instskip(NEXT) | instid1(SALU_CYCLE_1)
	s_lshl_b64 s[8:9], s[20:21], 1
	s_add_u32 s8, s4, s8
	s_addc_u32 s9, s10, s9
	global_load_b32 v2, v13, s[8:9]
	s_waitcnt vmcnt(0)
	ds_store_b32 v3, v2
.LBB146_5:
	s_or_b32 exec_lo, exec_lo, s7
	s_load_b128 s[8:11], s[0:1], 0x78
	s_mul_i32 s4, s18, s16
	s_xor_b32 s2, s2, s3
	s_sub_i32 s3, s17, s4
	s_add_i32 s4, s18, 1
	s_sub_i32 s7, s3, s16
	s_cmp_ge_u32 s3, s16
	s_mov_b32 s17, -1
	s_cselect_b32 s4, s4, s18
	s_cselect_b32 s3, s7, s3
	s_add_i32 s7, s4, 1
	s_cmp_ge_u32 s3, s16
	s_waitcnt lgkmcnt(0)
	s_cselect_b32 s3, s7, s4
	s_load_b32 s4, s[0:1], 0x88
	s_xor_b32 s3, s3, s2
	s_add_i32 s16, s15, -1
	s_sub_i32 s3, s3, s2
	s_abs_i32 s7, s16
	s_waitcnt lgkmcnt(0)
	s_barrier
	s_abs_i32 s21, s11
	buffer_gl0_inv
	v_cvt_f32_u32_e32 v2, s21
	s_sub_i32 s2, 0, s21
                                        ; implicit-def: $sgpr33
	s_delay_alu instid0(VALU_DEP_1) | instskip(SKIP_2) | instid1(VALU_DEP_1)
	v_rcp_iflag_f32_e32 v2, v2
	s_waitcnt_depctr 0xfff
	v_mul_f32_e32 v2, 0x4f7ffffe, v2
	v_cvt_u32_f32_e32 v2, v2
	s_delay_alu instid0(VALU_DEP_1) | instskip(NEXT) | instid1(VALU_DEP_1)
	v_readfirstlane_b32 s25, v2
	s_mul_i32 s2, s2, s25
	s_delay_alu instid0(SALU_CYCLE_1) | instskip(NEXT) | instid1(SALU_CYCLE_1)
	s_mul_hi_u32 s2, s25, s2
	s_add_i32 s25, s25, s2
	s_cmp_lt_i32 s4, 0
	s_mul_hi_u32 s2, s7, s25
	s_cbranch_scc0 .LBB146_7
; %bb.6:
	s_mul_i32 s17, s8, s36
	s_delay_alu instid0(SALU_CYCLE_1) | instskip(NEXT) | instid1(SALU_CYCLE_1)
	s_add_i32 s17, s3, s17
	s_mul_i32 s17, s17, s4
	s_delay_alu instid0(SALU_CYCLE_1)
	s_sub_i32 s33, 1, s17
	s_mov_b32 s17, 0
.LBB146_7:
	s_load_b64 s[26:27], s[0:1], 0x38
	s_ashr_i32 s28, s16, 31
	s_and_not1_b32 vcc_lo, exec_lo, s17
	s_ashr_i32 s11, s11, 31
	s_cbranch_vccnz .LBB146_9
; %bb.8:
	s_mul_i32 s8, s13, s8
	s_delay_alu instid0(SALU_CYCLE_1) | instskip(NEXT) | instid1(SALU_CYCLE_1)
	s_add_i32 s8, s8, s24
	s_mul_i32 s4, s8, s4
	s_delay_alu instid0(SALU_CYCLE_1)
	s_add_i32 s33, s4, 1
.LBB146_9:
	s_clause 0x4
	s_load_b32 s8, s[0:1], 0x48
	s_load_b64 s[30:31], s[0:1], 0x28
	s_load_b32 s4, s[0:1], 0x98
	s_load_b128 s[16:19], s[0:1], 0x0
	s_load_b64 s[22:23], s[0:1], 0x10
	s_xor_b32 s34, s28, s11
	s_mul_i32 s28, s2, s21
	s_add_i32 s35, s2, 1
	s_sub_i32 s7, s7, s28
	v_lshrrev_b32_e32 v14, 5, v0
	v_mov_b32_e32 v4, 0xff7fffff
	v_mbcnt_lo_u32_b32 v3, -1, 0
	s_delay_alu instid0(VALU_DEP_3)
	v_lshl_add_u32 v15, v14, 3, s38
	s_waitcnt lgkmcnt(0)
	s_mul_i32 s28, s14, s8
	s_sub_i32 s8, s7, s21
	s_ashr_i32 s29, s28, 31
	s_cmp_ge_u32 s7, s21
	s_cselect_b32 s2, s35, s2
	s_cselect_b32 s7, s8, s7
	s_add_i32 s8, s2, 1
	s_cmp_ge_u32 s7, s21
	s_cselect_b32 s2, s8, s2
	s_add_i32 s8, s15, 7
	s_lshl_b32 s7, s12, 6
	s_ashr_i32 s35, s8, 31
	v_or_b32_e32 v10, s7, v14
	s_lshr_b32 s35, s35, 29
	s_xor_b32 s39, s2, s34
	s_add_i32 s8, s8, s35
	s_add_i32 s35, s7, 64
	s_ashr_i32 s36, s8, 3
	v_ashrrev_i32_e32 v11, 31, v10
	s_min_i32 s8, s35, s36
	s_sub_i32 s39, s39, s34
	v_cmp_gt_i32_e64 s2, s8, v10
	s_mul_i32 s34, s3, s6
	s_delay_alu instid0(VALU_DEP_1)
	s_and_saveexec_b32 s6, s2
	s_cbranch_execz .LBB146_19
; %bb.10:
	s_load_b64 s[0:1], s[0:1], 0x20
	s_ashr_i32 s35, s34, 31
	v_bfe_u32 v5, v0, 2, 3
	s_lshl_b64 s[42:43], s[34:35], 1
	s_sub_i32 s35, s39, s9
	v_cmp_eq_u32_e32 vcc_lo, 0, v1
	v_mul_u32_u24_e32 v6, 0x60, v1
	v_lshlrev_b32_e32 v12, 2, v5
	v_subrev_nc_u32_e32 v18, s15, v5
	v_lshl_add_u32 v7, v14, 3, s38
	v_xor_b32_e32 v8, 2, v3
	v_xor_b32_e32 v9, 1, v3
	v_lshl_or_b32 v19, v14, 5, v12
	v_add_nc_u32_e32 v12, 1, v18
	v_lshlrev_b32_e32 v21, 4, v5
	s_waitcnt lgkmcnt(0)
	s_add_u32 s3, s0, s42
	s_addc_u32 s1, s1, s43
	s_abs_i32 s41, s10
	v_cmp_neq_f32_e64 s0, s40, 0
	v_cvt_f32_u32_e32 v2, s41
	s_sub_i32 s42, 0, s41
	s_delay_alu instid0(VALU_DEP_1)
	v_rcp_iflag_f32_e32 v4, v2
	v_and_b32_e32 v17, 12, v13
	v_lshlrev_b64 v[1:2], 2, v[10:11]
	s_waitcnt_depctr 0xfff
	v_mul_f32_e32 v16, 0x4f7ffffe, v4
	v_mov_b32_e32 v4, 0xff7fffff
	s_delay_alu instid0(VALU_DEP_2) | instskip(SKIP_2) | instid1(VALU_DEP_1)
	v_cvt_u32_f32_e32 v20, v16
	v_add_nc_u32_e32 v16, 0x1a0, v19
	v_add_co_u32 v19, s3, s3, v21
	v_add_co_ci_u32_e64 v21, null, s1, 0, s3
	s_delay_alu instid0(VALU_DEP_4) | instskip(SKIP_1) | instid1(SALU_CYCLE_1)
	v_mul_lo_u32 v18, s42, v20
	s_lshl_b64 s[42:43], s[28:29], 2
	s_add_u32 s1, s26, s42
	s_addc_u32 s3, s27, s43
	v_add_co_u32 v1, s1, s1, v1
	s_delay_alu instid0(VALU_DEP_1) | instskip(NEXT) | instid1(VALU_DEP_3)
	v_add_co_ci_u32_e64 v2, s1, s3, v2, s1
	v_mul_hi_u32 v22, v20, v18
	v_add_co_u32 v17, s1, v19, v17
	s_delay_alu instid0(VALU_DEP_1) | instskip(SKIP_2) | instid1(VALU_DEP_3)
	v_add_co_ci_u32_e64 v18, s1, 0, v21, s1
	s_mov_b32 s42, 0
	s_mov_b32 s43, s5
	v_dual_mov_b32 v20, v10 :: v_dual_add_nc_u32 v19, v20, v22
	s_branch .LBB146_13
.LBB146_11:                             ;   in Loop: Header=BB146_13 Depth=1
	s_or_b32 exec_lo, exec_lo, s44
.LBB146_12:                             ;   in Loop: Header=BB146_13 Depth=1
	s_delay_alu instid0(SALU_CYCLE_1) | instskip(SKIP_2) | instid1(VALU_DEP_1)
	s_or_b32 exec_lo, exec_lo, s3
	v_add_nc_u32_e32 v20, 4, v20
	v_add_co_u32 v1, s3, v1, 16
	v_add_co_ci_u32_e64 v2, s3, 0, v2, s3
	s_delay_alu instid0(VALU_DEP_3) | instskip(SKIP_2) | instid1(VALU_DEP_3)
	v_cmp_le_i32_e64 s1, s8, v20
	v_add_nc_u32_e32 v7, 32, v7
	v_add_nc_u32_e32 v16, 0x80, v16
	s_or_b32 s42, s1, s42
	s_delay_alu instid0(SALU_CYCLE_1)
	s_and_not1_b32 exec_lo, exec_lo, s42
	s_cbranch_execz .LBB146_18
.LBB146_13:                             ; =>This Inner Loop Header: Depth=1
	v_sub_nc_u32_e32 v21, 0, v7
	s_delay_alu instid0(VALU_DEP_1) | instskip(SKIP_1) | instid1(VALU_DEP_1)
	v_max_i32_e32 v21, v7, v21
	s_waitcnt lgkmcnt(0)
	v_mul_hi_u32 v22, v21, s25
	s_delay_alu instid0(VALU_DEP_1) | instskip(NEXT) | instid1(VALU_DEP_1)
	v_mul_lo_u32 v23, v22, s21
	v_sub_nc_u32_e32 v21, v21, v23
	v_add_nc_u32_e32 v23, 1, v22
	s_delay_alu instid0(VALU_DEP_2) | instskip(SKIP_1) | instid1(VALU_DEP_1)
	v_subrev_nc_u32_e32 v24, s21, v21
	v_cmp_le_u32_e64 s1, s21, v21
	v_cndmask_b32_e64 v22, v22, v23, s1
	s_delay_alu instid0(VALU_DEP_3) | instskip(SKIP_1) | instid1(VALU_DEP_3)
	v_cndmask_b32_e64 v21, v21, v24, s1
	v_ashrrev_i32_e32 v23, 31, v7
	v_add_nc_u32_e32 v24, 1, v22
	s_delay_alu instid0(VALU_DEP_3) | instskip(NEXT) | instid1(VALU_DEP_3)
	v_cmp_le_u32_e64 s1, s21, v21
	v_xor_b32_e32 v23, s11, v23
	s_delay_alu instid0(VALU_DEP_2) | instskip(NEXT) | instid1(VALU_DEP_1)
	v_cndmask_b32_e64 v21, v22, v24, s1
	v_xor_b32_e32 v21, v21, v23
	s_delay_alu instid0(VALU_DEP_1) | instskip(NEXT) | instid1(VALU_DEP_1)
	v_sub_nc_u32_e32 v21, v21, v23
	v_add_nc_u32_e32 v22, s33, v21
	v_cmp_ge_i32_e64 s3, s35, v21
	s_delay_alu instid0(VALU_DEP_2) | instskip(NEXT) | instid1(VALU_DEP_1)
	v_sub_nc_u32_e32 v23, 0, v22
	v_max_i32_e32 v23, v22, v23
	v_ashrrev_i32_e32 v22, 31, v22
	s_delay_alu instid0(VALU_DEP_2) | instskip(NEXT) | instid1(VALU_DEP_1)
	v_mul_hi_u32 v24, v23, v19
	v_mul_lo_u32 v24, v24, s41
	s_delay_alu instid0(VALU_DEP_1) | instskip(NEXT) | instid1(VALU_DEP_1)
	v_sub_nc_u32_e32 v23, v23, v24
	v_subrev_nc_u32_e32 v24, s41, v23
	v_cmp_le_u32_e64 s1, s41, v23
	s_delay_alu instid0(VALU_DEP_1) | instskip(NEXT) | instid1(VALU_DEP_1)
	v_cndmask_b32_e64 v23, v23, v24, s1
	v_subrev_nc_u32_e32 v24, s41, v23
	v_cmp_le_u32_e64 s1, s41, v23
	s_delay_alu instid0(VALU_DEP_1) | instskip(NEXT) | instid1(VALU_DEP_1)
	v_cndmask_b32_e64 v23, v23, v24, s1
	v_xor_b32_e32 v23, v23, v22
	s_delay_alu instid0(VALU_DEP_1) | instskip(NEXT) | instid1(VALU_DEP_1)
	v_sub_nc_u32_e32 v22, v23, v22
	v_cmp_ne_u32_e64 s1, 0, v22
	s_delay_alu instid0(VALU_DEP_1) | instskip(NEXT) | instid1(SALU_CYCLE_1)
	s_and_b32 s1, s1, s3
	s_and_b32 s44, vcc_lo, s1
	s_delay_alu instid0(SALU_CYCLE_1)
	s_and_saveexec_b32 s3, s44
	s_cbranch_execz .LBB146_15
; %bb.14:                               ;   in Loop: Header=BB146_13 Depth=1
	v_mov_b32_e32 v21, 0xff7fffff
	ds_store_b32 v16, v21
.LBB146_15:                             ;   in Loop: Header=BB146_13 Depth=1
	s_or_b32 exec_lo, exec_lo, s3
	s_xor_b32 s1, s1, -1
	s_delay_alu instid0(SALU_CYCLE_1)
	s_and_saveexec_b32 s3, s1
	s_cbranch_execz .LBB146_12
; %bb.16:                               ;   in Loop: Header=BB146_13 Depth=1
	global_load_b32 v23, v[1:2], off
	s_waitcnt vmcnt(0)
	v_mad_i64_i32 v[21:22], null, v23, s43, 0
	s_delay_alu instid0(VALU_DEP_1) | instskip(NEXT) | instid1(VALU_DEP_1)
	v_lshlrev_b64 v[21:22], 1, v[21:22]
	v_add_co_u32 v21, s1, v17, v21
	s_delay_alu instid0(VALU_DEP_1)
	v_add_co_ci_u32_e64 v22, s1, v18, v22, s1
	v_cmp_gt_i32_e64 s1, 32, v8
	s_clause 0x17
	global_load_b32 v45, v[21:22], off offset:128
	global_load_b32 v46, v[21:22], off offset:256
	;; [unrolled: 1-line block ×7, first 2 shown]
	global_load_b32 v52, v[21:22], off
	global_load_b32 v53, v[21:22], off offset:1024
	global_load_b32 v54, v[21:22], off offset:1152
	;; [unrolled: 1-line block ×16, first 2 shown]
	ds_load_b128 v[21:24], v6
	ds_load_b128 v[25:28], v6 offset:16
	ds_load_b128 v[29:32], v6 offset:32
	ds_load_b128 v[33:36], v6 offset:48
	ds_load_b128 v[37:40], v6 offset:64
	ds_load_b128 v[41:44], v6 offset:80
	s_waitcnt lgkmcnt(5)
	v_lshlrev_b32_e32 v70, 16, v22
	s_waitcnt lgkmcnt(4)
	v_lshlrev_b32_e32 v76, 16, v28
	v_and_b32_e32 v22, 0xffff0000, v22
	v_lshlrev_b32_e32 v72, 16, v24
	s_waitcnt lgkmcnt(3)
	v_lshlrev_b32_e32 v78, 16, v30
	v_lshlrev_b32_e32 v74, 16, v26
	s_waitcnt lgkmcnt(1)
	v_lshlrev_b32_e32 v86, 16, v38
	v_lshlrev_b32_e32 v80, 16, v32
	;; [unrolled: 1-line block ×3, first 2 shown]
	s_waitcnt lgkmcnt(0)
	v_lshlrev_b32_e32 v90, 16, v42
	v_lshlrev_b32_e32 v84, 16, v36
	;; [unrolled: 1-line block ×4, first 2 shown]
	s_waitcnt vmcnt(23)
	v_lshlrev_b32_e32 v93, 16, v45
	v_and_b32_e32 v45, 0xffff0000, v45
	v_lshlrev_b32_e32 v71, 16, v23
	s_delay_alu instid0(VALU_DEP_3) | instskip(NEXT) | instid1(VALU_DEP_3)
	v_dual_mul_f32 v70, v70, v93 :: v_dual_lshlrev_b32 v75, 16, v27
	v_mul_f32_e32 v22, v22, v45
	s_waitcnt vmcnt(16)
	v_lshlrev_b32_e32 v94, 16, v52
	v_and_b32_e32 v52, 0xffff0000, v52
	v_lshlrev_b32_e32 v69, 16, v21
	v_and_b32_e32 v21, 0xffff0000, v21
	;; [unrolled: 2-line block ×3, first 2 shown]
	v_and_b32_e32 v46, 0xffff0000, v46
	s_delay_alu instid0(VALU_DEP_4) | instskip(SKIP_1) | instid1(VALU_DEP_2)
	v_dual_fmac_f32 v22, v21, v52 :: v_dual_lshlrev_b32 v73, 16, v25
	v_dual_fmac_f32 v70, v69, v94 :: v_dual_lshlrev_b32 v79, 16, v31
	;; [unrolled: 1-line block ×3, first 2 shown]
	v_and_b32_e32 v23, 0xffff0000, v25
	s_delay_alu instid0(VALU_DEP_3)
	v_dual_fmac_f32 v70, v71, v45 :: v_dual_and_b32 v21, 0xffff0000, v24
	v_lshlrev_b32_e32 v24, 16, v47
	v_lshlrev_b32_e32 v81, 16, v33
	;; [unrolled: 1-line block ×3, first 2 shown]
	v_and_b32_e32 v47, 0xffff0000, v47
	v_and_b32_e32 v45, 0xffff0000, v48
	v_dual_fmac_f32 v70, v72, v24 :: v_dual_lshlrev_b32 v83, 16, v35
	v_lshlrev_b32_e32 v24, 16, v49
	s_delay_alu instid0(VALU_DEP_2) | instskip(SKIP_1) | instid1(VALU_DEP_2)
	v_fmac_f32_e32 v70, v73, v25
	v_lshlrev_b32_e32 v89, 16, v41
	v_dual_fmac_f32 v70, v74, v24 :: v_dual_lshlrev_b32 v25, 16, v50
	v_lshlrev_b32_e32 v24, 16, v51
	s_delay_alu instid0(VALU_DEP_2) | instskip(SKIP_1) | instid1(VALU_DEP_1)
	v_fmac_f32_e32 v70, v75, v25
	s_waitcnt vmcnt(15)
	v_dual_fmac_f32 v70, v76, v24 :: v_dual_lshlrev_b32 v25, 16, v53
	s_waitcnt vmcnt(14)
	v_lshlrev_b32_e32 v24, 16, v54
	s_waitcnt vmcnt(13)
	s_delay_alu instid0(VALU_DEP_2) | instskip(NEXT) | instid1(VALU_DEP_1)
	v_dual_fmac_f32 v70, v77, v25 :: v_dual_lshlrev_b32 v25, 16, v55
	v_fmac_f32_e32 v70, v78, v24
	s_waitcnt vmcnt(12)
	v_lshlrev_b32_e32 v24, 16, v56
	s_delay_alu instid0(VALU_DEP_2) | instskip(SKIP_2) | instid1(VALU_DEP_3)
	v_fmac_f32_e32 v70, v79, v25
	v_dual_fmac_f32 v22, v21, v47 :: v_dual_lshlrev_b32 v85, 16, v37
	v_lshlrev_b32_e32 v87, 16, v39
	v_dual_fmac_f32 v70, v80, v24 :: v_dual_and_b32 v21, 0xffff0000, v26
	v_and_b32_e32 v26, 0xffff0000, v49
	s_delay_alu instid0(VALU_DEP_4)
	v_fmac_f32_e32 v22, v23, v45
	s_waitcnt vmcnt(11)
	v_lshlrev_b32_e32 v25, 16, v57
	v_lshlrev_b32_e32 v91, 16, v43
	v_and_b32_e32 v23, 0xffff0000, v27
	v_and_b32_e32 v27, 0xffff0000, v50
	v_fmac_f32_e32 v22, v21, v26
	v_fmac_f32_e32 v70, v81, v25
	s_waitcnt vmcnt(10)
	v_lshlrev_b32_e32 v24, 16, v58
	v_and_b32_e32 v26, 0xffff0000, v51
	s_waitcnt vmcnt(9)
	v_lshlrev_b32_e32 v25, 16, v59
	v_dual_fmac_f32 v22, v23, v27 :: v_dual_and_b32 v23, 0xffff0000, v29
	v_fmac_f32_e32 v70, v82, v24
	v_and_b32_e32 v21, 0xffff0000, v28
	s_waitcnt vmcnt(8)
	v_lshlrev_b32_e32 v24, 16, v60
	s_delay_alu instid0(VALU_DEP_3) | instskip(NEXT) | instid1(VALU_DEP_3)
	v_fmac_f32_e32 v70, v83, v25
	v_dual_fmac_f32 v22, v21, v26 :: v_dual_and_b32 v27, 0xffff0000, v53
	v_and_b32_e32 v21, 0xffff0000, v30
	v_and_b32_e32 v26, 0xffff0000, v54
	s_waitcnt vmcnt(7)
	v_dual_fmac_f32 v70, v84, v24 :: v_dual_lshlrev_b32 v25, 16, v61
	v_fmac_f32_e32 v22, v23, v27
	v_and_b32_e32 v23, 0xffff0000, v31
	v_and_b32_e32 v27, 0xffff0000, v55
	s_waitcnt vmcnt(6)
	v_lshlrev_b32_e32 v24, 16, v62
	v_fmac_f32_e32 v70, v85, v25
	v_dual_fmac_f32 v22, v21, v26 :: v_dual_and_b32 v21, 0xffff0000, v32
	v_and_b32_e32 v26, 0xffff0000, v56
	s_waitcnt vmcnt(5)
	s_delay_alu instid0(VALU_DEP_3) | instskip(NEXT) | instid1(VALU_DEP_3)
	v_dual_fmac_f32 v70, v86, v24 :: v_dual_lshlrev_b32 v25, 16, v63
	v_dual_fmac_f32 v22, v23, v27 :: v_dual_and_b32 v23, 0xffff0000, v33
	s_waitcnt vmcnt(4)
	v_lshlrev_b32_e32 v24, 16, v64
	s_delay_alu instid0(VALU_DEP_3) | instskip(NEXT) | instid1(VALU_DEP_3)
	v_fmac_f32_e32 v70, v87, v25
	v_dual_fmac_f32 v22, v21, v26 :: v_dual_and_b32 v27, 0xffff0000, v57
	v_and_b32_e32 v21, 0xffff0000, v34
	v_and_b32_e32 v26, 0xffff0000, v58
	s_waitcnt vmcnt(3)
	v_dual_fmac_f32 v70, v88, v24 :: v_dual_lshlrev_b32 v25, 16, v65
	v_fmac_f32_e32 v22, v23, v27
	v_and_b32_e32 v23, 0xffff0000, v35
	v_and_b32_e32 v27, 0xffff0000, v59
	s_waitcnt vmcnt(2)
	v_lshlrev_b32_e32 v24, 16, v66
	v_fmac_f32_e32 v70, v89, v25
	v_dual_fmac_f32 v22, v21, v26 :: v_dual_and_b32 v21, 0xffff0000, v36
	v_and_b32_e32 v26, 0xffff0000, v60
	s_waitcnt vmcnt(1)
	s_delay_alu instid0(VALU_DEP_3) | instskip(NEXT) | instid1(VALU_DEP_3)
	v_dual_fmac_f32 v70, v90, v24 :: v_dual_lshlrev_b32 v25, 16, v67
	v_dual_fmac_f32 v22, v23, v27 :: v_dual_and_b32 v23, 0xffff0000, v37
	s_waitcnt vmcnt(0)
	v_lshlrev_b32_e32 v24, 16, v68
	s_delay_alu instid0(VALU_DEP_3) | instskip(NEXT) | instid1(VALU_DEP_3)
	v_fmac_f32_e32 v70, v91, v25
	v_dual_fmac_f32 v22, v21, v26 :: v_dual_and_b32 v27, 0xffff0000, v61
	v_and_b32_e32 v21, 0xffff0000, v38
	v_and_b32_e32 v26, 0xffff0000, v62
	s_delay_alu instid0(VALU_DEP_4) | instskip(NEXT) | instid1(VALU_DEP_4)
	v_fmac_f32_e32 v70, v92, v24
	v_fmac_f32_e32 v22, v23, v27
	v_and_b32_e32 v23, 0xffff0000, v39
	s_delay_alu instid0(VALU_DEP_2) | instskip(SKIP_2) | instid1(VALU_DEP_3)
	v_dual_fmac_f32 v22, v21, v26 :: v_dual_and_b32 v27, 0xffff0000, v63
	v_and_b32_e32 v21, 0xffff0000, v40
	v_and_b32_e32 v26, 0xffff0000, v64
	v_dual_fmac_f32 v22, v23, v27 :: v_dual_and_b32 v23, 0xffff0000, v41
	s_delay_alu instid0(VALU_DEP_1) | instskip(SKIP_2) | instid1(VALU_DEP_3)
	v_dual_fmac_f32 v22, v21, v26 :: v_dual_and_b32 v27, 0xffff0000, v65
	v_and_b32_e32 v21, 0xffff0000, v42
	v_and_b32_e32 v26, 0xffff0000, v66
	v_fmac_f32_e32 v22, v23, v27
	v_and_b32_e32 v23, 0xffff0000, v43
	s_delay_alu instid0(VALU_DEP_2) | instskip(SKIP_2) | instid1(VALU_DEP_3)
	v_dual_fmac_f32 v22, v21, v26 :: v_dual_and_b32 v27, 0xffff0000, v67
	v_and_b32_e32 v21, 0xffff0000, v44
	v_and_b32_e32 v26, 0xffff0000, v68
	v_fmac_f32_e32 v22, v23, v27
	v_cndmask_b32_e64 v23, v3, v8, s1
	v_cmp_gt_i32_e64 s1, 32, v9
	s_delay_alu instid0(VALU_DEP_2) | instskip(NEXT) | instid1(VALU_DEP_2)
	v_dual_fmac_f32 v22, v21, v26 :: v_dual_lshlrev_b32 v21, 2, v23
	v_cndmask_b32_e64 v23, v3, v9, s1
	s_delay_alu instid0(VALU_DEP_1)
	v_dual_add_f32 v22, v70, v22 :: v_dual_lshlrev_b32 v23, 2, v23
	ds_bpermute_b32 v21, v21, v22
	s_waitcnt lgkmcnt(0)
	v_add_f32_e32 v21, v22, v21
	ds_bpermute_b32 v22, v23, v21
	s_and_saveexec_b32 s44, vcc_lo
	s_cbranch_execz .LBB146_11
; %bb.17:                               ;   in Loop: Header=BB146_13 Depth=1
	s_waitcnt lgkmcnt(0)
	v_add_f32_e32 v21, v21, v22
	v_add_nc_u32_e32 v23, v12, v7
	s_delay_alu instid0(VALU_DEP_1) | instskip(NEXT) | instid1(VALU_DEP_1)
	v_cvt_f32_i32_e32 v23, v23
	v_mul_f32_e32 v23, s40, v23
	s_delay_alu instid0(VALU_DEP_1) | instskip(NEXT) | instid1(VALU_DEP_1)
	v_cndmask_b32_e64 v22, 0, v23, s0
	v_dual_max_f32 v23, v4, v4 :: v_dual_fmac_f32 v22, s37, v21
	v_add_nc_u32_e32 v21, v5, v7
	s_delay_alu instid0(VALU_DEP_2) | instskip(NEXT) | instid1(VALU_DEP_2)
	v_max_f32_e32 v23, v23, v22
	v_cmp_gt_i32_e64 s1, s15, v21
	s_delay_alu instid0(VALU_DEP_1) | instskip(NEXT) | instid1(VALU_DEP_3)
	v_cndmask_b32_e64 v21, 0, v22, s1
	v_cndmask_b32_e64 v4, v4, v23, s1
	ds_store_b32 v16, v21
	s_branch .LBB146_11
.LBB146_18:
	s_or_b32 exec_lo, exec_lo, s42
.LBB146_19:
	s_delay_alu instid0(SALU_CYCLE_1) | instskip(SKIP_4) | instid1(VALU_DEP_4)
	s_or_b32 exec_lo, exec_lo, s6
	v_xor_b32_e32 v1, 16, v3
	v_xor_b32_e32 v5, 8, v3
	v_max_f32_e32 v6, v4, v4
	v_and_b32_e32 v16, 31, v0
	v_cmp_gt_i32_e32 vcc_lo, 32, v1
	v_cndmask_b32_e32 v1, v3, v1, vcc_lo
	v_cmp_gt_i32_e32 vcc_lo, 32, v5
	s_delay_alu instid0(VALU_DEP_2) | instskip(SKIP_4) | instid1(VALU_DEP_1)
	v_lshlrev_b32_e32 v2, 2, v1
	ds_bpermute_b32 v1, v2, v4
	v_cndmask_b32_e32 v4, v3, v5, vcc_lo
	s_waitcnt lgkmcnt(0)
	v_max_f32_e32 v1, v1, v1
	v_max_f32_e32 v1, v6, v1
	v_xor_b32_e32 v6, 4, v3
	s_delay_alu instid0(VALU_DEP_1) | instskip(SKIP_2) | instid1(VALU_DEP_2)
	v_cmp_gt_i32_e32 vcc_lo, 32, v6
	v_cndmask_b32_e32 v6, v3, v6, vcc_lo
	v_cmp_eq_u32_e32 vcc_lo, 0, v16
	v_lshlrev_b32_e32 v7, 2, v6
	v_lshlrev_b32_e32 v4, 2, v4
	ds_bpermute_b32 v5, v4, v1
	s_waitcnt lgkmcnt(0)
	v_max_f32_e32 v5, v5, v5
	s_delay_alu instid0(VALU_DEP_1)
	v_max_f32_e32 v1, v1, v5
	v_lshlrev_b32_e32 v5, 2, v14
	ds_bpermute_b32 v6, v7, v1
	s_and_saveexec_b32 s0, vcc_lo
	s_cbranch_execz .LBB146_21
; %bb.20:
	s_waitcnt lgkmcnt(0)
	v_dual_max_f32 v6, v6, v6 :: v_dual_max_f32 v1, v1, v1
	s_delay_alu instid0(VALU_DEP_1)
	v_max_f32_e32 v1, v1, v6
	ds_store_b32 v5, v1 offset:384
.LBB146_21:
	s_or_b32 exec_lo, exec_lo, s0
	v_cmp_gt_u32_e64 s0, 4, v16
	s_waitcnt lgkmcnt(0)
	v_dual_mov_b32 v1, 0xff7fffff :: v_dual_lshlrev_b32 v6, 2, v16
	s_barrier
	buffer_gl0_inv
	s_and_saveexec_b32 s1, s0
	s_cbranch_execz .LBB146_23
; %bb.22:
	ds_load_b32 v1, v6 offset:384
.LBB146_23:
	s_or_b32 exec_lo, exec_lo, s1
	v_xor_b32_e32 v8, 2, v3
	v_xor_b32_e32 v12, 1, v3
	s_delay_alu instid0(VALU_DEP_2) | instskip(NEXT) | instid1(VALU_DEP_1)
	v_cmp_gt_i32_e64 s1, 32, v8
	v_cndmask_b32_e64 v8, v3, v8, s1
	s_delay_alu instid0(VALU_DEP_3) | instskip(NEXT) | instid1(VALU_DEP_2)
	v_cmp_gt_i32_e64 s1, 32, v12
	v_lshlrev_b32_e32 v8, 2, v8
	s_delay_alu instid0(VALU_DEP_2) | instskip(SKIP_1) | instid1(SALU_CYCLE_1)
	v_cndmask_b32_e64 v3, v3, v12, s1
	s_sub_i32 s1, s8, s7
	s_lshl_b32 s1, s1, 3
	s_waitcnt lgkmcnt(0)
	ds_bpermute_b32 v9, v8, v1
	v_max_f32_e32 v1, v1, v1
	s_add_i32 s1, s1, s38
	s_delay_alu instid0(SALU_CYCLE_1) | instskip(NEXT) | instid1(SALU_CYCLE_1)
	s_min_i32 s1, s1, s15
	s_sub_i32 s6, s1, s38
	s_delay_alu instid0(SALU_CYCLE_1) | instskip(SKIP_2) | instid1(VALU_DEP_1)
	v_cmp_gt_i32_e64 s1, s6, v0
	s_waitcnt lgkmcnt(0)
	v_dual_max_f32 v12, v9, v9 :: v_dual_lshlrev_b32 v9, 2, v3
	v_dual_max_f32 v1, v1, v12 :: v_dual_mov_b32 v12, 0
	ds_bpermute_b32 v3, v9, v1
	s_waitcnt lgkmcnt(0)
	v_max_f32_e32 v3, v3, v3
	s_delay_alu instid0(VALU_DEP_1)
	v_max_f32_e32 v1, v1, v3
	v_lshl_add_u32 v3, v0, 2, 0x1a0
	ds_bpermute_b32 v1, v12, v1
	s_and_saveexec_b32 s7, s1
	s_cbranch_execz .LBB146_27
; %bb.24:
	v_lshl_add_u32 v17, v0, 2, 0x1a0
	v_mov_b32_e32 v12, 0
	v_mov_b32_e32 v18, v0
	s_mov_b32 s35, 0
	.p2align	6
.LBB146_25:                             ; =>This Inner Loop Header: Depth=1
	ds_load_b32 v19, v17
	v_add_nc_u32_e32 v18, 0x80, v18
	s_delay_alu instid0(VALU_DEP_1) | instskip(NEXT) | instid1(VALU_DEP_1)
	v_cmp_le_i32_e64 s3, s6, v18
	s_or_b32 s35, s3, s35
	s_waitcnt lgkmcnt(0)
	v_sub_f32_e32 v19, v19, v1
	s_delay_alu instid0(VALU_DEP_1) | instskip(NEXT) | instid1(VALU_DEP_1)
	v_mul_f32_e32 v19, 0x3fb8aa3b, v19
	v_exp_f32_e32 v19, v19
	ds_store_b32 v17, v19
	v_dual_add_f32 v12, v12, v19 :: v_dual_add_nc_u32 v17, 0x200, v17
	s_and_not1_b32 exec_lo, exec_lo, s35
	s_cbranch_execnz .LBB146_25
; %bb.26:
	s_or_b32 exec_lo, exec_lo, s35
.LBB146_27:
	s_delay_alu instid0(SALU_CYCLE_1)
	s_or_b32 exec_lo, exec_lo, s7
	ds_bpermute_b32 v2, v2, v12
	s_waitcnt lgkmcnt(0)
	v_add_f32_e32 v2, v12, v2
	ds_bpermute_b32 v4, v4, v2
	s_waitcnt lgkmcnt(0)
	v_add_f32_e32 v2, v2, v4
	;; [unrolled: 3-line block ×5, first 2 shown]
	s_and_saveexec_b32 s3, vcc_lo
	s_cbranch_execz .LBB146_29
; %bb.28:
	ds_store_b32 v5, v2 offset:400
.LBB146_29:
	s_or_b32 exec_lo, exec_lo, s3
	s_waitcnt lgkmcnt(0)
	s_barrier
	buffer_gl0_inv
	s_and_saveexec_b32 s3, s0
	s_cbranch_execz .LBB146_31
; %bb.30:
	ds_load_b32 v2, v6 offset:400
.LBB146_31:
	s_or_b32 exec_lo, exec_lo, s3
	s_waitcnt lgkmcnt(0)
	ds_bpermute_b32 v4, v8, v2
	s_waitcnt lgkmcnt(0)
	v_add_f32_e32 v2, v2, v4
	ds_bpermute_b32 v4, v9, v2
	s_waitcnt lgkmcnt(0)
	v_add_f32_e32 v2, v2, v4
	v_mov_b32_e32 v4, 0
	ds_bpermute_b32 v2, v4, v2
	s_and_saveexec_b32 s0, s1
	s_cbranch_execz .LBB146_34
; %bb.32:
	s_waitcnt lgkmcnt(0)
	v_add_f32_e32 v4, 0x358637bd, v2
	s_mov_b32 s1, 0
	s_delay_alu instid0(VALU_DEP_1) | instskip(SKIP_1) | instid1(VALU_DEP_2)
	v_div_scale_f32 v5, null, v4, v4, 1.0
	v_div_scale_f32 v8, vcc_lo, 1.0, v4, 1.0
	v_rcp_f32_e32 v6, v5
	s_waitcnt_depctr 0xfff
	v_fma_f32 v7, -v5, v6, 1.0
	s_delay_alu instid0(VALU_DEP_1) | instskip(NEXT) | instid1(VALU_DEP_1)
	v_fmac_f32_e32 v6, v7, v6
	v_mul_f32_e32 v7, v8, v6
	s_delay_alu instid0(VALU_DEP_1) | instskip(NEXT) | instid1(VALU_DEP_1)
	v_fma_f32 v9, -v5, v7, v8
	v_fmac_f32_e32 v7, v9, v6
	s_delay_alu instid0(VALU_DEP_1) | instskip(NEXT) | instid1(VALU_DEP_1)
	v_fma_f32 v5, -v5, v7, v8
	v_div_fmas_f32 v5, v5, v6, v7
	s_delay_alu instid0(VALU_DEP_1)
	v_div_fixup_f32 v4, v5, v4, 1.0
	v_mov_b32_e32 v5, v0
.LBB146_33:                             ; =>This Inner Loop Header: Depth=1
	ds_load_b32 v6, v3
	s_waitcnt lgkmcnt(0)
	v_dual_mul_f32 v6, v4, v6 :: v_dual_add_nc_u32 v5, 0x80, v5
	s_delay_alu instid0(VALU_DEP_1) | instskip(SKIP_3) | instid1(SALU_CYCLE_1)
	v_cmp_le_i32_e32 vcc_lo, s6, v5
	ds_store_b32 v3, v6
	v_add_nc_u32_e32 v3, 0x200, v3
	s_or_b32 s1, vcc_lo, s1
	s_and_not1_b32 exec_lo, exec_lo, s1
	s_cbranch_execnz .LBB146_33
.LBB146_34:
	s_or_b32 exec_lo, exec_lo, s0
	s_mul_i32 s0, s4, s14
	s_waitcnt lgkmcnt(0)
	s_mul_i32 s6, s0, s13
	s_mov_b32 s0, exec_lo
	s_barrier
	buffer_gl0_inv
	v_cmpx_eq_u32_e32 0, v0
	s_cbranch_execz .LBB146_36
; %bb.35:
	s_ashr_i32 s7, s6, 31
	s_mul_i32 s42, s4, s24
	s_lshl_b64 s[40:41], s[6:7], 2
	v_mov_b32_e32 v3, 0
	s_add_u32 s1, s18, s40
	s_addc_u32 s3, s19, s41
	s_ashr_i32 s43, s42, 31
	s_delay_alu instid0(SALU_CYCLE_1) | instskip(NEXT) | instid1(SALU_CYCLE_1)
	s_lshl_b64 s[18:19], s[42:43], 2
	s_add_u32 s1, s1, s18
	s_addc_u32 s3, s3, s19
	s_ashr_i32 s13, s12, 31
	s_delay_alu instid0(SALU_CYCLE_1) | instskip(NEXT) | instid1(SALU_CYCLE_1)
	s_lshl_b64 s[42:43], s[12:13], 2
	s_add_u32 s44, s1, s42
	s_addc_u32 s45, s3, s43
	s_add_u32 s1, s16, s40
	s_addc_u32 s3, s17, s41
	s_add_u32 s1, s1, s18
	s_addc_u32 s3, s3, s19
	s_add_u32 s16, s1, s42
	s_addc_u32 s17, s3, s43
	s_clause 0x1
	global_store_b32 v3, v1, s[44:45]
	global_store_b32 v3, v2, s[16:17]
.LBB146_36:
	s_or_b32 exec_lo, exec_lo, s0
	v_dual_mov_b32 v5, 0 :: v_dual_mov_b32 v18, 0
	v_dual_mov_b32 v17, 0 :: v_dual_mov_b32 v20, 0
	v_mov_b32_e32 v19, 0
	v_mov_b32_e32 v21, 0
	s_mov_b32 s3, 0
	s_and_saveexec_b32 s1, s2
	s_cbranch_execz .LBB146_278
; %bb.37:
	s_ashr_i32 s35, s34, 31
	s_sub_i32 s2, s39, s9
	s_lshl_b64 s[16:17], s[34:35], 1
	v_mov_b32_e32 v21, 0
	s_add_u32 s0, s30, s16
	s_addc_u32 s13, s31, s17
	s_abs_i32 s7, s10
	s_lshl_b64 s[16:17], s[28:29], 2
	v_cvt_f32_u32_e32 v1, s7
	s_sub_i32 s9, 0, s7
	v_lshl_add_u32 v22, v14, 5, 0x1a0
	v_mov_b32_e32 v19, v21
	v_mov_b32_e32 v18, v21
	v_rcp_iflag_f32_e32 v1, v1
	v_dual_mov_b32 v17, v21 :: v_dual_lshlrev_b32 v4, 4, v16
	s_delay_alu instid0(VALU_DEP_1) | instskip(NEXT) | instid1(VALU_DEP_1)
	v_add_co_u32 v23, s0, s0, v4
	v_add_co_ci_u32_e64 v24, null, s13, 0, s0
	s_waitcnt_depctr 0xfff
	v_mul_f32_e32 v1, 0x4f7ffffe, v1
	s_delay_alu instid0(VALU_DEP_1) | instskip(SKIP_1) | instid1(VALU_DEP_2)
	v_cvt_u32_f32_e32 v3, v1
	v_lshlrev_b64 v[1:2], 2, v[10:11]
	v_mul_lo_u32 v5, s9, v3
	s_add_i32 s9, s36, -1
	s_add_u32 s0, s26, s16
	s_addc_u32 s10, s27, s17
	s_delay_alu instid0(VALU_DEP_2) | instskip(SKIP_1) | instid1(VALU_DEP_3)
	v_add_co_u32 v11, vcc_lo, s0, v1
	v_add_co_ci_u32_e32 v12, vcc_lo, s10, v2, vcc_lo
	v_mul_hi_u32 v5, v3, v5
	s_delay_alu instid0(VALU_DEP_1)
	v_dual_mov_b32 v20, v21 :: v_dual_add_nc_u32 v25, v3, v5
	v_mov_b32_e32 v5, v21
	s_branch .LBB146_40
.LBB146_38:                             ;   in Loop: Header=BB146_40 Depth=1
	s_or_b32 exec_lo, exec_lo, s0
	v_and_b32_e32 v38, 0xffff0000, v76
	v_and_b32_e32 v39, 0xffff0000, v75
	;; [unrolled: 1-line block ×6, first 2 shown]
	v_dual_add_f32 v38, v39, v38 :: v_dual_and_b32 v35, 0xffff0000, v72
	v_and_b32_e32 v34, 0xffff0000, v74
	v_and_b32_e32 v44, 0xffff0000, v49
	;; [unrolled: 1-line block ×3, first 2 shown]
	s_delay_alu instid0(VALU_DEP_4) | instskip(NEXT) | instid1(VALU_DEP_4)
	v_dual_add_f32 v35, v36, v35 :: v_dual_and_b32 v40, 0xffff0000, v68
	v_add_f32_e32 v34, v37, v34
	v_and_b32_e32 v36, 0xffff0000, v77
	v_and_b32_e32 v42, 0xffff0000, v59
	v_and_b32_e32 v41, 0xffff0000, v57
	v_and_b32_e32 v8, 0xffff0000, v8
	v_dual_add_f32 v34, v35, v34 :: v_dual_and_b32 v39, 0xffff0000, v63
	v_and_b32_e32 v30, 0xffff0000, v30
	v_and_b32_e32 v31, 0xffff0000, v31
	s_delay_alu instid0(VALU_DEP_3)
	v_dual_add_f32 v34, v34, v38 :: v_dual_and_b32 v9, 0xffff0000, v9
	v_and_b32_e32 v37, 0xffff0000, v78
	v_and_b32_e32 v35, 0xffff0000, v64
	;; [unrolled: 1-line block ×5, first 2 shown]
	s_delay_alu instid0(VALU_DEP_4) | instskip(SKIP_2) | instid1(VALU_DEP_3)
	v_dual_add_f32 v36, v36, v37 :: v_dual_add_f32 v35, v39, v35
	v_and_b32_e32 v37, 0xffff0000, v66
	v_and_b32_e32 v4, 0xffff0000, v4
	v_dual_add_f32 v34, v34, v36 :: v_dual_and_b32 v1, 0xffff0000, v1
	s_delay_alu instid0(VALU_DEP_3) | instskip(SKIP_1) | instid1(VALU_DEP_3)
	v_dual_add_f32 v36, v38, v37 :: v_dual_and_b32 v3, 0xffff0000, v3
	v_dual_add_f32 v8, v8, v9 :: v_dual_and_b32 v37, 0xffff0000, v67
	v_add_f32_e32 v17, v17, v34
	s_delay_alu instid0(VALU_DEP_3) | instskip(SKIP_4) | instid1(VALU_DEP_4)
	v_dual_add_f32 v34, v35, v36 :: v_dual_and_b32 v45, 0xffff0000, v61
	v_dual_add_f32 v9, v26, v27 :: v_dual_and_b32 v36, 0xffff0000, v58
	v_and_b32_e32 v26, 0xffff0000, v33
	v_and_b32_e32 v29, 0xffff0000, v29
	v_add_f32_e32 v1, v1, v6
	v_add_f32_e32 v36, v41, v36
	v_dual_add_f32 v6, v8, v9 :: v_dual_and_b32 v41, 0xffff0000, v48
	s_delay_alu instid0(VALU_DEP_1) | instskip(SKIP_1) | instid1(VALU_DEP_1)
	v_add_f32_e32 v41, v43, v41
	v_add_f32_e32 v35, v37, v40
	v_dual_add_f32 v34, v34, v35 :: v_dual_and_b32 v39, 0xffff0000, v70
	v_and_b32_e32 v32, 0xffff0000, v32
	v_and_b32_e32 v37, 0xffff0000, v56
	;; [unrolled: 1-line block ×4, first 2 shown]
	s_delay_alu instid0(VALU_DEP_4) | instskip(SKIP_1) | instid1(VALU_DEP_2)
	v_add_f32_e32 v2, v2, v32
	v_and_b32_e32 v40, 0xffff0000, v55
	v_dual_add_f32 v1, v1, v2 :: v_dual_and_b32 v28, 0xffff0000, v28
	s_delay_alu instid0(VALU_DEP_2) | instskip(NEXT) | instid1(VALU_DEP_2)
	v_dual_add_f32 v37, v40, v37 :: v_dual_add_f32 v2, v3, v26
	v_dual_add_f32 v8, v28, v29 :: v_dual_and_b32 v3, 0xffff0000, v7
	s_delay_alu instid0(VALU_DEP_2) | instskip(SKIP_2) | instid1(VALU_DEP_4)
	v_add_f32_e32 v36, v37, v36
	v_and_b32_e32 v40, 0xffff0000, v50
	v_and_b32_e32 v37, 0xffff0000, v52
	v_dual_add_f32 v1, v1, v2 :: v_dual_add_f32 v2, v4, v3
	v_add_f32_e32 v6, v6, v8
	s_delay_alu instid0(VALU_DEP_4) | instskip(SKIP_2) | instid1(VALU_DEP_2)
	v_add_f32_e32 v40, v44, v40
	v_and_b32_e32 v38, 0xffff0000, v69
	v_add_f32_e32 v37, v43, v37
	v_dual_add_f32 v1, v1, v2 :: v_dual_add_f32 v38, v38, v39
	s_delay_alu instid0(VALU_DEP_4) | instskip(SKIP_1) | instid1(VALU_DEP_3)
	v_dual_add_f32 v39, v41, v40 :: v_dual_and_b32 v40, 0xffff0000, v53
	v_and_b32_e32 v41, 0xffff0000, v54
	v_add_f32_e32 v5, v5, v1
	s_delay_alu instid0(VALU_DEP_4) | instskip(NEXT) | instid1(VALU_DEP_4)
	v_add_f32_e32 v3, v34, v38
	v_add_f32_e32 v37, v39, v37
	v_dual_add_f32 v35, v42, v35 :: v_dual_and_b32 v42, 0xffff0000, v62
	s_delay_alu instid0(VALU_DEP_3) | instskip(NEXT) | instid1(VALU_DEP_2)
	v_dual_add_f32 v7, v40, v41 :: v_dual_add_f32 v18, v18, v3
	v_dual_add_f32 v35, v36, v35 :: v_dual_add_f32 v36, v45, v42
	s_delay_alu instid0(VALU_DEP_1) | instskip(NEXT) | instid1(VALU_DEP_1)
	v_dual_add_f32 v7, v37, v7 :: v_dual_add_f32 v4, v35, v36
	v_dual_add_f32 v20, v20, v7 :: v_dual_add_f32 v19, v19, v4
	v_add_f32_e32 v8, v30, v31
	s_delay_alu instid0(VALU_DEP_1) | instskip(NEXT) | instid1(VALU_DEP_1)
	v_add_f32_e32 v6, v6, v8
	v_add_f32_e32 v21, v21, v6
.LBB146_39:                             ;   in Loop: Header=BB146_40 Depth=1
	s_or_b32 exec_lo, exec_lo, s10
	v_add_nc_u32_e32 v10, 4, v10
	v_add_co_u32 v11, s0, v11, 16
	s_delay_alu instid0(VALU_DEP_1) | instskip(NEXT) | instid1(VALU_DEP_3)
	v_add_co_ci_u32_e64 v12, s0, 0, v12, s0
	v_cmp_le_i32_e32 vcc_lo, s8, v10
	v_add_nc_u32_e32 v15, 32, v15
	v_add_nc_u32_e32 v22, 0x80, v22
	s_or_b32 s3, vcc_lo, s3
	s_delay_alu instid0(SALU_CYCLE_1)
	s_and_not1_b32 exec_lo, exec_lo, s3
	s_cbranch_execz .LBB146_277
.LBB146_40:                             ; =>This Inner Loop Header: Depth=1
	v_sub_nc_u32_e32 v1, 0, v15
	s_delay_alu instid0(VALU_DEP_1) | instskip(NEXT) | instid1(VALU_DEP_1)
	v_max_i32_e32 v1, v15, v1
	v_mul_hi_u32 v2, v1, s25
	s_delay_alu instid0(VALU_DEP_1) | instskip(NEXT) | instid1(VALU_DEP_1)
	v_mul_lo_u32 v3, v2, s21
	v_sub_nc_u32_e32 v1, v1, v3
	v_add_nc_u32_e32 v3, 1, v2
	s_delay_alu instid0(VALU_DEP_2) | instskip(SKIP_1) | instid1(VALU_DEP_2)
	v_subrev_nc_u32_e32 v4, s21, v1
	v_cmp_le_u32_e32 vcc_lo, s21, v1
	v_dual_cndmask_b32 v2, v2, v3 :: v_dual_cndmask_b32 v1, v1, v4
	v_ashrrev_i32_e32 v3, 31, v15
	s_delay_alu instid0(VALU_DEP_2) | instskip(NEXT) | instid1(VALU_DEP_3)
	v_add_nc_u32_e32 v4, 1, v2
	v_cmp_le_u32_e32 vcc_lo, s21, v1
	s_delay_alu instid0(VALU_DEP_3) | instskip(NEXT) | instid1(VALU_DEP_3)
	v_xor_b32_e32 v3, s11, v3
	v_cndmask_b32_e32 v1, v2, v4, vcc_lo
	s_delay_alu instid0(VALU_DEP_1) | instskip(NEXT) | instid1(VALU_DEP_1)
	v_xor_b32_e32 v1, v1, v3
	v_sub_nc_u32_e32 v1, v1, v3
	s_delay_alu instid0(VALU_DEP_1) | instskip(SKIP_1) | instid1(VALU_DEP_2)
	v_add_nc_u32_e32 v2, s33, v1
	v_cmp_lt_i32_e64 s0, s2, v1
	v_sub_nc_u32_e32 v3, 0, v2
	s_delay_alu instid0(VALU_DEP_1) | instskip(NEXT) | instid1(VALU_DEP_1)
	v_max_i32_e32 v3, v2, v3
	v_mul_hi_u32 v4, v3, v25
	s_delay_alu instid0(VALU_DEP_1) | instskip(NEXT) | instid1(VALU_DEP_1)
	v_mul_lo_u32 v4, v4, s7
	v_sub_nc_u32_e32 v3, v3, v4
	s_delay_alu instid0(VALU_DEP_1) | instskip(SKIP_1) | instid1(VALU_DEP_2)
	v_subrev_nc_u32_e32 v4, s7, v3
	v_cmp_le_u32_e32 vcc_lo, s7, v3
	v_cndmask_b32_e32 v3, v3, v4, vcc_lo
	v_ashrrev_i32_e32 v2, 31, v2
	s_delay_alu instid0(VALU_DEP_2) | instskip(SKIP_1) | instid1(VALU_DEP_2)
	v_subrev_nc_u32_e32 v4, s7, v3
	v_cmp_le_u32_e32 vcc_lo, s7, v3
	v_cndmask_b32_e32 v3, v3, v4, vcc_lo
	s_delay_alu instid0(VALU_DEP_1) | instskip(NEXT) | instid1(VALU_DEP_1)
	v_xor_b32_e32 v3, v3, v2
	v_sub_nc_u32_e32 v2, v3, v2
	s_delay_alu instid0(VALU_DEP_1) | instskip(SKIP_1) | instid1(SALU_CYCLE_1)
	v_cmp_eq_u32_e32 vcc_lo, 0, v2
	s_or_b32 s0, vcc_lo, s0
	s_and_saveexec_b32 s10, s0
	s_cbranch_execz .LBB146_39
; %bb.41:                               ;   in Loop: Header=BB146_40 Depth=1
	global_load_b32 v32, v[11:12], off
	ds_load_2addr_b64 v[6:9], v22 offset1:1
	ds_load_2addr_b64 v[1:4], v22 offset0:2 offset1:3
	s_mov_b32 s0, exec_lo
                                        ; implicit-def: $vgpr39
	s_waitcnt lgkmcnt(1)
	v_and_b32_e32 v26, 0x7f800000, v6
	s_delay_alu instid0(VALU_DEP_1)
	v_cmpx_ne_u32_e32 0x7f800000, v26
	s_xor_b32 s0, exec_lo, s0
; %bb.42:                               ;   in Loop: Header=BB146_40 Depth=1
	v_bfe_u32 v26, v6, 16, 1
	s_delay_alu instid0(VALU_DEP_1)
	v_add3_u32 v39, v6, v26, 0x7fff
; %bb.43:                               ;   in Loop: Header=BB146_40 Depth=1
	s_and_not1_saveexec_b32 s0, s0
; %bb.44:                               ;   in Loop: Header=BB146_40 Depth=1
	v_and_b32_e32 v26, 0xffff, v6
	v_or_b32_e32 v27, 0x10000, v6
	s_delay_alu instid0(VALU_DEP_2) | instskip(NEXT) | instid1(VALU_DEP_2)
	v_cmp_eq_u32_e32 vcc_lo, 0, v26
	v_cndmask_b32_e32 v39, v27, v6, vcc_lo
; %bb.45:                               ;   in Loop: Header=BB146_40 Depth=1
	s_or_b32 exec_lo, exec_lo, s0
	v_and_b32_e32 v6, 0x7f800000, v7
	s_mov_b32 s0, exec_lo
                                        ; implicit-def: $vgpr40
	s_delay_alu instid0(VALU_DEP_1)
	v_cmpx_ne_u32_e32 0x7f800000, v6
	s_xor_b32 s0, exec_lo, s0
; %bb.46:                               ;   in Loop: Header=BB146_40 Depth=1
	v_bfe_u32 v6, v7, 16, 1
	s_delay_alu instid0(VALU_DEP_1)
	v_add3_u32 v40, v7, v6, 0x7fff
; %bb.47:                               ;   in Loop: Header=BB146_40 Depth=1
	s_and_not1_saveexec_b32 s0, s0
; %bb.48:                               ;   in Loop: Header=BB146_40 Depth=1
	v_and_b32_e32 v6, 0xffff, v7
	v_or_b32_e32 v26, 0x10000, v7
	s_delay_alu instid0(VALU_DEP_2) | instskip(NEXT) | instid1(VALU_DEP_2)
	v_cmp_eq_u32_e32 vcc_lo, 0, v6
	v_cndmask_b32_e32 v40, v26, v7, vcc_lo
; %bb.49:                               ;   in Loop: Header=BB146_40 Depth=1
	s_or_b32 exec_lo, exec_lo, s0
	v_and_b32_e32 v6, 0x7f800000, v8
	s_mov_b32 s0, exec_lo
                                        ; implicit-def: $vgpr26
	s_delay_alu instid0(VALU_DEP_1)
	v_cmpx_ne_u32_e32 0x7f800000, v6
	s_xor_b32 s0, exec_lo, s0
; %bb.50:                               ;   in Loop: Header=BB146_40 Depth=1
	v_bfe_u32 v6, v8, 16, 1
	s_delay_alu instid0(VALU_DEP_1)
	v_add3_u32 v26, v8, v6, 0x7fff
; %bb.51:                               ;   in Loop: Header=BB146_40 Depth=1
	s_and_not1_saveexec_b32 s0, s0
; %bb.52:                               ;   in Loop: Header=BB146_40 Depth=1
	v_and_b32_e32 v6, 0xffff, v8
	v_or_b32_e32 v7, 0x10000, v8
	s_delay_alu instid0(VALU_DEP_2) | instskip(NEXT) | instid1(VALU_DEP_2)
	v_cmp_eq_u32_e32 vcc_lo, 0, v6
	v_cndmask_b32_e32 v26, v7, v8, vcc_lo
; %bb.53:                               ;   in Loop: Header=BB146_40 Depth=1
	s_or_b32 exec_lo, exec_lo, s0
	v_and_b32_e32 v6, 0x7f800000, v9
	s_mov_b32 s0, exec_lo
                                        ; implicit-def: $vgpr27
	s_delay_alu instid0(VALU_DEP_1)
	v_cmpx_ne_u32_e32 0x7f800000, v6
	s_xor_b32 s0, exec_lo, s0
; %bb.54:                               ;   in Loop: Header=BB146_40 Depth=1
	v_bfe_u32 v6, v9, 16, 1
	s_delay_alu instid0(VALU_DEP_1)
	v_add3_u32 v27, v9, v6, 0x7fff
                                        ; implicit-def: $vgpr6_vgpr7_vgpr8_vgpr9
; %bb.55:                               ;   in Loop: Header=BB146_40 Depth=1
	s_and_not1_saveexec_b32 s0, s0
; %bb.56:                               ;   in Loop: Header=BB146_40 Depth=1
	v_and_b32_e32 v6, 0xffff, v9
	v_or_b32_e32 v7, 0x10000, v9
	s_delay_alu instid0(VALU_DEP_2) | instskip(NEXT) | instid1(VALU_DEP_2)
	v_cmp_eq_u32_e32 vcc_lo, 0, v6
	v_cndmask_b32_e32 v27, v7, v9, vcc_lo
; %bb.57:                               ;   in Loop: Header=BB146_40 Depth=1
	s_or_b32 exec_lo, exec_lo, s0
	s_waitcnt lgkmcnt(0)
	v_and_b32_e32 v6, 0x7f800000, v1
	s_mov_b32 s0, exec_lo
                                        ; implicit-def: $vgpr28
	s_delay_alu instid0(VALU_DEP_1)
	v_cmpx_ne_u32_e32 0x7f800000, v6
	s_xor_b32 s0, exec_lo, s0
; %bb.58:                               ;   in Loop: Header=BB146_40 Depth=1
	v_bfe_u32 v6, v1, 16, 1
	s_delay_alu instid0(VALU_DEP_1)
	v_add3_u32 v28, v1, v6, 0x7fff
; %bb.59:                               ;   in Loop: Header=BB146_40 Depth=1
	s_and_not1_saveexec_b32 s0, s0
; %bb.60:                               ;   in Loop: Header=BB146_40 Depth=1
	v_and_b32_e32 v6, 0xffff, v1
	v_or_b32_e32 v7, 0x10000, v1
	s_delay_alu instid0(VALU_DEP_2) | instskip(NEXT) | instid1(VALU_DEP_2)
	v_cmp_eq_u32_e32 vcc_lo, 0, v6
	v_cndmask_b32_e32 v28, v7, v1, vcc_lo
; %bb.61:                               ;   in Loop: Header=BB146_40 Depth=1
	s_or_b32 exec_lo, exec_lo, s0
	v_and_b32_e32 v1, 0x7f800000, v2
	s_mov_b32 s0, exec_lo
                                        ; implicit-def: $vgpr29
	s_delay_alu instid0(VALU_DEP_1)
	v_cmpx_ne_u32_e32 0x7f800000, v1
	s_xor_b32 s0, exec_lo, s0
; %bb.62:                               ;   in Loop: Header=BB146_40 Depth=1
	v_bfe_u32 v1, v2, 16, 1
	s_delay_alu instid0(VALU_DEP_1)
	v_add3_u32 v29, v2, v1, 0x7fff
; %bb.63:                               ;   in Loop: Header=BB146_40 Depth=1
	s_and_not1_saveexec_b32 s0, s0
; %bb.64:                               ;   in Loop: Header=BB146_40 Depth=1
	v_and_b32_e32 v1, 0xffff, v2
	v_or_b32_e32 v6, 0x10000, v2
	s_delay_alu instid0(VALU_DEP_2) | instskip(NEXT) | instid1(VALU_DEP_2)
	v_cmp_eq_u32_e32 vcc_lo, 0, v1
	v_cndmask_b32_e32 v29, v6, v2, vcc_lo
; %bb.65:                               ;   in Loop: Header=BB146_40 Depth=1
	s_or_b32 exec_lo, exec_lo, s0
	v_and_b32_e32 v1, 0x7f800000, v3
	s_mov_b32 s0, exec_lo
                                        ; implicit-def: $vgpr30
	s_delay_alu instid0(VALU_DEP_1)
	v_cmpx_ne_u32_e32 0x7f800000, v1
	s_xor_b32 s0, exec_lo, s0
; %bb.66:                               ;   in Loop: Header=BB146_40 Depth=1
	v_bfe_u32 v1, v3, 16, 1
	s_delay_alu instid0(VALU_DEP_1)
	v_add3_u32 v30, v3, v1, 0x7fff
; %bb.67:                               ;   in Loop: Header=BB146_40 Depth=1
	s_and_not1_saveexec_b32 s0, s0
; %bb.68:                               ;   in Loop: Header=BB146_40 Depth=1
	v_and_b32_e32 v1, 0xffff, v3
	v_or_b32_e32 v2, 0x10000, v3
	s_delay_alu instid0(VALU_DEP_2) | instskip(NEXT) | instid1(VALU_DEP_2)
	v_cmp_eq_u32_e32 vcc_lo, 0, v1
	v_cndmask_b32_e32 v30, v2, v3, vcc_lo
; %bb.69:                               ;   in Loop: Header=BB146_40 Depth=1
	s_or_b32 exec_lo, exec_lo, s0
	v_and_b32_e32 v1, 0x7f800000, v4
	s_mov_b32 s0, exec_lo
                                        ; implicit-def: $vgpr31
	s_delay_alu instid0(VALU_DEP_1)
	v_cmpx_ne_u32_e32 0x7f800000, v1
	s_xor_b32 s0, exec_lo, s0
; %bb.70:                               ;   in Loop: Header=BB146_40 Depth=1
	v_bfe_u32 v1, v4, 16, 1
	s_delay_alu instid0(VALU_DEP_1)
	v_add3_u32 v31, v4, v1, 0x7fff
                                        ; implicit-def: $vgpr1_vgpr2_vgpr3_vgpr4
; %bb.71:                               ;   in Loop: Header=BB146_40 Depth=1
	s_and_not1_saveexec_b32 s0, s0
; %bb.72:                               ;   in Loop: Header=BB146_40 Depth=1
	v_and_b32_e32 v1, 0xffff, v4
	v_or_b32_e32 v2, 0x10000, v4
	s_delay_alu instid0(VALU_DEP_2) | instskip(NEXT) | instid1(VALU_DEP_2)
	v_cmp_eq_u32_e32 vcc_lo, 0, v1
	v_cndmask_b32_e32 v31, v2, v4, vcc_lo
; %bb.73:                               ;   in Loop: Header=BB146_40 Depth=1
	s_or_b32 exec_lo, exec_lo, s0
	s_waitcnt vmcnt(0)
	v_mad_i64_i32 v[1:2], null, v32, s5, 0
	v_add_nc_u32_e32 v38, 1, v15
	v_add_nc_u32_e32 v37, 2, v15
	;; [unrolled: 1-line block ×6, first 2 shown]
	v_lshlrev_b64 v[1:2], 1, v[1:2]
	v_add_nc_u32_e32 v36, 7, v15
	s_delay_alu instid0(VALU_DEP_2) | instskip(NEXT) | instid1(VALU_DEP_3)
	v_add_co_u32 v6, vcc_lo, v23, v1
	v_add_co_ci_u32_e32 v7, vcc_lo, v24, v2, vcc_lo
	v_cmp_eq_u32_e32 vcc_lo, s9, v10
	global_load_b128 v[1:4], v[6:7], off
	s_waitcnt vmcnt(0)
	v_lshrrev_b32_e32 v9, 16, v1
	v_lshrrev_b32_e32 v43, 16, v2
	v_lshrrev_b32_e32 v45, 16, v3
	v_lshrrev_b32_e32 v47, 16, v4
	s_and_saveexec_b32 s13, vcc_lo
	s_cbranch_execz .LBB146_75
; %bb.74:                               ;   in Loop: Header=BB146_40 Depth=1
	v_cmp_gt_i32_e64 s0, s15, v15
	s_delay_alu instid0(VALU_DEP_1) | instskip(SKIP_1) | instid1(VALU_DEP_1)
	v_cndmask_b32_e64 v1, 0, v1, s0
	v_cmp_gt_i32_e64 s0, s15, v38
	v_cndmask_b32_e64 v9, 0, v9, s0
	v_cmp_gt_i32_e64 s0, s15, v37
	s_delay_alu instid0(VALU_DEP_1) | instskip(SKIP_1) | instid1(VALU_DEP_1)
	v_cndmask_b32_e64 v2, 0, v2, s0
	v_cmp_gt_i32_e64 s0, s15, v35
	v_cndmask_b32_e64 v43, 0, v43, s0
	v_cmp_gt_i32_e64 s0, s15, v34
	s_delay_alu instid0(VALU_DEP_1) | instskip(SKIP_1) | instid1(VALU_DEP_1)
	v_cndmask_b32_e64 v3, 0, v3, s0
	v_cmp_gt_i32_e64 s0, s15, v33
	v_cndmask_b32_e64 v45, 0, v45, s0
	v_cmp_gt_i32_e64 s0, s15, v32
	s_delay_alu instid0(VALU_DEP_1) | instskip(SKIP_1) | instid1(VALU_DEP_1)
	v_cndmask_b32_e64 v4, 0, v4, s0
	v_cmp_gt_i32_e64 s0, s15, v36
	v_cndmask_b32_e64 v47, 0, v47, s0
.LBB146_75:                             ;   in Loop: Header=BB146_40 Depth=1
	s_or_b32 exec_lo, exec_lo, s13
	v_and_b32_e32 v39, 0xffff0000, v39
	v_lshlrev_b32_e32 v1, 16, v1
	s_delay_alu instid0(VALU_DEP_1) | instskip(NEXT) | instid1(VALU_DEP_1)
	v_mul_f32_e32 v1, v39, v1
	v_and_b32_e32 v8, 0x7f800000, v1
	s_delay_alu instid0(VALU_DEP_1) | instskip(NEXT) | instid1(VALU_DEP_1)
	v_cmp_ne_u32_e64 s0, 0x7f800000, v8
                                        ; implicit-def: $vgpr8
	s_and_saveexec_b32 s13, s0
	s_delay_alu instid0(SALU_CYCLE_1)
	s_xor_b32 s0, exec_lo, s13
; %bb.76:                               ;   in Loop: Header=BB146_40 Depth=1
	v_bfe_u32 v8, v1, 16, 1
	s_delay_alu instid0(VALU_DEP_1)
	v_add3_u32 v8, v1, v8, 0x7fff
                                        ; implicit-def: $vgpr1
; %bb.77:                               ;   in Loop: Header=BB146_40 Depth=1
	s_and_not1_saveexec_b32 s13, s0
; %bb.78:                               ;   in Loop: Header=BB146_40 Depth=1
	v_and_b32_e32 v8, 0xffff, v1
	v_or_b32_e32 v41, 0x10000, v1
	s_delay_alu instid0(VALU_DEP_2) | instskip(NEXT) | instid1(VALU_DEP_1)
	v_cmp_eq_u32_e64 s0, 0, v8
	v_cndmask_b32_e64 v8, v41, v1, s0
; %bb.79:                               ;   in Loop: Header=BB146_40 Depth=1
	s_or_b32 exec_lo, exec_lo, s13
	v_and_b32_e32 v40, 0xffff0000, v40
	v_lshlrev_b32_e32 v1, 16, v9
	s_delay_alu instid0(VALU_DEP_1) | instskip(NEXT) | instid1(VALU_DEP_1)
	v_mul_f32_e32 v1, v40, v1
	v_and_b32_e32 v9, 0x7f800000, v1
	s_delay_alu instid0(VALU_DEP_1) | instskip(NEXT) | instid1(VALU_DEP_1)
	v_cmp_ne_u32_e64 s0, 0x7f800000, v9
                                        ; implicit-def: $vgpr9
	s_and_saveexec_b32 s13, s0
	s_delay_alu instid0(SALU_CYCLE_1)
	s_xor_b32 s0, exec_lo, s13
; %bb.80:                               ;   in Loop: Header=BB146_40 Depth=1
	v_bfe_u32 v9, v1, 16, 1
	s_delay_alu instid0(VALU_DEP_1)
	v_add3_u32 v9, v1, v9, 0x7fff
                                        ; implicit-def: $vgpr1
; %bb.81:                               ;   in Loop: Header=BB146_40 Depth=1
	s_and_not1_saveexec_b32 s13, s0
; %bb.82:                               ;   in Loop: Header=BB146_40 Depth=1
	v_and_b32_e32 v9, 0xffff, v1
	v_or_b32_e32 v41, 0x10000, v1
	s_delay_alu instid0(VALU_DEP_2) | instskip(NEXT) | instid1(VALU_DEP_1)
	v_cmp_eq_u32_e64 s0, 0, v9
	v_cndmask_b32_e64 v9, v41, v1, s0
; %bb.83:                               ;   in Loop: Header=BB146_40 Depth=1
	s_or_b32 exec_lo, exec_lo, s13
	v_and_b32_e32 v41, 0xffff0000, v26
	v_lshlrev_b32_e32 v1, 16, v2
                                        ; implicit-def: $vgpr26
	s_delay_alu instid0(VALU_DEP_1) | instskip(NEXT) | instid1(VALU_DEP_1)
	v_mul_f32_e32 v1, v41, v1
	v_and_b32_e32 v2, 0x7f800000, v1
	s_delay_alu instid0(VALU_DEP_1) | instskip(NEXT) | instid1(VALU_DEP_1)
	v_cmp_ne_u32_e64 s0, 0x7f800000, v2
	s_and_saveexec_b32 s13, s0
	s_delay_alu instid0(SALU_CYCLE_1)
	s_xor_b32 s0, exec_lo, s13
; %bb.84:                               ;   in Loop: Header=BB146_40 Depth=1
	v_bfe_u32 v2, v1, 16, 1
	s_delay_alu instid0(VALU_DEP_1)
	v_add3_u32 v26, v1, v2, 0x7fff
                                        ; implicit-def: $vgpr1
; %bb.85:                               ;   in Loop: Header=BB146_40 Depth=1
	s_and_not1_saveexec_b32 s13, s0
; %bb.86:                               ;   in Loop: Header=BB146_40 Depth=1
	v_and_b32_e32 v2, 0xffff, v1
	v_or_b32_e32 v26, 0x10000, v1
	s_delay_alu instid0(VALU_DEP_2) | instskip(NEXT) | instid1(VALU_DEP_1)
	v_cmp_eq_u32_e64 s0, 0, v2
	v_cndmask_b32_e64 v26, v26, v1, s0
; %bb.87:                               ;   in Loop: Header=BB146_40 Depth=1
	s_or_b32 exec_lo, exec_lo, s13
	v_and_b32_e32 v42, 0xffff0000, v27
	v_lshlrev_b32_e32 v1, 16, v43
                                        ; implicit-def: $vgpr27
	s_delay_alu instid0(VALU_DEP_1) | instskip(NEXT) | instid1(VALU_DEP_1)
	v_mul_f32_e32 v1, v42, v1
	v_and_b32_e32 v2, 0x7f800000, v1
	s_delay_alu instid0(VALU_DEP_1) | instskip(NEXT) | instid1(VALU_DEP_1)
	v_cmp_ne_u32_e64 s0, 0x7f800000, v2
	s_and_saveexec_b32 s13, s0
	s_delay_alu instid0(SALU_CYCLE_1)
	s_xor_b32 s0, exec_lo, s13
; %bb.88:                               ;   in Loop: Header=BB146_40 Depth=1
	v_bfe_u32 v2, v1, 16, 1
	s_delay_alu instid0(VALU_DEP_1)
	v_add3_u32 v27, v1, v2, 0x7fff
                                        ; implicit-def: $vgpr1
; %bb.89:                               ;   in Loop: Header=BB146_40 Depth=1
	s_and_not1_saveexec_b32 s13, s0
; %bb.90:                               ;   in Loop: Header=BB146_40 Depth=1
	v_and_b32_e32 v2, 0xffff, v1
	v_or_b32_e32 v27, 0x10000, v1
	s_delay_alu instid0(VALU_DEP_2) | instskip(NEXT) | instid1(VALU_DEP_1)
	v_cmp_eq_u32_e64 s0, 0, v2
	v_cndmask_b32_e64 v27, v27, v1, s0
; %bb.91:                               ;   in Loop: Header=BB146_40 Depth=1
	s_or_b32 exec_lo, exec_lo, s13
	v_and_b32_e32 v43, 0xffff0000, v28
	v_lshlrev_b32_e32 v1, 16, v3
                                        ; implicit-def: $vgpr28
	s_delay_alu instid0(VALU_DEP_1) | instskip(NEXT) | instid1(VALU_DEP_1)
	v_mul_f32_e32 v1, v43, v1
	v_and_b32_e32 v2, 0x7f800000, v1
	s_delay_alu instid0(VALU_DEP_1) | instskip(NEXT) | instid1(VALU_DEP_1)
	v_cmp_ne_u32_e64 s0, 0x7f800000, v2
	s_and_saveexec_b32 s13, s0
	s_delay_alu instid0(SALU_CYCLE_1)
	s_xor_b32 s0, exec_lo, s13
; %bb.92:                               ;   in Loop: Header=BB146_40 Depth=1
	v_bfe_u32 v2, v1, 16, 1
	s_delay_alu instid0(VALU_DEP_1)
	v_add3_u32 v28, v1, v2, 0x7fff
                                        ; implicit-def: $vgpr1
; %bb.93:                               ;   in Loop: Header=BB146_40 Depth=1
	s_and_not1_saveexec_b32 s13, s0
; %bb.94:                               ;   in Loop: Header=BB146_40 Depth=1
	v_and_b32_e32 v2, 0xffff, v1
	v_or_b32_e32 v3, 0x10000, v1
	s_delay_alu instid0(VALU_DEP_2) | instskip(NEXT) | instid1(VALU_DEP_1)
	v_cmp_eq_u32_e64 s0, 0, v2
	v_cndmask_b32_e64 v28, v3, v1, s0
; %bb.95:                               ;   in Loop: Header=BB146_40 Depth=1
	s_or_b32 exec_lo, exec_lo, s13
	v_and_b32_e32 v44, 0xffff0000, v29
	v_lshlrev_b32_e32 v1, 16, v45
                                        ; implicit-def: $vgpr29
	s_delay_alu instid0(VALU_DEP_1) | instskip(NEXT) | instid1(VALU_DEP_1)
	v_mul_f32_e32 v1, v44, v1
	v_and_b32_e32 v2, 0x7f800000, v1
	s_delay_alu instid0(VALU_DEP_1) | instskip(NEXT) | instid1(VALU_DEP_1)
	v_cmp_ne_u32_e64 s0, 0x7f800000, v2
	s_and_saveexec_b32 s13, s0
	s_delay_alu instid0(SALU_CYCLE_1)
	s_xor_b32 s0, exec_lo, s13
; %bb.96:                               ;   in Loop: Header=BB146_40 Depth=1
	v_bfe_u32 v2, v1, 16, 1
	s_delay_alu instid0(VALU_DEP_1)
	v_add3_u32 v29, v1, v2, 0x7fff
                                        ; implicit-def: $vgpr1
; %bb.97:                               ;   in Loop: Header=BB146_40 Depth=1
	s_and_not1_saveexec_b32 s13, s0
; %bb.98:                               ;   in Loop: Header=BB146_40 Depth=1
	v_and_b32_e32 v2, 0xffff, v1
	v_or_b32_e32 v3, 0x10000, v1
	s_delay_alu instid0(VALU_DEP_2) | instskip(NEXT) | instid1(VALU_DEP_1)
	v_cmp_eq_u32_e64 s0, 0, v2
	v_cndmask_b32_e64 v29, v3, v1, s0
; %bb.99:                               ;   in Loop: Header=BB146_40 Depth=1
	s_or_b32 exec_lo, exec_lo, s13
	v_and_b32_e32 v45, 0xffff0000, v30
	v_lshlrev_b32_e32 v1, 16, v4
                                        ; implicit-def: $vgpr30
	s_delay_alu instid0(VALU_DEP_1) | instskip(NEXT) | instid1(VALU_DEP_1)
	v_mul_f32_e32 v1, v45, v1
	v_and_b32_e32 v2, 0x7f800000, v1
	s_delay_alu instid0(VALU_DEP_1) | instskip(NEXT) | instid1(VALU_DEP_1)
	v_cmp_ne_u32_e64 s0, 0x7f800000, v2
	s_and_saveexec_b32 s13, s0
	s_delay_alu instid0(SALU_CYCLE_1)
	s_xor_b32 s0, exec_lo, s13
; %bb.100:                              ;   in Loop: Header=BB146_40 Depth=1
	v_bfe_u32 v2, v1, 16, 1
	s_delay_alu instid0(VALU_DEP_1)
	v_add3_u32 v30, v1, v2, 0x7fff
                                        ; implicit-def: $vgpr1
; %bb.101:                              ;   in Loop: Header=BB146_40 Depth=1
	s_and_not1_saveexec_b32 s13, s0
; %bb.102:                              ;   in Loop: Header=BB146_40 Depth=1
	v_and_b32_e32 v2, 0xffff, v1
	v_or_b32_e32 v3, 0x10000, v1
	s_delay_alu instid0(VALU_DEP_2) | instskip(NEXT) | instid1(VALU_DEP_1)
	v_cmp_eq_u32_e64 s0, 0, v2
	v_cndmask_b32_e64 v30, v3, v1, s0
; %bb.103:                              ;   in Loop: Header=BB146_40 Depth=1
	s_or_b32 exec_lo, exec_lo, s13
	v_and_b32_e32 v46, 0xffff0000, v31
	v_lshlrev_b32_e32 v1, 16, v47
                                        ; implicit-def: $vgpr31
	s_delay_alu instid0(VALU_DEP_1) | instskip(NEXT) | instid1(VALU_DEP_1)
	v_mul_f32_e32 v1, v46, v1
	v_and_b32_e32 v2, 0x7f800000, v1
	s_delay_alu instid0(VALU_DEP_1) | instskip(NEXT) | instid1(VALU_DEP_1)
	v_cmp_ne_u32_e64 s0, 0x7f800000, v2
	s_and_saveexec_b32 s13, s0
	s_delay_alu instid0(SALU_CYCLE_1)
	s_xor_b32 s0, exec_lo, s13
; %bb.104:                              ;   in Loop: Header=BB146_40 Depth=1
	v_bfe_u32 v2, v1, 16, 1
	s_delay_alu instid0(VALU_DEP_1)
	v_add3_u32 v31, v1, v2, 0x7fff
                                        ; implicit-def: $vgpr1
; %bb.105:                              ;   in Loop: Header=BB146_40 Depth=1
	s_and_not1_saveexec_b32 s13, s0
; %bb.106:                              ;   in Loop: Header=BB146_40 Depth=1
	v_and_b32_e32 v2, 0xffff, v1
	v_or_b32_e32 v3, 0x10000, v1
	s_delay_alu instid0(VALU_DEP_2) | instskip(NEXT) | instid1(VALU_DEP_1)
	v_cmp_eq_u32_e64 s0, 0, v2
	v_cndmask_b32_e64 v31, v3, v1, s0
; %bb.107:                              ;   in Loop: Header=BB146_40 Depth=1
	s_or_b32 exec_lo, exec_lo, s13
	global_load_b128 v[1:4], v[6:7], off offset:512
	s_waitcnt vmcnt(0)
	v_lshrrev_b32_e32 v48, 16, v1
	v_lshrrev_b32_e32 v50, 16, v2
	;; [unrolled: 1-line block ×4, first 2 shown]
	s_and_saveexec_b32 s13, vcc_lo
	s_cbranch_execz .LBB146_109
; %bb.108:                              ;   in Loop: Header=BB146_40 Depth=1
	v_cmp_gt_i32_e64 s0, s15, v15
	s_delay_alu instid0(VALU_DEP_1) | instskip(SKIP_1) | instid1(VALU_DEP_1)
	v_cndmask_b32_e64 v1, 0, v1, s0
	v_cmp_gt_i32_e64 s0, s15, v38
	v_cndmask_b32_e64 v48, 0, v48, s0
	v_cmp_gt_i32_e64 s0, s15, v37
	s_delay_alu instid0(VALU_DEP_1) | instskip(SKIP_1) | instid1(VALU_DEP_1)
	v_cndmask_b32_e64 v2, 0, v2, s0
	v_cmp_gt_i32_e64 s0, s15, v35
	v_cndmask_b32_e64 v50, 0, v50, s0
	;; [unrolled: 5-line block ×4, first 2 shown]
.LBB146_109:                            ;   in Loop: Header=BB146_40 Depth=1
	s_or_b32 exec_lo, exec_lo, s13
	v_lshlrev_b32_e32 v1, 16, v1
	s_delay_alu instid0(VALU_DEP_1) | instskip(NEXT) | instid1(VALU_DEP_1)
	v_mul_f32_e32 v1, v39, v1
	v_and_b32_e32 v47, 0x7f800000, v1
	s_delay_alu instid0(VALU_DEP_1) | instskip(NEXT) | instid1(VALU_DEP_1)
	v_cmp_ne_u32_e64 s0, 0x7f800000, v47
                                        ; implicit-def: $vgpr47
	s_and_saveexec_b32 s13, s0
	s_delay_alu instid0(SALU_CYCLE_1)
	s_xor_b32 s0, exec_lo, s13
; %bb.110:                              ;   in Loop: Header=BB146_40 Depth=1
	v_bfe_u32 v47, v1, 16, 1
	s_delay_alu instid0(VALU_DEP_1)
	v_add3_u32 v47, v1, v47, 0x7fff
                                        ; implicit-def: $vgpr1
; %bb.111:                              ;   in Loop: Header=BB146_40 Depth=1
	s_and_not1_saveexec_b32 s13, s0
; %bb.112:                              ;   in Loop: Header=BB146_40 Depth=1
	v_and_b32_e32 v47, 0xffff, v1
	v_or_b32_e32 v49, 0x10000, v1
	s_delay_alu instid0(VALU_DEP_2) | instskip(NEXT) | instid1(VALU_DEP_1)
	v_cmp_eq_u32_e64 s0, 0, v47
	v_cndmask_b32_e64 v47, v49, v1, s0
; %bb.113:                              ;   in Loop: Header=BB146_40 Depth=1
	s_or_b32 exec_lo, exec_lo, s13
	v_lshlrev_b32_e32 v1, 16, v48
	s_delay_alu instid0(VALU_DEP_1) | instskip(NEXT) | instid1(VALU_DEP_1)
	v_mul_f32_e32 v1, v40, v1
	v_and_b32_e32 v48, 0x7f800000, v1
	s_delay_alu instid0(VALU_DEP_1) | instskip(NEXT) | instid1(VALU_DEP_1)
	v_cmp_ne_u32_e64 s0, 0x7f800000, v48
                                        ; implicit-def: $vgpr48
	s_and_saveexec_b32 s13, s0
	s_delay_alu instid0(SALU_CYCLE_1)
	s_xor_b32 s0, exec_lo, s13
; %bb.114:                              ;   in Loop: Header=BB146_40 Depth=1
	v_bfe_u32 v48, v1, 16, 1
	s_delay_alu instid0(VALU_DEP_1)
	v_add3_u32 v48, v1, v48, 0x7fff
                                        ; implicit-def: $vgpr1
; %bb.115:                              ;   in Loop: Header=BB146_40 Depth=1
	s_and_not1_saveexec_b32 s13, s0
; %bb.116:                              ;   in Loop: Header=BB146_40 Depth=1
	v_and_b32_e32 v48, 0xffff, v1
	v_or_b32_e32 v49, 0x10000, v1
	s_delay_alu instid0(VALU_DEP_2) | instskip(NEXT) | instid1(VALU_DEP_1)
	v_cmp_eq_u32_e64 s0, 0, v48
	v_cndmask_b32_e64 v48, v49, v1, s0
; %bb.117:                              ;   in Loop: Header=BB146_40 Depth=1
	s_or_b32 exec_lo, exec_lo, s13
	v_lshlrev_b32_e32 v1, 16, v2
                                        ; implicit-def: $vgpr49
	s_delay_alu instid0(VALU_DEP_1) | instskip(NEXT) | instid1(VALU_DEP_1)
	v_mul_f32_e32 v1, v41, v1
	v_and_b32_e32 v2, 0x7f800000, v1
	s_delay_alu instid0(VALU_DEP_1) | instskip(NEXT) | instid1(VALU_DEP_1)
	v_cmp_ne_u32_e64 s0, 0x7f800000, v2
	s_and_saveexec_b32 s13, s0
	s_delay_alu instid0(SALU_CYCLE_1)
	s_xor_b32 s0, exec_lo, s13
; %bb.118:                              ;   in Loop: Header=BB146_40 Depth=1
	v_bfe_u32 v2, v1, 16, 1
	s_delay_alu instid0(VALU_DEP_1)
	v_add3_u32 v49, v1, v2, 0x7fff
                                        ; implicit-def: $vgpr1
; %bb.119:                              ;   in Loop: Header=BB146_40 Depth=1
	s_and_not1_saveexec_b32 s13, s0
; %bb.120:                              ;   in Loop: Header=BB146_40 Depth=1
	v_and_b32_e32 v2, 0xffff, v1
	v_or_b32_e32 v49, 0x10000, v1
	s_delay_alu instid0(VALU_DEP_2) | instskip(NEXT) | instid1(VALU_DEP_1)
	v_cmp_eq_u32_e64 s0, 0, v2
	v_cndmask_b32_e64 v49, v49, v1, s0
; %bb.121:                              ;   in Loop: Header=BB146_40 Depth=1
	s_or_b32 exec_lo, exec_lo, s13
	v_lshlrev_b32_e32 v1, 16, v50
                                        ; implicit-def: $vgpr50
	s_delay_alu instid0(VALU_DEP_1) | instskip(NEXT) | instid1(VALU_DEP_1)
	v_mul_f32_e32 v1, v42, v1
	v_and_b32_e32 v2, 0x7f800000, v1
	s_delay_alu instid0(VALU_DEP_1) | instskip(NEXT) | instid1(VALU_DEP_1)
	v_cmp_ne_u32_e64 s0, 0x7f800000, v2
	s_and_saveexec_b32 s13, s0
	s_delay_alu instid0(SALU_CYCLE_1)
	s_xor_b32 s0, exec_lo, s13
; %bb.122:                              ;   in Loop: Header=BB146_40 Depth=1
	v_bfe_u32 v2, v1, 16, 1
	s_delay_alu instid0(VALU_DEP_1)
	v_add3_u32 v50, v1, v2, 0x7fff
                                        ; implicit-def: $vgpr1
; %bb.123:                              ;   in Loop: Header=BB146_40 Depth=1
	s_and_not1_saveexec_b32 s13, s0
; %bb.124:                              ;   in Loop: Header=BB146_40 Depth=1
	v_and_b32_e32 v2, 0xffff, v1
	v_or_b32_e32 v50, 0x10000, v1
	s_delay_alu instid0(VALU_DEP_2) | instskip(NEXT) | instid1(VALU_DEP_1)
	v_cmp_eq_u32_e64 s0, 0, v2
	v_cndmask_b32_e64 v50, v50, v1, s0
; %bb.125:                              ;   in Loop: Header=BB146_40 Depth=1
	s_or_b32 exec_lo, exec_lo, s13
	v_lshlrev_b32_e32 v1, 16, v3
                                        ; implicit-def: $vgpr51
	s_delay_alu instid0(VALU_DEP_1) | instskip(NEXT) | instid1(VALU_DEP_1)
	v_mul_f32_e32 v1, v43, v1
	v_and_b32_e32 v2, 0x7f800000, v1
	s_delay_alu instid0(VALU_DEP_1) | instskip(NEXT) | instid1(VALU_DEP_1)
	v_cmp_ne_u32_e64 s0, 0x7f800000, v2
	s_and_saveexec_b32 s13, s0
	s_delay_alu instid0(SALU_CYCLE_1)
	s_xor_b32 s0, exec_lo, s13
; %bb.126:                              ;   in Loop: Header=BB146_40 Depth=1
	v_bfe_u32 v2, v1, 16, 1
	s_delay_alu instid0(VALU_DEP_1)
	v_add3_u32 v51, v1, v2, 0x7fff
                                        ; implicit-def: $vgpr1
; %bb.127:                              ;   in Loop: Header=BB146_40 Depth=1
	s_and_not1_saveexec_b32 s13, s0
; %bb.128:                              ;   in Loop: Header=BB146_40 Depth=1
	v_and_b32_e32 v2, 0xffff, v1
	v_or_b32_e32 v3, 0x10000, v1
	s_delay_alu instid0(VALU_DEP_2) | instskip(NEXT) | instid1(VALU_DEP_1)
	v_cmp_eq_u32_e64 s0, 0, v2
	v_cndmask_b32_e64 v51, v3, v1, s0
; %bb.129:                              ;   in Loop: Header=BB146_40 Depth=1
	s_or_b32 exec_lo, exec_lo, s13
	v_lshlrev_b32_e32 v1, 16, v52
                                        ; implicit-def: $vgpr52
	s_delay_alu instid0(VALU_DEP_1) | instskip(NEXT) | instid1(VALU_DEP_1)
	v_mul_f32_e32 v1, v44, v1
	v_and_b32_e32 v2, 0x7f800000, v1
	s_delay_alu instid0(VALU_DEP_1) | instskip(NEXT) | instid1(VALU_DEP_1)
	v_cmp_ne_u32_e64 s0, 0x7f800000, v2
	s_and_saveexec_b32 s13, s0
	s_delay_alu instid0(SALU_CYCLE_1)
	s_xor_b32 s0, exec_lo, s13
; %bb.130:                              ;   in Loop: Header=BB146_40 Depth=1
	v_bfe_u32 v2, v1, 16, 1
	s_delay_alu instid0(VALU_DEP_1)
	v_add3_u32 v52, v1, v2, 0x7fff
                                        ; implicit-def: $vgpr1
; %bb.131:                              ;   in Loop: Header=BB146_40 Depth=1
	s_and_not1_saveexec_b32 s13, s0
; %bb.132:                              ;   in Loop: Header=BB146_40 Depth=1
	v_and_b32_e32 v2, 0xffff, v1
	v_or_b32_e32 v3, 0x10000, v1
	s_delay_alu instid0(VALU_DEP_2) | instskip(NEXT) | instid1(VALU_DEP_1)
	v_cmp_eq_u32_e64 s0, 0, v2
	v_cndmask_b32_e64 v52, v3, v1, s0
; %bb.133:                              ;   in Loop: Header=BB146_40 Depth=1
	s_or_b32 exec_lo, exec_lo, s13
	v_lshlrev_b32_e32 v1, 16, v4
                                        ; implicit-def: $vgpr53
	s_delay_alu instid0(VALU_DEP_1) | instskip(NEXT) | instid1(VALU_DEP_1)
	v_mul_f32_e32 v1, v45, v1
	v_and_b32_e32 v2, 0x7f800000, v1
	s_delay_alu instid0(VALU_DEP_1) | instskip(NEXT) | instid1(VALU_DEP_1)
	v_cmp_ne_u32_e64 s0, 0x7f800000, v2
	s_and_saveexec_b32 s13, s0
	s_delay_alu instid0(SALU_CYCLE_1)
	s_xor_b32 s0, exec_lo, s13
; %bb.134:                              ;   in Loop: Header=BB146_40 Depth=1
	v_bfe_u32 v2, v1, 16, 1
	s_delay_alu instid0(VALU_DEP_1)
	v_add3_u32 v53, v1, v2, 0x7fff
                                        ; implicit-def: $vgpr1
; %bb.135:                              ;   in Loop: Header=BB146_40 Depth=1
	s_and_not1_saveexec_b32 s13, s0
; %bb.136:                              ;   in Loop: Header=BB146_40 Depth=1
	v_and_b32_e32 v2, 0xffff, v1
	v_or_b32_e32 v3, 0x10000, v1
	s_delay_alu instid0(VALU_DEP_2) | instskip(NEXT) | instid1(VALU_DEP_1)
	v_cmp_eq_u32_e64 s0, 0, v2
	v_cndmask_b32_e64 v53, v3, v1, s0
; %bb.137:                              ;   in Loop: Header=BB146_40 Depth=1
	s_or_b32 exec_lo, exec_lo, s13
	v_lshlrev_b32_e32 v1, 16, v54
                                        ; implicit-def: $vgpr54
	s_delay_alu instid0(VALU_DEP_1) | instskip(NEXT) | instid1(VALU_DEP_1)
	v_mul_f32_e32 v1, v46, v1
	v_and_b32_e32 v2, 0x7f800000, v1
	s_delay_alu instid0(VALU_DEP_1) | instskip(NEXT) | instid1(VALU_DEP_1)
	v_cmp_ne_u32_e64 s0, 0x7f800000, v2
	s_and_saveexec_b32 s13, s0
	s_delay_alu instid0(SALU_CYCLE_1)
	s_xor_b32 s0, exec_lo, s13
; %bb.138:                              ;   in Loop: Header=BB146_40 Depth=1
	v_bfe_u32 v2, v1, 16, 1
	s_delay_alu instid0(VALU_DEP_1)
	v_add3_u32 v54, v1, v2, 0x7fff
                                        ; implicit-def: $vgpr1
; %bb.139:                              ;   in Loop: Header=BB146_40 Depth=1
	s_and_not1_saveexec_b32 s13, s0
; %bb.140:                              ;   in Loop: Header=BB146_40 Depth=1
	v_and_b32_e32 v2, 0xffff, v1
	v_or_b32_e32 v3, 0x10000, v1
	s_delay_alu instid0(VALU_DEP_2) | instskip(NEXT) | instid1(VALU_DEP_1)
	v_cmp_eq_u32_e64 s0, 0, v2
	v_cndmask_b32_e64 v54, v3, v1, s0
; %bb.141:                              ;   in Loop: Header=BB146_40 Depth=1
	s_or_b32 exec_lo, exec_lo, s13
	global_load_b128 v[1:4], v[6:7], off offset:1024
	s_waitcnt vmcnt(0)
	v_lshrrev_b32_e32 v56, 16, v1
	v_lshrrev_b32_e32 v58, 16, v2
	;; [unrolled: 1-line block ×4, first 2 shown]
	s_and_saveexec_b32 s13, vcc_lo
	s_cbranch_execz .LBB146_143
; %bb.142:                              ;   in Loop: Header=BB146_40 Depth=1
	v_cmp_gt_i32_e64 s0, s15, v15
	s_delay_alu instid0(VALU_DEP_1) | instskip(SKIP_1) | instid1(VALU_DEP_1)
	v_cndmask_b32_e64 v1, 0, v1, s0
	v_cmp_gt_i32_e64 s0, s15, v38
	v_cndmask_b32_e64 v56, 0, v56, s0
	v_cmp_gt_i32_e64 s0, s15, v37
	s_delay_alu instid0(VALU_DEP_1) | instskip(SKIP_1) | instid1(VALU_DEP_1)
	v_cndmask_b32_e64 v2, 0, v2, s0
	v_cmp_gt_i32_e64 s0, s15, v35
	v_cndmask_b32_e64 v58, 0, v58, s0
	;; [unrolled: 5-line block ×4, first 2 shown]
.LBB146_143:                            ;   in Loop: Header=BB146_40 Depth=1
	s_or_b32 exec_lo, exec_lo, s13
	v_lshlrev_b32_e32 v1, 16, v1
	s_delay_alu instid0(VALU_DEP_1) | instskip(NEXT) | instid1(VALU_DEP_1)
	v_mul_f32_e32 v1, v39, v1
	v_and_b32_e32 v55, 0x7f800000, v1
	s_delay_alu instid0(VALU_DEP_1) | instskip(NEXT) | instid1(VALU_DEP_1)
	v_cmp_ne_u32_e64 s0, 0x7f800000, v55
                                        ; implicit-def: $vgpr55
	s_and_saveexec_b32 s13, s0
	s_delay_alu instid0(SALU_CYCLE_1)
	s_xor_b32 s0, exec_lo, s13
; %bb.144:                              ;   in Loop: Header=BB146_40 Depth=1
	v_bfe_u32 v55, v1, 16, 1
	s_delay_alu instid0(VALU_DEP_1)
	v_add3_u32 v55, v1, v55, 0x7fff
                                        ; implicit-def: $vgpr1
; %bb.145:                              ;   in Loop: Header=BB146_40 Depth=1
	s_and_not1_saveexec_b32 s13, s0
; %bb.146:                              ;   in Loop: Header=BB146_40 Depth=1
	v_and_b32_e32 v55, 0xffff, v1
	v_or_b32_e32 v57, 0x10000, v1
	s_delay_alu instid0(VALU_DEP_2) | instskip(NEXT) | instid1(VALU_DEP_1)
	v_cmp_eq_u32_e64 s0, 0, v55
	v_cndmask_b32_e64 v55, v57, v1, s0
; %bb.147:                              ;   in Loop: Header=BB146_40 Depth=1
	s_or_b32 exec_lo, exec_lo, s13
	v_lshlrev_b32_e32 v1, 16, v56
	s_delay_alu instid0(VALU_DEP_1) | instskip(NEXT) | instid1(VALU_DEP_1)
	v_mul_f32_e32 v1, v40, v1
	v_and_b32_e32 v56, 0x7f800000, v1
	s_delay_alu instid0(VALU_DEP_1) | instskip(NEXT) | instid1(VALU_DEP_1)
	v_cmp_ne_u32_e64 s0, 0x7f800000, v56
                                        ; implicit-def: $vgpr56
	s_and_saveexec_b32 s13, s0
	s_delay_alu instid0(SALU_CYCLE_1)
	s_xor_b32 s0, exec_lo, s13
; %bb.148:                              ;   in Loop: Header=BB146_40 Depth=1
	v_bfe_u32 v56, v1, 16, 1
	s_delay_alu instid0(VALU_DEP_1)
	v_add3_u32 v56, v1, v56, 0x7fff
                                        ; implicit-def: $vgpr1
; %bb.149:                              ;   in Loop: Header=BB146_40 Depth=1
	s_and_not1_saveexec_b32 s13, s0
; %bb.150:                              ;   in Loop: Header=BB146_40 Depth=1
	v_and_b32_e32 v56, 0xffff, v1
	v_or_b32_e32 v57, 0x10000, v1
	s_delay_alu instid0(VALU_DEP_2) | instskip(NEXT) | instid1(VALU_DEP_1)
	v_cmp_eq_u32_e64 s0, 0, v56
	v_cndmask_b32_e64 v56, v57, v1, s0
; %bb.151:                              ;   in Loop: Header=BB146_40 Depth=1
	s_or_b32 exec_lo, exec_lo, s13
	v_lshlrev_b32_e32 v1, 16, v2
                                        ; implicit-def: $vgpr57
	s_delay_alu instid0(VALU_DEP_1) | instskip(NEXT) | instid1(VALU_DEP_1)
	v_mul_f32_e32 v1, v41, v1
	v_and_b32_e32 v2, 0x7f800000, v1
	s_delay_alu instid0(VALU_DEP_1) | instskip(NEXT) | instid1(VALU_DEP_1)
	v_cmp_ne_u32_e64 s0, 0x7f800000, v2
	s_and_saveexec_b32 s13, s0
	s_delay_alu instid0(SALU_CYCLE_1)
	s_xor_b32 s0, exec_lo, s13
; %bb.152:                              ;   in Loop: Header=BB146_40 Depth=1
	v_bfe_u32 v2, v1, 16, 1
	s_delay_alu instid0(VALU_DEP_1)
	v_add3_u32 v57, v1, v2, 0x7fff
                                        ; implicit-def: $vgpr1
; %bb.153:                              ;   in Loop: Header=BB146_40 Depth=1
	s_and_not1_saveexec_b32 s13, s0
; %bb.154:                              ;   in Loop: Header=BB146_40 Depth=1
	v_and_b32_e32 v2, 0xffff, v1
	v_or_b32_e32 v57, 0x10000, v1
	s_delay_alu instid0(VALU_DEP_2) | instskip(NEXT) | instid1(VALU_DEP_1)
	v_cmp_eq_u32_e64 s0, 0, v2
	v_cndmask_b32_e64 v57, v57, v1, s0
; %bb.155:                              ;   in Loop: Header=BB146_40 Depth=1
	s_or_b32 exec_lo, exec_lo, s13
	v_lshlrev_b32_e32 v1, 16, v58
                                        ; implicit-def: $vgpr58
	s_delay_alu instid0(VALU_DEP_1) | instskip(NEXT) | instid1(VALU_DEP_1)
	v_mul_f32_e32 v1, v42, v1
	v_and_b32_e32 v2, 0x7f800000, v1
	s_delay_alu instid0(VALU_DEP_1) | instskip(NEXT) | instid1(VALU_DEP_1)
	v_cmp_ne_u32_e64 s0, 0x7f800000, v2
	s_and_saveexec_b32 s13, s0
	s_delay_alu instid0(SALU_CYCLE_1)
	s_xor_b32 s0, exec_lo, s13
; %bb.156:                              ;   in Loop: Header=BB146_40 Depth=1
	v_bfe_u32 v2, v1, 16, 1
	s_delay_alu instid0(VALU_DEP_1)
	v_add3_u32 v58, v1, v2, 0x7fff
                                        ; implicit-def: $vgpr1
; %bb.157:                              ;   in Loop: Header=BB146_40 Depth=1
	s_and_not1_saveexec_b32 s13, s0
; %bb.158:                              ;   in Loop: Header=BB146_40 Depth=1
	v_and_b32_e32 v2, 0xffff, v1
	v_or_b32_e32 v58, 0x10000, v1
	s_delay_alu instid0(VALU_DEP_2) | instskip(NEXT) | instid1(VALU_DEP_1)
	v_cmp_eq_u32_e64 s0, 0, v2
	v_cndmask_b32_e64 v58, v58, v1, s0
; %bb.159:                              ;   in Loop: Header=BB146_40 Depth=1
	s_or_b32 exec_lo, exec_lo, s13
	v_lshlrev_b32_e32 v1, 16, v3
                                        ; implicit-def: $vgpr59
	s_delay_alu instid0(VALU_DEP_1) | instskip(NEXT) | instid1(VALU_DEP_1)
	v_mul_f32_e32 v1, v43, v1
	v_and_b32_e32 v2, 0x7f800000, v1
	s_delay_alu instid0(VALU_DEP_1) | instskip(NEXT) | instid1(VALU_DEP_1)
	v_cmp_ne_u32_e64 s0, 0x7f800000, v2
	s_and_saveexec_b32 s13, s0
	s_delay_alu instid0(SALU_CYCLE_1)
	s_xor_b32 s0, exec_lo, s13
; %bb.160:                              ;   in Loop: Header=BB146_40 Depth=1
	v_bfe_u32 v2, v1, 16, 1
	s_delay_alu instid0(VALU_DEP_1)
	v_add3_u32 v59, v1, v2, 0x7fff
                                        ; implicit-def: $vgpr1
; %bb.161:                              ;   in Loop: Header=BB146_40 Depth=1
	s_and_not1_saveexec_b32 s13, s0
; %bb.162:                              ;   in Loop: Header=BB146_40 Depth=1
	v_and_b32_e32 v2, 0xffff, v1
	v_or_b32_e32 v3, 0x10000, v1
	s_delay_alu instid0(VALU_DEP_2) | instskip(NEXT) | instid1(VALU_DEP_1)
	v_cmp_eq_u32_e64 s0, 0, v2
	v_cndmask_b32_e64 v59, v3, v1, s0
; %bb.163:                              ;   in Loop: Header=BB146_40 Depth=1
	s_or_b32 exec_lo, exec_lo, s13
	v_lshlrev_b32_e32 v1, 16, v60
                                        ; implicit-def: $vgpr60
	s_delay_alu instid0(VALU_DEP_1) | instskip(NEXT) | instid1(VALU_DEP_1)
	v_mul_f32_e32 v1, v44, v1
	v_and_b32_e32 v2, 0x7f800000, v1
	s_delay_alu instid0(VALU_DEP_1) | instskip(NEXT) | instid1(VALU_DEP_1)
	v_cmp_ne_u32_e64 s0, 0x7f800000, v2
	s_and_saveexec_b32 s13, s0
	s_delay_alu instid0(SALU_CYCLE_1)
	s_xor_b32 s0, exec_lo, s13
; %bb.164:                              ;   in Loop: Header=BB146_40 Depth=1
	v_bfe_u32 v2, v1, 16, 1
	s_delay_alu instid0(VALU_DEP_1)
	v_add3_u32 v60, v1, v2, 0x7fff
                                        ; implicit-def: $vgpr1
; %bb.165:                              ;   in Loop: Header=BB146_40 Depth=1
	s_and_not1_saveexec_b32 s13, s0
; %bb.166:                              ;   in Loop: Header=BB146_40 Depth=1
	v_and_b32_e32 v2, 0xffff, v1
	v_or_b32_e32 v3, 0x10000, v1
	s_delay_alu instid0(VALU_DEP_2) | instskip(NEXT) | instid1(VALU_DEP_1)
	v_cmp_eq_u32_e64 s0, 0, v2
	v_cndmask_b32_e64 v60, v3, v1, s0
; %bb.167:                              ;   in Loop: Header=BB146_40 Depth=1
	s_or_b32 exec_lo, exec_lo, s13
	v_lshlrev_b32_e32 v1, 16, v4
                                        ; implicit-def: $vgpr61
	s_delay_alu instid0(VALU_DEP_1) | instskip(NEXT) | instid1(VALU_DEP_1)
	v_mul_f32_e32 v1, v45, v1
	v_and_b32_e32 v2, 0x7f800000, v1
	s_delay_alu instid0(VALU_DEP_1) | instskip(NEXT) | instid1(VALU_DEP_1)
	v_cmp_ne_u32_e64 s0, 0x7f800000, v2
	s_and_saveexec_b32 s13, s0
	s_delay_alu instid0(SALU_CYCLE_1)
	s_xor_b32 s0, exec_lo, s13
; %bb.168:                              ;   in Loop: Header=BB146_40 Depth=1
	v_bfe_u32 v2, v1, 16, 1
	s_delay_alu instid0(VALU_DEP_1)
	v_add3_u32 v61, v1, v2, 0x7fff
                                        ; implicit-def: $vgpr1
; %bb.169:                              ;   in Loop: Header=BB146_40 Depth=1
	s_and_not1_saveexec_b32 s13, s0
; %bb.170:                              ;   in Loop: Header=BB146_40 Depth=1
	v_and_b32_e32 v2, 0xffff, v1
	v_or_b32_e32 v3, 0x10000, v1
	s_delay_alu instid0(VALU_DEP_2) | instskip(NEXT) | instid1(VALU_DEP_1)
	v_cmp_eq_u32_e64 s0, 0, v2
	v_cndmask_b32_e64 v61, v3, v1, s0
; %bb.171:                              ;   in Loop: Header=BB146_40 Depth=1
	s_or_b32 exec_lo, exec_lo, s13
	v_lshlrev_b32_e32 v1, 16, v62
                                        ; implicit-def: $vgpr62
	s_delay_alu instid0(VALU_DEP_1) | instskip(NEXT) | instid1(VALU_DEP_1)
	v_mul_f32_e32 v1, v46, v1
	v_and_b32_e32 v2, 0x7f800000, v1
	s_delay_alu instid0(VALU_DEP_1) | instskip(NEXT) | instid1(VALU_DEP_1)
	v_cmp_ne_u32_e64 s0, 0x7f800000, v2
	s_and_saveexec_b32 s13, s0
	s_delay_alu instid0(SALU_CYCLE_1)
	s_xor_b32 s0, exec_lo, s13
; %bb.172:                              ;   in Loop: Header=BB146_40 Depth=1
	v_bfe_u32 v2, v1, 16, 1
	s_delay_alu instid0(VALU_DEP_1)
	v_add3_u32 v62, v1, v2, 0x7fff
                                        ; implicit-def: $vgpr1
; %bb.173:                              ;   in Loop: Header=BB146_40 Depth=1
	s_and_not1_saveexec_b32 s13, s0
; %bb.174:                              ;   in Loop: Header=BB146_40 Depth=1
	v_and_b32_e32 v2, 0xffff, v1
	v_or_b32_e32 v3, 0x10000, v1
	s_delay_alu instid0(VALU_DEP_2) | instskip(NEXT) | instid1(VALU_DEP_1)
	v_cmp_eq_u32_e64 s0, 0, v2
	v_cndmask_b32_e64 v62, v3, v1, s0
; %bb.175:                              ;   in Loop: Header=BB146_40 Depth=1
	s_or_b32 exec_lo, exec_lo, s13
	global_load_b128 v[1:4], v[6:7], off offset:1536
	s_waitcnt vmcnt(0)
	v_lshrrev_b32_e32 v64, 16, v1
	v_lshrrev_b32_e32 v66, 16, v2
	;; [unrolled: 1-line block ×4, first 2 shown]
	s_and_saveexec_b32 s13, vcc_lo
	s_cbranch_execz .LBB146_177
; %bb.176:                              ;   in Loop: Header=BB146_40 Depth=1
	v_cmp_gt_i32_e64 s0, s15, v15
	s_delay_alu instid0(VALU_DEP_1) | instskip(SKIP_1) | instid1(VALU_DEP_1)
	v_cndmask_b32_e64 v1, 0, v1, s0
	v_cmp_gt_i32_e64 s0, s15, v38
	v_cndmask_b32_e64 v64, 0, v64, s0
	v_cmp_gt_i32_e64 s0, s15, v37
	s_delay_alu instid0(VALU_DEP_1) | instskip(SKIP_1) | instid1(VALU_DEP_1)
	v_cndmask_b32_e64 v2, 0, v2, s0
	v_cmp_gt_i32_e64 s0, s15, v35
	v_cndmask_b32_e64 v66, 0, v66, s0
	;; [unrolled: 5-line block ×4, first 2 shown]
.LBB146_177:                            ;   in Loop: Header=BB146_40 Depth=1
	s_or_b32 exec_lo, exec_lo, s13
	v_lshlrev_b32_e32 v1, 16, v1
	s_delay_alu instid0(VALU_DEP_1) | instskip(NEXT) | instid1(VALU_DEP_1)
	v_mul_f32_e32 v1, v39, v1
	v_and_b32_e32 v63, 0x7f800000, v1
	s_delay_alu instid0(VALU_DEP_1) | instskip(NEXT) | instid1(VALU_DEP_1)
	v_cmp_ne_u32_e64 s0, 0x7f800000, v63
                                        ; implicit-def: $vgpr63
	s_and_saveexec_b32 s13, s0
	s_delay_alu instid0(SALU_CYCLE_1)
	s_xor_b32 s0, exec_lo, s13
; %bb.178:                              ;   in Loop: Header=BB146_40 Depth=1
	v_bfe_u32 v63, v1, 16, 1
	s_delay_alu instid0(VALU_DEP_1)
	v_add3_u32 v63, v1, v63, 0x7fff
                                        ; implicit-def: $vgpr1
; %bb.179:                              ;   in Loop: Header=BB146_40 Depth=1
	s_and_not1_saveexec_b32 s13, s0
; %bb.180:                              ;   in Loop: Header=BB146_40 Depth=1
	v_and_b32_e32 v63, 0xffff, v1
	v_or_b32_e32 v65, 0x10000, v1
	s_delay_alu instid0(VALU_DEP_2) | instskip(NEXT) | instid1(VALU_DEP_1)
	v_cmp_eq_u32_e64 s0, 0, v63
	v_cndmask_b32_e64 v63, v65, v1, s0
; %bb.181:                              ;   in Loop: Header=BB146_40 Depth=1
	s_or_b32 exec_lo, exec_lo, s13
	v_lshlrev_b32_e32 v1, 16, v64
	s_delay_alu instid0(VALU_DEP_1) | instskip(NEXT) | instid1(VALU_DEP_1)
	v_mul_f32_e32 v1, v40, v1
	v_and_b32_e32 v64, 0x7f800000, v1
	s_delay_alu instid0(VALU_DEP_1) | instskip(NEXT) | instid1(VALU_DEP_1)
	v_cmp_ne_u32_e64 s0, 0x7f800000, v64
                                        ; implicit-def: $vgpr64
	s_and_saveexec_b32 s13, s0
	s_delay_alu instid0(SALU_CYCLE_1)
	s_xor_b32 s0, exec_lo, s13
; %bb.182:                              ;   in Loop: Header=BB146_40 Depth=1
	v_bfe_u32 v64, v1, 16, 1
	s_delay_alu instid0(VALU_DEP_1)
	v_add3_u32 v64, v1, v64, 0x7fff
                                        ; implicit-def: $vgpr1
; %bb.183:                              ;   in Loop: Header=BB146_40 Depth=1
	s_and_not1_saveexec_b32 s13, s0
; %bb.184:                              ;   in Loop: Header=BB146_40 Depth=1
	v_and_b32_e32 v64, 0xffff, v1
	v_or_b32_e32 v65, 0x10000, v1
	s_delay_alu instid0(VALU_DEP_2) | instskip(NEXT) | instid1(VALU_DEP_1)
	v_cmp_eq_u32_e64 s0, 0, v64
	v_cndmask_b32_e64 v64, v65, v1, s0
; %bb.185:                              ;   in Loop: Header=BB146_40 Depth=1
	s_or_b32 exec_lo, exec_lo, s13
	v_lshlrev_b32_e32 v1, 16, v2
                                        ; implicit-def: $vgpr65
	s_delay_alu instid0(VALU_DEP_1) | instskip(NEXT) | instid1(VALU_DEP_1)
	v_mul_f32_e32 v1, v41, v1
	v_and_b32_e32 v2, 0x7f800000, v1
	s_delay_alu instid0(VALU_DEP_1) | instskip(NEXT) | instid1(VALU_DEP_1)
	v_cmp_ne_u32_e64 s0, 0x7f800000, v2
	s_and_saveexec_b32 s13, s0
	s_delay_alu instid0(SALU_CYCLE_1)
	s_xor_b32 s0, exec_lo, s13
; %bb.186:                              ;   in Loop: Header=BB146_40 Depth=1
	v_bfe_u32 v2, v1, 16, 1
	s_delay_alu instid0(VALU_DEP_1)
	v_add3_u32 v65, v1, v2, 0x7fff
                                        ; implicit-def: $vgpr1
; %bb.187:                              ;   in Loop: Header=BB146_40 Depth=1
	s_and_not1_saveexec_b32 s13, s0
; %bb.188:                              ;   in Loop: Header=BB146_40 Depth=1
	v_and_b32_e32 v2, 0xffff, v1
	v_or_b32_e32 v65, 0x10000, v1
	s_delay_alu instid0(VALU_DEP_2) | instskip(NEXT) | instid1(VALU_DEP_1)
	v_cmp_eq_u32_e64 s0, 0, v2
	v_cndmask_b32_e64 v65, v65, v1, s0
; %bb.189:                              ;   in Loop: Header=BB146_40 Depth=1
	s_or_b32 exec_lo, exec_lo, s13
	v_lshlrev_b32_e32 v1, 16, v66
                                        ; implicit-def: $vgpr66
	s_delay_alu instid0(VALU_DEP_1) | instskip(NEXT) | instid1(VALU_DEP_1)
	v_mul_f32_e32 v1, v42, v1
	v_and_b32_e32 v2, 0x7f800000, v1
	s_delay_alu instid0(VALU_DEP_1) | instskip(NEXT) | instid1(VALU_DEP_1)
	v_cmp_ne_u32_e64 s0, 0x7f800000, v2
	s_and_saveexec_b32 s13, s0
	s_delay_alu instid0(SALU_CYCLE_1)
	s_xor_b32 s0, exec_lo, s13
; %bb.190:                              ;   in Loop: Header=BB146_40 Depth=1
	v_bfe_u32 v2, v1, 16, 1
	s_delay_alu instid0(VALU_DEP_1)
	v_add3_u32 v66, v1, v2, 0x7fff
                                        ; implicit-def: $vgpr1
; %bb.191:                              ;   in Loop: Header=BB146_40 Depth=1
	s_and_not1_saveexec_b32 s13, s0
; %bb.192:                              ;   in Loop: Header=BB146_40 Depth=1
	v_and_b32_e32 v2, 0xffff, v1
	v_or_b32_e32 v66, 0x10000, v1
	s_delay_alu instid0(VALU_DEP_2) | instskip(NEXT) | instid1(VALU_DEP_1)
	v_cmp_eq_u32_e64 s0, 0, v2
	v_cndmask_b32_e64 v66, v66, v1, s0
; %bb.193:                              ;   in Loop: Header=BB146_40 Depth=1
	s_or_b32 exec_lo, exec_lo, s13
	v_lshlrev_b32_e32 v1, 16, v3
                                        ; implicit-def: $vgpr67
	s_delay_alu instid0(VALU_DEP_1) | instskip(NEXT) | instid1(VALU_DEP_1)
	v_mul_f32_e32 v1, v43, v1
	v_and_b32_e32 v2, 0x7f800000, v1
	s_delay_alu instid0(VALU_DEP_1) | instskip(NEXT) | instid1(VALU_DEP_1)
	v_cmp_ne_u32_e64 s0, 0x7f800000, v2
	s_and_saveexec_b32 s13, s0
	s_delay_alu instid0(SALU_CYCLE_1)
	s_xor_b32 s0, exec_lo, s13
; %bb.194:                              ;   in Loop: Header=BB146_40 Depth=1
	v_bfe_u32 v2, v1, 16, 1
	s_delay_alu instid0(VALU_DEP_1)
	v_add3_u32 v67, v1, v2, 0x7fff
                                        ; implicit-def: $vgpr1
; %bb.195:                              ;   in Loop: Header=BB146_40 Depth=1
	s_and_not1_saveexec_b32 s13, s0
; %bb.196:                              ;   in Loop: Header=BB146_40 Depth=1
	v_and_b32_e32 v2, 0xffff, v1
	v_or_b32_e32 v3, 0x10000, v1
	s_delay_alu instid0(VALU_DEP_2) | instskip(NEXT) | instid1(VALU_DEP_1)
	v_cmp_eq_u32_e64 s0, 0, v2
	v_cndmask_b32_e64 v67, v3, v1, s0
; %bb.197:                              ;   in Loop: Header=BB146_40 Depth=1
	s_or_b32 exec_lo, exec_lo, s13
	v_lshlrev_b32_e32 v1, 16, v68
                                        ; implicit-def: $vgpr68
	s_delay_alu instid0(VALU_DEP_1) | instskip(NEXT) | instid1(VALU_DEP_1)
	v_mul_f32_e32 v1, v44, v1
	v_and_b32_e32 v2, 0x7f800000, v1
	s_delay_alu instid0(VALU_DEP_1) | instskip(NEXT) | instid1(VALU_DEP_1)
	v_cmp_ne_u32_e64 s0, 0x7f800000, v2
	s_and_saveexec_b32 s13, s0
	s_delay_alu instid0(SALU_CYCLE_1)
	s_xor_b32 s0, exec_lo, s13
; %bb.198:                              ;   in Loop: Header=BB146_40 Depth=1
	v_bfe_u32 v2, v1, 16, 1
	s_delay_alu instid0(VALU_DEP_1)
	v_add3_u32 v68, v1, v2, 0x7fff
                                        ; implicit-def: $vgpr1
; %bb.199:                              ;   in Loop: Header=BB146_40 Depth=1
	s_and_not1_saveexec_b32 s13, s0
; %bb.200:                              ;   in Loop: Header=BB146_40 Depth=1
	v_and_b32_e32 v2, 0xffff, v1
	v_or_b32_e32 v3, 0x10000, v1
	s_delay_alu instid0(VALU_DEP_2) | instskip(NEXT) | instid1(VALU_DEP_1)
	v_cmp_eq_u32_e64 s0, 0, v2
	v_cndmask_b32_e64 v68, v3, v1, s0
; %bb.201:                              ;   in Loop: Header=BB146_40 Depth=1
	s_or_b32 exec_lo, exec_lo, s13
	v_lshlrev_b32_e32 v1, 16, v4
                                        ; implicit-def: $vgpr69
	s_delay_alu instid0(VALU_DEP_1) | instskip(NEXT) | instid1(VALU_DEP_1)
	v_mul_f32_e32 v1, v45, v1
	v_and_b32_e32 v2, 0x7f800000, v1
	s_delay_alu instid0(VALU_DEP_1) | instskip(NEXT) | instid1(VALU_DEP_1)
	v_cmp_ne_u32_e64 s0, 0x7f800000, v2
	s_and_saveexec_b32 s13, s0
	s_delay_alu instid0(SALU_CYCLE_1)
	s_xor_b32 s0, exec_lo, s13
; %bb.202:                              ;   in Loop: Header=BB146_40 Depth=1
	v_bfe_u32 v2, v1, 16, 1
	s_delay_alu instid0(VALU_DEP_1)
	v_add3_u32 v69, v1, v2, 0x7fff
                                        ; implicit-def: $vgpr1
; %bb.203:                              ;   in Loop: Header=BB146_40 Depth=1
	s_and_not1_saveexec_b32 s13, s0
; %bb.204:                              ;   in Loop: Header=BB146_40 Depth=1
	v_and_b32_e32 v2, 0xffff, v1
	v_or_b32_e32 v3, 0x10000, v1
	s_delay_alu instid0(VALU_DEP_2) | instskip(NEXT) | instid1(VALU_DEP_1)
	v_cmp_eq_u32_e64 s0, 0, v2
	v_cndmask_b32_e64 v69, v3, v1, s0
; %bb.205:                              ;   in Loop: Header=BB146_40 Depth=1
	s_or_b32 exec_lo, exec_lo, s13
	v_lshlrev_b32_e32 v1, 16, v70
                                        ; implicit-def: $vgpr70
	s_delay_alu instid0(VALU_DEP_1) | instskip(NEXT) | instid1(VALU_DEP_1)
	v_mul_f32_e32 v1, v46, v1
	v_and_b32_e32 v2, 0x7f800000, v1
	s_delay_alu instid0(VALU_DEP_1) | instskip(NEXT) | instid1(VALU_DEP_1)
	v_cmp_ne_u32_e64 s0, 0x7f800000, v2
	s_and_saveexec_b32 s13, s0
	s_delay_alu instid0(SALU_CYCLE_1)
	s_xor_b32 s0, exec_lo, s13
; %bb.206:                              ;   in Loop: Header=BB146_40 Depth=1
	v_bfe_u32 v2, v1, 16, 1
	s_delay_alu instid0(VALU_DEP_1)
	v_add3_u32 v70, v1, v2, 0x7fff
                                        ; implicit-def: $vgpr1
; %bb.207:                              ;   in Loop: Header=BB146_40 Depth=1
	s_and_not1_saveexec_b32 s13, s0
; %bb.208:                              ;   in Loop: Header=BB146_40 Depth=1
	v_and_b32_e32 v2, 0xffff, v1
	v_or_b32_e32 v3, 0x10000, v1
	s_delay_alu instid0(VALU_DEP_2) | instskip(NEXT) | instid1(VALU_DEP_1)
	v_cmp_eq_u32_e64 s0, 0, v2
	v_cndmask_b32_e64 v70, v3, v1, s0
; %bb.209:                              ;   in Loop: Header=BB146_40 Depth=1
	s_or_b32 exec_lo, exec_lo, s13
	global_load_b128 v[1:4], v[6:7], off offset:2048
	s_waitcnt vmcnt(0)
	v_lshrrev_b32_e32 v72, 16, v1
	v_lshrrev_b32_e32 v74, 16, v2
	;; [unrolled: 1-line block ×4, first 2 shown]
	s_and_saveexec_b32 s13, vcc_lo
	s_cbranch_execz .LBB146_211
; %bb.210:                              ;   in Loop: Header=BB146_40 Depth=1
	v_cmp_gt_i32_e64 s0, s15, v15
	s_delay_alu instid0(VALU_DEP_1) | instskip(SKIP_1) | instid1(VALU_DEP_1)
	v_cndmask_b32_e64 v1, 0, v1, s0
	v_cmp_gt_i32_e64 s0, s15, v38
	v_cndmask_b32_e64 v72, 0, v72, s0
	v_cmp_gt_i32_e64 s0, s15, v37
	s_delay_alu instid0(VALU_DEP_1) | instskip(SKIP_1) | instid1(VALU_DEP_1)
	v_cndmask_b32_e64 v2, 0, v2, s0
	v_cmp_gt_i32_e64 s0, s15, v35
	v_cndmask_b32_e64 v74, 0, v74, s0
	;; [unrolled: 5-line block ×4, first 2 shown]
.LBB146_211:                            ;   in Loop: Header=BB146_40 Depth=1
	s_or_b32 exec_lo, exec_lo, s13
	v_lshlrev_b32_e32 v1, 16, v1
	s_delay_alu instid0(VALU_DEP_1) | instskip(NEXT) | instid1(VALU_DEP_1)
	v_mul_f32_e32 v1, v39, v1
	v_and_b32_e32 v71, 0x7f800000, v1
	s_delay_alu instid0(VALU_DEP_1) | instskip(NEXT) | instid1(VALU_DEP_1)
	v_cmp_ne_u32_e64 s0, 0x7f800000, v71
                                        ; implicit-def: $vgpr71
	s_and_saveexec_b32 s13, s0
	s_delay_alu instid0(SALU_CYCLE_1)
	s_xor_b32 s0, exec_lo, s13
; %bb.212:                              ;   in Loop: Header=BB146_40 Depth=1
	v_bfe_u32 v71, v1, 16, 1
	s_delay_alu instid0(VALU_DEP_1)
	v_add3_u32 v71, v1, v71, 0x7fff
                                        ; implicit-def: $vgpr1
; %bb.213:                              ;   in Loop: Header=BB146_40 Depth=1
	s_and_not1_saveexec_b32 s13, s0
; %bb.214:                              ;   in Loop: Header=BB146_40 Depth=1
	v_and_b32_e32 v71, 0xffff, v1
	v_or_b32_e32 v73, 0x10000, v1
	s_delay_alu instid0(VALU_DEP_2) | instskip(NEXT) | instid1(VALU_DEP_1)
	v_cmp_eq_u32_e64 s0, 0, v71
	v_cndmask_b32_e64 v71, v73, v1, s0
; %bb.215:                              ;   in Loop: Header=BB146_40 Depth=1
	s_or_b32 exec_lo, exec_lo, s13
	v_lshlrev_b32_e32 v1, 16, v72
	s_delay_alu instid0(VALU_DEP_1) | instskip(NEXT) | instid1(VALU_DEP_1)
	v_mul_f32_e32 v1, v40, v1
	v_and_b32_e32 v72, 0x7f800000, v1
	s_delay_alu instid0(VALU_DEP_1) | instskip(NEXT) | instid1(VALU_DEP_1)
	v_cmp_ne_u32_e64 s0, 0x7f800000, v72
                                        ; implicit-def: $vgpr72
	s_and_saveexec_b32 s13, s0
	s_delay_alu instid0(SALU_CYCLE_1)
	s_xor_b32 s0, exec_lo, s13
; %bb.216:                              ;   in Loop: Header=BB146_40 Depth=1
	v_bfe_u32 v72, v1, 16, 1
	s_delay_alu instid0(VALU_DEP_1)
	v_add3_u32 v72, v1, v72, 0x7fff
                                        ; implicit-def: $vgpr1
; %bb.217:                              ;   in Loop: Header=BB146_40 Depth=1
	s_and_not1_saveexec_b32 s13, s0
; %bb.218:                              ;   in Loop: Header=BB146_40 Depth=1
	v_and_b32_e32 v72, 0xffff, v1
	v_or_b32_e32 v73, 0x10000, v1
	s_delay_alu instid0(VALU_DEP_2) | instskip(NEXT) | instid1(VALU_DEP_1)
	v_cmp_eq_u32_e64 s0, 0, v72
	v_cndmask_b32_e64 v72, v73, v1, s0
; %bb.219:                              ;   in Loop: Header=BB146_40 Depth=1
	s_or_b32 exec_lo, exec_lo, s13
	v_lshlrev_b32_e32 v1, 16, v2
                                        ; implicit-def: $vgpr73
	s_delay_alu instid0(VALU_DEP_1) | instskip(NEXT) | instid1(VALU_DEP_1)
	v_mul_f32_e32 v1, v41, v1
	v_and_b32_e32 v2, 0x7f800000, v1
	s_delay_alu instid0(VALU_DEP_1) | instskip(NEXT) | instid1(VALU_DEP_1)
	v_cmp_ne_u32_e64 s0, 0x7f800000, v2
	s_and_saveexec_b32 s13, s0
	s_delay_alu instid0(SALU_CYCLE_1)
	s_xor_b32 s0, exec_lo, s13
; %bb.220:                              ;   in Loop: Header=BB146_40 Depth=1
	v_bfe_u32 v2, v1, 16, 1
	s_delay_alu instid0(VALU_DEP_1)
	v_add3_u32 v73, v1, v2, 0x7fff
                                        ; implicit-def: $vgpr1
; %bb.221:                              ;   in Loop: Header=BB146_40 Depth=1
	s_and_not1_saveexec_b32 s13, s0
; %bb.222:                              ;   in Loop: Header=BB146_40 Depth=1
	v_and_b32_e32 v2, 0xffff, v1
	v_or_b32_e32 v73, 0x10000, v1
	s_delay_alu instid0(VALU_DEP_2) | instskip(NEXT) | instid1(VALU_DEP_1)
	v_cmp_eq_u32_e64 s0, 0, v2
	v_cndmask_b32_e64 v73, v73, v1, s0
; %bb.223:                              ;   in Loop: Header=BB146_40 Depth=1
	s_or_b32 exec_lo, exec_lo, s13
	v_lshlrev_b32_e32 v1, 16, v74
                                        ; implicit-def: $vgpr74
	s_delay_alu instid0(VALU_DEP_1) | instskip(NEXT) | instid1(VALU_DEP_1)
	v_mul_f32_e32 v1, v42, v1
	v_and_b32_e32 v2, 0x7f800000, v1
	s_delay_alu instid0(VALU_DEP_1) | instskip(NEXT) | instid1(VALU_DEP_1)
	v_cmp_ne_u32_e64 s0, 0x7f800000, v2
	s_and_saveexec_b32 s13, s0
	s_delay_alu instid0(SALU_CYCLE_1)
	s_xor_b32 s0, exec_lo, s13
; %bb.224:                              ;   in Loop: Header=BB146_40 Depth=1
	v_bfe_u32 v2, v1, 16, 1
	s_delay_alu instid0(VALU_DEP_1)
	v_add3_u32 v74, v1, v2, 0x7fff
                                        ; implicit-def: $vgpr1
; %bb.225:                              ;   in Loop: Header=BB146_40 Depth=1
	s_and_not1_saveexec_b32 s13, s0
; %bb.226:                              ;   in Loop: Header=BB146_40 Depth=1
	v_and_b32_e32 v2, 0xffff, v1
	v_or_b32_e32 v74, 0x10000, v1
	s_delay_alu instid0(VALU_DEP_2) | instskip(NEXT) | instid1(VALU_DEP_1)
	v_cmp_eq_u32_e64 s0, 0, v2
	v_cndmask_b32_e64 v74, v74, v1, s0
; %bb.227:                              ;   in Loop: Header=BB146_40 Depth=1
	s_or_b32 exec_lo, exec_lo, s13
	v_lshlrev_b32_e32 v1, 16, v3
                                        ; implicit-def: $vgpr75
	s_delay_alu instid0(VALU_DEP_1) | instskip(NEXT) | instid1(VALU_DEP_1)
	v_mul_f32_e32 v1, v43, v1
	v_and_b32_e32 v2, 0x7f800000, v1
	s_delay_alu instid0(VALU_DEP_1) | instskip(NEXT) | instid1(VALU_DEP_1)
	v_cmp_ne_u32_e64 s0, 0x7f800000, v2
	s_and_saveexec_b32 s13, s0
	s_delay_alu instid0(SALU_CYCLE_1)
	s_xor_b32 s0, exec_lo, s13
; %bb.228:                              ;   in Loop: Header=BB146_40 Depth=1
	v_bfe_u32 v2, v1, 16, 1
	s_delay_alu instid0(VALU_DEP_1)
	v_add3_u32 v75, v1, v2, 0x7fff
                                        ; implicit-def: $vgpr1
; %bb.229:                              ;   in Loop: Header=BB146_40 Depth=1
	s_and_not1_saveexec_b32 s13, s0
; %bb.230:                              ;   in Loop: Header=BB146_40 Depth=1
	v_and_b32_e32 v2, 0xffff, v1
	v_or_b32_e32 v3, 0x10000, v1
	s_delay_alu instid0(VALU_DEP_2) | instskip(NEXT) | instid1(VALU_DEP_1)
	v_cmp_eq_u32_e64 s0, 0, v2
	v_cndmask_b32_e64 v75, v3, v1, s0
; %bb.231:                              ;   in Loop: Header=BB146_40 Depth=1
	s_or_b32 exec_lo, exec_lo, s13
	v_lshlrev_b32_e32 v1, 16, v76
                                        ; implicit-def: $vgpr76
	s_delay_alu instid0(VALU_DEP_1) | instskip(NEXT) | instid1(VALU_DEP_1)
	v_mul_f32_e32 v1, v44, v1
	v_and_b32_e32 v2, 0x7f800000, v1
	s_delay_alu instid0(VALU_DEP_1) | instskip(NEXT) | instid1(VALU_DEP_1)
	v_cmp_ne_u32_e64 s0, 0x7f800000, v2
	s_and_saveexec_b32 s13, s0
	s_delay_alu instid0(SALU_CYCLE_1)
	s_xor_b32 s0, exec_lo, s13
; %bb.232:                              ;   in Loop: Header=BB146_40 Depth=1
	v_bfe_u32 v2, v1, 16, 1
	s_delay_alu instid0(VALU_DEP_1)
	v_add3_u32 v76, v1, v2, 0x7fff
                                        ; implicit-def: $vgpr1
; %bb.233:                              ;   in Loop: Header=BB146_40 Depth=1
	s_and_not1_saveexec_b32 s13, s0
; %bb.234:                              ;   in Loop: Header=BB146_40 Depth=1
	v_and_b32_e32 v2, 0xffff, v1
	v_or_b32_e32 v3, 0x10000, v1
	s_delay_alu instid0(VALU_DEP_2) | instskip(NEXT) | instid1(VALU_DEP_1)
	v_cmp_eq_u32_e64 s0, 0, v2
	v_cndmask_b32_e64 v76, v3, v1, s0
; %bb.235:                              ;   in Loop: Header=BB146_40 Depth=1
	s_or_b32 exec_lo, exec_lo, s13
	v_lshlrev_b32_e32 v1, 16, v4
                                        ; implicit-def: $vgpr77
	s_delay_alu instid0(VALU_DEP_1) | instskip(NEXT) | instid1(VALU_DEP_1)
	v_mul_f32_e32 v1, v45, v1
	v_and_b32_e32 v2, 0x7f800000, v1
	s_delay_alu instid0(VALU_DEP_1) | instskip(NEXT) | instid1(VALU_DEP_1)
	v_cmp_ne_u32_e64 s0, 0x7f800000, v2
	s_and_saveexec_b32 s13, s0
	s_delay_alu instid0(SALU_CYCLE_1)
	s_xor_b32 s0, exec_lo, s13
; %bb.236:                              ;   in Loop: Header=BB146_40 Depth=1
	v_bfe_u32 v2, v1, 16, 1
	s_delay_alu instid0(VALU_DEP_1)
	v_add3_u32 v77, v1, v2, 0x7fff
                                        ; implicit-def: $vgpr1
; %bb.237:                              ;   in Loop: Header=BB146_40 Depth=1
	s_and_not1_saveexec_b32 s13, s0
; %bb.238:                              ;   in Loop: Header=BB146_40 Depth=1
	v_and_b32_e32 v2, 0xffff, v1
	v_or_b32_e32 v3, 0x10000, v1
	s_delay_alu instid0(VALU_DEP_2) | instskip(NEXT) | instid1(VALU_DEP_1)
	v_cmp_eq_u32_e64 s0, 0, v2
	v_cndmask_b32_e64 v77, v3, v1, s0
; %bb.239:                              ;   in Loop: Header=BB146_40 Depth=1
	s_or_b32 exec_lo, exec_lo, s13
	v_lshlrev_b32_e32 v1, 16, v78
                                        ; implicit-def: $vgpr78
	s_delay_alu instid0(VALU_DEP_1) | instskip(NEXT) | instid1(VALU_DEP_1)
	v_mul_f32_e32 v1, v46, v1
	v_and_b32_e32 v2, 0x7f800000, v1
	s_delay_alu instid0(VALU_DEP_1) | instskip(NEXT) | instid1(VALU_DEP_1)
	v_cmp_ne_u32_e64 s0, 0x7f800000, v2
	s_and_saveexec_b32 s13, s0
	s_delay_alu instid0(SALU_CYCLE_1)
	s_xor_b32 s0, exec_lo, s13
; %bb.240:                              ;   in Loop: Header=BB146_40 Depth=1
	v_bfe_u32 v2, v1, 16, 1
	s_delay_alu instid0(VALU_DEP_1)
	v_add3_u32 v78, v1, v2, 0x7fff
                                        ; implicit-def: $vgpr1
; %bb.241:                              ;   in Loop: Header=BB146_40 Depth=1
	s_and_not1_saveexec_b32 s13, s0
; %bb.242:                              ;   in Loop: Header=BB146_40 Depth=1
	v_and_b32_e32 v2, 0xffff, v1
	v_or_b32_e32 v3, 0x10000, v1
	s_delay_alu instid0(VALU_DEP_2) | instskip(NEXT) | instid1(VALU_DEP_1)
	v_cmp_eq_u32_e64 s0, 0, v2
	v_cndmask_b32_e64 v78, v3, v1, s0
; %bb.243:                              ;   in Loop: Header=BB146_40 Depth=1
	s_or_b32 exec_lo, exec_lo, s13
	global_load_b128 v[1:4], v[6:7], off offset:2560
	s_waitcnt vmcnt(0)
	v_lshrrev_b32_e32 v6, 16, v1
	v_lshrrev_b32_e32 v80, 16, v2
	;; [unrolled: 1-line block ×4, first 2 shown]
	s_and_saveexec_b32 s0, vcc_lo
	s_cbranch_execz .LBB146_245
; %bb.244:                              ;   in Loop: Header=BB146_40 Depth=1
	v_cmp_gt_i32_e32 vcc_lo, s15, v15
	v_cndmask_b32_e32 v1, 0, v1, vcc_lo
	v_cmp_gt_i32_e32 vcc_lo, s15, v38
	v_cndmask_b32_e32 v6, 0, v6, vcc_lo
	;; [unrolled: 2-line block ×8, first 2 shown]
.LBB146_245:                            ;   in Loop: Header=BB146_40 Depth=1
	s_or_b32 exec_lo, exec_lo, s0
	v_lshlrev_b32_e32 v1, 16, v1
	s_delay_alu instid0(VALU_DEP_1) | instskip(NEXT) | instid1(VALU_DEP_1)
	v_mul_f32_e32 v32, v39, v1
	v_and_b32_e32 v1, 0x7f800000, v32
	s_delay_alu instid0(VALU_DEP_1) | instskip(SKIP_1) | instid1(SALU_CYCLE_1)
	v_cmp_ne_u32_e32 vcc_lo, 0x7f800000, v1
                                        ; implicit-def: $vgpr1
	s_and_saveexec_b32 s0, vcc_lo
	s_xor_b32 s0, exec_lo, s0
; %bb.246:                              ;   in Loop: Header=BB146_40 Depth=1
	v_bfe_u32 v1, v32, 16, 1
	s_delay_alu instid0(VALU_DEP_1)
	v_add3_u32 v1, v32, v1, 0x7fff
                                        ; implicit-def: $vgpr32
; %bb.247:                              ;   in Loop: Header=BB146_40 Depth=1
	s_and_not1_saveexec_b32 s0, s0
; %bb.248:                              ;   in Loop: Header=BB146_40 Depth=1
	v_and_b32_e32 v1, 0xffff, v32
	v_or_b32_e32 v33, 0x10000, v32
	s_delay_alu instid0(VALU_DEP_2) | instskip(NEXT) | instid1(VALU_DEP_2)
	v_cmp_eq_u32_e32 vcc_lo, 0, v1
	v_cndmask_b32_e32 v1, v33, v32, vcc_lo
; %bb.249:                              ;   in Loop: Header=BB146_40 Depth=1
	s_or_b32 exec_lo, exec_lo, s0
	v_lshlrev_b32_e32 v6, 16, v6
	s_delay_alu instid0(VALU_DEP_1) | instskip(NEXT) | instid1(VALU_DEP_1)
	v_mul_f32_e32 v32, v40, v6
	v_and_b32_e32 v6, 0x7f800000, v32
	s_delay_alu instid0(VALU_DEP_1) | instskip(SKIP_1) | instid1(SALU_CYCLE_1)
	v_cmp_ne_u32_e32 vcc_lo, 0x7f800000, v6
                                        ; implicit-def: $vgpr6
	s_and_saveexec_b32 s0, vcc_lo
	s_xor_b32 s0, exec_lo, s0
; %bb.250:                              ;   in Loop: Header=BB146_40 Depth=1
	v_bfe_u32 v6, v32, 16, 1
	s_delay_alu instid0(VALU_DEP_1)
	v_add3_u32 v6, v32, v6, 0x7fff
                                        ; implicit-def: $vgpr32
; %bb.251:                              ;   in Loop: Header=BB146_40 Depth=1
	s_and_not1_saveexec_b32 s0, s0
; %bb.252:                              ;   in Loop: Header=BB146_40 Depth=1
	v_and_b32_e32 v6, 0xffff, v32
	v_or_b32_e32 v33, 0x10000, v32
	s_delay_alu instid0(VALU_DEP_2) | instskip(NEXT) | instid1(VALU_DEP_2)
	v_cmp_eq_u32_e32 vcc_lo, 0, v6
	v_cndmask_b32_e32 v6, v33, v32, vcc_lo
; %bb.253:                              ;   in Loop: Header=BB146_40 Depth=1
	s_or_b32 exec_lo, exec_lo, s0
	v_lshlrev_b32_e32 v2, 16, v2
	s_delay_alu instid0(VALU_DEP_1) | instskip(NEXT) | instid1(VALU_DEP_1)
	v_mul_f32_e32 v32, v41, v2
	v_and_b32_e32 v2, 0x7f800000, v32
	s_delay_alu instid0(VALU_DEP_1) | instskip(SKIP_1) | instid1(SALU_CYCLE_1)
	v_cmp_ne_u32_e32 vcc_lo, 0x7f800000, v2
                                        ; implicit-def: $vgpr2
	s_and_saveexec_b32 s0, vcc_lo
	s_xor_b32 s0, exec_lo, s0
; %bb.254:                              ;   in Loop: Header=BB146_40 Depth=1
	v_bfe_u32 v2, v32, 16, 1
	s_delay_alu instid0(VALU_DEP_1)
	v_add3_u32 v2, v32, v2, 0x7fff
                                        ; implicit-def: $vgpr32
; %bb.255:                              ;   in Loop: Header=BB146_40 Depth=1
	s_and_not1_saveexec_b32 s0, s0
; %bb.256:                              ;   in Loop: Header=BB146_40 Depth=1
	v_and_b32_e32 v2, 0xffff, v32
	v_or_b32_e32 v33, 0x10000, v32
	s_delay_alu instid0(VALU_DEP_2) | instskip(NEXT) | instid1(VALU_DEP_2)
	v_cmp_eq_u32_e32 vcc_lo, 0, v2
	v_cndmask_b32_e32 v2, v33, v32, vcc_lo
; %bb.257:                              ;   in Loop: Header=BB146_40 Depth=1
	s_or_b32 exec_lo, exec_lo, s0
	v_lshlrev_b32_e32 v32, 16, v80
	s_delay_alu instid0(VALU_DEP_1) | instskip(NEXT) | instid1(VALU_DEP_1)
	v_mul_f32_e32 v33, v42, v32
	v_and_b32_e32 v32, 0x7f800000, v33
	s_delay_alu instid0(VALU_DEP_1) | instskip(SKIP_1) | instid1(SALU_CYCLE_1)
	v_cmp_ne_u32_e32 vcc_lo, 0x7f800000, v32
                                        ; implicit-def: $vgpr32
	s_and_saveexec_b32 s0, vcc_lo
	s_xor_b32 s0, exec_lo, s0
; %bb.258:                              ;   in Loop: Header=BB146_40 Depth=1
	v_bfe_u32 v32, v33, 16, 1
	s_delay_alu instid0(VALU_DEP_1)
	v_add3_u32 v32, v33, v32, 0x7fff
                                        ; implicit-def: $vgpr33
; %bb.259:                              ;   in Loop: Header=BB146_40 Depth=1
	s_and_not1_saveexec_b32 s0, s0
; %bb.260:                              ;   in Loop: Header=BB146_40 Depth=1
	v_and_b32_e32 v32, 0xffff, v33
	v_or_b32_e32 v34, 0x10000, v33
	s_delay_alu instid0(VALU_DEP_2) | instskip(NEXT) | instid1(VALU_DEP_2)
	v_cmp_eq_u32_e32 vcc_lo, 0, v32
	v_cndmask_b32_e32 v32, v34, v33, vcc_lo
; %bb.261:                              ;   in Loop: Header=BB146_40 Depth=1
	s_or_b32 exec_lo, exec_lo, s0
	v_lshlrev_b32_e32 v3, 16, v3
	s_delay_alu instid0(VALU_DEP_1) | instskip(NEXT) | instid1(VALU_DEP_1)
	v_mul_f32_e32 v33, v43, v3
	v_and_b32_e32 v3, 0x7f800000, v33
	s_delay_alu instid0(VALU_DEP_1) | instskip(SKIP_1) | instid1(SALU_CYCLE_1)
	v_cmp_ne_u32_e32 vcc_lo, 0x7f800000, v3
                                        ; implicit-def: $vgpr3
	s_and_saveexec_b32 s0, vcc_lo
	s_xor_b32 s0, exec_lo, s0
; %bb.262:                              ;   in Loop: Header=BB146_40 Depth=1
	v_bfe_u32 v3, v33, 16, 1
	s_delay_alu instid0(VALU_DEP_1)
	v_add3_u32 v3, v33, v3, 0x7fff
                                        ; implicit-def: $vgpr33
; %bb.263:                              ;   in Loop: Header=BB146_40 Depth=1
	s_and_not1_saveexec_b32 s0, s0
; %bb.264:                              ;   in Loop: Header=BB146_40 Depth=1
	v_and_b32_e32 v3, 0xffff, v33
	v_or_b32_e32 v34, 0x10000, v33
	s_delay_alu instid0(VALU_DEP_2) | instskip(NEXT) | instid1(VALU_DEP_2)
	v_cmp_eq_u32_e32 vcc_lo, 0, v3
	v_cndmask_b32_e32 v3, v34, v33, vcc_lo
; %bb.265:                              ;   in Loop: Header=BB146_40 Depth=1
	s_or_b32 exec_lo, exec_lo, s0
	v_lshlrev_b32_e32 v33, 16, v79
	s_delay_alu instid0(VALU_DEP_1) | instskip(NEXT) | instid1(VALU_DEP_1)
	v_mul_f32_e32 v34, v44, v33
	v_and_b32_e32 v33, 0x7f800000, v34
	s_delay_alu instid0(VALU_DEP_1) | instskip(SKIP_1) | instid1(SALU_CYCLE_1)
	v_cmp_ne_u32_e32 vcc_lo, 0x7f800000, v33
                                        ; implicit-def: $vgpr33
	s_and_saveexec_b32 s0, vcc_lo
	s_xor_b32 s0, exec_lo, s0
; %bb.266:                              ;   in Loop: Header=BB146_40 Depth=1
	v_bfe_u32 v33, v34, 16, 1
	s_delay_alu instid0(VALU_DEP_1)
	v_add3_u32 v33, v34, v33, 0x7fff
                                        ; implicit-def: $vgpr34
; %bb.267:                              ;   in Loop: Header=BB146_40 Depth=1
	s_and_not1_saveexec_b32 s0, s0
; %bb.268:                              ;   in Loop: Header=BB146_40 Depth=1
	v_and_b32_e32 v33, 0xffff, v34
	v_or_b32_e32 v35, 0x10000, v34
	s_delay_alu instid0(VALU_DEP_2) | instskip(NEXT) | instid1(VALU_DEP_2)
	v_cmp_eq_u32_e32 vcc_lo, 0, v33
	v_cndmask_b32_e32 v33, v35, v34, vcc_lo
; %bb.269:                              ;   in Loop: Header=BB146_40 Depth=1
	s_or_b32 exec_lo, exec_lo, s0
	v_lshlrev_b32_e32 v4, 16, v4
	s_delay_alu instid0(VALU_DEP_1) | instskip(NEXT) | instid1(VALU_DEP_1)
	v_mul_f32_e32 v34, v45, v4
	v_and_b32_e32 v4, 0x7f800000, v34
	s_delay_alu instid0(VALU_DEP_1) | instskip(SKIP_1) | instid1(SALU_CYCLE_1)
	v_cmp_ne_u32_e32 vcc_lo, 0x7f800000, v4
                                        ; implicit-def: $vgpr4
	s_and_saveexec_b32 s0, vcc_lo
	s_xor_b32 s0, exec_lo, s0
; %bb.270:                              ;   in Loop: Header=BB146_40 Depth=1
	v_bfe_u32 v4, v34, 16, 1
	s_delay_alu instid0(VALU_DEP_1)
	v_add3_u32 v4, v34, v4, 0x7fff
                                        ; implicit-def: $vgpr34
; %bb.271:                              ;   in Loop: Header=BB146_40 Depth=1
	s_and_not1_saveexec_b32 s0, s0
; %bb.272:                              ;   in Loop: Header=BB146_40 Depth=1
	v_and_b32_e32 v4, 0xffff, v34
	v_or_b32_e32 v35, 0x10000, v34
	s_delay_alu instid0(VALU_DEP_2) | instskip(NEXT) | instid1(VALU_DEP_2)
	v_cmp_eq_u32_e32 vcc_lo, 0, v4
	v_cndmask_b32_e32 v4, v35, v34, vcc_lo
; %bb.273:                              ;   in Loop: Header=BB146_40 Depth=1
	s_or_b32 exec_lo, exec_lo, s0
	v_lshlrev_b32_e32 v7, 16, v7
	s_delay_alu instid0(VALU_DEP_1) | instskip(NEXT) | instid1(VALU_DEP_1)
	v_mul_f32_e32 v34, v46, v7
	v_and_b32_e32 v7, 0x7f800000, v34
	s_delay_alu instid0(VALU_DEP_1) | instskip(SKIP_1) | instid1(SALU_CYCLE_1)
	v_cmp_ne_u32_e32 vcc_lo, 0x7f800000, v7
                                        ; implicit-def: $vgpr7
	s_and_saveexec_b32 s0, vcc_lo
	s_xor_b32 s0, exec_lo, s0
; %bb.274:                              ;   in Loop: Header=BB146_40 Depth=1
	v_bfe_u32 v7, v34, 16, 1
	s_delay_alu instid0(VALU_DEP_1)
	v_add3_u32 v7, v34, v7, 0x7fff
                                        ; implicit-def: $vgpr34
; %bb.275:                              ;   in Loop: Header=BB146_40 Depth=1
	s_and_not1_saveexec_b32 s0, s0
	s_cbranch_execz .LBB146_38
; %bb.276:                              ;   in Loop: Header=BB146_40 Depth=1
	v_and_b32_e32 v7, 0xffff, v34
	v_or_b32_e32 v35, 0x10000, v34
	s_delay_alu instid0(VALU_DEP_2) | instskip(NEXT) | instid1(VALU_DEP_2)
	v_cmp_eq_u32_e32 vcc_lo, 0, v7
	v_cndmask_b32_e32 v7, v35, v34, vcc_lo
	s_branch .LBB146_38
.LBB146_277:
	s_or_b32 exec_lo, exec_lo, s3
.LBB146_278:
	s_delay_alu instid0(SALU_CYCLE_1)
	s_or_b32 exec_lo, exec_lo, s1
	s_movk_i32 s0, 0x300
	v_and_b32_e32 v2, 0x3c0, v0
	v_mad_u32_u24 v1, v14, s0, 0x1a0
	s_mov_b32 s0, exec_lo
	s_waitcnt_vscnt null, 0x0
	s_barrier
	buffer_gl0_inv
	v_cmpx_eq_u32_e32 64, v2
	s_cbranch_execz .LBB146_280
; %bb.279:
	v_add_nc_u32_e32 v2, 0xfffffa00, v1
	v_lshl_or_b32 v3, v0, 2, 0x180
	s_delay_alu instid0(VALU_DEP_2) | instskip(NEXT) | instid1(VALU_DEP_2)
	v_lshl_add_u32 v4, v16, 2, v2
	v_add_nc_u32_e32 v2, v2, v3
	ds_store_2addr_b32 v4, v21, v20 offset1:32
	ds_store_b32 v2, v18
	ds_store_2addr_stride64_b32 v4, v19, v17 offset0:1 offset1:2
	ds_store_b32 v4, v5 offset:640
.LBB146_280:
	s_or_b32 exec_lo, exec_lo, s0
	v_lshl_add_u32 v2, v16, 2, v1
	s_mov_b32 s0, exec_lo
	s_waitcnt lgkmcnt(0)
	s_barrier
	buffer_gl0_inv
	v_cmpx_gt_u32_e32 64, v0
	s_cbranch_execz .LBB146_282
; %bb.281:
	v_or_b32_e32 v3, 0x80, v13
	v_or_b32_e32 v4, 0x180, v13
	;; [unrolled: 1-line block ×3, first 2 shown]
	s_delay_alu instid0(VALU_DEP_3) | instskip(NEXT) | instid1(VALU_DEP_3)
	v_add_nc_u32_e32 v7, v1, v3
	v_add_nc_u32_e32 v8, v1, v4
	s_delay_alu instid0(VALU_DEP_3)
	v_add_nc_u32_e32 v6, v1, v6
	ds_load_2addr_stride64_b32 v[3:4], v2 offset1:1
	ds_load_b32 v9, v2 offset:512
	ds_load_b32 v7, v7
	ds_load_b32 v8, v8
	;; [unrolled: 1-line block ×3, first 2 shown]
	s_waitcnt lgkmcnt(4)
	v_add_f32_e32 v19, v19, v4
	v_add_f32_e32 v21, v21, v3
	s_waitcnt lgkmcnt(2)
	v_dual_add_f32 v17, v17, v9 :: v_dual_add_f32 v20, v20, v7
	s_waitcnt lgkmcnt(0)
	v_dual_add_f32 v18, v18, v8 :: v_dual_add_f32 v5, v5, v6
.LBB146_282:
	s_or_b32 exec_lo, exec_lo, s0
	v_and_b32_e32 v3, 0x3e0, v0
	s_mov_b32 s0, exec_lo
	s_barrier
	buffer_gl0_inv
	v_cmpx_eq_u32_e32 32, v3
	s_cbranch_execz .LBB146_284
; %bb.283:
	v_add_nc_u32_e32 v3, 0xfffffd00, v1
	v_or_b32_e32 v4, 0x180, v13
	v_or_b32_e32 v6, 0x280, v13
	s_delay_alu instid0(VALU_DEP_3) | instskip(SKIP_1) | instid1(VALU_DEP_4)
	v_lshl_add_u32 v7, v16, 2, v3
	v_add_nc_u32_e32 v8, v3, v13
	v_add_nc_u32_e32 v4, v3, v4
	s_delay_alu instid0(VALU_DEP_4)
	v_add_nc_u32_e32 v3, v3, v6
	ds_store_b32 v7, v21
	ds_store_b32 v8, v20
	;; [unrolled: 1-line block ×3, first 2 shown]
	ds_store_2addr_stride64_b32 v7, v19, v17 offset0:1 offset1:2
	ds_store_b32 v3, v5
.LBB146_284:
	s_or_b32 exec_lo, exec_lo, s0
	v_cmp_gt_u32_e32 vcc_lo, 32, v0
	s_waitcnt lgkmcnt(0)
	s_barrier
	buffer_gl0_inv
	s_and_saveexec_b32 s0, vcc_lo
	s_cbranch_execz .LBB146_286
; %bb.285:
	v_lshl_add_u32 v6, v0, 2, v1
	ds_load_b32 v7, v2
	ds_load_2addr_b32 v[1:2], v6 offset0:32 offset1:64
	ds_load_2addr_b32 v[3:4], v6 offset0:96 offset1:128
	ds_load_b32 v6, v6 offset:640
	s_waitcnt lgkmcnt(2)
	v_dual_add_f32 v21, v21, v7 :: v_dual_add_f32 v20, v20, v1
	s_waitcnt lgkmcnt(1)
	v_dual_add_f32 v19, v19, v2 :: v_dual_add_f32 v18, v18, v3
	v_add_f32_e32 v17, v17, v4
	s_waitcnt lgkmcnt(0)
	v_add_f32_e32 v5, v5, v6
.LBB146_286:
	s_or_b32 exec_lo, exec_lo, s0
	s_barrier
	buffer_gl0_inv
	s_and_saveexec_b32 s0, vcc_lo
	s_cbranch_execz .LBB146_312
; %bb.287:
	v_and_b32_e32 v1, 0x7f800000, v21
	s_delay_alu instid0(VALU_DEP_1) | instskip(SKIP_1) | instid1(SALU_CYCLE_1)
	v_cmp_ne_u32_e32 vcc_lo, 0x7f800000, v1
                                        ; implicit-def: $vgpr1
	s_and_saveexec_b32 s0, vcc_lo
	s_xor_b32 s0, exec_lo, s0
; %bb.288:
	v_bfe_u32 v1, v21, 16, 1
	s_delay_alu instid0(VALU_DEP_1)
	v_add3_u32 v1, v21, v1, 0x7fff
; %bb.289:
	s_and_not1_saveexec_b32 s0, s0
; %bb.290:
	v_and_b32_e32 v1, 0xffff, v21
	v_or_b32_e32 v2, 0x10000, v21
	s_delay_alu instid0(VALU_DEP_2) | instskip(NEXT) | instid1(VALU_DEP_2)
	v_cmp_eq_u32_e32 vcc_lo, 0, v1
	v_cndmask_b32_e32 v1, v2, v21, vcc_lo
; %bb.291:
	s_or_b32 exec_lo, exec_lo, s0
	s_mul_i32 s0, s6, 0xc0
	s_mul_i32 s2, s4, s20
	s_ashr_i32 s1, s0, 31
	v_lshlrev_b32_e32 v0, 1, v0
	s_lshl_b64 s[0:1], s[0:1], 1
	v_and_b32_e32 v2, 0x7f800000, v20
	s_add_u32 s4, s22, s0
	s_addc_u32 s5, s23, s1
	s_ashr_i32 s3, s2, 31
	s_delay_alu instid0(SALU_CYCLE_1) | instskip(SKIP_4) | instid1(SALU_CYCLE_1)
	s_lshl_b64 s[0:1], s[2:3], 1
	s_mul_i32 s2, s12, 0xc0
	s_add_u32 s4, s4, s0
	s_addc_u32 s5, s5, s1
	s_ashr_i32 s3, s2, 31
	s_lshl_b64 s[0:1], s[2:3], 1
	s_delay_alu instid0(SALU_CYCLE_1) | instskip(SKIP_2) | instid1(VALU_DEP_1)
	s_add_u32 s0, s4, s0
	s_addc_u32 s1, s5, s1
	v_add_co_u32 v6, s2, s0, v0
	v_add_co_ci_u32_e64 v7, null, s1, 0, s2
	global_store_d16_hi_b16 v0, v1, s[0:1]
	s_mov_b32 s0, exec_lo
                                        ; implicit-def: $vgpr0
	v_cmpx_ne_u32_e32 0x7f800000, v2
	s_xor_b32 s0, exec_lo, s0
; %bb.292:
	v_bfe_u32 v0, v20, 16, 1
	s_delay_alu instid0(VALU_DEP_1)
	v_add3_u32 v0, v20, v0, 0x7fff
; %bb.293:
	s_and_not1_saveexec_b32 s0, s0
; %bb.294:
	v_and_b32_e32 v0, 0xffff, v20
	v_or_b32_e32 v1, 0x10000, v20
	s_delay_alu instid0(VALU_DEP_2) | instskip(NEXT) | instid1(VALU_DEP_2)
	v_cmp_eq_u32_e32 vcc_lo, 0, v0
	v_cndmask_b32_e32 v0, v1, v20, vcc_lo
; %bb.295:
	s_or_b32 exec_lo, exec_lo, s0
	v_and_b32_e32 v1, 0x7f800000, v19
	s_mov_b32 s0, exec_lo
	global_store_d16_hi_b16 v[6:7], v0, off offset:64
                                        ; implicit-def: $vgpr0
	v_cmpx_ne_u32_e32 0x7f800000, v1
	s_xor_b32 s0, exec_lo, s0
; %bb.296:
	v_bfe_u32 v0, v19, 16, 1
	s_delay_alu instid0(VALU_DEP_1)
	v_add3_u32 v0, v19, v0, 0x7fff
; %bb.297:
	s_and_not1_saveexec_b32 s0, s0
; %bb.298:
	v_and_b32_e32 v0, 0xffff, v19
	v_or_b32_e32 v1, 0x10000, v19
	s_delay_alu instid0(VALU_DEP_2) | instskip(NEXT) | instid1(VALU_DEP_2)
	v_cmp_eq_u32_e32 vcc_lo, 0, v0
	v_cndmask_b32_e32 v0, v1, v19, vcc_lo
; %bb.299:
	s_or_b32 exec_lo, exec_lo, s0
	v_and_b32_e32 v1, 0x7f800000, v18
	s_mov_b32 s0, exec_lo
	global_store_d16_hi_b16 v[6:7], v0, off offset:128
	;; [unrolled: 20-line block ×4, first 2 shown]
                                        ; implicit-def: $vgpr8
	v_cmpx_ne_u32_e32 0x7f800000, v1
	s_xor_b32 s0, exec_lo, s0
; %bb.308:
	v_bfe_u32 v0, v5, 16, 1
	s_delay_alu instid0(VALU_DEP_1)
	v_add3_u32 v8, v5, v0, 0x7fff
                                        ; implicit-def: $vgpr0_vgpr1_vgpr2_vgpr3_vgpr4_vgpr5
; %bb.309:
	s_and_not1_saveexec_b32 s0, s0
; %bb.310:
	v_and_b32_e32 v0, 0xffff, v5
	v_or_b32_e32 v1, 0x10000, v5
	s_delay_alu instid0(VALU_DEP_2) | instskip(NEXT) | instid1(VALU_DEP_2)
	v_cmp_eq_u32_e32 vcc_lo, 0, v0
	v_cndmask_b32_e32 v8, v1, v5, vcc_lo
; %bb.311:
	s_or_b32 exec_lo, exec_lo, s0
	global_store_d16_hi_b16 v[6:7], v8, off offset:320
.LBB146_312:
	s_nop 0
	s_sendmsg sendmsg(MSG_DEALLOC_VGPRS)
	s_endpgm
	.section	.rodata,"a",@progbits
	.p2align	6, 0x0
	.amdhsa_kernel _ZN4vllm25paged_attention_v2_kernelI14__hip_bfloat16S1_Li192ELi8ELi128ELNS_18Fp8KVCacheDataTypeE0ELb1ELi512EEEvPfS3_PT_PKS4_PKT0_SA_ifPKiSC_iPKfiiiSE_SE_iiiii
		.amdhsa_group_segment_fixed_size 416
		.amdhsa_private_segment_fixed_size 0
		.amdhsa_kernarg_size 400
		.amdhsa_user_sgpr_count 13
		.amdhsa_user_sgpr_dispatch_ptr 0
		.amdhsa_user_sgpr_queue_ptr 0
		.amdhsa_user_sgpr_kernarg_segment_ptr 1
		.amdhsa_user_sgpr_dispatch_id 0
		.amdhsa_user_sgpr_private_segment_size 0
		.amdhsa_wavefront_size32 1
		.amdhsa_uses_dynamic_stack 0
		.amdhsa_enable_private_segment 0
		.amdhsa_system_sgpr_workgroup_id_x 1
		.amdhsa_system_sgpr_workgroup_id_y 1
		.amdhsa_system_sgpr_workgroup_id_z 1
		.amdhsa_system_sgpr_workgroup_info 0
		.amdhsa_system_vgpr_workitem_id 0
		.amdhsa_next_free_vgpr 95
		.amdhsa_next_free_sgpr 46
		.amdhsa_reserve_vcc 1
		.amdhsa_float_round_mode_32 0
		.amdhsa_float_round_mode_16_64 0
		.amdhsa_float_denorm_mode_32 3
		.amdhsa_float_denorm_mode_16_64 3
		.amdhsa_dx10_clamp 1
		.amdhsa_ieee_mode 1
		.amdhsa_fp16_overflow 0
		.amdhsa_workgroup_processor_mode 1
		.amdhsa_memory_ordered 1
		.amdhsa_forward_progress 0
		.amdhsa_shared_vgpr_count 0
		.amdhsa_exception_fp_ieee_invalid_op 0
		.amdhsa_exception_fp_denorm_src 0
		.amdhsa_exception_fp_ieee_div_zero 0
		.amdhsa_exception_fp_ieee_overflow 0
		.amdhsa_exception_fp_ieee_underflow 0
		.amdhsa_exception_fp_ieee_inexact 0
		.amdhsa_exception_int_div_zero 0
	.end_amdhsa_kernel
	.section	.text._ZN4vllm25paged_attention_v2_kernelI14__hip_bfloat16S1_Li192ELi8ELi128ELNS_18Fp8KVCacheDataTypeE0ELb1ELi512EEEvPfS3_PT_PKS4_PKT0_SA_ifPKiSC_iPKfiiiSE_SE_iiiii,"axG",@progbits,_ZN4vllm25paged_attention_v2_kernelI14__hip_bfloat16S1_Li192ELi8ELi128ELNS_18Fp8KVCacheDataTypeE0ELb1ELi512EEEvPfS3_PT_PKS4_PKT0_SA_ifPKiSC_iPKfiiiSE_SE_iiiii,comdat
.Lfunc_end146:
	.size	_ZN4vllm25paged_attention_v2_kernelI14__hip_bfloat16S1_Li192ELi8ELi128ELNS_18Fp8KVCacheDataTypeE0ELb1ELi512EEEvPfS3_PT_PKS4_PKT0_SA_ifPKiSC_iPKfiiiSE_SE_iiiii, .Lfunc_end146-_ZN4vllm25paged_attention_v2_kernelI14__hip_bfloat16S1_Li192ELi8ELi128ELNS_18Fp8KVCacheDataTypeE0ELb1ELi512EEEvPfS3_PT_PKS4_PKT0_SA_ifPKiSC_iPKfiiiSE_SE_iiiii
                                        ; -- End function
	.section	.AMDGPU.csdata,"",@progbits
; Kernel info:
; codeLenInByte = 13752
; NumSgprs: 48
; NumVgprs: 95
; ScratchSize: 0
; MemoryBound: 0
; FloatMode: 240
; IeeeMode: 1
; LDSByteSize: 416 bytes/workgroup (compile time only)
; SGPRBlocks: 5
; VGPRBlocks: 11
; NumSGPRsForWavesPerEU: 48
; NumVGPRsForWavesPerEU: 95
; Occupancy: 16
; WaveLimiterHint : 1
; COMPUTE_PGM_RSRC2:SCRATCH_EN: 0
; COMPUTE_PGM_RSRC2:USER_SGPR: 13
; COMPUTE_PGM_RSRC2:TRAP_HANDLER: 0
; COMPUTE_PGM_RSRC2:TGID_X_EN: 1
; COMPUTE_PGM_RSRC2:TGID_Y_EN: 1
; COMPUTE_PGM_RSRC2:TGID_Z_EN: 1
; COMPUTE_PGM_RSRC2:TIDIG_COMP_CNT: 0
	.section	.text._ZN4vllm32paged_attention_v2_reduce_kernelI14__hip_bfloat16Li192ELi128ELi512EEEvPT_PKfS5_PKS2_PKii,"axG",@progbits,_ZN4vllm32paged_attention_v2_reduce_kernelI14__hip_bfloat16Li192ELi128ELi512EEEvPT_PKfS5_PKS2_PKii,comdat
	.protected	_ZN4vllm32paged_attention_v2_reduce_kernelI14__hip_bfloat16Li192ELi128ELi512EEEvPT_PKfS5_PKS2_PKii ; -- Begin function _ZN4vllm32paged_attention_v2_reduce_kernelI14__hip_bfloat16Li192ELi128ELi512EEEvPT_PKfS5_PKS2_PKii
	.globl	_ZN4vllm32paged_attention_v2_reduce_kernelI14__hip_bfloat16Li192ELi128ELi512EEEvPT_PKfS5_PKS2_PKii
	.p2align	8
	.type	_ZN4vllm32paged_attention_v2_reduce_kernelI14__hip_bfloat16Li192ELi128ELi512EEEvPT_PKfS5_PKS2_PKii,@function
_ZN4vllm32paged_attention_v2_reduce_kernelI14__hip_bfloat16Li192ELi128ELi512EEEvPT_PKfS5_PKS2_PKii: ; @_ZN4vllm32paged_attention_v2_reduce_kernelI14__hip_bfloat16Li192ELi128ELi512EEEvPT_PKfS5_PKS2_PKii
; %bb.0:
	s_load_b128 s[4:7], s[0:1], 0x18
	s_add_u32 s8, s0, 48
	s_mov_b32 s10, s15
	s_addc_u32 s9, s1, 0
	s_ashr_i32 s11, s15, 31
	s_delay_alu instid0(SALU_CYCLE_1)
	s_lshl_b64 s[2:3], s[10:11], 2
	s_waitcnt lgkmcnt(0)
	s_add_u32 s2, s6, s2
	s_addc_u32 s3, s7, s3
	s_load_b32 s18, s[2:3], 0x0
	s_clause 0x2
	s_load_b64 s[6:7], s[0:1], 0x0
	s_load_b32 s11, s[0:1], 0x28
	s_load_b32 s15, s[0:1], 0x30
	s_waitcnt lgkmcnt(0)
	s_add_i32 s2, s18, -1
	s_delay_alu instid0(SALU_CYCLE_1)
	s_cmpk_gt_u32 s2, 0x1ff
	s_mov_b32 s2, -1
	s_cbranch_scc0 .LBB147_28
; %bb.1:
	s_load_b64 s[2:3], s[0:1], 0x8
	s_add_i32 s12, s18, 0x1ff
	s_mul_i32 s20, s15, s10
	s_ashr_i32 s13, s12, 31
	v_mov_b32_e32 v3, 0xff7fffff
	s_lshr_b32 s13, s13, 23
	s_mul_i32 s16, s14, s11
	s_add_i32 s12, s12, s13
	s_ashr_i32 s17, s16, 31
	s_ashr_i32 s19, s12, 9
	s_mul_i32 s12, s20, s11
	v_cmp_gt_i32_e32 vcc_lo, s19, v0
	s_ashr_i32 s13, s12, 31
	s_and_saveexec_b32 s21, vcc_lo
	s_cbranch_execz .LBB147_5
; %bb.2:
	s_load_b32 s28, s[8:9], 0xc
	s_load_b64 s[22:23], s[0:1], 0x10
	s_lshl_b64 s[24:25], s[12:13], 2
	s_lshl_b64 s[26:27], s[16:17], 2
	v_lshlrev_b32_e32 v1, 2, v0
	v_mov_b32_e32 v3, 0xff7fffff
	s_delay_alu instid0(VALU_DEP_2)
	v_dual_mov_b32 v5, v0 :: v_dual_add_nc_u32 v4, 32, v1
	s_waitcnt lgkmcnt(0)
	s_and_b32 s1, s28, 0xffff
	s_add_u32 s0, s24, s26
	s_addc_u32 s24, s25, s27
	s_add_u32 s0, s22, s0
	s_addc_u32 s22, s23, s24
	v_add_co_u32 v1, s0, s0, v1
	s_delay_alu instid0(VALU_DEP_1)
	v_add_co_ci_u32_e64 v2, null, s22, 0, s0
	s_mov_b32 s22, 0
	s_lshl_b32 s23, s1, 2
	.p2align	6
.LBB147_3:                              ; =>This Inner Loop Header: Depth=1
	global_load_b32 v6, v[1:2], off
	v_add_nc_u32_e32 v5, s1, v5
	v_max_f32_e32 v3, v3, v3
	v_add_co_u32 v1, s0, v1, s23
	s_delay_alu instid0(VALU_DEP_1) | instskip(NEXT) | instid1(VALU_DEP_4)
	v_add_co_ci_u32_e64 v2, s0, 0, v2, s0
	v_cmp_le_i32_e64 s0, s19, v5
	s_delay_alu instid0(VALU_DEP_1)
	s_or_b32 s22, s0, s22
	s_waitcnt vmcnt(0)
	v_max_f32_e32 v7, v6, v6
	ds_store_b32 v4, v6
	v_dual_max_f32 v3, v3, v7 :: v_dual_add_nc_u32 v4, s23, v4
	s_and_not1_b32 exec_lo, exec_lo, s22
	s_cbranch_execnz .LBB147_3
; %bb.4:
	s_or_b32 exec_lo, exec_lo, s22
.LBB147_5:
	s_delay_alu instid0(SALU_CYCLE_1)
	s_or_b32 exec_lo, exec_lo, s21
	v_mbcnt_lo_u32_b32 v1, -1, 0
	v_lshrrev_b32_e32 v9, 5, v0
	s_waitcnt lgkmcnt(0)
	s_barrier
	buffer_gl0_inv
	v_xor_b32_e32 v2, 16, v1
	v_xor_b32_e32 v4, 8, v1
	s_delay_alu instid0(VALU_DEP_2) | instskip(NEXT) | instid1(VALU_DEP_1)
	v_cmp_gt_i32_e64 s0, 32, v2
	v_cndmask_b32_e64 v2, v1, v2, s0
	s_delay_alu instid0(VALU_DEP_3) | instskip(NEXT) | instid1(VALU_DEP_2)
	v_cmp_gt_i32_e64 s0, 32, v4
	v_lshlrev_b32_e32 v5, 2, v2
	s_delay_alu instid0(VALU_DEP_2)
	v_cndmask_b32_e64 v4, v1, v4, s0
	ds_bpermute_b32 v2, v5, v3
	s_waitcnt lgkmcnt(0)
	v_dual_max_f32 v3, v3, v3 :: v_dual_max_f32 v2, v2, v2
	v_lshlrev_b32_e32 v7, 2, v4
	v_xor_b32_e32 v4, 4, v1
	s_delay_alu instid0(VALU_DEP_3) | instskip(NEXT) | instid1(VALU_DEP_2)
	v_max_f32_e32 v2, v3, v2
	v_cmp_gt_i32_e64 s0, 32, v4
	ds_bpermute_b32 v3, v7, v2
	v_cndmask_b32_e64 v4, v1, v4, s0
	s_delay_alu instid0(VALU_DEP_1) | instskip(SKIP_1) | instid1(VALU_DEP_1)
	v_lshlrev_b32_e32 v8, 2, v4
	v_xor_b32_e32 v4, 2, v1
	v_cmp_gt_i32_e64 s0, 32, v4
	s_delay_alu instid0(VALU_DEP_1) | instskip(SKIP_2) | instid1(VALU_DEP_1)
	v_cndmask_b32_e64 v4, v1, v4, s0
	s_waitcnt lgkmcnt(0)
	v_max_f32_e32 v3, v3, v3
	v_max_f32_e32 v2, v2, v3
	ds_bpermute_b32 v3, v8, v2
	s_waitcnt lgkmcnt(0)
	v_dual_max_f32 v6, v3, v3 :: v_dual_lshlrev_b32 v3, 2, v4
	s_delay_alu instid0(VALU_DEP_1) | instskip(SKIP_3) | instid1(VALU_DEP_1)
	v_max_f32_e32 v2, v2, v6
	v_xor_b32_e32 v6, 1, v1
	ds_bpermute_b32 v4, v3, v2
	v_cmp_gt_i32_e64 s0, 32, v6
	v_cndmask_b32_e64 v6, v1, v6, s0
	s_waitcnt lgkmcnt(0)
	v_max_f32_e32 v4, v4, v4
	s_delay_alu instid0(VALU_DEP_1) | instskip(SKIP_3) | instid1(VALU_DEP_1)
	v_dual_max_f32 v1, v2, v4 :: v_dual_lshlrev_b32 v4, 2, v6
	v_and_b32_e32 v6, 31, v0
	ds_bpermute_b32 v2, v4, v1
	v_cmp_eq_u32_e64 s0, 0, v6
	s_and_saveexec_b32 s1, s0
	s_cbranch_execz .LBB147_7
; %bb.6:
	s_waitcnt lgkmcnt(0)
	v_dual_max_f32 v2, v2, v2 :: v_dual_max_f32 v1, v1, v1
	s_delay_alu instid0(VALU_DEP_1)
	v_dual_max_f32 v1, v1, v2 :: v_dual_lshlrev_b32 v2, 2, v9
	ds_store_b32 v2, v1
.LBB147_7:
	s_or_b32 exec_lo, exec_lo, s1
	v_cmp_gt_u32_e64 s1, 4, v6
	v_mov_b32_e32 v1, 0xff7fffff
	s_waitcnt lgkmcnt(0)
	s_barrier
	buffer_gl0_inv
	s_and_saveexec_b32 s21, s1
	s_cbranch_execz .LBB147_9
; %bb.8:
	v_lshlrev_b32_e32 v1, 2, v6
	ds_load_b32 v1, v1
.LBB147_9:
	s_or_b32 exec_lo, exec_lo, s21
	s_waitcnt lgkmcnt(0)
	ds_bpermute_b32 v2, v3, v1
	v_max_f32_e32 v1, v1, v1
	s_lshl_b32 s21, s19, 2
	s_waitcnt lgkmcnt(0)
	v_dual_mov_b32 v11, 0 :: v_dual_max_f32 v2, v2, v2
	s_delay_alu instid0(VALU_DEP_1) | instskip(SKIP_3) | instid1(VALU_DEP_1)
	v_max_f32_e32 v1, v1, v2
	ds_bpermute_b32 v2, v4, v1
	s_waitcnt lgkmcnt(0)
	v_max_f32_e32 v2, v2, v2
	v_max_f32_e32 v1, v1, v2
	ds_bpermute_b32 v10, v11, v1
	s_and_saveexec_b32 s22, vcc_lo
	s_cbranch_execz .LBB147_13
; %bb.10:
	s_load_b32 s23, s[8:9], 0xc
	s_lshl_b64 s[24:25], s[12:13], 2
	s_lshl_b64 s[26:27], s[16:17], 2
	v_lshlrev_b32_e32 v1, 2, v0
	v_mov_b32_e32 v11, 0
	s_delay_alu instid0(VALU_DEP_2)
	v_dual_mov_b32 v13, v0 :: v_dual_add_nc_u32 v12, 32, v1
	s_waitcnt lgkmcnt(0)
	s_and_b32 s13, s23, 0xffff
	s_add_u32 s17, s24, s26
	s_addc_u32 s23, s25, s27
	s_add_u32 s2, s2, s17
	s_addc_u32 s3, s3, s23
	v_add_co_u32 v1, s2, s2, v1
	s_delay_alu instid0(VALU_DEP_1)
	v_add_co_ci_u32_e64 v2, null, s3, 0, s2
	s_mov_b32 s3, 0
	s_lshl_b32 s17, s13, 2
	s_set_inst_prefetch_distance 0x1
	.p2align	6
.LBB147_11:                             ; =>This Inner Loop Header: Depth=1
	global_load_b32 v14, v[1:2], off
	ds_load_b32 v15, v12
	v_add_nc_u32_e32 v13, s13, v13
	s_waitcnt lgkmcnt(0)
	v_sub_f32_e32 v15, v15, v10
	s_delay_alu instid0(VALU_DEP_1) | instskip(NEXT) | instid1(VALU_DEP_1)
	v_mul_f32_e32 v16, 0x3fb8aa3b, v15
	v_fma_f32 v17, 0x3fb8aa3b, v15, -v16
	v_rndne_f32_e32 v18, v16
	s_delay_alu instid0(VALU_DEP_1) | instskip(NEXT) | instid1(VALU_DEP_1)
	v_dual_fmac_f32 v17, 0x32a5705f, v15 :: v_dual_sub_f32 v16, v16, v18
	v_add_f32_e32 v16, v16, v17
	v_cvt_i32_f32_e32 v17, v18
	v_cmp_ngt_f32_e32 vcc_lo, 0xc2ce8ed0, v15
	v_cmp_nlt_f32_e64 s2, 0x42b17218, v15
	s_delay_alu instid0(VALU_DEP_4) | instskip(SKIP_3) | instid1(VALU_DEP_2)
	v_exp_f32_e32 v16, v16
	s_waitcnt_depctr 0xfff
	v_ldexp_f32 v16, v16, v17
	v_add_nc_u32_e32 v17, s21, v12
	v_cndmask_b32_e32 v16, 0, v16, vcc_lo
	v_add_co_u32 v1, vcc_lo, v1, s17
	v_add_co_ci_u32_e32 v2, vcc_lo, 0, v2, vcc_lo
	s_delay_alu instid0(VALU_DEP_3)
	v_cndmask_b32_e64 v15, 0x7f800000, v16, s2
	v_cmp_le_i32_e32 vcc_lo, s19, v13
	v_add_nc_u32_e32 v12, s17, v12
	s_or_b32 s3, vcc_lo, s3
	s_waitcnt vmcnt(0)
	v_fmac_f32_e32 v11, v14, v15
	v_mul_f32_e32 v16, v14, v15
	ds_store_b32 v17, v16
	s_and_not1_b32 exec_lo, exec_lo, s3
	s_cbranch_execnz .LBB147_11
; %bb.12:
	s_set_inst_prefetch_distance 0x2
	s_or_b32 exec_lo, exec_lo, s3
.LBB147_13:
	s_delay_alu instid0(SALU_CYCLE_1)
	s_or_b32 exec_lo, exec_lo, s22
	ds_bpermute_b32 v1, v5, v11
	s_waitcnt lgkmcnt(0)
	s_barrier
	buffer_gl0_inv
	v_add_f32_e32 v1, v11, v1
	ds_bpermute_b32 v2, v7, v1
	s_waitcnt lgkmcnt(0)
	v_add_f32_e32 v1, v1, v2
	ds_bpermute_b32 v2, v8, v1
	s_waitcnt lgkmcnt(0)
	;; [unrolled: 3-line block ×4, first 2 shown]
	v_add_f32_e32 v1, v1, v2
	s_and_saveexec_b32 s2, s0
	s_cbranch_execz .LBB147_15
; %bb.14:
	v_lshlrev_b32_e32 v2, 2, v9
	ds_store_b32 v2, v1 offset:16
.LBB147_15:
	s_or_b32 exec_lo, exec_lo, s2
	s_waitcnt lgkmcnt(0)
	s_barrier
	buffer_gl0_inv
	s_and_saveexec_b32 s0, s1
	s_cbranch_execz .LBB147_17
; %bb.16:
	v_lshlrev_b32_e32 v1, 2, v6
	ds_load_b32 v1, v1 offset:16
.LBB147_17:
	s_or_b32 exec_lo, exec_lo, s0
	s_waitcnt lgkmcnt(0)
	ds_bpermute_b32 v2, v3, v1
	s_mov_b32 s1, exec_lo
	s_waitcnt lgkmcnt(0)
	v_add_f32_e32 v1, v1, v2
	ds_bpermute_b32 v2, v4, v1
	s_waitcnt lgkmcnt(0)
	v_dual_add_f32 v1, v1, v2 :: v_dual_mov_b32 v2, 0
	ds_bpermute_b32 v1, v2, v1
	v_cmpx_gt_u32_e32 0xc0, v0
	s_cbranch_execz .LBB147_27
; %bb.18:
	s_waitcnt lgkmcnt(0)
	v_add_f32_e32 v1, 0x358637bd, v1
	s_mul_i32 s2, s20, 0xc0
	s_mul_i32 s22, s12, 0xc0
	s_ashr_i32 s3, s2, 31
	s_mul_i32 s24, s16, 0xc0
	v_div_scale_f32 v3, null, v1, v1, 1.0
	s_lshl_b64 s[2:3], s[2:3], 1
	s_mul_i32 s12, s14, 0xc0
	s_ashr_i32 s23, s22, 31
	s_delay_alu instid0(VALU_DEP_1)
	v_rcp_f32_e32 v4, v3
	s_ashr_i32 s25, s24, 31
	s_add_u32 s0, s6, s2
	s_addc_u32 s16, s7, s3
	s_ashr_i32 s13, s12, 31
	v_lshlrev_b32_e32 v8, 1, v0
	s_lshl_b64 s[2:3], s[12:13], 1
	s_delay_alu instid0(SALU_CYCLE_1)
	s_add_u32 s2, s0, s2
	s_addc_u32 s3, s16, s3
	s_waitcnt_depctr 0xfff
	v_fma_f32 v5, -v3, v4, 1.0
	s_add_i32 s12, s21, 32
	s_cmp_gt_i32 s18, 0
	s_cselect_b32 s13, -1, 0
	s_delay_alu instid0(VALU_DEP_1) | instskip(SKIP_4) | instid1(VALU_DEP_1)
	v_fmac_f32_e32 v4, v5, v4
	v_div_scale_f32 v6, vcc_lo, 1.0, v1, 1.0
	s_max_i32 s16, s19, 1
	s_lshl_b64 s[18:19], s[22:23], 1
	s_lshl_b64 s[20:21], s[24:25], 1
	v_mul_f32_e32 v5, v6, v4
	s_add_u32 s0, s18, s20
	s_addc_u32 s17, s19, s21
	s_add_u32 s0, s4, s0
	s_addc_u32 s17, s5, s17
	v_fma_f32 v7, -v3, v5, v6
	s_delay_alu instid0(VALU_DEP_1) | instskip(NEXT) | instid1(VALU_DEP_1)
	v_fmac_f32_e32 v5, v7, v4
	v_fma_f32 v3, -v3, v5, v6
	s_delay_alu instid0(VALU_DEP_1) | instskip(NEXT) | instid1(VALU_DEP_1)
	v_div_fmas_f32 v5, v3, v4, v5
	v_div_fixup_f32 v7, v5, v1, 1.0
	v_mov_b32_e32 v1, v0
	v_add_co_u32 v3, s0, s0, v8
	s_delay_alu instid0(VALU_DEP_1)
	v_add_co_ci_u32_e64 v4, null, s17, 0, s0
	s_mov_b32 s17, 0
	s_branch .LBB147_20
.LBB147_19:                             ;   in Loop: Header=BB147_20 Depth=1
	s_or_b32 exec_lo, exec_lo, s0
	v_lshlrev_b64 v[8:9], 1, v[1:2]
	v_add_nc_u32_e32 v6, 0x80, v1
	v_cmp_lt_u32_e32 vcc_lo, 63, v1
	s_delay_alu instid0(VALU_DEP_2) | instskip(NEXT) | instid1(VALU_DEP_4)
	v_mov_b32_e32 v1, v6
	v_add_co_u32 v8, s0, s2, v8
	s_delay_alu instid0(VALU_DEP_1) | instskip(SKIP_1) | instid1(VALU_DEP_1)
	v_add_co_ci_u32_e64 v9, s0, s3, v9, s0
	v_add_co_u32 v3, s0, 0x100, v3
	v_add_co_ci_u32_e64 v4, s0, 0, v4, s0
	s_or_b32 s17, vcc_lo, s17
	global_store_d16_hi_b16 v[8:9], v5, off
	s_and_not1_b32 exec_lo, exec_lo, s17
	s_cbranch_execz .LBB147_27
.LBB147_20:                             ; =>This Loop Header: Depth=1
                                        ;     Child Loop BB147_22 Depth 2
	v_mov_b32_e32 v8, 0
	s_and_not1_b32 vcc_lo, exec_lo, s13
	s_cbranch_vccnz .LBB147_23
; %bb.21:                               ;   in Loop: Header=BB147_20 Depth=1
	v_dual_mov_b32 v6, v4 :: v_dual_mov_b32 v5, v3
	s_mov_b32 s0, s12
	s_mov_b32 s18, s16
.LBB147_22:                             ;   Parent Loop BB147_20 Depth=1
                                        ; =>  This Inner Loop Header: Depth=2
	global_load_u16 v9, v[5:6], off
	v_mov_b32_e32 v10, s0
	v_add_co_u32 v5, vcc_lo, 0x180, v5
	v_add_co_ci_u32_e32 v6, vcc_lo, 0, v6, vcc_lo
	s_add_i32 s18, s18, -1
	s_add_i32 s0, s0, 4
	s_cmp_eq_u32 s18, 0
	s_waitcnt vmcnt(0)
	v_lshlrev_b32_e32 v9, 16, v9
	ds_load_b32 v10, v10
	s_waitcnt lgkmcnt(0)
	v_mul_f32_e32 v9, v10, v9
	s_delay_alu instid0(VALU_DEP_1)
	v_fmac_f32_e32 v8, v7, v9
	s_cbranch_scc0 .LBB147_22
.LBB147_23:                             ;   in Loop: Header=BB147_20 Depth=1
	s_delay_alu instid0(VALU_DEP_1) | instskip(NEXT) | instid1(VALU_DEP_1)
	v_and_b32_e32 v5, 0x7f800000, v8
	v_cmp_ne_u32_e32 vcc_lo, 0x7f800000, v5
                                        ; implicit-def: $vgpr5
	s_and_saveexec_b32 s0, vcc_lo
	s_delay_alu instid0(SALU_CYCLE_1)
	s_xor_b32 s0, exec_lo, s0
; %bb.24:                               ;   in Loop: Header=BB147_20 Depth=1
	v_bfe_u32 v5, v8, 16, 1
	s_delay_alu instid0(VALU_DEP_1)
	v_add3_u32 v5, v8, v5, 0x7fff
                                        ; implicit-def: $vgpr8
; %bb.25:                               ;   in Loop: Header=BB147_20 Depth=1
	s_and_not1_saveexec_b32 s0, s0
	s_cbranch_execz .LBB147_19
; %bb.26:                               ;   in Loop: Header=BB147_20 Depth=1
	v_and_b32_e32 v5, 0xffff, v8
	v_or_b32_e32 v6, 0x10000, v8
	s_delay_alu instid0(VALU_DEP_2) | instskip(NEXT) | instid1(VALU_DEP_2)
	v_cmp_eq_u32_e32 vcc_lo, 0, v5
	v_cndmask_b32_e32 v5, v6, v8, vcc_lo
	s_branch .LBB147_19
.LBB147_27:
	s_or_b32 exec_lo, exec_lo, s1
	s_mov_b32 s2, 0
.LBB147_28:
	s_delay_alu instid0(SALU_CYCLE_1)
	s_and_b32 vcc_lo, exec_lo, s2
	s_cbranch_vccz .LBB147_37
; %bb.29:
	s_mov_b32 s0, exec_lo
	v_cmpx_gt_u32_e32 0xc0, v0
	s_cbranch_execz .LBB147_37
; %bb.30:
	s_mul_i32 s0, s15, s10
	s_load_b32 s10, s[8:9], 0xc
	s_mulk_i32 s0, 0xc0
	s_mul_i32 s12, s14, 0xc0
	s_ashr_i32 s1, s0, 31
	s_mul_i32 s8, s12, s11
	s_lshl_b64 s[2:3], s[0:1], 1
	s_delay_alu instid0(SALU_CYCLE_1) | instskip(SKIP_4) | instid1(SALU_CYCLE_1)
	s_add_u32 s1, s6, s2
	s_addc_u32 s7, s7, s3
	s_ashr_i32 s13, s12, 31
	s_mul_i32 s6, s0, s11
	s_lshl_b64 s[2:3], s[12:13], 1
	s_add_u32 s1, s1, s2
	s_addc_u32 s2, s7, s3
	s_ashr_i32 s7, s6, 31
	s_delay_alu instid0(SALU_CYCLE_1) | instskip(NEXT) | instid1(SALU_CYCLE_1)
	s_lshl_b64 s[6:7], s[6:7], 1
	s_add_u32 s0, s4, s6
	s_addc_u32 s6, s5, s7
	s_ashr_i32 s9, s8, 31
	s_mov_b32 s7, 0
	s_lshl_b64 s[4:5], s[8:9], 1
	s_delay_alu instid0(SALU_CYCLE_1) | instskip(SKIP_3) | instid1(SALU_CYCLE_1)
	s_add_u32 s3, s0, s4
	s_addc_u32 s4, s6, s5
	s_waitcnt lgkmcnt(0)
	s_and_b32 s5, s10, 0xffff
	v_cvt_f32_u32_e32 v1, s5
	s_cmp_eq_u32 s5, 1
	v_add_nc_u32_e32 v3, s5, v0
	s_cselect_b32 s6, -1, 0
	s_sub_i32 s0, 0, s5
	v_rcp_iflag_f32_e32 v1, v1
	s_delay_alu instid0(VALU_DEP_1) | instskip(SKIP_3) | instid1(VALU_DEP_1)
	v_cmp_gt_u32_e32 vcc_lo, 0xc0, v3
	v_max_u32_e32 v4, 0xc0, v3
	s_waitcnt_depctr 0xfff
	v_mul_f32_e32 v1, 0x4f7ffffe, v1
	v_cvt_u32_f32_e32 v1, v1
	s_delay_alu instid0(VALU_DEP_1) | instskip(SKIP_1) | instid1(VALU_DEP_1)
	v_mul_lo_u32 v2, s0, v1
	v_add_co_ci_u32_e64 v3, s0, s5, v0, vcc_lo
	v_sub_nc_u32_e32 v3, v4, v3
	s_delay_alu instid0(VALU_DEP_3) | instskip(NEXT) | instid1(VALU_DEP_1)
	v_mul_hi_u32 v2, v1, v2
	v_add_nc_u32_e32 v1, v1, v2
	s_delay_alu instid0(VALU_DEP_1) | instskip(NEXT) | instid1(VALU_DEP_1)
	v_mul_hi_u32 v1, v3, v1
	v_mul_lo_u32 v2, v1, s5
	s_delay_alu instid0(VALU_DEP_1) | instskip(SKIP_1) | instid1(VALU_DEP_2)
	v_sub_nc_u32_e32 v2, v3, v2
	v_add_nc_u32_e32 v3, 1, v1
	v_subrev_nc_u32_e32 v4, s5, v2
	v_cmp_le_u32_e64 s0, s5, v2
	s_delay_alu instid0(VALU_DEP_1) | instskip(NEXT) | instid1(VALU_DEP_3)
	v_cndmask_b32_e64 v1, v1, v3, s0
	v_cndmask_b32_e64 v2, v2, v4, s0
	s_delay_alu instid0(VALU_DEP_2) | instskip(NEXT) | instid1(VALU_DEP_2)
	v_add_nc_u32_e32 v3, 1, v1
	v_cmp_le_u32_e64 s0, s5, v2
	s_delay_alu instid0(VALU_DEP_1) | instskip(SKIP_1) | instid1(VALU_DEP_1)
	v_cndmask_b32_e64 v1, v1, v3, s0
	s_mov_b32 s0, -1
	v_add_co_ci_u32_e32 v3, vcc_lo, 1, v1, vcc_lo
	s_delay_alu instid0(VALU_DEP_1) | instskip(SKIP_1) | instid1(SALU_CYCLE_1)
	v_cmp_lt_u32_e32 vcc_lo, 15, v3
	s_and_b32 s8, vcc_lo, s6
	s_and_saveexec_b32 s6, s8
	s_cbranch_execz .LBB147_34
; %bb.31:
	v_dual_mov_b32 v1, v0 :: v_dual_and_b32 v4, -16, v3
	s_delay_alu instid0(VALU_DEP_1)
	v_dual_mov_b32 v2, 0 :: v_dual_mov_b32 v5, v4
	.p2align	6
.LBB147_32:                             ; =>This Inner Loop Header: Depth=1
	s_delay_alu instid0(VALU_DEP_1) | instskip(NEXT) | instid1(VALU_DEP_2)
	v_lshlrev_b64 v[14:15], 1, v[1:2]
	v_add_nc_u32_e32 v5, -16, v5
	v_add_nc_u32_e32 v1, 16, v1
	s_delay_alu instid0(VALU_DEP_3) | instskip(NEXT) | instid1(VALU_DEP_4)
	v_add_co_u32 v10, vcc_lo, s3, v14
	v_add_co_ci_u32_e32 v11, vcc_lo, s4, v15, vcc_lo
	s_delay_alu instid0(VALU_DEP_4)
	v_cmp_eq_u32_e32 vcc_lo, 0, v5
	v_add_co_u32 v14, s0, s1, v14
	s_clause 0x1
	global_load_b128 v[6:9], v[10:11], off
	global_load_b128 v[10:13], v[10:11], off offset:16
	v_add_co_ci_u32_e64 v15, s0, s2, v15, s0
	s_or_b32 s7, vcc_lo, s7
	s_waitcnt vmcnt(1)
	global_store_b128 v[14:15], v[6:9], off
	s_waitcnt vmcnt(0)
	global_store_b128 v[14:15], v[10:13], off offset:16
	s_and_not1_b32 exec_lo, exec_lo, s7
	s_cbranch_execnz .LBB147_32
; %bb.33:
	s_or_b32 exec_lo, exec_lo, s7
	v_cmp_ne_u32_e32 vcc_lo, v3, v4
	v_add_nc_u32_e32 v0, v0, v4
	s_or_not1_b32 s0, vcc_lo, exec_lo
.LBB147_34:
	s_or_b32 exec_lo, exec_lo, s6
	s_delay_alu instid0(SALU_CYCLE_1)
	s_and_b32 exec_lo, exec_lo, s0
	s_cbranch_execz .LBB147_37
; %bb.35:
	v_mov_b32_e32 v1, 0
	s_mov_b32 s6, 0
	s_lshl_b32 s7, s5, 1
	s_delay_alu instid0(VALU_DEP_1)
	v_lshlrev_b64 v[1:2], 1, v[0:1]
	.p2align	6
.LBB147_36:                             ; =>This Inner Loop Header: Depth=1
	s_delay_alu instid0(VALU_DEP_1) | instskip(NEXT) | instid1(VALU_DEP_2)
	v_add_co_u32 v3, vcc_lo, s3, v1
	v_add_co_ci_u32_e32 v4, vcc_lo, s4, v2, vcc_lo
	v_add_nc_u32_e32 v0, s5, v0
	global_load_u16 v5, v[3:4], off
	v_add_co_u32 v3, vcc_lo, s1, v1
	v_add_co_ci_u32_e32 v4, vcc_lo, s2, v2, vcc_lo
	v_cmp_lt_u32_e32 vcc_lo, 0xbf, v0
	v_add_co_u32 v1, s0, v1, s7
	s_delay_alu instid0(VALU_DEP_1)
	v_add_co_ci_u32_e64 v2, s0, 0, v2, s0
	s_or_b32 s6, vcc_lo, s6
	s_waitcnt vmcnt(0)
	global_store_b16 v[3:4], v5, off
	s_and_not1_b32 exec_lo, exec_lo, s6
	s_cbranch_execnz .LBB147_36
.LBB147_37:
	s_nop 0
	s_sendmsg sendmsg(MSG_DEALLOC_VGPRS)
	s_endpgm
	.section	.rodata,"a",@progbits
	.p2align	6, 0x0
	.amdhsa_kernel _ZN4vllm32paged_attention_v2_reduce_kernelI14__hip_bfloat16Li192ELi128ELi512EEEvPT_PKfS5_PKS2_PKii
		.amdhsa_group_segment_fixed_size 32
		.amdhsa_private_segment_fixed_size 0
		.amdhsa_kernarg_size 304
		.amdhsa_user_sgpr_count 14
		.amdhsa_user_sgpr_dispatch_ptr 0
		.amdhsa_user_sgpr_queue_ptr 0
		.amdhsa_user_sgpr_kernarg_segment_ptr 1
		.amdhsa_user_sgpr_dispatch_id 0
		.amdhsa_user_sgpr_private_segment_size 0
		.amdhsa_wavefront_size32 1
		.amdhsa_uses_dynamic_stack 0
		.amdhsa_enable_private_segment 0
		.amdhsa_system_sgpr_workgroup_id_x 1
		.amdhsa_system_sgpr_workgroup_id_y 1
		.amdhsa_system_sgpr_workgroup_id_z 0
		.amdhsa_system_sgpr_workgroup_info 0
		.amdhsa_system_vgpr_workitem_id 0
		.amdhsa_next_free_vgpr 19
		.amdhsa_next_free_sgpr 29
		.amdhsa_reserve_vcc 1
		.amdhsa_float_round_mode_32 0
		.amdhsa_float_round_mode_16_64 0
		.amdhsa_float_denorm_mode_32 3
		.amdhsa_float_denorm_mode_16_64 3
		.amdhsa_dx10_clamp 1
		.amdhsa_ieee_mode 1
		.amdhsa_fp16_overflow 0
		.amdhsa_workgroup_processor_mode 1
		.amdhsa_memory_ordered 1
		.amdhsa_forward_progress 0
		.amdhsa_shared_vgpr_count 0
		.amdhsa_exception_fp_ieee_invalid_op 0
		.amdhsa_exception_fp_denorm_src 0
		.amdhsa_exception_fp_ieee_div_zero 0
		.amdhsa_exception_fp_ieee_overflow 0
		.amdhsa_exception_fp_ieee_underflow 0
		.amdhsa_exception_fp_ieee_inexact 0
		.amdhsa_exception_int_div_zero 0
	.end_amdhsa_kernel
	.section	.text._ZN4vllm32paged_attention_v2_reduce_kernelI14__hip_bfloat16Li192ELi128ELi512EEEvPT_PKfS5_PKS2_PKii,"axG",@progbits,_ZN4vllm32paged_attention_v2_reduce_kernelI14__hip_bfloat16Li192ELi128ELi512EEEvPT_PKfS5_PKS2_PKii,comdat
.Lfunc_end147:
	.size	_ZN4vllm32paged_attention_v2_reduce_kernelI14__hip_bfloat16Li192ELi128ELi512EEEvPT_PKfS5_PKS2_PKii, .Lfunc_end147-_ZN4vllm32paged_attention_v2_reduce_kernelI14__hip_bfloat16Li192ELi128ELi512EEEvPT_PKfS5_PKS2_PKii
                                        ; -- End function
	.section	.AMDGPU.csdata,"",@progbits
; Kernel info:
; codeLenInByte = 2588
; NumSgprs: 31
; NumVgprs: 19
; ScratchSize: 0
; MemoryBound: 0
; FloatMode: 240
; IeeeMode: 1
; LDSByteSize: 32 bytes/workgroup (compile time only)
; SGPRBlocks: 3
; VGPRBlocks: 2
; NumSGPRsForWavesPerEU: 31
; NumVGPRsForWavesPerEU: 19
; Occupancy: 16
; WaveLimiterHint : 0
; COMPUTE_PGM_RSRC2:SCRATCH_EN: 0
; COMPUTE_PGM_RSRC2:USER_SGPR: 14
; COMPUTE_PGM_RSRC2:TRAP_HANDLER: 0
; COMPUTE_PGM_RSRC2:TGID_X_EN: 1
; COMPUTE_PGM_RSRC2:TGID_Y_EN: 1
; COMPUTE_PGM_RSRC2:TGID_Z_EN: 0
; COMPUTE_PGM_RSRC2:TIDIG_COMP_CNT: 0
	.section	.text._ZN4vllm25paged_attention_v2_kernelI14__hip_bfloat16S1_Li256ELi8ELi128ELNS_18Fp8KVCacheDataTypeE0ELb1ELi512EEEvPfS3_PT_PKS4_PKT0_SA_ifPKiSC_iPKfiiiSE_SE_iiiii,"axG",@progbits,_ZN4vllm25paged_attention_v2_kernelI14__hip_bfloat16S1_Li256ELi8ELi128ELNS_18Fp8KVCacheDataTypeE0ELb1ELi512EEEvPfS3_PT_PKS4_PKT0_SA_ifPKiSC_iPKfiiiSE_SE_iiiii,comdat
	.protected	_ZN4vllm25paged_attention_v2_kernelI14__hip_bfloat16S1_Li256ELi8ELi128ELNS_18Fp8KVCacheDataTypeE0ELb1ELi512EEEvPfS3_PT_PKS4_PKT0_SA_ifPKiSC_iPKfiiiSE_SE_iiiii ; -- Begin function _ZN4vllm25paged_attention_v2_kernelI14__hip_bfloat16S1_Li256ELi8ELi128ELNS_18Fp8KVCacheDataTypeE0ELb1ELi512EEEvPfS3_PT_PKS4_PKT0_SA_ifPKiSC_iPKfiiiSE_SE_iiiii
	.globl	_ZN4vllm25paged_attention_v2_kernelI14__hip_bfloat16S1_Li256ELi8ELi128ELNS_18Fp8KVCacheDataTypeE0ELb1ELi512EEEvPfS3_PT_PKS4_PKT0_SA_ifPKiSC_iPKfiiiSE_SE_iiiii
	.p2align	8
	.type	_ZN4vllm25paged_attention_v2_kernelI14__hip_bfloat16S1_Li256ELi8ELi128ELNS_18Fp8KVCacheDataTypeE0ELb1ELi512EEEvPfS3_PT_PKS4_PKT0_SA_ifPKiSC_iPKfiiiSE_SE_iiiii,@function
_ZN4vllm25paged_attention_v2_kernelI14__hip_bfloat16S1_Li256ELi8ELi128ELNS_18Fp8KVCacheDataTypeE0ELb1ELi512EEEvPfS3_PT_PKS4_PKT0_SA_ifPKiSC_iPKfiiiSE_SE_iiiii: ; @_ZN4vllm25paged_attention_v2_kernelI14__hip_bfloat16S1_Li256ELi8ELi128ELNS_18Fp8KVCacheDataTypeE0ELb1ELi512EEEvPfS3_PT_PKS4_PKT0_SA_ifPKiSC_iPKfiiiSE_SE_iiiii
; %bb.0:
	s_load_b64 s[2:3], s[0:1], 0x40
	s_mov_b32 s12, s15
	s_ashr_i32 s15, s14, 31
	s_delay_alu instid0(SALU_CYCLE_1)
	s_lshl_b64 s[4:5], s[14:15], 2
	s_waitcnt lgkmcnt(0)
	s_add_u32 s2, s2, s4
	s_addc_u32 s3, s3, s5
	s_lshl_b32 s38, s12, 9
	s_load_b32 s15, s[2:3], 0x0
	s_waitcnt lgkmcnt(0)
	s_cmp_ge_i32 s38, s15
	s_cbranch_scc1 .LBB148_388
; %bb.1:
	s_mov_b32 s24, s13
	s_clause 0x1
	s_load_b32 s13, s[0:1], 0x90
	s_load_b64 s[36:37], s[0:1], 0x30
	s_mov_b32 s40, 0
	s_waitcnt lgkmcnt(0)
	s_abs_i32 s5, s13
	s_abs_i32 s2, s36
	s_delay_alu instid0(SALU_CYCLE_1) | instskip(SKIP_1) | instid1(VALU_DEP_1)
	v_cvt_f32_u32_e32 v1, s2
	s_sub_i32 s4, 0, s2
	v_rcp_iflag_f32_e32 v1, v1
	s_waitcnt_depctr 0xfff
	v_mul_f32_e32 v1, 0x4f7ffffe, v1
	s_delay_alu instid0(VALU_DEP_1) | instskip(NEXT) | instid1(VALU_DEP_1)
	v_cvt_u32_f32_e32 v1, v1
	v_readfirstlane_b32 s3, v1
	s_delay_alu instid0(VALU_DEP_1) | instskip(NEXT) | instid1(SALU_CYCLE_1)
	s_mul_i32 s4, s4, s3
	s_mul_hi_u32 s4, s3, s4
	s_delay_alu instid0(SALU_CYCLE_1) | instskip(SKIP_4) | instid1(SALU_CYCLE_1)
	s_add_i32 s3, s3, s4
	s_xor_b32 s4, s13, s36
	s_mul_hi_u32 s3, s5, s3
	s_ashr_i32 s4, s4, 31
	s_mul_i32 s6, s3, s2
	s_sub_i32 s5, s5, s6
	s_add_i32 s6, s3, 1
	s_sub_i32 s7, s5, s2
	s_cmp_ge_u32 s5, s2
	s_cselect_b32 s3, s6, s3
	s_cselect_b32 s5, s7, s5
	s_add_i32 s6, s3, 1
	s_cmp_ge_u32 s5, s2
	s_cselect_b32 s2, s6, s3
	s_abs_i32 s17, s24
	s_xor_b32 s2, s2, s4
	s_delay_alu instid0(SALU_CYCLE_1) | instskip(SKIP_2) | instid1(SALU_CYCLE_1)
	s_sub_i32 s8, s2, s4
	s_load_b64 s[2:3], s[0:1], 0x50
	s_abs_i32 s16, s8
	v_cvt_f32_u32_e32 v1, s16
	s_sub_i32 s5, 0, s16
	s_delay_alu instid0(VALU_DEP_1) | instskip(SKIP_2) | instid1(VALU_DEP_1)
	v_rcp_iflag_f32_e32 v1, v1
	s_waitcnt_depctr 0xfff
	v_mul_f32_e32 v1, 0x4f7ffffe, v1
	v_cvt_u32_f32_e32 v1, v1
	s_delay_alu instid0(VALU_DEP_1) | instskip(NEXT) | instid1(VALU_DEP_1)
	v_readfirstlane_b32 s4, v1
	s_mul_i32 s5, s5, s4
	s_delay_alu instid0(SALU_CYCLE_1) | instskip(NEXT) | instid1(SALU_CYCLE_1)
	s_mul_hi_u32 s5, s4, s5
	s_add_i32 s4, s4, s5
	s_waitcnt lgkmcnt(0)
	s_cmp_eq_u64 s[2:3], 0
	s_mul_hi_u32 s18, s17, s4
	s_cbranch_scc1 .LBB148_3
; %bb.2:
	s_ashr_i32 s25, s24, 31
	s_delay_alu instid0(SALU_CYCLE_1) | instskip(NEXT) | instid1(SALU_CYCLE_1)
	s_lshl_b64 s[4:5], s[24:25], 2
	s_add_u32 s2, s2, s4
	s_addc_u32 s3, s3, s5
	s_load_b32 s40, s[2:3], 0x0
.LBB148_3:
	s_load_b128 s[4:7], s[0:1], 0x58
	v_and_b32_e32 v1, 3, v0
	v_lshlrev_b32_e32 v25, 2, v0
	s_ashr_i32 s2, s24, 31
	s_ashr_i32 s3, s8, 31
	s_lshl_b32 s20, s24, 8
	s_waitcnt lgkmcnt(0)
	s_mov_b32 s7, exec_lo
	v_cmpx_gt_u32_e32 0x80, v0
	s_cbranch_execz .LBB148_5
; %bb.4:
	s_load_b64 s[8:9], s[0:1], 0x18
	s_mul_i32 s10, s14, s4
	v_and_b32_e32 v3, 0x3fc, v0
	s_ashr_i32 s11, s10, 31
	s_delay_alu instid0(SALU_CYCLE_1) | instskip(NEXT) | instid1(VALU_DEP_1)
	s_lshl_b64 s[10:11], s[10:11], 1
	v_lshl_add_u32 v3, v1, 7, v3
	s_waitcnt lgkmcnt(0)
	s_add_u32 s4, s8, s10
	s_addc_u32 s10, s9, s11
	s_ashr_i32 s21, s20, 31
	s_delay_alu instid0(SALU_CYCLE_1) | instskip(NEXT) | instid1(SALU_CYCLE_1)
	s_lshl_b64 s[8:9], s[20:21], 1
	s_add_u32 s8, s4, s8
	s_addc_u32 s9, s10, s9
	global_load_b32 v2, v25, s[8:9]
	s_waitcnt vmcnt(0)
	ds_store_b32 v3, v2
.LBB148_5:
	s_or_b32 exec_lo, exec_lo, s7
	s_load_b128 s[8:11], s[0:1], 0x78
	s_mul_i32 s4, s18, s16
	s_xor_b32 s2, s2, s3
	s_sub_i32 s3, s17, s4
	s_add_i32 s4, s18, 1
	s_sub_i32 s7, s3, s16
	s_cmp_ge_u32 s3, s16
	s_mov_b32 s17, -1
	s_cselect_b32 s4, s4, s18
	s_cselect_b32 s3, s7, s3
	s_add_i32 s7, s4, 1
	s_cmp_ge_u32 s3, s16
	s_waitcnt lgkmcnt(0)
	s_cselect_b32 s3, s7, s4
	s_load_b32 s4, s[0:1], 0x88
	s_xor_b32 s3, s3, s2
	s_add_i32 s16, s15, -1
	s_sub_i32 s3, s3, s2
	s_abs_i32 s7, s16
	s_waitcnt lgkmcnt(0)
	s_barrier
	s_abs_i32 s21, s11
	buffer_gl0_inv
	v_cvt_f32_u32_e32 v2, s21
	s_sub_i32 s2, 0, s21
                                        ; implicit-def: $sgpr33
	s_delay_alu instid0(VALU_DEP_1) | instskip(SKIP_2) | instid1(VALU_DEP_1)
	v_rcp_iflag_f32_e32 v2, v2
	s_waitcnt_depctr 0xfff
	v_mul_f32_e32 v2, 0x4f7ffffe, v2
	v_cvt_u32_f32_e32 v2, v2
	s_delay_alu instid0(VALU_DEP_1) | instskip(NEXT) | instid1(VALU_DEP_1)
	v_readfirstlane_b32 s25, v2
	s_mul_i32 s2, s2, s25
	s_delay_alu instid0(SALU_CYCLE_1) | instskip(NEXT) | instid1(SALU_CYCLE_1)
	s_mul_hi_u32 s2, s25, s2
	s_add_i32 s25, s25, s2
	s_cmp_lt_i32 s4, 0
	s_mul_hi_u32 s2, s7, s25
	s_cbranch_scc0 .LBB148_7
; %bb.6:
	s_mul_i32 s17, s8, s36
	s_delay_alu instid0(SALU_CYCLE_1) | instskip(NEXT) | instid1(SALU_CYCLE_1)
	s_add_i32 s17, s3, s17
	s_mul_i32 s17, s17, s4
	s_delay_alu instid0(SALU_CYCLE_1)
	s_sub_i32 s33, 1, s17
	s_mov_b32 s17, 0
.LBB148_7:
	s_load_b64 s[26:27], s[0:1], 0x38
	s_ashr_i32 s28, s16, 31
	s_and_not1_b32 vcc_lo, exec_lo, s17
	s_ashr_i32 s11, s11, 31
	s_cbranch_vccnz .LBB148_9
; %bb.8:
	s_mul_i32 s8, s13, s8
	s_delay_alu instid0(SALU_CYCLE_1) | instskip(NEXT) | instid1(SALU_CYCLE_1)
	s_add_i32 s8, s8, s24
	s_mul_i32 s4, s8, s4
	s_delay_alu instid0(SALU_CYCLE_1)
	s_add_i32 s33, s4, 1
.LBB148_9:
	s_clause 0x4
	s_load_b32 s8, s[0:1], 0x48
	s_load_b64 s[30:31], s[0:1], 0x28
	s_load_b32 s4, s[0:1], 0x98
	s_load_b128 s[16:19], s[0:1], 0x0
	s_load_b64 s[22:23], s[0:1], 0x10
	s_xor_b32 s34, s28, s11
	s_mul_i32 s28, s2, s21
	s_add_i32 s35, s2, 1
	s_sub_i32 s7, s7, s28
	v_lshrrev_b32_e32 v26, 5, v0
	v_mov_b32_e32 v29, 0xff7fffff
	v_mbcnt_lo_u32_b32 v28, -1, 0
	s_delay_alu instid0(VALU_DEP_3)
	v_lshl_add_u32 v27, v26, 3, s38
	s_waitcnt lgkmcnt(0)
	s_mul_i32 s28, s14, s8
	s_sub_i32 s8, s7, s21
	s_ashr_i32 s29, s28, 31
	s_cmp_ge_u32 s7, s21
	s_cselect_b32 s2, s35, s2
	s_cselect_b32 s7, s8, s7
	s_add_i32 s8, s2, 1
	s_cmp_ge_u32 s7, s21
	s_cselect_b32 s2, s8, s2
	s_add_i32 s8, s15, 7
	s_lshl_b32 s7, s12, 6
	s_ashr_i32 s35, s8, 31
	v_or_b32_e32 v21, s7, v26
	s_lshr_b32 s35, s35, 29
	s_xor_b32 s39, s2, s34
	s_add_i32 s8, s8, s35
	s_add_i32 s35, s7, 64
	s_ashr_i32 s36, s8, 3
	v_ashrrev_i32_e32 v22, 31, v21
	s_min_i32 s8, s35, s36
	s_sub_i32 s39, s39, s34
	v_cmp_gt_i32_e64 s2, s8, v21
	s_mul_i32 s34, s3, s6
	s_delay_alu instid0(VALU_DEP_1)
	s_and_saveexec_b32 s6, s2
	s_cbranch_execz .LBB148_19
; %bb.10:
	s_load_b64 s[0:1], s[0:1], 0x20
	s_ashr_i32 s35, s34, 31
	v_bfe_u32 v30, v0, 2, 3
	s_lshl_b64 s[42:43], s[34:35], 1
	s_sub_i32 s35, s39, s9
	v_cmp_eq_u32_e32 vcc_lo, 0, v1
	v_lshlrev_b32_e32 v31, 7, v1
	v_lshlrev_b32_e32 v5, 2, v30
	v_subrev_nc_u32_e32 v6, s15, v30
	v_lshlrev_b32_e32 v7, 4, v30
	v_dual_mov_b32 v33, 0xff7fffff :: v_dual_and_b32 v4, 12, v25
	s_delay_alu instid0(VALU_DEP_4)
	v_lshl_or_b32 v5, v26, 5, v5
	v_lshl_add_u32 v32, v26, 3, s38
	v_xor_b32_e32 v34, 2, v28
	v_xor_b32_e32 v35, 1, v28
	v_mov_b32_e32 v41, v21
	v_add_nc_u32_e32 v37, 0x220, v5
	v_add_nc_u32_e32 v36, 1, v6
	s_waitcnt lgkmcnt(0)
	s_add_u32 s3, s0, s42
	s_addc_u32 s1, s1, s43
	s_abs_i32 s41, s10
	v_add_co_u32 v6, s3, s3, v7
	v_cvt_f32_u32_e32 v2, s41
	s_sub_i32 s42, 0, s41
	v_cmp_neq_f32_e64 s0, s40, 0
	v_add_co_ci_u32_e64 v7, null, s1, 0, s3
	s_delay_alu instid0(VALU_DEP_3) | instskip(SKIP_3) | instid1(VALU_DEP_1)
	v_rcp_iflag_f32_e32 v3, v2
	v_lshlrev_b64 v[1:2], 2, v[21:22]
	s_waitcnt_depctr 0xfff
	v_mul_f32_e32 v3, 0x4f7ffffe, v3
	v_cvt_u32_f32_e32 v3, v3
	s_delay_alu instid0(VALU_DEP_1) | instskip(SKIP_1) | instid1(SALU_CYCLE_1)
	v_mul_lo_u32 v5, s42, v3
	s_lshl_b64 s[42:43], s[28:29], 2
	s_add_u32 s1, s26, s42
	s_addc_u32 s3, s27, s43
	v_add_co_u32 v23, s1, s1, v1
	s_delay_alu instid0(VALU_DEP_1) | instskip(NEXT) | instid1(VALU_DEP_3)
	v_add_co_ci_u32_e64 v24, s1, s3, v2, s1
	v_mul_hi_u32 v5, v3, v5
	v_add_co_u32 v38, s1, v6, v4
	v_mov_b32_e32 v29, 0xff7fffff
	v_add_co_ci_u32_e64 v39, s1, 0, v7, s1
	s_mov_b32 s42, 0
	s_mov_b32 s43, s5
	s_delay_alu instid0(VALU_DEP_4)
	v_add_nc_u32_e32 v40, v3, v5
	s_branch .LBB148_13
.LBB148_11:                             ;   in Loop: Header=BB148_13 Depth=1
	s_or_b32 exec_lo, exec_lo, s44
.LBB148_12:                             ;   in Loop: Header=BB148_13 Depth=1
	s_delay_alu instid0(SALU_CYCLE_1) | instskip(SKIP_2) | instid1(VALU_DEP_1)
	s_or_b32 exec_lo, exec_lo, s3
	v_add_nc_u32_e32 v41, 4, v41
	v_add_co_u32 v23, s3, v23, 16
	v_add_co_ci_u32_e64 v24, s3, 0, v24, s3
	s_delay_alu instid0(VALU_DEP_3) | instskip(SKIP_2) | instid1(VALU_DEP_3)
	v_cmp_le_i32_e64 s1, s8, v41
	v_add_nc_u32_e32 v32, 32, v32
	v_add_nc_u32_e32 v37, 0x80, v37
	s_or_b32 s42, s1, s42
	s_delay_alu instid0(SALU_CYCLE_1)
	s_and_not1_b32 exec_lo, exec_lo, s42
	s_cbranch_execz .LBB148_18
.LBB148_13:                             ; =>This Inner Loop Header: Depth=1
	v_sub_nc_u32_e32 v1, 0, v32
	s_delay_alu instid0(VALU_DEP_1) | instskip(SKIP_1) | instid1(VALU_DEP_1)
	v_max_i32_e32 v1, v32, v1
	s_waitcnt lgkmcnt(0)
	v_mul_hi_u32 v2, v1, s25
	s_delay_alu instid0(VALU_DEP_1) | instskip(NEXT) | instid1(VALU_DEP_1)
	v_mul_lo_u32 v3, v2, s21
	v_sub_nc_u32_e32 v1, v1, v3
	v_add_nc_u32_e32 v3, 1, v2
	s_delay_alu instid0(VALU_DEP_2) | instskip(SKIP_1) | instid1(VALU_DEP_1)
	v_subrev_nc_u32_e32 v4, s21, v1
	v_cmp_le_u32_e64 s1, s21, v1
	v_cndmask_b32_e64 v2, v2, v3, s1
	s_delay_alu instid0(VALU_DEP_3) | instskip(SKIP_1) | instid1(VALU_DEP_3)
	v_cndmask_b32_e64 v1, v1, v4, s1
	v_ashrrev_i32_e32 v3, 31, v32
	v_add_nc_u32_e32 v4, 1, v2
	s_delay_alu instid0(VALU_DEP_3) | instskip(NEXT) | instid1(VALU_DEP_3)
	v_cmp_le_u32_e64 s1, s21, v1
	v_xor_b32_e32 v3, s11, v3
	s_delay_alu instid0(VALU_DEP_2) | instskip(NEXT) | instid1(VALU_DEP_1)
	v_cndmask_b32_e64 v1, v2, v4, s1
	v_xor_b32_e32 v1, v1, v3
	s_delay_alu instid0(VALU_DEP_1) | instskip(NEXT) | instid1(VALU_DEP_1)
	v_sub_nc_u32_e32 v1, v1, v3
	v_add_nc_u32_e32 v2, s33, v1
	v_cmp_ge_i32_e64 s3, s35, v1
	s_delay_alu instid0(VALU_DEP_2) | instskip(NEXT) | instid1(VALU_DEP_1)
	v_sub_nc_u32_e32 v3, 0, v2
	v_max_i32_e32 v3, v2, v3
	v_ashrrev_i32_e32 v2, 31, v2
	s_delay_alu instid0(VALU_DEP_2) | instskip(NEXT) | instid1(VALU_DEP_1)
	v_mul_hi_u32 v4, v3, v40
	v_mul_lo_u32 v4, v4, s41
	s_delay_alu instid0(VALU_DEP_1) | instskip(NEXT) | instid1(VALU_DEP_1)
	v_sub_nc_u32_e32 v3, v3, v4
	v_subrev_nc_u32_e32 v4, s41, v3
	v_cmp_le_u32_e64 s1, s41, v3
	s_delay_alu instid0(VALU_DEP_1) | instskip(NEXT) | instid1(VALU_DEP_1)
	v_cndmask_b32_e64 v3, v3, v4, s1
	v_subrev_nc_u32_e32 v4, s41, v3
	v_cmp_le_u32_e64 s1, s41, v3
	s_delay_alu instid0(VALU_DEP_1) | instskip(NEXT) | instid1(VALU_DEP_1)
	v_cndmask_b32_e64 v3, v3, v4, s1
	v_xor_b32_e32 v3, v3, v2
	s_delay_alu instid0(VALU_DEP_1) | instskip(NEXT) | instid1(VALU_DEP_1)
	v_sub_nc_u32_e32 v2, v3, v2
	v_cmp_ne_u32_e64 s1, 0, v2
	s_delay_alu instid0(VALU_DEP_1) | instskip(NEXT) | instid1(SALU_CYCLE_1)
	s_and_b32 s1, s1, s3
	s_and_b32 s44, vcc_lo, s1
	s_delay_alu instid0(SALU_CYCLE_1)
	s_and_saveexec_b32 s3, s44
	s_cbranch_execz .LBB148_15
; %bb.14:                               ;   in Loop: Header=BB148_13 Depth=1
	ds_store_b32 v37, v33
.LBB148_15:                             ;   in Loop: Header=BB148_13 Depth=1
	s_or_b32 exec_lo, exec_lo, s3
	s_xor_b32 s1, s1, -1
	s_delay_alu instid0(SALU_CYCLE_1)
	s_and_saveexec_b32 s3, s1
	s_cbranch_execz .LBB148_12
; %bb.16:                               ;   in Loop: Header=BB148_13 Depth=1
	global_load_b32 v3, v[23:24], off
	s_waitcnt vmcnt(0)
	v_mad_i64_i32 v[1:2], null, v3, s43, 0
	s_delay_alu instid0(VALU_DEP_1) | instskip(NEXT) | instid1(VALU_DEP_1)
	v_lshlrev_b64 v[1:2], 1, v[1:2]
	v_add_co_u32 v1, s1, v38, v1
	s_delay_alu instid0(VALU_DEP_1)
	v_add_co_ci_u32_e64 v2, s1, v39, v2, s1
	v_cmp_gt_i32_e64 s1, 32, v34
	s_clause 0x1f
	global_load_b32 v72, v[1:2], off offset:128
	global_load_b32 v71, v[1:2], off offset:256
	;; [unrolled: 1-line block ×7, first 2 shown]
	global_load_b32 v73, v[1:2], off
	global_load_b32 v65, v[1:2], off offset:1024
	global_load_b32 v64, v[1:2], off offset:1152
	;; [unrolled: 1-line block ×24, first 2 shown]
	ds_load_b128 v[74:77], v31
	ds_load_b128 v[78:81], v31 offset:16
	ds_load_b128 v[82:85], v31 offset:32
	;; [unrolled: 1-line block ×7, first 2 shown]
	s_waitcnt vmcnt(31)
	v_lshlrev_b32_e32 v107, 16, v72
	v_and_b32_e32 v72, 0xffff0000, v72
	s_waitcnt lgkmcnt(7)
	v_lshlrev_b32_e32 v87, 16, v75
	v_and_b32_e32 v75, 0xffff0000, v75
	s_waitcnt vmcnt(24)
	s_delay_alu instid0(VALU_DEP_1) | instskip(NEXT) | instid1(VALU_DEP_3)
	v_dual_mul_f32 v72, v75, v72 :: v_dual_lshlrev_b32 v109, 16, v73
	v_dual_mul_f32 v87, v87, v107 :: v_dual_lshlrev_b32 v86, 16, v74
	v_lshlrev_b32_e32 v88, 16, v76
	v_and_b32_e32 v74, 0xffff0000, v74
	v_and_b32_e32 v73, 0xffff0000, v73
	v_lshlrev_b32_e32 v107, 16, v71
	s_waitcnt lgkmcnt(6)
	v_dual_fmac_f32 v87, v86, v109 :: v_dual_lshlrev_b32 v90, 16, v78
	s_delay_alu instid0(VALU_DEP_3)
	v_dual_fmac_f32 v72, v74, v73 :: v_dual_lshlrev_b32 v91, 16, v79
	v_and_b32_e32 v76, 0xffff0000, v76
	v_and_b32_e32 v71, 0xffff0000, v71
	v_lshlrev_b32_e32 v89, 16, v77
	v_dual_fmac_f32 v87, v88, v107 :: v_dual_lshlrev_b32 v74, 16, v70
	v_and_b32_e32 v70, 0xffff0000, v70
	s_delay_alu instid0(VALU_DEP_4)
	v_fmac_f32_e32 v72, v76, v71
	v_lshlrev_b32_e32 v92, 16, v80
	v_and_b32_e32 v80, 0xffff0000, v80
	v_and_b32_e32 v77, 0xffff0000, v77
	v_dual_fmac_f32 v87, v89, v74 :: v_dual_lshlrev_b32 v76, 16, v69
	v_lshlrev_b32_e32 v93, 16, v81
	s_waitcnt lgkmcnt(5)
	v_lshlrev_b32_e32 v94, 16, v82
	v_dual_fmac_f32 v72, v77, v70 :: v_dual_and_b32 v69, 0xffff0000, v69
	v_and_b32_e32 v78, 0xffff0000, v78
	v_lshlrev_b32_e32 v70, 16, v68
	v_fmac_f32_e32 v87, v90, v76
	v_lshlrev_b32_e32 v95, 16, v83
	v_lshlrev_b32_e32 v96, 16, v84
	v_and_b32_e32 v68, 0xffff0000, v68
	v_dual_fmac_f32 v72, v78, v69 :: v_dual_lshlrev_b32 v69, 16, v67
	v_fmac_f32_e32 v87, v91, v70
	v_and_b32_e32 v82, 0xffff0000, v82
	v_and_b32_e32 v79, 0xffff0000, v79
	v_lshlrev_b32_e32 v97, 16, v85
	v_and_b32_e32 v67, 0xffff0000, v67
	v_fmac_f32_e32 v87, v92, v69
	s_delay_alu instid0(VALU_DEP_4)
	v_dual_fmac_f32 v72, v79, v68 :: v_dual_and_b32 v85, 0xffff0000, v85
	v_lshlrev_b32_e32 v68, 16, v66
	v_and_b32_e32 v83, 0xffff0000, v83
	v_and_b32_e32 v81, 0xffff0000, v81
	;; [unrolled: 1-line block ×3, first 2 shown]
	s_waitcnt vmcnt(23)
	v_dual_fmac_f32 v72, v80, v67 :: v_dual_lshlrev_b32 v67, 16, v65
	v_fmac_f32_e32 v87, v93, v68
	s_delay_alu instid0(VALU_DEP_2) | instskip(SKIP_1) | instid1(VALU_DEP_2)
	v_dual_fmac_f32 v72, v81, v66 :: v_dual_and_b32 v65, 0xffff0000, v65
	s_waitcnt vmcnt(22)
	v_dual_fmac_f32 v87, v94, v67 :: v_dual_lshlrev_b32 v66, 16, v64
	v_and_b32_e32 v64, 0xffff0000, v64
	s_waitcnt vmcnt(21)
	v_dual_fmac_f32 v72, v82, v65 :: v_dual_lshlrev_b32 v65, 16, v63
	s_delay_alu instid0(VALU_DEP_3) | instskip(NEXT) | instid1(VALU_DEP_2)
	v_fmac_f32_e32 v87, v95, v66
	v_dual_fmac_f32 v72, v83, v64 :: v_dual_and_b32 v63, 0xffff0000, v63
	s_waitcnt vmcnt(20)
	s_delay_alu instid0(VALU_DEP_2)
	v_dual_fmac_f32 v87, v96, v65 :: v_dual_lshlrev_b32 v64, 16, v62
	s_waitcnt lgkmcnt(4)
	v_lshlrev_b32_e32 v98, 16, v13
	v_and_b32_e32 v62, 0xffff0000, v62
	v_and_b32_e32 v13, 0xffff0000, v13
	v_fmac_f32_e32 v87, v97, v64
	v_and_b32_e32 v84, 0xffff0000, v84
	s_waitcnt vmcnt(19)
	s_delay_alu instid0(VALU_DEP_1) | instskip(NEXT) | instid1(VALU_DEP_1)
	v_dual_fmac_f32 v72, v84, v63 :: v_dual_lshlrev_b32 v63, 16, v61
	v_dual_fmac_f32 v72, v85, v62 :: v_dual_and_b32 v61, 0xffff0000, v61
	s_delay_alu instid0(VALU_DEP_2)
	v_fmac_f32_e32 v87, v98, v63
	v_lshlrev_b32_e32 v99, 16, v14
	v_and_b32_e32 v14, 0xffff0000, v14
	s_waitcnt vmcnt(18)
	v_lshlrev_b32_e32 v62, 16, v60
	v_and_b32_e32 v60, 0xffff0000, v60
	v_fmac_f32_e32 v72, v13, v61
	v_lshlrev_b32_e32 v100, 16, v15
	s_waitcnt lgkmcnt(3)
	v_lshlrev_b32_e32 v103, 16, v10
	v_and_b32_e32 v15, 0xffff0000, v15
	s_waitcnt vmcnt(17)
	v_lshlrev_b32_e32 v13, 16, v59
	v_and_b32_e32 v59, 0xffff0000, v59
	v_dual_fmac_f32 v87, v99, v62 :: v_dual_fmac_f32 v72, v14, v60
	v_lshlrev_b32_e32 v101, 16, v16
	v_lshlrev_b32_e32 v104, 16, v11
	v_and_b32_e32 v16, 0xffff0000, v16
	s_waitcnt vmcnt(16)
	v_lshlrev_b32_e32 v14, 16, v58
	v_dual_fmac_f32 v87, v100, v13 :: v_dual_and_b32 v58, 0xffff0000, v58
	v_fmac_f32_e32 v72, v15, v59
	v_lshlrev_b32_e32 v102, 16, v9
	v_lshlrev_b32_e32 v105, 16, v12
	v_and_b32_e32 v9, 0xffff0000, v9
	s_waitcnt vmcnt(15)
	v_lshlrev_b32_e32 v13, 16, v57
	v_and_b32_e32 v15, 0xffff0000, v57
	v_fmac_f32_e32 v87, v101, v14
	v_fmac_f32_e32 v72, v16, v58
	v_and_b32_e32 v10, 0xffff0000, v10
	s_waitcnt vmcnt(14)
	v_lshlrev_b32_e32 v14, 16, v56
	v_dual_fmac_f32 v87, v102, v13 :: v_dual_and_b32 v16, 0xffff0000, v56
	v_fmac_f32_e32 v72, v9, v15
	s_waitcnt lgkmcnt(2)
	v_lshlrev_b32_e32 v106, 16, v5
	v_and_b32_e32 v11, 0xffff0000, v11
	s_waitcnt vmcnt(13)
	v_lshlrev_b32_e32 v13, 16, v55
	v_fmac_f32_e32 v87, v103, v14
	v_dual_fmac_f32 v72, v10, v16 :: v_dual_and_b32 v15, 0xffff0000, v55
	v_lshlrev_b32_e32 v108, 16, v6
	v_and_b32_e32 v12, 0xffff0000, v12
	s_waitcnt vmcnt(12)
	v_lshlrev_b32_e32 v10, 16, v54
	v_dual_fmac_f32 v87, v104, v13 :: v_dual_and_b32 v14, 0xffff0000, v54
	v_fmac_f32_e32 v72, v11, v15
	v_lshlrev_b32_e32 v75, 16, v7
	v_and_b32_e32 v5, 0xffff0000, v5
	s_waitcnt vmcnt(11)
	v_lshlrev_b32_e32 v13, 16, v53
	v_dual_fmac_f32 v72, v12, v14 :: v_dual_and_b32 v15, 0xffff0000, v53
	v_fmac_f32_e32 v87, v105, v10
	v_lshlrev_b32_e32 v73, 16, v8
	v_and_b32_e32 v6, 0xffff0000, v6
	s_waitcnt vmcnt(10)
	v_lshlrev_b32_e32 v10, 16, v52
	v_fmac_f32_e32 v72, v5, v15
	v_dual_fmac_f32 v87, v106, v13 :: v_dual_and_b32 v12, 0xffff0000, v52
	v_and_b32_e32 v7, 0xffff0000, v7
	s_waitcnt vmcnt(9)
	v_lshlrev_b32_e32 v13, 16, v51
	v_and_b32_e32 v14, 0xffff0000, v51
	v_dual_fmac_f32 v72, v6, v12 :: v_dual_fmac_f32 v87, v108, v10
	v_and_b32_e32 v8, 0xffff0000, v8
	s_waitcnt vmcnt(8)
	v_lshlrev_b32_e32 v6, 16, v50
	v_and_b32_e32 v10, 0xffff0000, v50
	v_fmac_f32_e32 v72, v7, v14
	v_fmac_f32_e32 v87, v75, v13
	s_waitcnt lgkmcnt(1)
	v_lshlrev_b32_e32 v71, 16, v1
	v_and_b32_e32 v1, 0xffff0000, v1
	s_waitcnt vmcnt(7)
	v_lshlrev_b32_e32 v12, 16, v49
	v_dual_fmac_f32 v72, v8, v10 :: v_dual_and_b32 v13, 0xffff0000, v49
	v_fmac_f32_e32 v87, v73, v6
	v_lshlrev_b32_e32 v9, 16, v2
	v_and_b32_e32 v2, 0xffff0000, v2
	s_waitcnt vmcnt(6)
	v_lshlrev_b32_e32 v8, 16, v48
	v_and_b32_e32 v10, 0xffff0000, v48
	v_dual_fmac_f32 v87, v71, v12 :: v_dual_fmac_f32 v72, v1, v13
	v_lshlrev_b32_e32 v11, 16, v3
	v_and_b32_e32 v3, 0xffff0000, v3
	s_waitcnt vmcnt(5)
	v_lshlrev_b32_e32 v12, 16, v47
	v_and_b32_e32 v13, 0xffff0000, v47
	v_dual_fmac_f32 v87, v8, v9 :: v_dual_fmac_f32 v72, v10, v2
	v_lshlrev_b32_e32 v5, 16, v4
	v_and_b32_e32 v4, 0xffff0000, v4
	s_waitcnt vmcnt(4)
	v_lshlrev_b32_e32 v8, 16, v46
	v_and_b32_e32 v9, 0xffff0000, v46
	v_fmac_f32_e32 v87, v12, v11
	s_waitcnt lgkmcnt(0)
	v_dual_fmac_f32 v72, v13, v3 :: v_dual_lshlrev_b32 v7, 16, v17
	v_and_b32_e32 v6, 0xffff0000, v17
	s_waitcnt vmcnt(3)
	v_lshlrev_b32_e32 v10, 16, v45
	v_and_b32_e32 v11, 0xffff0000, v45
	v_dual_fmac_f32 v87, v8, v5 :: v_dual_fmac_f32 v72, v9, v4
	v_lshlrev_b32_e32 v1, 16, v18
	v_and_b32_e32 v2, 0xffff0000, v18
	s_waitcnt vmcnt(2)
	v_lshlrev_b32_e32 v5, 16, v44
	v_dual_fmac_f32 v87, v10, v7 :: v_dual_and_b32 v8, 0xffff0000, v44
	v_dual_fmac_f32 v72, v11, v6 :: v_dual_lshlrev_b32 v3, 16, v19
	v_and_b32_e32 v4, 0xffff0000, v19
	s_waitcnt vmcnt(1)
	v_lshlrev_b32_e32 v7, 16, v43
	v_and_b32_e32 v9, 0xffff0000, v43
	v_dual_fmac_f32 v87, v5, v1 :: v_dual_fmac_f32 v72, v8, v2
	v_lshlrev_b32_e32 v6, 16, v20
	v_and_b32_e32 v1, 0xffff0000, v20
	s_waitcnt vmcnt(0)
	v_lshlrev_b32_e32 v2, 16, v42
	v_and_b32_e32 v5, 0xffff0000, v42
	v_dual_fmac_f32 v87, v7, v3 :: v_dual_fmac_f32 v72, v9, v4
	v_cndmask_b32_e64 v3, v28, v34, s1
	v_cmp_gt_i32_e64 s1, 32, v35
	s_delay_alu instid0(VALU_DEP_3) | instskip(NEXT) | instid1(VALU_DEP_3)
	v_dual_fmac_f32 v87, v2, v6 :: v_dual_fmac_f32 v72, v5, v1
	v_lshlrev_b32_e32 v1, 2, v3
	s_delay_alu instid0(VALU_DEP_3) | instskip(NEXT) | instid1(VALU_DEP_1)
	v_cndmask_b32_e64 v3, v28, v35, s1
	v_dual_add_f32 v2, v87, v72 :: v_dual_lshlrev_b32 v3, 2, v3
	ds_bpermute_b32 v1, v1, v2
	s_waitcnt lgkmcnt(0)
	v_add_f32_e32 v1, v2, v1
	ds_bpermute_b32 v2, v3, v1
	s_and_saveexec_b32 s44, vcc_lo
	s_cbranch_execz .LBB148_11
; %bb.17:                               ;   in Loop: Header=BB148_13 Depth=1
	s_waitcnt lgkmcnt(0)
	v_add_f32_e32 v1, v1, v2
	v_add_nc_u32_e32 v3, v36, v32
	s_delay_alu instid0(VALU_DEP_1) | instskip(NEXT) | instid1(VALU_DEP_1)
	v_cvt_f32_i32_e32 v3, v3
	v_mul_f32_e32 v3, s40, v3
	s_delay_alu instid0(VALU_DEP_1) | instskip(SKIP_1) | instid1(VALU_DEP_2)
	v_cndmask_b32_e64 v2, 0, v3, s0
	v_max_f32_e32 v3, v29, v29
	v_dual_fmac_f32 v2, s37, v1 :: v_dual_add_nc_u32 v1, v30, v32
	s_delay_alu instid0(VALU_DEP_1) | instskip(NEXT) | instid1(VALU_DEP_2)
	v_max_f32_e32 v3, v3, v2
	v_cmp_gt_i32_e64 s1, s15, v1
	s_delay_alu instid0(VALU_DEP_1) | instskip(NEXT) | instid1(VALU_DEP_3)
	v_cndmask_b32_e64 v1, 0, v2, s1
	v_cndmask_b32_e64 v29, v29, v3, s1
	ds_store_b32 v37, v1
	s_branch .LBB148_11
.LBB148_18:
	s_or_b32 exec_lo, exec_lo, s42
.LBB148_19:
	s_delay_alu instid0(SALU_CYCLE_1) | instskip(SKIP_4) | instid1(VALU_DEP_4)
	s_or_b32 exec_lo, exec_lo, s6
	v_xor_b32_e32 v1, 16, v28
	v_xor_b32_e32 v3, 8, v28
	v_max_f32_e32 v5, v29, v29
	v_and_b32_e32 v13, 31, v0
	v_cmp_gt_i32_e32 vcc_lo, 32, v1
	v_cndmask_b32_e32 v1, v28, v1, vcc_lo
	v_cmp_gt_i32_e32 vcc_lo, 32, v3
	v_cndmask_b32_e32 v3, v28, v3, vcc_lo
	s_delay_alu instid0(VALU_DEP_1)
	v_lshlrev_b32_e32 v4, 2, v3
	s_waitcnt lgkmcnt(0)
	v_lshlrev_b32_e32 v2, 2, v1
	ds_bpermute_b32 v1, v2, v29
	s_waitcnt lgkmcnt(0)
	v_max_f32_e32 v1, v1, v1
	s_delay_alu instid0(VALU_DEP_1)
	v_max_f32_e32 v1, v5, v1
	v_xor_b32_e32 v5, 4, v28
	ds_bpermute_b32 v3, v4, v1
	v_cmp_gt_i32_e32 vcc_lo, 32, v5
	v_cndmask_b32_e32 v5, v28, v5, vcc_lo
	v_cmp_eq_u32_e32 vcc_lo, 0, v13
	s_delay_alu instid0(VALU_DEP_2) | instskip(SKIP_3) | instid1(VALU_DEP_1)
	v_lshlrev_b32_e32 v7, 2, v5
	v_lshlrev_b32_e32 v5, 2, v26
	s_waitcnt lgkmcnt(0)
	v_max_f32_e32 v3, v3, v3
	v_max_f32_e32 v1, v1, v3
	ds_bpermute_b32 v3, v7, v1
	s_and_saveexec_b32 s0, vcc_lo
	s_cbranch_execz .LBB148_21
; %bb.20:
	s_waitcnt lgkmcnt(0)
	v_max_f32_e32 v3, v3, v3
	v_max_f32_e32 v1, v1, v1
	s_delay_alu instid0(VALU_DEP_1)
	v_max_f32_e32 v1, v1, v3
	ds_store_b32 v5, v1 offset:512
.LBB148_21:
	s_or_b32 exec_lo, exec_lo, s0
	v_cmp_gt_u32_e64 s0, 4, v13
	v_dual_mov_b32 v1, 0xff7fffff :: v_dual_lshlrev_b32 v6, 2, v13
	s_waitcnt lgkmcnt(0)
	s_barrier
	buffer_gl0_inv
	s_and_saveexec_b32 s1, s0
	s_cbranch_execz .LBB148_23
; %bb.22:
	ds_load_b32 v1, v6 offset:512
.LBB148_23:
	s_or_b32 exec_lo, exec_lo, s1
	v_xor_b32_e32 v3, 2, v28
	v_xor_b32_e32 v9, 1, v28
	v_mov_b32_e32 v10, 0
	s_delay_alu instid0(VALU_DEP_3) | instskip(NEXT) | instid1(VALU_DEP_1)
	v_cmp_gt_i32_e64 s1, 32, v3
	v_cndmask_b32_e64 v3, v28, v3, s1
	s_delay_alu instid0(VALU_DEP_4) | instskip(NEXT) | instid1(VALU_DEP_2)
	v_cmp_gt_i32_e64 s1, 32, v9
	v_lshlrev_b32_e32 v8, 2, v3
	s_delay_alu instid0(VALU_DEP_2) | instskip(SKIP_1) | instid1(SALU_CYCLE_1)
	v_cndmask_b32_e64 v9, v28, v9, s1
	s_sub_i32 s1, s8, s7
	s_lshl_b32 s1, s1, 3
	s_waitcnt lgkmcnt(0)
	ds_bpermute_b32 v3, v8, v1
	v_max_f32_e32 v1, v1, v1
	v_lshlrev_b32_e32 v9, 2, v9
	s_add_i32 s1, s1, s38
	s_delay_alu instid0(SALU_CYCLE_1) | instskip(NEXT) | instid1(SALU_CYCLE_1)
	s_min_i32 s1, s1, s15
	s_sub_i32 s6, s1, s38
	s_delay_alu instid0(SALU_CYCLE_1) | instskip(SKIP_2) | instid1(VALU_DEP_1)
	v_cmp_gt_i32_e64 s1, s6, v0
	s_waitcnt lgkmcnt(0)
	v_max_f32_e32 v3, v3, v3
	v_max_f32_e32 v1, v1, v3
	ds_bpermute_b32 v3, v9, v1
	s_waitcnt lgkmcnt(0)
	v_max_f32_e32 v3, v3, v3
	s_delay_alu instid0(VALU_DEP_1)
	v_max_f32_e32 v1, v1, v3
	v_lshl_add_u32 v3, v0, 2, 0x220
	ds_bpermute_b32 v1, v10, v1
	s_and_saveexec_b32 s7, s1
	s_cbranch_execz .LBB148_27
; %bb.24:
	v_lshl_add_u32 v11, v0, 2, 0x220
	v_mov_b32_e32 v10, 0
	v_mov_b32_e32 v12, v0
	s_mov_b32 s35, 0
	.p2align	6
.LBB148_25:                             ; =>This Inner Loop Header: Depth=1
	ds_load_b32 v14, v11
	v_add_nc_u32_e32 v12, 0x80, v12
	s_delay_alu instid0(VALU_DEP_1) | instskip(NEXT) | instid1(VALU_DEP_1)
	v_cmp_le_i32_e64 s3, s6, v12
	s_or_b32 s35, s3, s35
	s_waitcnt lgkmcnt(0)
	v_sub_f32_e32 v14, v14, v1
	s_delay_alu instid0(VALU_DEP_1) | instskip(NEXT) | instid1(VALU_DEP_1)
	v_mul_f32_e32 v14, 0x3fb8aa3b, v14
	v_exp_f32_e32 v14, v14
	ds_store_b32 v11, v14
	v_dual_add_f32 v10, v10, v14 :: v_dual_add_nc_u32 v11, 0x200, v11
	s_and_not1_b32 exec_lo, exec_lo, s35
	s_cbranch_execnz .LBB148_25
; %bb.26:
	s_or_b32 exec_lo, exec_lo, s35
.LBB148_27:
	s_delay_alu instid0(SALU_CYCLE_1)
	s_or_b32 exec_lo, exec_lo, s7
	ds_bpermute_b32 v2, v2, v10
	s_waitcnt lgkmcnt(0)
	v_add_f32_e32 v2, v10, v2
	ds_bpermute_b32 v4, v4, v2
	s_waitcnt lgkmcnt(0)
	v_add_f32_e32 v2, v2, v4
	;; [unrolled: 3-line block ×5, first 2 shown]
	s_and_saveexec_b32 s3, vcc_lo
	s_cbranch_execz .LBB148_29
; %bb.28:
	ds_store_b32 v5, v2 offset:528
.LBB148_29:
	s_or_b32 exec_lo, exec_lo, s3
	s_waitcnt lgkmcnt(0)
	s_barrier
	buffer_gl0_inv
	s_and_saveexec_b32 s3, s0
	s_cbranch_execz .LBB148_31
; %bb.30:
	ds_load_b32 v2, v6 offset:528
.LBB148_31:
	s_or_b32 exec_lo, exec_lo, s3
	s_waitcnt lgkmcnt(0)
	ds_bpermute_b32 v4, v8, v2
	s_waitcnt lgkmcnt(0)
	v_add_f32_e32 v2, v2, v4
	ds_bpermute_b32 v4, v9, v2
	s_waitcnt lgkmcnt(0)
	v_add_f32_e32 v2, v2, v4
	v_mov_b32_e32 v4, 0
	ds_bpermute_b32 v2, v4, v2
	s_and_saveexec_b32 s0, s1
	s_cbranch_execz .LBB148_34
; %bb.32:
	s_waitcnt lgkmcnt(0)
	v_add_f32_e32 v4, 0x358637bd, v2
	s_mov_b32 s1, 0
	s_delay_alu instid0(VALU_DEP_1) | instskip(SKIP_1) | instid1(VALU_DEP_2)
	v_div_scale_f32 v5, null, v4, v4, 1.0
	v_div_scale_f32 v8, vcc_lo, 1.0, v4, 1.0
	v_rcp_f32_e32 v6, v5
	s_waitcnt_depctr 0xfff
	v_fma_f32 v7, -v5, v6, 1.0
	s_delay_alu instid0(VALU_DEP_1) | instskip(NEXT) | instid1(VALU_DEP_1)
	v_fmac_f32_e32 v6, v7, v6
	v_mul_f32_e32 v7, v8, v6
	s_delay_alu instid0(VALU_DEP_1) | instskip(NEXT) | instid1(VALU_DEP_1)
	v_fma_f32 v9, -v5, v7, v8
	v_fmac_f32_e32 v7, v9, v6
	s_delay_alu instid0(VALU_DEP_1) | instskip(NEXT) | instid1(VALU_DEP_1)
	v_fma_f32 v5, -v5, v7, v8
	v_div_fmas_f32 v5, v5, v6, v7
	s_delay_alu instid0(VALU_DEP_1)
	v_div_fixup_f32 v4, v5, v4, 1.0
	v_mov_b32_e32 v5, v0
.LBB148_33:                             ; =>This Inner Loop Header: Depth=1
	ds_load_b32 v6, v3
	s_waitcnt lgkmcnt(0)
	v_dual_mul_f32 v6, v4, v6 :: v_dual_add_nc_u32 v5, 0x80, v5
	s_delay_alu instid0(VALU_DEP_1) | instskip(SKIP_3) | instid1(SALU_CYCLE_1)
	v_cmp_le_i32_e32 vcc_lo, s6, v5
	ds_store_b32 v3, v6
	v_add_nc_u32_e32 v3, 0x200, v3
	s_or_b32 s1, vcc_lo, s1
	s_and_not1_b32 exec_lo, exec_lo, s1
	s_cbranch_execnz .LBB148_33
.LBB148_34:
	s_or_b32 exec_lo, exec_lo, s0
	s_mul_i32 s0, s4, s14
	s_waitcnt lgkmcnt(0)
	s_mul_i32 s6, s0, s13
	s_mov_b32 s0, exec_lo
	s_barrier
	buffer_gl0_inv
	v_cmpx_eq_u32_e32 0, v0
	s_cbranch_execz .LBB148_36
; %bb.35:
	s_ashr_i32 s7, s6, 31
	s_mul_i32 s42, s4, s24
	s_lshl_b64 s[40:41], s[6:7], 2
	v_mov_b32_e32 v3, 0
	s_add_u32 s1, s18, s40
	s_addc_u32 s3, s19, s41
	s_ashr_i32 s43, s42, 31
	s_delay_alu instid0(SALU_CYCLE_1) | instskip(NEXT) | instid1(SALU_CYCLE_1)
	s_lshl_b64 s[18:19], s[42:43], 2
	s_add_u32 s1, s1, s18
	s_addc_u32 s3, s3, s19
	s_ashr_i32 s13, s12, 31
	s_delay_alu instid0(SALU_CYCLE_1) | instskip(NEXT) | instid1(SALU_CYCLE_1)
	s_lshl_b64 s[42:43], s[12:13], 2
	s_add_u32 s44, s1, s42
	s_addc_u32 s45, s3, s43
	s_add_u32 s1, s16, s40
	s_addc_u32 s3, s17, s41
	;; [unrolled: 2-line block ×4, first 2 shown]
	s_clause 0x1
	global_store_b32 v3, v1, s[44:45]
	global_store_b32 v3, v2, s[16:17]
.LBB148_36:
	s_or_b32 exec_lo, exec_lo, s0
	v_dual_mov_b32 v7, 0 :: v_dual_mov_b32 v12, 0
	v_dual_mov_b32 v14, 0 :: v_dual_mov_b32 v15, 0
	;; [unrolled: 1-line block ×4, first 2 shown]
	s_mov_b32 s3, 0
	s_and_saveexec_b32 s1, s2
	s_cbranch_execz .LBB148_346
; %bb.37:
	s_ashr_i32 s35, s34, 31
	s_sub_i32 s2, s39, s9
	s_lshl_b64 s[16:17], s[34:35], 1
	v_dual_mov_b32 v19, 0 :: v_dual_lshlrev_b32 v4, 4, v13
	s_add_u32 s0, s30, s16
	s_addc_u32 s13, s31, s17
	s_abs_i32 s7, s10
	s_lshl_b64 s[16:17], s[28:29], 2
	v_cvt_f32_u32_e32 v1, s7
	s_sub_i32 s10, 0, s7
	s_add_i32 s9, s36, -1
	v_lshl_add_u32 v20, v26, 5, 0x220
	v_mov_b32_e32 v17, v19
	v_rcp_iflag_f32_e32 v1, v1
	v_mov_b32_e32 v16, v19
	v_mov_b32_e32 v15, v19
	;; [unrolled: 1-line block ×4, first 2 shown]
	s_waitcnt_depctr 0xfff
	v_dual_mov_b32 v18, v19 :: v_dual_mul_f32 v3, 0x4f7ffffe, v1
	v_lshlrev_b64 v[1:2], 2, v[21:22]
	v_add_co_u32 v22, s0, s0, v4
	s_delay_alu instid0(VALU_DEP_1) | instskip(NEXT) | instid1(VALU_DEP_4)
	v_add_co_ci_u32_e64 v23, null, s13, 0, s0
	v_cvt_u32_f32_e32 v3, v3
	s_add_u32 s0, s26, s16
	s_delay_alu instid0(VALU_DEP_1) | instskip(SKIP_1) | instid1(VALU_DEP_1)
	v_mul_lo_u32 v5, s10, v3
	s_addc_u32 s10, s27, s17
	v_mul_hi_u32 v7, v3, v5
	v_add_co_u32 v5, vcc_lo, s0, v1
	v_add_co_ci_u32_e32 v6, vcc_lo, s10, v2, vcc_lo
	s_delay_alu instid0(VALU_DEP_3)
	v_add_nc_u32_e32 v24, v3, v7
	v_mov_b32_e32 v7, v19
	s_branch .LBB148_40
.LBB148_38:                             ;   in Loop: Header=BB148_40 Depth=1
	s_or_b32 exec_lo, exec_lo, s0
	v_and_b32_e32 v42, 0xffff0000, v93
	v_and_b32_e32 v47, 0xffff0000, v73
	;; [unrolled: 1-line block ×7, first 2 shown]
	v_dual_add_f32 v41, v42, v41 :: v_dual_and_b32 v38, 0xffff0000, v90
	v_and_b32_e32 v37, 0xffff0000, v92
	v_and_b32_e32 v48, 0xffff0000, v75
	;; [unrolled: 1-line block ×3, first 2 shown]
	s_delay_alu instid0(VALU_DEP_4) | instskip(NEXT) | instid1(VALU_DEP_4)
	v_dual_add_f32 v38, v39, v38 :: v_dual_and_b32 v1, 0xffff0000, v1
	v_dual_add_f32 v37, v40, v37 :: v_dual_and_b32 v40, 0xffff0000, v96
	v_and_b32_e32 v2, 0xffff0000, v2
	v_and_b32_e32 v4, 0xffff0000, v4
	v_and_b32_e32 v9, 0xffff0000, v9
	s_delay_alu instid0(VALU_DEP_4) | instskip(SKIP_2) | instid1(VALU_DEP_3)
	v_dual_add_f32 v37, v38, v37 :: v_dual_and_b32 v38, 0xffff0000, v86
	v_dual_add_f32 v1, v1, v8 :: v_dual_and_b32 v34, 0xffff0000, v34
	v_and_b32_e32 v11, 0xffff0000, v11
	v_add_f32_e32 v37, v37, v41
	v_and_b32_e32 v41, 0xffff0000, v82
	v_and_b32_e32 v46, 0xffff0000, v88
	v_dual_add_f32 v2, v2, v9 :: v_dual_and_b32 v3, 0xffff0000, v3
	s_delay_alu instid0(VALU_DEP_3) | instskip(SKIP_1) | instid1(VALU_DEP_3)
	v_add_f32_e32 v41, v44, v41
	v_and_b32_e32 v39, 0xffff0000, v95
	v_dual_add_f32 v1, v1, v2 :: v_dual_and_b32 v28, 0xffff0000, v28
	s_delay_alu instid0(VALU_DEP_2) | instskip(NEXT) | instid1(VALU_DEP_1)
	v_dual_add_f32 v39, v39, v40 :: v_dual_and_b32 v42, 0xffff0000, v85
	v_dual_add_f32 v37, v37, v39 :: v_dual_add_f32 v38, v42, v38
	v_and_b32_e32 v39, 0xffff0000, v87
	v_and_b32_e32 v40, 0xffff0000, v84
	s_delay_alu instid0(VALU_DEP_2) | instskip(NEXT) | instid1(VALU_DEP_2)
	v_dual_add_f32 v12, v12, v37 :: v_dual_add_f32 v39, v39, v46
	v_dual_add_f32 v40, v45, v40 :: v_dual_and_b32 v45, 0xffff0000, v74
	v_and_b32_e32 v46, 0xffff0000, v61
	s_delay_alu instid0(VALU_DEP_2) | instskip(NEXT) | instid1(VALU_DEP_3)
	v_dual_add_f32 v40, v41, v40 :: v_dual_and_b32 v41, 0xffff0000, v78
	v_add_f32_e32 v42, v47, v45
	v_and_b32_e32 v45, 0xffff0000, v77
	v_and_b32_e32 v44, 0xffff0000, v76
	s_delay_alu instid0(VALU_DEP_4) | instskip(SKIP_1) | instid1(VALU_DEP_3)
	v_dual_add_f32 v38, v40, v38 :: v_dual_and_b32 v47, 0xffff0000, v63
	v_and_b32_e32 v43, 0xffff0000, v43
	v_dual_add_f32 v41, v45, v41 :: v_dual_add_f32 v44, v48, v44
	s_delay_alu instid0(VALU_DEP_3) | instskip(SKIP_1) | instid1(VALU_DEP_4)
	v_add_f32_e32 v37, v38, v39
	v_and_b32_e32 v45, 0xffff0000, v59
	v_add_f32_e32 v34, v34, v43
	s_delay_alu instid0(VALU_DEP_4) | instskip(NEXT) | instid1(VALU_DEP_4)
	v_add_f32_e32 v42, v42, v44
	v_add_f32_e32 v14, v14, v37
	s_delay_alu instid0(VALU_DEP_2) | instskip(SKIP_3) | instid1(VALU_DEP_1)
	v_dual_add_f32 v38, v42, v41 :: v_dual_and_b32 v41, 0xffff0000, v66
	v_and_b32_e32 v44, 0xffff0000, v80
	v_and_b32_e32 v42, 0xffff0000, v65
	v_and_b32_e32 v40, 0xffff0000, v79
	v_add_f32_e32 v39, v40, v44
	s_delay_alu instid0(VALU_DEP_1) | instskip(NEXT) | instid1(VALU_DEP_4)
	v_add_f32_e32 v37, v38, v39
	v_dual_add_f32 v39, v42, v41 :: v_dual_and_b32 v40, 0xffff0000, v68
	s_delay_alu instid0(VALU_DEP_2) | instskip(SKIP_1) | instid1(VALU_DEP_1)
	v_dual_add_f32 v15, v15, v37 :: v_dual_and_b32 v42, 0xffff0000, v72
	v_and_b32_e32 v37, 0xffff0000, v71
	v_dual_add_f32 v37, v37, v42 :: v_dual_and_b32 v44, 0xffff0000, v67
	s_delay_alu instid0(VALU_DEP_1)
	v_add_f32_e32 v40, v44, v40
	v_and_b32_e32 v44, 0xffff0000, v57
	v_and_b32_e32 v38, 0xffff0000, v70
	;; [unrolled: 1-line block ×4, first 2 shown]
	v_add_f32_e32 v39, v39, v40
	v_and_b32_e32 v41, 0xffff0000, v69
	v_and_b32_e32 v40, 0xffff0000, v60
	s_delay_alu instid0(VALU_DEP_2) | instskip(NEXT) | instid1(VALU_DEP_2)
	v_add_f32_e32 v38, v41, v38
	v_dual_add_f32 v40, v45, v40 :: v_dual_and_b32 v41, 0xffff0000, v58
	s_delay_alu instid0(VALU_DEP_2) | instskip(SKIP_2) | instid1(VALU_DEP_4)
	v_dual_add_f32 v38, v39, v38 :: v_dual_and_b32 v45, 0xffff0000, v51
	v_and_b32_e32 v10, 0xffff0000, v10
	v_and_b32_e32 v29, 0xffff0000, v29
	v_add_f32_e32 v41, v44, v41
	s_delay_alu instid0(VALU_DEP_3) | instskip(NEXT) | instid1(VALU_DEP_3)
	v_dual_add_f32 v10, v10, v11 :: v_dual_and_b32 v39, 0xffff0000, v62
	v_dual_add_f32 v11, v28, v29 :: v_dual_and_b32 v44, 0xffff0000, v52
	v_and_b32_e32 v28, 0xffff0000, v35
	s_delay_alu instid0(VALU_DEP_4) | instskip(NEXT) | instid1(VALU_DEP_3)
	v_dual_add_f32 v40, v41, v40 :: v_dual_and_b32 v31, 0xffff0000, v31
	v_add_f32_e32 v43, v45, v44
	s_delay_alu instid0(VALU_DEP_3) | instskip(SKIP_3) | instid1(VALU_DEP_3)
	v_dual_add_f32 v2, v3, v28 :: v_dual_and_b32 v41, 0xffff0000, v54
	v_and_b32_e32 v3, 0xffff0000, v36
	v_add_f32_e32 v39, v46, v39
	v_dual_add_f32 v8, v10, v11 :: v_dual_and_b32 v45, 0xffff0000, v64
	v_dual_add_f32 v1, v1, v2 :: v_dual_add_f32 v2, v4, v3
	v_and_b32_e32 v32, 0xffff0000, v32
	v_add_f32_e32 v34, v34, v43
	s_delay_alu instid0(VALU_DEP_4) | instskip(NEXT) | instid1(VALU_DEP_4)
	v_dual_add_f32 v39, v40, v39 :: v_dual_add_f32 v40, v47, v45
	v_add_f32_e32 v1, v1, v2
	v_and_b32_e32 v30, 0xffff0000, v30
	v_and_b32_e32 v44, 0xffff0000, v53
	s_delay_alu instid0(VALU_DEP_4) | instskip(NEXT) | instid1(VALU_DEP_4)
	v_dual_add_f32 v3, v38, v37 :: v_dual_add_f32 v4, v39, v40
	v_add_f32_e32 v7, v7, v1
	s_delay_alu instid0(VALU_DEP_4) | instskip(NEXT) | instid1(VALU_DEP_4)
	v_add_f32_e32 v9, v30, v31
	v_add_f32_e32 v41, v44, v41
	s_delay_alu instid0(VALU_DEP_4) | instskip(NEXT) | instid1(VALU_DEP_3)
	v_dual_add_f32 v16, v16, v3 :: v_dual_and_b32 v43, 0xffff0000, v56
	v_dual_add_f32 v17, v17, v4 :: v_dual_add_f32 v8, v8, v9
	s_delay_alu instid0(VALU_DEP_3) | instskip(NEXT) | instid1(VALU_DEP_3)
	v_add_f32_e32 v34, v34, v41
	v_dual_add_f32 v10, v42, v43 :: v_dual_add_f32 v9, v32, v33
	s_delay_alu instid0(VALU_DEP_1) | instskip(NEXT) | instid1(VALU_DEP_2)
	v_add_f32_e32 v10, v34, v10
	v_add_f32_e32 v8, v8, v9
	s_delay_alu instid0(VALU_DEP_1)
	v_dual_add_f32 v18, v18, v10 :: v_dual_add_f32 v19, v19, v8
.LBB148_39:                             ;   in Loop: Header=BB148_40 Depth=1
	s_or_b32 exec_lo, exec_lo, s10
	v_add_nc_u32_e32 v21, 4, v21
	v_add_co_u32 v5, s0, v5, 16
	s_delay_alu instid0(VALU_DEP_1) | instskip(NEXT) | instid1(VALU_DEP_3)
	v_add_co_ci_u32_e64 v6, s0, 0, v6, s0
	v_cmp_le_i32_e32 vcc_lo, s8, v21
	v_add_nc_u32_e32 v27, 32, v27
	v_add_nc_u32_e32 v20, 0x80, v20
	s_or_b32 s3, vcc_lo, s3
	s_delay_alu instid0(SALU_CYCLE_1)
	s_and_not1_b32 exec_lo, exec_lo, s3
	s_cbranch_execz .LBB148_345
.LBB148_40:                             ; =>This Inner Loop Header: Depth=1
	v_sub_nc_u32_e32 v1, 0, v27
	s_delay_alu instid0(VALU_DEP_1) | instskip(NEXT) | instid1(VALU_DEP_1)
	v_max_i32_e32 v1, v27, v1
	v_mul_hi_u32 v2, v1, s25
	s_delay_alu instid0(VALU_DEP_1) | instskip(NEXT) | instid1(VALU_DEP_1)
	v_mul_lo_u32 v3, v2, s21
	v_sub_nc_u32_e32 v1, v1, v3
	v_add_nc_u32_e32 v3, 1, v2
	s_delay_alu instid0(VALU_DEP_2) | instskip(SKIP_1) | instid1(VALU_DEP_2)
	v_subrev_nc_u32_e32 v4, s21, v1
	v_cmp_le_u32_e32 vcc_lo, s21, v1
	v_dual_cndmask_b32 v2, v2, v3 :: v_dual_cndmask_b32 v1, v1, v4
	v_ashrrev_i32_e32 v3, 31, v27
	s_delay_alu instid0(VALU_DEP_2) | instskip(NEXT) | instid1(VALU_DEP_3)
	v_add_nc_u32_e32 v4, 1, v2
	v_cmp_le_u32_e32 vcc_lo, s21, v1
	s_delay_alu instid0(VALU_DEP_3) | instskip(NEXT) | instid1(VALU_DEP_3)
	v_xor_b32_e32 v3, s11, v3
	v_cndmask_b32_e32 v1, v2, v4, vcc_lo
	s_delay_alu instid0(VALU_DEP_1) | instskip(NEXT) | instid1(VALU_DEP_1)
	v_xor_b32_e32 v1, v1, v3
	v_sub_nc_u32_e32 v1, v1, v3
	s_delay_alu instid0(VALU_DEP_1) | instskip(SKIP_1) | instid1(VALU_DEP_2)
	v_add_nc_u32_e32 v2, s33, v1
	v_cmp_lt_i32_e64 s0, s2, v1
	v_sub_nc_u32_e32 v3, 0, v2
	s_delay_alu instid0(VALU_DEP_1) | instskip(NEXT) | instid1(VALU_DEP_1)
	v_max_i32_e32 v3, v2, v3
	v_mul_hi_u32 v4, v3, v24
	s_delay_alu instid0(VALU_DEP_1) | instskip(NEXT) | instid1(VALU_DEP_1)
	v_mul_lo_u32 v4, v4, s7
	v_sub_nc_u32_e32 v3, v3, v4
	s_delay_alu instid0(VALU_DEP_1) | instskip(SKIP_1) | instid1(VALU_DEP_2)
	v_subrev_nc_u32_e32 v4, s7, v3
	v_cmp_le_u32_e32 vcc_lo, s7, v3
	v_cndmask_b32_e32 v3, v3, v4, vcc_lo
	v_ashrrev_i32_e32 v2, 31, v2
	s_delay_alu instid0(VALU_DEP_2) | instskip(SKIP_1) | instid1(VALU_DEP_2)
	v_subrev_nc_u32_e32 v4, s7, v3
	v_cmp_le_u32_e32 vcc_lo, s7, v3
	v_cndmask_b32_e32 v3, v3, v4, vcc_lo
	s_delay_alu instid0(VALU_DEP_1) | instskip(NEXT) | instid1(VALU_DEP_1)
	v_xor_b32_e32 v3, v3, v2
	v_sub_nc_u32_e32 v2, v3, v2
	s_delay_alu instid0(VALU_DEP_1) | instskip(SKIP_1) | instid1(SALU_CYCLE_1)
	v_cmp_eq_u32_e32 vcc_lo, 0, v2
	s_or_b32 s0, vcc_lo, s0
	s_and_saveexec_b32 s10, s0
	s_cbranch_execz .LBB148_39
; %bb.41:                               ;   in Loop: Header=BB148_40 Depth=1
	global_load_b32 v35, v[5:6], off
	ds_load_2addr_b64 v[8:11], v20 offset1:1
	ds_load_2addr_b64 v[1:4], v20 offset0:2 offset1:3
	s_mov_b32 s0, exec_lo
                                        ; implicit-def: $vgpr42
	s_waitcnt lgkmcnt(1)
	v_and_b32_e32 v28, 0x7f800000, v8
	s_delay_alu instid0(VALU_DEP_1)
	v_cmpx_ne_u32_e32 0x7f800000, v28
	s_xor_b32 s0, exec_lo, s0
; %bb.42:                               ;   in Loop: Header=BB148_40 Depth=1
	v_bfe_u32 v28, v8, 16, 1
	s_delay_alu instid0(VALU_DEP_1)
	v_add3_u32 v42, v8, v28, 0x7fff
; %bb.43:                               ;   in Loop: Header=BB148_40 Depth=1
	s_and_not1_saveexec_b32 s0, s0
; %bb.44:                               ;   in Loop: Header=BB148_40 Depth=1
	v_and_b32_e32 v28, 0xffff, v8
	v_or_b32_e32 v29, 0x10000, v8
	s_delay_alu instid0(VALU_DEP_2) | instskip(NEXT) | instid1(VALU_DEP_2)
	v_cmp_eq_u32_e32 vcc_lo, 0, v28
	v_cndmask_b32_e32 v42, v29, v8, vcc_lo
; %bb.45:                               ;   in Loop: Header=BB148_40 Depth=1
	s_or_b32 exec_lo, exec_lo, s0
	v_and_b32_e32 v8, 0x7f800000, v9
	s_mov_b32 s0, exec_lo
                                        ; implicit-def: $vgpr34
	s_delay_alu instid0(VALU_DEP_1)
	v_cmpx_ne_u32_e32 0x7f800000, v8
	s_xor_b32 s0, exec_lo, s0
; %bb.46:                               ;   in Loop: Header=BB148_40 Depth=1
	v_bfe_u32 v8, v9, 16, 1
	s_delay_alu instid0(VALU_DEP_1)
	v_add3_u32 v34, v9, v8, 0x7fff
; %bb.47:                               ;   in Loop: Header=BB148_40 Depth=1
	s_and_not1_saveexec_b32 s0, s0
; %bb.48:                               ;   in Loop: Header=BB148_40 Depth=1
	v_and_b32_e32 v8, 0xffff, v9
	v_or_b32_e32 v28, 0x10000, v9
	s_delay_alu instid0(VALU_DEP_2) | instskip(NEXT) | instid1(VALU_DEP_2)
	v_cmp_eq_u32_e32 vcc_lo, 0, v8
	v_cndmask_b32_e32 v34, v28, v9, vcc_lo
; %bb.49:                               ;   in Loop: Header=BB148_40 Depth=1
	s_or_b32 exec_lo, exec_lo, s0
	v_and_b32_e32 v8, 0x7f800000, v10
	s_mov_b32 s0, exec_lo
                                        ; implicit-def: $vgpr28
	s_delay_alu instid0(VALU_DEP_1)
	v_cmpx_ne_u32_e32 0x7f800000, v8
	s_xor_b32 s0, exec_lo, s0
; %bb.50:                               ;   in Loop: Header=BB148_40 Depth=1
	v_bfe_u32 v8, v10, 16, 1
	s_delay_alu instid0(VALU_DEP_1)
	v_add3_u32 v28, v10, v8, 0x7fff
; %bb.51:                               ;   in Loop: Header=BB148_40 Depth=1
	s_and_not1_saveexec_b32 s0, s0
; %bb.52:                               ;   in Loop: Header=BB148_40 Depth=1
	v_and_b32_e32 v8, 0xffff, v10
	v_or_b32_e32 v9, 0x10000, v10
	s_delay_alu instid0(VALU_DEP_2) | instskip(NEXT) | instid1(VALU_DEP_2)
	v_cmp_eq_u32_e32 vcc_lo, 0, v8
	v_cndmask_b32_e32 v28, v9, v10, vcc_lo
; %bb.53:                               ;   in Loop: Header=BB148_40 Depth=1
	s_or_b32 exec_lo, exec_lo, s0
	v_and_b32_e32 v8, 0x7f800000, v11
	s_mov_b32 s0, exec_lo
                                        ; implicit-def: $vgpr29
	s_delay_alu instid0(VALU_DEP_1)
	v_cmpx_ne_u32_e32 0x7f800000, v8
	s_xor_b32 s0, exec_lo, s0
; %bb.54:                               ;   in Loop: Header=BB148_40 Depth=1
	v_bfe_u32 v8, v11, 16, 1
	s_delay_alu instid0(VALU_DEP_1)
	v_add3_u32 v29, v11, v8, 0x7fff
                                        ; implicit-def: $vgpr8_vgpr9_vgpr10_vgpr11
; %bb.55:                               ;   in Loop: Header=BB148_40 Depth=1
	s_and_not1_saveexec_b32 s0, s0
; %bb.56:                               ;   in Loop: Header=BB148_40 Depth=1
	v_and_b32_e32 v8, 0xffff, v11
	v_or_b32_e32 v9, 0x10000, v11
	s_delay_alu instid0(VALU_DEP_2) | instskip(NEXT) | instid1(VALU_DEP_2)
	v_cmp_eq_u32_e32 vcc_lo, 0, v8
	v_cndmask_b32_e32 v29, v9, v11, vcc_lo
; %bb.57:                               ;   in Loop: Header=BB148_40 Depth=1
	s_or_b32 exec_lo, exec_lo, s0
	s_waitcnt lgkmcnt(0)
	v_and_b32_e32 v8, 0x7f800000, v1
	s_mov_b32 s0, exec_lo
                                        ; implicit-def: $vgpr30
	s_delay_alu instid0(VALU_DEP_1)
	v_cmpx_ne_u32_e32 0x7f800000, v8
	s_xor_b32 s0, exec_lo, s0
; %bb.58:                               ;   in Loop: Header=BB148_40 Depth=1
	v_bfe_u32 v8, v1, 16, 1
	s_delay_alu instid0(VALU_DEP_1)
	v_add3_u32 v30, v1, v8, 0x7fff
; %bb.59:                               ;   in Loop: Header=BB148_40 Depth=1
	s_and_not1_saveexec_b32 s0, s0
; %bb.60:                               ;   in Loop: Header=BB148_40 Depth=1
	v_and_b32_e32 v8, 0xffff, v1
	v_or_b32_e32 v9, 0x10000, v1
	s_delay_alu instid0(VALU_DEP_2) | instskip(NEXT) | instid1(VALU_DEP_2)
	v_cmp_eq_u32_e32 vcc_lo, 0, v8
	v_cndmask_b32_e32 v30, v9, v1, vcc_lo
; %bb.61:                               ;   in Loop: Header=BB148_40 Depth=1
	s_or_b32 exec_lo, exec_lo, s0
	v_and_b32_e32 v1, 0x7f800000, v2
	s_mov_b32 s0, exec_lo
                                        ; implicit-def: $vgpr31
	s_delay_alu instid0(VALU_DEP_1)
	v_cmpx_ne_u32_e32 0x7f800000, v1
	s_xor_b32 s0, exec_lo, s0
; %bb.62:                               ;   in Loop: Header=BB148_40 Depth=1
	v_bfe_u32 v1, v2, 16, 1
	s_delay_alu instid0(VALU_DEP_1)
	v_add3_u32 v31, v2, v1, 0x7fff
; %bb.63:                               ;   in Loop: Header=BB148_40 Depth=1
	s_and_not1_saveexec_b32 s0, s0
; %bb.64:                               ;   in Loop: Header=BB148_40 Depth=1
	v_and_b32_e32 v1, 0xffff, v2
	v_or_b32_e32 v8, 0x10000, v2
	s_delay_alu instid0(VALU_DEP_2) | instskip(NEXT) | instid1(VALU_DEP_2)
	v_cmp_eq_u32_e32 vcc_lo, 0, v1
	v_cndmask_b32_e32 v31, v8, v2, vcc_lo
; %bb.65:                               ;   in Loop: Header=BB148_40 Depth=1
	s_or_b32 exec_lo, exec_lo, s0
	v_and_b32_e32 v1, 0x7f800000, v3
	s_mov_b32 s0, exec_lo
                                        ; implicit-def: $vgpr32
	s_delay_alu instid0(VALU_DEP_1)
	v_cmpx_ne_u32_e32 0x7f800000, v1
	s_xor_b32 s0, exec_lo, s0
; %bb.66:                               ;   in Loop: Header=BB148_40 Depth=1
	v_bfe_u32 v1, v3, 16, 1
	s_delay_alu instid0(VALU_DEP_1)
	v_add3_u32 v32, v3, v1, 0x7fff
; %bb.67:                               ;   in Loop: Header=BB148_40 Depth=1
	s_and_not1_saveexec_b32 s0, s0
; %bb.68:                               ;   in Loop: Header=BB148_40 Depth=1
	v_and_b32_e32 v1, 0xffff, v3
	v_or_b32_e32 v2, 0x10000, v3
	s_delay_alu instid0(VALU_DEP_2) | instskip(NEXT) | instid1(VALU_DEP_2)
	v_cmp_eq_u32_e32 vcc_lo, 0, v1
	v_cndmask_b32_e32 v32, v2, v3, vcc_lo
; %bb.69:                               ;   in Loop: Header=BB148_40 Depth=1
	s_or_b32 exec_lo, exec_lo, s0
	v_and_b32_e32 v1, 0x7f800000, v4
	s_mov_b32 s0, exec_lo
                                        ; implicit-def: $vgpr33
	s_delay_alu instid0(VALU_DEP_1)
	v_cmpx_ne_u32_e32 0x7f800000, v1
	s_xor_b32 s0, exec_lo, s0
; %bb.70:                               ;   in Loop: Header=BB148_40 Depth=1
	v_bfe_u32 v1, v4, 16, 1
	s_delay_alu instid0(VALU_DEP_1)
	v_add3_u32 v33, v4, v1, 0x7fff
                                        ; implicit-def: $vgpr1_vgpr2_vgpr3_vgpr4
; %bb.71:                               ;   in Loop: Header=BB148_40 Depth=1
	s_and_not1_saveexec_b32 s0, s0
; %bb.72:                               ;   in Loop: Header=BB148_40 Depth=1
	v_and_b32_e32 v1, 0xffff, v4
	v_or_b32_e32 v2, 0x10000, v4
	s_delay_alu instid0(VALU_DEP_2) | instskip(NEXT) | instid1(VALU_DEP_2)
	v_cmp_eq_u32_e32 vcc_lo, 0, v1
	v_cndmask_b32_e32 v33, v2, v4, vcc_lo
; %bb.73:                               ;   in Loop: Header=BB148_40 Depth=1
	s_or_b32 exec_lo, exec_lo, s0
	s_waitcnt vmcnt(0)
	v_mad_i64_i32 v[1:2], null, v35, s5, 0
	v_add_nc_u32_e32 v41, 1, v27
	v_add_nc_u32_e32 v40, 2, v27
	;; [unrolled: 1-line block ×6, first 2 shown]
	v_lshlrev_b64 v[1:2], 1, v[1:2]
	v_add_nc_u32_e32 v39, 7, v27
	s_delay_alu instid0(VALU_DEP_2) | instskip(NEXT) | instid1(VALU_DEP_3)
	v_add_co_u32 v8, vcc_lo, v22, v1
	v_add_co_ci_u32_e32 v9, vcc_lo, v23, v2, vcc_lo
	v_cmp_eq_u32_e32 vcc_lo, s9, v21
	global_load_b128 v[1:4], v[8:9], off
	s_waitcnt vmcnt(0)
	v_lshrrev_b32_e32 v11, 16, v1
	v_lshrrev_b32_e32 v47, 16, v2
	;; [unrolled: 1-line block ×4, first 2 shown]
	s_and_saveexec_b32 s13, vcc_lo
	s_cbranch_execz .LBB148_75
; %bb.74:                               ;   in Loop: Header=BB148_40 Depth=1
	v_cmp_gt_i32_e64 s0, s15, v27
	s_delay_alu instid0(VALU_DEP_1) | instskip(SKIP_1) | instid1(VALU_DEP_1)
	v_cndmask_b32_e64 v1, 0, v1, s0
	v_cmp_gt_i32_e64 s0, s15, v41
	v_cndmask_b32_e64 v11, 0, v11, s0
	v_cmp_gt_i32_e64 s0, s15, v40
	s_delay_alu instid0(VALU_DEP_1) | instskip(SKIP_1) | instid1(VALU_DEP_1)
	v_cndmask_b32_e64 v2, 0, v2, s0
	v_cmp_gt_i32_e64 s0, s15, v38
	v_cndmask_b32_e64 v47, 0, v47, s0
	v_cmp_gt_i32_e64 s0, s15, v37
	s_delay_alu instid0(VALU_DEP_1) | instskip(SKIP_1) | instid1(VALU_DEP_1)
	v_cndmask_b32_e64 v3, 0, v3, s0
	v_cmp_gt_i32_e64 s0, s15, v36
	v_cndmask_b32_e64 v49, 0, v49, s0
	v_cmp_gt_i32_e64 s0, s15, v35
	s_delay_alu instid0(VALU_DEP_1) | instskip(SKIP_1) | instid1(VALU_DEP_1)
	v_cndmask_b32_e64 v4, 0, v4, s0
	v_cmp_gt_i32_e64 s0, s15, v39
	v_cndmask_b32_e64 v43, 0, v43, s0
.LBB148_75:                             ;   in Loop: Header=BB148_40 Depth=1
	s_or_b32 exec_lo, exec_lo, s13
	v_and_b32_e32 v42, 0xffff0000, v42
	v_lshlrev_b32_e32 v1, 16, v1
	s_delay_alu instid0(VALU_DEP_1) | instskip(NEXT) | instid1(VALU_DEP_1)
	v_mul_f32_e32 v1, v42, v1
	v_and_b32_e32 v10, 0x7f800000, v1
	s_delay_alu instid0(VALU_DEP_1) | instskip(NEXT) | instid1(VALU_DEP_1)
	v_cmp_ne_u32_e64 s0, 0x7f800000, v10
                                        ; implicit-def: $vgpr10
	s_and_saveexec_b32 s13, s0
	s_delay_alu instid0(SALU_CYCLE_1)
	s_xor_b32 s0, exec_lo, s13
; %bb.76:                               ;   in Loop: Header=BB148_40 Depth=1
	v_bfe_u32 v10, v1, 16, 1
	s_delay_alu instid0(VALU_DEP_1)
	v_add3_u32 v10, v1, v10, 0x7fff
                                        ; implicit-def: $vgpr1
; %bb.77:                               ;   in Loop: Header=BB148_40 Depth=1
	s_and_not1_saveexec_b32 s13, s0
; %bb.78:                               ;   in Loop: Header=BB148_40 Depth=1
	v_and_b32_e32 v10, 0xffff, v1
	v_or_b32_e32 v44, 0x10000, v1
	s_delay_alu instid0(VALU_DEP_2) | instskip(NEXT) | instid1(VALU_DEP_1)
	v_cmp_eq_u32_e64 s0, 0, v10
	v_cndmask_b32_e64 v10, v44, v1, s0
; %bb.79:                               ;   in Loop: Header=BB148_40 Depth=1
	s_or_b32 exec_lo, exec_lo, s13
	v_and_b32_e32 v44, 0xffff0000, v34
	v_lshlrev_b32_e32 v1, 16, v11
	s_delay_alu instid0(VALU_DEP_1) | instskip(NEXT) | instid1(VALU_DEP_1)
	v_mul_f32_e32 v1, v44, v1
	v_and_b32_e32 v11, 0x7f800000, v1
	s_delay_alu instid0(VALU_DEP_1) | instskip(NEXT) | instid1(VALU_DEP_1)
	v_cmp_ne_u32_e64 s0, 0x7f800000, v11
                                        ; implicit-def: $vgpr11
	s_and_saveexec_b32 s13, s0
	s_delay_alu instid0(SALU_CYCLE_1)
	s_xor_b32 s0, exec_lo, s13
; %bb.80:                               ;   in Loop: Header=BB148_40 Depth=1
	v_bfe_u32 v11, v1, 16, 1
	s_delay_alu instid0(VALU_DEP_1)
	v_add3_u32 v11, v1, v11, 0x7fff
                                        ; implicit-def: $vgpr1
; %bb.81:                               ;   in Loop: Header=BB148_40 Depth=1
	s_and_not1_saveexec_b32 s13, s0
; %bb.82:                               ;   in Loop: Header=BB148_40 Depth=1
	v_and_b32_e32 v11, 0xffff, v1
	v_or_b32_e32 v34, 0x10000, v1
	s_delay_alu instid0(VALU_DEP_2) | instskip(NEXT) | instid1(VALU_DEP_1)
	v_cmp_eq_u32_e64 s0, 0, v11
	v_cndmask_b32_e64 v11, v34, v1, s0
; %bb.83:                               ;   in Loop: Header=BB148_40 Depth=1
	s_or_b32 exec_lo, exec_lo, s13
	v_and_b32_e32 v45, 0xffff0000, v28
	v_lshlrev_b32_e32 v1, 16, v2
                                        ; implicit-def: $vgpr28
	s_delay_alu instid0(VALU_DEP_1) | instskip(NEXT) | instid1(VALU_DEP_1)
	v_mul_f32_e32 v1, v45, v1
	v_and_b32_e32 v2, 0x7f800000, v1
	s_delay_alu instid0(VALU_DEP_1) | instskip(NEXT) | instid1(VALU_DEP_1)
	v_cmp_ne_u32_e64 s0, 0x7f800000, v2
	s_and_saveexec_b32 s13, s0
	s_delay_alu instid0(SALU_CYCLE_1)
	s_xor_b32 s0, exec_lo, s13
; %bb.84:                               ;   in Loop: Header=BB148_40 Depth=1
	v_bfe_u32 v2, v1, 16, 1
	s_delay_alu instid0(VALU_DEP_1)
	v_add3_u32 v28, v1, v2, 0x7fff
                                        ; implicit-def: $vgpr1
; %bb.85:                               ;   in Loop: Header=BB148_40 Depth=1
	s_and_not1_saveexec_b32 s13, s0
; %bb.86:                               ;   in Loop: Header=BB148_40 Depth=1
	v_and_b32_e32 v2, 0xffff, v1
	v_or_b32_e32 v28, 0x10000, v1
	s_delay_alu instid0(VALU_DEP_2) | instskip(NEXT) | instid1(VALU_DEP_1)
	v_cmp_eq_u32_e64 s0, 0, v2
	v_cndmask_b32_e64 v28, v28, v1, s0
; %bb.87:                               ;   in Loop: Header=BB148_40 Depth=1
	s_or_b32 exec_lo, exec_lo, s13
	v_and_b32_e32 v46, 0xffff0000, v29
	v_lshlrev_b32_e32 v1, 16, v47
                                        ; implicit-def: $vgpr29
	s_delay_alu instid0(VALU_DEP_1) | instskip(NEXT) | instid1(VALU_DEP_1)
	v_mul_f32_e32 v1, v46, v1
	v_and_b32_e32 v2, 0x7f800000, v1
	s_delay_alu instid0(VALU_DEP_1) | instskip(NEXT) | instid1(VALU_DEP_1)
	v_cmp_ne_u32_e64 s0, 0x7f800000, v2
	s_and_saveexec_b32 s13, s0
	s_delay_alu instid0(SALU_CYCLE_1)
	s_xor_b32 s0, exec_lo, s13
; %bb.88:                               ;   in Loop: Header=BB148_40 Depth=1
	v_bfe_u32 v2, v1, 16, 1
	s_delay_alu instid0(VALU_DEP_1)
	v_add3_u32 v29, v1, v2, 0x7fff
                                        ; implicit-def: $vgpr1
; %bb.89:                               ;   in Loop: Header=BB148_40 Depth=1
	s_and_not1_saveexec_b32 s13, s0
; %bb.90:                               ;   in Loop: Header=BB148_40 Depth=1
	v_and_b32_e32 v2, 0xffff, v1
	v_or_b32_e32 v29, 0x10000, v1
	s_delay_alu instid0(VALU_DEP_2) | instskip(NEXT) | instid1(VALU_DEP_1)
	v_cmp_eq_u32_e64 s0, 0, v2
	v_cndmask_b32_e64 v29, v29, v1, s0
; %bb.91:                               ;   in Loop: Header=BB148_40 Depth=1
	s_or_b32 exec_lo, exec_lo, s13
	v_and_b32_e32 v47, 0xffff0000, v30
	v_lshlrev_b32_e32 v1, 16, v3
                                        ; implicit-def: $vgpr30
	s_delay_alu instid0(VALU_DEP_1) | instskip(NEXT) | instid1(VALU_DEP_1)
	v_mul_f32_e32 v1, v47, v1
	v_and_b32_e32 v2, 0x7f800000, v1
	s_delay_alu instid0(VALU_DEP_1) | instskip(NEXT) | instid1(VALU_DEP_1)
	v_cmp_ne_u32_e64 s0, 0x7f800000, v2
	s_and_saveexec_b32 s13, s0
	s_delay_alu instid0(SALU_CYCLE_1)
	s_xor_b32 s0, exec_lo, s13
; %bb.92:                               ;   in Loop: Header=BB148_40 Depth=1
	v_bfe_u32 v2, v1, 16, 1
	s_delay_alu instid0(VALU_DEP_1)
	v_add3_u32 v30, v1, v2, 0x7fff
                                        ; implicit-def: $vgpr1
; %bb.93:                               ;   in Loop: Header=BB148_40 Depth=1
	s_and_not1_saveexec_b32 s13, s0
; %bb.94:                               ;   in Loop: Header=BB148_40 Depth=1
	v_and_b32_e32 v2, 0xffff, v1
	v_or_b32_e32 v3, 0x10000, v1
	s_delay_alu instid0(VALU_DEP_2) | instskip(NEXT) | instid1(VALU_DEP_1)
	v_cmp_eq_u32_e64 s0, 0, v2
	v_cndmask_b32_e64 v30, v3, v1, s0
; %bb.95:                               ;   in Loop: Header=BB148_40 Depth=1
	s_or_b32 exec_lo, exec_lo, s13
	v_and_b32_e32 v48, 0xffff0000, v31
	v_lshlrev_b32_e32 v1, 16, v49
                                        ; implicit-def: $vgpr31
	s_delay_alu instid0(VALU_DEP_1) | instskip(NEXT) | instid1(VALU_DEP_1)
	v_mul_f32_e32 v1, v48, v1
	v_and_b32_e32 v2, 0x7f800000, v1
	s_delay_alu instid0(VALU_DEP_1) | instskip(NEXT) | instid1(VALU_DEP_1)
	v_cmp_ne_u32_e64 s0, 0x7f800000, v2
	s_and_saveexec_b32 s13, s0
	s_delay_alu instid0(SALU_CYCLE_1)
	s_xor_b32 s0, exec_lo, s13
; %bb.96:                               ;   in Loop: Header=BB148_40 Depth=1
	v_bfe_u32 v2, v1, 16, 1
	s_delay_alu instid0(VALU_DEP_1)
	v_add3_u32 v31, v1, v2, 0x7fff
                                        ; implicit-def: $vgpr1
; %bb.97:                               ;   in Loop: Header=BB148_40 Depth=1
	s_and_not1_saveexec_b32 s13, s0
; %bb.98:                               ;   in Loop: Header=BB148_40 Depth=1
	v_and_b32_e32 v2, 0xffff, v1
	v_or_b32_e32 v3, 0x10000, v1
	s_delay_alu instid0(VALU_DEP_2) | instskip(NEXT) | instid1(VALU_DEP_1)
	v_cmp_eq_u32_e64 s0, 0, v2
	v_cndmask_b32_e64 v31, v3, v1, s0
; %bb.99:                               ;   in Loop: Header=BB148_40 Depth=1
	s_or_b32 exec_lo, exec_lo, s13
	v_and_b32_e32 v49, 0xffff0000, v32
	v_lshlrev_b32_e32 v1, 16, v4
                                        ; implicit-def: $vgpr32
	s_delay_alu instid0(VALU_DEP_1) | instskip(NEXT) | instid1(VALU_DEP_1)
	v_mul_f32_e32 v1, v49, v1
	v_and_b32_e32 v2, 0x7f800000, v1
	s_delay_alu instid0(VALU_DEP_1) | instskip(NEXT) | instid1(VALU_DEP_1)
	v_cmp_ne_u32_e64 s0, 0x7f800000, v2
	s_and_saveexec_b32 s13, s0
	s_delay_alu instid0(SALU_CYCLE_1)
	s_xor_b32 s0, exec_lo, s13
; %bb.100:                              ;   in Loop: Header=BB148_40 Depth=1
	v_bfe_u32 v2, v1, 16, 1
	s_delay_alu instid0(VALU_DEP_1)
	v_add3_u32 v32, v1, v2, 0x7fff
                                        ; implicit-def: $vgpr1
; %bb.101:                              ;   in Loop: Header=BB148_40 Depth=1
	s_and_not1_saveexec_b32 s13, s0
; %bb.102:                              ;   in Loop: Header=BB148_40 Depth=1
	v_and_b32_e32 v2, 0xffff, v1
	v_or_b32_e32 v3, 0x10000, v1
	s_delay_alu instid0(VALU_DEP_2) | instskip(NEXT) | instid1(VALU_DEP_1)
	v_cmp_eq_u32_e64 s0, 0, v2
	v_cndmask_b32_e64 v32, v3, v1, s0
; %bb.103:                              ;   in Loop: Header=BB148_40 Depth=1
	s_or_b32 exec_lo, exec_lo, s13
	v_and_b32_e32 v50, 0xffff0000, v33
	v_lshlrev_b32_e32 v1, 16, v43
                                        ; implicit-def: $vgpr33
	s_delay_alu instid0(VALU_DEP_1) | instskip(NEXT) | instid1(VALU_DEP_1)
	v_mul_f32_e32 v1, v50, v1
	v_and_b32_e32 v2, 0x7f800000, v1
	s_delay_alu instid0(VALU_DEP_1) | instskip(NEXT) | instid1(VALU_DEP_1)
	v_cmp_ne_u32_e64 s0, 0x7f800000, v2
	s_and_saveexec_b32 s13, s0
	s_delay_alu instid0(SALU_CYCLE_1)
	s_xor_b32 s0, exec_lo, s13
; %bb.104:                              ;   in Loop: Header=BB148_40 Depth=1
	v_bfe_u32 v2, v1, 16, 1
	s_delay_alu instid0(VALU_DEP_1)
	v_add3_u32 v33, v1, v2, 0x7fff
                                        ; implicit-def: $vgpr1
; %bb.105:                              ;   in Loop: Header=BB148_40 Depth=1
	s_and_not1_saveexec_b32 s13, s0
; %bb.106:                              ;   in Loop: Header=BB148_40 Depth=1
	v_and_b32_e32 v2, 0xffff, v1
	v_or_b32_e32 v3, 0x10000, v1
	s_delay_alu instid0(VALU_DEP_2) | instskip(NEXT) | instid1(VALU_DEP_1)
	v_cmp_eq_u32_e64 s0, 0, v2
	v_cndmask_b32_e64 v33, v3, v1, s0
; %bb.107:                              ;   in Loop: Header=BB148_40 Depth=1
	s_or_b32 exec_lo, exec_lo, s13
	global_load_b128 v[1:4], v[8:9], off offset:512
	s_waitcnt vmcnt(0)
	v_lshrrev_b32_e32 v43, 16, v1
	v_lshrrev_b32_e32 v52, 16, v2
	;; [unrolled: 1-line block ×4, first 2 shown]
	s_and_saveexec_b32 s13, vcc_lo
	s_cbranch_execz .LBB148_109
; %bb.108:                              ;   in Loop: Header=BB148_40 Depth=1
	v_cmp_gt_i32_e64 s0, s15, v27
	s_delay_alu instid0(VALU_DEP_1) | instskip(SKIP_1) | instid1(VALU_DEP_1)
	v_cndmask_b32_e64 v1, 0, v1, s0
	v_cmp_gt_i32_e64 s0, s15, v41
	v_cndmask_b32_e64 v43, 0, v43, s0
	v_cmp_gt_i32_e64 s0, s15, v40
	s_delay_alu instid0(VALU_DEP_1) | instskip(SKIP_1) | instid1(VALU_DEP_1)
	v_cndmask_b32_e64 v2, 0, v2, s0
	v_cmp_gt_i32_e64 s0, s15, v38
	v_cndmask_b32_e64 v52, 0, v52, s0
	;; [unrolled: 5-line block ×4, first 2 shown]
.LBB148_109:                            ;   in Loop: Header=BB148_40 Depth=1
	s_or_b32 exec_lo, exec_lo, s13
	v_lshlrev_b32_e32 v1, 16, v1
	s_delay_alu instid0(VALU_DEP_1) | instskip(NEXT) | instid1(VALU_DEP_1)
	v_mul_f32_e32 v1, v42, v1
	v_and_b32_e32 v34, 0x7f800000, v1
	s_delay_alu instid0(VALU_DEP_1) | instskip(NEXT) | instid1(VALU_DEP_1)
	v_cmp_ne_u32_e64 s0, 0x7f800000, v34
                                        ; implicit-def: $vgpr34
	s_and_saveexec_b32 s13, s0
	s_delay_alu instid0(SALU_CYCLE_1)
	s_xor_b32 s0, exec_lo, s13
; %bb.110:                              ;   in Loop: Header=BB148_40 Depth=1
	v_bfe_u32 v34, v1, 16, 1
	s_delay_alu instid0(VALU_DEP_1)
	v_add3_u32 v34, v1, v34, 0x7fff
                                        ; implicit-def: $vgpr1
; %bb.111:                              ;   in Loop: Header=BB148_40 Depth=1
	s_and_not1_saveexec_b32 s13, s0
; %bb.112:                              ;   in Loop: Header=BB148_40 Depth=1
	v_and_b32_e32 v34, 0xffff, v1
	v_or_b32_e32 v51, 0x10000, v1
	s_delay_alu instid0(VALU_DEP_2) | instskip(NEXT) | instid1(VALU_DEP_1)
	v_cmp_eq_u32_e64 s0, 0, v34
	v_cndmask_b32_e64 v34, v51, v1, s0
; %bb.113:                              ;   in Loop: Header=BB148_40 Depth=1
	s_or_b32 exec_lo, exec_lo, s13
	v_lshlrev_b32_e32 v1, 16, v43
	s_delay_alu instid0(VALU_DEP_1) | instskip(NEXT) | instid1(VALU_DEP_1)
	v_mul_f32_e32 v1, v44, v1
	v_and_b32_e32 v43, 0x7f800000, v1
	s_delay_alu instid0(VALU_DEP_1) | instskip(NEXT) | instid1(VALU_DEP_1)
	v_cmp_ne_u32_e64 s0, 0x7f800000, v43
                                        ; implicit-def: $vgpr43
	s_and_saveexec_b32 s13, s0
	s_delay_alu instid0(SALU_CYCLE_1)
	s_xor_b32 s0, exec_lo, s13
; %bb.114:                              ;   in Loop: Header=BB148_40 Depth=1
	v_bfe_u32 v43, v1, 16, 1
	s_delay_alu instid0(VALU_DEP_1)
	v_add3_u32 v43, v1, v43, 0x7fff
                                        ; implicit-def: $vgpr1
; %bb.115:                              ;   in Loop: Header=BB148_40 Depth=1
	s_and_not1_saveexec_b32 s13, s0
; %bb.116:                              ;   in Loop: Header=BB148_40 Depth=1
	v_and_b32_e32 v43, 0xffff, v1
	v_or_b32_e32 v51, 0x10000, v1
	s_delay_alu instid0(VALU_DEP_2) | instskip(NEXT) | instid1(VALU_DEP_1)
	v_cmp_eq_u32_e64 s0, 0, v43
	v_cndmask_b32_e64 v43, v51, v1, s0
; %bb.117:                              ;   in Loop: Header=BB148_40 Depth=1
	s_or_b32 exec_lo, exec_lo, s13
	v_lshlrev_b32_e32 v1, 16, v2
                                        ; implicit-def: $vgpr51
	s_delay_alu instid0(VALU_DEP_1) | instskip(NEXT) | instid1(VALU_DEP_1)
	v_mul_f32_e32 v1, v45, v1
	v_and_b32_e32 v2, 0x7f800000, v1
	s_delay_alu instid0(VALU_DEP_1) | instskip(NEXT) | instid1(VALU_DEP_1)
	v_cmp_ne_u32_e64 s0, 0x7f800000, v2
	s_and_saveexec_b32 s13, s0
	s_delay_alu instid0(SALU_CYCLE_1)
	s_xor_b32 s0, exec_lo, s13
; %bb.118:                              ;   in Loop: Header=BB148_40 Depth=1
	v_bfe_u32 v2, v1, 16, 1
	s_delay_alu instid0(VALU_DEP_1)
	v_add3_u32 v51, v1, v2, 0x7fff
                                        ; implicit-def: $vgpr1
; %bb.119:                              ;   in Loop: Header=BB148_40 Depth=1
	s_and_not1_saveexec_b32 s13, s0
; %bb.120:                              ;   in Loop: Header=BB148_40 Depth=1
	v_and_b32_e32 v2, 0xffff, v1
	v_or_b32_e32 v51, 0x10000, v1
	s_delay_alu instid0(VALU_DEP_2) | instskip(NEXT) | instid1(VALU_DEP_1)
	v_cmp_eq_u32_e64 s0, 0, v2
	v_cndmask_b32_e64 v51, v51, v1, s0
; %bb.121:                              ;   in Loop: Header=BB148_40 Depth=1
	s_or_b32 exec_lo, exec_lo, s13
	v_lshlrev_b32_e32 v1, 16, v52
                                        ; implicit-def: $vgpr52
	s_delay_alu instid0(VALU_DEP_1) | instskip(NEXT) | instid1(VALU_DEP_1)
	v_mul_f32_e32 v1, v46, v1
	v_and_b32_e32 v2, 0x7f800000, v1
	s_delay_alu instid0(VALU_DEP_1) | instskip(NEXT) | instid1(VALU_DEP_1)
	v_cmp_ne_u32_e64 s0, 0x7f800000, v2
	s_and_saveexec_b32 s13, s0
	s_delay_alu instid0(SALU_CYCLE_1)
	s_xor_b32 s0, exec_lo, s13
; %bb.122:                              ;   in Loop: Header=BB148_40 Depth=1
	v_bfe_u32 v2, v1, 16, 1
	s_delay_alu instid0(VALU_DEP_1)
	v_add3_u32 v52, v1, v2, 0x7fff
                                        ; implicit-def: $vgpr1
; %bb.123:                              ;   in Loop: Header=BB148_40 Depth=1
	s_and_not1_saveexec_b32 s13, s0
; %bb.124:                              ;   in Loop: Header=BB148_40 Depth=1
	v_and_b32_e32 v2, 0xffff, v1
	v_or_b32_e32 v52, 0x10000, v1
	s_delay_alu instid0(VALU_DEP_2) | instskip(NEXT) | instid1(VALU_DEP_1)
	v_cmp_eq_u32_e64 s0, 0, v2
	v_cndmask_b32_e64 v52, v52, v1, s0
; %bb.125:                              ;   in Loop: Header=BB148_40 Depth=1
	s_or_b32 exec_lo, exec_lo, s13
	v_lshlrev_b32_e32 v1, 16, v3
                                        ; implicit-def: $vgpr53
	s_delay_alu instid0(VALU_DEP_1) | instskip(NEXT) | instid1(VALU_DEP_1)
	v_mul_f32_e32 v1, v47, v1
	v_and_b32_e32 v2, 0x7f800000, v1
	s_delay_alu instid0(VALU_DEP_1) | instskip(NEXT) | instid1(VALU_DEP_1)
	v_cmp_ne_u32_e64 s0, 0x7f800000, v2
	s_and_saveexec_b32 s13, s0
	s_delay_alu instid0(SALU_CYCLE_1)
	s_xor_b32 s0, exec_lo, s13
; %bb.126:                              ;   in Loop: Header=BB148_40 Depth=1
	v_bfe_u32 v2, v1, 16, 1
	s_delay_alu instid0(VALU_DEP_1)
	v_add3_u32 v53, v1, v2, 0x7fff
                                        ; implicit-def: $vgpr1
; %bb.127:                              ;   in Loop: Header=BB148_40 Depth=1
	s_and_not1_saveexec_b32 s13, s0
; %bb.128:                              ;   in Loop: Header=BB148_40 Depth=1
	v_and_b32_e32 v2, 0xffff, v1
	v_or_b32_e32 v3, 0x10000, v1
	s_delay_alu instid0(VALU_DEP_2) | instskip(NEXT) | instid1(VALU_DEP_1)
	v_cmp_eq_u32_e64 s0, 0, v2
	v_cndmask_b32_e64 v53, v3, v1, s0
; %bb.129:                              ;   in Loop: Header=BB148_40 Depth=1
	s_or_b32 exec_lo, exec_lo, s13
	v_lshlrev_b32_e32 v1, 16, v54
                                        ; implicit-def: $vgpr54
	s_delay_alu instid0(VALU_DEP_1) | instskip(NEXT) | instid1(VALU_DEP_1)
	v_mul_f32_e32 v1, v48, v1
	v_and_b32_e32 v2, 0x7f800000, v1
	s_delay_alu instid0(VALU_DEP_1) | instskip(NEXT) | instid1(VALU_DEP_1)
	v_cmp_ne_u32_e64 s0, 0x7f800000, v2
	s_and_saveexec_b32 s13, s0
	s_delay_alu instid0(SALU_CYCLE_1)
	s_xor_b32 s0, exec_lo, s13
; %bb.130:                              ;   in Loop: Header=BB148_40 Depth=1
	v_bfe_u32 v2, v1, 16, 1
	s_delay_alu instid0(VALU_DEP_1)
	v_add3_u32 v54, v1, v2, 0x7fff
                                        ; implicit-def: $vgpr1
; %bb.131:                              ;   in Loop: Header=BB148_40 Depth=1
	s_and_not1_saveexec_b32 s13, s0
; %bb.132:                              ;   in Loop: Header=BB148_40 Depth=1
	v_and_b32_e32 v2, 0xffff, v1
	v_or_b32_e32 v3, 0x10000, v1
	s_delay_alu instid0(VALU_DEP_2) | instskip(NEXT) | instid1(VALU_DEP_1)
	v_cmp_eq_u32_e64 s0, 0, v2
	v_cndmask_b32_e64 v54, v3, v1, s0
; %bb.133:                              ;   in Loop: Header=BB148_40 Depth=1
	s_or_b32 exec_lo, exec_lo, s13
	v_lshlrev_b32_e32 v1, 16, v4
                                        ; implicit-def: $vgpr55
	s_delay_alu instid0(VALU_DEP_1) | instskip(NEXT) | instid1(VALU_DEP_1)
	v_mul_f32_e32 v1, v49, v1
	v_and_b32_e32 v2, 0x7f800000, v1
	s_delay_alu instid0(VALU_DEP_1) | instskip(NEXT) | instid1(VALU_DEP_1)
	v_cmp_ne_u32_e64 s0, 0x7f800000, v2
	s_and_saveexec_b32 s13, s0
	s_delay_alu instid0(SALU_CYCLE_1)
	s_xor_b32 s0, exec_lo, s13
; %bb.134:                              ;   in Loop: Header=BB148_40 Depth=1
	v_bfe_u32 v2, v1, 16, 1
	s_delay_alu instid0(VALU_DEP_1)
	v_add3_u32 v55, v1, v2, 0x7fff
                                        ; implicit-def: $vgpr1
; %bb.135:                              ;   in Loop: Header=BB148_40 Depth=1
	s_and_not1_saveexec_b32 s13, s0
; %bb.136:                              ;   in Loop: Header=BB148_40 Depth=1
	v_and_b32_e32 v2, 0xffff, v1
	v_or_b32_e32 v3, 0x10000, v1
	s_delay_alu instid0(VALU_DEP_2) | instskip(NEXT) | instid1(VALU_DEP_1)
	v_cmp_eq_u32_e64 s0, 0, v2
	v_cndmask_b32_e64 v55, v3, v1, s0
; %bb.137:                              ;   in Loop: Header=BB148_40 Depth=1
	s_or_b32 exec_lo, exec_lo, s13
	v_lshlrev_b32_e32 v1, 16, v56
                                        ; implicit-def: $vgpr56
	s_delay_alu instid0(VALU_DEP_1) | instskip(NEXT) | instid1(VALU_DEP_1)
	v_mul_f32_e32 v1, v50, v1
	v_and_b32_e32 v2, 0x7f800000, v1
	s_delay_alu instid0(VALU_DEP_1) | instskip(NEXT) | instid1(VALU_DEP_1)
	v_cmp_ne_u32_e64 s0, 0x7f800000, v2
	s_and_saveexec_b32 s13, s0
	s_delay_alu instid0(SALU_CYCLE_1)
	s_xor_b32 s0, exec_lo, s13
; %bb.138:                              ;   in Loop: Header=BB148_40 Depth=1
	v_bfe_u32 v2, v1, 16, 1
	s_delay_alu instid0(VALU_DEP_1)
	v_add3_u32 v56, v1, v2, 0x7fff
                                        ; implicit-def: $vgpr1
; %bb.139:                              ;   in Loop: Header=BB148_40 Depth=1
	s_and_not1_saveexec_b32 s13, s0
; %bb.140:                              ;   in Loop: Header=BB148_40 Depth=1
	v_and_b32_e32 v2, 0xffff, v1
	v_or_b32_e32 v3, 0x10000, v1
	s_delay_alu instid0(VALU_DEP_2) | instskip(NEXT) | instid1(VALU_DEP_1)
	v_cmp_eq_u32_e64 s0, 0, v2
	v_cndmask_b32_e64 v56, v3, v1, s0
; %bb.141:                              ;   in Loop: Header=BB148_40 Depth=1
	s_or_b32 exec_lo, exec_lo, s13
	global_load_b128 v[1:4], v[8:9], off offset:1024
	s_waitcnt vmcnt(0)
	v_lshrrev_b32_e32 v58, 16, v1
	v_lshrrev_b32_e32 v60, 16, v2
	;; [unrolled: 1-line block ×4, first 2 shown]
	s_and_saveexec_b32 s13, vcc_lo
	s_cbranch_execz .LBB148_143
; %bb.142:                              ;   in Loop: Header=BB148_40 Depth=1
	v_cmp_gt_i32_e64 s0, s15, v27
	s_delay_alu instid0(VALU_DEP_1) | instskip(SKIP_1) | instid1(VALU_DEP_1)
	v_cndmask_b32_e64 v1, 0, v1, s0
	v_cmp_gt_i32_e64 s0, s15, v41
	v_cndmask_b32_e64 v58, 0, v58, s0
	v_cmp_gt_i32_e64 s0, s15, v40
	s_delay_alu instid0(VALU_DEP_1) | instskip(SKIP_1) | instid1(VALU_DEP_1)
	v_cndmask_b32_e64 v2, 0, v2, s0
	v_cmp_gt_i32_e64 s0, s15, v38
	v_cndmask_b32_e64 v60, 0, v60, s0
	v_cmp_gt_i32_e64 s0, s15, v37
	s_delay_alu instid0(VALU_DEP_1) | instskip(SKIP_1) | instid1(VALU_DEP_1)
	v_cndmask_b32_e64 v3, 0, v3, s0
	v_cmp_gt_i32_e64 s0, s15, v36
	v_cndmask_b32_e64 v62, 0, v62, s0
	v_cmp_gt_i32_e64 s0, s15, v35
	s_delay_alu instid0(VALU_DEP_1) | instskip(SKIP_1) | instid1(VALU_DEP_1)
	v_cndmask_b32_e64 v4, 0, v4, s0
	v_cmp_gt_i32_e64 s0, s15, v39
	v_cndmask_b32_e64 v64, 0, v64, s0
.LBB148_143:                            ;   in Loop: Header=BB148_40 Depth=1
	s_or_b32 exec_lo, exec_lo, s13
	v_lshlrev_b32_e32 v1, 16, v1
	s_delay_alu instid0(VALU_DEP_1) | instskip(NEXT) | instid1(VALU_DEP_1)
	v_mul_f32_e32 v1, v42, v1
	v_and_b32_e32 v57, 0x7f800000, v1
	s_delay_alu instid0(VALU_DEP_1) | instskip(NEXT) | instid1(VALU_DEP_1)
	v_cmp_ne_u32_e64 s0, 0x7f800000, v57
                                        ; implicit-def: $vgpr57
	s_and_saveexec_b32 s13, s0
	s_delay_alu instid0(SALU_CYCLE_1)
	s_xor_b32 s0, exec_lo, s13
; %bb.144:                              ;   in Loop: Header=BB148_40 Depth=1
	v_bfe_u32 v57, v1, 16, 1
	s_delay_alu instid0(VALU_DEP_1)
	v_add3_u32 v57, v1, v57, 0x7fff
                                        ; implicit-def: $vgpr1
; %bb.145:                              ;   in Loop: Header=BB148_40 Depth=1
	s_and_not1_saveexec_b32 s13, s0
; %bb.146:                              ;   in Loop: Header=BB148_40 Depth=1
	v_and_b32_e32 v57, 0xffff, v1
	v_or_b32_e32 v59, 0x10000, v1
	s_delay_alu instid0(VALU_DEP_2) | instskip(NEXT) | instid1(VALU_DEP_1)
	v_cmp_eq_u32_e64 s0, 0, v57
	v_cndmask_b32_e64 v57, v59, v1, s0
; %bb.147:                              ;   in Loop: Header=BB148_40 Depth=1
	s_or_b32 exec_lo, exec_lo, s13
	v_lshlrev_b32_e32 v1, 16, v58
	s_delay_alu instid0(VALU_DEP_1) | instskip(NEXT) | instid1(VALU_DEP_1)
	v_mul_f32_e32 v1, v44, v1
	v_and_b32_e32 v58, 0x7f800000, v1
	s_delay_alu instid0(VALU_DEP_1) | instskip(NEXT) | instid1(VALU_DEP_1)
	v_cmp_ne_u32_e64 s0, 0x7f800000, v58
                                        ; implicit-def: $vgpr58
	s_and_saveexec_b32 s13, s0
	s_delay_alu instid0(SALU_CYCLE_1)
	s_xor_b32 s0, exec_lo, s13
; %bb.148:                              ;   in Loop: Header=BB148_40 Depth=1
	v_bfe_u32 v58, v1, 16, 1
	s_delay_alu instid0(VALU_DEP_1)
	v_add3_u32 v58, v1, v58, 0x7fff
                                        ; implicit-def: $vgpr1
; %bb.149:                              ;   in Loop: Header=BB148_40 Depth=1
	s_and_not1_saveexec_b32 s13, s0
; %bb.150:                              ;   in Loop: Header=BB148_40 Depth=1
	v_and_b32_e32 v58, 0xffff, v1
	v_or_b32_e32 v59, 0x10000, v1
	s_delay_alu instid0(VALU_DEP_2) | instskip(NEXT) | instid1(VALU_DEP_1)
	v_cmp_eq_u32_e64 s0, 0, v58
	v_cndmask_b32_e64 v58, v59, v1, s0
; %bb.151:                              ;   in Loop: Header=BB148_40 Depth=1
	s_or_b32 exec_lo, exec_lo, s13
	v_lshlrev_b32_e32 v1, 16, v2
                                        ; implicit-def: $vgpr59
	s_delay_alu instid0(VALU_DEP_1) | instskip(NEXT) | instid1(VALU_DEP_1)
	v_mul_f32_e32 v1, v45, v1
	v_and_b32_e32 v2, 0x7f800000, v1
	s_delay_alu instid0(VALU_DEP_1) | instskip(NEXT) | instid1(VALU_DEP_1)
	v_cmp_ne_u32_e64 s0, 0x7f800000, v2
	s_and_saveexec_b32 s13, s0
	s_delay_alu instid0(SALU_CYCLE_1)
	s_xor_b32 s0, exec_lo, s13
; %bb.152:                              ;   in Loop: Header=BB148_40 Depth=1
	v_bfe_u32 v2, v1, 16, 1
	s_delay_alu instid0(VALU_DEP_1)
	v_add3_u32 v59, v1, v2, 0x7fff
                                        ; implicit-def: $vgpr1
; %bb.153:                              ;   in Loop: Header=BB148_40 Depth=1
	s_and_not1_saveexec_b32 s13, s0
; %bb.154:                              ;   in Loop: Header=BB148_40 Depth=1
	v_and_b32_e32 v2, 0xffff, v1
	v_or_b32_e32 v59, 0x10000, v1
	s_delay_alu instid0(VALU_DEP_2) | instskip(NEXT) | instid1(VALU_DEP_1)
	v_cmp_eq_u32_e64 s0, 0, v2
	v_cndmask_b32_e64 v59, v59, v1, s0
; %bb.155:                              ;   in Loop: Header=BB148_40 Depth=1
	s_or_b32 exec_lo, exec_lo, s13
	v_lshlrev_b32_e32 v1, 16, v60
                                        ; implicit-def: $vgpr60
	s_delay_alu instid0(VALU_DEP_1) | instskip(NEXT) | instid1(VALU_DEP_1)
	v_mul_f32_e32 v1, v46, v1
	v_and_b32_e32 v2, 0x7f800000, v1
	s_delay_alu instid0(VALU_DEP_1) | instskip(NEXT) | instid1(VALU_DEP_1)
	v_cmp_ne_u32_e64 s0, 0x7f800000, v2
	s_and_saveexec_b32 s13, s0
	s_delay_alu instid0(SALU_CYCLE_1)
	s_xor_b32 s0, exec_lo, s13
; %bb.156:                              ;   in Loop: Header=BB148_40 Depth=1
	v_bfe_u32 v2, v1, 16, 1
	s_delay_alu instid0(VALU_DEP_1)
	v_add3_u32 v60, v1, v2, 0x7fff
                                        ; implicit-def: $vgpr1
; %bb.157:                              ;   in Loop: Header=BB148_40 Depth=1
	s_and_not1_saveexec_b32 s13, s0
; %bb.158:                              ;   in Loop: Header=BB148_40 Depth=1
	v_and_b32_e32 v2, 0xffff, v1
	v_or_b32_e32 v60, 0x10000, v1
	s_delay_alu instid0(VALU_DEP_2) | instskip(NEXT) | instid1(VALU_DEP_1)
	v_cmp_eq_u32_e64 s0, 0, v2
	v_cndmask_b32_e64 v60, v60, v1, s0
; %bb.159:                              ;   in Loop: Header=BB148_40 Depth=1
	s_or_b32 exec_lo, exec_lo, s13
	v_lshlrev_b32_e32 v1, 16, v3
                                        ; implicit-def: $vgpr61
	s_delay_alu instid0(VALU_DEP_1) | instskip(NEXT) | instid1(VALU_DEP_1)
	v_mul_f32_e32 v1, v47, v1
	v_and_b32_e32 v2, 0x7f800000, v1
	s_delay_alu instid0(VALU_DEP_1) | instskip(NEXT) | instid1(VALU_DEP_1)
	v_cmp_ne_u32_e64 s0, 0x7f800000, v2
	s_and_saveexec_b32 s13, s0
	s_delay_alu instid0(SALU_CYCLE_1)
	s_xor_b32 s0, exec_lo, s13
; %bb.160:                              ;   in Loop: Header=BB148_40 Depth=1
	v_bfe_u32 v2, v1, 16, 1
	s_delay_alu instid0(VALU_DEP_1)
	v_add3_u32 v61, v1, v2, 0x7fff
                                        ; implicit-def: $vgpr1
; %bb.161:                              ;   in Loop: Header=BB148_40 Depth=1
	s_and_not1_saveexec_b32 s13, s0
; %bb.162:                              ;   in Loop: Header=BB148_40 Depth=1
	v_and_b32_e32 v2, 0xffff, v1
	v_or_b32_e32 v3, 0x10000, v1
	s_delay_alu instid0(VALU_DEP_2) | instskip(NEXT) | instid1(VALU_DEP_1)
	v_cmp_eq_u32_e64 s0, 0, v2
	v_cndmask_b32_e64 v61, v3, v1, s0
; %bb.163:                              ;   in Loop: Header=BB148_40 Depth=1
	s_or_b32 exec_lo, exec_lo, s13
	v_lshlrev_b32_e32 v1, 16, v62
                                        ; implicit-def: $vgpr62
	s_delay_alu instid0(VALU_DEP_1) | instskip(NEXT) | instid1(VALU_DEP_1)
	v_mul_f32_e32 v1, v48, v1
	v_and_b32_e32 v2, 0x7f800000, v1
	s_delay_alu instid0(VALU_DEP_1) | instskip(NEXT) | instid1(VALU_DEP_1)
	v_cmp_ne_u32_e64 s0, 0x7f800000, v2
	s_and_saveexec_b32 s13, s0
	s_delay_alu instid0(SALU_CYCLE_1)
	s_xor_b32 s0, exec_lo, s13
; %bb.164:                              ;   in Loop: Header=BB148_40 Depth=1
	v_bfe_u32 v2, v1, 16, 1
	s_delay_alu instid0(VALU_DEP_1)
	v_add3_u32 v62, v1, v2, 0x7fff
                                        ; implicit-def: $vgpr1
; %bb.165:                              ;   in Loop: Header=BB148_40 Depth=1
	s_and_not1_saveexec_b32 s13, s0
; %bb.166:                              ;   in Loop: Header=BB148_40 Depth=1
	v_and_b32_e32 v2, 0xffff, v1
	v_or_b32_e32 v3, 0x10000, v1
	s_delay_alu instid0(VALU_DEP_2) | instskip(NEXT) | instid1(VALU_DEP_1)
	v_cmp_eq_u32_e64 s0, 0, v2
	v_cndmask_b32_e64 v62, v3, v1, s0
; %bb.167:                              ;   in Loop: Header=BB148_40 Depth=1
	s_or_b32 exec_lo, exec_lo, s13
	v_lshlrev_b32_e32 v1, 16, v4
                                        ; implicit-def: $vgpr63
	s_delay_alu instid0(VALU_DEP_1) | instskip(NEXT) | instid1(VALU_DEP_1)
	v_mul_f32_e32 v1, v49, v1
	v_and_b32_e32 v2, 0x7f800000, v1
	s_delay_alu instid0(VALU_DEP_1) | instskip(NEXT) | instid1(VALU_DEP_1)
	v_cmp_ne_u32_e64 s0, 0x7f800000, v2
	s_and_saveexec_b32 s13, s0
	s_delay_alu instid0(SALU_CYCLE_1)
	s_xor_b32 s0, exec_lo, s13
; %bb.168:                              ;   in Loop: Header=BB148_40 Depth=1
	v_bfe_u32 v2, v1, 16, 1
	s_delay_alu instid0(VALU_DEP_1)
	v_add3_u32 v63, v1, v2, 0x7fff
                                        ; implicit-def: $vgpr1
; %bb.169:                              ;   in Loop: Header=BB148_40 Depth=1
	s_and_not1_saveexec_b32 s13, s0
; %bb.170:                              ;   in Loop: Header=BB148_40 Depth=1
	v_and_b32_e32 v2, 0xffff, v1
	v_or_b32_e32 v3, 0x10000, v1
	s_delay_alu instid0(VALU_DEP_2) | instskip(NEXT) | instid1(VALU_DEP_1)
	v_cmp_eq_u32_e64 s0, 0, v2
	v_cndmask_b32_e64 v63, v3, v1, s0
; %bb.171:                              ;   in Loop: Header=BB148_40 Depth=1
	s_or_b32 exec_lo, exec_lo, s13
	v_lshlrev_b32_e32 v1, 16, v64
                                        ; implicit-def: $vgpr64
	s_delay_alu instid0(VALU_DEP_1) | instskip(NEXT) | instid1(VALU_DEP_1)
	v_mul_f32_e32 v1, v50, v1
	v_and_b32_e32 v2, 0x7f800000, v1
	s_delay_alu instid0(VALU_DEP_1) | instskip(NEXT) | instid1(VALU_DEP_1)
	v_cmp_ne_u32_e64 s0, 0x7f800000, v2
	s_and_saveexec_b32 s13, s0
	s_delay_alu instid0(SALU_CYCLE_1)
	s_xor_b32 s0, exec_lo, s13
; %bb.172:                              ;   in Loop: Header=BB148_40 Depth=1
	v_bfe_u32 v2, v1, 16, 1
	s_delay_alu instid0(VALU_DEP_1)
	v_add3_u32 v64, v1, v2, 0x7fff
                                        ; implicit-def: $vgpr1
; %bb.173:                              ;   in Loop: Header=BB148_40 Depth=1
	s_and_not1_saveexec_b32 s13, s0
; %bb.174:                              ;   in Loop: Header=BB148_40 Depth=1
	v_and_b32_e32 v2, 0xffff, v1
	v_or_b32_e32 v3, 0x10000, v1
	s_delay_alu instid0(VALU_DEP_2) | instskip(NEXT) | instid1(VALU_DEP_1)
	v_cmp_eq_u32_e64 s0, 0, v2
	v_cndmask_b32_e64 v64, v3, v1, s0
; %bb.175:                              ;   in Loop: Header=BB148_40 Depth=1
	s_or_b32 exec_lo, exec_lo, s13
	global_load_b128 v[1:4], v[8:9], off offset:1536
	s_waitcnt vmcnt(0)
	v_lshrrev_b32_e32 v66, 16, v1
	v_lshrrev_b32_e32 v68, 16, v2
	;; [unrolled: 1-line block ×4, first 2 shown]
	s_and_saveexec_b32 s13, vcc_lo
	s_cbranch_execz .LBB148_177
; %bb.176:                              ;   in Loop: Header=BB148_40 Depth=1
	v_cmp_gt_i32_e64 s0, s15, v27
	s_delay_alu instid0(VALU_DEP_1) | instskip(SKIP_1) | instid1(VALU_DEP_1)
	v_cndmask_b32_e64 v1, 0, v1, s0
	v_cmp_gt_i32_e64 s0, s15, v41
	v_cndmask_b32_e64 v66, 0, v66, s0
	v_cmp_gt_i32_e64 s0, s15, v40
	s_delay_alu instid0(VALU_DEP_1) | instskip(SKIP_1) | instid1(VALU_DEP_1)
	v_cndmask_b32_e64 v2, 0, v2, s0
	v_cmp_gt_i32_e64 s0, s15, v38
	v_cndmask_b32_e64 v68, 0, v68, s0
	v_cmp_gt_i32_e64 s0, s15, v37
	s_delay_alu instid0(VALU_DEP_1) | instskip(SKIP_1) | instid1(VALU_DEP_1)
	v_cndmask_b32_e64 v3, 0, v3, s0
	v_cmp_gt_i32_e64 s0, s15, v36
	v_cndmask_b32_e64 v70, 0, v70, s0
	v_cmp_gt_i32_e64 s0, s15, v35
	s_delay_alu instid0(VALU_DEP_1) | instskip(SKIP_1) | instid1(VALU_DEP_1)
	v_cndmask_b32_e64 v4, 0, v4, s0
	v_cmp_gt_i32_e64 s0, s15, v39
	v_cndmask_b32_e64 v72, 0, v72, s0
.LBB148_177:                            ;   in Loop: Header=BB148_40 Depth=1
	s_or_b32 exec_lo, exec_lo, s13
	v_lshlrev_b32_e32 v1, 16, v1
	s_delay_alu instid0(VALU_DEP_1) | instskip(NEXT) | instid1(VALU_DEP_1)
	v_mul_f32_e32 v1, v42, v1
	v_and_b32_e32 v65, 0x7f800000, v1
	s_delay_alu instid0(VALU_DEP_1) | instskip(NEXT) | instid1(VALU_DEP_1)
	v_cmp_ne_u32_e64 s0, 0x7f800000, v65
                                        ; implicit-def: $vgpr65
	s_and_saveexec_b32 s13, s0
	s_delay_alu instid0(SALU_CYCLE_1)
	s_xor_b32 s0, exec_lo, s13
; %bb.178:                              ;   in Loop: Header=BB148_40 Depth=1
	v_bfe_u32 v65, v1, 16, 1
	s_delay_alu instid0(VALU_DEP_1)
	v_add3_u32 v65, v1, v65, 0x7fff
                                        ; implicit-def: $vgpr1
; %bb.179:                              ;   in Loop: Header=BB148_40 Depth=1
	s_and_not1_saveexec_b32 s13, s0
; %bb.180:                              ;   in Loop: Header=BB148_40 Depth=1
	v_and_b32_e32 v65, 0xffff, v1
	v_or_b32_e32 v67, 0x10000, v1
	s_delay_alu instid0(VALU_DEP_2) | instskip(NEXT) | instid1(VALU_DEP_1)
	v_cmp_eq_u32_e64 s0, 0, v65
	v_cndmask_b32_e64 v65, v67, v1, s0
; %bb.181:                              ;   in Loop: Header=BB148_40 Depth=1
	s_or_b32 exec_lo, exec_lo, s13
	v_lshlrev_b32_e32 v1, 16, v66
	s_delay_alu instid0(VALU_DEP_1) | instskip(NEXT) | instid1(VALU_DEP_1)
	v_mul_f32_e32 v1, v44, v1
	v_and_b32_e32 v66, 0x7f800000, v1
	s_delay_alu instid0(VALU_DEP_1) | instskip(NEXT) | instid1(VALU_DEP_1)
	v_cmp_ne_u32_e64 s0, 0x7f800000, v66
                                        ; implicit-def: $vgpr66
	s_and_saveexec_b32 s13, s0
	s_delay_alu instid0(SALU_CYCLE_1)
	s_xor_b32 s0, exec_lo, s13
; %bb.182:                              ;   in Loop: Header=BB148_40 Depth=1
	v_bfe_u32 v66, v1, 16, 1
	s_delay_alu instid0(VALU_DEP_1)
	v_add3_u32 v66, v1, v66, 0x7fff
                                        ; implicit-def: $vgpr1
; %bb.183:                              ;   in Loop: Header=BB148_40 Depth=1
	s_and_not1_saveexec_b32 s13, s0
; %bb.184:                              ;   in Loop: Header=BB148_40 Depth=1
	v_and_b32_e32 v66, 0xffff, v1
	v_or_b32_e32 v67, 0x10000, v1
	s_delay_alu instid0(VALU_DEP_2) | instskip(NEXT) | instid1(VALU_DEP_1)
	v_cmp_eq_u32_e64 s0, 0, v66
	v_cndmask_b32_e64 v66, v67, v1, s0
; %bb.185:                              ;   in Loop: Header=BB148_40 Depth=1
	s_or_b32 exec_lo, exec_lo, s13
	v_lshlrev_b32_e32 v1, 16, v2
                                        ; implicit-def: $vgpr67
	s_delay_alu instid0(VALU_DEP_1) | instskip(NEXT) | instid1(VALU_DEP_1)
	v_mul_f32_e32 v1, v45, v1
	v_and_b32_e32 v2, 0x7f800000, v1
	s_delay_alu instid0(VALU_DEP_1) | instskip(NEXT) | instid1(VALU_DEP_1)
	v_cmp_ne_u32_e64 s0, 0x7f800000, v2
	s_and_saveexec_b32 s13, s0
	s_delay_alu instid0(SALU_CYCLE_1)
	s_xor_b32 s0, exec_lo, s13
; %bb.186:                              ;   in Loop: Header=BB148_40 Depth=1
	v_bfe_u32 v2, v1, 16, 1
	s_delay_alu instid0(VALU_DEP_1)
	v_add3_u32 v67, v1, v2, 0x7fff
                                        ; implicit-def: $vgpr1
; %bb.187:                              ;   in Loop: Header=BB148_40 Depth=1
	s_and_not1_saveexec_b32 s13, s0
; %bb.188:                              ;   in Loop: Header=BB148_40 Depth=1
	v_and_b32_e32 v2, 0xffff, v1
	v_or_b32_e32 v67, 0x10000, v1
	s_delay_alu instid0(VALU_DEP_2) | instskip(NEXT) | instid1(VALU_DEP_1)
	v_cmp_eq_u32_e64 s0, 0, v2
	v_cndmask_b32_e64 v67, v67, v1, s0
; %bb.189:                              ;   in Loop: Header=BB148_40 Depth=1
	s_or_b32 exec_lo, exec_lo, s13
	v_lshlrev_b32_e32 v1, 16, v68
                                        ; implicit-def: $vgpr68
	s_delay_alu instid0(VALU_DEP_1) | instskip(NEXT) | instid1(VALU_DEP_1)
	v_mul_f32_e32 v1, v46, v1
	v_and_b32_e32 v2, 0x7f800000, v1
	s_delay_alu instid0(VALU_DEP_1) | instskip(NEXT) | instid1(VALU_DEP_1)
	v_cmp_ne_u32_e64 s0, 0x7f800000, v2
	s_and_saveexec_b32 s13, s0
	s_delay_alu instid0(SALU_CYCLE_1)
	s_xor_b32 s0, exec_lo, s13
; %bb.190:                              ;   in Loop: Header=BB148_40 Depth=1
	v_bfe_u32 v2, v1, 16, 1
	s_delay_alu instid0(VALU_DEP_1)
	v_add3_u32 v68, v1, v2, 0x7fff
                                        ; implicit-def: $vgpr1
; %bb.191:                              ;   in Loop: Header=BB148_40 Depth=1
	s_and_not1_saveexec_b32 s13, s0
; %bb.192:                              ;   in Loop: Header=BB148_40 Depth=1
	v_and_b32_e32 v2, 0xffff, v1
	v_or_b32_e32 v68, 0x10000, v1
	s_delay_alu instid0(VALU_DEP_2) | instskip(NEXT) | instid1(VALU_DEP_1)
	v_cmp_eq_u32_e64 s0, 0, v2
	v_cndmask_b32_e64 v68, v68, v1, s0
; %bb.193:                              ;   in Loop: Header=BB148_40 Depth=1
	s_or_b32 exec_lo, exec_lo, s13
	v_lshlrev_b32_e32 v1, 16, v3
                                        ; implicit-def: $vgpr69
	s_delay_alu instid0(VALU_DEP_1) | instskip(NEXT) | instid1(VALU_DEP_1)
	v_mul_f32_e32 v1, v47, v1
	v_and_b32_e32 v2, 0x7f800000, v1
	s_delay_alu instid0(VALU_DEP_1) | instskip(NEXT) | instid1(VALU_DEP_1)
	v_cmp_ne_u32_e64 s0, 0x7f800000, v2
	s_and_saveexec_b32 s13, s0
	s_delay_alu instid0(SALU_CYCLE_1)
	s_xor_b32 s0, exec_lo, s13
; %bb.194:                              ;   in Loop: Header=BB148_40 Depth=1
	v_bfe_u32 v2, v1, 16, 1
	s_delay_alu instid0(VALU_DEP_1)
	v_add3_u32 v69, v1, v2, 0x7fff
                                        ; implicit-def: $vgpr1
; %bb.195:                              ;   in Loop: Header=BB148_40 Depth=1
	s_and_not1_saveexec_b32 s13, s0
; %bb.196:                              ;   in Loop: Header=BB148_40 Depth=1
	v_and_b32_e32 v2, 0xffff, v1
	v_or_b32_e32 v3, 0x10000, v1
	s_delay_alu instid0(VALU_DEP_2) | instskip(NEXT) | instid1(VALU_DEP_1)
	v_cmp_eq_u32_e64 s0, 0, v2
	v_cndmask_b32_e64 v69, v3, v1, s0
; %bb.197:                              ;   in Loop: Header=BB148_40 Depth=1
	s_or_b32 exec_lo, exec_lo, s13
	v_lshlrev_b32_e32 v1, 16, v70
                                        ; implicit-def: $vgpr70
	s_delay_alu instid0(VALU_DEP_1) | instskip(NEXT) | instid1(VALU_DEP_1)
	v_mul_f32_e32 v1, v48, v1
	v_and_b32_e32 v2, 0x7f800000, v1
	s_delay_alu instid0(VALU_DEP_1) | instskip(NEXT) | instid1(VALU_DEP_1)
	v_cmp_ne_u32_e64 s0, 0x7f800000, v2
	s_and_saveexec_b32 s13, s0
	s_delay_alu instid0(SALU_CYCLE_1)
	s_xor_b32 s0, exec_lo, s13
; %bb.198:                              ;   in Loop: Header=BB148_40 Depth=1
	v_bfe_u32 v2, v1, 16, 1
	s_delay_alu instid0(VALU_DEP_1)
	v_add3_u32 v70, v1, v2, 0x7fff
                                        ; implicit-def: $vgpr1
; %bb.199:                              ;   in Loop: Header=BB148_40 Depth=1
	s_and_not1_saveexec_b32 s13, s0
; %bb.200:                              ;   in Loop: Header=BB148_40 Depth=1
	v_and_b32_e32 v2, 0xffff, v1
	v_or_b32_e32 v3, 0x10000, v1
	s_delay_alu instid0(VALU_DEP_2) | instskip(NEXT) | instid1(VALU_DEP_1)
	v_cmp_eq_u32_e64 s0, 0, v2
	v_cndmask_b32_e64 v70, v3, v1, s0
; %bb.201:                              ;   in Loop: Header=BB148_40 Depth=1
	s_or_b32 exec_lo, exec_lo, s13
	v_lshlrev_b32_e32 v1, 16, v4
                                        ; implicit-def: $vgpr71
	s_delay_alu instid0(VALU_DEP_1) | instskip(NEXT) | instid1(VALU_DEP_1)
	v_mul_f32_e32 v1, v49, v1
	v_and_b32_e32 v2, 0x7f800000, v1
	s_delay_alu instid0(VALU_DEP_1) | instskip(NEXT) | instid1(VALU_DEP_1)
	v_cmp_ne_u32_e64 s0, 0x7f800000, v2
	s_and_saveexec_b32 s13, s0
	s_delay_alu instid0(SALU_CYCLE_1)
	s_xor_b32 s0, exec_lo, s13
; %bb.202:                              ;   in Loop: Header=BB148_40 Depth=1
	v_bfe_u32 v2, v1, 16, 1
	s_delay_alu instid0(VALU_DEP_1)
	v_add3_u32 v71, v1, v2, 0x7fff
                                        ; implicit-def: $vgpr1
; %bb.203:                              ;   in Loop: Header=BB148_40 Depth=1
	s_and_not1_saveexec_b32 s13, s0
; %bb.204:                              ;   in Loop: Header=BB148_40 Depth=1
	v_and_b32_e32 v2, 0xffff, v1
	v_or_b32_e32 v3, 0x10000, v1
	s_delay_alu instid0(VALU_DEP_2) | instskip(NEXT) | instid1(VALU_DEP_1)
	v_cmp_eq_u32_e64 s0, 0, v2
	v_cndmask_b32_e64 v71, v3, v1, s0
; %bb.205:                              ;   in Loop: Header=BB148_40 Depth=1
	s_or_b32 exec_lo, exec_lo, s13
	v_lshlrev_b32_e32 v1, 16, v72
                                        ; implicit-def: $vgpr72
	s_delay_alu instid0(VALU_DEP_1) | instskip(NEXT) | instid1(VALU_DEP_1)
	v_mul_f32_e32 v1, v50, v1
	v_and_b32_e32 v2, 0x7f800000, v1
	s_delay_alu instid0(VALU_DEP_1) | instskip(NEXT) | instid1(VALU_DEP_1)
	v_cmp_ne_u32_e64 s0, 0x7f800000, v2
	s_and_saveexec_b32 s13, s0
	s_delay_alu instid0(SALU_CYCLE_1)
	s_xor_b32 s0, exec_lo, s13
; %bb.206:                              ;   in Loop: Header=BB148_40 Depth=1
	v_bfe_u32 v2, v1, 16, 1
	s_delay_alu instid0(VALU_DEP_1)
	v_add3_u32 v72, v1, v2, 0x7fff
                                        ; implicit-def: $vgpr1
; %bb.207:                              ;   in Loop: Header=BB148_40 Depth=1
	s_and_not1_saveexec_b32 s13, s0
; %bb.208:                              ;   in Loop: Header=BB148_40 Depth=1
	v_and_b32_e32 v2, 0xffff, v1
	v_or_b32_e32 v3, 0x10000, v1
	s_delay_alu instid0(VALU_DEP_2) | instskip(NEXT) | instid1(VALU_DEP_1)
	v_cmp_eq_u32_e64 s0, 0, v2
	v_cndmask_b32_e64 v72, v3, v1, s0
; %bb.209:                              ;   in Loop: Header=BB148_40 Depth=1
	s_or_b32 exec_lo, exec_lo, s13
	global_load_b128 v[1:4], v[8:9], off offset:2048
	s_waitcnt vmcnt(0)
	v_lshrrev_b32_e32 v74, 16, v1
	v_lshrrev_b32_e32 v76, 16, v2
	;; [unrolled: 1-line block ×4, first 2 shown]
	s_and_saveexec_b32 s13, vcc_lo
	s_cbranch_execz .LBB148_211
; %bb.210:                              ;   in Loop: Header=BB148_40 Depth=1
	v_cmp_gt_i32_e64 s0, s15, v27
	s_delay_alu instid0(VALU_DEP_1) | instskip(SKIP_1) | instid1(VALU_DEP_1)
	v_cndmask_b32_e64 v1, 0, v1, s0
	v_cmp_gt_i32_e64 s0, s15, v41
	v_cndmask_b32_e64 v74, 0, v74, s0
	v_cmp_gt_i32_e64 s0, s15, v40
	s_delay_alu instid0(VALU_DEP_1) | instskip(SKIP_1) | instid1(VALU_DEP_1)
	v_cndmask_b32_e64 v2, 0, v2, s0
	v_cmp_gt_i32_e64 s0, s15, v38
	v_cndmask_b32_e64 v76, 0, v76, s0
	;; [unrolled: 5-line block ×4, first 2 shown]
.LBB148_211:                            ;   in Loop: Header=BB148_40 Depth=1
	s_or_b32 exec_lo, exec_lo, s13
	v_lshlrev_b32_e32 v1, 16, v1
	s_delay_alu instid0(VALU_DEP_1) | instskip(NEXT) | instid1(VALU_DEP_1)
	v_mul_f32_e32 v1, v42, v1
	v_and_b32_e32 v73, 0x7f800000, v1
	s_delay_alu instid0(VALU_DEP_1) | instskip(NEXT) | instid1(VALU_DEP_1)
	v_cmp_ne_u32_e64 s0, 0x7f800000, v73
                                        ; implicit-def: $vgpr73
	s_and_saveexec_b32 s13, s0
	s_delay_alu instid0(SALU_CYCLE_1)
	s_xor_b32 s0, exec_lo, s13
; %bb.212:                              ;   in Loop: Header=BB148_40 Depth=1
	v_bfe_u32 v73, v1, 16, 1
	s_delay_alu instid0(VALU_DEP_1)
	v_add3_u32 v73, v1, v73, 0x7fff
                                        ; implicit-def: $vgpr1
; %bb.213:                              ;   in Loop: Header=BB148_40 Depth=1
	s_and_not1_saveexec_b32 s13, s0
; %bb.214:                              ;   in Loop: Header=BB148_40 Depth=1
	v_and_b32_e32 v73, 0xffff, v1
	v_or_b32_e32 v75, 0x10000, v1
	s_delay_alu instid0(VALU_DEP_2) | instskip(NEXT) | instid1(VALU_DEP_1)
	v_cmp_eq_u32_e64 s0, 0, v73
	v_cndmask_b32_e64 v73, v75, v1, s0
; %bb.215:                              ;   in Loop: Header=BB148_40 Depth=1
	s_or_b32 exec_lo, exec_lo, s13
	v_lshlrev_b32_e32 v1, 16, v74
	s_delay_alu instid0(VALU_DEP_1) | instskip(NEXT) | instid1(VALU_DEP_1)
	v_mul_f32_e32 v1, v44, v1
	v_and_b32_e32 v74, 0x7f800000, v1
	s_delay_alu instid0(VALU_DEP_1) | instskip(NEXT) | instid1(VALU_DEP_1)
	v_cmp_ne_u32_e64 s0, 0x7f800000, v74
                                        ; implicit-def: $vgpr74
	s_and_saveexec_b32 s13, s0
	s_delay_alu instid0(SALU_CYCLE_1)
	s_xor_b32 s0, exec_lo, s13
; %bb.216:                              ;   in Loop: Header=BB148_40 Depth=1
	v_bfe_u32 v74, v1, 16, 1
	s_delay_alu instid0(VALU_DEP_1)
	v_add3_u32 v74, v1, v74, 0x7fff
                                        ; implicit-def: $vgpr1
; %bb.217:                              ;   in Loop: Header=BB148_40 Depth=1
	s_and_not1_saveexec_b32 s13, s0
; %bb.218:                              ;   in Loop: Header=BB148_40 Depth=1
	v_and_b32_e32 v74, 0xffff, v1
	v_or_b32_e32 v75, 0x10000, v1
	s_delay_alu instid0(VALU_DEP_2) | instskip(NEXT) | instid1(VALU_DEP_1)
	v_cmp_eq_u32_e64 s0, 0, v74
	v_cndmask_b32_e64 v74, v75, v1, s0
; %bb.219:                              ;   in Loop: Header=BB148_40 Depth=1
	s_or_b32 exec_lo, exec_lo, s13
	v_lshlrev_b32_e32 v1, 16, v2
                                        ; implicit-def: $vgpr75
	s_delay_alu instid0(VALU_DEP_1) | instskip(NEXT) | instid1(VALU_DEP_1)
	v_mul_f32_e32 v1, v45, v1
	v_and_b32_e32 v2, 0x7f800000, v1
	s_delay_alu instid0(VALU_DEP_1) | instskip(NEXT) | instid1(VALU_DEP_1)
	v_cmp_ne_u32_e64 s0, 0x7f800000, v2
	s_and_saveexec_b32 s13, s0
	s_delay_alu instid0(SALU_CYCLE_1)
	s_xor_b32 s0, exec_lo, s13
; %bb.220:                              ;   in Loop: Header=BB148_40 Depth=1
	v_bfe_u32 v2, v1, 16, 1
	s_delay_alu instid0(VALU_DEP_1)
	v_add3_u32 v75, v1, v2, 0x7fff
                                        ; implicit-def: $vgpr1
; %bb.221:                              ;   in Loop: Header=BB148_40 Depth=1
	s_and_not1_saveexec_b32 s13, s0
; %bb.222:                              ;   in Loop: Header=BB148_40 Depth=1
	v_and_b32_e32 v2, 0xffff, v1
	v_or_b32_e32 v75, 0x10000, v1
	s_delay_alu instid0(VALU_DEP_2) | instskip(NEXT) | instid1(VALU_DEP_1)
	v_cmp_eq_u32_e64 s0, 0, v2
	v_cndmask_b32_e64 v75, v75, v1, s0
; %bb.223:                              ;   in Loop: Header=BB148_40 Depth=1
	s_or_b32 exec_lo, exec_lo, s13
	v_lshlrev_b32_e32 v1, 16, v76
                                        ; implicit-def: $vgpr76
	s_delay_alu instid0(VALU_DEP_1) | instskip(NEXT) | instid1(VALU_DEP_1)
	v_mul_f32_e32 v1, v46, v1
	v_and_b32_e32 v2, 0x7f800000, v1
	s_delay_alu instid0(VALU_DEP_1) | instskip(NEXT) | instid1(VALU_DEP_1)
	v_cmp_ne_u32_e64 s0, 0x7f800000, v2
	s_and_saveexec_b32 s13, s0
	s_delay_alu instid0(SALU_CYCLE_1)
	s_xor_b32 s0, exec_lo, s13
; %bb.224:                              ;   in Loop: Header=BB148_40 Depth=1
	v_bfe_u32 v2, v1, 16, 1
	s_delay_alu instid0(VALU_DEP_1)
	v_add3_u32 v76, v1, v2, 0x7fff
                                        ; implicit-def: $vgpr1
; %bb.225:                              ;   in Loop: Header=BB148_40 Depth=1
	s_and_not1_saveexec_b32 s13, s0
; %bb.226:                              ;   in Loop: Header=BB148_40 Depth=1
	v_and_b32_e32 v2, 0xffff, v1
	v_or_b32_e32 v76, 0x10000, v1
	s_delay_alu instid0(VALU_DEP_2) | instskip(NEXT) | instid1(VALU_DEP_1)
	v_cmp_eq_u32_e64 s0, 0, v2
	v_cndmask_b32_e64 v76, v76, v1, s0
; %bb.227:                              ;   in Loop: Header=BB148_40 Depth=1
	s_or_b32 exec_lo, exec_lo, s13
	v_lshlrev_b32_e32 v1, 16, v3
                                        ; implicit-def: $vgpr77
	s_delay_alu instid0(VALU_DEP_1) | instskip(NEXT) | instid1(VALU_DEP_1)
	v_mul_f32_e32 v1, v47, v1
	v_and_b32_e32 v2, 0x7f800000, v1
	s_delay_alu instid0(VALU_DEP_1) | instskip(NEXT) | instid1(VALU_DEP_1)
	v_cmp_ne_u32_e64 s0, 0x7f800000, v2
	s_and_saveexec_b32 s13, s0
	s_delay_alu instid0(SALU_CYCLE_1)
	s_xor_b32 s0, exec_lo, s13
; %bb.228:                              ;   in Loop: Header=BB148_40 Depth=1
	v_bfe_u32 v2, v1, 16, 1
	s_delay_alu instid0(VALU_DEP_1)
	v_add3_u32 v77, v1, v2, 0x7fff
                                        ; implicit-def: $vgpr1
; %bb.229:                              ;   in Loop: Header=BB148_40 Depth=1
	s_and_not1_saveexec_b32 s13, s0
; %bb.230:                              ;   in Loop: Header=BB148_40 Depth=1
	v_and_b32_e32 v2, 0xffff, v1
	v_or_b32_e32 v3, 0x10000, v1
	s_delay_alu instid0(VALU_DEP_2) | instskip(NEXT) | instid1(VALU_DEP_1)
	v_cmp_eq_u32_e64 s0, 0, v2
	v_cndmask_b32_e64 v77, v3, v1, s0
; %bb.231:                              ;   in Loop: Header=BB148_40 Depth=1
	s_or_b32 exec_lo, exec_lo, s13
	v_lshlrev_b32_e32 v1, 16, v78
                                        ; implicit-def: $vgpr78
	s_delay_alu instid0(VALU_DEP_1) | instskip(NEXT) | instid1(VALU_DEP_1)
	v_mul_f32_e32 v1, v48, v1
	v_and_b32_e32 v2, 0x7f800000, v1
	s_delay_alu instid0(VALU_DEP_1) | instskip(NEXT) | instid1(VALU_DEP_1)
	v_cmp_ne_u32_e64 s0, 0x7f800000, v2
	s_and_saveexec_b32 s13, s0
	s_delay_alu instid0(SALU_CYCLE_1)
	s_xor_b32 s0, exec_lo, s13
; %bb.232:                              ;   in Loop: Header=BB148_40 Depth=1
	v_bfe_u32 v2, v1, 16, 1
	s_delay_alu instid0(VALU_DEP_1)
	v_add3_u32 v78, v1, v2, 0x7fff
                                        ; implicit-def: $vgpr1
; %bb.233:                              ;   in Loop: Header=BB148_40 Depth=1
	s_and_not1_saveexec_b32 s13, s0
; %bb.234:                              ;   in Loop: Header=BB148_40 Depth=1
	v_and_b32_e32 v2, 0xffff, v1
	v_or_b32_e32 v3, 0x10000, v1
	s_delay_alu instid0(VALU_DEP_2) | instskip(NEXT) | instid1(VALU_DEP_1)
	v_cmp_eq_u32_e64 s0, 0, v2
	v_cndmask_b32_e64 v78, v3, v1, s0
; %bb.235:                              ;   in Loop: Header=BB148_40 Depth=1
	s_or_b32 exec_lo, exec_lo, s13
	v_lshlrev_b32_e32 v1, 16, v4
                                        ; implicit-def: $vgpr79
	s_delay_alu instid0(VALU_DEP_1) | instskip(NEXT) | instid1(VALU_DEP_1)
	v_mul_f32_e32 v1, v49, v1
	v_and_b32_e32 v2, 0x7f800000, v1
	s_delay_alu instid0(VALU_DEP_1) | instskip(NEXT) | instid1(VALU_DEP_1)
	v_cmp_ne_u32_e64 s0, 0x7f800000, v2
	s_and_saveexec_b32 s13, s0
	s_delay_alu instid0(SALU_CYCLE_1)
	s_xor_b32 s0, exec_lo, s13
; %bb.236:                              ;   in Loop: Header=BB148_40 Depth=1
	v_bfe_u32 v2, v1, 16, 1
	s_delay_alu instid0(VALU_DEP_1)
	v_add3_u32 v79, v1, v2, 0x7fff
                                        ; implicit-def: $vgpr1
; %bb.237:                              ;   in Loop: Header=BB148_40 Depth=1
	s_and_not1_saveexec_b32 s13, s0
; %bb.238:                              ;   in Loop: Header=BB148_40 Depth=1
	v_and_b32_e32 v2, 0xffff, v1
	v_or_b32_e32 v3, 0x10000, v1
	s_delay_alu instid0(VALU_DEP_2) | instskip(NEXT) | instid1(VALU_DEP_1)
	v_cmp_eq_u32_e64 s0, 0, v2
	v_cndmask_b32_e64 v79, v3, v1, s0
; %bb.239:                              ;   in Loop: Header=BB148_40 Depth=1
	s_or_b32 exec_lo, exec_lo, s13
	v_lshlrev_b32_e32 v1, 16, v80
                                        ; implicit-def: $vgpr80
	s_delay_alu instid0(VALU_DEP_1) | instskip(NEXT) | instid1(VALU_DEP_1)
	v_mul_f32_e32 v1, v50, v1
	v_and_b32_e32 v2, 0x7f800000, v1
	s_delay_alu instid0(VALU_DEP_1) | instskip(NEXT) | instid1(VALU_DEP_1)
	v_cmp_ne_u32_e64 s0, 0x7f800000, v2
	s_and_saveexec_b32 s13, s0
	s_delay_alu instid0(SALU_CYCLE_1)
	s_xor_b32 s0, exec_lo, s13
; %bb.240:                              ;   in Loop: Header=BB148_40 Depth=1
	v_bfe_u32 v2, v1, 16, 1
	s_delay_alu instid0(VALU_DEP_1)
	v_add3_u32 v80, v1, v2, 0x7fff
                                        ; implicit-def: $vgpr1
; %bb.241:                              ;   in Loop: Header=BB148_40 Depth=1
	s_and_not1_saveexec_b32 s13, s0
; %bb.242:                              ;   in Loop: Header=BB148_40 Depth=1
	v_and_b32_e32 v2, 0xffff, v1
	v_or_b32_e32 v3, 0x10000, v1
	s_delay_alu instid0(VALU_DEP_2) | instskip(NEXT) | instid1(VALU_DEP_1)
	v_cmp_eq_u32_e64 s0, 0, v2
	v_cndmask_b32_e64 v80, v3, v1, s0
; %bb.243:                              ;   in Loop: Header=BB148_40 Depth=1
	s_or_b32 exec_lo, exec_lo, s13
	global_load_b128 v[1:4], v[8:9], off offset:2560
	s_waitcnt vmcnt(0)
	v_lshrrev_b32_e32 v82, 16, v1
	v_lshrrev_b32_e32 v84, 16, v2
	;; [unrolled: 1-line block ×4, first 2 shown]
	s_and_saveexec_b32 s13, vcc_lo
	s_cbranch_execz .LBB148_245
; %bb.244:                              ;   in Loop: Header=BB148_40 Depth=1
	v_cmp_gt_i32_e64 s0, s15, v27
	s_delay_alu instid0(VALU_DEP_1) | instskip(SKIP_1) | instid1(VALU_DEP_1)
	v_cndmask_b32_e64 v1, 0, v1, s0
	v_cmp_gt_i32_e64 s0, s15, v41
	v_cndmask_b32_e64 v82, 0, v82, s0
	v_cmp_gt_i32_e64 s0, s15, v40
	s_delay_alu instid0(VALU_DEP_1) | instskip(SKIP_1) | instid1(VALU_DEP_1)
	v_cndmask_b32_e64 v2, 0, v2, s0
	v_cmp_gt_i32_e64 s0, s15, v38
	v_cndmask_b32_e64 v84, 0, v84, s0
	;; [unrolled: 5-line block ×4, first 2 shown]
.LBB148_245:                            ;   in Loop: Header=BB148_40 Depth=1
	s_or_b32 exec_lo, exec_lo, s13
	v_lshlrev_b32_e32 v1, 16, v1
	s_delay_alu instid0(VALU_DEP_1) | instskip(NEXT) | instid1(VALU_DEP_1)
	v_mul_f32_e32 v1, v42, v1
	v_and_b32_e32 v81, 0x7f800000, v1
	s_delay_alu instid0(VALU_DEP_1) | instskip(NEXT) | instid1(VALU_DEP_1)
	v_cmp_ne_u32_e64 s0, 0x7f800000, v81
                                        ; implicit-def: $vgpr81
	s_and_saveexec_b32 s13, s0
	s_delay_alu instid0(SALU_CYCLE_1)
	s_xor_b32 s0, exec_lo, s13
; %bb.246:                              ;   in Loop: Header=BB148_40 Depth=1
	v_bfe_u32 v81, v1, 16, 1
	s_delay_alu instid0(VALU_DEP_1)
	v_add3_u32 v81, v1, v81, 0x7fff
                                        ; implicit-def: $vgpr1
; %bb.247:                              ;   in Loop: Header=BB148_40 Depth=1
	s_and_not1_saveexec_b32 s13, s0
; %bb.248:                              ;   in Loop: Header=BB148_40 Depth=1
	v_and_b32_e32 v81, 0xffff, v1
	v_or_b32_e32 v83, 0x10000, v1
	s_delay_alu instid0(VALU_DEP_2) | instskip(NEXT) | instid1(VALU_DEP_1)
	v_cmp_eq_u32_e64 s0, 0, v81
	v_cndmask_b32_e64 v81, v83, v1, s0
; %bb.249:                              ;   in Loop: Header=BB148_40 Depth=1
	s_or_b32 exec_lo, exec_lo, s13
	v_lshlrev_b32_e32 v1, 16, v82
	s_delay_alu instid0(VALU_DEP_1) | instskip(NEXT) | instid1(VALU_DEP_1)
	v_mul_f32_e32 v1, v44, v1
	v_and_b32_e32 v82, 0x7f800000, v1
	s_delay_alu instid0(VALU_DEP_1) | instskip(NEXT) | instid1(VALU_DEP_1)
	v_cmp_ne_u32_e64 s0, 0x7f800000, v82
                                        ; implicit-def: $vgpr82
	s_and_saveexec_b32 s13, s0
	s_delay_alu instid0(SALU_CYCLE_1)
	s_xor_b32 s0, exec_lo, s13
; %bb.250:                              ;   in Loop: Header=BB148_40 Depth=1
	v_bfe_u32 v82, v1, 16, 1
	s_delay_alu instid0(VALU_DEP_1)
	v_add3_u32 v82, v1, v82, 0x7fff
                                        ; implicit-def: $vgpr1
; %bb.251:                              ;   in Loop: Header=BB148_40 Depth=1
	s_and_not1_saveexec_b32 s13, s0
; %bb.252:                              ;   in Loop: Header=BB148_40 Depth=1
	v_and_b32_e32 v82, 0xffff, v1
	v_or_b32_e32 v83, 0x10000, v1
	s_delay_alu instid0(VALU_DEP_2) | instskip(NEXT) | instid1(VALU_DEP_1)
	v_cmp_eq_u32_e64 s0, 0, v82
	v_cndmask_b32_e64 v82, v83, v1, s0
; %bb.253:                              ;   in Loop: Header=BB148_40 Depth=1
	s_or_b32 exec_lo, exec_lo, s13
	v_lshlrev_b32_e32 v1, 16, v2
                                        ; implicit-def: $vgpr83
	s_delay_alu instid0(VALU_DEP_1) | instskip(NEXT) | instid1(VALU_DEP_1)
	v_mul_f32_e32 v1, v45, v1
	v_and_b32_e32 v2, 0x7f800000, v1
	s_delay_alu instid0(VALU_DEP_1) | instskip(NEXT) | instid1(VALU_DEP_1)
	v_cmp_ne_u32_e64 s0, 0x7f800000, v2
	s_and_saveexec_b32 s13, s0
	s_delay_alu instid0(SALU_CYCLE_1)
	s_xor_b32 s0, exec_lo, s13
; %bb.254:                              ;   in Loop: Header=BB148_40 Depth=1
	v_bfe_u32 v2, v1, 16, 1
	s_delay_alu instid0(VALU_DEP_1)
	v_add3_u32 v83, v1, v2, 0x7fff
                                        ; implicit-def: $vgpr1
; %bb.255:                              ;   in Loop: Header=BB148_40 Depth=1
	s_and_not1_saveexec_b32 s13, s0
; %bb.256:                              ;   in Loop: Header=BB148_40 Depth=1
	v_and_b32_e32 v2, 0xffff, v1
	v_or_b32_e32 v83, 0x10000, v1
	s_delay_alu instid0(VALU_DEP_2) | instskip(NEXT) | instid1(VALU_DEP_1)
	v_cmp_eq_u32_e64 s0, 0, v2
	v_cndmask_b32_e64 v83, v83, v1, s0
; %bb.257:                              ;   in Loop: Header=BB148_40 Depth=1
	s_or_b32 exec_lo, exec_lo, s13
	v_lshlrev_b32_e32 v1, 16, v84
                                        ; implicit-def: $vgpr84
	s_delay_alu instid0(VALU_DEP_1) | instskip(NEXT) | instid1(VALU_DEP_1)
	v_mul_f32_e32 v1, v46, v1
	v_and_b32_e32 v2, 0x7f800000, v1
	s_delay_alu instid0(VALU_DEP_1) | instskip(NEXT) | instid1(VALU_DEP_1)
	v_cmp_ne_u32_e64 s0, 0x7f800000, v2
	s_and_saveexec_b32 s13, s0
	s_delay_alu instid0(SALU_CYCLE_1)
	s_xor_b32 s0, exec_lo, s13
; %bb.258:                              ;   in Loop: Header=BB148_40 Depth=1
	v_bfe_u32 v2, v1, 16, 1
	s_delay_alu instid0(VALU_DEP_1)
	v_add3_u32 v84, v1, v2, 0x7fff
                                        ; implicit-def: $vgpr1
; %bb.259:                              ;   in Loop: Header=BB148_40 Depth=1
	s_and_not1_saveexec_b32 s13, s0
; %bb.260:                              ;   in Loop: Header=BB148_40 Depth=1
	v_and_b32_e32 v2, 0xffff, v1
	v_or_b32_e32 v84, 0x10000, v1
	s_delay_alu instid0(VALU_DEP_2) | instskip(NEXT) | instid1(VALU_DEP_1)
	v_cmp_eq_u32_e64 s0, 0, v2
	v_cndmask_b32_e64 v84, v84, v1, s0
; %bb.261:                              ;   in Loop: Header=BB148_40 Depth=1
	s_or_b32 exec_lo, exec_lo, s13
	v_lshlrev_b32_e32 v1, 16, v3
                                        ; implicit-def: $vgpr85
	s_delay_alu instid0(VALU_DEP_1) | instskip(NEXT) | instid1(VALU_DEP_1)
	v_mul_f32_e32 v1, v47, v1
	v_and_b32_e32 v2, 0x7f800000, v1
	s_delay_alu instid0(VALU_DEP_1) | instskip(NEXT) | instid1(VALU_DEP_1)
	v_cmp_ne_u32_e64 s0, 0x7f800000, v2
	s_and_saveexec_b32 s13, s0
	s_delay_alu instid0(SALU_CYCLE_1)
	s_xor_b32 s0, exec_lo, s13
; %bb.262:                              ;   in Loop: Header=BB148_40 Depth=1
	v_bfe_u32 v2, v1, 16, 1
	s_delay_alu instid0(VALU_DEP_1)
	v_add3_u32 v85, v1, v2, 0x7fff
                                        ; implicit-def: $vgpr1
; %bb.263:                              ;   in Loop: Header=BB148_40 Depth=1
	s_and_not1_saveexec_b32 s13, s0
; %bb.264:                              ;   in Loop: Header=BB148_40 Depth=1
	v_and_b32_e32 v2, 0xffff, v1
	v_or_b32_e32 v3, 0x10000, v1
	s_delay_alu instid0(VALU_DEP_2) | instskip(NEXT) | instid1(VALU_DEP_1)
	v_cmp_eq_u32_e64 s0, 0, v2
	v_cndmask_b32_e64 v85, v3, v1, s0
; %bb.265:                              ;   in Loop: Header=BB148_40 Depth=1
	s_or_b32 exec_lo, exec_lo, s13
	v_lshlrev_b32_e32 v1, 16, v86
                                        ; implicit-def: $vgpr86
	s_delay_alu instid0(VALU_DEP_1) | instskip(NEXT) | instid1(VALU_DEP_1)
	v_mul_f32_e32 v1, v48, v1
	v_and_b32_e32 v2, 0x7f800000, v1
	s_delay_alu instid0(VALU_DEP_1) | instskip(NEXT) | instid1(VALU_DEP_1)
	v_cmp_ne_u32_e64 s0, 0x7f800000, v2
	s_and_saveexec_b32 s13, s0
	s_delay_alu instid0(SALU_CYCLE_1)
	s_xor_b32 s0, exec_lo, s13
; %bb.266:                              ;   in Loop: Header=BB148_40 Depth=1
	v_bfe_u32 v2, v1, 16, 1
	s_delay_alu instid0(VALU_DEP_1)
	v_add3_u32 v86, v1, v2, 0x7fff
                                        ; implicit-def: $vgpr1
; %bb.267:                              ;   in Loop: Header=BB148_40 Depth=1
	s_and_not1_saveexec_b32 s13, s0
; %bb.268:                              ;   in Loop: Header=BB148_40 Depth=1
	v_and_b32_e32 v2, 0xffff, v1
	v_or_b32_e32 v3, 0x10000, v1
	s_delay_alu instid0(VALU_DEP_2) | instskip(NEXT) | instid1(VALU_DEP_1)
	v_cmp_eq_u32_e64 s0, 0, v2
	v_cndmask_b32_e64 v86, v3, v1, s0
; %bb.269:                              ;   in Loop: Header=BB148_40 Depth=1
	s_or_b32 exec_lo, exec_lo, s13
	v_lshlrev_b32_e32 v1, 16, v4
                                        ; implicit-def: $vgpr87
	s_delay_alu instid0(VALU_DEP_1) | instskip(NEXT) | instid1(VALU_DEP_1)
	v_mul_f32_e32 v1, v49, v1
	v_and_b32_e32 v2, 0x7f800000, v1
	s_delay_alu instid0(VALU_DEP_1) | instskip(NEXT) | instid1(VALU_DEP_1)
	v_cmp_ne_u32_e64 s0, 0x7f800000, v2
	s_and_saveexec_b32 s13, s0
	s_delay_alu instid0(SALU_CYCLE_1)
	s_xor_b32 s0, exec_lo, s13
; %bb.270:                              ;   in Loop: Header=BB148_40 Depth=1
	v_bfe_u32 v2, v1, 16, 1
	s_delay_alu instid0(VALU_DEP_1)
	v_add3_u32 v87, v1, v2, 0x7fff
                                        ; implicit-def: $vgpr1
; %bb.271:                              ;   in Loop: Header=BB148_40 Depth=1
	s_and_not1_saveexec_b32 s13, s0
; %bb.272:                              ;   in Loop: Header=BB148_40 Depth=1
	v_and_b32_e32 v2, 0xffff, v1
	v_or_b32_e32 v3, 0x10000, v1
	s_delay_alu instid0(VALU_DEP_2) | instskip(NEXT) | instid1(VALU_DEP_1)
	v_cmp_eq_u32_e64 s0, 0, v2
	v_cndmask_b32_e64 v87, v3, v1, s0
; %bb.273:                              ;   in Loop: Header=BB148_40 Depth=1
	s_or_b32 exec_lo, exec_lo, s13
	v_lshlrev_b32_e32 v1, 16, v88
                                        ; implicit-def: $vgpr88
	s_delay_alu instid0(VALU_DEP_1) | instskip(NEXT) | instid1(VALU_DEP_1)
	v_mul_f32_e32 v1, v50, v1
	v_and_b32_e32 v2, 0x7f800000, v1
	s_delay_alu instid0(VALU_DEP_1) | instskip(NEXT) | instid1(VALU_DEP_1)
	v_cmp_ne_u32_e64 s0, 0x7f800000, v2
	s_and_saveexec_b32 s13, s0
	s_delay_alu instid0(SALU_CYCLE_1)
	s_xor_b32 s0, exec_lo, s13
; %bb.274:                              ;   in Loop: Header=BB148_40 Depth=1
	v_bfe_u32 v2, v1, 16, 1
	s_delay_alu instid0(VALU_DEP_1)
	v_add3_u32 v88, v1, v2, 0x7fff
                                        ; implicit-def: $vgpr1
; %bb.275:                              ;   in Loop: Header=BB148_40 Depth=1
	s_and_not1_saveexec_b32 s13, s0
; %bb.276:                              ;   in Loop: Header=BB148_40 Depth=1
	v_and_b32_e32 v2, 0xffff, v1
	v_or_b32_e32 v3, 0x10000, v1
	s_delay_alu instid0(VALU_DEP_2) | instskip(NEXT) | instid1(VALU_DEP_1)
	v_cmp_eq_u32_e64 s0, 0, v2
	v_cndmask_b32_e64 v88, v3, v1, s0
; %bb.277:                              ;   in Loop: Header=BB148_40 Depth=1
	s_or_b32 exec_lo, exec_lo, s13
	global_load_b128 v[1:4], v[8:9], off offset:3072
	s_waitcnt vmcnt(0)
	v_lshrrev_b32_e32 v90, 16, v1
	v_lshrrev_b32_e32 v92, 16, v2
	;; [unrolled: 1-line block ×4, first 2 shown]
	s_and_saveexec_b32 s13, vcc_lo
	s_cbranch_execz .LBB148_279
; %bb.278:                              ;   in Loop: Header=BB148_40 Depth=1
	v_cmp_gt_i32_e64 s0, s15, v27
	s_delay_alu instid0(VALU_DEP_1) | instskip(SKIP_1) | instid1(VALU_DEP_1)
	v_cndmask_b32_e64 v1, 0, v1, s0
	v_cmp_gt_i32_e64 s0, s15, v41
	v_cndmask_b32_e64 v90, 0, v90, s0
	v_cmp_gt_i32_e64 s0, s15, v40
	s_delay_alu instid0(VALU_DEP_1) | instskip(SKIP_1) | instid1(VALU_DEP_1)
	v_cndmask_b32_e64 v2, 0, v2, s0
	v_cmp_gt_i32_e64 s0, s15, v38
	v_cndmask_b32_e64 v92, 0, v92, s0
	;; [unrolled: 5-line block ×4, first 2 shown]
.LBB148_279:                            ;   in Loop: Header=BB148_40 Depth=1
	s_or_b32 exec_lo, exec_lo, s13
	v_lshlrev_b32_e32 v1, 16, v1
	s_delay_alu instid0(VALU_DEP_1) | instskip(NEXT) | instid1(VALU_DEP_1)
	v_mul_f32_e32 v1, v42, v1
	v_and_b32_e32 v89, 0x7f800000, v1
	s_delay_alu instid0(VALU_DEP_1) | instskip(NEXT) | instid1(VALU_DEP_1)
	v_cmp_ne_u32_e64 s0, 0x7f800000, v89
                                        ; implicit-def: $vgpr89
	s_and_saveexec_b32 s13, s0
	s_delay_alu instid0(SALU_CYCLE_1)
	s_xor_b32 s0, exec_lo, s13
; %bb.280:                              ;   in Loop: Header=BB148_40 Depth=1
	v_bfe_u32 v89, v1, 16, 1
	s_delay_alu instid0(VALU_DEP_1)
	v_add3_u32 v89, v1, v89, 0x7fff
                                        ; implicit-def: $vgpr1
; %bb.281:                              ;   in Loop: Header=BB148_40 Depth=1
	s_and_not1_saveexec_b32 s13, s0
; %bb.282:                              ;   in Loop: Header=BB148_40 Depth=1
	v_and_b32_e32 v89, 0xffff, v1
	v_or_b32_e32 v91, 0x10000, v1
	s_delay_alu instid0(VALU_DEP_2) | instskip(NEXT) | instid1(VALU_DEP_1)
	v_cmp_eq_u32_e64 s0, 0, v89
	v_cndmask_b32_e64 v89, v91, v1, s0
; %bb.283:                              ;   in Loop: Header=BB148_40 Depth=1
	s_or_b32 exec_lo, exec_lo, s13
	v_lshlrev_b32_e32 v1, 16, v90
	s_delay_alu instid0(VALU_DEP_1) | instskip(NEXT) | instid1(VALU_DEP_1)
	v_mul_f32_e32 v1, v44, v1
	v_and_b32_e32 v90, 0x7f800000, v1
	s_delay_alu instid0(VALU_DEP_1) | instskip(NEXT) | instid1(VALU_DEP_1)
	v_cmp_ne_u32_e64 s0, 0x7f800000, v90
                                        ; implicit-def: $vgpr90
	s_and_saveexec_b32 s13, s0
	s_delay_alu instid0(SALU_CYCLE_1)
	s_xor_b32 s0, exec_lo, s13
; %bb.284:                              ;   in Loop: Header=BB148_40 Depth=1
	v_bfe_u32 v90, v1, 16, 1
	s_delay_alu instid0(VALU_DEP_1)
	v_add3_u32 v90, v1, v90, 0x7fff
                                        ; implicit-def: $vgpr1
; %bb.285:                              ;   in Loop: Header=BB148_40 Depth=1
	s_and_not1_saveexec_b32 s13, s0
; %bb.286:                              ;   in Loop: Header=BB148_40 Depth=1
	v_and_b32_e32 v90, 0xffff, v1
	v_or_b32_e32 v91, 0x10000, v1
	s_delay_alu instid0(VALU_DEP_2) | instskip(NEXT) | instid1(VALU_DEP_1)
	v_cmp_eq_u32_e64 s0, 0, v90
	v_cndmask_b32_e64 v90, v91, v1, s0
; %bb.287:                              ;   in Loop: Header=BB148_40 Depth=1
	s_or_b32 exec_lo, exec_lo, s13
	v_lshlrev_b32_e32 v1, 16, v2
                                        ; implicit-def: $vgpr91
	s_delay_alu instid0(VALU_DEP_1) | instskip(NEXT) | instid1(VALU_DEP_1)
	v_mul_f32_e32 v1, v45, v1
	v_and_b32_e32 v2, 0x7f800000, v1
	s_delay_alu instid0(VALU_DEP_1) | instskip(NEXT) | instid1(VALU_DEP_1)
	v_cmp_ne_u32_e64 s0, 0x7f800000, v2
	s_and_saveexec_b32 s13, s0
	s_delay_alu instid0(SALU_CYCLE_1)
	s_xor_b32 s0, exec_lo, s13
; %bb.288:                              ;   in Loop: Header=BB148_40 Depth=1
	v_bfe_u32 v2, v1, 16, 1
	s_delay_alu instid0(VALU_DEP_1)
	v_add3_u32 v91, v1, v2, 0x7fff
                                        ; implicit-def: $vgpr1
; %bb.289:                              ;   in Loop: Header=BB148_40 Depth=1
	s_and_not1_saveexec_b32 s13, s0
; %bb.290:                              ;   in Loop: Header=BB148_40 Depth=1
	v_and_b32_e32 v2, 0xffff, v1
	v_or_b32_e32 v91, 0x10000, v1
	s_delay_alu instid0(VALU_DEP_2) | instskip(NEXT) | instid1(VALU_DEP_1)
	v_cmp_eq_u32_e64 s0, 0, v2
	v_cndmask_b32_e64 v91, v91, v1, s0
; %bb.291:                              ;   in Loop: Header=BB148_40 Depth=1
	s_or_b32 exec_lo, exec_lo, s13
	v_lshlrev_b32_e32 v1, 16, v92
                                        ; implicit-def: $vgpr92
	s_delay_alu instid0(VALU_DEP_1) | instskip(NEXT) | instid1(VALU_DEP_1)
	v_mul_f32_e32 v1, v46, v1
	v_and_b32_e32 v2, 0x7f800000, v1
	s_delay_alu instid0(VALU_DEP_1) | instskip(NEXT) | instid1(VALU_DEP_1)
	v_cmp_ne_u32_e64 s0, 0x7f800000, v2
	s_and_saveexec_b32 s13, s0
	s_delay_alu instid0(SALU_CYCLE_1)
	s_xor_b32 s0, exec_lo, s13
; %bb.292:                              ;   in Loop: Header=BB148_40 Depth=1
	v_bfe_u32 v2, v1, 16, 1
	s_delay_alu instid0(VALU_DEP_1)
	v_add3_u32 v92, v1, v2, 0x7fff
                                        ; implicit-def: $vgpr1
; %bb.293:                              ;   in Loop: Header=BB148_40 Depth=1
	s_and_not1_saveexec_b32 s13, s0
; %bb.294:                              ;   in Loop: Header=BB148_40 Depth=1
	v_and_b32_e32 v2, 0xffff, v1
	v_or_b32_e32 v92, 0x10000, v1
	s_delay_alu instid0(VALU_DEP_2) | instskip(NEXT) | instid1(VALU_DEP_1)
	v_cmp_eq_u32_e64 s0, 0, v2
	v_cndmask_b32_e64 v92, v92, v1, s0
; %bb.295:                              ;   in Loop: Header=BB148_40 Depth=1
	s_or_b32 exec_lo, exec_lo, s13
	v_lshlrev_b32_e32 v1, 16, v3
                                        ; implicit-def: $vgpr93
	s_delay_alu instid0(VALU_DEP_1) | instskip(NEXT) | instid1(VALU_DEP_1)
	v_mul_f32_e32 v1, v47, v1
	v_and_b32_e32 v2, 0x7f800000, v1
	s_delay_alu instid0(VALU_DEP_1) | instskip(NEXT) | instid1(VALU_DEP_1)
	v_cmp_ne_u32_e64 s0, 0x7f800000, v2
	s_and_saveexec_b32 s13, s0
	s_delay_alu instid0(SALU_CYCLE_1)
	s_xor_b32 s0, exec_lo, s13
; %bb.296:                              ;   in Loop: Header=BB148_40 Depth=1
	v_bfe_u32 v2, v1, 16, 1
	s_delay_alu instid0(VALU_DEP_1)
	v_add3_u32 v93, v1, v2, 0x7fff
                                        ; implicit-def: $vgpr1
; %bb.297:                              ;   in Loop: Header=BB148_40 Depth=1
	s_and_not1_saveexec_b32 s13, s0
; %bb.298:                              ;   in Loop: Header=BB148_40 Depth=1
	v_and_b32_e32 v2, 0xffff, v1
	v_or_b32_e32 v3, 0x10000, v1
	s_delay_alu instid0(VALU_DEP_2) | instskip(NEXT) | instid1(VALU_DEP_1)
	v_cmp_eq_u32_e64 s0, 0, v2
	v_cndmask_b32_e64 v93, v3, v1, s0
; %bb.299:                              ;   in Loop: Header=BB148_40 Depth=1
	s_or_b32 exec_lo, exec_lo, s13
	v_lshlrev_b32_e32 v1, 16, v94
                                        ; implicit-def: $vgpr94
	s_delay_alu instid0(VALU_DEP_1) | instskip(NEXT) | instid1(VALU_DEP_1)
	v_mul_f32_e32 v1, v48, v1
	v_and_b32_e32 v2, 0x7f800000, v1
	s_delay_alu instid0(VALU_DEP_1) | instskip(NEXT) | instid1(VALU_DEP_1)
	v_cmp_ne_u32_e64 s0, 0x7f800000, v2
	s_and_saveexec_b32 s13, s0
	s_delay_alu instid0(SALU_CYCLE_1)
	s_xor_b32 s0, exec_lo, s13
; %bb.300:                              ;   in Loop: Header=BB148_40 Depth=1
	v_bfe_u32 v2, v1, 16, 1
	s_delay_alu instid0(VALU_DEP_1)
	v_add3_u32 v94, v1, v2, 0x7fff
                                        ; implicit-def: $vgpr1
; %bb.301:                              ;   in Loop: Header=BB148_40 Depth=1
	s_and_not1_saveexec_b32 s13, s0
; %bb.302:                              ;   in Loop: Header=BB148_40 Depth=1
	v_and_b32_e32 v2, 0xffff, v1
	v_or_b32_e32 v3, 0x10000, v1
	s_delay_alu instid0(VALU_DEP_2) | instskip(NEXT) | instid1(VALU_DEP_1)
	v_cmp_eq_u32_e64 s0, 0, v2
	v_cndmask_b32_e64 v94, v3, v1, s0
; %bb.303:                              ;   in Loop: Header=BB148_40 Depth=1
	s_or_b32 exec_lo, exec_lo, s13
	v_lshlrev_b32_e32 v1, 16, v4
                                        ; implicit-def: $vgpr95
	s_delay_alu instid0(VALU_DEP_1) | instskip(NEXT) | instid1(VALU_DEP_1)
	v_mul_f32_e32 v1, v49, v1
	v_and_b32_e32 v2, 0x7f800000, v1
	s_delay_alu instid0(VALU_DEP_1) | instskip(NEXT) | instid1(VALU_DEP_1)
	v_cmp_ne_u32_e64 s0, 0x7f800000, v2
	s_and_saveexec_b32 s13, s0
	s_delay_alu instid0(SALU_CYCLE_1)
	s_xor_b32 s0, exec_lo, s13
; %bb.304:                              ;   in Loop: Header=BB148_40 Depth=1
	v_bfe_u32 v2, v1, 16, 1
	s_delay_alu instid0(VALU_DEP_1)
	v_add3_u32 v95, v1, v2, 0x7fff
                                        ; implicit-def: $vgpr1
; %bb.305:                              ;   in Loop: Header=BB148_40 Depth=1
	s_and_not1_saveexec_b32 s13, s0
; %bb.306:                              ;   in Loop: Header=BB148_40 Depth=1
	v_and_b32_e32 v2, 0xffff, v1
	v_or_b32_e32 v3, 0x10000, v1
	s_delay_alu instid0(VALU_DEP_2) | instskip(NEXT) | instid1(VALU_DEP_1)
	v_cmp_eq_u32_e64 s0, 0, v2
	v_cndmask_b32_e64 v95, v3, v1, s0
; %bb.307:                              ;   in Loop: Header=BB148_40 Depth=1
	s_or_b32 exec_lo, exec_lo, s13
	v_lshlrev_b32_e32 v1, 16, v96
                                        ; implicit-def: $vgpr96
	s_delay_alu instid0(VALU_DEP_1) | instskip(NEXT) | instid1(VALU_DEP_1)
	v_mul_f32_e32 v1, v50, v1
	v_and_b32_e32 v2, 0x7f800000, v1
	s_delay_alu instid0(VALU_DEP_1) | instskip(NEXT) | instid1(VALU_DEP_1)
	v_cmp_ne_u32_e64 s0, 0x7f800000, v2
	s_and_saveexec_b32 s13, s0
	s_delay_alu instid0(SALU_CYCLE_1)
	s_xor_b32 s0, exec_lo, s13
; %bb.308:                              ;   in Loop: Header=BB148_40 Depth=1
	v_bfe_u32 v2, v1, 16, 1
	s_delay_alu instid0(VALU_DEP_1)
	v_add3_u32 v96, v1, v2, 0x7fff
                                        ; implicit-def: $vgpr1
; %bb.309:                              ;   in Loop: Header=BB148_40 Depth=1
	s_and_not1_saveexec_b32 s13, s0
; %bb.310:                              ;   in Loop: Header=BB148_40 Depth=1
	v_and_b32_e32 v2, 0xffff, v1
	v_or_b32_e32 v3, 0x10000, v1
	s_delay_alu instid0(VALU_DEP_2) | instskip(NEXT) | instid1(VALU_DEP_1)
	v_cmp_eq_u32_e64 s0, 0, v2
	v_cndmask_b32_e64 v96, v3, v1, s0
; %bb.311:                              ;   in Loop: Header=BB148_40 Depth=1
	s_or_b32 exec_lo, exec_lo, s13
	global_load_b128 v[1:4], v[8:9], off offset:3584
	s_waitcnt vmcnt(0)
	v_lshrrev_b32_e32 v8, 16, v1
	v_lshrrev_b32_e32 v9, 16, v2
	;; [unrolled: 1-line block ×4, first 2 shown]
	s_and_saveexec_b32 s0, vcc_lo
	s_cbranch_execz .LBB148_313
; %bb.312:                              ;   in Loop: Header=BB148_40 Depth=1
	v_cmp_gt_i32_e32 vcc_lo, s15, v27
	v_cndmask_b32_e32 v1, 0, v1, vcc_lo
	v_cmp_gt_i32_e32 vcc_lo, s15, v41
	v_cndmask_b32_e32 v8, 0, v8, vcc_lo
	;; [unrolled: 2-line block ×8, first 2 shown]
.LBB148_313:                            ;   in Loop: Header=BB148_40 Depth=1
	s_or_b32 exec_lo, exec_lo, s0
	v_lshlrev_b32_e32 v1, 16, v1
	s_delay_alu instid0(VALU_DEP_1) | instskip(NEXT) | instid1(VALU_DEP_1)
	v_mul_f32_e32 v35, v42, v1
	v_and_b32_e32 v1, 0x7f800000, v35
	s_delay_alu instid0(VALU_DEP_1) | instskip(SKIP_1) | instid1(SALU_CYCLE_1)
	v_cmp_ne_u32_e32 vcc_lo, 0x7f800000, v1
                                        ; implicit-def: $vgpr1
	s_and_saveexec_b32 s0, vcc_lo
	s_xor_b32 s0, exec_lo, s0
; %bb.314:                              ;   in Loop: Header=BB148_40 Depth=1
	v_bfe_u32 v1, v35, 16, 1
	s_delay_alu instid0(VALU_DEP_1)
	v_add3_u32 v1, v35, v1, 0x7fff
                                        ; implicit-def: $vgpr35
; %bb.315:                              ;   in Loop: Header=BB148_40 Depth=1
	s_and_not1_saveexec_b32 s0, s0
; %bb.316:                              ;   in Loop: Header=BB148_40 Depth=1
	v_and_b32_e32 v1, 0xffff, v35
	v_or_b32_e32 v36, 0x10000, v35
	s_delay_alu instid0(VALU_DEP_2) | instskip(NEXT) | instid1(VALU_DEP_2)
	v_cmp_eq_u32_e32 vcc_lo, 0, v1
	v_cndmask_b32_e32 v1, v36, v35, vcc_lo
; %bb.317:                              ;   in Loop: Header=BB148_40 Depth=1
	s_or_b32 exec_lo, exec_lo, s0
	v_lshlrev_b32_e32 v8, 16, v8
	s_delay_alu instid0(VALU_DEP_1) | instskip(NEXT) | instid1(VALU_DEP_1)
	v_mul_f32_e32 v35, v44, v8
	v_and_b32_e32 v8, 0x7f800000, v35
	s_delay_alu instid0(VALU_DEP_1) | instskip(SKIP_1) | instid1(SALU_CYCLE_1)
	v_cmp_ne_u32_e32 vcc_lo, 0x7f800000, v8
                                        ; implicit-def: $vgpr8
	s_and_saveexec_b32 s0, vcc_lo
	s_xor_b32 s0, exec_lo, s0
; %bb.318:                              ;   in Loop: Header=BB148_40 Depth=1
	v_bfe_u32 v8, v35, 16, 1
	s_delay_alu instid0(VALU_DEP_1)
	v_add3_u32 v8, v35, v8, 0x7fff
                                        ; implicit-def: $vgpr35
; %bb.319:                              ;   in Loop: Header=BB148_40 Depth=1
	s_and_not1_saveexec_b32 s0, s0
; %bb.320:                              ;   in Loop: Header=BB148_40 Depth=1
	v_and_b32_e32 v8, 0xffff, v35
	v_or_b32_e32 v36, 0x10000, v35
	s_delay_alu instid0(VALU_DEP_2) | instskip(NEXT) | instid1(VALU_DEP_2)
	v_cmp_eq_u32_e32 vcc_lo, 0, v8
	v_cndmask_b32_e32 v8, v36, v35, vcc_lo
; %bb.321:                              ;   in Loop: Header=BB148_40 Depth=1
	s_or_b32 exec_lo, exec_lo, s0
	v_lshlrev_b32_e32 v2, 16, v2
	s_delay_alu instid0(VALU_DEP_1) | instskip(NEXT) | instid1(VALU_DEP_1)
	v_mul_f32_e32 v35, v45, v2
	v_and_b32_e32 v2, 0x7f800000, v35
	s_delay_alu instid0(VALU_DEP_1) | instskip(SKIP_1) | instid1(SALU_CYCLE_1)
	v_cmp_ne_u32_e32 vcc_lo, 0x7f800000, v2
                                        ; implicit-def: $vgpr2
	s_and_saveexec_b32 s0, vcc_lo
	s_xor_b32 s0, exec_lo, s0
; %bb.322:                              ;   in Loop: Header=BB148_40 Depth=1
	v_bfe_u32 v2, v35, 16, 1
	s_delay_alu instid0(VALU_DEP_1)
	v_add3_u32 v2, v35, v2, 0x7fff
                                        ; implicit-def: $vgpr35
; %bb.323:                              ;   in Loop: Header=BB148_40 Depth=1
	s_and_not1_saveexec_b32 s0, s0
; %bb.324:                              ;   in Loop: Header=BB148_40 Depth=1
	v_and_b32_e32 v2, 0xffff, v35
	v_or_b32_e32 v36, 0x10000, v35
	s_delay_alu instid0(VALU_DEP_2) | instskip(NEXT) | instid1(VALU_DEP_2)
	v_cmp_eq_u32_e32 vcc_lo, 0, v2
	v_cndmask_b32_e32 v2, v36, v35, vcc_lo
; %bb.325:                              ;   in Loop: Header=BB148_40 Depth=1
	s_or_b32 exec_lo, exec_lo, s0
	v_lshlrev_b32_e32 v9, 16, v9
	s_delay_alu instid0(VALU_DEP_1) | instskip(NEXT) | instid1(VALU_DEP_1)
	v_mul_f32_e32 v35, v46, v9
	v_and_b32_e32 v9, 0x7f800000, v35
	s_delay_alu instid0(VALU_DEP_1) | instskip(SKIP_1) | instid1(SALU_CYCLE_1)
	v_cmp_ne_u32_e32 vcc_lo, 0x7f800000, v9
                                        ; implicit-def: $vgpr9
	s_and_saveexec_b32 s0, vcc_lo
	s_xor_b32 s0, exec_lo, s0
; %bb.326:                              ;   in Loop: Header=BB148_40 Depth=1
	v_bfe_u32 v9, v35, 16, 1
	s_delay_alu instid0(VALU_DEP_1)
	v_add3_u32 v9, v35, v9, 0x7fff
                                        ; implicit-def: $vgpr35
; %bb.327:                              ;   in Loop: Header=BB148_40 Depth=1
	s_and_not1_saveexec_b32 s0, s0
; %bb.328:                              ;   in Loop: Header=BB148_40 Depth=1
	v_and_b32_e32 v9, 0xffff, v35
	v_or_b32_e32 v36, 0x10000, v35
	s_delay_alu instid0(VALU_DEP_2) | instskip(NEXT) | instid1(VALU_DEP_2)
	v_cmp_eq_u32_e32 vcc_lo, 0, v9
	v_cndmask_b32_e32 v9, v36, v35, vcc_lo
; %bb.329:                              ;   in Loop: Header=BB148_40 Depth=1
	s_or_b32 exec_lo, exec_lo, s0
	v_lshlrev_b32_e32 v3, 16, v3
	s_delay_alu instid0(VALU_DEP_1) | instskip(NEXT) | instid1(VALU_DEP_1)
	v_mul_f32_e32 v35, v47, v3
	v_and_b32_e32 v3, 0x7f800000, v35
	s_delay_alu instid0(VALU_DEP_1) | instskip(SKIP_1) | instid1(SALU_CYCLE_1)
	v_cmp_ne_u32_e32 vcc_lo, 0x7f800000, v3
                                        ; implicit-def: $vgpr3
	s_and_saveexec_b32 s0, vcc_lo
	s_xor_b32 s0, exec_lo, s0
; %bb.330:                              ;   in Loop: Header=BB148_40 Depth=1
	v_bfe_u32 v3, v35, 16, 1
	s_delay_alu instid0(VALU_DEP_1)
	v_add3_u32 v3, v35, v3, 0x7fff
                                        ; implicit-def: $vgpr35
; %bb.331:                              ;   in Loop: Header=BB148_40 Depth=1
	s_and_not1_saveexec_b32 s0, s0
; %bb.332:                              ;   in Loop: Header=BB148_40 Depth=1
	v_and_b32_e32 v3, 0xffff, v35
	v_or_b32_e32 v36, 0x10000, v35
	s_delay_alu instid0(VALU_DEP_2) | instskip(NEXT) | instid1(VALU_DEP_2)
	v_cmp_eq_u32_e32 vcc_lo, 0, v3
	v_cndmask_b32_e32 v3, v36, v35, vcc_lo
; %bb.333:                              ;   in Loop: Header=BB148_40 Depth=1
	s_or_b32 exec_lo, exec_lo, s0
	v_lshlrev_b32_e32 v35, 16, v98
	s_delay_alu instid0(VALU_DEP_1) | instskip(NEXT) | instid1(VALU_DEP_1)
	v_mul_f32_e32 v36, v48, v35
	v_and_b32_e32 v35, 0x7f800000, v36
	s_delay_alu instid0(VALU_DEP_1) | instskip(SKIP_1) | instid1(SALU_CYCLE_1)
	v_cmp_ne_u32_e32 vcc_lo, 0x7f800000, v35
                                        ; implicit-def: $vgpr35
	s_and_saveexec_b32 s0, vcc_lo
	s_xor_b32 s0, exec_lo, s0
; %bb.334:                              ;   in Loop: Header=BB148_40 Depth=1
	v_bfe_u32 v35, v36, 16, 1
	s_delay_alu instid0(VALU_DEP_1)
	v_add3_u32 v35, v36, v35, 0x7fff
                                        ; implicit-def: $vgpr36
; %bb.335:                              ;   in Loop: Header=BB148_40 Depth=1
	s_and_not1_saveexec_b32 s0, s0
; %bb.336:                              ;   in Loop: Header=BB148_40 Depth=1
	v_and_b32_e32 v35, 0xffff, v36
	v_or_b32_e32 v37, 0x10000, v36
	s_delay_alu instid0(VALU_DEP_2) | instskip(NEXT) | instid1(VALU_DEP_2)
	v_cmp_eq_u32_e32 vcc_lo, 0, v35
	v_cndmask_b32_e32 v35, v37, v36, vcc_lo
; %bb.337:                              ;   in Loop: Header=BB148_40 Depth=1
	s_or_b32 exec_lo, exec_lo, s0
	v_lshlrev_b32_e32 v4, 16, v4
	s_delay_alu instid0(VALU_DEP_1) | instskip(NEXT) | instid1(VALU_DEP_1)
	v_mul_f32_e32 v36, v49, v4
	v_and_b32_e32 v4, 0x7f800000, v36
	s_delay_alu instid0(VALU_DEP_1) | instskip(SKIP_1) | instid1(SALU_CYCLE_1)
	v_cmp_ne_u32_e32 vcc_lo, 0x7f800000, v4
                                        ; implicit-def: $vgpr4
	s_and_saveexec_b32 s0, vcc_lo
	s_xor_b32 s0, exec_lo, s0
; %bb.338:                              ;   in Loop: Header=BB148_40 Depth=1
	v_bfe_u32 v4, v36, 16, 1
	s_delay_alu instid0(VALU_DEP_1)
	v_add3_u32 v4, v36, v4, 0x7fff
                                        ; implicit-def: $vgpr36
; %bb.339:                              ;   in Loop: Header=BB148_40 Depth=1
	s_and_not1_saveexec_b32 s0, s0
; %bb.340:                              ;   in Loop: Header=BB148_40 Depth=1
	v_and_b32_e32 v4, 0xffff, v36
	v_or_b32_e32 v37, 0x10000, v36
	s_delay_alu instid0(VALU_DEP_2) | instskip(NEXT) | instid1(VALU_DEP_2)
	v_cmp_eq_u32_e32 vcc_lo, 0, v4
	v_cndmask_b32_e32 v4, v37, v36, vcc_lo
; %bb.341:                              ;   in Loop: Header=BB148_40 Depth=1
	s_or_b32 exec_lo, exec_lo, s0
	v_lshlrev_b32_e32 v36, 16, v97
	s_delay_alu instid0(VALU_DEP_1) | instskip(NEXT) | instid1(VALU_DEP_1)
	v_mul_f32_e32 v37, v50, v36
	v_and_b32_e32 v36, 0x7f800000, v37
	s_delay_alu instid0(VALU_DEP_1) | instskip(SKIP_1) | instid1(SALU_CYCLE_1)
	v_cmp_ne_u32_e32 vcc_lo, 0x7f800000, v36
                                        ; implicit-def: $vgpr36
	s_and_saveexec_b32 s0, vcc_lo
	s_xor_b32 s0, exec_lo, s0
; %bb.342:                              ;   in Loop: Header=BB148_40 Depth=1
	v_bfe_u32 v36, v37, 16, 1
	s_delay_alu instid0(VALU_DEP_1)
	v_add3_u32 v36, v37, v36, 0x7fff
                                        ; implicit-def: $vgpr37
; %bb.343:                              ;   in Loop: Header=BB148_40 Depth=1
	s_and_not1_saveexec_b32 s0, s0
	s_cbranch_execz .LBB148_38
; %bb.344:                              ;   in Loop: Header=BB148_40 Depth=1
	v_and_b32_e32 v36, 0xffff, v37
	v_or_b32_e32 v38, 0x10000, v37
	s_delay_alu instid0(VALU_DEP_2) | instskip(NEXT) | instid1(VALU_DEP_2)
	v_cmp_eq_u32_e32 vcc_lo, 0, v36
	v_cndmask_b32_e32 v36, v38, v37, vcc_lo
	s_branch .LBB148_38
.LBB148_345:
	s_or_b32 exec_lo, exec_lo, s3
.LBB148_346:
	s_delay_alu instid0(SALU_CYCLE_1)
	s_or_b32 exec_lo, exec_lo, s1
	v_and_b32_e32 v2, 0x3c0, v0
	v_lshl_add_u32 v1, v26, 10, 0x220
	s_mov_b32 s0, exec_lo
	s_waitcnt_vscnt null, 0x0
	s_barrier
	buffer_gl0_inv
	v_cmpx_eq_u32_e32 64, v2
	s_cbranch_execz .LBB148_348
; %bb.347:
	v_add_nc_u32_e32 v2, 0xfffff800, v1
	v_or_b32_e32 v3, 0x180, v25
	v_or_b32_e32 v4, 0x380, v25
	s_delay_alu instid0(VALU_DEP_3) | instskip(NEXT) | instid1(VALU_DEP_3)
	v_lshl_add_u32 v5, v13, 2, v2
	v_add_nc_u32_e32 v3, v2, v3
	s_delay_alu instid0(VALU_DEP_3)
	v_add_nc_u32_e32 v2, v2, v4
	ds_store_2addr_b32 v5, v19, v18 offset1:32
	ds_store_b32 v3, v16
	ds_store_2addr_stride64_b32 v5, v17, v15 offset0:1 offset1:2
	ds_store_2addr_b32 v5, v14, v12 offset0:160 offset1:192
	ds_store_b32 v2, v7
.LBB148_348:
	s_or_b32 exec_lo, exec_lo, s0
	v_lshl_add_u32 v2, v13, 2, v1
	s_mov_b32 s0, exec_lo
	s_waitcnt lgkmcnt(0)
	s_barrier
	buffer_gl0_inv
	v_cmpx_gt_u32_e32 64, v0
	s_cbranch_execz .LBB148_350
; %bb.349:
	v_or_b32_e32 v3, 0x80, v25
	v_or_b32_e32 v4, 0x180, v25
	v_or_b32_e32 v5, 0x280, v25
	v_or_b32_e32 v6, 0x380, v25
	s_delay_alu instid0(VALU_DEP_4) | instskip(NEXT) | instid1(VALU_DEP_4)
	v_add_nc_u32_e32 v8, v1, v3
	v_add_nc_u32_e32 v9, v1, v4
	ds_load_2addr_stride64_b32 v[3:4], v2 offset1:1
	v_add_nc_u32_e32 v10, v1, v5
	v_add_nc_u32_e32 v11, v1, v6
	s_waitcnt lgkmcnt(0)
	v_add_f32_e32 v19, v19, v3
	ds_load_2addr_stride64_b32 v[5:6], v2 offset0:2 offset1:3
	ds_load_b32 v8, v8
	ds_load_b32 v9, v9
	ds_load_b32 v10, v10
	ds_load_b32 v11, v11
	v_add_f32_e32 v17, v17, v4
	s_waitcnt lgkmcnt(4)
	v_dual_add_f32 v15, v15, v5 :: v_dual_add_f32 v12, v12, v6
	s_waitcnt lgkmcnt(2)
	v_add_f32_e32 v16, v16, v9
	v_add_f32_e32 v18, v18, v8
	s_waitcnt lgkmcnt(0)
	v_dual_add_f32 v14, v14, v10 :: v_dual_add_f32 v7, v7, v11
.LBB148_350:
	s_or_b32 exec_lo, exec_lo, s0
	v_and_b32_e32 v3, 0x3e0, v0
	s_mov_b32 s0, exec_lo
	s_barrier
	buffer_gl0_inv
	v_cmpx_eq_u32_e32 32, v3
	s_cbranch_execz .LBB148_352
; %bb.351:
	v_or_b32_e32 v3, 0x180, v25
	v_or_b32_e32 v4, 0x280, v25
	v_lshl_add_u32 v5, v13, 2, 0x220
	v_or_b32_e32 v8, 0x380, v25
	v_add_nc_u32_e32 v6, 0x220, v25
	v_add_nc_u32_e32 v3, 0x220, v3
	;; [unrolled: 1-line block ×3, first 2 shown]
	ds_store_b32 v5, v19
	ds_store_b32 v6, v18
	v_add_nc_u32_e32 v6, 0x220, v8
	ds_store_b32 v3, v16
	ds_store_b32 v4, v14
	ds_store_2addr_stride64_b32 v5, v17, v15 offset0:1 offset1:2
	ds_store_b32 v5, v12 offset:768
	ds_store_b32 v6, v7
.LBB148_352:
	s_or_b32 exec_lo, exec_lo, s0
	v_cmp_gt_u32_e32 vcc_lo, 32, v0
	s_waitcnt lgkmcnt(0)
	s_barrier
	buffer_gl0_inv
	s_and_saveexec_b32 s0, vcc_lo
	s_cbranch_execz .LBB148_354
; %bb.353:
	v_lshl_add_u32 v8, v0, 2, v1
	ds_load_b32 v9, v2
	ds_load_2addr_b32 v[1:2], v8 offset0:32 offset1:64
	ds_load_2addr_b32 v[3:4], v8 offset0:96 offset1:128
	;; [unrolled: 1-line block ×3, first 2 shown]
	ds_load_b32 v8, v8 offset:896
	s_waitcnt lgkmcnt(4)
	v_add_f32_e32 v19, v19, v9
	s_waitcnt lgkmcnt(3)
	v_dual_add_f32 v18, v18, v1 :: v_dual_add_f32 v17, v17, v2
	s_waitcnt lgkmcnt(2)
	v_dual_add_f32 v16, v16, v3 :: v_dual_add_f32 v15, v15, v4
	s_waitcnt lgkmcnt(1)
	v_add_f32_e32 v14, v14, v5
	s_waitcnt lgkmcnt(0)
	v_dual_add_f32 v12, v12, v6 :: v_dual_add_f32 v7, v7, v8
.LBB148_354:
	s_or_b32 exec_lo, exec_lo, s0
	s_barrier
	buffer_gl0_inv
	s_and_saveexec_b32 s0, vcc_lo
	s_cbranch_execz .LBB148_388
; %bb.355:
	v_and_b32_e32 v1, 0x7f800000, v19
	s_delay_alu instid0(VALU_DEP_1) | instskip(SKIP_1) | instid1(SALU_CYCLE_1)
	v_cmp_ne_u32_e32 vcc_lo, 0x7f800000, v1
                                        ; implicit-def: $vgpr1
	s_and_saveexec_b32 s0, vcc_lo
	s_xor_b32 s0, exec_lo, s0
; %bb.356:
	v_bfe_u32 v1, v19, 16, 1
	s_delay_alu instid0(VALU_DEP_1)
	v_add3_u32 v1, v19, v1, 0x7fff
; %bb.357:
	s_and_not1_saveexec_b32 s0, s0
; %bb.358:
	v_and_b32_e32 v1, 0xffff, v19
	v_or_b32_e32 v2, 0x10000, v19
	s_delay_alu instid0(VALU_DEP_2) | instskip(NEXT) | instid1(VALU_DEP_2)
	v_cmp_eq_u32_e32 vcc_lo, 0, v1
	v_cndmask_b32_e32 v1, v2, v19, vcc_lo
; %bb.359:
	s_or_b32 exec_lo, exec_lo, s0
	s_lshl_b32 s0, s6, 8
	s_mul_i32 s2, s4, s20
	s_ashr_i32 s1, s0, 31
	v_lshlrev_b32_e32 v0, 1, v0
	s_lshl_b64 s[0:1], s[0:1], 1
	v_and_b32_e32 v2, 0x7f800000, v18
	s_add_u32 s4, s22, s0
	s_addc_u32 s5, s23, s1
	s_ashr_i32 s3, s2, 31
	s_delay_alu instid0(SALU_CYCLE_1) | instskip(NEXT) | instid1(SALU_CYCLE_1)
	s_lshl_b64 s[0:1], s[2:3], 1
	s_add_u32 s2, s4, s0
	s_addc_u32 s3, s5, s1
	s_lshl_b32 s0, s12, 8
	s_delay_alu instid0(SALU_CYCLE_1) | instskip(NEXT) | instid1(SALU_CYCLE_1)
	s_ashr_i32 s1, s0, 31
	s_lshl_b64 s[0:1], s[0:1], 1
	s_delay_alu instid0(SALU_CYCLE_1) | instskip(SKIP_2) | instid1(VALU_DEP_1)
	s_add_u32 s0, s2, s0
	s_addc_u32 s1, s3, s1
	v_add_co_u32 v8, s2, s0, v0
	v_add_co_ci_u32_e64 v9, null, s1, 0, s2
	global_store_d16_hi_b16 v0, v1, s[0:1]
	s_mov_b32 s0, exec_lo
                                        ; implicit-def: $vgpr0
	v_cmpx_ne_u32_e32 0x7f800000, v2
	s_xor_b32 s0, exec_lo, s0
; %bb.360:
	v_bfe_u32 v0, v18, 16, 1
	s_delay_alu instid0(VALU_DEP_1)
	v_add3_u32 v0, v18, v0, 0x7fff
; %bb.361:
	s_and_not1_saveexec_b32 s0, s0
; %bb.362:
	v_and_b32_e32 v0, 0xffff, v18
	v_or_b32_e32 v1, 0x10000, v18
	s_delay_alu instid0(VALU_DEP_2) | instskip(NEXT) | instid1(VALU_DEP_2)
	v_cmp_eq_u32_e32 vcc_lo, 0, v0
	v_cndmask_b32_e32 v0, v1, v18, vcc_lo
; %bb.363:
	s_or_b32 exec_lo, exec_lo, s0
	v_and_b32_e32 v1, 0x7f800000, v17
	s_mov_b32 s0, exec_lo
	global_store_d16_hi_b16 v[8:9], v0, off offset:64
                                        ; implicit-def: $vgpr0
	v_cmpx_ne_u32_e32 0x7f800000, v1
	s_xor_b32 s0, exec_lo, s0
; %bb.364:
	v_bfe_u32 v0, v17, 16, 1
	s_delay_alu instid0(VALU_DEP_1)
	v_add3_u32 v0, v17, v0, 0x7fff
; %bb.365:
	s_and_not1_saveexec_b32 s0, s0
; %bb.366:
	v_and_b32_e32 v0, 0xffff, v17
	v_or_b32_e32 v1, 0x10000, v17
	s_delay_alu instid0(VALU_DEP_2) | instskip(NEXT) | instid1(VALU_DEP_2)
	v_cmp_eq_u32_e32 vcc_lo, 0, v0
	v_cndmask_b32_e32 v0, v1, v17, vcc_lo
; %bb.367:
	s_or_b32 exec_lo, exec_lo, s0
	v_and_b32_e32 v1, 0x7f800000, v16
	s_mov_b32 s0, exec_lo
	global_store_d16_hi_b16 v[8:9], v0, off offset:128
	;; [unrolled: 20-line block ×6, first 2 shown]
                                        ; implicit-def: $vgpr10
	v_cmpx_ne_u32_e32 0x7f800000, v1
	s_xor_b32 s0, exec_lo, s0
; %bb.384:
	v_bfe_u32 v0, v7, 16, 1
	s_delay_alu instid0(VALU_DEP_1)
	v_add3_u32 v10, v7, v0, 0x7fff
                                        ; implicit-def: $vgpr0_vgpr1_vgpr2_vgpr3_vgpr4_vgpr5_vgpr6_vgpr7
; %bb.385:
	s_and_not1_saveexec_b32 s0, s0
; %bb.386:
	v_and_b32_e32 v0, 0xffff, v7
	v_or_b32_e32 v1, 0x10000, v7
	s_delay_alu instid0(VALU_DEP_2) | instskip(NEXT) | instid1(VALU_DEP_2)
	v_cmp_eq_u32_e32 vcc_lo, 0, v0
	v_cndmask_b32_e32 v10, v1, v7, vcc_lo
; %bb.387:
	s_or_b32 exec_lo, exec_lo, s0
	global_store_d16_hi_b16 v[8:9], v10, off offset:448
.LBB148_388:
	s_nop 0
	s_sendmsg sendmsg(MSG_DEALLOC_VGPRS)
	s_endpgm
	.section	.rodata,"a",@progbits
	.p2align	6, 0x0
	.amdhsa_kernel _ZN4vllm25paged_attention_v2_kernelI14__hip_bfloat16S1_Li256ELi8ELi128ELNS_18Fp8KVCacheDataTypeE0ELb1ELi512EEEvPfS3_PT_PKS4_PKT0_SA_ifPKiSC_iPKfiiiSE_SE_iiiii
		.amdhsa_group_segment_fixed_size 544
		.amdhsa_private_segment_fixed_size 0
		.amdhsa_kernarg_size 400
		.amdhsa_user_sgpr_count 13
		.amdhsa_user_sgpr_dispatch_ptr 0
		.amdhsa_user_sgpr_queue_ptr 0
		.amdhsa_user_sgpr_kernarg_segment_ptr 1
		.amdhsa_user_sgpr_dispatch_id 0
		.amdhsa_user_sgpr_private_segment_size 0
		.amdhsa_wavefront_size32 1
		.amdhsa_uses_dynamic_stack 0
		.amdhsa_enable_private_segment 0
		.amdhsa_system_sgpr_workgroup_id_x 1
		.amdhsa_system_sgpr_workgroup_id_y 1
		.amdhsa_system_sgpr_workgroup_id_z 1
		.amdhsa_system_sgpr_workgroup_info 0
		.amdhsa_system_vgpr_workitem_id 0
		.amdhsa_next_free_vgpr 110
		.amdhsa_next_free_sgpr 46
		.amdhsa_reserve_vcc 1
		.amdhsa_float_round_mode_32 0
		.amdhsa_float_round_mode_16_64 0
		.amdhsa_float_denorm_mode_32 3
		.amdhsa_float_denorm_mode_16_64 3
		.amdhsa_dx10_clamp 1
		.amdhsa_ieee_mode 1
		.amdhsa_fp16_overflow 0
		.amdhsa_workgroup_processor_mode 1
		.amdhsa_memory_ordered 1
		.amdhsa_forward_progress 0
		.amdhsa_shared_vgpr_count 0
		.amdhsa_exception_fp_ieee_invalid_op 0
		.amdhsa_exception_fp_denorm_src 0
		.amdhsa_exception_fp_ieee_div_zero 0
		.amdhsa_exception_fp_ieee_overflow 0
		.amdhsa_exception_fp_ieee_underflow 0
		.amdhsa_exception_fp_ieee_inexact 0
		.amdhsa_exception_int_div_zero 0
	.end_amdhsa_kernel
	.section	.text._ZN4vllm25paged_attention_v2_kernelI14__hip_bfloat16S1_Li256ELi8ELi128ELNS_18Fp8KVCacheDataTypeE0ELb1ELi512EEEvPfS3_PT_PKS4_PKT0_SA_ifPKiSC_iPKfiiiSE_SE_iiiii,"axG",@progbits,_ZN4vllm25paged_attention_v2_kernelI14__hip_bfloat16S1_Li256ELi8ELi128ELNS_18Fp8KVCacheDataTypeE0ELb1ELi512EEEvPfS3_PT_PKS4_PKT0_SA_ifPKiSC_iPKfiiiSE_SE_iiiii,comdat
.Lfunc_end148:
	.size	_ZN4vllm25paged_attention_v2_kernelI14__hip_bfloat16S1_Li256ELi8ELi128ELNS_18Fp8KVCacheDataTypeE0ELb1ELi512EEEvPfS3_PT_PKS4_PKT0_SA_ifPKiSC_iPKfiiiSE_SE_iiiii, .Lfunc_end148-_ZN4vllm25paged_attention_v2_kernelI14__hip_bfloat16S1_Li256ELi8ELi128ELNS_18Fp8KVCacheDataTypeE0ELb1ELi512EEEvPfS3_PT_PKS4_PKT0_SA_ifPKiSC_iPKfiiiSE_SE_iiiii
                                        ; -- End function
	.section	.AMDGPU.csdata,"",@progbits
; Kernel info:
; codeLenInByte = 16840
; NumSgprs: 48
; NumVgprs: 110
; ScratchSize: 0
; MemoryBound: 0
; FloatMode: 240
; IeeeMode: 1
; LDSByteSize: 544 bytes/workgroup (compile time only)
; SGPRBlocks: 5
; VGPRBlocks: 13
; NumSGPRsForWavesPerEU: 48
; NumVGPRsForWavesPerEU: 110
; Occupancy: 12
; WaveLimiterHint : 1
; COMPUTE_PGM_RSRC2:SCRATCH_EN: 0
; COMPUTE_PGM_RSRC2:USER_SGPR: 13
; COMPUTE_PGM_RSRC2:TRAP_HANDLER: 0
; COMPUTE_PGM_RSRC2:TGID_X_EN: 1
; COMPUTE_PGM_RSRC2:TGID_Y_EN: 1
; COMPUTE_PGM_RSRC2:TGID_Z_EN: 1
; COMPUTE_PGM_RSRC2:TIDIG_COMP_CNT: 0
	.section	.text._ZN4vllm32paged_attention_v2_reduce_kernelI14__hip_bfloat16Li256ELi128ELi512EEEvPT_PKfS5_PKS2_PKii,"axG",@progbits,_ZN4vllm32paged_attention_v2_reduce_kernelI14__hip_bfloat16Li256ELi128ELi512EEEvPT_PKfS5_PKS2_PKii,comdat
	.protected	_ZN4vllm32paged_attention_v2_reduce_kernelI14__hip_bfloat16Li256ELi128ELi512EEEvPT_PKfS5_PKS2_PKii ; -- Begin function _ZN4vllm32paged_attention_v2_reduce_kernelI14__hip_bfloat16Li256ELi128ELi512EEEvPT_PKfS5_PKS2_PKii
	.globl	_ZN4vllm32paged_attention_v2_reduce_kernelI14__hip_bfloat16Li256ELi128ELi512EEEvPT_PKfS5_PKS2_PKii
	.p2align	8
	.type	_ZN4vllm32paged_attention_v2_reduce_kernelI14__hip_bfloat16Li256ELi128ELi512EEEvPT_PKfS5_PKS2_PKii,@function
_ZN4vllm32paged_attention_v2_reduce_kernelI14__hip_bfloat16Li256ELi128ELi512EEEvPT_PKfS5_PKS2_PKii: ; @_ZN4vllm32paged_attention_v2_reduce_kernelI14__hip_bfloat16Li256ELi128ELi512EEEvPT_PKfS5_PKS2_PKii
; %bb.0:
	s_load_b128 s[4:7], s[0:1], 0x18
	s_add_u32 s8, s0, 48
	s_mov_b32 s10, s15
	s_addc_u32 s9, s1, 0
	s_ashr_i32 s11, s15, 31
	s_delay_alu instid0(SALU_CYCLE_1)
	s_lshl_b64 s[2:3], s[10:11], 2
	s_waitcnt lgkmcnt(0)
	s_add_u32 s2, s6, s2
	s_addc_u32 s3, s7, s3
	s_load_b32 s18, s[2:3], 0x0
	s_clause 0x2
	s_load_b64 s[6:7], s[0:1], 0x0
	s_load_b32 s11, s[0:1], 0x28
	s_load_b32 s15, s[0:1], 0x30
	s_waitcnt lgkmcnt(0)
	s_add_i32 s2, s18, -1
	s_delay_alu instid0(SALU_CYCLE_1)
	s_cmpk_gt_u32 s2, 0x1ff
	s_mov_b32 s2, -1
	s_cbranch_scc0 .LBB149_28
; %bb.1:
	s_load_b64 s[2:3], s[0:1], 0x8
	s_add_i32 s12, s18, 0x1ff
	s_mul_i32 s20, s15, s10
	s_ashr_i32 s13, s12, 31
	v_mov_b32_e32 v3, 0xff7fffff
	s_lshr_b32 s13, s13, 23
	s_mul_i32 s16, s14, s11
	s_add_i32 s12, s12, s13
	s_ashr_i32 s17, s16, 31
	s_ashr_i32 s19, s12, 9
	s_mul_i32 s12, s20, s11
	v_cmp_gt_i32_e32 vcc_lo, s19, v0
	s_ashr_i32 s13, s12, 31
	s_and_saveexec_b32 s21, vcc_lo
	s_cbranch_execz .LBB149_5
; %bb.2:
	s_load_b32 s28, s[8:9], 0xc
	s_load_b64 s[22:23], s[0:1], 0x10
	s_lshl_b64 s[24:25], s[12:13], 2
	s_lshl_b64 s[26:27], s[16:17], 2
	v_lshlrev_b32_e32 v1, 2, v0
	v_mov_b32_e32 v3, 0xff7fffff
	s_delay_alu instid0(VALU_DEP_2)
	v_dual_mov_b32 v5, v0 :: v_dual_add_nc_u32 v4, 32, v1
	s_waitcnt lgkmcnt(0)
	s_and_b32 s1, s28, 0xffff
	s_add_u32 s0, s24, s26
	s_addc_u32 s24, s25, s27
	s_add_u32 s0, s22, s0
	s_addc_u32 s22, s23, s24
	v_add_co_u32 v1, s0, s0, v1
	s_delay_alu instid0(VALU_DEP_1)
	v_add_co_ci_u32_e64 v2, null, s22, 0, s0
	s_mov_b32 s22, 0
	s_lshl_b32 s23, s1, 2
	.p2align	6
.LBB149_3:                              ; =>This Inner Loop Header: Depth=1
	global_load_b32 v6, v[1:2], off
	v_add_nc_u32_e32 v5, s1, v5
	v_max_f32_e32 v3, v3, v3
	v_add_co_u32 v1, s0, v1, s23
	s_delay_alu instid0(VALU_DEP_1) | instskip(NEXT) | instid1(VALU_DEP_4)
	v_add_co_ci_u32_e64 v2, s0, 0, v2, s0
	v_cmp_le_i32_e64 s0, s19, v5
	s_delay_alu instid0(VALU_DEP_1)
	s_or_b32 s22, s0, s22
	s_waitcnt vmcnt(0)
	v_max_f32_e32 v7, v6, v6
	ds_store_b32 v4, v6
	v_dual_max_f32 v3, v3, v7 :: v_dual_add_nc_u32 v4, s23, v4
	s_and_not1_b32 exec_lo, exec_lo, s22
	s_cbranch_execnz .LBB149_3
; %bb.4:
	s_or_b32 exec_lo, exec_lo, s22
.LBB149_5:
	s_delay_alu instid0(SALU_CYCLE_1)
	s_or_b32 exec_lo, exec_lo, s21
	v_mbcnt_lo_u32_b32 v1, -1, 0
	v_lshrrev_b32_e32 v9, 5, v0
	s_waitcnt lgkmcnt(0)
	s_barrier
	buffer_gl0_inv
	v_xor_b32_e32 v2, 16, v1
	v_xor_b32_e32 v4, 8, v1
	s_delay_alu instid0(VALU_DEP_2) | instskip(NEXT) | instid1(VALU_DEP_1)
	v_cmp_gt_i32_e64 s0, 32, v2
	v_cndmask_b32_e64 v2, v1, v2, s0
	s_delay_alu instid0(VALU_DEP_3) | instskip(NEXT) | instid1(VALU_DEP_2)
	v_cmp_gt_i32_e64 s0, 32, v4
	v_lshlrev_b32_e32 v5, 2, v2
	s_delay_alu instid0(VALU_DEP_2)
	v_cndmask_b32_e64 v4, v1, v4, s0
	ds_bpermute_b32 v2, v5, v3
	s_waitcnt lgkmcnt(0)
	v_dual_max_f32 v3, v3, v3 :: v_dual_max_f32 v2, v2, v2
	v_lshlrev_b32_e32 v7, 2, v4
	v_xor_b32_e32 v4, 4, v1
	s_delay_alu instid0(VALU_DEP_3) | instskip(NEXT) | instid1(VALU_DEP_2)
	v_max_f32_e32 v2, v3, v2
	v_cmp_gt_i32_e64 s0, 32, v4
	ds_bpermute_b32 v3, v7, v2
	v_cndmask_b32_e64 v4, v1, v4, s0
	s_delay_alu instid0(VALU_DEP_1) | instskip(SKIP_1) | instid1(VALU_DEP_1)
	v_lshlrev_b32_e32 v8, 2, v4
	v_xor_b32_e32 v4, 2, v1
	v_cmp_gt_i32_e64 s0, 32, v4
	s_delay_alu instid0(VALU_DEP_1) | instskip(SKIP_2) | instid1(VALU_DEP_1)
	v_cndmask_b32_e64 v4, v1, v4, s0
	s_waitcnt lgkmcnt(0)
	v_max_f32_e32 v3, v3, v3
	v_max_f32_e32 v2, v2, v3
	ds_bpermute_b32 v3, v8, v2
	s_waitcnt lgkmcnt(0)
	v_dual_max_f32 v6, v3, v3 :: v_dual_lshlrev_b32 v3, 2, v4
	s_delay_alu instid0(VALU_DEP_1) | instskip(SKIP_3) | instid1(VALU_DEP_1)
	v_max_f32_e32 v2, v2, v6
	v_xor_b32_e32 v6, 1, v1
	ds_bpermute_b32 v4, v3, v2
	v_cmp_gt_i32_e64 s0, 32, v6
	v_cndmask_b32_e64 v6, v1, v6, s0
	s_waitcnt lgkmcnt(0)
	v_max_f32_e32 v4, v4, v4
	s_delay_alu instid0(VALU_DEP_1) | instskip(SKIP_3) | instid1(VALU_DEP_1)
	v_dual_max_f32 v1, v2, v4 :: v_dual_lshlrev_b32 v4, 2, v6
	v_and_b32_e32 v6, 31, v0
	ds_bpermute_b32 v2, v4, v1
	v_cmp_eq_u32_e64 s0, 0, v6
	s_and_saveexec_b32 s1, s0
	s_cbranch_execz .LBB149_7
; %bb.6:
	s_waitcnt lgkmcnt(0)
	v_dual_max_f32 v2, v2, v2 :: v_dual_max_f32 v1, v1, v1
	s_delay_alu instid0(VALU_DEP_1)
	v_dual_max_f32 v1, v1, v2 :: v_dual_lshlrev_b32 v2, 2, v9
	ds_store_b32 v2, v1
.LBB149_7:
	s_or_b32 exec_lo, exec_lo, s1
	v_cmp_gt_u32_e64 s1, 4, v6
	v_mov_b32_e32 v1, 0xff7fffff
	s_waitcnt lgkmcnt(0)
	s_barrier
	buffer_gl0_inv
	s_and_saveexec_b32 s21, s1
	s_cbranch_execz .LBB149_9
; %bb.8:
	v_lshlrev_b32_e32 v1, 2, v6
	ds_load_b32 v1, v1
.LBB149_9:
	s_or_b32 exec_lo, exec_lo, s21
	s_waitcnt lgkmcnt(0)
	ds_bpermute_b32 v2, v3, v1
	v_max_f32_e32 v1, v1, v1
	s_lshl_b32 s21, s19, 2
	s_waitcnt lgkmcnt(0)
	v_dual_mov_b32 v11, 0 :: v_dual_max_f32 v2, v2, v2
	s_delay_alu instid0(VALU_DEP_1) | instskip(SKIP_3) | instid1(VALU_DEP_1)
	v_max_f32_e32 v1, v1, v2
	ds_bpermute_b32 v2, v4, v1
	s_waitcnt lgkmcnt(0)
	v_max_f32_e32 v2, v2, v2
	v_max_f32_e32 v1, v1, v2
	ds_bpermute_b32 v10, v11, v1
	s_and_saveexec_b32 s22, vcc_lo
	s_cbranch_execz .LBB149_13
; %bb.10:
	s_load_b32 s23, s[8:9], 0xc
	s_lshl_b64 s[24:25], s[12:13], 2
	s_lshl_b64 s[26:27], s[16:17], 2
	v_lshlrev_b32_e32 v1, 2, v0
	v_mov_b32_e32 v11, 0
	s_delay_alu instid0(VALU_DEP_2)
	v_dual_mov_b32 v13, v0 :: v_dual_add_nc_u32 v12, 32, v1
	s_waitcnt lgkmcnt(0)
	s_and_b32 s13, s23, 0xffff
	s_add_u32 s17, s24, s26
	s_addc_u32 s23, s25, s27
	s_add_u32 s2, s2, s17
	s_addc_u32 s3, s3, s23
	v_add_co_u32 v1, s2, s2, v1
	s_delay_alu instid0(VALU_DEP_1)
	v_add_co_ci_u32_e64 v2, null, s3, 0, s2
	s_mov_b32 s3, 0
	s_lshl_b32 s17, s13, 2
	s_set_inst_prefetch_distance 0x1
	.p2align	6
.LBB149_11:                             ; =>This Inner Loop Header: Depth=1
	global_load_b32 v14, v[1:2], off
	ds_load_b32 v15, v12
	v_add_nc_u32_e32 v13, s13, v13
	s_waitcnt lgkmcnt(0)
	v_sub_f32_e32 v15, v15, v10
	s_delay_alu instid0(VALU_DEP_1) | instskip(NEXT) | instid1(VALU_DEP_1)
	v_mul_f32_e32 v16, 0x3fb8aa3b, v15
	v_fma_f32 v17, 0x3fb8aa3b, v15, -v16
	v_rndne_f32_e32 v18, v16
	s_delay_alu instid0(VALU_DEP_1) | instskip(NEXT) | instid1(VALU_DEP_1)
	v_dual_fmac_f32 v17, 0x32a5705f, v15 :: v_dual_sub_f32 v16, v16, v18
	v_add_f32_e32 v16, v16, v17
	v_cvt_i32_f32_e32 v17, v18
	v_cmp_ngt_f32_e32 vcc_lo, 0xc2ce8ed0, v15
	v_cmp_nlt_f32_e64 s2, 0x42b17218, v15
	s_delay_alu instid0(VALU_DEP_4) | instskip(SKIP_3) | instid1(VALU_DEP_2)
	v_exp_f32_e32 v16, v16
	s_waitcnt_depctr 0xfff
	v_ldexp_f32 v16, v16, v17
	v_add_nc_u32_e32 v17, s21, v12
	v_cndmask_b32_e32 v16, 0, v16, vcc_lo
	v_add_co_u32 v1, vcc_lo, v1, s17
	v_add_co_ci_u32_e32 v2, vcc_lo, 0, v2, vcc_lo
	s_delay_alu instid0(VALU_DEP_3)
	v_cndmask_b32_e64 v15, 0x7f800000, v16, s2
	v_cmp_le_i32_e32 vcc_lo, s19, v13
	v_add_nc_u32_e32 v12, s17, v12
	s_or_b32 s3, vcc_lo, s3
	s_waitcnt vmcnt(0)
	v_fmac_f32_e32 v11, v14, v15
	v_mul_f32_e32 v16, v14, v15
	ds_store_b32 v17, v16
	s_and_not1_b32 exec_lo, exec_lo, s3
	s_cbranch_execnz .LBB149_11
; %bb.12:
	s_set_inst_prefetch_distance 0x2
	s_or_b32 exec_lo, exec_lo, s3
.LBB149_13:
	s_delay_alu instid0(SALU_CYCLE_1)
	s_or_b32 exec_lo, exec_lo, s22
	ds_bpermute_b32 v1, v5, v11
	s_waitcnt lgkmcnt(0)
	s_barrier
	buffer_gl0_inv
	v_add_f32_e32 v1, v11, v1
	ds_bpermute_b32 v2, v7, v1
	s_waitcnt lgkmcnt(0)
	v_add_f32_e32 v1, v1, v2
	ds_bpermute_b32 v2, v8, v1
	s_waitcnt lgkmcnt(0)
	;; [unrolled: 3-line block ×4, first 2 shown]
	v_add_f32_e32 v1, v1, v2
	s_and_saveexec_b32 s2, s0
	s_cbranch_execz .LBB149_15
; %bb.14:
	v_lshlrev_b32_e32 v2, 2, v9
	ds_store_b32 v2, v1 offset:16
.LBB149_15:
	s_or_b32 exec_lo, exec_lo, s2
	s_waitcnt lgkmcnt(0)
	s_barrier
	buffer_gl0_inv
	s_and_saveexec_b32 s0, s1
	s_cbranch_execz .LBB149_17
; %bb.16:
	v_lshlrev_b32_e32 v1, 2, v6
	ds_load_b32 v1, v1 offset:16
.LBB149_17:
	s_or_b32 exec_lo, exec_lo, s0
	s_waitcnt lgkmcnt(0)
	ds_bpermute_b32 v2, v3, v1
	s_mov_b32 s1, exec_lo
	s_waitcnt lgkmcnt(0)
	v_add_f32_e32 v1, v1, v2
	ds_bpermute_b32 v2, v4, v1
	s_waitcnt lgkmcnt(0)
	v_dual_add_f32 v1, v1, v2 :: v_dual_mov_b32 v2, 0
	ds_bpermute_b32 v1, v2, v1
	v_cmpx_gt_u32_e32 0x100, v0
	s_cbranch_execz .LBB149_27
; %bb.18:
	s_waitcnt lgkmcnt(0)
	v_add_f32_e32 v1, 0x358637bd, v1
	s_lshl_b32 s2, s20, 8
	s_lshl_b32 s22, s12, 8
	s_ashr_i32 s3, s2, 31
	s_lshl_b32 s24, s16, 8
	v_div_scale_f32 v3, null, v1, v1, 1.0
	s_lshl_b64 s[2:3], s[2:3], 1
	s_ashr_i32 s23, s22, 31
	s_ashr_i32 s25, s24, 31
	s_delay_alu instid0(VALU_DEP_1)
	v_rcp_f32_e32 v4, v3
	s_add_u32 s0, s6, s2
	s_addc_u32 s12, s7, s3
	s_lshl_b32 s2, s14, 8
	v_lshlrev_b32_e32 v8, 1, v0
	s_ashr_i32 s3, s2, 31
	s_delay_alu instid0(SALU_CYCLE_1) | instskip(NEXT) | instid1(SALU_CYCLE_1)
	s_lshl_b64 s[2:3], s[2:3], 1
	s_add_u32 s2, s0, s2
	s_waitcnt_depctr 0xfff
	v_fma_f32 v5, -v3, v4, 1.0
	s_addc_u32 s3, s12, s3
	s_add_i32 s12, s21, 32
	s_cmp_gt_i32 s18, 0
	s_cselect_b32 s13, -1, 0
	v_fmac_f32_e32 v4, v5, v4
	v_div_scale_f32 v6, vcc_lo, 1.0, v1, 1.0
	s_max_i32 s16, s19, 1
	s_lshl_b64 s[18:19], s[22:23], 1
	s_lshl_b64 s[20:21], s[24:25], 1
	s_delay_alu instid0(VALU_DEP_1)
	v_mul_f32_e32 v5, v6, v4
	s_add_u32 s0, s18, s20
	s_addc_u32 s17, s19, s21
	s_add_u32 s0, s4, s0
	s_addc_u32 s17, s5, s17
	v_fma_f32 v7, -v3, v5, v6
	s_delay_alu instid0(VALU_DEP_1) | instskip(NEXT) | instid1(VALU_DEP_1)
	v_fmac_f32_e32 v5, v7, v4
	v_fma_f32 v3, -v3, v5, v6
	s_delay_alu instid0(VALU_DEP_1) | instskip(NEXT) | instid1(VALU_DEP_1)
	v_div_fmas_f32 v5, v3, v4, v5
	v_div_fixup_f32 v7, v5, v1, 1.0
	v_mov_b32_e32 v1, v0
	v_add_co_u32 v3, s0, s0, v8
	s_delay_alu instid0(VALU_DEP_1)
	v_add_co_ci_u32_e64 v4, null, s17, 0, s0
	s_mov_b32 s17, 0
	s_branch .LBB149_20
.LBB149_19:                             ;   in Loop: Header=BB149_20 Depth=1
	s_or_b32 exec_lo, exec_lo, s0
	v_lshlrev_b64 v[8:9], 1, v[1:2]
	v_add_nc_u32_e32 v6, 0x80, v1
	v_cmp_lt_u32_e32 vcc_lo, 0x7f, v1
	s_delay_alu instid0(VALU_DEP_2) | instskip(NEXT) | instid1(VALU_DEP_4)
	v_mov_b32_e32 v1, v6
	v_add_co_u32 v8, s0, s2, v8
	s_delay_alu instid0(VALU_DEP_1) | instskip(SKIP_1) | instid1(VALU_DEP_1)
	v_add_co_ci_u32_e64 v9, s0, s3, v9, s0
	v_add_co_u32 v3, s0, 0x100, v3
	v_add_co_ci_u32_e64 v4, s0, 0, v4, s0
	s_or_b32 s17, vcc_lo, s17
	global_store_d16_hi_b16 v[8:9], v5, off
	s_and_not1_b32 exec_lo, exec_lo, s17
	s_cbranch_execz .LBB149_27
.LBB149_20:                             ; =>This Loop Header: Depth=1
                                        ;     Child Loop BB149_22 Depth 2
	v_mov_b32_e32 v8, 0
	s_and_not1_b32 vcc_lo, exec_lo, s13
	s_cbranch_vccnz .LBB149_23
; %bb.21:                               ;   in Loop: Header=BB149_20 Depth=1
	v_dual_mov_b32 v6, v4 :: v_dual_mov_b32 v5, v3
	s_mov_b32 s0, s12
	s_mov_b32 s18, s16
.LBB149_22:                             ;   Parent Loop BB149_20 Depth=1
                                        ; =>  This Inner Loop Header: Depth=2
	global_load_u16 v9, v[5:6], off
	v_mov_b32_e32 v10, s0
	v_add_co_u32 v5, vcc_lo, 0x200, v5
	v_add_co_ci_u32_e32 v6, vcc_lo, 0, v6, vcc_lo
	s_add_i32 s18, s18, -1
	s_add_i32 s0, s0, 4
	s_cmp_eq_u32 s18, 0
	s_waitcnt vmcnt(0)
	v_lshlrev_b32_e32 v9, 16, v9
	ds_load_b32 v10, v10
	s_waitcnt lgkmcnt(0)
	v_mul_f32_e32 v9, v10, v9
	s_delay_alu instid0(VALU_DEP_1)
	v_fmac_f32_e32 v8, v7, v9
	s_cbranch_scc0 .LBB149_22
.LBB149_23:                             ;   in Loop: Header=BB149_20 Depth=1
	s_delay_alu instid0(VALU_DEP_1) | instskip(NEXT) | instid1(VALU_DEP_1)
	v_and_b32_e32 v5, 0x7f800000, v8
	v_cmp_ne_u32_e32 vcc_lo, 0x7f800000, v5
                                        ; implicit-def: $vgpr5
	s_and_saveexec_b32 s0, vcc_lo
	s_delay_alu instid0(SALU_CYCLE_1)
	s_xor_b32 s0, exec_lo, s0
; %bb.24:                               ;   in Loop: Header=BB149_20 Depth=1
	v_bfe_u32 v5, v8, 16, 1
	s_delay_alu instid0(VALU_DEP_1)
	v_add3_u32 v5, v8, v5, 0x7fff
                                        ; implicit-def: $vgpr8
; %bb.25:                               ;   in Loop: Header=BB149_20 Depth=1
	s_and_not1_saveexec_b32 s0, s0
	s_cbranch_execz .LBB149_19
; %bb.26:                               ;   in Loop: Header=BB149_20 Depth=1
	v_and_b32_e32 v5, 0xffff, v8
	v_or_b32_e32 v6, 0x10000, v8
	s_delay_alu instid0(VALU_DEP_2) | instskip(NEXT) | instid1(VALU_DEP_2)
	v_cmp_eq_u32_e32 vcc_lo, 0, v5
	v_cndmask_b32_e32 v5, v6, v8, vcc_lo
	s_branch .LBB149_19
.LBB149_27:
	s_or_b32 exec_lo, exec_lo, s1
	s_mov_b32 s2, 0
.LBB149_28:
	s_delay_alu instid0(SALU_CYCLE_1)
	s_and_b32 vcc_lo, exec_lo, s2
	s_cbranch_vccz .LBB149_37
; %bb.29:
	s_mov_b32 s0, exec_lo
	v_cmpx_gt_u32_e32 0x100, v0
	s_cbranch_execz .LBB149_37
; %bb.30:
	s_mul_i32 s15, s15, s10
	s_load_b32 s8, s[8:9], 0xc
	s_lshl_b32 s0, s15, 8
	s_delay_alu instid0(SALU_CYCLE_1) | instskip(NEXT) | instid1(SALU_CYCLE_1)
	s_ashr_i32 s1, s0, 31
	s_lshl_b64 s[0:1], s[0:1], 1
	s_delay_alu instid0(SALU_CYCLE_1) | instskip(SKIP_4) | instid1(SALU_CYCLE_1)
	s_add_u32 s6, s6, s0
	s_addc_u32 s7, s7, s1
	s_lshl_b32 s0, s14, 8
	s_mul_i32 s14, s14, s11
	s_ashr_i32 s1, s0, 31
	s_lshl_b64 s[2:3], s[0:1], 1
	s_mul_i32 s0, s11, s15
	s_add_u32 s1, s6, s2
	s_addc_u32 s2, s7, s3
	s_lshl_b32 s6, s0, 8
	s_delay_alu instid0(SALU_CYCLE_1) | instskip(NEXT) | instid1(SALU_CYCLE_1)
	s_ashr_i32 s7, s6, 31
	s_lshl_b64 s[6:7], s[6:7], 1
	s_delay_alu instid0(SALU_CYCLE_1) | instskip(SKIP_4) | instid1(SALU_CYCLE_1)
	s_add_u32 s0, s4, s6
	s_addc_u32 s6, s5, s7
	s_lshl_b32 s4, s14, 8
	s_mov_b32 s7, 0
	s_ashr_i32 s5, s4, 31
	s_lshl_b64 s[4:5], s[4:5], 1
	s_delay_alu instid0(SALU_CYCLE_1) | instskip(SKIP_3) | instid1(SALU_CYCLE_1)
	s_add_u32 s3, s0, s4
	s_addc_u32 s4, s6, s5
	s_waitcnt lgkmcnt(0)
	s_and_b32 s5, s8, 0xffff
	v_cvt_f32_u32_e32 v1, s5
	s_cmp_eq_u32 s5, 1
	v_add_nc_u32_e32 v3, s5, v0
	s_cselect_b32 s6, -1, 0
	s_sub_i32 s0, 0, s5
	v_rcp_iflag_f32_e32 v1, v1
	s_delay_alu instid0(VALU_DEP_1) | instskip(SKIP_3) | instid1(VALU_DEP_1)
	v_cmp_gt_u32_e32 vcc_lo, 0x100, v3
	v_max_u32_e32 v4, 0x100, v3
	s_waitcnt_depctr 0xfff
	v_mul_f32_e32 v1, 0x4f7ffffe, v1
	v_cvt_u32_f32_e32 v1, v1
	s_delay_alu instid0(VALU_DEP_1) | instskip(SKIP_1) | instid1(VALU_DEP_1)
	v_mul_lo_u32 v2, s0, v1
	v_add_co_ci_u32_e64 v3, s0, s5, v0, vcc_lo
	v_sub_nc_u32_e32 v3, v4, v3
	s_delay_alu instid0(VALU_DEP_3) | instskip(NEXT) | instid1(VALU_DEP_1)
	v_mul_hi_u32 v2, v1, v2
	v_add_nc_u32_e32 v1, v1, v2
	s_delay_alu instid0(VALU_DEP_1) | instskip(NEXT) | instid1(VALU_DEP_1)
	v_mul_hi_u32 v1, v3, v1
	v_mul_lo_u32 v2, v1, s5
	s_delay_alu instid0(VALU_DEP_1) | instskip(SKIP_1) | instid1(VALU_DEP_2)
	v_sub_nc_u32_e32 v2, v3, v2
	v_add_nc_u32_e32 v3, 1, v1
	v_subrev_nc_u32_e32 v4, s5, v2
	v_cmp_le_u32_e64 s0, s5, v2
	s_delay_alu instid0(VALU_DEP_1) | instskip(NEXT) | instid1(VALU_DEP_3)
	v_cndmask_b32_e64 v1, v1, v3, s0
	v_cndmask_b32_e64 v2, v2, v4, s0
	s_delay_alu instid0(VALU_DEP_2) | instskip(NEXT) | instid1(VALU_DEP_2)
	v_add_nc_u32_e32 v3, 1, v1
	v_cmp_le_u32_e64 s0, s5, v2
	s_delay_alu instid0(VALU_DEP_1) | instskip(SKIP_1) | instid1(VALU_DEP_1)
	v_cndmask_b32_e64 v1, v1, v3, s0
	s_mov_b32 s0, -1
	v_add_co_ci_u32_e32 v3, vcc_lo, 1, v1, vcc_lo
	s_delay_alu instid0(VALU_DEP_1) | instskip(SKIP_1) | instid1(SALU_CYCLE_1)
	v_cmp_lt_u32_e32 vcc_lo, 15, v3
	s_and_b32 s8, vcc_lo, s6
	s_and_saveexec_b32 s6, s8
	s_cbranch_execz .LBB149_34
; %bb.31:
	v_dual_mov_b32 v1, v0 :: v_dual_and_b32 v4, -16, v3
	s_delay_alu instid0(VALU_DEP_1)
	v_dual_mov_b32 v2, 0 :: v_dual_mov_b32 v5, v4
	.p2align	6
.LBB149_32:                             ; =>This Inner Loop Header: Depth=1
	s_delay_alu instid0(VALU_DEP_1) | instskip(NEXT) | instid1(VALU_DEP_2)
	v_lshlrev_b64 v[14:15], 1, v[1:2]
	v_add_nc_u32_e32 v5, -16, v5
	v_add_nc_u32_e32 v1, 16, v1
	s_delay_alu instid0(VALU_DEP_3) | instskip(NEXT) | instid1(VALU_DEP_4)
	v_add_co_u32 v10, vcc_lo, s3, v14
	v_add_co_ci_u32_e32 v11, vcc_lo, s4, v15, vcc_lo
	s_delay_alu instid0(VALU_DEP_4)
	v_cmp_eq_u32_e32 vcc_lo, 0, v5
	v_add_co_u32 v14, s0, s1, v14
	s_clause 0x1
	global_load_b128 v[6:9], v[10:11], off
	global_load_b128 v[10:13], v[10:11], off offset:16
	v_add_co_ci_u32_e64 v15, s0, s2, v15, s0
	s_or_b32 s7, vcc_lo, s7
	s_waitcnt vmcnt(1)
	global_store_b128 v[14:15], v[6:9], off
	s_waitcnt vmcnt(0)
	global_store_b128 v[14:15], v[10:13], off offset:16
	s_and_not1_b32 exec_lo, exec_lo, s7
	s_cbranch_execnz .LBB149_32
; %bb.33:
	s_or_b32 exec_lo, exec_lo, s7
	v_cmp_ne_u32_e32 vcc_lo, v3, v4
	v_add_nc_u32_e32 v0, v0, v4
	s_or_not1_b32 s0, vcc_lo, exec_lo
.LBB149_34:
	s_or_b32 exec_lo, exec_lo, s6
	s_delay_alu instid0(SALU_CYCLE_1)
	s_and_b32 exec_lo, exec_lo, s0
	s_cbranch_execz .LBB149_37
; %bb.35:
	v_mov_b32_e32 v1, 0
	s_mov_b32 s6, 0
	s_lshl_b32 s7, s5, 1
	s_delay_alu instid0(VALU_DEP_1)
	v_lshlrev_b64 v[1:2], 1, v[0:1]
	.p2align	6
.LBB149_36:                             ; =>This Inner Loop Header: Depth=1
	s_delay_alu instid0(VALU_DEP_1) | instskip(NEXT) | instid1(VALU_DEP_2)
	v_add_co_u32 v3, vcc_lo, s3, v1
	v_add_co_ci_u32_e32 v4, vcc_lo, s4, v2, vcc_lo
	v_add_nc_u32_e32 v0, s5, v0
	global_load_u16 v5, v[3:4], off
	v_add_co_u32 v3, vcc_lo, s1, v1
	v_add_co_ci_u32_e32 v4, vcc_lo, s2, v2, vcc_lo
	v_cmp_lt_u32_e32 vcc_lo, 0xff, v0
	v_add_co_u32 v1, s0, v1, s7
	s_delay_alu instid0(VALU_DEP_1)
	v_add_co_ci_u32_e64 v2, s0, 0, v2, s0
	s_or_b32 s6, vcc_lo, s6
	s_waitcnt vmcnt(0)
	global_store_b16 v[3:4], v5, off
	s_and_not1_b32 exec_lo, exec_lo, s6
	s_cbranch_execnz .LBB149_36
.LBB149_37:
	s_nop 0
	s_sendmsg sendmsg(MSG_DEALLOC_VGPRS)
	s_endpgm
	.section	.rodata,"a",@progbits
	.p2align	6, 0x0
	.amdhsa_kernel _ZN4vllm32paged_attention_v2_reduce_kernelI14__hip_bfloat16Li256ELi128ELi512EEEvPT_PKfS5_PKS2_PKii
		.amdhsa_group_segment_fixed_size 32
		.amdhsa_private_segment_fixed_size 0
		.amdhsa_kernarg_size 304
		.amdhsa_user_sgpr_count 14
		.amdhsa_user_sgpr_dispatch_ptr 0
		.amdhsa_user_sgpr_queue_ptr 0
		.amdhsa_user_sgpr_kernarg_segment_ptr 1
		.amdhsa_user_sgpr_dispatch_id 0
		.amdhsa_user_sgpr_private_segment_size 0
		.amdhsa_wavefront_size32 1
		.amdhsa_uses_dynamic_stack 0
		.amdhsa_enable_private_segment 0
		.amdhsa_system_sgpr_workgroup_id_x 1
		.amdhsa_system_sgpr_workgroup_id_y 1
		.amdhsa_system_sgpr_workgroup_id_z 0
		.amdhsa_system_sgpr_workgroup_info 0
		.amdhsa_system_vgpr_workitem_id 0
		.amdhsa_next_free_vgpr 19
		.amdhsa_next_free_sgpr 29
		.amdhsa_reserve_vcc 1
		.amdhsa_float_round_mode_32 0
		.amdhsa_float_round_mode_16_64 0
		.amdhsa_float_denorm_mode_32 3
		.amdhsa_float_denorm_mode_16_64 3
		.amdhsa_dx10_clamp 1
		.amdhsa_ieee_mode 1
		.amdhsa_fp16_overflow 0
		.amdhsa_workgroup_processor_mode 1
		.amdhsa_memory_ordered 1
		.amdhsa_forward_progress 0
		.amdhsa_shared_vgpr_count 0
		.amdhsa_exception_fp_ieee_invalid_op 0
		.amdhsa_exception_fp_denorm_src 0
		.amdhsa_exception_fp_ieee_div_zero 0
		.amdhsa_exception_fp_ieee_overflow 0
		.amdhsa_exception_fp_ieee_underflow 0
		.amdhsa_exception_fp_ieee_inexact 0
		.amdhsa_exception_int_div_zero 0
	.end_amdhsa_kernel
	.section	.text._ZN4vllm32paged_attention_v2_reduce_kernelI14__hip_bfloat16Li256ELi128ELi512EEEvPT_PKfS5_PKS2_PKii,"axG",@progbits,_ZN4vllm32paged_attention_v2_reduce_kernelI14__hip_bfloat16Li256ELi128ELi512EEEvPT_PKfS5_PKS2_PKii,comdat
.Lfunc_end149:
	.size	_ZN4vllm32paged_attention_v2_reduce_kernelI14__hip_bfloat16Li256ELi128ELi512EEEvPT_PKfS5_PKS2_PKii, .Lfunc_end149-_ZN4vllm32paged_attention_v2_reduce_kernelI14__hip_bfloat16Li256ELi128ELi512EEEvPT_PKfS5_PKS2_PKii
                                        ; -- End function
	.section	.AMDGPU.csdata,"",@progbits
; Kernel info:
; codeLenInByte = 2588
; NumSgprs: 31
; NumVgprs: 19
; ScratchSize: 0
; MemoryBound: 0
; FloatMode: 240
; IeeeMode: 1
; LDSByteSize: 32 bytes/workgroup (compile time only)
; SGPRBlocks: 3
; VGPRBlocks: 2
; NumSGPRsForWavesPerEU: 31
; NumVGPRsForWavesPerEU: 19
; Occupancy: 16
; WaveLimiterHint : 0
; COMPUTE_PGM_RSRC2:SCRATCH_EN: 0
; COMPUTE_PGM_RSRC2:USER_SGPR: 14
; COMPUTE_PGM_RSRC2:TRAP_HANDLER: 0
; COMPUTE_PGM_RSRC2:TGID_X_EN: 1
; COMPUTE_PGM_RSRC2:TGID_Y_EN: 1
; COMPUTE_PGM_RSRC2:TGID_Z_EN: 0
; COMPUTE_PGM_RSRC2:TIDIG_COMP_CNT: 0
	.section	.text._ZN4vllm25paged_attention_v2_kernelI14__hip_bfloat16S1_Li32ELi8ELi128ELNS_18Fp8KVCacheDataTypeE0ELb0ELi512EEEvPfS3_PT_PKS4_PKT0_SA_ifPKiSC_iPKfiiiSE_SE_iiiii,"axG",@progbits,_ZN4vllm25paged_attention_v2_kernelI14__hip_bfloat16S1_Li32ELi8ELi128ELNS_18Fp8KVCacheDataTypeE0ELb0ELi512EEEvPfS3_PT_PKS4_PKT0_SA_ifPKiSC_iPKfiiiSE_SE_iiiii,comdat
	.protected	_ZN4vllm25paged_attention_v2_kernelI14__hip_bfloat16S1_Li32ELi8ELi128ELNS_18Fp8KVCacheDataTypeE0ELb0ELi512EEEvPfS3_PT_PKS4_PKT0_SA_ifPKiSC_iPKfiiiSE_SE_iiiii ; -- Begin function _ZN4vllm25paged_attention_v2_kernelI14__hip_bfloat16S1_Li32ELi8ELi128ELNS_18Fp8KVCacheDataTypeE0ELb0ELi512EEEvPfS3_PT_PKS4_PKT0_SA_ifPKiSC_iPKfiiiSE_SE_iiiii
	.globl	_ZN4vllm25paged_attention_v2_kernelI14__hip_bfloat16S1_Li32ELi8ELi128ELNS_18Fp8KVCacheDataTypeE0ELb0ELi512EEEvPfS3_PT_PKS4_PKT0_SA_ifPKiSC_iPKfiiiSE_SE_iiiii
	.p2align	8
	.type	_ZN4vllm25paged_attention_v2_kernelI14__hip_bfloat16S1_Li32ELi8ELi128ELNS_18Fp8KVCacheDataTypeE0ELb0ELi512EEEvPfS3_PT_PKS4_PKT0_SA_ifPKiSC_iPKfiiiSE_SE_iiiii,@function
_ZN4vllm25paged_attention_v2_kernelI14__hip_bfloat16S1_Li32ELi8ELi128ELNS_18Fp8KVCacheDataTypeE0ELb0ELi512EEEvPfS3_PT_PKS4_PKT0_SA_ifPKiSC_iPKfiiiSE_SE_iiiii: ; @_ZN4vllm25paged_attention_v2_kernelI14__hip_bfloat16S1_Li32ELi8ELi128ELNS_18Fp8KVCacheDataTypeE0ELb0ELi512EEEvPfS3_PT_PKS4_PKT0_SA_ifPKiSC_iPKfiiiSE_SE_iiiii
; %bb.0:
	s_load_b64 s[2:3], s[0:1], 0x40
	s_mov_b32 s12, s15
	s_ashr_i32 s15, s14, 31
	s_delay_alu instid0(SALU_CYCLE_1)
	s_lshl_b64 s[4:5], s[14:15], 2
	s_waitcnt lgkmcnt(0)
	s_add_u32 s2, s2, s4
	s_addc_u32 s3, s3, s5
	s_lshl_b32 s33, s12, 9
	s_load_b32 s15, s[2:3], 0x0
	s_waitcnt lgkmcnt(0)
	s_cmp_ge_i32 s33, s15
	s_cbranch_scc1 .LBB150_114
; %bb.1:
	s_mov_b32 s20, s13
	s_clause 0x1
	s_load_b32 s13, s[0:1], 0x90
	s_load_b64 s[30:31], s[0:1], 0x30
	s_waitcnt lgkmcnt(0)
	s_abs_i32 s5, s13
	s_abs_i32 s2, s30
	s_delay_alu instid0(SALU_CYCLE_1) | instskip(SKIP_1) | instid1(VALU_DEP_1)
	v_cvt_f32_u32_e32 v1, s2
	s_sub_i32 s4, 0, s2
	v_rcp_iflag_f32_e32 v1, v1
	s_waitcnt_depctr 0xfff
	v_mul_f32_e32 v1, 0x4f7ffffe, v1
	s_delay_alu instid0(VALU_DEP_1) | instskip(NEXT) | instid1(VALU_DEP_1)
	v_cvt_u32_f32_e32 v1, v1
	v_readfirstlane_b32 s3, v1
	s_delay_alu instid0(VALU_DEP_1) | instskip(NEXT) | instid1(SALU_CYCLE_1)
	s_mul_i32 s4, s4, s3
	s_mul_hi_u32 s4, s3, s4
	s_delay_alu instid0(SALU_CYCLE_1)
	s_add_i32 s3, s3, s4
	s_xor_b32 s4, s13, s30
	s_mul_hi_u32 s3, s5, s3
	s_ashr_i32 s4, s4, 31
	s_mul_i32 s6, s3, s2
	s_mov_b32 s30, 0
	s_sub_i32 s5, s5, s6
	s_add_i32 s6, s3, 1
	s_sub_i32 s7, s5, s2
	s_cmp_ge_u32 s5, s2
	s_cselect_b32 s3, s6, s3
	s_cselect_b32 s5, s7, s5
	s_add_i32 s6, s3, 1
	s_cmp_ge_u32 s5, s2
	s_cselect_b32 s2, s6, s3
	s_abs_i32 s10, s20
	s_xor_b32 s2, s2, s4
	s_delay_alu instid0(SALU_CYCLE_1) | instskip(SKIP_2) | instid1(SALU_CYCLE_1)
	s_sub_i32 s11, s2, s4
	s_load_b64 s[2:3], s[0:1], 0x50
	s_abs_i32 s8, s11
	v_cvt_f32_u32_e32 v1, s8
	s_sub_i32 s5, 0, s8
	s_delay_alu instid0(VALU_DEP_1) | instskip(SKIP_2) | instid1(VALU_DEP_1)
	v_rcp_iflag_f32_e32 v1, v1
	s_waitcnt_depctr 0xfff
	v_mul_f32_e32 v1, 0x4f7ffffe, v1
	v_cvt_u32_f32_e32 v1, v1
	s_delay_alu instid0(VALU_DEP_1) | instskip(NEXT) | instid1(VALU_DEP_1)
	v_readfirstlane_b32 s4, v1
	s_mul_i32 s5, s5, s4
	s_delay_alu instid0(SALU_CYCLE_1) | instskip(NEXT) | instid1(SALU_CYCLE_1)
	s_mul_hi_u32 s5, s4, s5
	s_add_i32 s4, s4, s5
	s_waitcnt lgkmcnt(0)
	s_cmp_eq_u64 s[2:3], 0
	s_mul_hi_u32 s9, s10, s4
	s_cbranch_scc1 .LBB150_3
; %bb.2:
	s_ashr_i32 s21, s20, 31
	s_delay_alu instid0(SALU_CYCLE_1) | instskip(NEXT) | instid1(SALU_CYCLE_1)
	s_lshl_b64 s[4:5], s[20:21], 2
	s_add_u32 s2, s2, s4
	s_addc_u32 s3, s3, s5
	s_load_b32 s30, s[2:3], 0x0
.LBB150_3:
	s_load_b128 s[4:7], s[0:1], 0x58
	v_and_b32_e32 v1, 3, v0
	v_lshlrev_b32_e32 v2, 2, v0
	s_ashr_i32 s2, s20, 31
	s_ashr_i32 s3, s11, 31
	s_lshl_b32 s16, s20, 5
	s_waitcnt lgkmcnt(0)
	s_mov_b32 s7, exec_lo
	v_cmpx_gt_u32_e32 16, v0
	s_cbranch_execz .LBB150_5
; %bb.4:
	s_load_b64 s[18:19], s[0:1], 0x18
	s_mul_i32 s22, s14, s4
	v_and_b32_e32 v4, 0x3fc, v0
	s_ashr_i32 s23, s22, 31
	s_delay_alu instid0(SALU_CYCLE_1) | instskip(NEXT) | instid1(VALU_DEP_1)
	s_lshl_b64 s[22:23], s[22:23], 1
	v_lshl_add_u32 v4, v1, 4, v4
	s_waitcnt lgkmcnt(0)
	s_add_u32 s4, s18, s22
	s_addc_u32 s11, s19, s23
	s_ashr_i32 s17, s16, 31
	s_delay_alu instid0(SALU_CYCLE_1) | instskip(NEXT) | instid1(SALU_CYCLE_1)
	s_lshl_b64 s[18:19], s[16:17], 1
	s_add_u32 s18, s4, s18
	s_addc_u32 s19, s11, s19
	global_load_b32 v3, v2, s[18:19]
	s_waitcnt vmcnt(0)
	ds_store_b32 v4, v3
.LBB150_5:
	s_or_b32 exec_lo, exec_lo, s7
	s_add_i32 s4, s15, 7
	s_lshl_b32 s7, s12, 6
	s_ashr_i32 s11, s4, 31
	s_xor_b32 s2, s2, s3
	s_lshr_b32 s11, s11, 29
	s_add_i32 s3, s7, 64
	s_add_i32 s4, s4, s11
	s_clause 0x1
	s_load_b64 s[22:23], s[0:1], 0x38
	s_load_b32 s11, s[0:1], 0x48
	s_ashr_i32 s21, s4, 3
	s_mul_i32 s4, s9, s8
	s_min_i32 s17, s3, s21
	s_sub_i32 s3, s10, s4
	s_add_i32 s4, s9, 1
	s_sub_i32 s10, s3, s8
	s_cmp_ge_u32 s3, s8
	v_lshrrev_b32_e32 v12, 5, v0
	s_cselect_b32 s4, s4, s9
	s_cselect_b32 s3, s10, s3
	s_add_i32 s9, s4, 1
	s_cmp_ge_u32 s3, s8
	v_or_b32_e32 v9, s7, v12
	s_cselect_b32 s3, s9, s4
	v_mbcnt_lo_u32_b32 v4, -1, 0
	s_xor_b32 s3, s3, s2
	s_mov_b32 s4, exec_lo
	s_sub_i32 s3, s3, s2
	v_cmp_gt_i32_e64 s2, s17, v9
	s_waitcnt lgkmcnt(0)
	s_mul_i32 s24, s14, s11
	s_delay_alu instid0(SALU_CYCLE_1)
	s_ashr_i32 s25, s24, 31
	s_barrier
	buffer_gl0_inv
                                        ; implicit-def: $sgpr28
                                        ; implicit-def: $vgpr5
	v_cmpx_le_i32_e64 s17, v9
	s_xor_b32 s4, exec_lo, s4
; %bb.6:
	v_mbcnt_lo_u32_b32 v4, -1, 0
	v_mov_b32_e32 v5, 32
	s_mov_b32 s28, 0xff7fffff
                                        ; implicit-def: $vgpr2
                                        ; implicit-def: $vgpr1
; %bb.7:
	s_or_saveexec_b32 s34, s4
	s_clause 0x3
	s_load_b128 s[8:11], s[0:1], 0x0
	s_load_b64 s[18:19], s[0:1], 0x10
	s_load_b64 s[26:27], s[0:1], 0x28
	s_load_b32 s4, s[0:1], 0x98
	v_mov_b32_e32 v13, s28
	v_ashrrev_i32_e32 v10, 31, v9
	v_lshlrev_b32_e32 v3, 3, v12
	s_mul_i32 s28, s3, s6
	s_xor_b32 exec_lo, exec_lo, s34
	s_cbranch_execz .LBB150_13
; %bb.8:
	s_load_b64 s[0:1], s[0:1], 0x20
	v_xor_b32_e32 v20, 1, v4
	v_lshlrev_b32_e32 v5, 4, v1
	v_bfe_u32 v13, v0, 2, 3
	s_ashr_i32 s29, s28, 31
	s_mov_b32 s35, s5
	s_lshl_b64 s[36:37], s[28:29], 1
	ds_load_b128 v[16:19], v5
	v_xor_b32_e32 v5, 2, v4
	v_lshlrev_b32_e32 v6, 4, v13
	s_mov_b32 s29, 0
	v_mov_b32_e32 v24, v9
	s_delay_alu instid0(VALU_DEP_3)
	v_cmp_gt_i32_e32 vcc_lo, 32, v5
	v_dual_cndmask_b32 v21, v4, v5 :: v_dual_and_b32 v2, 12, v2
	s_waitcnt lgkmcnt(0)
	s_add_u32 s0, s0, s36
	s_addc_u32 s1, s1, s37
	v_add_co_u32 v5, s0, s0, v6
	s_delay_alu instid0(VALU_DEP_1)
	v_add_co_ci_u32_e64 v22, null, s1, 0, s0
	s_lshl_b64 s[36:37], s[24:25], 2
	v_lshlrev_b32_e32 v8, 16, v17
	v_and_b32_e32 v11, 0xffff0000, v17
	v_add_co_u32 v17, vcc_lo, v5, v2
	v_lshlrev_b32_e32 v14, 16, v18
	v_and_b32_e32 v15, 0xffff0000, v18
	v_add_co_ci_u32_e32 v18, vcc_lo, 0, v22, vcc_lo
	v_cmp_gt_i32_e32 vcc_lo, 32, v20
	v_lshlrev_b32_e32 v22, 2, v13
	s_sub_i32 s6, 1, s15
	s_add_u32 s1, s22, s36
	s_addc_u32 s3, s23, s37
	v_cndmask_b32_e32 v2, v4, v20, vcc_lo
	v_lshlrev_b32_e32 v20, 2, v21
	v_cmp_eq_u32_e32 vcc_lo, 0, v1
	v_lshl_or_b32 v23, v12, 5, v22
	v_lshlrev_b32_e32 v6, 16, v16
	v_lshlrev_b32_e32 v21, 2, v2
	v_lshlrev_b64 v[1:2], 2, v[9:10]
	v_and_b32_e32 v7, 0xffff0000, v16
	v_lshlrev_b32_e32 v16, 16, v19
	v_and_b32_e32 v19, 0xffff0000, v19
	v_mov_b32_e32 v5, 32
	v_cmp_neq_f32_e64 s0, s30, 0
	v_add_co_u32 v1, s1, s1, v1
	v_add3_u32 v22, s33, v3, v13
	v_add_nc_u32_e32 v23, 0x60, v23
	v_add_co_ci_u32_e64 v2, s1, s3, v2, s1
	v_mov_b32_e32 v13, 0xff7fffff
	s_branch .LBB150_10
.LBB150_9:                              ;   in Loop: Header=BB150_10 Depth=1
	s_or_b32 exec_lo, exec_lo, s3
	v_add_nc_u32_e32 v24, 4, v24
	v_add_co_u32 v1, s3, v1, 16
	v_add_nc_u32_e32 v22, 32, v22
	v_add_nc_u32_e32 v23, 0x80, v23
	s_delay_alu instid0(VALU_DEP_4) | instskip(SKIP_1) | instid1(VALU_DEP_2)
	v_cmp_le_i32_e64 s1, s17, v24
	v_add_co_ci_u32_e64 v2, s3, 0, v2, s3
	s_or_b32 s29, s1, s29
	s_delay_alu instid0(SALU_CYCLE_1)
	s_and_not1_b32 exec_lo, exec_lo, s29
	s_cbranch_execz .LBB150_12
.LBB150_10:                             ; =>This Inner Loop Header: Depth=1
	global_load_b32 v27, v[1:2], off
	s_waitcnt vmcnt(0) lgkmcnt(0)
	v_mad_i64_i32 v[25:26], null, v27, s35, 0
	s_delay_alu instid0(VALU_DEP_1) | instskip(NEXT) | instid1(VALU_DEP_1)
	v_lshlrev_b64 v[25:26], 1, v[25:26]
	v_add_co_u32 v25, s1, v17, v25
	s_delay_alu instid0(VALU_DEP_1)
	v_add_co_ci_u32_e64 v26, s1, v18, v26, s1
	s_clause 0x3
	global_load_b32 v27, v[25:26], off offset:128
	global_load_b32 v28, v[25:26], off
	global_load_b32 v29, v[25:26], off offset:256
	global_load_b32 v25, v[25:26], off offset:384
	s_waitcnt vmcnt(2)
	v_lshlrev_b32_e32 v30, 16, v28
	s_waitcnt vmcnt(1)
	v_lshlrev_b32_e32 v31, 16, v29
	v_and_b32_e32 v29, 0xffff0000, v29
	v_and_b32_e32 v28, 0xffff0000, v28
	v_lshlrev_b32_e32 v26, 16, v27
	v_and_b32_e32 v27, 0xffff0000, v27
	s_delay_alu instid0(VALU_DEP_1) | instskip(NEXT) | instid1(VALU_DEP_1)
	v_mul_f32_e32 v27, v11, v27
	v_dual_fmac_f32 v27, v7, v28 :: v_dual_mul_f32 v26, v8, v26
	s_waitcnt vmcnt(0)
	v_lshlrev_b32_e32 v28, 16, v25
	s_delay_alu instid0(VALU_DEP_2) | instskip(NEXT) | instid1(VALU_DEP_1)
	v_fmac_f32_e32 v26, v6, v30
	v_dual_fmac_f32 v26, v14, v31 :: v_dual_and_b32 v25, 0xffff0000, v25
	s_delay_alu instid0(VALU_DEP_1) | instskip(NEXT) | instid1(VALU_DEP_1)
	v_dual_fmac_f32 v27, v15, v29 :: v_dual_fmac_f32 v26, v16, v28
	v_fmac_f32_e32 v27, v19, v25
	s_delay_alu instid0(VALU_DEP_1)
	v_add_f32_e32 v25, v26, v27
	ds_bpermute_b32 v26, v20, v25
	s_waitcnt lgkmcnt(0)
	v_add_f32_e32 v25, v25, v26
	ds_bpermute_b32 v26, v21, v25
	s_and_saveexec_b32 s3, vcc_lo
	s_cbranch_execz .LBB150_9
; %bb.11:                               ;   in Loop: Header=BB150_10 Depth=1
	s_waitcnt lgkmcnt(0)
	v_add_f32_e32 v25, v25, v26
	v_add_nc_u32_e32 v27, s6, v22
	v_cmp_gt_i32_e64 s1, s15, v22
	s_delay_alu instid0(VALU_DEP_2) | instskip(NEXT) | instid1(VALU_DEP_1)
	v_cvt_f32_i32_e32 v27, v27
	v_mul_f32_e32 v27, s30, v27
	s_delay_alu instid0(VALU_DEP_1) | instskip(SKIP_1) | instid1(VALU_DEP_2)
	v_cndmask_b32_e64 v26, 0, v27, s0
	v_max_f32_e32 v27, v13, v13
	v_fmac_f32_e32 v26, s31, v25
	s_delay_alu instid0(VALU_DEP_1) | instskip(SKIP_1) | instid1(VALU_DEP_2)
	v_max_f32_e32 v25, v27, v26
	v_cndmask_b32_e64 v26, 0, v26, s1
	v_cndmask_b32_e64 v13, v13, v25, s1
	ds_store_b32 v23, v26
	s_branch .LBB150_9
.LBB150_12:
	s_or_b32 exec_lo, exec_lo, s29
.LBB150_13:
	s_delay_alu instid0(SALU_CYCLE_1) | instskip(SKIP_3) | instid1(VALU_DEP_3)
	s_or_b32 exec_lo, exec_lo, s34
	v_xor_b32_e32 v1, 16, v4
	v_xor_b32_e32 v6, 8, v4
	;; [unrolled: 1-line block ×3, first 2 shown]
	v_cmp_lt_i32_e32 vcc_lo, v1, v5
	v_cndmask_b32_e32 v1, v4, v1, vcc_lo
	s_delay_alu instid0(VALU_DEP_4) | instskip(SKIP_2) | instid1(VALU_DEP_2)
	v_cmp_lt_i32_e32 vcc_lo, v6, v5
	v_dual_max_f32 v7, v13, v13 :: v_dual_cndmask_b32 v6, v4, v6
	v_cmp_lt_i32_e32 vcc_lo, v8, v5
	v_lshlrev_b32_e32 v6, 2, v6
	v_lshlrev_b32_e32 v2, 2, v1
	v_cndmask_b32_e32 v8, v4, v8, vcc_lo
	ds_bpermute_b32 v1, v2, v13
	v_and_b32_e32 v13, 31, v0
	v_lshlrev_b32_e32 v11, 2, v8
	s_delay_alu instid0(VALU_DEP_2) | instskip(SKIP_2) | instid1(VALU_DEP_1)
	v_cmp_eq_u32_e32 vcc_lo, 0, v13
	s_waitcnt lgkmcnt(0)
	v_max_f32_e32 v1, v1, v1
	v_max_f32_e32 v1, v7, v1
	ds_bpermute_b32 v7, v6, v1
	s_waitcnt lgkmcnt(0)
	v_max_f32_e32 v7, v7, v7
	s_delay_alu instid0(VALU_DEP_1)
	v_max_f32_e32 v1, v1, v7
	v_lshlrev_b32_e32 v7, 2, v12
	ds_bpermute_b32 v8, v11, v1
	s_and_saveexec_b32 s0, vcc_lo
	s_cbranch_execz .LBB150_15
; %bb.14:
	s_waitcnt lgkmcnt(0)
	v_dual_max_f32 v8, v8, v8 :: v_dual_max_f32 v1, v1, v1
	s_delay_alu instid0(VALU_DEP_1)
	v_max_f32_e32 v1, v1, v8
	ds_store_b32 v7, v1 offset:64
.LBB150_15:
	s_or_b32 exec_lo, exec_lo, s0
	v_cmp_gt_u32_e64 s0, 4, v13
	s_waitcnt lgkmcnt(0)
	v_dual_mov_b32 v1, 0xff7fffff :: v_dual_lshlrev_b32 v8, 2, v13
	s_barrier
	buffer_gl0_inv
	s_and_saveexec_b32 s1, s0
	s_cbranch_execz .LBB150_17
; %bb.16:
	ds_load_b32 v1, v8 offset:64
.LBB150_17:
	s_or_b32 exec_lo, exec_lo, s1
	v_xor_b32_e32 v14, 2, v4
	v_xor_b32_e32 v16, 1, v4
	s_delay_alu instid0(VALU_DEP_2) | instskip(NEXT) | instid1(VALU_DEP_1)
	v_cmp_lt_i32_e64 s1, v14, v5
	v_cndmask_b32_e64 v14, v4, v14, s1
	s_delay_alu instid0(VALU_DEP_3) | instskip(NEXT) | instid1(VALU_DEP_2)
	v_cmp_lt_i32_e64 s1, v16, v5
	v_lshlrev_b32_e32 v14, 2, v14
	s_delay_alu instid0(VALU_DEP_2)
	v_cndmask_b32_e64 v5, v4, v16, s1
	s_sub_i32 s1, s17, s7
	v_mov_b32_e32 v16, 0
	s_lshl_b32 s1, s1, 3
	s_waitcnt lgkmcnt(0)
	ds_bpermute_b32 v15, v14, v1
	v_max_f32_e32 v1, v1, v1
	v_lshlrev_b32_e32 v5, 2, v5
	s_add_i32 s1, s1, s33
	v_lshlrev_b32_e32 v4, 2, v4
	s_min_i32 s1, s1, s15
	s_delay_alu instid0(SALU_CYCLE_1) | instskip(NEXT) | instid1(SALU_CYCLE_1)
	s_sub_i32 s6, s1, s33
	v_cmp_gt_i32_e64 s1, s6, v0
	s_waitcnt lgkmcnt(0)
	v_max_f32_e32 v15, v15, v15
	s_delay_alu instid0(VALU_DEP_1) | instskip(SKIP_3) | instid1(VALU_DEP_1)
	v_max_f32_e32 v1, v1, v15
	ds_bpermute_b32 v15, v5, v1
	s_waitcnt lgkmcnt(0)
	v_max_f32_e32 v15, v15, v15
	v_max_f32_e32 v1, v1, v15
	v_and_b32_e32 v15, 0xffffff80, v4
	v_lshl_add_u32 v4, v0, 2, 0x60
	ds_bpermute_b32 v1, v15, v1
	s_and_saveexec_b32 s7, s1
	s_cbranch_execz .LBB150_21
; %bb.18:
	v_lshl_add_u32 v17, v0, 2, 0x60
	v_mov_b32_e32 v16, 0
	v_mov_b32_e32 v18, v0
	s_mov_b32 s29, 0
	.p2align	6
.LBB150_19:                             ; =>This Inner Loop Header: Depth=1
	ds_load_b32 v19, v17
	v_add_nc_u32_e32 v18, 0x80, v18
	s_delay_alu instid0(VALU_DEP_1) | instskip(NEXT) | instid1(VALU_DEP_1)
	v_cmp_le_i32_e64 s3, s6, v18
	s_or_b32 s29, s3, s29
	s_waitcnt lgkmcnt(0)
	v_sub_f32_e32 v19, v19, v1
	s_delay_alu instid0(VALU_DEP_1) | instskip(NEXT) | instid1(VALU_DEP_1)
	v_mul_f32_e32 v19, 0x3fb8aa3b, v19
	v_exp_f32_e32 v19, v19
	ds_store_b32 v17, v19
	v_dual_add_f32 v16, v16, v19 :: v_dual_add_nc_u32 v17, 0x200, v17
	s_and_not1_b32 exec_lo, exec_lo, s29
	s_cbranch_execnz .LBB150_19
; %bb.20:
	s_or_b32 exec_lo, exec_lo, s29
.LBB150_21:
	s_delay_alu instid0(SALU_CYCLE_1)
	s_or_b32 exec_lo, exec_lo, s7
	ds_bpermute_b32 v2, v2, v16
	s_waitcnt lgkmcnt(0)
	v_add_f32_e32 v2, v16, v2
	ds_bpermute_b32 v6, v6, v2
	s_waitcnt lgkmcnt(0)
	v_add_f32_e32 v2, v2, v6
	;; [unrolled: 3-line block ×5, first 2 shown]
	s_and_saveexec_b32 s3, vcc_lo
	s_cbranch_execz .LBB150_23
; %bb.22:
	ds_store_b32 v7, v2 offset:80
.LBB150_23:
	s_or_b32 exec_lo, exec_lo, s3
	s_waitcnt lgkmcnt(0)
	s_barrier
	buffer_gl0_inv
	s_and_saveexec_b32 s3, s0
	s_cbranch_execz .LBB150_25
; %bb.24:
	ds_load_b32 v2, v8 offset:80
.LBB150_25:
	s_or_b32 exec_lo, exec_lo, s3
	s_waitcnt lgkmcnt(0)
	ds_bpermute_b32 v6, v14, v2
	s_waitcnt lgkmcnt(0)
	v_add_f32_e32 v2, v2, v6
	ds_bpermute_b32 v5, v5, v2
	s_waitcnt lgkmcnt(0)
	v_add_f32_e32 v2, v2, v5
	ds_bpermute_b32 v2, v15, v2
	s_and_saveexec_b32 s0, s1
	s_cbranch_execz .LBB150_28
; %bb.26:
	s_waitcnt lgkmcnt(0)
	v_add_f32_e32 v5, 0x358637bd, v2
	s_mov_b32 s1, 0
	s_delay_alu instid0(VALU_DEP_1) | instskip(SKIP_1) | instid1(VALU_DEP_2)
	v_div_scale_f32 v6, null, v5, v5, 1.0
	v_div_scale_f32 v11, vcc_lo, 1.0, v5, 1.0
	v_rcp_f32_e32 v7, v6
	s_waitcnt_depctr 0xfff
	v_fma_f32 v8, -v6, v7, 1.0
	s_delay_alu instid0(VALU_DEP_1) | instskip(NEXT) | instid1(VALU_DEP_1)
	v_fmac_f32_e32 v7, v8, v7
	v_mul_f32_e32 v8, v11, v7
	s_delay_alu instid0(VALU_DEP_1) | instskip(NEXT) | instid1(VALU_DEP_1)
	v_fma_f32 v14, -v6, v8, v11
	v_fmac_f32_e32 v8, v14, v7
	s_delay_alu instid0(VALU_DEP_1) | instskip(NEXT) | instid1(VALU_DEP_1)
	v_fma_f32 v6, -v6, v8, v11
	v_div_fmas_f32 v6, v6, v7, v8
	s_delay_alu instid0(VALU_DEP_1)
	v_div_fixup_f32 v5, v6, v5, 1.0
	v_mov_b32_e32 v6, v0
.LBB150_27:                             ; =>This Inner Loop Header: Depth=1
	ds_load_b32 v7, v4
	s_waitcnt lgkmcnt(0)
	v_dual_mul_f32 v7, v5, v7 :: v_dual_add_nc_u32 v6, 0x80, v6
	s_delay_alu instid0(VALU_DEP_1) | instskip(SKIP_3) | instid1(SALU_CYCLE_1)
	v_cmp_le_i32_e32 vcc_lo, s6, v6
	ds_store_b32 v4, v7
	v_add_nc_u32_e32 v4, 0x200, v4
	s_or_b32 s1, vcc_lo, s1
	s_and_not1_b32 exec_lo, exec_lo, s1
	s_cbranch_execnz .LBB150_27
.LBB150_28:
	s_or_b32 exec_lo, exec_lo, s0
	s_mul_i32 s0, s4, s14
	s_waitcnt lgkmcnt(0)
	s_mul_i32 s6, s0, s13
	s_mov_b32 s0, exec_lo
	s_barrier
	buffer_gl0_inv
	v_cmpx_eq_u32_e32 0, v0
	s_cbranch_execz .LBB150_30
; %bb.29:
	s_ashr_i32 s7, s6, 31
	s_mul_i32 s34, s4, s20
	s_lshl_b64 s[30:31], s[6:7], 2
	v_mov_b32_e32 v4, 0
	s_add_u32 s1, s10, s30
	s_addc_u32 s3, s11, s31
	s_ashr_i32 s35, s34, 31
	s_delay_alu instid0(SALU_CYCLE_1) | instskip(NEXT) | instid1(SALU_CYCLE_1)
	s_lshl_b64 s[10:11], s[34:35], 2
	s_add_u32 s1, s1, s10
	s_addc_u32 s3, s3, s11
	s_ashr_i32 s13, s12, 31
	s_delay_alu instid0(SALU_CYCLE_1) | instskip(NEXT) | instid1(SALU_CYCLE_1)
	s_lshl_b64 s[34:35], s[12:13], 2
	s_add_u32 s36, s1, s34
	s_addc_u32 s37, s3, s35
	s_add_u32 s1, s8, s30
	s_addc_u32 s3, s9, s31
	;; [unrolled: 2-line block ×4, first 2 shown]
	s_clause 0x1
	global_store_b32 v4, v1, s[36:37]
	global_store_b32 v4, v2, s[8:9]
.LBB150_30:
	s_or_b32 exec_lo, exec_lo, s0
	v_mov_b32_e32 v14, 0
	s_and_saveexec_b32 s1, s2
	s_cbranch_execz .LBB150_100
; %bb.31:
	s_ashr_i32 s29, s28, 31
	v_dual_mov_b32 v14, 0 :: v_dual_lshlrev_b32 v1, 4, v13
	s_lshl_b64 s[2:3], s[28:29], 1
	v_add3_u32 v17, s33, v3, 7
	s_add_u32 s0, s26, s2
	s_addc_u32 s2, s27, s3
	v_add_co_u32 v15, s0, s0, v1
	v_lshlrev_b64 v[1:2], 2, v[9:10]
	s_lshl_b64 s[8:9], s[24:25], 2
	v_add_co_ci_u32_e64 v16, null, s2, 0, s0
	s_add_i32 s2, s21, -1
	s_add_u32 s0, s22, s8
	s_addc_u32 s3, s23, s9
	v_add_co_u32 v10, vcc_lo, s0, v1
	v_lshl_add_u32 v18, v12, 5, 0x60
	v_add_co_ci_u32_e32 v11, vcc_lo, s3, v2, vcc_lo
	s_mov_b32 s3, s5
	s_mov_b32 s5, 0
	s_branch .LBB150_33
.LBB150_32:                             ;   in Loop: Header=BB150_33 Depth=1
	s_or_b32 exec_lo, exec_lo, s0
	v_and_b32_e32 v3, 0xffff0000, v3
	v_and_b32_e32 v4, 0xffff0000, v4
	;; [unrolled: 1-line block ×5, first 2 shown]
	v_add_nc_u32_e32 v9, 4, v9
	v_add_co_u32 v10, s0, v10, 16
	s_delay_alu instid0(VALU_DEP_4) | instskip(SKIP_4) | instid1(VALU_DEP_4)
	v_dual_add_f32 v3, v3, v7 :: v_dual_and_b32 v2, 0xffff0000, v2
	v_and_b32_e32 v1, 0xffff0000, v1
	v_and_b32_e32 v6, 0xffff0000, v19
	v_cmp_le_i32_e32 vcc_lo, s17, v9
	v_add_nc_u32_e32 v17, 32, v17
	v_dual_add_f32 v1, v1, v8 :: v_dual_add_nc_u32 v18, 0x80, v18
	s_delay_alu instid0(VALU_DEP_4) | instskip(SKIP_2) | instid1(VALU_DEP_2)
	v_add_f32_e32 v2, v2, v6
	v_add_co_ci_u32_e64 v11, s0, 0, v11, s0
	s_or_b32 s5, vcc_lo, s5
	v_dual_add_f32 v1, v1, v2 :: v_dual_add_f32 v2, v4, v5
	s_delay_alu instid0(VALU_DEP_1) | instskip(NEXT) | instid1(VALU_DEP_1)
	v_add_f32_e32 v1, v1, v3
	v_add_f32_e32 v1, v1, v2
	s_delay_alu instid0(VALU_DEP_1)
	v_add_f32_e32 v14, v14, v1
	s_and_not1_b32 exec_lo, exec_lo, s5
	s_cbranch_execz .LBB150_99
.LBB150_33:                             ; =>This Inner Loop Header: Depth=1
	global_load_b32 v23, v[10:11], off
	ds_load_2addr_b64 v[5:8], v18 offset1:1
	ds_load_2addr_b64 v[1:4], v18 offset0:2 offset1:3
	s_mov_b32 s0, exec_lo
                                        ; implicit-def: $vgpr22
	s_waitcnt lgkmcnt(1)
	v_and_b32_e32 v19, 0x7f800000, v5
	s_delay_alu instid0(VALU_DEP_1)
	v_cmpx_ne_u32_e32 0x7f800000, v19
	s_xor_b32 s0, exec_lo, s0
; %bb.34:                               ;   in Loop: Header=BB150_33 Depth=1
	v_bfe_u32 v19, v5, 16, 1
	s_delay_alu instid0(VALU_DEP_1)
	v_add3_u32 v22, v5, v19, 0x7fff
; %bb.35:                               ;   in Loop: Header=BB150_33 Depth=1
	s_and_not1_saveexec_b32 s0, s0
; %bb.36:                               ;   in Loop: Header=BB150_33 Depth=1
	v_and_b32_e32 v19, 0xffff, v5
	v_or_b32_e32 v20, 0x10000, v5
	s_delay_alu instid0(VALU_DEP_2) | instskip(NEXT) | instid1(VALU_DEP_2)
	v_cmp_eq_u32_e32 vcc_lo, 0, v19
	v_cndmask_b32_e32 v22, v20, v5, vcc_lo
; %bb.37:                               ;   in Loop: Header=BB150_33 Depth=1
	s_or_b32 exec_lo, exec_lo, s0
	v_and_b32_e32 v5, 0x7f800000, v6
	s_mov_b32 s0, exec_lo
                                        ; implicit-def: $vgpr21
	s_delay_alu instid0(VALU_DEP_1)
	v_cmpx_ne_u32_e32 0x7f800000, v5
	s_xor_b32 s0, exec_lo, s0
; %bb.38:                               ;   in Loop: Header=BB150_33 Depth=1
	v_bfe_u32 v5, v6, 16, 1
	s_delay_alu instid0(VALU_DEP_1)
	v_add3_u32 v21, v6, v5, 0x7fff
; %bb.39:                               ;   in Loop: Header=BB150_33 Depth=1
	s_and_not1_saveexec_b32 s0, s0
; %bb.40:                               ;   in Loop: Header=BB150_33 Depth=1
	v_and_b32_e32 v5, 0xffff, v6
	v_or_b32_e32 v19, 0x10000, v6
	s_delay_alu instid0(VALU_DEP_2) | instskip(NEXT) | instid1(VALU_DEP_2)
	v_cmp_eq_u32_e32 vcc_lo, 0, v5
	v_cndmask_b32_e32 v21, v19, v6, vcc_lo
; %bb.41:                               ;   in Loop: Header=BB150_33 Depth=1
	s_or_b32 exec_lo, exec_lo, s0
	v_and_b32_e32 v5, 0x7f800000, v7
	s_mov_b32 s0, exec_lo
                                        ; implicit-def: $vgpr20
	s_delay_alu instid0(VALU_DEP_1)
	v_cmpx_ne_u32_e32 0x7f800000, v5
	s_xor_b32 s0, exec_lo, s0
; %bb.42:                               ;   in Loop: Header=BB150_33 Depth=1
	v_bfe_u32 v5, v7, 16, 1
	s_delay_alu instid0(VALU_DEP_1)
	v_add3_u32 v20, v7, v5, 0x7fff
; %bb.43:                               ;   in Loop: Header=BB150_33 Depth=1
	s_and_not1_saveexec_b32 s0, s0
; %bb.44:                               ;   in Loop: Header=BB150_33 Depth=1
	v_and_b32_e32 v5, 0xffff, v7
	v_or_b32_e32 v6, 0x10000, v7
	s_delay_alu instid0(VALU_DEP_2) | instskip(NEXT) | instid1(VALU_DEP_2)
	v_cmp_eq_u32_e32 vcc_lo, 0, v5
	v_cndmask_b32_e32 v20, v6, v7, vcc_lo
; %bb.45:                               ;   in Loop: Header=BB150_33 Depth=1
	s_or_b32 exec_lo, exec_lo, s0
	v_and_b32_e32 v5, 0x7f800000, v8
	s_mov_b32 s0, exec_lo
                                        ; implicit-def: $vgpr19
	s_delay_alu instid0(VALU_DEP_1)
	v_cmpx_ne_u32_e32 0x7f800000, v5
	s_xor_b32 s0, exec_lo, s0
; %bb.46:                               ;   in Loop: Header=BB150_33 Depth=1
	v_bfe_u32 v5, v8, 16, 1
	s_delay_alu instid0(VALU_DEP_1)
	v_add3_u32 v19, v8, v5, 0x7fff
                                        ; implicit-def: $vgpr5_vgpr6_vgpr7_vgpr8
; %bb.47:                               ;   in Loop: Header=BB150_33 Depth=1
	s_and_not1_saveexec_b32 s0, s0
; %bb.48:                               ;   in Loop: Header=BB150_33 Depth=1
	v_and_b32_e32 v5, 0xffff, v8
	v_or_b32_e32 v6, 0x10000, v8
	s_delay_alu instid0(VALU_DEP_2) | instskip(NEXT) | instid1(VALU_DEP_2)
	v_cmp_eq_u32_e32 vcc_lo, 0, v5
	v_cndmask_b32_e32 v19, v6, v8, vcc_lo
; %bb.49:                               ;   in Loop: Header=BB150_33 Depth=1
	s_or_b32 exec_lo, exec_lo, s0
	s_waitcnt lgkmcnt(0)
	v_and_b32_e32 v5, 0x7f800000, v1
	s_mov_b32 s0, exec_lo
                                        ; implicit-def: $vgpr8
	s_delay_alu instid0(VALU_DEP_1)
	v_cmpx_ne_u32_e32 0x7f800000, v5
	s_xor_b32 s0, exec_lo, s0
; %bb.50:                               ;   in Loop: Header=BB150_33 Depth=1
	v_bfe_u32 v5, v1, 16, 1
	s_delay_alu instid0(VALU_DEP_1)
	v_add3_u32 v8, v1, v5, 0x7fff
; %bb.51:                               ;   in Loop: Header=BB150_33 Depth=1
	s_and_not1_saveexec_b32 s0, s0
; %bb.52:                               ;   in Loop: Header=BB150_33 Depth=1
	v_and_b32_e32 v5, 0xffff, v1
	v_or_b32_e32 v6, 0x10000, v1
	s_delay_alu instid0(VALU_DEP_2) | instskip(NEXT) | instid1(VALU_DEP_2)
	v_cmp_eq_u32_e32 vcc_lo, 0, v5
	v_cndmask_b32_e32 v8, v6, v1, vcc_lo
; %bb.53:                               ;   in Loop: Header=BB150_33 Depth=1
	s_or_b32 exec_lo, exec_lo, s0
	v_and_b32_e32 v1, 0x7f800000, v2
	s_mov_b32 s0, exec_lo
                                        ; implicit-def: $vgpr7
	s_delay_alu instid0(VALU_DEP_1)
	v_cmpx_ne_u32_e32 0x7f800000, v1
	s_xor_b32 s0, exec_lo, s0
; %bb.54:                               ;   in Loop: Header=BB150_33 Depth=1
	v_bfe_u32 v1, v2, 16, 1
	s_delay_alu instid0(VALU_DEP_1)
	v_add3_u32 v7, v2, v1, 0x7fff
; %bb.55:                               ;   in Loop: Header=BB150_33 Depth=1
	s_and_not1_saveexec_b32 s0, s0
; %bb.56:                               ;   in Loop: Header=BB150_33 Depth=1
	v_and_b32_e32 v1, 0xffff, v2
	v_or_b32_e32 v5, 0x10000, v2
	s_delay_alu instid0(VALU_DEP_2) | instskip(NEXT) | instid1(VALU_DEP_2)
	v_cmp_eq_u32_e32 vcc_lo, 0, v1
	v_cndmask_b32_e32 v7, v5, v2, vcc_lo
; %bb.57:                               ;   in Loop: Header=BB150_33 Depth=1
	s_or_b32 exec_lo, exec_lo, s0
	v_and_b32_e32 v1, 0x7f800000, v3
	s_mov_b32 s0, exec_lo
                                        ; implicit-def: $vgpr6
	s_delay_alu instid0(VALU_DEP_1)
	v_cmpx_ne_u32_e32 0x7f800000, v1
	s_xor_b32 s0, exec_lo, s0
; %bb.58:                               ;   in Loop: Header=BB150_33 Depth=1
	v_bfe_u32 v1, v3, 16, 1
	s_delay_alu instid0(VALU_DEP_1)
	v_add3_u32 v6, v3, v1, 0x7fff
; %bb.59:                               ;   in Loop: Header=BB150_33 Depth=1
	s_and_not1_saveexec_b32 s0, s0
; %bb.60:                               ;   in Loop: Header=BB150_33 Depth=1
	v_and_b32_e32 v1, 0xffff, v3
	v_or_b32_e32 v2, 0x10000, v3
	s_delay_alu instid0(VALU_DEP_2) | instskip(NEXT) | instid1(VALU_DEP_2)
	v_cmp_eq_u32_e32 vcc_lo, 0, v1
	v_cndmask_b32_e32 v6, v2, v3, vcc_lo
; %bb.61:                               ;   in Loop: Header=BB150_33 Depth=1
	s_or_b32 exec_lo, exec_lo, s0
	v_and_b32_e32 v1, 0x7f800000, v4
	s_mov_b32 s0, exec_lo
                                        ; implicit-def: $vgpr5
	s_delay_alu instid0(VALU_DEP_1)
	v_cmpx_ne_u32_e32 0x7f800000, v1
	s_xor_b32 s0, exec_lo, s0
; %bb.62:                               ;   in Loop: Header=BB150_33 Depth=1
	v_bfe_u32 v1, v4, 16, 1
	s_delay_alu instid0(VALU_DEP_1)
	v_add3_u32 v5, v4, v1, 0x7fff
                                        ; implicit-def: $vgpr1_vgpr2_vgpr3_vgpr4
; %bb.63:                               ;   in Loop: Header=BB150_33 Depth=1
	s_and_not1_saveexec_b32 s0, s0
; %bb.64:                               ;   in Loop: Header=BB150_33 Depth=1
	v_and_b32_e32 v1, 0xffff, v4
	v_or_b32_e32 v2, 0x10000, v4
	s_delay_alu instid0(VALU_DEP_2) | instskip(NEXT) | instid1(VALU_DEP_2)
	v_cmp_eq_u32_e32 vcc_lo, 0, v1
	v_cndmask_b32_e32 v5, v2, v4, vcc_lo
; %bb.65:                               ;   in Loop: Header=BB150_33 Depth=1
	s_or_b32 exec_lo, exec_lo, s0
	s_waitcnt vmcnt(0)
	v_mad_i64_i32 v[1:2], null, v23, s3, 0
	s_mov_b32 s0, exec_lo
	s_delay_alu instid0(VALU_DEP_1) | instskip(NEXT) | instid1(VALU_DEP_1)
	v_lshlrev_b64 v[1:2], 1, v[1:2]
	v_add_co_u32 v1, vcc_lo, v15, v1
	s_delay_alu instid0(VALU_DEP_2)
	v_add_co_ci_u32_e32 v2, vcc_lo, v16, v2, vcc_lo
	global_load_b128 v[1:4], v[1:2], off
	s_waitcnt vmcnt(0)
	v_lshrrev_b32_e32 v26, 16, v1
	v_lshrrev_b32_e32 v25, 16, v2
	;; [unrolled: 1-line block ×4, first 2 shown]
	v_cmpx_eq_u32_e64 s2, v9
	s_cbranch_execz .LBB150_67
; %bb.66:                               ;   in Loop: Header=BB150_33 Depth=1
	v_add_nc_u32_e32 v27, -7, v17
	v_add_nc_u32_e32 v28, -6, v17
	;; [unrolled: 1-line block ×3, first 2 shown]
	s_delay_alu instid0(VALU_DEP_3)
	v_cmp_gt_i32_e32 vcc_lo, s15, v27
	v_add_nc_u32_e32 v27, -4, v17
	v_cndmask_b32_e32 v1, 0, v1, vcc_lo
	v_cmp_gt_i32_e32 vcc_lo, s15, v28
	v_add_nc_u32_e32 v28, -3, v17
	v_cndmask_b32_e32 v26, 0, v26, vcc_lo
	v_cmp_gt_i32_e32 vcc_lo, s15, v29
	v_dual_cndmask_b32 v2, 0, v2 :: v_dual_add_nc_u32 v29, -2, v17
	v_cmp_gt_i32_e32 vcc_lo, s15, v27
	v_add_nc_u32_e32 v27, -1, v17
	v_cndmask_b32_e32 v25, 0, v25, vcc_lo
	v_cmp_gt_i32_e32 vcc_lo, s15, v28
	v_cndmask_b32_e32 v3, 0, v3, vcc_lo
	v_cmp_gt_i32_e32 vcc_lo, s15, v29
	;; [unrolled: 2-line block ×4, first 2 shown]
	v_cndmask_b32_e32 v23, 0, v23, vcc_lo
.LBB150_67:                             ;   in Loop: Header=BB150_33 Depth=1
	s_or_b32 exec_lo, exec_lo, s0
	v_and_b32_e32 v22, 0xffff0000, v22
	v_lshlrev_b32_e32 v1, 16, v1
	s_delay_alu instid0(VALU_DEP_1) | instskip(NEXT) | instid1(VALU_DEP_1)
	v_mul_f32_e32 v22, v22, v1
	v_and_b32_e32 v1, 0x7f800000, v22
	s_delay_alu instid0(VALU_DEP_1) | instskip(SKIP_1) | instid1(SALU_CYCLE_1)
	v_cmp_ne_u32_e32 vcc_lo, 0x7f800000, v1
                                        ; implicit-def: $vgpr1
	s_and_saveexec_b32 s0, vcc_lo
	s_xor_b32 s0, exec_lo, s0
; %bb.68:                               ;   in Loop: Header=BB150_33 Depth=1
	v_bfe_u32 v1, v22, 16, 1
	s_delay_alu instid0(VALU_DEP_1)
	v_add3_u32 v1, v22, v1, 0x7fff
                                        ; implicit-def: $vgpr22
; %bb.69:                               ;   in Loop: Header=BB150_33 Depth=1
	s_and_not1_saveexec_b32 s0, s0
; %bb.70:                               ;   in Loop: Header=BB150_33 Depth=1
	v_and_b32_e32 v1, 0xffff, v22
	v_or_b32_e32 v27, 0x10000, v22
	s_delay_alu instid0(VALU_DEP_2) | instskip(NEXT) | instid1(VALU_DEP_2)
	v_cmp_eq_u32_e32 vcc_lo, 0, v1
	v_cndmask_b32_e32 v1, v27, v22, vcc_lo
; %bb.71:                               ;   in Loop: Header=BB150_33 Depth=1
	s_or_b32 exec_lo, exec_lo, s0
	v_and_b32_e32 v21, 0xffff0000, v21
	v_lshlrev_b32_e32 v22, 16, v26
	s_delay_alu instid0(VALU_DEP_1) | instskip(NEXT) | instid1(VALU_DEP_1)
	v_mul_f32_e32 v22, v21, v22
	v_and_b32_e32 v21, 0x7f800000, v22
	s_delay_alu instid0(VALU_DEP_1) | instskip(SKIP_1) | instid1(SALU_CYCLE_1)
	v_cmp_ne_u32_e32 vcc_lo, 0x7f800000, v21
                                        ; implicit-def: $vgpr21
	s_and_saveexec_b32 s0, vcc_lo
	s_xor_b32 s0, exec_lo, s0
; %bb.72:                               ;   in Loop: Header=BB150_33 Depth=1
	v_bfe_u32 v21, v22, 16, 1
	s_delay_alu instid0(VALU_DEP_1)
	v_add3_u32 v21, v22, v21, 0x7fff
                                        ; implicit-def: $vgpr22
; %bb.73:                               ;   in Loop: Header=BB150_33 Depth=1
	s_and_not1_saveexec_b32 s0, s0
; %bb.74:                               ;   in Loop: Header=BB150_33 Depth=1
	v_and_b32_e32 v21, 0xffff, v22
	v_or_b32_e32 v26, 0x10000, v22
	s_delay_alu instid0(VALU_DEP_2) | instskip(NEXT) | instid1(VALU_DEP_2)
	v_cmp_eq_u32_e32 vcc_lo, 0, v21
	v_cndmask_b32_e32 v21, v26, v22, vcc_lo
; %bb.75:                               ;   in Loop: Header=BB150_33 Depth=1
	s_or_b32 exec_lo, exec_lo, s0
	v_and_b32_e32 v20, 0xffff0000, v20
	v_lshlrev_b32_e32 v2, 16, v2
	s_delay_alu instid0(VALU_DEP_1) | instskip(NEXT) | instid1(VALU_DEP_1)
	v_mul_f32_e32 v20, v20, v2
	v_and_b32_e32 v2, 0x7f800000, v20
	s_delay_alu instid0(VALU_DEP_1) | instskip(SKIP_1) | instid1(SALU_CYCLE_1)
	v_cmp_ne_u32_e32 vcc_lo, 0x7f800000, v2
                                        ; implicit-def: $vgpr2
	s_and_saveexec_b32 s0, vcc_lo
	s_xor_b32 s0, exec_lo, s0
; %bb.76:                               ;   in Loop: Header=BB150_33 Depth=1
	v_bfe_u32 v2, v20, 16, 1
	s_delay_alu instid0(VALU_DEP_1)
	v_add3_u32 v2, v20, v2, 0x7fff
                                        ; implicit-def: $vgpr20
; %bb.77:                               ;   in Loop: Header=BB150_33 Depth=1
	s_and_not1_saveexec_b32 s0, s0
; %bb.78:                               ;   in Loop: Header=BB150_33 Depth=1
	v_and_b32_e32 v2, 0xffff, v20
	v_or_b32_e32 v22, 0x10000, v20
	s_delay_alu instid0(VALU_DEP_2) | instskip(NEXT) | instid1(VALU_DEP_2)
	v_cmp_eq_u32_e32 vcc_lo, 0, v2
	v_cndmask_b32_e32 v2, v22, v20, vcc_lo
; %bb.79:                               ;   in Loop: Header=BB150_33 Depth=1
	s_or_b32 exec_lo, exec_lo, s0
	v_and_b32_e32 v19, 0xffff0000, v19
	v_lshlrev_b32_e32 v20, 16, v25
	s_delay_alu instid0(VALU_DEP_1) | instskip(NEXT) | instid1(VALU_DEP_1)
	v_mul_f32_e32 v20, v19, v20
	v_and_b32_e32 v19, 0x7f800000, v20
	s_delay_alu instid0(VALU_DEP_1) | instskip(SKIP_1) | instid1(SALU_CYCLE_1)
	v_cmp_ne_u32_e32 vcc_lo, 0x7f800000, v19
                                        ; implicit-def: $vgpr19
	s_and_saveexec_b32 s0, vcc_lo
	s_xor_b32 s0, exec_lo, s0
; %bb.80:                               ;   in Loop: Header=BB150_33 Depth=1
	v_bfe_u32 v19, v20, 16, 1
	s_delay_alu instid0(VALU_DEP_1)
	v_add3_u32 v19, v20, v19, 0x7fff
                                        ; implicit-def: $vgpr20
; %bb.81:                               ;   in Loop: Header=BB150_33 Depth=1
	s_and_not1_saveexec_b32 s0, s0
; %bb.82:                               ;   in Loop: Header=BB150_33 Depth=1
	v_and_b32_e32 v19, 0xffff, v20
	v_or_b32_e32 v22, 0x10000, v20
	s_delay_alu instid0(VALU_DEP_2) | instskip(NEXT) | instid1(VALU_DEP_2)
	v_cmp_eq_u32_e32 vcc_lo, 0, v19
	v_cndmask_b32_e32 v19, v22, v20, vcc_lo
; %bb.83:                               ;   in Loop: Header=BB150_33 Depth=1
	s_or_b32 exec_lo, exec_lo, s0
	v_and_b32_e32 v8, 0xffff0000, v8
	v_lshlrev_b32_e32 v3, 16, v3
	s_delay_alu instid0(VALU_DEP_1) | instskip(NEXT) | instid1(VALU_DEP_1)
	v_mul_f32_e32 v8, v8, v3
	v_and_b32_e32 v3, 0x7f800000, v8
	s_delay_alu instid0(VALU_DEP_1) | instskip(SKIP_1) | instid1(SALU_CYCLE_1)
	v_cmp_ne_u32_e32 vcc_lo, 0x7f800000, v3
                                        ; implicit-def: $vgpr3
	s_and_saveexec_b32 s0, vcc_lo
	s_xor_b32 s0, exec_lo, s0
; %bb.84:                               ;   in Loop: Header=BB150_33 Depth=1
	v_bfe_u32 v3, v8, 16, 1
	s_delay_alu instid0(VALU_DEP_1)
	v_add3_u32 v3, v8, v3, 0x7fff
                                        ; implicit-def: $vgpr8
; %bb.85:                               ;   in Loop: Header=BB150_33 Depth=1
	s_and_not1_saveexec_b32 s0, s0
; %bb.86:                               ;   in Loop: Header=BB150_33 Depth=1
	v_and_b32_e32 v3, 0xffff, v8
	v_or_b32_e32 v20, 0x10000, v8
	s_delay_alu instid0(VALU_DEP_2) | instskip(NEXT) | instid1(VALU_DEP_2)
	v_cmp_eq_u32_e32 vcc_lo, 0, v3
	v_cndmask_b32_e32 v3, v20, v8, vcc_lo
; %bb.87:                               ;   in Loop: Header=BB150_33 Depth=1
	s_or_b32 exec_lo, exec_lo, s0
	v_and_b32_e32 v7, 0xffff0000, v7
	v_lshlrev_b32_e32 v8, 16, v24
	s_delay_alu instid0(VALU_DEP_1) | instskip(NEXT) | instid1(VALU_DEP_1)
	v_mul_f32_e32 v8, v7, v8
	v_and_b32_e32 v7, 0x7f800000, v8
	s_delay_alu instid0(VALU_DEP_1) | instskip(SKIP_1) | instid1(SALU_CYCLE_1)
	v_cmp_ne_u32_e32 vcc_lo, 0x7f800000, v7
                                        ; implicit-def: $vgpr7
	s_and_saveexec_b32 s0, vcc_lo
	s_xor_b32 s0, exec_lo, s0
; %bb.88:                               ;   in Loop: Header=BB150_33 Depth=1
	v_bfe_u32 v7, v8, 16, 1
	s_delay_alu instid0(VALU_DEP_1)
	v_add3_u32 v7, v8, v7, 0x7fff
                                        ; implicit-def: $vgpr8
; %bb.89:                               ;   in Loop: Header=BB150_33 Depth=1
	s_and_not1_saveexec_b32 s0, s0
; %bb.90:                               ;   in Loop: Header=BB150_33 Depth=1
	v_and_b32_e32 v7, 0xffff, v8
	v_or_b32_e32 v20, 0x10000, v8
	s_delay_alu instid0(VALU_DEP_2) | instskip(NEXT) | instid1(VALU_DEP_2)
	v_cmp_eq_u32_e32 vcc_lo, 0, v7
	v_cndmask_b32_e32 v7, v20, v8, vcc_lo
; %bb.91:                               ;   in Loop: Header=BB150_33 Depth=1
	s_or_b32 exec_lo, exec_lo, s0
	v_and_b32_e32 v6, 0xffff0000, v6
	v_lshlrev_b32_e32 v4, 16, v4
	s_delay_alu instid0(VALU_DEP_1) | instskip(NEXT) | instid1(VALU_DEP_1)
	v_mul_f32_e32 v6, v6, v4
	v_and_b32_e32 v4, 0x7f800000, v6
	s_delay_alu instid0(VALU_DEP_1) | instskip(SKIP_1) | instid1(SALU_CYCLE_1)
	v_cmp_ne_u32_e32 vcc_lo, 0x7f800000, v4
                                        ; implicit-def: $vgpr4
	s_and_saveexec_b32 s0, vcc_lo
	s_xor_b32 s0, exec_lo, s0
; %bb.92:                               ;   in Loop: Header=BB150_33 Depth=1
	v_bfe_u32 v4, v6, 16, 1
	s_delay_alu instid0(VALU_DEP_1)
	v_add3_u32 v4, v6, v4, 0x7fff
                                        ; implicit-def: $vgpr6
; %bb.93:                               ;   in Loop: Header=BB150_33 Depth=1
	s_and_not1_saveexec_b32 s0, s0
; %bb.94:                               ;   in Loop: Header=BB150_33 Depth=1
	v_and_b32_e32 v4, 0xffff, v6
	v_or_b32_e32 v8, 0x10000, v6
	s_delay_alu instid0(VALU_DEP_2) | instskip(NEXT) | instid1(VALU_DEP_2)
	v_cmp_eq_u32_e32 vcc_lo, 0, v4
	v_cndmask_b32_e32 v4, v8, v6, vcc_lo
; %bb.95:                               ;   in Loop: Header=BB150_33 Depth=1
	s_or_b32 exec_lo, exec_lo, s0
	v_and_b32_e32 v5, 0xffff0000, v5
	v_lshlrev_b32_e32 v6, 16, v23
	s_delay_alu instid0(VALU_DEP_1) | instskip(NEXT) | instid1(VALU_DEP_1)
	v_mul_f32_e32 v6, v5, v6
	v_and_b32_e32 v5, 0x7f800000, v6
	s_delay_alu instid0(VALU_DEP_1) | instskip(SKIP_1) | instid1(SALU_CYCLE_1)
	v_cmp_ne_u32_e32 vcc_lo, 0x7f800000, v5
                                        ; implicit-def: $vgpr5
	s_and_saveexec_b32 s0, vcc_lo
	s_xor_b32 s0, exec_lo, s0
; %bb.96:                               ;   in Loop: Header=BB150_33 Depth=1
	v_bfe_u32 v5, v6, 16, 1
	s_delay_alu instid0(VALU_DEP_1)
	v_add3_u32 v5, v6, v5, 0x7fff
                                        ; implicit-def: $vgpr6
; %bb.97:                               ;   in Loop: Header=BB150_33 Depth=1
	s_and_not1_saveexec_b32 s0, s0
	s_cbranch_execz .LBB150_32
; %bb.98:                               ;   in Loop: Header=BB150_33 Depth=1
	v_and_b32_e32 v5, 0xffff, v6
	v_or_b32_e32 v8, 0x10000, v6
	s_delay_alu instid0(VALU_DEP_2) | instskip(NEXT) | instid1(VALU_DEP_2)
	v_cmp_eq_u32_e32 vcc_lo, 0, v5
	v_cndmask_b32_e32 v5, v8, v6, vcc_lo
	s_branch .LBB150_32
.LBB150_99:
	s_or_b32 exec_lo, exec_lo, s5
.LBB150_100:
	s_delay_alu instid0(SALU_CYCLE_1)
	s_or_b32 exec_lo, exec_lo, s1
	v_and_b32_e32 v2, 0x3c0, v0
	v_lshl_add_u32 v1, v13, 2, 0x60
	s_mov_b32 s0, exec_lo
	s_waitcnt_vscnt null, 0x0
	s_barrier
	buffer_gl0_inv
	v_cmpx_eq_u32_e32 64, v2
	s_cbranch_execz .LBB150_102
; %bb.101:
	v_lshlrev_b32_e32 v2, 7, v12
	s_delay_alu instid0(VALU_DEP_1)
	v_add3_u32 v2, v1, v2, 0xffffff00
	ds_store_b32 v2, v14
.LBB150_102:
	s_or_b32 exec_lo, exec_lo, s0
	v_and_b32_e32 v3, 0x3e0, v0
	s_mov_b32 s0, exec_lo
	s_waitcnt lgkmcnt(0)
	s_barrier
	buffer_gl0_inv
	v_lshl_add_u32 v2, v3, 2, v1
	v_cmpx_gt_u32_e32 64, v0
	s_cbranch_execz .LBB150_104
; %bb.103:
	ds_load_b32 v4, v2
	s_waitcnt lgkmcnt(0)
	v_add_f32_e32 v14, v14, v4
.LBB150_104:
	s_or_b32 exec_lo, exec_lo, s0
	s_delay_alu instid0(SALU_CYCLE_1)
	s_mov_b32 s0, exec_lo
	s_barrier
	buffer_gl0_inv
	v_cmpx_eq_u32_e32 32, v3
	s_cbranch_execz .LBB150_106
; %bb.105:
	ds_store_b32 v1, v14
.LBB150_106:
	s_or_b32 exec_lo, exec_lo, s0
	v_cmp_gt_u32_e32 vcc_lo, 32, v0
	s_waitcnt lgkmcnt(0)
	s_barrier
	buffer_gl0_inv
	s_and_saveexec_b32 s0, vcc_lo
	s_cbranch_execz .LBB150_108
; %bb.107:
	ds_load_b32 v0, v2
	s_waitcnt lgkmcnt(0)
	v_add_f32_e32 v14, v14, v0
.LBB150_108:
	s_or_b32 exec_lo, exec_lo, s0
	s_barrier
	buffer_gl0_inv
	s_and_saveexec_b32 s0, vcc_lo
	s_cbranch_execz .LBB150_114
; %bb.109:
	v_and_b32_e32 v0, 0x7f800000, v14
	s_delay_alu instid0(VALU_DEP_1) | instskip(SKIP_1) | instid1(SALU_CYCLE_1)
	v_cmp_ne_u32_e32 vcc_lo, 0x7f800000, v0
                                        ; implicit-def: $vgpr0
	s_and_saveexec_b32 s0, vcc_lo
	s_xor_b32 s0, exec_lo, s0
; %bb.110:
	v_bfe_u32 v0, v14, 16, 1
	s_delay_alu instid0(VALU_DEP_1)
	v_add3_u32 v0, v14, v0, 0x7fff
                                        ; implicit-def: $vgpr14
; %bb.111:
	s_and_not1_saveexec_b32 s0, s0
; %bb.112:
	v_and_b32_e32 v0, 0xffff, v14
	v_or_b32_e32 v1, 0x10000, v14
	s_delay_alu instid0(VALU_DEP_2) | instskip(NEXT) | instid1(VALU_DEP_2)
	v_cmp_eq_u32_e32 vcc_lo, 0, v0
	v_cndmask_b32_e32 v0, v1, v14, vcc_lo
; %bb.113:
	s_or_b32 exec_lo, exec_lo, s0
	s_lshl_b32 s0, s6, 5
	s_mul_i32 s2, s4, s16
	s_ashr_i32 s1, s0, 31
	v_lshlrev_b32_e32 v1, 1, v13
	s_lshl_b64 s[0:1], s[0:1], 1
	s_delay_alu instid0(SALU_CYCLE_1) | instskip(SKIP_2) | instid1(SALU_CYCLE_1)
	s_add_u32 s4, s18, s0
	s_addc_u32 s5, s19, s1
	s_ashr_i32 s3, s2, 31
	s_lshl_b64 s[0:1], s[2:3], 1
	s_delay_alu instid0(SALU_CYCLE_1) | instskip(SKIP_2) | instid1(SALU_CYCLE_1)
	s_add_u32 s2, s4, s0
	s_addc_u32 s3, s5, s1
	s_lshl_b32 s0, s12, 5
	s_ashr_i32 s1, s0, 31
	s_delay_alu instid0(SALU_CYCLE_1) | instskip(NEXT) | instid1(SALU_CYCLE_1)
	s_lshl_b64 s[0:1], s[0:1], 1
	s_add_u32 s0, s2, s0
	s_addc_u32 s1, s3, s1
	global_store_d16_hi_b16 v1, v0, s[0:1]
.LBB150_114:
	s_nop 0
	s_sendmsg sendmsg(MSG_DEALLOC_VGPRS)
	s_endpgm
	.section	.rodata,"a",@progbits
	.p2align	6, 0x0
	.amdhsa_kernel _ZN4vllm25paged_attention_v2_kernelI14__hip_bfloat16S1_Li32ELi8ELi128ELNS_18Fp8KVCacheDataTypeE0ELb0ELi512EEEvPfS3_PT_PKS4_PKT0_SA_ifPKiSC_iPKfiiiSE_SE_iiiii
		.amdhsa_group_segment_fixed_size 96
		.amdhsa_private_segment_fixed_size 0
		.amdhsa_kernarg_size 400
		.amdhsa_user_sgpr_count 13
		.amdhsa_user_sgpr_dispatch_ptr 0
		.amdhsa_user_sgpr_queue_ptr 0
		.amdhsa_user_sgpr_kernarg_segment_ptr 1
		.amdhsa_user_sgpr_dispatch_id 0
		.amdhsa_user_sgpr_private_segment_size 0
		.amdhsa_wavefront_size32 1
		.amdhsa_uses_dynamic_stack 0
		.amdhsa_enable_private_segment 0
		.amdhsa_system_sgpr_workgroup_id_x 1
		.amdhsa_system_sgpr_workgroup_id_y 1
		.amdhsa_system_sgpr_workgroup_id_z 1
		.amdhsa_system_sgpr_workgroup_info 0
		.amdhsa_system_vgpr_workitem_id 0
		.amdhsa_next_free_vgpr 32
		.amdhsa_next_free_sgpr 38
		.amdhsa_reserve_vcc 1
		.amdhsa_float_round_mode_32 0
		.amdhsa_float_round_mode_16_64 0
		.amdhsa_float_denorm_mode_32 3
		.amdhsa_float_denorm_mode_16_64 3
		.amdhsa_dx10_clamp 1
		.amdhsa_ieee_mode 1
		.amdhsa_fp16_overflow 0
		.amdhsa_workgroup_processor_mode 1
		.amdhsa_memory_ordered 1
		.amdhsa_forward_progress 0
		.amdhsa_shared_vgpr_count 0
		.amdhsa_exception_fp_ieee_invalid_op 0
		.amdhsa_exception_fp_denorm_src 0
		.amdhsa_exception_fp_ieee_div_zero 0
		.amdhsa_exception_fp_ieee_overflow 0
		.amdhsa_exception_fp_ieee_underflow 0
		.amdhsa_exception_fp_ieee_inexact 0
		.amdhsa_exception_int_div_zero 0
	.end_amdhsa_kernel
	.section	.text._ZN4vllm25paged_attention_v2_kernelI14__hip_bfloat16S1_Li32ELi8ELi128ELNS_18Fp8KVCacheDataTypeE0ELb0ELi512EEEvPfS3_PT_PKS4_PKT0_SA_ifPKiSC_iPKfiiiSE_SE_iiiii,"axG",@progbits,_ZN4vllm25paged_attention_v2_kernelI14__hip_bfloat16S1_Li32ELi8ELi128ELNS_18Fp8KVCacheDataTypeE0ELb0ELi512EEEvPfS3_PT_PKS4_PKT0_SA_ifPKiSC_iPKfiiiSE_SE_iiiii,comdat
.Lfunc_end150:
	.size	_ZN4vllm25paged_attention_v2_kernelI14__hip_bfloat16S1_Li32ELi8ELi128ELNS_18Fp8KVCacheDataTypeE0ELb0ELi512EEEvPfS3_PT_PKS4_PKT0_SA_ifPKiSC_iPKfiiiSE_SE_iiiii, .Lfunc_end150-_ZN4vllm25paged_attention_v2_kernelI14__hip_bfloat16S1_Li32ELi8ELi128ELNS_18Fp8KVCacheDataTypeE0ELb0ELi512EEEvPfS3_PT_PKS4_PKT0_SA_ifPKiSC_iPKfiiiSE_SE_iiiii
                                        ; -- End function
	.section	.AMDGPU.csdata,"",@progbits
; Kernel info:
; codeLenInByte = 4976
; NumSgprs: 40
; NumVgprs: 32
; ScratchSize: 0
; MemoryBound: 0
; FloatMode: 240
; IeeeMode: 1
; LDSByteSize: 96 bytes/workgroup (compile time only)
; SGPRBlocks: 4
; VGPRBlocks: 3
; NumSGPRsForWavesPerEU: 40
; NumVGPRsForWavesPerEU: 32
; Occupancy: 16
; WaveLimiterHint : 1
; COMPUTE_PGM_RSRC2:SCRATCH_EN: 0
; COMPUTE_PGM_RSRC2:USER_SGPR: 13
; COMPUTE_PGM_RSRC2:TRAP_HANDLER: 0
; COMPUTE_PGM_RSRC2:TGID_X_EN: 1
; COMPUTE_PGM_RSRC2:TGID_Y_EN: 1
; COMPUTE_PGM_RSRC2:TGID_Z_EN: 1
; COMPUTE_PGM_RSRC2:TIDIG_COMP_CNT: 0
	.section	.text._ZN4vllm25paged_attention_v2_kernelI14__hip_bfloat16S1_Li64ELi8ELi128ELNS_18Fp8KVCacheDataTypeE0ELb0ELi512EEEvPfS3_PT_PKS4_PKT0_SA_ifPKiSC_iPKfiiiSE_SE_iiiii,"axG",@progbits,_ZN4vllm25paged_attention_v2_kernelI14__hip_bfloat16S1_Li64ELi8ELi128ELNS_18Fp8KVCacheDataTypeE0ELb0ELi512EEEvPfS3_PT_PKS4_PKT0_SA_ifPKiSC_iPKfiiiSE_SE_iiiii,comdat
	.protected	_ZN4vllm25paged_attention_v2_kernelI14__hip_bfloat16S1_Li64ELi8ELi128ELNS_18Fp8KVCacheDataTypeE0ELb0ELi512EEEvPfS3_PT_PKS4_PKT0_SA_ifPKiSC_iPKfiiiSE_SE_iiiii ; -- Begin function _ZN4vllm25paged_attention_v2_kernelI14__hip_bfloat16S1_Li64ELi8ELi128ELNS_18Fp8KVCacheDataTypeE0ELb0ELi512EEEvPfS3_PT_PKS4_PKT0_SA_ifPKiSC_iPKfiiiSE_SE_iiiii
	.globl	_ZN4vllm25paged_attention_v2_kernelI14__hip_bfloat16S1_Li64ELi8ELi128ELNS_18Fp8KVCacheDataTypeE0ELb0ELi512EEEvPfS3_PT_PKS4_PKT0_SA_ifPKiSC_iPKfiiiSE_SE_iiiii
	.p2align	8
	.type	_ZN4vllm25paged_attention_v2_kernelI14__hip_bfloat16S1_Li64ELi8ELi128ELNS_18Fp8KVCacheDataTypeE0ELb0ELi512EEEvPfS3_PT_PKS4_PKT0_SA_ifPKiSC_iPKfiiiSE_SE_iiiii,@function
_ZN4vllm25paged_attention_v2_kernelI14__hip_bfloat16S1_Li64ELi8ELi128ELNS_18Fp8KVCacheDataTypeE0ELb0ELi512EEEvPfS3_PT_PKS4_PKT0_SA_ifPKiSC_iPKfiiiSE_SE_iiiii: ; @_ZN4vllm25paged_attention_v2_kernelI14__hip_bfloat16S1_Li64ELi8ELi128ELNS_18Fp8KVCacheDataTypeE0ELb0ELi512EEEvPfS3_PT_PKS4_PKT0_SA_ifPKiSC_iPKfiiiSE_SE_iiiii
; %bb.0:
	s_load_b64 s[2:3], s[0:1], 0x40
	s_mov_b32 s20, s15
	s_ashr_i32 s15, s14, 31
	s_delay_alu instid0(SALU_CYCLE_1)
	s_lshl_b64 s[4:5], s[14:15], 2
	s_waitcnt lgkmcnt(0)
	s_add_u32 s2, s2, s4
	s_addc_u32 s3, s3, s5
	s_lshl_b32 s33, s20, 9
	s_load_b32 s15, s[2:3], 0x0
	s_waitcnt lgkmcnt(0)
	s_cmp_ge_i32 s33, s15
	s_cbranch_scc1 .LBB151_152
; %bb.1:
	s_clause 0x1
	s_load_b32 s21, s[0:1], 0x90
	s_load_b64 s[16:17], s[0:1], 0x30
	s_mov_b32 s22, s13
	s_mov_b32 s35, 0
	s_waitcnt lgkmcnt(0)
	s_abs_i32 s5, s21
	s_abs_i32 s2, s16
	s_delay_alu instid0(SALU_CYCLE_1) | instskip(SKIP_1) | instid1(VALU_DEP_1)
	v_cvt_f32_u32_e32 v1, s2
	s_sub_i32 s4, 0, s2
	v_rcp_iflag_f32_e32 v1, v1
	s_waitcnt_depctr 0xfff
	v_mul_f32_e32 v1, 0x4f7ffffe, v1
	s_delay_alu instid0(VALU_DEP_1) | instskip(NEXT) | instid1(VALU_DEP_1)
	v_cvt_u32_f32_e32 v1, v1
	v_readfirstlane_b32 s3, v1
	s_delay_alu instid0(VALU_DEP_1) | instskip(NEXT) | instid1(SALU_CYCLE_1)
	s_mul_i32 s4, s4, s3
	s_mul_hi_u32 s4, s3, s4
	s_delay_alu instid0(SALU_CYCLE_1) | instskip(SKIP_4) | instid1(SALU_CYCLE_1)
	s_add_i32 s3, s3, s4
	s_xor_b32 s4, s21, s16
	s_mul_hi_u32 s3, s5, s3
	s_ashr_i32 s4, s4, 31
	s_mul_i32 s6, s3, s2
	s_sub_i32 s5, s5, s6
	s_add_i32 s6, s3, 1
	s_sub_i32 s7, s5, s2
	s_cmp_ge_u32 s5, s2
	s_cselect_b32 s3, s6, s3
	s_cselect_b32 s5, s7, s5
	s_add_i32 s6, s3, 1
	s_cmp_ge_u32 s5, s2
	s_cselect_b32 s2, s6, s3
	s_abs_i32 s10, s13
	s_xor_b32 s2, s2, s4
	s_delay_alu instid0(SALU_CYCLE_1) | instskip(SKIP_2) | instid1(SALU_CYCLE_1)
	s_sub_i32 s11, s2, s4
	s_load_b64 s[2:3], s[0:1], 0x50
	s_abs_i32 s8, s11
	v_cvt_f32_u32_e32 v1, s8
	s_sub_i32 s5, 0, s8
	s_delay_alu instid0(VALU_DEP_1) | instskip(SKIP_2) | instid1(VALU_DEP_1)
	v_rcp_iflag_f32_e32 v1, v1
	s_waitcnt_depctr 0xfff
	v_mul_f32_e32 v1, 0x4f7ffffe, v1
	v_cvt_u32_f32_e32 v1, v1
	s_delay_alu instid0(VALU_DEP_1) | instskip(NEXT) | instid1(VALU_DEP_1)
	v_readfirstlane_b32 s4, v1
	s_mul_i32 s5, s5, s4
	s_delay_alu instid0(SALU_CYCLE_1) | instskip(NEXT) | instid1(SALU_CYCLE_1)
	s_mul_hi_u32 s5, s4, s5
	s_add_i32 s4, s4, s5
	s_waitcnt lgkmcnt(0)
	s_cmp_eq_u64 s[2:3], 0
	s_mul_hi_u32 s9, s10, s4
	s_cbranch_scc1 .LBB151_3
; %bb.2:
	s_ashr_i32 s23, s22, 31
	s_delay_alu instid0(SALU_CYCLE_1) | instskip(NEXT) | instid1(SALU_CYCLE_1)
	s_lshl_b64 s[4:5], s[22:23], 2
	s_add_u32 s2, s2, s4
	s_addc_u32 s3, s3, s5
	s_load_b32 s35, s[2:3], 0x0
.LBB151_3:
	s_load_b128 s[4:7], s[0:1], 0x58
	v_and_b32_e32 v1, 3, v0
	v_cmp_gt_u32_e64 s2, 32, v0
	v_lshlrev_b32_e32 v2, 2, v0
	s_ashr_i32 s3, s22, 31
	s_waitcnt lgkmcnt(0)
	s_ashr_i32 s7, s11, 31
	s_lshl_b32 s12, s22, 6
	s_and_saveexec_b32 s11, s2
	s_cbranch_execz .LBB151_5
; %bb.4:
	s_load_b64 s[18:19], s[0:1], 0x18
	s_mul_i32 s24, s14, s4
	v_and_b32_e32 v4, 0x3fc, v0
	s_ashr_i32 s25, s24, 31
	s_delay_alu instid0(SALU_CYCLE_1) | instskip(NEXT) | instid1(VALU_DEP_1)
	s_lshl_b64 s[24:25], s[24:25], 1
	v_lshl_add_u32 v4, v1, 5, v4
	s_waitcnt lgkmcnt(0)
	s_add_u32 s4, s18, s24
	s_addc_u32 s16, s19, s25
	s_ashr_i32 s13, s12, 31
	s_delay_alu instid0(SALU_CYCLE_1) | instskip(NEXT) | instid1(SALU_CYCLE_1)
	s_lshl_b64 s[18:19], s[12:13], 1
	s_add_u32 s18, s4, s18
	s_addc_u32 s19, s16, s19
	global_load_b32 v3, v2, s[18:19]
	s_waitcnt vmcnt(0)
	ds_store_b32 v4, v3
.LBB151_5:
	s_or_b32 exec_lo, exec_lo, s11
	s_add_i32 s4, s15, 7
	s_lshl_b32 s16, s20, 6
	s_ashr_i32 s11, s4, 31
	s_xor_b32 s3, s3, s7
	s_lshr_b32 s11, s11, 29
	s_add_i32 s7, s16, 64
	s_add_i32 s4, s4, s11
	v_lshrrev_b32_e32 v14, 5, v0
	s_ashr_i32 s34, s4, 3
	s_mul_i32 s4, s9, s8
	s_min_i32 s23, s7, s34
	s_clause 0x1
	s_load_b64 s[24:25], s[0:1], 0x38
	s_load_b32 s7, s[0:1], 0x48
	s_sub_i32 s4, s10, s4
	s_add_i32 s10, s9, 1
	s_sub_i32 s11, s4, s8
	s_cmp_ge_u32 s4, s8
	v_or_b32_e32 v9, s16, v14
	s_cselect_b32 s9, s10, s9
	s_cselect_b32 s4, s11, s4
	s_add_i32 s10, s9, 1
	s_cmp_ge_u32 s4, s8
	v_mbcnt_lo_u32_b32 v4, -1, 0
	s_cselect_b32 s4, s10, s9
	s_waitcnt lgkmcnt(0)
	s_xor_b32 s4, s4, s3
	s_barrier
	s_sub_i32 s4, s4, s3
	v_cmp_gt_i32_e64 s3, s23, v9
	buffer_gl0_inv
                                        ; implicit-def: $sgpr30
                                        ; implicit-def: $vgpr5
	s_mul_i32 s26, s14, s7
	s_mov_b32 s7, exec_lo
	s_ashr_i32 s27, s26, 31
	v_cmpx_le_i32_e64 s23, v9
	s_xor_b32 s7, exec_lo, s7
; %bb.6:
	v_mbcnt_lo_u32_b32 v4, -1, 0
	v_mov_b32_e32 v5, 32
	s_mov_b32 s30, 0xff7fffff
                                        ; implicit-def: $vgpr2
                                        ; implicit-def: $vgpr1
; %bb.7:
	s_or_saveexec_b32 s7, s7
	s_clause 0x3
	s_load_b128 s[8:11], s[0:1], 0x0
	s_load_b64 s[18:19], s[0:1], 0x10
	s_load_b64 s[28:29], s[0:1], 0x28
	s_load_b32 s13, s[0:1], 0x98
	v_dual_mov_b32 v24, s30 :: v_dual_lshlrev_b32 v3, 3, v14
	v_ashrrev_i32_e32 v10, 31, v9
	s_mul_i32 s30, s4, s6
	s_xor_b32 exec_lo, exec_lo, s7
	s_cbranch_execz .LBB151_13
; %bb.8:
	s_load_b64 s[0:1], s[0:1], 0x20
	v_lshlrev_b32_e32 v5, 5, v1
	v_bfe_u32 v30, v0, 2, 3
	s_ashr_i32 s31, s30, 31
	v_and_b32_e32 v2, 12, v2
	s_lshl_b64 s[36:37], s[30:31], 1
	ds_load_b128 v[15:18], v5
	ds_load_b128 v[24:27], v5 offset:16
	v_lshlrev_b32_e32 v5, 4, v30
	v_lshlrev_b32_e32 v31, 2, v30
	v_add3_u32 v30, s33, v3, v30
	s_mov_b32 s31, 0
	v_mov_b32_e32 v32, v9
	s_waitcnt lgkmcnt(0)
	s_add_u32 s0, s0, s36
	s_addc_u32 s1, s1, s37
	v_add_co_u32 v5, s0, s0, v5
	s_delay_alu instid0(VALU_DEP_1) | instskip(SKIP_1) | instid1(VALU_DEP_3)
	v_add_co_ci_u32_e64 v20, null, s1, 0, s0
	v_lshlrev_b32_e32 v6, 16, v15
	v_add_co_u32 v19, vcc_lo, v5, v2
	v_xor_b32_e32 v2, 2, v4
	s_delay_alu instid0(VALU_DEP_4) | instskip(SKIP_2) | instid1(VALU_DEP_4)
	v_add_co_ci_u32_e32 v20, vcc_lo, 0, v20, vcc_lo
	v_xor_b32_e32 v5, 1, v4
	v_lshlrev_b32_e32 v8, 16, v16
	v_cmp_gt_i32_e32 vcc_lo, 32, v2
	v_and_b32_e32 v11, 0xffff0000, v16
	v_lshlrev_b32_e32 v12, 16, v17
	v_and_b32_e32 v13, 0xffff0000, v17
	v_and_b32_e32 v16, 0xffff0000, v18
	v_cndmask_b32_e32 v2, v4, v2, vcc_lo
	v_cmp_gt_i32_e32 vcc_lo, 32, v5
	v_and_b32_e32 v7, 0xffff0000, v15
	v_lshlrev_b32_e32 v15, 16, v18
	v_lshlrev_b32_e32 v17, 16, v24
	v_and_b32_e32 v18, 0xffff0000, v24
	v_cndmask_b32_e32 v24, v4, v5, vcc_lo
	v_lshlrev_b32_e32 v28, 2, v2
	v_cmp_eq_u32_e32 vcc_lo, 0, v1
	v_lshlrev_b64 v[1:2], 2, v[9:10]
	s_lshl_b64 s[36:37], s[26:27], 2
	v_lshlrev_b32_e32 v29, 2, v24
	v_lshl_or_b32 v24, v14, 5, v31
	s_sub_i32 s6, 1, s15
	s_add_u32 s1, s24, s36
	s_addc_u32 s4, s25, s37
	v_add_co_u32 v1, s1, s1, v1
	v_lshlrev_b32_e32 v21, 16, v25
	v_and_b32_e32 v22, 0xffff0000, v25
	v_lshlrev_b32_e32 v23, 16, v26
	v_and_b32_e32 v25, 0xffff0000, v26
	v_lshlrev_b32_e32 v26, 16, v27
	v_and_b32_e32 v27, 0xffff0000, v27
	v_mov_b32_e32 v5, 32
	v_cmp_neq_f32_e64 s0, s35, 0
	v_add_nc_u32_e32 v31, 0xa0, v24
	v_add_co_ci_u32_e64 v2, s1, s4, v2, s1
	v_mov_b32_e32 v24, 0xff7fffff
	s_mov_b32 s36, s5
	s_branch .LBB151_10
.LBB151_9:                              ;   in Loop: Header=BB151_10 Depth=1
	s_or_b32 exec_lo, exec_lo, s4
	v_add_nc_u32_e32 v32, 4, v32
	v_add_co_u32 v1, s4, v1, 16
	v_add_nc_u32_e32 v30, 32, v30
	v_add_nc_u32_e32 v31, 0x80, v31
	s_delay_alu instid0(VALU_DEP_4) | instskip(SKIP_1) | instid1(VALU_DEP_2)
	v_cmp_le_i32_e64 s1, s23, v32
	v_add_co_ci_u32_e64 v2, s4, 0, v2, s4
	s_or_b32 s31, s1, s31
	s_delay_alu instid0(SALU_CYCLE_1)
	s_and_not1_b32 exec_lo, exec_lo, s31
	s_cbranch_execz .LBB151_12
.LBB151_10:                             ; =>This Inner Loop Header: Depth=1
	global_load_b32 v35, v[1:2], off
	s_waitcnt vmcnt(0) lgkmcnt(0)
	v_mad_i64_i32 v[33:34], null, v35, s36, 0
	s_delay_alu instid0(VALU_DEP_1) | instskip(NEXT) | instid1(VALU_DEP_1)
	v_lshlrev_b64 v[33:34], 1, v[33:34]
	v_add_co_u32 v33, s1, v19, v33
	s_delay_alu instid0(VALU_DEP_1)
	v_add_co_ci_u32_e64 v34, s1, v20, v34, s1
	s_clause 0x7
	global_load_b32 v35, v[33:34], off offset:128
	global_load_b32 v36, v[33:34], off
	global_load_b32 v37, v[33:34], off offset:256
	global_load_b32 v38, v[33:34], off offset:384
	;; [unrolled: 1-line block ×6, first 2 shown]
	s_waitcnt vmcnt(6)
	v_lshlrev_b32_e32 v42, 16, v36
	s_waitcnt vmcnt(5)
	v_lshlrev_b32_e32 v43, 16, v37
	v_and_b32_e32 v37, 0xffff0000, v37
	v_and_b32_e32 v36, 0xffff0000, v36
	v_lshlrev_b32_e32 v34, 16, v35
	v_and_b32_e32 v35, 0xffff0000, v35
	s_delay_alu instid0(VALU_DEP_1) | instskip(NEXT) | instid1(VALU_DEP_1)
	v_mul_f32_e32 v35, v11, v35
	v_dual_fmac_f32 v35, v7, v36 :: v_dual_mul_f32 v34, v8, v34
	s_delay_alu instid0(VALU_DEP_1) | instskip(NEXT) | instid1(VALU_DEP_1)
	v_fmac_f32_e32 v34, v6, v42
	v_dual_fmac_f32 v34, v12, v43 :: v_dual_fmac_f32 v35, v13, v37
	s_waitcnt vmcnt(3)
	v_lshlrev_b32_e32 v37, 16, v39
	v_and_b32_e32 v39, 0xffff0000, v39
	v_lshlrev_b32_e32 v36, 16, v38
	v_and_b32_e32 v38, 0xffff0000, v38
	s_delay_alu instid0(VALU_DEP_1) | instskip(NEXT) | instid1(VALU_DEP_1)
	v_fmac_f32_e32 v35, v16, v38
	v_dual_fmac_f32 v35, v18, v39 :: v_dual_fmac_f32 v34, v15, v36
	s_waitcnt vmcnt(2)
	v_lshlrev_b32_e32 v36, 16, v40
	s_delay_alu instid0(VALU_DEP_2) | instskip(SKIP_1) | instid1(VALU_DEP_1)
	v_fmac_f32_e32 v34, v17, v37
	s_waitcnt vmcnt(1)
	v_dual_fmac_f32 v34, v21, v36 :: v_dual_lshlrev_b32 v37, 16, v41
	s_waitcnt vmcnt(0)
	v_lshlrev_b32_e32 v36, 16, v33
	v_and_b32_e32 v33, 0xffff0000, v33
	v_and_b32_e32 v38, 0xffff0000, v40
	v_fmac_f32_e32 v34, v23, v37
	v_and_b32_e32 v39, 0xffff0000, v41
	s_delay_alu instid0(VALU_DEP_3) | instskip(NEXT) | instid1(VALU_DEP_1)
	v_fmac_f32_e32 v35, v22, v38
	v_dual_fmac_f32 v34, v26, v36 :: v_dual_fmac_f32 v35, v25, v39
	s_delay_alu instid0(VALU_DEP_1) | instskip(NEXT) | instid1(VALU_DEP_1)
	v_fmac_f32_e32 v35, v27, v33
	v_add_f32_e32 v33, v34, v35
	ds_bpermute_b32 v34, v28, v33
	s_waitcnt lgkmcnt(0)
	v_add_f32_e32 v33, v33, v34
	ds_bpermute_b32 v34, v29, v33
	s_and_saveexec_b32 s4, vcc_lo
	s_cbranch_execz .LBB151_9
; %bb.11:                               ;   in Loop: Header=BB151_10 Depth=1
	s_waitcnt lgkmcnt(0)
	v_add_f32_e32 v33, v33, v34
	v_add_nc_u32_e32 v35, s6, v30
	v_cmp_gt_i32_e64 s1, s15, v30
	s_delay_alu instid0(VALU_DEP_2) | instskip(NEXT) | instid1(VALU_DEP_1)
	v_cvt_f32_i32_e32 v35, v35
	v_mul_f32_e32 v35, s35, v35
	s_delay_alu instid0(VALU_DEP_1) | instskip(NEXT) | instid1(VALU_DEP_1)
	v_cndmask_b32_e64 v34, 0, v35, s0
	v_dual_max_f32 v35, v24, v24 :: v_dual_fmac_f32 v34, s17, v33
	s_delay_alu instid0(VALU_DEP_1) | instskip(SKIP_1) | instid1(VALU_DEP_2)
	v_max_f32_e32 v33, v35, v34
	v_cndmask_b32_e64 v34, 0, v34, s1
	v_cndmask_b32_e64 v24, v24, v33, s1
	ds_store_b32 v31, v34
	s_branch .LBB151_9
.LBB151_12:
	s_or_b32 exec_lo, exec_lo, s31
.LBB151_13:
	s_delay_alu instid0(SALU_CYCLE_1)
	s_or_b32 exec_lo, exec_lo, s7
	v_xor_b32_e32 v1, 16, v4
	v_xor_b32_e32 v6, 8, v4
	;; [unrolled: 1-line block ×3, first 2 shown]
	v_and_b32_e32 v15, 31, v0
	v_max_f32_e32 v7, v24, v24
	v_cmp_lt_i32_e32 vcc_lo, v1, v5
	v_cndmask_b32_e32 v1, v4, v1, vcc_lo
	v_cmp_lt_i32_e32 vcc_lo, v6, v5
	v_cndmask_b32_e32 v6, v4, v6, vcc_lo
	v_cmp_lt_i32_e32 vcc_lo, v8, v5
	s_delay_alu instid0(VALU_DEP_2)
	v_lshlrev_b32_e32 v6, 2, v6
	v_lshlrev_b32_e32 v2, 2, v1
	v_cndmask_b32_e32 v8, v4, v8, vcc_lo
	v_cmp_eq_u32_e32 vcc_lo, 0, v15
	ds_bpermute_b32 v1, v2, v24
	s_waitcnt lgkmcnt(0)
	v_dual_max_f32 v1, v1, v1 :: v_dual_lshlrev_b32 v8, 2, v8
	s_delay_alu instid0(VALU_DEP_1) | instskip(SKIP_3) | instid1(VALU_DEP_1)
	v_max_f32_e32 v1, v7, v1
	ds_bpermute_b32 v7, v6, v1
	s_waitcnt lgkmcnt(0)
	v_max_f32_e32 v7, v7, v7
	v_max_f32_e32 v1, v1, v7
	v_lshlrev_b32_e32 v7, 2, v14
	ds_bpermute_b32 v11, v8, v1
	s_and_saveexec_b32 s0, vcc_lo
	s_cbranch_execz .LBB151_15
; %bb.14:
	s_waitcnt lgkmcnt(0)
	v_max_f32_e32 v11, v11, v11
	v_max_f32_e32 v1, v1, v1
	s_delay_alu instid0(VALU_DEP_1)
	v_max_f32_e32 v1, v1, v11
	ds_store_b32 v7, v1 offset:128
.LBB151_15:
	s_or_b32 exec_lo, exec_lo, s0
	v_cmp_gt_u32_e64 s0, 4, v15
	v_mov_b32_e32 v1, 0xff7fffff
	v_lshlrev_b32_e32 v17, 2, v15
	s_waitcnt lgkmcnt(0)
	s_barrier
	buffer_gl0_inv
	s_and_saveexec_b32 s1, s0
	s_cbranch_execz .LBB151_17
; %bb.16:
	ds_load_b32 v1, v17 offset:128
.LBB151_17:
	s_or_b32 exec_lo, exec_lo, s1
	v_xor_b32_e32 v11, 2, v4
	v_xor_b32_e32 v13, 1, v4
	v_lshl_add_u32 v16, v0, 2, 0xa0
	s_delay_alu instid0(VALU_DEP_3) | instskip(NEXT) | instid1(VALU_DEP_1)
	v_cmp_lt_i32_e64 s1, v11, v5
	v_cndmask_b32_e64 v11, v4, v11, s1
	s_delay_alu instid0(VALU_DEP_4) | instskip(NEXT) | instid1(VALU_DEP_2)
	v_cmp_lt_i32_e64 s1, v13, v5
	v_lshlrev_b32_e32 v11, 2, v11
	s_delay_alu instid0(VALU_DEP_2) | instskip(SKIP_2) | instid1(SALU_CYCLE_1)
	v_cndmask_b32_e64 v5, v4, v13, s1
	v_lshlrev_b32_e32 v4, 2, v4
	s_sub_i32 s1, s23, s16
	s_lshl_b32 s1, s1, 3
	s_waitcnt lgkmcnt(0)
	ds_bpermute_b32 v12, v11, v1
	v_max_f32_e32 v1, v1, v1
	v_lshlrev_b32_e32 v5, 2, v5
	v_and_b32_e32 v4, 0xffffff80, v4
	s_add_i32 s1, s1, s33
	s_delay_alu instid0(SALU_CYCLE_1) | instskip(NEXT) | instid1(SALU_CYCLE_1)
	s_min_i32 s1, s1, s15
	s_sub_i32 s6, s1, s33
	s_delay_alu instid0(SALU_CYCLE_1) | instskip(SKIP_2) | instid1(VALU_DEP_1)
	v_cmp_gt_i32_e64 s1, s6, v0
	s_waitcnt lgkmcnt(0)
	v_max_f32_e32 v12, v12, v12
	v_max_f32_e32 v1, v1, v12
	ds_bpermute_b32 v12, v5, v1
	s_waitcnt lgkmcnt(0)
	v_max_f32_e32 v12, v12, v12
	s_delay_alu instid0(VALU_DEP_1)
	v_dual_max_f32 v1, v1, v12 :: v_dual_mov_b32 v12, 0
	ds_bpermute_b32 v1, v4, v1
	s_and_saveexec_b32 s7, s1
	s_cbranch_execz .LBB151_21
; %bb.18:
	v_lshl_add_u32 v13, v0, 2, 0xa0
	v_mov_b32_e32 v12, 0
	v_mov_b32_e32 v18, v0
	s_mov_b32 s17, 0
	.p2align	6
.LBB151_19:                             ; =>This Inner Loop Header: Depth=1
	ds_load_b32 v19, v13
	v_add_nc_u32_e32 v18, 0x80, v18
	s_delay_alu instid0(VALU_DEP_1) | instskip(NEXT) | instid1(VALU_DEP_1)
	v_cmp_le_i32_e64 s4, s6, v18
	s_or_b32 s17, s4, s17
	s_waitcnt lgkmcnt(0)
	v_sub_f32_e32 v19, v19, v1
	s_delay_alu instid0(VALU_DEP_1) | instskip(NEXT) | instid1(VALU_DEP_1)
	v_mul_f32_e32 v19, 0x3fb8aa3b, v19
	v_exp_f32_e32 v19, v19
	ds_store_b32 v13, v19
	v_dual_add_f32 v12, v12, v19 :: v_dual_add_nc_u32 v13, 0x200, v13
	s_and_not1_b32 exec_lo, exec_lo, s17
	s_cbranch_execnz .LBB151_19
; %bb.20:
	s_or_b32 exec_lo, exec_lo, s17
.LBB151_21:
	s_delay_alu instid0(SALU_CYCLE_1)
	s_or_b32 exec_lo, exec_lo, s7
	ds_bpermute_b32 v2, v2, v12
	s_waitcnt lgkmcnt(0)
	v_add_f32_e32 v2, v12, v2
	ds_bpermute_b32 v6, v6, v2
	s_waitcnt lgkmcnt(0)
	v_add_f32_e32 v2, v2, v6
	;; [unrolled: 3-line block ×5, first 2 shown]
	s_and_saveexec_b32 s4, vcc_lo
	s_cbranch_execz .LBB151_23
; %bb.22:
	ds_store_b32 v7, v2 offset:144
.LBB151_23:
	s_or_b32 exec_lo, exec_lo, s4
	s_waitcnt lgkmcnt(0)
	s_barrier
	buffer_gl0_inv
	s_and_saveexec_b32 s4, s0
	s_cbranch_execz .LBB151_25
; %bb.24:
	ds_load_b32 v2, v17 offset:144
.LBB151_25:
	s_or_b32 exec_lo, exec_lo, s4
	s_waitcnt lgkmcnt(0)
	ds_bpermute_b32 v6, v11, v2
	s_waitcnt lgkmcnt(0)
	v_add_f32_e32 v2, v2, v6
	ds_bpermute_b32 v5, v5, v2
	s_waitcnt lgkmcnt(0)
	v_add_f32_e32 v2, v2, v5
	ds_bpermute_b32 v2, v4, v2
	s_and_saveexec_b32 s0, s1
	s_cbranch_execz .LBB151_28
; %bb.26:
	s_waitcnt lgkmcnt(0)
	v_add_f32_e32 v5, 0x358637bd, v2
	s_mov_b32 s1, 0
	s_delay_alu instid0(VALU_DEP_1) | instskip(SKIP_1) | instid1(VALU_DEP_2)
	v_div_scale_f32 v4, null, v5, v5, 1.0
	v_div_scale_f32 v8, vcc_lo, 1.0, v5, 1.0
	v_rcp_f32_e32 v6, v4
	s_waitcnt_depctr 0xfff
	v_fma_f32 v7, -v4, v6, 1.0
	s_delay_alu instid0(VALU_DEP_1) | instskip(NEXT) | instid1(VALU_DEP_1)
	v_fmac_f32_e32 v6, v7, v6
	v_mul_f32_e32 v7, v8, v6
	s_delay_alu instid0(VALU_DEP_1) | instskip(NEXT) | instid1(VALU_DEP_1)
	v_fma_f32 v11, -v4, v7, v8
	v_fmac_f32_e32 v7, v11, v6
	s_delay_alu instid0(VALU_DEP_1) | instskip(NEXT) | instid1(VALU_DEP_1)
	v_fma_f32 v4, -v4, v7, v8
	v_div_fmas_f32 v6, v4, v6, v7
	v_mov_b32_e32 v4, v16
	s_delay_alu instid0(VALU_DEP_2)
	v_div_fixup_f32 v5, v6, v5, 1.0
	v_mov_b32_e32 v6, v0
.LBB151_27:                             ; =>This Inner Loop Header: Depth=1
	ds_load_b32 v7, v4
	s_waitcnt lgkmcnt(0)
	v_dual_mul_f32 v7, v5, v7 :: v_dual_add_nc_u32 v6, 0x80, v6
	s_delay_alu instid0(VALU_DEP_1) | instskip(SKIP_3) | instid1(SALU_CYCLE_1)
	v_cmp_le_i32_e32 vcc_lo, s6, v6
	ds_store_b32 v4, v7
	v_add_nc_u32_e32 v4, 0x200, v4
	s_or_b32 s1, vcc_lo, s1
	s_and_not1_b32 exec_lo, exec_lo, s1
	s_cbranch_execnz .LBB151_27
.LBB151_28:
	s_or_b32 exec_lo, exec_lo, s0
	s_mul_i32 s0, s13, s14
	s_waitcnt lgkmcnt(0)
	s_mul_i32 s6, s0, s21
	s_mov_b32 s0, exec_lo
	s_barrier
	buffer_gl0_inv
	v_cmpx_eq_u32_e32 0, v0
	s_cbranch_execz .LBB151_30
; %bb.29:
	s_ashr_i32 s7, s6, 31
	s_mul_i32 s38, s13, s22
	s_lshl_b64 s[36:37], s[6:7], 2
	v_mov_b32_e32 v4, 0
	s_add_u32 s1, s10, s36
	s_addc_u32 s4, s11, s37
	s_ashr_i32 s39, s38, 31
	s_delay_alu instid0(SALU_CYCLE_1) | instskip(NEXT) | instid1(SALU_CYCLE_1)
	s_lshl_b64 s[10:11], s[38:39], 2
	s_add_u32 s1, s1, s10
	s_addc_u32 s4, s4, s11
	s_ashr_i32 s21, s20, 31
	s_delay_alu instid0(SALU_CYCLE_1) | instskip(NEXT) | instid1(SALU_CYCLE_1)
	s_lshl_b64 s[20:21], s[20:21], 2
	s_add_u32 s38, s1, s20
	s_addc_u32 s39, s4, s21
	s_add_u32 s1, s8, s36
	s_addc_u32 s4, s9, s37
	s_add_u32 s1, s1, s10
	s_addc_u32 s4, s4, s11
	s_add_u32 s8, s1, s20
	s_addc_u32 s9, s4, s21
	s_clause 0x1
	global_store_b32 v4, v1, s[38:39]
	global_store_b32 v4, v2, s[8:9]
.LBB151_30:
	s_or_b32 exec_lo, exec_lo, s0
	v_dual_mov_b32 v11, 0 :: v_dual_mov_b32 v18, 0
	s_mov_b32 s4, 0
	s_and_saveexec_b32 s1, s3
	s_cbranch_execz .LBB151_134
; %bb.31:
	s_ashr_i32 s31, s30, 31
	v_dual_mov_b32 v18, 0 :: v_dual_lshlrev_b32 v1, 4, v15
	s_lshl_b64 s[8:9], s[30:31], 1
	v_add3_u32 v21, s33, v3, 7
	s_add_u32 s0, s28, s8
	s_addc_u32 s7, s29, s9
	v_add_co_u32 v19, s0, s0, v1
	v_lshlrev_b64 v[1:2], 2, v[9:10]
	s_lshl_b64 s[8:9], s[26:27], 2
	s_add_i32 s3, s34, -1
	v_add_co_ci_u32_e64 v20, null, s7, 0, s0
	s_add_u32 s0, s24, s8
	s_addc_u32 s7, s25, s9
	v_add_co_u32 v12, vcc_lo, s0, v1
	v_lshl_add_u32 v10, v14, 5, 0xa0
	v_add_co_ci_u32_e32 v13, vcc_lo, s7, v2, vcc_lo
	v_mov_b32_e32 v11, v18
	s_branch .LBB151_33
.LBB151_32:                             ;   in Loop: Header=BB151_33 Depth=1
	s_or_b32 exec_lo, exec_lo, s0
	v_and_b32_e32 v6, 0xffff0000, v6
	v_and_b32_e32 v4, 0xffff0000, v4
	;; [unrolled: 1-line block ×7, first 2 shown]
	v_dual_add_f32 v1, v1, v6 :: v_dual_and_b32 v8, 0xffff0000, v8
	v_and_b32_e32 v22, 0xffff0000, v22
	v_add_nc_u32_e32 v9, 4, v9
	v_add_co_u32 v12, s0, v12, 16
	s_delay_alu instid0(VALU_DEP_4)
	v_add_f32_e32 v7, v7, v8
	v_and_b32_e32 v23, 0xffff0000, v23
	v_and_b32_e32 v25, 0xffff0000, v25
	v_cmp_le_i32_e32 vcc_lo, s23, v9
	v_add_nc_u32_e32 v21, 32, v21
	v_add_nc_u32_e32 v10, 0x80, v10
	v_add_f32_e32 v8, v22, v23
	v_add_co_ci_u32_e64 v13, s0, 0, v13, s0
	s_or_b32 s4, vcc_lo, s4
	s_delay_alu instid0(VALU_DEP_2) | instskip(SKIP_2) | instid1(VALU_DEP_1)
	v_dual_add_f32 v6, v7, v8 :: v_dual_add_f32 v7, v24, v25
	v_and_b32_e32 v26, 0xffff0000, v26
	v_and_b32_e32 v27, 0xffff0000, v27
	v_dual_add_f32 v2, v2, v27 :: v_dual_and_b32 v29, 0xffff0000, v34
	s_delay_alu instid0(VALU_DEP_1) | instskip(NEXT) | instid1(VALU_DEP_1)
	v_dual_add_f32 v1, v1, v2 :: v_dual_and_b32 v22, 0xffff0000, v28
	v_dual_add_f32 v2, v3, v22 :: v_dual_and_b32 v3, 0xffff0000, v5
	v_add_f32_e32 v5, v6, v7
	s_delay_alu instid0(VALU_DEP_2) | instskip(NEXT) | instid1(VALU_DEP_1)
	v_dual_add_f32 v6, v26, v29 :: v_dual_add_f32 v1, v1, v2
	v_dual_add_f32 v2, v4, v3 :: v_dual_add_f32 v3, v5, v6
	s_delay_alu instid0(VALU_DEP_1) | instskip(NEXT) | instid1(VALU_DEP_1)
	v_dual_add_f32 v1, v1, v2 :: v_dual_add_f32 v18, v18, v3
	v_add_f32_e32 v11, v11, v1
	s_and_not1_b32 exec_lo, exec_lo, s4
	s_cbranch_execz .LBB151_133
.LBB151_33:                             ; =>This Inner Loop Header: Depth=1
	global_load_b32 v27, v[12:13], off
	ds_load_2addr_b64 v[5:8], v10 offset1:1
	ds_load_2addr_b64 v[1:4], v10 offset0:2 offset1:3
	s_mov_b32 s0, exec_lo
                                        ; implicit-def: $vgpr35
	s_waitcnt lgkmcnt(1)
	v_and_b32_e32 v22, 0x7f800000, v5
	s_delay_alu instid0(VALU_DEP_1)
	v_cmpx_ne_u32_e32 0x7f800000, v22
	s_xor_b32 s0, exec_lo, s0
; %bb.34:                               ;   in Loop: Header=BB151_33 Depth=1
	v_bfe_u32 v22, v5, 16, 1
	s_delay_alu instid0(VALU_DEP_1)
	v_add3_u32 v35, v5, v22, 0x7fff
; %bb.35:                               ;   in Loop: Header=BB151_33 Depth=1
	s_and_not1_saveexec_b32 s0, s0
; %bb.36:                               ;   in Loop: Header=BB151_33 Depth=1
	v_and_b32_e32 v22, 0xffff, v5
	v_or_b32_e32 v23, 0x10000, v5
	s_delay_alu instid0(VALU_DEP_2) | instskip(NEXT) | instid1(VALU_DEP_2)
	v_cmp_eq_u32_e32 vcc_lo, 0, v22
	v_cndmask_b32_e32 v35, v23, v5, vcc_lo
; %bb.37:                               ;   in Loop: Header=BB151_33 Depth=1
	s_or_b32 exec_lo, exec_lo, s0
	v_and_b32_e32 v5, 0x7f800000, v6
	s_mov_b32 s0, exec_lo
                                        ; implicit-def: $vgpr36
	s_delay_alu instid0(VALU_DEP_1)
	v_cmpx_ne_u32_e32 0x7f800000, v5
	s_xor_b32 s0, exec_lo, s0
; %bb.38:                               ;   in Loop: Header=BB151_33 Depth=1
	v_bfe_u32 v5, v6, 16, 1
	s_delay_alu instid0(VALU_DEP_1)
	v_add3_u32 v36, v6, v5, 0x7fff
; %bb.39:                               ;   in Loop: Header=BB151_33 Depth=1
	s_and_not1_saveexec_b32 s0, s0
; %bb.40:                               ;   in Loop: Header=BB151_33 Depth=1
	v_and_b32_e32 v5, 0xffff, v6
	v_or_b32_e32 v22, 0x10000, v6
	s_delay_alu instid0(VALU_DEP_2) | instskip(NEXT) | instid1(VALU_DEP_2)
	v_cmp_eq_u32_e32 vcc_lo, 0, v5
	v_cndmask_b32_e32 v36, v22, v6, vcc_lo
; %bb.41:                               ;   in Loop: Header=BB151_33 Depth=1
	s_or_b32 exec_lo, exec_lo, s0
	v_and_b32_e32 v5, 0x7f800000, v7
	s_mov_b32 s0, exec_lo
                                        ; implicit-def: $vgpr22
	s_delay_alu instid0(VALU_DEP_1)
	v_cmpx_ne_u32_e32 0x7f800000, v5
	s_xor_b32 s0, exec_lo, s0
; %bb.42:                               ;   in Loop: Header=BB151_33 Depth=1
	v_bfe_u32 v5, v7, 16, 1
	s_delay_alu instid0(VALU_DEP_1)
	v_add3_u32 v22, v7, v5, 0x7fff
; %bb.43:                               ;   in Loop: Header=BB151_33 Depth=1
	s_and_not1_saveexec_b32 s0, s0
; %bb.44:                               ;   in Loop: Header=BB151_33 Depth=1
	v_and_b32_e32 v5, 0xffff, v7
	v_or_b32_e32 v6, 0x10000, v7
	s_delay_alu instid0(VALU_DEP_2) | instskip(NEXT) | instid1(VALU_DEP_2)
	v_cmp_eq_u32_e32 vcc_lo, 0, v5
	v_cndmask_b32_e32 v22, v6, v7, vcc_lo
; %bb.45:                               ;   in Loop: Header=BB151_33 Depth=1
	s_or_b32 exec_lo, exec_lo, s0
	v_and_b32_e32 v5, 0x7f800000, v8
	s_mov_b32 s0, exec_lo
                                        ; implicit-def: $vgpr23
	s_delay_alu instid0(VALU_DEP_1)
	v_cmpx_ne_u32_e32 0x7f800000, v5
	s_xor_b32 s0, exec_lo, s0
; %bb.46:                               ;   in Loop: Header=BB151_33 Depth=1
	v_bfe_u32 v5, v8, 16, 1
	s_delay_alu instid0(VALU_DEP_1)
	v_add3_u32 v23, v8, v5, 0x7fff
                                        ; implicit-def: $vgpr5_vgpr6_vgpr7_vgpr8
; %bb.47:                               ;   in Loop: Header=BB151_33 Depth=1
	s_and_not1_saveexec_b32 s0, s0
; %bb.48:                               ;   in Loop: Header=BB151_33 Depth=1
	v_and_b32_e32 v5, 0xffff, v8
	v_or_b32_e32 v6, 0x10000, v8
	s_delay_alu instid0(VALU_DEP_2) | instskip(NEXT) | instid1(VALU_DEP_2)
	v_cmp_eq_u32_e32 vcc_lo, 0, v5
	v_cndmask_b32_e32 v23, v6, v8, vcc_lo
; %bb.49:                               ;   in Loop: Header=BB151_33 Depth=1
	s_or_b32 exec_lo, exec_lo, s0
	s_waitcnt lgkmcnt(0)
	v_and_b32_e32 v5, 0x7f800000, v1
	s_mov_b32 s0, exec_lo
                                        ; implicit-def: $vgpr24
	s_delay_alu instid0(VALU_DEP_1)
	v_cmpx_ne_u32_e32 0x7f800000, v5
	s_xor_b32 s0, exec_lo, s0
; %bb.50:                               ;   in Loop: Header=BB151_33 Depth=1
	v_bfe_u32 v5, v1, 16, 1
	s_delay_alu instid0(VALU_DEP_1)
	v_add3_u32 v24, v1, v5, 0x7fff
; %bb.51:                               ;   in Loop: Header=BB151_33 Depth=1
	s_and_not1_saveexec_b32 s0, s0
; %bb.52:                               ;   in Loop: Header=BB151_33 Depth=1
	v_and_b32_e32 v5, 0xffff, v1
	v_or_b32_e32 v6, 0x10000, v1
	s_delay_alu instid0(VALU_DEP_2) | instskip(NEXT) | instid1(VALU_DEP_2)
	v_cmp_eq_u32_e32 vcc_lo, 0, v5
	v_cndmask_b32_e32 v24, v6, v1, vcc_lo
; %bb.53:                               ;   in Loop: Header=BB151_33 Depth=1
	s_or_b32 exec_lo, exec_lo, s0
	v_and_b32_e32 v1, 0x7f800000, v2
	s_mov_b32 s0, exec_lo
                                        ; implicit-def: $vgpr25
	s_delay_alu instid0(VALU_DEP_1)
	v_cmpx_ne_u32_e32 0x7f800000, v1
	s_xor_b32 s0, exec_lo, s0
; %bb.54:                               ;   in Loop: Header=BB151_33 Depth=1
	v_bfe_u32 v1, v2, 16, 1
	s_delay_alu instid0(VALU_DEP_1)
	v_add3_u32 v25, v2, v1, 0x7fff
; %bb.55:                               ;   in Loop: Header=BB151_33 Depth=1
	s_and_not1_saveexec_b32 s0, s0
; %bb.56:                               ;   in Loop: Header=BB151_33 Depth=1
	v_and_b32_e32 v1, 0xffff, v2
	v_or_b32_e32 v5, 0x10000, v2
	s_delay_alu instid0(VALU_DEP_2) | instskip(NEXT) | instid1(VALU_DEP_2)
	v_cmp_eq_u32_e32 vcc_lo, 0, v1
	v_cndmask_b32_e32 v25, v5, v2, vcc_lo
; %bb.57:                               ;   in Loop: Header=BB151_33 Depth=1
	s_or_b32 exec_lo, exec_lo, s0
	v_and_b32_e32 v1, 0x7f800000, v3
	s_mov_b32 s0, exec_lo
                                        ; implicit-def: $vgpr26
	s_delay_alu instid0(VALU_DEP_1)
	v_cmpx_ne_u32_e32 0x7f800000, v1
	s_xor_b32 s0, exec_lo, s0
; %bb.58:                               ;   in Loop: Header=BB151_33 Depth=1
	v_bfe_u32 v1, v3, 16, 1
	s_delay_alu instid0(VALU_DEP_1)
	v_add3_u32 v26, v3, v1, 0x7fff
; %bb.59:                               ;   in Loop: Header=BB151_33 Depth=1
	s_and_not1_saveexec_b32 s0, s0
; %bb.60:                               ;   in Loop: Header=BB151_33 Depth=1
	v_and_b32_e32 v1, 0xffff, v3
	v_or_b32_e32 v2, 0x10000, v3
	s_delay_alu instid0(VALU_DEP_2) | instskip(NEXT) | instid1(VALU_DEP_2)
	v_cmp_eq_u32_e32 vcc_lo, 0, v1
	v_cndmask_b32_e32 v26, v2, v3, vcc_lo
; %bb.61:                               ;   in Loop: Header=BB151_33 Depth=1
	s_or_b32 exec_lo, exec_lo, s0
	v_and_b32_e32 v1, 0x7f800000, v4
	s_mov_b32 s0, exec_lo
                                        ; implicit-def: $vgpr34
	s_delay_alu instid0(VALU_DEP_1)
	v_cmpx_ne_u32_e32 0x7f800000, v1
	s_xor_b32 s0, exec_lo, s0
; %bb.62:                               ;   in Loop: Header=BB151_33 Depth=1
	v_bfe_u32 v1, v4, 16, 1
	s_delay_alu instid0(VALU_DEP_1)
	v_add3_u32 v34, v4, v1, 0x7fff
                                        ; implicit-def: $vgpr1_vgpr2_vgpr3_vgpr4
; %bb.63:                               ;   in Loop: Header=BB151_33 Depth=1
	s_and_not1_saveexec_b32 s0, s0
; %bb.64:                               ;   in Loop: Header=BB151_33 Depth=1
	v_and_b32_e32 v1, 0xffff, v4
	v_or_b32_e32 v2, 0x10000, v4
	s_delay_alu instid0(VALU_DEP_2) | instskip(NEXT) | instid1(VALU_DEP_2)
	v_cmp_eq_u32_e32 vcc_lo, 0, v1
	v_cndmask_b32_e32 v34, v2, v4, vcc_lo
; %bb.65:                               ;   in Loop: Header=BB151_33 Depth=1
	s_or_b32 exec_lo, exec_lo, s0
	s_waitcnt vmcnt(0)
	v_mad_i64_i32 v[1:2], null, v27, s5, 0
	v_add_nc_u32_e32 v27, -7, v21
	v_add_nc_u32_e32 v33, -6, v21
	;; [unrolled: 1-line block ×6, first 2 shown]
	v_lshlrev_b64 v[1:2], 1, v[1:2]
	v_add_nc_u32_e32 v32, -1, v21
	s_delay_alu instid0(VALU_DEP_2) | instskip(NEXT) | instid1(VALU_DEP_3)
	v_add_co_u32 v5, vcc_lo, v19, v1
	v_add_co_ci_u32_e32 v6, vcc_lo, v20, v2, vcc_lo
	v_cmp_eq_u32_e32 vcc_lo, s3, v9
	global_load_b128 v[1:4], v[5:6], off
	s_waitcnt vmcnt(0)
	v_lshrrev_b32_e32 v8, 16, v1
	v_lshrrev_b32_e32 v39, 16, v2
	;; [unrolled: 1-line block ×4, first 2 shown]
	s_and_saveexec_b32 s7, vcc_lo
	s_cbranch_execz .LBB151_67
; %bb.66:                               ;   in Loop: Header=BB151_33 Depth=1
	v_cmp_gt_i32_e64 s0, s15, v27
	s_delay_alu instid0(VALU_DEP_1) | instskip(SKIP_1) | instid1(VALU_DEP_1)
	v_cndmask_b32_e64 v1, 0, v1, s0
	v_cmp_gt_i32_e64 s0, s15, v33
	v_cndmask_b32_e64 v8, 0, v8, s0
	v_cmp_gt_i32_e64 s0, s15, v31
	s_delay_alu instid0(VALU_DEP_1) | instskip(SKIP_1) | instid1(VALU_DEP_1)
	v_cndmask_b32_e64 v2, 0, v2, s0
	v_cmp_gt_i32_e64 s0, s15, v30
	v_cndmask_b32_e64 v39, 0, v39, s0
	;; [unrolled: 5-line block ×4, first 2 shown]
.LBB151_67:                             ;   in Loop: Header=BB151_33 Depth=1
	s_or_b32 exec_lo, exec_lo, s7
	v_and_b32_e32 v35, 0xffff0000, v35
	v_lshlrev_b32_e32 v1, 16, v1
	s_delay_alu instid0(VALU_DEP_1) | instskip(NEXT) | instid1(VALU_DEP_1)
	v_mul_f32_e32 v1, v35, v1
	v_and_b32_e32 v7, 0x7f800000, v1
	s_delay_alu instid0(VALU_DEP_1) | instskip(NEXT) | instid1(VALU_DEP_1)
	v_cmp_ne_u32_e64 s0, 0x7f800000, v7
                                        ; implicit-def: $vgpr7
	s_and_saveexec_b32 s7, s0
	s_delay_alu instid0(SALU_CYCLE_1)
	s_xor_b32 s0, exec_lo, s7
; %bb.68:                               ;   in Loop: Header=BB151_33 Depth=1
	v_bfe_u32 v7, v1, 16, 1
	s_delay_alu instid0(VALU_DEP_1)
	v_add3_u32 v7, v1, v7, 0x7fff
                                        ; implicit-def: $vgpr1
; %bb.69:                               ;   in Loop: Header=BB151_33 Depth=1
	s_and_not1_saveexec_b32 s7, s0
; %bb.70:                               ;   in Loop: Header=BB151_33 Depth=1
	v_and_b32_e32 v7, 0xffff, v1
	v_or_b32_e32 v37, 0x10000, v1
	s_delay_alu instid0(VALU_DEP_2) | instskip(NEXT) | instid1(VALU_DEP_1)
	v_cmp_eq_u32_e64 s0, 0, v7
	v_cndmask_b32_e64 v7, v37, v1, s0
; %bb.71:                               ;   in Loop: Header=BB151_33 Depth=1
	s_or_b32 exec_lo, exec_lo, s7
	v_and_b32_e32 v36, 0xffff0000, v36
	v_lshlrev_b32_e32 v1, 16, v8
	s_delay_alu instid0(VALU_DEP_1) | instskip(NEXT) | instid1(VALU_DEP_1)
	v_mul_f32_e32 v1, v36, v1
	v_and_b32_e32 v8, 0x7f800000, v1
	s_delay_alu instid0(VALU_DEP_1) | instskip(NEXT) | instid1(VALU_DEP_1)
	v_cmp_ne_u32_e64 s0, 0x7f800000, v8
                                        ; implicit-def: $vgpr8
	s_and_saveexec_b32 s7, s0
	s_delay_alu instid0(SALU_CYCLE_1)
	s_xor_b32 s0, exec_lo, s7
; %bb.72:                               ;   in Loop: Header=BB151_33 Depth=1
	v_bfe_u32 v8, v1, 16, 1
	s_delay_alu instid0(VALU_DEP_1)
	v_add3_u32 v8, v1, v8, 0x7fff
                                        ; implicit-def: $vgpr1
; %bb.73:                               ;   in Loop: Header=BB151_33 Depth=1
	s_and_not1_saveexec_b32 s7, s0
; %bb.74:                               ;   in Loop: Header=BB151_33 Depth=1
	v_and_b32_e32 v8, 0xffff, v1
	v_or_b32_e32 v37, 0x10000, v1
	s_delay_alu instid0(VALU_DEP_2) | instskip(NEXT) | instid1(VALU_DEP_1)
	v_cmp_eq_u32_e64 s0, 0, v8
	v_cndmask_b32_e64 v8, v37, v1, s0
; %bb.75:                               ;   in Loop: Header=BB151_33 Depth=1
	s_or_b32 exec_lo, exec_lo, s7
	v_and_b32_e32 v37, 0xffff0000, v22
	v_lshlrev_b32_e32 v1, 16, v2
                                        ; implicit-def: $vgpr22
	s_delay_alu instid0(VALU_DEP_1) | instskip(NEXT) | instid1(VALU_DEP_1)
	v_mul_f32_e32 v1, v37, v1
	v_and_b32_e32 v2, 0x7f800000, v1
	s_delay_alu instid0(VALU_DEP_1) | instskip(NEXT) | instid1(VALU_DEP_1)
	v_cmp_ne_u32_e64 s0, 0x7f800000, v2
	s_and_saveexec_b32 s7, s0
	s_delay_alu instid0(SALU_CYCLE_1)
	s_xor_b32 s0, exec_lo, s7
; %bb.76:                               ;   in Loop: Header=BB151_33 Depth=1
	v_bfe_u32 v2, v1, 16, 1
	s_delay_alu instid0(VALU_DEP_1)
	v_add3_u32 v22, v1, v2, 0x7fff
                                        ; implicit-def: $vgpr1
; %bb.77:                               ;   in Loop: Header=BB151_33 Depth=1
	s_and_not1_saveexec_b32 s7, s0
; %bb.78:                               ;   in Loop: Header=BB151_33 Depth=1
	v_and_b32_e32 v2, 0xffff, v1
	v_or_b32_e32 v22, 0x10000, v1
	s_delay_alu instid0(VALU_DEP_2) | instskip(NEXT) | instid1(VALU_DEP_1)
	v_cmp_eq_u32_e64 s0, 0, v2
	v_cndmask_b32_e64 v22, v22, v1, s0
; %bb.79:                               ;   in Loop: Header=BB151_33 Depth=1
	s_or_b32 exec_lo, exec_lo, s7
	v_and_b32_e32 v38, 0xffff0000, v23
	v_lshlrev_b32_e32 v1, 16, v39
                                        ; implicit-def: $vgpr23
	s_delay_alu instid0(VALU_DEP_1) | instskip(NEXT) | instid1(VALU_DEP_1)
	v_mul_f32_e32 v1, v38, v1
	v_and_b32_e32 v2, 0x7f800000, v1
	s_delay_alu instid0(VALU_DEP_1) | instskip(NEXT) | instid1(VALU_DEP_1)
	v_cmp_ne_u32_e64 s0, 0x7f800000, v2
	s_and_saveexec_b32 s7, s0
	s_delay_alu instid0(SALU_CYCLE_1)
	s_xor_b32 s0, exec_lo, s7
; %bb.80:                               ;   in Loop: Header=BB151_33 Depth=1
	v_bfe_u32 v2, v1, 16, 1
	s_delay_alu instid0(VALU_DEP_1)
	v_add3_u32 v23, v1, v2, 0x7fff
                                        ; implicit-def: $vgpr1
; %bb.81:                               ;   in Loop: Header=BB151_33 Depth=1
	s_and_not1_saveexec_b32 s7, s0
; %bb.82:                               ;   in Loop: Header=BB151_33 Depth=1
	v_and_b32_e32 v2, 0xffff, v1
	v_or_b32_e32 v23, 0x10000, v1
	s_delay_alu instid0(VALU_DEP_2) | instskip(NEXT) | instid1(VALU_DEP_1)
	v_cmp_eq_u32_e64 s0, 0, v2
	v_cndmask_b32_e64 v23, v23, v1, s0
; %bb.83:                               ;   in Loop: Header=BB151_33 Depth=1
	s_or_b32 exec_lo, exec_lo, s7
	v_and_b32_e32 v39, 0xffff0000, v24
	v_lshlrev_b32_e32 v1, 16, v3
                                        ; implicit-def: $vgpr24
	s_delay_alu instid0(VALU_DEP_1) | instskip(NEXT) | instid1(VALU_DEP_1)
	v_mul_f32_e32 v1, v39, v1
	v_and_b32_e32 v2, 0x7f800000, v1
	s_delay_alu instid0(VALU_DEP_1) | instskip(NEXT) | instid1(VALU_DEP_1)
	v_cmp_ne_u32_e64 s0, 0x7f800000, v2
	s_and_saveexec_b32 s7, s0
	s_delay_alu instid0(SALU_CYCLE_1)
	s_xor_b32 s0, exec_lo, s7
; %bb.84:                               ;   in Loop: Header=BB151_33 Depth=1
	v_bfe_u32 v2, v1, 16, 1
	s_delay_alu instid0(VALU_DEP_1)
	v_add3_u32 v24, v1, v2, 0x7fff
                                        ; implicit-def: $vgpr1
; %bb.85:                               ;   in Loop: Header=BB151_33 Depth=1
	s_and_not1_saveexec_b32 s7, s0
; %bb.86:                               ;   in Loop: Header=BB151_33 Depth=1
	v_and_b32_e32 v2, 0xffff, v1
	v_or_b32_e32 v3, 0x10000, v1
	s_delay_alu instid0(VALU_DEP_2) | instskip(NEXT) | instid1(VALU_DEP_1)
	v_cmp_eq_u32_e64 s0, 0, v2
	v_cndmask_b32_e64 v24, v3, v1, s0
; %bb.87:                               ;   in Loop: Header=BB151_33 Depth=1
	s_or_b32 exec_lo, exec_lo, s7
	v_and_b32_e32 v40, 0xffff0000, v25
	v_lshlrev_b32_e32 v1, 16, v41
                                        ; implicit-def: $vgpr25
	s_delay_alu instid0(VALU_DEP_1) | instskip(NEXT) | instid1(VALU_DEP_1)
	v_mul_f32_e32 v1, v40, v1
	v_and_b32_e32 v2, 0x7f800000, v1
	s_delay_alu instid0(VALU_DEP_1) | instskip(NEXT) | instid1(VALU_DEP_1)
	v_cmp_ne_u32_e64 s0, 0x7f800000, v2
	s_and_saveexec_b32 s7, s0
	s_delay_alu instid0(SALU_CYCLE_1)
	s_xor_b32 s0, exec_lo, s7
; %bb.88:                               ;   in Loop: Header=BB151_33 Depth=1
	v_bfe_u32 v2, v1, 16, 1
	s_delay_alu instid0(VALU_DEP_1)
	v_add3_u32 v25, v1, v2, 0x7fff
                                        ; implicit-def: $vgpr1
; %bb.89:                               ;   in Loop: Header=BB151_33 Depth=1
	s_and_not1_saveexec_b32 s7, s0
; %bb.90:                               ;   in Loop: Header=BB151_33 Depth=1
	v_and_b32_e32 v2, 0xffff, v1
	v_or_b32_e32 v3, 0x10000, v1
	s_delay_alu instid0(VALU_DEP_2) | instskip(NEXT) | instid1(VALU_DEP_1)
	v_cmp_eq_u32_e64 s0, 0, v2
	v_cndmask_b32_e64 v25, v3, v1, s0
; %bb.91:                               ;   in Loop: Header=BB151_33 Depth=1
	s_or_b32 exec_lo, exec_lo, s7
	v_and_b32_e32 v41, 0xffff0000, v26
	v_lshlrev_b32_e32 v1, 16, v4
                                        ; implicit-def: $vgpr26
	s_delay_alu instid0(VALU_DEP_1) | instskip(NEXT) | instid1(VALU_DEP_1)
	v_mul_f32_e32 v1, v41, v1
	v_and_b32_e32 v2, 0x7f800000, v1
	s_delay_alu instid0(VALU_DEP_1) | instskip(NEXT) | instid1(VALU_DEP_1)
	v_cmp_ne_u32_e64 s0, 0x7f800000, v2
	s_and_saveexec_b32 s7, s0
	s_delay_alu instid0(SALU_CYCLE_1)
	s_xor_b32 s0, exec_lo, s7
; %bb.92:                               ;   in Loop: Header=BB151_33 Depth=1
	v_bfe_u32 v2, v1, 16, 1
	s_delay_alu instid0(VALU_DEP_1)
	v_add3_u32 v26, v1, v2, 0x7fff
                                        ; implicit-def: $vgpr1
; %bb.93:                               ;   in Loop: Header=BB151_33 Depth=1
	s_and_not1_saveexec_b32 s7, s0
; %bb.94:                               ;   in Loop: Header=BB151_33 Depth=1
	v_and_b32_e32 v2, 0xffff, v1
	v_or_b32_e32 v3, 0x10000, v1
	s_delay_alu instid0(VALU_DEP_2) | instskip(NEXT) | instid1(VALU_DEP_1)
	v_cmp_eq_u32_e64 s0, 0, v2
	v_cndmask_b32_e64 v26, v3, v1, s0
; %bb.95:                               ;   in Loop: Header=BB151_33 Depth=1
	s_or_b32 exec_lo, exec_lo, s7
	v_and_b32_e32 v42, 0xffff0000, v34
	v_lshlrev_b32_e32 v1, 16, v43
                                        ; implicit-def: $vgpr34
	s_delay_alu instid0(VALU_DEP_1) | instskip(NEXT) | instid1(VALU_DEP_1)
	v_mul_f32_e32 v1, v42, v1
	v_and_b32_e32 v2, 0x7f800000, v1
	s_delay_alu instid0(VALU_DEP_1) | instskip(NEXT) | instid1(VALU_DEP_1)
	v_cmp_ne_u32_e64 s0, 0x7f800000, v2
	s_and_saveexec_b32 s7, s0
	s_delay_alu instid0(SALU_CYCLE_1)
	s_xor_b32 s0, exec_lo, s7
; %bb.96:                               ;   in Loop: Header=BB151_33 Depth=1
	v_bfe_u32 v2, v1, 16, 1
	s_delay_alu instid0(VALU_DEP_1)
	v_add3_u32 v34, v1, v2, 0x7fff
                                        ; implicit-def: $vgpr1
; %bb.97:                               ;   in Loop: Header=BB151_33 Depth=1
	s_and_not1_saveexec_b32 s7, s0
; %bb.98:                               ;   in Loop: Header=BB151_33 Depth=1
	v_and_b32_e32 v2, 0xffff, v1
	v_or_b32_e32 v3, 0x10000, v1
	s_delay_alu instid0(VALU_DEP_2) | instskip(NEXT) | instid1(VALU_DEP_1)
	v_cmp_eq_u32_e64 s0, 0, v2
	v_cndmask_b32_e64 v34, v3, v1, s0
; %bb.99:                               ;   in Loop: Header=BB151_33 Depth=1
	s_or_b32 exec_lo, exec_lo, s7
	global_load_b128 v[1:4], v[5:6], off offset:512
	s_waitcnt vmcnt(0)
	v_lshrrev_b32_e32 v6, 16, v1
	v_lshrrev_b32_e32 v44, 16, v2
	;; [unrolled: 1-line block ×4, first 2 shown]
	s_and_saveexec_b32 s0, vcc_lo
	s_cbranch_execz .LBB151_101
; %bb.100:                              ;   in Loop: Header=BB151_33 Depth=1
	v_cmp_gt_i32_e32 vcc_lo, s15, v27
	v_cndmask_b32_e32 v1, 0, v1, vcc_lo
	v_cmp_gt_i32_e32 vcc_lo, s15, v33
	v_cndmask_b32_e32 v6, 0, v6, vcc_lo
	;; [unrolled: 2-line block ×8, first 2 shown]
.LBB151_101:                            ;   in Loop: Header=BB151_33 Depth=1
	s_or_b32 exec_lo, exec_lo, s0
	v_lshlrev_b32_e32 v1, 16, v1
	s_delay_alu instid0(VALU_DEP_1) | instskip(NEXT) | instid1(VALU_DEP_1)
	v_mul_f32_e32 v27, v35, v1
	v_and_b32_e32 v1, 0x7f800000, v27
	s_delay_alu instid0(VALU_DEP_1) | instskip(SKIP_1) | instid1(SALU_CYCLE_1)
	v_cmp_ne_u32_e32 vcc_lo, 0x7f800000, v1
                                        ; implicit-def: $vgpr1
	s_and_saveexec_b32 s0, vcc_lo
	s_xor_b32 s0, exec_lo, s0
; %bb.102:                              ;   in Loop: Header=BB151_33 Depth=1
	v_bfe_u32 v1, v27, 16, 1
	s_delay_alu instid0(VALU_DEP_1)
	v_add3_u32 v1, v27, v1, 0x7fff
                                        ; implicit-def: $vgpr27
; %bb.103:                              ;   in Loop: Header=BB151_33 Depth=1
	s_and_not1_saveexec_b32 s0, s0
; %bb.104:                              ;   in Loop: Header=BB151_33 Depth=1
	v_and_b32_e32 v1, 0xffff, v27
	v_or_b32_e32 v28, 0x10000, v27
	s_delay_alu instid0(VALU_DEP_2) | instskip(NEXT) | instid1(VALU_DEP_2)
	v_cmp_eq_u32_e32 vcc_lo, 0, v1
	v_cndmask_b32_e32 v1, v28, v27, vcc_lo
; %bb.105:                              ;   in Loop: Header=BB151_33 Depth=1
	s_or_b32 exec_lo, exec_lo, s0
	v_lshlrev_b32_e32 v6, 16, v6
	s_delay_alu instid0(VALU_DEP_1) | instskip(NEXT) | instid1(VALU_DEP_1)
	v_mul_f32_e32 v27, v36, v6
	v_and_b32_e32 v6, 0x7f800000, v27
	s_delay_alu instid0(VALU_DEP_1) | instskip(SKIP_1) | instid1(SALU_CYCLE_1)
	v_cmp_ne_u32_e32 vcc_lo, 0x7f800000, v6
                                        ; implicit-def: $vgpr6
	s_and_saveexec_b32 s0, vcc_lo
	s_xor_b32 s0, exec_lo, s0
; %bb.106:                              ;   in Loop: Header=BB151_33 Depth=1
	v_bfe_u32 v6, v27, 16, 1
	s_delay_alu instid0(VALU_DEP_1)
	v_add3_u32 v6, v27, v6, 0x7fff
                                        ; implicit-def: $vgpr27
; %bb.107:                              ;   in Loop: Header=BB151_33 Depth=1
	s_and_not1_saveexec_b32 s0, s0
; %bb.108:                              ;   in Loop: Header=BB151_33 Depth=1
	v_and_b32_e32 v6, 0xffff, v27
	v_or_b32_e32 v28, 0x10000, v27
	s_delay_alu instid0(VALU_DEP_2) | instskip(NEXT) | instid1(VALU_DEP_2)
	v_cmp_eq_u32_e32 vcc_lo, 0, v6
	v_cndmask_b32_e32 v6, v28, v27, vcc_lo
; %bb.109:                              ;   in Loop: Header=BB151_33 Depth=1
	s_or_b32 exec_lo, exec_lo, s0
	v_lshlrev_b32_e32 v2, 16, v2
	s_delay_alu instid0(VALU_DEP_1) | instskip(NEXT) | instid1(VALU_DEP_1)
	v_mul_f32_e32 v27, v37, v2
	v_and_b32_e32 v2, 0x7f800000, v27
	s_delay_alu instid0(VALU_DEP_1) | instskip(SKIP_1) | instid1(SALU_CYCLE_1)
	v_cmp_ne_u32_e32 vcc_lo, 0x7f800000, v2
                                        ; implicit-def: $vgpr2
	s_and_saveexec_b32 s0, vcc_lo
	s_xor_b32 s0, exec_lo, s0
; %bb.110:                              ;   in Loop: Header=BB151_33 Depth=1
	v_bfe_u32 v2, v27, 16, 1
	s_delay_alu instid0(VALU_DEP_1)
	v_add3_u32 v2, v27, v2, 0x7fff
                                        ; implicit-def: $vgpr27
; %bb.111:                              ;   in Loop: Header=BB151_33 Depth=1
	s_and_not1_saveexec_b32 s0, s0
; %bb.112:                              ;   in Loop: Header=BB151_33 Depth=1
	v_and_b32_e32 v2, 0xffff, v27
	v_or_b32_e32 v28, 0x10000, v27
	s_delay_alu instid0(VALU_DEP_2) | instskip(NEXT) | instid1(VALU_DEP_2)
	v_cmp_eq_u32_e32 vcc_lo, 0, v2
	v_cndmask_b32_e32 v2, v28, v27, vcc_lo
; %bb.113:                              ;   in Loop: Header=BB151_33 Depth=1
	s_or_b32 exec_lo, exec_lo, s0
	v_lshlrev_b32_e32 v27, 16, v44
	s_delay_alu instid0(VALU_DEP_1) | instskip(NEXT) | instid1(VALU_DEP_1)
	v_mul_f32_e32 v28, v38, v27
	v_and_b32_e32 v27, 0x7f800000, v28
	s_delay_alu instid0(VALU_DEP_1) | instskip(SKIP_1) | instid1(SALU_CYCLE_1)
	v_cmp_ne_u32_e32 vcc_lo, 0x7f800000, v27
                                        ; implicit-def: $vgpr27
	s_and_saveexec_b32 s0, vcc_lo
	s_xor_b32 s0, exec_lo, s0
; %bb.114:                              ;   in Loop: Header=BB151_33 Depth=1
	v_bfe_u32 v27, v28, 16, 1
	s_delay_alu instid0(VALU_DEP_1)
	v_add3_u32 v27, v28, v27, 0x7fff
                                        ; implicit-def: $vgpr28
; %bb.115:                              ;   in Loop: Header=BB151_33 Depth=1
	s_and_not1_saveexec_b32 s0, s0
; %bb.116:                              ;   in Loop: Header=BB151_33 Depth=1
	v_and_b32_e32 v27, 0xffff, v28
	v_or_b32_e32 v29, 0x10000, v28
	s_delay_alu instid0(VALU_DEP_2) | instskip(NEXT) | instid1(VALU_DEP_2)
	v_cmp_eq_u32_e32 vcc_lo, 0, v27
	v_cndmask_b32_e32 v27, v29, v28, vcc_lo
; %bb.117:                              ;   in Loop: Header=BB151_33 Depth=1
	s_or_b32 exec_lo, exec_lo, s0
	v_lshlrev_b32_e32 v3, 16, v3
	s_delay_alu instid0(VALU_DEP_1) | instskip(NEXT) | instid1(VALU_DEP_1)
	v_mul_f32_e32 v28, v39, v3
	v_and_b32_e32 v3, 0x7f800000, v28
	s_delay_alu instid0(VALU_DEP_1) | instskip(SKIP_1) | instid1(SALU_CYCLE_1)
	v_cmp_ne_u32_e32 vcc_lo, 0x7f800000, v3
                                        ; implicit-def: $vgpr3
	s_and_saveexec_b32 s0, vcc_lo
	s_xor_b32 s0, exec_lo, s0
; %bb.118:                              ;   in Loop: Header=BB151_33 Depth=1
	v_bfe_u32 v3, v28, 16, 1
	s_delay_alu instid0(VALU_DEP_1)
	v_add3_u32 v3, v28, v3, 0x7fff
                                        ; implicit-def: $vgpr28
; %bb.119:                              ;   in Loop: Header=BB151_33 Depth=1
	s_and_not1_saveexec_b32 s0, s0
; %bb.120:                              ;   in Loop: Header=BB151_33 Depth=1
	v_and_b32_e32 v3, 0xffff, v28
	v_or_b32_e32 v29, 0x10000, v28
	s_delay_alu instid0(VALU_DEP_2) | instskip(NEXT) | instid1(VALU_DEP_2)
	v_cmp_eq_u32_e32 vcc_lo, 0, v3
	v_cndmask_b32_e32 v3, v29, v28, vcc_lo
; %bb.121:                              ;   in Loop: Header=BB151_33 Depth=1
	s_or_b32 exec_lo, exec_lo, s0
	v_lshlrev_b32_e32 v28, 16, v43
	s_delay_alu instid0(VALU_DEP_1) | instskip(NEXT) | instid1(VALU_DEP_1)
	v_mul_f32_e32 v29, v40, v28
	v_and_b32_e32 v28, 0x7f800000, v29
	s_delay_alu instid0(VALU_DEP_1) | instskip(SKIP_1) | instid1(SALU_CYCLE_1)
	v_cmp_ne_u32_e32 vcc_lo, 0x7f800000, v28
                                        ; implicit-def: $vgpr28
	s_and_saveexec_b32 s0, vcc_lo
	s_xor_b32 s0, exec_lo, s0
; %bb.122:                              ;   in Loop: Header=BB151_33 Depth=1
	v_bfe_u32 v28, v29, 16, 1
	s_delay_alu instid0(VALU_DEP_1)
	v_add3_u32 v28, v29, v28, 0x7fff
                                        ; implicit-def: $vgpr29
; %bb.123:                              ;   in Loop: Header=BB151_33 Depth=1
	s_and_not1_saveexec_b32 s0, s0
; %bb.124:                              ;   in Loop: Header=BB151_33 Depth=1
	v_and_b32_e32 v28, 0xffff, v29
	v_or_b32_e32 v30, 0x10000, v29
	s_delay_alu instid0(VALU_DEP_2) | instskip(NEXT) | instid1(VALU_DEP_2)
	v_cmp_eq_u32_e32 vcc_lo, 0, v28
	v_cndmask_b32_e32 v28, v30, v29, vcc_lo
; %bb.125:                              ;   in Loop: Header=BB151_33 Depth=1
	s_or_b32 exec_lo, exec_lo, s0
	v_lshlrev_b32_e32 v4, 16, v4
	s_delay_alu instid0(VALU_DEP_1) | instskip(NEXT) | instid1(VALU_DEP_1)
	v_mul_f32_e32 v29, v41, v4
	v_and_b32_e32 v4, 0x7f800000, v29
	s_delay_alu instid0(VALU_DEP_1) | instskip(SKIP_1) | instid1(SALU_CYCLE_1)
	v_cmp_ne_u32_e32 vcc_lo, 0x7f800000, v4
                                        ; implicit-def: $vgpr4
	s_and_saveexec_b32 s0, vcc_lo
	s_xor_b32 s0, exec_lo, s0
; %bb.126:                              ;   in Loop: Header=BB151_33 Depth=1
	v_bfe_u32 v4, v29, 16, 1
	s_delay_alu instid0(VALU_DEP_1)
	v_add3_u32 v4, v29, v4, 0x7fff
                                        ; implicit-def: $vgpr29
; %bb.127:                              ;   in Loop: Header=BB151_33 Depth=1
	s_and_not1_saveexec_b32 s0, s0
; %bb.128:                              ;   in Loop: Header=BB151_33 Depth=1
	v_and_b32_e32 v4, 0xffff, v29
	v_or_b32_e32 v30, 0x10000, v29
	s_delay_alu instid0(VALU_DEP_2) | instskip(NEXT) | instid1(VALU_DEP_2)
	v_cmp_eq_u32_e32 vcc_lo, 0, v4
	v_cndmask_b32_e32 v4, v30, v29, vcc_lo
; %bb.129:                              ;   in Loop: Header=BB151_33 Depth=1
	s_or_b32 exec_lo, exec_lo, s0
	v_lshlrev_b32_e32 v5, 16, v5
	s_delay_alu instid0(VALU_DEP_1) | instskip(NEXT) | instid1(VALU_DEP_1)
	v_mul_f32_e32 v29, v42, v5
	v_and_b32_e32 v5, 0x7f800000, v29
	s_delay_alu instid0(VALU_DEP_1) | instskip(SKIP_1) | instid1(SALU_CYCLE_1)
	v_cmp_ne_u32_e32 vcc_lo, 0x7f800000, v5
                                        ; implicit-def: $vgpr5
	s_and_saveexec_b32 s0, vcc_lo
	s_xor_b32 s0, exec_lo, s0
; %bb.130:                              ;   in Loop: Header=BB151_33 Depth=1
	v_bfe_u32 v5, v29, 16, 1
	s_delay_alu instid0(VALU_DEP_1)
	v_add3_u32 v5, v29, v5, 0x7fff
                                        ; implicit-def: $vgpr29
; %bb.131:                              ;   in Loop: Header=BB151_33 Depth=1
	s_and_not1_saveexec_b32 s0, s0
	s_cbranch_execz .LBB151_32
; %bb.132:                              ;   in Loop: Header=BB151_33 Depth=1
	v_and_b32_e32 v5, 0xffff, v29
	v_or_b32_e32 v30, 0x10000, v29
	s_delay_alu instid0(VALU_DEP_2) | instskip(NEXT) | instid1(VALU_DEP_2)
	v_cmp_eq_u32_e32 vcc_lo, 0, v5
	v_cndmask_b32_e32 v5, v30, v29, vcc_lo
	s_branch .LBB151_32
.LBB151_133:
	s_or_b32 exec_lo, exec_lo, s4
.LBB151_134:
	s_delay_alu instid0(SALU_CYCLE_1)
	s_or_b32 exec_lo, exec_lo, s1
	v_and_b32_e32 v2, 0x3c0, v0
	v_lshl_add_u32 v1, v14, 8, 0xa0
	s_mov_b32 s0, exec_lo
	s_waitcnt_vscnt null, 0x0
	s_barrier
	buffer_gl0_inv
	v_cmpx_eq_u32_e32 64, v2
	s_cbranch_execz .LBB151_136
; %bb.135:
	v_add3_u32 v2, v1, v17, 0xfffffe00
	ds_store_2addr_b32 v2, v18, v11 offset1:32
.LBB151_136:
	s_or_b32 exec_lo, exec_lo, s0
	v_lshl_add_u32 v2, v15, 2, v1
	s_mov_b32 s0, exec_lo
	s_waitcnt lgkmcnt(0)
	s_barrier
	buffer_gl0_inv
	v_cmpx_gt_u32_e32 64, v0
	s_cbranch_execz .LBB151_138
; %bb.137:
	v_lshl_or_b32 v3, v0, 2, 0x80
	s_delay_alu instid0(VALU_DEP_1)
	v_add_nc_u32_e32 v3, v1, v3
	ds_load_b32 v4, v2
	ds_load_b32 v3, v3
	s_waitcnt lgkmcnt(0)
	v_dual_add_f32 v18, v18, v4 :: v_dual_add_f32 v11, v11, v3
.LBB151_138:
	s_or_b32 exec_lo, exec_lo, s0
	v_and_b32_e32 v3, 0x3e0, v0
	s_mov_b32 s0, exec_lo
	s_barrier
	buffer_gl0_inv
	v_cmpx_eq_u32_e32 32, v3
	s_cbranch_execz .LBB151_140
; %bb.139:
	v_lshl_add_u32 v3, v15, 2, 0xa0
	ds_store_b32 v3, v18
	ds_store_b32 v16, v11
.LBB151_140:
	s_or_b32 exec_lo, exec_lo, s0
	s_waitcnt lgkmcnt(0)
	s_barrier
	buffer_gl0_inv
	s_and_saveexec_b32 s0, s2
	s_cbranch_execz .LBB151_142
; %bb.141:
	v_lshl_add_u32 v1, v0, 2, v1
	ds_load_b32 v2, v2
	ds_load_b32 v1, v1 offset:128
	s_waitcnt lgkmcnt(0)
	v_dual_add_f32 v18, v18, v2 :: v_dual_add_f32 v11, v11, v1
.LBB151_142:
	s_or_b32 exec_lo, exec_lo, s0
	s_barrier
	buffer_gl0_inv
	s_and_saveexec_b32 s0, s2
	s_cbranch_execz .LBB151_152
; %bb.143:
	v_and_b32_e32 v1, 0x7f800000, v18
	s_mov_b32 s0, exec_lo
                                        ; implicit-def: $vgpr2
	s_delay_alu instid0(VALU_DEP_1)
	v_cmpx_ne_u32_e32 0x7f800000, v1
	s_xor_b32 s0, exec_lo, s0
; %bb.144:
	v_bfe_u32 v1, v18, 16, 1
	s_delay_alu instid0(VALU_DEP_1)
	v_add3_u32 v2, v18, v1, 0x7fff
; %bb.145:
	s_and_not1_saveexec_b32 s0, s0
; %bb.146:
	v_and_b32_e32 v1, 0xffff, v18
	v_or_b32_e32 v2, 0x10000, v18
	s_delay_alu instid0(VALU_DEP_2) | instskip(NEXT) | instid1(VALU_DEP_2)
	v_cmp_eq_u32_e32 vcc_lo, 0, v1
	v_cndmask_b32_e32 v2, v2, v18, vcc_lo
; %bb.147:
	s_or_b32 exec_lo, exec_lo, s0
	s_lshl_b32 s0, s6, 6
	s_mul_i32 s2, s13, s12
	s_ashr_i32 s1, s0, 31
	v_lshlrev_b32_e32 v3, 1, v0
	s_lshl_b64 s[0:1], s[0:1], 1
	v_and_b32_e32 v4, 0x7f800000, v11
	s_add_u32 s4, s18, s0
	s_addc_u32 s5, s19, s1
	s_ashr_i32 s3, s2, 31
	s_delay_alu instid0(SALU_CYCLE_1) | instskip(NEXT) | instid1(SALU_CYCLE_1)
	s_lshl_b64 s[0:1], s[2:3], 1
	s_add_u32 s2, s4, s0
	s_addc_u32 s3, s5, s1
	s_ashr_i32 s17, s16, 31
	s_delay_alu instid0(SALU_CYCLE_1) | instskip(NEXT) | instid1(SALU_CYCLE_1)
	s_lshl_b64 s[0:1], s[16:17], 1
	s_add_u32 s0, s2, s0
	s_addc_u32 s1, s3, s1
	v_add_co_u32 v0, s2, s0, v3
	s_delay_alu instid0(VALU_DEP_1)
	v_add_co_ci_u32_e64 v1, null, s1, 0, s2
	global_store_d16_hi_b16 v3, v2, s[0:1]
	s_mov_b32 s0, exec_lo
                                        ; implicit-def: $vgpr2
	v_cmpx_ne_u32_e32 0x7f800000, v4
	s_xor_b32 s0, exec_lo, s0
; %bb.148:
	v_bfe_u32 v2, v11, 16, 1
	s_delay_alu instid0(VALU_DEP_1)
	v_add3_u32 v2, v11, v2, 0x7fff
                                        ; implicit-def: $vgpr10_vgpr11
; %bb.149:
	s_and_not1_saveexec_b32 s0, s0
; %bb.150:
	v_and_b32_e32 v2, 0xffff, v11
	v_or_b32_e32 v3, 0x10000, v11
	s_delay_alu instid0(VALU_DEP_2) | instskip(NEXT) | instid1(VALU_DEP_2)
	v_cmp_eq_u32_e32 vcc_lo, 0, v2
	v_cndmask_b32_e32 v2, v3, v11, vcc_lo
; %bb.151:
	s_or_b32 exec_lo, exec_lo, s0
	global_store_d16_hi_b16 v[0:1], v2, off offset:64
.LBB151_152:
	s_nop 0
	s_sendmsg sendmsg(MSG_DEALLOC_VGPRS)
	s_endpgm
	.section	.rodata,"a",@progbits
	.p2align	6, 0x0
	.amdhsa_kernel _ZN4vllm25paged_attention_v2_kernelI14__hip_bfloat16S1_Li64ELi8ELi128ELNS_18Fp8KVCacheDataTypeE0ELb0ELi512EEEvPfS3_PT_PKS4_PKT0_SA_ifPKiSC_iPKfiiiSE_SE_iiiii
		.amdhsa_group_segment_fixed_size 160
		.amdhsa_private_segment_fixed_size 0
		.amdhsa_kernarg_size 400
		.amdhsa_user_sgpr_count 13
		.amdhsa_user_sgpr_dispatch_ptr 0
		.amdhsa_user_sgpr_queue_ptr 0
		.amdhsa_user_sgpr_kernarg_segment_ptr 1
		.amdhsa_user_sgpr_dispatch_id 0
		.amdhsa_user_sgpr_private_segment_size 0
		.amdhsa_wavefront_size32 1
		.amdhsa_uses_dynamic_stack 0
		.amdhsa_enable_private_segment 0
		.amdhsa_system_sgpr_workgroup_id_x 1
		.amdhsa_system_sgpr_workgroup_id_y 1
		.amdhsa_system_sgpr_workgroup_id_z 1
		.amdhsa_system_sgpr_workgroup_info 0
		.amdhsa_system_vgpr_workitem_id 0
		.amdhsa_next_free_vgpr 45
		.amdhsa_next_free_sgpr 40
		.amdhsa_reserve_vcc 1
		.amdhsa_float_round_mode_32 0
		.amdhsa_float_round_mode_16_64 0
		.amdhsa_float_denorm_mode_32 3
		.amdhsa_float_denorm_mode_16_64 3
		.amdhsa_dx10_clamp 1
		.amdhsa_ieee_mode 1
		.amdhsa_fp16_overflow 0
		.amdhsa_workgroup_processor_mode 1
		.amdhsa_memory_ordered 1
		.amdhsa_forward_progress 0
		.amdhsa_shared_vgpr_count 0
		.amdhsa_exception_fp_ieee_invalid_op 0
		.amdhsa_exception_fp_denorm_src 0
		.amdhsa_exception_fp_ieee_div_zero 0
		.amdhsa_exception_fp_ieee_overflow 0
		.amdhsa_exception_fp_ieee_underflow 0
		.amdhsa_exception_fp_ieee_inexact 0
		.amdhsa_exception_int_div_zero 0
	.end_amdhsa_kernel
	.section	.text._ZN4vllm25paged_attention_v2_kernelI14__hip_bfloat16S1_Li64ELi8ELi128ELNS_18Fp8KVCacheDataTypeE0ELb0ELi512EEEvPfS3_PT_PKS4_PKT0_SA_ifPKiSC_iPKfiiiSE_SE_iiiii,"axG",@progbits,_ZN4vllm25paged_attention_v2_kernelI14__hip_bfloat16S1_Li64ELi8ELi128ELNS_18Fp8KVCacheDataTypeE0ELb0ELi512EEEvPfS3_PT_PKS4_PKT0_SA_ifPKiSC_iPKfiiiSE_SE_iiiii,comdat
.Lfunc_end151:
	.size	_ZN4vllm25paged_attention_v2_kernelI14__hip_bfloat16S1_Li64ELi8ELi128ELNS_18Fp8KVCacheDataTypeE0ELb0ELi512EEEvPfS3_PT_PKS4_PKT0_SA_ifPKiSC_iPKfiiiSE_SE_iiiii, .Lfunc_end151-_ZN4vllm25paged_attention_v2_kernelI14__hip_bfloat16S1_Li64ELi8ELi128ELNS_18Fp8KVCacheDataTypeE0ELb0ELi512EEEvPfS3_PT_PKS4_PKT0_SA_ifPKiSC_iPKfiiiSE_SE_iiiii
                                        ; -- End function
	.section	.AMDGPU.csdata,"",@progbits
; Kernel info:
; codeLenInByte = 6532
; NumSgprs: 42
; NumVgprs: 45
; ScratchSize: 0
; MemoryBound: 0
; FloatMode: 240
; IeeeMode: 1
; LDSByteSize: 160 bytes/workgroup (compile time only)
; SGPRBlocks: 5
; VGPRBlocks: 5
; NumSGPRsForWavesPerEU: 42
; NumVGPRsForWavesPerEU: 45
; Occupancy: 16
; WaveLimiterHint : 1
; COMPUTE_PGM_RSRC2:SCRATCH_EN: 0
; COMPUTE_PGM_RSRC2:USER_SGPR: 13
; COMPUTE_PGM_RSRC2:TRAP_HANDLER: 0
; COMPUTE_PGM_RSRC2:TGID_X_EN: 1
; COMPUTE_PGM_RSRC2:TGID_Y_EN: 1
; COMPUTE_PGM_RSRC2:TGID_Z_EN: 1
; COMPUTE_PGM_RSRC2:TIDIG_COMP_CNT: 0
	.section	.text._ZN4vllm25paged_attention_v2_kernelI14__hip_bfloat16S1_Li80ELi8ELi128ELNS_18Fp8KVCacheDataTypeE0ELb0ELi512EEEvPfS3_PT_PKS4_PKT0_SA_ifPKiSC_iPKfiiiSE_SE_iiiii,"axG",@progbits,_ZN4vllm25paged_attention_v2_kernelI14__hip_bfloat16S1_Li80ELi8ELi128ELNS_18Fp8KVCacheDataTypeE0ELb0ELi512EEEvPfS3_PT_PKS4_PKT0_SA_ifPKiSC_iPKfiiiSE_SE_iiiii,comdat
	.protected	_ZN4vllm25paged_attention_v2_kernelI14__hip_bfloat16S1_Li80ELi8ELi128ELNS_18Fp8KVCacheDataTypeE0ELb0ELi512EEEvPfS3_PT_PKS4_PKT0_SA_ifPKiSC_iPKfiiiSE_SE_iiiii ; -- Begin function _ZN4vllm25paged_attention_v2_kernelI14__hip_bfloat16S1_Li80ELi8ELi128ELNS_18Fp8KVCacheDataTypeE0ELb0ELi512EEEvPfS3_PT_PKS4_PKT0_SA_ifPKiSC_iPKfiiiSE_SE_iiiii
	.globl	_ZN4vllm25paged_attention_v2_kernelI14__hip_bfloat16S1_Li80ELi8ELi128ELNS_18Fp8KVCacheDataTypeE0ELb0ELi512EEEvPfS3_PT_PKS4_PKT0_SA_ifPKiSC_iPKfiiiSE_SE_iiiii
	.p2align	8
	.type	_ZN4vllm25paged_attention_v2_kernelI14__hip_bfloat16S1_Li80ELi8ELi128ELNS_18Fp8KVCacheDataTypeE0ELb0ELi512EEEvPfS3_PT_PKS4_PKT0_SA_ifPKiSC_iPKfiiiSE_SE_iiiii,@function
_ZN4vllm25paged_attention_v2_kernelI14__hip_bfloat16S1_Li80ELi8ELi128ELNS_18Fp8KVCacheDataTypeE0ELb0ELi512EEEvPfS3_PT_PKS4_PKT0_SA_ifPKiSC_iPKfiiiSE_SE_iiiii: ; @_ZN4vllm25paged_attention_v2_kernelI14__hip_bfloat16S1_Li80ELi8ELi128ELNS_18Fp8KVCacheDataTypeE0ELb0ELi512EEEvPfS3_PT_PKS4_PKT0_SA_ifPKiSC_iPKfiiiSE_SE_iiiii
; %bb.0:
	s_load_b64 s[2:3], s[0:1], 0x40
	s_mov_b32 s16, s15
	s_ashr_i32 s15, s14, 31
	s_delay_alu instid0(SALU_CYCLE_1)
	s_lshl_b64 s[4:5], s[14:15], 2
	s_waitcnt lgkmcnt(0)
	s_add_u32 s2, s2, s4
	s_addc_u32 s3, s3, s5
	s_lshl_b32 s33, s16, 9
	s_load_b32 s15, s[2:3], 0x0
	s_waitcnt lgkmcnt(0)
	s_cmp_ge_i32 s33, s15
	s_cbranch_scc1 .LBB152_199
; %bb.1:
	s_mov_b32 s22, s13
	s_clause 0x1
	s_load_b32 s17, s[0:1], 0x90
	s_load_b64 s[12:13], s[0:1], 0x30
	s_waitcnt lgkmcnt(0)
	s_abs_i32 s5, s17
	s_abs_i32 s2, s12
	s_delay_alu instid0(SALU_CYCLE_1) | instskip(SKIP_1) | instid1(VALU_DEP_1)
	v_cvt_f32_u32_e32 v1, s2
	s_sub_i32 s4, 0, s2
	v_rcp_iflag_f32_e32 v1, v1
	s_waitcnt_depctr 0xfff
	v_mul_f32_e32 v1, 0x4f7ffffe, v1
	s_delay_alu instid0(VALU_DEP_1) | instskip(NEXT) | instid1(VALU_DEP_1)
	v_cvt_u32_f32_e32 v1, v1
	v_readfirstlane_b32 s3, v1
	s_delay_alu instid0(VALU_DEP_1) | instskip(NEXT) | instid1(SALU_CYCLE_1)
	s_mul_i32 s4, s4, s3
	s_mul_hi_u32 s4, s3, s4
	s_delay_alu instid0(SALU_CYCLE_1)
	s_add_i32 s3, s3, s4
	s_xor_b32 s4, s17, s12
	s_mul_hi_u32 s3, s5, s3
	s_ashr_i32 s4, s4, 31
	s_mul_i32 s6, s3, s2
	s_mov_b32 s12, 0
	s_sub_i32 s5, s5, s6
	s_add_i32 s6, s3, 1
	s_sub_i32 s7, s5, s2
	s_cmp_ge_u32 s5, s2
	s_cselect_b32 s3, s6, s3
	s_cselect_b32 s5, s7, s5
	s_add_i32 s6, s3, 1
	s_cmp_ge_u32 s5, s2
	s_cselect_b32 s2, s6, s3
	s_abs_i32 s10, s22
	s_xor_b32 s2, s2, s4
	s_delay_alu instid0(SALU_CYCLE_1) | instskip(SKIP_2) | instid1(SALU_CYCLE_1)
	s_sub_i32 s11, s2, s4
	s_load_b64 s[2:3], s[0:1], 0x50
	s_abs_i32 s8, s11
	v_cvt_f32_u32_e32 v1, s8
	s_sub_i32 s5, 0, s8
	s_delay_alu instid0(VALU_DEP_1) | instskip(SKIP_2) | instid1(VALU_DEP_1)
	v_rcp_iflag_f32_e32 v1, v1
	s_waitcnt_depctr 0xfff
	v_mul_f32_e32 v1, 0x4f7ffffe, v1
	v_cvt_u32_f32_e32 v1, v1
	s_delay_alu instid0(VALU_DEP_1) | instskip(NEXT) | instid1(VALU_DEP_1)
	v_readfirstlane_b32 s4, v1
	s_mul_i32 s5, s5, s4
	s_delay_alu instid0(SALU_CYCLE_1) | instskip(NEXT) | instid1(SALU_CYCLE_1)
	s_mul_hi_u32 s5, s4, s5
	s_add_i32 s4, s4, s5
	s_waitcnt lgkmcnt(0)
	s_cmp_eq_u64 s[2:3], 0
	s_mul_hi_u32 s9, s10, s4
	s_cbranch_scc1 .LBB152_3
; %bb.2:
	s_ashr_i32 s23, s22, 31
	s_delay_alu instid0(SALU_CYCLE_1) | instskip(NEXT) | instid1(SALU_CYCLE_1)
	s_lshl_b64 s[4:5], s[22:23], 2
	s_add_u32 s2, s2, s4
	s_addc_u32 s3, s3, s5
	s_load_b32 s12, s[2:3], 0x0
.LBB152_3:
	s_load_b128 s[4:7], s[0:1], 0x58
	v_and_b32_e32 v1, 3, v0
	v_lshlrev_b32_e32 v2, 2, v0
	s_ashr_i32 s2, s22, 31
	s_ashr_i32 s3, s11, 31
	s_mul_i32 s18, s22, 0x50
	s_waitcnt lgkmcnt(0)
	s_mov_b32 s7, exec_lo
	v_cmpx_gt_u32_e32 40, v0
	s_cbranch_execz .LBB152_5
; %bb.4:
	s_load_b64 s[20:21], s[0:1], 0x18
	s_mul_i32 s24, s14, s4
	v_and_b32_e32 v4, 0x3fc, v0
	s_ashr_i32 s25, s24, 31
	s_delay_alu instid0(SALU_CYCLE_1) | instskip(NEXT) | instid1(VALU_DEP_1)
	s_lshl_b64 s[24:25], s[24:25], 1
	v_mad_u32_u24 v4, v1, 40, v4
	s_waitcnt lgkmcnt(0)
	s_add_u32 s4, s20, s24
	s_addc_u32 s11, s21, s25
	s_ashr_i32 s19, s18, 31
	s_delay_alu instid0(SALU_CYCLE_1) | instskip(NEXT) | instid1(SALU_CYCLE_1)
	s_lshl_b64 s[20:21], s[18:19], 1
	s_add_u32 s20, s4, s20
	s_addc_u32 s21, s11, s21
	global_load_b32 v3, v2, s[20:21]
	s_waitcnt vmcnt(0)
	ds_store_b32 v4, v3
.LBB152_5:
	s_or_b32 exec_lo, exec_lo, s7
	s_add_i32 s4, s15, 7
	s_lshl_b32 s7, s16, 6
	s_ashr_i32 s11, s4, 31
	s_xor_b32 s2, s2, s3
	s_lshr_b32 s11, s11, 29
	s_add_i32 s3, s7, 64
	s_add_i32 s4, s4, s11
	s_clause 0x1
	s_load_b64 s[24:25], s[0:1], 0x38
	s_load_b32 s11, s[0:1], 0x48
	s_ashr_i32 s23, s4, 3
	s_mul_i32 s4, s9, s8
	s_min_i32 s19, s3, s23
	s_sub_i32 s3, s10, s4
	s_add_i32 s4, s9, 1
	s_sub_i32 s10, s3, s8
	s_cmp_ge_u32 s3, s8
	v_lshrrev_b32_e32 v15, 5, v0
	s_cselect_b32 s4, s4, s9
	s_cselect_b32 s3, s10, s3
	s_add_i32 s9, s4, 1
	s_cmp_ge_u32 s3, s8
	v_or_b32_e32 v12, s7, v15
	s_cselect_b32 s3, s9, s4
	v_mbcnt_lo_u32_b32 v4, -1, 0
	s_xor_b32 s3, s3, s2
	s_mov_b32 s4, exec_lo
	s_sub_i32 s3, s3, s2
	v_cmp_gt_i32_e64 s2, s19, v12
	s_waitcnt lgkmcnt(0)
	s_mul_i32 s26, s14, s11
	s_delay_alu instid0(SALU_CYCLE_1)
	s_ashr_i32 s27, s26, 31
	s_barrier
	buffer_gl0_inv
                                        ; implicit-def: $sgpr30
                                        ; implicit-def: $vgpr5
	v_cmpx_le_i32_e64 s19, v12
	s_xor_b32 s4, exec_lo, s4
; %bb.6:
	v_mbcnt_lo_u32_b32 v4, -1, 0
	v_mov_b32_e32 v5, 32
	s_mov_b32 s30, 0xff7fffff
                                        ; implicit-def: $vgpr2
                                        ; implicit-def: $vgpr1
; %bb.7:
	s_or_saveexec_b32 s34, s4
	s_clause 0x3
	s_load_b128 s[8:11], s[0:1], 0x0
	s_load_b64 s[20:21], s[0:1], 0x10
	s_load_b64 s[28:29], s[0:1], 0x28
	s_load_b32 s4, s[0:1], 0x98
	v_dual_mov_b32 v28, s30 :: v_dual_lshlrev_b32 v3, 3, v15
	v_ashrrev_i32_e32 v13, 31, v12
	s_mul_i32 s30, s3, s6
	s_xor_b32 exec_lo, exec_lo, s34
	s_cbranch_execz .LBB152_13
; %bb.8:
	s_load_b64 s[0:1], s[0:1], 0x20
	v_mul_u32_u24_e32 v5, 40, v1
	v_bfe_u32 v28, v0, 2, 3
	s_ashr_i32 s31, s30, 31
	v_and_b32_e32 v2, 12, v2
	s_lshl_b64 s[36:37], s[30:31], 1
	ds_load_2addr_b64 v[16:19], v5 offset1:1
	ds_load_2addr_b64 v[23:26], v5 offset0:2 offset1:3
	v_lshlrev_b32_e32 v6, 4, v28
	ds_load_b64 v[30:31], v5 offset:32
	v_lshlrev_b32_e32 v34, 2, v28
	s_mov_b32 s35, s5
	s_mov_b32 s31, 0
	v_mov_b32_e32 v36, v12
	s_delay_alu instid0(VALU_DEP_2)
	v_lshl_or_b32 v35, v15, 5, v34
	v_add3_u32 v34, s33, v3, v28
	v_mov_b32_e32 v28, 0xff7fffff
	s_waitcnt lgkmcnt(0)
	s_add_u32 s0, s0, s36
	s_addc_u32 s1, s1, s37
	v_add_co_u32 v5, s0, s0, v6
	s_delay_alu instid0(VALU_DEP_1) | instskip(SKIP_2) | instid1(VALU_DEP_4)
	v_add_co_ci_u32_e64 v20, null, s1, 0, s0
	v_lshlrev_b32_e32 v10, 16, v18
	v_and_b32_e32 v11, 0xffff0000, v18
	v_add_co_u32 v18, vcc_lo, v5, v2
	v_xor_b32_e32 v2, 2, v4
	v_lshlrev_b32_e32 v6, 16, v16
	v_and_b32_e32 v7, 0xffff0000, v16
	v_lshlrev_b32_e32 v14, 16, v19
	v_and_b32_e32 v16, 0xffff0000, v19
	v_add_co_ci_u32_e32 v19, vcc_lo, 0, v20, vcc_lo
	v_xor_b32_e32 v5, 1, v4
	v_cmp_gt_i32_e32 vcc_lo, 32, v2
	s_lshl_b64 s[36:37], s[26:27], 2
	s_sub_i32 s6, 1, s15
	s_add_u32 s1, s24, s36
	s_addc_u32 s3, s25, s37
	v_cndmask_b32_e32 v2, v4, v2, vcc_lo
	v_cmp_gt_i32_e32 vcc_lo, 32, v5
	v_lshlrev_b32_e32 v8, 16, v17
	v_and_b32_e32 v9, 0xffff0000, v17
	v_lshlrev_b32_e32 v17, 16, v23
	v_dual_cndmask_b32 v33, v4, v5 :: v_dual_lshlrev_b32 v32, 2, v2
	v_cmp_eq_u32_e32 vcc_lo, 0, v1
	v_lshlrev_b64 v[1:2], 2, v[12:13]
	v_and_b32_e32 v20, 0xffff0000, v23
	v_lshlrev_b32_e32 v21, 16, v24
	v_and_b32_e32 v22, 0xffff0000, v24
	v_lshlrev_b32_e32 v23, 16, v25
	v_and_b32_e32 v24, 0xffff0000, v25
	v_add_co_u32 v1, s1, s1, v1
	v_lshlrev_b32_e32 v25, 16, v26
	v_and_b32_e32 v26, 0xffff0000, v26
	v_lshlrev_b32_e32 v27, 16, v30
	v_and_b32_e32 v29, 0xffff0000, v30
	;; [unrolled: 2-line block ×3, first 2 shown]
	v_mov_b32_e32 v5, 32
	v_lshlrev_b32_e32 v33, 2, v33
	v_cmp_neq_f32_e64 s0, s12, 0
	v_add_nc_u32_e32 v35, 0xc0, v35
	v_add_co_ci_u32_e64 v2, s1, s3, v2, s1
	s_branch .LBB152_10
.LBB152_9:                              ;   in Loop: Header=BB152_10 Depth=1
	s_or_b32 exec_lo, exec_lo, s3
	v_add_nc_u32_e32 v36, 4, v36
	v_add_co_u32 v1, s3, v1, 16
	v_add_nc_u32_e32 v34, 32, v34
	v_add_nc_u32_e32 v35, 0x80, v35
	s_delay_alu instid0(VALU_DEP_4) | instskip(SKIP_1) | instid1(VALU_DEP_2)
	v_cmp_le_i32_e64 s1, s19, v36
	v_add_co_ci_u32_e64 v2, s3, 0, v2, s3
	s_or_b32 s31, s1, s31
	s_delay_alu instid0(SALU_CYCLE_1)
	s_and_not1_b32 exec_lo, exec_lo, s31
	s_cbranch_execz .LBB152_12
.LBB152_10:                             ; =>This Inner Loop Header: Depth=1
	global_load_b32 v39, v[1:2], off
	s_waitcnt vmcnt(0) lgkmcnt(0)
	v_mad_i64_i32 v[37:38], null, v39, s35, 0
	s_delay_alu instid0(VALU_DEP_1) | instskip(NEXT) | instid1(VALU_DEP_1)
	v_lshlrev_b64 v[37:38], 1, v[37:38]
	v_add_co_u32 v37, s1, v18, v37
	s_delay_alu instid0(VALU_DEP_1)
	v_add_co_ci_u32_e64 v38, s1, v19, v38, s1
	s_clause 0x9
	global_load_b32 v39, v[37:38], off offset:128
	global_load_b32 v40, v[37:38], off
	global_load_b32 v41, v[37:38], off offset:256
	global_load_b32 v42, v[37:38], off offset:384
	;; [unrolled: 1-line block ×8, first 2 shown]
	s_waitcnt vmcnt(8)
	v_lshlrev_b32_e32 v48, 16, v40
	s_waitcnt vmcnt(7)
	v_lshlrev_b32_e32 v49, 16, v41
	v_and_b32_e32 v41, 0xffff0000, v41
	v_and_b32_e32 v40, 0xffff0000, v40
	v_lshlrev_b32_e32 v38, 16, v39
	v_and_b32_e32 v39, 0xffff0000, v39
	s_delay_alu instid0(VALU_DEP_1) | instskip(NEXT) | instid1(VALU_DEP_1)
	v_mul_f32_e32 v39, v9, v39
	v_dual_fmac_f32 v39, v7, v40 :: v_dual_mul_f32 v38, v8, v38
	s_waitcnt vmcnt(6)
	v_lshlrev_b32_e32 v40, 16, v42
	v_and_b32_e32 v42, 0xffff0000, v42
	s_delay_alu instid0(VALU_DEP_3) | instskip(NEXT) | instid1(VALU_DEP_1)
	v_fmac_f32_e32 v38, v6, v48
	v_fmac_f32_e32 v38, v10, v49
	s_delay_alu instid0(VALU_DEP_1)
	v_dual_fmac_f32 v38, v14, v40 :: v_dual_fmac_f32 v39, v11, v41
	s_waitcnt vmcnt(5)
	v_lshlrev_b32_e32 v41, 16, v43
	v_and_b32_e32 v43, 0xffff0000, v43
	s_waitcnt vmcnt(4)
	v_dual_fmac_f32 v39, v16, v42 :: v_dual_lshlrev_b32 v40, 16, v44
	s_delay_alu instid0(VALU_DEP_3) | instskip(SKIP_3) | instid1(VALU_DEP_3)
	v_fmac_f32_e32 v38, v17, v41
	v_and_b32_e32 v42, 0xffff0000, v44
	s_waitcnt vmcnt(3)
	v_lshlrev_b32_e32 v41, 16, v45
	v_dual_fmac_f32 v39, v20, v43 :: v_dual_fmac_f32 v38, v21, v40
	s_waitcnt vmcnt(2)
	v_lshlrev_b32_e32 v40, 16, v46
	s_delay_alu instid0(VALU_DEP_2) | instskip(NEXT) | instid1(VALU_DEP_1)
	v_dual_fmac_f32 v39, v22, v42 :: v_dual_fmac_f32 v38, v23, v41
	v_dual_fmac_f32 v38, v25, v40 :: v_dual_and_b32 v43, 0xffff0000, v45
	s_waitcnt vmcnt(0)
	v_lshlrev_b32_e32 v40, 16, v37
	v_lshlrev_b32_e32 v41, 16, v47
	s_delay_alu instid0(VALU_DEP_3) | instskip(SKIP_2) | instid1(VALU_DEP_4)
	v_fmac_f32_e32 v39, v24, v43
	v_and_b32_e32 v43, 0xffff0000, v47
	v_and_b32_e32 v37, 0xffff0000, v37
	v_fmac_f32_e32 v38, v27, v41
	s_delay_alu instid0(VALU_DEP_1) | instskip(SKIP_1) | instid1(VALU_DEP_1)
	v_fmac_f32_e32 v38, v30, v40
	v_and_b32_e32 v42, 0xffff0000, v46
	v_fmac_f32_e32 v39, v26, v42
	s_delay_alu instid0(VALU_DEP_1) | instskip(NEXT) | instid1(VALU_DEP_1)
	v_fmac_f32_e32 v39, v29, v43
	v_fmac_f32_e32 v39, v31, v37
	s_delay_alu instid0(VALU_DEP_1)
	v_add_f32_e32 v37, v38, v39
	ds_bpermute_b32 v38, v32, v37
	s_waitcnt lgkmcnt(0)
	v_add_f32_e32 v37, v37, v38
	ds_bpermute_b32 v38, v33, v37
	s_and_saveexec_b32 s3, vcc_lo
	s_cbranch_execz .LBB152_9
; %bb.11:                               ;   in Loop: Header=BB152_10 Depth=1
	s_waitcnt lgkmcnt(0)
	v_add_f32_e32 v37, v37, v38
	v_add_nc_u32_e32 v39, s6, v34
	v_cmp_gt_i32_e64 s1, s15, v34
	s_delay_alu instid0(VALU_DEP_2) | instskip(NEXT) | instid1(VALU_DEP_1)
	v_cvt_f32_i32_e32 v39, v39
	v_mul_f32_e32 v39, s12, v39
	s_delay_alu instid0(VALU_DEP_1) | instskip(NEXT) | instid1(VALU_DEP_1)
	v_cndmask_b32_e64 v38, 0, v39, s0
	v_dual_max_f32 v39, v28, v28 :: v_dual_fmac_f32 v38, s13, v37
	s_delay_alu instid0(VALU_DEP_1) | instskip(SKIP_1) | instid1(VALU_DEP_2)
	v_max_f32_e32 v37, v39, v38
	v_cndmask_b32_e64 v38, 0, v38, s1
	v_cndmask_b32_e64 v28, v28, v37, s1
	ds_store_b32 v35, v38
	s_branch .LBB152_9
.LBB152_12:
	s_or_b32 exec_lo, exec_lo, s31
.LBB152_13:
	s_delay_alu instid0(SALU_CYCLE_1)
	s_or_b32 exec_lo, exec_lo, s34
	v_xor_b32_e32 v1, 16, v4
	v_xor_b32_e32 v6, 8, v4
	;; [unrolled: 1-line block ×3, first 2 shown]
	v_max_f32_e32 v7, v28, v28
	v_and_b32_e32 v16, 31, v0
	v_cmp_lt_i32_e32 vcc_lo, v1, v5
	v_cndmask_b32_e32 v1, v4, v1, vcc_lo
	v_cmp_lt_i32_e32 vcc_lo, v6, v5
	v_cndmask_b32_e32 v6, v4, v6, vcc_lo
	v_cmp_lt_i32_e32 vcc_lo, v8, v5
	s_delay_alu instid0(VALU_DEP_2)
	v_lshlrev_b32_e32 v6, 2, v6
	v_lshlrev_b32_e32 v2, 2, v1
	v_cndmask_b32_e32 v8, v4, v8, vcc_lo
	v_cmp_eq_u32_e32 vcc_lo, 0, v16
	ds_bpermute_b32 v1, v2, v28
	s_waitcnt lgkmcnt(0)
	v_dual_max_f32 v1, v1, v1 :: v_dual_lshlrev_b32 v8, 2, v8
	s_delay_alu instid0(VALU_DEP_1) | instskip(SKIP_3) | instid1(VALU_DEP_1)
	v_max_f32_e32 v1, v7, v1
	ds_bpermute_b32 v7, v6, v1
	s_waitcnt lgkmcnt(0)
	v_max_f32_e32 v7, v7, v7
	v_max_f32_e32 v1, v1, v7
	v_lshlrev_b32_e32 v7, 2, v15
	ds_bpermute_b32 v9, v8, v1
	s_and_saveexec_b32 s0, vcc_lo
	s_cbranch_execz .LBB152_15
; %bb.14:
	s_waitcnt lgkmcnt(0)
	v_max_f32_e32 v9, v9, v9
	v_max_f32_e32 v1, v1, v1
	s_delay_alu instid0(VALU_DEP_1)
	v_max_f32_e32 v1, v1, v9
	ds_store_b32 v7, v1 offset:160
.LBB152_15:
	s_or_b32 exec_lo, exec_lo, s0
	v_cmp_gt_u32_e64 s0, 4, v16
	v_mov_b32_e32 v1, 0xff7fffff
	v_lshlrev_b32_e32 v17, 2, v16
	s_waitcnt lgkmcnt(0)
	s_barrier
	buffer_gl0_inv
	s_and_saveexec_b32 s1, s0
	s_cbranch_execz .LBB152_17
; %bb.16:
	ds_load_b32 v1, v17 offset:160
.LBB152_17:
	s_or_b32 exec_lo, exec_lo, s1
	v_xor_b32_e32 v9, 2, v4
	v_xor_b32_e32 v11, 1, v4
	s_delay_alu instid0(VALU_DEP_2) | instskip(NEXT) | instid1(VALU_DEP_1)
	v_cmp_lt_i32_e64 s1, v9, v5
	v_cndmask_b32_e64 v9, v4, v9, s1
	s_delay_alu instid0(VALU_DEP_3) | instskip(NEXT) | instid1(VALU_DEP_2)
	v_cmp_lt_i32_e64 s1, v11, v5
	v_lshlrev_b32_e32 v9, 2, v9
	s_delay_alu instid0(VALU_DEP_2)
	v_cndmask_b32_e64 v5, v4, v11, s1
	s_sub_i32 s1, s19, s7
	v_mov_b32_e32 v11, 0
	s_lshl_b32 s1, s1, 3
	s_waitcnt lgkmcnt(0)
	ds_bpermute_b32 v10, v9, v1
	v_max_f32_e32 v1, v1, v1
	v_lshlrev_b32_e32 v5, 2, v5
	s_add_i32 s1, s1, s33
	v_lshlrev_b32_e32 v4, 2, v4
	s_min_i32 s1, s1, s15
	s_delay_alu instid0(SALU_CYCLE_1) | instskip(NEXT) | instid1(SALU_CYCLE_1)
	s_sub_i32 s6, s1, s33
	v_cmp_gt_i32_e64 s1, s6, v0
	s_waitcnt lgkmcnt(0)
	v_max_f32_e32 v10, v10, v10
	s_delay_alu instid0(VALU_DEP_1) | instskip(SKIP_3) | instid1(VALU_DEP_1)
	v_max_f32_e32 v1, v1, v10
	ds_bpermute_b32 v10, v5, v1
	s_waitcnt lgkmcnt(0)
	v_max_f32_e32 v10, v10, v10
	v_dual_max_f32 v1, v1, v10 :: v_dual_and_b32 v10, 0xffffff80, v4
	v_lshl_add_u32 v4, v0, 2, 0xc0
	ds_bpermute_b32 v1, v10, v1
	s_and_saveexec_b32 s7, s1
	s_cbranch_execz .LBB152_21
; %bb.18:
	v_lshl_add_u32 v14, v0, 2, 0xc0
	v_dual_mov_b32 v11, 0 :: v_dual_mov_b32 v18, v0
	s_mov_b32 s12, 0
	.p2align	6
.LBB152_19:                             ; =>This Inner Loop Header: Depth=1
	ds_load_b32 v19, v14
	v_add_nc_u32_e32 v18, 0x80, v18
	s_delay_alu instid0(VALU_DEP_1) | instskip(NEXT) | instid1(VALU_DEP_1)
	v_cmp_le_i32_e64 s3, s6, v18
	s_or_b32 s12, s3, s12
	s_waitcnt lgkmcnt(0)
	v_sub_f32_e32 v19, v19, v1
	s_delay_alu instid0(VALU_DEP_1) | instskip(NEXT) | instid1(VALU_DEP_1)
	v_mul_f32_e32 v19, 0x3fb8aa3b, v19
	v_exp_f32_e32 v19, v19
	ds_store_b32 v14, v19
	v_dual_add_f32 v11, v11, v19 :: v_dual_add_nc_u32 v14, 0x200, v14
	s_and_not1_b32 exec_lo, exec_lo, s12
	s_cbranch_execnz .LBB152_19
; %bb.20:
	s_or_b32 exec_lo, exec_lo, s12
.LBB152_21:
	s_delay_alu instid0(SALU_CYCLE_1)
	s_or_b32 exec_lo, exec_lo, s7
	ds_bpermute_b32 v2, v2, v11
	s_waitcnt lgkmcnt(0)
	v_add_f32_e32 v2, v11, v2
	ds_bpermute_b32 v6, v6, v2
	s_waitcnt lgkmcnt(0)
	v_add_f32_e32 v2, v2, v6
	;; [unrolled: 3-line block ×5, first 2 shown]
	s_and_saveexec_b32 s3, vcc_lo
	s_cbranch_execz .LBB152_23
; %bb.22:
	ds_store_b32 v7, v2 offset:176
.LBB152_23:
	s_or_b32 exec_lo, exec_lo, s3
	s_waitcnt lgkmcnt(0)
	s_barrier
	buffer_gl0_inv
	s_and_saveexec_b32 s3, s0
	s_cbranch_execz .LBB152_25
; %bb.24:
	ds_load_b32 v2, v17 offset:176
.LBB152_25:
	s_or_b32 exec_lo, exec_lo, s3
	s_waitcnt lgkmcnt(0)
	ds_bpermute_b32 v6, v9, v2
	s_waitcnt lgkmcnt(0)
	v_add_f32_e32 v2, v2, v6
	ds_bpermute_b32 v5, v5, v2
	s_waitcnt lgkmcnt(0)
	v_add_f32_e32 v2, v2, v5
	ds_bpermute_b32 v2, v10, v2
	s_and_saveexec_b32 s0, s1
	s_cbranch_execz .LBB152_28
; %bb.26:
	s_waitcnt lgkmcnt(0)
	v_add_f32_e32 v5, 0x358637bd, v2
	s_mov_b32 s1, 0
	s_delay_alu instid0(VALU_DEP_1) | instskip(SKIP_1) | instid1(VALU_DEP_2)
	v_div_scale_f32 v6, null, v5, v5, 1.0
	v_div_scale_f32 v9, vcc_lo, 1.0, v5, 1.0
	v_rcp_f32_e32 v7, v6
	s_waitcnt_depctr 0xfff
	v_fma_f32 v8, -v6, v7, 1.0
	s_delay_alu instid0(VALU_DEP_1) | instskip(NEXT) | instid1(VALU_DEP_1)
	v_fmac_f32_e32 v7, v8, v7
	v_mul_f32_e32 v8, v9, v7
	s_delay_alu instid0(VALU_DEP_1) | instskip(NEXT) | instid1(VALU_DEP_1)
	v_fma_f32 v10, -v6, v8, v9
	v_fmac_f32_e32 v8, v10, v7
	s_delay_alu instid0(VALU_DEP_1) | instskip(NEXT) | instid1(VALU_DEP_1)
	v_fma_f32 v6, -v6, v8, v9
	v_div_fmas_f32 v6, v6, v7, v8
	s_delay_alu instid0(VALU_DEP_1)
	v_div_fixup_f32 v5, v6, v5, 1.0
	v_mov_b32_e32 v6, v0
.LBB152_27:                             ; =>This Inner Loop Header: Depth=1
	ds_load_b32 v7, v4
	s_waitcnt lgkmcnt(0)
	v_dual_mul_f32 v7, v5, v7 :: v_dual_add_nc_u32 v6, 0x80, v6
	s_delay_alu instid0(VALU_DEP_1) | instskip(SKIP_3) | instid1(SALU_CYCLE_1)
	v_cmp_le_i32_e32 vcc_lo, s6, v6
	ds_store_b32 v4, v7
	v_add_nc_u32_e32 v4, 0x200, v4
	s_or_b32 s1, vcc_lo, s1
	s_and_not1_b32 exec_lo, exec_lo, s1
	s_cbranch_execnz .LBB152_27
.LBB152_28:
	s_or_b32 exec_lo, exec_lo, s0
	s_mul_i32 s0, s4, s14
	s_mov_b32 s12, 0
	s_mul_i32 s6, s0, s17
	s_mov_b32 s0, exec_lo
	s_waitcnt lgkmcnt(0)
	s_barrier
	buffer_gl0_inv
	v_cmpx_eq_u32_e32 0, v0
	s_cbranch_execz .LBB152_30
; %bb.29:
	s_ashr_i32 s7, s6, 31
	s_mul_i32 s36, s4, s22
	s_lshl_b64 s[34:35], s[6:7], 2
	v_mov_b32_e32 v4, 0
	s_add_u32 s1, s10, s34
	s_addc_u32 s3, s11, s35
	s_ashr_i32 s37, s36, 31
	s_delay_alu instid0(SALU_CYCLE_1) | instskip(NEXT) | instid1(SALU_CYCLE_1)
	s_lshl_b64 s[10:11], s[36:37], 2
	s_add_u32 s1, s1, s10
	s_addc_u32 s3, s3, s11
	s_ashr_i32 s17, s16, 31
	s_delay_alu instid0(SALU_CYCLE_1) | instskip(NEXT) | instid1(SALU_CYCLE_1)
	s_lshl_b64 s[36:37], s[16:17], 2
	s_add_u32 s38, s1, s36
	s_addc_u32 s39, s3, s37
	s_add_u32 s1, s8, s34
	s_addc_u32 s3, s9, s35
	;; [unrolled: 2-line block ×4, first 2 shown]
	s_clause 0x1
	global_store_b32 v4, v1, s[38:39]
	global_store_b32 v4, v2, s[8:9]
.LBB152_30:
	s_or_b32 exec_lo, exec_lo, s0
	s_mov_b32 s13, s12
	s_mov_b32 s14, s12
	v_dual_mov_b32 v9, s12 :: v_dual_mov_b32 v10, s13
	v_mov_b32_e32 v11, s14
	v_or_b32_e32 v18, 64, v16
	s_and_saveexec_b32 s3, s2
	s_cbranch_execz .LBB152_170
; %bb.31:
	s_ashr_i32 s31, s30, 31
	v_lshlrev_b64 v[1:2], 2, v[12:13]
	s_lshl_b64 s[0:1], s[30:31], 1
	s_mov_b32 s8, 0
	s_add_u32 s2, s28, s0
	s_addc_u32 s7, s29, s1
	s_lshl_b64 s[0:1], s[26:27], 2
	s_add_i32 s11, s23, -1
	s_mov_b32 s9, s8
	s_mov_b32 s10, s8
	s_delay_alu instid0(SALU_CYCLE_1)
	v_dual_mov_b32 v11, s10 :: v_dual_lshlrev_b32 v4, 3, v16
	v_dual_mov_b32 v10, s9 :: v_dual_lshlrev_b32 v5, 3, v18
	s_add_u32 s0, s24, s0
	s_addc_u32 s1, s25, s1
	v_add_co_u32 v13, s0, s0, v1
	v_cmp_gt_u32_e32 vcc_lo, 0x50, v18
	v_add3_u32 v19, s33, v3, 7
	v_lshl_add_u32 v20, v15, 5, 0xc0
	v_add_co_ci_u32_e64 v14, s0, s1, v2, s0
	v_dual_mov_b32 v9, s8 :: v_dual_lshlrev_b32 v22, 1, v5
	v_lshlrev_b32_e32 v21, 1, v4
	s_branch .LBB152_34
.LBB152_32:                             ;   in Loop: Header=BB152_34 Depth=1
	s_or_b32 exec_lo, exec_lo, s1
	v_and_b32_e32 v6, 0xffff0000, v6
	v_and_b32_e32 v3, 0xffff0000, v3
	s_delay_alu instid0(VALU_DEP_1) | instskip(SKIP_3) | instid1(VALU_DEP_1)
	v_dual_add_f32 v3, v3, v6 :: v_dual_and_b32 v4, 0xffff0000, v4
	v_and_b32_e32 v1, 0xffff0000, v1
	v_and_b32_e32 v2, 0xffff0000, v2
	;; [unrolled: 1-line block ×3, first 2 shown]
	v_dual_add_f32 v1, v1, v7 :: v_dual_and_b32 v8, 0xffff0000, v8
	s_delay_alu instid0(VALU_DEP_1) | instskip(NEXT) | instid1(VALU_DEP_1)
	v_add_f32_e32 v2, v2, v8
	v_dual_add_f32 v1, v1, v2 :: v_dual_and_b32 v2, 0xffff0000, v5
	s_delay_alu instid0(VALU_DEP_1) | instskip(NEXT) | instid1(VALU_DEP_1)
	v_dual_add_f32 v1, v1, v3 :: v_dual_add_f32 v2, v4, v2
	v_add_f32_e32 v1, v1, v2
	s_delay_alu instid0(VALU_DEP_1)
	v_add_f32_e32 v11, v11, v1
.LBB152_33:                             ;   in Loop: Header=BB152_34 Depth=1
	s_or_b32 exec_lo, exec_lo, s9
	v_add_nc_u32_e32 v12, 4, v12
	v_add_co_u32 v13, s1, v13, 16
	v_add_nc_u32_e32 v19, 32, v19
	v_add_nc_u32_e32 v20, 0x80, v20
	s_delay_alu instid0(VALU_DEP_4) | instskip(SKIP_1) | instid1(VALU_DEP_2)
	v_cmp_le_i32_e64 s0, s19, v12
	v_add_co_ci_u32_e64 v14, s1, 0, v14, s1
	s_or_b32 s8, s0, s8
	s_delay_alu instid0(SALU_CYCLE_1)
	s_and_not1_b32 exec_lo, exec_lo, s8
	s_cbranch_execz .LBB152_169
.LBB152_34:                             ; =>This Inner Loop Header: Depth=1
	global_load_b32 v23, v[13:14], off
	ds_load_2addr_b64 v[5:8], v20 offset1:1
	ds_load_2addr_b64 v[1:4], v20 offset0:2 offset1:3
	s_waitcnt lgkmcnt(1)
	v_and_b32_e32 v24, 0x7f800000, v5
	s_delay_alu instid0(VALU_DEP_1) | instskip(NEXT) | instid1(VALU_DEP_1)
	v_cmp_ne_u32_e64 s0, 0x7f800000, v24
                                        ; implicit-def: $vgpr24
	s_and_saveexec_b32 s1, s0
	s_delay_alu instid0(SALU_CYCLE_1)
	s_xor_b32 s0, exec_lo, s1
; %bb.35:                               ;   in Loop: Header=BB152_34 Depth=1
	v_bfe_u32 v24, v5, 16, 1
	s_delay_alu instid0(VALU_DEP_1)
	v_add3_u32 v24, v5, v24, 0x7fff
; %bb.36:                               ;   in Loop: Header=BB152_34 Depth=1
	s_and_not1_saveexec_b32 s1, s0
; %bb.37:                               ;   in Loop: Header=BB152_34 Depth=1
	v_and_b32_e32 v24, 0xffff, v5
	v_or_b32_e32 v25, 0x10000, v5
	s_delay_alu instid0(VALU_DEP_2) | instskip(NEXT) | instid1(VALU_DEP_1)
	v_cmp_eq_u32_e64 s0, 0, v24
	v_cndmask_b32_e64 v24, v25, v5, s0
; %bb.38:                               ;   in Loop: Header=BB152_34 Depth=1
	s_or_b32 exec_lo, exec_lo, s1
	v_and_b32_e32 v5, 0x7f800000, v6
                                        ; implicit-def: $vgpr25
	s_delay_alu instid0(VALU_DEP_1) | instskip(NEXT) | instid1(VALU_DEP_1)
	v_cmp_ne_u32_e64 s0, 0x7f800000, v5
	s_and_saveexec_b32 s1, s0
	s_delay_alu instid0(SALU_CYCLE_1)
	s_xor_b32 s0, exec_lo, s1
; %bb.39:                               ;   in Loop: Header=BB152_34 Depth=1
	v_bfe_u32 v5, v6, 16, 1
	s_delay_alu instid0(VALU_DEP_1)
	v_add3_u32 v25, v6, v5, 0x7fff
; %bb.40:                               ;   in Loop: Header=BB152_34 Depth=1
	s_and_not1_saveexec_b32 s1, s0
; %bb.41:                               ;   in Loop: Header=BB152_34 Depth=1
	v_and_b32_e32 v5, 0xffff, v6
	v_or_b32_e32 v25, 0x10000, v6
	s_delay_alu instid0(VALU_DEP_2) | instskip(NEXT) | instid1(VALU_DEP_1)
	v_cmp_eq_u32_e64 s0, 0, v5
	v_cndmask_b32_e64 v25, v25, v6, s0
; %bb.42:                               ;   in Loop: Header=BB152_34 Depth=1
	s_or_b32 exec_lo, exec_lo, s1
	v_and_b32_e32 v5, 0x7f800000, v7
                                        ; implicit-def: $vgpr26
	s_delay_alu instid0(VALU_DEP_1) | instskip(NEXT) | instid1(VALU_DEP_1)
	v_cmp_ne_u32_e64 s0, 0x7f800000, v5
	s_and_saveexec_b32 s1, s0
	s_delay_alu instid0(SALU_CYCLE_1)
	s_xor_b32 s0, exec_lo, s1
; %bb.43:                               ;   in Loop: Header=BB152_34 Depth=1
	v_bfe_u32 v5, v7, 16, 1
	s_delay_alu instid0(VALU_DEP_1)
	v_add3_u32 v26, v7, v5, 0x7fff
; %bb.44:                               ;   in Loop: Header=BB152_34 Depth=1
	s_and_not1_saveexec_b32 s1, s0
; %bb.45:                               ;   in Loop: Header=BB152_34 Depth=1
	v_and_b32_e32 v5, 0xffff, v7
	v_or_b32_e32 v6, 0x10000, v7
	s_delay_alu instid0(VALU_DEP_2) | instskip(NEXT) | instid1(VALU_DEP_1)
	v_cmp_eq_u32_e64 s0, 0, v5
	v_cndmask_b32_e64 v26, v6, v7, s0
; %bb.46:                               ;   in Loop: Header=BB152_34 Depth=1
	s_or_b32 exec_lo, exec_lo, s1
	v_and_b32_e32 v5, 0x7f800000, v8
                                        ; implicit-def: $vgpr27
	s_delay_alu instid0(VALU_DEP_1) | instskip(NEXT) | instid1(VALU_DEP_1)
	v_cmp_ne_u32_e64 s0, 0x7f800000, v5
	s_and_saveexec_b32 s1, s0
	s_delay_alu instid0(SALU_CYCLE_1)
	s_xor_b32 s0, exec_lo, s1
; %bb.47:                               ;   in Loop: Header=BB152_34 Depth=1
	v_bfe_u32 v5, v8, 16, 1
	s_delay_alu instid0(VALU_DEP_1)
	v_add3_u32 v27, v8, v5, 0x7fff
                                        ; implicit-def: $vgpr5_vgpr6_vgpr7_vgpr8
; %bb.48:                               ;   in Loop: Header=BB152_34 Depth=1
	s_and_not1_saveexec_b32 s1, s0
; %bb.49:                               ;   in Loop: Header=BB152_34 Depth=1
	v_and_b32_e32 v5, 0xffff, v8
	v_or_b32_e32 v6, 0x10000, v8
	s_delay_alu instid0(VALU_DEP_2) | instskip(NEXT) | instid1(VALU_DEP_1)
	v_cmp_eq_u32_e64 s0, 0, v5
	v_cndmask_b32_e64 v27, v6, v8, s0
; %bb.50:                               ;   in Loop: Header=BB152_34 Depth=1
	s_or_b32 exec_lo, exec_lo, s1
	s_waitcnt lgkmcnt(0)
	v_and_b32_e32 v5, 0x7f800000, v1
                                        ; implicit-def: $vgpr28
	s_delay_alu instid0(VALU_DEP_1) | instskip(NEXT) | instid1(VALU_DEP_1)
	v_cmp_ne_u32_e64 s0, 0x7f800000, v5
	s_and_saveexec_b32 s1, s0
	s_delay_alu instid0(SALU_CYCLE_1)
	s_xor_b32 s0, exec_lo, s1
; %bb.51:                               ;   in Loop: Header=BB152_34 Depth=1
	v_bfe_u32 v5, v1, 16, 1
	s_delay_alu instid0(VALU_DEP_1)
	v_add3_u32 v28, v1, v5, 0x7fff
; %bb.52:                               ;   in Loop: Header=BB152_34 Depth=1
	s_and_not1_saveexec_b32 s1, s0
; %bb.53:                               ;   in Loop: Header=BB152_34 Depth=1
	v_and_b32_e32 v5, 0xffff, v1
	v_or_b32_e32 v6, 0x10000, v1
	s_delay_alu instid0(VALU_DEP_2) | instskip(NEXT) | instid1(VALU_DEP_1)
	v_cmp_eq_u32_e64 s0, 0, v5
	v_cndmask_b32_e64 v28, v6, v1, s0
; %bb.54:                               ;   in Loop: Header=BB152_34 Depth=1
	s_or_b32 exec_lo, exec_lo, s1
	v_and_b32_e32 v1, 0x7f800000, v2
                                        ; implicit-def: $vgpr29
	s_delay_alu instid0(VALU_DEP_1) | instskip(NEXT) | instid1(VALU_DEP_1)
	v_cmp_ne_u32_e64 s0, 0x7f800000, v1
	s_and_saveexec_b32 s1, s0
	s_delay_alu instid0(SALU_CYCLE_1)
	s_xor_b32 s0, exec_lo, s1
; %bb.55:                               ;   in Loop: Header=BB152_34 Depth=1
	v_bfe_u32 v1, v2, 16, 1
	s_delay_alu instid0(VALU_DEP_1)
	v_add3_u32 v29, v2, v1, 0x7fff
; %bb.56:                               ;   in Loop: Header=BB152_34 Depth=1
	s_and_not1_saveexec_b32 s1, s0
; %bb.57:                               ;   in Loop: Header=BB152_34 Depth=1
	v_and_b32_e32 v1, 0xffff, v2
	v_or_b32_e32 v5, 0x10000, v2
	s_delay_alu instid0(VALU_DEP_2) | instskip(NEXT) | instid1(VALU_DEP_1)
	v_cmp_eq_u32_e64 s0, 0, v1
	v_cndmask_b32_e64 v29, v5, v2, s0
; %bb.58:                               ;   in Loop: Header=BB152_34 Depth=1
	s_or_b32 exec_lo, exec_lo, s1
	v_and_b32_e32 v1, 0x7f800000, v3
                                        ; implicit-def: $vgpr30
	s_delay_alu instid0(VALU_DEP_1) | instskip(NEXT) | instid1(VALU_DEP_1)
	v_cmp_ne_u32_e64 s0, 0x7f800000, v1
	s_and_saveexec_b32 s1, s0
	s_delay_alu instid0(SALU_CYCLE_1)
	s_xor_b32 s0, exec_lo, s1
; %bb.59:                               ;   in Loop: Header=BB152_34 Depth=1
	v_bfe_u32 v1, v3, 16, 1
	s_delay_alu instid0(VALU_DEP_1)
	v_add3_u32 v30, v3, v1, 0x7fff
; %bb.60:                               ;   in Loop: Header=BB152_34 Depth=1
	s_and_not1_saveexec_b32 s1, s0
; %bb.61:                               ;   in Loop: Header=BB152_34 Depth=1
	v_and_b32_e32 v1, 0xffff, v3
	v_or_b32_e32 v2, 0x10000, v3
	s_delay_alu instid0(VALU_DEP_2) | instskip(NEXT) | instid1(VALU_DEP_1)
	v_cmp_eq_u32_e64 s0, 0, v1
	v_cndmask_b32_e64 v30, v2, v3, s0
; %bb.62:                               ;   in Loop: Header=BB152_34 Depth=1
	s_or_b32 exec_lo, exec_lo, s1
	v_and_b32_e32 v1, 0x7f800000, v4
                                        ; implicit-def: $vgpr31
	s_delay_alu instid0(VALU_DEP_1) | instskip(NEXT) | instid1(VALU_DEP_1)
	v_cmp_ne_u32_e64 s0, 0x7f800000, v1
	s_and_saveexec_b32 s1, s0
	s_delay_alu instid0(SALU_CYCLE_1)
	s_xor_b32 s0, exec_lo, s1
; %bb.63:                               ;   in Loop: Header=BB152_34 Depth=1
	v_bfe_u32 v1, v4, 16, 1
	s_delay_alu instid0(VALU_DEP_1)
	v_add3_u32 v31, v4, v1, 0x7fff
                                        ; implicit-def: $vgpr1_vgpr2_vgpr3_vgpr4
; %bb.64:                               ;   in Loop: Header=BB152_34 Depth=1
	s_and_not1_saveexec_b32 s1, s0
; %bb.65:                               ;   in Loop: Header=BB152_34 Depth=1
	v_and_b32_e32 v1, 0xffff, v4
	v_or_b32_e32 v2, 0x10000, v4
	s_delay_alu instid0(VALU_DEP_2) | instskip(NEXT) | instid1(VALU_DEP_1)
	v_cmp_eq_u32_e64 s0, 0, v1
	v_cndmask_b32_e64 v31, v2, v4, s0
; %bb.66:                               ;   in Loop: Header=BB152_34 Depth=1
	s_or_b32 exec_lo, exec_lo, s1
	s_waitcnt vmcnt(0)
	v_mad_i64_i32 v[1:2], null, v23, s5, 0
	v_add_nc_u32_e32 v7, -7, v19
	s_delay_alu instid0(VALU_DEP_2) | instskip(NEXT) | instid1(VALU_DEP_1)
	v_lshlrev_b64 v[1:2], 1, v[1:2]
	v_add_co_u32 v8, s0, s2, v1
	s_delay_alu instid0(VALU_DEP_1) | instskip(NEXT) | instid1(VALU_DEP_2)
	v_add_co_ci_u32_e64 v23, s0, s7, v2, s0
	v_add_co_u32 v5, s0, v8, v21
	s_delay_alu instid0(VALU_DEP_1)
	v_add_co_ci_u32_e64 v6, s0, 0, v23, s0
	v_cmp_eq_u32_e64 s0, s11, v12
	global_load_b128 v[1:4], v[5:6], off
	s_waitcnt vmcnt(0)
	v_lshrrev_b32_e32 v33, 16, v1
	v_lshrrev_b32_e32 v35, 16, v2
	;; [unrolled: 1-line block ×4, first 2 shown]
	s_and_saveexec_b32 s9, s0
	s_cbranch_execz .LBB152_68
; %bb.67:                               ;   in Loop: Header=BB152_34 Depth=1
	v_add_nc_u32_e32 v32, -6, v19
	v_cmp_gt_i32_e64 s1, s15, v7
	v_add_nc_u32_e32 v34, -5, v19
	v_add_nc_u32_e32 v36, -2, v19
	s_delay_alu instid0(VALU_DEP_3) | instskip(SKIP_2) | instid1(VALU_DEP_2)
	v_cndmask_b32_e64 v1, 0, v1, s1
	v_cmp_gt_i32_e64 s1, s15, v32
	v_add_nc_u32_e32 v32, -4, v19
	v_cndmask_b32_e64 v33, 0, v33, s1
	v_cmp_gt_i32_e64 s1, s15, v34
	v_add_nc_u32_e32 v34, -3, v19
	s_delay_alu instid0(VALU_DEP_2) | instskip(SKIP_2) | instid1(VALU_DEP_2)
	v_cndmask_b32_e64 v2, 0, v2, s1
	v_cmp_gt_i32_e64 s1, s15, v32
	v_add_nc_u32_e32 v32, -1, v19
	v_cndmask_b32_e64 v35, 0, v35, s1
	v_cmp_gt_i32_e64 s1, s15, v34
	s_delay_alu instid0(VALU_DEP_1) | instskip(SKIP_1) | instid1(VALU_DEP_1)
	v_cndmask_b32_e64 v3, 0, v3, s1
	v_cmp_gt_i32_e64 s1, s15, v36
	v_cndmask_b32_e64 v37, 0, v37, s1
	v_cmp_gt_i32_e64 s1, s15, v32
	s_delay_alu instid0(VALU_DEP_1) | instskip(SKIP_1) | instid1(VALU_DEP_1)
	v_cndmask_b32_e64 v4, 0, v4, s1
	v_cmp_gt_i32_e64 s1, s15, v19
	v_cndmask_b32_e64 v39, 0, v39, s1
.LBB152_68:                             ;   in Loop: Header=BB152_34 Depth=1
	s_or_b32 exec_lo, exec_lo, s9
	v_and_b32_e32 v24, 0xffff0000, v24
	v_lshlrev_b32_e32 v1, 16, v1
	s_delay_alu instid0(VALU_DEP_1) | instskip(NEXT) | instid1(VALU_DEP_1)
	v_mul_f32_e32 v1, v24, v1
	v_and_b32_e32 v32, 0x7f800000, v1
	s_delay_alu instid0(VALU_DEP_1) | instskip(NEXT) | instid1(VALU_DEP_1)
	v_cmp_ne_u32_e64 s1, 0x7f800000, v32
                                        ; implicit-def: $vgpr32
	s_and_saveexec_b32 s9, s1
	s_delay_alu instid0(SALU_CYCLE_1)
	s_xor_b32 s1, exec_lo, s9
; %bb.69:                               ;   in Loop: Header=BB152_34 Depth=1
	v_bfe_u32 v32, v1, 16, 1
	s_delay_alu instid0(VALU_DEP_1)
	v_add3_u32 v32, v1, v32, 0x7fff
                                        ; implicit-def: $vgpr1
; %bb.70:                               ;   in Loop: Header=BB152_34 Depth=1
	s_and_not1_saveexec_b32 s9, s1
; %bb.71:                               ;   in Loop: Header=BB152_34 Depth=1
	v_and_b32_e32 v32, 0xffff, v1
	v_or_b32_e32 v34, 0x10000, v1
	s_delay_alu instid0(VALU_DEP_2) | instskip(NEXT) | instid1(VALU_DEP_1)
	v_cmp_eq_u32_e64 s1, 0, v32
	v_cndmask_b32_e64 v32, v34, v1, s1
; %bb.72:                               ;   in Loop: Header=BB152_34 Depth=1
	s_or_b32 exec_lo, exec_lo, s9
	v_and_b32_e32 v25, 0xffff0000, v25
	v_lshlrev_b32_e32 v1, 16, v33
	s_delay_alu instid0(VALU_DEP_1) | instskip(NEXT) | instid1(VALU_DEP_1)
	v_mul_f32_e32 v1, v25, v1
	v_and_b32_e32 v33, 0x7f800000, v1
	s_delay_alu instid0(VALU_DEP_1) | instskip(NEXT) | instid1(VALU_DEP_1)
	v_cmp_ne_u32_e64 s1, 0x7f800000, v33
                                        ; implicit-def: $vgpr33
	s_and_saveexec_b32 s9, s1
	s_delay_alu instid0(SALU_CYCLE_1)
	s_xor_b32 s1, exec_lo, s9
; %bb.73:                               ;   in Loop: Header=BB152_34 Depth=1
	v_bfe_u32 v33, v1, 16, 1
	s_delay_alu instid0(VALU_DEP_1)
	v_add3_u32 v33, v1, v33, 0x7fff
                                        ; implicit-def: $vgpr1
; %bb.74:                               ;   in Loop: Header=BB152_34 Depth=1
	s_and_not1_saveexec_b32 s9, s1
; %bb.75:                               ;   in Loop: Header=BB152_34 Depth=1
	v_and_b32_e32 v33, 0xffff, v1
	v_or_b32_e32 v34, 0x10000, v1
	s_delay_alu instid0(VALU_DEP_2) | instskip(NEXT) | instid1(VALU_DEP_1)
	v_cmp_eq_u32_e64 s1, 0, v33
	v_cndmask_b32_e64 v33, v34, v1, s1
; %bb.76:                               ;   in Loop: Header=BB152_34 Depth=1
	s_or_b32 exec_lo, exec_lo, s9
	v_and_b32_e32 v26, 0xffff0000, v26
	v_lshlrev_b32_e32 v1, 16, v2
                                        ; implicit-def: $vgpr34
	s_delay_alu instid0(VALU_DEP_1) | instskip(NEXT) | instid1(VALU_DEP_1)
	v_mul_f32_e32 v1, v26, v1
	v_and_b32_e32 v2, 0x7f800000, v1
	s_delay_alu instid0(VALU_DEP_1) | instskip(NEXT) | instid1(VALU_DEP_1)
	v_cmp_ne_u32_e64 s1, 0x7f800000, v2
	s_and_saveexec_b32 s9, s1
	s_delay_alu instid0(SALU_CYCLE_1)
	s_xor_b32 s1, exec_lo, s9
; %bb.77:                               ;   in Loop: Header=BB152_34 Depth=1
	v_bfe_u32 v2, v1, 16, 1
	s_delay_alu instid0(VALU_DEP_1)
	v_add3_u32 v34, v1, v2, 0x7fff
                                        ; implicit-def: $vgpr1
; %bb.78:                               ;   in Loop: Header=BB152_34 Depth=1
	s_and_not1_saveexec_b32 s9, s1
; %bb.79:                               ;   in Loop: Header=BB152_34 Depth=1
	v_and_b32_e32 v2, 0xffff, v1
	v_or_b32_e32 v34, 0x10000, v1
	s_delay_alu instid0(VALU_DEP_2) | instskip(NEXT) | instid1(VALU_DEP_1)
	v_cmp_eq_u32_e64 s1, 0, v2
	v_cndmask_b32_e64 v34, v34, v1, s1
; %bb.80:                               ;   in Loop: Header=BB152_34 Depth=1
	s_or_b32 exec_lo, exec_lo, s9
	v_and_b32_e32 v27, 0xffff0000, v27
	v_lshlrev_b32_e32 v1, 16, v35
                                        ; implicit-def: $vgpr35
	s_delay_alu instid0(VALU_DEP_1) | instskip(NEXT) | instid1(VALU_DEP_1)
	v_mul_f32_e32 v1, v27, v1
	v_and_b32_e32 v2, 0x7f800000, v1
	s_delay_alu instid0(VALU_DEP_1) | instskip(NEXT) | instid1(VALU_DEP_1)
	v_cmp_ne_u32_e64 s1, 0x7f800000, v2
	s_and_saveexec_b32 s9, s1
	s_delay_alu instid0(SALU_CYCLE_1)
	s_xor_b32 s1, exec_lo, s9
; %bb.81:                               ;   in Loop: Header=BB152_34 Depth=1
	v_bfe_u32 v2, v1, 16, 1
	s_delay_alu instid0(VALU_DEP_1)
	v_add3_u32 v35, v1, v2, 0x7fff
                                        ; implicit-def: $vgpr1
; %bb.82:                               ;   in Loop: Header=BB152_34 Depth=1
	s_and_not1_saveexec_b32 s9, s1
; %bb.83:                               ;   in Loop: Header=BB152_34 Depth=1
	v_and_b32_e32 v2, 0xffff, v1
	v_or_b32_e32 v35, 0x10000, v1
	s_delay_alu instid0(VALU_DEP_2) | instskip(NEXT) | instid1(VALU_DEP_1)
	v_cmp_eq_u32_e64 s1, 0, v2
	v_cndmask_b32_e64 v35, v35, v1, s1
; %bb.84:                               ;   in Loop: Header=BB152_34 Depth=1
	s_or_b32 exec_lo, exec_lo, s9
	v_and_b32_e32 v28, 0xffff0000, v28
	v_lshlrev_b32_e32 v1, 16, v3
                                        ; implicit-def: $vgpr36
	s_delay_alu instid0(VALU_DEP_1) | instskip(NEXT) | instid1(VALU_DEP_1)
	v_mul_f32_e32 v1, v28, v1
	v_and_b32_e32 v2, 0x7f800000, v1
	s_delay_alu instid0(VALU_DEP_1) | instskip(NEXT) | instid1(VALU_DEP_1)
	v_cmp_ne_u32_e64 s1, 0x7f800000, v2
	s_and_saveexec_b32 s9, s1
	s_delay_alu instid0(SALU_CYCLE_1)
	s_xor_b32 s1, exec_lo, s9
; %bb.85:                               ;   in Loop: Header=BB152_34 Depth=1
	v_bfe_u32 v2, v1, 16, 1
	s_delay_alu instid0(VALU_DEP_1)
	v_add3_u32 v36, v1, v2, 0x7fff
                                        ; implicit-def: $vgpr1
; %bb.86:                               ;   in Loop: Header=BB152_34 Depth=1
	s_and_not1_saveexec_b32 s9, s1
; %bb.87:                               ;   in Loop: Header=BB152_34 Depth=1
	v_and_b32_e32 v2, 0xffff, v1
	v_or_b32_e32 v3, 0x10000, v1
	s_delay_alu instid0(VALU_DEP_2) | instskip(NEXT) | instid1(VALU_DEP_1)
	v_cmp_eq_u32_e64 s1, 0, v2
	v_cndmask_b32_e64 v36, v3, v1, s1
; %bb.88:                               ;   in Loop: Header=BB152_34 Depth=1
	s_or_b32 exec_lo, exec_lo, s9
	v_and_b32_e32 v29, 0xffff0000, v29
	v_lshlrev_b32_e32 v1, 16, v37
                                        ; implicit-def: $vgpr37
	s_delay_alu instid0(VALU_DEP_1) | instskip(NEXT) | instid1(VALU_DEP_1)
	v_mul_f32_e32 v1, v29, v1
	v_and_b32_e32 v2, 0x7f800000, v1
	s_delay_alu instid0(VALU_DEP_1) | instskip(NEXT) | instid1(VALU_DEP_1)
	v_cmp_ne_u32_e64 s1, 0x7f800000, v2
	s_and_saveexec_b32 s9, s1
	s_delay_alu instid0(SALU_CYCLE_1)
	s_xor_b32 s1, exec_lo, s9
; %bb.89:                               ;   in Loop: Header=BB152_34 Depth=1
	v_bfe_u32 v2, v1, 16, 1
	s_delay_alu instid0(VALU_DEP_1)
	v_add3_u32 v37, v1, v2, 0x7fff
                                        ; implicit-def: $vgpr1
; %bb.90:                               ;   in Loop: Header=BB152_34 Depth=1
	s_and_not1_saveexec_b32 s9, s1
; %bb.91:                               ;   in Loop: Header=BB152_34 Depth=1
	v_and_b32_e32 v2, 0xffff, v1
	v_or_b32_e32 v3, 0x10000, v1
	s_delay_alu instid0(VALU_DEP_2) | instskip(NEXT) | instid1(VALU_DEP_1)
	v_cmp_eq_u32_e64 s1, 0, v2
	v_cndmask_b32_e64 v37, v3, v1, s1
; %bb.92:                               ;   in Loop: Header=BB152_34 Depth=1
	s_or_b32 exec_lo, exec_lo, s9
	v_and_b32_e32 v30, 0xffff0000, v30
	v_lshlrev_b32_e32 v1, 16, v4
                                        ; implicit-def: $vgpr38
	s_delay_alu instid0(VALU_DEP_1) | instskip(NEXT) | instid1(VALU_DEP_1)
	v_mul_f32_e32 v1, v30, v1
	v_and_b32_e32 v2, 0x7f800000, v1
	s_delay_alu instid0(VALU_DEP_1) | instskip(NEXT) | instid1(VALU_DEP_1)
	v_cmp_ne_u32_e64 s1, 0x7f800000, v2
	s_and_saveexec_b32 s9, s1
	s_delay_alu instid0(SALU_CYCLE_1)
	s_xor_b32 s1, exec_lo, s9
; %bb.93:                               ;   in Loop: Header=BB152_34 Depth=1
	v_bfe_u32 v2, v1, 16, 1
	s_delay_alu instid0(VALU_DEP_1)
	v_add3_u32 v38, v1, v2, 0x7fff
                                        ; implicit-def: $vgpr1
; %bb.94:                               ;   in Loop: Header=BB152_34 Depth=1
	s_and_not1_saveexec_b32 s9, s1
; %bb.95:                               ;   in Loop: Header=BB152_34 Depth=1
	v_and_b32_e32 v2, 0xffff, v1
	v_or_b32_e32 v3, 0x10000, v1
	s_delay_alu instid0(VALU_DEP_2) | instskip(NEXT) | instid1(VALU_DEP_1)
	v_cmp_eq_u32_e64 s1, 0, v2
	v_cndmask_b32_e64 v38, v3, v1, s1
; %bb.96:                               ;   in Loop: Header=BB152_34 Depth=1
	s_or_b32 exec_lo, exec_lo, s9
	v_and_b32_e32 v31, 0xffff0000, v31
	v_lshlrev_b32_e32 v1, 16, v39
                                        ; implicit-def: $vgpr39
	s_delay_alu instid0(VALU_DEP_1) | instskip(NEXT) | instid1(VALU_DEP_1)
	v_mul_f32_e32 v1, v31, v1
	v_and_b32_e32 v2, 0x7f800000, v1
	s_delay_alu instid0(VALU_DEP_1) | instskip(NEXT) | instid1(VALU_DEP_1)
	v_cmp_ne_u32_e64 s1, 0x7f800000, v2
	s_and_saveexec_b32 s9, s1
	s_delay_alu instid0(SALU_CYCLE_1)
	s_xor_b32 s1, exec_lo, s9
; %bb.97:                               ;   in Loop: Header=BB152_34 Depth=1
	v_bfe_u32 v2, v1, 16, 1
	s_delay_alu instid0(VALU_DEP_1)
	v_add3_u32 v39, v1, v2, 0x7fff
                                        ; implicit-def: $vgpr1
; %bb.98:                               ;   in Loop: Header=BB152_34 Depth=1
	s_and_not1_saveexec_b32 s9, s1
; %bb.99:                               ;   in Loop: Header=BB152_34 Depth=1
	v_and_b32_e32 v2, 0xffff, v1
	v_or_b32_e32 v3, 0x10000, v1
	s_delay_alu instid0(VALU_DEP_2) | instskip(NEXT) | instid1(VALU_DEP_1)
	v_cmp_eq_u32_e64 s1, 0, v2
	v_cndmask_b32_e64 v39, v3, v1, s1
; %bb.100:                              ;   in Loop: Header=BB152_34 Depth=1
	s_or_b32 exec_lo, exec_lo, s9
	global_load_b128 v[1:4], v[5:6], off offset:512
	s_waitcnt vmcnt(0)
	v_lshrrev_b32_e32 v6, 16, v1
	v_lshrrev_b32_e32 v41, 16, v2
	;; [unrolled: 1-line block ×4, first 2 shown]
	s_and_saveexec_b32 s9, s0
	s_cbranch_execz .LBB152_102
; %bb.101:                              ;   in Loop: Header=BB152_34 Depth=1
	v_add_nc_u32_e32 v42, -6, v19
	v_cmp_gt_i32_e64 s1, s15, v7
	v_add_nc_u32_e32 v43, -5, v19
	v_add_nc_u32_e32 v44, -2, v19
	s_delay_alu instid0(VALU_DEP_3) | instskip(SKIP_2) | instid1(VALU_DEP_2)
	v_cndmask_b32_e64 v1, 0, v1, s1
	v_cmp_gt_i32_e64 s1, s15, v42
	v_add_nc_u32_e32 v42, -4, v19
	v_cndmask_b32_e64 v6, 0, v6, s1
	v_cmp_gt_i32_e64 s1, s15, v43
	v_add_nc_u32_e32 v43, -3, v19
	s_delay_alu instid0(VALU_DEP_2) | instskip(SKIP_2) | instid1(VALU_DEP_2)
	v_cndmask_b32_e64 v2, 0, v2, s1
	v_cmp_gt_i32_e64 s1, s15, v42
	v_add_nc_u32_e32 v42, -1, v19
	v_cndmask_b32_e64 v41, 0, v41, s1
	v_cmp_gt_i32_e64 s1, s15, v43
	s_delay_alu instid0(VALU_DEP_1) | instskip(SKIP_1) | instid1(VALU_DEP_1)
	v_cndmask_b32_e64 v3, 0, v3, s1
	v_cmp_gt_i32_e64 s1, s15, v44
	v_cndmask_b32_e64 v40, 0, v40, s1
	v_cmp_gt_i32_e64 s1, s15, v42
	s_delay_alu instid0(VALU_DEP_1) | instskip(SKIP_1) | instid1(VALU_DEP_1)
	v_cndmask_b32_e64 v4, 0, v4, s1
	v_cmp_gt_i32_e64 s1, s15, v19
	v_cndmask_b32_e64 v5, 0, v5, s1
.LBB152_102:                            ;   in Loop: Header=BB152_34 Depth=1
	s_or_b32 exec_lo, exec_lo, s9
	v_lshlrev_b32_e32 v1, 16, v1
	s_delay_alu instid0(VALU_DEP_1) | instskip(NEXT) | instid1(VALU_DEP_1)
	v_mul_f32_e32 v42, v24, v1
	v_and_b32_e32 v1, 0x7f800000, v42
	s_delay_alu instid0(VALU_DEP_1) | instskip(NEXT) | instid1(VALU_DEP_1)
	v_cmp_ne_u32_e64 s1, 0x7f800000, v1
                                        ; implicit-def: $vgpr1
	s_and_saveexec_b32 s9, s1
	s_delay_alu instid0(SALU_CYCLE_1)
	s_xor_b32 s1, exec_lo, s9
; %bb.103:                              ;   in Loop: Header=BB152_34 Depth=1
	v_bfe_u32 v1, v42, 16, 1
	s_delay_alu instid0(VALU_DEP_1)
	v_add3_u32 v1, v42, v1, 0x7fff
                                        ; implicit-def: $vgpr42
; %bb.104:                              ;   in Loop: Header=BB152_34 Depth=1
	s_and_not1_saveexec_b32 s9, s1
; %bb.105:                              ;   in Loop: Header=BB152_34 Depth=1
	v_and_b32_e32 v1, 0xffff, v42
	v_or_b32_e32 v43, 0x10000, v42
	s_delay_alu instid0(VALU_DEP_2) | instskip(NEXT) | instid1(VALU_DEP_1)
	v_cmp_eq_u32_e64 s1, 0, v1
	v_cndmask_b32_e64 v1, v43, v42, s1
; %bb.106:                              ;   in Loop: Header=BB152_34 Depth=1
	s_or_b32 exec_lo, exec_lo, s9
	v_lshlrev_b32_e32 v6, 16, v6
	s_delay_alu instid0(VALU_DEP_1) | instskip(NEXT) | instid1(VALU_DEP_1)
	v_mul_f32_e32 v42, v25, v6
	v_and_b32_e32 v6, 0x7f800000, v42
	s_delay_alu instid0(VALU_DEP_1) | instskip(NEXT) | instid1(VALU_DEP_1)
	v_cmp_ne_u32_e64 s1, 0x7f800000, v6
                                        ; implicit-def: $vgpr6
	s_and_saveexec_b32 s9, s1
	s_delay_alu instid0(SALU_CYCLE_1)
	s_xor_b32 s1, exec_lo, s9
; %bb.107:                              ;   in Loop: Header=BB152_34 Depth=1
	v_bfe_u32 v6, v42, 16, 1
	s_delay_alu instid0(VALU_DEP_1)
	v_add3_u32 v6, v42, v6, 0x7fff
                                        ; implicit-def: $vgpr42
; %bb.108:                              ;   in Loop: Header=BB152_34 Depth=1
	s_and_not1_saveexec_b32 s9, s1
; %bb.109:                              ;   in Loop: Header=BB152_34 Depth=1
	v_and_b32_e32 v6, 0xffff, v42
	v_or_b32_e32 v43, 0x10000, v42
	s_delay_alu instid0(VALU_DEP_2) | instskip(NEXT) | instid1(VALU_DEP_1)
	v_cmp_eq_u32_e64 s1, 0, v6
	v_cndmask_b32_e64 v6, v43, v42, s1
; %bb.110:                              ;   in Loop: Header=BB152_34 Depth=1
	s_or_b32 exec_lo, exec_lo, s9
	v_lshlrev_b32_e32 v2, 16, v2
	s_delay_alu instid0(VALU_DEP_1) | instskip(NEXT) | instid1(VALU_DEP_1)
	v_mul_f32_e32 v42, v26, v2
	v_and_b32_e32 v2, 0x7f800000, v42
	s_delay_alu instid0(VALU_DEP_1) | instskip(NEXT) | instid1(VALU_DEP_1)
	v_cmp_ne_u32_e64 s1, 0x7f800000, v2
                                        ; implicit-def: $vgpr2
	s_and_saveexec_b32 s9, s1
	s_delay_alu instid0(SALU_CYCLE_1)
	s_xor_b32 s1, exec_lo, s9
; %bb.111:                              ;   in Loop: Header=BB152_34 Depth=1
	v_bfe_u32 v2, v42, 16, 1
	s_delay_alu instid0(VALU_DEP_1)
	v_add3_u32 v2, v42, v2, 0x7fff
                                        ; implicit-def: $vgpr42
; %bb.112:                              ;   in Loop: Header=BB152_34 Depth=1
	s_and_not1_saveexec_b32 s9, s1
; %bb.113:                              ;   in Loop: Header=BB152_34 Depth=1
	v_and_b32_e32 v2, 0xffff, v42
	v_or_b32_e32 v43, 0x10000, v42
	s_delay_alu instid0(VALU_DEP_2) | instskip(NEXT) | instid1(VALU_DEP_1)
	v_cmp_eq_u32_e64 s1, 0, v2
	v_cndmask_b32_e64 v2, v43, v42, s1
; %bb.114:                              ;   in Loop: Header=BB152_34 Depth=1
	s_or_b32 exec_lo, exec_lo, s9
	v_lshlrev_b32_e32 v41, 16, v41
	s_delay_alu instid0(VALU_DEP_1) | instskip(NEXT) | instid1(VALU_DEP_1)
	v_mul_f32_e32 v42, v27, v41
	v_and_b32_e32 v41, 0x7f800000, v42
	s_delay_alu instid0(VALU_DEP_1) | instskip(NEXT) | instid1(VALU_DEP_1)
	v_cmp_ne_u32_e64 s1, 0x7f800000, v41
                                        ; implicit-def: $vgpr41
	s_and_saveexec_b32 s9, s1
	s_delay_alu instid0(SALU_CYCLE_1)
	s_xor_b32 s1, exec_lo, s9
; %bb.115:                              ;   in Loop: Header=BB152_34 Depth=1
	v_bfe_u32 v41, v42, 16, 1
	s_delay_alu instid0(VALU_DEP_1)
	v_add3_u32 v41, v42, v41, 0x7fff
                                        ; implicit-def: $vgpr42
; %bb.116:                              ;   in Loop: Header=BB152_34 Depth=1
	s_and_not1_saveexec_b32 s9, s1
; %bb.117:                              ;   in Loop: Header=BB152_34 Depth=1
	v_and_b32_e32 v41, 0xffff, v42
	v_or_b32_e32 v43, 0x10000, v42
	s_delay_alu instid0(VALU_DEP_2) | instskip(NEXT) | instid1(VALU_DEP_1)
	v_cmp_eq_u32_e64 s1, 0, v41
	v_cndmask_b32_e64 v41, v43, v42, s1
; %bb.118:                              ;   in Loop: Header=BB152_34 Depth=1
	s_or_b32 exec_lo, exec_lo, s9
	v_lshlrev_b32_e32 v3, 16, v3
	s_delay_alu instid0(VALU_DEP_1) | instskip(NEXT) | instid1(VALU_DEP_1)
	v_mul_f32_e32 v42, v28, v3
	v_and_b32_e32 v3, 0x7f800000, v42
	s_delay_alu instid0(VALU_DEP_1) | instskip(NEXT) | instid1(VALU_DEP_1)
	v_cmp_ne_u32_e64 s1, 0x7f800000, v3
                                        ; implicit-def: $vgpr3
	s_and_saveexec_b32 s9, s1
	s_delay_alu instid0(SALU_CYCLE_1)
	s_xor_b32 s1, exec_lo, s9
; %bb.119:                              ;   in Loop: Header=BB152_34 Depth=1
	v_bfe_u32 v3, v42, 16, 1
	s_delay_alu instid0(VALU_DEP_1)
	v_add3_u32 v3, v42, v3, 0x7fff
                                        ; implicit-def: $vgpr42
; %bb.120:                              ;   in Loop: Header=BB152_34 Depth=1
	s_and_not1_saveexec_b32 s9, s1
; %bb.121:                              ;   in Loop: Header=BB152_34 Depth=1
	v_and_b32_e32 v3, 0xffff, v42
	v_or_b32_e32 v43, 0x10000, v42
	s_delay_alu instid0(VALU_DEP_2) | instskip(NEXT) | instid1(VALU_DEP_1)
	v_cmp_eq_u32_e64 s1, 0, v3
	v_cndmask_b32_e64 v3, v43, v42, s1
; %bb.122:                              ;   in Loop: Header=BB152_34 Depth=1
	s_or_b32 exec_lo, exec_lo, s9
	v_lshlrev_b32_e32 v40, 16, v40
	s_delay_alu instid0(VALU_DEP_1) | instskip(NEXT) | instid1(VALU_DEP_1)
	v_mul_f32_e32 v42, v29, v40
	v_and_b32_e32 v40, 0x7f800000, v42
	s_delay_alu instid0(VALU_DEP_1) | instskip(NEXT) | instid1(VALU_DEP_1)
	v_cmp_ne_u32_e64 s1, 0x7f800000, v40
                                        ; implicit-def: $vgpr40
	s_and_saveexec_b32 s9, s1
	s_delay_alu instid0(SALU_CYCLE_1)
	s_xor_b32 s1, exec_lo, s9
; %bb.123:                              ;   in Loop: Header=BB152_34 Depth=1
	v_bfe_u32 v40, v42, 16, 1
	s_delay_alu instid0(VALU_DEP_1)
	v_add3_u32 v40, v42, v40, 0x7fff
                                        ; implicit-def: $vgpr42
; %bb.124:                              ;   in Loop: Header=BB152_34 Depth=1
	s_and_not1_saveexec_b32 s9, s1
; %bb.125:                              ;   in Loop: Header=BB152_34 Depth=1
	v_and_b32_e32 v40, 0xffff, v42
	v_or_b32_e32 v43, 0x10000, v42
	s_delay_alu instid0(VALU_DEP_2) | instskip(NEXT) | instid1(VALU_DEP_1)
	v_cmp_eq_u32_e64 s1, 0, v40
	v_cndmask_b32_e64 v40, v43, v42, s1
; %bb.126:                              ;   in Loop: Header=BB152_34 Depth=1
	s_or_b32 exec_lo, exec_lo, s9
	v_lshlrev_b32_e32 v4, 16, v4
	s_delay_alu instid0(VALU_DEP_1) | instskip(NEXT) | instid1(VALU_DEP_1)
	v_mul_f32_e32 v42, v30, v4
	v_and_b32_e32 v4, 0x7f800000, v42
	s_delay_alu instid0(VALU_DEP_1) | instskip(NEXT) | instid1(VALU_DEP_1)
	v_cmp_ne_u32_e64 s1, 0x7f800000, v4
                                        ; implicit-def: $vgpr4
	s_and_saveexec_b32 s9, s1
	s_delay_alu instid0(SALU_CYCLE_1)
	s_xor_b32 s1, exec_lo, s9
; %bb.127:                              ;   in Loop: Header=BB152_34 Depth=1
	v_bfe_u32 v4, v42, 16, 1
	s_delay_alu instid0(VALU_DEP_1)
	v_add3_u32 v4, v42, v4, 0x7fff
                                        ; implicit-def: $vgpr42
; %bb.128:                              ;   in Loop: Header=BB152_34 Depth=1
	s_and_not1_saveexec_b32 s9, s1
; %bb.129:                              ;   in Loop: Header=BB152_34 Depth=1
	v_and_b32_e32 v4, 0xffff, v42
	v_or_b32_e32 v43, 0x10000, v42
	s_delay_alu instid0(VALU_DEP_2) | instskip(NEXT) | instid1(VALU_DEP_1)
	v_cmp_eq_u32_e64 s1, 0, v4
	v_cndmask_b32_e64 v4, v43, v42, s1
; %bb.130:                              ;   in Loop: Header=BB152_34 Depth=1
	s_or_b32 exec_lo, exec_lo, s9
	v_lshlrev_b32_e32 v5, 16, v5
	s_delay_alu instid0(VALU_DEP_1) | instskip(NEXT) | instid1(VALU_DEP_1)
	v_mul_f32_e32 v42, v31, v5
	v_and_b32_e32 v5, 0x7f800000, v42
	s_delay_alu instid0(VALU_DEP_1) | instskip(NEXT) | instid1(VALU_DEP_1)
	v_cmp_ne_u32_e64 s1, 0x7f800000, v5
                                        ; implicit-def: $vgpr5
	s_and_saveexec_b32 s9, s1
	s_delay_alu instid0(SALU_CYCLE_1)
	s_xor_b32 s1, exec_lo, s9
; %bb.131:                              ;   in Loop: Header=BB152_34 Depth=1
	v_bfe_u32 v5, v42, 16, 1
	s_delay_alu instid0(VALU_DEP_1)
	v_add3_u32 v5, v42, v5, 0x7fff
                                        ; implicit-def: $vgpr42
; %bb.132:                              ;   in Loop: Header=BB152_34 Depth=1
	s_and_not1_saveexec_b32 s9, s1
; %bb.133:                              ;   in Loop: Header=BB152_34 Depth=1
	v_and_b32_e32 v5, 0xffff, v42
	v_or_b32_e32 v43, 0x10000, v42
	s_delay_alu instid0(VALU_DEP_2) | instskip(NEXT) | instid1(VALU_DEP_1)
	v_cmp_eq_u32_e64 s1, 0, v5
	v_cndmask_b32_e64 v5, v43, v42, s1
; %bb.134:                              ;   in Loop: Header=BB152_34 Depth=1
	s_or_b32 exec_lo, exec_lo, s9
	v_and_b32_e32 v6, 0xffff0000, v6
	v_and_b32_e32 v1, 0xffff0000, v1
	;; [unrolled: 1-line block ×6, first 2 shown]
	v_dual_add_f32 v1, v1, v6 :: v_dual_and_b32 v32, 0xffff0000, v32
	v_and_b32_e32 v38, 0xffff0000, v38
	s_delay_alu instid0(VALU_DEP_4) | instskip(SKIP_2) | instid1(VALU_DEP_2)
	v_dual_add_f32 v2, v2, v41 :: v_dual_and_b32 v39, 0xffff0000, v39
	v_and_b32_e32 v33, 0xffff0000, v33
	v_and_b32_e32 v35, 0xffff0000, v35
	v_dual_add_f32 v1, v1, v2 :: v_dual_add_f32 v32, v32, v33
	s_delay_alu instid0(VALU_DEP_2) | instskip(SKIP_1) | instid1(VALU_DEP_2)
	v_dual_add_f32 v33, v34, v35 :: v_dual_and_b32 v36, 0xffff0000, v36
	v_and_b32_e32 v34, 0xffff0000, v40
	v_dual_add_f32 v6, v32, v33 :: v_dual_and_b32 v3, 0xffff0000, v3
	s_delay_alu instid0(VALU_DEP_1) | instskip(SKIP_1) | instid1(VALU_DEP_2)
	v_dual_add_f32 v2, v3, v34 :: v_dual_and_b32 v37, 0xffff0000, v37
	v_and_b32_e32 v3, 0xffff0000, v5
	v_dual_add_f32 v32, v36, v37 :: v_dual_add_f32 v1, v1, v2
	s_delay_alu instid0(VALU_DEP_1) | instskip(NEXT) | instid1(VALU_DEP_1)
	v_dual_add_f32 v2, v4, v3 :: v_dual_add_f32 v5, v6, v32
	v_dual_add_f32 v6, v38, v39 :: v_dual_add_f32 v1, v1, v2
	s_delay_alu instid0(VALU_DEP_1) | instskip(NEXT) | instid1(VALU_DEP_1)
	v_dual_add_f32 v3, v5, v6 :: v_dual_add_f32 v10, v10, v1
	v_add_f32_e32 v9, v9, v3
	s_and_saveexec_b32 s9, vcc_lo
	s_cbranch_execz .LBB152_33
; %bb.135:                              ;   in Loop: Header=BB152_34 Depth=1
	v_add_co_u32 v1, s1, v8, v22
	s_delay_alu instid0(VALU_DEP_1)
	v_add_co_ci_u32_e64 v2, s1, 0, v23, s1
	global_load_b128 v[1:4], v[1:2], off
	s_waitcnt vmcnt(0)
	v_lshrrev_b32_e32 v23, 16, v1
	v_lshrrev_b32_e32 v8, 16, v2
	;; [unrolled: 1-line block ×4, first 2 shown]
	s_and_saveexec_b32 s1, s0
	s_cbranch_execz .LBB152_137
; %bb.136:                              ;   in Loop: Header=BB152_34 Depth=1
	v_add_nc_u32_e32 v32, -6, v19
	v_cmp_gt_i32_e64 s0, s15, v7
	v_add_nc_u32_e32 v33, -5, v19
	v_add_nc_u32_e32 v7, -4, v19
	s_delay_alu instid0(VALU_DEP_3) | instskip(SKIP_2) | instid1(VALU_DEP_2)
	v_cndmask_b32_e64 v1, 0, v1, s0
	v_cmp_gt_i32_e64 s0, s15, v32
	v_add_nc_u32_e32 v32, -3, v19
	v_cndmask_b32_e64 v23, 0, v23, s0
	v_cmp_gt_i32_e64 s0, s15, v33
	v_add_nc_u32_e32 v33, -2, v19
	s_delay_alu instid0(VALU_DEP_2) | instskip(SKIP_2) | instid1(VALU_DEP_2)
	v_cndmask_b32_e64 v2, 0, v2, s0
	v_cmp_gt_i32_e64 s0, s15, v7
	v_add_nc_u32_e32 v7, -1, v19
	v_cndmask_b32_e64 v8, 0, v8, s0
	v_cmp_gt_i32_e64 s0, s15, v32
	s_delay_alu instid0(VALU_DEP_1) | instskip(SKIP_1) | instid1(VALU_DEP_1)
	v_cndmask_b32_e64 v3, 0, v3, s0
	v_cmp_gt_i32_e64 s0, s15, v33
	v_cndmask_b32_e64 v6, 0, v6, s0
	v_cmp_gt_i32_e64 s0, s15, v7
	s_delay_alu instid0(VALU_DEP_1) | instskip(SKIP_1) | instid1(VALU_DEP_1)
	v_cndmask_b32_e64 v4, 0, v4, s0
	v_cmp_gt_i32_e64 s0, s15, v19
	v_cndmask_b32_e64 v5, 0, v5, s0
.LBB152_137:                            ;   in Loop: Header=BB152_34 Depth=1
	s_or_b32 exec_lo, exec_lo, s1
	v_lshlrev_b32_e32 v1, 16, v1
	s_delay_alu instid0(VALU_DEP_1) | instskip(NEXT) | instid1(VALU_DEP_1)
	v_mul_f32_e32 v7, v24, v1
	v_and_b32_e32 v1, 0x7f800000, v7
	s_delay_alu instid0(VALU_DEP_1) | instskip(NEXT) | instid1(VALU_DEP_1)
	v_cmp_ne_u32_e64 s0, 0x7f800000, v1
                                        ; implicit-def: $vgpr1
	s_and_saveexec_b32 s1, s0
	s_delay_alu instid0(SALU_CYCLE_1)
	s_xor_b32 s0, exec_lo, s1
; %bb.138:                              ;   in Loop: Header=BB152_34 Depth=1
	v_bfe_u32 v1, v7, 16, 1
	s_delay_alu instid0(VALU_DEP_1)
	v_add3_u32 v1, v7, v1, 0x7fff
                                        ; implicit-def: $vgpr7
; %bb.139:                              ;   in Loop: Header=BB152_34 Depth=1
	s_and_not1_saveexec_b32 s1, s0
; %bb.140:                              ;   in Loop: Header=BB152_34 Depth=1
	v_and_b32_e32 v1, 0xffff, v7
	v_or_b32_e32 v24, 0x10000, v7
	s_delay_alu instid0(VALU_DEP_2) | instskip(NEXT) | instid1(VALU_DEP_1)
	v_cmp_eq_u32_e64 s0, 0, v1
	v_cndmask_b32_e64 v1, v24, v7, s0
; %bb.141:                              ;   in Loop: Header=BB152_34 Depth=1
	s_or_b32 exec_lo, exec_lo, s1
	v_lshlrev_b32_e32 v7, 16, v23
	s_delay_alu instid0(VALU_DEP_1) | instskip(NEXT) | instid1(VALU_DEP_1)
	v_mul_f32_e32 v23, v25, v7
	v_and_b32_e32 v7, 0x7f800000, v23
	s_delay_alu instid0(VALU_DEP_1) | instskip(NEXT) | instid1(VALU_DEP_1)
	v_cmp_ne_u32_e64 s0, 0x7f800000, v7
                                        ; implicit-def: $vgpr7
	s_and_saveexec_b32 s1, s0
	s_delay_alu instid0(SALU_CYCLE_1)
	s_xor_b32 s0, exec_lo, s1
; %bb.142:                              ;   in Loop: Header=BB152_34 Depth=1
	v_bfe_u32 v7, v23, 16, 1
	s_delay_alu instid0(VALU_DEP_1)
	v_add3_u32 v7, v23, v7, 0x7fff
                                        ; implicit-def: $vgpr23
; %bb.143:                              ;   in Loop: Header=BB152_34 Depth=1
	s_and_not1_saveexec_b32 s1, s0
; %bb.144:                              ;   in Loop: Header=BB152_34 Depth=1
	v_and_b32_e32 v7, 0xffff, v23
	v_or_b32_e32 v24, 0x10000, v23
	s_delay_alu instid0(VALU_DEP_2) | instskip(NEXT) | instid1(VALU_DEP_1)
	v_cmp_eq_u32_e64 s0, 0, v7
	v_cndmask_b32_e64 v7, v24, v23, s0
; %bb.145:                              ;   in Loop: Header=BB152_34 Depth=1
	s_or_b32 exec_lo, exec_lo, s1
	v_lshlrev_b32_e32 v2, 16, v2
	s_delay_alu instid0(VALU_DEP_1) | instskip(NEXT) | instid1(VALU_DEP_1)
	v_mul_f32_e32 v23, v26, v2
	v_and_b32_e32 v2, 0x7f800000, v23
	s_delay_alu instid0(VALU_DEP_1) | instskip(NEXT) | instid1(VALU_DEP_1)
	v_cmp_ne_u32_e64 s0, 0x7f800000, v2
                                        ; implicit-def: $vgpr2
	s_and_saveexec_b32 s1, s0
	s_delay_alu instid0(SALU_CYCLE_1)
	s_xor_b32 s0, exec_lo, s1
; %bb.146:                              ;   in Loop: Header=BB152_34 Depth=1
	v_bfe_u32 v2, v23, 16, 1
	s_delay_alu instid0(VALU_DEP_1)
	v_add3_u32 v2, v23, v2, 0x7fff
                                        ; implicit-def: $vgpr23
; %bb.147:                              ;   in Loop: Header=BB152_34 Depth=1
	s_and_not1_saveexec_b32 s1, s0
; %bb.148:                              ;   in Loop: Header=BB152_34 Depth=1
	v_and_b32_e32 v2, 0xffff, v23
	v_or_b32_e32 v24, 0x10000, v23
	s_delay_alu instid0(VALU_DEP_2) | instskip(NEXT) | instid1(VALU_DEP_1)
	v_cmp_eq_u32_e64 s0, 0, v2
	v_cndmask_b32_e64 v2, v24, v23, s0
; %bb.149:                              ;   in Loop: Header=BB152_34 Depth=1
	s_or_b32 exec_lo, exec_lo, s1
	v_lshlrev_b32_e32 v8, 16, v8
	s_delay_alu instid0(VALU_DEP_1) | instskip(NEXT) | instid1(VALU_DEP_1)
	v_mul_f32_e32 v23, v27, v8
	v_and_b32_e32 v8, 0x7f800000, v23
	s_delay_alu instid0(VALU_DEP_1) | instskip(NEXT) | instid1(VALU_DEP_1)
	v_cmp_ne_u32_e64 s0, 0x7f800000, v8
                                        ; implicit-def: $vgpr8
	s_and_saveexec_b32 s1, s0
	s_delay_alu instid0(SALU_CYCLE_1)
	s_xor_b32 s0, exec_lo, s1
; %bb.150:                              ;   in Loop: Header=BB152_34 Depth=1
	v_bfe_u32 v8, v23, 16, 1
	s_delay_alu instid0(VALU_DEP_1)
	v_add3_u32 v8, v23, v8, 0x7fff
                                        ; implicit-def: $vgpr23
; %bb.151:                              ;   in Loop: Header=BB152_34 Depth=1
	s_and_not1_saveexec_b32 s1, s0
; %bb.152:                              ;   in Loop: Header=BB152_34 Depth=1
	v_and_b32_e32 v8, 0xffff, v23
	v_or_b32_e32 v24, 0x10000, v23
	s_delay_alu instid0(VALU_DEP_2) | instskip(NEXT) | instid1(VALU_DEP_1)
	v_cmp_eq_u32_e64 s0, 0, v8
	v_cndmask_b32_e64 v8, v24, v23, s0
; %bb.153:                              ;   in Loop: Header=BB152_34 Depth=1
	s_or_b32 exec_lo, exec_lo, s1
	v_lshlrev_b32_e32 v3, 16, v3
	s_delay_alu instid0(VALU_DEP_1) | instskip(NEXT) | instid1(VALU_DEP_1)
	v_mul_f32_e32 v23, v28, v3
	v_and_b32_e32 v3, 0x7f800000, v23
	s_delay_alu instid0(VALU_DEP_1) | instskip(NEXT) | instid1(VALU_DEP_1)
	v_cmp_ne_u32_e64 s0, 0x7f800000, v3
                                        ; implicit-def: $vgpr3
	s_and_saveexec_b32 s1, s0
	s_delay_alu instid0(SALU_CYCLE_1)
	s_xor_b32 s0, exec_lo, s1
; %bb.154:                              ;   in Loop: Header=BB152_34 Depth=1
	v_bfe_u32 v3, v23, 16, 1
	s_delay_alu instid0(VALU_DEP_1)
	v_add3_u32 v3, v23, v3, 0x7fff
                                        ; implicit-def: $vgpr23
; %bb.155:                              ;   in Loop: Header=BB152_34 Depth=1
	s_and_not1_saveexec_b32 s1, s0
; %bb.156:                              ;   in Loop: Header=BB152_34 Depth=1
	v_and_b32_e32 v3, 0xffff, v23
	v_or_b32_e32 v24, 0x10000, v23
	s_delay_alu instid0(VALU_DEP_2) | instskip(NEXT) | instid1(VALU_DEP_1)
	v_cmp_eq_u32_e64 s0, 0, v3
	v_cndmask_b32_e64 v3, v24, v23, s0
; %bb.157:                              ;   in Loop: Header=BB152_34 Depth=1
	s_or_b32 exec_lo, exec_lo, s1
	v_lshlrev_b32_e32 v6, 16, v6
	s_delay_alu instid0(VALU_DEP_1) | instskip(NEXT) | instid1(VALU_DEP_1)
	v_mul_f32_e32 v23, v29, v6
	v_and_b32_e32 v6, 0x7f800000, v23
	s_delay_alu instid0(VALU_DEP_1) | instskip(NEXT) | instid1(VALU_DEP_1)
	v_cmp_ne_u32_e64 s0, 0x7f800000, v6
                                        ; implicit-def: $vgpr6
	s_and_saveexec_b32 s1, s0
	s_delay_alu instid0(SALU_CYCLE_1)
	s_xor_b32 s0, exec_lo, s1
; %bb.158:                              ;   in Loop: Header=BB152_34 Depth=1
	v_bfe_u32 v6, v23, 16, 1
	s_delay_alu instid0(VALU_DEP_1)
	v_add3_u32 v6, v23, v6, 0x7fff
                                        ; implicit-def: $vgpr23
; %bb.159:                              ;   in Loop: Header=BB152_34 Depth=1
	s_and_not1_saveexec_b32 s1, s0
; %bb.160:                              ;   in Loop: Header=BB152_34 Depth=1
	v_and_b32_e32 v6, 0xffff, v23
	v_or_b32_e32 v24, 0x10000, v23
	s_delay_alu instid0(VALU_DEP_2) | instskip(NEXT) | instid1(VALU_DEP_1)
	v_cmp_eq_u32_e64 s0, 0, v6
	v_cndmask_b32_e64 v6, v24, v23, s0
; %bb.161:                              ;   in Loop: Header=BB152_34 Depth=1
	s_or_b32 exec_lo, exec_lo, s1
	v_lshlrev_b32_e32 v4, 16, v4
	s_delay_alu instid0(VALU_DEP_1) | instskip(NEXT) | instid1(VALU_DEP_1)
	v_mul_f32_e32 v23, v30, v4
	v_and_b32_e32 v4, 0x7f800000, v23
	s_delay_alu instid0(VALU_DEP_1) | instskip(NEXT) | instid1(VALU_DEP_1)
	v_cmp_ne_u32_e64 s0, 0x7f800000, v4
                                        ; implicit-def: $vgpr4
	s_and_saveexec_b32 s1, s0
	s_delay_alu instid0(SALU_CYCLE_1)
	s_xor_b32 s0, exec_lo, s1
; %bb.162:                              ;   in Loop: Header=BB152_34 Depth=1
	v_bfe_u32 v4, v23, 16, 1
	s_delay_alu instid0(VALU_DEP_1)
	v_add3_u32 v4, v23, v4, 0x7fff
                                        ; implicit-def: $vgpr23
; %bb.163:                              ;   in Loop: Header=BB152_34 Depth=1
	s_and_not1_saveexec_b32 s1, s0
; %bb.164:                              ;   in Loop: Header=BB152_34 Depth=1
	v_and_b32_e32 v4, 0xffff, v23
	v_or_b32_e32 v24, 0x10000, v23
	s_delay_alu instid0(VALU_DEP_2) | instskip(NEXT) | instid1(VALU_DEP_1)
	v_cmp_eq_u32_e64 s0, 0, v4
	v_cndmask_b32_e64 v4, v24, v23, s0
; %bb.165:                              ;   in Loop: Header=BB152_34 Depth=1
	s_or_b32 exec_lo, exec_lo, s1
	v_lshlrev_b32_e32 v5, 16, v5
	s_delay_alu instid0(VALU_DEP_1) | instskip(NEXT) | instid1(VALU_DEP_1)
	v_mul_f32_e32 v23, v31, v5
	v_and_b32_e32 v5, 0x7f800000, v23
	s_delay_alu instid0(VALU_DEP_1) | instskip(NEXT) | instid1(VALU_DEP_1)
	v_cmp_ne_u32_e64 s0, 0x7f800000, v5
                                        ; implicit-def: $vgpr5
	s_and_saveexec_b32 s1, s0
	s_delay_alu instid0(SALU_CYCLE_1)
	s_xor_b32 s0, exec_lo, s1
; %bb.166:                              ;   in Loop: Header=BB152_34 Depth=1
	v_bfe_u32 v5, v23, 16, 1
	s_delay_alu instid0(VALU_DEP_1)
	v_add3_u32 v5, v23, v5, 0x7fff
                                        ; implicit-def: $vgpr23
; %bb.167:                              ;   in Loop: Header=BB152_34 Depth=1
	s_and_not1_saveexec_b32 s1, s0
	s_cbranch_execz .LBB152_32
; %bb.168:                              ;   in Loop: Header=BB152_34 Depth=1
	v_and_b32_e32 v5, 0xffff, v23
	v_or_b32_e32 v24, 0x10000, v23
	s_delay_alu instid0(VALU_DEP_2) | instskip(NEXT) | instid1(VALU_DEP_1)
	v_cmp_eq_u32_e64 s0, 0, v5
	v_cndmask_b32_e64 v5, v24, v23, s0
	s_branch .LBB152_32
.LBB152_169:
	s_or_b32 exec_lo, exec_lo, s8
.LBB152_170:
	s_delay_alu instid0(SALU_CYCLE_1)
	s_or_b32 exec_lo, exec_lo, s3
	s_movk_i32 s0, 0x140
	v_and_b32_e32 v2, 0x3c0, v0
	v_mad_u32_u24 v1, v15, s0, 0xc0
	s_mov_b32 s0, exec_lo
	s_waitcnt_vscnt null, 0x0
	s_barrier
	buffer_gl0_inv
	v_cmpx_eq_u32_e32 64, v2
	s_cbranch_execz .LBB152_173
; %bb.171:
	v_add3_u32 v2, v1, v17, 0xfffffd80
	v_cmp_gt_u32_e32 vcc_lo, 0x50, v18
	ds_store_2addr_b32 v2, v9, v10 offset1:32
	s_and_b32 exec_lo, exec_lo, vcc_lo
	s_cbranch_execz .LBB152_173
; %bb.172:
	ds_store_b32 v2, v11 offset:256
.LBB152_173:
	s_or_b32 exec_lo, exec_lo, s0
	v_lshl_add_u32 v3, v16, 2, v1
	s_mov_b32 s0, exec_lo
	s_waitcnt lgkmcnt(0)
	s_barrier
	buffer_gl0_inv
	v_cmpx_gt_u32_e32 64, v0
	s_cbranch_execz .LBB152_177
; %bb.174:
	v_lshl_or_b32 v2, v0, 2, 0x80
	s_mov_b32 s1, exec_lo
	s_delay_alu instid0(VALU_DEP_1)
	v_add_nc_u32_e32 v2, v1, v2
	ds_load_b32 v4, v3
	ds_load_b32 v2, v2
	s_waitcnt lgkmcnt(0)
	v_dual_add_f32 v9, v9, v4 :: v_dual_add_f32 v10, v10, v2
	v_cmpx_gt_u32_e32 0x50, v18
	s_cbranch_execz .LBB152_176
; %bb.175:
	ds_load_b32 v2, v3 offset:256
	s_waitcnt lgkmcnt(0)
	v_add_f32_e32 v11, v11, v2
.LBB152_176:
	s_or_b32 exec_lo, exec_lo, s1
.LBB152_177:
	s_delay_alu instid0(SALU_CYCLE_1)
	s_or_b32 exec_lo, exec_lo, s0
	v_and_b32_e32 v2, 0x3e0, v0
	s_mov_b32 s0, exec_lo
	s_barrier
	buffer_gl0_inv
	v_cmpx_eq_u32_e32 32, v2
	s_cbranch_execz .LBB152_180
; %bb.178:
	v_add_nc_u32_e32 v4, 0xfffffec0, v1
	v_cmp_gt_u32_e32 vcc_lo, 0x50, v18
	s_delay_alu instid0(VALU_DEP_2)
	v_lshl_add_u32 v2, v16, 2, v4
	v_lshl_add_u32 v4, v0, 2, v4
	ds_store_b32 v2, v9
	ds_store_b32 v4, v10
	s_and_b32 exec_lo, exec_lo, vcc_lo
	s_cbranch_execz .LBB152_180
; %bb.179:
	ds_store_b32 v2, v11 offset:256
.LBB152_180:
	s_or_b32 exec_lo, exec_lo, s0
	v_cmp_gt_u32_e32 vcc_lo, 32, v0
	v_or_b32_e32 v2, 64, v0
	s_waitcnt lgkmcnt(0)
	s_barrier
	buffer_gl0_inv
	s_and_saveexec_b32 s1, vcc_lo
	s_cbranch_execz .LBB152_184
; %bb.181:
	v_lshl_add_u32 v1, v0, 2, v1
	s_mov_b32 s2, exec_lo
	ds_load_b32 v3, v3
	ds_load_b32 v4, v1 offset:128
	s_waitcnt lgkmcnt(0)
	v_dual_add_f32 v9, v9, v3 :: v_dual_add_f32 v10, v10, v4
	v_cmpx_gt_u32_e32 0x50, v2
	s_cbranch_execz .LBB152_183
; %bb.182:
	ds_load_b32 v1, v1 offset:256
	s_waitcnt lgkmcnt(0)
	v_add_f32_e32 v11, v11, v1
.LBB152_183:
	s_or_b32 exec_lo, exec_lo, s2
.LBB152_184:
	s_delay_alu instid0(SALU_CYCLE_1)
	s_or_b32 exec_lo, exec_lo, s1
	s_barrier
	buffer_gl0_inv
	s_and_saveexec_b32 s0, vcc_lo
	s_cbranch_execz .LBB152_199
; %bb.185:
	v_and_b32_e32 v1, 0x7f800000, v9
	s_mov_b32 s0, exec_lo
                                        ; implicit-def: $vgpr3
	s_delay_alu instid0(VALU_DEP_1)
	v_cmpx_ne_u32_e32 0x7f800000, v1
	s_xor_b32 s0, exec_lo, s0
; %bb.186:
	v_bfe_u32 v1, v9, 16, 1
	s_delay_alu instid0(VALU_DEP_1)
	v_add3_u32 v3, v9, v1, 0x7fff
; %bb.187:
	s_and_not1_saveexec_b32 s0, s0
; %bb.188:
	v_and_b32_e32 v1, 0xffff, v9
	v_or_b32_e32 v3, 0x10000, v9
	s_delay_alu instid0(VALU_DEP_2) | instskip(NEXT) | instid1(VALU_DEP_2)
	v_cmp_eq_u32_e32 vcc_lo, 0, v1
	v_cndmask_b32_e32 v3, v3, v9, vcc_lo
; %bb.189:
	s_or_b32 exec_lo, exec_lo, s0
	s_mul_i32 s0, s6, 0x50
	s_mul_i32 s2, s4, s18
	s_ashr_i32 s1, s0, 31
	v_lshlrev_b32_e32 v4, 1, v0
	s_lshl_b64 s[0:1], s[0:1], 1
	v_and_b32_e32 v5, 0x7f800000, v10
	s_add_u32 s4, s20, s0
	s_addc_u32 s5, s21, s1
	s_ashr_i32 s3, s2, 31
	s_delay_alu instid0(SALU_CYCLE_1) | instskip(SKIP_4) | instid1(SALU_CYCLE_1)
	s_lshl_b64 s[0:1], s[2:3], 1
	s_mul_i32 s2, s16, 0x50
	s_add_u32 s4, s4, s0
	s_addc_u32 s5, s5, s1
	s_ashr_i32 s3, s2, 31
	s_lshl_b64 s[0:1], s[2:3], 1
	s_delay_alu instid0(SALU_CYCLE_1) | instskip(SKIP_2) | instid1(VALU_DEP_1)
	s_add_u32 s0, s4, s0
	s_addc_u32 s1, s5, s1
	v_add_co_u32 v0, s2, s0, v4
	v_add_co_ci_u32_e64 v1, null, s1, 0, s2
	global_store_d16_hi_b16 v4, v3, s[0:1]
	s_mov_b32 s0, exec_lo
                                        ; implicit-def: $vgpr3
	v_cmpx_ne_u32_e32 0x7f800000, v5
	s_xor_b32 s0, exec_lo, s0
; %bb.190:
	v_bfe_u32 v3, v10, 16, 1
	s_delay_alu instid0(VALU_DEP_1)
	v_add3_u32 v3, v10, v3, 0x7fff
; %bb.191:
	s_and_not1_saveexec_b32 s0, s0
; %bb.192:
	v_and_b32_e32 v3, 0xffff, v10
	v_or_b32_e32 v4, 0x10000, v10
	s_delay_alu instid0(VALU_DEP_2) | instskip(NEXT) | instid1(VALU_DEP_2)
	v_cmp_eq_u32_e32 vcc_lo, 0, v3
	v_cndmask_b32_e32 v3, v4, v10, vcc_lo
; %bb.193:
	s_or_b32 exec_lo, exec_lo, s0
	v_cmp_gt_u32_e32 vcc_lo, 0x50, v2
	global_store_d16_hi_b16 v[0:1], v3, off offset:64
	s_and_b32 exec_lo, exec_lo, vcc_lo
	s_cbranch_execz .LBB152_199
; %bb.194:
	v_and_b32_e32 v2, 0x7f800000, v11
	s_delay_alu instid0(VALU_DEP_1) | instskip(SKIP_1) | instid1(SALU_CYCLE_1)
	v_cmp_ne_u32_e32 vcc_lo, 0x7f800000, v2
                                        ; implicit-def: $vgpr2
	s_and_saveexec_b32 s0, vcc_lo
	s_xor_b32 s0, exec_lo, s0
; %bb.195:
	v_bfe_u32 v2, v11, 16, 1
	s_delay_alu instid0(VALU_DEP_1)
	v_add3_u32 v2, v11, v2, 0x7fff
                                        ; implicit-def: $vgpr9_vgpr10_vgpr11
; %bb.196:
	s_and_not1_saveexec_b32 s0, s0
; %bb.197:
	v_and_b32_e32 v2, 0xffff, v11
	v_or_b32_e32 v3, 0x10000, v11
	s_delay_alu instid0(VALU_DEP_2) | instskip(NEXT) | instid1(VALU_DEP_2)
	v_cmp_eq_u32_e32 vcc_lo, 0, v2
	v_cndmask_b32_e32 v2, v3, v11, vcc_lo
; %bb.198:
	s_or_b32 exec_lo, exec_lo, s0
	global_store_d16_hi_b16 v[0:1], v2, off offset:128
.LBB152_199:
	s_nop 0
	s_sendmsg sendmsg(MSG_DEALLOC_VGPRS)
	s_endpgm
	.section	.rodata,"a",@progbits
	.p2align	6, 0x0
	.amdhsa_kernel _ZN4vllm25paged_attention_v2_kernelI14__hip_bfloat16S1_Li80ELi8ELi128ELNS_18Fp8KVCacheDataTypeE0ELb0ELi512EEEvPfS3_PT_PKS4_PKT0_SA_ifPKiSC_iPKfiiiSE_SE_iiiii
		.amdhsa_group_segment_fixed_size 192
		.amdhsa_private_segment_fixed_size 0
		.amdhsa_kernarg_size 400
		.amdhsa_user_sgpr_count 13
		.amdhsa_user_sgpr_dispatch_ptr 0
		.amdhsa_user_sgpr_queue_ptr 0
		.amdhsa_user_sgpr_kernarg_segment_ptr 1
		.amdhsa_user_sgpr_dispatch_id 0
		.amdhsa_user_sgpr_private_segment_size 0
		.amdhsa_wavefront_size32 1
		.amdhsa_uses_dynamic_stack 0
		.amdhsa_enable_private_segment 0
		.amdhsa_system_sgpr_workgroup_id_x 1
		.amdhsa_system_sgpr_workgroup_id_y 1
		.amdhsa_system_sgpr_workgroup_id_z 1
		.amdhsa_system_sgpr_workgroup_info 0
		.amdhsa_system_vgpr_workitem_id 0
		.amdhsa_next_free_vgpr 50
		.amdhsa_next_free_sgpr 40
		.amdhsa_reserve_vcc 1
		.amdhsa_float_round_mode_32 0
		.amdhsa_float_round_mode_16_64 0
		.amdhsa_float_denorm_mode_32 3
		.amdhsa_float_denorm_mode_16_64 3
		.amdhsa_dx10_clamp 1
		.amdhsa_ieee_mode 1
		.amdhsa_fp16_overflow 0
		.amdhsa_workgroup_processor_mode 1
		.amdhsa_memory_ordered 1
		.amdhsa_forward_progress 0
		.amdhsa_shared_vgpr_count 0
		.amdhsa_exception_fp_ieee_invalid_op 0
		.amdhsa_exception_fp_denorm_src 0
		.amdhsa_exception_fp_ieee_div_zero 0
		.amdhsa_exception_fp_ieee_overflow 0
		.amdhsa_exception_fp_ieee_underflow 0
		.amdhsa_exception_fp_ieee_inexact 0
		.amdhsa_exception_int_div_zero 0
	.end_amdhsa_kernel
	.section	.text._ZN4vllm25paged_attention_v2_kernelI14__hip_bfloat16S1_Li80ELi8ELi128ELNS_18Fp8KVCacheDataTypeE0ELb0ELi512EEEvPfS3_PT_PKS4_PKT0_SA_ifPKiSC_iPKfiiiSE_SE_iiiii,"axG",@progbits,_ZN4vllm25paged_attention_v2_kernelI14__hip_bfloat16S1_Li80ELi8ELi128ELNS_18Fp8KVCacheDataTypeE0ELb0ELi512EEEvPfS3_PT_PKS4_PKT0_SA_ifPKiSC_iPKfiiiSE_SE_iiiii,comdat
.Lfunc_end152:
	.size	_ZN4vllm25paged_attention_v2_kernelI14__hip_bfloat16S1_Li80ELi8ELi128ELNS_18Fp8KVCacheDataTypeE0ELb0ELi512EEEvPfS3_PT_PKS4_PKT0_SA_ifPKiSC_iPKfiiiSE_SE_iiiii, .Lfunc_end152-_ZN4vllm25paged_attention_v2_kernelI14__hip_bfloat16S1_Li80ELi8ELi128ELNS_18Fp8KVCacheDataTypeE0ELb0ELi512EEEvPfS3_PT_PKS4_PKT0_SA_ifPKiSC_iPKfiiiSE_SE_iiiii
                                        ; -- End function
	.section	.AMDGPU.csdata,"",@progbits
; Kernel info:
; codeLenInByte = 8640
; NumSgprs: 42
; NumVgprs: 50
; ScratchSize: 0
; MemoryBound: 0
; FloatMode: 240
; IeeeMode: 1
; LDSByteSize: 192 bytes/workgroup (compile time only)
; SGPRBlocks: 5
; VGPRBlocks: 6
; NumSGPRsForWavesPerEU: 42
; NumVGPRsForWavesPerEU: 50
; Occupancy: 16
; WaveLimiterHint : 1
; COMPUTE_PGM_RSRC2:SCRATCH_EN: 0
; COMPUTE_PGM_RSRC2:USER_SGPR: 13
; COMPUTE_PGM_RSRC2:TRAP_HANDLER: 0
; COMPUTE_PGM_RSRC2:TGID_X_EN: 1
; COMPUTE_PGM_RSRC2:TGID_Y_EN: 1
; COMPUTE_PGM_RSRC2:TGID_Z_EN: 1
; COMPUTE_PGM_RSRC2:TIDIG_COMP_CNT: 0
	.section	.text._ZN4vllm25paged_attention_v2_kernelI14__hip_bfloat16S1_Li96ELi8ELi128ELNS_18Fp8KVCacheDataTypeE0ELb0ELi512EEEvPfS3_PT_PKS4_PKT0_SA_ifPKiSC_iPKfiiiSE_SE_iiiii,"axG",@progbits,_ZN4vllm25paged_attention_v2_kernelI14__hip_bfloat16S1_Li96ELi8ELi128ELNS_18Fp8KVCacheDataTypeE0ELb0ELi512EEEvPfS3_PT_PKS4_PKT0_SA_ifPKiSC_iPKfiiiSE_SE_iiiii,comdat
	.protected	_ZN4vllm25paged_attention_v2_kernelI14__hip_bfloat16S1_Li96ELi8ELi128ELNS_18Fp8KVCacheDataTypeE0ELb0ELi512EEEvPfS3_PT_PKS4_PKT0_SA_ifPKiSC_iPKfiiiSE_SE_iiiii ; -- Begin function _ZN4vllm25paged_attention_v2_kernelI14__hip_bfloat16S1_Li96ELi8ELi128ELNS_18Fp8KVCacheDataTypeE0ELb0ELi512EEEvPfS3_PT_PKS4_PKT0_SA_ifPKiSC_iPKfiiiSE_SE_iiiii
	.globl	_ZN4vllm25paged_attention_v2_kernelI14__hip_bfloat16S1_Li96ELi8ELi128ELNS_18Fp8KVCacheDataTypeE0ELb0ELi512EEEvPfS3_PT_PKS4_PKT0_SA_ifPKiSC_iPKfiiiSE_SE_iiiii
	.p2align	8
	.type	_ZN4vllm25paged_attention_v2_kernelI14__hip_bfloat16S1_Li96ELi8ELi128ELNS_18Fp8KVCacheDataTypeE0ELb0ELi512EEEvPfS3_PT_PKS4_PKT0_SA_ifPKiSC_iPKfiiiSE_SE_iiiii,@function
_ZN4vllm25paged_attention_v2_kernelI14__hip_bfloat16S1_Li96ELi8ELi128ELNS_18Fp8KVCacheDataTypeE0ELb0ELi512EEEvPfS3_PT_PKS4_PKT0_SA_ifPKiSC_iPKfiiiSE_SE_iiiii: ; @_ZN4vllm25paged_attention_v2_kernelI14__hip_bfloat16S1_Li96ELi8ELi128ELNS_18Fp8KVCacheDataTypeE0ELb0ELi512EEEvPfS3_PT_PKS4_PKT0_SA_ifPKiSC_iPKfiiiSE_SE_iiiii
; %bb.0:
	s_load_b64 s[2:3], s[0:1], 0x40
	s_mov_b32 s12, s15
	s_ashr_i32 s15, s14, 31
	s_delay_alu instid0(SALU_CYCLE_1)
	s_lshl_b64 s[4:5], s[14:15], 2
	s_waitcnt lgkmcnt(0)
	s_add_u32 s2, s2, s4
	s_addc_u32 s3, s3, s5
	s_lshl_b32 s33, s12, 9
	s_load_b32 s15, s[2:3], 0x0
	s_waitcnt lgkmcnt(0)
	s_cmp_ge_i32 s33, s15
	s_cbranch_scc1 .LBB153_190
; %bb.1:
	s_mov_b32 s20, s13
	s_clause 0x1
	s_load_b32 s13, s[0:1], 0x90
	s_load_b64 s[30:31], s[0:1], 0x30
	s_waitcnt lgkmcnt(0)
	s_abs_i32 s5, s13
	s_abs_i32 s2, s30
	s_delay_alu instid0(SALU_CYCLE_1) | instskip(SKIP_1) | instid1(VALU_DEP_1)
	v_cvt_f32_u32_e32 v1, s2
	s_sub_i32 s4, 0, s2
	v_rcp_iflag_f32_e32 v1, v1
	s_waitcnt_depctr 0xfff
	v_mul_f32_e32 v1, 0x4f7ffffe, v1
	s_delay_alu instid0(VALU_DEP_1) | instskip(NEXT) | instid1(VALU_DEP_1)
	v_cvt_u32_f32_e32 v1, v1
	v_readfirstlane_b32 s3, v1
	s_delay_alu instid0(VALU_DEP_1) | instskip(NEXT) | instid1(SALU_CYCLE_1)
	s_mul_i32 s4, s4, s3
	s_mul_hi_u32 s4, s3, s4
	s_delay_alu instid0(SALU_CYCLE_1)
	s_add_i32 s3, s3, s4
	s_xor_b32 s4, s13, s30
	s_mul_hi_u32 s3, s5, s3
	s_ashr_i32 s4, s4, 31
	s_mul_i32 s6, s3, s2
	s_mov_b32 s30, 0
	s_sub_i32 s5, s5, s6
	s_add_i32 s6, s3, 1
	s_sub_i32 s7, s5, s2
	s_cmp_ge_u32 s5, s2
	s_cselect_b32 s3, s6, s3
	s_cselect_b32 s5, s7, s5
	s_add_i32 s6, s3, 1
	s_cmp_ge_u32 s5, s2
	s_cselect_b32 s2, s6, s3
	s_abs_i32 s10, s20
	s_xor_b32 s2, s2, s4
	s_delay_alu instid0(SALU_CYCLE_1) | instskip(SKIP_2) | instid1(SALU_CYCLE_1)
	s_sub_i32 s11, s2, s4
	s_load_b64 s[2:3], s[0:1], 0x50
	s_abs_i32 s8, s11
	v_cvt_f32_u32_e32 v1, s8
	s_sub_i32 s5, 0, s8
	s_delay_alu instid0(VALU_DEP_1) | instskip(SKIP_2) | instid1(VALU_DEP_1)
	v_rcp_iflag_f32_e32 v1, v1
	s_waitcnt_depctr 0xfff
	v_mul_f32_e32 v1, 0x4f7ffffe, v1
	v_cvt_u32_f32_e32 v1, v1
	s_delay_alu instid0(VALU_DEP_1) | instskip(NEXT) | instid1(VALU_DEP_1)
	v_readfirstlane_b32 s4, v1
	s_mul_i32 s5, s5, s4
	s_delay_alu instid0(SALU_CYCLE_1) | instskip(NEXT) | instid1(SALU_CYCLE_1)
	s_mul_hi_u32 s5, s4, s5
	s_add_i32 s4, s4, s5
	s_waitcnt lgkmcnt(0)
	s_cmp_eq_u64 s[2:3], 0
	s_mul_hi_u32 s9, s10, s4
	s_cbranch_scc1 .LBB153_3
; %bb.2:
	s_ashr_i32 s21, s20, 31
	s_delay_alu instid0(SALU_CYCLE_1) | instskip(NEXT) | instid1(SALU_CYCLE_1)
	s_lshl_b64 s[4:5], s[20:21], 2
	s_add_u32 s2, s2, s4
	s_addc_u32 s3, s3, s5
	s_load_b32 s30, s[2:3], 0x0
.LBB153_3:
	s_load_b128 s[4:7], s[0:1], 0x58
	v_and_b32_e32 v1, 3, v0
	v_lshlrev_b32_e32 v2, 2, v0
	s_ashr_i32 s2, s20, 31
	s_ashr_i32 s3, s11, 31
	s_mul_i32 s16, s20, 0x60
	s_waitcnt lgkmcnt(0)
	s_mov_b32 s7, exec_lo
	v_cmpx_gt_u32_e32 48, v0
	s_cbranch_execz .LBB153_5
; %bb.4:
	s_load_b64 s[18:19], s[0:1], 0x18
	s_mul_i32 s22, s14, s4
	v_and_b32_e32 v4, 0x3fc, v0
	s_ashr_i32 s23, s22, 31
	s_delay_alu instid0(SALU_CYCLE_1) | instskip(NEXT) | instid1(VALU_DEP_1)
	s_lshl_b64 s[22:23], s[22:23], 1
	v_mad_u32_u24 v4, v1, 48, v4
	s_waitcnt lgkmcnt(0)
	s_add_u32 s4, s18, s22
	s_addc_u32 s11, s19, s23
	s_ashr_i32 s17, s16, 31
	s_delay_alu instid0(SALU_CYCLE_1) | instskip(NEXT) | instid1(SALU_CYCLE_1)
	s_lshl_b64 s[18:19], s[16:17], 1
	s_add_u32 s18, s4, s18
	s_addc_u32 s19, s11, s19
	global_load_b32 v3, v2, s[18:19]
	s_waitcnt vmcnt(0)
	ds_store_b32 v4, v3
.LBB153_5:
	s_or_b32 exec_lo, exec_lo, s7
	s_add_i32 s4, s15, 7
	s_lshl_b32 s7, s12, 6
	s_ashr_i32 s11, s4, 31
	s_xor_b32 s2, s2, s3
	s_lshr_b32 s11, s11, 29
	s_add_i32 s3, s7, 64
	s_add_i32 s4, s4, s11
	s_clause 0x1
	s_load_b64 s[22:23], s[0:1], 0x38
	s_load_b32 s11, s[0:1], 0x48
	s_ashr_i32 s21, s4, 3
	s_mul_i32 s4, s9, s8
	s_min_i32 s17, s3, s21
	s_sub_i32 s3, s10, s4
	s_add_i32 s4, s9, 1
	s_sub_i32 s10, s3, s8
	s_cmp_ge_u32 s3, s8
	v_lshrrev_b32_e32 v13, 5, v0
	s_cselect_b32 s4, s4, s9
	s_cselect_b32 s3, s10, s3
	s_add_i32 s9, s4, 1
	s_cmp_ge_u32 s3, s8
	v_or_b32_e32 v10, s7, v13
	s_cselect_b32 s3, s9, s4
	v_mbcnt_lo_u32_b32 v4, -1, 0
	s_xor_b32 s3, s3, s2
	s_mov_b32 s4, exec_lo
	s_sub_i32 s3, s3, s2
	v_cmp_gt_i32_e64 s2, s17, v10
	s_waitcnt lgkmcnt(0)
	s_mul_i32 s24, s14, s11
	s_delay_alu instid0(SALU_CYCLE_1)
	s_ashr_i32 s25, s24, 31
	s_barrier
	buffer_gl0_inv
                                        ; implicit-def: $sgpr28
                                        ; implicit-def: $vgpr5
	v_cmpx_le_i32_e64 s17, v10
	s_xor_b32 s4, exec_lo, s4
; %bb.6:
	v_mbcnt_lo_u32_b32 v4, -1, 0
	v_mov_b32_e32 v5, 32
	s_mov_b32 s28, 0xff7fffff
                                        ; implicit-def: $vgpr2
                                        ; implicit-def: $vgpr1
; %bb.7:
	s_or_saveexec_b32 s34, s4
	s_clause 0x3
	s_load_b128 s[8:11], s[0:1], 0x0
	s_load_b64 s[18:19], s[0:1], 0x10
	s_load_b64 s[26:27], s[0:1], 0x28
	s_load_b32 s4, s[0:1], 0x98
	v_dual_mov_b32 v32, s28 :: v_dual_lshlrev_b32 v3, 3, v13
	v_ashrrev_i32_e32 v11, 31, v10
	s_mul_i32 s28, s3, s6
	s_xor_b32 exec_lo, exec_lo, s34
	s_cbranch_execz .LBB153_13
; %bb.8:
	s_load_b64 s[0:1], s[0:1], 0x20
	v_mul_u32_u24_e32 v5, 48, v1
	v_bfe_u32 v38, v0, 2, 3
	s_ashr_i32 s29, s28, 31
	v_and_b32_e32 v2, 12, v2
	s_lshl_b64 s[36:37], s[28:29], 1
	ds_load_b128 v[14:17], v5
	ds_load_b128 v[23:26], v5 offset:16
	v_lshlrev_b32_e32 v6, 4, v38
	ds_load_b128 v[32:35], v5 offset:32
	v_lshlrev_b32_e32 v39, 2, v38
	v_add3_u32 v38, s33, v3, v38
	s_mov_b32 s35, s5
	s_mov_b32 s29, 0
	v_mov_b32_e32 v40, v10
	s_waitcnt lgkmcnt(0)
	s_add_u32 s0, s0, s36
	s_addc_u32 s1, s1, s37
	v_add_co_u32 v5, s0, s0, v6
	s_delay_alu instid0(VALU_DEP_1) | instskip(SKIP_1) | instid1(VALU_DEP_2)
	v_add_co_ci_u32_e64 v19, null, s1, 0, s0
	s_lshl_b64 s[36:37], s[24:25], 2
	v_add_co_u32 v18, vcc_lo, v5, v2
	v_xor_b32_e32 v2, 2, v4
	s_delay_alu instid0(VALU_DEP_3) | instskip(SKIP_2) | instid1(VALU_DEP_4)
	v_add_co_ci_u32_e32 v19, vcc_lo, 0, v19, vcc_lo
	v_xor_b32_e32 v5, 1, v4
	v_lshlrev_b32_e32 v27, 16, v32
	v_cmp_gt_i32_e32 vcc_lo, 32, v2
	v_and_b32_e32 v9, 0xffff0000, v15
	v_and_b32_e32 v28, 0xffff0000, v32
	s_sub_i32 s6, 1, s15
	s_add_u32 s1, s22, s36
	v_cndmask_b32_e32 v2, v4, v2, vcc_lo
	v_cmp_gt_i32_e32 vcc_lo, 32, v5
	v_and_b32_e32 v7, 0xffff0000, v14
	s_addc_u32 s3, s23, s37
	v_lshlrev_b32_e32 v6, 16, v14
	v_lshlrev_b32_e32 v36, 2, v2
	v_cndmask_b32_e32 v32, v4, v5, vcc_lo
	v_cmp_eq_u32_e32 vcc_lo, 0, v1
	v_lshlrev_b64 v[1:2], 2, v[10:11]
	v_lshlrev_b32_e32 v8, 16, v15
	v_lshlrev_b32_e32 v12, 16, v16
	;; [unrolled: 1-line block ×3, first 2 shown]
	v_lshl_or_b32 v32, v13, 5, v39
	v_and_b32_e32 v14, 0xffff0000, v16
	v_add_co_u32 v1, s1, s1, v1
	v_lshlrev_b32_e32 v15, 16, v17
	v_and_b32_e32 v16, 0xffff0000, v17
	v_lshlrev_b32_e32 v17, 16, v23
	v_and_b32_e32 v20, 0xffff0000, v23
	;; [unrolled: 2-line block ×8, first 2 shown]
	v_mov_b32_e32 v5, 32
	v_cmp_neq_f32_e64 s0, s30, 0
	v_add_nc_u32_e32 v39, 0xe0, v32
	v_add_co_ci_u32_e64 v2, s1, s3, v2, s1
	v_mov_b32_e32 v32, 0xff7fffff
	s_branch .LBB153_10
.LBB153_9:                              ;   in Loop: Header=BB153_10 Depth=1
	s_or_b32 exec_lo, exec_lo, s3
	v_add_nc_u32_e32 v40, 4, v40
	v_add_co_u32 v1, s3, v1, 16
	v_add_nc_u32_e32 v38, 32, v38
	v_add_nc_u32_e32 v39, 0x80, v39
	s_delay_alu instid0(VALU_DEP_4) | instskip(SKIP_1) | instid1(VALU_DEP_2)
	v_cmp_le_i32_e64 s1, s17, v40
	v_add_co_ci_u32_e64 v2, s3, 0, v2, s3
	s_or_b32 s29, s1, s29
	s_delay_alu instid0(SALU_CYCLE_1)
	s_and_not1_b32 exec_lo, exec_lo, s29
	s_cbranch_execz .LBB153_12
.LBB153_10:                             ; =>This Inner Loop Header: Depth=1
	global_load_b32 v43, v[1:2], off
	s_waitcnt vmcnt(0) lgkmcnt(0)
	v_mad_i64_i32 v[41:42], null, v43, s35, 0
	s_delay_alu instid0(VALU_DEP_1) | instskip(NEXT) | instid1(VALU_DEP_1)
	v_lshlrev_b64 v[41:42], 1, v[41:42]
	v_add_co_u32 v41, s1, v18, v41
	s_delay_alu instid0(VALU_DEP_1)
	v_add_co_ci_u32_e64 v42, s1, v19, v42, s1
	s_clause 0xb
	global_load_b32 v43, v[41:42], off offset:128
	global_load_b32 v44, v[41:42], off
	global_load_b32 v45, v[41:42], off offset:256
	global_load_b32 v46, v[41:42], off offset:384
	;; [unrolled: 1-line block ×10, first 2 shown]
	s_waitcnt vmcnt(10)
	v_lshlrev_b32_e32 v54, 16, v44
	s_waitcnt vmcnt(9)
	v_lshlrev_b32_e32 v55, 16, v45
	v_and_b32_e32 v45, 0xffff0000, v45
	v_and_b32_e32 v44, 0xffff0000, v44
	v_lshlrev_b32_e32 v42, 16, v43
	v_and_b32_e32 v43, 0xffff0000, v43
	s_delay_alu instid0(VALU_DEP_1) | instskip(NEXT) | instid1(VALU_DEP_1)
	v_mul_f32_e32 v43, v9, v43
	v_dual_fmac_f32 v43, v7, v44 :: v_dual_mul_f32 v42, v8, v42
	s_delay_alu instid0(VALU_DEP_1) | instskip(NEXT) | instid1(VALU_DEP_1)
	v_fmac_f32_e32 v42, v6, v54
	v_dual_fmac_f32 v42, v12, v55 :: v_dual_fmac_f32 v43, v14, v45
	s_waitcnt vmcnt(7)
	v_lshlrev_b32_e32 v45, 16, v47
	v_and_b32_e32 v47, 0xffff0000, v47
	v_lshlrev_b32_e32 v44, 16, v46
	v_and_b32_e32 v46, 0xffff0000, v46
	s_waitcnt vmcnt(6)
	s_delay_alu instid0(VALU_DEP_1) | instskip(NEXT) | instid1(VALU_DEP_1)
	v_dual_fmac_f32 v43, v16, v46 :: v_dual_and_b32 v46, 0xffff0000, v48
	v_dual_fmac_f32 v43, v20, v47 :: v_dual_fmac_f32 v42, v15, v44
	v_lshlrev_b32_e32 v44, 16, v48
	s_delay_alu instid0(VALU_DEP_2) | instskip(SKIP_1) | instid1(VALU_DEP_1)
	v_fmac_f32_e32 v42, v17, v45
	s_waitcnt vmcnt(5)
	v_dual_fmac_f32 v42, v21, v44 :: v_dual_lshlrev_b32 v45, 16, v49
	v_fmac_f32_e32 v43, v22, v46
	s_waitcnt vmcnt(4)
	v_lshlrev_b32_e32 v44, 16, v50
	s_delay_alu instid0(VALU_DEP_3) | instskip(NEXT) | instid1(VALU_DEP_1)
	v_fmac_f32_e32 v42, v23, v45
	v_dual_fmac_f32 v42, v25, v44 :: v_dual_and_b32 v47, 0xffff0000, v49
	s_waitcnt vmcnt(2)
	v_lshlrev_b32_e32 v44, 16, v52
	v_lshlrev_b32_e32 v45, 16, v51
	s_delay_alu instid0(VALU_DEP_3) | instskip(NEXT) | instid1(VALU_DEP_2)
	v_fmac_f32_e32 v43, v24, v47
	v_dual_fmac_f32 v42, v27, v45 :: v_dual_and_b32 v47, 0xffff0000, v51
	s_delay_alu instid0(VALU_DEP_1)
	v_fmac_f32_e32 v42, v29, v44
	s_waitcnt vmcnt(0)
	v_lshlrev_b32_e32 v44, 16, v41
	v_and_b32_e32 v41, 0xffff0000, v41
	v_and_b32_e32 v46, 0xffff0000, v50
	v_lshlrev_b32_e32 v45, 16, v53
	s_delay_alu instid0(VALU_DEP_2) | instskip(NEXT) | instid1(VALU_DEP_1)
	v_dual_fmac_f32 v43, v26, v46 :: v_dual_and_b32 v46, 0xffff0000, v52
	v_dual_fmac_f32 v42, v31, v45 :: v_dual_fmac_f32 v43, v28, v47
	s_delay_alu instid0(VALU_DEP_1) | instskip(NEXT) | instid1(VALU_DEP_2)
	v_dual_fmac_f32 v42, v34, v44 :: v_dual_and_b32 v47, 0xffff0000, v53
	v_fmac_f32_e32 v43, v30, v46
	s_delay_alu instid0(VALU_DEP_1) | instskip(NEXT) | instid1(VALU_DEP_1)
	v_fmac_f32_e32 v43, v33, v47
	v_fmac_f32_e32 v43, v35, v41
	s_delay_alu instid0(VALU_DEP_1)
	v_add_f32_e32 v41, v42, v43
	ds_bpermute_b32 v42, v36, v41
	s_waitcnt lgkmcnt(0)
	v_add_f32_e32 v41, v41, v42
	ds_bpermute_b32 v42, v37, v41
	s_and_saveexec_b32 s3, vcc_lo
	s_cbranch_execz .LBB153_9
; %bb.11:                               ;   in Loop: Header=BB153_10 Depth=1
	s_waitcnt lgkmcnt(0)
	v_add_f32_e32 v41, v41, v42
	v_add_nc_u32_e32 v43, s6, v38
	v_cmp_gt_i32_e64 s1, s15, v38
	s_delay_alu instid0(VALU_DEP_2) | instskip(NEXT) | instid1(VALU_DEP_1)
	v_cvt_f32_i32_e32 v43, v43
	v_mul_f32_e32 v43, s30, v43
	s_delay_alu instid0(VALU_DEP_1) | instskip(NEXT) | instid1(VALU_DEP_1)
	v_cndmask_b32_e64 v42, 0, v43, s0
	v_dual_max_f32 v43, v32, v32 :: v_dual_fmac_f32 v42, s31, v41
	s_delay_alu instid0(VALU_DEP_1) | instskip(SKIP_1) | instid1(VALU_DEP_2)
	v_max_f32_e32 v41, v43, v42
	v_cndmask_b32_e64 v42, 0, v42, s1
	v_cndmask_b32_e64 v32, v32, v41, s1
	ds_store_b32 v39, v42
	s_branch .LBB153_9
.LBB153_12:
	s_or_b32 exec_lo, exec_lo, s29
.LBB153_13:
	s_delay_alu instid0(SALU_CYCLE_1)
	s_or_b32 exec_lo, exec_lo, s34
	v_xor_b32_e32 v1, 16, v4
	v_xor_b32_e32 v6, 8, v4
	;; [unrolled: 1-line block ×3, first 2 shown]
	v_max_f32_e32 v7, v32, v32
	v_and_b32_e32 v14, 31, v0
	v_cmp_lt_i32_e32 vcc_lo, v1, v5
	v_cndmask_b32_e32 v1, v4, v1, vcc_lo
	v_cmp_lt_i32_e32 vcc_lo, v6, v5
	v_cndmask_b32_e32 v6, v4, v6, vcc_lo
	v_cmp_lt_i32_e32 vcc_lo, v8, v5
	s_delay_alu instid0(VALU_DEP_2)
	v_lshlrev_b32_e32 v6, 2, v6
	v_lshlrev_b32_e32 v2, 2, v1
	v_cndmask_b32_e32 v8, v4, v8, vcc_lo
	v_cmp_eq_u32_e32 vcc_lo, 0, v14
	ds_bpermute_b32 v1, v2, v32
	s_waitcnt lgkmcnt(0)
	v_dual_max_f32 v1, v1, v1 :: v_dual_lshlrev_b32 v8, 2, v8
	s_delay_alu instid0(VALU_DEP_1) | instskip(SKIP_3) | instid1(VALU_DEP_1)
	v_max_f32_e32 v1, v7, v1
	ds_bpermute_b32 v7, v6, v1
	s_waitcnt lgkmcnt(0)
	v_max_f32_e32 v7, v7, v7
	v_max_f32_e32 v1, v1, v7
	v_lshlrev_b32_e32 v7, 2, v13
	ds_bpermute_b32 v9, v8, v1
	s_and_saveexec_b32 s0, vcc_lo
	s_cbranch_execz .LBB153_15
; %bb.14:
	s_waitcnt lgkmcnt(0)
	v_max_f32_e32 v9, v9, v9
	v_max_f32_e32 v1, v1, v1
	s_delay_alu instid0(VALU_DEP_1)
	v_max_f32_e32 v1, v1, v9
	ds_store_b32 v7, v1 offset:192
.LBB153_15:
	s_or_b32 exec_lo, exec_lo, s0
	v_cmp_gt_u32_e64 s0, 4, v14
	v_mov_b32_e32 v1, 0xff7fffff
	v_lshlrev_b32_e32 v15, 2, v14
	s_waitcnt lgkmcnt(0)
	s_barrier
	buffer_gl0_inv
	s_and_saveexec_b32 s1, s0
	s_cbranch_execz .LBB153_17
; %bb.16:
	ds_load_b32 v1, v15 offset:192
.LBB153_17:
	s_or_b32 exec_lo, exec_lo, s1
	v_xor_b32_e32 v9, 2, v4
	v_xor_b32_e32 v16, 1, v4
	s_delay_alu instid0(VALU_DEP_2) | instskip(NEXT) | instid1(VALU_DEP_1)
	v_cmp_lt_i32_e64 s1, v9, v5
	v_cndmask_b32_e64 v9, v4, v9, s1
	s_delay_alu instid0(VALU_DEP_3) | instskip(NEXT) | instid1(VALU_DEP_2)
	v_cmp_lt_i32_e64 s1, v16, v5
	v_lshlrev_b32_e32 v9, 2, v9
	s_delay_alu instid0(VALU_DEP_2)
	v_cndmask_b32_e64 v5, v4, v16, s1
	v_lshlrev_b32_e32 v4, 2, v4
	s_sub_i32 s1, s17, s7
	v_mov_b32_e32 v16, 0
	s_waitcnt lgkmcnt(0)
	ds_bpermute_b32 v12, v9, v1
	v_max_f32_e32 v1, v1, v1
	v_lshlrev_b32_e32 v5, 2, v5
	s_lshl_b32 s1, s1, 3
	s_delay_alu instid0(SALU_CYCLE_1) | instskip(NEXT) | instid1(SALU_CYCLE_1)
	s_add_i32 s1, s1, s33
	s_min_i32 s1, s1, s15
	s_delay_alu instid0(SALU_CYCLE_1) | instskip(NEXT) | instid1(SALU_CYCLE_1)
	s_sub_i32 s6, s1, s33
	v_cmp_gt_i32_e64 s1, s6, v0
	s_waitcnt lgkmcnt(0)
	v_max_f32_e32 v12, v12, v12
	s_delay_alu instid0(VALU_DEP_1) | instskip(SKIP_3) | instid1(VALU_DEP_1)
	v_max_f32_e32 v1, v1, v12
	ds_bpermute_b32 v12, v5, v1
	s_waitcnt lgkmcnt(0)
	v_max_f32_e32 v12, v12, v12
	v_max_f32_e32 v1, v1, v12
	v_and_b32_e32 v12, 0xffffff80, v4
	v_lshl_add_u32 v4, v0, 2, 0xe0
	ds_bpermute_b32 v1, v12, v1
	s_and_saveexec_b32 s7, s1
	s_cbranch_execz .LBB153_21
; %bb.18:
	v_lshl_add_u32 v17, v0, 2, 0xe0
	v_mov_b32_e32 v16, 0
	v_mov_b32_e32 v18, v0
	s_mov_b32 s29, 0
	.p2align	6
.LBB153_19:                             ; =>This Inner Loop Header: Depth=1
	ds_load_b32 v19, v17
	v_add_nc_u32_e32 v18, 0x80, v18
	s_delay_alu instid0(VALU_DEP_1) | instskip(NEXT) | instid1(VALU_DEP_1)
	v_cmp_le_i32_e64 s3, s6, v18
	s_or_b32 s29, s3, s29
	s_waitcnt lgkmcnt(0)
	v_sub_f32_e32 v19, v19, v1
	s_delay_alu instid0(VALU_DEP_1) | instskip(NEXT) | instid1(VALU_DEP_1)
	v_mul_f32_e32 v19, 0x3fb8aa3b, v19
	v_exp_f32_e32 v19, v19
	ds_store_b32 v17, v19
	v_dual_add_f32 v16, v16, v19 :: v_dual_add_nc_u32 v17, 0x200, v17
	s_and_not1_b32 exec_lo, exec_lo, s29
	s_cbranch_execnz .LBB153_19
; %bb.20:
	s_or_b32 exec_lo, exec_lo, s29
.LBB153_21:
	s_delay_alu instid0(SALU_CYCLE_1)
	s_or_b32 exec_lo, exec_lo, s7
	ds_bpermute_b32 v2, v2, v16
	s_waitcnt lgkmcnt(0)
	v_add_f32_e32 v2, v16, v2
	ds_bpermute_b32 v6, v6, v2
	s_waitcnt lgkmcnt(0)
	v_add_f32_e32 v2, v2, v6
	;; [unrolled: 3-line block ×5, first 2 shown]
	s_and_saveexec_b32 s3, vcc_lo
	s_cbranch_execz .LBB153_23
; %bb.22:
	ds_store_b32 v7, v2 offset:208
.LBB153_23:
	s_or_b32 exec_lo, exec_lo, s3
	s_waitcnt lgkmcnt(0)
	s_barrier
	buffer_gl0_inv
	s_and_saveexec_b32 s3, s0
	s_cbranch_execz .LBB153_25
; %bb.24:
	ds_load_b32 v2, v15 offset:208
.LBB153_25:
	s_or_b32 exec_lo, exec_lo, s3
	s_waitcnt lgkmcnt(0)
	ds_bpermute_b32 v6, v9, v2
	s_waitcnt lgkmcnt(0)
	v_add_f32_e32 v2, v2, v6
	ds_bpermute_b32 v5, v5, v2
	s_waitcnt lgkmcnt(0)
	v_add_f32_e32 v2, v2, v5
	ds_bpermute_b32 v2, v12, v2
	s_and_saveexec_b32 s0, s1
	s_cbranch_execz .LBB153_28
; %bb.26:
	s_waitcnt lgkmcnt(0)
	v_add_f32_e32 v5, 0x358637bd, v2
	s_mov_b32 s1, 0
	s_delay_alu instid0(VALU_DEP_1) | instskip(SKIP_1) | instid1(VALU_DEP_2)
	v_div_scale_f32 v6, null, v5, v5, 1.0
	v_div_scale_f32 v9, vcc_lo, 1.0, v5, 1.0
	v_rcp_f32_e32 v7, v6
	s_waitcnt_depctr 0xfff
	v_fma_f32 v8, -v6, v7, 1.0
	s_delay_alu instid0(VALU_DEP_1) | instskip(NEXT) | instid1(VALU_DEP_1)
	v_fmac_f32_e32 v7, v8, v7
	v_mul_f32_e32 v8, v9, v7
	s_delay_alu instid0(VALU_DEP_1) | instskip(NEXT) | instid1(VALU_DEP_1)
	v_fma_f32 v12, -v6, v8, v9
	v_fmac_f32_e32 v8, v12, v7
	s_delay_alu instid0(VALU_DEP_1) | instskip(NEXT) | instid1(VALU_DEP_1)
	v_fma_f32 v6, -v6, v8, v9
	v_div_fmas_f32 v6, v6, v7, v8
	s_delay_alu instid0(VALU_DEP_1)
	v_div_fixup_f32 v5, v6, v5, 1.0
	v_mov_b32_e32 v6, v0
.LBB153_27:                             ; =>This Inner Loop Header: Depth=1
	ds_load_b32 v7, v4
	s_waitcnt lgkmcnt(0)
	v_dual_mul_f32 v7, v5, v7 :: v_dual_add_nc_u32 v6, 0x80, v6
	s_delay_alu instid0(VALU_DEP_1) | instskip(SKIP_3) | instid1(SALU_CYCLE_1)
	v_cmp_le_i32_e32 vcc_lo, s6, v6
	ds_store_b32 v4, v7
	v_add_nc_u32_e32 v4, 0x200, v4
	s_or_b32 s1, vcc_lo, s1
	s_and_not1_b32 exec_lo, exec_lo, s1
	s_cbranch_execnz .LBB153_27
.LBB153_28:
	s_or_b32 exec_lo, exec_lo, s0
	s_mul_i32 s0, s4, s14
	s_waitcnt lgkmcnt(0)
	s_mul_i32 s6, s0, s13
	s_mov_b32 s0, exec_lo
	s_barrier
	buffer_gl0_inv
	v_cmpx_eq_u32_e32 0, v0
	s_cbranch_execz .LBB153_30
; %bb.29:
	s_ashr_i32 s7, s6, 31
	s_mul_i32 s34, s4, s20
	s_lshl_b64 s[30:31], s[6:7], 2
	v_mov_b32_e32 v4, 0
	s_add_u32 s1, s10, s30
	s_addc_u32 s3, s11, s31
	s_ashr_i32 s35, s34, 31
	s_delay_alu instid0(SALU_CYCLE_1) | instskip(NEXT) | instid1(SALU_CYCLE_1)
	s_lshl_b64 s[10:11], s[34:35], 2
	s_add_u32 s1, s1, s10
	s_addc_u32 s3, s3, s11
	s_ashr_i32 s13, s12, 31
	s_delay_alu instid0(SALU_CYCLE_1) | instskip(NEXT) | instid1(SALU_CYCLE_1)
	s_lshl_b64 s[34:35], s[12:13], 2
	s_add_u32 s36, s1, s34
	s_addc_u32 s37, s3, s35
	s_add_u32 s1, s8, s30
	s_addc_u32 s3, s9, s31
	;; [unrolled: 2-line block ×4, first 2 shown]
	s_clause 0x1
	global_store_b32 v4, v1, s[36:37]
	global_store_b32 v4, v2, s[8:9]
.LBB153_30:
	s_or_b32 exec_lo, exec_lo, s0
	v_dual_mov_b32 v9, 0 :: v_dual_mov_b32 v16, 0
	v_mov_b32_e32 v17, 0
	s_mov_b32 s3, 0
	s_and_saveexec_b32 s1, s2
	s_cbranch_execz .LBB153_168
; %bb.31:
	s_ashr_i32 s29, s28, 31
	v_mov_b32_e32 v17, 0
	v_lshlrev_b32_e32 v1, 4, v14
	s_lshl_b64 s[8:9], s[28:29], 1
	v_add3_u32 v20, s33, v3, 7
	s_add_u32 s0, s26, s8
	v_mov_b32_e32 v16, v17
	v_add_co_u32 v18, s0, s0, v1
	v_lshlrev_b64 v[1:2], 2, v[10:11]
	s_addc_u32 s7, s27, s9
	s_lshl_b64 s[8:9], s[24:25], 2
	s_add_i32 s2, s21, -1
	v_add_co_ci_u32_e64 v19, null, s7, 0, s0
	s_add_u32 s0, s22, s8
	s_addc_u32 s7, s23, s9
	v_add_co_u32 v11, vcc_lo, s0, v1
	v_lshl_add_u32 v21, v13, 5, 0xe0
	v_add_co_ci_u32_e32 v12, vcc_lo, s7, v2, vcc_lo
	v_mov_b32_e32 v9, v17
	s_branch .LBB153_33
.LBB153_32:                             ;   in Loop: Header=BB153_33 Depth=1
	s_or_b32 exec_lo, exec_lo, s0
	v_and_b32_e32 v24, 0xffff0000, v24
	v_and_b32_e32 v30, 0xffff0000, v43
	v_and_b32_e32 v23, 0xffff0000, v23
	v_and_b32_e32 v25, 0xffff0000, v25
	v_and_b32_e32 v8, 0xffff0000, v8
	v_and_b32_e32 v3, 0xffff0000, v3
	v_and_b32_e32 v7, 0xffff0000, v7
	v_and_b32_e32 v22, 0xffff0000, v22
	v_and_b32_e32 v27, 0xffff0000, v27
	v_and_b32_e32 v6, 0xffff0000, v6
	v_and_b32_e32 v1, 0xffff0000, v1
	s_delay_alu instid0(VALU_DEP_4) | instskip(SKIP_2) | instid1(VALU_DEP_4)
	v_dual_add_f32 v7, v7, v8 :: v_dual_add_f32 v8, v22, v23
	v_dual_add_f32 v23, v24, v25 :: v_dual_and_b32 v22, 0xffff0000, v26
	v_and_b32_e32 v2, 0xffff0000, v2
	v_dual_add_f32 v1, v1, v6 :: v_dual_and_b32 v24, 0xffff0000, v48
	s_delay_alu instid0(VALU_DEP_4) | instskip(NEXT) | instid1(VALU_DEP_3)
	v_add_f32_e32 v7, v7, v8
	v_dual_add_f32 v2, v2, v27 :: v_dual_and_b32 v31, 0xffff0000, v49
	v_add_nc_u32_e32 v10, 4, v10
	v_add_co_u32 v11, s0, v11, 16
	s_delay_alu instid0(VALU_DEP_4)
	v_add_f32_e32 v7, v7, v23
	v_and_b32_e32 v23, 0xffff0000, v45
	v_and_b32_e32 v32, 0xffff0000, v50
	;; [unrolled: 1-line block ×5, first 2 shown]
	v_dual_add_f32 v1, v1, v2 :: v_dual_and_b32 v28, 0xffff0000, v44
	v_cmp_le_i32_e32 vcc_lo, s17, v10
	s_delay_alu instid0(VALU_DEP_4) | instskip(SKIP_3) | instid1(VALU_DEP_4)
	v_dual_add_f32 v23, v23, v26 :: v_dual_and_b32 v26, 0xffff0000, v29
	v_add_nc_u32_e32 v21, 0x80, v21
	v_add_nc_u32_e32 v20, 32, v20
	v_add_co_ci_u32_e64 v12, s0, 0, v12, s0
	v_dual_add_f32 v2, v3, v26 :: v_dual_and_b32 v3, 0xffff0000, v5
	v_add_f32_e32 v5, v22, v8
	v_add_f32_e32 v28, v30, v28
	s_or_b32 s3, vcc_lo, s3
	s_delay_alu instid0(VALU_DEP_3) | instskip(NEXT) | instid1(VALU_DEP_2)
	v_dual_add_f32 v1, v1, v2 :: v_dual_and_b32 v4, 0xffff0000, v4
	v_add_f32_e32 v6, v28, v23
	s_delay_alu instid0(VALU_DEP_2) | instskip(SKIP_2) | instid1(VALU_DEP_3)
	v_dual_add_f32 v2, v4, v3 :: v_dual_add_f32 v3, v7, v5
	v_add_f32_e32 v8, v31, v32
	v_add_f32_e32 v23, v25, v24
	;; [unrolled: 1-line block ×3, first 2 shown]
	s_delay_alu instid0(VALU_DEP_4) | instskip(NEXT) | instid1(VALU_DEP_2)
	v_add_f32_e32 v17, v17, v3
	v_dual_add_f32 v6, v6, v23 :: v_dual_add_f32 v9, v9, v1
	s_delay_alu instid0(VALU_DEP_1) | instskip(NEXT) | instid1(VALU_DEP_1)
	v_add_f32_e32 v4, v6, v8
	v_add_f32_e32 v16, v16, v4
	s_and_not1_b32 exec_lo, exec_lo, s3
	s_cbranch_execz .LBB153_167
.LBB153_33:                             ; =>This Inner Loop Header: Depth=1
	global_load_b32 v27, v[11:12], off
	ds_load_2addr_b64 v[5:8], v21 offset1:1
	ds_load_2addr_b64 v[1:4], v21 offset0:2 offset1:3
	s_mov_b32 s0, exec_lo
                                        ; implicit-def: $vgpr35
	s_waitcnt lgkmcnt(1)
	v_and_b32_e32 v22, 0x7f800000, v5
	s_delay_alu instid0(VALU_DEP_1)
	v_cmpx_ne_u32_e32 0x7f800000, v22
	s_xor_b32 s0, exec_lo, s0
; %bb.34:                               ;   in Loop: Header=BB153_33 Depth=1
	v_bfe_u32 v22, v5, 16, 1
	s_delay_alu instid0(VALU_DEP_1)
	v_add3_u32 v35, v5, v22, 0x7fff
; %bb.35:                               ;   in Loop: Header=BB153_33 Depth=1
	s_and_not1_saveexec_b32 s0, s0
; %bb.36:                               ;   in Loop: Header=BB153_33 Depth=1
	v_and_b32_e32 v22, 0xffff, v5
	v_or_b32_e32 v23, 0x10000, v5
	s_delay_alu instid0(VALU_DEP_2) | instskip(NEXT) | instid1(VALU_DEP_2)
	v_cmp_eq_u32_e32 vcc_lo, 0, v22
	v_cndmask_b32_e32 v35, v23, v5, vcc_lo
; %bb.37:                               ;   in Loop: Header=BB153_33 Depth=1
	s_or_b32 exec_lo, exec_lo, s0
	v_and_b32_e32 v5, 0x7f800000, v6
	s_mov_b32 s0, exec_lo
                                        ; implicit-def: $vgpr36
	s_delay_alu instid0(VALU_DEP_1)
	v_cmpx_ne_u32_e32 0x7f800000, v5
	s_xor_b32 s0, exec_lo, s0
; %bb.38:                               ;   in Loop: Header=BB153_33 Depth=1
	v_bfe_u32 v5, v6, 16, 1
	s_delay_alu instid0(VALU_DEP_1)
	v_add3_u32 v36, v6, v5, 0x7fff
; %bb.39:                               ;   in Loop: Header=BB153_33 Depth=1
	s_and_not1_saveexec_b32 s0, s0
; %bb.40:                               ;   in Loop: Header=BB153_33 Depth=1
	v_and_b32_e32 v5, 0xffff, v6
	v_or_b32_e32 v22, 0x10000, v6
	s_delay_alu instid0(VALU_DEP_2) | instskip(NEXT) | instid1(VALU_DEP_2)
	v_cmp_eq_u32_e32 vcc_lo, 0, v5
	v_cndmask_b32_e32 v36, v22, v6, vcc_lo
; %bb.41:                               ;   in Loop: Header=BB153_33 Depth=1
	s_or_b32 exec_lo, exec_lo, s0
	v_and_b32_e32 v5, 0x7f800000, v7
	s_mov_b32 s0, exec_lo
                                        ; implicit-def: $vgpr22
	s_delay_alu instid0(VALU_DEP_1)
	v_cmpx_ne_u32_e32 0x7f800000, v5
	s_xor_b32 s0, exec_lo, s0
; %bb.42:                               ;   in Loop: Header=BB153_33 Depth=1
	v_bfe_u32 v5, v7, 16, 1
	s_delay_alu instid0(VALU_DEP_1)
	v_add3_u32 v22, v7, v5, 0x7fff
; %bb.43:                               ;   in Loop: Header=BB153_33 Depth=1
	s_and_not1_saveexec_b32 s0, s0
; %bb.44:                               ;   in Loop: Header=BB153_33 Depth=1
	v_and_b32_e32 v5, 0xffff, v7
	v_or_b32_e32 v6, 0x10000, v7
	s_delay_alu instid0(VALU_DEP_2) | instskip(NEXT) | instid1(VALU_DEP_2)
	v_cmp_eq_u32_e32 vcc_lo, 0, v5
	v_cndmask_b32_e32 v22, v6, v7, vcc_lo
; %bb.45:                               ;   in Loop: Header=BB153_33 Depth=1
	s_or_b32 exec_lo, exec_lo, s0
	v_and_b32_e32 v5, 0x7f800000, v8
	s_mov_b32 s0, exec_lo
                                        ; implicit-def: $vgpr23
	s_delay_alu instid0(VALU_DEP_1)
	v_cmpx_ne_u32_e32 0x7f800000, v5
	s_xor_b32 s0, exec_lo, s0
; %bb.46:                               ;   in Loop: Header=BB153_33 Depth=1
	v_bfe_u32 v5, v8, 16, 1
	s_delay_alu instid0(VALU_DEP_1)
	v_add3_u32 v23, v8, v5, 0x7fff
                                        ; implicit-def: $vgpr5_vgpr6_vgpr7_vgpr8
; %bb.47:                               ;   in Loop: Header=BB153_33 Depth=1
	s_and_not1_saveexec_b32 s0, s0
; %bb.48:                               ;   in Loop: Header=BB153_33 Depth=1
	v_and_b32_e32 v5, 0xffff, v8
	v_or_b32_e32 v6, 0x10000, v8
	s_delay_alu instid0(VALU_DEP_2) | instskip(NEXT) | instid1(VALU_DEP_2)
	v_cmp_eq_u32_e32 vcc_lo, 0, v5
	v_cndmask_b32_e32 v23, v6, v8, vcc_lo
; %bb.49:                               ;   in Loop: Header=BB153_33 Depth=1
	s_or_b32 exec_lo, exec_lo, s0
	s_waitcnt lgkmcnt(0)
	v_and_b32_e32 v5, 0x7f800000, v1
	s_mov_b32 s0, exec_lo
                                        ; implicit-def: $vgpr24
	s_delay_alu instid0(VALU_DEP_1)
	v_cmpx_ne_u32_e32 0x7f800000, v5
	s_xor_b32 s0, exec_lo, s0
; %bb.50:                               ;   in Loop: Header=BB153_33 Depth=1
	v_bfe_u32 v5, v1, 16, 1
	s_delay_alu instid0(VALU_DEP_1)
	v_add3_u32 v24, v1, v5, 0x7fff
; %bb.51:                               ;   in Loop: Header=BB153_33 Depth=1
	s_and_not1_saveexec_b32 s0, s0
; %bb.52:                               ;   in Loop: Header=BB153_33 Depth=1
	v_and_b32_e32 v5, 0xffff, v1
	v_or_b32_e32 v6, 0x10000, v1
	s_delay_alu instid0(VALU_DEP_2) | instskip(NEXT) | instid1(VALU_DEP_2)
	v_cmp_eq_u32_e32 vcc_lo, 0, v5
	v_cndmask_b32_e32 v24, v6, v1, vcc_lo
; %bb.53:                               ;   in Loop: Header=BB153_33 Depth=1
	s_or_b32 exec_lo, exec_lo, s0
	v_and_b32_e32 v1, 0x7f800000, v2
	s_mov_b32 s0, exec_lo
                                        ; implicit-def: $vgpr25
	s_delay_alu instid0(VALU_DEP_1)
	v_cmpx_ne_u32_e32 0x7f800000, v1
	s_xor_b32 s0, exec_lo, s0
; %bb.54:                               ;   in Loop: Header=BB153_33 Depth=1
	v_bfe_u32 v1, v2, 16, 1
	s_delay_alu instid0(VALU_DEP_1)
	v_add3_u32 v25, v2, v1, 0x7fff
; %bb.55:                               ;   in Loop: Header=BB153_33 Depth=1
	s_and_not1_saveexec_b32 s0, s0
; %bb.56:                               ;   in Loop: Header=BB153_33 Depth=1
	v_and_b32_e32 v1, 0xffff, v2
	v_or_b32_e32 v5, 0x10000, v2
	s_delay_alu instid0(VALU_DEP_2) | instskip(NEXT) | instid1(VALU_DEP_2)
	v_cmp_eq_u32_e32 vcc_lo, 0, v1
	v_cndmask_b32_e32 v25, v5, v2, vcc_lo
; %bb.57:                               ;   in Loop: Header=BB153_33 Depth=1
	s_or_b32 exec_lo, exec_lo, s0
	v_and_b32_e32 v1, 0x7f800000, v3
	s_mov_b32 s0, exec_lo
                                        ; implicit-def: $vgpr26
	s_delay_alu instid0(VALU_DEP_1)
	v_cmpx_ne_u32_e32 0x7f800000, v1
	s_xor_b32 s0, exec_lo, s0
; %bb.58:                               ;   in Loop: Header=BB153_33 Depth=1
	v_bfe_u32 v1, v3, 16, 1
	s_delay_alu instid0(VALU_DEP_1)
	v_add3_u32 v26, v3, v1, 0x7fff
; %bb.59:                               ;   in Loop: Header=BB153_33 Depth=1
	s_and_not1_saveexec_b32 s0, s0
; %bb.60:                               ;   in Loop: Header=BB153_33 Depth=1
	v_and_b32_e32 v1, 0xffff, v3
	v_or_b32_e32 v2, 0x10000, v3
	s_delay_alu instid0(VALU_DEP_2) | instskip(NEXT) | instid1(VALU_DEP_2)
	v_cmp_eq_u32_e32 vcc_lo, 0, v1
	v_cndmask_b32_e32 v26, v2, v3, vcc_lo
; %bb.61:                               ;   in Loop: Header=BB153_33 Depth=1
	s_or_b32 exec_lo, exec_lo, s0
	v_and_b32_e32 v1, 0x7f800000, v4
	s_mov_b32 s0, exec_lo
                                        ; implicit-def: $vgpr28
	s_delay_alu instid0(VALU_DEP_1)
	v_cmpx_ne_u32_e32 0x7f800000, v1
	s_xor_b32 s0, exec_lo, s0
; %bb.62:                               ;   in Loop: Header=BB153_33 Depth=1
	v_bfe_u32 v1, v4, 16, 1
	s_delay_alu instid0(VALU_DEP_1)
	v_add3_u32 v28, v4, v1, 0x7fff
                                        ; implicit-def: $vgpr1_vgpr2_vgpr3_vgpr4
; %bb.63:                               ;   in Loop: Header=BB153_33 Depth=1
	s_and_not1_saveexec_b32 s0, s0
; %bb.64:                               ;   in Loop: Header=BB153_33 Depth=1
	v_and_b32_e32 v1, 0xffff, v4
	v_or_b32_e32 v2, 0x10000, v4
	s_delay_alu instid0(VALU_DEP_2) | instskip(NEXT) | instid1(VALU_DEP_2)
	v_cmp_eq_u32_e32 vcc_lo, 0, v1
	v_cndmask_b32_e32 v28, v2, v4, vcc_lo
; %bb.65:                               ;   in Loop: Header=BB153_33 Depth=1
	s_or_b32 exec_lo, exec_lo, s0
	s_waitcnt vmcnt(0)
	v_mad_i64_i32 v[1:2], null, v27, s5, 0
	v_add_nc_u32_e32 v27, -7, v20
	v_add_nc_u32_e32 v34, -6, v20
	;; [unrolled: 1-line block ×6, first 2 shown]
	v_lshlrev_b64 v[1:2], 1, v[1:2]
	v_add_nc_u32_e32 v33, -1, v20
	s_delay_alu instid0(VALU_DEP_2) | instskip(NEXT) | instid1(VALU_DEP_3)
	v_add_co_u32 v5, vcc_lo, v18, v1
	v_add_co_ci_u32_e32 v6, vcc_lo, v19, v2, vcc_lo
	v_cmp_eq_u32_e32 vcc_lo, s2, v10
	global_load_b128 v[1:4], v[5:6], off
	s_waitcnt vmcnt(0)
	v_lshrrev_b32_e32 v8, 16, v1
	v_lshrrev_b32_e32 v39, 16, v2
	;; [unrolled: 1-line block ×4, first 2 shown]
	s_and_saveexec_b32 s7, vcc_lo
	s_cbranch_execz .LBB153_67
; %bb.66:                               ;   in Loop: Header=BB153_33 Depth=1
	v_cmp_gt_i32_e64 s0, s15, v27
	s_delay_alu instid0(VALU_DEP_1) | instskip(SKIP_1) | instid1(VALU_DEP_1)
	v_cndmask_b32_e64 v1, 0, v1, s0
	v_cmp_gt_i32_e64 s0, s15, v34
	v_cndmask_b32_e64 v8, 0, v8, s0
	v_cmp_gt_i32_e64 s0, s15, v32
	s_delay_alu instid0(VALU_DEP_1) | instskip(SKIP_1) | instid1(VALU_DEP_1)
	v_cndmask_b32_e64 v2, 0, v2, s0
	v_cmp_gt_i32_e64 s0, s15, v31
	v_cndmask_b32_e64 v39, 0, v39, s0
	;; [unrolled: 5-line block ×4, first 2 shown]
.LBB153_67:                             ;   in Loop: Header=BB153_33 Depth=1
	s_or_b32 exec_lo, exec_lo, s7
	v_and_b32_e32 v35, 0xffff0000, v35
	v_lshlrev_b32_e32 v1, 16, v1
	s_delay_alu instid0(VALU_DEP_1) | instskip(NEXT) | instid1(VALU_DEP_1)
	v_mul_f32_e32 v1, v35, v1
	v_and_b32_e32 v7, 0x7f800000, v1
	s_delay_alu instid0(VALU_DEP_1) | instskip(NEXT) | instid1(VALU_DEP_1)
	v_cmp_ne_u32_e64 s0, 0x7f800000, v7
                                        ; implicit-def: $vgpr7
	s_and_saveexec_b32 s7, s0
	s_delay_alu instid0(SALU_CYCLE_1)
	s_xor_b32 s0, exec_lo, s7
; %bb.68:                               ;   in Loop: Header=BB153_33 Depth=1
	v_bfe_u32 v7, v1, 16, 1
	s_delay_alu instid0(VALU_DEP_1)
	v_add3_u32 v7, v1, v7, 0x7fff
                                        ; implicit-def: $vgpr1
; %bb.69:                               ;   in Loop: Header=BB153_33 Depth=1
	s_and_not1_saveexec_b32 s7, s0
; %bb.70:                               ;   in Loop: Header=BB153_33 Depth=1
	v_and_b32_e32 v7, 0xffff, v1
	v_or_b32_e32 v37, 0x10000, v1
	s_delay_alu instid0(VALU_DEP_2) | instskip(NEXT) | instid1(VALU_DEP_1)
	v_cmp_eq_u32_e64 s0, 0, v7
	v_cndmask_b32_e64 v7, v37, v1, s0
; %bb.71:                               ;   in Loop: Header=BB153_33 Depth=1
	s_or_b32 exec_lo, exec_lo, s7
	v_and_b32_e32 v36, 0xffff0000, v36
	v_lshlrev_b32_e32 v1, 16, v8
	s_delay_alu instid0(VALU_DEP_1) | instskip(NEXT) | instid1(VALU_DEP_1)
	v_mul_f32_e32 v1, v36, v1
	v_and_b32_e32 v8, 0x7f800000, v1
	s_delay_alu instid0(VALU_DEP_1) | instskip(NEXT) | instid1(VALU_DEP_1)
	v_cmp_ne_u32_e64 s0, 0x7f800000, v8
                                        ; implicit-def: $vgpr8
	s_and_saveexec_b32 s7, s0
	s_delay_alu instid0(SALU_CYCLE_1)
	s_xor_b32 s0, exec_lo, s7
; %bb.72:                               ;   in Loop: Header=BB153_33 Depth=1
	v_bfe_u32 v8, v1, 16, 1
	s_delay_alu instid0(VALU_DEP_1)
	v_add3_u32 v8, v1, v8, 0x7fff
                                        ; implicit-def: $vgpr1
; %bb.73:                               ;   in Loop: Header=BB153_33 Depth=1
	s_and_not1_saveexec_b32 s7, s0
; %bb.74:                               ;   in Loop: Header=BB153_33 Depth=1
	v_and_b32_e32 v8, 0xffff, v1
	v_or_b32_e32 v37, 0x10000, v1
	s_delay_alu instid0(VALU_DEP_2) | instskip(NEXT) | instid1(VALU_DEP_1)
	v_cmp_eq_u32_e64 s0, 0, v8
	v_cndmask_b32_e64 v8, v37, v1, s0
; %bb.75:                               ;   in Loop: Header=BB153_33 Depth=1
	s_or_b32 exec_lo, exec_lo, s7
	v_and_b32_e32 v37, 0xffff0000, v22
	v_lshlrev_b32_e32 v1, 16, v2
                                        ; implicit-def: $vgpr22
	s_delay_alu instid0(VALU_DEP_1) | instskip(NEXT) | instid1(VALU_DEP_1)
	v_mul_f32_e32 v1, v37, v1
	v_and_b32_e32 v2, 0x7f800000, v1
	s_delay_alu instid0(VALU_DEP_1) | instskip(NEXT) | instid1(VALU_DEP_1)
	v_cmp_ne_u32_e64 s0, 0x7f800000, v2
	s_and_saveexec_b32 s7, s0
	s_delay_alu instid0(SALU_CYCLE_1)
	s_xor_b32 s0, exec_lo, s7
; %bb.76:                               ;   in Loop: Header=BB153_33 Depth=1
	v_bfe_u32 v2, v1, 16, 1
	s_delay_alu instid0(VALU_DEP_1)
	v_add3_u32 v22, v1, v2, 0x7fff
                                        ; implicit-def: $vgpr1
; %bb.77:                               ;   in Loop: Header=BB153_33 Depth=1
	s_and_not1_saveexec_b32 s7, s0
; %bb.78:                               ;   in Loop: Header=BB153_33 Depth=1
	v_and_b32_e32 v2, 0xffff, v1
	v_or_b32_e32 v22, 0x10000, v1
	s_delay_alu instid0(VALU_DEP_2) | instskip(NEXT) | instid1(VALU_DEP_1)
	v_cmp_eq_u32_e64 s0, 0, v2
	v_cndmask_b32_e64 v22, v22, v1, s0
; %bb.79:                               ;   in Loop: Header=BB153_33 Depth=1
	s_or_b32 exec_lo, exec_lo, s7
	v_and_b32_e32 v38, 0xffff0000, v23
	v_lshlrev_b32_e32 v1, 16, v39
                                        ; implicit-def: $vgpr23
	s_delay_alu instid0(VALU_DEP_1) | instskip(NEXT) | instid1(VALU_DEP_1)
	v_mul_f32_e32 v1, v38, v1
	v_and_b32_e32 v2, 0x7f800000, v1
	s_delay_alu instid0(VALU_DEP_1) | instskip(NEXT) | instid1(VALU_DEP_1)
	v_cmp_ne_u32_e64 s0, 0x7f800000, v2
	s_and_saveexec_b32 s7, s0
	s_delay_alu instid0(SALU_CYCLE_1)
	s_xor_b32 s0, exec_lo, s7
; %bb.80:                               ;   in Loop: Header=BB153_33 Depth=1
	v_bfe_u32 v2, v1, 16, 1
	s_delay_alu instid0(VALU_DEP_1)
	v_add3_u32 v23, v1, v2, 0x7fff
                                        ; implicit-def: $vgpr1
; %bb.81:                               ;   in Loop: Header=BB153_33 Depth=1
	s_and_not1_saveexec_b32 s7, s0
; %bb.82:                               ;   in Loop: Header=BB153_33 Depth=1
	v_and_b32_e32 v2, 0xffff, v1
	v_or_b32_e32 v23, 0x10000, v1
	s_delay_alu instid0(VALU_DEP_2) | instskip(NEXT) | instid1(VALU_DEP_1)
	v_cmp_eq_u32_e64 s0, 0, v2
	v_cndmask_b32_e64 v23, v23, v1, s0
; %bb.83:                               ;   in Loop: Header=BB153_33 Depth=1
	s_or_b32 exec_lo, exec_lo, s7
	v_and_b32_e32 v39, 0xffff0000, v24
	v_lshlrev_b32_e32 v1, 16, v3
                                        ; implicit-def: $vgpr24
	s_delay_alu instid0(VALU_DEP_1) | instskip(NEXT) | instid1(VALU_DEP_1)
	v_mul_f32_e32 v1, v39, v1
	v_and_b32_e32 v2, 0x7f800000, v1
	s_delay_alu instid0(VALU_DEP_1) | instskip(NEXT) | instid1(VALU_DEP_1)
	v_cmp_ne_u32_e64 s0, 0x7f800000, v2
	s_and_saveexec_b32 s7, s0
	s_delay_alu instid0(SALU_CYCLE_1)
	s_xor_b32 s0, exec_lo, s7
; %bb.84:                               ;   in Loop: Header=BB153_33 Depth=1
	v_bfe_u32 v2, v1, 16, 1
	s_delay_alu instid0(VALU_DEP_1)
	v_add3_u32 v24, v1, v2, 0x7fff
                                        ; implicit-def: $vgpr1
; %bb.85:                               ;   in Loop: Header=BB153_33 Depth=1
	s_and_not1_saveexec_b32 s7, s0
; %bb.86:                               ;   in Loop: Header=BB153_33 Depth=1
	v_and_b32_e32 v2, 0xffff, v1
	v_or_b32_e32 v3, 0x10000, v1
	s_delay_alu instid0(VALU_DEP_2) | instskip(NEXT) | instid1(VALU_DEP_1)
	v_cmp_eq_u32_e64 s0, 0, v2
	v_cndmask_b32_e64 v24, v3, v1, s0
; %bb.87:                               ;   in Loop: Header=BB153_33 Depth=1
	s_or_b32 exec_lo, exec_lo, s7
	v_and_b32_e32 v40, 0xffff0000, v25
	v_lshlrev_b32_e32 v1, 16, v41
                                        ; implicit-def: $vgpr25
	s_delay_alu instid0(VALU_DEP_1) | instskip(NEXT) | instid1(VALU_DEP_1)
	v_mul_f32_e32 v1, v40, v1
	v_and_b32_e32 v2, 0x7f800000, v1
	s_delay_alu instid0(VALU_DEP_1) | instskip(NEXT) | instid1(VALU_DEP_1)
	v_cmp_ne_u32_e64 s0, 0x7f800000, v2
	s_and_saveexec_b32 s7, s0
	s_delay_alu instid0(SALU_CYCLE_1)
	s_xor_b32 s0, exec_lo, s7
; %bb.88:                               ;   in Loop: Header=BB153_33 Depth=1
	v_bfe_u32 v2, v1, 16, 1
	s_delay_alu instid0(VALU_DEP_1)
	v_add3_u32 v25, v1, v2, 0x7fff
                                        ; implicit-def: $vgpr1
; %bb.89:                               ;   in Loop: Header=BB153_33 Depth=1
	s_and_not1_saveexec_b32 s7, s0
; %bb.90:                               ;   in Loop: Header=BB153_33 Depth=1
	v_and_b32_e32 v2, 0xffff, v1
	v_or_b32_e32 v3, 0x10000, v1
	s_delay_alu instid0(VALU_DEP_2) | instskip(NEXT) | instid1(VALU_DEP_1)
	v_cmp_eq_u32_e64 s0, 0, v2
	v_cndmask_b32_e64 v25, v3, v1, s0
; %bb.91:                               ;   in Loop: Header=BB153_33 Depth=1
	s_or_b32 exec_lo, exec_lo, s7
	v_and_b32_e32 v41, 0xffff0000, v26
	v_lshlrev_b32_e32 v1, 16, v4
                                        ; implicit-def: $vgpr26
	s_delay_alu instid0(VALU_DEP_1) | instskip(NEXT) | instid1(VALU_DEP_1)
	v_mul_f32_e32 v1, v41, v1
	v_and_b32_e32 v2, 0x7f800000, v1
	s_delay_alu instid0(VALU_DEP_1) | instskip(NEXT) | instid1(VALU_DEP_1)
	v_cmp_ne_u32_e64 s0, 0x7f800000, v2
	s_and_saveexec_b32 s7, s0
	s_delay_alu instid0(SALU_CYCLE_1)
	s_xor_b32 s0, exec_lo, s7
; %bb.92:                               ;   in Loop: Header=BB153_33 Depth=1
	v_bfe_u32 v2, v1, 16, 1
	s_delay_alu instid0(VALU_DEP_1)
	v_add3_u32 v26, v1, v2, 0x7fff
                                        ; implicit-def: $vgpr1
; %bb.93:                               ;   in Loop: Header=BB153_33 Depth=1
	s_and_not1_saveexec_b32 s7, s0
; %bb.94:                               ;   in Loop: Header=BB153_33 Depth=1
	v_and_b32_e32 v2, 0xffff, v1
	v_or_b32_e32 v3, 0x10000, v1
	s_delay_alu instid0(VALU_DEP_2) | instskip(NEXT) | instid1(VALU_DEP_1)
	v_cmp_eq_u32_e64 s0, 0, v2
	v_cndmask_b32_e64 v26, v3, v1, s0
; %bb.95:                               ;   in Loop: Header=BB153_33 Depth=1
	s_or_b32 exec_lo, exec_lo, s7
	v_and_b32_e32 v42, 0xffff0000, v28
	v_lshlrev_b32_e32 v1, 16, v43
                                        ; implicit-def: $vgpr28
	s_delay_alu instid0(VALU_DEP_1) | instskip(NEXT) | instid1(VALU_DEP_1)
	v_mul_f32_e32 v1, v42, v1
	v_and_b32_e32 v2, 0x7f800000, v1
	s_delay_alu instid0(VALU_DEP_1) | instskip(NEXT) | instid1(VALU_DEP_1)
	v_cmp_ne_u32_e64 s0, 0x7f800000, v2
	s_and_saveexec_b32 s7, s0
	s_delay_alu instid0(SALU_CYCLE_1)
	s_xor_b32 s0, exec_lo, s7
; %bb.96:                               ;   in Loop: Header=BB153_33 Depth=1
	v_bfe_u32 v2, v1, 16, 1
	s_delay_alu instid0(VALU_DEP_1)
	v_add3_u32 v28, v1, v2, 0x7fff
                                        ; implicit-def: $vgpr1
; %bb.97:                               ;   in Loop: Header=BB153_33 Depth=1
	s_and_not1_saveexec_b32 s7, s0
; %bb.98:                               ;   in Loop: Header=BB153_33 Depth=1
	v_and_b32_e32 v2, 0xffff, v1
	v_or_b32_e32 v3, 0x10000, v1
	s_delay_alu instid0(VALU_DEP_2) | instskip(NEXT) | instid1(VALU_DEP_1)
	v_cmp_eq_u32_e64 s0, 0, v2
	v_cndmask_b32_e64 v28, v3, v1, s0
; %bb.99:                               ;   in Loop: Header=BB153_33 Depth=1
	s_or_b32 exec_lo, exec_lo, s7
	global_load_b128 v[1:4], v[5:6], off offset:512
	s_waitcnt vmcnt(0)
	v_lshrrev_b32_e32 v44, 16, v1
	v_lshrrev_b32_e32 v46, 16, v2
	;; [unrolled: 1-line block ×4, first 2 shown]
	s_and_saveexec_b32 s7, vcc_lo
	s_cbranch_execz .LBB153_101
; %bb.100:                              ;   in Loop: Header=BB153_33 Depth=1
	v_cmp_gt_i32_e64 s0, s15, v27
	s_delay_alu instid0(VALU_DEP_1) | instskip(SKIP_1) | instid1(VALU_DEP_1)
	v_cndmask_b32_e64 v1, 0, v1, s0
	v_cmp_gt_i32_e64 s0, s15, v34
	v_cndmask_b32_e64 v44, 0, v44, s0
	v_cmp_gt_i32_e64 s0, s15, v32
	s_delay_alu instid0(VALU_DEP_1) | instskip(SKIP_1) | instid1(VALU_DEP_1)
	v_cndmask_b32_e64 v2, 0, v2, s0
	v_cmp_gt_i32_e64 s0, s15, v31
	v_cndmask_b32_e64 v46, 0, v46, s0
	;; [unrolled: 5-line block ×4, first 2 shown]
.LBB153_101:                            ;   in Loop: Header=BB153_33 Depth=1
	s_or_b32 exec_lo, exec_lo, s7
	v_lshlrev_b32_e32 v1, 16, v1
	s_delay_alu instid0(VALU_DEP_1) | instskip(NEXT) | instid1(VALU_DEP_1)
	v_mul_f32_e32 v1, v35, v1
	v_and_b32_e32 v43, 0x7f800000, v1
	s_delay_alu instid0(VALU_DEP_1) | instskip(NEXT) | instid1(VALU_DEP_1)
	v_cmp_ne_u32_e64 s0, 0x7f800000, v43
                                        ; implicit-def: $vgpr43
	s_and_saveexec_b32 s7, s0
	s_delay_alu instid0(SALU_CYCLE_1)
	s_xor_b32 s0, exec_lo, s7
; %bb.102:                              ;   in Loop: Header=BB153_33 Depth=1
	v_bfe_u32 v43, v1, 16, 1
	s_delay_alu instid0(VALU_DEP_1)
	v_add3_u32 v43, v1, v43, 0x7fff
                                        ; implicit-def: $vgpr1
; %bb.103:                              ;   in Loop: Header=BB153_33 Depth=1
	s_and_not1_saveexec_b32 s7, s0
; %bb.104:                              ;   in Loop: Header=BB153_33 Depth=1
	v_and_b32_e32 v43, 0xffff, v1
	v_or_b32_e32 v45, 0x10000, v1
	s_delay_alu instid0(VALU_DEP_2) | instskip(NEXT) | instid1(VALU_DEP_1)
	v_cmp_eq_u32_e64 s0, 0, v43
	v_cndmask_b32_e64 v43, v45, v1, s0
; %bb.105:                              ;   in Loop: Header=BB153_33 Depth=1
	s_or_b32 exec_lo, exec_lo, s7
	v_lshlrev_b32_e32 v1, 16, v44
	s_delay_alu instid0(VALU_DEP_1) | instskip(NEXT) | instid1(VALU_DEP_1)
	v_mul_f32_e32 v1, v36, v1
	v_and_b32_e32 v44, 0x7f800000, v1
	s_delay_alu instid0(VALU_DEP_1) | instskip(NEXT) | instid1(VALU_DEP_1)
	v_cmp_ne_u32_e64 s0, 0x7f800000, v44
                                        ; implicit-def: $vgpr44
	s_and_saveexec_b32 s7, s0
	s_delay_alu instid0(SALU_CYCLE_1)
	s_xor_b32 s0, exec_lo, s7
; %bb.106:                              ;   in Loop: Header=BB153_33 Depth=1
	v_bfe_u32 v44, v1, 16, 1
	s_delay_alu instid0(VALU_DEP_1)
	v_add3_u32 v44, v1, v44, 0x7fff
                                        ; implicit-def: $vgpr1
; %bb.107:                              ;   in Loop: Header=BB153_33 Depth=1
	s_and_not1_saveexec_b32 s7, s0
; %bb.108:                              ;   in Loop: Header=BB153_33 Depth=1
	v_and_b32_e32 v44, 0xffff, v1
	v_or_b32_e32 v45, 0x10000, v1
	s_delay_alu instid0(VALU_DEP_2) | instskip(NEXT) | instid1(VALU_DEP_1)
	v_cmp_eq_u32_e64 s0, 0, v44
	v_cndmask_b32_e64 v44, v45, v1, s0
; %bb.109:                              ;   in Loop: Header=BB153_33 Depth=1
	s_or_b32 exec_lo, exec_lo, s7
	v_lshlrev_b32_e32 v1, 16, v2
                                        ; implicit-def: $vgpr45
	s_delay_alu instid0(VALU_DEP_1) | instskip(NEXT) | instid1(VALU_DEP_1)
	v_mul_f32_e32 v1, v37, v1
	v_and_b32_e32 v2, 0x7f800000, v1
	s_delay_alu instid0(VALU_DEP_1) | instskip(NEXT) | instid1(VALU_DEP_1)
	v_cmp_ne_u32_e64 s0, 0x7f800000, v2
	s_and_saveexec_b32 s7, s0
	s_delay_alu instid0(SALU_CYCLE_1)
	s_xor_b32 s0, exec_lo, s7
; %bb.110:                              ;   in Loop: Header=BB153_33 Depth=1
	v_bfe_u32 v2, v1, 16, 1
	s_delay_alu instid0(VALU_DEP_1)
	v_add3_u32 v45, v1, v2, 0x7fff
                                        ; implicit-def: $vgpr1
; %bb.111:                              ;   in Loop: Header=BB153_33 Depth=1
	s_and_not1_saveexec_b32 s7, s0
; %bb.112:                              ;   in Loop: Header=BB153_33 Depth=1
	v_and_b32_e32 v2, 0xffff, v1
	v_or_b32_e32 v45, 0x10000, v1
	s_delay_alu instid0(VALU_DEP_2) | instskip(NEXT) | instid1(VALU_DEP_1)
	v_cmp_eq_u32_e64 s0, 0, v2
	v_cndmask_b32_e64 v45, v45, v1, s0
; %bb.113:                              ;   in Loop: Header=BB153_33 Depth=1
	s_or_b32 exec_lo, exec_lo, s7
	v_lshlrev_b32_e32 v1, 16, v46
                                        ; implicit-def: $vgpr46
	s_delay_alu instid0(VALU_DEP_1) | instskip(NEXT) | instid1(VALU_DEP_1)
	v_mul_f32_e32 v1, v38, v1
	v_and_b32_e32 v2, 0x7f800000, v1
	s_delay_alu instid0(VALU_DEP_1) | instskip(NEXT) | instid1(VALU_DEP_1)
	v_cmp_ne_u32_e64 s0, 0x7f800000, v2
	s_and_saveexec_b32 s7, s0
	s_delay_alu instid0(SALU_CYCLE_1)
	s_xor_b32 s0, exec_lo, s7
; %bb.114:                              ;   in Loop: Header=BB153_33 Depth=1
	v_bfe_u32 v2, v1, 16, 1
	s_delay_alu instid0(VALU_DEP_1)
	v_add3_u32 v46, v1, v2, 0x7fff
                                        ; implicit-def: $vgpr1
; %bb.115:                              ;   in Loop: Header=BB153_33 Depth=1
	s_and_not1_saveexec_b32 s7, s0
; %bb.116:                              ;   in Loop: Header=BB153_33 Depth=1
	v_and_b32_e32 v2, 0xffff, v1
	v_or_b32_e32 v46, 0x10000, v1
	s_delay_alu instid0(VALU_DEP_2) | instskip(NEXT) | instid1(VALU_DEP_1)
	v_cmp_eq_u32_e64 s0, 0, v2
	v_cndmask_b32_e64 v46, v46, v1, s0
; %bb.117:                              ;   in Loop: Header=BB153_33 Depth=1
	s_or_b32 exec_lo, exec_lo, s7
	v_lshlrev_b32_e32 v1, 16, v3
                                        ; implicit-def: $vgpr47
	s_delay_alu instid0(VALU_DEP_1) | instskip(NEXT) | instid1(VALU_DEP_1)
	v_mul_f32_e32 v1, v39, v1
	v_and_b32_e32 v2, 0x7f800000, v1
	s_delay_alu instid0(VALU_DEP_1) | instskip(NEXT) | instid1(VALU_DEP_1)
	v_cmp_ne_u32_e64 s0, 0x7f800000, v2
	s_and_saveexec_b32 s7, s0
	s_delay_alu instid0(SALU_CYCLE_1)
	s_xor_b32 s0, exec_lo, s7
; %bb.118:                              ;   in Loop: Header=BB153_33 Depth=1
	v_bfe_u32 v2, v1, 16, 1
	s_delay_alu instid0(VALU_DEP_1)
	v_add3_u32 v47, v1, v2, 0x7fff
                                        ; implicit-def: $vgpr1
; %bb.119:                              ;   in Loop: Header=BB153_33 Depth=1
	s_and_not1_saveexec_b32 s7, s0
; %bb.120:                              ;   in Loop: Header=BB153_33 Depth=1
	v_and_b32_e32 v2, 0xffff, v1
	v_or_b32_e32 v3, 0x10000, v1
	s_delay_alu instid0(VALU_DEP_2) | instskip(NEXT) | instid1(VALU_DEP_1)
	v_cmp_eq_u32_e64 s0, 0, v2
	v_cndmask_b32_e64 v47, v3, v1, s0
; %bb.121:                              ;   in Loop: Header=BB153_33 Depth=1
	s_or_b32 exec_lo, exec_lo, s7
	v_lshlrev_b32_e32 v1, 16, v48
                                        ; implicit-def: $vgpr48
	s_delay_alu instid0(VALU_DEP_1) | instskip(NEXT) | instid1(VALU_DEP_1)
	v_mul_f32_e32 v1, v40, v1
	v_and_b32_e32 v2, 0x7f800000, v1
	s_delay_alu instid0(VALU_DEP_1) | instskip(NEXT) | instid1(VALU_DEP_1)
	v_cmp_ne_u32_e64 s0, 0x7f800000, v2
	s_and_saveexec_b32 s7, s0
	s_delay_alu instid0(SALU_CYCLE_1)
	s_xor_b32 s0, exec_lo, s7
; %bb.122:                              ;   in Loop: Header=BB153_33 Depth=1
	v_bfe_u32 v2, v1, 16, 1
	s_delay_alu instid0(VALU_DEP_1)
	v_add3_u32 v48, v1, v2, 0x7fff
                                        ; implicit-def: $vgpr1
; %bb.123:                              ;   in Loop: Header=BB153_33 Depth=1
	s_and_not1_saveexec_b32 s7, s0
; %bb.124:                              ;   in Loop: Header=BB153_33 Depth=1
	v_and_b32_e32 v2, 0xffff, v1
	v_or_b32_e32 v3, 0x10000, v1
	s_delay_alu instid0(VALU_DEP_2) | instskip(NEXT) | instid1(VALU_DEP_1)
	v_cmp_eq_u32_e64 s0, 0, v2
	v_cndmask_b32_e64 v48, v3, v1, s0
; %bb.125:                              ;   in Loop: Header=BB153_33 Depth=1
	s_or_b32 exec_lo, exec_lo, s7
	v_lshlrev_b32_e32 v1, 16, v4
                                        ; implicit-def: $vgpr49
	s_delay_alu instid0(VALU_DEP_1) | instskip(NEXT) | instid1(VALU_DEP_1)
	v_mul_f32_e32 v1, v41, v1
	v_and_b32_e32 v2, 0x7f800000, v1
	s_delay_alu instid0(VALU_DEP_1) | instskip(NEXT) | instid1(VALU_DEP_1)
	v_cmp_ne_u32_e64 s0, 0x7f800000, v2
	s_and_saveexec_b32 s7, s0
	s_delay_alu instid0(SALU_CYCLE_1)
	s_xor_b32 s0, exec_lo, s7
; %bb.126:                              ;   in Loop: Header=BB153_33 Depth=1
	v_bfe_u32 v2, v1, 16, 1
	s_delay_alu instid0(VALU_DEP_1)
	v_add3_u32 v49, v1, v2, 0x7fff
                                        ; implicit-def: $vgpr1
; %bb.127:                              ;   in Loop: Header=BB153_33 Depth=1
	s_and_not1_saveexec_b32 s7, s0
; %bb.128:                              ;   in Loop: Header=BB153_33 Depth=1
	v_and_b32_e32 v2, 0xffff, v1
	v_or_b32_e32 v3, 0x10000, v1
	s_delay_alu instid0(VALU_DEP_2) | instskip(NEXT) | instid1(VALU_DEP_1)
	v_cmp_eq_u32_e64 s0, 0, v2
	v_cndmask_b32_e64 v49, v3, v1, s0
; %bb.129:                              ;   in Loop: Header=BB153_33 Depth=1
	s_or_b32 exec_lo, exec_lo, s7
	v_lshlrev_b32_e32 v1, 16, v50
                                        ; implicit-def: $vgpr50
	s_delay_alu instid0(VALU_DEP_1) | instskip(NEXT) | instid1(VALU_DEP_1)
	v_mul_f32_e32 v1, v42, v1
	v_and_b32_e32 v2, 0x7f800000, v1
	s_delay_alu instid0(VALU_DEP_1) | instskip(NEXT) | instid1(VALU_DEP_1)
	v_cmp_ne_u32_e64 s0, 0x7f800000, v2
	s_and_saveexec_b32 s7, s0
	s_delay_alu instid0(SALU_CYCLE_1)
	s_xor_b32 s0, exec_lo, s7
; %bb.130:                              ;   in Loop: Header=BB153_33 Depth=1
	v_bfe_u32 v2, v1, 16, 1
	s_delay_alu instid0(VALU_DEP_1)
	v_add3_u32 v50, v1, v2, 0x7fff
                                        ; implicit-def: $vgpr1
; %bb.131:                              ;   in Loop: Header=BB153_33 Depth=1
	s_and_not1_saveexec_b32 s7, s0
; %bb.132:                              ;   in Loop: Header=BB153_33 Depth=1
	v_and_b32_e32 v2, 0xffff, v1
	v_or_b32_e32 v3, 0x10000, v1
	s_delay_alu instid0(VALU_DEP_2) | instskip(NEXT) | instid1(VALU_DEP_1)
	v_cmp_eq_u32_e64 s0, 0, v2
	v_cndmask_b32_e64 v50, v3, v1, s0
; %bb.133:                              ;   in Loop: Header=BB153_33 Depth=1
	s_or_b32 exec_lo, exec_lo, s7
	global_load_b128 v[1:4], v[5:6], off offset:1024
	s_waitcnt vmcnt(0)
	v_lshrrev_b32_e32 v6, 16, v1
	v_lshrrev_b32_e32 v52, 16, v2
	;; [unrolled: 1-line block ×4, first 2 shown]
	s_and_saveexec_b32 s0, vcc_lo
	s_cbranch_execz .LBB153_135
; %bb.134:                              ;   in Loop: Header=BB153_33 Depth=1
	v_cmp_gt_i32_e32 vcc_lo, s15, v27
	v_cndmask_b32_e32 v1, 0, v1, vcc_lo
	v_cmp_gt_i32_e32 vcc_lo, s15, v34
	v_cndmask_b32_e32 v6, 0, v6, vcc_lo
	;; [unrolled: 2-line block ×8, first 2 shown]
.LBB153_135:                            ;   in Loop: Header=BB153_33 Depth=1
	s_or_b32 exec_lo, exec_lo, s0
	v_lshlrev_b32_e32 v1, 16, v1
	s_delay_alu instid0(VALU_DEP_1) | instskip(NEXT) | instid1(VALU_DEP_1)
	v_mul_f32_e32 v27, v35, v1
	v_and_b32_e32 v1, 0x7f800000, v27
	s_delay_alu instid0(VALU_DEP_1) | instskip(SKIP_1) | instid1(SALU_CYCLE_1)
	v_cmp_ne_u32_e32 vcc_lo, 0x7f800000, v1
                                        ; implicit-def: $vgpr1
	s_and_saveexec_b32 s0, vcc_lo
	s_xor_b32 s0, exec_lo, s0
; %bb.136:                              ;   in Loop: Header=BB153_33 Depth=1
	v_bfe_u32 v1, v27, 16, 1
	s_delay_alu instid0(VALU_DEP_1)
	v_add3_u32 v1, v27, v1, 0x7fff
                                        ; implicit-def: $vgpr27
; %bb.137:                              ;   in Loop: Header=BB153_33 Depth=1
	s_and_not1_saveexec_b32 s0, s0
; %bb.138:                              ;   in Loop: Header=BB153_33 Depth=1
	v_and_b32_e32 v1, 0xffff, v27
	v_or_b32_e32 v29, 0x10000, v27
	s_delay_alu instid0(VALU_DEP_2) | instskip(NEXT) | instid1(VALU_DEP_2)
	v_cmp_eq_u32_e32 vcc_lo, 0, v1
	v_cndmask_b32_e32 v1, v29, v27, vcc_lo
; %bb.139:                              ;   in Loop: Header=BB153_33 Depth=1
	s_or_b32 exec_lo, exec_lo, s0
	v_lshlrev_b32_e32 v6, 16, v6
	s_delay_alu instid0(VALU_DEP_1) | instskip(NEXT) | instid1(VALU_DEP_1)
	v_mul_f32_e32 v27, v36, v6
	v_and_b32_e32 v6, 0x7f800000, v27
	s_delay_alu instid0(VALU_DEP_1) | instskip(SKIP_1) | instid1(SALU_CYCLE_1)
	v_cmp_ne_u32_e32 vcc_lo, 0x7f800000, v6
                                        ; implicit-def: $vgpr6
	s_and_saveexec_b32 s0, vcc_lo
	s_xor_b32 s0, exec_lo, s0
; %bb.140:                              ;   in Loop: Header=BB153_33 Depth=1
	v_bfe_u32 v6, v27, 16, 1
	s_delay_alu instid0(VALU_DEP_1)
	v_add3_u32 v6, v27, v6, 0x7fff
                                        ; implicit-def: $vgpr27
; %bb.141:                              ;   in Loop: Header=BB153_33 Depth=1
	s_and_not1_saveexec_b32 s0, s0
; %bb.142:                              ;   in Loop: Header=BB153_33 Depth=1
	v_and_b32_e32 v6, 0xffff, v27
	v_or_b32_e32 v29, 0x10000, v27
	s_delay_alu instid0(VALU_DEP_2) | instskip(NEXT) | instid1(VALU_DEP_2)
	v_cmp_eq_u32_e32 vcc_lo, 0, v6
	v_cndmask_b32_e32 v6, v29, v27, vcc_lo
; %bb.143:                              ;   in Loop: Header=BB153_33 Depth=1
	s_or_b32 exec_lo, exec_lo, s0
	v_lshlrev_b32_e32 v2, 16, v2
	s_delay_alu instid0(VALU_DEP_1) | instskip(NEXT) | instid1(VALU_DEP_1)
	v_mul_f32_e32 v27, v37, v2
	v_and_b32_e32 v2, 0x7f800000, v27
	s_delay_alu instid0(VALU_DEP_1) | instskip(SKIP_1) | instid1(SALU_CYCLE_1)
	v_cmp_ne_u32_e32 vcc_lo, 0x7f800000, v2
                                        ; implicit-def: $vgpr2
	s_and_saveexec_b32 s0, vcc_lo
	s_xor_b32 s0, exec_lo, s0
; %bb.144:                              ;   in Loop: Header=BB153_33 Depth=1
	v_bfe_u32 v2, v27, 16, 1
	s_delay_alu instid0(VALU_DEP_1)
	v_add3_u32 v2, v27, v2, 0x7fff
                                        ; implicit-def: $vgpr27
; %bb.145:                              ;   in Loop: Header=BB153_33 Depth=1
	s_and_not1_saveexec_b32 s0, s0
; %bb.146:                              ;   in Loop: Header=BB153_33 Depth=1
	v_and_b32_e32 v2, 0xffff, v27
	v_or_b32_e32 v29, 0x10000, v27
	s_delay_alu instid0(VALU_DEP_2) | instskip(NEXT) | instid1(VALU_DEP_2)
	v_cmp_eq_u32_e32 vcc_lo, 0, v2
	v_cndmask_b32_e32 v2, v29, v27, vcc_lo
; %bb.147:                              ;   in Loop: Header=BB153_33 Depth=1
	s_or_b32 exec_lo, exec_lo, s0
	v_lshlrev_b32_e32 v27, 16, v52
	s_delay_alu instid0(VALU_DEP_1) | instskip(NEXT) | instid1(VALU_DEP_1)
	v_mul_f32_e32 v29, v38, v27
	v_and_b32_e32 v27, 0x7f800000, v29
	s_delay_alu instid0(VALU_DEP_1) | instskip(SKIP_1) | instid1(SALU_CYCLE_1)
	v_cmp_ne_u32_e32 vcc_lo, 0x7f800000, v27
                                        ; implicit-def: $vgpr27
	s_and_saveexec_b32 s0, vcc_lo
	s_xor_b32 s0, exec_lo, s0
; %bb.148:                              ;   in Loop: Header=BB153_33 Depth=1
	v_bfe_u32 v27, v29, 16, 1
	s_delay_alu instid0(VALU_DEP_1)
	v_add3_u32 v27, v29, v27, 0x7fff
                                        ; implicit-def: $vgpr29
; %bb.149:                              ;   in Loop: Header=BB153_33 Depth=1
	s_and_not1_saveexec_b32 s0, s0
; %bb.150:                              ;   in Loop: Header=BB153_33 Depth=1
	v_and_b32_e32 v27, 0xffff, v29
	v_or_b32_e32 v30, 0x10000, v29
	s_delay_alu instid0(VALU_DEP_2) | instskip(NEXT) | instid1(VALU_DEP_2)
	v_cmp_eq_u32_e32 vcc_lo, 0, v27
	v_cndmask_b32_e32 v27, v30, v29, vcc_lo
; %bb.151:                              ;   in Loop: Header=BB153_33 Depth=1
	s_or_b32 exec_lo, exec_lo, s0
	v_lshlrev_b32_e32 v3, 16, v3
	s_delay_alu instid0(VALU_DEP_1) | instskip(NEXT) | instid1(VALU_DEP_1)
	v_mul_f32_e32 v29, v39, v3
	v_and_b32_e32 v3, 0x7f800000, v29
	s_delay_alu instid0(VALU_DEP_1) | instskip(SKIP_1) | instid1(SALU_CYCLE_1)
	v_cmp_ne_u32_e32 vcc_lo, 0x7f800000, v3
                                        ; implicit-def: $vgpr3
	s_and_saveexec_b32 s0, vcc_lo
	s_xor_b32 s0, exec_lo, s0
; %bb.152:                              ;   in Loop: Header=BB153_33 Depth=1
	v_bfe_u32 v3, v29, 16, 1
	s_delay_alu instid0(VALU_DEP_1)
	v_add3_u32 v3, v29, v3, 0x7fff
                                        ; implicit-def: $vgpr29
; %bb.153:                              ;   in Loop: Header=BB153_33 Depth=1
	s_and_not1_saveexec_b32 s0, s0
; %bb.154:                              ;   in Loop: Header=BB153_33 Depth=1
	v_and_b32_e32 v3, 0xffff, v29
	v_or_b32_e32 v30, 0x10000, v29
	s_delay_alu instid0(VALU_DEP_2) | instskip(NEXT) | instid1(VALU_DEP_2)
	v_cmp_eq_u32_e32 vcc_lo, 0, v3
	v_cndmask_b32_e32 v3, v30, v29, vcc_lo
; %bb.155:                              ;   in Loop: Header=BB153_33 Depth=1
	s_or_b32 exec_lo, exec_lo, s0
	v_lshlrev_b32_e32 v29, 16, v51
	s_delay_alu instid0(VALU_DEP_1) | instskip(NEXT) | instid1(VALU_DEP_1)
	v_mul_f32_e32 v30, v40, v29
	v_and_b32_e32 v29, 0x7f800000, v30
	s_delay_alu instid0(VALU_DEP_1) | instskip(SKIP_1) | instid1(SALU_CYCLE_1)
	v_cmp_ne_u32_e32 vcc_lo, 0x7f800000, v29
                                        ; implicit-def: $vgpr29
	s_and_saveexec_b32 s0, vcc_lo
	s_xor_b32 s0, exec_lo, s0
; %bb.156:                              ;   in Loop: Header=BB153_33 Depth=1
	v_bfe_u32 v29, v30, 16, 1
	s_delay_alu instid0(VALU_DEP_1)
	v_add3_u32 v29, v30, v29, 0x7fff
                                        ; implicit-def: $vgpr30
; %bb.157:                              ;   in Loop: Header=BB153_33 Depth=1
	s_and_not1_saveexec_b32 s0, s0
; %bb.158:                              ;   in Loop: Header=BB153_33 Depth=1
	v_and_b32_e32 v29, 0xffff, v30
	v_or_b32_e32 v31, 0x10000, v30
	s_delay_alu instid0(VALU_DEP_2) | instskip(NEXT) | instid1(VALU_DEP_2)
	v_cmp_eq_u32_e32 vcc_lo, 0, v29
	v_cndmask_b32_e32 v29, v31, v30, vcc_lo
; %bb.159:                              ;   in Loop: Header=BB153_33 Depth=1
	s_or_b32 exec_lo, exec_lo, s0
	v_lshlrev_b32_e32 v4, 16, v4
	s_delay_alu instid0(VALU_DEP_1) | instskip(NEXT) | instid1(VALU_DEP_1)
	v_mul_f32_e32 v30, v41, v4
	v_and_b32_e32 v4, 0x7f800000, v30
	s_delay_alu instid0(VALU_DEP_1) | instskip(SKIP_1) | instid1(SALU_CYCLE_1)
	v_cmp_ne_u32_e32 vcc_lo, 0x7f800000, v4
                                        ; implicit-def: $vgpr4
	s_and_saveexec_b32 s0, vcc_lo
	s_xor_b32 s0, exec_lo, s0
; %bb.160:                              ;   in Loop: Header=BB153_33 Depth=1
	v_bfe_u32 v4, v30, 16, 1
	s_delay_alu instid0(VALU_DEP_1)
	v_add3_u32 v4, v30, v4, 0x7fff
                                        ; implicit-def: $vgpr30
; %bb.161:                              ;   in Loop: Header=BB153_33 Depth=1
	s_and_not1_saveexec_b32 s0, s0
; %bb.162:                              ;   in Loop: Header=BB153_33 Depth=1
	v_and_b32_e32 v4, 0xffff, v30
	v_or_b32_e32 v31, 0x10000, v30
	s_delay_alu instid0(VALU_DEP_2) | instskip(NEXT) | instid1(VALU_DEP_2)
	v_cmp_eq_u32_e32 vcc_lo, 0, v4
	v_cndmask_b32_e32 v4, v31, v30, vcc_lo
; %bb.163:                              ;   in Loop: Header=BB153_33 Depth=1
	s_or_b32 exec_lo, exec_lo, s0
	v_lshlrev_b32_e32 v5, 16, v5
	s_delay_alu instid0(VALU_DEP_1) | instskip(NEXT) | instid1(VALU_DEP_1)
	v_mul_f32_e32 v30, v42, v5
	v_and_b32_e32 v5, 0x7f800000, v30
	s_delay_alu instid0(VALU_DEP_1) | instskip(SKIP_1) | instid1(SALU_CYCLE_1)
	v_cmp_ne_u32_e32 vcc_lo, 0x7f800000, v5
                                        ; implicit-def: $vgpr5
	s_and_saveexec_b32 s0, vcc_lo
	s_xor_b32 s0, exec_lo, s0
; %bb.164:                              ;   in Loop: Header=BB153_33 Depth=1
	v_bfe_u32 v5, v30, 16, 1
	s_delay_alu instid0(VALU_DEP_1)
	v_add3_u32 v5, v30, v5, 0x7fff
                                        ; implicit-def: $vgpr30
; %bb.165:                              ;   in Loop: Header=BB153_33 Depth=1
	s_and_not1_saveexec_b32 s0, s0
	s_cbranch_execz .LBB153_32
; %bb.166:                              ;   in Loop: Header=BB153_33 Depth=1
	v_and_b32_e32 v5, 0xffff, v30
	v_or_b32_e32 v31, 0x10000, v30
	s_delay_alu instid0(VALU_DEP_2) | instskip(NEXT) | instid1(VALU_DEP_2)
	v_cmp_eq_u32_e32 vcc_lo, 0, v5
	v_cndmask_b32_e32 v5, v31, v30, vcc_lo
	s_branch .LBB153_32
.LBB153_167:
	s_or_b32 exec_lo, exec_lo, s3
.LBB153_168:
	s_delay_alu instid0(SALU_CYCLE_1)
	s_or_b32 exec_lo, exec_lo, s1
	s_movk_i32 s0, 0x180
	v_and_b32_e32 v2, 0x3c0, v0
	v_mad_u32_u24 v1, v13, s0, 0xe0
	s_mov_b32 s0, exec_lo
	s_waitcnt_vscnt null, 0x0
	s_barrier
	buffer_gl0_inv
	v_cmpx_eq_u32_e32 64, v2
	s_cbranch_execz .LBB153_170
; %bb.169:
	v_add3_u32 v2, v1, v15, 0xfffffd00
	ds_store_2addr_b32 v2, v17, v16 offset1:32
	ds_store_b32 v2, v9 offset:256
.LBB153_170:
	s_or_b32 exec_lo, exec_lo, s0
	v_lshl_add_u32 v2, v14, 2, v1
	s_mov_b32 s0, exec_lo
	s_waitcnt lgkmcnt(0)
	s_barrier
	buffer_gl0_inv
	v_cmpx_gt_u32_e32 64, v0
	s_cbranch_execz .LBB153_172
; %bb.171:
	v_lshl_or_b32 v3, v0, 2, 0x80
	s_delay_alu instid0(VALU_DEP_1)
	v_add_nc_u32_e32 v5, v1, v3
	ds_load_2addr_stride64_b32 v[3:4], v2 offset1:1
	ds_load_b32 v5, v5
	s_waitcnt lgkmcnt(0)
	v_dual_add_f32 v17, v17, v3 :: v_dual_add_f32 v16, v16, v5
	v_add_f32_e32 v9, v9, v4
.LBB153_172:
	s_or_b32 exec_lo, exec_lo, s0
	v_and_b32_e32 v3, 0x3e0, v0
	s_mov_b32 s0, exec_lo
	s_barrier
	buffer_gl0_inv
	v_cmpx_eq_u32_e32 32, v3
	s_cbranch_execz .LBB153_174
; %bb.173:
	v_add_nc_u32_e32 v3, 0xfffffe80, v1
	s_delay_alu instid0(VALU_DEP_1)
	v_lshl_add_u32 v4, v14, 2, v3
	v_lshl_add_u32 v3, v0, 2, v3
	ds_store_b32 v4, v17
	ds_store_b32 v3, v16
	ds_store_b32 v4, v9 offset:256
.LBB153_174:
	s_or_b32 exec_lo, exec_lo, s0
	v_cmp_gt_u32_e32 vcc_lo, 32, v0
	s_waitcnt lgkmcnt(0)
	s_barrier
	buffer_gl0_inv
	s_and_saveexec_b32 s0, vcc_lo
	s_cbranch_execz .LBB153_176
; %bb.175:
	v_lshl_add_u32 v1, v0, 2, v1
	ds_load_b32 v3, v2
	ds_load_2addr_b32 v[1:2], v1 offset0:32 offset1:64
	s_waitcnt lgkmcnt(0)
	v_dual_add_f32 v17, v17, v3 :: v_dual_add_f32 v16, v16, v1
	v_add_f32_e32 v9, v9, v2
.LBB153_176:
	s_or_b32 exec_lo, exec_lo, s0
	s_barrier
	buffer_gl0_inv
	s_and_saveexec_b32 s0, vcc_lo
	s_cbranch_execz .LBB153_190
; %bb.177:
	v_and_b32_e32 v1, 0x7f800000, v17
	s_mov_b32 s0, exec_lo
                                        ; implicit-def: $vgpr2
	s_delay_alu instid0(VALU_DEP_1)
	v_cmpx_ne_u32_e32 0x7f800000, v1
	s_xor_b32 s0, exec_lo, s0
; %bb.178:
	v_bfe_u32 v1, v17, 16, 1
	s_delay_alu instid0(VALU_DEP_1)
	v_add3_u32 v2, v17, v1, 0x7fff
; %bb.179:
	s_and_not1_saveexec_b32 s0, s0
; %bb.180:
	v_and_b32_e32 v1, 0xffff, v17
	v_or_b32_e32 v2, 0x10000, v17
	s_delay_alu instid0(VALU_DEP_2) | instskip(NEXT) | instid1(VALU_DEP_2)
	v_cmp_eq_u32_e32 vcc_lo, 0, v1
	v_cndmask_b32_e32 v2, v2, v17, vcc_lo
; %bb.181:
	s_or_b32 exec_lo, exec_lo, s0
	s_mul_i32 s0, s6, 0x60
	s_mul_i32 s2, s4, s16
	s_ashr_i32 s1, s0, 31
	v_lshlrev_b32_e32 v3, 1, v0
	s_lshl_b64 s[0:1], s[0:1], 1
	v_and_b32_e32 v4, 0x7f800000, v16
	s_add_u32 s4, s18, s0
	s_addc_u32 s5, s19, s1
	s_ashr_i32 s3, s2, 31
	s_delay_alu instid0(SALU_CYCLE_1) | instskip(SKIP_4) | instid1(SALU_CYCLE_1)
	s_lshl_b64 s[0:1], s[2:3], 1
	s_mul_i32 s2, s12, 0x60
	s_add_u32 s4, s4, s0
	s_addc_u32 s5, s5, s1
	s_ashr_i32 s3, s2, 31
	s_lshl_b64 s[0:1], s[2:3], 1
	s_delay_alu instid0(SALU_CYCLE_1) | instskip(SKIP_2) | instid1(VALU_DEP_1)
	s_add_u32 s0, s4, s0
	s_addc_u32 s1, s5, s1
	v_add_co_u32 v0, s2, s0, v3
	v_add_co_ci_u32_e64 v1, null, s1, 0, s2
	global_store_d16_hi_b16 v3, v2, s[0:1]
	s_mov_b32 s0, exec_lo
                                        ; implicit-def: $vgpr2
	v_cmpx_ne_u32_e32 0x7f800000, v4
	s_xor_b32 s0, exec_lo, s0
; %bb.182:
	v_bfe_u32 v2, v16, 16, 1
	s_delay_alu instid0(VALU_DEP_1)
	v_add3_u32 v2, v16, v2, 0x7fff
; %bb.183:
	s_and_not1_saveexec_b32 s0, s0
; %bb.184:
	v_and_b32_e32 v2, 0xffff, v16
	v_or_b32_e32 v3, 0x10000, v16
	s_delay_alu instid0(VALU_DEP_2) | instskip(NEXT) | instid1(VALU_DEP_2)
	v_cmp_eq_u32_e32 vcc_lo, 0, v2
	v_cndmask_b32_e32 v2, v3, v16, vcc_lo
; %bb.185:
	s_or_b32 exec_lo, exec_lo, s0
	v_and_b32_e32 v3, 0x7f800000, v9
	s_mov_b32 s0, exec_lo
	global_store_d16_hi_b16 v[0:1], v2, off offset:64
                                        ; implicit-def: $vgpr2
	v_cmpx_ne_u32_e32 0x7f800000, v3
	s_xor_b32 s0, exec_lo, s0
; %bb.186:
	v_bfe_u32 v2, v9, 16, 1
	s_delay_alu instid0(VALU_DEP_1)
	v_add3_u32 v2, v9, v2, 0x7fff
                                        ; implicit-def: $vgpr7_vgpr8_vgpr9
; %bb.187:
	s_and_not1_saveexec_b32 s0, s0
; %bb.188:
	v_and_b32_e32 v2, 0xffff, v9
	v_or_b32_e32 v3, 0x10000, v9
	s_delay_alu instid0(VALU_DEP_2) | instskip(NEXT) | instid1(VALU_DEP_2)
	v_cmp_eq_u32_e32 vcc_lo, 0, v2
	v_cndmask_b32_e32 v2, v3, v9, vcc_lo
; %bb.189:
	s_or_b32 exec_lo, exec_lo, s0
	global_store_d16_hi_b16 v[0:1], v2, off offset:128
.LBB153_190:
	s_nop 0
	s_sendmsg sendmsg(MSG_DEALLOC_VGPRS)
	s_endpgm
	.section	.rodata,"a",@progbits
	.p2align	6, 0x0
	.amdhsa_kernel _ZN4vllm25paged_attention_v2_kernelI14__hip_bfloat16S1_Li96ELi8ELi128ELNS_18Fp8KVCacheDataTypeE0ELb0ELi512EEEvPfS3_PT_PKS4_PKT0_SA_ifPKiSC_iPKfiiiSE_SE_iiiii
		.amdhsa_group_segment_fixed_size 224
		.amdhsa_private_segment_fixed_size 0
		.amdhsa_kernarg_size 400
		.amdhsa_user_sgpr_count 13
		.amdhsa_user_sgpr_dispatch_ptr 0
		.amdhsa_user_sgpr_queue_ptr 0
		.amdhsa_user_sgpr_kernarg_segment_ptr 1
		.amdhsa_user_sgpr_dispatch_id 0
		.amdhsa_user_sgpr_private_segment_size 0
		.amdhsa_wavefront_size32 1
		.amdhsa_uses_dynamic_stack 0
		.amdhsa_enable_private_segment 0
		.amdhsa_system_sgpr_workgroup_id_x 1
		.amdhsa_system_sgpr_workgroup_id_y 1
		.amdhsa_system_sgpr_workgroup_id_z 1
		.amdhsa_system_sgpr_workgroup_info 0
		.amdhsa_system_vgpr_workitem_id 0
		.amdhsa_next_free_vgpr 56
		.amdhsa_next_free_sgpr 38
		.amdhsa_reserve_vcc 1
		.amdhsa_float_round_mode_32 0
		.amdhsa_float_round_mode_16_64 0
		.amdhsa_float_denorm_mode_32 3
		.amdhsa_float_denorm_mode_16_64 3
		.amdhsa_dx10_clamp 1
		.amdhsa_ieee_mode 1
		.amdhsa_fp16_overflow 0
		.amdhsa_workgroup_processor_mode 1
		.amdhsa_memory_ordered 1
		.amdhsa_forward_progress 0
		.amdhsa_shared_vgpr_count 0
		.amdhsa_exception_fp_ieee_invalid_op 0
		.amdhsa_exception_fp_denorm_src 0
		.amdhsa_exception_fp_ieee_div_zero 0
		.amdhsa_exception_fp_ieee_overflow 0
		.amdhsa_exception_fp_ieee_underflow 0
		.amdhsa_exception_fp_ieee_inexact 0
		.amdhsa_exception_int_div_zero 0
	.end_amdhsa_kernel
	.section	.text._ZN4vllm25paged_attention_v2_kernelI14__hip_bfloat16S1_Li96ELi8ELi128ELNS_18Fp8KVCacheDataTypeE0ELb0ELi512EEEvPfS3_PT_PKS4_PKT0_SA_ifPKiSC_iPKfiiiSE_SE_iiiii,"axG",@progbits,_ZN4vllm25paged_attention_v2_kernelI14__hip_bfloat16S1_Li96ELi8ELi128ELNS_18Fp8KVCacheDataTypeE0ELb0ELi512EEEvPfS3_PT_PKS4_PKT0_SA_ifPKiSC_iPKfiiiSE_SE_iiiii,comdat
.Lfunc_end153:
	.size	_ZN4vllm25paged_attention_v2_kernelI14__hip_bfloat16S1_Li96ELi8ELi128ELNS_18Fp8KVCacheDataTypeE0ELb0ELi512EEEvPfS3_PT_PKS4_PKT0_SA_ifPKiSC_iPKfiiiSE_SE_iiiii, .Lfunc_end153-_ZN4vllm25paged_attention_v2_kernelI14__hip_bfloat16S1_Li96ELi8ELi128ELNS_18Fp8KVCacheDataTypeE0ELb0ELi512EEEvPfS3_PT_PKS4_PKT0_SA_ifPKiSC_iPKfiiiSE_SE_iiiii
                                        ; -- End function
	.section	.AMDGPU.csdata,"",@progbits
; Kernel info:
; codeLenInByte = 8104
; NumSgprs: 40
; NumVgprs: 56
; ScratchSize: 0
; MemoryBound: 0
; FloatMode: 240
; IeeeMode: 1
; LDSByteSize: 224 bytes/workgroup (compile time only)
; SGPRBlocks: 4
; VGPRBlocks: 6
; NumSGPRsForWavesPerEU: 40
; NumVGPRsForWavesPerEU: 56
; Occupancy: 16
; WaveLimiterHint : 1
; COMPUTE_PGM_RSRC2:SCRATCH_EN: 0
; COMPUTE_PGM_RSRC2:USER_SGPR: 13
; COMPUTE_PGM_RSRC2:TRAP_HANDLER: 0
; COMPUTE_PGM_RSRC2:TGID_X_EN: 1
; COMPUTE_PGM_RSRC2:TGID_Y_EN: 1
; COMPUTE_PGM_RSRC2:TGID_Z_EN: 1
; COMPUTE_PGM_RSRC2:TIDIG_COMP_CNT: 0
	.section	.text._ZN4vllm25paged_attention_v2_kernelI14__hip_bfloat16S1_Li112ELi8ELi128ELNS_18Fp8KVCacheDataTypeE0ELb0ELi512EEEvPfS3_PT_PKS4_PKT0_SA_ifPKiSC_iPKfiiiSE_SE_iiiii,"axG",@progbits,_ZN4vllm25paged_attention_v2_kernelI14__hip_bfloat16S1_Li112ELi8ELi128ELNS_18Fp8KVCacheDataTypeE0ELb0ELi512EEEvPfS3_PT_PKS4_PKT0_SA_ifPKiSC_iPKfiiiSE_SE_iiiii,comdat
	.protected	_ZN4vllm25paged_attention_v2_kernelI14__hip_bfloat16S1_Li112ELi8ELi128ELNS_18Fp8KVCacheDataTypeE0ELb0ELi512EEEvPfS3_PT_PKS4_PKT0_SA_ifPKiSC_iPKfiiiSE_SE_iiiii ; -- Begin function _ZN4vllm25paged_attention_v2_kernelI14__hip_bfloat16S1_Li112ELi8ELi128ELNS_18Fp8KVCacheDataTypeE0ELb0ELi512EEEvPfS3_PT_PKS4_PKT0_SA_ifPKiSC_iPKfiiiSE_SE_iiiii
	.globl	_ZN4vllm25paged_attention_v2_kernelI14__hip_bfloat16S1_Li112ELi8ELi128ELNS_18Fp8KVCacheDataTypeE0ELb0ELi512EEEvPfS3_PT_PKS4_PKT0_SA_ifPKiSC_iPKfiiiSE_SE_iiiii
	.p2align	8
	.type	_ZN4vllm25paged_attention_v2_kernelI14__hip_bfloat16S1_Li112ELi8ELi128ELNS_18Fp8KVCacheDataTypeE0ELb0ELi512EEEvPfS3_PT_PKS4_PKT0_SA_ifPKiSC_iPKfiiiSE_SE_iiiii,@function
_ZN4vllm25paged_attention_v2_kernelI14__hip_bfloat16S1_Li112ELi8ELi128ELNS_18Fp8KVCacheDataTypeE0ELb0ELi512EEEvPfS3_PT_PKS4_PKT0_SA_ifPKiSC_iPKfiiiSE_SE_iiiii: ; @_ZN4vllm25paged_attention_v2_kernelI14__hip_bfloat16S1_Li112ELi8ELi128ELNS_18Fp8KVCacheDataTypeE0ELb0ELi512EEEvPfS3_PT_PKS4_PKT0_SA_ifPKiSC_iPKfiiiSE_SE_iiiii
; %bb.0:
	s_load_b64 s[2:3], s[0:1], 0x40
	s_mov_b32 s16, s15
	s_ashr_i32 s15, s14, 31
	s_delay_alu instid0(SALU_CYCLE_1)
	s_lshl_b64 s[4:5], s[14:15], 2
	s_waitcnt lgkmcnt(0)
	s_add_u32 s2, s2, s4
	s_addc_u32 s3, s3, s5
	s_lshl_b32 s34, s16, 9
	s_load_b32 s33, s[2:3], 0x0
	s_waitcnt lgkmcnt(0)
	s_cmp_ge_i32 s34, s33
	s_cbranch_scc1 .LBB154_237
; %bb.1:
	s_mov_b32 s22, s13
	s_clause 0x1
	s_load_b32 s15, s[0:1], 0x90
	s_load_b64 s[12:13], s[0:1], 0x30
	s_waitcnt lgkmcnt(0)
	s_abs_i32 s5, s15
	s_abs_i32 s2, s12
	s_delay_alu instid0(SALU_CYCLE_1) | instskip(SKIP_1) | instid1(VALU_DEP_1)
	v_cvt_f32_u32_e32 v1, s2
	s_sub_i32 s4, 0, s2
	v_rcp_iflag_f32_e32 v1, v1
	s_waitcnt_depctr 0xfff
	v_mul_f32_e32 v1, 0x4f7ffffe, v1
	s_delay_alu instid0(VALU_DEP_1) | instskip(NEXT) | instid1(VALU_DEP_1)
	v_cvt_u32_f32_e32 v1, v1
	v_readfirstlane_b32 s3, v1
	s_delay_alu instid0(VALU_DEP_1) | instskip(NEXT) | instid1(SALU_CYCLE_1)
	s_mul_i32 s4, s4, s3
	s_mul_hi_u32 s4, s3, s4
	s_delay_alu instid0(SALU_CYCLE_1)
	s_add_i32 s3, s3, s4
	s_xor_b32 s4, s15, s12
	s_mul_hi_u32 s3, s5, s3
	s_ashr_i32 s4, s4, 31
	s_mul_i32 s6, s3, s2
	s_mov_b32 s12, 0
	s_sub_i32 s5, s5, s6
	s_add_i32 s6, s3, 1
	s_sub_i32 s7, s5, s2
	s_cmp_ge_u32 s5, s2
	s_cselect_b32 s3, s6, s3
	s_cselect_b32 s5, s7, s5
	s_add_i32 s6, s3, 1
	s_cmp_ge_u32 s5, s2
	s_cselect_b32 s2, s6, s3
	s_delay_alu instid0(SALU_CYCLE_1) | instskip(NEXT) | instid1(SALU_CYCLE_1)
	s_xor_b32 s2, s2, s4
	s_sub_i32 s7, s2, s4
	s_load_b64 s[2:3], s[0:1], 0x50
	s_abs_i32 s4, s7
	s_delay_alu instid0(SALU_CYCLE_1) | instskip(SKIP_1) | instid1(VALU_DEP_1)
	v_cvt_f32_u32_e32 v1, s4
	s_sub_i32 s6, 0, s4
	v_rcp_iflag_f32_e32 v1, v1
	s_waitcnt_depctr 0xfff
	v_mul_f32_e32 v1, 0x4f7ffffe, v1
	s_delay_alu instid0(VALU_DEP_1) | instskip(NEXT) | instid1(VALU_DEP_1)
	v_cvt_u32_f32_e32 v1, v1
	v_readfirstlane_b32 s5, v1
	s_delay_alu instid0(VALU_DEP_1) | instskip(NEXT) | instid1(SALU_CYCLE_1)
	s_mul_i32 s6, s6, s5
	s_mul_hi_u32 s8, s5, s6
	s_abs_i32 s6, s22
	s_add_i32 s5, s5, s8
	s_waitcnt lgkmcnt(0)
	s_cmp_eq_u64 s[2:3], 0
	s_mul_hi_u32 s5, s6, s5
	s_cbranch_scc1 .LBB154_3
; %bb.2:
	s_ashr_i32 s23, s22, 31
	s_delay_alu instid0(SALU_CYCLE_1) | instskip(NEXT) | instid1(SALU_CYCLE_1)
	s_lshl_b64 s[8:9], s[22:23], 2
	s_add_u32 s2, s2, s8
	s_addc_u32 s3, s3, s9
	s_load_b32 s12, s[2:3], 0x0
.LBB154_3:
	s_load_b128 s[8:11], s[0:1], 0x58
	v_and_b32_e32 v1, 3, v0
	v_lshlrev_b32_e32 v2, 2, v0
	s_ashr_i32 s2, s22, 31
	s_ashr_i32 s3, s7, 31
	s_mul_i32 s18, s22, 0x70
	s_mov_b32 s7, exec_lo
	v_cmpx_gt_u32_e32 56, v0
	s_cbranch_execz .LBB154_5
; %bb.4:
	s_load_b64 s[20:21], s[0:1], 0x18
	s_waitcnt lgkmcnt(0)
	s_mul_i32 s24, s14, s8
	v_and_b32_e32 v4, 0x3fc, v0
	s_ashr_i32 s25, s24, 31
	s_delay_alu instid0(SALU_CYCLE_1) | instskip(NEXT) | instid1(VALU_DEP_1)
	s_lshl_b64 s[24:25], s[24:25], 1
	v_mad_u32_u24 v4, v1, 56, v4
	s_add_u32 s8, s20, s24
	s_addc_u32 s11, s21, s25
	s_ashr_i32 s19, s18, 31
	s_delay_alu instid0(SALU_CYCLE_1) | instskip(NEXT) | instid1(SALU_CYCLE_1)
	s_lshl_b64 s[20:21], s[18:19], 1
	s_add_u32 s20, s8, s20
	s_addc_u32 s21, s11, s21
	global_load_b32 v3, v2, s[20:21]
	s_waitcnt vmcnt(0)
	ds_store_b32 v4, v3
.LBB154_5:
	s_or_b32 exec_lo, exec_lo, s7
	s_add_i32 s7, s33, 7
	s_waitcnt lgkmcnt(0)
	s_lshl_b32 s11, s16, 6
	s_ashr_i32 s8, s7, 31
	s_xor_b32 s2, s2, s3
	s_lshr_b32 s8, s8, 29
	s_add_i32 s3, s11, 64
	s_add_i32 s7, s7, s8
	s_clause 0x1
	s_load_b64 s[24:25], s[0:1], 0x38
	s_load_b32 s8, s[0:1], 0x48
	s_ashr_i32 s23, s7, 3
	s_mul_i32 s7, s5, s4
	s_min_i32 s19, s3, s23
	s_sub_i32 s3, s6, s7
	s_add_i32 s6, s5, 1
	s_sub_i32 s7, s3, s4
	s_cmp_ge_u32 s3, s4
	v_lshrrev_b32_e32 v16, 5, v0
	s_cselect_b32 s5, s6, s5
	s_cselect_b32 s3, s7, s3
	s_add_i32 s6, s5, 1
	s_cmp_ge_u32 s3, s4
	v_or_b32_e32 v13, s11, v16
	s_cselect_b32 s3, s6, s5
	v_mbcnt_lo_u32_b32 v3, -1, 0
	s_xor_b32 s3, s3, s2
	s_mov_b32 s4, exec_lo
	s_sub_i32 s3, s3, s2
	v_cmp_gt_i32_e64 s2, s19, v13
	s_waitcnt lgkmcnt(0)
	s_mul_i32 s26, s14, s8
	s_delay_alu instid0(SALU_CYCLE_1)
	s_ashr_i32 s27, s26, 31
	s_barrier
	buffer_gl0_inv
                                        ; implicit-def: $sgpr30
                                        ; implicit-def: $vgpr4
	v_cmpx_le_i32_e64 s19, v13
	s_xor_b32 s4, exec_lo, s4
; %bb.6:
	v_mbcnt_lo_u32_b32 v3, -1, 0
	v_mov_b32_e32 v4, 32
	s_mov_b32 s30, 0xff7fffff
                                        ; implicit-def: $vgpr2
                                        ; implicit-def: $vgpr1
; %bb.7:
	s_or_saveexec_b32 s17, s4
	s_clause 0x3
	s_load_b128 s[4:7], s[0:1], 0x0
	s_load_b64 s[20:21], s[0:1], 0x10
	s_load_b64 s[28:29], s[0:1], 0x28
	s_load_b32 s8, s[0:1], 0x98
	v_dual_mov_b32 v36, s30 :: v_dual_lshlrev_b32 v5, 3, v16
	v_ashrrev_i32_e32 v14, 31, v13
	s_mul_i32 s30, s3, s10
	s_xor_b32 exec_lo, exec_lo, s17
	s_cbranch_execz .LBB154_13
; %bb.8:
	s_load_b64 s[0:1], s[0:1], 0x20
	v_mul_u32_u24_e32 v4, 56, v1
	v_bfe_u32 v36, v0, 2, 3
	s_ashr_i32 s31, s30, 31
	v_and_b32_e32 v2, 12, v2
	s_lshl_b64 s[36:37], s[30:31], 1
	ds_load_2addr_b64 v[17:20], v4 offset1:1
	v_lshlrev_b32_e32 v6, 4, v36
	ds_load_2addr_b64 v[23:26], v4 offset0:2 offset1:3
	ds_load_2addr_b64 v[31:34], v4 offset0:4 offset1:5
	ds_load_b64 v[38:39], v4 offset:48
	v_lshlrev_b32_e32 v42, 2, v36
	s_mov_b32 s35, s9
	s_mov_b32 s31, 0
	v_mov_b32_e32 v44, v13
	s_delay_alu instid0(VALU_DEP_2) | instskip(SKIP_2) | instid1(VALU_DEP_3)
	v_lshl_or_b32 v43, v16, 5, v42
	v_add3_u32 v42, s34, v5, v36
	v_mov_b32_e32 v36, 0xff7fffff
	v_add_nc_u32_e32 v43, 0x100, v43
	s_waitcnt lgkmcnt(0)
	s_add_u32 s0, s0, s36
	s_addc_u32 s1, s1, s37
	v_add_co_u32 v4, s0, s0, v6
	s_delay_alu instid0(VALU_DEP_1) | instskip(SKIP_2) | instid1(VALU_DEP_4)
	v_add_co_ci_u32_e64 v21, null, s1, 0, s0
	v_lshlrev_b32_e32 v6, 16, v17
	v_and_b32_e32 v7, 0xffff0000, v17
	v_add_co_u32 v17, vcc_lo, v4, v2
	v_xor_b32_e32 v2, 2, v3
	v_lshlrev_b32_e32 v8, 16, v18
	v_and_b32_e32 v9, 0xffff0000, v18
	v_add_co_ci_u32_e32 v18, vcc_lo, 0, v21, vcc_lo
	v_xor_b32_e32 v4, 1, v3
	v_cmp_gt_i32_e32 vcc_lo, 32, v2
	s_lshl_b64 s[36:37], s[26:27], 2
	s_sub_i32 s10, 1, s33
	s_add_u32 s1, s24, s36
	s_addc_u32 s3, s25, s37
	v_cndmask_b32_e32 v2, v3, v2, vcc_lo
	v_cmp_gt_i32_e32 vcc_lo, 32, v4
	v_lshlrev_b32_e32 v10, 16, v19
	v_and_b32_e32 v11, 0xffff0000, v19
	v_lshlrev_b32_e32 v12, 16, v20
	v_dual_cndmask_b32 v41, v3, v4 :: v_dual_lshlrev_b32 v40, 2, v2
	v_cmp_eq_u32_e32 vcc_lo, 0, v1
	v_lshlrev_b64 v[1:2], 2, v[13:14]
	v_and_b32_e32 v15, 0xffff0000, v20
	v_lshlrev_b32_e32 v19, 16, v23
	v_and_b32_e32 v20, 0xffff0000, v23
	v_lshlrev_b32_e32 v21, 16, v24
	v_and_b32_e32 v22, 0xffff0000, v24
	v_add_co_u32 v1, s1, s1, v1
	v_lshlrev_b32_e32 v23, 16, v25
	v_and_b32_e32 v24, 0xffff0000, v25
	v_lshlrev_b32_e32 v25, 16, v26
	v_and_b32_e32 v26, 0xffff0000, v26
	;; [unrolled: 2-line block ×7, first 2 shown]
	v_lshlrev_b32_e32 v38, 16, v39
	v_dual_mov_b32 v4, 32 :: v_dual_and_b32 v39, 0xffff0000, v39
	v_lshlrev_b32_e32 v41, 2, v41
	v_cmp_neq_f32_e64 s0, s12, 0
	v_add_co_ci_u32_e64 v2, s1, s3, v2, s1
	s_branch .LBB154_10
.LBB154_9:                              ;   in Loop: Header=BB154_10 Depth=1
	s_or_b32 exec_lo, exec_lo, s3
	v_add_nc_u32_e32 v44, 4, v44
	v_add_co_u32 v1, s3, v1, 16
	v_add_nc_u32_e32 v42, 32, v42
	v_add_nc_u32_e32 v43, 0x80, v43
	s_delay_alu instid0(VALU_DEP_4) | instskip(SKIP_1) | instid1(VALU_DEP_2)
	v_cmp_le_i32_e64 s1, s19, v44
	v_add_co_ci_u32_e64 v2, s3, 0, v2, s3
	s_or_b32 s31, s1, s31
	s_delay_alu instid0(SALU_CYCLE_1)
	s_and_not1_b32 exec_lo, exec_lo, s31
	s_cbranch_execz .LBB154_12
.LBB154_10:                             ; =>This Inner Loop Header: Depth=1
	global_load_b32 v47, v[1:2], off
	s_waitcnt vmcnt(0) lgkmcnt(0)
	v_mad_i64_i32 v[45:46], null, v47, s35, 0
	s_delay_alu instid0(VALU_DEP_1) | instskip(NEXT) | instid1(VALU_DEP_1)
	v_lshlrev_b64 v[45:46], 1, v[45:46]
	v_add_co_u32 v45, s1, v17, v45
	s_delay_alu instid0(VALU_DEP_1)
	v_add_co_ci_u32_e64 v46, s1, v18, v46, s1
	s_clause 0xd
	global_load_b32 v47, v[45:46], off offset:128
	global_load_b32 v48, v[45:46], off
	global_load_b32 v49, v[45:46], off offset:256
	global_load_b32 v50, v[45:46], off offset:384
	;; [unrolled: 1-line block ×12, first 2 shown]
	s_waitcnt vmcnt(12)
	v_lshlrev_b32_e32 v60, 16, v48
	s_waitcnt vmcnt(11)
	v_lshlrev_b32_e32 v61, 16, v49
	v_and_b32_e32 v49, 0xffff0000, v49
	v_and_b32_e32 v48, 0xffff0000, v48
	v_lshlrev_b32_e32 v46, 16, v47
	v_and_b32_e32 v47, 0xffff0000, v47
	s_delay_alu instid0(VALU_DEP_1) | instskip(NEXT) | instid1(VALU_DEP_1)
	v_mul_f32_e32 v47, v9, v47
	v_dual_fmac_f32 v47, v7, v48 :: v_dual_mul_f32 v46, v8, v46
	s_waitcnt vmcnt(10)
	v_lshlrev_b32_e32 v48, 16, v50
	v_and_b32_e32 v50, 0xffff0000, v50
	s_delay_alu instid0(VALU_DEP_3) | instskip(NEXT) | instid1(VALU_DEP_1)
	v_fmac_f32_e32 v46, v6, v60
	v_fmac_f32_e32 v46, v10, v61
	s_delay_alu instid0(VALU_DEP_1)
	v_dual_fmac_f32 v46, v12, v48 :: v_dual_fmac_f32 v47, v11, v49
	s_waitcnt vmcnt(9)
	v_lshlrev_b32_e32 v49, 16, v51
	v_and_b32_e32 v51, 0xffff0000, v51
	s_waitcnt vmcnt(8)
	v_dual_fmac_f32 v47, v15, v50 :: v_dual_lshlrev_b32 v48, 16, v52
	s_delay_alu instid0(VALU_DEP_3) | instskip(SKIP_3) | instid1(VALU_DEP_3)
	v_fmac_f32_e32 v46, v19, v49
	v_and_b32_e32 v50, 0xffff0000, v52
	s_waitcnt vmcnt(7)
	v_lshlrev_b32_e32 v49, 16, v53
	v_dual_fmac_f32 v47, v20, v51 :: v_dual_fmac_f32 v46, v21, v48
	s_waitcnt vmcnt(6)
	v_lshlrev_b32_e32 v48, 16, v54
	s_delay_alu instid0(VALU_DEP_2) | instskip(SKIP_2) | instid1(VALU_DEP_2)
	v_dual_fmac_f32 v47, v22, v50 :: v_dual_fmac_f32 v46, v23, v49
	v_and_b32_e32 v51, 0xffff0000, v53
	v_and_b32_e32 v50, 0xffff0000, v54
	v_dual_fmac_f32 v46, v25, v48 :: v_dual_fmac_f32 v47, v24, v51
	s_waitcnt vmcnt(4)
	v_lshlrev_b32_e32 v48, 16, v56
	v_lshlrev_b32_e32 v49, 16, v55
	v_and_b32_e32 v51, 0xffff0000, v55
	s_delay_alu instid0(VALU_DEP_2) | instskip(NEXT) | instid1(VALU_DEP_1)
	v_dual_fmac_f32 v47, v26, v50 :: v_dual_fmac_f32 v46, v27, v49
	v_dual_fmac_f32 v47, v28, v51 :: v_dual_fmac_f32 v46, v29, v48
	s_waitcnt vmcnt(2)
	v_lshlrev_b32_e32 v48, 16, v58
	v_lshlrev_b32_e32 v49, 16, v57
	s_waitcnt vmcnt(1)
	s_delay_alu instid0(VALU_DEP_1) | instskip(NEXT) | instid1(VALU_DEP_1)
	v_dual_fmac_f32 v46, v31, v49 :: v_dual_lshlrev_b32 v49, 16, v59
	v_fmac_f32_e32 v46, v33, v48
	s_waitcnt vmcnt(0)
	v_lshlrev_b32_e32 v48, 16, v45
	v_and_b32_e32 v45, 0xffff0000, v45
	v_and_b32_e32 v50, 0xffff0000, v56
	v_fmac_f32_e32 v46, v35, v49
	v_and_b32_e32 v51, 0xffff0000, v57
	s_delay_alu instid0(VALU_DEP_3) | instskip(SKIP_1) | instid1(VALU_DEP_2)
	v_fmac_f32_e32 v47, v30, v50
	v_and_b32_e32 v50, 0xffff0000, v58
	v_dual_fmac_f32 v46, v38, v48 :: v_dual_fmac_f32 v47, v32, v51
	v_and_b32_e32 v51, 0xffff0000, v59
	s_delay_alu instid0(VALU_DEP_2) | instskip(NEXT) | instid1(VALU_DEP_1)
	v_fmac_f32_e32 v47, v34, v50
	v_fmac_f32_e32 v47, v37, v51
	s_delay_alu instid0(VALU_DEP_1) | instskip(NEXT) | instid1(VALU_DEP_1)
	v_fmac_f32_e32 v47, v39, v45
	v_add_f32_e32 v45, v46, v47
	ds_bpermute_b32 v46, v40, v45
	s_waitcnt lgkmcnt(0)
	v_add_f32_e32 v45, v45, v46
	ds_bpermute_b32 v46, v41, v45
	s_and_saveexec_b32 s3, vcc_lo
	s_cbranch_execz .LBB154_9
; %bb.11:                               ;   in Loop: Header=BB154_10 Depth=1
	s_waitcnt lgkmcnt(0)
	v_add_f32_e32 v45, v45, v46
	v_add_nc_u32_e32 v47, s10, v42
	v_cmp_gt_i32_e64 s1, s33, v42
	s_delay_alu instid0(VALU_DEP_2) | instskip(NEXT) | instid1(VALU_DEP_1)
	v_cvt_f32_i32_e32 v47, v47
	v_mul_f32_e32 v47, s12, v47
	s_delay_alu instid0(VALU_DEP_1) | instskip(NEXT) | instid1(VALU_DEP_1)
	v_cndmask_b32_e64 v46, 0, v47, s0
	v_dual_max_f32 v47, v36, v36 :: v_dual_fmac_f32 v46, s13, v45
	s_delay_alu instid0(VALU_DEP_1) | instskip(SKIP_1) | instid1(VALU_DEP_2)
	v_max_f32_e32 v45, v47, v46
	v_cndmask_b32_e64 v46, 0, v46, s1
	v_cndmask_b32_e64 v36, v36, v45, s1
	ds_store_b32 v43, v46
	s_branch .LBB154_9
.LBB154_12:
	s_or_b32 exec_lo, exec_lo, s31
.LBB154_13:
	s_delay_alu instid0(SALU_CYCLE_1)
	s_or_b32 exec_lo, exec_lo, s17
	v_xor_b32_e32 v1, 16, v3
	v_xor_b32_e32 v6, 8, v3
	;; [unrolled: 1-line block ×3, first 2 shown]
	v_and_b32_e32 v17, 31, v0
	v_max_f32_e32 v7, v36, v36
	v_cmp_lt_i32_e32 vcc_lo, v1, v4
	v_cndmask_b32_e32 v1, v3, v1, vcc_lo
	v_cmp_lt_i32_e32 vcc_lo, v6, v4
	v_cndmask_b32_e32 v6, v3, v6, vcc_lo
	v_cmp_lt_i32_e32 vcc_lo, v8, v4
	s_delay_alu instid0(VALU_DEP_2) | instskip(SKIP_4) | instid1(VALU_DEP_1)
	v_lshlrev_b32_e32 v6, 2, v6
	v_lshlrev_b32_e32 v2, 2, v1
	ds_bpermute_b32 v1, v2, v36
	s_waitcnt lgkmcnt(0)
	v_max_f32_e32 v1, v1, v1
	v_max_f32_e32 v1, v7, v1
	ds_bpermute_b32 v7, v6, v1
	s_waitcnt lgkmcnt(0)
	v_max_f32_e32 v7, v7, v7
	v_cndmask_b32_e32 v8, v3, v8, vcc_lo
	v_cmp_eq_u32_e32 vcc_lo, 0, v17
	s_delay_alu instid0(VALU_DEP_3) | instskip(NEXT) | instid1(VALU_DEP_3)
	v_max_f32_e32 v1, v1, v7
	v_lshlrev_b32_e32 v9, 2, v8
	v_lshlrev_b32_e32 v7, 2, v16
	ds_bpermute_b32 v8, v9, v1
	s_and_saveexec_b32 s0, vcc_lo
	s_cbranch_execz .LBB154_15
; %bb.14:
	s_waitcnt lgkmcnt(0)
	v_dual_max_f32 v8, v8, v8 :: v_dual_max_f32 v1, v1, v1
	s_delay_alu instid0(VALU_DEP_1)
	v_max_f32_e32 v1, v1, v8
	ds_store_b32 v7, v1 offset:224
.LBB154_15:
	s_or_b32 exec_lo, exec_lo, s0
	v_cmp_gt_u32_e64 s0, 4, v17
	s_waitcnt lgkmcnt(0)
	v_dual_mov_b32 v1, 0xff7fffff :: v_dual_lshlrev_b32 v8, 2, v17
	s_barrier
	buffer_gl0_inv
	s_and_saveexec_b32 s1, s0
	s_cbranch_execz .LBB154_17
; %bb.16:
	ds_load_b32 v1, v8 offset:224
.LBB154_17:
	s_or_b32 exec_lo, exec_lo, s1
	v_xor_b32_e32 v10, 2, v3
	v_xor_b32_e32 v12, 1, v3
	s_delay_alu instid0(VALU_DEP_2) | instskip(NEXT) | instid1(VALU_DEP_1)
	v_cmp_lt_i32_e64 s1, v10, v4
	v_cndmask_b32_e64 v10, v3, v10, s1
	s_delay_alu instid0(VALU_DEP_3) | instskip(NEXT) | instid1(VALU_DEP_2)
	v_cmp_lt_i32_e64 s1, v12, v4
	v_lshlrev_b32_e32 v10, 2, v10
	s_delay_alu instid0(VALU_DEP_2)
	v_cndmask_b32_e64 v4, v3, v12, s1
	v_lshlrev_b32_e32 v3, 2, v3
	s_sub_i32 s1, s19, s11
	v_mov_b32_e32 v12, 0
	s_waitcnt lgkmcnt(0)
	ds_bpermute_b32 v11, v10, v1
	v_dual_max_f32 v1, v1, v1 :: v_dual_lshlrev_b32 v4, 2, v4
	s_lshl_b32 s1, s1, 3
	s_delay_alu instid0(SALU_CYCLE_1) | instskip(NEXT) | instid1(SALU_CYCLE_1)
	s_add_i32 s1, s1, s34
	s_min_i32 s1, s1, s33
	s_delay_alu instid0(SALU_CYCLE_1) | instskip(NEXT) | instid1(SALU_CYCLE_1)
	s_sub_i32 s10, s1, s34
	v_cmp_gt_i32_e64 s1, s10, v0
	s_waitcnt lgkmcnt(0)
	v_max_f32_e32 v11, v11, v11
	s_delay_alu instid0(VALU_DEP_1) | instskip(SKIP_3) | instid1(VALU_DEP_1)
	v_max_f32_e32 v1, v1, v11
	ds_bpermute_b32 v11, v4, v1
	s_waitcnt lgkmcnt(0)
	v_max_f32_e32 v11, v11, v11
	v_max_f32_e32 v1, v1, v11
	v_and_b32_e32 v11, 0xffffff80, v3
	v_lshl_add_u32 v3, v0, 2, 0x100
	ds_bpermute_b32 v1, v11, v1
	s_and_saveexec_b32 s11, s1
	s_cbranch_execz .LBB154_21
; %bb.18:
	v_lshl_add_u32 v15, v0, 2, 0x100
	v_mov_b32_e32 v12, 0
	v_mov_b32_e32 v18, v0
	s_mov_b32 s12, 0
	.p2align	6
.LBB154_19:                             ; =>This Inner Loop Header: Depth=1
	ds_load_b32 v19, v15
	v_add_nc_u32_e32 v18, 0x80, v18
	s_delay_alu instid0(VALU_DEP_1) | instskip(NEXT) | instid1(VALU_DEP_1)
	v_cmp_le_i32_e64 s3, s10, v18
	s_or_b32 s12, s3, s12
	s_waitcnt lgkmcnt(0)
	v_sub_f32_e32 v19, v19, v1
	s_delay_alu instid0(VALU_DEP_1) | instskip(NEXT) | instid1(VALU_DEP_1)
	v_mul_f32_e32 v19, 0x3fb8aa3b, v19
	v_exp_f32_e32 v19, v19
	ds_store_b32 v15, v19
	v_add_f32_e32 v12, v12, v19
	v_add_nc_u32_e32 v15, 0x200, v15
	s_and_not1_b32 exec_lo, exec_lo, s12
	s_cbranch_execnz .LBB154_19
; %bb.20:
	s_or_b32 exec_lo, exec_lo, s12
.LBB154_21:
	s_delay_alu instid0(SALU_CYCLE_1)
	s_or_b32 exec_lo, exec_lo, s11
	ds_bpermute_b32 v2, v2, v12
	s_waitcnt lgkmcnt(0)
	v_add_f32_e32 v2, v12, v2
	ds_bpermute_b32 v6, v6, v2
	s_waitcnt lgkmcnt(0)
	v_add_f32_e32 v2, v2, v6
	ds_bpermute_b32 v6, v9, v2
	s_waitcnt lgkmcnt(0)
	v_add_f32_e32 v2, v2, v6
	ds_bpermute_b32 v6, v10, v2
	s_waitcnt lgkmcnt(0)
	v_add_f32_e32 v2, v2, v6
	ds_bpermute_b32 v6, v4, v2
	s_waitcnt lgkmcnt(0)
	v_add_f32_e32 v2, v2, v6
	s_and_saveexec_b32 s3, vcc_lo
	s_cbranch_execz .LBB154_23
; %bb.22:
	ds_store_b32 v7, v2 offset:240
.LBB154_23:
	s_or_b32 exec_lo, exec_lo, s3
	s_waitcnt lgkmcnt(0)
	s_barrier
	buffer_gl0_inv
	s_and_saveexec_b32 s3, s0
	s_cbranch_execz .LBB154_25
; %bb.24:
	ds_load_b32 v2, v8 offset:240
.LBB154_25:
	s_or_b32 exec_lo, exec_lo, s3
	s_waitcnt lgkmcnt(0)
	ds_bpermute_b32 v6, v10, v2
	s_waitcnt lgkmcnt(0)
	v_add_f32_e32 v2, v2, v6
	ds_bpermute_b32 v4, v4, v2
	s_waitcnt lgkmcnt(0)
	v_add_f32_e32 v2, v2, v4
	ds_bpermute_b32 v2, v11, v2
	s_and_saveexec_b32 s0, s1
	s_cbranch_execz .LBB154_28
; %bb.26:
	s_waitcnt lgkmcnt(0)
	v_add_f32_e32 v4, 0x358637bd, v2
	s_mov_b32 s1, 0
	s_delay_alu instid0(VALU_DEP_1) | instskip(NEXT) | instid1(VALU_DEP_1)
	v_div_scale_f32 v6, null, v4, v4, 1.0
	v_rcp_f32_e32 v7, v6
	s_waitcnt_depctr 0xfff
	v_fma_f32 v8, -v6, v7, 1.0
	s_delay_alu instid0(VALU_DEP_1) | instskip(SKIP_1) | instid1(VALU_DEP_1)
	v_fmac_f32_e32 v7, v8, v7
	v_div_scale_f32 v9, vcc_lo, 1.0, v4, 1.0
	v_mul_f32_e32 v8, v9, v7
	s_delay_alu instid0(VALU_DEP_1) | instskip(NEXT) | instid1(VALU_DEP_1)
	v_fma_f32 v10, -v6, v8, v9
	v_fmac_f32_e32 v8, v10, v7
	s_delay_alu instid0(VALU_DEP_1) | instskip(NEXT) | instid1(VALU_DEP_1)
	v_fma_f32 v6, -v6, v8, v9
	v_div_fmas_f32 v6, v6, v7, v8
	s_delay_alu instid0(VALU_DEP_1)
	v_div_fixup_f32 v4, v6, v4, 1.0
	v_mov_b32_e32 v6, v0
.LBB154_27:                             ; =>This Inner Loop Header: Depth=1
	ds_load_b32 v7, v3
	s_waitcnt lgkmcnt(0)
	v_dual_mul_f32 v7, v4, v7 :: v_dual_add_nc_u32 v6, 0x80, v6
	s_delay_alu instid0(VALU_DEP_1) | instskip(SKIP_3) | instid1(SALU_CYCLE_1)
	v_cmp_le_i32_e32 vcc_lo, s10, v6
	ds_store_b32 v3, v7
	v_add_nc_u32_e32 v3, 0x200, v3
	s_or_b32 s1, vcc_lo, s1
	s_and_not1_b32 exec_lo, exec_lo, s1
	s_cbranch_execnz .LBB154_27
.LBB154_28:
	s_or_b32 exec_lo, exec_lo, s0
	s_mul_i32 s0, s8, s14
	s_mov_b32 s12, 0
	s_mul_i32 s10, s0, s15
	s_mov_b32 s0, exec_lo
	s_waitcnt lgkmcnt(0)
	s_barrier
	buffer_gl0_inv
	v_cmpx_eq_u32_e32 0, v0
	s_cbranch_execz .LBB154_30
; %bb.29:
	s_ashr_i32 s11, s10, 31
	s_mul_i32 s36, s8, s22
	s_lshl_b64 s[14:15], s[10:11], 2
	v_mov_b32_e32 v3, 0
	s_add_u32 s1, s6, s14
	s_addc_u32 s3, s7, s15
	s_ashr_i32 s37, s36, 31
	s_delay_alu instid0(SALU_CYCLE_1) | instskip(NEXT) | instid1(SALU_CYCLE_1)
	s_lshl_b64 s[6:7], s[36:37], 2
	s_add_u32 s1, s1, s6
	s_addc_u32 s3, s3, s7
	s_ashr_i32 s17, s16, 31
	s_delay_alu instid0(SALU_CYCLE_1) | instskip(NEXT) | instid1(SALU_CYCLE_1)
	s_lshl_b64 s[36:37], s[16:17], 2
	s_add_u32 s38, s1, s36
	s_addc_u32 s39, s3, s37
	s_add_u32 s1, s4, s14
	s_addc_u32 s3, s5, s15
	;; [unrolled: 2-line block ×4, first 2 shown]
	s_clause 0x1
	global_store_b32 v3, v1, s[38:39]
	global_store_b32 v3, v2, s[4:5]
.LBB154_30:
	s_or_b32 exec_lo, exec_lo, s0
	s_mov_b32 s13, s12
	s_mov_b32 s14, s12
	;; [unrolled: 1-line block ×3, first 2 shown]
	v_dual_mov_b32 v1, s12 :: v_dual_mov_b32 v2, s13
	v_dual_mov_b32 v3, s14 :: v_dual_mov_b32 v4, s15
	s_and_saveexec_b32 s3, s2
	s_cbranch_execz .LBB154_204
; %bb.31:
	v_or_b32_e32 v1, 0x60, v17
	s_ashr_i32 s31, s30, 31
	s_mov_b32 s4, 0
	s_lshl_b64 s[0:1], s[30:31], 1
	s_mov_b32 s5, s4
	v_cmp_gt_u32_e32 vcc_lo, 0x70, v1
	s_mov_b32 s6, s4
	s_mov_b32 s7, s4
	v_lshlrev_b32_e32 v7, 3, v1
	v_lshlrev_b64 v[1:2], 2, v[13:14]
	s_add_u32 s2, s28, s0
	s_addc_u32 s11, s29, s1
	s_lshl_b64 s[0:1], s[26:27], 2
	s_add_i32 s12, s23, -1
	v_lshlrev_b32_e32 v6, 3, v17
	s_add_u32 s0, s24, s0
	s_addc_u32 s1, s25, s1
	v_add_co_u32 v14, s0, s0, v1
	s_delay_alu instid0(VALU_DEP_1)
	v_add_co_ci_u32_e64 v15, s0, s1, v2, s0
	v_mov_b32_e32 v1, s4
	v_add3_u32 v18, s34, v5, 7
	v_lshl_add_u32 v19, v16, 5, 0x100
	v_dual_mov_b32 v2, s5 :: v_dual_mov_b32 v3, s6
	v_mov_b32_e32 v4, s7
	v_lshlrev_b32_e32 v20, 1, v6
	v_lshlrev_b32_e32 v21, 1, v7
	s_mov_b32 s5, s9
	s_branch .LBB154_34
.LBB154_32:                             ;   in Loop: Header=BB154_34 Depth=1
	s_or_b32 exec_lo, exec_lo, s1
	v_and_b32_e32 v10, 0xffff0000, v10
	v_and_b32_e32 v7, 0xffff0000, v7
	s_delay_alu instid0(VALU_DEP_1) | instskip(SKIP_3) | instid1(VALU_DEP_1)
	v_dual_add_f32 v7, v7, v10 :: v_dual_and_b32 v8, 0xffff0000, v8
	v_and_b32_e32 v5, 0xffff0000, v5
	v_and_b32_e32 v6, 0xffff0000, v6
	;; [unrolled: 1-line block ×3, first 2 shown]
	v_dual_add_f32 v5, v5, v11 :: v_dual_and_b32 v12, 0xffff0000, v12
	s_delay_alu instid0(VALU_DEP_1) | instskip(NEXT) | instid1(VALU_DEP_1)
	v_add_f32_e32 v6, v6, v12
	v_dual_add_f32 v5, v5, v6 :: v_dual_and_b32 v6, 0xffff0000, v9
	s_delay_alu instid0(VALU_DEP_1) | instskip(NEXT) | instid1(VALU_DEP_1)
	v_dual_add_f32 v5, v5, v7 :: v_dual_add_f32 v6, v8, v6
	v_add_f32_e32 v5, v5, v6
	s_delay_alu instid0(VALU_DEP_1)
	v_add_f32_e32 v4, v4, v5
.LBB154_33:                             ;   in Loop: Header=BB154_34 Depth=1
	s_or_b32 exec_lo, exec_lo, s6
	v_add_nc_u32_e32 v13, 4, v13
	v_add_co_u32 v14, s1, v14, 16
	v_add_nc_u32_e32 v18, 32, v18
	v_add_nc_u32_e32 v19, 0x80, v19
	s_delay_alu instid0(VALU_DEP_4) | instskip(SKIP_1) | instid1(VALU_DEP_2)
	v_cmp_le_i32_e64 s0, s19, v13
	v_add_co_ci_u32_e64 v15, s1, 0, v15, s1
	s_or_b32 s4, s0, s4
	s_delay_alu instid0(SALU_CYCLE_1)
	s_and_not1_b32 exec_lo, exec_lo, s4
	s_cbranch_execz .LBB154_203
.LBB154_34:                             ; =>This Inner Loop Header: Depth=1
	global_load_b32 v22, v[14:15], off
	ds_load_2addr_b64 v[9:12], v19 offset1:1
	ds_load_2addr_b64 v[5:8], v19 offset0:2 offset1:3
	s_waitcnt lgkmcnt(1)
	v_and_b32_e32 v23, 0x7f800000, v9
	s_delay_alu instid0(VALU_DEP_1) | instskip(NEXT) | instid1(VALU_DEP_1)
	v_cmp_ne_u32_e64 s0, 0x7f800000, v23
                                        ; implicit-def: $vgpr23
	s_and_saveexec_b32 s1, s0
	s_delay_alu instid0(SALU_CYCLE_1)
	s_xor_b32 s0, exec_lo, s1
; %bb.35:                               ;   in Loop: Header=BB154_34 Depth=1
	v_bfe_u32 v23, v9, 16, 1
	s_delay_alu instid0(VALU_DEP_1)
	v_add3_u32 v23, v9, v23, 0x7fff
; %bb.36:                               ;   in Loop: Header=BB154_34 Depth=1
	s_and_not1_saveexec_b32 s1, s0
; %bb.37:                               ;   in Loop: Header=BB154_34 Depth=1
	v_and_b32_e32 v23, 0xffff, v9
	v_or_b32_e32 v24, 0x10000, v9
	s_delay_alu instid0(VALU_DEP_2) | instskip(NEXT) | instid1(VALU_DEP_1)
	v_cmp_eq_u32_e64 s0, 0, v23
	v_cndmask_b32_e64 v23, v24, v9, s0
; %bb.38:                               ;   in Loop: Header=BB154_34 Depth=1
	s_or_b32 exec_lo, exec_lo, s1
	v_and_b32_e32 v9, 0x7f800000, v10
                                        ; implicit-def: $vgpr24
	s_delay_alu instid0(VALU_DEP_1) | instskip(NEXT) | instid1(VALU_DEP_1)
	v_cmp_ne_u32_e64 s0, 0x7f800000, v9
	s_and_saveexec_b32 s1, s0
	s_delay_alu instid0(SALU_CYCLE_1)
	s_xor_b32 s0, exec_lo, s1
; %bb.39:                               ;   in Loop: Header=BB154_34 Depth=1
	v_bfe_u32 v9, v10, 16, 1
	s_delay_alu instid0(VALU_DEP_1)
	v_add3_u32 v24, v10, v9, 0x7fff
; %bb.40:                               ;   in Loop: Header=BB154_34 Depth=1
	s_and_not1_saveexec_b32 s1, s0
; %bb.41:                               ;   in Loop: Header=BB154_34 Depth=1
	v_and_b32_e32 v9, 0xffff, v10
	v_or_b32_e32 v24, 0x10000, v10
	s_delay_alu instid0(VALU_DEP_2) | instskip(NEXT) | instid1(VALU_DEP_1)
	v_cmp_eq_u32_e64 s0, 0, v9
	v_cndmask_b32_e64 v24, v24, v10, s0
; %bb.42:                               ;   in Loop: Header=BB154_34 Depth=1
	s_or_b32 exec_lo, exec_lo, s1
	v_and_b32_e32 v9, 0x7f800000, v11
                                        ; implicit-def: $vgpr25
	s_delay_alu instid0(VALU_DEP_1) | instskip(NEXT) | instid1(VALU_DEP_1)
	v_cmp_ne_u32_e64 s0, 0x7f800000, v9
	s_and_saveexec_b32 s1, s0
	s_delay_alu instid0(SALU_CYCLE_1)
	s_xor_b32 s0, exec_lo, s1
; %bb.43:                               ;   in Loop: Header=BB154_34 Depth=1
	v_bfe_u32 v9, v11, 16, 1
	s_delay_alu instid0(VALU_DEP_1)
	v_add3_u32 v25, v11, v9, 0x7fff
; %bb.44:                               ;   in Loop: Header=BB154_34 Depth=1
	s_and_not1_saveexec_b32 s1, s0
; %bb.45:                               ;   in Loop: Header=BB154_34 Depth=1
	v_and_b32_e32 v9, 0xffff, v11
	v_or_b32_e32 v10, 0x10000, v11
	s_delay_alu instid0(VALU_DEP_2) | instskip(NEXT) | instid1(VALU_DEP_1)
	v_cmp_eq_u32_e64 s0, 0, v9
	v_cndmask_b32_e64 v25, v10, v11, s0
; %bb.46:                               ;   in Loop: Header=BB154_34 Depth=1
	s_or_b32 exec_lo, exec_lo, s1
	v_and_b32_e32 v9, 0x7f800000, v12
                                        ; implicit-def: $vgpr26
	s_delay_alu instid0(VALU_DEP_1) | instskip(NEXT) | instid1(VALU_DEP_1)
	v_cmp_ne_u32_e64 s0, 0x7f800000, v9
	s_and_saveexec_b32 s1, s0
	s_delay_alu instid0(SALU_CYCLE_1)
	s_xor_b32 s0, exec_lo, s1
; %bb.47:                               ;   in Loop: Header=BB154_34 Depth=1
	v_bfe_u32 v9, v12, 16, 1
	s_delay_alu instid0(VALU_DEP_1)
	v_add3_u32 v26, v12, v9, 0x7fff
                                        ; implicit-def: $vgpr9_vgpr10_vgpr11_vgpr12
; %bb.48:                               ;   in Loop: Header=BB154_34 Depth=1
	s_and_not1_saveexec_b32 s1, s0
; %bb.49:                               ;   in Loop: Header=BB154_34 Depth=1
	v_and_b32_e32 v9, 0xffff, v12
	v_or_b32_e32 v10, 0x10000, v12
	s_delay_alu instid0(VALU_DEP_2) | instskip(NEXT) | instid1(VALU_DEP_1)
	v_cmp_eq_u32_e64 s0, 0, v9
	v_cndmask_b32_e64 v26, v10, v12, s0
; %bb.50:                               ;   in Loop: Header=BB154_34 Depth=1
	s_or_b32 exec_lo, exec_lo, s1
	s_waitcnt lgkmcnt(0)
	v_and_b32_e32 v9, 0x7f800000, v5
                                        ; implicit-def: $vgpr27
	s_delay_alu instid0(VALU_DEP_1) | instskip(NEXT) | instid1(VALU_DEP_1)
	v_cmp_ne_u32_e64 s0, 0x7f800000, v9
	s_and_saveexec_b32 s1, s0
	s_delay_alu instid0(SALU_CYCLE_1)
	s_xor_b32 s0, exec_lo, s1
; %bb.51:                               ;   in Loop: Header=BB154_34 Depth=1
	v_bfe_u32 v9, v5, 16, 1
	s_delay_alu instid0(VALU_DEP_1)
	v_add3_u32 v27, v5, v9, 0x7fff
; %bb.52:                               ;   in Loop: Header=BB154_34 Depth=1
	s_and_not1_saveexec_b32 s1, s0
; %bb.53:                               ;   in Loop: Header=BB154_34 Depth=1
	v_and_b32_e32 v9, 0xffff, v5
	v_or_b32_e32 v10, 0x10000, v5
	s_delay_alu instid0(VALU_DEP_2) | instskip(NEXT) | instid1(VALU_DEP_1)
	v_cmp_eq_u32_e64 s0, 0, v9
	v_cndmask_b32_e64 v27, v10, v5, s0
; %bb.54:                               ;   in Loop: Header=BB154_34 Depth=1
	s_or_b32 exec_lo, exec_lo, s1
	v_and_b32_e32 v5, 0x7f800000, v6
                                        ; implicit-def: $vgpr28
	s_delay_alu instid0(VALU_DEP_1) | instskip(NEXT) | instid1(VALU_DEP_1)
	v_cmp_ne_u32_e64 s0, 0x7f800000, v5
	s_and_saveexec_b32 s1, s0
	s_delay_alu instid0(SALU_CYCLE_1)
	s_xor_b32 s0, exec_lo, s1
; %bb.55:                               ;   in Loop: Header=BB154_34 Depth=1
	v_bfe_u32 v5, v6, 16, 1
	s_delay_alu instid0(VALU_DEP_1)
	v_add3_u32 v28, v6, v5, 0x7fff
; %bb.56:                               ;   in Loop: Header=BB154_34 Depth=1
	s_and_not1_saveexec_b32 s1, s0
; %bb.57:                               ;   in Loop: Header=BB154_34 Depth=1
	v_and_b32_e32 v5, 0xffff, v6
	v_or_b32_e32 v9, 0x10000, v6
	s_delay_alu instid0(VALU_DEP_2) | instskip(NEXT) | instid1(VALU_DEP_1)
	v_cmp_eq_u32_e64 s0, 0, v5
	v_cndmask_b32_e64 v28, v9, v6, s0
; %bb.58:                               ;   in Loop: Header=BB154_34 Depth=1
	s_or_b32 exec_lo, exec_lo, s1
	v_and_b32_e32 v5, 0x7f800000, v7
                                        ; implicit-def: $vgpr29
	s_delay_alu instid0(VALU_DEP_1) | instskip(NEXT) | instid1(VALU_DEP_1)
	v_cmp_ne_u32_e64 s0, 0x7f800000, v5
	s_and_saveexec_b32 s1, s0
	s_delay_alu instid0(SALU_CYCLE_1)
	s_xor_b32 s0, exec_lo, s1
; %bb.59:                               ;   in Loop: Header=BB154_34 Depth=1
	v_bfe_u32 v5, v7, 16, 1
	s_delay_alu instid0(VALU_DEP_1)
	v_add3_u32 v29, v7, v5, 0x7fff
; %bb.60:                               ;   in Loop: Header=BB154_34 Depth=1
	s_and_not1_saveexec_b32 s1, s0
; %bb.61:                               ;   in Loop: Header=BB154_34 Depth=1
	v_and_b32_e32 v5, 0xffff, v7
	v_or_b32_e32 v6, 0x10000, v7
	s_delay_alu instid0(VALU_DEP_2) | instskip(NEXT) | instid1(VALU_DEP_1)
	v_cmp_eq_u32_e64 s0, 0, v5
	v_cndmask_b32_e64 v29, v6, v7, s0
; %bb.62:                               ;   in Loop: Header=BB154_34 Depth=1
	s_or_b32 exec_lo, exec_lo, s1
	v_and_b32_e32 v5, 0x7f800000, v8
                                        ; implicit-def: $vgpr30
	s_delay_alu instid0(VALU_DEP_1) | instskip(NEXT) | instid1(VALU_DEP_1)
	v_cmp_ne_u32_e64 s0, 0x7f800000, v5
	s_and_saveexec_b32 s1, s0
	s_delay_alu instid0(SALU_CYCLE_1)
	s_xor_b32 s0, exec_lo, s1
; %bb.63:                               ;   in Loop: Header=BB154_34 Depth=1
	v_bfe_u32 v5, v8, 16, 1
	s_delay_alu instid0(VALU_DEP_1)
	v_add3_u32 v30, v8, v5, 0x7fff
                                        ; implicit-def: $vgpr5_vgpr6_vgpr7_vgpr8
; %bb.64:                               ;   in Loop: Header=BB154_34 Depth=1
	s_and_not1_saveexec_b32 s1, s0
; %bb.65:                               ;   in Loop: Header=BB154_34 Depth=1
	v_and_b32_e32 v5, 0xffff, v8
	v_or_b32_e32 v6, 0x10000, v8
	s_delay_alu instid0(VALU_DEP_2) | instskip(NEXT) | instid1(VALU_DEP_1)
	v_cmp_eq_u32_e64 s0, 0, v5
	v_cndmask_b32_e64 v30, v6, v8, s0
; %bb.66:                               ;   in Loop: Header=BB154_34 Depth=1
	s_or_b32 exec_lo, exec_lo, s1
	s_waitcnt vmcnt(0)
	v_mad_i64_i32 v[5:6], null, v22, s5, 0
	v_add_nc_u32_e32 v11, -7, v18
	s_delay_alu instid0(VALU_DEP_2) | instskip(NEXT) | instid1(VALU_DEP_1)
	v_lshlrev_b64 v[5:6], 1, v[5:6]
	v_add_co_u32 v12, s0, s2, v5
	s_delay_alu instid0(VALU_DEP_1) | instskip(NEXT) | instid1(VALU_DEP_2)
	v_add_co_ci_u32_e64 v22, s0, s11, v6, s0
	v_add_co_u32 v9, s0, v12, v20
	s_delay_alu instid0(VALU_DEP_1)
	v_add_co_ci_u32_e64 v10, s0, 0, v22, s0
	v_cmp_eq_u32_e64 s0, s12, v13
	global_load_b128 v[5:8], v[9:10], off
	s_waitcnt vmcnt(0)
	v_lshrrev_b32_e32 v32, 16, v5
	v_lshrrev_b32_e32 v34, 16, v6
	;; [unrolled: 1-line block ×4, first 2 shown]
	s_and_saveexec_b32 s6, s0
	s_cbranch_execz .LBB154_68
; %bb.67:                               ;   in Loop: Header=BB154_34 Depth=1
	v_add_nc_u32_e32 v31, -6, v18
	v_cmp_gt_i32_e64 s1, s33, v11
	v_add_nc_u32_e32 v33, -5, v18
	v_add_nc_u32_e32 v35, -2, v18
	s_delay_alu instid0(VALU_DEP_3) | instskip(SKIP_2) | instid1(VALU_DEP_2)
	v_cndmask_b32_e64 v5, 0, v5, s1
	v_cmp_gt_i32_e64 s1, s33, v31
	v_add_nc_u32_e32 v31, -4, v18
	v_cndmask_b32_e64 v32, 0, v32, s1
	v_cmp_gt_i32_e64 s1, s33, v33
	v_add_nc_u32_e32 v33, -3, v18
	s_delay_alu instid0(VALU_DEP_2) | instskip(SKIP_2) | instid1(VALU_DEP_2)
	v_cndmask_b32_e64 v6, 0, v6, s1
	v_cmp_gt_i32_e64 s1, s33, v31
	v_add_nc_u32_e32 v31, -1, v18
	v_cndmask_b32_e64 v34, 0, v34, s1
	v_cmp_gt_i32_e64 s1, s33, v33
	s_delay_alu instid0(VALU_DEP_1) | instskip(SKIP_1) | instid1(VALU_DEP_1)
	v_cndmask_b32_e64 v7, 0, v7, s1
	v_cmp_gt_i32_e64 s1, s33, v35
	v_cndmask_b32_e64 v36, 0, v36, s1
	v_cmp_gt_i32_e64 s1, s33, v31
	s_delay_alu instid0(VALU_DEP_1) | instskip(SKIP_1) | instid1(VALU_DEP_1)
	v_cndmask_b32_e64 v8, 0, v8, s1
	v_cmp_gt_i32_e64 s1, s33, v18
	v_cndmask_b32_e64 v38, 0, v38, s1
.LBB154_68:                             ;   in Loop: Header=BB154_34 Depth=1
	s_or_b32 exec_lo, exec_lo, s6
	v_and_b32_e32 v23, 0xffff0000, v23
	v_lshlrev_b32_e32 v5, 16, v5
	s_delay_alu instid0(VALU_DEP_1) | instskip(NEXT) | instid1(VALU_DEP_1)
	v_mul_f32_e32 v5, v23, v5
	v_and_b32_e32 v31, 0x7f800000, v5
	s_delay_alu instid0(VALU_DEP_1) | instskip(NEXT) | instid1(VALU_DEP_1)
	v_cmp_ne_u32_e64 s1, 0x7f800000, v31
                                        ; implicit-def: $vgpr31
	s_and_saveexec_b32 s6, s1
	s_delay_alu instid0(SALU_CYCLE_1)
	s_xor_b32 s1, exec_lo, s6
; %bb.69:                               ;   in Loop: Header=BB154_34 Depth=1
	v_bfe_u32 v31, v5, 16, 1
	s_delay_alu instid0(VALU_DEP_1)
	v_add3_u32 v31, v5, v31, 0x7fff
                                        ; implicit-def: $vgpr5
; %bb.70:                               ;   in Loop: Header=BB154_34 Depth=1
	s_and_not1_saveexec_b32 s6, s1
; %bb.71:                               ;   in Loop: Header=BB154_34 Depth=1
	v_and_b32_e32 v31, 0xffff, v5
	v_or_b32_e32 v33, 0x10000, v5
	s_delay_alu instid0(VALU_DEP_2) | instskip(NEXT) | instid1(VALU_DEP_1)
	v_cmp_eq_u32_e64 s1, 0, v31
	v_cndmask_b32_e64 v31, v33, v5, s1
; %bb.72:                               ;   in Loop: Header=BB154_34 Depth=1
	s_or_b32 exec_lo, exec_lo, s6
	v_and_b32_e32 v24, 0xffff0000, v24
	v_lshlrev_b32_e32 v5, 16, v32
	s_delay_alu instid0(VALU_DEP_1) | instskip(NEXT) | instid1(VALU_DEP_1)
	v_mul_f32_e32 v5, v24, v5
	v_and_b32_e32 v32, 0x7f800000, v5
	s_delay_alu instid0(VALU_DEP_1) | instskip(NEXT) | instid1(VALU_DEP_1)
	v_cmp_ne_u32_e64 s1, 0x7f800000, v32
                                        ; implicit-def: $vgpr32
	s_and_saveexec_b32 s6, s1
	s_delay_alu instid0(SALU_CYCLE_1)
	s_xor_b32 s1, exec_lo, s6
; %bb.73:                               ;   in Loop: Header=BB154_34 Depth=1
	v_bfe_u32 v32, v5, 16, 1
	s_delay_alu instid0(VALU_DEP_1)
	v_add3_u32 v32, v5, v32, 0x7fff
                                        ; implicit-def: $vgpr5
; %bb.74:                               ;   in Loop: Header=BB154_34 Depth=1
	s_and_not1_saveexec_b32 s6, s1
; %bb.75:                               ;   in Loop: Header=BB154_34 Depth=1
	v_and_b32_e32 v32, 0xffff, v5
	v_or_b32_e32 v33, 0x10000, v5
	s_delay_alu instid0(VALU_DEP_2) | instskip(NEXT) | instid1(VALU_DEP_1)
	v_cmp_eq_u32_e64 s1, 0, v32
	v_cndmask_b32_e64 v32, v33, v5, s1
; %bb.76:                               ;   in Loop: Header=BB154_34 Depth=1
	s_or_b32 exec_lo, exec_lo, s6
	v_and_b32_e32 v25, 0xffff0000, v25
	v_lshlrev_b32_e32 v5, 16, v6
                                        ; implicit-def: $vgpr33
	s_delay_alu instid0(VALU_DEP_1) | instskip(NEXT) | instid1(VALU_DEP_1)
	v_mul_f32_e32 v5, v25, v5
	v_and_b32_e32 v6, 0x7f800000, v5
	s_delay_alu instid0(VALU_DEP_1) | instskip(NEXT) | instid1(VALU_DEP_1)
	v_cmp_ne_u32_e64 s1, 0x7f800000, v6
	s_and_saveexec_b32 s6, s1
	s_delay_alu instid0(SALU_CYCLE_1)
	s_xor_b32 s1, exec_lo, s6
; %bb.77:                               ;   in Loop: Header=BB154_34 Depth=1
	v_bfe_u32 v6, v5, 16, 1
	s_delay_alu instid0(VALU_DEP_1)
	v_add3_u32 v33, v5, v6, 0x7fff
                                        ; implicit-def: $vgpr5
; %bb.78:                               ;   in Loop: Header=BB154_34 Depth=1
	s_and_not1_saveexec_b32 s6, s1
; %bb.79:                               ;   in Loop: Header=BB154_34 Depth=1
	v_and_b32_e32 v6, 0xffff, v5
	v_or_b32_e32 v33, 0x10000, v5
	s_delay_alu instid0(VALU_DEP_2) | instskip(NEXT) | instid1(VALU_DEP_1)
	v_cmp_eq_u32_e64 s1, 0, v6
	v_cndmask_b32_e64 v33, v33, v5, s1
; %bb.80:                               ;   in Loop: Header=BB154_34 Depth=1
	s_or_b32 exec_lo, exec_lo, s6
	v_and_b32_e32 v26, 0xffff0000, v26
	v_lshlrev_b32_e32 v5, 16, v34
                                        ; implicit-def: $vgpr34
	s_delay_alu instid0(VALU_DEP_1) | instskip(NEXT) | instid1(VALU_DEP_1)
	v_mul_f32_e32 v5, v26, v5
	v_and_b32_e32 v6, 0x7f800000, v5
	s_delay_alu instid0(VALU_DEP_1) | instskip(NEXT) | instid1(VALU_DEP_1)
	v_cmp_ne_u32_e64 s1, 0x7f800000, v6
	s_and_saveexec_b32 s6, s1
	s_delay_alu instid0(SALU_CYCLE_1)
	s_xor_b32 s1, exec_lo, s6
; %bb.81:                               ;   in Loop: Header=BB154_34 Depth=1
	v_bfe_u32 v6, v5, 16, 1
	s_delay_alu instid0(VALU_DEP_1)
	v_add3_u32 v34, v5, v6, 0x7fff
                                        ; implicit-def: $vgpr5
; %bb.82:                               ;   in Loop: Header=BB154_34 Depth=1
	s_and_not1_saveexec_b32 s6, s1
; %bb.83:                               ;   in Loop: Header=BB154_34 Depth=1
	v_and_b32_e32 v6, 0xffff, v5
	v_or_b32_e32 v34, 0x10000, v5
	s_delay_alu instid0(VALU_DEP_2) | instskip(NEXT) | instid1(VALU_DEP_1)
	v_cmp_eq_u32_e64 s1, 0, v6
	v_cndmask_b32_e64 v34, v34, v5, s1
; %bb.84:                               ;   in Loop: Header=BB154_34 Depth=1
	s_or_b32 exec_lo, exec_lo, s6
	v_and_b32_e32 v27, 0xffff0000, v27
	v_lshlrev_b32_e32 v5, 16, v7
                                        ; implicit-def: $vgpr35
	s_delay_alu instid0(VALU_DEP_1) | instskip(NEXT) | instid1(VALU_DEP_1)
	v_mul_f32_e32 v5, v27, v5
	v_and_b32_e32 v6, 0x7f800000, v5
	s_delay_alu instid0(VALU_DEP_1) | instskip(NEXT) | instid1(VALU_DEP_1)
	v_cmp_ne_u32_e64 s1, 0x7f800000, v6
	s_and_saveexec_b32 s6, s1
	s_delay_alu instid0(SALU_CYCLE_1)
	s_xor_b32 s1, exec_lo, s6
; %bb.85:                               ;   in Loop: Header=BB154_34 Depth=1
	v_bfe_u32 v6, v5, 16, 1
	s_delay_alu instid0(VALU_DEP_1)
	v_add3_u32 v35, v5, v6, 0x7fff
                                        ; implicit-def: $vgpr5
; %bb.86:                               ;   in Loop: Header=BB154_34 Depth=1
	s_and_not1_saveexec_b32 s6, s1
; %bb.87:                               ;   in Loop: Header=BB154_34 Depth=1
	v_and_b32_e32 v6, 0xffff, v5
	v_or_b32_e32 v7, 0x10000, v5
	s_delay_alu instid0(VALU_DEP_2) | instskip(NEXT) | instid1(VALU_DEP_1)
	v_cmp_eq_u32_e64 s1, 0, v6
	v_cndmask_b32_e64 v35, v7, v5, s1
; %bb.88:                               ;   in Loop: Header=BB154_34 Depth=1
	s_or_b32 exec_lo, exec_lo, s6
	v_and_b32_e32 v28, 0xffff0000, v28
	v_lshlrev_b32_e32 v5, 16, v36
                                        ; implicit-def: $vgpr36
	s_delay_alu instid0(VALU_DEP_1) | instskip(NEXT) | instid1(VALU_DEP_1)
	v_mul_f32_e32 v5, v28, v5
	v_and_b32_e32 v6, 0x7f800000, v5
	s_delay_alu instid0(VALU_DEP_1) | instskip(NEXT) | instid1(VALU_DEP_1)
	v_cmp_ne_u32_e64 s1, 0x7f800000, v6
	s_and_saveexec_b32 s6, s1
	s_delay_alu instid0(SALU_CYCLE_1)
	s_xor_b32 s1, exec_lo, s6
; %bb.89:                               ;   in Loop: Header=BB154_34 Depth=1
	v_bfe_u32 v6, v5, 16, 1
	s_delay_alu instid0(VALU_DEP_1)
	v_add3_u32 v36, v5, v6, 0x7fff
                                        ; implicit-def: $vgpr5
; %bb.90:                               ;   in Loop: Header=BB154_34 Depth=1
	s_and_not1_saveexec_b32 s6, s1
; %bb.91:                               ;   in Loop: Header=BB154_34 Depth=1
	v_and_b32_e32 v6, 0xffff, v5
	v_or_b32_e32 v7, 0x10000, v5
	s_delay_alu instid0(VALU_DEP_2) | instskip(NEXT) | instid1(VALU_DEP_1)
	v_cmp_eq_u32_e64 s1, 0, v6
	v_cndmask_b32_e64 v36, v7, v5, s1
; %bb.92:                               ;   in Loop: Header=BB154_34 Depth=1
	s_or_b32 exec_lo, exec_lo, s6
	v_and_b32_e32 v29, 0xffff0000, v29
	v_lshlrev_b32_e32 v5, 16, v8
                                        ; implicit-def: $vgpr37
	s_delay_alu instid0(VALU_DEP_1) | instskip(NEXT) | instid1(VALU_DEP_1)
	v_mul_f32_e32 v5, v29, v5
	v_and_b32_e32 v6, 0x7f800000, v5
	s_delay_alu instid0(VALU_DEP_1) | instskip(NEXT) | instid1(VALU_DEP_1)
	v_cmp_ne_u32_e64 s1, 0x7f800000, v6
	s_and_saveexec_b32 s6, s1
	s_delay_alu instid0(SALU_CYCLE_1)
	s_xor_b32 s1, exec_lo, s6
; %bb.93:                               ;   in Loop: Header=BB154_34 Depth=1
	v_bfe_u32 v6, v5, 16, 1
	s_delay_alu instid0(VALU_DEP_1)
	v_add3_u32 v37, v5, v6, 0x7fff
                                        ; implicit-def: $vgpr5
; %bb.94:                               ;   in Loop: Header=BB154_34 Depth=1
	s_and_not1_saveexec_b32 s6, s1
; %bb.95:                               ;   in Loop: Header=BB154_34 Depth=1
	v_and_b32_e32 v6, 0xffff, v5
	v_or_b32_e32 v7, 0x10000, v5
	s_delay_alu instid0(VALU_DEP_2) | instskip(NEXT) | instid1(VALU_DEP_1)
	v_cmp_eq_u32_e64 s1, 0, v6
	v_cndmask_b32_e64 v37, v7, v5, s1
; %bb.96:                               ;   in Loop: Header=BB154_34 Depth=1
	s_or_b32 exec_lo, exec_lo, s6
	v_and_b32_e32 v30, 0xffff0000, v30
	v_lshlrev_b32_e32 v5, 16, v38
                                        ; implicit-def: $vgpr38
	s_delay_alu instid0(VALU_DEP_1) | instskip(NEXT) | instid1(VALU_DEP_1)
	v_mul_f32_e32 v5, v30, v5
	v_and_b32_e32 v6, 0x7f800000, v5
	s_delay_alu instid0(VALU_DEP_1) | instskip(NEXT) | instid1(VALU_DEP_1)
	v_cmp_ne_u32_e64 s1, 0x7f800000, v6
	s_and_saveexec_b32 s6, s1
	s_delay_alu instid0(SALU_CYCLE_1)
	s_xor_b32 s1, exec_lo, s6
; %bb.97:                               ;   in Loop: Header=BB154_34 Depth=1
	v_bfe_u32 v6, v5, 16, 1
	s_delay_alu instid0(VALU_DEP_1)
	v_add3_u32 v38, v5, v6, 0x7fff
                                        ; implicit-def: $vgpr5
; %bb.98:                               ;   in Loop: Header=BB154_34 Depth=1
	s_and_not1_saveexec_b32 s6, s1
; %bb.99:                               ;   in Loop: Header=BB154_34 Depth=1
	v_and_b32_e32 v6, 0xffff, v5
	v_or_b32_e32 v7, 0x10000, v5
	s_delay_alu instid0(VALU_DEP_2) | instskip(NEXT) | instid1(VALU_DEP_1)
	v_cmp_eq_u32_e64 s1, 0, v6
	v_cndmask_b32_e64 v38, v7, v5, s1
; %bb.100:                              ;   in Loop: Header=BB154_34 Depth=1
	s_or_b32 exec_lo, exec_lo, s6
	global_load_b128 v[5:8], v[9:10], off offset:512
	s_waitcnt vmcnt(0)
	v_lshrrev_b32_e32 v40, 16, v5
	v_lshrrev_b32_e32 v42, 16, v6
	;; [unrolled: 1-line block ×4, first 2 shown]
	s_and_saveexec_b32 s6, s0
	s_cbranch_execz .LBB154_102
; %bb.101:                              ;   in Loop: Header=BB154_34 Depth=1
	v_add_nc_u32_e32 v39, -6, v18
	v_cmp_gt_i32_e64 s1, s33, v11
	v_add_nc_u32_e32 v41, -5, v18
	v_add_nc_u32_e32 v43, -2, v18
	s_delay_alu instid0(VALU_DEP_3) | instskip(SKIP_2) | instid1(VALU_DEP_2)
	v_cndmask_b32_e64 v5, 0, v5, s1
	v_cmp_gt_i32_e64 s1, s33, v39
	v_add_nc_u32_e32 v39, -4, v18
	v_cndmask_b32_e64 v40, 0, v40, s1
	v_cmp_gt_i32_e64 s1, s33, v41
	v_add_nc_u32_e32 v41, -3, v18
	s_delay_alu instid0(VALU_DEP_2) | instskip(SKIP_2) | instid1(VALU_DEP_2)
	v_cndmask_b32_e64 v6, 0, v6, s1
	v_cmp_gt_i32_e64 s1, s33, v39
	v_add_nc_u32_e32 v39, -1, v18
	v_cndmask_b32_e64 v42, 0, v42, s1
	v_cmp_gt_i32_e64 s1, s33, v41
	s_delay_alu instid0(VALU_DEP_1) | instskip(SKIP_1) | instid1(VALU_DEP_1)
	v_cndmask_b32_e64 v7, 0, v7, s1
	v_cmp_gt_i32_e64 s1, s33, v43
	v_cndmask_b32_e64 v44, 0, v44, s1
	v_cmp_gt_i32_e64 s1, s33, v39
	s_delay_alu instid0(VALU_DEP_1) | instskip(SKIP_1) | instid1(VALU_DEP_1)
	v_cndmask_b32_e64 v8, 0, v8, s1
	v_cmp_gt_i32_e64 s1, s33, v18
	v_cndmask_b32_e64 v46, 0, v46, s1
.LBB154_102:                            ;   in Loop: Header=BB154_34 Depth=1
	s_or_b32 exec_lo, exec_lo, s6
	v_lshlrev_b32_e32 v5, 16, v5
	s_delay_alu instid0(VALU_DEP_1) | instskip(NEXT) | instid1(VALU_DEP_1)
	v_mul_f32_e32 v5, v23, v5
	v_and_b32_e32 v39, 0x7f800000, v5
	s_delay_alu instid0(VALU_DEP_1) | instskip(NEXT) | instid1(VALU_DEP_1)
	v_cmp_ne_u32_e64 s1, 0x7f800000, v39
                                        ; implicit-def: $vgpr39
	s_and_saveexec_b32 s6, s1
	s_delay_alu instid0(SALU_CYCLE_1)
	s_xor_b32 s1, exec_lo, s6
; %bb.103:                              ;   in Loop: Header=BB154_34 Depth=1
	v_bfe_u32 v39, v5, 16, 1
	s_delay_alu instid0(VALU_DEP_1)
	v_add3_u32 v39, v5, v39, 0x7fff
                                        ; implicit-def: $vgpr5
; %bb.104:                              ;   in Loop: Header=BB154_34 Depth=1
	s_and_not1_saveexec_b32 s6, s1
; %bb.105:                              ;   in Loop: Header=BB154_34 Depth=1
	v_and_b32_e32 v39, 0xffff, v5
	v_or_b32_e32 v41, 0x10000, v5
	s_delay_alu instid0(VALU_DEP_2) | instskip(NEXT) | instid1(VALU_DEP_1)
	v_cmp_eq_u32_e64 s1, 0, v39
	v_cndmask_b32_e64 v39, v41, v5, s1
; %bb.106:                              ;   in Loop: Header=BB154_34 Depth=1
	s_or_b32 exec_lo, exec_lo, s6
	v_lshlrev_b32_e32 v5, 16, v40
	s_delay_alu instid0(VALU_DEP_1) | instskip(NEXT) | instid1(VALU_DEP_1)
	v_mul_f32_e32 v5, v24, v5
	v_and_b32_e32 v40, 0x7f800000, v5
	s_delay_alu instid0(VALU_DEP_1) | instskip(NEXT) | instid1(VALU_DEP_1)
	v_cmp_ne_u32_e64 s1, 0x7f800000, v40
                                        ; implicit-def: $vgpr40
	s_and_saveexec_b32 s6, s1
	s_delay_alu instid0(SALU_CYCLE_1)
	s_xor_b32 s1, exec_lo, s6
; %bb.107:                              ;   in Loop: Header=BB154_34 Depth=1
	v_bfe_u32 v40, v5, 16, 1
	s_delay_alu instid0(VALU_DEP_1)
	v_add3_u32 v40, v5, v40, 0x7fff
                                        ; implicit-def: $vgpr5
; %bb.108:                              ;   in Loop: Header=BB154_34 Depth=1
	s_and_not1_saveexec_b32 s6, s1
; %bb.109:                              ;   in Loop: Header=BB154_34 Depth=1
	v_and_b32_e32 v40, 0xffff, v5
	v_or_b32_e32 v41, 0x10000, v5
	s_delay_alu instid0(VALU_DEP_2) | instskip(NEXT) | instid1(VALU_DEP_1)
	v_cmp_eq_u32_e64 s1, 0, v40
	v_cndmask_b32_e64 v40, v41, v5, s1
; %bb.110:                              ;   in Loop: Header=BB154_34 Depth=1
	s_or_b32 exec_lo, exec_lo, s6
	v_lshlrev_b32_e32 v5, 16, v6
                                        ; implicit-def: $vgpr41
	s_delay_alu instid0(VALU_DEP_1) | instskip(NEXT) | instid1(VALU_DEP_1)
	v_mul_f32_e32 v5, v25, v5
	v_and_b32_e32 v6, 0x7f800000, v5
	s_delay_alu instid0(VALU_DEP_1) | instskip(NEXT) | instid1(VALU_DEP_1)
	v_cmp_ne_u32_e64 s1, 0x7f800000, v6
	s_and_saveexec_b32 s6, s1
	s_delay_alu instid0(SALU_CYCLE_1)
	s_xor_b32 s1, exec_lo, s6
; %bb.111:                              ;   in Loop: Header=BB154_34 Depth=1
	v_bfe_u32 v6, v5, 16, 1
	s_delay_alu instid0(VALU_DEP_1)
	v_add3_u32 v41, v5, v6, 0x7fff
                                        ; implicit-def: $vgpr5
; %bb.112:                              ;   in Loop: Header=BB154_34 Depth=1
	s_and_not1_saveexec_b32 s6, s1
; %bb.113:                              ;   in Loop: Header=BB154_34 Depth=1
	v_and_b32_e32 v6, 0xffff, v5
	v_or_b32_e32 v41, 0x10000, v5
	s_delay_alu instid0(VALU_DEP_2) | instskip(NEXT) | instid1(VALU_DEP_1)
	v_cmp_eq_u32_e64 s1, 0, v6
	v_cndmask_b32_e64 v41, v41, v5, s1
; %bb.114:                              ;   in Loop: Header=BB154_34 Depth=1
	s_or_b32 exec_lo, exec_lo, s6
	v_lshlrev_b32_e32 v5, 16, v42
                                        ; implicit-def: $vgpr42
	s_delay_alu instid0(VALU_DEP_1) | instskip(NEXT) | instid1(VALU_DEP_1)
	v_mul_f32_e32 v5, v26, v5
	v_and_b32_e32 v6, 0x7f800000, v5
	s_delay_alu instid0(VALU_DEP_1) | instskip(NEXT) | instid1(VALU_DEP_1)
	v_cmp_ne_u32_e64 s1, 0x7f800000, v6
	s_and_saveexec_b32 s6, s1
	s_delay_alu instid0(SALU_CYCLE_1)
	s_xor_b32 s1, exec_lo, s6
; %bb.115:                              ;   in Loop: Header=BB154_34 Depth=1
	v_bfe_u32 v6, v5, 16, 1
	s_delay_alu instid0(VALU_DEP_1)
	v_add3_u32 v42, v5, v6, 0x7fff
                                        ; implicit-def: $vgpr5
; %bb.116:                              ;   in Loop: Header=BB154_34 Depth=1
	s_and_not1_saveexec_b32 s6, s1
; %bb.117:                              ;   in Loop: Header=BB154_34 Depth=1
	v_and_b32_e32 v6, 0xffff, v5
	v_or_b32_e32 v42, 0x10000, v5
	s_delay_alu instid0(VALU_DEP_2) | instskip(NEXT) | instid1(VALU_DEP_1)
	v_cmp_eq_u32_e64 s1, 0, v6
	v_cndmask_b32_e64 v42, v42, v5, s1
; %bb.118:                              ;   in Loop: Header=BB154_34 Depth=1
	s_or_b32 exec_lo, exec_lo, s6
	v_lshlrev_b32_e32 v5, 16, v7
                                        ; implicit-def: $vgpr43
	s_delay_alu instid0(VALU_DEP_1) | instskip(NEXT) | instid1(VALU_DEP_1)
	v_mul_f32_e32 v5, v27, v5
	v_and_b32_e32 v6, 0x7f800000, v5
	s_delay_alu instid0(VALU_DEP_1) | instskip(NEXT) | instid1(VALU_DEP_1)
	v_cmp_ne_u32_e64 s1, 0x7f800000, v6
	s_and_saveexec_b32 s6, s1
	s_delay_alu instid0(SALU_CYCLE_1)
	s_xor_b32 s1, exec_lo, s6
; %bb.119:                              ;   in Loop: Header=BB154_34 Depth=1
	v_bfe_u32 v6, v5, 16, 1
	s_delay_alu instid0(VALU_DEP_1)
	v_add3_u32 v43, v5, v6, 0x7fff
                                        ; implicit-def: $vgpr5
; %bb.120:                              ;   in Loop: Header=BB154_34 Depth=1
	s_and_not1_saveexec_b32 s6, s1
; %bb.121:                              ;   in Loop: Header=BB154_34 Depth=1
	v_and_b32_e32 v6, 0xffff, v5
	v_or_b32_e32 v7, 0x10000, v5
	s_delay_alu instid0(VALU_DEP_2) | instskip(NEXT) | instid1(VALU_DEP_1)
	v_cmp_eq_u32_e64 s1, 0, v6
	v_cndmask_b32_e64 v43, v7, v5, s1
; %bb.122:                              ;   in Loop: Header=BB154_34 Depth=1
	s_or_b32 exec_lo, exec_lo, s6
	v_lshlrev_b32_e32 v5, 16, v44
                                        ; implicit-def: $vgpr44
	s_delay_alu instid0(VALU_DEP_1) | instskip(NEXT) | instid1(VALU_DEP_1)
	v_mul_f32_e32 v5, v28, v5
	v_and_b32_e32 v6, 0x7f800000, v5
	s_delay_alu instid0(VALU_DEP_1) | instskip(NEXT) | instid1(VALU_DEP_1)
	v_cmp_ne_u32_e64 s1, 0x7f800000, v6
	s_and_saveexec_b32 s6, s1
	s_delay_alu instid0(SALU_CYCLE_1)
	s_xor_b32 s1, exec_lo, s6
; %bb.123:                              ;   in Loop: Header=BB154_34 Depth=1
	v_bfe_u32 v6, v5, 16, 1
	s_delay_alu instid0(VALU_DEP_1)
	v_add3_u32 v44, v5, v6, 0x7fff
                                        ; implicit-def: $vgpr5
; %bb.124:                              ;   in Loop: Header=BB154_34 Depth=1
	s_and_not1_saveexec_b32 s6, s1
; %bb.125:                              ;   in Loop: Header=BB154_34 Depth=1
	v_and_b32_e32 v6, 0xffff, v5
	v_or_b32_e32 v7, 0x10000, v5
	s_delay_alu instid0(VALU_DEP_2) | instskip(NEXT) | instid1(VALU_DEP_1)
	v_cmp_eq_u32_e64 s1, 0, v6
	v_cndmask_b32_e64 v44, v7, v5, s1
; %bb.126:                              ;   in Loop: Header=BB154_34 Depth=1
	s_or_b32 exec_lo, exec_lo, s6
	v_lshlrev_b32_e32 v5, 16, v8
                                        ; implicit-def: $vgpr45
	s_delay_alu instid0(VALU_DEP_1) | instskip(NEXT) | instid1(VALU_DEP_1)
	v_mul_f32_e32 v5, v29, v5
	v_and_b32_e32 v6, 0x7f800000, v5
	s_delay_alu instid0(VALU_DEP_1) | instskip(NEXT) | instid1(VALU_DEP_1)
	v_cmp_ne_u32_e64 s1, 0x7f800000, v6
	s_and_saveexec_b32 s6, s1
	s_delay_alu instid0(SALU_CYCLE_1)
	s_xor_b32 s1, exec_lo, s6
; %bb.127:                              ;   in Loop: Header=BB154_34 Depth=1
	v_bfe_u32 v6, v5, 16, 1
	s_delay_alu instid0(VALU_DEP_1)
	v_add3_u32 v45, v5, v6, 0x7fff
                                        ; implicit-def: $vgpr5
; %bb.128:                              ;   in Loop: Header=BB154_34 Depth=1
	s_and_not1_saveexec_b32 s6, s1
; %bb.129:                              ;   in Loop: Header=BB154_34 Depth=1
	v_and_b32_e32 v6, 0xffff, v5
	v_or_b32_e32 v7, 0x10000, v5
	s_delay_alu instid0(VALU_DEP_2) | instskip(NEXT) | instid1(VALU_DEP_1)
	v_cmp_eq_u32_e64 s1, 0, v6
	v_cndmask_b32_e64 v45, v7, v5, s1
; %bb.130:                              ;   in Loop: Header=BB154_34 Depth=1
	s_or_b32 exec_lo, exec_lo, s6
	v_lshlrev_b32_e32 v5, 16, v46
                                        ; implicit-def: $vgpr46
	s_delay_alu instid0(VALU_DEP_1) | instskip(NEXT) | instid1(VALU_DEP_1)
	v_mul_f32_e32 v5, v30, v5
	v_and_b32_e32 v6, 0x7f800000, v5
	s_delay_alu instid0(VALU_DEP_1) | instskip(NEXT) | instid1(VALU_DEP_1)
	v_cmp_ne_u32_e64 s1, 0x7f800000, v6
	s_and_saveexec_b32 s6, s1
	s_delay_alu instid0(SALU_CYCLE_1)
	s_xor_b32 s1, exec_lo, s6
; %bb.131:                              ;   in Loop: Header=BB154_34 Depth=1
	v_bfe_u32 v6, v5, 16, 1
	s_delay_alu instid0(VALU_DEP_1)
	v_add3_u32 v46, v5, v6, 0x7fff
                                        ; implicit-def: $vgpr5
; %bb.132:                              ;   in Loop: Header=BB154_34 Depth=1
	s_and_not1_saveexec_b32 s6, s1
; %bb.133:                              ;   in Loop: Header=BB154_34 Depth=1
	v_and_b32_e32 v6, 0xffff, v5
	v_or_b32_e32 v7, 0x10000, v5
	s_delay_alu instid0(VALU_DEP_2) | instskip(NEXT) | instid1(VALU_DEP_1)
	v_cmp_eq_u32_e64 s1, 0, v6
	v_cndmask_b32_e64 v46, v7, v5, s1
; %bb.134:                              ;   in Loop: Header=BB154_34 Depth=1
	s_or_b32 exec_lo, exec_lo, s6
	global_load_b128 v[5:8], v[9:10], off offset:1024
	s_waitcnt vmcnt(0)
	v_lshrrev_b32_e32 v10, 16, v5
	v_lshrrev_b32_e32 v48, 16, v6
	;; [unrolled: 1-line block ×4, first 2 shown]
	s_and_saveexec_b32 s6, s0
	s_cbranch_execz .LBB154_136
; %bb.135:                              ;   in Loop: Header=BB154_34 Depth=1
	v_add_nc_u32_e32 v49, -6, v18
	v_cmp_gt_i32_e64 s1, s33, v11
	v_add_nc_u32_e32 v50, -5, v18
	v_add_nc_u32_e32 v51, -2, v18
	s_delay_alu instid0(VALU_DEP_3) | instskip(SKIP_2) | instid1(VALU_DEP_2)
	v_cndmask_b32_e64 v5, 0, v5, s1
	v_cmp_gt_i32_e64 s1, s33, v49
	v_add_nc_u32_e32 v49, -4, v18
	v_cndmask_b32_e64 v10, 0, v10, s1
	v_cmp_gt_i32_e64 s1, s33, v50
	v_add_nc_u32_e32 v50, -3, v18
	s_delay_alu instid0(VALU_DEP_2) | instskip(SKIP_2) | instid1(VALU_DEP_2)
	v_cndmask_b32_e64 v6, 0, v6, s1
	v_cmp_gt_i32_e64 s1, s33, v49
	v_add_nc_u32_e32 v49, -1, v18
	v_cndmask_b32_e64 v48, 0, v48, s1
	v_cmp_gt_i32_e64 s1, s33, v50
	s_delay_alu instid0(VALU_DEP_1) | instskip(SKIP_1) | instid1(VALU_DEP_1)
	v_cndmask_b32_e64 v7, 0, v7, s1
	v_cmp_gt_i32_e64 s1, s33, v51
	v_cndmask_b32_e64 v47, 0, v47, s1
	v_cmp_gt_i32_e64 s1, s33, v49
	s_delay_alu instid0(VALU_DEP_1) | instskip(SKIP_1) | instid1(VALU_DEP_1)
	v_cndmask_b32_e64 v8, 0, v8, s1
	v_cmp_gt_i32_e64 s1, s33, v18
	v_cndmask_b32_e64 v9, 0, v9, s1
.LBB154_136:                            ;   in Loop: Header=BB154_34 Depth=1
	s_or_b32 exec_lo, exec_lo, s6
	v_lshlrev_b32_e32 v5, 16, v5
	s_delay_alu instid0(VALU_DEP_1) | instskip(NEXT) | instid1(VALU_DEP_1)
	v_mul_f32_e32 v49, v23, v5
	v_and_b32_e32 v5, 0x7f800000, v49
	s_delay_alu instid0(VALU_DEP_1) | instskip(NEXT) | instid1(VALU_DEP_1)
	v_cmp_ne_u32_e64 s1, 0x7f800000, v5
                                        ; implicit-def: $vgpr5
	s_and_saveexec_b32 s6, s1
	s_delay_alu instid0(SALU_CYCLE_1)
	s_xor_b32 s1, exec_lo, s6
; %bb.137:                              ;   in Loop: Header=BB154_34 Depth=1
	v_bfe_u32 v5, v49, 16, 1
	s_delay_alu instid0(VALU_DEP_1)
	v_add3_u32 v5, v49, v5, 0x7fff
                                        ; implicit-def: $vgpr49
; %bb.138:                              ;   in Loop: Header=BB154_34 Depth=1
	s_and_not1_saveexec_b32 s6, s1
; %bb.139:                              ;   in Loop: Header=BB154_34 Depth=1
	v_and_b32_e32 v5, 0xffff, v49
	v_or_b32_e32 v50, 0x10000, v49
	s_delay_alu instid0(VALU_DEP_2) | instskip(NEXT) | instid1(VALU_DEP_1)
	v_cmp_eq_u32_e64 s1, 0, v5
	v_cndmask_b32_e64 v5, v50, v49, s1
; %bb.140:                              ;   in Loop: Header=BB154_34 Depth=1
	s_or_b32 exec_lo, exec_lo, s6
	v_lshlrev_b32_e32 v10, 16, v10
	s_delay_alu instid0(VALU_DEP_1) | instskip(NEXT) | instid1(VALU_DEP_1)
	v_mul_f32_e32 v49, v24, v10
	v_and_b32_e32 v10, 0x7f800000, v49
	s_delay_alu instid0(VALU_DEP_1) | instskip(NEXT) | instid1(VALU_DEP_1)
	v_cmp_ne_u32_e64 s1, 0x7f800000, v10
                                        ; implicit-def: $vgpr10
	s_and_saveexec_b32 s6, s1
	s_delay_alu instid0(SALU_CYCLE_1)
	s_xor_b32 s1, exec_lo, s6
; %bb.141:                              ;   in Loop: Header=BB154_34 Depth=1
	v_bfe_u32 v10, v49, 16, 1
	s_delay_alu instid0(VALU_DEP_1)
	v_add3_u32 v10, v49, v10, 0x7fff
                                        ; implicit-def: $vgpr49
; %bb.142:                              ;   in Loop: Header=BB154_34 Depth=1
	s_and_not1_saveexec_b32 s6, s1
; %bb.143:                              ;   in Loop: Header=BB154_34 Depth=1
	v_and_b32_e32 v10, 0xffff, v49
	v_or_b32_e32 v50, 0x10000, v49
	s_delay_alu instid0(VALU_DEP_2) | instskip(NEXT) | instid1(VALU_DEP_1)
	v_cmp_eq_u32_e64 s1, 0, v10
	v_cndmask_b32_e64 v10, v50, v49, s1
; %bb.144:                              ;   in Loop: Header=BB154_34 Depth=1
	s_or_b32 exec_lo, exec_lo, s6
	v_lshlrev_b32_e32 v6, 16, v6
	s_delay_alu instid0(VALU_DEP_1) | instskip(NEXT) | instid1(VALU_DEP_1)
	v_mul_f32_e32 v49, v25, v6
	v_and_b32_e32 v6, 0x7f800000, v49
	s_delay_alu instid0(VALU_DEP_1) | instskip(NEXT) | instid1(VALU_DEP_1)
	v_cmp_ne_u32_e64 s1, 0x7f800000, v6
                                        ; implicit-def: $vgpr6
	s_and_saveexec_b32 s6, s1
	s_delay_alu instid0(SALU_CYCLE_1)
	s_xor_b32 s1, exec_lo, s6
; %bb.145:                              ;   in Loop: Header=BB154_34 Depth=1
	v_bfe_u32 v6, v49, 16, 1
	s_delay_alu instid0(VALU_DEP_1)
	v_add3_u32 v6, v49, v6, 0x7fff
                                        ; implicit-def: $vgpr49
; %bb.146:                              ;   in Loop: Header=BB154_34 Depth=1
	s_and_not1_saveexec_b32 s6, s1
; %bb.147:                              ;   in Loop: Header=BB154_34 Depth=1
	v_and_b32_e32 v6, 0xffff, v49
	v_or_b32_e32 v50, 0x10000, v49
	s_delay_alu instid0(VALU_DEP_2) | instskip(NEXT) | instid1(VALU_DEP_1)
	v_cmp_eq_u32_e64 s1, 0, v6
	v_cndmask_b32_e64 v6, v50, v49, s1
; %bb.148:                              ;   in Loop: Header=BB154_34 Depth=1
	s_or_b32 exec_lo, exec_lo, s6
	v_lshlrev_b32_e32 v48, 16, v48
	s_delay_alu instid0(VALU_DEP_1) | instskip(NEXT) | instid1(VALU_DEP_1)
	v_mul_f32_e32 v49, v26, v48
	v_and_b32_e32 v48, 0x7f800000, v49
	s_delay_alu instid0(VALU_DEP_1) | instskip(NEXT) | instid1(VALU_DEP_1)
	v_cmp_ne_u32_e64 s1, 0x7f800000, v48
                                        ; implicit-def: $vgpr48
	s_and_saveexec_b32 s6, s1
	s_delay_alu instid0(SALU_CYCLE_1)
	s_xor_b32 s1, exec_lo, s6
; %bb.149:                              ;   in Loop: Header=BB154_34 Depth=1
	v_bfe_u32 v48, v49, 16, 1
	s_delay_alu instid0(VALU_DEP_1)
	v_add3_u32 v48, v49, v48, 0x7fff
                                        ; implicit-def: $vgpr49
; %bb.150:                              ;   in Loop: Header=BB154_34 Depth=1
	s_and_not1_saveexec_b32 s6, s1
; %bb.151:                              ;   in Loop: Header=BB154_34 Depth=1
	v_and_b32_e32 v48, 0xffff, v49
	v_or_b32_e32 v50, 0x10000, v49
	s_delay_alu instid0(VALU_DEP_2) | instskip(NEXT) | instid1(VALU_DEP_1)
	v_cmp_eq_u32_e64 s1, 0, v48
	v_cndmask_b32_e64 v48, v50, v49, s1
; %bb.152:                              ;   in Loop: Header=BB154_34 Depth=1
	s_or_b32 exec_lo, exec_lo, s6
	v_lshlrev_b32_e32 v7, 16, v7
	s_delay_alu instid0(VALU_DEP_1) | instskip(NEXT) | instid1(VALU_DEP_1)
	v_mul_f32_e32 v49, v27, v7
	v_and_b32_e32 v7, 0x7f800000, v49
	s_delay_alu instid0(VALU_DEP_1) | instskip(NEXT) | instid1(VALU_DEP_1)
	v_cmp_ne_u32_e64 s1, 0x7f800000, v7
                                        ; implicit-def: $vgpr7
	s_and_saveexec_b32 s6, s1
	s_delay_alu instid0(SALU_CYCLE_1)
	s_xor_b32 s1, exec_lo, s6
; %bb.153:                              ;   in Loop: Header=BB154_34 Depth=1
	v_bfe_u32 v7, v49, 16, 1
	s_delay_alu instid0(VALU_DEP_1)
	v_add3_u32 v7, v49, v7, 0x7fff
                                        ; implicit-def: $vgpr49
; %bb.154:                              ;   in Loop: Header=BB154_34 Depth=1
	s_and_not1_saveexec_b32 s6, s1
; %bb.155:                              ;   in Loop: Header=BB154_34 Depth=1
	v_and_b32_e32 v7, 0xffff, v49
	v_or_b32_e32 v50, 0x10000, v49
	s_delay_alu instid0(VALU_DEP_2) | instskip(NEXT) | instid1(VALU_DEP_1)
	v_cmp_eq_u32_e64 s1, 0, v7
	v_cndmask_b32_e64 v7, v50, v49, s1
; %bb.156:                              ;   in Loop: Header=BB154_34 Depth=1
	s_or_b32 exec_lo, exec_lo, s6
	v_lshlrev_b32_e32 v47, 16, v47
	s_delay_alu instid0(VALU_DEP_1) | instskip(NEXT) | instid1(VALU_DEP_1)
	v_mul_f32_e32 v49, v28, v47
	v_and_b32_e32 v47, 0x7f800000, v49
	s_delay_alu instid0(VALU_DEP_1) | instskip(NEXT) | instid1(VALU_DEP_1)
	v_cmp_ne_u32_e64 s1, 0x7f800000, v47
                                        ; implicit-def: $vgpr47
	s_and_saveexec_b32 s6, s1
	s_delay_alu instid0(SALU_CYCLE_1)
	s_xor_b32 s1, exec_lo, s6
; %bb.157:                              ;   in Loop: Header=BB154_34 Depth=1
	v_bfe_u32 v47, v49, 16, 1
	s_delay_alu instid0(VALU_DEP_1)
	v_add3_u32 v47, v49, v47, 0x7fff
                                        ; implicit-def: $vgpr49
; %bb.158:                              ;   in Loop: Header=BB154_34 Depth=1
	s_and_not1_saveexec_b32 s6, s1
; %bb.159:                              ;   in Loop: Header=BB154_34 Depth=1
	v_and_b32_e32 v47, 0xffff, v49
	v_or_b32_e32 v50, 0x10000, v49
	s_delay_alu instid0(VALU_DEP_2) | instskip(NEXT) | instid1(VALU_DEP_1)
	v_cmp_eq_u32_e64 s1, 0, v47
	v_cndmask_b32_e64 v47, v50, v49, s1
; %bb.160:                              ;   in Loop: Header=BB154_34 Depth=1
	s_or_b32 exec_lo, exec_lo, s6
	v_lshlrev_b32_e32 v8, 16, v8
	s_delay_alu instid0(VALU_DEP_1) | instskip(NEXT) | instid1(VALU_DEP_1)
	v_mul_f32_e32 v49, v29, v8
	v_and_b32_e32 v8, 0x7f800000, v49
	s_delay_alu instid0(VALU_DEP_1) | instskip(NEXT) | instid1(VALU_DEP_1)
	v_cmp_ne_u32_e64 s1, 0x7f800000, v8
                                        ; implicit-def: $vgpr8
	s_and_saveexec_b32 s6, s1
	s_delay_alu instid0(SALU_CYCLE_1)
	s_xor_b32 s1, exec_lo, s6
; %bb.161:                              ;   in Loop: Header=BB154_34 Depth=1
	v_bfe_u32 v8, v49, 16, 1
	s_delay_alu instid0(VALU_DEP_1)
	v_add3_u32 v8, v49, v8, 0x7fff
                                        ; implicit-def: $vgpr49
; %bb.162:                              ;   in Loop: Header=BB154_34 Depth=1
	s_and_not1_saveexec_b32 s6, s1
; %bb.163:                              ;   in Loop: Header=BB154_34 Depth=1
	v_and_b32_e32 v8, 0xffff, v49
	v_or_b32_e32 v50, 0x10000, v49
	s_delay_alu instid0(VALU_DEP_2) | instskip(NEXT) | instid1(VALU_DEP_1)
	v_cmp_eq_u32_e64 s1, 0, v8
	v_cndmask_b32_e64 v8, v50, v49, s1
; %bb.164:                              ;   in Loop: Header=BB154_34 Depth=1
	s_or_b32 exec_lo, exec_lo, s6
	v_lshlrev_b32_e32 v9, 16, v9
	s_delay_alu instid0(VALU_DEP_1) | instskip(NEXT) | instid1(VALU_DEP_1)
	v_mul_f32_e32 v49, v30, v9
	v_and_b32_e32 v9, 0x7f800000, v49
	s_delay_alu instid0(VALU_DEP_1) | instskip(NEXT) | instid1(VALU_DEP_1)
	v_cmp_ne_u32_e64 s1, 0x7f800000, v9
                                        ; implicit-def: $vgpr9
	s_and_saveexec_b32 s6, s1
	s_delay_alu instid0(SALU_CYCLE_1)
	s_xor_b32 s1, exec_lo, s6
; %bb.165:                              ;   in Loop: Header=BB154_34 Depth=1
	v_bfe_u32 v9, v49, 16, 1
	s_delay_alu instid0(VALU_DEP_1)
	v_add3_u32 v9, v49, v9, 0x7fff
                                        ; implicit-def: $vgpr49
; %bb.166:                              ;   in Loop: Header=BB154_34 Depth=1
	s_and_not1_saveexec_b32 s6, s1
; %bb.167:                              ;   in Loop: Header=BB154_34 Depth=1
	v_and_b32_e32 v9, 0xffff, v49
	v_or_b32_e32 v50, 0x10000, v49
	s_delay_alu instid0(VALU_DEP_2) | instskip(NEXT) | instid1(VALU_DEP_1)
	v_cmp_eq_u32_e64 s1, 0, v9
	v_cndmask_b32_e64 v9, v50, v49, s1
; %bb.168:                              ;   in Loop: Header=BB154_34 Depth=1
	s_or_b32 exec_lo, exec_lo, s6
	v_and_b32_e32 v10, 0xffff0000, v10
	v_and_b32_e32 v5, 0xffff0000, v5
	;; [unrolled: 1-line block ×6, first 2 shown]
	v_add_f32_e32 v5, v5, v10
	v_and_b32_e32 v33, 0xffff0000, v33
	v_and_b32_e32 v31, 0xffff0000, v31
	;; [unrolled: 1-line block ×5, first 2 shown]
	s_delay_alu instid0(VALU_DEP_3) | instskip(SKIP_2) | instid1(VALU_DEP_3)
	v_dual_add_f32 v31, v31, v32 :: v_dual_add_f32 v32, v33, v34
	v_and_b32_e32 v33, 0xffff0000, v37
	v_and_b32_e32 v37, 0xffff0000, v42
	v_dual_add_f32 v31, v31, v32 :: v_dual_and_b32 v32, 0xffff0000, v38
	v_and_b32_e32 v38, 0xffff0000, v40
	s_delay_alu instid0(VALU_DEP_1) | instskip(SKIP_1) | instid1(VALU_DEP_1)
	v_add_f32_e32 v38, v39, v38
	v_add_f32_e32 v34, v35, v36
	v_dual_add_f32 v31, v31, v34 :: v_dual_and_b32 v42, 0xffff0000, v48
	s_delay_alu instid0(VALU_DEP_1) | instskip(SKIP_2) | instid1(VALU_DEP_3)
	v_add_f32_e32 v6, v6, v42
	v_and_b32_e32 v34, 0xffff0000, v41
	v_and_b32_e32 v35, 0xffff0000, v44
	v_dual_add_f32 v5, v5, v6 :: v_dual_and_b32 v36, 0xffff0000, v43
	s_delay_alu instid0(VALU_DEP_3) | instskip(NEXT) | instid1(VALU_DEP_1)
	v_dual_add_f32 v34, v34, v37 :: v_dual_and_b32 v37, 0xffff0000, v47
	v_add_f32_e32 v10, v38, v34
	s_delay_alu instid0(VALU_DEP_3) | instskip(NEXT) | instid1(VALU_DEP_1)
	v_add_f32_e32 v34, v36, v35
	v_dual_add_f32 v10, v10, v34 :: v_dual_and_b32 v7, 0xffff0000, v7
	s_delay_alu instid0(VALU_DEP_1) | instskip(SKIP_2) | instid1(VALU_DEP_2)
	v_dual_add_f32 v6, v7, v37 :: v_dual_and_b32 v41, 0xffff0000, v46
	v_and_b32_e32 v7, 0xffff0000, v9
	v_add_f32_e32 v9, v33, v32
	v_dual_add_f32 v5, v5, v6 :: v_dual_add_f32 v6, v8, v7
	v_and_b32_e32 v40, 0xffff0000, v45
	s_delay_alu instid0(VALU_DEP_3) | instskip(NEXT) | instid1(VALU_DEP_2)
	v_add_f32_e32 v7, v31, v9
	v_dual_add_f32 v5, v5, v6 :: v_dual_add_f32 v32, v40, v41
	s_delay_alu instid0(VALU_DEP_2) | instskip(NEXT) | instid1(VALU_DEP_2)
	v_add_f32_e32 v1, v1, v7
	v_dual_add_f32 v3, v3, v5 :: v_dual_add_f32 v8, v10, v32
	s_delay_alu instid0(VALU_DEP_1)
	v_add_f32_e32 v2, v2, v8
	s_and_saveexec_b32 s6, vcc_lo
	s_cbranch_execz .LBB154_33
; %bb.169:                              ;   in Loop: Header=BB154_34 Depth=1
	v_add_co_u32 v5, s1, v12, v21
	s_delay_alu instid0(VALU_DEP_1)
	v_add_co_ci_u32_e64 v6, s1, 0, v22, s1
	global_load_b128 v[5:8], v[5:6], off
	s_waitcnt vmcnt(0)
	v_lshrrev_b32_e32 v22, 16, v5
	v_lshrrev_b32_e32 v12, 16, v6
	;; [unrolled: 1-line block ×4, first 2 shown]
	s_and_saveexec_b32 s1, s0
	s_cbranch_execz .LBB154_171
; %bb.170:                              ;   in Loop: Header=BB154_34 Depth=1
	v_add_nc_u32_e32 v31, -6, v18
	v_cmp_gt_i32_e64 s0, s33, v11
	v_add_nc_u32_e32 v32, -5, v18
	v_add_nc_u32_e32 v11, -4, v18
	s_delay_alu instid0(VALU_DEP_3) | instskip(SKIP_2) | instid1(VALU_DEP_2)
	v_cndmask_b32_e64 v5, 0, v5, s0
	v_cmp_gt_i32_e64 s0, s33, v31
	v_add_nc_u32_e32 v31, -3, v18
	v_cndmask_b32_e64 v22, 0, v22, s0
	v_cmp_gt_i32_e64 s0, s33, v32
	v_add_nc_u32_e32 v32, -2, v18
	s_delay_alu instid0(VALU_DEP_2) | instskip(SKIP_2) | instid1(VALU_DEP_2)
	v_cndmask_b32_e64 v6, 0, v6, s0
	v_cmp_gt_i32_e64 s0, s33, v11
	v_add_nc_u32_e32 v11, -1, v18
	v_cndmask_b32_e64 v12, 0, v12, s0
	v_cmp_gt_i32_e64 s0, s33, v31
	s_delay_alu instid0(VALU_DEP_1) | instskip(SKIP_1) | instid1(VALU_DEP_1)
	v_cndmask_b32_e64 v7, 0, v7, s0
	v_cmp_gt_i32_e64 s0, s33, v32
	v_cndmask_b32_e64 v10, 0, v10, s0
	v_cmp_gt_i32_e64 s0, s33, v11
	s_delay_alu instid0(VALU_DEP_1) | instskip(SKIP_1) | instid1(VALU_DEP_1)
	v_cndmask_b32_e64 v8, 0, v8, s0
	v_cmp_gt_i32_e64 s0, s33, v18
	v_cndmask_b32_e64 v9, 0, v9, s0
.LBB154_171:                            ;   in Loop: Header=BB154_34 Depth=1
	s_or_b32 exec_lo, exec_lo, s1
	v_lshlrev_b32_e32 v5, 16, v5
	s_delay_alu instid0(VALU_DEP_1) | instskip(NEXT) | instid1(VALU_DEP_1)
	v_mul_f32_e32 v11, v23, v5
	v_and_b32_e32 v5, 0x7f800000, v11
	s_delay_alu instid0(VALU_DEP_1) | instskip(NEXT) | instid1(VALU_DEP_1)
	v_cmp_ne_u32_e64 s0, 0x7f800000, v5
                                        ; implicit-def: $vgpr5
	s_and_saveexec_b32 s1, s0
	s_delay_alu instid0(SALU_CYCLE_1)
	s_xor_b32 s0, exec_lo, s1
; %bb.172:                              ;   in Loop: Header=BB154_34 Depth=1
	v_bfe_u32 v5, v11, 16, 1
	s_delay_alu instid0(VALU_DEP_1)
	v_add3_u32 v5, v11, v5, 0x7fff
                                        ; implicit-def: $vgpr11
; %bb.173:                              ;   in Loop: Header=BB154_34 Depth=1
	s_and_not1_saveexec_b32 s1, s0
; %bb.174:                              ;   in Loop: Header=BB154_34 Depth=1
	v_and_b32_e32 v5, 0xffff, v11
	v_or_b32_e32 v23, 0x10000, v11
	s_delay_alu instid0(VALU_DEP_2) | instskip(NEXT) | instid1(VALU_DEP_1)
	v_cmp_eq_u32_e64 s0, 0, v5
	v_cndmask_b32_e64 v5, v23, v11, s0
; %bb.175:                              ;   in Loop: Header=BB154_34 Depth=1
	s_or_b32 exec_lo, exec_lo, s1
	v_lshlrev_b32_e32 v11, 16, v22
	s_delay_alu instid0(VALU_DEP_1) | instskip(NEXT) | instid1(VALU_DEP_1)
	v_mul_f32_e32 v22, v24, v11
	v_and_b32_e32 v11, 0x7f800000, v22
	s_delay_alu instid0(VALU_DEP_1) | instskip(NEXT) | instid1(VALU_DEP_1)
	v_cmp_ne_u32_e64 s0, 0x7f800000, v11
                                        ; implicit-def: $vgpr11
	s_and_saveexec_b32 s1, s0
	s_delay_alu instid0(SALU_CYCLE_1)
	s_xor_b32 s0, exec_lo, s1
; %bb.176:                              ;   in Loop: Header=BB154_34 Depth=1
	v_bfe_u32 v11, v22, 16, 1
	s_delay_alu instid0(VALU_DEP_1)
	v_add3_u32 v11, v22, v11, 0x7fff
                                        ; implicit-def: $vgpr22
; %bb.177:                              ;   in Loop: Header=BB154_34 Depth=1
	s_and_not1_saveexec_b32 s1, s0
; %bb.178:                              ;   in Loop: Header=BB154_34 Depth=1
	v_and_b32_e32 v11, 0xffff, v22
	v_or_b32_e32 v23, 0x10000, v22
	s_delay_alu instid0(VALU_DEP_2) | instskip(NEXT) | instid1(VALU_DEP_1)
	v_cmp_eq_u32_e64 s0, 0, v11
	v_cndmask_b32_e64 v11, v23, v22, s0
; %bb.179:                              ;   in Loop: Header=BB154_34 Depth=1
	s_or_b32 exec_lo, exec_lo, s1
	v_lshlrev_b32_e32 v6, 16, v6
	s_delay_alu instid0(VALU_DEP_1) | instskip(NEXT) | instid1(VALU_DEP_1)
	v_mul_f32_e32 v22, v25, v6
	v_and_b32_e32 v6, 0x7f800000, v22
	s_delay_alu instid0(VALU_DEP_1) | instskip(NEXT) | instid1(VALU_DEP_1)
	v_cmp_ne_u32_e64 s0, 0x7f800000, v6
                                        ; implicit-def: $vgpr6
	s_and_saveexec_b32 s1, s0
	s_delay_alu instid0(SALU_CYCLE_1)
	s_xor_b32 s0, exec_lo, s1
; %bb.180:                              ;   in Loop: Header=BB154_34 Depth=1
	v_bfe_u32 v6, v22, 16, 1
	s_delay_alu instid0(VALU_DEP_1)
	v_add3_u32 v6, v22, v6, 0x7fff
                                        ; implicit-def: $vgpr22
; %bb.181:                              ;   in Loop: Header=BB154_34 Depth=1
	s_and_not1_saveexec_b32 s1, s0
; %bb.182:                              ;   in Loop: Header=BB154_34 Depth=1
	v_and_b32_e32 v6, 0xffff, v22
	v_or_b32_e32 v23, 0x10000, v22
	s_delay_alu instid0(VALU_DEP_2) | instskip(NEXT) | instid1(VALU_DEP_1)
	v_cmp_eq_u32_e64 s0, 0, v6
	v_cndmask_b32_e64 v6, v23, v22, s0
; %bb.183:                              ;   in Loop: Header=BB154_34 Depth=1
	s_or_b32 exec_lo, exec_lo, s1
	v_lshlrev_b32_e32 v12, 16, v12
	s_delay_alu instid0(VALU_DEP_1) | instskip(NEXT) | instid1(VALU_DEP_1)
	v_mul_f32_e32 v22, v26, v12
	v_and_b32_e32 v12, 0x7f800000, v22
	s_delay_alu instid0(VALU_DEP_1) | instskip(NEXT) | instid1(VALU_DEP_1)
	v_cmp_ne_u32_e64 s0, 0x7f800000, v12
                                        ; implicit-def: $vgpr12
	s_and_saveexec_b32 s1, s0
	s_delay_alu instid0(SALU_CYCLE_1)
	s_xor_b32 s0, exec_lo, s1
; %bb.184:                              ;   in Loop: Header=BB154_34 Depth=1
	v_bfe_u32 v12, v22, 16, 1
	s_delay_alu instid0(VALU_DEP_1)
	v_add3_u32 v12, v22, v12, 0x7fff
                                        ; implicit-def: $vgpr22
; %bb.185:                              ;   in Loop: Header=BB154_34 Depth=1
	s_and_not1_saveexec_b32 s1, s0
; %bb.186:                              ;   in Loop: Header=BB154_34 Depth=1
	v_and_b32_e32 v12, 0xffff, v22
	v_or_b32_e32 v23, 0x10000, v22
	s_delay_alu instid0(VALU_DEP_2) | instskip(NEXT) | instid1(VALU_DEP_1)
	v_cmp_eq_u32_e64 s0, 0, v12
	v_cndmask_b32_e64 v12, v23, v22, s0
; %bb.187:                              ;   in Loop: Header=BB154_34 Depth=1
	s_or_b32 exec_lo, exec_lo, s1
	v_lshlrev_b32_e32 v7, 16, v7
	s_delay_alu instid0(VALU_DEP_1) | instskip(NEXT) | instid1(VALU_DEP_1)
	v_mul_f32_e32 v22, v27, v7
	v_and_b32_e32 v7, 0x7f800000, v22
	s_delay_alu instid0(VALU_DEP_1) | instskip(NEXT) | instid1(VALU_DEP_1)
	v_cmp_ne_u32_e64 s0, 0x7f800000, v7
                                        ; implicit-def: $vgpr7
	s_and_saveexec_b32 s1, s0
	s_delay_alu instid0(SALU_CYCLE_1)
	s_xor_b32 s0, exec_lo, s1
; %bb.188:                              ;   in Loop: Header=BB154_34 Depth=1
	v_bfe_u32 v7, v22, 16, 1
	s_delay_alu instid0(VALU_DEP_1)
	v_add3_u32 v7, v22, v7, 0x7fff
                                        ; implicit-def: $vgpr22
; %bb.189:                              ;   in Loop: Header=BB154_34 Depth=1
	s_and_not1_saveexec_b32 s1, s0
; %bb.190:                              ;   in Loop: Header=BB154_34 Depth=1
	v_and_b32_e32 v7, 0xffff, v22
	v_or_b32_e32 v23, 0x10000, v22
	s_delay_alu instid0(VALU_DEP_2) | instskip(NEXT) | instid1(VALU_DEP_1)
	v_cmp_eq_u32_e64 s0, 0, v7
	v_cndmask_b32_e64 v7, v23, v22, s0
; %bb.191:                              ;   in Loop: Header=BB154_34 Depth=1
	s_or_b32 exec_lo, exec_lo, s1
	v_lshlrev_b32_e32 v10, 16, v10
	s_delay_alu instid0(VALU_DEP_1) | instskip(NEXT) | instid1(VALU_DEP_1)
	v_mul_f32_e32 v22, v28, v10
	v_and_b32_e32 v10, 0x7f800000, v22
	s_delay_alu instid0(VALU_DEP_1) | instskip(NEXT) | instid1(VALU_DEP_1)
	v_cmp_ne_u32_e64 s0, 0x7f800000, v10
                                        ; implicit-def: $vgpr10
	s_and_saveexec_b32 s1, s0
	s_delay_alu instid0(SALU_CYCLE_1)
	s_xor_b32 s0, exec_lo, s1
; %bb.192:                              ;   in Loop: Header=BB154_34 Depth=1
	v_bfe_u32 v10, v22, 16, 1
	s_delay_alu instid0(VALU_DEP_1)
	v_add3_u32 v10, v22, v10, 0x7fff
                                        ; implicit-def: $vgpr22
; %bb.193:                              ;   in Loop: Header=BB154_34 Depth=1
	s_and_not1_saveexec_b32 s1, s0
; %bb.194:                              ;   in Loop: Header=BB154_34 Depth=1
	v_and_b32_e32 v10, 0xffff, v22
	v_or_b32_e32 v23, 0x10000, v22
	s_delay_alu instid0(VALU_DEP_2) | instskip(NEXT) | instid1(VALU_DEP_1)
	v_cmp_eq_u32_e64 s0, 0, v10
	v_cndmask_b32_e64 v10, v23, v22, s0
; %bb.195:                              ;   in Loop: Header=BB154_34 Depth=1
	s_or_b32 exec_lo, exec_lo, s1
	v_lshlrev_b32_e32 v8, 16, v8
	s_delay_alu instid0(VALU_DEP_1) | instskip(NEXT) | instid1(VALU_DEP_1)
	v_mul_f32_e32 v22, v29, v8
	v_and_b32_e32 v8, 0x7f800000, v22
	s_delay_alu instid0(VALU_DEP_1) | instskip(NEXT) | instid1(VALU_DEP_1)
	v_cmp_ne_u32_e64 s0, 0x7f800000, v8
                                        ; implicit-def: $vgpr8
	s_and_saveexec_b32 s1, s0
	s_delay_alu instid0(SALU_CYCLE_1)
	s_xor_b32 s0, exec_lo, s1
; %bb.196:                              ;   in Loop: Header=BB154_34 Depth=1
	v_bfe_u32 v8, v22, 16, 1
	s_delay_alu instid0(VALU_DEP_1)
	v_add3_u32 v8, v22, v8, 0x7fff
                                        ; implicit-def: $vgpr22
; %bb.197:                              ;   in Loop: Header=BB154_34 Depth=1
	s_and_not1_saveexec_b32 s1, s0
; %bb.198:                              ;   in Loop: Header=BB154_34 Depth=1
	v_and_b32_e32 v8, 0xffff, v22
	v_or_b32_e32 v23, 0x10000, v22
	s_delay_alu instid0(VALU_DEP_2) | instskip(NEXT) | instid1(VALU_DEP_1)
	v_cmp_eq_u32_e64 s0, 0, v8
	v_cndmask_b32_e64 v8, v23, v22, s0
; %bb.199:                              ;   in Loop: Header=BB154_34 Depth=1
	s_or_b32 exec_lo, exec_lo, s1
	v_lshlrev_b32_e32 v9, 16, v9
	s_delay_alu instid0(VALU_DEP_1) | instskip(NEXT) | instid1(VALU_DEP_1)
	v_mul_f32_e32 v22, v30, v9
	v_and_b32_e32 v9, 0x7f800000, v22
	s_delay_alu instid0(VALU_DEP_1) | instskip(NEXT) | instid1(VALU_DEP_1)
	v_cmp_ne_u32_e64 s0, 0x7f800000, v9
                                        ; implicit-def: $vgpr9
	s_and_saveexec_b32 s1, s0
	s_delay_alu instid0(SALU_CYCLE_1)
	s_xor_b32 s0, exec_lo, s1
; %bb.200:                              ;   in Loop: Header=BB154_34 Depth=1
	v_bfe_u32 v9, v22, 16, 1
	s_delay_alu instid0(VALU_DEP_1)
	v_add3_u32 v9, v22, v9, 0x7fff
                                        ; implicit-def: $vgpr22
; %bb.201:                              ;   in Loop: Header=BB154_34 Depth=1
	s_and_not1_saveexec_b32 s1, s0
	s_cbranch_execz .LBB154_32
; %bb.202:                              ;   in Loop: Header=BB154_34 Depth=1
	v_and_b32_e32 v9, 0xffff, v22
	v_or_b32_e32 v23, 0x10000, v22
	s_delay_alu instid0(VALU_DEP_2) | instskip(NEXT) | instid1(VALU_DEP_1)
	v_cmp_eq_u32_e64 s0, 0, v9
	v_cndmask_b32_e64 v9, v23, v22, s0
	s_branch .LBB154_32
.LBB154_203:
	s_or_b32 exec_lo, exec_lo, s4
.LBB154_204:
	s_delay_alu instid0(SALU_CYCLE_1)
	s_or_b32 exec_lo, exec_lo, s3
	s_movk_i32 s0, 0x1c0
	v_and_b32_e32 v6, 0x3c0, v0
	v_mad_u32_u24 v5, v16, s0, 0x100
	v_or_b32_e32 v7, 0x60, v0
	s_mov_b32 s0, exec_lo
	s_waitcnt_vscnt null, 0x0
	s_barrier
	buffer_gl0_inv
	v_cmpx_eq_u32_e32 64, v6
	s_cbranch_execz .LBB154_207
; %bb.205:
	v_add_nc_u32_e32 v6, 0xfffffc80, v5
	v_cmp_gt_u32_e32 vcc_lo, 0x70, v7
	s_delay_alu instid0(VALU_DEP_2)
	v_lshl_add_u32 v8, v17, 2, v6
	ds_store_2addr_b32 v8, v1, v2 offset1:32
	ds_store_b32 v8, v3 offset:256
	s_and_b32 exec_lo, exec_lo, vcc_lo
	s_cbranch_execz .LBB154_207
; %bb.206:
	v_lshl_add_u32 v6, v7, 2, v6
	ds_store_b32 v6, v4
.LBB154_207:
	s_or_b32 exec_lo, exec_lo, s0
	v_lshl_add_u32 v6, v17, 2, v5
	s_mov_b32 s0, exec_lo
	s_waitcnt lgkmcnt(0)
	s_barrier
	buffer_gl0_inv
	v_cmpx_gt_u32_e32 64, v0
	s_cbranch_execz .LBB154_211
; %bb.208:
	v_lshl_or_b32 v8, v0, 2, 0x80
	s_mov_b32 s1, exec_lo
	s_delay_alu instid0(VALU_DEP_1)
	v_add_nc_u32_e32 v10, v5, v8
	ds_load_2addr_stride64_b32 v[8:9], v6 offset1:1
	ds_load_b32 v10, v10
	s_waitcnt lgkmcnt(1)
	v_add_f32_e32 v3, v3, v9
	s_waitcnt lgkmcnt(0)
	v_dual_add_f32 v1, v1, v8 :: v_dual_add_f32 v2, v2, v10
	v_cmpx_gt_u32_e32 0x70, v7
	s_cbranch_execz .LBB154_210
; %bb.209:
	v_lshl_add_u32 v8, v7, 2, v5
	ds_load_b32 v8, v8
	s_waitcnt lgkmcnt(0)
	v_add_f32_e32 v4, v4, v8
.LBB154_210:
	s_or_b32 exec_lo, exec_lo, s1
.LBB154_211:
	s_delay_alu instid0(SALU_CYCLE_1)
	s_or_b32 exec_lo, exec_lo, s0
	v_and_b32_e32 v8, 0x3e0, v0
	s_mov_b32 s0, exec_lo
	s_barrier
	buffer_gl0_inv
	v_cmpx_eq_u32_e32 32, v8
	s_cbranch_execz .LBB154_214
; %bb.212:
	v_add_nc_u32_e32 v8, 0xfffffe40, v5
	v_cmp_gt_u32_e32 vcc_lo, 0x70, v7
	s_delay_alu instid0(VALU_DEP_2)
	v_lshl_add_u32 v9, v17, 2, v8
	v_lshl_add_u32 v10, v0, 2, v8
	ds_store_b32 v9, v1
	ds_store_b32 v10, v2
	ds_store_b32 v9, v3 offset:256
	s_and_b32 exec_lo, exec_lo, vcc_lo
	s_cbranch_execz .LBB154_214
; %bb.213:
	v_lshl_add_u32 v8, v7, 2, v8
	ds_store_b32 v8, v4
.LBB154_214:
	s_or_b32 exec_lo, exec_lo, s0
	v_cmp_gt_u32_e32 vcc_lo, 32, v0
	s_waitcnt lgkmcnt(0)
	s_barrier
	buffer_gl0_inv
	s_and_saveexec_b32 s1, vcc_lo
	s_cbranch_execz .LBB154_218
; %bb.215:
	v_lshl_add_u32 v5, v0, 2, v5
	s_mov_b32 s2, exec_lo
	ds_load_b32 v6, v6
	ds_load_2addr_b32 v[8:9], v5 offset0:32 offset1:64
	s_waitcnt lgkmcnt(0)
	v_dual_add_f32 v1, v1, v6 :: v_dual_add_f32 v2, v2, v8
	v_add_f32_e32 v3, v3, v9
	v_cmpx_gt_u32_e32 0x70, v7
	s_cbranch_execz .LBB154_217
; %bb.216:
	ds_load_b32 v5, v5 offset:384
	s_waitcnt lgkmcnt(0)
	v_add_f32_e32 v4, v4, v5
.LBB154_217:
	s_or_b32 exec_lo, exec_lo, s2
.LBB154_218:
	s_delay_alu instid0(SALU_CYCLE_1)
	s_or_b32 exec_lo, exec_lo, s1
	s_barrier
	buffer_gl0_inv
	s_and_saveexec_b32 s0, vcc_lo
	s_cbranch_execz .LBB154_237
; %bb.219:
	v_and_b32_e32 v5, 0x7f800000, v1
	s_mov_b32 s0, exec_lo
                                        ; implicit-def: $vgpr8
	s_delay_alu instid0(VALU_DEP_1)
	v_cmpx_ne_u32_e32 0x7f800000, v5
	s_xor_b32 s0, exec_lo, s0
; %bb.220:
	v_bfe_u32 v5, v1, 16, 1
	s_delay_alu instid0(VALU_DEP_1)
	v_add3_u32 v8, v1, v5, 0x7fff
; %bb.221:
	s_and_not1_saveexec_b32 s0, s0
; %bb.222:
	v_and_b32_e32 v5, 0xffff, v1
	v_or_b32_e32 v6, 0x10000, v1
	s_delay_alu instid0(VALU_DEP_2) | instskip(NEXT) | instid1(VALU_DEP_2)
	v_cmp_eq_u32_e32 vcc_lo, 0, v5
	v_cndmask_b32_e32 v8, v6, v1, vcc_lo
; %bb.223:
	s_or_b32 exec_lo, exec_lo, s0
	s_mul_i32 s0, s10, 0x70
	s_mul_i32 s2, s8, s18
	s_ashr_i32 s1, s0, 31
	v_lshlrev_b32_e32 v0, 1, v0
	s_lshl_b64 s[0:1], s[0:1], 1
	v_and_b32_e32 v1, 0x7f800000, v2
	s_add_u32 s4, s20, s0
	s_addc_u32 s5, s21, s1
	s_ashr_i32 s3, s2, 31
	s_delay_alu instid0(SALU_CYCLE_1) | instskip(SKIP_4) | instid1(SALU_CYCLE_1)
	s_lshl_b64 s[0:1], s[2:3], 1
	s_mul_i32 s2, s16, 0x70
	s_add_u32 s4, s4, s0
	s_addc_u32 s5, s5, s1
	s_ashr_i32 s3, s2, 31
	s_lshl_b64 s[0:1], s[2:3], 1
	s_delay_alu instid0(SALU_CYCLE_1) | instskip(SKIP_2) | instid1(VALU_DEP_1)
	s_add_u32 s0, s4, s0
	s_addc_u32 s1, s5, s1
	v_add_co_u32 v5, s2, s0, v0
	v_add_co_ci_u32_e64 v6, null, s1, 0, s2
	global_store_d16_hi_b16 v0, v8, s[0:1]
	s_mov_b32 s0, exec_lo
                                        ; implicit-def: $vgpr0
	v_cmpx_ne_u32_e32 0x7f800000, v1
	s_xor_b32 s0, exec_lo, s0
; %bb.224:
	v_bfe_u32 v0, v2, 16, 1
	s_delay_alu instid0(VALU_DEP_1)
	v_add3_u32 v0, v2, v0, 0x7fff
; %bb.225:
	s_and_not1_saveexec_b32 s0, s0
; %bb.226:
	v_and_b32_e32 v0, 0xffff, v2
	v_or_b32_e32 v1, 0x10000, v2
	s_delay_alu instid0(VALU_DEP_2) | instskip(NEXT) | instid1(VALU_DEP_2)
	v_cmp_eq_u32_e32 vcc_lo, 0, v0
	v_cndmask_b32_e32 v0, v1, v2, vcc_lo
; %bb.227:
	s_or_b32 exec_lo, exec_lo, s0
	v_and_b32_e32 v1, 0x7f800000, v3
	s_mov_b32 s0, exec_lo
	global_store_d16_hi_b16 v[5:6], v0, off offset:64
                                        ; implicit-def: $vgpr0
	v_cmpx_ne_u32_e32 0x7f800000, v1
	s_xor_b32 s0, exec_lo, s0
; %bb.228:
	v_bfe_u32 v0, v3, 16, 1
	s_delay_alu instid0(VALU_DEP_1)
	v_add3_u32 v0, v3, v0, 0x7fff
; %bb.229:
	s_and_not1_saveexec_b32 s0, s0
; %bb.230:
	v_and_b32_e32 v0, 0xffff, v3
	v_or_b32_e32 v1, 0x10000, v3
	s_delay_alu instid0(VALU_DEP_2) | instskip(NEXT) | instid1(VALU_DEP_2)
	v_cmp_eq_u32_e32 vcc_lo, 0, v0
	v_cndmask_b32_e32 v0, v1, v3, vcc_lo
; %bb.231:
	s_or_b32 exec_lo, exec_lo, s0
	v_cmp_gt_u32_e32 vcc_lo, 0x70, v7
	global_store_d16_hi_b16 v[5:6], v0, off offset:128
	s_and_b32 exec_lo, exec_lo, vcc_lo
	s_cbranch_execz .LBB154_237
; %bb.232:
	v_and_b32_e32 v0, 0x7f800000, v4
	s_delay_alu instid0(VALU_DEP_1) | instskip(SKIP_1) | instid1(SALU_CYCLE_1)
	v_cmp_ne_u32_e32 vcc_lo, 0x7f800000, v0
                                        ; implicit-def: $vgpr0
	s_and_saveexec_b32 s0, vcc_lo
	s_xor_b32 s0, exec_lo, s0
; %bb.233:
	v_bfe_u32 v0, v4, 16, 1
	s_delay_alu instid0(VALU_DEP_1)
	v_add3_u32 v0, v4, v0, 0x7fff
                                        ; implicit-def: $vgpr1_vgpr2_vgpr3_vgpr4
; %bb.234:
	s_and_not1_saveexec_b32 s0, s0
; %bb.235:
	v_and_b32_e32 v0, 0xffff, v4
	v_or_b32_e32 v1, 0x10000, v4
	s_delay_alu instid0(VALU_DEP_2) | instskip(NEXT) | instid1(VALU_DEP_2)
	v_cmp_eq_u32_e32 vcc_lo, 0, v0
	v_cndmask_b32_e32 v0, v1, v4, vcc_lo
; %bb.236:
	s_or_b32 exec_lo, exec_lo, s0
	global_store_d16_hi_b16 v[5:6], v0, off offset:192
.LBB154_237:
	s_nop 0
	s_sendmsg sendmsg(MSG_DEALLOC_VGPRS)
	s_endpgm
	.section	.rodata,"a",@progbits
	.p2align	6, 0x0
	.amdhsa_kernel _ZN4vllm25paged_attention_v2_kernelI14__hip_bfloat16S1_Li112ELi8ELi128ELNS_18Fp8KVCacheDataTypeE0ELb0ELi512EEEvPfS3_PT_PKS4_PKT0_SA_ifPKiSC_iPKfiiiSE_SE_iiiii
		.amdhsa_group_segment_fixed_size 256
		.amdhsa_private_segment_fixed_size 0
		.amdhsa_kernarg_size 400
		.amdhsa_user_sgpr_count 13
		.amdhsa_user_sgpr_dispatch_ptr 0
		.amdhsa_user_sgpr_queue_ptr 0
		.amdhsa_user_sgpr_kernarg_segment_ptr 1
		.amdhsa_user_sgpr_dispatch_id 0
		.amdhsa_user_sgpr_private_segment_size 0
		.amdhsa_wavefront_size32 1
		.amdhsa_uses_dynamic_stack 0
		.amdhsa_enable_private_segment 0
		.amdhsa_system_sgpr_workgroup_id_x 1
		.amdhsa_system_sgpr_workgroup_id_y 1
		.amdhsa_system_sgpr_workgroup_id_z 1
		.amdhsa_system_sgpr_workgroup_info 0
		.amdhsa_system_vgpr_workitem_id 0
		.amdhsa_next_free_vgpr 62
		.amdhsa_next_free_sgpr 40
		.amdhsa_reserve_vcc 1
		.amdhsa_float_round_mode_32 0
		.amdhsa_float_round_mode_16_64 0
		.amdhsa_float_denorm_mode_32 3
		.amdhsa_float_denorm_mode_16_64 3
		.amdhsa_dx10_clamp 1
		.amdhsa_ieee_mode 1
		.amdhsa_fp16_overflow 0
		.amdhsa_workgroup_processor_mode 1
		.amdhsa_memory_ordered 1
		.amdhsa_forward_progress 0
		.amdhsa_shared_vgpr_count 0
		.amdhsa_exception_fp_ieee_invalid_op 0
		.amdhsa_exception_fp_denorm_src 0
		.amdhsa_exception_fp_ieee_div_zero 0
		.amdhsa_exception_fp_ieee_overflow 0
		.amdhsa_exception_fp_ieee_underflow 0
		.amdhsa_exception_fp_ieee_inexact 0
		.amdhsa_exception_int_div_zero 0
	.end_amdhsa_kernel
	.section	.text._ZN4vllm25paged_attention_v2_kernelI14__hip_bfloat16S1_Li112ELi8ELi128ELNS_18Fp8KVCacheDataTypeE0ELb0ELi512EEEvPfS3_PT_PKS4_PKT0_SA_ifPKiSC_iPKfiiiSE_SE_iiiii,"axG",@progbits,_ZN4vllm25paged_attention_v2_kernelI14__hip_bfloat16S1_Li112ELi8ELi128ELNS_18Fp8KVCacheDataTypeE0ELb0ELi512EEEvPfS3_PT_PKS4_PKT0_SA_ifPKiSC_iPKfiiiSE_SE_iiiii,comdat
.Lfunc_end154:
	.size	_ZN4vllm25paged_attention_v2_kernelI14__hip_bfloat16S1_Li112ELi8ELi128ELNS_18Fp8KVCacheDataTypeE0ELb0ELi512EEEvPfS3_PT_PKS4_PKT0_SA_ifPKiSC_iPKfiiiSE_SE_iiiii, .Lfunc_end154-_ZN4vllm25paged_attention_v2_kernelI14__hip_bfloat16S1_Li112ELi8ELi128ELNS_18Fp8KVCacheDataTypeE0ELb0ELi512EEEvPfS3_PT_PKS4_PKT0_SA_ifPKiSC_iPKfiiiSE_SE_iiiii
                                        ; -- End function
	.section	.AMDGPU.csdata,"",@progbits
; Kernel info:
; codeLenInByte = 10256
; NumSgprs: 42
; NumVgprs: 62
; ScratchSize: 0
; MemoryBound: 0
; FloatMode: 240
; IeeeMode: 1
; LDSByteSize: 256 bytes/workgroup (compile time only)
; SGPRBlocks: 5
; VGPRBlocks: 7
; NumSGPRsForWavesPerEU: 42
; NumVGPRsForWavesPerEU: 62
; Occupancy: 16
; WaveLimiterHint : 1
; COMPUTE_PGM_RSRC2:SCRATCH_EN: 0
; COMPUTE_PGM_RSRC2:USER_SGPR: 13
; COMPUTE_PGM_RSRC2:TRAP_HANDLER: 0
; COMPUTE_PGM_RSRC2:TGID_X_EN: 1
; COMPUTE_PGM_RSRC2:TGID_Y_EN: 1
; COMPUTE_PGM_RSRC2:TGID_Z_EN: 1
; COMPUTE_PGM_RSRC2:TIDIG_COMP_CNT: 0
	.section	.text._ZN4vllm25paged_attention_v2_kernelI14__hip_bfloat16S1_Li120ELi8ELi128ELNS_18Fp8KVCacheDataTypeE0ELb0ELi512EEEvPfS3_PT_PKS4_PKT0_SA_ifPKiSC_iPKfiiiSE_SE_iiiii,"axG",@progbits,_ZN4vllm25paged_attention_v2_kernelI14__hip_bfloat16S1_Li120ELi8ELi128ELNS_18Fp8KVCacheDataTypeE0ELb0ELi512EEEvPfS3_PT_PKS4_PKT0_SA_ifPKiSC_iPKfiiiSE_SE_iiiii,comdat
	.protected	_ZN4vllm25paged_attention_v2_kernelI14__hip_bfloat16S1_Li120ELi8ELi128ELNS_18Fp8KVCacheDataTypeE0ELb0ELi512EEEvPfS3_PT_PKS4_PKT0_SA_ifPKiSC_iPKfiiiSE_SE_iiiii ; -- Begin function _ZN4vllm25paged_attention_v2_kernelI14__hip_bfloat16S1_Li120ELi8ELi128ELNS_18Fp8KVCacheDataTypeE0ELb0ELi512EEEvPfS3_PT_PKS4_PKT0_SA_ifPKiSC_iPKfiiiSE_SE_iiiii
	.globl	_ZN4vllm25paged_attention_v2_kernelI14__hip_bfloat16S1_Li120ELi8ELi128ELNS_18Fp8KVCacheDataTypeE0ELb0ELi512EEEvPfS3_PT_PKS4_PKT0_SA_ifPKiSC_iPKfiiiSE_SE_iiiii
	.p2align	8
	.type	_ZN4vllm25paged_attention_v2_kernelI14__hip_bfloat16S1_Li120ELi8ELi128ELNS_18Fp8KVCacheDataTypeE0ELb0ELi512EEEvPfS3_PT_PKS4_PKT0_SA_ifPKiSC_iPKfiiiSE_SE_iiiii,@function
_ZN4vllm25paged_attention_v2_kernelI14__hip_bfloat16S1_Li120ELi8ELi128ELNS_18Fp8KVCacheDataTypeE0ELb0ELi512EEEvPfS3_PT_PKS4_PKT0_SA_ifPKiSC_iPKfiiiSE_SE_iiiii: ; @_ZN4vllm25paged_attention_v2_kernelI14__hip_bfloat16S1_Li120ELi8ELi128ELNS_18Fp8KVCacheDataTypeE0ELb0ELi512EEEvPfS3_PT_PKS4_PKT0_SA_ifPKiSC_iPKfiiiSE_SE_iiiii
; %bb.0:
	s_load_b64 s[2:3], s[0:1], 0x40
	s_mov_b32 s16, s15
	s_ashr_i32 s15, s14, 31
	s_delay_alu instid0(SALU_CYCLE_1)
	s_lshl_b64 s[4:5], s[14:15], 2
	s_waitcnt lgkmcnt(0)
	s_add_u32 s2, s2, s4
	s_addc_u32 s3, s3, s5
	s_lshl_b32 s34, s16, 9
	s_load_b32 s33, s[2:3], 0x0
	s_waitcnt lgkmcnt(0)
	s_cmp_ge_i32 s34, s33
	s_cbranch_scc1 .LBB155_237
; %bb.1:
	s_mov_b32 s22, s13
	s_clause 0x1
	s_load_b32 s15, s[0:1], 0x90
	s_load_b64 s[12:13], s[0:1], 0x30
	s_waitcnt lgkmcnt(0)
	s_abs_i32 s5, s15
	s_abs_i32 s2, s12
	s_delay_alu instid0(SALU_CYCLE_1) | instskip(SKIP_1) | instid1(VALU_DEP_1)
	v_cvt_f32_u32_e32 v1, s2
	s_sub_i32 s4, 0, s2
	v_rcp_iflag_f32_e32 v1, v1
	s_waitcnt_depctr 0xfff
	v_mul_f32_e32 v1, 0x4f7ffffe, v1
	s_delay_alu instid0(VALU_DEP_1) | instskip(NEXT) | instid1(VALU_DEP_1)
	v_cvt_u32_f32_e32 v1, v1
	v_readfirstlane_b32 s3, v1
	s_delay_alu instid0(VALU_DEP_1) | instskip(NEXT) | instid1(SALU_CYCLE_1)
	s_mul_i32 s4, s4, s3
	s_mul_hi_u32 s4, s3, s4
	s_delay_alu instid0(SALU_CYCLE_1)
	s_add_i32 s3, s3, s4
	s_xor_b32 s4, s15, s12
	s_mul_hi_u32 s3, s5, s3
	s_ashr_i32 s4, s4, 31
	s_mul_i32 s6, s3, s2
	s_mov_b32 s12, 0
	s_sub_i32 s5, s5, s6
	s_add_i32 s6, s3, 1
	s_sub_i32 s7, s5, s2
	s_cmp_ge_u32 s5, s2
	s_cselect_b32 s3, s6, s3
	s_cselect_b32 s5, s7, s5
	s_add_i32 s6, s3, 1
	s_cmp_ge_u32 s5, s2
	s_cselect_b32 s2, s6, s3
	s_delay_alu instid0(SALU_CYCLE_1) | instskip(NEXT) | instid1(SALU_CYCLE_1)
	s_xor_b32 s2, s2, s4
	s_sub_i32 s7, s2, s4
	s_load_b64 s[2:3], s[0:1], 0x50
	s_abs_i32 s4, s7
	s_delay_alu instid0(SALU_CYCLE_1) | instskip(SKIP_1) | instid1(VALU_DEP_1)
	v_cvt_f32_u32_e32 v1, s4
	s_sub_i32 s6, 0, s4
	v_rcp_iflag_f32_e32 v1, v1
	s_waitcnt_depctr 0xfff
	v_mul_f32_e32 v1, 0x4f7ffffe, v1
	s_delay_alu instid0(VALU_DEP_1) | instskip(NEXT) | instid1(VALU_DEP_1)
	v_cvt_u32_f32_e32 v1, v1
	v_readfirstlane_b32 s5, v1
	s_delay_alu instid0(VALU_DEP_1) | instskip(NEXT) | instid1(SALU_CYCLE_1)
	s_mul_i32 s6, s6, s5
	s_mul_hi_u32 s8, s5, s6
	s_abs_i32 s6, s22
	s_add_i32 s5, s5, s8
	s_waitcnt lgkmcnt(0)
	s_cmp_eq_u64 s[2:3], 0
	s_mul_hi_u32 s5, s6, s5
	s_cbranch_scc1 .LBB155_3
; %bb.2:
	s_ashr_i32 s23, s22, 31
	s_delay_alu instid0(SALU_CYCLE_1) | instskip(NEXT) | instid1(SALU_CYCLE_1)
	s_lshl_b64 s[8:9], s[22:23], 2
	s_add_u32 s2, s2, s8
	s_addc_u32 s3, s3, s9
	s_load_b32 s12, s[2:3], 0x0
.LBB155_3:
	s_load_b128 s[8:11], s[0:1], 0x58
	v_and_b32_e32 v1, 3, v0
	v_lshlrev_b32_e32 v2, 2, v0
	s_ashr_i32 s2, s22, 31
	s_ashr_i32 s3, s7, 31
	s_mul_i32 s18, s22, 0x78
	s_mov_b32 s7, exec_lo
	v_cmpx_gt_u32_e32 60, v0
	s_cbranch_execz .LBB155_5
; %bb.4:
	s_load_b64 s[20:21], s[0:1], 0x18
	s_waitcnt lgkmcnt(0)
	s_mul_i32 s24, s14, s8
	v_and_b32_e32 v4, 0x3fc, v0
	s_ashr_i32 s25, s24, 31
	s_delay_alu instid0(SALU_CYCLE_1) | instskip(NEXT) | instid1(VALU_DEP_1)
	s_lshl_b64 s[24:25], s[24:25], 1
	v_mad_u32_u24 v4, v1, 60, v4
	s_add_u32 s8, s20, s24
	s_addc_u32 s11, s21, s25
	s_ashr_i32 s19, s18, 31
	s_delay_alu instid0(SALU_CYCLE_1) | instskip(NEXT) | instid1(SALU_CYCLE_1)
	s_lshl_b64 s[20:21], s[18:19], 1
	s_add_u32 s20, s8, s20
	s_addc_u32 s21, s11, s21
	global_load_b32 v3, v2, s[20:21]
	s_waitcnt vmcnt(0)
	ds_store_b32 v4, v3
.LBB155_5:
	s_or_b32 exec_lo, exec_lo, s7
	s_add_i32 s7, s33, 7
	s_waitcnt lgkmcnt(0)
	s_lshl_b32 s11, s16, 6
	s_ashr_i32 s8, s7, 31
	s_xor_b32 s2, s2, s3
	s_lshr_b32 s8, s8, 29
	s_add_i32 s3, s11, 64
	s_add_i32 s7, s7, s8
	s_clause 0x1
	s_load_b64 s[24:25], s[0:1], 0x38
	s_load_b32 s8, s[0:1], 0x48
	s_ashr_i32 s23, s7, 3
	s_mul_i32 s7, s5, s4
	s_min_i32 s19, s3, s23
	s_sub_i32 s3, s6, s7
	s_add_i32 s6, s5, 1
	s_sub_i32 s7, s3, s4
	s_cmp_ge_u32 s3, s4
	v_lshrrev_b32_e32 v16, 5, v0
	s_cselect_b32 s5, s6, s5
	s_cselect_b32 s3, s7, s3
	s_add_i32 s6, s5, 1
	s_cmp_ge_u32 s3, s4
	v_or_b32_e32 v13, s11, v16
	s_cselect_b32 s3, s6, s5
	v_mbcnt_lo_u32_b32 v3, -1, 0
	s_xor_b32 s3, s3, s2
	s_mov_b32 s4, exec_lo
	s_sub_i32 s3, s3, s2
	v_cmp_gt_i32_e64 s2, s19, v13
	s_waitcnt lgkmcnt(0)
	s_mul_i32 s26, s14, s8
	s_delay_alu instid0(SALU_CYCLE_1)
	s_ashr_i32 s27, s26, 31
	s_barrier
	buffer_gl0_inv
                                        ; implicit-def: $sgpr30
                                        ; implicit-def: $vgpr4
	v_cmpx_le_i32_e64 s19, v13
	s_xor_b32 s4, exec_lo, s4
; %bb.6:
	v_mbcnt_lo_u32_b32 v3, -1, 0
	v_mov_b32_e32 v4, 32
	s_mov_b32 s30, 0xff7fffff
                                        ; implicit-def: $vgpr2
                                        ; implicit-def: $vgpr1
; %bb.7:
	s_or_saveexec_b32 s17, s4
	s_clause 0x3
	s_load_b128 s[4:7], s[0:1], 0x0
	s_load_b64 s[20:21], s[0:1], 0x10
	s_load_b64 s[28:29], s[0:1], 0x28
	s_load_b32 s8, s[0:1], 0x98
	v_dual_mov_b32 v38, s30 :: v_dual_lshlrev_b32 v5, 3, v16
	v_ashrrev_i32_e32 v14, 31, v13
	s_mul_i32 s30, s3, s10
	s_xor_b32 exec_lo, exec_lo, s17
	s_cbranch_execz .LBB155_13
; %bb.8:
	s_load_b64 s[0:1], s[0:1], 0x20
	v_bfe_u32 v44, v0, 2, 3
	s_ashr_i32 s31, s30, 31
	v_mul_u32_u24_e32 v4, 60, v1
	s_lshl_b64 s[36:37], s[30:31], 1
	v_xor_b32_e32 v41, 1, v3
	v_lshlrev_b32_e32 v6, 4, v44
	v_and_b32_e32 v2, 12, v2
	ds_load_2addr_b32 v[8:9], v4 offset1:1
	ds_load_2addr_b32 v[17:18], v4 offset0:2 offset1:3
	ds_load_2addr_b32 v[21:22], v4 offset0:4 offset1:5
	;; [unrolled: 1-line block ×6, first 2 shown]
	s_mov_b32 s35, s9
	s_mov_b32 s31, 0
	v_mov_b32_e32 v46, v13
	s_waitcnt lgkmcnt(0)
	s_add_u32 s0, s0, s36
	s_addc_u32 s1, s1, s37
	v_add_co_u32 v12, s0, s0, v6
	s_delay_alu instid0(VALU_DEP_1) | instskip(SKIP_1) | instid1(VALU_DEP_2)
	v_add_co_ci_u32_e64 v15, null, s1, 0, s0
	s_lshl_b64 s[36:37], s[26:27], 2
	v_add_co_u32 v12, vcc_lo, v12, v2
	ds_load_b32 v2, v4 offset:56
	v_xor_b32_e32 v4, 2, v3
	v_add_co_ci_u32_e32 v15, vcc_lo, 0, v15, vcc_lo
	v_lshlrev_b32_e32 v6, 16, v8
	v_and_b32_e32 v7, 0xffff0000, v8
	s_delay_alu instid0(VALU_DEP_4)
	v_cmp_gt_i32_e32 vcc_lo, 32, v4
	v_lshlrev_b32_e32 v8, 16, v9
	v_and_b32_e32 v9, 0xffff0000, v9
	v_lshlrev_b32_e32 v35, 16, v37
	v_and_b32_e32 v36, 0xffff0000, v37
	v_lshlrev_b32_e32 v37, 16, v38
	v_dual_cndmask_b32 v38, v3, v4 :: v_dual_and_b32 v39, 0xffff0000, v38
	v_cmp_gt_i32_e32 vcc_lo, 32, v41
	s_sub_i32 s10, 1, s33
	s_add_u32 s1, s24, s36
	s_addc_u32 s3, s25, s37
	v_dual_cndmask_b32 v43, v3, v41 :: v_dual_lshlrev_b32 v42, 2, v38
	s_waitcnt lgkmcnt(0)
	v_lshlrev_b32_e32 v40, 16, v2
	v_and_b32_e32 v41, 0xffff0000, v2
	v_lshlrev_b32_e32 v2, 2, v44
	v_cmp_eq_u32_e32 vcc_lo, 0, v1
	v_lshlrev_b32_e32 v10, 16, v17
	v_and_b32_e32 v11, 0xffff0000, v17
	v_lshlrev_b32_e32 v17, 16, v18
	v_lshl_or_b32 v38, v16, 5, v2
	v_lshlrev_b64 v[1:2], 2, v[13:14]
	v_and_b32_e32 v18, 0xffff0000, v18
	v_lshlrev_b32_e32 v19, 16, v21
	v_and_b32_e32 v20, 0xffff0000, v21
	v_lshlrev_b32_e32 v21, 16, v22
	v_and_b32_e32 v22, 0xffff0000, v22
	v_add_co_u32 v1, s1, s1, v1
	v_lshlrev_b32_e32 v23, 16, v25
	v_and_b32_e32 v24, 0xffff0000, v25
	v_lshlrev_b32_e32 v25, 16, v26
	v_and_b32_e32 v26, 0xffff0000, v26
	;; [unrolled: 2-line block ×6, first 2 shown]
	v_dual_mov_b32 v4, 32 :: v_dual_lshlrev_b32 v43, 2, v43
	v_cmp_neq_f32_e64 s0, s12, 0
	v_add3_u32 v44, s34, v5, v44
	v_add_nc_u32_e32 v45, 0x110, v38
	v_mov_b32_e32 v38, 0xff7fffff
	v_add_co_ci_u32_e64 v2, s1, s3, v2, s1
	s_branch .LBB155_10
.LBB155_9:                              ;   in Loop: Header=BB155_10 Depth=1
	s_or_b32 exec_lo, exec_lo, s3
	v_add_nc_u32_e32 v46, 4, v46
	v_add_co_u32 v1, s3, v1, 16
	v_add_nc_u32_e32 v44, 32, v44
	v_add_nc_u32_e32 v45, 0x80, v45
	s_delay_alu instid0(VALU_DEP_4) | instskip(SKIP_1) | instid1(VALU_DEP_2)
	v_cmp_le_i32_e64 s1, s19, v46
	v_add_co_ci_u32_e64 v2, s3, 0, v2, s3
	s_or_b32 s31, s1, s31
	s_delay_alu instid0(SALU_CYCLE_1)
	s_and_not1_b32 exec_lo, exec_lo, s31
	s_cbranch_execz .LBB155_12
.LBB155_10:                             ; =>This Inner Loop Header: Depth=1
	global_load_b32 v49, v[1:2], off
	s_waitcnt vmcnt(0) lgkmcnt(0)
	v_mad_i64_i32 v[47:48], null, v49, s35, 0
	s_delay_alu instid0(VALU_DEP_1) | instskip(NEXT) | instid1(VALU_DEP_1)
	v_lshlrev_b64 v[47:48], 1, v[47:48]
	v_add_co_u32 v47, s1, v12, v47
	s_delay_alu instid0(VALU_DEP_1)
	v_add_co_ci_u32_e64 v48, s1, v15, v48, s1
	s_clause 0xe
	global_load_b32 v49, v[47:48], off offset:128
	global_load_b32 v50, v[47:48], off
	global_load_b32 v51, v[47:48], off offset:256
	global_load_b32 v52, v[47:48], off offset:384
	;; [unrolled: 1-line block ×13, first 2 shown]
	s_waitcnt vmcnt(12)
	v_lshlrev_b32_e32 v64, 16, v51
	v_lshlrev_b32_e32 v63, 16, v50
	v_and_b32_e32 v50, 0xffff0000, v50
	v_lshlrev_b32_e32 v48, 16, v49
	v_and_b32_e32 v49, 0xffff0000, v49
	s_delay_alu instid0(VALU_DEP_1) | instskip(NEXT) | instid1(VALU_DEP_1)
	v_mul_f32_e32 v49, v9, v49
	v_dual_fmac_f32 v49, v7, v50 :: v_dual_mul_f32 v48, v8, v48
	s_waitcnt vmcnt(11)
	v_lshlrev_b32_e32 v50, 16, v52
	v_and_b32_e32 v51, 0xffff0000, v51
	s_delay_alu instid0(VALU_DEP_3) | instskip(NEXT) | instid1(VALU_DEP_2)
	v_fmac_f32_e32 v48, v6, v63
	v_fmac_f32_e32 v49, v11, v51
	s_waitcnt vmcnt(10)
	v_lshlrev_b32_e32 v51, 16, v53
	v_and_b32_e32 v53, 0xffff0000, v53
	v_and_b32_e32 v52, 0xffff0000, v52
	s_delay_alu instid0(VALU_DEP_1) | instskip(SKIP_1) | instid1(VALU_DEP_1)
	v_fmac_f32_e32 v49, v18, v52
	v_fmac_f32_e32 v48, v10, v64
	;; [unrolled: 1-line block ×3, first 2 shown]
	s_delay_alu instid0(VALU_DEP_1) | instskip(SKIP_3) | instid1(VALU_DEP_1)
	v_dual_fmac_f32 v48, v19, v51 :: v_dual_fmac_f32 v49, v20, v53
	s_waitcnt vmcnt(8)
	v_and_b32_e32 v53, 0xffff0000, v55
	v_and_b32_e32 v52, 0xffff0000, v54
	v_dual_fmac_f32 v49, v22, v52 :: v_dual_lshlrev_b32 v50, 16, v54
	s_delay_alu instid0(VALU_DEP_1)
	v_dual_fmac_f32 v48, v21, v50 :: v_dual_lshlrev_b32 v51, 16, v55
	s_waitcnt vmcnt(7)
	v_lshlrev_b32_e32 v50, 16, v56
	v_and_b32_e32 v52, 0xffff0000, v56
	s_waitcnt vmcnt(6)
	v_dual_fmac_f32 v48, v23, v51 :: v_dual_lshlrev_b32 v51, 16, v57
	s_delay_alu instid0(VALU_DEP_1) | instskip(SKIP_3) | instid1(VALU_DEP_3)
	v_dual_fmac_f32 v48, v25, v50 :: v_dual_fmac_f32 v49, v24, v53
	v_and_b32_e32 v53, 0xffff0000, v57
	s_waitcnt vmcnt(5)
	v_lshlrev_b32_e32 v50, 16, v58
	v_dual_fmac_f32 v48, v27, v51 :: v_dual_fmac_f32 v49, v26, v52
	v_and_b32_e32 v52, 0xffff0000, v58
	s_waitcnt vmcnt(4)
	s_delay_alu instid0(VALU_DEP_2) | instskip(SKIP_2) | instid1(VALU_DEP_1)
	v_dual_fmac_f32 v48, v29, v50 :: v_dual_lshlrev_b32 v51, 16, v59
	s_waitcnt vmcnt(3)
	v_dual_fmac_f32 v49, v28, v53 :: v_dual_lshlrev_b32 v50, 16, v60
	v_dual_fmac_f32 v48, v31, v51 :: v_dual_fmac_f32 v49, v30, v52
	s_delay_alu instid0(VALU_DEP_1) | instskip(SKIP_3) | instid1(VALU_DEP_3)
	v_dual_fmac_f32 v48, v33, v50 :: v_dual_and_b32 v53, 0xffff0000, v59
	s_waitcnt vmcnt(1)
	v_lshlrev_b32_e32 v50, 16, v62
	v_lshlrev_b32_e32 v51, 16, v61
	v_fmac_f32_e32 v49, v32, v53
	s_delay_alu instid0(VALU_DEP_2) | instskip(SKIP_2) | instid1(VALU_DEP_2)
	v_dual_fmac_f32 v48, v35, v51 :: v_dual_and_b32 v53, 0xffff0000, v61
	s_waitcnt vmcnt(0)
	v_lshlrev_b32_e32 v51, 16, v47
	v_dual_fmac_f32 v48, v37, v50 :: v_dual_and_b32 v47, 0xffff0000, v47
	s_delay_alu instid0(VALU_DEP_1) | instskip(SKIP_1) | instid1(VALU_DEP_1)
	v_fmac_f32_e32 v48, v40, v51
	v_and_b32_e32 v52, 0xffff0000, v60
	v_dual_fmac_f32 v49, v34, v52 :: v_dual_and_b32 v52, 0xffff0000, v62
	s_delay_alu instid0(VALU_DEP_1) | instskip(NEXT) | instid1(VALU_DEP_1)
	v_fmac_f32_e32 v49, v36, v53
	v_fmac_f32_e32 v49, v39, v52
	s_delay_alu instid0(VALU_DEP_1) | instskip(NEXT) | instid1(VALU_DEP_1)
	v_fmac_f32_e32 v49, v41, v47
	v_add_f32_e32 v47, v48, v49
	ds_bpermute_b32 v48, v42, v47
	s_waitcnt lgkmcnt(0)
	v_add_f32_e32 v47, v47, v48
	ds_bpermute_b32 v48, v43, v47
	s_and_saveexec_b32 s3, vcc_lo
	s_cbranch_execz .LBB155_9
; %bb.11:                               ;   in Loop: Header=BB155_10 Depth=1
	s_waitcnt lgkmcnt(0)
	v_add_f32_e32 v47, v47, v48
	v_add_nc_u32_e32 v49, s10, v44
	v_cmp_gt_i32_e64 s1, s33, v44
	s_delay_alu instid0(VALU_DEP_2) | instskip(NEXT) | instid1(VALU_DEP_1)
	v_cvt_f32_i32_e32 v49, v49
	v_mul_f32_e32 v49, s12, v49
	s_delay_alu instid0(VALU_DEP_1) | instskip(NEXT) | instid1(VALU_DEP_1)
	v_cndmask_b32_e64 v48, 0, v49, s0
	v_dual_max_f32 v49, v38, v38 :: v_dual_fmac_f32 v48, s13, v47
	s_delay_alu instid0(VALU_DEP_1) | instskip(SKIP_1) | instid1(VALU_DEP_2)
	v_max_f32_e32 v47, v49, v48
	v_cndmask_b32_e64 v48, 0, v48, s1
	v_cndmask_b32_e64 v38, v38, v47, s1
	ds_store_b32 v45, v48
	s_branch .LBB155_9
.LBB155_12:
	s_or_b32 exec_lo, exec_lo, s31
.LBB155_13:
	s_delay_alu instid0(SALU_CYCLE_1)
	s_or_b32 exec_lo, exec_lo, s17
	v_xor_b32_e32 v1, 16, v3
	v_xor_b32_e32 v6, 8, v3
	v_xor_b32_e32 v8, 4, v3
	v_and_b32_e32 v17, 31, v0
	v_max_f32_e32 v7, v38, v38
	v_cmp_lt_i32_e32 vcc_lo, v1, v4
	v_cndmask_b32_e32 v1, v3, v1, vcc_lo
	v_cmp_lt_i32_e32 vcc_lo, v6, v4
	v_cndmask_b32_e32 v6, v3, v6, vcc_lo
	v_cmp_lt_i32_e32 vcc_lo, v8, v4
	s_delay_alu instid0(VALU_DEP_2) | instskip(SKIP_4) | instid1(VALU_DEP_1)
	v_lshlrev_b32_e32 v6, 2, v6
	v_lshlrev_b32_e32 v2, 2, v1
	ds_bpermute_b32 v1, v2, v38
	s_waitcnt lgkmcnt(0)
	v_max_f32_e32 v1, v1, v1
	v_max_f32_e32 v1, v7, v1
	ds_bpermute_b32 v7, v6, v1
	s_waitcnt lgkmcnt(0)
	v_max_f32_e32 v7, v7, v7
	v_cndmask_b32_e32 v8, v3, v8, vcc_lo
	v_cmp_eq_u32_e32 vcc_lo, 0, v17
	s_delay_alu instid0(VALU_DEP_3) | instskip(NEXT) | instid1(VALU_DEP_3)
	v_max_f32_e32 v1, v1, v7
	v_lshlrev_b32_e32 v9, 2, v8
	v_lshlrev_b32_e32 v7, 2, v16
	ds_bpermute_b32 v8, v9, v1
	s_and_saveexec_b32 s0, vcc_lo
	s_cbranch_execz .LBB155_15
; %bb.14:
	s_waitcnt lgkmcnt(0)
	v_dual_max_f32 v8, v8, v8 :: v_dual_max_f32 v1, v1, v1
	s_delay_alu instid0(VALU_DEP_1)
	v_max_f32_e32 v1, v1, v8
	ds_store_b32 v7, v1 offset:240
.LBB155_15:
	s_or_b32 exec_lo, exec_lo, s0
	v_cmp_gt_u32_e64 s0, 4, v17
	s_waitcnt lgkmcnt(0)
	v_dual_mov_b32 v1, 0xff7fffff :: v_dual_lshlrev_b32 v8, 2, v17
	s_barrier
	buffer_gl0_inv
	s_and_saveexec_b32 s1, s0
	s_cbranch_execz .LBB155_17
; %bb.16:
	ds_load_b32 v1, v8 offset:240
.LBB155_17:
	s_or_b32 exec_lo, exec_lo, s1
	v_xor_b32_e32 v10, 2, v3
	v_xor_b32_e32 v12, 1, v3
	s_delay_alu instid0(VALU_DEP_2) | instskip(NEXT) | instid1(VALU_DEP_1)
	v_cmp_lt_i32_e64 s1, v10, v4
	v_cndmask_b32_e64 v10, v3, v10, s1
	s_delay_alu instid0(VALU_DEP_3) | instskip(NEXT) | instid1(VALU_DEP_2)
	v_cmp_lt_i32_e64 s1, v12, v4
	v_lshlrev_b32_e32 v10, 2, v10
	s_delay_alu instid0(VALU_DEP_2)
	v_cndmask_b32_e64 v4, v3, v12, s1
	v_lshlrev_b32_e32 v3, 2, v3
	s_sub_i32 s1, s19, s11
	v_mov_b32_e32 v12, 0
	s_waitcnt lgkmcnt(0)
	ds_bpermute_b32 v11, v10, v1
	v_dual_max_f32 v1, v1, v1 :: v_dual_lshlrev_b32 v4, 2, v4
	s_lshl_b32 s1, s1, 3
	s_delay_alu instid0(SALU_CYCLE_1) | instskip(NEXT) | instid1(SALU_CYCLE_1)
	s_add_i32 s1, s1, s34
	s_min_i32 s1, s1, s33
	s_delay_alu instid0(SALU_CYCLE_1) | instskip(NEXT) | instid1(SALU_CYCLE_1)
	s_sub_i32 s10, s1, s34
	v_cmp_gt_i32_e64 s1, s10, v0
	s_waitcnt lgkmcnt(0)
	v_max_f32_e32 v11, v11, v11
	s_delay_alu instid0(VALU_DEP_1) | instskip(SKIP_3) | instid1(VALU_DEP_1)
	v_max_f32_e32 v1, v1, v11
	ds_bpermute_b32 v11, v4, v1
	s_waitcnt lgkmcnt(0)
	v_max_f32_e32 v11, v11, v11
	v_max_f32_e32 v1, v1, v11
	v_and_b32_e32 v11, 0xffffff80, v3
	v_lshl_add_u32 v3, v0, 2, 0x110
	ds_bpermute_b32 v1, v11, v1
	s_and_saveexec_b32 s11, s1
	s_cbranch_execz .LBB155_21
; %bb.18:
	v_lshl_add_u32 v15, v0, 2, 0x110
	v_mov_b32_e32 v12, 0
	v_mov_b32_e32 v18, v0
	s_mov_b32 s12, 0
	.p2align	6
.LBB155_19:                             ; =>This Inner Loop Header: Depth=1
	ds_load_b32 v19, v15
	v_add_nc_u32_e32 v18, 0x80, v18
	s_delay_alu instid0(VALU_DEP_1) | instskip(NEXT) | instid1(VALU_DEP_1)
	v_cmp_le_i32_e64 s3, s10, v18
	s_or_b32 s12, s3, s12
	s_waitcnt lgkmcnt(0)
	v_sub_f32_e32 v19, v19, v1
	s_delay_alu instid0(VALU_DEP_1) | instskip(NEXT) | instid1(VALU_DEP_1)
	v_mul_f32_e32 v19, 0x3fb8aa3b, v19
	v_exp_f32_e32 v19, v19
	ds_store_b32 v15, v19
	v_add_f32_e32 v12, v12, v19
	v_add_nc_u32_e32 v15, 0x200, v15
	s_and_not1_b32 exec_lo, exec_lo, s12
	s_cbranch_execnz .LBB155_19
; %bb.20:
	s_or_b32 exec_lo, exec_lo, s12
.LBB155_21:
	s_delay_alu instid0(SALU_CYCLE_1)
	s_or_b32 exec_lo, exec_lo, s11
	ds_bpermute_b32 v2, v2, v12
	s_waitcnt lgkmcnt(0)
	v_add_f32_e32 v2, v12, v2
	ds_bpermute_b32 v6, v6, v2
	s_waitcnt lgkmcnt(0)
	v_add_f32_e32 v2, v2, v6
	;; [unrolled: 3-line block ×5, first 2 shown]
	s_and_saveexec_b32 s3, vcc_lo
	s_cbranch_execz .LBB155_23
; %bb.22:
	ds_store_b32 v7, v2 offset:256
.LBB155_23:
	s_or_b32 exec_lo, exec_lo, s3
	s_waitcnt lgkmcnt(0)
	s_barrier
	buffer_gl0_inv
	s_and_saveexec_b32 s3, s0
	s_cbranch_execz .LBB155_25
; %bb.24:
	ds_load_b32 v2, v8 offset:256
.LBB155_25:
	s_or_b32 exec_lo, exec_lo, s3
	s_waitcnt lgkmcnt(0)
	ds_bpermute_b32 v6, v10, v2
	s_waitcnt lgkmcnt(0)
	v_add_f32_e32 v2, v2, v6
	ds_bpermute_b32 v4, v4, v2
	s_waitcnt lgkmcnt(0)
	v_add_f32_e32 v2, v2, v4
	ds_bpermute_b32 v2, v11, v2
	s_and_saveexec_b32 s0, s1
	s_cbranch_execz .LBB155_28
; %bb.26:
	s_waitcnt lgkmcnt(0)
	v_add_f32_e32 v4, 0x358637bd, v2
	s_mov_b32 s1, 0
	s_delay_alu instid0(VALU_DEP_1) | instskip(NEXT) | instid1(VALU_DEP_1)
	v_div_scale_f32 v6, null, v4, v4, 1.0
	v_rcp_f32_e32 v7, v6
	s_waitcnt_depctr 0xfff
	v_fma_f32 v8, -v6, v7, 1.0
	s_delay_alu instid0(VALU_DEP_1) | instskip(SKIP_1) | instid1(VALU_DEP_1)
	v_fmac_f32_e32 v7, v8, v7
	v_div_scale_f32 v9, vcc_lo, 1.0, v4, 1.0
	v_mul_f32_e32 v8, v9, v7
	s_delay_alu instid0(VALU_DEP_1) | instskip(NEXT) | instid1(VALU_DEP_1)
	v_fma_f32 v10, -v6, v8, v9
	v_fmac_f32_e32 v8, v10, v7
	s_delay_alu instid0(VALU_DEP_1) | instskip(NEXT) | instid1(VALU_DEP_1)
	v_fma_f32 v6, -v6, v8, v9
	v_div_fmas_f32 v6, v6, v7, v8
	s_delay_alu instid0(VALU_DEP_1)
	v_div_fixup_f32 v4, v6, v4, 1.0
	v_mov_b32_e32 v6, v0
.LBB155_27:                             ; =>This Inner Loop Header: Depth=1
	ds_load_b32 v7, v3
	s_waitcnt lgkmcnt(0)
	v_dual_mul_f32 v7, v4, v7 :: v_dual_add_nc_u32 v6, 0x80, v6
	s_delay_alu instid0(VALU_DEP_1) | instskip(SKIP_3) | instid1(SALU_CYCLE_1)
	v_cmp_le_i32_e32 vcc_lo, s10, v6
	ds_store_b32 v3, v7
	v_add_nc_u32_e32 v3, 0x200, v3
	s_or_b32 s1, vcc_lo, s1
	s_and_not1_b32 exec_lo, exec_lo, s1
	s_cbranch_execnz .LBB155_27
.LBB155_28:
	s_or_b32 exec_lo, exec_lo, s0
	s_mul_i32 s0, s8, s14
	s_mov_b32 s12, 0
	s_mul_i32 s10, s0, s15
	s_mov_b32 s0, exec_lo
	s_waitcnt lgkmcnt(0)
	s_barrier
	buffer_gl0_inv
	v_cmpx_eq_u32_e32 0, v0
	s_cbranch_execz .LBB155_30
; %bb.29:
	s_ashr_i32 s11, s10, 31
	s_mul_i32 s36, s8, s22
	s_lshl_b64 s[14:15], s[10:11], 2
	v_mov_b32_e32 v3, 0
	s_add_u32 s1, s6, s14
	s_addc_u32 s3, s7, s15
	s_ashr_i32 s37, s36, 31
	s_delay_alu instid0(SALU_CYCLE_1) | instskip(NEXT) | instid1(SALU_CYCLE_1)
	s_lshl_b64 s[6:7], s[36:37], 2
	s_add_u32 s1, s1, s6
	s_addc_u32 s3, s3, s7
	s_ashr_i32 s17, s16, 31
	s_delay_alu instid0(SALU_CYCLE_1) | instskip(NEXT) | instid1(SALU_CYCLE_1)
	s_lshl_b64 s[36:37], s[16:17], 2
	s_add_u32 s38, s1, s36
	s_addc_u32 s39, s3, s37
	s_add_u32 s1, s4, s14
	s_addc_u32 s3, s5, s15
	;; [unrolled: 2-line block ×4, first 2 shown]
	s_clause 0x1
	global_store_b32 v3, v1, s[38:39]
	global_store_b32 v3, v2, s[4:5]
.LBB155_30:
	s_or_b32 exec_lo, exec_lo, s0
	s_mov_b32 s13, s12
	s_mov_b32 s14, s12
	s_mov_b32 s15, s12
	v_dual_mov_b32 v1, s12 :: v_dual_mov_b32 v2, s13
	v_dual_mov_b32 v3, s14 :: v_dual_mov_b32 v4, s15
	s_and_saveexec_b32 s3, s2
	s_cbranch_execz .LBB155_204
; %bb.31:
	v_or_b32_e32 v1, 0x60, v17
	s_ashr_i32 s31, s30, 31
	s_mov_b32 s4, 0
	s_lshl_b64 s[0:1], s[30:31], 1
	s_mov_b32 s5, s4
	v_cmp_gt_u32_e32 vcc_lo, 0x78, v1
	s_mov_b32 s6, s4
	s_mov_b32 s7, s4
	v_lshlrev_b32_e32 v7, 3, v1
	v_lshlrev_b64 v[1:2], 2, v[13:14]
	s_add_u32 s2, s28, s0
	s_addc_u32 s11, s29, s1
	s_lshl_b64 s[0:1], s[26:27], 2
	s_add_i32 s12, s23, -1
	v_lshlrev_b32_e32 v6, 3, v17
	s_add_u32 s0, s24, s0
	s_addc_u32 s1, s25, s1
	v_add_co_u32 v14, s0, s0, v1
	s_delay_alu instid0(VALU_DEP_1)
	v_add_co_ci_u32_e64 v15, s0, s1, v2, s0
	v_mov_b32_e32 v1, s4
	v_add3_u32 v18, s34, v5, 7
	v_lshl_add_u32 v19, v16, 5, 0x110
	v_dual_mov_b32 v2, s5 :: v_dual_mov_b32 v3, s6
	v_mov_b32_e32 v4, s7
	v_lshlrev_b32_e32 v20, 1, v6
	v_lshlrev_b32_e32 v21, 1, v7
	s_mov_b32 s5, s9
	s_branch .LBB155_34
.LBB155_32:                             ;   in Loop: Header=BB155_34 Depth=1
	s_or_b32 exec_lo, exec_lo, s1
	v_and_b32_e32 v10, 0xffff0000, v10
	v_and_b32_e32 v7, 0xffff0000, v7
	s_delay_alu instid0(VALU_DEP_1) | instskip(SKIP_3) | instid1(VALU_DEP_1)
	v_dual_add_f32 v7, v7, v10 :: v_dual_and_b32 v8, 0xffff0000, v8
	v_and_b32_e32 v5, 0xffff0000, v5
	v_and_b32_e32 v6, 0xffff0000, v6
	;; [unrolled: 1-line block ×3, first 2 shown]
	v_dual_add_f32 v5, v5, v11 :: v_dual_and_b32 v12, 0xffff0000, v12
	s_delay_alu instid0(VALU_DEP_1) | instskip(NEXT) | instid1(VALU_DEP_1)
	v_add_f32_e32 v6, v6, v12
	v_dual_add_f32 v5, v5, v6 :: v_dual_and_b32 v6, 0xffff0000, v9
	s_delay_alu instid0(VALU_DEP_1) | instskip(NEXT) | instid1(VALU_DEP_1)
	v_dual_add_f32 v5, v5, v7 :: v_dual_add_f32 v6, v8, v6
	v_add_f32_e32 v5, v5, v6
	s_delay_alu instid0(VALU_DEP_1)
	v_add_f32_e32 v4, v4, v5
.LBB155_33:                             ;   in Loop: Header=BB155_34 Depth=1
	s_or_b32 exec_lo, exec_lo, s6
	v_add_nc_u32_e32 v13, 4, v13
	v_add_co_u32 v14, s1, v14, 16
	v_add_nc_u32_e32 v18, 32, v18
	v_add_nc_u32_e32 v19, 0x80, v19
	s_delay_alu instid0(VALU_DEP_4) | instskip(SKIP_1) | instid1(VALU_DEP_2)
	v_cmp_le_i32_e64 s0, s19, v13
	v_add_co_ci_u32_e64 v15, s1, 0, v15, s1
	s_or_b32 s4, s0, s4
	s_delay_alu instid0(SALU_CYCLE_1)
	s_and_not1_b32 exec_lo, exec_lo, s4
	s_cbranch_execz .LBB155_203
.LBB155_34:                             ; =>This Inner Loop Header: Depth=1
	global_load_b32 v22, v[14:15], off
	ds_load_2addr_b64 v[9:12], v19 offset1:1
	ds_load_2addr_b64 v[5:8], v19 offset0:2 offset1:3
	s_waitcnt lgkmcnt(1)
	v_and_b32_e32 v23, 0x7f800000, v9
	s_delay_alu instid0(VALU_DEP_1) | instskip(NEXT) | instid1(VALU_DEP_1)
	v_cmp_ne_u32_e64 s0, 0x7f800000, v23
                                        ; implicit-def: $vgpr23
	s_and_saveexec_b32 s1, s0
	s_delay_alu instid0(SALU_CYCLE_1)
	s_xor_b32 s0, exec_lo, s1
; %bb.35:                               ;   in Loop: Header=BB155_34 Depth=1
	v_bfe_u32 v23, v9, 16, 1
	s_delay_alu instid0(VALU_DEP_1)
	v_add3_u32 v23, v9, v23, 0x7fff
; %bb.36:                               ;   in Loop: Header=BB155_34 Depth=1
	s_and_not1_saveexec_b32 s1, s0
; %bb.37:                               ;   in Loop: Header=BB155_34 Depth=1
	v_and_b32_e32 v23, 0xffff, v9
	v_or_b32_e32 v24, 0x10000, v9
	s_delay_alu instid0(VALU_DEP_2) | instskip(NEXT) | instid1(VALU_DEP_1)
	v_cmp_eq_u32_e64 s0, 0, v23
	v_cndmask_b32_e64 v23, v24, v9, s0
; %bb.38:                               ;   in Loop: Header=BB155_34 Depth=1
	s_or_b32 exec_lo, exec_lo, s1
	v_and_b32_e32 v9, 0x7f800000, v10
                                        ; implicit-def: $vgpr24
	s_delay_alu instid0(VALU_DEP_1) | instskip(NEXT) | instid1(VALU_DEP_1)
	v_cmp_ne_u32_e64 s0, 0x7f800000, v9
	s_and_saveexec_b32 s1, s0
	s_delay_alu instid0(SALU_CYCLE_1)
	s_xor_b32 s0, exec_lo, s1
; %bb.39:                               ;   in Loop: Header=BB155_34 Depth=1
	v_bfe_u32 v9, v10, 16, 1
	s_delay_alu instid0(VALU_DEP_1)
	v_add3_u32 v24, v10, v9, 0x7fff
; %bb.40:                               ;   in Loop: Header=BB155_34 Depth=1
	s_and_not1_saveexec_b32 s1, s0
; %bb.41:                               ;   in Loop: Header=BB155_34 Depth=1
	v_and_b32_e32 v9, 0xffff, v10
	v_or_b32_e32 v24, 0x10000, v10
	s_delay_alu instid0(VALU_DEP_2) | instskip(NEXT) | instid1(VALU_DEP_1)
	v_cmp_eq_u32_e64 s0, 0, v9
	v_cndmask_b32_e64 v24, v24, v10, s0
; %bb.42:                               ;   in Loop: Header=BB155_34 Depth=1
	s_or_b32 exec_lo, exec_lo, s1
	v_and_b32_e32 v9, 0x7f800000, v11
                                        ; implicit-def: $vgpr25
	s_delay_alu instid0(VALU_DEP_1) | instskip(NEXT) | instid1(VALU_DEP_1)
	v_cmp_ne_u32_e64 s0, 0x7f800000, v9
	s_and_saveexec_b32 s1, s0
	s_delay_alu instid0(SALU_CYCLE_1)
	s_xor_b32 s0, exec_lo, s1
; %bb.43:                               ;   in Loop: Header=BB155_34 Depth=1
	v_bfe_u32 v9, v11, 16, 1
	s_delay_alu instid0(VALU_DEP_1)
	v_add3_u32 v25, v11, v9, 0x7fff
; %bb.44:                               ;   in Loop: Header=BB155_34 Depth=1
	s_and_not1_saveexec_b32 s1, s0
; %bb.45:                               ;   in Loop: Header=BB155_34 Depth=1
	v_and_b32_e32 v9, 0xffff, v11
	v_or_b32_e32 v10, 0x10000, v11
	s_delay_alu instid0(VALU_DEP_2) | instskip(NEXT) | instid1(VALU_DEP_1)
	v_cmp_eq_u32_e64 s0, 0, v9
	v_cndmask_b32_e64 v25, v10, v11, s0
; %bb.46:                               ;   in Loop: Header=BB155_34 Depth=1
	s_or_b32 exec_lo, exec_lo, s1
	v_and_b32_e32 v9, 0x7f800000, v12
                                        ; implicit-def: $vgpr26
	s_delay_alu instid0(VALU_DEP_1) | instskip(NEXT) | instid1(VALU_DEP_1)
	v_cmp_ne_u32_e64 s0, 0x7f800000, v9
	s_and_saveexec_b32 s1, s0
	s_delay_alu instid0(SALU_CYCLE_1)
	s_xor_b32 s0, exec_lo, s1
; %bb.47:                               ;   in Loop: Header=BB155_34 Depth=1
	v_bfe_u32 v9, v12, 16, 1
	s_delay_alu instid0(VALU_DEP_1)
	v_add3_u32 v26, v12, v9, 0x7fff
                                        ; implicit-def: $vgpr9_vgpr10_vgpr11_vgpr12
; %bb.48:                               ;   in Loop: Header=BB155_34 Depth=1
	s_and_not1_saveexec_b32 s1, s0
; %bb.49:                               ;   in Loop: Header=BB155_34 Depth=1
	v_and_b32_e32 v9, 0xffff, v12
	v_or_b32_e32 v10, 0x10000, v12
	s_delay_alu instid0(VALU_DEP_2) | instskip(NEXT) | instid1(VALU_DEP_1)
	v_cmp_eq_u32_e64 s0, 0, v9
	v_cndmask_b32_e64 v26, v10, v12, s0
; %bb.50:                               ;   in Loop: Header=BB155_34 Depth=1
	s_or_b32 exec_lo, exec_lo, s1
	s_waitcnt lgkmcnt(0)
	v_and_b32_e32 v9, 0x7f800000, v5
                                        ; implicit-def: $vgpr27
	s_delay_alu instid0(VALU_DEP_1) | instskip(NEXT) | instid1(VALU_DEP_1)
	v_cmp_ne_u32_e64 s0, 0x7f800000, v9
	s_and_saveexec_b32 s1, s0
	s_delay_alu instid0(SALU_CYCLE_1)
	s_xor_b32 s0, exec_lo, s1
; %bb.51:                               ;   in Loop: Header=BB155_34 Depth=1
	v_bfe_u32 v9, v5, 16, 1
	s_delay_alu instid0(VALU_DEP_1)
	v_add3_u32 v27, v5, v9, 0x7fff
; %bb.52:                               ;   in Loop: Header=BB155_34 Depth=1
	s_and_not1_saveexec_b32 s1, s0
; %bb.53:                               ;   in Loop: Header=BB155_34 Depth=1
	v_and_b32_e32 v9, 0xffff, v5
	v_or_b32_e32 v10, 0x10000, v5
	s_delay_alu instid0(VALU_DEP_2) | instskip(NEXT) | instid1(VALU_DEP_1)
	v_cmp_eq_u32_e64 s0, 0, v9
	v_cndmask_b32_e64 v27, v10, v5, s0
; %bb.54:                               ;   in Loop: Header=BB155_34 Depth=1
	s_or_b32 exec_lo, exec_lo, s1
	v_and_b32_e32 v5, 0x7f800000, v6
                                        ; implicit-def: $vgpr28
	s_delay_alu instid0(VALU_DEP_1) | instskip(NEXT) | instid1(VALU_DEP_1)
	v_cmp_ne_u32_e64 s0, 0x7f800000, v5
	s_and_saveexec_b32 s1, s0
	s_delay_alu instid0(SALU_CYCLE_1)
	s_xor_b32 s0, exec_lo, s1
; %bb.55:                               ;   in Loop: Header=BB155_34 Depth=1
	v_bfe_u32 v5, v6, 16, 1
	s_delay_alu instid0(VALU_DEP_1)
	v_add3_u32 v28, v6, v5, 0x7fff
; %bb.56:                               ;   in Loop: Header=BB155_34 Depth=1
	s_and_not1_saveexec_b32 s1, s0
; %bb.57:                               ;   in Loop: Header=BB155_34 Depth=1
	v_and_b32_e32 v5, 0xffff, v6
	v_or_b32_e32 v9, 0x10000, v6
	s_delay_alu instid0(VALU_DEP_2) | instskip(NEXT) | instid1(VALU_DEP_1)
	v_cmp_eq_u32_e64 s0, 0, v5
	v_cndmask_b32_e64 v28, v9, v6, s0
; %bb.58:                               ;   in Loop: Header=BB155_34 Depth=1
	s_or_b32 exec_lo, exec_lo, s1
	v_and_b32_e32 v5, 0x7f800000, v7
                                        ; implicit-def: $vgpr29
	s_delay_alu instid0(VALU_DEP_1) | instskip(NEXT) | instid1(VALU_DEP_1)
	v_cmp_ne_u32_e64 s0, 0x7f800000, v5
	s_and_saveexec_b32 s1, s0
	s_delay_alu instid0(SALU_CYCLE_1)
	s_xor_b32 s0, exec_lo, s1
; %bb.59:                               ;   in Loop: Header=BB155_34 Depth=1
	v_bfe_u32 v5, v7, 16, 1
	s_delay_alu instid0(VALU_DEP_1)
	v_add3_u32 v29, v7, v5, 0x7fff
; %bb.60:                               ;   in Loop: Header=BB155_34 Depth=1
	s_and_not1_saveexec_b32 s1, s0
; %bb.61:                               ;   in Loop: Header=BB155_34 Depth=1
	v_and_b32_e32 v5, 0xffff, v7
	v_or_b32_e32 v6, 0x10000, v7
	s_delay_alu instid0(VALU_DEP_2) | instskip(NEXT) | instid1(VALU_DEP_1)
	v_cmp_eq_u32_e64 s0, 0, v5
	v_cndmask_b32_e64 v29, v6, v7, s0
; %bb.62:                               ;   in Loop: Header=BB155_34 Depth=1
	s_or_b32 exec_lo, exec_lo, s1
	v_and_b32_e32 v5, 0x7f800000, v8
                                        ; implicit-def: $vgpr30
	s_delay_alu instid0(VALU_DEP_1) | instskip(NEXT) | instid1(VALU_DEP_1)
	v_cmp_ne_u32_e64 s0, 0x7f800000, v5
	s_and_saveexec_b32 s1, s0
	s_delay_alu instid0(SALU_CYCLE_1)
	s_xor_b32 s0, exec_lo, s1
; %bb.63:                               ;   in Loop: Header=BB155_34 Depth=1
	v_bfe_u32 v5, v8, 16, 1
	s_delay_alu instid0(VALU_DEP_1)
	v_add3_u32 v30, v8, v5, 0x7fff
                                        ; implicit-def: $vgpr5_vgpr6_vgpr7_vgpr8
; %bb.64:                               ;   in Loop: Header=BB155_34 Depth=1
	s_and_not1_saveexec_b32 s1, s0
; %bb.65:                               ;   in Loop: Header=BB155_34 Depth=1
	v_and_b32_e32 v5, 0xffff, v8
	v_or_b32_e32 v6, 0x10000, v8
	s_delay_alu instid0(VALU_DEP_2) | instskip(NEXT) | instid1(VALU_DEP_1)
	v_cmp_eq_u32_e64 s0, 0, v5
	v_cndmask_b32_e64 v30, v6, v8, s0
; %bb.66:                               ;   in Loop: Header=BB155_34 Depth=1
	s_or_b32 exec_lo, exec_lo, s1
	s_waitcnt vmcnt(0)
	v_mad_i64_i32 v[5:6], null, v22, s5, 0
	v_add_nc_u32_e32 v11, -7, v18
	s_delay_alu instid0(VALU_DEP_2) | instskip(NEXT) | instid1(VALU_DEP_1)
	v_lshlrev_b64 v[5:6], 1, v[5:6]
	v_add_co_u32 v12, s0, s2, v5
	s_delay_alu instid0(VALU_DEP_1) | instskip(NEXT) | instid1(VALU_DEP_2)
	v_add_co_ci_u32_e64 v22, s0, s11, v6, s0
	v_add_co_u32 v9, s0, v12, v20
	s_delay_alu instid0(VALU_DEP_1)
	v_add_co_ci_u32_e64 v10, s0, 0, v22, s0
	v_cmp_eq_u32_e64 s0, s12, v13
	global_load_b128 v[5:8], v[9:10], off
	s_waitcnt vmcnt(0)
	v_lshrrev_b32_e32 v32, 16, v5
	v_lshrrev_b32_e32 v34, 16, v6
	;; [unrolled: 1-line block ×4, first 2 shown]
	s_and_saveexec_b32 s6, s0
	s_cbranch_execz .LBB155_68
; %bb.67:                               ;   in Loop: Header=BB155_34 Depth=1
	v_add_nc_u32_e32 v31, -6, v18
	v_cmp_gt_i32_e64 s1, s33, v11
	v_add_nc_u32_e32 v33, -5, v18
	v_add_nc_u32_e32 v35, -2, v18
	s_delay_alu instid0(VALU_DEP_3) | instskip(SKIP_2) | instid1(VALU_DEP_2)
	v_cndmask_b32_e64 v5, 0, v5, s1
	v_cmp_gt_i32_e64 s1, s33, v31
	v_add_nc_u32_e32 v31, -4, v18
	v_cndmask_b32_e64 v32, 0, v32, s1
	v_cmp_gt_i32_e64 s1, s33, v33
	v_add_nc_u32_e32 v33, -3, v18
	s_delay_alu instid0(VALU_DEP_2) | instskip(SKIP_2) | instid1(VALU_DEP_2)
	v_cndmask_b32_e64 v6, 0, v6, s1
	v_cmp_gt_i32_e64 s1, s33, v31
	v_add_nc_u32_e32 v31, -1, v18
	v_cndmask_b32_e64 v34, 0, v34, s1
	v_cmp_gt_i32_e64 s1, s33, v33
	s_delay_alu instid0(VALU_DEP_1) | instskip(SKIP_1) | instid1(VALU_DEP_1)
	v_cndmask_b32_e64 v7, 0, v7, s1
	v_cmp_gt_i32_e64 s1, s33, v35
	v_cndmask_b32_e64 v36, 0, v36, s1
	v_cmp_gt_i32_e64 s1, s33, v31
	s_delay_alu instid0(VALU_DEP_1) | instskip(SKIP_1) | instid1(VALU_DEP_1)
	v_cndmask_b32_e64 v8, 0, v8, s1
	v_cmp_gt_i32_e64 s1, s33, v18
	v_cndmask_b32_e64 v38, 0, v38, s1
.LBB155_68:                             ;   in Loop: Header=BB155_34 Depth=1
	s_or_b32 exec_lo, exec_lo, s6
	v_and_b32_e32 v23, 0xffff0000, v23
	v_lshlrev_b32_e32 v5, 16, v5
	s_delay_alu instid0(VALU_DEP_1) | instskip(NEXT) | instid1(VALU_DEP_1)
	v_mul_f32_e32 v5, v23, v5
	v_and_b32_e32 v31, 0x7f800000, v5
	s_delay_alu instid0(VALU_DEP_1) | instskip(NEXT) | instid1(VALU_DEP_1)
	v_cmp_ne_u32_e64 s1, 0x7f800000, v31
                                        ; implicit-def: $vgpr31
	s_and_saveexec_b32 s6, s1
	s_delay_alu instid0(SALU_CYCLE_1)
	s_xor_b32 s1, exec_lo, s6
; %bb.69:                               ;   in Loop: Header=BB155_34 Depth=1
	v_bfe_u32 v31, v5, 16, 1
	s_delay_alu instid0(VALU_DEP_1)
	v_add3_u32 v31, v5, v31, 0x7fff
                                        ; implicit-def: $vgpr5
; %bb.70:                               ;   in Loop: Header=BB155_34 Depth=1
	s_and_not1_saveexec_b32 s6, s1
; %bb.71:                               ;   in Loop: Header=BB155_34 Depth=1
	v_and_b32_e32 v31, 0xffff, v5
	v_or_b32_e32 v33, 0x10000, v5
	s_delay_alu instid0(VALU_DEP_2) | instskip(NEXT) | instid1(VALU_DEP_1)
	v_cmp_eq_u32_e64 s1, 0, v31
	v_cndmask_b32_e64 v31, v33, v5, s1
; %bb.72:                               ;   in Loop: Header=BB155_34 Depth=1
	s_or_b32 exec_lo, exec_lo, s6
	v_and_b32_e32 v24, 0xffff0000, v24
	v_lshlrev_b32_e32 v5, 16, v32
	s_delay_alu instid0(VALU_DEP_1) | instskip(NEXT) | instid1(VALU_DEP_1)
	v_mul_f32_e32 v5, v24, v5
	v_and_b32_e32 v32, 0x7f800000, v5
	s_delay_alu instid0(VALU_DEP_1) | instskip(NEXT) | instid1(VALU_DEP_1)
	v_cmp_ne_u32_e64 s1, 0x7f800000, v32
                                        ; implicit-def: $vgpr32
	s_and_saveexec_b32 s6, s1
	s_delay_alu instid0(SALU_CYCLE_1)
	s_xor_b32 s1, exec_lo, s6
; %bb.73:                               ;   in Loop: Header=BB155_34 Depth=1
	v_bfe_u32 v32, v5, 16, 1
	s_delay_alu instid0(VALU_DEP_1)
	v_add3_u32 v32, v5, v32, 0x7fff
                                        ; implicit-def: $vgpr5
; %bb.74:                               ;   in Loop: Header=BB155_34 Depth=1
	s_and_not1_saveexec_b32 s6, s1
; %bb.75:                               ;   in Loop: Header=BB155_34 Depth=1
	v_and_b32_e32 v32, 0xffff, v5
	v_or_b32_e32 v33, 0x10000, v5
	s_delay_alu instid0(VALU_DEP_2) | instskip(NEXT) | instid1(VALU_DEP_1)
	v_cmp_eq_u32_e64 s1, 0, v32
	v_cndmask_b32_e64 v32, v33, v5, s1
; %bb.76:                               ;   in Loop: Header=BB155_34 Depth=1
	s_or_b32 exec_lo, exec_lo, s6
	v_and_b32_e32 v25, 0xffff0000, v25
	v_lshlrev_b32_e32 v5, 16, v6
                                        ; implicit-def: $vgpr33
	s_delay_alu instid0(VALU_DEP_1) | instskip(NEXT) | instid1(VALU_DEP_1)
	v_mul_f32_e32 v5, v25, v5
	v_and_b32_e32 v6, 0x7f800000, v5
	s_delay_alu instid0(VALU_DEP_1) | instskip(NEXT) | instid1(VALU_DEP_1)
	v_cmp_ne_u32_e64 s1, 0x7f800000, v6
	s_and_saveexec_b32 s6, s1
	s_delay_alu instid0(SALU_CYCLE_1)
	s_xor_b32 s1, exec_lo, s6
; %bb.77:                               ;   in Loop: Header=BB155_34 Depth=1
	v_bfe_u32 v6, v5, 16, 1
	s_delay_alu instid0(VALU_DEP_1)
	v_add3_u32 v33, v5, v6, 0x7fff
                                        ; implicit-def: $vgpr5
; %bb.78:                               ;   in Loop: Header=BB155_34 Depth=1
	s_and_not1_saveexec_b32 s6, s1
; %bb.79:                               ;   in Loop: Header=BB155_34 Depth=1
	v_and_b32_e32 v6, 0xffff, v5
	v_or_b32_e32 v33, 0x10000, v5
	s_delay_alu instid0(VALU_DEP_2) | instskip(NEXT) | instid1(VALU_DEP_1)
	v_cmp_eq_u32_e64 s1, 0, v6
	v_cndmask_b32_e64 v33, v33, v5, s1
; %bb.80:                               ;   in Loop: Header=BB155_34 Depth=1
	s_or_b32 exec_lo, exec_lo, s6
	v_and_b32_e32 v26, 0xffff0000, v26
	v_lshlrev_b32_e32 v5, 16, v34
                                        ; implicit-def: $vgpr34
	s_delay_alu instid0(VALU_DEP_1) | instskip(NEXT) | instid1(VALU_DEP_1)
	v_mul_f32_e32 v5, v26, v5
	v_and_b32_e32 v6, 0x7f800000, v5
	s_delay_alu instid0(VALU_DEP_1) | instskip(NEXT) | instid1(VALU_DEP_1)
	v_cmp_ne_u32_e64 s1, 0x7f800000, v6
	s_and_saveexec_b32 s6, s1
	s_delay_alu instid0(SALU_CYCLE_1)
	s_xor_b32 s1, exec_lo, s6
; %bb.81:                               ;   in Loop: Header=BB155_34 Depth=1
	v_bfe_u32 v6, v5, 16, 1
	s_delay_alu instid0(VALU_DEP_1)
	v_add3_u32 v34, v5, v6, 0x7fff
                                        ; implicit-def: $vgpr5
; %bb.82:                               ;   in Loop: Header=BB155_34 Depth=1
	s_and_not1_saveexec_b32 s6, s1
; %bb.83:                               ;   in Loop: Header=BB155_34 Depth=1
	v_and_b32_e32 v6, 0xffff, v5
	v_or_b32_e32 v34, 0x10000, v5
	s_delay_alu instid0(VALU_DEP_2) | instskip(NEXT) | instid1(VALU_DEP_1)
	v_cmp_eq_u32_e64 s1, 0, v6
	v_cndmask_b32_e64 v34, v34, v5, s1
; %bb.84:                               ;   in Loop: Header=BB155_34 Depth=1
	s_or_b32 exec_lo, exec_lo, s6
	v_and_b32_e32 v27, 0xffff0000, v27
	v_lshlrev_b32_e32 v5, 16, v7
                                        ; implicit-def: $vgpr35
	s_delay_alu instid0(VALU_DEP_1) | instskip(NEXT) | instid1(VALU_DEP_1)
	v_mul_f32_e32 v5, v27, v5
	v_and_b32_e32 v6, 0x7f800000, v5
	s_delay_alu instid0(VALU_DEP_1) | instskip(NEXT) | instid1(VALU_DEP_1)
	v_cmp_ne_u32_e64 s1, 0x7f800000, v6
	s_and_saveexec_b32 s6, s1
	s_delay_alu instid0(SALU_CYCLE_1)
	s_xor_b32 s1, exec_lo, s6
; %bb.85:                               ;   in Loop: Header=BB155_34 Depth=1
	v_bfe_u32 v6, v5, 16, 1
	s_delay_alu instid0(VALU_DEP_1)
	v_add3_u32 v35, v5, v6, 0x7fff
                                        ; implicit-def: $vgpr5
; %bb.86:                               ;   in Loop: Header=BB155_34 Depth=1
	s_and_not1_saveexec_b32 s6, s1
; %bb.87:                               ;   in Loop: Header=BB155_34 Depth=1
	v_and_b32_e32 v6, 0xffff, v5
	v_or_b32_e32 v7, 0x10000, v5
	s_delay_alu instid0(VALU_DEP_2) | instskip(NEXT) | instid1(VALU_DEP_1)
	v_cmp_eq_u32_e64 s1, 0, v6
	v_cndmask_b32_e64 v35, v7, v5, s1
; %bb.88:                               ;   in Loop: Header=BB155_34 Depth=1
	s_or_b32 exec_lo, exec_lo, s6
	v_and_b32_e32 v28, 0xffff0000, v28
	v_lshlrev_b32_e32 v5, 16, v36
                                        ; implicit-def: $vgpr36
	s_delay_alu instid0(VALU_DEP_1) | instskip(NEXT) | instid1(VALU_DEP_1)
	v_mul_f32_e32 v5, v28, v5
	v_and_b32_e32 v6, 0x7f800000, v5
	s_delay_alu instid0(VALU_DEP_1) | instskip(NEXT) | instid1(VALU_DEP_1)
	v_cmp_ne_u32_e64 s1, 0x7f800000, v6
	s_and_saveexec_b32 s6, s1
	s_delay_alu instid0(SALU_CYCLE_1)
	s_xor_b32 s1, exec_lo, s6
; %bb.89:                               ;   in Loop: Header=BB155_34 Depth=1
	v_bfe_u32 v6, v5, 16, 1
	s_delay_alu instid0(VALU_DEP_1)
	v_add3_u32 v36, v5, v6, 0x7fff
                                        ; implicit-def: $vgpr5
; %bb.90:                               ;   in Loop: Header=BB155_34 Depth=1
	s_and_not1_saveexec_b32 s6, s1
; %bb.91:                               ;   in Loop: Header=BB155_34 Depth=1
	v_and_b32_e32 v6, 0xffff, v5
	v_or_b32_e32 v7, 0x10000, v5
	s_delay_alu instid0(VALU_DEP_2) | instskip(NEXT) | instid1(VALU_DEP_1)
	v_cmp_eq_u32_e64 s1, 0, v6
	v_cndmask_b32_e64 v36, v7, v5, s1
; %bb.92:                               ;   in Loop: Header=BB155_34 Depth=1
	s_or_b32 exec_lo, exec_lo, s6
	v_and_b32_e32 v29, 0xffff0000, v29
	v_lshlrev_b32_e32 v5, 16, v8
                                        ; implicit-def: $vgpr37
	s_delay_alu instid0(VALU_DEP_1) | instskip(NEXT) | instid1(VALU_DEP_1)
	v_mul_f32_e32 v5, v29, v5
	v_and_b32_e32 v6, 0x7f800000, v5
	s_delay_alu instid0(VALU_DEP_1) | instskip(NEXT) | instid1(VALU_DEP_1)
	v_cmp_ne_u32_e64 s1, 0x7f800000, v6
	s_and_saveexec_b32 s6, s1
	s_delay_alu instid0(SALU_CYCLE_1)
	s_xor_b32 s1, exec_lo, s6
; %bb.93:                               ;   in Loop: Header=BB155_34 Depth=1
	v_bfe_u32 v6, v5, 16, 1
	s_delay_alu instid0(VALU_DEP_1)
	v_add3_u32 v37, v5, v6, 0x7fff
                                        ; implicit-def: $vgpr5
; %bb.94:                               ;   in Loop: Header=BB155_34 Depth=1
	s_and_not1_saveexec_b32 s6, s1
; %bb.95:                               ;   in Loop: Header=BB155_34 Depth=1
	v_and_b32_e32 v6, 0xffff, v5
	v_or_b32_e32 v7, 0x10000, v5
	s_delay_alu instid0(VALU_DEP_2) | instskip(NEXT) | instid1(VALU_DEP_1)
	v_cmp_eq_u32_e64 s1, 0, v6
	v_cndmask_b32_e64 v37, v7, v5, s1
; %bb.96:                               ;   in Loop: Header=BB155_34 Depth=1
	s_or_b32 exec_lo, exec_lo, s6
	v_and_b32_e32 v30, 0xffff0000, v30
	v_lshlrev_b32_e32 v5, 16, v38
                                        ; implicit-def: $vgpr38
	s_delay_alu instid0(VALU_DEP_1) | instskip(NEXT) | instid1(VALU_DEP_1)
	v_mul_f32_e32 v5, v30, v5
	v_and_b32_e32 v6, 0x7f800000, v5
	s_delay_alu instid0(VALU_DEP_1) | instskip(NEXT) | instid1(VALU_DEP_1)
	v_cmp_ne_u32_e64 s1, 0x7f800000, v6
	s_and_saveexec_b32 s6, s1
	s_delay_alu instid0(SALU_CYCLE_1)
	s_xor_b32 s1, exec_lo, s6
; %bb.97:                               ;   in Loop: Header=BB155_34 Depth=1
	v_bfe_u32 v6, v5, 16, 1
	s_delay_alu instid0(VALU_DEP_1)
	v_add3_u32 v38, v5, v6, 0x7fff
                                        ; implicit-def: $vgpr5
; %bb.98:                               ;   in Loop: Header=BB155_34 Depth=1
	s_and_not1_saveexec_b32 s6, s1
; %bb.99:                               ;   in Loop: Header=BB155_34 Depth=1
	v_and_b32_e32 v6, 0xffff, v5
	v_or_b32_e32 v7, 0x10000, v5
	s_delay_alu instid0(VALU_DEP_2) | instskip(NEXT) | instid1(VALU_DEP_1)
	v_cmp_eq_u32_e64 s1, 0, v6
	v_cndmask_b32_e64 v38, v7, v5, s1
; %bb.100:                              ;   in Loop: Header=BB155_34 Depth=1
	s_or_b32 exec_lo, exec_lo, s6
	global_load_b128 v[5:8], v[9:10], off offset:512
	s_waitcnt vmcnt(0)
	v_lshrrev_b32_e32 v40, 16, v5
	v_lshrrev_b32_e32 v42, 16, v6
	;; [unrolled: 1-line block ×4, first 2 shown]
	s_and_saveexec_b32 s6, s0
	s_cbranch_execz .LBB155_102
; %bb.101:                              ;   in Loop: Header=BB155_34 Depth=1
	v_add_nc_u32_e32 v39, -6, v18
	v_cmp_gt_i32_e64 s1, s33, v11
	v_add_nc_u32_e32 v41, -5, v18
	v_add_nc_u32_e32 v43, -2, v18
	s_delay_alu instid0(VALU_DEP_3) | instskip(SKIP_2) | instid1(VALU_DEP_2)
	v_cndmask_b32_e64 v5, 0, v5, s1
	v_cmp_gt_i32_e64 s1, s33, v39
	v_add_nc_u32_e32 v39, -4, v18
	v_cndmask_b32_e64 v40, 0, v40, s1
	v_cmp_gt_i32_e64 s1, s33, v41
	v_add_nc_u32_e32 v41, -3, v18
	s_delay_alu instid0(VALU_DEP_2) | instskip(SKIP_2) | instid1(VALU_DEP_2)
	v_cndmask_b32_e64 v6, 0, v6, s1
	v_cmp_gt_i32_e64 s1, s33, v39
	v_add_nc_u32_e32 v39, -1, v18
	v_cndmask_b32_e64 v42, 0, v42, s1
	v_cmp_gt_i32_e64 s1, s33, v41
	s_delay_alu instid0(VALU_DEP_1) | instskip(SKIP_1) | instid1(VALU_DEP_1)
	v_cndmask_b32_e64 v7, 0, v7, s1
	v_cmp_gt_i32_e64 s1, s33, v43
	v_cndmask_b32_e64 v44, 0, v44, s1
	v_cmp_gt_i32_e64 s1, s33, v39
	s_delay_alu instid0(VALU_DEP_1) | instskip(SKIP_1) | instid1(VALU_DEP_1)
	v_cndmask_b32_e64 v8, 0, v8, s1
	v_cmp_gt_i32_e64 s1, s33, v18
	v_cndmask_b32_e64 v46, 0, v46, s1
.LBB155_102:                            ;   in Loop: Header=BB155_34 Depth=1
	s_or_b32 exec_lo, exec_lo, s6
	v_lshlrev_b32_e32 v5, 16, v5
	s_delay_alu instid0(VALU_DEP_1) | instskip(NEXT) | instid1(VALU_DEP_1)
	v_mul_f32_e32 v5, v23, v5
	v_and_b32_e32 v39, 0x7f800000, v5
	s_delay_alu instid0(VALU_DEP_1) | instskip(NEXT) | instid1(VALU_DEP_1)
	v_cmp_ne_u32_e64 s1, 0x7f800000, v39
                                        ; implicit-def: $vgpr39
	s_and_saveexec_b32 s6, s1
	s_delay_alu instid0(SALU_CYCLE_1)
	s_xor_b32 s1, exec_lo, s6
; %bb.103:                              ;   in Loop: Header=BB155_34 Depth=1
	v_bfe_u32 v39, v5, 16, 1
	s_delay_alu instid0(VALU_DEP_1)
	v_add3_u32 v39, v5, v39, 0x7fff
                                        ; implicit-def: $vgpr5
; %bb.104:                              ;   in Loop: Header=BB155_34 Depth=1
	s_and_not1_saveexec_b32 s6, s1
; %bb.105:                              ;   in Loop: Header=BB155_34 Depth=1
	v_and_b32_e32 v39, 0xffff, v5
	v_or_b32_e32 v41, 0x10000, v5
	s_delay_alu instid0(VALU_DEP_2) | instskip(NEXT) | instid1(VALU_DEP_1)
	v_cmp_eq_u32_e64 s1, 0, v39
	v_cndmask_b32_e64 v39, v41, v5, s1
; %bb.106:                              ;   in Loop: Header=BB155_34 Depth=1
	s_or_b32 exec_lo, exec_lo, s6
	v_lshlrev_b32_e32 v5, 16, v40
	s_delay_alu instid0(VALU_DEP_1) | instskip(NEXT) | instid1(VALU_DEP_1)
	v_mul_f32_e32 v5, v24, v5
	v_and_b32_e32 v40, 0x7f800000, v5
	s_delay_alu instid0(VALU_DEP_1) | instskip(NEXT) | instid1(VALU_DEP_1)
	v_cmp_ne_u32_e64 s1, 0x7f800000, v40
                                        ; implicit-def: $vgpr40
	s_and_saveexec_b32 s6, s1
	s_delay_alu instid0(SALU_CYCLE_1)
	s_xor_b32 s1, exec_lo, s6
; %bb.107:                              ;   in Loop: Header=BB155_34 Depth=1
	v_bfe_u32 v40, v5, 16, 1
	s_delay_alu instid0(VALU_DEP_1)
	v_add3_u32 v40, v5, v40, 0x7fff
                                        ; implicit-def: $vgpr5
; %bb.108:                              ;   in Loop: Header=BB155_34 Depth=1
	s_and_not1_saveexec_b32 s6, s1
; %bb.109:                              ;   in Loop: Header=BB155_34 Depth=1
	v_and_b32_e32 v40, 0xffff, v5
	v_or_b32_e32 v41, 0x10000, v5
	s_delay_alu instid0(VALU_DEP_2) | instskip(NEXT) | instid1(VALU_DEP_1)
	v_cmp_eq_u32_e64 s1, 0, v40
	v_cndmask_b32_e64 v40, v41, v5, s1
; %bb.110:                              ;   in Loop: Header=BB155_34 Depth=1
	s_or_b32 exec_lo, exec_lo, s6
	v_lshlrev_b32_e32 v5, 16, v6
                                        ; implicit-def: $vgpr41
	s_delay_alu instid0(VALU_DEP_1) | instskip(NEXT) | instid1(VALU_DEP_1)
	v_mul_f32_e32 v5, v25, v5
	v_and_b32_e32 v6, 0x7f800000, v5
	s_delay_alu instid0(VALU_DEP_1) | instskip(NEXT) | instid1(VALU_DEP_1)
	v_cmp_ne_u32_e64 s1, 0x7f800000, v6
	s_and_saveexec_b32 s6, s1
	s_delay_alu instid0(SALU_CYCLE_1)
	s_xor_b32 s1, exec_lo, s6
; %bb.111:                              ;   in Loop: Header=BB155_34 Depth=1
	v_bfe_u32 v6, v5, 16, 1
	s_delay_alu instid0(VALU_DEP_1)
	v_add3_u32 v41, v5, v6, 0x7fff
                                        ; implicit-def: $vgpr5
; %bb.112:                              ;   in Loop: Header=BB155_34 Depth=1
	s_and_not1_saveexec_b32 s6, s1
; %bb.113:                              ;   in Loop: Header=BB155_34 Depth=1
	v_and_b32_e32 v6, 0xffff, v5
	v_or_b32_e32 v41, 0x10000, v5
	s_delay_alu instid0(VALU_DEP_2) | instskip(NEXT) | instid1(VALU_DEP_1)
	v_cmp_eq_u32_e64 s1, 0, v6
	v_cndmask_b32_e64 v41, v41, v5, s1
; %bb.114:                              ;   in Loop: Header=BB155_34 Depth=1
	s_or_b32 exec_lo, exec_lo, s6
	v_lshlrev_b32_e32 v5, 16, v42
                                        ; implicit-def: $vgpr42
	s_delay_alu instid0(VALU_DEP_1) | instskip(NEXT) | instid1(VALU_DEP_1)
	v_mul_f32_e32 v5, v26, v5
	v_and_b32_e32 v6, 0x7f800000, v5
	s_delay_alu instid0(VALU_DEP_1) | instskip(NEXT) | instid1(VALU_DEP_1)
	v_cmp_ne_u32_e64 s1, 0x7f800000, v6
	s_and_saveexec_b32 s6, s1
	s_delay_alu instid0(SALU_CYCLE_1)
	s_xor_b32 s1, exec_lo, s6
; %bb.115:                              ;   in Loop: Header=BB155_34 Depth=1
	v_bfe_u32 v6, v5, 16, 1
	s_delay_alu instid0(VALU_DEP_1)
	v_add3_u32 v42, v5, v6, 0x7fff
                                        ; implicit-def: $vgpr5
; %bb.116:                              ;   in Loop: Header=BB155_34 Depth=1
	s_and_not1_saveexec_b32 s6, s1
; %bb.117:                              ;   in Loop: Header=BB155_34 Depth=1
	v_and_b32_e32 v6, 0xffff, v5
	v_or_b32_e32 v42, 0x10000, v5
	s_delay_alu instid0(VALU_DEP_2) | instskip(NEXT) | instid1(VALU_DEP_1)
	v_cmp_eq_u32_e64 s1, 0, v6
	v_cndmask_b32_e64 v42, v42, v5, s1
; %bb.118:                              ;   in Loop: Header=BB155_34 Depth=1
	s_or_b32 exec_lo, exec_lo, s6
	v_lshlrev_b32_e32 v5, 16, v7
                                        ; implicit-def: $vgpr43
	s_delay_alu instid0(VALU_DEP_1) | instskip(NEXT) | instid1(VALU_DEP_1)
	v_mul_f32_e32 v5, v27, v5
	v_and_b32_e32 v6, 0x7f800000, v5
	s_delay_alu instid0(VALU_DEP_1) | instskip(NEXT) | instid1(VALU_DEP_1)
	v_cmp_ne_u32_e64 s1, 0x7f800000, v6
	s_and_saveexec_b32 s6, s1
	s_delay_alu instid0(SALU_CYCLE_1)
	s_xor_b32 s1, exec_lo, s6
; %bb.119:                              ;   in Loop: Header=BB155_34 Depth=1
	v_bfe_u32 v6, v5, 16, 1
	s_delay_alu instid0(VALU_DEP_1)
	v_add3_u32 v43, v5, v6, 0x7fff
                                        ; implicit-def: $vgpr5
; %bb.120:                              ;   in Loop: Header=BB155_34 Depth=1
	s_and_not1_saveexec_b32 s6, s1
; %bb.121:                              ;   in Loop: Header=BB155_34 Depth=1
	v_and_b32_e32 v6, 0xffff, v5
	v_or_b32_e32 v7, 0x10000, v5
	s_delay_alu instid0(VALU_DEP_2) | instskip(NEXT) | instid1(VALU_DEP_1)
	v_cmp_eq_u32_e64 s1, 0, v6
	v_cndmask_b32_e64 v43, v7, v5, s1
; %bb.122:                              ;   in Loop: Header=BB155_34 Depth=1
	s_or_b32 exec_lo, exec_lo, s6
	v_lshlrev_b32_e32 v5, 16, v44
                                        ; implicit-def: $vgpr44
	s_delay_alu instid0(VALU_DEP_1) | instskip(NEXT) | instid1(VALU_DEP_1)
	v_mul_f32_e32 v5, v28, v5
	v_and_b32_e32 v6, 0x7f800000, v5
	s_delay_alu instid0(VALU_DEP_1) | instskip(NEXT) | instid1(VALU_DEP_1)
	v_cmp_ne_u32_e64 s1, 0x7f800000, v6
	s_and_saveexec_b32 s6, s1
	s_delay_alu instid0(SALU_CYCLE_1)
	s_xor_b32 s1, exec_lo, s6
; %bb.123:                              ;   in Loop: Header=BB155_34 Depth=1
	v_bfe_u32 v6, v5, 16, 1
	s_delay_alu instid0(VALU_DEP_1)
	v_add3_u32 v44, v5, v6, 0x7fff
                                        ; implicit-def: $vgpr5
; %bb.124:                              ;   in Loop: Header=BB155_34 Depth=1
	s_and_not1_saveexec_b32 s6, s1
; %bb.125:                              ;   in Loop: Header=BB155_34 Depth=1
	v_and_b32_e32 v6, 0xffff, v5
	v_or_b32_e32 v7, 0x10000, v5
	s_delay_alu instid0(VALU_DEP_2) | instskip(NEXT) | instid1(VALU_DEP_1)
	v_cmp_eq_u32_e64 s1, 0, v6
	v_cndmask_b32_e64 v44, v7, v5, s1
; %bb.126:                              ;   in Loop: Header=BB155_34 Depth=1
	s_or_b32 exec_lo, exec_lo, s6
	v_lshlrev_b32_e32 v5, 16, v8
                                        ; implicit-def: $vgpr45
	s_delay_alu instid0(VALU_DEP_1) | instskip(NEXT) | instid1(VALU_DEP_1)
	v_mul_f32_e32 v5, v29, v5
	v_and_b32_e32 v6, 0x7f800000, v5
	s_delay_alu instid0(VALU_DEP_1) | instskip(NEXT) | instid1(VALU_DEP_1)
	v_cmp_ne_u32_e64 s1, 0x7f800000, v6
	s_and_saveexec_b32 s6, s1
	s_delay_alu instid0(SALU_CYCLE_1)
	s_xor_b32 s1, exec_lo, s6
; %bb.127:                              ;   in Loop: Header=BB155_34 Depth=1
	v_bfe_u32 v6, v5, 16, 1
	s_delay_alu instid0(VALU_DEP_1)
	v_add3_u32 v45, v5, v6, 0x7fff
                                        ; implicit-def: $vgpr5
; %bb.128:                              ;   in Loop: Header=BB155_34 Depth=1
	s_and_not1_saveexec_b32 s6, s1
; %bb.129:                              ;   in Loop: Header=BB155_34 Depth=1
	v_and_b32_e32 v6, 0xffff, v5
	v_or_b32_e32 v7, 0x10000, v5
	s_delay_alu instid0(VALU_DEP_2) | instskip(NEXT) | instid1(VALU_DEP_1)
	v_cmp_eq_u32_e64 s1, 0, v6
	v_cndmask_b32_e64 v45, v7, v5, s1
; %bb.130:                              ;   in Loop: Header=BB155_34 Depth=1
	s_or_b32 exec_lo, exec_lo, s6
	v_lshlrev_b32_e32 v5, 16, v46
                                        ; implicit-def: $vgpr46
	s_delay_alu instid0(VALU_DEP_1) | instskip(NEXT) | instid1(VALU_DEP_1)
	v_mul_f32_e32 v5, v30, v5
	v_and_b32_e32 v6, 0x7f800000, v5
	s_delay_alu instid0(VALU_DEP_1) | instskip(NEXT) | instid1(VALU_DEP_1)
	v_cmp_ne_u32_e64 s1, 0x7f800000, v6
	s_and_saveexec_b32 s6, s1
	s_delay_alu instid0(SALU_CYCLE_1)
	s_xor_b32 s1, exec_lo, s6
; %bb.131:                              ;   in Loop: Header=BB155_34 Depth=1
	v_bfe_u32 v6, v5, 16, 1
	s_delay_alu instid0(VALU_DEP_1)
	v_add3_u32 v46, v5, v6, 0x7fff
                                        ; implicit-def: $vgpr5
; %bb.132:                              ;   in Loop: Header=BB155_34 Depth=1
	s_and_not1_saveexec_b32 s6, s1
; %bb.133:                              ;   in Loop: Header=BB155_34 Depth=1
	v_and_b32_e32 v6, 0xffff, v5
	v_or_b32_e32 v7, 0x10000, v5
	s_delay_alu instid0(VALU_DEP_2) | instskip(NEXT) | instid1(VALU_DEP_1)
	v_cmp_eq_u32_e64 s1, 0, v6
	v_cndmask_b32_e64 v46, v7, v5, s1
; %bb.134:                              ;   in Loop: Header=BB155_34 Depth=1
	s_or_b32 exec_lo, exec_lo, s6
	global_load_b128 v[5:8], v[9:10], off offset:1024
	s_waitcnt vmcnt(0)
	v_lshrrev_b32_e32 v10, 16, v5
	v_lshrrev_b32_e32 v48, 16, v6
	v_lshrrev_b32_e32 v47, 16, v7
	v_lshrrev_b32_e32 v9, 16, v8
	s_and_saveexec_b32 s6, s0
	s_cbranch_execz .LBB155_136
; %bb.135:                              ;   in Loop: Header=BB155_34 Depth=1
	v_add_nc_u32_e32 v49, -6, v18
	v_cmp_gt_i32_e64 s1, s33, v11
	v_add_nc_u32_e32 v50, -5, v18
	v_add_nc_u32_e32 v51, -2, v18
	s_delay_alu instid0(VALU_DEP_3) | instskip(SKIP_2) | instid1(VALU_DEP_2)
	v_cndmask_b32_e64 v5, 0, v5, s1
	v_cmp_gt_i32_e64 s1, s33, v49
	v_add_nc_u32_e32 v49, -4, v18
	v_cndmask_b32_e64 v10, 0, v10, s1
	v_cmp_gt_i32_e64 s1, s33, v50
	v_add_nc_u32_e32 v50, -3, v18
	s_delay_alu instid0(VALU_DEP_2) | instskip(SKIP_2) | instid1(VALU_DEP_2)
	v_cndmask_b32_e64 v6, 0, v6, s1
	v_cmp_gt_i32_e64 s1, s33, v49
	v_add_nc_u32_e32 v49, -1, v18
	v_cndmask_b32_e64 v48, 0, v48, s1
	v_cmp_gt_i32_e64 s1, s33, v50
	s_delay_alu instid0(VALU_DEP_1) | instskip(SKIP_1) | instid1(VALU_DEP_1)
	v_cndmask_b32_e64 v7, 0, v7, s1
	v_cmp_gt_i32_e64 s1, s33, v51
	v_cndmask_b32_e64 v47, 0, v47, s1
	v_cmp_gt_i32_e64 s1, s33, v49
	s_delay_alu instid0(VALU_DEP_1) | instskip(SKIP_1) | instid1(VALU_DEP_1)
	v_cndmask_b32_e64 v8, 0, v8, s1
	v_cmp_gt_i32_e64 s1, s33, v18
	v_cndmask_b32_e64 v9, 0, v9, s1
.LBB155_136:                            ;   in Loop: Header=BB155_34 Depth=1
	s_or_b32 exec_lo, exec_lo, s6
	v_lshlrev_b32_e32 v5, 16, v5
	s_delay_alu instid0(VALU_DEP_1) | instskip(NEXT) | instid1(VALU_DEP_1)
	v_mul_f32_e32 v49, v23, v5
	v_and_b32_e32 v5, 0x7f800000, v49
	s_delay_alu instid0(VALU_DEP_1) | instskip(NEXT) | instid1(VALU_DEP_1)
	v_cmp_ne_u32_e64 s1, 0x7f800000, v5
                                        ; implicit-def: $vgpr5
	s_and_saveexec_b32 s6, s1
	s_delay_alu instid0(SALU_CYCLE_1)
	s_xor_b32 s1, exec_lo, s6
; %bb.137:                              ;   in Loop: Header=BB155_34 Depth=1
	v_bfe_u32 v5, v49, 16, 1
	s_delay_alu instid0(VALU_DEP_1)
	v_add3_u32 v5, v49, v5, 0x7fff
                                        ; implicit-def: $vgpr49
; %bb.138:                              ;   in Loop: Header=BB155_34 Depth=1
	s_and_not1_saveexec_b32 s6, s1
; %bb.139:                              ;   in Loop: Header=BB155_34 Depth=1
	v_and_b32_e32 v5, 0xffff, v49
	v_or_b32_e32 v50, 0x10000, v49
	s_delay_alu instid0(VALU_DEP_2) | instskip(NEXT) | instid1(VALU_DEP_1)
	v_cmp_eq_u32_e64 s1, 0, v5
	v_cndmask_b32_e64 v5, v50, v49, s1
; %bb.140:                              ;   in Loop: Header=BB155_34 Depth=1
	s_or_b32 exec_lo, exec_lo, s6
	v_lshlrev_b32_e32 v10, 16, v10
	s_delay_alu instid0(VALU_DEP_1) | instskip(NEXT) | instid1(VALU_DEP_1)
	v_mul_f32_e32 v49, v24, v10
	v_and_b32_e32 v10, 0x7f800000, v49
	s_delay_alu instid0(VALU_DEP_1) | instskip(NEXT) | instid1(VALU_DEP_1)
	v_cmp_ne_u32_e64 s1, 0x7f800000, v10
                                        ; implicit-def: $vgpr10
	s_and_saveexec_b32 s6, s1
	s_delay_alu instid0(SALU_CYCLE_1)
	s_xor_b32 s1, exec_lo, s6
; %bb.141:                              ;   in Loop: Header=BB155_34 Depth=1
	v_bfe_u32 v10, v49, 16, 1
	s_delay_alu instid0(VALU_DEP_1)
	v_add3_u32 v10, v49, v10, 0x7fff
                                        ; implicit-def: $vgpr49
; %bb.142:                              ;   in Loop: Header=BB155_34 Depth=1
	s_and_not1_saveexec_b32 s6, s1
; %bb.143:                              ;   in Loop: Header=BB155_34 Depth=1
	v_and_b32_e32 v10, 0xffff, v49
	v_or_b32_e32 v50, 0x10000, v49
	s_delay_alu instid0(VALU_DEP_2) | instskip(NEXT) | instid1(VALU_DEP_1)
	v_cmp_eq_u32_e64 s1, 0, v10
	v_cndmask_b32_e64 v10, v50, v49, s1
; %bb.144:                              ;   in Loop: Header=BB155_34 Depth=1
	s_or_b32 exec_lo, exec_lo, s6
	v_lshlrev_b32_e32 v6, 16, v6
	s_delay_alu instid0(VALU_DEP_1) | instskip(NEXT) | instid1(VALU_DEP_1)
	v_mul_f32_e32 v49, v25, v6
	v_and_b32_e32 v6, 0x7f800000, v49
	s_delay_alu instid0(VALU_DEP_1) | instskip(NEXT) | instid1(VALU_DEP_1)
	v_cmp_ne_u32_e64 s1, 0x7f800000, v6
                                        ; implicit-def: $vgpr6
	s_and_saveexec_b32 s6, s1
	s_delay_alu instid0(SALU_CYCLE_1)
	s_xor_b32 s1, exec_lo, s6
; %bb.145:                              ;   in Loop: Header=BB155_34 Depth=1
	v_bfe_u32 v6, v49, 16, 1
	s_delay_alu instid0(VALU_DEP_1)
	v_add3_u32 v6, v49, v6, 0x7fff
                                        ; implicit-def: $vgpr49
; %bb.146:                              ;   in Loop: Header=BB155_34 Depth=1
	s_and_not1_saveexec_b32 s6, s1
; %bb.147:                              ;   in Loop: Header=BB155_34 Depth=1
	v_and_b32_e32 v6, 0xffff, v49
	v_or_b32_e32 v50, 0x10000, v49
	s_delay_alu instid0(VALU_DEP_2) | instskip(NEXT) | instid1(VALU_DEP_1)
	v_cmp_eq_u32_e64 s1, 0, v6
	v_cndmask_b32_e64 v6, v50, v49, s1
; %bb.148:                              ;   in Loop: Header=BB155_34 Depth=1
	s_or_b32 exec_lo, exec_lo, s6
	v_lshlrev_b32_e32 v48, 16, v48
	s_delay_alu instid0(VALU_DEP_1) | instskip(NEXT) | instid1(VALU_DEP_1)
	v_mul_f32_e32 v49, v26, v48
	v_and_b32_e32 v48, 0x7f800000, v49
	s_delay_alu instid0(VALU_DEP_1) | instskip(NEXT) | instid1(VALU_DEP_1)
	v_cmp_ne_u32_e64 s1, 0x7f800000, v48
                                        ; implicit-def: $vgpr48
	s_and_saveexec_b32 s6, s1
	s_delay_alu instid0(SALU_CYCLE_1)
	s_xor_b32 s1, exec_lo, s6
; %bb.149:                              ;   in Loop: Header=BB155_34 Depth=1
	v_bfe_u32 v48, v49, 16, 1
	s_delay_alu instid0(VALU_DEP_1)
	v_add3_u32 v48, v49, v48, 0x7fff
                                        ; implicit-def: $vgpr49
; %bb.150:                              ;   in Loop: Header=BB155_34 Depth=1
	s_and_not1_saveexec_b32 s6, s1
; %bb.151:                              ;   in Loop: Header=BB155_34 Depth=1
	v_and_b32_e32 v48, 0xffff, v49
	v_or_b32_e32 v50, 0x10000, v49
	s_delay_alu instid0(VALU_DEP_2) | instskip(NEXT) | instid1(VALU_DEP_1)
	v_cmp_eq_u32_e64 s1, 0, v48
	v_cndmask_b32_e64 v48, v50, v49, s1
; %bb.152:                              ;   in Loop: Header=BB155_34 Depth=1
	s_or_b32 exec_lo, exec_lo, s6
	v_lshlrev_b32_e32 v7, 16, v7
	s_delay_alu instid0(VALU_DEP_1) | instskip(NEXT) | instid1(VALU_DEP_1)
	v_mul_f32_e32 v49, v27, v7
	v_and_b32_e32 v7, 0x7f800000, v49
	s_delay_alu instid0(VALU_DEP_1) | instskip(NEXT) | instid1(VALU_DEP_1)
	v_cmp_ne_u32_e64 s1, 0x7f800000, v7
                                        ; implicit-def: $vgpr7
	s_and_saveexec_b32 s6, s1
	s_delay_alu instid0(SALU_CYCLE_1)
	s_xor_b32 s1, exec_lo, s6
; %bb.153:                              ;   in Loop: Header=BB155_34 Depth=1
	v_bfe_u32 v7, v49, 16, 1
	s_delay_alu instid0(VALU_DEP_1)
	v_add3_u32 v7, v49, v7, 0x7fff
                                        ; implicit-def: $vgpr49
; %bb.154:                              ;   in Loop: Header=BB155_34 Depth=1
	s_and_not1_saveexec_b32 s6, s1
; %bb.155:                              ;   in Loop: Header=BB155_34 Depth=1
	v_and_b32_e32 v7, 0xffff, v49
	v_or_b32_e32 v50, 0x10000, v49
	s_delay_alu instid0(VALU_DEP_2) | instskip(NEXT) | instid1(VALU_DEP_1)
	v_cmp_eq_u32_e64 s1, 0, v7
	v_cndmask_b32_e64 v7, v50, v49, s1
; %bb.156:                              ;   in Loop: Header=BB155_34 Depth=1
	s_or_b32 exec_lo, exec_lo, s6
	v_lshlrev_b32_e32 v47, 16, v47
	s_delay_alu instid0(VALU_DEP_1) | instskip(NEXT) | instid1(VALU_DEP_1)
	v_mul_f32_e32 v49, v28, v47
	v_and_b32_e32 v47, 0x7f800000, v49
	s_delay_alu instid0(VALU_DEP_1) | instskip(NEXT) | instid1(VALU_DEP_1)
	v_cmp_ne_u32_e64 s1, 0x7f800000, v47
                                        ; implicit-def: $vgpr47
	s_and_saveexec_b32 s6, s1
	s_delay_alu instid0(SALU_CYCLE_1)
	s_xor_b32 s1, exec_lo, s6
; %bb.157:                              ;   in Loop: Header=BB155_34 Depth=1
	v_bfe_u32 v47, v49, 16, 1
	s_delay_alu instid0(VALU_DEP_1)
	v_add3_u32 v47, v49, v47, 0x7fff
                                        ; implicit-def: $vgpr49
; %bb.158:                              ;   in Loop: Header=BB155_34 Depth=1
	s_and_not1_saveexec_b32 s6, s1
; %bb.159:                              ;   in Loop: Header=BB155_34 Depth=1
	v_and_b32_e32 v47, 0xffff, v49
	v_or_b32_e32 v50, 0x10000, v49
	s_delay_alu instid0(VALU_DEP_2) | instskip(NEXT) | instid1(VALU_DEP_1)
	v_cmp_eq_u32_e64 s1, 0, v47
	v_cndmask_b32_e64 v47, v50, v49, s1
; %bb.160:                              ;   in Loop: Header=BB155_34 Depth=1
	s_or_b32 exec_lo, exec_lo, s6
	v_lshlrev_b32_e32 v8, 16, v8
	s_delay_alu instid0(VALU_DEP_1) | instskip(NEXT) | instid1(VALU_DEP_1)
	v_mul_f32_e32 v49, v29, v8
	v_and_b32_e32 v8, 0x7f800000, v49
	s_delay_alu instid0(VALU_DEP_1) | instskip(NEXT) | instid1(VALU_DEP_1)
	v_cmp_ne_u32_e64 s1, 0x7f800000, v8
                                        ; implicit-def: $vgpr8
	s_and_saveexec_b32 s6, s1
	s_delay_alu instid0(SALU_CYCLE_1)
	s_xor_b32 s1, exec_lo, s6
; %bb.161:                              ;   in Loop: Header=BB155_34 Depth=1
	v_bfe_u32 v8, v49, 16, 1
	s_delay_alu instid0(VALU_DEP_1)
	v_add3_u32 v8, v49, v8, 0x7fff
                                        ; implicit-def: $vgpr49
; %bb.162:                              ;   in Loop: Header=BB155_34 Depth=1
	s_and_not1_saveexec_b32 s6, s1
; %bb.163:                              ;   in Loop: Header=BB155_34 Depth=1
	v_and_b32_e32 v8, 0xffff, v49
	v_or_b32_e32 v50, 0x10000, v49
	s_delay_alu instid0(VALU_DEP_2) | instskip(NEXT) | instid1(VALU_DEP_1)
	v_cmp_eq_u32_e64 s1, 0, v8
	v_cndmask_b32_e64 v8, v50, v49, s1
; %bb.164:                              ;   in Loop: Header=BB155_34 Depth=1
	s_or_b32 exec_lo, exec_lo, s6
	v_lshlrev_b32_e32 v9, 16, v9
	s_delay_alu instid0(VALU_DEP_1) | instskip(NEXT) | instid1(VALU_DEP_1)
	v_mul_f32_e32 v49, v30, v9
	v_and_b32_e32 v9, 0x7f800000, v49
	s_delay_alu instid0(VALU_DEP_1) | instskip(NEXT) | instid1(VALU_DEP_1)
	v_cmp_ne_u32_e64 s1, 0x7f800000, v9
                                        ; implicit-def: $vgpr9
	s_and_saveexec_b32 s6, s1
	s_delay_alu instid0(SALU_CYCLE_1)
	s_xor_b32 s1, exec_lo, s6
; %bb.165:                              ;   in Loop: Header=BB155_34 Depth=1
	v_bfe_u32 v9, v49, 16, 1
	s_delay_alu instid0(VALU_DEP_1)
	v_add3_u32 v9, v49, v9, 0x7fff
                                        ; implicit-def: $vgpr49
; %bb.166:                              ;   in Loop: Header=BB155_34 Depth=1
	s_and_not1_saveexec_b32 s6, s1
; %bb.167:                              ;   in Loop: Header=BB155_34 Depth=1
	v_and_b32_e32 v9, 0xffff, v49
	v_or_b32_e32 v50, 0x10000, v49
	s_delay_alu instid0(VALU_DEP_2) | instskip(NEXT) | instid1(VALU_DEP_1)
	v_cmp_eq_u32_e64 s1, 0, v9
	v_cndmask_b32_e64 v9, v50, v49, s1
; %bb.168:                              ;   in Loop: Header=BB155_34 Depth=1
	s_or_b32 exec_lo, exec_lo, s6
	v_and_b32_e32 v10, 0xffff0000, v10
	v_and_b32_e32 v5, 0xffff0000, v5
	;; [unrolled: 1-line block ×6, first 2 shown]
	v_add_f32_e32 v5, v5, v10
	v_and_b32_e32 v33, 0xffff0000, v33
	v_and_b32_e32 v31, 0xffff0000, v31
	v_and_b32_e32 v34, 0xffff0000, v34
	v_and_b32_e32 v6, 0xffff0000, v6
	v_and_b32_e32 v8, 0xffff0000, v8
	s_delay_alu instid0(VALU_DEP_3) | instskip(SKIP_2) | instid1(VALU_DEP_3)
	v_dual_add_f32 v31, v31, v32 :: v_dual_add_f32 v32, v33, v34
	v_and_b32_e32 v33, 0xffff0000, v37
	v_and_b32_e32 v37, 0xffff0000, v42
	v_dual_add_f32 v31, v31, v32 :: v_dual_and_b32 v32, 0xffff0000, v38
	v_and_b32_e32 v38, 0xffff0000, v40
	s_delay_alu instid0(VALU_DEP_1) | instskip(SKIP_1) | instid1(VALU_DEP_1)
	v_add_f32_e32 v38, v39, v38
	v_add_f32_e32 v34, v35, v36
	v_dual_add_f32 v31, v31, v34 :: v_dual_and_b32 v42, 0xffff0000, v48
	s_delay_alu instid0(VALU_DEP_1) | instskip(SKIP_2) | instid1(VALU_DEP_3)
	v_add_f32_e32 v6, v6, v42
	v_and_b32_e32 v34, 0xffff0000, v41
	v_and_b32_e32 v35, 0xffff0000, v44
	v_dual_add_f32 v5, v5, v6 :: v_dual_and_b32 v36, 0xffff0000, v43
	s_delay_alu instid0(VALU_DEP_3) | instskip(NEXT) | instid1(VALU_DEP_1)
	v_dual_add_f32 v34, v34, v37 :: v_dual_and_b32 v37, 0xffff0000, v47
	v_add_f32_e32 v10, v38, v34
	s_delay_alu instid0(VALU_DEP_3) | instskip(NEXT) | instid1(VALU_DEP_1)
	v_add_f32_e32 v34, v36, v35
	v_dual_add_f32 v10, v10, v34 :: v_dual_and_b32 v7, 0xffff0000, v7
	s_delay_alu instid0(VALU_DEP_1) | instskip(SKIP_2) | instid1(VALU_DEP_2)
	v_dual_add_f32 v6, v7, v37 :: v_dual_and_b32 v41, 0xffff0000, v46
	v_and_b32_e32 v7, 0xffff0000, v9
	v_add_f32_e32 v9, v33, v32
	v_dual_add_f32 v5, v5, v6 :: v_dual_add_f32 v6, v8, v7
	v_and_b32_e32 v40, 0xffff0000, v45
	s_delay_alu instid0(VALU_DEP_3) | instskip(NEXT) | instid1(VALU_DEP_2)
	v_add_f32_e32 v7, v31, v9
	v_dual_add_f32 v5, v5, v6 :: v_dual_add_f32 v32, v40, v41
	s_delay_alu instid0(VALU_DEP_2) | instskip(NEXT) | instid1(VALU_DEP_2)
	v_add_f32_e32 v1, v1, v7
	v_dual_add_f32 v3, v3, v5 :: v_dual_add_f32 v8, v10, v32
	s_delay_alu instid0(VALU_DEP_1)
	v_add_f32_e32 v2, v2, v8
	s_and_saveexec_b32 s6, vcc_lo
	s_cbranch_execz .LBB155_33
; %bb.169:                              ;   in Loop: Header=BB155_34 Depth=1
	v_add_co_u32 v5, s1, v12, v21
	s_delay_alu instid0(VALU_DEP_1)
	v_add_co_ci_u32_e64 v6, s1, 0, v22, s1
	global_load_b128 v[5:8], v[5:6], off
	s_waitcnt vmcnt(0)
	v_lshrrev_b32_e32 v22, 16, v5
	v_lshrrev_b32_e32 v12, 16, v6
	;; [unrolled: 1-line block ×4, first 2 shown]
	s_and_saveexec_b32 s1, s0
	s_cbranch_execz .LBB155_171
; %bb.170:                              ;   in Loop: Header=BB155_34 Depth=1
	v_add_nc_u32_e32 v31, -6, v18
	v_cmp_gt_i32_e64 s0, s33, v11
	v_add_nc_u32_e32 v32, -5, v18
	v_add_nc_u32_e32 v11, -4, v18
	s_delay_alu instid0(VALU_DEP_3) | instskip(SKIP_2) | instid1(VALU_DEP_2)
	v_cndmask_b32_e64 v5, 0, v5, s0
	v_cmp_gt_i32_e64 s0, s33, v31
	v_add_nc_u32_e32 v31, -3, v18
	v_cndmask_b32_e64 v22, 0, v22, s0
	v_cmp_gt_i32_e64 s0, s33, v32
	v_add_nc_u32_e32 v32, -2, v18
	s_delay_alu instid0(VALU_DEP_2) | instskip(SKIP_2) | instid1(VALU_DEP_2)
	v_cndmask_b32_e64 v6, 0, v6, s0
	v_cmp_gt_i32_e64 s0, s33, v11
	v_add_nc_u32_e32 v11, -1, v18
	v_cndmask_b32_e64 v12, 0, v12, s0
	v_cmp_gt_i32_e64 s0, s33, v31
	s_delay_alu instid0(VALU_DEP_1) | instskip(SKIP_1) | instid1(VALU_DEP_1)
	v_cndmask_b32_e64 v7, 0, v7, s0
	v_cmp_gt_i32_e64 s0, s33, v32
	v_cndmask_b32_e64 v10, 0, v10, s0
	v_cmp_gt_i32_e64 s0, s33, v11
	s_delay_alu instid0(VALU_DEP_1) | instskip(SKIP_1) | instid1(VALU_DEP_1)
	v_cndmask_b32_e64 v8, 0, v8, s0
	v_cmp_gt_i32_e64 s0, s33, v18
	v_cndmask_b32_e64 v9, 0, v9, s0
.LBB155_171:                            ;   in Loop: Header=BB155_34 Depth=1
	s_or_b32 exec_lo, exec_lo, s1
	v_lshlrev_b32_e32 v5, 16, v5
	s_delay_alu instid0(VALU_DEP_1) | instskip(NEXT) | instid1(VALU_DEP_1)
	v_mul_f32_e32 v11, v23, v5
	v_and_b32_e32 v5, 0x7f800000, v11
	s_delay_alu instid0(VALU_DEP_1) | instskip(NEXT) | instid1(VALU_DEP_1)
	v_cmp_ne_u32_e64 s0, 0x7f800000, v5
                                        ; implicit-def: $vgpr5
	s_and_saveexec_b32 s1, s0
	s_delay_alu instid0(SALU_CYCLE_1)
	s_xor_b32 s0, exec_lo, s1
; %bb.172:                              ;   in Loop: Header=BB155_34 Depth=1
	v_bfe_u32 v5, v11, 16, 1
	s_delay_alu instid0(VALU_DEP_1)
	v_add3_u32 v5, v11, v5, 0x7fff
                                        ; implicit-def: $vgpr11
; %bb.173:                              ;   in Loop: Header=BB155_34 Depth=1
	s_and_not1_saveexec_b32 s1, s0
; %bb.174:                              ;   in Loop: Header=BB155_34 Depth=1
	v_and_b32_e32 v5, 0xffff, v11
	v_or_b32_e32 v23, 0x10000, v11
	s_delay_alu instid0(VALU_DEP_2) | instskip(NEXT) | instid1(VALU_DEP_1)
	v_cmp_eq_u32_e64 s0, 0, v5
	v_cndmask_b32_e64 v5, v23, v11, s0
; %bb.175:                              ;   in Loop: Header=BB155_34 Depth=1
	s_or_b32 exec_lo, exec_lo, s1
	v_lshlrev_b32_e32 v11, 16, v22
	s_delay_alu instid0(VALU_DEP_1) | instskip(NEXT) | instid1(VALU_DEP_1)
	v_mul_f32_e32 v22, v24, v11
	v_and_b32_e32 v11, 0x7f800000, v22
	s_delay_alu instid0(VALU_DEP_1) | instskip(NEXT) | instid1(VALU_DEP_1)
	v_cmp_ne_u32_e64 s0, 0x7f800000, v11
                                        ; implicit-def: $vgpr11
	s_and_saveexec_b32 s1, s0
	s_delay_alu instid0(SALU_CYCLE_1)
	s_xor_b32 s0, exec_lo, s1
; %bb.176:                              ;   in Loop: Header=BB155_34 Depth=1
	v_bfe_u32 v11, v22, 16, 1
	s_delay_alu instid0(VALU_DEP_1)
	v_add3_u32 v11, v22, v11, 0x7fff
                                        ; implicit-def: $vgpr22
; %bb.177:                              ;   in Loop: Header=BB155_34 Depth=1
	s_and_not1_saveexec_b32 s1, s0
; %bb.178:                              ;   in Loop: Header=BB155_34 Depth=1
	v_and_b32_e32 v11, 0xffff, v22
	v_or_b32_e32 v23, 0x10000, v22
	s_delay_alu instid0(VALU_DEP_2) | instskip(NEXT) | instid1(VALU_DEP_1)
	v_cmp_eq_u32_e64 s0, 0, v11
	v_cndmask_b32_e64 v11, v23, v22, s0
; %bb.179:                              ;   in Loop: Header=BB155_34 Depth=1
	s_or_b32 exec_lo, exec_lo, s1
	v_lshlrev_b32_e32 v6, 16, v6
	s_delay_alu instid0(VALU_DEP_1) | instskip(NEXT) | instid1(VALU_DEP_1)
	v_mul_f32_e32 v22, v25, v6
	v_and_b32_e32 v6, 0x7f800000, v22
	s_delay_alu instid0(VALU_DEP_1) | instskip(NEXT) | instid1(VALU_DEP_1)
	v_cmp_ne_u32_e64 s0, 0x7f800000, v6
                                        ; implicit-def: $vgpr6
	s_and_saveexec_b32 s1, s0
	s_delay_alu instid0(SALU_CYCLE_1)
	s_xor_b32 s0, exec_lo, s1
; %bb.180:                              ;   in Loop: Header=BB155_34 Depth=1
	v_bfe_u32 v6, v22, 16, 1
	s_delay_alu instid0(VALU_DEP_1)
	v_add3_u32 v6, v22, v6, 0x7fff
                                        ; implicit-def: $vgpr22
; %bb.181:                              ;   in Loop: Header=BB155_34 Depth=1
	s_and_not1_saveexec_b32 s1, s0
; %bb.182:                              ;   in Loop: Header=BB155_34 Depth=1
	v_and_b32_e32 v6, 0xffff, v22
	v_or_b32_e32 v23, 0x10000, v22
	s_delay_alu instid0(VALU_DEP_2) | instskip(NEXT) | instid1(VALU_DEP_1)
	v_cmp_eq_u32_e64 s0, 0, v6
	v_cndmask_b32_e64 v6, v23, v22, s0
; %bb.183:                              ;   in Loop: Header=BB155_34 Depth=1
	s_or_b32 exec_lo, exec_lo, s1
	v_lshlrev_b32_e32 v12, 16, v12
	s_delay_alu instid0(VALU_DEP_1) | instskip(NEXT) | instid1(VALU_DEP_1)
	v_mul_f32_e32 v22, v26, v12
	v_and_b32_e32 v12, 0x7f800000, v22
	s_delay_alu instid0(VALU_DEP_1) | instskip(NEXT) | instid1(VALU_DEP_1)
	v_cmp_ne_u32_e64 s0, 0x7f800000, v12
                                        ; implicit-def: $vgpr12
	s_and_saveexec_b32 s1, s0
	s_delay_alu instid0(SALU_CYCLE_1)
	s_xor_b32 s0, exec_lo, s1
; %bb.184:                              ;   in Loop: Header=BB155_34 Depth=1
	v_bfe_u32 v12, v22, 16, 1
	s_delay_alu instid0(VALU_DEP_1)
	v_add3_u32 v12, v22, v12, 0x7fff
                                        ; implicit-def: $vgpr22
; %bb.185:                              ;   in Loop: Header=BB155_34 Depth=1
	s_and_not1_saveexec_b32 s1, s0
; %bb.186:                              ;   in Loop: Header=BB155_34 Depth=1
	v_and_b32_e32 v12, 0xffff, v22
	v_or_b32_e32 v23, 0x10000, v22
	s_delay_alu instid0(VALU_DEP_2) | instskip(NEXT) | instid1(VALU_DEP_1)
	v_cmp_eq_u32_e64 s0, 0, v12
	v_cndmask_b32_e64 v12, v23, v22, s0
; %bb.187:                              ;   in Loop: Header=BB155_34 Depth=1
	s_or_b32 exec_lo, exec_lo, s1
	v_lshlrev_b32_e32 v7, 16, v7
	s_delay_alu instid0(VALU_DEP_1) | instskip(NEXT) | instid1(VALU_DEP_1)
	v_mul_f32_e32 v22, v27, v7
	v_and_b32_e32 v7, 0x7f800000, v22
	s_delay_alu instid0(VALU_DEP_1) | instskip(NEXT) | instid1(VALU_DEP_1)
	v_cmp_ne_u32_e64 s0, 0x7f800000, v7
                                        ; implicit-def: $vgpr7
	s_and_saveexec_b32 s1, s0
	s_delay_alu instid0(SALU_CYCLE_1)
	s_xor_b32 s0, exec_lo, s1
; %bb.188:                              ;   in Loop: Header=BB155_34 Depth=1
	v_bfe_u32 v7, v22, 16, 1
	s_delay_alu instid0(VALU_DEP_1)
	v_add3_u32 v7, v22, v7, 0x7fff
                                        ; implicit-def: $vgpr22
; %bb.189:                              ;   in Loop: Header=BB155_34 Depth=1
	s_and_not1_saveexec_b32 s1, s0
; %bb.190:                              ;   in Loop: Header=BB155_34 Depth=1
	v_and_b32_e32 v7, 0xffff, v22
	v_or_b32_e32 v23, 0x10000, v22
	s_delay_alu instid0(VALU_DEP_2) | instskip(NEXT) | instid1(VALU_DEP_1)
	v_cmp_eq_u32_e64 s0, 0, v7
	v_cndmask_b32_e64 v7, v23, v22, s0
; %bb.191:                              ;   in Loop: Header=BB155_34 Depth=1
	s_or_b32 exec_lo, exec_lo, s1
	v_lshlrev_b32_e32 v10, 16, v10
	s_delay_alu instid0(VALU_DEP_1) | instskip(NEXT) | instid1(VALU_DEP_1)
	v_mul_f32_e32 v22, v28, v10
	v_and_b32_e32 v10, 0x7f800000, v22
	s_delay_alu instid0(VALU_DEP_1) | instskip(NEXT) | instid1(VALU_DEP_1)
	v_cmp_ne_u32_e64 s0, 0x7f800000, v10
                                        ; implicit-def: $vgpr10
	s_and_saveexec_b32 s1, s0
	s_delay_alu instid0(SALU_CYCLE_1)
	s_xor_b32 s0, exec_lo, s1
; %bb.192:                              ;   in Loop: Header=BB155_34 Depth=1
	v_bfe_u32 v10, v22, 16, 1
	s_delay_alu instid0(VALU_DEP_1)
	v_add3_u32 v10, v22, v10, 0x7fff
                                        ; implicit-def: $vgpr22
; %bb.193:                              ;   in Loop: Header=BB155_34 Depth=1
	s_and_not1_saveexec_b32 s1, s0
; %bb.194:                              ;   in Loop: Header=BB155_34 Depth=1
	v_and_b32_e32 v10, 0xffff, v22
	v_or_b32_e32 v23, 0x10000, v22
	s_delay_alu instid0(VALU_DEP_2) | instskip(NEXT) | instid1(VALU_DEP_1)
	v_cmp_eq_u32_e64 s0, 0, v10
	v_cndmask_b32_e64 v10, v23, v22, s0
; %bb.195:                              ;   in Loop: Header=BB155_34 Depth=1
	s_or_b32 exec_lo, exec_lo, s1
	v_lshlrev_b32_e32 v8, 16, v8
	s_delay_alu instid0(VALU_DEP_1) | instskip(NEXT) | instid1(VALU_DEP_1)
	v_mul_f32_e32 v22, v29, v8
	v_and_b32_e32 v8, 0x7f800000, v22
	s_delay_alu instid0(VALU_DEP_1) | instskip(NEXT) | instid1(VALU_DEP_1)
	v_cmp_ne_u32_e64 s0, 0x7f800000, v8
                                        ; implicit-def: $vgpr8
	s_and_saveexec_b32 s1, s0
	s_delay_alu instid0(SALU_CYCLE_1)
	s_xor_b32 s0, exec_lo, s1
; %bb.196:                              ;   in Loop: Header=BB155_34 Depth=1
	v_bfe_u32 v8, v22, 16, 1
	s_delay_alu instid0(VALU_DEP_1)
	v_add3_u32 v8, v22, v8, 0x7fff
                                        ; implicit-def: $vgpr22
; %bb.197:                              ;   in Loop: Header=BB155_34 Depth=1
	s_and_not1_saveexec_b32 s1, s0
; %bb.198:                              ;   in Loop: Header=BB155_34 Depth=1
	v_and_b32_e32 v8, 0xffff, v22
	v_or_b32_e32 v23, 0x10000, v22
	s_delay_alu instid0(VALU_DEP_2) | instskip(NEXT) | instid1(VALU_DEP_1)
	v_cmp_eq_u32_e64 s0, 0, v8
	v_cndmask_b32_e64 v8, v23, v22, s0
; %bb.199:                              ;   in Loop: Header=BB155_34 Depth=1
	s_or_b32 exec_lo, exec_lo, s1
	v_lshlrev_b32_e32 v9, 16, v9
	s_delay_alu instid0(VALU_DEP_1) | instskip(NEXT) | instid1(VALU_DEP_1)
	v_mul_f32_e32 v22, v30, v9
	v_and_b32_e32 v9, 0x7f800000, v22
	s_delay_alu instid0(VALU_DEP_1) | instskip(NEXT) | instid1(VALU_DEP_1)
	v_cmp_ne_u32_e64 s0, 0x7f800000, v9
                                        ; implicit-def: $vgpr9
	s_and_saveexec_b32 s1, s0
	s_delay_alu instid0(SALU_CYCLE_1)
	s_xor_b32 s0, exec_lo, s1
; %bb.200:                              ;   in Loop: Header=BB155_34 Depth=1
	v_bfe_u32 v9, v22, 16, 1
	s_delay_alu instid0(VALU_DEP_1)
	v_add3_u32 v9, v22, v9, 0x7fff
                                        ; implicit-def: $vgpr22
; %bb.201:                              ;   in Loop: Header=BB155_34 Depth=1
	s_and_not1_saveexec_b32 s1, s0
	s_cbranch_execz .LBB155_32
; %bb.202:                              ;   in Loop: Header=BB155_34 Depth=1
	v_and_b32_e32 v9, 0xffff, v22
	v_or_b32_e32 v23, 0x10000, v22
	s_delay_alu instid0(VALU_DEP_2) | instskip(NEXT) | instid1(VALU_DEP_1)
	v_cmp_eq_u32_e64 s0, 0, v9
	v_cndmask_b32_e64 v9, v23, v22, s0
	s_branch .LBB155_32
.LBB155_203:
	s_or_b32 exec_lo, exec_lo, s4
.LBB155_204:
	s_delay_alu instid0(SALU_CYCLE_1)
	s_or_b32 exec_lo, exec_lo, s3
	s_movk_i32 s0, 0x1e0
	v_and_b32_e32 v6, 0x3c0, v0
	v_mad_u32_u24 v5, v16, s0, 0x110
	v_or_b32_e32 v7, 0x60, v0
	s_mov_b32 s0, exec_lo
	s_waitcnt_vscnt null, 0x0
	s_barrier
	buffer_gl0_inv
	v_cmpx_eq_u32_e32 64, v6
	s_cbranch_execz .LBB155_207
; %bb.205:
	v_add_nc_u32_e32 v6, 0xfffffc40, v5
	v_cmp_gt_u32_e32 vcc_lo, 0x78, v7
	s_delay_alu instid0(VALU_DEP_2)
	v_lshl_add_u32 v8, v17, 2, v6
	ds_store_2addr_b32 v8, v1, v2 offset1:32
	ds_store_b32 v8, v3 offset:256
	s_and_b32 exec_lo, exec_lo, vcc_lo
	s_cbranch_execz .LBB155_207
; %bb.206:
	v_lshl_add_u32 v6, v7, 2, v6
	ds_store_b32 v6, v4
.LBB155_207:
	s_or_b32 exec_lo, exec_lo, s0
	v_lshl_add_u32 v6, v17, 2, v5
	s_mov_b32 s0, exec_lo
	s_waitcnt lgkmcnt(0)
	s_barrier
	buffer_gl0_inv
	v_cmpx_gt_u32_e32 64, v0
	s_cbranch_execz .LBB155_211
; %bb.208:
	v_lshl_or_b32 v8, v0, 2, 0x80
	s_mov_b32 s1, exec_lo
	s_delay_alu instid0(VALU_DEP_1)
	v_add_nc_u32_e32 v10, v5, v8
	ds_load_2addr_stride64_b32 v[8:9], v6 offset1:1
	ds_load_b32 v10, v10
	s_waitcnt lgkmcnt(1)
	v_add_f32_e32 v3, v3, v9
	s_waitcnt lgkmcnt(0)
	v_dual_add_f32 v1, v1, v8 :: v_dual_add_f32 v2, v2, v10
	v_cmpx_gt_u32_e32 0x78, v7
	s_cbranch_execz .LBB155_210
; %bb.209:
	v_lshl_add_u32 v8, v7, 2, v5
	ds_load_b32 v8, v8
	s_waitcnt lgkmcnt(0)
	v_add_f32_e32 v4, v4, v8
.LBB155_210:
	s_or_b32 exec_lo, exec_lo, s1
.LBB155_211:
	s_delay_alu instid0(SALU_CYCLE_1)
	s_or_b32 exec_lo, exec_lo, s0
	v_and_b32_e32 v8, 0x3e0, v0
	s_mov_b32 s0, exec_lo
	s_barrier
	buffer_gl0_inv
	v_cmpx_eq_u32_e32 32, v8
	s_cbranch_execz .LBB155_214
; %bb.212:
	v_add_nc_u32_e32 v8, 0xfffffe20, v5
	v_cmp_gt_u32_e32 vcc_lo, 0x78, v7
	s_delay_alu instid0(VALU_DEP_2)
	v_lshl_add_u32 v9, v17, 2, v8
	v_lshl_add_u32 v10, v0, 2, v8
	ds_store_b32 v9, v1
	ds_store_b32 v10, v2
	ds_store_b32 v9, v3 offset:256
	s_and_b32 exec_lo, exec_lo, vcc_lo
	s_cbranch_execz .LBB155_214
; %bb.213:
	v_lshl_add_u32 v8, v7, 2, v8
	ds_store_b32 v8, v4
.LBB155_214:
	s_or_b32 exec_lo, exec_lo, s0
	v_cmp_gt_u32_e32 vcc_lo, 32, v0
	s_waitcnt lgkmcnt(0)
	s_barrier
	buffer_gl0_inv
	s_and_saveexec_b32 s1, vcc_lo
	s_cbranch_execz .LBB155_218
; %bb.215:
	v_lshl_add_u32 v5, v0, 2, v5
	s_mov_b32 s2, exec_lo
	ds_load_b32 v6, v6
	ds_load_2addr_b32 v[8:9], v5 offset0:32 offset1:64
	s_waitcnt lgkmcnt(0)
	v_dual_add_f32 v1, v1, v6 :: v_dual_add_f32 v2, v2, v8
	v_add_f32_e32 v3, v3, v9
	v_cmpx_gt_u32_e32 0x78, v7
	s_cbranch_execz .LBB155_217
; %bb.216:
	ds_load_b32 v5, v5 offset:384
	s_waitcnt lgkmcnt(0)
	v_add_f32_e32 v4, v4, v5
.LBB155_217:
	s_or_b32 exec_lo, exec_lo, s2
.LBB155_218:
	s_delay_alu instid0(SALU_CYCLE_1)
	s_or_b32 exec_lo, exec_lo, s1
	s_barrier
	buffer_gl0_inv
	s_and_saveexec_b32 s0, vcc_lo
	s_cbranch_execz .LBB155_237
; %bb.219:
	v_and_b32_e32 v5, 0x7f800000, v1
	s_mov_b32 s0, exec_lo
                                        ; implicit-def: $vgpr8
	s_delay_alu instid0(VALU_DEP_1)
	v_cmpx_ne_u32_e32 0x7f800000, v5
	s_xor_b32 s0, exec_lo, s0
; %bb.220:
	v_bfe_u32 v5, v1, 16, 1
	s_delay_alu instid0(VALU_DEP_1)
	v_add3_u32 v8, v1, v5, 0x7fff
; %bb.221:
	s_and_not1_saveexec_b32 s0, s0
; %bb.222:
	v_and_b32_e32 v5, 0xffff, v1
	v_or_b32_e32 v6, 0x10000, v1
	s_delay_alu instid0(VALU_DEP_2) | instskip(NEXT) | instid1(VALU_DEP_2)
	v_cmp_eq_u32_e32 vcc_lo, 0, v5
	v_cndmask_b32_e32 v8, v6, v1, vcc_lo
; %bb.223:
	s_or_b32 exec_lo, exec_lo, s0
	s_mul_i32 s0, s10, 0x78
	s_mul_i32 s2, s8, s18
	s_ashr_i32 s1, s0, 31
	v_lshlrev_b32_e32 v0, 1, v0
	s_lshl_b64 s[0:1], s[0:1], 1
	v_and_b32_e32 v1, 0x7f800000, v2
	s_add_u32 s4, s20, s0
	s_addc_u32 s5, s21, s1
	s_ashr_i32 s3, s2, 31
	s_delay_alu instid0(SALU_CYCLE_1) | instskip(SKIP_4) | instid1(SALU_CYCLE_1)
	s_lshl_b64 s[0:1], s[2:3], 1
	s_mul_i32 s2, s16, 0x78
	s_add_u32 s4, s4, s0
	s_addc_u32 s5, s5, s1
	s_ashr_i32 s3, s2, 31
	s_lshl_b64 s[0:1], s[2:3], 1
	s_delay_alu instid0(SALU_CYCLE_1) | instskip(SKIP_2) | instid1(VALU_DEP_1)
	s_add_u32 s0, s4, s0
	s_addc_u32 s1, s5, s1
	v_add_co_u32 v5, s2, s0, v0
	v_add_co_ci_u32_e64 v6, null, s1, 0, s2
	global_store_d16_hi_b16 v0, v8, s[0:1]
	s_mov_b32 s0, exec_lo
                                        ; implicit-def: $vgpr0
	v_cmpx_ne_u32_e32 0x7f800000, v1
	s_xor_b32 s0, exec_lo, s0
; %bb.224:
	v_bfe_u32 v0, v2, 16, 1
	s_delay_alu instid0(VALU_DEP_1)
	v_add3_u32 v0, v2, v0, 0x7fff
; %bb.225:
	s_and_not1_saveexec_b32 s0, s0
; %bb.226:
	v_and_b32_e32 v0, 0xffff, v2
	v_or_b32_e32 v1, 0x10000, v2
	s_delay_alu instid0(VALU_DEP_2) | instskip(NEXT) | instid1(VALU_DEP_2)
	v_cmp_eq_u32_e32 vcc_lo, 0, v0
	v_cndmask_b32_e32 v0, v1, v2, vcc_lo
; %bb.227:
	s_or_b32 exec_lo, exec_lo, s0
	v_and_b32_e32 v1, 0x7f800000, v3
	s_mov_b32 s0, exec_lo
	global_store_d16_hi_b16 v[5:6], v0, off offset:64
                                        ; implicit-def: $vgpr0
	v_cmpx_ne_u32_e32 0x7f800000, v1
	s_xor_b32 s0, exec_lo, s0
; %bb.228:
	v_bfe_u32 v0, v3, 16, 1
	s_delay_alu instid0(VALU_DEP_1)
	v_add3_u32 v0, v3, v0, 0x7fff
; %bb.229:
	s_and_not1_saveexec_b32 s0, s0
; %bb.230:
	v_and_b32_e32 v0, 0xffff, v3
	v_or_b32_e32 v1, 0x10000, v3
	s_delay_alu instid0(VALU_DEP_2) | instskip(NEXT) | instid1(VALU_DEP_2)
	v_cmp_eq_u32_e32 vcc_lo, 0, v0
	v_cndmask_b32_e32 v0, v1, v3, vcc_lo
; %bb.231:
	s_or_b32 exec_lo, exec_lo, s0
	v_cmp_gt_u32_e32 vcc_lo, 0x78, v7
	global_store_d16_hi_b16 v[5:6], v0, off offset:128
	s_and_b32 exec_lo, exec_lo, vcc_lo
	s_cbranch_execz .LBB155_237
; %bb.232:
	v_and_b32_e32 v0, 0x7f800000, v4
	s_delay_alu instid0(VALU_DEP_1) | instskip(SKIP_1) | instid1(SALU_CYCLE_1)
	v_cmp_ne_u32_e32 vcc_lo, 0x7f800000, v0
                                        ; implicit-def: $vgpr0
	s_and_saveexec_b32 s0, vcc_lo
	s_xor_b32 s0, exec_lo, s0
; %bb.233:
	v_bfe_u32 v0, v4, 16, 1
	s_delay_alu instid0(VALU_DEP_1)
	v_add3_u32 v0, v4, v0, 0x7fff
                                        ; implicit-def: $vgpr1_vgpr2_vgpr3_vgpr4
; %bb.234:
	s_and_not1_saveexec_b32 s0, s0
; %bb.235:
	v_and_b32_e32 v0, 0xffff, v4
	v_or_b32_e32 v1, 0x10000, v4
	s_delay_alu instid0(VALU_DEP_2) | instskip(NEXT) | instid1(VALU_DEP_2)
	v_cmp_eq_u32_e32 vcc_lo, 0, v0
	v_cndmask_b32_e32 v0, v1, v4, vcc_lo
; %bb.236:
	s_or_b32 exec_lo, exec_lo, s0
	global_store_d16_hi_b16 v[5:6], v0, off offset:192
.LBB155_237:
	s_nop 0
	s_sendmsg sendmsg(MSG_DEALLOC_VGPRS)
	s_endpgm
	.section	.rodata,"a",@progbits
	.p2align	6, 0x0
	.amdhsa_kernel _ZN4vllm25paged_attention_v2_kernelI14__hip_bfloat16S1_Li120ELi8ELi128ELNS_18Fp8KVCacheDataTypeE0ELb0ELi512EEEvPfS3_PT_PKS4_PKT0_SA_ifPKiSC_iPKfiiiSE_SE_iiiii
		.amdhsa_group_segment_fixed_size 272
		.amdhsa_private_segment_fixed_size 0
		.amdhsa_kernarg_size 400
		.amdhsa_user_sgpr_count 13
		.amdhsa_user_sgpr_dispatch_ptr 0
		.amdhsa_user_sgpr_queue_ptr 0
		.amdhsa_user_sgpr_kernarg_segment_ptr 1
		.amdhsa_user_sgpr_dispatch_id 0
		.amdhsa_user_sgpr_private_segment_size 0
		.amdhsa_wavefront_size32 1
		.amdhsa_uses_dynamic_stack 0
		.amdhsa_enable_private_segment 0
		.amdhsa_system_sgpr_workgroup_id_x 1
		.amdhsa_system_sgpr_workgroup_id_y 1
		.amdhsa_system_sgpr_workgroup_id_z 1
		.amdhsa_system_sgpr_workgroup_info 0
		.amdhsa_system_vgpr_workitem_id 0
		.amdhsa_next_free_vgpr 65
		.amdhsa_next_free_sgpr 40
		.amdhsa_reserve_vcc 1
		.amdhsa_float_round_mode_32 0
		.amdhsa_float_round_mode_16_64 0
		.amdhsa_float_denorm_mode_32 3
		.amdhsa_float_denorm_mode_16_64 3
		.amdhsa_dx10_clamp 1
		.amdhsa_ieee_mode 1
		.amdhsa_fp16_overflow 0
		.amdhsa_workgroup_processor_mode 1
		.amdhsa_memory_ordered 1
		.amdhsa_forward_progress 0
		.amdhsa_shared_vgpr_count 0
		.amdhsa_exception_fp_ieee_invalid_op 0
		.amdhsa_exception_fp_denorm_src 0
		.amdhsa_exception_fp_ieee_div_zero 0
		.amdhsa_exception_fp_ieee_overflow 0
		.amdhsa_exception_fp_ieee_underflow 0
		.amdhsa_exception_fp_ieee_inexact 0
		.amdhsa_exception_int_div_zero 0
	.end_amdhsa_kernel
	.section	.text._ZN4vllm25paged_attention_v2_kernelI14__hip_bfloat16S1_Li120ELi8ELi128ELNS_18Fp8KVCacheDataTypeE0ELb0ELi512EEEvPfS3_PT_PKS4_PKT0_SA_ifPKiSC_iPKfiiiSE_SE_iiiii,"axG",@progbits,_ZN4vllm25paged_attention_v2_kernelI14__hip_bfloat16S1_Li120ELi8ELi128ELNS_18Fp8KVCacheDataTypeE0ELb0ELi512EEEvPfS3_PT_PKS4_PKT0_SA_ifPKiSC_iPKfiiiSE_SE_iiiii,comdat
.Lfunc_end155:
	.size	_ZN4vllm25paged_attention_v2_kernelI14__hip_bfloat16S1_Li120ELi8ELi128ELNS_18Fp8KVCacheDataTypeE0ELb0ELi512EEEvPfS3_PT_PKS4_PKT0_SA_ifPKiSC_iPKfiiiSE_SE_iiiii, .Lfunc_end155-_ZN4vllm25paged_attention_v2_kernelI14__hip_bfloat16S1_Li120ELi8ELi128ELNS_18Fp8KVCacheDataTypeE0ELb0ELi512EEEvPfS3_PT_PKS4_PKT0_SA_ifPKiSC_iPKfiiiSE_SE_iiiii
                                        ; -- End function
	.section	.AMDGPU.csdata,"",@progbits
; Kernel info:
; codeLenInByte = 10340
; NumSgprs: 42
; NumVgprs: 65
; ScratchSize: 0
; MemoryBound: 0
; FloatMode: 240
; IeeeMode: 1
; LDSByteSize: 272 bytes/workgroup (compile time only)
; SGPRBlocks: 5
; VGPRBlocks: 8
; NumSGPRsForWavesPerEU: 42
; NumVGPRsForWavesPerEU: 65
; Occupancy: 16
; WaveLimiterHint : 1
; COMPUTE_PGM_RSRC2:SCRATCH_EN: 0
; COMPUTE_PGM_RSRC2:USER_SGPR: 13
; COMPUTE_PGM_RSRC2:TRAP_HANDLER: 0
; COMPUTE_PGM_RSRC2:TGID_X_EN: 1
; COMPUTE_PGM_RSRC2:TGID_Y_EN: 1
; COMPUTE_PGM_RSRC2:TGID_Z_EN: 1
; COMPUTE_PGM_RSRC2:TIDIG_COMP_CNT: 0
	.section	.text._ZN4vllm25paged_attention_v2_kernelI14__hip_bfloat16S1_Li128ELi8ELi128ELNS_18Fp8KVCacheDataTypeE0ELb0ELi512EEEvPfS3_PT_PKS4_PKT0_SA_ifPKiSC_iPKfiiiSE_SE_iiiii,"axG",@progbits,_ZN4vllm25paged_attention_v2_kernelI14__hip_bfloat16S1_Li128ELi8ELi128ELNS_18Fp8KVCacheDataTypeE0ELb0ELi512EEEvPfS3_PT_PKS4_PKT0_SA_ifPKiSC_iPKfiiiSE_SE_iiiii,comdat
	.protected	_ZN4vllm25paged_attention_v2_kernelI14__hip_bfloat16S1_Li128ELi8ELi128ELNS_18Fp8KVCacheDataTypeE0ELb0ELi512EEEvPfS3_PT_PKS4_PKT0_SA_ifPKiSC_iPKfiiiSE_SE_iiiii ; -- Begin function _ZN4vllm25paged_attention_v2_kernelI14__hip_bfloat16S1_Li128ELi8ELi128ELNS_18Fp8KVCacheDataTypeE0ELb0ELi512EEEvPfS3_PT_PKS4_PKT0_SA_ifPKiSC_iPKfiiiSE_SE_iiiii
	.globl	_ZN4vllm25paged_attention_v2_kernelI14__hip_bfloat16S1_Li128ELi8ELi128ELNS_18Fp8KVCacheDataTypeE0ELb0ELi512EEEvPfS3_PT_PKS4_PKT0_SA_ifPKiSC_iPKfiiiSE_SE_iiiii
	.p2align	8
	.type	_ZN4vllm25paged_attention_v2_kernelI14__hip_bfloat16S1_Li128ELi8ELi128ELNS_18Fp8KVCacheDataTypeE0ELb0ELi512EEEvPfS3_PT_PKS4_PKT0_SA_ifPKiSC_iPKfiiiSE_SE_iiiii,@function
_ZN4vllm25paged_attention_v2_kernelI14__hip_bfloat16S1_Li128ELi8ELi128ELNS_18Fp8KVCacheDataTypeE0ELb0ELi512EEEvPfS3_PT_PKS4_PKT0_SA_ifPKiSC_iPKfiiiSE_SE_iiiii: ; @_ZN4vllm25paged_attention_v2_kernelI14__hip_bfloat16S1_Li128ELi8ELi128ELNS_18Fp8KVCacheDataTypeE0ELb0ELi512EEEvPfS3_PT_PKS4_PKT0_SA_ifPKiSC_iPKfiiiSE_SE_iiiii
; %bb.0:
	s_load_b64 s[2:3], s[0:1], 0x40
	s_mov_b32 s12, s15
	s_ashr_i32 s15, s14, 31
	s_delay_alu instid0(SALU_CYCLE_1)
	s_lshl_b64 s[4:5], s[14:15], 2
	s_waitcnt lgkmcnt(0)
	s_add_u32 s2, s2, s4
	s_addc_u32 s3, s3, s5
	s_lshl_b32 s34, s12, 9
	s_load_b32 s33, s[2:3], 0x0
	s_waitcnt lgkmcnt(0)
	s_cmp_ge_i32 s34, s33
	s_cbranch_scc1 .LBB156_228
; %bb.1:
	s_mov_b32 s20, s13
	s_clause 0x1
	s_load_b32 s13, s[0:1], 0x90
	s_load_b64 s[30:31], s[0:1], 0x30
	s_waitcnt lgkmcnt(0)
	s_abs_i32 s5, s13
	s_abs_i32 s2, s30
	s_delay_alu instid0(SALU_CYCLE_1) | instskip(SKIP_1) | instid1(VALU_DEP_1)
	v_cvt_f32_u32_e32 v1, s2
	s_sub_i32 s4, 0, s2
	v_rcp_iflag_f32_e32 v1, v1
	s_waitcnt_depctr 0xfff
	v_mul_f32_e32 v1, 0x4f7ffffe, v1
	s_delay_alu instid0(VALU_DEP_1) | instskip(NEXT) | instid1(VALU_DEP_1)
	v_cvt_u32_f32_e32 v1, v1
	v_readfirstlane_b32 s3, v1
	s_delay_alu instid0(VALU_DEP_1) | instskip(NEXT) | instid1(SALU_CYCLE_1)
	s_mul_i32 s4, s4, s3
	s_mul_hi_u32 s4, s3, s4
	s_delay_alu instid0(SALU_CYCLE_1)
	s_add_i32 s3, s3, s4
	s_xor_b32 s4, s13, s30
	s_mul_hi_u32 s3, s5, s3
	s_ashr_i32 s4, s4, 31
	s_mul_i32 s6, s3, s2
	s_mov_b32 s30, 0
	s_sub_i32 s5, s5, s6
	s_add_i32 s6, s3, 1
	s_sub_i32 s7, s5, s2
	s_cmp_ge_u32 s5, s2
	s_cselect_b32 s3, s6, s3
	s_cselect_b32 s5, s7, s5
	s_add_i32 s6, s3, 1
	s_cmp_ge_u32 s5, s2
	s_cselect_b32 s2, s6, s3
	s_abs_i32 s10, s20
	s_xor_b32 s2, s2, s4
	s_delay_alu instid0(SALU_CYCLE_1) | instskip(SKIP_2) | instid1(SALU_CYCLE_1)
	s_sub_i32 s11, s2, s4
	s_load_b64 s[2:3], s[0:1], 0x50
	s_abs_i32 s8, s11
	v_cvt_f32_u32_e32 v1, s8
	s_sub_i32 s5, 0, s8
	s_delay_alu instid0(VALU_DEP_1) | instskip(SKIP_2) | instid1(VALU_DEP_1)
	v_rcp_iflag_f32_e32 v1, v1
	s_waitcnt_depctr 0xfff
	v_mul_f32_e32 v1, 0x4f7ffffe, v1
	v_cvt_u32_f32_e32 v1, v1
	s_delay_alu instid0(VALU_DEP_1) | instskip(NEXT) | instid1(VALU_DEP_1)
	v_readfirstlane_b32 s4, v1
	s_mul_i32 s5, s5, s4
	s_delay_alu instid0(SALU_CYCLE_1) | instskip(NEXT) | instid1(SALU_CYCLE_1)
	s_mul_hi_u32 s5, s4, s5
	s_add_i32 s4, s4, s5
	s_waitcnt lgkmcnt(0)
	s_cmp_eq_u64 s[2:3], 0
	s_mul_hi_u32 s9, s10, s4
	s_cbranch_scc1 .LBB156_3
; %bb.2:
	s_ashr_i32 s21, s20, 31
	s_delay_alu instid0(SALU_CYCLE_1) | instskip(NEXT) | instid1(SALU_CYCLE_1)
	s_lshl_b64 s[4:5], s[20:21], 2
	s_add_u32 s2, s2, s4
	s_addc_u32 s3, s3, s5
	s_load_b32 s30, s[2:3], 0x0
.LBB156_3:
	s_load_b128 s[4:7], s[0:1], 0x58
	v_and_b32_e32 v3, 3, v0
	v_cmp_gt_u32_e64 s2, 64, v0
	v_lshlrev_b32_e32 v14, 2, v0
	s_ashr_i32 s3, s20, 31
	s_ashr_i32 s11, s11, 31
	s_lshl_b32 s16, s20, 7
	s_waitcnt lgkmcnt(0)
	s_and_saveexec_b32 s7, s2
	s_cbranch_execz .LBB156_5
; %bb.4:
	s_load_b64 s[18:19], s[0:1], 0x18
	s_mul_i32 s22, s14, s4
	v_and_b32_e32 v2, 0x3fc, v0
	s_ashr_i32 s23, s22, 31
	s_delay_alu instid0(SALU_CYCLE_1) | instskip(NEXT) | instid1(VALU_DEP_1)
	s_lshl_b64 s[22:23], s[22:23], 1
	v_lshl_add_u32 v2, v3, 6, v2
	s_waitcnt lgkmcnt(0)
	s_add_u32 s4, s18, s22
	s_addc_u32 s15, s19, s23
	s_ashr_i32 s17, s16, 31
	s_delay_alu instid0(SALU_CYCLE_1) | instskip(NEXT) | instid1(SALU_CYCLE_1)
	s_lshl_b64 s[18:19], s[16:17], 1
	s_add_u32 s18, s4, s18
	s_addc_u32 s19, s15, s19
	global_load_b32 v1, v14, s[18:19]
	s_waitcnt vmcnt(0)
	ds_store_b32 v2, v1
.LBB156_5:
	s_or_b32 exec_lo, exec_lo, s7
	s_add_i32 s4, s33, 7
	s_lshl_b32 s7, s12, 6
	s_ashr_i32 s15, s4, 31
	s_xor_b32 s3, s3, s11
	s_lshr_b32 s15, s15, 29
	s_add_i32 s11, s7, 64
	s_add_i32 s4, s4, s15
	v_lshrrev_b32_e32 v15, 5, v0
	s_ashr_i32 s21, s4, 3
	s_mul_i32 s4, s9, s8
	s_min_i32 s17, s11, s21
	s_clause 0x1
	s_load_b64 s[22:23], s[0:1], 0x38
	s_load_b32 s11, s[0:1], 0x48
	s_sub_i32 s4, s10, s4
	s_add_i32 s10, s9, 1
	s_sub_i32 s15, s4, s8
	s_cmp_ge_u32 s4, s8
	v_or_b32_e32 v1, s7, v15
	s_cselect_b32 s9, s10, s9
	s_cselect_b32 s4, s15, s4
	s_add_i32 s10, s9, 1
	s_cmp_ge_u32 s4, s8
	v_mbcnt_lo_u32_b32 v6, -1, 0
	s_cselect_b32 s4, s10, s9
	s_mov_b32 s8, exec_lo
	s_xor_b32 s4, s4, s3
	s_waitcnt lgkmcnt(0)
	s_sub_i32 s4, s4, s3
	v_cmp_gt_i32_e64 s3, s17, v1
	s_barrier
	buffer_gl0_inv
                                        ; implicit-def: $sgpr28
                                        ; implicit-def: $vgpr7
	s_mul_i32 s24, s14, s11
	s_delay_alu instid0(SALU_CYCLE_1)
	s_ashr_i32 s25, s24, 31
	v_cmpx_le_i32_e64 s17, v1
	s_xor_b32 s8, exec_lo, s8
; %bb.6:
	v_mbcnt_lo_u32_b32 v6, -1, 0
	v_mov_b32_e32 v7, 32
	s_mov_b32 s28, 0xff7fffff
                                        ; implicit-def: $vgpr3
; %bb.7:
	s_or_saveexec_b32 s35, s8
	s_clause 0x3
	s_load_b128 s[8:11], s[0:1], 0x0
	s_load_b64 s[18:19], s[0:1], 0x10
	s_load_b64 s[26:27], s[0:1], 0x28
	s_load_b32 s15, s[0:1], 0x98
	v_mov_b32_e32 v41, s28
	v_ashrrev_i32_e32 v2, 31, v1
	v_lshlrev_b32_e32 v5, 3, v15
	s_mul_i32 s28, s4, s6
	s_xor_b32 exec_lo, exec_lo, s35
	s_cbranch_execz .LBB156_13
; %bb.8:
	s_load_b64 s[0:1], s[0:1], 0x20
	v_lshlrev_b32_e32 v4, 6, v3
	v_bfe_u32 v47, v0, 2, 3
	s_ashr_i32 s29, s28, 31
	v_and_b32_e32 v7, 12, v14
	s_lshl_b64 s[36:37], s[28:29], 1
	ds_load_b128 v[16:19], v4
	v_lshlrev_b32_e32 v8, 4, v47
	ds_load_b128 v[24:27], v4 offset:16
	ds_load_b128 v[32:35], v4 offset:32
	ds_load_b128 v[41:44], v4 offset:48
	v_lshlrev_b32_e32 v48, 2, v47
	v_add3_u32 v47, s34, v5, v47
	s_mov_b32 s29, 0
	v_mov_b32_e32 v49, v1
	s_waitcnt lgkmcnt(0)
	s_add_u32 s0, s0, s36
	s_addc_u32 s1, s1, s37
	v_add_co_u32 v4, s0, s0, v8
	s_delay_alu instid0(VALU_DEP_1) | instskip(SKIP_2) | instid1(VALU_DEP_4)
	v_add_co_ci_u32_e64 v20, null, s1, 0, s0
	v_lshlrev_b32_e32 v12, 16, v18
	v_and_b32_e32 v13, 0xffff0000, v18
	v_add_co_u32 v18, vcc_lo, v4, v7
	v_xor_b32_e32 v4, 2, v6
	v_and_b32_e32 v9, 0xffff0000, v16
	v_lshlrev_b32_e32 v10, 16, v17
	v_and_b32_e32 v11, 0xffff0000, v17
	v_and_b32_e32 v17, 0xffff0000, v19
	v_xor_b32_e32 v7, 1, v6
	v_lshlrev_b32_e32 v8, 16, v16
	v_lshlrev_b32_e32 v16, 16, v19
	v_add_co_ci_u32_e32 v19, vcc_lo, 0, v20, vcc_lo
	v_cmp_gt_i32_e32 vcc_lo, 32, v4
	v_lshlrev_b32_e32 v36, 16, v41
	v_and_b32_e32 v37, 0xffff0000, v41
	s_lshl_b64 s[36:37], s[24:25], 2
	s_sub_i32 s6, 1, s33
	v_cndmask_b32_e32 v4, v6, v4, vcc_lo
	v_cmp_gt_i32_e32 vcc_lo, 32, v7
	s_add_u32 s1, s22, s36
	s_addc_u32 s4, s23, s37
	v_lshlrev_b32_e32 v20, 16, v24
	v_lshlrev_b32_e32 v45, 2, v4
	v_cndmask_b32_e32 v41, v6, v7, vcc_lo
	v_cmp_eq_u32_e32 vcc_lo, 0, v3
	v_lshlrev_b64 v[3:4], 2, v[1:2]
	v_and_b32_e32 v21, 0xffff0000, v24
	v_lshlrev_b32_e32 v22, 16, v25
	v_lshlrev_b32_e32 v46, 2, v41
	v_lshl_or_b32 v41, v15, 5, v48
	v_and_b32_e32 v23, 0xffff0000, v25
	v_add_co_u32 v3, s1, s1, v3
	v_lshlrev_b32_e32 v24, 16, v26
	v_and_b32_e32 v25, 0xffff0000, v26
	v_lshlrev_b32_e32 v26, 16, v27
	v_and_b32_e32 v27, 0xffff0000, v27
	;; [unrolled: 2-line block ×8, first 2 shown]
	v_lshlrev_b32_e32 v43, 16, v44
	v_dual_mov_b32 v7, 32 :: v_dual_and_b32 v44, 0xffff0000, v44
	v_cmp_neq_f32_e64 s0, s30, 0
	v_add_nc_u32_e32 v48, 0x120, v41
	v_add_co_ci_u32_e64 v4, s1, s4, v4, s1
	v_mov_b32_e32 v41, 0xff7fffff
	s_mov_b32 s36, s5
	s_branch .LBB156_10
.LBB156_9:                              ;   in Loop: Header=BB156_10 Depth=1
	s_or_b32 exec_lo, exec_lo, s4
	v_add_nc_u32_e32 v49, 4, v49
	v_add_co_u32 v3, s4, v3, 16
	v_add_nc_u32_e32 v47, 32, v47
	v_add_nc_u32_e32 v48, 0x80, v48
	s_delay_alu instid0(VALU_DEP_4) | instskip(SKIP_1) | instid1(VALU_DEP_2)
	v_cmp_le_i32_e64 s1, s17, v49
	v_add_co_ci_u32_e64 v4, s4, 0, v4, s4
	s_or_b32 s29, s1, s29
	s_delay_alu instid0(SALU_CYCLE_1)
	s_and_not1_b32 exec_lo, exec_lo, s29
	s_cbranch_execz .LBB156_12
.LBB156_10:                             ; =>This Inner Loop Header: Depth=1
	global_load_b32 v52, v[3:4], off
	s_waitcnt vmcnt(0) lgkmcnt(0)
	v_mad_i64_i32 v[50:51], null, v52, s36, 0
	s_delay_alu instid0(VALU_DEP_1) | instskip(NEXT) | instid1(VALU_DEP_1)
	v_lshlrev_b64 v[50:51], 1, v[50:51]
	v_add_co_u32 v50, s1, v18, v50
	s_delay_alu instid0(VALU_DEP_1)
	v_add_co_ci_u32_e64 v51, s1, v19, v51, s1
	s_clause 0xf
	global_load_b32 v52, v[50:51], off offset:128
	global_load_b32 v53, v[50:51], off
	global_load_b32 v54, v[50:51], off offset:256
	global_load_b32 v55, v[50:51], off offset:384
	;; [unrolled: 1-line block ×14, first 2 shown]
	s_waitcnt vmcnt(14)
	v_lshlrev_b32_e32 v67, 16, v53
	s_waitcnt vmcnt(13)
	v_lshlrev_b32_e32 v68, 16, v54
	v_and_b32_e32 v54, 0xffff0000, v54
	v_and_b32_e32 v53, 0xffff0000, v53
	v_lshlrev_b32_e32 v51, 16, v52
	v_and_b32_e32 v52, 0xffff0000, v52
	s_delay_alu instid0(VALU_DEP_1) | instskip(NEXT) | instid1(VALU_DEP_1)
	v_mul_f32_e32 v52, v11, v52
	v_dual_fmac_f32 v52, v9, v53 :: v_dual_mul_f32 v51, v10, v51
	s_delay_alu instid0(VALU_DEP_1) | instskip(NEXT) | instid1(VALU_DEP_1)
	v_fmac_f32_e32 v51, v8, v67
	v_dual_fmac_f32 v51, v12, v68 :: v_dual_fmac_f32 v52, v13, v54
	s_waitcnt vmcnt(11)
	v_lshlrev_b32_e32 v54, 16, v56
	v_and_b32_e32 v56, 0xffff0000, v56
	v_lshlrev_b32_e32 v53, 16, v55
	v_and_b32_e32 v55, 0xffff0000, v55
	s_waitcnt vmcnt(10)
	s_delay_alu instid0(VALU_DEP_1) | instskip(NEXT) | instid1(VALU_DEP_1)
	v_dual_fmac_f32 v52, v17, v55 :: v_dual_and_b32 v55, 0xffff0000, v57
	v_dual_fmac_f32 v52, v21, v56 :: v_dual_fmac_f32 v51, v16, v53
	v_lshlrev_b32_e32 v53, 16, v57
	s_delay_alu instid0(VALU_DEP_2) | instskip(SKIP_1) | instid1(VALU_DEP_1)
	v_fmac_f32_e32 v51, v20, v54
	s_waitcnt vmcnt(9)
	v_dual_fmac_f32 v51, v22, v53 :: v_dual_lshlrev_b32 v54, 16, v58
	v_fmac_f32_e32 v52, v23, v55
	s_waitcnt vmcnt(8)
	v_lshlrev_b32_e32 v53, 16, v59
	v_and_b32_e32 v55, 0xffff0000, v59
	v_fmac_f32_e32 v51, v24, v54
	s_delay_alu instid0(VALU_DEP_1) | instskip(SKIP_1) | instid1(VALU_DEP_1)
	v_dual_fmac_f32 v51, v26, v53 :: v_dual_and_b32 v56, 0xffff0000, v58
	s_waitcnt vmcnt(6)
	v_dual_fmac_f32 v52, v25, v56 :: v_dual_lshlrev_b32 v53, 16, v61
	v_lshlrev_b32_e32 v54, 16, v60
	v_and_b32_e32 v56, 0xffff0000, v60
	s_delay_alu instid0(VALU_DEP_3) | instskip(NEXT) | instid1(VALU_DEP_1)
	v_dual_fmac_f32 v52, v27, v55 :: v_dual_and_b32 v55, 0xffff0000, v61
	v_dual_fmac_f32 v51, v28, v54 :: v_dual_fmac_f32 v52, v29, v56
	s_delay_alu instid0(VALU_DEP_1) | instskip(SKIP_3) | instid1(VALU_DEP_1)
	v_fmac_f32_e32 v51, v30, v53
	s_waitcnt vmcnt(4)
	v_lshlrev_b32_e32 v53, 16, v63
	v_lshlrev_b32_e32 v54, 16, v62
	v_dual_fmac_f32 v52, v31, v55 :: v_dual_fmac_f32 v51, v32, v54
	s_waitcnt vmcnt(3)
	s_delay_alu instid0(VALU_DEP_1) | instskip(SKIP_2) | instid1(VALU_DEP_2)
	v_dual_fmac_f32 v51, v34, v53 :: v_dual_lshlrev_b32 v54, 16, v64
	s_waitcnt vmcnt(2)
	v_lshlrev_b32_e32 v53, 16, v65
	v_fmac_f32_e32 v51, v36, v54
	v_and_b32_e32 v56, 0xffff0000, v62
	s_waitcnt vmcnt(1)
	s_delay_alu instid0(VALU_DEP_2) | instskip(NEXT) | instid1(VALU_DEP_2)
	v_dual_fmac_f32 v51, v38, v53 :: v_dual_lshlrev_b32 v54, 16, v66
	v_fmac_f32_e32 v52, v33, v56
	v_and_b32_e32 v56, 0xffff0000, v64
	s_waitcnt vmcnt(0)
	v_lshlrev_b32_e32 v53, 16, v50
	v_and_b32_e32 v50, 0xffff0000, v50
	v_fmac_f32_e32 v51, v40, v54
	s_delay_alu instid0(VALU_DEP_1) | instskip(SKIP_1) | instid1(VALU_DEP_1)
	v_fmac_f32_e32 v51, v43, v53
	v_and_b32_e32 v55, 0xffff0000, v63
	v_dual_fmac_f32 v52, v35, v55 :: v_dual_and_b32 v55, 0xffff0000, v65
	s_delay_alu instid0(VALU_DEP_1) | instskip(SKIP_1) | instid1(VALU_DEP_2)
	v_fmac_f32_e32 v52, v37, v56
	v_and_b32_e32 v56, 0xffff0000, v66
	v_fmac_f32_e32 v52, v39, v55
	s_delay_alu instid0(VALU_DEP_1) | instskip(NEXT) | instid1(VALU_DEP_1)
	v_fmac_f32_e32 v52, v42, v56
	v_fmac_f32_e32 v52, v44, v50
	s_delay_alu instid0(VALU_DEP_1)
	v_add_f32_e32 v50, v51, v52
	ds_bpermute_b32 v51, v45, v50
	s_waitcnt lgkmcnt(0)
	v_add_f32_e32 v50, v50, v51
	ds_bpermute_b32 v51, v46, v50
	s_and_saveexec_b32 s4, vcc_lo
	s_cbranch_execz .LBB156_9
; %bb.11:                               ;   in Loop: Header=BB156_10 Depth=1
	s_waitcnt lgkmcnt(0)
	v_add_f32_e32 v50, v50, v51
	v_add_nc_u32_e32 v52, s6, v47
	v_cmp_gt_i32_e64 s1, s33, v47
	s_delay_alu instid0(VALU_DEP_2) | instskip(NEXT) | instid1(VALU_DEP_1)
	v_cvt_f32_i32_e32 v52, v52
	v_mul_f32_e32 v52, s30, v52
	s_delay_alu instid0(VALU_DEP_1) | instskip(NEXT) | instid1(VALU_DEP_1)
	v_cndmask_b32_e64 v51, 0, v52, s0
	v_dual_max_f32 v52, v41, v41 :: v_dual_fmac_f32 v51, s31, v50
	s_delay_alu instid0(VALU_DEP_1) | instskip(SKIP_1) | instid1(VALU_DEP_2)
	v_max_f32_e32 v50, v52, v51
	v_cndmask_b32_e64 v51, 0, v51, s1
	v_cndmask_b32_e64 v41, v41, v50, s1
	ds_store_b32 v48, v51
	s_branch .LBB156_9
.LBB156_12:
	s_or_b32 exec_lo, exec_lo, s29
.LBB156_13:
	s_delay_alu instid0(SALU_CYCLE_1) | instskip(SKIP_4) | instid1(VALU_DEP_4)
	s_or_b32 exec_lo, exec_lo, s35
	v_xor_b32_e32 v3, 16, v6
	v_xor_b32_e32 v8, 8, v6
	v_xor_b32_e32 v10, 4, v6
	v_dual_max_f32 v9, v41, v41 :: v_dual_and_b32 v16, 31, v0
	v_cmp_lt_i32_e32 vcc_lo, v3, v7
	v_cndmask_b32_e32 v3, v6, v3, vcc_lo
	v_cmp_lt_i32_e32 vcc_lo, v8, v7
	v_cndmask_b32_e32 v8, v6, v8, vcc_lo
	v_cmp_lt_i32_e32 vcc_lo, v10, v7
	s_delay_alu instid0(VALU_DEP_2)
	v_lshlrev_b32_e32 v8, 2, v8
	v_lshlrev_b32_e32 v4, 2, v3
	v_cndmask_b32_e32 v10, v6, v10, vcc_lo
	v_cmp_eq_u32_e32 vcc_lo, 0, v16
	ds_bpermute_b32 v3, v4, v41
	v_lshlrev_b32_e32 v11, 2, v10
	s_waitcnt lgkmcnt(0)
	v_max_f32_e32 v3, v3, v3
	s_delay_alu instid0(VALU_DEP_1) | instskip(SKIP_3) | instid1(VALU_DEP_1)
	v_max_f32_e32 v3, v9, v3
	ds_bpermute_b32 v9, v8, v3
	s_waitcnt lgkmcnt(0)
	v_max_f32_e32 v9, v9, v9
	v_max_f32_e32 v3, v3, v9
	v_lshlrev_b32_e32 v9, 2, v15
	ds_bpermute_b32 v10, v11, v3
	s_and_saveexec_b32 s0, vcc_lo
	s_cbranch_execz .LBB156_15
; %bb.14:
	s_waitcnt lgkmcnt(0)
	v_dual_max_f32 v10, v10, v10 :: v_dual_max_f32 v3, v3, v3
	s_delay_alu instid0(VALU_DEP_1)
	v_max_f32_e32 v3, v3, v10
	ds_store_b32 v9, v3 offset:256
.LBB156_15:
	s_or_b32 exec_lo, exec_lo, s0
	v_cmp_gt_u32_e64 s0, 4, v16
	s_waitcnt lgkmcnt(0)
	v_dual_mov_b32 v3, 0xff7fffff :: v_dual_lshlrev_b32 v10, 2, v16
	s_barrier
	buffer_gl0_inv
	s_and_saveexec_b32 s1, s0
	s_cbranch_execz .LBB156_17
; %bb.16:
	ds_load_b32 v3, v10 offset:256
.LBB156_17:
	s_or_b32 exec_lo, exec_lo, s1
	v_xor_b32_e32 v12, 2, v6
	v_xor_b32_e32 v17, 1, v6
	s_delay_alu instid0(VALU_DEP_2) | instskip(NEXT) | instid1(VALU_DEP_1)
	v_cmp_lt_i32_e64 s1, v12, v7
	v_cndmask_b32_e64 v12, v6, v12, s1
	s_delay_alu instid0(VALU_DEP_3) | instskip(NEXT) | instid1(VALU_DEP_2)
	v_cmp_lt_i32_e64 s1, v17, v7
	v_lshlrev_b32_e32 v12, 2, v12
	s_delay_alu instid0(VALU_DEP_2)
	v_cndmask_b32_e64 v7, v6, v17, s1
	s_sub_i32 s1, s17, s7
	v_mov_b32_e32 v17, 0
	s_lshl_b32 s1, s1, 3
	s_waitcnt lgkmcnt(0)
	ds_bpermute_b32 v13, v12, v3
	v_max_f32_e32 v3, v3, v3
	v_lshlrev_b32_e32 v7, 2, v7
	s_add_i32 s1, s1, s34
	v_lshlrev_b32_e32 v6, 2, v6
	s_min_i32 s1, s1, s33
	s_delay_alu instid0(SALU_CYCLE_1) | instskip(NEXT) | instid1(SALU_CYCLE_1)
	s_sub_i32 s6, s1, s34
	v_cmp_gt_i32_e64 s1, s6, v0
	s_waitcnt lgkmcnt(0)
	v_max_f32_e32 v13, v13, v13
	s_delay_alu instid0(VALU_DEP_1) | instskip(SKIP_3) | instid1(VALU_DEP_1)
	v_max_f32_e32 v3, v3, v13
	ds_bpermute_b32 v13, v7, v3
	s_waitcnt lgkmcnt(0)
	v_max_f32_e32 v13, v13, v13
	v_max_f32_e32 v3, v3, v13
	v_and_b32_e32 v13, 0xffffff80, v6
	v_lshl_add_u32 v6, v0, 2, 0x120
	ds_bpermute_b32 v3, v13, v3
	s_and_saveexec_b32 s7, s1
	s_cbranch_execz .LBB156_21
; %bb.18:
	v_lshl_add_u32 v18, v0, 2, 0x120
	v_mov_b32_e32 v17, 0
	v_mov_b32_e32 v19, v0
	s_mov_b32 s29, 0
	.p2align	6
.LBB156_19:                             ; =>This Inner Loop Header: Depth=1
	ds_load_b32 v20, v18
	v_add_nc_u32_e32 v19, 0x80, v19
	s_delay_alu instid0(VALU_DEP_1) | instskip(NEXT) | instid1(VALU_DEP_1)
	v_cmp_le_i32_e64 s4, s6, v19
	s_or_b32 s29, s4, s29
	s_waitcnt lgkmcnt(0)
	v_sub_f32_e32 v20, v20, v3
	s_delay_alu instid0(VALU_DEP_1) | instskip(NEXT) | instid1(VALU_DEP_1)
	v_mul_f32_e32 v20, 0x3fb8aa3b, v20
	v_exp_f32_e32 v20, v20
	ds_store_b32 v18, v20
	v_dual_add_f32 v17, v17, v20 :: v_dual_add_nc_u32 v18, 0x200, v18
	s_and_not1_b32 exec_lo, exec_lo, s29
	s_cbranch_execnz .LBB156_19
; %bb.20:
	s_or_b32 exec_lo, exec_lo, s29
.LBB156_21:
	s_delay_alu instid0(SALU_CYCLE_1)
	s_or_b32 exec_lo, exec_lo, s7
	ds_bpermute_b32 v4, v4, v17
	s_waitcnt lgkmcnt(0)
	v_add_f32_e32 v4, v17, v4
	ds_bpermute_b32 v8, v8, v4
	s_waitcnt lgkmcnt(0)
	v_add_f32_e32 v4, v4, v8
	;; [unrolled: 3-line block ×5, first 2 shown]
	s_and_saveexec_b32 s4, vcc_lo
	s_cbranch_execz .LBB156_23
; %bb.22:
	ds_store_b32 v9, v4 offset:272
.LBB156_23:
	s_or_b32 exec_lo, exec_lo, s4
	s_waitcnt lgkmcnt(0)
	s_barrier
	buffer_gl0_inv
	s_and_saveexec_b32 s4, s0
	s_cbranch_execz .LBB156_25
; %bb.24:
	ds_load_b32 v4, v10 offset:272
.LBB156_25:
	s_or_b32 exec_lo, exec_lo, s4
	s_waitcnt lgkmcnt(0)
	ds_bpermute_b32 v8, v12, v4
	s_waitcnt lgkmcnt(0)
	v_add_f32_e32 v4, v4, v8
	ds_bpermute_b32 v7, v7, v4
	s_waitcnt lgkmcnt(0)
	v_add_f32_e32 v4, v4, v7
	ds_bpermute_b32 v4, v13, v4
	s_and_saveexec_b32 s0, s1
	s_cbranch_execz .LBB156_28
; %bb.26:
	s_waitcnt lgkmcnt(0)
	v_add_f32_e32 v7, 0x358637bd, v4
	s_mov_b32 s1, 0
	s_delay_alu instid0(VALU_DEP_1) | instskip(SKIP_1) | instid1(VALU_DEP_2)
	v_div_scale_f32 v8, null, v7, v7, 1.0
	v_div_scale_f32 v11, vcc_lo, 1.0, v7, 1.0
	v_rcp_f32_e32 v9, v8
	s_waitcnt_depctr 0xfff
	v_fma_f32 v10, -v8, v9, 1.0
	s_delay_alu instid0(VALU_DEP_1) | instskip(NEXT) | instid1(VALU_DEP_1)
	v_fmac_f32_e32 v9, v10, v9
	v_mul_f32_e32 v10, v11, v9
	s_delay_alu instid0(VALU_DEP_1) | instskip(NEXT) | instid1(VALU_DEP_1)
	v_fma_f32 v12, -v8, v10, v11
	v_fmac_f32_e32 v10, v12, v9
	s_delay_alu instid0(VALU_DEP_1) | instskip(NEXT) | instid1(VALU_DEP_1)
	v_fma_f32 v8, -v8, v10, v11
	v_div_fmas_f32 v8, v8, v9, v10
	s_delay_alu instid0(VALU_DEP_1)
	v_div_fixup_f32 v7, v8, v7, 1.0
	v_mov_b32_e32 v8, v0
.LBB156_27:                             ; =>This Inner Loop Header: Depth=1
	ds_load_b32 v9, v6
	s_waitcnt lgkmcnt(0)
	v_dual_mul_f32 v9, v7, v9 :: v_dual_add_nc_u32 v8, 0x80, v8
	s_delay_alu instid0(VALU_DEP_1) | instskip(SKIP_3) | instid1(SALU_CYCLE_1)
	v_cmp_le_i32_e32 vcc_lo, s6, v8
	ds_store_b32 v6, v9
	v_add_nc_u32_e32 v6, 0x200, v6
	s_or_b32 s1, vcc_lo, s1
	s_and_not1_b32 exec_lo, exec_lo, s1
	s_cbranch_execnz .LBB156_27
.LBB156_28:
	s_or_b32 exec_lo, exec_lo, s0
	s_mul_i32 s0, s15, s14
	s_waitcnt lgkmcnt(0)
	s_mul_i32 s6, s0, s13
	s_mov_b32 s0, exec_lo
	s_barrier
	buffer_gl0_inv
	v_cmpx_eq_u32_e32 0, v0
	s_cbranch_execz .LBB156_30
; %bb.29:
	s_ashr_i32 s7, s6, 31
	s_mul_i32 s36, s15, s20
	s_lshl_b64 s[30:31], s[6:7], 2
	v_mov_b32_e32 v6, 0
	s_add_u32 s1, s10, s30
	s_addc_u32 s4, s11, s31
	s_ashr_i32 s37, s36, 31
	s_delay_alu instid0(SALU_CYCLE_1) | instskip(NEXT) | instid1(SALU_CYCLE_1)
	s_lshl_b64 s[10:11], s[36:37], 2
	s_add_u32 s1, s1, s10
	s_addc_u32 s4, s4, s11
	s_ashr_i32 s13, s12, 31
	s_delay_alu instid0(SALU_CYCLE_1) | instskip(NEXT) | instid1(SALU_CYCLE_1)
	s_lshl_b64 s[36:37], s[12:13], 2
	s_add_u32 s38, s1, s36
	s_addc_u32 s39, s4, s37
	s_add_u32 s1, s8, s30
	s_addc_u32 s4, s9, s31
	;; [unrolled: 2-line block ×4, first 2 shown]
	s_clause 0x1
	global_store_b32 v6, v3, s[38:39]
	global_store_b32 v6, v4, s[8:9]
.LBB156_30:
	s_or_b32 exec_lo, exec_lo, s0
	v_dual_mov_b32 v3, 0 :: v_dual_mov_b32 v18, 0
	v_mov_b32_e32 v17, 0
	v_mov_b32_e32 v19, 0
	s_mov_b32 s4, 0
	s_and_saveexec_b32 s1, s3
	s_cbranch_execz .LBB156_202
; %bb.31:
	s_ashr_i32 s29, s28, 31
	v_mov_b32_e32 v19, 0
	v_lshlrev_b32_e32 v3, 4, v16
	s_lshl_b64 s[8:9], s[28:29], 1
	v_add3_u32 v22, s34, v5, 7
	s_add_u32 s0, s26, s8
	v_mov_b32_e32 v18, v19
	v_add_co_u32 v20, s0, s0, v3
	v_lshlrev_b64 v[3:4], 2, v[1:2]
	s_addc_u32 s7, s27, s9
	s_lshl_b64 s[8:9], s[24:25], 2
	s_add_i32 s3, s21, -1
	v_add_co_ci_u32_e64 v21, null, s7, 0, s0
	s_add_u32 s0, s22, s8
	s_addc_u32 s7, s23, s9
	v_add_co_u32 v12, vcc_lo, s0, v3
	v_lshl_add_u32 v2, v15, 5, 0x120
	v_add_co_ci_u32_e32 v13, vcc_lo, s7, v4, vcc_lo
	v_mov_b32_e32 v17, v19
	v_mov_b32_e32 v3, v19
	s_branch .LBB156_33
.LBB156_32:                             ;   in Loop: Header=BB156_33 Depth=1
	s_or_b32 exec_lo, exec_lo, s0
	v_and_b32_e32 v26, 0xffff0000, v26
	v_and_b32_e32 v31, 0xffff0000, v44
	;; [unrolled: 1-line block ×8, first 2 shown]
	v_dual_add_f32 v25, v25, v26 :: v_dual_and_b32 v26, 0xffff0000, v28
	v_and_b32_e32 v23, 0xffff0000, v23
	v_and_b32_e32 v10, 0xffff0000, v10
	;; [unrolled: 1-line block ×5, first 2 shown]
	s_delay_alu instid0(VALU_DEP_4)
	v_dual_add_f32 v10, v10, v11 :: v_dual_and_b32 v29, 0xffff0000, v29
	v_add_f32_e32 v11, v23, v24
	v_and_b32_e32 v23, 0xffff0000, v47
	v_and_b32_e32 v5, 0xffff0000, v5
	v_add_nc_u32_e32 v1, 4, v1
	v_add_co_u32 v12, s0, v12, 16
	v_dual_add_f32 v10, v10, v11 :: v_dual_and_b32 v11, 0xffff0000, v49
	v_dual_add_f32 v23, v32, v23 :: v_dual_and_b32 v24, 0xffff0000, v45
	v_and_b32_e32 v32, 0xffff0000, v53
	s_delay_alu instid0(VALU_DEP_3) | instskip(NEXT) | instid1(VALU_DEP_3)
	v_add_f32_e32 v10, v10, v25
	v_dual_add_f32 v5, v5, v29 :: v_dual_add_f32 v24, v31, v24
	v_cmp_le_i32_e32 vcc_lo, s17, v1
	s_delay_alu instid0(VALU_DEP_4) | instskip(SKIP_1) | instid1(VALU_DEP_4)
	v_add_f32_e32 v32, v33, v32
	v_add_nc_u32_e32 v22, 32, v22
	v_dual_add_f32 v23, v24, v23 :: v_dual_add_nc_u32 v2, 0x80, v2
	v_add_f32_e32 v24, v27, v26
	v_and_b32_e32 v26, 0xffff0000, v51
	v_and_b32_e32 v35, 0xffff0000, v59
	;; [unrolled: 1-line block ×5, first 2 shown]
	v_add_co_ci_u32_e64 v13, s0, 0, v13, s0
	s_or_b32 s4, vcc_lo, s4
	s_delay_alu instid0(VALU_DEP_3) | instskip(NEXT) | instid1(VALU_DEP_1)
	v_add_f32_e32 v4, v4, v8
	v_dual_add_f32 v4, v4, v5 :: v_dual_and_b32 v31, 0xffff0000, v48
	s_delay_alu instid0(VALU_DEP_1) | instskip(SKIP_3) | instid1(VALU_DEP_3)
	v_add_f32_e32 v11, v31, v11
	v_add_f32_e32 v5, v6, v30
	v_and_b32_e32 v31, 0xffff0000, v54
	v_dual_add_f32 v9, v25, v26 :: v_dual_and_b32 v6, 0xffff0000, v9
	v_dual_add_f32 v11, v23, v11 :: v_dual_add_f32 v4, v4, v5
	s_delay_alu instid0(VALU_DEP_3) | instskip(SKIP_1) | instid1(VALU_DEP_2)
	v_dual_add_f32 v28, v31, v28 :: v_dual_and_b32 v23, 0xffff0000, v57
	v_and_b32_e32 v34, 0xffff0000, v58
	v_dual_add_f32 v8, v32, v28 :: v_dual_and_b32 v7, 0xffff0000, v7
	v_and_b32_e32 v27, 0xffff0000, v56
	s_delay_alu instid0(VALU_DEP_2) | instskip(SKIP_1) | instid1(VALU_DEP_2)
	v_dual_add_f32 v5, v7, v6 :: v_dual_add_f32 v6, v10, v24
	v_add_f32_e32 v7, v11, v9
	v_dual_add_f32 v23, v27, v23 :: v_dual_add_f32 v4, v4, v5
	s_delay_alu instid0(VALU_DEP_2) | instskip(NEXT) | instid1(VALU_DEP_2)
	v_dual_add_f32 v19, v19, v6 :: v_dual_add_f32 v18, v18, v7
	v_add_f32_e32 v8, v8, v23
	v_add_f32_e32 v23, v34, v35
	s_delay_alu instid0(VALU_DEP_1) | instskip(NEXT) | instid1(VALU_DEP_1)
	v_dual_add_f32 v3, v3, v4 :: v_dual_add_f32 v8, v8, v23
	v_add_f32_e32 v17, v17, v8
	s_and_not1_b32 exec_lo, exec_lo, s4
	s_cbranch_execz .LBB156_201
.LBB156_33:                             ; =>This Inner Loop Header: Depth=1
	global_load_b32 v29, v[12:13], off
	ds_load_2addr_b64 v[8:11], v2 offset1:1
	ds_load_2addr_b64 v[4:7], v2 offset0:2 offset1:3
	s_mov_b32 s0, exec_lo
                                        ; implicit-def: $vgpr36
	s_waitcnt lgkmcnt(1)
	v_and_b32_e32 v23, 0x7f800000, v8
	s_delay_alu instid0(VALU_DEP_1)
	v_cmpx_ne_u32_e32 0x7f800000, v23
	s_xor_b32 s0, exec_lo, s0
; %bb.34:                               ;   in Loop: Header=BB156_33 Depth=1
	v_bfe_u32 v23, v8, 16, 1
	s_delay_alu instid0(VALU_DEP_1)
	v_add3_u32 v36, v8, v23, 0x7fff
; %bb.35:                               ;   in Loop: Header=BB156_33 Depth=1
	s_and_not1_saveexec_b32 s0, s0
; %bb.36:                               ;   in Loop: Header=BB156_33 Depth=1
	v_and_b32_e32 v23, 0xffff, v8
	v_or_b32_e32 v24, 0x10000, v8
	s_delay_alu instid0(VALU_DEP_2) | instskip(NEXT) | instid1(VALU_DEP_2)
	v_cmp_eq_u32_e32 vcc_lo, 0, v23
	v_cndmask_b32_e32 v36, v24, v8, vcc_lo
; %bb.37:                               ;   in Loop: Header=BB156_33 Depth=1
	s_or_b32 exec_lo, exec_lo, s0
	v_and_b32_e32 v8, 0x7f800000, v9
	s_mov_b32 s0, exec_lo
                                        ; implicit-def: $vgpr37
	s_delay_alu instid0(VALU_DEP_1)
	v_cmpx_ne_u32_e32 0x7f800000, v8
	s_xor_b32 s0, exec_lo, s0
; %bb.38:                               ;   in Loop: Header=BB156_33 Depth=1
	v_bfe_u32 v8, v9, 16, 1
	s_delay_alu instid0(VALU_DEP_1)
	v_add3_u32 v37, v9, v8, 0x7fff
; %bb.39:                               ;   in Loop: Header=BB156_33 Depth=1
	s_and_not1_saveexec_b32 s0, s0
; %bb.40:                               ;   in Loop: Header=BB156_33 Depth=1
	v_and_b32_e32 v8, 0xffff, v9
	v_or_b32_e32 v23, 0x10000, v9
	s_delay_alu instid0(VALU_DEP_2) | instskip(NEXT) | instid1(VALU_DEP_2)
	v_cmp_eq_u32_e32 vcc_lo, 0, v8
	v_cndmask_b32_e32 v37, v23, v9, vcc_lo
; %bb.41:                               ;   in Loop: Header=BB156_33 Depth=1
	s_or_b32 exec_lo, exec_lo, s0
	v_and_b32_e32 v8, 0x7f800000, v10
	s_mov_b32 s0, exec_lo
                                        ; implicit-def: $vgpr23
	s_delay_alu instid0(VALU_DEP_1)
	v_cmpx_ne_u32_e32 0x7f800000, v8
	s_xor_b32 s0, exec_lo, s0
; %bb.42:                               ;   in Loop: Header=BB156_33 Depth=1
	v_bfe_u32 v8, v10, 16, 1
	s_delay_alu instid0(VALU_DEP_1)
	v_add3_u32 v23, v10, v8, 0x7fff
; %bb.43:                               ;   in Loop: Header=BB156_33 Depth=1
	s_and_not1_saveexec_b32 s0, s0
; %bb.44:                               ;   in Loop: Header=BB156_33 Depth=1
	v_and_b32_e32 v8, 0xffff, v10
	v_or_b32_e32 v9, 0x10000, v10
	s_delay_alu instid0(VALU_DEP_2) | instskip(NEXT) | instid1(VALU_DEP_2)
	v_cmp_eq_u32_e32 vcc_lo, 0, v8
	v_cndmask_b32_e32 v23, v9, v10, vcc_lo
; %bb.45:                               ;   in Loop: Header=BB156_33 Depth=1
	s_or_b32 exec_lo, exec_lo, s0
	v_and_b32_e32 v8, 0x7f800000, v11
	s_mov_b32 s0, exec_lo
                                        ; implicit-def: $vgpr24
	s_delay_alu instid0(VALU_DEP_1)
	v_cmpx_ne_u32_e32 0x7f800000, v8
	s_xor_b32 s0, exec_lo, s0
; %bb.46:                               ;   in Loop: Header=BB156_33 Depth=1
	v_bfe_u32 v8, v11, 16, 1
	s_delay_alu instid0(VALU_DEP_1)
	v_add3_u32 v24, v11, v8, 0x7fff
                                        ; implicit-def: $vgpr8_vgpr9_vgpr10_vgpr11
; %bb.47:                               ;   in Loop: Header=BB156_33 Depth=1
	s_and_not1_saveexec_b32 s0, s0
; %bb.48:                               ;   in Loop: Header=BB156_33 Depth=1
	v_and_b32_e32 v8, 0xffff, v11
	v_or_b32_e32 v9, 0x10000, v11
	s_delay_alu instid0(VALU_DEP_2) | instskip(NEXT) | instid1(VALU_DEP_2)
	v_cmp_eq_u32_e32 vcc_lo, 0, v8
	v_cndmask_b32_e32 v24, v9, v11, vcc_lo
; %bb.49:                               ;   in Loop: Header=BB156_33 Depth=1
	s_or_b32 exec_lo, exec_lo, s0
	s_waitcnt lgkmcnt(0)
	v_and_b32_e32 v8, 0x7f800000, v4
	s_mov_b32 s0, exec_lo
                                        ; implicit-def: $vgpr25
	s_delay_alu instid0(VALU_DEP_1)
	v_cmpx_ne_u32_e32 0x7f800000, v8
	s_xor_b32 s0, exec_lo, s0
; %bb.50:                               ;   in Loop: Header=BB156_33 Depth=1
	v_bfe_u32 v8, v4, 16, 1
	s_delay_alu instid0(VALU_DEP_1)
	v_add3_u32 v25, v4, v8, 0x7fff
; %bb.51:                               ;   in Loop: Header=BB156_33 Depth=1
	s_and_not1_saveexec_b32 s0, s0
; %bb.52:                               ;   in Loop: Header=BB156_33 Depth=1
	v_and_b32_e32 v8, 0xffff, v4
	v_or_b32_e32 v9, 0x10000, v4
	s_delay_alu instid0(VALU_DEP_2) | instskip(NEXT) | instid1(VALU_DEP_2)
	v_cmp_eq_u32_e32 vcc_lo, 0, v8
	v_cndmask_b32_e32 v25, v9, v4, vcc_lo
; %bb.53:                               ;   in Loop: Header=BB156_33 Depth=1
	s_or_b32 exec_lo, exec_lo, s0
	v_and_b32_e32 v4, 0x7f800000, v5
	s_mov_b32 s0, exec_lo
                                        ; implicit-def: $vgpr26
	s_delay_alu instid0(VALU_DEP_1)
	v_cmpx_ne_u32_e32 0x7f800000, v4
	s_xor_b32 s0, exec_lo, s0
; %bb.54:                               ;   in Loop: Header=BB156_33 Depth=1
	v_bfe_u32 v4, v5, 16, 1
	s_delay_alu instid0(VALU_DEP_1)
	v_add3_u32 v26, v5, v4, 0x7fff
; %bb.55:                               ;   in Loop: Header=BB156_33 Depth=1
	s_and_not1_saveexec_b32 s0, s0
; %bb.56:                               ;   in Loop: Header=BB156_33 Depth=1
	v_and_b32_e32 v4, 0xffff, v5
	v_or_b32_e32 v8, 0x10000, v5
	s_delay_alu instid0(VALU_DEP_2) | instskip(NEXT) | instid1(VALU_DEP_2)
	v_cmp_eq_u32_e32 vcc_lo, 0, v4
	v_cndmask_b32_e32 v26, v8, v5, vcc_lo
; %bb.57:                               ;   in Loop: Header=BB156_33 Depth=1
	s_or_b32 exec_lo, exec_lo, s0
	v_and_b32_e32 v4, 0x7f800000, v6
	s_mov_b32 s0, exec_lo
                                        ; implicit-def: $vgpr27
	s_delay_alu instid0(VALU_DEP_1)
	v_cmpx_ne_u32_e32 0x7f800000, v4
	s_xor_b32 s0, exec_lo, s0
; %bb.58:                               ;   in Loop: Header=BB156_33 Depth=1
	v_bfe_u32 v4, v6, 16, 1
	s_delay_alu instid0(VALU_DEP_1)
	v_add3_u32 v27, v6, v4, 0x7fff
; %bb.59:                               ;   in Loop: Header=BB156_33 Depth=1
	s_and_not1_saveexec_b32 s0, s0
; %bb.60:                               ;   in Loop: Header=BB156_33 Depth=1
	v_and_b32_e32 v4, 0xffff, v6
	v_or_b32_e32 v5, 0x10000, v6
	s_delay_alu instid0(VALU_DEP_2) | instskip(NEXT) | instid1(VALU_DEP_2)
	v_cmp_eq_u32_e32 vcc_lo, 0, v4
	v_cndmask_b32_e32 v27, v5, v6, vcc_lo
; %bb.61:                               ;   in Loop: Header=BB156_33 Depth=1
	s_or_b32 exec_lo, exec_lo, s0
	v_and_b32_e32 v4, 0x7f800000, v7
	s_mov_b32 s0, exec_lo
                                        ; implicit-def: $vgpr28
	s_delay_alu instid0(VALU_DEP_1)
	v_cmpx_ne_u32_e32 0x7f800000, v4
	s_xor_b32 s0, exec_lo, s0
; %bb.62:                               ;   in Loop: Header=BB156_33 Depth=1
	v_bfe_u32 v4, v7, 16, 1
	s_delay_alu instid0(VALU_DEP_1)
	v_add3_u32 v28, v7, v4, 0x7fff
                                        ; implicit-def: $vgpr4_vgpr5_vgpr6_vgpr7
; %bb.63:                               ;   in Loop: Header=BB156_33 Depth=1
	s_and_not1_saveexec_b32 s0, s0
; %bb.64:                               ;   in Loop: Header=BB156_33 Depth=1
	v_and_b32_e32 v4, 0xffff, v7
	v_or_b32_e32 v5, 0x10000, v7
	s_delay_alu instid0(VALU_DEP_2) | instskip(NEXT) | instid1(VALU_DEP_2)
	v_cmp_eq_u32_e32 vcc_lo, 0, v4
	v_cndmask_b32_e32 v28, v5, v7, vcc_lo
; %bb.65:                               ;   in Loop: Header=BB156_33 Depth=1
	s_or_b32 exec_lo, exec_lo, s0
	s_waitcnt vmcnt(0)
	v_mad_i64_i32 v[4:5], null, v29, s5, 0
	v_add_nc_u32_e32 v29, -7, v22
	v_add_nc_u32_e32 v35, -6, v22
	;; [unrolled: 1-line block ×6, first 2 shown]
	v_lshlrev_b64 v[4:5], 1, v[4:5]
	v_add_nc_u32_e32 v34, -1, v22
	s_delay_alu instid0(VALU_DEP_2) | instskip(NEXT) | instid1(VALU_DEP_3)
	v_add_co_u32 v8, vcc_lo, v20, v4
	v_add_co_ci_u32_e32 v9, vcc_lo, v21, v5, vcc_lo
	v_cmp_eq_u32_e32 vcc_lo, s3, v1
	global_load_b128 v[4:7], v[8:9], off
	s_waitcnt vmcnt(0)
	v_lshrrev_b32_e32 v11, 16, v4
	v_lshrrev_b32_e32 v40, 16, v5
	;; [unrolled: 1-line block ×4, first 2 shown]
	s_and_saveexec_b32 s7, vcc_lo
	s_cbranch_execz .LBB156_67
; %bb.66:                               ;   in Loop: Header=BB156_33 Depth=1
	v_cmp_gt_i32_e64 s0, s33, v29
	s_delay_alu instid0(VALU_DEP_1) | instskip(SKIP_1) | instid1(VALU_DEP_1)
	v_cndmask_b32_e64 v4, 0, v4, s0
	v_cmp_gt_i32_e64 s0, s33, v35
	v_cndmask_b32_e64 v11, 0, v11, s0
	v_cmp_gt_i32_e64 s0, s33, v33
	s_delay_alu instid0(VALU_DEP_1) | instskip(SKIP_1) | instid1(VALU_DEP_1)
	v_cndmask_b32_e64 v5, 0, v5, s0
	v_cmp_gt_i32_e64 s0, s33, v32
	v_cndmask_b32_e64 v40, 0, v40, s0
	;; [unrolled: 5-line block ×4, first 2 shown]
.LBB156_67:                             ;   in Loop: Header=BB156_33 Depth=1
	s_or_b32 exec_lo, exec_lo, s7
	v_and_b32_e32 v36, 0xffff0000, v36
	v_lshlrev_b32_e32 v4, 16, v4
	s_delay_alu instid0(VALU_DEP_1) | instskip(NEXT) | instid1(VALU_DEP_1)
	v_mul_f32_e32 v4, v36, v4
	v_and_b32_e32 v10, 0x7f800000, v4
	s_delay_alu instid0(VALU_DEP_1) | instskip(NEXT) | instid1(VALU_DEP_1)
	v_cmp_ne_u32_e64 s0, 0x7f800000, v10
                                        ; implicit-def: $vgpr10
	s_and_saveexec_b32 s7, s0
	s_delay_alu instid0(SALU_CYCLE_1)
	s_xor_b32 s0, exec_lo, s7
; %bb.68:                               ;   in Loop: Header=BB156_33 Depth=1
	v_bfe_u32 v10, v4, 16, 1
	s_delay_alu instid0(VALU_DEP_1)
	v_add3_u32 v10, v4, v10, 0x7fff
                                        ; implicit-def: $vgpr4
; %bb.69:                               ;   in Loop: Header=BB156_33 Depth=1
	s_and_not1_saveexec_b32 s7, s0
; %bb.70:                               ;   in Loop: Header=BB156_33 Depth=1
	v_and_b32_e32 v10, 0xffff, v4
	v_or_b32_e32 v38, 0x10000, v4
	s_delay_alu instid0(VALU_DEP_2) | instskip(NEXT) | instid1(VALU_DEP_1)
	v_cmp_eq_u32_e64 s0, 0, v10
	v_cndmask_b32_e64 v10, v38, v4, s0
; %bb.71:                               ;   in Loop: Header=BB156_33 Depth=1
	s_or_b32 exec_lo, exec_lo, s7
	v_and_b32_e32 v37, 0xffff0000, v37
	v_lshlrev_b32_e32 v4, 16, v11
	s_delay_alu instid0(VALU_DEP_1) | instskip(NEXT) | instid1(VALU_DEP_1)
	v_mul_f32_e32 v4, v37, v4
	v_and_b32_e32 v11, 0x7f800000, v4
	s_delay_alu instid0(VALU_DEP_1) | instskip(NEXT) | instid1(VALU_DEP_1)
	v_cmp_ne_u32_e64 s0, 0x7f800000, v11
                                        ; implicit-def: $vgpr11
	s_and_saveexec_b32 s7, s0
	s_delay_alu instid0(SALU_CYCLE_1)
	s_xor_b32 s0, exec_lo, s7
; %bb.72:                               ;   in Loop: Header=BB156_33 Depth=1
	v_bfe_u32 v11, v4, 16, 1
	s_delay_alu instid0(VALU_DEP_1)
	v_add3_u32 v11, v4, v11, 0x7fff
                                        ; implicit-def: $vgpr4
; %bb.73:                               ;   in Loop: Header=BB156_33 Depth=1
	s_and_not1_saveexec_b32 s7, s0
; %bb.74:                               ;   in Loop: Header=BB156_33 Depth=1
	v_and_b32_e32 v11, 0xffff, v4
	v_or_b32_e32 v38, 0x10000, v4
	s_delay_alu instid0(VALU_DEP_2) | instskip(NEXT) | instid1(VALU_DEP_1)
	v_cmp_eq_u32_e64 s0, 0, v11
	v_cndmask_b32_e64 v11, v38, v4, s0
; %bb.75:                               ;   in Loop: Header=BB156_33 Depth=1
	s_or_b32 exec_lo, exec_lo, s7
	v_and_b32_e32 v38, 0xffff0000, v23
	v_lshlrev_b32_e32 v4, 16, v5
                                        ; implicit-def: $vgpr23
	s_delay_alu instid0(VALU_DEP_1) | instskip(NEXT) | instid1(VALU_DEP_1)
	v_mul_f32_e32 v4, v38, v4
	v_and_b32_e32 v5, 0x7f800000, v4
	s_delay_alu instid0(VALU_DEP_1) | instskip(NEXT) | instid1(VALU_DEP_1)
	v_cmp_ne_u32_e64 s0, 0x7f800000, v5
	s_and_saveexec_b32 s7, s0
	s_delay_alu instid0(SALU_CYCLE_1)
	s_xor_b32 s0, exec_lo, s7
; %bb.76:                               ;   in Loop: Header=BB156_33 Depth=1
	v_bfe_u32 v5, v4, 16, 1
	s_delay_alu instid0(VALU_DEP_1)
	v_add3_u32 v23, v4, v5, 0x7fff
                                        ; implicit-def: $vgpr4
; %bb.77:                               ;   in Loop: Header=BB156_33 Depth=1
	s_and_not1_saveexec_b32 s7, s0
; %bb.78:                               ;   in Loop: Header=BB156_33 Depth=1
	v_and_b32_e32 v5, 0xffff, v4
	v_or_b32_e32 v23, 0x10000, v4
	s_delay_alu instid0(VALU_DEP_2) | instskip(NEXT) | instid1(VALU_DEP_1)
	v_cmp_eq_u32_e64 s0, 0, v5
	v_cndmask_b32_e64 v23, v23, v4, s0
; %bb.79:                               ;   in Loop: Header=BB156_33 Depth=1
	s_or_b32 exec_lo, exec_lo, s7
	v_and_b32_e32 v39, 0xffff0000, v24
	v_lshlrev_b32_e32 v4, 16, v40
                                        ; implicit-def: $vgpr24
	s_delay_alu instid0(VALU_DEP_1) | instskip(NEXT) | instid1(VALU_DEP_1)
	v_mul_f32_e32 v4, v39, v4
	v_and_b32_e32 v5, 0x7f800000, v4
	s_delay_alu instid0(VALU_DEP_1) | instskip(NEXT) | instid1(VALU_DEP_1)
	v_cmp_ne_u32_e64 s0, 0x7f800000, v5
	s_and_saveexec_b32 s7, s0
	s_delay_alu instid0(SALU_CYCLE_1)
	s_xor_b32 s0, exec_lo, s7
; %bb.80:                               ;   in Loop: Header=BB156_33 Depth=1
	v_bfe_u32 v5, v4, 16, 1
	s_delay_alu instid0(VALU_DEP_1)
	v_add3_u32 v24, v4, v5, 0x7fff
                                        ; implicit-def: $vgpr4
; %bb.81:                               ;   in Loop: Header=BB156_33 Depth=1
	s_and_not1_saveexec_b32 s7, s0
; %bb.82:                               ;   in Loop: Header=BB156_33 Depth=1
	v_and_b32_e32 v5, 0xffff, v4
	v_or_b32_e32 v24, 0x10000, v4
	s_delay_alu instid0(VALU_DEP_2) | instskip(NEXT) | instid1(VALU_DEP_1)
	v_cmp_eq_u32_e64 s0, 0, v5
	v_cndmask_b32_e64 v24, v24, v4, s0
; %bb.83:                               ;   in Loop: Header=BB156_33 Depth=1
	s_or_b32 exec_lo, exec_lo, s7
	v_and_b32_e32 v40, 0xffff0000, v25
	v_lshlrev_b32_e32 v4, 16, v6
                                        ; implicit-def: $vgpr25
	s_delay_alu instid0(VALU_DEP_1) | instskip(NEXT) | instid1(VALU_DEP_1)
	v_mul_f32_e32 v4, v40, v4
	v_and_b32_e32 v5, 0x7f800000, v4
	s_delay_alu instid0(VALU_DEP_1) | instskip(NEXT) | instid1(VALU_DEP_1)
	v_cmp_ne_u32_e64 s0, 0x7f800000, v5
	s_and_saveexec_b32 s7, s0
	s_delay_alu instid0(SALU_CYCLE_1)
	s_xor_b32 s0, exec_lo, s7
; %bb.84:                               ;   in Loop: Header=BB156_33 Depth=1
	v_bfe_u32 v5, v4, 16, 1
	s_delay_alu instid0(VALU_DEP_1)
	v_add3_u32 v25, v4, v5, 0x7fff
                                        ; implicit-def: $vgpr4
; %bb.85:                               ;   in Loop: Header=BB156_33 Depth=1
	s_and_not1_saveexec_b32 s7, s0
; %bb.86:                               ;   in Loop: Header=BB156_33 Depth=1
	v_and_b32_e32 v5, 0xffff, v4
	v_or_b32_e32 v6, 0x10000, v4
	s_delay_alu instid0(VALU_DEP_2) | instskip(NEXT) | instid1(VALU_DEP_1)
	v_cmp_eq_u32_e64 s0, 0, v5
	v_cndmask_b32_e64 v25, v6, v4, s0
; %bb.87:                               ;   in Loop: Header=BB156_33 Depth=1
	s_or_b32 exec_lo, exec_lo, s7
	v_and_b32_e32 v41, 0xffff0000, v26
	v_lshlrev_b32_e32 v4, 16, v42
                                        ; implicit-def: $vgpr26
	s_delay_alu instid0(VALU_DEP_1) | instskip(NEXT) | instid1(VALU_DEP_1)
	v_mul_f32_e32 v4, v41, v4
	v_and_b32_e32 v5, 0x7f800000, v4
	s_delay_alu instid0(VALU_DEP_1) | instskip(NEXT) | instid1(VALU_DEP_1)
	v_cmp_ne_u32_e64 s0, 0x7f800000, v5
	s_and_saveexec_b32 s7, s0
	s_delay_alu instid0(SALU_CYCLE_1)
	s_xor_b32 s0, exec_lo, s7
; %bb.88:                               ;   in Loop: Header=BB156_33 Depth=1
	v_bfe_u32 v5, v4, 16, 1
	s_delay_alu instid0(VALU_DEP_1)
	v_add3_u32 v26, v4, v5, 0x7fff
                                        ; implicit-def: $vgpr4
; %bb.89:                               ;   in Loop: Header=BB156_33 Depth=1
	s_and_not1_saveexec_b32 s7, s0
; %bb.90:                               ;   in Loop: Header=BB156_33 Depth=1
	v_and_b32_e32 v5, 0xffff, v4
	v_or_b32_e32 v6, 0x10000, v4
	s_delay_alu instid0(VALU_DEP_2) | instskip(NEXT) | instid1(VALU_DEP_1)
	v_cmp_eq_u32_e64 s0, 0, v5
	v_cndmask_b32_e64 v26, v6, v4, s0
; %bb.91:                               ;   in Loop: Header=BB156_33 Depth=1
	s_or_b32 exec_lo, exec_lo, s7
	v_and_b32_e32 v42, 0xffff0000, v27
	v_lshlrev_b32_e32 v4, 16, v7
                                        ; implicit-def: $vgpr27
	s_delay_alu instid0(VALU_DEP_1) | instskip(NEXT) | instid1(VALU_DEP_1)
	v_mul_f32_e32 v4, v42, v4
	v_and_b32_e32 v5, 0x7f800000, v4
	s_delay_alu instid0(VALU_DEP_1) | instskip(NEXT) | instid1(VALU_DEP_1)
	v_cmp_ne_u32_e64 s0, 0x7f800000, v5
	s_and_saveexec_b32 s7, s0
	s_delay_alu instid0(SALU_CYCLE_1)
	s_xor_b32 s0, exec_lo, s7
; %bb.92:                               ;   in Loop: Header=BB156_33 Depth=1
	v_bfe_u32 v5, v4, 16, 1
	s_delay_alu instid0(VALU_DEP_1)
	v_add3_u32 v27, v4, v5, 0x7fff
                                        ; implicit-def: $vgpr4
; %bb.93:                               ;   in Loop: Header=BB156_33 Depth=1
	s_and_not1_saveexec_b32 s7, s0
; %bb.94:                               ;   in Loop: Header=BB156_33 Depth=1
	v_and_b32_e32 v5, 0xffff, v4
	v_or_b32_e32 v6, 0x10000, v4
	s_delay_alu instid0(VALU_DEP_2) | instskip(NEXT) | instid1(VALU_DEP_1)
	v_cmp_eq_u32_e64 s0, 0, v5
	v_cndmask_b32_e64 v27, v6, v4, s0
; %bb.95:                               ;   in Loop: Header=BB156_33 Depth=1
	s_or_b32 exec_lo, exec_lo, s7
	v_and_b32_e32 v43, 0xffff0000, v28
	v_lshlrev_b32_e32 v4, 16, v44
                                        ; implicit-def: $vgpr28
	s_delay_alu instid0(VALU_DEP_1) | instskip(NEXT) | instid1(VALU_DEP_1)
	v_mul_f32_e32 v4, v43, v4
	v_and_b32_e32 v5, 0x7f800000, v4
	s_delay_alu instid0(VALU_DEP_1) | instskip(NEXT) | instid1(VALU_DEP_1)
	v_cmp_ne_u32_e64 s0, 0x7f800000, v5
	s_and_saveexec_b32 s7, s0
	s_delay_alu instid0(SALU_CYCLE_1)
	s_xor_b32 s0, exec_lo, s7
; %bb.96:                               ;   in Loop: Header=BB156_33 Depth=1
	v_bfe_u32 v5, v4, 16, 1
	s_delay_alu instid0(VALU_DEP_1)
	v_add3_u32 v28, v4, v5, 0x7fff
                                        ; implicit-def: $vgpr4
; %bb.97:                               ;   in Loop: Header=BB156_33 Depth=1
	s_and_not1_saveexec_b32 s7, s0
; %bb.98:                               ;   in Loop: Header=BB156_33 Depth=1
	v_and_b32_e32 v5, 0xffff, v4
	v_or_b32_e32 v6, 0x10000, v4
	s_delay_alu instid0(VALU_DEP_2) | instskip(NEXT) | instid1(VALU_DEP_1)
	v_cmp_eq_u32_e64 s0, 0, v5
	v_cndmask_b32_e64 v28, v6, v4, s0
; %bb.99:                               ;   in Loop: Header=BB156_33 Depth=1
	s_or_b32 exec_lo, exec_lo, s7
	global_load_b128 v[4:7], v[8:9], off offset:512
	s_waitcnt vmcnt(0)
	v_lshrrev_b32_e32 v45, 16, v4
	v_lshrrev_b32_e32 v47, 16, v5
	;; [unrolled: 1-line block ×4, first 2 shown]
	s_and_saveexec_b32 s7, vcc_lo
	s_cbranch_execz .LBB156_101
; %bb.100:                              ;   in Loop: Header=BB156_33 Depth=1
	v_cmp_gt_i32_e64 s0, s33, v29
	s_delay_alu instid0(VALU_DEP_1) | instskip(SKIP_1) | instid1(VALU_DEP_1)
	v_cndmask_b32_e64 v4, 0, v4, s0
	v_cmp_gt_i32_e64 s0, s33, v35
	v_cndmask_b32_e64 v45, 0, v45, s0
	v_cmp_gt_i32_e64 s0, s33, v33
	s_delay_alu instid0(VALU_DEP_1) | instskip(SKIP_1) | instid1(VALU_DEP_1)
	v_cndmask_b32_e64 v5, 0, v5, s0
	v_cmp_gt_i32_e64 s0, s33, v32
	v_cndmask_b32_e64 v47, 0, v47, s0
	;; [unrolled: 5-line block ×4, first 2 shown]
.LBB156_101:                            ;   in Loop: Header=BB156_33 Depth=1
	s_or_b32 exec_lo, exec_lo, s7
	v_lshlrev_b32_e32 v4, 16, v4
	s_delay_alu instid0(VALU_DEP_1) | instskip(NEXT) | instid1(VALU_DEP_1)
	v_mul_f32_e32 v4, v36, v4
	v_and_b32_e32 v44, 0x7f800000, v4
	s_delay_alu instid0(VALU_DEP_1) | instskip(NEXT) | instid1(VALU_DEP_1)
	v_cmp_ne_u32_e64 s0, 0x7f800000, v44
                                        ; implicit-def: $vgpr44
	s_and_saveexec_b32 s7, s0
	s_delay_alu instid0(SALU_CYCLE_1)
	s_xor_b32 s0, exec_lo, s7
; %bb.102:                              ;   in Loop: Header=BB156_33 Depth=1
	v_bfe_u32 v44, v4, 16, 1
	s_delay_alu instid0(VALU_DEP_1)
	v_add3_u32 v44, v4, v44, 0x7fff
                                        ; implicit-def: $vgpr4
; %bb.103:                              ;   in Loop: Header=BB156_33 Depth=1
	s_and_not1_saveexec_b32 s7, s0
; %bb.104:                              ;   in Loop: Header=BB156_33 Depth=1
	v_and_b32_e32 v44, 0xffff, v4
	v_or_b32_e32 v46, 0x10000, v4
	s_delay_alu instid0(VALU_DEP_2) | instskip(NEXT) | instid1(VALU_DEP_1)
	v_cmp_eq_u32_e64 s0, 0, v44
	v_cndmask_b32_e64 v44, v46, v4, s0
; %bb.105:                              ;   in Loop: Header=BB156_33 Depth=1
	s_or_b32 exec_lo, exec_lo, s7
	v_lshlrev_b32_e32 v4, 16, v45
	s_delay_alu instid0(VALU_DEP_1) | instskip(NEXT) | instid1(VALU_DEP_1)
	v_mul_f32_e32 v4, v37, v4
	v_and_b32_e32 v45, 0x7f800000, v4
	s_delay_alu instid0(VALU_DEP_1) | instskip(NEXT) | instid1(VALU_DEP_1)
	v_cmp_ne_u32_e64 s0, 0x7f800000, v45
                                        ; implicit-def: $vgpr45
	s_and_saveexec_b32 s7, s0
	s_delay_alu instid0(SALU_CYCLE_1)
	s_xor_b32 s0, exec_lo, s7
; %bb.106:                              ;   in Loop: Header=BB156_33 Depth=1
	v_bfe_u32 v45, v4, 16, 1
	s_delay_alu instid0(VALU_DEP_1)
	v_add3_u32 v45, v4, v45, 0x7fff
                                        ; implicit-def: $vgpr4
; %bb.107:                              ;   in Loop: Header=BB156_33 Depth=1
	s_and_not1_saveexec_b32 s7, s0
; %bb.108:                              ;   in Loop: Header=BB156_33 Depth=1
	v_and_b32_e32 v45, 0xffff, v4
	v_or_b32_e32 v46, 0x10000, v4
	s_delay_alu instid0(VALU_DEP_2) | instskip(NEXT) | instid1(VALU_DEP_1)
	v_cmp_eq_u32_e64 s0, 0, v45
	v_cndmask_b32_e64 v45, v46, v4, s0
; %bb.109:                              ;   in Loop: Header=BB156_33 Depth=1
	s_or_b32 exec_lo, exec_lo, s7
	v_lshlrev_b32_e32 v4, 16, v5
                                        ; implicit-def: $vgpr46
	s_delay_alu instid0(VALU_DEP_1) | instskip(NEXT) | instid1(VALU_DEP_1)
	v_mul_f32_e32 v4, v38, v4
	v_and_b32_e32 v5, 0x7f800000, v4
	s_delay_alu instid0(VALU_DEP_1) | instskip(NEXT) | instid1(VALU_DEP_1)
	v_cmp_ne_u32_e64 s0, 0x7f800000, v5
	s_and_saveexec_b32 s7, s0
	s_delay_alu instid0(SALU_CYCLE_1)
	s_xor_b32 s0, exec_lo, s7
; %bb.110:                              ;   in Loop: Header=BB156_33 Depth=1
	v_bfe_u32 v5, v4, 16, 1
	s_delay_alu instid0(VALU_DEP_1)
	v_add3_u32 v46, v4, v5, 0x7fff
                                        ; implicit-def: $vgpr4
; %bb.111:                              ;   in Loop: Header=BB156_33 Depth=1
	s_and_not1_saveexec_b32 s7, s0
; %bb.112:                              ;   in Loop: Header=BB156_33 Depth=1
	v_and_b32_e32 v5, 0xffff, v4
	v_or_b32_e32 v46, 0x10000, v4
	s_delay_alu instid0(VALU_DEP_2) | instskip(NEXT) | instid1(VALU_DEP_1)
	v_cmp_eq_u32_e64 s0, 0, v5
	v_cndmask_b32_e64 v46, v46, v4, s0
; %bb.113:                              ;   in Loop: Header=BB156_33 Depth=1
	s_or_b32 exec_lo, exec_lo, s7
	v_lshlrev_b32_e32 v4, 16, v47
                                        ; implicit-def: $vgpr47
	s_delay_alu instid0(VALU_DEP_1) | instskip(NEXT) | instid1(VALU_DEP_1)
	v_mul_f32_e32 v4, v39, v4
	v_and_b32_e32 v5, 0x7f800000, v4
	s_delay_alu instid0(VALU_DEP_1) | instskip(NEXT) | instid1(VALU_DEP_1)
	v_cmp_ne_u32_e64 s0, 0x7f800000, v5
	s_and_saveexec_b32 s7, s0
	s_delay_alu instid0(SALU_CYCLE_1)
	s_xor_b32 s0, exec_lo, s7
; %bb.114:                              ;   in Loop: Header=BB156_33 Depth=1
	v_bfe_u32 v5, v4, 16, 1
	s_delay_alu instid0(VALU_DEP_1)
	v_add3_u32 v47, v4, v5, 0x7fff
                                        ; implicit-def: $vgpr4
; %bb.115:                              ;   in Loop: Header=BB156_33 Depth=1
	s_and_not1_saveexec_b32 s7, s0
; %bb.116:                              ;   in Loop: Header=BB156_33 Depth=1
	v_and_b32_e32 v5, 0xffff, v4
	v_or_b32_e32 v47, 0x10000, v4
	s_delay_alu instid0(VALU_DEP_2) | instskip(NEXT) | instid1(VALU_DEP_1)
	v_cmp_eq_u32_e64 s0, 0, v5
	v_cndmask_b32_e64 v47, v47, v4, s0
; %bb.117:                              ;   in Loop: Header=BB156_33 Depth=1
	s_or_b32 exec_lo, exec_lo, s7
	v_lshlrev_b32_e32 v4, 16, v6
                                        ; implicit-def: $vgpr48
	s_delay_alu instid0(VALU_DEP_1) | instskip(NEXT) | instid1(VALU_DEP_1)
	v_mul_f32_e32 v4, v40, v4
	v_and_b32_e32 v5, 0x7f800000, v4
	s_delay_alu instid0(VALU_DEP_1) | instskip(NEXT) | instid1(VALU_DEP_1)
	v_cmp_ne_u32_e64 s0, 0x7f800000, v5
	s_and_saveexec_b32 s7, s0
	s_delay_alu instid0(SALU_CYCLE_1)
	s_xor_b32 s0, exec_lo, s7
; %bb.118:                              ;   in Loop: Header=BB156_33 Depth=1
	v_bfe_u32 v5, v4, 16, 1
	s_delay_alu instid0(VALU_DEP_1)
	v_add3_u32 v48, v4, v5, 0x7fff
                                        ; implicit-def: $vgpr4
; %bb.119:                              ;   in Loop: Header=BB156_33 Depth=1
	s_and_not1_saveexec_b32 s7, s0
; %bb.120:                              ;   in Loop: Header=BB156_33 Depth=1
	v_and_b32_e32 v5, 0xffff, v4
	v_or_b32_e32 v6, 0x10000, v4
	s_delay_alu instid0(VALU_DEP_2) | instskip(NEXT) | instid1(VALU_DEP_1)
	v_cmp_eq_u32_e64 s0, 0, v5
	v_cndmask_b32_e64 v48, v6, v4, s0
; %bb.121:                              ;   in Loop: Header=BB156_33 Depth=1
	s_or_b32 exec_lo, exec_lo, s7
	v_lshlrev_b32_e32 v4, 16, v49
                                        ; implicit-def: $vgpr49
	s_delay_alu instid0(VALU_DEP_1) | instskip(NEXT) | instid1(VALU_DEP_1)
	v_mul_f32_e32 v4, v41, v4
	v_and_b32_e32 v5, 0x7f800000, v4
	s_delay_alu instid0(VALU_DEP_1) | instskip(NEXT) | instid1(VALU_DEP_1)
	v_cmp_ne_u32_e64 s0, 0x7f800000, v5
	s_and_saveexec_b32 s7, s0
	s_delay_alu instid0(SALU_CYCLE_1)
	s_xor_b32 s0, exec_lo, s7
; %bb.122:                              ;   in Loop: Header=BB156_33 Depth=1
	v_bfe_u32 v5, v4, 16, 1
	s_delay_alu instid0(VALU_DEP_1)
	v_add3_u32 v49, v4, v5, 0x7fff
                                        ; implicit-def: $vgpr4
; %bb.123:                              ;   in Loop: Header=BB156_33 Depth=1
	s_and_not1_saveexec_b32 s7, s0
; %bb.124:                              ;   in Loop: Header=BB156_33 Depth=1
	v_and_b32_e32 v5, 0xffff, v4
	v_or_b32_e32 v6, 0x10000, v4
	s_delay_alu instid0(VALU_DEP_2) | instskip(NEXT) | instid1(VALU_DEP_1)
	v_cmp_eq_u32_e64 s0, 0, v5
	v_cndmask_b32_e64 v49, v6, v4, s0
; %bb.125:                              ;   in Loop: Header=BB156_33 Depth=1
	s_or_b32 exec_lo, exec_lo, s7
	v_lshlrev_b32_e32 v4, 16, v7
                                        ; implicit-def: $vgpr50
	s_delay_alu instid0(VALU_DEP_1) | instskip(NEXT) | instid1(VALU_DEP_1)
	v_mul_f32_e32 v4, v42, v4
	v_and_b32_e32 v5, 0x7f800000, v4
	s_delay_alu instid0(VALU_DEP_1) | instskip(NEXT) | instid1(VALU_DEP_1)
	v_cmp_ne_u32_e64 s0, 0x7f800000, v5
	s_and_saveexec_b32 s7, s0
	s_delay_alu instid0(SALU_CYCLE_1)
	s_xor_b32 s0, exec_lo, s7
; %bb.126:                              ;   in Loop: Header=BB156_33 Depth=1
	v_bfe_u32 v5, v4, 16, 1
	s_delay_alu instid0(VALU_DEP_1)
	v_add3_u32 v50, v4, v5, 0x7fff
                                        ; implicit-def: $vgpr4
; %bb.127:                              ;   in Loop: Header=BB156_33 Depth=1
	s_and_not1_saveexec_b32 s7, s0
; %bb.128:                              ;   in Loop: Header=BB156_33 Depth=1
	v_and_b32_e32 v5, 0xffff, v4
	v_or_b32_e32 v6, 0x10000, v4
	s_delay_alu instid0(VALU_DEP_2) | instskip(NEXT) | instid1(VALU_DEP_1)
	v_cmp_eq_u32_e64 s0, 0, v5
	v_cndmask_b32_e64 v50, v6, v4, s0
; %bb.129:                              ;   in Loop: Header=BB156_33 Depth=1
	s_or_b32 exec_lo, exec_lo, s7
	v_lshlrev_b32_e32 v4, 16, v51
                                        ; implicit-def: $vgpr51
	s_delay_alu instid0(VALU_DEP_1) | instskip(NEXT) | instid1(VALU_DEP_1)
	v_mul_f32_e32 v4, v43, v4
	v_and_b32_e32 v5, 0x7f800000, v4
	s_delay_alu instid0(VALU_DEP_1) | instskip(NEXT) | instid1(VALU_DEP_1)
	v_cmp_ne_u32_e64 s0, 0x7f800000, v5
	s_and_saveexec_b32 s7, s0
	s_delay_alu instid0(SALU_CYCLE_1)
	s_xor_b32 s0, exec_lo, s7
; %bb.130:                              ;   in Loop: Header=BB156_33 Depth=1
	v_bfe_u32 v5, v4, 16, 1
	s_delay_alu instid0(VALU_DEP_1)
	v_add3_u32 v51, v4, v5, 0x7fff
                                        ; implicit-def: $vgpr4
; %bb.131:                              ;   in Loop: Header=BB156_33 Depth=1
	s_and_not1_saveexec_b32 s7, s0
; %bb.132:                              ;   in Loop: Header=BB156_33 Depth=1
	v_and_b32_e32 v5, 0xffff, v4
	v_or_b32_e32 v6, 0x10000, v4
	s_delay_alu instid0(VALU_DEP_2) | instskip(NEXT) | instid1(VALU_DEP_1)
	v_cmp_eq_u32_e64 s0, 0, v5
	v_cndmask_b32_e64 v51, v6, v4, s0
; %bb.133:                              ;   in Loop: Header=BB156_33 Depth=1
	s_or_b32 exec_lo, exec_lo, s7
	global_load_b128 v[4:7], v[8:9], off offset:1024
	s_waitcnt vmcnt(0)
	v_lshrrev_b32_e32 v53, 16, v4
	v_lshrrev_b32_e32 v55, 16, v5
	;; [unrolled: 1-line block ×4, first 2 shown]
	s_and_saveexec_b32 s7, vcc_lo
	s_cbranch_execz .LBB156_135
; %bb.134:                              ;   in Loop: Header=BB156_33 Depth=1
	v_cmp_gt_i32_e64 s0, s33, v29
	s_delay_alu instid0(VALU_DEP_1) | instskip(SKIP_1) | instid1(VALU_DEP_1)
	v_cndmask_b32_e64 v4, 0, v4, s0
	v_cmp_gt_i32_e64 s0, s33, v35
	v_cndmask_b32_e64 v53, 0, v53, s0
	v_cmp_gt_i32_e64 s0, s33, v33
	s_delay_alu instid0(VALU_DEP_1) | instskip(SKIP_1) | instid1(VALU_DEP_1)
	v_cndmask_b32_e64 v5, 0, v5, s0
	v_cmp_gt_i32_e64 s0, s33, v32
	v_cndmask_b32_e64 v55, 0, v55, s0
	;; [unrolled: 5-line block ×4, first 2 shown]
.LBB156_135:                            ;   in Loop: Header=BB156_33 Depth=1
	s_or_b32 exec_lo, exec_lo, s7
	v_lshlrev_b32_e32 v4, 16, v4
	s_delay_alu instid0(VALU_DEP_1) | instskip(NEXT) | instid1(VALU_DEP_1)
	v_mul_f32_e32 v4, v36, v4
	v_and_b32_e32 v52, 0x7f800000, v4
	s_delay_alu instid0(VALU_DEP_1) | instskip(NEXT) | instid1(VALU_DEP_1)
	v_cmp_ne_u32_e64 s0, 0x7f800000, v52
                                        ; implicit-def: $vgpr52
	s_and_saveexec_b32 s7, s0
	s_delay_alu instid0(SALU_CYCLE_1)
	s_xor_b32 s0, exec_lo, s7
; %bb.136:                              ;   in Loop: Header=BB156_33 Depth=1
	v_bfe_u32 v52, v4, 16, 1
	s_delay_alu instid0(VALU_DEP_1)
	v_add3_u32 v52, v4, v52, 0x7fff
                                        ; implicit-def: $vgpr4
; %bb.137:                              ;   in Loop: Header=BB156_33 Depth=1
	s_and_not1_saveexec_b32 s7, s0
; %bb.138:                              ;   in Loop: Header=BB156_33 Depth=1
	v_and_b32_e32 v52, 0xffff, v4
	v_or_b32_e32 v54, 0x10000, v4
	s_delay_alu instid0(VALU_DEP_2) | instskip(NEXT) | instid1(VALU_DEP_1)
	v_cmp_eq_u32_e64 s0, 0, v52
	v_cndmask_b32_e64 v52, v54, v4, s0
; %bb.139:                              ;   in Loop: Header=BB156_33 Depth=1
	s_or_b32 exec_lo, exec_lo, s7
	v_lshlrev_b32_e32 v4, 16, v53
	s_delay_alu instid0(VALU_DEP_1) | instskip(NEXT) | instid1(VALU_DEP_1)
	v_mul_f32_e32 v4, v37, v4
	v_and_b32_e32 v53, 0x7f800000, v4
	s_delay_alu instid0(VALU_DEP_1) | instskip(NEXT) | instid1(VALU_DEP_1)
	v_cmp_ne_u32_e64 s0, 0x7f800000, v53
                                        ; implicit-def: $vgpr53
	s_and_saveexec_b32 s7, s0
	s_delay_alu instid0(SALU_CYCLE_1)
	s_xor_b32 s0, exec_lo, s7
; %bb.140:                              ;   in Loop: Header=BB156_33 Depth=1
	v_bfe_u32 v53, v4, 16, 1
	s_delay_alu instid0(VALU_DEP_1)
	v_add3_u32 v53, v4, v53, 0x7fff
                                        ; implicit-def: $vgpr4
; %bb.141:                              ;   in Loop: Header=BB156_33 Depth=1
	s_and_not1_saveexec_b32 s7, s0
; %bb.142:                              ;   in Loop: Header=BB156_33 Depth=1
	v_and_b32_e32 v53, 0xffff, v4
	v_or_b32_e32 v54, 0x10000, v4
	s_delay_alu instid0(VALU_DEP_2) | instskip(NEXT) | instid1(VALU_DEP_1)
	v_cmp_eq_u32_e64 s0, 0, v53
	v_cndmask_b32_e64 v53, v54, v4, s0
; %bb.143:                              ;   in Loop: Header=BB156_33 Depth=1
	s_or_b32 exec_lo, exec_lo, s7
	v_lshlrev_b32_e32 v4, 16, v5
                                        ; implicit-def: $vgpr54
	s_delay_alu instid0(VALU_DEP_1) | instskip(NEXT) | instid1(VALU_DEP_1)
	v_mul_f32_e32 v4, v38, v4
	v_and_b32_e32 v5, 0x7f800000, v4
	s_delay_alu instid0(VALU_DEP_1) | instskip(NEXT) | instid1(VALU_DEP_1)
	v_cmp_ne_u32_e64 s0, 0x7f800000, v5
	s_and_saveexec_b32 s7, s0
	s_delay_alu instid0(SALU_CYCLE_1)
	s_xor_b32 s0, exec_lo, s7
; %bb.144:                              ;   in Loop: Header=BB156_33 Depth=1
	v_bfe_u32 v5, v4, 16, 1
	s_delay_alu instid0(VALU_DEP_1)
	v_add3_u32 v54, v4, v5, 0x7fff
                                        ; implicit-def: $vgpr4
; %bb.145:                              ;   in Loop: Header=BB156_33 Depth=1
	s_and_not1_saveexec_b32 s7, s0
; %bb.146:                              ;   in Loop: Header=BB156_33 Depth=1
	v_and_b32_e32 v5, 0xffff, v4
	v_or_b32_e32 v54, 0x10000, v4
	s_delay_alu instid0(VALU_DEP_2) | instskip(NEXT) | instid1(VALU_DEP_1)
	v_cmp_eq_u32_e64 s0, 0, v5
	v_cndmask_b32_e64 v54, v54, v4, s0
; %bb.147:                              ;   in Loop: Header=BB156_33 Depth=1
	s_or_b32 exec_lo, exec_lo, s7
	v_lshlrev_b32_e32 v4, 16, v55
                                        ; implicit-def: $vgpr55
	s_delay_alu instid0(VALU_DEP_1) | instskip(NEXT) | instid1(VALU_DEP_1)
	v_mul_f32_e32 v4, v39, v4
	v_and_b32_e32 v5, 0x7f800000, v4
	s_delay_alu instid0(VALU_DEP_1) | instskip(NEXT) | instid1(VALU_DEP_1)
	v_cmp_ne_u32_e64 s0, 0x7f800000, v5
	s_and_saveexec_b32 s7, s0
	s_delay_alu instid0(SALU_CYCLE_1)
	s_xor_b32 s0, exec_lo, s7
; %bb.148:                              ;   in Loop: Header=BB156_33 Depth=1
	v_bfe_u32 v5, v4, 16, 1
	s_delay_alu instid0(VALU_DEP_1)
	v_add3_u32 v55, v4, v5, 0x7fff
                                        ; implicit-def: $vgpr4
; %bb.149:                              ;   in Loop: Header=BB156_33 Depth=1
	s_and_not1_saveexec_b32 s7, s0
; %bb.150:                              ;   in Loop: Header=BB156_33 Depth=1
	v_and_b32_e32 v5, 0xffff, v4
	v_or_b32_e32 v55, 0x10000, v4
	s_delay_alu instid0(VALU_DEP_2) | instskip(NEXT) | instid1(VALU_DEP_1)
	v_cmp_eq_u32_e64 s0, 0, v5
	v_cndmask_b32_e64 v55, v55, v4, s0
; %bb.151:                              ;   in Loop: Header=BB156_33 Depth=1
	s_or_b32 exec_lo, exec_lo, s7
	v_lshlrev_b32_e32 v4, 16, v6
                                        ; implicit-def: $vgpr56
	s_delay_alu instid0(VALU_DEP_1) | instskip(NEXT) | instid1(VALU_DEP_1)
	v_mul_f32_e32 v4, v40, v4
	v_and_b32_e32 v5, 0x7f800000, v4
	s_delay_alu instid0(VALU_DEP_1) | instskip(NEXT) | instid1(VALU_DEP_1)
	v_cmp_ne_u32_e64 s0, 0x7f800000, v5
	s_and_saveexec_b32 s7, s0
	s_delay_alu instid0(SALU_CYCLE_1)
	s_xor_b32 s0, exec_lo, s7
; %bb.152:                              ;   in Loop: Header=BB156_33 Depth=1
	v_bfe_u32 v5, v4, 16, 1
	s_delay_alu instid0(VALU_DEP_1)
	v_add3_u32 v56, v4, v5, 0x7fff
                                        ; implicit-def: $vgpr4
; %bb.153:                              ;   in Loop: Header=BB156_33 Depth=1
	s_and_not1_saveexec_b32 s7, s0
; %bb.154:                              ;   in Loop: Header=BB156_33 Depth=1
	v_and_b32_e32 v5, 0xffff, v4
	v_or_b32_e32 v6, 0x10000, v4
	s_delay_alu instid0(VALU_DEP_2) | instskip(NEXT) | instid1(VALU_DEP_1)
	v_cmp_eq_u32_e64 s0, 0, v5
	v_cndmask_b32_e64 v56, v6, v4, s0
; %bb.155:                              ;   in Loop: Header=BB156_33 Depth=1
	s_or_b32 exec_lo, exec_lo, s7
	v_lshlrev_b32_e32 v4, 16, v57
                                        ; implicit-def: $vgpr57
	s_delay_alu instid0(VALU_DEP_1) | instskip(NEXT) | instid1(VALU_DEP_1)
	v_mul_f32_e32 v4, v41, v4
	v_and_b32_e32 v5, 0x7f800000, v4
	s_delay_alu instid0(VALU_DEP_1) | instskip(NEXT) | instid1(VALU_DEP_1)
	v_cmp_ne_u32_e64 s0, 0x7f800000, v5
	s_and_saveexec_b32 s7, s0
	s_delay_alu instid0(SALU_CYCLE_1)
	s_xor_b32 s0, exec_lo, s7
; %bb.156:                              ;   in Loop: Header=BB156_33 Depth=1
	v_bfe_u32 v5, v4, 16, 1
	s_delay_alu instid0(VALU_DEP_1)
	v_add3_u32 v57, v4, v5, 0x7fff
                                        ; implicit-def: $vgpr4
; %bb.157:                              ;   in Loop: Header=BB156_33 Depth=1
	s_and_not1_saveexec_b32 s7, s0
; %bb.158:                              ;   in Loop: Header=BB156_33 Depth=1
	v_and_b32_e32 v5, 0xffff, v4
	v_or_b32_e32 v6, 0x10000, v4
	s_delay_alu instid0(VALU_DEP_2) | instskip(NEXT) | instid1(VALU_DEP_1)
	v_cmp_eq_u32_e64 s0, 0, v5
	v_cndmask_b32_e64 v57, v6, v4, s0
; %bb.159:                              ;   in Loop: Header=BB156_33 Depth=1
	s_or_b32 exec_lo, exec_lo, s7
	v_lshlrev_b32_e32 v4, 16, v7
                                        ; implicit-def: $vgpr58
	s_delay_alu instid0(VALU_DEP_1) | instskip(NEXT) | instid1(VALU_DEP_1)
	v_mul_f32_e32 v4, v42, v4
	v_and_b32_e32 v5, 0x7f800000, v4
	s_delay_alu instid0(VALU_DEP_1) | instskip(NEXT) | instid1(VALU_DEP_1)
	v_cmp_ne_u32_e64 s0, 0x7f800000, v5
	s_and_saveexec_b32 s7, s0
	s_delay_alu instid0(SALU_CYCLE_1)
	s_xor_b32 s0, exec_lo, s7
; %bb.160:                              ;   in Loop: Header=BB156_33 Depth=1
	v_bfe_u32 v5, v4, 16, 1
	s_delay_alu instid0(VALU_DEP_1)
	v_add3_u32 v58, v4, v5, 0x7fff
                                        ; implicit-def: $vgpr4
; %bb.161:                              ;   in Loop: Header=BB156_33 Depth=1
	s_and_not1_saveexec_b32 s7, s0
; %bb.162:                              ;   in Loop: Header=BB156_33 Depth=1
	v_and_b32_e32 v5, 0xffff, v4
	v_or_b32_e32 v6, 0x10000, v4
	s_delay_alu instid0(VALU_DEP_2) | instskip(NEXT) | instid1(VALU_DEP_1)
	v_cmp_eq_u32_e64 s0, 0, v5
	v_cndmask_b32_e64 v58, v6, v4, s0
; %bb.163:                              ;   in Loop: Header=BB156_33 Depth=1
	s_or_b32 exec_lo, exec_lo, s7
	v_lshlrev_b32_e32 v4, 16, v59
                                        ; implicit-def: $vgpr59
	s_delay_alu instid0(VALU_DEP_1) | instskip(NEXT) | instid1(VALU_DEP_1)
	v_mul_f32_e32 v4, v43, v4
	v_and_b32_e32 v5, 0x7f800000, v4
	s_delay_alu instid0(VALU_DEP_1) | instskip(NEXT) | instid1(VALU_DEP_1)
	v_cmp_ne_u32_e64 s0, 0x7f800000, v5
	s_and_saveexec_b32 s7, s0
	s_delay_alu instid0(SALU_CYCLE_1)
	s_xor_b32 s0, exec_lo, s7
; %bb.164:                              ;   in Loop: Header=BB156_33 Depth=1
	v_bfe_u32 v5, v4, 16, 1
	s_delay_alu instid0(VALU_DEP_1)
	v_add3_u32 v59, v4, v5, 0x7fff
                                        ; implicit-def: $vgpr4
; %bb.165:                              ;   in Loop: Header=BB156_33 Depth=1
	s_and_not1_saveexec_b32 s7, s0
; %bb.166:                              ;   in Loop: Header=BB156_33 Depth=1
	v_and_b32_e32 v5, 0xffff, v4
	v_or_b32_e32 v6, 0x10000, v4
	s_delay_alu instid0(VALU_DEP_2) | instskip(NEXT) | instid1(VALU_DEP_1)
	v_cmp_eq_u32_e64 s0, 0, v5
	v_cndmask_b32_e64 v59, v6, v4, s0
; %bb.167:                              ;   in Loop: Header=BB156_33 Depth=1
	s_or_b32 exec_lo, exec_lo, s7
	global_load_b128 v[4:7], v[8:9], off offset:1536
	s_waitcnt vmcnt(0)
	v_lshrrev_b32_e32 v8, 16, v4
	v_lshrrev_b32_e32 v61, 16, v5
	;; [unrolled: 1-line block ×4, first 2 shown]
	s_and_saveexec_b32 s0, vcc_lo
	s_cbranch_execz .LBB156_169
; %bb.168:                              ;   in Loop: Header=BB156_33 Depth=1
	v_cmp_gt_i32_e32 vcc_lo, s33, v29
	v_cndmask_b32_e32 v4, 0, v4, vcc_lo
	v_cmp_gt_i32_e32 vcc_lo, s33, v35
	v_cndmask_b32_e32 v8, 0, v8, vcc_lo
	v_cmp_gt_i32_e32 vcc_lo, s33, v33
	v_cndmask_b32_e32 v5, 0, v5, vcc_lo
	v_cmp_gt_i32_e32 vcc_lo, s33, v32
	v_cndmask_b32_e32 v61, 0, v61, vcc_lo
	v_cmp_gt_i32_e32 vcc_lo, s33, v31
	v_cndmask_b32_e32 v6, 0, v6, vcc_lo
	v_cmp_gt_i32_e32 vcc_lo, s33, v30
	v_cndmask_b32_e32 v60, 0, v60, vcc_lo
	v_cmp_gt_i32_e32 vcc_lo, s33, v34
	v_cndmask_b32_e32 v7, 0, v7, vcc_lo
	v_cmp_gt_i32_e32 vcc_lo, s33, v22
	v_cndmask_b32_e32 v9, 0, v9, vcc_lo
.LBB156_169:                            ;   in Loop: Header=BB156_33 Depth=1
	s_or_b32 exec_lo, exec_lo, s0
	v_lshlrev_b32_e32 v4, 16, v4
	s_delay_alu instid0(VALU_DEP_1) | instskip(NEXT) | instid1(VALU_DEP_1)
	v_mul_f32_e32 v29, v36, v4
	v_and_b32_e32 v4, 0x7f800000, v29
	s_delay_alu instid0(VALU_DEP_1) | instskip(SKIP_1) | instid1(SALU_CYCLE_1)
	v_cmp_ne_u32_e32 vcc_lo, 0x7f800000, v4
                                        ; implicit-def: $vgpr4
	s_and_saveexec_b32 s0, vcc_lo
	s_xor_b32 s0, exec_lo, s0
; %bb.170:                              ;   in Loop: Header=BB156_33 Depth=1
	v_bfe_u32 v4, v29, 16, 1
	s_delay_alu instid0(VALU_DEP_1)
	v_add3_u32 v4, v29, v4, 0x7fff
                                        ; implicit-def: $vgpr29
; %bb.171:                              ;   in Loop: Header=BB156_33 Depth=1
	s_and_not1_saveexec_b32 s0, s0
; %bb.172:                              ;   in Loop: Header=BB156_33 Depth=1
	v_and_b32_e32 v4, 0xffff, v29
	v_or_b32_e32 v30, 0x10000, v29
	s_delay_alu instid0(VALU_DEP_2) | instskip(NEXT) | instid1(VALU_DEP_2)
	v_cmp_eq_u32_e32 vcc_lo, 0, v4
	v_cndmask_b32_e32 v4, v30, v29, vcc_lo
; %bb.173:                              ;   in Loop: Header=BB156_33 Depth=1
	s_or_b32 exec_lo, exec_lo, s0
	v_lshlrev_b32_e32 v8, 16, v8
	s_delay_alu instid0(VALU_DEP_1) | instskip(NEXT) | instid1(VALU_DEP_1)
	v_mul_f32_e32 v29, v37, v8
	v_and_b32_e32 v8, 0x7f800000, v29
	s_delay_alu instid0(VALU_DEP_1) | instskip(SKIP_1) | instid1(SALU_CYCLE_1)
	v_cmp_ne_u32_e32 vcc_lo, 0x7f800000, v8
                                        ; implicit-def: $vgpr8
	s_and_saveexec_b32 s0, vcc_lo
	s_xor_b32 s0, exec_lo, s0
; %bb.174:                              ;   in Loop: Header=BB156_33 Depth=1
	v_bfe_u32 v8, v29, 16, 1
	s_delay_alu instid0(VALU_DEP_1)
	v_add3_u32 v8, v29, v8, 0x7fff
                                        ; implicit-def: $vgpr29
; %bb.175:                              ;   in Loop: Header=BB156_33 Depth=1
	s_and_not1_saveexec_b32 s0, s0
; %bb.176:                              ;   in Loop: Header=BB156_33 Depth=1
	v_and_b32_e32 v8, 0xffff, v29
	v_or_b32_e32 v30, 0x10000, v29
	s_delay_alu instid0(VALU_DEP_2) | instskip(NEXT) | instid1(VALU_DEP_2)
	v_cmp_eq_u32_e32 vcc_lo, 0, v8
	v_cndmask_b32_e32 v8, v30, v29, vcc_lo
; %bb.177:                              ;   in Loop: Header=BB156_33 Depth=1
	s_or_b32 exec_lo, exec_lo, s0
	v_lshlrev_b32_e32 v5, 16, v5
	s_delay_alu instid0(VALU_DEP_1) | instskip(NEXT) | instid1(VALU_DEP_1)
	v_mul_f32_e32 v29, v38, v5
	v_and_b32_e32 v5, 0x7f800000, v29
	s_delay_alu instid0(VALU_DEP_1) | instskip(SKIP_1) | instid1(SALU_CYCLE_1)
	v_cmp_ne_u32_e32 vcc_lo, 0x7f800000, v5
                                        ; implicit-def: $vgpr5
	s_and_saveexec_b32 s0, vcc_lo
	s_xor_b32 s0, exec_lo, s0
; %bb.178:                              ;   in Loop: Header=BB156_33 Depth=1
	v_bfe_u32 v5, v29, 16, 1
	s_delay_alu instid0(VALU_DEP_1)
	v_add3_u32 v5, v29, v5, 0x7fff
                                        ; implicit-def: $vgpr29
; %bb.179:                              ;   in Loop: Header=BB156_33 Depth=1
	s_and_not1_saveexec_b32 s0, s0
; %bb.180:                              ;   in Loop: Header=BB156_33 Depth=1
	v_and_b32_e32 v5, 0xffff, v29
	v_or_b32_e32 v30, 0x10000, v29
	s_delay_alu instid0(VALU_DEP_2) | instskip(NEXT) | instid1(VALU_DEP_2)
	v_cmp_eq_u32_e32 vcc_lo, 0, v5
	v_cndmask_b32_e32 v5, v30, v29, vcc_lo
; %bb.181:                              ;   in Loop: Header=BB156_33 Depth=1
	s_or_b32 exec_lo, exec_lo, s0
	v_lshlrev_b32_e32 v29, 16, v61
	s_delay_alu instid0(VALU_DEP_1) | instskip(NEXT) | instid1(VALU_DEP_1)
	v_mul_f32_e32 v30, v39, v29
	v_and_b32_e32 v29, 0x7f800000, v30
	s_delay_alu instid0(VALU_DEP_1) | instskip(SKIP_1) | instid1(SALU_CYCLE_1)
	v_cmp_ne_u32_e32 vcc_lo, 0x7f800000, v29
                                        ; implicit-def: $vgpr29
	s_and_saveexec_b32 s0, vcc_lo
	s_xor_b32 s0, exec_lo, s0
; %bb.182:                              ;   in Loop: Header=BB156_33 Depth=1
	v_bfe_u32 v29, v30, 16, 1
	s_delay_alu instid0(VALU_DEP_1)
	v_add3_u32 v29, v30, v29, 0x7fff
                                        ; implicit-def: $vgpr30
; %bb.183:                              ;   in Loop: Header=BB156_33 Depth=1
	s_and_not1_saveexec_b32 s0, s0
; %bb.184:                              ;   in Loop: Header=BB156_33 Depth=1
	v_and_b32_e32 v29, 0xffff, v30
	v_or_b32_e32 v31, 0x10000, v30
	s_delay_alu instid0(VALU_DEP_2) | instskip(NEXT) | instid1(VALU_DEP_2)
	v_cmp_eq_u32_e32 vcc_lo, 0, v29
	v_cndmask_b32_e32 v29, v31, v30, vcc_lo
; %bb.185:                              ;   in Loop: Header=BB156_33 Depth=1
	s_or_b32 exec_lo, exec_lo, s0
	v_lshlrev_b32_e32 v6, 16, v6
	s_delay_alu instid0(VALU_DEP_1) | instskip(NEXT) | instid1(VALU_DEP_1)
	v_mul_f32_e32 v30, v40, v6
	v_and_b32_e32 v6, 0x7f800000, v30
	s_delay_alu instid0(VALU_DEP_1) | instskip(SKIP_1) | instid1(SALU_CYCLE_1)
	v_cmp_ne_u32_e32 vcc_lo, 0x7f800000, v6
                                        ; implicit-def: $vgpr6
	s_and_saveexec_b32 s0, vcc_lo
	s_xor_b32 s0, exec_lo, s0
; %bb.186:                              ;   in Loop: Header=BB156_33 Depth=1
	v_bfe_u32 v6, v30, 16, 1
	s_delay_alu instid0(VALU_DEP_1)
	v_add3_u32 v6, v30, v6, 0x7fff
                                        ; implicit-def: $vgpr30
; %bb.187:                              ;   in Loop: Header=BB156_33 Depth=1
	s_and_not1_saveexec_b32 s0, s0
; %bb.188:                              ;   in Loop: Header=BB156_33 Depth=1
	v_and_b32_e32 v6, 0xffff, v30
	v_or_b32_e32 v31, 0x10000, v30
	s_delay_alu instid0(VALU_DEP_2) | instskip(NEXT) | instid1(VALU_DEP_2)
	v_cmp_eq_u32_e32 vcc_lo, 0, v6
	v_cndmask_b32_e32 v6, v31, v30, vcc_lo
; %bb.189:                              ;   in Loop: Header=BB156_33 Depth=1
	s_or_b32 exec_lo, exec_lo, s0
	v_lshlrev_b32_e32 v30, 16, v60
	s_delay_alu instid0(VALU_DEP_1) | instskip(NEXT) | instid1(VALU_DEP_1)
	v_mul_f32_e32 v31, v41, v30
	v_and_b32_e32 v30, 0x7f800000, v31
	s_delay_alu instid0(VALU_DEP_1) | instskip(SKIP_1) | instid1(SALU_CYCLE_1)
	v_cmp_ne_u32_e32 vcc_lo, 0x7f800000, v30
                                        ; implicit-def: $vgpr30
	s_and_saveexec_b32 s0, vcc_lo
	s_xor_b32 s0, exec_lo, s0
; %bb.190:                              ;   in Loop: Header=BB156_33 Depth=1
	v_bfe_u32 v30, v31, 16, 1
	s_delay_alu instid0(VALU_DEP_1)
	v_add3_u32 v30, v31, v30, 0x7fff
                                        ; implicit-def: $vgpr31
; %bb.191:                              ;   in Loop: Header=BB156_33 Depth=1
	s_and_not1_saveexec_b32 s0, s0
; %bb.192:                              ;   in Loop: Header=BB156_33 Depth=1
	v_and_b32_e32 v30, 0xffff, v31
	v_or_b32_e32 v32, 0x10000, v31
	s_delay_alu instid0(VALU_DEP_2) | instskip(NEXT) | instid1(VALU_DEP_2)
	v_cmp_eq_u32_e32 vcc_lo, 0, v30
	v_cndmask_b32_e32 v30, v32, v31, vcc_lo
; %bb.193:                              ;   in Loop: Header=BB156_33 Depth=1
	s_or_b32 exec_lo, exec_lo, s0
	v_lshlrev_b32_e32 v7, 16, v7
	s_delay_alu instid0(VALU_DEP_1) | instskip(NEXT) | instid1(VALU_DEP_1)
	v_mul_f32_e32 v31, v42, v7
	v_and_b32_e32 v7, 0x7f800000, v31
	s_delay_alu instid0(VALU_DEP_1) | instskip(SKIP_1) | instid1(SALU_CYCLE_1)
	v_cmp_ne_u32_e32 vcc_lo, 0x7f800000, v7
                                        ; implicit-def: $vgpr7
	s_and_saveexec_b32 s0, vcc_lo
	s_xor_b32 s0, exec_lo, s0
; %bb.194:                              ;   in Loop: Header=BB156_33 Depth=1
	v_bfe_u32 v7, v31, 16, 1
	s_delay_alu instid0(VALU_DEP_1)
	v_add3_u32 v7, v31, v7, 0x7fff
                                        ; implicit-def: $vgpr31
; %bb.195:                              ;   in Loop: Header=BB156_33 Depth=1
	s_and_not1_saveexec_b32 s0, s0
; %bb.196:                              ;   in Loop: Header=BB156_33 Depth=1
	v_and_b32_e32 v7, 0xffff, v31
	v_or_b32_e32 v32, 0x10000, v31
	s_delay_alu instid0(VALU_DEP_2) | instskip(NEXT) | instid1(VALU_DEP_2)
	v_cmp_eq_u32_e32 vcc_lo, 0, v7
	v_cndmask_b32_e32 v7, v32, v31, vcc_lo
; %bb.197:                              ;   in Loop: Header=BB156_33 Depth=1
	s_or_b32 exec_lo, exec_lo, s0
	v_lshlrev_b32_e32 v9, 16, v9
	s_delay_alu instid0(VALU_DEP_1) | instskip(NEXT) | instid1(VALU_DEP_1)
	v_mul_f32_e32 v31, v43, v9
	v_and_b32_e32 v9, 0x7f800000, v31
	s_delay_alu instid0(VALU_DEP_1) | instskip(SKIP_1) | instid1(SALU_CYCLE_1)
	v_cmp_ne_u32_e32 vcc_lo, 0x7f800000, v9
                                        ; implicit-def: $vgpr9
	s_and_saveexec_b32 s0, vcc_lo
	s_xor_b32 s0, exec_lo, s0
; %bb.198:                              ;   in Loop: Header=BB156_33 Depth=1
	v_bfe_u32 v9, v31, 16, 1
	s_delay_alu instid0(VALU_DEP_1)
	v_add3_u32 v9, v31, v9, 0x7fff
                                        ; implicit-def: $vgpr31
; %bb.199:                              ;   in Loop: Header=BB156_33 Depth=1
	s_and_not1_saveexec_b32 s0, s0
	s_cbranch_execz .LBB156_32
; %bb.200:                              ;   in Loop: Header=BB156_33 Depth=1
	v_and_b32_e32 v9, 0xffff, v31
	v_or_b32_e32 v32, 0x10000, v31
	s_delay_alu instid0(VALU_DEP_2) | instskip(NEXT) | instid1(VALU_DEP_2)
	v_cmp_eq_u32_e32 vcc_lo, 0, v9
	v_cndmask_b32_e32 v9, v32, v31, vcc_lo
	s_branch .LBB156_32
.LBB156_201:
	s_or_b32 exec_lo, exec_lo, s4
.LBB156_202:
	s_delay_alu instid0(SALU_CYCLE_1)
	s_or_b32 exec_lo, exec_lo, s1
	v_and_b32_e32 v2, 0x3c0, v0
	v_lshl_add_u32 v1, v15, 9, 0x120
	s_mov_b32 s0, exec_lo
	s_waitcnt_vscnt null, 0x0
	s_barrier
	buffer_gl0_inv
	v_cmpx_eq_u32_e32 64, v2
	s_cbranch_execz .LBB156_204
; %bb.203:
	v_add_nc_u32_e32 v2, 0xfffffc00, v1
	v_lshl_or_b32 v4, v0, 2, 0x180
	s_delay_alu instid0(VALU_DEP_2) | instskip(NEXT) | instid1(VALU_DEP_2)
	v_lshl_add_u32 v5, v16, 2, v2
	v_add_nc_u32_e32 v2, v2, v4
	ds_store_2addr_b32 v5, v19, v18 offset1:32
	ds_store_b32 v5, v17 offset:256
	ds_store_b32 v2, v3
.LBB156_204:
	s_or_b32 exec_lo, exec_lo, s0
	v_lshl_add_u32 v2, v16, 2, v1
	s_waitcnt lgkmcnt(0)
	s_barrier
	buffer_gl0_inv
	s_and_saveexec_b32 s0, s2
	s_cbranch_execz .LBB156_206
; %bb.205:
	v_or_b32_e32 v4, 0x80, v14
	v_or_b32_e32 v5, 0x180, v14
	s_delay_alu instid0(VALU_DEP_2) | instskip(NEXT) | instid1(VALU_DEP_2)
	v_add_nc_u32_e32 v6, v1, v4
	v_add_nc_u32_e32 v7, v1, v5
	ds_load_2addr_stride64_b32 v[4:5], v2 offset1:1
	ds_load_b32 v6, v6
	ds_load_b32 v7, v7
	s_waitcnt lgkmcnt(1)
	v_dual_add_f32 v19, v19, v4 :: v_dual_add_f32 v18, v18, v6
	v_add_f32_e32 v17, v17, v5
	s_waitcnt lgkmcnt(0)
	v_add_f32_e32 v3, v3, v7
.LBB156_206:
	s_or_b32 exec_lo, exec_lo, s0
	v_and_b32_e32 v4, 0x3e0, v0
	s_mov_b32 s0, exec_lo
	s_barrier
	buffer_gl0_inv
	v_cmpx_eq_u32_e32 32, v4
	s_cbranch_execz .LBB156_208
; %bb.207:
	v_or_b32_e32 v4, 0x180, v14
	v_lshl_add_u32 v5, v16, 2, 0x120
	v_add_nc_u32_e32 v6, 0x120, v14
	s_delay_alu instid0(VALU_DEP_3)
	v_add_nc_u32_e32 v4, 0x120, v4
	ds_store_b32 v5, v19
	ds_store_b32 v6, v18
	ds_store_b32 v5, v17 offset:256
	ds_store_b32 v4, v3
.LBB156_208:
	s_or_b32 exec_lo, exec_lo, s0
	v_cmp_gt_u32_e32 vcc_lo, 32, v0
	s_waitcnt lgkmcnt(0)
	s_barrier
	buffer_gl0_inv
	s_and_saveexec_b32 s0, vcc_lo
	s_cbranch_execz .LBB156_210
; %bb.209:
	v_lshl_add_u32 v4, v0, 2, v1
	ds_load_b32 v5, v2
	ds_load_2addr_b32 v[1:2], v4 offset0:32 offset1:64
	ds_load_b32 v4, v4 offset:384
	s_waitcnt lgkmcnt(2)
	v_add_f32_e32 v19, v19, v5
	s_waitcnt lgkmcnt(1)
	v_dual_add_f32 v18, v18, v1 :: v_dual_add_f32 v17, v17, v2
	s_waitcnt lgkmcnt(0)
	v_add_f32_e32 v3, v3, v4
.LBB156_210:
	s_or_b32 exec_lo, exec_lo, s0
	s_barrier
	buffer_gl0_inv
	s_and_saveexec_b32 s0, vcc_lo
	s_cbranch_execz .LBB156_228
; %bb.211:
	v_and_b32_e32 v1, 0x7f800000, v19
	s_delay_alu instid0(VALU_DEP_1) | instskip(SKIP_1) | instid1(SALU_CYCLE_1)
	v_cmp_ne_u32_e32 vcc_lo, 0x7f800000, v1
                                        ; implicit-def: $vgpr1
	s_and_saveexec_b32 s0, vcc_lo
	s_xor_b32 s0, exec_lo, s0
; %bb.212:
	v_bfe_u32 v1, v19, 16, 1
	s_delay_alu instid0(VALU_DEP_1)
	v_add3_u32 v1, v19, v1, 0x7fff
; %bb.213:
	s_and_not1_saveexec_b32 s0, s0
; %bb.214:
	v_and_b32_e32 v1, 0xffff, v19
	v_or_b32_e32 v2, 0x10000, v19
	s_delay_alu instid0(VALU_DEP_2) | instskip(NEXT) | instid1(VALU_DEP_2)
	v_cmp_eq_u32_e32 vcc_lo, 0, v1
	v_cndmask_b32_e32 v1, v2, v19, vcc_lo
; %bb.215:
	s_or_b32 exec_lo, exec_lo, s0
	s_lshl_b32 s0, s6, 7
	s_mul_i32 s2, s15, s16
	s_ashr_i32 s1, s0, 31
	v_lshlrev_b32_e32 v0, 1, v0
	s_lshl_b64 s[0:1], s[0:1], 1
	v_and_b32_e32 v2, 0x7f800000, v18
	s_add_u32 s4, s18, s0
	s_addc_u32 s5, s19, s1
	s_ashr_i32 s3, s2, 31
	s_delay_alu instid0(SALU_CYCLE_1) | instskip(NEXT) | instid1(SALU_CYCLE_1)
	s_lshl_b64 s[0:1], s[2:3], 1
	s_add_u32 s2, s4, s0
	s_addc_u32 s3, s5, s1
	s_lshl_b32 s0, s12, 7
	s_delay_alu instid0(SALU_CYCLE_1) | instskip(NEXT) | instid1(SALU_CYCLE_1)
	s_ashr_i32 s1, s0, 31
	s_lshl_b64 s[0:1], s[0:1], 1
	s_delay_alu instid0(SALU_CYCLE_1) | instskip(SKIP_2) | instid1(VALU_DEP_1)
	s_add_u32 s0, s2, s0
	s_addc_u32 s1, s3, s1
	v_add_co_u32 v4, s2, s0, v0
	v_add_co_ci_u32_e64 v5, null, s1, 0, s2
	global_store_d16_hi_b16 v0, v1, s[0:1]
	s_mov_b32 s0, exec_lo
                                        ; implicit-def: $vgpr0
	v_cmpx_ne_u32_e32 0x7f800000, v2
	s_xor_b32 s0, exec_lo, s0
; %bb.216:
	v_bfe_u32 v0, v18, 16, 1
	s_delay_alu instid0(VALU_DEP_1)
	v_add3_u32 v0, v18, v0, 0x7fff
; %bb.217:
	s_and_not1_saveexec_b32 s0, s0
; %bb.218:
	v_and_b32_e32 v0, 0xffff, v18
	v_or_b32_e32 v1, 0x10000, v18
	s_delay_alu instid0(VALU_DEP_2) | instskip(NEXT) | instid1(VALU_DEP_2)
	v_cmp_eq_u32_e32 vcc_lo, 0, v0
	v_cndmask_b32_e32 v0, v1, v18, vcc_lo
; %bb.219:
	s_or_b32 exec_lo, exec_lo, s0
	v_and_b32_e32 v1, 0x7f800000, v17
	s_mov_b32 s0, exec_lo
	global_store_d16_hi_b16 v[4:5], v0, off offset:64
                                        ; implicit-def: $vgpr0
	v_cmpx_ne_u32_e32 0x7f800000, v1
	s_xor_b32 s0, exec_lo, s0
; %bb.220:
	v_bfe_u32 v0, v17, 16, 1
	s_delay_alu instid0(VALU_DEP_1)
	v_add3_u32 v0, v17, v0, 0x7fff
; %bb.221:
	s_and_not1_saveexec_b32 s0, s0
; %bb.222:
	v_and_b32_e32 v0, 0xffff, v17
	v_or_b32_e32 v1, 0x10000, v17
	s_delay_alu instid0(VALU_DEP_2) | instskip(NEXT) | instid1(VALU_DEP_2)
	v_cmp_eq_u32_e32 vcc_lo, 0, v0
	v_cndmask_b32_e32 v0, v1, v17, vcc_lo
; %bb.223:
	s_or_b32 exec_lo, exec_lo, s0
	v_and_b32_e32 v1, 0x7f800000, v3
	s_mov_b32 s0, exec_lo
	global_store_d16_hi_b16 v[4:5], v0, off offset:128
                                        ; implicit-def: $vgpr6
	v_cmpx_ne_u32_e32 0x7f800000, v1
	s_xor_b32 s0, exec_lo, s0
; %bb.224:
	v_bfe_u32 v0, v3, 16, 1
	s_delay_alu instid0(VALU_DEP_1)
	v_add3_u32 v6, v3, v0, 0x7fff
                                        ; implicit-def: $vgpr0_vgpr1_vgpr2_vgpr3
; %bb.225:
	s_and_not1_saveexec_b32 s0, s0
; %bb.226:
	v_and_b32_e32 v0, 0xffff, v3
	v_or_b32_e32 v1, 0x10000, v3
	s_delay_alu instid0(VALU_DEP_2) | instskip(NEXT) | instid1(VALU_DEP_2)
	v_cmp_eq_u32_e32 vcc_lo, 0, v0
	v_cndmask_b32_e32 v6, v1, v3, vcc_lo
; %bb.227:
	s_or_b32 exec_lo, exec_lo, s0
	global_store_d16_hi_b16 v[4:5], v6, off offset:192
.LBB156_228:
	s_nop 0
	s_sendmsg sendmsg(MSG_DEALLOC_VGPRS)
	s_endpgm
	.section	.rodata,"a",@progbits
	.p2align	6, 0x0
	.amdhsa_kernel _ZN4vllm25paged_attention_v2_kernelI14__hip_bfloat16S1_Li128ELi8ELi128ELNS_18Fp8KVCacheDataTypeE0ELb0ELi512EEEvPfS3_PT_PKS4_PKT0_SA_ifPKiSC_iPKfiiiSE_SE_iiiii
		.amdhsa_group_segment_fixed_size 288
		.amdhsa_private_segment_fixed_size 0
		.amdhsa_kernarg_size 400
		.amdhsa_user_sgpr_count 13
		.amdhsa_user_sgpr_dispatch_ptr 0
		.amdhsa_user_sgpr_queue_ptr 0
		.amdhsa_user_sgpr_kernarg_segment_ptr 1
		.amdhsa_user_sgpr_dispatch_id 0
		.amdhsa_user_sgpr_private_segment_size 0
		.amdhsa_wavefront_size32 1
		.amdhsa_uses_dynamic_stack 0
		.amdhsa_enable_private_segment 0
		.amdhsa_system_sgpr_workgroup_id_x 1
		.amdhsa_system_sgpr_workgroup_id_y 1
		.amdhsa_system_sgpr_workgroup_id_z 1
		.amdhsa_system_sgpr_workgroup_info 0
		.amdhsa_system_vgpr_workitem_id 0
		.amdhsa_next_free_vgpr 69
		.amdhsa_next_free_sgpr 40
		.amdhsa_reserve_vcc 1
		.amdhsa_float_round_mode_32 0
		.amdhsa_float_round_mode_16_64 0
		.amdhsa_float_denorm_mode_32 3
		.amdhsa_float_denorm_mode_16_64 3
		.amdhsa_dx10_clamp 1
		.amdhsa_ieee_mode 1
		.amdhsa_fp16_overflow 0
		.amdhsa_workgroup_processor_mode 1
		.amdhsa_memory_ordered 1
		.amdhsa_forward_progress 0
		.amdhsa_shared_vgpr_count 0
		.amdhsa_exception_fp_ieee_invalid_op 0
		.amdhsa_exception_fp_denorm_src 0
		.amdhsa_exception_fp_ieee_div_zero 0
		.amdhsa_exception_fp_ieee_overflow 0
		.amdhsa_exception_fp_ieee_underflow 0
		.amdhsa_exception_fp_ieee_inexact 0
		.amdhsa_exception_int_div_zero 0
	.end_amdhsa_kernel
	.section	.text._ZN4vllm25paged_attention_v2_kernelI14__hip_bfloat16S1_Li128ELi8ELi128ELNS_18Fp8KVCacheDataTypeE0ELb0ELi512EEEvPfS3_PT_PKS4_PKT0_SA_ifPKiSC_iPKfiiiSE_SE_iiiii,"axG",@progbits,_ZN4vllm25paged_attention_v2_kernelI14__hip_bfloat16S1_Li128ELi8ELi128ELNS_18Fp8KVCacheDataTypeE0ELb0ELi512EEEvPfS3_PT_PKS4_PKT0_SA_ifPKiSC_iPKfiiiSE_SE_iiiii,comdat
.Lfunc_end156:
	.size	_ZN4vllm25paged_attention_v2_kernelI14__hip_bfloat16S1_Li128ELi8ELi128ELNS_18Fp8KVCacheDataTypeE0ELb0ELi512EEEvPfS3_PT_PKS4_PKT0_SA_ifPKiSC_iPKfiiiSE_SE_iiiii, .Lfunc_end156-_ZN4vllm25paged_attention_v2_kernelI14__hip_bfloat16S1_Li128ELi8ELi128ELNS_18Fp8KVCacheDataTypeE0ELb0ELi512EEEvPfS3_PT_PKS4_PKT0_SA_ifPKiSC_iPKfiiiSE_SE_iiiii
                                        ; -- End function
	.section	.AMDGPU.csdata,"",@progbits
; Kernel info:
; codeLenInByte = 9684
; NumSgprs: 42
; NumVgprs: 69
; ScratchSize: 0
; MemoryBound: 0
; FloatMode: 240
; IeeeMode: 1
; LDSByteSize: 288 bytes/workgroup (compile time only)
; SGPRBlocks: 5
; VGPRBlocks: 8
; NumSGPRsForWavesPerEU: 42
; NumVGPRsForWavesPerEU: 69
; Occupancy: 16
; WaveLimiterHint : 1
; COMPUTE_PGM_RSRC2:SCRATCH_EN: 0
; COMPUTE_PGM_RSRC2:USER_SGPR: 13
; COMPUTE_PGM_RSRC2:TRAP_HANDLER: 0
; COMPUTE_PGM_RSRC2:TGID_X_EN: 1
; COMPUTE_PGM_RSRC2:TGID_Y_EN: 1
; COMPUTE_PGM_RSRC2:TGID_Z_EN: 1
; COMPUTE_PGM_RSRC2:TIDIG_COMP_CNT: 0
	.section	.text._ZN4vllm25paged_attention_v2_kernelI14__hip_bfloat16S1_Li192ELi8ELi128ELNS_18Fp8KVCacheDataTypeE0ELb0ELi512EEEvPfS3_PT_PKS4_PKT0_SA_ifPKiSC_iPKfiiiSE_SE_iiiii,"axG",@progbits,_ZN4vllm25paged_attention_v2_kernelI14__hip_bfloat16S1_Li192ELi8ELi128ELNS_18Fp8KVCacheDataTypeE0ELb0ELi512EEEvPfS3_PT_PKS4_PKT0_SA_ifPKiSC_iPKfiiiSE_SE_iiiii,comdat
	.protected	_ZN4vllm25paged_attention_v2_kernelI14__hip_bfloat16S1_Li192ELi8ELi128ELNS_18Fp8KVCacheDataTypeE0ELb0ELi512EEEvPfS3_PT_PKS4_PKT0_SA_ifPKiSC_iPKfiiiSE_SE_iiiii ; -- Begin function _ZN4vllm25paged_attention_v2_kernelI14__hip_bfloat16S1_Li192ELi8ELi128ELNS_18Fp8KVCacheDataTypeE0ELb0ELi512EEEvPfS3_PT_PKS4_PKT0_SA_ifPKiSC_iPKfiiiSE_SE_iiiii
	.globl	_ZN4vllm25paged_attention_v2_kernelI14__hip_bfloat16S1_Li192ELi8ELi128ELNS_18Fp8KVCacheDataTypeE0ELb0ELi512EEEvPfS3_PT_PKS4_PKT0_SA_ifPKiSC_iPKfiiiSE_SE_iiiii
	.p2align	8
	.type	_ZN4vllm25paged_attention_v2_kernelI14__hip_bfloat16S1_Li192ELi8ELi128ELNS_18Fp8KVCacheDataTypeE0ELb0ELi512EEEvPfS3_PT_PKS4_PKT0_SA_ifPKiSC_iPKfiiiSE_SE_iiiii,@function
_ZN4vllm25paged_attention_v2_kernelI14__hip_bfloat16S1_Li192ELi8ELi128ELNS_18Fp8KVCacheDataTypeE0ELb0ELi512EEEvPfS3_PT_PKS4_PKT0_SA_ifPKiSC_iPKfiiiSE_SE_iiiii: ; @_ZN4vllm25paged_attention_v2_kernelI14__hip_bfloat16S1_Li192ELi8ELi128ELNS_18Fp8KVCacheDataTypeE0ELb0ELi512EEEvPfS3_PT_PKS4_PKT0_SA_ifPKiSC_iPKfiiiSE_SE_iiiii
; %bb.0:
	s_load_b64 s[2:3], s[0:1], 0x40
	s_mov_b32 s12, s15
	s_ashr_i32 s15, s14, 31
	s_delay_alu instid0(SALU_CYCLE_1)
	s_lshl_b64 s[4:5], s[14:15], 2
	s_waitcnt lgkmcnt(0)
	s_add_u32 s2, s2, s4
	s_addc_u32 s3, s3, s5
	s_lshl_b32 s33, s12, 9
	s_load_b32 s15, s[2:3], 0x0
	s_waitcnt lgkmcnt(0)
	s_cmp_ge_i32 s33, s15
	s_cbranch_scc1 .LBB157_304
; %bb.1:
	s_mov_b32 s20, s13
	s_clause 0x1
	s_load_b32 s13, s[0:1], 0x90
	s_load_b64 s[30:31], s[0:1], 0x30
	s_waitcnt lgkmcnt(0)
	s_abs_i32 s5, s13
	s_abs_i32 s2, s30
	s_delay_alu instid0(SALU_CYCLE_1) | instskip(SKIP_1) | instid1(VALU_DEP_1)
	v_cvt_f32_u32_e32 v1, s2
	s_sub_i32 s4, 0, s2
	v_rcp_iflag_f32_e32 v1, v1
	s_waitcnt_depctr 0xfff
	v_mul_f32_e32 v1, 0x4f7ffffe, v1
	s_delay_alu instid0(VALU_DEP_1) | instskip(NEXT) | instid1(VALU_DEP_1)
	v_cvt_u32_f32_e32 v1, v1
	v_readfirstlane_b32 s3, v1
	s_delay_alu instid0(VALU_DEP_1) | instskip(NEXT) | instid1(SALU_CYCLE_1)
	s_mul_i32 s4, s4, s3
	s_mul_hi_u32 s4, s3, s4
	s_delay_alu instid0(SALU_CYCLE_1)
	s_add_i32 s3, s3, s4
	s_xor_b32 s4, s13, s30
	s_mul_hi_u32 s3, s5, s3
	s_ashr_i32 s4, s4, 31
	s_mul_i32 s6, s3, s2
	s_mov_b32 s30, 0
	s_sub_i32 s5, s5, s6
	s_add_i32 s6, s3, 1
	s_sub_i32 s7, s5, s2
	s_cmp_ge_u32 s5, s2
	s_cselect_b32 s3, s6, s3
	s_cselect_b32 s5, s7, s5
	s_add_i32 s6, s3, 1
	s_cmp_ge_u32 s5, s2
	s_cselect_b32 s2, s6, s3
	s_abs_i32 s10, s20
	s_xor_b32 s2, s2, s4
	s_delay_alu instid0(SALU_CYCLE_1) | instskip(SKIP_2) | instid1(SALU_CYCLE_1)
	s_sub_i32 s11, s2, s4
	s_load_b64 s[2:3], s[0:1], 0x50
	s_abs_i32 s8, s11
	v_cvt_f32_u32_e32 v1, s8
	s_sub_i32 s5, 0, s8
	s_delay_alu instid0(VALU_DEP_1) | instskip(SKIP_2) | instid1(VALU_DEP_1)
	v_rcp_iflag_f32_e32 v1, v1
	s_waitcnt_depctr 0xfff
	v_mul_f32_e32 v1, 0x4f7ffffe, v1
	v_cvt_u32_f32_e32 v1, v1
	s_delay_alu instid0(VALU_DEP_1) | instskip(NEXT) | instid1(VALU_DEP_1)
	v_readfirstlane_b32 s4, v1
	s_mul_i32 s5, s5, s4
	s_delay_alu instid0(SALU_CYCLE_1) | instskip(NEXT) | instid1(SALU_CYCLE_1)
	s_mul_hi_u32 s5, s4, s5
	s_add_i32 s4, s4, s5
	s_waitcnt lgkmcnt(0)
	s_cmp_eq_u64 s[2:3], 0
	s_mul_hi_u32 s9, s10, s4
	s_cbranch_scc1 .LBB157_3
; %bb.2:
	s_ashr_i32 s21, s20, 31
	s_delay_alu instid0(SALU_CYCLE_1) | instskip(NEXT) | instid1(SALU_CYCLE_1)
	s_lshl_b64 s[4:5], s[20:21], 2
	s_add_u32 s2, s2, s4
	s_addc_u32 s3, s3, s5
	s_load_b32 s30, s[2:3], 0x0
.LBB157_3:
	s_load_b128 s[4:7], s[0:1], 0x58
	v_and_b32_e32 v1, 3, v0
	v_lshlrev_b32_e32 v13, 2, v0
	s_ashr_i32 s2, s20, 31
	s_ashr_i32 s3, s11, 31
	s_mul_i32 s16, s20, 0xc0
	s_waitcnt lgkmcnt(0)
	s_mov_b32 s7, exec_lo
	v_cmpx_gt_u32_e32 0x60, v0
	s_cbranch_execz .LBB157_5
; %bb.4:
	s_load_b64 s[18:19], s[0:1], 0x18
	s_mul_i32 s22, s14, s4
	v_and_b32_e32 v3, 0x3fc, v0
	s_ashr_i32 s23, s22, 31
	s_delay_alu instid0(SALU_CYCLE_1) | instskip(NEXT) | instid1(VALU_DEP_1)
	s_lshl_b64 s[22:23], s[22:23], 1
	v_mad_u32_u24 v3, 0x60, v1, v3
	s_waitcnt lgkmcnt(0)
	s_add_u32 s4, s18, s22
	s_addc_u32 s11, s19, s23
	s_ashr_i32 s17, s16, 31
	s_delay_alu instid0(SALU_CYCLE_1) | instskip(NEXT) | instid1(SALU_CYCLE_1)
	s_lshl_b64 s[18:19], s[16:17], 1
	s_add_u32 s18, s4, s18
	s_addc_u32 s19, s11, s19
	global_load_b32 v2, v13, s[18:19]
	s_waitcnt vmcnt(0)
	ds_store_b32 v3, v2
.LBB157_5:
	s_or_b32 exec_lo, exec_lo, s7
	s_add_i32 s4, s15, 7
	s_lshl_b32 s7, s12, 6
	s_ashr_i32 s11, s4, 31
	s_xor_b32 s2, s2, s3
	s_lshr_b32 s11, s11, 29
	s_add_i32 s3, s7, 64
	s_add_i32 s4, s4, s11
	s_clause 0x1
	s_load_b64 s[22:23], s[0:1], 0x38
	s_load_b32 s11, s[0:1], 0x48
	s_ashr_i32 s21, s4, 3
	s_mul_i32 s4, s9, s8
	s_min_i32 s17, s3, s21
	s_sub_i32 s3, s10, s4
	s_add_i32 s4, s9, 1
	s_sub_i32 s10, s3, s8
	s_cmp_ge_u32 s3, s8
	v_lshrrev_b32_e32 v14, 5, v0
	s_cselect_b32 s4, s4, s9
	s_cselect_b32 s3, s10, s3
	s_add_i32 s9, s4, 1
	s_cmp_ge_u32 s3, s8
	v_or_b32_e32 v10, s7, v14
	s_cselect_b32 s3, s9, s4
	v_mbcnt_lo_u32_b32 v4, -1, 0
	s_xor_b32 s3, s3, s2
	s_mov_b32 s4, exec_lo
	s_sub_i32 s3, s3, s2
	v_cmp_gt_i32_e64 s2, s17, v10
	s_waitcnt lgkmcnt(0)
	s_mul_i32 s24, s14, s11
	s_delay_alu instid0(SALU_CYCLE_1)
	s_ashr_i32 s25, s24, 31
	s_barrier
	buffer_gl0_inv
                                        ; implicit-def: $sgpr28
                                        ; implicit-def: $vgpr5
	v_cmpx_le_i32_e64 s17, v10
	s_xor_b32 s4, exec_lo, s4
; %bb.6:
	v_mbcnt_lo_u32_b32 v4, -1, 0
	v_mov_b32_e32 v5, 32
	s_mov_b32 s28, 0xff7fffff
                                        ; implicit-def: $vgpr1
; %bb.7:
	s_or_saveexec_b32 s34, s4
	s_clause 0x3
	s_load_b128 s[8:11], s[0:1], 0x0
	s_load_b64 s[18:19], s[0:1], 0x10
	s_load_b64 s[26:27], s[0:1], 0x28
	s_load_b32 s4, s[0:1], 0x98
	v_mov_b32_e32 v57, s28
	v_ashrrev_i32_e32 v11, 31, v10
	v_lshlrev_b32_e32 v3, 3, v14
	s_mul_i32 s28, s3, s6
	s_xor_b32 exec_lo, exec_lo, s34
	s_cbranch_execz .LBB157_13
; %bb.8:
	s_load_b64 s[0:1], s[0:1], 0x20
	v_mul_u32_u24_e32 v2, 0x60, v1
	v_bfe_u32 v63, v0, 2, 3
	s_ashr_i32 s29, s28, 31
	s_mov_b32 s35, s5
	s_lshl_b64 s[36:37], s[28:29], 1
	ds_load_b128 v[15:18], v2
	v_lshlrev_b32_e32 v6, 4, v63
	ds_load_b128 v[24:27], v2 offset:16
	ds_load_b128 v[32:35], v2 offset:32
	;; [unrolled: 1-line block ×5, first 2 shown]
	v_xor_b32_e32 v2, 2, v4
	v_and_b32_e32 v5, 12, v13
	v_lshlrev_b32_e32 v64, 2, v63
	v_add3_u32 v63, s33, v3, v63
	s_mov_b32 s29, 0
	v_mov_b32_e32 v65, v10
	s_waitcnt lgkmcnt(0)
	s_add_u32 s0, s0, s36
	s_addc_u32 s1, s1, s37
	v_add_co_u32 v19, s0, s0, v6
	s_delay_alu instid0(VALU_DEP_1)
	v_add_co_ci_u32_e64 v20, null, s1, 0, s0
	v_lshlrev_b32_e32 v6, 16, v15
	v_and_b32_e32 v7, 0xffff0000, v15
	v_lshlrev_b32_e32 v8, 16, v16
	v_and_b32_e32 v9, 0xffff0000, v16
	v_lshlrev_b32_e32 v12, 16, v17
	v_and_b32_e32 v15, 0xffff0000, v17
	v_lshlrev_b32_e32 v16, 16, v18
	v_and_b32_e32 v17, 0xffff0000, v18
	v_add_co_u32 v18, vcc_lo, v19, v5
	v_add_co_ci_u32_e32 v19, vcc_lo, 0, v20, vcc_lo
	v_xor_b32_e32 v5, 1, v4
	v_cmp_gt_i32_e32 vcc_lo, 32, v2
	v_lshlrev_b32_e32 v52, 16, v57
	v_and_b32_e32 v53, 0xffff0000, v57
	s_lshl_b64 s[36:37], s[24:25], 2
	s_sub_i32 s6, 1, s15
	v_cndmask_b32_e32 v2, v4, v2, vcc_lo
	v_cmp_gt_i32_e32 vcc_lo, 32, v5
	s_add_u32 s1, s22, s36
	s_addc_u32 s3, s23, s37
	v_lshlrev_b32_e32 v20, 16, v24
	v_lshlrev_b32_e32 v61, 2, v2
	v_cndmask_b32_e32 v57, v4, v5, vcc_lo
	v_cmp_eq_u32_e32 vcc_lo, 0, v1
	v_lshlrev_b64 v[1:2], 2, v[10:11]
	v_and_b32_e32 v21, 0xffff0000, v24
	v_lshlrev_b32_e32 v22, 16, v25
	v_lshlrev_b32_e32 v62, 2, v57
	v_lshl_or_b32 v57, v14, 5, v64
	v_and_b32_e32 v23, 0xffff0000, v25
	v_add_co_u32 v1, s1, s1, v1
	v_lshlrev_b32_e32 v24, 16, v26
	v_and_b32_e32 v25, 0xffff0000, v26
	v_lshlrev_b32_e32 v26, 16, v27
	v_and_b32_e32 v27, 0xffff0000, v27
	;; [unrolled: 2-line block ×16, first 2 shown]
	v_lshlrev_b32_e32 v59, 16, v60
	v_dual_mov_b32 v5, 32 :: v_dual_and_b32 v60, 0xffff0000, v60
	v_cmp_neq_f32_e64 s0, s30, 0
	v_add_nc_u32_e32 v64, 0x1a0, v57
	v_add_co_ci_u32_e64 v2, s1, s3, v2, s1
	v_mov_b32_e32 v57, 0xff7fffff
	s_branch .LBB157_10
.LBB157_9:                              ;   in Loop: Header=BB157_10 Depth=1
	s_or_b32 exec_lo, exec_lo, s3
	v_add_nc_u32_e32 v65, 4, v65
	v_add_co_u32 v1, s3, v1, 16
	v_add_nc_u32_e32 v63, 32, v63
	v_add_nc_u32_e32 v64, 0x80, v64
	s_delay_alu instid0(VALU_DEP_4) | instskip(SKIP_1) | instid1(VALU_DEP_2)
	v_cmp_le_i32_e64 s1, s17, v65
	v_add_co_ci_u32_e64 v2, s3, 0, v2, s3
	s_or_b32 s29, s1, s29
	s_delay_alu instid0(SALU_CYCLE_1)
	s_and_not1_b32 exec_lo, exec_lo, s29
	s_cbranch_execz .LBB157_12
.LBB157_10:                             ; =>This Inner Loop Header: Depth=1
	global_load_b32 v68, v[1:2], off
	s_waitcnt vmcnt(0) lgkmcnt(0)
	v_mad_i64_i32 v[66:67], null, v68, s35, 0
	s_delay_alu instid0(VALU_DEP_1) | instskip(NEXT) | instid1(VALU_DEP_1)
	v_lshlrev_b64 v[66:67], 1, v[66:67]
	v_add_co_u32 v66, s1, v18, v66
	s_delay_alu instid0(VALU_DEP_1)
	v_add_co_ci_u32_e64 v67, s1, v19, v67, s1
	s_clause 0x17
	global_load_b32 v68, v[66:67], off offset:128
	global_load_b32 v69, v[66:67], off
	global_load_b32 v70, v[66:67], off offset:256
	global_load_b32 v71, v[66:67], off offset:384
	;; [unrolled: 1-line block ×22, first 2 shown]
	s_waitcnt vmcnt(22)
	v_lshlrev_b32_e32 v91, 16, v69
	s_waitcnt vmcnt(21)
	v_lshlrev_b32_e32 v92, 16, v70
	v_and_b32_e32 v70, 0xffff0000, v70
	v_and_b32_e32 v69, 0xffff0000, v69
	v_lshlrev_b32_e32 v67, 16, v68
	v_and_b32_e32 v68, 0xffff0000, v68
	s_delay_alu instid0(VALU_DEP_1) | instskip(NEXT) | instid1(VALU_DEP_1)
	v_mul_f32_e32 v68, v9, v68
	v_dual_fmac_f32 v68, v7, v69 :: v_dual_mul_f32 v67, v8, v67
	s_delay_alu instid0(VALU_DEP_1) | instskip(NEXT) | instid1(VALU_DEP_1)
	v_fmac_f32_e32 v67, v6, v91
	v_dual_fmac_f32 v67, v12, v92 :: v_dual_fmac_f32 v68, v15, v70
	s_waitcnt vmcnt(19)
	v_lshlrev_b32_e32 v70, 16, v72
	v_and_b32_e32 v72, 0xffff0000, v72
	v_lshlrev_b32_e32 v69, 16, v71
	v_and_b32_e32 v71, 0xffff0000, v71
	s_waitcnt vmcnt(18)
	s_delay_alu instid0(VALU_DEP_1) | instskip(NEXT) | instid1(VALU_DEP_1)
	v_dual_fmac_f32 v68, v17, v71 :: v_dual_and_b32 v71, 0xffff0000, v73
	v_dual_fmac_f32 v68, v21, v72 :: v_dual_fmac_f32 v67, v16, v69
	v_lshlrev_b32_e32 v69, 16, v73
	s_delay_alu instid0(VALU_DEP_2) | instskip(SKIP_1) | instid1(VALU_DEP_1)
	v_fmac_f32_e32 v67, v20, v70
	s_waitcnt vmcnt(17)
	v_dual_fmac_f32 v67, v22, v69 :: v_dual_lshlrev_b32 v70, 16, v74
	v_fmac_f32_e32 v68, v23, v71
	s_waitcnt vmcnt(16)
	v_lshlrev_b32_e32 v69, 16, v75
	v_and_b32_e32 v71, 0xffff0000, v75
	v_fmac_f32_e32 v67, v24, v70
	s_delay_alu instid0(VALU_DEP_1) | instskip(SKIP_1) | instid1(VALU_DEP_1)
	v_dual_fmac_f32 v67, v26, v69 :: v_dual_and_b32 v72, 0xffff0000, v74
	s_waitcnt vmcnt(14)
	v_dual_fmac_f32 v68, v25, v72 :: v_dual_lshlrev_b32 v69, 16, v77
	v_lshlrev_b32_e32 v70, 16, v76
	v_and_b32_e32 v72, 0xffff0000, v76
	s_delay_alu instid0(VALU_DEP_3) | instskip(NEXT) | instid1(VALU_DEP_1)
	v_dual_fmac_f32 v68, v27, v71 :: v_dual_and_b32 v71, 0xffff0000, v77
	v_dual_fmac_f32 v67, v28, v70 :: v_dual_fmac_f32 v68, v29, v72
	s_delay_alu instid0(VALU_DEP_1)
	v_fmac_f32_e32 v67, v30, v69
	s_waitcnt vmcnt(12)
	v_lshlrev_b32_e32 v69, 16, v79
	v_lshlrev_b32_e32 v70, 16, v78
	v_fmac_f32_e32 v68, v31, v71
	v_and_b32_e32 v71, 0xffff0000, v79
	s_waitcnt vmcnt(11)
	s_delay_alu instid0(VALU_DEP_3) | instskip(NEXT) | instid1(VALU_DEP_1)
	v_dual_fmac_f32 v67, v32, v70 :: v_dual_lshlrev_b32 v70, 16, v80
	v_fmac_f32_e32 v67, v34, v69
	s_waitcnt vmcnt(10)
	v_lshlrev_b32_e32 v69, 16, v81
	s_delay_alu instid0(VALU_DEP_2) | instskip(SKIP_2) | instid1(VALU_DEP_2)
	v_fmac_f32_e32 v67, v36, v70
	v_and_b32_e32 v72, 0xffff0000, v78
	s_waitcnt vmcnt(9)
	v_dual_fmac_f32 v67, v38, v69 :: v_dual_lshlrev_b32 v70, 16, v82
	s_delay_alu instid0(VALU_DEP_2)
	v_fmac_f32_e32 v68, v33, v72
	v_and_b32_e32 v72, 0xffff0000, v80
	s_waitcnt vmcnt(8)
	v_lshlrev_b32_e32 v69, 16, v83
	s_waitcnt vmcnt(7)
	v_dual_fmac_f32 v67, v40, v70 :: v_dual_lshlrev_b32 v70, 16, v84
	v_dual_fmac_f32 v68, v35, v71 :: v_dual_and_b32 v71, 0xffff0000, v81
	s_delay_alu instid0(VALU_DEP_2) | instskip(SKIP_1) | instid1(VALU_DEP_2)
	v_fmac_f32_e32 v67, v42, v69
	s_waitcnt vmcnt(6)
	v_dual_fmac_f32 v68, v37, v72 :: v_dual_lshlrev_b32 v69, 16, v85
	s_delay_alu instid0(VALU_DEP_2) | instskip(SKIP_2) | instid1(VALU_DEP_3)
	v_fmac_f32_e32 v67, v44, v70
	s_waitcnt vmcnt(5)
	v_lshlrev_b32_e32 v70, 16, v86
	v_fmac_f32_e32 v68, v39, v71
	v_and_b32_e32 v71, 0xffff0000, v83
	v_fmac_f32_e32 v67, v46, v69
	s_waitcnt vmcnt(4)
	v_lshlrev_b32_e32 v69, 16, v87
	s_delay_alu instid0(VALU_DEP_2) | instskip(SKIP_2) | instid1(VALU_DEP_2)
	v_fmac_f32_e32 v67, v48, v70
	v_and_b32_e32 v72, 0xffff0000, v82
	s_waitcnt vmcnt(3)
	v_dual_fmac_f32 v67, v50, v69 :: v_dual_lshlrev_b32 v70, 16, v88
	s_delay_alu instid0(VALU_DEP_2) | instskip(SKIP_3) | instid1(VALU_DEP_3)
	v_fmac_f32_e32 v68, v41, v72
	v_and_b32_e32 v72, 0xffff0000, v84
	s_waitcnt vmcnt(2)
	v_lshlrev_b32_e32 v69, 16, v89
	v_dual_fmac_f32 v67, v52, v70 :: v_dual_fmac_f32 v68, v43, v71
	v_and_b32_e32 v71, 0xffff0000, v85
	s_waitcnt vmcnt(1)
	s_delay_alu instid0(VALU_DEP_2) | instskip(SKIP_3) | instid1(VALU_DEP_3)
	v_dual_fmac_f32 v67, v54, v69 :: v_dual_lshlrev_b32 v70, 16, v90
	s_waitcnt vmcnt(0)
	v_dual_fmac_f32 v68, v45, v72 :: v_dual_lshlrev_b32 v69, 16, v66
	v_and_b32_e32 v66, 0xffff0000, v66
	v_fmac_f32_e32 v67, v56, v70
	v_and_b32_e32 v72, 0xffff0000, v86
	s_delay_alu instid0(VALU_DEP_4) | instskip(NEXT) | instid1(VALU_DEP_3)
	v_fmac_f32_e32 v68, v47, v71
	v_fmac_f32_e32 v67, v59, v69
	s_delay_alu instid0(VALU_DEP_2) | instskip(SKIP_1) | instid1(VALU_DEP_2)
	v_dual_fmac_f32 v68, v49, v72 :: v_dual_and_b32 v71, 0xffff0000, v87
	v_and_b32_e32 v72, 0xffff0000, v88
	v_dual_fmac_f32 v68, v51, v71 :: v_dual_and_b32 v71, 0xffff0000, v89
	s_delay_alu instid0(VALU_DEP_1) | instskip(SKIP_1) | instid1(VALU_DEP_2)
	v_fmac_f32_e32 v68, v53, v72
	v_and_b32_e32 v72, 0xffff0000, v90
	v_fmac_f32_e32 v68, v55, v71
	s_delay_alu instid0(VALU_DEP_1) | instskip(NEXT) | instid1(VALU_DEP_1)
	v_fmac_f32_e32 v68, v58, v72
	v_fmac_f32_e32 v68, v60, v66
	s_delay_alu instid0(VALU_DEP_1)
	v_add_f32_e32 v66, v67, v68
	ds_bpermute_b32 v67, v61, v66
	s_waitcnt lgkmcnt(0)
	v_add_f32_e32 v66, v66, v67
	ds_bpermute_b32 v67, v62, v66
	s_and_saveexec_b32 s3, vcc_lo
	s_cbranch_execz .LBB157_9
; %bb.11:                               ;   in Loop: Header=BB157_10 Depth=1
	s_waitcnt lgkmcnt(0)
	v_add_f32_e32 v66, v66, v67
	v_add_nc_u32_e32 v68, s6, v63
	v_cmp_gt_i32_e64 s1, s15, v63
	s_delay_alu instid0(VALU_DEP_2) | instskip(NEXT) | instid1(VALU_DEP_1)
	v_cvt_f32_i32_e32 v68, v68
	v_mul_f32_e32 v68, s30, v68
	s_delay_alu instid0(VALU_DEP_1) | instskip(NEXT) | instid1(VALU_DEP_1)
	v_cndmask_b32_e64 v67, 0, v68, s0
	v_dual_max_f32 v68, v57, v57 :: v_dual_fmac_f32 v67, s31, v66
	s_delay_alu instid0(VALU_DEP_1) | instskip(SKIP_1) | instid1(VALU_DEP_2)
	v_max_f32_e32 v66, v68, v67
	v_cndmask_b32_e64 v67, 0, v67, s1
	v_cndmask_b32_e64 v57, v57, v66, s1
	ds_store_b32 v64, v67
	s_branch .LBB157_9
.LBB157_12:
	s_or_b32 exec_lo, exec_lo, s29
.LBB157_13:
	s_delay_alu instid0(SALU_CYCLE_1) | instskip(SKIP_4) | instid1(VALU_DEP_4)
	s_or_b32 exec_lo, exec_lo, s34
	v_xor_b32_e32 v1, 16, v4
	v_xor_b32_e32 v6, 8, v4
	;; [unrolled: 1-line block ×3, first 2 shown]
	v_and_b32_e32 v15, 31, v0
	v_cmp_lt_i32_e32 vcc_lo, v1, v5
	v_cndmask_b32_e32 v1, v4, v1, vcc_lo
	v_cmp_lt_i32_e32 vcc_lo, v6, v5
	v_dual_max_f32 v7, v57, v57 :: v_dual_cndmask_b32 v6, v4, v6
	v_cmp_lt_i32_e32 vcc_lo, v8, v5
	s_delay_alu instid0(VALU_DEP_2)
	v_lshlrev_b32_e32 v6, 2, v6
	v_lshlrev_b32_e32 v2, 2, v1
	v_cndmask_b32_e32 v8, v4, v8, vcc_lo
	v_cmp_eq_u32_e32 vcc_lo, 0, v15
	ds_bpermute_b32 v1, v2, v57
	v_lshlrev_b32_e32 v9, 2, v8
	s_waitcnt lgkmcnt(0)
	v_max_f32_e32 v1, v1, v1
	s_delay_alu instid0(VALU_DEP_1) | instskip(SKIP_3) | instid1(VALU_DEP_1)
	v_max_f32_e32 v1, v7, v1
	ds_bpermute_b32 v7, v6, v1
	s_waitcnt lgkmcnt(0)
	v_max_f32_e32 v7, v7, v7
	v_max_f32_e32 v1, v1, v7
	v_lshlrev_b32_e32 v7, 2, v14
	ds_bpermute_b32 v8, v9, v1
	s_and_saveexec_b32 s0, vcc_lo
	s_cbranch_execz .LBB157_15
; %bb.14:
	s_waitcnt lgkmcnt(0)
	v_dual_max_f32 v8, v8, v8 :: v_dual_max_f32 v1, v1, v1
	s_delay_alu instid0(VALU_DEP_1)
	v_max_f32_e32 v1, v1, v8
	ds_store_b32 v7, v1 offset:384
.LBB157_15:
	s_or_b32 exec_lo, exec_lo, s0
	v_cmp_gt_u32_e64 s0, 4, v15
	s_waitcnt lgkmcnt(0)
	v_dual_mov_b32 v1, 0xff7fffff :: v_dual_lshlrev_b32 v8, 2, v15
	s_barrier
	buffer_gl0_inv
	s_and_saveexec_b32 s1, s0
	s_cbranch_execz .LBB157_17
; %bb.16:
	ds_load_b32 v1, v8 offset:384
.LBB157_17:
	s_or_b32 exec_lo, exec_lo, s1
	v_xor_b32_e32 v12, 2, v4
	v_xor_b32_e32 v17, 1, v4
	s_delay_alu instid0(VALU_DEP_2) | instskip(NEXT) | instid1(VALU_DEP_1)
	v_cmp_lt_i32_e64 s1, v12, v5
	v_cndmask_b32_e64 v12, v4, v12, s1
	s_delay_alu instid0(VALU_DEP_3) | instskip(NEXT) | instid1(VALU_DEP_2)
	v_cmp_lt_i32_e64 s1, v17, v5
	v_lshlrev_b32_e32 v12, 2, v12
	s_delay_alu instid0(VALU_DEP_2)
	v_cndmask_b32_e64 v5, v4, v17, s1
	v_lshlrev_b32_e32 v4, 2, v4
	s_sub_i32 s1, s17, s7
	v_mov_b32_e32 v17, 0
	s_waitcnt lgkmcnt(0)
	ds_bpermute_b32 v16, v12, v1
	v_max_f32_e32 v1, v1, v1
	v_lshlrev_b32_e32 v5, 2, v5
	s_lshl_b32 s1, s1, 3
	s_delay_alu instid0(SALU_CYCLE_1) | instskip(NEXT) | instid1(SALU_CYCLE_1)
	s_add_i32 s1, s1, s33
	s_min_i32 s1, s1, s15
	s_delay_alu instid0(SALU_CYCLE_1) | instskip(NEXT) | instid1(SALU_CYCLE_1)
	s_sub_i32 s6, s1, s33
	v_cmp_gt_i32_e64 s1, s6, v0
	s_waitcnt lgkmcnt(0)
	v_max_f32_e32 v16, v16, v16
	s_delay_alu instid0(VALU_DEP_1) | instskip(SKIP_3) | instid1(VALU_DEP_1)
	v_max_f32_e32 v1, v1, v16
	ds_bpermute_b32 v16, v5, v1
	s_waitcnt lgkmcnt(0)
	v_max_f32_e32 v16, v16, v16
	v_max_f32_e32 v1, v1, v16
	v_and_b32_e32 v16, 0xffffff80, v4
	v_lshl_add_u32 v4, v0, 2, 0x1a0
	ds_bpermute_b32 v1, v16, v1
	s_and_saveexec_b32 s7, s1
	s_cbranch_execz .LBB157_21
; %bb.18:
	v_lshl_add_u32 v18, v0, 2, 0x1a0
	v_mov_b32_e32 v17, 0
	v_mov_b32_e32 v19, v0
	s_mov_b32 s29, 0
	.p2align	6
.LBB157_19:                             ; =>This Inner Loop Header: Depth=1
	ds_load_b32 v20, v18
	v_add_nc_u32_e32 v19, 0x80, v19
	s_delay_alu instid0(VALU_DEP_1) | instskip(NEXT) | instid1(VALU_DEP_1)
	v_cmp_le_i32_e64 s3, s6, v19
	s_or_b32 s29, s3, s29
	s_waitcnt lgkmcnt(0)
	v_sub_f32_e32 v20, v20, v1
	s_delay_alu instid0(VALU_DEP_1) | instskip(NEXT) | instid1(VALU_DEP_1)
	v_mul_f32_e32 v20, 0x3fb8aa3b, v20
	v_exp_f32_e32 v20, v20
	ds_store_b32 v18, v20
	v_dual_add_f32 v17, v17, v20 :: v_dual_add_nc_u32 v18, 0x200, v18
	s_and_not1_b32 exec_lo, exec_lo, s29
	s_cbranch_execnz .LBB157_19
; %bb.20:
	s_or_b32 exec_lo, exec_lo, s29
.LBB157_21:
	s_delay_alu instid0(SALU_CYCLE_1)
	s_or_b32 exec_lo, exec_lo, s7
	ds_bpermute_b32 v2, v2, v17
	s_waitcnt lgkmcnt(0)
	v_add_f32_e32 v2, v17, v2
	ds_bpermute_b32 v6, v6, v2
	s_waitcnt lgkmcnt(0)
	v_add_f32_e32 v2, v2, v6
	;; [unrolled: 3-line block ×5, first 2 shown]
	s_and_saveexec_b32 s3, vcc_lo
	s_cbranch_execz .LBB157_23
; %bb.22:
	ds_store_b32 v7, v2 offset:400
.LBB157_23:
	s_or_b32 exec_lo, exec_lo, s3
	s_waitcnt lgkmcnt(0)
	s_barrier
	buffer_gl0_inv
	s_and_saveexec_b32 s3, s0
	s_cbranch_execz .LBB157_25
; %bb.24:
	ds_load_b32 v2, v8 offset:400
.LBB157_25:
	s_or_b32 exec_lo, exec_lo, s3
	s_waitcnt lgkmcnt(0)
	ds_bpermute_b32 v6, v12, v2
	s_waitcnt lgkmcnt(0)
	v_add_f32_e32 v2, v2, v6
	ds_bpermute_b32 v5, v5, v2
	s_waitcnt lgkmcnt(0)
	v_add_f32_e32 v2, v2, v5
	ds_bpermute_b32 v2, v16, v2
	s_and_saveexec_b32 s0, s1
	s_cbranch_execz .LBB157_28
; %bb.26:
	s_waitcnt lgkmcnt(0)
	v_add_f32_e32 v5, 0x358637bd, v2
	s_mov_b32 s1, 0
	s_delay_alu instid0(VALU_DEP_1) | instskip(SKIP_1) | instid1(VALU_DEP_2)
	v_div_scale_f32 v6, null, v5, v5, 1.0
	v_div_scale_f32 v9, vcc_lo, 1.0, v5, 1.0
	v_rcp_f32_e32 v7, v6
	s_waitcnt_depctr 0xfff
	v_fma_f32 v8, -v6, v7, 1.0
	s_delay_alu instid0(VALU_DEP_1) | instskip(NEXT) | instid1(VALU_DEP_1)
	v_fmac_f32_e32 v7, v8, v7
	v_mul_f32_e32 v8, v9, v7
	s_delay_alu instid0(VALU_DEP_1) | instskip(NEXT) | instid1(VALU_DEP_1)
	v_fma_f32 v12, -v6, v8, v9
	v_fmac_f32_e32 v8, v12, v7
	s_delay_alu instid0(VALU_DEP_1) | instskip(NEXT) | instid1(VALU_DEP_1)
	v_fma_f32 v6, -v6, v8, v9
	v_div_fmas_f32 v6, v6, v7, v8
	s_delay_alu instid0(VALU_DEP_1)
	v_div_fixup_f32 v5, v6, v5, 1.0
	v_mov_b32_e32 v6, v0
.LBB157_27:                             ; =>This Inner Loop Header: Depth=1
	ds_load_b32 v7, v4
	s_waitcnt lgkmcnt(0)
	v_dual_mul_f32 v7, v5, v7 :: v_dual_add_nc_u32 v6, 0x80, v6
	s_delay_alu instid0(VALU_DEP_1) | instskip(SKIP_3) | instid1(SALU_CYCLE_1)
	v_cmp_le_i32_e32 vcc_lo, s6, v6
	ds_store_b32 v4, v7
	v_add_nc_u32_e32 v4, 0x200, v4
	s_or_b32 s1, vcc_lo, s1
	s_and_not1_b32 exec_lo, exec_lo, s1
	s_cbranch_execnz .LBB157_27
.LBB157_28:
	s_or_b32 exec_lo, exec_lo, s0
	s_mul_i32 s0, s4, s14
	s_waitcnt lgkmcnt(0)
	s_mul_i32 s6, s0, s13
	s_mov_b32 s0, exec_lo
	s_barrier
	buffer_gl0_inv
	v_cmpx_eq_u32_e32 0, v0
	s_cbranch_execz .LBB157_30
; %bb.29:
	s_ashr_i32 s7, s6, 31
	s_mul_i32 s34, s4, s20
	s_lshl_b64 s[30:31], s[6:7], 2
	v_mov_b32_e32 v4, 0
	s_add_u32 s1, s10, s30
	s_addc_u32 s3, s11, s31
	s_ashr_i32 s35, s34, 31
	s_delay_alu instid0(SALU_CYCLE_1) | instskip(NEXT) | instid1(SALU_CYCLE_1)
	s_lshl_b64 s[10:11], s[34:35], 2
	s_add_u32 s1, s1, s10
	s_addc_u32 s3, s3, s11
	s_ashr_i32 s13, s12, 31
	s_delay_alu instid0(SALU_CYCLE_1) | instskip(NEXT) | instid1(SALU_CYCLE_1)
	s_lshl_b64 s[34:35], s[12:13], 2
	s_add_u32 s36, s1, s34
	s_addc_u32 s37, s3, s35
	s_add_u32 s1, s8, s30
	s_addc_u32 s3, s9, s31
	s_add_u32 s1, s1, s10
	s_addc_u32 s3, s3, s11
	s_add_u32 s8, s1, s34
	s_addc_u32 s9, s3, s35
	s_clause 0x1
	global_store_b32 v4, v1, s[36:37]
	global_store_b32 v4, v2, s[8:9]
.LBB157_30:
	s_or_b32 exec_lo, exec_lo, s0
	v_dual_mov_b32 v5, 0 :: v_dual_mov_b32 v16, 0
	v_dual_mov_b32 v17, 0 :: v_dual_mov_b32 v18, 0
	;; [unrolled: 1-line block ×3, first 2 shown]
	s_mov_b32 s3, 0
	s_and_saveexec_b32 s1, s2
	s_cbranch_execz .LBB157_270
; %bb.31:
	s_ashr_i32 s29, s28, 31
	v_dual_mov_b32 v20, 0 :: v_dual_lshlrev_b32 v1, 4, v15
	s_lshl_b64 s[8:9], s[28:29], 1
	v_add3_u32 v23, s33, v3, 7
	s_add_u32 s0, s26, s8
	s_addc_u32 s7, s27, s9
	v_add_co_u32 v21, s0, s0, v1
	v_lshlrev_b64 v[1:2], 2, v[10:11]
	s_lshl_b64 s[8:9], s[24:25], 2
	s_add_i32 s2, s21, -1
	v_add_co_ci_u32_e64 v22, null, s7, 0, s0
	s_add_u32 s0, s22, s8
	s_addc_u32 s7, s23, s9
	v_add_co_u32 v11, vcc_lo, s0, v1
	v_lshl_add_u32 v24, v14, 5, 0x1a0
	v_add_co_ci_u32_e32 v12, vcc_lo, s7, v2, vcc_lo
	v_mov_b32_e32 v19, v20
	v_mov_b32_e32 v18, v20
	;; [unrolled: 1-line block ×5, first 2 shown]
	s_branch .LBB157_33
.LBB157_32:                             ;   in Loop: Header=BB157_33 Depth=1
	s_or_b32 exec_lo, exec_lo, s0
	v_and_b32_e32 v26, 0xffff0000, v26
	v_and_b32_e32 v25, 0xffff0000, v25
	;; [unrolled: 1-line block ×9, first 2 shown]
	s_delay_alu instid0(VALU_DEP_4) | instskip(SKIP_1) | instid1(VALU_DEP_4)
	v_dual_add_f32 v8, v8, v9 :: v_dual_and_b32 v3, 0xffff0000, v3
	v_add_f32_e32 v9, v25, v26
	v_dual_add_f32 v1, v1, v6 :: v_dual_add_f32 v26, v27, v28
	v_and_b32_e32 v28, 0xffff0000, v47
	v_and_b32_e32 v25, 0xffff0000, v29
	s_delay_alu instid0(VALU_DEP_4) | instskip(SKIP_3) | instid1(VALU_DEP_4)
	v_dual_add_f32 v8, v8, v9 :: v_dual_and_b32 v9, 0xffff0000, v31
	v_and_b32_e32 v33, 0xffff0000, v62
	v_and_b32_e32 v34, 0xffff0000, v64
	;; [unrolled: 1-line block ×3, first 2 shown]
	v_add_f32_e32 v8, v8, v26
	v_and_b32_e32 v26, 0xffff0000, v48
	v_and_b32_e32 v29, 0xffff0000, v46
	;; [unrolled: 1-line block ×6, first 2 shown]
	v_add_f32_e32 v28, v29, v28
	v_add_f32_e32 v9, v25, v9
	v_and_b32_e32 v25, 0xffff0000, v51
	v_and_b32_e32 v29, 0xffff0000, v56
	v_and_b32_e32 v37, 0xffff0000, v76
	v_add_co_u32 v11, s0, v11, 16
	v_add_f32_e32 v8, v8, v9
	v_and_b32_e32 v27, 0xffff0000, v49
	v_add_f32_e32 v9, v31, v25
	v_add_nc_u32_e32 v23, 32, v23
	v_add_co_ci_u32_e64 v12, s0, 0, v12, s0
	v_add_f32_e32 v20, v20, v8
	v_add_f32_e32 v26, v26, v27
	v_and_b32_e32 v8, 0xffff0000, v52
	v_add_f32_e32 v2, v2, v30
	v_and_b32_e32 v4, 0xffff0000, v4
	v_add_nc_u32_e32 v10, 4, v10
	v_dual_add_f32 v25, v28, v26 :: v_dual_add_nc_u32 v24, 0x80, v24
	s_delay_alu instid0(VALU_DEP_4) | instskip(SKIP_1) | instid1(VALU_DEP_3)
	v_dual_add_f32 v1, v1, v2 :: v_dual_add_f32 v2, v3, v32
	v_and_b32_e32 v3, 0xffff0000, v7
	v_add_f32_e32 v9, v25, v9
	v_and_b32_e32 v25, 0xffff0000, v57
	v_and_b32_e32 v28, 0xffff0000, v54
	;; [unrolled: 1-line block ×4, first 2 shown]
	v_add_f32_e32 v1, v1, v2
	v_add_f32_e32 v25, v29, v25
	v_and_b32_e32 v29, 0xffff0000, v63
	v_add_f32_e32 v2, v4, v3
	v_add_f32_e32 v27, v28, v27
	v_cmp_le_i32_e32 vcc_lo, s17, v10
	s_delay_alu instid0(VALU_DEP_4)
	v_add_f32_e32 v29, v33, v29
	v_and_b32_e32 v33, 0xffff0000, v66
	v_and_b32_e32 v28, 0xffff0000, v65
	v_add_f32_e32 v25, v27, v25
	v_add_f32_e32 v1, v1, v2
	s_or_b32 s3, vcc_lo, s3
	s_delay_alu instid0(VALU_DEP_3) | instskip(SKIP_1) | instid1(VALU_DEP_3)
	v_add_f32_e32 v28, v34, v28
	v_and_b32_e32 v26, 0xffff0000, v53
	v_dual_add_f32 v5, v5, v1 :: v_dual_and_b32 v34, 0xffff0000, v72
	s_delay_alu instid0(VALU_DEP_2) | instskip(SKIP_1) | instid1(VALU_DEP_2)
	v_add_f32_e32 v8, v8, v26
	v_and_b32_e32 v26, 0xffff0000, v59
	v_add_f32_e32 v8, v9, v8
	s_delay_alu instid0(VALU_DEP_2) | instskip(SKIP_2) | instid1(VALU_DEP_4)
	v_dual_add_f32 v26, v31, v26 :: v_dual_add_f32 v9, v29, v28
	v_and_b32_e32 v28, 0xffff0000, v68
	v_and_b32_e32 v29, 0xffff0000, v69
	v_add_f32_e32 v19, v19, v8
	s_delay_alu instid0(VALU_DEP_4) | instskip(NEXT) | instid1(VALU_DEP_3)
	v_add_f32_e32 v25, v25, v26
	v_add_f32_e32 v7, v28, v29
	v_and_b32_e32 v31, 0xffff0000, v61
	s_delay_alu instid0(VALU_DEP_1) | instskip(SKIP_1) | instid1(VALU_DEP_2)
	v_add_f32_e32 v26, v35, v31
	v_and_b32_e32 v35, 0xffff0000, v71
	v_dual_add_f32 v3, v25, v26 :: v_dual_and_b32 v38, 0xffff0000, v77
	s_delay_alu instid0(VALU_DEP_2) | instskip(SKIP_1) | instid1(VALU_DEP_3)
	v_add_f32_e32 v35, v36, v35
	v_and_b32_e32 v27, 0xffff0000, v67
	v_dual_add_f32 v18, v18, v3 :: v_dual_and_b32 v31, 0xffff0000, v74
	s_delay_alu instid0(VALU_DEP_2) | instskip(SKIP_1) | instid1(VALU_DEP_2)
	v_add_f32_e32 v27, v33, v27
	v_and_b32_e32 v33, 0xffff0000, v73
	v_add_f32_e32 v9, v9, v27
	v_and_b32_e32 v27, 0xffff0000, v75
	s_delay_alu instid0(VALU_DEP_2) | instskip(NEXT) | instid1(VALU_DEP_2)
	v_dual_add_f32 v33, v34, v33 :: v_dual_add_f32 v4, v9, v7
	v_add_f32_e32 v27, v31, v27
	s_delay_alu instid0(VALU_DEP_2) | instskip(NEXT) | instid1(VALU_DEP_1)
	v_dual_add_f32 v6, v35, v33 :: v_dual_add_f32 v17, v17, v4
	v_dual_add_f32 v6, v6, v27 :: v_dual_add_f32 v27, v37, v38
	s_delay_alu instid0(VALU_DEP_1) | instskip(NEXT) | instid1(VALU_DEP_1)
	v_add_f32_e32 v6, v6, v27
	v_add_f32_e32 v16, v16, v6
	s_and_not1_b32 exec_lo, exec_lo, s3
	s_cbranch_execz .LBB157_269
.LBB157_33:                             ; =>This Inner Loop Header: Depth=1
	global_load_b32 v30, v[11:12], off
	ds_load_2addr_b64 v[6:9], v24 offset1:1
	ds_load_2addr_b64 v[1:4], v24 offset0:2 offset1:3
	s_mov_b32 s0, exec_lo
                                        ; implicit-def: $vgpr38
	s_waitcnt lgkmcnt(1)
	v_and_b32_e32 v25, 0x7f800000, v6
	s_delay_alu instid0(VALU_DEP_1)
	v_cmpx_ne_u32_e32 0x7f800000, v25
	s_xor_b32 s0, exec_lo, s0
; %bb.34:                               ;   in Loop: Header=BB157_33 Depth=1
	v_bfe_u32 v25, v6, 16, 1
	s_delay_alu instid0(VALU_DEP_1)
	v_add3_u32 v38, v6, v25, 0x7fff
; %bb.35:                               ;   in Loop: Header=BB157_33 Depth=1
	s_and_not1_saveexec_b32 s0, s0
; %bb.36:                               ;   in Loop: Header=BB157_33 Depth=1
	v_and_b32_e32 v25, 0xffff, v6
	v_or_b32_e32 v26, 0x10000, v6
	s_delay_alu instid0(VALU_DEP_2) | instskip(NEXT) | instid1(VALU_DEP_2)
	v_cmp_eq_u32_e32 vcc_lo, 0, v25
	v_cndmask_b32_e32 v38, v26, v6, vcc_lo
; %bb.37:                               ;   in Loop: Header=BB157_33 Depth=1
	s_or_b32 exec_lo, exec_lo, s0
	v_and_b32_e32 v6, 0x7f800000, v7
	s_mov_b32 s0, exec_lo
                                        ; implicit-def: $vgpr39
	s_delay_alu instid0(VALU_DEP_1)
	v_cmpx_ne_u32_e32 0x7f800000, v6
	s_xor_b32 s0, exec_lo, s0
; %bb.38:                               ;   in Loop: Header=BB157_33 Depth=1
	v_bfe_u32 v6, v7, 16, 1
	s_delay_alu instid0(VALU_DEP_1)
	v_add3_u32 v39, v7, v6, 0x7fff
; %bb.39:                               ;   in Loop: Header=BB157_33 Depth=1
	s_and_not1_saveexec_b32 s0, s0
; %bb.40:                               ;   in Loop: Header=BB157_33 Depth=1
	v_and_b32_e32 v6, 0xffff, v7
	v_or_b32_e32 v25, 0x10000, v7
	s_delay_alu instid0(VALU_DEP_2) | instskip(NEXT) | instid1(VALU_DEP_2)
	v_cmp_eq_u32_e32 vcc_lo, 0, v6
	v_cndmask_b32_e32 v39, v25, v7, vcc_lo
; %bb.41:                               ;   in Loop: Header=BB157_33 Depth=1
	s_or_b32 exec_lo, exec_lo, s0
	v_and_b32_e32 v6, 0x7f800000, v8
	s_mov_b32 s0, exec_lo
                                        ; implicit-def: $vgpr25
	s_delay_alu instid0(VALU_DEP_1)
	v_cmpx_ne_u32_e32 0x7f800000, v6
	s_xor_b32 s0, exec_lo, s0
; %bb.42:                               ;   in Loop: Header=BB157_33 Depth=1
	v_bfe_u32 v6, v8, 16, 1
	s_delay_alu instid0(VALU_DEP_1)
	v_add3_u32 v25, v8, v6, 0x7fff
; %bb.43:                               ;   in Loop: Header=BB157_33 Depth=1
	s_and_not1_saveexec_b32 s0, s0
; %bb.44:                               ;   in Loop: Header=BB157_33 Depth=1
	v_and_b32_e32 v6, 0xffff, v8
	v_or_b32_e32 v7, 0x10000, v8
	s_delay_alu instid0(VALU_DEP_2) | instskip(NEXT) | instid1(VALU_DEP_2)
	v_cmp_eq_u32_e32 vcc_lo, 0, v6
	v_cndmask_b32_e32 v25, v7, v8, vcc_lo
; %bb.45:                               ;   in Loop: Header=BB157_33 Depth=1
	s_or_b32 exec_lo, exec_lo, s0
	v_and_b32_e32 v6, 0x7f800000, v9
	s_mov_b32 s0, exec_lo
                                        ; implicit-def: $vgpr26
	s_delay_alu instid0(VALU_DEP_1)
	v_cmpx_ne_u32_e32 0x7f800000, v6
	s_xor_b32 s0, exec_lo, s0
; %bb.46:                               ;   in Loop: Header=BB157_33 Depth=1
	v_bfe_u32 v6, v9, 16, 1
	s_delay_alu instid0(VALU_DEP_1)
	v_add3_u32 v26, v9, v6, 0x7fff
                                        ; implicit-def: $vgpr6_vgpr7_vgpr8_vgpr9
; %bb.47:                               ;   in Loop: Header=BB157_33 Depth=1
	s_and_not1_saveexec_b32 s0, s0
; %bb.48:                               ;   in Loop: Header=BB157_33 Depth=1
	v_and_b32_e32 v6, 0xffff, v9
	v_or_b32_e32 v7, 0x10000, v9
	s_delay_alu instid0(VALU_DEP_2) | instskip(NEXT) | instid1(VALU_DEP_2)
	v_cmp_eq_u32_e32 vcc_lo, 0, v6
	v_cndmask_b32_e32 v26, v7, v9, vcc_lo
; %bb.49:                               ;   in Loop: Header=BB157_33 Depth=1
	s_or_b32 exec_lo, exec_lo, s0
	s_waitcnt lgkmcnt(0)
	v_and_b32_e32 v6, 0x7f800000, v1
	s_mov_b32 s0, exec_lo
                                        ; implicit-def: $vgpr27
	s_delay_alu instid0(VALU_DEP_1)
	v_cmpx_ne_u32_e32 0x7f800000, v6
	s_xor_b32 s0, exec_lo, s0
; %bb.50:                               ;   in Loop: Header=BB157_33 Depth=1
	v_bfe_u32 v6, v1, 16, 1
	s_delay_alu instid0(VALU_DEP_1)
	v_add3_u32 v27, v1, v6, 0x7fff
; %bb.51:                               ;   in Loop: Header=BB157_33 Depth=1
	s_and_not1_saveexec_b32 s0, s0
; %bb.52:                               ;   in Loop: Header=BB157_33 Depth=1
	v_and_b32_e32 v6, 0xffff, v1
	v_or_b32_e32 v7, 0x10000, v1
	s_delay_alu instid0(VALU_DEP_2) | instskip(NEXT) | instid1(VALU_DEP_2)
	v_cmp_eq_u32_e32 vcc_lo, 0, v6
	v_cndmask_b32_e32 v27, v7, v1, vcc_lo
; %bb.53:                               ;   in Loop: Header=BB157_33 Depth=1
	s_or_b32 exec_lo, exec_lo, s0
	v_and_b32_e32 v1, 0x7f800000, v2
	s_mov_b32 s0, exec_lo
                                        ; implicit-def: $vgpr28
	s_delay_alu instid0(VALU_DEP_1)
	v_cmpx_ne_u32_e32 0x7f800000, v1
	s_xor_b32 s0, exec_lo, s0
; %bb.54:                               ;   in Loop: Header=BB157_33 Depth=1
	v_bfe_u32 v1, v2, 16, 1
	s_delay_alu instid0(VALU_DEP_1)
	v_add3_u32 v28, v2, v1, 0x7fff
; %bb.55:                               ;   in Loop: Header=BB157_33 Depth=1
	s_and_not1_saveexec_b32 s0, s0
; %bb.56:                               ;   in Loop: Header=BB157_33 Depth=1
	v_and_b32_e32 v1, 0xffff, v2
	v_or_b32_e32 v6, 0x10000, v2
	s_delay_alu instid0(VALU_DEP_2) | instskip(NEXT) | instid1(VALU_DEP_2)
	v_cmp_eq_u32_e32 vcc_lo, 0, v1
	v_cndmask_b32_e32 v28, v6, v2, vcc_lo
; %bb.57:                               ;   in Loop: Header=BB157_33 Depth=1
	s_or_b32 exec_lo, exec_lo, s0
	v_and_b32_e32 v1, 0x7f800000, v3
	s_mov_b32 s0, exec_lo
                                        ; implicit-def: $vgpr29
	s_delay_alu instid0(VALU_DEP_1)
	v_cmpx_ne_u32_e32 0x7f800000, v1
	s_xor_b32 s0, exec_lo, s0
; %bb.58:                               ;   in Loop: Header=BB157_33 Depth=1
	v_bfe_u32 v1, v3, 16, 1
	s_delay_alu instid0(VALU_DEP_1)
	v_add3_u32 v29, v3, v1, 0x7fff
; %bb.59:                               ;   in Loop: Header=BB157_33 Depth=1
	s_and_not1_saveexec_b32 s0, s0
; %bb.60:                               ;   in Loop: Header=BB157_33 Depth=1
	v_and_b32_e32 v1, 0xffff, v3
	v_or_b32_e32 v2, 0x10000, v3
	s_delay_alu instid0(VALU_DEP_2) | instskip(NEXT) | instid1(VALU_DEP_2)
	v_cmp_eq_u32_e32 vcc_lo, 0, v1
	v_cndmask_b32_e32 v29, v2, v3, vcc_lo
; %bb.61:                               ;   in Loop: Header=BB157_33 Depth=1
	s_or_b32 exec_lo, exec_lo, s0
	v_and_b32_e32 v1, 0x7f800000, v4
	s_mov_b32 s0, exec_lo
                                        ; implicit-def: $vgpr31
	s_delay_alu instid0(VALU_DEP_1)
	v_cmpx_ne_u32_e32 0x7f800000, v1
	s_xor_b32 s0, exec_lo, s0
; %bb.62:                               ;   in Loop: Header=BB157_33 Depth=1
	v_bfe_u32 v1, v4, 16, 1
	s_delay_alu instid0(VALU_DEP_1)
	v_add3_u32 v31, v4, v1, 0x7fff
                                        ; implicit-def: $vgpr1_vgpr2_vgpr3_vgpr4
; %bb.63:                               ;   in Loop: Header=BB157_33 Depth=1
	s_and_not1_saveexec_b32 s0, s0
; %bb.64:                               ;   in Loop: Header=BB157_33 Depth=1
	v_and_b32_e32 v1, 0xffff, v4
	v_or_b32_e32 v2, 0x10000, v4
	s_delay_alu instid0(VALU_DEP_2) | instskip(NEXT) | instid1(VALU_DEP_2)
	v_cmp_eq_u32_e32 vcc_lo, 0, v1
	v_cndmask_b32_e32 v31, v2, v4, vcc_lo
; %bb.65:                               ;   in Loop: Header=BB157_33 Depth=1
	s_or_b32 exec_lo, exec_lo, s0
	s_waitcnt vmcnt(0)
	v_mad_i64_i32 v[1:2], null, v30, s5, 0
	v_add_nc_u32_e32 v30, -7, v23
	v_add_nc_u32_e32 v37, -6, v23
	;; [unrolled: 1-line block ×6, first 2 shown]
	v_lshlrev_b64 v[1:2], 1, v[1:2]
	v_add_nc_u32_e32 v36, -1, v23
	s_delay_alu instid0(VALU_DEP_2) | instskip(NEXT) | instid1(VALU_DEP_3)
	v_add_co_u32 v6, vcc_lo, v21, v1
	v_add_co_ci_u32_e32 v7, vcc_lo, v22, v2, vcc_lo
	v_cmp_eq_u32_e32 vcc_lo, s2, v10
	global_load_b128 v[1:4], v[6:7], off
	s_waitcnt vmcnt(0)
	v_lshrrev_b32_e32 v9, 16, v1
	v_lshrrev_b32_e32 v42, 16, v2
	;; [unrolled: 1-line block ×4, first 2 shown]
	s_and_saveexec_b32 s7, vcc_lo
	s_cbranch_execz .LBB157_67
; %bb.66:                               ;   in Loop: Header=BB157_33 Depth=1
	v_cmp_gt_i32_e64 s0, s15, v30
	s_delay_alu instid0(VALU_DEP_1) | instskip(SKIP_1) | instid1(VALU_DEP_1)
	v_cndmask_b32_e64 v1, 0, v1, s0
	v_cmp_gt_i32_e64 s0, s15, v37
	v_cndmask_b32_e64 v9, 0, v9, s0
	v_cmp_gt_i32_e64 s0, s15, v35
	s_delay_alu instid0(VALU_DEP_1) | instskip(SKIP_1) | instid1(VALU_DEP_1)
	v_cndmask_b32_e64 v2, 0, v2, s0
	v_cmp_gt_i32_e64 s0, s15, v34
	v_cndmask_b32_e64 v42, 0, v42, s0
	;; [unrolled: 5-line block ×4, first 2 shown]
.LBB157_67:                             ;   in Loop: Header=BB157_33 Depth=1
	s_or_b32 exec_lo, exec_lo, s7
	v_and_b32_e32 v38, 0xffff0000, v38
	v_lshlrev_b32_e32 v1, 16, v1
	s_delay_alu instid0(VALU_DEP_1) | instskip(NEXT) | instid1(VALU_DEP_1)
	v_mul_f32_e32 v1, v38, v1
	v_and_b32_e32 v8, 0x7f800000, v1
	s_delay_alu instid0(VALU_DEP_1) | instskip(NEXT) | instid1(VALU_DEP_1)
	v_cmp_ne_u32_e64 s0, 0x7f800000, v8
                                        ; implicit-def: $vgpr8
	s_and_saveexec_b32 s7, s0
	s_delay_alu instid0(SALU_CYCLE_1)
	s_xor_b32 s0, exec_lo, s7
; %bb.68:                               ;   in Loop: Header=BB157_33 Depth=1
	v_bfe_u32 v8, v1, 16, 1
	s_delay_alu instid0(VALU_DEP_1)
	v_add3_u32 v8, v1, v8, 0x7fff
                                        ; implicit-def: $vgpr1
; %bb.69:                               ;   in Loop: Header=BB157_33 Depth=1
	s_and_not1_saveexec_b32 s7, s0
; %bb.70:                               ;   in Loop: Header=BB157_33 Depth=1
	v_and_b32_e32 v8, 0xffff, v1
	v_or_b32_e32 v40, 0x10000, v1
	s_delay_alu instid0(VALU_DEP_2) | instskip(NEXT) | instid1(VALU_DEP_1)
	v_cmp_eq_u32_e64 s0, 0, v8
	v_cndmask_b32_e64 v8, v40, v1, s0
; %bb.71:                               ;   in Loop: Header=BB157_33 Depth=1
	s_or_b32 exec_lo, exec_lo, s7
	v_and_b32_e32 v39, 0xffff0000, v39
	v_lshlrev_b32_e32 v1, 16, v9
	s_delay_alu instid0(VALU_DEP_1) | instskip(NEXT) | instid1(VALU_DEP_1)
	v_mul_f32_e32 v1, v39, v1
	v_and_b32_e32 v9, 0x7f800000, v1
	s_delay_alu instid0(VALU_DEP_1) | instskip(NEXT) | instid1(VALU_DEP_1)
	v_cmp_ne_u32_e64 s0, 0x7f800000, v9
                                        ; implicit-def: $vgpr9
	s_and_saveexec_b32 s7, s0
	s_delay_alu instid0(SALU_CYCLE_1)
	s_xor_b32 s0, exec_lo, s7
; %bb.72:                               ;   in Loop: Header=BB157_33 Depth=1
	v_bfe_u32 v9, v1, 16, 1
	s_delay_alu instid0(VALU_DEP_1)
	v_add3_u32 v9, v1, v9, 0x7fff
                                        ; implicit-def: $vgpr1
; %bb.73:                               ;   in Loop: Header=BB157_33 Depth=1
	s_and_not1_saveexec_b32 s7, s0
; %bb.74:                               ;   in Loop: Header=BB157_33 Depth=1
	v_and_b32_e32 v9, 0xffff, v1
	v_or_b32_e32 v40, 0x10000, v1
	s_delay_alu instid0(VALU_DEP_2) | instskip(NEXT) | instid1(VALU_DEP_1)
	v_cmp_eq_u32_e64 s0, 0, v9
	v_cndmask_b32_e64 v9, v40, v1, s0
; %bb.75:                               ;   in Loop: Header=BB157_33 Depth=1
	s_or_b32 exec_lo, exec_lo, s7
	v_and_b32_e32 v40, 0xffff0000, v25
	v_lshlrev_b32_e32 v1, 16, v2
                                        ; implicit-def: $vgpr25
	s_delay_alu instid0(VALU_DEP_1) | instskip(NEXT) | instid1(VALU_DEP_1)
	v_mul_f32_e32 v1, v40, v1
	v_and_b32_e32 v2, 0x7f800000, v1
	s_delay_alu instid0(VALU_DEP_1) | instskip(NEXT) | instid1(VALU_DEP_1)
	v_cmp_ne_u32_e64 s0, 0x7f800000, v2
	s_and_saveexec_b32 s7, s0
	s_delay_alu instid0(SALU_CYCLE_1)
	s_xor_b32 s0, exec_lo, s7
; %bb.76:                               ;   in Loop: Header=BB157_33 Depth=1
	v_bfe_u32 v2, v1, 16, 1
	s_delay_alu instid0(VALU_DEP_1)
	v_add3_u32 v25, v1, v2, 0x7fff
                                        ; implicit-def: $vgpr1
; %bb.77:                               ;   in Loop: Header=BB157_33 Depth=1
	s_and_not1_saveexec_b32 s7, s0
; %bb.78:                               ;   in Loop: Header=BB157_33 Depth=1
	v_and_b32_e32 v2, 0xffff, v1
	v_or_b32_e32 v25, 0x10000, v1
	s_delay_alu instid0(VALU_DEP_2) | instskip(NEXT) | instid1(VALU_DEP_1)
	v_cmp_eq_u32_e64 s0, 0, v2
	v_cndmask_b32_e64 v25, v25, v1, s0
; %bb.79:                               ;   in Loop: Header=BB157_33 Depth=1
	s_or_b32 exec_lo, exec_lo, s7
	v_and_b32_e32 v41, 0xffff0000, v26
	v_lshlrev_b32_e32 v1, 16, v42
                                        ; implicit-def: $vgpr26
	s_delay_alu instid0(VALU_DEP_1) | instskip(NEXT) | instid1(VALU_DEP_1)
	v_mul_f32_e32 v1, v41, v1
	v_and_b32_e32 v2, 0x7f800000, v1
	s_delay_alu instid0(VALU_DEP_1) | instskip(NEXT) | instid1(VALU_DEP_1)
	v_cmp_ne_u32_e64 s0, 0x7f800000, v2
	s_and_saveexec_b32 s7, s0
	s_delay_alu instid0(SALU_CYCLE_1)
	s_xor_b32 s0, exec_lo, s7
; %bb.80:                               ;   in Loop: Header=BB157_33 Depth=1
	v_bfe_u32 v2, v1, 16, 1
	s_delay_alu instid0(VALU_DEP_1)
	v_add3_u32 v26, v1, v2, 0x7fff
                                        ; implicit-def: $vgpr1
; %bb.81:                               ;   in Loop: Header=BB157_33 Depth=1
	s_and_not1_saveexec_b32 s7, s0
; %bb.82:                               ;   in Loop: Header=BB157_33 Depth=1
	v_and_b32_e32 v2, 0xffff, v1
	v_or_b32_e32 v26, 0x10000, v1
	s_delay_alu instid0(VALU_DEP_2) | instskip(NEXT) | instid1(VALU_DEP_1)
	v_cmp_eq_u32_e64 s0, 0, v2
	v_cndmask_b32_e64 v26, v26, v1, s0
; %bb.83:                               ;   in Loop: Header=BB157_33 Depth=1
	s_or_b32 exec_lo, exec_lo, s7
	v_and_b32_e32 v42, 0xffff0000, v27
	v_lshlrev_b32_e32 v1, 16, v3
                                        ; implicit-def: $vgpr27
	s_delay_alu instid0(VALU_DEP_1) | instskip(NEXT) | instid1(VALU_DEP_1)
	v_mul_f32_e32 v1, v42, v1
	v_and_b32_e32 v2, 0x7f800000, v1
	s_delay_alu instid0(VALU_DEP_1) | instskip(NEXT) | instid1(VALU_DEP_1)
	v_cmp_ne_u32_e64 s0, 0x7f800000, v2
	s_and_saveexec_b32 s7, s0
	s_delay_alu instid0(SALU_CYCLE_1)
	s_xor_b32 s0, exec_lo, s7
; %bb.84:                               ;   in Loop: Header=BB157_33 Depth=1
	v_bfe_u32 v2, v1, 16, 1
	s_delay_alu instid0(VALU_DEP_1)
	v_add3_u32 v27, v1, v2, 0x7fff
                                        ; implicit-def: $vgpr1
; %bb.85:                               ;   in Loop: Header=BB157_33 Depth=1
	s_and_not1_saveexec_b32 s7, s0
; %bb.86:                               ;   in Loop: Header=BB157_33 Depth=1
	v_and_b32_e32 v2, 0xffff, v1
	v_or_b32_e32 v3, 0x10000, v1
	s_delay_alu instid0(VALU_DEP_2) | instskip(NEXT) | instid1(VALU_DEP_1)
	v_cmp_eq_u32_e64 s0, 0, v2
	v_cndmask_b32_e64 v27, v3, v1, s0
; %bb.87:                               ;   in Loop: Header=BB157_33 Depth=1
	s_or_b32 exec_lo, exec_lo, s7
	v_and_b32_e32 v43, 0xffff0000, v28
	v_lshlrev_b32_e32 v1, 16, v44
                                        ; implicit-def: $vgpr28
	s_delay_alu instid0(VALU_DEP_1) | instskip(NEXT) | instid1(VALU_DEP_1)
	v_mul_f32_e32 v1, v43, v1
	v_and_b32_e32 v2, 0x7f800000, v1
	s_delay_alu instid0(VALU_DEP_1) | instskip(NEXT) | instid1(VALU_DEP_1)
	v_cmp_ne_u32_e64 s0, 0x7f800000, v2
	s_and_saveexec_b32 s7, s0
	s_delay_alu instid0(SALU_CYCLE_1)
	s_xor_b32 s0, exec_lo, s7
; %bb.88:                               ;   in Loop: Header=BB157_33 Depth=1
	v_bfe_u32 v2, v1, 16, 1
	s_delay_alu instid0(VALU_DEP_1)
	v_add3_u32 v28, v1, v2, 0x7fff
                                        ; implicit-def: $vgpr1
; %bb.89:                               ;   in Loop: Header=BB157_33 Depth=1
	s_and_not1_saveexec_b32 s7, s0
; %bb.90:                               ;   in Loop: Header=BB157_33 Depth=1
	v_and_b32_e32 v2, 0xffff, v1
	v_or_b32_e32 v3, 0x10000, v1
	s_delay_alu instid0(VALU_DEP_2) | instskip(NEXT) | instid1(VALU_DEP_1)
	v_cmp_eq_u32_e64 s0, 0, v2
	v_cndmask_b32_e64 v28, v3, v1, s0
; %bb.91:                               ;   in Loop: Header=BB157_33 Depth=1
	s_or_b32 exec_lo, exec_lo, s7
	v_and_b32_e32 v44, 0xffff0000, v29
	v_lshlrev_b32_e32 v1, 16, v4
                                        ; implicit-def: $vgpr29
	s_delay_alu instid0(VALU_DEP_1) | instskip(NEXT) | instid1(VALU_DEP_1)
	v_mul_f32_e32 v1, v44, v1
	v_and_b32_e32 v2, 0x7f800000, v1
	s_delay_alu instid0(VALU_DEP_1) | instskip(NEXT) | instid1(VALU_DEP_1)
	v_cmp_ne_u32_e64 s0, 0x7f800000, v2
	s_and_saveexec_b32 s7, s0
	s_delay_alu instid0(SALU_CYCLE_1)
	s_xor_b32 s0, exec_lo, s7
; %bb.92:                               ;   in Loop: Header=BB157_33 Depth=1
	v_bfe_u32 v2, v1, 16, 1
	s_delay_alu instid0(VALU_DEP_1)
	v_add3_u32 v29, v1, v2, 0x7fff
                                        ; implicit-def: $vgpr1
; %bb.93:                               ;   in Loop: Header=BB157_33 Depth=1
	s_and_not1_saveexec_b32 s7, s0
; %bb.94:                               ;   in Loop: Header=BB157_33 Depth=1
	v_and_b32_e32 v2, 0xffff, v1
	v_or_b32_e32 v3, 0x10000, v1
	s_delay_alu instid0(VALU_DEP_2) | instskip(NEXT) | instid1(VALU_DEP_1)
	v_cmp_eq_u32_e64 s0, 0, v2
	v_cndmask_b32_e64 v29, v3, v1, s0
; %bb.95:                               ;   in Loop: Header=BB157_33 Depth=1
	s_or_b32 exec_lo, exec_lo, s7
	v_and_b32_e32 v45, 0xffff0000, v31
	v_lshlrev_b32_e32 v1, 16, v46
                                        ; implicit-def: $vgpr31
	s_delay_alu instid0(VALU_DEP_1) | instskip(NEXT) | instid1(VALU_DEP_1)
	v_mul_f32_e32 v1, v45, v1
	v_and_b32_e32 v2, 0x7f800000, v1
	s_delay_alu instid0(VALU_DEP_1) | instskip(NEXT) | instid1(VALU_DEP_1)
	v_cmp_ne_u32_e64 s0, 0x7f800000, v2
	s_and_saveexec_b32 s7, s0
	s_delay_alu instid0(SALU_CYCLE_1)
	s_xor_b32 s0, exec_lo, s7
; %bb.96:                               ;   in Loop: Header=BB157_33 Depth=1
	v_bfe_u32 v2, v1, 16, 1
	s_delay_alu instid0(VALU_DEP_1)
	v_add3_u32 v31, v1, v2, 0x7fff
                                        ; implicit-def: $vgpr1
; %bb.97:                               ;   in Loop: Header=BB157_33 Depth=1
	s_and_not1_saveexec_b32 s7, s0
; %bb.98:                               ;   in Loop: Header=BB157_33 Depth=1
	v_and_b32_e32 v2, 0xffff, v1
	v_or_b32_e32 v3, 0x10000, v1
	s_delay_alu instid0(VALU_DEP_2) | instskip(NEXT) | instid1(VALU_DEP_1)
	v_cmp_eq_u32_e64 s0, 0, v2
	v_cndmask_b32_e64 v31, v3, v1, s0
; %bb.99:                               ;   in Loop: Header=BB157_33 Depth=1
	s_or_b32 exec_lo, exec_lo, s7
	global_load_b128 v[1:4], v[6:7], off offset:512
	s_waitcnt vmcnt(0)
	v_lshrrev_b32_e32 v47, 16, v1
	v_lshrrev_b32_e32 v49, 16, v2
	;; [unrolled: 1-line block ×4, first 2 shown]
	s_and_saveexec_b32 s7, vcc_lo
	s_cbranch_execz .LBB157_101
; %bb.100:                              ;   in Loop: Header=BB157_33 Depth=1
	v_cmp_gt_i32_e64 s0, s15, v30
	s_delay_alu instid0(VALU_DEP_1) | instskip(SKIP_1) | instid1(VALU_DEP_1)
	v_cndmask_b32_e64 v1, 0, v1, s0
	v_cmp_gt_i32_e64 s0, s15, v37
	v_cndmask_b32_e64 v47, 0, v47, s0
	v_cmp_gt_i32_e64 s0, s15, v35
	s_delay_alu instid0(VALU_DEP_1) | instskip(SKIP_1) | instid1(VALU_DEP_1)
	v_cndmask_b32_e64 v2, 0, v2, s0
	v_cmp_gt_i32_e64 s0, s15, v34
	v_cndmask_b32_e64 v49, 0, v49, s0
	v_cmp_gt_i32_e64 s0, s15, v33
	s_delay_alu instid0(VALU_DEP_1) | instskip(SKIP_1) | instid1(VALU_DEP_1)
	v_cndmask_b32_e64 v3, 0, v3, s0
	v_cmp_gt_i32_e64 s0, s15, v32
	v_cndmask_b32_e64 v51, 0, v51, s0
	v_cmp_gt_i32_e64 s0, s15, v36
	s_delay_alu instid0(VALU_DEP_1) | instskip(SKIP_1) | instid1(VALU_DEP_1)
	v_cndmask_b32_e64 v4, 0, v4, s0
	v_cmp_gt_i32_e64 s0, s15, v23
	v_cndmask_b32_e64 v53, 0, v53, s0
.LBB157_101:                            ;   in Loop: Header=BB157_33 Depth=1
	s_or_b32 exec_lo, exec_lo, s7
	v_lshlrev_b32_e32 v1, 16, v1
	s_delay_alu instid0(VALU_DEP_1) | instskip(NEXT) | instid1(VALU_DEP_1)
	v_mul_f32_e32 v1, v38, v1
	v_and_b32_e32 v46, 0x7f800000, v1
	s_delay_alu instid0(VALU_DEP_1) | instskip(NEXT) | instid1(VALU_DEP_1)
	v_cmp_ne_u32_e64 s0, 0x7f800000, v46
                                        ; implicit-def: $vgpr46
	s_and_saveexec_b32 s7, s0
	s_delay_alu instid0(SALU_CYCLE_1)
	s_xor_b32 s0, exec_lo, s7
; %bb.102:                              ;   in Loop: Header=BB157_33 Depth=1
	v_bfe_u32 v46, v1, 16, 1
	s_delay_alu instid0(VALU_DEP_1)
	v_add3_u32 v46, v1, v46, 0x7fff
                                        ; implicit-def: $vgpr1
; %bb.103:                              ;   in Loop: Header=BB157_33 Depth=1
	s_and_not1_saveexec_b32 s7, s0
; %bb.104:                              ;   in Loop: Header=BB157_33 Depth=1
	v_and_b32_e32 v46, 0xffff, v1
	v_or_b32_e32 v48, 0x10000, v1
	s_delay_alu instid0(VALU_DEP_2) | instskip(NEXT) | instid1(VALU_DEP_1)
	v_cmp_eq_u32_e64 s0, 0, v46
	v_cndmask_b32_e64 v46, v48, v1, s0
; %bb.105:                              ;   in Loop: Header=BB157_33 Depth=1
	s_or_b32 exec_lo, exec_lo, s7
	v_lshlrev_b32_e32 v1, 16, v47
	s_delay_alu instid0(VALU_DEP_1) | instskip(NEXT) | instid1(VALU_DEP_1)
	v_mul_f32_e32 v1, v39, v1
	v_and_b32_e32 v47, 0x7f800000, v1
	s_delay_alu instid0(VALU_DEP_1) | instskip(NEXT) | instid1(VALU_DEP_1)
	v_cmp_ne_u32_e64 s0, 0x7f800000, v47
                                        ; implicit-def: $vgpr47
	s_and_saveexec_b32 s7, s0
	s_delay_alu instid0(SALU_CYCLE_1)
	s_xor_b32 s0, exec_lo, s7
; %bb.106:                              ;   in Loop: Header=BB157_33 Depth=1
	v_bfe_u32 v47, v1, 16, 1
	s_delay_alu instid0(VALU_DEP_1)
	v_add3_u32 v47, v1, v47, 0x7fff
                                        ; implicit-def: $vgpr1
; %bb.107:                              ;   in Loop: Header=BB157_33 Depth=1
	s_and_not1_saveexec_b32 s7, s0
; %bb.108:                              ;   in Loop: Header=BB157_33 Depth=1
	v_and_b32_e32 v47, 0xffff, v1
	v_or_b32_e32 v48, 0x10000, v1
	s_delay_alu instid0(VALU_DEP_2) | instskip(NEXT) | instid1(VALU_DEP_1)
	v_cmp_eq_u32_e64 s0, 0, v47
	v_cndmask_b32_e64 v47, v48, v1, s0
; %bb.109:                              ;   in Loop: Header=BB157_33 Depth=1
	s_or_b32 exec_lo, exec_lo, s7
	v_lshlrev_b32_e32 v1, 16, v2
                                        ; implicit-def: $vgpr48
	s_delay_alu instid0(VALU_DEP_1) | instskip(NEXT) | instid1(VALU_DEP_1)
	v_mul_f32_e32 v1, v40, v1
	v_and_b32_e32 v2, 0x7f800000, v1
	s_delay_alu instid0(VALU_DEP_1) | instskip(NEXT) | instid1(VALU_DEP_1)
	v_cmp_ne_u32_e64 s0, 0x7f800000, v2
	s_and_saveexec_b32 s7, s0
	s_delay_alu instid0(SALU_CYCLE_1)
	s_xor_b32 s0, exec_lo, s7
; %bb.110:                              ;   in Loop: Header=BB157_33 Depth=1
	v_bfe_u32 v2, v1, 16, 1
	s_delay_alu instid0(VALU_DEP_1)
	v_add3_u32 v48, v1, v2, 0x7fff
                                        ; implicit-def: $vgpr1
; %bb.111:                              ;   in Loop: Header=BB157_33 Depth=1
	s_and_not1_saveexec_b32 s7, s0
; %bb.112:                              ;   in Loop: Header=BB157_33 Depth=1
	v_and_b32_e32 v2, 0xffff, v1
	v_or_b32_e32 v48, 0x10000, v1
	s_delay_alu instid0(VALU_DEP_2) | instskip(NEXT) | instid1(VALU_DEP_1)
	v_cmp_eq_u32_e64 s0, 0, v2
	v_cndmask_b32_e64 v48, v48, v1, s0
; %bb.113:                              ;   in Loop: Header=BB157_33 Depth=1
	s_or_b32 exec_lo, exec_lo, s7
	v_lshlrev_b32_e32 v1, 16, v49
                                        ; implicit-def: $vgpr49
	s_delay_alu instid0(VALU_DEP_1) | instskip(NEXT) | instid1(VALU_DEP_1)
	v_mul_f32_e32 v1, v41, v1
	v_and_b32_e32 v2, 0x7f800000, v1
	s_delay_alu instid0(VALU_DEP_1) | instskip(NEXT) | instid1(VALU_DEP_1)
	v_cmp_ne_u32_e64 s0, 0x7f800000, v2
	s_and_saveexec_b32 s7, s0
	s_delay_alu instid0(SALU_CYCLE_1)
	s_xor_b32 s0, exec_lo, s7
; %bb.114:                              ;   in Loop: Header=BB157_33 Depth=1
	v_bfe_u32 v2, v1, 16, 1
	s_delay_alu instid0(VALU_DEP_1)
	v_add3_u32 v49, v1, v2, 0x7fff
                                        ; implicit-def: $vgpr1
; %bb.115:                              ;   in Loop: Header=BB157_33 Depth=1
	s_and_not1_saveexec_b32 s7, s0
; %bb.116:                              ;   in Loop: Header=BB157_33 Depth=1
	v_and_b32_e32 v2, 0xffff, v1
	v_or_b32_e32 v49, 0x10000, v1
	s_delay_alu instid0(VALU_DEP_2) | instskip(NEXT) | instid1(VALU_DEP_1)
	v_cmp_eq_u32_e64 s0, 0, v2
	v_cndmask_b32_e64 v49, v49, v1, s0
; %bb.117:                              ;   in Loop: Header=BB157_33 Depth=1
	s_or_b32 exec_lo, exec_lo, s7
	v_lshlrev_b32_e32 v1, 16, v3
                                        ; implicit-def: $vgpr50
	s_delay_alu instid0(VALU_DEP_1) | instskip(NEXT) | instid1(VALU_DEP_1)
	v_mul_f32_e32 v1, v42, v1
	v_and_b32_e32 v2, 0x7f800000, v1
	s_delay_alu instid0(VALU_DEP_1) | instskip(NEXT) | instid1(VALU_DEP_1)
	v_cmp_ne_u32_e64 s0, 0x7f800000, v2
	s_and_saveexec_b32 s7, s0
	s_delay_alu instid0(SALU_CYCLE_1)
	s_xor_b32 s0, exec_lo, s7
; %bb.118:                              ;   in Loop: Header=BB157_33 Depth=1
	v_bfe_u32 v2, v1, 16, 1
	s_delay_alu instid0(VALU_DEP_1)
	v_add3_u32 v50, v1, v2, 0x7fff
                                        ; implicit-def: $vgpr1
; %bb.119:                              ;   in Loop: Header=BB157_33 Depth=1
	s_and_not1_saveexec_b32 s7, s0
; %bb.120:                              ;   in Loop: Header=BB157_33 Depth=1
	v_and_b32_e32 v2, 0xffff, v1
	v_or_b32_e32 v3, 0x10000, v1
	s_delay_alu instid0(VALU_DEP_2) | instskip(NEXT) | instid1(VALU_DEP_1)
	v_cmp_eq_u32_e64 s0, 0, v2
	v_cndmask_b32_e64 v50, v3, v1, s0
; %bb.121:                              ;   in Loop: Header=BB157_33 Depth=1
	s_or_b32 exec_lo, exec_lo, s7
	v_lshlrev_b32_e32 v1, 16, v51
                                        ; implicit-def: $vgpr51
	s_delay_alu instid0(VALU_DEP_1) | instskip(NEXT) | instid1(VALU_DEP_1)
	v_mul_f32_e32 v1, v43, v1
	v_and_b32_e32 v2, 0x7f800000, v1
	s_delay_alu instid0(VALU_DEP_1) | instskip(NEXT) | instid1(VALU_DEP_1)
	v_cmp_ne_u32_e64 s0, 0x7f800000, v2
	s_and_saveexec_b32 s7, s0
	s_delay_alu instid0(SALU_CYCLE_1)
	s_xor_b32 s0, exec_lo, s7
; %bb.122:                              ;   in Loop: Header=BB157_33 Depth=1
	v_bfe_u32 v2, v1, 16, 1
	s_delay_alu instid0(VALU_DEP_1)
	v_add3_u32 v51, v1, v2, 0x7fff
                                        ; implicit-def: $vgpr1
; %bb.123:                              ;   in Loop: Header=BB157_33 Depth=1
	s_and_not1_saveexec_b32 s7, s0
; %bb.124:                              ;   in Loop: Header=BB157_33 Depth=1
	v_and_b32_e32 v2, 0xffff, v1
	v_or_b32_e32 v3, 0x10000, v1
	s_delay_alu instid0(VALU_DEP_2) | instskip(NEXT) | instid1(VALU_DEP_1)
	v_cmp_eq_u32_e64 s0, 0, v2
	v_cndmask_b32_e64 v51, v3, v1, s0
; %bb.125:                              ;   in Loop: Header=BB157_33 Depth=1
	s_or_b32 exec_lo, exec_lo, s7
	v_lshlrev_b32_e32 v1, 16, v4
                                        ; implicit-def: $vgpr52
	s_delay_alu instid0(VALU_DEP_1) | instskip(NEXT) | instid1(VALU_DEP_1)
	v_mul_f32_e32 v1, v44, v1
	v_and_b32_e32 v2, 0x7f800000, v1
	s_delay_alu instid0(VALU_DEP_1) | instskip(NEXT) | instid1(VALU_DEP_1)
	v_cmp_ne_u32_e64 s0, 0x7f800000, v2
	s_and_saveexec_b32 s7, s0
	s_delay_alu instid0(SALU_CYCLE_1)
	s_xor_b32 s0, exec_lo, s7
; %bb.126:                              ;   in Loop: Header=BB157_33 Depth=1
	v_bfe_u32 v2, v1, 16, 1
	s_delay_alu instid0(VALU_DEP_1)
	v_add3_u32 v52, v1, v2, 0x7fff
                                        ; implicit-def: $vgpr1
; %bb.127:                              ;   in Loop: Header=BB157_33 Depth=1
	s_and_not1_saveexec_b32 s7, s0
; %bb.128:                              ;   in Loop: Header=BB157_33 Depth=1
	v_and_b32_e32 v2, 0xffff, v1
	v_or_b32_e32 v3, 0x10000, v1
	s_delay_alu instid0(VALU_DEP_2) | instskip(NEXT) | instid1(VALU_DEP_1)
	v_cmp_eq_u32_e64 s0, 0, v2
	v_cndmask_b32_e64 v52, v3, v1, s0
; %bb.129:                              ;   in Loop: Header=BB157_33 Depth=1
	s_or_b32 exec_lo, exec_lo, s7
	v_lshlrev_b32_e32 v1, 16, v53
                                        ; implicit-def: $vgpr53
	s_delay_alu instid0(VALU_DEP_1) | instskip(NEXT) | instid1(VALU_DEP_1)
	v_mul_f32_e32 v1, v45, v1
	v_and_b32_e32 v2, 0x7f800000, v1
	s_delay_alu instid0(VALU_DEP_1) | instskip(NEXT) | instid1(VALU_DEP_1)
	v_cmp_ne_u32_e64 s0, 0x7f800000, v2
	s_and_saveexec_b32 s7, s0
	s_delay_alu instid0(SALU_CYCLE_1)
	s_xor_b32 s0, exec_lo, s7
; %bb.130:                              ;   in Loop: Header=BB157_33 Depth=1
	v_bfe_u32 v2, v1, 16, 1
	s_delay_alu instid0(VALU_DEP_1)
	v_add3_u32 v53, v1, v2, 0x7fff
                                        ; implicit-def: $vgpr1
; %bb.131:                              ;   in Loop: Header=BB157_33 Depth=1
	s_and_not1_saveexec_b32 s7, s0
; %bb.132:                              ;   in Loop: Header=BB157_33 Depth=1
	v_and_b32_e32 v2, 0xffff, v1
	v_or_b32_e32 v3, 0x10000, v1
	s_delay_alu instid0(VALU_DEP_2) | instskip(NEXT) | instid1(VALU_DEP_1)
	v_cmp_eq_u32_e64 s0, 0, v2
	v_cndmask_b32_e64 v53, v3, v1, s0
; %bb.133:                              ;   in Loop: Header=BB157_33 Depth=1
	s_or_b32 exec_lo, exec_lo, s7
	global_load_b128 v[1:4], v[6:7], off offset:1024
	s_waitcnt vmcnt(0)
	v_lshrrev_b32_e32 v55, 16, v1
	v_lshrrev_b32_e32 v57, 16, v2
	;; [unrolled: 1-line block ×4, first 2 shown]
	s_and_saveexec_b32 s7, vcc_lo
	s_cbranch_execz .LBB157_135
; %bb.134:                              ;   in Loop: Header=BB157_33 Depth=1
	v_cmp_gt_i32_e64 s0, s15, v30
	s_delay_alu instid0(VALU_DEP_1) | instskip(SKIP_1) | instid1(VALU_DEP_1)
	v_cndmask_b32_e64 v1, 0, v1, s0
	v_cmp_gt_i32_e64 s0, s15, v37
	v_cndmask_b32_e64 v55, 0, v55, s0
	v_cmp_gt_i32_e64 s0, s15, v35
	s_delay_alu instid0(VALU_DEP_1) | instskip(SKIP_1) | instid1(VALU_DEP_1)
	v_cndmask_b32_e64 v2, 0, v2, s0
	v_cmp_gt_i32_e64 s0, s15, v34
	v_cndmask_b32_e64 v57, 0, v57, s0
	;; [unrolled: 5-line block ×4, first 2 shown]
.LBB157_135:                            ;   in Loop: Header=BB157_33 Depth=1
	s_or_b32 exec_lo, exec_lo, s7
	v_lshlrev_b32_e32 v1, 16, v1
	s_delay_alu instid0(VALU_DEP_1) | instskip(NEXT) | instid1(VALU_DEP_1)
	v_mul_f32_e32 v1, v38, v1
	v_and_b32_e32 v54, 0x7f800000, v1
	s_delay_alu instid0(VALU_DEP_1) | instskip(NEXT) | instid1(VALU_DEP_1)
	v_cmp_ne_u32_e64 s0, 0x7f800000, v54
                                        ; implicit-def: $vgpr54
	s_and_saveexec_b32 s7, s0
	s_delay_alu instid0(SALU_CYCLE_1)
	s_xor_b32 s0, exec_lo, s7
; %bb.136:                              ;   in Loop: Header=BB157_33 Depth=1
	v_bfe_u32 v54, v1, 16, 1
	s_delay_alu instid0(VALU_DEP_1)
	v_add3_u32 v54, v1, v54, 0x7fff
                                        ; implicit-def: $vgpr1
; %bb.137:                              ;   in Loop: Header=BB157_33 Depth=1
	s_and_not1_saveexec_b32 s7, s0
; %bb.138:                              ;   in Loop: Header=BB157_33 Depth=1
	v_and_b32_e32 v54, 0xffff, v1
	v_or_b32_e32 v56, 0x10000, v1
	s_delay_alu instid0(VALU_DEP_2) | instskip(NEXT) | instid1(VALU_DEP_1)
	v_cmp_eq_u32_e64 s0, 0, v54
	v_cndmask_b32_e64 v54, v56, v1, s0
; %bb.139:                              ;   in Loop: Header=BB157_33 Depth=1
	s_or_b32 exec_lo, exec_lo, s7
	v_lshlrev_b32_e32 v1, 16, v55
	s_delay_alu instid0(VALU_DEP_1) | instskip(NEXT) | instid1(VALU_DEP_1)
	v_mul_f32_e32 v1, v39, v1
	v_and_b32_e32 v55, 0x7f800000, v1
	s_delay_alu instid0(VALU_DEP_1) | instskip(NEXT) | instid1(VALU_DEP_1)
	v_cmp_ne_u32_e64 s0, 0x7f800000, v55
                                        ; implicit-def: $vgpr55
	s_and_saveexec_b32 s7, s0
	s_delay_alu instid0(SALU_CYCLE_1)
	s_xor_b32 s0, exec_lo, s7
; %bb.140:                              ;   in Loop: Header=BB157_33 Depth=1
	v_bfe_u32 v55, v1, 16, 1
	s_delay_alu instid0(VALU_DEP_1)
	v_add3_u32 v55, v1, v55, 0x7fff
                                        ; implicit-def: $vgpr1
; %bb.141:                              ;   in Loop: Header=BB157_33 Depth=1
	s_and_not1_saveexec_b32 s7, s0
; %bb.142:                              ;   in Loop: Header=BB157_33 Depth=1
	v_and_b32_e32 v55, 0xffff, v1
	v_or_b32_e32 v56, 0x10000, v1
	s_delay_alu instid0(VALU_DEP_2) | instskip(NEXT) | instid1(VALU_DEP_1)
	v_cmp_eq_u32_e64 s0, 0, v55
	v_cndmask_b32_e64 v55, v56, v1, s0
; %bb.143:                              ;   in Loop: Header=BB157_33 Depth=1
	s_or_b32 exec_lo, exec_lo, s7
	v_lshlrev_b32_e32 v1, 16, v2
                                        ; implicit-def: $vgpr56
	s_delay_alu instid0(VALU_DEP_1) | instskip(NEXT) | instid1(VALU_DEP_1)
	v_mul_f32_e32 v1, v40, v1
	v_and_b32_e32 v2, 0x7f800000, v1
	s_delay_alu instid0(VALU_DEP_1) | instskip(NEXT) | instid1(VALU_DEP_1)
	v_cmp_ne_u32_e64 s0, 0x7f800000, v2
	s_and_saveexec_b32 s7, s0
	s_delay_alu instid0(SALU_CYCLE_1)
	s_xor_b32 s0, exec_lo, s7
; %bb.144:                              ;   in Loop: Header=BB157_33 Depth=1
	v_bfe_u32 v2, v1, 16, 1
	s_delay_alu instid0(VALU_DEP_1)
	v_add3_u32 v56, v1, v2, 0x7fff
                                        ; implicit-def: $vgpr1
; %bb.145:                              ;   in Loop: Header=BB157_33 Depth=1
	s_and_not1_saveexec_b32 s7, s0
; %bb.146:                              ;   in Loop: Header=BB157_33 Depth=1
	v_and_b32_e32 v2, 0xffff, v1
	v_or_b32_e32 v56, 0x10000, v1
	s_delay_alu instid0(VALU_DEP_2) | instskip(NEXT) | instid1(VALU_DEP_1)
	v_cmp_eq_u32_e64 s0, 0, v2
	v_cndmask_b32_e64 v56, v56, v1, s0
; %bb.147:                              ;   in Loop: Header=BB157_33 Depth=1
	s_or_b32 exec_lo, exec_lo, s7
	v_lshlrev_b32_e32 v1, 16, v57
                                        ; implicit-def: $vgpr57
	s_delay_alu instid0(VALU_DEP_1) | instskip(NEXT) | instid1(VALU_DEP_1)
	v_mul_f32_e32 v1, v41, v1
	v_and_b32_e32 v2, 0x7f800000, v1
	s_delay_alu instid0(VALU_DEP_1) | instskip(NEXT) | instid1(VALU_DEP_1)
	v_cmp_ne_u32_e64 s0, 0x7f800000, v2
	s_and_saveexec_b32 s7, s0
	s_delay_alu instid0(SALU_CYCLE_1)
	s_xor_b32 s0, exec_lo, s7
; %bb.148:                              ;   in Loop: Header=BB157_33 Depth=1
	v_bfe_u32 v2, v1, 16, 1
	s_delay_alu instid0(VALU_DEP_1)
	v_add3_u32 v57, v1, v2, 0x7fff
                                        ; implicit-def: $vgpr1
; %bb.149:                              ;   in Loop: Header=BB157_33 Depth=1
	s_and_not1_saveexec_b32 s7, s0
; %bb.150:                              ;   in Loop: Header=BB157_33 Depth=1
	v_and_b32_e32 v2, 0xffff, v1
	v_or_b32_e32 v57, 0x10000, v1
	s_delay_alu instid0(VALU_DEP_2) | instskip(NEXT) | instid1(VALU_DEP_1)
	v_cmp_eq_u32_e64 s0, 0, v2
	v_cndmask_b32_e64 v57, v57, v1, s0
; %bb.151:                              ;   in Loop: Header=BB157_33 Depth=1
	s_or_b32 exec_lo, exec_lo, s7
	v_lshlrev_b32_e32 v1, 16, v3
                                        ; implicit-def: $vgpr58
	s_delay_alu instid0(VALU_DEP_1) | instskip(NEXT) | instid1(VALU_DEP_1)
	v_mul_f32_e32 v1, v42, v1
	v_and_b32_e32 v2, 0x7f800000, v1
	s_delay_alu instid0(VALU_DEP_1) | instskip(NEXT) | instid1(VALU_DEP_1)
	v_cmp_ne_u32_e64 s0, 0x7f800000, v2
	s_and_saveexec_b32 s7, s0
	s_delay_alu instid0(SALU_CYCLE_1)
	s_xor_b32 s0, exec_lo, s7
; %bb.152:                              ;   in Loop: Header=BB157_33 Depth=1
	v_bfe_u32 v2, v1, 16, 1
	s_delay_alu instid0(VALU_DEP_1)
	v_add3_u32 v58, v1, v2, 0x7fff
                                        ; implicit-def: $vgpr1
; %bb.153:                              ;   in Loop: Header=BB157_33 Depth=1
	s_and_not1_saveexec_b32 s7, s0
; %bb.154:                              ;   in Loop: Header=BB157_33 Depth=1
	v_and_b32_e32 v2, 0xffff, v1
	v_or_b32_e32 v3, 0x10000, v1
	s_delay_alu instid0(VALU_DEP_2) | instskip(NEXT) | instid1(VALU_DEP_1)
	v_cmp_eq_u32_e64 s0, 0, v2
	v_cndmask_b32_e64 v58, v3, v1, s0
; %bb.155:                              ;   in Loop: Header=BB157_33 Depth=1
	s_or_b32 exec_lo, exec_lo, s7
	v_lshlrev_b32_e32 v1, 16, v59
                                        ; implicit-def: $vgpr59
	s_delay_alu instid0(VALU_DEP_1) | instskip(NEXT) | instid1(VALU_DEP_1)
	v_mul_f32_e32 v1, v43, v1
	v_and_b32_e32 v2, 0x7f800000, v1
	s_delay_alu instid0(VALU_DEP_1) | instskip(NEXT) | instid1(VALU_DEP_1)
	v_cmp_ne_u32_e64 s0, 0x7f800000, v2
	s_and_saveexec_b32 s7, s0
	s_delay_alu instid0(SALU_CYCLE_1)
	s_xor_b32 s0, exec_lo, s7
; %bb.156:                              ;   in Loop: Header=BB157_33 Depth=1
	v_bfe_u32 v2, v1, 16, 1
	s_delay_alu instid0(VALU_DEP_1)
	v_add3_u32 v59, v1, v2, 0x7fff
                                        ; implicit-def: $vgpr1
; %bb.157:                              ;   in Loop: Header=BB157_33 Depth=1
	s_and_not1_saveexec_b32 s7, s0
; %bb.158:                              ;   in Loop: Header=BB157_33 Depth=1
	v_and_b32_e32 v2, 0xffff, v1
	v_or_b32_e32 v3, 0x10000, v1
	s_delay_alu instid0(VALU_DEP_2) | instskip(NEXT) | instid1(VALU_DEP_1)
	v_cmp_eq_u32_e64 s0, 0, v2
	v_cndmask_b32_e64 v59, v3, v1, s0
; %bb.159:                              ;   in Loop: Header=BB157_33 Depth=1
	s_or_b32 exec_lo, exec_lo, s7
	v_lshlrev_b32_e32 v1, 16, v4
                                        ; implicit-def: $vgpr60
	s_delay_alu instid0(VALU_DEP_1) | instskip(NEXT) | instid1(VALU_DEP_1)
	v_mul_f32_e32 v1, v44, v1
	v_and_b32_e32 v2, 0x7f800000, v1
	s_delay_alu instid0(VALU_DEP_1) | instskip(NEXT) | instid1(VALU_DEP_1)
	v_cmp_ne_u32_e64 s0, 0x7f800000, v2
	s_and_saveexec_b32 s7, s0
	s_delay_alu instid0(SALU_CYCLE_1)
	s_xor_b32 s0, exec_lo, s7
; %bb.160:                              ;   in Loop: Header=BB157_33 Depth=1
	v_bfe_u32 v2, v1, 16, 1
	s_delay_alu instid0(VALU_DEP_1)
	v_add3_u32 v60, v1, v2, 0x7fff
                                        ; implicit-def: $vgpr1
; %bb.161:                              ;   in Loop: Header=BB157_33 Depth=1
	s_and_not1_saveexec_b32 s7, s0
; %bb.162:                              ;   in Loop: Header=BB157_33 Depth=1
	v_and_b32_e32 v2, 0xffff, v1
	v_or_b32_e32 v3, 0x10000, v1
	s_delay_alu instid0(VALU_DEP_2) | instskip(NEXT) | instid1(VALU_DEP_1)
	v_cmp_eq_u32_e64 s0, 0, v2
	v_cndmask_b32_e64 v60, v3, v1, s0
; %bb.163:                              ;   in Loop: Header=BB157_33 Depth=1
	s_or_b32 exec_lo, exec_lo, s7
	v_lshlrev_b32_e32 v1, 16, v61
                                        ; implicit-def: $vgpr61
	s_delay_alu instid0(VALU_DEP_1) | instskip(NEXT) | instid1(VALU_DEP_1)
	v_mul_f32_e32 v1, v45, v1
	v_and_b32_e32 v2, 0x7f800000, v1
	s_delay_alu instid0(VALU_DEP_1) | instskip(NEXT) | instid1(VALU_DEP_1)
	v_cmp_ne_u32_e64 s0, 0x7f800000, v2
	s_and_saveexec_b32 s7, s0
	s_delay_alu instid0(SALU_CYCLE_1)
	s_xor_b32 s0, exec_lo, s7
; %bb.164:                              ;   in Loop: Header=BB157_33 Depth=1
	v_bfe_u32 v2, v1, 16, 1
	s_delay_alu instid0(VALU_DEP_1)
	v_add3_u32 v61, v1, v2, 0x7fff
                                        ; implicit-def: $vgpr1
; %bb.165:                              ;   in Loop: Header=BB157_33 Depth=1
	s_and_not1_saveexec_b32 s7, s0
; %bb.166:                              ;   in Loop: Header=BB157_33 Depth=1
	v_and_b32_e32 v2, 0xffff, v1
	v_or_b32_e32 v3, 0x10000, v1
	s_delay_alu instid0(VALU_DEP_2) | instskip(NEXT) | instid1(VALU_DEP_1)
	v_cmp_eq_u32_e64 s0, 0, v2
	v_cndmask_b32_e64 v61, v3, v1, s0
; %bb.167:                              ;   in Loop: Header=BB157_33 Depth=1
	s_or_b32 exec_lo, exec_lo, s7
	global_load_b128 v[1:4], v[6:7], off offset:1536
	s_waitcnt vmcnt(0)
	v_lshrrev_b32_e32 v63, 16, v1
	v_lshrrev_b32_e32 v65, 16, v2
	;; [unrolled: 1-line block ×4, first 2 shown]
	s_and_saveexec_b32 s7, vcc_lo
	s_cbranch_execz .LBB157_169
; %bb.168:                              ;   in Loop: Header=BB157_33 Depth=1
	v_cmp_gt_i32_e64 s0, s15, v30
	s_delay_alu instid0(VALU_DEP_1) | instskip(SKIP_1) | instid1(VALU_DEP_1)
	v_cndmask_b32_e64 v1, 0, v1, s0
	v_cmp_gt_i32_e64 s0, s15, v37
	v_cndmask_b32_e64 v63, 0, v63, s0
	v_cmp_gt_i32_e64 s0, s15, v35
	s_delay_alu instid0(VALU_DEP_1) | instskip(SKIP_1) | instid1(VALU_DEP_1)
	v_cndmask_b32_e64 v2, 0, v2, s0
	v_cmp_gt_i32_e64 s0, s15, v34
	v_cndmask_b32_e64 v65, 0, v65, s0
	;; [unrolled: 5-line block ×4, first 2 shown]
.LBB157_169:                            ;   in Loop: Header=BB157_33 Depth=1
	s_or_b32 exec_lo, exec_lo, s7
	v_lshlrev_b32_e32 v1, 16, v1
	s_delay_alu instid0(VALU_DEP_1) | instskip(NEXT) | instid1(VALU_DEP_1)
	v_mul_f32_e32 v1, v38, v1
	v_and_b32_e32 v62, 0x7f800000, v1
	s_delay_alu instid0(VALU_DEP_1) | instskip(NEXT) | instid1(VALU_DEP_1)
	v_cmp_ne_u32_e64 s0, 0x7f800000, v62
                                        ; implicit-def: $vgpr62
	s_and_saveexec_b32 s7, s0
	s_delay_alu instid0(SALU_CYCLE_1)
	s_xor_b32 s0, exec_lo, s7
; %bb.170:                              ;   in Loop: Header=BB157_33 Depth=1
	v_bfe_u32 v62, v1, 16, 1
	s_delay_alu instid0(VALU_DEP_1)
	v_add3_u32 v62, v1, v62, 0x7fff
                                        ; implicit-def: $vgpr1
; %bb.171:                              ;   in Loop: Header=BB157_33 Depth=1
	s_and_not1_saveexec_b32 s7, s0
; %bb.172:                              ;   in Loop: Header=BB157_33 Depth=1
	v_and_b32_e32 v62, 0xffff, v1
	v_or_b32_e32 v64, 0x10000, v1
	s_delay_alu instid0(VALU_DEP_2) | instskip(NEXT) | instid1(VALU_DEP_1)
	v_cmp_eq_u32_e64 s0, 0, v62
	v_cndmask_b32_e64 v62, v64, v1, s0
; %bb.173:                              ;   in Loop: Header=BB157_33 Depth=1
	s_or_b32 exec_lo, exec_lo, s7
	v_lshlrev_b32_e32 v1, 16, v63
	s_delay_alu instid0(VALU_DEP_1) | instskip(NEXT) | instid1(VALU_DEP_1)
	v_mul_f32_e32 v1, v39, v1
	v_and_b32_e32 v63, 0x7f800000, v1
	s_delay_alu instid0(VALU_DEP_1) | instskip(NEXT) | instid1(VALU_DEP_1)
	v_cmp_ne_u32_e64 s0, 0x7f800000, v63
                                        ; implicit-def: $vgpr63
	s_and_saveexec_b32 s7, s0
	s_delay_alu instid0(SALU_CYCLE_1)
	s_xor_b32 s0, exec_lo, s7
; %bb.174:                              ;   in Loop: Header=BB157_33 Depth=1
	v_bfe_u32 v63, v1, 16, 1
	s_delay_alu instid0(VALU_DEP_1)
	v_add3_u32 v63, v1, v63, 0x7fff
                                        ; implicit-def: $vgpr1
; %bb.175:                              ;   in Loop: Header=BB157_33 Depth=1
	s_and_not1_saveexec_b32 s7, s0
; %bb.176:                              ;   in Loop: Header=BB157_33 Depth=1
	v_and_b32_e32 v63, 0xffff, v1
	v_or_b32_e32 v64, 0x10000, v1
	s_delay_alu instid0(VALU_DEP_2) | instskip(NEXT) | instid1(VALU_DEP_1)
	v_cmp_eq_u32_e64 s0, 0, v63
	v_cndmask_b32_e64 v63, v64, v1, s0
; %bb.177:                              ;   in Loop: Header=BB157_33 Depth=1
	s_or_b32 exec_lo, exec_lo, s7
	v_lshlrev_b32_e32 v1, 16, v2
                                        ; implicit-def: $vgpr64
	s_delay_alu instid0(VALU_DEP_1) | instskip(NEXT) | instid1(VALU_DEP_1)
	v_mul_f32_e32 v1, v40, v1
	v_and_b32_e32 v2, 0x7f800000, v1
	s_delay_alu instid0(VALU_DEP_1) | instskip(NEXT) | instid1(VALU_DEP_1)
	v_cmp_ne_u32_e64 s0, 0x7f800000, v2
	s_and_saveexec_b32 s7, s0
	s_delay_alu instid0(SALU_CYCLE_1)
	s_xor_b32 s0, exec_lo, s7
; %bb.178:                              ;   in Loop: Header=BB157_33 Depth=1
	v_bfe_u32 v2, v1, 16, 1
	s_delay_alu instid0(VALU_DEP_1)
	v_add3_u32 v64, v1, v2, 0x7fff
                                        ; implicit-def: $vgpr1
; %bb.179:                              ;   in Loop: Header=BB157_33 Depth=1
	s_and_not1_saveexec_b32 s7, s0
; %bb.180:                              ;   in Loop: Header=BB157_33 Depth=1
	v_and_b32_e32 v2, 0xffff, v1
	v_or_b32_e32 v64, 0x10000, v1
	s_delay_alu instid0(VALU_DEP_2) | instskip(NEXT) | instid1(VALU_DEP_1)
	v_cmp_eq_u32_e64 s0, 0, v2
	v_cndmask_b32_e64 v64, v64, v1, s0
; %bb.181:                              ;   in Loop: Header=BB157_33 Depth=1
	s_or_b32 exec_lo, exec_lo, s7
	v_lshlrev_b32_e32 v1, 16, v65
                                        ; implicit-def: $vgpr65
	s_delay_alu instid0(VALU_DEP_1) | instskip(NEXT) | instid1(VALU_DEP_1)
	v_mul_f32_e32 v1, v41, v1
	v_and_b32_e32 v2, 0x7f800000, v1
	s_delay_alu instid0(VALU_DEP_1) | instskip(NEXT) | instid1(VALU_DEP_1)
	v_cmp_ne_u32_e64 s0, 0x7f800000, v2
	s_and_saveexec_b32 s7, s0
	s_delay_alu instid0(SALU_CYCLE_1)
	s_xor_b32 s0, exec_lo, s7
; %bb.182:                              ;   in Loop: Header=BB157_33 Depth=1
	v_bfe_u32 v2, v1, 16, 1
	s_delay_alu instid0(VALU_DEP_1)
	v_add3_u32 v65, v1, v2, 0x7fff
                                        ; implicit-def: $vgpr1
; %bb.183:                              ;   in Loop: Header=BB157_33 Depth=1
	s_and_not1_saveexec_b32 s7, s0
; %bb.184:                              ;   in Loop: Header=BB157_33 Depth=1
	v_and_b32_e32 v2, 0xffff, v1
	v_or_b32_e32 v65, 0x10000, v1
	s_delay_alu instid0(VALU_DEP_2) | instskip(NEXT) | instid1(VALU_DEP_1)
	v_cmp_eq_u32_e64 s0, 0, v2
	v_cndmask_b32_e64 v65, v65, v1, s0
; %bb.185:                              ;   in Loop: Header=BB157_33 Depth=1
	s_or_b32 exec_lo, exec_lo, s7
	v_lshlrev_b32_e32 v1, 16, v3
                                        ; implicit-def: $vgpr66
	s_delay_alu instid0(VALU_DEP_1) | instskip(NEXT) | instid1(VALU_DEP_1)
	v_mul_f32_e32 v1, v42, v1
	v_and_b32_e32 v2, 0x7f800000, v1
	s_delay_alu instid0(VALU_DEP_1) | instskip(NEXT) | instid1(VALU_DEP_1)
	v_cmp_ne_u32_e64 s0, 0x7f800000, v2
	s_and_saveexec_b32 s7, s0
	s_delay_alu instid0(SALU_CYCLE_1)
	s_xor_b32 s0, exec_lo, s7
; %bb.186:                              ;   in Loop: Header=BB157_33 Depth=1
	v_bfe_u32 v2, v1, 16, 1
	s_delay_alu instid0(VALU_DEP_1)
	v_add3_u32 v66, v1, v2, 0x7fff
                                        ; implicit-def: $vgpr1
; %bb.187:                              ;   in Loop: Header=BB157_33 Depth=1
	s_and_not1_saveexec_b32 s7, s0
; %bb.188:                              ;   in Loop: Header=BB157_33 Depth=1
	v_and_b32_e32 v2, 0xffff, v1
	v_or_b32_e32 v3, 0x10000, v1
	s_delay_alu instid0(VALU_DEP_2) | instskip(NEXT) | instid1(VALU_DEP_1)
	v_cmp_eq_u32_e64 s0, 0, v2
	v_cndmask_b32_e64 v66, v3, v1, s0
; %bb.189:                              ;   in Loop: Header=BB157_33 Depth=1
	s_or_b32 exec_lo, exec_lo, s7
	v_lshlrev_b32_e32 v1, 16, v67
                                        ; implicit-def: $vgpr67
	s_delay_alu instid0(VALU_DEP_1) | instskip(NEXT) | instid1(VALU_DEP_1)
	v_mul_f32_e32 v1, v43, v1
	v_and_b32_e32 v2, 0x7f800000, v1
	s_delay_alu instid0(VALU_DEP_1) | instskip(NEXT) | instid1(VALU_DEP_1)
	v_cmp_ne_u32_e64 s0, 0x7f800000, v2
	s_and_saveexec_b32 s7, s0
	s_delay_alu instid0(SALU_CYCLE_1)
	s_xor_b32 s0, exec_lo, s7
; %bb.190:                              ;   in Loop: Header=BB157_33 Depth=1
	v_bfe_u32 v2, v1, 16, 1
	s_delay_alu instid0(VALU_DEP_1)
	v_add3_u32 v67, v1, v2, 0x7fff
                                        ; implicit-def: $vgpr1
; %bb.191:                              ;   in Loop: Header=BB157_33 Depth=1
	s_and_not1_saveexec_b32 s7, s0
; %bb.192:                              ;   in Loop: Header=BB157_33 Depth=1
	v_and_b32_e32 v2, 0xffff, v1
	v_or_b32_e32 v3, 0x10000, v1
	s_delay_alu instid0(VALU_DEP_2) | instskip(NEXT) | instid1(VALU_DEP_1)
	v_cmp_eq_u32_e64 s0, 0, v2
	v_cndmask_b32_e64 v67, v3, v1, s0
; %bb.193:                              ;   in Loop: Header=BB157_33 Depth=1
	s_or_b32 exec_lo, exec_lo, s7
	v_lshlrev_b32_e32 v1, 16, v4
                                        ; implicit-def: $vgpr68
	s_delay_alu instid0(VALU_DEP_1) | instskip(NEXT) | instid1(VALU_DEP_1)
	v_mul_f32_e32 v1, v44, v1
	v_and_b32_e32 v2, 0x7f800000, v1
	s_delay_alu instid0(VALU_DEP_1) | instskip(NEXT) | instid1(VALU_DEP_1)
	v_cmp_ne_u32_e64 s0, 0x7f800000, v2
	s_and_saveexec_b32 s7, s0
	s_delay_alu instid0(SALU_CYCLE_1)
	s_xor_b32 s0, exec_lo, s7
; %bb.194:                              ;   in Loop: Header=BB157_33 Depth=1
	v_bfe_u32 v2, v1, 16, 1
	s_delay_alu instid0(VALU_DEP_1)
	v_add3_u32 v68, v1, v2, 0x7fff
                                        ; implicit-def: $vgpr1
; %bb.195:                              ;   in Loop: Header=BB157_33 Depth=1
	s_and_not1_saveexec_b32 s7, s0
; %bb.196:                              ;   in Loop: Header=BB157_33 Depth=1
	v_and_b32_e32 v2, 0xffff, v1
	v_or_b32_e32 v3, 0x10000, v1
	s_delay_alu instid0(VALU_DEP_2) | instskip(NEXT) | instid1(VALU_DEP_1)
	v_cmp_eq_u32_e64 s0, 0, v2
	v_cndmask_b32_e64 v68, v3, v1, s0
; %bb.197:                              ;   in Loop: Header=BB157_33 Depth=1
	s_or_b32 exec_lo, exec_lo, s7
	v_lshlrev_b32_e32 v1, 16, v69
                                        ; implicit-def: $vgpr69
	s_delay_alu instid0(VALU_DEP_1) | instskip(NEXT) | instid1(VALU_DEP_1)
	v_mul_f32_e32 v1, v45, v1
	v_and_b32_e32 v2, 0x7f800000, v1
	s_delay_alu instid0(VALU_DEP_1) | instskip(NEXT) | instid1(VALU_DEP_1)
	v_cmp_ne_u32_e64 s0, 0x7f800000, v2
	s_and_saveexec_b32 s7, s0
	s_delay_alu instid0(SALU_CYCLE_1)
	s_xor_b32 s0, exec_lo, s7
; %bb.198:                              ;   in Loop: Header=BB157_33 Depth=1
	v_bfe_u32 v2, v1, 16, 1
	s_delay_alu instid0(VALU_DEP_1)
	v_add3_u32 v69, v1, v2, 0x7fff
                                        ; implicit-def: $vgpr1
; %bb.199:                              ;   in Loop: Header=BB157_33 Depth=1
	s_and_not1_saveexec_b32 s7, s0
; %bb.200:                              ;   in Loop: Header=BB157_33 Depth=1
	v_and_b32_e32 v2, 0xffff, v1
	v_or_b32_e32 v3, 0x10000, v1
	s_delay_alu instid0(VALU_DEP_2) | instskip(NEXT) | instid1(VALU_DEP_1)
	v_cmp_eq_u32_e64 s0, 0, v2
	v_cndmask_b32_e64 v69, v3, v1, s0
; %bb.201:                              ;   in Loop: Header=BB157_33 Depth=1
	s_or_b32 exec_lo, exec_lo, s7
	global_load_b128 v[1:4], v[6:7], off offset:2048
	s_waitcnt vmcnt(0)
	v_lshrrev_b32_e32 v71, 16, v1
	v_lshrrev_b32_e32 v73, 16, v2
	;; [unrolled: 1-line block ×4, first 2 shown]
	s_and_saveexec_b32 s7, vcc_lo
	s_cbranch_execz .LBB157_203
; %bb.202:                              ;   in Loop: Header=BB157_33 Depth=1
	v_cmp_gt_i32_e64 s0, s15, v30
	s_delay_alu instid0(VALU_DEP_1) | instskip(SKIP_1) | instid1(VALU_DEP_1)
	v_cndmask_b32_e64 v1, 0, v1, s0
	v_cmp_gt_i32_e64 s0, s15, v37
	v_cndmask_b32_e64 v71, 0, v71, s0
	v_cmp_gt_i32_e64 s0, s15, v35
	s_delay_alu instid0(VALU_DEP_1) | instskip(SKIP_1) | instid1(VALU_DEP_1)
	v_cndmask_b32_e64 v2, 0, v2, s0
	v_cmp_gt_i32_e64 s0, s15, v34
	v_cndmask_b32_e64 v73, 0, v73, s0
	;; [unrolled: 5-line block ×4, first 2 shown]
.LBB157_203:                            ;   in Loop: Header=BB157_33 Depth=1
	s_or_b32 exec_lo, exec_lo, s7
	v_lshlrev_b32_e32 v1, 16, v1
	s_delay_alu instid0(VALU_DEP_1) | instskip(NEXT) | instid1(VALU_DEP_1)
	v_mul_f32_e32 v1, v38, v1
	v_and_b32_e32 v70, 0x7f800000, v1
	s_delay_alu instid0(VALU_DEP_1) | instskip(NEXT) | instid1(VALU_DEP_1)
	v_cmp_ne_u32_e64 s0, 0x7f800000, v70
                                        ; implicit-def: $vgpr70
	s_and_saveexec_b32 s7, s0
	s_delay_alu instid0(SALU_CYCLE_1)
	s_xor_b32 s0, exec_lo, s7
; %bb.204:                              ;   in Loop: Header=BB157_33 Depth=1
	v_bfe_u32 v70, v1, 16, 1
	s_delay_alu instid0(VALU_DEP_1)
	v_add3_u32 v70, v1, v70, 0x7fff
                                        ; implicit-def: $vgpr1
; %bb.205:                              ;   in Loop: Header=BB157_33 Depth=1
	s_and_not1_saveexec_b32 s7, s0
; %bb.206:                              ;   in Loop: Header=BB157_33 Depth=1
	v_and_b32_e32 v70, 0xffff, v1
	v_or_b32_e32 v72, 0x10000, v1
	s_delay_alu instid0(VALU_DEP_2) | instskip(NEXT) | instid1(VALU_DEP_1)
	v_cmp_eq_u32_e64 s0, 0, v70
	v_cndmask_b32_e64 v70, v72, v1, s0
; %bb.207:                              ;   in Loop: Header=BB157_33 Depth=1
	s_or_b32 exec_lo, exec_lo, s7
	v_lshlrev_b32_e32 v1, 16, v71
	s_delay_alu instid0(VALU_DEP_1) | instskip(NEXT) | instid1(VALU_DEP_1)
	v_mul_f32_e32 v1, v39, v1
	v_and_b32_e32 v71, 0x7f800000, v1
	s_delay_alu instid0(VALU_DEP_1) | instskip(NEXT) | instid1(VALU_DEP_1)
	v_cmp_ne_u32_e64 s0, 0x7f800000, v71
                                        ; implicit-def: $vgpr71
	s_and_saveexec_b32 s7, s0
	s_delay_alu instid0(SALU_CYCLE_1)
	s_xor_b32 s0, exec_lo, s7
; %bb.208:                              ;   in Loop: Header=BB157_33 Depth=1
	v_bfe_u32 v71, v1, 16, 1
	s_delay_alu instid0(VALU_DEP_1)
	v_add3_u32 v71, v1, v71, 0x7fff
                                        ; implicit-def: $vgpr1
; %bb.209:                              ;   in Loop: Header=BB157_33 Depth=1
	s_and_not1_saveexec_b32 s7, s0
; %bb.210:                              ;   in Loop: Header=BB157_33 Depth=1
	v_and_b32_e32 v71, 0xffff, v1
	v_or_b32_e32 v72, 0x10000, v1
	s_delay_alu instid0(VALU_DEP_2) | instskip(NEXT) | instid1(VALU_DEP_1)
	v_cmp_eq_u32_e64 s0, 0, v71
	v_cndmask_b32_e64 v71, v72, v1, s0
; %bb.211:                              ;   in Loop: Header=BB157_33 Depth=1
	s_or_b32 exec_lo, exec_lo, s7
	v_lshlrev_b32_e32 v1, 16, v2
                                        ; implicit-def: $vgpr72
	s_delay_alu instid0(VALU_DEP_1) | instskip(NEXT) | instid1(VALU_DEP_1)
	v_mul_f32_e32 v1, v40, v1
	v_and_b32_e32 v2, 0x7f800000, v1
	s_delay_alu instid0(VALU_DEP_1) | instskip(NEXT) | instid1(VALU_DEP_1)
	v_cmp_ne_u32_e64 s0, 0x7f800000, v2
	s_and_saveexec_b32 s7, s0
	s_delay_alu instid0(SALU_CYCLE_1)
	s_xor_b32 s0, exec_lo, s7
; %bb.212:                              ;   in Loop: Header=BB157_33 Depth=1
	v_bfe_u32 v2, v1, 16, 1
	s_delay_alu instid0(VALU_DEP_1)
	v_add3_u32 v72, v1, v2, 0x7fff
                                        ; implicit-def: $vgpr1
; %bb.213:                              ;   in Loop: Header=BB157_33 Depth=1
	s_and_not1_saveexec_b32 s7, s0
; %bb.214:                              ;   in Loop: Header=BB157_33 Depth=1
	v_and_b32_e32 v2, 0xffff, v1
	v_or_b32_e32 v72, 0x10000, v1
	s_delay_alu instid0(VALU_DEP_2) | instskip(NEXT) | instid1(VALU_DEP_1)
	v_cmp_eq_u32_e64 s0, 0, v2
	v_cndmask_b32_e64 v72, v72, v1, s0
; %bb.215:                              ;   in Loop: Header=BB157_33 Depth=1
	s_or_b32 exec_lo, exec_lo, s7
	v_lshlrev_b32_e32 v1, 16, v73
                                        ; implicit-def: $vgpr73
	s_delay_alu instid0(VALU_DEP_1) | instskip(NEXT) | instid1(VALU_DEP_1)
	v_mul_f32_e32 v1, v41, v1
	v_and_b32_e32 v2, 0x7f800000, v1
	s_delay_alu instid0(VALU_DEP_1) | instskip(NEXT) | instid1(VALU_DEP_1)
	v_cmp_ne_u32_e64 s0, 0x7f800000, v2
	s_and_saveexec_b32 s7, s0
	s_delay_alu instid0(SALU_CYCLE_1)
	s_xor_b32 s0, exec_lo, s7
; %bb.216:                              ;   in Loop: Header=BB157_33 Depth=1
	v_bfe_u32 v2, v1, 16, 1
	s_delay_alu instid0(VALU_DEP_1)
	v_add3_u32 v73, v1, v2, 0x7fff
                                        ; implicit-def: $vgpr1
; %bb.217:                              ;   in Loop: Header=BB157_33 Depth=1
	s_and_not1_saveexec_b32 s7, s0
; %bb.218:                              ;   in Loop: Header=BB157_33 Depth=1
	v_and_b32_e32 v2, 0xffff, v1
	v_or_b32_e32 v73, 0x10000, v1
	s_delay_alu instid0(VALU_DEP_2) | instskip(NEXT) | instid1(VALU_DEP_1)
	v_cmp_eq_u32_e64 s0, 0, v2
	v_cndmask_b32_e64 v73, v73, v1, s0
; %bb.219:                              ;   in Loop: Header=BB157_33 Depth=1
	s_or_b32 exec_lo, exec_lo, s7
	v_lshlrev_b32_e32 v1, 16, v3
                                        ; implicit-def: $vgpr74
	s_delay_alu instid0(VALU_DEP_1) | instskip(NEXT) | instid1(VALU_DEP_1)
	v_mul_f32_e32 v1, v42, v1
	v_and_b32_e32 v2, 0x7f800000, v1
	s_delay_alu instid0(VALU_DEP_1) | instskip(NEXT) | instid1(VALU_DEP_1)
	v_cmp_ne_u32_e64 s0, 0x7f800000, v2
	s_and_saveexec_b32 s7, s0
	s_delay_alu instid0(SALU_CYCLE_1)
	s_xor_b32 s0, exec_lo, s7
; %bb.220:                              ;   in Loop: Header=BB157_33 Depth=1
	v_bfe_u32 v2, v1, 16, 1
	s_delay_alu instid0(VALU_DEP_1)
	v_add3_u32 v74, v1, v2, 0x7fff
                                        ; implicit-def: $vgpr1
; %bb.221:                              ;   in Loop: Header=BB157_33 Depth=1
	s_and_not1_saveexec_b32 s7, s0
; %bb.222:                              ;   in Loop: Header=BB157_33 Depth=1
	v_and_b32_e32 v2, 0xffff, v1
	v_or_b32_e32 v3, 0x10000, v1
	s_delay_alu instid0(VALU_DEP_2) | instskip(NEXT) | instid1(VALU_DEP_1)
	v_cmp_eq_u32_e64 s0, 0, v2
	v_cndmask_b32_e64 v74, v3, v1, s0
; %bb.223:                              ;   in Loop: Header=BB157_33 Depth=1
	s_or_b32 exec_lo, exec_lo, s7
	v_lshlrev_b32_e32 v1, 16, v75
                                        ; implicit-def: $vgpr75
	s_delay_alu instid0(VALU_DEP_1) | instskip(NEXT) | instid1(VALU_DEP_1)
	v_mul_f32_e32 v1, v43, v1
	v_and_b32_e32 v2, 0x7f800000, v1
	s_delay_alu instid0(VALU_DEP_1) | instskip(NEXT) | instid1(VALU_DEP_1)
	v_cmp_ne_u32_e64 s0, 0x7f800000, v2
	s_and_saveexec_b32 s7, s0
	s_delay_alu instid0(SALU_CYCLE_1)
	s_xor_b32 s0, exec_lo, s7
; %bb.224:                              ;   in Loop: Header=BB157_33 Depth=1
	v_bfe_u32 v2, v1, 16, 1
	s_delay_alu instid0(VALU_DEP_1)
	v_add3_u32 v75, v1, v2, 0x7fff
                                        ; implicit-def: $vgpr1
; %bb.225:                              ;   in Loop: Header=BB157_33 Depth=1
	s_and_not1_saveexec_b32 s7, s0
; %bb.226:                              ;   in Loop: Header=BB157_33 Depth=1
	v_and_b32_e32 v2, 0xffff, v1
	v_or_b32_e32 v3, 0x10000, v1
	s_delay_alu instid0(VALU_DEP_2) | instskip(NEXT) | instid1(VALU_DEP_1)
	v_cmp_eq_u32_e64 s0, 0, v2
	v_cndmask_b32_e64 v75, v3, v1, s0
; %bb.227:                              ;   in Loop: Header=BB157_33 Depth=1
	s_or_b32 exec_lo, exec_lo, s7
	v_lshlrev_b32_e32 v1, 16, v4
                                        ; implicit-def: $vgpr76
	s_delay_alu instid0(VALU_DEP_1) | instskip(NEXT) | instid1(VALU_DEP_1)
	v_mul_f32_e32 v1, v44, v1
	v_and_b32_e32 v2, 0x7f800000, v1
	s_delay_alu instid0(VALU_DEP_1) | instskip(NEXT) | instid1(VALU_DEP_1)
	v_cmp_ne_u32_e64 s0, 0x7f800000, v2
	s_and_saveexec_b32 s7, s0
	s_delay_alu instid0(SALU_CYCLE_1)
	s_xor_b32 s0, exec_lo, s7
; %bb.228:                              ;   in Loop: Header=BB157_33 Depth=1
	v_bfe_u32 v2, v1, 16, 1
	s_delay_alu instid0(VALU_DEP_1)
	v_add3_u32 v76, v1, v2, 0x7fff
                                        ; implicit-def: $vgpr1
; %bb.229:                              ;   in Loop: Header=BB157_33 Depth=1
	s_and_not1_saveexec_b32 s7, s0
; %bb.230:                              ;   in Loop: Header=BB157_33 Depth=1
	v_and_b32_e32 v2, 0xffff, v1
	v_or_b32_e32 v3, 0x10000, v1
	s_delay_alu instid0(VALU_DEP_2) | instskip(NEXT) | instid1(VALU_DEP_1)
	v_cmp_eq_u32_e64 s0, 0, v2
	v_cndmask_b32_e64 v76, v3, v1, s0
; %bb.231:                              ;   in Loop: Header=BB157_33 Depth=1
	s_or_b32 exec_lo, exec_lo, s7
	v_lshlrev_b32_e32 v1, 16, v77
                                        ; implicit-def: $vgpr77
	s_delay_alu instid0(VALU_DEP_1) | instskip(NEXT) | instid1(VALU_DEP_1)
	v_mul_f32_e32 v1, v45, v1
	v_and_b32_e32 v2, 0x7f800000, v1
	s_delay_alu instid0(VALU_DEP_1) | instskip(NEXT) | instid1(VALU_DEP_1)
	v_cmp_ne_u32_e64 s0, 0x7f800000, v2
	s_and_saveexec_b32 s7, s0
	s_delay_alu instid0(SALU_CYCLE_1)
	s_xor_b32 s0, exec_lo, s7
; %bb.232:                              ;   in Loop: Header=BB157_33 Depth=1
	v_bfe_u32 v2, v1, 16, 1
	s_delay_alu instid0(VALU_DEP_1)
	v_add3_u32 v77, v1, v2, 0x7fff
                                        ; implicit-def: $vgpr1
; %bb.233:                              ;   in Loop: Header=BB157_33 Depth=1
	s_and_not1_saveexec_b32 s7, s0
; %bb.234:                              ;   in Loop: Header=BB157_33 Depth=1
	v_and_b32_e32 v2, 0xffff, v1
	v_or_b32_e32 v3, 0x10000, v1
	s_delay_alu instid0(VALU_DEP_2) | instskip(NEXT) | instid1(VALU_DEP_1)
	v_cmp_eq_u32_e64 s0, 0, v2
	v_cndmask_b32_e64 v77, v3, v1, s0
; %bb.235:                              ;   in Loop: Header=BB157_33 Depth=1
	s_or_b32 exec_lo, exec_lo, s7
	global_load_b128 v[1:4], v[6:7], off offset:2560
	s_waitcnt vmcnt(0)
	v_lshrrev_b32_e32 v6, 16, v1
	v_lshrrev_b32_e32 v79, 16, v2
	;; [unrolled: 1-line block ×4, first 2 shown]
	s_and_saveexec_b32 s0, vcc_lo
	s_cbranch_execz .LBB157_237
; %bb.236:                              ;   in Loop: Header=BB157_33 Depth=1
	v_cmp_gt_i32_e32 vcc_lo, s15, v30
	v_cndmask_b32_e32 v1, 0, v1, vcc_lo
	v_cmp_gt_i32_e32 vcc_lo, s15, v37
	v_cndmask_b32_e32 v6, 0, v6, vcc_lo
	;; [unrolled: 2-line block ×8, first 2 shown]
.LBB157_237:                            ;   in Loop: Header=BB157_33 Depth=1
	s_or_b32 exec_lo, exec_lo, s0
	v_lshlrev_b32_e32 v1, 16, v1
	s_delay_alu instid0(VALU_DEP_1) | instskip(NEXT) | instid1(VALU_DEP_1)
	v_mul_f32_e32 v30, v38, v1
	v_and_b32_e32 v1, 0x7f800000, v30
	s_delay_alu instid0(VALU_DEP_1) | instskip(SKIP_1) | instid1(SALU_CYCLE_1)
	v_cmp_ne_u32_e32 vcc_lo, 0x7f800000, v1
                                        ; implicit-def: $vgpr1
	s_and_saveexec_b32 s0, vcc_lo
	s_xor_b32 s0, exec_lo, s0
; %bb.238:                              ;   in Loop: Header=BB157_33 Depth=1
	v_bfe_u32 v1, v30, 16, 1
	s_delay_alu instid0(VALU_DEP_1)
	v_add3_u32 v1, v30, v1, 0x7fff
                                        ; implicit-def: $vgpr30
; %bb.239:                              ;   in Loop: Header=BB157_33 Depth=1
	s_and_not1_saveexec_b32 s0, s0
; %bb.240:                              ;   in Loop: Header=BB157_33 Depth=1
	v_and_b32_e32 v1, 0xffff, v30
	v_or_b32_e32 v32, 0x10000, v30
	s_delay_alu instid0(VALU_DEP_2) | instskip(NEXT) | instid1(VALU_DEP_2)
	v_cmp_eq_u32_e32 vcc_lo, 0, v1
	v_cndmask_b32_e32 v1, v32, v30, vcc_lo
; %bb.241:                              ;   in Loop: Header=BB157_33 Depth=1
	s_or_b32 exec_lo, exec_lo, s0
	v_lshlrev_b32_e32 v6, 16, v6
	s_delay_alu instid0(VALU_DEP_1) | instskip(NEXT) | instid1(VALU_DEP_1)
	v_mul_f32_e32 v30, v39, v6
	v_and_b32_e32 v6, 0x7f800000, v30
	s_delay_alu instid0(VALU_DEP_1) | instskip(SKIP_1) | instid1(SALU_CYCLE_1)
	v_cmp_ne_u32_e32 vcc_lo, 0x7f800000, v6
                                        ; implicit-def: $vgpr6
	s_and_saveexec_b32 s0, vcc_lo
	s_xor_b32 s0, exec_lo, s0
; %bb.242:                              ;   in Loop: Header=BB157_33 Depth=1
	v_bfe_u32 v6, v30, 16, 1
	s_delay_alu instid0(VALU_DEP_1)
	v_add3_u32 v6, v30, v6, 0x7fff
                                        ; implicit-def: $vgpr30
; %bb.243:                              ;   in Loop: Header=BB157_33 Depth=1
	s_and_not1_saveexec_b32 s0, s0
; %bb.244:                              ;   in Loop: Header=BB157_33 Depth=1
	v_and_b32_e32 v6, 0xffff, v30
	v_or_b32_e32 v32, 0x10000, v30
	s_delay_alu instid0(VALU_DEP_2) | instskip(NEXT) | instid1(VALU_DEP_2)
	v_cmp_eq_u32_e32 vcc_lo, 0, v6
	v_cndmask_b32_e32 v6, v32, v30, vcc_lo
; %bb.245:                              ;   in Loop: Header=BB157_33 Depth=1
	s_or_b32 exec_lo, exec_lo, s0
	v_lshlrev_b32_e32 v2, 16, v2
	s_delay_alu instid0(VALU_DEP_1) | instskip(NEXT) | instid1(VALU_DEP_1)
	v_mul_f32_e32 v30, v40, v2
	v_and_b32_e32 v2, 0x7f800000, v30
	s_delay_alu instid0(VALU_DEP_1) | instskip(SKIP_1) | instid1(SALU_CYCLE_1)
	v_cmp_ne_u32_e32 vcc_lo, 0x7f800000, v2
                                        ; implicit-def: $vgpr2
	s_and_saveexec_b32 s0, vcc_lo
	s_xor_b32 s0, exec_lo, s0
; %bb.246:                              ;   in Loop: Header=BB157_33 Depth=1
	v_bfe_u32 v2, v30, 16, 1
	s_delay_alu instid0(VALU_DEP_1)
	v_add3_u32 v2, v30, v2, 0x7fff
                                        ; implicit-def: $vgpr30
; %bb.247:                              ;   in Loop: Header=BB157_33 Depth=1
	s_and_not1_saveexec_b32 s0, s0
; %bb.248:                              ;   in Loop: Header=BB157_33 Depth=1
	v_and_b32_e32 v2, 0xffff, v30
	v_or_b32_e32 v32, 0x10000, v30
	s_delay_alu instid0(VALU_DEP_2) | instskip(NEXT) | instid1(VALU_DEP_2)
	v_cmp_eq_u32_e32 vcc_lo, 0, v2
	v_cndmask_b32_e32 v2, v32, v30, vcc_lo
; %bb.249:                              ;   in Loop: Header=BB157_33 Depth=1
	s_or_b32 exec_lo, exec_lo, s0
	v_lshlrev_b32_e32 v30, 16, v79
	s_delay_alu instid0(VALU_DEP_1) | instskip(NEXT) | instid1(VALU_DEP_1)
	v_mul_f32_e32 v32, v41, v30
	v_and_b32_e32 v30, 0x7f800000, v32
	s_delay_alu instid0(VALU_DEP_1) | instskip(SKIP_1) | instid1(SALU_CYCLE_1)
	v_cmp_ne_u32_e32 vcc_lo, 0x7f800000, v30
                                        ; implicit-def: $vgpr30
	s_and_saveexec_b32 s0, vcc_lo
	s_xor_b32 s0, exec_lo, s0
; %bb.250:                              ;   in Loop: Header=BB157_33 Depth=1
	v_bfe_u32 v30, v32, 16, 1
	s_delay_alu instid0(VALU_DEP_1)
	v_add3_u32 v30, v32, v30, 0x7fff
                                        ; implicit-def: $vgpr32
; %bb.251:                              ;   in Loop: Header=BB157_33 Depth=1
	s_and_not1_saveexec_b32 s0, s0
; %bb.252:                              ;   in Loop: Header=BB157_33 Depth=1
	v_and_b32_e32 v30, 0xffff, v32
	v_or_b32_e32 v33, 0x10000, v32
	s_delay_alu instid0(VALU_DEP_2) | instskip(NEXT) | instid1(VALU_DEP_2)
	v_cmp_eq_u32_e32 vcc_lo, 0, v30
	v_cndmask_b32_e32 v30, v33, v32, vcc_lo
; %bb.253:                              ;   in Loop: Header=BB157_33 Depth=1
	s_or_b32 exec_lo, exec_lo, s0
	v_lshlrev_b32_e32 v3, 16, v3
	s_delay_alu instid0(VALU_DEP_1) | instskip(NEXT) | instid1(VALU_DEP_1)
	v_mul_f32_e32 v32, v42, v3
	v_and_b32_e32 v3, 0x7f800000, v32
	s_delay_alu instid0(VALU_DEP_1) | instskip(SKIP_1) | instid1(SALU_CYCLE_1)
	v_cmp_ne_u32_e32 vcc_lo, 0x7f800000, v3
                                        ; implicit-def: $vgpr3
	s_and_saveexec_b32 s0, vcc_lo
	s_xor_b32 s0, exec_lo, s0
; %bb.254:                              ;   in Loop: Header=BB157_33 Depth=1
	v_bfe_u32 v3, v32, 16, 1
	s_delay_alu instid0(VALU_DEP_1)
	v_add3_u32 v3, v32, v3, 0x7fff
                                        ; implicit-def: $vgpr32
; %bb.255:                              ;   in Loop: Header=BB157_33 Depth=1
	s_and_not1_saveexec_b32 s0, s0
; %bb.256:                              ;   in Loop: Header=BB157_33 Depth=1
	v_and_b32_e32 v3, 0xffff, v32
	v_or_b32_e32 v33, 0x10000, v32
	s_delay_alu instid0(VALU_DEP_2) | instskip(NEXT) | instid1(VALU_DEP_2)
	v_cmp_eq_u32_e32 vcc_lo, 0, v3
	v_cndmask_b32_e32 v3, v33, v32, vcc_lo
; %bb.257:                              ;   in Loop: Header=BB157_33 Depth=1
	s_or_b32 exec_lo, exec_lo, s0
	v_lshlrev_b32_e32 v32, 16, v78
	s_delay_alu instid0(VALU_DEP_1) | instskip(NEXT) | instid1(VALU_DEP_1)
	v_mul_f32_e32 v33, v43, v32
	v_and_b32_e32 v32, 0x7f800000, v33
	s_delay_alu instid0(VALU_DEP_1) | instskip(SKIP_1) | instid1(SALU_CYCLE_1)
	v_cmp_ne_u32_e32 vcc_lo, 0x7f800000, v32
                                        ; implicit-def: $vgpr32
	s_and_saveexec_b32 s0, vcc_lo
	s_xor_b32 s0, exec_lo, s0
; %bb.258:                              ;   in Loop: Header=BB157_33 Depth=1
	v_bfe_u32 v32, v33, 16, 1
	s_delay_alu instid0(VALU_DEP_1)
	v_add3_u32 v32, v33, v32, 0x7fff
                                        ; implicit-def: $vgpr33
; %bb.259:                              ;   in Loop: Header=BB157_33 Depth=1
	s_and_not1_saveexec_b32 s0, s0
; %bb.260:                              ;   in Loop: Header=BB157_33 Depth=1
	v_and_b32_e32 v32, 0xffff, v33
	v_or_b32_e32 v34, 0x10000, v33
	s_delay_alu instid0(VALU_DEP_2) | instskip(NEXT) | instid1(VALU_DEP_2)
	v_cmp_eq_u32_e32 vcc_lo, 0, v32
	v_cndmask_b32_e32 v32, v34, v33, vcc_lo
; %bb.261:                              ;   in Loop: Header=BB157_33 Depth=1
	s_or_b32 exec_lo, exec_lo, s0
	v_lshlrev_b32_e32 v4, 16, v4
	s_delay_alu instid0(VALU_DEP_1) | instskip(NEXT) | instid1(VALU_DEP_1)
	v_mul_f32_e32 v33, v44, v4
	v_and_b32_e32 v4, 0x7f800000, v33
	s_delay_alu instid0(VALU_DEP_1) | instskip(SKIP_1) | instid1(SALU_CYCLE_1)
	v_cmp_ne_u32_e32 vcc_lo, 0x7f800000, v4
                                        ; implicit-def: $vgpr4
	s_and_saveexec_b32 s0, vcc_lo
	s_xor_b32 s0, exec_lo, s0
; %bb.262:                              ;   in Loop: Header=BB157_33 Depth=1
	v_bfe_u32 v4, v33, 16, 1
	s_delay_alu instid0(VALU_DEP_1)
	v_add3_u32 v4, v33, v4, 0x7fff
                                        ; implicit-def: $vgpr33
; %bb.263:                              ;   in Loop: Header=BB157_33 Depth=1
	s_and_not1_saveexec_b32 s0, s0
; %bb.264:                              ;   in Loop: Header=BB157_33 Depth=1
	v_and_b32_e32 v4, 0xffff, v33
	v_or_b32_e32 v34, 0x10000, v33
	s_delay_alu instid0(VALU_DEP_2) | instskip(NEXT) | instid1(VALU_DEP_2)
	v_cmp_eq_u32_e32 vcc_lo, 0, v4
	v_cndmask_b32_e32 v4, v34, v33, vcc_lo
; %bb.265:                              ;   in Loop: Header=BB157_33 Depth=1
	s_or_b32 exec_lo, exec_lo, s0
	v_lshlrev_b32_e32 v7, 16, v7
	s_delay_alu instid0(VALU_DEP_1) | instskip(NEXT) | instid1(VALU_DEP_1)
	v_mul_f32_e32 v33, v45, v7
	v_and_b32_e32 v7, 0x7f800000, v33
	s_delay_alu instid0(VALU_DEP_1) | instskip(SKIP_1) | instid1(SALU_CYCLE_1)
	v_cmp_ne_u32_e32 vcc_lo, 0x7f800000, v7
                                        ; implicit-def: $vgpr7
	s_and_saveexec_b32 s0, vcc_lo
	s_xor_b32 s0, exec_lo, s0
; %bb.266:                              ;   in Loop: Header=BB157_33 Depth=1
	v_bfe_u32 v7, v33, 16, 1
	s_delay_alu instid0(VALU_DEP_1)
	v_add3_u32 v7, v33, v7, 0x7fff
                                        ; implicit-def: $vgpr33
; %bb.267:                              ;   in Loop: Header=BB157_33 Depth=1
	s_and_not1_saveexec_b32 s0, s0
	s_cbranch_execz .LBB157_32
; %bb.268:                              ;   in Loop: Header=BB157_33 Depth=1
	v_and_b32_e32 v7, 0xffff, v33
	v_or_b32_e32 v34, 0x10000, v33
	s_delay_alu instid0(VALU_DEP_2) | instskip(NEXT) | instid1(VALU_DEP_2)
	v_cmp_eq_u32_e32 vcc_lo, 0, v7
	v_cndmask_b32_e32 v7, v34, v33, vcc_lo
	s_branch .LBB157_32
.LBB157_269:
	s_or_b32 exec_lo, exec_lo, s3
.LBB157_270:
	s_delay_alu instid0(SALU_CYCLE_1)
	s_or_b32 exec_lo, exec_lo, s1
	s_movk_i32 s0, 0x300
	v_and_b32_e32 v2, 0x3c0, v0
	v_mad_u32_u24 v1, v14, s0, 0x1a0
	s_mov_b32 s0, exec_lo
	s_waitcnt_vscnt null, 0x0
	s_barrier
	buffer_gl0_inv
	v_cmpx_eq_u32_e32 64, v2
	s_cbranch_execz .LBB157_272
; %bb.271:
	v_add_nc_u32_e32 v2, 0xfffffa00, v1
	v_lshl_or_b32 v3, v0, 2, 0x180
	s_delay_alu instid0(VALU_DEP_2) | instskip(NEXT) | instid1(VALU_DEP_2)
	v_lshl_add_u32 v4, v15, 2, v2
	v_add_nc_u32_e32 v2, v2, v3
	ds_store_2addr_b32 v4, v20, v19 offset1:32
	ds_store_b32 v2, v17
	ds_store_2addr_stride64_b32 v4, v18, v16 offset0:1 offset1:2
	ds_store_b32 v4, v5 offset:640
.LBB157_272:
	s_or_b32 exec_lo, exec_lo, s0
	v_lshl_add_u32 v2, v15, 2, v1
	s_mov_b32 s0, exec_lo
	s_waitcnt lgkmcnt(0)
	s_barrier
	buffer_gl0_inv
	v_cmpx_gt_u32_e32 64, v0
	s_cbranch_execz .LBB157_274
; %bb.273:
	v_or_b32_e32 v3, 0x80, v13
	v_or_b32_e32 v4, 0x180, v13
	;; [unrolled: 1-line block ×3, first 2 shown]
	s_delay_alu instid0(VALU_DEP_3) | instskip(NEXT) | instid1(VALU_DEP_3)
	v_add_nc_u32_e32 v7, v1, v3
	v_add_nc_u32_e32 v8, v1, v4
	s_delay_alu instid0(VALU_DEP_3)
	v_add_nc_u32_e32 v6, v1, v6
	ds_load_2addr_stride64_b32 v[3:4], v2 offset1:1
	ds_load_b32 v9, v2 offset:512
	ds_load_b32 v7, v7
	ds_load_b32 v8, v8
	;; [unrolled: 1-line block ×3, first 2 shown]
	s_waitcnt lgkmcnt(4)
	v_add_f32_e32 v20, v20, v3
	v_add_f32_e32 v18, v18, v4
	s_waitcnt lgkmcnt(2)
	v_dual_add_f32 v16, v16, v9 :: v_dual_add_f32 v19, v19, v7
	s_waitcnt lgkmcnt(0)
	v_add_f32_e32 v5, v5, v6
	v_add_f32_e32 v17, v17, v8
.LBB157_274:
	s_or_b32 exec_lo, exec_lo, s0
	v_and_b32_e32 v3, 0x3e0, v0
	s_mov_b32 s0, exec_lo
	s_barrier
	buffer_gl0_inv
	v_cmpx_eq_u32_e32 32, v3
	s_cbranch_execz .LBB157_276
; %bb.275:
	v_add_nc_u32_e32 v3, 0xfffffd00, v1
	v_or_b32_e32 v4, 0x180, v13
	v_or_b32_e32 v6, 0x280, v13
	s_delay_alu instid0(VALU_DEP_3) | instskip(SKIP_1) | instid1(VALU_DEP_4)
	v_lshl_add_u32 v7, v15, 2, v3
	v_add_nc_u32_e32 v8, v3, v13
	v_add_nc_u32_e32 v4, v3, v4
	s_delay_alu instid0(VALU_DEP_4)
	v_add_nc_u32_e32 v3, v3, v6
	ds_store_b32 v7, v20
	ds_store_b32 v8, v19
	;; [unrolled: 1-line block ×3, first 2 shown]
	ds_store_2addr_stride64_b32 v7, v18, v16 offset0:1 offset1:2
	ds_store_b32 v3, v5
.LBB157_276:
	s_or_b32 exec_lo, exec_lo, s0
	v_cmp_gt_u32_e32 vcc_lo, 32, v0
	s_waitcnt lgkmcnt(0)
	s_barrier
	buffer_gl0_inv
	s_and_saveexec_b32 s0, vcc_lo
	s_cbranch_execz .LBB157_278
; %bb.277:
	v_lshl_add_u32 v6, v0, 2, v1
	ds_load_b32 v7, v2
	ds_load_2addr_b32 v[1:2], v6 offset0:32 offset1:64
	ds_load_2addr_b32 v[3:4], v6 offset0:96 offset1:128
	ds_load_b32 v6, v6 offset:640
	s_waitcnt lgkmcnt(2)
	v_dual_add_f32 v20, v20, v7 :: v_dual_add_f32 v19, v19, v1
	s_waitcnt lgkmcnt(1)
	v_dual_add_f32 v18, v18, v2 :: v_dual_add_f32 v17, v17, v3
	;; [unrolled: 2-line block ×3, first 2 shown]
.LBB157_278:
	s_or_b32 exec_lo, exec_lo, s0
	s_barrier
	buffer_gl0_inv
	s_and_saveexec_b32 s0, vcc_lo
	s_cbranch_execz .LBB157_304
; %bb.279:
	v_and_b32_e32 v1, 0x7f800000, v20
	s_delay_alu instid0(VALU_DEP_1) | instskip(SKIP_1) | instid1(SALU_CYCLE_1)
	v_cmp_ne_u32_e32 vcc_lo, 0x7f800000, v1
                                        ; implicit-def: $vgpr1
	s_and_saveexec_b32 s0, vcc_lo
	s_xor_b32 s0, exec_lo, s0
; %bb.280:
	v_bfe_u32 v1, v20, 16, 1
	s_delay_alu instid0(VALU_DEP_1)
	v_add3_u32 v1, v20, v1, 0x7fff
; %bb.281:
	s_and_not1_saveexec_b32 s0, s0
; %bb.282:
	v_and_b32_e32 v1, 0xffff, v20
	v_or_b32_e32 v2, 0x10000, v20
	s_delay_alu instid0(VALU_DEP_2) | instskip(NEXT) | instid1(VALU_DEP_2)
	v_cmp_eq_u32_e32 vcc_lo, 0, v1
	v_cndmask_b32_e32 v1, v2, v20, vcc_lo
; %bb.283:
	s_or_b32 exec_lo, exec_lo, s0
	s_mul_i32 s0, s6, 0xc0
	s_mul_i32 s2, s4, s16
	s_ashr_i32 s1, s0, 31
	v_lshlrev_b32_e32 v0, 1, v0
	s_lshl_b64 s[0:1], s[0:1], 1
	v_and_b32_e32 v2, 0x7f800000, v19
	s_add_u32 s4, s18, s0
	s_addc_u32 s5, s19, s1
	s_ashr_i32 s3, s2, 31
	s_delay_alu instid0(SALU_CYCLE_1) | instskip(SKIP_4) | instid1(SALU_CYCLE_1)
	s_lshl_b64 s[0:1], s[2:3], 1
	s_mul_i32 s2, s12, 0xc0
	s_add_u32 s4, s4, s0
	s_addc_u32 s5, s5, s1
	s_ashr_i32 s3, s2, 31
	s_lshl_b64 s[0:1], s[2:3], 1
	s_delay_alu instid0(SALU_CYCLE_1) | instskip(SKIP_2) | instid1(VALU_DEP_1)
	s_add_u32 s0, s4, s0
	s_addc_u32 s1, s5, s1
	v_add_co_u32 v6, s2, s0, v0
	v_add_co_ci_u32_e64 v7, null, s1, 0, s2
	global_store_d16_hi_b16 v0, v1, s[0:1]
	s_mov_b32 s0, exec_lo
                                        ; implicit-def: $vgpr0
	v_cmpx_ne_u32_e32 0x7f800000, v2
	s_xor_b32 s0, exec_lo, s0
; %bb.284:
	v_bfe_u32 v0, v19, 16, 1
	s_delay_alu instid0(VALU_DEP_1)
	v_add3_u32 v0, v19, v0, 0x7fff
; %bb.285:
	s_and_not1_saveexec_b32 s0, s0
; %bb.286:
	v_and_b32_e32 v0, 0xffff, v19
	v_or_b32_e32 v1, 0x10000, v19
	s_delay_alu instid0(VALU_DEP_2) | instskip(NEXT) | instid1(VALU_DEP_2)
	v_cmp_eq_u32_e32 vcc_lo, 0, v0
	v_cndmask_b32_e32 v0, v1, v19, vcc_lo
; %bb.287:
	s_or_b32 exec_lo, exec_lo, s0
	v_and_b32_e32 v1, 0x7f800000, v18
	s_mov_b32 s0, exec_lo
	global_store_d16_hi_b16 v[6:7], v0, off offset:64
                                        ; implicit-def: $vgpr0
	v_cmpx_ne_u32_e32 0x7f800000, v1
	s_xor_b32 s0, exec_lo, s0
; %bb.288:
	v_bfe_u32 v0, v18, 16, 1
	s_delay_alu instid0(VALU_DEP_1)
	v_add3_u32 v0, v18, v0, 0x7fff
; %bb.289:
	s_and_not1_saveexec_b32 s0, s0
; %bb.290:
	v_and_b32_e32 v0, 0xffff, v18
	v_or_b32_e32 v1, 0x10000, v18
	s_delay_alu instid0(VALU_DEP_2) | instskip(NEXT) | instid1(VALU_DEP_2)
	v_cmp_eq_u32_e32 vcc_lo, 0, v0
	v_cndmask_b32_e32 v0, v1, v18, vcc_lo
; %bb.291:
	s_or_b32 exec_lo, exec_lo, s0
	v_and_b32_e32 v1, 0x7f800000, v17
	s_mov_b32 s0, exec_lo
	global_store_d16_hi_b16 v[6:7], v0, off offset:128
	;; [unrolled: 20-line block ×4, first 2 shown]
                                        ; implicit-def: $vgpr8
	v_cmpx_ne_u32_e32 0x7f800000, v1
	s_xor_b32 s0, exec_lo, s0
; %bb.300:
	v_bfe_u32 v0, v5, 16, 1
	s_delay_alu instid0(VALU_DEP_1)
	v_add3_u32 v8, v5, v0, 0x7fff
                                        ; implicit-def: $vgpr0_vgpr1_vgpr2_vgpr3_vgpr4_vgpr5
; %bb.301:
	s_and_not1_saveexec_b32 s0, s0
; %bb.302:
	v_and_b32_e32 v0, 0xffff, v5
	v_or_b32_e32 v1, 0x10000, v5
	s_delay_alu instid0(VALU_DEP_2) | instskip(NEXT) | instid1(VALU_DEP_2)
	v_cmp_eq_u32_e32 vcc_lo, 0, v0
	v_cndmask_b32_e32 v8, v1, v5, vcc_lo
; %bb.303:
	s_or_b32 exec_lo, exec_lo, s0
	global_store_d16_hi_b16 v[6:7], v8, off offset:320
.LBB157_304:
	s_nop 0
	s_sendmsg sendmsg(MSG_DEALLOC_VGPRS)
	s_endpgm
	.section	.rodata,"a",@progbits
	.p2align	6, 0x0
	.amdhsa_kernel _ZN4vllm25paged_attention_v2_kernelI14__hip_bfloat16S1_Li192ELi8ELi128ELNS_18Fp8KVCacheDataTypeE0ELb0ELi512EEEvPfS3_PT_PKS4_PKT0_SA_ifPKiSC_iPKfiiiSE_SE_iiiii
		.amdhsa_group_segment_fixed_size 416
		.amdhsa_private_segment_fixed_size 0
		.amdhsa_kernarg_size 400
		.amdhsa_user_sgpr_count 13
		.amdhsa_user_sgpr_dispatch_ptr 0
		.amdhsa_user_sgpr_queue_ptr 0
		.amdhsa_user_sgpr_kernarg_segment_ptr 1
		.amdhsa_user_sgpr_dispatch_id 0
		.amdhsa_user_sgpr_private_segment_size 0
		.amdhsa_wavefront_size32 1
		.amdhsa_uses_dynamic_stack 0
		.amdhsa_enable_private_segment 0
		.amdhsa_system_sgpr_workgroup_id_x 1
		.amdhsa_system_sgpr_workgroup_id_y 1
		.amdhsa_system_sgpr_workgroup_id_z 1
		.amdhsa_system_sgpr_workgroup_info 0
		.amdhsa_system_vgpr_workitem_id 0
		.amdhsa_next_free_vgpr 93
		.amdhsa_next_free_sgpr 38
		.amdhsa_reserve_vcc 1
		.amdhsa_float_round_mode_32 0
		.amdhsa_float_round_mode_16_64 0
		.amdhsa_float_denorm_mode_32 3
		.amdhsa_float_denorm_mode_16_64 3
		.amdhsa_dx10_clamp 1
		.amdhsa_ieee_mode 1
		.amdhsa_fp16_overflow 0
		.amdhsa_workgroup_processor_mode 1
		.amdhsa_memory_ordered 1
		.amdhsa_forward_progress 0
		.amdhsa_shared_vgpr_count 0
		.amdhsa_exception_fp_ieee_invalid_op 0
		.amdhsa_exception_fp_denorm_src 0
		.amdhsa_exception_fp_ieee_div_zero 0
		.amdhsa_exception_fp_ieee_overflow 0
		.amdhsa_exception_fp_ieee_underflow 0
		.amdhsa_exception_fp_ieee_inexact 0
		.amdhsa_exception_int_div_zero 0
	.end_amdhsa_kernel
	.section	.text._ZN4vllm25paged_attention_v2_kernelI14__hip_bfloat16S1_Li192ELi8ELi128ELNS_18Fp8KVCacheDataTypeE0ELb0ELi512EEEvPfS3_PT_PKS4_PKT0_SA_ifPKiSC_iPKfiiiSE_SE_iiiii,"axG",@progbits,_ZN4vllm25paged_attention_v2_kernelI14__hip_bfloat16S1_Li192ELi8ELi128ELNS_18Fp8KVCacheDataTypeE0ELb0ELi512EEEvPfS3_PT_PKS4_PKT0_SA_ifPKiSC_iPKfiiiSE_SE_iiiii,comdat
.Lfunc_end157:
	.size	_ZN4vllm25paged_attention_v2_kernelI14__hip_bfloat16S1_Li192ELi8ELi128ELNS_18Fp8KVCacheDataTypeE0ELb0ELi512EEEvPfS3_PT_PKS4_PKT0_SA_ifPKiSC_iPKfiiiSE_SE_iiiii, .Lfunc_end157-_ZN4vllm25paged_attention_v2_kernelI14__hip_bfloat16S1_Li192ELi8ELi128ELNS_18Fp8KVCacheDataTypeE0ELb0ELi512EEEvPfS3_PT_PKS4_PKT0_SA_ifPKiSC_iPKfiiiSE_SE_iiiii
                                        ; -- End function
	.section	.AMDGPU.csdata,"",@progbits
; Kernel info:
; codeLenInByte = 12832
; NumSgprs: 40
; NumVgprs: 93
; ScratchSize: 0
; MemoryBound: 0
; FloatMode: 240
; IeeeMode: 1
; LDSByteSize: 416 bytes/workgroup (compile time only)
; SGPRBlocks: 4
; VGPRBlocks: 11
; NumSGPRsForWavesPerEU: 40
; NumVGPRsForWavesPerEU: 93
; Occupancy: 16
; WaveLimiterHint : 1
; COMPUTE_PGM_RSRC2:SCRATCH_EN: 0
; COMPUTE_PGM_RSRC2:USER_SGPR: 13
; COMPUTE_PGM_RSRC2:TRAP_HANDLER: 0
; COMPUTE_PGM_RSRC2:TGID_X_EN: 1
; COMPUTE_PGM_RSRC2:TGID_Y_EN: 1
; COMPUTE_PGM_RSRC2:TGID_Z_EN: 1
; COMPUTE_PGM_RSRC2:TIDIG_COMP_CNT: 0
	.section	.text._ZN4vllm25paged_attention_v2_kernelI14__hip_bfloat16S1_Li256ELi8ELi128ELNS_18Fp8KVCacheDataTypeE0ELb0ELi512EEEvPfS3_PT_PKS4_PKT0_SA_ifPKiSC_iPKfiiiSE_SE_iiiii,"axG",@progbits,_ZN4vllm25paged_attention_v2_kernelI14__hip_bfloat16S1_Li256ELi8ELi128ELNS_18Fp8KVCacheDataTypeE0ELb0ELi512EEEvPfS3_PT_PKS4_PKT0_SA_ifPKiSC_iPKfiiiSE_SE_iiiii,comdat
	.protected	_ZN4vllm25paged_attention_v2_kernelI14__hip_bfloat16S1_Li256ELi8ELi128ELNS_18Fp8KVCacheDataTypeE0ELb0ELi512EEEvPfS3_PT_PKS4_PKT0_SA_ifPKiSC_iPKfiiiSE_SE_iiiii ; -- Begin function _ZN4vllm25paged_attention_v2_kernelI14__hip_bfloat16S1_Li256ELi8ELi128ELNS_18Fp8KVCacheDataTypeE0ELb0ELi512EEEvPfS3_PT_PKS4_PKT0_SA_ifPKiSC_iPKfiiiSE_SE_iiiii
	.globl	_ZN4vllm25paged_attention_v2_kernelI14__hip_bfloat16S1_Li256ELi8ELi128ELNS_18Fp8KVCacheDataTypeE0ELb0ELi512EEEvPfS3_PT_PKS4_PKT0_SA_ifPKiSC_iPKfiiiSE_SE_iiiii
	.p2align	8
	.type	_ZN4vllm25paged_attention_v2_kernelI14__hip_bfloat16S1_Li256ELi8ELi128ELNS_18Fp8KVCacheDataTypeE0ELb0ELi512EEEvPfS3_PT_PKS4_PKT0_SA_ifPKiSC_iPKfiiiSE_SE_iiiii,@function
_ZN4vllm25paged_attention_v2_kernelI14__hip_bfloat16S1_Li256ELi8ELi128ELNS_18Fp8KVCacheDataTypeE0ELb0ELi512EEEvPfS3_PT_PKS4_PKT0_SA_ifPKiSC_iPKfiiiSE_SE_iiiii: ; @_ZN4vllm25paged_attention_v2_kernelI14__hip_bfloat16S1_Li256ELi8ELi128ELNS_18Fp8KVCacheDataTypeE0ELb0ELi512EEEvPfS3_PT_PKS4_PKT0_SA_ifPKiSC_iPKfiiiSE_SE_iiiii
; %bb.0:
	s_load_b64 s[2:3], s[0:1], 0x40
	s_mov_b32 s12, s15
	s_ashr_i32 s15, s14, 31
	s_delay_alu instid0(SALU_CYCLE_1)
	s_lshl_b64 s[4:5], s[14:15], 2
	s_waitcnt lgkmcnt(0)
	s_add_u32 s2, s2, s4
	s_addc_u32 s3, s3, s5
	s_lshl_b32 s33, s12, 9
	s_load_b32 s15, s[2:3], 0x0
	s_waitcnt lgkmcnt(0)
	s_cmp_ge_i32 s33, s15
	s_cbranch_scc1 .LBB158_380
; %bb.1:
	s_mov_b32 s20, s13
	s_clause 0x1
	s_load_b32 s13, s[0:1], 0x90
	s_load_b64 s[30:31], s[0:1], 0x30
	s_waitcnt lgkmcnt(0)
	s_abs_i32 s5, s13
	s_abs_i32 s2, s30
	s_delay_alu instid0(SALU_CYCLE_1) | instskip(SKIP_1) | instid1(VALU_DEP_1)
	v_cvt_f32_u32_e32 v1, s2
	s_sub_i32 s4, 0, s2
	v_rcp_iflag_f32_e32 v1, v1
	s_waitcnt_depctr 0xfff
	v_mul_f32_e32 v1, 0x4f7ffffe, v1
	s_delay_alu instid0(VALU_DEP_1) | instskip(NEXT) | instid1(VALU_DEP_1)
	v_cvt_u32_f32_e32 v1, v1
	v_readfirstlane_b32 s3, v1
	s_delay_alu instid0(VALU_DEP_1) | instskip(NEXT) | instid1(SALU_CYCLE_1)
	s_mul_i32 s4, s4, s3
	s_mul_hi_u32 s4, s3, s4
	s_delay_alu instid0(SALU_CYCLE_1)
	s_add_i32 s3, s3, s4
	s_xor_b32 s4, s13, s30
	s_mul_hi_u32 s3, s5, s3
	s_ashr_i32 s4, s4, 31
	s_mul_i32 s6, s3, s2
	s_mov_b32 s30, 0
	s_sub_i32 s5, s5, s6
	s_add_i32 s6, s3, 1
	s_sub_i32 s7, s5, s2
	s_cmp_ge_u32 s5, s2
	s_cselect_b32 s3, s6, s3
	s_cselect_b32 s5, s7, s5
	s_add_i32 s6, s3, 1
	s_cmp_ge_u32 s5, s2
	s_cselect_b32 s2, s6, s3
	s_abs_i32 s10, s20
	s_xor_b32 s2, s2, s4
	s_delay_alu instid0(SALU_CYCLE_1) | instskip(SKIP_2) | instid1(SALU_CYCLE_1)
	s_sub_i32 s11, s2, s4
	s_load_b64 s[2:3], s[0:1], 0x50
	s_abs_i32 s8, s11
	v_cvt_f32_u32_e32 v1, s8
	s_sub_i32 s5, 0, s8
	s_delay_alu instid0(VALU_DEP_1) | instskip(SKIP_2) | instid1(VALU_DEP_1)
	v_rcp_iflag_f32_e32 v1, v1
	s_waitcnt_depctr 0xfff
	v_mul_f32_e32 v1, 0x4f7ffffe, v1
	v_cvt_u32_f32_e32 v1, v1
	s_delay_alu instid0(VALU_DEP_1) | instskip(NEXT) | instid1(VALU_DEP_1)
	v_readfirstlane_b32 s4, v1
	s_mul_i32 s5, s5, s4
	s_delay_alu instid0(SALU_CYCLE_1) | instskip(NEXT) | instid1(SALU_CYCLE_1)
	s_mul_hi_u32 s5, s4, s5
	s_add_i32 s4, s4, s5
	s_waitcnt lgkmcnt(0)
	s_cmp_eq_u64 s[2:3], 0
	s_mul_hi_u32 s9, s10, s4
	s_cbranch_scc1 .LBB158_3
; %bb.2:
	s_ashr_i32 s21, s20, 31
	s_delay_alu instid0(SALU_CYCLE_1) | instskip(NEXT) | instid1(SALU_CYCLE_1)
	s_lshl_b64 s[4:5], s[20:21], 2
	s_add_u32 s2, s2, s4
	s_addc_u32 s3, s3, s5
	s_load_b32 s30, s[2:3], 0x0
.LBB158_3:
	s_load_b128 s[4:7], s[0:1], 0x58
	v_and_b32_e32 v1, 3, v0
	v_lshlrev_b32_e32 v14, 2, v0
	s_ashr_i32 s2, s20, 31
	s_ashr_i32 s3, s11, 31
	s_lshl_b32 s16, s20, 8
	s_waitcnt lgkmcnt(0)
	s_mov_b32 s7, exec_lo
	v_cmpx_gt_u32_e32 0x80, v0
	s_cbranch_execz .LBB158_5
; %bb.4:
	s_load_b64 s[18:19], s[0:1], 0x18
	s_mul_i32 s22, s14, s4
	v_and_b32_e32 v3, 0x3fc, v0
	s_ashr_i32 s23, s22, 31
	s_delay_alu instid0(SALU_CYCLE_1) | instskip(NEXT) | instid1(VALU_DEP_1)
	s_lshl_b64 s[22:23], s[22:23], 1
	v_lshl_add_u32 v3, v1, 7, v3
	s_waitcnt lgkmcnt(0)
	s_add_u32 s4, s18, s22
	s_addc_u32 s11, s19, s23
	s_ashr_i32 s17, s16, 31
	s_delay_alu instid0(SALU_CYCLE_1) | instskip(NEXT) | instid1(SALU_CYCLE_1)
	s_lshl_b64 s[18:19], s[16:17], 1
	s_add_u32 s18, s4, s18
	s_addc_u32 s19, s11, s19
	global_load_b32 v2, v14, s[18:19]
	s_waitcnt vmcnt(0)
	ds_store_b32 v3, v2
.LBB158_5:
	s_or_b32 exec_lo, exec_lo, s7
	s_add_i32 s4, s15, 7
	s_lshl_b32 s7, s12, 6
	s_ashr_i32 s11, s4, 31
	s_xor_b32 s2, s2, s3
	s_lshr_b32 s11, s11, 29
	s_add_i32 s3, s7, 64
	s_add_i32 s4, s4, s11
	s_clause 0x1
	s_load_b64 s[22:23], s[0:1], 0x38
	s_load_b32 s11, s[0:1], 0x48
	s_ashr_i32 s21, s4, 3
	s_mul_i32 s4, s9, s8
	s_min_i32 s17, s3, s21
	s_sub_i32 s3, s10, s4
	s_add_i32 s4, s9, 1
	s_sub_i32 s10, s3, s8
	s_cmp_ge_u32 s3, s8
	v_lshrrev_b32_e32 v15, 5, v0
	s_cselect_b32 s4, s4, s9
	s_cselect_b32 s3, s10, s3
	s_add_i32 s9, s4, 1
	s_cmp_ge_u32 s3, s8
	v_or_b32_e32 v5, s7, v15
	s_cselect_b32 s3, s9, s4
	v_mbcnt_lo_u32_b32 v4, -1, 0
	s_xor_b32 s3, s3, s2
	s_mov_b32 s4, exec_lo
	s_sub_i32 s3, s3, s2
	v_cmp_gt_i32_e64 s2, s17, v5
	s_waitcnt lgkmcnt(0)
	s_mul_i32 s24, s14, s11
	s_delay_alu instid0(SALU_CYCLE_1)
	s_ashr_i32 s25, s24, 31
	s_barrier
	buffer_gl0_inv
                                        ; implicit-def: $sgpr28
                                        ; implicit-def: $vgpr7
	v_cmpx_le_i32_e64 s17, v5
	s_xor_b32 s4, exec_lo, s4
; %bb.6:
	v_mbcnt_lo_u32_b32 v4, -1, 0
	v_mov_b32_e32 v7, 32
	s_mov_b32 s28, 0xff7fffff
                                        ; implicit-def: $vgpr1
; %bb.7:
	s_or_saveexec_b32 s34, s4
	s_clause 0x3
	s_load_b128 s[8:11], s[0:1], 0x0
	s_load_b64 s[18:19], s[0:1], 0x10
	s_load_b64 s[26:27], s[0:1], 0x28
	s_load_b32 s4, s[0:1], 0x98
	v_dual_mov_b32 v66, s28 :: v_dual_lshlrev_b32 v3, 3, v15
	v_ashrrev_i32_e32 v6, 31, v5
	s_mul_i32 s28, s3, s6
	s_xor_b32 exec_lo, exec_lo, s34
	s_cbranch_execz .LBB158_13
; %bb.8:
	s_load_b64 s[0:1], s[0:1], 0x20
	v_xor_b32_e32 v60, 1, v4
	v_lshlrev_b32_e32 v2, 7, v1
	v_bfe_u32 v66, v0, 2, 3
	s_ashr_i32 s29, s28, 31
	v_and_b32_e32 v7, 12, v14
	s_lshl_b64 s[36:37], s[28:29], 1
	ds_load_b128 v[16:19], v2
	v_lshlrev_b32_e32 v8, 4, v66
	ds_load_b128 v[24:27], v2 offset:16
	ds_load_b128 v[32:35], v2 offset:32
	;; [unrolled: 1-line block ×7, first 2 shown]
	v_add3_u32 v79, s33, v3, v66
	s_mov_b32 s35, s5
	s_mov_b32 s29, 0
	v_mov_b32_e32 v81, v5
	s_waitcnt lgkmcnt(0)
	s_add_u32 s0, s0, s36
	s_addc_u32 s1, s1, s37
	v_add_co_u32 v20, s0, s0, v8
	s_delay_alu instid0(VALU_DEP_1)
	v_add_co_ci_u32_e64 v21, null, s1, 0, s0
	s_lshl_b64 s[36:37], s[24:25], 2
	v_lshlrev_b32_e32 v12, 16, v18
	v_and_b32_e32 v13, 0xffff0000, v18
	v_add_co_u32 v18, vcc_lo, v20, v7
	v_xor_b32_e32 v7, 2, v4
	v_lshlrev_b32_e32 v8, 16, v16
	v_and_b32_e32 v9, 0xffff0000, v16
	v_lshlrev_b32_e32 v10, 16, v17
	v_and_b32_e32 v11, 0xffff0000, v17
	;; [unrolled: 2-line block ×3, first 2 shown]
	v_add_co_ci_u32_e32 v19, vcc_lo, 0, v21, vcc_lo
	v_cmp_gt_i32_e32 vcc_lo, 32, v7
	s_sub_i32 s6, 1, s15
	s_add_u32 s1, s22, s36
	s_addc_u32 s3, s23, s37
	v_lshlrev_b32_e32 v20, 16, v24
	v_cndmask_b32_e32 v2, v4, v7, vcc_lo
	v_cmp_gt_i32_e32 vcc_lo, 32, v60
	v_and_b32_e32 v21, 0xffff0000, v24
	v_lshlrev_b32_e32 v22, 16, v25
	v_and_b32_e32 v23, 0xffff0000, v25
	v_dual_cndmask_b32 v63, v4, v60 :: v_dual_lshlrev_b32 v62, 2, v2
	v_cmp_eq_u32_e32 vcc_lo, 0, v1
	v_lshlrev_b32_e32 v1, 2, v66
	v_lshlrev_b32_e32 v24, 16, v26
	v_and_b32_e32 v25, 0xffff0000, v26
	v_lshlrev_b32_e32 v26, 16, v27
	v_and_b32_e32 v27, 0xffff0000, v27
	v_lshl_or_b32 v80, v15, 5, v1
	v_lshlrev_b64 v[1:2], 2, v[5:6]
	v_lshlrev_b32_e32 v28, 16, v32
	v_and_b32_e32 v29, 0xffff0000, v32
	v_lshlrev_b32_e32 v30, 16, v33
	v_and_b32_e32 v31, 0xffff0000, v33
	v_lshlrev_b32_e32 v32, 16, v34
	v_add_co_u32 v1, s1, s1, v1
	v_and_b32_e32 v33, 0xffff0000, v34
	v_lshlrev_b32_e32 v34, 16, v35
	v_and_b32_e32 v35, 0xffff0000, v35
	v_lshlrev_b32_e32 v36, 16, v40
	;; [unrolled: 2-line block ×14, first 2 shown]
	v_and_b32_e32 v61, 0xffff0000, v67
	v_mov_b32_e32 v7, 32
	v_lshlrev_b32_e32 v63, 2, v63
	v_cmp_neq_f32_e64 s0, s30, 0
	v_lshlrev_b32_e32 v64, 16, v68
	v_and_b32_e32 v65, 0xffff0000, v68
	v_lshlrev_b32_e32 v67, 16, v69
	v_and_b32_e32 v68, 0xffff0000, v69
	;; [unrolled: 2-line block ×7, first 2 shown]
	v_add_nc_u32_e32 v80, 0x220, v80
	v_add_co_ci_u32_e64 v2, s1, s3, v2, s1
	v_mov_b32_e32 v66, 0xff7fffff
	s_branch .LBB158_10
.LBB158_9:                              ;   in Loop: Header=BB158_10 Depth=1
	s_or_b32 exec_lo, exec_lo, s3
	v_add_nc_u32_e32 v81, 4, v81
	v_add_co_u32 v1, s3, v1, 16
	v_add_nc_u32_e32 v79, 32, v79
	v_add_nc_u32_e32 v80, 0x80, v80
	s_delay_alu instid0(VALU_DEP_4) | instskip(SKIP_1) | instid1(VALU_DEP_2)
	v_cmp_le_i32_e64 s1, s17, v81
	v_add_co_ci_u32_e64 v2, s3, 0, v2, s3
	s_or_b32 s29, s1, s29
	s_delay_alu instid0(SALU_CYCLE_1)
	s_and_not1_b32 exec_lo, exec_lo, s29
	s_cbranch_execz .LBB158_12
.LBB158_10:                             ; =>This Inner Loop Header: Depth=1
	global_load_b32 v84, v[1:2], off
	s_waitcnt vmcnt(0) lgkmcnt(0)
	v_mad_i64_i32 v[82:83], null, v84, s35, 0
	s_delay_alu instid0(VALU_DEP_1) | instskip(NEXT) | instid1(VALU_DEP_1)
	v_lshlrev_b64 v[82:83], 1, v[82:83]
	v_add_co_u32 v82, s1, v18, v82
	s_delay_alu instid0(VALU_DEP_1)
	v_add_co_ci_u32_e64 v83, s1, v19, v83, s1
	s_clause 0x1f
	global_load_b32 v84, v[82:83], off offset:128
	global_load_b32 v85, v[82:83], off offset:256
	global_load_b32 v86, v[82:83], off offset:384
	global_load_b32 v87, v[82:83], off offset:512
	global_load_b32 v88, v[82:83], off offset:640
	global_load_b32 v89, v[82:83], off offset:768
	global_load_b32 v90, v[82:83], off offset:896
	global_load_b32 v91, v[82:83], off
	global_load_b32 v92, v[82:83], off offset:1024
	global_load_b32 v93, v[82:83], off offset:1152
	;; [unrolled: 1-line block ×24, first 2 shown]
	s_waitcnt vmcnt(24)
	v_lshlrev_b32_e32 v115, 16, v91
	v_lshlrev_b32_e32 v116, 16, v85
	v_and_b32_e32 v85, 0xffff0000, v85
	v_and_b32_e32 v91, 0xffff0000, v91
	v_lshlrev_b32_e32 v83, 16, v84
	v_and_b32_e32 v84, 0xffff0000, v84
	s_delay_alu instid0(VALU_DEP_1) | instskip(NEXT) | instid1(VALU_DEP_1)
	v_mul_f32_e32 v84, v11, v84
	v_fmac_f32_e32 v84, v9, v91
	s_delay_alu instid0(VALU_DEP_1) | instskip(NEXT) | instid1(VALU_DEP_1)
	v_dual_mul_f32 v83, v10, v83 :: v_dual_fmac_f32 v84, v13, v85
	v_fmac_f32_e32 v83, v8, v115
	v_lshlrev_b32_e32 v85, 16, v87
	v_and_b32_e32 v87, 0xffff0000, v87
	v_lshlrev_b32_e32 v91, 16, v86
	s_delay_alu instid0(VALU_DEP_4) | instskip(NEXT) | instid1(VALU_DEP_1)
	v_dual_fmac_f32 v83, v12, v116 :: v_dual_and_b32 v86, 0xffff0000, v86
	v_fmac_f32_e32 v84, v17, v86
	v_lshlrev_b32_e32 v86, 16, v88
	s_delay_alu instid0(VALU_DEP_2) | instskip(NEXT) | instid1(VALU_DEP_4)
	v_fmac_f32_e32 v84, v21, v87
	v_dual_fmac_f32 v83, v16, v91 :: v_dual_and_b32 v88, 0xffff0000, v88
	s_delay_alu instid0(VALU_DEP_1) | instskip(NEXT) | instid1(VALU_DEP_2)
	v_dual_fmac_f32 v84, v23, v88 :: v_dual_and_b32 v87, 0xffff0000, v89
	v_fmac_f32_e32 v83, v20, v85
	s_delay_alu instid0(VALU_DEP_2) | instskip(NEXT) | instid1(VALU_DEP_2)
	v_dual_fmac_f32 v84, v25, v87 :: v_dual_lshlrev_b32 v85, 16, v89
	v_fmac_f32_e32 v83, v22, v86
	v_lshlrev_b32_e32 v86, 16, v90
	s_waitcnt vmcnt(23)
	v_and_b32_e32 v87, 0xffff0000, v92
	s_delay_alu instid0(VALU_DEP_3) | instskip(SKIP_1) | instid1(VALU_DEP_2)
	v_fmac_f32_e32 v83, v24, v85
	v_lshlrev_b32_e32 v85, 16, v92
	v_fmac_f32_e32 v83, v26, v86
	v_and_b32_e32 v88, 0xffff0000, v90
	s_waitcnt vmcnt(22)
	v_lshlrev_b32_e32 v86, 16, v93
	s_delay_alu instid0(VALU_DEP_2) | instskip(NEXT) | instid1(VALU_DEP_1)
	v_dual_fmac_f32 v83, v28, v85 :: v_dual_fmac_f32 v84, v27, v88
	v_dual_fmac_f32 v83, v30, v86 :: v_dual_and_b32 v88, 0xffff0000, v93
	s_waitcnt vmcnt(20)
	v_lshlrev_b32_e32 v86, 16, v95
	s_delay_alu instid0(VALU_DEP_3) | instskip(NEXT) | instid1(VALU_DEP_1)
	v_fmac_f32_e32 v84, v29, v87
	v_fmac_f32_e32 v84, v31, v88
	v_and_b32_e32 v88, 0xffff0000, v95
	v_and_b32_e32 v87, 0xffff0000, v94
	s_delay_alu instid0(VALU_DEP_1) | instskip(NEXT) | instid1(VALU_DEP_1)
	v_dual_fmac_f32 v84, v33, v87 :: v_dual_lshlrev_b32 v85, 16, v94
	v_fmac_f32_e32 v83, v32, v85
	s_waitcnt vmcnt(19)
	v_and_b32_e32 v87, 0xffff0000, v96
	s_delay_alu instid0(VALU_DEP_3) | instskip(SKIP_3) | instid1(VALU_DEP_1)
	v_fmac_f32_e32 v84, v35, v88
	v_lshlrev_b32_e32 v85, 16, v96
	s_waitcnt vmcnt(18)
	v_dual_fmac_f32 v83, v34, v86 :: v_dual_lshlrev_b32 v86, 16, v97
	v_dual_fmac_f32 v84, v37, v87 :: v_dual_fmac_f32 v83, v36, v85
	s_delay_alu instid0(VALU_DEP_1) | instskip(NEXT) | instid1(VALU_DEP_1)
	v_dual_fmac_f32 v83, v38, v86 :: v_dual_and_b32 v88, 0xffff0000, v97
	v_fmac_f32_e32 v84, v39, v88
	s_waitcnt vmcnt(16)
	v_and_b32_e32 v88, 0xffff0000, v99
	v_and_b32_e32 v87, 0xffff0000, v98
	s_delay_alu instid0(VALU_DEP_1) | instskip(NEXT) | instid1(VALU_DEP_1)
	v_dual_fmac_f32 v84, v41, v87 :: v_dual_lshlrev_b32 v85, 16, v98
	v_dual_fmac_f32 v83, v40, v85 :: v_dual_lshlrev_b32 v86, 16, v99
	s_waitcnt vmcnt(15)
	v_and_b32_e32 v87, 0xffff0000, v100
	s_delay_alu instid0(VALU_DEP_2) | instskip(SKIP_3) | instid1(VALU_DEP_2)
	v_dual_fmac_f32 v83, v42, v86 :: v_dual_fmac_f32 v84, v43, v88
	v_lshlrev_b32_e32 v85, 16, v100
	s_waitcnt vmcnt(14)
	v_lshlrev_b32_e32 v86, 16, v101
	v_dual_fmac_f32 v84, v45, v87 :: v_dual_fmac_f32 v83, v44, v85
	s_delay_alu instid0(VALU_DEP_1) | instskip(NEXT) | instid1(VALU_DEP_1)
	v_dual_fmac_f32 v83, v46, v86 :: v_dual_and_b32 v88, 0xffff0000, v101
	v_fmac_f32_e32 v84, v47, v88
	s_waitcnt vmcnt(12)
	v_and_b32_e32 v88, 0xffff0000, v103
	v_and_b32_e32 v87, 0xffff0000, v102
	s_delay_alu instid0(VALU_DEP_1) | instskip(NEXT) | instid1(VALU_DEP_1)
	v_dual_fmac_f32 v84, v49, v87 :: v_dual_lshlrev_b32 v85, 16, v102
	v_dual_fmac_f32 v83, v48, v85 :: v_dual_lshlrev_b32 v86, 16, v103
	s_waitcnt vmcnt(11)
	v_and_b32_e32 v87, 0xffff0000, v104
	s_delay_alu instid0(VALU_DEP_2) | instskip(SKIP_3) | instid1(VALU_DEP_2)
	v_dual_fmac_f32 v83, v50, v86 :: v_dual_fmac_f32 v84, v51, v88
	v_lshlrev_b32_e32 v85, 16, v104
	s_waitcnt vmcnt(10)
	v_lshlrev_b32_e32 v86, 16, v105
	;; [unrolled: 17-line block ×4, first 2 shown]
	v_dual_fmac_f32 v84, v72, v87 :: v_dual_fmac_f32 v83, v71, v85
	v_and_b32_e32 v88, 0xffff0000, v113
	s_waitcnt vmcnt(1)
	v_and_b32_e32 v87, 0xffff0000, v114
	s_delay_alu instid0(VALU_DEP_2) | instskip(NEXT) | instid1(VALU_DEP_1)
	v_dual_fmac_f32 v83, v73, v86 :: v_dual_fmac_f32 v84, v74, v88
	v_dual_fmac_f32 v84, v76, v87 :: v_dual_lshlrev_b32 v85, 16, v114
	s_waitcnt vmcnt(0)
	s_delay_alu instid0(VALU_DEP_1) | instskip(SKIP_1) | instid1(VALU_DEP_2)
	v_dual_fmac_f32 v83, v75, v85 :: v_dual_lshlrev_b32 v86, 16, v82
	v_and_b32_e32 v82, 0xffff0000, v82
	v_fmac_f32_e32 v83, v77, v86
	s_delay_alu instid0(VALU_DEP_2) | instskip(NEXT) | instid1(VALU_DEP_1)
	v_fmac_f32_e32 v84, v78, v82
	v_add_f32_e32 v82, v83, v84
	ds_bpermute_b32 v83, v62, v82
	s_waitcnt lgkmcnt(0)
	v_add_f32_e32 v82, v82, v83
	ds_bpermute_b32 v83, v63, v82
	s_and_saveexec_b32 s3, vcc_lo
	s_cbranch_execz .LBB158_9
; %bb.11:                               ;   in Loop: Header=BB158_10 Depth=1
	s_waitcnt lgkmcnt(0)
	v_add_f32_e32 v82, v82, v83
	v_add_nc_u32_e32 v84, s6, v79
	v_cmp_gt_i32_e64 s1, s15, v79
	s_delay_alu instid0(VALU_DEP_2) | instskip(NEXT) | instid1(VALU_DEP_1)
	v_cvt_f32_i32_e32 v84, v84
	v_mul_f32_e32 v84, s30, v84
	s_delay_alu instid0(VALU_DEP_1) | instskip(SKIP_1) | instid1(VALU_DEP_2)
	v_cndmask_b32_e64 v83, 0, v84, s0
	v_max_f32_e32 v84, v66, v66
	v_fmac_f32_e32 v83, s31, v82
	s_delay_alu instid0(VALU_DEP_1) | instskip(SKIP_1) | instid1(VALU_DEP_2)
	v_max_f32_e32 v82, v84, v83
	v_cndmask_b32_e64 v83, 0, v83, s1
	v_cndmask_b32_e64 v66, v66, v82, s1
	ds_store_b32 v80, v83
	s_branch .LBB158_9
.LBB158_12:
	s_or_b32 exec_lo, exec_lo, s29
.LBB158_13:
	s_delay_alu instid0(SALU_CYCLE_1)
	s_or_b32 exec_lo, exec_lo, s34
	v_xor_b32_e32 v1, 16, v4
	v_xor_b32_e32 v8, 8, v4
	;; [unrolled: 1-line block ×3, first 2 shown]
	v_and_b32_e32 v17, 31, v0
	v_max_f32_e32 v9, v66, v66
	v_cmp_lt_i32_e32 vcc_lo, v1, v7
	v_cndmask_b32_e32 v1, v4, v1, vcc_lo
	v_cmp_lt_i32_e32 vcc_lo, v8, v7
	v_cndmask_b32_e32 v8, v4, v8, vcc_lo
	v_cmp_lt_i32_e32 vcc_lo, v10, v7
	s_delay_alu instid0(VALU_DEP_2)
	v_lshlrev_b32_e32 v8, 2, v8
	v_lshlrev_b32_e32 v2, 2, v1
	v_cndmask_b32_e32 v10, v4, v10, vcc_lo
	v_cmp_eq_u32_e32 vcc_lo, 0, v17
	ds_bpermute_b32 v1, v2, v66
	v_lshlrev_b32_e32 v11, 2, v10
	s_waitcnt lgkmcnt(0)
	v_max_f32_e32 v1, v1, v1
	s_delay_alu instid0(VALU_DEP_1) | instskip(SKIP_3) | instid1(VALU_DEP_1)
	v_max_f32_e32 v1, v9, v1
	ds_bpermute_b32 v9, v8, v1
	s_waitcnt lgkmcnt(0)
	v_max_f32_e32 v9, v9, v9
	v_max_f32_e32 v1, v1, v9
	v_lshlrev_b32_e32 v9, 2, v15
	ds_bpermute_b32 v10, v11, v1
	s_and_saveexec_b32 s0, vcc_lo
	s_cbranch_execz .LBB158_15
; %bb.14:
	s_waitcnt lgkmcnt(0)
	v_dual_max_f32 v10, v10, v10 :: v_dual_max_f32 v1, v1, v1
	s_delay_alu instid0(VALU_DEP_1)
	v_max_f32_e32 v1, v1, v10
	ds_store_b32 v9, v1 offset:512
.LBB158_15:
	s_or_b32 exec_lo, exec_lo, s0
	v_cmp_gt_u32_e64 s0, 4, v17
	s_waitcnt lgkmcnt(0)
	v_dual_mov_b32 v1, 0xff7fffff :: v_dual_lshlrev_b32 v10, 2, v17
	s_barrier
	buffer_gl0_inv
	s_and_saveexec_b32 s1, s0
	s_cbranch_execz .LBB158_17
; %bb.16:
	ds_load_b32 v1, v10 offset:512
.LBB158_17:
	s_or_b32 exec_lo, exec_lo, s1
	v_xor_b32_e32 v12, 2, v4
	v_xor_b32_e32 v16, 1, v4
	s_delay_alu instid0(VALU_DEP_2) | instskip(NEXT) | instid1(VALU_DEP_1)
	v_cmp_lt_i32_e64 s1, v12, v7
	v_cndmask_b32_e64 v12, v4, v12, s1
	s_delay_alu instid0(VALU_DEP_3) | instskip(NEXT) | instid1(VALU_DEP_2)
	v_cmp_lt_i32_e64 s1, v16, v7
	v_lshlrev_b32_e32 v12, 2, v12
	s_delay_alu instid0(VALU_DEP_2)
	v_cndmask_b32_e64 v7, v4, v16, s1
	s_sub_i32 s1, s17, s7
	v_mov_b32_e32 v16, 0
	s_lshl_b32 s1, s1, 3
	s_waitcnt lgkmcnt(0)
	ds_bpermute_b32 v13, v12, v1
	v_max_f32_e32 v1, v1, v1
	v_lshlrev_b32_e32 v7, 2, v7
	s_add_i32 s1, s1, s33
	v_lshlrev_b32_e32 v4, 2, v4
	s_min_i32 s1, s1, s15
	s_delay_alu instid0(SALU_CYCLE_1) | instskip(NEXT) | instid1(SALU_CYCLE_1)
	s_sub_i32 s6, s1, s33
	v_cmp_gt_i32_e64 s1, s6, v0
	s_waitcnt lgkmcnt(0)
	v_max_f32_e32 v13, v13, v13
	s_delay_alu instid0(VALU_DEP_1) | instskip(SKIP_3) | instid1(VALU_DEP_1)
	v_max_f32_e32 v1, v1, v13
	ds_bpermute_b32 v13, v7, v1
	s_waitcnt lgkmcnt(0)
	v_max_f32_e32 v13, v13, v13
	v_max_f32_e32 v1, v1, v13
	v_and_b32_e32 v13, 0xffffff80, v4
	v_lshl_add_u32 v4, v0, 2, 0x220
	ds_bpermute_b32 v1, v13, v1
	s_and_saveexec_b32 s7, s1
	s_cbranch_execz .LBB158_21
; %bb.18:
	v_lshl_add_u32 v18, v0, 2, 0x220
	v_dual_mov_b32 v16, 0 :: v_dual_mov_b32 v19, v0
	s_mov_b32 s29, 0
	.p2align	6
.LBB158_19:                             ; =>This Inner Loop Header: Depth=1
	ds_load_b32 v20, v18
	v_add_nc_u32_e32 v19, 0x80, v19
	s_delay_alu instid0(VALU_DEP_1) | instskip(NEXT) | instid1(VALU_DEP_1)
	v_cmp_le_i32_e64 s3, s6, v19
	s_or_b32 s29, s3, s29
	s_waitcnt lgkmcnt(0)
	v_sub_f32_e32 v20, v20, v1
	s_delay_alu instid0(VALU_DEP_1) | instskip(NEXT) | instid1(VALU_DEP_1)
	v_mul_f32_e32 v20, 0x3fb8aa3b, v20
	v_exp_f32_e32 v20, v20
	ds_store_b32 v18, v20
	v_add_f32_e32 v16, v16, v20
	v_add_nc_u32_e32 v18, 0x200, v18
	s_and_not1_b32 exec_lo, exec_lo, s29
	s_cbranch_execnz .LBB158_19
; %bb.20:
	s_or_b32 exec_lo, exec_lo, s29
.LBB158_21:
	s_delay_alu instid0(SALU_CYCLE_1)
	s_or_b32 exec_lo, exec_lo, s7
	ds_bpermute_b32 v2, v2, v16
	s_waitcnt lgkmcnt(0)
	v_add_f32_e32 v2, v16, v2
	ds_bpermute_b32 v8, v8, v2
	s_waitcnt lgkmcnt(0)
	v_add_f32_e32 v2, v2, v8
	;; [unrolled: 3-line block ×5, first 2 shown]
	s_and_saveexec_b32 s3, vcc_lo
	s_cbranch_execz .LBB158_23
; %bb.22:
	ds_store_b32 v9, v2 offset:528
.LBB158_23:
	s_or_b32 exec_lo, exec_lo, s3
	s_waitcnt lgkmcnt(0)
	s_barrier
	buffer_gl0_inv
	s_and_saveexec_b32 s3, s0
	s_cbranch_execz .LBB158_25
; %bb.24:
	ds_load_b32 v2, v10 offset:528
.LBB158_25:
	s_or_b32 exec_lo, exec_lo, s3
	s_waitcnt lgkmcnt(0)
	ds_bpermute_b32 v8, v12, v2
	s_waitcnt lgkmcnt(0)
	v_add_f32_e32 v2, v2, v8
	ds_bpermute_b32 v7, v7, v2
	s_waitcnt lgkmcnt(0)
	v_add_f32_e32 v2, v2, v7
	ds_bpermute_b32 v2, v13, v2
	s_and_saveexec_b32 s0, s1
	s_cbranch_execz .LBB158_28
; %bb.26:
	s_waitcnt lgkmcnt(0)
	v_add_f32_e32 v7, 0x358637bd, v2
	s_mov_b32 s1, 0
	s_delay_alu instid0(VALU_DEP_1) | instskip(SKIP_1) | instid1(VALU_DEP_2)
	v_div_scale_f32 v8, null, v7, v7, 1.0
	v_div_scale_f32 v11, vcc_lo, 1.0, v7, 1.0
	v_rcp_f32_e32 v9, v8
	s_waitcnt_depctr 0xfff
	v_fma_f32 v10, -v8, v9, 1.0
	s_delay_alu instid0(VALU_DEP_1) | instskip(NEXT) | instid1(VALU_DEP_1)
	v_fmac_f32_e32 v9, v10, v9
	v_mul_f32_e32 v10, v11, v9
	s_delay_alu instid0(VALU_DEP_1) | instskip(NEXT) | instid1(VALU_DEP_1)
	v_fma_f32 v12, -v8, v10, v11
	v_fmac_f32_e32 v10, v12, v9
	s_delay_alu instid0(VALU_DEP_1) | instskip(NEXT) | instid1(VALU_DEP_1)
	v_fma_f32 v8, -v8, v10, v11
	v_div_fmas_f32 v8, v8, v9, v10
	s_delay_alu instid0(VALU_DEP_1)
	v_div_fixup_f32 v7, v8, v7, 1.0
	v_mov_b32_e32 v8, v0
.LBB158_27:                             ; =>This Inner Loop Header: Depth=1
	ds_load_b32 v9, v4
	s_waitcnt lgkmcnt(0)
	v_dual_mul_f32 v9, v7, v9 :: v_dual_add_nc_u32 v8, 0x80, v8
	s_delay_alu instid0(VALU_DEP_1) | instskip(SKIP_3) | instid1(SALU_CYCLE_1)
	v_cmp_le_i32_e32 vcc_lo, s6, v8
	ds_store_b32 v4, v9
	v_add_nc_u32_e32 v4, 0x200, v4
	s_or_b32 s1, vcc_lo, s1
	s_and_not1_b32 exec_lo, exec_lo, s1
	s_cbranch_execnz .LBB158_27
.LBB158_28:
	s_or_b32 exec_lo, exec_lo, s0
	s_mul_i32 s0, s4, s14
	s_waitcnt lgkmcnt(0)
	s_mul_i32 s6, s0, s13
	s_mov_b32 s0, exec_lo
	s_barrier
	buffer_gl0_inv
	v_cmpx_eq_u32_e32 0, v0
	s_cbranch_execz .LBB158_30
; %bb.29:
	s_ashr_i32 s7, s6, 31
	s_mul_i32 s34, s4, s20
	s_lshl_b64 s[30:31], s[6:7], 2
	v_mov_b32_e32 v4, 0
	s_add_u32 s1, s10, s30
	s_addc_u32 s3, s11, s31
	s_ashr_i32 s35, s34, 31
	s_delay_alu instid0(SALU_CYCLE_1) | instskip(NEXT) | instid1(SALU_CYCLE_1)
	s_lshl_b64 s[10:11], s[34:35], 2
	s_add_u32 s1, s1, s10
	s_addc_u32 s3, s3, s11
	s_ashr_i32 s13, s12, 31
	s_delay_alu instid0(SALU_CYCLE_1) | instskip(NEXT) | instid1(SALU_CYCLE_1)
	s_lshl_b64 s[34:35], s[12:13], 2
	s_add_u32 s36, s1, s34
	s_addc_u32 s37, s3, s35
	s_add_u32 s1, s8, s30
	s_addc_u32 s3, s9, s31
	;; [unrolled: 2-line block ×4, first 2 shown]
	s_clause 0x1
	global_store_b32 v4, v1, s[36:37]
	global_store_b32 v4, v2, s[8:9]
.LBB158_30:
	s_or_b32 exec_lo, exec_lo, s0
	v_dual_mov_b32 v7, 0 :: v_dual_mov_b32 v16, 0
	v_dual_mov_b32 v18, 0 :: v_dual_mov_b32 v19, 0
	;; [unrolled: 1-line block ×4, first 2 shown]
	s_mov_b32 s3, 0
	s_and_saveexec_b32 s1, s2
	s_cbranch_execz .LBB158_338
; %bb.31:
	s_ashr_i32 s29, s28, 31
	v_mov_b32_e32 v23, 0
	v_lshlrev_b32_e32 v1, 4, v17
	s_lshl_b64 s[8:9], s[28:29], 1
	v_add3_u32 v26, s33, v3, 7
	s_add_u32 s0, s26, s8
	v_mov_b32_e32 v22, v23
	v_add_co_u32 v24, s0, s0, v1
	v_lshlrev_b64 v[1:2], 2, v[5:6]
	s_addc_u32 s7, s27, s9
	s_lshl_b64 s[8:9], s[24:25], 2
	s_add_i32 s2, s21, -1
	v_add_co_ci_u32_e64 v25, null, s7, 0, s0
	s_add_u32 s0, s22, s8
	s_addc_u32 s7, s23, s9
	v_add_co_u32 v12, vcc_lo, s0, v1
	v_lshl_add_u32 v6, v15, 5, 0x220
	v_add_co_ci_u32_e32 v13, vcc_lo, s7, v2, vcc_lo
	v_mov_b32_e32 v21, v23
	v_mov_b32_e32 v20, v23
	;; [unrolled: 1-line block ×6, first 2 shown]
	s_branch .LBB158_33
.LBB158_32:                             ;   in Loop: Header=BB158_33 Depth=1
	s_or_b32 exec_lo, exec_lo, s0
	v_and_b32_e32 v11, 0xffff0000, v11
	v_and_b32_e32 v27, 0xffff0000, v27
	;; [unrolled: 1-line block ×8, first 2 shown]
	s_delay_alu instid0(VALU_DEP_4)
	v_dual_add_f32 v10, v10, v11 :: v_dual_and_b32 v1, 0xffff0000, v1
	v_add_f32_e32 v11, v27, v28
	v_and_b32_e32 v27, 0xffff0000, v29
	v_and_b32_e32 v29, 0xffff0000, v33
	;; [unrolled: 1-line block ×4, first 2 shown]
	s_delay_alu instid0(VALU_DEP_4)
	v_dual_add_f32 v10, v10, v11 :: v_dual_add_f32 v11, v27, v30
	v_and_b32_e32 v30, 0xffff0000, v49
	v_and_b32_e32 v28, 0xffff0000, v31
	;; [unrolled: 1-line block ×4, first 2 shown]
	v_add_f32_e32 v10, v10, v11
	v_and_b32_e32 v3, 0xffff0000, v3
	v_add_f32_e32 v11, v28, v29
	v_dual_add_f32 v29, v31, v30 :: v_dual_and_b32 v28, 0xffff0000, v53
	v_and_b32_e32 v30, 0xffff0000, v52
	s_delay_alu instid0(VALU_DEP_3) | instskip(SKIP_1) | instid1(VALU_DEP_3)
	v_dual_add_f32 v10, v10, v11 :: v_dual_and_b32 v31, 0xffff0000, v56
	v_and_b32_e32 v39, 0xffff0000, v94
	v_dual_add_f32 v28, v30, v28 :: v_dual_add_nc_u32 v5, 4, v5
	s_delay_alu instid0(VALU_DEP_3) | instskip(SKIP_1) | instid1(VALU_DEP_3)
	v_dual_add_f32 v23, v23, v10 :: v_dual_and_b32 v30, 0xffff0000, v57
	v_add_co_u32 v12, s0, v12, 16
	v_cmp_le_i32_e32 vcc_lo, s17, v5
	s_delay_alu instid0(VALU_DEP_3) | instskip(SKIP_3) | instid1(VALU_DEP_2)
	v_dual_add_f32 v30, v31, v30 :: v_dual_and_b32 v31, 0xffff0000, v60
	v_and_b32_e32 v27, 0xffff0000, v51
	v_add_co_ci_u32_e64 v13, s0, 0, v13, s0
	s_or_b32 s3, vcc_lo, s3
	v_dual_add_f32 v2, v2, v9 :: v_dual_add_f32 v27, v33, v27
	v_and_b32_e32 v33, 0xffff0000, v58
	v_and_b32_e32 v8, 0xffff0000, v8
	;; [unrolled: 1-line block ×4, first 2 shown]
	v_add_f32_e32 v27, v29, v27
	v_and_b32_e32 v29, 0xffff0000, v59
	v_add_f32_e32 v1, v1, v8
	v_and_b32_e32 v4, 0xffff0000, v4
	s_delay_alu instid0(VALU_DEP_4) | instskip(SKIP_3) | instid1(VALU_DEP_3)
	v_dual_add_f32 v27, v27, v28 :: v_dual_add_nc_u32 v6, 0x80, v6
	v_and_b32_e32 v28, 0xffff0000, v61
	v_add_f32_e32 v29, v33, v29
	v_dual_add_f32 v1, v1, v2 :: v_dual_add_f32 v2, v3, v32
	v_dual_add_f32 v28, v31, v28 :: v_dual_and_b32 v3, 0xffff0000, v34
	s_delay_alu instid0(VALU_DEP_3) | instskip(SKIP_3) | instid1(VALU_DEP_4)
	v_dual_add_f32 v29, v30, v29 :: v_dual_and_b32 v30, 0xffff0000, v67
	v_and_b32_e32 v31, 0xffff0000, v65
	v_and_b32_e32 v11, 0xffff0000, v54
	v_add_f32_e32 v1, v1, v2
	v_add_f32_e32 v28, v29, v28
	s_delay_alu instid0(VALU_DEP_4)
	v_dual_add_f32 v30, v37, v30 :: v_dual_add_f32 v31, v36, v31
	v_and_b32_e32 v35, 0xffff0000, v55
	v_and_b32_e32 v37, 0xffff0000, v78
	;; [unrolled: 1-line block ×3, first 2 shown]
	v_add_f32_e32 v2, v4, v3
	v_add_f32_e32 v10, v31, v30
	;; [unrolled: 1-line block ×3, first 2 shown]
	v_and_b32_e32 v33, 0xffff0000, v62
	v_and_b32_e32 v31, 0xffff0000, v74
	v_and_b32_e32 v35, 0xffff0000, v63
	s_delay_alu instid0(VALU_DEP_4) | instskip(SKIP_1) | instid1(VALU_DEP_3)
	v_dual_add_f32 v11, v27, v11 :: v_dual_and_b32 v30, 0xffff0000, v72
	v_add_f32_e32 v1, v1, v2
	v_dual_add_f32 v29, v33, v35 :: v_dual_add_nc_u32 v26, 32, v26
	v_and_b32_e32 v33, 0xffff0000, v69
	s_delay_alu instid0(VALU_DEP_4) | instskip(SKIP_1) | instid1(VALU_DEP_4)
	v_dual_add_f32 v22, v22, v11 :: v_dual_and_b32 v35, 0xffff0000, v68
	v_and_b32_e32 v11, 0xffff0000, v70
	v_add_f32_e32 v27, v28, v29
	v_and_b32_e32 v29, 0xffff0000, v73
	s_delay_alu instid0(VALU_DEP_4) | instskip(SKIP_1) | instid1(VALU_DEP_3)
	v_dual_add_f32 v28, v35, v33 :: v_dual_and_b32 v35, 0xffff0000, v80
	v_add_f32_e32 v7, v7, v1
	v_add_f32_e32 v29, v30, v29
	s_delay_alu instid0(VALU_DEP_3) | instskip(SKIP_4) | instid1(VALU_DEP_4)
	v_add_f32_e32 v10, v10, v28
	v_and_b32_e32 v28, 0xffff0000, v75
	v_add_f32_e32 v21, v21, v27
	v_and_b32_e32 v27, 0xffff0000, v71
	v_and_b32_e32 v30, 0xffff0000, v83
	v_dual_add_f32 v28, v31, v28 :: v_dual_and_b32 v31, 0xffff0000, v81
	s_delay_alu instid0(VALU_DEP_2) | instskip(SKIP_1) | instid1(VALU_DEP_3)
	v_dual_add_f32 v11, v11, v27 :: v_dual_add_f32 v30, v36, v30
	v_and_b32_e32 v36, 0xffff0000, v90
	v_dual_add_f32 v28, v29, v28 :: v_dual_add_f32 v31, v35, v31
	v_and_b32_e32 v29, 0xffff0000, v85
	s_delay_alu instid0(VALU_DEP_4) | instskip(SKIP_1) | instid1(VALU_DEP_4)
	v_dual_add_f32 v10, v10, v11 :: v_dual_and_b32 v35, 0xffff0000, v84
	v_and_b32_e32 v27, 0xffff0000, v77
	v_add_f32_e32 v11, v31, v30
	s_delay_alu instid0(VALU_DEP_3) | instskip(NEXT) | instid1(VALU_DEP_4)
	v_dual_add_f32 v29, v35, v29 :: v_dual_and_b32 v30, 0xffff0000, v86
	v_dual_add_f32 v20, v20, v10 :: v_dual_and_b32 v35, 0xffff0000, v91
	v_and_b32_e32 v31, 0xffff0000, v87
	s_delay_alu instid0(VALU_DEP_3) | instskip(SKIP_3) | instid1(VALU_DEP_3)
	v_add_f32_e32 v11, v11, v29
	v_and_b32_e32 v33, 0xffff0000, v76
	v_and_b32_e32 v29, 0xffff0000, v93
	v_add_f32_e32 v35, v36, v35
	v_add_f32_e32 v27, v33, v27
	v_and_b32_e32 v33, 0xffff0000, v79
	s_delay_alu instid0(VALU_DEP_1) | instskip(SKIP_2) | instid1(VALU_DEP_3)
	v_dual_add_f32 v27, v28, v27 :: v_dual_add_f32 v28, v37, v33
	v_and_b32_e32 v37, 0xffff0000, v89
	v_and_b32_e32 v33, 0xffff0000, v92
	v_add_f32_e32 v3, v27, v28
	s_delay_alu instid0(VALU_DEP_3) | instskip(NEXT) | instid1(VALU_DEP_3)
	v_add_f32_e32 v37, v38, v37
	v_add_f32_e32 v9, v33, v29
	;; [unrolled: 1-line block ×3, first 2 shown]
	s_delay_alu instid0(VALU_DEP_4) | instskip(NEXT) | instid1(VALU_DEP_4)
	v_add_f32_e32 v19, v19, v3
	v_add_f32_e32 v8, v37, v35
	s_delay_alu instid0(VALU_DEP_3) | instskip(NEXT) | instid1(VALU_DEP_2)
	v_add_f32_e32 v4, v11, v29
	v_dual_add_f32 v8, v8, v9 :: v_dual_add_f32 v9, v39, v40
	s_delay_alu instid0(VALU_DEP_2) | instskip(NEXT) | instid1(VALU_DEP_2)
	v_add_f32_e32 v18, v18, v4
	v_add_f32_e32 v8, v8, v9
	s_delay_alu instid0(VALU_DEP_1)
	v_add_f32_e32 v16, v16, v8
	s_and_not1_b32 exec_lo, exec_lo, s3
	s_cbranch_execz .LBB158_337
.LBB158_33:                             ; =>This Inner Loop Header: Depth=1
	global_load_b32 v32, v[12:13], off
	ds_load_2addr_b64 v[8:11], v6 offset1:1
	ds_load_2addr_b64 v[1:4], v6 offset0:2 offset1:3
	s_mov_b32 s0, exec_lo
                                        ; implicit-def: $vgpr40
	s_waitcnt lgkmcnt(1)
	v_and_b32_e32 v27, 0x7f800000, v8
	s_delay_alu instid0(VALU_DEP_1)
	v_cmpx_ne_u32_e32 0x7f800000, v27
	s_xor_b32 s0, exec_lo, s0
; %bb.34:                               ;   in Loop: Header=BB158_33 Depth=1
	v_bfe_u32 v27, v8, 16, 1
	s_delay_alu instid0(VALU_DEP_1)
	v_add3_u32 v40, v8, v27, 0x7fff
; %bb.35:                               ;   in Loop: Header=BB158_33 Depth=1
	s_and_not1_saveexec_b32 s0, s0
; %bb.36:                               ;   in Loop: Header=BB158_33 Depth=1
	v_and_b32_e32 v27, 0xffff, v8
	v_or_b32_e32 v28, 0x10000, v8
	s_delay_alu instid0(VALU_DEP_2) | instskip(NEXT) | instid1(VALU_DEP_2)
	v_cmp_eq_u32_e32 vcc_lo, 0, v27
	v_cndmask_b32_e32 v40, v28, v8, vcc_lo
; %bb.37:                               ;   in Loop: Header=BB158_33 Depth=1
	s_or_b32 exec_lo, exec_lo, s0
	v_and_b32_e32 v8, 0x7f800000, v9
	s_mov_b32 s0, exec_lo
                                        ; implicit-def: $vgpr41
	s_delay_alu instid0(VALU_DEP_1)
	v_cmpx_ne_u32_e32 0x7f800000, v8
	s_xor_b32 s0, exec_lo, s0
; %bb.38:                               ;   in Loop: Header=BB158_33 Depth=1
	v_bfe_u32 v8, v9, 16, 1
	s_delay_alu instid0(VALU_DEP_1)
	v_add3_u32 v41, v9, v8, 0x7fff
; %bb.39:                               ;   in Loop: Header=BB158_33 Depth=1
	s_and_not1_saveexec_b32 s0, s0
; %bb.40:                               ;   in Loop: Header=BB158_33 Depth=1
	v_and_b32_e32 v8, 0xffff, v9
	v_or_b32_e32 v27, 0x10000, v9
	s_delay_alu instid0(VALU_DEP_2) | instskip(NEXT) | instid1(VALU_DEP_2)
	v_cmp_eq_u32_e32 vcc_lo, 0, v8
	v_cndmask_b32_e32 v41, v27, v9, vcc_lo
; %bb.41:                               ;   in Loop: Header=BB158_33 Depth=1
	s_or_b32 exec_lo, exec_lo, s0
	v_and_b32_e32 v8, 0x7f800000, v10
	s_mov_b32 s0, exec_lo
                                        ; implicit-def: $vgpr27
	s_delay_alu instid0(VALU_DEP_1)
	v_cmpx_ne_u32_e32 0x7f800000, v8
	s_xor_b32 s0, exec_lo, s0
; %bb.42:                               ;   in Loop: Header=BB158_33 Depth=1
	v_bfe_u32 v8, v10, 16, 1
	s_delay_alu instid0(VALU_DEP_1)
	v_add3_u32 v27, v10, v8, 0x7fff
; %bb.43:                               ;   in Loop: Header=BB158_33 Depth=1
	s_and_not1_saveexec_b32 s0, s0
; %bb.44:                               ;   in Loop: Header=BB158_33 Depth=1
	v_and_b32_e32 v8, 0xffff, v10
	v_or_b32_e32 v9, 0x10000, v10
	s_delay_alu instid0(VALU_DEP_2) | instskip(NEXT) | instid1(VALU_DEP_2)
	v_cmp_eq_u32_e32 vcc_lo, 0, v8
	v_cndmask_b32_e32 v27, v9, v10, vcc_lo
; %bb.45:                               ;   in Loop: Header=BB158_33 Depth=1
	s_or_b32 exec_lo, exec_lo, s0
	v_and_b32_e32 v8, 0x7f800000, v11
	s_mov_b32 s0, exec_lo
                                        ; implicit-def: $vgpr28
	s_delay_alu instid0(VALU_DEP_1)
	v_cmpx_ne_u32_e32 0x7f800000, v8
	s_xor_b32 s0, exec_lo, s0
; %bb.46:                               ;   in Loop: Header=BB158_33 Depth=1
	v_bfe_u32 v8, v11, 16, 1
	s_delay_alu instid0(VALU_DEP_1)
	v_add3_u32 v28, v11, v8, 0x7fff
                                        ; implicit-def: $vgpr8_vgpr9_vgpr10_vgpr11
; %bb.47:                               ;   in Loop: Header=BB158_33 Depth=1
	s_and_not1_saveexec_b32 s0, s0
; %bb.48:                               ;   in Loop: Header=BB158_33 Depth=1
	v_and_b32_e32 v8, 0xffff, v11
	v_or_b32_e32 v9, 0x10000, v11
	s_delay_alu instid0(VALU_DEP_2) | instskip(NEXT) | instid1(VALU_DEP_2)
	v_cmp_eq_u32_e32 vcc_lo, 0, v8
	v_cndmask_b32_e32 v28, v9, v11, vcc_lo
; %bb.49:                               ;   in Loop: Header=BB158_33 Depth=1
	s_or_b32 exec_lo, exec_lo, s0
	s_waitcnt lgkmcnt(0)
	v_and_b32_e32 v8, 0x7f800000, v1
	s_mov_b32 s0, exec_lo
                                        ; implicit-def: $vgpr29
	s_delay_alu instid0(VALU_DEP_1)
	v_cmpx_ne_u32_e32 0x7f800000, v8
	s_xor_b32 s0, exec_lo, s0
; %bb.50:                               ;   in Loop: Header=BB158_33 Depth=1
	v_bfe_u32 v8, v1, 16, 1
	s_delay_alu instid0(VALU_DEP_1)
	v_add3_u32 v29, v1, v8, 0x7fff
; %bb.51:                               ;   in Loop: Header=BB158_33 Depth=1
	s_and_not1_saveexec_b32 s0, s0
; %bb.52:                               ;   in Loop: Header=BB158_33 Depth=1
	v_and_b32_e32 v8, 0xffff, v1
	v_or_b32_e32 v9, 0x10000, v1
	s_delay_alu instid0(VALU_DEP_2) | instskip(NEXT) | instid1(VALU_DEP_2)
	v_cmp_eq_u32_e32 vcc_lo, 0, v8
	v_cndmask_b32_e32 v29, v9, v1, vcc_lo
; %bb.53:                               ;   in Loop: Header=BB158_33 Depth=1
	s_or_b32 exec_lo, exec_lo, s0
	v_and_b32_e32 v1, 0x7f800000, v2
	s_mov_b32 s0, exec_lo
                                        ; implicit-def: $vgpr30
	s_delay_alu instid0(VALU_DEP_1)
	v_cmpx_ne_u32_e32 0x7f800000, v1
	s_xor_b32 s0, exec_lo, s0
; %bb.54:                               ;   in Loop: Header=BB158_33 Depth=1
	v_bfe_u32 v1, v2, 16, 1
	s_delay_alu instid0(VALU_DEP_1)
	v_add3_u32 v30, v2, v1, 0x7fff
; %bb.55:                               ;   in Loop: Header=BB158_33 Depth=1
	s_and_not1_saveexec_b32 s0, s0
; %bb.56:                               ;   in Loop: Header=BB158_33 Depth=1
	v_and_b32_e32 v1, 0xffff, v2
	v_or_b32_e32 v8, 0x10000, v2
	s_delay_alu instid0(VALU_DEP_2) | instskip(NEXT) | instid1(VALU_DEP_2)
	v_cmp_eq_u32_e32 vcc_lo, 0, v1
	v_cndmask_b32_e32 v30, v8, v2, vcc_lo
; %bb.57:                               ;   in Loop: Header=BB158_33 Depth=1
	s_or_b32 exec_lo, exec_lo, s0
	v_and_b32_e32 v1, 0x7f800000, v3
	s_mov_b32 s0, exec_lo
                                        ; implicit-def: $vgpr31
	s_delay_alu instid0(VALU_DEP_1)
	v_cmpx_ne_u32_e32 0x7f800000, v1
	s_xor_b32 s0, exec_lo, s0
; %bb.58:                               ;   in Loop: Header=BB158_33 Depth=1
	v_bfe_u32 v1, v3, 16, 1
	s_delay_alu instid0(VALU_DEP_1)
	v_add3_u32 v31, v3, v1, 0x7fff
; %bb.59:                               ;   in Loop: Header=BB158_33 Depth=1
	s_and_not1_saveexec_b32 s0, s0
; %bb.60:                               ;   in Loop: Header=BB158_33 Depth=1
	v_and_b32_e32 v1, 0xffff, v3
	v_or_b32_e32 v2, 0x10000, v3
	s_delay_alu instid0(VALU_DEP_2) | instskip(NEXT) | instid1(VALU_DEP_2)
	v_cmp_eq_u32_e32 vcc_lo, 0, v1
	v_cndmask_b32_e32 v31, v2, v3, vcc_lo
; %bb.61:                               ;   in Loop: Header=BB158_33 Depth=1
	s_or_b32 exec_lo, exec_lo, s0
	v_and_b32_e32 v1, 0x7f800000, v4
	s_mov_b32 s0, exec_lo
                                        ; implicit-def: $vgpr33
	s_delay_alu instid0(VALU_DEP_1)
	v_cmpx_ne_u32_e32 0x7f800000, v1
	s_xor_b32 s0, exec_lo, s0
; %bb.62:                               ;   in Loop: Header=BB158_33 Depth=1
	v_bfe_u32 v1, v4, 16, 1
	s_delay_alu instid0(VALU_DEP_1)
	v_add3_u32 v33, v4, v1, 0x7fff
                                        ; implicit-def: $vgpr1_vgpr2_vgpr3_vgpr4
; %bb.63:                               ;   in Loop: Header=BB158_33 Depth=1
	s_and_not1_saveexec_b32 s0, s0
; %bb.64:                               ;   in Loop: Header=BB158_33 Depth=1
	v_and_b32_e32 v1, 0xffff, v4
	v_or_b32_e32 v2, 0x10000, v4
	s_delay_alu instid0(VALU_DEP_2) | instskip(NEXT) | instid1(VALU_DEP_2)
	v_cmp_eq_u32_e32 vcc_lo, 0, v1
	v_cndmask_b32_e32 v33, v2, v4, vcc_lo
; %bb.65:                               ;   in Loop: Header=BB158_33 Depth=1
	s_or_b32 exec_lo, exec_lo, s0
	s_waitcnt vmcnt(0)
	v_mad_i64_i32 v[1:2], null, v32, s5, 0
	v_add_nc_u32_e32 v32, -7, v26
	v_add_nc_u32_e32 v39, -6, v26
	;; [unrolled: 1-line block ×6, first 2 shown]
	v_lshlrev_b64 v[1:2], 1, v[1:2]
	v_add_nc_u32_e32 v38, -1, v26
	s_delay_alu instid0(VALU_DEP_2) | instskip(NEXT) | instid1(VALU_DEP_3)
	v_add_co_u32 v8, vcc_lo, v24, v1
	v_add_co_ci_u32_e32 v9, vcc_lo, v25, v2, vcc_lo
	v_cmp_eq_u32_e32 vcc_lo, s2, v5
	global_load_b128 v[1:4], v[8:9], off
	s_waitcnt vmcnt(0)
	v_lshrrev_b32_e32 v11, 16, v1
	v_lshrrev_b32_e32 v44, 16, v2
	;; [unrolled: 1-line block ×4, first 2 shown]
	s_and_saveexec_b32 s7, vcc_lo
	s_cbranch_execz .LBB158_67
; %bb.66:                               ;   in Loop: Header=BB158_33 Depth=1
	v_cmp_gt_i32_e64 s0, s15, v32
	s_delay_alu instid0(VALU_DEP_1) | instskip(SKIP_1) | instid1(VALU_DEP_1)
	v_cndmask_b32_e64 v1, 0, v1, s0
	v_cmp_gt_i32_e64 s0, s15, v39
	v_cndmask_b32_e64 v11, 0, v11, s0
	v_cmp_gt_i32_e64 s0, s15, v37
	s_delay_alu instid0(VALU_DEP_1) | instskip(SKIP_1) | instid1(VALU_DEP_1)
	v_cndmask_b32_e64 v2, 0, v2, s0
	v_cmp_gt_i32_e64 s0, s15, v36
	v_cndmask_b32_e64 v44, 0, v44, s0
	;; [unrolled: 5-line block ×4, first 2 shown]
.LBB158_67:                             ;   in Loop: Header=BB158_33 Depth=1
	s_or_b32 exec_lo, exec_lo, s7
	v_and_b32_e32 v40, 0xffff0000, v40
	v_lshlrev_b32_e32 v1, 16, v1
	s_delay_alu instid0(VALU_DEP_1) | instskip(NEXT) | instid1(VALU_DEP_1)
	v_mul_f32_e32 v1, v40, v1
	v_and_b32_e32 v10, 0x7f800000, v1
	s_delay_alu instid0(VALU_DEP_1) | instskip(NEXT) | instid1(VALU_DEP_1)
	v_cmp_ne_u32_e64 s0, 0x7f800000, v10
                                        ; implicit-def: $vgpr10
	s_and_saveexec_b32 s7, s0
	s_delay_alu instid0(SALU_CYCLE_1)
	s_xor_b32 s0, exec_lo, s7
; %bb.68:                               ;   in Loop: Header=BB158_33 Depth=1
	v_bfe_u32 v10, v1, 16, 1
	s_delay_alu instid0(VALU_DEP_1)
	v_add3_u32 v10, v1, v10, 0x7fff
                                        ; implicit-def: $vgpr1
; %bb.69:                               ;   in Loop: Header=BB158_33 Depth=1
	s_and_not1_saveexec_b32 s7, s0
; %bb.70:                               ;   in Loop: Header=BB158_33 Depth=1
	v_and_b32_e32 v10, 0xffff, v1
	v_or_b32_e32 v42, 0x10000, v1
	s_delay_alu instid0(VALU_DEP_2) | instskip(NEXT) | instid1(VALU_DEP_1)
	v_cmp_eq_u32_e64 s0, 0, v10
	v_cndmask_b32_e64 v10, v42, v1, s0
; %bb.71:                               ;   in Loop: Header=BB158_33 Depth=1
	s_or_b32 exec_lo, exec_lo, s7
	v_and_b32_e32 v41, 0xffff0000, v41
	v_lshlrev_b32_e32 v1, 16, v11
	s_delay_alu instid0(VALU_DEP_1) | instskip(NEXT) | instid1(VALU_DEP_1)
	v_mul_f32_e32 v1, v41, v1
	v_and_b32_e32 v11, 0x7f800000, v1
	s_delay_alu instid0(VALU_DEP_1) | instskip(NEXT) | instid1(VALU_DEP_1)
	v_cmp_ne_u32_e64 s0, 0x7f800000, v11
                                        ; implicit-def: $vgpr11
	s_and_saveexec_b32 s7, s0
	s_delay_alu instid0(SALU_CYCLE_1)
	s_xor_b32 s0, exec_lo, s7
; %bb.72:                               ;   in Loop: Header=BB158_33 Depth=1
	v_bfe_u32 v11, v1, 16, 1
	s_delay_alu instid0(VALU_DEP_1)
	v_add3_u32 v11, v1, v11, 0x7fff
                                        ; implicit-def: $vgpr1
; %bb.73:                               ;   in Loop: Header=BB158_33 Depth=1
	s_and_not1_saveexec_b32 s7, s0
; %bb.74:                               ;   in Loop: Header=BB158_33 Depth=1
	v_and_b32_e32 v11, 0xffff, v1
	v_or_b32_e32 v42, 0x10000, v1
	s_delay_alu instid0(VALU_DEP_2) | instskip(NEXT) | instid1(VALU_DEP_1)
	v_cmp_eq_u32_e64 s0, 0, v11
	v_cndmask_b32_e64 v11, v42, v1, s0
; %bb.75:                               ;   in Loop: Header=BB158_33 Depth=1
	s_or_b32 exec_lo, exec_lo, s7
	v_and_b32_e32 v42, 0xffff0000, v27
	v_lshlrev_b32_e32 v1, 16, v2
                                        ; implicit-def: $vgpr27
	s_delay_alu instid0(VALU_DEP_1) | instskip(NEXT) | instid1(VALU_DEP_1)
	v_mul_f32_e32 v1, v42, v1
	v_and_b32_e32 v2, 0x7f800000, v1
	s_delay_alu instid0(VALU_DEP_1) | instskip(NEXT) | instid1(VALU_DEP_1)
	v_cmp_ne_u32_e64 s0, 0x7f800000, v2
	s_and_saveexec_b32 s7, s0
	s_delay_alu instid0(SALU_CYCLE_1)
	s_xor_b32 s0, exec_lo, s7
; %bb.76:                               ;   in Loop: Header=BB158_33 Depth=1
	v_bfe_u32 v2, v1, 16, 1
	s_delay_alu instid0(VALU_DEP_1)
	v_add3_u32 v27, v1, v2, 0x7fff
                                        ; implicit-def: $vgpr1
; %bb.77:                               ;   in Loop: Header=BB158_33 Depth=1
	s_and_not1_saveexec_b32 s7, s0
; %bb.78:                               ;   in Loop: Header=BB158_33 Depth=1
	v_and_b32_e32 v2, 0xffff, v1
	v_or_b32_e32 v27, 0x10000, v1
	s_delay_alu instid0(VALU_DEP_2) | instskip(NEXT) | instid1(VALU_DEP_1)
	v_cmp_eq_u32_e64 s0, 0, v2
	v_cndmask_b32_e64 v27, v27, v1, s0
; %bb.79:                               ;   in Loop: Header=BB158_33 Depth=1
	s_or_b32 exec_lo, exec_lo, s7
	v_and_b32_e32 v43, 0xffff0000, v28
	v_lshlrev_b32_e32 v1, 16, v44
                                        ; implicit-def: $vgpr28
	s_delay_alu instid0(VALU_DEP_1) | instskip(NEXT) | instid1(VALU_DEP_1)
	v_mul_f32_e32 v1, v43, v1
	v_and_b32_e32 v2, 0x7f800000, v1
	s_delay_alu instid0(VALU_DEP_1) | instskip(NEXT) | instid1(VALU_DEP_1)
	v_cmp_ne_u32_e64 s0, 0x7f800000, v2
	s_and_saveexec_b32 s7, s0
	s_delay_alu instid0(SALU_CYCLE_1)
	s_xor_b32 s0, exec_lo, s7
; %bb.80:                               ;   in Loop: Header=BB158_33 Depth=1
	v_bfe_u32 v2, v1, 16, 1
	s_delay_alu instid0(VALU_DEP_1)
	v_add3_u32 v28, v1, v2, 0x7fff
                                        ; implicit-def: $vgpr1
; %bb.81:                               ;   in Loop: Header=BB158_33 Depth=1
	s_and_not1_saveexec_b32 s7, s0
; %bb.82:                               ;   in Loop: Header=BB158_33 Depth=1
	v_and_b32_e32 v2, 0xffff, v1
	v_or_b32_e32 v28, 0x10000, v1
	s_delay_alu instid0(VALU_DEP_2) | instskip(NEXT) | instid1(VALU_DEP_1)
	v_cmp_eq_u32_e64 s0, 0, v2
	v_cndmask_b32_e64 v28, v28, v1, s0
; %bb.83:                               ;   in Loop: Header=BB158_33 Depth=1
	s_or_b32 exec_lo, exec_lo, s7
	v_and_b32_e32 v44, 0xffff0000, v29
	v_lshlrev_b32_e32 v1, 16, v3
                                        ; implicit-def: $vgpr29
	s_delay_alu instid0(VALU_DEP_1) | instskip(NEXT) | instid1(VALU_DEP_1)
	v_mul_f32_e32 v1, v44, v1
	v_and_b32_e32 v2, 0x7f800000, v1
	s_delay_alu instid0(VALU_DEP_1) | instskip(NEXT) | instid1(VALU_DEP_1)
	v_cmp_ne_u32_e64 s0, 0x7f800000, v2
	s_and_saveexec_b32 s7, s0
	s_delay_alu instid0(SALU_CYCLE_1)
	s_xor_b32 s0, exec_lo, s7
; %bb.84:                               ;   in Loop: Header=BB158_33 Depth=1
	v_bfe_u32 v2, v1, 16, 1
	s_delay_alu instid0(VALU_DEP_1)
	v_add3_u32 v29, v1, v2, 0x7fff
                                        ; implicit-def: $vgpr1
; %bb.85:                               ;   in Loop: Header=BB158_33 Depth=1
	s_and_not1_saveexec_b32 s7, s0
; %bb.86:                               ;   in Loop: Header=BB158_33 Depth=1
	v_and_b32_e32 v2, 0xffff, v1
	v_or_b32_e32 v3, 0x10000, v1
	s_delay_alu instid0(VALU_DEP_2) | instskip(NEXT) | instid1(VALU_DEP_1)
	v_cmp_eq_u32_e64 s0, 0, v2
	v_cndmask_b32_e64 v29, v3, v1, s0
; %bb.87:                               ;   in Loop: Header=BB158_33 Depth=1
	s_or_b32 exec_lo, exec_lo, s7
	v_and_b32_e32 v45, 0xffff0000, v30
	v_lshlrev_b32_e32 v1, 16, v46
                                        ; implicit-def: $vgpr30
	s_delay_alu instid0(VALU_DEP_1) | instskip(NEXT) | instid1(VALU_DEP_1)
	v_mul_f32_e32 v1, v45, v1
	v_and_b32_e32 v2, 0x7f800000, v1
	s_delay_alu instid0(VALU_DEP_1) | instskip(NEXT) | instid1(VALU_DEP_1)
	v_cmp_ne_u32_e64 s0, 0x7f800000, v2
	s_and_saveexec_b32 s7, s0
	s_delay_alu instid0(SALU_CYCLE_1)
	s_xor_b32 s0, exec_lo, s7
; %bb.88:                               ;   in Loop: Header=BB158_33 Depth=1
	v_bfe_u32 v2, v1, 16, 1
	s_delay_alu instid0(VALU_DEP_1)
	v_add3_u32 v30, v1, v2, 0x7fff
                                        ; implicit-def: $vgpr1
; %bb.89:                               ;   in Loop: Header=BB158_33 Depth=1
	s_and_not1_saveexec_b32 s7, s0
; %bb.90:                               ;   in Loop: Header=BB158_33 Depth=1
	v_and_b32_e32 v2, 0xffff, v1
	v_or_b32_e32 v3, 0x10000, v1
	s_delay_alu instid0(VALU_DEP_2) | instskip(NEXT) | instid1(VALU_DEP_1)
	v_cmp_eq_u32_e64 s0, 0, v2
	v_cndmask_b32_e64 v30, v3, v1, s0
; %bb.91:                               ;   in Loop: Header=BB158_33 Depth=1
	s_or_b32 exec_lo, exec_lo, s7
	v_and_b32_e32 v46, 0xffff0000, v31
	v_lshlrev_b32_e32 v1, 16, v4
                                        ; implicit-def: $vgpr31
	s_delay_alu instid0(VALU_DEP_1) | instskip(NEXT) | instid1(VALU_DEP_1)
	v_mul_f32_e32 v1, v46, v1
	v_and_b32_e32 v2, 0x7f800000, v1
	s_delay_alu instid0(VALU_DEP_1) | instskip(NEXT) | instid1(VALU_DEP_1)
	v_cmp_ne_u32_e64 s0, 0x7f800000, v2
	s_and_saveexec_b32 s7, s0
	s_delay_alu instid0(SALU_CYCLE_1)
	s_xor_b32 s0, exec_lo, s7
; %bb.92:                               ;   in Loop: Header=BB158_33 Depth=1
	v_bfe_u32 v2, v1, 16, 1
	s_delay_alu instid0(VALU_DEP_1)
	v_add3_u32 v31, v1, v2, 0x7fff
                                        ; implicit-def: $vgpr1
; %bb.93:                               ;   in Loop: Header=BB158_33 Depth=1
	s_and_not1_saveexec_b32 s7, s0
; %bb.94:                               ;   in Loop: Header=BB158_33 Depth=1
	v_and_b32_e32 v2, 0xffff, v1
	v_or_b32_e32 v3, 0x10000, v1
	s_delay_alu instid0(VALU_DEP_2) | instskip(NEXT) | instid1(VALU_DEP_1)
	v_cmp_eq_u32_e64 s0, 0, v2
	v_cndmask_b32_e64 v31, v3, v1, s0
; %bb.95:                               ;   in Loop: Header=BB158_33 Depth=1
	s_or_b32 exec_lo, exec_lo, s7
	v_and_b32_e32 v47, 0xffff0000, v33
	v_lshlrev_b32_e32 v1, 16, v48
                                        ; implicit-def: $vgpr33
	s_delay_alu instid0(VALU_DEP_1) | instskip(NEXT) | instid1(VALU_DEP_1)
	v_mul_f32_e32 v1, v47, v1
	v_and_b32_e32 v2, 0x7f800000, v1
	s_delay_alu instid0(VALU_DEP_1) | instskip(NEXT) | instid1(VALU_DEP_1)
	v_cmp_ne_u32_e64 s0, 0x7f800000, v2
	s_and_saveexec_b32 s7, s0
	s_delay_alu instid0(SALU_CYCLE_1)
	s_xor_b32 s0, exec_lo, s7
; %bb.96:                               ;   in Loop: Header=BB158_33 Depth=1
	v_bfe_u32 v2, v1, 16, 1
	s_delay_alu instid0(VALU_DEP_1)
	v_add3_u32 v33, v1, v2, 0x7fff
                                        ; implicit-def: $vgpr1
; %bb.97:                               ;   in Loop: Header=BB158_33 Depth=1
	s_and_not1_saveexec_b32 s7, s0
; %bb.98:                               ;   in Loop: Header=BB158_33 Depth=1
	v_and_b32_e32 v2, 0xffff, v1
	v_or_b32_e32 v3, 0x10000, v1
	s_delay_alu instid0(VALU_DEP_2) | instskip(NEXT) | instid1(VALU_DEP_1)
	v_cmp_eq_u32_e64 s0, 0, v2
	v_cndmask_b32_e64 v33, v3, v1, s0
; %bb.99:                               ;   in Loop: Header=BB158_33 Depth=1
	s_or_b32 exec_lo, exec_lo, s7
	global_load_b128 v[1:4], v[8:9], off offset:512
	s_waitcnt vmcnt(0)
	v_lshrrev_b32_e32 v49, 16, v1
	v_lshrrev_b32_e32 v51, 16, v2
	;; [unrolled: 1-line block ×4, first 2 shown]
	s_and_saveexec_b32 s7, vcc_lo
	s_cbranch_execz .LBB158_101
; %bb.100:                              ;   in Loop: Header=BB158_33 Depth=1
	v_cmp_gt_i32_e64 s0, s15, v32
	s_delay_alu instid0(VALU_DEP_1) | instskip(SKIP_1) | instid1(VALU_DEP_1)
	v_cndmask_b32_e64 v1, 0, v1, s0
	v_cmp_gt_i32_e64 s0, s15, v39
	v_cndmask_b32_e64 v49, 0, v49, s0
	v_cmp_gt_i32_e64 s0, s15, v37
	s_delay_alu instid0(VALU_DEP_1) | instskip(SKIP_1) | instid1(VALU_DEP_1)
	v_cndmask_b32_e64 v2, 0, v2, s0
	v_cmp_gt_i32_e64 s0, s15, v36
	v_cndmask_b32_e64 v51, 0, v51, s0
	v_cmp_gt_i32_e64 s0, s15, v35
	s_delay_alu instid0(VALU_DEP_1) | instskip(SKIP_1) | instid1(VALU_DEP_1)
	v_cndmask_b32_e64 v3, 0, v3, s0
	v_cmp_gt_i32_e64 s0, s15, v34
	v_cndmask_b32_e64 v53, 0, v53, s0
	v_cmp_gt_i32_e64 s0, s15, v38
	s_delay_alu instid0(VALU_DEP_1) | instskip(SKIP_1) | instid1(VALU_DEP_1)
	v_cndmask_b32_e64 v4, 0, v4, s0
	v_cmp_gt_i32_e64 s0, s15, v26
	v_cndmask_b32_e64 v55, 0, v55, s0
.LBB158_101:                            ;   in Loop: Header=BB158_33 Depth=1
	s_or_b32 exec_lo, exec_lo, s7
	v_lshlrev_b32_e32 v1, 16, v1
	s_delay_alu instid0(VALU_DEP_1) | instskip(NEXT) | instid1(VALU_DEP_1)
	v_mul_f32_e32 v1, v40, v1
	v_and_b32_e32 v48, 0x7f800000, v1
	s_delay_alu instid0(VALU_DEP_1) | instskip(NEXT) | instid1(VALU_DEP_1)
	v_cmp_ne_u32_e64 s0, 0x7f800000, v48
                                        ; implicit-def: $vgpr48
	s_and_saveexec_b32 s7, s0
	s_delay_alu instid0(SALU_CYCLE_1)
	s_xor_b32 s0, exec_lo, s7
; %bb.102:                              ;   in Loop: Header=BB158_33 Depth=1
	v_bfe_u32 v48, v1, 16, 1
	s_delay_alu instid0(VALU_DEP_1)
	v_add3_u32 v48, v1, v48, 0x7fff
                                        ; implicit-def: $vgpr1
; %bb.103:                              ;   in Loop: Header=BB158_33 Depth=1
	s_and_not1_saveexec_b32 s7, s0
; %bb.104:                              ;   in Loop: Header=BB158_33 Depth=1
	v_and_b32_e32 v48, 0xffff, v1
	v_or_b32_e32 v50, 0x10000, v1
	s_delay_alu instid0(VALU_DEP_2) | instskip(NEXT) | instid1(VALU_DEP_1)
	v_cmp_eq_u32_e64 s0, 0, v48
	v_cndmask_b32_e64 v48, v50, v1, s0
; %bb.105:                              ;   in Loop: Header=BB158_33 Depth=1
	s_or_b32 exec_lo, exec_lo, s7
	v_lshlrev_b32_e32 v1, 16, v49
	s_delay_alu instid0(VALU_DEP_1) | instskip(NEXT) | instid1(VALU_DEP_1)
	v_mul_f32_e32 v1, v41, v1
	v_and_b32_e32 v49, 0x7f800000, v1
	s_delay_alu instid0(VALU_DEP_1) | instskip(NEXT) | instid1(VALU_DEP_1)
	v_cmp_ne_u32_e64 s0, 0x7f800000, v49
                                        ; implicit-def: $vgpr49
	s_and_saveexec_b32 s7, s0
	s_delay_alu instid0(SALU_CYCLE_1)
	s_xor_b32 s0, exec_lo, s7
; %bb.106:                              ;   in Loop: Header=BB158_33 Depth=1
	v_bfe_u32 v49, v1, 16, 1
	s_delay_alu instid0(VALU_DEP_1)
	v_add3_u32 v49, v1, v49, 0x7fff
                                        ; implicit-def: $vgpr1
; %bb.107:                              ;   in Loop: Header=BB158_33 Depth=1
	s_and_not1_saveexec_b32 s7, s0
; %bb.108:                              ;   in Loop: Header=BB158_33 Depth=1
	v_and_b32_e32 v49, 0xffff, v1
	v_or_b32_e32 v50, 0x10000, v1
	s_delay_alu instid0(VALU_DEP_2) | instskip(NEXT) | instid1(VALU_DEP_1)
	v_cmp_eq_u32_e64 s0, 0, v49
	v_cndmask_b32_e64 v49, v50, v1, s0
; %bb.109:                              ;   in Loop: Header=BB158_33 Depth=1
	s_or_b32 exec_lo, exec_lo, s7
	v_lshlrev_b32_e32 v1, 16, v2
                                        ; implicit-def: $vgpr50
	s_delay_alu instid0(VALU_DEP_1) | instskip(NEXT) | instid1(VALU_DEP_1)
	v_mul_f32_e32 v1, v42, v1
	v_and_b32_e32 v2, 0x7f800000, v1
	s_delay_alu instid0(VALU_DEP_1) | instskip(NEXT) | instid1(VALU_DEP_1)
	v_cmp_ne_u32_e64 s0, 0x7f800000, v2
	s_and_saveexec_b32 s7, s0
	s_delay_alu instid0(SALU_CYCLE_1)
	s_xor_b32 s0, exec_lo, s7
; %bb.110:                              ;   in Loop: Header=BB158_33 Depth=1
	v_bfe_u32 v2, v1, 16, 1
	s_delay_alu instid0(VALU_DEP_1)
	v_add3_u32 v50, v1, v2, 0x7fff
                                        ; implicit-def: $vgpr1
; %bb.111:                              ;   in Loop: Header=BB158_33 Depth=1
	s_and_not1_saveexec_b32 s7, s0
; %bb.112:                              ;   in Loop: Header=BB158_33 Depth=1
	v_and_b32_e32 v2, 0xffff, v1
	v_or_b32_e32 v50, 0x10000, v1
	s_delay_alu instid0(VALU_DEP_2) | instskip(NEXT) | instid1(VALU_DEP_1)
	v_cmp_eq_u32_e64 s0, 0, v2
	v_cndmask_b32_e64 v50, v50, v1, s0
; %bb.113:                              ;   in Loop: Header=BB158_33 Depth=1
	s_or_b32 exec_lo, exec_lo, s7
	v_lshlrev_b32_e32 v1, 16, v51
                                        ; implicit-def: $vgpr51
	s_delay_alu instid0(VALU_DEP_1) | instskip(NEXT) | instid1(VALU_DEP_1)
	v_mul_f32_e32 v1, v43, v1
	v_and_b32_e32 v2, 0x7f800000, v1
	s_delay_alu instid0(VALU_DEP_1) | instskip(NEXT) | instid1(VALU_DEP_1)
	v_cmp_ne_u32_e64 s0, 0x7f800000, v2
	s_and_saveexec_b32 s7, s0
	s_delay_alu instid0(SALU_CYCLE_1)
	s_xor_b32 s0, exec_lo, s7
; %bb.114:                              ;   in Loop: Header=BB158_33 Depth=1
	v_bfe_u32 v2, v1, 16, 1
	s_delay_alu instid0(VALU_DEP_1)
	v_add3_u32 v51, v1, v2, 0x7fff
                                        ; implicit-def: $vgpr1
; %bb.115:                              ;   in Loop: Header=BB158_33 Depth=1
	s_and_not1_saveexec_b32 s7, s0
; %bb.116:                              ;   in Loop: Header=BB158_33 Depth=1
	v_and_b32_e32 v2, 0xffff, v1
	v_or_b32_e32 v51, 0x10000, v1
	s_delay_alu instid0(VALU_DEP_2) | instskip(NEXT) | instid1(VALU_DEP_1)
	v_cmp_eq_u32_e64 s0, 0, v2
	v_cndmask_b32_e64 v51, v51, v1, s0
; %bb.117:                              ;   in Loop: Header=BB158_33 Depth=1
	s_or_b32 exec_lo, exec_lo, s7
	v_lshlrev_b32_e32 v1, 16, v3
                                        ; implicit-def: $vgpr52
	s_delay_alu instid0(VALU_DEP_1) | instskip(NEXT) | instid1(VALU_DEP_1)
	v_mul_f32_e32 v1, v44, v1
	v_and_b32_e32 v2, 0x7f800000, v1
	s_delay_alu instid0(VALU_DEP_1) | instskip(NEXT) | instid1(VALU_DEP_1)
	v_cmp_ne_u32_e64 s0, 0x7f800000, v2
	s_and_saveexec_b32 s7, s0
	s_delay_alu instid0(SALU_CYCLE_1)
	s_xor_b32 s0, exec_lo, s7
; %bb.118:                              ;   in Loop: Header=BB158_33 Depth=1
	v_bfe_u32 v2, v1, 16, 1
	s_delay_alu instid0(VALU_DEP_1)
	v_add3_u32 v52, v1, v2, 0x7fff
                                        ; implicit-def: $vgpr1
; %bb.119:                              ;   in Loop: Header=BB158_33 Depth=1
	s_and_not1_saveexec_b32 s7, s0
; %bb.120:                              ;   in Loop: Header=BB158_33 Depth=1
	v_and_b32_e32 v2, 0xffff, v1
	v_or_b32_e32 v3, 0x10000, v1
	s_delay_alu instid0(VALU_DEP_2) | instskip(NEXT) | instid1(VALU_DEP_1)
	v_cmp_eq_u32_e64 s0, 0, v2
	v_cndmask_b32_e64 v52, v3, v1, s0
; %bb.121:                              ;   in Loop: Header=BB158_33 Depth=1
	s_or_b32 exec_lo, exec_lo, s7
	v_lshlrev_b32_e32 v1, 16, v53
                                        ; implicit-def: $vgpr53
	s_delay_alu instid0(VALU_DEP_1) | instskip(NEXT) | instid1(VALU_DEP_1)
	v_mul_f32_e32 v1, v45, v1
	v_and_b32_e32 v2, 0x7f800000, v1
	s_delay_alu instid0(VALU_DEP_1) | instskip(NEXT) | instid1(VALU_DEP_1)
	v_cmp_ne_u32_e64 s0, 0x7f800000, v2
	s_and_saveexec_b32 s7, s0
	s_delay_alu instid0(SALU_CYCLE_1)
	s_xor_b32 s0, exec_lo, s7
; %bb.122:                              ;   in Loop: Header=BB158_33 Depth=1
	v_bfe_u32 v2, v1, 16, 1
	s_delay_alu instid0(VALU_DEP_1)
	v_add3_u32 v53, v1, v2, 0x7fff
                                        ; implicit-def: $vgpr1
; %bb.123:                              ;   in Loop: Header=BB158_33 Depth=1
	s_and_not1_saveexec_b32 s7, s0
; %bb.124:                              ;   in Loop: Header=BB158_33 Depth=1
	v_and_b32_e32 v2, 0xffff, v1
	v_or_b32_e32 v3, 0x10000, v1
	s_delay_alu instid0(VALU_DEP_2) | instskip(NEXT) | instid1(VALU_DEP_1)
	v_cmp_eq_u32_e64 s0, 0, v2
	v_cndmask_b32_e64 v53, v3, v1, s0
; %bb.125:                              ;   in Loop: Header=BB158_33 Depth=1
	s_or_b32 exec_lo, exec_lo, s7
	v_lshlrev_b32_e32 v1, 16, v4
                                        ; implicit-def: $vgpr54
	s_delay_alu instid0(VALU_DEP_1) | instskip(NEXT) | instid1(VALU_DEP_1)
	v_mul_f32_e32 v1, v46, v1
	v_and_b32_e32 v2, 0x7f800000, v1
	s_delay_alu instid0(VALU_DEP_1) | instskip(NEXT) | instid1(VALU_DEP_1)
	v_cmp_ne_u32_e64 s0, 0x7f800000, v2
	s_and_saveexec_b32 s7, s0
	s_delay_alu instid0(SALU_CYCLE_1)
	s_xor_b32 s0, exec_lo, s7
; %bb.126:                              ;   in Loop: Header=BB158_33 Depth=1
	v_bfe_u32 v2, v1, 16, 1
	s_delay_alu instid0(VALU_DEP_1)
	v_add3_u32 v54, v1, v2, 0x7fff
                                        ; implicit-def: $vgpr1
; %bb.127:                              ;   in Loop: Header=BB158_33 Depth=1
	s_and_not1_saveexec_b32 s7, s0
; %bb.128:                              ;   in Loop: Header=BB158_33 Depth=1
	v_and_b32_e32 v2, 0xffff, v1
	v_or_b32_e32 v3, 0x10000, v1
	s_delay_alu instid0(VALU_DEP_2) | instskip(NEXT) | instid1(VALU_DEP_1)
	v_cmp_eq_u32_e64 s0, 0, v2
	v_cndmask_b32_e64 v54, v3, v1, s0
; %bb.129:                              ;   in Loop: Header=BB158_33 Depth=1
	s_or_b32 exec_lo, exec_lo, s7
	v_lshlrev_b32_e32 v1, 16, v55
                                        ; implicit-def: $vgpr55
	s_delay_alu instid0(VALU_DEP_1) | instskip(NEXT) | instid1(VALU_DEP_1)
	v_mul_f32_e32 v1, v47, v1
	v_and_b32_e32 v2, 0x7f800000, v1
	s_delay_alu instid0(VALU_DEP_1) | instskip(NEXT) | instid1(VALU_DEP_1)
	v_cmp_ne_u32_e64 s0, 0x7f800000, v2
	s_and_saveexec_b32 s7, s0
	s_delay_alu instid0(SALU_CYCLE_1)
	s_xor_b32 s0, exec_lo, s7
; %bb.130:                              ;   in Loop: Header=BB158_33 Depth=1
	v_bfe_u32 v2, v1, 16, 1
	s_delay_alu instid0(VALU_DEP_1)
	v_add3_u32 v55, v1, v2, 0x7fff
                                        ; implicit-def: $vgpr1
; %bb.131:                              ;   in Loop: Header=BB158_33 Depth=1
	s_and_not1_saveexec_b32 s7, s0
; %bb.132:                              ;   in Loop: Header=BB158_33 Depth=1
	v_and_b32_e32 v2, 0xffff, v1
	v_or_b32_e32 v3, 0x10000, v1
	s_delay_alu instid0(VALU_DEP_2) | instskip(NEXT) | instid1(VALU_DEP_1)
	v_cmp_eq_u32_e64 s0, 0, v2
	v_cndmask_b32_e64 v55, v3, v1, s0
; %bb.133:                              ;   in Loop: Header=BB158_33 Depth=1
	s_or_b32 exec_lo, exec_lo, s7
	global_load_b128 v[1:4], v[8:9], off offset:1024
	s_waitcnt vmcnt(0)
	v_lshrrev_b32_e32 v57, 16, v1
	v_lshrrev_b32_e32 v59, 16, v2
	v_lshrrev_b32_e32 v61, 16, v3
	v_lshrrev_b32_e32 v63, 16, v4
	s_and_saveexec_b32 s7, vcc_lo
	s_cbranch_execz .LBB158_135
; %bb.134:                              ;   in Loop: Header=BB158_33 Depth=1
	v_cmp_gt_i32_e64 s0, s15, v32
	s_delay_alu instid0(VALU_DEP_1) | instskip(SKIP_1) | instid1(VALU_DEP_1)
	v_cndmask_b32_e64 v1, 0, v1, s0
	v_cmp_gt_i32_e64 s0, s15, v39
	v_cndmask_b32_e64 v57, 0, v57, s0
	v_cmp_gt_i32_e64 s0, s15, v37
	s_delay_alu instid0(VALU_DEP_1) | instskip(SKIP_1) | instid1(VALU_DEP_1)
	v_cndmask_b32_e64 v2, 0, v2, s0
	v_cmp_gt_i32_e64 s0, s15, v36
	v_cndmask_b32_e64 v59, 0, v59, s0
	;; [unrolled: 5-line block ×4, first 2 shown]
.LBB158_135:                            ;   in Loop: Header=BB158_33 Depth=1
	s_or_b32 exec_lo, exec_lo, s7
	v_lshlrev_b32_e32 v1, 16, v1
	s_delay_alu instid0(VALU_DEP_1) | instskip(NEXT) | instid1(VALU_DEP_1)
	v_mul_f32_e32 v1, v40, v1
	v_and_b32_e32 v56, 0x7f800000, v1
	s_delay_alu instid0(VALU_DEP_1) | instskip(NEXT) | instid1(VALU_DEP_1)
	v_cmp_ne_u32_e64 s0, 0x7f800000, v56
                                        ; implicit-def: $vgpr56
	s_and_saveexec_b32 s7, s0
	s_delay_alu instid0(SALU_CYCLE_1)
	s_xor_b32 s0, exec_lo, s7
; %bb.136:                              ;   in Loop: Header=BB158_33 Depth=1
	v_bfe_u32 v56, v1, 16, 1
	s_delay_alu instid0(VALU_DEP_1)
	v_add3_u32 v56, v1, v56, 0x7fff
                                        ; implicit-def: $vgpr1
; %bb.137:                              ;   in Loop: Header=BB158_33 Depth=1
	s_and_not1_saveexec_b32 s7, s0
; %bb.138:                              ;   in Loop: Header=BB158_33 Depth=1
	v_and_b32_e32 v56, 0xffff, v1
	v_or_b32_e32 v58, 0x10000, v1
	s_delay_alu instid0(VALU_DEP_2) | instskip(NEXT) | instid1(VALU_DEP_1)
	v_cmp_eq_u32_e64 s0, 0, v56
	v_cndmask_b32_e64 v56, v58, v1, s0
; %bb.139:                              ;   in Loop: Header=BB158_33 Depth=1
	s_or_b32 exec_lo, exec_lo, s7
	v_lshlrev_b32_e32 v1, 16, v57
	s_delay_alu instid0(VALU_DEP_1) | instskip(NEXT) | instid1(VALU_DEP_1)
	v_mul_f32_e32 v1, v41, v1
	v_and_b32_e32 v57, 0x7f800000, v1
	s_delay_alu instid0(VALU_DEP_1) | instskip(NEXT) | instid1(VALU_DEP_1)
	v_cmp_ne_u32_e64 s0, 0x7f800000, v57
                                        ; implicit-def: $vgpr57
	s_and_saveexec_b32 s7, s0
	s_delay_alu instid0(SALU_CYCLE_1)
	s_xor_b32 s0, exec_lo, s7
; %bb.140:                              ;   in Loop: Header=BB158_33 Depth=1
	v_bfe_u32 v57, v1, 16, 1
	s_delay_alu instid0(VALU_DEP_1)
	v_add3_u32 v57, v1, v57, 0x7fff
                                        ; implicit-def: $vgpr1
; %bb.141:                              ;   in Loop: Header=BB158_33 Depth=1
	s_and_not1_saveexec_b32 s7, s0
; %bb.142:                              ;   in Loop: Header=BB158_33 Depth=1
	v_and_b32_e32 v57, 0xffff, v1
	v_or_b32_e32 v58, 0x10000, v1
	s_delay_alu instid0(VALU_DEP_2) | instskip(NEXT) | instid1(VALU_DEP_1)
	v_cmp_eq_u32_e64 s0, 0, v57
	v_cndmask_b32_e64 v57, v58, v1, s0
; %bb.143:                              ;   in Loop: Header=BB158_33 Depth=1
	s_or_b32 exec_lo, exec_lo, s7
	v_lshlrev_b32_e32 v1, 16, v2
                                        ; implicit-def: $vgpr58
	s_delay_alu instid0(VALU_DEP_1) | instskip(NEXT) | instid1(VALU_DEP_1)
	v_mul_f32_e32 v1, v42, v1
	v_and_b32_e32 v2, 0x7f800000, v1
	s_delay_alu instid0(VALU_DEP_1) | instskip(NEXT) | instid1(VALU_DEP_1)
	v_cmp_ne_u32_e64 s0, 0x7f800000, v2
	s_and_saveexec_b32 s7, s0
	s_delay_alu instid0(SALU_CYCLE_1)
	s_xor_b32 s0, exec_lo, s7
; %bb.144:                              ;   in Loop: Header=BB158_33 Depth=1
	v_bfe_u32 v2, v1, 16, 1
	s_delay_alu instid0(VALU_DEP_1)
	v_add3_u32 v58, v1, v2, 0x7fff
                                        ; implicit-def: $vgpr1
; %bb.145:                              ;   in Loop: Header=BB158_33 Depth=1
	s_and_not1_saveexec_b32 s7, s0
; %bb.146:                              ;   in Loop: Header=BB158_33 Depth=1
	v_and_b32_e32 v2, 0xffff, v1
	v_or_b32_e32 v58, 0x10000, v1
	s_delay_alu instid0(VALU_DEP_2) | instskip(NEXT) | instid1(VALU_DEP_1)
	v_cmp_eq_u32_e64 s0, 0, v2
	v_cndmask_b32_e64 v58, v58, v1, s0
; %bb.147:                              ;   in Loop: Header=BB158_33 Depth=1
	s_or_b32 exec_lo, exec_lo, s7
	v_lshlrev_b32_e32 v1, 16, v59
                                        ; implicit-def: $vgpr59
	s_delay_alu instid0(VALU_DEP_1) | instskip(NEXT) | instid1(VALU_DEP_1)
	v_mul_f32_e32 v1, v43, v1
	v_and_b32_e32 v2, 0x7f800000, v1
	s_delay_alu instid0(VALU_DEP_1) | instskip(NEXT) | instid1(VALU_DEP_1)
	v_cmp_ne_u32_e64 s0, 0x7f800000, v2
	s_and_saveexec_b32 s7, s0
	s_delay_alu instid0(SALU_CYCLE_1)
	s_xor_b32 s0, exec_lo, s7
; %bb.148:                              ;   in Loop: Header=BB158_33 Depth=1
	v_bfe_u32 v2, v1, 16, 1
	s_delay_alu instid0(VALU_DEP_1)
	v_add3_u32 v59, v1, v2, 0x7fff
                                        ; implicit-def: $vgpr1
; %bb.149:                              ;   in Loop: Header=BB158_33 Depth=1
	s_and_not1_saveexec_b32 s7, s0
; %bb.150:                              ;   in Loop: Header=BB158_33 Depth=1
	v_and_b32_e32 v2, 0xffff, v1
	v_or_b32_e32 v59, 0x10000, v1
	s_delay_alu instid0(VALU_DEP_2) | instskip(NEXT) | instid1(VALU_DEP_1)
	v_cmp_eq_u32_e64 s0, 0, v2
	v_cndmask_b32_e64 v59, v59, v1, s0
; %bb.151:                              ;   in Loop: Header=BB158_33 Depth=1
	s_or_b32 exec_lo, exec_lo, s7
	v_lshlrev_b32_e32 v1, 16, v3
                                        ; implicit-def: $vgpr60
	s_delay_alu instid0(VALU_DEP_1) | instskip(NEXT) | instid1(VALU_DEP_1)
	v_mul_f32_e32 v1, v44, v1
	v_and_b32_e32 v2, 0x7f800000, v1
	s_delay_alu instid0(VALU_DEP_1) | instskip(NEXT) | instid1(VALU_DEP_1)
	v_cmp_ne_u32_e64 s0, 0x7f800000, v2
	s_and_saveexec_b32 s7, s0
	s_delay_alu instid0(SALU_CYCLE_1)
	s_xor_b32 s0, exec_lo, s7
; %bb.152:                              ;   in Loop: Header=BB158_33 Depth=1
	v_bfe_u32 v2, v1, 16, 1
	s_delay_alu instid0(VALU_DEP_1)
	v_add3_u32 v60, v1, v2, 0x7fff
                                        ; implicit-def: $vgpr1
; %bb.153:                              ;   in Loop: Header=BB158_33 Depth=1
	s_and_not1_saveexec_b32 s7, s0
; %bb.154:                              ;   in Loop: Header=BB158_33 Depth=1
	v_and_b32_e32 v2, 0xffff, v1
	v_or_b32_e32 v3, 0x10000, v1
	s_delay_alu instid0(VALU_DEP_2) | instskip(NEXT) | instid1(VALU_DEP_1)
	v_cmp_eq_u32_e64 s0, 0, v2
	v_cndmask_b32_e64 v60, v3, v1, s0
; %bb.155:                              ;   in Loop: Header=BB158_33 Depth=1
	s_or_b32 exec_lo, exec_lo, s7
	v_lshlrev_b32_e32 v1, 16, v61
                                        ; implicit-def: $vgpr61
	s_delay_alu instid0(VALU_DEP_1) | instskip(NEXT) | instid1(VALU_DEP_1)
	v_mul_f32_e32 v1, v45, v1
	v_and_b32_e32 v2, 0x7f800000, v1
	s_delay_alu instid0(VALU_DEP_1) | instskip(NEXT) | instid1(VALU_DEP_1)
	v_cmp_ne_u32_e64 s0, 0x7f800000, v2
	s_and_saveexec_b32 s7, s0
	s_delay_alu instid0(SALU_CYCLE_1)
	s_xor_b32 s0, exec_lo, s7
; %bb.156:                              ;   in Loop: Header=BB158_33 Depth=1
	v_bfe_u32 v2, v1, 16, 1
	s_delay_alu instid0(VALU_DEP_1)
	v_add3_u32 v61, v1, v2, 0x7fff
                                        ; implicit-def: $vgpr1
; %bb.157:                              ;   in Loop: Header=BB158_33 Depth=1
	s_and_not1_saveexec_b32 s7, s0
; %bb.158:                              ;   in Loop: Header=BB158_33 Depth=1
	v_and_b32_e32 v2, 0xffff, v1
	v_or_b32_e32 v3, 0x10000, v1
	s_delay_alu instid0(VALU_DEP_2) | instskip(NEXT) | instid1(VALU_DEP_1)
	v_cmp_eq_u32_e64 s0, 0, v2
	v_cndmask_b32_e64 v61, v3, v1, s0
; %bb.159:                              ;   in Loop: Header=BB158_33 Depth=1
	s_or_b32 exec_lo, exec_lo, s7
	v_lshlrev_b32_e32 v1, 16, v4
                                        ; implicit-def: $vgpr62
	s_delay_alu instid0(VALU_DEP_1) | instskip(NEXT) | instid1(VALU_DEP_1)
	v_mul_f32_e32 v1, v46, v1
	v_and_b32_e32 v2, 0x7f800000, v1
	s_delay_alu instid0(VALU_DEP_1) | instskip(NEXT) | instid1(VALU_DEP_1)
	v_cmp_ne_u32_e64 s0, 0x7f800000, v2
	s_and_saveexec_b32 s7, s0
	s_delay_alu instid0(SALU_CYCLE_1)
	s_xor_b32 s0, exec_lo, s7
; %bb.160:                              ;   in Loop: Header=BB158_33 Depth=1
	v_bfe_u32 v2, v1, 16, 1
	s_delay_alu instid0(VALU_DEP_1)
	v_add3_u32 v62, v1, v2, 0x7fff
                                        ; implicit-def: $vgpr1
; %bb.161:                              ;   in Loop: Header=BB158_33 Depth=1
	s_and_not1_saveexec_b32 s7, s0
; %bb.162:                              ;   in Loop: Header=BB158_33 Depth=1
	v_and_b32_e32 v2, 0xffff, v1
	v_or_b32_e32 v3, 0x10000, v1
	s_delay_alu instid0(VALU_DEP_2) | instskip(NEXT) | instid1(VALU_DEP_1)
	v_cmp_eq_u32_e64 s0, 0, v2
	v_cndmask_b32_e64 v62, v3, v1, s0
; %bb.163:                              ;   in Loop: Header=BB158_33 Depth=1
	s_or_b32 exec_lo, exec_lo, s7
	v_lshlrev_b32_e32 v1, 16, v63
                                        ; implicit-def: $vgpr63
	s_delay_alu instid0(VALU_DEP_1) | instskip(NEXT) | instid1(VALU_DEP_1)
	v_mul_f32_e32 v1, v47, v1
	v_and_b32_e32 v2, 0x7f800000, v1
	s_delay_alu instid0(VALU_DEP_1) | instskip(NEXT) | instid1(VALU_DEP_1)
	v_cmp_ne_u32_e64 s0, 0x7f800000, v2
	s_and_saveexec_b32 s7, s0
	s_delay_alu instid0(SALU_CYCLE_1)
	s_xor_b32 s0, exec_lo, s7
; %bb.164:                              ;   in Loop: Header=BB158_33 Depth=1
	v_bfe_u32 v2, v1, 16, 1
	s_delay_alu instid0(VALU_DEP_1)
	v_add3_u32 v63, v1, v2, 0x7fff
                                        ; implicit-def: $vgpr1
; %bb.165:                              ;   in Loop: Header=BB158_33 Depth=1
	s_and_not1_saveexec_b32 s7, s0
; %bb.166:                              ;   in Loop: Header=BB158_33 Depth=1
	v_and_b32_e32 v2, 0xffff, v1
	v_or_b32_e32 v3, 0x10000, v1
	s_delay_alu instid0(VALU_DEP_2) | instskip(NEXT) | instid1(VALU_DEP_1)
	v_cmp_eq_u32_e64 s0, 0, v2
	v_cndmask_b32_e64 v63, v3, v1, s0
; %bb.167:                              ;   in Loop: Header=BB158_33 Depth=1
	s_or_b32 exec_lo, exec_lo, s7
	global_load_b128 v[1:4], v[8:9], off offset:1536
	s_waitcnt vmcnt(0)
	v_lshrrev_b32_e32 v65, 16, v1
	v_lshrrev_b32_e32 v67, 16, v2
	;; [unrolled: 1-line block ×4, first 2 shown]
	s_and_saveexec_b32 s7, vcc_lo
	s_cbranch_execz .LBB158_169
; %bb.168:                              ;   in Loop: Header=BB158_33 Depth=1
	v_cmp_gt_i32_e64 s0, s15, v32
	s_delay_alu instid0(VALU_DEP_1) | instskip(SKIP_1) | instid1(VALU_DEP_1)
	v_cndmask_b32_e64 v1, 0, v1, s0
	v_cmp_gt_i32_e64 s0, s15, v39
	v_cndmask_b32_e64 v65, 0, v65, s0
	v_cmp_gt_i32_e64 s0, s15, v37
	s_delay_alu instid0(VALU_DEP_1) | instskip(SKIP_1) | instid1(VALU_DEP_1)
	v_cndmask_b32_e64 v2, 0, v2, s0
	v_cmp_gt_i32_e64 s0, s15, v36
	v_cndmask_b32_e64 v67, 0, v67, s0
	;; [unrolled: 5-line block ×4, first 2 shown]
.LBB158_169:                            ;   in Loop: Header=BB158_33 Depth=1
	s_or_b32 exec_lo, exec_lo, s7
	v_lshlrev_b32_e32 v1, 16, v1
	s_delay_alu instid0(VALU_DEP_1) | instskip(NEXT) | instid1(VALU_DEP_1)
	v_mul_f32_e32 v1, v40, v1
	v_and_b32_e32 v64, 0x7f800000, v1
	s_delay_alu instid0(VALU_DEP_1) | instskip(NEXT) | instid1(VALU_DEP_1)
	v_cmp_ne_u32_e64 s0, 0x7f800000, v64
                                        ; implicit-def: $vgpr64
	s_and_saveexec_b32 s7, s0
	s_delay_alu instid0(SALU_CYCLE_1)
	s_xor_b32 s0, exec_lo, s7
; %bb.170:                              ;   in Loop: Header=BB158_33 Depth=1
	v_bfe_u32 v64, v1, 16, 1
	s_delay_alu instid0(VALU_DEP_1)
	v_add3_u32 v64, v1, v64, 0x7fff
                                        ; implicit-def: $vgpr1
; %bb.171:                              ;   in Loop: Header=BB158_33 Depth=1
	s_and_not1_saveexec_b32 s7, s0
; %bb.172:                              ;   in Loop: Header=BB158_33 Depth=1
	v_and_b32_e32 v64, 0xffff, v1
	v_or_b32_e32 v66, 0x10000, v1
	s_delay_alu instid0(VALU_DEP_2) | instskip(NEXT) | instid1(VALU_DEP_1)
	v_cmp_eq_u32_e64 s0, 0, v64
	v_cndmask_b32_e64 v64, v66, v1, s0
; %bb.173:                              ;   in Loop: Header=BB158_33 Depth=1
	s_or_b32 exec_lo, exec_lo, s7
	v_lshlrev_b32_e32 v1, 16, v65
	s_delay_alu instid0(VALU_DEP_1) | instskip(NEXT) | instid1(VALU_DEP_1)
	v_mul_f32_e32 v1, v41, v1
	v_and_b32_e32 v65, 0x7f800000, v1
	s_delay_alu instid0(VALU_DEP_1) | instskip(NEXT) | instid1(VALU_DEP_1)
	v_cmp_ne_u32_e64 s0, 0x7f800000, v65
                                        ; implicit-def: $vgpr65
	s_and_saveexec_b32 s7, s0
	s_delay_alu instid0(SALU_CYCLE_1)
	s_xor_b32 s0, exec_lo, s7
; %bb.174:                              ;   in Loop: Header=BB158_33 Depth=1
	v_bfe_u32 v65, v1, 16, 1
	s_delay_alu instid0(VALU_DEP_1)
	v_add3_u32 v65, v1, v65, 0x7fff
                                        ; implicit-def: $vgpr1
; %bb.175:                              ;   in Loop: Header=BB158_33 Depth=1
	s_and_not1_saveexec_b32 s7, s0
; %bb.176:                              ;   in Loop: Header=BB158_33 Depth=1
	v_and_b32_e32 v65, 0xffff, v1
	v_or_b32_e32 v66, 0x10000, v1
	s_delay_alu instid0(VALU_DEP_2) | instskip(NEXT) | instid1(VALU_DEP_1)
	v_cmp_eq_u32_e64 s0, 0, v65
	v_cndmask_b32_e64 v65, v66, v1, s0
; %bb.177:                              ;   in Loop: Header=BB158_33 Depth=1
	s_or_b32 exec_lo, exec_lo, s7
	v_lshlrev_b32_e32 v1, 16, v2
                                        ; implicit-def: $vgpr66
	s_delay_alu instid0(VALU_DEP_1) | instskip(NEXT) | instid1(VALU_DEP_1)
	v_mul_f32_e32 v1, v42, v1
	v_and_b32_e32 v2, 0x7f800000, v1
	s_delay_alu instid0(VALU_DEP_1) | instskip(NEXT) | instid1(VALU_DEP_1)
	v_cmp_ne_u32_e64 s0, 0x7f800000, v2
	s_and_saveexec_b32 s7, s0
	s_delay_alu instid0(SALU_CYCLE_1)
	s_xor_b32 s0, exec_lo, s7
; %bb.178:                              ;   in Loop: Header=BB158_33 Depth=1
	v_bfe_u32 v2, v1, 16, 1
	s_delay_alu instid0(VALU_DEP_1)
	v_add3_u32 v66, v1, v2, 0x7fff
                                        ; implicit-def: $vgpr1
; %bb.179:                              ;   in Loop: Header=BB158_33 Depth=1
	s_and_not1_saveexec_b32 s7, s0
; %bb.180:                              ;   in Loop: Header=BB158_33 Depth=1
	v_and_b32_e32 v2, 0xffff, v1
	v_or_b32_e32 v66, 0x10000, v1
	s_delay_alu instid0(VALU_DEP_2) | instskip(NEXT) | instid1(VALU_DEP_1)
	v_cmp_eq_u32_e64 s0, 0, v2
	v_cndmask_b32_e64 v66, v66, v1, s0
; %bb.181:                              ;   in Loop: Header=BB158_33 Depth=1
	s_or_b32 exec_lo, exec_lo, s7
	v_lshlrev_b32_e32 v1, 16, v67
                                        ; implicit-def: $vgpr67
	s_delay_alu instid0(VALU_DEP_1) | instskip(NEXT) | instid1(VALU_DEP_1)
	v_mul_f32_e32 v1, v43, v1
	v_and_b32_e32 v2, 0x7f800000, v1
	s_delay_alu instid0(VALU_DEP_1) | instskip(NEXT) | instid1(VALU_DEP_1)
	v_cmp_ne_u32_e64 s0, 0x7f800000, v2
	s_and_saveexec_b32 s7, s0
	s_delay_alu instid0(SALU_CYCLE_1)
	s_xor_b32 s0, exec_lo, s7
; %bb.182:                              ;   in Loop: Header=BB158_33 Depth=1
	v_bfe_u32 v2, v1, 16, 1
	s_delay_alu instid0(VALU_DEP_1)
	v_add3_u32 v67, v1, v2, 0x7fff
                                        ; implicit-def: $vgpr1
; %bb.183:                              ;   in Loop: Header=BB158_33 Depth=1
	s_and_not1_saveexec_b32 s7, s0
; %bb.184:                              ;   in Loop: Header=BB158_33 Depth=1
	v_and_b32_e32 v2, 0xffff, v1
	v_or_b32_e32 v67, 0x10000, v1
	s_delay_alu instid0(VALU_DEP_2) | instskip(NEXT) | instid1(VALU_DEP_1)
	v_cmp_eq_u32_e64 s0, 0, v2
	v_cndmask_b32_e64 v67, v67, v1, s0
; %bb.185:                              ;   in Loop: Header=BB158_33 Depth=1
	s_or_b32 exec_lo, exec_lo, s7
	v_lshlrev_b32_e32 v1, 16, v3
                                        ; implicit-def: $vgpr68
	s_delay_alu instid0(VALU_DEP_1) | instskip(NEXT) | instid1(VALU_DEP_1)
	v_mul_f32_e32 v1, v44, v1
	v_and_b32_e32 v2, 0x7f800000, v1
	s_delay_alu instid0(VALU_DEP_1) | instskip(NEXT) | instid1(VALU_DEP_1)
	v_cmp_ne_u32_e64 s0, 0x7f800000, v2
	s_and_saveexec_b32 s7, s0
	s_delay_alu instid0(SALU_CYCLE_1)
	s_xor_b32 s0, exec_lo, s7
; %bb.186:                              ;   in Loop: Header=BB158_33 Depth=1
	v_bfe_u32 v2, v1, 16, 1
	s_delay_alu instid0(VALU_DEP_1)
	v_add3_u32 v68, v1, v2, 0x7fff
                                        ; implicit-def: $vgpr1
; %bb.187:                              ;   in Loop: Header=BB158_33 Depth=1
	s_and_not1_saveexec_b32 s7, s0
; %bb.188:                              ;   in Loop: Header=BB158_33 Depth=1
	v_and_b32_e32 v2, 0xffff, v1
	v_or_b32_e32 v3, 0x10000, v1
	s_delay_alu instid0(VALU_DEP_2) | instskip(NEXT) | instid1(VALU_DEP_1)
	v_cmp_eq_u32_e64 s0, 0, v2
	v_cndmask_b32_e64 v68, v3, v1, s0
; %bb.189:                              ;   in Loop: Header=BB158_33 Depth=1
	s_or_b32 exec_lo, exec_lo, s7
	v_lshlrev_b32_e32 v1, 16, v69
                                        ; implicit-def: $vgpr69
	s_delay_alu instid0(VALU_DEP_1) | instskip(NEXT) | instid1(VALU_DEP_1)
	v_mul_f32_e32 v1, v45, v1
	v_and_b32_e32 v2, 0x7f800000, v1
	s_delay_alu instid0(VALU_DEP_1) | instskip(NEXT) | instid1(VALU_DEP_1)
	v_cmp_ne_u32_e64 s0, 0x7f800000, v2
	s_and_saveexec_b32 s7, s0
	s_delay_alu instid0(SALU_CYCLE_1)
	s_xor_b32 s0, exec_lo, s7
; %bb.190:                              ;   in Loop: Header=BB158_33 Depth=1
	v_bfe_u32 v2, v1, 16, 1
	s_delay_alu instid0(VALU_DEP_1)
	v_add3_u32 v69, v1, v2, 0x7fff
                                        ; implicit-def: $vgpr1
; %bb.191:                              ;   in Loop: Header=BB158_33 Depth=1
	s_and_not1_saveexec_b32 s7, s0
; %bb.192:                              ;   in Loop: Header=BB158_33 Depth=1
	v_and_b32_e32 v2, 0xffff, v1
	v_or_b32_e32 v3, 0x10000, v1
	s_delay_alu instid0(VALU_DEP_2) | instskip(NEXT) | instid1(VALU_DEP_1)
	v_cmp_eq_u32_e64 s0, 0, v2
	v_cndmask_b32_e64 v69, v3, v1, s0
; %bb.193:                              ;   in Loop: Header=BB158_33 Depth=1
	s_or_b32 exec_lo, exec_lo, s7
	v_lshlrev_b32_e32 v1, 16, v4
                                        ; implicit-def: $vgpr70
	s_delay_alu instid0(VALU_DEP_1) | instskip(NEXT) | instid1(VALU_DEP_1)
	v_mul_f32_e32 v1, v46, v1
	v_and_b32_e32 v2, 0x7f800000, v1
	s_delay_alu instid0(VALU_DEP_1) | instskip(NEXT) | instid1(VALU_DEP_1)
	v_cmp_ne_u32_e64 s0, 0x7f800000, v2
	s_and_saveexec_b32 s7, s0
	s_delay_alu instid0(SALU_CYCLE_1)
	s_xor_b32 s0, exec_lo, s7
; %bb.194:                              ;   in Loop: Header=BB158_33 Depth=1
	v_bfe_u32 v2, v1, 16, 1
	s_delay_alu instid0(VALU_DEP_1)
	v_add3_u32 v70, v1, v2, 0x7fff
                                        ; implicit-def: $vgpr1
; %bb.195:                              ;   in Loop: Header=BB158_33 Depth=1
	s_and_not1_saveexec_b32 s7, s0
; %bb.196:                              ;   in Loop: Header=BB158_33 Depth=1
	v_and_b32_e32 v2, 0xffff, v1
	v_or_b32_e32 v3, 0x10000, v1
	s_delay_alu instid0(VALU_DEP_2) | instskip(NEXT) | instid1(VALU_DEP_1)
	v_cmp_eq_u32_e64 s0, 0, v2
	v_cndmask_b32_e64 v70, v3, v1, s0
; %bb.197:                              ;   in Loop: Header=BB158_33 Depth=1
	s_or_b32 exec_lo, exec_lo, s7
	v_lshlrev_b32_e32 v1, 16, v71
                                        ; implicit-def: $vgpr71
	s_delay_alu instid0(VALU_DEP_1) | instskip(NEXT) | instid1(VALU_DEP_1)
	v_mul_f32_e32 v1, v47, v1
	v_and_b32_e32 v2, 0x7f800000, v1
	s_delay_alu instid0(VALU_DEP_1) | instskip(NEXT) | instid1(VALU_DEP_1)
	v_cmp_ne_u32_e64 s0, 0x7f800000, v2
	s_and_saveexec_b32 s7, s0
	s_delay_alu instid0(SALU_CYCLE_1)
	s_xor_b32 s0, exec_lo, s7
; %bb.198:                              ;   in Loop: Header=BB158_33 Depth=1
	v_bfe_u32 v2, v1, 16, 1
	s_delay_alu instid0(VALU_DEP_1)
	v_add3_u32 v71, v1, v2, 0x7fff
                                        ; implicit-def: $vgpr1
; %bb.199:                              ;   in Loop: Header=BB158_33 Depth=1
	s_and_not1_saveexec_b32 s7, s0
; %bb.200:                              ;   in Loop: Header=BB158_33 Depth=1
	v_and_b32_e32 v2, 0xffff, v1
	v_or_b32_e32 v3, 0x10000, v1
	s_delay_alu instid0(VALU_DEP_2) | instskip(NEXT) | instid1(VALU_DEP_1)
	v_cmp_eq_u32_e64 s0, 0, v2
	v_cndmask_b32_e64 v71, v3, v1, s0
; %bb.201:                              ;   in Loop: Header=BB158_33 Depth=1
	s_or_b32 exec_lo, exec_lo, s7
	global_load_b128 v[1:4], v[8:9], off offset:2048
	s_waitcnt vmcnt(0)
	v_lshrrev_b32_e32 v73, 16, v1
	v_lshrrev_b32_e32 v75, 16, v2
	;; [unrolled: 1-line block ×4, first 2 shown]
	s_and_saveexec_b32 s7, vcc_lo
	s_cbranch_execz .LBB158_203
; %bb.202:                              ;   in Loop: Header=BB158_33 Depth=1
	v_cmp_gt_i32_e64 s0, s15, v32
	s_delay_alu instid0(VALU_DEP_1) | instskip(SKIP_1) | instid1(VALU_DEP_1)
	v_cndmask_b32_e64 v1, 0, v1, s0
	v_cmp_gt_i32_e64 s0, s15, v39
	v_cndmask_b32_e64 v73, 0, v73, s0
	v_cmp_gt_i32_e64 s0, s15, v37
	s_delay_alu instid0(VALU_DEP_1) | instskip(SKIP_1) | instid1(VALU_DEP_1)
	v_cndmask_b32_e64 v2, 0, v2, s0
	v_cmp_gt_i32_e64 s0, s15, v36
	v_cndmask_b32_e64 v75, 0, v75, s0
	;; [unrolled: 5-line block ×4, first 2 shown]
.LBB158_203:                            ;   in Loop: Header=BB158_33 Depth=1
	s_or_b32 exec_lo, exec_lo, s7
	v_lshlrev_b32_e32 v1, 16, v1
	s_delay_alu instid0(VALU_DEP_1) | instskip(NEXT) | instid1(VALU_DEP_1)
	v_mul_f32_e32 v1, v40, v1
	v_and_b32_e32 v72, 0x7f800000, v1
	s_delay_alu instid0(VALU_DEP_1) | instskip(NEXT) | instid1(VALU_DEP_1)
	v_cmp_ne_u32_e64 s0, 0x7f800000, v72
                                        ; implicit-def: $vgpr72
	s_and_saveexec_b32 s7, s0
	s_delay_alu instid0(SALU_CYCLE_1)
	s_xor_b32 s0, exec_lo, s7
; %bb.204:                              ;   in Loop: Header=BB158_33 Depth=1
	v_bfe_u32 v72, v1, 16, 1
	s_delay_alu instid0(VALU_DEP_1)
	v_add3_u32 v72, v1, v72, 0x7fff
                                        ; implicit-def: $vgpr1
; %bb.205:                              ;   in Loop: Header=BB158_33 Depth=1
	s_and_not1_saveexec_b32 s7, s0
; %bb.206:                              ;   in Loop: Header=BB158_33 Depth=1
	v_and_b32_e32 v72, 0xffff, v1
	v_or_b32_e32 v74, 0x10000, v1
	s_delay_alu instid0(VALU_DEP_2) | instskip(NEXT) | instid1(VALU_DEP_1)
	v_cmp_eq_u32_e64 s0, 0, v72
	v_cndmask_b32_e64 v72, v74, v1, s0
; %bb.207:                              ;   in Loop: Header=BB158_33 Depth=1
	s_or_b32 exec_lo, exec_lo, s7
	v_lshlrev_b32_e32 v1, 16, v73
	s_delay_alu instid0(VALU_DEP_1) | instskip(NEXT) | instid1(VALU_DEP_1)
	v_mul_f32_e32 v1, v41, v1
	v_and_b32_e32 v73, 0x7f800000, v1
	s_delay_alu instid0(VALU_DEP_1) | instskip(NEXT) | instid1(VALU_DEP_1)
	v_cmp_ne_u32_e64 s0, 0x7f800000, v73
                                        ; implicit-def: $vgpr73
	s_and_saveexec_b32 s7, s0
	s_delay_alu instid0(SALU_CYCLE_1)
	s_xor_b32 s0, exec_lo, s7
; %bb.208:                              ;   in Loop: Header=BB158_33 Depth=1
	v_bfe_u32 v73, v1, 16, 1
	s_delay_alu instid0(VALU_DEP_1)
	v_add3_u32 v73, v1, v73, 0x7fff
                                        ; implicit-def: $vgpr1
; %bb.209:                              ;   in Loop: Header=BB158_33 Depth=1
	s_and_not1_saveexec_b32 s7, s0
; %bb.210:                              ;   in Loop: Header=BB158_33 Depth=1
	v_and_b32_e32 v73, 0xffff, v1
	v_or_b32_e32 v74, 0x10000, v1
	s_delay_alu instid0(VALU_DEP_2) | instskip(NEXT) | instid1(VALU_DEP_1)
	v_cmp_eq_u32_e64 s0, 0, v73
	v_cndmask_b32_e64 v73, v74, v1, s0
; %bb.211:                              ;   in Loop: Header=BB158_33 Depth=1
	s_or_b32 exec_lo, exec_lo, s7
	v_lshlrev_b32_e32 v1, 16, v2
                                        ; implicit-def: $vgpr74
	s_delay_alu instid0(VALU_DEP_1) | instskip(NEXT) | instid1(VALU_DEP_1)
	v_mul_f32_e32 v1, v42, v1
	v_and_b32_e32 v2, 0x7f800000, v1
	s_delay_alu instid0(VALU_DEP_1) | instskip(NEXT) | instid1(VALU_DEP_1)
	v_cmp_ne_u32_e64 s0, 0x7f800000, v2
	s_and_saveexec_b32 s7, s0
	s_delay_alu instid0(SALU_CYCLE_1)
	s_xor_b32 s0, exec_lo, s7
; %bb.212:                              ;   in Loop: Header=BB158_33 Depth=1
	v_bfe_u32 v2, v1, 16, 1
	s_delay_alu instid0(VALU_DEP_1)
	v_add3_u32 v74, v1, v2, 0x7fff
                                        ; implicit-def: $vgpr1
; %bb.213:                              ;   in Loop: Header=BB158_33 Depth=1
	s_and_not1_saveexec_b32 s7, s0
; %bb.214:                              ;   in Loop: Header=BB158_33 Depth=1
	v_and_b32_e32 v2, 0xffff, v1
	v_or_b32_e32 v74, 0x10000, v1
	s_delay_alu instid0(VALU_DEP_2) | instskip(NEXT) | instid1(VALU_DEP_1)
	v_cmp_eq_u32_e64 s0, 0, v2
	v_cndmask_b32_e64 v74, v74, v1, s0
; %bb.215:                              ;   in Loop: Header=BB158_33 Depth=1
	s_or_b32 exec_lo, exec_lo, s7
	v_lshlrev_b32_e32 v1, 16, v75
                                        ; implicit-def: $vgpr75
	s_delay_alu instid0(VALU_DEP_1) | instskip(NEXT) | instid1(VALU_DEP_1)
	v_mul_f32_e32 v1, v43, v1
	v_and_b32_e32 v2, 0x7f800000, v1
	s_delay_alu instid0(VALU_DEP_1) | instskip(NEXT) | instid1(VALU_DEP_1)
	v_cmp_ne_u32_e64 s0, 0x7f800000, v2
	s_and_saveexec_b32 s7, s0
	s_delay_alu instid0(SALU_CYCLE_1)
	s_xor_b32 s0, exec_lo, s7
; %bb.216:                              ;   in Loop: Header=BB158_33 Depth=1
	v_bfe_u32 v2, v1, 16, 1
	s_delay_alu instid0(VALU_DEP_1)
	v_add3_u32 v75, v1, v2, 0x7fff
                                        ; implicit-def: $vgpr1
; %bb.217:                              ;   in Loop: Header=BB158_33 Depth=1
	s_and_not1_saveexec_b32 s7, s0
; %bb.218:                              ;   in Loop: Header=BB158_33 Depth=1
	v_and_b32_e32 v2, 0xffff, v1
	v_or_b32_e32 v75, 0x10000, v1
	s_delay_alu instid0(VALU_DEP_2) | instskip(NEXT) | instid1(VALU_DEP_1)
	v_cmp_eq_u32_e64 s0, 0, v2
	v_cndmask_b32_e64 v75, v75, v1, s0
; %bb.219:                              ;   in Loop: Header=BB158_33 Depth=1
	s_or_b32 exec_lo, exec_lo, s7
	v_lshlrev_b32_e32 v1, 16, v3
                                        ; implicit-def: $vgpr76
	s_delay_alu instid0(VALU_DEP_1) | instskip(NEXT) | instid1(VALU_DEP_1)
	v_mul_f32_e32 v1, v44, v1
	v_and_b32_e32 v2, 0x7f800000, v1
	s_delay_alu instid0(VALU_DEP_1) | instskip(NEXT) | instid1(VALU_DEP_1)
	v_cmp_ne_u32_e64 s0, 0x7f800000, v2
	s_and_saveexec_b32 s7, s0
	s_delay_alu instid0(SALU_CYCLE_1)
	s_xor_b32 s0, exec_lo, s7
; %bb.220:                              ;   in Loop: Header=BB158_33 Depth=1
	v_bfe_u32 v2, v1, 16, 1
	s_delay_alu instid0(VALU_DEP_1)
	v_add3_u32 v76, v1, v2, 0x7fff
                                        ; implicit-def: $vgpr1
; %bb.221:                              ;   in Loop: Header=BB158_33 Depth=1
	s_and_not1_saveexec_b32 s7, s0
; %bb.222:                              ;   in Loop: Header=BB158_33 Depth=1
	v_and_b32_e32 v2, 0xffff, v1
	v_or_b32_e32 v3, 0x10000, v1
	s_delay_alu instid0(VALU_DEP_2) | instskip(NEXT) | instid1(VALU_DEP_1)
	v_cmp_eq_u32_e64 s0, 0, v2
	v_cndmask_b32_e64 v76, v3, v1, s0
; %bb.223:                              ;   in Loop: Header=BB158_33 Depth=1
	s_or_b32 exec_lo, exec_lo, s7
	v_lshlrev_b32_e32 v1, 16, v77
                                        ; implicit-def: $vgpr77
	s_delay_alu instid0(VALU_DEP_1) | instskip(NEXT) | instid1(VALU_DEP_1)
	v_mul_f32_e32 v1, v45, v1
	v_and_b32_e32 v2, 0x7f800000, v1
	s_delay_alu instid0(VALU_DEP_1) | instskip(NEXT) | instid1(VALU_DEP_1)
	v_cmp_ne_u32_e64 s0, 0x7f800000, v2
	s_and_saveexec_b32 s7, s0
	s_delay_alu instid0(SALU_CYCLE_1)
	s_xor_b32 s0, exec_lo, s7
; %bb.224:                              ;   in Loop: Header=BB158_33 Depth=1
	v_bfe_u32 v2, v1, 16, 1
	s_delay_alu instid0(VALU_DEP_1)
	v_add3_u32 v77, v1, v2, 0x7fff
                                        ; implicit-def: $vgpr1
; %bb.225:                              ;   in Loop: Header=BB158_33 Depth=1
	s_and_not1_saveexec_b32 s7, s0
; %bb.226:                              ;   in Loop: Header=BB158_33 Depth=1
	v_and_b32_e32 v2, 0xffff, v1
	v_or_b32_e32 v3, 0x10000, v1
	s_delay_alu instid0(VALU_DEP_2) | instskip(NEXT) | instid1(VALU_DEP_1)
	v_cmp_eq_u32_e64 s0, 0, v2
	v_cndmask_b32_e64 v77, v3, v1, s0
; %bb.227:                              ;   in Loop: Header=BB158_33 Depth=1
	s_or_b32 exec_lo, exec_lo, s7
	v_lshlrev_b32_e32 v1, 16, v4
                                        ; implicit-def: $vgpr78
	s_delay_alu instid0(VALU_DEP_1) | instskip(NEXT) | instid1(VALU_DEP_1)
	v_mul_f32_e32 v1, v46, v1
	v_and_b32_e32 v2, 0x7f800000, v1
	s_delay_alu instid0(VALU_DEP_1) | instskip(NEXT) | instid1(VALU_DEP_1)
	v_cmp_ne_u32_e64 s0, 0x7f800000, v2
	s_and_saveexec_b32 s7, s0
	s_delay_alu instid0(SALU_CYCLE_1)
	s_xor_b32 s0, exec_lo, s7
; %bb.228:                              ;   in Loop: Header=BB158_33 Depth=1
	v_bfe_u32 v2, v1, 16, 1
	s_delay_alu instid0(VALU_DEP_1)
	v_add3_u32 v78, v1, v2, 0x7fff
                                        ; implicit-def: $vgpr1
; %bb.229:                              ;   in Loop: Header=BB158_33 Depth=1
	s_and_not1_saveexec_b32 s7, s0
; %bb.230:                              ;   in Loop: Header=BB158_33 Depth=1
	v_and_b32_e32 v2, 0xffff, v1
	v_or_b32_e32 v3, 0x10000, v1
	s_delay_alu instid0(VALU_DEP_2) | instskip(NEXT) | instid1(VALU_DEP_1)
	v_cmp_eq_u32_e64 s0, 0, v2
	v_cndmask_b32_e64 v78, v3, v1, s0
; %bb.231:                              ;   in Loop: Header=BB158_33 Depth=1
	s_or_b32 exec_lo, exec_lo, s7
	v_lshlrev_b32_e32 v1, 16, v79
                                        ; implicit-def: $vgpr79
	s_delay_alu instid0(VALU_DEP_1) | instskip(NEXT) | instid1(VALU_DEP_1)
	v_mul_f32_e32 v1, v47, v1
	v_and_b32_e32 v2, 0x7f800000, v1
	s_delay_alu instid0(VALU_DEP_1) | instskip(NEXT) | instid1(VALU_DEP_1)
	v_cmp_ne_u32_e64 s0, 0x7f800000, v2
	s_and_saveexec_b32 s7, s0
	s_delay_alu instid0(SALU_CYCLE_1)
	s_xor_b32 s0, exec_lo, s7
; %bb.232:                              ;   in Loop: Header=BB158_33 Depth=1
	v_bfe_u32 v2, v1, 16, 1
	s_delay_alu instid0(VALU_DEP_1)
	v_add3_u32 v79, v1, v2, 0x7fff
                                        ; implicit-def: $vgpr1
; %bb.233:                              ;   in Loop: Header=BB158_33 Depth=1
	s_and_not1_saveexec_b32 s7, s0
; %bb.234:                              ;   in Loop: Header=BB158_33 Depth=1
	v_and_b32_e32 v2, 0xffff, v1
	v_or_b32_e32 v3, 0x10000, v1
	s_delay_alu instid0(VALU_DEP_2) | instskip(NEXT) | instid1(VALU_DEP_1)
	v_cmp_eq_u32_e64 s0, 0, v2
	v_cndmask_b32_e64 v79, v3, v1, s0
; %bb.235:                              ;   in Loop: Header=BB158_33 Depth=1
	s_or_b32 exec_lo, exec_lo, s7
	global_load_b128 v[1:4], v[8:9], off offset:2560
	s_waitcnt vmcnt(0)
	v_lshrrev_b32_e32 v81, 16, v1
	v_lshrrev_b32_e32 v83, 16, v2
	v_lshrrev_b32_e32 v85, 16, v3
	v_lshrrev_b32_e32 v87, 16, v4
	s_and_saveexec_b32 s7, vcc_lo
	s_cbranch_execz .LBB158_237
; %bb.236:                              ;   in Loop: Header=BB158_33 Depth=1
	v_cmp_gt_i32_e64 s0, s15, v32
	s_delay_alu instid0(VALU_DEP_1) | instskip(SKIP_1) | instid1(VALU_DEP_1)
	v_cndmask_b32_e64 v1, 0, v1, s0
	v_cmp_gt_i32_e64 s0, s15, v39
	v_cndmask_b32_e64 v81, 0, v81, s0
	v_cmp_gt_i32_e64 s0, s15, v37
	s_delay_alu instid0(VALU_DEP_1) | instskip(SKIP_1) | instid1(VALU_DEP_1)
	v_cndmask_b32_e64 v2, 0, v2, s0
	v_cmp_gt_i32_e64 s0, s15, v36
	v_cndmask_b32_e64 v83, 0, v83, s0
	;; [unrolled: 5-line block ×4, first 2 shown]
.LBB158_237:                            ;   in Loop: Header=BB158_33 Depth=1
	s_or_b32 exec_lo, exec_lo, s7
	v_lshlrev_b32_e32 v1, 16, v1
	s_delay_alu instid0(VALU_DEP_1) | instskip(NEXT) | instid1(VALU_DEP_1)
	v_mul_f32_e32 v1, v40, v1
	v_and_b32_e32 v80, 0x7f800000, v1
	s_delay_alu instid0(VALU_DEP_1) | instskip(NEXT) | instid1(VALU_DEP_1)
	v_cmp_ne_u32_e64 s0, 0x7f800000, v80
                                        ; implicit-def: $vgpr80
	s_and_saveexec_b32 s7, s0
	s_delay_alu instid0(SALU_CYCLE_1)
	s_xor_b32 s0, exec_lo, s7
; %bb.238:                              ;   in Loop: Header=BB158_33 Depth=1
	v_bfe_u32 v80, v1, 16, 1
	s_delay_alu instid0(VALU_DEP_1)
	v_add3_u32 v80, v1, v80, 0x7fff
                                        ; implicit-def: $vgpr1
; %bb.239:                              ;   in Loop: Header=BB158_33 Depth=1
	s_and_not1_saveexec_b32 s7, s0
; %bb.240:                              ;   in Loop: Header=BB158_33 Depth=1
	v_and_b32_e32 v80, 0xffff, v1
	v_or_b32_e32 v82, 0x10000, v1
	s_delay_alu instid0(VALU_DEP_2) | instskip(NEXT) | instid1(VALU_DEP_1)
	v_cmp_eq_u32_e64 s0, 0, v80
	v_cndmask_b32_e64 v80, v82, v1, s0
; %bb.241:                              ;   in Loop: Header=BB158_33 Depth=1
	s_or_b32 exec_lo, exec_lo, s7
	v_lshlrev_b32_e32 v1, 16, v81
	s_delay_alu instid0(VALU_DEP_1) | instskip(NEXT) | instid1(VALU_DEP_1)
	v_mul_f32_e32 v1, v41, v1
	v_and_b32_e32 v81, 0x7f800000, v1
	s_delay_alu instid0(VALU_DEP_1) | instskip(NEXT) | instid1(VALU_DEP_1)
	v_cmp_ne_u32_e64 s0, 0x7f800000, v81
                                        ; implicit-def: $vgpr81
	s_and_saveexec_b32 s7, s0
	s_delay_alu instid0(SALU_CYCLE_1)
	s_xor_b32 s0, exec_lo, s7
; %bb.242:                              ;   in Loop: Header=BB158_33 Depth=1
	v_bfe_u32 v81, v1, 16, 1
	s_delay_alu instid0(VALU_DEP_1)
	v_add3_u32 v81, v1, v81, 0x7fff
                                        ; implicit-def: $vgpr1
; %bb.243:                              ;   in Loop: Header=BB158_33 Depth=1
	s_and_not1_saveexec_b32 s7, s0
; %bb.244:                              ;   in Loop: Header=BB158_33 Depth=1
	v_and_b32_e32 v81, 0xffff, v1
	v_or_b32_e32 v82, 0x10000, v1
	s_delay_alu instid0(VALU_DEP_2) | instskip(NEXT) | instid1(VALU_DEP_1)
	v_cmp_eq_u32_e64 s0, 0, v81
	v_cndmask_b32_e64 v81, v82, v1, s0
; %bb.245:                              ;   in Loop: Header=BB158_33 Depth=1
	s_or_b32 exec_lo, exec_lo, s7
	v_lshlrev_b32_e32 v1, 16, v2
                                        ; implicit-def: $vgpr82
	s_delay_alu instid0(VALU_DEP_1) | instskip(NEXT) | instid1(VALU_DEP_1)
	v_mul_f32_e32 v1, v42, v1
	v_and_b32_e32 v2, 0x7f800000, v1
	s_delay_alu instid0(VALU_DEP_1) | instskip(NEXT) | instid1(VALU_DEP_1)
	v_cmp_ne_u32_e64 s0, 0x7f800000, v2
	s_and_saveexec_b32 s7, s0
	s_delay_alu instid0(SALU_CYCLE_1)
	s_xor_b32 s0, exec_lo, s7
; %bb.246:                              ;   in Loop: Header=BB158_33 Depth=1
	v_bfe_u32 v2, v1, 16, 1
	s_delay_alu instid0(VALU_DEP_1)
	v_add3_u32 v82, v1, v2, 0x7fff
                                        ; implicit-def: $vgpr1
; %bb.247:                              ;   in Loop: Header=BB158_33 Depth=1
	s_and_not1_saveexec_b32 s7, s0
; %bb.248:                              ;   in Loop: Header=BB158_33 Depth=1
	v_and_b32_e32 v2, 0xffff, v1
	v_or_b32_e32 v82, 0x10000, v1
	s_delay_alu instid0(VALU_DEP_2) | instskip(NEXT) | instid1(VALU_DEP_1)
	v_cmp_eq_u32_e64 s0, 0, v2
	v_cndmask_b32_e64 v82, v82, v1, s0
; %bb.249:                              ;   in Loop: Header=BB158_33 Depth=1
	s_or_b32 exec_lo, exec_lo, s7
	v_lshlrev_b32_e32 v1, 16, v83
                                        ; implicit-def: $vgpr83
	s_delay_alu instid0(VALU_DEP_1) | instskip(NEXT) | instid1(VALU_DEP_1)
	v_mul_f32_e32 v1, v43, v1
	v_and_b32_e32 v2, 0x7f800000, v1
	s_delay_alu instid0(VALU_DEP_1) | instskip(NEXT) | instid1(VALU_DEP_1)
	v_cmp_ne_u32_e64 s0, 0x7f800000, v2
	s_and_saveexec_b32 s7, s0
	s_delay_alu instid0(SALU_CYCLE_1)
	s_xor_b32 s0, exec_lo, s7
; %bb.250:                              ;   in Loop: Header=BB158_33 Depth=1
	v_bfe_u32 v2, v1, 16, 1
	s_delay_alu instid0(VALU_DEP_1)
	v_add3_u32 v83, v1, v2, 0x7fff
                                        ; implicit-def: $vgpr1
; %bb.251:                              ;   in Loop: Header=BB158_33 Depth=1
	s_and_not1_saveexec_b32 s7, s0
; %bb.252:                              ;   in Loop: Header=BB158_33 Depth=1
	v_and_b32_e32 v2, 0xffff, v1
	v_or_b32_e32 v83, 0x10000, v1
	s_delay_alu instid0(VALU_DEP_2) | instskip(NEXT) | instid1(VALU_DEP_1)
	v_cmp_eq_u32_e64 s0, 0, v2
	v_cndmask_b32_e64 v83, v83, v1, s0
; %bb.253:                              ;   in Loop: Header=BB158_33 Depth=1
	s_or_b32 exec_lo, exec_lo, s7
	v_lshlrev_b32_e32 v1, 16, v3
                                        ; implicit-def: $vgpr84
	s_delay_alu instid0(VALU_DEP_1) | instskip(NEXT) | instid1(VALU_DEP_1)
	v_mul_f32_e32 v1, v44, v1
	v_and_b32_e32 v2, 0x7f800000, v1
	s_delay_alu instid0(VALU_DEP_1) | instskip(NEXT) | instid1(VALU_DEP_1)
	v_cmp_ne_u32_e64 s0, 0x7f800000, v2
	s_and_saveexec_b32 s7, s0
	s_delay_alu instid0(SALU_CYCLE_1)
	s_xor_b32 s0, exec_lo, s7
; %bb.254:                              ;   in Loop: Header=BB158_33 Depth=1
	v_bfe_u32 v2, v1, 16, 1
	s_delay_alu instid0(VALU_DEP_1)
	v_add3_u32 v84, v1, v2, 0x7fff
                                        ; implicit-def: $vgpr1
; %bb.255:                              ;   in Loop: Header=BB158_33 Depth=1
	s_and_not1_saveexec_b32 s7, s0
; %bb.256:                              ;   in Loop: Header=BB158_33 Depth=1
	v_and_b32_e32 v2, 0xffff, v1
	v_or_b32_e32 v3, 0x10000, v1
	s_delay_alu instid0(VALU_DEP_2) | instskip(NEXT) | instid1(VALU_DEP_1)
	v_cmp_eq_u32_e64 s0, 0, v2
	v_cndmask_b32_e64 v84, v3, v1, s0
; %bb.257:                              ;   in Loop: Header=BB158_33 Depth=1
	s_or_b32 exec_lo, exec_lo, s7
	v_lshlrev_b32_e32 v1, 16, v85
                                        ; implicit-def: $vgpr85
	s_delay_alu instid0(VALU_DEP_1) | instskip(NEXT) | instid1(VALU_DEP_1)
	v_mul_f32_e32 v1, v45, v1
	v_and_b32_e32 v2, 0x7f800000, v1
	s_delay_alu instid0(VALU_DEP_1) | instskip(NEXT) | instid1(VALU_DEP_1)
	v_cmp_ne_u32_e64 s0, 0x7f800000, v2
	s_and_saveexec_b32 s7, s0
	s_delay_alu instid0(SALU_CYCLE_1)
	s_xor_b32 s0, exec_lo, s7
; %bb.258:                              ;   in Loop: Header=BB158_33 Depth=1
	v_bfe_u32 v2, v1, 16, 1
	s_delay_alu instid0(VALU_DEP_1)
	v_add3_u32 v85, v1, v2, 0x7fff
                                        ; implicit-def: $vgpr1
; %bb.259:                              ;   in Loop: Header=BB158_33 Depth=1
	s_and_not1_saveexec_b32 s7, s0
; %bb.260:                              ;   in Loop: Header=BB158_33 Depth=1
	v_and_b32_e32 v2, 0xffff, v1
	v_or_b32_e32 v3, 0x10000, v1
	s_delay_alu instid0(VALU_DEP_2) | instskip(NEXT) | instid1(VALU_DEP_1)
	v_cmp_eq_u32_e64 s0, 0, v2
	v_cndmask_b32_e64 v85, v3, v1, s0
; %bb.261:                              ;   in Loop: Header=BB158_33 Depth=1
	s_or_b32 exec_lo, exec_lo, s7
	v_lshlrev_b32_e32 v1, 16, v4
                                        ; implicit-def: $vgpr86
	s_delay_alu instid0(VALU_DEP_1) | instskip(NEXT) | instid1(VALU_DEP_1)
	v_mul_f32_e32 v1, v46, v1
	v_and_b32_e32 v2, 0x7f800000, v1
	s_delay_alu instid0(VALU_DEP_1) | instskip(NEXT) | instid1(VALU_DEP_1)
	v_cmp_ne_u32_e64 s0, 0x7f800000, v2
	s_and_saveexec_b32 s7, s0
	s_delay_alu instid0(SALU_CYCLE_1)
	s_xor_b32 s0, exec_lo, s7
; %bb.262:                              ;   in Loop: Header=BB158_33 Depth=1
	v_bfe_u32 v2, v1, 16, 1
	s_delay_alu instid0(VALU_DEP_1)
	v_add3_u32 v86, v1, v2, 0x7fff
                                        ; implicit-def: $vgpr1
; %bb.263:                              ;   in Loop: Header=BB158_33 Depth=1
	s_and_not1_saveexec_b32 s7, s0
; %bb.264:                              ;   in Loop: Header=BB158_33 Depth=1
	v_and_b32_e32 v2, 0xffff, v1
	v_or_b32_e32 v3, 0x10000, v1
	s_delay_alu instid0(VALU_DEP_2) | instskip(NEXT) | instid1(VALU_DEP_1)
	v_cmp_eq_u32_e64 s0, 0, v2
	v_cndmask_b32_e64 v86, v3, v1, s0
; %bb.265:                              ;   in Loop: Header=BB158_33 Depth=1
	s_or_b32 exec_lo, exec_lo, s7
	v_lshlrev_b32_e32 v1, 16, v87
                                        ; implicit-def: $vgpr87
	s_delay_alu instid0(VALU_DEP_1) | instskip(NEXT) | instid1(VALU_DEP_1)
	v_mul_f32_e32 v1, v47, v1
	v_and_b32_e32 v2, 0x7f800000, v1
	s_delay_alu instid0(VALU_DEP_1) | instskip(NEXT) | instid1(VALU_DEP_1)
	v_cmp_ne_u32_e64 s0, 0x7f800000, v2
	s_and_saveexec_b32 s7, s0
	s_delay_alu instid0(SALU_CYCLE_1)
	s_xor_b32 s0, exec_lo, s7
; %bb.266:                              ;   in Loop: Header=BB158_33 Depth=1
	v_bfe_u32 v2, v1, 16, 1
	s_delay_alu instid0(VALU_DEP_1)
	v_add3_u32 v87, v1, v2, 0x7fff
                                        ; implicit-def: $vgpr1
; %bb.267:                              ;   in Loop: Header=BB158_33 Depth=1
	s_and_not1_saveexec_b32 s7, s0
; %bb.268:                              ;   in Loop: Header=BB158_33 Depth=1
	v_and_b32_e32 v2, 0xffff, v1
	v_or_b32_e32 v3, 0x10000, v1
	s_delay_alu instid0(VALU_DEP_2) | instskip(NEXT) | instid1(VALU_DEP_1)
	v_cmp_eq_u32_e64 s0, 0, v2
	v_cndmask_b32_e64 v87, v3, v1, s0
; %bb.269:                              ;   in Loop: Header=BB158_33 Depth=1
	s_or_b32 exec_lo, exec_lo, s7
	global_load_b128 v[1:4], v[8:9], off offset:3072
	s_waitcnt vmcnt(0)
	v_lshrrev_b32_e32 v89, 16, v1
	v_lshrrev_b32_e32 v91, 16, v2
	;; [unrolled: 1-line block ×4, first 2 shown]
	s_and_saveexec_b32 s7, vcc_lo
	s_cbranch_execz .LBB158_271
; %bb.270:                              ;   in Loop: Header=BB158_33 Depth=1
	v_cmp_gt_i32_e64 s0, s15, v32
	s_delay_alu instid0(VALU_DEP_1) | instskip(SKIP_1) | instid1(VALU_DEP_1)
	v_cndmask_b32_e64 v1, 0, v1, s0
	v_cmp_gt_i32_e64 s0, s15, v39
	v_cndmask_b32_e64 v89, 0, v89, s0
	v_cmp_gt_i32_e64 s0, s15, v37
	s_delay_alu instid0(VALU_DEP_1) | instskip(SKIP_1) | instid1(VALU_DEP_1)
	v_cndmask_b32_e64 v2, 0, v2, s0
	v_cmp_gt_i32_e64 s0, s15, v36
	v_cndmask_b32_e64 v91, 0, v91, s0
	;; [unrolled: 5-line block ×4, first 2 shown]
.LBB158_271:                            ;   in Loop: Header=BB158_33 Depth=1
	s_or_b32 exec_lo, exec_lo, s7
	v_lshlrev_b32_e32 v1, 16, v1
	s_delay_alu instid0(VALU_DEP_1) | instskip(NEXT) | instid1(VALU_DEP_1)
	v_mul_f32_e32 v1, v40, v1
	v_and_b32_e32 v88, 0x7f800000, v1
	s_delay_alu instid0(VALU_DEP_1) | instskip(NEXT) | instid1(VALU_DEP_1)
	v_cmp_ne_u32_e64 s0, 0x7f800000, v88
                                        ; implicit-def: $vgpr88
	s_and_saveexec_b32 s7, s0
	s_delay_alu instid0(SALU_CYCLE_1)
	s_xor_b32 s0, exec_lo, s7
; %bb.272:                              ;   in Loop: Header=BB158_33 Depth=1
	v_bfe_u32 v88, v1, 16, 1
	s_delay_alu instid0(VALU_DEP_1)
	v_add3_u32 v88, v1, v88, 0x7fff
                                        ; implicit-def: $vgpr1
; %bb.273:                              ;   in Loop: Header=BB158_33 Depth=1
	s_and_not1_saveexec_b32 s7, s0
; %bb.274:                              ;   in Loop: Header=BB158_33 Depth=1
	v_and_b32_e32 v88, 0xffff, v1
	v_or_b32_e32 v90, 0x10000, v1
	s_delay_alu instid0(VALU_DEP_2) | instskip(NEXT) | instid1(VALU_DEP_1)
	v_cmp_eq_u32_e64 s0, 0, v88
	v_cndmask_b32_e64 v88, v90, v1, s0
; %bb.275:                              ;   in Loop: Header=BB158_33 Depth=1
	s_or_b32 exec_lo, exec_lo, s7
	v_lshlrev_b32_e32 v1, 16, v89
	s_delay_alu instid0(VALU_DEP_1) | instskip(NEXT) | instid1(VALU_DEP_1)
	v_mul_f32_e32 v1, v41, v1
	v_and_b32_e32 v89, 0x7f800000, v1
	s_delay_alu instid0(VALU_DEP_1) | instskip(NEXT) | instid1(VALU_DEP_1)
	v_cmp_ne_u32_e64 s0, 0x7f800000, v89
                                        ; implicit-def: $vgpr89
	s_and_saveexec_b32 s7, s0
	s_delay_alu instid0(SALU_CYCLE_1)
	s_xor_b32 s0, exec_lo, s7
; %bb.276:                              ;   in Loop: Header=BB158_33 Depth=1
	v_bfe_u32 v89, v1, 16, 1
	s_delay_alu instid0(VALU_DEP_1)
	v_add3_u32 v89, v1, v89, 0x7fff
                                        ; implicit-def: $vgpr1
; %bb.277:                              ;   in Loop: Header=BB158_33 Depth=1
	s_and_not1_saveexec_b32 s7, s0
; %bb.278:                              ;   in Loop: Header=BB158_33 Depth=1
	v_and_b32_e32 v89, 0xffff, v1
	v_or_b32_e32 v90, 0x10000, v1
	s_delay_alu instid0(VALU_DEP_2) | instskip(NEXT) | instid1(VALU_DEP_1)
	v_cmp_eq_u32_e64 s0, 0, v89
	v_cndmask_b32_e64 v89, v90, v1, s0
; %bb.279:                              ;   in Loop: Header=BB158_33 Depth=1
	s_or_b32 exec_lo, exec_lo, s7
	v_lshlrev_b32_e32 v1, 16, v2
                                        ; implicit-def: $vgpr90
	s_delay_alu instid0(VALU_DEP_1) | instskip(NEXT) | instid1(VALU_DEP_1)
	v_mul_f32_e32 v1, v42, v1
	v_and_b32_e32 v2, 0x7f800000, v1
	s_delay_alu instid0(VALU_DEP_1) | instskip(NEXT) | instid1(VALU_DEP_1)
	v_cmp_ne_u32_e64 s0, 0x7f800000, v2
	s_and_saveexec_b32 s7, s0
	s_delay_alu instid0(SALU_CYCLE_1)
	s_xor_b32 s0, exec_lo, s7
; %bb.280:                              ;   in Loop: Header=BB158_33 Depth=1
	v_bfe_u32 v2, v1, 16, 1
	s_delay_alu instid0(VALU_DEP_1)
	v_add3_u32 v90, v1, v2, 0x7fff
                                        ; implicit-def: $vgpr1
; %bb.281:                              ;   in Loop: Header=BB158_33 Depth=1
	s_and_not1_saveexec_b32 s7, s0
; %bb.282:                              ;   in Loop: Header=BB158_33 Depth=1
	v_and_b32_e32 v2, 0xffff, v1
	v_or_b32_e32 v90, 0x10000, v1
	s_delay_alu instid0(VALU_DEP_2) | instskip(NEXT) | instid1(VALU_DEP_1)
	v_cmp_eq_u32_e64 s0, 0, v2
	v_cndmask_b32_e64 v90, v90, v1, s0
; %bb.283:                              ;   in Loop: Header=BB158_33 Depth=1
	s_or_b32 exec_lo, exec_lo, s7
	v_lshlrev_b32_e32 v1, 16, v91
                                        ; implicit-def: $vgpr91
	s_delay_alu instid0(VALU_DEP_1) | instskip(NEXT) | instid1(VALU_DEP_1)
	v_mul_f32_e32 v1, v43, v1
	v_and_b32_e32 v2, 0x7f800000, v1
	s_delay_alu instid0(VALU_DEP_1) | instskip(NEXT) | instid1(VALU_DEP_1)
	v_cmp_ne_u32_e64 s0, 0x7f800000, v2
	s_and_saveexec_b32 s7, s0
	s_delay_alu instid0(SALU_CYCLE_1)
	s_xor_b32 s0, exec_lo, s7
; %bb.284:                              ;   in Loop: Header=BB158_33 Depth=1
	v_bfe_u32 v2, v1, 16, 1
	s_delay_alu instid0(VALU_DEP_1)
	v_add3_u32 v91, v1, v2, 0x7fff
                                        ; implicit-def: $vgpr1
; %bb.285:                              ;   in Loop: Header=BB158_33 Depth=1
	s_and_not1_saveexec_b32 s7, s0
; %bb.286:                              ;   in Loop: Header=BB158_33 Depth=1
	v_and_b32_e32 v2, 0xffff, v1
	v_or_b32_e32 v91, 0x10000, v1
	s_delay_alu instid0(VALU_DEP_2) | instskip(NEXT) | instid1(VALU_DEP_1)
	v_cmp_eq_u32_e64 s0, 0, v2
	v_cndmask_b32_e64 v91, v91, v1, s0
; %bb.287:                              ;   in Loop: Header=BB158_33 Depth=1
	s_or_b32 exec_lo, exec_lo, s7
	v_lshlrev_b32_e32 v1, 16, v3
                                        ; implicit-def: $vgpr92
	s_delay_alu instid0(VALU_DEP_1) | instskip(NEXT) | instid1(VALU_DEP_1)
	v_mul_f32_e32 v1, v44, v1
	v_and_b32_e32 v2, 0x7f800000, v1
	s_delay_alu instid0(VALU_DEP_1) | instskip(NEXT) | instid1(VALU_DEP_1)
	v_cmp_ne_u32_e64 s0, 0x7f800000, v2
	s_and_saveexec_b32 s7, s0
	s_delay_alu instid0(SALU_CYCLE_1)
	s_xor_b32 s0, exec_lo, s7
; %bb.288:                              ;   in Loop: Header=BB158_33 Depth=1
	v_bfe_u32 v2, v1, 16, 1
	s_delay_alu instid0(VALU_DEP_1)
	v_add3_u32 v92, v1, v2, 0x7fff
                                        ; implicit-def: $vgpr1
; %bb.289:                              ;   in Loop: Header=BB158_33 Depth=1
	s_and_not1_saveexec_b32 s7, s0
; %bb.290:                              ;   in Loop: Header=BB158_33 Depth=1
	v_and_b32_e32 v2, 0xffff, v1
	v_or_b32_e32 v3, 0x10000, v1
	s_delay_alu instid0(VALU_DEP_2) | instskip(NEXT) | instid1(VALU_DEP_1)
	v_cmp_eq_u32_e64 s0, 0, v2
	v_cndmask_b32_e64 v92, v3, v1, s0
; %bb.291:                              ;   in Loop: Header=BB158_33 Depth=1
	s_or_b32 exec_lo, exec_lo, s7
	v_lshlrev_b32_e32 v1, 16, v93
                                        ; implicit-def: $vgpr93
	s_delay_alu instid0(VALU_DEP_1) | instskip(NEXT) | instid1(VALU_DEP_1)
	v_mul_f32_e32 v1, v45, v1
	v_and_b32_e32 v2, 0x7f800000, v1
	s_delay_alu instid0(VALU_DEP_1) | instskip(NEXT) | instid1(VALU_DEP_1)
	v_cmp_ne_u32_e64 s0, 0x7f800000, v2
	s_and_saveexec_b32 s7, s0
	s_delay_alu instid0(SALU_CYCLE_1)
	s_xor_b32 s0, exec_lo, s7
; %bb.292:                              ;   in Loop: Header=BB158_33 Depth=1
	v_bfe_u32 v2, v1, 16, 1
	s_delay_alu instid0(VALU_DEP_1)
	v_add3_u32 v93, v1, v2, 0x7fff
                                        ; implicit-def: $vgpr1
; %bb.293:                              ;   in Loop: Header=BB158_33 Depth=1
	s_and_not1_saveexec_b32 s7, s0
; %bb.294:                              ;   in Loop: Header=BB158_33 Depth=1
	v_and_b32_e32 v2, 0xffff, v1
	v_or_b32_e32 v3, 0x10000, v1
	s_delay_alu instid0(VALU_DEP_2) | instskip(NEXT) | instid1(VALU_DEP_1)
	v_cmp_eq_u32_e64 s0, 0, v2
	v_cndmask_b32_e64 v93, v3, v1, s0
; %bb.295:                              ;   in Loop: Header=BB158_33 Depth=1
	s_or_b32 exec_lo, exec_lo, s7
	v_lshlrev_b32_e32 v1, 16, v4
                                        ; implicit-def: $vgpr94
	s_delay_alu instid0(VALU_DEP_1) | instskip(NEXT) | instid1(VALU_DEP_1)
	v_mul_f32_e32 v1, v46, v1
	v_and_b32_e32 v2, 0x7f800000, v1
	s_delay_alu instid0(VALU_DEP_1) | instskip(NEXT) | instid1(VALU_DEP_1)
	v_cmp_ne_u32_e64 s0, 0x7f800000, v2
	s_and_saveexec_b32 s7, s0
	s_delay_alu instid0(SALU_CYCLE_1)
	s_xor_b32 s0, exec_lo, s7
; %bb.296:                              ;   in Loop: Header=BB158_33 Depth=1
	v_bfe_u32 v2, v1, 16, 1
	s_delay_alu instid0(VALU_DEP_1)
	v_add3_u32 v94, v1, v2, 0x7fff
                                        ; implicit-def: $vgpr1
; %bb.297:                              ;   in Loop: Header=BB158_33 Depth=1
	s_and_not1_saveexec_b32 s7, s0
; %bb.298:                              ;   in Loop: Header=BB158_33 Depth=1
	v_and_b32_e32 v2, 0xffff, v1
	v_or_b32_e32 v3, 0x10000, v1
	s_delay_alu instid0(VALU_DEP_2) | instskip(NEXT) | instid1(VALU_DEP_1)
	v_cmp_eq_u32_e64 s0, 0, v2
	v_cndmask_b32_e64 v94, v3, v1, s0
; %bb.299:                              ;   in Loop: Header=BB158_33 Depth=1
	s_or_b32 exec_lo, exec_lo, s7
	v_lshlrev_b32_e32 v1, 16, v95
                                        ; implicit-def: $vgpr95
	s_delay_alu instid0(VALU_DEP_1) | instskip(NEXT) | instid1(VALU_DEP_1)
	v_mul_f32_e32 v1, v47, v1
	v_and_b32_e32 v2, 0x7f800000, v1
	s_delay_alu instid0(VALU_DEP_1) | instskip(NEXT) | instid1(VALU_DEP_1)
	v_cmp_ne_u32_e64 s0, 0x7f800000, v2
	s_and_saveexec_b32 s7, s0
	s_delay_alu instid0(SALU_CYCLE_1)
	s_xor_b32 s0, exec_lo, s7
; %bb.300:                              ;   in Loop: Header=BB158_33 Depth=1
	v_bfe_u32 v2, v1, 16, 1
	s_delay_alu instid0(VALU_DEP_1)
	v_add3_u32 v95, v1, v2, 0x7fff
                                        ; implicit-def: $vgpr1
; %bb.301:                              ;   in Loop: Header=BB158_33 Depth=1
	s_and_not1_saveexec_b32 s7, s0
; %bb.302:                              ;   in Loop: Header=BB158_33 Depth=1
	v_and_b32_e32 v2, 0xffff, v1
	v_or_b32_e32 v3, 0x10000, v1
	s_delay_alu instid0(VALU_DEP_2) | instskip(NEXT) | instid1(VALU_DEP_1)
	v_cmp_eq_u32_e64 s0, 0, v2
	v_cndmask_b32_e64 v95, v3, v1, s0
; %bb.303:                              ;   in Loop: Header=BB158_33 Depth=1
	s_or_b32 exec_lo, exec_lo, s7
	global_load_b128 v[1:4], v[8:9], off offset:3584
	s_waitcnt vmcnt(0)
	v_lshrrev_b32_e32 v8, 16, v1
	v_lshrrev_b32_e32 v9, 16, v2
	;; [unrolled: 1-line block ×4, first 2 shown]
	s_and_saveexec_b32 s0, vcc_lo
	s_cbranch_execz .LBB158_305
; %bb.304:                              ;   in Loop: Header=BB158_33 Depth=1
	v_cmp_gt_i32_e32 vcc_lo, s15, v32
	v_cndmask_b32_e32 v1, 0, v1, vcc_lo
	v_cmp_gt_i32_e32 vcc_lo, s15, v39
	v_cndmask_b32_e32 v8, 0, v8, vcc_lo
	;; [unrolled: 2-line block ×8, first 2 shown]
.LBB158_305:                            ;   in Loop: Header=BB158_33 Depth=1
	s_or_b32 exec_lo, exec_lo, s0
	v_lshlrev_b32_e32 v1, 16, v1
	s_delay_alu instid0(VALU_DEP_1) | instskip(NEXT) | instid1(VALU_DEP_1)
	v_mul_f32_e32 v32, v40, v1
	v_and_b32_e32 v1, 0x7f800000, v32
	s_delay_alu instid0(VALU_DEP_1) | instskip(SKIP_1) | instid1(SALU_CYCLE_1)
	v_cmp_ne_u32_e32 vcc_lo, 0x7f800000, v1
                                        ; implicit-def: $vgpr1
	s_and_saveexec_b32 s0, vcc_lo
	s_xor_b32 s0, exec_lo, s0
; %bb.306:                              ;   in Loop: Header=BB158_33 Depth=1
	v_bfe_u32 v1, v32, 16, 1
	s_delay_alu instid0(VALU_DEP_1)
	v_add3_u32 v1, v32, v1, 0x7fff
                                        ; implicit-def: $vgpr32
; %bb.307:                              ;   in Loop: Header=BB158_33 Depth=1
	s_and_not1_saveexec_b32 s0, s0
; %bb.308:                              ;   in Loop: Header=BB158_33 Depth=1
	v_and_b32_e32 v1, 0xffff, v32
	v_or_b32_e32 v34, 0x10000, v32
	s_delay_alu instid0(VALU_DEP_2) | instskip(NEXT) | instid1(VALU_DEP_2)
	v_cmp_eq_u32_e32 vcc_lo, 0, v1
	v_cndmask_b32_e32 v1, v34, v32, vcc_lo
; %bb.309:                              ;   in Loop: Header=BB158_33 Depth=1
	s_or_b32 exec_lo, exec_lo, s0
	v_lshlrev_b32_e32 v8, 16, v8
	s_delay_alu instid0(VALU_DEP_1) | instskip(NEXT) | instid1(VALU_DEP_1)
	v_mul_f32_e32 v32, v41, v8
	v_and_b32_e32 v8, 0x7f800000, v32
	s_delay_alu instid0(VALU_DEP_1) | instskip(SKIP_1) | instid1(SALU_CYCLE_1)
	v_cmp_ne_u32_e32 vcc_lo, 0x7f800000, v8
                                        ; implicit-def: $vgpr8
	s_and_saveexec_b32 s0, vcc_lo
	s_xor_b32 s0, exec_lo, s0
; %bb.310:                              ;   in Loop: Header=BB158_33 Depth=1
	v_bfe_u32 v8, v32, 16, 1
	s_delay_alu instid0(VALU_DEP_1)
	v_add3_u32 v8, v32, v8, 0x7fff
                                        ; implicit-def: $vgpr32
; %bb.311:                              ;   in Loop: Header=BB158_33 Depth=1
	s_and_not1_saveexec_b32 s0, s0
; %bb.312:                              ;   in Loop: Header=BB158_33 Depth=1
	v_and_b32_e32 v8, 0xffff, v32
	v_or_b32_e32 v34, 0x10000, v32
	s_delay_alu instid0(VALU_DEP_2) | instskip(NEXT) | instid1(VALU_DEP_2)
	v_cmp_eq_u32_e32 vcc_lo, 0, v8
	v_cndmask_b32_e32 v8, v34, v32, vcc_lo
; %bb.313:                              ;   in Loop: Header=BB158_33 Depth=1
	s_or_b32 exec_lo, exec_lo, s0
	v_lshlrev_b32_e32 v2, 16, v2
	s_delay_alu instid0(VALU_DEP_1) | instskip(NEXT) | instid1(VALU_DEP_1)
	v_mul_f32_e32 v32, v42, v2
	v_and_b32_e32 v2, 0x7f800000, v32
	s_delay_alu instid0(VALU_DEP_1) | instskip(SKIP_1) | instid1(SALU_CYCLE_1)
	v_cmp_ne_u32_e32 vcc_lo, 0x7f800000, v2
                                        ; implicit-def: $vgpr2
	s_and_saveexec_b32 s0, vcc_lo
	s_xor_b32 s0, exec_lo, s0
; %bb.314:                              ;   in Loop: Header=BB158_33 Depth=1
	v_bfe_u32 v2, v32, 16, 1
	s_delay_alu instid0(VALU_DEP_1)
	v_add3_u32 v2, v32, v2, 0x7fff
                                        ; implicit-def: $vgpr32
; %bb.315:                              ;   in Loop: Header=BB158_33 Depth=1
	s_and_not1_saveexec_b32 s0, s0
; %bb.316:                              ;   in Loop: Header=BB158_33 Depth=1
	v_and_b32_e32 v2, 0xffff, v32
	v_or_b32_e32 v34, 0x10000, v32
	s_delay_alu instid0(VALU_DEP_2) | instskip(NEXT) | instid1(VALU_DEP_2)
	v_cmp_eq_u32_e32 vcc_lo, 0, v2
	v_cndmask_b32_e32 v2, v34, v32, vcc_lo
; %bb.317:                              ;   in Loop: Header=BB158_33 Depth=1
	s_or_b32 exec_lo, exec_lo, s0
	v_lshlrev_b32_e32 v9, 16, v9
	s_delay_alu instid0(VALU_DEP_1) | instskip(NEXT) | instid1(VALU_DEP_1)
	v_mul_f32_e32 v32, v43, v9
	v_and_b32_e32 v9, 0x7f800000, v32
	s_delay_alu instid0(VALU_DEP_1) | instskip(SKIP_1) | instid1(SALU_CYCLE_1)
	v_cmp_ne_u32_e32 vcc_lo, 0x7f800000, v9
                                        ; implicit-def: $vgpr9
	s_and_saveexec_b32 s0, vcc_lo
	s_xor_b32 s0, exec_lo, s0
; %bb.318:                              ;   in Loop: Header=BB158_33 Depth=1
	v_bfe_u32 v9, v32, 16, 1
	s_delay_alu instid0(VALU_DEP_1)
	v_add3_u32 v9, v32, v9, 0x7fff
                                        ; implicit-def: $vgpr32
; %bb.319:                              ;   in Loop: Header=BB158_33 Depth=1
	s_and_not1_saveexec_b32 s0, s0
; %bb.320:                              ;   in Loop: Header=BB158_33 Depth=1
	v_and_b32_e32 v9, 0xffff, v32
	v_or_b32_e32 v34, 0x10000, v32
	s_delay_alu instid0(VALU_DEP_2) | instskip(NEXT) | instid1(VALU_DEP_2)
	v_cmp_eq_u32_e32 vcc_lo, 0, v9
	v_cndmask_b32_e32 v9, v34, v32, vcc_lo
; %bb.321:                              ;   in Loop: Header=BB158_33 Depth=1
	s_or_b32 exec_lo, exec_lo, s0
	v_lshlrev_b32_e32 v3, 16, v3
	s_delay_alu instid0(VALU_DEP_1) | instskip(NEXT) | instid1(VALU_DEP_1)
	v_mul_f32_e32 v32, v44, v3
	v_and_b32_e32 v3, 0x7f800000, v32
	s_delay_alu instid0(VALU_DEP_1) | instskip(SKIP_1) | instid1(SALU_CYCLE_1)
	v_cmp_ne_u32_e32 vcc_lo, 0x7f800000, v3
                                        ; implicit-def: $vgpr3
	s_and_saveexec_b32 s0, vcc_lo
	s_xor_b32 s0, exec_lo, s0
; %bb.322:                              ;   in Loop: Header=BB158_33 Depth=1
	v_bfe_u32 v3, v32, 16, 1
	s_delay_alu instid0(VALU_DEP_1)
	v_add3_u32 v3, v32, v3, 0x7fff
                                        ; implicit-def: $vgpr32
; %bb.323:                              ;   in Loop: Header=BB158_33 Depth=1
	s_and_not1_saveexec_b32 s0, s0
; %bb.324:                              ;   in Loop: Header=BB158_33 Depth=1
	v_and_b32_e32 v3, 0xffff, v32
	v_or_b32_e32 v34, 0x10000, v32
	s_delay_alu instid0(VALU_DEP_2) | instskip(NEXT) | instid1(VALU_DEP_2)
	v_cmp_eq_u32_e32 vcc_lo, 0, v3
	v_cndmask_b32_e32 v3, v34, v32, vcc_lo
; %bb.325:                              ;   in Loop: Header=BB158_33 Depth=1
	s_or_b32 exec_lo, exec_lo, s0
	v_lshlrev_b32_e32 v32, 16, v97
	s_delay_alu instid0(VALU_DEP_1) | instskip(NEXT) | instid1(VALU_DEP_1)
	v_mul_f32_e32 v34, v45, v32
	v_and_b32_e32 v32, 0x7f800000, v34
	s_delay_alu instid0(VALU_DEP_1) | instskip(SKIP_1) | instid1(SALU_CYCLE_1)
	v_cmp_ne_u32_e32 vcc_lo, 0x7f800000, v32
                                        ; implicit-def: $vgpr32
	s_and_saveexec_b32 s0, vcc_lo
	s_xor_b32 s0, exec_lo, s0
; %bb.326:                              ;   in Loop: Header=BB158_33 Depth=1
	v_bfe_u32 v32, v34, 16, 1
	s_delay_alu instid0(VALU_DEP_1)
	v_add3_u32 v32, v34, v32, 0x7fff
                                        ; implicit-def: $vgpr34
; %bb.327:                              ;   in Loop: Header=BB158_33 Depth=1
	s_and_not1_saveexec_b32 s0, s0
; %bb.328:                              ;   in Loop: Header=BB158_33 Depth=1
	v_and_b32_e32 v32, 0xffff, v34
	v_or_b32_e32 v35, 0x10000, v34
	s_delay_alu instid0(VALU_DEP_2) | instskip(NEXT) | instid1(VALU_DEP_2)
	v_cmp_eq_u32_e32 vcc_lo, 0, v32
	v_cndmask_b32_e32 v32, v35, v34, vcc_lo
; %bb.329:                              ;   in Loop: Header=BB158_33 Depth=1
	s_or_b32 exec_lo, exec_lo, s0
	v_lshlrev_b32_e32 v4, 16, v4
	s_delay_alu instid0(VALU_DEP_1) | instskip(NEXT) | instid1(VALU_DEP_1)
	v_mul_f32_e32 v34, v46, v4
	v_and_b32_e32 v4, 0x7f800000, v34
	s_delay_alu instid0(VALU_DEP_1) | instskip(SKIP_1) | instid1(SALU_CYCLE_1)
	v_cmp_ne_u32_e32 vcc_lo, 0x7f800000, v4
                                        ; implicit-def: $vgpr4
	s_and_saveexec_b32 s0, vcc_lo
	s_xor_b32 s0, exec_lo, s0
; %bb.330:                              ;   in Loop: Header=BB158_33 Depth=1
	v_bfe_u32 v4, v34, 16, 1
	s_delay_alu instid0(VALU_DEP_1)
	v_add3_u32 v4, v34, v4, 0x7fff
                                        ; implicit-def: $vgpr34
; %bb.331:                              ;   in Loop: Header=BB158_33 Depth=1
	s_and_not1_saveexec_b32 s0, s0
; %bb.332:                              ;   in Loop: Header=BB158_33 Depth=1
	v_and_b32_e32 v4, 0xffff, v34
	v_or_b32_e32 v35, 0x10000, v34
	s_delay_alu instid0(VALU_DEP_2) | instskip(NEXT) | instid1(VALU_DEP_2)
	v_cmp_eq_u32_e32 vcc_lo, 0, v4
	v_cndmask_b32_e32 v4, v35, v34, vcc_lo
; %bb.333:                              ;   in Loop: Header=BB158_33 Depth=1
	s_or_b32 exec_lo, exec_lo, s0
	v_lshlrev_b32_e32 v34, 16, v96
	s_delay_alu instid0(VALU_DEP_1) | instskip(NEXT) | instid1(VALU_DEP_1)
	v_mul_f32_e32 v35, v47, v34
	v_and_b32_e32 v34, 0x7f800000, v35
	s_delay_alu instid0(VALU_DEP_1) | instskip(SKIP_1) | instid1(SALU_CYCLE_1)
	v_cmp_ne_u32_e32 vcc_lo, 0x7f800000, v34
                                        ; implicit-def: $vgpr34
	s_and_saveexec_b32 s0, vcc_lo
	s_xor_b32 s0, exec_lo, s0
; %bb.334:                              ;   in Loop: Header=BB158_33 Depth=1
	v_bfe_u32 v34, v35, 16, 1
	s_delay_alu instid0(VALU_DEP_1)
	v_add3_u32 v34, v35, v34, 0x7fff
                                        ; implicit-def: $vgpr35
; %bb.335:                              ;   in Loop: Header=BB158_33 Depth=1
	s_and_not1_saveexec_b32 s0, s0
	s_cbranch_execz .LBB158_32
; %bb.336:                              ;   in Loop: Header=BB158_33 Depth=1
	v_and_b32_e32 v34, 0xffff, v35
	v_or_b32_e32 v36, 0x10000, v35
	s_delay_alu instid0(VALU_DEP_2) | instskip(NEXT) | instid1(VALU_DEP_2)
	v_cmp_eq_u32_e32 vcc_lo, 0, v34
	v_cndmask_b32_e32 v34, v36, v35, vcc_lo
	s_branch .LBB158_32
.LBB158_337:
	s_or_b32 exec_lo, exec_lo, s3
.LBB158_338:
	s_delay_alu instid0(SALU_CYCLE_1)
	s_or_b32 exec_lo, exec_lo, s1
	v_and_b32_e32 v2, 0x3c0, v0
	v_lshl_add_u32 v1, v15, 10, 0x220
	s_mov_b32 s0, exec_lo
	s_waitcnt_vscnt null, 0x0
	s_barrier
	buffer_gl0_inv
	v_cmpx_eq_u32_e32 64, v2
	s_cbranch_execz .LBB158_340
; %bb.339:
	v_add_nc_u32_e32 v2, 0xfffff800, v1
	v_or_b32_e32 v3, 0x180, v14
	v_or_b32_e32 v4, 0x380, v14
	s_delay_alu instid0(VALU_DEP_3) | instskip(NEXT) | instid1(VALU_DEP_3)
	v_lshl_add_u32 v5, v17, 2, v2
	v_add_nc_u32_e32 v3, v2, v3
	s_delay_alu instid0(VALU_DEP_3)
	v_add_nc_u32_e32 v2, v2, v4
	ds_store_2addr_b32 v5, v23, v22 offset1:32
	ds_store_b32 v3, v20
	ds_store_2addr_stride64_b32 v5, v21, v19 offset0:1 offset1:2
	ds_store_2addr_b32 v5, v18, v16 offset0:160 offset1:192
	ds_store_b32 v2, v7
.LBB158_340:
	s_or_b32 exec_lo, exec_lo, s0
	v_lshl_add_u32 v2, v17, 2, v1
	s_mov_b32 s0, exec_lo
	s_waitcnt lgkmcnt(0)
	s_barrier
	buffer_gl0_inv
	v_cmpx_gt_u32_e32 64, v0
	s_cbranch_execz .LBB158_342
; %bb.341:
	v_or_b32_e32 v3, 0x80, v14
	v_or_b32_e32 v4, 0x180, v14
	v_or_b32_e32 v5, 0x280, v14
	v_or_b32_e32 v6, 0x380, v14
	s_delay_alu instid0(VALU_DEP_4) | instskip(NEXT) | instid1(VALU_DEP_4)
	v_add_nc_u32_e32 v8, v1, v3
	v_add_nc_u32_e32 v9, v1, v4
	ds_load_2addr_stride64_b32 v[3:4], v2 offset1:1
	v_add_nc_u32_e32 v10, v1, v5
	v_add_nc_u32_e32 v11, v1, v6
	s_waitcnt lgkmcnt(0)
	v_add_f32_e32 v23, v23, v3
	ds_load_2addr_stride64_b32 v[5:6], v2 offset0:2 offset1:3
	ds_load_b32 v8, v8
	ds_load_b32 v9, v9
	;; [unrolled: 1-line block ×4, first 2 shown]
	v_add_f32_e32 v21, v21, v4
	s_waitcnt lgkmcnt(4)
	v_dual_add_f32 v19, v19, v5 :: v_dual_add_f32 v16, v16, v6
	s_waitcnt lgkmcnt(2)
	v_add_f32_e32 v20, v20, v9
	v_add_f32_e32 v22, v22, v8
	s_waitcnt lgkmcnt(0)
	v_dual_add_f32 v18, v18, v10 :: v_dual_add_f32 v7, v7, v11
.LBB158_342:
	s_or_b32 exec_lo, exec_lo, s0
	v_and_b32_e32 v3, 0x3e0, v0
	s_mov_b32 s0, exec_lo
	s_barrier
	buffer_gl0_inv
	v_cmpx_eq_u32_e32 32, v3
	s_cbranch_execz .LBB158_344
; %bb.343:
	v_or_b32_e32 v3, 0x180, v14
	v_or_b32_e32 v4, 0x280, v14
	v_lshl_add_u32 v5, v17, 2, 0x220
	v_or_b32_e32 v8, 0x380, v14
	v_add_nc_u32_e32 v6, 0x220, v14
	v_add_nc_u32_e32 v3, 0x220, v3
	;; [unrolled: 1-line block ×3, first 2 shown]
	ds_store_b32 v5, v23
	ds_store_b32 v6, v22
	v_add_nc_u32_e32 v6, 0x220, v8
	ds_store_b32 v3, v20
	ds_store_b32 v4, v18
	ds_store_2addr_stride64_b32 v5, v21, v19 offset0:1 offset1:2
	ds_store_b32 v5, v16 offset:768
	ds_store_b32 v6, v7
.LBB158_344:
	s_or_b32 exec_lo, exec_lo, s0
	v_cmp_gt_u32_e32 vcc_lo, 32, v0
	s_waitcnt lgkmcnt(0)
	s_barrier
	buffer_gl0_inv
	s_and_saveexec_b32 s0, vcc_lo
	s_cbranch_execz .LBB158_346
; %bb.345:
	v_lshl_add_u32 v8, v0, 2, v1
	ds_load_b32 v9, v2
	ds_load_2addr_b32 v[1:2], v8 offset0:32 offset1:64
	ds_load_2addr_b32 v[3:4], v8 offset0:96 offset1:128
	;; [unrolled: 1-line block ×3, first 2 shown]
	ds_load_b32 v8, v8 offset:896
	s_waitcnt lgkmcnt(4)
	v_add_f32_e32 v23, v23, v9
	s_waitcnt lgkmcnt(3)
	v_dual_add_f32 v22, v22, v1 :: v_dual_add_f32 v21, v21, v2
	s_waitcnt lgkmcnt(2)
	v_dual_add_f32 v20, v20, v3 :: v_dual_add_f32 v19, v19, v4
	s_waitcnt lgkmcnt(1)
	v_add_f32_e32 v18, v18, v5
	s_waitcnt lgkmcnt(0)
	v_dual_add_f32 v16, v16, v6 :: v_dual_add_f32 v7, v7, v8
.LBB158_346:
	s_or_b32 exec_lo, exec_lo, s0
	s_barrier
	buffer_gl0_inv
	s_and_saveexec_b32 s0, vcc_lo
	s_cbranch_execz .LBB158_380
; %bb.347:
	v_and_b32_e32 v1, 0x7f800000, v23
	s_delay_alu instid0(VALU_DEP_1) | instskip(SKIP_1) | instid1(SALU_CYCLE_1)
	v_cmp_ne_u32_e32 vcc_lo, 0x7f800000, v1
                                        ; implicit-def: $vgpr1
	s_and_saveexec_b32 s0, vcc_lo
	s_xor_b32 s0, exec_lo, s0
; %bb.348:
	v_bfe_u32 v1, v23, 16, 1
	s_delay_alu instid0(VALU_DEP_1)
	v_add3_u32 v1, v23, v1, 0x7fff
; %bb.349:
	s_and_not1_saveexec_b32 s0, s0
; %bb.350:
	v_and_b32_e32 v1, 0xffff, v23
	v_or_b32_e32 v2, 0x10000, v23
	s_delay_alu instid0(VALU_DEP_2) | instskip(NEXT) | instid1(VALU_DEP_2)
	v_cmp_eq_u32_e32 vcc_lo, 0, v1
	v_cndmask_b32_e32 v1, v2, v23, vcc_lo
; %bb.351:
	s_or_b32 exec_lo, exec_lo, s0
	s_lshl_b32 s0, s6, 8
	s_mul_i32 s2, s4, s16
	s_ashr_i32 s1, s0, 31
	v_lshlrev_b32_e32 v0, 1, v0
	s_lshl_b64 s[0:1], s[0:1], 1
	v_and_b32_e32 v2, 0x7f800000, v22
	s_add_u32 s4, s18, s0
	s_addc_u32 s5, s19, s1
	s_ashr_i32 s3, s2, 31
	s_delay_alu instid0(SALU_CYCLE_1) | instskip(NEXT) | instid1(SALU_CYCLE_1)
	s_lshl_b64 s[0:1], s[2:3], 1
	s_add_u32 s2, s4, s0
	s_addc_u32 s3, s5, s1
	s_lshl_b32 s0, s12, 8
	s_delay_alu instid0(SALU_CYCLE_1) | instskip(NEXT) | instid1(SALU_CYCLE_1)
	s_ashr_i32 s1, s0, 31
	s_lshl_b64 s[0:1], s[0:1], 1
	s_delay_alu instid0(SALU_CYCLE_1) | instskip(SKIP_2) | instid1(VALU_DEP_1)
	s_add_u32 s0, s2, s0
	s_addc_u32 s1, s3, s1
	v_add_co_u32 v8, s2, s0, v0
	v_add_co_ci_u32_e64 v9, null, s1, 0, s2
	global_store_d16_hi_b16 v0, v1, s[0:1]
	s_mov_b32 s0, exec_lo
                                        ; implicit-def: $vgpr0
	v_cmpx_ne_u32_e32 0x7f800000, v2
	s_xor_b32 s0, exec_lo, s0
; %bb.352:
	v_bfe_u32 v0, v22, 16, 1
	s_delay_alu instid0(VALU_DEP_1)
	v_add3_u32 v0, v22, v0, 0x7fff
; %bb.353:
	s_and_not1_saveexec_b32 s0, s0
; %bb.354:
	v_and_b32_e32 v0, 0xffff, v22
	v_or_b32_e32 v1, 0x10000, v22
	s_delay_alu instid0(VALU_DEP_2) | instskip(NEXT) | instid1(VALU_DEP_2)
	v_cmp_eq_u32_e32 vcc_lo, 0, v0
	v_cndmask_b32_e32 v0, v1, v22, vcc_lo
; %bb.355:
	s_or_b32 exec_lo, exec_lo, s0
	v_and_b32_e32 v1, 0x7f800000, v21
	s_mov_b32 s0, exec_lo
	global_store_d16_hi_b16 v[8:9], v0, off offset:64
                                        ; implicit-def: $vgpr0
	v_cmpx_ne_u32_e32 0x7f800000, v1
	s_xor_b32 s0, exec_lo, s0
; %bb.356:
	v_bfe_u32 v0, v21, 16, 1
	s_delay_alu instid0(VALU_DEP_1)
	v_add3_u32 v0, v21, v0, 0x7fff
; %bb.357:
	s_and_not1_saveexec_b32 s0, s0
; %bb.358:
	v_and_b32_e32 v0, 0xffff, v21
	v_or_b32_e32 v1, 0x10000, v21
	s_delay_alu instid0(VALU_DEP_2) | instskip(NEXT) | instid1(VALU_DEP_2)
	v_cmp_eq_u32_e32 vcc_lo, 0, v0
	v_cndmask_b32_e32 v0, v1, v21, vcc_lo
; %bb.359:
	s_or_b32 exec_lo, exec_lo, s0
	v_and_b32_e32 v1, 0x7f800000, v20
	s_mov_b32 s0, exec_lo
	global_store_d16_hi_b16 v[8:9], v0, off offset:128
	;; [unrolled: 20-line block ×6, first 2 shown]
                                        ; implicit-def: $vgpr10
	v_cmpx_ne_u32_e32 0x7f800000, v1
	s_xor_b32 s0, exec_lo, s0
; %bb.376:
	v_bfe_u32 v0, v7, 16, 1
	s_delay_alu instid0(VALU_DEP_1)
	v_add3_u32 v10, v7, v0, 0x7fff
                                        ; implicit-def: $vgpr0_vgpr1_vgpr2_vgpr3_vgpr4_vgpr5_vgpr6_vgpr7
; %bb.377:
	s_and_not1_saveexec_b32 s0, s0
; %bb.378:
	v_and_b32_e32 v0, 0xffff, v7
	v_or_b32_e32 v1, 0x10000, v7
	s_delay_alu instid0(VALU_DEP_2) | instskip(NEXT) | instid1(VALU_DEP_2)
	v_cmp_eq_u32_e32 vcc_lo, 0, v0
	v_cndmask_b32_e32 v10, v1, v7, vcc_lo
; %bb.379:
	s_or_b32 exec_lo, exec_lo, s0
	global_store_d16_hi_b16 v[8:9], v10, off offset:448
.LBB158_380:
	s_nop 0
	s_sendmsg sendmsg(MSG_DEALLOC_VGPRS)
	s_endpgm
	.section	.rodata,"a",@progbits
	.p2align	6, 0x0
	.amdhsa_kernel _ZN4vllm25paged_attention_v2_kernelI14__hip_bfloat16S1_Li256ELi8ELi128ELNS_18Fp8KVCacheDataTypeE0ELb0ELi512EEEvPfS3_PT_PKS4_PKT0_SA_ifPKiSC_iPKfiiiSE_SE_iiiii
		.amdhsa_group_segment_fixed_size 544
		.amdhsa_private_segment_fixed_size 0
		.amdhsa_kernarg_size 400
		.amdhsa_user_sgpr_count 13
		.amdhsa_user_sgpr_dispatch_ptr 0
		.amdhsa_user_sgpr_queue_ptr 0
		.amdhsa_user_sgpr_kernarg_segment_ptr 1
		.amdhsa_user_sgpr_dispatch_id 0
		.amdhsa_user_sgpr_private_segment_size 0
		.amdhsa_wavefront_size32 1
		.amdhsa_uses_dynamic_stack 0
		.amdhsa_enable_private_segment 0
		.amdhsa_system_sgpr_workgroup_id_x 1
		.amdhsa_system_sgpr_workgroup_id_y 1
		.amdhsa_system_sgpr_workgroup_id_z 1
		.amdhsa_system_sgpr_workgroup_info 0
		.amdhsa_system_vgpr_workitem_id 0
		.amdhsa_next_free_vgpr 117
		.amdhsa_next_free_sgpr 38
		.amdhsa_reserve_vcc 1
		.amdhsa_float_round_mode_32 0
		.amdhsa_float_round_mode_16_64 0
		.amdhsa_float_denorm_mode_32 3
		.amdhsa_float_denorm_mode_16_64 3
		.amdhsa_dx10_clamp 1
		.amdhsa_ieee_mode 1
		.amdhsa_fp16_overflow 0
		.amdhsa_workgroup_processor_mode 1
		.amdhsa_memory_ordered 1
		.amdhsa_forward_progress 0
		.amdhsa_shared_vgpr_count 0
		.amdhsa_exception_fp_ieee_invalid_op 0
		.amdhsa_exception_fp_denorm_src 0
		.amdhsa_exception_fp_ieee_div_zero 0
		.amdhsa_exception_fp_ieee_overflow 0
		.amdhsa_exception_fp_ieee_underflow 0
		.amdhsa_exception_fp_ieee_inexact 0
		.amdhsa_exception_int_div_zero 0
	.end_amdhsa_kernel
	.section	.text._ZN4vllm25paged_attention_v2_kernelI14__hip_bfloat16S1_Li256ELi8ELi128ELNS_18Fp8KVCacheDataTypeE0ELb0ELi512EEEvPfS3_PT_PKS4_PKT0_SA_ifPKiSC_iPKfiiiSE_SE_iiiii,"axG",@progbits,_ZN4vllm25paged_attention_v2_kernelI14__hip_bfloat16S1_Li256ELi8ELi128ELNS_18Fp8KVCacheDataTypeE0ELb0ELi512EEEvPfS3_PT_PKS4_PKT0_SA_ifPKiSC_iPKfiiiSE_SE_iiiii,comdat
.Lfunc_end158:
	.size	_ZN4vllm25paged_attention_v2_kernelI14__hip_bfloat16S1_Li256ELi8ELi128ELNS_18Fp8KVCacheDataTypeE0ELb0ELi512EEEvPfS3_PT_PKS4_PKT0_SA_ifPKiSC_iPKfiiiSE_SE_iiiii, .Lfunc_end158-_ZN4vllm25paged_attention_v2_kernelI14__hip_bfloat16S1_Li256ELi8ELi128ELNS_18Fp8KVCacheDataTypeE0ELb0ELi512EEEvPfS3_PT_PKS4_PKT0_SA_ifPKiSC_iPKfiiiSE_SE_iiiii
                                        ; -- End function
	.section	.AMDGPU.csdata,"",@progbits
; Kernel info:
; codeLenInByte = 15920
; NumSgprs: 40
; NumVgprs: 117
; ScratchSize: 0
; MemoryBound: 0
; FloatMode: 240
; IeeeMode: 1
; LDSByteSize: 544 bytes/workgroup (compile time only)
; SGPRBlocks: 4
; VGPRBlocks: 14
; NumSGPRsForWavesPerEU: 40
; NumVGPRsForWavesPerEU: 117
; Occupancy: 12
; WaveLimiterHint : 1
; COMPUTE_PGM_RSRC2:SCRATCH_EN: 0
; COMPUTE_PGM_RSRC2:USER_SGPR: 13
; COMPUTE_PGM_RSRC2:TRAP_HANDLER: 0
; COMPUTE_PGM_RSRC2:TGID_X_EN: 1
; COMPUTE_PGM_RSRC2:TGID_Y_EN: 1
; COMPUTE_PGM_RSRC2:TGID_Z_EN: 1
; COMPUTE_PGM_RSRC2:TIDIG_COMP_CNT: 0
	.section	.text._ZN4vllm25paged_attention_v2_kernelI14__hip_bfloat16S1_Li32ELi16ELi128ELNS_18Fp8KVCacheDataTypeE0ELb1ELi512EEEvPfS3_PT_PKS4_PKT0_SA_ifPKiSC_iPKfiiiSE_SE_iiiii,"axG",@progbits,_ZN4vllm25paged_attention_v2_kernelI14__hip_bfloat16S1_Li32ELi16ELi128ELNS_18Fp8KVCacheDataTypeE0ELb1ELi512EEEvPfS3_PT_PKS4_PKT0_SA_ifPKiSC_iPKfiiiSE_SE_iiiii,comdat
	.protected	_ZN4vllm25paged_attention_v2_kernelI14__hip_bfloat16S1_Li32ELi16ELi128ELNS_18Fp8KVCacheDataTypeE0ELb1ELi512EEEvPfS3_PT_PKS4_PKT0_SA_ifPKiSC_iPKfiiiSE_SE_iiiii ; -- Begin function _ZN4vllm25paged_attention_v2_kernelI14__hip_bfloat16S1_Li32ELi16ELi128ELNS_18Fp8KVCacheDataTypeE0ELb1ELi512EEEvPfS3_PT_PKS4_PKT0_SA_ifPKiSC_iPKfiiiSE_SE_iiiii
	.globl	_ZN4vllm25paged_attention_v2_kernelI14__hip_bfloat16S1_Li32ELi16ELi128ELNS_18Fp8KVCacheDataTypeE0ELb1ELi512EEEvPfS3_PT_PKS4_PKT0_SA_ifPKiSC_iPKfiiiSE_SE_iiiii
	.p2align	8
	.type	_ZN4vllm25paged_attention_v2_kernelI14__hip_bfloat16S1_Li32ELi16ELi128ELNS_18Fp8KVCacheDataTypeE0ELb1ELi512EEEvPfS3_PT_PKS4_PKT0_SA_ifPKiSC_iPKfiiiSE_SE_iiiii,@function
_ZN4vllm25paged_attention_v2_kernelI14__hip_bfloat16S1_Li32ELi16ELi128ELNS_18Fp8KVCacheDataTypeE0ELb1ELi512EEEvPfS3_PT_PKS4_PKT0_SA_ifPKiSC_iPKfiiiSE_SE_iiiii: ; @_ZN4vllm25paged_attention_v2_kernelI14__hip_bfloat16S1_Li32ELi16ELi128ELNS_18Fp8KVCacheDataTypeE0ELb1ELi512EEEvPfS3_PT_PKS4_PKT0_SA_ifPKiSC_iPKfiiiSE_SE_iiiii
; %bb.0:
	s_load_b64 s[2:3], s[0:1], 0x40
	s_mov_b32 s22, s15
	s_ashr_i32 s15, s14, 31
	s_delay_alu instid0(SALU_CYCLE_1)
	s_lshl_b64 s[4:5], s[14:15], 2
	s_waitcnt lgkmcnt(0)
	s_add_u32 s2, s2, s4
	s_addc_u32 s3, s3, s5
	s_lshl_b32 s23, s22, 9
	s_load_b32 s33, s[2:3], 0x0
	s_waitcnt lgkmcnt(0)
	s_cmp_ge_i32 s23, s33
	s_cbranch_scc1 .LBB159_169
; %bb.1:
	s_clause 0x1
	s_load_b32 s15, s[0:1], 0x90
	s_load_b64 s[34:35], s[0:1], 0x30
	s_mov_b32 s24, s13
	s_mov_b32 s39, 0
	s_waitcnt lgkmcnt(0)
	s_abs_i32 s5, s15
	s_abs_i32 s2, s34
	s_delay_alu instid0(SALU_CYCLE_1) | instskip(SKIP_1) | instid1(VALU_DEP_1)
	v_cvt_f32_u32_e32 v1, s2
	s_sub_i32 s4, 0, s2
	v_rcp_iflag_f32_e32 v1, v1
	s_waitcnt_depctr 0xfff
	v_mul_f32_e32 v1, 0x4f7ffffe, v1
	s_delay_alu instid0(VALU_DEP_1) | instskip(NEXT) | instid1(VALU_DEP_1)
	v_cvt_u32_f32_e32 v1, v1
	v_readfirstlane_b32 s3, v1
	s_delay_alu instid0(VALU_DEP_1) | instskip(NEXT) | instid1(SALU_CYCLE_1)
	s_mul_i32 s4, s4, s3
	s_mul_hi_u32 s4, s3, s4
	s_delay_alu instid0(SALU_CYCLE_1) | instskip(SKIP_4) | instid1(SALU_CYCLE_1)
	s_add_i32 s3, s3, s4
	s_xor_b32 s4, s15, s34
	s_mul_hi_u32 s3, s5, s3
	s_ashr_i32 s4, s4, 31
	s_mul_i32 s6, s3, s2
	s_sub_i32 s5, s5, s6
	s_add_i32 s6, s3, 1
	s_sub_i32 s7, s5, s2
	s_cmp_ge_u32 s5, s2
	s_cselect_b32 s3, s6, s3
	s_cselect_b32 s5, s7, s5
	s_add_i32 s6, s3, 1
	s_cmp_ge_u32 s5, s2
	s_cselect_b32 s2, s6, s3
	s_abs_i32 s17, s13
	s_xor_b32 s2, s2, s4
	s_delay_alu instid0(SALU_CYCLE_1) | instskip(SKIP_2) | instid1(SALU_CYCLE_1)
	s_sub_i32 s8, s2, s4
	s_load_b64 s[2:3], s[0:1], 0x50
	s_abs_i32 s16, s8
	v_cvt_f32_u32_e32 v1, s16
	s_sub_i32 s5, 0, s16
	s_delay_alu instid0(VALU_DEP_1) | instskip(SKIP_2) | instid1(VALU_DEP_1)
	v_rcp_iflag_f32_e32 v1, v1
	s_waitcnt_depctr 0xfff
	v_mul_f32_e32 v1, 0x4f7ffffe, v1
	v_cvt_u32_f32_e32 v1, v1
	s_delay_alu instid0(VALU_DEP_1) | instskip(NEXT) | instid1(VALU_DEP_1)
	v_readfirstlane_b32 s4, v1
	s_mul_i32 s5, s5, s4
	s_delay_alu instid0(SALU_CYCLE_1) | instskip(NEXT) | instid1(SALU_CYCLE_1)
	s_mul_hi_u32 s5, s4, s5
	s_add_i32 s4, s4, s5
	s_waitcnt lgkmcnt(0)
	s_cmp_eq_u64 s[2:3], 0
	s_mul_hi_u32 s18, s17, s4
	s_cbranch_scc1 .LBB159_3
; %bb.2:
	s_ashr_i32 s25, s24, 31
	s_delay_alu instid0(SALU_CYCLE_1) | instskip(NEXT) | instid1(SALU_CYCLE_1)
	s_lshl_b64 s[4:5], s[24:25], 2
	s_add_u32 s2, s2, s4
	s_addc_u32 s3, s3, s5
	s_load_b32 s39, s[2:3], 0x0
.LBB159_3:
	s_load_b128 s[4:7], s[0:1], 0x58
	v_lshrrev_b32_e32 v15, 1, v0
	v_and_b32_e32 v16, 1, v0
	v_lshlrev_b32_e32 v3, 3, v0
	s_ashr_i32 s2, s24, 31
	s_ashr_i32 s3, s8, 31
	s_lshl_b32 s12, s24, 5
	s_waitcnt lgkmcnt(0)
	s_mov_b32 s7, exec_lo
	v_cmpx_gt_u32_e32 8, v0
	s_cbranch_execz .LBB159_5
; %bb.4:
	s_load_b64 s[8:9], s[0:1], 0x18
	s_mul_i32 s10, s14, s4
	v_lshlrev_b32_e32 v4, 3, v15
	s_ashr_i32 s11, s10, 31
	s_delay_alu instid0(SALU_CYCLE_1) | instskip(NEXT) | instid1(VALU_DEP_1)
	s_lshl_b64 s[10:11], s[10:11], 1
	v_lshl_add_u32 v4, v16, 5, v4
	s_waitcnt lgkmcnt(0)
	s_add_u32 s4, s8, s10
	s_addc_u32 s10, s9, s11
	s_ashr_i32 s13, s12, 31
	s_delay_alu instid0(SALU_CYCLE_1) | instskip(NEXT) | instid1(SALU_CYCLE_1)
	s_lshl_b64 s[8:9], s[12:13], 1
	s_add_u32 s8, s4, s8
	s_addc_u32 s9, s10, s9
	global_load_b64 v[1:2], v3, s[8:9]
	s_waitcnt vmcnt(0)
	ds_store_b64 v4, v[1:2]
.LBB159_5:
	s_or_b32 exec_lo, exec_lo, s7
	s_load_b128 s[8:11], s[0:1], 0x78
	s_mul_i32 s4, s18, s16
	s_xor_b32 s2, s2, s3
	s_sub_i32 s3, s17, s4
	s_add_i32 s4, s18, 1
	s_sub_i32 s7, s3, s16
	s_cmp_ge_u32 s3, s16
	s_mov_b32 s17, -1
	s_cselect_b32 s4, s4, s18
	s_cselect_b32 s3, s7, s3
	s_add_i32 s7, s4, 1
	s_cmp_ge_u32 s3, s16
	s_waitcnt lgkmcnt(0)
	s_cselect_b32 s3, s7, s4
	s_load_b32 s7, s[0:1], 0x88
	s_xor_b32 s3, s3, s2
	s_add_i32 s16, s33, -1
	s_sub_i32 s3, s3, s2
	s_abs_i32 s4, s16
	s_waitcnt lgkmcnt(0)
	s_barrier
	s_abs_i32 s13, s11
	buffer_gl0_inv
	v_cvt_f32_u32_e32 v1, s13
	s_sub_i32 s2, 0, s13
                                        ; implicit-def: $sgpr36
	s_delay_alu instid0(VALU_DEP_1) | instskip(SKIP_2) | instid1(VALU_DEP_1)
	v_rcp_iflag_f32_e32 v1, v1
	s_waitcnt_depctr 0xfff
	v_mul_f32_e32 v1, 0x4f7ffffe, v1
	v_cvt_u32_f32_e32 v1, v1
	s_delay_alu instid0(VALU_DEP_1) | instskip(NEXT) | instid1(VALU_DEP_1)
	v_readfirstlane_b32 s25, v1
	s_mul_i32 s2, s2, s25
	s_delay_alu instid0(SALU_CYCLE_1) | instskip(NEXT) | instid1(SALU_CYCLE_1)
	s_mul_hi_u32 s2, s25, s2
	s_add_i32 s25, s25, s2
	s_cmp_lt_i32 s7, 0
	s_mul_hi_u32 s2, s4, s25
	s_cbranch_scc0 .LBB159_7
; %bb.6:
	s_mul_i32 s17, s8, s34
	s_delay_alu instid0(SALU_CYCLE_1) | instskip(NEXT) | instid1(SALU_CYCLE_1)
	s_add_i32 s17, s3, s17
	s_mul_i32 s17, s17, s7
	s_delay_alu instid0(SALU_CYCLE_1)
	s_sub_i32 s36, 1, s17
	s_mov_b32 s17, 0
.LBB159_7:
	s_load_b64 s[26:27], s[0:1], 0x38
	s_ashr_i32 s28, s16, 31
	s_and_not1_b32 vcc_lo, exec_lo, s17
	s_ashr_i32 s11, s11, 31
	s_cbranch_vccnz .LBB159_9
; %bb.8:
	s_mul_i32 s8, s15, s8
	s_delay_alu instid0(SALU_CYCLE_1) | instskip(NEXT) | instid1(SALU_CYCLE_1)
	s_add_i32 s8, s8, s24
	s_mul_i32 s7, s8, s7
	s_delay_alu instid0(SALU_CYCLE_1)
	s_add_i32 s36, s7, 1
.LBB159_9:
	s_clause 0x4
	s_load_b32 s7, s[0:1], 0x48
	s_load_b64 s[30:31], s[0:1], 0x28
	s_load_b32 s8, s[0:1], 0x98
	s_load_b128 s[16:19], s[0:1], 0x0
	s_load_b64 s[20:21], s[0:1], 0x10
	s_xor_b32 s38, s28, s11
	s_mul_i32 s28, s2, s13
	s_add_i32 s34, s2, 1
	s_sub_i32 s4, s4, s28
	v_lshrrev_b32_e32 v17, 5, v0
	v_mov_b32_e32 v5, 0xff7fffff
	v_mbcnt_lo_u32_b32 v4, -1, 0
	s_mul_i32 s6, s3, s6
	s_delay_alu instid0(VALU_DEP_3)
	v_lshl_add_u32 v18, v17, 4, s23
	s_waitcnt lgkmcnt(0)
	s_mul_i32 s28, s14, s7
	s_sub_i32 s7, s4, s13
	s_ashr_i32 s29, s28, 31
	s_cmp_ge_u32 s4, s13
	s_cselect_b32 s2, s34, s2
	s_cselect_b32 s4, s7, s4
	s_add_i32 s7, s2, 1
	s_cmp_ge_u32 s4, s13
	s_cselect_b32 s2, s7, s2
	s_add_i32 s7, s33, 15
	s_lshl_b32 s4, s22, 5
	s_ashr_i32 s34, s7, 31
	v_or_b32_e32 v9, s4, v17
	s_lshr_b32 s34, s34, 28
	s_delay_alu instid0(SALU_CYCLE_1)
	s_add_i32 s7, s7, s34
	s_add_i32 s34, s4, 32
	s_ashr_i32 s37, s7, 4
	s_xor_b32 s7, s2, s38
	s_min_i32 s34, s34, s37
	v_ashrrev_i32_e32 v10, 31, v9
	v_cmp_gt_i32_e64 s2, s34, v9
	s_sub_i32 s38, s7, s38
	s_delay_alu instid0(VALU_DEP_1)
	s_and_saveexec_b32 s40, s2
	s_cbranch_execz .LBB159_19
; %bb.10:
	s_load_b64 s[0:1], s[0:1], 0x20
	s_ashr_i32 s7, s6, 31
	v_bfe_u32 v6, v0, 1, 4
	s_lshl_b64 s[42:43], s[6:7], 1
	s_sub_i32 s7, s38, s9
	v_cmp_eq_u32_e32 vcc_lo, 0, v16
	v_lshlrev_b32_e32 v7, 5, v16
	v_lshlrev_b32_e32 v13, 2, v6
	v_subrev_nc_u32_e32 v20, s33, v6
	v_lshlrev_b32_e32 v23, 4, v6
	v_lshl_add_u32 v8, v17, 4, s23
	v_mov_b32_e32 v11, 0xff7fffff
	v_lshl_or_b32 v21, v17, 6, v13
	v_add_nc_u32_e32 v13, 1, v20
	v_xor_b32_e32 v12, 1, v4
	s_waitcnt lgkmcnt(0)
	s_add_u32 s3, s0, s42
	s_addc_u32 s1, s1, s43
	s_abs_i32 s41, s10
	v_cmp_neq_f32_e64 s0, s39, 0
	v_cvt_f32_u32_e32 v1, s41
	s_sub_i32 s42, 0, s41
	s_delay_alu instid0(VALU_DEP_1)
	v_rcp_iflag_f32_e32 v5, v1
	v_and_b32_e32 v19, 8, v3
	v_lshlrev_b64 v[1:2], 2, v[9:10]
	s_waitcnt_depctr 0xfff
	v_mul_f32_e32 v14, 0x4f7ffffe, v5
	v_mov_b32_e32 v5, 0xff7fffff
	s_delay_alu instid0(VALU_DEP_2) | instskip(SKIP_2) | instid1(VALU_DEP_1)
	v_cvt_u32_f32_e32 v22, v14
	v_add_nc_u32_e32 v14, 0x60, v21
	v_add_co_u32 v21, s3, s3, v23
	v_add_co_ci_u32_e64 v23, null, s1, 0, s3
	s_delay_alu instid0(VALU_DEP_4) | instskip(SKIP_1) | instid1(SALU_CYCLE_1)
	v_mul_lo_u32 v20, s42, v22
	s_lshl_b64 s[42:43], s[28:29], 2
	s_add_u32 s1, s26, s42
	s_addc_u32 s3, s27, s43
	v_add_co_u32 v1, s1, s1, v1
	s_delay_alu instid0(VALU_DEP_1) | instskip(NEXT) | instid1(VALU_DEP_3)
	v_add_co_ci_u32_e64 v2, s1, s3, v2, s1
	v_mul_hi_u32 v24, v22, v20
	v_add_co_u32 v19, s1, v21, v19
	s_delay_alu instid0(VALU_DEP_1) | instskip(SKIP_2) | instid1(VALU_DEP_3)
	v_add_co_ci_u32_e64 v20, s1, 0, v23, s1
	s_mov_b32 s42, 0
	s_mov_b32 s43, s5
	v_dual_mov_b32 v22, v9 :: v_dual_add_nc_u32 v21, v22, v24
	s_branch .LBB159_13
.LBB159_11:                             ;   in Loop: Header=BB159_13 Depth=1
	s_or_b32 exec_lo, exec_lo, s44
.LBB159_12:                             ;   in Loop: Header=BB159_13 Depth=1
	s_delay_alu instid0(SALU_CYCLE_1) | instskip(SKIP_2) | instid1(VALU_DEP_1)
	s_or_b32 exec_lo, exec_lo, s3
	v_add_nc_u32_e32 v22, 4, v22
	v_add_co_u32 v1, s3, v1, 16
	v_add_co_ci_u32_e64 v2, s3, 0, v2, s3
	s_delay_alu instid0(VALU_DEP_3) | instskip(SKIP_2) | instid1(VALU_DEP_3)
	v_cmp_le_i32_e64 s1, s34, v22
	v_add_nc_u32_e32 v8, 64, v8
	v_add_nc_u32_e32 v14, 0x100, v14
	s_or_b32 s42, s1, s42
	s_delay_alu instid0(SALU_CYCLE_1)
	s_and_not1_b32 exec_lo, exec_lo, s42
	s_cbranch_execz .LBB159_18
.LBB159_13:                             ; =>This Inner Loop Header: Depth=1
	v_sub_nc_u32_e32 v23, 0, v8
	s_delay_alu instid0(VALU_DEP_1) | instskip(SKIP_1) | instid1(VALU_DEP_1)
	v_max_i32_e32 v23, v8, v23
	s_waitcnt lgkmcnt(0)
	v_mul_hi_u32 v24, v23, s25
	s_delay_alu instid0(VALU_DEP_1) | instskip(NEXT) | instid1(VALU_DEP_1)
	v_mul_lo_u32 v25, v24, s13
	v_sub_nc_u32_e32 v23, v23, v25
	v_add_nc_u32_e32 v25, 1, v24
	s_delay_alu instid0(VALU_DEP_2) | instskip(SKIP_1) | instid1(VALU_DEP_1)
	v_subrev_nc_u32_e32 v26, s13, v23
	v_cmp_le_u32_e64 s1, s13, v23
	v_cndmask_b32_e64 v24, v24, v25, s1
	s_delay_alu instid0(VALU_DEP_3) | instskip(SKIP_1) | instid1(VALU_DEP_3)
	v_cndmask_b32_e64 v23, v23, v26, s1
	v_ashrrev_i32_e32 v25, 31, v8
	v_add_nc_u32_e32 v26, 1, v24
	s_delay_alu instid0(VALU_DEP_3) | instskip(NEXT) | instid1(VALU_DEP_3)
	v_cmp_le_u32_e64 s1, s13, v23
	v_xor_b32_e32 v25, s11, v25
	s_delay_alu instid0(VALU_DEP_2) | instskip(NEXT) | instid1(VALU_DEP_1)
	v_cndmask_b32_e64 v23, v24, v26, s1
	v_xor_b32_e32 v23, v23, v25
	s_delay_alu instid0(VALU_DEP_1) | instskip(NEXT) | instid1(VALU_DEP_1)
	v_sub_nc_u32_e32 v23, v23, v25
	v_add_nc_u32_e32 v24, s36, v23
	v_cmp_ge_i32_e64 s3, s7, v23
	s_delay_alu instid0(VALU_DEP_2) | instskip(NEXT) | instid1(VALU_DEP_1)
	v_sub_nc_u32_e32 v25, 0, v24
	v_max_i32_e32 v25, v24, v25
	v_ashrrev_i32_e32 v24, 31, v24
	s_delay_alu instid0(VALU_DEP_2) | instskip(NEXT) | instid1(VALU_DEP_1)
	v_mul_hi_u32 v26, v25, v21
	v_mul_lo_u32 v26, v26, s41
	s_delay_alu instid0(VALU_DEP_1) | instskip(NEXT) | instid1(VALU_DEP_1)
	v_sub_nc_u32_e32 v25, v25, v26
	v_subrev_nc_u32_e32 v26, s41, v25
	v_cmp_le_u32_e64 s1, s41, v25
	s_delay_alu instid0(VALU_DEP_1) | instskip(NEXT) | instid1(VALU_DEP_1)
	v_cndmask_b32_e64 v25, v25, v26, s1
	v_subrev_nc_u32_e32 v26, s41, v25
	v_cmp_le_u32_e64 s1, s41, v25
	s_delay_alu instid0(VALU_DEP_1) | instskip(NEXT) | instid1(VALU_DEP_1)
	v_cndmask_b32_e64 v25, v25, v26, s1
	v_xor_b32_e32 v25, v25, v24
	s_delay_alu instid0(VALU_DEP_1) | instskip(NEXT) | instid1(VALU_DEP_1)
	v_sub_nc_u32_e32 v24, v25, v24
	v_cmp_ne_u32_e64 s1, 0, v24
	s_delay_alu instid0(VALU_DEP_1) | instskip(NEXT) | instid1(SALU_CYCLE_1)
	s_and_b32 s1, s1, s3
	s_and_b32 s44, vcc_lo, s1
	s_delay_alu instid0(SALU_CYCLE_1)
	s_and_saveexec_b32 s3, s44
	s_cbranch_execz .LBB159_15
; %bb.14:                               ;   in Loop: Header=BB159_13 Depth=1
	ds_store_b32 v14, v11
.LBB159_15:                             ;   in Loop: Header=BB159_13 Depth=1
	s_or_b32 exec_lo, exec_lo, s3
	s_xor_b32 s1, s1, -1
	s_delay_alu instid0(SALU_CYCLE_1)
	s_and_saveexec_b32 s3, s1
	s_cbranch_execz .LBB159_12
; %bb.16:                               ;   in Loop: Header=BB159_13 Depth=1
	global_load_b32 v25, v[1:2], off
	s_waitcnt vmcnt(0)
	v_mad_i64_i32 v[23:24], null, v25, s43, 0
	s_delay_alu instid0(VALU_DEP_1) | instskip(NEXT) | instid1(VALU_DEP_1)
	v_lshlrev_b64 v[23:24], 1, v[23:24]
	v_add_co_u32 v23, s1, v19, v23
	s_delay_alu instid0(VALU_DEP_1)
	v_add_co_ci_u32_e64 v24, s1, v20, v24, s1
	v_cmp_gt_i32_e64 s1, 32, v12
	s_clause 0x3
	global_load_b64 v[31:32], v[23:24], off
	global_load_b64 v[33:34], v[23:24], off offset:256
	global_load_b64 v[35:36], v[23:24], off offset:512
	;; [unrolled: 1-line block ×3, first 2 shown]
	ds_load_b128 v[23:26], v7
	ds_load_b128 v[27:30], v7 offset:16
	s_waitcnt vmcnt(3)
	v_lshlrev_b32_e32 v47, 16, v31
	s_waitcnt vmcnt(2)
	v_lshlrev_b32_e32 v49, 16, v33
	v_and_b32_e32 v33, 0xffff0000, v33
	s_waitcnt lgkmcnt(1)
	v_lshlrev_b32_e32 v42, 16, v26
	v_lshlrev_b32_e32 v50, 16, v34
	v_and_b32_e32 v34, 0xffff0000, v34
	s_waitcnt vmcnt(1)
	v_lshlrev_b32_e32 v51, 16, v35
	v_and_b32_e32 v35, 0xffff0000, v35
	v_and_b32_e32 v26, 0xffff0000, v26
	v_lshlrev_b32_e32 v41, 16, v25
	v_and_b32_e32 v25, 0xffff0000, v25
	v_lshlrev_b32_e32 v48, 16, v32
	s_delay_alu instid0(VALU_DEP_4) | instskip(NEXT) | instid1(VALU_DEP_4)
	v_dual_mul_f32 v26, v26, v34 :: v_dual_and_b32 v31, 0xffff0000, v31
	v_dual_mul_f32 v41, v41, v49 :: v_dual_lshlrev_b32 v40, 16, v24
	s_delay_alu instid0(VALU_DEP_4)
	v_mul_f32_e32 v25, v25, v33
	v_dual_mul_f32 v42, v42, v50 :: v_dual_lshlrev_b32 v39, 16, v23
	s_waitcnt lgkmcnt(0)
	v_lshlrev_b32_e32 v43, 16, v27
	v_lshlrev_b32_e32 v44, 16, v28
	v_and_b32_e32 v32, 0xffff0000, v32
	v_dual_fmac_f32 v41, v39, v47 :: v_dual_lshlrev_b32 v52, 16, v36
	v_dual_fmac_f32 v42, v40, v48 :: v_dual_and_b32 v23, 0xffff0000, v23
	v_and_b32_e32 v24, 0xffff0000, v24
	v_and_b32_e32 v33, 0xffff0000, v36
	s_delay_alu instid0(VALU_DEP_4) | instskip(NEXT) | instid1(VALU_DEP_4)
	v_fmac_f32_e32 v41, v43, v51
	v_dual_fmac_f32 v42, v44, v52 :: v_dual_lshlrev_b32 v45, 16, v29
	s_delay_alu instid0(VALU_DEP_4)
	v_fmac_f32_e32 v26, v24, v32
	v_dual_fmac_f32 v25, v23, v31 :: v_dual_lshlrev_b32 v46, 16, v30
	s_waitcnt vmcnt(0)
	v_and_b32_e32 v23, 0xffff0000, v37
	v_and_b32_e32 v24, 0xffff0000, v38
	v_and_b32_e32 v29, 0xffff0000, v29
	v_and_b32_e32 v28, 0xffff0000, v28
	v_and_b32_e32 v27, 0xffff0000, v27
	v_lshlrev_b32_e32 v36, 16, v37
	s_delay_alu instid0(VALU_DEP_2) | instskip(SKIP_1) | instid1(VALU_DEP_3)
	v_dual_fmac_f32 v26, v28, v33 :: v_dual_fmac_f32 v25, v27, v35
	v_lshlrev_b32_e32 v27, 16, v38
	v_fmac_f32_e32 v41, v45, v36
	s_delay_alu instid0(VALU_DEP_3) | instskip(NEXT) | instid1(VALU_DEP_3)
	v_fmac_f32_e32 v25, v29, v23
	v_dual_fmac_f32 v42, v46, v27 :: v_dual_and_b32 v23, 0xffff0000, v30
	v_cndmask_b32_e64 v27, v4, v12, s1
	s_delay_alu instid0(VALU_DEP_2) | instskip(NEXT) | instid1(VALU_DEP_1)
	v_dual_add_f32 v25, v41, v25 :: v_dual_fmac_f32 v26, v23, v24
	v_dual_add_f32 v23, v25, v42 :: v_dual_lshlrev_b32 v24, 2, v27
	s_delay_alu instid0(VALU_DEP_1)
	v_add_f32_e32 v23, v26, v23
	ds_bpermute_b32 v24, v24, v23
	s_and_saveexec_b32 s44, vcc_lo
	s_cbranch_execz .LBB159_11
; %bb.17:                               ;   in Loop: Header=BB159_13 Depth=1
	s_waitcnt lgkmcnt(0)
	v_add_f32_e32 v23, v23, v24
	v_add_nc_u32_e32 v25, v13, v8
	s_delay_alu instid0(VALU_DEP_1) | instskip(NEXT) | instid1(VALU_DEP_1)
	v_cvt_f32_i32_e32 v25, v25
	v_mul_f32_e32 v25, s39, v25
	s_delay_alu instid0(VALU_DEP_1) | instskip(NEXT) | instid1(VALU_DEP_1)
	v_cndmask_b32_e64 v24, 0, v25, s0
	v_dual_max_f32 v25, v5, v5 :: v_dual_fmac_f32 v24, s35, v23
	v_add_nc_u32_e32 v23, v6, v8
	s_delay_alu instid0(VALU_DEP_2) | instskip(NEXT) | instid1(VALU_DEP_2)
	v_max_f32_e32 v25, v25, v24
	v_cmp_gt_i32_e64 s1, s33, v23
	s_delay_alu instid0(VALU_DEP_1) | instskip(NEXT) | instid1(VALU_DEP_3)
	v_cndmask_b32_e64 v23, 0, v24, s1
	v_cndmask_b32_e64 v5, v5, v25, s1
	ds_store_b32 v14, v23
	s_branch .LBB159_11
.LBB159_18:
	s_or_b32 exec_lo, exec_lo, s42
.LBB159_19:
	s_delay_alu instid0(SALU_CYCLE_1) | instskip(SKIP_4) | instid1(VALU_DEP_4)
	s_or_b32 exec_lo, exec_lo, s40
	v_xor_b32_e32 v1, 16, v4
	v_xor_b32_e32 v2, 8, v4
	;; [unrolled: 1-line block ×3, first 2 shown]
	v_and_b32_e32 v19, 31, v0
	v_cmp_gt_i32_e32 vcc_lo, 32, v1
	v_cndmask_b32_e32 v1, v4, v1, vcc_lo
	v_cmp_gt_i32_e32 vcc_lo, 32, v2
	v_max_f32_e32 v7, v5, v5
	s_delay_alu instid0(VALU_DEP_3) | instskip(SKIP_4) | instid1(VALU_DEP_1)
	v_lshlrev_b32_e32 v6, 2, v1
	v_cndmask_b32_e32 v2, v4, v2, vcc_lo
	ds_bpermute_b32 v1, v6, v5
	s_waitcnt lgkmcnt(0)
	v_max_f32_e32 v1, v1, v1
	v_max_f32_e32 v1, v7, v1
	v_xor_b32_e32 v7, 4, v4
	s_delay_alu instid0(VALU_DEP_1) | instskip(SKIP_3) | instid1(VALU_DEP_3)
	v_cmp_gt_i32_e32 vcc_lo, 32, v7
	v_cndmask_b32_e32 v7, v4, v7, vcc_lo
	v_cmp_gt_i32_e32 vcc_lo, 32, v8
	v_lshlrev_b32_e32 v5, 2, v2
	v_dual_cndmask_b32 v8, v4, v8 :: v_dual_lshlrev_b32 v7, 2, v7
	ds_bpermute_b32 v2, v5, v1
	v_cmp_eq_u32_e32 vcc_lo, 0, v19
	s_waitcnt lgkmcnt(0)
	v_max_f32_e32 v2, v2, v2
	s_delay_alu instid0(VALU_DEP_1) | instskip(SKIP_3) | instid1(VALU_DEP_1)
	v_max_f32_e32 v1, v1, v2
	ds_bpermute_b32 v2, v7, v1
	s_waitcnt lgkmcnt(0)
	v_max_f32_e32 v2, v2, v2
	v_dual_max_f32 v1, v1, v2 :: v_dual_lshlrev_b32 v2, 2, v8
	v_lshlrev_b32_e32 v8, 2, v17
	ds_bpermute_b32 v11, v2, v1
	s_and_saveexec_b32 s0, vcc_lo
	s_cbranch_execz .LBB159_21
; %bb.20:
	s_waitcnt lgkmcnt(0)
	v_max_f32_e32 v11, v11, v11
	v_max_f32_e32 v1, v1, v1
	s_delay_alu instid0(VALU_DEP_1)
	v_max_f32_e32 v1, v1, v11
	ds_store_b32 v8, v1 offset:64
.LBB159_21:
	s_or_b32 exec_lo, exec_lo, s0
	v_cmp_gt_u32_e64 s0, 4, v19
	v_mov_b32_e32 v1, 0xff7fffff
	s_waitcnt lgkmcnt(0)
	v_lshlrev_b32_e32 v11, 2, v19
	s_barrier
	buffer_gl0_inv
	s_and_saveexec_b32 s1, s0
	s_cbranch_execz .LBB159_23
; %bb.22:
	ds_load_b32 v1, v11 offset:64
.LBB159_23:
	s_or_b32 exec_lo, exec_lo, s1
	s_waitcnt lgkmcnt(0)
	ds_bpermute_b32 v12, v2, v1
	v_xor_b32_e32 v13, 1, v4
	v_max_f32_e32 v1, v1, v1
	s_delay_alu instid0(VALU_DEP_2) | instskip(NEXT) | instid1(VALU_DEP_1)
	v_cmp_gt_i32_e64 s1, 32, v13
	v_cndmask_b32_e64 v4, v4, v13, s1
	s_sub_i32 s1, s34, s4
	s_delay_alu instid0(SALU_CYCLE_1) | instskip(NEXT) | instid1(VALU_DEP_1)
	s_lshl_b32 s1, s1, 4
	v_lshlrev_b32_e32 v20, 2, v4
	s_add_i32 s1, s1, s23
	s_delay_alu instid0(SALU_CYCLE_1) | instskip(SKIP_3) | instid1(SALU_CYCLE_1)
	s_min_i32 s1, s1, s33
	s_waitcnt lgkmcnt(0)
	v_max_f32_e32 v12, v12, v12
	s_sub_i32 s7, s1, s23
	v_cmp_gt_i32_e64 s1, s7, v0
	s_delay_alu instid0(VALU_DEP_2) | instskip(SKIP_3) | instid1(VALU_DEP_1)
	v_dual_max_f32 v1, v1, v12 :: v_dual_mov_b32 v12, 0
	ds_bpermute_b32 v4, v20, v1
	s_waitcnt lgkmcnt(0)
	v_max_f32_e32 v4, v4, v4
	v_max_f32_e32 v1, v1, v4
	v_lshl_add_u32 v4, v0, 2, 0x60
	ds_bpermute_b32 v1, v12, v1
	s_and_saveexec_b32 s23, s1
	s_cbranch_execz .LBB159_27
; %bb.24:
	v_lshl_add_u32 v13, v0, 2, 0x60
	v_mov_b32_e32 v12, 0
	v_mov_b32_e32 v14, v0
	s_mov_b32 s35, 0
	.p2align	6
.LBB159_25:                             ; =>This Inner Loop Header: Depth=1
	ds_load_b32 v21, v13
	v_add_nc_u32_e32 v14, 0x80, v14
	s_delay_alu instid0(VALU_DEP_1) | instskip(NEXT) | instid1(VALU_DEP_1)
	v_cmp_le_i32_e64 s3, s7, v14
	s_or_b32 s35, s3, s35
	s_waitcnt lgkmcnt(0)
	v_sub_f32_e32 v21, v21, v1
	s_delay_alu instid0(VALU_DEP_1) | instskip(NEXT) | instid1(VALU_DEP_1)
	v_mul_f32_e32 v21, 0x3fb8aa3b, v21
	v_exp_f32_e32 v21, v21
	ds_store_b32 v13, v21
	v_add_f32_e32 v12, v12, v21
	v_add_nc_u32_e32 v13, 0x200, v13
	s_and_not1_b32 exec_lo, exec_lo, s35
	s_cbranch_execnz .LBB159_25
; %bb.26:
	s_or_b32 exec_lo, exec_lo, s35
.LBB159_27:
	s_delay_alu instid0(SALU_CYCLE_1)
	s_or_b32 exec_lo, exec_lo, s23
	ds_bpermute_b32 v6, v6, v12
	s_waitcnt lgkmcnt(0)
	v_add_f32_e32 v6, v12, v6
	ds_bpermute_b32 v5, v5, v6
	s_waitcnt lgkmcnt(0)
	v_add_f32_e32 v5, v6, v5
	;; [unrolled: 3-line block ×5, first 2 shown]
	s_and_saveexec_b32 s3, vcc_lo
	s_cbranch_execz .LBB159_29
; %bb.28:
	ds_store_b32 v8, v5 offset:80
.LBB159_29:
	s_or_b32 exec_lo, exec_lo, s3
	s_waitcnt lgkmcnt(0)
	s_barrier
	buffer_gl0_inv
	s_and_saveexec_b32 s3, s0
	s_cbranch_execz .LBB159_31
; %bb.30:
	ds_load_b32 v5, v11 offset:80
.LBB159_31:
	s_or_b32 exec_lo, exec_lo, s3
	s_waitcnt lgkmcnt(0)
	ds_bpermute_b32 v2, v2, v5
	s_waitcnt lgkmcnt(0)
	v_add_f32_e32 v2, v5, v2
	ds_bpermute_b32 v5, v20, v2
	s_waitcnt lgkmcnt(0)
	v_dual_add_f32 v2, v2, v5 :: v_dual_mov_b32 v5, 0
	ds_bpermute_b32 v2, v5, v2
	s_and_saveexec_b32 s0, s1
	s_cbranch_execz .LBB159_34
; %bb.32:
	s_waitcnt lgkmcnt(0)
	v_add_f32_e32 v5, 0x358637bd, v2
	s_mov_b32 s1, 0
	s_delay_alu instid0(VALU_DEP_1) | instskip(SKIP_1) | instid1(VALU_DEP_2)
	v_div_scale_f32 v6, null, v5, v5, 1.0
	v_div_scale_f32 v11, vcc_lo, 1.0, v5, 1.0
	v_rcp_f32_e32 v7, v6
	s_waitcnt_depctr 0xfff
	v_fma_f32 v8, -v6, v7, 1.0
	s_delay_alu instid0(VALU_DEP_1) | instskip(NEXT) | instid1(VALU_DEP_1)
	v_fmac_f32_e32 v7, v8, v7
	v_mul_f32_e32 v8, v11, v7
	s_delay_alu instid0(VALU_DEP_1) | instskip(NEXT) | instid1(VALU_DEP_1)
	v_fma_f32 v12, -v6, v8, v11
	v_fmac_f32_e32 v8, v12, v7
	s_delay_alu instid0(VALU_DEP_1) | instskip(NEXT) | instid1(VALU_DEP_1)
	v_fma_f32 v6, -v6, v8, v11
	v_div_fmas_f32 v6, v6, v7, v8
	s_delay_alu instid0(VALU_DEP_1)
	v_div_fixup_f32 v5, v6, v5, 1.0
	v_mov_b32_e32 v6, v0
.LBB159_33:                             ; =>This Inner Loop Header: Depth=1
	ds_load_b32 v7, v4
	s_waitcnt lgkmcnt(0)
	v_dual_mul_f32 v7, v5, v7 :: v_dual_add_nc_u32 v6, 0x80, v6
	s_delay_alu instid0(VALU_DEP_1) | instskip(SKIP_3) | instid1(SALU_CYCLE_1)
	v_cmp_le_i32_e32 vcc_lo, s7, v6
	ds_store_b32 v4, v7
	v_add_nc_u32_e32 v4, 0x200, v4
	s_or_b32 s1, vcc_lo, s1
	s_and_not1_b32 exec_lo, exec_lo, s1
	s_cbranch_execnz .LBB159_33
.LBB159_34:
	s_or_b32 exec_lo, exec_lo, s0
	s_delay_alu instid0(SALU_CYCLE_1)
	s_mov_b32 s0, exec_lo
	s_waitcnt lgkmcnt(0)
	s_barrier
	buffer_gl0_inv
	v_cmpx_eq_u32_e32 0, v0
	s_cbranch_execz .LBB159_36
; %bb.35:
	s_mul_i32 s1, s8, s14
	s_mul_i32 s42, s8, s24
	;; [unrolled: 1-line block ×3, first 2 shown]
	v_mov_b32_e32 v4, 0
	s_ashr_i32 s41, s40, 31
	s_delay_alu instid0(SALU_CYCLE_1) | instskip(NEXT) | instid1(SALU_CYCLE_1)
	s_lshl_b64 s[40:41], s[40:41], 2
	s_add_u32 s1, s18, s40
	s_addc_u32 s3, s19, s41
	s_ashr_i32 s43, s42, 31
	s_delay_alu instid0(SALU_CYCLE_1) | instskip(NEXT) | instid1(SALU_CYCLE_1)
	s_lshl_b64 s[18:19], s[42:43], 2
	s_add_u32 s1, s1, s18
	s_addc_u32 s3, s3, s19
	;; [unrolled: 5-line block ×3, first 2 shown]
	s_add_u32 s1, s16, s40
	s_addc_u32 s3, s17, s41
	s_add_u32 s1, s1, s18
	s_addc_u32 s3, s3, s19
	;; [unrolled: 2-line block ×3, first 2 shown]
	s_clause 0x1
	global_store_b32 v4, v1, s[42:43]
	global_store_b32 v4, v2, s[16:17]
.LBB159_36:
	s_or_b32 exec_lo, exec_lo, s0
	v_dual_mov_b32 v12, 0 :: v_dual_mov_b32 v11, 0
	s_mov_b32 s3, 0
	s_and_saveexec_b32 s1, s2
	s_cbranch_execz .LBB159_142
; %bb.37:
	s_ashr_i32 s7, s6, 31
	s_sub_i32 s2, s38, s9
	s_lshl_b64 s[6:7], s[6:7], 1
	s_mov_b32 s16, 0
	s_add_u32 s0, s30, s6
	s_addc_u32 s9, s31, s7
	s_abs_i32 s6, s10
	s_mov_b32 s17, s16
	v_cvt_f32_u32_e32 v1, s6
	v_and_b32_e32 v21, 8, v3
	s_sub_i32 s7, 0, s6
	v_lshlrev_b32_e32 v5, 5, v16
	s_lshl_b64 s[18:19], s[28:29], 2
	v_rcp_iflag_f32_e32 v1, v1
	v_dual_mov_b32 v11, s16 :: v_dual_lshlrev_b32 v4, 4, v0
	v_mov_b32_e32 v12, s17
	v_lshl_or_b32 v5, v17, 6, v5
	s_delay_alu instid0(VALU_DEP_3) | instskip(NEXT) | instid1(VALU_DEP_2)
	v_and_b32_e32 v4, 0x1f0, v4
	v_add_nc_u32_e32 v23, 0x60, v5
	s_waitcnt_depctr 0xfff
	v_mul_f32_e32 v1, 0x4f7ffffe, v1
	s_delay_alu instid0(VALU_DEP_1) | instskip(SKIP_2) | instid1(VALU_DEP_1)
	v_cvt_u32_f32_e32 v3, v1
	v_lshlrev_b64 v[1:2], 2, v[9:10]
	v_add_co_u32 v10, s0, s0, v4
	v_add_co_ci_u32_e64 v22, null, s9, 0, s0
	s_delay_alu instid0(VALU_DEP_4)
	v_mul_lo_u32 v6, s7, v3
	s_add_i32 s7, s37, -1
	s_add_u32 s10, s26, s18
	s_addc_u32 s18, s27, s19
	v_add_co_u32 v13, vcc_lo, s10, v1
	v_add_co_ci_u32_e32 v14, vcc_lo, s18, v2, vcc_lo
	s_delay_alu instid0(VALU_DEP_3) | instskip(NEXT) | instid1(VALU_DEP_1)
	v_mul_hi_u32 v6, v3, v6
	v_add_nc_u32_e32 v24, v3, v6
	s_branch .LBB159_40
.LBB159_38:                             ;   in Loop: Header=BB159_40 Depth=1
	s_or_b32 exec_lo, exec_lo, s0
	v_and_b32_e32 v30, 0xffff0000, v30
	v_and_b32_e32 v6, 0xffff0000, v6
	;; [unrolled: 1-line block ×7, first 2 shown]
	v_add_f32_e32 v1, v1, v6
	v_add_f32_e32 v2, v2, v30
	v_and_b32_e32 v8, 0xffff0000, v8
	v_and_b32_e32 v7, 0xffff0000, v7
	s_delay_alu instid0(VALU_DEP_3) | instskip(NEXT) | instid1(VALU_DEP_2)
	v_add_f32_e32 v1, v1, v2
	v_dual_add_f32 v7, v7, v8 :: v_dual_and_b32 v26, 0xffff0000, v26
	s_delay_alu instid0(VALU_DEP_1) | instskip(SKIP_3) | instid1(VALU_DEP_4)
	v_dual_add_f32 v8, v25, v26 :: v_dual_and_b32 v27, 0xffff0000, v27
	v_and_b32_e32 v25, 0xffff0000, v31
	v_and_b32_e32 v29, 0xffff0000, v29
	;; [unrolled: 1-line block ×3, first 2 shown]
	v_add_f32_e32 v6, v7, v8
	v_add_f32_e32 v7, v27, v28
	;; [unrolled: 1-line block ×3, first 2 shown]
	v_and_b32_e32 v4, 0xffff0000, v4
	v_and_b32_e32 v3, 0xffff0000, v5
	s_delay_alu instid0(VALU_DEP_4) | instskip(NEXT) | instid1(VALU_DEP_4)
	v_add_f32_e32 v5, v6, v7
	v_add_f32_e32 v1, v1, v2
	;; [unrolled: 1-line block ×3, first 2 shown]
	s_delay_alu instid0(VALU_DEP_1) | instskip(NEXT) | instid1(VALU_DEP_1)
	v_dual_add_f32 v2, v4, v3 :: v_dual_add_f32 v3, v5, v6
	v_add_f32_e32 v1, v1, v2
	s_delay_alu instid0(VALU_DEP_1)
	v_dual_add_f32 v11, v11, v3 :: v_dual_add_f32 v12, v12, v1
.LBB159_39:                             ;   in Loop: Header=BB159_40 Depth=1
	s_or_b32 exec_lo, exec_lo, s9
	v_add_nc_u32_e32 v9, 4, v9
	v_add_co_u32 v13, s0, v13, 16
	s_delay_alu instid0(VALU_DEP_1) | instskip(NEXT) | instid1(VALU_DEP_3)
	v_add_co_ci_u32_e64 v14, s0, 0, v14, s0
	v_cmp_le_i32_e32 vcc_lo, s34, v9
	v_add_nc_u32_e32 v18, 64, v18
	v_add_nc_u32_e32 v23, 0x100, v23
	s_or_b32 s3, vcc_lo, s3
	s_delay_alu instid0(SALU_CYCLE_1)
	s_and_not1_b32 exec_lo, exec_lo, s3
	s_cbranch_execz .LBB159_141
.LBB159_40:                             ; =>This Inner Loop Header: Depth=1
	v_sub_nc_u32_e32 v1, 0, v18
	s_delay_alu instid0(VALU_DEP_1) | instskip(NEXT) | instid1(VALU_DEP_1)
	v_max_i32_e32 v1, v18, v1
	v_mul_hi_u32 v2, v1, s25
	s_delay_alu instid0(VALU_DEP_1) | instskip(NEXT) | instid1(VALU_DEP_1)
	v_mul_lo_u32 v3, v2, s13
	v_sub_nc_u32_e32 v1, v1, v3
	v_add_nc_u32_e32 v3, 1, v2
	s_delay_alu instid0(VALU_DEP_2) | instskip(SKIP_1) | instid1(VALU_DEP_2)
	v_subrev_nc_u32_e32 v4, s13, v1
	v_cmp_le_u32_e32 vcc_lo, s13, v1
	v_dual_cndmask_b32 v2, v2, v3 :: v_dual_cndmask_b32 v1, v1, v4
	v_ashrrev_i32_e32 v3, 31, v18
	s_delay_alu instid0(VALU_DEP_2) | instskip(NEXT) | instid1(VALU_DEP_3)
	v_add_nc_u32_e32 v4, 1, v2
	v_cmp_le_u32_e32 vcc_lo, s13, v1
	s_delay_alu instid0(VALU_DEP_3) | instskip(NEXT) | instid1(VALU_DEP_3)
	v_xor_b32_e32 v3, s11, v3
	v_cndmask_b32_e32 v1, v2, v4, vcc_lo
	s_delay_alu instid0(VALU_DEP_1) | instskip(NEXT) | instid1(VALU_DEP_1)
	v_xor_b32_e32 v1, v1, v3
	v_sub_nc_u32_e32 v1, v1, v3
	s_delay_alu instid0(VALU_DEP_1) | instskip(SKIP_1) | instid1(VALU_DEP_2)
	v_add_nc_u32_e32 v2, s36, v1
	v_cmp_lt_i32_e64 s0, s2, v1
	v_sub_nc_u32_e32 v3, 0, v2
	s_delay_alu instid0(VALU_DEP_1) | instskip(NEXT) | instid1(VALU_DEP_1)
	v_max_i32_e32 v3, v2, v3
	v_mul_hi_u32 v4, v3, v24
	s_delay_alu instid0(VALU_DEP_1) | instskip(NEXT) | instid1(VALU_DEP_1)
	v_mul_lo_u32 v4, v4, s6
	v_sub_nc_u32_e32 v3, v3, v4
	s_delay_alu instid0(VALU_DEP_1) | instskip(SKIP_1) | instid1(VALU_DEP_2)
	v_subrev_nc_u32_e32 v4, s6, v3
	v_cmp_le_u32_e32 vcc_lo, s6, v3
	v_cndmask_b32_e32 v3, v3, v4, vcc_lo
	v_ashrrev_i32_e32 v2, 31, v2
	s_delay_alu instid0(VALU_DEP_2) | instskip(SKIP_1) | instid1(VALU_DEP_2)
	v_subrev_nc_u32_e32 v4, s6, v3
	v_cmp_le_u32_e32 vcc_lo, s6, v3
	v_cndmask_b32_e32 v3, v3, v4, vcc_lo
	s_delay_alu instid0(VALU_DEP_1) | instskip(NEXT) | instid1(VALU_DEP_1)
	v_xor_b32_e32 v3, v3, v2
	v_sub_nc_u32_e32 v2, v3, v2
	s_delay_alu instid0(VALU_DEP_1) | instskip(SKIP_1) | instid1(SALU_CYCLE_1)
	v_cmp_eq_u32_e32 vcc_lo, 0, v2
	s_or_b32 s0, vcc_lo, s0
	s_and_saveexec_b32 s9, s0
	s_cbranch_execz .LBB159_39
; %bb.41:                               ;   in Loop: Header=BB159_40 Depth=1
	global_load_b32 v30, v[13:14], off
	ds_load_2addr_b64 v[5:8], v23 offset1:1
	ds_load_2addr_b64 v[1:4], v23 offset0:2 offset1:3
	s_mov_b32 s0, exec_lo
                                        ; implicit-def: $vgpr39
	s_waitcnt lgkmcnt(1)
	v_and_b32_e32 v25, 0x7f800000, v5
	s_delay_alu instid0(VALU_DEP_1)
	v_cmpx_ne_u32_e32 0x7f800000, v25
	s_xor_b32 s0, exec_lo, s0
; %bb.42:                               ;   in Loop: Header=BB159_40 Depth=1
	v_bfe_u32 v25, v5, 16, 1
	s_delay_alu instid0(VALU_DEP_1)
	v_add3_u32 v39, v5, v25, 0x7fff
; %bb.43:                               ;   in Loop: Header=BB159_40 Depth=1
	s_and_not1_saveexec_b32 s0, s0
; %bb.44:                               ;   in Loop: Header=BB159_40 Depth=1
	v_and_b32_e32 v25, 0xffff, v5
	v_or_b32_e32 v26, 0x10000, v5
	s_delay_alu instid0(VALU_DEP_2) | instskip(NEXT) | instid1(VALU_DEP_2)
	v_cmp_eq_u32_e32 vcc_lo, 0, v25
	v_cndmask_b32_e32 v39, v26, v5, vcc_lo
; %bb.45:                               ;   in Loop: Header=BB159_40 Depth=1
	s_or_b32 exec_lo, exec_lo, s0
	v_and_b32_e32 v5, 0x7f800000, v6
	s_mov_b32 s0, exec_lo
                                        ; implicit-def: $vgpr40
	s_delay_alu instid0(VALU_DEP_1)
	v_cmpx_ne_u32_e32 0x7f800000, v5
	s_xor_b32 s0, exec_lo, s0
; %bb.46:                               ;   in Loop: Header=BB159_40 Depth=1
	v_bfe_u32 v5, v6, 16, 1
	s_delay_alu instid0(VALU_DEP_1)
	v_add3_u32 v40, v6, v5, 0x7fff
; %bb.47:                               ;   in Loop: Header=BB159_40 Depth=1
	s_and_not1_saveexec_b32 s0, s0
; %bb.48:                               ;   in Loop: Header=BB159_40 Depth=1
	v_and_b32_e32 v5, 0xffff, v6
	v_or_b32_e32 v25, 0x10000, v6
	s_delay_alu instid0(VALU_DEP_2) | instskip(NEXT) | instid1(VALU_DEP_2)
	v_cmp_eq_u32_e32 vcc_lo, 0, v5
	v_cndmask_b32_e32 v40, v25, v6, vcc_lo
; %bb.49:                               ;   in Loop: Header=BB159_40 Depth=1
	s_or_b32 exec_lo, exec_lo, s0
	v_and_b32_e32 v5, 0x7f800000, v7
	s_mov_b32 s0, exec_lo
                                        ; implicit-def: $vgpr25
	s_delay_alu instid0(VALU_DEP_1)
	v_cmpx_ne_u32_e32 0x7f800000, v5
	s_xor_b32 s0, exec_lo, s0
; %bb.50:                               ;   in Loop: Header=BB159_40 Depth=1
	v_bfe_u32 v5, v7, 16, 1
	s_delay_alu instid0(VALU_DEP_1)
	v_add3_u32 v25, v7, v5, 0x7fff
; %bb.51:                               ;   in Loop: Header=BB159_40 Depth=1
	s_and_not1_saveexec_b32 s0, s0
; %bb.52:                               ;   in Loop: Header=BB159_40 Depth=1
	v_and_b32_e32 v5, 0xffff, v7
	v_or_b32_e32 v6, 0x10000, v7
	s_delay_alu instid0(VALU_DEP_2) | instskip(NEXT) | instid1(VALU_DEP_2)
	v_cmp_eq_u32_e32 vcc_lo, 0, v5
	v_cndmask_b32_e32 v25, v6, v7, vcc_lo
; %bb.53:                               ;   in Loop: Header=BB159_40 Depth=1
	s_or_b32 exec_lo, exec_lo, s0
	v_and_b32_e32 v5, 0x7f800000, v8
	s_mov_b32 s0, exec_lo
                                        ; implicit-def: $vgpr26
	s_delay_alu instid0(VALU_DEP_1)
	v_cmpx_ne_u32_e32 0x7f800000, v5
	s_xor_b32 s0, exec_lo, s0
; %bb.54:                               ;   in Loop: Header=BB159_40 Depth=1
	v_bfe_u32 v5, v8, 16, 1
	s_delay_alu instid0(VALU_DEP_1)
	v_add3_u32 v26, v8, v5, 0x7fff
                                        ; implicit-def: $vgpr5_vgpr6_vgpr7_vgpr8
; %bb.55:                               ;   in Loop: Header=BB159_40 Depth=1
	s_and_not1_saveexec_b32 s0, s0
; %bb.56:                               ;   in Loop: Header=BB159_40 Depth=1
	v_and_b32_e32 v5, 0xffff, v8
	v_or_b32_e32 v6, 0x10000, v8
	s_delay_alu instid0(VALU_DEP_2) | instskip(NEXT) | instid1(VALU_DEP_2)
	v_cmp_eq_u32_e32 vcc_lo, 0, v5
	v_cndmask_b32_e32 v26, v6, v8, vcc_lo
; %bb.57:                               ;   in Loop: Header=BB159_40 Depth=1
	s_or_b32 exec_lo, exec_lo, s0
	s_waitcnt lgkmcnt(0)
	v_and_b32_e32 v5, 0x7f800000, v1
	s_mov_b32 s0, exec_lo
                                        ; implicit-def: $vgpr27
	s_delay_alu instid0(VALU_DEP_1)
	v_cmpx_ne_u32_e32 0x7f800000, v5
	s_xor_b32 s0, exec_lo, s0
; %bb.58:                               ;   in Loop: Header=BB159_40 Depth=1
	v_bfe_u32 v5, v1, 16, 1
	s_delay_alu instid0(VALU_DEP_1)
	v_add3_u32 v27, v1, v5, 0x7fff
; %bb.59:                               ;   in Loop: Header=BB159_40 Depth=1
	s_and_not1_saveexec_b32 s0, s0
; %bb.60:                               ;   in Loop: Header=BB159_40 Depth=1
	v_and_b32_e32 v5, 0xffff, v1
	v_or_b32_e32 v6, 0x10000, v1
	s_delay_alu instid0(VALU_DEP_2) | instskip(NEXT) | instid1(VALU_DEP_2)
	v_cmp_eq_u32_e32 vcc_lo, 0, v5
	v_cndmask_b32_e32 v27, v6, v1, vcc_lo
; %bb.61:                               ;   in Loop: Header=BB159_40 Depth=1
	s_or_b32 exec_lo, exec_lo, s0
	v_and_b32_e32 v1, 0x7f800000, v2
	s_mov_b32 s0, exec_lo
                                        ; implicit-def: $vgpr28
	s_delay_alu instid0(VALU_DEP_1)
	v_cmpx_ne_u32_e32 0x7f800000, v1
	s_xor_b32 s0, exec_lo, s0
; %bb.62:                               ;   in Loop: Header=BB159_40 Depth=1
	v_bfe_u32 v1, v2, 16, 1
	s_delay_alu instid0(VALU_DEP_1)
	v_add3_u32 v28, v2, v1, 0x7fff
; %bb.63:                               ;   in Loop: Header=BB159_40 Depth=1
	s_and_not1_saveexec_b32 s0, s0
; %bb.64:                               ;   in Loop: Header=BB159_40 Depth=1
	v_and_b32_e32 v1, 0xffff, v2
	v_or_b32_e32 v5, 0x10000, v2
	s_delay_alu instid0(VALU_DEP_2) | instskip(NEXT) | instid1(VALU_DEP_2)
	v_cmp_eq_u32_e32 vcc_lo, 0, v1
	v_cndmask_b32_e32 v28, v5, v2, vcc_lo
; %bb.65:                               ;   in Loop: Header=BB159_40 Depth=1
	s_or_b32 exec_lo, exec_lo, s0
	v_and_b32_e32 v1, 0x7f800000, v3
	s_mov_b32 s0, exec_lo
                                        ; implicit-def: $vgpr29
	s_delay_alu instid0(VALU_DEP_1)
	v_cmpx_ne_u32_e32 0x7f800000, v1
	s_xor_b32 s0, exec_lo, s0
; %bb.66:                               ;   in Loop: Header=BB159_40 Depth=1
	v_bfe_u32 v1, v3, 16, 1
	s_delay_alu instid0(VALU_DEP_1)
	v_add3_u32 v29, v3, v1, 0x7fff
; %bb.67:                               ;   in Loop: Header=BB159_40 Depth=1
	s_and_not1_saveexec_b32 s0, s0
; %bb.68:                               ;   in Loop: Header=BB159_40 Depth=1
	v_and_b32_e32 v1, 0xffff, v3
	v_or_b32_e32 v2, 0x10000, v3
	s_delay_alu instid0(VALU_DEP_2) | instskip(NEXT) | instid1(VALU_DEP_2)
	v_cmp_eq_u32_e32 vcc_lo, 0, v1
	v_cndmask_b32_e32 v29, v2, v3, vcc_lo
; %bb.69:                               ;   in Loop: Header=BB159_40 Depth=1
	s_or_b32 exec_lo, exec_lo, s0
	v_and_b32_e32 v1, 0x7f800000, v4
	s_mov_b32 s0, exec_lo
                                        ; implicit-def: $vgpr38
	s_delay_alu instid0(VALU_DEP_1)
	v_cmpx_ne_u32_e32 0x7f800000, v1
	s_xor_b32 s0, exec_lo, s0
; %bb.70:                               ;   in Loop: Header=BB159_40 Depth=1
	v_bfe_u32 v1, v4, 16, 1
	s_delay_alu instid0(VALU_DEP_1)
	v_add3_u32 v38, v4, v1, 0x7fff
                                        ; implicit-def: $vgpr1_vgpr2_vgpr3_vgpr4
; %bb.71:                               ;   in Loop: Header=BB159_40 Depth=1
	s_and_not1_saveexec_b32 s0, s0
; %bb.72:                               ;   in Loop: Header=BB159_40 Depth=1
	v_and_b32_e32 v1, 0xffff, v4
	v_or_b32_e32 v2, 0x10000, v4
	s_delay_alu instid0(VALU_DEP_2) | instskip(NEXT) | instid1(VALU_DEP_2)
	v_cmp_eq_u32_e32 vcc_lo, 0, v1
	v_cndmask_b32_e32 v38, v2, v4, vcc_lo
; %bb.73:                               ;   in Loop: Header=BB159_40 Depth=1
	s_or_b32 exec_lo, exec_lo, s0
	s_waitcnt vmcnt(0)
	v_mad_i64_i32 v[1:2], null, v30, s5, 0
	v_add_nc_u32_e32 v30, v21, v18
	s_delay_alu instid0(VALU_DEP_1) | instskip(NEXT) | instid1(VALU_DEP_3)
	v_add_nc_u32_e32 v37, 1, v30
	v_lshlrev_b64 v[1:2], 1, v[1:2]
	v_add_nc_u32_e32 v36, 2, v30
	v_add_nc_u32_e32 v34, 3, v30
	;; [unrolled: 1-line block ×5, first 2 shown]
	v_add_co_u32 v5, vcc_lo, v10, v1
	v_add_co_ci_u32_e32 v6, vcc_lo, v22, v2, vcc_lo
	v_cmp_eq_u32_e32 vcc_lo, s7, v9
	v_add_nc_u32_e32 v35, 7, v30
	global_load_b128 v[1:4], v[5:6], off
	s_waitcnt vmcnt(0)
	v_lshrrev_b32_e32 v8, 16, v1
	v_lshrrev_b32_e32 v43, 16, v2
	;; [unrolled: 1-line block ×4, first 2 shown]
	s_and_saveexec_b32 s10, vcc_lo
	s_cbranch_execz .LBB159_75
; %bb.74:                               ;   in Loop: Header=BB159_40 Depth=1
	v_cmp_gt_i32_e64 s0, s33, v30
	s_delay_alu instid0(VALU_DEP_1) | instskip(SKIP_1) | instid1(VALU_DEP_1)
	v_cndmask_b32_e64 v1, 0, v1, s0
	v_cmp_gt_i32_e64 s0, s33, v37
	v_cndmask_b32_e64 v8, 0, v8, s0
	v_cmp_gt_i32_e64 s0, s33, v36
	s_delay_alu instid0(VALU_DEP_1) | instskip(SKIP_1) | instid1(VALU_DEP_1)
	v_cndmask_b32_e64 v2, 0, v2, s0
	v_cmp_gt_i32_e64 s0, s33, v34
	v_cndmask_b32_e64 v43, 0, v43, s0
	;; [unrolled: 5-line block ×4, first 2 shown]
.LBB159_75:                             ;   in Loop: Header=BB159_40 Depth=1
	s_or_b32 exec_lo, exec_lo, s10
	v_and_b32_e32 v39, 0xffff0000, v39
	v_lshlrev_b32_e32 v1, 16, v1
	s_delay_alu instid0(VALU_DEP_1) | instskip(NEXT) | instid1(VALU_DEP_1)
	v_mul_f32_e32 v1, v39, v1
	v_and_b32_e32 v7, 0x7f800000, v1
	s_delay_alu instid0(VALU_DEP_1) | instskip(NEXT) | instid1(VALU_DEP_1)
	v_cmp_ne_u32_e64 s0, 0x7f800000, v7
                                        ; implicit-def: $vgpr7
	s_and_saveexec_b32 s10, s0
	s_delay_alu instid0(SALU_CYCLE_1)
	s_xor_b32 s0, exec_lo, s10
; %bb.76:                               ;   in Loop: Header=BB159_40 Depth=1
	v_bfe_u32 v7, v1, 16, 1
	s_delay_alu instid0(VALU_DEP_1)
	v_add3_u32 v7, v1, v7, 0x7fff
                                        ; implicit-def: $vgpr1
; %bb.77:                               ;   in Loop: Header=BB159_40 Depth=1
	s_and_not1_saveexec_b32 s10, s0
; %bb.78:                               ;   in Loop: Header=BB159_40 Depth=1
	v_and_b32_e32 v7, 0xffff, v1
	v_or_b32_e32 v41, 0x10000, v1
	s_delay_alu instid0(VALU_DEP_2) | instskip(NEXT) | instid1(VALU_DEP_1)
	v_cmp_eq_u32_e64 s0, 0, v7
	v_cndmask_b32_e64 v7, v41, v1, s0
; %bb.79:                               ;   in Loop: Header=BB159_40 Depth=1
	s_or_b32 exec_lo, exec_lo, s10
	v_and_b32_e32 v40, 0xffff0000, v40
	v_lshlrev_b32_e32 v1, 16, v8
	s_delay_alu instid0(VALU_DEP_1) | instskip(NEXT) | instid1(VALU_DEP_1)
	v_mul_f32_e32 v1, v40, v1
	v_and_b32_e32 v8, 0x7f800000, v1
	s_delay_alu instid0(VALU_DEP_1) | instskip(NEXT) | instid1(VALU_DEP_1)
	v_cmp_ne_u32_e64 s0, 0x7f800000, v8
                                        ; implicit-def: $vgpr8
	s_and_saveexec_b32 s10, s0
	s_delay_alu instid0(SALU_CYCLE_1)
	s_xor_b32 s0, exec_lo, s10
; %bb.80:                               ;   in Loop: Header=BB159_40 Depth=1
	v_bfe_u32 v8, v1, 16, 1
	s_delay_alu instid0(VALU_DEP_1)
	v_add3_u32 v8, v1, v8, 0x7fff
                                        ; implicit-def: $vgpr1
; %bb.81:                               ;   in Loop: Header=BB159_40 Depth=1
	s_and_not1_saveexec_b32 s10, s0
; %bb.82:                               ;   in Loop: Header=BB159_40 Depth=1
	v_and_b32_e32 v8, 0xffff, v1
	v_or_b32_e32 v41, 0x10000, v1
	s_delay_alu instid0(VALU_DEP_2) | instskip(NEXT) | instid1(VALU_DEP_1)
	v_cmp_eq_u32_e64 s0, 0, v8
	v_cndmask_b32_e64 v8, v41, v1, s0
; %bb.83:                               ;   in Loop: Header=BB159_40 Depth=1
	s_or_b32 exec_lo, exec_lo, s10
	v_and_b32_e32 v41, 0xffff0000, v25
	v_lshlrev_b32_e32 v1, 16, v2
                                        ; implicit-def: $vgpr25
	s_delay_alu instid0(VALU_DEP_1) | instskip(NEXT) | instid1(VALU_DEP_1)
	v_mul_f32_e32 v1, v41, v1
	v_and_b32_e32 v2, 0x7f800000, v1
	s_delay_alu instid0(VALU_DEP_1) | instskip(NEXT) | instid1(VALU_DEP_1)
	v_cmp_ne_u32_e64 s0, 0x7f800000, v2
	s_and_saveexec_b32 s10, s0
	s_delay_alu instid0(SALU_CYCLE_1)
	s_xor_b32 s0, exec_lo, s10
; %bb.84:                               ;   in Loop: Header=BB159_40 Depth=1
	v_bfe_u32 v2, v1, 16, 1
	s_delay_alu instid0(VALU_DEP_1)
	v_add3_u32 v25, v1, v2, 0x7fff
                                        ; implicit-def: $vgpr1
; %bb.85:                               ;   in Loop: Header=BB159_40 Depth=1
	s_and_not1_saveexec_b32 s10, s0
; %bb.86:                               ;   in Loop: Header=BB159_40 Depth=1
	v_and_b32_e32 v2, 0xffff, v1
	v_or_b32_e32 v25, 0x10000, v1
	s_delay_alu instid0(VALU_DEP_2) | instskip(NEXT) | instid1(VALU_DEP_1)
	v_cmp_eq_u32_e64 s0, 0, v2
	v_cndmask_b32_e64 v25, v25, v1, s0
; %bb.87:                               ;   in Loop: Header=BB159_40 Depth=1
	s_or_b32 exec_lo, exec_lo, s10
	v_and_b32_e32 v42, 0xffff0000, v26
	v_lshlrev_b32_e32 v1, 16, v43
                                        ; implicit-def: $vgpr26
	s_delay_alu instid0(VALU_DEP_1) | instskip(NEXT) | instid1(VALU_DEP_1)
	v_mul_f32_e32 v1, v42, v1
	v_and_b32_e32 v2, 0x7f800000, v1
	s_delay_alu instid0(VALU_DEP_1) | instskip(NEXT) | instid1(VALU_DEP_1)
	v_cmp_ne_u32_e64 s0, 0x7f800000, v2
	s_and_saveexec_b32 s10, s0
	s_delay_alu instid0(SALU_CYCLE_1)
	s_xor_b32 s0, exec_lo, s10
; %bb.88:                               ;   in Loop: Header=BB159_40 Depth=1
	v_bfe_u32 v2, v1, 16, 1
	s_delay_alu instid0(VALU_DEP_1)
	v_add3_u32 v26, v1, v2, 0x7fff
                                        ; implicit-def: $vgpr1
; %bb.89:                               ;   in Loop: Header=BB159_40 Depth=1
	s_and_not1_saveexec_b32 s10, s0
; %bb.90:                               ;   in Loop: Header=BB159_40 Depth=1
	v_and_b32_e32 v2, 0xffff, v1
	v_or_b32_e32 v26, 0x10000, v1
	s_delay_alu instid0(VALU_DEP_2) | instskip(NEXT) | instid1(VALU_DEP_1)
	v_cmp_eq_u32_e64 s0, 0, v2
	v_cndmask_b32_e64 v26, v26, v1, s0
; %bb.91:                               ;   in Loop: Header=BB159_40 Depth=1
	s_or_b32 exec_lo, exec_lo, s10
	v_and_b32_e32 v43, 0xffff0000, v27
	v_lshlrev_b32_e32 v1, 16, v3
                                        ; implicit-def: $vgpr27
	s_delay_alu instid0(VALU_DEP_1) | instskip(NEXT) | instid1(VALU_DEP_1)
	v_mul_f32_e32 v1, v43, v1
	v_and_b32_e32 v2, 0x7f800000, v1
	s_delay_alu instid0(VALU_DEP_1) | instskip(NEXT) | instid1(VALU_DEP_1)
	v_cmp_ne_u32_e64 s0, 0x7f800000, v2
	s_and_saveexec_b32 s10, s0
	s_delay_alu instid0(SALU_CYCLE_1)
	s_xor_b32 s0, exec_lo, s10
; %bb.92:                               ;   in Loop: Header=BB159_40 Depth=1
	v_bfe_u32 v2, v1, 16, 1
	s_delay_alu instid0(VALU_DEP_1)
	v_add3_u32 v27, v1, v2, 0x7fff
                                        ; implicit-def: $vgpr1
; %bb.93:                               ;   in Loop: Header=BB159_40 Depth=1
	s_and_not1_saveexec_b32 s10, s0
; %bb.94:                               ;   in Loop: Header=BB159_40 Depth=1
	v_and_b32_e32 v2, 0xffff, v1
	v_or_b32_e32 v3, 0x10000, v1
	s_delay_alu instid0(VALU_DEP_2) | instskip(NEXT) | instid1(VALU_DEP_1)
	v_cmp_eq_u32_e64 s0, 0, v2
	v_cndmask_b32_e64 v27, v3, v1, s0
; %bb.95:                               ;   in Loop: Header=BB159_40 Depth=1
	s_or_b32 exec_lo, exec_lo, s10
	v_and_b32_e32 v44, 0xffff0000, v28
	v_lshlrev_b32_e32 v1, 16, v45
                                        ; implicit-def: $vgpr28
	s_delay_alu instid0(VALU_DEP_1) | instskip(NEXT) | instid1(VALU_DEP_1)
	v_mul_f32_e32 v1, v44, v1
	v_and_b32_e32 v2, 0x7f800000, v1
	s_delay_alu instid0(VALU_DEP_1) | instskip(NEXT) | instid1(VALU_DEP_1)
	v_cmp_ne_u32_e64 s0, 0x7f800000, v2
	s_and_saveexec_b32 s10, s0
	s_delay_alu instid0(SALU_CYCLE_1)
	s_xor_b32 s0, exec_lo, s10
; %bb.96:                               ;   in Loop: Header=BB159_40 Depth=1
	v_bfe_u32 v2, v1, 16, 1
	s_delay_alu instid0(VALU_DEP_1)
	v_add3_u32 v28, v1, v2, 0x7fff
                                        ; implicit-def: $vgpr1
; %bb.97:                               ;   in Loop: Header=BB159_40 Depth=1
	s_and_not1_saveexec_b32 s10, s0
; %bb.98:                               ;   in Loop: Header=BB159_40 Depth=1
	v_and_b32_e32 v2, 0xffff, v1
	v_or_b32_e32 v3, 0x10000, v1
	s_delay_alu instid0(VALU_DEP_2) | instskip(NEXT) | instid1(VALU_DEP_1)
	v_cmp_eq_u32_e64 s0, 0, v2
	v_cndmask_b32_e64 v28, v3, v1, s0
; %bb.99:                               ;   in Loop: Header=BB159_40 Depth=1
	s_or_b32 exec_lo, exec_lo, s10
	v_and_b32_e32 v45, 0xffff0000, v29
	v_lshlrev_b32_e32 v1, 16, v4
                                        ; implicit-def: $vgpr29
	s_delay_alu instid0(VALU_DEP_1) | instskip(NEXT) | instid1(VALU_DEP_1)
	v_mul_f32_e32 v1, v45, v1
	v_and_b32_e32 v2, 0x7f800000, v1
	s_delay_alu instid0(VALU_DEP_1) | instskip(NEXT) | instid1(VALU_DEP_1)
	v_cmp_ne_u32_e64 s0, 0x7f800000, v2
	s_and_saveexec_b32 s10, s0
	s_delay_alu instid0(SALU_CYCLE_1)
	s_xor_b32 s0, exec_lo, s10
; %bb.100:                              ;   in Loop: Header=BB159_40 Depth=1
	v_bfe_u32 v2, v1, 16, 1
	s_delay_alu instid0(VALU_DEP_1)
	v_add3_u32 v29, v1, v2, 0x7fff
                                        ; implicit-def: $vgpr1
; %bb.101:                              ;   in Loop: Header=BB159_40 Depth=1
	s_and_not1_saveexec_b32 s10, s0
; %bb.102:                              ;   in Loop: Header=BB159_40 Depth=1
	v_and_b32_e32 v2, 0xffff, v1
	v_or_b32_e32 v3, 0x10000, v1
	s_delay_alu instid0(VALU_DEP_2) | instskip(NEXT) | instid1(VALU_DEP_1)
	v_cmp_eq_u32_e64 s0, 0, v2
	v_cndmask_b32_e64 v29, v3, v1, s0
; %bb.103:                              ;   in Loop: Header=BB159_40 Depth=1
	s_or_b32 exec_lo, exec_lo, s10
	v_and_b32_e32 v46, 0xffff0000, v38
	v_lshlrev_b32_e32 v1, 16, v47
                                        ; implicit-def: $vgpr38
	s_delay_alu instid0(VALU_DEP_1) | instskip(NEXT) | instid1(VALU_DEP_1)
	v_mul_f32_e32 v1, v46, v1
	v_and_b32_e32 v2, 0x7f800000, v1
	s_delay_alu instid0(VALU_DEP_1) | instskip(NEXT) | instid1(VALU_DEP_1)
	v_cmp_ne_u32_e64 s0, 0x7f800000, v2
	s_and_saveexec_b32 s10, s0
	s_delay_alu instid0(SALU_CYCLE_1)
	s_xor_b32 s0, exec_lo, s10
; %bb.104:                              ;   in Loop: Header=BB159_40 Depth=1
	v_bfe_u32 v2, v1, 16, 1
	s_delay_alu instid0(VALU_DEP_1)
	v_add3_u32 v38, v1, v2, 0x7fff
                                        ; implicit-def: $vgpr1
; %bb.105:                              ;   in Loop: Header=BB159_40 Depth=1
	s_and_not1_saveexec_b32 s10, s0
; %bb.106:                              ;   in Loop: Header=BB159_40 Depth=1
	v_and_b32_e32 v2, 0xffff, v1
	v_or_b32_e32 v3, 0x10000, v1
	s_delay_alu instid0(VALU_DEP_2) | instskip(NEXT) | instid1(VALU_DEP_1)
	v_cmp_eq_u32_e64 s0, 0, v2
	v_cndmask_b32_e64 v38, v3, v1, s0
; %bb.107:                              ;   in Loop: Header=BB159_40 Depth=1
	s_or_b32 exec_lo, exec_lo, s10
	global_load_b128 v[1:4], v[5:6], off offset:512
	s_waitcnt vmcnt(0)
	v_lshrrev_b32_e32 v6, 16, v1
	v_lshrrev_b32_e32 v48, 16, v2
	;; [unrolled: 1-line block ×4, first 2 shown]
	s_and_saveexec_b32 s0, vcc_lo
	s_cbranch_execz .LBB159_109
; %bb.108:                              ;   in Loop: Header=BB159_40 Depth=1
	v_cmp_gt_i32_e32 vcc_lo, s33, v30
	v_cndmask_b32_e32 v1, 0, v1, vcc_lo
	v_cmp_gt_i32_e32 vcc_lo, s33, v37
	v_cndmask_b32_e32 v6, 0, v6, vcc_lo
	;; [unrolled: 2-line block ×8, first 2 shown]
.LBB159_109:                            ;   in Loop: Header=BB159_40 Depth=1
	s_or_b32 exec_lo, exec_lo, s0
	v_lshlrev_b32_e32 v1, 16, v1
	s_delay_alu instid0(VALU_DEP_1) | instskip(NEXT) | instid1(VALU_DEP_1)
	v_mul_f32_e32 v30, v39, v1
	v_and_b32_e32 v1, 0x7f800000, v30
	s_delay_alu instid0(VALU_DEP_1) | instskip(SKIP_1) | instid1(SALU_CYCLE_1)
	v_cmp_ne_u32_e32 vcc_lo, 0x7f800000, v1
                                        ; implicit-def: $vgpr1
	s_and_saveexec_b32 s0, vcc_lo
	s_xor_b32 s0, exec_lo, s0
; %bb.110:                              ;   in Loop: Header=BB159_40 Depth=1
	v_bfe_u32 v1, v30, 16, 1
	s_delay_alu instid0(VALU_DEP_1)
	v_add3_u32 v1, v30, v1, 0x7fff
                                        ; implicit-def: $vgpr30
; %bb.111:                              ;   in Loop: Header=BB159_40 Depth=1
	s_and_not1_saveexec_b32 s0, s0
; %bb.112:                              ;   in Loop: Header=BB159_40 Depth=1
	v_and_b32_e32 v1, 0xffff, v30
	v_or_b32_e32 v31, 0x10000, v30
	s_delay_alu instid0(VALU_DEP_2) | instskip(NEXT) | instid1(VALU_DEP_2)
	v_cmp_eq_u32_e32 vcc_lo, 0, v1
	v_cndmask_b32_e32 v1, v31, v30, vcc_lo
; %bb.113:                              ;   in Loop: Header=BB159_40 Depth=1
	s_or_b32 exec_lo, exec_lo, s0
	v_lshlrev_b32_e32 v6, 16, v6
	s_delay_alu instid0(VALU_DEP_1) | instskip(NEXT) | instid1(VALU_DEP_1)
	v_mul_f32_e32 v30, v40, v6
	v_and_b32_e32 v6, 0x7f800000, v30
	s_delay_alu instid0(VALU_DEP_1) | instskip(SKIP_1) | instid1(SALU_CYCLE_1)
	v_cmp_ne_u32_e32 vcc_lo, 0x7f800000, v6
                                        ; implicit-def: $vgpr6
	s_and_saveexec_b32 s0, vcc_lo
	s_xor_b32 s0, exec_lo, s0
; %bb.114:                              ;   in Loop: Header=BB159_40 Depth=1
	v_bfe_u32 v6, v30, 16, 1
	s_delay_alu instid0(VALU_DEP_1)
	v_add3_u32 v6, v30, v6, 0x7fff
                                        ; implicit-def: $vgpr30
; %bb.115:                              ;   in Loop: Header=BB159_40 Depth=1
	s_and_not1_saveexec_b32 s0, s0
; %bb.116:                              ;   in Loop: Header=BB159_40 Depth=1
	v_and_b32_e32 v6, 0xffff, v30
	v_or_b32_e32 v31, 0x10000, v30
	s_delay_alu instid0(VALU_DEP_2) | instskip(NEXT) | instid1(VALU_DEP_2)
	v_cmp_eq_u32_e32 vcc_lo, 0, v6
	v_cndmask_b32_e32 v6, v31, v30, vcc_lo
; %bb.117:                              ;   in Loop: Header=BB159_40 Depth=1
	s_or_b32 exec_lo, exec_lo, s0
	v_lshlrev_b32_e32 v2, 16, v2
	s_delay_alu instid0(VALU_DEP_1) | instskip(NEXT) | instid1(VALU_DEP_1)
	v_mul_f32_e32 v30, v41, v2
	v_and_b32_e32 v2, 0x7f800000, v30
	s_delay_alu instid0(VALU_DEP_1) | instskip(SKIP_1) | instid1(SALU_CYCLE_1)
	v_cmp_ne_u32_e32 vcc_lo, 0x7f800000, v2
                                        ; implicit-def: $vgpr2
	s_and_saveexec_b32 s0, vcc_lo
	s_xor_b32 s0, exec_lo, s0
; %bb.118:                              ;   in Loop: Header=BB159_40 Depth=1
	v_bfe_u32 v2, v30, 16, 1
	s_delay_alu instid0(VALU_DEP_1)
	v_add3_u32 v2, v30, v2, 0x7fff
                                        ; implicit-def: $vgpr30
; %bb.119:                              ;   in Loop: Header=BB159_40 Depth=1
	s_and_not1_saveexec_b32 s0, s0
; %bb.120:                              ;   in Loop: Header=BB159_40 Depth=1
	v_and_b32_e32 v2, 0xffff, v30
	v_or_b32_e32 v31, 0x10000, v30
	s_delay_alu instid0(VALU_DEP_2) | instskip(NEXT) | instid1(VALU_DEP_2)
	v_cmp_eq_u32_e32 vcc_lo, 0, v2
	v_cndmask_b32_e32 v2, v31, v30, vcc_lo
; %bb.121:                              ;   in Loop: Header=BB159_40 Depth=1
	s_or_b32 exec_lo, exec_lo, s0
	v_lshlrev_b32_e32 v30, 16, v48
	s_delay_alu instid0(VALU_DEP_1) | instskip(NEXT) | instid1(VALU_DEP_1)
	v_mul_f32_e32 v31, v42, v30
	v_and_b32_e32 v30, 0x7f800000, v31
	s_delay_alu instid0(VALU_DEP_1) | instskip(SKIP_1) | instid1(SALU_CYCLE_1)
	v_cmp_ne_u32_e32 vcc_lo, 0x7f800000, v30
                                        ; implicit-def: $vgpr30
	s_and_saveexec_b32 s0, vcc_lo
	s_xor_b32 s0, exec_lo, s0
; %bb.122:                              ;   in Loop: Header=BB159_40 Depth=1
	v_bfe_u32 v30, v31, 16, 1
	s_delay_alu instid0(VALU_DEP_1)
	v_add3_u32 v30, v31, v30, 0x7fff
                                        ; implicit-def: $vgpr31
; %bb.123:                              ;   in Loop: Header=BB159_40 Depth=1
	s_and_not1_saveexec_b32 s0, s0
; %bb.124:                              ;   in Loop: Header=BB159_40 Depth=1
	v_and_b32_e32 v30, 0xffff, v31
	v_or_b32_e32 v32, 0x10000, v31
	s_delay_alu instid0(VALU_DEP_2) | instskip(NEXT) | instid1(VALU_DEP_2)
	v_cmp_eq_u32_e32 vcc_lo, 0, v30
	v_cndmask_b32_e32 v30, v32, v31, vcc_lo
; %bb.125:                              ;   in Loop: Header=BB159_40 Depth=1
	s_or_b32 exec_lo, exec_lo, s0
	v_lshlrev_b32_e32 v3, 16, v3
	s_delay_alu instid0(VALU_DEP_1) | instskip(NEXT) | instid1(VALU_DEP_1)
	v_mul_f32_e32 v31, v43, v3
	v_and_b32_e32 v3, 0x7f800000, v31
	s_delay_alu instid0(VALU_DEP_1) | instskip(SKIP_1) | instid1(SALU_CYCLE_1)
	v_cmp_ne_u32_e32 vcc_lo, 0x7f800000, v3
                                        ; implicit-def: $vgpr3
	s_and_saveexec_b32 s0, vcc_lo
	s_xor_b32 s0, exec_lo, s0
; %bb.126:                              ;   in Loop: Header=BB159_40 Depth=1
	v_bfe_u32 v3, v31, 16, 1
	s_delay_alu instid0(VALU_DEP_1)
	v_add3_u32 v3, v31, v3, 0x7fff
                                        ; implicit-def: $vgpr31
; %bb.127:                              ;   in Loop: Header=BB159_40 Depth=1
	s_and_not1_saveexec_b32 s0, s0
; %bb.128:                              ;   in Loop: Header=BB159_40 Depth=1
	v_and_b32_e32 v3, 0xffff, v31
	v_or_b32_e32 v32, 0x10000, v31
	s_delay_alu instid0(VALU_DEP_2) | instskip(NEXT) | instid1(VALU_DEP_2)
	v_cmp_eq_u32_e32 vcc_lo, 0, v3
	v_cndmask_b32_e32 v3, v32, v31, vcc_lo
; %bb.129:                              ;   in Loop: Header=BB159_40 Depth=1
	s_or_b32 exec_lo, exec_lo, s0
	v_lshlrev_b32_e32 v31, 16, v47
	s_delay_alu instid0(VALU_DEP_1) | instskip(NEXT) | instid1(VALU_DEP_1)
	v_mul_f32_e32 v32, v44, v31
	v_and_b32_e32 v31, 0x7f800000, v32
	s_delay_alu instid0(VALU_DEP_1) | instskip(SKIP_1) | instid1(SALU_CYCLE_1)
	v_cmp_ne_u32_e32 vcc_lo, 0x7f800000, v31
                                        ; implicit-def: $vgpr31
	s_and_saveexec_b32 s0, vcc_lo
	s_xor_b32 s0, exec_lo, s0
; %bb.130:                              ;   in Loop: Header=BB159_40 Depth=1
	v_bfe_u32 v31, v32, 16, 1
	s_delay_alu instid0(VALU_DEP_1)
	v_add3_u32 v31, v32, v31, 0x7fff
                                        ; implicit-def: $vgpr32
; %bb.131:                              ;   in Loop: Header=BB159_40 Depth=1
	s_and_not1_saveexec_b32 s0, s0
; %bb.132:                              ;   in Loop: Header=BB159_40 Depth=1
	v_and_b32_e32 v31, 0xffff, v32
	v_or_b32_e32 v33, 0x10000, v32
	s_delay_alu instid0(VALU_DEP_2) | instskip(NEXT) | instid1(VALU_DEP_2)
	v_cmp_eq_u32_e32 vcc_lo, 0, v31
	v_cndmask_b32_e32 v31, v33, v32, vcc_lo
; %bb.133:                              ;   in Loop: Header=BB159_40 Depth=1
	s_or_b32 exec_lo, exec_lo, s0
	v_lshlrev_b32_e32 v4, 16, v4
	s_delay_alu instid0(VALU_DEP_1) | instskip(NEXT) | instid1(VALU_DEP_1)
	v_mul_f32_e32 v32, v45, v4
	v_and_b32_e32 v4, 0x7f800000, v32
	s_delay_alu instid0(VALU_DEP_1) | instskip(SKIP_1) | instid1(SALU_CYCLE_1)
	v_cmp_ne_u32_e32 vcc_lo, 0x7f800000, v4
                                        ; implicit-def: $vgpr4
	s_and_saveexec_b32 s0, vcc_lo
	s_xor_b32 s0, exec_lo, s0
; %bb.134:                              ;   in Loop: Header=BB159_40 Depth=1
	v_bfe_u32 v4, v32, 16, 1
	s_delay_alu instid0(VALU_DEP_1)
	v_add3_u32 v4, v32, v4, 0x7fff
                                        ; implicit-def: $vgpr32
; %bb.135:                              ;   in Loop: Header=BB159_40 Depth=1
	s_and_not1_saveexec_b32 s0, s0
; %bb.136:                              ;   in Loop: Header=BB159_40 Depth=1
	v_and_b32_e32 v4, 0xffff, v32
	v_or_b32_e32 v33, 0x10000, v32
	s_delay_alu instid0(VALU_DEP_2) | instskip(NEXT) | instid1(VALU_DEP_2)
	v_cmp_eq_u32_e32 vcc_lo, 0, v4
	v_cndmask_b32_e32 v4, v33, v32, vcc_lo
; %bb.137:                              ;   in Loop: Header=BB159_40 Depth=1
	s_or_b32 exec_lo, exec_lo, s0
	v_lshlrev_b32_e32 v5, 16, v5
	s_delay_alu instid0(VALU_DEP_1) | instskip(NEXT) | instid1(VALU_DEP_1)
	v_mul_f32_e32 v32, v46, v5
	v_and_b32_e32 v5, 0x7f800000, v32
	s_delay_alu instid0(VALU_DEP_1) | instskip(SKIP_1) | instid1(SALU_CYCLE_1)
	v_cmp_ne_u32_e32 vcc_lo, 0x7f800000, v5
                                        ; implicit-def: $vgpr5
	s_and_saveexec_b32 s0, vcc_lo
	s_xor_b32 s0, exec_lo, s0
; %bb.138:                              ;   in Loop: Header=BB159_40 Depth=1
	v_bfe_u32 v5, v32, 16, 1
	s_delay_alu instid0(VALU_DEP_1)
	v_add3_u32 v5, v32, v5, 0x7fff
                                        ; implicit-def: $vgpr32
; %bb.139:                              ;   in Loop: Header=BB159_40 Depth=1
	s_and_not1_saveexec_b32 s0, s0
	s_cbranch_execz .LBB159_38
; %bb.140:                              ;   in Loop: Header=BB159_40 Depth=1
	v_and_b32_e32 v5, 0xffff, v32
	v_or_b32_e32 v33, 0x10000, v32
	s_delay_alu instid0(VALU_DEP_2) | instskip(NEXT) | instid1(VALU_DEP_2)
	v_cmp_eq_u32_e32 vcc_lo, 0, v5
	v_cndmask_b32_e32 v5, v33, v32, vcc_lo
	s_branch .LBB159_38
.LBB159_141:
	s_or_b32 exec_lo, exec_lo, s3
.LBB159_142:
	s_delay_alu instid0(SALU_CYCLE_1)
	s_or_b32 exec_lo, exec_lo, s1
	ds_bpermute_b32 v1, v20, v11
	ds_bpermute_b32 v4, v20, v12
	v_and_b32_e32 v5, 0x3c1, v0
	v_lshrrev_b32_e32 v3, 1, v19
	s_mov_b32 s0, exec_lo
	s_waitcnt lgkmcnt(0)
	s_waitcnt_vscnt null, 0x0
	s_barrier
	buffer_gl0_inv
	v_dual_add_f32 v2, v11, v1 :: v_dual_add_f32 v1, v12, v4
	v_cmpx_eq_u32_e32 64, v5
	s_cbranch_execz .LBB159_144
; %bb.143:
	v_lshl_add_u32 v4, v17, 7, 0x60
	v_lshlrev_b32_e32 v5, 2, v3
	s_delay_alu instid0(VALU_DEP_1)
	v_add3_u32 v4, v4, v5, 0xffffff00
	ds_store_2addr_b32 v4, v2, v1 offset1:16
.LBB159_144:
	s_or_b32 exec_lo, exec_lo, s0
	v_and_b32_e32 v4, 0x3e0, v0
	v_cmp_eq_u32_e32 vcc_lo, 0, v16
	s_mov_b32 s1, exec_lo
	s_waitcnt lgkmcnt(0)
	s_barrier
	v_lshl_add_u32 v4, v4, 2, 0x60
	buffer_gl0_inv
	v_cmpx_gt_u32_e32 64, v0
	s_cbranch_execz .LBB159_150
; %bb.145:
	s_and_saveexec_b32 s0, vcc_lo
	s_cbranch_execz .LBB159_147
; %bb.146:
	v_lshl_add_u32 v5, v3, 2, v4
	ds_load_b32 v5, v5
	s_waitcnt lgkmcnt(0)
	v_add_f32_e32 v2, v2, v5
.LBB159_147:
	s_or_b32 exec_lo, exec_lo, s0
	s_and_saveexec_b32 s0, vcc_lo
	s_cbranch_execz .LBB159_149
; %bb.148:
	v_lshl_add_u32 v5, v3, 2, v4
	ds_load_b32 v5, v5 offset:64
	s_waitcnt lgkmcnt(0)
	v_add_f32_e32 v1, v1, v5
.LBB159_149:
	s_or_b32 exec_lo, exec_lo, s0
.LBB159_150:
	s_delay_alu instid0(SALU_CYCLE_1)
	s_or_b32 exec_lo, exec_lo, s1
	v_and_b32_e32 v5, 0x3e1, v0
	s_mov_b32 s1, exec_lo
	s_barrier
	buffer_gl0_inv
	v_cmpx_eq_u32_e32 32, v5
	s_cbranch_execz .LBB159_152
; %bb.151:
	v_lshl_add_u32 v5, v3, 2, 0x60
	ds_store_2addr_b32 v5, v2, v1 offset1:16
.LBB159_152:
	s_or_b32 exec_lo, exec_lo, s1
	v_cmp_gt_u32_e64 s0, 32, v0
	s_waitcnt lgkmcnt(0)
	s_barrier
	buffer_gl0_inv
	s_and_saveexec_b32 s1, s0
	s_cbranch_execz .LBB159_158
; %bb.153:
	v_lshl_add_u32 v0, v3, 2, v4
	s_and_saveexec_b32 s2, vcc_lo
	s_cbranch_execz .LBB159_155
; %bb.154:
	ds_load_b32 v3, v0
	s_waitcnt lgkmcnt(0)
	v_add_f32_e32 v2, v2, v3
.LBB159_155:
	s_or_b32 exec_lo, exec_lo, s2
	s_and_saveexec_b32 s2, vcc_lo
	s_cbranch_execz .LBB159_157
; %bb.156:
	ds_load_b32 v0, v0 offset:64
	s_waitcnt lgkmcnt(0)
	v_add_f32_e32 v1, v1, v0
.LBB159_157:
	s_or_b32 exec_lo, exec_lo, s2
.LBB159_158:
	s_delay_alu instid0(SALU_CYCLE_1)
	s_or_b32 exec_lo, exec_lo, s1
	s_barrier
	buffer_gl0_inv
	s_and_saveexec_b32 s1, s0
	s_cbranch_execz .LBB159_169
; %bb.159:
	s_and_b32 exec_lo, exec_lo, vcc_lo
	s_cbranch_execz .LBB159_169
; %bb.160:
	v_and_b32_e32 v0, 0x7f800000, v2
	s_delay_alu instid0(VALU_DEP_1) | instskip(SKIP_1) | instid1(SALU_CYCLE_1)
	v_cmp_ne_u32_e32 vcc_lo, 0x7f800000, v0
                                        ; implicit-def: $vgpr0
	s_and_saveexec_b32 s0, vcc_lo
	s_xor_b32 s0, exec_lo, s0
; %bb.161:
	v_bfe_u32 v0, v2, 16, 1
	s_delay_alu instid0(VALU_DEP_1)
	v_add3_u32 v0, v2, v0, 0x7fff
; %bb.162:
	s_and_not1_saveexec_b32 s0, s0
; %bb.163:
	v_and_b32_e32 v0, 0xffff, v2
	v_or_b32_e32 v3, 0x10000, v2
	s_delay_alu instid0(VALU_DEP_2) | instskip(NEXT) | instid1(VALU_DEP_2)
	v_cmp_eq_u32_e32 vcc_lo, 0, v0
	v_cndmask_b32_e32 v0, v3, v2, vcc_lo
; %bb.164:
	s_or_b32 exec_lo, exec_lo, s0
	s_mul_i32 s0, s8, s14
	s_mul_i32 s2, s8, s12
	;; [unrolled: 1-line block ×3, first 2 shown]
	v_lshlrev_b32_e32 v4, 1, v15
	s_lshl_b32 s0, s0, 5
	v_and_b32_e32 v5, 0x7f800000, v1
	s_ashr_i32 s1, s0, 31
	s_delay_alu instid0(SALU_CYCLE_1) | instskip(NEXT) | instid1(SALU_CYCLE_1)
	s_lshl_b64 s[0:1], s[0:1], 1
	s_add_u32 s5, s20, s0
	s_addc_u32 s6, s21, s1
	s_ashr_i32 s3, s2, 31
	s_delay_alu instid0(SALU_CYCLE_1) | instskip(NEXT) | instid1(SALU_CYCLE_1)
	s_lshl_b64 s[0:1], s[2:3], 1
	s_add_u32 s2, s5, s0
	s_addc_u32 s3, s6, s1
	;; [unrolled: 5-line block ×3, first 2 shown]
	v_add_co_u32 v2, s2, s0, v4
	s_delay_alu instid0(VALU_DEP_1)
	v_add_co_ci_u32_e64 v3, null, s1, 0, s2
	global_store_d16_hi_b16 v4, v0, s[0:1]
	s_mov_b32 s0, exec_lo
                                        ; implicit-def: $vgpr4
	v_cmpx_ne_u32_e32 0x7f800000, v5
	s_xor_b32 s0, exec_lo, s0
; %bb.165:
	v_bfe_u32 v0, v1, 16, 1
	s_delay_alu instid0(VALU_DEP_1)
	v_add3_u32 v4, v1, v0, 0x7fff
                                        ; implicit-def: $vgpr0_vgpr1
; %bb.166:
	s_and_not1_saveexec_b32 s0, s0
; %bb.167:
	v_and_b32_e32 v0, 0xffff, v1
	v_or_b32_e32 v4, 0x10000, v1
	s_delay_alu instid0(VALU_DEP_2) | instskip(NEXT) | instid1(VALU_DEP_2)
	v_cmp_eq_u32_e32 vcc_lo, 0, v0
	v_cndmask_b32_e32 v4, v4, v1, vcc_lo
; %bb.168:
	s_or_b32 exec_lo, exec_lo, s0
	global_store_d16_hi_b16 v[2:3], v4, off offset:32
.LBB159_169:
	s_nop 0
	s_sendmsg sendmsg(MSG_DEALLOC_VGPRS)
	s_endpgm
	.section	.rodata,"a",@progbits
	.p2align	6, 0x0
	.amdhsa_kernel _ZN4vllm25paged_attention_v2_kernelI14__hip_bfloat16S1_Li32ELi16ELi128ELNS_18Fp8KVCacheDataTypeE0ELb1ELi512EEEvPfS3_PT_PKS4_PKT0_SA_ifPKiSC_iPKfiiiSE_SE_iiiii
		.amdhsa_group_segment_fixed_size 96
		.amdhsa_private_segment_fixed_size 0
		.amdhsa_kernarg_size 400
		.amdhsa_user_sgpr_count 13
		.amdhsa_user_sgpr_dispatch_ptr 0
		.amdhsa_user_sgpr_queue_ptr 0
		.amdhsa_user_sgpr_kernarg_segment_ptr 1
		.amdhsa_user_sgpr_dispatch_id 0
		.amdhsa_user_sgpr_private_segment_size 0
		.amdhsa_wavefront_size32 1
		.amdhsa_uses_dynamic_stack 0
		.amdhsa_enable_private_segment 0
		.amdhsa_system_sgpr_workgroup_id_x 1
		.amdhsa_system_sgpr_workgroup_id_y 1
		.amdhsa_system_sgpr_workgroup_id_z 1
		.amdhsa_system_sgpr_workgroup_info 0
		.amdhsa_system_vgpr_workitem_id 0
		.amdhsa_next_free_vgpr 53
		.amdhsa_next_free_sgpr 45
		.amdhsa_reserve_vcc 1
		.amdhsa_float_round_mode_32 0
		.amdhsa_float_round_mode_16_64 0
		.amdhsa_float_denorm_mode_32 3
		.amdhsa_float_denorm_mode_16_64 3
		.amdhsa_dx10_clamp 1
		.amdhsa_ieee_mode 1
		.amdhsa_fp16_overflow 0
		.amdhsa_workgroup_processor_mode 1
		.amdhsa_memory_ordered 1
		.amdhsa_forward_progress 0
		.amdhsa_shared_vgpr_count 0
		.amdhsa_exception_fp_ieee_invalid_op 0
		.amdhsa_exception_fp_denorm_src 0
		.amdhsa_exception_fp_ieee_div_zero 0
		.amdhsa_exception_fp_ieee_overflow 0
		.amdhsa_exception_fp_ieee_underflow 0
		.amdhsa_exception_fp_ieee_inexact 0
		.amdhsa_exception_int_div_zero 0
	.end_amdhsa_kernel
	.section	.text._ZN4vllm25paged_attention_v2_kernelI14__hip_bfloat16S1_Li32ELi16ELi128ELNS_18Fp8KVCacheDataTypeE0ELb1ELi512EEEvPfS3_PT_PKS4_PKT0_SA_ifPKiSC_iPKfiiiSE_SE_iiiii,"axG",@progbits,_ZN4vllm25paged_attention_v2_kernelI14__hip_bfloat16S1_Li32ELi16ELi128ELNS_18Fp8KVCacheDataTypeE0ELb1ELi512EEEvPfS3_PT_PKS4_PKT0_SA_ifPKiSC_iPKfiiiSE_SE_iiiii,comdat
.Lfunc_end159:
	.size	_ZN4vllm25paged_attention_v2_kernelI14__hip_bfloat16S1_Li32ELi16ELi128ELNS_18Fp8KVCacheDataTypeE0ELb1ELi512EEEvPfS3_PT_PKS4_PKT0_SA_ifPKiSC_iPKfiiiSE_SE_iiiii, .Lfunc_end159-_ZN4vllm25paged_attention_v2_kernelI14__hip_bfloat16S1_Li32ELi16ELi128ELNS_18Fp8KVCacheDataTypeE0ELb1ELi512EEEvPfS3_PT_PKS4_PKT0_SA_ifPKiSC_iPKfiiiSE_SE_iiiii
                                        ; -- End function
	.section	.AMDGPU.csdata,"",@progbits
; Kernel info:
; codeLenInByte = 7560
; NumSgprs: 47
; NumVgprs: 53
; ScratchSize: 0
; MemoryBound: 0
; FloatMode: 240
; IeeeMode: 1
; LDSByteSize: 96 bytes/workgroup (compile time only)
; SGPRBlocks: 5
; VGPRBlocks: 6
; NumSGPRsForWavesPerEU: 47
; NumVGPRsForWavesPerEU: 53
; Occupancy: 16
; WaveLimiterHint : 1
; COMPUTE_PGM_RSRC2:SCRATCH_EN: 0
; COMPUTE_PGM_RSRC2:USER_SGPR: 13
; COMPUTE_PGM_RSRC2:TRAP_HANDLER: 0
; COMPUTE_PGM_RSRC2:TGID_X_EN: 1
; COMPUTE_PGM_RSRC2:TGID_Y_EN: 1
; COMPUTE_PGM_RSRC2:TGID_Z_EN: 1
; COMPUTE_PGM_RSRC2:TIDIG_COMP_CNT: 0
	.section	.text._ZN4vllm25paged_attention_v2_kernelI14__hip_bfloat16S1_Li64ELi16ELi128ELNS_18Fp8KVCacheDataTypeE0ELb1ELi512EEEvPfS3_PT_PKS4_PKT0_SA_ifPKiSC_iPKfiiiSE_SE_iiiii,"axG",@progbits,_ZN4vllm25paged_attention_v2_kernelI14__hip_bfloat16S1_Li64ELi16ELi128ELNS_18Fp8KVCacheDataTypeE0ELb1ELi512EEEvPfS3_PT_PKS4_PKT0_SA_ifPKiSC_iPKfiiiSE_SE_iiiii,comdat
	.protected	_ZN4vllm25paged_attention_v2_kernelI14__hip_bfloat16S1_Li64ELi16ELi128ELNS_18Fp8KVCacheDataTypeE0ELb1ELi512EEEvPfS3_PT_PKS4_PKT0_SA_ifPKiSC_iPKfiiiSE_SE_iiiii ; -- Begin function _ZN4vllm25paged_attention_v2_kernelI14__hip_bfloat16S1_Li64ELi16ELi128ELNS_18Fp8KVCacheDataTypeE0ELb1ELi512EEEvPfS3_PT_PKS4_PKT0_SA_ifPKiSC_iPKfiiiSE_SE_iiiii
	.globl	_ZN4vllm25paged_attention_v2_kernelI14__hip_bfloat16S1_Li64ELi16ELi128ELNS_18Fp8KVCacheDataTypeE0ELb1ELi512EEEvPfS3_PT_PKS4_PKT0_SA_ifPKiSC_iPKfiiiSE_SE_iiiii
	.p2align	8
	.type	_ZN4vllm25paged_attention_v2_kernelI14__hip_bfloat16S1_Li64ELi16ELi128ELNS_18Fp8KVCacheDataTypeE0ELb1ELi512EEEvPfS3_PT_PKS4_PKT0_SA_ifPKiSC_iPKfiiiSE_SE_iiiii,@function
_ZN4vllm25paged_attention_v2_kernelI14__hip_bfloat16S1_Li64ELi16ELi128ELNS_18Fp8KVCacheDataTypeE0ELb1ELi512EEEvPfS3_PT_PKS4_PKT0_SA_ifPKiSC_iPKfiiiSE_SE_iiiii: ; @_ZN4vllm25paged_attention_v2_kernelI14__hip_bfloat16S1_Li64ELi16ELi128ELNS_18Fp8KVCacheDataTypeE0ELb1ELi512EEEvPfS3_PT_PKS4_PKT0_SA_ifPKiSC_iPKfiiiSE_SE_iiiii
; %bb.0:
	s_load_b64 s[2:3], s[0:1], 0x40
	s_mov_b32 s12, s15
	s_ashr_i32 s15, s14, 31
	s_mov_b32 s24, s13
	s_lshl_b64 s[4:5], s[14:15], 2
	s_waitcnt lgkmcnt(0)
	s_add_u32 s2, s2, s4
	s_addc_u32 s3, s3, s5
	s_lshl_b32 s13, s12, 9
	s_load_b32 s33, s[2:3], 0x0
	s_waitcnt lgkmcnt(0)
	s_cmp_ge_i32 s13, s33
	s_cbranch_scc1 .LBB160_247
; %bb.1:
	s_clause 0x1
	s_load_b32 s15, s[0:1], 0x90
	s_load_b64 s[34:35], s[0:1], 0x30
	s_mov_b32 s38, 0
	s_waitcnt lgkmcnt(0)
	s_abs_i32 s5, s15
	s_abs_i32 s2, s34
	s_delay_alu instid0(SALU_CYCLE_1) | instskip(SKIP_1) | instid1(VALU_DEP_1)
	v_cvt_f32_u32_e32 v1, s2
	s_sub_i32 s4, 0, s2
	v_rcp_iflag_f32_e32 v1, v1
	s_waitcnt_depctr 0xfff
	v_mul_f32_e32 v1, 0x4f7ffffe, v1
	s_delay_alu instid0(VALU_DEP_1) | instskip(NEXT) | instid1(VALU_DEP_1)
	v_cvt_u32_f32_e32 v1, v1
	v_readfirstlane_b32 s3, v1
	s_delay_alu instid0(VALU_DEP_1) | instskip(NEXT) | instid1(SALU_CYCLE_1)
	s_mul_i32 s4, s4, s3
	s_mul_hi_u32 s4, s3, s4
	s_delay_alu instid0(SALU_CYCLE_1) | instskip(SKIP_4) | instid1(SALU_CYCLE_1)
	s_add_i32 s3, s3, s4
	s_xor_b32 s4, s15, s34
	s_mul_hi_u32 s3, s5, s3
	s_ashr_i32 s4, s4, 31
	s_mul_i32 s6, s3, s2
	s_sub_i32 s5, s5, s6
	s_add_i32 s6, s3, 1
	s_sub_i32 s7, s5, s2
	s_cmp_ge_u32 s5, s2
	s_cselect_b32 s3, s6, s3
	s_cselect_b32 s5, s7, s5
	s_add_i32 s6, s3, 1
	s_cmp_ge_u32 s5, s2
	s_cselect_b32 s2, s6, s3
	s_abs_i32 s17, s24
	s_xor_b32 s2, s2, s4
	s_delay_alu instid0(SALU_CYCLE_1) | instskip(SKIP_2) | instid1(SALU_CYCLE_1)
	s_sub_i32 s8, s2, s4
	s_load_b64 s[2:3], s[0:1], 0x50
	s_abs_i32 s16, s8
	v_cvt_f32_u32_e32 v1, s16
	s_sub_i32 s5, 0, s16
	s_delay_alu instid0(VALU_DEP_1) | instskip(SKIP_2) | instid1(VALU_DEP_1)
	v_rcp_iflag_f32_e32 v1, v1
	s_waitcnt_depctr 0xfff
	v_mul_f32_e32 v1, 0x4f7ffffe, v1
	v_cvt_u32_f32_e32 v1, v1
	s_delay_alu instid0(VALU_DEP_1) | instskip(NEXT) | instid1(VALU_DEP_1)
	v_readfirstlane_b32 s4, v1
	s_mul_i32 s5, s5, s4
	s_delay_alu instid0(SALU_CYCLE_1) | instskip(NEXT) | instid1(SALU_CYCLE_1)
	s_mul_hi_u32 s5, s4, s5
	s_add_i32 s4, s4, s5
	s_waitcnt lgkmcnt(0)
	s_cmp_eq_u64 s[2:3], 0
	s_mul_hi_u32 s18, s17, s4
	s_cbranch_scc1 .LBB160_3
; %bb.2:
	s_ashr_i32 s25, s24, 31
	s_delay_alu instid0(SALU_CYCLE_1) | instskip(NEXT) | instid1(SALU_CYCLE_1)
	s_lshl_b64 s[4:5], s[24:25], 2
	s_add_u32 s2, s2, s4
	s_addc_u32 s3, s3, s5
	s_load_b32 s38, s[2:3], 0x0
.LBB160_3:
	s_load_b128 s[4:7], s[0:1], 0x58
	v_lshrrev_b32_e32 v12, 1, v0
	v_and_b32_e32 v13, 1, v0
	v_lshlrev_b32_e32 v3, 3, v0
	s_ashr_i32 s2, s24, 31
	s_ashr_i32 s3, s8, 31
	s_lshl_b32 s20, s24, 6
	s_waitcnt lgkmcnt(0)
	s_mov_b32 s7, exec_lo
	v_cmpx_gt_u32_e32 16, v0
	s_cbranch_execz .LBB160_5
; %bb.4:
	s_load_b64 s[8:9], s[0:1], 0x18
	s_mul_i32 s10, s14, s4
	v_lshlrev_b32_e32 v4, 3, v12
	s_ashr_i32 s11, s10, 31
	s_delay_alu instid0(SALU_CYCLE_1) | instskip(NEXT) | instid1(VALU_DEP_1)
	s_lshl_b64 s[10:11], s[10:11], 1
	v_lshl_add_u32 v4, v13, 6, v4
	s_waitcnt lgkmcnt(0)
	s_add_u32 s4, s8, s10
	s_addc_u32 s10, s9, s11
	s_ashr_i32 s21, s20, 31
	s_delay_alu instid0(SALU_CYCLE_1) | instskip(NEXT) | instid1(SALU_CYCLE_1)
	s_lshl_b64 s[8:9], s[20:21], 1
	s_add_u32 s8, s4, s8
	s_addc_u32 s9, s10, s9
	global_load_b64 v[1:2], v3, s[8:9]
	s_waitcnt vmcnt(0)
	ds_store_b64 v4, v[1:2]
.LBB160_5:
	s_or_b32 exec_lo, exec_lo, s7
	s_load_b128 s[8:11], s[0:1], 0x78
	s_mul_i32 s4, s18, s16
	s_xor_b32 s2, s2, s3
	s_sub_i32 s3, s17, s4
	s_add_i32 s4, s18, 1
	s_sub_i32 s7, s3, s16
	s_cmp_ge_u32 s3, s16
	s_mov_b32 s17, -1
	s_cselect_b32 s4, s4, s18
	s_cselect_b32 s3, s7, s3
	s_add_i32 s7, s4, 1
	s_cmp_ge_u32 s3, s16
	s_waitcnt lgkmcnt(0)
	s_cselect_b32 s3, s7, s4
	s_load_b32 s4, s[0:1], 0x88
	s_xor_b32 s3, s3, s2
	s_add_i32 s16, s33, -1
	s_sub_i32 s3, s3, s2
	s_abs_i32 s7, s16
	s_waitcnt lgkmcnt(0)
	s_barrier
	s_abs_i32 s21, s11
	buffer_gl0_inv
	v_cvt_f32_u32_e32 v1, s21
	s_sub_i32 s2, 0, s21
                                        ; implicit-def: $sgpr36
	s_delay_alu instid0(VALU_DEP_1) | instskip(SKIP_2) | instid1(VALU_DEP_1)
	v_rcp_iflag_f32_e32 v1, v1
	s_waitcnt_depctr 0xfff
	v_mul_f32_e32 v1, 0x4f7ffffe, v1
	v_cvt_u32_f32_e32 v1, v1
	s_delay_alu instid0(VALU_DEP_1) | instskip(NEXT) | instid1(VALU_DEP_1)
	v_readfirstlane_b32 s25, v1
	s_mul_i32 s2, s2, s25
	s_delay_alu instid0(SALU_CYCLE_1) | instskip(NEXT) | instid1(SALU_CYCLE_1)
	s_mul_hi_u32 s2, s25, s2
	s_add_i32 s25, s25, s2
	s_cmp_lt_i32 s4, 0
	s_mul_hi_u32 s2, s7, s25
	s_cbranch_scc0 .LBB160_7
; %bb.6:
	s_mul_i32 s17, s8, s34
	s_delay_alu instid0(SALU_CYCLE_1) | instskip(NEXT) | instid1(SALU_CYCLE_1)
	s_add_i32 s17, s3, s17
	s_mul_i32 s17, s17, s4
	s_delay_alu instid0(SALU_CYCLE_1)
	s_sub_i32 s36, 1, s17
	s_mov_b32 s17, 0
.LBB160_7:
	s_load_b64 s[26:27], s[0:1], 0x38
	s_ashr_i32 s28, s16, 31
	s_and_not1_b32 vcc_lo, exec_lo, s17
	s_ashr_i32 s11, s11, 31
	s_cbranch_vccnz .LBB160_9
; %bb.8:
	s_mul_i32 s8, s15, s8
	s_delay_alu instid0(SALU_CYCLE_1) | instskip(NEXT) | instid1(SALU_CYCLE_1)
	s_add_i32 s8, s8, s24
	s_mul_i32 s4, s8, s4
	s_delay_alu instid0(SALU_CYCLE_1)
	s_add_i32 s36, s4, 1
.LBB160_9:
	s_clause 0x4
	s_load_b32 s8, s[0:1], 0x48
	s_load_b64 s[30:31], s[0:1], 0x28
	s_load_b32 s4, s[0:1], 0x98
	s_load_b128 s[16:19], s[0:1], 0x0
	s_load_b64 s[22:23], s[0:1], 0x10
	s_xor_b32 s37, s28, s11
	s_mul_i32 s28, s2, s21
	s_add_i32 s34, s2, 1
	s_sub_i32 s7, s7, s28
	v_lshrrev_b32_e32 v14, 5, v0
	v_mov_b32_e32 v5, 0xff7fffff
	v_mbcnt_lo_u32_b32 v4, -1, 0
	s_mul_i32 s6, s3, s6
	s_delay_alu instid0(VALU_DEP_3)
	v_lshl_add_u32 v15, v14, 4, s13
	s_waitcnt lgkmcnt(0)
	s_mul_i32 s28, s14, s8
	s_sub_i32 s8, s7, s21
	s_ashr_i32 s29, s28, 31
	s_cmp_ge_u32 s7, s21
	s_cselect_b32 s2, s34, s2
	s_cselect_b32 s7, s8, s7
	s_add_i32 s8, s2, 1
	s_cmp_ge_u32 s7, s21
	s_cselect_b32 s2, s8, s2
	s_add_i32 s7, s33, 15
	s_lshl_b32 s39, s12, 5
	s_ashr_i32 s8, s7, 31
	v_or_b32_e32 v9, s39, v14
	s_lshr_b32 s8, s8, 28
	s_delay_alu instid0(SALU_CYCLE_1)
	s_add_i32 s7, s7, s8
	s_add_i32 s8, s39, 32
	s_ashr_i32 s34, s7, 4
	s_xor_b32 s7, s2, s37
	s_min_i32 s8, s8, s34
	v_ashrrev_i32_e32 v10, 31, v9
	v_cmp_gt_i32_e64 s2, s8, v9
	s_sub_i32 s37, s7, s37
	s_delay_alu instid0(VALU_DEP_1)
	s_and_saveexec_b32 s40, s2
	s_cbranch_execz .LBB160_19
; %bb.10:
	s_load_b64 s[0:1], s[0:1], 0x20
	s_ashr_i32 s7, s6, 31
	v_bfe_u32 v6, v0, 1, 4
	s_lshl_b64 s[42:43], s[6:7], 1
	s_sub_i32 s7, s37, s9
	v_cmp_eq_u32_e32 vcc_lo, 0, v13
	v_lshlrev_b32_e32 v7, 6, v13
	v_lshlrev_b32_e32 v17, 2, v6
	v_subrev_nc_u32_e32 v20, s33, v6
	v_lshlrev_b32_e32 v23, 4, v6
	v_lshl_add_u32 v8, v14, 4, s13
	v_mov_b32_e32 v11, 0xff7fffff
	v_lshl_or_b32 v21, v14, 6, v17
	v_add_nc_u32_e32 v17, 1, v20
	v_xor_b32_e32 v16, 1, v4
	s_waitcnt lgkmcnt(0)
	s_add_u32 s3, s0, s42
	s_addc_u32 s1, s1, s43
	s_abs_i32 s41, s10
	v_cmp_neq_f32_e64 s0, s38, 0
	v_cvt_f32_u32_e32 v1, s41
	s_sub_i32 s42, 0, s41
	s_delay_alu instid0(VALU_DEP_1)
	v_rcp_iflag_f32_e32 v5, v1
	v_and_b32_e32 v19, 8, v3
	v_lshlrev_b64 v[1:2], 2, v[9:10]
	s_waitcnt_depctr 0xfff
	v_mul_f32_e32 v18, 0x4f7ffffe, v5
	v_mov_b32_e32 v5, 0xff7fffff
	s_delay_alu instid0(VALU_DEP_2) | instskip(SKIP_2) | instid1(VALU_DEP_1)
	v_cvt_u32_f32_e32 v22, v18
	v_add_nc_u32_e32 v18, 0xa0, v21
	v_add_co_u32 v21, s3, s3, v23
	v_add_co_ci_u32_e64 v23, null, s1, 0, s3
	s_delay_alu instid0(VALU_DEP_4) | instskip(SKIP_1) | instid1(SALU_CYCLE_1)
	v_mul_lo_u32 v20, s42, v22
	s_lshl_b64 s[42:43], s[28:29], 2
	s_add_u32 s1, s26, s42
	s_addc_u32 s3, s27, s43
	v_add_co_u32 v1, s1, s1, v1
	s_delay_alu instid0(VALU_DEP_1) | instskip(NEXT) | instid1(VALU_DEP_3)
	v_add_co_ci_u32_e64 v2, s1, s3, v2, s1
	v_mul_hi_u32 v24, v22, v20
	v_add_co_u32 v19, s1, v21, v19
	s_delay_alu instid0(VALU_DEP_1) | instskip(SKIP_2) | instid1(VALU_DEP_3)
	v_add_co_ci_u32_e64 v20, s1, 0, v23, s1
	s_mov_b32 s42, 0
	s_mov_b32 s43, s5
	v_dual_mov_b32 v22, v9 :: v_dual_add_nc_u32 v21, v22, v24
	s_branch .LBB160_13
.LBB160_11:                             ;   in Loop: Header=BB160_13 Depth=1
	s_or_b32 exec_lo, exec_lo, s44
.LBB160_12:                             ;   in Loop: Header=BB160_13 Depth=1
	s_delay_alu instid0(SALU_CYCLE_1) | instskip(SKIP_2) | instid1(VALU_DEP_1)
	s_or_b32 exec_lo, exec_lo, s3
	v_add_nc_u32_e32 v22, 4, v22
	v_add_co_u32 v1, s3, v1, 16
	v_add_co_ci_u32_e64 v2, s3, 0, v2, s3
	s_delay_alu instid0(VALU_DEP_3) | instskip(SKIP_2) | instid1(VALU_DEP_3)
	v_cmp_le_i32_e64 s1, s8, v22
	v_add_nc_u32_e32 v8, 64, v8
	v_add_nc_u32_e32 v18, 0x100, v18
	s_or_b32 s42, s1, s42
	s_delay_alu instid0(SALU_CYCLE_1)
	s_and_not1_b32 exec_lo, exec_lo, s42
	s_cbranch_execz .LBB160_18
.LBB160_13:                             ; =>This Inner Loop Header: Depth=1
	v_sub_nc_u32_e32 v23, 0, v8
	s_delay_alu instid0(VALU_DEP_1) | instskip(SKIP_1) | instid1(VALU_DEP_1)
	v_max_i32_e32 v23, v8, v23
	s_waitcnt lgkmcnt(0)
	v_mul_hi_u32 v24, v23, s25
	s_delay_alu instid0(VALU_DEP_1) | instskip(NEXT) | instid1(VALU_DEP_1)
	v_mul_lo_u32 v25, v24, s21
	v_sub_nc_u32_e32 v23, v23, v25
	v_add_nc_u32_e32 v25, 1, v24
	s_delay_alu instid0(VALU_DEP_2) | instskip(SKIP_1) | instid1(VALU_DEP_1)
	v_subrev_nc_u32_e32 v26, s21, v23
	v_cmp_le_u32_e64 s1, s21, v23
	v_cndmask_b32_e64 v24, v24, v25, s1
	s_delay_alu instid0(VALU_DEP_3) | instskip(SKIP_1) | instid1(VALU_DEP_3)
	v_cndmask_b32_e64 v23, v23, v26, s1
	v_ashrrev_i32_e32 v25, 31, v8
	v_add_nc_u32_e32 v26, 1, v24
	s_delay_alu instid0(VALU_DEP_3) | instskip(NEXT) | instid1(VALU_DEP_3)
	v_cmp_le_u32_e64 s1, s21, v23
	v_xor_b32_e32 v25, s11, v25
	s_delay_alu instid0(VALU_DEP_2) | instskip(NEXT) | instid1(VALU_DEP_1)
	v_cndmask_b32_e64 v23, v24, v26, s1
	v_xor_b32_e32 v23, v23, v25
	s_delay_alu instid0(VALU_DEP_1) | instskip(NEXT) | instid1(VALU_DEP_1)
	v_sub_nc_u32_e32 v23, v23, v25
	v_add_nc_u32_e32 v24, s36, v23
	v_cmp_ge_i32_e64 s3, s7, v23
	s_delay_alu instid0(VALU_DEP_2) | instskip(NEXT) | instid1(VALU_DEP_1)
	v_sub_nc_u32_e32 v25, 0, v24
	v_max_i32_e32 v25, v24, v25
	v_ashrrev_i32_e32 v24, 31, v24
	s_delay_alu instid0(VALU_DEP_2) | instskip(NEXT) | instid1(VALU_DEP_1)
	v_mul_hi_u32 v26, v25, v21
	v_mul_lo_u32 v26, v26, s41
	s_delay_alu instid0(VALU_DEP_1) | instskip(NEXT) | instid1(VALU_DEP_1)
	v_sub_nc_u32_e32 v25, v25, v26
	v_subrev_nc_u32_e32 v26, s41, v25
	v_cmp_le_u32_e64 s1, s41, v25
	s_delay_alu instid0(VALU_DEP_1) | instskip(NEXT) | instid1(VALU_DEP_1)
	v_cndmask_b32_e64 v25, v25, v26, s1
	v_subrev_nc_u32_e32 v26, s41, v25
	v_cmp_le_u32_e64 s1, s41, v25
	s_delay_alu instid0(VALU_DEP_1) | instskip(NEXT) | instid1(VALU_DEP_1)
	v_cndmask_b32_e64 v25, v25, v26, s1
	v_xor_b32_e32 v25, v25, v24
	s_delay_alu instid0(VALU_DEP_1) | instskip(NEXT) | instid1(VALU_DEP_1)
	v_sub_nc_u32_e32 v24, v25, v24
	v_cmp_ne_u32_e64 s1, 0, v24
	s_delay_alu instid0(VALU_DEP_1) | instskip(NEXT) | instid1(SALU_CYCLE_1)
	s_and_b32 s1, s1, s3
	s_and_b32 s44, vcc_lo, s1
	s_delay_alu instid0(SALU_CYCLE_1)
	s_and_saveexec_b32 s3, s44
	s_cbranch_execz .LBB160_15
; %bb.14:                               ;   in Loop: Header=BB160_13 Depth=1
	ds_store_b32 v18, v11
.LBB160_15:                             ;   in Loop: Header=BB160_13 Depth=1
	s_or_b32 exec_lo, exec_lo, s3
	s_xor_b32 s1, s1, -1
	s_delay_alu instid0(SALU_CYCLE_1)
	s_and_saveexec_b32 s3, s1
	s_cbranch_execz .LBB160_12
; %bb.16:                               ;   in Loop: Header=BB160_13 Depth=1
	global_load_b32 v25, v[1:2], off
	s_waitcnt vmcnt(0)
	v_mad_i64_i32 v[23:24], null, v25, s43, 0
	s_delay_alu instid0(VALU_DEP_1) | instskip(NEXT) | instid1(VALU_DEP_1)
	v_lshlrev_b64 v[23:24], 1, v[23:24]
	v_add_co_u32 v23, s1, v19, v23
	s_delay_alu instid0(VALU_DEP_1)
	v_add_co_ci_u32_e64 v24, s1, v20, v24, s1
	v_cmp_gt_i32_e64 s1, 32, v16
	s_clause 0x7
	global_load_b64 v[39:40], v[23:24], off
	global_load_b64 v[41:42], v[23:24], off offset:256
	global_load_b64 v[43:44], v[23:24], off offset:512
	;; [unrolled: 1-line block ×7, first 2 shown]
	ds_load_b128 v[23:26], v7
	ds_load_b128 v[27:30], v7 offset:16
	ds_load_b128 v[31:34], v7 offset:32
	;; [unrolled: 1-line block ×3, first 2 shown]
	s_waitcnt vmcnt(7)
	v_lshlrev_b32_e32 v71, 16, v39
	s_waitcnt vmcnt(6)
	v_lshlrev_b32_e32 v73, 16, v41
	v_and_b32_e32 v41, 0xffff0000, v41
	s_waitcnt lgkmcnt(3)
	v_lshlrev_b32_e32 v58, 16, v26
	v_lshlrev_b32_e32 v74, 16, v42
	v_and_b32_e32 v42, 0xffff0000, v42
	s_waitcnt vmcnt(3)
	v_lshlrev_b32_e32 v79, 16, v47
	v_and_b32_e32 v47, 0xffff0000, v47
	v_and_b32_e32 v26, 0xffff0000, v26
	v_lshlrev_b32_e32 v57, 16, v25
	v_lshlrev_b32_e32 v80, 16, v48
	v_and_b32_e32 v48, 0xffff0000, v48
	v_and_b32_e32 v25, 0xffff0000, v25
	v_lshlrev_b32_e32 v72, 16, v40
	v_mul_f32_e32 v26, v26, v42
	v_dual_mul_f32 v57, v57, v73 :: v_dual_lshlrev_b32 v56, 16, v24
	s_delay_alu instid0(VALU_DEP_4)
	v_mul_f32_e32 v25, v25, v41
	v_dual_mul_f32 v58, v58, v74 :: v_dual_lshlrev_b32 v55, 16, v23
	s_waitcnt lgkmcnt(2)
	v_lshlrev_b32_e32 v59, 16, v27
	v_lshlrev_b32_e32 v60, 16, v28
	v_lshlrev_b32_e32 v75, 16, v43
	v_dual_fmac_f32 v57, v55, v71 :: v_dual_lshlrev_b32 v76, 16, v44
	s_waitcnt lgkmcnt(1)
	v_dual_fmac_f32 v58, v56, v72 :: v_dual_lshlrev_b32 v63, 16, v31
	s_delay_alu instid0(VALU_DEP_2)
	v_dual_fmac_f32 v57, v59, v75 :: v_dual_lshlrev_b32 v64, 16, v32
	v_and_b32_e32 v23, 0xffff0000, v23
	v_and_b32_e32 v39, 0xffff0000, v39
	v_lshlrev_b32_e32 v62, 16, v30
	v_lshlrev_b32_e32 v78, 16, v46
	v_fmac_f32_e32 v58, v60, v76
	s_delay_alu instid0(VALU_DEP_4)
	v_dual_fmac_f32 v25, v23, v39 :: v_dual_and_b32 v24, 0xffff0000, v24
	s_waitcnt lgkmcnt(0)
	v_lshlrev_b32_e32 v67, 16, v35
	v_and_b32_e32 v40, 0xffff0000, v40
	v_dual_fmac_f32 v58, v62, v78 :: v_dual_lshlrev_b32 v61, 16, v29
	v_and_b32_e32 v43, 0xffff0000, v43
	s_delay_alu instid0(VALU_DEP_3)
	v_dual_fmac_f32 v26, v24, v40 :: v_dual_lshlrev_b32 v77, 16, v45
	s_waitcnt vmcnt(2)
	v_lshlrev_b32_e32 v82, 16, v50
	v_dual_fmac_f32 v58, v64, v80 :: v_dual_and_b32 v27, 0xffff0000, v27
	v_lshlrev_b32_e32 v66, 16, v34
	v_dual_fmac_f32 v57, v61, v77 :: v_dual_lshlrev_b32 v68, 16, v36
	v_and_b32_e32 v45, 0xffff0000, v45
	s_delay_alu instid0(VALU_DEP_4)
	v_fmac_f32_e32 v25, v27, v43
	s_waitcnt vmcnt(1)
	v_dual_fmac_f32 v58, v66, v82 :: v_dual_lshlrev_b32 v27, 16, v52
	v_and_b32_e32 v29, 0xffff0000, v29
	v_and_b32_e32 v44, 0xffff0000, v44
	v_lshlrev_b32_e32 v81, 16, v49
	s_delay_alu instid0(VALU_DEP_4) | instskip(NEXT) | instid1(VALU_DEP_4)
	v_dual_fmac_f32 v58, v68, v27 :: v_dual_and_b32 v41, 0xffff0000, v50
	v_dual_fmac_f32 v25, v29, v45 :: v_dual_lshlrev_b32 v70, 16, v38
	v_and_b32_e32 v23, 0xffff0000, v51
	v_dual_fmac_f32 v57, v63, v79 :: v_dual_and_b32 v28, 0xffff0000, v28
	v_and_b32_e32 v27, 0xffff0000, v38
	v_and_b32_e32 v35, 0xffff0000, v35
	;; [unrolled: 1-line block ×4, first 2 shown]
	v_dual_fmac_f32 v26, v28, v44 :: v_dual_lshlrev_b32 v65, 16, v33
	v_and_b32_e32 v46, 0xffff0000, v46
	v_and_b32_e32 v49, 0xffff0000, v49
	s_delay_alu instid0(VALU_DEP_4)
	v_dual_fmac_f32 v25, v31, v47 :: v_dual_and_b32 v24, 0xffff0000, v52
	s_waitcnt vmcnt(0)
	v_and_b32_e32 v29, 0xffff0000, v53
	v_and_b32_e32 v36, 0xffff0000, v36
	;; [unrolled: 1-line block ×4, first 2 shown]
	v_dual_fmac_f32 v57, v65, v81 :: v_dual_lshlrev_b32 v50, 16, v51
	s_delay_alu instid0(VALU_DEP_3) | instskip(NEXT) | instid1(VALU_DEP_3)
	v_dual_fmac_f32 v25, v33, v49 :: v_dual_and_b32 v32, 0xffff0000, v32
	v_dual_fmac_f32 v26, v30, v46 :: v_dual_lshlrev_b32 v69, 16, v37
	s_delay_alu instid0(VALU_DEP_3) | instskip(NEXT) | instid1(VALU_DEP_3)
	v_dual_fmac_f32 v57, v67, v50 :: v_dual_lshlrev_b32 v28, 16, v53
	v_fmac_f32_e32 v25, v35, v23
	v_lshlrev_b32_e32 v23, 16, v54
	s_delay_alu instid0(VALU_DEP_4) | instskip(NEXT) | instid1(VALU_DEP_2)
	v_dual_fmac_f32 v26, v32, v48 :: v_dual_and_b32 v37, 0xffff0000, v37
	v_dual_fmac_f32 v57, v69, v28 :: v_dual_fmac_f32 v58, v70, v23
	s_delay_alu instid0(VALU_DEP_2) | instskip(NEXT) | instid1(VALU_DEP_3)
	v_fmac_f32_e32 v25, v37, v29
	v_fmac_f32_e32 v26, v34, v41
	s_delay_alu instid0(VALU_DEP_1) | instskip(SKIP_2) | instid1(VALU_DEP_3)
	v_dual_add_f32 v23, v57, v25 :: v_dual_fmac_f32 v26, v36, v24
	v_and_b32_e32 v24, 0xffff0000, v54
	v_cndmask_b32_e64 v25, v4, v16, s1
	v_add_f32_e32 v23, v23, v58
	s_delay_alu instid0(VALU_DEP_3) | instskip(NEXT) | instid1(VALU_DEP_1)
	v_fmac_f32_e32 v26, v27, v24
	v_dual_add_f32 v23, v26, v23 :: v_dual_lshlrev_b32 v24, 2, v25
	ds_bpermute_b32 v24, v24, v23
	s_and_saveexec_b32 s44, vcc_lo
	s_cbranch_execz .LBB160_11
; %bb.17:                               ;   in Loop: Header=BB160_13 Depth=1
	s_waitcnt lgkmcnt(0)
	v_add_f32_e32 v23, v23, v24
	v_add_nc_u32_e32 v25, v17, v8
	s_delay_alu instid0(VALU_DEP_1) | instskip(NEXT) | instid1(VALU_DEP_1)
	v_cvt_f32_i32_e32 v25, v25
	v_mul_f32_e32 v25, s38, v25
	s_delay_alu instid0(VALU_DEP_1) | instskip(NEXT) | instid1(VALU_DEP_1)
	v_cndmask_b32_e64 v24, 0, v25, s0
	v_dual_max_f32 v25, v5, v5 :: v_dual_fmac_f32 v24, s35, v23
	v_add_nc_u32_e32 v23, v6, v8
	s_delay_alu instid0(VALU_DEP_2) | instskip(NEXT) | instid1(VALU_DEP_2)
	v_max_f32_e32 v25, v25, v24
	v_cmp_gt_i32_e64 s1, s33, v23
	s_delay_alu instid0(VALU_DEP_1) | instskip(NEXT) | instid1(VALU_DEP_3)
	v_cndmask_b32_e64 v23, 0, v24, s1
	v_cndmask_b32_e64 v5, v5, v25, s1
	ds_store_b32 v18, v23
	s_branch .LBB160_11
.LBB160_18:
	s_or_b32 exec_lo, exec_lo, s42
.LBB160_19:
	s_delay_alu instid0(SALU_CYCLE_1) | instskip(SKIP_4) | instid1(VALU_DEP_4)
	s_or_b32 exec_lo, exec_lo, s40
	v_xor_b32_e32 v1, 16, v4
	v_xor_b32_e32 v2, 8, v4
	;; [unrolled: 1-line block ×3, first 2 shown]
	v_and_b32_e32 v16, 31, v0
	v_cmp_gt_i32_e32 vcc_lo, 32, v1
	v_cndmask_b32_e32 v1, v4, v1, vcc_lo
	v_cmp_gt_i32_e32 vcc_lo, 32, v2
	v_max_f32_e32 v7, v5, v5
	s_delay_alu instid0(VALU_DEP_3) | instskip(SKIP_4) | instid1(VALU_DEP_1)
	v_lshlrev_b32_e32 v6, 2, v1
	v_cndmask_b32_e32 v2, v4, v2, vcc_lo
	ds_bpermute_b32 v1, v6, v5
	s_waitcnt lgkmcnt(0)
	v_max_f32_e32 v1, v1, v1
	v_max_f32_e32 v1, v7, v1
	v_xor_b32_e32 v7, 4, v4
	s_delay_alu instid0(VALU_DEP_1) | instskip(SKIP_3) | instid1(VALU_DEP_3)
	v_cmp_gt_i32_e32 vcc_lo, 32, v7
	v_cndmask_b32_e32 v7, v4, v7, vcc_lo
	v_cmp_gt_i32_e32 vcc_lo, 32, v8
	v_lshlrev_b32_e32 v5, 2, v2
	v_dual_cndmask_b32 v8, v4, v8 :: v_dual_lshlrev_b32 v7, 2, v7
	ds_bpermute_b32 v2, v5, v1
	v_cmp_eq_u32_e32 vcc_lo, 0, v16
	s_waitcnt lgkmcnt(0)
	v_max_f32_e32 v2, v2, v2
	s_delay_alu instid0(VALU_DEP_1) | instskip(SKIP_3) | instid1(VALU_DEP_1)
	v_max_f32_e32 v1, v1, v2
	ds_bpermute_b32 v2, v7, v1
	s_waitcnt lgkmcnt(0)
	v_max_f32_e32 v2, v2, v2
	v_dual_max_f32 v1, v1, v2 :: v_dual_lshlrev_b32 v2, 2, v8
	v_lshlrev_b32_e32 v8, 2, v14
	ds_bpermute_b32 v11, v2, v1
	s_and_saveexec_b32 s0, vcc_lo
	s_cbranch_execz .LBB160_21
; %bb.20:
	s_waitcnt lgkmcnt(0)
	v_max_f32_e32 v11, v11, v11
	v_max_f32_e32 v1, v1, v1
	s_delay_alu instid0(VALU_DEP_1)
	v_max_f32_e32 v1, v1, v11
	ds_store_b32 v8, v1 offset:128
.LBB160_21:
	s_or_b32 exec_lo, exec_lo, s0
	v_cmp_gt_u32_e64 s0, 4, v16
	v_mov_b32_e32 v1, 0xff7fffff
	s_waitcnt lgkmcnt(0)
	v_lshlrev_b32_e32 v11, 2, v16
	s_barrier
	buffer_gl0_inv
	s_and_saveexec_b32 s1, s0
	s_cbranch_execz .LBB160_23
; %bb.22:
	ds_load_b32 v1, v11 offset:128
.LBB160_23:
	s_or_b32 exec_lo, exec_lo, s1
	s_waitcnt lgkmcnt(0)
	ds_bpermute_b32 v17, v2, v1
	v_xor_b32_e32 v18, 1, v4
	v_max_f32_e32 v1, v1, v1
	s_delay_alu instid0(VALU_DEP_2) | instskip(NEXT) | instid1(VALU_DEP_1)
	v_cmp_gt_i32_e64 s1, 32, v18
	v_cndmask_b32_e64 v4, v4, v18, s1
	s_sub_i32 s1, s8, s39
	s_delay_alu instid0(SALU_CYCLE_1) | instskip(NEXT) | instid1(SALU_CYCLE_1)
	s_lshl_b32 s1, s1, 4
	s_add_i32 s1, s1, s13
	s_delay_alu instid0(SALU_CYCLE_1) | instskip(NEXT) | instid1(SALU_CYCLE_1)
	s_min_i32 s1, s1, s33
	s_sub_i32 s7, s1, s13
	s_waitcnt lgkmcnt(0)
	v_dual_max_f32 v18, v17, v17 :: v_dual_lshlrev_b32 v17, 2, v4
	v_cmp_gt_i32_e64 s1, s7, v0
	s_delay_alu instid0(VALU_DEP_2) | instskip(SKIP_3) | instid1(VALU_DEP_1)
	v_dual_max_f32 v1, v1, v18 :: v_dual_mov_b32 v18, 0
	ds_bpermute_b32 v4, v17, v1
	s_waitcnt lgkmcnt(0)
	v_max_f32_e32 v4, v4, v4
	v_max_f32_e32 v1, v1, v4
	v_lshl_add_u32 v4, v0, 2, 0xa0
	ds_bpermute_b32 v1, v18, v1
	s_and_saveexec_b32 s13, s1
	s_cbranch_execz .LBB160_27
; %bb.24:
	v_lshl_add_u32 v19, v0, 2, 0xa0
	v_mov_b32_e32 v18, 0
	v_mov_b32_e32 v20, v0
	s_mov_b32 s35, 0
	.p2align	6
.LBB160_25:                             ; =>This Inner Loop Header: Depth=1
	ds_load_b32 v21, v19
	v_add_nc_u32_e32 v20, 0x80, v20
	s_delay_alu instid0(VALU_DEP_1) | instskip(NEXT) | instid1(VALU_DEP_1)
	v_cmp_le_i32_e64 s3, s7, v20
	s_or_b32 s35, s3, s35
	s_waitcnt lgkmcnt(0)
	v_sub_f32_e32 v21, v21, v1
	s_delay_alu instid0(VALU_DEP_1) | instskip(NEXT) | instid1(VALU_DEP_1)
	v_mul_f32_e32 v21, 0x3fb8aa3b, v21
	v_exp_f32_e32 v21, v21
	ds_store_b32 v19, v21
	v_dual_add_f32 v18, v18, v21 :: v_dual_add_nc_u32 v19, 0x200, v19
	s_and_not1_b32 exec_lo, exec_lo, s35
	s_cbranch_execnz .LBB160_25
; %bb.26:
	s_or_b32 exec_lo, exec_lo, s35
.LBB160_27:
	s_delay_alu instid0(SALU_CYCLE_1)
	s_or_b32 exec_lo, exec_lo, s13
	ds_bpermute_b32 v6, v6, v18
	s_waitcnt lgkmcnt(0)
	v_add_f32_e32 v6, v18, v6
	ds_bpermute_b32 v5, v5, v6
	s_waitcnt lgkmcnt(0)
	v_add_f32_e32 v5, v6, v5
	;; [unrolled: 3-line block ×5, first 2 shown]
	s_and_saveexec_b32 s3, vcc_lo
	s_cbranch_execz .LBB160_29
; %bb.28:
	ds_store_b32 v8, v5 offset:144
.LBB160_29:
	s_or_b32 exec_lo, exec_lo, s3
	s_waitcnt lgkmcnt(0)
	s_barrier
	buffer_gl0_inv
	s_and_saveexec_b32 s3, s0
	s_cbranch_execz .LBB160_31
; %bb.30:
	ds_load_b32 v5, v11 offset:144
.LBB160_31:
	s_or_b32 exec_lo, exec_lo, s3
	s_waitcnt lgkmcnt(0)
	ds_bpermute_b32 v2, v2, v5
	s_waitcnt lgkmcnt(0)
	v_add_f32_e32 v2, v5, v2
	ds_bpermute_b32 v5, v17, v2
	s_waitcnt lgkmcnt(0)
	v_dual_add_f32 v2, v2, v5 :: v_dual_mov_b32 v5, 0
	ds_bpermute_b32 v2, v5, v2
	s_and_saveexec_b32 s0, s1
	s_cbranch_execz .LBB160_34
; %bb.32:
	s_waitcnt lgkmcnt(0)
	v_add_f32_e32 v5, 0x358637bd, v2
	s_mov_b32 s1, 0
	s_delay_alu instid0(VALU_DEP_1) | instskip(SKIP_1) | instid1(VALU_DEP_2)
	v_div_scale_f32 v6, null, v5, v5, 1.0
	v_div_scale_f32 v11, vcc_lo, 1.0, v5, 1.0
	v_rcp_f32_e32 v7, v6
	s_waitcnt_depctr 0xfff
	v_fma_f32 v8, -v6, v7, 1.0
	s_delay_alu instid0(VALU_DEP_1) | instskip(NEXT) | instid1(VALU_DEP_1)
	v_fmac_f32_e32 v7, v8, v7
	v_mul_f32_e32 v8, v11, v7
	s_delay_alu instid0(VALU_DEP_1) | instskip(NEXT) | instid1(VALU_DEP_1)
	v_fma_f32 v18, -v6, v8, v11
	v_fmac_f32_e32 v8, v18, v7
	s_delay_alu instid0(VALU_DEP_1) | instskip(NEXT) | instid1(VALU_DEP_1)
	v_fma_f32 v6, -v6, v8, v11
	v_div_fmas_f32 v6, v6, v7, v8
	s_delay_alu instid0(VALU_DEP_1)
	v_div_fixup_f32 v5, v6, v5, 1.0
	v_mov_b32_e32 v6, v0
.LBB160_33:                             ; =>This Inner Loop Header: Depth=1
	ds_load_b32 v7, v4
	s_waitcnt lgkmcnt(0)
	v_dual_mul_f32 v7, v5, v7 :: v_dual_add_nc_u32 v6, 0x80, v6
	s_delay_alu instid0(VALU_DEP_1) | instskip(SKIP_3) | instid1(SALU_CYCLE_1)
	v_cmp_le_i32_e32 vcc_lo, s7, v6
	ds_store_b32 v4, v7
	v_add_nc_u32_e32 v4, 0x200, v4
	s_or_b32 s1, vcc_lo, s1
	s_and_not1_b32 exec_lo, exec_lo, s1
	s_cbranch_execnz .LBB160_33
.LBB160_34:
	s_or_b32 exec_lo, exec_lo, s0
	s_delay_alu instid0(SALU_CYCLE_1)
	s_mov_b32 s0, exec_lo
	s_waitcnt lgkmcnt(0)
	s_barrier
	buffer_gl0_inv
	v_cmpx_eq_u32_e32 0, v0
	s_cbranch_execz .LBB160_36
; %bb.35:
	s_mul_i32 s1, s4, s14
	s_mul_i32 s40, s4, s24
	;; [unrolled: 1-line block ×3, first 2 shown]
	v_mov_b32_e32 v4, 0
	s_ashr_i32 s39, s38, 31
	s_delay_alu instid0(SALU_CYCLE_1) | instskip(NEXT) | instid1(SALU_CYCLE_1)
	s_lshl_b64 s[38:39], s[38:39], 2
	s_add_u32 s1, s18, s38
	s_addc_u32 s3, s19, s39
	s_ashr_i32 s41, s40, 31
	s_delay_alu instid0(SALU_CYCLE_1) | instskip(NEXT) | instid1(SALU_CYCLE_1)
	s_lshl_b64 s[18:19], s[40:41], 2
	s_add_u32 s1, s1, s18
	s_addc_u32 s3, s3, s19
	;; [unrolled: 5-line block ×3, first 2 shown]
	s_add_u32 s1, s16, s38
	s_addc_u32 s3, s17, s39
	s_add_u32 s1, s1, s18
	s_addc_u32 s3, s3, s19
	;; [unrolled: 2-line block ×3, first 2 shown]
	s_clause 0x1
	global_store_b32 v4, v1, s[42:43]
	global_store_b32 v4, v2, s[16:17]
.LBB160_36:
	s_or_b32 exec_lo, exec_lo, s0
	v_dual_mov_b32 v22, 0 :: v_dual_mov_b32 v19, 0
	v_mov_b32_e32 v20, 0
	v_mov_b32_e32 v18, 0
	s_mov_b32 s3, 0
	s_and_saveexec_b32 s1, s2
	s_cbranch_execz .LBB160_210
; %bb.37:
	s_ashr_i32 s7, s6, 31
	s_sub_i32 s2, s37, s9
	s_lshl_b64 s[6:7], s[6:7], 1
	v_dual_mov_b32 v20, 0 :: v_dual_lshlrev_b32 v5, 5, v13
	s_add_u32 s0, s30, s6
	s_addc_u32 s9, s31, s7
	s_abs_i32 s6, s10
	s_lshl_b64 s[16:17], s[28:29], 2
	v_cvt_f32_u32_e32 v1, s6
	s_sub_i32 s7, 0, s6
	v_lshl_or_b32 v5, v14, 6, v5
	v_and_b32_e32 v21, 8, v3
	v_dual_mov_b32 v18, 0 :: v_dual_lshlrev_b32 v3, 4, v0
	v_rcp_iflag_f32_e32 v1, v1
	s_delay_alu instid0(VALU_DEP_3) | instskip(NEXT) | instid1(VALU_DEP_2)
	v_dual_mov_b32 v22, 0 :: v_dual_add_nc_u32 v25, 0xa0, v5
	v_and_b32_e32 v3, 0x1f0, v3
	s_delay_alu instid0(VALU_DEP_1) | instskip(SKIP_4) | instid1(VALU_DEP_3)
	v_add_co_u32 v23, s0, s0, v3
	s_waitcnt_depctr 0xfff
	v_mul_f32_e32 v4, 0x4f7ffffe, v1
	v_lshlrev_b64 v[1:2], 2, v[9:10]
	v_add_co_ci_u32_e64 v24, null, s9, 0, s0
	v_cvt_u32_f32_e32 v4, v4
	s_delay_alu instid0(VALU_DEP_1)
	v_mul_lo_u32 v6, s7, v4
	s_add_i32 s7, s34, -1
	s_add_u32 s10, s26, s16
	s_addc_u32 s13, s27, s17
	v_add_co_u32 v10, vcc_lo, s10, v1
	v_add_co_ci_u32_e32 v11, vcc_lo, s13, v2, vcc_lo
	s_delay_alu instid0(VALU_DEP_3) | instskip(NEXT) | instid1(VALU_DEP_1)
	v_mul_hi_u32 v6, v4, v6
	v_dual_mov_b32 v19, 0 :: v_dual_add_nc_u32 v26, v4, v6
	s_branch .LBB160_40
.LBB160_38:                             ;   in Loop: Header=BB160_40 Depth=1
	s_or_b32 exec_lo, exec_lo, s0
	v_and_b32_e32 v42, 0xffff0000, v51
	v_and_b32_e32 v38, 0xffff0000, v59
	;; [unrolled: 1-line block ×8, first 2 shown]
	s_delay_alu instid0(VALU_DEP_4) | instskip(SKIP_4) | instid1(VALU_DEP_4)
	v_dual_add_f32 v35, v38, v35 :: v_dual_and_b32 v8, 0xffff0000, v8
	v_and_b32_e32 v38, 0xffff0000, v50
	v_and_b32_e32 v7, 0xffff0000, v7
	;; [unrolled: 1-line block ×4, first 2 shown]
	v_dual_add_f32 v38, v41, v38 :: v_dual_and_b32 v1, 0xffff0000, v1
	v_and_b32_e32 v41, 0xffff0000, v53
	v_add_f32_e32 v7, v7, v8
	v_dual_add_f32 v8, v27, v28 :: v_dual_and_b32 v37, 0xffff0000, v57
	v_and_b32_e32 v39, 0xffff0000, v62
	v_and_b32_e32 v2, 0xffff0000, v2
	;; [unrolled: 1-line block ×3, first 2 shown]
	v_add_f32_e32 v1, v1, v5
	v_add_f32_e32 v5, v7, v8
	;; [unrolled: 1-line block ×3, first 2 shown]
	v_and_b32_e32 v40, 0xffff0000, v61
	v_and_b32_e32 v3, 0xffff0000, v3
	;; [unrolled: 1-line block ×3, first 2 shown]
	s_delay_alu instid0(VALU_DEP_4) | instskip(NEXT) | instid1(VALU_DEP_4)
	v_add_f32_e32 v35, v36, v35
	v_dual_add_f32 v39, v40, v39 :: v_dual_and_b32 v36, 0xffff0000, v54
	s_delay_alu instid0(VALU_DEP_1) | instskip(SKIP_4) | instid1(VALU_DEP_3)
	v_dual_add_f32 v35, v35, v39 :: v_dual_and_b32 v40, 0xffff0000, v64
	v_and_b32_e32 v4, 0xffff0000, v4
	v_and_b32_e32 v33, 0xffff0000, v33
	;; [unrolled: 1-line block ×3, first 2 shown]
	v_add_f32_e32 v36, v41, v36
	v_add_f32_e32 v2, v2, v33
	s_delay_alu instid0(VALU_DEP_3) | instskip(NEXT) | instid1(VALU_DEP_2)
	v_add_f32_e32 v37, v42, v37
	v_dual_add_f32 v1, v1, v2 :: v_dual_add_f32 v2, v3, v27
	v_and_b32_e32 v3, 0xffff0000, v6
	s_delay_alu instid0(VALU_DEP_3) | instskip(SKIP_1) | instid1(VALU_DEP_3)
	v_dual_add_f32 v37, v38, v37 :: v_dual_and_b32 v32, 0xffff0000, v32
	v_add_f32_e32 v7, v29, v30
	v_dual_add_f32 v1, v1, v2 :: v_dual_add_f32 v2, v4, v3
	s_delay_alu instid0(VALU_DEP_3) | instskip(SKIP_1) | instid1(VALU_DEP_3)
	v_add_f32_e32 v36, v37, v36
	v_dual_add_f32 v38, v43, v40 :: v_dual_and_b32 v39, 0xffff0000, v55
	v_dual_add_f32 v1, v1, v2 :: v_dual_and_b32 v40, 0xffff0000, v56
	v_and_b32_e32 v31, 0xffff0000, v31
	v_add_f32_e32 v5, v5, v7
	s_delay_alu instid0(VALU_DEP_4) | instskip(NEXT) | instid1(VALU_DEP_4)
	v_add_f32_e32 v3, v35, v38
	v_add_f32_e32 v6, v39, v40
	s_delay_alu instid0(VALU_DEP_4) | instskip(NEXT) | instid1(VALU_DEP_3)
	v_dual_add_f32 v22, v22, v1 :: v_dual_add_f32 v7, v31, v32
	v_add_f32_e32 v20, v20, v3
	s_delay_alu instid0(VALU_DEP_2) | instskip(NEXT) | instid1(VALU_DEP_1)
	v_dual_add_f32 v4, v36, v6 :: v_dual_add_f32 v5, v5, v7
	v_dual_add_f32 v19, v19, v4 :: v_dual_add_f32 v18, v18, v5
.LBB160_39:                             ;   in Loop: Header=BB160_40 Depth=1
	s_or_b32 exec_lo, exec_lo, s9
	v_add_nc_u32_e32 v9, 4, v9
	v_add_co_u32 v10, s0, v10, 16
	s_delay_alu instid0(VALU_DEP_1) | instskip(NEXT) | instid1(VALU_DEP_3)
	v_add_co_ci_u32_e64 v11, s0, 0, v11, s0
	v_cmp_le_i32_e32 vcc_lo, s8, v9
	v_add_nc_u32_e32 v15, 64, v15
	v_add_nc_u32_e32 v25, 0x100, v25
	s_or_b32 s3, vcc_lo, s3
	s_delay_alu instid0(SALU_CYCLE_1)
	s_and_not1_b32 exec_lo, exec_lo, s3
	s_cbranch_execz .LBB160_209
.LBB160_40:                             ; =>This Inner Loop Header: Depth=1
	v_sub_nc_u32_e32 v1, 0, v15
	s_delay_alu instid0(VALU_DEP_1) | instskip(NEXT) | instid1(VALU_DEP_1)
	v_max_i32_e32 v1, v15, v1
	v_mul_hi_u32 v2, v1, s25
	s_delay_alu instid0(VALU_DEP_1) | instskip(NEXT) | instid1(VALU_DEP_1)
	v_mul_lo_u32 v3, v2, s21
	v_sub_nc_u32_e32 v1, v1, v3
	v_add_nc_u32_e32 v3, 1, v2
	s_delay_alu instid0(VALU_DEP_2) | instskip(SKIP_1) | instid1(VALU_DEP_2)
	v_subrev_nc_u32_e32 v4, s21, v1
	v_cmp_le_u32_e32 vcc_lo, s21, v1
	v_dual_cndmask_b32 v2, v2, v3 :: v_dual_cndmask_b32 v1, v1, v4
	v_ashrrev_i32_e32 v3, 31, v15
	s_delay_alu instid0(VALU_DEP_2) | instskip(NEXT) | instid1(VALU_DEP_3)
	v_add_nc_u32_e32 v4, 1, v2
	v_cmp_le_u32_e32 vcc_lo, s21, v1
	s_delay_alu instid0(VALU_DEP_3) | instskip(NEXT) | instid1(VALU_DEP_3)
	v_xor_b32_e32 v3, s11, v3
	v_cndmask_b32_e32 v1, v2, v4, vcc_lo
	s_delay_alu instid0(VALU_DEP_1) | instskip(NEXT) | instid1(VALU_DEP_1)
	v_xor_b32_e32 v1, v1, v3
	v_sub_nc_u32_e32 v1, v1, v3
	s_delay_alu instid0(VALU_DEP_1) | instskip(SKIP_1) | instid1(VALU_DEP_2)
	v_add_nc_u32_e32 v2, s36, v1
	v_cmp_lt_i32_e64 s0, s2, v1
	v_sub_nc_u32_e32 v3, 0, v2
	s_delay_alu instid0(VALU_DEP_1) | instskip(NEXT) | instid1(VALU_DEP_1)
	v_max_i32_e32 v3, v2, v3
	v_mul_hi_u32 v4, v3, v26
	s_delay_alu instid0(VALU_DEP_1) | instskip(NEXT) | instid1(VALU_DEP_1)
	v_mul_lo_u32 v4, v4, s6
	v_sub_nc_u32_e32 v3, v3, v4
	s_delay_alu instid0(VALU_DEP_1) | instskip(SKIP_1) | instid1(VALU_DEP_2)
	v_subrev_nc_u32_e32 v4, s6, v3
	v_cmp_le_u32_e32 vcc_lo, s6, v3
	v_cndmask_b32_e32 v3, v3, v4, vcc_lo
	v_ashrrev_i32_e32 v2, 31, v2
	s_delay_alu instid0(VALU_DEP_2) | instskip(SKIP_1) | instid1(VALU_DEP_2)
	v_subrev_nc_u32_e32 v4, s6, v3
	v_cmp_le_u32_e32 vcc_lo, s6, v3
	v_cndmask_b32_e32 v3, v3, v4, vcc_lo
	s_delay_alu instid0(VALU_DEP_1) | instskip(NEXT) | instid1(VALU_DEP_1)
	v_xor_b32_e32 v3, v3, v2
	v_sub_nc_u32_e32 v2, v3, v2
	s_delay_alu instid0(VALU_DEP_1) | instskip(SKIP_1) | instid1(SALU_CYCLE_1)
	v_cmp_eq_u32_e32 vcc_lo, 0, v2
	s_or_b32 s0, vcc_lo, s0
	s_and_saveexec_b32 s9, s0
	s_cbranch_execz .LBB160_39
; %bb.41:                               ;   in Loop: Header=BB160_40 Depth=1
	global_load_b32 v33, v[10:11], off
	ds_load_2addr_b64 v[5:8], v25 offset1:1
	ds_load_2addr_b64 v[1:4], v25 offset0:2 offset1:3
	s_mov_b32 s0, exec_lo
                                        ; implicit-def: $vgpr41
	s_waitcnt lgkmcnt(1)
	v_and_b32_e32 v27, 0x7f800000, v5
	s_delay_alu instid0(VALU_DEP_1)
	v_cmpx_ne_u32_e32 0x7f800000, v27
	s_xor_b32 s0, exec_lo, s0
; %bb.42:                               ;   in Loop: Header=BB160_40 Depth=1
	v_bfe_u32 v27, v5, 16, 1
	s_delay_alu instid0(VALU_DEP_1)
	v_add3_u32 v41, v5, v27, 0x7fff
; %bb.43:                               ;   in Loop: Header=BB160_40 Depth=1
	s_and_not1_saveexec_b32 s0, s0
; %bb.44:                               ;   in Loop: Header=BB160_40 Depth=1
	v_and_b32_e32 v27, 0xffff, v5
	v_or_b32_e32 v28, 0x10000, v5
	s_delay_alu instid0(VALU_DEP_2) | instskip(NEXT) | instid1(VALU_DEP_2)
	v_cmp_eq_u32_e32 vcc_lo, 0, v27
	v_cndmask_b32_e32 v41, v28, v5, vcc_lo
; %bb.45:                               ;   in Loop: Header=BB160_40 Depth=1
	s_or_b32 exec_lo, exec_lo, s0
	v_and_b32_e32 v5, 0x7f800000, v6
	s_mov_b32 s0, exec_lo
                                        ; implicit-def: $vgpr42
	s_delay_alu instid0(VALU_DEP_1)
	v_cmpx_ne_u32_e32 0x7f800000, v5
	s_xor_b32 s0, exec_lo, s0
; %bb.46:                               ;   in Loop: Header=BB160_40 Depth=1
	v_bfe_u32 v5, v6, 16, 1
	s_delay_alu instid0(VALU_DEP_1)
	v_add3_u32 v42, v6, v5, 0x7fff
; %bb.47:                               ;   in Loop: Header=BB160_40 Depth=1
	s_and_not1_saveexec_b32 s0, s0
; %bb.48:                               ;   in Loop: Header=BB160_40 Depth=1
	v_and_b32_e32 v5, 0xffff, v6
	v_or_b32_e32 v27, 0x10000, v6
	s_delay_alu instid0(VALU_DEP_2) | instskip(NEXT) | instid1(VALU_DEP_2)
	v_cmp_eq_u32_e32 vcc_lo, 0, v5
	v_cndmask_b32_e32 v42, v27, v6, vcc_lo
; %bb.49:                               ;   in Loop: Header=BB160_40 Depth=1
	s_or_b32 exec_lo, exec_lo, s0
	v_and_b32_e32 v5, 0x7f800000, v7
	s_mov_b32 s0, exec_lo
                                        ; implicit-def: $vgpr27
	s_delay_alu instid0(VALU_DEP_1)
	v_cmpx_ne_u32_e32 0x7f800000, v5
	s_xor_b32 s0, exec_lo, s0
; %bb.50:                               ;   in Loop: Header=BB160_40 Depth=1
	v_bfe_u32 v5, v7, 16, 1
	s_delay_alu instid0(VALU_DEP_1)
	v_add3_u32 v27, v7, v5, 0x7fff
; %bb.51:                               ;   in Loop: Header=BB160_40 Depth=1
	s_and_not1_saveexec_b32 s0, s0
; %bb.52:                               ;   in Loop: Header=BB160_40 Depth=1
	v_and_b32_e32 v5, 0xffff, v7
	v_or_b32_e32 v6, 0x10000, v7
	s_delay_alu instid0(VALU_DEP_2) | instskip(NEXT) | instid1(VALU_DEP_2)
	v_cmp_eq_u32_e32 vcc_lo, 0, v5
	v_cndmask_b32_e32 v27, v6, v7, vcc_lo
; %bb.53:                               ;   in Loop: Header=BB160_40 Depth=1
	s_or_b32 exec_lo, exec_lo, s0
	v_and_b32_e32 v5, 0x7f800000, v8
	s_mov_b32 s0, exec_lo
                                        ; implicit-def: $vgpr28
	s_delay_alu instid0(VALU_DEP_1)
	v_cmpx_ne_u32_e32 0x7f800000, v5
	s_xor_b32 s0, exec_lo, s0
; %bb.54:                               ;   in Loop: Header=BB160_40 Depth=1
	v_bfe_u32 v5, v8, 16, 1
	s_delay_alu instid0(VALU_DEP_1)
	v_add3_u32 v28, v8, v5, 0x7fff
                                        ; implicit-def: $vgpr5_vgpr6_vgpr7_vgpr8
; %bb.55:                               ;   in Loop: Header=BB160_40 Depth=1
	s_and_not1_saveexec_b32 s0, s0
; %bb.56:                               ;   in Loop: Header=BB160_40 Depth=1
	v_and_b32_e32 v5, 0xffff, v8
	v_or_b32_e32 v6, 0x10000, v8
	s_delay_alu instid0(VALU_DEP_2) | instskip(NEXT) | instid1(VALU_DEP_2)
	v_cmp_eq_u32_e32 vcc_lo, 0, v5
	v_cndmask_b32_e32 v28, v6, v8, vcc_lo
; %bb.57:                               ;   in Loop: Header=BB160_40 Depth=1
	s_or_b32 exec_lo, exec_lo, s0
	s_waitcnt lgkmcnt(0)
	v_and_b32_e32 v5, 0x7f800000, v1
	s_mov_b32 s0, exec_lo
                                        ; implicit-def: $vgpr29
	s_delay_alu instid0(VALU_DEP_1)
	v_cmpx_ne_u32_e32 0x7f800000, v5
	s_xor_b32 s0, exec_lo, s0
; %bb.58:                               ;   in Loop: Header=BB160_40 Depth=1
	v_bfe_u32 v5, v1, 16, 1
	s_delay_alu instid0(VALU_DEP_1)
	v_add3_u32 v29, v1, v5, 0x7fff
; %bb.59:                               ;   in Loop: Header=BB160_40 Depth=1
	s_and_not1_saveexec_b32 s0, s0
; %bb.60:                               ;   in Loop: Header=BB160_40 Depth=1
	v_and_b32_e32 v5, 0xffff, v1
	v_or_b32_e32 v6, 0x10000, v1
	s_delay_alu instid0(VALU_DEP_2) | instskip(NEXT) | instid1(VALU_DEP_2)
	v_cmp_eq_u32_e32 vcc_lo, 0, v5
	v_cndmask_b32_e32 v29, v6, v1, vcc_lo
; %bb.61:                               ;   in Loop: Header=BB160_40 Depth=1
	s_or_b32 exec_lo, exec_lo, s0
	v_and_b32_e32 v1, 0x7f800000, v2
	s_mov_b32 s0, exec_lo
                                        ; implicit-def: $vgpr30
	s_delay_alu instid0(VALU_DEP_1)
	v_cmpx_ne_u32_e32 0x7f800000, v1
	s_xor_b32 s0, exec_lo, s0
; %bb.62:                               ;   in Loop: Header=BB160_40 Depth=1
	v_bfe_u32 v1, v2, 16, 1
	s_delay_alu instid0(VALU_DEP_1)
	v_add3_u32 v30, v2, v1, 0x7fff
; %bb.63:                               ;   in Loop: Header=BB160_40 Depth=1
	s_and_not1_saveexec_b32 s0, s0
; %bb.64:                               ;   in Loop: Header=BB160_40 Depth=1
	v_and_b32_e32 v1, 0xffff, v2
	v_or_b32_e32 v5, 0x10000, v2
	s_delay_alu instid0(VALU_DEP_2) | instskip(NEXT) | instid1(VALU_DEP_2)
	v_cmp_eq_u32_e32 vcc_lo, 0, v1
	v_cndmask_b32_e32 v30, v5, v2, vcc_lo
; %bb.65:                               ;   in Loop: Header=BB160_40 Depth=1
	s_or_b32 exec_lo, exec_lo, s0
	v_and_b32_e32 v1, 0x7f800000, v3
	s_mov_b32 s0, exec_lo
                                        ; implicit-def: $vgpr31
	s_delay_alu instid0(VALU_DEP_1)
	v_cmpx_ne_u32_e32 0x7f800000, v1
	s_xor_b32 s0, exec_lo, s0
; %bb.66:                               ;   in Loop: Header=BB160_40 Depth=1
	v_bfe_u32 v1, v3, 16, 1
	s_delay_alu instid0(VALU_DEP_1)
	v_add3_u32 v31, v3, v1, 0x7fff
; %bb.67:                               ;   in Loop: Header=BB160_40 Depth=1
	s_and_not1_saveexec_b32 s0, s0
; %bb.68:                               ;   in Loop: Header=BB160_40 Depth=1
	v_and_b32_e32 v1, 0xffff, v3
	v_or_b32_e32 v2, 0x10000, v3
	s_delay_alu instid0(VALU_DEP_2) | instskip(NEXT) | instid1(VALU_DEP_2)
	v_cmp_eq_u32_e32 vcc_lo, 0, v1
	v_cndmask_b32_e32 v31, v2, v3, vcc_lo
; %bb.69:                               ;   in Loop: Header=BB160_40 Depth=1
	s_or_b32 exec_lo, exec_lo, s0
	v_and_b32_e32 v1, 0x7f800000, v4
	s_mov_b32 s0, exec_lo
                                        ; implicit-def: $vgpr32
	s_delay_alu instid0(VALU_DEP_1)
	v_cmpx_ne_u32_e32 0x7f800000, v1
	s_xor_b32 s0, exec_lo, s0
; %bb.70:                               ;   in Loop: Header=BB160_40 Depth=1
	v_bfe_u32 v1, v4, 16, 1
	s_delay_alu instid0(VALU_DEP_1)
	v_add3_u32 v32, v4, v1, 0x7fff
                                        ; implicit-def: $vgpr1_vgpr2_vgpr3_vgpr4
; %bb.71:                               ;   in Loop: Header=BB160_40 Depth=1
	s_and_not1_saveexec_b32 s0, s0
; %bb.72:                               ;   in Loop: Header=BB160_40 Depth=1
	v_and_b32_e32 v1, 0xffff, v4
	v_or_b32_e32 v2, 0x10000, v4
	s_delay_alu instid0(VALU_DEP_2) | instskip(NEXT) | instid1(VALU_DEP_2)
	v_cmp_eq_u32_e32 vcc_lo, 0, v1
	v_cndmask_b32_e32 v32, v2, v4, vcc_lo
; %bb.73:                               ;   in Loop: Header=BB160_40 Depth=1
	s_or_b32 exec_lo, exec_lo, s0
	s_waitcnt vmcnt(0)
	v_mad_i64_i32 v[1:2], null, v33, s5, 0
	v_add_nc_u32_e32 v33, v21, v15
	s_delay_alu instid0(VALU_DEP_1) | instskip(NEXT) | instid1(VALU_DEP_3)
	v_add_nc_u32_e32 v40, 1, v33
	v_lshlrev_b64 v[1:2], 1, v[1:2]
	v_add_nc_u32_e32 v39, 2, v33
	v_add_nc_u32_e32 v37, 3, v33
	;; [unrolled: 1-line block ×5, first 2 shown]
	v_add_co_u32 v5, vcc_lo, v23, v1
	v_add_co_ci_u32_e32 v6, vcc_lo, v24, v2, vcc_lo
	v_cmp_eq_u32_e32 vcc_lo, s7, v9
	v_add_nc_u32_e32 v38, 7, v33
	global_load_b128 v[1:4], v[5:6], off
	s_waitcnt vmcnt(0)
	v_lshrrev_b32_e32 v8, 16, v1
	v_lshrrev_b32_e32 v45, 16, v2
	;; [unrolled: 1-line block ×4, first 2 shown]
	s_and_saveexec_b32 s10, vcc_lo
	s_cbranch_execz .LBB160_75
; %bb.74:                               ;   in Loop: Header=BB160_40 Depth=1
	v_cmp_gt_i32_e64 s0, s33, v33
	s_delay_alu instid0(VALU_DEP_1) | instskip(SKIP_1) | instid1(VALU_DEP_1)
	v_cndmask_b32_e64 v1, 0, v1, s0
	v_cmp_gt_i32_e64 s0, s33, v40
	v_cndmask_b32_e64 v8, 0, v8, s0
	v_cmp_gt_i32_e64 s0, s33, v39
	s_delay_alu instid0(VALU_DEP_1) | instskip(SKIP_1) | instid1(VALU_DEP_1)
	v_cndmask_b32_e64 v2, 0, v2, s0
	v_cmp_gt_i32_e64 s0, s33, v37
	v_cndmask_b32_e64 v45, 0, v45, s0
	;; [unrolled: 5-line block ×4, first 2 shown]
.LBB160_75:                             ;   in Loop: Header=BB160_40 Depth=1
	s_or_b32 exec_lo, exec_lo, s10
	v_and_b32_e32 v41, 0xffff0000, v41
	v_lshlrev_b32_e32 v1, 16, v1
	s_delay_alu instid0(VALU_DEP_1) | instskip(NEXT) | instid1(VALU_DEP_1)
	v_mul_f32_e32 v1, v41, v1
	v_and_b32_e32 v7, 0x7f800000, v1
	s_delay_alu instid0(VALU_DEP_1) | instskip(NEXT) | instid1(VALU_DEP_1)
	v_cmp_ne_u32_e64 s0, 0x7f800000, v7
                                        ; implicit-def: $vgpr7
	s_and_saveexec_b32 s10, s0
	s_delay_alu instid0(SALU_CYCLE_1)
	s_xor_b32 s0, exec_lo, s10
; %bb.76:                               ;   in Loop: Header=BB160_40 Depth=1
	v_bfe_u32 v7, v1, 16, 1
	s_delay_alu instid0(VALU_DEP_1)
	v_add3_u32 v7, v1, v7, 0x7fff
                                        ; implicit-def: $vgpr1
; %bb.77:                               ;   in Loop: Header=BB160_40 Depth=1
	s_and_not1_saveexec_b32 s10, s0
; %bb.78:                               ;   in Loop: Header=BB160_40 Depth=1
	v_and_b32_e32 v7, 0xffff, v1
	v_or_b32_e32 v43, 0x10000, v1
	s_delay_alu instid0(VALU_DEP_2) | instskip(NEXT) | instid1(VALU_DEP_1)
	v_cmp_eq_u32_e64 s0, 0, v7
	v_cndmask_b32_e64 v7, v43, v1, s0
; %bb.79:                               ;   in Loop: Header=BB160_40 Depth=1
	s_or_b32 exec_lo, exec_lo, s10
	v_and_b32_e32 v42, 0xffff0000, v42
	v_lshlrev_b32_e32 v1, 16, v8
	s_delay_alu instid0(VALU_DEP_1) | instskip(NEXT) | instid1(VALU_DEP_1)
	v_mul_f32_e32 v1, v42, v1
	v_and_b32_e32 v8, 0x7f800000, v1
	s_delay_alu instid0(VALU_DEP_1) | instskip(NEXT) | instid1(VALU_DEP_1)
	v_cmp_ne_u32_e64 s0, 0x7f800000, v8
                                        ; implicit-def: $vgpr8
	s_and_saveexec_b32 s10, s0
	s_delay_alu instid0(SALU_CYCLE_1)
	s_xor_b32 s0, exec_lo, s10
; %bb.80:                               ;   in Loop: Header=BB160_40 Depth=1
	v_bfe_u32 v8, v1, 16, 1
	s_delay_alu instid0(VALU_DEP_1)
	v_add3_u32 v8, v1, v8, 0x7fff
                                        ; implicit-def: $vgpr1
; %bb.81:                               ;   in Loop: Header=BB160_40 Depth=1
	s_and_not1_saveexec_b32 s10, s0
; %bb.82:                               ;   in Loop: Header=BB160_40 Depth=1
	v_and_b32_e32 v8, 0xffff, v1
	v_or_b32_e32 v43, 0x10000, v1
	s_delay_alu instid0(VALU_DEP_2) | instskip(NEXT) | instid1(VALU_DEP_1)
	v_cmp_eq_u32_e64 s0, 0, v8
	v_cndmask_b32_e64 v8, v43, v1, s0
; %bb.83:                               ;   in Loop: Header=BB160_40 Depth=1
	s_or_b32 exec_lo, exec_lo, s10
	v_and_b32_e32 v43, 0xffff0000, v27
	v_lshlrev_b32_e32 v1, 16, v2
                                        ; implicit-def: $vgpr27
	s_delay_alu instid0(VALU_DEP_1) | instskip(NEXT) | instid1(VALU_DEP_1)
	v_mul_f32_e32 v1, v43, v1
	v_and_b32_e32 v2, 0x7f800000, v1
	s_delay_alu instid0(VALU_DEP_1) | instskip(NEXT) | instid1(VALU_DEP_1)
	v_cmp_ne_u32_e64 s0, 0x7f800000, v2
	s_and_saveexec_b32 s10, s0
	s_delay_alu instid0(SALU_CYCLE_1)
	s_xor_b32 s0, exec_lo, s10
; %bb.84:                               ;   in Loop: Header=BB160_40 Depth=1
	v_bfe_u32 v2, v1, 16, 1
	s_delay_alu instid0(VALU_DEP_1)
	v_add3_u32 v27, v1, v2, 0x7fff
                                        ; implicit-def: $vgpr1
; %bb.85:                               ;   in Loop: Header=BB160_40 Depth=1
	s_and_not1_saveexec_b32 s10, s0
; %bb.86:                               ;   in Loop: Header=BB160_40 Depth=1
	v_and_b32_e32 v2, 0xffff, v1
	v_or_b32_e32 v27, 0x10000, v1
	s_delay_alu instid0(VALU_DEP_2) | instskip(NEXT) | instid1(VALU_DEP_1)
	v_cmp_eq_u32_e64 s0, 0, v2
	v_cndmask_b32_e64 v27, v27, v1, s0
; %bb.87:                               ;   in Loop: Header=BB160_40 Depth=1
	s_or_b32 exec_lo, exec_lo, s10
	v_and_b32_e32 v44, 0xffff0000, v28
	v_lshlrev_b32_e32 v1, 16, v45
                                        ; implicit-def: $vgpr28
	s_delay_alu instid0(VALU_DEP_1) | instskip(NEXT) | instid1(VALU_DEP_1)
	v_mul_f32_e32 v1, v44, v1
	v_and_b32_e32 v2, 0x7f800000, v1
	s_delay_alu instid0(VALU_DEP_1) | instskip(NEXT) | instid1(VALU_DEP_1)
	v_cmp_ne_u32_e64 s0, 0x7f800000, v2
	s_and_saveexec_b32 s10, s0
	s_delay_alu instid0(SALU_CYCLE_1)
	s_xor_b32 s0, exec_lo, s10
; %bb.88:                               ;   in Loop: Header=BB160_40 Depth=1
	v_bfe_u32 v2, v1, 16, 1
	s_delay_alu instid0(VALU_DEP_1)
	v_add3_u32 v28, v1, v2, 0x7fff
                                        ; implicit-def: $vgpr1
; %bb.89:                               ;   in Loop: Header=BB160_40 Depth=1
	s_and_not1_saveexec_b32 s10, s0
; %bb.90:                               ;   in Loop: Header=BB160_40 Depth=1
	v_and_b32_e32 v2, 0xffff, v1
	v_or_b32_e32 v28, 0x10000, v1
	s_delay_alu instid0(VALU_DEP_2) | instskip(NEXT) | instid1(VALU_DEP_1)
	v_cmp_eq_u32_e64 s0, 0, v2
	v_cndmask_b32_e64 v28, v28, v1, s0
; %bb.91:                               ;   in Loop: Header=BB160_40 Depth=1
	s_or_b32 exec_lo, exec_lo, s10
	v_and_b32_e32 v45, 0xffff0000, v29
	v_lshlrev_b32_e32 v1, 16, v3
                                        ; implicit-def: $vgpr29
	s_delay_alu instid0(VALU_DEP_1) | instskip(NEXT) | instid1(VALU_DEP_1)
	v_mul_f32_e32 v1, v45, v1
	v_and_b32_e32 v2, 0x7f800000, v1
	s_delay_alu instid0(VALU_DEP_1) | instskip(NEXT) | instid1(VALU_DEP_1)
	v_cmp_ne_u32_e64 s0, 0x7f800000, v2
	s_and_saveexec_b32 s10, s0
	s_delay_alu instid0(SALU_CYCLE_1)
	s_xor_b32 s0, exec_lo, s10
; %bb.92:                               ;   in Loop: Header=BB160_40 Depth=1
	v_bfe_u32 v2, v1, 16, 1
	s_delay_alu instid0(VALU_DEP_1)
	v_add3_u32 v29, v1, v2, 0x7fff
                                        ; implicit-def: $vgpr1
; %bb.93:                               ;   in Loop: Header=BB160_40 Depth=1
	s_and_not1_saveexec_b32 s10, s0
; %bb.94:                               ;   in Loop: Header=BB160_40 Depth=1
	v_and_b32_e32 v2, 0xffff, v1
	v_or_b32_e32 v3, 0x10000, v1
	s_delay_alu instid0(VALU_DEP_2) | instskip(NEXT) | instid1(VALU_DEP_1)
	v_cmp_eq_u32_e64 s0, 0, v2
	v_cndmask_b32_e64 v29, v3, v1, s0
; %bb.95:                               ;   in Loop: Header=BB160_40 Depth=1
	s_or_b32 exec_lo, exec_lo, s10
	v_and_b32_e32 v46, 0xffff0000, v30
	v_lshlrev_b32_e32 v1, 16, v47
                                        ; implicit-def: $vgpr30
	s_delay_alu instid0(VALU_DEP_1) | instskip(NEXT) | instid1(VALU_DEP_1)
	v_mul_f32_e32 v1, v46, v1
	v_and_b32_e32 v2, 0x7f800000, v1
	s_delay_alu instid0(VALU_DEP_1) | instskip(NEXT) | instid1(VALU_DEP_1)
	v_cmp_ne_u32_e64 s0, 0x7f800000, v2
	s_and_saveexec_b32 s10, s0
	s_delay_alu instid0(SALU_CYCLE_1)
	s_xor_b32 s0, exec_lo, s10
; %bb.96:                               ;   in Loop: Header=BB160_40 Depth=1
	v_bfe_u32 v2, v1, 16, 1
	s_delay_alu instid0(VALU_DEP_1)
	v_add3_u32 v30, v1, v2, 0x7fff
                                        ; implicit-def: $vgpr1
; %bb.97:                               ;   in Loop: Header=BB160_40 Depth=1
	s_and_not1_saveexec_b32 s10, s0
; %bb.98:                               ;   in Loop: Header=BB160_40 Depth=1
	v_and_b32_e32 v2, 0xffff, v1
	v_or_b32_e32 v3, 0x10000, v1
	s_delay_alu instid0(VALU_DEP_2) | instskip(NEXT) | instid1(VALU_DEP_1)
	v_cmp_eq_u32_e64 s0, 0, v2
	v_cndmask_b32_e64 v30, v3, v1, s0
; %bb.99:                               ;   in Loop: Header=BB160_40 Depth=1
	s_or_b32 exec_lo, exec_lo, s10
	v_and_b32_e32 v47, 0xffff0000, v31
	v_lshlrev_b32_e32 v1, 16, v4
                                        ; implicit-def: $vgpr31
	s_delay_alu instid0(VALU_DEP_1) | instskip(NEXT) | instid1(VALU_DEP_1)
	v_mul_f32_e32 v1, v47, v1
	v_and_b32_e32 v2, 0x7f800000, v1
	s_delay_alu instid0(VALU_DEP_1) | instskip(NEXT) | instid1(VALU_DEP_1)
	v_cmp_ne_u32_e64 s0, 0x7f800000, v2
	s_and_saveexec_b32 s10, s0
	s_delay_alu instid0(SALU_CYCLE_1)
	s_xor_b32 s0, exec_lo, s10
; %bb.100:                              ;   in Loop: Header=BB160_40 Depth=1
	v_bfe_u32 v2, v1, 16, 1
	s_delay_alu instid0(VALU_DEP_1)
	v_add3_u32 v31, v1, v2, 0x7fff
                                        ; implicit-def: $vgpr1
; %bb.101:                              ;   in Loop: Header=BB160_40 Depth=1
	s_and_not1_saveexec_b32 s10, s0
; %bb.102:                              ;   in Loop: Header=BB160_40 Depth=1
	v_and_b32_e32 v2, 0xffff, v1
	v_or_b32_e32 v3, 0x10000, v1
	s_delay_alu instid0(VALU_DEP_2) | instskip(NEXT) | instid1(VALU_DEP_1)
	v_cmp_eq_u32_e64 s0, 0, v2
	v_cndmask_b32_e64 v31, v3, v1, s0
; %bb.103:                              ;   in Loop: Header=BB160_40 Depth=1
	s_or_b32 exec_lo, exec_lo, s10
	v_and_b32_e32 v48, 0xffff0000, v32
	v_lshlrev_b32_e32 v1, 16, v49
                                        ; implicit-def: $vgpr32
	s_delay_alu instid0(VALU_DEP_1) | instskip(NEXT) | instid1(VALU_DEP_1)
	v_mul_f32_e32 v1, v48, v1
	v_and_b32_e32 v2, 0x7f800000, v1
	s_delay_alu instid0(VALU_DEP_1) | instskip(NEXT) | instid1(VALU_DEP_1)
	v_cmp_ne_u32_e64 s0, 0x7f800000, v2
	s_and_saveexec_b32 s10, s0
	s_delay_alu instid0(SALU_CYCLE_1)
	s_xor_b32 s0, exec_lo, s10
; %bb.104:                              ;   in Loop: Header=BB160_40 Depth=1
	v_bfe_u32 v2, v1, 16, 1
	s_delay_alu instid0(VALU_DEP_1)
	v_add3_u32 v32, v1, v2, 0x7fff
                                        ; implicit-def: $vgpr1
; %bb.105:                              ;   in Loop: Header=BB160_40 Depth=1
	s_and_not1_saveexec_b32 s10, s0
; %bb.106:                              ;   in Loop: Header=BB160_40 Depth=1
	v_and_b32_e32 v2, 0xffff, v1
	v_or_b32_e32 v3, 0x10000, v1
	s_delay_alu instid0(VALU_DEP_2) | instskip(NEXT) | instid1(VALU_DEP_1)
	v_cmp_eq_u32_e64 s0, 0, v2
	v_cndmask_b32_e64 v32, v3, v1, s0
; %bb.107:                              ;   in Loop: Header=BB160_40 Depth=1
	s_or_b32 exec_lo, exec_lo, s10
	global_load_b128 v[1:4], v[5:6], off offset:512
	s_waitcnt vmcnt(0)
	v_lshrrev_b32_e32 v50, 16, v1
	v_lshrrev_b32_e32 v52, 16, v2
	;; [unrolled: 1-line block ×4, first 2 shown]
	s_and_saveexec_b32 s10, vcc_lo
	s_cbranch_execz .LBB160_109
; %bb.108:                              ;   in Loop: Header=BB160_40 Depth=1
	v_cmp_gt_i32_e64 s0, s33, v33
	s_delay_alu instid0(VALU_DEP_1) | instskip(SKIP_1) | instid1(VALU_DEP_1)
	v_cndmask_b32_e64 v1, 0, v1, s0
	v_cmp_gt_i32_e64 s0, s33, v40
	v_cndmask_b32_e64 v50, 0, v50, s0
	v_cmp_gt_i32_e64 s0, s33, v39
	s_delay_alu instid0(VALU_DEP_1) | instskip(SKIP_1) | instid1(VALU_DEP_1)
	v_cndmask_b32_e64 v2, 0, v2, s0
	v_cmp_gt_i32_e64 s0, s33, v37
	v_cndmask_b32_e64 v52, 0, v52, s0
	;; [unrolled: 5-line block ×4, first 2 shown]
.LBB160_109:                            ;   in Loop: Header=BB160_40 Depth=1
	s_or_b32 exec_lo, exec_lo, s10
	v_lshlrev_b32_e32 v1, 16, v1
	s_delay_alu instid0(VALU_DEP_1) | instskip(NEXT) | instid1(VALU_DEP_1)
	v_mul_f32_e32 v1, v41, v1
	v_and_b32_e32 v49, 0x7f800000, v1
	s_delay_alu instid0(VALU_DEP_1) | instskip(NEXT) | instid1(VALU_DEP_1)
	v_cmp_ne_u32_e64 s0, 0x7f800000, v49
                                        ; implicit-def: $vgpr49
	s_and_saveexec_b32 s10, s0
	s_delay_alu instid0(SALU_CYCLE_1)
	s_xor_b32 s0, exec_lo, s10
; %bb.110:                              ;   in Loop: Header=BB160_40 Depth=1
	v_bfe_u32 v49, v1, 16, 1
	s_delay_alu instid0(VALU_DEP_1)
	v_add3_u32 v49, v1, v49, 0x7fff
                                        ; implicit-def: $vgpr1
; %bb.111:                              ;   in Loop: Header=BB160_40 Depth=1
	s_and_not1_saveexec_b32 s10, s0
; %bb.112:                              ;   in Loop: Header=BB160_40 Depth=1
	v_and_b32_e32 v49, 0xffff, v1
	v_or_b32_e32 v51, 0x10000, v1
	s_delay_alu instid0(VALU_DEP_2) | instskip(NEXT) | instid1(VALU_DEP_1)
	v_cmp_eq_u32_e64 s0, 0, v49
	v_cndmask_b32_e64 v49, v51, v1, s0
; %bb.113:                              ;   in Loop: Header=BB160_40 Depth=1
	s_or_b32 exec_lo, exec_lo, s10
	v_lshlrev_b32_e32 v1, 16, v50
	s_delay_alu instid0(VALU_DEP_1) | instskip(NEXT) | instid1(VALU_DEP_1)
	v_mul_f32_e32 v1, v42, v1
	v_and_b32_e32 v50, 0x7f800000, v1
	s_delay_alu instid0(VALU_DEP_1) | instskip(NEXT) | instid1(VALU_DEP_1)
	v_cmp_ne_u32_e64 s0, 0x7f800000, v50
                                        ; implicit-def: $vgpr50
	s_and_saveexec_b32 s10, s0
	s_delay_alu instid0(SALU_CYCLE_1)
	s_xor_b32 s0, exec_lo, s10
; %bb.114:                              ;   in Loop: Header=BB160_40 Depth=1
	v_bfe_u32 v50, v1, 16, 1
	s_delay_alu instid0(VALU_DEP_1)
	v_add3_u32 v50, v1, v50, 0x7fff
                                        ; implicit-def: $vgpr1
; %bb.115:                              ;   in Loop: Header=BB160_40 Depth=1
	s_and_not1_saveexec_b32 s10, s0
; %bb.116:                              ;   in Loop: Header=BB160_40 Depth=1
	v_and_b32_e32 v50, 0xffff, v1
	v_or_b32_e32 v51, 0x10000, v1
	s_delay_alu instid0(VALU_DEP_2) | instskip(NEXT) | instid1(VALU_DEP_1)
	v_cmp_eq_u32_e64 s0, 0, v50
	v_cndmask_b32_e64 v50, v51, v1, s0
; %bb.117:                              ;   in Loop: Header=BB160_40 Depth=1
	s_or_b32 exec_lo, exec_lo, s10
	v_lshlrev_b32_e32 v1, 16, v2
                                        ; implicit-def: $vgpr51
	s_delay_alu instid0(VALU_DEP_1) | instskip(NEXT) | instid1(VALU_DEP_1)
	v_mul_f32_e32 v1, v43, v1
	v_and_b32_e32 v2, 0x7f800000, v1
	s_delay_alu instid0(VALU_DEP_1) | instskip(NEXT) | instid1(VALU_DEP_1)
	v_cmp_ne_u32_e64 s0, 0x7f800000, v2
	s_and_saveexec_b32 s10, s0
	s_delay_alu instid0(SALU_CYCLE_1)
	s_xor_b32 s0, exec_lo, s10
; %bb.118:                              ;   in Loop: Header=BB160_40 Depth=1
	v_bfe_u32 v2, v1, 16, 1
	s_delay_alu instid0(VALU_DEP_1)
	v_add3_u32 v51, v1, v2, 0x7fff
                                        ; implicit-def: $vgpr1
; %bb.119:                              ;   in Loop: Header=BB160_40 Depth=1
	s_and_not1_saveexec_b32 s10, s0
; %bb.120:                              ;   in Loop: Header=BB160_40 Depth=1
	v_and_b32_e32 v2, 0xffff, v1
	v_or_b32_e32 v51, 0x10000, v1
	s_delay_alu instid0(VALU_DEP_2) | instskip(NEXT) | instid1(VALU_DEP_1)
	v_cmp_eq_u32_e64 s0, 0, v2
	v_cndmask_b32_e64 v51, v51, v1, s0
; %bb.121:                              ;   in Loop: Header=BB160_40 Depth=1
	s_or_b32 exec_lo, exec_lo, s10
	v_lshlrev_b32_e32 v1, 16, v52
                                        ; implicit-def: $vgpr52
	s_delay_alu instid0(VALU_DEP_1) | instskip(NEXT) | instid1(VALU_DEP_1)
	v_mul_f32_e32 v1, v44, v1
	v_and_b32_e32 v2, 0x7f800000, v1
	s_delay_alu instid0(VALU_DEP_1) | instskip(NEXT) | instid1(VALU_DEP_1)
	v_cmp_ne_u32_e64 s0, 0x7f800000, v2
	s_and_saveexec_b32 s10, s0
	s_delay_alu instid0(SALU_CYCLE_1)
	s_xor_b32 s0, exec_lo, s10
; %bb.122:                              ;   in Loop: Header=BB160_40 Depth=1
	v_bfe_u32 v2, v1, 16, 1
	s_delay_alu instid0(VALU_DEP_1)
	v_add3_u32 v52, v1, v2, 0x7fff
                                        ; implicit-def: $vgpr1
; %bb.123:                              ;   in Loop: Header=BB160_40 Depth=1
	s_and_not1_saveexec_b32 s10, s0
; %bb.124:                              ;   in Loop: Header=BB160_40 Depth=1
	v_and_b32_e32 v2, 0xffff, v1
	v_or_b32_e32 v52, 0x10000, v1
	s_delay_alu instid0(VALU_DEP_2) | instskip(NEXT) | instid1(VALU_DEP_1)
	v_cmp_eq_u32_e64 s0, 0, v2
	v_cndmask_b32_e64 v52, v52, v1, s0
; %bb.125:                              ;   in Loop: Header=BB160_40 Depth=1
	s_or_b32 exec_lo, exec_lo, s10
	v_lshlrev_b32_e32 v1, 16, v3
                                        ; implicit-def: $vgpr53
	s_delay_alu instid0(VALU_DEP_1) | instskip(NEXT) | instid1(VALU_DEP_1)
	v_mul_f32_e32 v1, v45, v1
	v_and_b32_e32 v2, 0x7f800000, v1
	s_delay_alu instid0(VALU_DEP_1) | instskip(NEXT) | instid1(VALU_DEP_1)
	v_cmp_ne_u32_e64 s0, 0x7f800000, v2
	s_and_saveexec_b32 s10, s0
	s_delay_alu instid0(SALU_CYCLE_1)
	s_xor_b32 s0, exec_lo, s10
; %bb.126:                              ;   in Loop: Header=BB160_40 Depth=1
	v_bfe_u32 v2, v1, 16, 1
	s_delay_alu instid0(VALU_DEP_1)
	v_add3_u32 v53, v1, v2, 0x7fff
                                        ; implicit-def: $vgpr1
; %bb.127:                              ;   in Loop: Header=BB160_40 Depth=1
	s_and_not1_saveexec_b32 s10, s0
; %bb.128:                              ;   in Loop: Header=BB160_40 Depth=1
	v_and_b32_e32 v2, 0xffff, v1
	v_or_b32_e32 v3, 0x10000, v1
	s_delay_alu instid0(VALU_DEP_2) | instskip(NEXT) | instid1(VALU_DEP_1)
	v_cmp_eq_u32_e64 s0, 0, v2
	v_cndmask_b32_e64 v53, v3, v1, s0
; %bb.129:                              ;   in Loop: Header=BB160_40 Depth=1
	s_or_b32 exec_lo, exec_lo, s10
	v_lshlrev_b32_e32 v1, 16, v54
                                        ; implicit-def: $vgpr54
	s_delay_alu instid0(VALU_DEP_1) | instskip(NEXT) | instid1(VALU_DEP_1)
	v_mul_f32_e32 v1, v46, v1
	v_and_b32_e32 v2, 0x7f800000, v1
	s_delay_alu instid0(VALU_DEP_1) | instskip(NEXT) | instid1(VALU_DEP_1)
	v_cmp_ne_u32_e64 s0, 0x7f800000, v2
	s_and_saveexec_b32 s10, s0
	s_delay_alu instid0(SALU_CYCLE_1)
	s_xor_b32 s0, exec_lo, s10
; %bb.130:                              ;   in Loop: Header=BB160_40 Depth=1
	v_bfe_u32 v2, v1, 16, 1
	s_delay_alu instid0(VALU_DEP_1)
	v_add3_u32 v54, v1, v2, 0x7fff
                                        ; implicit-def: $vgpr1
; %bb.131:                              ;   in Loop: Header=BB160_40 Depth=1
	s_and_not1_saveexec_b32 s10, s0
; %bb.132:                              ;   in Loop: Header=BB160_40 Depth=1
	v_and_b32_e32 v2, 0xffff, v1
	v_or_b32_e32 v3, 0x10000, v1
	s_delay_alu instid0(VALU_DEP_2) | instskip(NEXT) | instid1(VALU_DEP_1)
	v_cmp_eq_u32_e64 s0, 0, v2
	v_cndmask_b32_e64 v54, v3, v1, s0
; %bb.133:                              ;   in Loop: Header=BB160_40 Depth=1
	s_or_b32 exec_lo, exec_lo, s10
	v_lshlrev_b32_e32 v1, 16, v4
                                        ; implicit-def: $vgpr55
	s_delay_alu instid0(VALU_DEP_1) | instskip(NEXT) | instid1(VALU_DEP_1)
	v_mul_f32_e32 v1, v47, v1
	v_and_b32_e32 v2, 0x7f800000, v1
	s_delay_alu instid0(VALU_DEP_1) | instskip(NEXT) | instid1(VALU_DEP_1)
	v_cmp_ne_u32_e64 s0, 0x7f800000, v2
	s_and_saveexec_b32 s10, s0
	s_delay_alu instid0(SALU_CYCLE_1)
	s_xor_b32 s0, exec_lo, s10
; %bb.134:                              ;   in Loop: Header=BB160_40 Depth=1
	v_bfe_u32 v2, v1, 16, 1
	s_delay_alu instid0(VALU_DEP_1)
	v_add3_u32 v55, v1, v2, 0x7fff
                                        ; implicit-def: $vgpr1
; %bb.135:                              ;   in Loop: Header=BB160_40 Depth=1
	s_and_not1_saveexec_b32 s10, s0
; %bb.136:                              ;   in Loop: Header=BB160_40 Depth=1
	v_and_b32_e32 v2, 0xffff, v1
	v_or_b32_e32 v3, 0x10000, v1
	s_delay_alu instid0(VALU_DEP_2) | instskip(NEXT) | instid1(VALU_DEP_1)
	v_cmp_eq_u32_e64 s0, 0, v2
	v_cndmask_b32_e64 v55, v3, v1, s0
; %bb.137:                              ;   in Loop: Header=BB160_40 Depth=1
	s_or_b32 exec_lo, exec_lo, s10
	v_lshlrev_b32_e32 v1, 16, v56
                                        ; implicit-def: $vgpr56
	s_delay_alu instid0(VALU_DEP_1) | instskip(NEXT) | instid1(VALU_DEP_1)
	v_mul_f32_e32 v1, v48, v1
	v_and_b32_e32 v2, 0x7f800000, v1
	s_delay_alu instid0(VALU_DEP_1) | instskip(NEXT) | instid1(VALU_DEP_1)
	v_cmp_ne_u32_e64 s0, 0x7f800000, v2
	s_and_saveexec_b32 s10, s0
	s_delay_alu instid0(SALU_CYCLE_1)
	s_xor_b32 s0, exec_lo, s10
; %bb.138:                              ;   in Loop: Header=BB160_40 Depth=1
	v_bfe_u32 v2, v1, 16, 1
	s_delay_alu instid0(VALU_DEP_1)
	v_add3_u32 v56, v1, v2, 0x7fff
                                        ; implicit-def: $vgpr1
; %bb.139:                              ;   in Loop: Header=BB160_40 Depth=1
	s_and_not1_saveexec_b32 s10, s0
; %bb.140:                              ;   in Loop: Header=BB160_40 Depth=1
	v_and_b32_e32 v2, 0xffff, v1
	v_or_b32_e32 v3, 0x10000, v1
	s_delay_alu instid0(VALU_DEP_2) | instskip(NEXT) | instid1(VALU_DEP_1)
	v_cmp_eq_u32_e64 s0, 0, v2
	v_cndmask_b32_e64 v56, v3, v1, s0
; %bb.141:                              ;   in Loop: Header=BB160_40 Depth=1
	s_or_b32 exec_lo, exec_lo, s10
	global_load_b128 v[1:4], v[5:6], off offset:1024
	s_waitcnt vmcnt(0)
	v_lshrrev_b32_e32 v58, 16, v1
	v_lshrrev_b32_e32 v60, 16, v2
	;; [unrolled: 1-line block ×4, first 2 shown]
	s_and_saveexec_b32 s10, vcc_lo
	s_cbranch_execz .LBB160_143
; %bb.142:                              ;   in Loop: Header=BB160_40 Depth=1
	v_cmp_gt_i32_e64 s0, s33, v33
	s_delay_alu instid0(VALU_DEP_1) | instskip(SKIP_1) | instid1(VALU_DEP_1)
	v_cndmask_b32_e64 v1, 0, v1, s0
	v_cmp_gt_i32_e64 s0, s33, v40
	v_cndmask_b32_e64 v58, 0, v58, s0
	v_cmp_gt_i32_e64 s0, s33, v39
	s_delay_alu instid0(VALU_DEP_1) | instskip(SKIP_1) | instid1(VALU_DEP_1)
	v_cndmask_b32_e64 v2, 0, v2, s0
	v_cmp_gt_i32_e64 s0, s33, v37
	v_cndmask_b32_e64 v60, 0, v60, s0
	;; [unrolled: 5-line block ×4, first 2 shown]
.LBB160_143:                            ;   in Loop: Header=BB160_40 Depth=1
	s_or_b32 exec_lo, exec_lo, s10
	v_lshlrev_b32_e32 v1, 16, v1
	s_delay_alu instid0(VALU_DEP_1) | instskip(NEXT) | instid1(VALU_DEP_1)
	v_mul_f32_e32 v1, v41, v1
	v_and_b32_e32 v57, 0x7f800000, v1
	s_delay_alu instid0(VALU_DEP_1) | instskip(NEXT) | instid1(VALU_DEP_1)
	v_cmp_ne_u32_e64 s0, 0x7f800000, v57
                                        ; implicit-def: $vgpr57
	s_and_saveexec_b32 s10, s0
	s_delay_alu instid0(SALU_CYCLE_1)
	s_xor_b32 s0, exec_lo, s10
; %bb.144:                              ;   in Loop: Header=BB160_40 Depth=1
	v_bfe_u32 v57, v1, 16, 1
	s_delay_alu instid0(VALU_DEP_1)
	v_add3_u32 v57, v1, v57, 0x7fff
                                        ; implicit-def: $vgpr1
; %bb.145:                              ;   in Loop: Header=BB160_40 Depth=1
	s_and_not1_saveexec_b32 s10, s0
; %bb.146:                              ;   in Loop: Header=BB160_40 Depth=1
	v_and_b32_e32 v57, 0xffff, v1
	v_or_b32_e32 v59, 0x10000, v1
	s_delay_alu instid0(VALU_DEP_2) | instskip(NEXT) | instid1(VALU_DEP_1)
	v_cmp_eq_u32_e64 s0, 0, v57
	v_cndmask_b32_e64 v57, v59, v1, s0
; %bb.147:                              ;   in Loop: Header=BB160_40 Depth=1
	s_or_b32 exec_lo, exec_lo, s10
	v_lshlrev_b32_e32 v1, 16, v58
	s_delay_alu instid0(VALU_DEP_1) | instskip(NEXT) | instid1(VALU_DEP_1)
	v_mul_f32_e32 v1, v42, v1
	v_and_b32_e32 v58, 0x7f800000, v1
	s_delay_alu instid0(VALU_DEP_1) | instskip(NEXT) | instid1(VALU_DEP_1)
	v_cmp_ne_u32_e64 s0, 0x7f800000, v58
                                        ; implicit-def: $vgpr58
	s_and_saveexec_b32 s10, s0
	s_delay_alu instid0(SALU_CYCLE_1)
	s_xor_b32 s0, exec_lo, s10
; %bb.148:                              ;   in Loop: Header=BB160_40 Depth=1
	v_bfe_u32 v58, v1, 16, 1
	s_delay_alu instid0(VALU_DEP_1)
	v_add3_u32 v58, v1, v58, 0x7fff
                                        ; implicit-def: $vgpr1
; %bb.149:                              ;   in Loop: Header=BB160_40 Depth=1
	s_and_not1_saveexec_b32 s10, s0
; %bb.150:                              ;   in Loop: Header=BB160_40 Depth=1
	v_and_b32_e32 v58, 0xffff, v1
	v_or_b32_e32 v59, 0x10000, v1
	s_delay_alu instid0(VALU_DEP_2) | instskip(NEXT) | instid1(VALU_DEP_1)
	v_cmp_eq_u32_e64 s0, 0, v58
	v_cndmask_b32_e64 v58, v59, v1, s0
; %bb.151:                              ;   in Loop: Header=BB160_40 Depth=1
	s_or_b32 exec_lo, exec_lo, s10
	v_lshlrev_b32_e32 v1, 16, v2
                                        ; implicit-def: $vgpr59
	s_delay_alu instid0(VALU_DEP_1) | instskip(NEXT) | instid1(VALU_DEP_1)
	v_mul_f32_e32 v1, v43, v1
	v_and_b32_e32 v2, 0x7f800000, v1
	s_delay_alu instid0(VALU_DEP_1) | instskip(NEXT) | instid1(VALU_DEP_1)
	v_cmp_ne_u32_e64 s0, 0x7f800000, v2
	s_and_saveexec_b32 s10, s0
	s_delay_alu instid0(SALU_CYCLE_1)
	s_xor_b32 s0, exec_lo, s10
; %bb.152:                              ;   in Loop: Header=BB160_40 Depth=1
	v_bfe_u32 v2, v1, 16, 1
	s_delay_alu instid0(VALU_DEP_1)
	v_add3_u32 v59, v1, v2, 0x7fff
                                        ; implicit-def: $vgpr1
; %bb.153:                              ;   in Loop: Header=BB160_40 Depth=1
	s_and_not1_saveexec_b32 s10, s0
; %bb.154:                              ;   in Loop: Header=BB160_40 Depth=1
	v_and_b32_e32 v2, 0xffff, v1
	v_or_b32_e32 v59, 0x10000, v1
	s_delay_alu instid0(VALU_DEP_2) | instskip(NEXT) | instid1(VALU_DEP_1)
	v_cmp_eq_u32_e64 s0, 0, v2
	v_cndmask_b32_e64 v59, v59, v1, s0
; %bb.155:                              ;   in Loop: Header=BB160_40 Depth=1
	s_or_b32 exec_lo, exec_lo, s10
	v_lshlrev_b32_e32 v1, 16, v60
                                        ; implicit-def: $vgpr60
	s_delay_alu instid0(VALU_DEP_1) | instskip(NEXT) | instid1(VALU_DEP_1)
	v_mul_f32_e32 v1, v44, v1
	v_and_b32_e32 v2, 0x7f800000, v1
	s_delay_alu instid0(VALU_DEP_1) | instskip(NEXT) | instid1(VALU_DEP_1)
	v_cmp_ne_u32_e64 s0, 0x7f800000, v2
	s_and_saveexec_b32 s10, s0
	s_delay_alu instid0(SALU_CYCLE_1)
	s_xor_b32 s0, exec_lo, s10
; %bb.156:                              ;   in Loop: Header=BB160_40 Depth=1
	v_bfe_u32 v2, v1, 16, 1
	s_delay_alu instid0(VALU_DEP_1)
	v_add3_u32 v60, v1, v2, 0x7fff
                                        ; implicit-def: $vgpr1
; %bb.157:                              ;   in Loop: Header=BB160_40 Depth=1
	s_and_not1_saveexec_b32 s10, s0
; %bb.158:                              ;   in Loop: Header=BB160_40 Depth=1
	v_and_b32_e32 v2, 0xffff, v1
	v_or_b32_e32 v60, 0x10000, v1
	s_delay_alu instid0(VALU_DEP_2) | instskip(NEXT) | instid1(VALU_DEP_1)
	v_cmp_eq_u32_e64 s0, 0, v2
	v_cndmask_b32_e64 v60, v60, v1, s0
; %bb.159:                              ;   in Loop: Header=BB160_40 Depth=1
	s_or_b32 exec_lo, exec_lo, s10
	v_lshlrev_b32_e32 v1, 16, v3
                                        ; implicit-def: $vgpr61
	s_delay_alu instid0(VALU_DEP_1) | instskip(NEXT) | instid1(VALU_DEP_1)
	v_mul_f32_e32 v1, v45, v1
	v_and_b32_e32 v2, 0x7f800000, v1
	s_delay_alu instid0(VALU_DEP_1) | instskip(NEXT) | instid1(VALU_DEP_1)
	v_cmp_ne_u32_e64 s0, 0x7f800000, v2
	s_and_saveexec_b32 s10, s0
	s_delay_alu instid0(SALU_CYCLE_1)
	s_xor_b32 s0, exec_lo, s10
; %bb.160:                              ;   in Loop: Header=BB160_40 Depth=1
	v_bfe_u32 v2, v1, 16, 1
	s_delay_alu instid0(VALU_DEP_1)
	v_add3_u32 v61, v1, v2, 0x7fff
                                        ; implicit-def: $vgpr1
; %bb.161:                              ;   in Loop: Header=BB160_40 Depth=1
	s_and_not1_saveexec_b32 s10, s0
; %bb.162:                              ;   in Loop: Header=BB160_40 Depth=1
	v_and_b32_e32 v2, 0xffff, v1
	v_or_b32_e32 v3, 0x10000, v1
	s_delay_alu instid0(VALU_DEP_2) | instskip(NEXT) | instid1(VALU_DEP_1)
	v_cmp_eq_u32_e64 s0, 0, v2
	v_cndmask_b32_e64 v61, v3, v1, s0
; %bb.163:                              ;   in Loop: Header=BB160_40 Depth=1
	s_or_b32 exec_lo, exec_lo, s10
	v_lshlrev_b32_e32 v1, 16, v62
                                        ; implicit-def: $vgpr62
	s_delay_alu instid0(VALU_DEP_1) | instskip(NEXT) | instid1(VALU_DEP_1)
	v_mul_f32_e32 v1, v46, v1
	v_and_b32_e32 v2, 0x7f800000, v1
	s_delay_alu instid0(VALU_DEP_1) | instskip(NEXT) | instid1(VALU_DEP_1)
	v_cmp_ne_u32_e64 s0, 0x7f800000, v2
	s_and_saveexec_b32 s10, s0
	s_delay_alu instid0(SALU_CYCLE_1)
	s_xor_b32 s0, exec_lo, s10
; %bb.164:                              ;   in Loop: Header=BB160_40 Depth=1
	v_bfe_u32 v2, v1, 16, 1
	s_delay_alu instid0(VALU_DEP_1)
	v_add3_u32 v62, v1, v2, 0x7fff
                                        ; implicit-def: $vgpr1
; %bb.165:                              ;   in Loop: Header=BB160_40 Depth=1
	s_and_not1_saveexec_b32 s10, s0
; %bb.166:                              ;   in Loop: Header=BB160_40 Depth=1
	v_and_b32_e32 v2, 0xffff, v1
	v_or_b32_e32 v3, 0x10000, v1
	s_delay_alu instid0(VALU_DEP_2) | instskip(NEXT) | instid1(VALU_DEP_1)
	v_cmp_eq_u32_e64 s0, 0, v2
	v_cndmask_b32_e64 v62, v3, v1, s0
; %bb.167:                              ;   in Loop: Header=BB160_40 Depth=1
	s_or_b32 exec_lo, exec_lo, s10
	v_lshlrev_b32_e32 v1, 16, v4
                                        ; implicit-def: $vgpr63
	s_delay_alu instid0(VALU_DEP_1) | instskip(NEXT) | instid1(VALU_DEP_1)
	v_mul_f32_e32 v1, v47, v1
	v_and_b32_e32 v2, 0x7f800000, v1
	s_delay_alu instid0(VALU_DEP_1) | instskip(NEXT) | instid1(VALU_DEP_1)
	v_cmp_ne_u32_e64 s0, 0x7f800000, v2
	s_and_saveexec_b32 s10, s0
	s_delay_alu instid0(SALU_CYCLE_1)
	s_xor_b32 s0, exec_lo, s10
; %bb.168:                              ;   in Loop: Header=BB160_40 Depth=1
	v_bfe_u32 v2, v1, 16, 1
	s_delay_alu instid0(VALU_DEP_1)
	v_add3_u32 v63, v1, v2, 0x7fff
                                        ; implicit-def: $vgpr1
; %bb.169:                              ;   in Loop: Header=BB160_40 Depth=1
	s_and_not1_saveexec_b32 s10, s0
; %bb.170:                              ;   in Loop: Header=BB160_40 Depth=1
	v_and_b32_e32 v2, 0xffff, v1
	v_or_b32_e32 v3, 0x10000, v1
	s_delay_alu instid0(VALU_DEP_2) | instskip(NEXT) | instid1(VALU_DEP_1)
	v_cmp_eq_u32_e64 s0, 0, v2
	v_cndmask_b32_e64 v63, v3, v1, s0
; %bb.171:                              ;   in Loop: Header=BB160_40 Depth=1
	s_or_b32 exec_lo, exec_lo, s10
	v_lshlrev_b32_e32 v1, 16, v64
                                        ; implicit-def: $vgpr64
	s_delay_alu instid0(VALU_DEP_1) | instskip(NEXT) | instid1(VALU_DEP_1)
	v_mul_f32_e32 v1, v48, v1
	v_and_b32_e32 v2, 0x7f800000, v1
	s_delay_alu instid0(VALU_DEP_1) | instskip(NEXT) | instid1(VALU_DEP_1)
	v_cmp_ne_u32_e64 s0, 0x7f800000, v2
	s_and_saveexec_b32 s10, s0
	s_delay_alu instid0(SALU_CYCLE_1)
	s_xor_b32 s0, exec_lo, s10
; %bb.172:                              ;   in Loop: Header=BB160_40 Depth=1
	v_bfe_u32 v2, v1, 16, 1
	s_delay_alu instid0(VALU_DEP_1)
	v_add3_u32 v64, v1, v2, 0x7fff
                                        ; implicit-def: $vgpr1
; %bb.173:                              ;   in Loop: Header=BB160_40 Depth=1
	s_and_not1_saveexec_b32 s10, s0
; %bb.174:                              ;   in Loop: Header=BB160_40 Depth=1
	v_and_b32_e32 v2, 0xffff, v1
	v_or_b32_e32 v3, 0x10000, v1
	s_delay_alu instid0(VALU_DEP_2) | instskip(NEXT) | instid1(VALU_DEP_1)
	v_cmp_eq_u32_e64 s0, 0, v2
	v_cndmask_b32_e64 v64, v3, v1, s0
; %bb.175:                              ;   in Loop: Header=BB160_40 Depth=1
	s_or_b32 exec_lo, exec_lo, s10
	global_load_b128 v[1:4], v[5:6], off offset:1536
	s_waitcnt vmcnt(0)
	v_lshrrev_b32_e32 v5, 16, v1
	v_lshrrev_b32_e32 v66, 16, v2
	;; [unrolled: 1-line block ×4, first 2 shown]
	s_and_saveexec_b32 s0, vcc_lo
	s_cbranch_execz .LBB160_177
; %bb.176:                              ;   in Loop: Header=BB160_40 Depth=1
	v_cmp_gt_i32_e32 vcc_lo, s33, v33
	v_cndmask_b32_e32 v1, 0, v1, vcc_lo
	v_cmp_gt_i32_e32 vcc_lo, s33, v40
	v_cndmask_b32_e32 v5, 0, v5, vcc_lo
	;; [unrolled: 2-line block ×8, first 2 shown]
.LBB160_177:                            ;   in Loop: Header=BB160_40 Depth=1
	s_or_b32 exec_lo, exec_lo, s0
	v_lshlrev_b32_e32 v1, 16, v1
	s_delay_alu instid0(VALU_DEP_1) | instskip(NEXT) | instid1(VALU_DEP_1)
	v_mul_f32_e32 v33, v41, v1
	v_and_b32_e32 v1, 0x7f800000, v33
	s_delay_alu instid0(VALU_DEP_1) | instskip(SKIP_1) | instid1(SALU_CYCLE_1)
	v_cmp_ne_u32_e32 vcc_lo, 0x7f800000, v1
                                        ; implicit-def: $vgpr1
	s_and_saveexec_b32 s0, vcc_lo
	s_xor_b32 s0, exec_lo, s0
; %bb.178:                              ;   in Loop: Header=BB160_40 Depth=1
	v_bfe_u32 v1, v33, 16, 1
	s_delay_alu instid0(VALU_DEP_1)
	v_add3_u32 v1, v33, v1, 0x7fff
                                        ; implicit-def: $vgpr33
; %bb.179:                              ;   in Loop: Header=BB160_40 Depth=1
	s_and_not1_saveexec_b32 s0, s0
; %bb.180:                              ;   in Loop: Header=BB160_40 Depth=1
	v_and_b32_e32 v1, 0xffff, v33
	v_or_b32_e32 v34, 0x10000, v33
	s_delay_alu instid0(VALU_DEP_2) | instskip(NEXT) | instid1(VALU_DEP_2)
	v_cmp_eq_u32_e32 vcc_lo, 0, v1
	v_cndmask_b32_e32 v1, v34, v33, vcc_lo
; %bb.181:                              ;   in Loop: Header=BB160_40 Depth=1
	s_or_b32 exec_lo, exec_lo, s0
	v_lshlrev_b32_e32 v5, 16, v5
	s_delay_alu instid0(VALU_DEP_1) | instskip(NEXT) | instid1(VALU_DEP_1)
	v_mul_f32_e32 v33, v42, v5
	v_and_b32_e32 v5, 0x7f800000, v33
	s_delay_alu instid0(VALU_DEP_1) | instskip(SKIP_1) | instid1(SALU_CYCLE_1)
	v_cmp_ne_u32_e32 vcc_lo, 0x7f800000, v5
                                        ; implicit-def: $vgpr5
	s_and_saveexec_b32 s0, vcc_lo
	s_xor_b32 s0, exec_lo, s0
; %bb.182:                              ;   in Loop: Header=BB160_40 Depth=1
	v_bfe_u32 v5, v33, 16, 1
	s_delay_alu instid0(VALU_DEP_1)
	v_add3_u32 v5, v33, v5, 0x7fff
                                        ; implicit-def: $vgpr33
; %bb.183:                              ;   in Loop: Header=BB160_40 Depth=1
	s_and_not1_saveexec_b32 s0, s0
; %bb.184:                              ;   in Loop: Header=BB160_40 Depth=1
	v_and_b32_e32 v5, 0xffff, v33
	v_or_b32_e32 v34, 0x10000, v33
	s_delay_alu instid0(VALU_DEP_2) | instskip(NEXT) | instid1(VALU_DEP_2)
	v_cmp_eq_u32_e32 vcc_lo, 0, v5
	v_cndmask_b32_e32 v5, v34, v33, vcc_lo
; %bb.185:                              ;   in Loop: Header=BB160_40 Depth=1
	s_or_b32 exec_lo, exec_lo, s0
	v_lshlrev_b32_e32 v2, 16, v2
	s_delay_alu instid0(VALU_DEP_1) | instskip(NEXT) | instid1(VALU_DEP_1)
	v_mul_f32_e32 v33, v43, v2
	v_and_b32_e32 v2, 0x7f800000, v33
	s_delay_alu instid0(VALU_DEP_1) | instskip(SKIP_1) | instid1(SALU_CYCLE_1)
	v_cmp_ne_u32_e32 vcc_lo, 0x7f800000, v2
                                        ; implicit-def: $vgpr2
	s_and_saveexec_b32 s0, vcc_lo
	s_xor_b32 s0, exec_lo, s0
; %bb.186:                              ;   in Loop: Header=BB160_40 Depth=1
	v_bfe_u32 v2, v33, 16, 1
	s_delay_alu instid0(VALU_DEP_1)
	v_add3_u32 v2, v33, v2, 0x7fff
                                        ; implicit-def: $vgpr33
; %bb.187:                              ;   in Loop: Header=BB160_40 Depth=1
	s_and_not1_saveexec_b32 s0, s0
; %bb.188:                              ;   in Loop: Header=BB160_40 Depth=1
	v_and_b32_e32 v2, 0xffff, v33
	v_or_b32_e32 v34, 0x10000, v33
	s_delay_alu instid0(VALU_DEP_2) | instskip(NEXT) | instid1(VALU_DEP_2)
	v_cmp_eq_u32_e32 vcc_lo, 0, v2
	v_cndmask_b32_e32 v2, v34, v33, vcc_lo
; %bb.189:                              ;   in Loop: Header=BB160_40 Depth=1
	s_or_b32 exec_lo, exec_lo, s0
	v_lshlrev_b32_e32 v33, 16, v66
	s_delay_alu instid0(VALU_DEP_1) | instskip(NEXT) | instid1(VALU_DEP_1)
	v_mul_f32_e32 v34, v44, v33
	v_and_b32_e32 v33, 0x7f800000, v34
	s_delay_alu instid0(VALU_DEP_1) | instskip(SKIP_1) | instid1(SALU_CYCLE_1)
	v_cmp_ne_u32_e32 vcc_lo, 0x7f800000, v33
                                        ; implicit-def: $vgpr33
	s_and_saveexec_b32 s0, vcc_lo
	s_xor_b32 s0, exec_lo, s0
; %bb.190:                              ;   in Loop: Header=BB160_40 Depth=1
	v_bfe_u32 v33, v34, 16, 1
	s_delay_alu instid0(VALU_DEP_1)
	v_add3_u32 v33, v34, v33, 0x7fff
                                        ; implicit-def: $vgpr34
; %bb.191:                              ;   in Loop: Header=BB160_40 Depth=1
	s_and_not1_saveexec_b32 s0, s0
; %bb.192:                              ;   in Loop: Header=BB160_40 Depth=1
	v_and_b32_e32 v33, 0xffff, v34
	v_or_b32_e32 v35, 0x10000, v34
	s_delay_alu instid0(VALU_DEP_2) | instskip(NEXT) | instid1(VALU_DEP_2)
	v_cmp_eq_u32_e32 vcc_lo, 0, v33
	v_cndmask_b32_e32 v33, v35, v34, vcc_lo
; %bb.193:                              ;   in Loop: Header=BB160_40 Depth=1
	s_or_b32 exec_lo, exec_lo, s0
	v_lshlrev_b32_e32 v3, 16, v3
	s_delay_alu instid0(VALU_DEP_1) | instskip(NEXT) | instid1(VALU_DEP_1)
	v_mul_f32_e32 v34, v45, v3
	v_and_b32_e32 v3, 0x7f800000, v34
	s_delay_alu instid0(VALU_DEP_1) | instskip(SKIP_1) | instid1(SALU_CYCLE_1)
	v_cmp_ne_u32_e32 vcc_lo, 0x7f800000, v3
                                        ; implicit-def: $vgpr3
	s_and_saveexec_b32 s0, vcc_lo
	s_xor_b32 s0, exec_lo, s0
; %bb.194:                              ;   in Loop: Header=BB160_40 Depth=1
	v_bfe_u32 v3, v34, 16, 1
	s_delay_alu instid0(VALU_DEP_1)
	v_add3_u32 v3, v34, v3, 0x7fff
                                        ; implicit-def: $vgpr34
; %bb.195:                              ;   in Loop: Header=BB160_40 Depth=1
	s_and_not1_saveexec_b32 s0, s0
; %bb.196:                              ;   in Loop: Header=BB160_40 Depth=1
	v_and_b32_e32 v3, 0xffff, v34
	v_or_b32_e32 v35, 0x10000, v34
	s_delay_alu instid0(VALU_DEP_2) | instskip(NEXT) | instid1(VALU_DEP_2)
	v_cmp_eq_u32_e32 vcc_lo, 0, v3
	v_cndmask_b32_e32 v3, v35, v34, vcc_lo
; %bb.197:                              ;   in Loop: Header=BB160_40 Depth=1
	s_or_b32 exec_lo, exec_lo, s0
	v_lshlrev_b32_e32 v34, 16, v65
	s_delay_alu instid0(VALU_DEP_1) | instskip(NEXT) | instid1(VALU_DEP_1)
	v_mul_f32_e32 v35, v46, v34
	v_and_b32_e32 v34, 0x7f800000, v35
	s_delay_alu instid0(VALU_DEP_1) | instskip(SKIP_1) | instid1(SALU_CYCLE_1)
	v_cmp_ne_u32_e32 vcc_lo, 0x7f800000, v34
                                        ; implicit-def: $vgpr34
	s_and_saveexec_b32 s0, vcc_lo
	s_xor_b32 s0, exec_lo, s0
; %bb.198:                              ;   in Loop: Header=BB160_40 Depth=1
	v_bfe_u32 v34, v35, 16, 1
	s_delay_alu instid0(VALU_DEP_1)
	v_add3_u32 v34, v35, v34, 0x7fff
                                        ; implicit-def: $vgpr35
; %bb.199:                              ;   in Loop: Header=BB160_40 Depth=1
	s_and_not1_saveexec_b32 s0, s0
; %bb.200:                              ;   in Loop: Header=BB160_40 Depth=1
	v_and_b32_e32 v34, 0xffff, v35
	v_or_b32_e32 v36, 0x10000, v35
	s_delay_alu instid0(VALU_DEP_2) | instskip(NEXT) | instid1(VALU_DEP_2)
	v_cmp_eq_u32_e32 vcc_lo, 0, v34
	v_cndmask_b32_e32 v34, v36, v35, vcc_lo
; %bb.201:                              ;   in Loop: Header=BB160_40 Depth=1
	s_or_b32 exec_lo, exec_lo, s0
	v_lshlrev_b32_e32 v4, 16, v4
	s_delay_alu instid0(VALU_DEP_1) | instskip(NEXT) | instid1(VALU_DEP_1)
	v_mul_f32_e32 v35, v47, v4
	v_and_b32_e32 v4, 0x7f800000, v35
	s_delay_alu instid0(VALU_DEP_1) | instskip(SKIP_1) | instid1(SALU_CYCLE_1)
	v_cmp_ne_u32_e32 vcc_lo, 0x7f800000, v4
                                        ; implicit-def: $vgpr4
	s_and_saveexec_b32 s0, vcc_lo
	s_xor_b32 s0, exec_lo, s0
; %bb.202:                              ;   in Loop: Header=BB160_40 Depth=1
	v_bfe_u32 v4, v35, 16, 1
	s_delay_alu instid0(VALU_DEP_1)
	v_add3_u32 v4, v35, v4, 0x7fff
                                        ; implicit-def: $vgpr35
; %bb.203:                              ;   in Loop: Header=BB160_40 Depth=1
	s_and_not1_saveexec_b32 s0, s0
; %bb.204:                              ;   in Loop: Header=BB160_40 Depth=1
	v_and_b32_e32 v4, 0xffff, v35
	v_or_b32_e32 v36, 0x10000, v35
	s_delay_alu instid0(VALU_DEP_2) | instskip(NEXT) | instid1(VALU_DEP_2)
	v_cmp_eq_u32_e32 vcc_lo, 0, v4
	v_cndmask_b32_e32 v4, v36, v35, vcc_lo
; %bb.205:                              ;   in Loop: Header=BB160_40 Depth=1
	s_or_b32 exec_lo, exec_lo, s0
	v_lshlrev_b32_e32 v6, 16, v6
	s_delay_alu instid0(VALU_DEP_1) | instskip(NEXT) | instid1(VALU_DEP_1)
	v_mul_f32_e32 v35, v48, v6
	v_and_b32_e32 v6, 0x7f800000, v35
	s_delay_alu instid0(VALU_DEP_1) | instskip(SKIP_1) | instid1(SALU_CYCLE_1)
	v_cmp_ne_u32_e32 vcc_lo, 0x7f800000, v6
                                        ; implicit-def: $vgpr6
	s_and_saveexec_b32 s0, vcc_lo
	s_xor_b32 s0, exec_lo, s0
; %bb.206:                              ;   in Loop: Header=BB160_40 Depth=1
	v_bfe_u32 v6, v35, 16, 1
	s_delay_alu instid0(VALU_DEP_1)
	v_add3_u32 v6, v35, v6, 0x7fff
                                        ; implicit-def: $vgpr35
; %bb.207:                              ;   in Loop: Header=BB160_40 Depth=1
	s_and_not1_saveexec_b32 s0, s0
	s_cbranch_execz .LBB160_38
; %bb.208:                              ;   in Loop: Header=BB160_40 Depth=1
	v_and_b32_e32 v6, 0xffff, v35
	v_or_b32_e32 v36, 0x10000, v35
	s_delay_alu instid0(VALU_DEP_2) | instskip(NEXT) | instid1(VALU_DEP_2)
	v_cmp_eq_u32_e32 vcc_lo, 0, v6
	v_cndmask_b32_e32 v6, v36, v35, vcc_lo
	s_branch .LBB160_38
.LBB160_209:
	s_or_b32 exec_lo, exec_lo, s3
.LBB160_210:
	s_delay_alu instid0(SALU_CYCLE_1)
	s_or_b32 exec_lo, exec_lo, s1
	ds_bpermute_b32 v1, v17, v18
	ds_bpermute_b32 v2, v17, v19
	;; [unrolled: 1-line block ×4, first 2 shown]
	v_lshrrev_b32_e32 v5, 1, v16
	v_lshl_add_u32 v6, v14, 8, 0xa0
	v_and_b32_e32 v8, 0x3c1, v0
	s_mov_b32 s0, exec_lo
	s_waitcnt lgkmcnt(0)
	s_waitcnt_vscnt null, 0x0
	s_barrier
	buffer_gl0_inv
	v_add_f32_e32 v4, v18, v1
	v_dual_add_f32 v2, v19, v2 :: v_dual_add_f32 v1, v20, v3
	v_add_f32_e32 v3, v22, v7
	v_cmpx_eq_u32_e32 64, v8
	s_cbranch_execz .LBB160_212
; %bb.211:
	v_lshlrev_b32_e32 v7, 2, v5
	s_delay_alu instid0(VALU_DEP_1)
	v_add3_u32 v7, v6, v7, 0xfffffe00
	ds_store_2addr_b32 v7, v4, v2 offset1:16
	ds_store_2addr_b32 v7, v1, v3 offset0:32 offset1:48
.LBB160_212:
	s_or_b32 exec_lo, exec_lo, s0
	v_cmp_eq_u32_e32 vcc_lo, 0, v13
	s_mov_b32 s1, exec_lo
	s_waitcnt lgkmcnt(0)
	s_barrier
	buffer_gl0_inv
	v_cmpx_gt_u32_e32 64, v0
	s_cbranch_execz .LBB160_219
; %bb.213:
	s_and_saveexec_b32 s0, vcc_lo
	s_cbranch_execnz .LBB160_248
; %bb.214:
	s_or_b32 exec_lo, exec_lo, s0
	s_and_saveexec_b32 s0, vcc_lo
	s_cbranch_execnz .LBB160_249
.LBB160_215:
	s_or_b32 exec_lo, exec_lo, s0
	s_and_saveexec_b32 s0, vcc_lo
	s_cbranch_execnz .LBB160_250
.LBB160_216:
	s_or_b32 exec_lo, exec_lo, s0
	s_and_saveexec_b32 s0, vcc_lo
	s_cbranch_execz .LBB160_218
.LBB160_217:
	v_lshl_add_u32 v7, v5, 2, v6
	ds_load_b32 v7, v7 offset:192
	s_waitcnt lgkmcnt(0)
	v_add_f32_e32 v3, v3, v7
.LBB160_218:
	s_or_b32 exec_lo, exec_lo, s0
.LBB160_219:
	s_delay_alu instid0(SALU_CYCLE_1)
	s_or_b32 exec_lo, exec_lo, s1
	v_and_b32_e32 v7, 0x3e1, v0
	s_mov_b32 s1, exec_lo
	s_barrier
	buffer_gl0_inv
	v_cmpx_eq_u32_e32 32, v7
	s_cbranch_execz .LBB160_221
; %bb.220:
	v_lshl_add_u32 v7, v5, 2, 0xa0
	ds_store_2addr_b32 v7, v4, v2 offset1:16
	ds_store_2addr_b32 v7, v1, v3 offset0:32 offset1:48
.LBB160_221:
	s_or_b32 exec_lo, exec_lo, s1
	v_cmp_gt_u32_e64 s0, 32, v0
	s_waitcnt lgkmcnt(0)
	s_barrier
	buffer_gl0_inv
	s_and_saveexec_b32 s1, s0
	s_cbranch_execz .LBB160_228
; %bb.222:
	v_lshl_add_u32 v0, v5, 2, v6
	s_and_saveexec_b32 s2, vcc_lo
	s_cbranch_execnz .LBB160_251
; %bb.223:
	s_or_b32 exec_lo, exec_lo, s2
	s_and_saveexec_b32 s2, vcc_lo
	s_cbranch_execnz .LBB160_252
.LBB160_224:
	s_or_b32 exec_lo, exec_lo, s2
	s_and_saveexec_b32 s2, vcc_lo
	s_cbranch_execnz .LBB160_253
.LBB160_225:
	s_or_b32 exec_lo, exec_lo, s2
	s_and_saveexec_b32 s2, vcc_lo
	s_cbranch_execz .LBB160_227
.LBB160_226:
	ds_load_b32 v0, v0 offset:192
	s_waitcnt lgkmcnt(0)
	v_add_f32_e32 v3, v3, v0
.LBB160_227:
	s_or_b32 exec_lo, exec_lo, s2
.LBB160_228:
	s_delay_alu instid0(SALU_CYCLE_1)
	s_or_b32 exec_lo, exec_lo, s1
	s_barrier
	buffer_gl0_inv
	s_and_saveexec_b32 s1, s0
	s_cbranch_execz .LBB160_247
; %bb.229:
	s_and_b32 exec_lo, exec_lo, vcc_lo
	s_cbranch_execz .LBB160_247
; %bb.230:
	v_and_b32_e32 v0, 0x7f800000, v4
	s_delay_alu instid0(VALU_DEP_1) | instskip(SKIP_1) | instid1(SALU_CYCLE_1)
	v_cmp_ne_u32_e32 vcc_lo, 0x7f800000, v0
                                        ; implicit-def: $vgpr0
	s_and_saveexec_b32 s0, vcc_lo
	s_xor_b32 s0, exec_lo, s0
; %bb.231:
	v_bfe_u32 v0, v4, 16, 1
	s_delay_alu instid0(VALU_DEP_1)
	v_add3_u32 v0, v4, v0, 0x7fff
; %bb.232:
	s_and_not1_saveexec_b32 s0, s0
; %bb.233:
	v_and_b32_e32 v0, 0xffff, v4
	v_or_b32_e32 v5, 0x10000, v4
	s_delay_alu instid0(VALU_DEP_2) | instskip(NEXT) | instid1(VALU_DEP_2)
	v_cmp_eq_u32_e32 vcc_lo, 0, v0
	v_cndmask_b32_e32 v0, v5, v4, vcc_lo
; %bb.234:
	s_or_b32 exec_lo, exec_lo, s0
	s_mul_i32 s0, s4, s14
	s_mul_i32 s2, s4, s20
	;; [unrolled: 1-line block ×3, first 2 shown]
	v_lshlrev_b32_e32 v6, 1, v12
	s_lshl_b32 s0, s0, 6
	v_and_b32_e32 v7, 0x7f800000, v2
	s_ashr_i32 s1, s0, 31
	s_delay_alu instid0(SALU_CYCLE_1) | instskip(NEXT) | instid1(SALU_CYCLE_1)
	s_lshl_b64 s[0:1], s[0:1], 1
	s_add_u32 s4, s22, s0
	s_addc_u32 s5, s23, s1
	s_ashr_i32 s3, s2, 31
	s_delay_alu instid0(SALU_CYCLE_1) | instskip(NEXT) | instid1(SALU_CYCLE_1)
	s_lshl_b64 s[0:1], s[2:3], 1
	s_add_u32 s2, s4, s0
	s_addc_u32 s3, s5, s1
	s_lshl_b32 s0, s12, 6
	s_delay_alu instid0(SALU_CYCLE_1) | instskip(NEXT) | instid1(SALU_CYCLE_1)
	s_ashr_i32 s1, s0, 31
	s_lshl_b64 s[0:1], s[0:1], 1
	s_delay_alu instid0(SALU_CYCLE_1) | instskip(SKIP_2) | instid1(VALU_DEP_1)
	s_add_u32 s0, s2, s0
	s_addc_u32 s1, s3, s1
	v_add_co_u32 v4, s2, s0, v6
	v_add_co_ci_u32_e64 v5, null, s1, 0, s2
	global_store_d16_hi_b16 v6, v0, s[0:1]
	s_mov_b32 s0, exec_lo
                                        ; implicit-def: $vgpr0
	v_cmpx_ne_u32_e32 0x7f800000, v7
	s_xor_b32 s0, exec_lo, s0
; %bb.235:
	v_bfe_u32 v0, v2, 16, 1
	s_delay_alu instid0(VALU_DEP_1)
	v_add3_u32 v0, v2, v0, 0x7fff
; %bb.236:
	s_and_not1_saveexec_b32 s0, s0
; %bb.237:
	v_and_b32_e32 v0, 0xffff, v2
	v_or_b32_e32 v6, 0x10000, v2
	s_delay_alu instid0(VALU_DEP_2) | instskip(NEXT) | instid1(VALU_DEP_2)
	v_cmp_eq_u32_e32 vcc_lo, 0, v0
	v_cndmask_b32_e32 v0, v6, v2, vcc_lo
; %bb.238:
	s_or_b32 exec_lo, exec_lo, s0
	v_and_b32_e32 v2, 0x7f800000, v1
	s_mov_b32 s0, exec_lo
	global_store_d16_hi_b16 v[4:5], v0, off offset:32
                                        ; implicit-def: $vgpr0
	v_cmpx_ne_u32_e32 0x7f800000, v2
	s_xor_b32 s0, exec_lo, s0
; %bb.239:
	v_bfe_u32 v0, v1, 16, 1
	s_delay_alu instid0(VALU_DEP_1)
	v_add3_u32 v0, v1, v0, 0x7fff
; %bb.240:
	s_and_not1_saveexec_b32 s0, s0
; %bb.241:
	v_and_b32_e32 v0, 0xffff, v1
	v_or_b32_e32 v2, 0x10000, v1
	s_delay_alu instid0(VALU_DEP_2) | instskip(NEXT) | instid1(VALU_DEP_2)
	v_cmp_eq_u32_e32 vcc_lo, 0, v0
	v_cndmask_b32_e32 v0, v2, v1, vcc_lo
; %bb.242:
	s_or_b32 exec_lo, exec_lo, s0
	v_and_b32_e32 v1, 0x7f800000, v3
	s_mov_b32 s0, exec_lo
	global_store_d16_hi_b16 v[4:5], v0, off offset:64
                                        ; implicit-def: $vgpr6
	v_cmpx_ne_u32_e32 0x7f800000, v1
	s_xor_b32 s0, exec_lo, s0
; %bb.243:
	v_bfe_u32 v0, v3, 16, 1
	s_delay_alu instid0(VALU_DEP_1)
	v_add3_u32 v6, v3, v0, 0x7fff
                                        ; implicit-def: $vgpr0_vgpr1_vgpr2_vgpr3
; %bb.244:
	s_and_not1_saveexec_b32 s0, s0
; %bb.245:
	v_and_b32_e32 v0, 0xffff, v3
	v_or_b32_e32 v1, 0x10000, v3
	s_delay_alu instid0(VALU_DEP_2) | instskip(NEXT) | instid1(VALU_DEP_2)
	v_cmp_eq_u32_e32 vcc_lo, 0, v0
	v_cndmask_b32_e32 v6, v1, v3, vcc_lo
; %bb.246:
	s_or_b32 exec_lo, exec_lo, s0
	global_store_d16_hi_b16 v[4:5], v6, off offset:96
.LBB160_247:
	s_nop 0
	s_sendmsg sendmsg(MSG_DEALLOC_VGPRS)
	s_endpgm
.LBB160_248:
	v_lshl_add_u32 v7, v5, 2, v6
	ds_load_b32 v7, v7
	s_waitcnt lgkmcnt(0)
	v_add_f32_e32 v4, v4, v7
	s_or_b32 exec_lo, exec_lo, s0
	s_and_saveexec_b32 s0, vcc_lo
	s_cbranch_execz .LBB160_215
.LBB160_249:
	v_lshl_add_u32 v7, v5, 2, v6
	ds_load_b32 v7, v7 offset:64
	s_waitcnt lgkmcnt(0)
	v_add_f32_e32 v2, v2, v7
	s_or_b32 exec_lo, exec_lo, s0
	s_and_saveexec_b32 s0, vcc_lo
	s_cbranch_execz .LBB160_216
.LBB160_250:
	v_lshl_add_u32 v7, v5, 2, v6
	ds_load_b32 v7, v7 offset:128
	s_waitcnt lgkmcnt(0)
	v_add_f32_e32 v1, v1, v7
	s_or_b32 exec_lo, exec_lo, s0
	s_and_saveexec_b32 s0, vcc_lo
	s_cbranch_execnz .LBB160_217
	s_branch .LBB160_218
.LBB160_251:
	ds_load_b32 v5, v0
	s_waitcnt lgkmcnt(0)
	v_add_f32_e32 v4, v4, v5
	s_or_b32 exec_lo, exec_lo, s2
	s_and_saveexec_b32 s2, vcc_lo
	s_cbranch_execz .LBB160_224
.LBB160_252:
	ds_load_b32 v5, v0 offset:64
	s_waitcnt lgkmcnt(0)
	v_add_f32_e32 v2, v2, v5
	s_or_b32 exec_lo, exec_lo, s2
	s_and_saveexec_b32 s2, vcc_lo
	s_cbranch_execz .LBB160_225
.LBB160_253:
	ds_load_b32 v5, v0 offset:128
	s_waitcnt lgkmcnt(0)
	v_add_f32_e32 v1, v1, v5
	s_or_b32 exec_lo, exec_lo, s2
	s_and_saveexec_b32 s2, vcc_lo
	s_cbranch_execnz .LBB160_226
	s_branch .LBB160_227
	.section	.rodata,"a",@progbits
	.p2align	6, 0x0
	.amdhsa_kernel _ZN4vllm25paged_attention_v2_kernelI14__hip_bfloat16S1_Li64ELi16ELi128ELNS_18Fp8KVCacheDataTypeE0ELb1ELi512EEEvPfS3_PT_PKS4_PKT0_SA_ifPKiSC_iPKfiiiSE_SE_iiiii
		.amdhsa_group_segment_fixed_size 160
		.amdhsa_private_segment_fixed_size 0
		.amdhsa_kernarg_size 400
		.amdhsa_user_sgpr_count 13
		.amdhsa_user_sgpr_dispatch_ptr 0
		.amdhsa_user_sgpr_queue_ptr 0
		.amdhsa_user_sgpr_kernarg_segment_ptr 1
		.amdhsa_user_sgpr_dispatch_id 0
		.amdhsa_user_sgpr_private_segment_size 0
		.amdhsa_wavefront_size32 1
		.amdhsa_uses_dynamic_stack 0
		.amdhsa_enable_private_segment 0
		.amdhsa_system_sgpr_workgroup_id_x 1
		.amdhsa_system_sgpr_workgroup_id_y 1
		.amdhsa_system_sgpr_workgroup_id_z 1
		.amdhsa_system_sgpr_workgroup_info 0
		.amdhsa_system_vgpr_workitem_id 0
		.amdhsa_next_free_vgpr 83
		.amdhsa_next_free_sgpr 45
		.amdhsa_reserve_vcc 1
		.amdhsa_float_round_mode_32 0
		.amdhsa_float_round_mode_16_64 0
		.amdhsa_float_denorm_mode_32 3
		.amdhsa_float_denorm_mode_16_64 3
		.amdhsa_dx10_clamp 1
		.amdhsa_ieee_mode 1
		.amdhsa_fp16_overflow 0
		.amdhsa_workgroup_processor_mode 1
		.amdhsa_memory_ordered 1
		.amdhsa_forward_progress 0
		.amdhsa_shared_vgpr_count 0
		.amdhsa_exception_fp_ieee_invalid_op 0
		.amdhsa_exception_fp_denorm_src 0
		.amdhsa_exception_fp_ieee_div_zero 0
		.amdhsa_exception_fp_ieee_overflow 0
		.amdhsa_exception_fp_ieee_underflow 0
		.amdhsa_exception_fp_ieee_inexact 0
		.amdhsa_exception_int_div_zero 0
	.end_amdhsa_kernel
	.section	.text._ZN4vllm25paged_attention_v2_kernelI14__hip_bfloat16S1_Li64ELi16ELi128ELNS_18Fp8KVCacheDataTypeE0ELb1ELi512EEEvPfS3_PT_PKS4_PKT0_SA_ifPKiSC_iPKfiiiSE_SE_iiiii,"axG",@progbits,_ZN4vllm25paged_attention_v2_kernelI14__hip_bfloat16S1_Li64ELi16ELi128ELNS_18Fp8KVCacheDataTypeE0ELb1ELi512EEEvPfS3_PT_PKS4_PKT0_SA_ifPKiSC_iPKfiiiSE_SE_iiiii,comdat
.Lfunc_end160:
	.size	_ZN4vllm25paged_attention_v2_kernelI14__hip_bfloat16S1_Li64ELi16ELi128ELNS_18Fp8KVCacheDataTypeE0ELb1ELi512EEEvPfS3_PT_PKS4_PKT0_SA_ifPKiSC_iPKfiiiSE_SE_iiiii, .Lfunc_end160-_ZN4vllm25paged_attention_v2_kernelI14__hip_bfloat16S1_Li64ELi16ELi128ELNS_18Fp8KVCacheDataTypeE0ELb1ELi512EEEvPfS3_PT_PKS4_PKT0_SA_ifPKiSC_iPKfiiiSE_SE_iiiii
                                        ; -- End function
	.section	.AMDGPU.csdata,"",@progbits
; Kernel info:
; codeLenInByte = 10752
; NumSgprs: 47
; NumVgprs: 83
; ScratchSize: 0
; MemoryBound: 0
; FloatMode: 240
; IeeeMode: 1
; LDSByteSize: 160 bytes/workgroup (compile time only)
; SGPRBlocks: 5
; VGPRBlocks: 10
; NumSGPRsForWavesPerEU: 47
; NumVGPRsForWavesPerEU: 83
; Occupancy: 16
; WaveLimiterHint : 1
; COMPUTE_PGM_RSRC2:SCRATCH_EN: 0
; COMPUTE_PGM_RSRC2:USER_SGPR: 13
; COMPUTE_PGM_RSRC2:TRAP_HANDLER: 0
; COMPUTE_PGM_RSRC2:TGID_X_EN: 1
; COMPUTE_PGM_RSRC2:TGID_Y_EN: 1
; COMPUTE_PGM_RSRC2:TGID_Z_EN: 1
; COMPUTE_PGM_RSRC2:TIDIG_COMP_CNT: 0
	.section	.text._ZN4vllm25paged_attention_v2_kernelI14__hip_bfloat16S1_Li80ELi16ELi128ELNS_18Fp8KVCacheDataTypeE0ELb1ELi512EEEvPfS3_PT_PKS4_PKT0_SA_ifPKiSC_iPKfiiiSE_SE_iiiii,"axG",@progbits,_ZN4vllm25paged_attention_v2_kernelI14__hip_bfloat16S1_Li80ELi16ELi128ELNS_18Fp8KVCacheDataTypeE0ELb1ELi512EEEvPfS3_PT_PKS4_PKT0_SA_ifPKiSC_iPKfiiiSE_SE_iiiii,comdat
	.protected	_ZN4vllm25paged_attention_v2_kernelI14__hip_bfloat16S1_Li80ELi16ELi128ELNS_18Fp8KVCacheDataTypeE0ELb1ELi512EEEvPfS3_PT_PKS4_PKT0_SA_ifPKiSC_iPKfiiiSE_SE_iiiii ; -- Begin function _ZN4vllm25paged_attention_v2_kernelI14__hip_bfloat16S1_Li80ELi16ELi128ELNS_18Fp8KVCacheDataTypeE0ELb1ELi512EEEvPfS3_PT_PKS4_PKT0_SA_ifPKiSC_iPKfiiiSE_SE_iiiii
	.globl	_ZN4vllm25paged_attention_v2_kernelI14__hip_bfloat16S1_Li80ELi16ELi128ELNS_18Fp8KVCacheDataTypeE0ELb1ELi512EEEvPfS3_PT_PKS4_PKT0_SA_ifPKiSC_iPKfiiiSE_SE_iiiii
	.p2align	8
	.type	_ZN4vllm25paged_attention_v2_kernelI14__hip_bfloat16S1_Li80ELi16ELi128ELNS_18Fp8KVCacheDataTypeE0ELb1ELi512EEEvPfS3_PT_PKS4_PKT0_SA_ifPKiSC_iPKfiiiSE_SE_iiiii,@function
_ZN4vllm25paged_attention_v2_kernelI14__hip_bfloat16S1_Li80ELi16ELi128ELNS_18Fp8KVCacheDataTypeE0ELb1ELi512EEEvPfS3_PT_PKS4_PKT0_SA_ifPKiSC_iPKfiiiSE_SE_iiiii: ; @_ZN4vllm25paged_attention_v2_kernelI14__hip_bfloat16S1_Li80ELi16ELi128ELNS_18Fp8KVCacheDataTypeE0ELb1ELi512EEEvPfS3_PT_PKS4_PKT0_SA_ifPKiSC_iPKfiiiSE_SE_iiiii
; %bb.0:
	s_load_b64 s[2:3], s[0:1], 0x40
	s_mov_b32 s12, s15
	s_ashr_i32 s15, s14, 31
	s_mov_b32 s24, s13
	s_lshl_b64 s[4:5], s[14:15], 2
	s_waitcnt lgkmcnt(0)
	s_add_u32 s2, s2, s4
	s_addc_u32 s3, s3, s5
	s_lshl_b32 s13, s12, 9
	s_load_b32 s33, s[2:3], 0x0
	s_waitcnt lgkmcnt(0)
	s_cmp_ge_i32 s13, s33
	s_cbranch_scc1 .LBB161_287
; %bb.1:
	s_clause 0x1
	s_load_b32 s15, s[0:1], 0x90
	s_load_b64 s[34:35], s[0:1], 0x30
	s_mov_b32 s38, 0
	s_waitcnt lgkmcnt(0)
	s_abs_i32 s5, s15
	s_abs_i32 s2, s34
	s_delay_alu instid0(SALU_CYCLE_1) | instskip(SKIP_1) | instid1(VALU_DEP_1)
	v_cvt_f32_u32_e32 v1, s2
	s_sub_i32 s4, 0, s2
	v_rcp_iflag_f32_e32 v1, v1
	s_waitcnt_depctr 0xfff
	v_mul_f32_e32 v1, 0x4f7ffffe, v1
	s_delay_alu instid0(VALU_DEP_1) | instskip(NEXT) | instid1(VALU_DEP_1)
	v_cvt_u32_f32_e32 v1, v1
	v_readfirstlane_b32 s3, v1
	s_delay_alu instid0(VALU_DEP_1) | instskip(NEXT) | instid1(SALU_CYCLE_1)
	s_mul_i32 s4, s4, s3
	s_mul_hi_u32 s4, s3, s4
	s_delay_alu instid0(SALU_CYCLE_1) | instskip(SKIP_4) | instid1(SALU_CYCLE_1)
	s_add_i32 s3, s3, s4
	s_xor_b32 s4, s15, s34
	s_mul_hi_u32 s3, s5, s3
	s_ashr_i32 s4, s4, 31
	s_mul_i32 s6, s3, s2
	s_sub_i32 s5, s5, s6
	s_add_i32 s6, s3, 1
	s_sub_i32 s7, s5, s2
	s_cmp_ge_u32 s5, s2
	s_cselect_b32 s3, s6, s3
	s_cselect_b32 s5, s7, s5
	s_add_i32 s6, s3, 1
	s_cmp_ge_u32 s5, s2
	s_cselect_b32 s2, s6, s3
	s_abs_i32 s17, s24
	s_xor_b32 s2, s2, s4
	s_delay_alu instid0(SALU_CYCLE_1) | instskip(SKIP_2) | instid1(SALU_CYCLE_1)
	s_sub_i32 s8, s2, s4
	s_load_b64 s[2:3], s[0:1], 0x50
	s_abs_i32 s16, s8
	v_cvt_f32_u32_e32 v1, s16
	s_sub_i32 s5, 0, s16
	s_delay_alu instid0(VALU_DEP_1) | instskip(SKIP_2) | instid1(VALU_DEP_1)
	v_rcp_iflag_f32_e32 v1, v1
	s_waitcnt_depctr 0xfff
	v_mul_f32_e32 v1, 0x4f7ffffe, v1
	v_cvt_u32_f32_e32 v1, v1
	s_delay_alu instid0(VALU_DEP_1) | instskip(NEXT) | instid1(VALU_DEP_1)
	v_readfirstlane_b32 s4, v1
	s_mul_i32 s5, s5, s4
	s_delay_alu instid0(SALU_CYCLE_1) | instskip(NEXT) | instid1(SALU_CYCLE_1)
	s_mul_hi_u32 s5, s4, s5
	s_add_i32 s4, s4, s5
	s_waitcnt lgkmcnt(0)
	s_cmp_eq_u64 s[2:3], 0
	s_mul_hi_u32 s18, s17, s4
	s_cbranch_scc1 .LBB161_3
; %bb.2:
	s_ashr_i32 s25, s24, 31
	s_delay_alu instid0(SALU_CYCLE_1) | instskip(NEXT) | instid1(SALU_CYCLE_1)
	s_lshl_b64 s[4:5], s[24:25], 2
	s_add_u32 s2, s2, s4
	s_addc_u32 s3, s3, s5
	s_load_b32 s38, s[2:3], 0x0
.LBB161_3:
	s_load_b128 s[4:7], s[0:1], 0x58
	v_lshrrev_b32_e32 v12, 1, v0
	v_and_b32_e32 v13, 1, v0
	v_lshlrev_b32_e32 v3, 3, v0
	s_ashr_i32 s2, s24, 31
	s_ashr_i32 s3, s8, 31
	s_mul_i32 s20, s24, 0x50
	s_waitcnt lgkmcnt(0)
	s_mov_b32 s7, exec_lo
	v_cmpx_gt_u32_e32 20, v0
	s_cbranch_execz .LBB161_5
; %bb.4:
	s_load_b64 s[8:9], s[0:1], 0x18
	s_mul_i32 s10, s14, s4
	v_lshlrev_b32_e32 v4, 3, v12
	s_ashr_i32 s11, s10, 31
	s_delay_alu instid0(SALU_CYCLE_1) | instskip(NEXT) | instid1(VALU_DEP_1)
	s_lshl_b64 s[10:11], s[10:11], 1
	v_mad_u32_u24 v4, 0x50, v13, v4
	s_waitcnt lgkmcnt(0)
	s_add_u32 s4, s8, s10
	s_addc_u32 s10, s9, s11
	s_ashr_i32 s21, s20, 31
	s_delay_alu instid0(SALU_CYCLE_1) | instskip(NEXT) | instid1(SALU_CYCLE_1)
	s_lshl_b64 s[8:9], s[20:21], 1
	s_add_u32 s8, s4, s8
	s_addc_u32 s9, s10, s9
	global_load_b64 v[1:2], v3, s[8:9]
	s_waitcnt vmcnt(0)
	ds_store_b64 v4, v[1:2]
.LBB161_5:
	s_or_b32 exec_lo, exec_lo, s7
	s_load_b128 s[8:11], s[0:1], 0x78
	s_mul_i32 s4, s18, s16
	s_xor_b32 s2, s2, s3
	s_sub_i32 s3, s17, s4
	s_add_i32 s4, s18, 1
	s_sub_i32 s7, s3, s16
	s_cmp_ge_u32 s3, s16
	s_mov_b32 s17, -1
	s_cselect_b32 s4, s4, s18
	s_cselect_b32 s3, s7, s3
	s_add_i32 s7, s4, 1
	s_cmp_ge_u32 s3, s16
	s_waitcnt lgkmcnt(0)
	s_cselect_b32 s3, s7, s4
	s_load_b32 s4, s[0:1], 0x88
	s_xor_b32 s3, s3, s2
	s_add_i32 s16, s33, -1
	s_sub_i32 s3, s3, s2
	s_abs_i32 s7, s16
	s_waitcnt lgkmcnt(0)
	s_barrier
	s_abs_i32 s21, s11
	buffer_gl0_inv
	v_cvt_f32_u32_e32 v1, s21
	s_sub_i32 s2, 0, s21
                                        ; implicit-def: $sgpr36
	s_delay_alu instid0(VALU_DEP_1) | instskip(SKIP_2) | instid1(VALU_DEP_1)
	v_rcp_iflag_f32_e32 v1, v1
	s_waitcnt_depctr 0xfff
	v_mul_f32_e32 v1, 0x4f7ffffe, v1
	v_cvt_u32_f32_e32 v1, v1
	s_delay_alu instid0(VALU_DEP_1) | instskip(NEXT) | instid1(VALU_DEP_1)
	v_readfirstlane_b32 s25, v1
	s_mul_i32 s2, s2, s25
	s_delay_alu instid0(SALU_CYCLE_1) | instskip(NEXT) | instid1(SALU_CYCLE_1)
	s_mul_hi_u32 s2, s25, s2
	s_add_i32 s25, s25, s2
	s_cmp_lt_i32 s4, 0
	s_mul_hi_u32 s2, s7, s25
	s_cbranch_scc0 .LBB161_7
; %bb.6:
	s_mul_i32 s17, s8, s34
	s_delay_alu instid0(SALU_CYCLE_1) | instskip(NEXT) | instid1(SALU_CYCLE_1)
	s_add_i32 s17, s3, s17
	s_mul_i32 s17, s17, s4
	s_delay_alu instid0(SALU_CYCLE_1)
	s_sub_i32 s36, 1, s17
	s_mov_b32 s17, 0
.LBB161_7:
	s_load_b64 s[26:27], s[0:1], 0x38
	s_ashr_i32 s28, s16, 31
	s_and_not1_b32 vcc_lo, exec_lo, s17
	s_ashr_i32 s11, s11, 31
	s_cbranch_vccnz .LBB161_9
; %bb.8:
	s_mul_i32 s8, s15, s8
	s_delay_alu instid0(SALU_CYCLE_1) | instskip(NEXT) | instid1(SALU_CYCLE_1)
	s_add_i32 s8, s8, s24
	s_mul_i32 s4, s8, s4
	s_delay_alu instid0(SALU_CYCLE_1)
	s_add_i32 s36, s4, 1
.LBB161_9:
	s_clause 0x4
	s_load_b32 s8, s[0:1], 0x48
	s_load_b64 s[30:31], s[0:1], 0x28
	s_load_b32 s4, s[0:1], 0x98
	s_load_b128 s[16:19], s[0:1], 0x0
	s_load_b64 s[22:23], s[0:1], 0x10
	s_xor_b32 s37, s28, s11
	s_mul_i32 s28, s2, s21
	s_add_i32 s34, s2, 1
	s_sub_i32 s7, s7, s28
	v_lshrrev_b32_e32 v14, 5, v0
	v_mov_b32_e32 v5, 0xff7fffff
	v_mbcnt_lo_u32_b32 v4, -1, 0
	s_mul_i32 s6, s3, s6
	s_delay_alu instid0(VALU_DEP_3)
	v_lshl_add_u32 v15, v14, 4, s13
	s_waitcnt lgkmcnt(0)
	s_mul_i32 s28, s14, s8
	s_sub_i32 s8, s7, s21
	s_ashr_i32 s29, s28, 31
	s_cmp_ge_u32 s7, s21
	s_cselect_b32 s2, s34, s2
	s_cselect_b32 s7, s8, s7
	s_add_i32 s8, s2, 1
	s_cmp_ge_u32 s7, s21
	s_cselect_b32 s2, s8, s2
	s_add_i32 s7, s33, 15
	s_lshl_b32 s39, s12, 5
	s_ashr_i32 s8, s7, 31
	v_or_b32_e32 v9, s39, v14
	s_lshr_b32 s8, s8, 28
	s_delay_alu instid0(SALU_CYCLE_1)
	s_add_i32 s7, s7, s8
	s_add_i32 s8, s39, 32
	s_ashr_i32 s34, s7, 4
	s_xor_b32 s7, s2, s37
	s_min_i32 s8, s8, s34
	v_ashrrev_i32_e32 v10, 31, v9
	v_cmp_gt_i32_e64 s2, s8, v9
	s_sub_i32 s37, s7, s37
	s_delay_alu instid0(VALU_DEP_1)
	s_and_saveexec_b32 s40, s2
	s_cbranch_execz .LBB161_19
; %bb.10:
	s_load_b64 s[0:1], s[0:1], 0x20
	s_ashr_i32 s7, s6, 31
	v_bfe_u32 v6, v0, 1, 4
	s_lshl_b64 s[42:43], s[6:7], 1
	s_sub_i32 s7, s37, s9
	v_cmp_eq_u32_e32 vcc_lo, 0, v13
	v_mul_u32_u24_e32 v7, 0x50, v13
	v_lshlrev_b32_e32 v17, 2, v6
	v_subrev_nc_u32_e32 v20, s33, v6
	v_lshlrev_b32_e32 v23, 4, v6
	v_lshl_add_u32 v8, v14, 4, s13
	v_mov_b32_e32 v11, 0xff7fffff
	v_lshl_or_b32 v21, v14, 6, v17
	v_add_nc_u32_e32 v17, 1, v20
	v_xor_b32_e32 v16, 1, v4
	s_waitcnt lgkmcnt(0)
	s_add_u32 s3, s0, s42
	s_addc_u32 s1, s1, s43
	s_abs_i32 s41, s10
	v_cmp_neq_f32_e64 s0, s38, 0
	v_cvt_f32_u32_e32 v1, s41
	s_sub_i32 s42, 0, s41
	s_delay_alu instid0(VALU_DEP_1)
	v_rcp_iflag_f32_e32 v5, v1
	v_and_b32_e32 v19, 8, v3
	v_lshlrev_b64 v[1:2], 2, v[9:10]
	s_waitcnt_depctr 0xfff
	v_mul_f32_e32 v18, 0x4f7ffffe, v5
	v_mov_b32_e32 v5, 0xff7fffff
	s_delay_alu instid0(VALU_DEP_2) | instskip(SKIP_2) | instid1(VALU_DEP_1)
	v_cvt_u32_f32_e32 v22, v18
	v_add_nc_u32_e32 v18, 0xc0, v21
	v_add_co_u32 v21, s3, s3, v23
	v_add_co_ci_u32_e64 v23, null, s1, 0, s3
	s_delay_alu instid0(VALU_DEP_4) | instskip(SKIP_1) | instid1(SALU_CYCLE_1)
	v_mul_lo_u32 v20, s42, v22
	s_lshl_b64 s[42:43], s[28:29], 2
	s_add_u32 s1, s26, s42
	s_addc_u32 s3, s27, s43
	v_add_co_u32 v1, s1, s1, v1
	s_delay_alu instid0(VALU_DEP_1) | instskip(NEXT) | instid1(VALU_DEP_3)
	v_add_co_ci_u32_e64 v2, s1, s3, v2, s1
	v_mul_hi_u32 v24, v22, v20
	v_add_co_u32 v19, s1, v21, v19
	s_delay_alu instid0(VALU_DEP_1) | instskip(SKIP_2) | instid1(VALU_DEP_3)
	v_add_co_ci_u32_e64 v20, s1, 0, v23, s1
	s_mov_b32 s42, 0
	s_mov_b32 s43, s5
	v_dual_mov_b32 v22, v9 :: v_dual_add_nc_u32 v21, v22, v24
	s_branch .LBB161_13
.LBB161_11:                             ;   in Loop: Header=BB161_13 Depth=1
	s_or_b32 exec_lo, exec_lo, s44
.LBB161_12:                             ;   in Loop: Header=BB161_13 Depth=1
	s_delay_alu instid0(SALU_CYCLE_1) | instskip(SKIP_2) | instid1(VALU_DEP_1)
	s_or_b32 exec_lo, exec_lo, s3
	v_add_nc_u32_e32 v22, 4, v22
	v_add_co_u32 v1, s3, v1, 16
	v_add_co_ci_u32_e64 v2, s3, 0, v2, s3
	s_delay_alu instid0(VALU_DEP_3) | instskip(SKIP_2) | instid1(VALU_DEP_3)
	v_cmp_le_i32_e64 s1, s8, v22
	v_add_nc_u32_e32 v8, 64, v8
	v_add_nc_u32_e32 v18, 0x100, v18
	s_or_b32 s42, s1, s42
	s_delay_alu instid0(SALU_CYCLE_1)
	s_and_not1_b32 exec_lo, exec_lo, s42
	s_cbranch_execz .LBB161_18
.LBB161_13:                             ; =>This Inner Loop Header: Depth=1
	v_sub_nc_u32_e32 v23, 0, v8
	s_delay_alu instid0(VALU_DEP_1) | instskip(SKIP_1) | instid1(VALU_DEP_1)
	v_max_i32_e32 v23, v8, v23
	s_waitcnt lgkmcnt(0)
	v_mul_hi_u32 v24, v23, s25
	s_delay_alu instid0(VALU_DEP_1) | instskip(NEXT) | instid1(VALU_DEP_1)
	v_mul_lo_u32 v25, v24, s21
	v_sub_nc_u32_e32 v23, v23, v25
	v_add_nc_u32_e32 v25, 1, v24
	s_delay_alu instid0(VALU_DEP_2) | instskip(SKIP_1) | instid1(VALU_DEP_1)
	v_subrev_nc_u32_e32 v26, s21, v23
	v_cmp_le_u32_e64 s1, s21, v23
	v_cndmask_b32_e64 v24, v24, v25, s1
	s_delay_alu instid0(VALU_DEP_3) | instskip(SKIP_1) | instid1(VALU_DEP_3)
	v_cndmask_b32_e64 v23, v23, v26, s1
	v_ashrrev_i32_e32 v25, 31, v8
	v_add_nc_u32_e32 v26, 1, v24
	s_delay_alu instid0(VALU_DEP_3) | instskip(NEXT) | instid1(VALU_DEP_3)
	v_cmp_le_u32_e64 s1, s21, v23
	v_xor_b32_e32 v25, s11, v25
	s_delay_alu instid0(VALU_DEP_2) | instskip(NEXT) | instid1(VALU_DEP_1)
	v_cndmask_b32_e64 v23, v24, v26, s1
	v_xor_b32_e32 v23, v23, v25
	s_delay_alu instid0(VALU_DEP_1) | instskip(NEXT) | instid1(VALU_DEP_1)
	v_sub_nc_u32_e32 v23, v23, v25
	v_add_nc_u32_e32 v24, s36, v23
	v_cmp_ge_i32_e64 s3, s7, v23
	s_delay_alu instid0(VALU_DEP_2) | instskip(NEXT) | instid1(VALU_DEP_1)
	v_sub_nc_u32_e32 v25, 0, v24
	v_max_i32_e32 v25, v24, v25
	v_ashrrev_i32_e32 v24, 31, v24
	s_delay_alu instid0(VALU_DEP_2) | instskip(NEXT) | instid1(VALU_DEP_1)
	v_mul_hi_u32 v26, v25, v21
	v_mul_lo_u32 v26, v26, s41
	s_delay_alu instid0(VALU_DEP_1) | instskip(NEXT) | instid1(VALU_DEP_1)
	v_sub_nc_u32_e32 v25, v25, v26
	v_subrev_nc_u32_e32 v26, s41, v25
	v_cmp_le_u32_e64 s1, s41, v25
	s_delay_alu instid0(VALU_DEP_1) | instskip(NEXT) | instid1(VALU_DEP_1)
	v_cndmask_b32_e64 v25, v25, v26, s1
	v_subrev_nc_u32_e32 v26, s41, v25
	v_cmp_le_u32_e64 s1, s41, v25
	s_delay_alu instid0(VALU_DEP_1) | instskip(NEXT) | instid1(VALU_DEP_1)
	v_cndmask_b32_e64 v25, v25, v26, s1
	v_xor_b32_e32 v25, v25, v24
	s_delay_alu instid0(VALU_DEP_1) | instskip(NEXT) | instid1(VALU_DEP_1)
	v_sub_nc_u32_e32 v24, v25, v24
	v_cmp_ne_u32_e64 s1, 0, v24
	s_delay_alu instid0(VALU_DEP_1) | instskip(NEXT) | instid1(SALU_CYCLE_1)
	s_and_b32 s1, s1, s3
	s_and_b32 s44, vcc_lo, s1
	s_delay_alu instid0(SALU_CYCLE_1)
	s_and_saveexec_b32 s3, s44
	s_cbranch_execz .LBB161_15
; %bb.14:                               ;   in Loop: Header=BB161_13 Depth=1
	ds_store_b32 v18, v11
.LBB161_15:                             ;   in Loop: Header=BB161_13 Depth=1
	s_or_b32 exec_lo, exec_lo, s3
	s_xor_b32 s1, s1, -1
	s_delay_alu instid0(SALU_CYCLE_1)
	s_and_saveexec_b32 s3, s1
	s_cbranch_execz .LBB161_12
; %bb.16:                               ;   in Loop: Header=BB161_13 Depth=1
	global_load_b32 v25, v[1:2], off
	s_waitcnt vmcnt(0)
	v_mad_i64_i32 v[23:24], null, v25, s43, 0
	s_delay_alu instid0(VALU_DEP_1) | instskip(NEXT) | instid1(VALU_DEP_1)
	v_lshlrev_b64 v[23:24], 1, v[23:24]
	v_add_co_u32 v23, s1, v19, v23
	s_delay_alu instid0(VALU_DEP_1)
	v_add_co_ci_u32_e64 v24, s1, v20, v24, s1
	v_cmp_gt_i32_e64 s1, 32, v16
	s_clause 0x9
	global_load_b64 v[43:44], v[23:24], off
	global_load_b64 v[45:46], v[23:24], off offset:256
	global_load_b64 v[47:48], v[23:24], off offset:512
	;; [unrolled: 1-line block ×9, first 2 shown]
	ds_load_b128 v[23:26], v7
	ds_load_b128 v[27:30], v7 offset:16
	ds_load_b128 v[31:34], v7 offset:32
	;; [unrolled: 1-line block ×4, first 2 shown]
	s_waitcnt vmcnt(9)
	v_lshlrev_b32_e32 v83, 16, v43
	s_waitcnt vmcnt(8)
	v_lshlrev_b32_e32 v85, 16, v45
	v_and_b32_e32 v45, 0xffff0000, v45
	s_waitcnt lgkmcnt(4)
	v_lshlrev_b32_e32 v66, 16, v26
	v_lshlrev_b32_e32 v86, 16, v46
	v_and_b32_e32 v46, 0xffff0000, v46
	s_waitcnt vmcnt(4)
	v_lshlrev_b32_e32 v93, 16, v53
	v_and_b32_e32 v53, 0xffff0000, v53
	v_and_b32_e32 v26, 0xffff0000, v26
	v_lshlrev_b32_e32 v65, 16, v25
	v_lshlrev_b32_e32 v94, 16, v54
	v_and_b32_e32 v54, 0xffff0000, v54
	s_delay_alu instid0(VALU_DEP_4) | instskip(NEXT) | instid1(VALU_DEP_4)
	v_dual_mul_f32 v26, v26, v46 :: v_dual_and_b32 v25, 0xffff0000, v25
	v_dual_mul_f32 v65, v65, v85 :: v_dual_lshlrev_b32 v64, 16, v24
	s_delay_alu instid0(VALU_DEP_2)
	v_dual_mul_f32 v25, v25, v45 :: v_dual_lshlrev_b32 v84, 16, v44
	v_dual_mul_f32 v66, v66, v86 :: v_dual_lshlrev_b32 v63, 16, v23
	s_waitcnt lgkmcnt(3)
	v_lshlrev_b32_e32 v67, 16, v27
	v_lshlrev_b32_e32 v68, 16, v28
	;; [unrolled: 1-line block ×3, first 2 shown]
	v_dual_fmac_f32 v65, v63, v83 :: v_dual_and_b32 v24, 0xffff0000, v24
	v_and_b32_e32 v44, 0xffff0000, v44
	v_lshlrev_b32_e32 v69, 16, v29
	v_lshlrev_b32_e32 v88, 16, v48
	v_dual_fmac_f32 v66, v64, v84 :: v_dual_lshlrev_b32 v89, 16, v49
	s_delay_alu instid0(VALU_DEP_4) | instskip(SKIP_2) | instid1(VALU_DEP_3)
	v_fmac_f32_e32 v26, v24, v44
	s_waitcnt lgkmcnt(2)
	v_dual_fmac_f32 v65, v67, v87 :: v_dual_lshlrev_b32 v72, 16, v32
	v_dual_fmac_f32 v66, v68, v88 :: v_dual_lshlrev_b32 v71, 16, v31
	s_waitcnt lgkmcnt(1)
	v_lshlrev_b32_e32 v76, 16, v36
	v_and_b32_e32 v23, 0xffff0000, v23
	v_and_b32_e32 v43, 0xffff0000, v43
	v_lshlrev_b32_e32 v70, 16, v30
	v_lshlrev_b32_e32 v90, 16, v50
	;; [unrolled: 1-line block ×3, first 2 shown]
	v_fmac_f32_e32 v65, v69, v89
	v_fmac_f32_e32 v25, v23, v43
	s_delay_alu instid0(VALU_DEP_4) | instskip(SKIP_1) | instid1(VALU_DEP_3)
	v_dual_fmac_f32 v66, v70, v90 :: v_dual_lshlrev_b32 v75, 16, v35
	s_waitcnt lgkmcnt(0)
	v_dual_fmac_f32 v65, v71, v91 :: v_dual_lshlrev_b32 v80, 16, v40
	v_and_b32_e32 v48, 0xffff0000, v48
	s_waitcnt vmcnt(3)
	v_lshlrev_b32_e32 v95, 16, v55
	v_and_b32_e32 v28, 0xffff0000, v28
	v_lshlrev_b32_e32 v73, 16, v33
	v_and_b32_e32 v50, 0xffff0000, v50
	v_and_b32_e32 v55, 0xffff0000, v55
	s_delay_alu instid0(VALU_DEP_4)
	v_dual_fmac_f32 v26, v28, v48 :: v_dual_and_b32 v47, 0xffff0000, v47
	s_waitcnt vmcnt(1)
	v_lshlrev_b32_e32 v28, 16, v60
	v_and_b32_e32 v35, 0xffff0000, v35
	v_dual_fmac_f32 v65, v73, v93 :: v_dual_and_b32 v30, 0xffff0000, v30
	v_lshlrev_b32_e32 v77, 16, v37
	v_lshlrev_b32_e32 v92, 16, v52
	v_and_b32_e32 v52, 0xffff0000, v52
	s_delay_alu instid0(VALU_DEP_4) | instskip(SKIP_4) | instid1(VALU_DEP_3)
	v_fmac_f32_e32 v26, v30, v50
	v_lshlrev_b32_e32 v96, 16, v56
	v_and_b32_e32 v27, 0xffff0000, v27
	v_lshlrev_b32_e32 v97, 16, v57
	v_dual_fmac_f32 v65, v75, v95 :: v_dual_and_b32 v32, 0xffff0000, v32
	v_dual_fmac_f32 v25, v27, v47 :: v_dual_lshlrev_b32 v74, 16, v34
	v_dual_fmac_f32 v66, v72, v92 :: v_dual_lshlrev_b32 v79, 16, v39
	v_and_b32_e32 v37, 0xffff0000, v37
	v_and_b32_e32 v45, 0xffff0000, v57
	;; [unrolled: 1-line block ×3, first 2 shown]
	v_lshlrev_b32_e32 v27, 16, v59
	v_fmac_f32_e32 v65, v77, v97
	v_dual_fmac_f32 v26, v32, v52 :: v_dual_lshlrev_b32 v81, 16, v41
	v_and_b32_e32 v36, 0xffff0000, v36
	v_and_b32_e32 v49, 0xffff0000, v49
	s_delay_alu instid0(VALU_DEP_4)
	v_dual_fmac_f32 v65, v79, v27 :: v_dual_and_b32 v56, 0xffff0000, v56
	v_fmac_f32_e32 v66, v74, v94
	v_dual_fmac_f32 v26, v34, v54 :: v_dual_and_b32 v29, 0xffff0000, v29
	v_and_b32_e32 v51, 0xffff0000, v51
	v_lshlrev_b32_e32 v57, 16, v58
	s_waitcnt vmcnt(0)
	v_lshlrev_b32_e32 v30, 16, v61
	v_fmac_f32_e32 v26, v36, v56
	v_dual_fmac_f32 v25, v29, v49 :: v_dual_lshlrev_b32 v78, 16, v38
	v_dual_fmac_f32 v66, v76, v96 :: v_dual_and_b32 v31, 0xffff0000, v31
	s_delay_alu instid0(VALU_DEP_4)
	v_dual_fmac_f32 v65, v81, v30 :: v_dual_and_b32 v40, 0xffff0000, v40
	v_and_b32_e32 v23, 0xffff0000, v58
	v_and_b32_e32 v24, 0xffff0000, v59
	;; [unrolled: 1-line block ×6, first 2 shown]
	v_fmac_f32_e32 v66, v78, v57
	v_dual_fmac_f32 v25, v31, v51 :: v_dual_lshlrev_b32 v82, 16, v42
	s_delay_alu instid0(VALU_DEP_4) | instskip(NEXT) | instid1(VALU_DEP_3)
	v_dual_fmac_f32 v26, v38, v23 :: v_dual_and_b32 v31, 0xffff0000, v61
	v_dual_fmac_f32 v66, v80, v28 :: v_dual_and_b32 v23, 0xffff0000, v42
	s_delay_alu instid0(VALU_DEP_3) | instskip(NEXT) | instid1(VALU_DEP_3)
	v_fmac_f32_e32 v25, v33, v53
	v_dual_fmac_f32 v26, v40, v29 :: v_dual_and_b32 v27, 0xffff0000, v62
	v_and_b32_e32 v41, 0xffff0000, v41
	s_delay_alu instid0(VALU_DEP_3) | instskip(NEXT) | instid1(VALU_DEP_1)
	v_fmac_f32_e32 v25, v35, v55
	v_dual_fmac_f32 v26, v23, v27 :: v_dual_fmac_f32 v25, v37, v45
	s_delay_alu instid0(VALU_DEP_1) | instskip(NEXT) | instid1(VALU_DEP_1)
	v_dual_fmac_f32 v25, v39, v24 :: v_dual_lshlrev_b32 v24, 16, v62
	v_dual_fmac_f32 v25, v41, v31 :: v_dual_fmac_f32 v66, v82, v24
	s_delay_alu instid0(VALU_DEP_1) | instskip(SKIP_1) | instid1(VALU_DEP_1)
	v_add_f32_e32 v24, v65, v25
	v_cndmask_b32_e64 v25, v4, v16, s1
	v_dual_add_f32 v23, v24, v66 :: v_dual_lshlrev_b32 v24, 2, v25
	s_delay_alu instid0(VALU_DEP_1)
	v_add_f32_e32 v23, v26, v23
	ds_bpermute_b32 v24, v24, v23
	s_and_saveexec_b32 s44, vcc_lo
	s_cbranch_execz .LBB161_11
; %bb.17:                               ;   in Loop: Header=BB161_13 Depth=1
	s_waitcnt lgkmcnt(0)
	v_add_f32_e32 v23, v23, v24
	v_add_nc_u32_e32 v25, v17, v8
	s_delay_alu instid0(VALU_DEP_1) | instskip(NEXT) | instid1(VALU_DEP_1)
	v_cvt_f32_i32_e32 v25, v25
	v_mul_f32_e32 v25, s38, v25
	s_delay_alu instid0(VALU_DEP_1) | instskip(NEXT) | instid1(VALU_DEP_1)
	v_cndmask_b32_e64 v24, 0, v25, s0
	v_dual_max_f32 v25, v5, v5 :: v_dual_fmac_f32 v24, s35, v23
	v_add_nc_u32_e32 v23, v6, v8
	s_delay_alu instid0(VALU_DEP_2) | instskip(NEXT) | instid1(VALU_DEP_2)
	v_max_f32_e32 v25, v25, v24
	v_cmp_gt_i32_e64 s1, s33, v23
	s_delay_alu instid0(VALU_DEP_1) | instskip(NEXT) | instid1(VALU_DEP_3)
	v_cndmask_b32_e64 v23, 0, v24, s1
	v_cndmask_b32_e64 v5, v5, v25, s1
	ds_store_b32 v18, v23
	s_branch .LBB161_11
.LBB161_18:
	s_or_b32 exec_lo, exec_lo, s42
.LBB161_19:
	s_delay_alu instid0(SALU_CYCLE_1) | instskip(SKIP_4) | instid1(VALU_DEP_4)
	s_or_b32 exec_lo, exec_lo, s40
	v_xor_b32_e32 v1, 16, v4
	v_xor_b32_e32 v2, 8, v4
	;; [unrolled: 1-line block ×3, first 2 shown]
	v_and_b32_e32 v16, 31, v0
	v_cmp_gt_i32_e32 vcc_lo, 32, v1
	v_cndmask_b32_e32 v1, v4, v1, vcc_lo
	v_cmp_gt_i32_e32 vcc_lo, 32, v2
	v_max_f32_e32 v7, v5, v5
	s_delay_alu instid0(VALU_DEP_3) | instskip(SKIP_4) | instid1(VALU_DEP_1)
	v_lshlrev_b32_e32 v6, 2, v1
	v_cndmask_b32_e32 v2, v4, v2, vcc_lo
	ds_bpermute_b32 v1, v6, v5
	s_waitcnt lgkmcnt(0)
	v_max_f32_e32 v1, v1, v1
	v_max_f32_e32 v1, v7, v1
	v_xor_b32_e32 v7, 4, v4
	s_delay_alu instid0(VALU_DEP_1) | instskip(SKIP_3) | instid1(VALU_DEP_3)
	v_cmp_gt_i32_e32 vcc_lo, 32, v7
	v_cndmask_b32_e32 v7, v4, v7, vcc_lo
	v_cmp_gt_i32_e32 vcc_lo, 32, v8
	v_lshlrev_b32_e32 v5, 2, v2
	v_dual_cndmask_b32 v8, v4, v8 :: v_dual_lshlrev_b32 v7, 2, v7
	ds_bpermute_b32 v2, v5, v1
	v_cmp_eq_u32_e32 vcc_lo, 0, v16
	s_waitcnt lgkmcnt(0)
	v_max_f32_e32 v2, v2, v2
	s_delay_alu instid0(VALU_DEP_1) | instskip(SKIP_3) | instid1(VALU_DEP_1)
	v_max_f32_e32 v1, v1, v2
	ds_bpermute_b32 v2, v7, v1
	s_waitcnt lgkmcnt(0)
	v_max_f32_e32 v2, v2, v2
	v_dual_max_f32 v1, v1, v2 :: v_dual_lshlrev_b32 v2, 2, v8
	v_lshlrev_b32_e32 v8, 2, v14
	ds_bpermute_b32 v11, v2, v1
	s_and_saveexec_b32 s0, vcc_lo
	s_cbranch_execz .LBB161_21
; %bb.20:
	s_waitcnt lgkmcnt(0)
	v_max_f32_e32 v11, v11, v11
	v_max_f32_e32 v1, v1, v1
	s_delay_alu instid0(VALU_DEP_1)
	v_max_f32_e32 v1, v1, v11
	ds_store_b32 v8, v1 offset:160
.LBB161_21:
	s_or_b32 exec_lo, exec_lo, s0
	v_cmp_gt_u32_e64 s0, 4, v16
	v_mov_b32_e32 v1, 0xff7fffff
	s_waitcnt lgkmcnt(0)
	v_lshlrev_b32_e32 v11, 2, v16
	s_barrier
	buffer_gl0_inv
	s_and_saveexec_b32 s1, s0
	s_cbranch_execz .LBB161_23
; %bb.22:
	ds_load_b32 v1, v11 offset:160
.LBB161_23:
	s_or_b32 exec_lo, exec_lo, s1
	s_waitcnt lgkmcnt(0)
	ds_bpermute_b32 v17, v2, v1
	v_xor_b32_e32 v18, 1, v4
	v_max_f32_e32 v1, v1, v1
	s_delay_alu instid0(VALU_DEP_2) | instskip(NEXT) | instid1(VALU_DEP_1)
	v_cmp_gt_i32_e64 s1, 32, v18
	v_cndmask_b32_e64 v4, v4, v18, s1
	s_sub_i32 s1, s8, s39
	s_delay_alu instid0(SALU_CYCLE_1) | instskip(NEXT) | instid1(SALU_CYCLE_1)
	s_lshl_b32 s1, s1, 4
	s_add_i32 s1, s1, s13
	s_delay_alu instid0(SALU_CYCLE_1) | instskip(NEXT) | instid1(SALU_CYCLE_1)
	s_min_i32 s1, s1, s33
	s_sub_i32 s7, s1, s13
	s_waitcnt lgkmcnt(0)
	v_dual_max_f32 v18, v17, v17 :: v_dual_lshlrev_b32 v17, 2, v4
	v_cmp_gt_i32_e64 s1, s7, v0
	s_delay_alu instid0(VALU_DEP_2) | instskip(SKIP_3) | instid1(VALU_DEP_1)
	v_dual_max_f32 v1, v1, v18 :: v_dual_mov_b32 v18, 0
	ds_bpermute_b32 v4, v17, v1
	s_waitcnt lgkmcnt(0)
	v_max_f32_e32 v4, v4, v4
	v_max_f32_e32 v1, v1, v4
	v_lshl_add_u32 v4, v0, 2, 0xc0
	ds_bpermute_b32 v1, v18, v1
	s_and_saveexec_b32 s13, s1
	s_cbranch_execz .LBB161_27
; %bb.24:
	v_lshl_add_u32 v19, v0, 2, 0xc0
	v_mov_b32_e32 v18, 0
	v_mov_b32_e32 v20, v0
	s_mov_b32 s35, 0
	.p2align	6
.LBB161_25:                             ; =>This Inner Loop Header: Depth=1
	ds_load_b32 v21, v19
	v_add_nc_u32_e32 v20, 0x80, v20
	s_delay_alu instid0(VALU_DEP_1) | instskip(NEXT) | instid1(VALU_DEP_1)
	v_cmp_le_i32_e64 s3, s7, v20
	s_or_b32 s35, s3, s35
	s_waitcnt lgkmcnt(0)
	v_sub_f32_e32 v21, v21, v1
	s_delay_alu instid0(VALU_DEP_1) | instskip(NEXT) | instid1(VALU_DEP_1)
	v_mul_f32_e32 v21, 0x3fb8aa3b, v21
	v_exp_f32_e32 v21, v21
	ds_store_b32 v19, v21
	v_dual_add_f32 v18, v18, v21 :: v_dual_add_nc_u32 v19, 0x200, v19
	s_and_not1_b32 exec_lo, exec_lo, s35
	s_cbranch_execnz .LBB161_25
; %bb.26:
	s_or_b32 exec_lo, exec_lo, s35
.LBB161_27:
	s_delay_alu instid0(SALU_CYCLE_1)
	s_or_b32 exec_lo, exec_lo, s13
	ds_bpermute_b32 v6, v6, v18
	s_waitcnt lgkmcnt(0)
	v_add_f32_e32 v6, v18, v6
	ds_bpermute_b32 v5, v5, v6
	s_waitcnt lgkmcnt(0)
	v_add_f32_e32 v5, v6, v5
	;; [unrolled: 3-line block ×5, first 2 shown]
	s_and_saveexec_b32 s3, vcc_lo
	s_cbranch_execz .LBB161_29
; %bb.28:
	ds_store_b32 v8, v5 offset:176
.LBB161_29:
	s_or_b32 exec_lo, exec_lo, s3
	s_waitcnt lgkmcnt(0)
	s_barrier
	buffer_gl0_inv
	s_and_saveexec_b32 s3, s0
	s_cbranch_execz .LBB161_31
; %bb.30:
	ds_load_b32 v5, v11 offset:176
.LBB161_31:
	s_or_b32 exec_lo, exec_lo, s3
	s_waitcnt lgkmcnt(0)
	ds_bpermute_b32 v2, v2, v5
	s_waitcnt lgkmcnt(0)
	v_add_f32_e32 v2, v5, v2
	ds_bpermute_b32 v5, v17, v2
	s_waitcnt lgkmcnt(0)
	v_dual_add_f32 v2, v2, v5 :: v_dual_mov_b32 v5, 0
	ds_bpermute_b32 v2, v5, v2
	s_and_saveexec_b32 s0, s1
	s_cbranch_execz .LBB161_34
; %bb.32:
	s_waitcnt lgkmcnt(0)
	v_add_f32_e32 v5, 0x358637bd, v2
	s_mov_b32 s1, 0
	s_delay_alu instid0(VALU_DEP_1) | instskip(SKIP_1) | instid1(VALU_DEP_2)
	v_div_scale_f32 v6, null, v5, v5, 1.0
	v_div_scale_f32 v11, vcc_lo, 1.0, v5, 1.0
	v_rcp_f32_e32 v7, v6
	s_waitcnt_depctr 0xfff
	v_fma_f32 v8, -v6, v7, 1.0
	s_delay_alu instid0(VALU_DEP_1) | instskip(NEXT) | instid1(VALU_DEP_1)
	v_fmac_f32_e32 v7, v8, v7
	v_mul_f32_e32 v8, v11, v7
	s_delay_alu instid0(VALU_DEP_1) | instskip(NEXT) | instid1(VALU_DEP_1)
	v_fma_f32 v18, -v6, v8, v11
	v_fmac_f32_e32 v8, v18, v7
	s_delay_alu instid0(VALU_DEP_1) | instskip(NEXT) | instid1(VALU_DEP_1)
	v_fma_f32 v6, -v6, v8, v11
	v_div_fmas_f32 v6, v6, v7, v8
	s_delay_alu instid0(VALU_DEP_1)
	v_div_fixup_f32 v5, v6, v5, 1.0
	v_mov_b32_e32 v6, v0
.LBB161_33:                             ; =>This Inner Loop Header: Depth=1
	ds_load_b32 v7, v4
	s_waitcnt lgkmcnt(0)
	v_dual_mul_f32 v7, v5, v7 :: v_dual_add_nc_u32 v6, 0x80, v6
	s_delay_alu instid0(VALU_DEP_1) | instskip(SKIP_3) | instid1(SALU_CYCLE_1)
	v_cmp_le_i32_e32 vcc_lo, s7, v6
	ds_store_b32 v4, v7
	v_add_nc_u32_e32 v4, 0x200, v4
	s_or_b32 s1, vcc_lo, s1
	s_and_not1_b32 exec_lo, exec_lo, s1
	s_cbranch_execnz .LBB161_33
.LBB161_34:
	s_or_b32 exec_lo, exec_lo, s0
	s_delay_alu instid0(SALU_CYCLE_1)
	s_mov_b32 s0, exec_lo
	s_waitcnt lgkmcnt(0)
	s_barrier
	buffer_gl0_inv
	v_cmpx_eq_u32_e32 0, v0
	s_cbranch_execz .LBB161_36
; %bb.35:
	s_mul_i32 s1, s4, s14
	s_mul_i32 s40, s4, s24
	;; [unrolled: 1-line block ×3, first 2 shown]
	v_mov_b32_e32 v4, 0
	s_ashr_i32 s39, s38, 31
	s_delay_alu instid0(SALU_CYCLE_1) | instskip(NEXT) | instid1(SALU_CYCLE_1)
	s_lshl_b64 s[38:39], s[38:39], 2
	s_add_u32 s1, s18, s38
	s_addc_u32 s3, s19, s39
	s_ashr_i32 s41, s40, 31
	s_delay_alu instid0(SALU_CYCLE_1) | instskip(NEXT) | instid1(SALU_CYCLE_1)
	s_lshl_b64 s[18:19], s[40:41], 2
	s_add_u32 s1, s1, s18
	s_addc_u32 s3, s3, s19
	;; [unrolled: 5-line block ×3, first 2 shown]
	s_add_u32 s1, s16, s38
	s_addc_u32 s3, s17, s39
	s_add_u32 s1, s1, s18
	s_addc_u32 s3, s3, s19
	;; [unrolled: 2-line block ×3, first 2 shown]
	s_clause 0x1
	global_store_b32 v4, v1, s[42:43]
	global_store_b32 v4, v2, s[16:17]
.LBB161_36:
	s_or_b32 exec_lo, exec_lo, s0
	v_dual_mov_b32 v22, 0 :: v_dual_mov_b32 v21, 0
	v_dual_mov_b32 v20, 0 :: v_dual_mov_b32 v19, 0
	v_mov_b32_e32 v18, 0
	s_mov_b32 s3, 0
	s_and_saveexec_b32 s1, s2
	s_cbranch_execz .LBB161_244
; %bb.37:
	s_ashr_i32 s7, s6, 31
	s_sub_i32 s2, s37, s9
	s_lshl_b64 s[6:7], s[6:7], 1
	v_dual_mov_b32 v20, 0 :: v_dual_lshlrev_b32 v5, 5, v13
	s_add_u32 s0, s30, s6
	s_addc_u32 s9, s31, s7
	s_abs_i32 s6, s10
	s_lshl_b64 s[16:17], s[28:29], 2
	v_cvt_f32_u32_e32 v1, s6
	s_sub_i32 s7, 0, s6
	v_lshl_or_b32 v5, v14, 6, v5
	v_mov_b32_e32 v19, 0
	v_dual_mov_b32 v21, 0 :: v_dual_mov_b32 v22, 0
	v_rcp_iflag_f32_e32 v1, v1
	s_delay_alu instid0(VALU_DEP_3) | instskip(SKIP_2) | instid1(VALU_DEP_1)
	v_add_nc_u32_e32 v26, 0xc0, v5
	v_and_b32_e32 v23, 8, v3
	v_dual_mov_b32 v18, 0 :: v_dual_lshlrev_b32 v3, 4, v0
	v_and_b32_e32 v3, 0x1f0, v3
	s_waitcnt_depctr 0xfff
	v_mul_f32_e32 v4, 0x4f7ffffe, v1
	v_lshlrev_b64 v[1:2], 2, v[9:10]
	v_add_co_u32 v24, s0, s0, v3
	s_delay_alu instid0(VALU_DEP_3) | instskip(SKIP_1) | instid1(VALU_DEP_2)
	v_cvt_u32_f32_e32 v4, v4
	v_add_co_ci_u32_e64 v25, null, s9, 0, s0
	v_mul_lo_u32 v6, s7, v4
	s_add_i32 s7, s34, -1
	s_add_u32 s10, s26, s16
	s_addc_u32 s13, s27, s17
	v_add_co_u32 v10, vcc_lo, s10, v1
	v_add_co_ci_u32_e32 v11, vcc_lo, s13, v2, vcc_lo
	s_delay_alu instid0(VALU_DEP_3) | instskip(NEXT) | instid1(VALU_DEP_1)
	v_mul_hi_u32 v6, v4, v6
	v_add_nc_u32_e32 v27, v4, v6
	s_branch .LBB161_40
.LBB161_38:                             ;   in Loop: Header=BB161_40 Depth=1
	s_or_b32 exec_lo, exec_lo, s0
	v_and_b32_e32 v1, 0xffff0000, v1
	v_and_b32_e32 v4, 0xffff0000, v4
	;; [unrolled: 1-line block ×8, first 2 shown]
	v_add_f32_e32 v1, v1, v5
	v_and_b32_e32 v47, 0xffff0000, v64
	v_and_b32_e32 v45, 0xffff0000, v50
	;; [unrolled: 1-line block ×4, first 2 shown]
	v_dual_add_f32 v7, v7, v8 :: v_dual_and_b32 v44, 0xffff0000, v62
	s_delay_alu instid0(VALU_DEP_3)
	v_dual_add_f32 v37, v38, v37 :: v_dual_and_b32 v28, 0xffff0000, v28
	v_and_b32_e32 v38, 0xffff0000, v70
	v_and_b32_e32 v36, 0xffff0000, v69
	;; [unrolled: 1-line block ×6, first 2 shown]
	v_dual_add_f32 v36, v39, v36 :: v_dual_and_b32 v41, 0xffff0000, v73
	s_delay_alu instid0(VALU_DEP_4) | instskip(NEXT) | instid1(VALU_DEP_4)
	v_dual_add_f32 v2, v2, v34 :: v_dual_and_b32 v31, 0xffff0000, v31
	v_add_f32_e32 v8, v28, v29
	s_delay_alu instid0(VALU_DEP_3) | instskip(SKIP_4) | instid1(VALU_DEP_4)
	v_add_f32_e32 v36, v37, v36
	v_dual_add_f32 v37, v38, v40 :: v_dual_and_b32 v40, 0xffff0000, v59
	v_and_b32_e32 v33, 0xffff0000, v33
	v_and_b32_e32 v30, 0xffff0000, v30
	;; [unrolled: 1-line block ×3, first 2 shown]
	v_dual_add_f32 v36, v36, v37 :: v_dual_and_b32 v37, 0xffff0000, v63
	v_add_f32_e32 v5, v7, v8
	s_delay_alu instid0(VALU_DEP_4) | instskip(SKIP_4) | instid1(VALU_DEP_4)
	v_add_f32_e32 v7, v30, v31
	v_and_b32_e32 v3, 0xffff0000, v3
	v_add_f32_e32 v1, v1, v2
	v_dual_add_f32 v37, v44, v37 :: v_dual_and_b32 v42, 0xffff0000, v58
	v_and_b32_e32 v44, 0xffff0000, v65
	v_dual_add_f32 v2, v3, v28 :: v_dual_and_b32 v3, 0xffff0000, v6
	s_delay_alu instid0(VALU_DEP_3) | instskip(SKIP_2) | instid1(VALU_DEP_4)
	v_dual_add_f32 v5, v5, v7 :: v_dual_add_f32 v40, v42, v40
	v_and_b32_e32 v42, 0xffff0000, v53
	v_and_b32_e32 v43, 0xffff0000, v60
	v_add_f32_e32 v1, v1, v2
	s_delay_alu instid0(VALU_DEP_3) | instskip(SKIP_1) | instid1(VALU_DEP_1)
	v_add_f32_e32 v42, v46, v42
	v_and_b32_e32 v38, 0xffff0000, v61
	v_dual_add_f32 v38, v43, v38 :: v_dual_and_b32 v39, 0xffff0000, v72
	s_delay_alu instid0(VALU_DEP_1) | instskip(SKIP_2) | instid1(VALU_DEP_3)
	v_dual_add_f32 v39, v39, v41 :: v_dual_add_f32 v38, v40, v38
	v_and_b32_e32 v40, 0xffff0000, v55
	v_and_b32_e32 v43, 0xffff0000, v51
	v_dual_add_f32 v37, v38, v37 :: v_dual_add_f32 v38, v47, v44
	s_delay_alu instid0(VALU_DEP_2) | instskip(NEXT) | instid1(VALU_DEP_1)
	v_add_f32_e32 v43, v45, v43
	v_add_f32_e32 v41, v43, v42
	v_and_b32_e32 v45, 0xffff0000, v54
	v_and_b32_e32 v42, 0xffff0000, v56
	s_delay_alu instid0(VALU_DEP_2) | instskip(NEXT) | instid1(VALU_DEP_1)
	v_dual_add_f32 v40, v45, v40 :: v_dual_and_b32 v43, 0xffff0000, v57
	v_dual_add_f32 v6, v42, v43 :: v_dual_add_f32 v7, v32, v33
	s_delay_alu instid0(VALU_DEP_2) | instskip(NEXT) | instid1(VALU_DEP_1)
	v_add_f32_e32 v40, v41, v40
	v_dual_add_f32 v5, v5, v7 :: v_dual_add_f32 v6, v40, v6
	s_delay_alu instid0(VALU_DEP_1) | instskip(SKIP_2) | instid1(VALU_DEP_2)
	v_dual_add_f32 v18, v18, v5 :: v_dual_add_f32 v19, v19, v6
	v_add_f32_e32 v2, v4, v3
	v_dual_add_f32 v3, v36, v39 :: v_dual_add_f32 v4, v37, v38
	v_add_f32_e32 v1, v1, v2
	s_delay_alu instid0(VALU_DEP_2) | instskip(NEXT) | instid1(VALU_DEP_2)
	v_dual_add_f32 v21, v21, v3 :: v_dual_add_f32 v20, v20, v4
	v_add_f32_e32 v22, v22, v1
.LBB161_39:                             ;   in Loop: Header=BB161_40 Depth=1
	s_or_b32 exec_lo, exec_lo, s9
	v_add_nc_u32_e32 v9, 4, v9
	v_add_co_u32 v10, s0, v10, 16
	s_delay_alu instid0(VALU_DEP_1) | instskip(NEXT) | instid1(VALU_DEP_3)
	v_add_co_ci_u32_e64 v11, s0, 0, v11, s0
	v_cmp_le_i32_e32 vcc_lo, s8, v9
	v_add_nc_u32_e32 v15, 64, v15
	v_add_nc_u32_e32 v26, 0x100, v26
	s_or_b32 s3, vcc_lo, s3
	s_delay_alu instid0(SALU_CYCLE_1)
	s_and_not1_b32 exec_lo, exec_lo, s3
	s_cbranch_execz .LBB161_243
.LBB161_40:                             ; =>This Inner Loop Header: Depth=1
	v_sub_nc_u32_e32 v1, 0, v15
	s_delay_alu instid0(VALU_DEP_1) | instskip(NEXT) | instid1(VALU_DEP_1)
	v_max_i32_e32 v1, v15, v1
	v_mul_hi_u32 v2, v1, s25
	s_delay_alu instid0(VALU_DEP_1) | instskip(NEXT) | instid1(VALU_DEP_1)
	v_mul_lo_u32 v3, v2, s21
	v_sub_nc_u32_e32 v1, v1, v3
	v_add_nc_u32_e32 v3, 1, v2
	s_delay_alu instid0(VALU_DEP_2) | instskip(SKIP_1) | instid1(VALU_DEP_2)
	v_subrev_nc_u32_e32 v4, s21, v1
	v_cmp_le_u32_e32 vcc_lo, s21, v1
	v_dual_cndmask_b32 v2, v2, v3 :: v_dual_cndmask_b32 v1, v1, v4
	v_ashrrev_i32_e32 v3, 31, v15
	s_delay_alu instid0(VALU_DEP_2) | instskip(NEXT) | instid1(VALU_DEP_3)
	v_add_nc_u32_e32 v4, 1, v2
	v_cmp_le_u32_e32 vcc_lo, s21, v1
	s_delay_alu instid0(VALU_DEP_3) | instskip(NEXT) | instid1(VALU_DEP_3)
	v_xor_b32_e32 v3, s11, v3
	v_cndmask_b32_e32 v1, v2, v4, vcc_lo
	s_delay_alu instid0(VALU_DEP_1) | instskip(NEXT) | instid1(VALU_DEP_1)
	v_xor_b32_e32 v1, v1, v3
	v_sub_nc_u32_e32 v1, v1, v3
	s_delay_alu instid0(VALU_DEP_1) | instskip(SKIP_1) | instid1(VALU_DEP_2)
	v_add_nc_u32_e32 v2, s36, v1
	v_cmp_lt_i32_e64 s0, s2, v1
	v_sub_nc_u32_e32 v3, 0, v2
	s_delay_alu instid0(VALU_DEP_1) | instskip(NEXT) | instid1(VALU_DEP_1)
	v_max_i32_e32 v3, v2, v3
	v_mul_hi_u32 v4, v3, v27
	s_delay_alu instid0(VALU_DEP_1) | instskip(NEXT) | instid1(VALU_DEP_1)
	v_mul_lo_u32 v4, v4, s6
	v_sub_nc_u32_e32 v3, v3, v4
	s_delay_alu instid0(VALU_DEP_1) | instskip(SKIP_1) | instid1(VALU_DEP_2)
	v_subrev_nc_u32_e32 v4, s6, v3
	v_cmp_le_u32_e32 vcc_lo, s6, v3
	v_cndmask_b32_e32 v3, v3, v4, vcc_lo
	v_ashrrev_i32_e32 v2, 31, v2
	s_delay_alu instid0(VALU_DEP_2) | instskip(SKIP_1) | instid1(VALU_DEP_2)
	v_subrev_nc_u32_e32 v4, s6, v3
	v_cmp_le_u32_e32 vcc_lo, s6, v3
	v_cndmask_b32_e32 v3, v3, v4, vcc_lo
	s_delay_alu instid0(VALU_DEP_1) | instskip(NEXT) | instid1(VALU_DEP_1)
	v_xor_b32_e32 v3, v3, v2
	v_sub_nc_u32_e32 v2, v3, v2
	s_delay_alu instid0(VALU_DEP_1) | instskip(SKIP_1) | instid1(SALU_CYCLE_1)
	v_cmp_eq_u32_e32 vcc_lo, 0, v2
	s_or_b32 s0, vcc_lo, s0
	s_and_saveexec_b32 s9, s0
	s_cbranch_execz .LBB161_39
; %bb.41:                               ;   in Loop: Header=BB161_40 Depth=1
	global_load_b32 v34, v[10:11], off
	ds_load_2addr_b64 v[5:8], v26 offset1:1
	ds_load_2addr_b64 v[1:4], v26 offset0:2 offset1:3
	s_mov_b32 s0, exec_lo
                                        ; implicit-def: $vgpr42
	s_waitcnt lgkmcnt(1)
	v_and_b32_e32 v28, 0x7f800000, v5
	s_delay_alu instid0(VALU_DEP_1)
	v_cmpx_ne_u32_e32 0x7f800000, v28
	s_xor_b32 s0, exec_lo, s0
; %bb.42:                               ;   in Loop: Header=BB161_40 Depth=1
	v_bfe_u32 v28, v5, 16, 1
	s_delay_alu instid0(VALU_DEP_1)
	v_add3_u32 v42, v5, v28, 0x7fff
; %bb.43:                               ;   in Loop: Header=BB161_40 Depth=1
	s_and_not1_saveexec_b32 s0, s0
; %bb.44:                               ;   in Loop: Header=BB161_40 Depth=1
	v_and_b32_e32 v28, 0xffff, v5
	v_or_b32_e32 v29, 0x10000, v5
	s_delay_alu instid0(VALU_DEP_2) | instskip(NEXT) | instid1(VALU_DEP_2)
	v_cmp_eq_u32_e32 vcc_lo, 0, v28
	v_cndmask_b32_e32 v42, v29, v5, vcc_lo
; %bb.45:                               ;   in Loop: Header=BB161_40 Depth=1
	s_or_b32 exec_lo, exec_lo, s0
	v_and_b32_e32 v5, 0x7f800000, v6
	s_mov_b32 s0, exec_lo
                                        ; implicit-def: $vgpr43
	s_delay_alu instid0(VALU_DEP_1)
	v_cmpx_ne_u32_e32 0x7f800000, v5
	s_xor_b32 s0, exec_lo, s0
; %bb.46:                               ;   in Loop: Header=BB161_40 Depth=1
	v_bfe_u32 v5, v6, 16, 1
	s_delay_alu instid0(VALU_DEP_1)
	v_add3_u32 v43, v6, v5, 0x7fff
; %bb.47:                               ;   in Loop: Header=BB161_40 Depth=1
	s_and_not1_saveexec_b32 s0, s0
; %bb.48:                               ;   in Loop: Header=BB161_40 Depth=1
	v_and_b32_e32 v5, 0xffff, v6
	v_or_b32_e32 v28, 0x10000, v6
	s_delay_alu instid0(VALU_DEP_2) | instskip(NEXT) | instid1(VALU_DEP_2)
	v_cmp_eq_u32_e32 vcc_lo, 0, v5
	v_cndmask_b32_e32 v43, v28, v6, vcc_lo
; %bb.49:                               ;   in Loop: Header=BB161_40 Depth=1
	s_or_b32 exec_lo, exec_lo, s0
	v_and_b32_e32 v5, 0x7f800000, v7
	s_mov_b32 s0, exec_lo
                                        ; implicit-def: $vgpr28
	s_delay_alu instid0(VALU_DEP_1)
	v_cmpx_ne_u32_e32 0x7f800000, v5
	s_xor_b32 s0, exec_lo, s0
; %bb.50:                               ;   in Loop: Header=BB161_40 Depth=1
	v_bfe_u32 v5, v7, 16, 1
	s_delay_alu instid0(VALU_DEP_1)
	v_add3_u32 v28, v7, v5, 0x7fff
; %bb.51:                               ;   in Loop: Header=BB161_40 Depth=1
	s_and_not1_saveexec_b32 s0, s0
; %bb.52:                               ;   in Loop: Header=BB161_40 Depth=1
	v_and_b32_e32 v5, 0xffff, v7
	v_or_b32_e32 v6, 0x10000, v7
	s_delay_alu instid0(VALU_DEP_2) | instskip(NEXT) | instid1(VALU_DEP_2)
	v_cmp_eq_u32_e32 vcc_lo, 0, v5
	v_cndmask_b32_e32 v28, v6, v7, vcc_lo
; %bb.53:                               ;   in Loop: Header=BB161_40 Depth=1
	s_or_b32 exec_lo, exec_lo, s0
	v_and_b32_e32 v5, 0x7f800000, v8
	s_mov_b32 s0, exec_lo
                                        ; implicit-def: $vgpr29
	s_delay_alu instid0(VALU_DEP_1)
	v_cmpx_ne_u32_e32 0x7f800000, v5
	s_xor_b32 s0, exec_lo, s0
; %bb.54:                               ;   in Loop: Header=BB161_40 Depth=1
	v_bfe_u32 v5, v8, 16, 1
	s_delay_alu instid0(VALU_DEP_1)
	v_add3_u32 v29, v8, v5, 0x7fff
                                        ; implicit-def: $vgpr5_vgpr6_vgpr7_vgpr8
; %bb.55:                               ;   in Loop: Header=BB161_40 Depth=1
	s_and_not1_saveexec_b32 s0, s0
; %bb.56:                               ;   in Loop: Header=BB161_40 Depth=1
	v_and_b32_e32 v5, 0xffff, v8
	v_or_b32_e32 v6, 0x10000, v8
	s_delay_alu instid0(VALU_DEP_2) | instskip(NEXT) | instid1(VALU_DEP_2)
	v_cmp_eq_u32_e32 vcc_lo, 0, v5
	v_cndmask_b32_e32 v29, v6, v8, vcc_lo
; %bb.57:                               ;   in Loop: Header=BB161_40 Depth=1
	s_or_b32 exec_lo, exec_lo, s0
	s_waitcnt lgkmcnt(0)
	v_and_b32_e32 v5, 0x7f800000, v1
	s_mov_b32 s0, exec_lo
                                        ; implicit-def: $vgpr30
	s_delay_alu instid0(VALU_DEP_1)
	v_cmpx_ne_u32_e32 0x7f800000, v5
	s_xor_b32 s0, exec_lo, s0
; %bb.58:                               ;   in Loop: Header=BB161_40 Depth=1
	v_bfe_u32 v5, v1, 16, 1
	s_delay_alu instid0(VALU_DEP_1)
	v_add3_u32 v30, v1, v5, 0x7fff
; %bb.59:                               ;   in Loop: Header=BB161_40 Depth=1
	s_and_not1_saveexec_b32 s0, s0
; %bb.60:                               ;   in Loop: Header=BB161_40 Depth=1
	v_and_b32_e32 v5, 0xffff, v1
	v_or_b32_e32 v6, 0x10000, v1
	s_delay_alu instid0(VALU_DEP_2) | instskip(NEXT) | instid1(VALU_DEP_2)
	v_cmp_eq_u32_e32 vcc_lo, 0, v5
	v_cndmask_b32_e32 v30, v6, v1, vcc_lo
; %bb.61:                               ;   in Loop: Header=BB161_40 Depth=1
	s_or_b32 exec_lo, exec_lo, s0
	v_and_b32_e32 v1, 0x7f800000, v2
	s_mov_b32 s0, exec_lo
                                        ; implicit-def: $vgpr31
	s_delay_alu instid0(VALU_DEP_1)
	v_cmpx_ne_u32_e32 0x7f800000, v1
	s_xor_b32 s0, exec_lo, s0
; %bb.62:                               ;   in Loop: Header=BB161_40 Depth=1
	v_bfe_u32 v1, v2, 16, 1
	s_delay_alu instid0(VALU_DEP_1)
	v_add3_u32 v31, v2, v1, 0x7fff
; %bb.63:                               ;   in Loop: Header=BB161_40 Depth=1
	s_and_not1_saveexec_b32 s0, s0
; %bb.64:                               ;   in Loop: Header=BB161_40 Depth=1
	v_and_b32_e32 v1, 0xffff, v2
	v_or_b32_e32 v5, 0x10000, v2
	s_delay_alu instid0(VALU_DEP_2) | instskip(NEXT) | instid1(VALU_DEP_2)
	v_cmp_eq_u32_e32 vcc_lo, 0, v1
	v_cndmask_b32_e32 v31, v5, v2, vcc_lo
; %bb.65:                               ;   in Loop: Header=BB161_40 Depth=1
	s_or_b32 exec_lo, exec_lo, s0
	v_and_b32_e32 v1, 0x7f800000, v3
	s_mov_b32 s0, exec_lo
                                        ; implicit-def: $vgpr32
	s_delay_alu instid0(VALU_DEP_1)
	v_cmpx_ne_u32_e32 0x7f800000, v1
	s_xor_b32 s0, exec_lo, s0
; %bb.66:                               ;   in Loop: Header=BB161_40 Depth=1
	v_bfe_u32 v1, v3, 16, 1
	s_delay_alu instid0(VALU_DEP_1)
	v_add3_u32 v32, v3, v1, 0x7fff
; %bb.67:                               ;   in Loop: Header=BB161_40 Depth=1
	s_and_not1_saveexec_b32 s0, s0
; %bb.68:                               ;   in Loop: Header=BB161_40 Depth=1
	v_and_b32_e32 v1, 0xffff, v3
	v_or_b32_e32 v2, 0x10000, v3
	s_delay_alu instid0(VALU_DEP_2) | instskip(NEXT) | instid1(VALU_DEP_2)
	v_cmp_eq_u32_e32 vcc_lo, 0, v1
	v_cndmask_b32_e32 v32, v2, v3, vcc_lo
; %bb.69:                               ;   in Loop: Header=BB161_40 Depth=1
	s_or_b32 exec_lo, exec_lo, s0
	v_and_b32_e32 v1, 0x7f800000, v4
	s_mov_b32 s0, exec_lo
                                        ; implicit-def: $vgpr33
	s_delay_alu instid0(VALU_DEP_1)
	v_cmpx_ne_u32_e32 0x7f800000, v1
	s_xor_b32 s0, exec_lo, s0
; %bb.70:                               ;   in Loop: Header=BB161_40 Depth=1
	v_bfe_u32 v1, v4, 16, 1
	s_delay_alu instid0(VALU_DEP_1)
	v_add3_u32 v33, v4, v1, 0x7fff
                                        ; implicit-def: $vgpr1_vgpr2_vgpr3_vgpr4
; %bb.71:                               ;   in Loop: Header=BB161_40 Depth=1
	s_and_not1_saveexec_b32 s0, s0
; %bb.72:                               ;   in Loop: Header=BB161_40 Depth=1
	v_and_b32_e32 v1, 0xffff, v4
	v_or_b32_e32 v2, 0x10000, v4
	s_delay_alu instid0(VALU_DEP_2) | instskip(NEXT) | instid1(VALU_DEP_2)
	v_cmp_eq_u32_e32 vcc_lo, 0, v1
	v_cndmask_b32_e32 v33, v2, v4, vcc_lo
; %bb.73:                               ;   in Loop: Header=BB161_40 Depth=1
	s_or_b32 exec_lo, exec_lo, s0
	s_waitcnt vmcnt(0)
	v_mad_i64_i32 v[1:2], null, v34, s5, 0
	v_add_nc_u32_e32 v34, v23, v15
	s_delay_alu instid0(VALU_DEP_1) | instskip(NEXT) | instid1(VALU_DEP_3)
	v_add_nc_u32_e32 v41, 1, v34
	v_lshlrev_b64 v[1:2], 1, v[1:2]
	v_add_nc_u32_e32 v40, 2, v34
	v_add_nc_u32_e32 v38, 3, v34
	v_add_nc_u32_e32 v37, 4, v34
	v_add_nc_u32_e32 v36, 5, v34
	v_add_nc_u32_e32 v35, 6, v34
	v_add_co_u32 v5, vcc_lo, v24, v1
	v_add_co_ci_u32_e32 v6, vcc_lo, v25, v2, vcc_lo
	v_cmp_eq_u32_e32 vcc_lo, s7, v9
	v_add_nc_u32_e32 v39, 7, v34
	global_load_b128 v[1:4], v[5:6], off
	s_waitcnt vmcnt(0)
	v_lshrrev_b32_e32 v8, 16, v1
	v_lshrrev_b32_e32 v46, 16, v2
	;; [unrolled: 1-line block ×4, first 2 shown]
	s_and_saveexec_b32 s10, vcc_lo
	s_cbranch_execz .LBB161_75
; %bb.74:                               ;   in Loop: Header=BB161_40 Depth=1
	v_cmp_gt_i32_e64 s0, s33, v34
	s_delay_alu instid0(VALU_DEP_1) | instskip(SKIP_1) | instid1(VALU_DEP_1)
	v_cndmask_b32_e64 v1, 0, v1, s0
	v_cmp_gt_i32_e64 s0, s33, v41
	v_cndmask_b32_e64 v8, 0, v8, s0
	v_cmp_gt_i32_e64 s0, s33, v40
	s_delay_alu instid0(VALU_DEP_1) | instskip(SKIP_1) | instid1(VALU_DEP_1)
	v_cndmask_b32_e64 v2, 0, v2, s0
	v_cmp_gt_i32_e64 s0, s33, v38
	v_cndmask_b32_e64 v46, 0, v46, s0
	;; [unrolled: 5-line block ×4, first 2 shown]
.LBB161_75:                             ;   in Loop: Header=BB161_40 Depth=1
	s_or_b32 exec_lo, exec_lo, s10
	v_and_b32_e32 v42, 0xffff0000, v42
	v_lshlrev_b32_e32 v1, 16, v1
	s_delay_alu instid0(VALU_DEP_1) | instskip(NEXT) | instid1(VALU_DEP_1)
	v_mul_f32_e32 v1, v42, v1
	v_and_b32_e32 v7, 0x7f800000, v1
	s_delay_alu instid0(VALU_DEP_1) | instskip(NEXT) | instid1(VALU_DEP_1)
	v_cmp_ne_u32_e64 s0, 0x7f800000, v7
                                        ; implicit-def: $vgpr7
	s_and_saveexec_b32 s10, s0
	s_delay_alu instid0(SALU_CYCLE_1)
	s_xor_b32 s0, exec_lo, s10
; %bb.76:                               ;   in Loop: Header=BB161_40 Depth=1
	v_bfe_u32 v7, v1, 16, 1
	s_delay_alu instid0(VALU_DEP_1)
	v_add3_u32 v7, v1, v7, 0x7fff
                                        ; implicit-def: $vgpr1
; %bb.77:                               ;   in Loop: Header=BB161_40 Depth=1
	s_and_not1_saveexec_b32 s10, s0
; %bb.78:                               ;   in Loop: Header=BB161_40 Depth=1
	v_and_b32_e32 v7, 0xffff, v1
	v_or_b32_e32 v44, 0x10000, v1
	s_delay_alu instid0(VALU_DEP_2) | instskip(NEXT) | instid1(VALU_DEP_1)
	v_cmp_eq_u32_e64 s0, 0, v7
	v_cndmask_b32_e64 v7, v44, v1, s0
; %bb.79:                               ;   in Loop: Header=BB161_40 Depth=1
	s_or_b32 exec_lo, exec_lo, s10
	v_and_b32_e32 v43, 0xffff0000, v43
	v_lshlrev_b32_e32 v1, 16, v8
	s_delay_alu instid0(VALU_DEP_1) | instskip(NEXT) | instid1(VALU_DEP_1)
	v_mul_f32_e32 v1, v43, v1
	v_and_b32_e32 v8, 0x7f800000, v1
	s_delay_alu instid0(VALU_DEP_1) | instskip(NEXT) | instid1(VALU_DEP_1)
	v_cmp_ne_u32_e64 s0, 0x7f800000, v8
                                        ; implicit-def: $vgpr8
	s_and_saveexec_b32 s10, s0
	s_delay_alu instid0(SALU_CYCLE_1)
	s_xor_b32 s0, exec_lo, s10
; %bb.80:                               ;   in Loop: Header=BB161_40 Depth=1
	v_bfe_u32 v8, v1, 16, 1
	s_delay_alu instid0(VALU_DEP_1)
	v_add3_u32 v8, v1, v8, 0x7fff
                                        ; implicit-def: $vgpr1
; %bb.81:                               ;   in Loop: Header=BB161_40 Depth=1
	s_and_not1_saveexec_b32 s10, s0
; %bb.82:                               ;   in Loop: Header=BB161_40 Depth=1
	v_and_b32_e32 v8, 0xffff, v1
	v_or_b32_e32 v44, 0x10000, v1
	s_delay_alu instid0(VALU_DEP_2) | instskip(NEXT) | instid1(VALU_DEP_1)
	v_cmp_eq_u32_e64 s0, 0, v8
	v_cndmask_b32_e64 v8, v44, v1, s0
; %bb.83:                               ;   in Loop: Header=BB161_40 Depth=1
	s_or_b32 exec_lo, exec_lo, s10
	v_and_b32_e32 v44, 0xffff0000, v28
	v_lshlrev_b32_e32 v1, 16, v2
                                        ; implicit-def: $vgpr28
	s_delay_alu instid0(VALU_DEP_1) | instskip(NEXT) | instid1(VALU_DEP_1)
	v_mul_f32_e32 v1, v44, v1
	v_and_b32_e32 v2, 0x7f800000, v1
	s_delay_alu instid0(VALU_DEP_1) | instskip(NEXT) | instid1(VALU_DEP_1)
	v_cmp_ne_u32_e64 s0, 0x7f800000, v2
	s_and_saveexec_b32 s10, s0
	s_delay_alu instid0(SALU_CYCLE_1)
	s_xor_b32 s0, exec_lo, s10
; %bb.84:                               ;   in Loop: Header=BB161_40 Depth=1
	v_bfe_u32 v2, v1, 16, 1
	s_delay_alu instid0(VALU_DEP_1)
	v_add3_u32 v28, v1, v2, 0x7fff
                                        ; implicit-def: $vgpr1
; %bb.85:                               ;   in Loop: Header=BB161_40 Depth=1
	s_and_not1_saveexec_b32 s10, s0
; %bb.86:                               ;   in Loop: Header=BB161_40 Depth=1
	v_and_b32_e32 v2, 0xffff, v1
	v_or_b32_e32 v28, 0x10000, v1
	s_delay_alu instid0(VALU_DEP_2) | instskip(NEXT) | instid1(VALU_DEP_1)
	v_cmp_eq_u32_e64 s0, 0, v2
	v_cndmask_b32_e64 v28, v28, v1, s0
; %bb.87:                               ;   in Loop: Header=BB161_40 Depth=1
	s_or_b32 exec_lo, exec_lo, s10
	v_and_b32_e32 v45, 0xffff0000, v29
	v_lshlrev_b32_e32 v1, 16, v46
                                        ; implicit-def: $vgpr29
	s_delay_alu instid0(VALU_DEP_1) | instskip(NEXT) | instid1(VALU_DEP_1)
	v_mul_f32_e32 v1, v45, v1
	v_and_b32_e32 v2, 0x7f800000, v1
	s_delay_alu instid0(VALU_DEP_1) | instskip(NEXT) | instid1(VALU_DEP_1)
	v_cmp_ne_u32_e64 s0, 0x7f800000, v2
	s_and_saveexec_b32 s10, s0
	s_delay_alu instid0(SALU_CYCLE_1)
	s_xor_b32 s0, exec_lo, s10
; %bb.88:                               ;   in Loop: Header=BB161_40 Depth=1
	v_bfe_u32 v2, v1, 16, 1
	s_delay_alu instid0(VALU_DEP_1)
	v_add3_u32 v29, v1, v2, 0x7fff
                                        ; implicit-def: $vgpr1
; %bb.89:                               ;   in Loop: Header=BB161_40 Depth=1
	s_and_not1_saveexec_b32 s10, s0
; %bb.90:                               ;   in Loop: Header=BB161_40 Depth=1
	v_and_b32_e32 v2, 0xffff, v1
	v_or_b32_e32 v29, 0x10000, v1
	s_delay_alu instid0(VALU_DEP_2) | instskip(NEXT) | instid1(VALU_DEP_1)
	v_cmp_eq_u32_e64 s0, 0, v2
	v_cndmask_b32_e64 v29, v29, v1, s0
; %bb.91:                               ;   in Loop: Header=BB161_40 Depth=1
	s_or_b32 exec_lo, exec_lo, s10
	v_and_b32_e32 v46, 0xffff0000, v30
	v_lshlrev_b32_e32 v1, 16, v3
                                        ; implicit-def: $vgpr30
	s_delay_alu instid0(VALU_DEP_1) | instskip(NEXT) | instid1(VALU_DEP_1)
	v_mul_f32_e32 v1, v46, v1
	v_and_b32_e32 v2, 0x7f800000, v1
	s_delay_alu instid0(VALU_DEP_1) | instskip(NEXT) | instid1(VALU_DEP_1)
	v_cmp_ne_u32_e64 s0, 0x7f800000, v2
	s_and_saveexec_b32 s10, s0
	s_delay_alu instid0(SALU_CYCLE_1)
	s_xor_b32 s0, exec_lo, s10
; %bb.92:                               ;   in Loop: Header=BB161_40 Depth=1
	v_bfe_u32 v2, v1, 16, 1
	s_delay_alu instid0(VALU_DEP_1)
	v_add3_u32 v30, v1, v2, 0x7fff
                                        ; implicit-def: $vgpr1
; %bb.93:                               ;   in Loop: Header=BB161_40 Depth=1
	s_and_not1_saveexec_b32 s10, s0
; %bb.94:                               ;   in Loop: Header=BB161_40 Depth=1
	v_and_b32_e32 v2, 0xffff, v1
	v_or_b32_e32 v3, 0x10000, v1
	s_delay_alu instid0(VALU_DEP_2) | instskip(NEXT) | instid1(VALU_DEP_1)
	v_cmp_eq_u32_e64 s0, 0, v2
	v_cndmask_b32_e64 v30, v3, v1, s0
; %bb.95:                               ;   in Loop: Header=BB161_40 Depth=1
	s_or_b32 exec_lo, exec_lo, s10
	v_and_b32_e32 v47, 0xffff0000, v31
	v_lshlrev_b32_e32 v1, 16, v48
                                        ; implicit-def: $vgpr31
	s_delay_alu instid0(VALU_DEP_1) | instskip(NEXT) | instid1(VALU_DEP_1)
	v_mul_f32_e32 v1, v47, v1
	v_and_b32_e32 v2, 0x7f800000, v1
	s_delay_alu instid0(VALU_DEP_1) | instskip(NEXT) | instid1(VALU_DEP_1)
	v_cmp_ne_u32_e64 s0, 0x7f800000, v2
	s_and_saveexec_b32 s10, s0
	s_delay_alu instid0(SALU_CYCLE_1)
	s_xor_b32 s0, exec_lo, s10
; %bb.96:                               ;   in Loop: Header=BB161_40 Depth=1
	v_bfe_u32 v2, v1, 16, 1
	s_delay_alu instid0(VALU_DEP_1)
	v_add3_u32 v31, v1, v2, 0x7fff
                                        ; implicit-def: $vgpr1
; %bb.97:                               ;   in Loop: Header=BB161_40 Depth=1
	s_and_not1_saveexec_b32 s10, s0
; %bb.98:                               ;   in Loop: Header=BB161_40 Depth=1
	v_and_b32_e32 v2, 0xffff, v1
	v_or_b32_e32 v3, 0x10000, v1
	s_delay_alu instid0(VALU_DEP_2) | instskip(NEXT) | instid1(VALU_DEP_1)
	v_cmp_eq_u32_e64 s0, 0, v2
	v_cndmask_b32_e64 v31, v3, v1, s0
; %bb.99:                               ;   in Loop: Header=BB161_40 Depth=1
	s_or_b32 exec_lo, exec_lo, s10
	v_and_b32_e32 v48, 0xffff0000, v32
	v_lshlrev_b32_e32 v1, 16, v4
                                        ; implicit-def: $vgpr32
	s_delay_alu instid0(VALU_DEP_1) | instskip(NEXT) | instid1(VALU_DEP_1)
	v_mul_f32_e32 v1, v48, v1
	v_and_b32_e32 v2, 0x7f800000, v1
	s_delay_alu instid0(VALU_DEP_1) | instskip(NEXT) | instid1(VALU_DEP_1)
	v_cmp_ne_u32_e64 s0, 0x7f800000, v2
	s_and_saveexec_b32 s10, s0
	s_delay_alu instid0(SALU_CYCLE_1)
	s_xor_b32 s0, exec_lo, s10
; %bb.100:                              ;   in Loop: Header=BB161_40 Depth=1
	v_bfe_u32 v2, v1, 16, 1
	s_delay_alu instid0(VALU_DEP_1)
	v_add3_u32 v32, v1, v2, 0x7fff
                                        ; implicit-def: $vgpr1
; %bb.101:                              ;   in Loop: Header=BB161_40 Depth=1
	s_and_not1_saveexec_b32 s10, s0
; %bb.102:                              ;   in Loop: Header=BB161_40 Depth=1
	v_and_b32_e32 v2, 0xffff, v1
	v_or_b32_e32 v3, 0x10000, v1
	s_delay_alu instid0(VALU_DEP_2) | instskip(NEXT) | instid1(VALU_DEP_1)
	v_cmp_eq_u32_e64 s0, 0, v2
	v_cndmask_b32_e64 v32, v3, v1, s0
; %bb.103:                              ;   in Loop: Header=BB161_40 Depth=1
	s_or_b32 exec_lo, exec_lo, s10
	v_and_b32_e32 v49, 0xffff0000, v33
	v_lshlrev_b32_e32 v1, 16, v50
                                        ; implicit-def: $vgpr33
	s_delay_alu instid0(VALU_DEP_1) | instskip(NEXT) | instid1(VALU_DEP_1)
	v_mul_f32_e32 v1, v49, v1
	v_and_b32_e32 v2, 0x7f800000, v1
	s_delay_alu instid0(VALU_DEP_1) | instskip(NEXT) | instid1(VALU_DEP_1)
	v_cmp_ne_u32_e64 s0, 0x7f800000, v2
	s_and_saveexec_b32 s10, s0
	s_delay_alu instid0(SALU_CYCLE_1)
	s_xor_b32 s0, exec_lo, s10
; %bb.104:                              ;   in Loop: Header=BB161_40 Depth=1
	v_bfe_u32 v2, v1, 16, 1
	s_delay_alu instid0(VALU_DEP_1)
	v_add3_u32 v33, v1, v2, 0x7fff
                                        ; implicit-def: $vgpr1
; %bb.105:                              ;   in Loop: Header=BB161_40 Depth=1
	s_and_not1_saveexec_b32 s10, s0
; %bb.106:                              ;   in Loop: Header=BB161_40 Depth=1
	v_and_b32_e32 v2, 0xffff, v1
	v_or_b32_e32 v3, 0x10000, v1
	s_delay_alu instid0(VALU_DEP_2) | instskip(NEXT) | instid1(VALU_DEP_1)
	v_cmp_eq_u32_e64 s0, 0, v2
	v_cndmask_b32_e64 v33, v3, v1, s0
; %bb.107:                              ;   in Loop: Header=BB161_40 Depth=1
	s_or_b32 exec_lo, exec_lo, s10
	global_load_b128 v[1:4], v[5:6], off offset:512
	s_waitcnt vmcnt(0)
	v_lshrrev_b32_e32 v51, 16, v1
	v_lshrrev_b32_e32 v53, 16, v2
	;; [unrolled: 1-line block ×4, first 2 shown]
	s_and_saveexec_b32 s10, vcc_lo
	s_cbranch_execz .LBB161_109
; %bb.108:                              ;   in Loop: Header=BB161_40 Depth=1
	v_cmp_gt_i32_e64 s0, s33, v34
	s_delay_alu instid0(VALU_DEP_1) | instskip(SKIP_1) | instid1(VALU_DEP_1)
	v_cndmask_b32_e64 v1, 0, v1, s0
	v_cmp_gt_i32_e64 s0, s33, v41
	v_cndmask_b32_e64 v51, 0, v51, s0
	v_cmp_gt_i32_e64 s0, s33, v40
	s_delay_alu instid0(VALU_DEP_1) | instskip(SKIP_1) | instid1(VALU_DEP_1)
	v_cndmask_b32_e64 v2, 0, v2, s0
	v_cmp_gt_i32_e64 s0, s33, v38
	v_cndmask_b32_e64 v53, 0, v53, s0
	;; [unrolled: 5-line block ×4, first 2 shown]
.LBB161_109:                            ;   in Loop: Header=BB161_40 Depth=1
	s_or_b32 exec_lo, exec_lo, s10
	v_lshlrev_b32_e32 v1, 16, v1
	s_delay_alu instid0(VALU_DEP_1) | instskip(NEXT) | instid1(VALU_DEP_1)
	v_mul_f32_e32 v1, v42, v1
	v_and_b32_e32 v50, 0x7f800000, v1
	s_delay_alu instid0(VALU_DEP_1) | instskip(NEXT) | instid1(VALU_DEP_1)
	v_cmp_ne_u32_e64 s0, 0x7f800000, v50
                                        ; implicit-def: $vgpr50
	s_and_saveexec_b32 s10, s0
	s_delay_alu instid0(SALU_CYCLE_1)
	s_xor_b32 s0, exec_lo, s10
; %bb.110:                              ;   in Loop: Header=BB161_40 Depth=1
	v_bfe_u32 v50, v1, 16, 1
	s_delay_alu instid0(VALU_DEP_1)
	v_add3_u32 v50, v1, v50, 0x7fff
                                        ; implicit-def: $vgpr1
; %bb.111:                              ;   in Loop: Header=BB161_40 Depth=1
	s_and_not1_saveexec_b32 s10, s0
; %bb.112:                              ;   in Loop: Header=BB161_40 Depth=1
	v_and_b32_e32 v50, 0xffff, v1
	v_or_b32_e32 v52, 0x10000, v1
	s_delay_alu instid0(VALU_DEP_2) | instskip(NEXT) | instid1(VALU_DEP_1)
	v_cmp_eq_u32_e64 s0, 0, v50
	v_cndmask_b32_e64 v50, v52, v1, s0
; %bb.113:                              ;   in Loop: Header=BB161_40 Depth=1
	s_or_b32 exec_lo, exec_lo, s10
	v_lshlrev_b32_e32 v1, 16, v51
	s_delay_alu instid0(VALU_DEP_1) | instskip(NEXT) | instid1(VALU_DEP_1)
	v_mul_f32_e32 v1, v43, v1
	v_and_b32_e32 v51, 0x7f800000, v1
	s_delay_alu instid0(VALU_DEP_1) | instskip(NEXT) | instid1(VALU_DEP_1)
	v_cmp_ne_u32_e64 s0, 0x7f800000, v51
                                        ; implicit-def: $vgpr51
	s_and_saveexec_b32 s10, s0
	s_delay_alu instid0(SALU_CYCLE_1)
	s_xor_b32 s0, exec_lo, s10
; %bb.114:                              ;   in Loop: Header=BB161_40 Depth=1
	v_bfe_u32 v51, v1, 16, 1
	s_delay_alu instid0(VALU_DEP_1)
	v_add3_u32 v51, v1, v51, 0x7fff
                                        ; implicit-def: $vgpr1
; %bb.115:                              ;   in Loop: Header=BB161_40 Depth=1
	s_and_not1_saveexec_b32 s10, s0
; %bb.116:                              ;   in Loop: Header=BB161_40 Depth=1
	v_and_b32_e32 v51, 0xffff, v1
	v_or_b32_e32 v52, 0x10000, v1
	s_delay_alu instid0(VALU_DEP_2) | instskip(NEXT) | instid1(VALU_DEP_1)
	v_cmp_eq_u32_e64 s0, 0, v51
	v_cndmask_b32_e64 v51, v52, v1, s0
; %bb.117:                              ;   in Loop: Header=BB161_40 Depth=1
	s_or_b32 exec_lo, exec_lo, s10
	v_lshlrev_b32_e32 v1, 16, v2
                                        ; implicit-def: $vgpr52
	s_delay_alu instid0(VALU_DEP_1) | instskip(NEXT) | instid1(VALU_DEP_1)
	v_mul_f32_e32 v1, v44, v1
	v_and_b32_e32 v2, 0x7f800000, v1
	s_delay_alu instid0(VALU_DEP_1) | instskip(NEXT) | instid1(VALU_DEP_1)
	v_cmp_ne_u32_e64 s0, 0x7f800000, v2
	s_and_saveexec_b32 s10, s0
	s_delay_alu instid0(SALU_CYCLE_1)
	s_xor_b32 s0, exec_lo, s10
; %bb.118:                              ;   in Loop: Header=BB161_40 Depth=1
	v_bfe_u32 v2, v1, 16, 1
	s_delay_alu instid0(VALU_DEP_1)
	v_add3_u32 v52, v1, v2, 0x7fff
                                        ; implicit-def: $vgpr1
; %bb.119:                              ;   in Loop: Header=BB161_40 Depth=1
	s_and_not1_saveexec_b32 s10, s0
; %bb.120:                              ;   in Loop: Header=BB161_40 Depth=1
	v_and_b32_e32 v2, 0xffff, v1
	v_or_b32_e32 v52, 0x10000, v1
	s_delay_alu instid0(VALU_DEP_2) | instskip(NEXT) | instid1(VALU_DEP_1)
	v_cmp_eq_u32_e64 s0, 0, v2
	v_cndmask_b32_e64 v52, v52, v1, s0
; %bb.121:                              ;   in Loop: Header=BB161_40 Depth=1
	s_or_b32 exec_lo, exec_lo, s10
	v_lshlrev_b32_e32 v1, 16, v53
                                        ; implicit-def: $vgpr53
	s_delay_alu instid0(VALU_DEP_1) | instskip(NEXT) | instid1(VALU_DEP_1)
	v_mul_f32_e32 v1, v45, v1
	v_and_b32_e32 v2, 0x7f800000, v1
	s_delay_alu instid0(VALU_DEP_1) | instskip(NEXT) | instid1(VALU_DEP_1)
	v_cmp_ne_u32_e64 s0, 0x7f800000, v2
	s_and_saveexec_b32 s10, s0
	s_delay_alu instid0(SALU_CYCLE_1)
	s_xor_b32 s0, exec_lo, s10
; %bb.122:                              ;   in Loop: Header=BB161_40 Depth=1
	v_bfe_u32 v2, v1, 16, 1
	s_delay_alu instid0(VALU_DEP_1)
	v_add3_u32 v53, v1, v2, 0x7fff
                                        ; implicit-def: $vgpr1
; %bb.123:                              ;   in Loop: Header=BB161_40 Depth=1
	s_and_not1_saveexec_b32 s10, s0
; %bb.124:                              ;   in Loop: Header=BB161_40 Depth=1
	v_and_b32_e32 v2, 0xffff, v1
	v_or_b32_e32 v53, 0x10000, v1
	s_delay_alu instid0(VALU_DEP_2) | instskip(NEXT) | instid1(VALU_DEP_1)
	v_cmp_eq_u32_e64 s0, 0, v2
	v_cndmask_b32_e64 v53, v53, v1, s0
; %bb.125:                              ;   in Loop: Header=BB161_40 Depth=1
	s_or_b32 exec_lo, exec_lo, s10
	v_lshlrev_b32_e32 v1, 16, v3
                                        ; implicit-def: $vgpr54
	s_delay_alu instid0(VALU_DEP_1) | instskip(NEXT) | instid1(VALU_DEP_1)
	v_mul_f32_e32 v1, v46, v1
	v_and_b32_e32 v2, 0x7f800000, v1
	s_delay_alu instid0(VALU_DEP_1) | instskip(NEXT) | instid1(VALU_DEP_1)
	v_cmp_ne_u32_e64 s0, 0x7f800000, v2
	s_and_saveexec_b32 s10, s0
	s_delay_alu instid0(SALU_CYCLE_1)
	s_xor_b32 s0, exec_lo, s10
; %bb.126:                              ;   in Loop: Header=BB161_40 Depth=1
	v_bfe_u32 v2, v1, 16, 1
	s_delay_alu instid0(VALU_DEP_1)
	v_add3_u32 v54, v1, v2, 0x7fff
                                        ; implicit-def: $vgpr1
; %bb.127:                              ;   in Loop: Header=BB161_40 Depth=1
	s_and_not1_saveexec_b32 s10, s0
; %bb.128:                              ;   in Loop: Header=BB161_40 Depth=1
	v_and_b32_e32 v2, 0xffff, v1
	v_or_b32_e32 v3, 0x10000, v1
	s_delay_alu instid0(VALU_DEP_2) | instskip(NEXT) | instid1(VALU_DEP_1)
	v_cmp_eq_u32_e64 s0, 0, v2
	v_cndmask_b32_e64 v54, v3, v1, s0
; %bb.129:                              ;   in Loop: Header=BB161_40 Depth=1
	s_or_b32 exec_lo, exec_lo, s10
	v_lshlrev_b32_e32 v1, 16, v55
                                        ; implicit-def: $vgpr55
	s_delay_alu instid0(VALU_DEP_1) | instskip(NEXT) | instid1(VALU_DEP_1)
	v_mul_f32_e32 v1, v47, v1
	v_and_b32_e32 v2, 0x7f800000, v1
	s_delay_alu instid0(VALU_DEP_1) | instskip(NEXT) | instid1(VALU_DEP_1)
	v_cmp_ne_u32_e64 s0, 0x7f800000, v2
	s_and_saveexec_b32 s10, s0
	s_delay_alu instid0(SALU_CYCLE_1)
	s_xor_b32 s0, exec_lo, s10
; %bb.130:                              ;   in Loop: Header=BB161_40 Depth=1
	v_bfe_u32 v2, v1, 16, 1
	s_delay_alu instid0(VALU_DEP_1)
	v_add3_u32 v55, v1, v2, 0x7fff
                                        ; implicit-def: $vgpr1
; %bb.131:                              ;   in Loop: Header=BB161_40 Depth=1
	s_and_not1_saveexec_b32 s10, s0
; %bb.132:                              ;   in Loop: Header=BB161_40 Depth=1
	v_and_b32_e32 v2, 0xffff, v1
	v_or_b32_e32 v3, 0x10000, v1
	s_delay_alu instid0(VALU_DEP_2) | instskip(NEXT) | instid1(VALU_DEP_1)
	v_cmp_eq_u32_e64 s0, 0, v2
	v_cndmask_b32_e64 v55, v3, v1, s0
; %bb.133:                              ;   in Loop: Header=BB161_40 Depth=1
	s_or_b32 exec_lo, exec_lo, s10
	v_lshlrev_b32_e32 v1, 16, v4
                                        ; implicit-def: $vgpr56
	s_delay_alu instid0(VALU_DEP_1) | instskip(NEXT) | instid1(VALU_DEP_1)
	v_mul_f32_e32 v1, v48, v1
	v_and_b32_e32 v2, 0x7f800000, v1
	s_delay_alu instid0(VALU_DEP_1) | instskip(NEXT) | instid1(VALU_DEP_1)
	v_cmp_ne_u32_e64 s0, 0x7f800000, v2
	s_and_saveexec_b32 s10, s0
	s_delay_alu instid0(SALU_CYCLE_1)
	s_xor_b32 s0, exec_lo, s10
; %bb.134:                              ;   in Loop: Header=BB161_40 Depth=1
	v_bfe_u32 v2, v1, 16, 1
	s_delay_alu instid0(VALU_DEP_1)
	v_add3_u32 v56, v1, v2, 0x7fff
                                        ; implicit-def: $vgpr1
; %bb.135:                              ;   in Loop: Header=BB161_40 Depth=1
	s_and_not1_saveexec_b32 s10, s0
; %bb.136:                              ;   in Loop: Header=BB161_40 Depth=1
	v_and_b32_e32 v2, 0xffff, v1
	v_or_b32_e32 v3, 0x10000, v1
	s_delay_alu instid0(VALU_DEP_2) | instskip(NEXT) | instid1(VALU_DEP_1)
	v_cmp_eq_u32_e64 s0, 0, v2
	v_cndmask_b32_e64 v56, v3, v1, s0
; %bb.137:                              ;   in Loop: Header=BB161_40 Depth=1
	s_or_b32 exec_lo, exec_lo, s10
	v_lshlrev_b32_e32 v1, 16, v57
                                        ; implicit-def: $vgpr57
	s_delay_alu instid0(VALU_DEP_1) | instskip(NEXT) | instid1(VALU_DEP_1)
	v_mul_f32_e32 v1, v49, v1
	v_and_b32_e32 v2, 0x7f800000, v1
	s_delay_alu instid0(VALU_DEP_1) | instskip(NEXT) | instid1(VALU_DEP_1)
	v_cmp_ne_u32_e64 s0, 0x7f800000, v2
	s_and_saveexec_b32 s10, s0
	s_delay_alu instid0(SALU_CYCLE_1)
	s_xor_b32 s0, exec_lo, s10
; %bb.138:                              ;   in Loop: Header=BB161_40 Depth=1
	v_bfe_u32 v2, v1, 16, 1
	s_delay_alu instid0(VALU_DEP_1)
	v_add3_u32 v57, v1, v2, 0x7fff
                                        ; implicit-def: $vgpr1
; %bb.139:                              ;   in Loop: Header=BB161_40 Depth=1
	s_and_not1_saveexec_b32 s10, s0
; %bb.140:                              ;   in Loop: Header=BB161_40 Depth=1
	v_and_b32_e32 v2, 0xffff, v1
	v_or_b32_e32 v3, 0x10000, v1
	s_delay_alu instid0(VALU_DEP_2) | instskip(NEXT) | instid1(VALU_DEP_1)
	v_cmp_eq_u32_e64 s0, 0, v2
	v_cndmask_b32_e64 v57, v3, v1, s0
; %bb.141:                              ;   in Loop: Header=BB161_40 Depth=1
	s_or_b32 exec_lo, exec_lo, s10
	global_load_b128 v[1:4], v[5:6], off offset:1024
	s_waitcnt vmcnt(0)
	v_lshrrev_b32_e32 v59, 16, v1
	v_lshrrev_b32_e32 v61, 16, v2
	;; [unrolled: 1-line block ×4, first 2 shown]
	s_and_saveexec_b32 s10, vcc_lo
	s_cbranch_execz .LBB161_143
; %bb.142:                              ;   in Loop: Header=BB161_40 Depth=1
	v_cmp_gt_i32_e64 s0, s33, v34
	s_delay_alu instid0(VALU_DEP_1) | instskip(SKIP_1) | instid1(VALU_DEP_1)
	v_cndmask_b32_e64 v1, 0, v1, s0
	v_cmp_gt_i32_e64 s0, s33, v41
	v_cndmask_b32_e64 v59, 0, v59, s0
	v_cmp_gt_i32_e64 s0, s33, v40
	s_delay_alu instid0(VALU_DEP_1) | instskip(SKIP_1) | instid1(VALU_DEP_1)
	v_cndmask_b32_e64 v2, 0, v2, s0
	v_cmp_gt_i32_e64 s0, s33, v38
	v_cndmask_b32_e64 v61, 0, v61, s0
	v_cmp_gt_i32_e64 s0, s33, v37
	s_delay_alu instid0(VALU_DEP_1) | instskip(SKIP_1) | instid1(VALU_DEP_1)
	v_cndmask_b32_e64 v3, 0, v3, s0
	v_cmp_gt_i32_e64 s0, s33, v36
	v_cndmask_b32_e64 v63, 0, v63, s0
	v_cmp_gt_i32_e64 s0, s33, v35
	s_delay_alu instid0(VALU_DEP_1) | instskip(SKIP_1) | instid1(VALU_DEP_1)
	v_cndmask_b32_e64 v4, 0, v4, s0
	v_cmp_gt_i32_e64 s0, s33, v39
	v_cndmask_b32_e64 v65, 0, v65, s0
.LBB161_143:                            ;   in Loop: Header=BB161_40 Depth=1
	s_or_b32 exec_lo, exec_lo, s10
	v_lshlrev_b32_e32 v1, 16, v1
	s_delay_alu instid0(VALU_DEP_1) | instskip(NEXT) | instid1(VALU_DEP_1)
	v_mul_f32_e32 v1, v42, v1
	v_and_b32_e32 v58, 0x7f800000, v1
	s_delay_alu instid0(VALU_DEP_1) | instskip(NEXT) | instid1(VALU_DEP_1)
	v_cmp_ne_u32_e64 s0, 0x7f800000, v58
                                        ; implicit-def: $vgpr58
	s_and_saveexec_b32 s10, s0
	s_delay_alu instid0(SALU_CYCLE_1)
	s_xor_b32 s0, exec_lo, s10
; %bb.144:                              ;   in Loop: Header=BB161_40 Depth=1
	v_bfe_u32 v58, v1, 16, 1
	s_delay_alu instid0(VALU_DEP_1)
	v_add3_u32 v58, v1, v58, 0x7fff
                                        ; implicit-def: $vgpr1
; %bb.145:                              ;   in Loop: Header=BB161_40 Depth=1
	s_and_not1_saveexec_b32 s10, s0
; %bb.146:                              ;   in Loop: Header=BB161_40 Depth=1
	v_and_b32_e32 v58, 0xffff, v1
	v_or_b32_e32 v60, 0x10000, v1
	s_delay_alu instid0(VALU_DEP_2) | instskip(NEXT) | instid1(VALU_DEP_1)
	v_cmp_eq_u32_e64 s0, 0, v58
	v_cndmask_b32_e64 v58, v60, v1, s0
; %bb.147:                              ;   in Loop: Header=BB161_40 Depth=1
	s_or_b32 exec_lo, exec_lo, s10
	v_lshlrev_b32_e32 v1, 16, v59
	s_delay_alu instid0(VALU_DEP_1) | instskip(NEXT) | instid1(VALU_DEP_1)
	v_mul_f32_e32 v1, v43, v1
	v_and_b32_e32 v59, 0x7f800000, v1
	s_delay_alu instid0(VALU_DEP_1) | instskip(NEXT) | instid1(VALU_DEP_1)
	v_cmp_ne_u32_e64 s0, 0x7f800000, v59
                                        ; implicit-def: $vgpr59
	s_and_saveexec_b32 s10, s0
	s_delay_alu instid0(SALU_CYCLE_1)
	s_xor_b32 s0, exec_lo, s10
; %bb.148:                              ;   in Loop: Header=BB161_40 Depth=1
	v_bfe_u32 v59, v1, 16, 1
	s_delay_alu instid0(VALU_DEP_1)
	v_add3_u32 v59, v1, v59, 0x7fff
                                        ; implicit-def: $vgpr1
; %bb.149:                              ;   in Loop: Header=BB161_40 Depth=1
	s_and_not1_saveexec_b32 s10, s0
; %bb.150:                              ;   in Loop: Header=BB161_40 Depth=1
	v_and_b32_e32 v59, 0xffff, v1
	v_or_b32_e32 v60, 0x10000, v1
	s_delay_alu instid0(VALU_DEP_2) | instskip(NEXT) | instid1(VALU_DEP_1)
	v_cmp_eq_u32_e64 s0, 0, v59
	v_cndmask_b32_e64 v59, v60, v1, s0
; %bb.151:                              ;   in Loop: Header=BB161_40 Depth=1
	s_or_b32 exec_lo, exec_lo, s10
	v_lshlrev_b32_e32 v1, 16, v2
                                        ; implicit-def: $vgpr60
	s_delay_alu instid0(VALU_DEP_1) | instskip(NEXT) | instid1(VALU_DEP_1)
	v_mul_f32_e32 v1, v44, v1
	v_and_b32_e32 v2, 0x7f800000, v1
	s_delay_alu instid0(VALU_DEP_1) | instskip(NEXT) | instid1(VALU_DEP_1)
	v_cmp_ne_u32_e64 s0, 0x7f800000, v2
	s_and_saveexec_b32 s10, s0
	s_delay_alu instid0(SALU_CYCLE_1)
	s_xor_b32 s0, exec_lo, s10
; %bb.152:                              ;   in Loop: Header=BB161_40 Depth=1
	v_bfe_u32 v2, v1, 16, 1
	s_delay_alu instid0(VALU_DEP_1)
	v_add3_u32 v60, v1, v2, 0x7fff
                                        ; implicit-def: $vgpr1
; %bb.153:                              ;   in Loop: Header=BB161_40 Depth=1
	s_and_not1_saveexec_b32 s10, s0
; %bb.154:                              ;   in Loop: Header=BB161_40 Depth=1
	v_and_b32_e32 v2, 0xffff, v1
	v_or_b32_e32 v60, 0x10000, v1
	s_delay_alu instid0(VALU_DEP_2) | instskip(NEXT) | instid1(VALU_DEP_1)
	v_cmp_eq_u32_e64 s0, 0, v2
	v_cndmask_b32_e64 v60, v60, v1, s0
; %bb.155:                              ;   in Loop: Header=BB161_40 Depth=1
	s_or_b32 exec_lo, exec_lo, s10
	v_lshlrev_b32_e32 v1, 16, v61
                                        ; implicit-def: $vgpr61
	s_delay_alu instid0(VALU_DEP_1) | instskip(NEXT) | instid1(VALU_DEP_1)
	v_mul_f32_e32 v1, v45, v1
	v_and_b32_e32 v2, 0x7f800000, v1
	s_delay_alu instid0(VALU_DEP_1) | instskip(NEXT) | instid1(VALU_DEP_1)
	v_cmp_ne_u32_e64 s0, 0x7f800000, v2
	s_and_saveexec_b32 s10, s0
	s_delay_alu instid0(SALU_CYCLE_1)
	s_xor_b32 s0, exec_lo, s10
; %bb.156:                              ;   in Loop: Header=BB161_40 Depth=1
	v_bfe_u32 v2, v1, 16, 1
	s_delay_alu instid0(VALU_DEP_1)
	v_add3_u32 v61, v1, v2, 0x7fff
                                        ; implicit-def: $vgpr1
; %bb.157:                              ;   in Loop: Header=BB161_40 Depth=1
	s_and_not1_saveexec_b32 s10, s0
; %bb.158:                              ;   in Loop: Header=BB161_40 Depth=1
	v_and_b32_e32 v2, 0xffff, v1
	v_or_b32_e32 v61, 0x10000, v1
	s_delay_alu instid0(VALU_DEP_2) | instskip(NEXT) | instid1(VALU_DEP_1)
	v_cmp_eq_u32_e64 s0, 0, v2
	v_cndmask_b32_e64 v61, v61, v1, s0
; %bb.159:                              ;   in Loop: Header=BB161_40 Depth=1
	s_or_b32 exec_lo, exec_lo, s10
	v_lshlrev_b32_e32 v1, 16, v3
                                        ; implicit-def: $vgpr62
	s_delay_alu instid0(VALU_DEP_1) | instskip(NEXT) | instid1(VALU_DEP_1)
	v_mul_f32_e32 v1, v46, v1
	v_and_b32_e32 v2, 0x7f800000, v1
	s_delay_alu instid0(VALU_DEP_1) | instskip(NEXT) | instid1(VALU_DEP_1)
	v_cmp_ne_u32_e64 s0, 0x7f800000, v2
	s_and_saveexec_b32 s10, s0
	s_delay_alu instid0(SALU_CYCLE_1)
	s_xor_b32 s0, exec_lo, s10
; %bb.160:                              ;   in Loop: Header=BB161_40 Depth=1
	v_bfe_u32 v2, v1, 16, 1
	s_delay_alu instid0(VALU_DEP_1)
	v_add3_u32 v62, v1, v2, 0x7fff
                                        ; implicit-def: $vgpr1
; %bb.161:                              ;   in Loop: Header=BB161_40 Depth=1
	s_and_not1_saveexec_b32 s10, s0
; %bb.162:                              ;   in Loop: Header=BB161_40 Depth=1
	v_and_b32_e32 v2, 0xffff, v1
	v_or_b32_e32 v3, 0x10000, v1
	s_delay_alu instid0(VALU_DEP_2) | instskip(NEXT) | instid1(VALU_DEP_1)
	v_cmp_eq_u32_e64 s0, 0, v2
	v_cndmask_b32_e64 v62, v3, v1, s0
; %bb.163:                              ;   in Loop: Header=BB161_40 Depth=1
	s_or_b32 exec_lo, exec_lo, s10
	v_lshlrev_b32_e32 v1, 16, v63
                                        ; implicit-def: $vgpr63
	s_delay_alu instid0(VALU_DEP_1) | instskip(NEXT) | instid1(VALU_DEP_1)
	v_mul_f32_e32 v1, v47, v1
	v_and_b32_e32 v2, 0x7f800000, v1
	s_delay_alu instid0(VALU_DEP_1) | instskip(NEXT) | instid1(VALU_DEP_1)
	v_cmp_ne_u32_e64 s0, 0x7f800000, v2
	s_and_saveexec_b32 s10, s0
	s_delay_alu instid0(SALU_CYCLE_1)
	s_xor_b32 s0, exec_lo, s10
; %bb.164:                              ;   in Loop: Header=BB161_40 Depth=1
	v_bfe_u32 v2, v1, 16, 1
	s_delay_alu instid0(VALU_DEP_1)
	v_add3_u32 v63, v1, v2, 0x7fff
                                        ; implicit-def: $vgpr1
; %bb.165:                              ;   in Loop: Header=BB161_40 Depth=1
	s_and_not1_saveexec_b32 s10, s0
; %bb.166:                              ;   in Loop: Header=BB161_40 Depth=1
	v_and_b32_e32 v2, 0xffff, v1
	v_or_b32_e32 v3, 0x10000, v1
	s_delay_alu instid0(VALU_DEP_2) | instskip(NEXT) | instid1(VALU_DEP_1)
	v_cmp_eq_u32_e64 s0, 0, v2
	v_cndmask_b32_e64 v63, v3, v1, s0
; %bb.167:                              ;   in Loop: Header=BB161_40 Depth=1
	s_or_b32 exec_lo, exec_lo, s10
	v_lshlrev_b32_e32 v1, 16, v4
                                        ; implicit-def: $vgpr64
	s_delay_alu instid0(VALU_DEP_1) | instskip(NEXT) | instid1(VALU_DEP_1)
	v_mul_f32_e32 v1, v48, v1
	v_and_b32_e32 v2, 0x7f800000, v1
	s_delay_alu instid0(VALU_DEP_1) | instskip(NEXT) | instid1(VALU_DEP_1)
	v_cmp_ne_u32_e64 s0, 0x7f800000, v2
	s_and_saveexec_b32 s10, s0
	s_delay_alu instid0(SALU_CYCLE_1)
	s_xor_b32 s0, exec_lo, s10
; %bb.168:                              ;   in Loop: Header=BB161_40 Depth=1
	v_bfe_u32 v2, v1, 16, 1
	s_delay_alu instid0(VALU_DEP_1)
	v_add3_u32 v64, v1, v2, 0x7fff
                                        ; implicit-def: $vgpr1
; %bb.169:                              ;   in Loop: Header=BB161_40 Depth=1
	s_and_not1_saveexec_b32 s10, s0
; %bb.170:                              ;   in Loop: Header=BB161_40 Depth=1
	v_and_b32_e32 v2, 0xffff, v1
	v_or_b32_e32 v3, 0x10000, v1
	s_delay_alu instid0(VALU_DEP_2) | instskip(NEXT) | instid1(VALU_DEP_1)
	v_cmp_eq_u32_e64 s0, 0, v2
	v_cndmask_b32_e64 v64, v3, v1, s0
; %bb.171:                              ;   in Loop: Header=BB161_40 Depth=1
	s_or_b32 exec_lo, exec_lo, s10
	v_lshlrev_b32_e32 v1, 16, v65
                                        ; implicit-def: $vgpr65
	s_delay_alu instid0(VALU_DEP_1) | instskip(NEXT) | instid1(VALU_DEP_1)
	v_mul_f32_e32 v1, v49, v1
	v_and_b32_e32 v2, 0x7f800000, v1
	s_delay_alu instid0(VALU_DEP_1) | instskip(NEXT) | instid1(VALU_DEP_1)
	v_cmp_ne_u32_e64 s0, 0x7f800000, v2
	s_and_saveexec_b32 s10, s0
	s_delay_alu instid0(SALU_CYCLE_1)
	s_xor_b32 s0, exec_lo, s10
; %bb.172:                              ;   in Loop: Header=BB161_40 Depth=1
	v_bfe_u32 v2, v1, 16, 1
	s_delay_alu instid0(VALU_DEP_1)
	v_add3_u32 v65, v1, v2, 0x7fff
                                        ; implicit-def: $vgpr1
; %bb.173:                              ;   in Loop: Header=BB161_40 Depth=1
	s_and_not1_saveexec_b32 s10, s0
; %bb.174:                              ;   in Loop: Header=BB161_40 Depth=1
	v_and_b32_e32 v2, 0xffff, v1
	v_or_b32_e32 v3, 0x10000, v1
	s_delay_alu instid0(VALU_DEP_2) | instskip(NEXT) | instid1(VALU_DEP_1)
	v_cmp_eq_u32_e64 s0, 0, v2
	v_cndmask_b32_e64 v65, v3, v1, s0
; %bb.175:                              ;   in Loop: Header=BB161_40 Depth=1
	s_or_b32 exec_lo, exec_lo, s10
	global_load_b128 v[1:4], v[5:6], off offset:1536
	s_waitcnt vmcnt(0)
	v_lshrrev_b32_e32 v67, 16, v1
	v_lshrrev_b32_e32 v69, 16, v2
	;; [unrolled: 1-line block ×4, first 2 shown]
	s_and_saveexec_b32 s10, vcc_lo
	s_cbranch_execz .LBB161_177
; %bb.176:                              ;   in Loop: Header=BB161_40 Depth=1
	v_cmp_gt_i32_e64 s0, s33, v34
	s_delay_alu instid0(VALU_DEP_1) | instskip(SKIP_1) | instid1(VALU_DEP_1)
	v_cndmask_b32_e64 v1, 0, v1, s0
	v_cmp_gt_i32_e64 s0, s33, v41
	v_cndmask_b32_e64 v67, 0, v67, s0
	v_cmp_gt_i32_e64 s0, s33, v40
	s_delay_alu instid0(VALU_DEP_1) | instskip(SKIP_1) | instid1(VALU_DEP_1)
	v_cndmask_b32_e64 v2, 0, v2, s0
	v_cmp_gt_i32_e64 s0, s33, v38
	v_cndmask_b32_e64 v69, 0, v69, s0
	v_cmp_gt_i32_e64 s0, s33, v37
	s_delay_alu instid0(VALU_DEP_1) | instskip(SKIP_1) | instid1(VALU_DEP_1)
	v_cndmask_b32_e64 v3, 0, v3, s0
	v_cmp_gt_i32_e64 s0, s33, v36
	v_cndmask_b32_e64 v71, 0, v71, s0
	v_cmp_gt_i32_e64 s0, s33, v35
	s_delay_alu instid0(VALU_DEP_1) | instskip(SKIP_1) | instid1(VALU_DEP_1)
	v_cndmask_b32_e64 v4, 0, v4, s0
	v_cmp_gt_i32_e64 s0, s33, v39
	v_cndmask_b32_e64 v73, 0, v73, s0
.LBB161_177:                            ;   in Loop: Header=BB161_40 Depth=1
	s_or_b32 exec_lo, exec_lo, s10
	v_lshlrev_b32_e32 v1, 16, v1
	s_delay_alu instid0(VALU_DEP_1) | instskip(NEXT) | instid1(VALU_DEP_1)
	v_mul_f32_e32 v1, v42, v1
	v_and_b32_e32 v66, 0x7f800000, v1
	s_delay_alu instid0(VALU_DEP_1) | instskip(NEXT) | instid1(VALU_DEP_1)
	v_cmp_ne_u32_e64 s0, 0x7f800000, v66
                                        ; implicit-def: $vgpr66
	s_and_saveexec_b32 s10, s0
	s_delay_alu instid0(SALU_CYCLE_1)
	s_xor_b32 s0, exec_lo, s10
; %bb.178:                              ;   in Loop: Header=BB161_40 Depth=1
	v_bfe_u32 v66, v1, 16, 1
	s_delay_alu instid0(VALU_DEP_1)
	v_add3_u32 v66, v1, v66, 0x7fff
                                        ; implicit-def: $vgpr1
; %bb.179:                              ;   in Loop: Header=BB161_40 Depth=1
	s_and_not1_saveexec_b32 s10, s0
; %bb.180:                              ;   in Loop: Header=BB161_40 Depth=1
	v_and_b32_e32 v66, 0xffff, v1
	v_or_b32_e32 v68, 0x10000, v1
	s_delay_alu instid0(VALU_DEP_2) | instskip(NEXT) | instid1(VALU_DEP_1)
	v_cmp_eq_u32_e64 s0, 0, v66
	v_cndmask_b32_e64 v66, v68, v1, s0
; %bb.181:                              ;   in Loop: Header=BB161_40 Depth=1
	s_or_b32 exec_lo, exec_lo, s10
	v_lshlrev_b32_e32 v1, 16, v67
	s_delay_alu instid0(VALU_DEP_1) | instskip(NEXT) | instid1(VALU_DEP_1)
	v_mul_f32_e32 v1, v43, v1
	v_and_b32_e32 v67, 0x7f800000, v1
	s_delay_alu instid0(VALU_DEP_1) | instskip(NEXT) | instid1(VALU_DEP_1)
	v_cmp_ne_u32_e64 s0, 0x7f800000, v67
                                        ; implicit-def: $vgpr67
	s_and_saveexec_b32 s10, s0
	s_delay_alu instid0(SALU_CYCLE_1)
	s_xor_b32 s0, exec_lo, s10
; %bb.182:                              ;   in Loop: Header=BB161_40 Depth=1
	v_bfe_u32 v67, v1, 16, 1
	s_delay_alu instid0(VALU_DEP_1)
	v_add3_u32 v67, v1, v67, 0x7fff
                                        ; implicit-def: $vgpr1
; %bb.183:                              ;   in Loop: Header=BB161_40 Depth=1
	s_and_not1_saveexec_b32 s10, s0
; %bb.184:                              ;   in Loop: Header=BB161_40 Depth=1
	v_and_b32_e32 v67, 0xffff, v1
	v_or_b32_e32 v68, 0x10000, v1
	s_delay_alu instid0(VALU_DEP_2) | instskip(NEXT) | instid1(VALU_DEP_1)
	v_cmp_eq_u32_e64 s0, 0, v67
	v_cndmask_b32_e64 v67, v68, v1, s0
; %bb.185:                              ;   in Loop: Header=BB161_40 Depth=1
	s_or_b32 exec_lo, exec_lo, s10
	v_lshlrev_b32_e32 v1, 16, v2
                                        ; implicit-def: $vgpr68
	s_delay_alu instid0(VALU_DEP_1) | instskip(NEXT) | instid1(VALU_DEP_1)
	v_mul_f32_e32 v1, v44, v1
	v_and_b32_e32 v2, 0x7f800000, v1
	s_delay_alu instid0(VALU_DEP_1) | instskip(NEXT) | instid1(VALU_DEP_1)
	v_cmp_ne_u32_e64 s0, 0x7f800000, v2
	s_and_saveexec_b32 s10, s0
	s_delay_alu instid0(SALU_CYCLE_1)
	s_xor_b32 s0, exec_lo, s10
; %bb.186:                              ;   in Loop: Header=BB161_40 Depth=1
	v_bfe_u32 v2, v1, 16, 1
	s_delay_alu instid0(VALU_DEP_1)
	v_add3_u32 v68, v1, v2, 0x7fff
                                        ; implicit-def: $vgpr1
; %bb.187:                              ;   in Loop: Header=BB161_40 Depth=1
	s_and_not1_saveexec_b32 s10, s0
; %bb.188:                              ;   in Loop: Header=BB161_40 Depth=1
	v_and_b32_e32 v2, 0xffff, v1
	v_or_b32_e32 v68, 0x10000, v1
	s_delay_alu instid0(VALU_DEP_2) | instskip(NEXT) | instid1(VALU_DEP_1)
	v_cmp_eq_u32_e64 s0, 0, v2
	v_cndmask_b32_e64 v68, v68, v1, s0
; %bb.189:                              ;   in Loop: Header=BB161_40 Depth=1
	s_or_b32 exec_lo, exec_lo, s10
	v_lshlrev_b32_e32 v1, 16, v69
                                        ; implicit-def: $vgpr69
	s_delay_alu instid0(VALU_DEP_1) | instskip(NEXT) | instid1(VALU_DEP_1)
	v_mul_f32_e32 v1, v45, v1
	v_and_b32_e32 v2, 0x7f800000, v1
	s_delay_alu instid0(VALU_DEP_1) | instskip(NEXT) | instid1(VALU_DEP_1)
	v_cmp_ne_u32_e64 s0, 0x7f800000, v2
	s_and_saveexec_b32 s10, s0
	s_delay_alu instid0(SALU_CYCLE_1)
	s_xor_b32 s0, exec_lo, s10
; %bb.190:                              ;   in Loop: Header=BB161_40 Depth=1
	v_bfe_u32 v2, v1, 16, 1
	s_delay_alu instid0(VALU_DEP_1)
	v_add3_u32 v69, v1, v2, 0x7fff
                                        ; implicit-def: $vgpr1
; %bb.191:                              ;   in Loop: Header=BB161_40 Depth=1
	s_and_not1_saveexec_b32 s10, s0
; %bb.192:                              ;   in Loop: Header=BB161_40 Depth=1
	v_and_b32_e32 v2, 0xffff, v1
	v_or_b32_e32 v69, 0x10000, v1
	s_delay_alu instid0(VALU_DEP_2) | instskip(NEXT) | instid1(VALU_DEP_1)
	v_cmp_eq_u32_e64 s0, 0, v2
	v_cndmask_b32_e64 v69, v69, v1, s0
; %bb.193:                              ;   in Loop: Header=BB161_40 Depth=1
	s_or_b32 exec_lo, exec_lo, s10
	v_lshlrev_b32_e32 v1, 16, v3
                                        ; implicit-def: $vgpr70
	s_delay_alu instid0(VALU_DEP_1) | instskip(NEXT) | instid1(VALU_DEP_1)
	v_mul_f32_e32 v1, v46, v1
	v_and_b32_e32 v2, 0x7f800000, v1
	s_delay_alu instid0(VALU_DEP_1) | instskip(NEXT) | instid1(VALU_DEP_1)
	v_cmp_ne_u32_e64 s0, 0x7f800000, v2
	s_and_saveexec_b32 s10, s0
	s_delay_alu instid0(SALU_CYCLE_1)
	s_xor_b32 s0, exec_lo, s10
; %bb.194:                              ;   in Loop: Header=BB161_40 Depth=1
	v_bfe_u32 v2, v1, 16, 1
	s_delay_alu instid0(VALU_DEP_1)
	v_add3_u32 v70, v1, v2, 0x7fff
                                        ; implicit-def: $vgpr1
; %bb.195:                              ;   in Loop: Header=BB161_40 Depth=1
	s_and_not1_saveexec_b32 s10, s0
; %bb.196:                              ;   in Loop: Header=BB161_40 Depth=1
	v_and_b32_e32 v2, 0xffff, v1
	v_or_b32_e32 v3, 0x10000, v1
	s_delay_alu instid0(VALU_DEP_2) | instskip(NEXT) | instid1(VALU_DEP_1)
	v_cmp_eq_u32_e64 s0, 0, v2
	v_cndmask_b32_e64 v70, v3, v1, s0
; %bb.197:                              ;   in Loop: Header=BB161_40 Depth=1
	s_or_b32 exec_lo, exec_lo, s10
	v_lshlrev_b32_e32 v1, 16, v71
                                        ; implicit-def: $vgpr71
	s_delay_alu instid0(VALU_DEP_1) | instskip(NEXT) | instid1(VALU_DEP_1)
	v_mul_f32_e32 v1, v47, v1
	v_and_b32_e32 v2, 0x7f800000, v1
	s_delay_alu instid0(VALU_DEP_1) | instskip(NEXT) | instid1(VALU_DEP_1)
	v_cmp_ne_u32_e64 s0, 0x7f800000, v2
	s_and_saveexec_b32 s10, s0
	s_delay_alu instid0(SALU_CYCLE_1)
	s_xor_b32 s0, exec_lo, s10
; %bb.198:                              ;   in Loop: Header=BB161_40 Depth=1
	v_bfe_u32 v2, v1, 16, 1
	s_delay_alu instid0(VALU_DEP_1)
	v_add3_u32 v71, v1, v2, 0x7fff
                                        ; implicit-def: $vgpr1
; %bb.199:                              ;   in Loop: Header=BB161_40 Depth=1
	s_and_not1_saveexec_b32 s10, s0
; %bb.200:                              ;   in Loop: Header=BB161_40 Depth=1
	v_and_b32_e32 v2, 0xffff, v1
	v_or_b32_e32 v3, 0x10000, v1
	s_delay_alu instid0(VALU_DEP_2) | instskip(NEXT) | instid1(VALU_DEP_1)
	v_cmp_eq_u32_e64 s0, 0, v2
	v_cndmask_b32_e64 v71, v3, v1, s0
; %bb.201:                              ;   in Loop: Header=BB161_40 Depth=1
	s_or_b32 exec_lo, exec_lo, s10
	v_lshlrev_b32_e32 v1, 16, v4
                                        ; implicit-def: $vgpr72
	s_delay_alu instid0(VALU_DEP_1) | instskip(NEXT) | instid1(VALU_DEP_1)
	v_mul_f32_e32 v1, v48, v1
	v_and_b32_e32 v2, 0x7f800000, v1
	s_delay_alu instid0(VALU_DEP_1) | instskip(NEXT) | instid1(VALU_DEP_1)
	v_cmp_ne_u32_e64 s0, 0x7f800000, v2
	s_and_saveexec_b32 s10, s0
	s_delay_alu instid0(SALU_CYCLE_1)
	s_xor_b32 s0, exec_lo, s10
; %bb.202:                              ;   in Loop: Header=BB161_40 Depth=1
	v_bfe_u32 v2, v1, 16, 1
	s_delay_alu instid0(VALU_DEP_1)
	v_add3_u32 v72, v1, v2, 0x7fff
                                        ; implicit-def: $vgpr1
; %bb.203:                              ;   in Loop: Header=BB161_40 Depth=1
	s_and_not1_saveexec_b32 s10, s0
; %bb.204:                              ;   in Loop: Header=BB161_40 Depth=1
	v_and_b32_e32 v2, 0xffff, v1
	v_or_b32_e32 v3, 0x10000, v1
	s_delay_alu instid0(VALU_DEP_2) | instskip(NEXT) | instid1(VALU_DEP_1)
	v_cmp_eq_u32_e64 s0, 0, v2
	v_cndmask_b32_e64 v72, v3, v1, s0
; %bb.205:                              ;   in Loop: Header=BB161_40 Depth=1
	s_or_b32 exec_lo, exec_lo, s10
	v_lshlrev_b32_e32 v1, 16, v73
                                        ; implicit-def: $vgpr73
	s_delay_alu instid0(VALU_DEP_1) | instskip(NEXT) | instid1(VALU_DEP_1)
	v_mul_f32_e32 v1, v49, v1
	v_and_b32_e32 v2, 0x7f800000, v1
	s_delay_alu instid0(VALU_DEP_1) | instskip(NEXT) | instid1(VALU_DEP_1)
	v_cmp_ne_u32_e64 s0, 0x7f800000, v2
	s_and_saveexec_b32 s10, s0
	s_delay_alu instid0(SALU_CYCLE_1)
	s_xor_b32 s0, exec_lo, s10
; %bb.206:                              ;   in Loop: Header=BB161_40 Depth=1
	v_bfe_u32 v2, v1, 16, 1
	s_delay_alu instid0(VALU_DEP_1)
	v_add3_u32 v73, v1, v2, 0x7fff
                                        ; implicit-def: $vgpr1
; %bb.207:                              ;   in Loop: Header=BB161_40 Depth=1
	s_and_not1_saveexec_b32 s10, s0
; %bb.208:                              ;   in Loop: Header=BB161_40 Depth=1
	v_and_b32_e32 v2, 0xffff, v1
	v_or_b32_e32 v3, 0x10000, v1
	s_delay_alu instid0(VALU_DEP_2) | instskip(NEXT) | instid1(VALU_DEP_1)
	v_cmp_eq_u32_e64 s0, 0, v2
	v_cndmask_b32_e64 v73, v3, v1, s0
; %bb.209:                              ;   in Loop: Header=BB161_40 Depth=1
	s_or_b32 exec_lo, exec_lo, s10
	global_load_b128 v[1:4], v[5:6], off offset:2048
	s_waitcnt vmcnt(0)
	v_lshrrev_b32_e32 v5, 16, v1
	v_lshrrev_b32_e32 v75, 16, v2
	;; [unrolled: 1-line block ×4, first 2 shown]
	s_and_saveexec_b32 s0, vcc_lo
	s_cbranch_execz .LBB161_211
; %bb.210:                              ;   in Loop: Header=BB161_40 Depth=1
	v_cmp_gt_i32_e32 vcc_lo, s33, v34
	v_cndmask_b32_e32 v1, 0, v1, vcc_lo
	v_cmp_gt_i32_e32 vcc_lo, s33, v41
	v_cndmask_b32_e32 v5, 0, v5, vcc_lo
	;; [unrolled: 2-line block ×8, first 2 shown]
.LBB161_211:                            ;   in Loop: Header=BB161_40 Depth=1
	s_or_b32 exec_lo, exec_lo, s0
	v_lshlrev_b32_e32 v1, 16, v1
	s_delay_alu instid0(VALU_DEP_1) | instskip(NEXT) | instid1(VALU_DEP_1)
	v_mul_f32_e32 v34, v42, v1
	v_and_b32_e32 v1, 0x7f800000, v34
	s_delay_alu instid0(VALU_DEP_1) | instskip(SKIP_1) | instid1(SALU_CYCLE_1)
	v_cmp_ne_u32_e32 vcc_lo, 0x7f800000, v1
                                        ; implicit-def: $vgpr1
	s_and_saveexec_b32 s0, vcc_lo
	s_xor_b32 s0, exec_lo, s0
; %bb.212:                              ;   in Loop: Header=BB161_40 Depth=1
	v_bfe_u32 v1, v34, 16, 1
	s_delay_alu instid0(VALU_DEP_1)
	v_add3_u32 v1, v34, v1, 0x7fff
                                        ; implicit-def: $vgpr34
; %bb.213:                              ;   in Loop: Header=BB161_40 Depth=1
	s_and_not1_saveexec_b32 s0, s0
; %bb.214:                              ;   in Loop: Header=BB161_40 Depth=1
	v_and_b32_e32 v1, 0xffff, v34
	v_or_b32_e32 v35, 0x10000, v34
	s_delay_alu instid0(VALU_DEP_2) | instskip(NEXT) | instid1(VALU_DEP_2)
	v_cmp_eq_u32_e32 vcc_lo, 0, v1
	v_cndmask_b32_e32 v1, v35, v34, vcc_lo
; %bb.215:                              ;   in Loop: Header=BB161_40 Depth=1
	s_or_b32 exec_lo, exec_lo, s0
	v_lshlrev_b32_e32 v5, 16, v5
	s_delay_alu instid0(VALU_DEP_1) | instskip(NEXT) | instid1(VALU_DEP_1)
	v_mul_f32_e32 v34, v43, v5
	v_and_b32_e32 v5, 0x7f800000, v34
	s_delay_alu instid0(VALU_DEP_1) | instskip(SKIP_1) | instid1(SALU_CYCLE_1)
	v_cmp_ne_u32_e32 vcc_lo, 0x7f800000, v5
                                        ; implicit-def: $vgpr5
	s_and_saveexec_b32 s0, vcc_lo
	s_xor_b32 s0, exec_lo, s0
; %bb.216:                              ;   in Loop: Header=BB161_40 Depth=1
	v_bfe_u32 v5, v34, 16, 1
	s_delay_alu instid0(VALU_DEP_1)
	v_add3_u32 v5, v34, v5, 0x7fff
                                        ; implicit-def: $vgpr34
; %bb.217:                              ;   in Loop: Header=BB161_40 Depth=1
	s_and_not1_saveexec_b32 s0, s0
; %bb.218:                              ;   in Loop: Header=BB161_40 Depth=1
	v_and_b32_e32 v5, 0xffff, v34
	v_or_b32_e32 v35, 0x10000, v34
	s_delay_alu instid0(VALU_DEP_2) | instskip(NEXT) | instid1(VALU_DEP_2)
	v_cmp_eq_u32_e32 vcc_lo, 0, v5
	v_cndmask_b32_e32 v5, v35, v34, vcc_lo
; %bb.219:                              ;   in Loop: Header=BB161_40 Depth=1
	s_or_b32 exec_lo, exec_lo, s0
	v_lshlrev_b32_e32 v2, 16, v2
	s_delay_alu instid0(VALU_DEP_1) | instskip(NEXT) | instid1(VALU_DEP_1)
	v_mul_f32_e32 v34, v44, v2
	v_and_b32_e32 v2, 0x7f800000, v34
	s_delay_alu instid0(VALU_DEP_1) | instskip(SKIP_1) | instid1(SALU_CYCLE_1)
	v_cmp_ne_u32_e32 vcc_lo, 0x7f800000, v2
                                        ; implicit-def: $vgpr2
	s_and_saveexec_b32 s0, vcc_lo
	s_xor_b32 s0, exec_lo, s0
; %bb.220:                              ;   in Loop: Header=BB161_40 Depth=1
	v_bfe_u32 v2, v34, 16, 1
	s_delay_alu instid0(VALU_DEP_1)
	v_add3_u32 v2, v34, v2, 0x7fff
                                        ; implicit-def: $vgpr34
; %bb.221:                              ;   in Loop: Header=BB161_40 Depth=1
	s_and_not1_saveexec_b32 s0, s0
; %bb.222:                              ;   in Loop: Header=BB161_40 Depth=1
	v_and_b32_e32 v2, 0xffff, v34
	v_or_b32_e32 v35, 0x10000, v34
	s_delay_alu instid0(VALU_DEP_2) | instskip(NEXT) | instid1(VALU_DEP_2)
	v_cmp_eq_u32_e32 vcc_lo, 0, v2
	v_cndmask_b32_e32 v2, v35, v34, vcc_lo
; %bb.223:                              ;   in Loop: Header=BB161_40 Depth=1
	s_or_b32 exec_lo, exec_lo, s0
	v_lshlrev_b32_e32 v34, 16, v75
	s_delay_alu instid0(VALU_DEP_1) | instskip(NEXT) | instid1(VALU_DEP_1)
	v_mul_f32_e32 v35, v45, v34
	v_and_b32_e32 v34, 0x7f800000, v35
	s_delay_alu instid0(VALU_DEP_1) | instskip(SKIP_1) | instid1(SALU_CYCLE_1)
	v_cmp_ne_u32_e32 vcc_lo, 0x7f800000, v34
                                        ; implicit-def: $vgpr34
	s_and_saveexec_b32 s0, vcc_lo
	s_xor_b32 s0, exec_lo, s0
; %bb.224:                              ;   in Loop: Header=BB161_40 Depth=1
	v_bfe_u32 v34, v35, 16, 1
	s_delay_alu instid0(VALU_DEP_1)
	v_add3_u32 v34, v35, v34, 0x7fff
                                        ; implicit-def: $vgpr35
; %bb.225:                              ;   in Loop: Header=BB161_40 Depth=1
	s_and_not1_saveexec_b32 s0, s0
; %bb.226:                              ;   in Loop: Header=BB161_40 Depth=1
	v_and_b32_e32 v34, 0xffff, v35
	v_or_b32_e32 v36, 0x10000, v35
	s_delay_alu instid0(VALU_DEP_2) | instskip(NEXT) | instid1(VALU_DEP_2)
	v_cmp_eq_u32_e32 vcc_lo, 0, v34
	v_cndmask_b32_e32 v34, v36, v35, vcc_lo
; %bb.227:                              ;   in Loop: Header=BB161_40 Depth=1
	s_or_b32 exec_lo, exec_lo, s0
	v_lshlrev_b32_e32 v3, 16, v3
	s_delay_alu instid0(VALU_DEP_1) | instskip(NEXT) | instid1(VALU_DEP_1)
	v_mul_f32_e32 v35, v46, v3
	v_and_b32_e32 v3, 0x7f800000, v35
	s_delay_alu instid0(VALU_DEP_1) | instskip(SKIP_1) | instid1(SALU_CYCLE_1)
	v_cmp_ne_u32_e32 vcc_lo, 0x7f800000, v3
                                        ; implicit-def: $vgpr3
	s_and_saveexec_b32 s0, vcc_lo
	s_xor_b32 s0, exec_lo, s0
; %bb.228:                              ;   in Loop: Header=BB161_40 Depth=1
	v_bfe_u32 v3, v35, 16, 1
	s_delay_alu instid0(VALU_DEP_1)
	v_add3_u32 v3, v35, v3, 0x7fff
                                        ; implicit-def: $vgpr35
; %bb.229:                              ;   in Loop: Header=BB161_40 Depth=1
	s_and_not1_saveexec_b32 s0, s0
; %bb.230:                              ;   in Loop: Header=BB161_40 Depth=1
	v_and_b32_e32 v3, 0xffff, v35
	v_or_b32_e32 v36, 0x10000, v35
	s_delay_alu instid0(VALU_DEP_2) | instskip(NEXT) | instid1(VALU_DEP_2)
	v_cmp_eq_u32_e32 vcc_lo, 0, v3
	v_cndmask_b32_e32 v3, v36, v35, vcc_lo
; %bb.231:                              ;   in Loop: Header=BB161_40 Depth=1
	s_or_b32 exec_lo, exec_lo, s0
	v_lshlrev_b32_e32 v35, 16, v74
	s_delay_alu instid0(VALU_DEP_1) | instskip(NEXT) | instid1(VALU_DEP_1)
	v_mul_f32_e32 v36, v47, v35
	v_and_b32_e32 v35, 0x7f800000, v36
	s_delay_alu instid0(VALU_DEP_1) | instskip(SKIP_1) | instid1(SALU_CYCLE_1)
	v_cmp_ne_u32_e32 vcc_lo, 0x7f800000, v35
                                        ; implicit-def: $vgpr35
	s_and_saveexec_b32 s0, vcc_lo
	s_xor_b32 s0, exec_lo, s0
; %bb.232:                              ;   in Loop: Header=BB161_40 Depth=1
	v_bfe_u32 v35, v36, 16, 1
	s_delay_alu instid0(VALU_DEP_1)
	v_add3_u32 v35, v36, v35, 0x7fff
                                        ; implicit-def: $vgpr36
; %bb.233:                              ;   in Loop: Header=BB161_40 Depth=1
	s_and_not1_saveexec_b32 s0, s0
; %bb.234:                              ;   in Loop: Header=BB161_40 Depth=1
	v_and_b32_e32 v35, 0xffff, v36
	v_or_b32_e32 v37, 0x10000, v36
	s_delay_alu instid0(VALU_DEP_2) | instskip(NEXT) | instid1(VALU_DEP_2)
	v_cmp_eq_u32_e32 vcc_lo, 0, v35
	v_cndmask_b32_e32 v35, v37, v36, vcc_lo
; %bb.235:                              ;   in Loop: Header=BB161_40 Depth=1
	s_or_b32 exec_lo, exec_lo, s0
	v_lshlrev_b32_e32 v4, 16, v4
	s_delay_alu instid0(VALU_DEP_1) | instskip(NEXT) | instid1(VALU_DEP_1)
	v_mul_f32_e32 v36, v48, v4
	v_and_b32_e32 v4, 0x7f800000, v36
	s_delay_alu instid0(VALU_DEP_1) | instskip(SKIP_1) | instid1(SALU_CYCLE_1)
	v_cmp_ne_u32_e32 vcc_lo, 0x7f800000, v4
                                        ; implicit-def: $vgpr4
	s_and_saveexec_b32 s0, vcc_lo
	s_xor_b32 s0, exec_lo, s0
; %bb.236:                              ;   in Loop: Header=BB161_40 Depth=1
	v_bfe_u32 v4, v36, 16, 1
	s_delay_alu instid0(VALU_DEP_1)
	v_add3_u32 v4, v36, v4, 0x7fff
                                        ; implicit-def: $vgpr36
; %bb.237:                              ;   in Loop: Header=BB161_40 Depth=1
	s_and_not1_saveexec_b32 s0, s0
; %bb.238:                              ;   in Loop: Header=BB161_40 Depth=1
	v_and_b32_e32 v4, 0xffff, v36
	v_or_b32_e32 v37, 0x10000, v36
	s_delay_alu instid0(VALU_DEP_2) | instskip(NEXT) | instid1(VALU_DEP_2)
	v_cmp_eq_u32_e32 vcc_lo, 0, v4
	v_cndmask_b32_e32 v4, v37, v36, vcc_lo
; %bb.239:                              ;   in Loop: Header=BB161_40 Depth=1
	s_or_b32 exec_lo, exec_lo, s0
	v_lshlrev_b32_e32 v6, 16, v6
	s_delay_alu instid0(VALU_DEP_1) | instskip(NEXT) | instid1(VALU_DEP_1)
	v_mul_f32_e32 v36, v49, v6
	v_and_b32_e32 v6, 0x7f800000, v36
	s_delay_alu instid0(VALU_DEP_1) | instskip(SKIP_1) | instid1(SALU_CYCLE_1)
	v_cmp_ne_u32_e32 vcc_lo, 0x7f800000, v6
                                        ; implicit-def: $vgpr6
	s_and_saveexec_b32 s0, vcc_lo
	s_xor_b32 s0, exec_lo, s0
; %bb.240:                              ;   in Loop: Header=BB161_40 Depth=1
	v_bfe_u32 v6, v36, 16, 1
	s_delay_alu instid0(VALU_DEP_1)
	v_add3_u32 v6, v36, v6, 0x7fff
                                        ; implicit-def: $vgpr36
; %bb.241:                              ;   in Loop: Header=BB161_40 Depth=1
	s_and_not1_saveexec_b32 s0, s0
	s_cbranch_execz .LBB161_38
; %bb.242:                              ;   in Loop: Header=BB161_40 Depth=1
	v_and_b32_e32 v6, 0xffff, v36
	v_or_b32_e32 v37, 0x10000, v36
	s_delay_alu instid0(VALU_DEP_2) | instskip(NEXT) | instid1(VALU_DEP_2)
	v_cmp_eq_u32_e32 vcc_lo, 0, v6
	v_cndmask_b32_e32 v6, v37, v36, vcc_lo
	s_branch .LBB161_38
.LBB161_243:
	s_or_b32 exec_lo, exec_lo, s3
.LBB161_244:
	s_delay_alu instid0(SALU_CYCLE_1)
	s_or_b32 exec_lo, exec_lo, s1
	ds_bpermute_b32 v1, v17, v18
	ds_bpermute_b32 v2, v17, v19
	;; [unrolled: 1-line block ×5, first 2 shown]
	v_and_b32_e32 v3, 0x3c1, v0
	v_lshrrev_b32_e32 v6, 1, v16
	s_movk_i32 s0, 0x140
	s_waitcnt lgkmcnt(0)
	s_waitcnt_vscnt null, 0x0
	v_mad_u32_u24 v7, v14, s0, 0xc0
	v_cmp_eq_u32_e32 vcc_lo, 64, v3
	s_barrier
	buffer_gl0_inv
	v_add_f32_e32 v5, v18, v1
	v_dual_add_f32 v3, v19, v2 :: v_dual_add_f32 v2, v20, v4
	v_dual_add_f32 v1, v21, v8 :: v_dual_lshlrev_b32 v8, 2, v6
	v_add_f32_e32 v4, v22, v9
	s_and_saveexec_b32 s0, vcc_lo
	s_cbranch_execz .LBB161_246
; %bb.245:
	s_delay_alu instid0(VALU_DEP_2)
	v_add3_u32 v9, v7, v8, 0xfffffd80
	ds_store_2addr_b32 v9, v5, v3 offset1:16
	ds_store_2addr_b32 v9, v2, v1 offset0:32 offset1:48
	ds_store_b32 v9, v4 offset:256
.LBB161_246:
	s_or_b32 exec_lo, exec_lo, s0
	v_cmp_eq_u32_e32 vcc_lo, 0, v13
	s_mov_b32 s1, exec_lo
	s_waitcnt lgkmcnt(0)
	s_barrier
	buffer_gl0_inv
	v_cmpx_gt_u32_e32 64, v0
	s_cbranch_execz .LBB161_254
; %bb.247:
	s_and_saveexec_b32 s0, vcc_lo
	s_cbranch_execnz .LBB161_288
; %bb.248:
	s_or_b32 exec_lo, exec_lo, s0
	s_and_saveexec_b32 s0, vcc_lo
	s_cbranch_execnz .LBB161_289
.LBB161_249:
	s_or_b32 exec_lo, exec_lo, s0
	s_and_saveexec_b32 s0, vcc_lo
	s_cbranch_execnz .LBB161_290
.LBB161_250:
	s_or_b32 exec_lo, exec_lo, s0
	s_and_saveexec_b32 s0, vcc_lo
	s_cbranch_execnz .LBB161_291
.LBB161_251:
	s_or_b32 exec_lo, exec_lo, s0
	s_and_saveexec_b32 s0, vcc_lo
	s_cbranch_execz .LBB161_253
.LBB161_252:
	v_lshl_add_u32 v9, v6, 2, v7
	ds_load_b32 v9, v9 offset:256
	s_waitcnt lgkmcnt(0)
	v_add_f32_e32 v4, v4, v9
.LBB161_253:
	s_or_b32 exec_lo, exec_lo, s0
.LBB161_254:
	s_delay_alu instid0(SALU_CYCLE_1)
	s_or_b32 exec_lo, exec_lo, s1
	v_and_b32_e32 v9, 0x3e1, v0
	s_mov_b32 s1, exec_lo
	s_barrier
	buffer_gl0_inv
	v_cmpx_eq_u32_e32 32, v9
	s_cbranch_execz .LBB161_256
; %bb.255:
	v_add3_u32 v8, v7, v8, 0xfffffec0
	ds_store_2addr_b32 v8, v5, v3 offset1:16
	ds_store_2addr_b32 v8, v2, v1 offset0:32 offset1:48
	ds_store_b32 v8, v4 offset:256
.LBB161_256:
	s_or_b32 exec_lo, exec_lo, s1
	v_cmp_gt_u32_e64 s0, 32, v0
	s_waitcnt lgkmcnt(0)
	s_barrier
	buffer_gl0_inv
	s_and_saveexec_b32 s1, s0
	s_cbranch_execz .LBB161_264
; %bb.257:
	v_lshl_add_u32 v0, v6, 2, v7
	s_and_saveexec_b32 s2, vcc_lo
	s_cbranch_execnz .LBB161_292
; %bb.258:
	s_or_b32 exec_lo, exec_lo, s2
	s_and_saveexec_b32 s2, vcc_lo
	s_cbranch_execnz .LBB161_293
.LBB161_259:
	s_or_b32 exec_lo, exec_lo, s2
	s_and_saveexec_b32 s2, vcc_lo
	s_cbranch_execnz .LBB161_294
.LBB161_260:
	s_or_b32 exec_lo, exec_lo, s2
	s_and_saveexec_b32 s2, vcc_lo
	s_cbranch_execnz .LBB161_295
.LBB161_261:
	s_or_b32 exec_lo, exec_lo, s2
	s_and_saveexec_b32 s2, vcc_lo
	s_cbranch_execz .LBB161_263
.LBB161_262:
	ds_load_b32 v0, v0 offset:256
	s_waitcnt lgkmcnt(0)
	v_add_f32_e32 v4, v4, v0
.LBB161_263:
	s_or_b32 exec_lo, exec_lo, s2
.LBB161_264:
	s_delay_alu instid0(SALU_CYCLE_1)
	s_or_b32 exec_lo, exec_lo, s1
	s_barrier
	buffer_gl0_inv
	s_and_saveexec_b32 s1, s0
	s_cbranch_execz .LBB161_287
; %bb.265:
	s_and_b32 exec_lo, exec_lo, vcc_lo
	s_cbranch_execz .LBB161_287
; %bb.266:
	v_and_b32_e32 v0, 0x7f800000, v5
	s_delay_alu instid0(VALU_DEP_1) | instskip(SKIP_1) | instid1(SALU_CYCLE_1)
	v_cmp_ne_u32_e32 vcc_lo, 0x7f800000, v0
                                        ; implicit-def: $vgpr0
	s_and_saveexec_b32 s0, vcc_lo
	s_xor_b32 s0, exec_lo, s0
; %bb.267:
	v_bfe_u32 v0, v5, 16, 1
	s_delay_alu instid0(VALU_DEP_1)
	v_add3_u32 v0, v5, v0, 0x7fff
; %bb.268:
	s_and_not1_saveexec_b32 s0, s0
; %bb.269:
	v_and_b32_e32 v0, 0xffff, v5
	v_or_b32_e32 v6, 0x10000, v5
	s_delay_alu instid0(VALU_DEP_2) | instskip(NEXT) | instid1(VALU_DEP_2)
	v_cmp_eq_u32_e32 vcc_lo, 0, v0
	v_cndmask_b32_e32 v0, v6, v5, vcc_lo
; %bb.270:
	s_or_b32 exec_lo, exec_lo, s0
	s_mul_i32 s0, s4, s14
	s_mul_i32 s2, s4, s20
	s_mul_i32 s0, s0, s15
	v_lshlrev_b32_e32 v7, 1, v12
	s_mulk_i32 s0, 0x50
	v_and_b32_e32 v8, 0x7f800000, v3
	s_ashr_i32 s1, s0, 31
	s_delay_alu instid0(SALU_CYCLE_1) | instskip(NEXT) | instid1(SALU_CYCLE_1)
	s_lshl_b64 s[0:1], s[0:1], 1
	s_add_u32 s4, s22, s0
	s_addc_u32 s5, s23, s1
	s_ashr_i32 s3, s2, 31
	s_delay_alu instid0(SALU_CYCLE_1) | instskip(SKIP_4) | instid1(SALU_CYCLE_1)
	s_lshl_b64 s[0:1], s[2:3], 1
	s_mul_i32 s2, s12, 0x50
	s_add_u32 s4, s4, s0
	s_addc_u32 s5, s5, s1
	s_ashr_i32 s3, s2, 31
	s_lshl_b64 s[0:1], s[2:3], 1
	s_delay_alu instid0(SALU_CYCLE_1) | instskip(SKIP_2) | instid1(VALU_DEP_1)
	s_add_u32 s0, s4, s0
	s_addc_u32 s1, s5, s1
	v_add_co_u32 v5, s2, s0, v7
	v_add_co_ci_u32_e64 v6, null, s1, 0, s2
	global_store_d16_hi_b16 v7, v0, s[0:1]
	s_mov_b32 s0, exec_lo
                                        ; implicit-def: $vgpr0
	v_cmpx_ne_u32_e32 0x7f800000, v8
	s_xor_b32 s0, exec_lo, s0
; %bb.271:
	v_bfe_u32 v0, v3, 16, 1
	s_delay_alu instid0(VALU_DEP_1)
	v_add3_u32 v0, v3, v0, 0x7fff
; %bb.272:
	s_and_not1_saveexec_b32 s0, s0
; %bb.273:
	v_and_b32_e32 v0, 0xffff, v3
	v_or_b32_e32 v7, 0x10000, v3
	s_delay_alu instid0(VALU_DEP_2) | instskip(NEXT) | instid1(VALU_DEP_2)
	v_cmp_eq_u32_e32 vcc_lo, 0, v0
	v_cndmask_b32_e32 v0, v7, v3, vcc_lo
; %bb.274:
	s_or_b32 exec_lo, exec_lo, s0
	v_and_b32_e32 v3, 0x7f800000, v2
	s_mov_b32 s0, exec_lo
	global_store_d16_hi_b16 v[5:6], v0, off offset:32
                                        ; implicit-def: $vgpr0
	v_cmpx_ne_u32_e32 0x7f800000, v3
	s_xor_b32 s0, exec_lo, s0
; %bb.275:
	v_bfe_u32 v0, v2, 16, 1
	s_delay_alu instid0(VALU_DEP_1)
	v_add3_u32 v0, v2, v0, 0x7fff
; %bb.276:
	s_and_not1_saveexec_b32 s0, s0
; %bb.277:
	v_and_b32_e32 v0, 0xffff, v2
	v_or_b32_e32 v3, 0x10000, v2
	s_delay_alu instid0(VALU_DEP_2) | instskip(NEXT) | instid1(VALU_DEP_2)
	v_cmp_eq_u32_e32 vcc_lo, 0, v0
	v_cndmask_b32_e32 v0, v3, v2, vcc_lo
; %bb.278:
	s_or_b32 exec_lo, exec_lo, s0
	v_and_b32_e32 v2, 0x7f800000, v1
	s_mov_b32 s0, exec_lo
	global_store_d16_hi_b16 v[5:6], v0, off offset:64
                                        ; implicit-def: $vgpr0
	v_cmpx_ne_u32_e32 0x7f800000, v2
	s_xor_b32 s0, exec_lo, s0
; %bb.279:
	v_bfe_u32 v0, v1, 16, 1
	s_delay_alu instid0(VALU_DEP_1)
	v_add3_u32 v0, v1, v0, 0x7fff
; %bb.280:
	s_and_not1_saveexec_b32 s0, s0
; %bb.281:
	v_and_b32_e32 v0, 0xffff, v1
	v_or_b32_e32 v2, 0x10000, v1
	s_delay_alu instid0(VALU_DEP_2) | instskip(NEXT) | instid1(VALU_DEP_2)
	v_cmp_eq_u32_e32 vcc_lo, 0, v0
	v_cndmask_b32_e32 v0, v2, v1, vcc_lo
; %bb.282:
	s_or_b32 exec_lo, exec_lo, s0
	v_and_b32_e32 v1, 0x7f800000, v4
	s_mov_b32 s0, exec_lo
	global_store_d16_hi_b16 v[5:6], v0, off offset:96
                                        ; implicit-def: $vgpr7
	v_cmpx_ne_u32_e32 0x7f800000, v1
	s_xor_b32 s0, exec_lo, s0
; %bb.283:
	v_bfe_u32 v0, v4, 16, 1
	s_delay_alu instid0(VALU_DEP_1)
	v_add3_u32 v7, v4, v0, 0x7fff
                                        ; implicit-def: $vgpr0_vgpr1_vgpr2_vgpr3_vgpr4
; %bb.284:
	s_and_not1_saveexec_b32 s0, s0
; %bb.285:
	v_and_b32_e32 v0, 0xffff, v4
	v_or_b32_e32 v1, 0x10000, v4
	s_delay_alu instid0(VALU_DEP_2) | instskip(NEXT) | instid1(VALU_DEP_2)
	v_cmp_eq_u32_e32 vcc_lo, 0, v0
	v_cndmask_b32_e32 v7, v1, v4, vcc_lo
; %bb.286:
	s_or_b32 exec_lo, exec_lo, s0
	global_store_d16_hi_b16 v[5:6], v7, off offset:128
.LBB161_287:
	s_nop 0
	s_sendmsg sendmsg(MSG_DEALLOC_VGPRS)
	s_endpgm
.LBB161_288:
	v_lshl_add_u32 v9, v6, 2, v7
	ds_load_b32 v9, v9
	s_waitcnt lgkmcnt(0)
	v_add_f32_e32 v5, v5, v9
	s_or_b32 exec_lo, exec_lo, s0
	s_and_saveexec_b32 s0, vcc_lo
	s_cbranch_execz .LBB161_249
.LBB161_289:
	v_lshl_add_u32 v9, v6, 2, v7
	ds_load_b32 v9, v9 offset:64
	s_waitcnt lgkmcnt(0)
	v_add_f32_e32 v3, v3, v9
	s_or_b32 exec_lo, exec_lo, s0
	s_and_saveexec_b32 s0, vcc_lo
	s_cbranch_execz .LBB161_250
.LBB161_290:
	v_lshl_add_u32 v9, v6, 2, v7
	ds_load_b32 v9, v9 offset:128
	s_waitcnt lgkmcnt(0)
	v_add_f32_e32 v2, v2, v9
	s_or_b32 exec_lo, exec_lo, s0
	s_and_saveexec_b32 s0, vcc_lo
	s_cbranch_execz .LBB161_251
.LBB161_291:
	v_lshl_add_u32 v9, v6, 2, v7
	ds_load_b32 v9, v9 offset:192
	s_waitcnt lgkmcnt(0)
	v_add_f32_e32 v1, v1, v9
	s_or_b32 exec_lo, exec_lo, s0
	s_and_saveexec_b32 s0, vcc_lo
	s_cbranch_execnz .LBB161_252
	s_branch .LBB161_253
.LBB161_292:
	ds_load_b32 v6, v0
	s_waitcnt lgkmcnt(0)
	v_add_f32_e32 v5, v5, v6
	s_or_b32 exec_lo, exec_lo, s2
	s_and_saveexec_b32 s2, vcc_lo
	s_cbranch_execz .LBB161_259
.LBB161_293:
	ds_load_b32 v6, v0 offset:64
	s_waitcnt lgkmcnt(0)
	v_add_f32_e32 v3, v3, v6
	s_or_b32 exec_lo, exec_lo, s2
	s_and_saveexec_b32 s2, vcc_lo
	s_cbranch_execz .LBB161_260
.LBB161_294:
	ds_load_b32 v6, v0 offset:128
	s_waitcnt lgkmcnt(0)
	v_add_f32_e32 v2, v2, v6
	s_or_b32 exec_lo, exec_lo, s2
	s_and_saveexec_b32 s2, vcc_lo
	s_cbranch_execz .LBB161_261
.LBB161_295:
	ds_load_b32 v6, v0 offset:192
	s_waitcnt lgkmcnt(0)
	v_add_f32_e32 v1, v1, v6
	s_or_b32 exec_lo, exec_lo, s2
	s_and_saveexec_b32 s2, vcc_lo
	s_cbranch_execnz .LBB161_262
	s_branch .LBB161_263
	.section	.rodata,"a",@progbits
	.p2align	6, 0x0
	.amdhsa_kernel _ZN4vllm25paged_attention_v2_kernelI14__hip_bfloat16S1_Li80ELi16ELi128ELNS_18Fp8KVCacheDataTypeE0ELb1ELi512EEEvPfS3_PT_PKS4_PKT0_SA_ifPKiSC_iPKfiiiSE_SE_iiiii
		.amdhsa_group_segment_fixed_size 192
		.amdhsa_private_segment_fixed_size 0
		.amdhsa_kernarg_size 400
		.amdhsa_user_sgpr_count 13
		.amdhsa_user_sgpr_dispatch_ptr 0
		.amdhsa_user_sgpr_queue_ptr 0
		.amdhsa_user_sgpr_kernarg_segment_ptr 1
		.amdhsa_user_sgpr_dispatch_id 0
		.amdhsa_user_sgpr_private_segment_size 0
		.amdhsa_wavefront_size32 1
		.amdhsa_uses_dynamic_stack 0
		.amdhsa_enable_private_segment 0
		.amdhsa_system_sgpr_workgroup_id_x 1
		.amdhsa_system_sgpr_workgroup_id_y 1
		.amdhsa_system_sgpr_workgroup_id_z 1
		.amdhsa_system_sgpr_workgroup_info 0
		.amdhsa_system_vgpr_workitem_id 0
		.amdhsa_next_free_vgpr 98
		.amdhsa_next_free_sgpr 45
		.amdhsa_reserve_vcc 1
		.amdhsa_float_round_mode_32 0
		.amdhsa_float_round_mode_16_64 0
		.amdhsa_float_denorm_mode_32 3
		.amdhsa_float_denorm_mode_16_64 3
		.amdhsa_dx10_clamp 1
		.amdhsa_ieee_mode 1
		.amdhsa_fp16_overflow 0
		.amdhsa_workgroup_processor_mode 1
		.amdhsa_memory_ordered 1
		.amdhsa_forward_progress 0
		.amdhsa_shared_vgpr_count 0
		.amdhsa_exception_fp_ieee_invalid_op 0
		.amdhsa_exception_fp_denorm_src 0
		.amdhsa_exception_fp_ieee_div_zero 0
		.amdhsa_exception_fp_ieee_overflow 0
		.amdhsa_exception_fp_ieee_underflow 0
		.amdhsa_exception_fp_ieee_inexact 0
		.amdhsa_exception_int_div_zero 0
	.end_amdhsa_kernel
	.section	.text._ZN4vllm25paged_attention_v2_kernelI14__hip_bfloat16S1_Li80ELi16ELi128ELNS_18Fp8KVCacheDataTypeE0ELb1ELi512EEEvPfS3_PT_PKS4_PKT0_SA_ifPKiSC_iPKfiiiSE_SE_iiiii,"axG",@progbits,_ZN4vllm25paged_attention_v2_kernelI14__hip_bfloat16S1_Li80ELi16ELi128ELNS_18Fp8KVCacheDataTypeE0ELb1ELi512EEEvPfS3_PT_PKS4_PKT0_SA_ifPKiSC_iPKfiiiSE_SE_iiiii,comdat
.Lfunc_end161:
	.size	_ZN4vllm25paged_attention_v2_kernelI14__hip_bfloat16S1_Li80ELi16ELi128ELNS_18Fp8KVCacheDataTypeE0ELb1ELi512EEEvPfS3_PT_PKS4_PKT0_SA_ifPKiSC_iPKfiiiSE_SE_iiiii, .Lfunc_end161-_ZN4vllm25paged_attention_v2_kernelI14__hip_bfloat16S1_Li80ELi16ELi128ELNS_18Fp8KVCacheDataTypeE0ELb1ELi512EEEvPfS3_PT_PKS4_PKT0_SA_ifPKiSC_iPKfiiiSE_SE_iiiii
                                        ; -- End function
	.section	.AMDGPU.csdata,"",@progbits
; Kernel info:
; codeLenInByte = 12360
; NumSgprs: 47
; NumVgprs: 98
; ScratchSize: 0
; MemoryBound: 0
; FloatMode: 240
; IeeeMode: 1
; LDSByteSize: 192 bytes/workgroup (compile time only)
; SGPRBlocks: 5
; VGPRBlocks: 12
; NumSGPRsForWavesPerEU: 47
; NumVGPRsForWavesPerEU: 98
; Occupancy: 12
; WaveLimiterHint : 1
; COMPUTE_PGM_RSRC2:SCRATCH_EN: 0
; COMPUTE_PGM_RSRC2:USER_SGPR: 13
; COMPUTE_PGM_RSRC2:TRAP_HANDLER: 0
; COMPUTE_PGM_RSRC2:TGID_X_EN: 1
; COMPUTE_PGM_RSRC2:TGID_Y_EN: 1
; COMPUTE_PGM_RSRC2:TGID_Z_EN: 1
; COMPUTE_PGM_RSRC2:TIDIG_COMP_CNT: 0
	.section	.text._ZN4vllm25paged_attention_v2_kernelI14__hip_bfloat16S1_Li96ELi16ELi128ELNS_18Fp8KVCacheDataTypeE0ELb1ELi512EEEvPfS3_PT_PKS4_PKT0_SA_ifPKiSC_iPKfiiiSE_SE_iiiii,"axG",@progbits,_ZN4vllm25paged_attention_v2_kernelI14__hip_bfloat16S1_Li96ELi16ELi128ELNS_18Fp8KVCacheDataTypeE0ELb1ELi512EEEvPfS3_PT_PKS4_PKT0_SA_ifPKiSC_iPKfiiiSE_SE_iiiii,comdat
	.protected	_ZN4vllm25paged_attention_v2_kernelI14__hip_bfloat16S1_Li96ELi16ELi128ELNS_18Fp8KVCacheDataTypeE0ELb1ELi512EEEvPfS3_PT_PKS4_PKT0_SA_ifPKiSC_iPKfiiiSE_SE_iiiii ; -- Begin function _ZN4vllm25paged_attention_v2_kernelI14__hip_bfloat16S1_Li96ELi16ELi128ELNS_18Fp8KVCacheDataTypeE0ELb1ELi512EEEvPfS3_PT_PKS4_PKT0_SA_ifPKiSC_iPKfiiiSE_SE_iiiii
	.globl	_ZN4vllm25paged_attention_v2_kernelI14__hip_bfloat16S1_Li96ELi16ELi128ELNS_18Fp8KVCacheDataTypeE0ELb1ELi512EEEvPfS3_PT_PKS4_PKT0_SA_ifPKiSC_iPKfiiiSE_SE_iiiii
	.p2align	8
	.type	_ZN4vllm25paged_attention_v2_kernelI14__hip_bfloat16S1_Li96ELi16ELi128ELNS_18Fp8KVCacheDataTypeE0ELb1ELi512EEEvPfS3_PT_PKS4_PKT0_SA_ifPKiSC_iPKfiiiSE_SE_iiiii,@function
_ZN4vllm25paged_attention_v2_kernelI14__hip_bfloat16S1_Li96ELi16ELi128ELNS_18Fp8KVCacheDataTypeE0ELb1ELi512EEEvPfS3_PT_PKS4_PKT0_SA_ifPKiSC_iPKfiiiSE_SE_iiiii: ; @_ZN4vllm25paged_attention_v2_kernelI14__hip_bfloat16S1_Li96ELi16ELi128ELNS_18Fp8KVCacheDataTypeE0ELb1ELi512EEEvPfS3_PT_PKS4_PKT0_SA_ifPKiSC_iPKfiiiSE_SE_iiiii
; %bb.0:
	s_load_b64 s[2:3], s[0:1], 0x40
	s_mov_b32 s12, s15
	s_ashr_i32 s15, s14, 31
	s_mov_b32 s24, s13
	s_lshl_b64 s[4:5], s[14:15], 2
	s_waitcnt lgkmcnt(0)
	s_add_u32 s2, s2, s4
	s_addc_u32 s3, s3, s5
	s_lshl_b32 s13, s12, 9
	s_load_b32 s33, s[2:3], 0x0
	s_waitcnt lgkmcnt(0)
	s_cmp_ge_i32 s13, s33
	s_cbranch_scc1 .LBB162_327
; %bb.1:
	s_clause 0x1
	s_load_b32 s15, s[0:1], 0x90
	s_load_b64 s[34:35], s[0:1], 0x30
	s_mov_b32 s38, 0
	s_waitcnt lgkmcnt(0)
	s_abs_i32 s5, s15
	s_abs_i32 s2, s34
	s_delay_alu instid0(SALU_CYCLE_1) | instskip(SKIP_1) | instid1(VALU_DEP_1)
	v_cvt_f32_u32_e32 v1, s2
	s_sub_i32 s4, 0, s2
	v_rcp_iflag_f32_e32 v1, v1
	s_waitcnt_depctr 0xfff
	v_mul_f32_e32 v1, 0x4f7ffffe, v1
	s_delay_alu instid0(VALU_DEP_1) | instskip(NEXT) | instid1(VALU_DEP_1)
	v_cvt_u32_f32_e32 v1, v1
	v_readfirstlane_b32 s3, v1
	s_delay_alu instid0(VALU_DEP_1) | instskip(NEXT) | instid1(SALU_CYCLE_1)
	s_mul_i32 s4, s4, s3
	s_mul_hi_u32 s4, s3, s4
	s_delay_alu instid0(SALU_CYCLE_1) | instskip(SKIP_4) | instid1(SALU_CYCLE_1)
	s_add_i32 s3, s3, s4
	s_xor_b32 s4, s15, s34
	s_mul_hi_u32 s3, s5, s3
	s_ashr_i32 s4, s4, 31
	s_mul_i32 s6, s3, s2
	s_sub_i32 s5, s5, s6
	s_add_i32 s6, s3, 1
	s_sub_i32 s7, s5, s2
	s_cmp_ge_u32 s5, s2
	s_cselect_b32 s3, s6, s3
	s_cselect_b32 s5, s7, s5
	s_add_i32 s6, s3, 1
	s_cmp_ge_u32 s5, s2
	s_cselect_b32 s2, s6, s3
	s_abs_i32 s17, s24
	s_xor_b32 s2, s2, s4
	s_delay_alu instid0(SALU_CYCLE_1) | instskip(SKIP_2) | instid1(SALU_CYCLE_1)
	s_sub_i32 s8, s2, s4
	s_load_b64 s[2:3], s[0:1], 0x50
	s_abs_i32 s16, s8
	v_cvt_f32_u32_e32 v1, s16
	s_sub_i32 s5, 0, s16
	s_delay_alu instid0(VALU_DEP_1) | instskip(SKIP_2) | instid1(VALU_DEP_1)
	v_rcp_iflag_f32_e32 v1, v1
	s_waitcnt_depctr 0xfff
	v_mul_f32_e32 v1, 0x4f7ffffe, v1
	v_cvt_u32_f32_e32 v1, v1
	s_delay_alu instid0(VALU_DEP_1) | instskip(NEXT) | instid1(VALU_DEP_1)
	v_readfirstlane_b32 s4, v1
	s_mul_i32 s5, s5, s4
	s_delay_alu instid0(SALU_CYCLE_1) | instskip(NEXT) | instid1(SALU_CYCLE_1)
	s_mul_hi_u32 s5, s4, s5
	s_add_i32 s4, s4, s5
	s_waitcnt lgkmcnt(0)
	s_cmp_eq_u64 s[2:3], 0
	s_mul_hi_u32 s18, s17, s4
	s_cbranch_scc1 .LBB162_3
; %bb.2:
	s_ashr_i32 s25, s24, 31
	s_delay_alu instid0(SALU_CYCLE_1) | instskip(NEXT) | instid1(SALU_CYCLE_1)
	s_lshl_b64 s[4:5], s[24:25], 2
	s_add_u32 s2, s2, s4
	s_addc_u32 s3, s3, s5
	s_load_b32 s38, s[2:3], 0x0
.LBB162_3:
	s_load_b128 s[4:7], s[0:1], 0x58
	v_lshrrev_b32_e32 v12, 1, v0
	v_and_b32_e32 v13, 1, v0
	v_lshlrev_b32_e32 v3, 3, v0
	s_ashr_i32 s2, s24, 31
	s_ashr_i32 s3, s8, 31
	s_mul_i32 s20, s24, 0x60
	s_waitcnt lgkmcnt(0)
	s_mov_b32 s7, exec_lo
	v_cmpx_gt_u32_e32 24, v0
	s_cbranch_execz .LBB162_5
; %bb.4:
	s_load_b64 s[8:9], s[0:1], 0x18
	s_mul_i32 s10, s14, s4
	v_lshlrev_b32_e32 v4, 3, v12
	s_ashr_i32 s11, s10, 31
	s_delay_alu instid0(SALU_CYCLE_1) | instskip(NEXT) | instid1(VALU_DEP_1)
	s_lshl_b64 s[10:11], s[10:11], 1
	v_mad_u32_u24 v4, 0x60, v13, v4
	s_waitcnt lgkmcnt(0)
	s_add_u32 s4, s8, s10
	s_addc_u32 s10, s9, s11
	s_ashr_i32 s21, s20, 31
	s_delay_alu instid0(SALU_CYCLE_1) | instskip(NEXT) | instid1(SALU_CYCLE_1)
	s_lshl_b64 s[8:9], s[20:21], 1
	s_add_u32 s8, s4, s8
	s_addc_u32 s9, s10, s9
	global_load_b64 v[1:2], v3, s[8:9]
	s_waitcnt vmcnt(0)
	ds_store_b64 v4, v[1:2]
.LBB162_5:
	s_or_b32 exec_lo, exec_lo, s7
	s_load_b128 s[8:11], s[0:1], 0x78
	s_mul_i32 s4, s18, s16
	s_xor_b32 s2, s2, s3
	s_sub_i32 s3, s17, s4
	s_add_i32 s4, s18, 1
	s_sub_i32 s7, s3, s16
	s_cmp_ge_u32 s3, s16
	s_mov_b32 s17, -1
	s_cselect_b32 s4, s4, s18
	s_cselect_b32 s3, s7, s3
	s_add_i32 s7, s4, 1
	s_cmp_ge_u32 s3, s16
	s_waitcnt lgkmcnt(0)
	s_cselect_b32 s3, s7, s4
	s_load_b32 s4, s[0:1], 0x88
	s_xor_b32 s3, s3, s2
	s_add_i32 s16, s33, -1
	s_sub_i32 s3, s3, s2
	s_abs_i32 s7, s16
	s_waitcnt lgkmcnt(0)
	s_barrier
	s_abs_i32 s21, s11
	buffer_gl0_inv
	v_cvt_f32_u32_e32 v1, s21
	s_sub_i32 s2, 0, s21
                                        ; implicit-def: $sgpr36
	s_delay_alu instid0(VALU_DEP_1) | instskip(SKIP_2) | instid1(VALU_DEP_1)
	v_rcp_iflag_f32_e32 v1, v1
	s_waitcnt_depctr 0xfff
	v_mul_f32_e32 v1, 0x4f7ffffe, v1
	v_cvt_u32_f32_e32 v1, v1
	s_delay_alu instid0(VALU_DEP_1) | instskip(NEXT) | instid1(VALU_DEP_1)
	v_readfirstlane_b32 s25, v1
	s_mul_i32 s2, s2, s25
	s_delay_alu instid0(SALU_CYCLE_1) | instskip(NEXT) | instid1(SALU_CYCLE_1)
	s_mul_hi_u32 s2, s25, s2
	s_add_i32 s25, s25, s2
	s_cmp_lt_i32 s4, 0
	s_mul_hi_u32 s2, s7, s25
	s_cbranch_scc0 .LBB162_7
; %bb.6:
	s_mul_i32 s17, s8, s34
	s_delay_alu instid0(SALU_CYCLE_1) | instskip(NEXT) | instid1(SALU_CYCLE_1)
	s_add_i32 s17, s3, s17
	s_mul_i32 s17, s17, s4
	s_delay_alu instid0(SALU_CYCLE_1)
	s_sub_i32 s36, 1, s17
	s_mov_b32 s17, 0
.LBB162_7:
	s_load_b64 s[26:27], s[0:1], 0x38
	s_ashr_i32 s28, s16, 31
	s_and_not1_b32 vcc_lo, exec_lo, s17
	s_ashr_i32 s11, s11, 31
	s_cbranch_vccnz .LBB162_9
; %bb.8:
	s_mul_i32 s8, s15, s8
	s_delay_alu instid0(SALU_CYCLE_1) | instskip(NEXT) | instid1(SALU_CYCLE_1)
	s_add_i32 s8, s8, s24
	s_mul_i32 s4, s8, s4
	s_delay_alu instid0(SALU_CYCLE_1)
	s_add_i32 s36, s4, 1
.LBB162_9:
	s_clause 0x4
	s_load_b32 s8, s[0:1], 0x48
	s_load_b64 s[30:31], s[0:1], 0x28
	s_load_b32 s4, s[0:1], 0x98
	s_load_b128 s[16:19], s[0:1], 0x0
	s_load_b64 s[22:23], s[0:1], 0x10
	s_xor_b32 s37, s28, s11
	s_mul_i32 s28, s2, s21
	s_add_i32 s34, s2, 1
	s_sub_i32 s7, s7, s28
	v_lshrrev_b32_e32 v14, 5, v0
	v_mov_b32_e32 v5, 0xff7fffff
	v_mbcnt_lo_u32_b32 v4, -1, 0
	s_mul_i32 s6, s3, s6
	s_delay_alu instid0(VALU_DEP_3)
	v_lshl_add_u32 v15, v14, 4, s13
	s_waitcnt lgkmcnt(0)
	s_mul_i32 s28, s14, s8
	s_sub_i32 s8, s7, s21
	s_ashr_i32 s29, s28, 31
	s_cmp_ge_u32 s7, s21
	s_cselect_b32 s2, s34, s2
	s_cselect_b32 s7, s8, s7
	s_add_i32 s8, s2, 1
	s_cmp_ge_u32 s7, s21
	s_cselect_b32 s2, s8, s2
	s_add_i32 s7, s33, 15
	s_lshl_b32 s39, s12, 5
	s_ashr_i32 s8, s7, 31
	v_or_b32_e32 v9, s39, v14
	s_lshr_b32 s8, s8, 28
	s_delay_alu instid0(SALU_CYCLE_1)
	s_add_i32 s7, s7, s8
	s_add_i32 s8, s39, 32
	s_ashr_i32 s34, s7, 4
	s_xor_b32 s7, s2, s37
	s_min_i32 s8, s8, s34
	v_ashrrev_i32_e32 v10, 31, v9
	v_cmp_gt_i32_e64 s2, s8, v9
	s_sub_i32 s37, s7, s37
	s_delay_alu instid0(VALU_DEP_1)
	s_and_saveexec_b32 s40, s2
	s_cbranch_execz .LBB162_19
; %bb.10:
	s_load_b64 s[0:1], s[0:1], 0x20
	s_ashr_i32 s7, s6, 31
	v_bfe_u32 v6, v0, 1, 4
	s_lshl_b64 s[42:43], s[6:7], 1
	s_sub_i32 s7, s37, s9
	v_cmp_eq_u32_e32 vcc_lo, 0, v13
	v_mul_u32_u24_e32 v7, 0x60, v13
	v_lshlrev_b32_e32 v17, 2, v6
	v_subrev_nc_u32_e32 v20, s33, v6
	v_lshlrev_b32_e32 v23, 4, v6
	v_lshl_add_u32 v8, v14, 4, s13
	v_mov_b32_e32 v11, 0xff7fffff
	v_lshl_or_b32 v21, v14, 6, v17
	v_add_nc_u32_e32 v17, 1, v20
	v_xor_b32_e32 v16, 1, v4
	s_waitcnt lgkmcnt(0)
	s_add_u32 s3, s0, s42
	s_addc_u32 s1, s1, s43
	s_abs_i32 s41, s10
	v_cmp_neq_f32_e64 s0, s38, 0
	v_cvt_f32_u32_e32 v1, s41
	s_sub_i32 s42, 0, s41
	s_delay_alu instid0(VALU_DEP_1)
	v_rcp_iflag_f32_e32 v5, v1
	v_and_b32_e32 v19, 8, v3
	v_lshlrev_b64 v[1:2], 2, v[9:10]
	s_waitcnt_depctr 0xfff
	v_mul_f32_e32 v18, 0x4f7ffffe, v5
	v_mov_b32_e32 v5, 0xff7fffff
	s_delay_alu instid0(VALU_DEP_2) | instskip(SKIP_2) | instid1(VALU_DEP_1)
	v_cvt_u32_f32_e32 v22, v18
	v_add_nc_u32_e32 v18, 0xe0, v21
	v_add_co_u32 v21, s3, s3, v23
	v_add_co_ci_u32_e64 v23, null, s1, 0, s3
	s_delay_alu instid0(VALU_DEP_4) | instskip(SKIP_1) | instid1(SALU_CYCLE_1)
	v_mul_lo_u32 v20, s42, v22
	s_lshl_b64 s[42:43], s[28:29], 2
	s_add_u32 s1, s26, s42
	s_addc_u32 s3, s27, s43
	v_add_co_u32 v1, s1, s1, v1
	s_delay_alu instid0(VALU_DEP_1) | instskip(NEXT) | instid1(VALU_DEP_3)
	v_add_co_ci_u32_e64 v2, s1, s3, v2, s1
	v_mul_hi_u32 v24, v22, v20
	v_add_co_u32 v19, s1, v21, v19
	s_delay_alu instid0(VALU_DEP_1) | instskip(SKIP_2) | instid1(VALU_DEP_3)
	v_add_co_ci_u32_e64 v20, s1, 0, v23, s1
	s_mov_b32 s42, 0
	s_mov_b32 s43, s5
	v_dual_mov_b32 v22, v9 :: v_dual_add_nc_u32 v21, v22, v24
	s_branch .LBB162_13
.LBB162_11:                             ;   in Loop: Header=BB162_13 Depth=1
	s_or_b32 exec_lo, exec_lo, s44
.LBB162_12:                             ;   in Loop: Header=BB162_13 Depth=1
	s_delay_alu instid0(SALU_CYCLE_1) | instskip(SKIP_2) | instid1(VALU_DEP_1)
	s_or_b32 exec_lo, exec_lo, s3
	v_add_nc_u32_e32 v22, 4, v22
	v_add_co_u32 v1, s3, v1, 16
	v_add_co_ci_u32_e64 v2, s3, 0, v2, s3
	s_delay_alu instid0(VALU_DEP_3) | instskip(SKIP_2) | instid1(VALU_DEP_3)
	v_cmp_le_i32_e64 s1, s8, v22
	v_add_nc_u32_e32 v8, 64, v8
	v_add_nc_u32_e32 v18, 0x100, v18
	s_or_b32 s42, s1, s42
	s_delay_alu instid0(SALU_CYCLE_1)
	s_and_not1_b32 exec_lo, exec_lo, s42
	s_cbranch_execz .LBB162_18
.LBB162_13:                             ; =>This Inner Loop Header: Depth=1
	v_sub_nc_u32_e32 v23, 0, v8
	s_delay_alu instid0(VALU_DEP_1) | instskip(SKIP_1) | instid1(VALU_DEP_1)
	v_max_i32_e32 v23, v8, v23
	s_waitcnt lgkmcnt(0)
	v_mul_hi_u32 v24, v23, s25
	s_delay_alu instid0(VALU_DEP_1) | instskip(NEXT) | instid1(VALU_DEP_1)
	v_mul_lo_u32 v25, v24, s21
	v_sub_nc_u32_e32 v23, v23, v25
	v_add_nc_u32_e32 v25, 1, v24
	s_delay_alu instid0(VALU_DEP_2) | instskip(SKIP_1) | instid1(VALU_DEP_1)
	v_subrev_nc_u32_e32 v26, s21, v23
	v_cmp_le_u32_e64 s1, s21, v23
	v_cndmask_b32_e64 v24, v24, v25, s1
	s_delay_alu instid0(VALU_DEP_3) | instskip(SKIP_1) | instid1(VALU_DEP_3)
	v_cndmask_b32_e64 v23, v23, v26, s1
	v_ashrrev_i32_e32 v25, 31, v8
	v_add_nc_u32_e32 v26, 1, v24
	s_delay_alu instid0(VALU_DEP_3) | instskip(NEXT) | instid1(VALU_DEP_3)
	v_cmp_le_u32_e64 s1, s21, v23
	v_xor_b32_e32 v25, s11, v25
	s_delay_alu instid0(VALU_DEP_2) | instskip(NEXT) | instid1(VALU_DEP_1)
	v_cndmask_b32_e64 v23, v24, v26, s1
	v_xor_b32_e32 v23, v23, v25
	s_delay_alu instid0(VALU_DEP_1) | instskip(NEXT) | instid1(VALU_DEP_1)
	v_sub_nc_u32_e32 v23, v23, v25
	v_add_nc_u32_e32 v24, s36, v23
	v_cmp_ge_i32_e64 s3, s7, v23
	s_delay_alu instid0(VALU_DEP_2) | instskip(NEXT) | instid1(VALU_DEP_1)
	v_sub_nc_u32_e32 v25, 0, v24
	v_max_i32_e32 v25, v24, v25
	v_ashrrev_i32_e32 v24, 31, v24
	s_delay_alu instid0(VALU_DEP_2) | instskip(NEXT) | instid1(VALU_DEP_1)
	v_mul_hi_u32 v26, v25, v21
	v_mul_lo_u32 v26, v26, s41
	s_delay_alu instid0(VALU_DEP_1) | instskip(NEXT) | instid1(VALU_DEP_1)
	v_sub_nc_u32_e32 v25, v25, v26
	v_subrev_nc_u32_e32 v26, s41, v25
	v_cmp_le_u32_e64 s1, s41, v25
	s_delay_alu instid0(VALU_DEP_1) | instskip(NEXT) | instid1(VALU_DEP_1)
	v_cndmask_b32_e64 v25, v25, v26, s1
	v_subrev_nc_u32_e32 v26, s41, v25
	v_cmp_le_u32_e64 s1, s41, v25
	s_delay_alu instid0(VALU_DEP_1) | instskip(NEXT) | instid1(VALU_DEP_1)
	v_cndmask_b32_e64 v25, v25, v26, s1
	v_xor_b32_e32 v25, v25, v24
	s_delay_alu instid0(VALU_DEP_1) | instskip(NEXT) | instid1(VALU_DEP_1)
	v_sub_nc_u32_e32 v24, v25, v24
	v_cmp_ne_u32_e64 s1, 0, v24
	s_delay_alu instid0(VALU_DEP_1) | instskip(NEXT) | instid1(SALU_CYCLE_1)
	s_and_b32 s1, s1, s3
	s_and_b32 s44, vcc_lo, s1
	s_delay_alu instid0(SALU_CYCLE_1)
	s_and_saveexec_b32 s3, s44
	s_cbranch_execz .LBB162_15
; %bb.14:                               ;   in Loop: Header=BB162_13 Depth=1
	ds_store_b32 v18, v11
.LBB162_15:                             ;   in Loop: Header=BB162_13 Depth=1
	s_or_b32 exec_lo, exec_lo, s3
	s_xor_b32 s1, s1, -1
	s_delay_alu instid0(SALU_CYCLE_1)
	s_and_saveexec_b32 s3, s1
	s_cbranch_execz .LBB162_12
; %bb.16:                               ;   in Loop: Header=BB162_13 Depth=1
	global_load_b32 v25, v[1:2], off
	s_waitcnt vmcnt(0)
	v_mad_i64_i32 v[23:24], null, v25, s43, 0
	s_delay_alu instid0(VALU_DEP_1) | instskip(NEXT) | instid1(VALU_DEP_1)
	v_lshlrev_b64 v[23:24], 1, v[23:24]
	v_add_co_u32 v23, s1, v19, v23
	s_delay_alu instid0(VALU_DEP_1)
	v_add_co_ci_u32_e64 v24, s1, v20, v24, s1
	v_cmp_gt_i32_e64 s1, 32, v16
	s_clause 0xb
	global_load_b64 v[47:48], v[23:24], off
	global_load_b64 v[49:50], v[23:24], off offset:256
	global_load_b64 v[51:52], v[23:24], off offset:512
	;; [unrolled: 1-line block ×11, first 2 shown]
	ds_load_b128 v[23:26], v7
	ds_load_b128 v[27:30], v7 offset:16
	ds_load_b128 v[31:34], v7 offset:32
	;; [unrolled: 1-line block ×5, first 2 shown]
	s_waitcnt vmcnt(11)
	v_lshlrev_b32_e32 v95, 16, v47
	s_waitcnt vmcnt(10)
	v_lshlrev_b32_e32 v97, 16, v49
	v_and_b32_e32 v49, 0xffff0000, v49
	s_waitcnt lgkmcnt(5)
	v_lshlrev_b32_e32 v74, 16, v26
	v_lshlrev_b32_e32 v98, 16, v50
	v_and_b32_e32 v50, 0xffff0000, v50
	s_waitcnt vmcnt(5)
	v_lshlrev_b32_e32 v107, 16, v59
	v_and_b32_e32 v59, 0xffff0000, v59
	v_and_b32_e32 v26, 0xffff0000, v26
	v_lshlrev_b32_e32 v73, 16, v25
	v_lshlrev_b32_e32 v108, 16, v60
	v_and_b32_e32 v60, 0xffff0000, v60
	s_delay_alu instid0(VALU_DEP_4) | instskip(NEXT) | instid1(VALU_DEP_4)
	v_dual_mul_f32 v26, v26, v50 :: v_dual_and_b32 v25, 0xffff0000, v25
	v_dual_mul_f32 v73, v73, v97 :: v_dual_lshlrev_b32 v72, 16, v24
	s_delay_alu instid0(VALU_DEP_2)
	v_dual_mul_f32 v25, v25, v49 :: v_dual_lshlrev_b32 v96, 16, v48
	v_dual_mul_f32 v74, v74, v98 :: v_dual_lshlrev_b32 v71, 16, v23
	s_waitcnt lgkmcnt(4)
	v_lshlrev_b32_e32 v75, 16, v27
	v_lshlrev_b32_e32 v76, 16, v28
	;; [unrolled: 1-line block ×3, first 2 shown]
	v_dual_fmac_f32 v73, v71, v95 :: v_dual_and_b32 v24, 0xffff0000, v24
	v_and_b32_e32 v48, 0xffff0000, v48
	v_lshlrev_b32_e32 v77, 16, v29
	v_dual_fmac_f32 v74, v72, v96 :: v_dual_lshlrev_b32 v101, 16, v53
	s_waitcnt lgkmcnt(3)
	v_dual_fmac_f32 v73, v75, v99 :: v_dual_lshlrev_b32 v80, 16, v32
	v_lshlrev_b32_e32 v100, 16, v52
	v_lshlrev_b32_e32 v79, 16, v31
	v_dual_fmac_f32 v26, v24, v48 :: v_dual_lshlrev_b32 v103, 16, v55
	s_waitcnt lgkmcnt(2)
	v_dual_fmac_f32 v73, v77, v101 :: v_dual_lshlrev_b32 v84, 16, v36
	v_and_b32_e32 v23, 0xffff0000, v23
	v_and_b32_e32 v47, 0xffff0000, v47
	;; [unrolled: 1-line block ×3, first 2 shown]
	v_lshlrev_b32_e32 v105, 16, v57
	s_waitcnt vmcnt(4)
	v_lshlrev_b32_e32 v109, 16, v61
	v_and_b32_e32 v28, 0xffff0000, v28
	v_dual_fmac_f32 v74, v76, v100 :: v_dual_lshlrev_b32 v81, 16, v33
	s_waitcnt lgkmcnt(1)
	v_dual_fmac_f32 v73, v79, v103 :: v_dual_lshlrev_b32 v88, 16, v40
	v_dual_fmac_f32 v25, v23, v47 :: v_dual_lshlrev_b32 v78, 16, v30
	v_lshlrev_b32_e32 v102, 16, v54
	v_dual_fmac_f32 v26, v28, v52 :: v_dual_lshlrev_b32 v83, 16, v35
	s_waitcnt lgkmcnt(0)
	v_dual_fmac_f32 v73, v81, v105 :: v_dual_lshlrev_b32 v92, 16, v44
	v_and_b32_e32 v54, 0xffff0000, v54
	v_lshlrev_b32_e32 v104, 16, v56
	v_and_b32_e32 v61, 0xffff0000, v61
	v_and_b32_e32 v30, 0xffff0000, v30
	v_dual_fmac_f32 v74, v78, v102 :: v_dual_lshlrev_b32 v85, 16, v37
	v_fmac_f32_e32 v73, v83, v107
	v_lshlrev_b32_e32 v87, 16, v39
	v_and_b32_e32 v56, 0xffff0000, v56
	s_waitcnt vmcnt(3)
	v_dual_fmac_f32 v74, v80, v104 :: v_dual_lshlrev_b32 v111, 16, v63
	v_dual_fmac_f32 v26, v30, v54 :: v_dual_fmac_f32 v73, v85, v109
	v_and_b32_e32 v32, 0xffff0000, v32
	v_and_b32_e32 v51, 0xffff0000, v51
	v_lshlrev_b32_e32 v106, 16, v58
	s_delay_alu instid0(VALU_DEP_4) | instskip(NEXT) | instid1(VALU_DEP_4)
	v_dual_fmac_f32 v73, v87, v111 :: v_dual_and_b32 v58, 0xffff0000, v58
	v_dual_fmac_f32 v26, v32, v56 :: v_dual_lshlrev_b32 v89, 16, v41
	v_lshlrev_b32_e32 v110, 16, v62
	v_and_b32_e32 v27, 0xffff0000, v27
	v_lshlrev_b32_e32 v82, 16, v34
	v_and_b32_e32 v63, 0xffff0000, v63
	s_waitcnt vmcnt(1)
	v_lshlrev_b32_e32 v30, 16, v68
	v_and_b32_e32 v39, 0xffff0000, v39
	v_and_b32_e32 v34, 0xffff0000, v34
	v_lshlrev_b32_e32 v93, 16, v45
	v_and_b32_e32 v45, 0xffff0000, v45
	v_and_b32_e32 v44, 0xffff0000, v44
	v_and_b32_e32 v41, 0xffff0000, v41
	v_and_b32_e32 v23, 0xffff0000, v65
	v_dual_fmac_f32 v25, v27, v51 :: v_dual_and_b32 v36, 0xffff0000, v36
	v_dual_fmac_f32 v74, v82, v106 :: v_dual_lshlrev_b32 v91, 16, v43
	v_dual_fmac_f32 v26, v34, v58 :: v_dual_and_b32 v53, 0xffff0000, v53
	v_and_b32_e32 v62, 0xffff0000, v62
	v_lshlrev_b32_e32 v112, 16, v64
	v_and_b32_e32 v49, 0xffff0000, v64
	v_lshlrev_b32_e32 v64, 16, v65
	v_fmac_f32_e32 v74, v84, v108
	v_dual_fmac_f32 v26, v36, v60 :: v_dual_and_b32 v29, 0xffff0000, v29
	v_lshlrev_b32_e32 v86, 16, v38
	s_delay_alu instid0(VALU_DEP_4) | instskip(SKIP_3) | instid1(VALU_DEP_4)
	v_dual_fmac_f32 v73, v89, v64 :: v_dual_and_b32 v38, 0xffff0000, v38
	v_and_b32_e32 v55, 0xffff0000, v55
	v_and_b32_e32 v57, 0xffff0000, v57
	v_lshlrev_b32_e32 v27, 16, v66
	v_dual_fmac_f32 v26, v38, v62 :: v_dual_fmac_f32 v25, v29, v53
	v_dual_fmac_f32 v74, v86, v110 :: v_dual_and_b32 v31, 0xffff0000, v31
	v_and_b32_e32 v43, 0xffff0000, v43
	v_lshlrev_b32_e32 v28, 16, v67
	s_delay_alu instid0(VALU_DEP_3) | instskip(NEXT) | instid1(VALU_DEP_4)
	v_dual_fmac_f32 v74, v88, v112 :: v_dual_and_b32 v29, 0xffff0000, v67
	v_dual_fmac_f32 v25, v31, v55 :: v_dual_lshlrev_b32 v90, 16, v42
	v_and_b32_e32 v33, 0xffff0000, v33
	v_and_b32_e32 v40, 0xffff0000, v40
	v_and_b32_e32 v35, 0xffff0000, v35
	s_delay_alu instid0(VALU_DEP_4) | instskip(NEXT) | instid1(VALU_DEP_4)
	v_fmac_f32_e32 v74, v90, v27
	v_dual_fmac_f32 v25, v33, v57 :: v_dual_lshlrev_b32 v94, 16, v46
	v_dual_fmac_f32 v73, v91, v28 :: v_dual_and_b32 v42, 0xffff0000, v42
	v_and_b32_e32 v24, 0xffff0000, v66
	v_fmac_f32_e32 v26, v40, v49
	v_and_b32_e32 v37, 0xffff0000, v37
	v_fmac_f32_e32 v25, v35, v59
	v_dual_fmac_f32 v74, v92, v30 :: v_dual_and_b32 v31, 0xffff0000, v68
	s_delay_alu instid0(VALU_DEP_4)
	v_fmac_f32_e32 v26, v42, v24
	s_waitcnt vmcnt(0)
	v_lshlrev_b32_e32 v32, 16, v69
	v_fmac_f32_e32 v25, v37, v61
	v_lshlrev_b32_e32 v27, 16, v70
	v_and_b32_e32 v24, 0xffff0000, v70
	s_delay_alu instid0(VALU_DEP_4) | instskip(NEXT) | instid1(VALU_DEP_4)
	v_dual_fmac_f32 v26, v44, v31 :: v_dual_fmac_f32 v73, v93, v32
	v_fmac_f32_e32 v25, v39, v63
	s_delay_alu instid0(VALU_DEP_4) | instskip(SKIP_1) | instid1(VALU_DEP_3)
	v_fmac_f32_e32 v74, v94, v27
	v_cndmask_b32_e64 v27, v4, v16, s1
	v_fmac_f32_e32 v25, v41, v23
	v_and_b32_e32 v23, 0xffff0000, v69
	s_delay_alu instid0(VALU_DEP_2) | instskip(NEXT) | instid1(VALU_DEP_1)
	v_fmac_f32_e32 v25, v43, v29
	v_fmac_f32_e32 v25, v45, v23
	v_and_b32_e32 v23, 0xffff0000, v46
	s_delay_alu instid0(VALU_DEP_1) | instskip(NEXT) | instid1(VALU_DEP_1)
	v_dual_add_f32 v25, v73, v25 :: v_dual_fmac_f32 v26, v23, v24
	v_dual_add_f32 v23, v25, v74 :: v_dual_lshlrev_b32 v24, 2, v27
	s_delay_alu instid0(VALU_DEP_1)
	v_add_f32_e32 v23, v26, v23
	ds_bpermute_b32 v24, v24, v23
	s_and_saveexec_b32 s44, vcc_lo
	s_cbranch_execz .LBB162_11
; %bb.17:                               ;   in Loop: Header=BB162_13 Depth=1
	s_waitcnt lgkmcnt(0)
	v_add_f32_e32 v23, v23, v24
	v_add_nc_u32_e32 v25, v17, v8
	s_delay_alu instid0(VALU_DEP_1) | instskip(NEXT) | instid1(VALU_DEP_1)
	v_cvt_f32_i32_e32 v25, v25
	v_mul_f32_e32 v25, s38, v25
	s_delay_alu instid0(VALU_DEP_1) | instskip(NEXT) | instid1(VALU_DEP_1)
	v_cndmask_b32_e64 v24, 0, v25, s0
	v_dual_max_f32 v25, v5, v5 :: v_dual_fmac_f32 v24, s35, v23
	v_add_nc_u32_e32 v23, v6, v8
	s_delay_alu instid0(VALU_DEP_2) | instskip(NEXT) | instid1(VALU_DEP_2)
	v_max_f32_e32 v25, v25, v24
	v_cmp_gt_i32_e64 s1, s33, v23
	s_delay_alu instid0(VALU_DEP_1) | instskip(NEXT) | instid1(VALU_DEP_3)
	v_cndmask_b32_e64 v23, 0, v24, s1
	v_cndmask_b32_e64 v5, v5, v25, s1
	ds_store_b32 v18, v23
	s_branch .LBB162_11
.LBB162_18:
	s_or_b32 exec_lo, exec_lo, s42
.LBB162_19:
	s_delay_alu instid0(SALU_CYCLE_1) | instskip(SKIP_4) | instid1(VALU_DEP_4)
	s_or_b32 exec_lo, exec_lo, s40
	v_xor_b32_e32 v1, 16, v4
	v_xor_b32_e32 v2, 8, v4
	;; [unrolled: 1-line block ×3, first 2 shown]
	v_and_b32_e32 v16, 31, v0
	v_cmp_gt_i32_e32 vcc_lo, 32, v1
	v_cndmask_b32_e32 v1, v4, v1, vcc_lo
	v_cmp_gt_i32_e32 vcc_lo, 32, v2
	v_max_f32_e32 v7, v5, v5
	s_delay_alu instid0(VALU_DEP_3) | instskip(SKIP_4) | instid1(VALU_DEP_1)
	v_lshlrev_b32_e32 v6, 2, v1
	v_cndmask_b32_e32 v2, v4, v2, vcc_lo
	ds_bpermute_b32 v1, v6, v5
	s_waitcnt lgkmcnt(0)
	v_max_f32_e32 v1, v1, v1
	v_max_f32_e32 v1, v7, v1
	v_xor_b32_e32 v7, 4, v4
	s_delay_alu instid0(VALU_DEP_1) | instskip(SKIP_3) | instid1(VALU_DEP_3)
	v_cmp_gt_i32_e32 vcc_lo, 32, v7
	v_cndmask_b32_e32 v7, v4, v7, vcc_lo
	v_cmp_gt_i32_e32 vcc_lo, 32, v8
	v_lshlrev_b32_e32 v5, 2, v2
	v_dual_cndmask_b32 v8, v4, v8 :: v_dual_lshlrev_b32 v7, 2, v7
	ds_bpermute_b32 v2, v5, v1
	v_cmp_eq_u32_e32 vcc_lo, 0, v16
	s_waitcnt lgkmcnt(0)
	v_max_f32_e32 v2, v2, v2
	s_delay_alu instid0(VALU_DEP_1) | instskip(SKIP_3) | instid1(VALU_DEP_1)
	v_max_f32_e32 v1, v1, v2
	ds_bpermute_b32 v2, v7, v1
	s_waitcnt lgkmcnt(0)
	v_max_f32_e32 v2, v2, v2
	v_dual_max_f32 v1, v1, v2 :: v_dual_lshlrev_b32 v2, 2, v8
	v_lshlrev_b32_e32 v8, 2, v14
	ds_bpermute_b32 v11, v2, v1
	s_and_saveexec_b32 s0, vcc_lo
	s_cbranch_execz .LBB162_21
; %bb.20:
	s_waitcnt lgkmcnt(0)
	v_max_f32_e32 v11, v11, v11
	v_max_f32_e32 v1, v1, v1
	s_delay_alu instid0(VALU_DEP_1)
	v_max_f32_e32 v1, v1, v11
	ds_store_b32 v8, v1 offset:192
.LBB162_21:
	s_or_b32 exec_lo, exec_lo, s0
	v_cmp_gt_u32_e64 s0, 4, v16
	v_mov_b32_e32 v1, 0xff7fffff
	s_waitcnt lgkmcnt(0)
	v_lshlrev_b32_e32 v11, 2, v16
	s_barrier
	buffer_gl0_inv
	s_and_saveexec_b32 s1, s0
	s_cbranch_execz .LBB162_23
; %bb.22:
	ds_load_b32 v1, v11 offset:192
.LBB162_23:
	s_or_b32 exec_lo, exec_lo, s1
	s_waitcnt lgkmcnt(0)
	ds_bpermute_b32 v17, v2, v1
	v_xor_b32_e32 v18, 1, v4
	v_max_f32_e32 v1, v1, v1
	s_delay_alu instid0(VALU_DEP_2) | instskip(NEXT) | instid1(VALU_DEP_1)
	v_cmp_gt_i32_e64 s1, 32, v18
	v_cndmask_b32_e64 v4, v4, v18, s1
	s_sub_i32 s1, s8, s39
	s_delay_alu instid0(SALU_CYCLE_1) | instskip(NEXT) | instid1(SALU_CYCLE_1)
	s_lshl_b32 s1, s1, 4
	s_add_i32 s1, s1, s13
	s_delay_alu instid0(SALU_CYCLE_1) | instskip(NEXT) | instid1(SALU_CYCLE_1)
	s_min_i32 s1, s1, s33
	s_sub_i32 s7, s1, s13
	s_waitcnt lgkmcnt(0)
	v_dual_max_f32 v18, v17, v17 :: v_dual_lshlrev_b32 v17, 2, v4
	v_cmp_gt_i32_e64 s1, s7, v0
	s_delay_alu instid0(VALU_DEP_2) | instskip(SKIP_3) | instid1(VALU_DEP_1)
	v_dual_max_f32 v1, v1, v18 :: v_dual_mov_b32 v18, 0
	ds_bpermute_b32 v4, v17, v1
	s_waitcnt lgkmcnt(0)
	v_max_f32_e32 v4, v4, v4
	v_max_f32_e32 v1, v1, v4
	v_lshl_add_u32 v4, v0, 2, 0xe0
	ds_bpermute_b32 v1, v18, v1
	s_and_saveexec_b32 s13, s1
	s_cbranch_execz .LBB162_27
; %bb.24:
	v_lshl_add_u32 v19, v0, 2, 0xe0
	v_mov_b32_e32 v18, 0
	v_mov_b32_e32 v20, v0
	s_mov_b32 s35, 0
	.p2align	6
.LBB162_25:                             ; =>This Inner Loop Header: Depth=1
	ds_load_b32 v21, v19
	v_add_nc_u32_e32 v20, 0x80, v20
	s_delay_alu instid0(VALU_DEP_1) | instskip(NEXT) | instid1(VALU_DEP_1)
	v_cmp_le_i32_e64 s3, s7, v20
	s_or_b32 s35, s3, s35
	s_waitcnt lgkmcnt(0)
	v_sub_f32_e32 v21, v21, v1
	s_delay_alu instid0(VALU_DEP_1) | instskip(NEXT) | instid1(VALU_DEP_1)
	v_mul_f32_e32 v21, 0x3fb8aa3b, v21
	v_exp_f32_e32 v21, v21
	ds_store_b32 v19, v21
	v_dual_add_f32 v18, v18, v21 :: v_dual_add_nc_u32 v19, 0x200, v19
	s_and_not1_b32 exec_lo, exec_lo, s35
	s_cbranch_execnz .LBB162_25
; %bb.26:
	s_or_b32 exec_lo, exec_lo, s35
.LBB162_27:
	s_delay_alu instid0(SALU_CYCLE_1)
	s_or_b32 exec_lo, exec_lo, s13
	ds_bpermute_b32 v6, v6, v18
	s_waitcnt lgkmcnt(0)
	v_add_f32_e32 v6, v18, v6
	ds_bpermute_b32 v5, v5, v6
	s_waitcnt lgkmcnt(0)
	v_add_f32_e32 v5, v6, v5
	;; [unrolled: 3-line block ×5, first 2 shown]
	s_and_saveexec_b32 s3, vcc_lo
	s_cbranch_execz .LBB162_29
; %bb.28:
	ds_store_b32 v8, v5 offset:208
.LBB162_29:
	s_or_b32 exec_lo, exec_lo, s3
	s_waitcnt lgkmcnt(0)
	s_barrier
	buffer_gl0_inv
	s_and_saveexec_b32 s3, s0
	s_cbranch_execz .LBB162_31
; %bb.30:
	ds_load_b32 v5, v11 offset:208
.LBB162_31:
	s_or_b32 exec_lo, exec_lo, s3
	s_waitcnt lgkmcnt(0)
	ds_bpermute_b32 v2, v2, v5
	s_waitcnt lgkmcnt(0)
	v_add_f32_e32 v2, v5, v2
	ds_bpermute_b32 v5, v17, v2
	s_waitcnt lgkmcnt(0)
	v_dual_add_f32 v2, v2, v5 :: v_dual_mov_b32 v5, 0
	ds_bpermute_b32 v2, v5, v2
	s_and_saveexec_b32 s0, s1
	s_cbranch_execz .LBB162_34
; %bb.32:
	s_waitcnt lgkmcnt(0)
	v_add_f32_e32 v5, 0x358637bd, v2
	s_mov_b32 s1, 0
	s_delay_alu instid0(VALU_DEP_1) | instskip(SKIP_1) | instid1(VALU_DEP_2)
	v_div_scale_f32 v6, null, v5, v5, 1.0
	v_div_scale_f32 v11, vcc_lo, 1.0, v5, 1.0
	v_rcp_f32_e32 v7, v6
	s_waitcnt_depctr 0xfff
	v_fma_f32 v8, -v6, v7, 1.0
	s_delay_alu instid0(VALU_DEP_1) | instskip(NEXT) | instid1(VALU_DEP_1)
	v_fmac_f32_e32 v7, v8, v7
	v_mul_f32_e32 v8, v11, v7
	s_delay_alu instid0(VALU_DEP_1) | instskip(NEXT) | instid1(VALU_DEP_1)
	v_fma_f32 v18, -v6, v8, v11
	v_fmac_f32_e32 v8, v18, v7
	s_delay_alu instid0(VALU_DEP_1) | instskip(NEXT) | instid1(VALU_DEP_1)
	v_fma_f32 v6, -v6, v8, v11
	v_div_fmas_f32 v6, v6, v7, v8
	s_delay_alu instid0(VALU_DEP_1)
	v_div_fixup_f32 v5, v6, v5, 1.0
	v_mov_b32_e32 v6, v0
.LBB162_33:                             ; =>This Inner Loop Header: Depth=1
	ds_load_b32 v7, v4
	s_waitcnt lgkmcnt(0)
	v_dual_mul_f32 v7, v5, v7 :: v_dual_add_nc_u32 v6, 0x80, v6
	s_delay_alu instid0(VALU_DEP_1) | instskip(SKIP_3) | instid1(SALU_CYCLE_1)
	v_cmp_le_i32_e32 vcc_lo, s7, v6
	ds_store_b32 v4, v7
	v_add_nc_u32_e32 v4, 0x200, v4
	s_or_b32 s1, vcc_lo, s1
	s_and_not1_b32 exec_lo, exec_lo, s1
	s_cbranch_execnz .LBB162_33
.LBB162_34:
	s_or_b32 exec_lo, exec_lo, s0
	s_delay_alu instid0(SALU_CYCLE_1)
	s_mov_b32 s0, exec_lo
	s_waitcnt lgkmcnt(0)
	s_barrier
	buffer_gl0_inv
	v_cmpx_eq_u32_e32 0, v0
	s_cbranch_execz .LBB162_36
; %bb.35:
	s_mul_i32 s1, s4, s14
	s_mul_i32 s40, s4, s24
	;; [unrolled: 1-line block ×3, first 2 shown]
	v_mov_b32_e32 v4, 0
	s_ashr_i32 s39, s38, 31
	s_delay_alu instid0(SALU_CYCLE_1) | instskip(NEXT) | instid1(SALU_CYCLE_1)
	s_lshl_b64 s[38:39], s[38:39], 2
	s_add_u32 s1, s18, s38
	s_addc_u32 s3, s19, s39
	s_ashr_i32 s41, s40, 31
	s_delay_alu instid0(SALU_CYCLE_1) | instskip(NEXT) | instid1(SALU_CYCLE_1)
	s_lshl_b64 s[18:19], s[40:41], 2
	s_add_u32 s1, s1, s18
	s_addc_u32 s3, s3, s19
	s_ashr_i32 s13, s12, 31
	s_delay_alu instid0(SALU_CYCLE_1) | instskip(NEXT) | instid1(SALU_CYCLE_1)
	s_lshl_b64 s[40:41], s[12:13], 2
	s_add_u32 s42, s1, s40
	s_addc_u32 s43, s3, s41
	s_add_u32 s1, s16, s38
	s_addc_u32 s3, s17, s39
	s_add_u32 s1, s1, s18
	s_addc_u32 s3, s3, s19
	;; [unrolled: 2-line block ×3, first 2 shown]
	s_clause 0x1
	global_store_b32 v4, v1, s[42:43]
	global_store_b32 v4, v2, s[16:17]
.LBB162_36:
	s_or_b32 exec_lo, exec_lo, s0
	v_dual_mov_b32 v23, 0 :: v_dual_mov_b32 v20, 0
	v_dual_mov_b32 v21, 0 :: v_dual_mov_b32 v22, 0
	;; [unrolled: 1-line block ×3, first 2 shown]
	s_mov_b32 s3, 0
	s_and_saveexec_b32 s1, s2
	s_cbranch_execz .LBB162_278
; %bb.37:
	s_ashr_i32 s7, s6, 31
	s_sub_i32 s2, s37, s9
	s_lshl_b64 s[6:7], s[6:7], 1
	v_dual_mov_b32 v19, 0 :: v_dual_lshlrev_b32 v4, 4, v0
	s_add_u32 s0, s30, s6
	s_addc_u32 s9, s31, s7
	s_abs_i32 s6, s10
	v_dual_mov_b32 v18, 0 :: v_dual_lshlrev_b32 v5, 5, v13
	v_cvt_f32_u32_e32 v1, s6
	s_sub_i32 s7, 0, s6
	v_dual_mov_b32 v23, 0 :: v_dual_and_b32 v4, 0x1f0, v4
	s_lshl_b64 s[16:17], s[28:29], 2
	s_delay_alu instid0(VALU_DEP_2) | instskip(SKIP_4) | instid1(VALU_DEP_3)
	v_rcp_iflag_f32_e32 v1, v1
	v_and_b32_e32 v24, 8, v3
	v_lshl_or_b32 v5, v14, 6, v5
	v_add_co_u32 v25, s0, s0, v4
	v_dual_mov_b32 v22, 0 :: v_dual_mov_b32 v21, 0
	v_dual_mov_b32 v20, 0 :: v_dual_add_nc_u32 v27, 0xe0, v5
	v_add_co_ci_u32_e64 v26, null, s9, 0, s0
	s_delay_alu instid0(TRANS32_DEP_1) | instskip(SKIP_1) | instid1(VALU_DEP_2)
	v_mul_f32_e32 v3, 0x4f7ffffe, v1
	v_lshlrev_b64 v[1:2], 2, v[9:10]
	v_cvt_u32_f32_e32 v3, v3
	s_delay_alu instid0(VALU_DEP_1)
	v_mul_lo_u32 v6, s7, v3
	s_add_i32 s7, s34, -1
	s_add_u32 s10, s26, s16
	s_addc_u32 s13, s27, s17
	v_add_co_u32 v10, vcc_lo, s10, v1
	v_add_co_ci_u32_e32 v11, vcc_lo, s13, v2, vcc_lo
	s_delay_alu instid0(VALU_DEP_3) | instskip(NEXT) | instid1(VALU_DEP_1)
	v_mul_hi_u32 v6, v3, v6
	v_add_nc_u32_e32 v28, v3, v6
	s_branch .LBB162_40
.LBB162_38:                             ;   in Loop: Header=BB162_40 Depth=1
	s_or_b32 exec_lo, exec_lo, s0
	v_and_b32_e32 v40, 0xffff0000, v77
	v_and_b32_e32 v45, 0xffff0000, v63
	;; [unrolled: 1-line block ×7, first 2 shown]
	s_delay_alu instid0(VALU_DEP_4)
	v_dual_add_f32 v37, v40, v37 :: v_dual_and_b32 v8, 0xffff0000, v8
	v_and_b32_e32 v41, 0xffff0000, v80
	v_and_b32_e32 v42, 0xffff0000, v79
	;; [unrolled: 1-line block ×5, first 2 shown]
	s_delay_alu instid0(VALU_DEP_4) | instskip(SKIP_4) | instid1(VALU_DEP_3)
	v_dual_add_f32 v41, v42, v41 :: v_dual_and_b32 v2, 0xffff0000, v2
	v_and_b32_e32 v42, 0xffff0000, v67
	v_and_b32_e32 v39, 0xffff0000, v75
	v_dual_add_f32 v7, v7, v8 :: v_dual_and_b32 v48, 0xffff0000, v65
	v_and_b32_e32 v5, 0xffff0000, v5
	v_dual_add_f32 v38, v39, v38 :: v_dual_and_b32 v1, 0xffff0000, v1
	v_and_b32_e32 v39, 0xffff0000, v81
	v_and_b32_e32 v3, 0xffff0000, v3
	s_delay_alu instid0(VALU_DEP_3) | instskip(NEXT) | instid1(VALU_DEP_4)
	v_dual_add_f32 v2, v2, v35 :: v_dual_add_f32 v1, v1, v5
	v_dual_add_f32 v37, v38, v37 :: v_dual_and_b32 v38, 0xffff0000, v68
	s_delay_alu instid0(VALU_DEP_4) | instskip(NEXT) | instid1(VALU_DEP_3)
	v_add_f32_e32 v39, v39, v40
	v_dual_add_f32 v1, v1, v2 :: v_dual_and_b32 v32, 0xffff0000, v32
	s_delay_alu instid0(VALU_DEP_3) | instskip(NEXT) | instid1(VALU_DEP_4)
	v_add_f32_e32 v37, v37, v41
	v_dual_add_f32 v38, v42, v38 :: v_dual_and_b32 v41, 0xffff0000, v69
	s_delay_alu instid0(VALU_DEP_2) | instskip(NEXT) | instid1(VALU_DEP_1)
	v_dual_add_f32 v37, v37, v39 :: v_dual_and_b32 v40, 0xffff0000, v70
	v_add_f32_e32 v21, v21, v37
	s_delay_alu instid0(VALU_DEP_2) | instskip(NEXT) | instid1(VALU_DEP_1)
	v_dual_add_f32 v39, v41, v40 :: v_dual_and_b32 v40, 0xffff0000, v71
	v_dual_add_f32 v37, v38, v39 :: v_dual_and_b32 v42, 0xffff0000, v74
	s_delay_alu instid0(VALU_DEP_2) | instskip(NEXT) | instid1(VALU_DEP_1)
	v_dual_add_f32 v38, v40, v43 :: v_dual_and_b32 v39, 0xffff0000, v62
	v_dual_add_f32 v37, v37, v38 :: v_dual_and_b32 v40, 0xffff0000, v60
	v_and_b32_e32 v38, 0xffff0000, v64
	s_delay_alu instid0(VALU_DEP_1) | instskip(NEXT) | instid1(VALU_DEP_1)
	v_dual_add_f32 v38, v45, v38 :: v_dual_and_b32 v43, 0xffff0000, v59
	v_add_f32_e32 v40, v43, v40
	v_and_b32_e32 v44, 0xffff0000, v61
	v_and_b32_e32 v43, 0xffff0000, v54
	s_delay_alu instid0(VALU_DEP_2) | instskip(NEXT) | instid1(VALU_DEP_1)
	v_add_f32_e32 v39, v44, v39
	v_add_f32_e32 v39, v40, v39
	s_delay_alu instid0(VALU_DEP_1) | instskip(NEXT) | instid1(VALU_DEP_1)
	v_dual_add_f32 v38, v39, v38 :: v_dual_and_b32 v29, 0xffff0000, v29
	v_dual_add_f32 v8, v29, v30 :: v_dual_and_b32 v47, 0xffff0000, v53
	s_delay_alu instid0(VALU_DEP_1) | instskip(SKIP_2) | instid1(VALU_DEP_4)
	v_dual_add_f32 v43, v47, v43 :: v_dual_and_b32 v44, 0xffff0000, v52
	v_and_b32_e32 v29, 0xffff0000, v36
	v_and_b32_e32 v45, 0xffff0000, v66
	v_add_f32_e32 v5, v7, v8
	s_delay_alu instid0(VALU_DEP_4) | instskip(SKIP_3) | instid1(VALU_DEP_4)
	v_dual_add_f32 v44, v46, v44 :: v_dual_and_b32 v41, 0xffff0000, v73
	v_and_b32_e32 v46, 0xffff0000, v55
	v_dual_add_f32 v2, v3, v29 :: v_dual_and_b32 v3, 0xffff0000, v6
	v_dual_add_f32 v39, v48, v45 :: v_dual_and_b32 v40, 0xffff0000, v56
	v_add_f32_e32 v41, v41, v42
	v_and_b32_e32 v34, 0xffff0000, v34
	v_and_b32_e32 v4, 0xffff0000, v4
	v_dual_add_f32 v42, v44, v43 :: v_dual_and_b32 v43, 0xffff0000, v57
	v_and_b32_e32 v44, 0xffff0000, v58
	s_delay_alu instid0(VALU_DEP_3) | instskip(SKIP_1) | instid1(VALU_DEP_3)
	v_dual_add_f32 v1, v1, v2 :: v_dual_add_f32 v2, v4, v3
	v_dual_add_f32 v40, v46, v40 :: v_dual_and_b32 v31, 0xffff0000, v31
	v_dual_add_f32 v6, v43, v44 :: v_dual_add_f32 v3, v37, v41
	v_and_b32_e32 v33, 0xffff0000, v33
	s_delay_alu instid0(VALU_DEP_3) | instskip(NEXT) | instid1(VALU_DEP_4)
	v_add_f32_e32 v7, v31, v32
	v_add_f32_e32 v40, v42, v40
	;; [unrolled: 1-line block ×3, first 2 shown]
	v_dual_add_f32 v20, v20, v3 :: v_dual_add_f32 v1, v1, v2
	s_delay_alu instid0(VALU_DEP_4) | instskip(SKIP_1) | instid1(VALU_DEP_4)
	v_add_f32_e32 v5, v5, v7
	v_add_f32_e32 v7, v33, v34
	v_dual_add_f32 v6, v40, v6 :: v_dual_add_f32 v19, v19, v4
	s_delay_alu instid0(VALU_DEP_4) | instskip(NEXT) | instid1(VALU_DEP_2)
	v_add_f32_e32 v23, v23, v1
	v_dual_add_f32 v5, v5, v7 :: v_dual_add_f32 v22, v22, v6
	s_delay_alu instid0(VALU_DEP_1)
	v_add_f32_e32 v18, v18, v5
.LBB162_39:                             ;   in Loop: Header=BB162_40 Depth=1
	s_or_b32 exec_lo, exec_lo, s9
	v_add_nc_u32_e32 v9, 4, v9
	v_add_co_u32 v10, s0, v10, 16
	s_delay_alu instid0(VALU_DEP_1) | instskip(NEXT) | instid1(VALU_DEP_3)
	v_add_co_ci_u32_e64 v11, s0, 0, v11, s0
	v_cmp_le_i32_e32 vcc_lo, s8, v9
	v_add_nc_u32_e32 v15, 64, v15
	v_add_nc_u32_e32 v27, 0x100, v27
	s_or_b32 s3, vcc_lo, s3
	s_delay_alu instid0(SALU_CYCLE_1)
	s_and_not1_b32 exec_lo, exec_lo, s3
	s_cbranch_execz .LBB162_277
.LBB162_40:                             ; =>This Inner Loop Header: Depth=1
	v_sub_nc_u32_e32 v1, 0, v15
	s_delay_alu instid0(VALU_DEP_1) | instskip(NEXT) | instid1(VALU_DEP_1)
	v_max_i32_e32 v1, v15, v1
	v_mul_hi_u32 v2, v1, s25
	s_delay_alu instid0(VALU_DEP_1) | instskip(NEXT) | instid1(VALU_DEP_1)
	v_mul_lo_u32 v3, v2, s21
	v_sub_nc_u32_e32 v1, v1, v3
	v_add_nc_u32_e32 v3, 1, v2
	s_delay_alu instid0(VALU_DEP_2) | instskip(SKIP_1) | instid1(VALU_DEP_2)
	v_subrev_nc_u32_e32 v4, s21, v1
	v_cmp_le_u32_e32 vcc_lo, s21, v1
	v_dual_cndmask_b32 v2, v2, v3 :: v_dual_cndmask_b32 v1, v1, v4
	v_ashrrev_i32_e32 v3, 31, v15
	s_delay_alu instid0(VALU_DEP_2) | instskip(NEXT) | instid1(VALU_DEP_3)
	v_add_nc_u32_e32 v4, 1, v2
	v_cmp_le_u32_e32 vcc_lo, s21, v1
	s_delay_alu instid0(VALU_DEP_3) | instskip(NEXT) | instid1(VALU_DEP_3)
	v_xor_b32_e32 v3, s11, v3
	v_cndmask_b32_e32 v1, v2, v4, vcc_lo
	s_delay_alu instid0(VALU_DEP_1) | instskip(NEXT) | instid1(VALU_DEP_1)
	v_xor_b32_e32 v1, v1, v3
	v_sub_nc_u32_e32 v1, v1, v3
	s_delay_alu instid0(VALU_DEP_1) | instskip(SKIP_1) | instid1(VALU_DEP_2)
	v_add_nc_u32_e32 v2, s36, v1
	v_cmp_lt_i32_e64 s0, s2, v1
	v_sub_nc_u32_e32 v3, 0, v2
	s_delay_alu instid0(VALU_DEP_1) | instskip(NEXT) | instid1(VALU_DEP_1)
	v_max_i32_e32 v3, v2, v3
	v_mul_hi_u32 v4, v3, v28
	s_delay_alu instid0(VALU_DEP_1) | instskip(NEXT) | instid1(VALU_DEP_1)
	v_mul_lo_u32 v4, v4, s6
	v_sub_nc_u32_e32 v3, v3, v4
	s_delay_alu instid0(VALU_DEP_1) | instskip(SKIP_1) | instid1(VALU_DEP_2)
	v_subrev_nc_u32_e32 v4, s6, v3
	v_cmp_le_u32_e32 vcc_lo, s6, v3
	v_cndmask_b32_e32 v3, v3, v4, vcc_lo
	v_ashrrev_i32_e32 v2, 31, v2
	s_delay_alu instid0(VALU_DEP_2) | instskip(SKIP_1) | instid1(VALU_DEP_2)
	v_subrev_nc_u32_e32 v4, s6, v3
	v_cmp_le_u32_e32 vcc_lo, s6, v3
	v_cndmask_b32_e32 v3, v3, v4, vcc_lo
	s_delay_alu instid0(VALU_DEP_1) | instskip(NEXT) | instid1(VALU_DEP_1)
	v_xor_b32_e32 v3, v3, v2
	v_sub_nc_u32_e32 v2, v3, v2
	s_delay_alu instid0(VALU_DEP_1) | instskip(SKIP_1) | instid1(SALU_CYCLE_1)
	v_cmp_eq_u32_e32 vcc_lo, 0, v2
	s_or_b32 s0, vcc_lo, s0
	s_and_saveexec_b32 s9, s0
	s_cbranch_execz .LBB162_39
; %bb.41:                               ;   in Loop: Header=BB162_40 Depth=1
	global_load_b32 v35, v[10:11], off
	ds_load_2addr_b64 v[5:8], v27 offset1:1
	ds_load_2addr_b64 v[1:4], v27 offset0:2 offset1:3
	s_mov_b32 s0, exec_lo
                                        ; implicit-def: $vgpr43
	s_waitcnt lgkmcnt(1)
	v_and_b32_e32 v29, 0x7f800000, v5
	s_delay_alu instid0(VALU_DEP_1)
	v_cmpx_ne_u32_e32 0x7f800000, v29
	s_xor_b32 s0, exec_lo, s0
; %bb.42:                               ;   in Loop: Header=BB162_40 Depth=1
	v_bfe_u32 v29, v5, 16, 1
	s_delay_alu instid0(VALU_DEP_1)
	v_add3_u32 v43, v5, v29, 0x7fff
; %bb.43:                               ;   in Loop: Header=BB162_40 Depth=1
	s_and_not1_saveexec_b32 s0, s0
; %bb.44:                               ;   in Loop: Header=BB162_40 Depth=1
	v_and_b32_e32 v29, 0xffff, v5
	v_or_b32_e32 v30, 0x10000, v5
	s_delay_alu instid0(VALU_DEP_2) | instskip(NEXT) | instid1(VALU_DEP_2)
	v_cmp_eq_u32_e32 vcc_lo, 0, v29
	v_cndmask_b32_e32 v43, v30, v5, vcc_lo
; %bb.45:                               ;   in Loop: Header=BB162_40 Depth=1
	s_or_b32 exec_lo, exec_lo, s0
	v_and_b32_e32 v5, 0x7f800000, v6
	s_mov_b32 s0, exec_lo
                                        ; implicit-def: $vgpr44
	s_delay_alu instid0(VALU_DEP_1)
	v_cmpx_ne_u32_e32 0x7f800000, v5
	s_xor_b32 s0, exec_lo, s0
; %bb.46:                               ;   in Loop: Header=BB162_40 Depth=1
	v_bfe_u32 v5, v6, 16, 1
	s_delay_alu instid0(VALU_DEP_1)
	v_add3_u32 v44, v6, v5, 0x7fff
; %bb.47:                               ;   in Loop: Header=BB162_40 Depth=1
	s_and_not1_saveexec_b32 s0, s0
; %bb.48:                               ;   in Loop: Header=BB162_40 Depth=1
	v_and_b32_e32 v5, 0xffff, v6
	v_or_b32_e32 v29, 0x10000, v6
	s_delay_alu instid0(VALU_DEP_2) | instskip(NEXT) | instid1(VALU_DEP_2)
	v_cmp_eq_u32_e32 vcc_lo, 0, v5
	v_cndmask_b32_e32 v44, v29, v6, vcc_lo
; %bb.49:                               ;   in Loop: Header=BB162_40 Depth=1
	s_or_b32 exec_lo, exec_lo, s0
	v_and_b32_e32 v5, 0x7f800000, v7
	s_mov_b32 s0, exec_lo
                                        ; implicit-def: $vgpr29
	s_delay_alu instid0(VALU_DEP_1)
	v_cmpx_ne_u32_e32 0x7f800000, v5
	s_xor_b32 s0, exec_lo, s0
; %bb.50:                               ;   in Loop: Header=BB162_40 Depth=1
	v_bfe_u32 v5, v7, 16, 1
	s_delay_alu instid0(VALU_DEP_1)
	v_add3_u32 v29, v7, v5, 0x7fff
; %bb.51:                               ;   in Loop: Header=BB162_40 Depth=1
	s_and_not1_saveexec_b32 s0, s0
; %bb.52:                               ;   in Loop: Header=BB162_40 Depth=1
	v_and_b32_e32 v5, 0xffff, v7
	v_or_b32_e32 v6, 0x10000, v7
	s_delay_alu instid0(VALU_DEP_2) | instskip(NEXT) | instid1(VALU_DEP_2)
	v_cmp_eq_u32_e32 vcc_lo, 0, v5
	v_cndmask_b32_e32 v29, v6, v7, vcc_lo
; %bb.53:                               ;   in Loop: Header=BB162_40 Depth=1
	s_or_b32 exec_lo, exec_lo, s0
	v_and_b32_e32 v5, 0x7f800000, v8
	s_mov_b32 s0, exec_lo
                                        ; implicit-def: $vgpr30
	s_delay_alu instid0(VALU_DEP_1)
	v_cmpx_ne_u32_e32 0x7f800000, v5
	s_xor_b32 s0, exec_lo, s0
; %bb.54:                               ;   in Loop: Header=BB162_40 Depth=1
	v_bfe_u32 v5, v8, 16, 1
	s_delay_alu instid0(VALU_DEP_1)
	v_add3_u32 v30, v8, v5, 0x7fff
                                        ; implicit-def: $vgpr5_vgpr6_vgpr7_vgpr8
; %bb.55:                               ;   in Loop: Header=BB162_40 Depth=1
	s_and_not1_saveexec_b32 s0, s0
; %bb.56:                               ;   in Loop: Header=BB162_40 Depth=1
	v_and_b32_e32 v5, 0xffff, v8
	v_or_b32_e32 v6, 0x10000, v8
	s_delay_alu instid0(VALU_DEP_2) | instskip(NEXT) | instid1(VALU_DEP_2)
	v_cmp_eq_u32_e32 vcc_lo, 0, v5
	v_cndmask_b32_e32 v30, v6, v8, vcc_lo
; %bb.57:                               ;   in Loop: Header=BB162_40 Depth=1
	s_or_b32 exec_lo, exec_lo, s0
	s_waitcnt lgkmcnt(0)
	v_and_b32_e32 v5, 0x7f800000, v1
	s_mov_b32 s0, exec_lo
                                        ; implicit-def: $vgpr31
	s_delay_alu instid0(VALU_DEP_1)
	v_cmpx_ne_u32_e32 0x7f800000, v5
	s_xor_b32 s0, exec_lo, s0
; %bb.58:                               ;   in Loop: Header=BB162_40 Depth=1
	v_bfe_u32 v5, v1, 16, 1
	s_delay_alu instid0(VALU_DEP_1)
	v_add3_u32 v31, v1, v5, 0x7fff
; %bb.59:                               ;   in Loop: Header=BB162_40 Depth=1
	s_and_not1_saveexec_b32 s0, s0
; %bb.60:                               ;   in Loop: Header=BB162_40 Depth=1
	v_and_b32_e32 v5, 0xffff, v1
	v_or_b32_e32 v6, 0x10000, v1
	s_delay_alu instid0(VALU_DEP_2) | instskip(NEXT) | instid1(VALU_DEP_2)
	v_cmp_eq_u32_e32 vcc_lo, 0, v5
	v_cndmask_b32_e32 v31, v6, v1, vcc_lo
; %bb.61:                               ;   in Loop: Header=BB162_40 Depth=1
	s_or_b32 exec_lo, exec_lo, s0
	v_and_b32_e32 v1, 0x7f800000, v2
	s_mov_b32 s0, exec_lo
                                        ; implicit-def: $vgpr32
	s_delay_alu instid0(VALU_DEP_1)
	v_cmpx_ne_u32_e32 0x7f800000, v1
	s_xor_b32 s0, exec_lo, s0
; %bb.62:                               ;   in Loop: Header=BB162_40 Depth=1
	v_bfe_u32 v1, v2, 16, 1
	s_delay_alu instid0(VALU_DEP_1)
	v_add3_u32 v32, v2, v1, 0x7fff
; %bb.63:                               ;   in Loop: Header=BB162_40 Depth=1
	s_and_not1_saveexec_b32 s0, s0
; %bb.64:                               ;   in Loop: Header=BB162_40 Depth=1
	v_and_b32_e32 v1, 0xffff, v2
	v_or_b32_e32 v5, 0x10000, v2
	s_delay_alu instid0(VALU_DEP_2) | instskip(NEXT) | instid1(VALU_DEP_2)
	v_cmp_eq_u32_e32 vcc_lo, 0, v1
	v_cndmask_b32_e32 v32, v5, v2, vcc_lo
; %bb.65:                               ;   in Loop: Header=BB162_40 Depth=1
	s_or_b32 exec_lo, exec_lo, s0
	v_and_b32_e32 v1, 0x7f800000, v3
	s_mov_b32 s0, exec_lo
                                        ; implicit-def: $vgpr33
	s_delay_alu instid0(VALU_DEP_1)
	v_cmpx_ne_u32_e32 0x7f800000, v1
	s_xor_b32 s0, exec_lo, s0
; %bb.66:                               ;   in Loop: Header=BB162_40 Depth=1
	v_bfe_u32 v1, v3, 16, 1
	s_delay_alu instid0(VALU_DEP_1)
	v_add3_u32 v33, v3, v1, 0x7fff
; %bb.67:                               ;   in Loop: Header=BB162_40 Depth=1
	s_and_not1_saveexec_b32 s0, s0
; %bb.68:                               ;   in Loop: Header=BB162_40 Depth=1
	v_and_b32_e32 v1, 0xffff, v3
	v_or_b32_e32 v2, 0x10000, v3
	s_delay_alu instid0(VALU_DEP_2) | instskip(NEXT) | instid1(VALU_DEP_2)
	v_cmp_eq_u32_e32 vcc_lo, 0, v1
	v_cndmask_b32_e32 v33, v2, v3, vcc_lo
; %bb.69:                               ;   in Loop: Header=BB162_40 Depth=1
	s_or_b32 exec_lo, exec_lo, s0
	v_and_b32_e32 v1, 0x7f800000, v4
	s_mov_b32 s0, exec_lo
                                        ; implicit-def: $vgpr34
	s_delay_alu instid0(VALU_DEP_1)
	v_cmpx_ne_u32_e32 0x7f800000, v1
	s_xor_b32 s0, exec_lo, s0
; %bb.70:                               ;   in Loop: Header=BB162_40 Depth=1
	v_bfe_u32 v1, v4, 16, 1
	s_delay_alu instid0(VALU_DEP_1)
	v_add3_u32 v34, v4, v1, 0x7fff
                                        ; implicit-def: $vgpr1_vgpr2_vgpr3_vgpr4
; %bb.71:                               ;   in Loop: Header=BB162_40 Depth=1
	s_and_not1_saveexec_b32 s0, s0
; %bb.72:                               ;   in Loop: Header=BB162_40 Depth=1
	v_and_b32_e32 v1, 0xffff, v4
	v_or_b32_e32 v2, 0x10000, v4
	s_delay_alu instid0(VALU_DEP_2) | instskip(NEXT) | instid1(VALU_DEP_2)
	v_cmp_eq_u32_e32 vcc_lo, 0, v1
	v_cndmask_b32_e32 v34, v2, v4, vcc_lo
; %bb.73:                               ;   in Loop: Header=BB162_40 Depth=1
	s_or_b32 exec_lo, exec_lo, s0
	s_waitcnt vmcnt(0)
	v_mad_i64_i32 v[1:2], null, v35, s5, 0
	v_add_nc_u32_e32 v35, v24, v15
	s_delay_alu instid0(VALU_DEP_1) | instskip(NEXT) | instid1(VALU_DEP_3)
	v_add_nc_u32_e32 v42, 1, v35
	v_lshlrev_b64 v[1:2], 1, v[1:2]
	v_add_nc_u32_e32 v41, 2, v35
	v_add_nc_u32_e32 v39, 3, v35
	;; [unrolled: 1-line block ×5, first 2 shown]
	v_add_co_u32 v5, vcc_lo, v25, v1
	v_add_co_ci_u32_e32 v6, vcc_lo, v26, v2, vcc_lo
	v_cmp_eq_u32_e32 vcc_lo, s7, v9
	v_add_nc_u32_e32 v40, 7, v35
	global_load_b128 v[1:4], v[5:6], off
	s_waitcnt vmcnt(0)
	v_lshrrev_b32_e32 v8, 16, v1
	v_lshrrev_b32_e32 v47, 16, v2
	;; [unrolled: 1-line block ×4, first 2 shown]
	s_and_saveexec_b32 s10, vcc_lo
	s_cbranch_execz .LBB162_75
; %bb.74:                               ;   in Loop: Header=BB162_40 Depth=1
	v_cmp_gt_i32_e64 s0, s33, v35
	s_delay_alu instid0(VALU_DEP_1) | instskip(SKIP_1) | instid1(VALU_DEP_1)
	v_cndmask_b32_e64 v1, 0, v1, s0
	v_cmp_gt_i32_e64 s0, s33, v42
	v_cndmask_b32_e64 v8, 0, v8, s0
	v_cmp_gt_i32_e64 s0, s33, v41
	s_delay_alu instid0(VALU_DEP_1) | instskip(SKIP_1) | instid1(VALU_DEP_1)
	v_cndmask_b32_e64 v2, 0, v2, s0
	v_cmp_gt_i32_e64 s0, s33, v39
	v_cndmask_b32_e64 v47, 0, v47, s0
	v_cmp_gt_i32_e64 s0, s33, v38
	s_delay_alu instid0(VALU_DEP_1) | instskip(SKIP_1) | instid1(VALU_DEP_1)
	v_cndmask_b32_e64 v3, 0, v3, s0
	v_cmp_gt_i32_e64 s0, s33, v37
	v_cndmask_b32_e64 v49, 0, v49, s0
	v_cmp_gt_i32_e64 s0, s33, v36
	s_delay_alu instid0(VALU_DEP_1) | instskip(SKIP_1) | instid1(VALU_DEP_1)
	v_cndmask_b32_e64 v4, 0, v4, s0
	v_cmp_gt_i32_e64 s0, s33, v40
	v_cndmask_b32_e64 v51, 0, v51, s0
.LBB162_75:                             ;   in Loop: Header=BB162_40 Depth=1
	s_or_b32 exec_lo, exec_lo, s10
	v_and_b32_e32 v43, 0xffff0000, v43
	v_lshlrev_b32_e32 v1, 16, v1
	s_delay_alu instid0(VALU_DEP_1) | instskip(NEXT) | instid1(VALU_DEP_1)
	v_mul_f32_e32 v1, v43, v1
	v_and_b32_e32 v7, 0x7f800000, v1
	s_delay_alu instid0(VALU_DEP_1) | instskip(NEXT) | instid1(VALU_DEP_1)
	v_cmp_ne_u32_e64 s0, 0x7f800000, v7
                                        ; implicit-def: $vgpr7
	s_and_saveexec_b32 s10, s0
	s_delay_alu instid0(SALU_CYCLE_1)
	s_xor_b32 s0, exec_lo, s10
; %bb.76:                               ;   in Loop: Header=BB162_40 Depth=1
	v_bfe_u32 v7, v1, 16, 1
	s_delay_alu instid0(VALU_DEP_1)
	v_add3_u32 v7, v1, v7, 0x7fff
                                        ; implicit-def: $vgpr1
; %bb.77:                               ;   in Loop: Header=BB162_40 Depth=1
	s_and_not1_saveexec_b32 s10, s0
; %bb.78:                               ;   in Loop: Header=BB162_40 Depth=1
	v_and_b32_e32 v7, 0xffff, v1
	v_or_b32_e32 v45, 0x10000, v1
	s_delay_alu instid0(VALU_DEP_2) | instskip(NEXT) | instid1(VALU_DEP_1)
	v_cmp_eq_u32_e64 s0, 0, v7
	v_cndmask_b32_e64 v7, v45, v1, s0
; %bb.79:                               ;   in Loop: Header=BB162_40 Depth=1
	s_or_b32 exec_lo, exec_lo, s10
	v_and_b32_e32 v44, 0xffff0000, v44
	v_lshlrev_b32_e32 v1, 16, v8
	s_delay_alu instid0(VALU_DEP_1) | instskip(NEXT) | instid1(VALU_DEP_1)
	v_mul_f32_e32 v1, v44, v1
	v_and_b32_e32 v8, 0x7f800000, v1
	s_delay_alu instid0(VALU_DEP_1) | instskip(NEXT) | instid1(VALU_DEP_1)
	v_cmp_ne_u32_e64 s0, 0x7f800000, v8
                                        ; implicit-def: $vgpr8
	s_and_saveexec_b32 s10, s0
	s_delay_alu instid0(SALU_CYCLE_1)
	s_xor_b32 s0, exec_lo, s10
; %bb.80:                               ;   in Loop: Header=BB162_40 Depth=1
	v_bfe_u32 v8, v1, 16, 1
	s_delay_alu instid0(VALU_DEP_1)
	v_add3_u32 v8, v1, v8, 0x7fff
                                        ; implicit-def: $vgpr1
; %bb.81:                               ;   in Loop: Header=BB162_40 Depth=1
	s_and_not1_saveexec_b32 s10, s0
; %bb.82:                               ;   in Loop: Header=BB162_40 Depth=1
	v_and_b32_e32 v8, 0xffff, v1
	v_or_b32_e32 v45, 0x10000, v1
	s_delay_alu instid0(VALU_DEP_2) | instskip(NEXT) | instid1(VALU_DEP_1)
	v_cmp_eq_u32_e64 s0, 0, v8
	v_cndmask_b32_e64 v8, v45, v1, s0
; %bb.83:                               ;   in Loop: Header=BB162_40 Depth=1
	s_or_b32 exec_lo, exec_lo, s10
	v_and_b32_e32 v45, 0xffff0000, v29
	v_lshlrev_b32_e32 v1, 16, v2
                                        ; implicit-def: $vgpr29
	s_delay_alu instid0(VALU_DEP_1) | instskip(NEXT) | instid1(VALU_DEP_1)
	v_mul_f32_e32 v1, v45, v1
	v_and_b32_e32 v2, 0x7f800000, v1
	s_delay_alu instid0(VALU_DEP_1) | instskip(NEXT) | instid1(VALU_DEP_1)
	v_cmp_ne_u32_e64 s0, 0x7f800000, v2
	s_and_saveexec_b32 s10, s0
	s_delay_alu instid0(SALU_CYCLE_1)
	s_xor_b32 s0, exec_lo, s10
; %bb.84:                               ;   in Loop: Header=BB162_40 Depth=1
	v_bfe_u32 v2, v1, 16, 1
	s_delay_alu instid0(VALU_DEP_1)
	v_add3_u32 v29, v1, v2, 0x7fff
                                        ; implicit-def: $vgpr1
; %bb.85:                               ;   in Loop: Header=BB162_40 Depth=1
	s_and_not1_saveexec_b32 s10, s0
; %bb.86:                               ;   in Loop: Header=BB162_40 Depth=1
	v_and_b32_e32 v2, 0xffff, v1
	v_or_b32_e32 v29, 0x10000, v1
	s_delay_alu instid0(VALU_DEP_2) | instskip(NEXT) | instid1(VALU_DEP_1)
	v_cmp_eq_u32_e64 s0, 0, v2
	v_cndmask_b32_e64 v29, v29, v1, s0
; %bb.87:                               ;   in Loop: Header=BB162_40 Depth=1
	s_or_b32 exec_lo, exec_lo, s10
	v_and_b32_e32 v46, 0xffff0000, v30
	v_lshlrev_b32_e32 v1, 16, v47
                                        ; implicit-def: $vgpr30
	s_delay_alu instid0(VALU_DEP_1) | instskip(NEXT) | instid1(VALU_DEP_1)
	v_mul_f32_e32 v1, v46, v1
	v_and_b32_e32 v2, 0x7f800000, v1
	s_delay_alu instid0(VALU_DEP_1) | instskip(NEXT) | instid1(VALU_DEP_1)
	v_cmp_ne_u32_e64 s0, 0x7f800000, v2
	s_and_saveexec_b32 s10, s0
	s_delay_alu instid0(SALU_CYCLE_1)
	s_xor_b32 s0, exec_lo, s10
; %bb.88:                               ;   in Loop: Header=BB162_40 Depth=1
	v_bfe_u32 v2, v1, 16, 1
	s_delay_alu instid0(VALU_DEP_1)
	v_add3_u32 v30, v1, v2, 0x7fff
                                        ; implicit-def: $vgpr1
; %bb.89:                               ;   in Loop: Header=BB162_40 Depth=1
	s_and_not1_saveexec_b32 s10, s0
; %bb.90:                               ;   in Loop: Header=BB162_40 Depth=1
	v_and_b32_e32 v2, 0xffff, v1
	v_or_b32_e32 v30, 0x10000, v1
	s_delay_alu instid0(VALU_DEP_2) | instskip(NEXT) | instid1(VALU_DEP_1)
	v_cmp_eq_u32_e64 s0, 0, v2
	v_cndmask_b32_e64 v30, v30, v1, s0
; %bb.91:                               ;   in Loop: Header=BB162_40 Depth=1
	s_or_b32 exec_lo, exec_lo, s10
	v_and_b32_e32 v47, 0xffff0000, v31
	v_lshlrev_b32_e32 v1, 16, v3
                                        ; implicit-def: $vgpr31
	s_delay_alu instid0(VALU_DEP_1) | instskip(NEXT) | instid1(VALU_DEP_1)
	v_mul_f32_e32 v1, v47, v1
	v_and_b32_e32 v2, 0x7f800000, v1
	s_delay_alu instid0(VALU_DEP_1) | instskip(NEXT) | instid1(VALU_DEP_1)
	v_cmp_ne_u32_e64 s0, 0x7f800000, v2
	s_and_saveexec_b32 s10, s0
	s_delay_alu instid0(SALU_CYCLE_1)
	s_xor_b32 s0, exec_lo, s10
; %bb.92:                               ;   in Loop: Header=BB162_40 Depth=1
	v_bfe_u32 v2, v1, 16, 1
	s_delay_alu instid0(VALU_DEP_1)
	v_add3_u32 v31, v1, v2, 0x7fff
                                        ; implicit-def: $vgpr1
; %bb.93:                               ;   in Loop: Header=BB162_40 Depth=1
	s_and_not1_saveexec_b32 s10, s0
; %bb.94:                               ;   in Loop: Header=BB162_40 Depth=1
	v_and_b32_e32 v2, 0xffff, v1
	v_or_b32_e32 v3, 0x10000, v1
	s_delay_alu instid0(VALU_DEP_2) | instskip(NEXT) | instid1(VALU_DEP_1)
	v_cmp_eq_u32_e64 s0, 0, v2
	v_cndmask_b32_e64 v31, v3, v1, s0
; %bb.95:                               ;   in Loop: Header=BB162_40 Depth=1
	s_or_b32 exec_lo, exec_lo, s10
	v_and_b32_e32 v48, 0xffff0000, v32
	v_lshlrev_b32_e32 v1, 16, v49
                                        ; implicit-def: $vgpr32
	s_delay_alu instid0(VALU_DEP_1) | instskip(NEXT) | instid1(VALU_DEP_1)
	v_mul_f32_e32 v1, v48, v1
	v_and_b32_e32 v2, 0x7f800000, v1
	s_delay_alu instid0(VALU_DEP_1) | instskip(NEXT) | instid1(VALU_DEP_1)
	v_cmp_ne_u32_e64 s0, 0x7f800000, v2
	s_and_saveexec_b32 s10, s0
	s_delay_alu instid0(SALU_CYCLE_1)
	s_xor_b32 s0, exec_lo, s10
; %bb.96:                               ;   in Loop: Header=BB162_40 Depth=1
	v_bfe_u32 v2, v1, 16, 1
	s_delay_alu instid0(VALU_DEP_1)
	v_add3_u32 v32, v1, v2, 0x7fff
                                        ; implicit-def: $vgpr1
; %bb.97:                               ;   in Loop: Header=BB162_40 Depth=1
	s_and_not1_saveexec_b32 s10, s0
; %bb.98:                               ;   in Loop: Header=BB162_40 Depth=1
	v_and_b32_e32 v2, 0xffff, v1
	v_or_b32_e32 v3, 0x10000, v1
	s_delay_alu instid0(VALU_DEP_2) | instskip(NEXT) | instid1(VALU_DEP_1)
	v_cmp_eq_u32_e64 s0, 0, v2
	v_cndmask_b32_e64 v32, v3, v1, s0
; %bb.99:                               ;   in Loop: Header=BB162_40 Depth=1
	s_or_b32 exec_lo, exec_lo, s10
	v_and_b32_e32 v49, 0xffff0000, v33
	v_lshlrev_b32_e32 v1, 16, v4
                                        ; implicit-def: $vgpr33
	s_delay_alu instid0(VALU_DEP_1) | instskip(NEXT) | instid1(VALU_DEP_1)
	v_mul_f32_e32 v1, v49, v1
	v_and_b32_e32 v2, 0x7f800000, v1
	s_delay_alu instid0(VALU_DEP_1) | instskip(NEXT) | instid1(VALU_DEP_1)
	v_cmp_ne_u32_e64 s0, 0x7f800000, v2
	s_and_saveexec_b32 s10, s0
	s_delay_alu instid0(SALU_CYCLE_1)
	s_xor_b32 s0, exec_lo, s10
; %bb.100:                              ;   in Loop: Header=BB162_40 Depth=1
	v_bfe_u32 v2, v1, 16, 1
	s_delay_alu instid0(VALU_DEP_1)
	v_add3_u32 v33, v1, v2, 0x7fff
                                        ; implicit-def: $vgpr1
; %bb.101:                              ;   in Loop: Header=BB162_40 Depth=1
	s_and_not1_saveexec_b32 s10, s0
; %bb.102:                              ;   in Loop: Header=BB162_40 Depth=1
	v_and_b32_e32 v2, 0xffff, v1
	v_or_b32_e32 v3, 0x10000, v1
	s_delay_alu instid0(VALU_DEP_2) | instskip(NEXT) | instid1(VALU_DEP_1)
	v_cmp_eq_u32_e64 s0, 0, v2
	v_cndmask_b32_e64 v33, v3, v1, s0
; %bb.103:                              ;   in Loop: Header=BB162_40 Depth=1
	s_or_b32 exec_lo, exec_lo, s10
	v_and_b32_e32 v50, 0xffff0000, v34
	v_lshlrev_b32_e32 v1, 16, v51
                                        ; implicit-def: $vgpr34
	s_delay_alu instid0(VALU_DEP_1) | instskip(NEXT) | instid1(VALU_DEP_1)
	v_mul_f32_e32 v1, v50, v1
	v_and_b32_e32 v2, 0x7f800000, v1
	s_delay_alu instid0(VALU_DEP_1) | instskip(NEXT) | instid1(VALU_DEP_1)
	v_cmp_ne_u32_e64 s0, 0x7f800000, v2
	s_and_saveexec_b32 s10, s0
	s_delay_alu instid0(SALU_CYCLE_1)
	s_xor_b32 s0, exec_lo, s10
; %bb.104:                              ;   in Loop: Header=BB162_40 Depth=1
	v_bfe_u32 v2, v1, 16, 1
	s_delay_alu instid0(VALU_DEP_1)
	v_add3_u32 v34, v1, v2, 0x7fff
                                        ; implicit-def: $vgpr1
; %bb.105:                              ;   in Loop: Header=BB162_40 Depth=1
	s_and_not1_saveexec_b32 s10, s0
; %bb.106:                              ;   in Loop: Header=BB162_40 Depth=1
	v_and_b32_e32 v2, 0xffff, v1
	v_or_b32_e32 v3, 0x10000, v1
	s_delay_alu instid0(VALU_DEP_2) | instskip(NEXT) | instid1(VALU_DEP_1)
	v_cmp_eq_u32_e64 s0, 0, v2
	v_cndmask_b32_e64 v34, v3, v1, s0
; %bb.107:                              ;   in Loop: Header=BB162_40 Depth=1
	s_or_b32 exec_lo, exec_lo, s10
	global_load_b128 v[1:4], v[5:6], off offset:512
	s_waitcnt vmcnt(0)
	v_lshrrev_b32_e32 v52, 16, v1
	v_lshrrev_b32_e32 v54, 16, v2
	;; [unrolled: 1-line block ×4, first 2 shown]
	s_and_saveexec_b32 s10, vcc_lo
	s_cbranch_execz .LBB162_109
; %bb.108:                              ;   in Loop: Header=BB162_40 Depth=1
	v_cmp_gt_i32_e64 s0, s33, v35
	s_delay_alu instid0(VALU_DEP_1) | instskip(SKIP_1) | instid1(VALU_DEP_1)
	v_cndmask_b32_e64 v1, 0, v1, s0
	v_cmp_gt_i32_e64 s0, s33, v42
	v_cndmask_b32_e64 v52, 0, v52, s0
	v_cmp_gt_i32_e64 s0, s33, v41
	s_delay_alu instid0(VALU_DEP_1) | instskip(SKIP_1) | instid1(VALU_DEP_1)
	v_cndmask_b32_e64 v2, 0, v2, s0
	v_cmp_gt_i32_e64 s0, s33, v39
	v_cndmask_b32_e64 v54, 0, v54, s0
	v_cmp_gt_i32_e64 s0, s33, v38
	s_delay_alu instid0(VALU_DEP_1) | instskip(SKIP_1) | instid1(VALU_DEP_1)
	v_cndmask_b32_e64 v3, 0, v3, s0
	v_cmp_gt_i32_e64 s0, s33, v37
	v_cndmask_b32_e64 v56, 0, v56, s0
	v_cmp_gt_i32_e64 s0, s33, v36
	s_delay_alu instid0(VALU_DEP_1) | instskip(SKIP_1) | instid1(VALU_DEP_1)
	v_cndmask_b32_e64 v4, 0, v4, s0
	v_cmp_gt_i32_e64 s0, s33, v40
	v_cndmask_b32_e64 v58, 0, v58, s0
.LBB162_109:                            ;   in Loop: Header=BB162_40 Depth=1
	s_or_b32 exec_lo, exec_lo, s10
	v_lshlrev_b32_e32 v1, 16, v1
	s_delay_alu instid0(VALU_DEP_1) | instskip(NEXT) | instid1(VALU_DEP_1)
	v_mul_f32_e32 v1, v43, v1
	v_and_b32_e32 v51, 0x7f800000, v1
	s_delay_alu instid0(VALU_DEP_1) | instskip(NEXT) | instid1(VALU_DEP_1)
	v_cmp_ne_u32_e64 s0, 0x7f800000, v51
                                        ; implicit-def: $vgpr51
	s_and_saveexec_b32 s10, s0
	s_delay_alu instid0(SALU_CYCLE_1)
	s_xor_b32 s0, exec_lo, s10
; %bb.110:                              ;   in Loop: Header=BB162_40 Depth=1
	v_bfe_u32 v51, v1, 16, 1
	s_delay_alu instid0(VALU_DEP_1)
	v_add3_u32 v51, v1, v51, 0x7fff
                                        ; implicit-def: $vgpr1
; %bb.111:                              ;   in Loop: Header=BB162_40 Depth=1
	s_and_not1_saveexec_b32 s10, s0
; %bb.112:                              ;   in Loop: Header=BB162_40 Depth=1
	v_and_b32_e32 v51, 0xffff, v1
	v_or_b32_e32 v53, 0x10000, v1
	s_delay_alu instid0(VALU_DEP_2) | instskip(NEXT) | instid1(VALU_DEP_1)
	v_cmp_eq_u32_e64 s0, 0, v51
	v_cndmask_b32_e64 v51, v53, v1, s0
; %bb.113:                              ;   in Loop: Header=BB162_40 Depth=1
	s_or_b32 exec_lo, exec_lo, s10
	v_lshlrev_b32_e32 v1, 16, v52
	s_delay_alu instid0(VALU_DEP_1) | instskip(NEXT) | instid1(VALU_DEP_1)
	v_mul_f32_e32 v1, v44, v1
	v_and_b32_e32 v52, 0x7f800000, v1
	s_delay_alu instid0(VALU_DEP_1) | instskip(NEXT) | instid1(VALU_DEP_1)
	v_cmp_ne_u32_e64 s0, 0x7f800000, v52
                                        ; implicit-def: $vgpr52
	s_and_saveexec_b32 s10, s0
	s_delay_alu instid0(SALU_CYCLE_1)
	s_xor_b32 s0, exec_lo, s10
; %bb.114:                              ;   in Loop: Header=BB162_40 Depth=1
	v_bfe_u32 v52, v1, 16, 1
	s_delay_alu instid0(VALU_DEP_1)
	v_add3_u32 v52, v1, v52, 0x7fff
                                        ; implicit-def: $vgpr1
; %bb.115:                              ;   in Loop: Header=BB162_40 Depth=1
	s_and_not1_saveexec_b32 s10, s0
; %bb.116:                              ;   in Loop: Header=BB162_40 Depth=1
	v_and_b32_e32 v52, 0xffff, v1
	v_or_b32_e32 v53, 0x10000, v1
	s_delay_alu instid0(VALU_DEP_2) | instskip(NEXT) | instid1(VALU_DEP_1)
	v_cmp_eq_u32_e64 s0, 0, v52
	v_cndmask_b32_e64 v52, v53, v1, s0
; %bb.117:                              ;   in Loop: Header=BB162_40 Depth=1
	s_or_b32 exec_lo, exec_lo, s10
	v_lshlrev_b32_e32 v1, 16, v2
                                        ; implicit-def: $vgpr53
	s_delay_alu instid0(VALU_DEP_1) | instskip(NEXT) | instid1(VALU_DEP_1)
	v_mul_f32_e32 v1, v45, v1
	v_and_b32_e32 v2, 0x7f800000, v1
	s_delay_alu instid0(VALU_DEP_1) | instskip(NEXT) | instid1(VALU_DEP_1)
	v_cmp_ne_u32_e64 s0, 0x7f800000, v2
	s_and_saveexec_b32 s10, s0
	s_delay_alu instid0(SALU_CYCLE_1)
	s_xor_b32 s0, exec_lo, s10
; %bb.118:                              ;   in Loop: Header=BB162_40 Depth=1
	v_bfe_u32 v2, v1, 16, 1
	s_delay_alu instid0(VALU_DEP_1)
	v_add3_u32 v53, v1, v2, 0x7fff
                                        ; implicit-def: $vgpr1
; %bb.119:                              ;   in Loop: Header=BB162_40 Depth=1
	s_and_not1_saveexec_b32 s10, s0
; %bb.120:                              ;   in Loop: Header=BB162_40 Depth=1
	v_and_b32_e32 v2, 0xffff, v1
	v_or_b32_e32 v53, 0x10000, v1
	s_delay_alu instid0(VALU_DEP_2) | instskip(NEXT) | instid1(VALU_DEP_1)
	v_cmp_eq_u32_e64 s0, 0, v2
	v_cndmask_b32_e64 v53, v53, v1, s0
; %bb.121:                              ;   in Loop: Header=BB162_40 Depth=1
	s_or_b32 exec_lo, exec_lo, s10
	v_lshlrev_b32_e32 v1, 16, v54
                                        ; implicit-def: $vgpr54
	s_delay_alu instid0(VALU_DEP_1) | instskip(NEXT) | instid1(VALU_DEP_1)
	v_mul_f32_e32 v1, v46, v1
	v_and_b32_e32 v2, 0x7f800000, v1
	s_delay_alu instid0(VALU_DEP_1) | instskip(NEXT) | instid1(VALU_DEP_1)
	v_cmp_ne_u32_e64 s0, 0x7f800000, v2
	s_and_saveexec_b32 s10, s0
	s_delay_alu instid0(SALU_CYCLE_1)
	s_xor_b32 s0, exec_lo, s10
; %bb.122:                              ;   in Loop: Header=BB162_40 Depth=1
	v_bfe_u32 v2, v1, 16, 1
	s_delay_alu instid0(VALU_DEP_1)
	v_add3_u32 v54, v1, v2, 0x7fff
                                        ; implicit-def: $vgpr1
; %bb.123:                              ;   in Loop: Header=BB162_40 Depth=1
	s_and_not1_saveexec_b32 s10, s0
; %bb.124:                              ;   in Loop: Header=BB162_40 Depth=1
	v_and_b32_e32 v2, 0xffff, v1
	v_or_b32_e32 v54, 0x10000, v1
	s_delay_alu instid0(VALU_DEP_2) | instskip(NEXT) | instid1(VALU_DEP_1)
	v_cmp_eq_u32_e64 s0, 0, v2
	v_cndmask_b32_e64 v54, v54, v1, s0
; %bb.125:                              ;   in Loop: Header=BB162_40 Depth=1
	s_or_b32 exec_lo, exec_lo, s10
	v_lshlrev_b32_e32 v1, 16, v3
                                        ; implicit-def: $vgpr55
	s_delay_alu instid0(VALU_DEP_1) | instskip(NEXT) | instid1(VALU_DEP_1)
	v_mul_f32_e32 v1, v47, v1
	v_and_b32_e32 v2, 0x7f800000, v1
	s_delay_alu instid0(VALU_DEP_1) | instskip(NEXT) | instid1(VALU_DEP_1)
	v_cmp_ne_u32_e64 s0, 0x7f800000, v2
	s_and_saveexec_b32 s10, s0
	s_delay_alu instid0(SALU_CYCLE_1)
	s_xor_b32 s0, exec_lo, s10
; %bb.126:                              ;   in Loop: Header=BB162_40 Depth=1
	v_bfe_u32 v2, v1, 16, 1
	s_delay_alu instid0(VALU_DEP_1)
	v_add3_u32 v55, v1, v2, 0x7fff
                                        ; implicit-def: $vgpr1
; %bb.127:                              ;   in Loop: Header=BB162_40 Depth=1
	s_and_not1_saveexec_b32 s10, s0
; %bb.128:                              ;   in Loop: Header=BB162_40 Depth=1
	v_and_b32_e32 v2, 0xffff, v1
	v_or_b32_e32 v3, 0x10000, v1
	s_delay_alu instid0(VALU_DEP_2) | instskip(NEXT) | instid1(VALU_DEP_1)
	v_cmp_eq_u32_e64 s0, 0, v2
	v_cndmask_b32_e64 v55, v3, v1, s0
; %bb.129:                              ;   in Loop: Header=BB162_40 Depth=1
	s_or_b32 exec_lo, exec_lo, s10
	v_lshlrev_b32_e32 v1, 16, v56
                                        ; implicit-def: $vgpr56
	s_delay_alu instid0(VALU_DEP_1) | instskip(NEXT) | instid1(VALU_DEP_1)
	v_mul_f32_e32 v1, v48, v1
	v_and_b32_e32 v2, 0x7f800000, v1
	s_delay_alu instid0(VALU_DEP_1) | instskip(NEXT) | instid1(VALU_DEP_1)
	v_cmp_ne_u32_e64 s0, 0x7f800000, v2
	s_and_saveexec_b32 s10, s0
	s_delay_alu instid0(SALU_CYCLE_1)
	s_xor_b32 s0, exec_lo, s10
; %bb.130:                              ;   in Loop: Header=BB162_40 Depth=1
	v_bfe_u32 v2, v1, 16, 1
	s_delay_alu instid0(VALU_DEP_1)
	v_add3_u32 v56, v1, v2, 0x7fff
                                        ; implicit-def: $vgpr1
; %bb.131:                              ;   in Loop: Header=BB162_40 Depth=1
	s_and_not1_saveexec_b32 s10, s0
; %bb.132:                              ;   in Loop: Header=BB162_40 Depth=1
	v_and_b32_e32 v2, 0xffff, v1
	v_or_b32_e32 v3, 0x10000, v1
	s_delay_alu instid0(VALU_DEP_2) | instskip(NEXT) | instid1(VALU_DEP_1)
	v_cmp_eq_u32_e64 s0, 0, v2
	v_cndmask_b32_e64 v56, v3, v1, s0
; %bb.133:                              ;   in Loop: Header=BB162_40 Depth=1
	s_or_b32 exec_lo, exec_lo, s10
	v_lshlrev_b32_e32 v1, 16, v4
                                        ; implicit-def: $vgpr57
	s_delay_alu instid0(VALU_DEP_1) | instskip(NEXT) | instid1(VALU_DEP_1)
	v_mul_f32_e32 v1, v49, v1
	v_and_b32_e32 v2, 0x7f800000, v1
	s_delay_alu instid0(VALU_DEP_1) | instskip(NEXT) | instid1(VALU_DEP_1)
	v_cmp_ne_u32_e64 s0, 0x7f800000, v2
	s_and_saveexec_b32 s10, s0
	s_delay_alu instid0(SALU_CYCLE_1)
	s_xor_b32 s0, exec_lo, s10
; %bb.134:                              ;   in Loop: Header=BB162_40 Depth=1
	v_bfe_u32 v2, v1, 16, 1
	s_delay_alu instid0(VALU_DEP_1)
	v_add3_u32 v57, v1, v2, 0x7fff
                                        ; implicit-def: $vgpr1
; %bb.135:                              ;   in Loop: Header=BB162_40 Depth=1
	s_and_not1_saveexec_b32 s10, s0
; %bb.136:                              ;   in Loop: Header=BB162_40 Depth=1
	v_and_b32_e32 v2, 0xffff, v1
	v_or_b32_e32 v3, 0x10000, v1
	s_delay_alu instid0(VALU_DEP_2) | instskip(NEXT) | instid1(VALU_DEP_1)
	v_cmp_eq_u32_e64 s0, 0, v2
	v_cndmask_b32_e64 v57, v3, v1, s0
; %bb.137:                              ;   in Loop: Header=BB162_40 Depth=1
	s_or_b32 exec_lo, exec_lo, s10
	v_lshlrev_b32_e32 v1, 16, v58
                                        ; implicit-def: $vgpr58
	s_delay_alu instid0(VALU_DEP_1) | instskip(NEXT) | instid1(VALU_DEP_1)
	v_mul_f32_e32 v1, v50, v1
	v_and_b32_e32 v2, 0x7f800000, v1
	s_delay_alu instid0(VALU_DEP_1) | instskip(NEXT) | instid1(VALU_DEP_1)
	v_cmp_ne_u32_e64 s0, 0x7f800000, v2
	s_and_saveexec_b32 s10, s0
	s_delay_alu instid0(SALU_CYCLE_1)
	s_xor_b32 s0, exec_lo, s10
; %bb.138:                              ;   in Loop: Header=BB162_40 Depth=1
	v_bfe_u32 v2, v1, 16, 1
	s_delay_alu instid0(VALU_DEP_1)
	v_add3_u32 v58, v1, v2, 0x7fff
                                        ; implicit-def: $vgpr1
; %bb.139:                              ;   in Loop: Header=BB162_40 Depth=1
	s_and_not1_saveexec_b32 s10, s0
; %bb.140:                              ;   in Loop: Header=BB162_40 Depth=1
	v_and_b32_e32 v2, 0xffff, v1
	v_or_b32_e32 v3, 0x10000, v1
	s_delay_alu instid0(VALU_DEP_2) | instskip(NEXT) | instid1(VALU_DEP_1)
	v_cmp_eq_u32_e64 s0, 0, v2
	v_cndmask_b32_e64 v58, v3, v1, s0
; %bb.141:                              ;   in Loop: Header=BB162_40 Depth=1
	s_or_b32 exec_lo, exec_lo, s10
	global_load_b128 v[1:4], v[5:6], off offset:1024
	s_waitcnt vmcnt(0)
	v_lshrrev_b32_e32 v60, 16, v1
	v_lshrrev_b32_e32 v62, 16, v2
	;; [unrolled: 1-line block ×4, first 2 shown]
	s_and_saveexec_b32 s10, vcc_lo
	s_cbranch_execz .LBB162_143
; %bb.142:                              ;   in Loop: Header=BB162_40 Depth=1
	v_cmp_gt_i32_e64 s0, s33, v35
	s_delay_alu instid0(VALU_DEP_1) | instskip(SKIP_1) | instid1(VALU_DEP_1)
	v_cndmask_b32_e64 v1, 0, v1, s0
	v_cmp_gt_i32_e64 s0, s33, v42
	v_cndmask_b32_e64 v60, 0, v60, s0
	v_cmp_gt_i32_e64 s0, s33, v41
	s_delay_alu instid0(VALU_DEP_1) | instskip(SKIP_1) | instid1(VALU_DEP_1)
	v_cndmask_b32_e64 v2, 0, v2, s0
	v_cmp_gt_i32_e64 s0, s33, v39
	v_cndmask_b32_e64 v62, 0, v62, s0
	;; [unrolled: 5-line block ×4, first 2 shown]
.LBB162_143:                            ;   in Loop: Header=BB162_40 Depth=1
	s_or_b32 exec_lo, exec_lo, s10
	v_lshlrev_b32_e32 v1, 16, v1
	s_delay_alu instid0(VALU_DEP_1) | instskip(NEXT) | instid1(VALU_DEP_1)
	v_mul_f32_e32 v1, v43, v1
	v_and_b32_e32 v59, 0x7f800000, v1
	s_delay_alu instid0(VALU_DEP_1) | instskip(NEXT) | instid1(VALU_DEP_1)
	v_cmp_ne_u32_e64 s0, 0x7f800000, v59
                                        ; implicit-def: $vgpr59
	s_and_saveexec_b32 s10, s0
	s_delay_alu instid0(SALU_CYCLE_1)
	s_xor_b32 s0, exec_lo, s10
; %bb.144:                              ;   in Loop: Header=BB162_40 Depth=1
	v_bfe_u32 v59, v1, 16, 1
	s_delay_alu instid0(VALU_DEP_1)
	v_add3_u32 v59, v1, v59, 0x7fff
                                        ; implicit-def: $vgpr1
; %bb.145:                              ;   in Loop: Header=BB162_40 Depth=1
	s_and_not1_saveexec_b32 s10, s0
; %bb.146:                              ;   in Loop: Header=BB162_40 Depth=1
	v_and_b32_e32 v59, 0xffff, v1
	v_or_b32_e32 v61, 0x10000, v1
	s_delay_alu instid0(VALU_DEP_2) | instskip(NEXT) | instid1(VALU_DEP_1)
	v_cmp_eq_u32_e64 s0, 0, v59
	v_cndmask_b32_e64 v59, v61, v1, s0
; %bb.147:                              ;   in Loop: Header=BB162_40 Depth=1
	s_or_b32 exec_lo, exec_lo, s10
	v_lshlrev_b32_e32 v1, 16, v60
	s_delay_alu instid0(VALU_DEP_1) | instskip(NEXT) | instid1(VALU_DEP_1)
	v_mul_f32_e32 v1, v44, v1
	v_and_b32_e32 v60, 0x7f800000, v1
	s_delay_alu instid0(VALU_DEP_1) | instskip(NEXT) | instid1(VALU_DEP_1)
	v_cmp_ne_u32_e64 s0, 0x7f800000, v60
                                        ; implicit-def: $vgpr60
	s_and_saveexec_b32 s10, s0
	s_delay_alu instid0(SALU_CYCLE_1)
	s_xor_b32 s0, exec_lo, s10
; %bb.148:                              ;   in Loop: Header=BB162_40 Depth=1
	v_bfe_u32 v60, v1, 16, 1
	s_delay_alu instid0(VALU_DEP_1)
	v_add3_u32 v60, v1, v60, 0x7fff
                                        ; implicit-def: $vgpr1
; %bb.149:                              ;   in Loop: Header=BB162_40 Depth=1
	s_and_not1_saveexec_b32 s10, s0
; %bb.150:                              ;   in Loop: Header=BB162_40 Depth=1
	v_and_b32_e32 v60, 0xffff, v1
	v_or_b32_e32 v61, 0x10000, v1
	s_delay_alu instid0(VALU_DEP_2) | instskip(NEXT) | instid1(VALU_DEP_1)
	v_cmp_eq_u32_e64 s0, 0, v60
	v_cndmask_b32_e64 v60, v61, v1, s0
; %bb.151:                              ;   in Loop: Header=BB162_40 Depth=1
	s_or_b32 exec_lo, exec_lo, s10
	v_lshlrev_b32_e32 v1, 16, v2
                                        ; implicit-def: $vgpr61
	s_delay_alu instid0(VALU_DEP_1) | instskip(NEXT) | instid1(VALU_DEP_1)
	v_mul_f32_e32 v1, v45, v1
	v_and_b32_e32 v2, 0x7f800000, v1
	s_delay_alu instid0(VALU_DEP_1) | instskip(NEXT) | instid1(VALU_DEP_1)
	v_cmp_ne_u32_e64 s0, 0x7f800000, v2
	s_and_saveexec_b32 s10, s0
	s_delay_alu instid0(SALU_CYCLE_1)
	s_xor_b32 s0, exec_lo, s10
; %bb.152:                              ;   in Loop: Header=BB162_40 Depth=1
	v_bfe_u32 v2, v1, 16, 1
	s_delay_alu instid0(VALU_DEP_1)
	v_add3_u32 v61, v1, v2, 0x7fff
                                        ; implicit-def: $vgpr1
; %bb.153:                              ;   in Loop: Header=BB162_40 Depth=1
	s_and_not1_saveexec_b32 s10, s0
; %bb.154:                              ;   in Loop: Header=BB162_40 Depth=1
	v_and_b32_e32 v2, 0xffff, v1
	v_or_b32_e32 v61, 0x10000, v1
	s_delay_alu instid0(VALU_DEP_2) | instskip(NEXT) | instid1(VALU_DEP_1)
	v_cmp_eq_u32_e64 s0, 0, v2
	v_cndmask_b32_e64 v61, v61, v1, s0
; %bb.155:                              ;   in Loop: Header=BB162_40 Depth=1
	s_or_b32 exec_lo, exec_lo, s10
	v_lshlrev_b32_e32 v1, 16, v62
                                        ; implicit-def: $vgpr62
	s_delay_alu instid0(VALU_DEP_1) | instskip(NEXT) | instid1(VALU_DEP_1)
	v_mul_f32_e32 v1, v46, v1
	v_and_b32_e32 v2, 0x7f800000, v1
	s_delay_alu instid0(VALU_DEP_1) | instskip(NEXT) | instid1(VALU_DEP_1)
	v_cmp_ne_u32_e64 s0, 0x7f800000, v2
	s_and_saveexec_b32 s10, s0
	s_delay_alu instid0(SALU_CYCLE_1)
	s_xor_b32 s0, exec_lo, s10
; %bb.156:                              ;   in Loop: Header=BB162_40 Depth=1
	v_bfe_u32 v2, v1, 16, 1
	s_delay_alu instid0(VALU_DEP_1)
	v_add3_u32 v62, v1, v2, 0x7fff
                                        ; implicit-def: $vgpr1
; %bb.157:                              ;   in Loop: Header=BB162_40 Depth=1
	s_and_not1_saveexec_b32 s10, s0
; %bb.158:                              ;   in Loop: Header=BB162_40 Depth=1
	v_and_b32_e32 v2, 0xffff, v1
	v_or_b32_e32 v62, 0x10000, v1
	s_delay_alu instid0(VALU_DEP_2) | instskip(NEXT) | instid1(VALU_DEP_1)
	v_cmp_eq_u32_e64 s0, 0, v2
	v_cndmask_b32_e64 v62, v62, v1, s0
; %bb.159:                              ;   in Loop: Header=BB162_40 Depth=1
	s_or_b32 exec_lo, exec_lo, s10
	v_lshlrev_b32_e32 v1, 16, v3
                                        ; implicit-def: $vgpr63
	s_delay_alu instid0(VALU_DEP_1) | instskip(NEXT) | instid1(VALU_DEP_1)
	v_mul_f32_e32 v1, v47, v1
	v_and_b32_e32 v2, 0x7f800000, v1
	s_delay_alu instid0(VALU_DEP_1) | instskip(NEXT) | instid1(VALU_DEP_1)
	v_cmp_ne_u32_e64 s0, 0x7f800000, v2
	s_and_saveexec_b32 s10, s0
	s_delay_alu instid0(SALU_CYCLE_1)
	s_xor_b32 s0, exec_lo, s10
; %bb.160:                              ;   in Loop: Header=BB162_40 Depth=1
	v_bfe_u32 v2, v1, 16, 1
	s_delay_alu instid0(VALU_DEP_1)
	v_add3_u32 v63, v1, v2, 0x7fff
                                        ; implicit-def: $vgpr1
; %bb.161:                              ;   in Loop: Header=BB162_40 Depth=1
	s_and_not1_saveexec_b32 s10, s0
; %bb.162:                              ;   in Loop: Header=BB162_40 Depth=1
	v_and_b32_e32 v2, 0xffff, v1
	v_or_b32_e32 v3, 0x10000, v1
	s_delay_alu instid0(VALU_DEP_2) | instskip(NEXT) | instid1(VALU_DEP_1)
	v_cmp_eq_u32_e64 s0, 0, v2
	v_cndmask_b32_e64 v63, v3, v1, s0
; %bb.163:                              ;   in Loop: Header=BB162_40 Depth=1
	s_or_b32 exec_lo, exec_lo, s10
	v_lshlrev_b32_e32 v1, 16, v64
                                        ; implicit-def: $vgpr64
	s_delay_alu instid0(VALU_DEP_1) | instskip(NEXT) | instid1(VALU_DEP_1)
	v_mul_f32_e32 v1, v48, v1
	v_and_b32_e32 v2, 0x7f800000, v1
	s_delay_alu instid0(VALU_DEP_1) | instskip(NEXT) | instid1(VALU_DEP_1)
	v_cmp_ne_u32_e64 s0, 0x7f800000, v2
	s_and_saveexec_b32 s10, s0
	s_delay_alu instid0(SALU_CYCLE_1)
	s_xor_b32 s0, exec_lo, s10
; %bb.164:                              ;   in Loop: Header=BB162_40 Depth=1
	v_bfe_u32 v2, v1, 16, 1
	s_delay_alu instid0(VALU_DEP_1)
	v_add3_u32 v64, v1, v2, 0x7fff
                                        ; implicit-def: $vgpr1
; %bb.165:                              ;   in Loop: Header=BB162_40 Depth=1
	s_and_not1_saveexec_b32 s10, s0
; %bb.166:                              ;   in Loop: Header=BB162_40 Depth=1
	v_and_b32_e32 v2, 0xffff, v1
	v_or_b32_e32 v3, 0x10000, v1
	s_delay_alu instid0(VALU_DEP_2) | instskip(NEXT) | instid1(VALU_DEP_1)
	v_cmp_eq_u32_e64 s0, 0, v2
	v_cndmask_b32_e64 v64, v3, v1, s0
; %bb.167:                              ;   in Loop: Header=BB162_40 Depth=1
	s_or_b32 exec_lo, exec_lo, s10
	v_lshlrev_b32_e32 v1, 16, v4
                                        ; implicit-def: $vgpr65
	s_delay_alu instid0(VALU_DEP_1) | instskip(NEXT) | instid1(VALU_DEP_1)
	v_mul_f32_e32 v1, v49, v1
	v_and_b32_e32 v2, 0x7f800000, v1
	s_delay_alu instid0(VALU_DEP_1) | instskip(NEXT) | instid1(VALU_DEP_1)
	v_cmp_ne_u32_e64 s0, 0x7f800000, v2
	s_and_saveexec_b32 s10, s0
	s_delay_alu instid0(SALU_CYCLE_1)
	s_xor_b32 s0, exec_lo, s10
; %bb.168:                              ;   in Loop: Header=BB162_40 Depth=1
	v_bfe_u32 v2, v1, 16, 1
	s_delay_alu instid0(VALU_DEP_1)
	v_add3_u32 v65, v1, v2, 0x7fff
                                        ; implicit-def: $vgpr1
; %bb.169:                              ;   in Loop: Header=BB162_40 Depth=1
	s_and_not1_saveexec_b32 s10, s0
; %bb.170:                              ;   in Loop: Header=BB162_40 Depth=1
	v_and_b32_e32 v2, 0xffff, v1
	v_or_b32_e32 v3, 0x10000, v1
	s_delay_alu instid0(VALU_DEP_2) | instskip(NEXT) | instid1(VALU_DEP_1)
	v_cmp_eq_u32_e64 s0, 0, v2
	v_cndmask_b32_e64 v65, v3, v1, s0
; %bb.171:                              ;   in Loop: Header=BB162_40 Depth=1
	s_or_b32 exec_lo, exec_lo, s10
	v_lshlrev_b32_e32 v1, 16, v66
                                        ; implicit-def: $vgpr66
	s_delay_alu instid0(VALU_DEP_1) | instskip(NEXT) | instid1(VALU_DEP_1)
	v_mul_f32_e32 v1, v50, v1
	v_and_b32_e32 v2, 0x7f800000, v1
	s_delay_alu instid0(VALU_DEP_1) | instskip(NEXT) | instid1(VALU_DEP_1)
	v_cmp_ne_u32_e64 s0, 0x7f800000, v2
	s_and_saveexec_b32 s10, s0
	s_delay_alu instid0(SALU_CYCLE_1)
	s_xor_b32 s0, exec_lo, s10
; %bb.172:                              ;   in Loop: Header=BB162_40 Depth=1
	v_bfe_u32 v2, v1, 16, 1
	s_delay_alu instid0(VALU_DEP_1)
	v_add3_u32 v66, v1, v2, 0x7fff
                                        ; implicit-def: $vgpr1
; %bb.173:                              ;   in Loop: Header=BB162_40 Depth=1
	s_and_not1_saveexec_b32 s10, s0
; %bb.174:                              ;   in Loop: Header=BB162_40 Depth=1
	v_and_b32_e32 v2, 0xffff, v1
	v_or_b32_e32 v3, 0x10000, v1
	s_delay_alu instid0(VALU_DEP_2) | instskip(NEXT) | instid1(VALU_DEP_1)
	v_cmp_eq_u32_e64 s0, 0, v2
	v_cndmask_b32_e64 v66, v3, v1, s0
; %bb.175:                              ;   in Loop: Header=BB162_40 Depth=1
	s_or_b32 exec_lo, exec_lo, s10
	global_load_b128 v[1:4], v[5:6], off offset:1536
	s_waitcnt vmcnt(0)
	v_lshrrev_b32_e32 v68, 16, v1
	v_lshrrev_b32_e32 v70, 16, v2
	;; [unrolled: 1-line block ×4, first 2 shown]
	s_and_saveexec_b32 s10, vcc_lo
	s_cbranch_execz .LBB162_177
; %bb.176:                              ;   in Loop: Header=BB162_40 Depth=1
	v_cmp_gt_i32_e64 s0, s33, v35
	s_delay_alu instid0(VALU_DEP_1) | instskip(SKIP_1) | instid1(VALU_DEP_1)
	v_cndmask_b32_e64 v1, 0, v1, s0
	v_cmp_gt_i32_e64 s0, s33, v42
	v_cndmask_b32_e64 v68, 0, v68, s0
	v_cmp_gt_i32_e64 s0, s33, v41
	s_delay_alu instid0(VALU_DEP_1) | instskip(SKIP_1) | instid1(VALU_DEP_1)
	v_cndmask_b32_e64 v2, 0, v2, s0
	v_cmp_gt_i32_e64 s0, s33, v39
	v_cndmask_b32_e64 v70, 0, v70, s0
	;; [unrolled: 5-line block ×4, first 2 shown]
.LBB162_177:                            ;   in Loop: Header=BB162_40 Depth=1
	s_or_b32 exec_lo, exec_lo, s10
	v_lshlrev_b32_e32 v1, 16, v1
	s_delay_alu instid0(VALU_DEP_1) | instskip(NEXT) | instid1(VALU_DEP_1)
	v_mul_f32_e32 v1, v43, v1
	v_and_b32_e32 v67, 0x7f800000, v1
	s_delay_alu instid0(VALU_DEP_1) | instskip(NEXT) | instid1(VALU_DEP_1)
	v_cmp_ne_u32_e64 s0, 0x7f800000, v67
                                        ; implicit-def: $vgpr67
	s_and_saveexec_b32 s10, s0
	s_delay_alu instid0(SALU_CYCLE_1)
	s_xor_b32 s0, exec_lo, s10
; %bb.178:                              ;   in Loop: Header=BB162_40 Depth=1
	v_bfe_u32 v67, v1, 16, 1
	s_delay_alu instid0(VALU_DEP_1)
	v_add3_u32 v67, v1, v67, 0x7fff
                                        ; implicit-def: $vgpr1
; %bb.179:                              ;   in Loop: Header=BB162_40 Depth=1
	s_and_not1_saveexec_b32 s10, s0
; %bb.180:                              ;   in Loop: Header=BB162_40 Depth=1
	v_and_b32_e32 v67, 0xffff, v1
	v_or_b32_e32 v69, 0x10000, v1
	s_delay_alu instid0(VALU_DEP_2) | instskip(NEXT) | instid1(VALU_DEP_1)
	v_cmp_eq_u32_e64 s0, 0, v67
	v_cndmask_b32_e64 v67, v69, v1, s0
; %bb.181:                              ;   in Loop: Header=BB162_40 Depth=1
	s_or_b32 exec_lo, exec_lo, s10
	v_lshlrev_b32_e32 v1, 16, v68
	s_delay_alu instid0(VALU_DEP_1) | instskip(NEXT) | instid1(VALU_DEP_1)
	v_mul_f32_e32 v1, v44, v1
	v_and_b32_e32 v68, 0x7f800000, v1
	s_delay_alu instid0(VALU_DEP_1) | instskip(NEXT) | instid1(VALU_DEP_1)
	v_cmp_ne_u32_e64 s0, 0x7f800000, v68
                                        ; implicit-def: $vgpr68
	s_and_saveexec_b32 s10, s0
	s_delay_alu instid0(SALU_CYCLE_1)
	s_xor_b32 s0, exec_lo, s10
; %bb.182:                              ;   in Loop: Header=BB162_40 Depth=1
	v_bfe_u32 v68, v1, 16, 1
	s_delay_alu instid0(VALU_DEP_1)
	v_add3_u32 v68, v1, v68, 0x7fff
                                        ; implicit-def: $vgpr1
; %bb.183:                              ;   in Loop: Header=BB162_40 Depth=1
	s_and_not1_saveexec_b32 s10, s0
; %bb.184:                              ;   in Loop: Header=BB162_40 Depth=1
	v_and_b32_e32 v68, 0xffff, v1
	v_or_b32_e32 v69, 0x10000, v1
	s_delay_alu instid0(VALU_DEP_2) | instskip(NEXT) | instid1(VALU_DEP_1)
	v_cmp_eq_u32_e64 s0, 0, v68
	v_cndmask_b32_e64 v68, v69, v1, s0
; %bb.185:                              ;   in Loop: Header=BB162_40 Depth=1
	s_or_b32 exec_lo, exec_lo, s10
	v_lshlrev_b32_e32 v1, 16, v2
                                        ; implicit-def: $vgpr69
	s_delay_alu instid0(VALU_DEP_1) | instskip(NEXT) | instid1(VALU_DEP_1)
	v_mul_f32_e32 v1, v45, v1
	v_and_b32_e32 v2, 0x7f800000, v1
	s_delay_alu instid0(VALU_DEP_1) | instskip(NEXT) | instid1(VALU_DEP_1)
	v_cmp_ne_u32_e64 s0, 0x7f800000, v2
	s_and_saveexec_b32 s10, s0
	s_delay_alu instid0(SALU_CYCLE_1)
	s_xor_b32 s0, exec_lo, s10
; %bb.186:                              ;   in Loop: Header=BB162_40 Depth=1
	v_bfe_u32 v2, v1, 16, 1
	s_delay_alu instid0(VALU_DEP_1)
	v_add3_u32 v69, v1, v2, 0x7fff
                                        ; implicit-def: $vgpr1
; %bb.187:                              ;   in Loop: Header=BB162_40 Depth=1
	s_and_not1_saveexec_b32 s10, s0
; %bb.188:                              ;   in Loop: Header=BB162_40 Depth=1
	v_and_b32_e32 v2, 0xffff, v1
	v_or_b32_e32 v69, 0x10000, v1
	s_delay_alu instid0(VALU_DEP_2) | instskip(NEXT) | instid1(VALU_DEP_1)
	v_cmp_eq_u32_e64 s0, 0, v2
	v_cndmask_b32_e64 v69, v69, v1, s0
; %bb.189:                              ;   in Loop: Header=BB162_40 Depth=1
	s_or_b32 exec_lo, exec_lo, s10
	v_lshlrev_b32_e32 v1, 16, v70
                                        ; implicit-def: $vgpr70
	s_delay_alu instid0(VALU_DEP_1) | instskip(NEXT) | instid1(VALU_DEP_1)
	v_mul_f32_e32 v1, v46, v1
	v_and_b32_e32 v2, 0x7f800000, v1
	s_delay_alu instid0(VALU_DEP_1) | instskip(NEXT) | instid1(VALU_DEP_1)
	v_cmp_ne_u32_e64 s0, 0x7f800000, v2
	s_and_saveexec_b32 s10, s0
	s_delay_alu instid0(SALU_CYCLE_1)
	s_xor_b32 s0, exec_lo, s10
; %bb.190:                              ;   in Loop: Header=BB162_40 Depth=1
	v_bfe_u32 v2, v1, 16, 1
	s_delay_alu instid0(VALU_DEP_1)
	v_add3_u32 v70, v1, v2, 0x7fff
                                        ; implicit-def: $vgpr1
; %bb.191:                              ;   in Loop: Header=BB162_40 Depth=1
	s_and_not1_saveexec_b32 s10, s0
; %bb.192:                              ;   in Loop: Header=BB162_40 Depth=1
	v_and_b32_e32 v2, 0xffff, v1
	v_or_b32_e32 v70, 0x10000, v1
	s_delay_alu instid0(VALU_DEP_2) | instskip(NEXT) | instid1(VALU_DEP_1)
	v_cmp_eq_u32_e64 s0, 0, v2
	v_cndmask_b32_e64 v70, v70, v1, s0
; %bb.193:                              ;   in Loop: Header=BB162_40 Depth=1
	s_or_b32 exec_lo, exec_lo, s10
	v_lshlrev_b32_e32 v1, 16, v3
                                        ; implicit-def: $vgpr71
	s_delay_alu instid0(VALU_DEP_1) | instskip(NEXT) | instid1(VALU_DEP_1)
	v_mul_f32_e32 v1, v47, v1
	v_and_b32_e32 v2, 0x7f800000, v1
	s_delay_alu instid0(VALU_DEP_1) | instskip(NEXT) | instid1(VALU_DEP_1)
	v_cmp_ne_u32_e64 s0, 0x7f800000, v2
	s_and_saveexec_b32 s10, s0
	s_delay_alu instid0(SALU_CYCLE_1)
	s_xor_b32 s0, exec_lo, s10
; %bb.194:                              ;   in Loop: Header=BB162_40 Depth=1
	v_bfe_u32 v2, v1, 16, 1
	s_delay_alu instid0(VALU_DEP_1)
	v_add3_u32 v71, v1, v2, 0x7fff
                                        ; implicit-def: $vgpr1
; %bb.195:                              ;   in Loop: Header=BB162_40 Depth=1
	s_and_not1_saveexec_b32 s10, s0
; %bb.196:                              ;   in Loop: Header=BB162_40 Depth=1
	v_and_b32_e32 v2, 0xffff, v1
	v_or_b32_e32 v3, 0x10000, v1
	s_delay_alu instid0(VALU_DEP_2) | instskip(NEXT) | instid1(VALU_DEP_1)
	v_cmp_eq_u32_e64 s0, 0, v2
	v_cndmask_b32_e64 v71, v3, v1, s0
; %bb.197:                              ;   in Loop: Header=BB162_40 Depth=1
	s_or_b32 exec_lo, exec_lo, s10
	v_lshlrev_b32_e32 v1, 16, v72
                                        ; implicit-def: $vgpr72
	s_delay_alu instid0(VALU_DEP_1) | instskip(NEXT) | instid1(VALU_DEP_1)
	v_mul_f32_e32 v1, v48, v1
	v_and_b32_e32 v2, 0x7f800000, v1
	s_delay_alu instid0(VALU_DEP_1) | instskip(NEXT) | instid1(VALU_DEP_1)
	v_cmp_ne_u32_e64 s0, 0x7f800000, v2
	s_and_saveexec_b32 s10, s0
	s_delay_alu instid0(SALU_CYCLE_1)
	s_xor_b32 s0, exec_lo, s10
; %bb.198:                              ;   in Loop: Header=BB162_40 Depth=1
	v_bfe_u32 v2, v1, 16, 1
	s_delay_alu instid0(VALU_DEP_1)
	v_add3_u32 v72, v1, v2, 0x7fff
                                        ; implicit-def: $vgpr1
; %bb.199:                              ;   in Loop: Header=BB162_40 Depth=1
	s_and_not1_saveexec_b32 s10, s0
; %bb.200:                              ;   in Loop: Header=BB162_40 Depth=1
	v_and_b32_e32 v2, 0xffff, v1
	v_or_b32_e32 v3, 0x10000, v1
	s_delay_alu instid0(VALU_DEP_2) | instskip(NEXT) | instid1(VALU_DEP_1)
	v_cmp_eq_u32_e64 s0, 0, v2
	v_cndmask_b32_e64 v72, v3, v1, s0
; %bb.201:                              ;   in Loop: Header=BB162_40 Depth=1
	s_or_b32 exec_lo, exec_lo, s10
	v_lshlrev_b32_e32 v1, 16, v4
                                        ; implicit-def: $vgpr73
	s_delay_alu instid0(VALU_DEP_1) | instskip(NEXT) | instid1(VALU_DEP_1)
	v_mul_f32_e32 v1, v49, v1
	v_and_b32_e32 v2, 0x7f800000, v1
	s_delay_alu instid0(VALU_DEP_1) | instskip(NEXT) | instid1(VALU_DEP_1)
	v_cmp_ne_u32_e64 s0, 0x7f800000, v2
	s_and_saveexec_b32 s10, s0
	s_delay_alu instid0(SALU_CYCLE_1)
	s_xor_b32 s0, exec_lo, s10
; %bb.202:                              ;   in Loop: Header=BB162_40 Depth=1
	v_bfe_u32 v2, v1, 16, 1
	s_delay_alu instid0(VALU_DEP_1)
	v_add3_u32 v73, v1, v2, 0x7fff
                                        ; implicit-def: $vgpr1
; %bb.203:                              ;   in Loop: Header=BB162_40 Depth=1
	s_and_not1_saveexec_b32 s10, s0
; %bb.204:                              ;   in Loop: Header=BB162_40 Depth=1
	v_and_b32_e32 v2, 0xffff, v1
	v_or_b32_e32 v3, 0x10000, v1
	s_delay_alu instid0(VALU_DEP_2) | instskip(NEXT) | instid1(VALU_DEP_1)
	v_cmp_eq_u32_e64 s0, 0, v2
	v_cndmask_b32_e64 v73, v3, v1, s0
; %bb.205:                              ;   in Loop: Header=BB162_40 Depth=1
	s_or_b32 exec_lo, exec_lo, s10
	v_lshlrev_b32_e32 v1, 16, v74
                                        ; implicit-def: $vgpr74
	s_delay_alu instid0(VALU_DEP_1) | instskip(NEXT) | instid1(VALU_DEP_1)
	v_mul_f32_e32 v1, v50, v1
	v_and_b32_e32 v2, 0x7f800000, v1
	s_delay_alu instid0(VALU_DEP_1) | instskip(NEXT) | instid1(VALU_DEP_1)
	v_cmp_ne_u32_e64 s0, 0x7f800000, v2
	s_and_saveexec_b32 s10, s0
	s_delay_alu instid0(SALU_CYCLE_1)
	s_xor_b32 s0, exec_lo, s10
; %bb.206:                              ;   in Loop: Header=BB162_40 Depth=1
	v_bfe_u32 v2, v1, 16, 1
	s_delay_alu instid0(VALU_DEP_1)
	v_add3_u32 v74, v1, v2, 0x7fff
                                        ; implicit-def: $vgpr1
; %bb.207:                              ;   in Loop: Header=BB162_40 Depth=1
	s_and_not1_saveexec_b32 s10, s0
; %bb.208:                              ;   in Loop: Header=BB162_40 Depth=1
	v_and_b32_e32 v2, 0xffff, v1
	v_or_b32_e32 v3, 0x10000, v1
	s_delay_alu instid0(VALU_DEP_2) | instskip(NEXT) | instid1(VALU_DEP_1)
	v_cmp_eq_u32_e64 s0, 0, v2
	v_cndmask_b32_e64 v74, v3, v1, s0
; %bb.209:                              ;   in Loop: Header=BB162_40 Depth=1
	s_or_b32 exec_lo, exec_lo, s10
	global_load_b128 v[1:4], v[5:6], off offset:2048
	s_waitcnt vmcnt(0)
	v_lshrrev_b32_e32 v76, 16, v1
	v_lshrrev_b32_e32 v78, 16, v2
	;; [unrolled: 1-line block ×4, first 2 shown]
	s_and_saveexec_b32 s10, vcc_lo
	s_cbranch_execz .LBB162_211
; %bb.210:                              ;   in Loop: Header=BB162_40 Depth=1
	v_cmp_gt_i32_e64 s0, s33, v35
	s_delay_alu instid0(VALU_DEP_1) | instskip(SKIP_1) | instid1(VALU_DEP_1)
	v_cndmask_b32_e64 v1, 0, v1, s0
	v_cmp_gt_i32_e64 s0, s33, v42
	v_cndmask_b32_e64 v76, 0, v76, s0
	v_cmp_gt_i32_e64 s0, s33, v41
	s_delay_alu instid0(VALU_DEP_1) | instskip(SKIP_1) | instid1(VALU_DEP_1)
	v_cndmask_b32_e64 v2, 0, v2, s0
	v_cmp_gt_i32_e64 s0, s33, v39
	v_cndmask_b32_e64 v78, 0, v78, s0
	;; [unrolled: 5-line block ×4, first 2 shown]
.LBB162_211:                            ;   in Loop: Header=BB162_40 Depth=1
	s_or_b32 exec_lo, exec_lo, s10
	v_lshlrev_b32_e32 v1, 16, v1
	s_delay_alu instid0(VALU_DEP_1) | instskip(NEXT) | instid1(VALU_DEP_1)
	v_mul_f32_e32 v1, v43, v1
	v_and_b32_e32 v75, 0x7f800000, v1
	s_delay_alu instid0(VALU_DEP_1) | instskip(NEXT) | instid1(VALU_DEP_1)
	v_cmp_ne_u32_e64 s0, 0x7f800000, v75
                                        ; implicit-def: $vgpr75
	s_and_saveexec_b32 s10, s0
	s_delay_alu instid0(SALU_CYCLE_1)
	s_xor_b32 s0, exec_lo, s10
; %bb.212:                              ;   in Loop: Header=BB162_40 Depth=1
	v_bfe_u32 v75, v1, 16, 1
	s_delay_alu instid0(VALU_DEP_1)
	v_add3_u32 v75, v1, v75, 0x7fff
                                        ; implicit-def: $vgpr1
; %bb.213:                              ;   in Loop: Header=BB162_40 Depth=1
	s_and_not1_saveexec_b32 s10, s0
; %bb.214:                              ;   in Loop: Header=BB162_40 Depth=1
	v_and_b32_e32 v75, 0xffff, v1
	v_or_b32_e32 v77, 0x10000, v1
	s_delay_alu instid0(VALU_DEP_2) | instskip(NEXT) | instid1(VALU_DEP_1)
	v_cmp_eq_u32_e64 s0, 0, v75
	v_cndmask_b32_e64 v75, v77, v1, s0
; %bb.215:                              ;   in Loop: Header=BB162_40 Depth=1
	s_or_b32 exec_lo, exec_lo, s10
	v_lshlrev_b32_e32 v1, 16, v76
	s_delay_alu instid0(VALU_DEP_1) | instskip(NEXT) | instid1(VALU_DEP_1)
	v_mul_f32_e32 v1, v44, v1
	v_and_b32_e32 v76, 0x7f800000, v1
	s_delay_alu instid0(VALU_DEP_1) | instskip(NEXT) | instid1(VALU_DEP_1)
	v_cmp_ne_u32_e64 s0, 0x7f800000, v76
                                        ; implicit-def: $vgpr76
	s_and_saveexec_b32 s10, s0
	s_delay_alu instid0(SALU_CYCLE_1)
	s_xor_b32 s0, exec_lo, s10
; %bb.216:                              ;   in Loop: Header=BB162_40 Depth=1
	v_bfe_u32 v76, v1, 16, 1
	s_delay_alu instid0(VALU_DEP_1)
	v_add3_u32 v76, v1, v76, 0x7fff
                                        ; implicit-def: $vgpr1
; %bb.217:                              ;   in Loop: Header=BB162_40 Depth=1
	s_and_not1_saveexec_b32 s10, s0
; %bb.218:                              ;   in Loop: Header=BB162_40 Depth=1
	v_and_b32_e32 v76, 0xffff, v1
	v_or_b32_e32 v77, 0x10000, v1
	s_delay_alu instid0(VALU_DEP_2) | instskip(NEXT) | instid1(VALU_DEP_1)
	v_cmp_eq_u32_e64 s0, 0, v76
	v_cndmask_b32_e64 v76, v77, v1, s0
; %bb.219:                              ;   in Loop: Header=BB162_40 Depth=1
	s_or_b32 exec_lo, exec_lo, s10
	v_lshlrev_b32_e32 v1, 16, v2
                                        ; implicit-def: $vgpr77
	s_delay_alu instid0(VALU_DEP_1) | instskip(NEXT) | instid1(VALU_DEP_1)
	v_mul_f32_e32 v1, v45, v1
	v_and_b32_e32 v2, 0x7f800000, v1
	s_delay_alu instid0(VALU_DEP_1) | instskip(NEXT) | instid1(VALU_DEP_1)
	v_cmp_ne_u32_e64 s0, 0x7f800000, v2
	s_and_saveexec_b32 s10, s0
	s_delay_alu instid0(SALU_CYCLE_1)
	s_xor_b32 s0, exec_lo, s10
; %bb.220:                              ;   in Loop: Header=BB162_40 Depth=1
	v_bfe_u32 v2, v1, 16, 1
	s_delay_alu instid0(VALU_DEP_1)
	v_add3_u32 v77, v1, v2, 0x7fff
                                        ; implicit-def: $vgpr1
; %bb.221:                              ;   in Loop: Header=BB162_40 Depth=1
	s_and_not1_saveexec_b32 s10, s0
; %bb.222:                              ;   in Loop: Header=BB162_40 Depth=1
	v_and_b32_e32 v2, 0xffff, v1
	v_or_b32_e32 v77, 0x10000, v1
	s_delay_alu instid0(VALU_DEP_2) | instskip(NEXT) | instid1(VALU_DEP_1)
	v_cmp_eq_u32_e64 s0, 0, v2
	v_cndmask_b32_e64 v77, v77, v1, s0
; %bb.223:                              ;   in Loop: Header=BB162_40 Depth=1
	s_or_b32 exec_lo, exec_lo, s10
	v_lshlrev_b32_e32 v1, 16, v78
                                        ; implicit-def: $vgpr78
	s_delay_alu instid0(VALU_DEP_1) | instskip(NEXT) | instid1(VALU_DEP_1)
	v_mul_f32_e32 v1, v46, v1
	v_and_b32_e32 v2, 0x7f800000, v1
	s_delay_alu instid0(VALU_DEP_1) | instskip(NEXT) | instid1(VALU_DEP_1)
	v_cmp_ne_u32_e64 s0, 0x7f800000, v2
	s_and_saveexec_b32 s10, s0
	s_delay_alu instid0(SALU_CYCLE_1)
	s_xor_b32 s0, exec_lo, s10
; %bb.224:                              ;   in Loop: Header=BB162_40 Depth=1
	v_bfe_u32 v2, v1, 16, 1
	s_delay_alu instid0(VALU_DEP_1)
	v_add3_u32 v78, v1, v2, 0x7fff
                                        ; implicit-def: $vgpr1
; %bb.225:                              ;   in Loop: Header=BB162_40 Depth=1
	s_and_not1_saveexec_b32 s10, s0
; %bb.226:                              ;   in Loop: Header=BB162_40 Depth=1
	v_and_b32_e32 v2, 0xffff, v1
	v_or_b32_e32 v78, 0x10000, v1
	s_delay_alu instid0(VALU_DEP_2) | instskip(NEXT) | instid1(VALU_DEP_1)
	v_cmp_eq_u32_e64 s0, 0, v2
	v_cndmask_b32_e64 v78, v78, v1, s0
; %bb.227:                              ;   in Loop: Header=BB162_40 Depth=1
	s_or_b32 exec_lo, exec_lo, s10
	v_lshlrev_b32_e32 v1, 16, v3
                                        ; implicit-def: $vgpr79
	s_delay_alu instid0(VALU_DEP_1) | instskip(NEXT) | instid1(VALU_DEP_1)
	v_mul_f32_e32 v1, v47, v1
	v_and_b32_e32 v2, 0x7f800000, v1
	s_delay_alu instid0(VALU_DEP_1) | instskip(NEXT) | instid1(VALU_DEP_1)
	v_cmp_ne_u32_e64 s0, 0x7f800000, v2
	s_and_saveexec_b32 s10, s0
	s_delay_alu instid0(SALU_CYCLE_1)
	s_xor_b32 s0, exec_lo, s10
; %bb.228:                              ;   in Loop: Header=BB162_40 Depth=1
	v_bfe_u32 v2, v1, 16, 1
	s_delay_alu instid0(VALU_DEP_1)
	v_add3_u32 v79, v1, v2, 0x7fff
                                        ; implicit-def: $vgpr1
; %bb.229:                              ;   in Loop: Header=BB162_40 Depth=1
	s_and_not1_saveexec_b32 s10, s0
; %bb.230:                              ;   in Loop: Header=BB162_40 Depth=1
	v_and_b32_e32 v2, 0xffff, v1
	v_or_b32_e32 v3, 0x10000, v1
	s_delay_alu instid0(VALU_DEP_2) | instskip(NEXT) | instid1(VALU_DEP_1)
	v_cmp_eq_u32_e64 s0, 0, v2
	v_cndmask_b32_e64 v79, v3, v1, s0
; %bb.231:                              ;   in Loop: Header=BB162_40 Depth=1
	s_or_b32 exec_lo, exec_lo, s10
	v_lshlrev_b32_e32 v1, 16, v80
                                        ; implicit-def: $vgpr80
	s_delay_alu instid0(VALU_DEP_1) | instskip(NEXT) | instid1(VALU_DEP_1)
	v_mul_f32_e32 v1, v48, v1
	v_and_b32_e32 v2, 0x7f800000, v1
	s_delay_alu instid0(VALU_DEP_1) | instskip(NEXT) | instid1(VALU_DEP_1)
	v_cmp_ne_u32_e64 s0, 0x7f800000, v2
	s_and_saveexec_b32 s10, s0
	s_delay_alu instid0(SALU_CYCLE_1)
	s_xor_b32 s0, exec_lo, s10
; %bb.232:                              ;   in Loop: Header=BB162_40 Depth=1
	v_bfe_u32 v2, v1, 16, 1
	s_delay_alu instid0(VALU_DEP_1)
	v_add3_u32 v80, v1, v2, 0x7fff
                                        ; implicit-def: $vgpr1
; %bb.233:                              ;   in Loop: Header=BB162_40 Depth=1
	s_and_not1_saveexec_b32 s10, s0
; %bb.234:                              ;   in Loop: Header=BB162_40 Depth=1
	v_and_b32_e32 v2, 0xffff, v1
	v_or_b32_e32 v3, 0x10000, v1
	s_delay_alu instid0(VALU_DEP_2) | instskip(NEXT) | instid1(VALU_DEP_1)
	v_cmp_eq_u32_e64 s0, 0, v2
	v_cndmask_b32_e64 v80, v3, v1, s0
; %bb.235:                              ;   in Loop: Header=BB162_40 Depth=1
	s_or_b32 exec_lo, exec_lo, s10
	v_lshlrev_b32_e32 v1, 16, v4
                                        ; implicit-def: $vgpr81
	s_delay_alu instid0(VALU_DEP_1) | instskip(NEXT) | instid1(VALU_DEP_1)
	v_mul_f32_e32 v1, v49, v1
	v_and_b32_e32 v2, 0x7f800000, v1
	s_delay_alu instid0(VALU_DEP_1) | instskip(NEXT) | instid1(VALU_DEP_1)
	v_cmp_ne_u32_e64 s0, 0x7f800000, v2
	s_and_saveexec_b32 s10, s0
	s_delay_alu instid0(SALU_CYCLE_1)
	s_xor_b32 s0, exec_lo, s10
; %bb.236:                              ;   in Loop: Header=BB162_40 Depth=1
	v_bfe_u32 v2, v1, 16, 1
	s_delay_alu instid0(VALU_DEP_1)
	v_add3_u32 v81, v1, v2, 0x7fff
                                        ; implicit-def: $vgpr1
; %bb.237:                              ;   in Loop: Header=BB162_40 Depth=1
	s_and_not1_saveexec_b32 s10, s0
; %bb.238:                              ;   in Loop: Header=BB162_40 Depth=1
	v_and_b32_e32 v2, 0xffff, v1
	v_or_b32_e32 v3, 0x10000, v1
	s_delay_alu instid0(VALU_DEP_2) | instskip(NEXT) | instid1(VALU_DEP_1)
	v_cmp_eq_u32_e64 s0, 0, v2
	v_cndmask_b32_e64 v81, v3, v1, s0
; %bb.239:                              ;   in Loop: Header=BB162_40 Depth=1
	s_or_b32 exec_lo, exec_lo, s10
	v_lshlrev_b32_e32 v1, 16, v82
                                        ; implicit-def: $vgpr82
	s_delay_alu instid0(VALU_DEP_1) | instskip(NEXT) | instid1(VALU_DEP_1)
	v_mul_f32_e32 v1, v50, v1
	v_and_b32_e32 v2, 0x7f800000, v1
	s_delay_alu instid0(VALU_DEP_1) | instskip(NEXT) | instid1(VALU_DEP_1)
	v_cmp_ne_u32_e64 s0, 0x7f800000, v2
	s_and_saveexec_b32 s10, s0
	s_delay_alu instid0(SALU_CYCLE_1)
	s_xor_b32 s0, exec_lo, s10
; %bb.240:                              ;   in Loop: Header=BB162_40 Depth=1
	v_bfe_u32 v2, v1, 16, 1
	s_delay_alu instid0(VALU_DEP_1)
	v_add3_u32 v82, v1, v2, 0x7fff
                                        ; implicit-def: $vgpr1
; %bb.241:                              ;   in Loop: Header=BB162_40 Depth=1
	s_and_not1_saveexec_b32 s10, s0
; %bb.242:                              ;   in Loop: Header=BB162_40 Depth=1
	v_and_b32_e32 v2, 0xffff, v1
	v_or_b32_e32 v3, 0x10000, v1
	s_delay_alu instid0(VALU_DEP_2) | instskip(NEXT) | instid1(VALU_DEP_1)
	v_cmp_eq_u32_e64 s0, 0, v2
	v_cndmask_b32_e64 v82, v3, v1, s0
; %bb.243:                              ;   in Loop: Header=BB162_40 Depth=1
	s_or_b32 exec_lo, exec_lo, s10
	global_load_b128 v[1:4], v[5:6], off offset:2560
	s_waitcnt vmcnt(0)
	v_lshrrev_b32_e32 v5, 16, v1
	v_lshrrev_b32_e32 v84, 16, v2
	v_lshrrev_b32_e32 v83, 16, v3
	v_lshrrev_b32_e32 v6, 16, v4
	s_and_saveexec_b32 s0, vcc_lo
	s_cbranch_execz .LBB162_245
; %bb.244:                              ;   in Loop: Header=BB162_40 Depth=1
	v_cmp_gt_i32_e32 vcc_lo, s33, v35
	v_cndmask_b32_e32 v1, 0, v1, vcc_lo
	v_cmp_gt_i32_e32 vcc_lo, s33, v42
	v_cndmask_b32_e32 v5, 0, v5, vcc_lo
	;; [unrolled: 2-line block ×8, first 2 shown]
.LBB162_245:                            ;   in Loop: Header=BB162_40 Depth=1
	s_or_b32 exec_lo, exec_lo, s0
	v_lshlrev_b32_e32 v1, 16, v1
	s_delay_alu instid0(VALU_DEP_1) | instskip(NEXT) | instid1(VALU_DEP_1)
	v_mul_f32_e32 v35, v43, v1
	v_and_b32_e32 v1, 0x7f800000, v35
	s_delay_alu instid0(VALU_DEP_1) | instskip(SKIP_1) | instid1(SALU_CYCLE_1)
	v_cmp_ne_u32_e32 vcc_lo, 0x7f800000, v1
                                        ; implicit-def: $vgpr1
	s_and_saveexec_b32 s0, vcc_lo
	s_xor_b32 s0, exec_lo, s0
; %bb.246:                              ;   in Loop: Header=BB162_40 Depth=1
	v_bfe_u32 v1, v35, 16, 1
	s_delay_alu instid0(VALU_DEP_1)
	v_add3_u32 v1, v35, v1, 0x7fff
                                        ; implicit-def: $vgpr35
; %bb.247:                              ;   in Loop: Header=BB162_40 Depth=1
	s_and_not1_saveexec_b32 s0, s0
; %bb.248:                              ;   in Loop: Header=BB162_40 Depth=1
	v_and_b32_e32 v1, 0xffff, v35
	v_or_b32_e32 v36, 0x10000, v35
	s_delay_alu instid0(VALU_DEP_2) | instskip(NEXT) | instid1(VALU_DEP_2)
	v_cmp_eq_u32_e32 vcc_lo, 0, v1
	v_cndmask_b32_e32 v1, v36, v35, vcc_lo
; %bb.249:                              ;   in Loop: Header=BB162_40 Depth=1
	s_or_b32 exec_lo, exec_lo, s0
	v_lshlrev_b32_e32 v5, 16, v5
	s_delay_alu instid0(VALU_DEP_1) | instskip(NEXT) | instid1(VALU_DEP_1)
	v_mul_f32_e32 v35, v44, v5
	v_and_b32_e32 v5, 0x7f800000, v35
	s_delay_alu instid0(VALU_DEP_1) | instskip(SKIP_1) | instid1(SALU_CYCLE_1)
	v_cmp_ne_u32_e32 vcc_lo, 0x7f800000, v5
                                        ; implicit-def: $vgpr5
	s_and_saveexec_b32 s0, vcc_lo
	s_xor_b32 s0, exec_lo, s0
; %bb.250:                              ;   in Loop: Header=BB162_40 Depth=1
	v_bfe_u32 v5, v35, 16, 1
	s_delay_alu instid0(VALU_DEP_1)
	v_add3_u32 v5, v35, v5, 0x7fff
                                        ; implicit-def: $vgpr35
; %bb.251:                              ;   in Loop: Header=BB162_40 Depth=1
	s_and_not1_saveexec_b32 s0, s0
; %bb.252:                              ;   in Loop: Header=BB162_40 Depth=1
	v_and_b32_e32 v5, 0xffff, v35
	v_or_b32_e32 v36, 0x10000, v35
	s_delay_alu instid0(VALU_DEP_2) | instskip(NEXT) | instid1(VALU_DEP_2)
	v_cmp_eq_u32_e32 vcc_lo, 0, v5
	v_cndmask_b32_e32 v5, v36, v35, vcc_lo
; %bb.253:                              ;   in Loop: Header=BB162_40 Depth=1
	s_or_b32 exec_lo, exec_lo, s0
	v_lshlrev_b32_e32 v2, 16, v2
	s_delay_alu instid0(VALU_DEP_1) | instskip(NEXT) | instid1(VALU_DEP_1)
	v_mul_f32_e32 v35, v45, v2
	v_and_b32_e32 v2, 0x7f800000, v35
	s_delay_alu instid0(VALU_DEP_1) | instskip(SKIP_1) | instid1(SALU_CYCLE_1)
	v_cmp_ne_u32_e32 vcc_lo, 0x7f800000, v2
                                        ; implicit-def: $vgpr2
	s_and_saveexec_b32 s0, vcc_lo
	s_xor_b32 s0, exec_lo, s0
; %bb.254:                              ;   in Loop: Header=BB162_40 Depth=1
	v_bfe_u32 v2, v35, 16, 1
	s_delay_alu instid0(VALU_DEP_1)
	v_add3_u32 v2, v35, v2, 0x7fff
                                        ; implicit-def: $vgpr35
; %bb.255:                              ;   in Loop: Header=BB162_40 Depth=1
	s_and_not1_saveexec_b32 s0, s0
; %bb.256:                              ;   in Loop: Header=BB162_40 Depth=1
	v_and_b32_e32 v2, 0xffff, v35
	v_or_b32_e32 v36, 0x10000, v35
	s_delay_alu instid0(VALU_DEP_2) | instskip(NEXT) | instid1(VALU_DEP_2)
	v_cmp_eq_u32_e32 vcc_lo, 0, v2
	v_cndmask_b32_e32 v2, v36, v35, vcc_lo
; %bb.257:                              ;   in Loop: Header=BB162_40 Depth=1
	s_or_b32 exec_lo, exec_lo, s0
	v_lshlrev_b32_e32 v35, 16, v84
	s_delay_alu instid0(VALU_DEP_1) | instskip(NEXT) | instid1(VALU_DEP_1)
	v_mul_f32_e32 v36, v46, v35
	v_and_b32_e32 v35, 0x7f800000, v36
	s_delay_alu instid0(VALU_DEP_1) | instskip(SKIP_1) | instid1(SALU_CYCLE_1)
	v_cmp_ne_u32_e32 vcc_lo, 0x7f800000, v35
                                        ; implicit-def: $vgpr35
	s_and_saveexec_b32 s0, vcc_lo
	s_xor_b32 s0, exec_lo, s0
; %bb.258:                              ;   in Loop: Header=BB162_40 Depth=1
	v_bfe_u32 v35, v36, 16, 1
	s_delay_alu instid0(VALU_DEP_1)
	v_add3_u32 v35, v36, v35, 0x7fff
                                        ; implicit-def: $vgpr36
; %bb.259:                              ;   in Loop: Header=BB162_40 Depth=1
	s_and_not1_saveexec_b32 s0, s0
; %bb.260:                              ;   in Loop: Header=BB162_40 Depth=1
	v_and_b32_e32 v35, 0xffff, v36
	v_or_b32_e32 v37, 0x10000, v36
	s_delay_alu instid0(VALU_DEP_2) | instskip(NEXT) | instid1(VALU_DEP_2)
	v_cmp_eq_u32_e32 vcc_lo, 0, v35
	v_cndmask_b32_e32 v35, v37, v36, vcc_lo
; %bb.261:                              ;   in Loop: Header=BB162_40 Depth=1
	s_or_b32 exec_lo, exec_lo, s0
	v_lshlrev_b32_e32 v3, 16, v3
	s_delay_alu instid0(VALU_DEP_1) | instskip(NEXT) | instid1(VALU_DEP_1)
	v_mul_f32_e32 v36, v47, v3
	v_and_b32_e32 v3, 0x7f800000, v36
	s_delay_alu instid0(VALU_DEP_1) | instskip(SKIP_1) | instid1(SALU_CYCLE_1)
	v_cmp_ne_u32_e32 vcc_lo, 0x7f800000, v3
                                        ; implicit-def: $vgpr3
	s_and_saveexec_b32 s0, vcc_lo
	s_xor_b32 s0, exec_lo, s0
; %bb.262:                              ;   in Loop: Header=BB162_40 Depth=1
	v_bfe_u32 v3, v36, 16, 1
	s_delay_alu instid0(VALU_DEP_1)
	v_add3_u32 v3, v36, v3, 0x7fff
                                        ; implicit-def: $vgpr36
; %bb.263:                              ;   in Loop: Header=BB162_40 Depth=1
	s_and_not1_saveexec_b32 s0, s0
; %bb.264:                              ;   in Loop: Header=BB162_40 Depth=1
	v_and_b32_e32 v3, 0xffff, v36
	v_or_b32_e32 v37, 0x10000, v36
	s_delay_alu instid0(VALU_DEP_2) | instskip(NEXT) | instid1(VALU_DEP_2)
	v_cmp_eq_u32_e32 vcc_lo, 0, v3
	v_cndmask_b32_e32 v3, v37, v36, vcc_lo
; %bb.265:                              ;   in Loop: Header=BB162_40 Depth=1
	s_or_b32 exec_lo, exec_lo, s0
	v_lshlrev_b32_e32 v36, 16, v83
	s_delay_alu instid0(VALU_DEP_1) | instskip(NEXT) | instid1(VALU_DEP_1)
	v_mul_f32_e32 v37, v48, v36
	v_and_b32_e32 v36, 0x7f800000, v37
	s_delay_alu instid0(VALU_DEP_1) | instskip(SKIP_1) | instid1(SALU_CYCLE_1)
	v_cmp_ne_u32_e32 vcc_lo, 0x7f800000, v36
                                        ; implicit-def: $vgpr36
	s_and_saveexec_b32 s0, vcc_lo
	s_xor_b32 s0, exec_lo, s0
; %bb.266:                              ;   in Loop: Header=BB162_40 Depth=1
	v_bfe_u32 v36, v37, 16, 1
	s_delay_alu instid0(VALU_DEP_1)
	v_add3_u32 v36, v37, v36, 0x7fff
                                        ; implicit-def: $vgpr37
; %bb.267:                              ;   in Loop: Header=BB162_40 Depth=1
	s_and_not1_saveexec_b32 s0, s0
; %bb.268:                              ;   in Loop: Header=BB162_40 Depth=1
	v_and_b32_e32 v36, 0xffff, v37
	v_or_b32_e32 v38, 0x10000, v37
	s_delay_alu instid0(VALU_DEP_2) | instskip(NEXT) | instid1(VALU_DEP_2)
	v_cmp_eq_u32_e32 vcc_lo, 0, v36
	v_cndmask_b32_e32 v36, v38, v37, vcc_lo
; %bb.269:                              ;   in Loop: Header=BB162_40 Depth=1
	s_or_b32 exec_lo, exec_lo, s0
	v_lshlrev_b32_e32 v4, 16, v4
	s_delay_alu instid0(VALU_DEP_1) | instskip(NEXT) | instid1(VALU_DEP_1)
	v_mul_f32_e32 v37, v49, v4
	v_and_b32_e32 v4, 0x7f800000, v37
	s_delay_alu instid0(VALU_DEP_1) | instskip(SKIP_1) | instid1(SALU_CYCLE_1)
	v_cmp_ne_u32_e32 vcc_lo, 0x7f800000, v4
                                        ; implicit-def: $vgpr4
	s_and_saveexec_b32 s0, vcc_lo
	s_xor_b32 s0, exec_lo, s0
; %bb.270:                              ;   in Loop: Header=BB162_40 Depth=1
	v_bfe_u32 v4, v37, 16, 1
	s_delay_alu instid0(VALU_DEP_1)
	v_add3_u32 v4, v37, v4, 0x7fff
                                        ; implicit-def: $vgpr37
; %bb.271:                              ;   in Loop: Header=BB162_40 Depth=1
	s_and_not1_saveexec_b32 s0, s0
; %bb.272:                              ;   in Loop: Header=BB162_40 Depth=1
	v_and_b32_e32 v4, 0xffff, v37
	v_or_b32_e32 v38, 0x10000, v37
	s_delay_alu instid0(VALU_DEP_2) | instskip(NEXT) | instid1(VALU_DEP_2)
	v_cmp_eq_u32_e32 vcc_lo, 0, v4
	v_cndmask_b32_e32 v4, v38, v37, vcc_lo
; %bb.273:                              ;   in Loop: Header=BB162_40 Depth=1
	s_or_b32 exec_lo, exec_lo, s0
	v_lshlrev_b32_e32 v6, 16, v6
	s_delay_alu instid0(VALU_DEP_1) | instskip(NEXT) | instid1(VALU_DEP_1)
	v_mul_f32_e32 v37, v50, v6
	v_and_b32_e32 v6, 0x7f800000, v37
	s_delay_alu instid0(VALU_DEP_1) | instskip(SKIP_1) | instid1(SALU_CYCLE_1)
	v_cmp_ne_u32_e32 vcc_lo, 0x7f800000, v6
                                        ; implicit-def: $vgpr6
	s_and_saveexec_b32 s0, vcc_lo
	s_xor_b32 s0, exec_lo, s0
; %bb.274:                              ;   in Loop: Header=BB162_40 Depth=1
	v_bfe_u32 v6, v37, 16, 1
	s_delay_alu instid0(VALU_DEP_1)
	v_add3_u32 v6, v37, v6, 0x7fff
                                        ; implicit-def: $vgpr37
; %bb.275:                              ;   in Loop: Header=BB162_40 Depth=1
	s_and_not1_saveexec_b32 s0, s0
	s_cbranch_execz .LBB162_38
; %bb.276:                              ;   in Loop: Header=BB162_40 Depth=1
	v_and_b32_e32 v6, 0xffff, v37
	v_or_b32_e32 v38, 0x10000, v37
	s_delay_alu instid0(VALU_DEP_2) | instskip(NEXT) | instid1(VALU_DEP_2)
	v_cmp_eq_u32_e32 vcc_lo, 0, v6
	v_cndmask_b32_e32 v6, v38, v37, vcc_lo
	s_branch .LBB162_38
.LBB162_277:
	s_or_b32 exec_lo, exec_lo, s3
.LBB162_278:
	s_delay_alu instid0(SALU_CYCLE_1)
	s_or_b32 exec_lo, exec_lo, s1
	ds_bpermute_b32 v1, v17, v18
	ds_bpermute_b32 v2, v17, v22
	;; [unrolled: 1-line block ×6, first 2 shown]
	v_and_b32_e32 v4, 0x3c1, v0
	v_lshrrev_b32_e32 v7, 1, v16
	s_movk_i32 s0, 0x180
	s_waitcnt lgkmcnt(0)
	s_waitcnt_vscnt null, 0x0
	v_mad_u32_u24 v8, v14, s0, 0xe0
	s_barrier
	buffer_gl0_inv
	v_dual_add_f32 v6, v18, v1 :: v_dual_add_f32 v3, v19, v3
	v_cmp_eq_u32_e32 vcc_lo, 64, v4
	v_dual_add_f32 v4, v22, v2 :: v_dual_add_f32 v1, v21, v9
	v_dual_add_f32 v2, v20, v5 :: v_dual_lshlrev_b32 v9, 2, v7
	v_add_f32_e32 v5, v23, v10
	s_and_saveexec_b32 s0, vcc_lo
	s_cbranch_execz .LBB162_280
; %bb.279:
	s_delay_alu instid0(VALU_DEP_2)
	v_add3_u32 v10, v8, v9, 0xfffffd00
	ds_store_2addr_b32 v10, v6, v4 offset1:16
	ds_store_2addr_b32 v10, v3, v2 offset0:32 offset1:48
	ds_store_2addr_b32 v10, v1, v5 offset0:64 offset1:80
.LBB162_280:
	s_or_b32 exec_lo, exec_lo, s0
	v_cmp_eq_u32_e32 vcc_lo, 0, v13
	s_mov_b32 s1, exec_lo
	s_waitcnt lgkmcnt(0)
	s_barrier
	buffer_gl0_inv
	v_cmpx_gt_u32_e32 64, v0
	s_cbranch_execz .LBB162_289
; %bb.281:
	s_and_saveexec_b32 s0, vcc_lo
	s_cbranch_execnz .LBB162_328
; %bb.282:
	s_or_b32 exec_lo, exec_lo, s0
	s_and_saveexec_b32 s0, vcc_lo
	s_cbranch_execnz .LBB162_329
.LBB162_283:
	s_or_b32 exec_lo, exec_lo, s0
	s_and_saveexec_b32 s0, vcc_lo
	s_cbranch_execnz .LBB162_330
.LBB162_284:
	s_or_b32 exec_lo, exec_lo, s0
	s_and_saveexec_b32 s0, vcc_lo
	s_cbranch_execnz .LBB162_331
.LBB162_285:
	s_or_b32 exec_lo, exec_lo, s0
	s_and_saveexec_b32 s0, vcc_lo
	s_cbranch_execnz .LBB162_332
.LBB162_286:
	s_or_b32 exec_lo, exec_lo, s0
	s_and_saveexec_b32 s0, vcc_lo
	s_cbranch_execz .LBB162_288
.LBB162_287:
	v_lshl_add_u32 v10, v7, 2, v8
	ds_load_b32 v10, v10 offset:320
	s_waitcnt lgkmcnt(0)
	v_add_f32_e32 v5, v5, v10
.LBB162_288:
	s_or_b32 exec_lo, exec_lo, s0
.LBB162_289:
	s_delay_alu instid0(SALU_CYCLE_1)
	s_or_b32 exec_lo, exec_lo, s1
	v_and_b32_e32 v10, 0x3e1, v0
	s_mov_b32 s1, exec_lo
	s_barrier
	buffer_gl0_inv
	v_cmpx_eq_u32_e32 32, v10
	s_cbranch_execz .LBB162_291
; %bb.290:
	v_add3_u32 v9, v8, v9, 0xfffffe80
	ds_store_2addr_b32 v9, v6, v4 offset1:16
	ds_store_2addr_b32 v9, v3, v2 offset0:32 offset1:48
	ds_store_2addr_b32 v9, v1, v5 offset0:64 offset1:80
.LBB162_291:
	s_or_b32 exec_lo, exec_lo, s1
	v_cmp_gt_u32_e64 s0, 32, v0
	s_waitcnt lgkmcnt(0)
	s_barrier
	buffer_gl0_inv
	s_and_saveexec_b32 s1, s0
	s_cbranch_execz .LBB162_300
; %bb.292:
	v_lshl_add_u32 v0, v7, 2, v8
	s_and_saveexec_b32 s2, vcc_lo
	s_cbranch_execnz .LBB162_333
; %bb.293:
	s_or_b32 exec_lo, exec_lo, s2
	s_and_saveexec_b32 s2, vcc_lo
	s_cbranch_execnz .LBB162_334
.LBB162_294:
	s_or_b32 exec_lo, exec_lo, s2
	s_and_saveexec_b32 s2, vcc_lo
	s_cbranch_execnz .LBB162_335
.LBB162_295:
	s_or_b32 exec_lo, exec_lo, s2
	s_and_saveexec_b32 s2, vcc_lo
	s_cbranch_execnz .LBB162_336
.LBB162_296:
	s_or_b32 exec_lo, exec_lo, s2
	s_and_saveexec_b32 s2, vcc_lo
	s_cbranch_execnz .LBB162_337
.LBB162_297:
	s_or_b32 exec_lo, exec_lo, s2
	s_and_saveexec_b32 s2, vcc_lo
	s_cbranch_execz .LBB162_299
.LBB162_298:
	ds_load_b32 v0, v0 offset:320
	s_waitcnt lgkmcnt(0)
	v_add_f32_e32 v5, v5, v0
.LBB162_299:
	s_or_b32 exec_lo, exec_lo, s2
.LBB162_300:
	s_delay_alu instid0(SALU_CYCLE_1)
	s_or_b32 exec_lo, exec_lo, s1
	s_barrier
	buffer_gl0_inv
	s_and_saveexec_b32 s1, s0
	s_cbranch_execz .LBB162_327
; %bb.301:
	s_and_b32 exec_lo, exec_lo, vcc_lo
	s_cbranch_execz .LBB162_327
; %bb.302:
	v_and_b32_e32 v0, 0x7f800000, v6
	s_delay_alu instid0(VALU_DEP_1) | instskip(SKIP_1) | instid1(SALU_CYCLE_1)
	v_cmp_ne_u32_e32 vcc_lo, 0x7f800000, v0
                                        ; implicit-def: $vgpr0
	s_and_saveexec_b32 s0, vcc_lo
	s_xor_b32 s0, exec_lo, s0
; %bb.303:
	v_bfe_u32 v0, v6, 16, 1
	s_delay_alu instid0(VALU_DEP_1)
	v_add3_u32 v0, v6, v0, 0x7fff
; %bb.304:
	s_and_not1_saveexec_b32 s0, s0
; %bb.305:
	v_and_b32_e32 v0, 0xffff, v6
	v_or_b32_e32 v7, 0x10000, v6
	s_delay_alu instid0(VALU_DEP_2) | instskip(NEXT) | instid1(VALU_DEP_2)
	v_cmp_eq_u32_e32 vcc_lo, 0, v0
	v_cndmask_b32_e32 v0, v7, v6, vcc_lo
; %bb.306:
	s_or_b32 exec_lo, exec_lo, s0
	s_mul_i32 s0, s4, s14
	s_mul_i32 s2, s4, s20
	;; [unrolled: 1-line block ×3, first 2 shown]
	v_lshlrev_b32_e32 v8, 1, v12
	s_mulk_i32 s0, 0x60
	v_and_b32_e32 v9, 0x7f800000, v4
	s_ashr_i32 s1, s0, 31
	s_delay_alu instid0(SALU_CYCLE_1) | instskip(NEXT) | instid1(SALU_CYCLE_1)
	s_lshl_b64 s[0:1], s[0:1], 1
	s_add_u32 s4, s22, s0
	s_addc_u32 s5, s23, s1
	s_ashr_i32 s3, s2, 31
	s_delay_alu instid0(SALU_CYCLE_1) | instskip(SKIP_4) | instid1(SALU_CYCLE_1)
	s_lshl_b64 s[0:1], s[2:3], 1
	s_mul_i32 s2, s12, 0x60
	s_add_u32 s4, s4, s0
	s_addc_u32 s5, s5, s1
	s_ashr_i32 s3, s2, 31
	s_lshl_b64 s[0:1], s[2:3], 1
	s_delay_alu instid0(SALU_CYCLE_1) | instskip(SKIP_2) | instid1(VALU_DEP_1)
	s_add_u32 s0, s4, s0
	s_addc_u32 s1, s5, s1
	v_add_co_u32 v6, s2, s0, v8
	v_add_co_ci_u32_e64 v7, null, s1, 0, s2
	global_store_d16_hi_b16 v8, v0, s[0:1]
	s_mov_b32 s0, exec_lo
                                        ; implicit-def: $vgpr0
	v_cmpx_ne_u32_e32 0x7f800000, v9
	s_xor_b32 s0, exec_lo, s0
; %bb.307:
	v_bfe_u32 v0, v4, 16, 1
	s_delay_alu instid0(VALU_DEP_1)
	v_add3_u32 v0, v4, v0, 0x7fff
; %bb.308:
	s_and_not1_saveexec_b32 s0, s0
; %bb.309:
	v_and_b32_e32 v0, 0xffff, v4
	v_or_b32_e32 v8, 0x10000, v4
	s_delay_alu instid0(VALU_DEP_2) | instskip(NEXT) | instid1(VALU_DEP_2)
	v_cmp_eq_u32_e32 vcc_lo, 0, v0
	v_cndmask_b32_e32 v0, v8, v4, vcc_lo
; %bb.310:
	s_or_b32 exec_lo, exec_lo, s0
	v_and_b32_e32 v4, 0x7f800000, v3
	s_mov_b32 s0, exec_lo
	global_store_d16_hi_b16 v[6:7], v0, off offset:32
                                        ; implicit-def: $vgpr0
	v_cmpx_ne_u32_e32 0x7f800000, v4
	s_xor_b32 s0, exec_lo, s0
; %bb.311:
	v_bfe_u32 v0, v3, 16, 1
	s_delay_alu instid0(VALU_DEP_1)
	v_add3_u32 v0, v3, v0, 0x7fff
; %bb.312:
	s_and_not1_saveexec_b32 s0, s0
; %bb.313:
	v_and_b32_e32 v0, 0xffff, v3
	v_or_b32_e32 v4, 0x10000, v3
	s_delay_alu instid0(VALU_DEP_2) | instskip(NEXT) | instid1(VALU_DEP_2)
	v_cmp_eq_u32_e32 vcc_lo, 0, v0
	v_cndmask_b32_e32 v0, v4, v3, vcc_lo
; %bb.314:
	s_or_b32 exec_lo, exec_lo, s0
	v_and_b32_e32 v3, 0x7f800000, v2
	s_mov_b32 s0, exec_lo
	global_store_d16_hi_b16 v[6:7], v0, off offset:64
	;; [unrolled: 20-line block ×4, first 2 shown]
                                        ; implicit-def: $vgpr8
	v_cmpx_ne_u32_e32 0x7f800000, v1
	s_xor_b32 s0, exec_lo, s0
; %bb.323:
	v_bfe_u32 v0, v5, 16, 1
	s_delay_alu instid0(VALU_DEP_1)
	v_add3_u32 v8, v5, v0, 0x7fff
                                        ; implicit-def: $vgpr0_vgpr1_vgpr2_vgpr3_vgpr4_vgpr5
; %bb.324:
	s_and_not1_saveexec_b32 s0, s0
; %bb.325:
	v_and_b32_e32 v0, 0xffff, v5
	v_or_b32_e32 v1, 0x10000, v5
	s_delay_alu instid0(VALU_DEP_2) | instskip(NEXT) | instid1(VALU_DEP_2)
	v_cmp_eq_u32_e32 vcc_lo, 0, v0
	v_cndmask_b32_e32 v8, v1, v5, vcc_lo
; %bb.326:
	s_or_b32 exec_lo, exec_lo, s0
	global_store_d16_hi_b16 v[6:7], v8, off offset:160
.LBB162_327:
	s_nop 0
	s_sendmsg sendmsg(MSG_DEALLOC_VGPRS)
	s_endpgm
.LBB162_328:
	v_lshl_add_u32 v10, v7, 2, v8
	ds_load_b32 v10, v10
	s_waitcnt lgkmcnt(0)
	v_add_f32_e32 v6, v6, v10
	s_or_b32 exec_lo, exec_lo, s0
	s_and_saveexec_b32 s0, vcc_lo
	s_cbranch_execz .LBB162_283
.LBB162_329:
	v_lshl_add_u32 v10, v7, 2, v8
	ds_load_b32 v10, v10 offset:64
	s_waitcnt lgkmcnt(0)
	v_add_f32_e32 v4, v4, v10
	s_or_b32 exec_lo, exec_lo, s0
	s_and_saveexec_b32 s0, vcc_lo
	s_cbranch_execz .LBB162_284
.LBB162_330:
	v_lshl_add_u32 v10, v7, 2, v8
	ds_load_b32 v10, v10 offset:128
	s_waitcnt lgkmcnt(0)
	v_add_f32_e32 v3, v3, v10
	s_or_b32 exec_lo, exec_lo, s0
	s_and_saveexec_b32 s0, vcc_lo
	s_cbranch_execz .LBB162_285
.LBB162_331:
	v_lshl_add_u32 v10, v7, 2, v8
	ds_load_b32 v10, v10 offset:192
	s_waitcnt lgkmcnt(0)
	v_add_f32_e32 v2, v2, v10
	s_or_b32 exec_lo, exec_lo, s0
	s_and_saveexec_b32 s0, vcc_lo
	s_cbranch_execz .LBB162_286
.LBB162_332:
	v_lshl_add_u32 v10, v7, 2, v8
	ds_load_b32 v10, v10 offset:256
	s_waitcnt lgkmcnt(0)
	v_add_f32_e32 v1, v1, v10
	s_or_b32 exec_lo, exec_lo, s0
	s_and_saveexec_b32 s0, vcc_lo
	s_cbranch_execnz .LBB162_287
	s_branch .LBB162_288
.LBB162_333:
	ds_load_b32 v7, v0
	s_waitcnt lgkmcnt(0)
	v_add_f32_e32 v6, v6, v7
	s_or_b32 exec_lo, exec_lo, s2
	s_and_saveexec_b32 s2, vcc_lo
	s_cbranch_execz .LBB162_294
.LBB162_334:
	ds_load_b32 v7, v0 offset:64
	s_waitcnt lgkmcnt(0)
	v_add_f32_e32 v4, v4, v7
	s_or_b32 exec_lo, exec_lo, s2
	s_and_saveexec_b32 s2, vcc_lo
	s_cbranch_execz .LBB162_295
.LBB162_335:
	ds_load_b32 v7, v0 offset:128
	s_waitcnt lgkmcnt(0)
	v_add_f32_e32 v3, v3, v7
	s_or_b32 exec_lo, exec_lo, s2
	s_and_saveexec_b32 s2, vcc_lo
	s_cbranch_execz .LBB162_296
.LBB162_336:
	ds_load_b32 v7, v0 offset:192
	s_waitcnt lgkmcnt(0)
	v_add_f32_e32 v2, v2, v7
	s_or_b32 exec_lo, exec_lo, s2
	s_and_saveexec_b32 s2, vcc_lo
	s_cbranch_execz .LBB162_297
.LBB162_337:
	ds_load_b32 v7, v0 offset:256
	s_waitcnt lgkmcnt(0)
	v_add_f32_e32 v1, v1, v7
	s_or_b32 exec_lo, exec_lo, s2
	s_and_saveexec_b32 s2, vcc_lo
	s_cbranch_execnz .LBB162_298
	s_branch .LBB162_299
	.section	.rodata,"a",@progbits
	.p2align	6, 0x0
	.amdhsa_kernel _ZN4vllm25paged_attention_v2_kernelI14__hip_bfloat16S1_Li96ELi16ELi128ELNS_18Fp8KVCacheDataTypeE0ELb1ELi512EEEvPfS3_PT_PKS4_PKT0_SA_ifPKiSC_iPKfiiiSE_SE_iiiii
		.amdhsa_group_segment_fixed_size 224
		.amdhsa_private_segment_fixed_size 0
		.amdhsa_kernarg_size 400
		.amdhsa_user_sgpr_count 13
		.amdhsa_user_sgpr_dispatch_ptr 0
		.amdhsa_user_sgpr_queue_ptr 0
		.amdhsa_user_sgpr_kernarg_segment_ptr 1
		.amdhsa_user_sgpr_dispatch_id 0
		.amdhsa_user_sgpr_private_segment_size 0
		.amdhsa_wavefront_size32 1
		.amdhsa_uses_dynamic_stack 0
		.amdhsa_enable_private_segment 0
		.amdhsa_system_sgpr_workgroup_id_x 1
		.amdhsa_system_sgpr_workgroup_id_y 1
		.amdhsa_system_sgpr_workgroup_id_z 1
		.amdhsa_system_sgpr_workgroup_info 0
		.amdhsa_system_vgpr_workitem_id 0
		.amdhsa_next_free_vgpr 113
		.amdhsa_next_free_sgpr 45
		.amdhsa_reserve_vcc 1
		.amdhsa_float_round_mode_32 0
		.amdhsa_float_round_mode_16_64 0
		.amdhsa_float_denorm_mode_32 3
		.amdhsa_float_denorm_mode_16_64 3
		.amdhsa_dx10_clamp 1
		.amdhsa_ieee_mode 1
		.amdhsa_fp16_overflow 0
		.amdhsa_workgroup_processor_mode 1
		.amdhsa_memory_ordered 1
		.amdhsa_forward_progress 0
		.amdhsa_shared_vgpr_count 0
		.amdhsa_exception_fp_ieee_invalid_op 0
		.amdhsa_exception_fp_denorm_src 0
		.amdhsa_exception_fp_ieee_div_zero 0
		.amdhsa_exception_fp_ieee_overflow 0
		.amdhsa_exception_fp_ieee_underflow 0
		.amdhsa_exception_fp_ieee_inexact 0
		.amdhsa_exception_int_div_zero 0
	.end_amdhsa_kernel
	.section	.text._ZN4vllm25paged_attention_v2_kernelI14__hip_bfloat16S1_Li96ELi16ELi128ELNS_18Fp8KVCacheDataTypeE0ELb1ELi512EEEvPfS3_PT_PKS4_PKT0_SA_ifPKiSC_iPKfiiiSE_SE_iiiii,"axG",@progbits,_ZN4vllm25paged_attention_v2_kernelI14__hip_bfloat16S1_Li96ELi16ELi128ELNS_18Fp8KVCacheDataTypeE0ELb1ELi512EEEvPfS3_PT_PKS4_PKT0_SA_ifPKiSC_iPKfiiiSE_SE_iiiii,comdat
.Lfunc_end162:
	.size	_ZN4vllm25paged_attention_v2_kernelI14__hip_bfloat16S1_Li96ELi16ELi128ELNS_18Fp8KVCacheDataTypeE0ELb1ELi512EEEvPfS3_PT_PKS4_PKT0_SA_ifPKiSC_iPKfiiiSE_SE_iiiii, .Lfunc_end162-_ZN4vllm25paged_attention_v2_kernelI14__hip_bfloat16S1_Li96ELi16ELi128ELNS_18Fp8KVCacheDataTypeE0ELb1ELi512EEEvPfS3_PT_PKS4_PKT0_SA_ifPKiSC_iPKfiiiSE_SE_iiiii
                                        ; -- End function
	.section	.AMDGPU.csdata,"",@progbits
; Kernel info:
; codeLenInByte = 13944
; NumSgprs: 47
; NumVgprs: 113
; ScratchSize: 0
; MemoryBound: 0
; FloatMode: 240
; IeeeMode: 1
; LDSByteSize: 224 bytes/workgroup (compile time only)
; SGPRBlocks: 5
; VGPRBlocks: 14
; NumSGPRsForWavesPerEU: 47
; NumVGPRsForWavesPerEU: 113
; Occupancy: 12
; WaveLimiterHint : 1
; COMPUTE_PGM_RSRC2:SCRATCH_EN: 0
; COMPUTE_PGM_RSRC2:USER_SGPR: 13
; COMPUTE_PGM_RSRC2:TRAP_HANDLER: 0
; COMPUTE_PGM_RSRC2:TGID_X_EN: 1
; COMPUTE_PGM_RSRC2:TGID_Y_EN: 1
; COMPUTE_PGM_RSRC2:TGID_Z_EN: 1
; COMPUTE_PGM_RSRC2:TIDIG_COMP_CNT: 0
	.section	.text._ZN4vllm25paged_attention_v2_kernelI14__hip_bfloat16S1_Li112ELi16ELi128ELNS_18Fp8KVCacheDataTypeE0ELb1ELi512EEEvPfS3_PT_PKS4_PKT0_SA_ifPKiSC_iPKfiiiSE_SE_iiiii,"axG",@progbits,_ZN4vllm25paged_attention_v2_kernelI14__hip_bfloat16S1_Li112ELi16ELi128ELNS_18Fp8KVCacheDataTypeE0ELb1ELi512EEEvPfS3_PT_PKS4_PKT0_SA_ifPKiSC_iPKfiiiSE_SE_iiiii,comdat
	.protected	_ZN4vllm25paged_attention_v2_kernelI14__hip_bfloat16S1_Li112ELi16ELi128ELNS_18Fp8KVCacheDataTypeE0ELb1ELi512EEEvPfS3_PT_PKS4_PKT0_SA_ifPKiSC_iPKfiiiSE_SE_iiiii ; -- Begin function _ZN4vllm25paged_attention_v2_kernelI14__hip_bfloat16S1_Li112ELi16ELi128ELNS_18Fp8KVCacheDataTypeE0ELb1ELi512EEEvPfS3_PT_PKS4_PKT0_SA_ifPKiSC_iPKfiiiSE_SE_iiiii
	.globl	_ZN4vllm25paged_attention_v2_kernelI14__hip_bfloat16S1_Li112ELi16ELi128ELNS_18Fp8KVCacheDataTypeE0ELb1ELi512EEEvPfS3_PT_PKS4_PKT0_SA_ifPKiSC_iPKfiiiSE_SE_iiiii
	.p2align	8
	.type	_ZN4vllm25paged_attention_v2_kernelI14__hip_bfloat16S1_Li112ELi16ELi128ELNS_18Fp8KVCacheDataTypeE0ELb1ELi512EEEvPfS3_PT_PKS4_PKT0_SA_ifPKiSC_iPKfiiiSE_SE_iiiii,@function
_ZN4vllm25paged_attention_v2_kernelI14__hip_bfloat16S1_Li112ELi16ELi128ELNS_18Fp8KVCacheDataTypeE0ELb1ELi512EEEvPfS3_PT_PKS4_PKT0_SA_ifPKiSC_iPKfiiiSE_SE_iiiii: ; @_ZN4vllm25paged_attention_v2_kernelI14__hip_bfloat16S1_Li112ELi16ELi128ELNS_18Fp8KVCacheDataTypeE0ELb1ELi512EEEvPfS3_PT_PKS4_PKT0_SA_ifPKiSC_iPKfiiiSE_SE_iiiii
; %bb.0:
	s_load_b64 s[2:3], s[0:1], 0x40
	s_mov_b32 s12, s15
	s_ashr_i32 s15, s14, 31
	s_mov_b32 s24, s13
	s_lshl_b64 s[4:5], s[14:15], 2
	s_waitcnt lgkmcnt(0)
	s_add_u32 s2, s2, s4
	s_addc_u32 s3, s3, s5
	s_lshl_b32 s13, s12, 9
	s_load_b32 s33, s[2:3], 0x0
	s_waitcnt lgkmcnt(0)
	s_cmp_ge_i32 s13, s33
	s_cbranch_scc1 .LBB163_367
; %bb.1:
	s_clause 0x1
	s_load_b32 s15, s[0:1], 0x90
	s_load_b64 s[34:35], s[0:1], 0x30
	s_mov_b32 s38, 0
	s_waitcnt lgkmcnt(0)
	s_abs_i32 s5, s15
	s_abs_i32 s2, s34
	s_delay_alu instid0(SALU_CYCLE_1) | instskip(SKIP_1) | instid1(VALU_DEP_1)
	v_cvt_f32_u32_e32 v1, s2
	s_sub_i32 s4, 0, s2
	v_rcp_iflag_f32_e32 v1, v1
	s_waitcnt_depctr 0xfff
	v_mul_f32_e32 v1, 0x4f7ffffe, v1
	s_delay_alu instid0(VALU_DEP_1) | instskip(NEXT) | instid1(VALU_DEP_1)
	v_cvt_u32_f32_e32 v1, v1
	v_readfirstlane_b32 s3, v1
	s_delay_alu instid0(VALU_DEP_1) | instskip(NEXT) | instid1(SALU_CYCLE_1)
	s_mul_i32 s4, s4, s3
	s_mul_hi_u32 s4, s3, s4
	s_delay_alu instid0(SALU_CYCLE_1) | instskip(SKIP_4) | instid1(SALU_CYCLE_1)
	s_add_i32 s3, s3, s4
	s_xor_b32 s4, s15, s34
	s_mul_hi_u32 s3, s5, s3
	s_ashr_i32 s4, s4, 31
	s_mul_i32 s6, s3, s2
	s_sub_i32 s5, s5, s6
	s_add_i32 s6, s3, 1
	s_sub_i32 s7, s5, s2
	s_cmp_ge_u32 s5, s2
	s_cselect_b32 s3, s6, s3
	s_cselect_b32 s5, s7, s5
	s_add_i32 s6, s3, 1
	s_cmp_ge_u32 s5, s2
	s_cselect_b32 s2, s6, s3
	s_abs_i32 s17, s24
	s_xor_b32 s2, s2, s4
	s_delay_alu instid0(SALU_CYCLE_1) | instskip(SKIP_2) | instid1(SALU_CYCLE_1)
	s_sub_i32 s8, s2, s4
	s_load_b64 s[2:3], s[0:1], 0x50
	s_abs_i32 s16, s8
	v_cvt_f32_u32_e32 v1, s16
	s_sub_i32 s5, 0, s16
	s_delay_alu instid0(VALU_DEP_1) | instskip(SKIP_2) | instid1(VALU_DEP_1)
	v_rcp_iflag_f32_e32 v1, v1
	s_waitcnt_depctr 0xfff
	v_mul_f32_e32 v1, 0x4f7ffffe, v1
	v_cvt_u32_f32_e32 v1, v1
	s_delay_alu instid0(VALU_DEP_1) | instskip(NEXT) | instid1(VALU_DEP_1)
	v_readfirstlane_b32 s4, v1
	s_mul_i32 s5, s5, s4
	s_delay_alu instid0(SALU_CYCLE_1) | instskip(NEXT) | instid1(SALU_CYCLE_1)
	s_mul_hi_u32 s5, s4, s5
	s_add_i32 s4, s4, s5
	s_waitcnt lgkmcnt(0)
	s_cmp_eq_u64 s[2:3], 0
	s_mul_hi_u32 s18, s17, s4
	s_cbranch_scc1 .LBB163_3
; %bb.2:
	s_ashr_i32 s25, s24, 31
	s_delay_alu instid0(SALU_CYCLE_1) | instskip(NEXT) | instid1(SALU_CYCLE_1)
	s_lshl_b64 s[4:5], s[24:25], 2
	s_add_u32 s2, s2, s4
	s_addc_u32 s3, s3, s5
	s_load_b32 s38, s[2:3], 0x0
.LBB163_3:
	s_load_b128 s[4:7], s[0:1], 0x58
	v_lshrrev_b32_e32 v12, 1, v0
	v_and_b32_e32 v13, 1, v0
	v_lshlrev_b32_e32 v7, 3, v0
	s_ashr_i32 s2, s24, 31
	s_ashr_i32 s3, s8, 31
	s_mul_i32 s20, s24, 0x70
	s_waitcnt lgkmcnt(0)
	s_mov_b32 s7, exec_lo
	v_cmpx_gt_u32_e32 28, v0
	s_cbranch_execz .LBB163_5
; %bb.4:
	s_load_b64 s[8:9], s[0:1], 0x18
	s_mul_i32 s10, s14, s4
	v_lshlrev_b32_e32 v3, 3, v12
	s_ashr_i32 s11, s10, 31
	s_delay_alu instid0(SALU_CYCLE_1) | instskip(NEXT) | instid1(VALU_DEP_1)
	s_lshl_b64 s[10:11], s[10:11], 1
	v_mad_u32_u24 v3, 0x70, v13, v3
	s_waitcnt lgkmcnt(0)
	s_add_u32 s4, s8, s10
	s_addc_u32 s10, s9, s11
	s_ashr_i32 s21, s20, 31
	s_delay_alu instid0(SALU_CYCLE_1) | instskip(NEXT) | instid1(SALU_CYCLE_1)
	s_lshl_b64 s[8:9], s[20:21], 1
	s_add_u32 s8, s4, s8
	s_addc_u32 s9, s10, s9
	global_load_b64 v[1:2], v7, s[8:9]
	s_waitcnt vmcnt(0)
	ds_store_b64 v3, v[1:2]
.LBB163_5:
	s_or_b32 exec_lo, exec_lo, s7
	s_load_b128 s[8:11], s[0:1], 0x78
	s_mul_i32 s4, s18, s16
	s_xor_b32 s2, s2, s3
	s_sub_i32 s3, s17, s4
	s_add_i32 s4, s18, 1
	s_sub_i32 s7, s3, s16
	s_cmp_ge_u32 s3, s16
	s_mov_b32 s17, -1
	s_cselect_b32 s4, s4, s18
	s_cselect_b32 s3, s7, s3
	s_add_i32 s7, s4, 1
	s_cmp_ge_u32 s3, s16
	s_waitcnt lgkmcnt(0)
	s_cselect_b32 s3, s7, s4
	s_load_b32 s4, s[0:1], 0x88
	s_xor_b32 s3, s3, s2
	s_add_i32 s16, s33, -1
	s_sub_i32 s3, s3, s2
	s_abs_i32 s7, s16
	s_waitcnt lgkmcnt(0)
	s_barrier
	s_abs_i32 s21, s11
	buffer_gl0_inv
	v_cvt_f32_u32_e32 v1, s21
	s_sub_i32 s2, 0, s21
                                        ; implicit-def: $sgpr36
	s_delay_alu instid0(VALU_DEP_1) | instskip(SKIP_2) | instid1(VALU_DEP_1)
	v_rcp_iflag_f32_e32 v1, v1
	s_waitcnt_depctr 0xfff
	v_mul_f32_e32 v1, 0x4f7ffffe, v1
	v_cvt_u32_f32_e32 v1, v1
	s_delay_alu instid0(VALU_DEP_1) | instskip(NEXT) | instid1(VALU_DEP_1)
	v_readfirstlane_b32 s25, v1
	s_mul_i32 s2, s2, s25
	s_delay_alu instid0(SALU_CYCLE_1) | instskip(NEXT) | instid1(SALU_CYCLE_1)
	s_mul_hi_u32 s2, s25, s2
	s_add_i32 s25, s25, s2
	s_cmp_lt_i32 s4, 0
	s_mul_hi_u32 s2, s7, s25
	s_cbranch_scc0 .LBB163_7
; %bb.6:
	s_mul_i32 s17, s8, s34
	s_delay_alu instid0(SALU_CYCLE_1) | instskip(NEXT) | instid1(SALU_CYCLE_1)
	s_add_i32 s17, s3, s17
	s_mul_i32 s17, s17, s4
	s_delay_alu instid0(SALU_CYCLE_1)
	s_sub_i32 s36, 1, s17
	s_mov_b32 s17, 0
.LBB163_7:
	s_load_b64 s[26:27], s[0:1], 0x38
	s_ashr_i32 s28, s16, 31
	s_and_not1_b32 vcc_lo, exec_lo, s17
	s_ashr_i32 s11, s11, 31
	s_cbranch_vccnz .LBB163_9
; %bb.8:
	s_mul_i32 s8, s15, s8
	s_delay_alu instid0(SALU_CYCLE_1) | instskip(NEXT) | instid1(SALU_CYCLE_1)
	s_add_i32 s8, s8, s24
	s_mul_i32 s4, s8, s4
	s_delay_alu instid0(SALU_CYCLE_1)
	s_add_i32 s36, s4, 1
.LBB163_9:
	s_clause 0x4
	s_load_b32 s8, s[0:1], 0x48
	s_load_b64 s[30:31], s[0:1], 0x28
	s_load_b32 s4, s[0:1], 0x98
	s_load_b128 s[16:19], s[0:1], 0x0
	s_load_b64 s[22:23], s[0:1], 0x10
	s_xor_b32 s37, s28, s11
	s_mul_i32 s28, s2, s21
	s_add_i32 s34, s2, 1
	s_sub_i32 s7, s7, s28
	v_lshrrev_b32_e32 v14, 5, v0
	v_mov_b32_e32 v11, 0xff7fffff
	v_mbcnt_lo_u32_b32 v8, -1, 0
	s_mul_i32 s6, s3, s6
	s_delay_alu instid0(VALU_DEP_3)
	v_lshl_add_u32 v15, v14, 4, s13
	s_waitcnt lgkmcnt(0)
	s_mul_i32 s28, s14, s8
	s_sub_i32 s8, s7, s21
	s_ashr_i32 s29, s28, 31
	s_cmp_ge_u32 s7, s21
	s_cselect_b32 s2, s34, s2
	s_cselect_b32 s7, s8, s7
	s_add_i32 s8, s2, 1
	s_cmp_ge_u32 s7, s21
	s_cselect_b32 s2, s8, s2
	s_add_i32 s7, s33, 15
	s_lshl_b32 s39, s12, 5
	s_ashr_i32 s8, s7, 31
	v_or_b32_e32 v9, s39, v14
	s_lshr_b32 s8, s8, 28
	s_delay_alu instid0(SALU_CYCLE_1)
	s_add_i32 s7, s7, s8
	s_add_i32 s8, s39, 32
	s_ashr_i32 s34, s7, 4
	s_xor_b32 s7, s2, s37
	s_min_i32 s8, s8, s34
	v_ashrrev_i32_e32 v10, 31, v9
	v_cmp_gt_i32_e64 s2, s8, v9
	s_sub_i32 s37, s7, s37
	s_delay_alu instid0(VALU_DEP_1)
	s_and_saveexec_b32 s40, s2
	s_cbranch_execz .LBB163_19
; %bb.10:
	s_load_b64 s[0:1], s[0:1], 0x20
	s_ashr_i32 s7, s6, 31
	v_bfe_u32 v16, v0, 1, 4
	s_lshl_b64 s[42:43], s[6:7], 1
	s_sub_i32 s7, s37, s9
	v_mov_b32_e32 v26, v9
	v_dual_mov_b32 v19, 0xff7fffff :: v_dual_and_b32 v4, 8, v7
	v_lshlrev_b32_e32 v5, 2, v16
	v_subrev_nc_u32_e32 v6, s33, v16
	v_lshlrev_b32_e32 v23, 4, v16
	v_cmp_eq_u32_e32 vcc_lo, 0, v13
	v_mul_u32_u24_e32 v17, 0x70, v13
	v_lshl_or_b32 v5, v14, 6, v5
	v_add_nc_u32_e32 v21, 1, v6
	v_lshl_add_u32 v18, v14, 4, s13
	v_xor_b32_e32 v20, 1, v8
	v_mov_b32_e32 v11, 0xff7fffff
	v_add_nc_u32_e32 v22, 0x100, v5
	s_waitcnt lgkmcnt(0)
	s_add_u32 s3, s0, s42
	s_addc_u32 s1, s1, s43
	s_abs_i32 s41, s10
	v_add_co_u32 v6, s3, s3, v23
	v_cvt_f32_u32_e32 v1, s41
	s_sub_i32 s42, 0, s41
	v_add_co_ci_u32_e64 v24, null, s1, 0, s3
	v_cmp_neq_f32_e64 s0, s38, 0
	s_delay_alu instid0(VALU_DEP_3) | instskip(SKIP_3) | instid1(VALU_DEP_1)
	v_rcp_iflag_f32_e32 v3, v1
	v_lshlrev_b64 v[1:2], 2, v[9:10]
	s_waitcnt_depctr 0xfff
	v_mul_f32_e32 v3, 0x4f7ffffe, v3
	v_cvt_u32_f32_e32 v3, v3
	s_delay_alu instid0(VALU_DEP_1) | instskip(SKIP_1) | instid1(SALU_CYCLE_1)
	v_mul_lo_u32 v5, s42, v3
	s_lshl_b64 s[42:43], s[28:29], 2
	s_add_u32 s1, s26, s42
	s_addc_u32 s3, s27, s43
	v_add_co_u32 v1, s1, s1, v1
	s_delay_alu instid0(VALU_DEP_1) | instskip(NEXT) | instid1(VALU_DEP_3)
	v_add_co_ci_u32_e64 v2, s1, s3, v2, s1
	v_mul_hi_u32 v5, v3, v5
	v_add_co_u32 v23, s1, v6, v4
	s_delay_alu instid0(VALU_DEP_1) | instskip(SKIP_2) | instid1(VALU_DEP_3)
	v_add_co_ci_u32_e64 v24, s1, 0, v24, s1
	s_mov_b32 s42, 0
	s_mov_b32 s43, s5
	v_add_nc_u32_e32 v25, v3, v5
	s_branch .LBB163_13
.LBB163_11:                             ;   in Loop: Header=BB163_13 Depth=1
	s_or_b32 exec_lo, exec_lo, s44
.LBB163_12:                             ;   in Loop: Header=BB163_13 Depth=1
	s_delay_alu instid0(SALU_CYCLE_1) | instskip(SKIP_2) | instid1(VALU_DEP_1)
	s_or_b32 exec_lo, exec_lo, s3
	v_add_nc_u32_e32 v26, 4, v26
	v_add_co_u32 v1, s3, v1, 16
	v_add_co_ci_u32_e64 v2, s3, 0, v2, s3
	s_delay_alu instid0(VALU_DEP_3) | instskip(SKIP_2) | instid1(VALU_DEP_3)
	v_cmp_le_i32_e64 s1, s8, v26
	v_add_nc_u32_e32 v18, 64, v18
	v_add_nc_u32_e32 v22, 0x100, v22
	s_or_b32 s42, s1, s42
	s_delay_alu instid0(SALU_CYCLE_1)
	s_and_not1_b32 exec_lo, exec_lo, s42
	s_cbranch_execz .LBB163_18
.LBB163_13:                             ; =>This Inner Loop Header: Depth=1
	v_sub_nc_u32_e32 v3, 0, v18
	s_delay_alu instid0(VALU_DEP_1) | instskip(SKIP_1) | instid1(VALU_DEP_1)
	v_max_i32_e32 v3, v18, v3
	s_waitcnt lgkmcnt(0)
	v_mul_hi_u32 v4, v3, s25
	s_delay_alu instid0(VALU_DEP_1) | instskip(NEXT) | instid1(VALU_DEP_1)
	v_mul_lo_u32 v5, v4, s21
	v_sub_nc_u32_e32 v3, v3, v5
	v_add_nc_u32_e32 v5, 1, v4
	s_delay_alu instid0(VALU_DEP_2) | instskip(SKIP_1) | instid1(VALU_DEP_1)
	v_subrev_nc_u32_e32 v6, s21, v3
	v_cmp_le_u32_e64 s1, s21, v3
	v_cndmask_b32_e64 v4, v4, v5, s1
	s_delay_alu instid0(VALU_DEP_3) | instskip(SKIP_1) | instid1(VALU_DEP_3)
	v_cndmask_b32_e64 v3, v3, v6, s1
	v_ashrrev_i32_e32 v5, 31, v18
	v_add_nc_u32_e32 v6, 1, v4
	s_delay_alu instid0(VALU_DEP_3) | instskip(NEXT) | instid1(VALU_DEP_3)
	v_cmp_le_u32_e64 s1, s21, v3
	v_xor_b32_e32 v5, s11, v5
	s_delay_alu instid0(VALU_DEP_2) | instskip(NEXT) | instid1(VALU_DEP_1)
	v_cndmask_b32_e64 v3, v4, v6, s1
	v_xor_b32_e32 v3, v3, v5
	s_delay_alu instid0(VALU_DEP_1) | instskip(NEXT) | instid1(VALU_DEP_1)
	v_sub_nc_u32_e32 v3, v3, v5
	v_add_nc_u32_e32 v4, s36, v3
	v_cmp_ge_i32_e64 s3, s7, v3
	s_delay_alu instid0(VALU_DEP_2) | instskip(NEXT) | instid1(VALU_DEP_1)
	v_sub_nc_u32_e32 v5, 0, v4
	v_max_i32_e32 v5, v4, v5
	v_ashrrev_i32_e32 v4, 31, v4
	s_delay_alu instid0(VALU_DEP_2) | instskip(NEXT) | instid1(VALU_DEP_1)
	v_mul_hi_u32 v6, v5, v25
	v_mul_lo_u32 v6, v6, s41
	s_delay_alu instid0(VALU_DEP_1) | instskip(NEXT) | instid1(VALU_DEP_1)
	v_sub_nc_u32_e32 v5, v5, v6
	v_subrev_nc_u32_e32 v6, s41, v5
	v_cmp_le_u32_e64 s1, s41, v5
	s_delay_alu instid0(VALU_DEP_1) | instskip(NEXT) | instid1(VALU_DEP_1)
	v_cndmask_b32_e64 v5, v5, v6, s1
	v_subrev_nc_u32_e32 v6, s41, v5
	v_cmp_le_u32_e64 s1, s41, v5
	s_delay_alu instid0(VALU_DEP_1) | instskip(NEXT) | instid1(VALU_DEP_1)
	v_cndmask_b32_e64 v5, v5, v6, s1
	v_xor_b32_e32 v5, v5, v4
	s_delay_alu instid0(VALU_DEP_1) | instskip(NEXT) | instid1(VALU_DEP_1)
	v_sub_nc_u32_e32 v4, v5, v4
	v_cmp_ne_u32_e64 s1, 0, v4
	s_delay_alu instid0(VALU_DEP_1) | instskip(NEXT) | instid1(SALU_CYCLE_1)
	s_and_b32 s1, s1, s3
	s_and_b32 s44, vcc_lo, s1
	s_delay_alu instid0(SALU_CYCLE_1)
	s_and_saveexec_b32 s3, s44
	s_cbranch_execz .LBB163_15
; %bb.14:                               ;   in Loop: Header=BB163_13 Depth=1
	ds_store_b32 v22, v19
.LBB163_15:                             ;   in Loop: Header=BB163_13 Depth=1
	s_or_b32 exec_lo, exec_lo, s3
	s_xor_b32 s1, s1, -1
	s_delay_alu instid0(SALU_CYCLE_1)
	s_and_saveexec_b32 s3, s1
	s_cbranch_execz .LBB163_12
; %bb.16:                               ;   in Loop: Header=BB163_13 Depth=1
	global_load_b32 v5, v[1:2], off
	s_waitcnt vmcnt(0)
	v_mad_i64_i32 v[3:4], null, v5, s43, 0
	s_delay_alu instid0(VALU_DEP_1) | instskip(NEXT) | instid1(VALU_DEP_1)
	v_lshlrev_b64 v[3:4], 1, v[3:4]
	v_add_co_u32 v3, s1, v23, v3
	s_delay_alu instid0(VALU_DEP_1)
	v_add_co_ci_u32_e64 v4, s1, v24, v4, s1
	v_cmp_gt_i32_e64 s1, 32, v20
	s_clause 0xd
	global_load_b64 v[55:56], v[3:4], off offset:256
	global_load_b64 v[57:58], v[3:4], off offset:512
	;; [unrolled: 1-line block ×3, first 2 shown]
	global_load_b64 v[61:62], v[3:4], off
	global_load_b64 v[63:64], v[3:4], off offset:1024
	global_load_b64 v[65:66], v[3:4], off offset:1280
	;; [unrolled: 1-line block ×10, first 2 shown]
	ds_load_b128 v[27:30], v17
	ds_load_b128 v[31:34], v17 offset:16
	ds_load_b128 v[35:38], v17 offset:32
	;; [unrolled: 1-line block ×6, first 2 shown]
	s_waitcnt lgkmcnt(0)
	v_lshlrev_b32_e32 v103, 16, v51
	v_and_b32_e32 v51, 0xffff0000, v51
	v_lshlrev_b32_e32 v105, 16, v53
	v_and_b32_e32 v53, 0xffff0000, v53
	s_waitcnt vmcnt(13)
	v_lshlrev_b32_e32 v107, 16, v55
	v_and_b32_e32 v55, 0xffff0000, v55
	v_lshlrev_b32_e32 v82, 16, v30
	s_waitcnt vmcnt(10)
	v_lshlrev_b32_e32 v109, 16, v61
	v_and_b32_e32 v61, 0xffff0000, v61
	v_lshlrev_b32_e32 v111, 16, v57
	v_and_b32_e32 v57, 0xffff0000, v57
	v_lshlrev_b32_e32 v112, 16, v58
	s_waitcnt vmcnt(5)
	v_lshlrev_b32_e32 v124, 16, v72
	s_waitcnt vmcnt(4)
	v_lshlrev_b32_e32 v125, 16, v73
	v_and_b32_e32 v73, 0xffff0000, v73
	v_lshlrev_b32_e32 v108, 16, v56
	v_lshlrev_b32_e32 v79, 16, v27
	v_and_b32_e32 v72, 0xffff0000, v72
	v_lshlrev_b32_e32 v110, 16, v62
	v_lshlrev_b32_e32 v106, 16, v54
	v_dual_mul_f32 v82, v82, v108 :: v_dual_lshlrev_b32 v81, 16, v29
	v_and_b32_e32 v29, 0xffff0000, v29
	v_lshlrev_b32_e32 v80, 16, v28
	v_and_b32_e32 v27, 0xffff0000, v27
	v_lshlrev_b32_e32 v113, 16, v59
	v_mul_f32_e32 v81, v81, v107
	v_dual_mul_f32 v29, v29, v55 :: v_dual_lshlrev_b32 v84, 16, v32
	v_lshlrev_b32_e32 v86, 16, v34
	s_delay_alu instid0(VALU_DEP_3) | instskip(NEXT) | instid1(VALU_DEP_3)
	v_dual_fmac_f32 v82, v80, v110 :: v_dual_fmac_f32 v81, v79, v109
	v_fmac_f32_e32 v29, v27, v61
	v_lshlrev_b32_e32 v83, 16, v31
	s_delay_alu instid0(VALU_DEP_3) | instskip(SKIP_2) | instid1(VALU_DEP_3)
	v_dual_fmac_f32 v82, v84, v112 :: v_dual_and_b32 v31, 0xffff0000, v31
	v_lshlrev_b32_e32 v92, 16, v40
	v_and_b32_e32 v59, 0xffff0000, v59
	v_dual_fmac_f32 v29, v31, v57 :: v_dual_lshlrev_b32 v126, 16, v74
	v_and_b32_e32 v74, 0xffff0000, v74
	v_lshlrev_b32_e32 v114, 16, v60
	v_lshlrev_b32_e32 v85, 16, v33
	v_and_b32_e32 v33, 0xffff0000, v33
	v_dual_fmac_f32 v81, v83, v111 :: v_dual_lshlrev_b32 v88, 16, v36
	v_lshlrev_b32_e32 v98, 16, v46
	v_lshlrev_b32_e32 v115, 16, v63
	s_delay_alu instid0(VALU_DEP_4)
	v_fmac_f32_e32 v29, v33, v59
	v_dual_fmac_f32 v82, v86, v114 :: v_dual_and_b32 v63, 0xffff0000, v63
	s_waitcnt vmcnt(1)
	v_and_b32_e32 v33, 0xffff0000, v77
	v_lshlrev_b32_e32 v116, 16, v64
	v_lshlrev_b32_e32 v87, 16, v35
	v_and_b32_e32 v35, 0xffff0000, v35
	v_and_b32_e32 v28, 0xffff0000, v28
	;; [unrolled: 1-line block ×3, first 2 shown]
	v_lshlrev_b32_e32 v117, 16, v65
	v_and_b32_e32 v65, 0xffff0000, v65
	v_lshlrev_b32_e32 v118, 16, v66
	v_lshlrev_b32_e32 v127, 16, v75
	v_dual_fmac_f32 v29, v35, v63 :: v_dual_and_b32 v56, 0xffff0000, v56
	v_and_b32_e32 v34, 0xffff0000, v34
	v_and_b32_e32 v30, 0xffff0000, v30
	v_lshlrev_b32_e32 v90, 16, v38
	v_fmac_f32_e32 v82, v88, v116
	v_dual_fmac_f32 v81, v85, v113 :: v_dual_lshlrev_b32 v94, 16, v42
	v_lshlrev_b32_e32 v120, 16, v68
	v_mul_f32_e32 v27, v30, v56
	s_delay_alu instid0(VALU_DEP_4) | instskip(SKIP_3) | instid1(VALU_DEP_4)
	v_dual_fmac_f32 v82, v90, v118 :: v_dual_lshlrev_b32 v89, 16, v37
	v_lshlrev_b32_e32 v91, 16, v39
	v_dual_fmac_f32 v81, v87, v115 :: v_dual_lshlrev_b32 v102, 16, v50
	v_lshlrev_b32_e32 v122, 16, v70
	v_dual_fmac_f32 v82, v92, v120 :: v_dual_lshlrev_b32 v93, 16, v41
	s_delay_alu instid0(VALU_DEP_3)
	v_dual_fmac_f32 v81, v89, v117 :: v_dual_and_b32 v32, 0xffff0000, v32
	v_and_b32_e32 v37, 0xffff0000, v37
	v_lshlrev_b32_e32 v119, 16, v67
	v_and_b32_e32 v55, 0xffff0000, v75
	v_and_b32_e32 v62, 0xffff0000, v62
	v_lshlrev_b32_e32 v96, 16, v44
	v_fmac_f32_e32 v82, v94, v122
	v_dual_fmac_f32 v81, v91, v119 :: v_dual_and_b32 v36, 0xffff0000, v36
	v_and_b32_e32 v39, 0xffff0000, v39
	v_and_b32_e32 v67, 0xffff0000, v67
	v_lshlrev_b32_e32 v121, 16, v69
	v_fmac_f32_e32 v27, v28, v62
	v_dual_fmac_f32 v82, v96, v124 :: v_dual_lshlrev_b32 v95, 16, v43
	v_fmac_f32_e32 v29, v37, v65
	v_lshlrev_b32_e32 v97, 16, v45
	v_and_b32_e32 v40, 0xffff0000, v40
	v_and_b32_e32 v41, 0xffff0000, v41
	v_dual_fmac_f32 v81, v93, v121 :: v_dual_and_b32 v42, 0xffff0000, v42
	v_and_b32_e32 v69, 0xffff0000, v69
	v_lshlrev_b32_e32 v123, 16, v71
	v_lshlrev_b32_e32 v75, 16, v76
	v_lshlrev_b32_e32 v28, 16, v5
	v_and_b32_e32 v5, 0xffff0000, v5
	v_and_b32_e32 v58, 0xffff0000, v58
	v_dual_fmac_f32 v29, v39, v67 :: v_dual_lshlrev_b32 v100, 16, v48
	v_dual_fmac_f32 v82, v98, v126 :: v_dual_and_b32 v43, 0xffff0000, v43
	s_delay_alu instid0(VALU_DEP_3) | instskip(SKIP_1) | instid1(VALU_DEP_4)
	v_fmac_f32_e32 v27, v32, v58
	v_lshlrev_b32_e32 v101, 16, v49
	v_dual_fmac_f32 v29, v41, v69 :: v_dual_and_b32 v46, 0xffff0000, v46
	v_dual_fmac_f32 v81, v95, v123 :: v_dual_and_b32 v48, 0xffff0000, v48
	v_and_b32_e32 v71, 0xffff0000, v71
	v_dual_fmac_f32 v82, v100, v75 :: v_dual_lshlrev_b32 v31, 16, v6
	v_and_b32_e32 v45, 0xffff0000, v45
	s_delay_alu instid0(VALU_DEP_3) | instskip(SKIP_1) | instid1(VALU_DEP_4)
	v_dual_fmac_f32 v29, v43, v71 :: v_dual_lshlrev_b32 v104, 16, v52
	v_dual_fmac_f32 v27, v34, v60 :: v_dual_lshlrev_b32 v34, 16, v78
	v_dual_fmac_f32 v81, v97, v125 :: v_dual_fmac_f32 v82, v102, v31
	v_lshlrev_b32_e32 v99, 16, v47
	v_and_b32_e32 v47, 0xffff0000, v47
	v_fmac_f32_e32 v29, v45, v73
	s_delay_alu instid0(VALU_DEP_4) | instskip(NEXT) | instid1(VALU_DEP_4)
	v_dual_fmac_f32 v82, v104, v34 :: v_dual_and_b32 v49, 0xffff0000, v49
	v_dual_fmac_f32 v81, v99, v127 :: v_dual_and_b32 v6, 0xffff0000, v6
	v_and_b32_e32 v64, 0xffff0000, v64
	s_delay_alu instid0(VALU_DEP_4) | instskip(NEXT) | instid1(VALU_DEP_3)
	v_dual_fmac_f32 v29, v47, v55 :: v_dual_lshlrev_b32 v32, 16, v77
	v_dual_fmac_f32 v81, v101, v28 :: v_dual_and_b32 v38, 0xffff0000, v38
	s_waitcnt vmcnt(0)
	s_delay_alu instid0(VALU_DEP_3) | instskip(NEXT) | instid1(VALU_DEP_3)
	v_dual_fmac_f32 v27, v36, v64 :: v_dual_lshlrev_b32 v36, 16, v3
	v_fmac_f32_e32 v29, v49, v5
	s_delay_alu instid0(VALU_DEP_3)
	v_dual_fmac_f32 v81, v103, v32 :: v_dual_and_b32 v66, 0xffff0000, v66
	v_and_b32_e32 v35, 0xffff0000, v78
	v_and_b32_e32 v68, 0xffff0000, v68
	;; [unrolled: 1-line block ×3, first 2 shown]
	v_fmac_f32_e32 v29, v51, v33
	v_dual_fmac_f32 v81, v36, v105 :: v_dual_and_b32 v44, 0xffff0000, v44
	v_fmac_f32_e32 v27, v38, v66
	v_and_b32_e32 v50, 0xffff0000, v50
	v_lshlrev_b32_e32 v5, 16, v4
	v_fmac_f32_e32 v29, v3, v53
	v_and_b32_e32 v3, 0xffff0000, v54
	v_fmac_f32_e32 v27, v40, v68
	v_and_b32_e32 v4, 0xffff0000, v4
	v_and_b32_e32 v70, 0xffff0000, v70
	;; [unrolled: 1-line block ×4, first 2 shown]
	v_fmac_f32_e32 v82, v5, v106
	v_add_f32_e32 v5, v81, v29
	v_fmac_f32_e32 v27, v42, v70
	s_delay_alu instid0(VALU_DEP_1) | instskip(NEXT) | instid1(VALU_DEP_1)
	v_fmac_f32_e32 v27, v44, v72
	v_fmac_f32_e32 v27, v46, v74
	s_delay_alu instid0(VALU_DEP_1) | instskip(NEXT) | instid1(VALU_DEP_1)
	v_fmac_f32_e32 v27, v48, v30
	v_fmac_f32_e32 v27, v50, v6
	v_cndmask_b32_e64 v6, v8, v20, s1
	s_delay_alu instid0(VALU_DEP_2) | instskip(NEXT) | instid1(VALU_DEP_1)
	v_fmac_f32_e32 v27, v52, v35
	v_fmac_f32_e32 v27, v4, v3
	v_add_f32_e32 v3, v5, v82
	s_delay_alu instid0(VALU_DEP_1)
	v_dual_add_f32 v3, v27, v3 :: v_dual_lshlrev_b32 v4, 2, v6
	ds_bpermute_b32 v4, v4, v3
	s_and_saveexec_b32 s44, vcc_lo
	s_cbranch_execz .LBB163_11
; %bb.17:                               ;   in Loop: Header=BB163_13 Depth=1
	s_waitcnt lgkmcnt(0)
	v_add_f32_e32 v3, v3, v4
	v_add_nc_u32_e32 v5, v21, v18
	s_delay_alu instid0(VALU_DEP_1) | instskip(NEXT) | instid1(VALU_DEP_1)
	v_cvt_f32_i32_e32 v5, v5
	v_mul_f32_e32 v5, s38, v5
	s_delay_alu instid0(VALU_DEP_1) | instskip(SKIP_1) | instid1(VALU_DEP_2)
	v_cndmask_b32_e64 v4, 0, v5, s0
	v_max_f32_e32 v5, v11, v11
	v_dual_fmac_f32 v4, s35, v3 :: v_dual_add_nc_u32 v3, v16, v18
	s_delay_alu instid0(VALU_DEP_1) | instskip(NEXT) | instid1(VALU_DEP_2)
	v_max_f32_e32 v5, v5, v4
	v_cmp_gt_i32_e64 s1, s33, v3
	s_delay_alu instid0(VALU_DEP_1) | instskip(NEXT) | instid1(VALU_DEP_3)
	v_cndmask_b32_e64 v3, 0, v4, s1
	v_cndmask_b32_e64 v11, v11, v5, s1
	ds_store_b32 v22, v3
	s_branch .LBB163_11
.LBB163_18:
	s_or_b32 exec_lo, exec_lo, s42
.LBB163_19:
	s_delay_alu instid0(SALU_CYCLE_1)
	s_or_b32 exec_lo, exec_lo, s40
	v_xor_b32_e32 v1, 16, v8
	v_xor_b32_e32 v2, 8, v8
	v_and_b32_e32 v16, 31, v0
	s_waitcnt lgkmcnt(0)
	v_max_f32_e32 v4, v11, v11
	v_cmp_gt_i32_e32 vcc_lo, 32, v1
	v_cndmask_b32_e32 v1, v8, v1, vcc_lo
	v_cmp_gt_i32_e32 vcc_lo, 32, v2
	s_delay_alu instid0(VALU_DEP_2) | instskip(SKIP_4) | instid1(VALU_DEP_1)
	v_dual_cndmask_b32 v2, v8, v2 :: v_dual_lshlrev_b32 v3, 2, v1
	ds_bpermute_b32 v1, v3, v11
	v_lshlrev_b32_e32 v11, 2, v14
	s_waitcnt lgkmcnt(0)
	v_max_f32_e32 v1, v1, v1
	v_max_f32_e32 v1, v4, v1
	v_xor_b32_e32 v4, 4, v8
	s_delay_alu instid0(VALU_DEP_1) | instskip(SKIP_1) | instid1(VALU_DEP_1)
	v_cmp_gt_i32_e32 vcc_lo, 32, v4
	v_cndmask_b32_e32 v4, v8, v4, vcc_lo
	v_lshlrev_b32_e32 v6, 2, v4
	v_xor_b32_e32 v4, 2, v8
	s_delay_alu instid0(VALU_DEP_1)
	v_cmp_gt_i32_e32 vcc_lo, 32, v4
	v_dual_cndmask_b32 v4, v8, v4 :: v_dual_lshlrev_b32 v5, 2, v2
	ds_bpermute_b32 v2, v5, v1
	v_cmp_eq_u32_e32 vcc_lo, 0, v16
	s_waitcnt lgkmcnt(0)
	v_max_f32_e32 v2, v2, v2
	s_delay_alu instid0(VALU_DEP_1) | instskip(SKIP_3) | instid1(VALU_DEP_1)
	v_max_f32_e32 v1, v1, v2
	ds_bpermute_b32 v2, v6, v1
	s_waitcnt lgkmcnt(0)
	v_max_f32_e32 v2, v2, v2
	v_dual_max_f32 v1, v1, v2 :: v_dual_lshlrev_b32 v2, 2, v4
	ds_bpermute_b32 v4, v2, v1
	s_and_saveexec_b32 s0, vcc_lo
	s_cbranch_execz .LBB163_21
; %bb.20:
	s_waitcnt lgkmcnt(0)
	v_dual_max_f32 v4, v4, v4 :: v_dual_max_f32 v1, v1, v1
	s_delay_alu instid0(VALU_DEP_1)
	v_max_f32_e32 v1, v1, v4
	ds_store_b32 v11, v1 offset:224
.LBB163_21:
	s_or_b32 exec_lo, exec_lo, s0
	v_cmp_gt_u32_e64 s0, 4, v16
	v_dual_mov_b32 v1, 0xff7fffff :: v_dual_lshlrev_b32 v18, 2, v16
	s_waitcnt lgkmcnt(0)
	s_barrier
	buffer_gl0_inv
	s_and_saveexec_b32 s1, s0
	s_cbranch_execz .LBB163_23
; %bb.22:
	ds_load_b32 v1, v18 offset:224
.LBB163_23:
	s_or_b32 exec_lo, exec_lo, s1
	s_waitcnt lgkmcnt(0)
	ds_bpermute_b32 v4, v2, v1
	v_xor_b32_e32 v17, 1, v8
	v_max_f32_e32 v1, v1, v1
	s_delay_alu instid0(VALU_DEP_2) | instskip(NEXT) | instid1(VALU_DEP_1)
	v_cmp_gt_i32_e64 s1, 32, v17
	v_cndmask_b32_e64 v8, v8, v17, s1
	s_sub_i32 s1, s8, s39
	s_delay_alu instid0(SALU_CYCLE_1) | instskip(NEXT) | instid1(VALU_DEP_1)
	s_lshl_b32 s1, s1, 4
	v_dual_mov_b32 v8, 0 :: v_dual_lshlrev_b32 v17, 2, v8
	s_add_i32 s1, s1, s13
	s_delay_alu instid0(SALU_CYCLE_1) | instskip(SKIP_3) | instid1(SALU_CYCLE_1)
	s_min_i32 s1, s1, s33
	s_waitcnt lgkmcnt(0)
	v_max_f32_e32 v4, v4, v4
	s_sub_i32 s7, s1, s13
	v_cmp_gt_i32_e64 s1, s7, v0
	s_delay_alu instid0(VALU_DEP_2) | instskip(SKIP_3) | instid1(VALU_DEP_1)
	v_max_f32_e32 v1, v1, v4
	ds_bpermute_b32 v4, v17, v1
	s_waitcnt lgkmcnt(0)
	v_max_f32_e32 v4, v4, v4
	v_max_f32_e32 v1, v1, v4
	v_lshl_add_u32 v4, v0, 2, 0x100
	ds_bpermute_b32 v1, v8, v1
	s_and_saveexec_b32 s13, s1
	s_cbranch_execz .LBB163_27
; %bb.24:
	v_lshl_add_u32 v19, v0, 2, 0x100
	v_mov_b32_e32 v8, 0
	v_mov_b32_e32 v20, v0
	s_mov_b32 s35, 0
	.p2align	6
.LBB163_25:                             ; =>This Inner Loop Header: Depth=1
	ds_load_b32 v21, v19
	v_add_nc_u32_e32 v20, 0x80, v20
	s_delay_alu instid0(VALU_DEP_1) | instskip(NEXT) | instid1(VALU_DEP_1)
	v_cmp_le_i32_e64 s3, s7, v20
	s_or_b32 s35, s3, s35
	s_waitcnt lgkmcnt(0)
	v_sub_f32_e32 v21, v21, v1
	s_delay_alu instid0(VALU_DEP_1) | instskip(NEXT) | instid1(VALU_DEP_1)
	v_mul_f32_e32 v21, 0x3fb8aa3b, v21
	v_exp_f32_e32 v21, v21
	ds_store_b32 v19, v21
	v_dual_add_f32 v8, v8, v21 :: v_dual_add_nc_u32 v19, 0x200, v19
	s_and_not1_b32 exec_lo, exec_lo, s35
	s_cbranch_execnz .LBB163_25
; %bb.26:
	s_or_b32 exec_lo, exec_lo, s35
.LBB163_27:
	s_delay_alu instid0(SALU_CYCLE_1)
	s_or_b32 exec_lo, exec_lo, s13
	ds_bpermute_b32 v3, v3, v8
	s_waitcnt lgkmcnt(0)
	v_add_f32_e32 v3, v8, v3
	ds_bpermute_b32 v5, v5, v3
	s_waitcnt lgkmcnt(0)
	v_add_f32_e32 v3, v3, v5
	;; [unrolled: 3-line block ×5, first 2 shown]
	s_and_saveexec_b32 s3, vcc_lo
	s_cbranch_execz .LBB163_29
; %bb.28:
	ds_store_b32 v11, v3 offset:240
.LBB163_29:
	s_or_b32 exec_lo, exec_lo, s3
	s_waitcnt lgkmcnt(0)
	s_barrier
	buffer_gl0_inv
	s_and_saveexec_b32 s3, s0
	s_cbranch_execz .LBB163_31
; %bb.30:
	ds_load_b32 v3, v18 offset:240
.LBB163_31:
	s_or_b32 exec_lo, exec_lo, s3
	s_waitcnt lgkmcnt(0)
	ds_bpermute_b32 v2, v2, v3
	s_waitcnt lgkmcnt(0)
	v_add_f32_e32 v2, v3, v2
	ds_bpermute_b32 v3, v17, v2
	s_waitcnt lgkmcnt(0)
	v_dual_add_f32 v2, v2, v3 :: v_dual_mov_b32 v3, 0
	ds_bpermute_b32 v2, v3, v2
	s_and_saveexec_b32 s0, s1
	s_cbranch_execz .LBB163_34
; %bb.32:
	s_waitcnt lgkmcnt(0)
	v_add_f32_e32 v3, 0x358637bd, v2
	s_mov_b32 s1, 0
	s_delay_alu instid0(VALU_DEP_1) | instskip(SKIP_1) | instid1(VALU_DEP_2)
	v_div_scale_f32 v5, null, v3, v3, 1.0
	v_div_scale_f32 v11, vcc_lo, 1.0, v3, 1.0
	v_rcp_f32_e32 v6, v5
	s_waitcnt_depctr 0xfff
	v_fma_f32 v8, -v5, v6, 1.0
	s_delay_alu instid0(VALU_DEP_1) | instskip(NEXT) | instid1(VALU_DEP_1)
	v_fmac_f32_e32 v6, v8, v6
	v_mul_f32_e32 v8, v11, v6
	s_delay_alu instid0(VALU_DEP_1) | instskip(NEXT) | instid1(VALU_DEP_1)
	v_fma_f32 v18, -v5, v8, v11
	v_fmac_f32_e32 v8, v18, v6
	s_delay_alu instid0(VALU_DEP_1) | instskip(NEXT) | instid1(VALU_DEP_1)
	v_fma_f32 v5, -v5, v8, v11
	v_div_fmas_f32 v5, v5, v6, v8
	s_delay_alu instid0(VALU_DEP_1)
	v_div_fixup_f32 v3, v5, v3, 1.0
	v_mov_b32_e32 v5, v0
.LBB163_33:                             ; =>This Inner Loop Header: Depth=1
	ds_load_b32 v6, v4
	s_waitcnt lgkmcnt(0)
	v_dual_mul_f32 v6, v3, v6 :: v_dual_add_nc_u32 v5, 0x80, v5
	s_delay_alu instid0(VALU_DEP_1) | instskip(SKIP_3) | instid1(SALU_CYCLE_1)
	v_cmp_le_i32_e32 vcc_lo, s7, v5
	ds_store_b32 v4, v6
	v_add_nc_u32_e32 v4, 0x200, v4
	s_or_b32 s1, vcc_lo, s1
	s_and_not1_b32 exec_lo, exec_lo, s1
	s_cbranch_execnz .LBB163_33
.LBB163_34:
	s_or_b32 exec_lo, exec_lo, s0
	s_delay_alu instid0(SALU_CYCLE_1)
	s_mov_b32 s0, exec_lo
	s_waitcnt lgkmcnt(0)
	s_barrier
	buffer_gl0_inv
	v_cmpx_eq_u32_e32 0, v0
	s_cbranch_execz .LBB163_36
; %bb.35:
	s_mul_i32 s1, s4, s14
	s_mul_i32 s40, s4, s24
	;; [unrolled: 1-line block ×3, first 2 shown]
	v_mov_b32_e32 v3, 0
	s_ashr_i32 s39, s38, 31
	s_delay_alu instid0(SALU_CYCLE_1) | instskip(NEXT) | instid1(SALU_CYCLE_1)
	s_lshl_b64 s[38:39], s[38:39], 2
	s_add_u32 s1, s18, s38
	s_addc_u32 s3, s19, s39
	s_ashr_i32 s41, s40, 31
	s_delay_alu instid0(SALU_CYCLE_1) | instskip(NEXT) | instid1(SALU_CYCLE_1)
	s_lshl_b64 s[18:19], s[40:41], 2
	s_add_u32 s1, s1, s18
	s_addc_u32 s3, s3, s19
	;; [unrolled: 5-line block ×3, first 2 shown]
	s_add_u32 s1, s16, s38
	s_addc_u32 s3, s17, s39
	s_add_u32 s1, s1, s18
	s_addc_u32 s3, s3, s19
	;; [unrolled: 2-line block ×3, first 2 shown]
	s_clause 0x1
	global_store_b32 v3, v1, s[42:43]
	global_store_b32 v3, v2, s[16:17]
.LBB163_36:
	s_or_b32 exec_lo, exec_lo, s0
	v_dual_mov_b32 v24, 0 :: v_dual_mov_b32 v21, 0
	v_dual_mov_b32 v20, 0 :: v_dual_mov_b32 v19, 0
	;; [unrolled: 1-line block ×3, first 2 shown]
	v_mov_b32_e32 v18, 0
	s_mov_b32 s3, 0
	s_and_saveexec_b32 s1, s2
	s_cbranch_execz .LBB163_312
; %bb.37:
	s_ashr_i32 s7, s6, 31
	s_sub_i32 s2, s37, s9
	s_lshl_b64 s[6:7], s[6:7], 1
	v_dual_mov_b32 v18, 0 :: v_dual_lshlrev_b32 v3, 4, v0
	s_add_u32 s0, s30, s6
	s_addc_u32 s9, s31, s7
	s_abs_i32 s6, s10
	v_dual_mov_b32 v22, 0 :: v_dual_lshlrev_b32 v5, 5, v13
	v_cvt_f32_u32_e32 v1, s6
	s_sub_i32 s7, 0, s6
	v_and_b32_e32 v3, 0x1f0, v3
	s_lshl_b64 s[16:17], s[28:29], 2
	v_lshl_or_b32 v5, v14, 6, v5
	v_rcp_iflag_f32_e32 v1, v1
	v_and_b32_e32 v25, 8, v7
	v_add_co_u32 v26, s0, s0, v3
	v_dual_mov_b32 v23, 0 :: v_dual_mov_b32 v20, 0
	v_dual_mov_b32 v19, 0 :: v_dual_add_nc_u32 v28, 0x100, v5
	v_dual_mov_b32 v21, 0 :: v_dual_mov_b32 v24, 0
	s_waitcnt_depctr 0xfff
	v_mul_f32_e32 v4, 0x4f7ffffe, v1
	v_lshlrev_b64 v[1:2], 2, v[9:10]
	v_add_co_ci_u32_e64 v27, null, s9, 0, s0
	s_delay_alu instid0(VALU_DEP_3) | instskip(NEXT) | instid1(VALU_DEP_1)
	v_cvt_u32_f32_e32 v4, v4
	v_mul_lo_u32 v6, s7, v4
	s_add_i32 s7, s34, -1
	s_add_u32 s10, s26, s16
	s_addc_u32 s13, s27, s17
	v_add_co_u32 v10, vcc_lo, s10, v1
	v_add_co_ci_u32_e32 v11, vcc_lo, s13, v2, vcc_lo
	s_delay_alu instid0(VALU_DEP_3) | instskip(NEXT) | instid1(VALU_DEP_1)
	v_mul_hi_u32 v6, v4, v6
	v_add_nc_u32_e32 v29, v4, v6
	s_branch .LBB163_40
.LBB163_38:                             ;   in Loop: Header=BB163_40 Depth=1
	s_or_b32 exec_lo, exec_lo, s0
	v_and_b32_e32 v45, 0xffff0000, v90
	v_and_b32_e32 v47, 0xffff0000, v76
	;; [unrolled: 1-line block ×11, first 2 shown]
	v_add_f32_e32 v40, v41, v40
	v_and_b32_e32 v42, 0xffff0000, v86
	v_and_b32_e32 v38, 0xffff0000, v89
	;; [unrolled: 1-line block ×5, first 2 shown]
	v_dual_add_f32 v39, v42, v39 :: v_dual_and_b32 v42, 0xffff0000, v77
	v_and_b32_e32 v6, 0xffff0000, v6
	v_and_b32_e32 v5, 0xffff0000, v5
	s_delay_alu instid0(VALU_DEP_3) | instskip(NEXT) | instid1(VALU_DEP_4)
	v_dual_add_f32 v39, v40, v39 :: v_dual_and_b32 v2, 0xffff0000, v2
	v_add_f32_e32 v42, v47, v42
	v_dual_add_f32 v38, v43, v38 :: v_dual_and_b32 v41, 0xffff0000, v79
	v_and_b32_e32 v40, 0xffff0000, v81
	v_and_b32_e32 v47, 0xffff0000, v64
	s_delay_alu instid0(VALU_DEP_3) | instskip(NEXT) | instid1(VALU_DEP_4)
	v_dual_add_f32 v38, v39, v38 :: v_dual_and_b32 v3, 0xffff0000, v3
	v_dual_add_f32 v41, v48, v41 :: v_dual_and_b32 v48, 0xffff0000, v54
	v_and_b32_e32 v44, 0xffff0000, v44
	v_dual_add_f32 v7, v7, v8 :: v_dual_add_f32 v8, v30, v31
	s_delay_alu instid0(VALU_DEP_3) | instskip(SKIP_1) | instid1(VALU_DEP_1)
	v_dual_add_f32 v41, v42, v41 :: v_dual_and_b32 v42, 0xffff0000, v83
	v_dual_add_f32 v2, v2, v6 :: v_dual_and_b32 v43, 0xffff0000, v80
	v_dual_add_f32 v40, v43, v40 :: v_dual_add_f32 v39, v45, v46
	v_and_b32_e32 v46, 0xffff0000, v62
	s_delay_alu instid0(VALU_DEP_2) | instskip(SKIP_1) | instid1(VALU_DEP_2)
	v_dual_add_f32 v38, v38, v39 :: v_dual_add_f32 v39, v41, v40
	v_and_b32_e32 v45, 0xffff0000, v82
	v_add_f32_e32 v21, v21, v38
	s_delay_alu instid0(VALU_DEP_2) | instskip(SKIP_1) | instid1(VALU_DEP_2)
	v_add_f32_e32 v40, v45, v42
	v_and_b32_e32 v42, 0xffff0000, v69
	v_add_f32_e32 v38, v39, v40
	s_delay_alu instid0(VALU_DEP_1) | instskip(NEXT) | instid1(VALU_DEP_1)
	v_dual_add_f32 v20, v20, v38 :: v_dual_and_b32 v43, 0xffff0000, v68
	v_dual_add_f32 v40, v43, v42 :: v_dual_and_b32 v41, 0xffff0000, v71
	v_and_b32_e32 v45, 0xffff0000, v70
	s_delay_alu instid0(VALU_DEP_1) | instskip(NEXT) | instid1(VALU_DEP_1)
	v_add_f32_e32 v41, v45, v41
	v_dual_add_f32 v40, v40, v41 :: v_dual_and_b32 v41, 0xffff0000, v63
	s_delay_alu instid0(VALU_DEP_1) | instskip(SKIP_1) | instid1(VALU_DEP_1)
	v_dual_add_f32 v41, v46, v41 :: v_dual_and_b32 v42, 0xffff0000, v72
	v_and_b32_e32 v46, 0xffff0000, v53
	v_dual_add_f32 v44, v44, v46 :: v_dual_and_b32 v43, 0xffff0000, v75
	v_and_b32_e32 v45, 0xffff0000, v60
	v_and_b32_e32 v39, 0xffff0000, v73
	s_delay_alu instid0(VALU_DEP_1) | instskip(NEXT) | instid1(VALU_DEP_1)
	v_dual_add_f32 v39, v42, v39 :: v_dual_and_b32 v38, 0xffff0000, v74
	v_add_f32_e32 v38, v38, v43
	s_delay_alu instid0(VALU_DEP_2) | instskip(SKIP_3) | instid1(VALU_DEP_4)
	v_dual_add_f32 v39, v40, v39 :: v_dual_and_b32 v40, 0xffff0000, v65
	v_and_b32_e32 v4, 0xffff0000, v4
	v_and_b32_e32 v1, 0xffff0000, v1
	v_and_b32_e32 v46, 0xffff0000, v56
	v_dual_add_f32 v40, v47, v40 :: v_dual_and_b32 v47, 0xffff0000, v67
	v_and_b32_e32 v42, 0xffff0000, v61
	s_delay_alu instid0(VALU_DEP_4) | instskip(NEXT) | instid1(VALU_DEP_2)
	v_add_f32_e32 v1, v1, v5
	v_dual_add_f32 v5, v7, v8 :: v_dual_add_f32 v42, v45, v42
	s_delay_alu instid0(VALU_DEP_2) | instskip(SKIP_1) | instid1(VALU_DEP_3)
	v_dual_add_f32 v1, v1, v2 :: v_dual_and_b32 v30, 0xffff0000, v36
	v_and_b32_e32 v33, 0xffff0000, v33
	v_add_f32_e32 v41, v42, v41
	v_and_b32_e32 v45, 0xffff0000, v55
	v_and_b32_e32 v42, 0xffff0000, v57
	v_add_f32_e32 v2, v3, v30
	s_delay_alu instid0(VALU_DEP_3) | instskip(NEXT) | instid1(VALU_DEP_3)
	v_dual_add_f32 v40, v41, v40 :: v_dual_add_f32 v45, v48, v45
	v_add_f32_e32 v42, v46, v42
	s_delay_alu instid0(VALU_DEP_3) | instskip(NEXT) | instid1(VALU_DEP_3)
	v_add_f32_e32 v1, v1, v2
	v_add_f32_e32 v43, v44, v45
	s_delay_alu instid0(VALU_DEP_1) | instskip(SKIP_2) | instid1(VALU_DEP_2)
	v_dual_add_f32 v42, v43, v42 :: v_dual_and_b32 v45, 0xffff0000, v59
	v_and_b32_e32 v44, 0xffff0000, v58
	v_dual_add_f32 v41, v49, v47 :: v_dual_and_b32 v32, 0xffff0000, v32
	v_add_f32_e32 v7, v44, v45
	s_delay_alu instid0(VALU_DEP_1) | instskip(SKIP_1) | instid1(VALU_DEP_2)
	v_dual_add_f32 v6, v32, v33 :: v_dual_add_f32 v7, v42, v7
	v_and_b32_e32 v3, 0xffff0000, v37
	v_dual_add_f32 v5, v5, v6 :: v_dual_add_f32 v22, v22, v7
	s_delay_alu instid0(VALU_DEP_2) | instskip(SKIP_3) | instid1(VALU_DEP_4)
	v_add_f32_e32 v2, v4, v3
	v_add_f32_e32 v4, v40, v41
	v_and_b32_e32 v34, 0xffff0000, v34
	v_add_f32_e32 v3, v39, v38
	v_add_f32_e32 v1, v1, v2
	s_delay_alu instid0(VALU_DEP_3) | instskip(NEXT) | instid1(VALU_DEP_2)
	v_dual_add_f32 v23, v23, v4 :: v_dual_add_f32 v6, v34, v35
	v_dual_add_f32 v19, v19, v3 :: v_dual_add_f32 v24, v24, v1
	s_delay_alu instid0(VALU_DEP_2) | instskip(NEXT) | instid1(VALU_DEP_1)
	v_add_f32_e32 v5, v5, v6
	v_add_f32_e32 v18, v18, v5
.LBB163_39:                             ;   in Loop: Header=BB163_40 Depth=1
	s_or_b32 exec_lo, exec_lo, s9
	v_add_nc_u32_e32 v9, 4, v9
	v_add_co_u32 v10, s0, v10, 16
	s_delay_alu instid0(VALU_DEP_1) | instskip(NEXT) | instid1(VALU_DEP_3)
	v_add_co_ci_u32_e64 v11, s0, 0, v11, s0
	v_cmp_le_i32_e32 vcc_lo, s8, v9
	v_add_nc_u32_e32 v15, 64, v15
	v_add_nc_u32_e32 v28, 0x100, v28
	s_or_b32 s3, vcc_lo, s3
	s_delay_alu instid0(SALU_CYCLE_1)
	s_and_not1_b32 exec_lo, exec_lo, s3
	s_cbranch_execz .LBB163_311
.LBB163_40:                             ; =>This Inner Loop Header: Depth=1
	v_sub_nc_u32_e32 v1, 0, v15
	s_delay_alu instid0(VALU_DEP_1) | instskip(NEXT) | instid1(VALU_DEP_1)
	v_max_i32_e32 v1, v15, v1
	v_mul_hi_u32 v2, v1, s25
	s_delay_alu instid0(VALU_DEP_1) | instskip(NEXT) | instid1(VALU_DEP_1)
	v_mul_lo_u32 v3, v2, s21
	v_sub_nc_u32_e32 v1, v1, v3
	v_add_nc_u32_e32 v3, 1, v2
	s_delay_alu instid0(VALU_DEP_2) | instskip(SKIP_1) | instid1(VALU_DEP_2)
	v_subrev_nc_u32_e32 v4, s21, v1
	v_cmp_le_u32_e32 vcc_lo, s21, v1
	v_dual_cndmask_b32 v2, v2, v3 :: v_dual_cndmask_b32 v1, v1, v4
	v_ashrrev_i32_e32 v3, 31, v15
	s_delay_alu instid0(VALU_DEP_2) | instskip(NEXT) | instid1(VALU_DEP_3)
	v_add_nc_u32_e32 v4, 1, v2
	v_cmp_le_u32_e32 vcc_lo, s21, v1
	s_delay_alu instid0(VALU_DEP_3) | instskip(NEXT) | instid1(VALU_DEP_3)
	v_xor_b32_e32 v3, s11, v3
	v_cndmask_b32_e32 v1, v2, v4, vcc_lo
	s_delay_alu instid0(VALU_DEP_1) | instskip(NEXT) | instid1(VALU_DEP_1)
	v_xor_b32_e32 v1, v1, v3
	v_sub_nc_u32_e32 v1, v1, v3
	s_delay_alu instid0(VALU_DEP_1) | instskip(SKIP_1) | instid1(VALU_DEP_2)
	v_add_nc_u32_e32 v2, s36, v1
	v_cmp_lt_i32_e64 s0, s2, v1
	v_sub_nc_u32_e32 v3, 0, v2
	s_delay_alu instid0(VALU_DEP_1) | instskip(NEXT) | instid1(VALU_DEP_1)
	v_max_i32_e32 v3, v2, v3
	v_mul_hi_u32 v4, v3, v29
	s_delay_alu instid0(VALU_DEP_1) | instskip(NEXT) | instid1(VALU_DEP_1)
	v_mul_lo_u32 v4, v4, s6
	v_sub_nc_u32_e32 v3, v3, v4
	s_delay_alu instid0(VALU_DEP_1) | instskip(SKIP_1) | instid1(VALU_DEP_2)
	v_subrev_nc_u32_e32 v4, s6, v3
	v_cmp_le_u32_e32 vcc_lo, s6, v3
	v_cndmask_b32_e32 v3, v3, v4, vcc_lo
	v_ashrrev_i32_e32 v2, 31, v2
	s_delay_alu instid0(VALU_DEP_2) | instskip(SKIP_1) | instid1(VALU_DEP_2)
	v_subrev_nc_u32_e32 v4, s6, v3
	v_cmp_le_u32_e32 vcc_lo, s6, v3
	v_cndmask_b32_e32 v3, v3, v4, vcc_lo
	s_delay_alu instid0(VALU_DEP_1) | instskip(NEXT) | instid1(VALU_DEP_1)
	v_xor_b32_e32 v3, v3, v2
	v_sub_nc_u32_e32 v2, v3, v2
	s_delay_alu instid0(VALU_DEP_1) | instskip(SKIP_1) | instid1(SALU_CYCLE_1)
	v_cmp_eq_u32_e32 vcc_lo, 0, v2
	s_or_b32 s0, vcc_lo, s0
	s_and_saveexec_b32 s9, s0
	s_cbranch_execz .LBB163_39
; %bb.41:                               ;   in Loop: Header=BB163_40 Depth=1
	global_load_b32 v36, v[10:11], off
	ds_load_2addr_b64 v[5:8], v28 offset1:1
	ds_load_2addr_b64 v[1:4], v28 offset0:2 offset1:3
	s_mov_b32 s0, exec_lo
                                        ; implicit-def: $vgpr45
	s_waitcnt lgkmcnt(1)
	v_and_b32_e32 v30, 0x7f800000, v5
	s_delay_alu instid0(VALU_DEP_1)
	v_cmpx_ne_u32_e32 0x7f800000, v30
	s_xor_b32 s0, exec_lo, s0
; %bb.42:                               ;   in Loop: Header=BB163_40 Depth=1
	v_bfe_u32 v30, v5, 16, 1
	s_delay_alu instid0(VALU_DEP_1)
	v_add3_u32 v45, v5, v30, 0x7fff
; %bb.43:                               ;   in Loop: Header=BB163_40 Depth=1
	s_and_not1_saveexec_b32 s0, s0
; %bb.44:                               ;   in Loop: Header=BB163_40 Depth=1
	v_and_b32_e32 v30, 0xffff, v5
	v_or_b32_e32 v31, 0x10000, v5
	s_delay_alu instid0(VALU_DEP_2) | instskip(NEXT) | instid1(VALU_DEP_2)
	v_cmp_eq_u32_e32 vcc_lo, 0, v30
	v_cndmask_b32_e32 v45, v31, v5, vcc_lo
; %bb.45:                               ;   in Loop: Header=BB163_40 Depth=1
	s_or_b32 exec_lo, exec_lo, s0
	v_and_b32_e32 v5, 0x7f800000, v6
	s_mov_b32 s0, exec_lo
                                        ; implicit-def: $vgpr44
	s_delay_alu instid0(VALU_DEP_1)
	v_cmpx_ne_u32_e32 0x7f800000, v5
	s_xor_b32 s0, exec_lo, s0
; %bb.46:                               ;   in Loop: Header=BB163_40 Depth=1
	v_bfe_u32 v5, v6, 16, 1
	s_delay_alu instid0(VALU_DEP_1)
	v_add3_u32 v44, v6, v5, 0x7fff
; %bb.47:                               ;   in Loop: Header=BB163_40 Depth=1
	s_and_not1_saveexec_b32 s0, s0
; %bb.48:                               ;   in Loop: Header=BB163_40 Depth=1
	v_and_b32_e32 v5, 0xffff, v6
	v_or_b32_e32 v30, 0x10000, v6
	s_delay_alu instid0(VALU_DEP_2) | instskip(NEXT) | instid1(VALU_DEP_2)
	v_cmp_eq_u32_e32 vcc_lo, 0, v5
	v_cndmask_b32_e32 v44, v30, v6, vcc_lo
; %bb.49:                               ;   in Loop: Header=BB163_40 Depth=1
	s_or_b32 exec_lo, exec_lo, s0
	v_and_b32_e32 v5, 0x7f800000, v7
	s_mov_b32 s0, exec_lo
                                        ; implicit-def: $vgpr30
	s_delay_alu instid0(VALU_DEP_1)
	v_cmpx_ne_u32_e32 0x7f800000, v5
	s_xor_b32 s0, exec_lo, s0
; %bb.50:                               ;   in Loop: Header=BB163_40 Depth=1
	v_bfe_u32 v5, v7, 16, 1
	s_delay_alu instid0(VALU_DEP_1)
	v_add3_u32 v30, v7, v5, 0x7fff
; %bb.51:                               ;   in Loop: Header=BB163_40 Depth=1
	s_and_not1_saveexec_b32 s0, s0
; %bb.52:                               ;   in Loop: Header=BB163_40 Depth=1
	v_and_b32_e32 v5, 0xffff, v7
	v_or_b32_e32 v6, 0x10000, v7
	s_delay_alu instid0(VALU_DEP_2) | instskip(NEXT) | instid1(VALU_DEP_2)
	v_cmp_eq_u32_e32 vcc_lo, 0, v5
	v_cndmask_b32_e32 v30, v6, v7, vcc_lo
; %bb.53:                               ;   in Loop: Header=BB163_40 Depth=1
	s_or_b32 exec_lo, exec_lo, s0
	v_and_b32_e32 v5, 0x7f800000, v8
	s_mov_b32 s0, exec_lo
                                        ; implicit-def: $vgpr31
	s_delay_alu instid0(VALU_DEP_1)
	v_cmpx_ne_u32_e32 0x7f800000, v5
	s_xor_b32 s0, exec_lo, s0
; %bb.54:                               ;   in Loop: Header=BB163_40 Depth=1
	v_bfe_u32 v5, v8, 16, 1
	s_delay_alu instid0(VALU_DEP_1)
	v_add3_u32 v31, v8, v5, 0x7fff
                                        ; implicit-def: $vgpr5_vgpr6_vgpr7_vgpr8
; %bb.55:                               ;   in Loop: Header=BB163_40 Depth=1
	s_and_not1_saveexec_b32 s0, s0
; %bb.56:                               ;   in Loop: Header=BB163_40 Depth=1
	v_and_b32_e32 v5, 0xffff, v8
	v_or_b32_e32 v6, 0x10000, v8
	s_delay_alu instid0(VALU_DEP_2) | instskip(NEXT) | instid1(VALU_DEP_2)
	v_cmp_eq_u32_e32 vcc_lo, 0, v5
	v_cndmask_b32_e32 v31, v6, v8, vcc_lo
; %bb.57:                               ;   in Loop: Header=BB163_40 Depth=1
	s_or_b32 exec_lo, exec_lo, s0
	s_waitcnt lgkmcnt(0)
	v_and_b32_e32 v5, 0x7f800000, v1
	s_mov_b32 s0, exec_lo
                                        ; implicit-def: $vgpr32
	s_delay_alu instid0(VALU_DEP_1)
	v_cmpx_ne_u32_e32 0x7f800000, v5
	s_xor_b32 s0, exec_lo, s0
; %bb.58:                               ;   in Loop: Header=BB163_40 Depth=1
	v_bfe_u32 v5, v1, 16, 1
	s_delay_alu instid0(VALU_DEP_1)
	v_add3_u32 v32, v1, v5, 0x7fff
; %bb.59:                               ;   in Loop: Header=BB163_40 Depth=1
	s_and_not1_saveexec_b32 s0, s0
; %bb.60:                               ;   in Loop: Header=BB163_40 Depth=1
	v_and_b32_e32 v5, 0xffff, v1
	v_or_b32_e32 v6, 0x10000, v1
	s_delay_alu instid0(VALU_DEP_2) | instskip(NEXT) | instid1(VALU_DEP_2)
	v_cmp_eq_u32_e32 vcc_lo, 0, v5
	v_cndmask_b32_e32 v32, v6, v1, vcc_lo
; %bb.61:                               ;   in Loop: Header=BB163_40 Depth=1
	s_or_b32 exec_lo, exec_lo, s0
	v_and_b32_e32 v1, 0x7f800000, v2
	s_mov_b32 s0, exec_lo
                                        ; implicit-def: $vgpr33
	s_delay_alu instid0(VALU_DEP_1)
	v_cmpx_ne_u32_e32 0x7f800000, v1
	s_xor_b32 s0, exec_lo, s0
; %bb.62:                               ;   in Loop: Header=BB163_40 Depth=1
	v_bfe_u32 v1, v2, 16, 1
	s_delay_alu instid0(VALU_DEP_1)
	v_add3_u32 v33, v2, v1, 0x7fff
; %bb.63:                               ;   in Loop: Header=BB163_40 Depth=1
	s_and_not1_saveexec_b32 s0, s0
; %bb.64:                               ;   in Loop: Header=BB163_40 Depth=1
	v_and_b32_e32 v1, 0xffff, v2
	v_or_b32_e32 v5, 0x10000, v2
	s_delay_alu instid0(VALU_DEP_2) | instskip(NEXT) | instid1(VALU_DEP_2)
	v_cmp_eq_u32_e32 vcc_lo, 0, v1
	v_cndmask_b32_e32 v33, v5, v2, vcc_lo
; %bb.65:                               ;   in Loop: Header=BB163_40 Depth=1
	s_or_b32 exec_lo, exec_lo, s0
	v_and_b32_e32 v1, 0x7f800000, v3
	s_mov_b32 s0, exec_lo
                                        ; implicit-def: $vgpr34
	s_delay_alu instid0(VALU_DEP_1)
	v_cmpx_ne_u32_e32 0x7f800000, v1
	s_xor_b32 s0, exec_lo, s0
; %bb.66:                               ;   in Loop: Header=BB163_40 Depth=1
	v_bfe_u32 v1, v3, 16, 1
	s_delay_alu instid0(VALU_DEP_1)
	v_add3_u32 v34, v3, v1, 0x7fff
; %bb.67:                               ;   in Loop: Header=BB163_40 Depth=1
	s_and_not1_saveexec_b32 s0, s0
; %bb.68:                               ;   in Loop: Header=BB163_40 Depth=1
	v_and_b32_e32 v1, 0xffff, v3
	v_or_b32_e32 v2, 0x10000, v3
	s_delay_alu instid0(VALU_DEP_2) | instskip(NEXT) | instid1(VALU_DEP_2)
	v_cmp_eq_u32_e32 vcc_lo, 0, v1
	v_cndmask_b32_e32 v34, v2, v3, vcc_lo
; %bb.69:                               ;   in Loop: Header=BB163_40 Depth=1
	s_or_b32 exec_lo, exec_lo, s0
	v_and_b32_e32 v1, 0x7f800000, v4
	s_mov_b32 s0, exec_lo
                                        ; implicit-def: $vgpr35
	s_delay_alu instid0(VALU_DEP_1)
	v_cmpx_ne_u32_e32 0x7f800000, v1
	s_xor_b32 s0, exec_lo, s0
; %bb.70:                               ;   in Loop: Header=BB163_40 Depth=1
	v_bfe_u32 v1, v4, 16, 1
	s_delay_alu instid0(VALU_DEP_1)
	v_add3_u32 v35, v4, v1, 0x7fff
                                        ; implicit-def: $vgpr1_vgpr2_vgpr3_vgpr4
; %bb.71:                               ;   in Loop: Header=BB163_40 Depth=1
	s_and_not1_saveexec_b32 s0, s0
; %bb.72:                               ;   in Loop: Header=BB163_40 Depth=1
	v_and_b32_e32 v1, 0xffff, v4
	v_or_b32_e32 v2, 0x10000, v4
	s_delay_alu instid0(VALU_DEP_2) | instskip(NEXT) | instid1(VALU_DEP_2)
	v_cmp_eq_u32_e32 vcc_lo, 0, v1
	v_cndmask_b32_e32 v35, v2, v4, vcc_lo
; %bb.73:                               ;   in Loop: Header=BB163_40 Depth=1
	s_or_b32 exec_lo, exec_lo, s0
	s_waitcnt vmcnt(0)
	v_mad_i64_i32 v[1:2], null, v36, s5, 0
	v_add_nc_u32_e32 v36, v25, v15
	s_delay_alu instid0(VALU_DEP_1) | instskip(NEXT) | instid1(VALU_DEP_3)
	v_add_nc_u32_e32 v43, 1, v36
	v_lshlrev_b64 v[1:2], 1, v[1:2]
	v_add_nc_u32_e32 v42, 2, v36
	v_add_nc_u32_e32 v40, 3, v36
	v_add_nc_u32_e32 v39, 4, v36
	v_add_nc_u32_e32 v38, 5, v36
	v_add_nc_u32_e32 v37, 6, v36
	v_add_co_u32 v5, vcc_lo, v26, v1
	v_add_co_ci_u32_e32 v6, vcc_lo, v27, v2, vcc_lo
	v_cmp_eq_u32_e32 vcc_lo, s7, v9
	v_add_nc_u32_e32 v41, 7, v36
	global_load_b128 v[1:4], v[5:6], off
	s_waitcnt vmcnt(0)
	v_lshrrev_b32_e32 v8, 16, v1
	v_lshrrev_b32_e32 v49, 16, v2
	;; [unrolled: 1-line block ×4, first 2 shown]
	s_and_saveexec_b32 s10, vcc_lo
	s_cbranch_execz .LBB163_75
; %bb.74:                               ;   in Loop: Header=BB163_40 Depth=1
	v_cmp_gt_i32_e64 s0, s33, v36
	s_delay_alu instid0(VALU_DEP_1) | instskip(SKIP_1) | instid1(VALU_DEP_1)
	v_cndmask_b32_e64 v1, 0, v1, s0
	v_cmp_gt_i32_e64 s0, s33, v43
	v_cndmask_b32_e64 v8, 0, v8, s0
	v_cmp_gt_i32_e64 s0, s33, v42
	s_delay_alu instid0(VALU_DEP_1) | instskip(SKIP_1) | instid1(VALU_DEP_1)
	v_cndmask_b32_e64 v2, 0, v2, s0
	v_cmp_gt_i32_e64 s0, s33, v40
	v_cndmask_b32_e64 v49, 0, v49, s0
	;; [unrolled: 5-line block ×4, first 2 shown]
.LBB163_75:                             ;   in Loop: Header=BB163_40 Depth=1
	s_or_b32 exec_lo, exec_lo, s10
	v_and_b32_e32 v45, 0xffff0000, v45
	v_lshlrev_b32_e32 v1, 16, v1
	s_delay_alu instid0(VALU_DEP_1) | instskip(NEXT) | instid1(VALU_DEP_1)
	v_mul_f32_e32 v1, v45, v1
	v_and_b32_e32 v7, 0x7f800000, v1
	s_delay_alu instid0(VALU_DEP_1) | instskip(NEXT) | instid1(VALU_DEP_1)
	v_cmp_ne_u32_e64 s0, 0x7f800000, v7
                                        ; implicit-def: $vgpr7
	s_and_saveexec_b32 s10, s0
	s_delay_alu instid0(SALU_CYCLE_1)
	s_xor_b32 s0, exec_lo, s10
; %bb.76:                               ;   in Loop: Header=BB163_40 Depth=1
	v_bfe_u32 v7, v1, 16, 1
	s_delay_alu instid0(VALU_DEP_1)
	v_add3_u32 v7, v1, v7, 0x7fff
                                        ; implicit-def: $vgpr1
; %bb.77:                               ;   in Loop: Header=BB163_40 Depth=1
	s_and_not1_saveexec_b32 s10, s0
; %bb.78:                               ;   in Loop: Header=BB163_40 Depth=1
	v_and_b32_e32 v7, 0xffff, v1
	v_or_b32_e32 v46, 0x10000, v1
	s_delay_alu instid0(VALU_DEP_2) | instskip(NEXT) | instid1(VALU_DEP_1)
	v_cmp_eq_u32_e64 s0, 0, v7
	v_cndmask_b32_e64 v7, v46, v1, s0
; %bb.79:                               ;   in Loop: Header=BB163_40 Depth=1
	s_or_b32 exec_lo, exec_lo, s10
	v_and_b32_e32 v46, 0xffff0000, v44
	v_lshlrev_b32_e32 v1, 16, v8
	s_delay_alu instid0(VALU_DEP_1) | instskip(NEXT) | instid1(VALU_DEP_1)
	v_mul_f32_e32 v1, v46, v1
	v_and_b32_e32 v8, 0x7f800000, v1
	s_delay_alu instid0(VALU_DEP_1) | instskip(NEXT) | instid1(VALU_DEP_1)
	v_cmp_ne_u32_e64 s0, 0x7f800000, v8
                                        ; implicit-def: $vgpr8
	s_and_saveexec_b32 s10, s0
	s_delay_alu instid0(SALU_CYCLE_1)
	s_xor_b32 s0, exec_lo, s10
; %bb.80:                               ;   in Loop: Header=BB163_40 Depth=1
	v_bfe_u32 v8, v1, 16, 1
	s_delay_alu instid0(VALU_DEP_1)
	v_add3_u32 v8, v1, v8, 0x7fff
                                        ; implicit-def: $vgpr1
; %bb.81:                               ;   in Loop: Header=BB163_40 Depth=1
	s_and_not1_saveexec_b32 s10, s0
; %bb.82:                               ;   in Loop: Header=BB163_40 Depth=1
	v_and_b32_e32 v8, 0xffff, v1
	v_or_b32_e32 v44, 0x10000, v1
	s_delay_alu instid0(VALU_DEP_2) | instskip(NEXT) | instid1(VALU_DEP_1)
	v_cmp_eq_u32_e64 s0, 0, v8
	v_cndmask_b32_e64 v8, v44, v1, s0
; %bb.83:                               ;   in Loop: Header=BB163_40 Depth=1
	s_or_b32 exec_lo, exec_lo, s10
	v_and_b32_e32 v47, 0xffff0000, v30
	v_lshlrev_b32_e32 v1, 16, v2
                                        ; implicit-def: $vgpr30
	s_delay_alu instid0(VALU_DEP_1) | instskip(NEXT) | instid1(VALU_DEP_1)
	v_mul_f32_e32 v1, v47, v1
	v_and_b32_e32 v2, 0x7f800000, v1
	s_delay_alu instid0(VALU_DEP_1) | instskip(NEXT) | instid1(VALU_DEP_1)
	v_cmp_ne_u32_e64 s0, 0x7f800000, v2
	s_and_saveexec_b32 s10, s0
	s_delay_alu instid0(SALU_CYCLE_1)
	s_xor_b32 s0, exec_lo, s10
; %bb.84:                               ;   in Loop: Header=BB163_40 Depth=1
	v_bfe_u32 v2, v1, 16, 1
	s_delay_alu instid0(VALU_DEP_1)
	v_add3_u32 v30, v1, v2, 0x7fff
                                        ; implicit-def: $vgpr1
; %bb.85:                               ;   in Loop: Header=BB163_40 Depth=1
	s_and_not1_saveexec_b32 s10, s0
; %bb.86:                               ;   in Loop: Header=BB163_40 Depth=1
	v_and_b32_e32 v2, 0xffff, v1
	v_or_b32_e32 v30, 0x10000, v1
	s_delay_alu instid0(VALU_DEP_2) | instskip(NEXT) | instid1(VALU_DEP_1)
	v_cmp_eq_u32_e64 s0, 0, v2
	v_cndmask_b32_e64 v30, v30, v1, s0
; %bb.87:                               ;   in Loop: Header=BB163_40 Depth=1
	s_or_b32 exec_lo, exec_lo, s10
	v_and_b32_e32 v48, 0xffff0000, v31
	v_lshlrev_b32_e32 v1, 16, v49
                                        ; implicit-def: $vgpr31
	s_delay_alu instid0(VALU_DEP_1) | instskip(NEXT) | instid1(VALU_DEP_1)
	v_mul_f32_e32 v1, v48, v1
	v_and_b32_e32 v2, 0x7f800000, v1
	s_delay_alu instid0(VALU_DEP_1) | instskip(NEXT) | instid1(VALU_DEP_1)
	v_cmp_ne_u32_e64 s0, 0x7f800000, v2
	s_and_saveexec_b32 s10, s0
	s_delay_alu instid0(SALU_CYCLE_1)
	s_xor_b32 s0, exec_lo, s10
; %bb.88:                               ;   in Loop: Header=BB163_40 Depth=1
	v_bfe_u32 v2, v1, 16, 1
	s_delay_alu instid0(VALU_DEP_1)
	v_add3_u32 v31, v1, v2, 0x7fff
                                        ; implicit-def: $vgpr1
; %bb.89:                               ;   in Loop: Header=BB163_40 Depth=1
	s_and_not1_saveexec_b32 s10, s0
; %bb.90:                               ;   in Loop: Header=BB163_40 Depth=1
	v_and_b32_e32 v2, 0xffff, v1
	v_or_b32_e32 v31, 0x10000, v1
	s_delay_alu instid0(VALU_DEP_2) | instskip(NEXT) | instid1(VALU_DEP_1)
	v_cmp_eq_u32_e64 s0, 0, v2
	v_cndmask_b32_e64 v31, v31, v1, s0
; %bb.91:                               ;   in Loop: Header=BB163_40 Depth=1
	s_or_b32 exec_lo, exec_lo, s10
	v_and_b32_e32 v49, 0xffff0000, v32
	v_lshlrev_b32_e32 v1, 16, v3
                                        ; implicit-def: $vgpr32
	s_delay_alu instid0(VALU_DEP_1) | instskip(NEXT) | instid1(VALU_DEP_1)
	v_mul_f32_e32 v1, v49, v1
	v_and_b32_e32 v2, 0x7f800000, v1
	s_delay_alu instid0(VALU_DEP_1) | instskip(NEXT) | instid1(VALU_DEP_1)
	v_cmp_ne_u32_e64 s0, 0x7f800000, v2
	s_and_saveexec_b32 s10, s0
	s_delay_alu instid0(SALU_CYCLE_1)
	s_xor_b32 s0, exec_lo, s10
; %bb.92:                               ;   in Loop: Header=BB163_40 Depth=1
	v_bfe_u32 v2, v1, 16, 1
	s_delay_alu instid0(VALU_DEP_1)
	v_add3_u32 v32, v1, v2, 0x7fff
                                        ; implicit-def: $vgpr1
; %bb.93:                               ;   in Loop: Header=BB163_40 Depth=1
	s_and_not1_saveexec_b32 s10, s0
; %bb.94:                               ;   in Loop: Header=BB163_40 Depth=1
	v_and_b32_e32 v2, 0xffff, v1
	v_or_b32_e32 v3, 0x10000, v1
	s_delay_alu instid0(VALU_DEP_2) | instskip(NEXT) | instid1(VALU_DEP_1)
	v_cmp_eq_u32_e64 s0, 0, v2
	v_cndmask_b32_e64 v32, v3, v1, s0
; %bb.95:                               ;   in Loop: Header=BB163_40 Depth=1
	s_or_b32 exec_lo, exec_lo, s10
	v_and_b32_e32 v50, 0xffff0000, v33
	v_lshlrev_b32_e32 v1, 16, v51
                                        ; implicit-def: $vgpr33
	s_delay_alu instid0(VALU_DEP_1) | instskip(NEXT) | instid1(VALU_DEP_1)
	v_mul_f32_e32 v1, v50, v1
	v_and_b32_e32 v2, 0x7f800000, v1
	s_delay_alu instid0(VALU_DEP_1) | instskip(NEXT) | instid1(VALU_DEP_1)
	v_cmp_ne_u32_e64 s0, 0x7f800000, v2
	s_and_saveexec_b32 s10, s0
	s_delay_alu instid0(SALU_CYCLE_1)
	s_xor_b32 s0, exec_lo, s10
; %bb.96:                               ;   in Loop: Header=BB163_40 Depth=1
	v_bfe_u32 v2, v1, 16, 1
	s_delay_alu instid0(VALU_DEP_1)
	v_add3_u32 v33, v1, v2, 0x7fff
                                        ; implicit-def: $vgpr1
; %bb.97:                               ;   in Loop: Header=BB163_40 Depth=1
	s_and_not1_saveexec_b32 s10, s0
; %bb.98:                               ;   in Loop: Header=BB163_40 Depth=1
	v_and_b32_e32 v2, 0xffff, v1
	v_or_b32_e32 v3, 0x10000, v1
	s_delay_alu instid0(VALU_DEP_2) | instskip(NEXT) | instid1(VALU_DEP_1)
	v_cmp_eq_u32_e64 s0, 0, v2
	v_cndmask_b32_e64 v33, v3, v1, s0
; %bb.99:                               ;   in Loop: Header=BB163_40 Depth=1
	s_or_b32 exec_lo, exec_lo, s10
	v_and_b32_e32 v51, 0xffff0000, v34
	v_lshlrev_b32_e32 v1, 16, v4
                                        ; implicit-def: $vgpr34
	s_delay_alu instid0(VALU_DEP_1) | instskip(NEXT) | instid1(VALU_DEP_1)
	v_mul_f32_e32 v1, v51, v1
	v_and_b32_e32 v2, 0x7f800000, v1
	s_delay_alu instid0(VALU_DEP_1) | instskip(NEXT) | instid1(VALU_DEP_1)
	v_cmp_ne_u32_e64 s0, 0x7f800000, v2
	s_and_saveexec_b32 s10, s0
	s_delay_alu instid0(SALU_CYCLE_1)
	s_xor_b32 s0, exec_lo, s10
; %bb.100:                              ;   in Loop: Header=BB163_40 Depth=1
	v_bfe_u32 v2, v1, 16, 1
	s_delay_alu instid0(VALU_DEP_1)
	v_add3_u32 v34, v1, v2, 0x7fff
                                        ; implicit-def: $vgpr1
; %bb.101:                              ;   in Loop: Header=BB163_40 Depth=1
	s_and_not1_saveexec_b32 s10, s0
; %bb.102:                              ;   in Loop: Header=BB163_40 Depth=1
	v_and_b32_e32 v2, 0xffff, v1
	v_or_b32_e32 v3, 0x10000, v1
	s_delay_alu instid0(VALU_DEP_2) | instskip(NEXT) | instid1(VALU_DEP_1)
	v_cmp_eq_u32_e64 s0, 0, v2
	v_cndmask_b32_e64 v34, v3, v1, s0
; %bb.103:                              ;   in Loop: Header=BB163_40 Depth=1
	s_or_b32 exec_lo, exec_lo, s10
	v_and_b32_e32 v52, 0xffff0000, v35
	v_lshlrev_b32_e32 v1, 16, v53
                                        ; implicit-def: $vgpr35
	s_delay_alu instid0(VALU_DEP_1) | instskip(NEXT) | instid1(VALU_DEP_1)
	v_mul_f32_e32 v1, v52, v1
	v_and_b32_e32 v2, 0x7f800000, v1
	s_delay_alu instid0(VALU_DEP_1) | instskip(NEXT) | instid1(VALU_DEP_1)
	v_cmp_ne_u32_e64 s0, 0x7f800000, v2
	s_and_saveexec_b32 s10, s0
	s_delay_alu instid0(SALU_CYCLE_1)
	s_xor_b32 s0, exec_lo, s10
; %bb.104:                              ;   in Loop: Header=BB163_40 Depth=1
	v_bfe_u32 v2, v1, 16, 1
	s_delay_alu instid0(VALU_DEP_1)
	v_add3_u32 v35, v1, v2, 0x7fff
                                        ; implicit-def: $vgpr1
; %bb.105:                              ;   in Loop: Header=BB163_40 Depth=1
	s_and_not1_saveexec_b32 s10, s0
; %bb.106:                              ;   in Loop: Header=BB163_40 Depth=1
	v_and_b32_e32 v2, 0xffff, v1
	v_or_b32_e32 v3, 0x10000, v1
	s_delay_alu instid0(VALU_DEP_2) | instskip(NEXT) | instid1(VALU_DEP_1)
	v_cmp_eq_u32_e64 s0, 0, v2
	v_cndmask_b32_e64 v35, v3, v1, s0
; %bb.107:                              ;   in Loop: Header=BB163_40 Depth=1
	s_or_b32 exec_lo, exec_lo, s10
	global_load_b128 v[1:4], v[5:6], off offset:512
	s_waitcnt vmcnt(0)
	v_lshrrev_b32_e32 v53, 16, v1
	v_lshrrev_b32_e32 v55, 16, v2
	v_lshrrev_b32_e32 v57, 16, v3
	v_lshrrev_b32_e32 v59, 16, v4
	s_and_saveexec_b32 s10, vcc_lo
	s_cbranch_execz .LBB163_109
; %bb.108:                              ;   in Loop: Header=BB163_40 Depth=1
	v_cmp_gt_i32_e64 s0, s33, v36
	s_delay_alu instid0(VALU_DEP_1) | instskip(SKIP_1) | instid1(VALU_DEP_1)
	v_cndmask_b32_e64 v1, 0, v1, s0
	v_cmp_gt_i32_e64 s0, s33, v43
	v_cndmask_b32_e64 v53, 0, v53, s0
	v_cmp_gt_i32_e64 s0, s33, v42
	s_delay_alu instid0(VALU_DEP_1) | instskip(SKIP_1) | instid1(VALU_DEP_1)
	v_cndmask_b32_e64 v2, 0, v2, s0
	v_cmp_gt_i32_e64 s0, s33, v40
	v_cndmask_b32_e64 v55, 0, v55, s0
	;; [unrolled: 5-line block ×4, first 2 shown]
.LBB163_109:                            ;   in Loop: Header=BB163_40 Depth=1
	s_or_b32 exec_lo, exec_lo, s10
	v_lshlrev_b32_e32 v1, 16, v1
	s_delay_alu instid0(VALU_DEP_1) | instskip(NEXT) | instid1(VALU_DEP_1)
	v_mul_f32_e32 v1, v45, v1
	v_and_b32_e32 v44, 0x7f800000, v1
	s_delay_alu instid0(VALU_DEP_1) | instskip(NEXT) | instid1(VALU_DEP_1)
	v_cmp_ne_u32_e64 s0, 0x7f800000, v44
                                        ; implicit-def: $vgpr44
	s_and_saveexec_b32 s10, s0
	s_delay_alu instid0(SALU_CYCLE_1)
	s_xor_b32 s0, exec_lo, s10
; %bb.110:                              ;   in Loop: Header=BB163_40 Depth=1
	v_bfe_u32 v44, v1, 16, 1
	s_delay_alu instid0(VALU_DEP_1)
	v_add3_u32 v44, v1, v44, 0x7fff
                                        ; implicit-def: $vgpr1
; %bb.111:                              ;   in Loop: Header=BB163_40 Depth=1
	s_and_not1_saveexec_b32 s10, s0
; %bb.112:                              ;   in Loop: Header=BB163_40 Depth=1
	v_and_b32_e32 v44, 0xffff, v1
	v_or_b32_e32 v54, 0x10000, v1
	s_delay_alu instid0(VALU_DEP_2) | instskip(NEXT) | instid1(VALU_DEP_1)
	v_cmp_eq_u32_e64 s0, 0, v44
	v_cndmask_b32_e64 v44, v54, v1, s0
; %bb.113:                              ;   in Loop: Header=BB163_40 Depth=1
	s_or_b32 exec_lo, exec_lo, s10
	v_lshlrev_b32_e32 v1, 16, v53
	s_delay_alu instid0(VALU_DEP_1) | instskip(NEXT) | instid1(VALU_DEP_1)
	v_mul_f32_e32 v1, v46, v1
	v_and_b32_e32 v53, 0x7f800000, v1
	s_delay_alu instid0(VALU_DEP_1) | instskip(NEXT) | instid1(VALU_DEP_1)
	v_cmp_ne_u32_e64 s0, 0x7f800000, v53
                                        ; implicit-def: $vgpr53
	s_and_saveexec_b32 s10, s0
	s_delay_alu instid0(SALU_CYCLE_1)
	s_xor_b32 s0, exec_lo, s10
; %bb.114:                              ;   in Loop: Header=BB163_40 Depth=1
	v_bfe_u32 v53, v1, 16, 1
	s_delay_alu instid0(VALU_DEP_1)
	v_add3_u32 v53, v1, v53, 0x7fff
                                        ; implicit-def: $vgpr1
; %bb.115:                              ;   in Loop: Header=BB163_40 Depth=1
	s_and_not1_saveexec_b32 s10, s0
; %bb.116:                              ;   in Loop: Header=BB163_40 Depth=1
	v_and_b32_e32 v53, 0xffff, v1
	v_or_b32_e32 v54, 0x10000, v1
	s_delay_alu instid0(VALU_DEP_2) | instskip(NEXT) | instid1(VALU_DEP_1)
	v_cmp_eq_u32_e64 s0, 0, v53
	v_cndmask_b32_e64 v53, v54, v1, s0
; %bb.117:                              ;   in Loop: Header=BB163_40 Depth=1
	s_or_b32 exec_lo, exec_lo, s10
	v_lshlrev_b32_e32 v1, 16, v2
                                        ; implicit-def: $vgpr54
	s_delay_alu instid0(VALU_DEP_1) | instskip(NEXT) | instid1(VALU_DEP_1)
	v_mul_f32_e32 v1, v47, v1
	v_and_b32_e32 v2, 0x7f800000, v1
	s_delay_alu instid0(VALU_DEP_1) | instskip(NEXT) | instid1(VALU_DEP_1)
	v_cmp_ne_u32_e64 s0, 0x7f800000, v2
	s_and_saveexec_b32 s10, s0
	s_delay_alu instid0(SALU_CYCLE_1)
	s_xor_b32 s0, exec_lo, s10
; %bb.118:                              ;   in Loop: Header=BB163_40 Depth=1
	v_bfe_u32 v2, v1, 16, 1
	s_delay_alu instid0(VALU_DEP_1)
	v_add3_u32 v54, v1, v2, 0x7fff
                                        ; implicit-def: $vgpr1
; %bb.119:                              ;   in Loop: Header=BB163_40 Depth=1
	s_and_not1_saveexec_b32 s10, s0
; %bb.120:                              ;   in Loop: Header=BB163_40 Depth=1
	v_and_b32_e32 v2, 0xffff, v1
	v_or_b32_e32 v54, 0x10000, v1
	s_delay_alu instid0(VALU_DEP_2) | instskip(NEXT) | instid1(VALU_DEP_1)
	v_cmp_eq_u32_e64 s0, 0, v2
	v_cndmask_b32_e64 v54, v54, v1, s0
; %bb.121:                              ;   in Loop: Header=BB163_40 Depth=1
	s_or_b32 exec_lo, exec_lo, s10
	v_lshlrev_b32_e32 v1, 16, v55
                                        ; implicit-def: $vgpr55
	s_delay_alu instid0(VALU_DEP_1) | instskip(NEXT) | instid1(VALU_DEP_1)
	v_mul_f32_e32 v1, v48, v1
	v_and_b32_e32 v2, 0x7f800000, v1
	s_delay_alu instid0(VALU_DEP_1) | instskip(NEXT) | instid1(VALU_DEP_1)
	v_cmp_ne_u32_e64 s0, 0x7f800000, v2
	s_and_saveexec_b32 s10, s0
	s_delay_alu instid0(SALU_CYCLE_1)
	s_xor_b32 s0, exec_lo, s10
; %bb.122:                              ;   in Loop: Header=BB163_40 Depth=1
	v_bfe_u32 v2, v1, 16, 1
	s_delay_alu instid0(VALU_DEP_1)
	v_add3_u32 v55, v1, v2, 0x7fff
                                        ; implicit-def: $vgpr1
; %bb.123:                              ;   in Loop: Header=BB163_40 Depth=1
	s_and_not1_saveexec_b32 s10, s0
; %bb.124:                              ;   in Loop: Header=BB163_40 Depth=1
	v_and_b32_e32 v2, 0xffff, v1
	v_or_b32_e32 v55, 0x10000, v1
	s_delay_alu instid0(VALU_DEP_2) | instskip(NEXT) | instid1(VALU_DEP_1)
	v_cmp_eq_u32_e64 s0, 0, v2
	v_cndmask_b32_e64 v55, v55, v1, s0
; %bb.125:                              ;   in Loop: Header=BB163_40 Depth=1
	s_or_b32 exec_lo, exec_lo, s10
	v_lshlrev_b32_e32 v1, 16, v3
                                        ; implicit-def: $vgpr56
	s_delay_alu instid0(VALU_DEP_1) | instskip(NEXT) | instid1(VALU_DEP_1)
	v_mul_f32_e32 v1, v49, v1
	v_and_b32_e32 v2, 0x7f800000, v1
	s_delay_alu instid0(VALU_DEP_1) | instskip(NEXT) | instid1(VALU_DEP_1)
	v_cmp_ne_u32_e64 s0, 0x7f800000, v2
	s_and_saveexec_b32 s10, s0
	s_delay_alu instid0(SALU_CYCLE_1)
	s_xor_b32 s0, exec_lo, s10
; %bb.126:                              ;   in Loop: Header=BB163_40 Depth=1
	v_bfe_u32 v2, v1, 16, 1
	s_delay_alu instid0(VALU_DEP_1)
	v_add3_u32 v56, v1, v2, 0x7fff
                                        ; implicit-def: $vgpr1
; %bb.127:                              ;   in Loop: Header=BB163_40 Depth=1
	s_and_not1_saveexec_b32 s10, s0
; %bb.128:                              ;   in Loop: Header=BB163_40 Depth=1
	v_and_b32_e32 v2, 0xffff, v1
	v_or_b32_e32 v3, 0x10000, v1
	s_delay_alu instid0(VALU_DEP_2) | instskip(NEXT) | instid1(VALU_DEP_1)
	v_cmp_eq_u32_e64 s0, 0, v2
	v_cndmask_b32_e64 v56, v3, v1, s0
; %bb.129:                              ;   in Loop: Header=BB163_40 Depth=1
	s_or_b32 exec_lo, exec_lo, s10
	v_lshlrev_b32_e32 v1, 16, v57
                                        ; implicit-def: $vgpr57
	s_delay_alu instid0(VALU_DEP_1) | instskip(NEXT) | instid1(VALU_DEP_1)
	v_mul_f32_e32 v1, v50, v1
	v_and_b32_e32 v2, 0x7f800000, v1
	s_delay_alu instid0(VALU_DEP_1) | instskip(NEXT) | instid1(VALU_DEP_1)
	v_cmp_ne_u32_e64 s0, 0x7f800000, v2
	s_and_saveexec_b32 s10, s0
	s_delay_alu instid0(SALU_CYCLE_1)
	s_xor_b32 s0, exec_lo, s10
; %bb.130:                              ;   in Loop: Header=BB163_40 Depth=1
	v_bfe_u32 v2, v1, 16, 1
	s_delay_alu instid0(VALU_DEP_1)
	v_add3_u32 v57, v1, v2, 0x7fff
                                        ; implicit-def: $vgpr1
; %bb.131:                              ;   in Loop: Header=BB163_40 Depth=1
	s_and_not1_saveexec_b32 s10, s0
; %bb.132:                              ;   in Loop: Header=BB163_40 Depth=1
	v_and_b32_e32 v2, 0xffff, v1
	v_or_b32_e32 v3, 0x10000, v1
	s_delay_alu instid0(VALU_DEP_2) | instskip(NEXT) | instid1(VALU_DEP_1)
	v_cmp_eq_u32_e64 s0, 0, v2
	v_cndmask_b32_e64 v57, v3, v1, s0
; %bb.133:                              ;   in Loop: Header=BB163_40 Depth=1
	s_or_b32 exec_lo, exec_lo, s10
	v_lshlrev_b32_e32 v1, 16, v4
                                        ; implicit-def: $vgpr58
	s_delay_alu instid0(VALU_DEP_1) | instskip(NEXT) | instid1(VALU_DEP_1)
	v_mul_f32_e32 v1, v51, v1
	v_and_b32_e32 v2, 0x7f800000, v1
	s_delay_alu instid0(VALU_DEP_1) | instskip(NEXT) | instid1(VALU_DEP_1)
	v_cmp_ne_u32_e64 s0, 0x7f800000, v2
	s_and_saveexec_b32 s10, s0
	s_delay_alu instid0(SALU_CYCLE_1)
	s_xor_b32 s0, exec_lo, s10
; %bb.134:                              ;   in Loop: Header=BB163_40 Depth=1
	v_bfe_u32 v2, v1, 16, 1
	s_delay_alu instid0(VALU_DEP_1)
	v_add3_u32 v58, v1, v2, 0x7fff
                                        ; implicit-def: $vgpr1
; %bb.135:                              ;   in Loop: Header=BB163_40 Depth=1
	s_and_not1_saveexec_b32 s10, s0
; %bb.136:                              ;   in Loop: Header=BB163_40 Depth=1
	v_and_b32_e32 v2, 0xffff, v1
	v_or_b32_e32 v3, 0x10000, v1
	s_delay_alu instid0(VALU_DEP_2) | instskip(NEXT) | instid1(VALU_DEP_1)
	v_cmp_eq_u32_e64 s0, 0, v2
	v_cndmask_b32_e64 v58, v3, v1, s0
; %bb.137:                              ;   in Loop: Header=BB163_40 Depth=1
	s_or_b32 exec_lo, exec_lo, s10
	v_lshlrev_b32_e32 v1, 16, v59
                                        ; implicit-def: $vgpr59
	s_delay_alu instid0(VALU_DEP_1) | instskip(NEXT) | instid1(VALU_DEP_1)
	v_mul_f32_e32 v1, v52, v1
	v_and_b32_e32 v2, 0x7f800000, v1
	s_delay_alu instid0(VALU_DEP_1) | instskip(NEXT) | instid1(VALU_DEP_1)
	v_cmp_ne_u32_e64 s0, 0x7f800000, v2
	s_and_saveexec_b32 s10, s0
	s_delay_alu instid0(SALU_CYCLE_1)
	s_xor_b32 s0, exec_lo, s10
; %bb.138:                              ;   in Loop: Header=BB163_40 Depth=1
	v_bfe_u32 v2, v1, 16, 1
	s_delay_alu instid0(VALU_DEP_1)
	v_add3_u32 v59, v1, v2, 0x7fff
                                        ; implicit-def: $vgpr1
; %bb.139:                              ;   in Loop: Header=BB163_40 Depth=1
	s_and_not1_saveexec_b32 s10, s0
; %bb.140:                              ;   in Loop: Header=BB163_40 Depth=1
	v_and_b32_e32 v2, 0xffff, v1
	v_or_b32_e32 v3, 0x10000, v1
	s_delay_alu instid0(VALU_DEP_2) | instskip(NEXT) | instid1(VALU_DEP_1)
	v_cmp_eq_u32_e64 s0, 0, v2
	v_cndmask_b32_e64 v59, v3, v1, s0
; %bb.141:                              ;   in Loop: Header=BB163_40 Depth=1
	s_or_b32 exec_lo, exec_lo, s10
	global_load_b128 v[1:4], v[5:6], off offset:1024
	s_waitcnt vmcnt(0)
	v_lshrrev_b32_e32 v61, 16, v1
	v_lshrrev_b32_e32 v63, 16, v2
	;; [unrolled: 1-line block ×4, first 2 shown]
	s_and_saveexec_b32 s10, vcc_lo
	s_cbranch_execz .LBB163_143
; %bb.142:                              ;   in Loop: Header=BB163_40 Depth=1
	v_cmp_gt_i32_e64 s0, s33, v36
	s_delay_alu instid0(VALU_DEP_1) | instskip(SKIP_1) | instid1(VALU_DEP_1)
	v_cndmask_b32_e64 v1, 0, v1, s0
	v_cmp_gt_i32_e64 s0, s33, v43
	v_cndmask_b32_e64 v61, 0, v61, s0
	v_cmp_gt_i32_e64 s0, s33, v42
	s_delay_alu instid0(VALU_DEP_1) | instskip(SKIP_1) | instid1(VALU_DEP_1)
	v_cndmask_b32_e64 v2, 0, v2, s0
	v_cmp_gt_i32_e64 s0, s33, v40
	v_cndmask_b32_e64 v63, 0, v63, s0
	;; [unrolled: 5-line block ×4, first 2 shown]
.LBB163_143:                            ;   in Loop: Header=BB163_40 Depth=1
	s_or_b32 exec_lo, exec_lo, s10
	v_lshlrev_b32_e32 v1, 16, v1
	s_delay_alu instid0(VALU_DEP_1) | instskip(NEXT) | instid1(VALU_DEP_1)
	v_mul_f32_e32 v1, v45, v1
	v_and_b32_e32 v60, 0x7f800000, v1
	s_delay_alu instid0(VALU_DEP_1) | instskip(NEXT) | instid1(VALU_DEP_1)
	v_cmp_ne_u32_e64 s0, 0x7f800000, v60
                                        ; implicit-def: $vgpr60
	s_and_saveexec_b32 s10, s0
	s_delay_alu instid0(SALU_CYCLE_1)
	s_xor_b32 s0, exec_lo, s10
; %bb.144:                              ;   in Loop: Header=BB163_40 Depth=1
	v_bfe_u32 v60, v1, 16, 1
	s_delay_alu instid0(VALU_DEP_1)
	v_add3_u32 v60, v1, v60, 0x7fff
                                        ; implicit-def: $vgpr1
; %bb.145:                              ;   in Loop: Header=BB163_40 Depth=1
	s_and_not1_saveexec_b32 s10, s0
; %bb.146:                              ;   in Loop: Header=BB163_40 Depth=1
	v_and_b32_e32 v60, 0xffff, v1
	v_or_b32_e32 v62, 0x10000, v1
	s_delay_alu instid0(VALU_DEP_2) | instskip(NEXT) | instid1(VALU_DEP_1)
	v_cmp_eq_u32_e64 s0, 0, v60
	v_cndmask_b32_e64 v60, v62, v1, s0
; %bb.147:                              ;   in Loop: Header=BB163_40 Depth=1
	s_or_b32 exec_lo, exec_lo, s10
	v_lshlrev_b32_e32 v1, 16, v61
	s_delay_alu instid0(VALU_DEP_1) | instskip(NEXT) | instid1(VALU_DEP_1)
	v_mul_f32_e32 v1, v46, v1
	v_and_b32_e32 v61, 0x7f800000, v1
	s_delay_alu instid0(VALU_DEP_1) | instskip(NEXT) | instid1(VALU_DEP_1)
	v_cmp_ne_u32_e64 s0, 0x7f800000, v61
                                        ; implicit-def: $vgpr61
	s_and_saveexec_b32 s10, s0
	s_delay_alu instid0(SALU_CYCLE_1)
	s_xor_b32 s0, exec_lo, s10
; %bb.148:                              ;   in Loop: Header=BB163_40 Depth=1
	v_bfe_u32 v61, v1, 16, 1
	s_delay_alu instid0(VALU_DEP_1)
	v_add3_u32 v61, v1, v61, 0x7fff
                                        ; implicit-def: $vgpr1
; %bb.149:                              ;   in Loop: Header=BB163_40 Depth=1
	s_and_not1_saveexec_b32 s10, s0
; %bb.150:                              ;   in Loop: Header=BB163_40 Depth=1
	v_and_b32_e32 v61, 0xffff, v1
	v_or_b32_e32 v62, 0x10000, v1
	s_delay_alu instid0(VALU_DEP_2) | instskip(NEXT) | instid1(VALU_DEP_1)
	v_cmp_eq_u32_e64 s0, 0, v61
	v_cndmask_b32_e64 v61, v62, v1, s0
; %bb.151:                              ;   in Loop: Header=BB163_40 Depth=1
	s_or_b32 exec_lo, exec_lo, s10
	v_lshlrev_b32_e32 v1, 16, v2
                                        ; implicit-def: $vgpr62
	s_delay_alu instid0(VALU_DEP_1) | instskip(NEXT) | instid1(VALU_DEP_1)
	v_mul_f32_e32 v1, v47, v1
	v_and_b32_e32 v2, 0x7f800000, v1
	s_delay_alu instid0(VALU_DEP_1) | instskip(NEXT) | instid1(VALU_DEP_1)
	v_cmp_ne_u32_e64 s0, 0x7f800000, v2
	s_and_saveexec_b32 s10, s0
	s_delay_alu instid0(SALU_CYCLE_1)
	s_xor_b32 s0, exec_lo, s10
; %bb.152:                              ;   in Loop: Header=BB163_40 Depth=1
	v_bfe_u32 v2, v1, 16, 1
	s_delay_alu instid0(VALU_DEP_1)
	v_add3_u32 v62, v1, v2, 0x7fff
                                        ; implicit-def: $vgpr1
; %bb.153:                              ;   in Loop: Header=BB163_40 Depth=1
	s_and_not1_saveexec_b32 s10, s0
; %bb.154:                              ;   in Loop: Header=BB163_40 Depth=1
	v_and_b32_e32 v2, 0xffff, v1
	v_or_b32_e32 v62, 0x10000, v1
	s_delay_alu instid0(VALU_DEP_2) | instskip(NEXT) | instid1(VALU_DEP_1)
	v_cmp_eq_u32_e64 s0, 0, v2
	v_cndmask_b32_e64 v62, v62, v1, s0
; %bb.155:                              ;   in Loop: Header=BB163_40 Depth=1
	s_or_b32 exec_lo, exec_lo, s10
	v_lshlrev_b32_e32 v1, 16, v63
                                        ; implicit-def: $vgpr63
	s_delay_alu instid0(VALU_DEP_1) | instskip(NEXT) | instid1(VALU_DEP_1)
	v_mul_f32_e32 v1, v48, v1
	v_and_b32_e32 v2, 0x7f800000, v1
	s_delay_alu instid0(VALU_DEP_1) | instskip(NEXT) | instid1(VALU_DEP_1)
	v_cmp_ne_u32_e64 s0, 0x7f800000, v2
	s_and_saveexec_b32 s10, s0
	s_delay_alu instid0(SALU_CYCLE_1)
	s_xor_b32 s0, exec_lo, s10
; %bb.156:                              ;   in Loop: Header=BB163_40 Depth=1
	v_bfe_u32 v2, v1, 16, 1
	s_delay_alu instid0(VALU_DEP_1)
	v_add3_u32 v63, v1, v2, 0x7fff
                                        ; implicit-def: $vgpr1
; %bb.157:                              ;   in Loop: Header=BB163_40 Depth=1
	s_and_not1_saveexec_b32 s10, s0
; %bb.158:                              ;   in Loop: Header=BB163_40 Depth=1
	v_and_b32_e32 v2, 0xffff, v1
	v_or_b32_e32 v63, 0x10000, v1
	s_delay_alu instid0(VALU_DEP_2) | instskip(NEXT) | instid1(VALU_DEP_1)
	v_cmp_eq_u32_e64 s0, 0, v2
	v_cndmask_b32_e64 v63, v63, v1, s0
; %bb.159:                              ;   in Loop: Header=BB163_40 Depth=1
	s_or_b32 exec_lo, exec_lo, s10
	v_lshlrev_b32_e32 v1, 16, v3
                                        ; implicit-def: $vgpr64
	s_delay_alu instid0(VALU_DEP_1) | instskip(NEXT) | instid1(VALU_DEP_1)
	v_mul_f32_e32 v1, v49, v1
	v_and_b32_e32 v2, 0x7f800000, v1
	s_delay_alu instid0(VALU_DEP_1) | instskip(NEXT) | instid1(VALU_DEP_1)
	v_cmp_ne_u32_e64 s0, 0x7f800000, v2
	s_and_saveexec_b32 s10, s0
	s_delay_alu instid0(SALU_CYCLE_1)
	s_xor_b32 s0, exec_lo, s10
; %bb.160:                              ;   in Loop: Header=BB163_40 Depth=1
	v_bfe_u32 v2, v1, 16, 1
	s_delay_alu instid0(VALU_DEP_1)
	v_add3_u32 v64, v1, v2, 0x7fff
                                        ; implicit-def: $vgpr1
; %bb.161:                              ;   in Loop: Header=BB163_40 Depth=1
	s_and_not1_saveexec_b32 s10, s0
; %bb.162:                              ;   in Loop: Header=BB163_40 Depth=1
	v_and_b32_e32 v2, 0xffff, v1
	v_or_b32_e32 v3, 0x10000, v1
	s_delay_alu instid0(VALU_DEP_2) | instskip(NEXT) | instid1(VALU_DEP_1)
	v_cmp_eq_u32_e64 s0, 0, v2
	v_cndmask_b32_e64 v64, v3, v1, s0
; %bb.163:                              ;   in Loop: Header=BB163_40 Depth=1
	s_or_b32 exec_lo, exec_lo, s10
	v_lshlrev_b32_e32 v1, 16, v65
                                        ; implicit-def: $vgpr65
	s_delay_alu instid0(VALU_DEP_1) | instskip(NEXT) | instid1(VALU_DEP_1)
	v_mul_f32_e32 v1, v50, v1
	v_and_b32_e32 v2, 0x7f800000, v1
	s_delay_alu instid0(VALU_DEP_1) | instskip(NEXT) | instid1(VALU_DEP_1)
	v_cmp_ne_u32_e64 s0, 0x7f800000, v2
	s_and_saveexec_b32 s10, s0
	s_delay_alu instid0(SALU_CYCLE_1)
	s_xor_b32 s0, exec_lo, s10
; %bb.164:                              ;   in Loop: Header=BB163_40 Depth=1
	v_bfe_u32 v2, v1, 16, 1
	s_delay_alu instid0(VALU_DEP_1)
	v_add3_u32 v65, v1, v2, 0x7fff
                                        ; implicit-def: $vgpr1
; %bb.165:                              ;   in Loop: Header=BB163_40 Depth=1
	s_and_not1_saveexec_b32 s10, s0
; %bb.166:                              ;   in Loop: Header=BB163_40 Depth=1
	v_and_b32_e32 v2, 0xffff, v1
	v_or_b32_e32 v3, 0x10000, v1
	s_delay_alu instid0(VALU_DEP_2) | instskip(NEXT) | instid1(VALU_DEP_1)
	v_cmp_eq_u32_e64 s0, 0, v2
	v_cndmask_b32_e64 v65, v3, v1, s0
; %bb.167:                              ;   in Loop: Header=BB163_40 Depth=1
	s_or_b32 exec_lo, exec_lo, s10
	v_lshlrev_b32_e32 v1, 16, v4
                                        ; implicit-def: $vgpr66
	s_delay_alu instid0(VALU_DEP_1) | instskip(NEXT) | instid1(VALU_DEP_1)
	v_mul_f32_e32 v1, v51, v1
	v_and_b32_e32 v2, 0x7f800000, v1
	s_delay_alu instid0(VALU_DEP_1) | instskip(NEXT) | instid1(VALU_DEP_1)
	v_cmp_ne_u32_e64 s0, 0x7f800000, v2
	s_and_saveexec_b32 s10, s0
	s_delay_alu instid0(SALU_CYCLE_1)
	s_xor_b32 s0, exec_lo, s10
; %bb.168:                              ;   in Loop: Header=BB163_40 Depth=1
	v_bfe_u32 v2, v1, 16, 1
	s_delay_alu instid0(VALU_DEP_1)
	v_add3_u32 v66, v1, v2, 0x7fff
                                        ; implicit-def: $vgpr1
; %bb.169:                              ;   in Loop: Header=BB163_40 Depth=1
	s_and_not1_saveexec_b32 s10, s0
; %bb.170:                              ;   in Loop: Header=BB163_40 Depth=1
	v_and_b32_e32 v2, 0xffff, v1
	v_or_b32_e32 v3, 0x10000, v1
	s_delay_alu instid0(VALU_DEP_2) | instskip(NEXT) | instid1(VALU_DEP_1)
	v_cmp_eq_u32_e64 s0, 0, v2
	v_cndmask_b32_e64 v66, v3, v1, s0
; %bb.171:                              ;   in Loop: Header=BB163_40 Depth=1
	s_or_b32 exec_lo, exec_lo, s10
	v_lshlrev_b32_e32 v1, 16, v67
                                        ; implicit-def: $vgpr67
	s_delay_alu instid0(VALU_DEP_1) | instskip(NEXT) | instid1(VALU_DEP_1)
	v_mul_f32_e32 v1, v52, v1
	v_and_b32_e32 v2, 0x7f800000, v1
	s_delay_alu instid0(VALU_DEP_1) | instskip(NEXT) | instid1(VALU_DEP_1)
	v_cmp_ne_u32_e64 s0, 0x7f800000, v2
	s_and_saveexec_b32 s10, s0
	s_delay_alu instid0(SALU_CYCLE_1)
	s_xor_b32 s0, exec_lo, s10
; %bb.172:                              ;   in Loop: Header=BB163_40 Depth=1
	v_bfe_u32 v2, v1, 16, 1
	s_delay_alu instid0(VALU_DEP_1)
	v_add3_u32 v67, v1, v2, 0x7fff
                                        ; implicit-def: $vgpr1
; %bb.173:                              ;   in Loop: Header=BB163_40 Depth=1
	s_and_not1_saveexec_b32 s10, s0
; %bb.174:                              ;   in Loop: Header=BB163_40 Depth=1
	v_and_b32_e32 v2, 0xffff, v1
	v_or_b32_e32 v3, 0x10000, v1
	s_delay_alu instid0(VALU_DEP_2) | instskip(NEXT) | instid1(VALU_DEP_1)
	v_cmp_eq_u32_e64 s0, 0, v2
	v_cndmask_b32_e64 v67, v3, v1, s0
; %bb.175:                              ;   in Loop: Header=BB163_40 Depth=1
	s_or_b32 exec_lo, exec_lo, s10
	global_load_b128 v[1:4], v[5:6], off offset:1536
	s_waitcnt vmcnt(0)
	v_lshrrev_b32_e32 v69, 16, v1
	v_lshrrev_b32_e32 v71, 16, v2
	v_lshrrev_b32_e32 v73, 16, v3
	v_lshrrev_b32_e32 v75, 16, v4
	s_and_saveexec_b32 s10, vcc_lo
	s_cbranch_execz .LBB163_177
; %bb.176:                              ;   in Loop: Header=BB163_40 Depth=1
	v_cmp_gt_i32_e64 s0, s33, v36
	s_delay_alu instid0(VALU_DEP_1) | instskip(SKIP_1) | instid1(VALU_DEP_1)
	v_cndmask_b32_e64 v1, 0, v1, s0
	v_cmp_gt_i32_e64 s0, s33, v43
	v_cndmask_b32_e64 v69, 0, v69, s0
	v_cmp_gt_i32_e64 s0, s33, v42
	s_delay_alu instid0(VALU_DEP_1) | instskip(SKIP_1) | instid1(VALU_DEP_1)
	v_cndmask_b32_e64 v2, 0, v2, s0
	v_cmp_gt_i32_e64 s0, s33, v40
	v_cndmask_b32_e64 v71, 0, v71, s0
	;; [unrolled: 5-line block ×4, first 2 shown]
.LBB163_177:                            ;   in Loop: Header=BB163_40 Depth=1
	s_or_b32 exec_lo, exec_lo, s10
	v_lshlrev_b32_e32 v1, 16, v1
	s_delay_alu instid0(VALU_DEP_1) | instskip(NEXT) | instid1(VALU_DEP_1)
	v_mul_f32_e32 v1, v45, v1
	v_and_b32_e32 v68, 0x7f800000, v1
	s_delay_alu instid0(VALU_DEP_1) | instskip(NEXT) | instid1(VALU_DEP_1)
	v_cmp_ne_u32_e64 s0, 0x7f800000, v68
                                        ; implicit-def: $vgpr68
	s_and_saveexec_b32 s10, s0
	s_delay_alu instid0(SALU_CYCLE_1)
	s_xor_b32 s0, exec_lo, s10
; %bb.178:                              ;   in Loop: Header=BB163_40 Depth=1
	v_bfe_u32 v68, v1, 16, 1
	s_delay_alu instid0(VALU_DEP_1)
	v_add3_u32 v68, v1, v68, 0x7fff
                                        ; implicit-def: $vgpr1
; %bb.179:                              ;   in Loop: Header=BB163_40 Depth=1
	s_and_not1_saveexec_b32 s10, s0
; %bb.180:                              ;   in Loop: Header=BB163_40 Depth=1
	v_and_b32_e32 v68, 0xffff, v1
	v_or_b32_e32 v70, 0x10000, v1
	s_delay_alu instid0(VALU_DEP_2) | instskip(NEXT) | instid1(VALU_DEP_1)
	v_cmp_eq_u32_e64 s0, 0, v68
	v_cndmask_b32_e64 v68, v70, v1, s0
; %bb.181:                              ;   in Loop: Header=BB163_40 Depth=1
	s_or_b32 exec_lo, exec_lo, s10
	v_lshlrev_b32_e32 v1, 16, v69
	s_delay_alu instid0(VALU_DEP_1) | instskip(NEXT) | instid1(VALU_DEP_1)
	v_mul_f32_e32 v1, v46, v1
	v_and_b32_e32 v69, 0x7f800000, v1
	s_delay_alu instid0(VALU_DEP_1) | instskip(NEXT) | instid1(VALU_DEP_1)
	v_cmp_ne_u32_e64 s0, 0x7f800000, v69
                                        ; implicit-def: $vgpr69
	s_and_saveexec_b32 s10, s0
	s_delay_alu instid0(SALU_CYCLE_1)
	s_xor_b32 s0, exec_lo, s10
; %bb.182:                              ;   in Loop: Header=BB163_40 Depth=1
	v_bfe_u32 v69, v1, 16, 1
	s_delay_alu instid0(VALU_DEP_1)
	v_add3_u32 v69, v1, v69, 0x7fff
                                        ; implicit-def: $vgpr1
; %bb.183:                              ;   in Loop: Header=BB163_40 Depth=1
	s_and_not1_saveexec_b32 s10, s0
; %bb.184:                              ;   in Loop: Header=BB163_40 Depth=1
	v_and_b32_e32 v69, 0xffff, v1
	v_or_b32_e32 v70, 0x10000, v1
	s_delay_alu instid0(VALU_DEP_2) | instskip(NEXT) | instid1(VALU_DEP_1)
	v_cmp_eq_u32_e64 s0, 0, v69
	v_cndmask_b32_e64 v69, v70, v1, s0
; %bb.185:                              ;   in Loop: Header=BB163_40 Depth=1
	s_or_b32 exec_lo, exec_lo, s10
	v_lshlrev_b32_e32 v1, 16, v2
                                        ; implicit-def: $vgpr70
	s_delay_alu instid0(VALU_DEP_1) | instskip(NEXT) | instid1(VALU_DEP_1)
	v_mul_f32_e32 v1, v47, v1
	v_and_b32_e32 v2, 0x7f800000, v1
	s_delay_alu instid0(VALU_DEP_1) | instskip(NEXT) | instid1(VALU_DEP_1)
	v_cmp_ne_u32_e64 s0, 0x7f800000, v2
	s_and_saveexec_b32 s10, s0
	s_delay_alu instid0(SALU_CYCLE_1)
	s_xor_b32 s0, exec_lo, s10
; %bb.186:                              ;   in Loop: Header=BB163_40 Depth=1
	v_bfe_u32 v2, v1, 16, 1
	s_delay_alu instid0(VALU_DEP_1)
	v_add3_u32 v70, v1, v2, 0x7fff
                                        ; implicit-def: $vgpr1
; %bb.187:                              ;   in Loop: Header=BB163_40 Depth=1
	s_and_not1_saveexec_b32 s10, s0
; %bb.188:                              ;   in Loop: Header=BB163_40 Depth=1
	v_and_b32_e32 v2, 0xffff, v1
	v_or_b32_e32 v70, 0x10000, v1
	s_delay_alu instid0(VALU_DEP_2) | instskip(NEXT) | instid1(VALU_DEP_1)
	v_cmp_eq_u32_e64 s0, 0, v2
	v_cndmask_b32_e64 v70, v70, v1, s0
; %bb.189:                              ;   in Loop: Header=BB163_40 Depth=1
	s_or_b32 exec_lo, exec_lo, s10
	v_lshlrev_b32_e32 v1, 16, v71
                                        ; implicit-def: $vgpr71
	s_delay_alu instid0(VALU_DEP_1) | instskip(NEXT) | instid1(VALU_DEP_1)
	v_mul_f32_e32 v1, v48, v1
	v_and_b32_e32 v2, 0x7f800000, v1
	s_delay_alu instid0(VALU_DEP_1) | instskip(NEXT) | instid1(VALU_DEP_1)
	v_cmp_ne_u32_e64 s0, 0x7f800000, v2
	s_and_saveexec_b32 s10, s0
	s_delay_alu instid0(SALU_CYCLE_1)
	s_xor_b32 s0, exec_lo, s10
; %bb.190:                              ;   in Loop: Header=BB163_40 Depth=1
	v_bfe_u32 v2, v1, 16, 1
	s_delay_alu instid0(VALU_DEP_1)
	v_add3_u32 v71, v1, v2, 0x7fff
                                        ; implicit-def: $vgpr1
; %bb.191:                              ;   in Loop: Header=BB163_40 Depth=1
	s_and_not1_saveexec_b32 s10, s0
; %bb.192:                              ;   in Loop: Header=BB163_40 Depth=1
	v_and_b32_e32 v2, 0xffff, v1
	v_or_b32_e32 v71, 0x10000, v1
	s_delay_alu instid0(VALU_DEP_2) | instskip(NEXT) | instid1(VALU_DEP_1)
	v_cmp_eq_u32_e64 s0, 0, v2
	v_cndmask_b32_e64 v71, v71, v1, s0
; %bb.193:                              ;   in Loop: Header=BB163_40 Depth=1
	s_or_b32 exec_lo, exec_lo, s10
	v_lshlrev_b32_e32 v1, 16, v3
                                        ; implicit-def: $vgpr72
	s_delay_alu instid0(VALU_DEP_1) | instskip(NEXT) | instid1(VALU_DEP_1)
	v_mul_f32_e32 v1, v49, v1
	v_and_b32_e32 v2, 0x7f800000, v1
	s_delay_alu instid0(VALU_DEP_1) | instskip(NEXT) | instid1(VALU_DEP_1)
	v_cmp_ne_u32_e64 s0, 0x7f800000, v2
	s_and_saveexec_b32 s10, s0
	s_delay_alu instid0(SALU_CYCLE_1)
	s_xor_b32 s0, exec_lo, s10
; %bb.194:                              ;   in Loop: Header=BB163_40 Depth=1
	v_bfe_u32 v2, v1, 16, 1
	s_delay_alu instid0(VALU_DEP_1)
	v_add3_u32 v72, v1, v2, 0x7fff
                                        ; implicit-def: $vgpr1
; %bb.195:                              ;   in Loop: Header=BB163_40 Depth=1
	s_and_not1_saveexec_b32 s10, s0
; %bb.196:                              ;   in Loop: Header=BB163_40 Depth=1
	v_and_b32_e32 v2, 0xffff, v1
	v_or_b32_e32 v3, 0x10000, v1
	s_delay_alu instid0(VALU_DEP_2) | instskip(NEXT) | instid1(VALU_DEP_1)
	v_cmp_eq_u32_e64 s0, 0, v2
	v_cndmask_b32_e64 v72, v3, v1, s0
; %bb.197:                              ;   in Loop: Header=BB163_40 Depth=1
	s_or_b32 exec_lo, exec_lo, s10
	v_lshlrev_b32_e32 v1, 16, v73
                                        ; implicit-def: $vgpr73
	s_delay_alu instid0(VALU_DEP_1) | instskip(NEXT) | instid1(VALU_DEP_1)
	v_mul_f32_e32 v1, v50, v1
	v_and_b32_e32 v2, 0x7f800000, v1
	s_delay_alu instid0(VALU_DEP_1) | instskip(NEXT) | instid1(VALU_DEP_1)
	v_cmp_ne_u32_e64 s0, 0x7f800000, v2
	s_and_saveexec_b32 s10, s0
	s_delay_alu instid0(SALU_CYCLE_1)
	s_xor_b32 s0, exec_lo, s10
; %bb.198:                              ;   in Loop: Header=BB163_40 Depth=1
	v_bfe_u32 v2, v1, 16, 1
	s_delay_alu instid0(VALU_DEP_1)
	v_add3_u32 v73, v1, v2, 0x7fff
                                        ; implicit-def: $vgpr1
; %bb.199:                              ;   in Loop: Header=BB163_40 Depth=1
	s_and_not1_saveexec_b32 s10, s0
; %bb.200:                              ;   in Loop: Header=BB163_40 Depth=1
	v_and_b32_e32 v2, 0xffff, v1
	v_or_b32_e32 v3, 0x10000, v1
	s_delay_alu instid0(VALU_DEP_2) | instskip(NEXT) | instid1(VALU_DEP_1)
	v_cmp_eq_u32_e64 s0, 0, v2
	v_cndmask_b32_e64 v73, v3, v1, s0
; %bb.201:                              ;   in Loop: Header=BB163_40 Depth=1
	s_or_b32 exec_lo, exec_lo, s10
	v_lshlrev_b32_e32 v1, 16, v4
                                        ; implicit-def: $vgpr74
	s_delay_alu instid0(VALU_DEP_1) | instskip(NEXT) | instid1(VALU_DEP_1)
	v_mul_f32_e32 v1, v51, v1
	v_and_b32_e32 v2, 0x7f800000, v1
	s_delay_alu instid0(VALU_DEP_1) | instskip(NEXT) | instid1(VALU_DEP_1)
	v_cmp_ne_u32_e64 s0, 0x7f800000, v2
	s_and_saveexec_b32 s10, s0
	s_delay_alu instid0(SALU_CYCLE_1)
	s_xor_b32 s0, exec_lo, s10
; %bb.202:                              ;   in Loop: Header=BB163_40 Depth=1
	v_bfe_u32 v2, v1, 16, 1
	s_delay_alu instid0(VALU_DEP_1)
	v_add3_u32 v74, v1, v2, 0x7fff
                                        ; implicit-def: $vgpr1
; %bb.203:                              ;   in Loop: Header=BB163_40 Depth=1
	s_and_not1_saveexec_b32 s10, s0
; %bb.204:                              ;   in Loop: Header=BB163_40 Depth=1
	v_and_b32_e32 v2, 0xffff, v1
	v_or_b32_e32 v3, 0x10000, v1
	s_delay_alu instid0(VALU_DEP_2) | instskip(NEXT) | instid1(VALU_DEP_1)
	v_cmp_eq_u32_e64 s0, 0, v2
	v_cndmask_b32_e64 v74, v3, v1, s0
; %bb.205:                              ;   in Loop: Header=BB163_40 Depth=1
	s_or_b32 exec_lo, exec_lo, s10
	v_lshlrev_b32_e32 v1, 16, v75
                                        ; implicit-def: $vgpr75
	s_delay_alu instid0(VALU_DEP_1) | instskip(NEXT) | instid1(VALU_DEP_1)
	v_mul_f32_e32 v1, v52, v1
	v_and_b32_e32 v2, 0x7f800000, v1
	s_delay_alu instid0(VALU_DEP_1) | instskip(NEXT) | instid1(VALU_DEP_1)
	v_cmp_ne_u32_e64 s0, 0x7f800000, v2
	s_and_saveexec_b32 s10, s0
	s_delay_alu instid0(SALU_CYCLE_1)
	s_xor_b32 s0, exec_lo, s10
; %bb.206:                              ;   in Loop: Header=BB163_40 Depth=1
	v_bfe_u32 v2, v1, 16, 1
	s_delay_alu instid0(VALU_DEP_1)
	v_add3_u32 v75, v1, v2, 0x7fff
                                        ; implicit-def: $vgpr1
; %bb.207:                              ;   in Loop: Header=BB163_40 Depth=1
	s_and_not1_saveexec_b32 s10, s0
; %bb.208:                              ;   in Loop: Header=BB163_40 Depth=1
	v_and_b32_e32 v2, 0xffff, v1
	v_or_b32_e32 v3, 0x10000, v1
	s_delay_alu instid0(VALU_DEP_2) | instskip(NEXT) | instid1(VALU_DEP_1)
	v_cmp_eq_u32_e64 s0, 0, v2
	v_cndmask_b32_e64 v75, v3, v1, s0
; %bb.209:                              ;   in Loop: Header=BB163_40 Depth=1
	s_or_b32 exec_lo, exec_lo, s10
	global_load_b128 v[1:4], v[5:6], off offset:2048
	s_waitcnt vmcnt(0)
	v_lshrrev_b32_e32 v77, 16, v1
	v_lshrrev_b32_e32 v79, 16, v2
	;; [unrolled: 1-line block ×4, first 2 shown]
	s_and_saveexec_b32 s10, vcc_lo
	s_cbranch_execz .LBB163_211
; %bb.210:                              ;   in Loop: Header=BB163_40 Depth=1
	v_cmp_gt_i32_e64 s0, s33, v36
	s_delay_alu instid0(VALU_DEP_1) | instskip(SKIP_1) | instid1(VALU_DEP_1)
	v_cndmask_b32_e64 v1, 0, v1, s0
	v_cmp_gt_i32_e64 s0, s33, v43
	v_cndmask_b32_e64 v77, 0, v77, s0
	v_cmp_gt_i32_e64 s0, s33, v42
	s_delay_alu instid0(VALU_DEP_1) | instskip(SKIP_1) | instid1(VALU_DEP_1)
	v_cndmask_b32_e64 v2, 0, v2, s0
	v_cmp_gt_i32_e64 s0, s33, v40
	v_cndmask_b32_e64 v79, 0, v79, s0
	;; [unrolled: 5-line block ×4, first 2 shown]
.LBB163_211:                            ;   in Loop: Header=BB163_40 Depth=1
	s_or_b32 exec_lo, exec_lo, s10
	v_lshlrev_b32_e32 v1, 16, v1
	s_delay_alu instid0(VALU_DEP_1) | instskip(NEXT) | instid1(VALU_DEP_1)
	v_mul_f32_e32 v1, v45, v1
	v_and_b32_e32 v76, 0x7f800000, v1
	s_delay_alu instid0(VALU_DEP_1) | instskip(NEXT) | instid1(VALU_DEP_1)
	v_cmp_ne_u32_e64 s0, 0x7f800000, v76
                                        ; implicit-def: $vgpr76
	s_and_saveexec_b32 s10, s0
	s_delay_alu instid0(SALU_CYCLE_1)
	s_xor_b32 s0, exec_lo, s10
; %bb.212:                              ;   in Loop: Header=BB163_40 Depth=1
	v_bfe_u32 v76, v1, 16, 1
	s_delay_alu instid0(VALU_DEP_1)
	v_add3_u32 v76, v1, v76, 0x7fff
                                        ; implicit-def: $vgpr1
; %bb.213:                              ;   in Loop: Header=BB163_40 Depth=1
	s_and_not1_saveexec_b32 s10, s0
; %bb.214:                              ;   in Loop: Header=BB163_40 Depth=1
	v_and_b32_e32 v76, 0xffff, v1
	v_or_b32_e32 v78, 0x10000, v1
	s_delay_alu instid0(VALU_DEP_2) | instskip(NEXT) | instid1(VALU_DEP_1)
	v_cmp_eq_u32_e64 s0, 0, v76
	v_cndmask_b32_e64 v76, v78, v1, s0
; %bb.215:                              ;   in Loop: Header=BB163_40 Depth=1
	s_or_b32 exec_lo, exec_lo, s10
	v_lshlrev_b32_e32 v1, 16, v77
	s_delay_alu instid0(VALU_DEP_1) | instskip(NEXT) | instid1(VALU_DEP_1)
	v_mul_f32_e32 v1, v46, v1
	v_and_b32_e32 v77, 0x7f800000, v1
	s_delay_alu instid0(VALU_DEP_1) | instskip(NEXT) | instid1(VALU_DEP_1)
	v_cmp_ne_u32_e64 s0, 0x7f800000, v77
                                        ; implicit-def: $vgpr77
	s_and_saveexec_b32 s10, s0
	s_delay_alu instid0(SALU_CYCLE_1)
	s_xor_b32 s0, exec_lo, s10
; %bb.216:                              ;   in Loop: Header=BB163_40 Depth=1
	v_bfe_u32 v77, v1, 16, 1
	s_delay_alu instid0(VALU_DEP_1)
	v_add3_u32 v77, v1, v77, 0x7fff
                                        ; implicit-def: $vgpr1
; %bb.217:                              ;   in Loop: Header=BB163_40 Depth=1
	s_and_not1_saveexec_b32 s10, s0
; %bb.218:                              ;   in Loop: Header=BB163_40 Depth=1
	v_and_b32_e32 v77, 0xffff, v1
	v_or_b32_e32 v78, 0x10000, v1
	s_delay_alu instid0(VALU_DEP_2) | instskip(NEXT) | instid1(VALU_DEP_1)
	v_cmp_eq_u32_e64 s0, 0, v77
	v_cndmask_b32_e64 v77, v78, v1, s0
; %bb.219:                              ;   in Loop: Header=BB163_40 Depth=1
	s_or_b32 exec_lo, exec_lo, s10
	v_lshlrev_b32_e32 v1, 16, v2
                                        ; implicit-def: $vgpr78
	s_delay_alu instid0(VALU_DEP_1) | instskip(NEXT) | instid1(VALU_DEP_1)
	v_mul_f32_e32 v1, v47, v1
	v_and_b32_e32 v2, 0x7f800000, v1
	s_delay_alu instid0(VALU_DEP_1) | instskip(NEXT) | instid1(VALU_DEP_1)
	v_cmp_ne_u32_e64 s0, 0x7f800000, v2
	s_and_saveexec_b32 s10, s0
	s_delay_alu instid0(SALU_CYCLE_1)
	s_xor_b32 s0, exec_lo, s10
; %bb.220:                              ;   in Loop: Header=BB163_40 Depth=1
	v_bfe_u32 v2, v1, 16, 1
	s_delay_alu instid0(VALU_DEP_1)
	v_add3_u32 v78, v1, v2, 0x7fff
                                        ; implicit-def: $vgpr1
; %bb.221:                              ;   in Loop: Header=BB163_40 Depth=1
	s_and_not1_saveexec_b32 s10, s0
; %bb.222:                              ;   in Loop: Header=BB163_40 Depth=1
	v_and_b32_e32 v2, 0xffff, v1
	v_or_b32_e32 v78, 0x10000, v1
	s_delay_alu instid0(VALU_DEP_2) | instskip(NEXT) | instid1(VALU_DEP_1)
	v_cmp_eq_u32_e64 s0, 0, v2
	v_cndmask_b32_e64 v78, v78, v1, s0
; %bb.223:                              ;   in Loop: Header=BB163_40 Depth=1
	s_or_b32 exec_lo, exec_lo, s10
	v_lshlrev_b32_e32 v1, 16, v79
                                        ; implicit-def: $vgpr79
	s_delay_alu instid0(VALU_DEP_1) | instskip(NEXT) | instid1(VALU_DEP_1)
	v_mul_f32_e32 v1, v48, v1
	v_and_b32_e32 v2, 0x7f800000, v1
	s_delay_alu instid0(VALU_DEP_1) | instskip(NEXT) | instid1(VALU_DEP_1)
	v_cmp_ne_u32_e64 s0, 0x7f800000, v2
	s_and_saveexec_b32 s10, s0
	s_delay_alu instid0(SALU_CYCLE_1)
	s_xor_b32 s0, exec_lo, s10
; %bb.224:                              ;   in Loop: Header=BB163_40 Depth=1
	v_bfe_u32 v2, v1, 16, 1
	s_delay_alu instid0(VALU_DEP_1)
	v_add3_u32 v79, v1, v2, 0x7fff
                                        ; implicit-def: $vgpr1
; %bb.225:                              ;   in Loop: Header=BB163_40 Depth=1
	s_and_not1_saveexec_b32 s10, s0
; %bb.226:                              ;   in Loop: Header=BB163_40 Depth=1
	v_and_b32_e32 v2, 0xffff, v1
	v_or_b32_e32 v79, 0x10000, v1
	s_delay_alu instid0(VALU_DEP_2) | instskip(NEXT) | instid1(VALU_DEP_1)
	v_cmp_eq_u32_e64 s0, 0, v2
	v_cndmask_b32_e64 v79, v79, v1, s0
; %bb.227:                              ;   in Loop: Header=BB163_40 Depth=1
	s_or_b32 exec_lo, exec_lo, s10
	v_lshlrev_b32_e32 v1, 16, v3
                                        ; implicit-def: $vgpr80
	s_delay_alu instid0(VALU_DEP_1) | instskip(NEXT) | instid1(VALU_DEP_1)
	v_mul_f32_e32 v1, v49, v1
	v_and_b32_e32 v2, 0x7f800000, v1
	s_delay_alu instid0(VALU_DEP_1) | instskip(NEXT) | instid1(VALU_DEP_1)
	v_cmp_ne_u32_e64 s0, 0x7f800000, v2
	s_and_saveexec_b32 s10, s0
	s_delay_alu instid0(SALU_CYCLE_1)
	s_xor_b32 s0, exec_lo, s10
; %bb.228:                              ;   in Loop: Header=BB163_40 Depth=1
	v_bfe_u32 v2, v1, 16, 1
	s_delay_alu instid0(VALU_DEP_1)
	v_add3_u32 v80, v1, v2, 0x7fff
                                        ; implicit-def: $vgpr1
; %bb.229:                              ;   in Loop: Header=BB163_40 Depth=1
	s_and_not1_saveexec_b32 s10, s0
; %bb.230:                              ;   in Loop: Header=BB163_40 Depth=1
	v_and_b32_e32 v2, 0xffff, v1
	v_or_b32_e32 v3, 0x10000, v1
	s_delay_alu instid0(VALU_DEP_2) | instskip(NEXT) | instid1(VALU_DEP_1)
	v_cmp_eq_u32_e64 s0, 0, v2
	v_cndmask_b32_e64 v80, v3, v1, s0
; %bb.231:                              ;   in Loop: Header=BB163_40 Depth=1
	s_or_b32 exec_lo, exec_lo, s10
	v_lshlrev_b32_e32 v1, 16, v81
                                        ; implicit-def: $vgpr81
	s_delay_alu instid0(VALU_DEP_1) | instskip(NEXT) | instid1(VALU_DEP_1)
	v_mul_f32_e32 v1, v50, v1
	v_and_b32_e32 v2, 0x7f800000, v1
	s_delay_alu instid0(VALU_DEP_1) | instskip(NEXT) | instid1(VALU_DEP_1)
	v_cmp_ne_u32_e64 s0, 0x7f800000, v2
	s_and_saveexec_b32 s10, s0
	s_delay_alu instid0(SALU_CYCLE_1)
	s_xor_b32 s0, exec_lo, s10
; %bb.232:                              ;   in Loop: Header=BB163_40 Depth=1
	v_bfe_u32 v2, v1, 16, 1
	s_delay_alu instid0(VALU_DEP_1)
	v_add3_u32 v81, v1, v2, 0x7fff
                                        ; implicit-def: $vgpr1
; %bb.233:                              ;   in Loop: Header=BB163_40 Depth=1
	s_and_not1_saveexec_b32 s10, s0
; %bb.234:                              ;   in Loop: Header=BB163_40 Depth=1
	v_and_b32_e32 v2, 0xffff, v1
	v_or_b32_e32 v3, 0x10000, v1
	s_delay_alu instid0(VALU_DEP_2) | instskip(NEXT) | instid1(VALU_DEP_1)
	v_cmp_eq_u32_e64 s0, 0, v2
	v_cndmask_b32_e64 v81, v3, v1, s0
; %bb.235:                              ;   in Loop: Header=BB163_40 Depth=1
	s_or_b32 exec_lo, exec_lo, s10
	v_lshlrev_b32_e32 v1, 16, v4
                                        ; implicit-def: $vgpr82
	s_delay_alu instid0(VALU_DEP_1) | instskip(NEXT) | instid1(VALU_DEP_1)
	v_mul_f32_e32 v1, v51, v1
	v_and_b32_e32 v2, 0x7f800000, v1
	s_delay_alu instid0(VALU_DEP_1) | instskip(NEXT) | instid1(VALU_DEP_1)
	v_cmp_ne_u32_e64 s0, 0x7f800000, v2
	s_and_saveexec_b32 s10, s0
	s_delay_alu instid0(SALU_CYCLE_1)
	s_xor_b32 s0, exec_lo, s10
; %bb.236:                              ;   in Loop: Header=BB163_40 Depth=1
	v_bfe_u32 v2, v1, 16, 1
	s_delay_alu instid0(VALU_DEP_1)
	v_add3_u32 v82, v1, v2, 0x7fff
                                        ; implicit-def: $vgpr1
; %bb.237:                              ;   in Loop: Header=BB163_40 Depth=1
	s_and_not1_saveexec_b32 s10, s0
; %bb.238:                              ;   in Loop: Header=BB163_40 Depth=1
	v_and_b32_e32 v2, 0xffff, v1
	v_or_b32_e32 v3, 0x10000, v1
	s_delay_alu instid0(VALU_DEP_2) | instskip(NEXT) | instid1(VALU_DEP_1)
	v_cmp_eq_u32_e64 s0, 0, v2
	v_cndmask_b32_e64 v82, v3, v1, s0
; %bb.239:                              ;   in Loop: Header=BB163_40 Depth=1
	s_or_b32 exec_lo, exec_lo, s10
	v_lshlrev_b32_e32 v1, 16, v83
                                        ; implicit-def: $vgpr83
	s_delay_alu instid0(VALU_DEP_1) | instskip(NEXT) | instid1(VALU_DEP_1)
	v_mul_f32_e32 v1, v52, v1
	v_and_b32_e32 v2, 0x7f800000, v1
	s_delay_alu instid0(VALU_DEP_1) | instskip(NEXT) | instid1(VALU_DEP_1)
	v_cmp_ne_u32_e64 s0, 0x7f800000, v2
	s_and_saveexec_b32 s10, s0
	s_delay_alu instid0(SALU_CYCLE_1)
	s_xor_b32 s0, exec_lo, s10
; %bb.240:                              ;   in Loop: Header=BB163_40 Depth=1
	v_bfe_u32 v2, v1, 16, 1
	s_delay_alu instid0(VALU_DEP_1)
	v_add3_u32 v83, v1, v2, 0x7fff
                                        ; implicit-def: $vgpr1
; %bb.241:                              ;   in Loop: Header=BB163_40 Depth=1
	s_and_not1_saveexec_b32 s10, s0
; %bb.242:                              ;   in Loop: Header=BB163_40 Depth=1
	v_and_b32_e32 v2, 0xffff, v1
	v_or_b32_e32 v3, 0x10000, v1
	s_delay_alu instid0(VALU_DEP_2) | instskip(NEXT) | instid1(VALU_DEP_1)
	v_cmp_eq_u32_e64 s0, 0, v2
	v_cndmask_b32_e64 v83, v3, v1, s0
; %bb.243:                              ;   in Loop: Header=BB163_40 Depth=1
	s_or_b32 exec_lo, exec_lo, s10
	global_load_b128 v[1:4], v[5:6], off offset:2560
	s_waitcnt vmcnt(0)
	v_lshrrev_b32_e32 v85, 16, v1
	v_lshrrev_b32_e32 v87, 16, v2
	;; [unrolled: 1-line block ×4, first 2 shown]
	s_and_saveexec_b32 s10, vcc_lo
	s_cbranch_execz .LBB163_245
; %bb.244:                              ;   in Loop: Header=BB163_40 Depth=1
	v_cmp_gt_i32_e64 s0, s33, v36
	s_delay_alu instid0(VALU_DEP_1) | instskip(SKIP_1) | instid1(VALU_DEP_1)
	v_cndmask_b32_e64 v1, 0, v1, s0
	v_cmp_gt_i32_e64 s0, s33, v43
	v_cndmask_b32_e64 v85, 0, v85, s0
	v_cmp_gt_i32_e64 s0, s33, v42
	s_delay_alu instid0(VALU_DEP_1) | instskip(SKIP_1) | instid1(VALU_DEP_1)
	v_cndmask_b32_e64 v2, 0, v2, s0
	v_cmp_gt_i32_e64 s0, s33, v40
	v_cndmask_b32_e64 v87, 0, v87, s0
	;; [unrolled: 5-line block ×4, first 2 shown]
.LBB163_245:                            ;   in Loop: Header=BB163_40 Depth=1
	s_or_b32 exec_lo, exec_lo, s10
	v_lshlrev_b32_e32 v1, 16, v1
	s_delay_alu instid0(VALU_DEP_1) | instskip(NEXT) | instid1(VALU_DEP_1)
	v_mul_f32_e32 v1, v45, v1
	v_and_b32_e32 v84, 0x7f800000, v1
	s_delay_alu instid0(VALU_DEP_1) | instskip(NEXT) | instid1(VALU_DEP_1)
	v_cmp_ne_u32_e64 s0, 0x7f800000, v84
                                        ; implicit-def: $vgpr84
	s_and_saveexec_b32 s10, s0
	s_delay_alu instid0(SALU_CYCLE_1)
	s_xor_b32 s0, exec_lo, s10
; %bb.246:                              ;   in Loop: Header=BB163_40 Depth=1
	v_bfe_u32 v84, v1, 16, 1
	s_delay_alu instid0(VALU_DEP_1)
	v_add3_u32 v84, v1, v84, 0x7fff
                                        ; implicit-def: $vgpr1
; %bb.247:                              ;   in Loop: Header=BB163_40 Depth=1
	s_and_not1_saveexec_b32 s10, s0
; %bb.248:                              ;   in Loop: Header=BB163_40 Depth=1
	v_and_b32_e32 v84, 0xffff, v1
	v_or_b32_e32 v86, 0x10000, v1
	s_delay_alu instid0(VALU_DEP_2) | instskip(NEXT) | instid1(VALU_DEP_1)
	v_cmp_eq_u32_e64 s0, 0, v84
	v_cndmask_b32_e64 v84, v86, v1, s0
; %bb.249:                              ;   in Loop: Header=BB163_40 Depth=1
	s_or_b32 exec_lo, exec_lo, s10
	v_lshlrev_b32_e32 v1, 16, v85
	s_delay_alu instid0(VALU_DEP_1) | instskip(NEXT) | instid1(VALU_DEP_1)
	v_mul_f32_e32 v1, v46, v1
	v_and_b32_e32 v85, 0x7f800000, v1
	s_delay_alu instid0(VALU_DEP_1) | instskip(NEXT) | instid1(VALU_DEP_1)
	v_cmp_ne_u32_e64 s0, 0x7f800000, v85
                                        ; implicit-def: $vgpr85
	s_and_saveexec_b32 s10, s0
	s_delay_alu instid0(SALU_CYCLE_1)
	s_xor_b32 s0, exec_lo, s10
; %bb.250:                              ;   in Loop: Header=BB163_40 Depth=1
	v_bfe_u32 v85, v1, 16, 1
	s_delay_alu instid0(VALU_DEP_1)
	v_add3_u32 v85, v1, v85, 0x7fff
                                        ; implicit-def: $vgpr1
; %bb.251:                              ;   in Loop: Header=BB163_40 Depth=1
	s_and_not1_saveexec_b32 s10, s0
; %bb.252:                              ;   in Loop: Header=BB163_40 Depth=1
	v_and_b32_e32 v85, 0xffff, v1
	v_or_b32_e32 v86, 0x10000, v1
	s_delay_alu instid0(VALU_DEP_2) | instskip(NEXT) | instid1(VALU_DEP_1)
	v_cmp_eq_u32_e64 s0, 0, v85
	v_cndmask_b32_e64 v85, v86, v1, s0
; %bb.253:                              ;   in Loop: Header=BB163_40 Depth=1
	s_or_b32 exec_lo, exec_lo, s10
	v_lshlrev_b32_e32 v1, 16, v2
                                        ; implicit-def: $vgpr86
	s_delay_alu instid0(VALU_DEP_1) | instskip(NEXT) | instid1(VALU_DEP_1)
	v_mul_f32_e32 v1, v47, v1
	v_and_b32_e32 v2, 0x7f800000, v1
	s_delay_alu instid0(VALU_DEP_1) | instskip(NEXT) | instid1(VALU_DEP_1)
	v_cmp_ne_u32_e64 s0, 0x7f800000, v2
	s_and_saveexec_b32 s10, s0
	s_delay_alu instid0(SALU_CYCLE_1)
	s_xor_b32 s0, exec_lo, s10
; %bb.254:                              ;   in Loop: Header=BB163_40 Depth=1
	v_bfe_u32 v2, v1, 16, 1
	s_delay_alu instid0(VALU_DEP_1)
	v_add3_u32 v86, v1, v2, 0x7fff
                                        ; implicit-def: $vgpr1
; %bb.255:                              ;   in Loop: Header=BB163_40 Depth=1
	s_and_not1_saveexec_b32 s10, s0
; %bb.256:                              ;   in Loop: Header=BB163_40 Depth=1
	v_and_b32_e32 v2, 0xffff, v1
	v_or_b32_e32 v86, 0x10000, v1
	s_delay_alu instid0(VALU_DEP_2) | instskip(NEXT) | instid1(VALU_DEP_1)
	v_cmp_eq_u32_e64 s0, 0, v2
	v_cndmask_b32_e64 v86, v86, v1, s0
; %bb.257:                              ;   in Loop: Header=BB163_40 Depth=1
	s_or_b32 exec_lo, exec_lo, s10
	v_lshlrev_b32_e32 v1, 16, v87
                                        ; implicit-def: $vgpr87
	s_delay_alu instid0(VALU_DEP_1) | instskip(NEXT) | instid1(VALU_DEP_1)
	v_mul_f32_e32 v1, v48, v1
	v_and_b32_e32 v2, 0x7f800000, v1
	s_delay_alu instid0(VALU_DEP_1) | instskip(NEXT) | instid1(VALU_DEP_1)
	v_cmp_ne_u32_e64 s0, 0x7f800000, v2
	s_and_saveexec_b32 s10, s0
	s_delay_alu instid0(SALU_CYCLE_1)
	s_xor_b32 s0, exec_lo, s10
; %bb.258:                              ;   in Loop: Header=BB163_40 Depth=1
	v_bfe_u32 v2, v1, 16, 1
	s_delay_alu instid0(VALU_DEP_1)
	v_add3_u32 v87, v1, v2, 0x7fff
                                        ; implicit-def: $vgpr1
; %bb.259:                              ;   in Loop: Header=BB163_40 Depth=1
	s_and_not1_saveexec_b32 s10, s0
; %bb.260:                              ;   in Loop: Header=BB163_40 Depth=1
	v_and_b32_e32 v2, 0xffff, v1
	v_or_b32_e32 v87, 0x10000, v1
	s_delay_alu instid0(VALU_DEP_2) | instskip(NEXT) | instid1(VALU_DEP_1)
	v_cmp_eq_u32_e64 s0, 0, v2
	v_cndmask_b32_e64 v87, v87, v1, s0
; %bb.261:                              ;   in Loop: Header=BB163_40 Depth=1
	s_or_b32 exec_lo, exec_lo, s10
	v_lshlrev_b32_e32 v1, 16, v3
                                        ; implicit-def: $vgpr88
	s_delay_alu instid0(VALU_DEP_1) | instskip(NEXT) | instid1(VALU_DEP_1)
	v_mul_f32_e32 v1, v49, v1
	v_and_b32_e32 v2, 0x7f800000, v1
	s_delay_alu instid0(VALU_DEP_1) | instskip(NEXT) | instid1(VALU_DEP_1)
	v_cmp_ne_u32_e64 s0, 0x7f800000, v2
	s_and_saveexec_b32 s10, s0
	s_delay_alu instid0(SALU_CYCLE_1)
	s_xor_b32 s0, exec_lo, s10
; %bb.262:                              ;   in Loop: Header=BB163_40 Depth=1
	v_bfe_u32 v2, v1, 16, 1
	s_delay_alu instid0(VALU_DEP_1)
	v_add3_u32 v88, v1, v2, 0x7fff
                                        ; implicit-def: $vgpr1
; %bb.263:                              ;   in Loop: Header=BB163_40 Depth=1
	s_and_not1_saveexec_b32 s10, s0
; %bb.264:                              ;   in Loop: Header=BB163_40 Depth=1
	v_and_b32_e32 v2, 0xffff, v1
	v_or_b32_e32 v3, 0x10000, v1
	s_delay_alu instid0(VALU_DEP_2) | instskip(NEXT) | instid1(VALU_DEP_1)
	v_cmp_eq_u32_e64 s0, 0, v2
	v_cndmask_b32_e64 v88, v3, v1, s0
; %bb.265:                              ;   in Loop: Header=BB163_40 Depth=1
	s_or_b32 exec_lo, exec_lo, s10
	v_lshlrev_b32_e32 v1, 16, v89
                                        ; implicit-def: $vgpr89
	s_delay_alu instid0(VALU_DEP_1) | instskip(NEXT) | instid1(VALU_DEP_1)
	v_mul_f32_e32 v1, v50, v1
	v_and_b32_e32 v2, 0x7f800000, v1
	s_delay_alu instid0(VALU_DEP_1) | instskip(NEXT) | instid1(VALU_DEP_1)
	v_cmp_ne_u32_e64 s0, 0x7f800000, v2
	s_and_saveexec_b32 s10, s0
	s_delay_alu instid0(SALU_CYCLE_1)
	s_xor_b32 s0, exec_lo, s10
; %bb.266:                              ;   in Loop: Header=BB163_40 Depth=1
	v_bfe_u32 v2, v1, 16, 1
	s_delay_alu instid0(VALU_DEP_1)
	v_add3_u32 v89, v1, v2, 0x7fff
                                        ; implicit-def: $vgpr1
; %bb.267:                              ;   in Loop: Header=BB163_40 Depth=1
	s_and_not1_saveexec_b32 s10, s0
; %bb.268:                              ;   in Loop: Header=BB163_40 Depth=1
	v_and_b32_e32 v2, 0xffff, v1
	v_or_b32_e32 v3, 0x10000, v1
	s_delay_alu instid0(VALU_DEP_2) | instskip(NEXT) | instid1(VALU_DEP_1)
	v_cmp_eq_u32_e64 s0, 0, v2
	v_cndmask_b32_e64 v89, v3, v1, s0
; %bb.269:                              ;   in Loop: Header=BB163_40 Depth=1
	s_or_b32 exec_lo, exec_lo, s10
	v_lshlrev_b32_e32 v1, 16, v4
                                        ; implicit-def: $vgpr90
	s_delay_alu instid0(VALU_DEP_1) | instskip(NEXT) | instid1(VALU_DEP_1)
	v_mul_f32_e32 v1, v51, v1
	v_and_b32_e32 v2, 0x7f800000, v1
	s_delay_alu instid0(VALU_DEP_1) | instskip(NEXT) | instid1(VALU_DEP_1)
	v_cmp_ne_u32_e64 s0, 0x7f800000, v2
	s_and_saveexec_b32 s10, s0
	s_delay_alu instid0(SALU_CYCLE_1)
	s_xor_b32 s0, exec_lo, s10
; %bb.270:                              ;   in Loop: Header=BB163_40 Depth=1
	v_bfe_u32 v2, v1, 16, 1
	s_delay_alu instid0(VALU_DEP_1)
	v_add3_u32 v90, v1, v2, 0x7fff
                                        ; implicit-def: $vgpr1
; %bb.271:                              ;   in Loop: Header=BB163_40 Depth=1
	s_and_not1_saveexec_b32 s10, s0
; %bb.272:                              ;   in Loop: Header=BB163_40 Depth=1
	v_and_b32_e32 v2, 0xffff, v1
	v_or_b32_e32 v3, 0x10000, v1
	s_delay_alu instid0(VALU_DEP_2) | instskip(NEXT) | instid1(VALU_DEP_1)
	v_cmp_eq_u32_e64 s0, 0, v2
	v_cndmask_b32_e64 v90, v3, v1, s0
; %bb.273:                              ;   in Loop: Header=BB163_40 Depth=1
	s_or_b32 exec_lo, exec_lo, s10
	v_lshlrev_b32_e32 v1, 16, v91
                                        ; implicit-def: $vgpr91
	s_delay_alu instid0(VALU_DEP_1) | instskip(NEXT) | instid1(VALU_DEP_1)
	v_mul_f32_e32 v1, v52, v1
	v_and_b32_e32 v2, 0x7f800000, v1
	s_delay_alu instid0(VALU_DEP_1) | instskip(NEXT) | instid1(VALU_DEP_1)
	v_cmp_ne_u32_e64 s0, 0x7f800000, v2
	s_and_saveexec_b32 s10, s0
	s_delay_alu instid0(SALU_CYCLE_1)
	s_xor_b32 s0, exec_lo, s10
; %bb.274:                              ;   in Loop: Header=BB163_40 Depth=1
	v_bfe_u32 v2, v1, 16, 1
	s_delay_alu instid0(VALU_DEP_1)
	v_add3_u32 v91, v1, v2, 0x7fff
                                        ; implicit-def: $vgpr1
; %bb.275:                              ;   in Loop: Header=BB163_40 Depth=1
	s_and_not1_saveexec_b32 s10, s0
; %bb.276:                              ;   in Loop: Header=BB163_40 Depth=1
	v_and_b32_e32 v2, 0xffff, v1
	v_or_b32_e32 v3, 0x10000, v1
	s_delay_alu instid0(VALU_DEP_2) | instskip(NEXT) | instid1(VALU_DEP_1)
	v_cmp_eq_u32_e64 s0, 0, v2
	v_cndmask_b32_e64 v91, v3, v1, s0
; %bb.277:                              ;   in Loop: Header=BB163_40 Depth=1
	s_or_b32 exec_lo, exec_lo, s10
	global_load_b128 v[1:4], v[5:6], off offset:3072
	s_waitcnt vmcnt(0)
	v_lshrrev_b32_e32 v5, 16, v1
	v_lshrrev_b32_e32 v6, 16, v2
	;; [unrolled: 1-line block ×4, first 2 shown]
	s_and_saveexec_b32 s0, vcc_lo
	s_cbranch_execz .LBB163_279
; %bb.278:                              ;   in Loop: Header=BB163_40 Depth=1
	v_cmp_gt_i32_e32 vcc_lo, s33, v36
	v_cndmask_b32_e32 v1, 0, v1, vcc_lo
	v_cmp_gt_i32_e32 vcc_lo, s33, v43
	v_cndmask_b32_e32 v5, 0, v5, vcc_lo
	;; [unrolled: 2-line block ×8, first 2 shown]
.LBB163_279:                            ;   in Loop: Header=BB163_40 Depth=1
	s_or_b32 exec_lo, exec_lo, s0
	v_lshlrev_b32_e32 v1, 16, v1
	s_delay_alu instid0(VALU_DEP_1) | instskip(NEXT) | instid1(VALU_DEP_1)
	v_mul_f32_e32 v36, v45, v1
	v_and_b32_e32 v1, 0x7f800000, v36
	s_delay_alu instid0(VALU_DEP_1) | instskip(SKIP_1) | instid1(SALU_CYCLE_1)
	v_cmp_ne_u32_e32 vcc_lo, 0x7f800000, v1
                                        ; implicit-def: $vgpr1
	s_and_saveexec_b32 s0, vcc_lo
	s_xor_b32 s0, exec_lo, s0
; %bb.280:                              ;   in Loop: Header=BB163_40 Depth=1
	v_bfe_u32 v1, v36, 16, 1
	s_delay_alu instid0(VALU_DEP_1)
	v_add3_u32 v1, v36, v1, 0x7fff
                                        ; implicit-def: $vgpr36
; %bb.281:                              ;   in Loop: Header=BB163_40 Depth=1
	s_and_not1_saveexec_b32 s0, s0
; %bb.282:                              ;   in Loop: Header=BB163_40 Depth=1
	v_and_b32_e32 v1, 0xffff, v36
	v_or_b32_e32 v37, 0x10000, v36
	s_delay_alu instid0(VALU_DEP_2) | instskip(NEXT) | instid1(VALU_DEP_2)
	v_cmp_eq_u32_e32 vcc_lo, 0, v1
	v_cndmask_b32_e32 v1, v37, v36, vcc_lo
; %bb.283:                              ;   in Loop: Header=BB163_40 Depth=1
	s_or_b32 exec_lo, exec_lo, s0
	v_lshlrev_b32_e32 v5, 16, v5
	s_delay_alu instid0(VALU_DEP_1) | instskip(NEXT) | instid1(VALU_DEP_1)
	v_mul_f32_e32 v36, v46, v5
	v_and_b32_e32 v5, 0x7f800000, v36
	s_delay_alu instid0(VALU_DEP_1) | instskip(SKIP_1) | instid1(SALU_CYCLE_1)
	v_cmp_ne_u32_e32 vcc_lo, 0x7f800000, v5
                                        ; implicit-def: $vgpr5
	s_and_saveexec_b32 s0, vcc_lo
	s_xor_b32 s0, exec_lo, s0
; %bb.284:                              ;   in Loop: Header=BB163_40 Depth=1
	v_bfe_u32 v5, v36, 16, 1
	s_delay_alu instid0(VALU_DEP_1)
	v_add3_u32 v5, v36, v5, 0x7fff
                                        ; implicit-def: $vgpr36
; %bb.285:                              ;   in Loop: Header=BB163_40 Depth=1
	s_and_not1_saveexec_b32 s0, s0
; %bb.286:                              ;   in Loop: Header=BB163_40 Depth=1
	v_and_b32_e32 v5, 0xffff, v36
	v_or_b32_e32 v37, 0x10000, v36
	s_delay_alu instid0(VALU_DEP_2) | instskip(NEXT) | instid1(VALU_DEP_2)
	v_cmp_eq_u32_e32 vcc_lo, 0, v5
	v_cndmask_b32_e32 v5, v37, v36, vcc_lo
; %bb.287:                              ;   in Loop: Header=BB163_40 Depth=1
	s_or_b32 exec_lo, exec_lo, s0
	v_lshlrev_b32_e32 v2, 16, v2
	s_delay_alu instid0(VALU_DEP_1) | instskip(NEXT) | instid1(VALU_DEP_1)
	v_mul_f32_e32 v36, v47, v2
	v_and_b32_e32 v2, 0x7f800000, v36
	s_delay_alu instid0(VALU_DEP_1) | instskip(SKIP_1) | instid1(SALU_CYCLE_1)
	v_cmp_ne_u32_e32 vcc_lo, 0x7f800000, v2
                                        ; implicit-def: $vgpr2
	s_and_saveexec_b32 s0, vcc_lo
	s_xor_b32 s0, exec_lo, s0
; %bb.288:                              ;   in Loop: Header=BB163_40 Depth=1
	v_bfe_u32 v2, v36, 16, 1
	s_delay_alu instid0(VALU_DEP_1)
	v_add3_u32 v2, v36, v2, 0x7fff
                                        ; implicit-def: $vgpr36
; %bb.289:                              ;   in Loop: Header=BB163_40 Depth=1
	s_and_not1_saveexec_b32 s0, s0
; %bb.290:                              ;   in Loop: Header=BB163_40 Depth=1
	v_and_b32_e32 v2, 0xffff, v36
	v_or_b32_e32 v37, 0x10000, v36
	s_delay_alu instid0(VALU_DEP_2) | instskip(NEXT) | instid1(VALU_DEP_2)
	v_cmp_eq_u32_e32 vcc_lo, 0, v2
	v_cndmask_b32_e32 v2, v37, v36, vcc_lo
; %bb.291:                              ;   in Loop: Header=BB163_40 Depth=1
	s_or_b32 exec_lo, exec_lo, s0
	v_lshlrev_b32_e32 v6, 16, v6
	s_delay_alu instid0(VALU_DEP_1) | instskip(NEXT) | instid1(VALU_DEP_1)
	v_mul_f32_e32 v36, v48, v6
	v_and_b32_e32 v6, 0x7f800000, v36
	s_delay_alu instid0(VALU_DEP_1) | instskip(SKIP_1) | instid1(SALU_CYCLE_1)
	v_cmp_ne_u32_e32 vcc_lo, 0x7f800000, v6
                                        ; implicit-def: $vgpr6
	s_and_saveexec_b32 s0, vcc_lo
	s_xor_b32 s0, exec_lo, s0
; %bb.292:                              ;   in Loop: Header=BB163_40 Depth=1
	v_bfe_u32 v6, v36, 16, 1
	s_delay_alu instid0(VALU_DEP_1)
	v_add3_u32 v6, v36, v6, 0x7fff
                                        ; implicit-def: $vgpr36
; %bb.293:                              ;   in Loop: Header=BB163_40 Depth=1
	s_and_not1_saveexec_b32 s0, s0
; %bb.294:                              ;   in Loop: Header=BB163_40 Depth=1
	v_and_b32_e32 v6, 0xffff, v36
	v_or_b32_e32 v37, 0x10000, v36
	s_delay_alu instid0(VALU_DEP_2) | instskip(NEXT) | instid1(VALU_DEP_2)
	v_cmp_eq_u32_e32 vcc_lo, 0, v6
	v_cndmask_b32_e32 v6, v37, v36, vcc_lo
; %bb.295:                              ;   in Loop: Header=BB163_40 Depth=1
	s_or_b32 exec_lo, exec_lo, s0
	v_lshlrev_b32_e32 v3, 16, v3
	s_delay_alu instid0(VALU_DEP_1) | instskip(NEXT) | instid1(VALU_DEP_1)
	v_mul_f32_e32 v36, v49, v3
	v_and_b32_e32 v3, 0x7f800000, v36
	s_delay_alu instid0(VALU_DEP_1) | instskip(SKIP_1) | instid1(SALU_CYCLE_1)
	v_cmp_ne_u32_e32 vcc_lo, 0x7f800000, v3
                                        ; implicit-def: $vgpr3
	s_and_saveexec_b32 s0, vcc_lo
	s_xor_b32 s0, exec_lo, s0
; %bb.296:                              ;   in Loop: Header=BB163_40 Depth=1
	v_bfe_u32 v3, v36, 16, 1
	s_delay_alu instid0(VALU_DEP_1)
	v_add3_u32 v3, v36, v3, 0x7fff
                                        ; implicit-def: $vgpr36
; %bb.297:                              ;   in Loop: Header=BB163_40 Depth=1
	s_and_not1_saveexec_b32 s0, s0
; %bb.298:                              ;   in Loop: Header=BB163_40 Depth=1
	v_and_b32_e32 v3, 0xffff, v36
	v_or_b32_e32 v37, 0x10000, v36
	s_delay_alu instid0(VALU_DEP_2) | instskip(NEXT) | instid1(VALU_DEP_2)
	v_cmp_eq_u32_e32 vcc_lo, 0, v3
	v_cndmask_b32_e32 v3, v37, v36, vcc_lo
; %bb.299:                              ;   in Loop: Header=BB163_40 Depth=1
	s_or_b32 exec_lo, exec_lo, s0
	v_lshlrev_b32_e32 v36, 16, v93
	s_delay_alu instid0(VALU_DEP_1) | instskip(NEXT) | instid1(VALU_DEP_1)
	v_mul_f32_e32 v37, v50, v36
	v_and_b32_e32 v36, 0x7f800000, v37
	s_delay_alu instid0(VALU_DEP_1) | instskip(SKIP_1) | instid1(SALU_CYCLE_1)
	v_cmp_ne_u32_e32 vcc_lo, 0x7f800000, v36
                                        ; implicit-def: $vgpr36
	s_and_saveexec_b32 s0, vcc_lo
	s_xor_b32 s0, exec_lo, s0
; %bb.300:                              ;   in Loop: Header=BB163_40 Depth=1
	v_bfe_u32 v36, v37, 16, 1
	s_delay_alu instid0(VALU_DEP_1)
	v_add3_u32 v36, v37, v36, 0x7fff
                                        ; implicit-def: $vgpr37
; %bb.301:                              ;   in Loop: Header=BB163_40 Depth=1
	s_and_not1_saveexec_b32 s0, s0
; %bb.302:                              ;   in Loop: Header=BB163_40 Depth=1
	v_and_b32_e32 v36, 0xffff, v37
	v_or_b32_e32 v38, 0x10000, v37
	s_delay_alu instid0(VALU_DEP_2) | instskip(NEXT) | instid1(VALU_DEP_2)
	v_cmp_eq_u32_e32 vcc_lo, 0, v36
	v_cndmask_b32_e32 v36, v38, v37, vcc_lo
; %bb.303:                              ;   in Loop: Header=BB163_40 Depth=1
	s_or_b32 exec_lo, exec_lo, s0
	v_lshlrev_b32_e32 v4, 16, v4
	s_delay_alu instid0(VALU_DEP_1) | instskip(NEXT) | instid1(VALU_DEP_1)
	v_mul_f32_e32 v37, v51, v4
	v_and_b32_e32 v4, 0x7f800000, v37
	s_delay_alu instid0(VALU_DEP_1) | instskip(SKIP_1) | instid1(SALU_CYCLE_1)
	v_cmp_ne_u32_e32 vcc_lo, 0x7f800000, v4
                                        ; implicit-def: $vgpr4
	s_and_saveexec_b32 s0, vcc_lo
	s_xor_b32 s0, exec_lo, s0
; %bb.304:                              ;   in Loop: Header=BB163_40 Depth=1
	v_bfe_u32 v4, v37, 16, 1
	s_delay_alu instid0(VALU_DEP_1)
	v_add3_u32 v4, v37, v4, 0x7fff
                                        ; implicit-def: $vgpr37
; %bb.305:                              ;   in Loop: Header=BB163_40 Depth=1
	s_and_not1_saveexec_b32 s0, s0
; %bb.306:                              ;   in Loop: Header=BB163_40 Depth=1
	v_and_b32_e32 v4, 0xffff, v37
	v_or_b32_e32 v38, 0x10000, v37
	s_delay_alu instid0(VALU_DEP_2) | instskip(NEXT) | instid1(VALU_DEP_2)
	v_cmp_eq_u32_e32 vcc_lo, 0, v4
	v_cndmask_b32_e32 v4, v38, v37, vcc_lo
; %bb.307:                              ;   in Loop: Header=BB163_40 Depth=1
	s_or_b32 exec_lo, exec_lo, s0
	v_lshlrev_b32_e32 v37, 16, v92
	s_delay_alu instid0(VALU_DEP_1) | instskip(NEXT) | instid1(VALU_DEP_1)
	v_mul_f32_e32 v38, v52, v37
	v_and_b32_e32 v37, 0x7f800000, v38
	s_delay_alu instid0(VALU_DEP_1) | instskip(SKIP_1) | instid1(SALU_CYCLE_1)
	v_cmp_ne_u32_e32 vcc_lo, 0x7f800000, v37
                                        ; implicit-def: $vgpr37
	s_and_saveexec_b32 s0, vcc_lo
	s_xor_b32 s0, exec_lo, s0
; %bb.308:                              ;   in Loop: Header=BB163_40 Depth=1
	v_bfe_u32 v37, v38, 16, 1
	s_delay_alu instid0(VALU_DEP_1)
	v_add3_u32 v37, v38, v37, 0x7fff
                                        ; implicit-def: $vgpr38
; %bb.309:                              ;   in Loop: Header=BB163_40 Depth=1
	s_and_not1_saveexec_b32 s0, s0
	s_cbranch_execz .LBB163_38
; %bb.310:                              ;   in Loop: Header=BB163_40 Depth=1
	v_and_b32_e32 v37, 0xffff, v38
	v_or_b32_e32 v39, 0x10000, v38
	s_delay_alu instid0(VALU_DEP_2) | instskip(NEXT) | instid1(VALU_DEP_2)
	v_cmp_eq_u32_e32 vcc_lo, 0, v37
	v_cndmask_b32_e32 v37, v39, v38, vcc_lo
	s_branch .LBB163_38
.LBB163_311:
	s_or_b32 exec_lo, exec_lo, s3
.LBB163_312:
	s_delay_alu instid0(SALU_CYCLE_1)
	s_or_b32 exec_lo, exec_lo, s1
	ds_bpermute_b32 v1, v17, v18
	ds_bpermute_b32 v2, v17, v22
	;; [unrolled: 1-line block ×7, first 2 shown]
	v_and_b32_e32 v4, 0x3c1, v0
	v_lshrrev_b32_e32 v8, 1, v16
	s_movk_i32 s0, 0x1c0
	s_waitcnt lgkmcnt(0)
	s_waitcnt_vscnt null, 0x0
	v_mad_u32_u24 v9, v14, s0, 0x100
	s_barrier
	buffer_gl0_inv
	v_add_f32_e32 v7, v18, v1
	v_cmp_eq_u32_e32 vcc_lo, 64, v4
	v_dual_add_f32 v5, v22, v2 :: v_dual_add_f32 v4, v23, v3
	v_add_f32_e32 v3, v19, v6
	v_dual_add_f32 v2, v20, v10 :: v_dual_add_f32 v1, v21, v11
	v_add_f32_e32 v6, v24, v15
	v_lshlrev_b32_e32 v10, 2, v8
	s_and_saveexec_b32 s0, vcc_lo
	s_cbranch_execz .LBB163_314
; %bb.313:
	s_delay_alu instid0(VALU_DEP_1)
	v_add3_u32 v11, v9, v10, 0xfffffc80
	ds_store_2addr_b32 v11, v7, v5 offset1:16
	ds_store_2addr_b32 v11, v4, v3 offset0:32 offset1:48
	ds_store_2addr_b32 v11, v2, v1 offset0:64 offset1:80
	ds_store_b32 v11, v6 offset:384
.LBB163_314:
	s_or_b32 exec_lo, exec_lo, s0
	v_cmp_eq_u32_e32 vcc_lo, 0, v13
	s_mov_b32 s1, exec_lo
	s_waitcnt lgkmcnt(0)
	s_barrier
	buffer_gl0_inv
	v_cmpx_gt_u32_e32 64, v0
	s_cbranch_execz .LBB163_324
; %bb.315:
	s_and_saveexec_b32 s0, vcc_lo
	s_cbranch_execnz .LBB163_368
; %bb.316:
	s_or_b32 exec_lo, exec_lo, s0
	s_and_saveexec_b32 s0, vcc_lo
	s_cbranch_execnz .LBB163_369
.LBB163_317:
	s_or_b32 exec_lo, exec_lo, s0
	s_and_saveexec_b32 s0, vcc_lo
	s_cbranch_execnz .LBB163_370
.LBB163_318:
	s_or_b32 exec_lo, exec_lo, s0
	s_and_saveexec_b32 s0, vcc_lo
	s_cbranch_execnz .LBB163_371
.LBB163_319:
	s_or_b32 exec_lo, exec_lo, s0
	s_and_saveexec_b32 s0, vcc_lo
	s_cbranch_execnz .LBB163_372
.LBB163_320:
	s_or_b32 exec_lo, exec_lo, s0
	s_and_saveexec_b32 s0, vcc_lo
	s_cbranch_execnz .LBB163_373
.LBB163_321:
	s_or_b32 exec_lo, exec_lo, s0
	s_and_saveexec_b32 s0, vcc_lo
	s_cbranch_execz .LBB163_323
.LBB163_322:
	v_lshl_add_u32 v11, v8, 2, v9
	ds_load_b32 v11, v11 offset:384
	s_waitcnt lgkmcnt(0)
	v_add_f32_e32 v6, v6, v11
.LBB163_323:
	s_or_b32 exec_lo, exec_lo, s0
.LBB163_324:
	s_delay_alu instid0(SALU_CYCLE_1)
	s_or_b32 exec_lo, exec_lo, s1
	v_and_b32_e32 v11, 0x3e1, v0
	s_mov_b32 s1, exec_lo
	s_barrier
	buffer_gl0_inv
	v_cmpx_eq_u32_e32 32, v11
	s_cbranch_execz .LBB163_326
; %bb.325:
	v_add3_u32 v10, v9, v10, 0xfffffe40
	ds_store_2addr_b32 v10, v7, v5 offset1:16
	ds_store_2addr_b32 v10, v4, v3 offset0:32 offset1:48
	ds_store_2addr_b32 v10, v2, v1 offset0:64 offset1:80
	ds_store_b32 v10, v6 offset:384
.LBB163_326:
	s_or_b32 exec_lo, exec_lo, s1
	v_cmp_gt_u32_e64 s0, 32, v0
	s_waitcnt lgkmcnt(0)
	s_barrier
	buffer_gl0_inv
	s_and_saveexec_b32 s1, s0
	s_cbranch_execz .LBB163_336
; %bb.327:
	v_lshl_add_u32 v0, v8, 2, v9
	s_and_saveexec_b32 s2, vcc_lo
	s_cbranch_execnz .LBB163_374
; %bb.328:
	s_or_b32 exec_lo, exec_lo, s2
	s_and_saveexec_b32 s2, vcc_lo
	s_cbranch_execnz .LBB163_375
.LBB163_329:
	s_or_b32 exec_lo, exec_lo, s2
	s_and_saveexec_b32 s2, vcc_lo
	s_cbranch_execnz .LBB163_376
.LBB163_330:
	s_or_b32 exec_lo, exec_lo, s2
	s_and_saveexec_b32 s2, vcc_lo
	s_cbranch_execnz .LBB163_377
.LBB163_331:
	s_or_b32 exec_lo, exec_lo, s2
	s_and_saveexec_b32 s2, vcc_lo
	s_cbranch_execnz .LBB163_378
.LBB163_332:
	s_or_b32 exec_lo, exec_lo, s2
	s_and_saveexec_b32 s2, vcc_lo
	s_cbranch_execnz .LBB163_379
.LBB163_333:
	s_or_b32 exec_lo, exec_lo, s2
	s_and_saveexec_b32 s2, vcc_lo
	s_cbranch_execz .LBB163_335
.LBB163_334:
	ds_load_b32 v0, v0 offset:384
	s_waitcnt lgkmcnt(0)
	v_add_f32_e32 v6, v6, v0
.LBB163_335:
	s_or_b32 exec_lo, exec_lo, s2
.LBB163_336:
	s_delay_alu instid0(SALU_CYCLE_1)
	s_or_b32 exec_lo, exec_lo, s1
	s_barrier
	buffer_gl0_inv
	s_and_saveexec_b32 s1, s0
	s_cbranch_execz .LBB163_367
; %bb.337:
	s_and_b32 exec_lo, exec_lo, vcc_lo
	s_cbranch_execz .LBB163_367
; %bb.338:
	v_and_b32_e32 v0, 0x7f800000, v7
	s_delay_alu instid0(VALU_DEP_1) | instskip(SKIP_1) | instid1(SALU_CYCLE_1)
	v_cmp_ne_u32_e32 vcc_lo, 0x7f800000, v0
                                        ; implicit-def: $vgpr0
	s_and_saveexec_b32 s0, vcc_lo
	s_xor_b32 s0, exec_lo, s0
; %bb.339:
	v_bfe_u32 v0, v7, 16, 1
	s_delay_alu instid0(VALU_DEP_1)
	v_add3_u32 v0, v7, v0, 0x7fff
; %bb.340:
	s_and_not1_saveexec_b32 s0, s0
; %bb.341:
	v_and_b32_e32 v0, 0xffff, v7
	v_or_b32_e32 v8, 0x10000, v7
	s_delay_alu instid0(VALU_DEP_2) | instskip(NEXT) | instid1(VALU_DEP_2)
	v_cmp_eq_u32_e32 vcc_lo, 0, v0
	v_cndmask_b32_e32 v0, v8, v7, vcc_lo
; %bb.342:
	s_or_b32 exec_lo, exec_lo, s0
	s_mul_i32 s0, s4, s14
	s_mul_i32 s2, s4, s20
	;; [unrolled: 1-line block ×3, first 2 shown]
	v_lshlrev_b32_e32 v9, 1, v12
	s_mulk_i32 s0, 0x70
	v_and_b32_e32 v10, 0x7f800000, v5
	s_ashr_i32 s1, s0, 31
	s_delay_alu instid0(SALU_CYCLE_1) | instskip(NEXT) | instid1(SALU_CYCLE_1)
	s_lshl_b64 s[0:1], s[0:1], 1
	s_add_u32 s4, s22, s0
	s_addc_u32 s5, s23, s1
	s_ashr_i32 s3, s2, 31
	s_delay_alu instid0(SALU_CYCLE_1) | instskip(SKIP_4) | instid1(SALU_CYCLE_1)
	s_lshl_b64 s[0:1], s[2:3], 1
	s_mul_i32 s2, s12, 0x70
	s_add_u32 s4, s4, s0
	s_addc_u32 s5, s5, s1
	s_ashr_i32 s3, s2, 31
	s_lshl_b64 s[0:1], s[2:3], 1
	s_delay_alu instid0(SALU_CYCLE_1) | instskip(SKIP_2) | instid1(VALU_DEP_1)
	s_add_u32 s0, s4, s0
	s_addc_u32 s1, s5, s1
	v_add_co_u32 v7, s2, s0, v9
	v_add_co_ci_u32_e64 v8, null, s1, 0, s2
	global_store_d16_hi_b16 v9, v0, s[0:1]
	s_mov_b32 s0, exec_lo
                                        ; implicit-def: $vgpr0
	v_cmpx_ne_u32_e32 0x7f800000, v10
	s_xor_b32 s0, exec_lo, s0
; %bb.343:
	v_bfe_u32 v0, v5, 16, 1
	s_delay_alu instid0(VALU_DEP_1)
	v_add3_u32 v0, v5, v0, 0x7fff
; %bb.344:
	s_and_not1_saveexec_b32 s0, s0
; %bb.345:
	v_and_b32_e32 v0, 0xffff, v5
	v_or_b32_e32 v9, 0x10000, v5
	s_delay_alu instid0(VALU_DEP_2) | instskip(NEXT) | instid1(VALU_DEP_2)
	v_cmp_eq_u32_e32 vcc_lo, 0, v0
	v_cndmask_b32_e32 v0, v9, v5, vcc_lo
; %bb.346:
	s_or_b32 exec_lo, exec_lo, s0
	v_and_b32_e32 v5, 0x7f800000, v4
	s_mov_b32 s0, exec_lo
	global_store_d16_hi_b16 v[7:8], v0, off offset:32
                                        ; implicit-def: $vgpr0
	v_cmpx_ne_u32_e32 0x7f800000, v5
	s_xor_b32 s0, exec_lo, s0
; %bb.347:
	v_bfe_u32 v0, v4, 16, 1
	s_delay_alu instid0(VALU_DEP_1)
	v_add3_u32 v0, v4, v0, 0x7fff
; %bb.348:
	s_and_not1_saveexec_b32 s0, s0
; %bb.349:
	v_and_b32_e32 v0, 0xffff, v4
	v_or_b32_e32 v5, 0x10000, v4
	s_delay_alu instid0(VALU_DEP_2) | instskip(NEXT) | instid1(VALU_DEP_2)
	v_cmp_eq_u32_e32 vcc_lo, 0, v0
	v_cndmask_b32_e32 v0, v5, v4, vcc_lo
; %bb.350:
	s_or_b32 exec_lo, exec_lo, s0
	v_and_b32_e32 v4, 0x7f800000, v3
	s_mov_b32 s0, exec_lo
	global_store_d16_hi_b16 v[7:8], v0, off offset:64
	;; [unrolled: 20-line block ×5, first 2 shown]
                                        ; implicit-def: $vgpr9
	v_cmpx_ne_u32_e32 0x7f800000, v1
	s_xor_b32 s0, exec_lo, s0
; %bb.363:
	v_bfe_u32 v0, v6, 16, 1
	s_delay_alu instid0(VALU_DEP_1)
	v_add3_u32 v9, v6, v0, 0x7fff
                                        ; implicit-def: $vgpr0_vgpr1_vgpr2_vgpr3_vgpr4_vgpr5_vgpr6
; %bb.364:
	s_and_not1_saveexec_b32 s0, s0
; %bb.365:
	v_and_b32_e32 v0, 0xffff, v6
	v_or_b32_e32 v1, 0x10000, v6
	s_delay_alu instid0(VALU_DEP_2) | instskip(NEXT) | instid1(VALU_DEP_2)
	v_cmp_eq_u32_e32 vcc_lo, 0, v0
	v_cndmask_b32_e32 v9, v1, v6, vcc_lo
; %bb.366:
	s_or_b32 exec_lo, exec_lo, s0
	global_store_d16_hi_b16 v[7:8], v9, off offset:192
.LBB163_367:
	s_nop 0
	s_sendmsg sendmsg(MSG_DEALLOC_VGPRS)
	s_endpgm
.LBB163_368:
	v_lshl_add_u32 v11, v8, 2, v9
	ds_load_b32 v11, v11
	s_waitcnt lgkmcnt(0)
	v_add_f32_e32 v7, v7, v11
	s_or_b32 exec_lo, exec_lo, s0
	s_and_saveexec_b32 s0, vcc_lo
	s_cbranch_execz .LBB163_317
.LBB163_369:
	v_lshl_add_u32 v11, v8, 2, v9
	ds_load_b32 v11, v11 offset:64
	s_waitcnt lgkmcnt(0)
	v_add_f32_e32 v5, v5, v11
	s_or_b32 exec_lo, exec_lo, s0
	s_and_saveexec_b32 s0, vcc_lo
	s_cbranch_execz .LBB163_318
.LBB163_370:
	v_lshl_add_u32 v11, v8, 2, v9
	ds_load_b32 v11, v11 offset:128
	s_waitcnt lgkmcnt(0)
	v_add_f32_e32 v4, v4, v11
	s_or_b32 exec_lo, exec_lo, s0
	s_and_saveexec_b32 s0, vcc_lo
	s_cbranch_execz .LBB163_319
.LBB163_371:
	v_lshl_add_u32 v11, v8, 2, v9
	ds_load_b32 v11, v11 offset:192
	s_waitcnt lgkmcnt(0)
	v_add_f32_e32 v3, v3, v11
	s_or_b32 exec_lo, exec_lo, s0
	s_and_saveexec_b32 s0, vcc_lo
	s_cbranch_execz .LBB163_320
.LBB163_372:
	v_lshl_add_u32 v11, v8, 2, v9
	ds_load_b32 v11, v11 offset:256
	s_waitcnt lgkmcnt(0)
	v_add_f32_e32 v2, v2, v11
	s_or_b32 exec_lo, exec_lo, s0
	s_and_saveexec_b32 s0, vcc_lo
	s_cbranch_execz .LBB163_321
.LBB163_373:
	v_lshl_add_u32 v11, v8, 2, v9
	ds_load_b32 v11, v11 offset:320
	s_waitcnt lgkmcnt(0)
	v_add_f32_e32 v1, v1, v11
	s_or_b32 exec_lo, exec_lo, s0
	s_and_saveexec_b32 s0, vcc_lo
	s_cbranch_execnz .LBB163_322
	s_branch .LBB163_323
.LBB163_374:
	ds_load_b32 v8, v0
	s_waitcnt lgkmcnt(0)
	v_add_f32_e32 v7, v7, v8
	s_or_b32 exec_lo, exec_lo, s2
	s_and_saveexec_b32 s2, vcc_lo
	s_cbranch_execz .LBB163_329
.LBB163_375:
	ds_load_b32 v8, v0 offset:64
	s_waitcnt lgkmcnt(0)
	v_add_f32_e32 v5, v5, v8
	s_or_b32 exec_lo, exec_lo, s2
	s_and_saveexec_b32 s2, vcc_lo
	s_cbranch_execz .LBB163_330
.LBB163_376:
	ds_load_b32 v8, v0 offset:128
	s_waitcnt lgkmcnt(0)
	v_add_f32_e32 v4, v4, v8
	s_or_b32 exec_lo, exec_lo, s2
	s_and_saveexec_b32 s2, vcc_lo
	s_cbranch_execz .LBB163_331
.LBB163_377:
	ds_load_b32 v8, v0 offset:192
	s_waitcnt lgkmcnt(0)
	v_add_f32_e32 v3, v3, v8
	s_or_b32 exec_lo, exec_lo, s2
	s_and_saveexec_b32 s2, vcc_lo
	s_cbranch_execz .LBB163_332
.LBB163_378:
	ds_load_b32 v8, v0 offset:256
	s_waitcnt lgkmcnt(0)
	v_add_f32_e32 v2, v2, v8
	s_or_b32 exec_lo, exec_lo, s2
	s_and_saveexec_b32 s2, vcc_lo
	s_cbranch_execz .LBB163_333
.LBB163_379:
	ds_load_b32 v8, v0 offset:320
	s_waitcnt lgkmcnt(0)
	v_add_f32_e32 v1, v1, v8
	s_or_b32 exec_lo, exec_lo, s2
	s_and_saveexec_b32 s2, vcc_lo
	s_cbranch_execnz .LBB163_334
	s_branch .LBB163_335
	.section	.rodata,"a",@progbits
	.p2align	6, 0x0
	.amdhsa_kernel _ZN4vllm25paged_attention_v2_kernelI14__hip_bfloat16S1_Li112ELi16ELi128ELNS_18Fp8KVCacheDataTypeE0ELb1ELi512EEEvPfS3_PT_PKS4_PKT0_SA_ifPKiSC_iPKfiiiSE_SE_iiiii
		.amdhsa_group_segment_fixed_size 256
		.amdhsa_private_segment_fixed_size 0
		.amdhsa_kernarg_size 400
		.amdhsa_user_sgpr_count 13
		.amdhsa_user_sgpr_dispatch_ptr 0
		.amdhsa_user_sgpr_queue_ptr 0
		.amdhsa_user_sgpr_kernarg_segment_ptr 1
		.amdhsa_user_sgpr_dispatch_id 0
		.amdhsa_user_sgpr_private_segment_size 0
		.amdhsa_wavefront_size32 1
		.amdhsa_uses_dynamic_stack 0
		.amdhsa_enable_private_segment 0
		.amdhsa_system_sgpr_workgroup_id_x 1
		.amdhsa_system_sgpr_workgroup_id_y 1
		.amdhsa_system_sgpr_workgroup_id_z 1
		.amdhsa_system_sgpr_workgroup_info 0
		.amdhsa_system_vgpr_workitem_id 0
		.amdhsa_next_free_vgpr 128
		.amdhsa_next_free_sgpr 45
		.amdhsa_reserve_vcc 1
		.amdhsa_float_round_mode_32 0
		.amdhsa_float_round_mode_16_64 0
		.amdhsa_float_denorm_mode_32 3
		.amdhsa_float_denorm_mode_16_64 3
		.amdhsa_dx10_clamp 1
		.amdhsa_ieee_mode 1
		.amdhsa_fp16_overflow 0
		.amdhsa_workgroup_processor_mode 1
		.amdhsa_memory_ordered 1
		.amdhsa_forward_progress 0
		.amdhsa_shared_vgpr_count 0
		.amdhsa_exception_fp_ieee_invalid_op 0
		.amdhsa_exception_fp_denorm_src 0
		.amdhsa_exception_fp_ieee_div_zero 0
		.amdhsa_exception_fp_ieee_overflow 0
		.amdhsa_exception_fp_ieee_underflow 0
		.amdhsa_exception_fp_ieee_inexact 0
		.amdhsa_exception_int_div_zero 0
	.end_amdhsa_kernel
	.section	.text._ZN4vllm25paged_attention_v2_kernelI14__hip_bfloat16S1_Li112ELi16ELi128ELNS_18Fp8KVCacheDataTypeE0ELb1ELi512EEEvPfS3_PT_PKS4_PKT0_SA_ifPKiSC_iPKfiiiSE_SE_iiiii,"axG",@progbits,_ZN4vllm25paged_attention_v2_kernelI14__hip_bfloat16S1_Li112ELi16ELi128ELNS_18Fp8KVCacheDataTypeE0ELb1ELi512EEEvPfS3_PT_PKS4_PKT0_SA_ifPKiSC_iPKfiiiSE_SE_iiiii,comdat
.Lfunc_end163:
	.size	_ZN4vllm25paged_attention_v2_kernelI14__hip_bfloat16S1_Li112ELi16ELi128ELNS_18Fp8KVCacheDataTypeE0ELb1ELi512EEEvPfS3_PT_PKS4_PKT0_SA_ifPKiSC_iPKfiiiSE_SE_iiiii, .Lfunc_end163-_ZN4vllm25paged_attention_v2_kernelI14__hip_bfloat16S1_Li112ELi16ELi128ELNS_18Fp8KVCacheDataTypeE0ELb1ELi512EEEvPfS3_PT_PKS4_PKT0_SA_ifPKiSC_iPKfiiiSE_SE_iiiii
                                        ; -- End function
	.section	.AMDGPU.csdata,"",@progbits
; Kernel info:
; codeLenInByte = 15512
; NumSgprs: 47
; NumVgprs: 128
; ScratchSize: 0
; MemoryBound: 0
; FloatMode: 240
; IeeeMode: 1
; LDSByteSize: 256 bytes/workgroup (compile time only)
; SGPRBlocks: 5
; VGPRBlocks: 15
; NumSGPRsForWavesPerEU: 47
; NumVGPRsForWavesPerEU: 128
; Occupancy: 10
; WaveLimiterHint : 1
; COMPUTE_PGM_RSRC2:SCRATCH_EN: 0
; COMPUTE_PGM_RSRC2:USER_SGPR: 13
; COMPUTE_PGM_RSRC2:TRAP_HANDLER: 0
; COMPUTE_PGM_RSRC2:TGID_X_EN: 1
; COMPUTE_PGM_RSRC2:TGID_Y_EN: 1
; COMPUTE_PGM_RSRC2:TGID_Z_EN: 1
; COMPUTE_PGM_RSRC2:TIDIG_COMP_CNT: 0
	.section	.text._ZN4vllm25paged_attention_v2_kernelI14__hip_bfloat16S1_Li120ELi16ELi128ELNS_18Fp8KVCacheDataTypeE0ELb1ELi512EEEvPfS3_PT_PKS4_PKT0_SA_ifPKiSC_iPKfiiiSE_SE_iiiii,"axG",@progbits,_ZN4vllm25paged_attention_v2_kernelI14__hip_bfloat16S1_Li120ELi16ELi128ELNS_18Fp8KVCacheDataTypeE0ELb1ELi512EEEvPfS3_PT_PKS4_PKT0_SA_ifPKiSC_iPKfiiiSE_SE_iiiii,comdat
	.protected	_ZN4vllm25paged_attention_v2_kernelI14__hip_bfloat16S1_Li120ELi16ELi128ELNS_18Fp8KVCacheDataTypeE0ELb1ELi512EEEvPfS3_PT_PKS4_PKT0_SA_ifPKiSC_iPKfiiiSE_SE_iiiii ; -- Begin function _ZN4vllm25paged_attention_v2_kernelI14__hip_bfloat16S1_Li120ELi16ELi128ELNS_18Fp8KVCacheDataTypeE0ELb1ELi512EEEvPfS3_PT_PKS4_PKT0_SA_ifPKiSC_iPKfiiiSE_SE_iiiii
	.globl	_ZN4vllm25paged_attention_v2_kernelI14__hip_bfloat16S1_Li120ELi16ELi128ELNS_18Fp8KVCacheDataTypeE0ELb1ELi512EEEvPfS3_PT_PKS4_PKT0_SA_ifPKiSC_iPKfiiiSE_SE_iiiii
	.p2align	8
	.type	_ZN4vllm25paged_attention_v2_kernelI14__hip_bfloat16S1_Li120ELi16ELi128ELNS_18Fp8KVCacheDataTypeE0ELb1ELi512EEEvPfS3_PT_PKS4_PKT0_SA_ifPKiSC_iPKfiiiSE_SE_iiiii,@function
_ZN4vllm25paged_attention_v2_kernelI14__hip_bfloat16S1_Li120ELi16ELi128ELNS_18Fp8KVCacheDataTypeE0ELb1ELi512EEEvPfS3_PT_PKS4_PKT0_SA_ifPKiSC_iPKfiiiSE_SE_iiiii: ; @_ZN4vllm25paged_attention_v2_kernelI14__hip_bfloat16S1_Li120ELi16ELi128ELNS_18Fp8KVCacheDataTypeE0ELb1ELi512EEEvPfS3_PT_PKS4_PKT0_SA_ifPKiSC_iPKfiiiSE_SE_iiiii
; %bb.0:
	s_load_b64 s[2:3], s[0:1], 0x40
	s_mov_b32 s12, s15
	s_ashr_i32 s15, s14, 31
	s_delay_alu instid0(SALU_CYCLE_1)
	s_lshl_b64 s[4:5], s[14:15], 2
	s_waitcnt lgkmcnt(0)
	s_add_u32 s2, s2, s4
	s_addc_u32 s3, s3, s5
	s_lshl_b32 s38, s12, 9
	s_load_b32 s15, s[2:3], 0x0
	s_waitcnt lgkmcnt(0)
	s_cmp_ge_i32 s38, s15
	s_cbranch_scc1 .LBB164_433
; %bb.1:
	s_mov_b32 s24, s13
	s_clause 0x1
	s_load_b32 s13, s[0:1], 0x90
	s_load_b64 s[36:37], s[0:1], 0x30
	s_mov_b32 s40, 0
	s_waitcnt lgkmcnt(0)
	s_abs_i32 s5, s13
	s_abs_i32 s2, s36
	s_delay_alu instid0(SALU_CYCLE_1) | instskip(SKIP_1) | instid1(VALU_DEP_1)
	v_cvt_f32_u32_e32 v1, s2
	s_sub_i32 s4, 0, s2
	v_rcp_iflag_f32_e32 v1, v1
	s_waitcnt_depctr 0xfff
	v_mul_f32_e32 v1, 0x4f7ffffe, v1
	s_delay_alu instid0(VALU_DEP_1) | instskip(NEXT) | instid1(VALU_DEP_1)
	v_cvt_u32_f32_e32 v1, v1
	v_readfirstlane_b32 s3, v1
	s_delay_alu instid0(VALU_DEP_1) | instskip(NEXT) | instid1(SALU_CYCLE_1)
	s_mul_i32 s4, s4, s3
	s_mul_hi_u32 s4, s3, s4
	s_delay_alu instid0(SALU_CYCLE_1) | instskip(SKIP_4) | instid1(SALU_CYCLE_1)
	s_add_i32 s3, s3, s4
	s_xor_b32 s4, s13, s36
	s_mul_hi_u32 s3, s5, s3
	s_ashr_i32 s4, s4, 31
	s_mul_i32 s6, s3, s2
	s_sub_i32 s5, s5, s6
	s_add_i32 s6, s3, 1
	s_sub_i32 s7, s5, s2
	s_cmp_ge_u32 s5, s2
	s_cselect_b32 s3, s6, s3
	s_cselect_b32 s5, s7, s5
	s_add_i32 s6, s3, 1
	s_cmp_ge_u32 s5, s2
	s_cselect_b32 s2, s6, s3
	s_abs_i32 s17, s24
	s_xor_b32 s2, s2, s4
	s_delay_alu instid0(SALU_CYCLE_1) | instskip(SKIP_2) | instid1(SALU_CYCLE_1)
	s_sub_i32 s8, s2, s4
	s_load_b64 s[2:3], s[0:1], 0x50
	s_abs_i32 s16, s8
	v_cvt_f32_u32_e32 v1, s16
	s_sub_i32 s5, 0, s16
	s_delay_alu instid0(VALU_DEP_1) | instskip(SKIP_2) | instid1(VALU_DEP_1)
	v_rcp_iflag_f32_e32 v1, v1
	s_waitcnt_depctr 0xfff
	v_mul_f32_e32 v1, 0x4f7ffffe, v1
	v_cvt_u32_f32_e32 v1, v1
	s_delay_alu instid0(VALU_DEP_1) | instskip(NEXT) | instid1(VALU_DEP_1)
	v_readfirstlane_b32 s4, v1
	s_mul_i32 s5, s5, s4
	s_delay_alu instid0(SALU_CYCLE_1) | instskip(NEXT) | instid1(SALU_CYCLE_1)
	s_mul_hi_u32 s5, s4, s5
	s_add_i32 s4, s4, s5
	s_waitcnt lgkmcnt(0)
	s_cmp_eq_u64 s[2:3], 0
	s_mul_hi_u32 s18, s17, s4
	s_cbranch_scc1 .LBB164_3
; %bb.2:
	s_ashr_i32 s25, s24, 31
	s_delay_alu instid0(SALU_CYCLE_1) | instskip(NEXT) | instid1(SALU_CYCLE_1)
	s_lshl_b64 s[4:5], s[24:25], 2
	s_add_u32 s2, s2, s4
	s_addc_u32 s3, s3, s5
	s_load_b32 s40, s[2:3], 0x0
.LBB164_3:
	s_load_b128 s[4:7], s[0:1], 0x58
	v_lshrrev_b32_e32 v12, 1, v0
	v_and_b32_e32 v13, 1, v0
	v_lshlrev_b32_e32 v11, 3, v0
	s_ashr_i32 s2, s24, 31
	s_ashr_i32 s3, s8, 31
	s_mul_i32 s20, s24, 0x78
	s_waitcnt lgkmcnt(0)
	s_mov_b32 s7, exec_lo
	v_cmpx_gt_u32_e32 30, v0
	s_cbranch_execz .LBB164_5
; %bb.4:
	s_load_b64 s[8:9], s[0:1], 0x18
	s_mul_i32 s10, s14, s4
	v_lshlrev_b32_e32 v3, 3, v12
	s_ashr_i32 s11, s10, 31
	s_delay_alu instid0(SALU_CYCLE_1) | instskip(NEXT) | instid1(VALU_DEP_1)
	s_lshl_b64 s[10:11], s[10:11], 1
	v_mad_u32_u24 v3, 0x78, v13, v3
	s_waitcnt lgkmcnt(0)
	s_add_u32 s4, s8, s10
	s_addc_u32 s10, s9, s11
	s_ashr_i32 s21, s20, 31
	s_delay_alu instid0(SALU_CYCLE_1) | instskip(NEXT) | instid1(SALU_CYCLE_1)
	s_lshl_b64 s[8:9], s[20:21], 1
	s_add_u32 s8, s4, s8
	s_addc_u32 s9, s10, s9
	global_load_b64 v[1:2], v11, s[8:9]
	s_waitcnt vmcnt(0)
	ds_store_b64 v3, v[1:2]
.LBB164_5:
	s_or_b32 exec_lo, exec_lo, s7
	s_load_b128 s[8:11], s[0:1], 0x78
	s_mul_i32 s4, s18, s16
	s_xor_b32 s2, s2, s3
	s_sub_i32 s3, s17, s4
	s_add_i32 s4, s18, 1
	s_sub_i32 s7, s3, s16
	s_cmp_ge_u32 s3, s16
	s_mov_b32 s17, -1
	s_cselect_b32 s4, s4, s18
	s_cselect_b32 s3, s7, s3
	s_add_i32 s7, s4, 1
	s_cmp_ge_u32 s3, s16
	s_waitcnt lgkmcnt(0)
	s_cselect_b32 s3, s7, s4
	s_load_b32 s4, s[0:1], 0x88
	s_xor_b32 s3, s3, s2
	s_add_i32 s16, s15, -1
	s_sub_i32 s3, s3, s2
	s_abs_i32 s7, s16
	s_waitcnt lgkmcnt(0)
	s_barrier
	s_abs_i32 s21, s11
	buffer_gl0_inv
	v_cvt_f32_u32_e32 v1, s21
	s_sub_i32 s2, 0, s21
                                        ; implicit-def: $sgpr33
	s_delay_alu instid0(VALU_DEP_1) | instskip(SKIP_2) | instid1(VALU_DEP_1)
	v_rcp_iflag_f32_e32 v1, v1
	s_waitcnt_depctr 0xfff
	v_mul_f32_e32 v1, 0x4f7ffffe, v1
	v_cvt_u32_f32_e32 v1, v1
	s_delay_alu instid0(VALU_DEP_1) | instskip(NEXT) | instid1(VALU_DEP_1)
	v_readfirstlane_b32 s25, v1
	s_mul_i32 s2, s2, s25
	s_delay_alu instid0(SALU_CYCLE_1) | instskip(NEXT) | instid1(SALU_CYCLE_1)
	s_mul_hi_u32 s2, s25, s2
	s_add_i32 s25, s25, s2
	s_cmp_lt_i32 s4, 0
	s_mul_hi_u32 s2, s7, s25
	s_cbranch_scc0 .LBB164_7
; %bb.6:
	s_mul_i32 s17, s8, s36
	s_delay_alu instid0(SALU_CYCLE_1) | instskip(NEXT) | instid1(SALU_CYCLE_1)
	s_add_i32 s17, s3, s17
	s_mul_i32 s17, s17, s4
	s_delay_alu instid0(SALU_CYCLE_1)
	s_sub_i32 s33, 1, s17
	s_mov_b32 s17, 0
.LBB164_7:
	s_load_b64 s[26:27], s[0:1], 0x38
	s_ashr_i32 s28, s16, 31
	s_and_not1_b32 vcc_lo, exec_lo, s17
	s_ashr_i32 s11, s11, 31
	s_cbranch_vccnz .LBB164_9
; %bb.8:
	s_mul_i32 s8, s13, s8
	s_delay_alu instid0(SALU_CYCLE_1) | instskip(NEXT) | instid1(SALU_CYCLE_1)
	s_add_i32 s8, s8, s24
	s_mul_i32 s4, s8, s4
	s_delay_alu instid0(SALU_CYCLE_1)
	s_add_i32 s33, s4, 1
.LBB164_9:
	s_clause 0x4
	s_load_b32 s8, s[0:1], 0x48
	s_load_b64 s[30:31], s[0:1], 0x28
	s_load_b32 s4, s[0:1], 0x98
	s_load_b128 s[16:19], s[0:1], 0x0
	s_load_b64 s[22:23], s[0:1], 0x10
	s_xor_b32 s34, s28, s11
	s_mul_i32 s28, s2, s21
	s_add_i32 s35, s2, 1
	s_sub_i32 s7, s7, s28
	v_lshrrev_b32_e32 v14, 5, v0
	v_mov_b32_e32 v17, 0xff7fffff
	v_mbcnt_lo_u32_b32 v16, -1, 0
	s_delay_alu instid0(VALU_DEP_3)
	v_lshl_add_u32 v15, v14, 4, s38
	s_waitcnt lgkmcnt(0)
	s_mul_i32 s28, s14, s8
	s_sub_i32 s8, s7, s21
	s_ashr_i32 s29, s28, 31
	s_cmp_ge_u32 s7, s21
	s_cselect_b32 s2, s35, s2
	s_cselect_b32 s7, s8, s7
	s_add_i32 s8, s2, 1
	s_cmp_ge_u32 s7, s21
	s_cselect_b32 s2, s8, s2
	s_add_i32 s8, s15, 15
	s_lshl_b32 s7, s12, 5
	s_ashr_i32 s35, s8, 31
	v_or_b32_e32 v9, s7, v14
	s_lshr_b32 s35, s35, 28
	s_xor_b32 s39, s2, s34
	s_add_i32 s8, s8, s35
	s_add_i32 s35, s7, 32
	s_ashr_i32 s36, s8, 4
	v_ashrrev_i32_e32 v10, 31, v9
	s_min_i32 s8, s35, s36
	s_sub_i32 s39, s39, s34
	v_cmp_le_i32_e64 s2, s8, v9
	s_mul_i32 s34, s3, s6
	s_mov_b32 s6, exec_lo
	v_cmpx_gt_i32_e64 s8, v9
	s_cbranch_execz .LBB164_19
; %bb.10:
	s_load_b64 s[0:1], s[0:1], 0x20
	s_ashr_i32 s35, s34, 31
	v_bfe_u32 v18, v0, 1, 4
	s_lshl_b64 s[42:43], s[34:35], 1
	s_sub_i32 s35, s39, s9
	v_mov_b32_e32 v28, v9
	v_dual_mov_b32 v21, 0xff7fffff :: v_dual_and_b32 v4, 8, v11
	v_lshlrev_b32_e32 v5, 2, v18
	v_subrev_nc_u32_e32 v6, s15, v18
	v_lshlrev_b32_e32 v7, 4, v18
	v_cmp_eq_u32_e32 vcc_lo, 0, v13
	v_mul_u32_u24_e32 v19, 0x78, v13
	v_lshl_or_b32 v5, v14, 6, v5
	v_add_nc_u32_e32 v23, 1, v6
	v_lshl_add_u32 v20, v14, 4, s38
	v_xor_b32_e32 v22, 1, v16
	v_mov_b32_e32 v17, 0xff7fffff
	v_add_nc_u32_e32 v24, 0x110, v5
	s_waitcnt lgkmcnt(0)
	s_add_u32 s3, s0, s42
	s_addc_u32 s1, s1, s43
	s_abs_i32 s41, s10
	v_add_co_u32 v6, s3, s3, v7
	v_cvt_f32_u32_e32 v1, s41
	s_sub_i32 s42, 0, s41
	v_add_co_ci_u32_e64 v7, null, s1, 0, s3
	v_cmp_neq_f32_e64 s0, s40, 0
	s_delay_alu instid0(VALU_DEP_3) | instskip(SKIP_3) | instid1(VALU_DEP_1)
	v_rcp_iflag_f32_e32 v3, v1
	v_lshlrev_b64 v[1:2], 2, v[9:10]
	s_waitcnt_depctr 0xfff
	v_mul_f32_e32 v3, 0x4f7ffffe, v3
	v_cvt_u32_f32_e32 v3, v3
	s_delay_alu instid0(VALU_DEP_1) | instskip(SKIP_1) | instid1(SALU_CYCLE_1)
	v_mul_lo_u32 v5, s42, v3
	s_lshl_b64 s[42:43], s[28:29], 2
	s_add_u32 s1, s26, s42
	s_addc_u32 s3, s27, s43
	v_add_co_u32 v1, s1, s1, v1
	s_delay_alu instid0(VALU_DEP_1) | instskip(NEXT) | instid1(VALU_DEP_3)
	v_add_co_ci_u32_e64 v2, s1, s3, v2, s1
	v_mul_hi_u32 v5, v3, v5
	v_add_co_u32 v25, s1, v6, v4
	s_delay_alu instid0(VALU_DEP_1) | instskip(SKIP_2) | instid1(VALU_DEP_3)
	v_add_co_ci_u32_e64 v26, s1, 0, v7, s1
	s_mov_b32 s42, 0
	s_mov_b32 s43, s5
	v_add_nc_u32_e32 v27, v3, v5
	s_branch .LBB164_13
.LBB164_11:                             ;   in Loop: Header=BB164_13 Depth=1
	s_or_b32 exec_lo, exec_lo, s44
.LBB164_12:                             ;   in Loop: Header=BB164_13 Depth=1
	s_delay_alu instid0(SALU_CYCLE_1) | instskip(SKIP_2) | instid1(VALU_DEP_1)
	s_or_b32 exec_lo, exec_lo, s3
	v_add_nc_u32_e32 v28, 4, v28
	v_add_co_u32 v1, s3, v1, 16
	v_add_co_ci_u32_e64 v2, s3, 0, v2, s3
	s_delay_alu instid0(VALU_DEP_3) | instskip(SKIP_2) | instid1(VALU_DEP_3)
	v_cmp_le_i32_e64 s1, s8, v28
	v_add_nc_u32_e32 v20, 64, v20
	v_add_nc_u32_e32 v24, 0x100, v24
	s_or_b32 s42, s1, s42
	s_delay_alu instid0(SALU_CYCLE_1)
	s_and_not1_b32 exec_lo, exec_lo, s42
	s_cbranch_execz .LBB164_18
.LBB164_13:                             ; =>This Inner Loop Header: Depth=1
	v_sub_nc_u32_e32 v3, 0, v20
	s_delay_alu instid0(VALU_DEP_1) | instskip(SKIP_1) | instid1(VALU_DEP_1)
	v_max_i32_e32 v3, v20, v3
	s_waitcnt lgkmcnt(0)
	v_mul_hi_u32 v4, v3, s25
	s_delay_alu instid0(VALU_DEP_1) | instskip(NEXT) | instid1(VALU_DEP_1)
	v_mul_lo_u32 v5, v4, s21
	v_sub_nc_u32_e32 v3, v3, v5
	v_add_nc_u32_e32 v5, 1, v4
	s_delay_alu instid0(VALU_DEP_2) | instskip(SKIP_1) | instid1(VALU_DEP_1)
	v_subrev_nc_u32_e32 v6, s21, v3
	v_cmp_le_u32_e64 s1, s21, v3
	v_cndmask_b32_e64 v4, v4, v5, s1
	s_delay_alu instid0(VALU_DEP_3) | instskip(SKIP_1) | instid1(VALU_DEP_3)
	v_cndmask_b32_e64 v3, v3, v6, s1
	v_ashrrev_i32_e32 v5, 31, v20
	v_add_nc_u32_e32 v6, 1, v4
	s_delay_alu instid0(VALU_DEP_3) | instskip(NEXT) | instid1(VALU_DEP_3)
	v_cmp_le_u32_e64 s1, s21, v3
	v_xor_b32_e32 v5, s11, v5
	s_delay_alu instid0(VALU_DEP_2) | instskip(NEXT) | instid1(VALU_DEP_1)
	v_cndmask_b32_e64 v3, v4, v6, s1
	v_xor_b32_e32 v3, v3, v5
	s_delay_alu instid0(VALU_DEP_1) | instskip(NEXT) | instid1(VALU_DEP_1)
	v_sub_nc_u32_e32 v3, v3, v5
	v_add_nc_u32_e32 v4, s33, v3
	v_cmp_ge_i32_e64 s3, s35, v3
	s_delay_alu instid0(VALU_DEP_2) | instskip(NEXT) | instid1(VALU_DEP_1)
	v_sub_nc_u32_e32 v5, 0, v4
	v_max_i32_e32 v5, v4, v5
	v_ashrrev_i32_e32 v4, 31, v4
	s_delay_alu instid0(VALU_DEP_2) | instskip(NEXT) | instid1(VALU_DEP_1)
	v_mul_hi_u32 v6, v5, v27
	v_mul_lo_u32 v6, v6, s41
	s_delay_alu instid0(VALU_DEP_1) | instskip(NEXT) | instid1(VALU_DEP_1)
	v_sub_nc_u32_e32 v5, v5, v6
	v_subrev_nc_u32_e32 v6, s41, v5
	v_cmp_le_u32_e64 s1, s41, v5
	s_delay_alu instid0(VALU_DEP_1) | instskip(NEXT) | instid1(VALU_DEP_1)
	v_cndmask_b32_e64 v5, v5, v6, s1
	v_subrev_nc_u32_e32 v6, s41, v5
	v_cmp_le_u32_e64 s1, s41, v5
	s_delay_alu instid0(VALU_DEP_1) | instskip(NEXT) | instid1(VALU_DEP_1)
	v_cndmask_b32_e64 v5, v5, v6, s1
	v_xor_b32_e32 v5, v5, v4
	s_delay_alu instid0(VALU_DEP_1) | instskip(NEXT) | instid1(VALU_DEP_1)
	v_sub_nc_u32_e32 v4, v5, v4
	v_cmp_ne_u32_e64 s1, 0, v4
	s_delay_alu instid0(VALU_DEP_1) | instskip(NEXT) | instid1(SALU_CYCLE_1)
	s_and_b32 s1, s1, s3
	s_and_b32 s44, vcc_lo, s1
	s_delay_alu instid0(SALU_CYCLE_1)
	s_and_saveexec_b32 s3, s44
	s_cbranch_execz .LBB164_15
; %bb.14:                               ;   in Loop: Header=BB164_13 Depth=1
	ds_store_b32 v24, v21
.LBB164_15:                             ;   in Loop: Header=BB164_13 Depth=1
	s_or_b32 exec_lo, exec_lo, s3
	s_xor_b32 s1, s1, -1
	s_delay_alu instid0(SALU_CYCLE_1)
	s_and_saveexec_b32 s3, s1
	s_cbranch_execz .LBB164_12
; %bb.16:                               ;   in Loop: Header=BB164_13 Depth=1
	global_load_b32 v5, v[1:2], off
	s_waitcnt vmcnt(0)
	v_mad_i64_i32 v[3:4], null, v5, s43, 0
	s_delay_alu instid0(VALU_DEP_1) | instskip(NEXT) | instid1(VALU_DEP_1)
	v_lshlrev_b64 v[3:4], 1, v[3:4]
	v_add_co_u32 v7, s1, v25, v3
	s_delay_alu instid0(VALU_DEP_1)
	v_add_co_ci_u32_e64 v8, s1, v26, v4, s1
	v_cmp_gt_i32_e64 s1, 32, v22
	s_clause 0xe
	global_load_b64 v[5:6], v[7:8], off
	global_load_b64 v[3:4], v[7:8], off offset:256
	global_load_b64 v[57:58], v[7:8], off offset:512
	;; [unrolled: 1-line block ×14, first 2 shown]
	ds_load_2addr_b64 v[29:32], v19 offset1:1
	ds_load_2addr_b64 v[33:36], v19 offset0:2 offset1:3
	ds_load_2addr_b64 v[37:40], v19 offset0:4 offset1:5
	;; [unrolled: 1-line block ×6, first 2 shown]
	ds_load_b64 v[81:82], v19 offset:112
	s_waitcnt vmcnt(14)
	v_lshlrev_b32_e32 v112, 16, v5
	s_waitcnt vmcnt(13)
	v_lshlrev_b32_e32 v114, 16, v3
	s_waitcnt lgkmcnt(7)
	v_lshlrev_b32_e32 v86, 16, v32
	v_lshlrev_b32_e32 v115, 16, v4
	v_and_b32_e32 v4, 0xffff0000, v4
	v_lshlrev_b32_e32 v113, 16, v6
	v_and_b32_e32 v6, 0xffff0000, v6
	s_waitcnt vmcnt(7)
	v_lshlrev_b32_e32 v126, 16, v67
	v_and_b32_e32 v32, 0xffff0000, v32
	v_lshlrev_b32_e32 v85, 16, v31
	v_lshlrev_b32_e32 v116, 16, v57
	;; [unrolled: 1-line block ×3, first 2 shown]
	s_delay_alu instid0(VALU_DEP_4) | instskip(NEXT) | instid1(VALU_DEP_4)
	v_dual_mul_f32 v4, v32, v4 :: v_dual_and_b32 v65, 0xffff0000, v65
	v_mul_f32_e32 v85, v85, v114
	v_dual_mul_f32 v86, v86, v115 :: v_dual_lshlrev_b32 v83, 16, v29
	v_lshlrev_b32_e32 v84, 16, v30
	v_and_b32_e32 v30, 0xffff0000, v30
	s_waitcnt lgkmcnt(6)
	v_lshlrev_b32_e32 v87, 16, v33
	v_fmac_f32_e32 v85, v83, v112
	v_dual_fmac_f32 v86, v84, v113 :: v_dual_lshlrev_b32 v89, 16, v35
	v_lshlrev_b32_e32 v118, 16, v59
	v_fmac_f32_e32 v4, v30, v6
	s_waitcnt lgkmcnt(5)
	v_dual_fmac_f32 v85, v87, v116 :: v_dual_lshlrev_b32 v92, 16, v38
	s_waitcnt lgkmcnt(4)
	v_lshlrev_b32_e32 v98, 16, v44
	v_and_b32_e32 v3, 0xffff0000, v3
	v_lshlrev_b32_e32 v117, 16, v58
	v_and_b32_e32 v58, 0xffff0000, v58
	v_dual_fmac_f32 v85, v89, v118 :: v_dual_lshlrev_b32 v120, 16, v61
	v_lshlrev_b32_e32 v125, 16, v66
	v_and_b32_e32 v31, 0xffff0000, v31
	v_lshlrev_b32_e32 v88, 16, v34
	v_and_b32_e32 v67, 0xffff0000, v67
	v_and_b32_e32 v34, 0xffff0000, v34
	v_lshlrev_b32_e32 v91, 16, v37
	v_and_b32_e32 v5, 0xffff0000, v5
	v_lshlrev_b32_e32 v122, 16, v63
	s_delay_alu instid0(VALU_DEP_4)
	v_dual_fmac_f32 v4, v34, v58 :: v_dual_lshlrev_b32 v127, 16, v68
	s_waitcnt lgkmcnt(3)
	v_dual_fmac_f32 v85, v91, v120 :: v_dual_lshlrev_b32 v100, 16, v46
	v_and_b32_e32 v29, 0xffff0000, v29
	v_mul_f32_e32 v3, v31, v3
	v_dual_fmac_f32 v86, v88, v117 :: v_dual_lshlrev_b32 v93, 16, v39
	v_lshlrev_b32_e32 v90, 16, v36
	s_waitcnt lgkmcnt(2)
	v_lshlrev_b32_e32 v106, 16, v52
	v_lshlrev_b32_e32 v119, 16, v60
	v_fmac_f32_e32 v85, v93, v122
	v_fmac_f32_e32 v3, v29, v5
	v_lshlrev_b32_e32 v95, 16, v41
	v_and_b32_e32 v60, 0xffff0000, v60
	v_fmac_f32_e32 v86, v90, v119
	s_waitcnt lgkmcnt(1)
	v_lshlrev_b32_e32 v108, 16, v54
	s_waitcnt vmcnt(6)
	v_dual_fmac_f32 v85, v95, v124 :: v_dual_lshlrev_b32 v128, 16, v69
	v_and_b32_e32 v69, 0xffff0000, v69
	v_and_b32_e32 v36, 0xffff0000, v36
	v_lshlrev_b32_e32 v97, 16, v43
	v_lshlrev_b32_e32 v121, 16, v62
	v_and_b32_e32 v62, 0xffff0000, v62
	s_delay_alu instid0(VALU_DEP_4) | instskip(NEXT) | instid1(VALU_DEP_3)
	v_dual_fmac_f32 v4, v36, v60 :: v_dual_lshlrev_b32 v101, 16, v47
	v_dual_fmac_f32 v85, v97, v126 :: v_dual_fmac_f32 v86, v92, v121
	v_and_b32_e32 v38, 0xffff0000, v38
	v_lshlrev_b32_e32 v99, 16, v45
	v_and_b32_e32 v57, 0xffff0000, v57
	v_lshlrev_b32_e32 v123, 16, v64
	v_and_b32_e32 v64, 0xffff0000, v64
	v_fmac_f32_e32 v4, v38, v62
	v_and_b32_e32 v68, 0xffff0000, v68
	s_waitcnt vmcnt(5)
	v_lshlrev_b32_e32 v130, 16, v71
	s_waitcnt vmcnt(4)
	v_lshlrev_b32_e32 v83, 16, v73
	v_and_b32_e32 v44, 0xffff0000, v44
	v_and_b32_e32 v33, 0xffff0000, v33
	v_lshlrev_b32_e32 v94, 16, v40
	v_fmac_f32_e32 v85, v99, v128
	v_and_b32_e32 v40, 0xffff0000, v40
	v_and_b32_e32 v59, 0xffff0000, v59
	;; [unrolled: 1-line block ×3, first 2 shown]
	v_lshlrev_b32_e32 v129, 16, v70
	v_fmac_f32_e32 v85, v101, v130
	v_dual_fmac_f32 v4, v40, v64 :: v_dual_lshlrev_b32 v105, 16, v51
	v_and_b32_e32 v35, 0xffff0000, v35
	v_and_b32_e32 v71, 0xffff0000, v71
	s_waitcnt vmcnt(3)
	v_lshlrev_b32_e32 v29, 16, v76
	v_and_b32_e32 v47, 0xffff0000, v47
	v_dual_fmac_f32 v3, v33, v57 :: v_dual_lshlrev_b32 v96, 16, v42
	v_dual_fmac_f32 v86, v94, v123 :: v_dual_lshlrev_b32 v103, 16, v49
	v_and_b32_e32 v42, 0xffff0000, v42
	v_lshlrev_b32_e32 v107, 16, v53
	s_delay_alu instid0(VALU_DEP_4) | instskip(NEXT) | instid1(VALU_DEP_4)
	v_dual_fmac_f32 v3, v35, v59 :: v_dual_and_b32 v70, 0xffff0000, v70
	v_fmac_f32_e32 v86, v96, v125
	s_delay_alu instid0(VALU_DEP_4)
	v_dual_fmac_f32 v4, v42, v66 :: v_dual_and_b32 v73, 0xffff0000, v73
	v_and_b32_e32 v6, 0xffff0000, v76
	s_waitcnt vmcnt(2)
	v_lshlrev_b32_e32 v30, 16, v77
	v_and_b32_e32 v52, 0xffff0000, v52
	v_and_b32_e32 v49, 0xffff0000, v49
	;; [unrolled: 1-line block ×3, first 2 shown]
	v_fmac_f32_e32 v86, v98, v127
	v_dual_fmac_f32 v85, v103, v83 :: v_dual_fmac_f32 v4, v44, v68
	v_and_b32_e32 v37, 0xffff0000, v37
	v_and_b32_e32 v61, 0xffff0000, v61
	v_lshlrev_b32_e32 v114, 16, v72
	v_fmac_f32_e32 v86, v100, v129
	v_fmac_f32_e32 v4, v46, v70
	s_delay_alu instid0(VALU_DEP_4) | instskip(SKIP_3) | instid1(VALU_DEP_4)
	v_dual_fmac_f32 v3, v37, v61 :: v_dual_lshlrev_b32 v102, 16, v48
	v_and_b32_e32 v39, 0xffff0000, v39
	v_and_b32_e32 v63, 0xffff0000, v63
	v_lshlrev_b32_e32 v31, 16, v74
	v_fmac_f32_e32 v86, v102, v114
	v_lshlrev_b32_e32 v104, 16, v50
	v_lshlrev_b32_e32 v115, 16, v75
	v_fmac_f32_e32 v3, v39, v63
	v_and_b32_e32 v45, 0xffff0000, v45
	v_and_b32_e32 v48, 0xffff0000, v48
	v_fmac_f32_e32 v86, v104, v31
	v_dual_fmac_f32 v85, v105, v115 :: v_dual_and_b32 v72, 0xffff0000, v72
	v_and_b32_e32 v41, 0xffff0000, v41
	s_delay_alu instid0(VALU_DEP_3) | instskip(SKIP_3) | instid1(VALU_DEP_4)
	v_dual_fmac_f32 v86, v106, v29 :: v_dual_lshlrev_b32 v33, 16, v78
	v_and_b32_e32 v51, 0xffff0000, v51
	v_and_b32_e32 v74, 0xffff0000, v74
	v_dual_fmac_f32 v4, v48, v72 :: v_dual_and_b32 v5, 0xffff0000, v75
	v_fmac_f32_e32 v86, v108, v33
	v_and_b32_e32 v50, 0xffff0000, v50
	v_and_b32_e32 v43, 0xffff0000, v43
	v_fmac_f32_e32 v3, v41, v65
	v_dual_fmac_f32 v85, v107, v30 :: v_dual_and_b32 v32, 0xffff0000, v77
	s_delay_alu instid0(VALU_DEP_4) | instskip(NEXT) | instid1(VALU_DEP_3)
	v_fmac_f32_e32 v4, v50, v74
	v_dual_fmac_f32 v3, v43, v67 :: v_dual_and_b32 v34, 0xffff0000, v78
	s_waitcnt vmcnt(1)
	v_lshlrev_b32_e32 v35, 16, v79
	v_lshlrev_b32_e32 v110, 16, v56
	v_fmac_f32_e32 v4, v52, v6
	v_dual_fmac_f32 v3, v45, v69 :: v_dual_and_b32 v36, 0xffff0000, v79
	v_lshlrev_b32_e32 v37, 16, v80
	v_lshlrev_b32_e32 v109, 16, v55
	v_and_b32_e32 v38, 0xffff0000, v80
	s_waitcnt lgkmcnt(0)
	v_dual_fmac_f32 v3, v47, v71 :: v_dual_lshlrev_b32 v112, 16, v82
	v_fmac_f32_e32 v86, v37, v110
	s_waitcnt vmcnt(0)
	v_dual_fmac_f32 v85, v35, v109 :: v_dual_and_b32 v6, 0xffff0000, v7
	s_delay_alu instid0(VALU_DEP_3) | instskip(NEXT) | instid1(VALU_DEP_1)
	v_fmac_f32_e32 v3, v49, v73
	v_dual_fmac_f32 v3, v51, v5 :: v_dual_and_b32 v54, 0xffff0000, v54
	v_and_b32_e32 v53, 0xffff0000, v53
	v_lshlrev_b32_e32 v5, 16, v7
	v_lshlrev_b32_e32 v7, 16, v8
	s_delay_alu instid0(VALU_DEP_4) | instskip(NEXT) | instid1(VALU_DEP_4)
	v_dual_fmac_f32 v4, v54, v34 :: v_dual_lshlrev_b32 v111, 16, v81
	v_fmac_f32_e32 v3, v53, v32
	v_and_b32_e32 v56, 0xffff0000, v56
	v_and_b32_e32 v55, 0xffff0000, v55
	v_dual_fmac_f32 v86, v7, v112 :: v_dual_and_b32 v81, 0xffff0000, v81
	s_delay_alu instid0(VALU_DEP_3) | instskip(NEXT) | instid1(VALU_DEP_3)
	v_dual_fmac_f32 v85, v5, v111 :: v_dual_fmac_f32 v4, v38, v56
	v_fmac_f32_e32 v3, v36, v55
	v_and_b32_e32 v5, 0xffff0000, v82
	v_cndmask_b32_e64 v7, v16, v22, s1
	s_delay_alu instid0(VALU_DEP_3) | instskip(NEXT) | instid1(VALU_DEP_1)
	v_dual_fmac_f32 v3, v6, v81 :: v_dual_and_b32 v6, 0xffff0000, v8
	v_dual_add_f32 v3, v85, v3 :: v_dual_fmac_f32 v4, v6, v5
	s_delay_alu instid0(VALU_DEP_3) | instskip(NEXT) | instid1(VALU_DEP_2)
	v_lshlrev_b32_e32 v5, 2, v7
	v_add_f32_e32 v3, v3, v86
	s_delay_alu instid0(VALU_DEP_1)
	v_add_f32_e32 v3, v4, v3
	ds_bpermute_b32 v4, v5, v3
	s_and_saveexec_b32 s44, vcc_lo
	s_cbranch_execz .LBB164_11
; %bb.17:                               ;   in Loop: Header=BB164_13 Depth=1
	s_waitcnt lgkmcnt(0)
	v_add_f32_e32 v3, v3, v4
	v_add_nc_u32_e32 v5, v23, v20
	s_delay_alu instid0(VALU_DEP_1) | instskip(NEXT) | instid1(VALU_DEP_1)
	v_cvt_f32_i32_e32 v5, v5
	v_mul_f32_e32 v5, s40, v5
	s_delay_alu instid0(VALU_DEP_1) | instskip(NEXT) | instid1(VALU_DEP_1)
	v_cndmask_b32_e64 v4, 0, v5, s0
	v_dual_max_f32 v5, v17, v17 :: v_dual_fmac_f32 v4, s37, v3
	v_add_nc_u32_e32 v3, v18, v20
	s_delay_alu instid0(VALU_DEP_2) | instskip(NEXT) | instid1(VALU_DEP_2)
	v_max_f32_e32 v5, v5, v4
	v_cmp_gt_i32_e64 s1, s15, v3
	s_delay_alu instid0(VALU_DEP_1) | instskip(NEXT) | instid1(VALU_DEP_3)
	v_cndmask_b32_e64 v3, 0, v4, s1
	v_cndmask_b32_e64 v17, v17, v5, s1
	ds_store_b32 v24, v3
	s_branch .LBB164_11
.LBB164_18:
	s_or_b32 exec_lo, exec_lo, s42
.LBB164_19:
	s_delay_alu instid0(SALU_CYCLE_1) | instskip(SKIP_3) | instid1(VALU_DEP_3)
	s_or_b32 exec_lo, exec_lo, s6
	v_xor_b32_e32 v1, 16, v16
	v_xor_b32_e32 v2, 8, v16
	v_lshlrev_b32_e32 v8, 2, v14
	v_cmp_gt_i32_e32 vcc_lo, 32, v1
	v_cndmask_b32_e32 v1, v16, v1, vcc_lo
	s_delay_alu instid0(VALU_DEP_4) | instskip(SKIP_1) | instid1(VALU_DEP_1)
	v_cmp_gt_i32_e32 vcc_lo, 32, v2
	v_dual_max_f32 v3, v17, v17 :: v_dual_cndmask_b32 v2, v16, v2
	v_lshlrev_b32_e32 v6, 2, v2
	s_waitcnt lgkmcnt(0)
	v_lshlrev_b32_e32 v4, 2, v1
	ds_bpermute_b32 v1, v4, v17
	s_waitcnt lgkmcnt(0)
	v_max_f32_e32 v1, v1, v1
	s_delay_alu instid0(VALU_DEP_1)
	v_max_f32_e32 v1, v3, v1
	v_xor_b32_e32 v3, 4, v16
	ds_bpermute_b32 v2, v6, v1
	v_cmp_gt_i32_e32 vcc_lo, 32, v3
	s_waitcnt lgkmcnt(0)
	v_dual_cndmask_b32 v3, v16, v3 :: v_dual_max_f32 v2, v2, v2
	s_delay_alu instid0(VALU_DEP_1) | instskip(NEXT) | instid1(VALU_DEP_2)
	v_max_f32_e32 v1, v1, v2
	v_lshlrev_b32_e32 v7, 2, v3
	v_xor_b32_e32 v3, 2, v16
	ds_bpermute_b32 v2, v7, v1
	v_cmp_gt_i32_e32 vcc_lo, 32, v3
	v_cndmask_b32_e32 v3, v16, v3, vcc_lo
	s_waitcnt lgkmcnt(0)
	s_delay_alu instid0(VALU_DEP_1) | instskip(NEXT) | instid1(VALU_DEP_1)
	v_dual_max_f32 v2, v2, v2 :: v_dual_lshlrev_b32 v3, 2, v3
	v_dual_max_f32 v2, v1, v2 :: v_dual_and_b32 v1, 31, v0
	ds_bpermute_b32 v5, v3, v2
	v_cmp_eq_u32_e32 vcc_lo, 0, v1
	s_and_saveexec_b32 s0, vcc_lo
	s_cbranch_execz .LBB164_21
; %bb.20:
	s_waitcnt lgkmcnt(0)
	v_dual_max_f32 v5, v5, v5 :: v_dual_max_f32 v2, v2, v2
	s_delay_alu instid0(VALU_DEP_1)
	v_max_f32_e32 v2, v2, v5
	ds_store_b32 v8, v2 offset:240
.LBB164_21:
	s_or_b32 exec_lo, exec_lo, s0
	v_cmp_gt_u32_e64 s0, 4, v1
	v_mov_b32_e32 v2, 0xff7fffff
	v_lshlrev_b32_e32 v18, 2, v1
	s_waitcnt lgkmcnt(0)
	s_barrier
	buffer_gl0_inv
	s_and_saveexec_b32 s1, s0
	s_cbranch_execz .LBB164_23
; %bb.22:
	ds_load_b32 v2, v18 offset:240
.LBB164_23:
	s_or_b32 exec_lo, exec_lo, s1
	s_waitcnt lgkmcnt(0)
	ds_bpermute_b32 v5, v3, v2
	v_xor_b32_e32 v17, 1, v16
	v_max_f32_e32 v2, v2, v2
	s_delay_alu instid0(VALU_DEP_2) | instskip(NEXT) | instid1(VALU_DEP_1)
	v_cmp_gt_i32_e64 s1, 32, v17
	v_cndmask_b32_e64 v16, v16, v17, s1
	s_sub_i32 s1, s8, s7
	s_delay_alu instid0(SALU_CYCLE_1) | instskip(NEXT) | instid1(SALU_CYCLE_1)
	s_lshl_b32 s1, s1, 4
	s_add_i32 s1, s1, s38
	s_delay_alu instid0(SALU_CYCLE_1)
	s_min_i32 s1, s1, s15
	s_waitcnt lgkmcnt(0)
	v_max_f32_e32 v5, v5, v5
	v_lshlrev_b32_e32 v17, 2, v16
	s_sub_i32 s6, s1, s38
	v_mov_b32_e32 v16, 0
	v_cmp_gt_i32_e64 s1, s6, v0
	v_max_f32_e32 v2, v2, v5
	ds_bpermute_b32 v5, v17, v2
	s_waitcnt lgkmcnt(0)
	v_max_f32_e32 v5, v5, v5
	s_delay_alu instid0(VALU_DEP_1)
	v_max_f32_e32 v2, v2, v5
	v_lshl_add_u32 v5, v0, 2, 0x110
	ds_bpermute_b32 v2, v16, v2
	s_and_saveexec_b32 s7, s1
	s_cbranch_execz .LBB164_27
; %bb.24:
	v_lshl_add_u32 v19, v0, 2, 0x110
	v_mov_b32_e32 v16, 0
	v_mov_b32_e32 v20, v0
	s_mov_b32 s35, 0
	.p2align	6
.LBB164_25:                             ; =>This Inner Loop Header: Depth=1
	ds_load_b32 v21, v19
	v_add_nc_u32_e32 v20, 0x80, v20
	s_delay_alu instid0(VALU_DEP_1) | instskip(NEXT) | instid1(VALU_DEP_1)
	v_cmp_le_i32_e64 s3, s6, v20
	s_or_b32 s35, s3, s35
	s_waitcnt lgkmcnt(0)
	v_sub_f32_e32 v21, v21, v2
	s_delay_alu instid0(VALU_DEP_1) | instskip(NEXT) | instid1(VALU_DEP_1)
	v_mul_f32_e32 v21, 0x3fb8aa3b, v21
	v_exp_f32_e32 v21, v21
	ds_store_b32 v19, v21
	v_dual_add_f32 v16, v16, v21 :: v_dual_add_nc_u32 v19, 0x200, v19
	s_and_not1_b32 exec_lo, exec_lo, s35
	s_cbranch_execnz .LBB164_25
; %bb.26:
	s_or_b32 exec_lo, exec_lo, s35
.LBB164_27:
	s_delay_alu instid0(SALU_CYCLE_1)
	s_or_b32 exec_lo, exec_lo, s7
	ds_bpermute_b32 v4, v4, v16
	s_waitcnt lgkmcnt(0)
	v_add_f32_e32 v4, v16, v4
	ds_bpermute_b32 v6, v6, v4
	s_waitcnt lgkmcnt(0)
	v_add_f32_e32 v4, v4, v6
	;; [unrolled: 3-line block ×5, first 2 shown]
	s_and_saveexec_b32 s3, vcc_lo
	s_cbranch_execz .LBB164_29
; %bb.28:
	ds_store_b32 v8, v4 offset:256
.LBB164_29:
	s_or_b32 exec_lo, exec_lo, s3
	s_waitcnt lgkmcnt(0)
	s_barrier
	buffer_gl0_inv
	s_and_saveexec_b32 s3, s0
	s_cbranch_execz .LBB164_31
; %bb.30:
	ds_load_b32 v4, v18 offset:256
.LBB164_31:
	s_or_b32 exec_lo, exec_lo, s3
	s_waitcnt lgkmcnt(0)
	ds_bpermute_b32 v3, v3, v4
	s_waitcnt lgkmcnt(0)
	v_add_f32_e32 v3, v4, v3
	ds_bpermute_b32 v4, v17, v3
	s_waitcnt lgkmcnt(0)
	v_dual_add_f32 v3, v3, v4 :: v_dual_mov_b32 v4, 0
	ds_bpermute_b32 v3, v4, v3
	s_and_saveexec_b32 s0, s1
	s_cbranch_execz .LBB164_34
; %bb.32:
	s_waitcnt lgkmcnt(0)
	v_add_f32_e32 v4, 0x358637bd, v3
	s_mov_b32 s1, 0
	s_delay_alu instid0(VALU_DEP_1) | instskip(SKIP_1) | instid1(VALU_DEP_2)
	v_div_scale_f32 v6, null, v4, v4, 1.0
	v_div_scale_f32 v16, vcc_lo, 1.0, v4, 1.0
	v_rcp_f32_e32 v7, v6
	s_waitcnt_depctr 0xfff
	v_fma_f32 v8, -v6, v7, 1.0
	s_delay_alu instid0(VALU_DEP_1) | instskip(NEXT) | instid1(VALU_DEP_1)
	v_fmac_f32_e32 v7, v8, v7
	v_mul_f32_e32 v8, v16, v7
	s_delay_alu instid0(VALU_DEP_1) | instskip(NEXT) | instid1(VALU_DEP_1)
	v_fma_f32 v18, -v6, v8, v16
	v_fmac_f32_e32 v8, v18, v7
	s_delay_alu instid0(VALU_DEP_1) | instskip(NEXT) | instid1(VALU_DEP_1)
	v_fma_f32 v6, -v6, v8, v16
	v_div_fmas_f32 v6, v6, v7, v8
	s_delay_alu instid0(VALU_DEP_1)
	v_div_fixup_f32 v4, v6, v4, 1.0
	v_mov_b32_e32 v6, v0
.LBB164_33:                             ; =>This Inner Loop Header: Depth=1
	ds_load_b32 v7, v5
	s_waitcnt lgkmcnt(0)
	v_dual_mul_f32 v7, v4, v7 :: v_dual_add_nc_u32 v6, 0x80, v6
	s_delay_alu instid0(VALU_DEP_1) | instskip(SKIP_3) | instid1(SALU_CYCLE_1)
	v_cmp_le_i32_e32 vcc_lo, s6, v6
	ds_store_b32 v5, v7
	v_add_nc_u32_e32 v5, 0x200, v5
	s_or_b32 s1, vcc_lo, s1
	s_and_not1_b32 exec_lo, exec_lo, s1
	s_cbranch_execnz .LBB164_33
.LBB164_34:
	s_or_b32 exec_lo, exec_lo, s0
	s_mul_i32 s0, s4, s14
	s_waitcnt lgkmcnt(0)
	s_mul_i32 s6, s0, s13
	s_mov_b32 s0, exec_lo
	s_barrier
	buffer_gl0_inv
	v_cmpx_eq_u32_e32 0, v0
	s_cbranch_execz .LBB164_36
; %bb.35:
	s_ashr_i32 s7, s6, 31
	s_mul_i32 s42, s4, s24
	s_lshl_b64 s[40:41], s[6:7], 2
	v_mov_b32_e32 v4, 0
	s_add_u32 s1, s18, s40
	s_addc_u32 s3, s19, s41
	s_ashr_i32 s43, s42, 31
	s_delay_alu instid0(SALU_CYCLE_1) | instskip(NEXT) | instid1(SALU_CYCLE_1)
	s_lshl_b64 s[18:19], s[42:43], 2
	s_add_u32 s1, s1, s18
	s_addc_u32 s3, s3, s19
	s_ashr_i32 s13, s12, 31
	s_delay_alu instid0(SALU_CYCLE_1) | instskip(NEXT) | instid1(SALU_CYCLE_1)
	s_lshl_b64 s[42:43], s[12:13], 2
	s_add_u32 s44, s1, s42
	s_addc_u32 s45, s3, s43
	s_add_u32 s1, s16, s40
	s_addc_u32 s3, s17, s41
	s_add_u32 s1, s1, s18
	s_addc_u32 s3, s3, s19
	s_add_u32 s16, s1, s42
	s_addc_u32 s17, s3, s43
	s_clause 0x1
	global_store_b32 v4, v2, s[44:45]
	global_store_b32 v4, v3, s[16:17]
.LBB164_36:
	s_or_b32 exec_lo, exec_lo, s0
	v_lshrrev_b32_e32 v16, 1, v1
                                        ; implicit-def: $sgpr0
	s_and_saveexec_b32 s1, s2
	s_delay_alu instid0(SALU_CYCLE_1)
	s_xor_b32 s1, exec_lo, s1
; %bb.37:
	v_lshrrev_b32_e32 v16, 1, v1
	s_mov_b32 s0, 0
                                        ; implicit-def: $vgpr15
                                        ; implicit-def: $vgpr9
                                        ; implicit-def: $vgpr11
; %bb.38:
	s_or_saveexec_b32 s2, s1
	v_dual_mov_b32 v25, s0 :: v_dual_mov_b32 v20, s0
	v_dual_mov_b32 v19, s0 :: v_dual_mov_b32 v22, s0
	;; [unrolled: 1-line block ×4, first 2 shown]
	s_xor_b32 exec_lo, exec_lo, s2
	s_cbranch_execz .LBB164_350
; %bb.39:
	s_ashr_i32 s35, s34, 31
	s_sub_i32 s3, s39, s9
	s_lshl_b64 s[0:1], s[34:35], 1
	v_dual_mov_b32 v23, 0 :: v_dual_and_b32 v26, 8, v11
	s_add_u32 s7, s30, s0
	s_addc_u32 s9, s31, s1
	s_abs_i32 s10, s10
	v_dual_mov_b32 v18, 0 :: v_dual_lshlrev_b32 v5, 5, v13
	v_cvt_f32_u32_e32 v1, s10
	s_sub_i32 s0, 0, s10
	v_or_b32_e32 v4, 0x70, v16
	s_add_i32 s13, s36, -1
	v_lshl_or_b32 v7, v16, 4, v26
	v_rcp_iflag_f32_e32 v3, v1
	v_lshlrev_b64 v[1:2], 2, v[9:10]
	v_cmp_gt_u32_e32 vcc_lo, 0x78, v4
	v_lshl_or_b32 v5, v14, 6, v5
	v_lshl_or_b32 v4, v4, 4, v26
	v_dual_mov_b32 v22, 0 :: v_dual_mov_b32 v21, 0
	v_mov_b32_e32 v24, 0
	v_dual_mov_b32 v20, 0 :: v_dual_mov_b32 v19, 0
	s_delay_alu instid0(TRANS32_DEP_1) | instskip(SKIP_3) | instid1(VALU_DEP_4)
	v_mul_f32_e32 v3, 0x4f7ffffe, v3
	v_add_nc_u32_e32 v27, 0x110, v5
	v_dual_mov_b32 v25, 0 :: v_dual_lshlrev_b32 v28, 1, v7
	v_lshlrev_b32_e32 v29, 1, v4
	v_cvt_u32_f32_e32 v3, v3
	s_mov_b32 s14, s5
	s_mov_b32 s5, 0
	s_delay_alu instid0(VALU_DEP_1) | instskip(SKIP_1) | instid1(SALU_CYCLE_1)
	v_mul_lo_u32 v6, s0, v3
	s_lshl_b64 s[0:1], s[28:29], 2
	s_add_u32 s0, s26, s0
	s_addc_u32 s1, s27, s1
	v_add_co_u32 v10, s0, s0, v1
	s_delay_alu instid0(VALU_DEP_1) | instskip(NEXT) | instid1(VALU_DEP_3)
	v_add_co_ci_u32_e64 v11, s0, s1, v2, s0
	v_mul_hi_u32 v6, v3, v6
	s_delay_alu instid0(VALU_DEP_1)
	v_add_nc_u32_e32 v30, v3, v6
	s_branch .LBB164_43
.LBB164_40:                             ;   in Loop: Header=BB164_43 Depth=1
	s_or_b32 exec_lo, exec_lo, s1
	v_and_b32_e32 v2, 0xffff0000, v2
	v_and_b32_e32 v3, 0xffff0000, v3
	;; [unrolled: 1-line block ×4, first 2 shown]
	s_delay_alu instid0(VALU_DEP_1) | instskip(NEXT) | instid1(VALU_DEP_1)
	v_dual_add_f32 v3, v3, v39 :: v_dual_and_b32 v40, 0xffff0000, v40
	v_dual_add_f32 v2, v2, v40 :: v_dual_and_b32 v1, 0xffff0000, v1
	v_and_b32_e32 v36, 0xffff0000, v36
	s_delay_alu instid0(VALU_DEP_1) | instskip(NEXT) | instid1(VALU_DEP_1)
	v_add_f32_e32 v1, v1, v36
	v_add_f32_e32 v1, v1, v2
	s_delay_alu instid0(VALU_DEP_1) | instskip(NEXT) | instid1(VALU_DEP_1)
	v_dual_add_f32 v1, v1, v3 :: v_dual_and_b32 v2, 0xffff0000, v38
	v_add_f32_e32 v2, v4, v2
	s_delay_alu instid0(VALU_DEP_1) | instskip(NEXT) | instid1(VALU_DEP_1)
	v_add_f32_e32 v1, v1, v2
	v_add_f32_e32 v25, v25, v1
.LBB164_41:                             ;   in Loop: Header=BB164_43 Depth=1
	s_or_b32 exec_lo, exec_lo, s17
	v_and_b32_e32 v4, 0xffff0000, v7
	v_and_b32_e32 v7, 0xffff0000, v31
	;; [unrolled: 1-line block ×6, first 2 shown]
	s_delay_alu instid0(VALU_DEP_4) | instskip(NEXT) | instid1(VALU_DEP_4)
	v_dual_add_f32 v3, v4, v3 :: v_dual_and_b32 v40, 0xffff0000, v89
	v_dual_add_f32 v2, v7, v2 :: v_dual_and_b32 v7, 0xffff0000, v49
	v_and_b32_e32 v8, 0xffff0000, v33
	v_and_b32_e32 v33, 0xffff0000, v48
	v_add_f32_e32 v5, v5, v6
	s_delay_alu instid0(VALU_DEP_4)
	v_add_f32_e32 v2, v3, v2
	v_and_b32_e32 v4, 0xffff0000, v51
	v_and_b32_e32 v1, 0xffff0000, v34
	v_dual_add_f32 v7, v33, v7 :: v_dual_and_b32 v34, 0xffff0000, v50
	v_and_b32_e32 v3, 0xffff0000, v53
	v_and_b32_e32 v33, 0xffff0000, v68
	s_delay_alu instid0(VALU_DEP_3) | instskip(SKIP_2) | instid1(VALU_DEP_3)
	v_dual_add_f32 v4, v34, v4 :: v_dual_add_f32 v1, v8, v1
	v_and_b32_e32 v31, 0xffff0000, v35
	v_and_b32_e32 v34, 0xffff0000, v72
	v_dual_add_f32 v4, v7, v4 :: v_dual_and_b32 v35, 0xffff0000, v74
	s_delay_alu instid0(VALU_DEP_4) | instskip(SKIP_3) | instid1(VALU_DEP_3)
	v_dual_add_f32 v1, v2, v1 :: v_dual_and_b32 v8, 0xffff0000, v52
	v_and_b32_e32 v32, 0xffff0000, v37
	v_and_b32_e32 v7, 0xffff0000, v55
	;; [unrolled: 1-line block ×3, first 2 shown]
	v_dual_add_f32 v3, v8, v3 :: v_dual_add_f32 v2, v31, v32
	v_and_b32_e32 v32, 0xffff0000, v66
	s_delay_alu instid0(VALU_DEP_2) | instskip(NEXT) | instid1(VALU_DEP_3)
	v_add_f32_e32 v1, v1, v2
	v_dual_add_f32 v2, v4, v3 :: v_dual_and_b32 v31, 0xffff0000, v54
	s_delay_alu instid0(VALU_DEP_1) | instskip(SKIP_3) | instid1(VALU_DEP_4)
	v_dual_add_f32 v18, v18, v1 :: v_dual_add_f32 v3, v31, v7
	v_and_b32_e32 v7, 0xffff0000, v57
	v_and_b32_e32 v8, 0xffff0000, v56
	;; [unrolled: 1-line block ×3, first 2 shown]
	v_dual_add_f32 v1, v2, v3 :: v_dual_and_b32 v2, 0xffff0000, v61
	s_delay_alu instid0(VALU_DEP_3) | instskip(SKIP_1) | instid1(VALU_DEP_3)
	v_add_f32_e32 v3, v8, v7
	v_and_b32_e32 v8, 0xffff0000, v63
	v_dual_add_f32 v24, v24, v1 :: v_dual_and_b32 v1, 0xffff0000, v62
	s_delay_alu instid0(VALU_DEP_1) | instskip(NEXT) | instid1(VALU_DEP_1)
	v_dual_add_f32 v1, v1, v8 :: v_dual_and_b32 v4, 0xffff0000, v59
	v_add_f32_e32 v4, v31, v4
	s_delay_alu instid0(VALU_DEP_1) | instskip(NEXT) | instid1(VALU_DEP_1)
	v_dual_add_f32 v3, v3, v4 :: v_dual_and_b32 v4, 0xffff0000, v67
	v_add_f32_e32 v4, v32, v4
	v_and_b32_e32 v32, 0xffff0000, v73
	s_delay_alu instid0(VALU_DEP_1) | instskip(SKIP_1) | instid1(VALU_DEP_1)
	v_add_f32_e32 v32, v34, v32
	v_and_b32_e32 v7, 0xffff0000, v60
	v_dual_add_f32 v2, v7, v2 :: v_dual_and_b32 v7, 0xffff0000, v65
	s_delay_alu instid0(VALU_DEP_1) | instskip(NEXT) | instid1(VALU_DEP_1)
	v_dual_add_f32 v2, v3, v2 :: v_dual_and_b32 v3, 0xffff0000, v69
	v_dual_add_f32 v1, v2, v1 :: v_dual_and_b32 v38, 0xffff0000, v86
	s_delay_alu instid0(VALU_DEP_2) | instskip(SKIP_4) | instid1(VALU_DEP_2)
	v_dual_add_f32 v3, v33, v3 :: v_dual_and_b32 v34, 0xffff0000, v76
	v_and_b32_e32 v36, 0xffff0000, v70
	v_and_b32_e32 v33, 0xffff0000, v71
	;; [unrolled: 1-line block ×3, first 2 shown]
	v_add_f32_e32 v23, v23, v1
	v_add_f32_e32 v7, v31, v7
	s_delay_alu instid0(VALU_DEP_1) | instskip(NEXT) | instid1(VALU_DEP_1)
	v_dual_add_f32 v4, v7, v4 :: v_dual_and_b32 v7, 0xffff0000, v77
	v_add_f32_e32 v3, v4, v3
	s_delay_alu instid0(VALU_DEP_2) | instskip(NEXT) | instid1(VALU_DEP_1)
	v_dual_add_f32 v7, v34, v7 :: v_dual_add_f32 v4, v36, v33
	v_dual_add_f32 v2, v3, v4 :: v_dual_and_b32 v39, 0xffff0000, v87
	s_delay_alu instid0(VALU_DEP_1) | instskip(NEXT) | instid1(VALU_DEP_1)
	v_dual_add_f32 v22, v22, v2 :: v_dual_and_b32 v41, 0xffff0000, v88
	v_dual_add_f32 v6, v41, v40 :: v_dual_and_b32 v31, 0xffff0000, v75
	s_delay_alu instid0(VALU_DEP_1) | instskip(SKIP_1) | instid1(VALU_DEP_3)
	v_add_f32_e32 v31, v35, v31
	v_and_b32_e32 v35, 0xffff0000, v82
	v_dual_add_f32 v5, v5, v6 :: v_dual_and_b32 v36, 0xffff0000, v81
	s_delay_alu instid0(VALU_DEP_3) | instskip(SKIP_2) | instid1(VALU_DEP_4)
	v_add_f32_e32 v8, v32, v31
	v_and_b32_e32 v32, 0xffff0000, v79
	v_and_b32_e32 v34, 0xffff0000, v83
	v_dual_add_f32 v36, v37, v36 :: v_dual_and_b32 v37, 0xffff0000, v90
	s_delay_alu instid0(VALU_DEP_4) | instskip(NEXT) | instid1(VALU_DEP_3)
	v_dual_add_f32 v7, v8, v7 :: v_dual_and_b32 v8, 0xffff0000, v85
	v_dual_add_f32 v34, v35, v34 :: v_dual_and_b32 v35, 0xffff0000, v91
	s_delay_alu instid0(VALU_DEP_1) | instskip(NEXT) | instid1(VALU_DEP_2)
	v_dual_add_f32 v34, v36, v34 :: v_dual_and_b32 v33, 0xffff0000, v84
	v_dual_add_f32 v6, v37, v35 :: v_dual_and_b32 v31, 0xffff0000, v78
	s_delay_alu instid0(VALU_DEP_2) | instskip(SKIP_2) | instid1(VALU_DEP_4)
	v_add_f32_e32 v8, v33, v8
	v_and_b32_e32 v33, 0xffff0000, v92
	v_and_b32_e32 v35, 0xffff0000, v93
	v_add_f32_e32 v5, v5, v6
	v_add_f32_e32 v31, v31, v32
	;; [unrolled: 1-line block ×5, first 2 shown]
	s_delay_alu instid0(VALU_DEP_2) | instskip(NEXT) | instid1(VALU_DEP_1)
	v_dual_add_f32 v3, v7, v31 :: v_dual_add_f32 v4, v8, v32
	v_dual_add_f32 v5, v5, v6 :: v_dual_add_f32 v20, v20, v3
	s_delay_alu instid0(VALU_DEP_2) | instskip(NEXT) | instid1(VALU_DEP_2)
	v_add_f32_e32 v21, v21, v4
	v_add_f32_e32 v19, v19, v5
.LBB164_42:                             ;   in Loop: Header=BB164_43 Depth=1
	s_or_b32 exec_lo, exec_lo, s16
	v_add_nc_u32_e32 v9, 4, v9
	v_add_co_u32 v10, s1, v10, 16
	s_delay_alu instid0(VALU_DEP_1) | instskip(NEXT) | instid1(VALU_DEP_3)
	v_add_co_ci_u32_e64 v11, s1, 0, v11, s1
	v_cmp_le_i32_e64 s0, s8, v9
	v_add_nc_u32_e32 v15, 64, v15
	v_add_nc_u32_e32 v27, 0x100, v27
	s_delay_alu instid0(VALU_DEP_3) | instskip(NEXT) | instid1(SALU_CYCLE_1)
	s_or_b32 s5, s0, s5
	s_and_not1_b32 exec_lo, exec_lo, s5
	s_cbranch_execz .LBB164_349
.LBB164_43:                             ; =>This Inner Loop Header: Depth=1
	v_sub_nc_u32_e32 v1, 0, v15
	s_delay_alu instid0(VALU_DEP_1) | instskip(NEXT) | instid1(VALU_DEP_1)
	v_max_i32_e32 v1, v15, v1
	v_mul_hi_u32 v2, v1, s25
	s_delay_alu instid0(VALU_DEP_1) | instskip(NEXT) | instid1(VALU_DEP_1)
	v_mul_lo_u32 v3, v2, s21
	v_sub_nc_u32_e32 v1, v1, v3
	v_add_nc_u32_e32 v3, 1, v2
	s_delay_alu instid0(VALU_DEP_2) | instskip(SKIP_1) | instid1(VALU_DEP_1)
	v_subrev_nc_u32_e32 v4, s21, v1
	v_cmp_le_u32_e64 s0, s21, v1
	v_cndmask_b32_e64 v2, v2, v3, s0
	s_delay_alu instid0(VALU_DEP_3) | instskip(SKIP_1) | instid1(VALU_DEP_3)
	v_cndmask_b32_e64 v1, v1, v4, s0
	v_ashrrev_i32_e32 v3, 31, v15
	v_add_nc_u32_e32 v4, 1, v2
	s_delay_alu instid0(VALU_DEP_3) | instskip(NEXT) | instid1(VALU_DEP_3)
	v_cmp_le_u32_e64 s0, s21, v1
	v_xor_b32_e32 v3, s11, v3
	s_delay_alu instid0(VALU_DEP_2) | instskip(NEXT) | instid1(VALU_DEP_1)
	v_cndmask_b32_e64 v1, v2, v4, s0
	v_xor_b32_e32 v1, v1, v3
	s_delay_alu instid0(VALU_DEP_1) | instskip(NEXT) | instid1(VALU_DEP_1)
	v_sub_nc_u32_e32 v1, v1, v3
	v_add_nc_u32_e32 v2, s33, v1
	v_cmp_lt_i32_e64 s1, s3, v1
	s_delay_alu instid0(VALU_DEP_2) | instskip(NEXT) | instid1(VALU_DEP_1)
	v_sub_nc_u32_e32 v3, 0, v2
	v_max_i32_e32 v3, v2, v3
	v_ashrrev_i32_e32 v2, 31, v2
	s_delay_alu instid0(VALU_DEP_2) | instskip(NEXT) | instid1(VALU_DEP_1)
	v_mul_hi_u32 v4, v3, v30
	v_mul_lo_u32 v4, v4, s10
	s_delay_alu instid0(VALU_DEP_1) | instskip(NEXT) | instid1(VALU_DEP_1)
	v_sub_nc_u32_e32 v3, v3, v4
	v_subrev_nc_u32_e32 v4, s10, v3
	v_cmp_le_u32_e64 s0, s10, v3
	s_delay_alu instid0(VALU_DEP_1) | instskip(NEXT) | instid1(VALU_DEP_1)
	v_cndmask_b32_e64 v3, v3, v4, s0
	v_subrev_nc_u32_e32 v4, s10, v3
	v_cmp_le_u32_e64 s0, s10, v3
	s_delay_alu instid0(VALU_DEP_1) | instskip(NEXT) | instid1(VALU_DEP_1)
	v_cndmask_b32_e64 v3, v3, v4, s0
	v_xor_b32_e32 v3, v3, v2
	s_delay_alu instid0(VALU_DEP_1) | instskip(NEXT) | instid1(VALU_DEP_1)
	v_sub_nc_u32_e32 v2, v3, v2
	v_cmp_eq_u32_e64 s0, 0, v2
	s_delay_alu instid0(VALU_DEP_1) | instskip(NEXT) | instid1(SALU_CYCLE_1)
	s_or_b32 s0, s0, s1
	s_and_saveexec_b32 s16, s0
	s_cbranch_execz .LBB164_42
; %bb.44:                               ;   in Loop: Header=BB164_43 Depth=1
	global_load_b32 v36, v[10:11], off
	ds_load_2addr_b64 v[5:8], v27 offset1:1
	ds_load_2addr_b64 v[1:4], v27 offset0:2 offset1:3
                                        ; implicit-def: $vgpr40
	s_waitcnt lgkmcnt(1)
	v_and_b32_e32 v31, 0x7f800000, v5
	s_delay_alu instid0(VALU_DEP_1) | instskip(NEXT) | instid1(VALU_DEP_1)
	v_cmp_ne_u32_e64 s0, 0x7f800000, v31
	s_and_saveexec_b32 s1, s0
	s_delay_alu instid0(SALU_CYCLE_1)
	s_xor_b32 s0, exec_lo, s1
; %bb.45:                               ;   in Loop: Header=BB164_43 Depth=1
	v_bfe_u32 v31, v5, 16, 1
	s_delay_alu instid0(VALU_DEP_1)
	v_add3_u32 v40, v5, v31, 0x7fff
; %bb.46:                               ;   in Loop: Header=BB164_43 Depth=1
	s_and_not1_saveexec_b32 s1, s0
; %bb.47:                               ;   in Loop: Header=BB164_43 Depth=1
	v_and_b32_e32 v31, 0xffff, v5
	v_or_b32_e32 v32, 0x10000, v5
	s_delay_alu instid0(VALU_DEP_2) | instskip(NEXT) | instid1(VALU_DEP_1)
	v_cmp_eq_u32_e64 s0, 0, v31
	v_cndmask_b32_e64 v40, v32, v5, s0
; %bb.48:                               ;   in Loop: Header=BB164_43 Depth=1
	s_or_b32 exec_lo, exec_lo, s1
	v_and_b32_e32 v5, 0x7f800000, v6
                                        ; implicit-def: $vgpr41
	s_delay_alu instid0(VALU_DEP_1) | instskip(NEXT) | instid1(VALU_DEP_1)
	v_cmp_ne_u32_e64 s0, 0x7f800000, v5
	s_and_saveexec_b32 s1, s0
	s_delay_alu instid0(SALU_CYCLE_1)
	s_xor_b32 s0, exec_lo, s1
; %bb.49:                               ;   in Loop: Header=BB164_43 Depth=1
	v_bfe_u32 v5, v6, 16, 1
	s_delay_alu instid0(VALU_DEP_1)
	v_add3_u32 v41, v6, v5, 0x7fff
; %bb.50:                               ;   in Loop: Header=BB164_43 Depth=1
	s_and_not1_saveexec_b32 s1, s0
; %bb.51:                               ;   in Loop: Header=BB164_43 Depth=1
	v_and_b32_e32 v5, 0xffff, v6
	v_or_b32_e32 v31, 0x10000, v6
	s_delay_alu instid0(VALU_DEP_2) | instskip(NEXT) | instid1(VALU_DEP_1)
	v_cmp_eq_u32_e64 s0, 0, v5
	v_cndmask_b32_e64 v41, v31, v6, s0
; %bb.52:                               ;   in Loop: Header=BB164_43 Depth=1
	s_or_b32 exec_lo, exec_lo, s1
	v_and_b32_e32 v5, 0x7f800000, v7
                                        ; implicit-def: $vgpr31
	s_delay_alu instid0(VALU_DEP_1) | instskip(NEXT) | instid1(VALU_DEP_1)
	v_cmp_ne_u32_e64 s0, 0x7f800000, v5
	s_and_saveexec_b32 s1, s0
	s_delay_alu instid0(SALU_CYCLE_1)
	s_xor_b32 s0, exec_lo, s1
; %bb.53:                               ;   in Loop: Header=BB164_43 Depth=1
	v_bfe_u32 v5, v7, 16, 1
	s_delay_alu instid0(VALU_DEP_1)
	v_add3_u32 v31, v7, v5, 0x7fff
; %bb.54:                               ;   in Loop: Header=BB164_43 Depth=1
	s_and_not1_saveexec_b32 s1, s0
; %bb.55:                               ;   in Loop: Header=BB164_43 Depth=1
	v_and_b32_e32 v5, 0xffff, v7
	v_or_b32_e32 v6, 0x10000, v7
	s_delay_alu instid0(VALU_DEP_2) | instskip(NEXT) | instid1(VALU_DEP_1)
	v_cmp_eq_u32_e64 s0, 0, v5
	v_cndmask_b32_e64 v31, v6, v7, s0
; %bb.56:                               ;   in Loop: Header=BB164_43 Depth=1
	s_or_b32 exec_lo, exec_lo, s1
	v_and_b32_e32 v5, 0x7f800000, v8
                                        ; implicit-def: $vgpr32
	s_delay_alu instid0(VALU_DEP_1) | instskip(NEXT) | instid1(VALU_DEP_1)
	v_cmp_ne_u32_e64 s0, 0x7f800000, v5
	s_and_saveexec_b32 s1, s0
	s_delay_alu instid0(SALU_CYCLE_1)
	s_xor_b32 s0, exec_lo, s1
; %bb.57:                               ;   in Loop: Header=BB164_43 Depth=1
	v_bfe_u32 v5, v8, 16, 1
	s_delay_alu instid0(VALU_DEP_1)
	v_add3_u32 v32, v8, v5, 0x7fff
                                        ; implicit-def: $vgpr5_vgpr6_vgpr7_vgpr8
; %bb.58:                               ;   in Loop: Header=BB164_43 Depth=1
	s_and_not1_saveexec_b32 s1, s0
; %bb.59:                               ;   in Loop: Header=BB164_43 Depth=1
	v_and_b32_e32 v5, 0xffff, v8
	v_or_b32_e32 v6, 0x10000, v8
	s_delay_alu instid0(VALU_DEP_2) | instskip(NEXT) | instid1(VALU_DEP_1)
	v_cmp_eq_u32_e64 s0, 0, v5
	v_cndmask_b32_e64 v32, v6, v8, s0
; %bb.60:                               ;   in Loop: Header=BB164_43 Depth=1
	s_or_b32 exec_lo, exec_lo, s1
	s_waitcnt lgkmcnt(0)
	v_and_b32_e32 v5, 0x7f800000, v1
                                        ; implicit-def: $vgpr33
	s_delay_alu instid0(VALU_DEP_1) | instskip(NEXT) | instid1(VALU_DEP_1)
	v_cmp_ne_u32_e64 s0, 0x7f800000, v5
	s_and_saveexec_b32 s1, s0
	s_delay_alu instid0(SALU_CYCLE_1)
	s_xor_b32 s0, exec_lo, s1
; %bb.61:                               ;   in Loop: Header=BB164_43 Depth=1
	v_bfe_u32 v5, v1, 16, 1
	s_delay_alu instid0(VALU_DEP_1)
	v_add3_u32 v33, v1, v5, 0x7fff
; %bb.62:                               ;   in Loop: Header=BB164_43 Depth=1
	s_and_not1_saveexec_b32 s1, s0
; %bb.63:                               ;   in Loop: Header=BB164_43 Depth=1
	v_and_b32_e32 v5, 0xffff, v1
	v_or_b32_e32 v6, 0x10000, v1
	s_delay_alu instid0(VALU_DEP_2) | instskip(NEXT) | instid1(VALU_DEP_1)
	v_cmp_eq_u32_e64 s0, 0, v5
	v_cndmask_b32_e64 v33, v6, v1, s0
; %bb.64:                               ;   in Loop: Header=BB164_43 Depth=1
	s_or_b32 exec_lo, exec_lo, s1
	v_and_b32_e32 v1, 0x7f800000, v2
                                        ; implicit-def: $vgpr34
	s_delay_alu instid0(VALU_DEP_1) | instskip(NEXT) | instid1(VALU_DEP_1)
	v_cmp_ne_u32_e64 s0, 0x7f800000, v1
	s_and_saveexec_b32 s1, s0
	s_delay_alu instid0(SALU_CYCLE_1)
	s_xor_b32 s0, exec_lo, s1
; %bb.65:                               ;   in Loop: Header=BB164_43 Depth=1
	v_bfe_u32 v1, v2, 16, 1
	s_delay_alu instid0(VALU_DEP_1)
	v_add3_u32 v34, v2, v1, 0x7fff
; %bb.66:                               ;   in Loop: Header=BB164_43 Depth=1
	s_and_not1_saveexec_b32 s1, s0
; %bb.67:                               ;   in Loop: Header=BB164_43 Depth=1
	v_and_b32_e32 v1, 0xffff, v2
	v_or_b32_e32 v5, 0x10000, v2
	s_delay_alu instid0(VALU_DEP_2) | instskip(NEXT) | instid1(VALU_DEP_1)
	v_cmp_eq_u32_e64 s0, 0, v1
	v_cndmask_b32_e64 v34, v5, v2, s0
; %bb.68:                               ;   in Loop: Header=BB164_43 Depth=1
	s_or_b32 exec_lo, exec_lo, s1
	v_and_b32_e32 v1, 0x7f800000, v3
                                        ; implicit-def: $vgpr35
	s_delay_alu instid0(VALU_DEP_1) | instskip(NEXT) | instid1(VALU_DEP_1)
	v_cmp_ne_u32_e64 s0, 0x7f800000, v1
	s_and_saveexec_b32 s1, s0
	s_delay_alu instid0(SALU_CYCLE_1)
	s_xor_b32 s0, exec_lo, s1
; %bb.69:                               ;   in Loop: Header=BB164_43 Depth=1
	v_bfe_u32 v1, v3, 16, 1
	s_delay_alu instid0(VALU_DEP_1)
	v_add3_u32 v35, v3, v1, 0x7fff
; %bb.70:                               ;   in Loop: Header=BB164_43 Depth=1
	s_and_not1_saveexec_b32 s1, s0
; %bb.71:                               ;   in Loop: Header=BB164_43 Depth=1
	v_and_b32_e32 v1, 0xffff, v3
	v_or_b32_e32 v2, 0x10000, v3
	s_delay_alu instid0(VALU_DEP_2) | instskip(NEXT) | instid1(VALU_DEP_1)
	v_cmp_eq_u32_e64 s0, 0, v1
	v_cndmask_b32_e64 v35, v2, v3, s0
; %bb.72:                               ;   in Loop: Header=BB164_43 Depth=1
	s_or_b32 exec_lo, exec_lo, s1
	v_and_b32_e32 v1, 0x7f800000, v4
                                        ; implicit-def: $vgpr37
	s_delay_alu instid0(VALU_DEP_1) | instskip(NEXT) | instid1(VALU_DEP_1)
	v_cmp_ne_u32_e64 s0, 0x7f800000, v1
	s_and_saveexec_b32 s1, s0
	s_delay_alu instid0(SALU_CYCLE_1)
	s_xor_b32 s0, exec_lo, s1
; %bb.73:                               ;   in Loop: Header=BB164_43 Depth=1
	v_bfe_u32 v1, v4, 16, 1
	s_delay_alu instid0(VALU_DEP_1)
	v_add3_u32 v37, v4, v1, 0x7fff
                                        ; implicit-def: $vgpr1_vgpr2_vgpr3_vgpr4
; %bb.74:                               ;   in Loop: Header=BB164_43 Depth=1
	s_and_not1_saveexec_b32 s1, s0
; %bb.75:                               ;   in Loop: Header=BB164_43 Depth=1
	v_and_b32_e32 v1, 0xffff, v4
	v_or_b32_e32 v2, 0x10000, v4
	s_delay_alu instid0(VALU_DEP_2) | instskip(NEXT) | instid1(VALU_DEP_1)
	v_cmp_eq_u32_e64 s0, 0, v1
	v_cndmask_b32_e64 v37, v2, v4, s0
; %bb.76:                               ;   in Loop: Header=BB164_43 Depth=1
	s_or_b32 exec_lo, exec_lo, s1
	s_waitcnt vmcnt(0)
	v_mad_i64_i32 v[1:2], null, v36, s14, 0
	v_add_nc_u32_e32 v36, v26, v15
	s_delay_alu instid0(VALU_DEP_2) | instskip(NEXT) | instid1(VALU_DEP_1)
	v_lshlrev_b64 v[1:2], 1, v[1:2]
	v_add_co_u32 v38, s0, s7, v1
	s_delay_alu instid0(VALU_DEP_1) | instskip(NEXT) | instid1(VALU_DEP_2)
	v_add_co_ci_u32_e64 v39, s0, s9, v2, s0
	v_add_co_u32 v5, s0, v38, v28
	s_delay_alu instid0(VALU_DEP_1)
	v_add_co_ci_u32_e64 v6, s0, 0, v39, s0
	v_cmp_eq_u32_e64 s0, s13, v9
	global_load_b128 v[1:4], v[5:6], off
	s_waitcnt vmcnt(0)
	v_lshrrev_b32_e32 v8, 16, v1
	v_lshrrev_b32_e32 v44, 16, v2
	;; [unrolled: 1-line block ×4, first 2 shown]
	s_and_saveexec_b32 s17, s0
	s_cbranch_execz .LBB164_78
; %bb.77:                               ;   in Loop: Header=BB164_43 Depth=1
	v_add_nc_u32_e32 v7, 1, v36
	v_cmp_gt_i32_e64 s1, s15, v36
	v_add_nc_u32_e32 v42, 2, v36
	v_add_nc_u32_e32 v43, 3, v36
	s_delay_alu instid0(VALU_DEP_3) | instskip(SKIP_2) | instid1(VALU_DEP_2)
	v_cndmask_b32_e64 v1, 0, v1, s1
	v_cmp_gt_i32_e64 s1, s15, v7
	v_add_nc_u32_e32 v7, 4, v36
	v_cndmask_b32_e64 v8, 0, v8, s1
	v_cmp_gt_i32_e64 s1, s15, v42
	v_add_nc_u32_e32 v42, 5, v36
	s_delay_alu instid0(VALU_DEP_2) | instskip(SKIP_2) | instid1(VALU_DEP_2)
	v_cndmask_b32_e64 v2, 0, v2, s1
	v_cmp_gt_i32_e64 s1, s15, v43
	v_add_nc_u32_e32 v43, 6, v36
	v_cndmask_b32_e64 v44, 0, v44, s1
	v_cmp_gt_i32_e64 s1, s15, v7
	v_add_nc_u32_e32 v7, 7, v36
	s_delay_alu instid0(VALU_DEP_2) | instskip(SKIP_1) | instid1(VALU_DEP_1)
	v_cndmask_b32_e64 v3, 0, v3, s1
	v_cmp_gt_i32_e64 s1, s15, v42
	v_cndmask_b32_e64 v46, 0, v46, s1
	v_cmp_gt_i32_e64 s1, s15, v43
	s_delay_alu instid0(VALU_DEP_1) | instskip(SKIP_1) | instid1(VALU_DEP_1)
	v_cndmask_b32_e64 v4, 0, v4, s1
	v_cmp_gt_i32_e64 s1, s15, v7
	v_cndmask_b32_e64 v48, 0, v48, s1
.LBB164_78:                             ;   in Loop: Header=BB164_43 Depth=1
	s_or_b32 exec_lo, exec_lo, s17
	v_and_b32_e32 v40, 0xffff0000, v40
	v_lshlrev_b32_e32 v1, 16, v1
	s_delay_alu instid0(VALU_DEP_1) | instskip(NEXT) | instid1(VALU_DEP_1)
	v_mul_f32_e32 v1, v40, v1
	v_and_b32_e32 v7, 0x7f800000, v1
	s_delay_alu instid0(VALU_DEP_1) | instskip(NEXT) | instid1(VALU_DEP_1)
	v_cmp_ne_u32_e64 s1, 0x7f800000, v7
                                        ; implicit-def: $vgpr7
	s_and_saveexec_b32 s17, s1
	s_delay_alu instid0(SALU_CYCLE_1)
	s_xor_b32 s1, exec_lo, s17
; %bb.79:                               ;   in Loop: Header=BB164_43 Depth=1
	v_bfe_u32 v7, v1, 16, 1
	s_delay_alu instid0(VALU_DEP_1)
	v_add3_u32 v7, v1, v7, 0x7fff
                                        ; implicit-def: $vgpr1
; %bb.80:                               ;   in Loop: Header=BB164_43 Depth=1
	s_and_not1_saveexec_b32 s17, s1
; %bb.81:                               ;   in Loop: Header=BB164_43 Depth=1
	v_and_b32_e32 v7, 0xffff, v1
	v_or_b32_e32 v42, 0x10000, v1
	s_delay_alu instid0(VALU_DEP_2) | instskip(NEXT) | instid1(VALU_DEP_1)
	v_cmp_eq_u32_e64 s1, 0, v7
	v_cndmask_b32_e64 v7, v42, v1, s1
; %bb.82:                               ;   in Loop: Header=BB164_43 Depth=1
	s_or_b32 exec_lo, exec_lo, s17
	v_and_b32_e32 v41, 0xffff0000, v41
	v_lshlrev_b32_e32 v1, 16, v8
	s_delay_alu instid0(VALU_DEP_1) | instskip(NEXT) | instid1(VALU_DEP_1)
	v_mul_f32_e32 v1, v41, v1
	v_and_b32_e32 v8, 0x7f800000, v1
	s_delay_alu instid0(VALU_DEP_1) | instskip(NEXT) | instid1(VALU_DEP_1)
	v_cmp_ne_u32_e64 s1, 0x7f800000, v8
                                        ; implicit-def: $vgpr8
	s_and_saveexec_b32 s17, s1
	s_delay_alu instid0(SALU_CYCLE_1)
	s_xor_b32 s1, exec_lo, s17
; %bb.83:                               ;   in Loop: Header=BB164_43 Depth=1
	v_bfe_u32 v8, v1, 16, 1
	s_delay_alu instid0(VALU_DEP_1)
	v_add3_u32 v8, v1, v8, 0x7fff
                                        ; implicit-def: $vgpr1
; %bb.84:                               ;   in Loop: Header=BB164_43 Depth=1
	s_and_not1_saveexec_b32 s17, s1
; %bb.85:                               ;   in Loop: Header=BB164_43 Depth=1
	v_and_b32_e32 v8, 0xffff, v1
	v_or_b32_e32 v42, 0x10000, v1
	s_delay_alu instid0(VALU_DEP_2) | instskip(NEXT) | instid1(VALU_DEP_1)
	v_cmp_eq_u32_e64 s1, 0, v8
	v_cndmask_b32_e64 v8, v42, v1, s1
; %bb.86:                               ;   in Loop: Header=BB164_43 Depth=1
	s_or_b32 exec_lo, exec_lo, s17
	v_and_b32_e32 v42, 0xffff0000, v31
	v_lshlrev_b32_e32 v1, 16, v2
                                        ; implicit-def: $vgpr31
	s_delay_alu instid0(VALU_DEP_1) | instskip(NEXT) | instid1(VALU_DEP_1)
	v_mul_f32_e32 v1, v42, v1
	v_and_b32_e32 v2, 0x7f800000, v1
	s_delay_alu instid0(VALU_DEP_1) | instskip(NEXT) | instid1(VALU_DEP_1)
	v_cmp_ne_u32_e64 s1, 0x7f800000, v2
	s_and_saveexec_b32 s17, s1
	s_delay_alu instid0(SALU_CYCLE_1)
	s_xor_b32 s1, exec_lo, s17
; %bb.87:                               ;   in Loop: Header=BB164_43 Depth=1
	v_bfe_u32 v2, v1, 16, 1
	s_delay_alu instid0(VALU_DEP_1)
	v_add3_u32 v31, v1, v2, 0x7fff
                                        ; implicit-def: $vgpr1
; %bb.88:                               ;   in Loop: Header=BB164_43 Depth=1
	s_and_not1_saveexec_b32 s17, s1
; %bb.89:                               ;   in Loop: Header=BB164_43 Depth=1
	v_and_b32_e32 v2, 0xffff, v1
	v_or_b32_e32 v31, 0x10000, v1
	s_delay_alu instid0(VALU_DEP_2) | instskip(NEXT) | instid1(VALU_DEP_1)
	v_cmp_eq_u32_e64 s1, 0, v2
	v_cndmask_b32_e64 v31, v31, v1, s1
; %bb.90:                               ;   in Loop: Header=BB164_43 Depth=1
	s_or_b32 exec_lo, exec_lo, s17
	v_and_b32_e32 v43, 0xffff0000, v32
	v_lshlrev_b32_e32 v1, 16, v44
                                        ; implicit-def: $vgpr32
	s_delay_alu instid0(VALU_DEP_1) | instskip(NEXT) | instid1(VALU_DEP_1)
	v_mul_f32_e32 v1, v43, v1
	v_and_b32_e32 v2, 0x7f800000, v1
	s_delay_alu instid0(VALU_DEP_1) | instskip(NEXT) | instid1(VALU_DEP_1)
	v_cmp_ne_u32_e64 s1, 0x7f800000, v2
	s_and_saveexec_b32 s17, s1
	s_delay_alu instid0(SALU_CYCLE_1)
	s_xor_b32 s1, exec_lo, s17
; %bb.91:                               ;   in Loop: Header=BB164_43 Depth=1
	v_bfe_u32 v2, v1, 16, 1
	s_delay_alu instid0(VALU_DEP_1)
	v_add3_u32 v32, v1, v2, 0x7fff
                                        ; implicit-def: $vgpr1
; %bb.92:                               ;   in Loop: Header=BB164_43 Depth=1
	s_and_not1_saveexec_b32 s17, s1
; %bb.93:                               ;   in Loop: Header=BB164_43 Depth=1
	v_and_b32_e32 v2, 0xffff, v1
	v_or_b32_e32 v32, 0x10000, v1
	s_delay_alu instid0(VALU_DEP_2) | instskip(NEXT) | instid1(VALU_DEP_1)
	v_cmp_eq_u32_e64 s1, 0, v2
	v_cndmask_b32_e64 v32, v32, v1, s1
; %bb.94:                               ;   in Loop: Header=BB164_43 Depth=1
	s_or_b32 exec_lo, exec_lo, s17
	v_and_b32_e32 v44, 0xffff0000, v33
	v_lshlrev_b32_e32 v1, 16, v3
                                        ; implicit-def: $vgpr33
	s_delay_alu instid0(VALU_DEP_1) | instskip(NEXT) | instid1(VALU_DEP_1)
	v_mul_f32_e32 v1, v44, v1
	v_and_b32_e32 v2, 0x7f800000, v1
	s_delay_alu instid0(VALU_DEP_1) | instskip(NEXT) | instid1(VALU_DEP_1)
	v_cmp_ne_u32_e64 s1, 0x7f800000, v2
	s_and_saveexec_b32 s17, s1
	s_delay_alu instid0(SALU_CYCLE_1)
	s_xor_b32 s1, exec_lo, s17
; %bb.95:                               ;   in Loop: Header=BB164_43 Depth=1
	v_bfe_u32 v2, v1, 16, 1
	s_delay_alu instid0(VALU_DEP_1)
	v_add3_u32 v33, v1, v2, 0x7fff
                                        ; implicit-def: $vgpr1
; %bb.96:                               ;   in Loop: Header=BB164_43 Depth=1
	s_and_not1_saveexec_b32 s17, s1
; %bb.97:                               ;   in Loop: Header=BB164_43 Depth=1
	v_and_b32_e32 v2, 0xffff, v1
	v_or_b32_e32 v3, 0x10000, v1
	s_delay_alu instid0(VALU_DEP_2) | instskip(NEXT) | instid1(VALU_DEP_1)
	v_cmp_eq_u32_e64 s1, 0, v2
	v_cndmask_b32_e64 v33, v3, v1, s1
; %bb.98:                               ;   in Loop: Header=BB164_43 Depth=1
	s_or_b32 exec_lo, exec_lo, s17
	v_and_b32_e32 v45, 0xffff0000, v34
	v_lshlrev_b32_e32 v1, 16, v46
                                        ; implicit-def: $vgpr34
	s_delay_alu instid0(VALU_DEP_1) | instskip(NEXT) | instid1(VALU_DEP_1)
	v_mul_f32_e32 v1, v45, v1
	v_and_b32_e32 v2, 0x7f800000, v1
	s_delay_alu instid0(VALU_DEP_1) | instskip(NEXT) | instid1(VALU_DEP_1)
	v_cmp_ne_u32_e64 s1, 0x7f800000, v2
	s_and_saveexec_b32 s17, s1
	s_delay_alu instid0(SALU_CYCLE_1)
	s_xor_b32 s1, exec_lo, s17
; %bb.99:                               ;   in Loop: Header=BB164_43 Depth=1
	v_bfe_u32 v2, v1, 16, 1
	s_delay_alu instid0(VALU_DEP_1)
	v_add3_u32 v34, v1, v2, 0x7fff
                                        ; implicit-def: $vgpr1
; %bb.100:                              ;   in Loop: Header=BB164_43 Depth=1
	s_and_not1_saveexec_b32 s17, s1
; %bb.101:                              ;   in Loop: Header=BB164_43 Depth=1
	v_and_b32_e32 v2, 0xffff, v1
	v_or_b32_e32 v3, 0x10000, v1
	s_delay_alu instid0(VALU_DEP_2) | instskip(NEXT) | instid1(VALU_DEP_1)
	v_cmp_eq_u32_e64 s1, 0, v2
	v_cndmask_b32_e64 v34, v3, v1, s1
; %bb.102:                              ;   in Loop: Header=BB164_43 Depth=1
	s_or_b32 exec_lo, exec_lo, s17
	v_and_b32_e32 v46, 0xffff0000, v35
	v_lshlrev_b32_e32 v1, 16, v4
                                        ; implicit-def: $vgpr35
	s_delay_alu instid0(VALU_DEP_1) | instskip(NEXT) | instid1(VALU_DEP_1)
	v_mul_f32_e32 v1, v46, v1
	v_and_b32_e32 v2, 0x7f800000, v1
	s_delay_alu instid0(VALU_DEP_1) | instskip(NEXT) | instid1(VALU_DEP_1)
	v_cmp_ne_u32_e64 s1, 0x7f800000, v2
	s_and_saveexec_b32 s17, s1
	s_delay_alu instid0(SALU_CYCLE_1)
	s_xor_b32 s1, exec_lo, s17
; %bb.103:                              ;   in Loop: Header=BB164_43 Depth=1
	v_bfe_u32 v2, v1, 16, 1
	s_delay_alu instid0(VALU_DEP_1)
	v_add3_u32 v35, v1, v2, 0x7fff
                                        ; implicit-def: $vgpr1
; %bb.104:                              ;   in Loop: Header=BB164_43 Depth=1
	s_and_not1_saveexec_b32 s17, s1
; %bb.105:                              ;   in Loop: Header=BB164_43 Depth=1
	v_and_b32_e32 v2, 0xffff, v1
	v_or_b32_e32 v3, 0x10000, v1
	s_delay_alu instid0(VALU_DEP_2) | instskip(NEXT) | instid1(VALU_DEP_1)
	v_cmp_eq_u32_e64 s1, 0, v2
	v_cndmask_b32_e64 v35, v3, v1, s1
; %bb.106:                              ;   in Loop: Header=BB164_43 Depth=1
	s_or_b32 exec_lo, exec_lo, s17
	v_and_b32_e32 v47, 0xffff0000, v37
	v_lshlrev_b32_e32 v1, 16, v48
                                        ; implicit-def: $vgpr37
	s_delay_alu instid0(VALU_DEP_1) | instskip(NEXT) | instid1(VALU_DEP_1)
	v_mul_f32_e32 v1, v47, v1
	v_and_b32_e32 v2, 0x7f800000, v1
	s_delay_alu instid0(VALU_DEP_1) | instskip(NEXT) | instid1(VALU_DEP_1)
	v_cmp_ne_u32_e64 s1, 0x7f800000, v2
	s_and_saveexec_b32 s17, s1
	s_delay_alu instid0(SALU_CYCLE_1)
	s_xor_b32 s1, exec_lo, s17
; %bb.107:                              ;   in Loop: Header=BB164_43 Depth=1
	v_bfe_u32 v2, v1, 16, 1
	s_delay_alu instid0(VALU_DEP_1)
	v_add3_u32 v37, v1, v2, 0x7fff
                                        ; implicit-def: $vgpr1
; %bb.108:                              ;   in Loop: Header=BB164_43 Depth=1
	s_and_not1_saveexec_b32 s17, s1
; %bb.109:                              ;   in Loop: Header=BB164_43 Depth=1
	v_and_b32_e32 v2, 0xffff, v1
	v_or_b32_e32 v3, 0x10000, v1
	s_delay_alu instid0(VALU_DEP_2) | instskip(NEXT) | instid1(VALU_DEP_1)
	v_cmp_eq_u32_e64 s1, 0, v2
	v_cndmask_b32_e64 v37, v3, v1, s1
; %bb.110:                              ;   in Loop: Header=BB164_43 Depth=1
	s_or_b32 exec_lo, exec_lo, s17
	global_load_b128 v[1:4], v[5:6], off offset:512
	s_waitcnt vmcnt(0)
	v_lshrrev_b32_e32 v49, 16, v1
	v_lshrrev_b32_e32 v51, 16, v2
	;; [unrolled: 1-line block ×4, first 2 shown]
	s_and_saveexec_b32 s17, s0
	s_cbranch_execz .LBB164_112
; %bb.111:                              ;   in Loop: Header=BB164_43 Depth=1
	v_add_nc_u32_e32 v48, 1, v36
	v_cmp_gt_i32_e64 s1, s15, v36
	v_add_nc_u32_e32 v50, 2, v36
	v_add_nc_u32_e32 v52, 3, v36
	s_delay_alu instid0(VALU_DEP_3) | instskip(SKIP_2) | instid1(VALU_DEP_2)
	v_cndmask_b32_e64 v1, 0, v1, s1
	v_cmp_gt_i32_e64 s1, s15, v48
	v_add_nc_u32_e32 v48, 4, v36
	v_cndmask_b32_e64 v49, 0, v49, s1
	v_cmp_gt_i32_e64 s1, s15, v50
	v_add_nc_u32_e32 v50, 5, v36
	s_delay_alu instid0(VALU_DEP_2) | instskip(SKIP_2) | instid1(VALU_DEP_2)
	v_cndmask_b32_e64 v2, 0, v2, s1
	v_cmp_gt_i32_e64 s1, s15, v52
	v_add_nc_u32_e32 v52, 6, v36
	v_cndmask_b32_e64 v51, 0, v51, s1
	v_cmp_gt_i32_e64 s1, s15, v48
	v_add_nc_u32_e32 v48, 7, v36
	s_delay_alu instid0(VALU_DEP_2) | instskip(SKIP_1) | instid1(VALU_DEP_1)
	v_cndmask_b32_e64 v3, 0, v3, s1
	v_cmp_gt_i32_e64 s1, s15, v50
	v_cndmask_b32_e64 v53, 0, v53, s1
	v_cmp_gt_i32_e64 s1, s15, v52
	s_delay_alu instid0(VALU_DEP_1) | instskip(SKIP_1) | instid1(VALU_DEP_1)
	v_cndmask_b32_e64 v4, 0, v4, s1
	v_cmp_gt_i32_e64 s1, s15, v48
	v_cndmask_b32_e64 v55, 0, v55, s1
.LBB164_112:                            ;   in Loop: Header=BB164_43 Depth=1
	s_or_b32 exec_lo, exec_lo, s17
	v_lshlrev_b32_e32 v1, 16, v1
	s_delay_alu instid0(VALU_DEP_1) | instskip(NEXT) | instid1(VALU_DEP_1)
	v_mul_f32_e32 v1, v40, v1
	v_and_b32_e32 v48, 0x7f800000, v1
	s_delay_alu instid0(VALU_DEP_1) | instskip(NEXT) | instid1(VALU_DEP_1)
	v_cmp_ne_u32_e64 s1, 0x7f800000, v48
                                        ; implicit-def: $vgpr48
	s_and_saveexec_b32 s17, s1
	s_delay_alu instid0(SALU_CYCLE_1)
	s_xor_b32 s1, exec_lo, s17
; %bb.113:                              ;   in Loop: Header=BB164_43 Depth=1
	v_bfe_u32 v48, v1, 16, 1
	s_delay_alu instid0(VALU_DEP_1)
	v_add3_u32 v48, v1, v48, 0x7fff
                                        ; implicit-def: $vgpr1
; %bb.114:                              ;   in Loop: Header=BB164_43 Depth=1
	s_and_not1_saveexec_b32 s17, s1
; %bb.115:                              ;   in Loop: Header=BB164_43 Depth=1
	v_and_b32_e32 v48, 0xffff, v1
	v_or_b32_e32 v50, 0x10000, v1
	s_delay_alu instid0(VALU_DEP_2) | instskip(NEXT) | instid1(VALU_DEP_1)
	v_cmp_eq_u32_e64 s1, 0, v48
	v_cndmask_b32_e64 v48, v50, v1, s1
; %bb.116:                              ;   in Loop: Header=BB164_43 Depth=1
	s_or_b32 exec_lo, exec_lo, s17
	v_lshlrev_b32_e32 v1, 16, v49
	s_delay_alu instid0(VALU_DEP_1) | instskip(NEXT) | instid1(VALU_DEP_1)
	v_mul_f32_e32 v1, v41, v1
	v_and_b32_e32 v49, 0x7f800000, v1
	s_delay_alu instid0(VALU_DEP_1) | instskip(NEXT) | instid1(VALU_DEP_1)
	v_cmp_ne_u32_e64 s1, 0x7f800000, v49
                                        ; implicit-def: $vgpr49
	s_and_saveexec_b32 s17, s1
	s_delay_alu instid0(SALU_CYCLE_1)
	s_xor_b32 s1, exec_lo, s17
; %bb.117:                              ;   in Loop: Header=BB164_43 Depth=1
	v_bfe_u32 v49, v1, 16, 1
	s_delay_alu instid0(VALU_DEP_1)
	v_add3_u32 v49, v1, v49, 0x7fff
                                        ; implicit-def: $vgpr1
; %bb.118:                              ;   in Loop: Header=BB164_43 Depth=1
	s_and_not1_saveexec_b32 s17, s1
; %bb.119:                              ;   in Loop: Header=BB164_43 Depth=1
	v_and_b32_e32 v49, 0xffff, v1
	v_or_b32_e32 v50, 0x10000, v1
	s_delay_alu instid0(VALU_DEP_2) | instskip(NEXT) | instid1(VALU_DEP_1)
	v_cmp_eq_u32_e64 s1, 0, v49
	v_cndmask_b32_e64 v49, v50, v1, s1
; %bb.120:                              ;   in Loop: Header=BB164_43 Depth=1
	s_or_b32 exec_lo, exec_lo, s17
	v_lshlrev_b32_e32 v1, 16, v2
                                        ; implicit-def: $vgpr50
	s_delay_alu instid0(VALU_DEP_1) | instskip(NEXT) | instid1(VALU_DEP_1)
	v_mul_f32_e32 v1, v42, v1
	v_and_b32_e32 v2, 0x7f800000, v1
	s_delay_alu instid0(VALU_DEP_1) | instskip(NEXT) | instid1(VALU_DEP_1)
	v_cmp_ne_u32_e64 s1, 0x7f800000, v2
	s_and_saveexec_b32 s17, s1
	s_delay_alu instid0(SALU_CYCLE_1)
	s_xor_b32 s1, exec_lo, s17
; %bb.121:                              ;   in Loop: Header=BB164_43 Depth=1
	v_bfe_u32 v2, v1, 16, 1
	s_delay_alu instid0(VALU_DEP_1)
	v_add3_u32 v50, v1, v2, 0x7fff
                                        ; implicit-def: $vgpr1
; %bb.122:                              ;   in Loop: Header=BB164_43 Depth=1
	s_and_not1_saveexec_b32 s17, s1
; %bb.123:                              ;   in Loop: Header=BB164_43 Depth=1
	v_and_b32_e32 v2, 0xffff, v1
	v_or_b32_e32 v50, 0x10000, v1
	s_delay_alu instid0(VALU_DEP_2) | instskip(NEXT) | instid1(VALU_DEP_1)
	v_cmp_eq_u32_e64 s1, 0, v2
	v_cndmask_b32_e64 v50, v50, v1, s1
; %bb.124:                              ;   in Loop: Header=BB164_43 Depth=1
	s_or_b32 exec_lo, exec_lo, s17
	v_lshlrev_b32_e32 v1, 16, v51
                                        ; implicit-def: $vgpr51
	s_delay_alu instid0(VALU_DEP_1) | instskip(NEXT) | instid1(VALU_DEP_1)
	v_mul_f32_e32 v1, v43, v1
	v_and_b32_e32 v2, 0x7f800000, v1
	s_delay_alu instid0(VALU_DEP_1) | instskip(NEXT) | instid1(VALU_DEP_1)
	v_cmp_ne_u32_e64 s1, 0x7f800000, v2
	s_and_saveexec_b32 s17, s1
	s_delay_alu instid0(SALU_CYCLE_1)
	s_xor_b32 s1, exec_lo, s17
; %bb.125:                              ;   in Loop: Header=BB164_43 Depth=1
	v_bfe_u32 v2, v1, 16, 1
	s_delay_alu instid0(VALU_DEP_1)
	v_add3_u32 v51, v1, v2, 0x7fff
                                        ; implicit-def: $vgpr1
; %bb.126:                              ;   in Loop: Header=BB164_43 Depth=1
	s_and_not1_saveexec_b32 s17, s1
; %bb.127:                              ;   in Loop: Header=BB164_43 Depth=1
	v_and_b32_e32 v2, 0xffff, v1
	v_or_b32_e32 v51, 0x10000, v1
	s_delay_alu instid0(VALU_DEP_2) | instskip(NEXT) | instid1(VALU_DEP_1)
	v_cmp_eq_u32_e64 s1, 0, v2
	v_cndmask_b32_e64 v51, v51, v1, s1
; %bb.128:                              ;   in Loop: Header=BB164_43 Depth=1
	s_or_b32 exec_lo, exec_lo, s17
	v_lshlrev_b32_e32 v1, 16, v3
                                        ; implicit-def: $vgpr52
	s_delay_alu instid0(VALU_DEP_1) | instskip(NEXT) | instid1(VALU_DEP_1)
	v_mul_f32_e32 v1, v44, v1
	v_and_b32_e32 v2, 0x7f800000, v1
	s_delay_alu instid0(VALU_DEP_1) | instskip(NEXT) | instid1(VALU_DEP_1)
	v_cmp_ne_u32_e64 s1, 0x7f800000, v2
	s_and_saveexec_b32 s17, s1
	s_delay_alu instid0(SALU_CYCLE_1)
	s_xor_b32 s1, exec_lo, s17
; %bb.129:                              ;   in Loop: Header=BB164_43 Depth=1
	v_bfe_u32 v2, v1, 16, 1
	s_delay_alu instid0(VALU_DEP_1)
	v_add3_u32 v52, v1, v2, 0x7fff
                                        ; implicit-def: $vgpr1
; %bb.130:                              ;   in Loop: Header=BB164_43 Depth=1
	s_and_not1_saveexec_b32 s17, s1
; %bb.131:                              ;   in Loop: Header=BB164_43 Depth=1
	v_and_b32_e32 v2, 0xffff, v1
	v_or_b32_e32 v3, 0x10000, v1
	s_delay_alu instid0(VALU_DEP_2) | instskip(NEXT) | instid1(VALU_DEP_1)
	v_cmp_eq_u32_e64 s1, 0, v2
	v_cndmask_b32_e64 v52, v3, v1, s1
; %bb.132:                              ;   in Loop: Header=BB164_43 Depth=1
	s_or_b32 exec_lo, exec_lo, s17
	v_lshlrev_b32_e32 v1, 16, v53
                                        ; implicit-def: $vgpr53
	s_delay_alu instid0(VALU_DEP_1) | instskip(NEXT) | instid1(VALU_DEP_1)
	v_mul_f32_e32 v1, v45, v1
	v_and_b32_e32 v2, 0x7f800000, v1
	s_delay_alu instid0(VALU_DEP_1) | instskip(NEXT) | instid1(VALU_DEP_1)
	v_cmp_ne_u32_e64 s1, 0x7f800000, v2
	s_and_saveexec_b32 s17, s1
	s_delay_alu instid0(SALU_CYCLE_1)
	s_xor_b32 s1, exec_lo, s17
; %bb.133:                              ;   in Loop: Header=BB164_43 Depth=1
	v_bfe_u32 v2, v1, 16, 1
	s_delay_alu instid0(VALU_DEP_1)
	v_add3_u32 v53, v1, v2, 0x7fff
                                        ; implicit-def: $vgpr1
; %bb.134:                              ;   in Loop: Header=BB164_43 Depth=1
	s_and_not1_saveexec_b32 s17, s1
; %bb.135:                              ;   in Loop: Header=BB164_43 Depth=1
	v_and_b32_e32 v2, 0xffff, v1
	v_or_b32_e32 v3, 0x10000, v1
	s_delay_alu instid0(VALU_DEP_2) | instskip(NEXT) | instid1(VALU_DEP_1)
	v_cmp_eq_u32_e64 s1, 0, v2
	v_cndmask_b32_e64 v53, v3, v1, s1
; %bb.136:                              ;   in Loop: Header=BB164_43 Depth=1
	s_or_b32 exec_lo, exec_lo, s17
	v_lshlrev_b32_e32 v1, 16, v4
                                        ; implicit-def: $vgpr54
	s_delay_alu instid0(VALU_DEP_1) | instskip(NEXT) | instid1(VALU_DEP_1)
	v_mul_f32_e32 v1, v46, v1
	v_and_b32_e32 v2, 0x7f800000, v1
	s_delay_alu instid0(VALU_DEP_1) | instskip(NEXT) | instid1(VALU_DEP_1)
	v_cmp_ne_u32_e64 s1, 0x7f800000, v2
	s_and_saveexec_b32 s17, s1
	s_delay_alu instid0(SALU_CYCLE_1)
	s_xor_b32 s1, exec_lo, s17
; %bb.137:                              ;   in Loop: Header=BB164_43 Depth=1
	v_bfe_u32 v2, v1, 16, 1
	s_delay_alu instid0(VALU_DEP_1)
	v_add3_u32 v54, v1, v2, 0x7fff
                                        ; implicit-def: $vgpr1
; %bb.138:                              ;   in Loop: Header=BB164_43 Depth=1
	s_and_not1_saveexec_b32 s17, s1
; %bb.139:                              ;   in Loop: Header=BB164_43 Depth=1
	v_and_b32_e32 v2, 0xffff, v1
	v_or_b32_e32 v3, 0x10000, v1
	s_delay_alu instid0(VALU_DEP_2) | instskip(NEXT) | instid1(VALU_DEP_1)
	v_cmp_eq_u32_e64 s1, 0, v2
	v_cndmask_b32_e64 v54, v3, v1, s1
; %bb.140:                              ;   in Loop: Header=BB164_43 Depth=1
	s_or_b32 exec_lo, exec_lo, s17
	v_lshlrev_b32_e32 v1, 16, v55
                                        ; implicit-def: $vgpr55
	s_delay_alu instid0(VALU_DEP_1) | instskip(NEXT) | instid1(VALU_DEP_1)
	v_mul_f32_e32 v1, v47, v1
	v_and_b32_e32 v2, 0x7f800000, v1
	s_delay_alu instid0(VALU_DEP_1) | instskip(NEXT) | instid1(VALU_DEP_1)
	v_cmp_ne_u32_e64 s1, 0x7f800000, v2
	s_and_saveexec_b32 s17, s1
	s_delay_alu instid0(SALU_CYCLE_1)
	s_xor_b32 s1, exec_lo, s17
; %bb.141:                              ;   in Loop: Header=BB164_43 Depth=1
	v_bfe_u32 v2, v1, 16, 1
	s_delay_alu instid0(VALU_DEP_1)
	v_add3_u32 v55, v1, v2, 0x7fff
                                        ; implicit-def: $vgpr1
; %bb.142:                              ;   in Loop: Header=BB164_43 Depth=1
	s_and_not1_saveexec_b32 s17, s1
; %bb.143:                              ;   in Loop: Header=BB164_43 Depth=1
	v_and_b32_e32 v2, 0xffff, v1
	v_or_b32_e32 v3, 0x10000, v1
	s_delay_alu instid0(VALU_DEP_2) | instskip(NEXT) | instid1(VALU_DEP_1)
	v_cmp_eq_u32_e64 s1, 0, v2
	v_cndmask_b32_e64 v55, v3, v1, s1
; %bb.144:                              ;   in Loop: Header=BB164_43 Depth=1
	s_or_b32 exec_lo, exec_lo, s17
	global_load_b128 v[1:4], v[5:6], off offset:1024
	s_waitcnt vmcnt(0)
	v_lshrrev_b32_e32 v57, 16, v1
	v_lshrrev_b32_e32 v59, 16, v2
	;; [unrolled: 1-line block ×4, first 2 shown]
	s_and_saveexec_b32 s17, s0
	s_cbranch_execz .LBB164_146
; %bb.145:                              ;   in Loop: Header=BB164_43 Depth=1
	v_add_nc_u32_e32 v56, 1, v36
	v_cmp_gt_i32_e64 s1, s15, v36
	v_add_nc_u32_e32 v58, 2, v36
	v_add_nc_u32_e32 v60, 3, v36
	s_delay_alu instid0(VALU_DEP_3) | instskip(SKIP_2) | instid1(VALU_DEP_2)
	v_cndmask_b32_e64 v1, 0, v1, s1
	v_cmp_gt_i32_e64 s1, s15, v56
	v_add_nc_u32_e32 v56, 4, v36
	v_cndmask_b32_e64 v57, 0, v57, s1
	v_cmp_gt_i32_e64 s1, s15, v58
	v_add_nc_u32_e32 v58, 5, v36
	s_delay_alu instid0(VALU_DEP_2) | instskip(SKIP_2) | instid1(VALU_DEP_2)
	v_cndmask_b32_e64 v2, 0, v2, s1
	v_cmp_gt_i32_e64 s1, s15, v60
	v_add_nc_u32_e32 v60, 6, v36
	v_cndmask_b32_e64 v59, 0, v59, s1
	v_cmp_gt_i32_e64 s1, s15, v56
	v_add_nc_u32_e32 v56, 7, v36
	s_delay_alu instid0(VALU_DEP_2) | instskip(SKIP_1) | instid1(VALU_DEP_1)
	v_cndmask_b32_e64 v3, 0, v3, s1
	v_cmp_gt_i32_e64 s1, s15, v58
	v_cndmask_b32_e64 v61, 0, v61, s1
	v_cmp_gt_i32_e64 s1, s15, v60
	s_delay_alu instid0(VALU_DEP_1) | instskip(SKIP_1) | instid1(VALU_DEP_1)
	v_cndmask_b32_e64 v4, 0, v4, s1
	v_cmp_gt_i32_e64 s1, s15, v56
	v_cndmask_b32_e64 v63, 0, v63, s1
.LBB164_146:                            ;   in Loop: Header=BB164_43 Depth=1
	s_or_b32 exec_lo, exec_lo, s17
	v_lshlrev_b32_e32 v1, 16, v1
	s_delay_alu instid0(VALU_DEP_1) | instskip(NEXT) | instid1(VALU_DEP_1)
	v_mul_f32_e32 v1, v40, v1
	v_and_b32_e32 v56, 0x7f800000, v1
	s_delay_alu instid0(VALU_DEP_1) | instskip(NEXT) | instid1(VALU_DEP_1)
	v_cmp_ne_u32_e64 s1, 0x7f800000, v56
                                        ; implicit-def: $vgpr56
	s_and_saveexec_b32 s17, s1
	s_delay_alu instid0(SALU_CYCLE_1)
	s_xor_b32 s1, exec_lo, s17
; %bb.147:                              ;   in Loop: Header=BB164_43 Depth=1
	v_bfe_u32 v56, v1, 16, 1
	s_delay_alu instid0(VALU_DEP_1)
	v_add3_u32 v56, v1, v56, 0x7fff
                                        ; implicit-def: $vgpr1
; %bb.148:                              ;   in Loop: Header=BB164_43 Depth=1
	s_and_not1_saveexec_b32 s17, s1
; %bb.149:                              ;   in Loop: Header=BB164_43 Depth=1
	v_and_b32_e32 v56, 0xffff, v1
	v_or_b32_e32 v58, 0x10000, v1
	s_delay_alu instid0(VALU_DEP_2) | instskip(NEXT) | instid1(VALU_DEP_1)
	v_cmp_eq_u32_e64 s1, 0, v56
	v_cndmask_b32_e64 v56, v58, v1, s1
; %bb.150:                              ;   in Loop: Header=BB164_43 Depth=1
	s_or_b32 exec_lo, exec_lo, s17
	v_lshlrev_b32_e32 v1, 16, v57
	s_delay_alu instid0(VALU_DEP_1) | instskip(NEXT) | instid1(VALU_DEP_1)
	v_mul_f32_e32 v1, v41, v1
	v_and_b32_e32 v57, 0x7f800000, v1
	s_delay_alu instid0(VALU_DEP_1) | instskip(NEXT) | instid1(VALU_DEP_1)
	v_cmp_ne_u32_e64 s1, 0x7f800000, v57
                                        ; implicit-def: $vgpr57
	s_and_saveexec_b32 s17, s1
	s_delay_alu instid0(SALU_CYCLE_1)
	s_xor_b32 s1, exec_lo, s17
; %bb.151:                              ;   in Loop: Header=BB164_43 Depth=1
	v_bfe_u32 v57, v1, 16, 1
	s_delay_alu instid0(VALU_DEP_1)
	v_add3_u32 v57, v1, v57, 0x7fff
                                        ; implicit-def: $vgpr1
; %bb.152:                              ;   in Loop: Header=BB164_43 Depth=1
	s_and_not1_saveexec_b32 s17, s1
; %bb.153:                              ;   in Loop: Header=BB164_43 Depth=1
	v_and_b32_e32 v57, 0xffff, v1
	v_or_b32_e32 v58, 0x10000, v1
	s_delay_alu instid0(VALU_DEP_2) | instskip(NEXT) | instid1(VALU_DEP_1)
	v_cmp_eq_u32_e64 s1, 0, v57
	v_cndmask_b32_e64 v57, v58, v1, s1
; %bb.154:                              ;   in Loop: Header=BB164_43 Depth=1
	s_or_b32 exec_lo, exec_lo, s17
	v_lshlrev_b32_e32 v1, 16, v2
                                        ; implicit-def: $vgpr58
	s_delay_alu instid0(VALU_DEP_1) | instskip(NEXT) | instid1(VALU_DEP_1)
	v_mul_f32_e32 v1, v42, v1
	v_and_b32_e32 v2, 0x7f800000, v1
	s_delay_alu instid0(VALU_DEP_1) | instskip(NEXT) | instid1(VALU_DEP_1)
	v_cmp_ne_u32_e64 s1, 0x7f800000, v2
	s_and_saveexec_b32 s17, s1
	s_delay_alu instid0(SALU_CYCLE_1)
	s_xor_b32 s1, exec_lo, s17
; %bb.155:                              ;   in Loop: Header=BB164_43 Depth=1
	v_bfe_u32 v2, v1, 16, 1
	s_delay_alu instid0(VALU_DEP_1)
	v_add3_u32 v58, v1, v2, 0x7fff
                                        ; implicit-def: $vgpr1
; %bb.156:                              ;   in Loop: Header=BB164_43 Depth=1
	s_and_not1_saveexec_b32 s17, s1
; %bb.157:                              ;   in Loop: Header=BB164_43 Depth=1
	v_and_b32_e32 v2, 0xffff, v1
	v_or_b32_e32 v58, 0x10000, v1
	s_delay_alu instid0(VALU_DEP_2) | instskip(NEXT) | instid1(VALU_DEP_1)
	v_cmp_eq_u32_e64 s1, 0, v2
	v_cndmask_b32_e64 v58, v58, v1, s1
; %bb.158:                              ;   in Loop: Header=BB164_43 Depth=1
	s_or_b32 exec_lo, exec_lo, s17
	v_lshlrev_b32_e32 v1, 16, v59
                                        ; implicit-def: $vgpr59
	s_delay_alu instid0(VALU_DEP_1) | instskip(NEXT) | instid1(VALU_DEP_1)
	v_mul_f32_e32 v1, v43, v1
	v_and_b32_e32 v2, 0x7f800000, v1
	s_delay_alu instid0(VALU_DEP_1) | instskip(NEXT) | instid1(VALU_DEP_1)
	v_cmp_ne_u32_e64 s1, 0x7f800000, v2
	s_and_saveexec_b32 s17, s1
	s_delay_alu instid0(SALU_CYCLE_1)
	s_xor_b32 s1, exec_lo, s17
; %bb.159:                              ;   in Loop: Header=BB164_43 Depth=1
	v_bfe_u32 v2, v1, 16, 1
	s_delay_alu instid0(VALU_DEP_1)
	v_add3_u32 v59, v1, v2, 0x7fff
                                        ; implicit-def: $vgpr1
; %bb.160:                              ;   in Loop: Header=BB164_43 Depth=1
	s_and_not1_saveexec_b32 s17, s1
; %bb.161:                              ;   in Loop: Header=BB164_43 Depth=1
	v_and_b32_e32 v2, 0xffff, v1
	v_or_b32_e32 v59, 0x10000, v1
	s_delay_alu instid0(VALU_DEP_2) | instskip(NEXT) | instid1(VALU_DEP_1)
	v_cmp_eq_u32_e64 s1, 0, v2
	v_cndmask_b32_e64 v59, v59, v1, s1
; %bb.162:                              ;   in Loop: Header=BB164_43 Depth=1
	s_or_b32 exec_lo, exec_lo, s17
	v_lshlrev_b32_e32 v1, 16, v3
                                        ; implicit-def: $vgpr60
	s_delay_alu instid0(VALU_DEP_1) | instskip(NEXT) | instid1(VALU_DEP_1)
	v_mul_f32_e32 v1, v44, v1
	v_and_b32_e32 v2, 0x7f800000, v1
	s_delay_alu instid0(VALU_DEP_1) | instskip(NEXT) | instid1(VALU_DEP_1)
	v_cmp_ne_u32_e64 s1, 0x7f800000, v2
	s_and_saveexec_b32 s17, s1
	s_delay_alu instid0(SALU_CYCLE_1)
	s_xor_b32 s1, exec_lo, s17
; %bb.163:                              ;   in Loop: Header=BB164_43 Depth=1
	v_bfe_u32 v2, v1, 16, 1
	s_delay_alu instid0(VALU_DEP_1)
	v_add3_u32 v60, v1, v2, 0x7fff
                                        ; implicit-def: $vgpr1
; %bb.164:                              ;   in Loop: Header=BB164_43 Depth=1
	s_and_not1_saveexec_b32 s17, s1
; %bb.165:                              ;   in Loop: Header=BB164_43 Depth=1
	v_and_b32_e32 v2, 0xffff, v1
	v_or_b32_e32 v3, 0x10000, v1
	s_delay_alu instid0(VALU_DEP_2) | instskip(NEXT) | instid1(VALU_DEP_1)
	v_cmp_eq_u32_e64 s1, 0, v2
	v_cndmask_b32_e64 v60, v3, v1, s1
; %bb.166:                              ;   in Loop: Header=BB164_43 Depth=1
	s_or_b32 exec_lo, exec_lo, s17
	v_lshlrev_b32_e32 v1, 16, v61
                                        ; implicit-def: $vgpr61
	s_delay_alu instid0(VALU_DEP_1) | instskip(NEXT) | instid1(VALU_DEP_1)
	v_mul_f32_e32 v1, v45, v1
	v_and_b32_e32 v2, 0x7f800000, v1
	s_delay_alu instid0(VALU_DEP_1) | instskip(NEXT) | instid1(VALU_DEP_1)
	v_cmp_ne_u32_e64 s1, 0x7f800000, v2
	s_and_saveexec_b32 s17, s1
	s_delay_alu instid0(SALU_CYCLE_1)
	s_xor_b32 s1, exec_lo, s17
; %bb.167:                              ;   in Loop: Header=BB164_43 Depth=1
	v_bfe_u32 v2, v1, 16, 1
	s_delay_alu instid0(VALU_DEP_1)
	v_add3_u32 v61, v1, v2, 0x7fff
                                        ; implicit-def: $vgpr1
; %bb.168:                              ;   in Loop: Header=BB164_43 Depth=1
	s_and_not1_saveexec_b32 s17, s1
; %bb.169:                              ;   in Loop: Header=BB164_43 Depth=1
	v_and_b32_e32 v2, 0xffff, v1
	v_or_b32_e32 v3, 0x10000, v1
	s_delay_alu instid0(VALU_DEP_2) | instskip(NEXT) | instid1(VALU_DEP_1)
	v_cmp_eq_u32_e64 s1, 0, v2
	v_cndmask_b32_e64 v61, v3, v1, s1
; %bb.170:                              ;   in Loop: Header=BB164_43 Depth=1
	s_or_b32 exec_lo, exec_lo, s17
	v_lshlrev_b32_e32 v1, 16, v4
                                        ; implicit-def: $vgpr62
	s_delay_alu instid0(VALU_DEP_1) | instskip(NEXT) | instid1(VALU_DEP_1)
	v_mul_f32_e32 v1, v46, v1
	v_and_b32_e32 v2, 0x7f800000, v1
	s_delay_alu instid0(VALU_DEP_1) | instskip(NEXT) | instid1(VALU_DEP_1)
	v_cmp_ne_u32_e64 s1, 0x7f800000, v2
	s_and_saveexec_b32 s17, s1
	s_delay_alu instid0(SALU_CYCLE_1)
	s_xor_b32 s1, exec_lo, s17
; %bb.171:                              ;   in Loop: Header=BB164_43 Depth=1
	v_bfe_u32 v2, v1, 16, 1
	s_delay_alu instid0(VALU_DEP_1)
	v_add3_u32 v62, v1, v2, 0x7fff
                                        ; implicit-def: $vgpr1
; %bb.172:                              ;   in Loop: Header=BB164_43 Depth=1
	s_and_not1_saveexec_b32 s17, s1
; %bb.173:                              ;   in Loop: Header=BB164_43 Depth=1
	v_and_b32_e32 v2, 0xffff, v1
	v_or_b32_e32 v3, 0x10000, v1
	s_delay_alu instid0(VALU_DEP_2) | instskip(NEXT) | instid1(VALU_DEP_1)
	v_cmp_eq_u32_e64 s1, 0, v2
	v_cndmask_b32_e64 v62, v3, v1, s1
; %bb.174:                              ;   in Loop: Header=BB164_43 Depth=1
	s_or_b32 exec_lo, exec_lo, s17
	v_lshlrev_b32_e32 v1, 16, v63
                                        ; implicit-def: $vgpr63
	s_delay_alu instid0(VALU_DEP_1) | instskip(NEXT) | instid1(VALU_DEP_1)
	v_mul_f32_e32 v1, v47, v1
	v_and_b32_e32 v2, 0x7f800000, v1
	s_delay_alu instid0(VALU_DEP_1) | instskip(NEXT) | instid1(VALU_DEP_1)
	v_cmp_ne_u32_e64 s1, 0x7f800000, v2
	s_and_saveexec_b32 s17, s1
	s_delay_alu instid0(SALU_CYCLE_1)
	s_xor_b32 s1, exec_lo, s17
; %bb.175:                              ;   in Loop: Header=BB164_43 Depth=1
	v_bfe_u32 v2, v1, 16, 1
	s_delay_alu instid0(VALU_DEP_1)
	v_add3_u32 v63, v1, v2, 0x7fff
                                        ; implicit-def: $vgpr1
; %bb.176:                              ;   in Loop: Header=BB164_43 Depth=1
	s_and_not1_saveexec_b32 s17, s1
; %bb.177:                              ;   in Loop: Header=BB164_43 Depth=1
	v_and_b32_e32 v2, 0xffff, v1
	v_or_b32_e32 v3, 0x10000, v1
	s_delay_alu instid0(VALU_DEP_2) | instskip(NEXT) | instid1(VALU_DEP_1)
	v_cmp_eq_u32_e64 s1, 0, v2
	v_cndmask_b32_e64 v63, v3, v1, s1
; %bb.178:                              ;   in Loop: Header=BB164_43 Depth=1
	s_or_b32 exec_lo, exec_lo, s17
	global_load_b128 v[1:4], v[5:6], off offset:1536
	s_waitcnt vmcnt(0)
	v_lshrrev_b32_e32 v65, 16, v1
	v_lshrrev_b32_e32 v67, 16, v2
	;; [unrolled: 1-line block ×4, first 2 shown]
	s_and_saveexec_b32 s17, s0
	s_cbranch_execz .LBB164_180
; %bb.179:                              ;   in Loop: Header=BB164_43 Depth=1
	v_add_nc_u32_e32 v64, 1, v36
	v_cmp_gt_i32_e64 s1, s15, v36
	v_add_nc_u32_e32 v66, 2, v36
	v_add_nc_u32_e32 v68, 3, v36
	s_delay_alu instid0(VALU_DEP_3) | instskip(SKIP_2) | instid1(VALU_DEP_2)
	v_cndmask_b32_e64 v1, 0, v1, s1
	v_cmp_gt_i32_e64 s1, s15, v64
	v_add_nc_u32_e32 v64, 4, v36
	v_cndmask_b32_e64 v65, 0, v65, s1
	v_cmp_gt_i32_e64 s1, s15, v66
	v_add_nc_u32_e32 v66, 5, v36
	s_delay_alu instid0(VALU_DEP_2) | instskip(SKIP_2) | instid1(VALU_DEP_2)
	v_cndmask_b32_e64 v2, 0, v2, s1
	v_cmp_gt_i32_e64 s1, s15, v68
	v_add_nc_u32_e32 v68, 6, v36
	v_cndmask_b32_e64 v67, 0, v67, s1
	v_cmp_gt_i32_e64 s1, s15, v64
	v_add_nc_u32_e32 v64, 7, v36
	s_delay_alu instid0(VALU_DEP_2) | instskip(SKIP_1) | instid1(VALU_DEP_1)
	v_cndmask_b32_e64 v3, 0, v3, s1
	v_cmp_gt_i32_e64 s1, s15, v66
	v_cndmask_b32_e64 v69, 0, v69, s1
	v_cmp_gt_i32_e64 s1, s15, v68
	s_delay_alu instid0(VALU_DEP_1) | instskip(SKIP_1) | instid1(VALU_DEP_1)
	v_cndmask_b32_e64 v4, 0, v4, s1
	v_cmp_gt_i32_e64 s1, s15, v64
	v_cndmask_b32_e64 v71, 0, v71, s1
.LBB164_180:                            ;   in Loop: Header=BB164_43 Depth=1
	s_or_b32 exec_lo, exec_lo, s17
	v_lshlrev_b32_e32 v1, 16, v1
	s_delay_alu instid0(VALU_DEP_1) | instskip(NEXT) | instid1(VALU_DEP_1)
	v_mul_f32_e32 v1, v40, v1
	v_and_b32_e32 v64, 0x7f800000, v1
	s_delay_alu instid0(VALU_DEP_1) | instskip(NEXT) | instid1(VALU_DEP_1)
	v_cmp_ne_u32_e64 s1, 0x7f800000, v64
                                        ; implicit-def: $vgpr64
	s_and_saveexec_b32 s17, s1
	s_delay_alu instid0(SALU_CYCLE_1)
	s_xor_b32 s1, exec_lo, s17
; %bb.181:                              ;   in Loop: Header=BB164_43 Depth=1
	v_bfe_u32 v64, v1, 16, 1
	s_delay_alu instid0(VALU_DEP_1)
	v_add3_u32 v64, v1, v64, 0x7fff
                                        ; implicit-def: $vgpr1
; %bb.182:                              ;   in Loop: Header=BB164_43 Depth=1
	s_and_not1_saveexec_b32 s17, s1
; %bb.183:                              ;   in Loop: Header=BB164_43 Depth=1
	v_and_b32_e32 v64, 0xffff, v1
	v_or_b32_e32 v66, 0x10000, v1
	s_delay_alu instid0(VALU_DEP_2) | instskip(NEXT) | instid1(VALU_DEP_1)
	v_cmp_eq_u32_e64 s1, 0, v64
	v_cndmask_b32_e64 v64, v66, v1, s1
; %bb.184:                              ;   in Loop: Header=BB164_43 Depth=1
	s_or_b32 exec_lo, exec_lo, s17
	v_lshlrev_b32_e32 v1, 16, v65
	s_delay_alu instid0(VALU_DEP_1) | instskip(NEXT) | instid1(VALU_DEP_1)
	v_mul_f32_e32 v1, v41, v1
	v_and_b32_e32 v65, 0x7f800000, v1
	s_delay_alu instid0(VALU_DEP_1) | instskip(NEXT) | instid1(VALU_DEP_1)
	v_cmp_ne_u32_e64 s1, 0x7f800000, v65
                                        ; implicit-def: $vgpr65
	s_and_saveexec_b32 s17, s1
	s_delay_alu instid0(SALU_CYCLE_1)
	s_xor_b32 s1, exec_lo, s17
; %bb.185:                              ;   in Loop: Header=BB164_43 Depth=1
	v_bfe_u32 v65, v1, 16, 1
	s_delay_alu instid0(VALU_DEP_1)
	v_add3_u32 v65, v1, v65, 0x7fff
                                        ; implicit-def: $vgpr1
; %bb.186:                              ;   in Loop: Header=BB164_43 Depth=1
	s_and_not1_saveexec_b32 s17, s1
; %bb.187:                              ;   in Loop: Header=BB164_43 Depth=1
	v_and_b32_e32 v65, 0xffff, v1
	v_or_b32_e32 v66, 0x10000, v1
	s_delay_alu instid0(VALU_DEP_2) | instskip(NEXT) | instid1(VALU_DEP_1)
	v_cmp_eq_u32_e64 s1, 0, v65
	v_cndmask_b32_e64 v65, v66, v1, s1
; %bb.188:                              ;   in Loop: Header=BB164_43 Depth=1
	s_or_b32 exec_lo, exec_lo, s17
	v_lshlrev_b32_e32 v1, 16, v2
                                        ; implicit-def: $vgpr66
	s_delay_alu instid0(VALU_DEP_1) | instskip(NEXT) | instid1(VALU_DEP_1)
	v_mul_f32_e32 v1, v42, v1
	v_and_b32_e32 v2, 0x7f800000, v1
	s_delay_alu instid0(VALU_DEP_1) | instskip(NEXT) | instid1(VALU_DEP_1)
	v_cmp_ne_u32_e64 s1, 0x7f800000, v2
	s_and_saveexec_b32 s17, s1
	s_delay_alu instid0(SALU_CYCLE_1)
	s_xor_b32 s1, exec_lo, s17
; %bb.189:                              ;   in Loop: Header=BB164_43 Depth=1
	v_bfe_u32 v2, v1, 16, 1
	s_delay_alu instid0(VALU_DEP_1)
	v_add3_u32 v66, v1, v2, 0x7fff
                                        ; implicit-def: $vgpr1
; %bb.190:                              ;   in Loop: Header=BB164_43 Depth=1
	s_and_not1_saveexec_b32 s17, s1
; %bb.191:                              ;   in Loop: Header=BB164_43 Depth=1
	v_and_b32_e32 v2, 0xffff, v1
	v_or_b32_e32 v66, 0x10000, v1
	s_delay_alu instid0(VALU_DEP_2) | instskip(NEXT) | instid1(VALU_DEP_1)
	v_cmp_eq_u32_e64 s1, 0, v2
	v_cndmask_b32_e64 v66, v66, v1, s1
; %bb.192:                              ;   in Loop: Header=BB164_43 Depth=1
	s_or_b32 exec_lo, exec_lo, s17
	v_lshlrev_b32_e32 v1, 16, v67
                                        ; implicit-def: $vgpr67
	s_delay_alu instid0(VALU_DEP_1) | instskip(NEXT) | instid1(VALU_DEP_1)
	v_mul_f32_e32 v1, v43, v1
	v_and_b32_e32 v2, 0x7f800000, v1
	s_delay_alu instid0(VALU_DEP_1) | instskip(NEXT) | instid1(VALU_DEP_1)
	v_cmp_ne_u32_e64 s1, 0x7f800000, v2
	s_and_saveexec_b32 s17, s1
	s_delay_alu instid0(SALU_CYCLE_1)
	s_xor_b32 s1, exec_lo, s17
; %bb.193:                              ;   in Loop: Header=BB164_43 Depth=1
	v_bfe_u32 v2, v1, 16, 1
	s_delay_alu instid0(VALU_DEP_1)
	v_add3_u32 v67, v1, v2, 0x7fff
                                        ; implicit-def: $vgpr1
; %bb.194:                              ;   in Loop: Header=BB164_43 Depth=1
	s_and_not1_saveexec_b32 s17, s1
; %bb.195:                              ;   in Loop: Header=BB164_43 Depth=1
	v_and_b32_e32 v2, 0xffff, v1
	v_or_b32_e32 v67, 0x10000, v1
	s_delay_alu instid0(VALU_DEP_2) | instskip(NEXT) | instid1(VALU_DEP_1)
	v_cmp_eq_u32_e64 s1, 0, v2
	v_cndmask_b32_e64 v67, v67, v1, s1
; %bb.196:                              ;   in Loop: Header=BB164_43 Depth=1
	s_or_b32 exec_lo, exec_lo, s17
	v_lshlrev_b32_e32 v1, 16, v3
                                        ; implicit-def: $vgpr68
	s_delay_alu instid0(VALU_DEP_1) | instskip(NEXT) | instid1(VALU_DEP_1)
	v_mul_f32_e32 v1, v44, v1
	v_and_b32_e32 v2, 0x7f800000, v1
	s_delay_alu instid0(VALU_DEP_1) | instskip(NEXT) | instid1(VALU_DEP_1)
	v_cmp_ne_u32_e64 s1, 0x7f800000, v2
	s_and_saveexec_b32 s17, s1
	s_delay_alu instid0(SALU_CYCLE_1)
	s_xor_b32 s1, exec_lo, s17
; %bb.197:                              ;   in Loop: Header=BB164_43 Depth=1
	v_bfe_u32 v2, v1, 16, 1
	s_delay_alu instid0(VALU_DEP_1)
	v_add3_u32 v68, v1, v2, 0x7fff
                                        ; implicit-def: $vgpr1
; %bb.198:                              ;   in Loop: Header=BB164_43 Depth=1
	s_and_not1_saveexec_b32 s17, s1
; %bb.199:                              ;   in Loop: Header=BB164_43 Depth=1
	v_and_b32_e32 v2, 0xffff, v1
	v_or_b32_e32 v3, 0x10000, v1
	s_delay_alu instid0(VALU_DEP_2) | instskip(NEXT) | instid1(VALU_DEP_1)
	v_cmp_eq_u32_e64 s1, 0, v2
	v_cndmask_b32_e64 v68, v3, v1, s1
; %bb.200:                              ;   in Loop: Header=BB164_43 Depth=1
	s_or_b32 exec_lo, exec_lo, s17
	v_lshlrev_b32_e32 v1, 16, v69
                                        ; implicit-def: $vgpr69
	s_delay_alu instid0(VALU_DEP_1) | instskip(NEXT) | instid1(VALU_DEP_1)
	v_mul_f32_e32 v1, v45, v1
	v_and_b32_e32 v2, 0x7f800000, v1
	s_delay_alu instid0(VALU_DEP_1) | instskip(NEXT) | instid1(VALU_DEP_1)
	v_cmp_ne_u32_e64 s1, 0x7f800000, v2
	s_and_saveexec_b32 s17, s1
	s_delay_alu instid0(SALU_CYCLE_1)
	s_xor_b32 s1, exec_lo, s17
; %bb.201:                              ;   in Loop: Header=BB164_43 Depth=1
	v_bfe_u32 v2, v1, 16, 1
	s_delay_alu instid0(VALU_DEP_1)
	v_add3_u32 v69, v1, v2, 0x7fff
                                        ; implicit-def: $vgpr1
; %bb.202:                              ;   in Loop: Header=BB164_43 Depth=1
	s_and_not1_saveexec_b32 s17, s1
; %bb.203:                              ;   in Loop: Header=BB164_43 Depth=1
	v_and_b32_e32 v2, 0xffff, v1
	v_or_b32_e32 v3, 0x10000, v1
	s_delay_alu instid0(VALU_DEP_2) | instskip(NEXT) | instid1(VALU_DEP_1)
	v_cmp_eq_u32_e64 s1, 0, v2
	v_cndmask_b32_e64 v69, v3, v1, s1
; %bb.204:                              ;   in Loop: Header=BB164_43 Depth=1
	s_or_b32 exec_lo, exec_lo, s17
	v_lshlrev_b32_e32 v1, 16, v4
                                        ; implicit-def: $vgpr70
	s_delay_alu instid0(VALU_DEP_1) | instskip(NEXT) | instid1(VALU_DEP_1)
	v_mul_f32_e32 v1, v46, v1
	v_and_b32_e32 v2, 0x7f800000, v1
	s_delay_alu instid0(VALU_DEP_1) | instskip(NEXT) | instid1(VALU_DEP_1)
	v_cmp_ne_u32_e64 s1, 0x7f800000, v2
	s_and_saveexec_b32 s17, s1
	s_delay_alu instid0(SALU_CYCLE_1)
	s_xor_b32 s1, exec_lo, s17
; %bb.205:                              ;   in Loop: Header=BB164_43 Depth=1
	v_bfe_u32 v2, v1, 16, 1
	s_delay_alu instid0(VALU_DEP_1)
	v_add3_u32 v70, v1, v2, 0x7fff
                                        ; implicit-def: $vgpr1
; %bb.206:                              ;   in Loop: Header=BB164_43 Depth=1
	s_and_not1_saveexec_b32 s17, s1
; %bb.207:                              ;   in Loop: Header=BB164_43 Depth=1
	v_and_b32_e32 v2, 0xffff, v1
	v_or_b32_e32 v3, 0x10000, v1
	s_delay_alu instid0(VALU_DEP_2) | instskip(NEXT) | instid1(VALU_DEP_1)
	v_cmp_eq_u32_e64 s1, 0, v2
	v_cndmask_b32_e64 v70, v3, v1, s1
; %bb.208:                              ;   in Loop: Header=BB164_43 Depth=1
	s_or_b32 exec_lo, exec_lo, s17
	v_lshlrev_b32_e32 v1, 16, v71
                                        ; implicit-def: $vgpr71
	s_delay_alu instid0(VALU_DEP_1) | instskip(NEXT) | instid1(VALU_DEP_1)
	v_mul_f32_e32 v1, v47, v1
	v_and_b32_e32 v2, 0x7f800000, v1
	s_delay_alu instid0(VALU_DEP_1) | instskip(NEXT) | instid1(VALU_DEP_1)
	v_cmp_ne_u32_e64 s1, 0x7f800000, v2
	s_and_saveexec_b32 s17, s1
	s_delay_alu instid0(SALU_CYCLE_1)
	s_xor_b32 s1, exec_lo, s17
; %bb.209:                              ;   in Loop: Header=BB164_43 Depth=1
	v_bfe_u32 v2, v1, 16, 1
	s_delay_alu instid0(VALU_DEP_1)
	v_add3_u32 v71, v1, v2, 0x7fff
                                        ; implicit-def: $vgpr1
; %bb.210:                              ;   in Loop: Header=BB164_43 Depth=1
	s_and_not1_saveexec_b32 s17, s1
; %bb.211:                              ;   in Loop: Header=BB164_43 Depth=1
	v_and_b32_e32 v2, 0xffff, v1
	v_or_b32_e32 v3, 0x10000, v1
	s_delay_alu instid0(VALU_DEP_2) | instskip(NEXT) | instid1(VALU_DEP_1)
	v_cmp_eq_u32_e64 s1, 0, v2
	v_cndmask_b32_e64 v71, v3, v1, s1
; %bb.212:                              ;   in Loop: Header=BB164_43 Depth=1
	s_or_b32 exec_lo, exec_lo, s17
	global_load_b128 v[1:4], v[5:6], off offset:2048
	s_waitcnt vmcnt(0)
	v_lshrrev_b32_e32 v73, 16, v1
	v_lshrrev_b32_e32 v75, 16, v2
	;; [unrolled: 1-line block ×4, first 2 shown]
	s_and_saveexec_b32 s17, s0
	s_cbranch_execz .LBB164_214
; %bb.213:                              ;   in Loop: Header=BB164_43 Depth=1
	v_add_nc_u32_e32 v72, 1, v36
	v_cmp_gt_i32_e64 s1, s15, v36
	v_add_nc_u32_e32 v74, 2, v36
	v_add_nc_u32_e32 v76, 3, v36
	s_delay_alu instid0(VALU_DEP_3) | instskip(SKIP_2) | instid1(VALU_DEP_2)
	v_cndmask_b32_e64 v1, 0, v1, s1
	v_cmp_gt_i32_e64 s1, s15, v72
	v_add_nc_u32_e32 v72, 4, v36
	v_cndmask_b32_e64 v73, 0, v73, s1
	v_cmp_gt_i32_e64 s1, s15, v74
	v_add_nc_u32_e32 v74, 5, v36
	s_delay_alu instid0(VALU_DEP_2) | instskip(SKIP_2) | instid1(VALU_DEP_2)
	v_cndmask_b32_e64 v2, 0, v2, s1
	v_cmp_gt_i32_e64 s1, s15, v76
	v_add_nc_u32_e32 v76, 6, v36
	v_cndmask_b32_e64 v75, 0, v75, s1
	v_cmp_gt_i32_e64 s1, s15, v72
	v_add_nc_u32_e32 v72, 7, v36
	s_delay_alu instid0(VALU_DEP_2) | instskip(SKIP_1) | instid1(VALU_DEP_1)
	v_cndmask_b32_e64 v3, 0, v3, s1
	v_cmp_gt_i32_e64 s1, s15, v74
	v_cndmask_b32_e64 v77, 0, v77, s1
	v_cmp_gt_i32_e64 s1, s15, v76
	s_delay_alu instid0(VALU_DEP_1) | instskip(SKIP_1) | instid1(VALU_DEP_1)
	v_cndmask_b32_e64 v4, 0, v4, s1
	v_cmp_gt_i32_e64 s1, s15, v72
	v_cndmask_b32_e64 v79, 0, v79, s1
.LBB164_214:                            ;   in Loop: Header=BB164_43 Depth=1
	s_or_b32 exec_lo, exec_lo, s17
	v_lshlrev_b32_e32 v1, 16, v1
	s_delay_alu instid0(VALU_DEP_1) | instskip(NEXT) | instid1(VALU_DEP_1)
	v_mul_f32_e32 v1, v40, v1
	v_and_b32_e32 v72, 0x7f800000, v1
	s_delay_alu instid0(VALU_DEP_1) | instskip(NEXT) | instid1(VALU_DEP_1)
	v_cmp_ne_u32_e64 s1, 0x7f800000, v72
                                        ; implicit-def: $vgpr72
	s_and_saveexec_b32 s17, s1
	s_delay_alu instid0(SALU_CYCLE_1)
	s_xor_b32 s1, exec_lo, s17
; %bb.215:                              ;   in Loop: Header=BB164_43 Depth=1
	v_bfe_u32 v72, v1, 16, 1
	s_delay_alu instid0(VALU_DEP_1)
	v_add3_u32 v72, v1, v72, 0x7fff
                                        ; implicit-def: $vgpr1
; %bb.216:                              ;   in Loop: Header=BB164_43 Depth=1
	s_and_not1_saveexec_b32 s17, s1
; %bb.217:                              ;   in Loop: Header=BB164_43 Depth=1
	v_and_b32_e32 v72, 0xffff, v1
	v_or_b32_e32 v74, 0x10000, v1
	s_delay_alu instid0(VALU_DEP_2) | instskip(NEXT) | instid1(VALU_DEP_1)
	v_cmp_eq_u32_e64 s1, 0, v72
	v_cndmask_b32_e64 v72, v74, v1, s1
; %bb.218:                              ;   in Loop: Header=BB164_43 Depth=1
	s_or_b32 exec_lo, exec_lo, s17
	v_lshlrev_b32_e32 v1, 16, v73
	s_delay_alu instid0(VALU_DEP_1) | instskip(NEXT) | instid1(VALU_DEP_1)
	v_mul_f32_e32 v1, v41, v1
	v_and_b32_e32 v73, 0x7f800000, v1
	s_delay_alu instid0(VALU_DEP_1) | instskip(NEXT) | instid1(VALU_DEP_1)
	v_cmp_ne_u32_e64 s1, 0x7f800000, v73
                                        ; implicit-def: $vgpr73
	s_and_saveexec_b32 s17, s1
	s_delay_alu instid0(SALU_CYCLE_1)
	s_xor_b32 s1, exec_lo, s17
; %bb.219:                              ;   in Loop: Header=BB164_43 Depth=1
	v_bfe_u32 v73, v1, 16, 1
	s_delay_alu instid0(VALU_DEP_1)
	v_add3_u32 v73, v1, v73, 0x7fff
                                        ; implicit-def: $vgpr1
; %bb.220:                              ;   in Loop: Header=BB164_43 Depth=1
	s_and_not1_saveexec_b32 s17, s1
; %bb.221:                              ;   in Loop: Header=BB164_43 Depth=1
	v_and_b32_e32 v73, 0xffff, v1
	v_or_b32_e32 v74, 0x10000, v1
	s_delay_alu instid0(VALU_DEP_2) | instskip(NEXT) | instid1(VALU_DEP_1)
	v_cmp_eq_u32_e64 s1, 0, v73
	v_cndmask_b32_e64 v73, v74, v1, s1
; %bb.222:                              ;   in Loop: Header=BB164_43 Depth=1
	s_or_b32 exec_lo, exec_lo, s17
	v_lshlrev_b32_e32 v1, 16, v2
                                        ; implicit-def: $vgpr74
	s_delay_alu instid0(VALU_DEP_1) | instskip(NEXT) | instid1(VALU_DEP_1)
	v_mul_f32_e32 v1, v42, v1
	v_and_b32_e32 v2, 0x7f800000, v1
	s_delay_alu instid0(VALU_DEP_1) | instskip(NEXT) | instid1(VALU_DEP_1)
	v_cmp_ne_u32_e64 s1, 0x7f800000, v2
	s_and_saveexec_b32 s17, s1
	s_delay_alu instid0(SALU_CYCLE_1)
	s_xor_b32 s1, exec_lo, s17
; %bb.223:                              ;   in Loop: Header=BB164_43 Depth=1
	v_bfe_u32 v2, v1, 16, 1
	s_delay_alu instid0(VALU_DEP_1)
	v_add3_u32 v74, v1, v2, 0x7fff
                                        ; implicit-def: $vgpr1
; %bb.224:                              ;   in Loop: Header=BB164_43 Depth=1
	s_and_not1_saveexec_b32 s17, s1
; %bb.225:                              ;   in Loop: Header=BB164_43 Depth=1
	v_and_b32_e32 v2, 0xffff, v1
	v_or_b32_e32 v74, 0x10000, v1
	s_delay_alu instid0(VALU_DEP_2) | instskip(NEXT) | instid1(VALU_DEP_1)
	v_cmp_eq_u32_e64 s1, 0, v2
	v_cndmask_b32_e64 v74, v74, v1, s1
; %bb.226:                              ;   in Loop: Header=BB164_43 Depth=1
	s_or_b32 exec_lo, exec_lo, s17
	v_lshlrev_b32_e32 v1, 16, v75
                                        ; implicit-def: $vgpr75
	s_delay_alu instid0(VALU_DEP_1) | instskip(NEXT) | instid1(VALU_DEP_1)
	v_mul_f32_e32 v1, v43, v1
	v_and_b32_e32 v2, 0x7f800000, v1
	s_delay_alu instid0(VALU_DEP_1) | instskip(NEXT) | instid1(VALU_DEP_1)
	v_cmp_ne_u32_e64 s1, 0x7f800000, v2
	s_and_saveexec_b32 s17, s1
	s_delay_alu instid0(SALU_CYCLE_1)
	s_xor_b32 s1, exec_lo, s17
; %bb.227:                              ;   in Loop: Header=BB164_43 Depth=1
	v_bfe_u32 v2, v1, 16, 1
	s_delay_alu instid0(VALU_DEP_1)
	v_add3_u32 v75, v1, v2, 0x7fff
                                        ; implicit-def: $vgpr1
; %bb.228:                              ;   in Loop: Header=BB164_43 Depth=1
	s_and_not1_saveexec_b32 s17, s1
; %bb.229:                              ;   in Loop: Header=BB164_43 Depth=1
	v_and_b32_e32 v2, 0xffff, v1
	v_or_b32_e32 v75, 0x10000, v1
	s_delay_alu instid0(VALU_DEP_2) | instskip(NEXT) | instid1(VALU_DEP_1)
	v_cmp_eq_u32_e64 s1, 0, v2
	v_cndmask_b32_e64 v75, v75, v1, s1
; %bb.230:                              ;   in Loop: Header=BB164_43 Depth=1
	s_or_b32 exec_lo, exec_lo, s17
	v_lshlrev_b32_e32 v1, 16, v3
                                        ; implicit-def: $vgpr76
	s_delay_alu instid0(VALU_DEP_1) | instskip(NEXT) | instid1(VALU_DEP_1)
	v_mul_f32_e32 v1, v44, v1
	v_and_b32_e32 v2, 0x7f800000, v1
	s_delay_alu instid0(VALU_DEP_1) | instskip(NEXT) | instid1(VALU_DEP_1)
	v_cmp_ne_u32_e64 s1, 0x7f800000, v2
	s_and_saveexec_b32 s17, s1
	s_delay_alu instid0(SALU_CYCLE_1)
	s_xor_b32 s1, exec_lo, s17
; %bb.231:                              ;   in Loop: Header=BB164_43 Depth=1
	v_bfe_u32 v2, v1, 16, 1
	s_delay_alu instid0(VALU_DEP_1)
	v_add3_u32 v76, v1, v2, 0x7fff
                                        ; implicit-def: $vgpr1
; %bb.232:                              ;   in Loop: Header=BB164_43 Depth=1
	s_and_not1_saveexec_b32 s17, s1
; %bb.233:                              ;   in Loop: Header=BB164_43 Depth=1
	v_and_b32_e32 v2, 0xffff, v1
	v_or_b32_e32 v3, 0x10000, v1
	s_delay_alu instid0(VALU_DEP_2) | instskip(NEXT) | instid1(VALU_DEP_1)
	v_cmp_eq_u32_e64 s1, 0, v2
	v_cndmask_b32_e64 v76, v3, v1, s1
; %bb.234:                              ;   in Loop: Header=BB164_43 Depth=1
	s_or_b32 exec_lo, exec_lo, s17
	v_lshlrev_b32_e32 v1, 16, v77
                                        ; implicit-def: $vgpr77
	s_delay_alu instid0(VALU_DEP_1) | instskip(NEXT) | instid1(VALU_DEP_1)
	v_mul_f32_e32 v1, v45, v1
	v_and_b32_e32 v2, 0x7f800000, v1
	s_delay_alu instid0(VALU_DEP_1) | instskip(NEXT) | instid1(VALU_DEP_1)
	v_cmp_ne_u32_e64 s1, 0x7f800000, v2
	s_and_saveexec_b32 s17, s1
	s_delay_alu instid0(SALU_CYCLE_1)
	s_xor_b32 s1, exec_lo, s17
; %bb.235:                              ;   in Loop: Header=BB164_43 Depth=1
	v_bfe_u32 v2, v1, 16, 1
	s_delay_alu instid0(VALU_DEP_1)
	v_add3_u32 v77, v1, v2, 0x7fff
                                        ; implicit-def: $vgpr1
; %bb.236:                              ;   in Loop: Header=BB164_43 Depth=1
	s_and_not1_saveexec_b32 s17, s1
; %bb.237:                              ;   in Loop: Header=BB164_43 Depth=1
	v_and_b32_e32 v2, 0xffff, v1
	v_or_b32_e32 v3, 0x10000, v1
	s_delay_alu instid0(VALU_DEP_2) | instskip(NEXT) | instid1(VALU_DEP_1)
	v_cmp_eq_u32_e64 s1, 0, v2
	v_cndmask_b32_e64 v77, v3, v1, s1
; %bb.238:                              ;   in Loop: Header=BB164_43 Depth=1
	s_or_b32 exec_lo, exec_lo, s17
	v_lshlrev_b32_e32 v1, 16, v4
                                        ; implicit-def: $vgpr78
	s_delay_alu instid0(VALU_DEP_1) | instskip(NEXT) | instid1(VALU_DEP_1)
	v_mul_f32_e32 v1, v46, v1
	v_and_b32_e32 v2, 0x7f800000, v1
	s_delay_alu instid0(VALU_DEP_1) | instskip(NEXT) | instid1(VALU_DEP_1)
	v_cmp_ne_u32_e64 s1, 0x7f800000, v2
	s_and_saveexec_b32 s17, s1
	s_delay_alu instid0(SALU_CYCLE_1)
	s_xor_b32 s1, exec_lo, s17
; %bb.239:                              ;   in Loop: Header=BB164_43 Depth=1
	v_bfe_u32 v2, v1, 16, 1
	s_delay_alu instid0(VALU_DEP_1)
	v_add3_u32 v78, v1, v2, 0x7fff
                                        ; implicit-def: $vgpr1
; %bb.240:                              ;   in Loop: Header=BB164_43 Depth=1
	s_and_not1_saveexec_b32 s17, s1
; %bb.241:                              ;   in Loop: Header=BB164_43 Depth=1
	v_and_b32_e32 v2, 0xffff, v1
	v_or_b32_e32 v3, 0x10000, v1
	s_delay_alu instid0(VALU_DEP_2) | instskip(NEXT) | instid1(VALU_DEP_1)
	v_cmp_eq_u32_e64 s1, 0, v2
	v_cndmask_b32_e64 v78, v3, v1, s1
; %bb.242:                              ;   in Loop: Header=BB164_43 Depth=1
	s_or_b32 exec_lo, exec_lo, s17
	v_lshlrev_b32_e32 v1, 16, v79
                                        ; implicit-def: $vgpr79
	s_delay_alu instid0(VALU_DEP_1) | instskip(NEXT) | instid1(VALU_DEP_1)
	v_mul_f32_e32 v1, v47, v1
	v_and_b32_e32 v2, 0x7f800000, v1
	s_delay_alu instid0(VALU_DEP_1) | instskip(NEXT) | instid1(VALU_DEP_1)
	v_cmp_ne_u32_e64 s1, 0x7f800000, v2
	s_and_saveexec_b32 s17, s1
	s_delay_alu instid0(SALU_CYCLE_1)
	s_xor_b32 s1, exec_lo, s17
; %bb.243:                              ;   in Loop: Header=BB164_43 Depth=1
	v_bfe_u32 v2, v1, 16, 1
	s_delay_alu instid0(VALU_DEP_1)
	v_add3_u32 v79, v1, v2, 0x7fff
                                        ; implicit-def: $vgpr1
; %bb.244:                              ;   in Loop: Header=BB164_43 Depth=1
	s_and_not1_saveexec_b32 s17, s1
; %bb.245:                              ;   in Loop: Header=BB164_43 Depth=1
	v_and_b32_e32 v2, 0xffff, v1
	v_or_b32_e32 v3, 0x10000, v1
	s_delay_alu instid0(VALU_DEP_2) | instskip(NEXT) | instid1(VALU_DEP_1)
	v_cmp_eq_u32_e64 s1, 0, v2
	v_cndmask_b32_e64 v79, v3, v1, s1
; %bb.246:                              ;   in Loop: Header=BB164_43 Depth=1
	s_or_b32 exec_lo, exec_lo, s17
	global_load_b128 v[1:4], v[5:6], off offset:2560
	s_waitcnt vmcnt(0)
	v_lshrrev_b32_e32 v81, 16, v1
	v_lshrrev_b32_e32 v83, 16, v2
	;; [unrolled: 1-line block ×4, first 2 shown]
	s_and_saveexec_b32 s17, s0
	s_cbranch_execz .LBB164_248
; %bb.247:                              ;   in Loop: Header=BB164_43 Depth=1
	v_add_nc_u32_e32 v80, 1, v36
	v_cmp_gt_i32_e64 s1, s15, v36
	v_add_nc_u32_e32 v82, 2, v36
	v_add_nc_u32_e32 v84, 3, v36
	s_delay_alu instid0(VALU_DEP_3) | instskip(SKIP_2) | instid1(VALU_DEP_2)
	v_cndmask_b32_e64 v1, 0, v1, s1
	v_cmp_gt_i32_e64 s1, s15, v80
	v_add_nc_u32_e32 v80, 4, v36
	v_cndmask_b32_e64 v81, 0, v81, s1
	v_cmp_gt_i32_e64 s1, s15, v82
	v_add_nc_u32_e32 v82, 5, v36
	s_delay_alu instid0(VALU_DEP_2) | instskip(SKIP_2) | instid1(VALU_DEP_2)
	v_cndmask_b32_e64 v2, 0, v2, s1
	v_cmp_gt_i32_e64 s1, s15, v84
	v_add_nc_u32_e32 v84, 6, v36
	v_cndmask_b32_e64 v83, 0, v83, s1
	v_cmp_gt_i32_e64 s1, s15, v80
	v_add_nc_u32_e32 v80, 7, v36
	s_delay_alu instid0(VALU_DEP_2) | instskip(SKIP_1) | instid1(VALU_DEP_1)
	v_cndmask_b32_e64 v3, 0, v3, s1
	v_cmp_gt_i32_e64 s1, s15, v82
	v_cndmask_b32_e64 v85, 0, v85, s1
	v_cmp_gt_i32_e64 s1, s15, v84
	s_delay_alu instid0(VALU_DEP_1) | instskip(SKIP_1) | instid1(VALU_DEP_1)
	v_cndmask_b32_e64 v4, 0, v4, s1
	v_cmp_gt_i32_e64 s1, s15, v80
	v_cndmask_b32_e64 v87, 0, v87, s1
.LBB164_248:                            ;   in Loop: Header=BB164_43 Depth=1
	s_or_b32 exec_lo, exec_lo, s17
	v_lshlrev_b32_e32 v1, 16, v1
	s_delay_alu instid0(VALU_DEP_1) | instskip(NEXT) | instid1(VALU_DEP_1)
	v_mul_f32_e32 v1, v40, v1
	v_and_b32_e32 v80, 0x7f800000, v1
	s_delay_alu instid0(VALU_DEP_1) | instskip(NEXT) | instid1(VALU_DEP_1)
	v_cmp_ne_u32_e64 s1, 0x7f800000, v80
                                        ; implicit-def: $vgpr80
	s_and_saveexec_b32 s17, s1
	s_delay_alu instid0(SALU_CYCLE_1)
	s_xor_b32 s1, exec_lo, s17
; %bb.249:                              ;   in Loop: Header=BB164_43 Depth=1
	v_bfe_u32 v80, v1, 16, 1
	s_delay_alu instid0(VALU_DEP_1)
	v_add3_u32 v80, v1, v80, 0x7fff
                                        ; implicit-def: $vgpr1
; %bb.250:                              ;   in Loop: Header=BB164_43 Depth=1
	s_and_not1_saveexec_b32 s17, s1
; %bb.251:                              ;   in Loop: Header=BB164_43 Depth=1
	v_and_b32_e32 v80, 0xffff, v1
	v_or_b32_e32 v82, 0x10000, v1
	s_delay_alu instid0(VALU_DEP_2) | instskip(NEXT) | instid1(VALU_DEP_1)
	v_cmp_eq_u32_e64 s1, 0, v80
	v_cndmask_b32_e64 v80, v82, v1, s1
; %bb.252:                              ;   in Loop: Header=BB164_43 Depth=1
	s_or_b32 exec_lo, exec_lo, s17
	v_lshlrev_b32_e32 v1, 16, v81
	s_delay_alu instid0(VALU_DEP_1) | instskip(NEXT) | instid1(VALU_DEP_1)
	v_mul_f32_e32 v1, v41, v1
	v_and_b32_e32 v81, 0x7f800000, v1
	s_delay_alu instid0(VALU_DEP_1) | instskip(NEXT) | instid1(VALU_DEP_1)
	v_cmp_ne_u32_e64 s1, 0x7f800000, v81
                                        ; implicit-def: $vgpr81
	s_and_saveexec_b32 s17, s1
	s_delay_alu instid0(SALU_CYCLE_1)
	s_xor_b32 s1, exec_lo, s17
; %bb.253:                              ;   in Loop: Header=BB164_43 Depth=1
	v_bfe_u32 v81, v1, 16, 1
	s_delay_alu instid0(VALU_DEP_1)
	v_add3_u32 v81, v1, v81, 0x7fff
                                        ; implicit-def: $vgpr1
; %bb.254:                              ;   in Loop: Header=BB164_43 Depth=1
	s_and_not1_saveexec_b32 s17, s1
; %bb.255:                              ;   in Loop: Header=BB164_43 Depth=1
	v_and_b32_e32 v81, 0xffff, v1
	v_or_b32_e32 v82, 0x10000, v1
	s_delay_alu instid0(VALU_DEP_2) | instskip(NEXT) | instid1(VALU_DEP_1)
	v_cmp_eq_u32_e64 s1, 0, v81
	v_cndmask_b32_e64 v81, v82, v1, s1
; %bb.256:                              ;   in Loop: Header=BB164_43 Depth=1
	s_or_b32 exec_lo, exec_lo, s17
	v_lshlrev_b32_e32 v1, 16, v2
                                        ; implicit-def: $vgpr82
	s_delay_alu instid0(VALU_DEP_1) | instskip(NEXT) | instid1(VALU_DEP_1)
	v_mul_f32_e32 v1, v42, v1
	v_and_b32_e32 v2, 0x7f800000, v1
	s_delay_alu instid0(VALU_DEP_1) | instskip(NEXT) | instid1(VALU_DEP_1)
	v_cmp_ne_u32_e64 s1, 0x7f800000, v2
	s_and_saveexec_b32 s17, s1
	s_delay_alu instid0(SALU_CYCLE_1)
	s_xor_b32 s1, exec_lo, s17
; %bb.257:                              ;   in Loop: Header=BB164_43 Depth=1
	v_bfe_u32 v2, v1, 16, 1
	s_delay_alu instid0(VALU_DEP_1)
	v_add3_u32 v82, v1, v2, 0x7fff
                                        ; implicit-def: $vgpr1
; %bb.258:                              ;   in Loop: Header=BB164_43 Depth=1
	s_and_not1_saveexec_b32 s17, s1
; %bb.259:                              ;   in Loop: Header=BB164_43 Depth=1
	v_and_b32_e32 v2, 0xffff, v1
	v_or_b32_e32 v82, 0x10000, v1
	s_delay_alu instid0(VALU_DEP_2) | instskip(NEXT) | instid1(VALU_DEP_1)
	v_cmp_eq_u32_e64 s1, 0, v2
	v_cndmask_b32_e64 v82, v82, v1, s1
; %bb.260:                              ;   in Loop: Header=BB164_43 Depth=1
	s_or_b32 exec_lo, exec_lo, s17
	v_lshlrev_b32_e32 v1, 16, v83
                                        ; implicit-def: $vgpr83
	s_delay_alu instid0(VALU_DEP_1) | instskip(NEXT) | instid1(VALU_DEP_1)
	v_mul_f32_e32 v1, v43, v1
	v_and_b32_e32 v2, 0x7f800000, v1
	s_delay_alu instid0(VALU_DEP_1) | instskip(NEXT) | instid1(VALU_DEP_1)
	v_cmp_ne_u32_e64 s1, 0x7f800000, v2
	s_and_saveexec_b32 s17, s1
	s_delay_alu instid0(SALU_CYCLE_1)
	s_xor_b32 s1, exec_lo, s17
; %bb.261:                              ;   in Loop: Header=BB164_43 Depth=1
	v_bfe_u32 v2, v1, 16, 1
	s_delay_alu instid0(VALU_DEP_1)
	v_add3_u32 v83, v1, v2, 0x7fff
                                        ; implicit-def: $vgpr1
; %bb.262:                              ;   in Loop: Header=BB164_43 Depth=1
	s_and_not1_saveexec_b32 s17, s1
; %bb.263:                              ;   in Loop: Header=BB164_43 Depth=1
	v_and_b32_e32 v2, 0xffff, v1
	v_or_b32_e32 v83, 0x10000, v1
	s_delay_alu instid0(VALU_DEP_2) | instskip(NEXT) | instid1(VALU_DEP_1)
	v_cmp_eq_u32_e64 s1, 0, v2
	v_cndmask_b32_e64 v83, v83, v1, s1
; %bb.264:                              ;   in Loop: Header=BB164_43 Depth=1
	s_or_b32 exec_lo, exec_lo, s17
	v_lshlrev_b32_e32 v1, 16, v3
                                        ; implicit-def: $vgpr84
	s_delay_alu instid0(VALU_DEP_1) | instskip(NEXT) | instid1(VALU_DEP_1)
	v_mul_f32_e32 v1, v44, v1
	v_and_b32_e32 v2, 0x7f800000, v1
	s_delay_alu instid0(VALU_DEP_1) | instskip(NEXT) | instid1(VALU_DEP_1)
	v_cmp_ne_u32_e64 s1, 0x7f800000, v2
	s_and_saveexec_b32 s17, s1
	s_delay_alu instid0(SALU_CYCLE_1)
	s_xor_b32 s1, exec_lo, s17
; %bb.265:                              ;   in Loop: Header=BB164_43 Depth=1
	v_bfe_u32 v2, v1, 16, 1
	s_delay_alu instid0(VALU_DEP_1)
	v_add3_u32 v84, v1, v2, 0x7fff
                                        ; implicit-def: $vgpr1
; %bb.266:                              ;   in Loop: Header=BB164_43 Depth=1
	s_and_not1_saveexec_b32 s17, s1
; %bb.267:                              ;   in Loop: Header=BB164_43 Depth=1
	v_and_b32_e32 v2, 0xffff, v1
	v_or_b32_e32 v3, 0x10000, v1
	s_delay_alu instid0(VALU_DEP_2) | instskip(NEXT) | instid1(VALU_DEP_1)
	v_cmp_eq_u32_e64 s1, 0, v2
	v_cndmask_b32_e64 v84, v3, v1, s1
; %bb.268:                              ;   in Loop: Header=BB164_43 Depth=1
	s_or_b32 exec_lo, exec_lo, s17
	v_lshlrev_b32_e32 v1, 16, v85
                                        ; implicit-def: $vgpr85
	s_delay_alu instid0(VALU_DEP_1) | instskip(NEXT) | instid1(VALU_DEP_1)
	v_mul_f32_e32 v1, v45, v1
	v_and_b32_e32 v2, 0x7f800000, v1
	s_delay_alu instid0(VALU_DEP_1) | instskip(NEXT) | instid1(VALU_DEP_1)
	v_cmp_ne_u32_e64 s1, 0x7f800000, v2
	s_and_saveexec_b32 s17, s1
	s_delay_alu instid0(SALU_CYCLE_1)
	s_xor_b32 s1, exec_lo, s17
; %bb.269:                              ;   in Loop: Header=BB164_43 Depth=1
	v_bfe_u32 v2, v1, 16, 1
	s_delay_alu instid0(VALU_DEP_1)
	v_add3_u32 v85, v1, v2, 0x7fff
                                        ; implicit-def: $vgpr1
; %bb.270:                              ;   in Loop: Header=BB164_43 Depth=1
	s_and_not1_saveexec_b32 s17, s1
; %bb.271:                              ;   in Loop: Header=BB164_43 Depth=1
	v_and_b32_e32 v2, 0xffff, v1
	v_or_b32_e32 v3, 0x10000, v1
	s_delay_alu instid0(VALU_DEP_2) | instskip(NEXT) | instid1(VALU_DEP_1)
	v_cmp_eq_u32_e64 s1, 0, v2
	v_cndmask_b32_e64 v85, v3, v1, s1
; %bb.272:                              ;   in Loop: Header=BB164_43 Depth=1
	s_or_b32 exec_lo, exec_lo, s17
	v_lshlrev_b32_e32 v1, 16, v4
                                        ; implicit-def: $vgpr86
	s_delay_alu instid0(VALU_DEP_1) | instskip(NEXT) | instid1(VALU_DEP_1)
	v_mul_f32_e32 v1, v46, v1
	v_and_b32_e32 v2, 0x7f800000, v1
	s_delay_alu instid0(VALU_DEP_1) | instskip(NEXT) | instid1(VALU_DEP_1)
	v_cmp_ne_u32_e64 s1, 0x7f800000, v2
	s_and_saveexec_b32 s17, s1
	s_delay_alu instid0(SALU_CYCLE_1)
	s_xor_b32 s1, exec_lo, s17
; %bb.273:                              ;   in Loop: Header=BB164_43 Depth=1
	v_bfe_u32 v2, v1, 16, 1
	s_delay_alu instid0(VALU_DEP_1)
	v_add3_u32 v86, v1, v2, 0x7fff
                                        ; implicit-def: $vgpr1
; %bb.274:                              ;   in Loop: Header=BB164_43 Depth=1
	s_and_not1_saveexec_b32 s17, s1
; %bb.275:                              ;   in Loop: Header=BB164_43 Depth=1
	v_and_b32_e32 v2, 0xffff, v1
	v_or_b32_e32 v3, 0x10000, v1
	s_delay_alu instid0(VALU_DEP_2) | instskip(NEXT) | instid1(VALU_DEP_1)
	v_cmp_eq_u32_e64 s1, 0, v2
	v_cndmask_b32_e64 v86, v3, v1, s1
; %bb.276:                              ;   in Loop: Header=BB164_43 Depth=1
	s_or_b32 exec_lo, exec_lo, s17
	v_lshlrev_b32_e32 v1, 16, v87
                                        ; implicit-def: $vgpr87
	s_delay_alu instid0(VALU_DEP_1) | instskip(NEXT) | instid1(VALU_DEP_1)
	v_mul_f32_e32 v1, v47, v1
	v_and_b32_e32 v2, 0x7f800000, v1
	s_delay_alu instid0(VALU_DEP_1) | instskip(NEXT) | instid1(VALU_DEP_1)
	v_cmp_ne_u32_e64 s1, 0x7f800000, v2
	s_and_saveexec_b32 s17, s1
	s_delay_alu instid0(SALU_CYCLE_1)
	s_xor_b32 s1, exec_lo, s17
; %bb.277:                              ;   in Loop: Header=BB164_43 Depth=1
	v_bfe_u32 v2, v1, 16, 1
	s_delay_alu instid0(VALU_DEP_1)
	v_add3_u32 v87, v1, v2, 0x7fff
                                        ; implicit-def: $vgpr1
; %bb.278:                              ;   in Loop: Header=BB164_43 Depth=1
	s_and_not1_saveexec_b32 s17, s1
; %bb.279:                              ;   in Loop: Header=BB164_43 Depth=1
	v_and_b32_e32 v2, 0xffff, v1
	v_or_b32_e32 v3, 0x10000, v1
	s_delay_alu instid0(VALU_DEP_2) | instskip(NEXT) | instid1(VALU_DEP_1)
	v_cmp_eq_u32_e64 s1, 0, v2
	v_cndmask_b32_e64 v87, v3, v1, s1
; %bb.280:                              ;   in Loop: Header=BB164_43 Depth=1
	s_or_b32 exec_lo, exec_lo, s17
	global_load_b128 v[1:4], v[5:6], off offset:3072
	s_waitcnt vmcnt(0)
	v_lshrrev_b32_e32 v6, 16, v1
	v_lshrrev_b32_e32 v89, 16, v2
	;; [unrolled: 1-line block ×4, first 2 shown]
	s_and_saveexec_b32 s17, s0
	s_cbranch_execz .LBB164_282
; %bb.281:                              ;   in Loop: Header=BB164_43 Depth=1
	v_add_nc_u32_e32 v5, 1, v36
	v_cmp_gt_i32_e64 s1, s15, v36
	v_add_nc_u32_e32 v88, 2, v36
	v_add_nc_u32_e32 v90, 3, v36
	s_delay_alu instid0(VALU_DEP_3) | instskip(SKIP_2) | instid1(VALU_DEP_2)
	v_cndmask_b32_e64 v1, 0, v1, s1
	v_cmp_gt_i32_e64 s1, s15, v5
	v_add_nc_u32_e32 v5, 4, v36
	v_cndmask_b32_e64 v6, 0, v6, s1
	v_cmp_gt_i32_e64 s1, s15, v88
	v_add_nc_u32_e32 v88, 5, v36
	s_delay_alu instid0(VALU_DEP_2) | instskip(SKIP_2) | instid1(VALU_DEP_2)
	v_cndmask_b32_e64 v2, 0, v2, s1
	v_cmp_gt_i32_e64 s1, s15, v90
	v_add_nc_u32_e32 v90, 6, v36
	v_cndmask_b32_e64 v89, 0, v89, s1
	v_cmp_gt_i32_e64 s1, s15, v5
	v_add_nc_u32_e32 v5, 7, v36
	s_delay_alu instid0(VALU_DEP_2) | instskip(SKIP_1) | instid1(VALU_DEP_1)
	v_cndmask_b32_e64 v3, 0, v3, s1
	v_cmp_gt_i32_e64 s1, s15, v88
	v_cndmask_b32_e64 v91, 0, v91, s1
	v_cmp_gt_i32_e64 s1, s15, v90
	s_delay_alu instid0(VALU_DEP_1) | instskip(SKIP_1) | instid1(VALU_DEP_1)
	v_cndmask_b32_e64 v4, 0, v4, s1
	v_cmp_gt_i32_e64 s1, s15, v5
	v_cndmask_b32_e64 v93, 0, v93, s1
.LBB164_282:                            ;   in Loop: Header=BB164_43 Depth=1
	s_or_b32 exec_lo, exec_lo, s17
	v_lshlrev_b32_e32 v1, 16, v1
	s_delay_alu instid0(VALU_DEP_1) | instskip(NEXT) | instid1(VALU_DEP_1)
	v_mul_f32_e32 v1, v40, v1
	v_and_b32_e32 v5, 0x7f800000, v1
	s_delay_alu instid0(VALU_DEP_1) | instskip(NEXT) | instid1(VALU_DEP_1)
	v_cmp_ne_u32_e64 s1, 0x7f800000, v5
                                        ; implicit-def: $vgpr5
	s_and_saveexec_b32 s17, s1
	s_delay_alu instid0(SALU_CYCLE_1)
	s_xor_b32 s1, exec_lo, s17
; %bb.283:                              ;   in Loop: Header=BB164_43 Depth=1
	v_bfe_u32 v5, v1, 16, 1
	s_delay_alu instid0(VALU_DEP_1)
	v_add3_u32 v5, v1, v5, 0x7fff
                                        ; implicit-def: $vgpr1
; %bb.284:                              ;   in Loop: Header=BB164_43 Depth=1
	s_and_not1_saveexec_b32 s17, s1
; %bb.285:                              ;   in Loop: Header=BB164_43 Depth=1
	v_and_b32_e32 v5, 0xffff, v1
	v_or_b32_e32 v88, 0x10000, v1
	s_delay_alu instid0(VALU_DEP_2) | instskip(NEXT) | instid1(VALU_DEP_1)
	v_cmp_eq_u32_e64 s1, 0, v5
	v_cndmask_b32_e64 v5, v88, v1, s1
; %bb.286:                              ;   in Loop: Header=BB164_43 Depth=1
	s_or_b32 exec_lo, exec_lo, s17
	v_lshlrev_b32_e32 v1, 16, v6
	s_delay_alu instid0(VALU_DEP_1) | instskip(NEXT) | instid1(VALU_DEP_1)
	v_mul_f32_e32 v1, v41, v1
	v_and_b32_e32 v6, 0x7f800000, v1
	s_delay_alu instid0(VALU_DEP_1) | instskip(NEXT) | instid1(VALU_DEP_1)
	v_cmp_ne_u32_e64 s1, 0x7f800000, v6
                                        ; implicit-def: $vgpr6
	s_and_saveexec_b32 s17, s1
	s_delay_alu instid0(SALU_CYCLE_1)
	s_xor_b32 s1, exec_lo, s17
; %bb.287:                              ;   in Loop: Header=BB164_43 Depth=1
	v_bfe_u32 v6, v1, 16, 1
	s_delay_alu instid0(VALU_DEP_1)
	v_add3_u32 v6, v1, v6, 0x7fff
                                        ; implicit-def: $vgpr1
; %bb.288:                              ;   in Loop: Header=BB164_43 Depth=1
	s_and_not1_saveexec_b32 s17, s1
; %bb.289:                              ;   in Loop: Header=BB164_43 Depth=1
	v_and_b32_e32 v6, 0xffff, v1
	v_or_b32_e32 v88, 0x10000, v1
	s_delay_alu instid0(VALU_DEP_2) | instskip(NEXT) | instid1(VALU_DEP_1)
	v_cmp_eq_u32_e64 s1, 0, v6
	v_cndmask_b32_e64 v6, v88, v1, s1
; %bb.290:                              ;   in Loop: Header=BB164_43 Depth=1
	s_or_b32 exec_lo, exec_lo, s17
	v_lshlrev_b32_e32 v1, 16, v2
                                        ; implicit-def: $vgpr88
	s_delay_alu instid0(VALU_DEP_1) | instskip(NEXT) | instid1(VALU_DEP_1)
	v_mul_f32_e32 v1, v42, v1
	v_and_b32_e32 v2, 0x7f800000, v1
	s_delay_alu instid0(VALU_DEP_1) | instskip(NEXT) | instid1(VALU_DEP_1)
	v_cmp_ne_u32_e64 s1, 0x7f800000, v2
	s_and_saveexec_b32 s17, s1
	s_delay_alu instid0(SALU_CYCLE_1)
	s_xor_b32 s1, exec_lo, s17
; %bb.291:                              ;   in Loop: Header=BB164_43 Depth=1
	v_bfe_u32 v2, v1, 16, 1
	s_delay_alu instid0(VALU_DEP_1)
	v_add3_u32 v88, v1, v2, 0x7fff
                                        ; implicit-def: $vgpr1
; %bb.292:                              ;   in Loop: Header=BB164_43 Depth=1
	s_and_not1_saveexec_b32 s17, s1
; %bb.293:                              ;   in Loop: Header=BB164_43 Depth=1
	v_and_b32_e32 v2, 0xffff, v1
	v_or_b32_e32 v88, 0x10000, v1
	s_delay_alu instid0(VALU_DEP_2) | instskip(NEXT) | instid1(VALU_DEP_1)
	v_cmp_eq_u32_e64 s1, 0, v2
	v_cndmask_b32_e64 v88, v88, v1, s1
; %bb.294:                              ;   in Loop: Header=BB164_43 Depth=1
	s_or_b32 exec_lo, exec_lo, s17
	v_lshlrev_b32_e32 v1, 16, v89
                                        ; implicit-def: $vgpr89
	s_delay_alu instid0(VALU_DEP_1) | instskip(NEXT) | instid1(VALU_DEP_1)
	v_mul_f32_e32 v1, v43, v1
	v_and_b32_e32 v2, 0x7f800000, v1
	s_delay_alu instid0(VALU_DEP_1) | instskip(NEXT) | instid1(VALU_DEP_1)
	v_cmp_ne_u32_e64 s1, 0x7f800000, v2
	s_and_saveexec_b32 s17, s1
	s_delay_alu instid0(SALU_CYCLE_1)
	s_xor_b32 s1, exec_lo, s17
; %bb.295:                              ;   in Loop: Header=BB164_43 Depth=1
	v_bfe_u32 v2, v1, 16, 1
	s_delay_alu instid0(VALU_DEP_1)
	v_add3_u32 v89, v1, v2, 0x7fff
                                        ; implicit-def: $vgpr1
; %bb.296:                              ;   in Loop: Header=BB164_43 Depth=1
	s_and_not1_saveexec_b32 s17, s1
; %bb.297:                              ;   in Loop: Header=BB164_43 Depth=1
	v_and_b32_e32 v2, 0xffff, v1
	v_or_b32_e32 v89, 0x10000, v1
	s_delay_alu instid0(VALU_DEP_2) | instskip(NEXT) | instid1(VALU_DEP_1)
	v_cmp_eq_u32_e64 s1, 0, v2
	v_cndmask_b32_e64 v89, v89, v1, s1
; %bb.298:                              ;   in Loop: Header=BB164_43 Depth=1
	s_or_b32 exec_lo, exec_lo, s17
	v_lshlrev_b32_e32 v1, 16, v3
                                        ; implicit-def: $vgpr90
	s_delay_alu instid0(VALU_DEP_1) | instskip(NEXT) | instid1(VALU_DEP_1)
	v_mul_f32_e32 v1, v44, v1
	v_and_b32_e32 v2, 0x7f800000, v1
	s_delay_alu instid0(VALU_DEP_1) | instskip(NEXT) | instid1(VALU_DEP_1)
	v_cmp_ne_u32_e64 s1, 0x7f800000, v2
	s_and_saveexec_b32 s17, s1
	s_delay_alu instid0(SALU_CYCLE_1)
	s_xor_b32 s1, exec_lo, s17
; %bb.299:                              ;   in Loop: Header=BB164_43 Depth=1
	v_bfe_u32 v2, v1, 16, 1
	s_delay_alu instid0(VALU_DEP_1)
	v_add3_u32 v90, v1, v2, 0x7fff
                                        ; implicit-def: $vgpr1
; %bb.300:                              ;   in Loop: Header=BB164_43 Depth=1
	s_and_not1_saveexec_b32 s17, s1
; %bb.301:                              ;   in Loop: Header=BB164_43 Depth=1
	v_and_b32_e32 v2, 0xffff, v1
	v_or_b32_e32 v3, 0x10000, v1
	s_delay_alu instid0(VALU_DEP_2) | instskip(NEXT) | instid1(VALU_DEP_1)
	v_cmp_eq_u32_e64 s1, 0, v2
	v_cndmask_b32_e64 v90, v3, v1, s1
; %bb.302:                              ;   in Loop: Header=BB164_43 Depth=1
	s_or_b32 exec_lo, exec_lo, s17
	v_lshlrev_b32_e32 v1, 16, v91
                                        ; implicit-def: $vgpr91
	s_delay_alu instid0(VALU_DEP_1) | instskip(NEXT) | instid1(VALU_DEP_1)
	v_mul_f32_e32 v1, v45, v1
	v_and_b32_e32 v2, 0x7f800000, v1
	s_delay_alu instid0(VALU_DEP_1) | instskip(NEXT) | instid1(VALU_DEP_1)
	v_cmp_ne_u32_e64 s1, 0x7f800000, v2
	s_and_saveexec_b32 s17, s1
	s_delay_alu instid0(SALU_CYCLE_1)
	s_xor_b32 s1, exec_lo, s17
; %bb.303:                              ;   in Loop: Header=BB164_43 Depth=1
	v_bfe_u32 v2, v1, 16, 1
	s_delay_alu instid0(VALU_DEP_1)
	v_add3_u32 v91, v1, v2, 0x7fff
                                        ; implicit-def: $vgpr1
; %bb.304:                              ;   in Loop: Header=BB164_43 Depth=1
	s_and_not1_saveexec_b32 s17, s1
; %bb.305:                              ;   in Loop: Header=BB164_43 Depth=1
	v_and_b32_e32 v2, 0xffff, v1
	v_or_b32_e32 v3, 0x10000, v1
	s_delay_alu instid0(VALU_DEP_2) | instskip(NEXT) | instid1(VALU_DEP_1)
	v_cmp_eq_u32_e64 s1, 0, v2
	v_cndmask_b32_e64 v91, v3, v1, s1
; %bb.306:                              ;   in Loop: Header=BB164_43 Depth=1
	s_or_b32 exec_lo, exec_lo, s17
	v_lshlrev_b32_e32 v1, 16, v4
                                        ; implicit-def: $vgpr92
	s_delay_alu instid0(VALU_DEP_1) | instskip(NEXT) | instid1(VALU_DEP_1)
	v_mul_f32_e32 v1, v46, v1
	v_and_b32_e32 v2, 0x7f800000, v1
	s_delay_alu instid0(VALU_DEP_1) | instskip(NEXT) | instid1(VALU_DEP_1)
	v_cmp_ne_u32_e64 s1, 0x7f800000, v2
	s_and_saveexec_b32 s17, s1
	s_delay_alu instid0(SALU_CYCLE_1)
	s_xor_b32 s1, exec_lo, s17
; %bb.307:                              ;   in Loop: Header=BB164_43 Depth=1
	v_bfe_u32 v2, v1, 16, 1
	s_delay_alu instid0(VALU_DEP_1)
	v_add3_u32 v92, v1, v2, 0x7fff
                                        ; implicit-def: $vgpr1
; %bb.308:                              ;   in Loop: Header=BB164_43 Depth=1
	s_and_not1_saveexec_b32 s17, s1
; %bb.309:                              ;   in Loop: Header=BB164_43 Depth=1
	v_and_b32_e32 v2, 0xffff, v1
	v_or_b32_e32 v3, 0x10000, v1
	s_delay_alu instid0(VALU_DEP_2) | instskip(NEXT) | instid1(VALU_DEP_1)
	v_cmp_eq_u32_e64 s1, 0, v2
	v_cndmask_b32_e64 v92, v3, v1, s1
; %bb.310:                              ;   in Loop: Header=BB164_43 Depth=1
	s_or_b32 exec_lo, exec_lo, s17
	v_lshlrev_b32_e32 v1, 16, v93
                                        ; implicit-def: $vgpr93
	s_delay_alu instid0(VALU_DEP_1) | instskip(NEXT) | instid1(VALU_DEP_1)
	v_mul_f32_e32 v1, v47, v1
	v_and_b32_e32 v2, 0x7f800000, v1
	s_delay_alu instid0(VALU_DEP_1) | instskip(NEXT) | instid1(VALU_DEP_1)
	v_cmp_ne_u32_e64 s1, 0x7f800000, v2
	s_and_saveexec_b32 s17, s1
	s_delay_alu instid0(SALU_CYCLE_1)
	s_xor_b32 s1, exec_lo, s17
	s_cbranch_execnz .LBB164_313
; %bb.311:                              ;   in Loop: Header=BB164_43 Depth=1
	s_and_not1_saveexec_b32 s17, s1
	s_cbranch_execnz .LBB164_314
.LBB164_312:                            ;   in Loop: Header=BB164_43 Depth=1
	s_or_b32 exec_lo, exec_lo, s17
	s_and_saveexec_b32 s17, vcc_lo
	s_cbranch_execz .LBB164_41
	s_branch .LBB164_315
.LBB164_313:                            ;   in Loop: Header=BB164_43 Depth=1
	v_bfe_u32 v2, v1, 16, 1
	s_delay_alu instid0(VALU_DEP_1)
	v_add3_u32 v93, v1, v2, 0x7fff
                                        ; implicit-def: $vgpr1
	s_and_not1_saveexec_b32 s17, s1
	s_cbranch_execz .LBB164_312
.LBB164_314:                            ;   in Loop: Header=BB164_43 Depth=1
	v_and_b32_e32 v2, 0xffff, v1
	v_or_b32_e32 v3, 0x10000, v1
	s_delay_alu instid0(VALU_DEP_2) | instskip(NEXT) | instid1(VALU_DEP_1)
	v_cmp_eq_u32_e64 s1, 0, v2
	v_cndmask_b32_e64 v93, v3, v1, s1
	s_or_b32 exec_lo, exec_lo, s17
	s_and_saveexec_b32 s17, vcc_lo
	s_cbranch_execz .LBB164_41
.LBB164_315:                            ;   in Loop: Header=BB164_43 Depth=1
	v_add_co_u32 v1, s1, v38, v29
	s_delay_alu instid0(VALU_DEP_1)
	v_add_co_ci_u32_e64 v2, s1, 0, v39, s1
	global_load_b128 v[1:4], v[1:2], off
	s_waitcnt vmcnt(0)
	v_lshrrev_b32_e32 v95, 16, v1
	v_lshrrev_b32_e32 v94, 16, v2
	;; [unrolled: 1-line block ×4, first 2 shown]
	s_and_saveexec_b32 s1, s0
	s_cbranch_execz .LBB164_317
; %bb.316:                              ;   in Loop: Header=BB164_43 Depth=1
	v_add_nc_u32_e32 v96, 1, v36
	v_cmp_gt_i32_e64 s0, s15, v36
	v_add_nc_u32_e32 v97, 2, v36
	v_add_nc_u32_e32 v98, 3, v36
	s_delay_alu instid0(VALU_DEP_3) | instskip(SKIP_2) | instid1(VALU_DEP_2)
	v_cndmask_b32_e64 v1, 0, v1, s0
	v_cmp_gt_i32_e64 s0, s15, v96
	v_add_nc_u32_e32 v96, 4, v36
	v_cndmask_b32_e64 v95, 0, v95, s0
	v_cmp_gt_i32_e64 s0, s15, v97
	v_add_nc_u32_e32 v97, 5, v36
	s_delay_alu instid0(VALU_DEP_2) | instskip(SKIP_3) | instid1(VALU_DEP_3)
	v_cndmask_b32_e64 v2, 0, v2, s0
	v_cmp_gt_i32_e64 s0, s15, v98
	v_add_nc_u32_e32 v98, 6, v36
	v_add_nc_u32_e32 v36, 7, v36
	v_cndmask_b32_e64 v94, 0, v94, s0
	v_cmp_gt_i32_e64 s0, s15, v96
	s_delay_alu instid0(VALU_DEP_1) | instskip(SKIP_1) | instid1(VALU_DEP_1)
	v_cndmask_b32_e64 v3, 0, v3, s0
	v_cmp_gt_i32_e64 s0, s15, v97
	v_cndmask_b32_e64 v39, 0, v39, s0
	v_cmp_gt_i32_e64 s0, s15, v98
	s_delay_alu instid0(VALU_DEP_1) | instskip(SKIP_1) | instid1(VALU_DEP_1)
	v_cndmask_b32_e64 v4, 0, v4, s0
	v_cmp_gt_i32_e64 s0, s15, v36
	v_cndmask_b32_e64 v38, 0, v38, s0
.LBB164_317:                            ;   in Loop: Header=BB164_43 Depth=1
	s_or_b32 exec_lo, exec_lo, s1
	v_lshlrev_b32_e32 v1, 16, v1
	s_delay_alu instid0(VALU_DEP_1) | instskip(NEXT) | instid1(VALU_DEP_1)
	v_mul_f32_e32 v36, v40, v1
	v_and_b32_e32 v1, 0x7f800000, v36
	s_delay_alu instid0(VALU_DEP_1) | instskip(NEXT) | instid1(VALU_DEP_1)
	v_cmp_ne_u32_e64 s0, 0x7f800000, v1
                                        ; implicit-def: $vgpr1
	s_and_saveexec_b32 s1, s0
	s_delay_alu instid0(SALU_CYCLE_1)
	s_xor_b32 s0, exec_lo, s1
; %bb.318:                              ;   in Loop: Header=BB164_43 Depth=1
	v_bfe_u32 v1, v36, 16, 1
	s_delay_alu instid0(VALU_DEP_1)
	v_add3_u32 v1, v36, v1, 0x7fff
                                        ; implicit-def: $vgpr36
; %bb.319:                              ;   in Loop: Header=BB164_43 Depth=1
	s_and_not1_saveexec_b32 s1, s0
; %bb.320:                              ;   in Loop: Header=BB164_43 Depth=1
	v_and_b32_e32 v1, 0xffff, v36
	v_or_b32_e32 v40, 0x10000, v36
	s_delay_alu instid0(VALU_DEP_2) | instskip(NEXT) | instid1(VALU_DEP_1)
	v_cmp_eq_u32_e64 s0, 0, v1
	v_cndmask_b32_e64 v1, v40, v36, s0
; %bb.321:                              ;   in Loop: Header=BB164_43 Depth=1
	s_or_b32 exec_lo, exec_lo, s1
	v_lshlrev_b32_e32 v36, 16, v95
	s_delay_alu instid0(VALU_DEP_1) | instskip(NEXT) | instid1(VALU_DEP_1)
	v_mul_f32_e32 v40, v41, v36
	v_and_b32_e32 v36, 0x7f800000, v40
	s_delay_alu instid0(VALU_DEP_1) | instskip(NEXT) | instid1(VALU_DEP_1)
	v_cmp_ne_u32_e64 s0, 0x7f800000, v36
                                        ; implicit-def: $vgpr36
	s_and_saveexec_b32 s1, s0
	s_delay_alu instid0(SALU_CYCLE_1)
	s_xor_b32 s0, exec_lo, s1
; %bb.322:                              ;   in Loop: Header=BB164_43 Depth=1
	v_bfe_u32 v36, v40, 16, 1
	s_delay_alu instid0(VALU_DEP_1)
	v_add3_u32 v36, v40, v36, 0x7fff
                                        ; implicit-def: $vgpr40
; %bb.323:                              ;   in Loop: Header=BB164_43 Depth=1
	s_and_not1_saveexec_b32 s1, s0
; %bb.324:                              ;   in Loop: Header=BB164_43 Depth=1
	v_and_b32_e32 v36, 0xffff, v40
	v_or_b32_e32 v41, 0x10000, v40
	s_delay_alu instid0(VALU_DEP_2) | instskip(NEXT) | instid1(VALU_DEP_1)
	v_cmp_eq_u32_e64 s0, 0, v36
	v_cndmask_b32_e64 v36, v41, v40, s0
; %bb.325:                              ;   in Loop: Header=BB164_43 Depth=1
	s_or_b32 exec_lo, exec_lo, s1
	v_lshlrev_b32_e32 v2, 16, v2
	s_delay_alu instid0(VALU_DEP_1) | instskip(NEXT) | instid1(VALU_DEP_1)
	v_mul_f32_e32 v40, v42, v2
	v_and_b32_e32 v2, 0x7f800000, v40
	s_delay_alu instid0(VALU_DEP_1) | instskip(NEXT) | instid1(VALU_DEP_1)
	v_cmp_ne_u32_e64 s0, 0x7f800000, v2
                                        ; implicit-def: $vgpr2
	s_and_saveexec_b32 s1, s0
	s_delay_alu instid0(SALU_CYCLE_1)
	s_xor_b32 s0, exec_lo, s1
; %bb.326:                              ;   in Loop: Header=BB164_43 Depth=1
	v_bfe_u32 v2, v40, 16, 1
	s_delay_alu instid0(VALU_DEP_1)
	v_add3_u32 v2, v40, v2, 0x7fff
                                        ; implicit-def: $vgpr40
; %bb.327:                              ;   in Loop: Header=BB164_43 Depth=1
	s_and_not1_saveexec_b32 s1, s0
; %bb.328:                              ;   in Loop: Header=BB164_43 Depth=1
	v_and_b32_e32 v2, 0xffff, v40
	v_or_b32_e32 v41, 0x10000, v40
	s_delay_alu instid0(VALU_DEP_2) | instskip(NEXT) | instid1(VALU_DEP_1)
	v_cmp_eq_u32_e64 s0, 0, v2
	v_cndmask_b32_e64 v2, v41, v40, s0
; %bb.329:                              ;   in Loop: Header=BB164_43 Depth=1
	s_or_b32 exec_lo, exec_lo, s1
	v_lshlrev_b32_e32 v40, 16, v94
	s_delay_alu instid0(VALU_DEP_1) | instskip(NEXT) | instid1(VALU_DEP_1)
	v_mul_f32_e32 v41, v43, v40
	v_and_b32_e32 v40, 0x7f800000, v41
	s_delay_alu instid0(VALU_DEP_1) | instskip(NEXT) | instid1(VALU_DEP_1)
	v_cmp_ne_u32_e64 s0, 0x7f800000, v40
                                        ; implicit-def: $vgpr40
	s_and_saveexec_b32 s1, s0
	s_delay_alu instid0(SALU_CYCLE_1)
	s_xor_b32 s0, exec_lo, s1
; %bb.330:                              ;   in Loop: Header=BB164_43 Depth=1
	v_bfe_u32 v40, v41, 16, 1
	s_delay_alu instid0(VALU_DEP_1)
	v_add3_u32 v40, v41, v40, 0x7fff
                                        ; implicit-def: $vgpr41
; %bb.331:                              ;   in Loop: Header=BB164_43 Depth=1
	s_and_not1_saveexec_b32 s1, s0
; %bb.332:                              ;   in Loop: Header=BB164_43 Depth=1
	v_and_b32_e32 v40, 0xffff, v41
	v_or_b32_e32 v42, 0x10000, v41
	s_delay_alu instid0(VALU_DEP_2) | instskip(NEXT) | instid1(VALU_DEP_1)
	v_cmp_eq_u32_e64 s0, 0, v40
	v_cndmask_b32_e64 v40, v42, v41, s0
; %bb.333:                              ;   in Loop: Header=BB164_43 Depth=1
	s_or_b32 exec_lo, exec_lo, s1
	v_lshlrev_b32_e32 v3, 16, v3
	s_delay_alu instid0(VALU_DEP_1) | instskip(NEXT) | instid1(VALU_DEP_1)
	v_mul_f32_e32 v41, v44, v3
	v_and_b32_e32 v3, 0x7f800000, v41
	s_delay_alu instid0(VALU_DEP_1) | instskip(NEXT) | instid1(VALU_DEP_1)
	v_cmp_ne_u32_e64 s0, 0x7f800000, v3
                                        ; implicit-def: $vgpr3
	s_and_saveexec_b32 s1, s0
	s_delay_alu instid0(SALU_CYCLE_1)
	s_xor_b32 s0, exec_lo, s1
; %bb.334:                              ;   in Loop: Header=BB164_43 Depth=1
	v_bfe_u32 v3, v41, 16, 1
	s_delay_alu instid0(VALU_DEP_1)
	v_add3_u32 v3, v41, v3, 0x7fff
                                        ; implicit-def: $vgpr41
; %bb.335:                              ;   in Loop: Header=BB164_43 Depth=1
	s_and_not1_saveexec_b32 s1, s0
; %bb.336:                              ;   in Loop: Header=BB164_43 Depth=1
	v_and_b32_e32 v3, 0xffff, v41
	v_or_b32_e32 v42, 0x10000, v41
	s_delay_alu instid0(VALU_DEP_2) | instskip(NEXT) | instid1(VALU_DEP_1)
	v_cmp_eq_u32_e64 s0, 0, v3
	v_cndmask_b32_e64 v3, v42, v41, s0
; %bb.337:                              ;   in Loop: Header=BB164_43 Depth=1
	s_or_b32 exec_lo, exec_lo, s1
	v_lshlrev_b32_e32 v39, 16, v39
	s_delay_alu instid0(VALU_DEP_1) | instskip(NEXT) | instid1(VALU_DEP_1)
	v_mul_f32_e32 v41, v45, v39
	v_and_b32_e32 v39, 0x7f800000, v41
	s_delay_alu instid0(VALU_DEP_1) | instskip(NEXT) | instid1(VALU_DEP_1)
	v_cmp_ne_u32_e64 s0, 0x7f800000, v39
                                        ; implicit-def: $vgpr39
	s_and_saveexec_b32 s1, s0
	s_delay_alu instid0(SALU_CYCLE_1)
	s_xor_b32 s0, exec_lo, s1
; %bb.338:                              ;   in Loop: Header=BB164_43 Depth=1
	v_bfe_u32 v39, v41, 16, 1
	s_delay_alu instid0(VALU_DEP_1)
	v_add3_u32 v39, v41, v39, 0x7fff
                                        ; implicit-def: $vgpr41
; %bb.339:                              ;   in Loop: Header=BB164_43 Depth=1
	s_and_not1_saveexec_b32 s1, s0
; %bb.340:                              ;   in Loop: Header=BB164_43 Depth=1
	v_and_b32_e32 v39, 0xffff, v41
	v_or_b32_e32 v42, 0x10000, v41
	s_delay_alu instid0(VALU_DEP_2) | instskip(NEXT) | instid1(VALU_DEP_1)
	v_cmp_eq_u32_e64 s0, 0, v39
	v_cndmask_b32_e64 v39, v42, v41, s0
; %bb.341:                              ;   in Loop: Header=BB164_43 Depth=1
	s_or_b32 exec_lo, exec_lo, s1
	v_lshlrev_b32_e32 v4, 16, v4
	s_delay_alu instid0(VALU_DEP_1) | instskip(NEXT) | instid1(VALU_DEP_1)
	v_mul_f32_e32 v41, v46, v4
	v_and_b32_e32 v4, 0x7f800000, v41
	s_delay_alu instid0(VALU_DEP_1) | instskip(NEXT) | instid1(VALU_DEP_1)
	v_cmp_ne_u32_e64 s0, 0x7f800000, v4
                                        ; implicit-def: $vgpr4
	s_and_saveexec_b32 s1, s0
	s_delay_alu instid0(SALU_CYCLE_1)
	s_xor_b32 s0, exec_lo, s1
; %bb.342:                              ;   in Loop: Header=BB164_43 Depth=1
	v_bfe_u32 v4, v41, 16, 1
	s_delay_alu instid0(VALU_DEP_1)
	v_add3_u32 v4, v41, v4, 0x7fff
                                        ; implicit-def: $vgpr41
; %bb.343:                              ;   in Loop: Header=BB164_43 Depth=1
	s_and_not1_saveexec_b32 s1, s0
; %bb.344:                              ;   in Loop: Header=BB164_43 Depth=1
	v_and_b32_e32 v4, 0xffff, v41
	v_or_b32_e32 v42, 0x10000, v41
	s_delay_alu instid0(VALU_DEP_2) | instskip(NEXT) | instid1(VALU_DEP_1)
	v_cmp_eq_u32_e64 s0, 0, v4
	v_cndmask_b32_e64 v4, v42, v41, s0
; %bb.345:                              ;   in Loop: Header=BB164_43 Depth=1
	s_or_b32 exec_lo, exec_lo, s1
	v_lshlrev_b32_e32 v38, 16, v38
	s_delay_alu instid0(VALU_DEP_1) | instskip(NEXT) | instid1(VALU_DEP_1)
	v_mul_f32_e32 v41, v47, v38
	v_and_b32_e32 v38, 0x7f800000, v41
	s_delay_alu instid0(VALU_DEP_1) | instskip(NEXT) | instid1(VALU_DEP_1)
	v_cmp_ne_u32_e64 s0, 0x7f800000, v38
                                        ; implicit-def: $vgpr38
	s_and_saveexec_b32 s1, s0
	s_delay_alu instid0(SALU_CYCLE_1)
	s_xor_b32 s0, exec_lo, s1
; %bb.346:                              ;   in Loop: Header=BB164_43 Depth=1
	v_bfe_u32 v38, v41, 16, 1
	s_delay_alu instid0(VALU_DEP_1)
	v_add3_u32 v38, v41, v38, 0x7fff
                                        ; implicit-def: $vgpr41
; %bb.347:                              ;   in Loop: Header=BB164_43 Depth=1
	s_and_not1_saveexec_b32 s1, s0
	s_cbranch_execz .LBB164_40
; %bb.348:                              ;   in Loop: Header=BB164_43 Depth=1
	v_and_b32_e32 v38, 0xffff, v41
	v_or_b32_e32 v42, 0x10000, v41
	s_delay_alu instid0(VALU_DEP_2) | instskip(NEXT) | instid1(VALU_DEP_1)
	v_cmp_eq_u32_e64 s0, 0, v38
	v_cndmask_b32_e64 v38, v42, v41, s0
	s_branch .LBB164_40
.LBB164_349:
	s_or_b32 exec_lo, exec_lo, s5
.LBB164_350:
	s_delay_alu instid0(SALU_CYCLE_1)
	s_or_b32 exec_lo, exec_lo, s2
	ds_bpermute_b32 v1, v17, v18
	ds_bpermute_b32 v2, v17, v24
	;; [unrolled: 1-line block ×8, first 2 shown]
	s_movk_i32 s0, 0x1e0
	v_cmp_eq_u32_e32 vcc_lo, 0, v13
	v_and_b32_e32 v13, 0x3c0, v0
	v_mad_u32_u24 v9, v14, s0, 0x110
	s_mov_b32 s1, exec_lo
	s_waitcnt lgkmcnt(0)
	s_waitcnt_vscnt null, 0x0
	s_barrier
	buffer_gl0_inv
	v_add_f32_e32 v8, v18, v1
	v_dual_add_f32 v6, v24, v2 :: v_dual_add_f32 v5, v23, v3
	v_dual_add_f32 v4, v22, v4 :: v_dual_add_f32 v3, v20, v7
	;; [unrolled: 1-line block ×3, first 2 shown]
	v_add_f32_e32 v7, v25, v15
	v_cmpx_eq_u32_e32 64, v13
	s_cbranch_execz .LBB164_355
; %bb.351:
	v_add_nc_u32_e32 v10, 0xfffffc40, v9
	s_delay_alu instid0(VALU_DEP_1)
	v_lshl_add_u32 v10, v16, 2, v10
	s_and_saveexec_b32 s0, vcc_lo
	s_cbranch_execz .LBB164_353
; %bb.352:
	ds_store_2addr_b32 v10, v8, v6 offset1:16
	ds_store_2addr_b32 v10, v5, v4 offset0:32 offset1:48
	ds_store_2addr_b32 v10, v3, v2 offset0:64 offset1:80
	ds_store_b32 v10, v1 offset:384
.LBB164_353:
	s_or_b32 exec_lo, exec_lo, s0
	v_or_b32_e32 v11, 0x70, v16
	s_delay_alu instid0(VALU_DEP_1) | instskip(NEXT) | instid1(VALU_DEP_1)
	v_cmp_gt_u32_e64 s0, 0x78, v11
	s_and_b32 s0, vcc_lo, s0
	s_delay_alu instid0(SALU_CYCLE_1)
	s_and_b32 exec_lo, exec_lo, s0
	s_cbranch_execz .LBB164_355
; %bb.354:
	ds_store_b32 v10, v7 offset:448
.LBB164_355:
	s_or_b32 exec_lo, exec_lo, s1
	s_delay_alu instid0(SALU_CYCLE_1)
	s_mov_b32 s1, exec_lo
	s_waitcnt lgkmcnt(0)
	s_barrier
	buffer_gl0_inv
	v_cmpx_gt_u32_e32 64, v0
	s_cbranch_execz .LBB164_367
; %bb.356:
	s_and_saveexec_b32 s0, vcc_lo
	s_cbranch_execnz .LBB164_434
; %bb.357:
	s_or_b32 exec_lo, exec_lo, s0
	s_and_saveexec_b32 s0, vcc_lo
	s_cbranch_execnz .LBB164_435
.LBB164_358:
	s_or_b32 exec_lo, exec_lo, s0
	s_and_saveexec_b32 s0, vcc_lo
	s_cbranch_execnz .LBB164_436
.LBB164_359:
	s_or_b32 exec_lo, exec_lo, s0
	s_and_saveexec_b32 s0, vcc_lo
	s_cbranch_execnz .LBB164_437
.LBB164_360:
	s_or_b32 exec_lo, exec_lo, s0
	s_and_saveexec_b32 s0, vcc_lo
	s_cbranch_execnz .LBB164_438
.LBB164_361:
	s_or_b32 exec_lo, exec_lo, s0
	s_and_saveexec_b32 s0, vcc_lo
	s_cbranch_execnz .LBB164_439
.LBB164_362:
	s_or_b32 exec_lo, exec_lo, s0
	s_and_saveexec_b32 s0, vcc_lo
	s_cbranch_execz .LBB164_364
.LBB164_363:
	v_lshl_add_u32 v10, v16, 2, v9
	ds_load_b32 v10, v10 offset:384
	s_waitcnt lgkmcnt(0)
	v_add_f32_e32 v1, v1, v10
.LBB164_364:
	s_or_b32 exec_lo, exec_lo, s0
	v_or_b32_e32 v10, 0x70, v16
	s_delay_alu instid0(VALU_DEP_1) | instskip(NEXT) | instid1(VALU_DEP_1)
	v_cmp_gt_u32_e64 s0, 0x78, v10
	s_and_b32 s2, vcc_lo, s0
	s_delay_alu instid0(SALU_CYCLE_1)
	s_and_saveexec_b32 s0, s2
	s_cbranch_execz .LBB164_366
; %bb.365:
	v_lshl_add_u32 v10, v16, 2, v9
	ds_load_b32 v10, v10 offset:448
	s_waitcnt lgkmcnt(0)
	v_add_f32_e32 v7, v7, v10
.LBB164_366:
	s_or_b32 exec_lo, exec_lo, s0
.LBB164_367:
	s_delay_alu instid0(SALU_CYCLE_1)
	s_or_b32 exec_lo, exec_lo, s1
	v_and_b32_e32 v10, 0x3e0, v0
	s_mov_b32 s1, exec_lo
	s_barrier
	buffer_gl0_inv
	v_cmpx_eq_u32_e32 32, v10
	s_cbranch_execz .LBB164_372
; %bb.368:
	v_add_nc_u32_e32 v10, 0xfffffe20, v9
	s_delay_alu instid0(VALU_DEP_1)
	v_lshl_add_u32 v10, v16, 2, v10
	s_and_saveexec_b32 s0, vcc_lo
	s_cbranch_execz .LBB164_370
; %bb.369:
	ds_store_2addr_b32 v10, v8, v6 offset1:16
	ds_store_2addr_b32 v10, v5, v4 offset0:32 offset1:48
	ds_store_2addr_b32 v10, v3, v2 offset0:64 offset1:80
	ds_store_b32 v10, v1 offset:384
.LBB164_370:
	s_or_b32 exec_lo, exec_lo, s0
	v_or_b32_e32 v11, 0x70, v16
	s_delay_alu instid0(VALU_DEP_1) | instskip(NEXT) | instid1(VALU_DEP_1)
	v_cmp_gt_u32_e64 s0, 0x78, v11
	s_and_b32 s0, vcc_lo, s0
	s_delay_alu instid0(SALU_CYCLE_1)
	s_and_b32 exec_lo, exec_lo, s0
	s_cbranch_execz .LBB164_372
; %bb.371:
	ds_store_b32 v10, v7 offset:448
.LBB164_372:
	s_or_b32 exec_lo, exec_lo, s1
	v_cmp_gt_u32_e64 s0, 32, v0
	s_waitcnt lgkmcnt(0)
	s_barrier
	buffer_gl0_inv
	s_and_saveexec_b32 s2, s0
	s_cbranch_execz .LBB164_384
; %bb.373:
	v_lshl_add_u32 v0, v16, 2, v9
	s_and_saveexec_b32 s1, vcc_lo
	s_cbranch_execnz .LBB164_440
; %bb.374:
	s_or_b32 exec_lo, exec_lo, s1
	s_and_saveexec_b32 s1, vcc_lo
	s_cbranch_execnz .LBB164_441
.LBB164_375:
	s_or_b32 exec_lo, exec_lo, s1
	s_and_saveexec_b32 s1, vcc_lo
	s_cbranch_execnz .LBB164_442
.LBB164_376:
	s_or_b32 exec_lo, exec_lo, s1
	s_and_saveexec_b32 s1, vcc_lo
	s_cbranch_execnz .LBB164_443
.LBB164_377:
	s_or_b32 exec_lo, exec_lo, s1
	s_and_saveexec_b32 s1, vcc_lo
	s_cbranch_execnz .LBB164_444
.LBB164_378:
	s_or_b32 exec_lo, exec_lo, s1
	s_and_saveexec_b32 s1, vcc_lo
	s_cbranch_execnz .LBB164_445
.LBB164_379:
	s_or_b32 exec_lo, exec_lo, s1
	s_and_saveexec_b32 s1, vcc_lo
	s_cbranch_execz .LBB164_381
.LBB164_380:
	ds_load_b32 v9, v0 offset:384
	s_waitcnt lgkmcnt(0)
	v_add_f32_e32 v1, v1, v9
.LBB164_381:
	s_or_b32 exec_lo, exec_lo, s1
	v_or_b32_e32 v9, 0x70, v16
	s_delay_alu instid0(VALU_DEP_1) | instskip(NEXT) | instid1(VALU_DEP_1)
	v_cmp_gt_u32_e64 s1, 0x78, v9
	s_and_b32 s3, vcc_lo, s1
	s_delay_alu instid0(SALU_CYCLE_1)
	s_and_saveexec_b32 s1, s3
	s_cbranch_execz .LBB164_383
; %bb.382:
	ds_load_b32 v0, v0 offset:448
	s_waitcnt lgkmcnt(0)
	v_add_f32_e32 v7, v7, v0
.LBB164_383:
	s_or_b32 exec_lo, exec_lo, s1
.LBB164_384:
	s_delay_alu instid0(SALU_CYCLE_1)
	s_or_b32 exec_lo, exec_lo, s2
	s_barrier
	buffer_gl0_inv
	s_and_saveexec_b32 s1, s0
	s_cbranch_execz .LBB164_433
; %bb.385:
	s_mul_i32 s0, s6, 0x78
	s_mul_i32 s2, s4, s20
	s_ashr_i32 s1, s0, 31
	s_delay_alu instid0(SALU_CYCLE_1) | instskip(NEXT) | instid1(SALU_CYCLE_1)
	s_lshl_b64 s[0:1], s[0:1], 1
	s_add_u32 s4, s22, s0
	s_addc_u32 s5, s23, s1
	s_ashr_i32 s3, s2, 31
	s_delay_alu instid0(SALU_CYCLE_1) | instskip(SKIP_4) | instid1(SALU_CYCLE_1)
	s_lshl_b64 s[0:1], s[2:3], 1
	s_mul_i32 s2, s12, 0x78
	s_add_u32 s4, s4, s0
	s_addc_u32 s5, s5, s1
	s_ashr_i32 s3, s2, 31
	s_lshl_b64 s[0:1], s[2:3], 1
	s_delay_alu instid0(SALU_CYCLE_1)
	s_add_u32 s2, s4, s0
	s_addc_u32 s3, s5, s1
	s_and_saveexec_b32 s1, vcc_lo
	s_cbranch_execz .LBB164_391
; %bb.386:
	v_and_b32_e32 v0, 0x7f800000, v8
	s_delay_alu instid0(VALU_DEP_1) | instskip(NEXT) | instid1(VALU_DEP_1)
	v_cmp_ne_u32_e64 s0, 0x7f800000, v0
                                        ; implicit-def: $vgpr0
	s_and_saveexec_b32 s4, s0
	s_delay_alu instid0(SALU_CYCLE_1)
	s_xor_b32 s0, exec_lo, s4
; %bb.387:
	v_bfe_u32 v0, v8, 16, 1
	s_delay_alu instid0(VALU_DEP_1)
	v_add3_u32 v0, v8, v0, 0x7fff
; %bb.388:
	s_and_not1_saveexec_b32 s4, s0
; %bb.389:
	v_and_b32_e32 v0, 0xffff, v8
	v_or_b32_e32 v9, 0x10000, v8
	s_delay_alu instid0(VALU_DEP_2) | instskip(NEXT) | instid1(VALU_DEP_1)
	v_cmp_eq_u32_e64 s0, 0, v0
	v_cndmask_b32_e64 v0, v9, v8, s0
; %bb.390:
	s_or_b32 exec_lo, exec_lo, s4
	v_lshlrev_b32_e32 v8, 1, v12
	global_store_d16_hi_b16 v8, v0, s[2:3]
.LBB164_391:
	s_or_b32 exec_lo, exec_lo, s1
	v_or_b32_e32 v0, 16, v12
	s_delay_alu instid0(VALU_DEP_1) | instskip(NEXT) | instid1(VALU_DEP_1)
	v_cmp_gt_u32_e64 s0, 0x78, v0
	s_and_b32 s0, vcc_lo, s0
	s_delay_alu instid0(SALU_CYCLE_1)
	s_and_saveexec_b32 s1, s0
	s_cbranch_execz .LBB164_397
; %bb.392:
	v_and_b32_e32 v0, 0x7f800000, v6
	s_delay_alu instid0(VALU_DEP_1) | instskip(NEXT) | instid1(VALU_DEP_1)
	v_cmp_ne_u32_e64 s0, 0x7f800000, v0
                                        ; implicit-def: $vgpr0
	s_and_saveexec_b32 s4, s0
	s_delay_alu instid0(SALU_CYCLE_1)
	s_xor_b32 s0, exec_lo, s4
; %bb.393:
	v_bfe_u32 v0, v6, 16, 1
	s_delay_alu instid0(VALU_DEP_1)
	v_add3_u32 v0, v6, v0, 0x7fff
; %bb.394:
	s_and_not1_saveexec_b32 s4, s0
; %bb.395:
	v_and_b32_e32 v0, 0xffff, v6
	v_or_b32_e32 v8, 0x10000, v6
	s_delay_alu instid0(VALU_DEP_2) | instskip(NEXT) | instid1(VALU_DEP_1)
	v_cmp_eq_u32_e64 s0, 0, v0
	v_cndmask_b32_e64 v0, v8, v6, s0
; %bb.396:
	s_or_b32 exec_lo, exec_lo, s4
	v_lshlrev_b32_e32 v6, 1, v12
	global_store_d16_hi_b16 v6, v0, s[2:3] offset:32
.LBB164_397:
	s_or_b32 exec_lo, exec_lo, s1
	v_or_b32_e32 v0, 32, v12
	s_delay_alu instid0(VALU_DEP_1) | instskip(NEXT) | instid1(VALU_DEP_1)
	v_cmp_gt_u32_e64 s0, 0x78, v0
	s_and_b32 s0, vcc_lo, s0
	s_delay_alu instid0(SALU_CYCLE_1)
	s_and_saveexec_b32 s1, s0
	s_cbranch_execz .LBB164_403
; %bb.398:
	v_and_b32_e32 v0, 0x7f800000, v5
	s_delay_alu instid0(VALU_DEP_1) | instskip(NEXT) | instid1(VALU_DEP_1)
	v_cmp_ne_u32_e64 s0, 0x7f800000, v0
                                        ; implicit-def: $vgpr0
	s_and_saveexec_b32 s4, s0
	s_delay_alu instid0(SALU_CYCLE_1)
	s_xor_b32 s0, exec_lo, s4
; %bb.399:
	v_bfe_u32 v0, v5, 16, 1
	s_delay_alu instid0(VALU_DEP_1)
	v_add3_u32 v0, v5, v0, 0x7fff
; %bb.400:
	s_and_not1_saveexec_b32 s4, s0
; %bb.401:
	v_and_b32_e32 v0, 0xffff, v5
	v_or_b32_e32 v6, 0x10000, v5
	s_delay_alu instid0(VALU_DEP_2) | instskip(NEXT) | instid1(VALU_DEP_1)
	v_cmp_eq_u32_e64 s0, 0, v0
	v_cndmask_b32_e64 v0, v6, v5, s0
; %bb.402:
	s_or_b32 exec_lo, exec_lo, s4
	v_lshlrev_b32_e32 v5, 1, v12
	global_store_d16_hi_b16 v5, v0, s[2:3] offset:64
.LBB164_403:
	;; [unrolled: 33-line block ×6, first 2 shown]
	s_or_b32 exec_lo, exec_lo, s1
	v_or_b32_e32 v0, 0x70, v12
	s_delay_alu instid0(VALU_DEP_1) | instskip(NEXT) | instid1(VALU_DEP_1)
	v_cmp_gt_u32_e64 s0, 0x78, v0
	s_and_b32 s0, vcc_lo, s0
	s_delay_alu instid0(SALU_CYCLE_1)
	s_and_b32 exec_lo, exec_lo, s0
	s_cbranch_execz .LBB164_433
; %bb.428:
	v_and_b32_e32 v0, 0x7f800000, v7
	s_mov_b32 s0, exec_lo
                                        ; implicit-def: $vgpr8
	s_delay_alu instid0(VALU_DEP_1)
	v_cmpx_ne_u32_e32 0x7f800000, v0
	s_xor_b32 s0, exec_lo, s0
; %bb.429:
	v_bfe_u32 v0, v7, 16, 1
	s_delay_alu instid0(VALU_DEP_1)
	v_add3_u32 v8, v7, v0, 0x7fff
                                        ; implicit-def: $vgpr0_vgpr1_vgpr2_vgpr3_vgpr4_vgpr5_vgpr6_vgpr7
; %bb.430:
	s_and_not1_saveexec_b32 s0, s0
; %bb.431:
	v_and_b32_e32 v0, 0xffff, v7
	v_or_b32_e32 v1, 0x10000, v7
	s_delay_alu instid0(VALU_DEP_2) | instskip(NEXT) | instid1(VALU_DEP_2)
	v_cmp_eq_u32_e32 vcc_lo, 0, v0
	v_cndmask_b32_e32 v8, v1, v7, vcc_lo
; %bb.432:
	s_or_b32 exec_lo, exec_lo, s0
	v_lshlrev_b32_e32 v0, 1, v12
	global_store_d16_hi_b16 v0, v8, s[2:3] offset:224
.LBB164_433:
	s_nop 0
	s_sendmsg sendmsg(MSG_DEALLOC_VGPRS)
	s_endpgm
.LBB164_434:
	v_lshl_add_u32 v10, v16, 2, v9
	ds_load_b32 v10, v10
	s_waitcnt lgkmcnt(0)
	v_add_f32_e32 v8, v8, v10
	s_or_b32 exec_lo, exec_lo, s0
	s_and_saveexec_b32 s0, vcc_lo
	s_cbranch_execz .LBB164_358
.LBB164_435:
	v_lshl_add_u32 v10, v16, 2, v9
	ds_load_b32 v10, v10 offset:64
	s_waitcnt lgkmcnt(0)
	v_add_f32_e32 v6, v6, v10
	s_or_b32 exec_lo, exec_lo, s0
	s_and_saveexec_b32 s0, vcc_lo
	s_cbranch_execz .LBB164_359
.LBB164_436:
	v_lshl_add_u32 v10, v16, 2, v9
	ds_load_b32 v10, v10 offset:128
	s_waitcnt lgkmcnt(0)
	v_add_f32_e32 v5, v5, v10
	s_or_b32 exec_lo, exec_lo, s0
	s_and_saveexec_b32 s0, vcc_lo
	s_cbranch_execz .LBB164_360
.LBB164_437:
	v_lshl_add_u32 v10, v16, 2, v9
	ds_load_b32 v10, v10 offset:192
	s_waitcnt lgkmcnt(0)
	v_add_f32_e32 v4, v4, v10
	s_or_b32 exec_lo, exec_lo, s0
	s_and_saveexec_b32 s0, vcc_lo
	s_cbranch_execz .LBB164_361
.LBB164_438:
	v_lshl_add_u32 v10, v16, 2, v9
	ds_load_b32 v10, v10 offset:256
	s_waitcnt lgkmcnt(0)
	v_add_f32_e32 v3, v3, v10
	s_or_b32 exec_lo, exec_lo, s0
	s_and_saveexec_b32 s0, vcc_lo
	s_cbranch_execz .LBB164_362
.LBB164_439:
	v_lshl_add_u32 v10, v16, 2, v9
	ds_load_b32 v10, v10 offset:320
	s_waitcnt lgkmcnt(0)
	v_add_f32_e32 v2, v2, v10
	s_or_b32 exec_lo, exec_lo, s0
	s_and_saveexec_b32 s0, vcc_lo
	s_cbranch_execnz .LBB164_363
	s_branch .LBB164_364
.LBB164_440:
	ds_load_b32 v9, v0
	s_waitcnt lgkmcnt(0)
	v_add_f32_e32 v8, v8, v9
	s_or_b32 exec_lo, exec_lo, s1
	s_and_saveexec_b32 s1, vcc_lo
	s_cbranch_execz .LBB164_375
.LBB164_441:
	ds_load_b32 v9, v0 offset:64
	s_waitcnt lgkmcnt(0)
	v_add_f32_e32 v6, v6, v9
	s_or_b32 exec_lo, exec_lo, s1
	s_and_saveexec_b32 s1, vcc_lo
	s_cbranch_execz .LBB164_376
.LBB164_442:
	ds_load_b32 v9, v0 offset:128
	s_waitcnt lgkmcnt(0)
	v_add_f32_e32 v5, v5, v9
	s_or_b32 exec_lo, exec_lo, s1
	s_and_saveexec_b32 s1, vcc_lo
	s_cbranch_execz .LBB164_377
.LBB164_443:
	ds_load_b32 v9, v0 offset:192
	s_waitcnt lgkmcnt(0)
	v_add_f32_e32 v4, v4, v9
	s_or_b32 exec_lo, exec_lo, s1
	s_and_saveexec_b32 s1, vcc_lo
	s_cbranch_execz .LBB164_378
.LBB164_444:
	ds_load_b32 v9, v0 offset:256
	s_waitcnt lgkmcnt(0)
	v_add_f32_e32 v3, v3, v9
	s_or_b32 exec_lo, exec_lo, s1
	s_and_saveexec_b32 s1, vcc_lo
	s_cbranch_execz .LBB164_379
.LBB164_445:
	ds_load_b32 v9, v0 offset:320
	s_waitcnt lgkmcnt(0)
	v_add_f32_e32 v2, v2, v9
	s_or_b32 exec_lo, exec_lo, s1
	s_and_saveexec_b32 s1, vcc_lo
	s_cbranch_execnz .LBB164_380
	s_branch .LBB164_381
	.section	.rodata,"a",@progbits
	.p2align	6, 0x0
	.amdhsa_kernel _ZN4vllm25paged_attention_v2_kernelI14__hip_bfloat16S1_Li120ELi16ELi128ELNS_18Fp8KVCacheDataTypeE0ELb1ELi512EEEvPfS3_PT_PKS4_PKT0_SA_ifPKiSC_iPKfiiiSE_SE_iiiii
		.amdhsa_group_segment_fixed_size 272
		.amdhsa_private_segment_fixed_size 0
		.amdhsa_kernarg_size 400
		.amdhsa_user_sgpr_count 13
		.amdhsa_user_sgpr_dispatch_ptr 0
		.amdhsa_user_sgpr_queue_ptr 0
		.amdhsa_user_sgpr_kernarg_segment_ptr 1
		.amdhsa_user_sgpr_dispatch_id 0
		.amdhsa_user_sgpr_private_segment_size 0
		.amdhsa_wavefront_size32 1
		.amdhsa_uses_dynamic_stack 0
		.amdhsa_enable_private_segment 0
		.amdhsa_system_sgpr_workgroup_id_x 1
		.amdhsa_system_sgpr_workgroup_id_y 1
		.amdhsa_system_sgpr_workgroup_id_z 1
		.amdhsa_system_sgpr_workgroup_info 0
		.amdhsa_system_vgpr_workitem_id 0
		.amdhsa_next_free_vgpr 131
		.amdhsa_next_free_sgpr 46
		.amdhsa_reserve_vcc 1
		.amdhsa_float_round_mode_32 0
		.amdhsa_float_round_mode_16_64 0
		.amdhsa_float_denorm_mode_32 3
		.amdhsa_float_denorm_mode_16_64 3
		.amdhsa_dx10_clamp 1
		.amdhsa_ieee_mode 1
		.amdhsa_fp16_overflow 0
		.amdhsa_workgroup_processor_mode 1
		.amdhsa_memory_ordered 1
		.amdhsa_forward_progress 0
		.amdhsa_shared_vgpr_count 0
		.amdhsa_exception_fp_ieee_invalid_op 0
		.amdhsa_exception_fp_denorm_src 0
		.amdhsa_exception_fp_ieee_div_zero 0
		.amdhsa_exception_fp_ieee_overflow 0
		.amdhsa_exception_fp_ieee_underflow 0
		.amdhsa_exception_fp_ieee_inexact 0
		.amdhsa_exception_int_div_zero 0
	.end_amdhsa_kernel
	.section	.text._ZN4vllm25paged_attention_v2_kernelI14__hip_bfloat16S1_Li120ELi16ELi128ELNS_18Fp8KVCacheDataTypeE0ELb1ELi512EEEvPfS3_PT_PKS4_PKT0_SA_ifPKiSC_iPKfiiiSE_SE_iiiii,"axG",@progbits,_ZN4vllm25paged_attention_v2_kernelI14__hip_bfloat16S1_Li120ELi16ELi128ELNS_18Fp8KVCacheDataTypeE0ELb1ELi512EEEvPfS3_PT_PKS4_PKT0_SA_ifPKiSC_iPKfiiiSE_SE_iiiii,comdat
.Lfunc_end164:
	.size	_ZN4vllm25paged_attention_v2_kernelI14__hip_bfloat16S1_Li120ELi16ELi128ELNS_18Fp8KVCacheDataTypeE0ELb1ELi512EEEvPfS3_PT_PKS4_PKT0_SA_ifPKiSC_iPKfiiiSE_SE_iiiii, .Lfunc_end164-_ZN4vllm25paged_attention_v2_kernelI14__hip_bfloat16S1_Li120ELi16ELi128ELNS_18Fp8KVCacheDataTypeE0ELb1ELi512EEEvPfS3_PT_PKS4_PKT0_SA_ifPKiSC_iPKfiiiSE_SE_iiiii
                                        ; -- End function
	.section	.AMDGPU.csdata,"",@progbits
; Kernel info:
; codeLenInByte = 18400
; NumSgprs: 48
; NumVgprs: 131
; ScratchSize: 0
; MemoryBound: 0
; FloatMode: 240
; IeeeMode: 1
; LDSByteSize: 272 bytes/workgroup (compile time only)
; SGPRBlocks: 5
; VGPRBlocks: 16
; NumSGPRsForWavesPerEU: 48
; NumVGPRsForWavesPerEU: 131
; Occupancy: 10
; WaveLimiterHint : 1
; COMPUTE_PGM_RSRC2:SCRATCH_EN: 0
; COMPUTE_PGM_RSRC2:USER_SGPR: 13
; COMPUTE_PGM_RSRC2:TRAP_HANDLER: 0
; COMPUTE_PGM_RSRC2:TGID_X_EN: 1
; COMPUTE_PGM_RSRC2:TGID_Y_EN: 1
; COMPUTE_PGM_RSRC2:TGID_Z_EN: 1
; COMPUTE_PGM_RSRC2:TIDIG_COMP_CNT: 0
	.section	.text._ZN4vllm25paged_attention_v2_kernelI14__hip_bfloat16S1_Li128ELi16ELi128ELNS_18Fp8KVCacheDataTypeE0ELb1ELi512EEEvPfS3_PT_PKS4_PKT0_SA_ifPKiSC_iPKfiiiSE_SE_iiiii,"axG",@progbits,_ZN4vllm25paged_attention_v2_kernelI14__hip_bfloat16S1_Li128ELi16ELi128ELNS_18Fp8KVCacheDataTypeE0ELb1ELi512EEEvPfS3_PT_PKS4_PKT0_SA_ifPKiSC_iPKfiiiSE_SE_iiiii,comdat
	.protected	_ZN4vllm25paged_attention_v2_kernelI14__hip_bfloat16S1_Li128ELi16ELi128ELNS_18Fp8KVCacheDataTypeE0ELb1ELi512EEEvPfS3_PT_PKS4_PKT0_SA_ifPKiSC_iPKfiiiSE_SE_iiiii ; -- Begin function _ZN4vllm25paged_attention_v2_kernelI14__hip_bfloat16S1_Li128ELi16ELi128ELNS_18Fp8KVCacheDataTypeE0ELb1ELi512EEEvPfS3_PT_PKS4_PKT0_SA_ifPKiSC_iPKfiiiSE_SE_iiiii
	.globl	_ZN4vllm25paged_attention_v2_kernelI14__hip_bfloat16S1_Li128ELi16ELi128ELNS_18Fp8KVCacheDataTypeE0ELb1ELi512EEEvPfS3_PT_PKS4_PKT0_SA_ifPKiSC_iPKfiiiSE_SE_iiiii
	.p2align	8
	.type	_ZN4vllm25paged_attention_v2_kernelI14__hip_bfloat16S1_Li128ELi16ELi128ELNS_18Fp8KVCacheDataTypeE0ELb1ELi512EEEvPfS3_PT_PKS4_PKT0_SA_ifPKiSC_iPKfiiiSE_SE_iiiii,@function
_ZN4vllm25paged_attention_v2_kernelI14__hip_bfloat16S1_Li128ELi16ELi128ELNS_18Fp8KVCacheDataTypeE0ELb1ELi512EEEvPfS3_PT_PKS4_PKT0_SA_ifPKiSC_iPKfiiiSE_SE_iiiii: ; @_ZN4vllm25paged_attention_v2_kernelI14__hip_bfloat16S1_Li128ELi16ELi128ELNS_18Fp8KVCacheDataTypeE0ELb1ELi512EEEvPfS3_PT_PKS4_PKT0_SA_ifPKiSC_iPKfiiiSE_SE_iiiii
; %bb.0:
	s_load_b64 s[2:3], s[0:1], 0x40
	s_mov_b32 s12, s15
	s_ashr_i32 s15, s14, 31
	s_mov_b32 s24, s13
	s_lshl_b64 s[4:5], s[14:15], 2
	s_waitcnt lgkmcnt(0)
	s_add_u32 s2, s2, s4
	s_addc_u32 s3, s3, s5
	s_lshl_b32 s13, s12, 9
	s_load_b32 s33, s[2:3], 0x0
	s_waitcnt lgkmcnt(0)
	s_cmp_ge_i32 s13, s33
	s_cbranch_scc1 .LBB165_407
; %bb.1:
	s_clause 0x1
	s_load_b32 s15, s[0:1], 0x90
	s_load_b64 s[34:35], s[0:1], 0x30
	s_mov_b32 s39, 0
	s_waitcnt lgkmcnt(0)
	s_abs_i32 s5, s15
	s_abs_i32 s2, s34
	s_delay_alu instid0(SALU_CYCLE_1) | instskip(SKIP_1) | instid1(VALU_DEP_1)
	v_cvt_f32_u32_e32 v1, s2
	s_sub_i32 s4, 0, s2
	v_rcp_iflag_f32_e32 v1, v1
	s_waitcnt_depctr 0xfff
	v_mul_f32_e32 v1, 0x4f7ffffe, v1
	s_delay_alu instid0(VALU_DEP_1) | instskip(NEXT) | instid1(VALU_DEP_1)
	v_cvt_u32_f32_e32 v1, v1
	v_readfirstlane_b32 s3, v1
	s_delay_alu instid0(VALU_DEP_1) | instskip(NEXT) | instid1(SALU_CYCLE_1)
	s_mul_i32 s4, s4, s3
	s_mul_hi_u32 s4, s3, s4
	s_delay_alu instid0(SALU_CYCLE_1) | instskip(SKIP_4) | instid1(SALU_CYCLE_1)
	s_add_i32 s3, s3, s4
	s_xor_b32 s4, s15, s34
	s_mul_hi_u32 s3, s5, s3
	s_ashr_i32 s4, s4, 31
	s_mul_i32 s6, s3, s2
	s_sub_i32 s5, s5, s6
	s_add_i32 s6, s3, 1
	s_sub_i32 s7, s5, s2
	s_cmp_ge_u32 s5, s2
	s_cselect_b32 s3, s6, s3
	s_cselect_b32 s5, s7, s5
	s_add_i32 s6, s3, 1
	s_cmp_ge_u32 s5, s2
	s_cselect_b32 s2, s6, s3
	s_abs_i32 s17, s24
	s_xor_b32 s2, s2, s4
	s_delay_alu instid0(SALU_CYCLE_1) | instskip(SKIP_2) | instid1(SALU_CYCLE_1)
	s_sub_i32 s8, s2, s4
	s_load_b64 s[2:3], s[0:1], 0x50
	s_abs_i32 s16, s8
	v_cvt_f32_u32_e32 v1, s16
	s_sub_i32 s5, 0, s16
	s_delay_alu instid0(VALU_DEP_1) | instskip(SKIP_2) | instid1(VALU_DEP_1)
	v_rcp_iflag_f32_e32 v1, v1
	s_waitcnt_depctr 0xfff
	v_mul_f32_e32 v1, 0x4f7ffffe, v1
	v_cvt_u32_f32_e32 v1, v1
	s_delay_alu instid0(VALU_DEP_1) | instskip(NEXT) | instid1(VALU_DEP_1)
	v_readfirstlane_b32 s4, v1
	s_mul_i32 s5, s5, s4
	s_delay_alu instid0(SALU_CYCLE_1) | instskip(NEXT) | instid1(SALU_CYCLE_1)
	s_mul_hi_u32 s5, s4, s5
	s_add_i32 s4, s4, s5
	s_waitcnt lgkmcnt(0)
	s_cmp_eq_u64 s[2:3], 0
	s_mul_hi_u32 s18, s17, s4
	s_cbranch_scc1 .LBB165_3
; %bb.2:
	s_ashr_i32 s25, s24, 31
	s_delay_alu instid0(SALU_CYCLE_1) | instskip(NEXT) | instid1(SALU_CYCLE_1)
	s_lshl_b64 s[4:5], s[24:25], 2
	s_add_u32 s2, s2, s4
	s_addc_u32 s3, s3, s5
	s_load_b32 s39, s[2:3], 0x0
.LBB165_3:
	s_load_b128 s[4:7], s[0:1], 0x58
	v_lshrrev_b32_e32 v12, 1, v0
	v_and_b32_e32 v13, 1, v0
	v_cmp_gt_u32_e64 s2, 32, v0
	v_lshlrev_b32_e32 v11, 3, v0
	s_ashr_i32 s3, s24, 31
	s_waitcnt lgkmcnt(0)
	s_ashr_i32 s7, s8, 31
	s_lshl_b32 s20, s24, 7
	s_and_saveexec_b32 s8, s2
	s_cbranch_execz .LBB165_5
; %bb.4:
	s_load_b64 s[10:11], s[0:1], 0x18
	s_mul_i32 s22, s14, s4
	v_lshlrev_b32_e32 v3, 3, v12
	s_ashr_i32 s23, s22, 31
	s_delay_alu instid0(SALU_CYCLE_1) | instskip(NEXT) | instid1(VALU_DEP_1)
	s_lshl_b64 s[22:23], s[22:23], 1
	v_lshl_add_u32 v3, v13, 7, v3
	s_waitcnt lgkmcnt(0)
	s_add_u32 s4, s10, s22
	s_addc_u32 s9, s11, s23
	s_ashr_i32 s21, s20, 31
	s_delay_alu instid0(SALU_CYCLE_1) | instskip(NEXT) | instid1(SALU_CYCLE_1)
	s_lshl_b64 s[10:11], s[20:21], 1
	s_add_u32 s10, s4, s10
	s_addc_u32 s11, s9, s11
	global_load_b64 v[1:2], v11, s[10:11]
	s_waitcnt vmcnt(0)
	ds_store_b64 v3, v[1:2]
.LBB165_5:
	s_or_b32 exec_lo, exec_lo, s8
	s_load_b128 s[8:11], s[0:1], 0x78
	s_mul_i32 s4, s18, s16
	s_xor_b32 s3, s3, s7
	s_sub_i32 s4, s17, s4
	s_add_i32 s7, s18, 1
	s_sub_i32 s17, s4, s16
	s_cmp_ge_u32 s4, s16
	s_waitcnt lgkmcnt(0)
	s_cselect_b32 s7, s7, s18
	s_cselect_b32 s4, s17, s4
	s_add_i32 s17, s7, 1
	s_cmp_ge_u32 s4, s16
	s_load_b32 s16, s[0:1], 0x88
	s_cselect_b32 s4, s17, s7
	s_add_i32 s17, s33, -1
	s_xor_b32 s4, s4, s3
	s_abs_i32 s7, s17
	s_sub_i32 s4, s4, s3
	s_mov_b32 s18, -1
	s_waitcnt lgkmcnt(0)
	s_barrier
	s_abs_i32 s21, s11
	buffer_gl0_inv
	v_cvt_f32_u32_e32 v1, s21
	s_sub_i32 s3, 0, s21
                                        ; implicit-def: $sgpr36
	s_delay_alu instid0(VALU_DEP_1) | instskip(SKIP_2) | instid1(VALU_DEP_1)
	v_rcp_iflag_f32_e32 v1, v1
	s_waitcnt_depctr 0xfff
	v_mul_f32_e32 v1, 0x4f7ffffe, v1
	v_cvt_u32_f32_e32 v1, v1
	s_delay_alu instid0(VALU_DEP_1) | instskip(NEXT) | instid1(VALU_DEP_1)
	v_readfirstlane_b32 s25, v1
	s_mul_i32 s3, s3, s25
	s_delay_alu instid0(SALU_CYCLE_1) | instskip(NEXT) | instid1(SALU_CYCLE_1)
	s_mul_hi_u32 s3, s25, s3
	s_add_i32 s25, s25, s3
	s_cmp_lt_i32 s16, 0
	s_mul_hi_u32 s3, s7, s25
	s_cbranch_scc0 .LBB165_7
; %bb.6:
	s_mul_i32 s18, s8, s34
	s_delay_alu instid0(SALU_CYCLE_1) | instskip(NEXT) | instid1(SALU_CYCLE_1)
	s_add_i32 s18, s4, s18
	s_mul_i32 s18, s18, s16
	s_delay_alu instid0(SALU_CYCLE_1)
	s_sub_i32 s36, 1, s18
	s_mov_b32 s18, 0
.LBB165_7:
	s_load_b64 s[26:27], s[0:1], 0x38
	s_ashr_i32 s28, s17, 31
	s_and_not1_b32 vcc_lo, exec_lo, s18
	s_ashr_i32 s11, s11, 31
	s_cbranch_vccnz .LBB165_9
; %bb.8:
	s_mul_i32 s8, s15, s8
	s_delay_alu instid0(SALU_CYCLE_1) | instskip(NEXT) | instid1(SALU_CYCLE_1)
	s_add_i32 s8, s8, s24
	s_mul_i32 s8, s8, s16
	s_delay_alu instid0(SALU_CYCLE_1)
	s_add_i32 s36, s8, 1
.LBB165_9:
	s_clause 0x4
	s_load_b32 s29, s[0:1], 0x48
	s_load_b64 s[30:31], s[0:1], 0x28
	s_load_b32 s8, s[0:1], 0x98
	s_load_b128 s[16:19], s[0:1], 0x0
	s_load_b64 s[22:23], s[0:1], 0x10
	s_xor_b32 s38, s28, s11
	s_mul_i32 s28, s3, s21
	s_add_i32 s34, s3, 1
	s_sub_i32 s7, s7, s28
	v_lshrrev_b32_e32 v14, 5, v0
	s_sub_i32 s37, s7, s21
	v_mov_b32_e32 v16, 0xff7fffff
	v_mbcnt_lo_u32_b32 v17, -1, 0
	s_mul_i32 s6, s4, s6
	v_lshl_add_u32 v15, v14, 4, s13
	s_waitcnt lgkmcnt(0)
	s_mul_i32 s28, s14, s29
	s_delay_alu instid0(SALU_CYCLE_1)
	s_ashr_i32 s29, s28, 31
	s_cmp_ge_u32 s7, s21
	s_cselect_b32 s3, s34, s3
	s_cselect_b32 s7, s37, s7
	s_add_i32 s34, s3, 1
	s_cmp_ge_u32 s7, s21
	s_cselect_b32 s3, s34, s3
	s_add_i32 s7, s33, 15
	s_lshl_b32 s40, s12, 5
	s_ashr_i32 s34, s7, 31
	v_or_b32_e32 v9, s40, v14
	s_lshr_b32 s34, s34, 28
	s_delay_alu instid0(SALU_CYCLE_1)
	s_add_i32 s7, s7, s34
	s_add_i32 s34, s40, 32
	s_ashr_i32 s37, s7, 4
	s_xor_b32 s7, s3, s38
	s_min_i32 s34, s34, s37
	v_ashrrev_i32_e32 v10, 31, v9
	v_cmp_gt_i32_e64 s3, s34, v9
	s_sub_i32 s38, s7, s38
	s_delay_alu instid0(VALU_DEP_1)
	s_and_saveexec_b32 s41, s3
	s_cbranch_execz .LBB165_19
; %bb.10:
	s_load_b64 s[0:1], s[0:1], 0x20
	s_ashr_i32 s7, s6, 31
	v_bfe_u32 v18, v0, 1, 4
	s_lshl_b64 s[42:43], s[6:7], 1
	s_sub_i32 s7, s38, s9
	v_mov_b32_e32 v28, v9
	v_dual_mov_b32 v21, 0xff7fffff :: v_dual_and_b32 v4, 8, v11
	v_lshlrev_b32_e32 v5, 2, v18
	v_subrev_nc_u32_e32 v6, s33, v18
	v_lshlrev_b32_e32 v7, 4, v18
	v_cmp_eq_u32_e32 vcc_lo, 0, v13
	v_dual_mov_b32 v16, 0xff7fffff :: v_dual_lshlrev_b32 v19, 7, v13
	v_lshl_or_b32 v5, v14, 6, v5
	v_add_nc_u32_e32 v23, 1, v6
	v_lshl_add_u32 v20, v14, 4, s13
	v_xor_b32_e32 v22, 1, v17
	s_delay_alu instid0(VALU_DEP_4)
	v_add_nc_u32_e32 v24, 0x120, v5
	s_waitcnt lgkmcnt(0)
	s_add_u32 s4, s0, s42
	s_addc_u32 s1, s1, s43
	s_abs_i32 s42, s10
	s_lshl_b64 s[44:45], s[28:29], 2
	v_cvt_f32_u32_e32 v1, s42
	s_sub_i32 s43, 0, s42
	v_add_co_u32 v6, s4, s4, v7
	s_delay_alu instid0(VALU_DEP_1) | instskip(NEXT) | instid1(VALU_DEP_3)
	v_add_co_ci_u32_e64 v7, null, s1, 0, s4
	v_rcp_iflag_f32_e32 v3, v1
	v_lshlrev_b64 v[1:2], 2, v[9:10]
	s_add_u32 s1, s26, s44
	s_addc_u32 s4, s27, s45
	v_cmp_neq_f32_e64 s0, s39, 0
	s_mov_b32 s44, s5
	s_delay_alu instid0(VALU_DEP_2) | instskip(NEXT) | instid1(VALU_DEP_1)
	v_add_co_u32 v1, s1, s1, v1
	v_add_co_ci_u32_e64 v2, s1, s4, v2, s1
	s_waitcnt_depctr 0xfff
	v_mul_f32_e32 v3, 0x4f7ffffe, v3
	v_add_co_u32 v25, s1, v6, v4
	s_delay_alu instid0(VALU_DEP_1) | instskip(NEXT) | instid1(VALU_DEP_3)
	v_add_co_ci_u32_e64 v26, s1, 0, v7, s1
	v_cvt_u32_f32_e32 v3, v3
	s_delay_alu instid0(VALU_DEP_1) | instskip(SKIP_1) | instid1(VALU_DEP_1)
	v_mul_lo_u32 v5, s43, v3
	s_mov_b32 s43, 0
	v_mul_hi_u32 v5, v3, v5
	s_delay_alu instid0(VALU_DEP_1)
	v_add_nc_u32_e32 v27, v3, v5
	s_branch .LBB165_13
.LBB165_11:                             ;   in Loop: Header=BB165_13 Depth=1
	s_or_b32 exec_lo, exec_lo, s45
.LBB165_12:                             ;   in Loop: Header=BB165_13 Depth=1
	s_delay_alu instid0(SALU_CYCLE_1) | instskip(SKIP_2) | instid1(VALU_DEP_1)
	s_or_b32 exec_lo, exec_lo, s4
	v_add_nc_u32_e32 v28, 4, v28
	v_add_co_u32 v1, s4, v1, 16
	v_add_co_ci_u32_e64 v2, s4, 0, v2, s4
	s_delay_alu instid0(VALU_DEP_3) | instskip(SKIP_2) | instid1(VALU_DEP_3)
	v_cmp_le_i32_e64 s1, s34, v28
	v_add_nc_u32_e32 v20, 64, v20
	v_add_nc_u32_e32 v24, 0x100, v24
	s_or_b32 s43, s1, s43
	s_delay_alu instid0(SALU_CYCLE_1)
	s_and_not1_b32 exec_lo, exec_lo, s43
	s_cbranch_execz .LBB165_18
.LBB165_13:                             ; =>This Inner Loop Header: Depth=1
	v_sub_nc_u32_e32 v3, 0, v20
	s_delay_alu instid0(VALU_DEP_1) | instskip(SKIP_1) | instid1(VALU_DEP_1)
	v_max_i32_e32 v3, v20, v3
	s_waitcnt lgkmcnt(0)
	v_mul_hi_u32 v4, v3, s25
	s_delay_alu instid0(VALU_DEP_1) | instskip(NEXT) | instid1(VALU_DEP_1)
	v_mul_lo_u32 v5, v4, s21
	v_sub_nc_u32_e32 v3, v3, v5
	v_add_nc_u32_e32 v5, 1, v4
	s_delay_alu instid0(VALU_DEP_2) | instskip(SKIP_1) | instid1(VALU_DEP_1)
	v_subrev_nc_u32_e32 v6, s21, v3
	v_cmp_le_u32_e64 s1, s21, v3
	v_cndmask_b32_e64 v4, v4, v5, s1
	s_delay_alu instid0(VALU_DEP_3) | instskip(SKIP_1) | instid1(VALU_DEP_3)
	v_cndmask_b32_e64 v3, v3, v6, s1
	v_ashrrev_i32_e32 v5, 31, v20
	v_add_nc_u32_e32 v6, 1, v4
	s_delay_alu instid0(VALU_DEP_3) | instskip(NEXT) | instid1(VALU_DEP_3)
	v_cmp_le_u32_e64 s1, s21, v3
	v_xor_b32_e32 v5, s11, v5
	s_delay_alu instid0(VALU_DEP_2) | instskip(NEXT) | instid1(VALU_DEP_1)
	v_cndmask_b32_e64 v3, v4, v6, s1
	v_xor_b32_e32 v3, v3, v5
	s_delay_alu instid0(VALU_DEP_1) | instskip(NEXT) | instid1(VALU_DEP_1)
	v_sub_nc_u32_e32 v3, v3, v5
	v_add_nc_u32_e32 v4, s36, v3
	v_cmp_ge_i32_e64 s4, s7, v3
	s_delay_alu instid0(VALU_DEP_2) | instskip(NEXT) | instid1(VALU_DEP_1)
	v_sub_nc_u32_e32 v5, 0, v4
	v_max_i32_e32 v5, v4, v5
	v_ashrrev_i32_e32 v4, 31, v4
	s_delay_alu instid0(VALU_DEP_2) | instskip(NEXT) | instid1(VALU_DEP_1)
	v_mul_hi_u32 v6, v5, v27
	v_mul_lo_u32 v6, v6, s42
	s_delay_alu instid0(VALU_DEP_1) | instskip(NEXT) | instid1(VALU_DEP_1)
	v_sub_nc_u32_e32 v5, v5, v6
	v_subrev_nc_u32_e32 v6, s42, v5
	v_cmp_le_u32_e64 s1, s42, v5
	s_delay_alu instid0(VALU_DEP_1) | instskip(NEXT) | instid1(VALU_DEP_1)
	v_cndmask_b32_e64 v5, v5, v6, s1
	v_subrev_nc_u32_e32 v6, s42, v5
	v_cmp_le_u32_e64 s1, s42, v5
	s_delay_alu instid0(VALU_DEP_1) | instskip(NEXT) | instid1(VALU_DEP_1)
	v_cndmask_b32_e64 v5, v5, v6, s1
	v_xor_b32_e32 v5, v5, v4
	s_delay_alu instid0(VALU_DEP_1) | instskip(NEXT) | instid1(VALU_DEP_1)
	v_sub_nc_u32_e32 v4, v5, v4
	v_cmp_ne_u32_e64 s1, 0, v4
	s_delay_alu instid0(VALU_DEP_1) | instskip(NEXT) | instid1(SALU_CYCLE_1)
	s_and_b32 s1, s1, s4
	s_and_b32 s45, vcc_lo, s1
	s_delay_alu instid0(SALU_CYCLE_1)
	s_and_saveexec_b32 s4, s45
	s_cbranch_execz .LBB165_15
; %bb.14:                               ;   in Loop: Header=BB165_13 Depth=1
	ds_store_b32 v24, v21
.LBB165_15:                             ;   in Loop: Header=BB165_13 Depth=1
	s_or_b32 exec_lo, exec_lo, s4
	s_xor_b32 s1, s1, -1
	s_delay_alu instid0(SALU_CYCLE_1)
	s_and_saveexec_b32 s4, s1
	s_cbranch_execz .LBB165_12
; %bb.16:                               ;   in Loop: Header=BB165_13 Depth=1
	global_load_b32 v5, v[1:2], off
	s_waitcnt vmcnt(0)
	v_mad_i64_i32 v[3:4], null, v5, s44, 0
	s_delay_alu instid0(VALU_DEP_1) | instskip(NEXT) | instid1(VALU_DEP_1)
	v_lshlrev_b64 v[3:4], 1, v[3:4]
	v_add_co_u32 v7, s1, v25, v3
	s_delay_alu instid0(VALU_DEP_1)
	v_add_co_ci_u32_e64 v8, s1, v26, v4, s1
	v_cmp_gt_i32_e64 s1, 32, v22
	s_clause 0xf
	global_load_b64 v[5:6], v[7:8], off
	global_load_b64 v[3:4], v[7:8], off offset:256
	global_load_b64 v[61:62], v[7:8], off offset:512
	;; [unrolled: 1-line block ×15, first 2 shown]
	ds_load_b128 v[29:32], v19
	ds_load_b128 v[33:36], v19 offset:16
	ds_load_b128 v[37:40], v19 offset:32
	;; [unrolled: 1-line block ×7, first 2 shown]
	s_waitcnt lgkmcnt(1)
	v_lshlrev_b32_e32 v114, 16, v56
	s_waitcnt lgkmcnt(0)
	v_lshlrev_b32_e32 v115, 16, v57
	v_and_b32_e32 v57, 0xffff0000, v57
	v_lshlrev_b32_e32 v113, 16, v55
	v_and_b32_e32 v55, 0xffff0000, v55
	s_waitcnt vmcnt(15)
	v_lshlrev_b32_e32 v118, 16, v6
	s_waitcnt vmcnt(14)
	v_lshlrev_b32_e32 v119, 16, v3
	v_and_b32_e32 v3, 0xffff0000, v3
	v_lshlrev_b32_e32 v90, 16, v32
	v_lshlrev_b32_e32 v120, 16, v4
	v_and_b32_e32 v4, 0xffff0000, v4
	s_waitcnt vmcnt(11)
	v_lshlrev_b32_e32 v126, 16, v66
	v_and_b32_e32 v32, 0xffff0000, v32
	v_lshlrev_b32_e32 v87, 16, v29
	v_and_b32_e32 v6, 0xffff0000, v6
	v_lshlrev_b32_e32 v117, 16, v5
	s_delay_alu instid0(VALU_DEP_4)
	v_dual_mul_f32 v4, v32, v4 :: v_dual_and_b32 v5, 0xffff0000, v5
	v_lshlrev_b32_e32 v89, 16, v31
	s_waitcnt vmcnt(6)
	v_lshlrev_b32_e32 v32, 16, v75
	v_lshlrev_b32_e32 v116, 16, v58
	v_and_b32_e32 v58, 0xffff0000, v58
	v_and_b32_e32 v31, 0xffff0000, v31
	v_and_b32_e32 v75, 0xffff0000, v75
	v_and_b32_e32 v56, 0xffff0000, v56
	v_and_b32_e32 v29, 0xffff0000, v29
	s_delay_alu instid0(VALU_DEP_4)
	v_dual_mul_f32 v3, v31, v3 :: v_dual_lshlrev_b32 v88, 16, v30
	v_lshlrev_b32_e32 v94, 16, v36
	v_lshlrev_b32_e32 v96, 16, v38
	;; [unrolled: 1-line block ×3, first 2 shown]
	v_and_b32_e32 v65, 0xffff0000, v65
	v_dual_fmac_f32 v3, v29, v5 :: v_dual_and_b32 v30, 0xffff0000, v30
	v_lshlrev_b32_e32 v5, 16, v73
	v_and_b32_e32 v29, 0xffff0000, v73
	v_dual_mul_f32 v73, v90, v120 :: v_dual_lshlrev_b32 v122, 16, v62
	s_delay_alu instid0(VALU_DEP_4) | instskip(SKIP_1) | instid1(VALU_DEP_3)
	v_dual_fmac_f32 v4, v30, v6 :: v_dual_mul_f32 v89, v89, v119
	v_lshlrev_b32_e32 v92, 16, v34
	v_dual_fmac_f32 v73, v88, v118 :: v_dual_lshlrev_b32 v98, 16, v40
	v_lshlrev_b32_e32 v121, 16, v61
	v_and_b32_e32 v61, 0xffff0000, v61
	v_and_b32_e32 v62, 0xffff0000, v62
	v_lshlrev_b32_e32 v127, 16, v67
	v_and_b32_e32 v34, 0xffff0000, v34
	v_lshlrev_b32_e32 v91, 16, v33
	v_and_b32_e32 v33, 0xffff0000, v33
	v_dual_fmac_f32 v89, v87, v117 :: v_dual_lshlrev_b32 v106, 16, v48
	v_fmac_f32_e32 v73, v92, v122
	s_waitcnt vmcnt(5)
	v_lshlrev_b32_e32 v30, 16, v78
	v_lshlrev_b32_e32 v124, 16, v64
	v_dual_fmac_f32 v3, v33, v61 :: v_dual_lshlrev_b32 v102, 16, v44
	v_lshlrev_b32_e32 v112, 16, v54
	v_lshlrev_b32_e32 v123, 16, v63
	s_delay_alu instid0(VALU_DEP_4)
	v_fmac_f32_e32 v73, v94, v124
	v_and_b32_e32 v63, 0xffff0000, v63
	v_and_b32_e32 v67, 0xffff0000, v67
	;; [unrolled: 1-line block ×3, first 2 shown]
	v_lshlrev_b32_e32 v118, 16, v77
	v_and_b32_e32 v6, 0xffff0000, v77
	v_and_b32_e32 v77, 0xffff0000, v78
	s_waitcnt vmcnt(4)
	v_lshlrev_b32_e32 v78, 16, v79
	v_and_b32_e32 v64, 0xffff0000, v64
	v_dual_fmac_f32 v4, v34, v62 :: v_dual_lshlrev_b32 v93, 16, v35
	v_and_b32_e32 v35, 0xffff0000, v35
	v_lshlrev_b32_e32 v108, 16, v50
	v_fmac_f32_e32 v73, v96, v126
	v_dual_fmac_f32 v89, v91, v121 :: v_dual_lshlrev_b32 v100, 16, v42
	s_delay_alu instid0(VALU_DEP_4)
	v_fmac_f32_e32 v3, v35, v63
	s_waitcnt vmcnt(2)
	v_lshlrev_b32_e32 v35, 16, v83
	v_lshlrev_b32_e32 v128, 16, v68
	v_and_b32_e32 v38, 0xffff0000, v38
	v_lshlrev_b32_e32 v119, 16, v70
	v_lshlrev_b32_e32 v87, 16, v72
	s_delay_alu instid0(VALU_DEP_4) | instskip(SKIP_3) | instid1(VALU_DEP_4)
	v_dual_fmac_f32 v73, v98, v128 :: v_dual_lshlrev_b32 v90, 16, v74
	v_and_b32_e32 v44, 0xffff0000, v44
	v_fmac_f32_e32 v4, v36, v64
	v_dual_fmac_f32 v89, v93, v123 :: v_dual_lshlrev_b32 v104, 16, v46
	v_dual_fmac_f32 v73, v100, v119 :: v_dual_and_b32 v50, 0xffff0000, v50
	v_lshlrev_b32_e32 v117, 16, v59
	v_and_b32_e32 v59, 0xffff0000, v59
	s_delay_alu instid0(VALU_DEP_3)
	v_dual_fmac_f32 v73, v102, v87 :: v_dual_lshlrev_b32 v88, 16, v76
	v_lshlrev_b32_e32 v33, 16, v81
	v_and_b32_e32 v61, 0xffff0000, v81
	v_lshlrev_b32_e32 v81, 16, v82
	v_and_b32_e32 v66, 0xffff0000, v66
	v_fmac_f32_e32 v73, v104, v90
	v_lshlrev_b32_e32 v95, 16, v37
	v_and_b32_e32 v37, 0xffff0000, v37
	s_delay_alu instid0(VALU_DEP_4) | instskip(NEXT) | instid1(VALU_DEP_4)
	v_dual_fmac_f32 v4, v38, v66 :: v_dual_lshlrev_b32 v129, 16, v69
	v_fmac_f32_e32 v73, v106, v88
	s_delay_alu instid0(VALU_DEP_4)
	v_dual_fmac_f32 v89, v95, v125 :: v_dual_lshlrev_b32 v110, 16, v52
	v_and_b32_e32 v40, 0xffff0000, v40
	v_lshlrev_b32_e32 v91, 16, v80
	v_dual_fmac_f32 v3, v37, v65 :: v_dual_and_b32 v36, 0xffff0000, v83
	v_and_b32_e32 v68, 0xffff0000, v68
	v_lshlrev_b32_e32 v97, 16, v39
	v_and_b32_e32 v39, 0xffff0000, v39
	v_fmac_f32_e32 v73, v108, v30
	s_delay_alu instid0(VALU_DEP_4) | instskip(NEXT) | instid1(VALU_DEP_3)
	v_dual_fmac_f32 v4, v40, v68 :: v_dual_and_b32 v69, 0xffff0000, v69
	v_dual_fmac_f32 v3, v39, v67 :: v_dual_and_b32 v70, 0xffff0000, v70
	v_and_b32_e32 v42, 0xffff0000, v42
	v_lshlrev_b32_e32 v99, 16, v41
	v_and_b32_e32 v41, 0xffff0000, v41
	v_fmac_f32_e32 v73, v110, v91
	v_fmac_f32_e32 v89, v97, v127
	v_lshlrev_b32_e32 v37, 16, v84
	v_lshlrev_b32_e32 v31, 16, v71
	v_dual_fmac_f32 v3, v41, v69 :: v_dual_fmac_f32 v4, v42, v70
	v_dual_fmac_f32 v73, v112, v81 :: v_dual_and_b32 v72, 0xffff0000, v72
	v_and_b32_e32 v71, 0xffff0000, v71
	v_dual_fmac_f32 v89, v99, v129 :: v_dual_and_b32 v74, 0xffff0000, v74
	s_delay_alu instid0(VALU_DEP_3) | instskip(NEXT) | instid1(VALU_DEP_4)
	v_fmac_f32_e32 v73, v37, v114
	v_dual_fmac_f32 v4, v44, v72 :: v_dual_lshlrev_b32 v101, 16, v43
	v_and_b32_e32 v43, 0xffff0000, v43
	v_and_b32_e32 v46, 0xffff0000, v46
	;; [unrolled: 1-line block ×3, first 2 shown]
	s_delay_alu instid0(VALU_DEP_4) | instskip(NEXT) | instid1(VALU_DEP_3)
	v_dual_fmac_f32 v89, v101, v31 :: v_dual_and_b32 v76, 0xffff0000, v76
	v_dual_fmac_f32 v4, v46, v74 :: v_dual_lshlrev_b32 v103, 16, v45
	v_and_b32_e32 v45, 0xffff0000, v45
	v_fmac_f32_e32 v3, v43, v71
	v_lshlrev_b32_e32 v105, 16, v47
	s_delay_alu instid0(VALU_DEP_4) | instskip(SKIP_1) | instid1(VALU_DEP_4)
	v_dual_fmac_f32 v4, v48, v76 :: v_dual_and_b32 v47, 0xffff0000, v47
	v_dual_fmac_f32 v89, v103, v5 :: v_dual_and_b32 v52, 0xffff0000, v52
	;; [unrolled: 1-line block ×3, first 2 shown]
	s_delay_alu instid0(VALU_DEP_3) | instskip(SKIP_4) | instid1(VALU_DEP_4)
	v_dual_fmac_f32 v4, v50, v77 :: v_dual_lshlrev_b32 v109, 16, v51
	v_and_b32_e32 v80, 0xffff0000, v80
	v_lshlrev_b32_e32 v107, 16, v49
	v_and_b32_e32 v49, 0xffff0000, v49
	v_fmac_f32_e32 v89, v105, v32
	v_dual_fmac_f32 v3, v47, v75 :: v_dual_fmac_f32 v4, v52, v80
	v_and_b32_e32 v51, 0xffff0000, v51
	v_and_b32_e32 v79, 0xffff0000, v79
	s_delay_alu instid0(VALU_DEP_4) | instskip(NEXT) | instid1(VALU_DEP_4)
	v_fmac_f32_e32 v89, v107, v118
	v_fmac_f32_e32 v3, v49, v6
	v_and_b32_e32 v34, 0xffff0000, v82
	v_lshlrev_b32_e32 v111, 16, v53
	v_and_b32_e32 v53, 0xffff0000, v53
	v_fmac_f32_e32 v89, v109, v78
	s_delay_alu instid0(VALU_DEP_4)
	v_dual_fmac_f32 v3, v51, v79 :: v_dual_fmac_f32 v4, v54, v34
	s_waitcnt vmcnt(1)
	v_lshlrev_b32_e32 v5, 16, v85
	v_and_b32_e32 v29, 0xffff0000, v85
	v_fmac_f32_e32 v89, v111, v33
	v_fmac_f32_e32 v3, v53, v61
	v_and_b32_e32 v31, 0xffff0000, v84
	v_lshlrev_b32_e32 v6, 16, v86
	s_waitcnt vmcnt(0)
	v_dual_fmac_f32 v89, v35, v113 :: v_dual_lshlrev_b32 v32, 16, v7
	v_fmac_f32_e32 v3, v36, v55
	v_and_b32_e32 v7, 0xffff0000, v7
	v_lshlrev_b32_e32 v120, 16, v60
	s_delay_alu instid0(VALU_DEP_4) | instskip(NEXT) | instid1(VALU_DEP_4)
	v_dual_fmac_f32 v89, v5, v115 :: v_dual_and_b32 v30, 0xffff0000, v86
	v_dual_fmac_f32 v3, v29, v57 :: v_dual_fmac_f32 v4, v31, v56
	v_lshlrev_b32_e32 v5, 16, v8
	v_fmac_f32_e32 v73, v6, v116
	s_delay_alu instid0(VALU_DEP_4) | instskip(NEXT) | instid1(VALU_DEP_4)
	v_fmac_f32_e32 v89, v32, v117
	v_dual_fmac_f32 v3, v7, v59 :: v_dual_fmac_f32 v4, v30, v58
	v_and_b32_e32 v6, 0xffff0000, v60
	v_and_b32_e32 v7, 0xffff0000, v8
	v_fmac_f32_e32 v73, v5, v120
	s_delay_alu instid0(VALU_DEP_4) | instskip(SKIP_1) | instid1(VALU_DEP_4)
	v_add_f32_e32 v3, v89, v3
	v_cndmask_b32_e64 v5, v17, v22, s1
	v_fmac_f32_e32 v4, v7, v6
	s_delay_alu instid0(VALU_DEP_3) | instskip(NEXT) | instid1(VALU_DEP_3)
	v_add_f32_e32 v3, v3, v73
	v_lshlrev_b32_e32 v5, 2, v5
	s_delay_alu instid0(VALU_DEP_2)
	v_add_f32_e32 v3, v4, v3
	ds_bpermute_b32 v4, v5, v3
	s_and_saveexec_b32 s45, vcc_lo
	s_cbranch_execz .LBB165_11
; %bb.17:                               ;   in Loop: Header=BB165_13 Depth=1
	s_waitcnt lgkmcnt(0)
	v_add_f32_e32 v3, v3, v4
	v_add_nc_u32_e32 v5, v23, v20
	s_delay_alu instid0(VALU_DEP_1) | instskip(NEXT) | instid1(VALU_DEP_1)
	v_cvt_f32_i32_e32 v5, v5
	v_mul_f32_e32 v5, s39, v5
	s_delay_alu instid0(VALU_DEP_1) | instskip(NEXT) | instid1(VALU_DEP_1)
	v_cndmask_b32_e64 v4, 0, v5, s0
	v_dual_max_f32 v5, v16, v16 :: v_dual_fmac_f32 v4, s35, v3
	v_add_nc_u32_e32 v3, v18, v20
	s_delay_alu instid0(VALU_DEP_2) | instskip(NEXT) | instid1(VALU_DEP_2)
	v_max_f32_e32 v5, v5, v4
	v_cmp_gt_i32_e64 s1, s33, v3
	s_delay_alu instid0(VALU_DEP_1) | instskip(NEXT) | instid1(VALU_DEP_3)
	v_cndmask_b32_e64 v3, 0, v4, s1
	v_cndmask_b32_e64 v16, v16, v5, s1
	ds_store_b32 v24, v3
	s_branch .LBB165_11
.LBB165_18:
	s_or_b32 exec_lo, exec_lo, s43
.LBB165_19:
	s_delay_alu instid0(SALU_CYCLE_1) | instskip(SKIP_4) | instid1(VALU_DEP_3)
	s_or_b32 exec_lo, exec_lo, s41
	v_xor_b32_e32 v1, 16, v17
	v_xor_b32_e32 v2, 8, v17
	s_waitcnt lgkmcnt(0)
	v_dual_max_f32 v4, v16, v16 :: v_dual_lshlrev_b32 v7, 2, v14
	v_cmp_gt_i32_e32 vcc_lo, 32, v1
	v_cndmask_b32_e32 v1, v17, v1, vcc_lo
	v_cmp_gt_i32_e32 vcc_lo, 32, v2
	s_delay_alu instid0(VALU_DEP_2) | instskip(SKIP_3) | instid1(VALU_DEP_1)
	v_dual_cndmask_b32 v2, v17, v2 :: v_dual_lshlrev_b32 v3, 2, v1
	ds_bpermute_b32 v1, v3, v16
	s_waitcnt lgkmcnt(0)
	v_dual_max_f32 v1, v1, v1 :: v_dual_and_b32 v16, 31, v0
	v_max_f32_e32 v1, v4, v1
	v_xor_b32_e32 v4, 4, v17
	s_delay_alu instid0(VALU_DEP_1) | instskip(SKIP_1) | instid1(VALU_DEP_1)
	v_cmp_gt_i32_e32 vcc_lo, 32, v4
	v_dual_cndmask_b32 v4, v17, v4 :: v_dual_lshlrev_b32 v5, 2, v2
	v_lshlrev_b32_e32 v6, 2, v4
	ds_bpermute_b32 v2, v5, v1
	v_xor_b32_e32 v4, 2, v17
	s_delay_alu instid0(VALU_DEP_1) | instskip(SKIP_4) | instid1(VALU_DEP_1)
	v_cmp_gt_i32_e32 vcc_lo, 32, v4
	v_cndmask_b32_e32 v4, v17, v4, vcc_lo
	v_cmp_eq_u32_e32 vcc_lo, 0, v16
	s_waitcnt lgkmcnt(0)
	v_max_f32_e32 v2, v2, v2
	v_max_f32_e32 v1, v1, v2
	ds_bpermute_b32 v2, v6, v1
	s_waitcnt lgkmcnt(0)
	v_max_f32_e32 v2, v2, v2
	s_delay_alu instid0(VALU_DEP_1)
	v_dual_max_f32 v1, v1, v2 :: v_dual_lshlrev_b32 v2, 2, v4
	ds_bpermute_b32 v4, v2, v1
	s_and_saveexec_b32 s0, vcc_lo
	s_cbranch_execz .LBB165_21
; %bb.20:
	s_waitcnt lgkmcnt(0)
	v_dual_max_f32 v4, v4, v4 :: v_dual_max_f32 v1, v1, v1
	s_delay_alu instid0(VALU_DEP_1)
	v_max_f32_e32 v1, v1, v4
	ds_store_b32 v7, v1 offset:256
.LBB165_21:
	s_or_b32 exec_lo, exec_lo, s0
	v_cmp_gt_u32_e64 s0, 4, v16
	v_dual_mov_b32 v1, 0xff7fffff :: v_dual_lshlrev_b32 v8, 2, v16
	s_waitcnt lgkmcnt(0)
	s_barrier
	buffer_gl0_inv
	s_and_saveexec_b32 s1, s0
	s_cbranch_execz .LBB165_23
; %bb.22:
	ds_load_b32 v1, v8 offset:256
.LBB165_23:
	s_or_b32 exec_lo, exec_lo, s1
	s_waitcnt lgkmcnt(0)
	ds_bpermute_b32 v4, v2, v1
	v_xor_b32_e32 v18, 1, v17
	v_max_f32_e32 v1, v1, v1
	s_delay_alu instid0(VALU_DEP_2) | instskip(NEXT) | instid1(VALU_DEP_1)
	v_cmp_gt_i32_e64 s1, 32, v18
	v_cndmask_b32_e64 v17, v17, v18, s1
	s_sub_i32 s1, s34, s40
	v_mov_b32_e32 v18, 0
	s_lshl_b32 s1, s1, 4
	s_delay_alu instid0(VALU_DEP_2) | instskip(SKIP_1) | instid1(SALU_CYCLE_1)
	v_lshlrev_b32_e32 v17, 2, v17
	s_add_i32 s1, s1, s13
	s_min_i32 s1, s1, s33
	s_waitcnt lgkmcnt(0)
	v_max_f32_e32 v4, v4, v4
	s_sub_i32 s7, s1, s13
	s_delay_alu instid0(SALU_CYCLE_1) | instskip(NEXT) | instid1(VALU_DEP_2)
	v_cmp_gt_i32_e64 s1, s7, v0
	v_max_f32_e32 v1, v1, v4
	ds_bpermute_b32 v4, v17, v1
	s_waitcnt lgkmcnt(0)
	v_max_f32_e32 v4, v4, v4
	s_delay_alu instid0(VALU_DEP_1)
	v_max_f32_e32 v1, v1, v4
	v_lshl_add_u32 v4, v0, 2, 0x120
	ds_bpermute_b32 v1, v18, v1
	s_and_saveexec_b32 s13, s1
	s_cbranch_execz .LBB165_27
; %bb.24:
	v_lshl_add_u32 v19, v0, 2, 0x120
	v_mov_b32_e32 v18, 0
	v_mov_b32_e32 v20, v0
	s_mov_b32 s35, 0
	.p2align	6
.LBB165_25:                             ; =>This Inner Loop Header: Depth=1
	ds_load_b32 v21, v19
	v_add_nc_u32_e32 v20, 0x80, v20
	s_delay_alu instid0(VALU_DEP_1) | instskip(NEXT) | instid1(VALU_DEP_1)
	v_cmp_le_i32_e64 s4, s7, v20
	s_or_b32 s35, s4, s35
	s_waitcnt lgkmcnt(0)
	v_sub_f32_e32 v21, v21, v1
	s_delay_alu instid0(VALU_DEP_1) | instskip(NEXT) | instid1(VALU_DEP_1)
	v_mul_f32_e32 v21, 0x3fb8aa3b, v21
	v_exp_f32_e32 v21, v21
	ds_store_b32 v19, v21
	v_dual_add_f32 v18, v18, v21 :: v_dual_add_nc_u32 v19, 0x200, v19
	s_and_not1_b32 exec_lo, exec_lo, s35
	s_cbranch_execnz .LBB165_25
; %bb.26:
	s_or_b32 exec_lo, exec_lo, s35
.LBB165_27:
	s_delay_alu instid0(SALU_CYCLE_1)
	s_or_b32 exec_lo, exec_lo, s13
	ds_bpermute_b32 v3, v3, v18
	s_waitcnt lgkmcnt(0)
	v_add_f32_e32 v3, v18, v3
	ds_bpermute_b32 v5, v5, v3
	s_waitcnt lgkmcnt(0)
	v_add_f32_e32 v3, v3, v5
	;; [unrolled: 3-line block ×5, first 2 shown]
	s_and_saveexec_b32 s4, vcc_lo
	s_cbranch_execz .LBB165_29
; %bb.28:
	ds_store_b32 v7, v3 offset:272
.LBB165_29:
	s_or_b32 exec_lo, exec_lo, s4
	s_waitcnt lgkmcnt(0)
	s_barrier
	buffer_gl0_inv
	s_and_saveexec_b32 s4, s0
	s_cbranch_execz .LBB165_31
; %bb.30:
	ds_load_b32 v3, v8 offset:272
.LBB165_31:
	s_or_b32 exec_lo, exec_lo, s4
	s_waitcnt lgkmcnt(0)
	ds_bpermute_b32 v2, v2, v3
	s_waitcnt lgkmcnt(0)
	v_add_f32_e32 v2, v3, v2
	ds_bpermute_b32 v3, v17, v2
	s_waitcnt lgkmcnt(0)
	v_dual_add_f32 v2, v2, v3 :: v_dual_mov_b32 v3, 0
	ds_bpermute_b32 v2, v3, v2
	s_and_saveexec_b32 s0, s1
	s_cbranch_execz .LBB165_34
; %bb.32:
	s_waitcnt lgkmcnt(0)
	v_add_f32_e32 v3, 0x358637bd, v2
	s_mov_b32 s1, 0
	s_delay_alu instid0(VALU_DEP_1) | instskip(SKIP_1) | instid1(VALU_DEP_2)
	v_div_scale_f32 v5, null, v3, v3, 1.0
	v_div_scale_f32 v8, vcc_lo, 1.0, v3, 1.0
	v_rcp_f32_e32 v6, v5
	s_waitcnt_depctr 0xfff
	v_fma_f32 v7, -v5, v6, 1.0
	s_delay_alu instid0(VALU_DEP_1) | instskip(NEXT) | instid1(VALU_DEP_1)
	v_fmac_f32_e32 v6, v7, v6
	v_mul_f32_e32 v7, v8, v6
	s_delay_alu instid0(VALU_DEP_1) | instskip(NEXT) | instid1(VALU_DEP_1)
	v_fma_f32 v18, -v5, v7, v8
	v_fmac_f32_e32 v7, v18, v6
	s_delay_alu instid0(VALU_DEP_1) | instskip(NEXT) | instid1(VALU_DEP_1)
	v_fma_f32 v5, -v5, v7, v8
	v_div_fmas_f32 v5, v5, v6, v7
	s_delay_alu instid0(VALU_DEP_1)
	v_div_fixup_f32 v3, v5, v3, 1.0
	v_mov_b32_e32 v5, v0
.LBB165_33:                             ; =>This Inner Loop Header: Depth=1
	ds_load_b32 v6, v4
	s_waitcnt lgkmcnt(0)
	v_dual_mul_f32 v6, v3, v6 :: v_dual_add_nc_u32 v5, 0x80, v5
	s_delay_alu instid0(VALU_DEP_1) | instskip(SKIP_3) | instid1(SALU_CYCLE_1)
	v_cmp_le_i32_e32 vcc_lo, s7, v5
	ds_store_b32 v4, v6
	v_add_nc_u32_e32 v4, 0x200, v4
	s_or_b32 s1, vcc_lo, s1
	s_and_not1_b32 exec_lo, exec_lo, s1
	s_cbranch_execnz .LBB165_33
.LBB165_34:
	s_or_b32 exec_lo, exec_lo, s0
	s_delay_alu instid0(SALU_CYCLE_1)
	s_mov_b32 s0, exec_lo
	s_waitcnt lgkmcnt(0)
	s_barrier
	buffer_gl0_inv
	v_cmpx_eq_u32_e32 0, v0
	s_cbranch_execz .LBB165_36
; %bb.35:
	s_mul_i32 s1, s8, s14
	s_mul_i32 s42, s8, s24
	;; [unrolled: 1-line block ×3, first 2 shown]
	v_mov_b32_e32 v3, 0
	s_ashr_i32 s41, s40, 31
	s_delay_alu instid0(SALU_CYCLE_1) | instskip(NEXT) | instid1(SALU_CYCLE_1)
	s_lshl_b64 s[40:41], s[40:41], 2
	s_add_u32 s1, s18, s40
	s_addc_u32 s4, s19, s41
	s_ashr_i32 s43, s42, 31
	s_delay_alu instid0(SALU_CYCLE_1) | instskip(NEXT) | instid1(SALU_CYCLE_1)
	s_lshl_b64 s[18:19], s[42:43], 2
	s_add_u32 s1, s1, s18
	s_addc_u32 s4, s4, s19
	;; [unrolled: 5-line block ×3, first 2 shown]
	s_add_u32 s1, s16, s40
	s_addc_u32 s4, s17, s41
	s_add_u32 s1, s1, s18
	s_addc_u32 s4, s4, s19
	;; [unrolled: 2-line block ×3, first 2 shown]
	s_clause 0x1
	global_store_b32 v3, v1, s[44:45]
	global_store_b32 v3, v2, s[16:17]
.LBB165_36:
	s_or_b32 exec_lo, exec_lo, s0
	v_dual_mov_b32 v25, 0 :: v_dual_mov_b32 v20, 0
	v_dual_mov_b32 v21, 0 :: v_dual_mov_b32 v22, 0
	;; [unrolled: 1-line block ×4, first 2 shown]
	s_mov_b32 s4, 0
	s_and_saveexec_b32 s1, s3
	s_cbranch_execz .LBB165_346
; %bb.37:
	s_ashr_i32 s7, s6, 31
	s_sub_i32 s3, s38, s9
	s_lshl_b64 s[6:7], s[6:7], 1
	v_dual_mov_b32 v18, 0 :: v_dual_lshlrev_b32 v5, 5, v13
	s_add_u32 s0, s30, s6
	s_addc_u32 s9, s31, s7
	s_abs_i32 s6, s10
	s_lshl_b64 s[16:17], s[28:29], 2
	v_cvt_f32_u32_e32 v1, s6
	s_sub_i32 s7, 0, s6
	v_lshl_or_b32 v5, v14, 6, v5
	v_dual_mov_b32 v23, 0 :: v_dual_and_b32 v26, 8, v11
	s_delay_alu instid0(VALU_DEP_3)
	v_rcp_iflag_f32_e32 v3, v1
	v_lshlrev_b32_e32 v4, 4, v0
	v_lshlrev_b64 v[1:2], 2, v[9:10]
	v_dual_mov_b32 v24, 0 :: v_dual_mov_b32 v19, 0
	v_dual_mov_b32 v22, 0 :: v_dual_mov_b32 v21, 0
	v_dual_mov_b32 v20, 0 :: v_dual_add_nc_u32 v29, 0x120, v5
	v_mov_b32_e32 v25, 0
	s_delay_alu instid0(TRANS32_DEP_1) | instskip(SKIP_1) | instid1(VALU_DEP_2)
	v_mul_f32_e32 v3, 0x4f7ffffe, v3
	v_and_b32_e32 v4, 0x1f0, v4
	v_cvt_u32_f32_e32 v3, v3
	s_delay_alu instid0(VALU_DEP_2) | instskip(NEXT) | instid1(VALU_DEP_1)
	v_add_co_u32 v27, s0, s0, v4
	v_add_co_ci_u32_e64 v28, null, s9, 0, s0
	s_delay_alu instid0(VALU_DEP_3)
	v_mul_lo_u32 v6, s7, v3
	s_add_i32 s7, s37, -1
	s_add_u32 s10, s26, s16
	s_addc_u32 s13, s27, s17
	v_add_co_u32 v10, vcc_lo, s10, v1
	v_add_co_ci_u32_e32 v11, vcc_lo, s13, v2, vcc_lo
	s_delay_alu instid0(VALU_DEP_3) | instskip(NEXT) | instid1(VALU_DEP_1)
	v_mul_hi_u32 v6, v3, v6
	v_add_nc_u32_e32 v30, v3, v6
	s_branch .LBB165_40
.LBB165_38:                             ;   in Loop: Header=BB165_40 Depth=1
	s_or_b32 exec_lo, exec_lo, s0
	v_and_b32_e32 v44, 0xffff0000, v98
	v_and_b32_e32 v45, 0xffff0000, v97
	;; [unrolled: 1-line block ×6, first 2 shown]
	v_dual_add_f32 v44, v45, v44 :: v_dual_and_b32 v41, 0xffff0000, v94
	v_and_b32_e32 v40, 0xffff0000, v96
	v_and_b32_e32 v46, 0xffff0000, v85
	;; [unrolled: 1-line block ×3, first 2 shown]
	s_delay_alu instid0(VALU_DEP_4) | instskip(NEXT) | instid1(VALU_DEP_4)
	v_dual_add_f32 v41, v42, v41 :: v_dual_and_b32 v2, 0xffff0000, v2
	v_add_f32_e32 v40, v43, v40
	v_and_b32_e32 v42, 0xffff0000, v99
	v_and_b32_e32 v34, 0xffff0000, v34
	s_delay_alu instid0(VALU_DEP_4) | instskip(NEXT) | instid1(VALU_DEP_4)
	v_dual_add_f32 v2, v2, v6 :: v_dual_and_b32 v5, 0xffff0000, v5
	v_dual_add_f32 v40, v41, v40 :: v_dual_and_b32 v45, 0xffff0000, v89
	v_and_b32_e32 v1, 0xffff0000, v1
	v_and_b32_e32 v32, 0xffff0000, v32
	;; [unrolled: 1-line block ×3, first 2 shown]
	s_delay_alu instid0(VALU_DEP_4)
	v_add_f32_e32 v40, v40, v44
	v_and_b32_e32 v43, 0xffff0000, v100
	v_and_b32_e32 v41, 0xffff0000, v90
	;; [unrolled: 1-line block ×5, first 2 shown]
	s_delay_alu instid0(VALU_DEP_4) | instskip(SKIP_2) | instid1(VALU_DEP_3)
	v_dual_add_f32 v42, v42, v43 :: v_dual_add_f32 v41, v45, v41
	v_and_b32_e32 v44, 0xffff0000, v86
	v_and_b32_e32 v51, 0xffff0000, v79
	v_dual_add_f32 v1, v1, v5 :: v_dual_add_f32 v40, v40, v42
	v_and_b32_e32 v42, 0xffff0000, v91
	s_delay_alu instid0(VALU_DEP_4) | instskip(SKIP_4) | instid1(VALU_DEP_4)
	v_add_f32_e32 v44, v46, v44
	v_and_b32_e32 v46, 0xffff0000, v80
	v_and_b32_e32 v43, 0xffff0000, v88
	v_add_f32_e32 v21, v21, v40
	v_and_b32_e32 v31, 0xffff0000, v31
	v_dual_add_f32 v46, v51, v46 :: v_dual_and_b32 v7, 0xffff0000, v7
	s_delay_alu instid0(VALU_DEP_4) | instskip(SKIP_1) | instid1(VALU_DEP_3)
	v_dual_add_f32 v43, v48, v43 :: v_dual_and_b32 v48, 0xffff0000, v78
	v_add_f32_e32 v1, v1, v2
	v_add_f32_e32 v7, v7, v8
	s_delay_alu instid0(VALU_DEP_3) | instskip(NEXT) | instid1(VALU_DEP_4)
	v_dual_add_f32 v8, v31, v32 :: v_dual_add_f32 v43, v44, v43
	v_dual_add_f32 v45, v50, v48 :: v_dual_and_b32 v44, 0xffff0000, v82
	v_and_b32_e32 v48, 0xffff0000, v81
	s_delay_alu instid0(VALU_DEP_3) | instskip(SKIP_2) | instid1(VALU_DEP_4)
	v_dual_add_f32 v41, v43, v41 :: v_dual_and_b32 v50, 0xffff0000, v67
	v_and_b32_e32 v49, 0xffff0000, v92
	v_and_b32_e32 v43, 0xffff0000, v83
	v_dual_add_f32 v45, v45, v46 :: v_dual_add_f32 v44, v48, v44
	v_and_b32_e32 v46, 0xffff0000, v84
	s_delay_alu instid0(VALU_DEP_4) | instskip(SKIP_3) | instid1(VALU_DEP_4)
	v_add_f32_e32 v42, v42, v49
	v_and_b32_e32 v48, 0xffff0000, v63
	v_and_b32_e32 v49, 0xffff0000, v65
	;; [unrolled: 1-line block ×3, first 2 shown]
	v_dual_add_f32 v40, v41, v42 :: v_dual_and_b32 v47, 0xffff0000, v47
	v_dual_add_f32 v41, v45, v44 :: v_dual_add_f32 v42, v43, v46
	v_and_b32_e32 v43, 0xffff0000, v72
	v_and_b32_e32 v44, 0xffff0000, v70
	s_delay_alu instid0(VALU_DEP_4) | instskip(NEXT) | instid1(VALU_DEP_4)
	v_dual_add_f32 v20, v20, v40 :: v_dual_and_b32 v45, 0xffff0000, v69
	v_add_f32_e32 v40, v41, v42
	v_and_b32_e32 v46, 0xffff0000, v71
	s_delay_alu instid0(VALU_DEP_3) | instskip(SKIP_1) | instid1(VALU_DEP_4)
	v_dual_add_f32 v42, v45, v44 :: v_dual_and_b32 v41, 0xffff0000, v74
	v_and_b32_e32 v45, 0xffff0000, v76
	v_dual_add_f32 v19, v19, v40 :: v_dual_and_b32 v40, 0xffff0000, v75
	s_delay_alu instid0(VALU_DEP_4) | instskip(SKIP_2) | instid1(VALU_DEP_4)
	v_dual_add_f32 v43, v46, v43 :: v_dual_and_b32 v44, 0xffff0000, v73
	v_and_b32_e32 v46, 0xffff0000, v61
	v_add_f32_e32 v2, v3, v31
	v_add_f32_e32 v40, v40, v45
	s_delay_alu instid0(VALU_DEP_4) | instskip(SKIP_3) | instid1(VALU_DEP_4)
	v_dual_add_f32 v42, v42, v43 :: v_dual_and_b32 v43, 0xffff0000, v64
	v_add_f32_e32 v41, v44, v41
	v_and_b32_e32 v3, 0xffff0000, v39
	v_dual_add_f32 v5, v7, v8 :: v_dual_and_b32 v44, 0xffff0000, v62
	v_add_f32_e32 v43, v48, v43
	s_delay_alu instid0(VALU_DEP_4) | instskip(SKIP_2) | instid1(VALU_DEP_3)
	v_dual_add_f32 v41, v42, v41 :: v_dual_and_b32 v42, 0xffff0000, v66
	v_dual_add_f32 v1, v1, v2 :: v_dual_and_b32 v48, 0xffff0000, v55
	;; [unrolled: 1-line block ×3, first 2 shown]
	v_add_f32_e32 v3, v41, v40
	s_delay_alu instid0(VALU_DEP_4) | instskip(SKIP_2) | instid1(VALU_DEP_4)
	v_add_f32_e32 v42, v49, v42
	v_add_f32_e32 v44, v46, v44
	v_and_b32_e32 v38, 0xffff0000, v38
	v_dual_add_f32 v6, v33, v34 :: v_dual_add_f32 v23, v23, v3
	v_and_b32_e32 v46, 0xffff0000, v56
	v_and_b32_e32 v45, 0xffff0000, v59
	s_delay_alu instid0(VALU_DEP_4) | instskip(NEXT) | instid1(VALU_DEP_4)
	v_dual_add_f32 v38, v38, v47 :: v_dual_and_b32 v47, 0xffff0000, v57
	v_add_f32_e32 v5, v5, v6
	s_delay_alu instid0(VALU_DEP_4) | instskip(SKIP_3) | instid1(VALU_DEP_4)
	v_add_f32_e32 v46, v48, v46
	v_add_f32_e32 v43, v44, v43
	v_and_b32_e32 v35, 0xffff0000, v35
	v_dual_add_f32 v1, v1, v2 :: v_dual_and_b32 v48, 0xffff0000, v68
	v_add_f32_e32 v38, v38, v46
	v_and_b32_e32 v46, 0xffff0000, v60
	s_delay_alu instid0(VALU_DEP_4) | instskip(NEXT) | instid1(VALU_DEP_4)
	v_add_f32_e32 v6, v35, v36
	v_dual_add_f32 v42, v43, v42 :: v_dual_add_f32 v25, v25, v1
	s_delay_alu instid0(VALU_DEP_3) | instskip(SKIP_1) | instid1(VALU_DEP_4)
	v_add_f32_e32 v7, v45, v46
	v_and_b32_e32 v44, 0xffff0000, v58
	v_add_f32_e32 v5, v5, v6
	v_add_f32_e32 v43, v50, v48
	s_delay_alu instid0(VALU_DEP_3) | instskip(NEXT) | instid1(VALU_DEP_3)
	v_add_f32_e32 v44, v47, v44
	v_add_f32_e32 v18, v18, v5
	s_delay_alu instid0(VALU_DEP_3) | instskip(NEXT) | instid1(VALU_DEP_3)
	v_add_f32_e32 v4, v42, v43
	v_add_f32_e32 v38, v38, v44
	s_delay_alu instid0(VALU_DEP_2) | instskip(NEXT) | instid1(VALU_DEP_2)
	v_add_f32_e32 v22, v22, v4
	v_add_f32_e32 v7, v38, v7
	s_delay_alu instid0(VALU_DEP_1)
	v_add_f32_e32 v24, v24, v7
.LBB165_39:                             ;   in Loop: Header=BB165_40 Depth=1
	s_or_b32 exec_lo, exec_lo, s9
	v_add_nc_u32_e32 v9, 4, v9
	v_add_co_u32 v10, s0, v10, 16
	s_delay_alu instid0(VALU_DEP_1) | instskip(NEXT) | instid1(VALU_DEP_3)
	v_add_co_ci_u32_e64 v11, s0, 0, v11, s0
	v_cmp_le_i32_e32 vcc_lo, s34, v9
	v_add_nc_u32_e32 v15, 64, v15
	v_add_nc_u32_e32 v29, 0x100, v29
	s_or_b32 s4, vcc_lo, s4
	s_delay_alu instid0(SALU_CYCLE_1)
	s_and_not1_b32 exec_lo, exec_lo, s4
	s_cbranch_execz .LBB165_345
.LBB165_40:                             ; =>This Inner Loop Header: Depth=1
	v_sub_nc_u32_e32 v1, 0, v15
	s_delay_alu instid0(VALU_DEP_1) | instskip(NEXT) | instid1(VALU_DEP_1)
	v_max_i32_e32 v1, v15, v1
	v_mul_hi_u32 v2, v1, s25
	s_delay_alu instid0(VALU_DEP_1) | instskip(NEXT) | instid1(VALU_DEP_1)
	v_mul_lo_u32 v3, v2, s21
	v_sub_nc_u32_e32 v1, v1, v3
	v_add_nc_u32_e32 v3, 1, v2
	s_delay_alu instid0(VALU_DEP_2) | instskip(SKIP_1) | instid1(VALU_DEP_2)
	v_subrev_nc_u32_e32 v4, s21, v1
	v_cmp_le_u32_e32 vcc_lo, s21, v1
	v_dual_cndmask_b32 v2, v2, v3 :: v_dual_cndmask_b32 v1, v1, v4
	v_ashrrev_i32_e32 v3, 31, v15
	s_delay_alu instid0(VALU_DEP_2) | instskip(NEXT) | instid1(VALU_DEP_3)
	v_add_nc_u32_e32 v4, 1, v2
	v_cmp_le_u32_e32 vcc_lo, s21, v1
	s_delay_alu instid0(VALU_DEP_3) | instskip(NEXT) | instid1(VALU_DEP_3)
	v_xor_b32_e32 v3, s11, v3
	v_cndmask_b32_e32 v1, v2, v4, vcc_lo
	s_delay_alu instid0(VALU_DEP_1) | instskip(NEXT) | instid1(VALU_DEP_1)
	v_xor_b32_e32 v1, v1, v3
	v_sub_nc_u32_e32 v1, v1, v3
	s_delay_alu instid0(VALU_DEP_1) | instskip(SKIP_1) | instid1(VALU_DEP_2)
	v_add_nc_u32_e32 v2, s36, v1
	v_cmp_lt_i32_e64 s0, s3, v1
	v_sub_nc_u32_e32 v3, 0, v2
	s_delay_alu instid0(VALU_DEP_1) | instskip(NEXT) | instid1(VALU_DEP_1)
	v_max_i32_e32 v3, v2, v3
	v_mul_hi_u32 v4, v3, v30
	s_delay_alu instid0(VALU_DEP_1) | instskip(NEXT) | instid1(VALU_DEP_1)
	v_mul_lo_u32 v4, v4, s6
	v_sub_nc_u32_e32 v3, v3, v4
	s_delay_alu instid0(VALU_DEP_1) | instskip(SKIP_1) | instid1(VALU_DEP_2)
	v_subrev_nc_u32_e32 v4, s6, v3
	v_cmp_le_u32_e32 vcc_lo, s6, v3
	v_cndmask_b32_e32 v3, v3, v4, vcc_lo
	v_ashrrev_i32_e32 v2, 31, v2
	s_delay_alu instid0(VALU_DEP_2) | instskip(SKIP_1) | instid1(VALU_DEP_2)
	v_subrev_nc_u32_e32 v4, s6, v3
	v_cmp_le_u32_e32 vcc_lo, s6, v3
	v_cndmask_b32_e32 v3, v3, v4, vcc_lo
	s_delay_alu instid0(VALU_DEP_1) | instskip(NEXT) | instid1(VALU_DEP_1)
	v_xor_b32_e32 v3, v3, v2
	v_sub_nc_u32_e32 v2, v3, v2
	s_delay_alu instid0(VALU_DEP_1) | instskip(SKIP_1) | instid1(SALU_CYCLE_1)
	v_cmp_eq_u32_e32 vcc_lo, 0, v2
	s_or_b32 s0, vcc_lo, s0
	s_and_saveexec_b32 s9, s0
	s_cbranch_execz .LBB165_39
; %bb.41:                               ;   in Loop: Header=BB165_40 Depth=1
	global_load_b32 v37, v[10:11], off
	ds_load_2addr_b64 v[5:8], v29 offset1:1
	ds_load_2addr_b64 v[1:4], v29 offset0:2 offset1:3
	s_mov_b32 s0, exec_lo
                                        ; implicit-def: $vgpr46
	s_waitcnt lgkmcnt(1)
	v_and_b32_e32 v31, 0x7f800000, v5
	s_delay_alu instid0(VALU_DEP_1)
	v_cmpx_ne_u32_e32 0x7f800000, v31
	s_xor_b32 s0, exec_lo, s0
; %bb.42:                               ;   in Loop: Header=BB165_40 Depth=1
	v_bfe_u32 v31, v5, 16, 1
	s_delay_alu instid0(VALU_DEP_1)
	v_add3_u32 v46, v5, v31, 0x7fff
; %bb.43:                               ;   in Loop: Header=BB165_40 Depth=1
	s_and_not1_saveexec_b32 s0, s0
; %bb.44:                               ;   in Loop: Header=BB165_40 Depth=1
	v_and_b32_e32 v31, 0xffff, v5
	v_or_b32_e32 v32, 0x10000, v5
	s_delay_alu instid0(VALU_DEP_2) | instskip(NEXT) | instid1(VALU_DEP_2)
	v_cmp_eq_u32_e32 vcc_lo, 0, v31
	v_cndmask_b32_e32 v46, v32, v5, vcc_lo
; %bb.45:                               ;   in Loop: Header=BB165_40 Depth=1
	s_or_b32 exec_lo, exec_lo, s0
	v_and_b32_e32 v5, 0x7f800000, v6
	s_mov_b32 s0, exec_lo
                                        ; implicit-def: $vgpr38
	s_delay_alu instid0(VALU_DEP_1)
	v_cmpx_ne_u32_e32 0x7f800000, v5
	s_xor_b32 s0, exec_lo, s0
; %bb.46:                               ;   in Loop: Header=BB165_40 Depth=1
	v_bfe_u32 v5, v6, 16, 1
	s_delay_alu instid0(VALU_DEP_1)
	v_add3_u32 v38, v6, v5, 0x7fff
; %bb.47:                               ;   in Loop: Header=BB165_40 Depth=1
	s_and_not1_saveexec_b32 s0, s0
; %bb.48:                               ;   in Loop: Header=BB165_40 Depth=1
	v_and_b32_e32 v5, 0xffff, v6
	v_or_b32_e32 v31, 0x10000, v6
	s_delay_alu instid0(VALU_DEP_2) | instskip(NEXT) | instid1(VALU_DEP_2)
	v_cmp_eq_u32_e32 vcc_lo, 0, v5
	v_cndmask_b32_e32 v38, v31, v6, vcc_lo
; %bb.49:                               ;   in Loop: Header=BB165_40 Depth=1
	s_or_b32 exec_lo, exec_lo, s0
	v_and_b32_e32 v5, 0x7f800000, v7
	s_mov_b32 s0, exec_lo
                                        ; implicit-def: $vgpr31
	s_delay_alu instid0(VALU_DEP_1)
	v_cmpx_ne_u32_e32 0x7f800000, v5
	s_xor_b32 s0, exec_lo, s0
; %bb.50:                               ;   in Loop: Header=BB165_40 Depth=1
	v_bfe_u32 v5, v7, 16, 1
	s_delay_alu instid0(VALU_DEP_1)
	v_add3_u32 v31, v7, v5, 0x7fff
; %bb.51:                               ;   in Loop: Header=BB165_40 Depth=1
	s_and_not1_saveexec_b32 s0, s0
; %bb.52:                               ;   in Loop: Header=BB165_40 Depth=1
	v_and_b32_e32 v5, 0xffff, v7
	v_or_b32_e32 v6, 0x10000, v7
	s_delay_alu instid0(VALU_DEP_2) | instskip(NEXT) | instid1(VALU_DEP_2)
	v_cmp_eq_u32_e32 vcc_lo, 0, v5
	v_cndmask_b32_e32 v31, v6, v7, vcc_lo
; %bb.53:                               ;   in Loop: Header=BB165_40 Depth=1
	s_or_b32 exec_lo, exec_lo, s0
	v_and_b32_e32 v5, 0x7f800000, v8
	s_mov_b32 s0, exec_lo
                                        ; implicit-def: $vgpr32
	s_delay_alu instid0(VALU_DEP_1)
	v_cmpx_ne_u32_e32 0x7f800000, v5
	s_xor_b32 s0, exec_lo, s0
; %bb.54:                               ;   in Loop: Header=BB165_40 Depth=1
	v_bfe_u32 v5, v8, 16, 1
	s_delay_alu instid0(VALU_DEP_1)
	v_add3_u32 v32, v8, v5, 0x7fff
                                        ; implicit-def: $vgpr5_vgpr6_vgpr7_vgpr8
; %bb.55:                               ;   in Loop: Header=BB165_40 Depth=1
	s_and_not1_saveexec_b32 s0, s0
; %bb.56:                               ;   in Loop: Header=BB165_40 Depth=1
	v_and_b32_e32 v5, 0xffff, v8
	v_or_b32_e32 v6, 0x10000, v8
	s_delay_alu instid0(VALU_DEP_2) | instskip(NEXT) | instid1(VALU_DEP_2)
	v_cmp_eq_u32_e32 vcc_lo, 0, v5
	v_cndmask_b32_e32 v32, v6, v8, vcc_lo
; %bb.57:                               ;   in Loop: Header=BB165_40 Depth=1
	s_or_b32 exec_lo, exec_lo, s0
	s_waitcnt lgkmcnt(0)
	v_and_b32_e32 v5, 0x7f800000, v1
	s_mov_b32 s0, exec_lo
                                        ; implicit-def: $vgpr33
	s_delay_alu instid0(VALU_DEP_1)
	v_cmpx_ne_u32_e32 0x7f800000, v5
	s_xor_b32 s0, exec_lo, s0
; %bb.58:                               ;   in Loop: Header=BB165_40 Depth=1
	v_bfe_u32 v5, v1, 16, 1
	s_delay_alu instid0(VALU_DEP_1)
	v_add3_u32 v33, v1, v5, 0x7fff
; %bb.59:                               ;   in Loop: Header=BB165_40 Depth=1
	s_and_not1_saveexec_b32 s0, s0
; %bb.60:                               ;   in Loop: Header=BB165_40 Depth=1
	v_and_b32_e32 v5, 0xffff, v1
	v_or_b32_e32 v6, 0x10000, v1
	s_delay_alu instid0(VALU_DEP_2) | instskip(NEXT) | instid1(VALU_DEP_2)
	v_cmp_eq_u32_e32 vcc_lo, 0, v5
	v_cndmask_b32_e32 v33, v6, v1, vcc_lo
; %bb.61:                               ;   in Loop: Header=BB165_40 Depth=1
	s_or_b32 exec_lo, exec_lo, s0
	v_and_b32_e32 v1, 0x7f800000, v2
	s_mov_b32 s0, exec_lo
                                        ; implicit-def: $vgpr34
	s_delay_alu instid0(VALU_DEP_1)
	v_cmpx_ne_u32_e32 0x7f800000, v1
	s_xor_b32 s0, exec_lo, s0
; %bb.62:                               ;   in Loop: Header=BB165_40 Depth=1
	v_bfe_u32 v1, v2, 16, 1
	s_delay_alu instid0(VALU_DEP_1)
	v_add3_u32 v34, v2, v1, 0x7fff
; %bb.63:                               ;   in Loop: Header=BB165_40 Depth=1
	s_and_not1_saveexec_b32 s0, s0
; %bb.64:                               ;   in Loop: Header=BB165_40 Depth=1
	v_and_b32_e32 v1, 0xffff, v2
	v_or_b32_e32 v5, 0x10000, v2
	s_delay_alu instid0(VALU_DEP_2) | instskip(NEXT) | instid1(VALU_DEP_2)
	v_cmp_eq_u32_e32 vcc_lo, 0, v1
	v_cndmask_b32_e32 v34, v5, v2, vcc_lo
; %bb.65:                               ;   in Loop: Header=BB165_40 Depth=1
	s_or_b32 exec_lo, exec_lo, s0
	v_and_b32_e32 v1, 0x7f800000, v3
	s_mov_b32 s0, exec_lo
                                        ; implicit-def: $vgpr35
	s_delay_alu instid0(VALU_DEP_1)
	v_cmpx_ne_u32_e32 0x7f800000, v1
	s_xor_b32 s0, exec_lo, s0
; %bb.66:                               ;   in Loop: Header=BB165_40 Depth=1
	v_bfe_u32 v1, v3, 16, 1
	s_delay_alu instid0(VALU_DEP_1)
	v_add3_u32 v35, v3, v1, 0x7fff
; %bb.67:                               ;   in Loop: Header=BB165_40 Depth=1
	s_and_not1_saveexec_b32 s0, s0
; %bb.68:                               ;   in Loop: Header=BB165_40 Depth=1
	v_and_b32_e32 v1, 0xffff, v3
	v_or_b32_e32 v2, 0x10000, v3
	s_delay_alu instid0(VALU_DEP_2) | instskip(NEXT) | instid1(VALU_DEP_2)
	v_cmp_eq_u32_e32 vcc_lo, 0, v1
	v_cndmask_b32_e32 v35, v2, v3, vcc_lo
; %bb.69:                               ;   in Loop: Header=BB165_40 Depth=1
	s_or_b32 exec_lo, exec_lo, s0
	v_and_b32_e32 v1, 0x7f800000, v4
	s_mov_b32 s0, exec_lo
                                        ; implicit-def: $vgpr36
	s_delay_alu instid0(VALU_DEP_1)
	v_cmpx_ne_u32_e32 0x7f800000, v1
	s_xor_b32 s0, exec_lo, s0
; %bb.70:                               ;   in Loop: Header=BB165_40 Depth=1
	v_bfe_u32 v1, v4, 16, 1
	s_delay_alu instid0(VALU_DEP_1)
	v_add3_u32 v36, v4, v1, 0x7fff
                                        ; implicit-def: $vgpr1_vgpr2_vgpr3_vgpr4
; %bb.71:                               ;   in Loop: Header=BB165_40 Depth=1
	s_and_not1_saveexec_b32 s0, s0
; %bb.72:                               ;   in Loop: Header=BB165_40 Depth=1
	v_and_b32_e32 v1, 0xffff, v4
	v_or_b32_e32 v2, 0x10000, v4
	s_delay_alu instid0(VALU_DEP_2) | instskip(NEXT) | instid1(VALU_DEP_2)
	v_cmp_eq_u32_e32 vcc_lo, 0, v1
	v_cndmask_b32_e32 v36, v2, v4, vcc_lo
; %bb.73:                               ;   in Loop: Header=BB165_40 Depth=1
	s_or_b32 exec_lo, exec_lo, s0
	s_waitcnt vmcnt(0)
	v_mad_i64_i32 v[1:2], null, v37, s5, 0
	v_add_nc_u32_e32 v37, v26, v15
	s_delay_alu instid0(VALU_DEP_1) | instskip(NEXT) | instid1(VALU_DEP_3)
	v_add_nc_u32_e32 v45, 1, v37
	v_lshlrev_b64 v[1:2], 1, v[1:2]
	v_add_nc_u32_e32 v44, 2, v37
	v_add_nc_u32_e32 v42, 3, v37
	;; [unrolled: 1-line block ×5, first 2 shown]
	v_add_co_u32 v5, vcc_lo, v27, v1
	v_add_co_ci_u32_e32 v6, vcc_lo, v28, v2, vcc_lo
	v_cmp_eq_u32_e32 vcc_lo, s7, v9
	v_add_nc_u32_e32 v43, 7, v37
	global_load_b128 v[1:4], v[5:6], off
	s_waitcnt vmcnt(0)
	v_lshrrev_b32_e32 v8, 16, v1
	v_lshrrev_b32_e32 v51, 16, v2
	;; [unrolled: 1-line block ×4, first 2 shown]
	s_and_saveexec_b32 s10, vcc_lo
	s_cbranch_execz .LBB165_75
; %bb.74:                               ;   in Loop: Header=BB165_40 Depth=1
	v_cmp_gt_i32_e64 s0, s33, v37
	s_delay_alu instid0(VALU_DEP_1) | instskip(SKIP_1) | instid1(VALU_DEP_1)
	v_cndmask_b32_e64 v1, 0, v1, s0
	v_cmp_gt_i32_e64 s0, s33, v45
	v_cndmask_b32_e64 v8, 0, v8, s0
	v_cmp_gt_i32_e64 s0, s33, v44
	s_delay_alu instid0(VALU_DEP_1) | instskip(SKIP_1) | instid1(VALU_DEP_1)
	v_cndmask_b32_e64 v2, 0, v2, s0
	v_cmp_gt_i32_e64 s0, s33, v42
	v_cndmask_b32_e64 v51, 0, v51, s0
	;; [unrolled: 5-line block ×4, first 2 shown]
.LBB165_75:                             ;   in Loop: Header=BB165_40 Depth=1
	s_or_b32 exec_lo, exec_lo, s10
	v_and_b32_e32 v46, 0xffff0000, v46
	v_lshlrev_b32_e32 v1, 16, v1
	s_delay_alu instid0(VALU_DEP_1) | instskip(NEXT) | instid1(VALU_DEP_1)
	v_mul_f32_e32 v1, v46, v1
	v_and_b32_e32 v7, 0x7f800000, v1
	s_delay_alu instid0(VALU_DEP_1) | instskip(NEXT) | instid1(VALU_DEP_1)
	v_cmp_ne_u32_e64 s0, 0x7f800000, v7
                                        ; implicit-def: $vgpr7
	s_and_saveexec_b32 s10, s0
	s_delay_alu instid0(SALU_CYCLE_1)
	s_xor_b32 s0, exec_lo, s10
; %bb.76:                               ;   in Loop: Header=BB165_40 Depth=1
	v_bfe_u32 v7, v1, 16, 1
	s_delay_alu instid0(VALU_DEP_1)
	v_add3_u32 v7, v1, v7, 0x7fff
                                        ; implicit-def: $vgpr1
; %bb.77:                               ;   in Loop: Header=BB165_40 Depth=1
	s_and_not1_saveexec_b32 s10, s0
; %bb.78:                               ;   in Loop: Header=BB165_40 Depth=1
	v_and_b32_e32 v7, 0xffff, v1
	v_or_b32_e32 v48, 0x10000, v1
	s_delay_alu instid0(VALU_DEP_2) | instskip(NEXT) | instid1(VALU_DEP_1)
	v_cmp_eq_u32_e64 s0, 0, v7
	v_cndmask_b32_e64 v7, v48, v1, s0
; %bb.79:                               ;   in Loop: Header=BB165_40 Depth=1
	s_or_b32 exec_lo, exec_lo, s10
	v_and_b32_e32 v48, 0xffff0000, v38
	v_lshlrev_b32_e32 v1, 16, v8
	s_delay_alu instid0(VALU_DEP_1) | instskip(NEXT) | instid1(VALU_DEP_1)
	v_mul_f32_e32 v1, v48, v1
	v_and_b32_e32 v8, 0x7f800000, v1
	s_delay_alu instid0(VALU_DEP_1) | instskip(NEXT) | instid1(VALU_DEP_1)
	v_cmp_ne_u32_e64 s0, 0x7f800000, v8
                                        ; implicit-def: $vgpr8
	s_and_saveexec_b32 s10, s0
	s_delay_alu instid0(SALU_CYCLE_1)
	s_xor_b32 s0, exec_lo, s10
; %bb.80:                               ;   in Loop: Header=BB165_40 Depth=1
	v_bfe_u32 v8, v1, 16, 1
	s_delay_alu instid0(VALU_DEP_1)
	v_add3_u32 v8, v1, v8, 0x7fff
                                        ; implicit-def: $vgpr1
; %bb.81:                               ;   in Loop: Header=BB165_40 Depth=1
	s_and_not1_saveexec_b32 s10, s0
; %bb.82:                               ;   in Loop: Header=BB165_40 Depth=1
	v_and_b32_e32 v8, 0xffff, v1
	v_or_b32_e32 v38, 0x10000, v1
	s_delay_alu instid0(VALU_DEP_2) | instskip(NEXT) | instid1(VALU_DEP_1)
	v_cmp_eq_u32_e64 s0, 0, v8
	v_cndmask_b32_e64 v8, v38, v1, s0
; %bb.83:                               ;   in Loop: Header=BB165_40 Depth=1
	s_or_b32 exec_lo, exec_lo, s10
	v_and_b32_e32 v49, 0xffff0000, v31
	v_lshlrev_b32_e32 v1, 16, v2
                                        ; implicit-def: $vgpr31
	s_delay_alu instid0(VALU_DEP_1) | instskip(NEXT) | instid1(VALU_DEP_1)
	v_mul_f32_e32 v1, v49, v1
	v_and_b32_e32 v2, 0x7f800000, v1
	s_delay_alu instid0(VALU_DEP_1) | instskip(NEXT) | instid1(VALU_DEP_1)
	v_cmp_ne_u32_e64 s0, 0x7f800000, v2
	s_and_saveexec_b32 s10, s0
	s_delay_alu instid0(SALU_CYCLE_1)
	s_xor_b32 s0, exec_lo, s10
; %bb.84:                               ;   in Loop: Header=BB165_40 Depth=1
	v_bfe_u32 v2, v1, 16, 1
	s_delay_alu instid0(VALU_DEP_1)
	v_add3_u32 v31, v1, v2, 0x7fff
                                        ; implicit-def: $vgpr1
; %bb.85:                               ;   in Loop: Header=BB165_40 Depth=1
	s_and_not1_saveexec_b32 s10, s0
; %bb.86:                               ;   in Loop: Header=BB165_40 Depth=1
	v_and_b32_e32 v2, 0xffff, v1
	v_or_b32_e32 v31, 0x10000, v1
	s_delay_alu instid0(VALU_DEP_2) | instskip(NEXT) | instid1(VALU_DEP_1)
	v_cmp_eq_u32_e64 s0, 0, v2
	v_cndmask_b32_e64 v31, v31, v1, s0
; %bb.87:                               ;   in Loop: Header=BB165_40 Depth=1
	s_or_b32 exec_lo, exec_lo, s10
	v_and_b32_e32 v50, 0xffff0000, v32
	v_lshlrev_b32_e32 v1, 16, v51
                                        ; implicit-def: $vgpr32
	s_delay_alu instid0(VALU_DEP_1) | instskip(NEXT) | instid1(VALU_DEP_1)
	v_mul_f32_e32 v1, v50, v1
	v_and_b32_e32 v2, 0x7f800000, v1
	s_delay_alu instid0(VALU_DEP_1) | instskip(NEXT) | instid1(VALU_DEP_1)
	v_cmp_ne_u32_e64 s0, 0x7f800000, v2
	s_and_saveexec_b32 s10, s0
	s_delay_alu instid0(SALU_CYCLE_1)
	s_xor_b32 s0, exec_lo, s10
; %bb.88:                               ;   in Loop: Header=BB165_40 Depth=1
	v_bfe_u32 v2, v1, 16, 1
	s_delay_alu instid0(VALU_DEP_1)
	v_add3_u32 v32, v1, v2, 0x7fff
                                        ; implicit-def: $vgpr1
; %bb.89:                               ;   in Loop: Header=BB165_40 Depth=1
	s_and_not1_saveexec_b32 s10, s0
; %bb.90:                               ;   in Loop: Header=BB165_40 Depth=1
	v_and_b32_e32 v2, 0xffff, v1
	v_or_b32_e32 v32, 0x10000, v1
	s_delay_alu instid0(VALU_DEP_2) | instskip(NEXT) | instid1(VALU_DEP_1)
	v_cmp_eq_u32_e64 s0, 0, v2
	v_cndmask_b32_e64 v32, v32, v1, s0
; %bb.91:                               ;   in Loop: Header=BB165_40 Depth=1
	s_or_b32 exec_lo, exec_lo, s10
	v_and_b32_e32 v51, 0xffff0000, v33
	v_lshlrev_b32_e32 v1, 16, v3
                                        ; implicit-def: $vgpr33
	s_delay_alu instid0(VALU_DEP_1) | instskip(NEXT) | instid1(VALU_DEP_1)
	v_mul_f32_e32 v1, v51, v1
	v_and_b32_e32 v2, 0x7f800000, v1
	s_delay_alu instid0(VALU_DEP_1) | instskip(NEXT) | instid1(VALU_DEP_1)
	v_cmp_ne_u32_e64 s0, 0x7f800000, v2
	s_and_saveexec_b32 s10, s0
	s_delay_alu instid0(SALU_CYCLE_1)
	s_xor_b32 s0, exec_lo, s10
; %bb.92:                               ;   in Loop: Header=BB165_40 Depth=1
	v_bfe_u32 v2, v1, 16, 1
	s_delay_alu instid0(VALU_DEP_1)
	v_add3_u32 v33, v1, v2, 0x7fff
                                        ; implicit-def: $vgpr1
; %bb.93:                               ;   in Loop: Header=BB165_40 Depth=1
	s_and_not1_saveexec_b32 s10, s0
; %bb.94:                               ;   in Loop: Header=BB165_40 Depth=1
	v_and_b32_e32 v2, 0xffff, v1
	v_or_b32_e32 v3, 0x10000, v1
	s_delay_alu instid0(VALU_DEP_2) | instskip(NEXT) | instid1(VALU_DEP_1)
	v_cmp_eq_u32_e64 s0, 0, v2
	v_cndmask_b32_e64 v33, v3, v1, s0
; %bb.95:                               ;   in Loop: Header=BB165_40 Depth=1
	s_or_b32 exec_lo, exec_lo, s10
	v_and_b32_e32 v52, 0xffff0000, v34
	v_lshlrev_b32_e32 v1, 16, v53
                                        ; implicit-def: $vgpr34
	s_delay_alu instid0(VALU_DEP_1) | instskip(NEXT) | instid1(VALU_DEP_1)
	v_mul_f32_e32 v1, v52, v1
	v_and_b32_e32 v2, 0x7f800000, v1
	s_delay_alu instid0(VALU_DEP_1) | instskip(NEXT) | instid1(VALU_DEP_1)
	v_cmp_ne_u32_e64 s0, 0x7f800000, v2
	s_and_saveexec_b32 s10, s0
	s_delay_alu instid0(SALU_CYCLE_1)
	s_xor_b32 s0, exec_lo, s10
; %bb.96:                               ;   in Loop: Header=BB165_40 Depth=1
	v_bfe_u32 v2, v1, 16, 1
	s_delay_alu instid0(VALU_DEP_1)
	v_add3_u32 v34, v1, v2, 0x7fff
                                        ; implicit-def: $vgpr1
; %bb.97:                               ;   in Loop: Header=BB165_40 Depth=1
	s_and_not1_saveexec_b32 s10, s0
; %bb.98:                               ;   in Loop: Header=BB165_40 Depth=1
	v_and_b32_e32 v2, 0xffff, v1
	v_or_b32_e32 v3, 0x10000, v1
	s_delay_alu instid0(VALU_DEP_2) | instskip(NEXT) | instid1(VALU_DEP_1)
	v_cmp_eq_u32_e64 s0, 0, v2
	v_cndmask_b32_e64 v34, v3, v1, s0
; %bb.99:                               ;   in Loop: Header=BB165_40 Depth=1
	s_or_b32 exec_lo, exec_lo, s10
	v_and_b32_e32 v53, 0xffff0000, v35
	v_lshlrev_b32_e32 v1, 16, v4
                                        ; implicit-def: $vgpr35
	s_delay_alu instid0(VALU_DEP_1) | instskip(NEXT) | instid1(VALU_DEP_1)
	v_mul_f32_e32 v1, v53, v1
	v_and_b32_e32 v2, 0x7f800000, v1
	s_delay_alu instid0(VALU_DEP_1) | instskip(NEXT) | instid1(VALU_DEP_1)
	v_cmp_ne_u32_e64 s0, 0x7f800000, v2
	s_and_saveexec_b32 s10, s0
	s_delay_alu instid0(SALU_CYCLE_1)
	s_xor_b32 s0, exec_lo, s10
; %bb.100:                              ;   in Loop: Header=BB165_40 Depth=1
	v_bfe_u32 v2, v1, 16, 1
	s_delay_alu instid0(VALU_DEP_1)
	v_add3_u32 v35, v1, v2, 0x7fff
                                        ; implicit-def: $vgpr1
; %bb.101:                              ;   in Loop: Header=BB165_40 Depth=1
	s_and_not1_saveexec_b32 s10, s0
; %bb.102:                              ;   in Loop: Header=BB165_40 Depth=1
	v_and_b32_e32 v2, 0xffff, v1
	v_or_b32_e32 v3, 0x10000, v1
	s_delay_alu instid0(VALU_DEP_2) | instskip(NEXT) | instid1(VALU_DEP_1)
	v_cmp_eq_u32_e64 s0, 0, v2
	v_cndmask_b32_e64 v35, v3, v1, s0
; %bb.103:                              ;   in Loop: Header=BB165_40 Depth=1
	s_or_b32 exec_lo, exec_lo, s10
	v_and_b32_e32 v54, 0xffff0000, v36
	v_lshlrev_b32_e32 v1, 16, v47
                                        ; implicit-def: $vgpr36
	s_delay_alu instid0(VALU_DEP_1) | instskip(NEXT) | instid1(VALU_DEP_1)
	v_mul_f32_e32 v1, v54, v1
	v_and_b32_e32 v2, 0x7f800000, v1
	s_delay_alu instid0(VALU_DEP_1) | instskip(NEXT) | instid1(VALU_DEP_1)
	v_cmp_ne_u32_e64 s0, 0x7f800000, v2
	s_and_saveexec_b32 s10, s0
	s_delay_alu instid0(SALU_CYCLE_1)
	s_xor_b32 s0, exec_lo, s10
; %bb.104:                              ;   in Loop: Header=BB165_40 Depth=1
	v_bfe_u32 v2, v1, 16, 1
	s_delay_alu instid0(VALU_DEP_1)
	v_add3_u32 v36, v1, v2, 0x7fff
                                        ; implicit-def: $vgpr1
; %bb.105:                              ;   in Loop: Header=BB165_40 Depth=1
	s_and_not1_saveexec_b32 s10, s0
; %bb.106:                              ;   in Loop: Header=BB165_40 Depth=1
	v_and_b32_e32 v2, 0xffff, v1
	v_or_b32_e32 v3, 0x10000, v1
	s_delay_alu instid0(VALU_DEP_2) | instskip(NEXT) | instid1(VALU_DEP_1)
	v_cmp_eq_u32_e64 s0, 0, v2
	v_cndmask_b32_e64 v36, v3, v1, s0
; %bb.107:                              ;   in Loop: Header=BB165_40 Depth=1
	s_or_b32 exec_lo, exec_lo, s10
	global_load_b128 v[1:4], v[5:6], off offset:512
	s_waitcnt vmcnt(0)
	v_lshrrev_b32_e32 v47, 16, v1
	v_lshrrev_b32_e32 v56, 16, v2
	;; [unrolled: 1-line block ×4, first 2 shown]
	s_and_saveexec_b32 s10, vcc_lo
	s_cbranch_execz .LBB165_109
; %bb.108:                              ;   in Loop: Header=BB165_40 Depth=1
	v_cmp_gt_i32_e64 s0, s33, v37
	s_delay_alu instid0(VALU_DEP_1) | instskip(SKIP_1) | instid1(VALU_DEP_1)
	v_cndmask_b32_e64 v1, 0, v1, s0
	v_cmp_gt_i32_e64 s0, s33, v45
	v_cndmask_b32_e64 v47, 0, v47, s0
	v_cmp_gt_i32_e64 s0, s33, v44
	s_delay_alu instid0(VALU_DEP_1) | instskip(SKIP_1) | instid1(VALU_DEP_1)
	v_cndmask_b32_e64 v2, 0, v2, s0
	v_cmp_gt_i32_e64 s0, s33, v42
	v_cndmask_b32_e64 v56, 0, v56, s0
	;; [unrolled: 5-line block ×4, first 2 shown]
.LBB165_109:                            ;   in Loop: Header=BB165_40 Depth=1
	s_or_b32 exec_lo, exec_lo, s10
	v_lshlrev_b32_e32 v1, 16, v1
	s_delay_alu instid0(VALU_DEP_1) | instskip(NEXT) | instid1(VALU_DEP_1)
	v_mul_f32_e32 v1, v46, v1
	v_and_b32_e32 v38, 0x7f800000, v1
	s_delay_alu instid0(VALU_DEP_1) | instskip(NEXT) | instid1(VALU_DEP_1)
	v_cmp_ne_u32_e64 s0, 0x7f800000, v38
                                        ; implicit-def: $vgpr38
	s_and_saveexec_b32 s10, s0
	s_delay_alu instid0(SALU_CYCLE_1)
	s_xor_b32 s0, exec_lo, s10
; %bb.110:                              ;   in Loop: Header=BB165_40 Depth=1
	v_bfe_u32 v38, v1, 16, 1
	s_delay_alu instid0(VALU_DEP_1)
	v_add3_u32 v38, v1, v38, 0x7fff
                                        ; implicit-def: $vgpr1
; %bb.111:                              ;   in Loop: Header=BB165_40 Depth=1
	s_and_not1_saveexec_b32 s10, s0
; %bb.112:                              ;   in Loop: Header=BB165_40 Depth=1
	v_and_b32_e32 v38, 0xffff, v1
	v_or_b32_e32 v55, 0x10000, v1
	s_delay_alu instid0(VALU_DEP_2) | instskip(NEXT) | instid1(VALU_DEP_1)
	v_cmp_eq_u32_e64 s0, 0, v38
	v_cndmask_b32_e64 v38, v55, v1, s0
; %bb.113:                              ;   in Loop: Header=BB165_40 Depth=1
	s_or_b32 exec_lo, exec_lo, s10
	v_lshlrev_b32_e32 v1, 16, v47
	s_delay_alu instid0(VALU_DEP_1) | instskip(NEXT) | instid1(VALU_DEP_1)
	v_mul_f32_e32 v1, v48, v1
	v_and_b32_e32 v47, 0x7f800000, v1
	s_delay_alu instid0(VALU_DEP_1) | instskip(NEXT) | instid1(VALU_DEP_1)
	v_cmp_ne_u32_e64 s0, 0x7f800000, v47
                                        ; implicit-def: $vgpr47
	s_and_saveexec_b32 s10, s0
	s_delay_alu instid0(SALU_CYCLE_1)
	s_xor_b32 s0, exec_lo, s10
; %bb.114:                              ;   in Loop: Header=BB165_40 Depth=1
	v_bfe_u32 v47, v1, 16, 1
	s_delay_alu instid0(VALU_DEP_1)
	v_add3_u32 v47, v1, v47, 0x7fff
                                        ; implicit-def: $vgpr1
; %bb.115:                              ;   in Loop: Header=BB165_40 Depth=1
	s_and_not1_saveexec_b32 s10, s0
; %bb.116:                              ;   in Loop: Header=BB165_40 Depth=1
	v_and_b32_e32 v47, 0xffff, v1
	v_or_b32_e32 v55, 0x10000, v1
	s_delay_alu instid0(VALU_DEP_2) | instskip(NEXT) | instid1(VALU_DEP_1)
	v_cmp_eq_u32_e64 s0, 0, v47
	v_cndmask_b32_e64 v47, v55, v1, s0
; %bb.117:                              ;   in Loop: Header=BB165_40 Depth=1
	s_or_b32 exec_lo, exec_lo, s10
	v_lshlrev_b32_e32 v1, 16, v2
                                        ; implicit-def: $vgpr55
	s_delay_alu instid0(VALU_DEP_1) | instskip(NEXT) | instid1(VALU_DEP_1)
	v_mul_f32_e32 v1, v49, v1
	v_and_b32_e32 v2, 0x7f800000, v1
	s_delay_alu instid0(VALU_DEP_1) | instskip(NEXT) | instid1(VALU_DEP_1)
	v_cmp_ne_u32_e64 s0, 0x7f800000, v2
	s_and_saveexec_b32 s10, s0
	s_delay_alu instid0(SALU_CYCLE_1)
	s_xor_b32 s0, exec_lo, s10
; %bb.118:                              ;   in Loop: Header=BB165_40 Depth=1
	v_bfe_u32 v2, v1, 16, 1
	s_delay_alu instid0(VALU_DEP_1)
	v_add3_u32 v55, v1, v2, 0x7fff
                                        ; implicit-def: $vgpr1
; %bb.119:                              ;   in Loop: Header=BB165_40 Depth=1
	s_and_not1_saveexec_b32 s10, s0
; %bb.120:                              ;   in Loop: Header=BB165_40 Depth=1
	v_and_b32_e32 v2, 0xffff, v1
	v_or_b32_e32 v55, 0x10000, v1
	s_delay_alu instid0(VALU_DEP_2) | instskip(NEXT) | instid1(VALU_DEP_1)
	v_cmp_eq_u32_e64 s0, 0, v2
	v_cndmask_b32_e64 v55, v55, v1, s0
; %bb.121:                              ;   in Loop: Header=BB165_40 Depth=1
	s_or_b32 exec_lo, exec_lo, s10
	v_lshlrev_b32_e32 v1, 16, v56
                                        ; implicit-def: $vgpr56
	s_delay_alu instid0(VALU_DEP_1) | instskip(NEXT) | instid1(VALU_DEP_1)
	v_mul_f32_e32 v1, v50, v1
	v_and_b32_e32 v2, 0x7f800000, v1
	s_delay_alu instid0(VALU_DEP_1) | instskip(NEXT) | instid1(VALU_DEP_1)
	v_cmp_ne_u32_e64 s0, 0x7f800000, v2
	s_and_saveexec_b32 s10, s0
	s_delay_alu instid0(SALU_CYCLE_1)
	s_xor_b32 s0, exec_lo, s10
; %bb.122:                              ;   in Loop: Header=BB165_40 Depth=1
	v_bfe_u32 v2, v1, 16, 1
	s_delay_alu instid0(VALU_DEP_1)
	v_add3_u32 v56, v1, v2, 0x7fff
                                        ; implicit-def: $vgpr1
; %bb.123:                              ;   in Loop: Header=BB165_40 Depth=1
	s_and_not1_saveexec_b32 s10, s0
; %bb.124:                              ;   in Loop: Header=BB165_40 Depth=1
	v_and_b32_e32 v2, 0xffff, v1
	v_or_b32_e32 v56, 0x10000, v1
	s_delay_alu instid0(VALU_DEP_2) | instskip(NEXT) | instid1(VALU_DEP_1)
	v_cmp_eq_u32_e64 s0, 0, v2
	v_cndmask_b32_e64 v56, v56, v1, s0
; %bb.125:                              ;   in Loop: Header=BB165_40 Depth=1
	s_or_b32 exec_lo, exec_lo, s10
	v_lshlrev_b32_e32 v1, 16, v3
                                        ; implicit-def: $vgpr57
	s_delay_alu instid0(VALU_DEP_1) | instskip(NEXT) | instid1(VALU_DEP_1)
	v_mul_f32_e32 v1, v51, v1
	v_and_b32_e32 v2, 0x7f800000, v1
	s_delay_alu instid0(VALU_DEP_1) | instskip(NEXT) | instid1(VALU_DEP_1)
	v_cmp_ne_u32_e64 s0, 0x7f800000, v2
	s_and_saveexec_b32 s10, s0
	s_delay_alu instid0(SALU_CYCLE_1)
	s_xor_b32 s0, exec_lo, s10
; %bb.126:                              ;   in Loop: Header=BB165_40 Depth=1
	v_bfe_u32 v2, v1, 16, 1
	s_delay_alu instid0(VALU_DEP_1)
	v_add3_u32 v57, v1, v2, 0x7fff
                                        ; implicit-def: $vgpr1
; %bb.127:                              ;   in Loop: Header=BB165_40 Depth=1
	s_and_not1_saveexec_b32 s10, s0
; %bb.128:                              ;   in Loop: Header=BB165_40 Depth=1
	v_and_b32_e32 v2, 0xffff, v1
	v_or_b32_e32 v3, 0x10000, v1
	s_delay_alu instid0(VALU_DEP_2) | instskip(NEXT) | instid1(VALU_DEP_1)
	v_cmp_eq_u32_e64 s0, 0, v2
	v_cndmask_b32_e64 v57, v3, v1, s0
; %bb.129:                              ;   in Loop: Header=BB165_40 Depth=1
	s_or_b32 exec_lo, exec_lo, s10
	v_lshlrev_b32_e32 v1, 16, v58
                                        ; implicit-def: $vgpr58
	s_delay_alu instid0(VALU_DEP_1) | instskip(NEXT) | instid1(VALU_DEP_1)
	v_mul_f32_e32 v1, v52, v1
	v_and_b32_e32 v2, 0x7f800000, v1
	s_delay_alu instid0(VALU_DEP_1) | instskip(NEXT) | instid1(VALU_DEP_1)
	v_cmp_ne_u32_e64 s0, 0x7f800000, v2
	s_and_saveexec_b32 s10, s0
	s_delay_alu instid0(SALU_CYCLE_1)
	s_xor_b32 s0, exec_lo, s10
; %bb.130:                              ;   in Loop: Header=BB165_40 Depth=1
	v_bfe_u32 v2, v1, 16, 1
	s_delay_alu instid0(VALU_DEP_1)
	v_add3_u32 v58, v1, v2, 0x7fff
                                        ; implicit-def: $vgpr1
; %bb.131:                              ;   in Loop: Header=BB165_40 Depth=1
	s_and_not1_saveexec_b32 s10, s0
; %bb.132:                              ;   in Loop: Header=BB165_40 Depth=1
	v_and_b32_e32 v2, 0xffff, v1
	v_or_b32_e32 v3, 0x10000, v1
	s_delay_alu instid0(VALU_DEP_2) | instskip(NEXT) | instid1(VALU_DEP_1)
	v_cmp_eq_u32_e64 s0, 0, v2
	v_cndmask_b32_e64 v58, v3, v1, s0
; %bb.133:                              ;   in Loop: Header=BB165_40 Depth=1
	s_or_b32 exec_lo, exec_lo, s10
	v_lshlrev_b32_e32 v1, 16, v4
                                        ; implicit-def: $vgpr59
	s_delay_alu instid0(VALU_DEP_1) | instskip(NEXT) | instid1(VALU_DEP_1)
	v_mul_f32_e32 v1, v53, v1
	v_and_b32_e32 v2, 0x7f800000, v1
	s_delay_alu instid0(VALU_DEP_1) | instskip(NEXT) | instid1(VALU_DEP_1)
	v_cmp_ne_u32_e64 s0, 0x7f800000, v2
	s_and_saveexec_b32 s10, s0
	s_delay_alu instid0(SALU_CYCLE_1)
	s_xor_b32 s0, exec_lo, s10
; %bb.134:                              ;   in Loop: Header=BB165_40 Depth=1
	v_bfe_u32 v2, v1, 16, 1
	s_delay_alu instid0(VALU_DEP_1)
	v_add3_u32 v59, v1, v2, 0x7fff
                                        ; implicit-def: $vgpr1
; %bb.135:                              ;   in Loop: Header=BB165_40 Depth=1
	s_and_not1_saveexec_b32 s10, s0
; %bb.136:                              ;   in Loop: Header=BB165_40 Depth=1
	v_and_b32_e32 v2, 0xffff, v1
	v_or_b32_e32 v3, 0x10000, v1
	s_delay_alu instid0(VALU_DEP_2) | instskip(NEXT) | instid1(VALU_DEP_1)
	v_cmp_eq_u32_e64 s0, 0, v2
	v_cndmask_b32_e64 v59, v3, v1, s0
; %bb.137:                              ;   in Loop: Header=BB165_40 Depth=1
	s_or_b32 exec_lo, exec_lo, s10
	v_lshlrev_b32_e32 v1, 16, v60
                                        ; implicit-def: $vgpr60
	s_delay_alu instid0(VALU_DEP_1) | instskip(NEXT) | instid1(VALU_DEP_1)
	v_mul_f32_e32 v1, v54, v1
	v_and_b32_e32 v2, 0x7f800000, v1
	s_delay_alu instid0(VALU_DEP_1) | instskip(NEXT) | instid1(VALU_DEP_1)
	v_cmp_ne_u32_e64 s0, 0x7f800000, v2
	s_and_saveexec_b32 s10, s0
	s_delay_alu instid0(SALU_CYCLE_1)
	s_xor_b32 s0, exec_lo, s10
; %bb.138:                              ;   in Loop: Header=BB165_40 Depth=1
	v_bfe_u32 v2, v1, 16, 1
	s_delay_alu instid0(VALU_DEP_1)
	v_add3_u32 v60, v1, v2, 0x7fff
                                        ; implicit-def: $vgpr1
; %bb.139:                              ;   in Loop: Header=BB165_40 Depth=1
	s_and_not1_saveexec_b32 s10, s0
; %bb.140:                              ;   in Loop: Header=BB165_40 Depth=1
	v_and_b32_e32 v2, 0xffff, v1
	v_or_b32_e32 v3, 0x10000, v1
	s_delay_alu instid0(VALU_DEP_2) | instskip(NEXT) | instid1(VALU_DEP_1)
	v_cmp_eq_u32_e64 s0, 0, v2
	v_cndmask_b32_e64 v60, v3, v1, s0
; %bb.141:                              ;   in Loop: Header=BB165_40 Depth=1
	s_or_b32 exec_lo, exec_lo, s10
	global_load_b128 v[1:4], v[5:6], off offset:1024
	s_waitcnt vmcnt(0)
	v_lshrrev_b32_e32 v62, 16, v1
	v_lshrrev_b32_e32 v64, 16, v2
	;; [unrolled: 1-line block ×4, first 2 shown]
	s_and_saveexec_b32 s10, vcc_lo
	s_cbranch_execz .LBB165_143
; %bb.142:                              ;   in Loop: Header=BB165_40 Depth=1
	v_cmp_gt_i32_e64 s0, s33, v37
	s_delay_alu instid0(VALU_DEP_1) | instskip(SKIP_1) | instid1(VALU_DEP_1)
	v_cndmask_b32_e64 v1, 0, v1, s0
	v_cmp_gt_i32_e64 s0, s33, v45
	v_cndmask_b32_e64 v62, 0, v62, s0
	v_cmp_gt_i32_e64 s0, s33, v44
	s_delay_alu instid0(VALU_DEP_1) | instskip(SKIP_1) | instid1(VALU_DEP_1)
	v_cndmask_b32_e64 v2, 0, v2, s0
	v_cmp_gt_i32_e64 s0, s33, v42
	v_cndmask_b32_e64 v64, 0, v64, s0
	;; [unrolled: 5-line block ×4, first 2 shown]
.LBB165_143:                            ;   in Loop: Header=BB165_40 Depth=1
	s_or_b32 exec_lo, exec_lo, s10
	v_lshlrev_b32_e32 v1, 16, v1
	s_delay_alu instid0(VALU_DEP_1) | instskip(NEXT) | instid1(VALU_DEP_1)
	v_mul_f32_e32 v1, v46, v1
	v_and_b32_e32 v61, 0x7f800000, v1
	s_delay_alu instid0(VALU_DEP_1) | instskip(NEXT) | instid1(VALU_DEP_1)
	v_cmp_ne_u32_e64 s0, 0x7f800000, v61
                                        ; implicit-def: $vgpr61
	s_and_saveexec_b32 s10, s0
	s_delay_alu instid0(SALU_CYCLE_1)
	s_xor_b32 s0, exec_lo, s10
; %bb.144:                              ;   in Loop: Header=BB165_40 Depth=1
	v_bfe_u32 v61, v1, 16, 1
	s_delay_alu instid0(VALU_DEP_1)
	v_add3_u32 v61, v1, v61, 0x7fff
                                        ; implicit-def: $vgpr1
; %bb.145:                              ;   in Loop: Header=BB165_40 Depth=1
	s_and_not1_saveexec_b32 s10, s0
; %bb.146:                              ;   in Loop: Header=BB165_40 Depth=1
	v_and_b32_e32 v61, 0xffff, v1
	v_or_b32_e32 v63, 0x10000, v1
	s_delay_alu instid0(VALU_DEP_2) | instskip(NEXT) | instid1(VALU_DEP_1)
	v_cmp_eq_u32_e64 s0, 0, v61
	v_cndmask_b32_e64 v61, v63, v1, s0
; %bb.147:                              ;   in Loop: Header=BB165_40 Depth=1
	s_or_b32 exec_lo, exec_lo, s10
	v_lshlrev_b32_e32 v1, 16, v62
	s_delay_alu instid0(VALU_DEP_1) | instskip(NEXT) | instid1(VALU_DEP_1)
	v_mul_f32_e32 v1, v48, v1
	v_and_b32_e32 v62, 0x7f800000, v1
	s_delay_alu instid0(VALU_DEP_1) | instskip(NEXT) | instid1(VALU_DEP_1)
	v_cmp_ne_u32_e64 s0, 0x7f800000, v62
                                        ; implicit-def: $vgpr62
	s_and_saveexec_b32 s10, s0
	s_delay_alu instid0(SALU_CYCLE_1)
	s_xor_b32 s0, exec_lo, s10
; %bb.148:                              ;   in Loop: Header=BB165_40 Depth=1
	v_bfe_u32 v62, v1, 16, 1
	s_delay_alu instid0(VALU_DEP_1)
	v_add3_u32 v62, v1, v62, 0x7fff
                                        ; implicit-def: $vgpr1
; %bb.149:                              ;   in Loop: Header=BB165_40 Depth=1
	s_and_not1_saveexec_b32 s10, s0
; %bb.150:                              ;   in Loop: Header=BB165_40 Depth=1
	v_and_b32_e32 v62, 0xffff, v1
	v_or_b32_e32 v63, 0x10000, v1
	s_delay_alu instid0(VALU_DEP_2) | instskip(NEXT) | instid1(VALU_DEP_1)
	v_cmp_eq_u32_e64 s0, 0, v62
	v_cndmask_b32_e64 v62, v63, v1, s0
; %bb.151:                              ;   in Loop: Header=BB165_40 Depth=1
	s_or_b32 exec_lo, exec_lo, s10
	v_lshlrev_b32_e32 v1, 16, v2
                                        ; implicit-def: $vgpr63
	s_delay_alu instid0(VALU_DEP_1) | instskip(NEXT) | instid1(VALU_DEP_1)
	v_mul_f32_e32 v1, v49, v1
	v_and_b32_e32 v2, 0x7f800000, v1
	s_delay_alu instid0(VALU_DEP_1) | instskip(NEXT) | instid1(VALU_DEP_1)
	v_cmp_ne_u32_e64 s0, 0x7f800000, v2
	s_and_saveexec_b32 s10, s0
	s_delay_alu instid0(SALU_CYCLE_1)
	s_xor_b32 s0, exec_lo, s10
; %bb.152:                              ;   in Loop: Header=BB165_40 Depth=1
	v_bfe_u32 v2, v1, 16, 1
	s_delay_alu instid0(VALU_DEP_1)
	v_add3_u32 v63, v1, v2, 0x7fff
                                        ; implicit-def: $vgpr1
; %bb.153:                              ;   in Loop: Header=BB165_40 Depth=1
	s_and_not1_saveexec_b32 s10, s0
; %bb.154:                              ;   in Loop: Header=BB165_40 Depth=1
	v_and_b32_e32 v2, 0xffff, v1
	v_or_b32_e32 v63, 0x10000, v1
	s_delay_alu instid0(VALU_DEP_2) | instskip(NEXT) | instid1(VALU_DEP_1)
	v_cmp_eq_u32_e64 s0, 0, v2
	v_cndmask_b32_e64 v63, v63, v1, s0
; %bb.155:                              ;   in Loop: Header=BB165_40 Depth=1
	s_or_b32 exec_lo, exec_lo, s10
	v_lshlrev_b32_e32 v1, 16, v64
                                        ; implicit-def: $vgpr64
	s_delay_alu instid0(VALU_DEP_1) | instskip(NEXT) | instid1(VALU_DEP_1)
	v_mul_f32_e32 v1, v50, v1
	v_and_b32_e32 v2, 0x7f800000, v1
	s_delay_alu instid0(VALU_DEP_1) | instskip(NEXT) | instid1(VALU_DEP_1)
	v_cmp_ne_u32_e64 s0, 0x7f800000, v2
	s_and_saveexec_b32 s10, s0
	s_delay_alu instid0(SALU_CYCLE_1)
	s_xor_b32 s0, exec_lo, s10
; %bb.156:                              ;   in Loop: Header=BB165_40 Depth=1
	v_bfe_u32 v2, v1, 16, 1
	s_delay_alu instid0(VALU_DEP_1)
	v_add3_u32 v64, v1, v2, 0x7fff
                                        ; implicit-def: $vgpr1
; %bb.157:                              ;   in Loop: Header=BB165_40 Depth=1
	s_and_not1_saveexec_b32 s10, s0
; %bb.158:                              ;   in Loop: Header=BB165_40 Depth=1
	v_and_b32_e32 v2, 0xffff, v1
	v_or_b32_e32 v64, 0x10000, v1
	s_delay_alu instid0(VALU_DEP_2) | instskip(NEXT) | instid1(VALU_DEP_1)
	v_cmp_eq_u32_e64 s0, 0, v2
	v_cndmask_b32_e64 v64, v64, v1, s0
; %bb.159:                              ;   in Loop: Header=BB165_40 Depth=1
	s_or_b32 exec_lo, exec_lo, s10
	v_lshlrev_b32_e32 v1, 16, v3
                                        ; implicit-def: $vgpr65
	s_delay_alu instid0(VALU_DEP_1) | instskip(NEXT) | instid1(VALU_DEP_1)
	v_mul_f32_e32 v1, v51, v1
	v_and_b32_e32 v2, 0x7f800000, v1
	s_delay_alu instid0(VALU_DEP_1) | instskip(NEXT) | instid1(VALU_DEP_1)
	v_cmp_ne_u32_e64 s0, 0x7f800000, v2
	s_and_saveexec_b32 s10, s0
	s_delay_alu instid0(SALU_CYCLE_1)
	s_xor_b32 s0, exec_lo, s10
; %bb.160:                              ;   in Loop: Header=BB165_40 Depth=1
	v_bfe_u32 v2, v1, 16, 1
	s_delay_alu instid0(VALU_DEP_1)
	v_add3_u32 v65, v1, v2, 0x7fff
                                        ; implicit-def: $vgpr1
; %bb.161:                              ;   in Loop: Header=BB165_40 Depth=1
	s_and_not1_saveexec_b32 s10, s0
; %bb.162:                              ;   in Loop: Header=BB165_40 Depth=1
	v_and_b32_e32 v2, 0xffff, v1
	v_or_b32_e32 v3, 0x10000, v1
	s_delay_alu instid0(VALU_DEP_2) | instskip(NEXT) | instid1(VALU_DEP_1)
	v_cmp_eq_u32_e64 s0, 0, v2
	v_cndmask_b32_e64 v65, v3, v1, s0
; %bb.163:                              ;   in Loop: Header=BB165_40 Depth=1
	s_or_b32 exec_lo, exec_lo, s10
	v_lshlrev_b32_e32 v1, 16, v66
                                        ; implicit-def: $vgpr66
	s_delay_alu instid0(VALU_DEP_1) | instskip(NEXT) | instid1(VALU_DEP_1)
	v_mul_f32_e32 v1, v52, v1
	v_and_b32_e32 v2, 0x7f800000, v1
	s_delay_alu instid0(VALU_DEP_1) | instskip(NEXT) | instid1(VALU_DEP_1)
	v_cmp_ne_u32_e64 s0, 0x7f800000, v2
	s_and_saveexec_b32 s10, s0
	s_delay_alu instid0(SALU_CYCLE_1)
	s_xor_b32 s0, exec_lo, s10
; %bb.164:                              ;   in Loop: Header=BB165_40 Depth=1
	v_bfe_u32 v2, v1, 16, 1
	s_delay_alu instid0(VALU_DEP_1)
	v_add3_u32 v66, v1, v2, 0x7fff
                                        ; implicit-def: $vgpr1
; %bb.165:                              ;   in Loop: Header=BB165_40 Depth=1
	s_and_not1_saveexec_b32 s10, s0
; %bb.166:                              ;   in Loop: Header=BB165_40 Depth=1
	v_and_b32_e32 v2, 0xffff, v1
	v_or_b32_e32 v3, 0x10000, v1
	s_delay_alu instid0(VALU_DEP_2) | instskip(NEXT) | instid1(VALU_DEP_1)
	v_cmp_eq_u32_e64 s0, 0, v2
	v_cndmask_b32_e64 v66, v3, v1, s0
; %bb.167:                              ;   in Loop: Header=BB165_40 Depth=1
	s_or_b32 exec_lo, exec_lo, s10
	v_lshlrev_b32_e32 v1, 16, v4
                                        ; implicit-def: $vgpr67
	s_delay_alu instid0(VALU_DEP_1) | instskip(NEXT) | instid1(VALU_DEP_1)
	v_mul_f32_e32 v1, v53, v1
	v_and_b32_e32 v2, 0x7f800000, v1
	s_delay_alu instid0(VALU_DEP_1) | instskip(NEXT) | instid1(VALU_DEP_1)
	v_cmp_ne_u32_e64 s0, 0x7f800000, v2
	s_and_saveexec_b32 s10, s0
	s_delay_alu instid0(SALU_CYCLE_1)
	s_xor_b32 s0, exec_lo, s10
; %bb.168:                              ;   in Loop: Header=BB165_40 Depth=1
	v_bfe_u32 v2, v1, 16, 1
	s_delay_alu instid0(VALU_DEP_1)
	v_add3_u32 v67, v1, v2, 0x7fff
                                        ; implicit-def: $vgpr1
; %bb.169:                              ;   in Loop: Header=BB165_40 Depth=1
	s_and_not1_saveexec_b32 s10, s0
; %bb.170:                              ;   in Loop: Header=BB165_40 Depth=1
	v_and_b32_e32 v2, 0xffff, v1
	v_or_b32_e32 v3, 0x10000, v1
	s_delay_alu instid0(VALU_DEP_2) | instskip(NEXT) | instid1(VALU_DEP_1)
	v_cmp_eq_u32_e64 s0, 0, v2
	v_cndmask_b32_e64 v67, v3, v1, s0
; %bb.171:                              ;   in Loop: Header=BB165_40 Depth=1
	s_or_b32 exec_lo, exec_lo, s10
	v_lshlrev_b32_e32 v1, 16, v68
                                        ; implicit-def: $vgpr68
	s_delay_alu instid0(VALU_DEP_1) | instskip(NEXT) | instid1(VALU_DEP_1)
	v_mul_f32_e32 v1, v54, v1
	v_and_b32_e32 v2, 0x7f800000, v1
	s_delay_alu instid0(VALU_DEP_1) | instskip(NEXT) | instid1(VALU_DEP_1)
	v_cmp_ne_u32_e64 s0, 0x7f800000, v2
	s_and_saveexec_b32 s10, s0
	s_delay_alu instid0(SALU_CYCLE_1)
	s_xor_b32 s0, exec_lo, s10
; %bb.172:                              ;   in Loop: Header=BB165_40 Depth=1
	v_bfe_u32 v2, v1, 16, 1
	s_delay_alu instid0(VALU_DEP_1)
	v_add3_u32 v68, v1, v2, 0x7fff
                                        ; implicit-def: $vgpr1
; %bb.173:                              ;   in Loop: Header=BB165_40 Depth=1
	s_and_not1_saveexec_b32 s10, s0
; %bb.174:                              ;   in Loop: Header=BB165_40 Depth=1
	v_and_b32_e32 v2, 0xffff, v1
	v_or_b32_e32 v3, 0x10000, v1
	s_delay_alu instid0(VALU_DEP_2) | instskip(NEXT) | instid1(VALU_DEP_1)
	v_cmp_eq_u32_e64 s0, 0, v2
	v_cndmask_b32_e64 v68, v3, v1, s0
; %bb.175:                              ;   in Loop: Header=BB165_40 Depth=1
	s_or_b32 exec_lo, exec_lo, s10
	global_load_b128 v[1:4], v[5:6], off offset:1536
	s_waitcnt vmcnt(0)
	v_lshrrev_b32_e32 v70, 16, v1
	v_lshrrev_b32_e32 v72, 16, v2
	;; [unrolled: 1-line block ×4, first 2 shown]
	s_and_saveexec_b32 s10, vcc_lo
	s_cbranch_execz .LBB165_177
; %bb.176:                              ;   in Loop: Header=BB165_40 Depth=1
	v_cmp_gt_i32_e64 s0, s33, v37
	s_delay_alu instid0(VALU_DEP_1) | instskip(SKIP_1) | instid1(VALU_DEP_1)
	v_cndmask_b32_e64 v1, 0, v1, s0
	v_cmp_gt_i32_e64 s0, s33, v45
	v_cndmask_b32_e64 v70, 0, v70, s0
	v_cmp_gt_i32_e64 s0, s33, v44
	s_delay_alu instid0(VALU_DEP_1) | instskip(SKIP_1) | instid1(VALU_DEP_1)
	v_cndmask_b32_e64 v2, 0, v2, s0
	v_cmp_gt_i32_e64 s0, s33, v42
	v_cndmask_b32_e64 v72, 0, v72, s0
	v_cmp_gt_i32_e64 s0, s33, v41
	s_delay_alu instid0(VALU_DEP_1) | instskip(SKIP_1) | instid1(VALU_DEP_1)
	v_cndmask_b32_e64 v3, 0, v3, s0
	v_cmp_gt_i32_e64 s0, s33, v40
	v_cndmask_b32_e64 v74, 0, v74, s0
	v_cmp_gt_i32_e64 s0, s33, v39
	s_delay_alu instid0(VALU_DEP_1) | instskip(SKIP_1) | instid1(VALU_DEP_1)
	v_cndmask_b32_e64 v4, 0, v4, s0
	v_cmp_gt_i32_e64 s0, s33, v43
	v_cndmask_b32_e64 v76, 0, v76, s0
.LBB165_177:                            ;   in Loop: Header=BB165_40 Depth=1
	s_or_b32 exec_lo, exec_lo, s10
	v_lshlrev_b32_e32 v1, 16, v1
	s_delay_alu instid0(VALU_DEP_1) | instskip(NEXT) | instid1(VALU_DEP_1)
	v_mul_f32_e32 v1, v46, v1
	v_and_b32_e32 v69, 0x7f800000, v1
	s_delay_alu instid0(VALU_DEP_1) | instskip(NEXT) | instid1(VALU_DEP_1)
	v_cmp_ne_u32_e64 s0, 0x7f800000, v69
                                        ; implicit-def: $vgpr69
	s_and_saveexec_b32 s10, s0
	s_delay_alu instid0(SALU_CYCLE_1)
	s_xor_b32 s0, exec_lo, s10
; %bb.178:                              ;   in Loop: Header=BB165_40 Depth=1
	v_bfe_u32 v69, v1, 16, 1
	s_delay_alu instid0(VALU_DEP_1)
	v_add3_u32 v69, v1, v69, 0x7fff
                                        ; implicit-def: $vgpr1
; %bb.179:                              ;   in Loop: Header=BB165_40 Depth=1
	s_and_not1_saveexec_b32 s10, s0
; %bb.180:                              ;   in Loop: Header=BB165_40 Depth=1
	v_and_b32_e32 v69, 0xffff, v1
	v_or_b32_e32 v71, 0x10000, v1
	s_delay_alu instid0(VALU_DEP_2) | instskip(NEXT) | instid1(VALU_DEP_1)
	v_cmp_eq_u32_e64 s0, 0, v69
	v_cndmask_b32_e64 v69, v71, v1, s0
; %bb.181:                              ;   in Loop: Header=BB165_40 Depth=1
	s_or_b32 exec_lo, exec_lo, s10
	v_lshlrev_b32_e32 v1, 16, v70
	s_delay_alu instid0(VALU_DEP_1) | instskip(NEXT) | instid1(VALU_DEP_1)
	v_mul_f32_e32 v1, v48, v1
	v_and_b32_e32 v70, 0x7f800000, v1
	s_delay_alu instid0(VALU_DEP_1) | instskip(NEXT) | instid1(VALU_DEP_1)
	v_cmp_ne_u32_e64 s0, 0x7f800000, v70
                                        ; implicit-def: $vgpr70
	s_and_saveexec_b32 s10, s0
	s_delay_alu instid0(SALU_CYCLE_1)
	s_xor_b32 s0, exec_lo, s10
; %bb.182:                              ;   in Loop: Header=BB165_40 Depth=1
	v_bfe_u32 v70, v1, 16, 1
	s_delay_alu instid0(VALU_DEP_1)
	v_add3_u32 v70, v1, v70, 0x7fff
                                        ; implicit-def: $vgpr1
; %bb.183:                              ;   in Loop: Header=BB165_40 Depth=1
	s_and_not1_saveexec_b32 s10, s0
; %bb.184:                              ;   in Loop: Header=BB165_40 Depth=1
	v_and_b32_e32 v70, 0xffff, v1
	v_or_b32_e32 v71, 0x10000, v1
	s_delay_alu instid0(VALU_DEP_2) | instskip(NEXT) | instid1(VALU_DEP_1)
	v_cmp_eq_u32_e64 s0, 0, v70
	v_cndmask_b32_e64 v70, v71, v1, s0
; %bb.185:                              ;   in Loop: Header=BB165_40 Depth=1
	s_or_b32 exec_lo, exec_lo, s10
	v_lshlrev_b32_e32 v1, 16, v2
                                        ; implicit-def: $vgpr71
	s_delay_alu instid0(VALU_DEP_1) | instskip(NEXT) | instid1(VALU_DEP_1)
	v_mul_f32_e32 v1, v49, v1
	v_and_b32_e32 v2, 0x7f800000, v1
	s_delay_alu instid0(VALU_DEP_1) | instskip(NEXT) | instid1(VALU_DEP_1)
	v_cmp_ne_u32_e64 s0, 0x7f800000, v2
	s_and_saveexec_b32 s10, s0
	s_delay_alu instid0(SALU_CYCLE_1)
	s_xor_b32 s0, exec_lo, s10
; %bb.186:                              ;   in Loop: Header=BB165_40 Depth=1
	v_bfe_u32 v2, v1, 16, 1
	s_delay_alu instid0(VALU_DEP_1)
	v_add3_u32 v71, v1, v2, 0x7fff
                                        ; implicit-def: $vgpr1
; %bb.187:                              ;   in Loop: Header=BB165_40 Depth=1
	s_and_not1_saveexec_b32 s10, s0
; %bb.188:                              ;   in Loop: Header=BB165_40 Depth=1
	v_and_b32_e32 v2, 0xffff, v1
	v_or_b32_e32 v71, 0x10000, v1
	s_delay_alu instid0(VALU_DEP_2) | instskip(NEXT) | instid1(VALU_DEP_1)
	v_cmp_eq_u32_e64 s0, 0, v2
	v_cndmask_b32_e64 v71, v71, v1, s0
; %bb.189:                              ;   in Loop: Header=BB165_40 Depth=1
	s_or_b32 exec_lo, exec_lo, s10
	v_lshlrev_b32_e32 v1, 16, v72
                                        ; implicit-def: $vgpr72
	s_delay_alu instid0(VALU_DEP_1) | instskip(NEXT) | instid1(VALU_DEP_1)
	v_mul_f32_e32 v1, v50, v1
	v_and_b32_e32 v2, 0x7f800000, v1
	s_delay_alu instid0(VALU_DEP_1) | instskip(NEXT) | instid1(VALU_DEP_1)
	v_cmp_ne_u32_e64 s0, 0x7f800000, v2
	s_and_saveexec_b32 s10, s0
	s_delay_alu instid0(SALU_CYCLE_1)
	s_xor_b32 s0, exec_lo, s10
; %bb.190:                              ;   in Loop: Header=BB165_40 Depth=1
	v_bfe_u32 v2, v1, 16, 1
	s_delay_alu instid0(VALU_DEP_1)
	v_add3_u32 v72, v1, v2, 0x7fff
                                        ; implicit-def: $vgpr1
; %bb.191:                              ;   in Loop: Header=BB165_40 Depth=1
	s_and_not1_saveexec_b32 s10, s0
; %bb.192:                              ;   in Loop: Header=BB165_40 Depth=1
	v_and_b32_e32 v2, 0xffff, v1
	v_or_b32_e32 v72, 0x10000, v1
	s_delay_alu instid0(VALU_DEP_2) | instskip(NEXT) | instid1(VALU_DEP_1)
	v_cmp_eq_u32_e64 s0, 0, v2
	v_cndmask_b32_e64 v72, v72, v1, s0
; %bb.193:                              ;   in Loop: Header=BB165_40 Depth=1
	s_or_b32 exec_lo, exec_lo, s10
	v_lshlrev_b32_e32 v1, 16, v3
                                        ; implicit-def: $vgpr73
	s_delay_alu instid0(VALU_DEP_1) | instskip(NEXT) | instid1(VALU_DEP_1)
	v_mul_f32_e32 v1, v51, v1
	v_and_b32_e32 v2, 0x7f800000, v1
	s_delay_alu instid0(VALU_DEP_1) | instskip(NEXT) | instid1(VALU_DEP_1)
	v_cmp_ne_u32_e64 s0, 0x7f800000, v2
	s_and_saveexec_b32 s10, s0
	s_delay_alu instid0(SALU_CYCLE_1)
	s_xor_b32 s0, exec_lo, s10
; %bb.194:                              ;   in Loop: Header=BB165_40 Depth=1
	v_bfe_u32 v2, v1, 16, 1
	s_delay_alu instid0(VALU_DEP_1)
	v_add3_u32 v73, v1, v2, 0x7fff
                                        ; implicit-def: $vgpr1
; %bb.195:                              ;   in Loop: Header=BB165_40 Depth=1
	s_and_not1_saveexec_b32 s10, s0
; %bb.196:                              ;   in Loop: Header=BB165_40 Depth=1
	v_and_b32_e32 v2, 0xffff, v1
	v_or_b32_e32 v3, 0x10000, v1
	s_delay_alu instid0(VALU_DEP_2) | instskip(NEXT) | instid1(VALU_DEP_1)
	v_cmp_eq_u32_e64 s0, 0, v2
	v_cndmask_b32_e64 v73, v3, v1, s0
; %bb.197:                              ;   in Loop: Header=BB165_40 Depth=1
	s_or_b32 exec_lo, exec_lo, s10
	v_lshlrev_b32_e32 v1, 16, v74
                                        ; implicit-def: $vgpr74
	s_delay_alu instid0(VALU_DEP_1) | instskip(NEXT) | instid1(VALU_DEP_1)
	v_mul_f32_e32 v1, v52, v1
	v_and_b32_e32 v2, 0x7f800000, v1
	s_delay_alu instid0(VALU_DEP_1) | instskip(NEXT) | instid1(VALU_DEP_1)
	v_cmp_ne_u32_e64 s0, 0x7f800000, v2
	s_and_saveexec_b32 s10, s0
	s_delay_alu instid0(SALU_CYCLE_1)
	s_xor_b32 s0, exec_lo, s10
; %bb.198:                              ;   in Loop: Header=BB165_40 Depth=1
	v_bfe_u32 v2, v1, 16, 1
	s_delay_alu instid0(VALU_DEP_1)
	v_add3_u32 v74, v1, v2, 0x7fff
                                        ; implicit-def: $vgpr1
; %bb.199:                              ;   in Loop: Header=BB165_40 Depth=1
	s_and_not1_saveexec_b32 s10, s0
; %bb.200:                              ;   in Loop: Header=BB165_40 Depth=1
	v_and_b32_e32 v2, 0xffff, v1
	v_or_b32_e32 v3, 0x10000, v1
	s_delay_alu instid0(VALU_DEP_2) | instskip(NEXT) | instid1(VALU_DEP_1)
	v_cmp_eq_u32_e64 s0, 0, v2
	v_cndmask_b32_e64 v74, v3, v1, s0
; %bb.201:                              ;   in Loop: Header=BB165_40 Depth=1
	s_or_b32 exec_lo, exec_lo, s10
	v_lshlrev_b32_e32 v1, 16, v4
                                        ; implicit-def: $vgpr75
	s_delay_alu instid0(VALU_DEP_1) | instskip(NEXT) | instid1(VALU_DEP_1)
	v_mul_f32_e32 v1, v53, v1
	v_and_b32_e32 v2, 0x7f800000, v1
	s_delay_alu instid0(VALU_DEP_1) | instskip(NEXT) | instid1(VALU_DEP_1)
	v_cmp_ne_u32_e64 s0, 0x7f800000, v2
	s_and_saveexec_b32 s10, s0
	s_delay_alu instid0(SALU_CYCLE_1)
	s_xor_b32 s0, exec_lo, s10
; %bb.202:                              ;   in Loop: Header=BB165_40 Depth=1
	v_bfe_u32 v2, v1, 16, 1
	s_delay_alu instid0(VALU_DEP_1)
	v_add3_u32 v75, v1, v2, 0x7fff
                                        ; implicit-def: $vgpr1
; %bb.203:                              ;   in Loop: Header=BB165_40 Depth=1
	s_and_not1_saveexec_b32 s10, s0
; %bb.204:                              ;   in Loop: Header=BB165_40 Depth=1
	v_and_b32_e32 v2, 0xffff, v1
	v_or_b32_e32 v3, 0x10000, v1
	s_delay_alu instid0(VALU_DEP_2) | instskip(NEXT) | instid1(VALU_DEP_1)
	v_cmp_eq_u32_e64 s0, 0, v2
	v_cndmask_b32_e64 v75, v3, v1, s0
; %bb.205:                              ;   in Loop: Header=BB165_40 Depth=1
	s_or_b32 exec_lo, exec_lo, s10
	v_lshlrev_b32_e32 v1, 16, v76
                                        ; implicit-def: $vgpr76
	s_delay_alu instid0(VALU_DEP_1) | instskip(NEXT) | instid1(VALU_DEP_1)
	v_mul_f32_e32 v1, v54, v1
	v_and_b32_e32 v2, 0x7f800000, v1
	s_delay_alu instid0(VALU_DEP_1) | instskip(NEXT) | instid1(VALU_DEP_1)
	v_cmp_ne_u32_e64 s0, 0x7f800000, v2
	s_and_saveexec_b32 s10, s0
	s_delay_alu instid0(SALU_CYCLE_1)
	s_xor_b32 s0, exec_lo, s10
; %bb.206:                              ;   in Loop: Header=BB165_40 Depth=1
	v_bfe_u32 v2, v1, 16, 1
	s_delay_alu instid0(VALU_DEP_1)
	v_add3_u32 v76, v1, v2, 0x7fff
                                        ; implicit-def: $vgpr1
; %bb.207:                              ;   in Loop: Header=BB165_40 Depth=1
	s_and_not1_saveexec_b32 s10, s0
; %bb.208:                              ;   in Loop: Header=BB165_40 Depth=1
	v_and_b32_e32 v2, 0xffff, v1
	v_or_b32_e32 v3, 0x10000, v1
	s_delay_alu instid0(VALU_DEP_2) | instskip(NEXT) | instid1(VALU_DEP_1)
	v_cmp_eq_u32_e64 s0, 0, v2
	v_cndmask_b32_e64 v76, v3, v1, s0
; %bb.209:                              ;   in Loop: Header=BB165_40 Depth=1
	s_or_b32 exec_lo, exec_lo, s10
	global_load_b128 v[1:4], v[5:6], off offset:2048
	s_waitcnt vmcnt(0)
	v_lshrrev_b32_e32 v78, 16, v1
	v_lshrrev_b32_e32 v80, 16, v2
	;; [unrolled: 1-line block ×4, first 2 shown]
	s_and_saveexec_b32 s10, vcc_lo
	s_cbranch_execz .LBB165_211
; %bb.210:                              ;   in Loop: Header=BB165_40 Depth=1
	v_cmp_gt_i32_e64 s0, s33, v37
	s_delay_alu instid0(VALU_DEP_1) | instskip(SKIP_1) | instid1(VALU_DEP_1)
	v_cndmask_b32_e64 v1, 0, v1, s0
	v_cmp_gt_i32_e64 s0, s33, v45
	v_cndmask_b32_e64 v78, 0, v78, s0
	v_cmp_gt_i32_e64 s0, s33, v44
	s_delay_alu instid0(VALU_DEP_1) | instskip(SKIP_1) | instid1(VALU_DEP_1)
	v_cndmask_b32_e64 v2, 0, v2, s0
	v_cmp_gt_i32_e64 s0, s33, v42
	v_cndmask_b32_e64 v80, 0, v80, s0
	;; [unrolled: 5-line block ×4, first 2 shown]
.LBB165_211:                            ;   in Loop: Header=BB165_40 Depth=1
	s_or_b32 exec_lo, exec_lo, s10
	v_lshlrev_b32_e32 v1, 16, v1
	s_delay_alu instid0(VALU_DEP_1) | instskip(NEXT) | instid1(VALU_DEP_1)
	v_mul_f32_e32 v1, v46, v1
	v_and_b32_e32 v77, 0x7f800000, v1
	s_delay_alu instid0(VALU_DEP_1) | instskip(NEXT) | instid1(VALU_DEP_1)
	v_cmp_ne_u32_e64 s0, 0x7f800000, v77
                                        ; implicit-def: $vgpr77
	s_and_saveexec_b32 s10, s0
	s_delay_alu instid0(SALU_CYCLE_1)
	s_xor_b32 s0, exec_lo, s10
; %bb.212:                              ;   in Loop: Header=BB165_40 Depth=1
	v_bfe_u32 v77, v1, 16, 1
	s_delay_alu instid0(VALU_DEP_1)
	v_add3_u32 v77, v1, v77, 0x7fff
                                        ; implicit-def: $vgpr1
; %bb.213:                              ;   in Loop: Header=BB165_40 Depth=1
	s_and_not1_saveexec_b32 s10, s0
; %bb.214:                              ;   in Loop: Header=BB165_40 Depth=1
	v_and_b32_e32 v77, 0xffff, v1
	v_or_b32_e32 v79, 0x10000, v1
	s_delay_alu instid0(VALU_DEP_2) | instskip(NEXT) | instid1(VALU_DEP_1)
	v_cmp_eq_u32_e64 s0, 0, v77
	v_cndmask_b32_e64 v77, v79, v1, s0
; %bb.215:                              ;   in Loop: Header=BB165_40 Depth=1
	s_or_b32 exec_lo, exec_lo, s10
	v_lshlrev_b32_e32 v1, 16, v78
	s_delay_alu instid0(VALU_DEP_1) | instskip(NEXT) | instid1(VALU_DEP_1)
	v_mul_f32_e32 v1, v48, v1
	v_and_b32_e32 v78, 0x7f800000, v1
	s_delay_alu instid0(VALU_DEP_1) | instskip(NEXT) | instid1(VALU_DEP_1)
	v_cmp_ne_u32_e64 s0, 0x7f800000, v78
                                        ; implicit-def: $vgpr78
	s_and_saveexec_b32 s10, s0
	s_delay_alu instid0(SALU_CYCLE_1)
	s_xor_b32 s0, exec_lo, s10
; %bb.216:                              ;   in Loop: Header=BB165_40 Depth=1
	v_bfe_u32 v78, v1, 16, 1
	s_delay_alu instid0(VALU_DEP_1)
	v_add3_u32 v78, v1, v78, 0x7fff
                                        ; implicit-def: $vgpr1
; %bb.217:                              ;   in Loop: Header=BB165_40 Depth=1
	s_and_not1_saveexec_b32 s10, s0
; %bb.218:                              ;   in Loop: Header=BB165_40 Depth=1
	v_and_b32_e32 v78, 0xffff, v1
	v_or_b32_e32 v79, 0x10000, v1
	s_delay_alu instid0(VALU_DEP_2) | instskip(NEXT) | instid1(VALU_DEP_1)
	v_cmp_eq_u32_e64 s0, 0, v78
	v_cndmask_b32_e64 v78, v79, v1, s0
; %bb.219:                              ;   in Loop: Header=BB165_40 Depth=1
	s_or_b32 exec_lo, exec_lo, s10
	v_lshlrev_b32_e32 v1, 16, v2
                                        ; implicit-def: $vgpr79
	s_delay_alu instid0(VALU_DEP_1) | instskip(NEXT) | instid1(VALU_DEP_1)
	v_mul_f32_e32 v1, v49, v1
	v_and_b32_e32 v2, 0x7f800000, v1
	s_delay_alu instid0(VALU_DEP_1) | instskip(NEXT) | instid1(VALU_DEP_1)
	v_cmp_ne_u32_e64 s0, 0x7f800000, v2
	s_and_saveexec_b32 s10, s0
	s_delay_alu instid0(SALU_CYCLE_1)
	s_xor_b32 s0, exec_lo, s10
; %bb.220:                              ;   in Loop: Header=BB165_40 Depth=1
	v_bfe_u32 v2, v1, 16, 1
	s_delay_alu instid0(VALU_DEP_1)
	v_add3_u32 v79, v1, v2, 0x7fff
                                        ; implicit-def: $vgpr1
; %bb.221:                              ;   in Loop: Header=BB165_40 Depth=1
	s_and_not1_saveexec_b32 s10, s0
; %bb.222:                              ;   in Loop: Header=BB165_40 Depth=1
	v_and_b32_e32 v2, 0xffff, v1
	v_or_b32_e32 v79, 0x10000, v1
	s_delay_alu instid0(VALU_DEP_2) | instskip(NEXT) | instid1(VALU_DEP_1)
	v_cmp_eq_u32_e64 s0, 0, v2
	v_cndmask_b32_e64 v79, v79, v1, s0
; %bb.223:                              ;   in Loop: Header=BB165_40 Depth=1
	s_or_b32 exec_lo, exec_lo, s10
	v_lshlrev_b32_e32 v1, 16, v80
                                        ; implicit-def: $vgpr80
	s_delay_alu instid0(VALU_DEP_1) | instskip(NEXT) | instid1(VALU_DEP_1)
	v_mul_f32_e32 v1, v50, v1
	v_and_b32_e32 v2, 0x7f800000, v1
	s_delay_alu instid0(VALU_DEP_1) | instskip(NEXT) | instid1(VALU_DEP_1)
	v_cmp_ne_u32_e64 s0, 0x7f800000, v2
	s_and_saveexec_b32 s10, s0
	s_delay_alu instid0(SALU_CYCLE_1)
	s_xor_b32 s0, exec_lo, s10
; %bb.224:                              ;   in Loop: Header=BB165_40 Depth=1
	v_bfe_u32 v2, v1, 16, 1
	s_delay_alu instid0(VALU_DEP_1)
	v_add3_u32 v80, v1, v2, 0x7fff
                                        ; implicit-def: $vgpr1
; %bb.225:                              ;   in Loop: Header=BB165_40 Depth=1
	s_and_not1_saveexec_b32 s10, s0
; %bb.226:                              ;   in Loop: Header=BB165_40 Depth=1
	v_and_b32_e32 v2, 0xffff, v1
	v_or_b32_e32 v80, 0x10000, v1
	s_delay_alu instid0(VALU_DEP_2) | instskip(NEXT) | instid1(VALU_DEP_1)
	v_cmp_eq_u32_e64 s0, 0, v2
	v_cndmask_b32_e64 v80, v80, v1, s0
; %bb.227:                              ;   in Loop: Header=BB165_40 Depth=1
	s_or_b32 exec_lo, exec_lo, s10
	v_lshlrev_b32_e32 v1, 16, v3
                                        ; implicit-def: $vgpr81
	s_delay_alu instid0(VALU_DEP_1) | instskip(NEXT) | instid1(VALU_DEP_1)
	v_mul_f32_e32 v1, v51, v1
	v_and_b32_e32 v2, 0x7f800000, v1
	s_delay_alu instid0(VALU_DEP_1) | instskip(NEXT) | instid1(VALU_DEP_1)
	v_cmp_ne_u32_e64 s0, 0x7f800000, v2
	s_and_saveexec_b32 s10, s0
	s_delay_alu instid0(SALU_CYCLE_1)
	s_xor_b32 s0, exec_lo, s10
; %bb.228:                              ;   in Loop: Header=BB165_40 Depth=1
	v_bfe_u32 v2, v1, 16, 1
	s_delay_alu instid0(VALU_DEP_1)
	v_add3_u32 v81, v1, v2, 0x7fff
                                        ; implicit-def: $vgpr1
; %bb.229:                              ;   in Loop: Header=BB165_40 Depth=1
	s_and_not1_saveexec_b32 s10, s0
; %bb.230:                              ;   in Loop: Header=BB165_40 Depth=1
	v_and_b32_e32 v2, 0xffff, v1
	v_or_b32_e32 v3, 0x10000, v1
	s_delay_alu instid0(VALU_DEP_2) | instskip(NEXT) | instid1(VALU_DEP_1)
	v_cmp_eq_u32_e64 s0, 0, v2
	v_cndmask_b32_e64 v81, v3, v1, s0
; %bb.231:                              ;   in Loop: Header=BB165_40 Depth=1
	s_or_b32 exec_lo, exec_lo, s10
	v_lshlrev_b32_e32 v1, 16, v82
                                        ; implicit-def: $vgpr82
	s_delay_alu instid0(VALU_DEP_1) | instskip(NEXT) | instid1(VALU_DEP_1)
	v_mul_f32_e32 v1, v52, v1
	v_and_b32_e32 v2, 0x7f800000, v1
	s_delay_alu instid0(VALU_DEP_1) | instskip(NEXT) | instid1(VALU_DEP_1)
	v_cmp_ne_u32_e64 s0, 0x7f800000, v2
	s_and_saveexec_b32 s10, s0
	s_delay_alu instid0(SALU_CYCLE_1)
	s_xor_b32 s0, exec_lo, s10
; %bb.232:                              ;   in Loop: Header=BB165_40 Depth=1
	v_bfe_u32 v2, v1, 16, 1
	s_delay_alu instid0(VALU_DEP_1)
	v_add3_u32 v82, v1, v2, 0x7fff
                                        ; implicit-def: $vgpr1
; %bb.233:                              ;   in Loop: Header=BB165_40 Depth=1
	s_and_not1_saveexec_b32 s10, s0
; %bb.234:                              ;   in Loop: Header=BB165_40 Depth=1
	v_and_b32_e32 v2, 0xffff, v1
	v_or_b32_e32 v3, 0x10000, v1
	s_delay_alu instid0(VALU_DEP_2) | instskip(NEXT) | instid1(VALU_DEP_1)
	v_cmp_eq_u32_e64 s0, 0, v2
	v_cndmask_b32_e64 v82, v3, v1, s0
; %bb.235:                              ;   in Loop: Header=BB165_40 Depth=1
	s_or_b32 exec_lo, exec_lo, s10
	v_lshlrev_b32_e32 v1, 16, v4
                                        ; implicit-def: $vgpr83
	s_delay_alu instid0(VALU_DEP_1) | instskip(NEXT) | instid1(VALU_DEP_1)
	v_mul_f32_e32 v1, v53, v1
	v_and_b32_e32 v2, 0x7f800000, v1
	s_delay_alu instid0(VALU_DEP_1) | instskip(NEXT) | instid1(VALU_DEP_1)
	v_cmp_ne_u32_e64 s0, 0x7f800000, v2
	s_and_saveexec_b32 s10, s0
	s_delay_alu instid0(SALU_CYCLE_1)
	s_xor_b32 s0, exec_lo, s10
; %bb.236:                              ;   in Loop: Header=BB165_40 Depth=1
	v_bfe_u32 v2, v1, 16, 1
	s_delay_alu instid0(VALU_DEP_1)
	v_add3_u32 v83, v1, v2, 0x7fff
                                        ; implicit-def: $vgpr1
; %bb.237:                              ;   in Loop: Header=BB165_40 Depth=1
	s_and_not1_saveexec_b32 s10, s0
; %bb.238:                              ;   in Loop: Header=BB165_40 Depth=1
	v_and_b32_e32 v2, 0xffff, v1
	v_or_b32_e32 v3, 0x10000, v1
	s_delay_alu instid0(VALU_DEP_2) | instskip(NEXT) | instid1(VALU_DEP_1)
	v_cmp_eq_u32_e64 s0, 0, v2
	v_cndmask_b32_e64 v83, v3, v1, s0
; %bb.239:                              ;   in Loop: Header=BB165_40 Depth=1
	s_or_b32 exec_lo, exec_lo, s10
	v_lshlrev_b32_e32 v1, 16, v84
                                        ; implicit-def: $vgpr84
	s_delay_alu instid0(VALU_DEP_1) | instskip(NEXT) | instid1(VALU_DEP_1)
	v_mul_f32_e32 v1, v54, v1
	v_and_b32_e32 v2, 0x7f800000, v1
	s_delay_alu instid0(VALU_DEP_1) | instskip(NEXT) | instid1(VALU_DEP_1)
	v_cmp_ne_u32_e64 s0, 0x7f800000, v2
	s_and_saveexec_b32 s10, s0
	s_delay_alu instid0(SALU_CYCLE_1)
	s_xor_b32 s0, exec_lo, s10
; %bb.240:                              ;   in Loop: Header=BB165_40 Depth=1
	v_bfe_u32 v2, v1, 16, 1
	s_delay_alu instid0(VALU_DEP_1)
	v_add3_u32 v84, v1, v2, 0x7fff
                                        ; implicit-def: $vgpr1
; %bb.241:                              ;   in Loop: Header=BB165_40 Depth=1
	s_and_not1_saveexec_b32 s10, s0
; %bb.242:                              ;   in Loop: Header=BB165_40 Depth=1
	v_and_b32_e32 v2, 0xffff, v1
	v_or_b32_e32 v3, 0x10000, v1
	s_delay_alu instid0(VALU_DEP_2) | instskip(NEXT) | instid1(VALU_DEP_1)
	v_cmp_eq_u32_e64 s0, 0, v2
	v_cndmask_b32_e64 v84, v3, v1, s0
; %bb.243:                              ;   in Loop: Header=BB165_40 Depth=1
	s_or_b32 exec_lo, exec_lo, s10
	global_load_b128 v[1:4], v[5:6], off offset:2560
	s_waitcnt vmcnt(0)
	v_lshrrev_b32_e32 v86, 16, v1
	v_lshrrev_b32_e32 v88, 16, v2
	;; [unrolled: 1-line block ×4, first 2 shown]
	s_and_saveexec_b32 s10, vcc_lo
	s_cbranch_execz .LBB165_245
; %bb.244:                              ;   in Loop: Header=BB165_40 Depth=1
	v_cmp_gt_i32_e64 s0, s33, v37
	s_delay_alu instid0(VALU_DEP_1) | instskip(SKIP_1) | instid1(VALU_DEP_1)
	v_cndmask_b32_e64 v1, 0, v1, s0
	v_cmp_gt_i32_e64 s0, s33, v45
	v_cndmask_b32_e64 v86, 0, v86, s0
	v_cmp_gt_i32_e64 s0, s33, v44
	s_delay_alu instid0(VALU_DEP_1) | instskip(SKIP_1) | instid1(VALU_DEP_1)
	v_cndmask_b32_e64 v2, 0, v2, s0
	v_cmp_gt_i32_e64 s0, s33, v42
	v_cndmask_b32_e64 v88, 0, v88, s0
	;; [unrolled: 5-line block ×4, first 2 shown]
.LBB165_245:                            ;   in Loop: Header=BB165_40 Depth=1
	s_or_b32 exec_lo, exec_lo, s10
	v_lshlrev_b32_e32 v1, 16, v1
	s_delay_alu instid0(VALU_DEP_1) | instskip(NEXT) | instid1(VALU_DEP_1)
	v_mul_f32_e32 v1, v46, v1
	v_and_b32_e32 v85, 0x7f800000, v1
	s_delay_alu instid0(VALU_DEP_1) | instskip(NEXT) | instid1(VALU_DEP_1)
	v_cmp_ne_u32_e64 s0, 0x7f800000, v85
                                        ; implicit-def: $vgpr85
	s_and_saveexec_b32 s10, s0
	s_delay_alu instid0(SALU_CYCLE_1)
	s_xor_b32 s0, exec_lo, s10
; %bb.246:                              ;   in Loop: Header=BB165_40 Depth=1
	v_bfe_u32 v85, v1, 16, 1
	s_delay_alu instid0(VALU_DEP_1)
	v_add3_u32 v85, v1, v85, 0x7fff
                                        ; implicit-def: $vgpr1
; %bb.247:                              ;   in Loop: Header=BB165_40 Depth=1
	s_and_not1_saveexec_b32 s10, s0
; %bb.248:                              ;   in Loop: Header=BB165_40 Depth=1
	v_and_b32_e32 v85, 0xffff, v1
	v_or_b32_e32 v87, 0x10000, v1
	s_delay_alu instid0(VALU_DEP_2) | instskip(NEXT) | instid1(VALU_DEP_1)
	v_cmp_eq_u32_e64 s0, 0, v85
	v_cndmask_b32_e64 v85, v87, v1, s0
; %bb.249:                              ;   in Loop: Header=BB165_40 Depth=1
	s_or_b32 exec_lo, exec_lo, s10
	v_lshlrev_b32_e32 v1, 16, v86
	s_delay_alu instid0(VALU_DEP_1) | instskip(NEXT) | instid1(VALU_DEP_1)
	v_mul_f32_e32 v1, v48, v1
	v_and_b32_e32 v86, 0x7f800000, v1
	s_delay_alu instid0(VALU_DEP_1) | instskip(NEXT) | instid1(VALU_DEP_1)
	v_cmp_ne_u32_e64 s0, 0x7f800000, v86
                                        ; implicit-def: $vgpr86
	s_and_saveexec_b32 s10, s0
	s_delay_alu instid0(SALU_CYCLE_1)
	s_xor_b32 s0, exec_lo, s10
; %bb.250:                              ;   in Loop: Header=BB165_40 Depth=1
	v_bfe_u32 v86, v1, 16, 1
	s_delay_alu instid0(VALU_DEP_1)
	v_add3_u32 v86, v1, v86, 0x7fff
                                        ; implicit-def: $vgpr1
; %bb.251:                              ;   in Loop: Header=BB165_40 Depth=1
	s_and_not1_saveexec_b32 s10, s0
; %bb.252:                              ;   in Loop: Header=BB165_40 Depth=1
	v_and_b32_e32 v86, 0xffff, v1
	v_or_b32_e32 v87, 0x10000, v1
	s_delay_alu instid0(VALU_DEP_2) | instskip(NEXT) | instid1(VALU_DEP_1)
	v_cmp_eq_u32_e64 s0, 0, v86
	v_cndmask_b32_e64 v86, v87, v1, s0
; %bb.253:                              ;   in Loop: Header=BB165_40 Depth=1
	s_or_b32 exec_lo, exec_lo, s10
	v_lshlrev_b32_e32 v1, 16, v2
                                        ; implicit-def: $vgpr87
	s_delay_alu instid0(VALU_DEP_1) | instskip(NEXT) | instid1(VALU_DEP_1)
	v_mul_f32_e32 v1, v49, v1
	v_and_b32_e32 v2, 0x7f800000, v1
	s_delay_alu instid0(VALU_DEP_1) | instskip(NEXT) | instid1(VALU_DEP_1)
	v_cmp_ne_u32_e64 s0, 0x7f800000, v2
	s_and_saveexec_b32 s10, s0
	s_delay_alu instid0(SALU_CYCLE_1)
	s_xor_b32 s0, exec_lo, s10
; %bb.254:                              ;   in Loop: Header=BB165_40 Depth=1
	v_bfe_u32 v2, v1, 16, 1
	s_delay_alu instid0(VALU_DEP_1)
	v_add3_u32 v87, v1, v2, 0x7fff
                                        ; implicit-def: $vgpr1
; %bb.255:                              ;   in Loop: Header=BB165_40 Depth=1
	s_and_not1_saveexec_b32 s10, s0
; %bb.256:                              ;   in Loop: Header=BB165_40 Depth=1
	v_and_b32_e32 v2, 0xffff, v1
	v_or_b32_e32 v87, 0x10000, v1
	s_delay_alu instid0(VALU_DEP_2) | instskip(NEXT) | instid1(VALU_DEP_1)
	v_cmp_eq_u32_e64 s0, 0, v2
	v_cndmask_b32_e64 v87, v87, v1, s0
; %bb.257:                              ;   in Loop: Header=BB165_40 Depth=1
	s_or_b32 exec_lo, exec_lo, s10
	v_lshlrev_b32_e32 v1, 16, v88
                                        ; implicit-def: $vgpr88
	s_delay_alu instid0(VALU_DEP_1) | instskip(NEXT) | instid1(VALU_DEP_1)
	v_mul_f32_e32 v1, v50, v1
	v_and_b32_e32 v2, 0x7f800000, v1
	s_delay_alu instid0(VALU_DEP_1) | instskip(NEXT) | instid1(VALU_DEP_1)
	v_cmp_ne_u32_e64 s0, 0x7f800000, v2
	s_and_saveexec_b32 s10, s0
	s_delay_alu instid0(SALU_CYCLE_1)
	s_xor_b32 s0, exec_lo, s10
; %bb.258:                              ;   in Loop: Header=BB165_40 Depth=1
	v_bfe_u32 v2, v1, 16, 1
	s_delay_alu instid0(VALU_DEP_1)
	v_add3_u32 v88, v1, v2, 0x7fff
                                        ; implicit-def: $vgpr1
; %bb.259:                              ;   in Loop: Header=BB165_40 Depth=1
	s_and_not1_saveexec_b32 s10, s0
; %bb.260:                              ;   in Loop: Header=BB165_40 Depth=1
	v_and_b32_e32 v2, 0xffff, v1
	v_or_b32_e32 v88, 0x10000, v1
	s_delay_alu instid0(VALU_DEP_2) | instskip(NEXT) | instid1(VALU_DEP_1)
	v_cmp_eq_u32_e64 s0, 0, v2
	v_cndmask_b32_e64 v88, v88, v1, s0
; %bb.261:                              ;   in Loop: Header=BB165_40 Depth=1
	s_or_b32 exec_lo, exec_lo, s10
	v_lshlrev_b32_e32 v1, 16, v3
                                        ; implicit-def: $vgpr89
	s_delay_alu instid0(VALU_DEP_1) | instskip(NEXT) | instid1(VALU_DEP_1)
	v_mul_f32_e32 v1, v51, v1
	v_and_b32_e32 v2, 0x7f800000, v1
	s_delay_alu instid0(VALU_DEP_1) | instskip(NEXT) | instid1(VALU_DEP_1)
	v_cmp_ne_u32_e64 s0, 0x7f800000, v2
	s_and_saveexec_b32 s10, s0
	s_delay_alu instid0(SALU_CYCLE_1)
	s_xor_b32 s0, exec_lo, s10
; %bb.262:                              ;   in Loop: Header=BB165_40 Depth=1
	v_bfe_u32 v2, v1, 16, 1
	s_delay_alu instid0(VALU_DEP_1)
	v_add3_u32 v89, v1, v2, 0x7fff
                                        ; implicit-def: $vgpr1
; %bb.263:                              ;   in Loop: Header=BB165_40 Depth=1
	s_and_not1_saveexec_b32 s10, s0
; %bb.264:                              ;   in Loop: Header=BB165_40 Depth=1
	v_and_b32_e32 v2, 0xffff, v1
	v_or_b32_e32 v3, 0x10000, v1
	s_delay_alu instid0(VALU_DEP_2) | instskip(NEXT) | instid1(VALU_DEP_1)
	v_cmp_eq_u32_e64 s0, 0, v2
	v_cndmask_b32_e64 v89, v3, v1, s0
; %bb.265:                              ;   in Loop: Header=BB165_40 Depth=1
	s_or_b32 exec_lo, exec_lo, s10
	v_lshlrev_b32_e32 v1, 16, v90
                                        ; implicit-def: $vgpr90
	s_delay_alu instid0(VALU_DEP_1) | instskip(NEXT) | instid1(VALU_DEP_1)
	v_mul_f32_e32 v1, v52, v1
	v_and_b32_e32 v2, 0x7f800000, v1
	s_delay_alu instid0(VALU_DEP_1) | instskip(NEXT) | instid1(VALU_DEP_1)
	v_cmp_ne_u32_e64 s0, 0x7f800000, v2
	s_and_saveexec_b32 s10, s0
	s_delay_alu instid0(SALU_CYCLE_1)
	s_xor_b32 s0, exec_lo, s10
; %bb.266:                              ;   in Loop: Header=BB165_40 Depth=1
	v_bfe_u32 v2, v1, 16, 1
	s_delay_alu instid0(VALU_DEP_1)
	v_add3_u32 v90, v1, v2, 0x7fff
                                        ; implicit-def: $vgpr1
; %bb.267:                              ;   in Loop: Header=BB165_40 Depth=1
	s_and_not1_saveexec_b32 s10, s0
; %bb.268:                              ;   in Loop: Header=BB165_40 Depth=1
	v_and_b32_e32 v2, 0xffff, v1
	v_or_b32_e32 v3, 0x10000, v1
	s_delay_alu instid0(VALU_DEP_2) | instskip(NEXT) | instid1(VALU_DEP_1)
	v_cmp_eq_u32_e64 s0, 0, v2
	v_cndmask_b32_e64 v90, v3, v1, s0
; %bb.269:                              ;   in Loop: Header=BB165_40 Depth=1
	s_or_b32 exec_lo, exec_lo, s10
	v_lshlrev_b32_e32 v1, 16, v4
                                        ; implicit-def: $vgpr91
	s_delay_alu instid0(VALU_DEP_1) | instskip(NEXT) | instid1(VALU_DEP_1)
	v_mul_f32_e32 v1, v53, v1
	v_and_b32_e32 v2, 0x7f800000, v1
	s_delay_alu instid0(VALU_DEP_1) | instskip(NEXT) | instid1(VALU_DEP_1)
	v_cmp_ne_u32_e64 s0, 0x7f800000, v2
	s_and_saveexec_b32 s10, s0
	s_delay_alu instid0(SALU_CYCLE_1)
	s_xor_b32 s0, exec_lo, s10
; %bb.270:                              ;   in Loop: Header=BB165_40 Depth=1
	v_bfe_u32 v2, v1, 16, 1
	s_delay_alu instid0(VALU_DEP_1)
	v_add3_u32 v91, v1, v2, 0x7fff
                                        ; implicit-def: $vgpr1
; %bb.271:                              ;   in Loop: Header=BB165_40 Depth=1
	s_and_not1_saveexec_b32 s10, s0
; %bb.272:                              ;   in Loop: Header=BB165_40 Depth=1
	v_and_b32_e32 v2, 0xffff, v1
	v_or_b32_e32 v3, 0x10000, v1
	s_delay_alu instid0(VALU_DEP_2) | instskip(NEXT) | instid1(VALU_DEP_1)
	v_cmp_eq_u32_e64 s0, 0, v2
	v_cndmask_b32_e64 v91, v3, v1, s0
; %bb.273:                              ;   in Loop: Header=BB165_40 Depth=1
	s_or_b32 exec_lo, exec_lo, s10
	v_lshlrev_b32_e32 v1, 16, v92
                                        ; implicit-def: $vgpr92
	s_delay_alu instid0(VALU_DEP_1) | instskip(NEXT) | instid1(VALU_DEP_1)
	v_mul_f32_e32 v1, v54, v1
	v_and_b32_e32 v2, 0x7f800000, v1
	s_delay_alu instid0(VALU_DEP_1) | instskip(NEXT) | instid1(VALU_DEP_1)
	v_cmp_ne_u32_e64 s0, 0x7f800000, v2
	s_and_saveexec_b32 s10, s0
	s_delay_alu instid0(SALU_CYCLE_1)
	s_xor_b32 s0, exec_lo, s10
; %bb.274:                              ;   in Loop: Header=BB165_40 Depth=1
	v_bfe_u32 v2, v1, 16, 1
	s_delay_alu instid0(VALU_DEP_1)
	v_add3_u32 v92, v1, v2, 0x7fff
                                        ; implicit-def: $vgpr1
; %bb.275:                              ;   in Loop: Header=BB165_40 Depth=1
	s_and_not1_saveexec_b32 s10, s0
; %bb.276:                              ;   in Loop: Header=BB165_40 Depth=1
	v_and_b32_e32 v2, 0xffff, v1
	v_or_b32_e32 v3, 0x10000, v1
	s_delay_alu instid0(VALU_DEP_2) | instskip(NEXT) | instid1(VALU_DEP_1)
	v_cmp_eq_u32_e64 s0, 0, v2
	v_cndmask_b32_e64 v92, v3, v1, s0
; %bb.277:                              ;   in Loop: Header=BB165_40 Depth=1
	s_or_b32 exec_lo, exec_lo, s10
	global_load_b128 v[1:4], v[5:6], off offset:3072
	s_waitcnt vmcnt(0)
	v_lshrrev_b32_e32 v94, 16, v1
	v_lshrrev_b32_e32 v96, 16, v2
	v_lshrrev_b32_e32 v98, 16, v3
	v_lshrrev_b32_e32 v100, 16, v4
	s_and_saveexec_b32 s10, vcc_lo
	s_cbranch_execz .LBB165_279
; %bb.278:                              ;   in Loop: Header=BB165_40 Depth=1
	v_cmp_gt_i32_e64 s0, s33, v37
	s_delay_alu instid0(VALU_DEP_1) | instskip(SKIP_1) | instid1(VALU_DEP_1)
	v_cndmask_b32_e64 v1, 0, v1, s0
	v_cmp_gt_i32_e64 s0, s33, v45
	v_cndmask_b32_e64 v94, 0, v94, s0
	v_cmp_gt_i32_e64 s0, s33, v44
	s_delay_alu instid0(VALU_DEP_1) | instskip(SKIP_1) | instid1(VALU_DEP_1)
	v_cndmask_b32_e64 v2, 0, v2, s0
	v_cmp_gt_i32_e64 s0, s33, v42
	v_cndmask_b32_e64 v96, 0, v96, s0
	;; [unrolled: 5-line block ×4, first 2 shown]
.LBB165_279:                            ;   in Loop: Header=BB165_40 Depth=1
	s_or_b32 exec_lo, exec_lo, s10
	v_lshlrev_b32_e32 v1, 16, v1
	s_delay_alu instid0(VALU_DEP_1) | instskip(NEXT) | instid1(VALU_DEP_1)
	v_mul_f32_e32 v1, v46, v1
	v_and_b32_e32 v93, 0x7f800000, v1
	s_delay_alu instid0(VALU_DEP_1) | instskip(NEXT) | instid1(VALU_DEP_1)
	v_cmp_ne_u32_e64 s0, 0x7f800000, v93
                                        ; implicit-def: $vgpr93
	s_and_saveexec_b32 s10, s0
	s_delay_alu instid0(SALU_CYCLE_1)
	s_xor_b32 s0, exec_lo, s10
; %bb.280:                              ;   in Loop: Header=BB165_40 Depth=1
	v_bfe_u32 v93, v1, 16, 1
	s_delay_alu instid0(VALU_DEP_1)
	v_add3_u32 v93, v1, v93, 0x7fff
                                        ; implicit-def: $vgpr1
; %bb.281:                              ;   in Loop: Header=BB165_40 Depth=1
	s_and_not1_saveexec_b32 s10, s0
; %bb.282:                              ;   in Loop: Header=BB165_40 Depth=1
	v_and_b32_e32 v93, 0xffff, v1
	v_or_b32_e32 v95, 0x10000, v1
	s_delay_alu instid0(VALU_DEP_2) | instskip(NEXT) | instid1(VALU_DEP_1)
	v_cmp_eq_u32_e64 s0, 0, v93
	v_cndmask_b32_e64 v93, v95, v1, s0
; %bb.283:                              ;   in Loop: Header=BB165_40 Depth=1
	s_or_b32 exec_lo, exec_lo, s10
	v_lshlrev_b32_e32 v1, 16, v94
	s_delay_alu instid0(VALU_DEP_1) | instskip(NEXT) | instid1(VALU_DEP_1)
	v_mul_f32_e32 v1, v48, v1
	v_and_b32_e32 v94, 0x7f800000, v1
	s_delay_alu instid0(VALU_DEP_1) | instskip(NEXT) | instid1(VALU_DEP_1)
	v_cmp_ne_u32_e64 s0, 0x7f800000, v94
                                        ; implicit-def: $vgpr94
	s_and_saveexec_b32 s10, s0
	s_delay_alu instid0(SALU_CYCLE_1)
	s_xor_b32 s0, exec_lo, s10
; %bb.284:                              ;   in Loop: Header=BB165_40 Depth=1
	v_bfe_u32 v94, v1, 16, 1
	s_delay_alu instid0(VALU_DEP_1)
	v_add3_u32 v94, v1, v94, 0x7fff
                                        ; implicit-def: $vgpr1
; %bb.285:                              ;   in Loop: Header=BB165_40 Depth=1
	s_and_not1_saveexec_b32 s10, s0
; %bb.286:                              ;   in Loop: Header=BB165_40 Depth=1
	v_and_b32_e32 v94, 0xffff, v1
	v_or_b32_e32 v95, 0x10000, v1
	s_delay_alu instid0(VALU_DEP_2) | instskip(NEXT) | instid1(VALU_DEP_1)
	v_cmp_eq_u32_e64 s0, 0, v94
	v_cndmask_b32_e64 v94, v95, v1, s0
; %bb.287:                              ;   in Loop: Header=BB165_40 Depth=1
	s_or_b32 exec_lo, exec_lo, s10
	v_lshlrev_b32_e32 v1, 16, v2
                                        ; implicit-def: $vgpr95
	s_delay_alu instid0(VALU_DEP_1) | instskip(NEXT) | instid1(VALU_DEP_1)
	v_mul_f32_e32 v1, v49, v1
	v_and_b32_e32 v2, 0x7f800000, v1
	s_delay_alu instid0(VALU_DEP_1) | instskip(NEXT) | instid1(VALU_DEP_1)
	v_cmp_ne_u32_e64 s0, 0x7f800000, v2
	s_and_saveexec_b32 s10, s0
	s_delay_alu instid0(SALU_CYCLE_1)
	s_xor_b32 s0, exec_lo, s10
; %bb.288:                              ;   in Loop: Header=BB165_40 Depth=1
	v_bfe_u32 v2, v1, 16, 1
	s_delay_alu instid0(VALU_DEP_1)
	v_add3_u32 v95, v1, v2, 0x7fff
                                        ; implicit-def: $vgpr1
; %bb.289:                              ;   in Loop: Header=BB165_40 Depth=1
	s_and_not1_saveexec_b32 s10, s0
; %bb.290:                              ;   in Loop: Header=BB165_40 Depth=1
	v_and_b32_e32 v2, 0xffff, v1
	v_or_b32_e32 v95, 0x10000, v1
	s_delay_alu instid0(VALU_DEP_2) | instskip(NEXT) | instid1(VALU_DEP_1)
	v_cmp_eq_u32_e64 s0, 0, v2
	v_cndmask_b32_e64 v95, v95, v1, s0
; %bb.291:                              ;   in Loop: Header=BB165_40 Depth=1
	s_or_b32 exec_lo, exec_lo, s10
	v_lshlrev_b32_e32 v1, 16, v96
                                        ; implicit-def: $vgpr96
	s_delay_alu instid0(VALU_DEP_1) | instskip(NEXT) | instid1(VALU_DEP_1)
	v_mul_f32_e32 v1, v50, v1
	v_and_b32_e32 v2, 0x7f800000, v1
	s_delay_alu instid0(VALU_DEP_1) | instskip(NEXT) | instid1(VALU_DEP_1)
	v_cmp_ne_u32_e64 s0, 0x7f800000, v2
	s_and_saveexec_b32 s10, s0
	s_delay_alu instid0(SALU_CYCLE_1)
	s_xor_b32 s0, exec_lo, s10
; %bb.292:                              ;   in Loop: Header=BB165_40 Depth=1
	v_bfe_u32 v2, v1, 16, 1
	s_delay_alu instid0(VALU_DEP_1)
	v_add3_u32 v96, v1, v2, 0x7fff
                                        ; implicit-def: $vgpr1
; %bb.293:                              ;   in Loop: Header=BB165_40 Depth=1
	s_and_not1_saveexec_b32 s10, s0
; %bb.294:                              ;   in Loop: Header=BB165_40 Depth=1
	v_and_b32_e32 v2, 0xffff, v1
	v_or_b32_e32 v96, 0x10000, v1
	s_delay_alu instid0(VALU_DEP_2) | instskip(NEXT) | instid1(VALU_DEP_1)
	v_cmp_eq_u32_e64 s0, 0, v2
	v_cndmask_b32_e64 v96, v96, v1, s0
; %bb.295:                              ;   in Loop: Header=BB165_40 Depth=1
	s_or_b32 exec_lo, exec_lo, s10
	v_lshlrev_b32_e32 v1, 16, v3
                                        ; implicit-def: $vgpr97
	s_delay_alu instid0(VALU_DEP_1) | instskip(NEXT) | instid1(VALU_DEP_1)
	v_mul_f32_e32 v1, v51, v1
	v_and_b32_e32 v2, 0x7f800000, v1
	s_delay_alu instid0(VALU_DEP_1) | instskip(NEXT) | instid1(VALU_DEP_1)
	v_cmp_ne_u32_e64 s0, 0x7f800000, v2
	s_and_saveexec_b32 s10, s0
	s_delay_alu instid0(SALU_CYCLE_1)
	s_xor_b32 s0, exec_lo, s10
; %bb.296:                              ;   in Loop: Header=BB165_40 Depth=1
	v_bfe_u32 v2, v1, 16, 1
	s_delay_alu instid0(VALU_DEP_1)
	v_add3_u32 v97, v1, v2, 0x7fff
                                        ; implicit-def: $vgpr1
; %bb.297:                              ;   in Loop: Header=BB165_40 Depth=1
	s_and_not1_saveexec_b32 s10, s0
; %bb.298:                              ;   in Loop: Header=BB165_40 Depth=1
	v_and_b32_e32 v2, 0xffff, v1
	v_or_b32_e32 v3, 0x10000, v1
	s_delay_alu instid0(VALU_DEP_2) | instskip(NEXT) | instid1(VALU_DEP_1)
	v_cmp_eq_u32_e64 s0, 0, v2
	v_cndmask_b32_e64 v97, v3, v1, s0
; %bb.299:                              ;   in Loop: Header=BB165_40 Depth=1
	s_or_b32 exec_lo, exec_lo, s10
	v_lshlrev_b32_e32 v1, 16, v98
                                        ; implicit-def: $vgpr98
	s_delay_alu instid0(VALU_DEP_1) | instskip(NEXT) | instid1(VALU_DEP_1)
	v_mul_f32_e32 v1, v52, v1
	v_and_b32_e32 v2, 0x7f800000, v1
	s_delay_alu instid0(VALU_DEP_1) | instskip(NEXT) | instid1(VALU_DEP_1)
	v_cmp_ne_u32_e64 s0, 0x7f800000, v2
	s_and_saveexec_b32 s10, s0
	s_delay_alu instid0(SALU_CYCLE_1)
	s_xor_b32 s0, exec_lo, s10
; %bb.300:                              ;   in Loop: Header=BB165_40 Depth=1
	v_bfe_u32 v2, v1, 16, 1
	s_delay_alu instid0(VALU_DEP_1)
	v_add3_u32 v98, v1, v2, 0x7fff
                                        ; implicit-def: $vgpr1
; %bb.301:                              ;   in Loop: Header=BB165_40 Depth=1
	s_and_not1_saveexec_b32 s10, s0
; %bb.302:                              ;   in Loop: Header=BB165_40 Depth=1
	v_and_b32_e32 v2, 0xffff, v1
	v_or_b32_e32 v3, 0x10000, v1
	s_delay_alu instid0(VALU_DEP_2) | instskip(NEXT) | instid1(VALU_DEP_1)
	v_cmp_eq_u32_e64 s0, 0, v2
	v_cndmask_b32_e64 v98, v3, v1, s0
; %bb.303:                              ;   in Loop: Header=BB165_40 Depth=1
	s_or_b32 exec_lo, exec_lo, s10
	v_lshlrev_b32_e32 v1, 16, v4
                                        ; implicit-def: $vgpr99
	s_delay_alu instid0(VALU_DEP_1) | instskip(NEXT) | instid1(VALU_DEP_1)
	v_mul_f32_e32 v1, v53, v1
	v_and_b32_e32 v2, 0x7f800000, v1
	s_delay_alu instid0(VALU_DEP_1) | instskip(NEXT) | instid1(VALU_DEP_1)
	v_cmp_ne_u32_e64 s0, 0x7f800000, v2
	s_and_saveexec_b32 s10, s0
	s_delay_alu instid0(SALU_CYCLE_1)
	s_xor_b32 s0, exec_lo, s10
; %bb.304:                              ;   in Loop: Header=BB165_40 Depth=1
	v_bfe_u32 v2, v1, 16, 1
	s_delay_alu instid0(VALU_DEP_1)
	v_add3_u32 v99, v1, v2, 0x7fff
                                        ; implicit-def: $vgpr1
; %bb.305:                              ;   in Loop: Header=BB165_40 Depth=1
	s_and_not1_saveexec_b32 s10, s0
; %bb.306:                              ;   in Loop: Header=BB165_40 Depth=1
	v_and_b32_e32 v2, 0xffff, v1
	v_or_b32_e32 v3, 0x10000, v1
	s_delay_alu instid0(VALU_DEP_2) | instskip(NEXT) | instid1(VALU_DEP_1)
	v_cmp_eq_u32_e64 s0, 0, v2
	v_cndmask_b32_e64 v99, v3, v1, s0
; %bb.307:                              ;   in Loop: Header=BB165_40 Depth=1
	s_or_b32 exec_lo, exec_lo, s10
	v_lshlrev_b32_e32 v1, 16, v100
                                        ; implicit-def: $vgpr100
	s_delay_alu instid0(VALU_DEP_1) | instskip(NEXT) | instid1(VALU_DEP_1)
	v_mul_f32_e32 v1, v54, v1
	v_and_b32_e32 v2, 0x7f800000, v1
	s_delay_alu instid0(VALU_DEP_1) | instskip(NEXT) | instid1(VALU_DEP_1)
	v_cmp_ne_u32_e64 s0, 0x7f800000, v2
	s_and_saveexec_b32 s10, s0
	s_delay_alu instid0(SALU_CYCLE_1)
	s_xor_b32 s0, exec_lo, s10
; %bb.308:                              ;   in Loop: Header=BB165_40 Depth=1
	v_bfe_u32 v2, v1, 16, 1
	s_delay_alu instid0(VALU_DEP_1)
	v_add3_u32 v100, v1, v2, 0x7fff
                                        ; implicit-def: $vgpr1
; %bb.309:                              ;   in Loop: Header=BB165_40 Depth=1
	s_and_not1_saveexec_b32 s10, s0
; %bb.310:                              ;   in Loop: Header=BB165_40 Depth=1
	v_and_b32_e32 v2, 0xffff, v1
	v_or_b32_e32 v3, 0x10000, v1
	s_delay_alu instid0(VALU_DEP_2) | instskip(NEXT) | instid1(VALU_DEP_1)
	v_cmp_eq_u32_e64 s0, 0, v2
	v_cndmask_b32_e64 v100, v3, v1, s0
; %bb.311:                              ;   in Loop: Header=BB165_40 Depth=1
	s_or_b32 exec_lo, exec_lo, s10
	global_load_b128 v[1:4], v[5:6], off offset:3584
	s_waitcnt vmcnt(0)
	v_lshrrev_b32_e32 v5, 16, v1
	v_lshrrev_b32_e32 v6, 16, v2
	;; [unrolled: 1-line block ×4, first 2 shown]
	s_and_saveexec_b32 s0, vcc_lo
	s_cbranch_execz .LBB165_313
; %bb.312:                              ;   in Loop: Header=BB165_40 Depth=1
	v_cmp_gt_i32_e32 vcc_lo, s33, v37
	v_cndmask_b32_e32 v1, 0, v1, vcc_lo
	v_cmp_gt_i32_e32 vcc_lo, s33, v45
	v_cndmask_b32_e32 v5, 0, v5, vcc_lo
	;; [unrolled: 2-line block ×8, first 2 shown]
.LBB165_313:                            ;   in Loop: Header=BB165_40 Depth=1
	s_or_b32 exec_lo, exec_lo, s0
	v_lshlrev_b32_e32 v1, 16, v1
	s_delay_alu instid0(VALU_DEP_1) | instskip(NEXT) | instid1(VALU_DEP_1)
	v_mul_f32_e32 v37, v46, v1
	v_and_b32_e32 v1, 0x7f800000, v37
	s_delay_alu instid0(VALU_DEP_1) | instskip(SKIP_1) | instid1(SALU_CYCLE_1)
	v_cmp_ne_u32_e32 vcc_lo, 0x7f800000, v1
                                        ; implicit-def: $vgpr1
	s_and_saveexec_b32 s0, vcc_lo
	s_xor_b32 s0, exec_lo, s0
; %bb.314:                              ;   in Loop: Header=BB165_40 Depth=1
	v_bfe_u32 v1, v37, 16, 1
	s_delay_alu instid0(VALU_DEP_1)
	v_add3_u32 v1, v37, v1, 0x7fff
                                        ; implicit-def: $vgpr37
; %bb.315:                              ;   in Loop: Header=BB165_40 Depth=1
	s_and_not1_saveexec_b32 s0, s0
; %bb.316:                              ;   in Loop: Header=BB165_40 Depth=1
	v_and_b32_e32 v1, 0xffff, v37
	v_or_b32_e32 v39, 0x10000, v37
	s_delay_alu instid0(VALU_DEP_2) | instskip(NEXT) | instid1(VALU_DEP_2)
	v_cmp_eq_u32_e32 vcc_lo, 0, v1
	v_cndmask_b32_e32 v1, v39, v37, vcc_lo
; %bb.317:                              ;   in Loop: Header=BB165_40 Depth=1
	s_or_b32 exec_lo, exec_lo, s0
	v_lshlrev_b32_e32 v5, 16, v5
	s_delay_alu instid0(VALU_DEP_1) | instskip(NEXT) | instid1(VALU_DEP_1)
	v_mul_f32_e32 v37, v48, v5
	v_and_b32_e32 v5, 0x7f800000, v37
	s_delay_alu instid0(VALU_DEP_1) | instskip(SKIP_1) | instid1(SALU_CYCLE_1)
	v_cmp_ne_u32_e32 vcc_lo, 0x7f800000, v5
                                        ; implicit-def: $vgpr5
	s_and_saveexec_b32 s0, vcc_lo
	s_xor_b32 s0, exec_lo, s0
; %bb.318:                              ;   in Loop: Header=BB165_40 Depth=1
	v_bfe_u32 v5, v37, 16, 1
	s_delay_alu instid0(VALU_DEP_1)
	v_add3_u32 v5, v37, v5, 0x7fff
                                        ; implicit-def: $vgpr37
; %bb.319:                              ;   in Loop: Header=BB165_40 Depth=1
	s_and_not1_saveexec_b32 s0, s0
; %bb.320:                              ;   in Loop: Header=BB165_40 Depth=1
	v_and_b32_e32 v5, 0xffff, v37
	v_or_b32_e32 v39, 0x10000, v37
	s_delay_alu instid0(VALU_DEP_2) | instskip(NEXT) | instid1(VALU_DEP_2)
	v_cmp_eq_u32_e32 vcc_lo, 0, v5
	v_cndmask_b32_e32 v5, v39, v37, vcc_lo
; %bb.321:                              ;   in Loop: Header=BB165_40 Depth=1
	s_or_b32 exec_lo, exec_lo, s0
	v_lshlrev_b32_e32 v2, 16, v2
	s_delay_alu instid0(VALU_DEP_1) | instskip(NEXT) | instid1(VALU_DEP_1)
	v_mul_f32_e32 v37, v49, v2
	v_and_b32_e32 v2, 0x7f800000, v37
	s_delay_alu instid0(VALU_DEP_1) | instskip(SKIP_1) | instid1(SALU_CYCLE_1)
	v_cmp_ne_u32_e32 vcc_lo, 0x7f800000, v2
                                        ; implicit-def: $vgpr2
	s_and_saveexec_b32 s0, vcc_lo
	s_xor_b32 s0, exec_lo, s0
; %bb.322:                              ;   in Loop: Header=BB165_40 Depth=1
	v_bfe_u32 v2, v37, 16, 1
	s_delay_alu instid0(VALU_DEP_1)
	v_add3_u32 v2, v37, v2, 0x7fff
                                        ; implicit-def: $vgpr37
; %bb.323:                              ;   in Loop: Header=BB165_40 Depth=1
	s_and_not1_saveexec_b32 s0, s0
; %bb.324:                              ;   in Loop: Header=BB165_40 Depth=1
	v_and_b32_e32 v2, 0xffff, v37
	v_or_b32_e32 v39, 0x10000, v37
	s_delay_alu instid0(VALU_DEP_2) | instskip(NEXT) | instid1(VALU_DEP_2)
	v_cmp_eq_u32_e32 vcc_lo, 0, v2
	v_cndmask_b32_e32 v2, v39, v37, vcc_lo
; %bb.325:                              ;   in Loop: Header=BB165_40 Depth=1
	s_or_b32 exec_lo, exec_lo, s0
	v_lshlrev_b32_e32 v6, 16, v6
	s_delay_alu instid0(VALU_DEP_1) | instskip(NEXT) | instid1(VALU_DEP_1)
	v_mul_f32_e32 v37, v50, v6
	v_and_b32_e32 v6, 0x7f800000, v37
	s_delay_alu instid0(VALU_DEP_1) | instskip(SKIP_1) | instid1(SALU_CYCLE_1)
	v_cmp_ne_u32_e32 vcc_lo, 0x7f800000, v6
                                        ; implicit-def: $vgpr6
	s_and_saveexec_b32 s0, vcc_lo
	s_xor_b32 s0, exec_lo, s0
; %bb.326:                              ;   in Loop: Header=BB165_40 Depth=1
	v_bfe_u32 v6, v37, 16, 1
	s_delay_alu instid0(VALU_DEP_1)
	v_add3_u32 v6, v37, v6, 0x7fff
                                        ; implicit-def: $vgpr37
; %bb.327:                              ;   in Loop: Header=BB165_40 Depth=1
	s_and_not1_saveexec_b32 s0, s0
; %bb.328:                              ;   in Loop: Header=BB165_40 Depth=1
	v_and_b32_e32 v6, 0xffff, v37
	v_or_b32_e32 v39, 0x10000, v37
	s_delay_alu instid0(VALU_DEP_2) | instskip(NEXT) | instid1(VALU_DEP_2)
	v_cmp_eq_u32_e32 vcc_lo, 0, v6
	v_cndmask_b32_e32 v6, v39, v37, vcc_lo
; %bb.329:                              ;   in Loop: Header=BB165_40 Depth=1
	s_or_b32 exec_lo, exec_lo, s0
	v_lshlrev_b32_e32 v3, 16, v3
	s_delay_alu instid0(VALU_DEP_1) | instskip(NEXT) | instid1(VALU_DEP_1)
	v_mul_f32_e32 v37, v51, v3
	v_and_b32_e32 v3, 0x7f800000, v37
	s_delay_alu instid0(VALU_DEP_1) | instskip(SKIP_1) | instid1(SALU_CYCLE_1)
	v_cmp_ne_u32_e32 vcc_lo, 0x7f800000, v3
                                        ; implicit-def: $vgpr3
	s_and_saveexec_b32 s0, vcc_lo
	s_xor_b32 s0, exec_lo, s0
; %bb.330:                              ;   in Loop: Header=BB165_40 Depth=1
	v_bfe_u32 v3, v37, 16, 1
	s_delay_alu instid0(VALU_DEP_1)
	v_add3_u32 v3, v37, v3, 0x7fff
                                        ; implicit-def: $vgpr37
; %bb.331:                              ;   in Loop: Header=BB165_40 Depth=1
	s_and_not1_saveexec_b32 s0, s0
; %bb.332:                              ;   in Loop: Header=BB165_40 Depth=1
	v_and_b32_e32 v3, 0xffff, v37
	v_or_b32_e32 v39, 0x10000, v37
	s_delay_alu instid0(VALU_DEP_2) | instskip(NEXT) | instid1(VALU_DEP_2)
	v_cmp_eq_u32_e32 vcc_lo, 0, v3
	v_cndmask_b32_e32 v3, v39, v37, vcc_lo
; %bb.333:                              ;   in Loop: Header=BB165_40 Depth=1
	s_or_b32 exec_lo, exec_lo, s0
	v_lshlrev_b32_e32 v37, 16, v102
	s_delay_alu instid0(VALU_DEP_1) | instskip(NEXT) | instid1(VALU_DEP_1)
	v_mul_f32_e32 v39, v52, v37
	v_and_b32_e32 v37, 0x7f800000, v39
	s_delay_alu instid0(VALU_DEP_1) | instskip(SKIP_1) | instid1(SALU_CYCLE_1)
	v_cmp_ne_u32_e32 vcc_lo, 0x7f800000, v37
                                        ; implicit-def: $vgpr37
	s_and_saveexec_b32 s0, vcc_lo
	s_xor_b32 s0, exec_lo, s0
; %bb.334:                              ;   in Loop: Header=BB165_40 Depth=1
	v_bfe_u32 v37, v39, 16, 1
	s_delay_alu instid0(VALU_DEP_1)
	v_add3_u32 v37, v39, v37, 0x7fff
                                        ; implicit-def: $vgpr39
; %bb.335:                              ;   in Loop: Header=BB165_40 Depth=1
	s_and_not1_saveexec_b32 s0, s0
; %bb.336:                              ;   in Loop: Header=BB165_40 Depth=1
	v_and_b32_e32 v37, 0xffff, v39
	v_or_b32_e32 v40, 0x10000, v39
	s_delay_alu instid0(VALU_DEP_2) | instskip(NEXT) | instid1(VALU_DEP_2)
	v_cmp_eq_u32_e32 vcc_lo, 0, v37
	v_cndmask_b32_e32 v37, v40, v39, vcc_lo
; %bb.337:                              ;   in Loop: Header=BB165_40 Depth=1
	s_or_b32 exec_lo, exec_lo, s0
	v_lshlrev_b32_e32 v4, 16, v4
	s_delay_alu instid0(VALU_DEP_1) | instskip(NEXT) | instid1(VALU_DEP_1)
	v_mul_f32_e32 v39, v53, v4
	v_and_b32_e32 v4, 0x7f800000, v39
	s_delay_alu instid0(VALU_DEP_1) | instskip(SKIP_1) | instid1(SALU_CYCLE_1)
	v_cmp_ne_u32_e32 vcc_lo, 0x7f800000, v4
                                        ; implicit-def: $vgpr4
	s_and_saveexec_b32 s0, vcc_lo
	s_xor_b32 s0, exec_lo, s0
; %bb.338:                              ;   in Loop: Header=BB165_40 Depth=1
	v_bfe_u32 v4, v39, 16, 1
	s_delay_alu instid0(VALU_DEP_1)
	v_add3_u32 v4, v39, v4, 0x7fff
                                        ; implicit-def: $vgpr39
; %bb.339:                              ;   in Loop: Header=BB165_40 Depth=1
	s_and_not1_saveexec_b32 s0, s0
; %bb.340:                              ;   in Loop: Header=BB165_40 Depth=1
	v_and_b32_e32 v4, 0xffff, v39
	v_or_b32_e32 v40, 0x10000, v39
	s_delay_alu instid0(VALU_DEP_2) | instskip(NEXT) | instid1(VALU_DEP_2)
	v_cmp_eq_u32_e32 vcc_lo, 0, v4
	v_cndmask_b32_e32 v4, v40, v39, vcc_lo
; %bb.341:                              ;   in Loop: Header=BB165_40 Depth=1
	s_or_b32 exec_lo, exec_lo, s0
	v_lshlrev_b32_e32 v39, 16, v101
	s_delay_alu instid0(VALU_DEP_1) | instskip(NEXT) | instid1(VALU_DEP_1)
	v_mul_f32_e32 v40, v54, v39
	v_and_b32_e32 v39, 0x7f800000, v40
	s_delay_alu instid0(VALU_DEP_1) | instskip(SKIP_1) | instid1(SALU_CYCLE_1)
	v_cmp_ne_u32_e32 vcc_lo, 0x7f800000, v39
                                        ; implicit-def: $vgpr39
	s_and_saveexec_b32 s0, vcc_lo
	s_xor_b32 s0, exec_lo, s0
; %bb.342:                              ;   in Loop: Header=BB165_40 Depth=1
	v_bfe_u32 v39, v40, 16, 1
	s_delay_alu instid0(VALU_DEP_1)
	v_add3_u32 v39, v40, v39, 0x7fff
                                        ; implicit-def: $vgpr40
; %bb.343:                              ;   in Loop: Header=BB165_40 Depth=1
	s_and_not1_saveexec_b32 s0, s0
	s_cbranch_execz .LBB165_38
; %bb.344:                              ;   in Loop: Header=BB165_40 Depth=1
	v_and_b32_e32 v39, 0xffff, v40
	v_or_b32_e32 v41, 0x10000, v40
	s_delay_alu instid0(VALU_DEP_2) | instskip(NEXT) | instid1(VALU_DEP_2)
	v_cmp_eq_u32_e32 vcc_lo, 0, v39
	v_cndmask_b32_e32 v39, v41, v40, vcc_lo
	s_branch .LBB165_38
.LBB165_345:
	s_or_b32 exec_lo, exec_lo, s4
.LBB165_346:
	s_delay_alu instid0(SALU_CYCLE_1)
	s_or_b32 exec_lo, exec_lo, s1
	ds_bpermute_b32 v1, v17, v18
	ds_bpermute_b32 v2, v17, v24
	;; [unrolled: 1-line block ×8, first 2 shown]
	v_lshrrev_b32_e32 v9, 1, v16
	v_lshl_add_u32 v10, v14, 9, 0x120
	v_and_b32_e32 v14, 0x3c1, v0
	s_mov_b32 s0, exec_lo
	s_waitcnt lgkmcnt(0)
	s_waitcnt_vscnt null, 0x0
	s_barrier
	buffer_gl0_inv
	v_add_f32_e32 v8, v18, v1
	v_dual_add_f32 v6, v24, v2 :: v_dual_add_f32 v5, v22, v3
	v_add_f32_e32 v4, v23, v4
	v_add_f32_e32 v3, v19, v7
	;; [unrolled: 1-line block ×5, first 2 shown]
	v_cmpx_eq_u32_e32 64, v14
	s_cbranch_execz .LBB165_348
; %bb.347:
	v_lshlrev_b32_e32 v11, 2, v9
	s_delay_alu instid0(VALU_DEP_1)
	v_add3_u32 v11, v10, v11, 0xfffffc00
	ds_store_2addr_b32 v11, v8, v6 offset1:16
	ds_store_2addr_b32 v11, v5, v4 offset0:32 offset1:48
	ds_store_2addr_b32 v11, v3, v2 offset0:64 offset1:80
	;; [unrolled: 1-line block ×3, first 2 shown]
.LBB165_348:
	s_or_b32 exec_lo, exec_lo, s0
	v_cmp_eq_u32_e32 vcc_lo, 0, v13
	s_mov_b32 s1, exec_lo
	s_waitcnt lgkmcnt(0)
	s_barrier
	buffer_gl0_inv
	v_cmpx_gt_u32_e32 64, v0
	s_cbranch_execz .LBB165_359
; %bb.349:
	s_and_saveexec_b32 s0, vcc_lo
	s_cbranch_execnz .LBB165_408
; %bb.350:
	s_or_b32 exec_lo, exec_lo, s0
	s_and_saveexec_b32 s0, vcc_lo
	s_cbranch_execnz .LBB165_409
.LBB165_351:
	s_or_b32 exec_lo, exec_lo, s0
	s_and_saveexec_b32 s0, vcc_lo
	s_cbranch_execnz .LBB165_410
.LBB165_352:
	s_or_b32 exec_lo, exec_lo, s0
	s_and_saveexec_b32 s0, vcc_lo
	s_cbranch_execnz .LBB165_411
.LBB165_353:
	s_or_b32 exec_lo, exec_lo, s0
	s_and_saveexec_b32 s0, vcc_lo
	s_cbranch_execnz .LBB165_412
.LBB165_354:
	s_or_b32 exec_lo, exec_lo, s0
	s_and_saveexec_b32 s0, vcc_lo
	s_cbranch_execnz .LBB165_413
.LBB165_355:
	s_or_b32 exec_lo, exec_lo, s0
	s_and_saveexec_b32 s0, vcc_lo
	s_cbranch_execnz .LBB165_414
.LBB165_356:
	s_or_b32 exec_lo, exec_lo, s0
	s_and_saveexec_b32 s0, vcc_lo
	s_cbranch_execz .LBB165_358
.LBB165_357:
	v_lshl_add_u32 v11, v9, 2, v10
	ds_load_b32 v11, v11 offset:448
	s_waitcnt lgkmcnt(0)
	v_add_f32_e32 v7, v7, v11
.LBB165_358:
	s_or_b32 exec_lo, exec_lo, s0
.LBB165_359:
	s_delay_alu instid0(SALU_CYCLE_1)
	s_or_b32 exec_lo, exec_lo, s1
	v_and_b32_e32 v0, 0x3e1, v0
	s_mov_b32 s1, exec_lo
	s_barrier
	buffer_gl0_inv
	v_cmpx_eq_u32_e32 32, v0
	s_cbranch_execz .LBB165_361
; %bb.360:
	v_lshl_add_u32 v0, v9, 2, 0x120
	ds_store_2addr_b32 v0, v8, v6 offset1:16
	ds_store_2addr_b32 v0, v5, v4 offset0:32 offset1:48
	ds_store_2addr_b32 v0, v3, v2 offset0:64 offset1:80
	ds_store_2addr_b32 v0, v1, v7 offset0:96 offset1:112
.LBB165_361:
	s_or_b32 exec_lo, exec_lo, s1
	s_waitcnt lgkmcnt(0)
	s_barrier
	buffer_gl0_inv
	s_and_saveexec_b32 s0, s2
	s_cbranch_execz .LBB165_372
; %bb.362:
	v_lshl_add_u32 v0, v9, 2, v10
	s_and_saveexec_b32 s1, vcc_lo
	s_cbranch_execnz .LBB165_415
; %bb.363:
	s_or_b32 exec_lo, exec_lo, s1
	s_and_saveexec_b32 s1, vcc_lo
	s_cbranch_execnz .LBB165_416
.LBB165_364:
	s_or_b32 exec_lo, exec_lo, s1
	s_and_saveexec_b32 s1, vcc_lo
	s_cbranch_execnz .LBB165_417
.LBB165_365:
	s_or_b32 exec_lo, exec_lo, s1
	s_and_saveexec_b32 s1, vcc_lo
	s_cbranch_execnz .LBB165_418
.LBB165_366:
	s_or_b32 exec_lo, exec_lo, s1
	s_and_saveexec_b32 s1, vcc_lo
	s_cbranch_execnz .LBB165_419
.LBB165_367:
	s_or_b32 exec_lo, exec_lo, s1
	s_and_saveexec_b32 s1, vcc_lo
	s_cbranch_execnz .LBB165_420
.LBB165_368:
	s_or_b32 exec_lo, exec_lo, s1
	s_and_saveexec_b32 s1, vcc_lo
	s_cbranch_execnz .LBB165_421
.LBB165_369:
	s_or_b32 exec_lo, exec_lo, s1
	s_and_saveexec_b32 s1, vcc_lo
	s_cbranch_execz .LBB165_371
.LBB165_370:
	ds_load_b32 v0, v0 offset:448
	s_waitcnt lgkmcnt(0)
	v_add_f32_e32 v7, v7, v0
.LBB165_371:
	s_or_b32 exec_lo, exec_lo, s1
.LBB165_372:
	s_delay_alu instid0(SALU_CYCLE_1)
	s_or_b32 exec_lo, exec_lo, s0
	s_barrier
	buffer_gl0_inv
	s_and_saveexec_b32 s0, s2
	s_cbranch_execz .LBB165_407
; %bb.373:
	s_and_b32 exec_lo, exec_lo, vcc_lo
	s_cbranch_execz .LBB165_407
; %bb.374:
	v_and_b32_e32 v0, 0x7f800000, v8
	s_delay_alu instid0(VALU_DEP_1) | instskip(SKIP_1) | instid1(SALU_CYCLE_1)
	v_cmp_ne_u32_e32 vcc_lo, 0x7f800000, v0
                                        ; implicit-def: $vgpr0
	s_and_saveexec_b32 s0, vcc_lo
	s_xor_b32 s0, exec_lo, s0
; %bb.375:
	v_bfe_u32 v0, v8, 16, 1
	s_delay_alu instid0(VALU_DEP_1)
	v_add3_u32 v0, v8, v0, 0x7fff
; %bb.376:
	s_and_not1_saveexec_b32 s0, s0
; %bb.377:
	v_and_b32_e32 v0, 0xffff, v8
	v_or_b32_e32 v9, 0x10000, v8
	s_delay_alu instid0(VALU_DEP_2) | instskip(NEXT) | instid1(VALU_DEP_2)
	v_cmp_eq_u32_e32 vcc_lo, 0, v0
	v_cndmask_b32_e32 v0, v9, v8, vcc_lo
; %bb.378:
	s_or_b32 exec_lo, exec_lo, s0
	s_mul_i32 s0, s8, s14
	s_mul_i32 s2, s8, s20
	;; [unrolled: 1-line block ×3, first 2 shown]
	v_lshlrev_b32_e32 v10, 1, v12
	s_lshl_b32 s0, s0, 7
	v_and_b32_e32 v11, 0x7f800000, v6
	s_ashr_i32 s1, s0, 31
	s_delay_alu instid0(SALU_CYCLE_1) | instskip(NEXT) | instid1(SALU_CYCLE_1)
	s_lshl_b64 s[0:1], s[0:1], 1
	s_add_u32 s4, s22, s0
	s_addc_u32 s5, s23, s1
	s_ashr_i32 s3, s2, 31
	s_delay_alu instid0(SALU_CYCLE_1) | instskip(NEXT) | instid1(SALU_CYCLE_1)
	s_lshl_b64 s[0:1], s[2:3], 1
	s_add_u32 s2, s4, s0
	s_addc_u32 s3, s5, s1
	s_lshl_b32 s0, s12, 7
	s_delay_alu instid0(SALU_CYCLE_1) | instskip(NEXT) | instid1(SALU_CYCLE_1)
	s_ashr_i32 s1, s0, 31
	s_lshl_b64 s[0:1], s[0:1], 1
	s_delay_alu instid0(SALU_CYCLE_1) | instskip(SKIP_2) | instid1(VALU_DEP_1)
	s_add_u32 s0, s2, s0
	s_addc_u32 s1, s3, s1
	v_add_co_u32 v8, s2, s0, v10
	v_add_co_ci_u32_e64 v9, null, s1, 0, s2
	global_store_d16_hi_b16 v10, v0, s[0:1]
	s_mov_b32 s0, exec_lo
                                        ; implicit-def: $vgpr0
	v_cmpx_ne_u32_e32 0x7f800000, v11
	s_xor_b32 s0, exec_lo, s0
; %bb.379:
	v_bfe_u32 v0, v6, 16, 1
	s_delay_alu instid0(VALU_DEP_1)
	v_add3_u32 v0, v6, v0, 0x7fff
; %bb.380:
	s_and_not1_saveexec_b32 s0, s0
; %bb.381:
	v_and_b32_e32 v0, 0xffff, v6
	v_or_b32_e32 v10, 0x10000, v6
	s_delay_alu instid0(VALU_DEP_2) | instskip(NEXT) | instid1(VALU_DEP_2)
	v_cmp_eq_u32_e32 vcc_lo, 0, v0
	v_cndmask_b32_e32 v0, v10, v6, vcc_lo
; %bb.382:
	s_or_b32 exec_lo, exec_lo, s0
	v_and_b32_e32 v6, 0x7f800000, v5
	s_mov_b32 s0, exec_lo
	global_store_d16_hi_b16 v[8:9], v0, off offset:32
                                        ; implicit-def: $vgpr0
	v_cmpx_ne_u32_e32 0x7f800000, v6
	s_xor_b32 s0, exec_lo, s0
; %bb.383:
	v_bfe_u32 v0, v5, 16, 1
	s_delay_alu instid0(VALU_DEP_1)
	v_add3_u32 v0, v5, v0, 0x7fff
; %bb.384:
	s_and_not1_saveexec_b32 s0, s0
; %bb.385:
	v_and_b32_e32 v0, 0xffff, v5
	v_or_b32_e32 v6, 0x10000, v5
	s_delay_alu instid0(VALU_DEP_2) | instskip(NEXT) | instid1(VALU_DEP_2)
	v_cmp_eq_u32_e32 vcc_lo, 0, v0
	v_cndmask_b32_e32 v0, v6, v5, vcc_lo
; %bb.386:
	s_or_b32 exec_lo, exec_lo, s0
	v_and_b32_e32 v5, 0x7f800000, v4
	s_mov_b32 s0, exec_lo
	global_store_d16_hi_b16 v[8:9], v0, off offset:64
	;; [unrolled: 20-line block ×6, first 2 shown]
                                        ; implicit-def: $vgpr10
	v_cmpx_ne_u32_e32 0x7f800000, v1
	s_xor_b32 s0, exec_lo, s0
; %bb.403:
	v_bfe_u32 v0, v7, 16, 1
	s_delay_alu instid0(VALU_DEP_1)
	v_add3_u32 v10, v7, v0, 0x7fff
                                        ; implicit-def: $vgpr0_vgpr1_vgpr2_vgpr3_vgpr4_vgpr5_vgpr6_vgpr7
; %bb.404:
	s_and_not1_saveexec_b32 s0, s0
; %bb.405:
	v_and_b32_e32 v0, 0xffff, v7
	v_or_b32_e32 v1, 0x10000, v7
	s_delay_alu instid0(VALU_DEP_2) | instskip(NEXT) | instid1(VALU_DEP_2)
	v_cmp_eq_u32_e32 vcc_lo, 0, v0
	v_cndmask_b32_e32 v10, v1, v7, vcc_lo
; %bb.406:
	s_or_b32 exec_lo, exec_lo, s0
	global_store_d16_hi_b16 v[8:9], v10, off offset:224
.LBB165_407:
	s_nop 0
	s_sendmsg sendmsg(MSG_DEALLOC_VGPRS)
	s_endpgm
.LBB165_408:
	v_lshl_add_u32 v11, v9, 2, v10
	ds_load_b32 v11, v11
	s_waitcnt lgkmcnt(0)
	v_add_f32_e32 v8, v8, v11
	s_or_b32 exec_lo, exec_lo, s0
	s_and_saveexec_b32 s0, vcc_lo
	s_cbranch_execz .LBB165_351
.LBB165_409:
	v_lshl_add_u32 v11, v9, 2, v10
	ds_load_b32 v11, v11 offset:64
	s_waitcnt lgkmcnt(0)
	v_add_f32_e32 v6, v6, v11
	s_or_b32 exec_lo, exec_lo, s0
	s_and_saveexec_b32 s0, vcc_lo
	s_cbranch_execz .LBB165_352
.LBB165_410:
	v_lshl_add_u32 v11, v9, 2, v10
	ds_load_b32 v11, v11 offset:128
	s_waitcnt lgkmcnt(0)
	v_add_f32_e32 v5, v5, v11
	s_or_b32 exec_lo, exec_lo, s0
	s_and_saveexec_b32 s0, vcc_lo
	s_cbranch_execz .LBB165_353
.LBB165_411:
	v_lshl_add_u32 v11, v9, 2, v10
	ds_load_b32 v11, v11 offset:192
	s_waitcnt lgkmcnt(0)
	v_add_f32_e32 v4, v4, v11
	s_or_b32 exec_lo, exec_lo, s0
	s_and_saveexec_b32 s0, vcc_lo
	s_cbranch_execz .LBB165_354
.LBB165_412:
	v_lshl_add_u32 v11, v9, 2, v10
	ds_load_b32 v11, v11 offset:256
	s_waitcnt lgkmcnt(0)
	v_add_f32_e32 v3, v3, v11
	s_or_b32 exec_lo, exec_lo, s0
	s_and_saveexec_b32 s0, vcc_lo
	s_cbranch_execz .LBB165_355
.LBB165_413:
	v_lshl_add_u32 v11, v9, 2, v10
	ds_load_b32 v11, v11 offset:320
	s_waitcnt lgkmcnt(0)
	v_add_f32_e32 v2, v2, v11
	s_or_b32 exec_lo, exec_lo, s0
	s_and_saveexec_b32 s0, vcc_lo
	s_cbranch_execz .LBB165_356
.LBB165_414:
	v_lshl_add_u32 v11, v9, 2, v10
	ds_load_b32 v11, v11 offset:384
	s_waitcnt lgkmcnt(0)
	v_add_f32_e32 v1, v1, v11
	s_or_b32 exec_lo, exec_lo, s0
	s_and_saveexec_b32 s0, vcc_lo
	s_cbranch_execnz .LBB165_357
	s_branch .LBB165_358
.LBB165_415:
	ds_load_b32 v9, v0
	s_waitcnt lgkmcnt(0)
	v_add_f32_e32 v8, v8, v9
	s_or_b32 exec_lo, exec_lo, s1
	s_and_saveexec_b32 s1, vcc_lo
	s_cbranch_execz .LBB165_364
.LBB165_416:
	ds_load_b32 v9, v0 offset:64
	s_waitcnt lgkmcnt(0)
	v_add_f32_e32 v6, v6, v9
	s_or_b32 exec_lo, exec_lo, s1
	s_and_saveexec_b32 s1, vcc_lo
	s_cbranch_execz .LBB165_365
.LBB165_417:
	ds_load_b32 v9, v0 offset:128
	s_waitcnt lgkmcnt(0)
	v_add_f32_e32 v5, v5, v9
	s_or_b32 exec_lo, exec_lo, s1
	s_and_saveexec_b32 s1, vcc_lo
	s_cbranch_execz .LBB165_366
.LBB165_418:
	ds_load_b32 v9, v0 offset:192
	s_waitcnt lgkmcnt(0)
	v_add_f32_e32 v4, v4, v9
	s_or_b32 exec_lo, exec_lo, s1
	s_and_saveexec_b32 s1, vcc_lo
	s_cbranch_execz .LBB165_367
.LBB165_419:
	ds_load_b32 v9, v0 offset:256
	s_waitcnt lgkmcnt(0)
	v_add_f32_e32 v3, v3, v9
	s_or_b32 exec_lo, exec_lo, s1
	s_and_saveexec_b32 s1, vcc_lo
	s_cbranch_execz .LBB165_368
.LBB165_420:
	ds_load_b32 v9, v0 offset:320
	s_waitcnt lgkmcnt(0)
	v_add_f32_e32 v2, v2, v9
	s_or_b32 exec_lo, exec_lo, s1
	s_and_saveexec_b32 s1, vcc_lo
	s_cbranch_execz .LBB165_369
.LBB165_421:
	ds_load_b32 v9, v0 offset:384
	s_waitcnt lgkmcnt(0)
	v_add_f32_e32 v1, v1, v9
	s_or_b32 exec_lo, exec_lo, s1
	s_and_saveexec_b32 s1, vcc_lo
	s_cbranch_execnz .LBB165_370
	s_branch .LBB165_371
	.section	.rodata,"a",@progbits
	.p2align	6, 0x0
	.amdhsa_kernel _ZN4vllm25paged_attention_v2_kernelI14__hip_bfloat16S1_Li128ELi16ELi128ELNS_18Fp8KVCacheDataTypeE0ELb1ELi512EEEvPfS3_PT_PKS4_PKT0_SA_ifPKiSC_iPKfiiiSE_SE_iiiii
		.amdhsa_group_segment_fixed_size 288
		.amdhsa_private_segment_fixed_size 0
		.amdhsa_kernarg_size 400
		.amdhsa_user_sgpr_count 13
		.amdhsa_user_sgpr_dispatch_ptr 0
		.amdhsa_user_sgpr_queue_ptr 0
		.amdhsa_user_sgpr_kernarg_segment_ptr 1
		.amdhsa_user_sgpr_dispatch_id 0
		.amdhsa_user_sgpr_private_segment_size 0
		.amdhsa_wavefront_size32 1
		.amdhsa_uses_dynamic_stack 0
		.amdhsa_enable_private_segment 0
		.amdhsa_system_sgpr_workgroup_id_x 1
		.amdhsa_system_sgpr_workgroup_id_y 1
		.amdhsa_system_sgpr_workgroup_id_z 1
		.amdhsa_system_sgpr_workgroup_info 0
		.amdhsa_system_vgpr_workitem_id 0
		.amdhsa_next_free_vgpr 130
		.amdhsa_next_free_sgpr 46
		.amdhsa_reserve_vcc 1
		.amdhsa_float_round_mode_32 0
		.amdhsa_float_round_mode_16_64 0
		.amdhsa_float_denorm_mode_32 3
		.amdhsa_float_denorm_mode_16_64 3
		.amdhsa_dx10_clamp 1
		.amdhsa_ieee_mode 1
		.amdhsa_fp16_overflow 0
		.amdhsa_workgroup_processor_mode 1
		.amdhsa_memory_ordered 1
		.amdhsa_forward_progress 0
		.amdhsa_shared_vgpr_count 0
		.amdhsa_exception_fp_ieee_invalid_op 0
		.amdhsa_exception_fp_denorm_src 0
		.amdhsa_exception_fp_ieee_div_zero 0
		.amdhsa_exception_fp_ieee_overflow 0
		.amdhsa_exception_fp_ieee_underflow 0
		.amdhsa_exception_fp_ieee_inexact 0
		.amdhsa_exception_int_div_zero 0
	.end_amdhsa_kernel
	.section	.text._ZN4vllm25paged_attention_v2_kernelI14__hip_bfloat16S1_Li128ELi16ELi128ELNS_18Fp8KVCacheDataTypeE0ELb1ELi512EEEvPfS3_PT_PKS4_PKT0_SA_ifPKiSC_iPKfiiiSE_SE_iiiii,"axG",@progbits,_ZN4vllm25paged_attention_v2_kernelI14__hip_bfloat16S1_Li128ELi16ELi128ELNS_18Fp8KVCacheDataTypeE0ELb1ELi512EEEvPfS3_PT_PKS4_PKT0_SA_ifPKiSC_iPKfiiiSE_SE_iiiii,comdat
.Lfunc_end165:
	.size	_ZN4vllm25paged_attention_v2_kernelI14__hip_bfloat16S1_Li128ELi16ELi128ELNS_18Fp8KVCacheDataTypeE0ELb1ELi512EEEvPfS3_PT_PKS4_PKT0_SA_ifPKiSC_iPKfiiiSE_SE_iiiii, .Lfunc_end165-_ZN4vllm25paged_attention_v2_kernelI14__hip_bfloat16S1_Li128ELi16ELi128ELNS_18Fp8KVCacheDataTypeE0ELb1ELi512EEEvPfS3_PT_PKS4_PKT0_SA_ifPKiSC_iPKfiiiSE_SE_iiiii
                                        ; -- End function
	.section	.AMDGPU.csdata,"",@progbits
; Kernel info:
; codeLenInByte = 17124
; NumSgprs: 48
; NumVgprs: 130
; ScratchSize: 0
; MemoryBound: 0
; FloatMode: 240
; IeeeMode: 1
; LDSByteSize: 288 bytes/workgroup (compile time only)
; SGPRBlocks: 5
; VGPRBlocks: 16
; NumSGPRsForWavesPerEU: 48
; NumVGPRsForWavesPerEU: 130
; Occupancy: 10
; WaveLimiterHint : 1
; COMPUTE_PGM_RSRC2:SCRATCH_EN: 0
; COMPUTE_PGM_RSRC2:USER_SGPR: 13
; COMPUTE_PGM_RSRC2:TRAP_HANDLER: 0
; COMPUTE_PGM_RSRC2:TGID_X_EN: 1
; COMPUTE_PGM_RSRC2:TGID_Y_EN: 1
; COMPUTE_PGM_RSRC2:TGID_Z_EN: 1
; COMPUTE_PGM_RSRC2:TIDIG_COMP_CNT: 0
	.section	.text._ZN4vllm25paged_attention_v2_kernelI14__hip_bfloat16S1_Li192ELi16ELi128ELNS_18Fp8KVCacheDataTypeE0ELb1ELi512EEEvPfS3_PT_PKS4_PKT0_SA_ifPKiSC_iPKfiiiSE_SE_iiiii,"axG",@progbits,_ZN4vllm25paged_attention_v2_kernelI14__hip_bfloat16S1_Li192ELi16ELi128ELNS_18Fp8KVCacheDataTypeE0ELb1ELi512EEEvPfS3_PT_PKS4_PKT0_SA_ifPKiSC_iPKfiiiSE_SE_iiiii,comdat
	.protected	_ZN4vllm25paged_attention_v2_kernelI14__hip_bfloat16S1_Li192ELi16ELi128ELNS_18Fp8KVCacheDataTypeE0ELb1ELi512EEEvPfS3_PT_PKS4_PKT0_SA_ifPKiSC_iPKfiiiSE_SE_iiiii ; -- Begin function _ZN4vllm25paged_attention_v2_kernelI14__hip_bfloat16S1_Li192ELi16ELi128ELNS_18Fp8KVCacheDataTypeE0ELb1ELi512EEEvPfS3_PT_PKS4_PKT0_SA_ifPKiSC_iPKfiiiSE_SE_iiiii
	.globl	_ZN4vllm25paged_attention_v2_kernelI14__hip_bfloat16S1_Li192ELi16ELi128ELNS_18Fp8KVCacheDataTypeE0ELb1ELi512EEEvPfS3_PT_PKS4_PKT0_SA_ifPKiSC_iPKfiiiSE_SE_iiiii
	.p2align	8
	.type	_ZN4vllm25paged_attention_v2_kernelI14__hip_bfloat16S1_Li192ELi16ELi128ELNS_18Fp8KVCacheDataTypeE0ELb1ELi512EEEvPfS3_PT_PKS4_PKT0_SA_ifPKiSC_iPKfiiiSE_SE_iiiii,@function
_ZN4vllm25paged_attention_v2_kernelI14__hip_bfloat16S1_Li192ELi16ELi128ELNS_18Fp8KVCacheDataTypeE0ELb1ELi512EEEvPfS3_PT_PKS4_PKT0_SA_ifPKiSC_iPKfiiiSE_SE_iiiii: ; @_ZN4vllm25paged_attention_v2_kernelI14__hip_bfloat16S1_Li192ELi16ELi128ELNS_18Fp8KVCacheDataTypeE0ELb1ELi512EEEvPfS3_PT_PKS4_PKT0_SA_ifPKiSC_iPKfiiiSE_SE_iiiii
; %bb.0:
	s_load_b64 s[2:3], s[0:1], 0x40
	s_mov_b32 s12, s15
	s_ashr_i32 s15, s14, 31
	s_mov_b32 s24, s13
	s_lshl_b64 s[4:5], s[14:15], 2
	s_waitcnt lgkmcnt(0)
	s_add_u32 s2, s2, s4
	s_addc_u32 s3, s3, s5
	s_lshl_b32 s13, s12, 9
	s_load_b32 s33, s[2:3], 0x0
	s_waitcnt lgkmcnt(0)
	s_cmp_ge_i32 s13, s33
	s_cbranch_scc1 .LBB166_567
; %bb.1:
	s_clause 0x1
	s_load_b32 s15, s[0:1], 0x90
	s_load_b64 s[34:35], s[0:1], 0x30
	s_mov_b32 s38, 0
	s_waitcnt lgkmcnt(0)
	s_abs_i32 s5, s15
	s_abs_i32 s2, s34
	s_delay_alu instid0(SALU_CYCLE_1) | instskip(SKIP_1) | instid1(VALU_DEP_1)
	v_cvt_f32_u32_e32 v1, s2
	s_sub_i32 s4, 0, s2
	v_rcp_iflag_f32_e32 v1, v1
	s_waitcnt_depctr 0xfff
	v_mul_f32_e32 v1, 0x4f7ffffe, v1
	s_delay_alu instid0(VALU_DEP_1) | instskip(NEXT) | instid1(VALU_DEP_1)
	v_cvt_u32_f32_e32 v1, v1
	v_readfirstlane_b32 s3, v1
	s_delay_alu instid0(VALU_DEP_1) | instskip(NEXT) | instid1(SALU_CYCLE_1)
	s_mul_i32 s4, s4, s3
	s_mul_hi_u32 s4, s3, s4
	s_delay_alu instid0(SALU_CYCLE_1) | instskip(SKIP_4) | instid1(SALU_CYCLE_1)
	s_add_i32 s3, s3, s4
	s_xor_b32 s4, s15, s34
	s_mul_hi_u32 s3, s5, s3
	s_ashr_i32 s4, s4, 31
	s_mul_i32 s6, s3, s2
	s_sub_i32 s5, s5, s6
	s_add_i32 s6, s3, 1
	s_sub_i32 s7, s5, s2
	s_cmp_ge_u32 s5, s2
	s_cselect_b32 s3, s6, s3
	s_cselect_b32 s5, s7, s5
	s_add_i32 s6, s3, 1
	s_cmp_ge_u32 s5, s2
	s_cselect_b32 s2, s6, s3
	s_abs_i32 s17, s24
	s_xor_b32 s2, s2, s4
	s_delay_alu instid0(SALU_CYCLE_1) | instskip(SKIP_2) | instid1(SALU_CYCLE_1)
	s_sub_i32 s8, s2, s4
	s_load_b64 s[2:3], s[0:1], 0x50
	s_abs_i32 s16, s8
	v_cvt_f32_u32_e32 v1, s16
	s_sub_i32 s5, 0, s16
	s_delay_alu instid0(VALU_DEP_1) | instskip(SKIP_2) | instid1(VALU_DEP_1)
	v_rcp_iflag_f32_e32 v1, v1
	s_waitcnt_depctr 0xfff
	v_mul_f32_e32 v1, 0x4f7ffffe, v1
	v_cvt_u32_f32_e32 v1, v1
	s_delay_alu instid0(VALU_DEP_1) | instskip(NEXT) | instid1(VALU_DEP_1)
	v_readfirstlane_b32 s4, v1
	s_mul_i32 s5, s5, s4
	s_delay_alu instid0(SALU_CYCLE_1) | instskip(NEXT) | instid1(SALU_CYCLE_1)
	s_mul_hi_u32 s5, s4, s5
	s_add_i32 s4, s4, s5
	s_waitcnt lgkmcnt(0)
	s_cmp_eq_u64 s[2:3], 0
	s_mul_hi_u32 s18, s17, s4
	s_cbranch_scc1 .LBB166_3
; %bb.2:
	s_ashr_i32 s25, s24, 31
	s_delay_alu instid0(SALU_CYCLE_1) | instskip(NEXT) | instid1(SALU_CYCLE_1)
	s_lshl_b64 s[4:5], s[24:25], 2
	s_add_u32 s2, s2, s4
	s_addc_u32 s3, s3, s5
	s_load_b32 s38, s[2:3], 0x0
.LBB166_3:
	s_load_b128 s[4:7], s[0:1], 0x58
	v_lshrrev_b32_e32 v12, 1, v0
	v_and_b32_e32 v13, 1, v0
	v_lshlrev_b32_e32 v11, 3, v0
	s_ashr_i32 s2, s24, 31
	s_ashr_i32 s3, s8, 31
	s_mul_i32 s20, s24, 0xc0
	s_waitcnt lgkmcnt(0)
	s_mov_b32 s7, exec_lo
	v_cmpx_gt_u32_e32 48, v0
	s_cbranch_execz .LBB166_5
; %bb.4:
	s_load_b64 s[8:9], s[0:1], 0x18
	s_mul_i32 s10, s14, s4
	v_lshlrev_b32_e32 v3, 3, v12
	s_ashr_i32 s11, s10, 31
	s_delay_alu instid0(SALU_CYCLE_1) | instskip(NEXT) | instid1(VALU_DEP_1)
	s_lshl_b64 s[10:11], s[10:11], 1
	v_mad_u32_u24 v3, 0xc0, v13, v3
	s_waitcnt lgkmcnt(0)
	s_add_u32 s4, s8, s10
	s_addc_u32 s10, s9, s11
	s_ashr_i32 s21, s20, 31
	s_delay_alu instid0(SALU_CYCLE_1) | instskip(NEXT) | instid1(SALU_CYCLE_1)
	s_lshl_b64 s[8:9], s[20:21], 1
	s_add_u32 s8, s4, s8
	s_addc_u32 s9, s10, s9
	global_load_b64 v[1:2], v11, s[8:9]
	s_waitcnt vmcnt(0)
	ds_store_b64 v3, v[1:2]
.LBB166_5:
	s_or_b32 exec_lo, exec_lo, s7
	s_load_b128 s[8:11], s[0:1], 0x78
	s_mul_i32 s4, s18, s16
	s_xor_b32 s2, s2, s3
	s_sub_i32 s3, s17, s4
	s_add_i32 s4, s18, 1
	s_sub_i32 s7, s3, s16
	s_cmp_ge_u32 s3, s16
	s_mov_b32 s17, -1
	s_cselect_b32 s4, s4, s18
	s_cselect_b32 s3, s7, s3
	s_add_i32 s7, s4, 1
	s_cmp_ge_u32 s3, s16
	s_waitcnt lgkmcnt(0)
	s_cselect_b32 s3, s7, s4
	s_load_b32 s4, s[0:1], 0x88
	s_xor_b32 s3, s3, s2
	s_add_i32 s16, s33, -1
	s_sub_i32 s3, s3, s2
	s_abs_i32 s7, s16
	s_waitcnt lgkmcnt(0)
	s_barrier
	s_abs_i32 s21, s11
	buffer_gl0_inv
	v_cvt_f32_u32_e32 v1, s21
	s_sub_i32 s2, 0, s21
                                        ; implicit-def: $sgpr36
	s_delay_alu instid0(VALU_DEP_1) | instskip(SKIP_2) | instid1(VALU_DEP_1)
	v_rcp_iflag_f32_e32 v1, v1
	s_waitcnt_depctr 0xfff
	v_mul_f32_e32 v1, 0x4f7ffffe, v1
	v_cvt_u32_f32_e32 v1, v1
	s_delay_alu instid0(VALU_DEP_1) | instskip(NEXT) | instid1(VALU_DEP_1)
	v_readfirstlane_b32 s25, v1
	s_mul_i32 s2, s2, s25
	s_delay_alu instid0(SALU_CYCLE_1) | instskip(NEXT) | instid1(SALU_CYCLE_1)
	s_mul_hi_u32 s2, s25, s2
	s_add_i32 s25, s25, s2
	s_cmp_lt_i32 s4, 0
	s_mul_hi_u32 s2, s7, s25
	s_cbranch_scc0 .LBB166_7
; %bb.6:
	s_mul_i32 s17, s8, s34
	s_delay_alu instid0(SALU_CYCLE_1) | instskip(NEXT) | instid1(SALU_CYCLE_1)
	s_add_i32 s17, s3, s17
	s_mul_i32 s17, s17, s4
	s_delay_alu instid0(SALU_CYCLE_1)
	s_sub_i32 s36, 1, s17
	s_mov_b32 s17, 0
.LBB166_7:
	s_load_b64 s[26:27], s[0:1], 0x38
	s_ashr_i32 s28, s16, 31
	s_and_not1_b32 vcc_lo, exec_lo, s17
	s_ashr_i32 s11, s11, 31
	s_cbranch_vccnz .LBB166_9
; %bb.8:
	s_mul_i32 s8, s15, s8
	s_delay_alu instid0(SALU_CYCLE_1) | instskip(NEXT) | instid1(SALU_CYCLE_1)
	s_add_i32 s8, s8, s24
	s_mul_i32 s4, s8, s4
	s_delay_alu instid0(SALU_CYCLE_1)
	s_add_i32 s36, s4, 1
.LBB166_9:
	s_clause 0x4
	s_load_b32 s8, s[0:1], 0x48
	s_load_b64 s[30:31], s[0:1], 0x28
	s_load_b32 s4, s[0:1], 0x98
	s_load_b128 s[16:19], s[0:1], 0x0
	s_load_b64 s[22:23], s[0:1], 0x10
	s_xor_b32 s37, s28, s11
	s_mul_i32 s28, s2, s21
	s_add_i32 s34, s2, 1
	s_sub_i32 s7, s7, s28
	v_lshrrev_b32_e32 v14, 5, v0
	v_mov_b32_e32 v16, 0xff7fffff
	v_mbcnt_lo_u32_b32 v17, -1, 0
	s_mul_i32 s6, s3, s6
	s_delay_alu instid0(VALU_DEP_3)
	v_lshl_add_u32 v15, v14, 4, s13
	s_waitcnt lgkmcnt(0)
	s_mul_i32 s28, s14, s8
	s_sub_i32 s8, s7, s21
	s_ashr_i32 s29, s28, 31
	s_cmp_ge_u32 s7, s21
	s_cselect_b32 s2, s34, s2
	s_cselect_b32 s7, s8, s7
	s_add_i32 s8, s2, 1
	s_cmp_ge_u32 s7, s21
	s_cselect_b32 s2, s8, s2
	s_add_i32 s7, s33, 15
	s_lshl_b32 s39, s12, 5
	s_ashr_i32 s8, s7, 31
	v_or_b32_e32 v9, s39, v14
	s_lshr_b32 s8, s8, 28
	s_delay_alu instid0(SALU_CYCLE_1)
	s_add_i32 s7, s7, s8
	s_add_i32 s8, s39, 32
	s_ashr_i32 s34, s7, 4
	s_xor_b32 s7, s2, s37
	s_min_i32 s8, s8, s34
	v_ashrrev_i32_e32 v10, 31, v9
	v_cmp_gt_i32_e64 s2, s8, v9
	s_sub_i32 s37, s7, s37
	s_delay_alu instid0(VALU_DEP_1)
	s_and_saveexec_b32 s40, s2
	s_cbranch_execz .LBB166_19
; %bb.10:
	s_load_b64 s[0:1], s[0:1], 0x20
	s_ashr_i32 s7, s6, 31
	v_bfe_u32 v18, v0, 1, 4
	s_lshl_b64 s[42:43], s[6:7], 1
	s_sub_i32 s7, s37, s9
	v_mov_b32_e32 v16, 0xff7fffff
	v_dual_mov_b32 v21, 0xff7fffff :: v_dual_and_b32 v4, 8, v11
	v_lshlrev_b32_e32 v5, 2, v18
	v_lshlrev_b32_e32 v7, 4, v18
	v_subrev_nc_u32_e32 v6, s33, v18
	v_cmp_eq_u32_e32 vcc_lo, 0, v13
	v_mul_u32_u24_e32 v19, 0xc0, v13
	v_lshl_or_b32 v5, v14, 6, v5
	v_lshl_add_u32 v20, v14, 4, s13
	v_add_nc_u32_e32 v23, 1, v6
	v_xor_b32_e32 v22, 1, v17
	v_mov_b32_e32 v28, v9
	v_add_nc_u32_e32 v24, 0x1a0, v5
	s_waitcnt lgkmcnt(0)
	s_add_u32 s3, s0, s42
	s_addc_u32 s1, s1, s43
	s_abs_i32 s41, s10
	v_add_co_u32 v7, s3, s3, v7
	v_cvt_f32_u32_e32 v1, s41
	s_sub_i32 s42, 0, s41
	v_add_co_ci_u32_e64 v8, null, s1, 0, s3
	v_cmp_neq_f32_e64 s0, s38, 0
	s_delay_alu instid0(VALU_DEP_3) | instskip(SKIP_3) | instid1(VALU_DEP_1)
	v_rcp_iflag_f32_e32 v3, v1
	v_lshlrev_b64 v[1:2], 2, v[9:10]
	s_waitcnt_depctr 0xfff
	v_mul_f32_e32 v3, 0x4f7ffffe, v3
	v_cvt_u32_f32_e32 v3, v3
	s_delay_alu instid0(VALU_DEP_1) | instskip(SKIP_1) | instid1(SALU_CYCLE_1)
	v_mul_lo_u32 v5, s42, v3
	s_lshl_b64 s[42:43], s[28:29], 2
	s_add_u32 s1, s26, s42
	s_addc_u32 s3, s27, s43
	s_mov_b32 s42, 0
	s_mov_b32 s43, s5
	s_delay_alu instid0(VALU_DEP_1) | instskip(SKIP_1) | instid1(VALU_DEP_1)
	v_mul_hi_u32 v27, v3, v5
	v_add_co_u32 v5, s1, s1, v1
	v_add_co_ci_u32_e64 v6, s1, s3, v2, s1
	v_add_co_u32 v25, s1, v7, v4
	s_delay_alu instid0(VALU_DEP_1)
	v_add_co_ci_u32_e64 v26, s1, 0, v8, s1
	v_add_nc_u32_e32 v27, v3, v27
	s_branch .LBB166_13
.LBB166_11:                             ;   in Loop: Header=BB166_13 Depth=1
	s_or_b32 exec_lo, exec_lo, s44
.LBB166_12:                             ;   in Loop: Header=BB166_13 Depth=1
	s_delay_alu instid0(SALU_CYCLE_1) | instskip(SKIP_2) | instid1(VALU_DEP_1)
	s_or_b32 exec_lo, exec_lo, s3
	v_add_nc_u32_e32 v28, 4, v28
	v_add_co_u32 v5, s3, v5, 16
	v_add_co_ci_u32_e64 v6, s3, 0, v6, s3
	s_delay_alu instid0(VALU_DEP_3) | instskip(SKIP_2) | instid1(VALU_DEP_3)
	v_cmp_le_i32_e64 s1, s8, v28
	v_add_nc_u32_e32 v20, 64, v20
	v_add_nc_u32_e32 v24, 0x100, v24
	s_or_b32 s42, s1, s42
	s_delay_alu instid0(SALU_CYCLE_1)
	s_and_not1_b32 exec_lo, exec_lo, s42
	s_cbranch_execz .LBB166_18
.LBB166_13:                             ; =>This Inner Loop Header: Depth=1
	v_sub_nc_u32_e32 v1, 0, v20
	s_delay_alu instid0(VALU_DEP_1) | instskip(SKIP_1) | instid1(VALU_DEP_1)
	v_max_i32_e32 v1, v20, v1
	s_waitcnt lgkmcnt(0)
	v_mul_hi_u32 v2, v1, s25
	s_delay_alu instid0(VALU_DEP_1) | instskip(NEXT) | instid1(VALU_DEP_1)
	v_mul_lo_u32 v3, v2, s21
	v_sub_nc_u32_e32 v1, v1, v3
	v_add_nc_u32_e32 v3, 1, v2
	s_delay_alu instid0(VALU_DEP_2) | instskip(SKIP_1) | instid1(VALU_DEP_1)
	v_subrev_nc_u32_e32 v4, s21, v1
	v_cmp_le_u32_e64 s1, s21, v1
	v_cndmask_b32_e64 v2, v2, v3, s1
	s_delay_alu instid0(VALU_DEP_3) | instskip(SKIP_1) | instid1(VALU_DEP_3)
	v_cndmask_b32_e64 v1, v1, v4, s1
	v_ashrrev_i32_e32 v3, 31, v20
	v_add_nc_u32_e32 v4, 1, v2
	s_delay_alu instid0(VALU_DEP_3) | instskip(NEXT) | instid1(VALU_DEP_3)
	v_cmp_le_u32_e64 s1, s21, v1
	v_xor_b32_e32 v3, s11, v3
	s_delay_alu instid0(VALU_DEP_2) | instskip(NEXT) | instid1(VALU_DEP_1)
	v_cndmask_b32_e64 v1, v2, v4, s1
	v_xor_b32_e32 v1, v1, v3
	s_delay_alu instid0(VALU_DEP_1) | instskip(NEXT) | instid1(VALU_DEP_1)
	v_sub_nc_u32_e32 v1, v1, v3
	v_add_nc_u32_e32 v2, s36, v1
	v_cmp_ge_i32_e64 s3, s7, v1
	s_delay_alu instid0(VALU_DEP_2) | instskip(NEXT) | instid1(VALU_DEP_1)
	v_sub_nc_u32_e32 v3, 0, v2
	v_max_i32_e32 v3, v2, v3
	v_ashrrev_i32_e32 v2, 31, v2
	s_delay_alu instid0(VALU_DEP_2) | instskip(NEXT) | instid1(VALU_DEP_1)
	v_mul_hi_u32 v4, v3, v27
	v_mul_lo_u32 v4, v4, s41
	s_delay_alu instid0(VALU_DEP_1) | instskip(NEXT) | instid1(VALU_DEP_1)
	v_sub_nc_u32_e32 v3, v3, v4
	v_subrev_nc_u32_e32 v4, s41, v3
	v_cmp_le_u32_e64 s1, s41, v3
	s_delay_alu instid0(VALU_DEP_1) | instskip(NEXT) | instid1(VALU_DEP_1)
	v_cndmask_b32_e64 v3, v3, v4, s1
	v_subrev_nc_u32_e32 v4, s41, v3
	v_cmp_le_u32_e64 s1, s41, v3
	s_delay_alu instid0(VALU_DEP_1) | instskip(NEXT) | instid1(VALU_DEP_1)
	v_cndmask_b32_e64 v3, v3, v4, s1
	v_xor_b32_e32 v3, v3, v2
	s_delay_alu instid0(VALU_DEP_1) | instskip(NEXT) | instid1(VALU_DEP_1)
	v_sub_nc_u32_e32 v2, v3, v2
	v_cmp_ne_u32_e64 s1, 0, v2
	s_delay_alu instid0(VALU_DEP_1) | instskip(NEXT) | instid1(SALU_CYCLE_1)
	s_and_b32 s1, s1, s3
	s_and_b32 s44, vcc_lo, s1
	s_delay_alu instid0(SALU_CYCLE_1)
	s_and_saveexec_b32 s3, s44
	s_cbranch_execz .LBB166_15
; %bb.14:                               ;   in Loop: Header=BB166_13 Depth=1
	ds_store_b32 v24, v21
.LBB166_15:                             ;   in Loop: Header=BB166_13 Depth=1
	s_or_b32 exec_lo, exec_lo, s3
	s_xor_b32 s1, s1, -1
	s_delay_alu instid0(SALU_CYCLE_1)
	s_and_saveexec_b32 s3, s1
	s_cbranch_execz .LBB166_12
; %bb.16:                               ;   in Loop: Header=BB166_13 Depth=1
	global_load_b32 v3, v[5:6], off
	s_waitcnt vmcnt(0)
	v_mad_i64_i32 v[1:2], null, v3, s43, 0
	s_delay_alu instid0(VALU_DEP_1) | instskip(NEXT) | instid1(VALU_DEP_1)
	v_lshlrev_b64 v[1:2], 1, v[1:2]
	v_add_co_u32 v73, s1, v25, v1
	s_delay_alu instid0(VALU_DEP_1)
	v_add_co_ci_u32_e64 v74, s1, v26, v2, s1
	s_clause 0x3
	global_load_b64 v[7:8], v[73:74], off offset:512
	global_load_b64 v[75:76], v[73:74], off offset:768
	;; [unrolled: 1-line block ×3, first 2 shown]
	global_load_b64 v[79:80], v[73:74], off
	ds_load_b128 v[29:32], v19
	ds_load_b128 v[33:36], v19 offset:16
	ds_load_b128 v[37:40], v19 offset:32
	ds_load_b128 v[41:44], v19 offset:48
	ds_load_b128 v[45:48], v19 offset:64
	ds_load_b128 v[49:52], v19 offset:80
	ds_load_b128 v[53:56], v19 offset:96
	ds_load_b128 v[57:60], v19 offset:112
	ds_load_b128 v[61:64], v19 offset:128
	ds_load_b128 v[65:68], v19 offset:144
	ds_load_b128 v[69:72], v19 offset:160
	ds_load_b128 v[1:4], v19 offset:176
	s_waitcnt lgkmcnt(11)
	v_and_b32_e32 v110, 0xffff0000, v32
	v_and_b32_e32 v108, 0xffff0000, v30
	s_waitcnt lgkmcnt(6)
	v_and_b32_e32 v130, 0xffff0000, v52
	v_and_b32_e32 v129, 0xffff0000, v51
	;; [unrolled: 1-line block ×3, first 2 shown]
	s_waitcnt lgkmcnt(3)
	v_and_b32_e32 v148, 0xffff0000, v62
	s_waitcnt lgkmcnt(2)
	v_and_b32_e32 v158, 0xffff0000, v67
	v_lshlrev_b32_e32 v157, 16, v67
	v_lshlrev_b32_e32 v147, 16, v62
	v_and_b32_e32 v146, 0xffff0000, v61
	v_lshlrev_b32_e32 v143, 16, v60
	v_and_b32_e32 v144, 0xffff0000, v60
	s_waitcnt lgkmcnt(1)
	v_lshlrev_b32_e32 v161, 16, v69
	v_lshlrev_b32_e32 v163, 16, v71
	v_and_b32_e32 v71, 0xffff0000, v71
	v_and_b32_e32 v69, 0xffff0000, v69
	v_lshlrev_b32_e32 v159, 16, v68
	v_and_b32_e32 v160, 0xffff0000, v68
	v_and_b32_e32 v113, 0xffff0000, v35
	v_lshlrev_b32_e32 v97, 16, v45
	v_and_b32_e32 v114, 0xffff0000, v36
	v_lshlrev_b32_e32 v91, 16, v39
	v_lshlrev_b32_e32 v104, 16, v52
	v_and_b32_e32 v126, 0xffff0000, v48
	v_and_b32_e32 v121, 0xffff0000, v43
	v_and_b32_e32 v107, 0xffff0000, v29
	v_and_b32_e32 v134, 0xffff0000, v55
	v_and_b32_e32 v131, 0xffff0000, v53
	v_and_b32_e32 v127, 0xffff0000, v49
	v_and_b32_e32 v119, 0xffff0000, v41
	v_and_b32_e32 v109, 0xffff0000, v31
	v_lshlrev_b32_e32 v137, 16, v57
	v_and_b32_e32 v140, 0xffff0000, v58
	v_lshlrev_b32_e32 v139, 16, v58
	v_and_b32_e32 v138, 0xffff0000, v57
	v_and_b32_e32 v142, 0xffff0000, v59
	v_lshlrev_b32_e32 v141, 16, v59
	v_lshlrev_b32_e32 v145, 16, v61
	;; [unrolled: 1-line block ×3, first 2 shown]
	v_and_b32_e32 v156, 0xffff0000, v66
	v_lshlrev_b32_e32 v155, 16, v66
	v_and_b32_e32 v154, 0xffff0000, v65
	v_and_b32_e32 v150, 0xffff0000, v63
	v_lshlrev_b32_e32 v149, 16, v63
	s_waitcnt vmcnt(1)
	v_and_b32_e32 v67, 0xffff0000, v78
	v_lshlrev_b32_e32 v89, 16, v37
	v_lshlrev_b32_e32 v60, 16, v78
	s_waitcnt vmcnt(0)
	v_and_b32_e32 v68, 0xffff0000, v80
	v_dual_mul_f32 v78, v110, v67 :: v_dual_lshlrev_b32 v57, 16, v77
	v_lshlrev_b32_e32 v83, 16, v31
	v_and_b32_e32 v59, 0xffff0000, v77
	v_lshlrev_b32_e32 v81, 16, v29
	v_lshlrev_b32_e32 v65, 16, v80
	v_fmac_f32_e32 v78, v108, v68
	v_lshlrev_b32_e32 v82, 16, v30
	global_load_b64 v[29:30], v[73:74], off offset:1024
	s_waitcnt lgkmcnt(0)
	v_lshlrev_b32_e32 v80, 16, v2
	v_and_b32_e32 v2, 0xffff0000, v2
	v_lshlrev_b32_e32 v61, 16, v79
	v_lshlrev_b32_e32 v84, 16, v32
	global_load_b64 v[31:32], v[73:74], off offset:1280
	v_lshlrev_b32_e32 v86, 16, v34
	v_lshlrev_b32_e32 v92, 16, v40
	;; [unrolled: 1-line block ×4, first 2 shown]
	v_and_b32_e32 v116, 0xffff0000, v38
	v_lshlrev_b32_e32 v99, 16, v47
	v_and_b32_e32 v118, 0xffff0000, v40
	v_lshlrev_b32_e32 v103, 16, v51
	v_and_b32_e32 v124, 0xffff0000, v46
	v_and_b32_e32 v117, 0xffff0000, v39
	v_lshlrev_b32_e32 v101, 16, v49
	v_and_b32_e32 v122, 0xffff0000, v44
	v_and_b32_e32 v111, 0xffff0000, v33
	;; [unrolled: 1-line block ×5, first 2 shown]
	v_lshlrev_b32_e32 v95, 16, v43
	v_and_b32_e32 v112, 0xffff0000, v34
	v_and_b32_e32 v63, 0xffff0000, v79
	v_lshlrev_b32_e32 v85, 16, v33
	global_load_b64 v[33:34], v[73:74], off offset:1536
	v_lshlrev_b32_e32 v87, 16, v35
	v_lshlrev_b32_e32 v88, 16, v36
	global_load_b64 v[35:36], v[73:74], off offset:1792
	v_lshlrev_b32_e32 v79, 16, v7
	v_lshlrev_b32_e32 v90, 16, v38
	s_clause 0x1
	global_load_b64 v[37:38], v[73:74], off offset:2048
	global_load_b64 v[39:40], v[73:74], off offset:2304
	v_lshlrev_b32_e32 v94, 16, v42
	v_lshlrev_b32_e32 v100, 16, v48
	v_and_b32_e32 v120, 0xffff0000, v42
	v_and_b32_e32 v7, 0xffff0000, v7
	v_lshlrev_b32_e32 v93, 16, v41
	global_load_b64 v[41:42], v[73:74], off offset:2560
	v_lshlrev_b32_e32 v96, 16, v44
	s_clause 0x3
	global_load_b64 v[43:44], v[73:74], off offset:2816
	global_load_b64 v[45:46], v[73:74], off offset:3072
	;; [unrolled: 1-line block ×4, first 2 shown]
	v_lshlrev_b32_e32 v105, 16, v53
	v_lshlrev_b32_e32 v106, 16, v54
	v_and_b32_e32 v132, 0xffff0000, v54
	v_add_co_u32 v51, s1, 0x1000, v73
	global_load_b64 v[53:54], v[73:74], off offset:3840
	v_mul_f32_e32 v73, v83, v57
	v_add_co_ci_u32_e64 v52, s1, 0, v74, s1
	v_mul_f32_e32 v74, v109, v59
	s_delay_alu instid0(VALU_DEP_3) | instskip(SKIP_2) | instid1(VALU_DEP_4)
	v_dual_fmac_f32 v73, v81, v61 :: v_dual_lshlrev_b32 v108, 16, v4
	v_mul_f32_e32 v77, v84, v60
	v_cmp_gt_i32_e64 s1, 32, v22
	v_fmac_f32_e32 v74, v107, v63
	s_clause 0x2
	global_load_b64 v[57:58], v[51:52], off offset:256
	global_load_b64 v[59:60], v[51:52], off offset:512
	;; [unrolled: 1-line block ×3, first 2 shown]
	v_fmac_f32_e32 v77, v82, v65
	v_fmac_f32_e32 v73, v85, v79
	v_lshlrev_b32_e32 v79, 16, v8
	v_and_b32_e32 v8, 0xffff0000, v8
	v_dual_fmac_f32 v74, v111, v7 :: v_dual_lshlrev_b32 v7, 16, v1
	v_and_b32_e32 v1, 0xffff0000, v1
	s_delay_alu instid0(VALU_DEP_4) | instskip(NEXT) | instid1(VALU_DEP_4)
	v_fmac_f32_e32 v77, v86, v79
	v_dual_fmac_f32 v78, v112, v8 :: v_dual_lshlrev_b32 v79, 16, v75
	v_and_b32_e32 v75, 0xffff0000, v75
	global_load_b64 v[65:66], v[51:52], off offset:1280
	v_fmac_f32_e32 v73, v87, v79
	v_dual_fmac_f32 v74, v113, v75 :: v_dual_lshlrev_b32 v79, 16, v76
	s_delay_alu instid0(VALU_DEP_1) | instskip(SKIP_1) | instid1(VALU_DEP_1)
	v_dual_fmac_f32 v77, v88, v79 :: v_dual_and_b32 v76, 0xffff0000, v76
	s_waitcnt vmcnt(15)
	v_dual_fmac_f32 v78, v114, v76 :: v_dual_lshlrev_b32 v81, 16, v29
	v_lshlrev_b32_e32 v75, 16, v30
	v_and_b32_e32 v29, 0xffff0000, v29
	v_and_b32_e32 v30, 0xffff0000, v30
	s_waitcnt vmcnt(14)
	v_lshlrev_b32_e32 v82, 16, v31
	v_lshlrev_b32_e32 v79, 16, v32
	v_fmac_f32_e32 v73, v89, v81
	v_dual_fmac_f32 v77, v90, v75 :: v_dual_fmac_f32 v74, v115, v29
	v_and_b32_e32 v32, 0xffff0000, v32
	v_and_b32_e32 v31, 0xffff0000, v31
	s_delay_alu instid0(VALU_DEP_4) | instskip(NEXT) | instid1(VALU_DEP_4)
	v_fmac_f32_e32 v73, v91, v82
	v_fmac_f32_e32 v77, v92, v79
	s_waitcnt vmcnt(13)
	v_lshlrev_b32_e32 v83, 16, v33
	v_lshlrev_b32_e32 v76, 16, v34
	v_and_b32_e32 v34, 0xffff0000, v34
	s_waitcnt vmcnt(12)
	v_lshlrev_b32_e32 v84, 16, v35
	v_lshlrev_b32_e32 v81, 16, v36
	v_fmac_f32_e32 v73, v93, v83
	v_fmac_f32_e32 v77, v94, v76
	s_waitcnt vmcnt(11)
	v_lshlrev_b32_e32 v85, 16, v37
	v_and_b32_e32 v29, 0xffff0000, v37
	v_lshlrev_b32_e32 v37, 16, v38
	v_fmac_f32_e32 v73, v95, v84
	s_waitcnt vmcnt(10)
	v_dual_fmac_f32 v77, v96, v81 :: v_dual_lshlrev_b32 v86, 16, v39
	v_lshlrev_b32_e32 v75, 16, v40
	s_delay_alu instid0(VALU_DEP_3) | instskip(NEXT) | instid1(VALU_DEP_3)
	v_dual_fmac_f32 v73, v97, v85 :: v_dual_and_b32 v36, 0xffff0000, v36
	v_dual_fmac_f32 v77, v98, v37 :: v_dual_fmac_f32 v78, v116, v30
	v_and_b32_e32 v38, 0xffff0000, v38
	s_waitcnt vmcnt(9)
	v_lshlrev_b32_e32 v87, 16, v41
	v_fmac_f32_e32 v73, v99, v86
	v_dual_fmac_f32 v77, v100, v75 :: v_dual_fmac_f32 v78, v118, v32
	v_and_b32_e32 v30, 0xffff0000, v41
	v_lshlrev_b32_e32 v41, 16, v42
	v_and_b32_e32 v33, 0xffff0000, v33
	s_delay_alu instid0(VALU_DEP_4) | instskip(NEXT) | instid1(VALU_DEP_3)
	v_dual_fmac_f32 v78, v120, v34 :: v_dual_and_b32 v35, 0xffff0000, v35
	v_dual_fmac_f32 v77, v102, v41 :: v_dual_and_b32 v40, 0xffff0000, v40
	s_waitcnt vmcnt(8)
	v_lshlrev_b32_e32 v82, 16, v44
	s_delay_alu instid0(VALU_DEP_3) | instskip(SKIP_1) | instid1(VALU_DEP_3)
	v_dual_fmac_f32 v78, v122, v36 :: v_dual_and_b32 v39, 0xffff0000, v39
	v_and_b32_e32 v42, 0xffff0000, v42
	v_dual_fmac_f32 v77, v104, v82 :: v_dual_lshlrev_b32 v88, 16, v43
	s_delay_alu instid0(VALU_DEP_3) | instskip(SKIP_3) | instid1(VALU_DEP_3)
	v_dual_fmac_f32 v78, v124, v38 :: v_dual_and_b32 v43, 0xffff0000, v43
	v_fmac_f32_e32 v74, v117, v31
	v_dual_fmac_f32 v73, v101, v87 :: v_dual_and_b32 v44, 0xffff0000, v44
	s_waitcnt vmcnt(7)
	v_dual_fmac_f32 v78, v126, v40 :: v_dual_lshlrev_b32 v89, 16, v45
	s_delay_alu instid0(VALU_DEP_3) | instskip(NEXT) | instid1(VALU_DEP_3)
	v_fmac_f32_e32 v74, v119, v33
	v_fmac_f32_e32 v73, v103, v88
	v_and_b32_e32 v31, 0xffff0000, v45
	v_lshlrev_b32_e32 v45, 16, v46
	v_fmac_f32_e32 v78, v128, v42
	v_fmac_f32_e32 v74, v121, v35
	v_dual_fmac_f32 v73, v105, v89 :: v_dual_and_b32 v46, 0xffff0000, v46
	s_waitcnt vmcnt(6)
	v_lshlrev_b32_e32 v90, 16, v47
	v_fmac_f32_e32 v78, v130, v44
	v_dual_fmac_f32 v74, v123, v29 :: v_dual_and_b32 v47, 0xffff0000, v47
	v_fmac_f32_e32 v77, v106, v45
	s_delay_alu instid0(VALU_DEP_3) | instskip(NEXT) | instid1(VALU_DEP_3)
	v_dual_fmac_f32 v78, v132, v46 :: v_dual_lshlrev_b32 v133, 16, v55
	v_fmac_f32_e32 v74, v125, v39
	s_waitcnt vmcnt(5)
	v_and_b32_e32 v32, 0xffff0000, v49
	v_lshlrev_b32_e32 v79, 16, v48
	v_dual_fmac_f32 v73, v90, v133 :: v_dual_and_b32 v48, 0xffff0000, v48
	v_fmac_f32_e32 v74, v127, v30
	s_waitcnt vmcnt(4)
	v_lshlrev_b32_e32 v92, 16, v53
	v_and_b32_e32 v53, 0xffff0000, v53
	v_lshlrev_b32_e32 v91, 16, v49
	v_dual_fmac_f32 v74, v129, v43 :: v_dual_lshlrev_b32 v49, 16, v50
	v_and_b32_e32 v50, 0xffff0000, v50
	v_lshlrev_b32_e32 v83, 16, v54
	v_and_b32_e32 v54, 0xffff0000, v54
	s_waitcnt vmcnt(3)
	v_dual_fmac_f32 v74, v131, v31 :: v_dual_lshlrev_b32 v107, 16, v57
	v_and_b32_e32 v57, 0xffff0000, v57
	s_waitcnt vmcnt(2)
	v_and_b32_e32 v34, 0xffff0000, v59
	v_lshlrev_b32_e32 v76, 16, v58
	v_and_b32_e32 v58, 0xffff0000, v58
	v_dual_fmac_f32 v74, v47, v134 :: v_dual_lshlrev_b32 v135, 16, v56
	v_lshlrev_b32_e32 v94, 16, v59
	v_lshlrev_b32_e32 v59, 16, v60
	v_and_b32_e32 v60, 0xffff0000, v60
	s_delay_alu instid0(VALU_DEP_4)
	v_fmac_f32_e32 v74, v32, v138
	v_dual_fmac_f32 v77, v79, v135 :: v_dual_and_b32 v136, 0xffff0000, v56
	global_load_b64 v[55:56], v[51:52], off
	s_waitcnt vmcnt(2)
	v_lshlrev_b32_e32 v84, 16, v61
	v_fmac_f32_e32 v74, v53, v142
	v_dual_fmac_f32 v78, v48, v136 :: v_dual_fmac_f32 v73, v91, v137
	v_and_b32_e32 v61, 0xffff0000, v61
	v_lshlrev_b32_e32 v35, 16, v62
	v_and_b32_e32 v62, 0xffff0000, v62
	s_delay_alu instid0(VALU_DEP_4)
	v_dual_fmac_f32 v78, v50, v140 :: v_dual_fmac_f32 v77, v49, v139
	v_fmac_f32_e32 v73, v92, v141
	s_waitcnt vmcnt(1)
	v_lshlrev_b32_e32 v31, 16, v65
	v_and_b32_e32 v38, 0xffff0000, v65
	v_lshlrev_b32_e32 v32, 16, v66
	v_and_b32_e32 v39, 0xffff0000, v66
	s_waitcnt vmcnt(0)
	v_and_b32_e32 v33, 0xffff0000, v55
	v_lshlrev_b32_e32 v93, 16, v55
	v_lshlrev_b32_e32 v55, 16, v56
	v_and_b32_e32 v56, 0xffff0000, v56
	s_delay_alu instid0(VALU_DEP_4) | instskip(NEXT) | instid1(VALU_DEP_4)
	v_dual_fmac_f32 v74, v33, v146 :: v_dual_fmac_f32 v77, v83, v143
	v_dual_fmac_f32 v78, v54, v144 :: v_dual_fmac_f32 v73, v93, v145
	s_delay_alu instid0(VALU_DEP_2) | instskip(NEXT) | instid1(VALU_DEP_2)
	v_dual_fmac_f32 v74, v57, v150 :: v_dual_lshlrev_b32 v151, 16, v64
	v_dual_fmac_f32 v78, v56, v148 :: v_dual_fmac_f32 v77, v55, v147
	s_delay_alu instid0(VALU_DEP_2)
	v_dual_fmac_f32 v73, v107, v149 :: v_dual_fmac_f32 v74, v34, v154
	v_and_b32_e32 v152, 0xffff0000, v64
	s_clause 0x2
	global_load_b64 v[63:64], v[51:52], off offset:1024
	global_load_b64 v[67:68], v[51:52], off offset:1536
	;; [unrolled: 1-line block ×3, first 2 shown]
	v_dual_fmac_f32 v77, v76, v151 :: v_dual_fmac_f32 v74, v61, v158
	v_fmac_f32_e32 v78, v58, v152
	s_delay_alu instid0(VALU_DEP_1) | instskip(NEXT) | instid1(VALU_DEP_3)
	v_dual_fmac_f32 v73, v94, v153 :: v_dual_fmac_f32 v78, v60, v156
	v_fmac_f32_e32 v77, v59, v155
	s_delay_alu instid0(VALU_DEP_2)
	v_fmac_f32_e32 v73, v84, v157
	s_waitcnt vmcnt(2)
	v_lshlrev_b32_e32 v29, 16, v63
	v_and_b32_e32 v36, 0xffff0000, v63
	v_lshlrev_b32_e32 v30, 16, v64
	v_and_b32_e32 v37, 0xffff0000, v64
	s_waitcnt vmcnt(1)
	v_lshlrev_b32_e32 v33, 16, v67
	v_and_b32_e32 v40, 0xffff0000, v67
	v_dual_fmac_f32 v74, v36, v69 :: v_dual_fmac_f32 v77, v35, v159
	v_fmac_f32_e32 v78, v62, v160
	v_dual_fmac_f32 v73, v29, v161 :: v_dual_lshlrev_b32 v162, 16, v70
	v_and_b32_e32 v70, 0xffff0000, v70
	v_lshlrev_b32_e32 v164, 16, v72
	v_fmac_f32_e32 v74, v38, v71
	s_delay_alu instid0(VALU_DEP_4) | instskip(SKIP_4) | instid1(VALU_DEP_3)
	v_fmac_f32_e32 v77, v30, v162
	v_dual_fmac_f32 v73, v31, v163 :: v_dual_and_b32 v72, 0xffff0000, v72
	v_lshlrev_b32_e32 v34, 16, v68
	s_waitcnt vmcnt(0)
	v_dual_fmac_f32 v78, v37, v70 :: v_dual_lshlrev_b32 v29, 16, v51
	v_fmac_f32_e32 v73, v33, v7
	v_dual_fmac_f32 v77, v32, v164 :: v_dual_and_b32 v30, 0xffff0000, v51
	v_dual_fmac_f32 v74, v40, v1 :: v_dual_lshlrev_b32 v1, 16, v52
	v_lshlrev_b32_e32 v8, 16, v3
	v_and_b32_e32 v3, 0xffff0000, v3
	v_and_b32_e32 v41, 0xffff0000, v68
	v_fmac_f32_e32 v78, v39, v72
	s_delay_alu instid0(VALU_DEP_4) | instskip(SKIP_2) | instid1(VALU_DEP_4)
	v_fmac_f32_e32 v73, v29, v8
	v_fmac_f32_e32 v77, v34, v80
	;; [unrolled: 1-line block ×4, first 2 shown]
	v_and_b32_e32 v2, 0xffff0000, v4
	v_and_b32_e32 v3, 0xffff0000, v52
	v_fmac_f32_e32 v77, v1, v108
	v_add_f32_e32 v1, v73, v74
	v_cndmask_b32_e64 v4, v17, v22, s1
	s_delay_alu instid0(VALU_DEP_2) | instskip(NEXT) | instid1(VALU_DEP_1)
	v_dual_fmac_f32 v78, v3, v2 :: v_dual_add_f32 v1, v1, v77
	v_dual_add_f32 v1, v78, v1 :: v_dual_lshlrev_b32 v2, 2, v4
	ds_bpermute_b32 v2, v2, v1
	s_and_saveexec_b32 s44, vcc_lo
	s_cbranch_execz .LBB166_11
; %bb.17:                               ;   in Loop: Header=BB166_13 Depth=1
	s_waitcnt lgkmcnt(0)
	v_add_f32_e32 v1, v1, v2
	v_add_nc_u32_e32 v3, v23, v20
	s_delay_alu instid0(VALU_DEP_1) | instskip(NEXT) | instid1(VALU_DEP_1)
	v_cvt_f32_i32_e32 v3, v3
	v_mul_f32_e32 v3, s38, v3
	s_delay_alu instid0(VALU_DEP_1) | instskip(NEXT) | instid1(VALU_DEP_1)
	v_cndmask_b32_e64 v2, 0, v3, s0
	v_dual_max_f32 v3, v16, v16 :: v_dual_fmac_f32 v2, s35, v1
	v_add_nc_u32_e32 v1, v18, v20
	s_delay_alu instid0(VALU_DEP_2) | instskip(NEXT) | instid1(VALU_DEP_2)
	v_max_f32_e32 v3, v3, v2
	v_cmp_gt_i32_e64 s1, s33, v1
	s_delay_alu instid0(VALU_DEP_1) | instskip(NEXT) | instid1(VALU_DEP_3)
	v_cndmask_b32_e64 v1, 0, v2, s1
	v_cndmask_b32_e64 v16, v16, v3, s1
	ds_store_b32 v24, v1
	s_branch .LBB166_11
.LBB166_18:
	s_or_b32 exec_lo, exec_lo, s42
.LBB166_19:
	s_delay_alu instid0(SALU_CYCLE_1) | instskip(SKIP_4) | instid1(VALU_DEP_3)
	s_or_b32 exec_lo, exec_lo, s40
	v_xor_b32_e32 v1, 16, v17
	s_waitcnt lgkmcnt(0)
	v_xor_b32_e32 v2, 8, v17
	v_dual_max_f32 v4, v16, v16 :: v_dual_lshlrev_b32 v7, 2, v14
	v_cmp_gt_i32_e32 vcc_lo, 32, v1
	v_cndmask_b32_e32 v1, v17, v1, vcc_lo
	s_delay_alu instid0(VALU_DEP_4) | instskip(NEXT) | instid1(VALU_DEP_2)
	v_cmp_gt_i32_e32 vcc_lo, 32, v2
	v_dual_cndmask_b32 v2, v17, v2 :: v_dual_lshlrev_b32 v3, 2, v1
	ds_bpermute_b32 v1, v3, v16
	s_waitcnt lgkmcnt(0)
	v_dual_max_f32 v1, v1, v1 :: v_dual_and_b32 v16, 31, v0
	s_delay_alu instid0(VALU_DEP_1) | instskip(SKIP_1) | instid1(VALU_DEP_1)
	v_max_f32_e32 v1, v4, v1
	v_xor_b32_e32 v4, 4, v17
	v_cmp_gt_i32_e32 vcc_lo, 32, v4
	v_dual_cndmask_b32 v4, v17, v4 :: v_dual_lshlrev_b32 v5, 2, v2
	s_delay_alu instid0(VALU_DEP_1) | instskip(SKIP_2) | instid1(VALU_DEP_1)
	v_lshlrev_b32_e32 v6, 2, v4
	ds_bpermute_b32 v2, v5, v1
	v_xor_b32_e32 v4, 2, v17
	v_cmp_gt_i32_e32 vcc_lo, 32, v4
	v_cndmask_b32_e32 v4, v17, v4, vcc_lo
	v_cmp_eq_u32_e32 vcc_lo, 0, v16
	s_waitcnt lgkmcnt(0)
	v_max_f32_e32 v2, v2, v2
	s_delay_alu instid0(VALU_DEP_1) | instskip(SKIP_3) | instid1(VALU_DEP_1)
	v_max_f32_e32 v1, v1, v2
	ds_bpermute_b32 v2, v6, v1
	s_waitcnt lgkmcnt(0)
	v_max_f32_e32 v2, v2, v2
	v_dual_max_f32 v1, v1, v2 :: v_dual_lshlrev_b32 v2, 2, v4
	ds_bpermute_b32 v4, v2, v1
	s_and_saveexec_b32 s0, vcc_lo
	s_cbranch_execz .LBB166_21
; %bb.20:
	s_waitcnt lgkmcnt(0)
	v_dual_max_f32 v4, v4, v4 :: v_dual_max_f32 v1, v1, v1
	s_delay_alu instid0(VALU_DEP_1)
	v_max_f32_e32 v1, v1, v4
	ds_store_b32 v7, v1 offset:384
.LBB166_21:
	s_or_b32 exec_lo, exec_lo, s0
	v_cmp_gt_u32_e64 s0, 4, v16
	v_dual_mov_b32 v1, 0xff7fffff :: v_dual_lshlrev_b32 v8, 2, v16
	s_waitcnt lgkmcnt(0)
	s_barrier
	buffer_gl0_inv
	s_and_saveexec_b32 s1, s0
	s_cbranch_execz .LBB166_23
; %bb.22:
	ds_load_b32 v1, v8 offset:384
.LBB166_23:
	s_or_b32 exec_lo, exec_lo, s1
	s_waitcnt lgkmcnt(0)
	ds_bpermute_b32 v4, v2, v1
	v_xor_b32_e32 v18, 1, v17
	v_max_f32_e32 v1, v1, v1
	s_delay_alu instid0(VALU_DEP_2) | instskip(NEXT) | instid1(VALU_DEP_1)
	v_cmp_gt_i32_e64 s1, 32, v18
	v_cndmask_b32_e64 v17, v17, v18, s1
	s_sub_i32 s1, s8, s39
	v_mov_b32_e32 v18, 0
	s_lshl_b32 s1, s1, 4
	s_delay_alu instid0(VALU_DEP_2) | instskip(SKIP_1) | instid1(SALU_CYCLE_1)
	v_lshlrev_b32_e32 v17, 2, v17
	s_add_i32 s1, s1, s13
	s_min_i32 s1, s1, s33
	s_waitcnt lgkmcnt(0)
	v_max_f32_e32 v4, v4, v4
	s_sub_i32 s7, s1, s13
	s_delay_alu instid0(SALU_CYCLE_1) | instskip(NEXT) | instid1(VALU_DEP_2)
	v_cmp_gt_i32_e64 s1, s7, v0
	v_max_f32_e32 v1, v1, v4
	ds_bpermute_b32 v4, v17, v1
	s_waitcnt lgkmcnt(0)
	v_max_f32_e32 v4, v4, v4
	s_delay_alu instid0(VALU_DEP_1)
	v_max_f32_e32 v1, v1, v4
	v_lshl_add_u32 v4, v0, 2, 0x1a0
	ds_bpermute_b32 v1, v18, v1
	s_and_saveexec_b32 s13, s1
	s_cbranch_execz .LBB166_27
; %bb.24:
	v_lshl_add_u32 v19, v0, 2, 0x1a0
	v_mov_b32_e32 v18, 0
	v_mov_b32_e32 v20, v0
	s_mov_b32 s35, 0
	.p2align	6
.LBB166_25:                             ; =>This Inner Loop Header: Depth=1
	ds_load_b32 v21, v19
	v_add_nc_u32_e32 v20, 0x80, v20
	s_delay_alu instid0(VALU_DEP_1) | instskip(NEXT) | instid1(VALU_DEP_1)
	v_cmp_le_i32_e64 s3, s7, v20
	s_or_b32 s35, s3, s35
	s_waitcnt lgkmcnt(0)
	v_sub_f32_e32 v21, v21, v1
	s_delay_alu instid0(VALU_DEP_1) | instskip(NEXT) | instid1(VALU_DEP_1)
	v_mul_f32_e32 v21, 0x3fb8aa3b, v21
	v_exp_f32_e32 v21, v21
	ds_store_b32 v19, v21
	v_dual_add_f32 v18, v18, v21 :: v_dual_add_nc_u32 v19, 0x200, v19
	s_and_not1_b32 exec_lo, exec_lo, s35
	s_cbranch_execnz .LBB166_25
; %bb.26:
	s_or_b32 exec_lo, exec_lo, s35
.LBB166_27:
	s_delay_alu instid0(SALU_CYCLE_1)
	s_or_b32 exec_lo, exec_lo, s13
	ds_bpermute_b32 v3, v3, v18
	s_waitcnt lgkmcnt(0)
	v_add_f32_e32 v3, v18, v3
	ds_bpermute_b32 v5, v5, v3
	s_waitcnt lgkmcnt(0)
	v_add_f32_e32 v3, v3, v5
	;; [unrolled: 3-line block ×5, first 2 shown]
	s_and_saveexec_b32 s3, vcc_lo
	s_cbranch_execz .LBB166_29
; %bb.28:
	ds_store_b32 v7, v3 offset:400
.LBB166_29:
	s_or_b32 exec_lo, exec_lo, s3
	s_waitcnt lgkmcnt(0)
	s_barrier
	buffer_gl0_inv
	s_and_saveexec_b32 s3, s0
	s_cbranch_execz .LBB166_31
; %bb.30:
	ds_load_b32 v3, v8 offset:400
.LBB166_31:
	s_or_b32 exec_lo, exec_lo, s3
	s_waitcnt lgkmcnt(0)
	ds_bpermute_b32 v2, v2, v3
	s_waitcnt lgkmcnt(0)
	v_add_f32_e32 v2, v3, v2
	ds_bpermute_b32 v3, v17, v2
	s_waitcnt lgkmcnt(0)
	v_dual_add_f32 v2, v2, v3 :: v_dual_mov_b32 v3, 0
	ds_bpermute_b32 v2, v3, v2
	s_and_saveexec_b32 s0, s1
	s_cbranch_execz .LBB166_34
; %bb.32:
	s_waitcnt lgkmcnt(0)
	v_add_f32_e32 v3, 0x358637bd, v2
	s_mov_b32 s1, 0
	s_delay_alu instid0(VALU_DEP_1) | instskip(SKIP_1) | instid1(VALU_DEP_2)
	v_div_scale_f32 v5, null, v3, v3, 1.0
	v_div_scale_f32 v8, vcc_lo, 1.0, v3, 1.0
	v_rcp_f32_e32 v6, v5
	s_waitcnt_depctr 0xfff
	v_fma_f32 v7, -v5, v6, 1.0
	s_delay_alu instid0(VALU_DEP_1) | instskip(NEXT) | instid1(VALU_DEP_1)
	v_fmac_f32_e32 v6, v7, v6
	v_mul_f32_e32 v7, v8, v6
	s_delay_alu instid0(VALU_DEP_1) | instskip(NEXT) | instid1(VALU_DEP_1)
	v_fma_f32 v18, -v5, v7, v8
	v_fmac_f32_e32 v7, v18, v6
	s_delay_alu instid0(VALU_DEP_1) | instskip(NEXT) | instid1(VALU_DEP_1)
	v_fma_f32 v5, -v5, v7, v8
	v_div_fmas_f32 v5, v5, v6, v7
	s_delay_alu instid0(VALU_DEP_1)
	v_div_fixup_f32 v3, v5, v3, 1.0
	v_mov_b32_e32 v5, v0
.LBB166_33:                             ; =>This Inner Loop Header: Depth=1
	ds_load_b32 v6, v4
	s_waitcnt lgkmcnt(0)
	v_dual_mul_f32 v6, v3, v6 :: v_dual_add_nc_u32 v5, 0x80, v5
	s_delay_alu instid0(VALU_DEP_1) | instskip(SKIP_3) | instid1(SALU_CYCLE_1)
	v_cmp_le_i32_e32 vcc_lo, s7, v5
	ds_store_b32 v4, v6
	v_add_nc_u32_e32 v4, 0x200, v4
	s_or_b32 s1, vcc_lo, s1
	s_and_not1_b32 exec_lo, exec_lo, s1
	s_cbranch_execnz .LBB166_33
.LBB166_34:
	s_or_b32 exec_lo, exec_lo, s0
	s_delay_alu instid0(SALU_CYCLE_1)
	s_mov_b32 s0, exec_lo
	s_waitcnt lgkmcnt(0)
	s_barrier
	buffer_gl0_inv
	v_cmpx_eq_u32_e32 0, v0
	s_cbranch_execz .LBB166_36
; %bb.35:
	s_mul_i32 s1, s4, s14
	s_mul_i32 s40, s4, s24
	;; [unrolled: 1-line block ×3, first 2 shown]
	v_mov_b32_e32 v3, 0
	s_ashr_i32 s39, s38, 31
	s_delay_alu instid0(SALU_CYCLE_1) | instskip(NEXT) | instid1(SALU_CYCLE_1)
	s_lshl_b64 s[38:39], s[38:39], 2
	s_add_u32 s1, s18, s38
	s_addc_u32 s3, s19, s39
	s_ashr_i32 s41, s40, 31
	s_delay_alu instid0(SALU_CYCLE_1) | instskip(NEXT) | instid1(SALU_CYCLE_1)
	s_lshl_b64 s[18:19], s[40:41], 2
	s_add_u32 s1, s1, s18
	s_addc_u32 s3, s3, s19
	;; [unrolled: 5-line block ×3, first 2 shown]
	s_add_u32 s1, s16, s38
	s_addc_u32 s3, s17, s39
	s_add_u32 s1, s1, s18
	s_addc_u32 s3, s3, s19
	;; [unrolled: 2-line block ×3, first 2 shown]
	s_clause 0x1
	global_store_b32 v3, v1, s[42:43]
	global_store_b32 v3, v2, s[16:17]
.LBB166_36:
	s_or_b32 exec_lo, exec_lo, s0
	v_dual_mov_b32 v29, 0 :: v_dual_mov_b32 v28, 0
	v_dual_mov_b32 v27, 0 :: v_dual_mov_b32 v26, 0
	;; [unrolled: 1-line block ×6, first 2 shown]
	s_mov_b32 s3, 0
	s_and_saveexec_b32 s1, s2
	s_cbranch_execz .LBB166_482
; %bb.37:
	s_ashr_i32 s7, s6, 31
	s_sub_i32 s2, s37, s9
	s_lshl_b64 s[6:7], s[6:7], 1
	v_dual_mov_b32 v19, 0 :: v_dual_and_b32 v30, 8, v11
	s_add_u32 s6, s30, s6
	s_addc_u32 s7, s31, s7
	s_abs_i32 s9, s10
	v_dual_mov_b32 v21, 0 :: v_dual_and_b32 v4, 0xf8, v11
	v_cvt_f32_u32_e32 v3, s9
	s_sub_i32 s0, 0, s9
	v_dual_mov_b32 v18, 0 :: v_dual_lshlrev_b32 v5, 5, v13
	v_lshlrev_b64 v[1:2], 2, v[9:10]
	s_delay_alu instid0(VALU_DEP_3)
	v_rcp_iflag_f32_e32 v3, v3
	v_mov_b32_e32 v24, 0
	v_dual_mov_b32 v28, 0 :: v_dual_lshlrev_b32 v31, 1, v4
	v_or_b32_e32 v6, 0x800, v4
	v_or_b32_e32 v7, 0x900, v4
	;; [unrolled: 1-line block ×4, first 2 shown]
	s_lshl_b64 s[16:17], s[28:29], 2
	s_add_i32 s10, s34, -1
	s_delay_alu instid0(TRANS32_DEP_1) | instskip(SKIP_3) | instid1(VALU_DEP_4)
	v_mul_f32_e32 v3, 0x4f7ffffe, v3
	v_lshl_or_b32 v5, v14, 6, v5
	v_lshlrev_b32_e32 v36, 1, v10
	v_dual_mov_b32 v20, 0 :: v_dual_mov_b32 v23, 0
	v_cvt_u32_f32_e32 v3, v3
	v_dual_mov_b32 v22, 0 :: v_dual_mov_b32 v25, 0
	v_dual_mov_b32 v26, 0 :: v_dual_mov_b32 v27, 0
	s_delay_alu instid0(VALU_DEP_3)
	v_mul_lo_u32 v11, s0, v3
	s_add_u32 s0, s26, s16
	s_addc_u32 s13, s27, s17
	v_add_co_u32 v10, vcc_lo, s0, v1
	v_dual_mov_b32 v29, 0 :: v_dual_add_nc_u32 v32, 0x1a0, v5
	v_lshlrev_b32_e32 v33, 1, v6
	s_delay_alu instid0(VALU_DEP_4) | instskip(SKIP_3) | instid1(VALU_DEP_4)
	v_mul_hi_u32 v4, v3, v11
	v_lshlrev_b32_e32 v34, 1, v7
	v_lshlrev_b32_e32 v35, 1, v8
	v_add_co_ci_u32_e32 v11, vcc_lo, s13, v2, vcc_lo
	v_add_nc_u32_e32 v37, v3, v4
	s_branch .LBB166_40
.LBB166_38:                             ;   in Loop: Header=BB166_40 Depth=1
	s_or_b32 exec_lo, exec_lo, s0
	v_and_b32_e32 v53, 0xffff0000, v132
	v_and_b32_e32 v54, 0xffff0000, v134
	;; [unrolled: 1-line block ×7, first 2 shown]
	s_delay_alu instid0(VALU_DEP_4) | instskip(SKIP_3) | instid1(VALU_DEP_4)
	v_dual_add_f32 v52, v53, v52 :: v_dual_add_f32 v51, v54, v51
	v_and_b32_e32 v53, 0xffff0000, v138
	v_and_b32_e32 v5, 0xffff0000, v5
	;; [unrolled: 1-line block ×3, first 2 shown]
	v_dual_add_f32 v51, v52, v51 :: v_dual_and_b32 v66, 0xffff0000, v104
	v_and_b32_e32 v54, 0xffff0000, v139
	s_delay_alu instid0(VALU_DEP_4) | instskip(SKIP_2) | instid1(VALU_DEP_4)
	v_dual_add_f32 v5, v5, v6 :: v_dual_and_b32 v56, 0xffff0000, v137
	v_and_b32_e32 v55, 0xffff0000, v55
	v_and_b32_e32 v45, 0xffff0000, v45
	v_add_f32_e32 v53, v53, v54
	s_delay_alu instid0(VALU_DEP_4) | instskip(SKIP_3) | instid1(VALU_DEP_4)
	v_add_f32_e32 v56, v57, v56
	v_and_b32_e32 v54, 0xffff0000, v125
	v_and_b32_e32 v44, 0xffff0000, v44
	;; [unrolled: 1-line block ×3, first 2 shown]
	v_dual_add_f32 v51, v51, v56 :: v_dual_and_b32 v38, 0xffff0000, v38
	v_and_b32_e32 v58, 0xffff0000, v126
	s_delay_alu instid0(VALU_DEP_4) | instskip(NEXT) | instid1(VALU_DEP_3)
	v_dual_add_f32 v44, v44, v45 :: v_dual_and_b32 v7, 0xffff0000, v7
	v_dual_add_f32 v51, v51, v53 :: v_dual_and_b32 v8, 0xffff0000, v8
	v_and_b32_e32 v64, 0xffff0000, v118
	v_and_b32_e32 v2, 0xffff0000, v2
	v_and_b32_e32 v47, 0xffff0000, v47
	s_delay_alu instid0(VALU_DEP_4) | instskip(SKIP_4) | instid1(VALU_DEP_4)
	v_dual_add_f32 v19, v19, v51 :: v_dual_and_b32 v40, 0xffff0000, v40
	v_and_b32_e32 v56, 0xffff0000, v124
	v_and_b32_e32 v42, 0xffff0000, v42
	v_dual_add_f32 v45, v46, v55 :: v_dual_and_b32 v4, 0xffff0000, v4
	v_and_b32_e32 v46, 0xffff0000, v63
	v_dual_add_f32 v54, v56, v54 :: v_dual_and_b32 v57, 0xffff0000, v127
	s_delay_alu instid0(VALU_DEP_3) | instskip(SKIP_1) | instid1(VALU_DEP_3)
	v_dual_add_f32 v44, v44, v45 :: v_dual_and_b32 v59, 0xffff0000, v128
	v_and_b32_e32 v51, 0xffff0000, v99
	v_dual_add_f32 v7, v7, v8 :: v_dual_add_f32 v56, v58, v57
	v_and_b32_e32 v39, 0xffff0000, v39
	v_and_b32_e32 v1, 0xffff0000, v1
	;; [unrolled: 1-line block ×3, first 2 shown]
	s_delay_alu instid0(VALU_DEP_4) | instskip(NEXT) | instid1(VALU_DEP_4)
	v_dual_add_f32 v54, v54, v56 :: v_dual_and_b32 v41, 0xffff0000, v41
	v_add_f32_e32 v8, v38, v39
	v_and_b32_e32 v57, 0xffff0000, v119
	v_add_f32_e32 v1, v1, v47
	v_and_b32_e32 v43, 0xffff0000, v43
	s_delay_alu instid0(VALU_DEP_4) | instskip(NEXT) | instid1(VALU_DEP_4)
	v_dual_add_f32 v7, v7, v8 :: v_dual_and_b32 v38, 0xffff0000, v49
	v_dual_add_f32 v57, v64, v57 :: v_dual_and_b32 v64, 0xffff0000, v103
	v_and_b32_e32 v58, 0xffff0000, v117
	v_dual_add_f32 v8, v40, v41 :: v_dual_and_b32 v3, 0xffff0000, v3
	s_delay_alu instid0(VALU_DEP_2) | instskip(SKIP_1) | instid1(VALU_DEP_3)
	v_add_f32_e32 v58, v62, v58
	v_and_b32_e32 v60, 0xffff0000, v130
	v_dual_add_f32 v7, v7, v8 :: v_dual_and_b32 v62, 0xffff0000, v105
	v_add_f32_e32 v8, v42, v43
	s_delay_alu instid0(VALU_DEP_4) | instskip(SKIP_1) | instid1(VALU_DEP_4)
	v_add_f32_e32 v57, v58, v57
	v_and_b32_e32 v52, 0xffff0000, v129
	v_dual_add_f32 v62, v66, v62 :: v_dual_and_b32 v61, 0xffff0000, v131
	v_and_b32_e32 v56, 0xffff0000, v121
	s_delay_alu instid0(VALU_DEP_3) | instskip(SKIP_1) | instid1(VALU_DEP_2)
	v_add_f32_e32 v52, v59, v52
	v_and_b32_e32 v59, 0xffff0000, v120
	v_add_f32_e32 v52, v54, v52
	v_add_f32_e32 v54, v60, v61
	s_delay_alu instid0(VALU_DEP_3) | instskip(SKIP_1) | instid1(VALU_DEP_3)
	v_dual_add_f32 v56, v59, v56 :: v_dual_and_b32 v59, 0xffff0000, v110
	v_and_b32_e32 v60, 0xffff0000, v122
	v_dual_add_f32 v52, v52, v54 :: v_dual_and_b32 v61, 0xffff0000, v115
	s_delay_alu instid0(VALU_DEP_3) | instskip(SKIP_2) | instid1(VALU_DEP_4)
	v_add_f32_e32 v53, v57, v56
	v_and_b32_e32 v57, 0xffff0000, v112
	v_and_b32_e32 v58, 0xffff0000, v123
	v_add_f32_e32 v20, v20, v52
	v_and_b32_e32 v52, 0xffff0000, v97
	s_delay_alu instid0(VALU_DEP_3) | instskip(NEXT) | instid1(VALU_DEP_1)
	v_add_f32_e32 v54, v60, v58
	v_dual_add_f32 v53, v53, v54 :: v_dual_and_b32 v58, 0xffff0000, v111
	s_delay_alu instid0(VALU_DEP_1) | instskip(NEXT) | instid1(VALU_DEP_2)
	v_add_f32_e32 v6, v59, v58
	v_dual_add_f32 v21, v21, v53 :: v_dual_and_b32 v58, 0xffff0000, v107
	s_delay_alu instid0(VALU_DEP_2) | instskip(NEXT) | instid1(VALU_DEP_1)
	v_dual_add_f32 v5, v5, v6 :: v_dual_and_b32 v56, 0xffff0000, v113
	v_dual_add_f32 v6, v57, v56 :: v_dual_and_b32 v53, 0xffff0000, v95
	;; [unrolled: 1-line block ×3, first 2 shown]
	s_delay_alu instid0(VALU_DEP_2) | instskip(NEXT) | instid1(VALU_DEP_2)
	v_dual_add_f32 v5, v5, v6 :: v_dual_and_b32 v56, 0xffff0000, v108
	v_add_f32_e32 v57, v59, v62
	s_delay_alu instid0(VALU_DEP_3) | instskip(NEXT) | instid1(VALU_DEP_1)
	v_dual_add_f32 v58, v64, v58 :: v_dual_and_b32 v59, 0xffff0000, v109
	v_add_f32_e32 v54, v57, v58
	s_delay_alu instid0(VALU_DEP_2) | instskip(SKIP_2) | instid1(VALU_DEP_3)
	v_dual_add_f32 v56, v56, v59 :: v_dual_and_b32 v57, 0xffff0000, v98
	v_and_b32_e32 v60, 0xffff0000, v114
	v_and_b32_e32 v59, 0xffff0000, v101
	v_dual_add_f32 v51, v57, v51 :: v_dual_and_b32 v58, 0xffff0000, v100
	s_delay_alu instid0(VALU_DEP_3) | instskip(SKIP_3) | instid1(VALU_DEP_4)
	v_add_f32_e32 v6, v60, v61
	v_and_b32_e32 v60, 0xffff0000, v86
	v_and_b32_e32 v61, 0xffff0000, v88
	;; [unrolled: 1-line block ×3, first 2 shown]
	v_dual_add_f32 v5, v5, v6 :: v_dual_add_f32 v6, v54, v56
	v_and_b32_e32 v54, 0xffff0000, v94
	v_and_b32_e32 v56, 0xffff0000, v96
	s_delay_alu instid0(VALU_DEP_3) | instskip(NEXT) | instid1(VALU_DEP_2)
	v_dual_add_f32 v22, v22, v5 :: v_dual_add_f32 v23, v23, v6
	v_dual_add_f32 v53, v54, v53 :: v_dual_add_f32 v52, v56, v52
	v_and_b32_e32 v54, 0xffff0000, v89
	v_and_b32_e32 v56, 0xffff0000, v87
	s_delay_alu instid0(VALU_DEP_3) | instskip(NEXT) | instid1(VALU_DEP_2)
	v_dual_add_f32 v52, v53, v52 :: v_dual_and_b32 v53, 0xffff0000, v91
	v_add_f32_e32 v56, v60, v56
	s_delay_alu instid0(VALU_DEP_2) | instskip(SKIP_4) | instid1(VALU_DEP_3)
	v_add_f32_e32 v51, v52, v51
	v_add_f32_e32 v52, v58, v59
	;; [unrolled: 1-line block ×3, first 2 shown]
	v_dual_add_f32 v53, v57, v53 :: v_dual_and_b32 v58, 0xffff0000, v92
	v_and_b32_e32 v57, 0xffff0000, v72
	v_dual_add_f32 v5, v51, v52 :: v_dual_add_f32 v54, v56, v54
	v_and_b32_e32 v56, 0xffff0000, v93
	v_and_b32_e32 v52, 0xffff0000, v81
	s_delay_alu instid0(VALU_DEP_3) | instskip(NEXT) | instid1(VALU_DEP_4)
	v_add_f32_e32 v24, v24, v5
	v_add_f32_e32 v6, v54, v53
	s_delay_alu instid0(VALU_DEP_4) | instskip(SKIP_3) | instid1(VALU_DEP_4)
	v_add_f32_e32 v51, v58, v56
	v_and_b32_e32 v53, 0xffff0000, v79
	v_and_b32_e32 v54, 0xffff0000, v78
	;; [unrolled: 1-line block ×3, first 2 shown]
	v_dual_add_f32 v5, v6, v51 :: v_dual_and_b32 v58, 0xffff0000, v74
	s_delay_alu instid0(VALU_DEP_3) | instskip(NEXT) | instid1(VALU_DEP_3)
	v_dual_add_f32 v51, v54, v53 :: v_dual_and_b32 v6, 0xffff0000, v83
	v_dual_add_f32 v52, v56, v52 :: v_dual_and_b32 v53, 0xffff0000, v82
	s_delay_alu instid0(VALU_DEP_3) | instskip(SKIP_2) | instid1(VALU_DEP_4)
	v_add_f32_e32 v25, v25, v5
	v_and_b32_e32 v5, 0xffff0000, v84
	v_and_b32_e32 v54, 0xffff0000, v85
	v_dual_add_f32 v6, v53, v6 :: v_dual_add_f32 v51, v51, v52
	v_and_b32_e32 v52, 0xffff0000, v73
	v_and_b32_e32 v53, 0xffff0000, v71
	s_delay_alu instid0(VALU_DEP_4) | instskip(NEXT) | instid1(VALU_DEP_4)
	v_add_f32_e32 v5, v5, v54
	v_add_f32_e32 v6, v51, v6
	v_and_b32_e32 v56, 0xffff0000, v70
	v_dual_add_f32 v52, v57, v52 :: v_dual_and_b32 v51, 0xffff0000, v75
	s_delay_alu instid0(VALU_DEP_2) | instskip(NEXT) | instid1(VALU_DEP_1)
	v_add_f32_e32 v53, v56, v53
	v_dual_add_f32 v51, v58, v51 :: v_dual_add_f32 v52, v53, v52
	v_and_b32_e32 v53, 0xffff0000, v67
	s_delay_alu instid0(VALU_DEP_1) | instskip(SKIP_2) | instid1(VALU_DEP_3)
	v_dual_add_f32 v45, v46, v53 :: v_dual_add_f32 v46, v52, v51
	v_and_b32_e32 v52, 0xffff0000, v68
	v_and_b32_e32 v53, 0xffff0000, v69
	v_dual_add_f32 v44, v44, v45 :: v_dual_and_b32 v45, 0xffff0000, v48
	s_delay_alu instid0(VALU_DEP_1) | instskip(NEXT) | instid1(VALU_DEP_1)
	v_add_f32_e32 v2, v2, v45
	v_add_f32_e32 v1, v1, v2
	;; [unrolled: 1-line block ×3, first 2 shown]
	v_dual_add_f32 v38, v52, v53 :: v_dual_and_b32 v3, 0xffff0000, v50
	s_delay_alu instid0(VALU_DEP_2) | instskip(NEXT) | instid1(VALU_DEP_2)
	v_dual_add_f32 v1, v1, v2 :: v_dual_and_b32 v56, 0xffff0000, v76
	v_dual_add_f32 v2, v4, v3 :: v_dual_add_f32 v3, v6, v5
	s_delay_alu instid0(VALU_DEP_3) | instskip(NEXT) | instid1(VALU_DEP_3)
	v_add_f32_e32 v5, v44, v38
	v_dual_add_f32 v51, v56, v55 :: v_dual_add_f32 v6, v7, v8
	s_delay_alu instid0(VALU_DEP_3) | instskip(NEXT) | instid1(VALU_DEP_3)
	v_dual_add_f32 v1, v1, v2 :: v_dual_add_f32 v26, v26, v3
	v_add_f32_e32 v28, v28, v5
	s_delay_alu instid0(VALU_DEP_3) | instskip(NEXT) | instid1(VALU_DEP_1)
	v_dual_add_f32 v4, v46, v51 :: v_dual_add_f32 v29, v29, v6
	v_dual_add_f32 v18, v18, v1 :: v_dual_add_f32 v27, v27, v4
.LBB166_39:                             ;   in Loop: Header=BB166_40 Depth=1
	s_or_b32 exec_lo, exec_lo, s13
	v_add_nc_u32_e32 v9, 4, v9
	v_add_co_u32 v10, s0, v10, 16
	s_delay_alu instid0(VALU_DEP_1) | instskip(NEXT) | instid1(VALU_DEP_3)
	v_add_co_ci_u32_e64 v11, s0, 0, v11, s0
	v_cmp_le_i32_e32 vcc_lo, s8, v9
	v_add_nc_u32_e32 v15, 64, v15
	v_add_nc_u32_e32 v32, 0x100, v32
	s_or_b32 s3, vcc_lo, s3
	s_delay_alu instid0(SALU_CYCLE_1)
	s_and_not1_b32 exec_lo, exec_lo, s3
	s_cbranch_execz .LBB166_481
.LBB166_40:                             ; =>This Inner Loop Header: Depth=1
	v_sub_nc_u32_e32 v1, 0, v15
	s_delay_alu instid0(VALU_DEP_1) | instskip(NEXT) | instid1(VALU_DEP_1)
	v_max_i32_e32 v1, v15, v1
	v_mul_hi_u32 v2, v1, s25
	s_delay_alu instid0(VALU_DEP_1) | instskip(NEXT) | instid1(VALU_DEP_1)
	v_mul_lo_u32 v3, v2, s21
	v_sub_nc_u32_e32 v1, v1, v3
	v_add_nc_u32_e32 v3, 1, v2
	s_delay_alu instid0(VALU_DEP_2) | instskip(SKIP_1) | instid1(VALU_DEP_2)
	v_subrev_nc_u32_e32 v4, s21, v1
	v_cmp_le_u32_e32 vcc_lo, s21, v1
	v_dual_cndmask_b32 v2, v2, v3 :: v_dual_cndmask_b32 v1, v1, v4
	v_ashrrev_i32_e32 v3, 31, v15
	s_delay_alu instid0(VALU_DEP_2) | instskip(NEXT) | instid1(VALU_DEP_3)
	v_add_nc_u32_e32 v4, 1, v2
	v_cmp_le_u32_e32 vcc_lo, s21, v1
	s_delay_alu instid0(VALU_DEP_3) | instskip(NEXT) | instid1(VALU_DEP_3)
	v_xor_b32_e32 v3, s11, v3
	v_cndmask_b32_e32 v1, v2, v4, vcc_lo
	s_delay_alu instid0(VALU_DEP_1) | instskip(NEXT) | instid1(VALU_DEP_1)
	v_xor_b32_e32 v1, v1, v3
	v_sub_nc_u32_e32 v1, v1, v3
	s_delay_alu instid0(VALU_DEP_1) | instskip(SKIP_1) | instid1(VALU_DEP_2)
	v_add_nc_u32_e32 v2, s36, v1
	v_cmp_lt_i32_e64 s0, s2, v1
	v_sub_nc_u32_e32 v3, 0, v2
	s_delay_alu instid0(VALU_DEP_1) | instskip(NEXT) | instid1(VALU_DEP_1)
	v_max_i32_e32 v3, v2, v3
	v_mul_hi_u32 v4, v3, v37
	s_delay_alu instid0(VALU_DEP_1) | instskip(NEXT) | instid1(VALU_DEP_1)
	v_mul_lo_u32 v4, v4, s9
	v_sub_nc_u32_e32 v3, v3, v4
	s_delay_alu instid0(VALU_DEP_1) | instskip(SKIP_1) | instid1(VALU_DEP_2)
	v_subrev_nc_u32_e32 v4, s9, v3
	v_cmp_le_u32_e32 vcc_lo, s9, v3
	v_cndmask_b32_e32 v3, v3, v4, vcc_lo
	v_ashrrev_i32_e32 v2, 31, v2
	s_delay_alu instid0(VALU_DEP_2) | instskip(SKIP_1) | instid1(VALU_DEP_2)
	v_subrev_nc_u32_e32 v4, s9, v3
	v_cmp_le_u32_e32 vcc_lo, s9, v3
	v_cndmask_b32_e32 v3, v3, v4, vcc_lo
	s_delay_alu instid0(VALU_DEP_1) | instskip(NEXT) | instid1(VALU_DEP_1)
	v_xor_b32_e32 v3, v3, v2
	v_sub_nc_u32_e32 v2, v3, v2
	s_delay_alu instid0(VALU_DEP_1) | instskip(SKIP_1) | instid1(SALU_CYCLE_1)
	v_cmp_eq_u32_e32 vcc_lo, 0, v2
	s_or_b32 s0, vcc_lo, s0
	s_and_saveexec_b32 s13, s0
	s_cbranch_execz .LBB166_39
; %bb.41:                               ;   in Loop: Header=BB166_40 Depth=1
	global_load_b32 v46, v[10:11], off
	ds_load_2addr_b64 v[5:8], v32 offset1:1
	ds_load_2addr_b64 v[1:4], v32 offset0:2 offset1:3
	s_mov_b32 s0, exec_lo
                                        ; implicit-def: $vgpr45
	s_waitcnt lgkmcnt(1)
	v_and_b32_e32 v38, 0x7f800000, v5
	s_delay_alu instid0(VALU_DEP_1)
	v_cmpx_ne_u32_e32 0x7f800000, v38
	s_xor_b32 s0, exec_lo, s0
; %bb.42:                               ;   in Loop: Header=BB166_40 Depth=1
	v_bfe_u32 v38, v5, 16, 1
	s_delay_alu instid0(VALU_DEP_1)
	v_add3_u32 v45, v5, v38, 0x7fff
; %bb.43:                               ;   in Loop: Header=BB166_40 Depth=1
	s_and_not1_saveexec_b32 s0, s0
; %bb.44:                               ;   in Loop: Header=BB166_40 Depth=1
	v_and_b32_e32 v38, 0xffff, v5
	v_or_b32_e32 v39, 0x10000, v5
	s_delay_alu instid0(VALU_DEP_2) | instskip(NEXT) | instid1(VALU_DEP_2)
	v_cmp_eq_u32_e32 vcc_lo, 0, v38
	v_cndmask_b32_e32 v45, v39, v5, vcc_lo
; %bb.45:                               ;   in Loop: Header=BB166_40 Depth=1
	s_or_b32 exec_lo, exec_lo, s0
	v_and_b32_e32 v5, 0x7f800000, v6
	s_mov_b32 s0, exec_lo
                                        ; implicit-def: $vgpr44
	s_delay_alu instid0(VALU_DEP_1)
	v_cmpx_ne_u32_e32 0x7f800000, v5
	s_xor_b32 s0, exec_lo, s0
; %bb.46:                               ;   in Loop: Header=BB166_40 Depth=1
	v_bfe_u32 v5, v6, 16, 1
	s_delay_alu instid0(VALU_DEP_1)
	v_add3_u32 v44, v6, v5, 0x7fff
; %bb.47:                               ;   in Loop: Header=BB166_40 Depth=1
	s_and_not1_saveexec_b32 s0, s0
; %bb.48:                               ;   in Loop: Header=BB166_40 Depth=1
	v_and_b32_e32 v5, 0xffff, v6
	v_or_b32_e32 v38, 0x10000, v6
	s_delay_alu instid0(VALU_DEP_2) | instskip(NEXT) | instid1(VALU_DEP_2)
	v_cmp_eq_u32_e32 vcc_lo, 0, v5
	v_cndmask_b32_e32 v44, v38, v6, vcc_lo
; %bb.49:                               ;   in Loop: Header=BB166_40 Depth=1
	s_or_b32 exec_lo, exec_lo, s0
	v_and_b32_e32 v5, 0x7f800000, v7
	s_mov_b32 s0, exec_lo
                                        ; implicit-def: $vgpr38
	s_delay_alu instid0(VALU_DEP_1)
	v_cmpx_ne_u32_e32 0x7f800000, v5
	s_xor_b32 s0, exec_lo, s0
; %bb.50:                               ;   in Loop: Header=BB166_40 Depth=1
	v_bfe_u32 v5, v7, 16, 1
	s_delay_alu instid0(VALU_DEP_1)
	v_add3_u32 v38, v7, v5, 0x7fff
; %bb.51:                               ;   in Loop: Header=BB166_40 Depth=1
	s_and_not1_saveexec_b32 s0, s0
; %bb.52:                               ;   in Loop: Header=BB166_40 Depth=1
	v_and_b32_e32 v5, 0xffff, v7
	v_or_b32_e32 v6, 0x10000, v7
	s_delay_alu instid0(VALU_DEP_2) | instskip(NEXT) | instid1(VALU_DEP_2)
	v_cmp_eq_u32_e32 vcc_lo, 0, v5
	v_cndmask_b32_e32 v38, v6, v7, vcc_lo
; %bb.53:                               ;   in Loop: Header=BB166_40 Depth=1
	s_or_b32 exec_lo, exec_lo, s0
	v_and_b32_e32 v5, 0x7f800000, v8
	s_mov_b32 s0, exec_lo
                                        ; implicit-def: $vgpr39
	s_delay_alu instid0(VALU_DEP_1)
	v_cmpx_ne_u32_e32 0x7f800000, v5
	s_xor_b32 s0, exec_lo, s0
; %bb.54:                               ;   in Loop: Header=BB166_40 Depth=1
	v_bfe_u32 v5, v8, 16, 1
	s_delay_alu instid0(VALU_DEP_1)
	v_add3_u32 v39, v8, v5, 0x7fff
                                        ; implicit-def: $vgpr5_vgpr6_vgpr7_vgpr8
; %bb.55:                               ;   in Loop: Header=BB166_40 Depth=1
	s_and_not1_saveexec_b32 s0, s0
; %bb.56:                               ;   in Loop: Header=BB166_40 Depth=1
	v_and_b32_e32 v5, 0xffff, v8
	v_or_b32_e32 v6, 0x10000, v8
	s_delay_alu instid0(VALU_DEP_2) | instskip(NEXT) | instid1(VALU_DEP_2)
	v_cmp_eq_u32_e32 vcc_lo, 0, v5
	v_cndmask_b32_e32 v39, v6, v8, vcc_lo
; %bb.57:                               ;   in Loop: Header=BB166_40 Depth=1
	s_or_b32 exec_lo, exec_lo, s0
	s_waitcnt lgkmcnt(0)
	v_and_b32_e32 v5, 0x7f800000, v1
	s_mov_b32 s0, exec_lo
                                        ; implicit-def: $vgpr40
	s_delay_alu instid0(VALU_DEP_1)
	v_cmpx_ne_u32_e32 0x7f800000, v5
	s_xor_b32 s0, exec_lo, s0
; %bb.58:                               ;   in Loop: Header=BB166_40 Depth=1
	v_bfe_u32 v5, v1, 16, 1
	s_delay_alu instid0(VALU_DEP_1)
	v_add3_u32 v40, v1, v5, 0x7fff
; %bb.59:                               ;   in Loop: Header=BB166_40 Depth=1
	s_and_not1_saveexec_b32 s0, s0
; %bb.60:                               ;   in Loop: Header=BB166_40 Depth=1
	v_and_b32_e32 v5, 0xffff, v1
	v_or_b32_e32 v6, 0x10000, v1
	s_delay_alu instid0(VALU_DEP_2) | instskip(NEXT) | instid1(VALU_DEP_2)
	v_cmp_eq_u32_e32 vcc_lo, 0, v5
	v_cndmask_b32_e32 v40, v6, v1, vcc_lo
; %bb.61:                               ;   in Loop: Header=BB166_40 Depth=1
	s_or_b32 exec_lo, exec_lo, s0
	v_and_b32_e32 v1, 0x7f800000, v2
	s_mov_b32 s0, exec_lo
                                        ; implicit-def: $vgpr41
	s_delay_alu instid0(VALU_DEP_1)
	v_cmpx_ne_u32_e32 0x7f800000, v1
	s_xor_b32 s0, exec_lo, s0
; %bb.62:                               ;   in Loop: Header=BB166_40 Depth=1
	v_bfe_u32 v1, v2, 16, 1
	s_delay_alu instid0(VALU_DEP_1)
	v_add3_u32 v41, v2, v1, 0x7fff
; %bb.63:                               ;   in Loop: Header=BB166_40 Depth=1
	s_and_not1_saveexec_b32 s0, s0
; %bb.64:                               ;   in Loop: Header=BB166_40 Depth=1
	v_and_b32_e32 v1, 0xffff, v2
	v_or_b32_e32 v5, 0x10000, v2
	s_delay_alu instid0(VALU_DEP_2) | instskip(NEXT) | instid1(VALU_DEP_2)
	v_cmp_eq_u32_e32 vcc_lo, 0, v1
	v_cndmask_b32_e32 v41, v5, v2, vcc_lo
; %bb.65:                               ;   in Loop: Header=BB166_40 Depth=1
	s_or_b32 exec_lo, exec_lo, s0
	v_and_b32_e32 v1, 0x7f800000, v3
	s_mov_b32 s0, exec_lo
                                        ; implicit-def: $vgpr42
	s_delay_alu instid0(VALU_DEP_1)
	v_cmpx_ne_u32_e32 0x7f800000, v1
	s_xor_b32 s0, exec_lo, s0
; %bb.66:                               ;   in Loop: Header=BB166_40 Depth=1
	v_bfe_u32 v1, v3, 16, 1
	s_delay_alu instid0(VALU_DEP_1)
	v_add3_u32 v42, v3, v1, 0x7fff
; %bb.67:                               ;   in Loop: Header=BB166_40 Depth=1
	s_and_not1_saveexec_b32 s0, s0
; %bb.68:                               ;   in Loop: Header=BB166_40 Depth=1
	v_and_b32_e32 v1, 0xffff, v3
	v_or_b32_e32 v2, 0x10000, v3
	s_delay_alu instid0(VALU_DEP_2) | instskip(NEXT) | instid1(VALU_DEP_2)
	v_cmp_eq_u32_e32 vcc_lo, 0, v1
	v_cndmask_b32_e32 v42, v2, v3, vcc_lo
; %bb.69:                               ;   in Loop: Header=BB166_40 Depth=1
	s_or_b32 exec_lo, exec_lo, s0
	v_and_b32_e32 v1, 0x7f800000, v4
	s_mov_b32 s0, exec_lo
                                        ; implicit-def: $vgpr43
	s_delay_alu instid0(VALU_DEP_1)
	v_cmpx_ne_u32_e32 0x7f800000, v1
	s_xor_b32 s0, exec_lo, s0
; %bb.70:                               ;   in Loop: Header=BB166_40 Depth=1
	v_bfe_u32 v1, v4, 16, 1
	s_delay_alu instid0(VALU_DEP_1)
	v_add3_u32 v43, v4, v1, 0x7fff
                                        ; implicit-def: $vgpr1_vgpr2_vgpr3_vgpr4
; %bb.71:                               ;   in Loop: Header=BB166_40 Depth=1
	s_and_not1_saveexec_b32 s0, s0
; %bb.72:                               ;   in Loop: Header=BB166_40 Depth=1
	v_and_b32_e32 v1, 0xffff, v4
	v_or_b32_e32 v2, 0x10000, v4
	s_delay_alu instid0(VALU_DEP_2) | instskip(NEXT) | instid1(VALU_DEP_2)
	v_cmp_eq_u32_e32 vcc_lo, 0, v1
	v_cndmask_b32_e32 v43, v2, v4, vcc_lo
; %bb.73:                               ;   in Loop: Header=BB166_40 Depth=1
	s_or_b32 exec_lo, exec_lo, s0
	s_waitcnt vmcnt(0)
	v_mad_i64_i32 v[1:2], null, v46, s5, 0
	v_add_nc_u32_e32 v47, v30, v15
	s_delay_alu instid0(VALU_DEP_1) | instskip(NEXT) | instid1(VALU_DEP_3)
	v_add_nc_u32_e32 v54, 1, v47
	v_lshlrev_b64 v[1:2], 1, v[1:2]
	v_add_nc_u32_e32 v53, 2, v47
	v_add_nc_u32_e32 v51, 3, v47
	;; [unrolled: 1-line block ×5, first 2 shown]
	v_add_co_u32 v56, vcc_lo, s6, v1
	v_add_co_ci_u32_e32 v57, vcc_lo, s7, v2, vcc_lo
	v_add_nc_u32_e32 v52, 7, v47
	s_delay_alu instid0(VALU_DEP_3) | instskip(NEXT) | instid1(VALU_DEP_3)
	v_add_co_u32 v5, vcc_lo, v56, v31
	v_add_co_ci_u32_e32 v6, vcc_lo, 0, v57, vcc_lo
	v_cmp_eq_u32_e32 vcc_lo, s10, v9
	global_load_b128 v[1:4], v[5:6], off
	s_waitcnt vmcnt(0)
	v_lshrrev_b32_e32 v8, 16, v1
	v_lshrrev_b32_e32 v62, 16, v2
	;; [unrolled: 1-line block ×4, first 2 shown]
	s_and_saveexec_b32 s16, vcc_lo
	s_cbranch_execz .LBB166_75
; %bb.74:                               ;   in Loop: Header=BB166_40 Depth=1
	v_cmp_gt_i32_e64 s0, s33, v47
	s_delay_alu instid0(VALU_DEP_1) | instskip(SKIP_1) | instid1(VALU_DEP_1)
	v_cndmask_b32_e64 v1, 0, v1, s0
	v_cmp_gt_i32_e64 s0, s33, v54
	v_cndmask_b32_e64 v8, 0, v8, s0
	v_cmp_gt_i32_e64 s0, s33, v53
	s_delay_alu instid0(VALU_DEP_1) | instskip(SKIP_1) | instid1(VALU_DEP_1)
	v_cndmask_b32_e64 v2, 0, v2, s0
	v_cmp_gt_i32_e64 s0, s33, v51
	v_cndmask_b32_e64 v62, 0, v62, s0
	;; [unrolled: 5-line block ×4, first 2 shown]
.LBB166_75:                             ;   in Loop: Header=BB166_40 Depth=1
	s_or_b32 exec_lo, exec_lo, s16
	v_and_b32_e32 v58, 0xffff0000, v45
	v_lshlrev_b32_e32 v1, 16, v1
	s_delay_alu instid0(VALU_DEP_1) | instskip(NEXT) | instid1(VALU_DEP_1)
	v_mul_f32_e32 v1, v58, v1
	v_and_b32_e32 v7, 0x7f800000, v1
	s_delay_alu instid0(VALU_DEP_1) | instskip(NEXT) | instid1(VALU_DEP_1)
	v_cmp_ne_u32_e64 s0, 0x7f800000, v7
                                        ; implicit-def: $vgpr7
	s_and_saveexec_b32 s16, s0
	s_delay_alu instid0(SALU_CYCLE_1)
	s_xor_b32 s0, exec_lo, s16
; %bb.76:                               ;   in Loop: Header=BB166_40 Depth=1
	v_bfe_u32 v7, v1, 16, 1
	s_delay_alu instid0(VALU_DEP_1)
	v_add3_u32 v7, v1, v7, 0x7fff
                                        ; implicit-def: $vgpr1
; %bb.77:                               ;   in Loop: Header=BB166_40 Depth=1
	s_and_not1_saveexec_b32 s16, s0
; %bb.78:                               ;   in Loop: Header=BB166_40 Depth=1
	v_and_b32_e32 v7, 0xffff, v1
	v_or_b32_e32 v45, 0x10000, v1
	s_delay_alu instid0(VALU_DEP_2) | instskip(NEXT) | instid1(VALU_DEP_1)
	v_cmp_eq_u32_e64 s0, 0, v7
	v_cndmask_b32_e64 v7, v45, v1, s0
; %bb.79:                               ;   in Loop: Header=BB166_40 Depth=1
	s_or_b32 exec_lo, exec_lo, s16
	v_and_b32_e32 v59, 0xffff0000, v44
	v_lshlrev_b32_e32 v1, 16, v8
	s_delay_alu instid0(VALU_DEP_1) | instskip(NEXT) | instid1(VALU_DEP_1)
	v_mul_f32_e32 v1, v59, v1
	v_and_b32_e32 v8, 0x7f800000, v1
	s_delay_alu instid0(VALU_DEP_1) | instskip(NEXT) | instid1(VALU_DEP_1)
	v_cmp_ne_u32_e64 s0, 0x7f800000, v8
                                        ; implicit-def: $vgpr8
	s_and_saveexec_b32 s16, s0
	s_delay_alu instid0(SALU_CYCLE_1)
	s_xor_b32 s0, exec_lo, s16
; %bb.80:                               ;   in Loop: Header=BB166_40 Depth=1
	v_bfe_u32 v8, v1, 16, 1
	s_delay_alu instid0(VALU_DEP_1)
	v_add3_u32 v8, v1, v8, 0x7fff
                                        ; implicit-def: $vgpr1
; %bb.81:                               ;   in Loop: Header=BB166_40 Depth=1
	s_and_not1_saveexec_b32 s16, s0
; %bb.82:                               ;   in Loop: Header=BB166_40 Depth=1
	v_and_b32_e32 v8, 0xffff, v1
	v_or_b32_e32 v44, 0x10000, v1
	s_delay_alu instid0(VALU_DEP_2) | instskip(NEXT) | instid1(VALU_DEP_1)
	v_cmp_eq_u32_e64 s0, 0, v8
	v_cndmask_b32_e64 v8, v44, v1, s0
; %bb.83:                               ;   in Loop: Header=BB166_40 Depth=1
	s_or_b32 exec_lo, exec_lo, s16
	v_and_b32_e32 v60, 0xffff0000, v38
	v_lshlrev_b32_e32 v1, 16, v2
                                        ; implicit-def: $vgpr38
	s_delay_alu instid0(VALU_DEP_1) | instskip(NEXT) | instid1(VALU_DEP_1)
	v_mul_f32_e32 v1, v60, v1
	v_and_b32_e32 v2, 0x7f800000, v1
	s_delay_alu instid0(VALU_DEP_1) | instskip(NEXT) | instid1(VALU_DEP_1)
	v_cmp_ne_u32_e64 s0, 0x7f800000, v2
	s_and_saveexec_b32 s16, s0
	s_delay_alu instid0(SALU_CYCLE_1)
	s_xor_b32 s0, exec_lo, s16
; %bb.84:                               ;   in Loop: Header=BB166_40 Depth=1
	v_bfe_u32 v2, v1, 16, 1
	s_delay_alu instid0(VALU_DEP_1)
	v_add3_u32 v38, v1, v2, 0x7fff
                                        ; implicit-def: $vgpr1
; %bb.85:                               ;   in Loop: Header=BB166_40 Depth=1
	s_and_not1_saveexec_b32 s16, s0
; %bb.86:                               ;   in Loop: Header=BB166_40 Depth=1
	v_and_b32_e32 v2, 0xffff, v1
	v_or_b32_e32 v38, 0x10000, v1
	s_delay_alu instid0(VALU_DEP_2) | instskip(NEXT) | instid1(VALU_DEP_1)
	v_cmp_eq_u32_e64 s0, 0, v2
	v_cndmask_b32_e64 v38, v38, v1, s0
; %bb.87:                               ;   in Loop: Header=BB166_40 Depth=1
	s_or_b32 exec_lo, exec_lo, s16
	v_and_b32_e32 v61, 0xffff0000, v39
	v_lshlrev_b32_e32 v1, 16, v62
                                        ; implicit-def: $vgpr39
	s_delay_alu instid0(VALU_DEP_1) | instskip(NEXT) | instid1(VALU_DEP_1)
	v_mul_f32_e32 v1, v61, v1
	v_and_b32_e32 v2, 0x7f800000, v1
	s_delay_alu instid0(VALU_DEP_1) | instskip(NEXT) | instid1(VALU_DEP_1)
	v_cmp_ne_u32_e64 s0, 0x7f800000, v2
	s_and_saveexec_b32 s16, s0
	s_delay_alu instid0(SALU_CYCLE_1)
	s_xor_b32 s0, exec_lo, s16
; %bb.88:                               ;   in Loop: Header=BB166_40 Depth=1
	v_bfe_u32 v2, v1, 16, 1
	s_delay_alu instid0(VALU_DEP_1)
	v_add3_u32 v39, v1, v2, 0x7fff
                                        ; implicit-def: $vgpr1
; %bb.89:                               ;   in Loop: Header=BB166_40 Depth=1
	s_and_not1_saveexec_b32 s16, s0
; %bb.90:                               ;   in Loop: Header=BB166_40 Depth=1
	v_and_b32_e32 v2, 0xffff, v1
	v_or_b32_e32 v39, 0x10000, v1
	s_delay_alu instid0(VALU_DEP_2) | instskip(NEXT) | instid1(VALU_DEP_1)
	v_cmp_eq_u32_e64 s0, 0, v2
	v_cndmask_b32_e64 v39, v39, v1, s0
; %bb.91:                               ;   in Loop: Header=BB166_40 Depth=1
	s_or_b32 exec_lo, exec_lo, s16
	v_and_b32_e32 v62, 0xffff0000, v40
	v_lshlrev_b32_e32 v1, 16, v3
                                        ; implicit-def: $vgpr40
	s_delay_alu instid0(VALU_DEP_1) | instskip(NEXT) | instid1(VALU_DEP_1)
	v_mul_f32_e32 v1, v62, v1
	v_and_b32_e32 v2, 0x7f800000, v1
	s_delay_alu instid0(VALU_DEP_1) | instskip(NEXT) | instid1(VALU_DEP_1)
	v_cmp_ne_u32_e64 s0, 0x7f800000, v2
	s_and_saveexec_b32 s16, s0
	s_delay_alu instid0(SALU_CYCLE_1)
	s_xor_b32 s0, exec_lo, s16
; %bb.92:                               ;   in Loop: Header=BB166_40 Depth=1
	v_bfe_u32 v2, v1, 16, 1
	s_delay_alu instid0(VALU_DEP_1)
	v_add3_u32 v40, v1, v2, 0x7fff
                                        ; implicit-def: $vgpr1
; %bb.93:                               ;   in Loop: Header=BB166_40 Depth=1
	s_and_not1_saveexec_b32 s16, s0
; %bb.94:                               ;   in Loop: Header=BB166_40 Depth=1
	v_and_b32_e32 v2, 0xffff, v1
	v_or_b32_e32 v3, 0x10000, v1
	s_delay_alu instid0(VALU_DEP_2) | instskip(NEXT) | instid1(VALU_DEP_1)
	v_cmp_eq_u32_e64 s0, 0, v2
	v_cndmask_b32_e64 v40, v3, v1, s0
; %bb.95:                               ;   in Loop: Header=BB166_40 Depth=1
	s_or_b32 exec_lo, exec_lo, s16
	v_and_b32_e32 v64, 0xffff0000, v41
	v_lshlrev_b32_e32 v1, 16, v55
                                        ; implicit-def: $vgpr41
	s_delay_alu instid0(VALU_DEP_1) | instskip(NEXT) | instid1(VALU_DEP_1)
	v_mul_f32_e32 v1, v64, v1
	v_and_b32_e32 v2, 0x7f800000, v1
	s_delay_alu instid0(VALU_DEP_1) | instskip(NEXT) | instid1(VALU_DEP_1)
	v_cmp_ne_u32_e64 s0, 0x7f800000, v2
	s_and_saveexec_b32 s16, s0
	s_delay_alu instid0(SALU_CYCLE_1)
	s_xor_b32 s0, exec_lo, s16
; %bb.96:                               ;   in Loop: Header=BB166_40 Depth=1
	v_bfe_u32 v2, v1, 16, 1
	s_delay_alu instid0(VALU_DEP_1)
	v_add3_u32 v41, v1, v2, 0x7fff
                                        ; implicit-def: $vgpr1
; %bb.97:                               ;   in Loop: Header=BB166_40 Depth=1
	s_and_not1_saveexec_b32 s16, s0
; %bb.98:                               ;   in Loop: Header=BB166_40 Depth=1
	v_and_b32_e32 v2, 0xffff, v1
	v_or_b32_e32 v3, 0x10000, v1
	s_delay_alu instid0(VALU_DEP_2) | instskip(NEXT) | instid1(VALU_DEP_1)
	v_cmp_eq_u32_e64 s0, 0, v2
	v_cndmask_b32_e64 v41, v3, v1, s0
; %bb.99:                               ;   in Loop: Header=BB166_40 Depth=1
	s_or_b32 exec_lo, exec_lo, s16
	v_and_b32_e32 v65, 0xffff0000, v42
	v_lshlrev_b32_e32 v1, 16, v4
                                        ; implicit-def: $vgpr42
	s_delay_alu instid0(VALU_DEP_1) | instskip(NEXT) | instid1(VALU_DEP_1)
	v_mul_f32_e32 v1, v65, v1
	v_and_b32_e32 v2, 0x7f800000, v1
	s_delay_alu instid0(VALU_DEP_1) | instskip(NEXT) | instid1(VALU_DEP_1)
	v_cmp_ne_u32_e64 s0, 0x7f800000, v2
	s_and_saveexec_b32 s16, s0
	s_delay_alu instid0(SALU_CYCLE_1)
	s_xor_b32 s0, exec_lo, s16
; %bb.100:                              ;   in Loop: Header=BB166_40 Depth=1
	v_bfe_u32 v2, v1, 16, 1
	s_delay_alu instid0(VALU_DEP_1)
	v_add3_u32 v42, v1, v2, 0x7fff
                                        ; implicit-def: $vgpr1
; %bb.101:                              ;   in Loop: Header=BB166_40 Depth=1
	s_and_not1_saveexec_b32 s16, s0
; %bb.102:                              ;   in Loop: Header=BB166_40 Depth=1
	v_and_b32_e32 v2, 0xffff, v1
	v_or_b32_e32 v3, 0x10000, v1
	s_delay_alu instid0(VALU_DEP_2) | instskip(NEXT) | instid1(VALU_DEP_1)
	v_cmp_eq_u32_e64 s0, 0, v2
	v_cndmask_b32_e64 v42, v3, v1, s0
; %bb.103:                              ;   in Loop: Header=BB166_40 Depth=1
	s_or_b32 exec_lo, exec_lo, s16
	v_and_b32_e32 v66, 0xffff0000, v43
	v_lshlrev_b32_e32 v1, 16, v46
                                        ; implicit-def: $vgpr43
	s_delay_alu instid0(VALU_DEP_1) | instskip(NEXT) | instid1(VALU_DEP_1)
	v_mul_f32_e32 v1, v66, v1
	v_and_b32_e32 v2, 0x7f800000, v1
	s_delay_alu instid0(VALU_DEP_1) | instskip(NEXT) | instid1(VALU_DEP_1)
	v_cmp_ne_u32_e64 s0, 0x7f800000, v2
	s_and_saveexec_b32 s16, s0
	s_delay_alu instid0(SALU_CYCLE_1)
	s_xor_b32 s0, exec_lo, s16
; %bb.104:                              ;   in Loop: Header=BB166_40 Depth=1
	v_bfe_u32 v2, v1, 16, 1
	s_delay_alu instid0(VALU_DEP_1)
	v_add3_u32 v43, v1, v2, 0x7fff
                                        ; implicit-def: $vgpr1
; %bb.105:                              ;   in Loop: Header=BB166_40 Depth=1
	s_and_not1_saveexec_b32 s16, s0
; %bb.106:                              ;   in Loop: Header=BB166_40 Depth=1
	v_and_b32_e32 v2, 0xffff, v1
	v_or_b32_e32 v3, 0x10000, v1
	s_delay_alu instid0(VALU_DEP_2) | instskip(NEXT) | instid1(VALU_DEP_1)
	v_cmp_eq_u32_e64 s0, 0, v2
	v_cndmask_b32_e64 v43, v3, v1, s0
; %bb.107:                              ;   in Loop: Header=BB166_40 Depth=1
	s_or_b32 exec_lo, exec_lo, s16
	global_load_b128 v[1:4], v[5:6], off offset:512
	s_waitcnt vmcnt(0)
	v_lshrrev_b32_e32 v45, 16, v1
	v_lshrrev_b32_e32 v55, 16, v2
	;; [unrolled: 1-line block ×4, first 2 shown]
	s_and_saveexec_b32 s16, vcc_lo
	s_cbranch_execz .LBB166_109
; %bb.108:                              ;   in Loop: Header=BB166_40 Depth=1
	v_cmp_gt_i32_e64 s0, s33, v47
	s_delay_alu instid0(VALU_DEP_1) | instskip(SKIP_1) | instid1(VALU_DEP_1)
	v_cndmask_b32_e64 v1, 0, v1, s0
	v_cmp_gt_i32_e64 s0, s33, v54
	v_cndmask_b32_e64 v45, 0, v45, s0
	v_cmp_gt_i32_e64 s0, s33, v53
	s_delay_alu instid0(VALU_DEP_1) | instskip(SKIP_1) | instid1(VALU_DEP_1)
	v_cndmask_b32_e64 v2, 0, v2, s0
	v_cmp_gt_i32_e64 s0, s33, v51
	v_cndmask_b32_e64 v55, 0, v55, s0
	;; [unrolled: 5-line block ×4, first 2 shown]
.LBB166_109:                            ;   in Loop: Header=BB166_40 Depth=1
	s_or_b32 exec_lo, exec_lo, s16
	v_lshlrev_b32_e32 v1, 16, v1
	s_delay_alu instid0(VALU_DEP_1) | instskip(NEXT) | instid1(VALU_DEP_1)
	v_mul_f32_e32 v1, v58, v1
	v_and_b32_e32 v44, 0x7f800000, v1
	s_delay_alu instid0(VALU_DEP_1) | instskip(NEXT) | instid1(VALU_DEP_1)
	v_cmp_ne_u32_e64 s0, 0x7f800000, v44
                                        ; implicit-def: $vgpr44
	s_and_saveexec_b32 s16, s0
	s_delay_alu instid0(SALU_CYCLE_1)
	s_xor_b32 s0, exec_lo, s16
; %bb.110:                              ;   in Loop: Header=BB166_40 Depth=1
	v_bfe_u32 v44, v1, 16, 1
	s_delay_alu instid0(VALU_DEP_1)
	v_add3_u32 v44, v1, v44, 0x7fff
                                        ; implicit-def: $vgpr1
; %bb.111:                              ;   in Loop: Header=BB166_40 Depth=1
	s_and_not1_saveexec_b32 s16, s0
; %bb.112:                              ;   in Loop: Header=BB166_40 Depth=1
	v_and_b32_e32 v44, 0xffff, v1
	v_or_b32_e32 v46, 0x10000, v1
	s_delay_alu instid0(VALU_DEP_2) | instskip(NEXT) | instid1(VALU_DEP_1)
	v_cmp_eq_u32_e64 s0, 0, v44
	v_cndmask_b32_e64 v44, v46, v1, s0
; %bb.113:                              ;   in Loop: Header=BB166_40 Depth=1
	s_or_b32 exec_lo, exec_lo, s16
	v_lshlrev_b32_e32 v1, 16, v45
	s_delay_alu instid0(VALU_DEP_1) | instskip(NEXT) | instid1(VALU_DEP_1)
	v_mul_f32_e32 v1, v59, v1
	v_and_b32_e32 v45, 0x7f800000, v1
	s_delay_alu instid0(VALU_DEP_1) | instskip(NEXT) | instid1(VALU_DEP_1)
	v_cmp_ne_u32_e64 s0, 0x7f800000, v45
                                        ; implicit-def: $vgpr45
	s_and_saveexec_b32 s16, s0
	s_delay_alu instid0(SALU_CYCLE_1)
	s_xor_b32 s0, exec_lo, s16
; %bb.114:                              ;   in Loop: Header=BB166_40 Depth=1
	v_bfe_u32 v45, v1, 16, 1
	s_delay_alu instid0(VALU_DEP_1)
	v_add3_u32 v45, v1, v45, 0x7fff
                                        ; implicit-def: $vgpr1
; %bb.115:                              ;   in Loop: Header=BB166_40 Depth=1
	s_and_not1_saveexec_b32 s16, s0
; %bb.116:                              ;   in Loop: Header=BB166_40 Depth=1
	v_and_b32_e32 v45, 0xffff, v1
	v_or_b32_e32 v46, 0x10000, v1
	s_delay_alu instid0(VALU_DEP_2) | instskip(NEXT) | instid1(VALU_DEP_1)
	v_cmp_eq_u32_e64 s0, 0, v45
	v_cndmask_b32_e64 v45, v46, v1, s0
; %bb.117:                              ;   in Loop: Header=BB166_40 Depth=1
	s_or_b32 exec_lo, exec_lo, s16
	v_lshlrev_b32_e32 v1, 16, v2
                                        ; implicit-def: $vgpr46
	s_delay_alu instid0(VALU_DEP_1) | instskip(NEXT) | instid1(VALU_DEP_1)
	v_mul_f32_e32 v1, v60, v1
	v_and_b32_e32 v2, 0x7f800000, v1
	s_delay_alu instid0(VALU_DEP_1) | instskip(NEXT) | instid1(VALU_DEP_1)
	v_cmp_ne_u32_e64 s0, 0x7f800000, v2
	s_and_saveexec_b32 s16, s0
	s_delay_alu instid0(SALU_CYCLE_1)
	s_xor_b32 s0, exec_lo, s16
; %bb.118:                              ;   in Loop: Header=BB166_40 Depth=1
	v_bfe_u32 v2, v1, 16, 1
	s_delay_alu instid0(VALU_DEP_1)
	v_add3_u32 v46, v1, v2, 0x7fff
                                        ; implicit-def: $vgpr1
; %bb.119:                              ;   in Loop: Header=BB166_40 Depth=1
	s_and_not1_saveexec_b32 s16, s0
; %bb.120:                              ;   in Loop: Header=BB166_40 Depth=1
	v_and_b32_e32 v2, 0xffff, v1
	v_or_b32_e32 v46, 0x10000, v1
	s_delay_alu instid0(VALU_DEP_2) | instskip(NEXT) | instid1(VALU_DEP_1)
	v_cmp_eq_u32_e64 s0, 0, v2
	v_cndmask_b32_e64 v46, v46, v1, s0
; %bb.121:                              ;   in Loop: Header=BB166_40 Depth=1
	s_or_b32 exec_lo, exec_lo, s16
	v_lshlrev_b32_e32 v1, 16, v55
                                        ; implicit-def: $vgpr55
	s_delay_alu instid0(VALU_DEP_1) | instskip(NEXT) | instid1(VALU_DEP_1)
	v_mul_f32_e32 v1, v61, v1
	v_and_b32_e32 v2, 0x7f800000, v1
	s_delay_alu instid0(VALU_DEP_1) | instskip(NEXT) | instid1(VALU_DEP_1)
	v_cmp_ne_u32_e64 s0, 0x7f800000, v2
	s_and_saveexec_b32 s16, s0
	s_delay_alu instid0(SALU_CYCLE_1)
	s_xor_b32 s0, exec_lo, s16
; %bb.122:                              ;   in Loop: Header=BB166_40 Depth=1
	v_bfe_u32 v2, v1, 16, 1
	s_delay_alu instid0(VALU_DEP_1)
	v_add3_u32 v55, v1, v2, 0x7fff
                                        ; implicit-def: $vgpr1
; %bb.123:                              ;   in Loop: Header=BB166_40 Depth=1
	s_and_not1_saveexec_b32 s16, s0
; %bb.124:                              ;   in Loop: Header=BB166_40 Depth=1
	v_and_b32_e32 v2, 0xffff, v1
	v_or_b32_e32 v55, 0x10000, v1
	s_delay_alu instid0(VALU_DEP_2) | instskip(NEXT) | instid1(VALU_DEP_1)
	v_cmp_eq_u32_e64 s0, 0, v2
	v_cndmask_b32_e64 v55, v55, v1, s0
; %bb.125:                              ;   in Loop: Header=BB166_40 Depth=1
	s_or_b32 exec_lo, exec_lo, s16
	v_lshlrev_b32_e32 v1, 16, v3
                                        ; implicit-def: $vgpr63
	s_delay_alu instid0(VALU_DEP_1) | instskip(NEXT) | instid1(VALU_DEP_1)
	v_mul_f32_e32 v1, v62, v1
	v_and_b32_e32 v2, 0x7f800000, v1
	s_delay_alu instid0(VALU_DEP_1) | instskip(NEXT) | instid1(VALU_DEP_1)
	v_cmp_ne_u32_e64 s0, 0x7f800000, v2
	s_and_saveexec_b32 s16, s0
	s_delay_alu instid0(SALU_CYCLE_1)
	s_xor_b32 s0, exec_lo, s16
; %bb.126:                              ;   in Loop: Header=BB166_40 Depth=1
	v_bfe_u32 v2, v1, 16, 1
	s_delay_alu instid0(VALU_DEP_1)
	v_add3_u32 v63, v1, v2, 0x7fff
                                        ; implicit-def: $vgpr1
; %bb.127:                              ;   in Loop: Header=BB166_40 Depth=1
	s_and_not1_saveexec_b32 s16, s0
; %bb.128:                              ;   in Loop: Header=BB166_40 Depth=1
	v_and_b32_e32 v2, 0xffff, v1
	v_or_b32_e32 v3, 0x10000, v1
	s_delay_alu instid0(VALU_DEP_2) | instskip(NEXT) | instid1(VALU_DEP_1)
	v_cmp_eq_u32_e64 s0, 0, v2
	v_cndmask_b32_e64 v63, v3, v1, s0
; %bb.129:                              ;   in Loop: Header=BB166_40 Depth=1
	s_or_b32 exec_lo, exec_lo, s16
	v_lshlrev_b32_e32 v1, 16, v67
                                        ; implicit-def: $vgpr67
	s_delay_alu instid0(VALU_DEP_1) | instskip(NEXT) | instid1(VALU_DEP_1)
	v_mul_f32_e32 v1, v64, v1
	v_and_b32_e32 v2, 0x7f800000, v1
	s_delay_alu instid0(VALU_DEP_1) | instskip(NEXT) | instid1(VALU_DEP_1)
	v_cmp_ne_u32_e64 s0, 0x7f800000, v2
	s_and_saveexec_b32 s16, s0
	s_delay_alu instid0(SALU_CYCLE_1)
	s_xor_b32 s0, exec_lo, s16
; %bb.130:                              ;   in Loop: Header=BB166_40 Depth=1
	v_bfe_u32 v2, v1, 16, 1
	s_delay_alu instid0(VALU_DEP_1)
	v_add3_u32 v67, v1, v2, 0x7fff
                                        ; implicit-def: $vgpr1
; %bb.131:                              ;   in Loop: Header=BB166_40 Depth=1
	s_and_not1_saveexec_b32 s16, s0
; %bb.132:                              ;   in Loop: Header=BB166_40 Depth=1
	v_and_b32_e32 v2, 0xffff, v1
	v_or_b32_e32 v3, 0x10000, v1
	s_delay_alu instid0(VALU_DEP_2) | instskip(NEXT) | instid1(VALU_DEP_1)
	v_cmp_eq_u32_e64 s0, 0, v2
	v_cndmask_b32_e64 v67, v3, v1, s0
; %bb.133:                              ;   in Loop: Header=BB166_40 Depth=1
	s_or_b32 exec_lo, exec_lo, s16
	v_lshlrev_b32_e32 v1, 16, v4
                                        ; implicit-def: $vgpr68
	s_delay_alu instid0(VALU_DEP_1) | instskip(NEXT) | instid1(VALU_DEP_1)
	v_mul_f32_e32 v1, v65, v1
	v_and_b32_e32 v2, 0x7f800000, v1
	s_delay_alu instid0(VALU_DEP_1) | instskip(NEXT) | instid1(VALU_DEP_1)
	v_cmp_ne_u32_e64 s0, 0x7f800000, v2
	s_and_saveexec_b32 s16, s0
	s_delay_alu instid0(SALU_CYCLE_1)
	s_xor_b32 s0, exec_lo, s16
; %bb.134:                              ;   in Loop: Header=BB166_40 Depth=1
	v_bfe_u32 v2, v1, 16, 1
	s_delay_alu instid0(VALU_DEP_1)
	v_add3_u32 v68, v1, v2, 0x7fff
                                        ; implicit-def: $vgpr1
; %bb.135:                              ;   in Loop: Header=BB166_40 Depth=1
	s_and_not1_saveexec_b32 s16, s0
; %bb.136:                              ;   in Loop: Header=BB166_40 Depth=1
	v_and_b32_e32 v2, 0xffff, v1
	v_or_b32_e32 v3, 0x10000, v1
	s_delay_alu instid0(VALU_DEP_2) | instskip(NEXT) | instid1(VALU_DEP_1)
	v_cmp_eq_u32_e64 s0, 0, v2
	v_cndmask_b32_e64 v68, v3, v1, s0
; %bb.137:                              ;   in Loop: Header=BB166_40 Depth=1
	s_or_b32 exec_lo, exec_lo, s16
	v_lshlrev_b32_e32 v1, 16, v69
                                        ; implicit-def: $vgpr69
	s_delay_alu instid0(VALU_DEP_1) | instskip(NEXT) | instid1(VALU_DEP_1)
	v_mul_f32_e32 v1, v66, v1
	v_and_b32_e32 v2, 0x7f800000, v1
	s_delay_alu instid0(VALU_DEP_1) | instskip(NEXT) | instid1(VALU_DEP_1)
	v_cmp_ne_u32_e64 s0, 0x7f800000, v2
	s_and_saveexec_b32 s16, s0
	s_delay_alu instid0(SALU_CYCLE_1)
	s_xor_b32 s0, exec_lo, s16
; %bb.138:                              ;   in Loop: Header=BB166_40 Depth=1
	v_bfe_u32 v2, v1, 16, 1
	s_delay_alu instid0(VALU_DEP_1)
	v_add3_u32 v69, v1, v2, 0x7fff
                                        ; implicit-def: $vgpr1
; %bb.139:                              ;   in Loop: Header=BB166_40 Depth=1
	s_and_not1_saveexec_b32 s16, s0
; %bb.140:                              ;   in Loop: Header=BB166_40 Depth=1
	v_and_b32_e32 v2, 0xffff, v1
	v_or_b32_e32 v3, 0x10000, v1
	s_delay_alu instid0(VALU_DEP_2) | instskip(NEXT) | instid1(VALU_DEP_1)
	v_cmp_eq_u32_e64 s0, 0, v2
	v_cndmask_b32_e64 v69, v3, v1, s0
; %bb.141:                              ;   in Loop: Header=BB166_40 Depth=1
	s_or_b32 exec_lo, exec_lo, s16
	global_load_b128 v[1:4], v[5:6], off offset:1024
	s_waitcnt vmcnt(0)
	v_lshrrev_b32_e32 v71, 16, v1
	v_lshrrev_b32_e32 v73, 16, v2
	;; [unrolled: 1-line block ×4, first 2 shown]
	s_and_saveexec_b32 s16, vcc_lo
	s_cbranch_execz .LBB166_143
; %bb.142:                              ;   in Loop: Header=BB166_40 Depth=1
	v_cmp_gt_i32_e64 s0, s33, v47
	s_delay_alu instid0(VALU_DEP_1) | instskip(SKIP_1) | instid1(VALU_DEP_1)
	v_cndmask_b32_e64 v1, 0, v1, s0
	v_cmp_gt_i32_e64 s0, s33, v54
	v_cndmask_b32_e64 v71, 0, v71, s0
	v_cmp_gt_i32_e64 s0, s33, v53
	s_delay_alu instid0(VALU_DEP_1) | instskip(SKIP_1) | instid1(VALU_DEP_1)
	v_cndmask_b32_e64 v2, 0, v2, s0
	v_cmp_gt_i32_e64 s0, s33, v51
	v_cndmask_b32_e64 v73, 0, v73, s0
	;; [unrolled: 5-line block ×4, first 2 shown]
.LBB166_143:                            ;   in Loop: Header=BB166_40 Depth=1
	s_or_b32 exec_lo, exec_lo, s16
	v_lshlrev_b32_e32 v1, 16, v1
	s_delay_alu instid0(VALU_DEP_1) | instskip(NEXT) | instid1(VALU_DEP_1)
	v_mul_f32_e32 v1, v58, v1
	v_and_b32_e32 v70, 0x7f800000, v1
	s_delay_alu instid0(VALU_DEP_1) | instskip(NEXT) | instid1(VALU_DEP_1)
	v_cmp_ne_u32_e64 s0, 0x7f800000, v70
                                        ; implicit-def: $vgpr70
	s_and_saveexec_b32 s16, s0
	s_delay_alu instid0(SALU_CYCLE_1)
	s_xor_b32 s0, exec_lo, s16
; %bb.144:                              ;   in Loop: Header=BB166_40 Depth=1
	v_bfe_u32 v70, v1, 16, 1
	s_delay_alu instid0(VALU_DEP_1)
	v_add3_u32 v70, v1, v70, 0x7fff
                                        ; implicit-def: $vgpr1
; %bb.145:                              ;   in Loop: Header=BB166_40 Depth=1
	s_and_not1_saveexec_b32 s16, s0
; %bb.146:                              ;   in Loop: Header=BB166_40 Depth=1
	v_and_b32_e32 v70, 0xffff, v1
	v_or_b32_e32 v72, 0x10000, v1
	s_delay_alu instid0(VALU_DEP_2) | instskip(NEXT) | instid1(VALU_DEP_1)
	v_cmp_eq_u32_e64 s0, 0, v70
	v_cndmask_b32_e64 v70, v72, v1, s0
; %bb.147:                              ;   in Loop: Header=BB166_40 Depth=1
	s_or_b32 exec_lo, exec_lo, s16
	v_lshlrev_b32_e32 v1, 16, v71
	s_delay_alu instid0(VALU_DEP_1) | instskip(NEXT) | instid1(VALU_DEP_1)
	v_mul_f32_e32 v1, v59, v1
	v_and_b32_e32 v71, 0x7f800000, v1
	s_delay_alu instid0(VALU_DEP_1) | instskip(NEXT) | instid1(VALU_DEP_1)
	v_cmp_ne_u32_e64 s0, 0x7f800000, v71
                                        ; implicit-def: $vgpr71
	s_and_saveexec_b32 s16, s0
	s_delay_alu instid0(SALU_CYCLE_1)
	s_xor_b32 s0, exec_lo, s16
; %bb.148:                              ;   in Loop: Header=BB166_40 Depth=1
	v_bfe_u32 v71, v1, 16, 1
	s_delay_alu instid0(VALU_DEP_1)
	v_add3_u32 v71, v1, v71, 0x7fff
                                        ; implicit-def: $vgpr1
; %bb.149:                              ;   in Loop: Header=BB166_40 Depth=1
	s_and_not1_saveexec_b32 s16, s0
; %bb.150:                              ;   in Loop: Header=BB166_40 Depth=1
	v_and_b32_e32 v71, 0xffff, v1
	v_or_b32_e32 v72, 0x10000, v1
	s_delay_alu instid0(VALU_DEP_2) | instskip(NEXT) | instid1(VALU_DEP_1)
	v_cmp_eq_u32_e64 s0, 0, v71
	v_cndmask_b32_e64 v71, v72, v1, s0
; %bb.151:                              ;   in Loop: Header=BB166_40 Depth=1
	s_or_b32 exec_lo, exec_lo, s16
	v_lshlrev_b32_e32 v1, 16, v2
                                        ; implicit-def: $vgpr72
	s_delay_alu instid0(VALU_DEP_1) | instskip(NEXT) | instid1(VALU_DEP_1)
	v_mul_f32_e32 v1, v60, v1
	v_and_b32_e32 v2, 0x7f800000, v1
	s_delay_alu instid0(VALU_DEP_1) | instskip(NEXT) | instid1(VALU_DEP_1)
	v_cmp_ne_u32_e64 s0, 0x7f800000, v2
	s_and_saveexec_b32 s16, s0
	s_delay_alu instid0(SALU_CYCLE_1)
	s_xor_b32 s0, exec_lo, s16
; %bb.152:                              ;   in Loop: Header=BB166_40 Depth=1
	v_bfe_u32 v2, v1, 16, 1
	s_delay_alu instid0(VALU_DEP_1)
	v_add3_u32 v72, v1, v2, 0x7fff
                                        ; implicit-def: $vgpr1
; %bb.153:                              ;   in Loop: Header=BB166_40 Depth=1
	s_and_not1_saveexec_b32 s16, s0
; %bb.154:                              ;   in Loop: Header=BB166_40 Depth=1
	v_and_b32_e32 v2, 0xffff, v1
	v_or_b32_e32 v72, 0x10000, v1
	s_delay_alu instid0(VALU_DEP_2) | instskip(NEXT) | instid1(VALU_DEP_1)
	v_cmp_eq_u32_e64 s0, 0, v2
	v_cndmask_b32_e64 v72, v72, v1, s0
; %bb.155:                              ;   in Loop: Header=BB166_40 Depth=1
	s_or_b32 exec_lo, exec_lo, s16
	v_lshlrev_b32_e32 v1, 16, v73
                                        ; implicit-def: $vgpr73
	s_delay_alu instid0(VALU_DEP_1) | instskip(NEXT) | instid1(VALU_DEP_1)
	v_mul_f32_e32 v1, v61, v1
	v_and_b32_e32 v2, 0x7f800000, v1
	s_delay_alu instid0(VALU_DEP_1) | instskip(NEXT) | instid1(VALU_DEP_1)
	v_cmp_ne_u32_e64 s0, 0x7f800000, v2
	s_and_saveexec_b32 s16, s0
	s_delay_alu instid0(SALU_CYCLE_1)
	s_xor_b32 s0, exec_lo, s16
; %bb.156:                              ;   in Loop: Header=BB166_40 Depth=1
	v_bfe_u32 v2, v1, 16, 1
	s_delay_alu instid0(VALU_DEP_1)
	v_add3_u32 v73, v1, v2, 0x7fff
                                        ; implicit-def: $vgpr1
; %bb.157:                              ;   in Loop: Header=BB166_40 Depth=1
	s_and_not1_saveexec_b32 s16, s0
; %bb.158:                              ;   in Loop: Header=BB166_40 Depth=1
	v_and_b32_e32 v2, 0xffff, v1
	v_or_b32_e32 v73, 0x10000, v1
	s_delay_alu instid0(VALU_DEP_2) | instskip(NEXT) | instid1(VALU_DEP_1)
	v_cmp_eq_u32_e64 s0, 0, v2
	v_cndmask_b32_e64 v73, v73, v1, s0
; %bb.159:                              ;   in Loop: Header=BB166_40 Depth=1
	s_or_b32 exec_lo, exec_lo, s16
	v_lshlrev_b32_e32 v1, 16, v3
                                        ; implicit-def: $vgpr74
	s_delay_alu instid0(VALU_DEP_1) | instskip(NEXT) | instid1(VALU_DEP_1)
	v_mul_f32_e32 v1, v62, v1
	v_and_b32_e32 v2, 0x7f800000, v1
	s_delay_alu instid0(VALU_DEP_1) | instskip(NEXT) | instid1(VALU_DEP_1)
	v_cmp_ne_u32_e64 s0, 0x7f800000, v2
	s_and_saveexec_b32 s16, s0
	s_delay_alu instid0(SALU_CYCLE_1)
	s_xor_b32 s0, exec_lo, s16
; %bb.160:                              ;   in Loop: Header=BB166_40 Depth=1
	v_bfe_u32 v2, v1, 16, 1
	s_delay_alu instid0(VALU_DEP_1)
	v_add3_u32 v74, v1, v2, 0x7fff
                                        ; implicit-def: $vgpr1
; %bb.161:                              ;   in Loop: Header=BB166_40 Depth=1
	s_and_not1_saveexec_b32 s16, s0
; %bb.162:                              ;   in Loop: Header=BB166_40 Depth=1
	v_and_b32_e32 v2, 0xffff, v1
	v_or_b32_e32 v3, 0x10000, v1
	s_delay_alu instid0(VALU_DEP_2) | instskip(NEXT) | instid1(VALU_DEP_1)
	v_cmp_eq_u32_e64 s0, 0, v2
	v_cndmask_b32_e64 v74, v3, v1, s0
; %bb.163:                              ;   in Loop: Header=BB166_40 Depth=1
	s_or_b32 exec_lo, exec_lo, s16
	v_lshlrev_b32_e32 v1, 16, v75
                                        ; implicit-def: $vgpr75
	s_delay_alu instid0(VALU_DEP_1) | instskip(NEXT) | instid1(VALU_DEP_1)
	v_mul_f32_e32 v1, v64, v1
	v_and_b32_e32 v2, 0x7f800000, v1
	s_delay_alu instid0(VALU_DEP_1) | instskip(NEXT) | instid1(VALU_DEP_1)
	v_cmp_ne_u32_e64 s0, 0x7f800000, v2
	s_and_saveexec_b32 s16, s0
	s_delay_alu instid0(SALU_CYCLE_1)
	s_xor_b32 s0, exec_lo, s16
; %bb.164:                              ;   in Loop: Header=BB166_40 Depth=1
	v_bfe_u32 v2, v1, 16, 1
	s_delay_alu instid0(VALU_DEP_1)
	v_add3_u32 v75, v1, v2, 0x7fff
                                        ; implicit-def: $vgpr1
; %bb.165:                              ;   in Loop: Header=BB166_40 Depth=1
	s_and_not1_saveexec_b32 s16, s0
; %bb.166:                              ;   in Loop: Header=BB166_40 Depth=1
	v_and_b32_e32 v2, 0xffff, v1
	v_or_b32_e32 v3, 0x10000, v1
	s_delay_alu instid0(VALU_DEP_2) | instskip(NEXT) | instid1(VALU_DEP_1)
	v_cmp_eq_u32_e64 s0, 0, v2
	v_cndmask_b32_e64 v75, v3, v1, s0
; %bb.167:                              ;   in Loop: Header=BB166_40 Depth=1
	s_or_b32 exec_lo, exec_lo, s16
	v_lshlrev_b32_e32 v1, 16, v4
                                        ; implicit-def: $vgpr76
	s_delay_alu instid0(VALU_DEP_1) | instskip(NEXT) | instid1(VALU_DEP_1)
	v_mul_f32_e32 v1, v65, v1
	v_and_b32_e32 v2, 0x7f800000, v1
	s_delay_alu instid0(VALU_DEP_1) | instskip(NEXT) | instid1(VALU_DEP_1)
	v_cmp_ne_u32_e64 s0, 0x7f800000, v2
	s_and_saveexec_b32 s16, s0
	s_delay_alu instid0(SALU_CYCLE_1)
	s_xor_b32 s0, exec_lo, s16
; %bb.168:                              ;   in Loop: Header=BB166_40 Depth=1
	v_bfe_u32 v2, v1, 16, 1
	s_delay_alu instid0(VALU_DEP_1)
	v_add3_u32 v76, v1, v2, 0x7fff
                                        ; implicit-def: $vgpr1
; %bb.169:                              ;   in Loop: Header=BB166_40 Depth=1
	s_and_not1_saveexec_b32 s16, s0
; %bb.170:                              ;   in Loop: Header=BB166_40 Depth=1
	v_and_b32_e32 v2, 0xffff, v1
	v_or_b32_e32 v3, 0x10000, v1
	s_delay_alu instid0(VALU_DEP_2) | instskip(NEXT) | instid1(VALU_DEP_1)
	v_cmp_eq_u32_e64 s0, 0, v2
	v_cndmask_b32_e64 v76, v3, v1, s0
; %bb.171:                              ;   in Loop: Header=BB166_40 Depth=1
	s_or_b32 exec_lo, exec_lo, s16
	v_lshlrev_b32_e32 v1, 16, v77
                                        ; implicit-def: $vgpr77
	s_delay_alu instid0(VALU_DEP_1) | instskip(NEXT) | instid1(VALU_DEP_1)
	v_mul_f32_e32 v1, v66, v1
	v_and_b32_e32 v2, 0x7f800000, v1
	s_delay_alu instid0(VALU_DEP_1) | instskip(NEXT) | instid1(VALU_DEP_1)
	v_cmp_ne_u32_e64 s0, 0x7f800000, v2
	s_and_saveexec_b32 s16, s0
	s_delay_alu instid0(SALU_CYCLE_1)
	s_xor_b32 s0, exec_lo, s16
; %bb.172:                              ;   in Loop: Header=BB166_40 Depth=1
	v_bfe_u32 v2, v1, 16, 1
	s_delay_alu instid0(VALU_DEP_1)
	v_add3_u32 v77, v1, v2, 0x7fff
                                        ; implicit-def: $vgpr1
; %bb.173:                              ;   in Loop: Header=BB166_40 Depth=1
	s_and_not1_saveexec_b32 s16, s0
; %bb.174:                              ;   in Loop: Header=BB166_40 Depth=1
	v_and_b32_e32 v2, 0xffff, v1
	v_or_b32_e32 v3, 0x10000, v1
	s_delay_alu instid0(VALU_DEP_2) | instskip(NEXT) | instid1(VALU_DEP_1)
	v_cmp_eq_u32_e64 s0, 0, v2
	v_cndmask_b32_e64 v77, v3, v1, s0
; %bb.175:                              ;   in Loop: Header=BB166_40 Depth=1
	s_or_b32 exec_lo, exec_lo, s16
	global_load_b128 v[1:4], v[5:6], off offset:1536
	s_waitcnt vmcnt(0)
	v_lshrrev_b32_e32 v79, 16, v1
	v_lshrrev_b32_e32 v81, 16, v2
	;; [unrolled: 1-line block ×4, first 2 shown]
	s_and_saveexec_b32 s16, vcc_lo
	s_cbranch_execz .LBB166_177
; %bb.176:                              ;   in Loop: Header=BB166_40 Depth=1
	v_cmp_gt_i32_e64 s0, s33, v47
	s_delay_alu instid0(VALU_DEP_1) | instskip(SKIP_1) | instid1(VALU_DEP_1)
	v_cndmask_b32_e64 v1, 0, v1, s0
	v_cmp_gt_i32_e64 s0, s33, v54
	v_cndmask_b32_e64 v79, 0, v79, s0
	v_cmp_gt_i32_e64 s0, s33, v53
	s_delay_alu instid0(VALU_DEP_1) | instskip(SKIP_1) | instid1(VALU_DEP_1)
	v_cndmask_b32_e64 v2, 0, v2, s0
	v_cmp_gt_i32_e64 s0, s33, v51
	v_cndmask_b32_e64 v81, 0, v81, s0
	;; [unrolled: 5-line block ×4, first 2 shown]
.LBB166_177:                            ;   in Loop: Header=BB166_40 Depth=1
	s_or_b32 exec_lo, exec_lo, s16
	v_lshlrev_b32_e32 v1, 16, v1
	s_delay_alu instid0(VALU_DEP_1) | instskip(NEXT) | instid1(VALU_DEP_1)
	v_mul_f32_e32 v1, v58, v1
	v_and_b32_e32 v78, 0x7f800000, v1
	s_delay_alu instid0(VALU_DEP_1) | instskip(NEXT) | instid1(VALU_DEP_1)
	v_cmp_ne_u32_e64 s0, 0x7f800000, v78
                                        ; implicit-def: $vgpr78
	s_and_saveexec_b32 s16, s0
	s_delay_alu instid0(SALU_CYCLE_1)
	s_xor_b32 s0, exec_lo, s16
; %bb.178:                              ;   in Loop: Header=BB166_40 Depth=1
	v_bfe_u32 v78, v1, 16, 1
	s_delay_alu instid0(VALU_DEP_1)
	v_add3_u32 v78, v1, v78, 0x7fff
                                        ; implicit-def: $vgpr1
; %bb.179:                              ;   in Loop: Header=BB166_40 Depth=1
	s_and_not1_saveexec_b32 s16, s0
; %bb.180:                              ;   in Loop: Header=BB166_40 Depth=1
	v_and_b32_e32 v78, 0xffff, v1
	v_or_b32_e32 v80, 0x10000, v1
	s_delay_alu instid0(VALU_DEP_2) | instskip(NEXT) | instid1(VALU_DEP_1)
	v_cmp_eq_u32_e64 s0, 0, v78
	v_cndmask_b32_e64 v78, v80, v1, s0
; %bb.181:                              ;   in Loop: Header=BB166_40 Depth=1
	s_or_b32 exec_lo, exec_lo, s16
	v_lshlrev_b32_e32 v1, 16, v79
	s_delay_alu instid0(VALU_DEP_1) | instskip(NEXT) | instid1(VALU_DEP_1)
	v_mul_f32_e32 v1, v59, v1
	v_and_b32_e32 v79, 0x7f800000, v1
	s_delay_alu instid0(VALU_DEP_1) | instskip(NEXT) | instid1(VALU_DEP_1)
	v_cmp_ne_u32_e64 s0, 0x7f800000, v79
                                        ; implicit-def: $vgpr79
	s_and_saveexec_b32 s16, s0
	s_delay_alu instid0(SALU_CYCLE_1)
	s_xor_b32 s0, exec_lo, s16
; %bb.182:                              ;   in Loop: Header=BB166_40 Depth=1
	v_bfe_u32 v79, v1, 16, 1
	s_delay_alu instid0(VALU_DEP_1)
	v_add3_u32 v79, v1, v79, 0x7fff
                                        ; implicit-def: $vgpr1
; %bb.183:                              ;   in Loop: Header=BB166_40 Depth=1
	s_and_not1_saveexec_b32 s16, s0
; %bb.184:                              ;   in Loop: Header=BB166_40 Depth=1
	v_and_b32_e32 v79, 0xffff, v1
	v_or_b32_e32 v80, 0x10000, v1
	s_delay_alu instid0(VALU_DEP_2) | instskip(NEXT) | instid1(VALU_DEP_1)
	v_cmp_eq_u32_e64 s0, 0, v79
	v_cndmask_b32_e64 v79, v80, v1, s0
; %bb.185:                              ;   in Loop: Header=BB166_40 Depth=1
	s_or_b32 exec_lo, exec_lo, s16
	v_lshlrev_b32_e32 v1, 16, v2
                                        ; implicit-def: $vgpr80
	s_delay_alu instid0(VALU_DEP_1) | instskip(NEXT) | instid1(VALU_DEP_1)
	v_mul_f32_e32 v1, v60, v1
	v_and_b32_e32 v2, 0x7f800000, v1
	s_delay_alu instid0(VALU_DEP_1) | instskip(NEXT) | instid1(VALU_DEP_1)
	v_cmp_ne_u32_e64 s0, 0x7f800000, v2
	s_and_saveexec_b32 s16, s0
	s_delay_alu instid0(SALU_CYCLE_1)
	s_xor_b32 s0, exec_lo, s16
; %bb.186:                              ;   in Loop: Header=BB166_40 Depth=1
	v_bfe_u32 v2, v1, 16, 1
	s_delay_alu instid0(VALU_DEP_1)
	v_add3_u32 v80, v1, v2, 0x7fff
                                        ; implicit-def: $vgpr1
; %bb.187:                              ;   in Loop: Header=BB166_40 Depth=1
	s_and_not1_saveexec_b32 s16, s0
; %bb.188:                              ;   in Loop: Header=BB166_40 Depth=1
	v_and_b32_e32 v2, 0xffff, v1
	v_or_b32_e32 v80, 0x10000, v1
	s_delay_alu instid0(VALU_DEP_2) | instskip(NEXT) | instid1(VALU_DEP_1)
	v_cmp_eq_u32_e64 s0, 0, v2
	v_cndmask_b32_e64 v80, v80, v1, s0
; %bb.189:                              ;   in Loop: Header=BB166_40 Depth=1
	s_or_b32 exec_lo, exec_lo, s16
	v_lshlrev_b32_e32 v1, 16, v81
                                        ; implicit-def: $vgpr81
	s_delay_alu instid0(VALU_DEP_1) | instskip(NEXT) | instid1(VALU_DEP_1)
	v_mul_f32_e32 v1, v61, v1
	v_and_b32_e32 v2, 0x7f800000, v1
	s_delay_alu instid0(VALU_DEP_1) | instskip(NEXT) | instid1(VALU_DEP_1)
	v_cmp_ne_u32_e64 s0, 0x7f800000, v2
	s_and_saveexec_b32 s16, s0
	s_delay_alu instid0(SALU_CYCLE_1)
	s_xor_b32 s0, exec_lo, s16
; %bb.190:                              ;   in Loop: Header=BB166_40 Depth=1
	v_bfe_u32 v2, v1, 16, 1
	s_delay_alu instid0(VALU_DEP_1)
	v_add3_u32 v81, v1, v2, 0x7fff
                                        ; implicit-def: $vgpr1
; %bb.191:                              ;   in Loop: Header=BB166_40 Depth=1
	s_and_not1_saveexec_b32 s16, s0
; %bb.192:                              ;   in Loop: Header=BB166_40 Depth=1
	v_and_b32_e32 v2, 0xffff, v1
	v_or_b32_e32 v81, 0x10000, v1
	s_delay_alu instid0(VALU_DEP_2) | instskip(NEXT) | instid1(VALU_DEP_1)
	v_cmp_eq_u32_e64 s0, 0, v2
	v_cndmask_b32_e64 v81, v81, v1, s0
; %bb.193:                              ;   in Loop: Header=BB166_40 Depth=1
	s_or_b32 exec_lo, exec_lo, s16
	v_lshlrev_b32_e32 v1, 16, v3
                                        ; implicit-def: $vgpr82
	s_delay_alu instid0(VALU_DEP_1) | instskip(NEXT) | instid1(VALU_DEP_1)
	v_mul_f32_e32 v1, v62, v1
	v_and_b32_e32 v2, 0x7f800000, v1
	s_delay_alu instid0(VALU_DEP_1) | instskip(NEXT) | instid1(VALU_DEP_1)
	v_cmp_ne_u32_e64 s0, 0x7f800000, v2
	s_and_saveexec_b32 s16, s0
	s_delay_alu instid0(SALU_CYCLE_1)
	s_xor_b32 s0, exec_lo, s16
; %bb.194:                              ;   in Loop: Header=BB166_40 Depth=1
	v_bfe_u32 v2, v1, 16, 1
	s_delay_alu instid0(VALU_DEP_1)
	v_add3_u32 v82, v1, v2, 0x7fff
                                        ; implicit-def: $vgpr1
; %bb.195:                              ;   in Loop: Header=BB166_40 Depth=1
	s_and_not1_saveexec_b32 s16, s0
; %bb.196:                              ;   in Loop: Header=BB166_40 Depth=1
	v_and_b32_e32 v2, 0xffff, v1
	v_or_b32_e32 v3, 0x10000, v1
	s_delay_alu instid0(VALU_DEP_2) | instskip(NEXT) | instid1(VALU_DEP_1)
	v_cmp_eq_u32_e64 s0, 0, v2
	v_cndmask_b32_e64 v82, v3, v1, s0
; %bb.197:                              ;   in Loop: Header=BB166_40 Depth=1
	s_or_b32 exec_lo, exec_lo, s16
	v_lshlrev_b32_e32 v1, 16, v83
                                        ; implicit-def: $vgpr83
	s_delay_alu instid0(VALU_DEP_1) | instskip(NEXT) | instid1(VALU_DEP_1)
	v_mul_f32_e32 v1, v64, v1
	v_and_b32_e32 v2, 0x7f800000, v1
	s_delay_alu instid0(VALU_DEP_1) | instskip(NEXT) | instid1(VALU_DEP_1)
	v_cmp_ne_u32_e64 s0, 0x7f800000, v2
	s_and_saveexec_b32 s16, s0
	s_delay_alu instid0(SALU_CYCLE_1)
	s_xor_b32 s0, exec_lo, s16
; %bb.198:                              ;   in Loop: Header=BB166_40 Depth=1
	v_bfe_u32 v2, v1, 16, 1
	s_delay_alu instid0(VALU_DEP_1)
	v_add3_u32 v83, v1, v2, 0x7fff
                                        ; implicit-def: $vgpr1
; %bb.199:                              ;   in Loop: Header=BB166_40 Depth=1
	s_and_not1_saveexec_b32 s16, s0
; %bb.200:                              ;   in Loop: Header=BB166_40 Depth=1
	v_and_b32_e32 v2, 0xffff, v1
	v_or_b32_e32 v3, 0x10000, v1
	s_delay_alu instid0(VALU_DEP_2) | instskip(NEXT) | instid1(VALU_DEP_1)
	v_cmp_eq_u32_e64 s0, 0, v2
	v_cndmask_b32_e64 v83, v3, v1, s0
; %bb.201:                              ;   in Loop: Header=BB166_40 Depth=1
	s_or_b32 exec_lo, exec_lo, s16
	v_lshlrev_b32_e32 v1, 16, v4
                                        ; implicit-def: $vgpr84
	s_delay_alu instid0(VALU_DEP_1) | instskip(NEXT) | instid1(VALU_DEP_1)
	v_mul_f32_e32 v1, v65, v1
	v_and_b32_e32 v2, 0x7f800000, v1
	s_delay_alu instid0(VALU_DEP_1) | instskip(NEXT) | instid1(VALU_DEP_1)
	v_cmp_ne_u32_e64 s0, 0x7f800000, v2
	s_and_saveexec_b32 s16, s0
	s_delay_alu instid0(SALU_CYCLE_1)
	s_xor_b32 s0, exec_lo, s16
; %bb.202:                              ;   in Loop: Header=BB166_40 Depth=1
	v_bfe_u32 v2, v1, 16, 1
	s_delay_alu instid0(VALU_DEP_1)
	v_add3_u32 v84, v1, v2, 0x7fff
                                        ; implicit-def: $vgpr1
; %bb.203:                              ;   in Loop: Header=BB166_40 Depth=1
	s_and_not1_saveexec_b32 s16, s0
; %bb.204:                              ;   in Loop: Header=BB166_40 Depth=1
	v_and_b32_e32 v2, 0xffff, v1
	v_or_b32_e32 v3, 0x10000, v1
	s_delay_alu instid0(VALU_DEP_2) | instskip(NEXT) | instid1(VALU_DEP_1)
	v_cmp_eq_u32_e64 s0, 0, v2
	v_cndmask_b32_e64 v84, v3, v1, s0
; %bb.205:                              ;   in Loop: Header=BB166_40 Depth=1
	s_or_b32 exec_lo, exec_lo, s16
	v_lshlrev_b32_e32 v1, 16, v85
                                        ; implicit-def: $vgpr85
	s_delay_alu instid0(VALU_DEP_1) | instskip(NEXT) | instid1(VALU_DEP_1)
	v_mul_f32_e32 v1, v66, v1
	v_and_b32_e32 v2, 0x7f800000, v1
	s_delay_alu instid0(VALU_DEP_1) | instskip(NEXT) | instid1(VALU_DEP_1)
	v_cmp_ne_u32_e64 s0, 0x7f800000, v2
	s_and_saveexec_b32 s16, s0
	s_delay_alu instid0(SALU_CYCLE_1)
	s_xor_b32 s0, exec_lo, s16
; %bb.206:                              ;   in Loop: Header=BB166_40 Depth=1
	v_bfe_u32 v2, v1, 16, 1
	s_delay_alu instid0(VALU_DEP_1)
	v_add3_u32 v85, v1, v2, 0x7fff
                                        ; implicit-def: $vgpr1
; %bb.207:                              ;   in Loop: Header=BB166_40 Depth=1
	s_and_not1_saveexec_b32 s16, s0
; %bb.208:                              ;   in Loop: Header=BB166_40 Depth=1
	v_and_b32_e32 v2, 0xffff, v1
	v_or_b32_e32 v3, 0x10000, v1
	s_delay_alu instid0(VALU_DEP_2) | instskip(NEXT) | instid1(VALU_DEP_1)
	v_cmp_eq_u32_e64 s0, 0, v2
	v_cndmask_b32_e64 v85, v3, v1, s0
; %bb.209:                              ;   in Loop: Header=BB166_40 Depth=1
	s_or_b32 exec_lo, exec_lo, s16
	global_load_b128 v[1:4], v[5:6], off offset:2048
	s_waitcnt vmcnt(0)
	v_lshrrev_b32_e32 v87, 16, v1
	v_lshrrev_b32_e32 v89, 16, v2
	;; [unrolled: 1-line block ×4, first 2 shown]
	s_and_saveexec_b32 s16, vcc_lo
	s_cbranch_execz .LBB166_211
; %bb.210:                              ;   in Loop: Header=BB166_40 Depth=1
	v_cmp_gt_i32_e64 s0, s33, v47
	s_delay_alu instid0(VALU_DEP_1) | instskip(SKIP_1) | instid1(VALU_DEP_1)
	v_cndmask_b32_e64 v1, 0, v1, s0
	v_cmp_gt_i32_e64 s0, s33, v54
	v_cndmask_b32_e64 v87, 0, v87, s0
	v_cmp_gt_i32_e64 s0, s33, v53
	s_delay_alu instid0(VALU_DEP_1) | instskip(SKIP_1) | instid1(VALU_DEP_1)
	v_cndmask_b32_e64 v2, 0, v2, s0
	v_cmp_gt_i32_e64 s0, s33, v51
	v_cndmask_b32_e64 v89, 0, v89, s0
	;; [unrolled: 5-line block ×4, first 2 shown]
.LBB166_211:                            ;   in Loop: Header=BB166_40 Depth=1
	s_or_b32 exec_lo, exec_lo, s16
	v_lshlrev_b32_e32 v1, 16, v1
	s_delay_alu instid0(VALU_DEP_1) | instskip(NEXT) | instid1(VALU_DEP_1)
	v_mul_f32_e32 v1, v58, v1
	v_and_b32_e32 v86, 0x7f800000, v1
	s_delay_alu instid0(VALU_DEP_1) | instskip(NEXT) | instid1(VALU_DEP_1)
	v_cmp_ne_u32_e64 s0, 0x7f800000, v86
                                        ; implicit-def: $vgpr86
	s_and_saveexec_b32 s16, s0
	s_delay_alu instid0(SALU_CYCLE_1)
	s_xor_b32 s0, exec_lo, s16
; %bb.212:                              ;   in Loop: Header=BB166_40 Depth=1
	v_bfe_u32 v86, v1, 16, 1
	s_delay_alu instid0(VALU_DEP_1)
	v_add3_u32 v86, v1, v86, 0x7fff
                                        ; implicit-def: $vgpr1
; %bb.213:                              ;   in Loop: Header=BB166_40 Depth=1
	s_and_not1_saveexec_b32 s16, s0
; %bb.214:                              ;   in Loop: Header=BB166_40 Depth=1
	v_and_b32_e32 v86, 0xffff, v1
	v_or_b32_e32 v88, 0x10000, v1
	s_delay_alu instid0(VALU_DEP_2) | instskip(NEXT) | instid1(VALU_DEP_1)
	v_cmp_eq_u32_e64 s0, 0, v86
	v_cndmask_b32_e64 v86, v88, v1, s0
; %bb.215:                              ;   in Loop: Header=BB166_40 Depth=1
	s_or_b32 exec_lo, exec_lo, s16
	v_lshlrev_b32_e32 v1, 16, v87
	s_delay_alu instid0(VALU_DEP_1) | instskip(NEXT) | instid1(VALU_DEP_1)
	v_mul_f32_e32 v1, v59, v1
	v_and_b32_e32 v87, 0x7f800000, v1
	s_delay_alu instid0(VALU_DEP_1) | instskip(NEXT) | instid1(VALU_DEP_1)
	v_cmp_ne_u32_e64 s0, 0x7f800000, v87
                                        ; implicit-def: $vgpr87
	s_and_saveexec_b32 s16, s0
	s_delay_alu instid0(SALU_CYCLE_1)
	s_xor_b32 s0, exec_lo, s16
; %bb.216:                              ;   in Loop: Header=BB166_40 Depth=1
	v_bfe_u32 v87, v1, 16, 1
	s_delay_alu instid0(VALU_DEP_1)
	v_add3_u32 v87, v1, v87, 0x7fff
                                        ; implicit-def: $vgpr1
; %bb.217:                              ;   in Loop: Header=BB166_40 Depth=1
	s_and_not1_saveexec_b32 s16, s0
; %bb.218:                              ;   in Loop: Header=BB166_40 Depth=1
	v_and_b32_e32 v87, 0xffff, v1
	v_or_b32_e32 v88, 0x10000, v1
	s_delay_alu instid0(VALU_DEP_2) | instskip(NEXT) | instid1(VALU_DEP_1)
	v_cmp_eq_u32_e64 s0, 0, v87
	v_cndmask_b32_e64 v87, v88, v1, s0
; %bb.219:                              ;   in Loop: Header=BB166_40 Depth=1
	s_or_b32 exec_lo, exec_lo, s16
	v_lshlrev_b32_e32 v1, 16, v2
                                        ; implicit-def: $vgpr88
	s_delay_alu instid0(VALU_DEP_1) | instskip(NEXT) | instid1(VALU_DEP_1)
	v_mul_f32_e32 v1, v60, v1
	v_and_b32_e32 v2, 0x7f800000, v1
	s_delay_alu instid0(VALU_DEP_1) | instskip(NEXT) | instid1(VALU_DEP_1)
	v_cmp_ne_u32_e64 s0, 0x7f800000, v2
	s_and_saveexec_b32 s16, s0
	s_delay_alu instid0(SALU_CYCLE_1)
	s_xor_b32 s0, exec_lo, s16
; %bb.220:                              ;   in Loop: Header=BB166_40 Depth=1
	v_bfe_u32 v2, v1, 16, 1
	s_delay_alu instid0(VALU_DEP_1)
	v_add3_u32 v88, v1, v2, 0x7fff
                                        ; implicit-def: $vgpr1
; %bb.221:                              ;   in Loop: Header=BB166_40 Depth=1
	s_and_not1_saveexec_b32 s16, s0
; %bb.222:                              ;   in Loop: Header=BB166_40 Depth=1
	v_and_b32_e32 v2, 0xffff, v1
	v_or_b32_e32 v88, 0x10000, v1
	s_delay_alu instid0(VALU_DEP_2) | instskip(NEXT) | instid1(VALU_DEP_1)
	v_cmp_eq_u32_e64 s0, 0, v2
	v_cndmask_b32_e64 v88, v88, v1, s0
; %bb.223:                              ;   in Loop: Header=BB166_40 Depth=1
	s_or_b32 exec_lo, exec_lo, s16
	v_lshlrev_b32_e32 v1, 16, v89
                                        ; implicit-def: $vgpr89
	s_delay_alu instid0(VALU_DEP_1) | instskip(NEXT) | instid1(VALU_DEP_1)
	v_mul_f32_e32 v1, v61, v1
	v_and_b32_e32 v2, 0x7f800000, v1
	s_delay_alu instid0(VALU_DEP_1) | instskip(NEXT) | instid1(VALU_DEP_1)
	v_cmp_ne_u32_e64 s0, 0x7f800000, v2
	s_and_saveexec_b32 s16, s0
	s_delay_alu instid0(SALU_CYCLE_1)
	s_xor_b32 s0, exec_lo, s16
; %bb.224:                              ;   in Loop: Header=BB166_40 Depth=1
	v_bfe_u32 v2, v1, 16, 1
	s_delay_alu instid0(VALU_DEP_1)
	v_add3_u32 v89, v1, v2, 0x7fff
                                        ; implicit-def: $vgpr1
; %bb.225:                              ;   in Loop: Header=BB166_40 Depth=1
	s_and_not1_saveexec_b32 s16, s0
; %bb.226:                              ;   in Loop: Header=BB166_40 Depth=1
	v_and_b32_e32 v2, 0xffff, v1
	v_or_b32_e32 v89, 0x10000, v1
	s_delay_alu instid0(VALU_DEP_2) | instskip(NEXT) | instid1(VALU_DEP_1)
	v_cmp_eq_u32_e64 s0, 0, v2
	v_cndmask_b32_e64 v89, v89, v1, s0
; %bb.227:                              ;   in Loop: Header=BB166_40 Depth=1
	s_or_b32 exec_lo, exec_lo, s16
	v_lshlrev_b32_e32 v1, 16, v3
                                        ; implicit-def: $vgpr90
	s_delay_alu instid0(VALU_DEP_1) | instskip(NEXT) | instid1(VALU_DEP_1)
	v_mul_f32_e32 v1, v62, v1
	v_and_b32_e32 v2, 0x7f800000, v1
	s_delay_alu instid0(VALU_DEP_1) | instskip(NEXT) | instid1(VALU_DEP_1)
	v_cmp_ne_u32_e64 s0, 0x7f800000, v2
	s_and_saveexec_b32 s16, s0
	s_delay_alu instid0(SALU_CYCLE_1)
	s_xor_b32 s0, exec_lo, s16
; %bb.228:                              ;   in Loop: Header=BB166_40 Depth=1
	v_bfe_u32 v2, v1, 16, 1
	s_delay_alu instid0(VALU_DEP_1)
	v_add3_u32 v90, v1, v2, 0x7fff
                                        ; implicit-def: $vgpr1
; %bb.229:                              ;   in Loop: Header=BB166_40 Depth=1
	s_and_not1_saveexec_b32 s16, s0
; %bb.230:                              ;   in Loop: Header=BB166_40 Depth=1
	v_and_b32_e32 v2, 0xffff, v1
	v_or_b32_e32 v3, 0x10000, v1
	s_delay_alu instid0(VALU_DEP_2) | instskip(NEXT) | instid1(VALU_DEP_1)
	v_cmp_eq_u32_e64 s0, 0, v2
	v_cndmask_b32_e64 v90, v3, v1, s0
; %bb.231:                              ;   in Loop: Header=BB166_40 Depth=1
	s_or_b32 exec_lo, exec_lo, s16
	v_lshlrev_b32_e32 v1, 16, v91
                                        ; implicit-def: $vgpr91
	s_delay_alu instid0(VALU_DEP_1) | instskip(NEXT) | instid1(VALU_DEP_1)
	v_mul_f32_e32 v1, v64, v1
	v_and_b32_e32 v2, 0x7f800000, v1
	s_delay_alu instid0(VALU_DEP_1) | instskip(NEXT) | instid1(VALU_DEP_1)
	v_cmp_ne_u32_e64 s0, 0x7f800000, v2
	s_and_saveexec_b32 s16, s0
	s_delay_alu instid0(SALU_CYCLE_1)
	s_xor_b32 s0, exec_lo, s16
; %bb.232:                              ;   in Loop: Header=BB166_40 Depth=1
	v_bfe_u32 v2, v1, 16, 1
	s_delay_alu instid0(VALU_DEP_1)
	v_add3_u32 v91, v1, v2, 0x7fff
                                        ; implicit-def: $vgpr1
; %bb.233:                              ;   in Loop: Header=BB166_40 Depth=1
	s_and_not1_saveexec_b32 s16, s0
; %bb.234:                              ;   in Loop: Header=BB166_40 Depth=1
	v_and_b32_e32 v2, 0xffff, v1
	v_or_b32_e32 v3, 0x10000, v1
	s_delay_alu instid0(VALU_DEP_2) | instskip(NEXT) | instid1(VALU_DEP_1)
	v_cmp_eq_u32_e64 s0, 0, v2
	v_cndmask_b32_e64 v91, v3, v1, s0
; %bb.235:                              ;   in Loop: Header=BB166_40 Depth=1
	s_or_b32 exec_lo, exec_lo, s16
	v_lshlrev_b32_e32 v1, 16, v4
                                        ; implicit-def: $vgpr92
	s_delay_alu instid0(VALU_DEP_1) | instskip(NEXT) | instid1(VALU_DEP_1)
	v_mul_f32_e32 v1, v65, v1
	v_and_b32_e32 v2, 0x7f800000, v1
	s_delay_alu instid0(VALU_DEP_1) | instskip(NEXT) | instid1(VALU_DEP_1)
	v_cmp_ne_u32_e64 s0, 0x7f800000, v2
	s_and_saveexec_b32 s16, s0
	s_delay_alu instid0(SALU_CYCLE_1)
	s_xor_b32 s0, exec_lo, s16
; %bb.236:                              ;   in Loop: Header=BB166_40 Depth=1
	v_bfe_u32 v2, v1, 16, 1
	s_delay_alu instid0(VALU_DEP_1)
	v_add3_u32 v92, v1, v2, 0x7fff
                                        ; implicit-def: $vgpr1
; %bb.237:                              ;   in Loop: Header=BB166_40 Depth=1
	s_and_not1_saveexec_b32 s16, s0
; %bb.238:                              ;   in Loop: Header=BB166_40 Depth=1
	v_and_b32_e32 v2, 0xffff, v1
	v_or_b32_e32 v3, 0x10000, v1
	s_delay_alu instid0(VALU_DEP_2) | instskip(NEXT) | instid1(VALU_DEP_1)
	v_cmp_eq_u32_e64 s0, 0, v2
	v_cndmask_b32_e64 v92, v3, v1, s0
; %bb.239:                              ;   in Loop: Header=BB166_40 Depth=1
	s_or_b32 exec_lo, exec_lo, s16
	v_lshlrev_b32_e32 v1, 16, v93
                                        ; implicit-def: $vgpr93
	s_delay_alu instid0(VALU_DEP_1) | instskip(NEXT) | instid1(VALU_DEP_1)
	v_mul_f32_e32 v1, v66, v1
	v_and_b32_e32 v2, 0x7f800000, v1
	s_delay_alu instid0(VALU_DEP_1) | instskip(NEXT) | instid1(VALU_DEP_1)
	v_cmp_ne_u32_e64 s0, 0x7f800000, v2
	s_and_saveexec_b32 s16, s0
	s_delay_alu instid0(SALU_CYCLE_1)
	s_xor_b32 s0, exec_lo, s16
; %bb.240:                              ;   in Loop: Header=BB166_40 Depth=1
	v_bfe_u32 v2, v1, 16, 1
	s_delay_alu instid0(VALU_DEP_1)
	v_add3_u32 v93, v1, v2, 0x7fff
                                        ; implicit-def: $vgpr1
; %bb.241:                              ;   in Loop: Header=BB166_40 Depth=1
	s_and_not1_saveexec_b32 s16, s0
; %bb.242:                              ;   in Loop: Header=BB166_40 Depth=1
	v_and_b32_e32 v2, 0xffff, v1
	v_or_b32_e32 v3, 0x10000, v1
	s_delay_alu instid0(VALU_DEP_2) | instskip(NEXT) | instid1(VALU_DEP_1)
	v_cmp_eq_u32_e64 s0, 0, v2
	v_cndmask_b32_e64 v93, v3, v1, s0
; %bb.243:                              ;   in Loop: Header=BB166_40 Depth=1
	s_or_b32 exec_lo, exec_lo, s16
	global_load_b128 v[1:4], v[5:6], off offset:2560
	s_waitcnt vmcnt(0)
	v_lshrrev_b32_e32 v95, 16, v1
	v_lshrrev_b32_e32 v97, 16, v2
	;; [unrolled: 1-line block ×4, first 2 shown]
	s_and_saveexec_b32 s16, vcc_lo
	s_cbranch_execz .LBB166_245
; %bb.244:                              ;   in Loop: Header=BB166_40 Depth=1
	v_cmp_gt_i32_e64 s0, s33, v47
	s_delay_alu instid0(VALU_DEP_1) | instskip(SKIP_1) | instid1(VALU_DEP_1)
	v_cndmask_b32_e64 v1, 0, v1, s0
	v_cmp_gt_i32_e64 s0, s33, v54
	v_cndmask_b32_e64 v95, 0, v95, s0
	v_cmp_gt_i32_e64 s0, s33, v53
	s_delay_alu instid0(VALU_DEP_1) | instskip(SKIP_1) | instid1(VALU_DEP_1)
	v_cndmask_b32_e64 v2, 0, v2, s0
	v_cmp_gt_i32_e64 s0, s33, v51
	v_cndmask_b32_e64 v97, 0, v97, s0
	;; [unrolled: 5-line block ×4, first 2 shown]
.LBB166_245:                            ;   in Loop: Header=BB166_40 Depth=1
	s_or_b32 exec_lo, exec_lo, s16
	v_lshlrev_b32_e32 v1, 16, v1
	s_delay_alu instid0(VALU_DEP_1) | instskip(NEXT) | instid1(VALU_DEP_1)
	v_mul_f32_e32 v1, v58, v1
	v_and_b32_e32 v94, 0x7f800000, v1
	s_delay_alu instid0(VALU_DEP_1) | instskip(NEXT) | instid1(VALU_DEP_1)
	v_cmp_ne_u32_e64 s0, 0x7f800000, v94
                                        ; implicit-def: $vgpr94
	s_and_saveexec_b32 s16, s0
	s_delay_alu instid0(SALU_CYCLE_1)
	s_xor_b32 s0, exec_lo, s16
; %bb.246:                              ;   in Loop: Header=BB166_40 Depth=1
	v_bfe_u32 v94, v1, 16, 1
	s_delay_alu instid0(VALU_DEP_1)
	v_add3_u32 v94, v1, v94, 0x7fff
                                        ; implicit-def: $vgpr1
; %bb.247:                              ;   in Loop: Header=BB166_40 Depth=1
	s_and_not1_saveexec_b32 s16, s0
; %bb.248:                              ;   in Loop: Header=BB166_40 Depth=1
	v_and_b32_e32 v94, 0xffff, v1
	v_or_b32_e32 v96, 0x10000, v1
	s_delay_alu instid0(VALU_DEP_2) | instskip(NEXT) | instid1(VALU_DEP_1)
	v_cmp_eq_u32_e64 s0, 0, v94
	v_cndmask_b32_e64 v94, v96, v1, s0
; %bb.249:                              ;   in Loop: Header=BB166_40 Depth=1
	s_or_b32 exec_lo, exec_lo, s16
	v_lshlrev_b32_e32 v1, 16, v95
	s_delay_alu instid0(VALU_DEP_1) | instskip(NEXT) | instid1(VALU_DEP_1)
	v_mul_f32_e32 v1, v59, v1
	v_and_b32_e32 v95, 0x7f800000, v1
	s_delay_alu instid0(VALU_DEP_1) | instskip(NEXT) | instid1(VALU_DEP_1)
	v_cmp_ne_u32_e64 s0, 0x7f800000, v95
                                        ; implicit-def: $vgpr95
	s_and_saveexec_b32 s16, s0
	s_delay_alu instid0(SALU_CYCLE_1)
	s_xor_b32 s0, exec_lo, s16
; %bb.250:                              ;   in Loop: Header=BB166_40 Depth=1
	v_bfe_u32 v95, v1, 16, 1
	s_delay_alu instid0(VALU_DEP_1)
	v_add3_u32 v95, v1, v95, 0x7fff
                                        ; implicit-def: $vgpr1
; %bb.251:                              ;   in Loop: Header=BB166_40 Depth=1
	s_and_not1_saveexec_b32 s16, s0
; %bb.252:                              ;   in Loop: Header=BB166_40 Depth=1
	v_and_b32_e32 v95, 0xffff, v1
	v_or_b32_e32 v96, 0x10000, v1
	s_delay_alu instid0(VALU_DEP_2) | instskip(NEXT) | instid1(VALU_DEP_1)
	v_cmp_eq_u32_e64 s0, 0, v95
	v_cndmask_b32_e64 v95, v96, v1, s0
; %bb.253:                              ;   in Loop: Header=BB166_40 Depth=1
	s_or_b32 exec_lo, exec_lo, s16
	v_lshlrev_b32_e32 v1, 16, v2
                                        ; implicit-def: $vgpr96
	s_delay_alu instid0(VALU_DEP_1) | instskip(NEXT) | instid1(VALU_DEP_1)
	v_mul_f32_e32 v1, v60, v1
	v_and_b32_e32 v2, 0x7f800000, v1
	s_delay_alu instid0(VALU_DEP_1) | instskip(NEXT) | instid1(VALU_DEP_1)
	v_cmp_ne_u32_e64 s0, 0x7f800000, v2
	s_and_saveexec_b32 s16, s0
	s_delay_alu instid0(SALU_CYCLE_1)
	s_xor_b32 s0, exec_lo, s16
; %bb.254:                              ;   in Loop: Header=BB166_40 Depth=1
	v_bfe_u32 v2, v1, 16, 1
	s_delay_alu instid0(VALU_DEP_1)
	v_add3_u32 v96, v1, v2, 0x7fff
                                        ; implicit-def: $vgpr1
; %bb.255:                              ;   in Loop: Header=BB166_40 Depth=1
	s_and_not1_saveexec_b32 s16, s0
; %bb.256:                              ;   in Loop: Header=BB166_40 Depth=1
	v_and_b32_e32 v2, 0xffff, v1
	v_or_b32_e32 v96, 0x10000, v1
	s_delay_alu instid0(VALU_DEP_2) | instskip(NEXT) | instid1(VALU_DEP_1)
	v_cmp_eq_u32_e64 s0, 0, v2
	v_cndmask_b32_e64 v96, v96, v1, s0
; %bb.257:                              ;   in Loop: Header=BB166_40 Depth=1
	s_or_b32 exec_lo, exec_lo, s16
	v_lshlrev_b32_e32 v1, 16, v97
                                        ; implicit-def: $vgpr97
	s_delay_alu instid0(VALU_DEP_1) | instskip(NEXT) | instid1(VALU_DEP_1)
	v_mul_f32_e32 v1, v61, v1
	v_and_b32_e32 v2, 0x7f800000, v1
	s_delay_alu instid0(VALU_DEP_1) | instskip(NEXT) | instid1(VALU_DEP_1)
	v_cmp_ne_u32_e64 s0, 0x7f800000, v2
	s_and_saveexec_b32 s16, s0
	s_delay_alu instid0(SALU_CYCLE_1)
	s_xor_b32 s0, exec_lo, s16
; %bb.258:                              ;   in Loop: Header=BB166_40 Depth=1
	v_bfe_u32 v2, v1, 16, 1
	s_delay_alu instid0(VALU_DEP_1)
	v_add3_u32 v97, v1, v2, 0x7fff
                                        ; implicit-def: $vgpr1
; %bb.259:                              ;   in Loop: Header=BB166_40 Depth=1
	s_and_not1_saveexec_b32 s16, s0
; %bb.260:                              ;   in Loop: Header=BB166_40 Depth=1
	v_and_b32_e32 v2, 0xffff, v1
	v_or_b32_e32 v97, 0x10000, v1
	s_delay_alu instid0(VALU_DEP_2) | instskip(NEXT) | instid1(VALU_DEP_1)
	v_cmp_eq_u32_e64 s0, 0, v2
	v_cndmask_b32_e64 v97, v97, v1, s0
; %bb.261:                              ;   in Loop: Header=BB166_40 Depth=1
	s_or_b32 exec_lo, exec_lo, s16
	v_lshlrev_b32_e32 v1, 16, v3
                                        ; implicit-def: $vgpr98
	s_delay_alu instid0(VALU_DEP_1) | instskip(NEXT) | instid1(VALU_DEP_1)
	v_mul_f32_e32 v1, v62, v1
	v_and_b32_e32 v2, 0x7f800000, v1
	s_delay_alu instid0(VALU_DEP_1) | instskip(NEXT) | instid1(VALU_DEP_1)
	v_cmp_ne_u32_e64 s0, 0x7f800000, v2
	s_and_saveexec_b32 s16, s0
	s_delay_alu instid0(SALU_CYCLE_1)
	s_xor_b32 s0, exec_lo, s16
; %bb.262:                              ;   in Loop: Header=BB166_40 Depth=1
	v_bfe_u32 v2, v1, 16, 1
	s_delay_alu instid0(VALU_DEP_1)
	v_add3_u32 v98, v1, v2, 0x7fff
                                        ; implicit-def: $vgpr1
; %bb.263:                              ;   in Loop: Header=BB166_40 Depth=1
	s_and_not1_saveexec_b32 s16, s0
; %bb.264:                              ;   in Loop: Header=BB166_40 Depth=1
	v_and_b32_e32 v2, 0xffff, v1
	v_or_b32_e32 v3, 0x10000, v1
	s_delay_alu instid0(VALU_DEP_2) | instskip(NEXT) | instid1(VALU_DEP_1)
	v_cmp_eq_u32_e64 s0, 0, v2
	v_cndmask_b32_e64 v98, v3, v1, s0
; %bb.265:                              ;   in Loop: Header=BB166_40 Depth=1
	s_or_b32 exec_lo, exec_lo, s16
	v_lshlrev_b32_e32 v1, 16, v99
                                        ; implicit-def: $vgpr99
	s_delay_alu instid0(VALU_DEP_1) | instskip(NEXT) | instid1(VALU_DEP_1)
	v_mul_f32_e32 v1, v64, v1
	v_and_b32_e32 v2, 0x7f800000, v1
	s_delay_alu instid0(VALU_DEP_1) | instskip(NEXT) | instid1(VALU_DEP_1)
	v_cmp_ne_u32_e64 s0, 0x7f800000, v2
	s_and_saveexec_b32 s16, s0
	s_delay_alu instid0(SALU_CYCLE_1)
	s_xor_b32 s0, exec_lo, s16
; %bb.266:                              ;   in Loop: Header=BB166_40 Depth=1
	v_bfe_u32 v2, v1, 16, 1
	s_delay_alu instid0(VALU_DEP_1)
	v_add3_u32 v99, v1, v2, 0x7fff
                                        ; implicit-def: $vgpr1
; %bb.267:                              ;   in Loop: Header=BB166_40 Depth=1
	s_and_not1_saveexec_b32 s16, s0
; %bb.268:                              ;   in Loop: Header=BB166_40 Depth=1
	v_and_b32_e32 v2, 0xffff, v1
	v_or_b32_e32 v3, 0x10000, v1
	s_delay_alu instid0(VALU_DEP_2) | instskip(NEXT) | instid1(VALU_DEP_1)
	v_cmp_eq_u32_e64 s0, 0, v2
	v_cndmask_b32_e64 v99, v3, v1, s0
; %bb.269:                              ;   in Loop: Header=BB166_40 Depth=1
	s_or_b32 exec_lo, exec_lo, s16
	v_lshlrev_b32_e32 v1, 16, v4
                                        ; implicit-def: $vgpr100
	s_delay_alu instid0(VALU_DEP_1) | instskip(NEXT) | instid1(VALU_DEP_1)
	v_mul_f32_e32 v1, v65, v1
	v_and_b32_e32 v2, 0x7f800000, v1
	s_delay_alu instid0(VALU_DEP_1) | instskip(NEXT) | instid1(VALU_DEP_1)
	v_cmp_ne_u32_e64 s0, 0x7f800000, v2
	s_and_saveexec_b32 s16, s0
	s_delay_alu instid0(SALU_CYCLE_1)
	s_xor_b32 s0, exec_lo, s16
; %bb.270:                              ;   in Loop: Header=BB166_40 Depth=1
	v_bfe_u32 v2, v1, 16, 1
	s_delay_alu instid0(VALU_DEP_1)
	v_add3_u32 v100, v1, v2, 0x7fff
                                        ; implicit-def: $vgpr1
; %bb.271:                              ;   in Loop: Header=BB166_40 Depth=1
	s_and_not1_saveexec_b32 s16, s0
; %bb.272:                              ;   in Loop: Header=BB166_40 Depth=1
	v_and_b32_e32 v2, 0xffff, v1
	v_or_b32_e32 v3, 0x10000, v1
	s_delay_alu instid0(VALU_DEP_2) | instskip(NEXT) | instid1(VALU_DEP_1)
	v_cmp_eq_u32_e64 s0, 0, v2
	v_cndmask_b32_e64 v100, v3, v1, s0
; %bb.273:                              ;   in Loop: Header=BB166_40 Depth=1
	s_or_b32 exec_lo, exec_lo, s16
	v_lshlrev_b32_e32 v1, 16, v101
                                        ; implicit-def: $vgpr101
	s_delay_alu instid0(VALU_DEP_1) | instskip(NEXT) | instid1(VALU_DEP_1)
	v_mul_f32_e32 v1, v66, v1
	v_and_b32_e32 v2, 0x7f800000, v1
	s_delay_alu instid0(VALU_DEP_1) | instskip(NEXT) | instid1(VALU_DEP_1)
	v_cmp_ne_u32_e64 s0, 0x7f800000, v2
	s_and_saveexec_b32 s16, s0
	s_delay_alu instid0(SALU_CYCLE_1)
	s_xor_b32 s0, exec_lo, s16
; %bb.274:                              ;   in Loop: Header=BB166_40 Depth=1
	v_bfe_u32 v2, v1, 16, 1
	s_delay_alu instid0(VALU_DEP_1)
	v_add3_u32 v101, v1, v2, 0x7fff
                                        ; implicit-def: $vgpr1
; %bb.275:                              ;   in Loop: Header=BB166_40 Depth=1
	s_and_not1_saveexec_b32 s16, s0
; %bb.276:                              ;   in Loop: Header=BB166_40 Depth=1
	v_and_b32_e32 v2, 0xffff, v1
	v_or_b32_e32 v3, 0x10000, v1
	s_delay_alu instid0(VALU_DEP_2) | instskip(NEXT) | instid1(VALU_DEP_1)
	v_cmp_eq_u32_e64 s0, 0, v2
	v_cndmask_b32_e64 v101, v3, v1, s0
; %bb.277:                              ;   in Loop: Header=BB166_40 Depth=1
	s_or_b32 exec_lo, exec_lo, s16
	global_load_b128 v[1:4], v[5:6], off offset:3072
	s_waitcnt vmcnt(0)
	v_lshrrev_b32_e32 v103, 16, v1
	v_lshrrev_b32_e32 v105, 16, v2
	;; [unrolled: 1-line block ×4, first 2 shown]
	s_and_saveexec_b32 s16, vcc_lo
	s_cbranch_execz .LBB166_279
; %bb.278:                              ;   in Loop: Header=BB166_40 Depth=1
	v_cmp_gt_i32_e64 s0, s33, v47
	s_delay_alu instid0(VALU_DEP_1) | instskip(SKIP_1) | instid1(VALU_DEP_1)
	v_cndmask_b32_e64 v1, 0, v1, s0
	v_cmp_gt_i32_e64 s0, s33, v54
	v_cndmask_b32_e64 v103, 0, v103, s0
	v_cmp_gt_i32_e64 s0, s33, v53
	s_delay_alu instid0(VALU_DEP_1) | instskip(SKIP_1) | instid1(VALU_DEP_1)
	v_cndmask_b32_e64 v2, 0, v2, s0
	v_cmp_gt_i32_e64 s0, s33, v51
	v_cndmask_b32_e64 v105, 0, v105, s0
	;; [unrolled: 5-line block ×4, first 2 shown]
.LBB166_279:                            ;   in Loop: Header=BB166_40 Depth=1
	s_or_b32 exec_lo, exec_lo, s16
	v_lshlrev_b32_e32 v1, 16, v1
	s_delay_alu instid0(VALU_DEP_1) | instskip(NEXT) | instid1(VALU_DEP_1)
	v_mul_f32_e32 v1, v58, v1
	v_and_b32_e32 v102, 0x7f800000, v1
	s_delay_alu instid0(VALU_DEP_1) | instskip(NEXT) | instid1(VALU_DEP_1)
	v_cmp_ne_u32_e64 s0, 0x7f800000, v102
                                        ; implicit-def: $vgpr102
	s_and_saveexec_b32 s16, s0
	s_delay_alu instid0(SALU_CYCLE_1)
	s_xor_b32 s0, exec_lo, s16
; %bb.280:                              ;   in Loop: Header=BB166_40 Depth=1
	v_bfe_u32 v102, v1, 16, 1
	s_delay_alu instid0(VALU_DEP_1)
	v_add3_u32 v102, v1, v102, 0x7fff
                                        ; implicit-def: $vgpr1
; %bb.281:                              ;   in Loop: Header=BB166_40 Depth=1
	s_and_not1_saveexec_b32 s16, s0
; %bb.282:                              ;   in Loop: Header=BB166_40 Depth=1
	v_and_b32_e32 v102, 0xffff, v1
	v_or_b32_e32 v104, 0x10000, v1
	s_delay_alu instid0(VALU_DEP_2) | instskip(NEXT) | instid1(VALU_DEP_1)
	v_cmp_eq_u32_e64 s0, 0, v102
	v_cndmask_b32_e64 v102, v104, v1, s0
; %bb.283:                              ;   in Loop: Header=BB166_40 Depth=1
	s_or_b32 exec_lo, exec_lo, s16
	v_lshlrev_b32_e32 v1, 16, v103
	s_delay_alu instid0(VALU_DEP_1) | instskip(NEXT) | instid1(VALU_DEP_1)
	v_mul_f32_e32 v1, v59, v1
	v_and_b32_e32 v103, 0x7f800000, v1
	s_delay_alu instid0(VALU_DEP_1) | instskip(NEXT) | instid1(VALU_DEP_1)
	v_cmp_ne_u32_e64 s0, 0x7f800000, v103
                                        ; implicit-def: $vgpr103
	s_and_saveexec_b32 s16, s0
	s_delay_alu instid0(SALU_CYCLE_1)
	s_xor_b32 s0, exec_lo, s16
; %bb.284:                              ;   in Loop: Header=BB166_40 Depth=1
	v_bfe_u32 v103, v1, 16, 1
	s_delay_alu instid0(VALU_DEP_1)
	v_add3_u32 v103, v1, v103, 0x7fff
                                        ; implicit-def: $vgpr1
; %bb.285:                              ;   in Loop: Header=BB166_40 Depth=1
	s_and_not1_saveexec_b32 s16, s0
; %bb.286:                              ;   in Loop: Header=BB166_40 Depth=1
	v_and_b32_e32 v103, 0xffff, v1
	v_or_b32_e32 v104, 0x10000, v1
	s_delay_alu instid0(VALU_DEP_2) | instskip(NEXT) | instid1(VALU_DEP_1)
	v_cmp_eq_u32_e64 s0, 0, v103
	v_cndmask_b32_e64 v103, v104, v1, s0
; %bb.287:                              ;   in Loop: Header=BB166_40 Depth=1
	s_or_b32 exec_lo, exec_lo, s16
	v_lshlrev_b32_e32 v1, 16, v2
                                        ; implicit-def: $vgpr104
	s_delay_alu instid0(VALU_DEP_1) | instskip(NEXT) | instid1(VALU_DEP_1)
	v_mul_f32_e32 v1, v60, v1
	v_and_b32_e32 v2, 0x7f800000, v1
	s_delay_alu instid0(VALU_DEP_1) | instskip(NEXT) | instid1(VALU_DEP_1)
	v_cmp_ne_u32_e64 s0, 0x7f800000, v2
	s_and_saveexec_b32 s16, s0
	s_delay_alu instid0(SALU_CYCLE_1)
	s_xor_b32 s0, exec_lo, s16
; %bb.288:                              ;   in Loop: Header=BB166_40 Depth=1
	v_bfe_u32 v2, v1, 16, 1
	s_delay_alu instid0(VALU_DEP_1)
	v_add3_u32 v104, v1, v2, 0x7fff
                                        ; implicit-def: $vgpr1
; %bb.289:                              ;   in Loop: Header=BB166_40 Depth=1
	s_and_not1_saveexec_b32 s16, s0
; %bb.290:                              ;   in Loop: Header=BB166_40 Depth=1
	v_and_b32_e32 v2, 0xffff, v1
	v_or_b32_e32 v104, 0x10000, v1
	s_delay_alu instid0(VALU_DEP_2) | instskip(NEXT) | instid1(VALU_DEP_1)
	v_cmp_eq_u32_e64 s0, 0, v2
	v_cndmask_b32_e64 v104, v104, v1, s0
; %bb.291:                              ;   in Loop: Header=BB166_40 Depth=1
	s_or_b32 exec_lo, exec_lo, s16
	v_lshlrev_b32_e32 v1, 16, v105
                                        ; implicit-def: $vgpr105
	s_delay_alu instid0(VALU_DEP_1) | instskip(NEXT) | instid1(VALU_DEP_1)
	v_mul_f32_e32 v1, v61, v1
	v_and_b32_e32 v2, 0x7f800000, v1
	s_delay_alu instid0(VALU_DEP_1) | instskip(NEXT) | instid1(VALU_DEP_1)
	v_cmp_ne_u32_e64 s0, 0x7f800000, v2
	s_and_saveexec_b32 s16, s0
	s_delay_alu instid0(SALU_CYCLE_1)
	s_xor_b32 s0, exec_lo, s16
; %bb.292:                              ;   in Loop: Header=BB166_40 Depth=1
	v_bfe_u32 v2, v1, 16, 1
	s_delay_alu instid0(VALU_DEP_1)
	v_add3_u32 v105, v1, v2, 0x7fff
                                        ; implicit-def: $vgpr1
; %bb.293:                              ;   in Loop: Header=BB166_40 Depth=1
	s_and_not1_saveexec_b32 s16, s0
; %bb.294:                              ;   in Loop: Header=BB166_40 Depth=1
	v_and_b32_e32 v2, 0xffff, v1
	v_or_b32_e32 v105, 0x10000, v1
	s_delay_alu instid0(VALU_DEP_2) | instskip(NEXT) | instid1(VALU_DEP_1)
	v_cmp_eq_u32_e64 s0, 0, v2
	v_cndmask_b32_e64 v105, v105, v1, s0
; %bb.295:                              ;   in Loop: Header=BB166_40 Depth=1
	s_or_b32 exec_lo, exec_lo, s16
	v_lshlrev_b32_e32 v1, 16, v3
                                        ; implicit-def: $vgpr106
	s_delay_alu instid0(VALU_DEP_1) | instskip(NEXT) | instid1(VALU_DEP_1)
	v_mul_f32_e32 v1, v62, v1
	v_and_b32_e32 v2, 0x7f800000, v1
	s_delay_alu instid0(VALU_DEP_1) | instskip(NEXT) | instid1(VALU_DEP_1)
	v_cmp_ne_u32_e64 s0, 0x7f800000, v2
	s_and_saveexec_b32 s16, s0
	s_delay_alu instid0(SALU_CYCLE_1)
	s_xor_b32 s0, exec_lo, s16
; %bb.296:                              ;   in Loop: Header=BB166_40 Depth=1
	v_bfe_u32 v2, v1, 16, 1
	s_delay_alu instid0(VALU_DEP_1)
	v_add3_u32 v106, v1, v2, 0x7fff
                                        ; implicit-def: $vgpr1
; %bb.297:                              ;   in Loop: Header=BB166_40 Depth=1
	s_and_not1_saveexec_b32 s16, s0
; %bb.298:                              ;   in Loop: Header=BB166_40 Depth=1
	v_and_b32_e32 v2, 0xffff, v1
	v_or_b32_e32 v3, 0x10000, v1
	s_delay_alu instid0(VALU_DEP_2) | instskip(NEXT) | instid1(VALU_DEP_1)
	v_cmp_eq_u32_e64 s0, 0, v2
	v_cndmask_b32_e64 v106, v3, v1, s0
; %bb.299:                              ;   in Loop: Header=BB166_40 Depth=1
	s_or_b32 exec_lo, exec_lo, s16
	v_lshlrev_b32_e32 v1, 16, v107
                                        ; implicit-def: $vgpr107
	s_delay_alu instid0(VALU_DEP_1) | instskip(NEXT) | instid1(VALU_DEP_1)
	v_mul_f32_e32 v1, v64, v1
	v_and_b32_e32 v2, 0x7f800000, v1
	s_delay_alu instid0(VALU_DEP_1) | instskip(NEXT) | instid1(VALU_DEP_1)
	v_cmp_ne_u32_e64 s0, 0x7f800000, v2
	s_and_saveexec_b32 s16, s0
	s_delay_alu instid0(SALU_CYCLE_1)
	s_xor_b32 s0, exec_lo, s16
; %bb.300:                              ;   in Loop: Header=BB166_40 Depth=1
	v_bfe_u32 v2, v1, 16, 1
	s_delay_alu instid0(VALU_DEP_1)
	v_add3_u32 v107, v1, v2, 0x7fff
                                        ; implicit-def: $vgpr1
; %bb.301:                              ;   in Loop: Header=BB166_40 Depth=1
	s_and_not1_saveexec_b32 s16, s0
; %bb.302:                              ;   in Loop: Header=BB166_40 Depth=1
	v_and_b32_e32 v2, 0xffff, v1
	v_or_b32_e32 v3, 0x10000, v1
	s_delay_alu instid0(VALU_DEP_2) | instskip(NEXT) | instid1(VALU_DEP_1)
	v_cmp_eq_u32_e64 s0, 0, v2
	v_cndmask_b32_e64 v107, v3, v1, s0
; %bb.303:                              ;   in Loop: Header=BB166_40 Depth=1
	s_or_b32 exec_lo, exec_lo, s16
	v_lshlrev_b32_e32 v1, 16, v4
                                        ; implicit-def: $vgpr108
	s_delay_alu instid0(VALU_DEP_1) | instskip(NEXT) | instid1(VALU_DEP_1)
	v_mul_f32_e32 v1, v65, v1
	v_and_b32_e32 v2, 0x7f800000, v1
	s_delay_alu instid0(VALU_DEP_1) | instskip(NEXT) | instid1(VALU_DEP_1)
	v_cmp_ne_u32_e64 s0, 0x7f800000, v2
	s_and_saveexec_b32 s16, s0
	s_delay_alu instid0(SALU_CYCLE_1)
	s_xor_b32 s0, exec_lo, s16
; %bb.304:                              ;   in Loop: Header=BB166_40 Depth=1
	v_bfe_u32 v2, v1, 16, 1
	s_delay_alu instid0(VALU_DEP_1)
	v_add3_u32 v108, v1, v2, 0x7fff
                                        ; implicit-def: $vgpr1
; %bb.305:                              ;   in Loop: Header=BB166_40 Depth=1
	s_and_not1_saveexec_b32 s16, s0
; %bb.306:                              ;   in Loop: Header=BB166_40 Depth=1
	v_and_b32_e32 v2, 0xffff, v1
	v_or_b32_e32 v3, 0x10000, v1
	s_delay_alu instid0(VALU_DEP_2) | instskip(NEXT) | instid1(VALU_DEP_1)
	v_cmp_eq_u32_e64 s0, 0, v2
	v_cndmask_b32_e64 v108, v3, v1, s0
; %bb.307:                              ;   in Loop: Header=BB166_40 Depth=1
	s_or_b32 exec_lo, exec_lo, s16
	v_lshlrev_b32_e32 v1, 16, v109
                                        ; implicit-def: $vgpr109
	s_delay_alu instid0(VALU_DEP_1) | instskip(NEXT) | instid1(VALU_DEP_1)
	v_mul_f32_e32 v1, v66, v1
	v_and_b32_e32 v2, 0x7f800000, v1
	s_delay_alu instid0(VALU_DEP_1) | instskip(NEXT) | instid1(VALU_DEP_1)
	v_cmp_ne_u32_e64 s0, 0x7f800000, v2
	s_and_saveexec_b32 s16, s0
	s_delay_alu instid0(SALU_CYCLE_1)
	s_xor_b32 s0, exec_lo, s16
; %bb.308:                              ;   in Loop: Header=BB166_40 Depth=1
	v_bfe_u32 v2, v1, 16, 1
	s_delay_alu instid0(VALU_DEP_1)
	v_add3_u32 v109, v1, v2, 0x7fff
                                        ; implicit-def: $vgpr1
; %bb.309:                              ;   in Loop: Header=BB166_40 Depth=1
	s_and_not1_saveexec_b32 s16, s0
; %bb.310:                              ;   in Loop: Header=BB166_40 Depth=1
	v_and_b32_e32 v2, 0xffff, v1
	v_or_b32_e32 v3, 0x10000, v1
	s_delay_alu instid0(VALU_DEP_2) | instskip(NEXT) | instid1(VALU_DEP_1)
	v_cmp_eq_u32_e64 s0, 0, v2
	v_cndmask_b32_e64 v109, v3, v1, s0
; %bb.311:                              ;   in Loop: Header=BB166_40 Depth=1
	s_or_b32 exec_lo, exec_lo, s16
	global_load_b128 v[1:4], v[5:6], off offset:3584
	s_waitcnt vmcnt(0)
	v_lshrrev_b32_e32 v6, 16, v1
	v_lshrrev_b32_e32 v111, 16, v2
	;; [unrolled: 1-line block ×4, first 2 shown]
	s_and_saveexec_b32 s16, vcc_lo
	s_cbranch_execz .LBB166_313
; %bb.312:                              ;   in Loop: Header=BB166_40 Depth=1
	v_cmp_gt_i32_e64 s0, s33, v47
	s_delay_alu instid0(VALU_DEP_1) | instskip(SKIP_1) | instid1(VALU_DEP_1)
	v_cndmask_b32_e64 v1, 0, v1, s0
	v_cmp_gt_i32_e64 s0, s33, v54
	v_cndmask_b32_e64 v6, 0, v6, s0
	v_cmp_gt_i32_e64 s0, s33, v53
	s_delay_alu instid0(VALU_DEP_1) | instskip(SKIP_1) | instid1(VALU_DEP_1)
	v_cndmask_b32_e64 v2, 0, v2, s0
	v_cmp_gt_i32_e64 s0, s33, v51
	v_cndmask_b32_e64 v111, 0, v111, s0
	;; [unrolled: 5-line block ×4, first 2 shown]
.LBB166_313:                            ;   in Loop: Header=BB166_40 Depth=1
	s_or_b32 exec_lo, exec_lo, s16
	v_lshlrev_b32_e32 v1, 16, v1
	s_delay_alu instid0(VALU_DEP_1) | instskip(NEXT) | instid1(VALU_DEP_1)
	v_mul_f32_e32 v1, v58, v1
	v_and_b32_e32 v5, 0x7f800000, v1
	s_delay_alu instid0(VALU_DEP_1) | instskip(NEXT) | instid1(VALU_DEP_1)
	v_cmp_ne_u32_e64 s0, 0x7f800000, v5
                                        ; implicit-def: $vgpr5
	s_and_saveexec_b32 s16, s0
	s_delay_alu instid0(SALU_CYCLE_1)
	s_xor_b32 s0, exec_lo, s16
; %bb.314:                              ;   in Loop: Header=BB166_40 Depth=1
	v_bfe_u32 v5, v1, 16, 1
	s_delay_alu instid0(VALU_DEP_1)
	v_add3_u32 v5, v1, v5, 0x7fff
                                        ; implicit-def: $vgpr1
; %bb.315:                              ;   in Loop: Header=BB166_40 Depth=1
	s_and_not1_saveexec_b32 s16, s0
; %bb.316:                              ;   in Loop: Header=BB166_40 Depth=1
	v_and_b32_e32 v5, 0xffff, v1
	v_or_b32_e32 v110, 0x10000, v1
	s_delay_alu instid0(VALU_DEP_2) | instskip(NEXT) | instid1(VALU_DEP_1)
	v_cmp_eq_u32_e64 s0, 0, v5
	v_cndmask_b32_e64 v5, v110, v1, s0
; %bb.317:                              ;   in Loop: Header=BB166_40 Depth=1
	s_or_b32 exec_lo, exec_lo, s16
	v_lshlrev_b32_e32 v1, 16, v6
	s_delay_alu instid0(VALU_DEP_1) | instskip(NEXT) | instid1(VALU_DEP_1)
	v_mul_f32_e32 v1, v59, v1
	v_and_b32_e32 v6, 0x7f800000, v1
	s_delay_alu instid0(VALU_DEP_1) | instskip(NEXT) | instid1(VALU_DEP_1)
	v_cmp_ne_u32_e64 s0, 0x7f800000, v6
                                        ; implicit-def: $vgpr6
	s_and_saveexec_b32 s16, s0
	s_delay_alu instid0(SALU_CYCLE_1)
	s_xor_b32 s0, exec_lo, s16
; %bb.318:                              ;   in Loop: Header=BB166_40 Depth=1
	v_bfe_u32 v6, v1, 16, 1
	s_delay_alu instid0(VALU_DEP_1)
	v_add3_u32 v6, v1, v6, 0x7fff
                                        ; implicit-def: $vgpr1
; %bb.319:                              ;   in Loop: Header=BB166_40 Depth=1
	s_and_not1_saveexec_b32 s16, s0
; %bb.320:                              ;   in Loop: Header=BB166_40 Depth=1
	v_and_b32_e32 v6, 0xffff, v1
	v_or_b32_e32 v110, 0x10000, v1
	s_delay_alu instid0(VALU_DEP_2) | instskip(NEXT) | instid1(VALU_DEP_1)
	v_cmp_eq_u32_e64 s0, 0, v6
	v_cndmask_b32_e64 v6, v110, v1, s0
; %bb.321:                              ;   in Loop: Header=BB166_40 Depth=1
	s_or_b32 exec_lo, exec_lo, s16
	v_lshlrev_b32_e32 v1, 16, v2
                                        ; implicit-def: $vgpr110
	s_delay_alu instid0(VALU_DEP_1) | instskip(NEXT) | instid1(VALU_DEP_1)
	v_mul_f32_e32 v1, v60, v1
	v_and_b32_e32 v2, 0x7f800000, v1
	s_delay_alu instid0(VALU_DEP_1) | instskip(NEXT) | instid1(VALU_DEP_1)
	v_cmp_ne_u32_e64 s0, 0x7f800000, v2
	s_and_saveexec_b32 s16, s0
	s_delay_alu instid0(SALU_CYCLE_1)
	s_xor_b32 s0, exec_lo, s16
; %bb.322:                              ;   in Loop: Header=BB166_40 Depth=1
	v_bfe_u32 v2, v1, 16, 1
	s_delay_alu instid0(VALU_DEP_1)
	v_add3_u32 v110, v1, v2, 0x7fff
                                        ; implicit-def: $vgpr1
; %bb.323:                              ;   in Loop: Header=BB166_40 Depth=1
	s_and_not1_saveexec_b32 s16, s0
; %bb.324:                              ;   in Loop: Header=BB166_40 Depth=1
	v_and_b32_e32 v2, 0xffff, v1
	v_or_b32_e32 v110, 0x10000, v1
	s_delay_alu instid0(VALU_DEP_2) | instskip(NEXT) | instid1(VALU_DEP_1)
	v_cmp_eq_u32_e64 s0, 0, v2
	v_cndmask_b32_e64 v110, v110, v1, s0
; %bb.325:                              ;   in Loop: Header=BB166_40 Depth=1
	s_or_b32 exec_lo, exec_lo, s16
	v_lshlrev_b32_e32 v1, 16, v111
                                        ; implicit-def: $vgpr111
	s_delay_alu instid0(VALU_DEP_1) | instskip(NEXT) | instid1(VALU_DEP_1)
	v_mul_f32_e32 v1, v61, v1
	v_and_b32_e32 v2, 0x7f800000, v1
	s_delay_alu instid0(VALU_DEP_1) | instskip(NEXT) | instid1(VALU_DEP_1)
	v_cmp_ne_u32_e64 s0, 0x7f800000, v2
	s_and_saveexec_b32 s16, s0
	s_delay_alu instid0(SALU_CYCLE_1)
	s_xor_b32 s0, exec_lo, s16
; %bb.326:                              ;   in Loop: Header=BB166_40 Depth=1
	v_bfe_u32 v2, v1, 16, 1
	s_delay_alu instid0(VALU_DEP_1)
	v_add3_u32 v111, v1, v2, 0x7fff
                                        ; implicit-def: $vgpr1
; %bb.327:                              ;   in Loop: Header=BB166_40 Depth=1
	s_and_not1_saveexec_b32 s16, s0
; %bb.328:                              ;   in Loop: Header=BB166_40 Depth=1
	v_and_b32_e32 v2, 0xffff, v1
	v_or_b32_e32 v111, 0x10000, v1
	s_delay_alu instid0(VALU_DEP_2) | instskip(NEXT) | instid1(VALU_DEP_1)
	v_cmp_eq_u32_e64 s0, 0, v2
	v_cndmask_b32_e64 v111, v111, v1, s0
; %bb.329:                              ;   in Loop: Header=BB166_40 Depth=1
	s_or_b32 exec_lo, exec_lo, s16
	v_lshlrev_b32_e32 v1, 16, v3
                                        ; implicit-def: $vgpr112
	s_delay_alu instid0(VALU_DEP_1) | instskip(NEXT) | instid1(VALU_DEP_1)
	v_mul_f32_e32 v1, v62, v1
	v_and_b32_e32 v2, 0x7f800000, v1
	s_delay_alu instid0(VALU_DEP_1) | instskip(NEXT) | instid1(VALU_DEP_1)
	v_cmp_ne_u32_e64 s0, 0x7f800000, v2
	s_and_saveexec_b32 s16, s0
	s_delay_alu instid0(SALU_CYCLE_1)
	s_xor_b32 s0, exec_lo, s16
; %bb.330:                              ;   in Loop: Header=BB166_40 Depth=1
	v_bfe_u32 v2, v1, 16, 1
	s_delay_alu instid0(VALU_DEP_1)
	v_add3_u32 v112, v1, v2, 0x7fff
                                        ; implicit-def: $vgpr1
; %bb.331:                              ;   in Loop: Header=BB166_40 Depth=1
	s_and_not1_saveexec_b32 s16, s0
; %bb.332:                              ;   in Loop: Header=BB166_40 Depth=1
	v_and_b32_e32 v2, 0xffff, v1
	v_or_b32_e32 v3, 0x10000, v1
	s_delay_alu instid0(VALU_DEP_2) | instskip(NEXT) | instid1(VALU_DEP_1)
	v_cmp_eq_u32_e64 s0, 0, v2
	v_cndmask_b32_e64 v112, v3, v1, s0
; %bb.333:                              ;   in Loop: Header=BB166_40 Depth=1
	s_or_b32 exec_lo, exec_lo, s16
	v_lshlrev_b32_e32 v1, 16, v113
                                        ; implicit-def: $vgpr113
	s_delay_alu instid0(VALU_DEP_1) | instskip(NEXT) | instid1(VALU_DEP_1)
	v_mul_f32_e32 v1, v64, v1
	v_and_b32_e32 v2, 0x7f800000, v1
	s_delay_alu instid0(VALU_DEP_1) | instskip(NEXT) | instid1(VALU_DEP_1)
	v_cmp_ne_u32_e64 s0, 0x7f800000, v2
	s_and_saveexec_b32 s16, s0
	s_delay_alu instid0(SALU_CYCLE_1)
	s_xor_b32 s0, exec_lo, s16
; %bb.334:                              ;   in Loop: Header=BB166_40 Depth=1
	v_bfe_u32 v2, v1, 16, 1
	s_delay_alu instid0(VALU_DEP_1)
	v_add3_u32 v113, v1, v2, 0x7fff
                                        ; implicit-def: $vgpr1
; %bb.335:                              ;   in Loop: Header=BB166_40 Depth=1
	s_and_not1_saveexec_b32 s16, s0
; %bb.336:                              ;   in Loop: Header=BB166_40 Depth=1
	v_and_b32_e32 v2, 0xffff, v1
	v_or_b32_e32 v3, 0x10000, v1
	s_delay_alu instid0(VALU_DEP_2) | instskip(NEXT) | instid1(VALU_DEP_1)
	v_cmp_eq_u32_e64 s0, 0, v2
	v_cndmask_b32_e64 v113, v3, v1, s0
; %bb.337:                              ;   in Loop: Header=BB166_40 Depth=1
	s_or_b32 exec_lo, exec_lo, s16
	v_lshlrev_b32_e32 v1, 16, v4
                                        ; implicit-def: $vgpr114
	s_delay_alu instid0(VALU_DEP_1) | instskip(NEXT) | instid1(VALU_DEP_1)
	v_mul_f32_e32 v1, v65, v1
	v_and_b32_e32 v2, 0x7f800000, v1
	s_delay_alu instid0(VALU_DEP_1) | instskip(NEXT) | instid1(VALU_DEP_1)
	v_cmp_ne_u32_e64 s0, 0x7f800000, v2
	s_and_saveexec_b32 s16, s0
	s_delay_alu instid0(SALU_CYCLE_1)
	s_xor_b32 s0, exec_lo, s16
; %bb.338:                              ;   in Loop: Header=BB166_40 Depth=1
	v_bfe_u32 v2, v1, 16, 1
	s_delay_alu instid0(VALU_DEP_1)
	v_add3_u32 v114, v1, v2, 0x7fff
                                        ; implicit-def: $vgpr1
; %bb.339:                              ;   in Loop: Header=BB166_40 Depth=1
	s_and_not1_saveexec_b32 s16, s0
; %bb.340:                              ;   in Loop: Header=BB166_40 Depth=1
	v_and_b32_e32 v2, 0xffff, v1
	v_or_b32_e32 v3, 0x10000, v1
	s_delay_alu instid0(VALU_DEP_2) | instskip(NEXT) | instid1(VALU_DEP_1)
	v_cmp_eq_u32_e64 s0, 0, v2
	v_cndmask_b32_e64 v114, v3, v1, s0
; %bb.341:                              ;   in Loop: Header=BB166_40 Depth=1
	s_or_b32 exec_lo, exec_lo, s16
	v_lshlrev_b32_e32 v1, 16, v115
                                        ; implicit-def: $vgpr115
	s_delay_alu instid0(VALU_DEP_1) | instskip(NEXT) | instid1(VALU_DEP_1)
	v_mul_f32_e32 v1, v66, v1
	v_and_b32_e32 v2, 0x7f800000, v1
	s_delay_alu instid0(VALU_DEP_1) | instskip(NEXT) | instid1(VALU_DEP_1)
	v_cmp_ne_u32_e64 s0, 0x7f800000, v2
	s_and_saveexec_b32 s16, s0
	s_delay_alu instid0(SALU_CYCLE_1)
	s_xor_b32 s0, exec_lo, s16
; %bb.342:                              ;   in Loop: Header=BB166_40 Depth=1
	v_bfe_u32 v2, v1, 16, 1
	s_delay_alu instid0(VALU_DEP_1)
	v_add3_u32 v115, v1, v2, 0x7fff
                                        ; implicit-def: $vgpr1
; %bb.343:                              ;   in Loop: Header=BB166_40 Depth=1
	s_and_not1_saveexec_b32 s16, s0
; %bb.344:                              ;   in Loop: Header=BB166_40 Depth=1
	v_and_b32_e32 v2, 0xffff, v1
	v_or_b32_e32 v3, 0x10000, v1
	s_delay_alu instid0(VALU_DEP_2) | instskip(NEXT) | instid1(VALU_DEP_1)
	v_cmp_eq_u32_e64 s0, 0, v2
	v_cndmask_b32_e64 v115, v3, v1, s0
; %bb.345:                              ;   in Loop: Header=BB166_40 Depth=1
	s_or_b32 exec_lo, exec_lo, s16
	v_add_co_u32 v1, s0, v56, v33
	s_delay_alu instid0(VALU_DEP_1)
	v_add_co_ci_u32_e64 v2, s0, 0, v57, s0
	global_load_b128 v[1:4], v[1:2], off
	s_waitcnt vmcnt(0)
	v_lshrrev_b32_e32 v117, 16, v1
	v_lshrrev_b32_e32 v119, 16, v2
	v_lshrrev_b32_e32 v121, 16, v3
	v_lshrrev_b32_e32 v123, 16, v4
	s_and_saveexec_b32 s16, vcc_lo
	s_cbranch_execz .LBB166_347
; %bb.346:                              ;   in Loop: Header=BB166_40 Depth=1
	v_cmp_gt_i32_e64 s0, s33, v47
	s_delay_alu instid0(VALU_DEP_1) | instskip(SKIP_1) | instid1(VALU_DEP_1)
	v_cndmask_b32_e64 v1, 0, v1, s0
	v_cmp_gt_i32_e64 s0, s33, v54
	v_cndmask_b32_e64 v117, 0, v117, s0
	v_cmp_gt_i32_e64 s0, s33, v53
	s_delay_alu instid0(VALU_DEP_1) | instskip(SKIP_1) | instid1(VALU_DEP_1)
	v_cndmask_b32_e64 v2, 0, v2, s0
	v_cmp_gt_i32_e64 s0, s33, v51
	v_cndmask_b32_e64 v119, 0, v119, s0
	;; [unrolled: 5-line block ×4, first 2 shown]
.LBB166_347:                            ;   in Loop: Header=BB166_40 Depth=1
	s_or_b32 exec_lo, exec_lo, s16
	v_lshlrev_b32_e32 v1, 16, v1
	s_delay_alu instid0(VALU_DEP_1) | instskip(NEXT) | instid1(VALU_DEP_1)
	v_mul_f32_e32 v1, v58, v1
	v_and_b32_e32 v116, 0x7f800000, v1
	s_delay_alu instid0(VALU_DEP_1) | instskip(NEXT) | instid1(VALU_DEP_1)
	v_cmp_ne_u32_e64 s0, 0x7f800000, v116
                                        ; implicit-def: $vgpr116
	s_and_saveexec_b32 s16, s0
	s_delay_alu instid0(SALU_CYCLE_1)
	s_xor_b32 s0, exec_lo, s16
; %bb.348:                              ;   in Loop: Header=BB166_40 Depth=1
	v_bfe_u32 v116, v1, 16, 1
	s_delay_alu instid0(VALU_DEP_1)
	v_add3_u32 v116, v1, v116, 0x7fff
                                        ; implicit-def: $vgpr1
; %bb.349:                              ;   in Loop: Header=BB166_40 Depth=1
	s_and_not1_saveexec_b32 s16, s0
; %bb.350:                              ;   in Loop: Header=BB166_40 Depth=1
	v_and_b32_e32 v116, 0xffff, v1
	v_or_b32_e32 v118, 0x10000, v1
	s_delay_alu instid0(VALU_DEP_2) | instskip(NEXT) | instid1(VALU_DEP_1)
	v_cmp_eq_u32_e64 s0, 0, v116
	v_cndmask_b32_e64 v116, v118, v1, s0
; %bb.351:                              ;   in Loop: Header=BB166_40 Depth=1
	s_or_b32 exec_lo, exec_lo, s16
	v_lshlrev_b32_e32 v1, 16, v117
	s_delay_alu instid0(VALU_DEP_1) | instskip(NEXT) | instid1(VALU_DEP_1)
	v_mul_f32_e32 v1, v59, v1
	v_and_b32_e32 v117, 0x7f800000, v1
	s_delay_alu instid0(VALU_DEP_1) | instskip(NEXT) | instid1(VALU_DEP_1)
	v_cmp_ne_u32_e64 s0, 0x7f800000, v117
                                        ; implicit-def: $vgpr117
	s_and_saveexec_b32 s16, s0
	s_delay_alu instid0(SALU_CYCLE_1)
	s_xor_b32 s0, exec_lo, s16
; %bb.352:                              ;   in Loop: Header=BB166_40 Depth=1
	v_bfe_u32 v117, v1, 16, 1
	s_delay_alu instid0(VALU_DEP_1)
	v_add3_u32 v117, v1, v117, 0x7fff
                                        ; implicit-def: $vgpr1
; %bb.353:                              ;   in Loop: Header=BB166_40 Depth=1
	s_and_not1_saveexec_b32 s16, s0
; %bb.354:                              ;   in Loop: Header=BB166_40 Depth=1
	v_and_b32_e32 v117, 0xffff, v1
	v_or_b32_e32 v118, 0x10000, v1
	s_delay_alu instid0(VALU_DEP_2) | instskip(NEXT) | instid1(VALU_DEP_1)
	v_cmp_eq_u32_e64 s0, 0, v117
	v_cndmask_b32_e64 v117, v118, v1, s0
; %bb.355:                              ;   in Loop: Header=BB166_40 Depth=1
	s_or_b32 exec_lo, exec_lo, s16
	v_lshlrev_b32_e32 v1, 16, v2
                                        ; implicit-def: $vgpr118
	s_delay_alu instid0(VALU_DEP_1) | instskip(NEXT) | instid1(VALU_DEP_1)
	v_mul_f32_e32 v1, v60, v1
	v_and_b32_e32 v2, 0x7f800000, v1
	s_delay_alu instid0(VALU_DEP_1) | instskip(NEXT) | instid1(VALU_DEP_1)
	v_cmp_ne_u32_e64 s0, 0x7f800000, v2
	s_and_saveexec_b32 s16, s0
	s_delay_alu instid0(SALU_CYCLE_1)
	s_xor_b32 s0, exec_lo, s16
; %bb.356:                              ;   in Loop: Header=BB166_40 Depth=1
	v_bfe_u32 v2, v1, 16, 1
	s_delay_alu instid0(VALU_DEP_1)
	v_add3_u32 v118, v1, v2, 0x7fff
                                        ; implicit-def: $vgpr1
; %bb.357:                              ;   in Loop: Header=BB166_40 Depth=1
	s_and_not1_saveexec_b32 s16, s0
; %bb.358:                              ;   in Loop: Header=BB166_40 Depth=1
	v_and_b32_e32 v2, 0xffff, v1
	v_or_b32_e32 v118, 0x10000, v1
	s_delay_alu instid0(VALU_DEP_2) | instskip(NEXT) | instid1(VALU_DEP_1)
	v_cmp_eq_u32_e64 s0, 0, v2
	v_cndmask_b32_e64 v118, v118, v1, s0
; %bb.359:                              ;   in Loop: Header=BB166_40 Depth=1
	s_or_b32 exec_lo, exec_lo, s16
	v_lshlrev_b32_e32 v1, 16, v119
                                        ; implicit-def: $vgpr119
	s_delay_alu instid0(VALU_DEP_1) | instskip(NEXT) | instid1(VALU_DEP_1)
	v_mul_f32_e32 v1, v61, v1
	v_and_b32_e32 v2, 0x7f800000, v1
	s_delay_alu instid0(VALU_DEP_1) | instskip(NEXT) | instid1(VALU_DEP_1)
	v_cmp_ne_u32_e64 s0, 0x7f800000, v2
	s_and_saveexec_b32 s16, s0
	s_delay_alu instid0(SALU_CYCLE_1)
	s_xor_b32 s0, exec_lo, s16
; %bb.360:                              ;   in Loop: Header=BB166_40 Depth=1
	v_bfe_u32 v2, v1, 16, 1
	s_delay_alu instid0(VALU_DEP_1)
	v_add3_u32 v119, v1, v2, 0x7fff
                                        ; implicit-def: $vgpr1
; %bb.361:                              ;   in Loop: Header=BB166_40 Depth=1
	s_and_not1_saveexec_b32 s16, s0
; %bb.362:                              ;   in Loop: Header=BB166_40 Depth=1
	v_and_b32_e32 v2, 0xffff, v1
	v_or_b32_e32 v119, 0x10000, v1
	s_delay_alu instid0(VALU_DEP_2) | instskip(NEXT) | instid1(VALU_DEP_1)
	v_cmp_eq_u32_e64 s0, 0, v2
	v_cndmask_b32_e64 v119, v119, v1, s0
; %bb.363:                              ;   in Loop: Header=BB166_40 Depth=1
	s_or_b32 exec_lo, exec_lo, s16
	v_lshlrev_b32_e32 v1, 16, v3
                                        ; implicit-def: $vgpr120
	s_delay_alu instid0(VALU_DEP_1) | instskip(NEXT) | instid1(VALU_DEP_1)
	v_mul_f32_e32 v1, v62, v1
	v_and_b32_e32 v2, 0x7f800000, v1
	s_delay_alu instid0(VALU_DEP_1) | instskip(NEXT) | instid1(VALU_DEP_1)
	v_cmp_ne_u32_e64 s0, 0x7f800000, v2
	s_and_saveexec_b32 s16, s0
	s_delay_alu instid0(SALU_CYCLE_1)
	s_xor_b32 s0, exec_lo, s16
; %bb.364:                              ;   in Loop: Header=BB166_40 Depth=1
	v_bfe_u32 v2, v1, 16, 1
	s_delay_alu instid0(VALU_DEP_1)
	v_add3_u32 v120, v1, v2, 0x7fff
                                        ; implicit-def: $vgpr1
; %bb.365:                              ;   in Loop: Header=BB166_40 Depth=1
	s_and_not1_saveexec_b32 s16, s0
; %bb.366:                              ;   in Loop: Header=BB166_40 Depth=1
	v_and_b32_e32 v2, 0xffff, v1
	v_or_b32_e32 v3, 0x10000, v1
	s_delay_alu instid0(VALU_DEP_2) | instskip(NEXT) | instid1(VALU_DEP_1)
	v_cmp_eq_u32_e64 s0, 0, v2
	v_cndmask_b32_e64 v120, v3, v1, s0
; %bb.367:                              ;   in Loop: Header=BB166_40 Depth=1
	s_or_b32 exec_lo, exec_lo, s16
	v_lshlrev_b32_e32 v1, 16, v121
                                        ; implicit-def: $vgpr121
	s_delay_alu instid0(VALU_DEP_1) | instskip(NEXT) | instid1(VALU_DEP_1)
	v_mul_f32_e32 v1, v64, v1
	v_and_b32_e32 v2, 0x7f800000, v1
	s_delay_alu instid0(VALU_DEP_1) | instskip(NEXT) | instid1(VALU_DEP_1)
	v_cmp_ne_u32_e64 s0, 0x7f800000, v2
	s_and_saveexec_b32 s16, s0
	s_delay_alu instid0(SALU_CYCLE_1)
	s_xor_b32 s0, exec_lo, s16
; %bb.368:                              ;   in Loop: Header=BB166_40 Depth=1
	v_bfe_u32 v2, v1, 16, 1
	s_delay_alu instid0(VALU_DEP_1)
	v_add3_u32 v121, v1, v2, 0x7fff
                                        ; implicit-def: $vgpr1
; %bb.369:                              ;   in Loop: Header=BB166_40 Depth=1
	s_and_not1_saveexec_b32 s16, s0
; %bb.370:                              ;   in Loop: Header=BB166_40 Depth=1
	v_and_b32_e32 v2, 0xffff, v1
	v_or_b32_e32 v3, 0x10000, v1
	s_delay_alu instid0(VALU_DEP_2) | instskip(NEXT) | instid1(VALU_DEP_1)
	v_cmp_eq_u32_e64 s0, 0, v2
	v_cndmask_b32_e64 v121, v3, v1, s0
; %bb.371:                              ;   in Loop: Header=BB166_40 Depth=1
	s_or_b32 exec_lo, exec_lo, s16
	v_lshlrev_b32_e32 v1, 16, v4
                                        ; implicit-def: $vgpr122
	s_delay_alu instid0(VALU_DEP_1) | instskip(NEXT) | instid1(VALU_DEP_1)
	v_mul_f32_e32 v1, v65, v1
	v_and_b32_e32 v2, 0x7f800000, v1
	s_delay_alu instid0(VALU_DEP_1) | instskip(NEXT) | instid1(VALU_DEP_1)
	v_cmp_ne_u32_e64 s0, 0x7f800000, v2
	s_and_saveexec_b32 s16, s0
	s_delay_alu instid0(SALU_CYCLE_1)
	s_xor_b32 s0, exec_lo, s16
; %bb.372:                              ;   in Loop: Header=BB166_40 Depth=1
	v_bfe_u32 v2, v1, 16, 1
	s_delay_alu instid0(VALU_DEP_1)
	v_add3_u32 v122, v1, v2, 0x7fff
                                        ; implicit-def: $vgpr1
; %bb.373:                              ;   in Loop: Header=BB166_40 Depth=1
	s_and_not1_saveexec_b32 s16, s0
; %bb.374:                              ;   in Loop: Header=BB166_40 Depth=1
	v_and_b32_e32 v2, 0xffff, v1
	v_or_b32_e32 v3, 0x10000, v1
	s_delay_alu instid0(VALU_DEP_2) | instskip(NEXT) | instid1(VALU_DEP_1)
	v_cmp_eq_u32_e64 s0, 0, v2
	v_cndmask_b32_e64 v122, v3, v1, s0
; %bb.375:                              ;   in Loop: Header=BB166_40 Depth=1
	s_or_b32 exec_lo, exec_lo, s16
	v_lshlrev_b32_e32 v1, 16, v123
                                        ; implicit-def: $vgpr123
	s_delay_alu instid0(VALU_DEP_1) | instskip(NEXT) | instid1(VALU_DEP_1)
	v_mul_f32_e32 v1, v66, v1
	v_and_b32_e32 v2, 0x7f800000, v1
	s_delay_alu instid0(VALU_DEP_1) | instskip(NEXT) | instid1(VALU_DEP_1)
	v_cmp_ne_u32_e64 s0, 0x7f800000, v2
	s_and_saveexec_b32 s16, s0
	s_delay_alu instid0(SALU_CYCLE_1)
	s_xor_b32 s0, exec_lo, s16
; %bb.376:                              ;   in Loop: Header=BB166_40 Depth=1
	v_bfe_u32 v2, v1, 16, 1
	s_delay_alu instid0(VALU_DEP_1)
	v_add3_u32 v123, v1, v2, 0x7fff
                                        ; implicit-def: $vgpr1
; %bb.377:                              ;   in Loop: Header=BB166_40 Depth=1
	s_and_not1_saveexec_b32 s16, s0
; %bb.378:                              ;   in Loop: Header=BB166_40 Depth=1
	v_and_b32_e32 v2, 0xffff, v1
	v_or_b32_e32 v3, 0x10000, v1
	s_delay_alu instid0(VALU_DEP_2) | instskip(NEXT) | instid1(VALU_DEP_1)
	v_cmp_eq_u32_e64 s0, 0, v2
	v_cndmask_b32_e64 v123, v3, v1, s0
; %bb.379:                              ;   in Loop: Header=BB166_40 Depth=1
	s_or_b32 exec_lo, exec_lo, s16
	v_add_co_u32 v1, s0, v56, v34
	s_delay_alu instid0(VALU_DEP_1)
	v_add_co_ci_u32_e64 v2, s0, 0, v57, s0
	global_load_b128 v[1:4], v[1:2], off
	s_waitcnt vmcnt(0)
	v_lshrrev_b32_e32 v125, 16, v1
	v_lshrrev_b32_e32 v127, 16, v2
	;; [unrolled: 1-line block ×4, first 2 shown]
	s_and_saveexec_b32 s16, vcc_lo
	s_cbranch_execz .LBB166_381
; %bb.380:                              ;   in Loop: Header=BB166_40 Depth=1
	v_cmp_gt_i32_e64 s0, s33, v47
	s_delay_alu instid0(VALU_DEP_1) | instskip(SKIP_1) | instid1(VALU_DEP_1)
	v_cndmask_b32_e64 v1, 0, v1, s0
	v_cmp_gt_i32_e64 s0, s33, v54
	v_cndmask_b32_e64 v125, 0, v125, s0
	v_cmp_gt_i32_e64 s0, s33, v53
	s_delay_alu instid0(VALU_DEP_1) | instskip(SKIP_1) | instid1(VALU_DEP_1)
	v_cndmask_b32_e64 v2, 0, v2, s0
	v_cmp_gt_i32_e64 s0, s33, v51
	v_cndmask_b32_e64 v127, 0, v127, s0
	v_cmp_gt_i32_e64 s0, s33, v50
	s_delay_alu instid0(VALU_DEP_1) | instskip(SKIP_1) | instid1(VALU_DEP_1)
	v_cndmask_b32_e64 v3, 0, v3, s0
	v_cmp_gt_i32_e64 s0, s33, v49
	v_cndmask_b32_e64 v129, 0, v129, s0
	v_cmp_gt_i32_e64 s0, s33, v48
	s_delay_alu instid0(VALU_DEP_1) | instskip(SKIP_1) | instid1(VALU_DEP_1)
	v_cndmask_b32_e64 v4, 0, v4, s0
	v_cmp_gt_i32_e64 s0, s33, v52
	v_cndmask_b32_e64 v131, 0, v131, s0
.LBB166_381:                            ;   in Loop: Header=BB166_40 Depth=1
	s_or_b32 exec_lo, exec_lo, s16
	v_lshlrev_b32_e32 v1, 16, v1
	s_delay_alu instid0(VALU_DEP_1) | instskip(NEXT) | instid1(VALU_DEP_1)
	v_mul_f32_e32 v1, v58, v1
	v_and_b32_e32 v124, 0x7f800000, v1
	s_delay_alu instid0(VALU_DEP_1) | instskip(NEXT) | instid1(VALU_DEP_1)
	v_cmp_ne_u32_e64 s0, 0x7f800000, v124
                                        ; implicit-def: $vgpr124
	s_and_saveexec_b32 s16, s0
	s_delay_alu instid0(SALU_CYCLE_1)
	s_xor_b32 s0, exec_lo, s16
; %bb.382:                              ;   in Loop: Header=BB166_40 Depth=1
	v_bfe_u32 v124, v1, 16, 1
	s_delay_alu instid0(VALU_DEP_1)
	v_add3_u32 v124, v1, v124, 0x7fff
                                        ; implicit-def: $vgpr1
; %bb.383:                              ;   in Loop: Header=BB166_40 Depth=1
	s_and_not1_saveexec_b32 s16, s0
; %bb.384:                              ;   in Loop: Header=BB166_40 Depth=1
	v_and_b32_e32 v124, 0xffff, v1
	v_or_b32_e32 v126, 0x10000, v1
	s_delay_alu instid0(VALU_DEP_2) | instskip(NEXT) | instid1(VALU_DEP_1)
	v_cmp_eq_u32_e64 s0, 0, v124
	v_cndmask_b32_e64 v124, v126, v1, s0
; %bb.385:                              ;   in Loop: Header=BB166_40 Depth=1
	s_or_b32 exec_lo, exec_lo, s16
	v_lshlrev_b32_e32 v1, 16, v125
	s_delay_alu instid0(VALU_DEP_1) | instskip(NEXT) | instid1(VALU_DEP_1)
	v_mul_f32_e32 v1, v59, v1
	v_and_b32_e32 v125, 0x7f800000, v1
	s_delay_alu instid0(VALU_DEP_1) | instskip(NEXT) | instid1(VALU_DEP_1)
	v_cmp_ne_u32_e64 s0, 0x7f800000, v125
                                        ; implicit-def: $vgpr125
	s_and_saveexec_b32 s16, s0
	s_delay_alu instid0(SALU_CYCLE_1)
	s_xor_b32 s0, exec_lo, s16
; %bb.386:                              ;   in Loop: Header=BB166_40 Depth=1
	v_bfe_u32 v125, v1, 16, 1
	s_delay_alu instid0(VALU_DEP_1)
	v_add3_u32 v125, v1, v125, 0x7fff
                                        ; implicit-def: $vgpr1
; %bb.387:                              ;   in Loop: Header=BB166_40 Depth=1
	s_and_not1_saveexec_b32 s16, s0
; %bb.388:                              ;   in Loop: Header=BB166_40 Depth=1
	v_and_b32_e32 v125, 0xffff, v1
	v_or_b32_e32 v126, 0x10000, v1
	s_delay_alu instid0(VALU_DEP_2) | instskip(NEXT) | instid1(VALU_DEP_1)
	v_cmp_eq_u32_e64 s0, 0, v125
	v_cndmask_b32_e64 v125, v126, v1, s0
; %bb.389:                              ;   in Loop: Header=BB166_40 Depth=1
	s_or_b32 exec_lo, exec_lo, s16
	v_lshlrev_b32_e32 v1, 16, v2
                                        ; implicit-def: $vgpr126
	s_delay_alu instid0(VALU_DEP_1) | instskip(NEXT) | instid1(VALU_DEP_1)
	v_mul_f32_e32 v1, v60, v1
	v_and_b32_e32 v2, 0x7f800000, v1
	s_delay_alu instid0(VALU_DEP_1) | instskip(NEXT) | instid1(VALU_DEP_1)
	v_cmp_ne_u32_e64 s0, 0x7f800000, v2
	s_and_saveexec_b32 s16, s0
	s_delay_alu instid0(SALU_CYCLE_1)
	s_xor_b32 s0, exec_lo, s16
; %bb.390:                              ;   in Loop: Header=BB166_40 Depth=1
	v_bfe_u32 v2, v1, 16, 1
	s_delay_alu instid0(VALU_DEP_1)
	v_add3_u32 v126, v1, v2, 0x7fff
                                        ; implicit-def: $vgpr1
; %bb.391:                              ;   in Loop: Header=BB166_40 Depth=1
	s_and_not1_saveexec_b32 s16, s0
; %bb.392:                              ;   in Loop: Header=BB166_40 Depth=1
	v_and_b32_e32 v2, 0xffff, v1
	v_or_b32_e32 v126, 0x10000, v1
	s_delay_alu instid0(VALU_DEP_2) | instskip(NEXT) | instid1(VALU_DEP_1)
	v_cmp_eq_u32_e64 s0, 0, v2
	v_cndmask_b32_e64 v126, v126, v1, s0
; %bb.393:                              ;   in Loop: Header=BB166_40 Depth=1
	s_or_b32 exec_lo, exec_lo, s16
	v_lshlrev_b32_e32 v1, 16, v127
                                        ; implicit-def: $vgpr127
	s_delay_alu instid0(VALU_DEP_1) | instskip(NEXT) | instid1(VALU_DEP_1)
	v_mul_f32_e32 v1, v61, v1
	v_and_b32_e32 v2, 0x7f800000, v1
	s_delay_alu instid0(VALU_DEP_1) | instskip(NEXT) | instid1(VALU_DEP_1)
	v_cmp_ne_u32_e64 s0, 0x7f800000, v2
	s_and_saveexec_b32 s16, s0
	s_delay_alu instid0(SALU_CYCLE_1)
	s_xor_b32 s0, exec_lo, s16
; %bb.394:                              ;   in Loop: Header=BB166_40 Depth=1
	v_bfe_u32 v2, v1, 16, 1
	s_delay_alu instid0(VALU_DEP_1)
	v_add3_u32 v127, v1, v2, 0x7fff
                                        ; implicit-def: $vgpr1
; %bb.395:                              ;   in Loop: Header=BB166_40 Depth=1
	s_and_not1_saveexec_b32 s16, s0
; %bb.396:                              ;   in Loop: Header=BB166_40 Depth=1
	v_and_b32_e32 v2, 0xffff, v1
	v_or_b32_e32 v127, 0x10000, v1
	s_delay_alu instid0(VALU_DEP_2) | instskip(NEXT) | instid1(VALU_DEP_1)
	v_cmp_eq_u32_e64 s0, 0, v2
	v_cndmask_b32_e64 v127, v127, v1, s0
; %bb.397:                              ;   in Loop: Header=BB166_40 Depth=1
	s_or_b32 exec_lo, exec_lo, s16
	v_lshlrev_b32_e32 v1, 16, v3
                                        ; implicit-def: $vgpr128
	s_delay_alu instid0(VALU_DEP_1) | instskip(NEXT) | instid1(VALU_DEP_1)
	v_mul_f32_e32 v1, v62, v1
	v_and_b32_e32 v2, 0x7f800000, v1
	s_delay_alu instid0(VALU_DEP_1) | instskip(NEXT) | instid1(VALU_DEP_1)
	v_cmp_ne_u32_e64 s0, 0x7f800000, v2
	s_and_saveexec_b32 s16, s0
	s_delay_alu instid0(SALU_CYCLE_1)
	s_xor_b32 s0, exec_lo, s16
; %bb.398:                              ;   in Loop: Header=BB166_40 Depth=1
	v_bfe_u32 v2, v1, 16, 1
	s_delay_alu instid0(VALU_DEP_1)
	v_add3_u32 v128, v1, v2, 0x7fff
                                        ; implicit-def: $vgpr1
; %bb.399:                              ;   in Loop: Header=BB166_40 Depth=1
	s_and_not1_saveexec_b32 s16, s0
; %bb.400:                              ;   in Loop: Header=BB166_40 Depth=1
	v_and_b32_e32 v2, 0xffff, v1
	v_or_b32_e32 v3, 0x10000, v1
	s_delay_alu instid0(VALU_DEP_2) | instskip(NEXT) | instid1(VALU_DEP_1)
	v_cmp_eq_u32_e64 s0, 0, v2
	v_cndmask_b32_e64 v128, v3, v1, s0
; %bb.401:                              ;   in Loop: Header=BB166_40 Depth=1
	s_or_b32 exec_lo, exec_lo, s16
	v_lshlrev_b32_e32 v1, 16, v129
                                        ; implicit-def: $vgpr129
	s_delay_alu instid0(VALU_DEP_1) | instskip(NEXT) | instid1(VALU_DEP_1)
	v_mul_f32_e32 v1, v64, v1
	v_and_b32_e32 v2, 0x7f800000, v1
	s_delay_alu instid0(VALU_DEP_1) | instskip(NEXT) | instid1(VALU_DEP_1)
	v_cmp_ne_u32_e64 s0, 0x7f800000, v2
	s_and_saveexec_b32 s16, s0
	s_delay_alu instid0(SALU_CYCLE_1)
	s_xor_b32 s0, exec_lo, s16
; %bb.402:                              ;   in Loop: Header=BB166_40 Depth=1
	v_bfe_u32 v2, v1, 16, 1
	s_delay_alu instid0(VALU_DEP_1)
	v_add3_u32 v129, v1, v2, 0x7fff
                                        ; implicit-def: $vgpr1
; %bb.403:                              ;   in Loop: Header=BB166_40 Depth=1
	s_and_not1_saveexec_b32 s16, s0
; %bb.404:                              ;   in Loop: Header=BB166_40 Depth=1
	v_and_b32_e32 v2, 0xffff, v1
	v_or_b32_e32 v3, 0x10000, v1
	s_delay_alu instid0(VALU_DEP_2) | instskip(NEXT) | instid1(VALU_DEP_1)
	v_cmp_eq_u32_e64 s0, 0, v2
	v_cndmask_b32_e64 v129, v3, v1, s0
; %bb.405:                              ;   in Loop: Header=BB166_40 Depth=1
	s_or_b32 exec_lo, exec_lo, s16
	v_lshlrev_b32_e32 v1, 16, v4
                                        ; implicit-def: $vgpr130
	s_delay_alu instid0(VALU_DEP_1) | instskip(NEXT) | instid1(VALU_DEP_1)
	v_mul_f32_e32 v1, v65, v1
	v_and_b32_e32 v2, 0x7f800000, v1
	s_delay_alu instid0(VALU_DEP_1) | instskip(NEXT) | instid1(VALU_DEP_1)
	v_cmp_ne_u32_e64 s0, 0x7f800000, v2
	s_and_saveexec_b32 s16, s0
	s_delay_alu instid0(SALU_CYCLE_1)
	s_xor_b32 s0, exec_lo, s16
; %bb.406:                              ;   in Loop: Header=BB166_40 Depth=1
	v_bfe_u32 v2, v1, 16, 1
	s_delay_alu instid0(VALU_DEP_1)
	v_add3_u32 v130, v1, v2, 0x7fff
                                        ; implicit-def: $vgpr1
; %bb.407:                              ;   in Loop: Header=BB166_40 Depth=1
	s_and_not1_saveexec_b32 s16, s0
; %bb.408:                              ;   in Loop: Header=BB166_40 Depth=1
	v_and_b32_e32 v2, 0xffff, v1
	v_or_b32_e32 v3, 0x10000, v1
	s_delay_alu instid0(VALU_DEP_2) | instskip(NEXT) | instid1(VALU_DEP_1)
	v_cmp_eq_u32_e64 s0, 0, v2
	v_cndmask_b32_e64 v130, v3, v1, s0
; %bb.409:                              ;   in Loop: Header=BB166_40 Depth=1
	s_or_b32 exec_lo, exec_lo, s16
	v_lshlrev_b32_e32 v1, 16, v131
                                        ; implicit-def: $vgpr131
	s_delay_alu instid0(VALU_DEP_1) | instskip(NEXT) | instid1(VALU_DEP_1)
	v_mul_f32_e32 v1, v66, v1
	v_and_b32_e32 v2, 0x7f800000, v1
	s_delay_alu instid0(VALU_DEP_1) | instskip(NEXT) | instid1(VALU_DEP_1)
	v_cmp_ne_u32_e64 s0, 0x7f800000, v2
	s_and_saveexec_b32 s16, s0
	s_delay_alu instid0(SALU_CYCLE_1)
	s_xor_b32 s0, exec_lo, s16
; %bb.410:                              ;   in Loop: Header=BB166_40 Depth=1
	v_bfe_u32 v2, v1, 16, 1
	s_delay_alu instid0(VALU_DEP_1)
	v_add3_u32 v131, v1, v2, 0x7fff
                                        ; implicit-def: $vgpr1
; %bb.411:                              ;   in Loop: Header=BB166_40 Depth=1
	s_and_not1_saveexec_b32 s16, s0
; %bb.412:                              ;   in Loop: Header=BB166_40 Depth=1
	v_and_b32_e32 v2, 0xffff, v1
	v_or_b32_e32 v3, 0x10000, v1
	s_delay_alu instid0(VALU_DEP_2) | instskip(NEXT) | instid1(VALU_DEP_1)
	v_cmp_eq_u32_e64 s0, 0, v2
	v_cndmask_b32_e64 v131, v3, v1, s0
; %bb.413:                              ;   in Loop: Header=BB166_40 Depth=1
	s_or_b32 exec_lo, exec_lo, s16
	v_add_co_u32 v1, s0, v56, v35
	s_delay_alu instid0(VALU_DEP_1)
	v_add_co_ci_u32_e64 v2, s0, 0, v57, s0
	global_load_b128 v[1:4], v[1:2], off
	s_waitcnt vmcnt(0)
	v_lshrrev_b32_e32 v133, 16, v1
	v_lshrrev_b32_e32 v135, 16, v2
	;; [unrolled: 1-line block ×4, first 2 shown]
	s_and_saveexec_b32 s16, vcc_lo
	s_cbranch_execz .LBB166_415
; %bb.414:                              ;   in Loop: Header=BB166_40 Depth=1
	v_cmp_gt_i32_e64 s0, s33, v47
	s_delay_alu instid0(VALU_DEP_1) | instskip(SKIP_1) | instid1(VALU_DEP_1)
	v_cndmask_b32_e64 v1, 0, v1, s0
	v_cmp_gt_i32_e64 s0, s33, v54
	v_cndmask_b32_e64 v133, 0, v133, s0
	v_cmp_gt_i32_e64 s0, s33, v53
	s_delay_alu instid0(VALU_DEP_1) | instskip(SKIP_1) | instid1(VALU_DEP_1)
	v_cndmask_b32_e64 v2, 0, v2, s0
	v_cmp_gt_i32_e64 s0, s33, v51
	v_cndmask_b32_e64 v135, 0, v135, s0
	;; [unrolled: 5-line block ×4, first 2 shown]
.LBB166_415:                            ;   in Loop: Header=BB166_40 Depth=1
	s_or_b32 exec_lo, exec_lo, s16
	v_lshlrev_b32_e32 v1, 16, v1
	s_delay_alu instid0(VALU_DEP_1) | instskip(NEXT) | instid1(VALU_DEP_1)
	v_mul_f32_e32 v1, v58, v1
	v_and_b32_e32 v132, 0x7f800000, v1
	s_delay_alu instid0(VALU_DEP_1) | instskip(NEXT) | instid1(VALU_DEP_1)
	v_cmp_ne_u32_e64 s0, 0x7f800000, v132
                                        ; implicit-def: $vgpr132
	s_and_saveexec_b32 s16, s0
	s_delay_alu instid0(SALU_CYCLE_1)
	s_xor_b32 s0, exec_lo, s16
; %bb.416:                              ;   in Loop: Header=BB166_40 Depth=1
	v_bfe_u32 v132, v1, 16, 1
	s_delay_alu instid0(VALU_DEP_1)
	v_add3_u32 v132, v1, v132, 0x7fff
                                        ; implicit-def: $vgpr1
; %bb.417:                              ;   in Loop: Header=BB166_40 Depth=1
	s_and_not1_saveexec_b32 s16, s0
; %bb.418:                              ;   in Loop: Header=BB166_40 Depth=1
	v_and_b32_e32 v132, 0xffff, v1
	v_or_b32_e32 v134, 0x10000, v1
	s_delay_alu instid0(VALU_DEP_2) | instskip(NEXT) | instid1(VALU_DEP_1)
	v_cmp_eq_u32_e64 s0, 0, v132
	v_cndmask_b32_e64 v132, v134, v1, s0
; %bb.419:                              ;   in Loop: Header=BB166_40 Depth=1
	s_or_b32 exec_lo, exec_lo, s16
	v_lshlrev_b32_e32 v1, 16, v133
	s_delay_alu instid0(VALU_DEP_1) | instskip(NEXT) | instid1(VALU_DEP_1)
	v_mul_f32_e32 v1, v59, v1
	v_and_b32_e32 v133, 0x7f800000, v1
	s_delay_alu instid0(VALU_DEP_1) | instskip(NEXT) | instid1(VALU_DEP_1)
	v_cmp_ne_u32_e64 s0, 0x7f800000, v133
                                        ; implicit-def: $vgpr133
	s_and_saveexec_b32 s16, s0
	s_delay_alu instid0(SALU_CYCLE_1)
	s_xor_b32 s0, exec_lo, s16
; %bb.420:                              ;   in Loop: Header=BB166_40 Depth=1
	v_bfe_u32 v133, v1, 16, 1
	s_delay_alu instid0(VALU_DEP_1)
	v_add3_u32 v133, v1, v133, 0x7fff
                                        ; implicit-def: $vgpr1
; %bb.421:                              ;   in Loop: Header=BB166_40 Depth=1
	s_and_not1_saveexec_b32 s16, s0
; %bb.422:                              ;   in Loop: Header=BB166_40 Depth=1
	v_and_b32_e32 v133, 0xffff, v1
	v_or_b32_e32 v134, 0x10000, v1
	s_delay_alu instid0(VALU_DEP_2) | instskip(NEXT) | instid1(VALU_DEP_1)
	v_cmp_eq_u32_e64 s0, 0, v133
	v_cndmask_b32_e64 v133, v134, v1, s0
; %bb.423:                              ;   in Loop: Header=BB166_40 Depth=1
	s_or_b32 exec_lo, exec_lo, s16
	v_lshlrev_b32_e32 v1, 16, v2
                                        ; implicit-def: $vgpr134
	s_delay_alu instid0(VALU_DEP_1) | instskip(NEXT) | instid1(VALU_DEP_1)
	v_mul_f32_e32 v1, v60, v1
	v_and_b32_e32 v2, 0x7f800000, v1
	s_delay_alu instid0(VALU_DEP_1) | instskip(NEXT) | instid1(VALU_DEP_1)
	v_cmp_ne_u32_e64 s0, 0x7f800000, v2
	s_and_saveexec_b32 s16, s0
	s_delay_alu instid0(SALU_CYCLE_1)
	s_xor_b32 s0, exec_lo, s16
; %bb.424:                              ;   in Loop: Header=BB166_40 Depth=1
	v_bfe_u32 v2, v1, 16, 1
	s_delay_alu instid0(VALU_DEP_1)
	v_add3_u32 v134, v1, v2, 0x7fff
                                        ; implicit-def: $vgpr1
; %bb.425:                              ;   in Loop: Header=BB166_40 Depth=1
	s_and_not1_saveexec_b32 s16, s0
; %bb.426:                              ;   in Loop: Header=BB166_40 Depth=1
	v_and_b32_e32 v2, 0xffff, v1
	v_or_b32_e32 v134, 0x10000, v1
	s_delay_alu instid0(VALU_DEP_2) | instskip(NEXT) | instid1(VALU_DEP_1)
	v_cmp_eq_u32_e64 s0, 0, v2
	v_cndmask_b32_e64 v134, v134, v1, s0
; %bb.427:                              ;   in Loop: Header=BB166_40 Depth=1
	s_or_b32 exec_lo, exec_lo, s16
	v_lshlrev_b32_e32 v1, 16, v135
                                        ; implicit-def: $vgpr135
	s_delay_alu instid0(VALU_DEP_1) | instskip(NEXT) | instid1(VALU_DEP_1)
	v_mul_f32_e32 v1, v61, v1
	v_and_b32_e32 v2, 0x7f800000, v1
	s_delay_alu instid0(VALU_DEP_1) | instskip(NEXT) | instid1(VALU_DEP_1)
	v_cmp_ne_u32_e64 s0, 0x7f800000, v2
	s_and_saveexec_b32 s16, s0
	s_delay_alu instid0(SALU_CYCLE_1)
	s_xor_b32 s0, exec_lo, s16
; %bb.428:                              ;   in Loop: Header=BB166_40 Depth=1
	v_bfe_u32 v2, v1, 16, 1
	s_delay_alu instid0(VALU_DEP_1)
	v_add3_u32 v135, v1, v2, 0x7fff
                                        ; implicit-def: $vgpr1
; %bb.429:                              ;   in Loop: Header=BB166_40 Depth=1
	s_and_not1_saveexec_b32 s16, s0
; %bb.430:                              ;   in Loop: Header=BB166_40 Depth=1
	v_and_b32_e32 v2, 0xffff, v1
	v_or_b32_e32 v135, 0x10000, v1
	s_delay_alu instid0(VALU_DEP_2) | instskip(NEXT) | instid1(VALU_DEP_1)
	v_cmp_eq_u32_e64 s0, 0, v2
	v_cndmask_b32_e64 v135, v135, v1, s0
; %bb.431:                              ;   in Loop: Header=BB166_40 Depth=1
	s_or_b32 exec_lo, exec_lo, s16
	v_lshlrev_b32_e32 v1, 16, v3
                                        ; implicit-def: $vgpr136
	s_delay_alu instid0(VALU_DEP_1) | instskip(NEXT) | instid1(VALU_DEP_1)
	v_mul_f32_e32 v1, v62, v1
	v_and_b32_e32 v2, 0x7f800000, v1
	s_delay_alu instid0(VALU_DEP_1) | instskip(NEXT) | instid1(VALU_DEP_1)
	v_cmp_ne_u32_e64 s0, 0x7f800000, v2
	s_and_saveexec_b32 s16, s0
	s_delay_alu instid0(SALU_CYCLE_1)
	s_xor_b32 s0, exec_lo, s16
; %bb.432:                              ;   in Loop: Header=BB166_40 Depth=1
	v_bfe_u32 v2, v1, 16, 1
	s_delay_alu instid0(VALU_DEP_1)
	v_add3_u32 v136, v1, v2, 0x7fff
                                        ; implicit-def: $vgpr1
; %bb.433:                              ;   in Loop: Header=BB166_40 Depth=1
	s_and_not1_saveexec_b32 s16, s0
; %bb.434:                              ;   in Loop: Header=BB166_40 Depth=1
	v_and_b32_e32 v2, 0xffff, v1
	v_or_b32_e32 v3, 0x10000, v1
	s_delay_alu instid0(VALU_DEP_2) | instskip(NEXT) | instid1(VALU_DEP_1)
	v_cmp_eq_u32_e64 s0, 0, v2
	v_cndmask_b32_e64 v136, v3, v1, s0
; %bb.435:                              ;   in Loop: Header=BB166_40 Depth=1
	s_or_b32 exec_lo, exec_lo, s16
	v_lshlrev_b32_e32 v1, 16, v137
                                        ; implicit-def: $vgpr137
	s_delay_alu instid0(VALU_DEP_1) | instskip(NEXT) | instid1(VALU_DEP_1)
	v_mul_f32_e32 v1, v64, v1
	v_and_b32_e32 v2, 0x7f800000, v1
	s_delay_alu instid0(VALU_DEP_1) | instskip(NEXT) | instid1(VALU_DEP_1)
	v_cmp_ne_u32_e64 s0, 0x7f800000, v2
	s_and_saveexec_b32 s16, s0
	s_delay_alu instid0(SALU_CYCLE_1)
	s_xor_b32 s0, exec_lo, s16
; %bb.436:                              ;   in Loop: Header=BB166_40 Depth=1
	v_bfe_u32 v2, v1, 16, 1
	s_delay_alu instid0(VALU_DEP_1)
	v_add3_u32 v137, v1, v2, 0x7fff
                                        ; implicit-def: $vgpr1
; %bb.437:                              ;   in Loop: Header=BB166_40 Depth=1
	s_and_not1_saveexec_b32 s16, s0
; %bb.438:                              ;   in Loop: Header=BB166_40 Depth=1
	v_and_b32_e32 v2, 0xffff, v1
	v_or_b32_e32 v3, 0x10000, v1
	s_delay_alu instid0(VALU_DEP_2) | instskip(NEXT) | instid1(VALU_DEP_1)
	v_cmp_eq_u32_e64 s0, 0, v2
	v_cndmask_b32_e64 v137, v3, v1, s0
; %bb.439:                              ;   in Loop: Header=BB166_40 Depth=1
	s_or_b32 exec_lo, exec_lo, s16
	v_lshlrev_b32_e32 v1, 16, v4
                                        ; implicit-def: $vgpr138
	s_delay_alu instid0(VALU_DEP_1) | instskip(NEXT) | instid1(VALU_DEP_1)
	v_mul_f32_e32 v1, v65, v1
	v_and_b32_e32 v2, 0x7f800000, v1
	s_delay_alu instid0(VALU_DEP_1) | instskip(NEXT) | instid1(VALU_DEP_1)
	v_cmp_ne_u32_e64 s0, 0x7f800000, v2
	s_and_saveexec_b32 s16, s0
	s_delay_alu instid0(SALU_CYCLE_1)
	s_xor_b32 s0, exec_lo, s16
; %bb.440:                              ;   in Loop: Header=BB166_40 Depth=1
	v_bfe_u32 v2, v1, 16, 1
	s_delay_alu instid0(VALU_DEP_1)
	v_add3_u32 v138, v1, v2, 0x7fff
                                        ; implicit-def: $vgpr1
; %bb.441:                              ;   in Loop: Header=BB166_40 Depth=1
	s_and_not1_saveexec_b32 s16, s0
; %bb.442:                              ;   in Loop: Header=BB166_40 Depth=1
	v_and_b32_e32 v2, 0xffff, v1
	v_or_b32_e32 v3, 0x10000, v1
	s_delay_alu instid0(VALU_DEP_2) | instskip(NEXT) | instid1(VALU_DEP_1)
	v_cmp_eq_u32_e64 s0, 0, v2
	v_cndmask_b32_e64 v138, v3, v1, s0
; %bb.443:                              ;   in Loop: Header=BB166_40 Depth=1
	s_or_b32 exec_lo, exec_lo, s16
	v_lshlrev_b32_e32 v1, 16, v139
                                        ; implicit-def: $vgpr139
	s_delay_alu instid0(VALU_DEP_1) | instskip(NEXT) | instid1(VALU_DEP_1)
	v_mul_f32_e32 v1, v66, v1
	v_and_b32_e32 v2, 0x7f800000, v1
	s_delay_alu instid0(VALU_DEP_1) | instskip(NEXT) | instid1(VALU_DEP_1)
	v_cmp_ne_u32_e64 s0, 0x7f800000, v2
	s_and_saveexec_b32 s16, s0
	s_delay_alu instid0(SALU_CYCLE_1)
	s_xor_b32 s0, exec_lo, s16
; %bb.444:                              ;   in Loop: Header=BB166_40 Depth=1
	v_bfe_u32 v2, v1, 16, 1
	s_delay_alu instid0(VALU_DEP_1)
	v_add3_u32 v139, v1, v2, 0x7fff
                                        ; implicit-def: $vgpr1
; %bb.445:                              ;   in Loop: Header=BB166_40 Depth=1
	s_and_not1_saveexec_b32 s16, s0
; %bb.446:                              ;   in Loop: Header=BB166_40 Depth=1
	v_and_b32_e32 v2, 0xffff, v1
	v_or_b32_e32 v3, 0x10000, v1
	s_delay_alu instid0(VALU_DEP_2) | instskip(NEXT) | instid1(VALU_DEP_1)
	v_cmp_eq_u32_e64 s0, 0, v2
	v_cndmask_b32_e64 v139, v3, v1, s0
; %bb.447:                              ;   in Loop: Header=BB166_40 Depth=1
	s_or_b32 exec_lo, exec_lo, s16
	v_add_co_u32 v1, s0, v56, v36
	s_delay_alu instid0(VALU_DEP_1)
	v_add_co_ci_u32_e64 v2, s0, 0, v57, s0
	global_load_b128 v[1:4], v[1:2], off
	s_waitcnt vmcnt(0)
	v_lshrrev_b32_e32 v141, 16, v1
	v_lshrrev_b32_e32 v140, 16, v2
	;; [unrolled: 1-line block ×4, first 2 shown]
	s_and_saveexec_b32 s0, vcc_lo
	s_cbranch_execz .LBB166_449
; %bb.448:                              ;   in Loop: Header=BB166_40 Depth=1
	v_cmp_gt_i32_e32 vcc_lo, s33, v47
	v_cndmask_b32_e32 v1, 0, v1, vcc_lo
	v_cmp_gt_i32_e32 vcc_lo, s33, v54
	v_cndmask_b32_e32 v141, 0, v141, vcc_lo
	;; [unrolled: 2-line block ×8, first 2 shown]
.LBB166_449:                            ;   in Loop: Header=BB166_40 Depth=1
	s_or_b32 exec_lo, exec_lo, s0
	v_lshlrev_b32_e32 v1, 16, v1
	s_delay_alu instid0(VALU_DEP_1) | instskip(NEXT) | instid1(VALU_DEP_1)
	v_mul_f32_e32 v47, v58, v1
	v_and_b32_e32 v1, 0x7f800000, v47
	s_delay_alu instid0(VALU_DEP_1) | instskip(SKIP_1) | instid1(SALU_CYCLE_1)
	v_cmp_ne_u32_e32 vcc_lo, 0x7f800000, v1
                                        ; implicit-def: $vgpr1
	s_and_saveexec_b32 s0, vcc_lo
	s_xor_b32 s0, exec_lo, s0
; %bb.450:                              ;   in Loop: Header=BB166_40 Depth=1
	v_bfe_u32 v1, v47, 16, 1
	s_delay_alu instid0(VALU_DEP_1)
	v_add3_u32 v1, v47, v1, 0x7fff
                                        ; implicit-def: $vgpr47
; %bb.451:                              ;   in Loop: Header=BB166_40 Depth=1
	s_and_not1_saveexec_b32 s0, s0
; %bb.452:                              ;   in Loop: Header=BB166_40 Depth=1
	v_and_b32_e32 v1, 0xffff, v47
	v_or_b32_e32 v48, 0x10000, v47
	s_delay_alu instid0(VALU_DEP_2) | instskip(NEXT) | instid1(VALU_DEP_2)
	v_cmp_eq_u32_e32 vcc_lo, 0, v1
	v_cndmask_b32_e32 v1, v48, v47, vcc_lo
; %bb.453:                              ;   in Loop: Header=BB166_40 Depth=1
	s_or_b32 exec_lo, exec_lo, s0
	v_lshlrev_b32_e32 v47, 16, v141
	s_delay_alu instid0(VALU_DEP_1) | instskip(NEXT) | instid1(VALU_DEP_1)
	v_mul_f32_e32 v48, v59, v47
	v_and_b32_e32 v47, 0x7f800000, v48
	s_delay_alu instid0(VALU_DEP_1) | instskip(SKIP_1) | instid1(SALU_CYCLE_1)
	v_cmp_ne_u32_e32 vcc_lo, 0x7f800000, v47
                                        ; implicit-def: $vgpr47
	s_and_saveexec_b32 s0, vcc_lo
	s_xor_b32 s0, exec_lo, s0
; %bb.454:                              ;   in Loop: Header=BB166_40 Depth=1
	v_bfe_u32 v47, v48, 16, 1
	s_delay_alu instid0(VALU_DEP_1)
	v_add3_u32 v47, v48, v47, 0x7fff
                                        ; implicit-def: $vgpr48
; %bb.455:                              ;   in Loop: Header=BB166_40 Depth=1
	s_and_not1_saveexec_b32 s0, s0
; %bb.456:                              ;   in Loop: Header=BB166_40 Depth=1
	v_and_b32_e32 v47, 0xffff, v48
	v_or_b32_e32 v49, 0x10000, v48
	s_delay_alu instid0(VALU_DEP_2) | instskip(NEXT) | instid1(VALU_DEP_2)
	v_cmp_eq_u32_e32 vcc_lo, 0, v47
	v_cndmask_b32_e32 v47, v49, v48, vcc_lo
; %bb.457:                              ;   in Loop: Header=BB166_40 Depth=1
	s_or_b32 exec_lo, exec_lo, s0
	v_lshlrev_b32_e32 v2, 16, v2
	s_delay_alu instid0(VALU_DEP_1) | instskip(NEXT) | instid1(VALU_DEP_1)
	v_mul_f32_e32 v48, v60, v2
	v_and_b32_e32 v2, 0x7f800000, v48
	s_delay_alu instid0(VALU_DEP_1) | instskip(SKIP_1) | instid1(SALU_CYCLE_1)
	v_cmp_ne_u32_e32 vcc_lo, 0x7f800000, v2
                                        ; implicit-def: $vgpr2
	s_and_saveexec_b32 s0, vcc_lo
	s_xor_b32 s0, exec_lo, s0
; %bb.458:                              ;   in Loop: Header=BB166_40 Depth=1
	v_bfe_u32 v2, v48, 16, 1
	s_delay_alu instid0(VALU_DEP_1)
	v_add3_u32 v2, v48, v2, 0x7fff
                                        ; implicit-def: $vgpr48
; %bb.459:                              ;   in Loop: Header=BB166_40 Depth=1
	s_and_not1_saveexec_b32 s0, s0
; %bb.460:                              ;   in Loop: Header=BB166_40 Depth=1
	v_and_b32_e32 v2, 0xffff, v48
	v_or_b32_e32 v49, 0x10000, v48
	s_delay_alu instid0(VALU_DEP_2) | instskip(NEXT) | instid1(VALU_DEP_2)
	v_cmp_eq_u32_e32 vcc_lo, 0, v2
	v_cndmask_b32_e32 v2, v49, v48, vcc_lo
; %bb.461:                              ;   in Loop: Header=BB166_40 Depth=1
	s_or_b32 exec_lo, exec_lo, s0
	v_lshlrev_b32_e32 v48, 16, v140
	s_delay_alu instid0(VALU_DEP_1) | instskip(NEXT) | instid1(VALU_DEP_1)
	v_mul_f32_e32 v49, v61, v48
	v_and_b32_e32 v48, 0x7f800000, v49
	s_delay_alu instid0(VALU_DEP_1) | instskip(SKIP_1) | instid1(SALU_CYCLE_1)
	v_cmp_ne_u32_e32 vcc_lo, 0x7f800000, v48
                                        ; implicit-def: $vgpr48
	s_and_saveexec_b32 s0, vcc_lo
	s_xor_b32 s0, exec_lo, s0
; %bb.462:                              ;   in Loop: Header=BB166_40 Depth=1
	v_bfe_u32 v48, v49, 16, 1
	s_delay_alu instid0(VALU_DEP_1)
	v_add3_u32 v48, v49, v48, 0x7fff
                                        ; implicit-def: $vgpr49
; %bb.463:                              ;   in Loop: Header=BB166_40 Depth=1
	s_and_not1_saveexec_b32 s0, s0
; %bb.464:                              ;   in Loop: Header=BB166_40 Depth=1
	v_and_b32_e32 v48, 0xffff, v49
	v_or_b32_e32 v50, 0x10000, v49
	s_delay_alu instid0(VALU_DEP_2) | instskip(NEXT) | instid1(VALU_DEP_2)
	v_cmp_eq_u32_e32 vcc_lo, 0, v48
	v_cndmask_b32_e32 v48, v50, v49, vcc_lo
; %bb.465:                              ;   in Loop: Header=BB166_40 Depth=1
	s_or_b32 exec_lo, exec_lo, s0
	v_lshlrev_b32_e32 v3, 16, v3
	s_delay_alu instid0(VALU_DEP_1) | instskip(NEXT) | instid1(VALU_DEP_1)
	v_mul_f32_e32 v49, v62, v3
	v_and_b32_e32 v3, 0x7f800000, v49
	s_delay_alu instid0(VALU_DEP_1) | instskip(SKIP_1) | instid1(SALU_CYCLE_1)
	v_cmp_ne_u32_e32 vcc_lo, 0x7f800000, v3
                                        ; implicit-def: $vgpr3
	s_and_saveexec_b32 s0, vcc_lo
	s_xor_b32 s0, exec_lo, s0
; %bb.466:                              ;   in Loop: Header=BB166_40 Depth=1
	v_bfe_u32 v3, v49, 16, 1
	s_delay_alu instid0(VALU_DEP_1)
	v_add3_u32 v3, v49, v3, 0x7fff
                                        ; implicit-def: $vgpr49
; %bb.467:                              ;   in Loop: Header=BB166_40 Depth=1
	s_and_not1_saveexec_b32 s0, s0
; %bb.468:                              ;   in Loop: Header=BB166_40 Depth=1
	v_and_b32_e32 v3, 0xffff, v49
	v_or_b32_e32 v50, 0x10000, v49
	s_delay_alu instid0(VALU_DEP_2) | instskip(NEXT) | instid1(VALU_DEP_2)
	v_cmp_eq_u32_e32 vcc_lo, 0, v3
	v_cndmask_b32_e32 v3, v50, v49, vcc_lo
; %bb.469:                              ;   in Loop: Header=BB166_40 Depth=1
	s_or_b32 exec_lo, exec_lo, s0
	v_lshlrev_b32_e32 v49, 16, v57
	s_delay_alu instid0(VALU_DEP_1) | instskip(NEXT) | instid1(VALU_DEP_1)
	v_mul_f32_e32 v50, v64, v49
	v_and_b32_e32 v49, 0x7f800000, v50
	s_delay_alu instid0(VALU_DEP_1) | instskip(SKIP_1) | instid1(SALU_CYCLE_1)
	v_cmp_ne_u32_e32 vcc_lo, 0x7f800000, v49
                                        ; implicit-def: $vgpr49
	s_and_saveexec_b32 s0, vcc_lo
	s_xor_b32 s0, exec_lo, s0
; %bb.470:                              ;   in Loop: Header=BB166_40 Depth=1
	v_bfe_u32 v49, v50, 16, 1
	s_delay_alu instid0(VALU_DEP_1)
	v_add3_u32 v49, v50, v49, 0x7fff
                                        ; implicit-def: $vgpr50
; %bb.471:                              ;   in Loop: Header=BB166_40 Depth=1
	s_and_not1_saveexec_b32 s0, s0
; %bb.472:                              ;   in Loop: Header=BB166_40 Depth=1
	v_and_b32_e32 v49, 0xffff, v50
	v_or_b32_e32 v51, 0x10000, v50
	s_delay_alu instid0(VALU_DEP_2) | instskip(NEXT) | instid1(VALU_DEP_2)
	v_cmp_eq_u32_e32 vcc_lo, 0, v49
	v_cndmask_b32_e32 v49, v51, v50, vcc_lo
; %bb.473:                              ;   in Loop: Header=BB166_40 Depth=1
	s_or_b32 exec_lo, exec_lo, s0
	v_lshlrev_b32_e32 v4, 16, v4
	s_delay_alu instid0(VALU_DEP_1) | instskip(NEXT) | instid1(VALU_DEP_1)
	v_mul_f32_e32 v50, v65, v4
	v_and_b32_e32 v4, 0x7f800000, v50
	s_delay_alu instid0(VALU_DEP_1) | instskip(SKIP_1) | instid1(SALU_CYCLE_1)
	v_cmp_ne_u32_e32 vcc_lo, 0x7f800000, v4
                                        ; implicit-def: $vgpr4
	s_and_saveexec_b32 s0, vcc_lo
	s_xor_b32 s0, exec_lo, s0
; %bb.474:                              ;   in Loop: Header=BB166_40 Depth=1
	v_bfe_u32 v4, v50, 16, 1
	s_delay_alu instid0(VALU_DEP_1)
	v_add3_u32 v4, v50, v4, 0x7fff
                                        ; implicit-def: $vgpr50
; %bb.475:                              ;   in Loop: Header=BB166_40 Depth=1
	s_and_not1_saveexec_b32 s0, s0
; %bb.476:                              ;   in Loop: Header=BB166_40 Depth=1
	v_and_b32_e32 v4, 0xffff, v50
	v_or_b32_e32 v51, 0x10000, v50
	s_delay_alu instid0(VALU_DEP_2) | instskip(NEXT) | instid1(VALU_DEP_2)
	v_cmp_eq_u32_e32 vcc_lo, 0, v4
	v_cndmask_b32_e32 v4, v51, v50, vcc_lo
; %bb.477:                              ;   in Loop: Header=BB166_40 Depth=1
	s_or_b32 exec_lo, exec_lo, s0
	v_lshlrev_b32_e32 v50, 16, v56
	s_delay_alu instid0(VALU_DEP_1) | instskip(NEXT) | instid1(VALU_DEP_1)
	v_mul_f32_e32 v51, v66, v50
	v_and_b32_e32 v50, 0x7f800000, v51
	s_delay_alu instid0(VALU_DEP_1) | instskip(SKIP_1) | instid1(SALU_CYCLE_1)
	v_cmp_ne_u32_e32 vcc_lo, 0x7f800000, v50
                                        ; implicit-def: $vgpr50
	s_and_saveexec_b32 s0, vcc_lo
	s_xor_b32 s0, exec_lo, s0
; %bb.478:                              ;   in Loop: Header=BB166_40 Depth=1
	v_bfe_u32 v50, v51, 16, 1
	s_delay_alu instid0(VALU_DEP_1)
	v_add3_u32 v50, v51, v50, 0x7fff
                                        ; implicit-def: $vgpr51
; %bb.479:                              ;   in Loop: Header=BB166_40 Depth=1
	s_and_not1_saveexec_b32 s0, s0
	s_cbranch_execz .LBB166_38
; %bb.480:                              ;   in Loop: Header=BB166_40 Depth=1
	v_and_b32_e32 v50, 0xffff, v51
	v_or_b32_e32 v52, 0x10000, v51
	s_delay_alu instid0(VALU_DEP_2) | instskip(NEXT) | instid1(VALU_DEP_2)
	v_cmp_eq_u32_e32 vcc_lo, 0, v50
	v_cndmask_b32_e32 v50, v52, v51, vcc_lo
	s_branch .LBB166_38
.LBB166_481:
	s_or_b32 exec_lo, exec_lo, s3
.LBB166_482:
	s_delay_alu instid0(SALU_CYCLE_1)
	s_or_b32 exec_lo, exec_lo, s1
	ds_bpermute_b32 v1, v17, v29
	ds_bpermute_b32 v2, v17, v28
	;; [unrolled: 1-line block ×12, first 2 shown]
	v_lshrrev_b32_e32 v16, 1, v16
	s_movk_i32 s0, 0x300
	s_waitcnt lgkmcnt(0)
	s_waitcnt_vscnt null, 0x0
	v_mad_u32_u24 v14, v14, s0, 0x1a0
	s_mov_b32 s0, exec_lo
	s_barrier
	buffer_gl0_inv
	v_add_f32_e32 v1, v29, v1
	v_add_f32_e32 v15, v28, v2
	v_dual_add_f32 v11, v27, v3 :: v_dual_add_f32 v10, v26, v4
	v_dual_add_f32 v9, v25, v5 :: v_dual_add_f32 v8, v24, v6
	;; [unrolled: 1-line block ×4, first 2 shown]
	v_add_f32_e32 v3, v19, v33
	v_dual_add_f32 v2, v18, v17 :: v_dual_and_b32 v19, 0x3c1, v0
	v_lshlrev_b32_e32 v17, 2, v16
	s_delay_alu instid0(VALU_DEP_2)
	v_cmpx_eq_u32_e32 64, v19
	s_cbranch_execz .LBB166_484
; %bb.483:
	s_delay_alu instid0(VALU_DEP_2)
	v_add3_u32 v18, v14, v17, 0xfffffa00
	ds_store_2addr_b32 v18, v1, v15 offset1:16
	ds_store_2addr_b32 v18, v11, v10 offset0:32 offset1:48
	ds_store_2addr_b32 v18, v9, v8 offset0:64 offset1:80
	;; [unrolled: 1-line block ×5, first 2 shown]
.LBB166_484:
	s_or_b32 exec_lo, exec_lo, s0
	v_cmp_eq_u32_e32 vcc_lo, 0, v13
	s_mov_b32 s1, exec_lo
	s_waitcnt lgkmcnt(0)
	s_barrier
	buffer_gl0_inv
	v_cmpx_gt_u32_e32 64, v0
	s_cbranch_execz .LBB166_499
; %bb.485:
	s_and_saveexec_b32 s0, vcc_lo
	s_cbranch_execnz .LBB166_568
; %bb.486:
	s_or_b32 exec_lo, exec_lo, s0
	s_and_saveexec_b32 s0, vcc_lo
	s_cbranch_execnz .LBB166_569
.LBB166_487:
	s_or_b32 exec_lo, exec_lo, s0
	s_and_saveexec_b32 s0, vcc_lo
	s_cbranch_execnz .LBB166_570
.LBB166_488:
	s_or_b32 exec_lo, exec_lo, s0
	s_and_saveexec_b32 s0, vcc_lo
	s_cbranch_execnz .LBB166_571
.LBB166_489:
	s_or_b32 exec_lo, exec_lo, s0
	s_and_saveexec_b32 s0, vcc_lo
	s_cbranch_execnz .LBB166_572
.LBB166_490:
	s_or_b32 exec_lo, exec_lo, s0
	s_and_saveexec_b32 s0, vcc_lo
	s_cbranch_execnz .LBB166_573
.LBB166_491:
	s_or_b32 exec_lo, exec_lo, s0
	s_and_saveexec_b32 s0, vcc_lo
	s_cbranch_execnz .LBB166_574
.LBB166_492:
	s_or_b32 exec_lo, exec_lo, s0
	s_and_saveexec_b32 s0, vcc_lo
	s_cbranch_execnz .LBB166_575
.LBB166_493:
	s_or_b32 exec_lo, exec_lo, s0
	s_and_saveexec_b32 s0, vcc_lo
	s_cbranch_execnz .LBB166_576
.LBB166_494:
	s_or_b32 exec_lo, exec_lo, s0
	s_and_saveexec_b32 s0, vcc_lo
	s_cbranch_execnz .LBB166_577
.LBB166_495:
	s_or_b32 exec_lo, exec_lo, s0
	s_and_saveexec_b32 s0, vcc_lo
	s_cbranch_execnz .LBB166_578
.LBB166_496:
	s_or_b32 exec_lo, exec_lo, s0
	s_and_saveexec_b32 s0, vcc_lo
	s_cbranch_execz .LBB166_498
.LBB166_497:
	v_lshl_add_u32 v13, v16, 2, v14
	ds_load_b32 v13, v13 offset:704
	s_waitcnt lgkmcnt(0)
	v_add_f32_e32 v2, v2, v13
.LBB166_498:
	s_or_b32 exec_lo, exec_lo, s0
.LBB166_499:
	s_delay_alu instid0(SALU_CYCLE_1)
	s_or_b32 exec_lo, exec_lo, s1
	v_and_b32_e32 v13, 0x3e1, v0
	s_mov_b32 s1, exec_lo
	s_barrier
	buffer_gl0_inv
	v_cmpx_eq_u32_e32 32, v13
	s_cbranch_execz .LBB166_501
; %bb.500:
	v_add3_u32 v13, v14, v17, 0xfffffd00
	ds_store_2addr_b32 v13, v1, v15 offset1:16
	ds_store_2addr_b32 v13, v11, v10 offset0:32 offset1:48
	ds_store_2addr_b32 v13, v9, v8 offset0:64 offset1:80
	;; [unrolled: 1-line block ×5, first 2 shown]
.LBB166_501:
	s_or_b32 exec_lo, exec_lo, s1
	v_cmp_gt_u32_e64 s0, 32, v0
	s_waitcnt lgkmcnt(0)
	s_barrier
	buffer_gl0_inv
	s_and_saveexec_b32 s1, s0
	s_cbranch_execz .LBB166_516
; %bb.502:
	v_lshl_add_u32 v0, v16, 2, v14
	s_and_saveexec_b32 s2, vcc_lo
	s_cbranch_execnz .LBB166_579
; %bb.503:
	s_or_b32 exec_lo, exec_lo, s2
	s_and_saveexec_b32 s2, vcc_lo
	s_cbranch_execnz .LBB166_580
.LBB166_504:
	s_or_b32 exec_lo, exec_lo, s2
	s_and_saveexec_b32 s2, vcc_lo
	s_cbranch_execnz .LBB166_581
.LBB166_505:
	s_or_b32 exec_lo, exec_lo, s2
	s_and_saveexec_b32 s2, vcc_lo
	s_cbranch_execnz .LBB166_582
.LBB166_506:
	s_or_b32 exec_lo, exec_lo, s2
	s_and_saveexec_b32 s2, vcc_lo
	s_cbranch_execnz .LBB166_583
.LBB166_507:
	s_or_b32 exec_lo, exec_lo, s2
	s_and_saveexec_b32 s2, vcc_lo
	s_cbranch_execnz .LBB166_584
.LBB166_508:
	s_or_b32 exec_lo, exec_lo, s2
	s_and_saveexec_b32 s2, vcc_lo
	s_cbranch_execnz .LBB166_585
.LBB166_509:
	s_or_b32 exec_lo, exec_lo, s2
	s_and_saveexec_b32 s2, vcc_lo
	s_cbranch_execnz .LBB166_586
.LBB166_510:
	s_or_b32 exec_lo, exec_lo, s2
	s_and_saveexec_b32 s2, vcc_lo
	s_cbranch_execnz .LBB166_587
.LBB166_511:
	s_or_b32 exec_lo, exec_lo, s2
	s_and_saveexec_b32 s2, vcc_lo
	s_cbranch_execnz .LBB166_588
.LBB166_512:
	s_or_b32 exec_lo, exec_lo, s2
	s_and_saveexec_b32 s2, vcc_lo
	s_cbranch_execnz .LBB166_589
.LBB166_513:
	s_or_b32 exec_lo, exec_lo, s2
	s_and_saveexec_b32 s2, vcc_lo
	s_cbranch_execz .LBB166_515
.LBB166_514:
	ds_load_b32 v0, v0 offset:704
	s_waitcnt lgkmcnt(0)
	v_add_f32_e32 v2, v2, v0
.LBB166_515:
	s_or_b32 exec_lo, exec_lo, s2
.LBB166_516:
	s_delay_alu instid0(SALU_CYCLE_1)
	s_or_b32 exec_lo, exec_lo, s1
	s_barrier
	buffer_gl0_inv
	s_and_saveexec_b32 s1, s0
	s_cbranch_execz .LBB166_567
; %bb.517:
	s_and_b32 exec_lo, exec_lo, vcc_lo
	s_cbranch_execz .LBB166_567
; %bb.518:
	v_and_b32_e32 v0, 0x7f800000, v1
	s_mov_b32 s0, exec_lo
                                        ; implicit-def: $vgpr13
	s_delay_alu instid0(VALU_DEP_1)
	v_cmpx_ne_u32_e32 0x7f800000, v0
	s_xor_b32 s0, exec_lo, s0
; %bb.519:
	v_bfe_u32 v0, v1, 16, 1
	s_delay_alu instid0(VALU_DEP_1)
	v_add3_u32 v13, v1, v0, 0x7fff
                                        ; implicit-def: $vgpr1
; %bb.520:
	s_and_not1_saveexec_b32 s0, s0
; %bb.521:
	v_and_b32_e32 v0, 0xffff, v1
	v_or_b32_e32 v13, 0x10000, v1
	s_delay_alu instid0(VALU_DEP_2) | instskip(NEXT) | instid1(VALU_DEP_2)
	v_cmp_eq_u32_e32 vcc_lo, 0, v0
	v_cndmask_b32_e32 v13, v13, v1, vcc_lo
; %bb.522:
	s_or_b32 exec_lo, exec_lo, s0
	s_mul_i32 s0, s4, s14
	s_mul_i32 s2, s4, s20
	;; [unrolled: 1-line block ×3, first 2 shown]
	v_lshlrev_b32_e32 v12, 1, v12
	s_mulk_i32 s0, 0xc0
	v_and_b32_e32 v14, 0x7f800000, v15
	s_ashr_i32 s1, s0, 31
	s_delay_alu instid0(SALU_CYCLE_1) | instskip(NEXT) | instid1(SALU_CYCLE_1)
	s_lshl_b64 s[0:1], s[0:1], 1
	s_add_u32 s4, s22, s0
	s_addc_u32 s5, s23, s1
	s_ashr_i32 s3, s2, 31
	s_delay_alu instid0(SALU_CYCLE_1) | instskip(SKIP_4) | instid1(SALU_CYCLE_1)
	s_lshl_b64 s[0:1], s[2:3], 1
	s_mul_i32 s2, s12, 0xc0
	s_add_u32 s4, s4, s0
	s_addc_u32 s5, s5, s1
	s_ashr_i32 s3, s2, 31
	s_lshl_b64 s[0:1], s[2:3], 1
	s_delay_alu instid0(SALU_CYCLE_1) | instskip(SKIP_2) | instid1(VALU_DEP_1)
	s_add_u32 s0, s4, s0
	s_addc_u32 s1, s5, s1
	v_add_co_u32 v0, s2, s0, v12
	v_add_co_ci_u32_e64 v1, null, s1, 0, s2
	global_store_d16_hi_b16 v12, v13, s[0:1]
	s_mov_b32 s0, exec_lo
                                        ; implicit-def: $vgpr12
	v_cmpx_ne_u32_e32 0x7f800000, v14
	s_xor_b32 s0, exec_lo, s0
; %bb.523:
	v_bfe_u32 v12, v15, 16, 1
	s_delay_alu instid0(VALU_DEP_1)
	v_add3_u32 v12, v15, v12, 0x7fff
                                        ; implicit-def: $vgpr15
; %bb.524:
	s_and_not1_saveexec_b32 s0, s0
; %bb.525:
	v_and_b32_e32 v12, 0xffff, v15
	v_or_b32_e32 v13, 0x10000, v15
	s_delay_alu instid0(VALU_DEP_2) | instskip(NEXT) | instid1(VALU_DEP_2)
	v_cmp_eq_u32_e32 vcc_lo, 0, v12
	v_cndmask_b32_e32 v12, v13, v15, vcc_lo
; %bb.526:
	s_or_b32 exec_lo, exec_lo, s0
	v_and_b32_e32 v13, 0x7f800000, v11
	s_mov_b32 s0, exec_lo
	global_store_d16_hi_b16 v[0:1], v12, off offset:32
                                        ; implicit-def: $vgpr12
	v_cmpx_ne_u32_e32 0x7f800000, v13
	s_xor_b32 s0, exec_lo, s0
; %bb.527:
	v_bfe_u32 v12, v11, 16, 1
	s_delay_alu instid0(VALU_DEP_1)
	v_add3_u32 v12, v11, v12, 0x7fff
                                        ; implicit-def: $vgpr11
; %bb.528:
	s_and_not1_saveexec_b32 s0, s0
; %bb.529:
	v_and_b32_e32 v12, 0xffff, v11
	v_or_b32_e32 v13, 0x10000, v11
	s_delay_alu instid0(VALU_DEP_2) | instskip(NEXT) | instid1(VALU_DEP_2)
	v_cmp_eq_u32_e32 vcc_lo, 0, v12
	v_cndmask_b32_e32 v12, v13, v11, vcc_lo
; %bb.530:
	s_or_b32 exec_lo, exec_lo, s0
	v_and_b32_e32 v11, 0x7f800000, v10
	global_store_d16_hi_b16 v[0:1], v12, off offset:64
	v_cmp_ne_u32_e32 vcc_lo, 0x7f800000, v11
                                        ; implicit-def: $vgpr11
	s_and_saveexec_b32 s0, vcc_lo
	s_delay_alu instid0(SALU_CYCLE_1)
	s_xor_b32 s0, exec_lo, s0
; %bb.531:
	v_bfe_u32 v11, v10, 16, 1
	s_delay_alu instid0(VALU_DEP_1)
	v_add3_u32 v11, v10, v11, 0x7fff
                                        ; implicit-def: $vgpr10
; %bb.532:
	s_and_not1_saveexec_b32 s0, s0
; %bb.533:
	v_and_b32_e32 v11, 0xffff, v10
	v_or_b32_e32 v12, 0x10000, v10
	s_delay_alu instid0(VALU_DEP_2) | instskip(NEXT) | instid1(VALU_DEP_2)
	v_cmp_eq_u32_e32 vcc_lo, 0, v11
	v_cndmask_b32_e32 v11, v12, v10, vcc_lo
; %bb.534:
	s_or_b32 exec_lo, exec_lo, s0
	v_and_b32_e32 v10, 0x7f800000, v9
	global_store_d16_hi_b16 v[0:1], v11, off offset:96
	v_cmp_ne_u32_e32 vcc_lo, 0x7f800000, v10
                                        ; implicit-def: $vgpr10
	s_and_saveexec_b32 s0, vcc_lo
	s_delay_alu instid0(SALU_CYCLE_1)
	s_xor_b32 s0, exec_lo, s0
; %bb.535:
	v_bfe_u32 v10, v9, 16, 1
	s_delay_alu instid0(VALU_DEP_1)
	v_add3_u32 v10, v9, v10, 0x7fff
                                        ; implicit-def: $vgpr9
; %bb.536:
	s_and_not1_saveexec_b32 s0, s0
; %bb.537:
	v_and_b32_e32 v10, 0xffff, v9
	v_or_b32_e32 v11, 0x10000, v9
	s_delay_alu instid0(VALU_DEP_2) | instskip(NEXT) | instid1(VALU_DEP_2)
	v_cmp_eq_u32_e32 vcc_lo, 0, v10
	v_cndmask_b32_e32 v10, v11, v9, vcc_lo
; %bb.538:
	s_or_b32 exec_lo, exec_lo, s0
	v_and_b32_e32 v9, 0x7f800000, v8
	global_store_d16_hi_b16 v[0:1], v10, off offset:128
	v_cmp_ne_u32_e32 vcc_lo, 0x7f800000, v9
                                        ; implicit-def: $vgpr9
	s_and_saveexec_b32 s0, vcc_lo
	s_delay_alu instid0(SALU_CYCLE_1)
	s_xor_b32 s0, exec_lo, s0
; %bb.539:
	v_bfe_u32 v9, v8, 16, 1
	s_delay_alu instid0(VALU_DEP_1)
	v_add3_u32 v9, v8, v9, 0x7fff
                                        ; implicit-def: $vgpr8
; %bb.540:
	s_and_not1_saveexec_b32 s0, s0
; %bb.541:
	v_and_b32_e32 v9, 0xffff, v8
	v_or_b32_e32 v10, 0x10000, v8
	s_delay_alu instid0(VALU_DEP_2) | instskip(NEXT) | instid1(VALU_DEP_2)
	v_cmp_eq_u32_e32 vcc_lo, 0, v9
	v_cndmask_b32_e32 v9, v10, v8, vcc_lo
; %bb.542:
	s_or_b32 exec_lo, exec_lo, s0
	v_and_b32_e32 v8, 0x7f800000, v7
	global_store_d16_hi_b16 v[0:1], v9, off offset:160
	v_cmp_ne_u32_e32 vcc_lo, 0x7f800000, v8
                                        ; implicit-def: $vgpr8
	s_and_saveexec_b32 s0, vcc_lo
	s_delay_alu instid0(SALU_CYCLE_1)
	s_xor_b32 s0, exec_lo, s0
; %bb.543:
	v_bfe_u32 v8, v7, 16, 1
	s_delay_alu instid0(VALU_DEP_1)
	v_add3_u32 v8, v7, v8, 0x7fff
                                        ; implicit-def: $vgpr7
; %bb.544:
	s_and_not1_saveexec_b32 s0, s0
; %bb.545:
	v_and_b32_e32 v8, 0xffff, v7
	v_or_b32_e32 v9, 0x10000, v7
	s_delay_alu instid0(VALU_DEP_2) | instskip(NEXT) | instid1(VALU_DEP_2)
	v_cmp_eq_u32_e32 vcc_lo, 0, v8
	v_cndmask_b32_e32 v8, v9, v7, vcc_lo
; %bb.546:
	s_or_b32 exec_lo, exec_lo, s0
	v_and_b32_e32 v7, 0x7f800000, v6
	global_store_d16_hi_b16 v[0:1], v8, off offset:192
	v_cmp_ne_u32_e32 vcc_lo, 0x7f800000, v7
                                        ; implicit-def: $vgpr7
	s_and_saveexec_b32 s0, vcc_lo
	s_delay_alu instid0(SALU_CYCLE_1)
	s_xor_b32 s0, exec_lo, s0
; %bb.547:
	v_bfe_u32 v7, v6, 16, 1
	s_delay_alu instid0(VALU_DEP_1)
	v_add3_u32 v7, v6, v7, 0x7fff
                                        ; implicit-def: $vgpr6
; %bb.548:
	s_and_not1_saveexec_b32 s0, s0
; %bb.549:
	v_and_b32_e32 v7, 0xffff, v6
	v_or_b32_e32 v8, 0x10000, v6
	s_delay_alu instid0(VALU_DEP_2) | instskip(NEXT) | instid1(VALU_DEP_2)
	v_cmp_eq_u32_e32 vcc_lo, 0, v7
	v_cndmask_b32_e32 v7, v8, v6, vcc_lo
; %bb.550:
	s_or_b32 exec_lo, exec_lo, s0
	v_and_b32_e32 v6, 0x7f800000, v5
	global_store_d16_hi_b16 v[0:1], v7, off offset:224
	v_cmp_ne_u32_e32 vcc_lo, 0x7f800000, v6
                                        ; implicit-def: $vgpr6
	s_and_saveexec_b32 s0, vcc_lo
	s_delay_alu instid0(SALU_CYCLE_1)
	s_xor_b32 s0, exec_lo, s0
; %bb.551:
	v_bfe_u32 v6, v5, 16, 1
	s_delay_alu instid0(VALU_DEP_1)
	v_add3_u32 v6, v5, v6, 0x7fff
                                        ; implicit-def: $vgpr5
; %bb.552:
	s_and_not1_saveexec_b32 s0, s0
; %bb.553:
	v_and_b32_e32 v6, 0xffff, v5
	v_or_b32_e32 v7, 0x10000, v5
	s_delay_alu instid0(VALU_DEP_2) | instskip(NEXT) | instid1(VALU_DEP_2)
	v_cmp_eq_u32_e32 vcc_lo, 0, v6
	v_cndmask_b32_e32 v6, v7, v5, vcc_lo
; %bb.554:
	s_or_b32 exec_lo, exec_lo, s0
	v_and_b32_e32 v5, 0x7f800000, v4
	global_store_d16_hi_b16 v[0:1], v6, off offset:256
	v_cmp_ne_u32_e32 vcc_lo, 0x7f800000, v5
                                        ; implicit-def: $vgpr5
	s_and_saveexec_b32 s0, vcc_lo
	s_delay_alu instid0(SALU_CYCLE_1)
	s_xor_b32 s0, exec_lo, s0
; %bb.555:
	v_bfe_u32 v5, v4, 16, 1
	s_delay_alu instid0(VALU_DEP_1)
	v_add3_u32 v5, v4, v5, 0x7fff
                                        ; implicit-def: $vgpr4
; %bb.556:
	s_and_not1_saveexec_b32 s0, s0
; %bb.557:
	v_and_b32_e32 v5, 0xffff, v4
	v_or_b32_e32 v6, 0x10000, v4
	s_delay_alu instid0(VALU_DEP_2) | instskip(NEXT) | instid1(VALU_DEP_2)
	v_cmp_eq_u32_e32 vcc_lo, 0, v5
	v_cndmask_b32_e32 v5, v6, v4, vcc_lo
; %bb.558:
	s_or_b32 exec_lo, exec_lo, s0
	v_and_b32_e32 v4, 0x7f800000, v3
	global_store_d16_hi_b16 v[0:1], v5, off offset:288
	v_cmp_ne_u32_e32 vcc_lo, 0x7f800000, v4
                                        ; implicit-def: $vgpr4
	s_and_saveexec_b32 s0, vcc_lo
	s_delay_alu instid0(SALU_CYCLE_1)
	s_xor_b32 s0, exec_lo, s0
; %bb.559:
	v_bfe_u32 v4, v3, 16, 1
	s_delay_alu instid0(VALU_DEP_1)
	v_add3_u32 v4, v3, v4, 0x7fff
                                        ; implicit-def: $vgpr3
; %bb.560:
	s_and_not1_saveexec_b32 s0, s0
; %bb.561:
	v_and_b32_e32 v4, 0xffff, v3
	v_or_b32_e32 v5, 0x10000, v3
	s_delay_alu instid0(VALU_DEP_2) | instskip(NEXT) | instid1(VALU_DEP_2)
	v_cmp_eq_u32_e32 vcc_lo, 0, v4
	v_cndmask_b32_e32 v4, v5, v3, vcc_lo
; %bb.562:
	s_or_b32 exec_lo, exec_lo, s0
	v_and_b32_e32 v3, 0x7f800000, v2
	global_store_d16_hi_b16 v[0:1], v4, off offset:320
	v_cmp_ne_u32_e32 vcc_lo, 0x7f800000, v3
                                        ; implicit-def: $vgpr3
	s_and_saveexec_b32 s0, vcc_lo
	s_delay_alu instid0(SALU_CYCLE_1)
	s_xor_b32 s0, exec_lo, s0
; %bb.563:
	v_bfe_u32 v3, v2, 16, 1
	s_delay_alu instid0(VALU_DEP_1)
	v_add3_u32 v3, v2, v3, 0x7fff
                                        ; implicit-def: $vgpr2
; %bb.564:
	s_and_not1_saveexec_b32 s0, s0
; %bb.565:
	v_and_b32_e32 v3, 0xffff, v2
	v_or_b32_e32 v4, 0x10000, v2
	s_delay_alu instid0(VALU_DEP_2) | instskip(NEXT) | instid1(VALU_DEP_2)
	v_cmp_eq_u32_e32 vcc_lo, 0, v3
	v_cndmask_b32_e32 v3, v4, v2, vcc_lo
; %bb.566:
	s_or_b32 exec_lo, exec_lo, s0
	global_store_d16_hi_b16 v[0:1], v3, off offset:352
.LBB166_567:
	s_nop 0
	s_sendmsg sendmsg(MSG_DEALLOC_VGPRS)
	s_endpgm
.LBB166_568:
	v_lshl_add_u32 v13, v16, 2, v14
	ds_load_b32 v13, v13
	s_waitcnt lgkmcnt(0)
	v_add_f32_e32 v1, v1, v13
	s_or_b32 exec_lo, exec_lo, s0
	s_and_saveexec_b32 s0, vcc_lo
	s_cbranch_execz .LBB166_487
.LBB166_569:
	v_lshl_add_u32 v13, v16, 2, v14
	ds_load_b32 v13, v13 offset:64
	s_waitcnt lgkmcnt(0)
	v_add_f32_e32 v15, v15, v13
	s_or_b32 exec_lo, exec_lo, s0
	s_and_saveexec_b32 s0, vcc_lo
	s_cbranch_execz .LBB166_488
.LBB166_570:
	v_lshl_add_u32 v13, v16, 2, v14
	ds_load_b32 v13, v13 offset:128
	s_waitcnt lgkmcnt(0)
	v_add_f32_e32 v11, v11, v13
	s_or_b32 exec_lo, exec_lo, s0
	s_and_saveexec_b32 s0, vcc_lo
	s_cbranch_execz .LBB166_489
.LBB166_571:
	v_lshl_add_u32 v13, v16, 2, v14
	ds_load_b32 v13, v13 offset:192
	s_waitcnt lgkmcnt(0)
	v_add_f32_e32 v10, v10, v13
	s_or_b32 exec_lo, exec_lo, s0
	s_and_saveexec_b32 s0, vcc_lo
	s_cbranch_execz .LBB166_490
.LBB166_572:
	v_lshl_add_u32 v13, v16, 2, v14
	ds_load_b32 v13, v13 offset:256
	s_waitcnt lgkmcnt(0)
	v_add_f32_e32 v9, v9, v13
	s_or_b32 exec_lo, exec_lo, s0
	s_and_saveexec_b32 s0, vcc_lo
	s_cbranch_execz .LBB166_491
.LBB166_573:
	v_lshl_add_u32 v13, v16, 2, v14
	ds_load_b32 v13, v13 offset:320
	s_waitcnt lgkmcnt(0)
	v_add_f32_e32 v8, v8, v13
	s_or_b32 exec_lo, exec_lo, s0
	s_and_saveexec_b32 s0, vcc_lo
	s_cbranch_execz .LBB166_492
.LBB166_574:
	v_lshl_add_u32 v13, v16, 2, v14
	ds_load_b32 v13, v13 offset:384
	s_waitcnt lgkmcnt(0)
	v_add_f32_e32 v7, v7, v13
	s_or_b32 exec_lo, exec_lo, s0
	s_and_saveexec_b32 s0, vcc_lo
	s_cbranch_execz .LBB166_493
.LBB166_575:
	v_lshl_add_u32 v13, v16, 2, v14
	ds_load_b32 v13, v13 offset:448
	s_waitcnt lgkmcnt(0)
	v_add_f32_e32 v6, v6, v13
	s_or_b32 exec_lo, exec_lo, s0
	s_and_saveexec_b32 s0, vcc_lo
	s_cbranch_execz .LBB166_494
.LBB166_576:
	v_lshl_add_u32 v13, v16, 2, v14
	ds_load_b32 v13, v13 offset:512
	s_waitcnt lgkmcnt(0)
	v_add_f32_e32 v5, v5, v13
	s_or_b32 exec_lo, exec_lo, s0
	s_and_saveexec_b32 s0, vcc_lo
	s_cbranch_execz .LBB166_495
.LBB166_577:
	v_lshl_add_u32 v13, v16, 2, v14
	ds_load_b32 v13, v13 offset:576
	s_waitcnt lgkmcnt(0)
	v_add_f32_e32 v4, v4, v13
	s_or_b32 exec_lo, exec_lo, s0
	s_and_saveexec_b32 s0, vcc_lo
	s_cbranch_execz .LBB166_496
.LBB166_578:
	v_lshl_add_u32 v13, v16, 2, v14
	ds_load_b32 v13, v13 offset:640
	s_waitcnt lgkmcnt(0)
	v_add_f32_e32 v3, v3, v13
	s_or_b32 exec_lo, exec_lo, s0
	s_and_saveexec_b32 s0, vcc_lo
	s_cbranch_execnz .LBB166_497
	s_branch .LBB166_498
.LBB166_579:
	ds_load_b32 v13, v0
	s_waitcnt lgkmcnt(0)
	v_add_f32_e32 v1, v1, v13
	s_or_b32 exec_lo, exec_lo, s2
	s_and_saveexec_b32 s2, vcc_lo
	s_cbranch_execz .LBB166_504
.LBB166_580:
	ds_load_b32 v13, v0 offset:64
	s_waitcnt lgkmcnt(0)
	v_add_f32_e32 v15, v15, v13
	s_or_b32 exec_lo, exec_lo, s2
	s_and_saveexec_b32 s2, vcc_lo
	s_cbranch_execz .LBB166_505
.LBB166_581:
	ds_load_b32 v13, v0 offset:128
	s_waitcnt lgkmcnt(0)
	v_add_f32_e32 v11, v11, v13
	s_or_b32 exec_lo, exec_lo, s2
	s_and_saveexec_b32 s2, vcc_lo
	s_cbranch_execz .LBB166_506
.LBB166_582:
	ds_load_b32 v13, v0 offset:192
	s_waitcnt lgkmcnt(0)
	v_add_f32_e32 v10, v10, v13
	s_or_b32 exec_lo, exec_lo, s2
	s_and_saveexec_b32 s2, vcc_lo
	s_cbranch_execz .LBB166_507
.LBB166_583:
	ds_load_b32 v13, v0 offset:256
	s_waitcnt lgkmcnt(0)
	v_add_f32_e32 v9, v9, v13
	s_or_b32 exec_lo, exec_lo, s2
	s_and_saveexec_b32 s2, vcc_lo
	s_cbranch_execz .LBB166_508
.LBB166_584:
	ds_load_b32 v13, v0 offset:320
	s_waitcnt lgkmcnt(0)
	v_add_f32_e32 v8, v8, v13
	s_or_b32 exec_lo, exec_lo, s2
	s_and_saveexec_b32 s2, vcc_lo
	s_cbranch_execz .LBB166_509
.LBB166_585:
	ds_load_b32 v13, v0 offset:384
	s_waitcnt lgkmcnt(0)
	v_add_f32_e32 v7, v7, v13
	s_or_b32 exec_lo, exec_lo, s2
	s_and_saveexec_b32 s2, vcc_lo
	s_cbranch_execz .LBB166_510
.LBB166_586:
	ds_load_b32 v13, v0 offset:448
	s_waitcnt lgkmcnt(0)
	v_add_f32_e32 v6, v6, v13
	s_or_b32 exec_lo, exec_lo, s2
	s_and_saveexec_b32 s2, vcc_lo
	s_cbranch_execz .LBB166_511
.LBB166_587:
	ds_load_b32 v13, v0 offset:512
	s_waitcnt lgkmcnt(0)
	v_add_f32_e32 v5, v5, v13
	s_or_b32 exec_lo, exec_lo, s2
	s_and_saveexec_b32 s2, vcc_lo
	s_cbranch_execz .LBB166_512
.LBB166_588:
	ds_load_b32 v13, v0 offset:576
	s_waitcnt lgkmcnt(0)
	v_add_f32_e32 v4, v4, v13
	s_or_b32 exec_lo, exec_lo, s2
	s_and_saveexec_b32 s2, vcc_lo
	s_cbranch_execz .LBB166_513
.LBB166_589:
	ds_load_b32 v13, v0 offset:640
	s_waitcnt lgkmcnt(0)
	v_add_f32_e32 v3, v3, v13
	s_or_b32 exec_lo, exec_lo, s2
	s_and_saveexec_b32 s2, vcc_lo
	s_cbranch_execnz .LBB166_514
	s_branch .LBB166_515
	.section	.rodata,"a",@progbits
	.p2align	6, 0x0
	.amdhsa_kernel _ZN4vllm25paged_attention_v2_kernelI14__hip_bfloat16S1_Li192ELi16ELi128ELNS_18Fp8KVCacheDataTypeE0ELb1ELi512EEEvPfS3_PT_PKS4_PKT0_SA_ifPKiSC_iPKfiiiSE_SE_iiiii
		.amdhsa_group_segment_fixed_size 416
		.amdhsa_private_segment_fixed_size 0
		.amdhsa_kernarg_size 400
		.amdhsa_user_sgpr_count 13
		.amdhsa_user_sgpr_dispatch_ptr 0
		.amdhsa_user_sgpr_queue_ptr 0
		.amdhsa_user_sgpr_kernarg_segment_ptr 1
		.amdhsa_user_sgpr_dispatch_id 0
		.amdhsa_user_sgpr_private_segment_size 0
		.amdhsa_wavefront_size32 1
		.amdhsa_uses_dynamic_stack 0
		.amdhsa_enable_private_segment 0
		.amdhsa_system_sgpr_workgroup_id_x 1
		.amdhsa_system_sgpr_workgroup_id_y 1
		.amdhsa_system_sgpr_workgroup_id_z 1
		.amdhsa_system_sgpr_workgroup_info 0
		.amdhsa_system_vgpr_workitem_id 0
		.amdhsa_next_free_vgpr 165
		.amdhsa_next_free_sgpr 45
		.amdhsa_reserve_vcc 1
		.amdhsa_float_round_mode_32 0
		.amdhsa_float_round_mode_16_64 0
		.amdhsa_float_denorm_mode_32 3
		.amdhsa_float_denorm_mode_16_64 3
		.amdhsa_dx10_clamp 1
		.amdhsa_ieee_mode 1
		.amdhsa_fp16_overflow 0
		.amdhsa_workgroup_processor_mode 1
		.amdhsa_memory_ordered 1
		.amdhsa_forward_progress 0
		.amdhsa_shared_vgpr_count 0
		.amdhsa_exception_fp_ieee_invalid_op 0
		.amdhsa_exception_fp_denorm_src 0
		.amdhsa_exception_fp_ieee_div_zero 0
		.amdhsa_exception_fp_ieee_overflow 0
		.amdhsa_exception_fp_ieee_underflow 0
		.amdhsa_exception_fp_ieee_inexact 0
		.amdhsa_exception_int_div_zero 0
	.end_amdhsa_kernel
	.section	.text._ZN4vllm25paged_attention_v2_kernelI14__hip_bfloat16S1_Li192ELi16ELi128ELNS_18Fp8KVCacheDataTypeE0ELb1ELi512EEEvPfS3_PT_PKS4_PKT0_SA_ifPKiSC_iPKfiiiSE_SE_iiiii,"axG",@progbits,_ZN4vllm25paged_attention_v2_kernelI14__hip_bfloat16S1_Li192ELi16ELi128ELNS_18Fp8KVCacheDataTypeE0ELb1ELi512EEEvPfS3_PT_PKS4_PKT0_SA_ifPKiSC_iPKfiiiSE_SE_iiiii,comdat
.Lfunc_end166:
	.size	_ZN4vllm25paged_attention_v2_kernelI14__hip_bfloat16S1_Li192ELi16ELi128ELNS_18Fp8KVCacheDataTypeE0ELb1ELi512EEEvPfS3_PT_PKS4_PKT0_SA_ifPKiSC_iPKfiiiSE_SE_iiiii, .Lfunc_end166-_ZN4vllm25paged_attention_v2_kernelI14__hip_bfloat16S1_Li192ELi16ELi128ELNS_18Fp8KVCacheDataTypeE0ELb1ELi512EEEvPfS3_PT_PKS4_PKT0_SA_ifPKiSC_iPKfiiiSE_SE_iiiii
                                        ; -- End function
	.section	.AMDGPU.csdata,"",@progbits
; Kernel info:
; codeLenInByte = 23720
; NumSgprs: 47
; NumVgprs: 165
; ScratchSize: 0
; MemoryBound: 0
; FloatMode: 240
; IeeeMode: 1
; LDSByteSize: 416 bytes/workgroup (compile time only)
; SGPRBlocks: 5
; VGPRBlocks: 20
; NumSGPRsForWavesPerEU: 47
; NumVGPRsForWavesPerEU: 165
; Occupancy: 9
; WaveLimiterHint : 1
; COMPUTE_PGM_RSRC2:SCRATCH_EN: 0
; COMPUTE_PGM_RSRC2:USER_SGPR: 13
; COMPUTE_PGM_RSRC2:TRAP_HANDLER: 0
; COMPUTE_PGM_RSRC2:TGID_X_EN: 1
; COMPUTE_PGM_RSRC2:TGID_Y_EN: 1
; COMPUTE_PGM_RSRC2:TGID_Z_EN: 1
; COMPUTE_PGM_RSRC2:TIDIG_COMP_CNT: 0
	.text
	.p2align	2                               ; -- Begin function _ZN4vllm22paged_attention_kernelI14__hip_bfloat16S1_Li256ELi16ELi128ELNS_18Fp8KVCacheDataTypeE0ELb1ELi512EEEvPfS3_PT_PKS4_PKT0_SA_ifPKiSC_iPKfiiiSE_SE_iiiii
	.type	_ZN4vllm22paged_attention_kernelI14__hip_bfloat16S1_Li256ELi16ELi128ELNS_18Fp8KVCacheDataTypeE0ELb1ELi512EEEvPfS3_PT_PKS4_PKT0_SA_ifPKiSC_iPKfiiiSE_SE_iiiii,@function
_ZN4vllm22paged_attention_kernelI14__hip_bfloat16S1_Li256ELi16ELi128ELNS_18Fp8KVCacheDataTypeE0ELb1ELi512EEEvPfS3_PT_PKS4_PKT0_SA_ifPKiSC_iPKfiiiSE_SE_iiiii: ; @_ZN4vllm22paged_attention_kernelI14__hip_bfloat16S1_Li256ELi16ELi128ELNS_18Fp8KVCacheDataTypeE0ELb1ELi512EEEvPfS3_PT_PKS4_PKT0_SA_ifPKiSC_iPKfiiiSE_SE_iiiii
; %bb.0:
	s_waitcnt vmcnt(0) expcnt(0) lgkmcnt(0)
	s_clause 0x1f
	scratch_store_b32 off, v40, s32 offset:316
	; meta instruction
	scratch_store_b32 off, v41, s32 offset:312
	; meta instruction
	;; [unrolled: 2-line block ×31, first 2 shown]
	scratch_store_b32 off, v95, s32 offset:192
	s_clause 0x1f
	scratch_store_b32 off, v104, s32 offset:188
	; meta instruction
	scratch_store_b32 off, v105, s32 offset:184
	; meta instruction
	;; [unrolled: 2-line block ×31, first 2 shown]
	scratch_store_b32 off, v159, s32 offset:64
	s_clause 0xf
	scratch_store_b32 off, v168, s32 offset:60
	; meta instruction
	scratch_store_b32 off, v169, s32 offset:56
	; meta instruction
	;; [unrolled: 2-line block ×15, first 2 shown]
	scratch_store_b32 off, v191, s32
	s_mov_b32 s6, s13
	s_ashr_i32 s7, s13, 31
	s_mov_b32 s16, s15
	s_lshl_b64 s[0:1], s[6:7], 2
	s_lshl_b32 s15, s14, 9
	v_add_co_u32 v16, vcc_lo, v16, s0
	v_add_co_ci_u32_e32 v17, vcc_lo, s1, v17, vcc_lo
	s_mov_b32 s5, exec_lo
	flat_load_b32 v32, v[16:17]
	s_waitcnt vmcnt(0) lgkmcnt(0)
	v_cmpx_lt_i32_e64 s15, v32
	s_cbranch_execz .LBB167_727
; %bb.1:
	s_clause 0x1
	scratch_store_b32 off, v4, s32 offset:324
	scratch_store_b32 off, v5, s32 offset:320
	v_sub_nc_u32_e32 v4, 0, v12
	s_clause 0x1
	s_load_b32 s0, s[8:9], 0x10
	s_load_b32 s1, s[8:9], 0x0
	v_mov_b32_e32 v37, 0
	v_max_i32_e32 v4, v12, v4
	s_delay_alu instid0(VALU_DEP_1) | instskip(SKIP_1) | instid1(VALU_DEP_2)
	v_cvt_f32_u32_e32 v5, v4
	v_sub_nc_u32_e32 v16, 0, v4
	v_rcp_iflag_f32_e32 v5, v5
	s_waitcnt lgkmcnt(0)
	s_lshr_b32 s0, s0, 16
	s_delay_alu instid0(SALU_CYCLE_1) | instskip(SKIP_3) | instid1(SALU_CYCLE_1)
	s_cmp_lg_u32 s0, 0
	s_waitcnt_depctr 0xfff
	v_mul_f32_e32 v5, 0x4f7ffffe, v5
	s_cselect_b32 s0, -1, 0
	s_cmp_lg_u32 s0, 0
	s_delay_alu instid0(VALU_DEP_1) | instskip(SKIP_3) | instid1(VALU_DEP_1)
	v_cvt_u32_f32_e32 v5, v5
	s_addc_u32 s7, s1, 0
	s_abs_i32 s1, s12
	s_abs_i32 s0, s7
	v_mul_lo_u32 v16, v16, v5
	s_delay_alu instid0(VALU_DEP_1) | instskip(NEXT) | instid1(VALU_DEP_1)
	v_mul_hi_u32 v16, v5, v16
	v_add_nc_u32_e32 v5, v5, v16
	s_delay_alu instid0(VALU_DEP_1) | instskip(NEXT) | instid1(VALU_DEP_1)
	v_mul_hi_u32 v5, s0, v5
	v_mul_lo_u32 v16, v5, v4
	v_add_nc_u32_e32 v17, 1, v5
	s_delay_alu instid0(VALU_DEP_2) | instskip(SKIP_1) | instid1(VALU_DEP_1)
	v_sub_nc_u32_e32 v16, s0, v16
	s_mov_b32 s0, exec_lo
	v_sub_nc_u32_e32 v29, v16, v4
	v_cmp_ge_u32_e32 vcc_lo, v16, v4
	s_delay_alu instid0(VALU_DEP_2) | instskip(SKIP_2) | instid1(VALU_DEP_3)
	v_cndmask_b32_e32 v16, v16, v29, vcc_lo
	v_cndmask_b32_e32 v5, v5, v17, vcc_lo
	v_xor_b32_e32 v17, s7, v12
	v_cmp_ge_u32_e32 vcc_lo, v16, v4
	s_delay_alu instid0(VALU_DEP_3) | instskip(NEXT) | instid1(VALU_DEP_3)
	v_add_nc_u32_e32 v29, 1, v5
	v_ashrrev_i32_e32 v17, 31, v17
	s_delay_alu instid0(VALU_DEP_2) | instskip(NEXT) | instid1(VALU_DEP_1)
	v_cndmask_b32_e32 v4, v5, v29, vcc_lo
	v_xor_b32_e32 v4, v4, v17
	s_delay_alu instid0(VALU_DEP_1) | instskip(NEXT) | instid1(VALU_DEP_1)
	v_sub_nc_u32_e32 v4, v4, v17
	v_sub_nc_u32_e32 v5, 0, v4
	s_delay_alu instid0(VALU_DEP_1) | instskip(NEXT) | instid1(VALU_DEP_1)
	v_max_i32_e32 v5, v4, v5
	v_cvt_f32_u32_e32 v16, v5
	v_sub_nc_u32_e32 v17, 0, v5
	s_delay_alu instid0(VALU_DEP_2) | instskip(SKIP_2) | instid1(VALU_DEP_1)
	v_rcp_iflag_f32_e32 v16, v16
	s_waitcnt_depctr 0xfff
	v_mul_f32_e32 v16, 0x4f7ffffe, v16
	v_cvt_u32_f32_e32 v16, v16
	s_delay_alu instid0(VALU_DEP_1) | instskip(NEXT) | instid1(VALU_DEP_1)
	v_mul_lo_u32 v17, v17, v16
	v_mul_hi_u32 v17, v16, v17
	s_delay_alu instid0(VALU_DEP_1) | instskip(NEXT) | instid1(VALU_DEP_1)
	v_add_nc_u32_e32 v29, v16, v17
	v_mad_u64_u32 v[16:17], null, s1, v29, 0
	v_cmpx_ne_u64_e32 0, v[19:20]
	s_cbranch_execz .LBB167_3
; %bb.2:
	s_ashr_i32 s13, s12, 31
	s_delay_alu instid0(SALU_CYCLE_1) | instskip(NEXT) | instid1(SALU_CYCLE_1)
	s_lshl_b64 s[2:3], s[12:13], 2
	v_add_co_u32 v19, vcc_lo, v19, s2
	v_add_co_ci_u32_e32 v20, vcc_lo, s3, v20, vcc_lo
	flat_load_b32 v37, v[19:20]
.LBB167_3:
	s_or_b32 exec_lo, exec_lo, s0
	v_and_b32_e32 v30, 0x3ff, v31
	v_ashrrev_i32_e32 v4, 31, v4
	s_ashr_i32 s2, s12, 31
	s_lshl_b32 s10, s12, 8
	s_delay_alu instid0(VALU_DEP_2)
	v_lshrrev_b32_e32 v16, 1, v30
	v_cmp_gt_u32_e64 s0, 64, v30
	v_lshlrev_b32_e32 v69, 3, v30
	scratch_store_b32 off, v16, s32 offset:328 ; 4-byte Folded Spill
	s_and_saveexec_b32 s3, s0
	s_cbranch_execz .LBB167_5
; %bb.4:
	v_mul_lo_u32 v19, s6, v21
	s_ashr_i32 s11, s10, 31
	v_lshrrev_b32_e32 v16, 1, v30
	s_lshl_b64 s[18:19], s[10:11], 1
	s_delay_alu instid0(VALU_DEP_1) | instskip(NEXT) | instid1(VALU_DEP_3)
	v_lshlrev_b32_e32 v16, 3, v16
	v_ashrrev_i32_e32 v20, 31, v19
	s_delay_alu instid0(VALU_DEP_1) | instskip(NEXT) | instid1(VALU_DEP_1)
	v_lshlrev_b64 v[19:20], 1, v[19:20]
	v_add_co_u32 v6, vcc_lo, v6, v19
	s_delay_alu instid0(VALU_DEP_2) | instskip(SKIP_1) | instid1(VALU_DEP_3)
	v_add_co_ci_u32_e32 v7, vcc_lo, v7, v20, vcc_lo
	v_and_b32_e32 v19, 1, v30
	v_add_co_u32 v6, vcc_lo, v6, s18
	s_delay_alu instid0(VALU_DEP_3) | instskip(NEXT) | instid1(VALU_DEP_3)
	v_add_co_ci_u32_e32 v7, vcc_lo, s19, v7, vcc_lo
	v_lshl_add_u32 v16, v19, 8, v16
	s_delay_alu instid0(VALU_DEP_3) | instskip(NEXT) | instid1(VALU_DEP_3)
	v_add_co_u32 v6, vcc_lo, v6, v69
	v_add_co_ci_u32_e32 v7, vcc_lo, 0, v7, vcc_lo
	flat_load_b64 v[6:7], v[6:7]
	s_waitcnt vmcnt(0) lgkmcnt(0)
	ds_store_b64 v16, v[6:7]
.LBB167_5:
	s_or_b32 exec_lo, exec_lo, s3
	v_sub_nc_u32_e32 v6, 0, v27
	v_mul_lo_u32 v7, v17, v5
	v_xor_b32_e32 v31, s2, v4
	s_waitcnt vmcnt(0) lgkmcnt(0)
	s_waitcnt_vscnt null, 0x0
	s_barrier
	v_max_i32_e32 v21, v27, v6
	buffer_gl0_inv
	v_add_nc_u32_e32 v19, 1, v17
	v_sub_nc_u32_e32 v7, s1, v7
	v_cvt_f32_u32_e32 v6, v21
	v_sub_nc_u32_e32 v16, 0, v21
	s_mov_b32 s1, exec_lo
	s_delay_alu instid0(VALU_DEP_3) | instskip(NEXT) | instid1(VALU_DEP_3)
	v_sub_nc_u32_e32 v20, v7, v5
	v_rcp_iflag_f32_e32 v6, v6
	v_cmp_ge_u32_e32 vcc_lo, v7, v5
	v_cndmask_b32_e32 v19, v17, v19, vcc_lo
	s_delay_alu instid0(VALU_DEP_3) | instskip(SKIP_4) | instid1(VALU_DEP_3)
	v_cndmask_b32_e32 v7, v7, v20, vcc_lo
	s_waitcnt_depctr 0xfff
	v_dual_mul_f32 v6, 0x4f7ffffe, v6 :: v_dual_add_nc_u32 v17, -1, v32
	v_add_nc_u32_e32 v20, 1, v19
	v_cmp_ge_u32_e32 vcc_lo, v7, v5
	v_sub_nc_u32_e32 v29, 0, v17
	s_delay_alu instid0(VALU_DEP_4) | instskip(NEXT) | instid1(VALU_DEP_4)
	v_cvt_u32_f32_e32 v6, v6
	v_cndmask_b32_e32 v5, v19, v20, vcc_lo
	s_delay_alu instid0(VALU_DEP_3) | instskip(NEXT) | instid1(VALU_DEP_3)
	v_max_i32_e32 v4, v17, v29
	v_mul_lo_u32 v16, v16, v6
	s_delay_alu instid0(VALU_DEP_3) | instskip(NEXT) | instid1(VALU_DEP_2)
	v_xor_b32_e32 v5, v5, v31
	v_mul_hi_u32 v16, v6, v16
	s_delay_alu instid0(VALU_DEP_1) | instskip(NEXT) | instid1(VALU_DEP_1)
	v_add_nc_u32_e32 v33, v6, v16
                                        ; implicit-def: $vgpr16
	v_mad_u64_u32 v[6:7], null, v4, v33, 0
	s_delay_alu instid0(VALU_DEP_4)
	v_sub_nc_u32_e32 v6, v5, v31
	v_cmpx_gt_i32_e32 0, v28
	s_xor_b32 s1, exec_lo, s1
; %bb.6:
	s_delay_alu instid0(VALU_DEP_2) | instskip(NEXT) | instid1(VALU_DEP_1)
	v_mad_u64_u32 v[19:20], null, v24, v12, v[6:7]
                                        ; implicit-def: $vgpr24
	v_mul_lo_u32 v5, v19, v28
                                        ; implicit-def: $vgpr28
	s_delay_alu instid0(VALU_DEP_1)
	v_sub_nc_u32_e32 v16, 1, v5
; %bb.7:
	s_or_saveexec_b32 s1, s1
	v_ashrrev_i32_e32 v5, 31, v17
	v_ashrrev_i32_e32 v34, 31, v27
	s_xor_b32 exec_lo, exec_lo, s1
; %bb.8:
	v_mad_u64_u32 v[19:20], null, s7, v24, s[12:13]
	s_delay_alu instid0(VALU_DEP_1)
	v_mad_u64_u32 v[16:17], null, v19, v28, 1
; %bb.9:
	s_or_b32 exec_lo, exec_lo, s1
	v_mul_lo_u32 v12, v7, v21
	v_dual_mov_b32 v50, 0xff7fffff :: v_dual_add_nc_u32 v17, 15, v32
	s_clause 0x1
	s_load_b32 s18, s[8:9], 0x14
	s_load_b32 s11, s[8:9], 0x8
	v_mul_lo_u32 v23, v6, v23
	s_lshl_b32 s13, s14, 5
	v_sub_nc_u32_e32 v68, 0, v26
	s_add_i32 s1, s13, 32
	v_sub_nc_u32_e32 v12, v4, v12
	v_mul_lo_u32 v4, s6, v18
	v_ashrrev_i32_e32 v18, 31, v17
	v_mbcnt_lo_u32_b32 v38, -1, 0
	v_ashrrev_i32_e32 v24, 31, v23
	v_sub_nc_u32_e32 v20, v12, v21
	v_cmp_ge_u32_e32 vcc_lo, v12, v21
	v_add_nc_u32_e32 v19, 1, v7
	s_delay_alu instid0(VALU_DEP_1)
	v_cndmask_b32_e32 v7, v7, v19, vcc_lo
	v_xor_b32_e32 v19, v5, v34
	v_lshrrev_b32_e32 v5, 28, v18
	v_cndmask_b32_e32 v18, v12, v20, vcc_lo
	v_lshrrev_b32_e32 v12, 5, v30
	v_add_nc_u32_e32 v20, 1, v7
	s_delay_alu instid0(VALU_DEP_4) | instskip(NEXT) | instid1(VALU_DEP_4)
	v_add_nc_u32_e32 v5, v17, v5
	v_cmp_ge_u32_e32 vcc_lo, v18, v21
	s_delay_alu instid0(VALU_DEP_4) | instskip(SKIP_1) | instid1(VALU_DEP_4)
	v_or_b32_e32 v17, s13, v12
	v_lshl_add_u32 v35, v12, 4, s15
	v_ashrrev_i32_e32 v70, 4, v5
	v_cndmask_b32_e32 v7, v7, v20, vcc_lo
	v_ashrrev_i32_e32 v5, 31, v4
	v_ashrrev_i32_e32 v18, 31, v17
	s_delay_alu instid0(VALU_DEP_4) | instskip(NEXT) | instid1(VALU_DEP_4)
	v_min_i32_e32 v36, s1, v70
	v_xor_b32_e32 v6, v7, v19
	s_delay_alu instid0(VALU_DEP_2) | instskip(NEXT) | instid1(VALU_DEP_2)
	v_cmp_lt_i32_e64 s1, v17, v36
	v_sub_nc_u32_e32 v6, v6, v19
	v_lshlrev_b64 v[19:20], 2, v[4:5]
	s_delay_alu instid0(VALU_DEP_2) | instskip(NEXT) | instid1(VALU_DEP_4)
	v_sub_nc_u32_e32 v25, v6, v25
	s_and_saveexec_b32 s19, s1
	s_cbranch_execz .LBB167_19
; %bb.10:
	v_max_i32_e32 v39, v26, v68
	v_bfe_u32 v48, v30, 1, 4
	v_and_b32_e32 v7, 1, v30
	v_lshlrev_b64 v[4:5], 1, v[23:24]
	s_ashr_i32 s17, s16, 31
	v_cvt_f32_u32_e32 v6, v39
	v_dual_mov_b32 v65, 0xff7fffff :: v_dual_lshlrev_b32 v50, 2, v48
	s_getpc_b64 s[8:9]
	s_add_u32 s8, s8, llvm.amdgcn.dynlds.offset.table@rel32@lo+4
	s_addc_u32 s9, s9, llvm.amdgcn.dynlds.offset.table@rel32@hi+12
	v_sub_nc_u32_e32 v31, 0, v39
	v_rcp_iflag_f32_e32 v27, v6
	v_lshlrev_b32_e32 v28, 4, v48
	s_lshl_b64 s[20:21], s[16:17], 2
	v_lshl_or_b32 v52, v12, 6, v50
	s_add_u32 s8, s20, s8
	s_addc_u32 s9, s21, s9
	v_mov_b32_e32 v50, 0xff7fffff
	v_cmp_eq_u32_e32 vcc_lo, 0, v7
	v_lshlrev_b32_e32 v49, 8, v7
	v_lshlrev_b64 v[6:7], 2, v[17:18]
	v_mul_f32_e32 v27, 0x4f7ffffe, v27
	v_add_co_u32 v4, s3, v8, v4
	s_load_b32 s17, s[8:9], 0x0
	v_add_co_ci_u32_e64 v5, s3, v9, v5, s3
	s_delay_alu instid0(VALU_DEP_3) | instskip(SKIP_1) | instid1(VALU_DEP_1)
	v_cvt_u32_f32_e32 v55, v27
	v_add_co_u32 v6, s3, v19, v6
	v_add_co_ci_u32_e64 v7, s3, v20, v7, s3
	s_delay_alu instid0(VALU_DEP_3)
	v_mul_lo_u32 v8, v31, v55
	v_add_co_u32 v4, s3, v4, v28
	v_and_b32_e32 v29, 8, v69
	v_add_co_ci_u32_e64 v5, s3, 0, v5, s3
	v_sub_nc_u32_e32 v64, v48, v32
	v_add_co_u32 v27, s3, v14, v6
	v_mul_hi_u32 v8, v55, v8
	v_add_co_ci_u32_e64 v28, s3, v15, v7, s3
	v_add_co_u32 v53, s3, v4, v29
	v_cmp_neq_f32_e64 s2, 0, v37
	v_lshl_add_u32 v51, v12, 4, s15
	v_add_co_ci_u32_e64 v54, s3, 0, v5, s3
	v_add_nc_u32_e32 v55, v55, v8
	v_dual_mov_b32 v67, v17 :: v_dual_add_nc_u32 v64, 1, v64
	v_xor_b32_e32 v66, 1, v38
	s_mov_b32 s20, 0
	s_branch .LBB167_13
.LBB167_11:                             ;   in Loop: Header=BB167_13 Depth=1
	s_or_b32 exec_lo, exec_lo, s21
.LBB167_12:                             ;   in Loop: Header=BB167_13 Depth=1
	s_delay_alu instid0(SALU_CYCLE_1) | instskip(SKIP_2) | instid1(VALU_DEP_1)
	s_or_b32 exec_lo, exec_lo, s4
	v_add_nc_u32_e32 v67, 4, v67
	v_add_co_u32 v27, s4, v27, 16
	v_add_co_ci_u32_e64 v28, s4, 0, v28, s4
	s_delay_alu instid0(VALU_DEP_3) | instskip(SKIP_2) | instid1(VALU_DEP_3)
	v_cmp_ge_i32_e64 s3, v67, v36
	v_add_nc_u32_e32 v51, 64, v51
	v_add_nc_u32_e32 v52, 0x100, v52
	s_or_b32 s20, s3, s20
	s_delay_alu instid0(SALU_CYCLE_1)
	s_and_not1_b32 exec_lo, exec_lo, s20
	s_cbranch_execz .LBB167_18
.LBB167_13:                             ; =>This Inner Loop Header: Depth=1
	v_sub_nc_u32_e32 v4, 0, v51
	s_delay_alu instid0(VALU_DEP_1) | instskip(SKIP_1) | instid1(VALU_DEP_1)
	v_max_i32_e32 v4, v51, v4
	s_waitcnt lgkmcnt(0)
	v_mul_hi_u32 v5, v4, v33
	s_delay_alu instid0(VALU_DEP_1) | instskip(NEXT) | instid1(VALU_DEP_1)
	v_mul_lo_u32 v6, v5, v21
	v_sub_nc_u32_e32 v4, v4, v6
	v_add_nc_u32_e32 v6, 1, v5
	s_delay_alu instid0(VALU_DEP_2) | instskip(SKIP_1) | instid1(VALU_DEP_1)
	v_sub_nc_u32_e32 v7, v4, v21
	v_cmp_ge_u32_e64 s3, v4, v21
	v_cndmask_b32_e64 v5, v5, v6, s3
	s_delay_alu instid0(VALU_DEP_3) | instskip(SKIP_1) | instid1(VALU_DEP_3)
	v_cndmask_b32_e64 v4, v4, v7, s3
	v_ashrrev_i32_e32 v6, 31, v51
	v_add_nc_u32_e32 v7, 1, v5
	s_delay_alu instid0(VALU_DEP_3) | instskip(NEXT) | instid1(VALU_DEP_3)
	v_cmp_ge_u32_e64 s3, v4, v21
	v_xor_b32_e32 v6, v6, v34
	s_delay_alu instid0(VALU_DEP_2) | instskip(NEXT) | instid1(VALU_DEP_1)
	v_cndmask_b32_e64 v4, v5, v7, s3
	v_xor_b32_e32 v4, v4, v6
	s_delay_alu instid0(VALU_DEP_1) | instskip(NEXT) | instid1(VALU_DEP_1)
	v_sub_nc_u32_e32 v4, v4, v6
	v_add_nc_u32_e32 v5, v4, v16
	v_cmp_le_i32_e64 s4, v4, v25
	s_delay_alu instid0(VALU_DEP_2) | instskip(NEXT) | instid1(VALU_DEP_1)
	v_sub_nc_u32_e32 v6, 0, v5
	v_max_i32_e32 v6, v5, v6
	v_ashrrev_i32_e32 v5, 31, v5
	s_delay_alu instid0(VALU_DEP_2) | instskip(NEXT) | instid1(VALU_DEP_1)
	v_mul_hi_u32 v7, v6, v55
	v_mul_lo_u32 v7, v7, v39
	s_delay_alu instid0(VALU_DEP_1) | instskip(NEXT) | instid1(VALU_DEP_1)
	v_sub_nc_u32_e32 v6, v6, v7
	v_sub_nc_u32_e32 v7, v6, v39
	v_cmp_ge_u32_e64 s3, v6, v39
	s_delay_alu instid0(VALU_DEP_1) | instskip(NEXT) | instid1(VALU_DEP_1)
	v_cndmask_b32_e64 v6, v6, v7, s3
	v_sub_nc_u32_e32 v7, v6, v39
	v_cmp_ge_u32_e64 s3, v6, v39
	s_delay_alu instid0(VALU_DEP_1) | instskip(NEXT) | instid1(VALU_DEP_1)
	v_cndmask_b32_e64 v6, v6, v7, s3
	v_xor_b32_e32 v6, v6, v5
	s_delay_alu instid0(VALU_DEP_1) | instskip(NEXT) | instid1(VALU_DEP_1)
	v_sub_nc_u32_e32 v5, v6, v5
	v_cmp_ne_u32_e64 s3, 0, v5
	s_delay_alu instid0(VALU_DEP_1) | instskip(NEXT) | instid1(SALU_CYCLE_1)
	s_and_b32 s3, s3, s4
	s_and_b32 s21, vcc_lo, s3
	s_delay_alu instid0(SALU_CYCLE_1)
	s_and_saveexec_b32 s4, s21
	s_cbranch_execz .LBB167_15
; %bb.14:                               ;   in Loop: Header=BB167_13 Depth=1
	s_waitcnt lgkmcnt(0)
	v_add_nc_u32_e32 v4, s17, v52
	ds_store_b32 v4, v65
.LBB167_15:                             ;   in Loop: Header=BB167_13 Depth=1
	s_or_b32 exec_lo, exec_lo, s4
	s_xor_b32 s3, s3, -1
	s_delay_alu instid0(SALU_CYCLE_1)
	s_and_saveexec_b32 s4, s3
	s_cbranch_execz .LBB167_12
; %bb.16:                               ;   in Loop: Header=BB167_13 Depth=1
	ds_load_b128 v[4:7], v49
	ds_load_b128 v[80:83], v49 offset:16
	ds_load_b128 v[84:87], v49 offset:32
	;; [unrolled: 1-line block ×7, first 2 shown]
	s_waitcnt lgkmcnt(0)
	v_and_b32_e32 v155, 0xffff0000, v5
	v_lshlrev_b32_e32 v137, 16, v81
	v_and_b32_e32 v153, 0xffff0000, v81
	v_lshlrev_b32_e32 v106, 16, v96
	v_lshlrev_b32_e32 v95, 16, v99
	v_and_b32_e32 v158, 0xffff0000, v6
	v_lshlrev_b32_e32 v139, 16, v6
	v_lshlrev_b32_e32 v142, 16, v4
	;; [unrolled: 1-line block ×3, first 2 shown]
	v_and_b32_e32 v152, 0xffff0000, v82
	v_and_b32_e32 v126, 0xffff0000, v84
	;; [unrolled: 1-line block ×3, first 2 shown]
	v_lshlrev_b32_e32 v141, 16, v7
	v_lshlrev_b32_e32 v136, 16, v82
	;; [unrolled: 1-line block ×3, first 2 shown]
	v_and_b32_e32 v154, 0xffff0000, v80
	v_and_b32_e32 v125, 0xffff0000, v85
	;; [unrolled: 1-line block ×4, first 2 shown]
	v_lshlrev_b32_e32 v105, 16, v97
	v_and_b32_e32 v156, 0xffff0000, v7
	v_lshlrev_b32_e32 v127, 16, v83
	ds_load_b128 v[80:83], v49 offset:144
	v_and_b32_e32 v183, 0xffff0000, v131
	v_lshlrev_b32_e32 v47, 16, v117
	v_lshlrev_b32_e32 v60, 16, v118
	;; [unrolled: 1-line block ×4, first 2 shown]
	ds_load_b128 v[4:7], v49 offset:128
	v_lshlrev_b32_e32 v110, 16, v84
	v_lshlrev_b32_e32 v108, 16, v86
	;; [unrolled: 1-line block ×7, first 2 shown]
	v_and_b32_e32 v122, 0xffff0000, v96
	v_and_b32_e32 v91, 0xffff0000, v103
	;; [unrolled: 1-line block ×5, first 2 shown]
	v_lshlrev_b32_e32 v75, 16, v103
	s_waitcnt lgkmcnt(1)
	v_lshlrev_b32_e32 v166, 16, v80
	v_and_b32_e32 v165, 0xffff0000, v80
	v_and_b32_e32 v163, 0xffff0000, v81
	v_lshlrev_b32_e32 v160, 16, v83
	v_lshlrev_b32_e32 v164, 16, v81
	;; [unrolled: 1-line block ×3, first 2 shown]
	s_waitcnt lgkmcnt(0)
	v_lshlrev_b32_e32 v182, 16, v4
	v_and_b32_e32 v181, 0xffff0000, v4
	v_and_b32_e32 v179, 0xffff0000, v5
	v_lshlrev_b32_e32 v178, 16, v6
	v_lshlrev_b32_e32 v180, 16, v5
	v_and_b32_e32 v177, 0xffff0000, v6
	v_lshlrev_b32_e32 v176, 16, v7
	v_and_b32_e32 v151, 0xffff0000, v83
	v_and_b32_e32 v89, 0xffff0000, v113
	;; [unrolled: 1-line block ×6, first 2 shown]
	ds_load_b128 v[4:7], v49 offset:160
	ds_load_b128 v[80:83], v49 offset:176
	v_and_b32_e32 v120, 0xffff0000, v98
	v_and_b32_e32 v59, 0xffff0000, v118
	v_lshlrev_b32_e32 v42, 16, v130
	v_lshlrev_b32_e32 v44, 16, v129
	v_and_b32_e32 v93, 0xffff0000, v101
	v_lshlrev_b32_e32 v46, 16, v128
	v_and_b32_e32 v41, 0xffff0000, v130
	;; [unrolled: 2-line block ×3, first 2 shown]
	v_lshlrev_b32_e32 v40, 16, v131
	s_waitcnt lgkmcnt(1)
	v_and_b32_e32 v149, 0xffff0000, v4
	v_lshlrev_b32_e32 v146, 16, v6
	v_lshlrev_b32_e32 v150, 16, v4
	v_and_b32_e32 v145, 0xffff0000, v6
	v_and_b32_e32 v43, 0xffff0000, v129
	v_lshlrev_b32_e32 v77, 16, v101
	v_and_b32_e32 v124, 0xffff0000, v86
	v_and_b32_e32 v123, 0xffff0000, v87
	;; [unrolled: 1-line block ×3, first 2 shown]
	v_lshlrev_b32_e32 v144, 16, v7
	v_lshlrev_b32_e32 v148, 16, v5
	v_and_b32_e32 v99, 0xffff0000, v7
	s_waitcnt lgkmcnt(0)
	v_and_b32_e32 v129, 0xffff0000, v82
	v_and_b32_e32 v147, 0xffff0000, v5
	ds_load_b128 v[4:7], v49 offset:192
	ds_load_b128 v[168:171], v49 offset:208
	v_and_b32_e32 v61, 0xffff0000, v117
	v_and_b32_e32 v57, 0xffff0000, v119
	v_lshlrev_b32_e32 v109, 16, v85
	v_lshlrev_b32_e32 v128, 16, v82
	;; [unrolled: 1-line block ×5, first 2 shown]
	v_and_b32_e32 v132, 0xffff0000, v80
	s_waitcnt lgkmcnt(1)
	v_and_b32_e32 v134, 0xffff0000, v4
	v_and_b32_e32 v87, 0xffff0000, v81
	;; [unrolled: 1-line block ×4, first 2 shown]
	v_lshlrev_b32_e32 v101, 16, v7
	v_lshlrev_b32_e32 v130, 16, v6
	s_waitcnt lgkmcnt(0)
	v_and_b32_e32 v81, 0xffff0000, v169
	v_and_b32_e32 v103, 0xffff0000, v170
	;; [unrolled: 1-line block ×3, first 2 shown]
	v_lshlrev_b32_e32 v97, 16, v169
	v_lshlrev_b32_e32 v116, 16, v168
	;; [unrolled: 1-line block ×4, first 2 shown]
	v_and_b32_e32 v71, 0xffff0000, v171
	ds_load_b128 v[168:171], v49 offset:224
	ds_load_b128 v[6:9], v49 offset:240
	flat_load_b32 v29, v[27:28]
	v_lshlrev_b32_e32 v133, 16, v4
	v_and_b32_e32 v96, 0xffff0000, v5
	v_lshlrev_b32_e32 v115, 16, v5
	s_waitcnt lgkmcnt(2)
	v_lshlrev_b32_e32 v118, 16, v168
	v_and_b32_e32 v119, 0xffff0000, v168
	v_lshlrev_b32_e32 v98, 16, v169
	v_and_b32_e32 v82, 0xffff0000, v169
	;; [unrolled: 2-line block ×4, first 2 shown]
	s_waitcnt vmcnt(0) lgkmcnt(0)
	v_mad_i64_i32 v[4:5], null, v29, v22, 0
	s_delay_alu instid0(VALU_DEP_1) | instskip(NEXT) | instid1(VALU_DEP_1)
	v_lshlrev_b64 v[4:5], 1, v[4:5]
	v_add_co_u32 v4, s3, v53, v4
	s_delay_alu instid0(VALU_DEP_1)
	v_add_co_ci_u32_e64 v5, s3, v54, v5, s3
	s_clause 0x3
	flat_load_b64 v[168:169], v[4:5] offset:256
	flat_load_b64 v[170:171], v[4:5] offset:512
	;; [unrolled: 1-line block ×3, first 2 shown]
	flat_load_b64 v[174:175], v[4:5]
	s_waitcnt vmcnt(3) lgkmcnt(3)
	v_lshlrev_b32_e32 v29, 16, v168
	s_waitcnt vmcnt(0) lgkmcnt(0)
	v_and_b32_e32 v31, 0xffff0000, v175
	s_delay_alu instid0(VALU_DEP_2) | instskip(SKIP_1) | instid1(VALU_DEP_1)
	v_mul_f32_e32 v139, v139, v29
	v_lshlrev_b32_e32 v29, 16, v174
	v_fmac_f32_e32 v139, v142, v29
	v_and_b32_e32 v29, 0xffff0000, v168
	s_delay_alu instid0(VALU_DEP_1) | instskip(NEXT) | instid1(VALU_DEP_1)
	v_dual_mul_f32 v142, v158, v29 :: v_dual_and_b32 v29, 0xffff0000, v174
	v_fmac_f32_e32 v142, v157, v29
	v_lshlrev_b32_e32 v29, 16, v169
	s_delay_alu instid0(VALU_DEP_1) | instskip(SKIP_1) | instid1(VALU_DEP_1)
	v_mul_f32_e32 v141, v141, v29
	v_lshlrev_b32_e32 v29, 16, v175
	v_fmac_f32_e32 v141, v140, v29
	v_and_b32_e32 v29, 0xffff0000, v169
	s_delay_alu instid0(VALU_DEP_1) | instskip(NEXT) | instid1(VALU_DEP_1)
	v_dual_mul_f32 v140, v156, v29 :: v_dual_lshlrev_b32 v29, 16, v170
	v_dual_fmac_f32 v140, v155, v31 :: v_dual_fmac_f32 v139, v138, v29
	v_and_b32_e32 v29, 0xffff0000, v170
	s_delay_alu instid0(VALU_DEP_1) | instskip(NEXT) | instid1(VALU_DEP_1)
	v_dual_fmac_f32 v142, v154, v29 :: v_dual_lshlrev_b32 v29, 16, v171
	v_fmac_f32_e32 v141, v137, v29
	v_and_b32_e32 v29, 0xffff0000, v171
	s_delay_alu instid0(VALU_DEP_1) | instskip(NEXT) | instid1(VALU_DEP_1)
	v_dual_fmac_f32 v140, v153, v29 :: v_dual_lshlrev_b32 v29, 16, v172
	v_fmac_f32_e32 v139, v136, v29
	v_and_b32_e32 v29, 0xffff0000, v172
	s_delay_alu instid0(VALU_DEP_1)
	v_fmac_f32_e32 v142, v152, v29
	s_clause 0x3
	flat_load_b64 v[136:137], v[4:5] offset:1024
	flat_load_b64 v[152:153], v[4:5] offset:1280
	;; [unrolled: 1-line block ×4, first 2 shown]
	v_lshlrev_b32_e32 v29, 16, v173
	s_delay_alu instid0(VALU_DEP_1) | instskip(SKIP_2) | instid1(VALU_DEP_1)
	v_dual_fmac_f32 v141, v127, v29 :: v_dual_lshlrev_b32 v78, 16, v100
	v_and_b32_e32 v29, 0xffff0000, v173
	s_waitcnt vmcnt(3) lgkmcnt(3)
	v_dual_fmac_f32 v140, v143, v29 :: v_dual_lshlrev_b32 v29, 16, v136
	s_delay_alu instid0(VALU_DEP_1) | instskip(SKIP_1) | instid1(VALU_DEP_1)
	v_fmac_f32_e32 v139, v110, v29
	v_and_b32_e32 v29, 0xffff0000, v136
	v_fmac_f32_e32 v142, v126, v29
	v_lshlrev_b32_e32 v29, 16, v137
	s_delay_alu instid0(VALU_DEP_1) | instskip(SKIP_3) | instid1(VALU_DEP_2)
	v_fmac_f32_e32 v141, v109, v29
	v_and_b32_e32 v29, 0xffff0000, v137
	v_and_b32_e32 v94, 0xffff0000, v100
	s_waitcnt vmcnt(2) lgkmcnt(2)
	v_dual_fmac_f32 v140, v125, v29 :: v_dual_lshlrev_b32 v29, 16, v152
	s_delay_alu instid0(VALU_DEP_1) | instskip(SKIP_1) | instid1(VALU_DEP_1)
	v_fmac_f32_e32 v139, v108, v29
	v_and_b32_e32 v29, 0xffff0000, v152
	v_fmac_f32_e32 v142, v124, v29
	v_lshlrev_b32_e32 v29, 16, v153
	s_delay_alu instid0(VALU_DEP_1) | instskip(SKIP_2) | instid1(VALU_DEP_1)
	v_fmac_f32_e32 v141, v107, v29
	v_and_b32_e32 v29, 0xffff0000, v153
	s_waitcnt vmcnt(1) lgkmcnt(1)
	v_dual_fmac_f32 v140, v123, v29 :: v_dual_lshlrev_b32 v29, 16, v154
	s_delay_alu instid0(VALU_DEP_1) | instskip(SKIP_1) | instid1(VALU_DEP_1)
	v_fmac_f32_e32 v139, v106, v29
	v_and_b32_e32 v29, 0xffff0000, v154
	v_dual_fmac_f32 v142, v122, v29 :: v_dual_lshlrev_b32 v29, 16, v155
	s_delay_alu instid0(VALU_DEP_1) | instskip(SKIP_2) | instid1(VALU_DEP_1)
	v_fmac_f32_e32 v141, v105, v29
	v_and_b32_e32 v29, 0xffff0000, v155
	s_waitcnt vmcnt(0) lgkmcnt(0)
	v_dual_fmac_f32 v140, v121, v29 :: v_dual_lshlrev_b32 v29, 16, v156
	s_delay_alu instid0(VALU_DEP_1) | instskip(SKIP_1) | instid1(VALU_DEP_1)
	v_fmac_f32_e32 v139, v104, v29
	v_and_b32_e32 v29, 0xffff0000, v156
	v_fmac_f32_e32 v142, v120, v29
	v_lshlrev_b32_e32 v29, 16, v157
	s_delay_alu instid0(VALU_DEP_1) | instskip(SKIP_1) | instid1(VALU_DEP_1)
	v_fmac_f32_e32 v141, v95, v29
	v_and_b32_e32 v29, 0xffff0000, v157
	v_fmac_f32_e32 v140, v111, v29
	s_clause 0x3
	flat_load_b64 v[104:105], v[4:5] offset:2048
	flat_load_b64 v[106:107], v[4:5] offset:2304
	;; [unrolled: 1-line block ×4, first 2 shown]
	s_waitcnt vmcnt(3) lgkmcnt(3)
	v_lshlrev_b32_e32 v29, 16, v104
	s_delay_alu instid0(VALU_DEP_1) | instskip(SKIP_1) | instid1(VALU_DEP_1)
	v_fmac_f32_e32 v139, v78, v29
	v_and_b32_e32 v29, 0xffff0000, v104
	v_fmac_f32_e32 v142, v94, v29
	v_lshlrev_b32_e32 v29, 16, v105
	s_delay_alu instid0(VALU_DEP_1) | instskip(SKIP_2) | instid1(VALU_DEP_1)
	v_fmac_f32_e32 v141, v77, v29
	v_and_b32_e32 v29, 0xffff0000, v105
	s_waitcnt vmcnt(2) lgkmcnt(2)
	v_dual_fmac_f32 v140, v93, v29 :: v_dual_lshlrev_b32 v29, 16, v106
	s_delay_alu instid0(VALU_DEP_1) | instskip(SKIP_1) | instid1(VALU_DEP_1)
	v_fmac_f32_e32 v139, v76, v29
	v_and_b32_e32 v29, 0xffff0000, v106
	v_dual_fmac_f32 v142, v92, v29 :: v_dual_lshlrev_b32 v29, 16, v107
	s_delay_alu instid0(VALU_DEP_1) | instskip(SKIP_2) | instid1(VALU_DEP_1)
	v_fmac_f32_e32 v141, v75, v29
	v_and_b32_e32 v29, 0xffff0000, v107
	s_waitcnt vmcnt(1) lgkmcnt(1)
	v_dual_fmac_f32 v140, v91, v29 :: v_dual_lshlrev_b32 v29, 16, v108
	s_delay_alu instid0(VALU_DEP_1) | instskip(SKIP_1) | instid1(VALU_DEP_1)
	v_fmac_f32_e32 v139, v74, v29
	v_and_b32_e32 v29, 0xffff0000, v108
	v_fmac_f32_e32 v142, v90, v29
	v_lshlrev_b32_e32 v29, 16, v109
	s_delay_alu instid0(VALU_DEP_1) | instskip(SKIP_2) | instid1(VALU_DEP_1)
	v_fmac_f32_e32 v141, v73, v29
	v_and_b32_e32 v29, 0xffff0000, v109
	s_waitcnt vmcnt(0) lgkmcnt(0)
	v_dual_fmac_f32 v140, v89, v29 :: v_dual_lshlrev_b32 v29, 16, v110
	s_delay_alu instid0(VALU_DEP_1) | instskip(SKIP_2) | instid1(VALU_DEP_1)
	v_fmac_f32_e32 v139, v72, v29
	v_and_b32_e32 v29, 0xffff0000, v110
	v_add_co_u32 v72, s3, 0x1000, v4
	v_add_co_ci_u32_e64 v73, s3, 0, v5, s3
	s_delay_alu instid0(VALU_DEP_3) | instskip(SKIP_1) | instid1(VALU_DEP_2)
	v_dual_fmac_f32 v142, v88, v29 :: v_dual_lshlrev_b32 v29, 16, v111
	v_cmp_gt_i32_e64 s3, 32, v66
	v_fmac_f32_e32 v141, v63, v29
	v_and_b32_e32 v29, 0xffff0000, v111
	s_delay_alu instid0(VALU_DEP_1)
	v_fmac_f32_e32 v140, v79, v29
	s_clause 0x3
	flat_load_b64 v[74:75], v[4:5] offset:3072
	flat_load_b64 v[76:77], v[4:5] offset:3328
	;; [unrolled: 1-line block ×4, first 2 shown]
	s_waitcnt vmcnt(3) lgkmcnt(3)
	v_lshlrev_b32_e32 v29, 16, v74
	s_waitcnt vmcnt(2) lgkmcnt(2)
	v_lshlrev_b32_e32 v31, 16, v77
	s_delay_alu instid0(VALU_DEP_2) | instskip(SKIP_3) | instid1(VALU_DEP_2)
	v_fmac_f32_e32 v139, v56, v29
	v_and_b32_e32 v29, 0xffff0000, v74
	s_waitcnt vmcnt(1) lgkmcnt(1)
	v_and_b32_e32 v56, 0xffff0000, v78
	v_dual_fmac_f32 v142, v62, v29 :: v_dual_lshlrev_b32 v29, 16, v75
	s_waitcnt vmcnt(0) lgkmcnt(0)
	v_and_b32_e32 v62, 0xffff0000, v5
	s_delay_alu instid0(VALU_DEP_2) | instskip(SKIP_2) | instid1(VALU_DEP_2)
	v_fmac_f32_e32 v141, v47, v29
	v_and_b32_e32 v29, 0xffff0000, v75
	v_and_b32_e32 v47, 0xffff0000, v77
	v_dual_fmac_f32 v140, v61, v29 :: v_dual_lshlrev_b32 v29, 16, v76
	s_delay_alu instid0(VALU_DEP_1) | instskip(NEXT) | instid1(VALU_DEP_2)
	v_dual_fmac_f32 v140, v57, v47 :: v_dual_lshlrev_b32 v61, 16, v5
	v_fmac_f32_e32 v139, v60, v29
	v_fmac_f32_e32 v141, v58, v31
	v_lshlrev_b32_e32 v31, 16, v4
	v_and_b32_e32 v58, 0xffff0000, v4
	flat_load_b64 v[4:5], v[72:73]
	v_and_b32_e32 v29, 0xffff0000, v76
	v_and_b32_e32 v60, 0xffff0000, v79
	s_delay_alu instid0(VALU_DEP_2) | instskip(NEXT) | instid1(VALU_DEP_2)
	v_dual_fmac_f32 v142, v59, v29 :: v_dual_lshlrev_b32 v29, 16, v78
	v_dual_fmac_f32 v140, v43, v60 :: v_dual_lshlrev_b32 v59, 16, v79
	s_delay_alu instid0(VALU_DEP_2)
	v_fmac_f32_e32 v142, v45, v56
	flat_load_b64 v[56:57], v[72:73] offset:512
	v_fmac_f32_e32 v141, v44, v59
	flat_load_b64 v[44:45], v[72:73] offset:768
	;; [unrolled: 2-line block ×3, first 2 shown]
	v_fmac_f32_e32 v142, v41, v58
	v_dual_fmac_f32 v140, v183, v62 :: v_dual_fmac_f32 v139, v42, v31
	flat_load_b64 v[42:43], v[72:73] offset:1536
	s_waitcnt vmcnt(4) lgkmcnt(4)
	v_lshlrev_b32_e32 v29, 16, v4
	v_and_b32_e32 v59, 0xffff0000, v4
	v_lshlrev_b32_e32 v60, 16, v5
	v_and_b32_e32 v63, 0xffff0000, v5
	flat_load_b64 v[4:5], v[72:73] offset:1024
	v_fmac_f32_e32 v139, v182, v29
	v_fmac_f32_e32 v141, v40, v61
	s_clause 0x1
	flat_load_b64 v[40:41], v[72:73] offset:1280
	flat_load_b64 v[182:183], v[72:73] offset:1792
	v_fmac_f32_e32 v142, v181, v59
	flat_load_b64 v[58:59], v[72:73] offset:2560
	s_waitcnt vmcnt(7) lgkmcnt(7)
	v_dual_fmac_f32 v140, v179, v63 :: v_dual_lshlrev_b32 v29, 16, v56
	s_waitcnt vmcnt(5) lgkmcnt(5)
	v_lshlrev_b32_e32 v31, 16, v46
	v_and_b32_e32 v74, 0xffff0000, v46
	v_lshlrev_b32_e32 v75, 16, v47
	v_and_b32_e32 v76, 0xffff0000, v47
	flat_load_b64 v[46:47], v[72:73] offset:2048
	v_fmac_f32_e32 v139, v178, v31
	v_fmac_f32_e32 v141, v180, v60
	s_clause 0x2
	flat_load_b64 v[180:181], v[72:73] offset:2304
	flat_load_b64 v[178:179], v[72:73] offset:2816
	;; [unrolled: 1-line block ×3, first 2 shown]
	v_dual_fmac_f32 v142, v177, v74 :: v_dual_fmac_f32 v139, v166, v29
	v_fmac_f32_e32 v141, v176, v75
	flat_load_b64 v[176:177], v[72:73] offset:3328
	v_fmac_f32_e32 v140, v167, v76
	s_clause 0x1
	flat_load_b64 v[166:167], v[72:73] offset:3584
	flat_load_b64 v[62:63], v[72:73] offset:3840
	v_and_b32_e32 v29, 0xffff0000, v56
	v_lshlrev_b32_e32 v31, 16, v6
	v_and_b32_e32 v6, 0xffff0000, v6
	s_delay_alu instid0(VALU_DEP_3) | instskip(SKIP_2) | instid1(VALU_DEP_2)
	v_fmac_f32_e32 v142, v165, v29
	v_lshlrev_b32_e32 v29, 16, v57
	v_and_b32_e32 v165, 0xffff0000, v57
	v_fmac_f32_e32 v141, v164, v29
	s_delay_alu instid0(VALU_DEP_2) | instskip(SKIP_3) | instid1(VALU_DEP_4)
	v_dual_fmac_f32 v140, v163, v165 :: v_dual_lshlrev_b32 v29, 16, v44
	v_and_b32_e32 v163, 0xffff0000, v44
	v_lshlrev_b32_e32 v164, 16, v7
	v_and_b32_e32 v7, 0xffff0000, v7
	v_fmac_f32_e32 v139, v162, v29
	v_lshlrev_b32_e32 v162, 16, v45
	v_dual_fmac_f32 v142, v161, v163 :: v_dual_and_b32 v163, 0xffff0000, v45
	v_lshlrev_b32_e32 v29, 16, v8
	s_delay_alu instid0(VALU_DEP_3) | instskip(NEXT) | instid1(VALU_DEP_3)
	v_dual_fmac_f32 v141, v160, v162 :: v_dual_and_b32 v8, 0xffff0000, v8
	v_dual_fmac_f32 v140, v151, v163 :: v_dual_lshlrev_b32 v161, 16, v9
	s_waitcnt vmcnt(10) lgkmcnt(10)
	v_lshlrev_b32_e32 v165, 16, v4
	v_and_b32_e32 v4, 0xffff0000, v4
	v_lshlrev_b32_e32 v160, 16, v5
	s_waitcnt vmcnt(9) lgkmcnt(9)
	v_lshlrev_b32_e32 v162, 16, v40
	v_and_b32_e32 v151, 0xffff0000, v40
	v_dual_fmac_f32 v139, v150, v165 :: v_dual_fmac_f32 v142, v149, v4
	v_lshlrev_b32_e32 v163, 16, v41
	v_and_b32_e32 v40, 0xffff0000, v41
	v_lshlrev_b32_e32 v41, 16, v42
	v_and_b32_e32 v150, 0xffff0000, v42
	v_dual_fmac_f32 v139, v146, v162 :: v_dual_fmac_f32 v142, v145, v151
	v_and_b32_e32 v5, 0xffff0000, v5
	s_waitcnt vmcnt(8) lgkmcnt(8)
	v_dual_fmac_f32 v141, v148, v160 :: v_dual_and_b32 v4, 0xffff0000, v182
	s_delay_alu instid0(VALU_DEP_3) | instskip(SKIP_3) | instid1(VALU_DEP_4)
	v_dual_fmac_f32 v139, v135, v41 :: v_dual_fmac_f32 v142, v132, v150
	v_lshlrev_b32_e32 v165, 16, v43
	v_and_b32_e32 v42, 0xffff0000, v43
	v_lshlrev_b32_e32 v43, 16, v182
	v_dual_fmac_f32 v141, v144, v163 :: v_dual_fmac_f32 v142, v129, v4
	v_dual_fmac_f32 v140, v147, v5 :: v_dual_lshlrev_b32 v149, 16, v183
	s_waitcnt vmcnt(6) lgkmcnt(6)
	v_and_b32_e32 v148, 0xffff0000, v46
	v_lshlrev_b32_e32 v160, 16, v47
	v_lshlrev_b32_e32 v100, 16, v83
	v_dual_fmac_f32 v140, v99, v40 :: v_dual_fmac_f32 v139, v128, v43
	v_dual_fmac_f32 v141, v114, v165 :: v_dual_and_b32 v182, 0xffff0000, v183
	v_lshlrev_b32_e32 v183, 16, v46
	v_and_b32_e32 v44, 0xffff0000, v47
	s_waitcnt vmcnt(5) lgkmcnt(5)
	v_lshlrev_b32_e32 v45, 16, v180
	v_dual_fmac_f32 v141, v100, v149 :: v_dual_fmac_f32 v142, v134, v148
	v_dual_fmac_f32 v140, v87, v42 :: v_dual_and_b32 v83, 0xffff0000, v83
	v_and_b32_e32 v5, 0xffff0000, v180
	v_lshlrev_b32_e32 v147, 16, v181
	v_and_b32_e32 v180, 0xffff0000, v181
	v_lshlrev_b32_e32 v181, 16, v58
	v_dual_fmac_f32 v140, v83, v182 :: v_dual_fmac_f32 v139, v133, v183
	v_and_b32_e32 v146, 0xffff0000, v58
	v_lshlrev_b32_e32 v162, 16, v59
	s_waitcnt vmcnt(4) lgkmcnt(4)
	s_delay_alu instid0(VALU_DEP_3) | instskip(SKIP_3) | instid1(VALU_DEP_4)
	v_dual_fmac_f32 v140, v96, v44 :: v_dual_lshlrev_b32 v47, 16, v178
	v_fmac_f32_e32 v141, v115, v160
	v_and_b32_e32 v145, 0xffff0000, v178
	v_and_b32_e32 v46, 0xffff0000, v59
	v_dual_fmac_f32 v140, v84, v180 :: v_dual_lshlrev_b32 v151, 16, v179
	s_delay_alu instid0(VALU_DEP_4) | instskip(SKIP_2) | instid1(VALU_DEP_2)
	v_dual_fmac_f32 v142, v131, v5 :: v_dual_fmac_f32 v141, v101, v147
	v_dual_fmac_f32 v139, v130, v45 :: v_dual_and_b32 v178, 0xffff0000, v179
	s_waitcnt vmcnt(3) lgkmcnt(3)
	v_dual_fmac_f32 v142, v117, v146 :: v_dual_lshlrev_b32 v179, 16, v60
	s_delay_alu instid0(VALU_DEP_3) | instskip(NEXT) | instid1(VALU_DEP_3)
	v_fmac_f32_e32 v141, v97, v162
	v_dual_fmac_f32 v139, v116, v181 :: v_dual_and_b32 v144, 0xffff0000, v60
	v_lshlrev_b32_e32 v163, 16, v61
	s_waitcnt vmcnt(2) lgkmcnt(2)
	v_dual_fmac_f32 v142, v103, v145 :: v_dual_lshlrev_b32 v57, 16, v176
	s_delay_alu instid0(VALU_DEP_3) | instskip(SKIP_2) | instid1(VALU_DEP_4)
	v_fmac_f32_e32 v139, v102, v47
	v_and_b32_e32 v135, 0xffff0000, v176
	v_and_b32_e32 v56, 0xffff0000, v61
	v_fmac_f32_e32 v142, v119, v144
	v_fmac_f32_e32 v140, v81, v46
	;; [unrolled: 1-line block ×4, first 2 shown]
	v_lshlrev_b32_e32 v99, 16, v177
	s_waitcnt vmcnt(1) lgkmcnt(1)
	v_lshlrev_b32_e32 v83, 16, v166
	v_and_b32_e32 v5, 0xffff0000, v166
	v_dual_fmac_f32 v140, v71, v178 :: v_dual_fmac_f32 v141, v98, v163
	v_dual_fmac_f32 v139, v112, v57 :: v_dual_fmac_f32 v142, v113, v135
	v_and_b32_e32 v4, 0xffff0000, v177
	v_lshlrev_b32_e32 v84, 16, v167
	s_waitcnt vmcnt(0) lgkmcnt(0)
	v_dual_fmac_f32 v140, v82, v56 :: v_dual_lshlrev_b32 v71, 16, v62
	v_dual_fmac_f32 v141, v86, v99 :: v_dual_and_b32 v82, 0xffff0000, v62
	v_dual_fmac_f32 v139, v31, v83 :: v_dual_fmac_f32 v142, v6, v5
	v_and_b32_e32 v81, 0xffff0000, v167
	v_and_b32_e32 v5, 0xffff0000, v9
	s_delay_alu instid0(VALU_DEP_4) | instskip(SKIP_4) | instid1(VALU_DEP_3)
	v_fmac_f32_e32 v141, v164, v84
	v_fmac_f32_e32 v140, v80, v4
	v_lshlrev_b32_e32 v4, 16, v63
	v_dual_fmac_f32 v139, v29, v71 :: v_dual_fmac_f32 v142, v8, v82
	v_and_b32_e32 v6, 0xffff0000, v63
	v_dual_fmac_f32 v140, v7, v81 :: v_dual_fmac_f32 v141, v161, v4
	v_cndmask_b32_e64 v7, v38, v66, s3
	s_delay_alu instid0(VALU_DEP_4) | instskip(NEXT) | instid1(VALU_DEP_2)
	v_add_f32_e32 v4, v139, v142
	v_dual_fmac_f32 v140, v5, v6 :: v_dual_lshlrev_b32 v5, 2, v7
	s_delay_alu instid0(VALU_DEP_2) | instskip(NEXT) | instid1(VALU_DEP_1)
	v_add_f32_e32 v4, v4, v141
	v_add_f32_e32 v4, v140, v4
	ds_bpermute_b32 v5, v5, v4
	s_and_saveexec_b32 s21, vcc_lo
	s_cbranch_execz .LBB167_11
; %bb.17:                               ;   in Loop: Header=BB167_13 Depth=1
	v_add_nc_u32_e32 v6, v64, v51
	s_load_b32 s22, s[8:9], 0x0
	s_waitcnt lgkmcnt(0)
	v_add_f32_e32 v4, v4, v5
	s_delay_alu instid0(VALU_DEP_2) | instskip(NEXT) | instid1(VALU_DEP_1)
	v_cvt_f32_i32_e32 v6, v6
	v_mul_f32_e32 v6, v37, v6
	s_delay_alu instid0(VALU_DEP_1) | instskip(NEXT) | instid1(VALU_DEP_1)
	v_cndmask_b32_e64 v5, 0, v6, s2
	v_dual_max_f32 v6, v50, v50 :: v_dual_fmac_f32 v5, v4, v13
	v_add_nc_u32_e32 v4, v48, v51
	s_delay_alu instid0(VALU_DEP_2) | instskip(NEXT) | instid1(VALU_DEP_2)
	v_max_f32_e32 v6, v6, v5
	v_cmp_lt_i32_e64 s3, v4, v32
	v_add_nc_u32_e32 v4, s22, v52
	s_delay_alu instid0(VALU_DEP_2) | instskip(NEXT) | instid1(VALU_DEP_4)
	v_cndmask_b32_e64 v5, 0, v5, s3
	v_cndmask_b32_e64 v50, v50, v6, s3
	ds_store_b32 v4, v5
	s_branch .LBB167_11
.LBB167_18:
	s_or_b32 exec_lo, exec_lo, s20
.LBB167_19:
	s_delay_alu instid0(SALU_CYCLE_1)
	s_or_b32 exec_lo, exec_lo, s19
	v_xor_b32_e32 v4, 16, v38
	s_waitcnt lgkmcnt(0)
	v_xor_b32_e32 v5, 8, v38
	s_lshr_b32 s8, s18, 16
	v_dual_max_f32 v6, v50, v50 :: v_dual_lshlrev_b32 v29, 2, v12
	v_cmp_gt_i32_e32 vcc_lo, 32, v4
	v_cndmask_b32_e32 v4, v38, v4, vcc_lo
	v_cmp_gt_i32_e32 vcc_lo, 32, v5
	v_cndmask_b32_e32 v5, v38, v5, vcc_lo
	s_delay_alu instid0(VALU_DEP_1) | instskip(NEXT) | instid1(VALU_DEP_4)
	v_lshlrev_b32_e32 v13, 2, v5
	v_lshlrev_b32_e32 v9, 2, v4
	ds_bpermute_b32 v4, v9, v50
	s_waitcnt lgkmcnt(0)
	v_max_f32_e32 v4, v4, v4
	s_delay_alu instid0(VALU_DEP_1)
	v_max_f32_e32 v4, v6, v4
	v_xor_b32_e32 v6, 4, v38
	ds_bpermute_b32 v5, v13, v4
	v_cmp_gt_i32_e32 vcc_lo, 32, v6
	s_waitcnt lgkmcnt(0)
	v_dual_cndmask_b32 v6, v38, v6 :: v_dual_max_f32 v5, v5, v5
	s_delay_alu instid0(VALU_DEP_1) | instskip(NEXT) | instid1(VALU_DEP_2)
	v_max_f32_e32 v4, v4, v5
	v_lshlrev_b32_e32 v28, 2, v6
	v_xor_b32_e32 v6, 2, v38
	ds_bpermute_b32 v5, v28, v4
	v_cmp_gt_i32_e32 vcc_lo, 32, v6
	v_cndmask_b32_e32 v6, v38, v6, vcc_lo
	s_waitcnt lgkmcnt(0)
	s_delay_alu instid0(VALU_DEP_1) | instskip(NEXT) | instid1(VALU_DEP_1)
	v_dual_max_f32 v5, v5, v5 :: v_dual_lshlrev_b32 v8, 2, v6
	v_dual_max_f32 v5, v4, v5 :: v_dual_and_b32 v4, 31, v30
	ds_bpermute_b32 v6, v8, v5
	v_cmp_eq_u32_e32 vcc_lo, 0, v4
	s_and_saveexec_b32 s2, vcc_lo
	s_cbranch_execz .LBB167_21
; %bb.20:
	s_waitcnt lgkmcnt(0)
	v_dual_max_f32 v6, v6, v6 :: v_dual_max_f32 v5, v5, v5
	s_delay_alu instid0(VALU_DEP_1)
	v_max_f32_e32 v5, v5, v6
	ds_store_b32 v29, v5 offset:512
.LBB167_21:
	s_or_b32 exec_lo, exec_lo, s2
	v_cmp_gt_u32_e64 s2, 4, v4
	v_mov_b32_e32 v5, 0xff7fffff
	v_lshlrev_b32_e32 v31, 2, v4
	s_waitcnt lgkmcnt(0)
	s_barrier
	buffer_gl0_inv
	s_and_saveexec_b32 s3, s2
	s_cbranch_execz .LBB167_23
; %bb.22:
	ds_load_b32 v5, v31 offset:512
.LBB167_23:
	s_or_b32 exec_lo, exec_lo, s3
	s_waitcnt lgkmcnt(0)
	ds_bpermute_b32 v6, v8, v5
	v_xor_b32_e32 v7, 1, v38
	v_max_f32_e32 v5, v5, v5
	s_delay_alu instid0(VALU_DEP_2) | instskip(NEXT) | instid1(VALU_DEP_1)
	v_cmp_gt_i32_e64 s3, 32, v7
	v_cndmask_b32_e64 v7, v38, v7, s3
	s_delay_alu instid0(VALU_DEP_1) | instskip(SKIP_3) | instid1(VALU_DEP_2)
	v_lshlrev_b32_e32 v27, 2, v7
	v_subrev_nc_u32_e32 v7, s13, v36
	s_waitcnt lgkmcnt(0)
	v_max_f32_e32 v6, v6, v6
	v_lshl_add_u32 v7, v7, 4, s15
	s_delay_alu instid0(VALU_DEP_2) | instskip(NEXT) | instid1(VALU_DEP_2)
	v_max_f32_e32 v5, v5, v6
	v_min_i32_e32 v7, v7, v32
	ds_bpermute_b32 v6, v27, v5
	v_subrev_nc_u32_e32 v7, s15, v7
	s_delay_alu instid0(VALU_DEP_1) | instskip(SKIP_2) | instid1(VALU_DEP_1)
	v_cmp_lt_i32_e64 s3, v30, v7
	s_waitcnt lgkmcnt(0)
	v_max_f32_e32 v6, v6, v6
	v_dual_max_f32 v6, v5, v6 :: v_dual_mov_b32 v5, 0
	ds_bpermute_b32 v6, v5, v6
	s_and_saveexec_b32 s9, s3
	s_cbranch_execz .LBB167_27
; %bb.24:
	s_getpc_b64 s[18:19]
	s_add_u32 s18, s18, llvm.amdgcn.dynlds.offset.table@rel32@lo+4
	s_addc_u32 s19, s19, llvm.amdgcn.dynlds.offset.table@rel32@hi+12
	s_ashr_i32 s17, s16, 31
	v_dual_mov_b32 v5, 0 :: v_dual_mov_b32 v38, v30
	s_lshl_b64 s[20:21], s[16:17], 2
	s_mov_b32 s13, 0
	s_add_u32 s18, s20, s18
	s_addc_u32 s19, s21, s19
	s_load_b32 s4, s[18:19], 0x0
	s_waitcnt lgkmcnt(0)
	v_lshl_add_u32 v37, v30, 2, s4
	.p2align	6
.LBB167_25:                             ; =>This Inner Loop Header: Depth=1
	ds_load_b32 v39, v37
	s_waitcnt lgkmcnt(0)
	v_sub_f32_e32 v39, v39, v6
	s_delay_alu instid0(VALU_DEP_1) | instskip(NEXT) | instid1(VALU_DEP_1)
	v_mul_f32_e32 v39, 0x3fb8aa3b, v39
	v_exp_f32_e32 v39, v39
	s_waitcnt_depctr 0xfff
	v_dual_add_f32 v5, v5, v39 :: v_dual_add_nc_u32 v38, 0x80, v38
	s_delay_alu instid0(VALU_DEP_1) | instskip(SKIP_3) | instid1(SALU_CYCLE_1)
	v_cmp_ge_i32_e64 s4, v38, v7
	ds_store_b32 v37, v39
	v_add_nc_u32_e32 v37, 0x200, v37
	s_or_b32 s13, s4, s13
	s_and_not1_b32 exec_lo, exec_lo, s13
	s_cbranch_execnz .LBB167_25
; %bb.26:
	s_or_b32 exec_lo, exec_lo, s13
.LBB167_27:
	s_delay_alu instid0(SALU_CYCLE_1)
	s_or_b32 exec_lo, exec_lo, s9
	ds_bpermute_b32 v9, v9, v5
	s_waitcnt lgkmcnt(0)
	v_add_f32_e32 v5, v5, v9
	ds_bpermute_b32 v9, v13, v5
	s_waitcnt lgkmcnt(0)
	v_add_f32_e32 v5, v5, v9
	;; [unrolled: 3-line block ×5, first 2 shown]
	s_and_saveexec_b32 s4, vcc_lo
	s_cbranch_execz .LBB167_29
; %bb.28:
	ds_store_b32 v29, v5 offset:528
.LBB167_29:
	s_or_b32 exec_lo, exec_lo, s4
	s_waitcnt lgkmcnt(0)
	s_barrier
	buffer_gl0_inv
	s_and_saveexec_b32 s4, s2
	s_cbranch_execz .LBB167_31
; %bb.30:
	ds_load_b32 v5, v31 offset:528
.LBB167_31:
	s_or_b32 exec_lo, exec_lo, s4
	s_waitcnt lgkmcnt(0)
	ds_bpermute_b32 v8, v8, v5
	s_waitcnt lgkmcnt(0)
	v_add_f32_e32 v5, v5, v8
	ds_bpermute_b32 v8, v27, v5
	s_waitcnt lgkmcnt(0)
	v_dual_add_f32 v5, v5, v8 :: v_dual_mov_b32 v8, 0
	ds_bpermute_b32 v8, v8, v5
	s_and_saveexec_b32 s2, s3
	s_cbranch_execz .LBB167_34
; %bb.32:
	s_waitcnt lgkmcnt(0)
	v_add_f32_e32 v9, 0x358637bd, v8
	s_getpc_b64 s[18:19]
	s_add_u32 s18, s18, llvm.amdgcn.dynlds.offset.table@rel32@lo+4
	s_addc_u32 s19, s19, llvm.amdgcn.dynlds.offset.table@rel32@hi+12
	s_ashr_i32 s17, s16, 31
	s_delay_alu instid0(SALU_CYCLE_1) | instskip(SKIP_3) | instid1(VALU_DEP_2)
	s_lshl_b64 s[20:21], s[16:17], 2
	v_div_scale_f32 v5, null, v9, v9, 1.0
	v_div_scale_f32 v29, vcc_lo, 1.0, v9, 1.0
	s_add_u32 s18, s20, s18
	v_rcp_f32_e32 v13, v5
	s_addc_u32 s19, s21, s19
	s_load_b32 s3, s[18:19], 0x0
	s_waitcnt_depctr 0xfff
	v_fma_f32 v28, -v5, v13, 1.0
	s_delay_alu instid0(VALU_DEP_1) | instskip(NEXT) | instid1(VALU_DEP_1)
	v_fmac_f32_e32 v13, v28, v13
	v_mul_f32_e32 v28, v29, v13
	s_delay_alu instid0(VALU_DEP_1) | instskip(NEXT) | instid1(VALU_DEP_1)
	v_fma_f32 v31, -v5, v28, v29
	v_fmac_f32_e32 v28, v31, v13
	s_delay_alu instid0(VALU_DEP_1) | instskip(NEXT) | instid1(VALU_DEP_1)
	v_fma_f32 v5, -v5, v28, v29
	v_div_fmas_f32 v13, v5, v13, v28
	s_waitcnt lgkmcnt(0)
	v_lshl_add_u32 v5, v30, 2, s3
	s_mov_b32 s3, 0
	s_delay_alu instid0(VALU_DEP_2)
	v_div_fixup_f32 v9, v13, v9, 1.0
	v_mov_b32_e32 v13, v30
.LBB167_33:                             ; =>This Inner Loop Header: Depth=1
	ds_load_b32 v28, v5
	s_waitcnt lgkmcnt(0)
	v_dual_mul_f32 v28, v9, v28 :: v_dual_add_nc_u32 v13, 0x80, v13
	s_delay_alu instid0(VALU_DEP_1) | instskip(SKIP_3) | instid1(SALU_CYCLE_1)
	v_cmp_ge_i32_e32 vcc_lo, v13, v7
	ds_store_b32 v5, v28
	v_add_nc_u32_e32 v5, 0x200, v5
	s_or_b32 s3, vcc_lo, s3
	s_and_not1_b32 exec_lo, exec_lo, s3
	s_cbranch_execnz .LBB167_33
.LBB167_34:
	s_or_b32 exec_lo, exec_lo, s2
	v_cmp_ne_u16_e64 s2, s8, 0
	s_waitcnt lgkmcnt(0)
	s_barrier
	buffer_gl0_inv
	s_cmp_lg_u32 s2, 0
	s_mov_b32 s2, exec_lo
	s_addc_u32 s4, s11, 0
	v_cmpx_eq_u32_e32 0, v30
	s_cbranch_execz .LBB167_36
; %bb.35:
	s_mul_i32 s3, s4, s6
	s_mul_i32 s8, s4, s12
	;; [unrolled: 1-line block ×3, first 2 shown]
	s_ashr_i32 s9, s8, 31
	s_ashr_i32 s15, s14, 31
	;; [unrolled: 1-line block ×3, first 2 shown]
	s_lshl_b64 s[8:9], s[8:9], 2
	s_lshl_b64 s[18:19], s[14:15], 2
	;; [unrolled: 1-line block ×3, first 2 shown]
	s_add_u32 s3, s18, s8
	s_addc_u32 s8, s19, s9
	s_add_u32 s3, s3, s12
	s_addc_u32 s8, s8, s13
	v_add_co_u32 v2, vcc_lo, s3, v2
	v_add_co_ci_u32_e32 v3, vcc_lo, s8, v3, vcc_lo
	v_add_co_u32 v0, vcc_lo, s3, v0
	v_add_co_ci_u32_e32 v1, vcc_lo, s8, v1, vcc_lo
	flat_store_b32 v[2:3], v6
	flat_store_b32 v[0:1], v8
.LBB167_36:
	s_or_b32 exec_lo, exec_lo, s2
	s_ashr_i32 s17, s16, 31
	s_getpc_b64 s[2:3]
	s_add_u32 s2, s2, llvm.amdgcn.dynlds.offset.table@rel32@lo+4
	s_addc_u32 s3, s3, llvm.amdgcn.dynlds.offset.table@rel32@hi+12
	s_lshl_b64 s[8:9], s[16:17], 2
	v_dual_mov_b32 v67, 0 :: v_dual_mov_b32 v66, 0
	v_dual_mov_b32 v65, 0 :: v_dual_mov_b32 v64, 0
	;; [unrolled: 1-line block ×8, first 2 shown]
	s_add_u32 s2, s8, s2
	s_addc_u32 s3, s9, s3
	s_mov_b32 s9, 0
	s_and_saveexec_b32 s8, s1
	s_cbranch_execz .LBB167_618
; %bb.37:
	v_max_i32_e32 v26, v26, v68
	v_and_b32_e32 v5, 0xf8, v69
	v_lshlrev_b64 v[0:1], 1, v[23:24]
	v_and_b32_e32 v68, 8, v69
	s_load_b32 s1, s[2:3], 0x0
	v_cvt_f32_u32_e32 v2, v26
	v_or_b32_e32 v38, 0xe00, v5
	v_sub_nc_u32_e32 v48, 0, v26
	v_add_co_u32 v24, vcc_lo, v10, v0
	s_delay_alu instid0(VALU_DEP_4)
	v_rcp_iflag_f32_e32 v6, v2
	v_lshlrev_b64 v[2:3], 2, v[17:18]
	v_dual_mov_b32 v55, 0 :: v_dual_lshlrev_b32 v82, 1, v38
	v_mov_b32_e32 v38, 0
	v_or_b32_e32 v8, 0x800, v5
	v_add_co_ci_u32_e32 v69, vcc_lo, v11, v1, vcc_lo
	v_or_b32_e32 v9, 0x900, v5
	v_or_b32_e32 v13, 0xa00, v5
	s_delay_alu instid0(TRANS32_DEP_1)
	v_mul_f32_e32 v6, 0x4f7ffffe, v6
	v_or_b32_e32 v29, 0xb00, v5
	v_or_b32_e32 v31, 0xc00, v5
	;; [unrolled: 1-line block ×4, first 2 shown]
	v_lshlrev_b32_e32 v18, 1, v5
	v_add_co_u32 v1, vcc_lo, v19, v2
	v_lshlrev_b32_e32 v19, 1, v8
	v_cvt_u32_f32_e32 v5, v6
	v_and_b32_e32 v7, 1, v30
	v_add_co_ci_u32_e32 v2, vcc_lo, v20, v3, vcc_lo
	v_mov_b32_e32 v50, 0
	s_delay_alu instid0(VALU_DEP_4) | instskip(NEXT) | instid1(VALU_DEP_4)
	v_mul_lo_u32 v0, v48, v5
	v_dual_mov_b32 v48, 0 :: v_dual_lshlrev_b32 v7, 5, v7
	v_add_co_u32 v10, vcc_lo, v14, v1
	v_dual_mov_b32 v28, 0 :: v_dual_add_nc_u32 v23, -1, v70
	s_delay_alu instid0(VALU_DEP_3)
	v_lshl_or_b32 v7, v12, 6, v7
	v_mul_hi_u32 v0, v5, v0
	v_dual_mov_b32 v49, 0 :: v_dual_lshlrev_b32 v20, 1, v9
	v_dual_mov_b32 v51, 0 :: v_dual_lshlrev_b32 v70, 1, v13
	;; [unrolled: 1-line block ×5, first 2 shown]
	v_add_co_ci_u32_e32 v11, vcc_lo, v15, v2, vcc_lo
	s_waitcnt lgkmcnt(0)
	v_dual_mov_b32 v65, 0 :: v_dual_add_nc_u32 v14, s1, v7
	v_dual_mov_b32 v64, 0 :: v_dual_add_nc_u32 v15, v5, v0
	v_dual_mov_b32 v66, 0 :: v_dual_lshlrev_b32 v83, 1, v39
	v_mov_b32_e32 v37, 0
	v_mov_b32_e32 v39, 0
	;; [unrolled: 1-line block ×3, first 2 shown]
	s_branch .LBB167_40
.LBB167_38:                             ;   in Loop: Header=BB167_40 Depth=1
	s_or_b32 exec_lo, exec_lo, s1
	v_and_b32_e32 v13, 0xffff0000, v187
	v_and_b32_e32 v117, 0xffff0000, v186
	;; [unrolled: 1-line block ×6, first 2 shown]
	v_dual_add_f32 v13, v117, v13 :: v_dual_and_b32 v132, 0xffff0000, v155
	v_and_b32_e32 v133, 0xffff0000, v154
	v_and_b32_e32 v5, 0xffff0000, v189
	s_delay_alu instid0(VALU_DEP_4) | instskip(SKIP_2) | instid1(VALU_DEP_3)
	v_dual_add_f32 v29, v29, v31 :: v_dual_and_b32 v128, 0xffff0000, v190
	v_and_b32_e32 v131, 0xffff0000, v157
	v_and_b32_e32 v7, 0xffff0000, v7
	v_dual_add_f32 v117, v128, v119 :: v_dual_and_b32 v6, 0xffff0000, v6
	v_and_b32_e32 v119, 0xffff0000, v171
	v_and_b32_e32 v128, 0xffff0000, v170
	;; [unrolled: 1-line block ×3, first 2 shown]
	s_delay_alu instid0(VALU_DEP_4) | instskip(NEXT) | instid1(VALU_DEP_3)
	v_dual_add_f32 v6, v6, v7 :: v_dual_and_b32 v31, 0xffff0000, v173
	v_dual_add_f32 v119, v128, v119 :: v_dual_and_b32 v134, 0xffff0000, v156
	v_dual_add_f32 v128, v133, v132 :: v_dual_add_f32 v5, v118, v5
	s_delay_alu instid0(VALU_DEP_2) | instskip(SKIP_2) | instid1(VALU_DEP_4)
	v_dual_add_f32 v131, v134, v131 :: v_dual_and_b32 v118, 0xffff0000, v174
	v_and_b32_e32 v132, 0xffff0000, v158
	v_and_b32_e32 v129, 0xffff0000, v184
	v_add_f32_e32 v5, v13, v5
	v_and_b32_e32 v13, 0xffff0000, v175
	v_and_b32_e32 v99, 0xffff0000, v99
	;; [unrolled: 1-line block ×4, first 2 shown]
	v_add_f32_e32 v5, v5, v117
	v_and_b32_e32 v117, 0xffff0000, v172
	v_dual_add_f32 v13, v118, v13 :: v_dual_and_b32 v118, 0xffff0000, v168
	s_delay_alu instid0(VALU_DEP_3) | instskip(NEXT) | instid1(VALU_DEP_3)
	v_dual_add_f32 v98, v98, v99 :: v_dual_add_f32 v5, v5, v29
	v_add_f32_e32 v31, v117, v31
	v_and_b32_e32 v117, 0xffff0000, v159
	v_dual_add_f32 v29, v129, v130 :: v_dual_and_b32 v130, 0xffff0000, v153
	s_delay_alu instid0(VALU_DEP_4) | instskip(NEXT) | instid1(VALU_DEP_4)
	v_add_f32_e32 v37, v37, v5
	v_add_f32_e32 v31, v119, v31
	;; [unrolled: 1-line block ×3, first 2 shown]
	v_dual_add_f32 v117, v132, v117 :: v_dual_and_b32 v132, 0xffff0000, v124
	v_and_b32_e32 v128, 0xffff0000, v169
	s_delay_alu instid0(VALU_DEP_4) | instskip(SKIP_1) | instid1(VALU_DEP_4)
	v_add_f32_e32 v13, v31, v13
	v_and_b32_e32 v131, 0xffff0000, v122
	v_add_f32_e32 v31, v119, v117
	v_and_b32_e32 v119, 0xffff0000, v140
	v_add_f32_e32 v117, v118, v128
	v_dual_add_f32 v5, v13, v29 :: v_dual_and_b32 v118, 0xffff0000, v138
	v_and_b32_e32 v29, 0xffff0000, v143
	s_delay_alu instid0(VALU_DEP_3) | instskip(SKIP_3) | instid1(VALU_DEP_4)
	v_dual_add_f32 v13, v31, v117 :: v_dual_and_b32 v128, 0xffff0000, v142
	v_and_b32_e32 v31, 0xffff0000, v141
	v_and_b32_e32 v117, 0xffff0000, v139
	;; [unrolled: 1-line block ×3, first 2 shown]
	v_dual_add_f32 v29, v128, v29 :: v_dual_and_b32 v128, 0xffff0000, v126
	s_delay_alu instid0(VALU_DEP_4) | instskip(NEXT) | instid1(VALU_DEP_4)
	v_add_f32_e32 v31, v119, v31
	v_add_f32_e32 v117, v118, v117
	v_and_b32_e32 v118, 0xffff0000, v125
	v_and_b32_e32 v119, 0xffff0000, v123
	;; [unrolled: 1-line block ×3, first 2 shown]
	s_delay_alu instid0(VALU_DEP_4) | instskip(NEXT) | instid1(VALU_DEP_3)
	v_dual_add_f32 v31, v117, v31 :: v_dual_and_b32 v84, 0xffff0000, v84
	v_dual_add_f32 v118, v132, v118 :: v_dual_add_f32 v119, v131, v119
	v_and_b32_e32 v8, 0xffff0000, v8
	v_and_b32_e32 v117, 0xffff0000, v127
	;; [unrolled: 1-line block ×3, first 2 shown]
	v_dual_add_f32 v29, v31, v29 :: v_dual_and_b32 v134, 0xffff0000, v62
	v_add_f32_e32 v118, v119, v118
	v_add_f32_e32 v8, v8, v9
	;; [unrolled: 1-line block ×3, first 2 shown]
	v_dual_add_f32 v31, v129, v130 :: v_dual_and_b32 v128, 0xffff0000, v108
	v_dual_add_f32 v39, v39, v13 :: v_dual_and_b32 v132, 0xffff0000, v90
	s_delay_alu instid0(VALU_DEP_3)
	v_add_f32_e32 v13, v118, v117
	v_and_b32_e32 v117, 0xffff0000, v109
	v_and_b32_e32 v0, 0xffff0000, v0
	v_and_b32_e32 v119, 0xffff0000, v137
	v_add_f32_e32 v9, v84, v85
	v_and_b32_e32 v129, 0xffff0000, v136
	v_dual_add_f32 v117, v128, v117 :: v_dual_and_b32 v118, 0xffff0000, v107
	v_and_b32_e32 v128, 0xffff0000, v91
	v_dual_add_f32 v38, v38, v5 :: v_dual_add_f32 v5, v29, v31
	s_delay_alu instid0(VALU_DEP_4)
	v_dual_add_f32 v8, v8, v9 :: v_dual_add_f32 v29, v129, v119
	v_and_b32_e32 v119, 0xffff0000, v106
	v_and_b32_e32 v31, 0xffff0000, v111
	;; [unrolled: 1-line block ×5, first 2 shown]
	v_dual_add_f32 v118, v119, v118 :: v_dual_and_b32 v119, 0xffff0000, v93
	v_and_b32_e32 v131, 0xffff0000, v121
	v_dual_add_f32 v31, v129, v31 :: v_dual_add_f32 v128, v132, v128
	s_delay_alu instid0(VALU_DEP_3) | instskip(NEXT) | instid1(VALU_DEP_4)
	v_dual_add_f32 v117, v118, v117 :: v_dual_and_b32 v118, 0xffff0000, v95
	v_add_f32_e32 v119, v133, v119
	v_and_b32_e32 v129, 0xffff0000, v94
	v_and_b32_e32 v101, 0xffff0000, v101
	s_delay_alu instid0(VALU_DEP_4) | instskip(SKIP_1) | instid1(VALU_DEP_4)
	v_dual_add_f32 v31, v117, v31 :: v_dual_and_b32 v100, 0xffff0000, v100
	v_dual_add_f32 v117, v130, v131 :: v_dual_and_b32 v130, 0xffff0000, v104
	v_dual_add_f32 v119, v128, v119 :: v_dual_add_f32 v118, v129, v118
	v_and_b32_e32 v128, 0xffff0000, v105
	v_and_b32_e32 v131, 0xffff0000, v63
	;; [unrolled: 1-line block ×3, first 2 shown]
	v_add_f32_e32 v48, v48, v5
	v_dual_add_f32 v5, v13, v29 :: v_dual_and_b32 v86, 0xffff0000, v86
	v_add_f32_e32 v29, v119, v118
	v_and_b32_e32 v119, 0xffff0000, v77
	v_and_b32_e32 v133, 0xffff0000, v60
	v_dual_add_f32 v99, v100, v101 :: v_dual_and_b32 v100, 0xffff0000, v102
	v_add_f32_e32 v13, v31, v117
	v_dual_add_f32 v31, v130, v128 :: v_dual_and_b32 v84, 0xffff0000, v115
	v_and_b32_e32 v128, 0xffff0000, v76
	v_and_b32_e32 v117, 0xffff0000, v79
	v_dual_add_f32 v131, v134, v131 :: v_dual_and_b32 v118, 0xffff0000, v78
	s_delay_alu instid0(VALU_DEP_3)
	v_dual_add_f32 v7, v128, v119 :: v_dual_and_b32 v2, 0xffff0000, v2
	v_dual_add_f32 v128, v133, v132 :: v_dual_and_b32 v119, 0xffff0000, v73
	v_and_b32_e32 v132, 0xffff0000, v72
	v_and_b32_e32 v129, 0xffff0000, v88
	;; [unrolled: 1-line block ×3, first 2 shown]
	v_add_f32_e32 v6, v6, v7
	v_add_f32_e32 v7, v118, v117
	v_dual_add_f32 v118, v128, v131 :: v_dual_and_b32 v117, 0xffff0000, v74
	v_add_f32_e32 v119, v132, v119
	v_and_b32_e32 v128, 0xffff0000, v75
	v_add_f32_e32 v29, v29, v31
	v_dual_add_f32 v6, v6, v7 :: v_dual_add_f32 v7, v129, v130
	s_delay_alu instid0(VALU_DEP_4) | instskip(NEXT) | instid1(VALU_DEP_4)
	v_add_f32_e32 v31, v118, v119
	v_add_f32_e32 v117, v117, v128
	;; [unrolled: 1-line block ×5, first 2 shown]
	s_delay_alu instid0(VALU_DEP_4)
	v_dual_add_f32 v5, v6, v7 :: v_dual_add_f32 v6, v31, v117
	v_and_b32_e32 v13, 0xffff0000, v47
	v_and_b32_e32 v29, 0xffff0000, v45
	;; [unrolled: 1-line block ×7, first 2 shown]
	v_add_f32_e32 v29, v31, v29
	v_add_f32_e32 v13, v117, v13
	v_and_b32_e32 v31, 0xffff0000, v183
	v_and_b32_e32 v117, 0xffff0000, v181
	v_and_b32_e32 v130, 0xffff0000, v182
	v_and_b32_e32 v119, 0xffff0000, v58
	v_dual_add_f32 v13, v29, v13 :: v_dual_and_b32 v128, 0xffff0000, v59
	v_add_f32_e32 v7, v118, v7
	v_and_b32_e32 v29, 0xffff0000, v41
	v_add_f32_e32 v117, v129, v117
	v_dual_add_f32 v31, v130, v31 :: v_dual_and_b32 v118, 0xffff0000, v40
	s_delay_alu instid0(VALU_DEP_4) | instskip(SKIP_2) | instid1(VALU_DEP_4)
	v_add_f32_e32 v7, v13, v7
	v_add_f32_e32 v13, v119, v128
	v_and_b32_e32 v119, 0xffff0000, v42
	v_add_f32_e32 v31, v117, v31
	v_add_f32_e32 v29, v118, v29
	v_dual_add_f32 v52, v52, v5 :: v_dual_and_b32 v117, 0xffff0000, v43
	v_add_f32_e32 v53, v53, v6
	v_add_f32_e32 v5, v7, v13
	s_delay_alu instid0(VALU_DEP_4) | instskip(NEXT) | instid1(VALU_DEP_4)
	v_add_f32_e32 v6, v31, v29
	v_add_f32_e32 v7, v119, v117
	v_and_b32_e32 v13, 0xffff0000, v167
	v_and_b32_e32 v29, 0xffff0000, v165
	;; [unrolled: 1-line block ×3, first 2 shown]
	v_dual_add_f32 v54, v54, v5 :: v_dual_and_b32 v117, 0xffff0000, v166
	v_dual_add_f32 v5, v6, v7 :: v_dual_and_b32 v6, 0xffff0000, v177
	s_delay_alu instid0(VALU_DEP_3) | instskip(NEXT) | instid1(VALU_DEP_3)
	v_add_f32_e32 v7, v31, v29
	v_add_f32_e32 v13, v117, v13
	v_and_b32_e32 v29, 0xffff0000, v176
	v_and_b32_e32 v117, 0xffff0000, v148
	v_dual_add_f32 v55, v55, v5 :: v_dual_and_b32 v118, 0xffff0000, v150
	s_delay_alu instid0(VALU_DEP_3) | instskip(SKIP_3) | instid1(VALU_DEP_4)
	v_dual_add_f32 v7, v7, v13 :: v_dual_add_f32 v6, v29, v6
	v_and_b32_e32 v13, 0xffff0000, v151
	v_and_b32_e32 v29, 0xffff0000, v149
	;; [unrolled: 1-line block ×3, first 2 shown]
	v_dual_add_f32 v6, v7, v6 :: v_dual_and_b32 v31, 0xffff0000, v179
	s_delay_alu instid0(VALU_DEP_4) | instskip(NEXT) | instid1(VALU_DEP_4)
	v_add_f32_e32 v13, v118, v13
	v_add_f32_e32 v29, v117, v29
	v_and_b32_e32 v7, 0xffff0000, v161
	s_delay_alu instid0(VALU_DEP_4)
	v_add_f32_e32 v5, v5, v31
	v_add_f32_e32 v31, v98, v99
	v_and_b32_e32 v119, 0xffff0000, v160
	v_add_f32_e32 v13, v29, v13
	v_and_b32_e32 v29, 0xffff0000, v103
	v_and_b32_e32 v117, 0xffff0000, v162
	;; [unrolled: 1-line block ×3, first 2 shown]
	v_dual_add_f32 v7, v119, v7 :: v_dual_and_b32 v98, 0xffff0000, v113
	s_delay_alu instid0(VALU_DEP_4) | instskip(SKIP_2) | instid1(VALU_DEP_4)
	v_dual_add_f32 v29, v100, v29 :: v_dual_and_b32 v100, 0xffff0000, v112
	v_and_b32_e32 v99, 0xffff0000, v147
	v_and_b32_e32 v3, 0xffff0000, v3
	v_add_f32_e32 v7, v13, v7
	s_delay_alu instid0(VALU_DEP_4)
	v_add_f32_e32 v29, v31, v29
	v_and_b32_e32 v31, 0xffff0000, v87
	v_and_b32_e32 v87, 0xffff0000, v96
	;; [unrolled: 1-line block ×4, first 2 shown]
	v_add_f32_e32 v13, v117, v101
	v_dual_add_f32 v9, v86, v31 :: v_dual_add_f32 v0, v0, v100
	v_add_f32_e32 v31, v98, v99
	s_delay_alu instid0(VALU_DEP_4) | instskip(NEXT) | instid1(VALU_DEP_3)
	v_add_f32_e32 v1, v1, v97
	v_dual_add_f32 v8, v8, v9 :: v_dual_add_f32 v9, v87, v96
	s_delay_alu instid0(VALU_DEP_2) | instskip(SKIP_1) | instid1(VALU_DEP_1)
	v_dual_add_f32 v0, v0, v1 :: v_dual_add_f32 v1, v2, v84
	v_and_b32_e32 v2, 0xffff0000, v116
	v_dual_add_f32 v0, v0, v1 :: v_dual_add_f32 v1, v3, v2
	v_add_f32_e32 v2, v6, v5
	v_add_f32_e32 v3, v7, v13
	v_dual_add_f32 v5, v29, v31 :: v_dual_add_f32 v6, v8, v9
	s_delay_alu instid0(VALU_DEP_4) | instskip(NEXT) | instid1(VALU_DEP_3)
	v_add_f32_e32 v0, v0, v1
	v_dual_add_f32 v64, v64, v2 :: v_dual_add_f32 v65, v65, v3
	s_delay_alu instid0(VALU_DEP_3) | instskip(NEXT) | instid1(VALU_DEP_3)
	v_dual_add_f32 v66, v66, v5 :: v_dual_add_f32 v67, v67, v6
	v_add_f32_e32 v28, v28, v0
.LBB167_39:                             ;   in Loop: Header=BB167_40 Depth=1
	s_or_b32 exec_lo, exec_lo, s11
	v_add_nc_u32_e32 v17, 4, v17
	v_add_co_u32 v10, s1, v10, 16
	s_delay_alu instid0(VALU_DEP_1) | instskip(NEXT) | instid1(VALU_DEP_3)
	v_add_co_ci_u32_e64 v11, s1, 0, v11, s1
	v_cmp_ge_i32_e32 vcc_lo, v17, v36
	v_add_nc_u32_e32 v35, 64, v35
	v_add_nc_u32_e32 v14, 0x100, v14
	s_or_b32 s9, vcc_lo, s9
	s_delay_alu instid0(SALU_CYCLE_1)
	s_and_not1_b32 exec_lo, exec_lo, s9
	s_cbranch_execz .LBB167_617
.LBB167_40:                             ; =>This Inner Loop Header: Depth=1
	v_sub_nc_u32_e32 v0, 0, v35
	s_delay_alu instid0(VALU_DEP_1) | instskip(NEXT) | instid1(VALU_DEP_1)
	v_max_i32_e32 v0, v35, v0
	v_mul_hi_u32 v1, v0, v33
	s_delay_alu instid0(VALU_DEP_1) | instskip(NEXT) | instid1(VALU_DEP_1)
	v_mul_lo_u32 v2, v1, v21
	v_sub_nc_u32_e32 v0, v0, v2
	v_add_nc_u32_e32 v2, 1, v1
	s_delay_alu instid0(VALU_DEP_2) | instskip(SKIP_1) | instid1(VALU_DEP_2)
	v_sub_nc_u32_e32 v3, v0, v21
	v_cmp_ge_u32_e32 vcc_lo, v0, v21
	v_dual_cndmask_b32 v1, v1, v2 :: v_dual_cndmask_b32 v0, v0, v3
	v_ashrrev_i32_e32 v2, 31, v35
	s_delay_alu instid0(VALU_DEP_2) | instskip(NEXT) | instid1(VALU_DEP_3)
	v_add_nc_u32_e32 v3, 1, v1
	v_cmp_ge_u32_e32 vcc_lo, v0, v21
	s_delay_alu instid0(VALU_DEP_3) | instskip(NEXT) | instid1(VALU_DEP_3)
	v_xor_b32_e32 v2, v2, v34
	v_cndmask_b32_e32 v0, v1, v3, vcc_lo
	s_delay_alu instid0(VALU_DEP_1) | instskip(NEXT) | instid1(VALU_DEP_1)
	v_xor_b32_e32 v0, v0, v2
	v_sub_nc_u32_e32 v0, v0, v2
	s_delay_alu instid0(VALU_DEP_1) | instskip(SKIP_1) | instid1(VALU_DEP_2)
	v_add_nc_u32_e32 v1, v0, v16
	v_cmp_gt_i32_e64 s1, v0, v25
	v_sub_nc_u32_e32 v2, 0, v1
	s_delay_alu instid0(VALU_DEP_1) | instskip(NEXT) | instid1(VALU_DEP_1)
	v_max_i32_e32 v2, v1, v2
	v_mul_hi_u32 v3, v2, v15
	s_delay_alu instid0(VALU_DEP_1) | instskip(NEXT) | instid1(VALU_DEP_1)
	v_mul_lo_u32 v3, v3, v26
	v_sub_nc_u32_e32 v2, v2, v3
	s_delay_alu instid0(VALU_DEP_1) | instskip(SKIP_1) | instid1(VALU_DEP_2)
	v_sub_nc_u32_e32 v3, v2, v26
	v_cmp_ge_u32_e32 vcc_lo, v2, v26
	v_cndmask_b32_e32 v2, v2, v3, vcc_lo
	v_ashrrev_i32_e32 v1, 31, v1
	s_delay_alu instid0(VALU_DEP_2) | instskip(SKIP_1) | instid1(VALU_DEP_2)
	v_sub_nc_u32_e32 v3, v2, v26
	v_cmp_ge_u32_e32 vcc_lo, v2, v26
	v_cndmask_b32_e32 v2, v2, v3, vcc_lo
	s_delay_alu instid0(VALU_DEP_1) | instskip(NEXT) | instid1(VALU_DEP_1)
	v_xor_b32_e32 v2, v2, v1
	v_sub_nc_u32_e32 v1, v2, v1
	s_delay_alu instid0(VALU_DEP_1) | instskip(SKIP_1) | instid1(SALU_CYCLE_1)
	v_cmp_eq_u32_e32 vcc_lo, 0, v1
	s_or_b32 s1, vcc_lo, s1
	s_and_saveexec_b32 s11, s1
	s_cbranch_execz .LBB167_39
; %bb.41:                               ;   in Loop: Header=BB167_40 Depth=1
	flat_load_b32 v98, v[10:11]
	ds_load_2addr_b64 v[6:9], v14 offset1:1
	ds_load_2addr_b64 v[0:3], v14 offset0:2 offset1:3
	s_mov_b32 s1, exec_lo
                                        ; implicit-def: $vgpr97
	s_waitcnt lgkmcnt(1)
	v_and_b32_e32 v5, 0x7f800000, v6
	s_delay_alu instid0(VALU_DEP_1)
	v_cmpx_ne_u32_e32 0x7f800000, v5
	s_xor_b32 s1, exec_lo, s1
; %bb.42:                               ;   in Loop: Header=BB167_40 Depth=1
	v_bfe_u32 v5, v6, 16, 1
	s_delay_alu instid0(VALU_DEP_1)
	v_add3_u32 v97, v6, v5, 0x7fff
; %bb.43:                               ;   in Loop: Header=BB167_40 Depth=1
	s_and_not1_saveexec_b32 s1, s1
; %bb.44:                               ;   in Loop: Header=BB167_40 Depth=1
	v_and_b32_e32 v5, 0xffff, v6
	v_or_b32_e32 v13, 0x10000, v6
	s_delay_alu instid0(VALU_DEP_2) | instskip(NEXT) | instid1(VALU_DEP_2)
	v_cmp_eq_u32_e32 vcc_lo, 0, v5
	v_cndmask_b32_e32 v97, v13, v6, vcc_lo
; %bb.45:                               ;   in Loop: Header=BB167_40 Depth=1
	s_or_b32 exec_lo, exec_lo, s1
	v_and_b32_e32 v5, 0x7f800000, v7
	s_mov_b32 s1, exec_lo
                                        ; implicit-def: $vgpr96
	s_delay_alu instid0(VALU_DEP_1)
	v_cmpx_ne_u32_e32 0x7f800000, v5
	s_xor_b32 s1, exec_lo, s1
; %bb.46:                               ;   in Loop: Header=BB167_40 Depth=1
	v_bfe_u32 v5, v7, 16, 1
	s_delay_alu instid0(VALU_DEP_1)
	v_add3_u32 v96, v7, v5, 0x7fff
; %bb.47:                               ;   in Loop: Header=BB167_40 Depth=1
	s_and_not1_saveexec_b32 s1, s1
; %bb.48:                               ;   in Loop: Header=BB167_40 Depth=1
	v_and_b32_e32 v5, 0xffff, v7
	v_or_b32_e32 v6, 0x10000, v7
	s_delay_alu instid0(VALU_DEP_2) | instskip(NEXT) | instid1(VALU_DEP_2)
	v_cmp_eq_u32_e32 vcc_lo, 0, v5
	v_cndmask_b32_e32 v96, v6, v7, vcc_lo
; %bb.49:                               ;   in Loop: Header=BB167_40 Depth=1
	s_or_b32 exec_lo, exec_lo, s1
	v_and_b32_e32 v5, 0x7f800000, v8
	s_mov_b32 s1, exec_lo
                                        ; implicit-def: $vgpr84
	s_delay_alu instid0(VALU_DEP_1)
	v_cmpx_ne_u32_e32 0x7f800000, v5
	s_xor_b32 s1, exec_lo, s1
; %bb.50:                               ;   in Loop: Header=BB167_40 Depth=1
	v_bfe_u32 v5, v8, 16, 1
	s_delay_alu instid0(VALU_DEP_1)
	v_add3_u32 v84, v8, v5, 0x7fff
; %bb.51:                               ;   in Loop: Header=BB167_40 Depth=1
	s_and_not1_saveexec_b32 s1, s1
; %bb.52:                               ;   in Loop: Header=BB167_40 Depth=1
	v_and_b32_e32 v5, 0xffff, v8
	v_or_b32_e32 v6, 0x10000, v8
	s_delay_alu instid0(VALU_DEP_2) | instskip(NEXT) | instid1(VALU_DEP_2)
	v_cmp_eq_u32_e32 vcc_lo, 0, v5
	v_cndmask_b32_e32 v84, v6, v8, vcc_lo
; %bb.53:                               ;   in Loop: Header=BB167_40 Depth=1
	s_or_b32 exec_lo, exec_lo, s1
	v_and_b32_e32 v5, 0x7f800000, v9
	s_mov_b32 s1, exec_lo
                                        ; implicit-def: $vgpr85
	s_delay_alu instid0(VALU_DEP_1)
	v_cmpx_ne_u32_e32 0x7f800000, v5
	s_xor_b32 s1, exec_lo, s1
; %bb.54:                               ;   in Loop: Header=BB167_40 Depth=1
	v_bfe_u32 v5, v9, 16, 1
	s_delay_alu instid0(VALU_DEP_1)
	v_add3_u32 v85, v9, v5, 0x7fff
                                        ; implicit-def: $vgpr6_vgpr7_vgpr8_vgpr9
; %bb.55:                               ;   in Loop: Header=BB167_40 Depth=1
	s_and_not1_saveexec_b32 s1, s1
; %bb.56:                               ;   in Loop: Header=BB167_40 Depth=1
	v_and_b32_e32 v5, 0xffff, v9
	v_or_b32_e32 v6, 0x10000, v9
	s_delay_alu instid0(VALU_DEP_2) | instskip(NEXT) | instid1(VALU_DEP_2)
	v_cmp_eq_u32_e32 vcc_lo, 0, v5
	v_cndmask_b32_e32 v85, v6, v9, vcc_lo
; %bb.57:                               ;   in Loop: Header=BB167_40 Depth=1
	s_or_b32 exec_lo, exec_lo, s1
	s_waitcnt lgkmcnt(0)
	v_and_b32_e32 v5, 0x7f800000, v0
	s_mov_b32 s1, exec_lo
                                        ; implicit-def: $vgpr86
	s_delay_alu instid0(VALU_DEP_1)
	v_cmpx_ne_u32_e32 0x7f800000, v5
	s_xor_b32 s1, exec_lo, s1
; %bb.58:                               ;   in Loop: Header=BB167_40 Depth=1
	v_bfe_u32 v5, v0, 16, 1
	s_delay_alu instid0(VALU_DEP_1)
	v_add3_u32 v86, v0, v5, 0x7fff
; %bb.59:                               ;   in Loop: Header=BB167_40 Depth=1
	s_and_not1_saveexec_b32 s1, s1
; %bb.60:                               ;   in Loop: Header=BB167_40 Depth=1
	v_and_b32_e32 v5, 0xffff, v0
	v_or_b32_e32 v6, 0x10000, v0
	s_delay_alu instid0(VALU_DEP_2) | instskip(NEXT) | instid1(VALU_DEP_2)
	v_cmp_eq_u32_e32 vcc_lo, 0, v5
	v_cndmask_b32_e32 v86, v6, v0, vcc_lo
; %bb.61:                               ;   in Loop: Header=BB167_40 Depth=1
	s_or_b32 exec_lo, exec_lo, s1
	v_and_b32_e32 v0, 0x7f800000, v1
	s_mov_b32 s1, exec_lo
                                        ; implicit-def: $vgpr87
	s_delay_alu instid0(VALU_DEP_1)
	v_cmpx_ne_u32_e32 0x7f800000, v0
	s_xor_b32 s1, exec_lo, s1
; %bb.62:                               ;   in Loop: Header=BB167_40 Depth=1
	v_bfe_u32 v0, v1, 16, 1
	s_delay_alu instid0(VALU_DEP_1)
	v_add3_u32 v87, v1, v0, 0x7fff
; %bb.63:                               ;   in Loop: Header=BB167_40 Depth=1
	s_and_not1_saveexec_b32 s1, s1
; %bb.64:                               ;   in Loop: Header=BB167_40 Depth=1
	v_and_b32_e32 v0, 0xffff, v1
	v_or_b32_e32 v5, 0x10000, v1
	s_delay_alu instid0(VALU_DEP_2) | instskip(NEXT) | instid1(VALU_DEP_2)
	v_cmp_eq_u32_e32 vcc_lo, 0, v0
	v_cndmask_b32_e32 v87, v5, v1, vcc_lo
; %bb.65:                               ;   in Loop: Header=BB167_40 Depth=1
	s_or_b32 exec_lo, exec_lo, s1
	v_and_b32_e32 v0, 0x7f800000, v2
	s_mov_b32 s1, exec_lo
                                        ; implicit-def: $vgpr31
	s_delay_alu instid0(VALU_DEP_1)
	v_cmpx_ne_u32_e32 0x7f800000, v0
	s_xor_b32 s1, exec_lo, s1
; %bb.66:                               ;   in Loop: Header=BB167_40 Depth=1
	v_bfe_u32 v0, v2, 16, 1
	s_delay_alu instid0(VALU_DEP_1)
	v_add3_u32 v31, v2, v0, 0x7fff
; %bb.67:                               ;   in Loop: Header=BB167_40 Depth=1
	s_and_not1_saveexec_b32 s1, s1
; %bb.68:                               ;   in Loop: Header=BB167_40 Depth=1
	v_and_b32_e32 v0, 0xffff, v2
	v_or_b32_e32 v1, 0x10000, v2
	s_delay_alu instid0(VALU_DEP_2) | instskip(NEXT) | instid1(VALU_DEP_2)
	v_cmp_eq_u32_e32 vcc_lo, 0, v0
	v_cndmask_b32_e32 v31, v1, v2, vcc_lo
; %bb.69:                               ;   in Loop: Header=BB167_40 Depth=1
	s_or_b32 exec_lo, exec_lo, s1
	v_and_b32_e32 v0, 0x7f800000, v3
	s_mov_b32 s1, exec_lo
                                        ; implicit-def: $vgpr29
	s_delay_alu instid0(VALU_DEP_1)
	v_cmpx_ne_u32_e32 0x7f800000, v0
	s_xor_b32 s1, exec_lo, s1
; %bb.70:                               ;   in Loop: Header=BB167_40 Depth=1
	v_bfe_u32 v0, v3, 16, 1
	s_delay_alu instid0(VALU_DEP_1)
	v_add3_u32 v29, v3, v0, 0x7fff
                                        ; implicit-def: $vgpr0_vgpr1_vgpr2_vgpr3
; %bb.71:                               ;   in Loop: Header=BB167_40 Depth=1
	s_and_not1_saveexec_b32 s1, s1
; %bb.72:                               ;   in Loop: Header=BB167_40 Depth=1
	v_and_b32_e32 v0, 0xffff, v3
	v_or_b32_e32 v1, 0x10000, v3
	s_delay_alu instid0(VALU_DEP_2) | instskip(NEXT) | instid1(VALU_DEP_2)
	v_cmp_eq_u32_e32 vcc_lo, 0, v0
	v_cndmask_b32_e32 v29, v1, v3, vcc_lo
; %bb.73:                               ;   in Loop: Header=BB167_40 Depth=1
	s_or_b32 exec_lo, exec_lo, s1
	s_waitcnt vmcnt(0)
	v_mad_i64_i32 v[0:1], null, v98, v22, 0
	v_add_nc_u32_e32 v114, v68, v35
	s_delay_alu instid0(VALU_DEP_1) | instskip(NEXT) | instid1(VALU_DEP_3)
	v_add_nc_u32_e32 v128, 1, v114
	v_lshlrev_b64 v[0:1], 1, v[0:1]
	v_add_nc_u32_e32 v119, 2, v114
	v_add_nc_u32_e32 v118, 3, v114
	;; [unrolled: 1-line block ×5, first 2 shown]
	v_add_co_u32 v129, vcc_lo, v24, v0
	v_add_co_ci_u32_e32 v130, vcc_lo, v69, v1, vcc_lo
	v_add_nc_u32_e32 v116, 7, v114
	s_delay_alu instid0(VALU_DEP_3) | instskip(NEXT) | instid1(VALU_DEP_3)
	v_add_co_u32 v6, vcc_lo, v129, v18
	v_add_co_ci_u32_e32 v7, vcc_lo, 0, v130, vcc_lo
	v_cmp_eq_u32_e32 vcc_lo, v23, v17
	flat_load_b128 v[0:3], v[6:7]
	s_waitcnt vmcnt(0) lgkmcnt(0)
	v_lshrrev_b32_e32 v5, 16, v0
	v_lshrrev_b32_e32 v13, 16, v1
	;; [unrolled: 1-line block ×4, first 2 shown]
	s_and_saveexec_b32 s12, vcc_lo
	s_cbranch_execz .LBB167_75
; %bb.74:                               ;   in Loop: Header=BB167_40 Depth=1
	v_cmp_lt_i32_e64 s1, v114, v32
	s_delay_alu instid0(VALU_DEP_1) | instskip(SKIP_1) | instid1(VALU_DEP_1)
	v_cndmask_b32_e64 v0, 0, v0, s1
	v_cmp_lt_i32_e64 s1, v128, v32
	v_cndmask_b32_e64 v5, 0, v5, s1
	v_cmp_lt_i32_e64 s1, v119, v32
	s_delay_alu instid0(VALU_DEP_1) | instskip(SKIP_1) | instid1(VALU_DEP_1)
	v_cndmask_b32_e64 v1, 0, v1, s1
	v_cmp_lt_i32_e64 s1, v118, v32
	v_cndmask_b32_e64 v13, 0, v13, s1
	;; [unrolled: 5-line block ×4, first 2 shown]
.LBB167_75:                             ;   in Loop: Header=BB167_40 Depth=1
	s_or_b32 exec_lo, exec_lo, s12
	v_and_b32_e32 v131, 0xffff0000, v97
	v_lshlrev_b32_e32 v0, 16, v0
	s_delay_alu instid0(VALU_DEP_1) | instskip(NEXT) | instid1(VALU_DEP_1)
	v_mul_f32_e32 v0, v131, v0
	v_and_b32_e32 v8, 0x7f800000, v0
	s_delay_alu instid0(VALU_DEP_1) | instskip(NEXT) | instid1(VALU_DEP_1)
	v_cmp_ne_u32_e64 s1, 0x7f800000, v8
                                        ; implicit-def: $vgpr8
	s_and_saveexec_b32 s12, s1
	s_delay_alu instid0(SALU_CYCLE_1)
	s_xor_b32 s1, exec_lo, s12
; %bb.76:                               ;   in Loop: Header=BB167_40 Depth=1
	v_bfe_u32 v8, v0, 16, 1
	s_delay_alu instid0(VALU_DEP_1)
	v_add3_u32 v8, v0, v8, 0x7fff
                                        ; implicit-def: $vgpr0
; %bb.77:                               ;   in Loop: Header=BB167_40 Depth=1
	s_and_not1_saveexec_b32 s12, s1
; %bb.78:                               ;   in Loop: Header=BB167_40 Depth=1
	v_and_b32_e32 v8, 0xffff, v0
	v_or_b32_e32 v9, 0x10000, v0
	s_delay_alu instid0(VALU_DEP_2) | instskip(NEXT) | instid1(VALU_DEP_1)
	v_cmp_eq_u32_e64 s1, 0, v8
	v_cndmask_b32_e64 v8, v9, v0, s1
; %bb.79:                               ;   in Loop: Header=BB167_40 Depth=1
	s_or_b32 exec_lo, exec_lo, s12
	v_and_b32_e32 v132, 0xffff0000, v96
	v_lshlrev_b32_e32 v0, 16, v5
                                        ; implicit-def: $vgpr9
	s_delay_alu instid0(VALU_DEP_1) | instskip(NEXT) | instid1(VALU_DEP_1)
	v_mul_f32_e32 v0, v132, v0
	v_and_b32_e32 v5, 0x7f800000, v0
	s_delay_alu instid0(VALU_DEP_1) | instskip(NEXT) | instid1(VALU_DEP_1)
	v_cmp_ne_u32_e64 s1, 0x7f800000, v5
	s_and_saveexec_b32 s12, s1
	s_delay_alu instid0(SALU_CYCLE_1)
	s_xor_b32 s1, exec_lo, s12
; %bb.80:                               ;   in Loop: Header=BB167_40 Depth=1
	v_bfe_u32 v5, v0, 16, 1
	s_delay_alu instid0(VALU_DEP_1)
	v_add3_u32 v9, v0, v5, 0x7fff
                                        ; implicit-def: $vgpr0
; %bb.81:                               ;   in Loop: Header=BB167_40 Depth=1
	s_and_not1_saveexec_b32 s12, s1
; %bb.82:                               ;   in Loop: Header=BB167_40 Depth=1
	v_and_b32_e32 v5, 0xffff, v0
	v_or_b32_e32 v9, 0x10000, v0
	s_delay_alu instid0(VALU_DEP_2) | instskip(NEXT) | instid1(VALU_DEP_1)
	v_cmp_eq_u32_e64 s1, 0, v5
	v_cndmask_b32_e64 v9, v9, v0, s1
; %bb.83:                               ;   in Loop: Header=BB167_40 Depth=1
	s_or_b32 exec_lo, exec_lo, s12
	v_and_b32_e32 v133, 0xffff0000, v84
	v_lshlrev_b32_e32 v0, 16, v1
                                        ; implicit-def: $vgpr84
	s_delay_alu instid0(VALU_DEP_1) | instskip(NEXT) | instid1(VALU_DEP_1)
	v_mul_f32_e32 v0, v133, v0
	v_and_b32_e32 v1, 0x7f800000, v0
	s_delay_alu instid0(VALU_DEP_1) | instskip(NEXT) | instid1(VALU_DEP_1)
	v_cmp_ne_u32_e64 s1, 0x7f800000, v1
	s_and_saveexec_b32 s12, s1
	s_delay_alu instid0(SALU_CYCLE_1)
	s_xor_b32 s1, exec_lo, s12
; %bb.84:                               ;   in Loop: Header=BB167_40 Depth=1
	v_bfe_u32 v1, v0, 16, 1
	s_delay_alu instid0(VALU_DEP_1)
	v_add3_u32 v84, v0, v1, 0x7fff
                                        ; implicit-def: $vgpr0
; %bb.85:                               ;   in Loop: Header=BB167_40 Depth=1
	s_and_not1_saveexec_b32 s12, s1
; %bb.86:                               ;   in Loop: Header=BB167_40 Depth=1
	v_and_b32_e32 v1, 0xffff, v0
	v_or_b32_e32 v5, 0x10000, v0
	s_delay_alu instid0(VALU_DEP_2) | instskip(NEXT) | instid1(VALU_DEP_1)
	v_cmp_eq_u32_e64 s1, 0, v1
	v_cndmask_b32_e64 v84, v5, v0, s1
; %bb.87:                               ;   in Loop: Header=BB167_40 Depth=1
	s_or_b32 exec_lo, exec_lo, s12
	v_and_b32_e32 v134, 0xffff0000, v85
	v_lshlrev_b32_e32 v0, 16, v13
                                        ; implicit-def: $vgpr85
	s_delay_alu instid0(VALU_DEP_1) | instskip(NEXT) | instid1(VALU_DEP_1)
	v_mul_f32_e32 v0, v134, v0
	v_and_b32_e32 v1, 0x7f800000, v0
	s_delay_alu instid0(VALU_DEP_1) | instskip(NEXT) | instid1(VALU_DEP_1)
	v_cmp_ne_u32_e64 s1, 0x7f800000, v1
	s_and_saveexec_b32 s12, s1
	s_delay_alu instid0(SALU_CYCLE_1)
	s_xor_b32 s1, exec_lo, s12
; %bb.88:                               ;   in Loop: Header=BB167_40 Depth=1
	v_bfe_u32 v1, v0, 16, 1
	s_delay_alu instid0(VALU_DEP_1)
	v_add3_u32 v85, v0, v1, 0x7fff
                                        ; implicit-def: $vgpr0
; %bb.89:                               ;   in Loop: Header=BB167_40 Depth=1
	s_and_not1_saveexec_b32 s12, s1
; %bb.90:                               ;   in Loop: Header=BB167_40 Depth=1
	v_and_b32_e32 v1, 0xffff, v0
	v_or_b32_e32 v5, 0x10000, v0
	s_delay_alu instid0(VALU_DEP_2) | instskip(NEXT) | instid1(VALU_DEP_1)
	v_cmp_eq_u32_e64 s1, 0, v1
	v_cndmask_b32_e64 v85, v5, v0, s1
; %bb.91:                               ;   in Loop: Header=BB167_40 Depth=1
	s_or_b32 exec_lo, exec_lo, s12
	v_and_b32_e32 v135, 0xffff0000, v86
	v_lshlrev_b32_e32 v0, 16, v2
                                        ; implicit-def: $vgpr86
	s_delay_alu instid0(VALU_DEP_1) | instskip(NEXT) | instid1(VALU_DEP_1)
	v_mul_f32_e32 v0, v135, v0
	v_and_b32_e32 v1, 0x7f800000, v0
	s_delay_alu instid0(VALU_DEP_1) | instskip(NEXT) | instid1(VALU_DEP_1)
	v_cmp_ne_u32_e64 s1, 0x7f800000, v1
	s_and_saveexec_b32 s12, s1
	s_delay_alu instid0(SALU_CYCLE_1)
	s_xor_b32 s1, exec_lo, s12
; %bb.92:                               ;   in Loop: Header=BB167_40 Depth=1
	v_bfe_u32 v1, v0, 16, 1
	s_delay_alu instid0(VALU_DEP_1)
	v_add3_u32 v86, v0, v1, 0x7fff
                                        ; implicit-def: $vgpr0
; %bb.93:                               ;   in Loop: Header=BB167_40 Depth=1
	s_and_not1_saveexec_b32 s12, s1
; %bb.94:                               ;   in Loop: Header=BB167_40 Depth=1
	v_and_b32_e32 v1, 0xffff, v0
	v_or_b32_e32 v2, 0x10000, v0
	s_delay_alu instid0(VALU_DEP_2) | instskip(NEXT) | instid1(VALU_DEP_1)
	v_cmp_eq_u32_e64 s1, 0, v1
	v_cndmask_b32_e64 v86, v2, v0, s1
; %bb.95:                               ;   in Loop: Header=BB167_40 Depth=1
	s_or_b32 exec_lo, exec_lo, s12
	v_and_b32_e32 v144, 0xffff0000, v87
	v_lshlrev_b32_e32 v0, 16, v99
                                        ; implicit-def: $vgpr87
	s_delay_alu instid0(VALU_DEP_1) | instskip(NEXT) | instid1(VALU_DEP_1)
	v_mul_f32_e32 v0, v144, v0
	v_and_b32_e32 v1, 0x7f800000, v0
	s_delay_alu instid0(VALU_DEP_1) | instskip(NEXT) | instid1(VALU_DEP_1)
	v_cmp_ne_u32_e64 s1, 0x7f800000, v1
	s_and_saveexec_b32 s12, s1
	s_delay_alu instid0(SALU_CYCLE_1)
	s_xor_b32 s1, exec_lo, s12
; %bb.96:                               ;   in Loop: Header=BB167_40 Depth=1
	v_bfe_u32 v1, v0, 16, 1
	s_delay_alu instid0(VALU_DEP_1)
	v_add3_u32 v87, v0, v1, 0x7fff
                                        ; implicit-def: $vgpr0
; %bb.97:                               ;   in Loop: Header=BB167_40 Depth=1
	s_and_not1_saveexec_b32 s12, s1
; %bb.98:                               ;   in Loop: Header=BB167_40 Depth=1
	v_and_b32_e32 v1, 0xffff, v0
	v_or_b32_e32 v2, 0x10000, v0
	s_delay_alu instid0(VALU_DEP_2) | instskip(NEXT) | instid1(VALU_DEP_1)
	v_cmp_eq_u32_e64 s1, 0, v1
	v_cndmask_b32_e64 v87, v2, v0, s1
; %bb.99:                               ;   in Loop: Header=BB167_40 Depth=1
	s_or_b32 exec_lo, exec_lo, s12
	v_and_b32_e32 v145, 0xffff0000, v31
	v_lshlrev_b32_e32 v0, 16, v3
                                        ; implicit-def: $vgpr96
	s_delay_alu instid0(VALU_DEP_1) | instskip(NEXT) | instid1(VALU_DEP_1)
	v_mul_f32_e32 v0, v145, v0
	v_and_b32_e32 v1, 0x7f800000, v0
	s_delay_alu instid0(VALU_DEP_1) | instskip(NEXT) | instid1(VALU_DEP_1)
	v_cmp_ne_u32_e64 s1, 0x7f800000, v1
	s_and_saveexec_b32 s12, s1
	s_delay_alu instid0(SALU_CYCLE_1)
	s_xor_b32 s1, exec_lo, s12
; %bb.100:                              ;   in Loop: Header=BB167_40 Depth=1
	v_bfe_u32 v1, v0, 16, 1
	s_delay_alu instid0(VALU_DEP_1)
	v_add3_u32 v96, v0, v1, 0x7fff
                                        ; implicit-def: $vgpr0
; %bb.101:                              ;   in Loop: Header=BB167_40 Depth=1
	s_and_not1_saveexec_b32 s12, s1
; %bb.102:                              ;   in Loop: Header=BB167_40 Depth=1
	v_and_b32_e32 v1, 0xffff, v0
	v_or_b32_e32 v2, 0x10000, v0
	s_delay_alu instid0(VALU_DEP_2) | instskip(NEXT) | instid1(VALU_DEP_1)
	v_cmp_eq_u32_e64 s1, 0, v1
	v_cndmask_b32_e64 v96, v2, v0, s1
; %bb.103:                              ;   in Loop: Header=BB167_40 Depth=1
	s_or_b32 exec_lo, exec_lo, s12
	v_and_b32_e32 v146, 0xffff0000, v29
	v_lshlrev_b32_e32 v0, 16, v98
                                        ; implicit-def: $vgpr97
	s_delay_alu instid0(VALU_DEP_1) | instskip(NEXT) | instid1(VALU_DEP_1)
	v_mul_f32_e32 v0, v146, v0
	v_and_b32_e32 v1, 0x7f800000, v0
	s_delay_alu instid0(VALU_DEP_1) | instskip(NEXT) | instid1(VALU_DEP_1)
	v_cmp_ne_u32_e64 s1, 0x7f800000, v1
	s_and_saveexec_b32 s12, s1
	s_delay_alu instid0(SALU_CYCLE_1)
	s_xor_b32 s1, exec_lo, s12
; %bb.104:                              ;   in Loop: Header=BB167_40 Depth=1
	v_bfe_u32 v1, v0, 16, 1
	s_delay_alu instid0(VALU_DEP_1)
	v_add3_u32 v97, v0, v1, 0x7fff
                                        ; implicit-def: $vgpr0
; %bb.105:                              ;   in Loop: Header=BB167_40 Depth=1
	s_and_not1_saveexec_b32 s12, s1
; %bb.106:                              ;   in Loop: Header=BB167_40 Depth=1
	v_and_b32_e32 v1, 0xffff, v0
	v_or_b32_e32 v2, 0x10000, v0
	s_delay_alu instid0(VALU_DEP_2) | instskip(NEXT) | instid1(VALU_DEP_1)
	v_cmp_eq_u32_e64 s1, 0, v1
	v_cndmask_b32_e64 v97, v2, v0, s1
; %bb.107:                              ;   in Loop: Header=BB167_40 Depth=1
	s_or_b32 exec_lo, exec_lo, s12
	flat_load_b128 v[0:3], v[6:7] offset:512
	s_waitcnt vmcnt(0) lgkmcnt(0)
	v_lshrrev_b32_e32 v5, 16, v0
	v_lshrrev_b32_e32 v13, 16, v1
	;; [unrolled: 1-line block ×4, first 2 shown]
	s_and_saveexec_b32 s12, vcc_lo
	s_cbranch_execz .LBB167_109
; %bb.108:                              ;   in Loop: Header=BB167_40 Depth=1
	v_cmp_lt_i32_e64 s1, v114, v32
	s_delay_alu instid0(VALU_DEP_1) | instskip(SKIP_1) | instid1(VALU_DEP_1)
	v_cndmask_b32_e64 v0, 0, v0, s1
	v_cmp_lt_i32_e64 s1, v128, v32
	v_cndmask_b32_e64 v5, 0, v5, s1
	v_cmp_lt_i32_e64 s1, v119, v32
	s_delay_alu instid0(VALU_DEP_1) | instskip(SKIP_1) | instid1(VALU_DEP_1)
	v_cndmask_b32_e64 v1, 0, v1, s1
	v_cmp_lt_i32_e64 s1, v118, v32
	v_cndmask_b32_e64 v13, 0, v13, s1
	;; [unrolled: 5-line block ×4, first 2 shown]
.LBB167_109:                            ;   in Loop: Header=BB167_40 Depth=1
	s_or_b32 exec_lo, exec_lo, s12
	v_lshlrev_b32_e32 v0, 16, v0
	s_delay_alu instid0(VALU_DEP_1) | instskip(NEXT) | instid1(VALU_DEP_1)
	v_mul_f32_e32 v0, v131, v0
	v_and_b32_e32 v98, 0x7f800000, v0
	s_delay_alu instid0(VALU_DEP_1) | instskip(NEXT) | instid1(VALU_DEP_1)
	v_cmp_ne_u32_e64 s1, 0x7f800000, v98
                                        ; implicit-def: $vgpr98
	s_and_saveexec_b32 s12, s1
	s_delay_alu instid0(SALU_CYCLE_1)
	s_xor_b32 s1, exec_lo, s12
; %bb.110:                              ;   in Loop: Header=BB167_40 Depth=1
	v_bfe_u32 v98, v0, 16, 1
	s_delay_alu instid0(VALU_DEP_1)
	v_add3_u32 v98, v0, v98, 0x7fff
                                        ; implicit-def: $vgpr0
; %bb.111:                              ;   in Loop: Header=BB167_40 Depth=1
	s_and_not1_saveexec_b32 s12, s1
; %bb.112:                              ;   in Loop: Header=BB167_40 Depth=1
	v_and_b32_e32 v98, 0xffff, v0
	v_or_b32_e32 v99, 0x10000, v0
	s_delay_alu instid0(VALU_DEP_2) | instskip(NEXT) | instid1(VALU_DEP_1)
	v_cmp_eq_u32_e64 s1, 0, v98
	v_cndmask_b32_e64 v98, v99, v0, s1
; %bb.113:                              ;   in Loop: Header=BB167_40 Depth=1
	s_or_b32 exec_lo, exec_lo, s12
	v_lshlrev_b32_e32 v0, 16, v5
                                        ; implicit-def: $vgpr99
	s_delay_alu instid0(VALU_DEP_1) | instskip(NEXT) | instid1(VALU_DEP_1)
	v_mul_f32_e32 v0, v132, v0
	v_and_b32_e32 v5, 0x7f800000, v0
	s_delay_alu instid0(VALU_DEP_1) | instskip(NEXT) | instid1(VALU_DEP_1)
	v_cmp_ne_u32_e64 s1, 0x7f800000, v5
	s_and_saveexec_b32 s12, s1
	s_delay_alu instid0(SALU_CYCLE_1)
	s_xor_b32 s1, exec_lo, s12
; %bb.114:                              ;   in Loop: Header=BB167_40 Depth=1
	v_bfe_u32 v5, v0, 16, 1
	s_delay_alu instid0(VALU_DEP_1)
	v_add3_u32 v99, v0, v5, 0x7fff
                                        ; implicit-def: $vgpr0
; %bb.115:                              ;   in Loop: Header=BB167_40 Depth=1
	s_and_not1_saveexec_b32 s12, s1
; %bb.116:                              ;   in Loop: Header=BB167_40 Depth=1
	v_and_b32_e32 v5, 0xffff, v0
	v_or_b32_e32 v99, 0x10000, v0
	s_delay_alu instid0(VALU_DEP_2) | instskip(NEXT) | instid1(VALU_DEP_1)
	v_cmp_eq_u32_e64 s1, 0, v5
	v_cndmask_b32_e64 v99, v99, v0, s1
; %bb.117:                              ;   in Loop: Header=BB167_40 Depth=1
	s_or_b32 exec_lo, exec_lo, s12
	v_lshlrev_b32_e32 v0, 16, v1
                                        ; implicit-def: $vgpr100
	s_delay_alu instid0(VALU_DEP_1) | instskip(NEXT) | instid1(VALU_DEP_1)
	v_mul_f32_e32 v0, v133, v0
	v_and_b32_e32 v1, 0x7f800000, v0
	s_delay_alu instid0(VALU_DEP_1) | instskip(NEXT) | instid1(VALU_DEP_1)
	v_cmp_ne_u32_e64 s1, 0x7f800000, v1
	s_and_saveexec_b32 s12, s1
	s_delay_alu instid0(SALU_CYCLE_1)
	s_xor_b32 s1, exec_lo, s12
; %bb.118:                              ;   in Loop: Header=BB167_40 Depth=1
	v_bfe_u32 v1, v0, 16, 1
	s_delay_alu instid0(VALU_DEP_1)
	v_add3_u32 v100, v0, v1, 0x7fff
                                        ; implicit-def: $vgpr0
; %bb.119:                              ;   in Loop: Header=BB167_40 Depth=1
	s_and_not1_saveexec_b32 s12, s1
; %bb.120:                              ;   in Loop: Header=BB167_40 Depth=1
	v_and_b32_e32 v1, 0xffff, v0
	v_or_b32_e32 v5, 0x10000, v0
	s_delay_alu instid0(VALU_DEP_2) | instskip(NEXT) | instid1(VALU_DEP_1)
	v_cmp_eq_u32_e64 s1, 0, v1
	v_cndmask_b32_e64 v100, v5, v0, s1
; %bb.121:                              ;   in Loop: Header=BB167_40 Depth=1
	s_or_b32 exec_lo, exec_lo, s12
	v_lshlrev_b32_e32 v0, 16, v13
                                        ; implicit-def: $vgpr101
	s_delay_alu instid0(VALU_DEP_1) | instskip(NEXT) | instid1(VALU_DEP_1)
	v_mul_f32_e32 v0, v134, v0
	v_and_b32_e32 v1, 0x7f800000, v0
	s_delay_alu instid0(VALU_DEP_1) | instskip(NEXT) | instid1(VALU_DEP_1)
	v_cmp_ne_u32_e64 s1, 0x7f800000, v1
	s_and_saveexec_b32 s12, s1
	s_delay_alu instid0(SALU_CYCLE_1)
	s_xor_b32 s1, exec_lo, s12
; %bb.122:                              ;   in Loop: Header=BB167_40 Depth=1
	v_bfe_u32 v1, v0, 16, 1
	s_delay_alu instid0(VALU_DEP_1)
	v_add3_u32 v101, v0, v1, 0x7fff
                                        ; implicit-def: $vgpr0
; %bb.123:                              ;   in Loop: Header=BB167_40 Depth=1
	s_and_not1_saveexec_b32 s12, s1
; %bb.124:                              ;   in Loop: Header=BB167_40 Depth=1
	v_and_b32_e32 v1, 0xffff, v0
	v_or_b32_e32 v5, 0x10000, v0
	s_delay_alu instid0(VALU_DEP_2) | instskip(NEXT) | instid1(VALU_DEP_1)
	v_cmp_eq_u32_e64 s1, 0, v1
	v_cndmask_b32_e64 v101, v5, v0, s1
; %bb.125:                              ;   in Loop: Header=BB167_40 Depth=1
	s_or_b32 exec_lo, exec_lo, s12
	v_lshlrev_b32_e32 v0, 16, v2
                                        ; implicit-def: $vgpr102
	s_delay_alu instid0(VALU_DEP_1) | instskip(NEXT) | instid1(VALU_DEP_1)
	v_mul_f32_e32 v0, v135, v0
	v_and_b32_e32 v1, 0x7f800000, v0
	s_delay_alu instid0(VALU_DEP_1) | instskip(NEXT) | instid1(VALU_DEP_1)
	v_cmp_ne_u32_e64 s1, 0x7f800000, v1
	s_and_saveexec_b32 s12, s1
	s_delay_alu instid0(SALU_CYCLE_1)
	s_xor_b32 s1, exec_lo, s12
; %bb.126:                              ;   in Loop: Header=BB167_40 Depth=1
	v_bfe_u32 v1, v0, 16, 1
	s_delay_alu instid0(VALU_DEP_1)
	v_add3_u32 v102, v0, v1, 0x7fff
                                        ; implicit-def: $vgpr0
; %bb.127:                              ;   in Loop: Header=BB167_40 Depth=1
	s_and_not1_saveexec_b32 s12, s1
; %bb.128:                              ;   in Loop: Header=BB167_40 Depth=1
	v_and_b32_e32 v1, 0xffff, v0
	v_or_b32_e32 v2, 0x10000, v0
	s_delay_alu instid0(VALU_DEP_2) | instskip(NEXT) | instid1(VALU_DEP_1)
	v_cmp_eq_u32_e64 s1, 0, v1
	v_cndmask_b32_e64 v102, v2, v0, s1
; %bb.129:                              ;   in Loop: Header=BB167_40 Depth=1
	s_or_b32 exec_lo, exec_lo, s12
	v_lshlrev_b32_e32 v0, 16, v31
                                        ; implicit-def: $vgpr103
	s_delay_alu instid0(VALU_DEP_1) | instskip(NEXT) | instid1(VALU_DEP_1)
	v_mul_f32_e32 v0, v144, v0
	v_and_b32_e32 v1, 0x7f800000, v0
	s_delay_alu instid0(VALU_DEP_1) | instskip(NEXT) | instid1(VALU_DEP_1)
	v_cmp_ne_u32_e64 s1, 0x7f800000, v1
	s_and_saveexec_b32 s12, s1
	s_delay_alu instid0(SALU_CYCLE_1)
	s_xor_b32 s1, exec_lo, s12
; %bb.130:                              ;   in Loop: Header=BB167_40 Depth=1
	v_bfe_u32 v1, v0, 16, 1
	s_delay_alu instid0(VALU_DEP_1)
	v_add3_u32 v103, v0, v1, 0x7fff
                                        ; implicit-def: $vgpr0
; %bb.131:                              ;   in Loop: Header=BB167_40 Depth=1
	s_and_not1_saveexec_b32 s12, s1
; %bb.132:                              ;   in Loop: Header=BB167_40 Depth=1
	v_and_b32_e32 v1, 0xffff, v0
	v_or_b32_e32 v2, 0x10000, v0
	s_delay_alu instid0(VALU_DEP_2) | instskip(NEXT) | instid1(VALU_DEP_1)
	v_cmp_eq_u32_e64 s1, 0, v1
	v_cndmask_b32_e64 v103, v2, v0, s1
; %bb.133:                              ;   in Loop: Header=BB167_40 Depth=1
	s_or_b32 exec_lo, exec_lo, s12
	v_lshlrev_b32_e32 v0, 16, v3
                                        ; implicit-def: $vgpr113
	s_delay_alu instid0(VALU_DEP_1) | instskip(NEXT) | instid1(VALU_DEP_1)
	v_mul_f32_e32 v0, v145, v0
	v_and_b32_e32 v1, 0x7f800000, v0
	s_delay_alu instid0(VALU_DEP_1) | instskip(NEXT) | instid1(VALU_DEP_1)
	v_cmp_ne_u32_e64 s1, 0x7f800000, v1
	s_and_saveexec_b32 s12, s1
	s_delay_alu instid0(SALU_CYCLE_1)
	s_xor_b32 s1, exec_lo, s12
; %bb.134:                              ;   in Loop: Header=BB167_40 Depth=1
	v_bfe_u32 v1, v0, 16, 1
	s_delay_alu instid0(VALU_DEP_1)
	v_add3_u32 v113, v0, v1, 0x7fff
                                        ; implicit-def: $vgpr0
; %bb.135:                              ;   in Loop: Header=BB167_40 Depth=1
	s_and_not1_saveexec_b32 s12, s1
; %bb.136:                              ;   in Loop: Header=BB167_40 Depth=1
	v_and_b32_e32 v1, 0xffff, v0
	v_or_b32_e32 v2, 0x10000, v0
	s_delay_alu instid0(VALU_DEP_2) | instskip(NEXT) | instid1(VALU_DEP_1)
	v_cmp_eq_u32_e64 s1, 0, v1
	v_cndmask_b32_e64 v113, v2, v0, s1
; %bb.137:                              ;   in Loop: Header=BB167_40 Depth=1
	s_or_b32 exec_lo, exec_lo, s12
	v_lshlrev_b32_e32 v0, 16, v29
                                        ; implicit-def: $vgpr147
	s_delay_alu instid0(VALU_DEP_1) | instskip(NEXT) | instid1(VALU_DEP_1)
	v_mul_f32_e32 v0, v146, v0
	v_and_b32_e32 v1, 0x7f800000, v0
	s_delay_alu instid0(VALU_DEP_1) | instskip(NEXT) | instid1(VALU_DEP_1)
	v_cmp_ne_u32_e64 s1, 0x7f800000, v1
	s_and_saveexec_b32 s12, s1
	s_delay_alu instid0(SALU_CYCLE_1)
	s_xor_b32 s1, exec_lo, s12
; %bb.138:                              ;   in Loop: Header=BB167_40 Depth=1
	v_bfe_u32 v1, v0, 16, 1
	s_delay_alu instid0(VALU_DEP_1)
	v_add3_u32 v147, v0, v1, 0x7fff
                                        ; implicit-def: $vgpr0
; %bb.139:                              ;   in Loop: Header=BB167_40 Depth=1
	s_and_not1_saveexec_b32 s12, s1
; %bb.140:                              ;   in Loop: Header=BB167_40 Depth=1
	v_and_b32_e32 v1, 0xffff, v0
	v_or_b32_e32 v2, 0x10000, v0
	s_delay_alu instid0(VALU_DEP_2) | instskip(NEXT) | instid1(VALU_DEP_1)
	v_cmp_eq_u32_e64 s1, 0, v1
	v_cndmask_b32_e64 v147, v2, v0, s1
; %bb.141:                              ;   in Loop: Header=BB167_40 Depth=1
	s_or_b32 exec_lo, exec_lo, s12
	flat_load_b128 v[0:3], v[6:7] offset:1024
	s_waitcnt vmcnt(0) lgkmcnt(0)
	v_lshrrev_b32_e32 v5, 16, v0
	v_lshrrev_b32_e32 v13, 16, v1
	;; [unrolled: 1-line block ×4, first 2 shown]
	s_and_saveexec_b32 s12, vcc_lo
	s_cbranch_execz .LBB167_143
; %bb.142:                              ;   in Loop: Header=BB167_40 Depth=1
	v_cmp_lt_i32_e64 s1, v114, v32
	s_delay_alu instid0(VALU_DEP_1) | instskip(SKIP_1) | instid1(VALU_DEP_1)
	v_cndmask_b32_e64 v0, 0, v0, s1
	v_cmp_lt_i32_e64 s1, v128, v32
	v_cndmask_b32_e64 v5, 0, v5, s1
	v_cmp_lt_i32_e64 s1, v119, v32
	s_delay_alu instid0(VALU_DEP_1) | instskip(SKIP_1) | instid1(VALU_DEP_1)
	v_cndmask_b32_e64 v1, 0, v1, s1
	v_cmp_lt_i32_e64 s1, v118, v32
	v_cndmask_b32_e64 v13, 0, v13, s1
	;; [unrolled: 5-line block ×4, first 2 shown]
.LBB167_143:                            ;   in Loop: Header=BB167_40 Depth=1
	s_or_b32 exec_lo, exec_lo, s12
	v_lshlrev_b32_e32 v0, 16, v0
	s_delay_alu instid0(VALU_DEP_1) | instskip(NEXT) | instid1(VALU_DEP_1)
	v_mul_f32_e32 v0, v131, v0
	v_and_b32_e32 v148, 0x7f800000, v0
	s_delay_alu instid0(VALU_DEP_1) | instskip(NEXT) | instid1(VALU_DEP_1)
	v_cmp_ne_u32_e64 s1, 0x7f800000, v148
                                        ; implicit-def: $vgpr148
	s_and_saveexec_b32 s12, s1
	s_delay_alu instid0(SALU_CYCLE_1)
	s_xor_b32 s1, exec_lo, s12
; %bb.144:                              ;   in Loop: Header=BB167_40 Depth=1
	v_bfe_u32 v148, v0, 16, 1
	s_delay_alu instid0(VALU_DEP_1)
	v_add3_u32 v148, v0, v148, 0x7fff
                                        ; implicit-def: $vgpr0
; %bb.145:                              ;   in Loop: Header=BB167_40 Depth=1
	s_and_not1_saveexec_b32 s12, s1
; %bb.146:                              ;   in Loop: Header=BB167_40 Depth=1
	v_and_b32_e32 v148, 0xffff, v0
	v_or_b32_e32 v149, 0x10000, v0
	s_delay_alu instid0(VALU_DEP_2) | instskip(NEXT) | instid1(VALU_DEP_1)
	v_cmp_eq_u32_e64 s1, 0, v148
	v_cndmask_b32_e64 v148, v149, v0, s1
; %bb.147:                              ;   in Loop: Header=BB167_40 Depth=1
	s_or_b32 exec_lo, exec_lo, s12
	v_lshlrev_b32_e32 v0, 16, v5
                                        ; implicit-def: $vgpr149
	s_delay_alu instid0(VALU_DEP_1) | instskip(NEXT) | instid1(VALU_DEP_1)
	v_mul_f32_e32 v0, v132, v0
	v_and_b32_e32 v5, 0x7f800000, v0
	s_delay_alu instid0(VALU_DEP_1) | instskip(NEXT) | instid1(VALU_DEP_1)
	v_cmp_ne_u32_e64 s1, 0x7f800000, v5
	s_and_saveexec_b32 s12, s1
	s_delay_alu instid0(SALU_CYCLE_1)
	s_xor_b32 s1, exec_lo, s12
; %bb.148:                              ;   in Loop: Header=BB167_40 Depth=1
	v_bfe_u32 v5, v0, 16, 1
	s_delay_alu instid0(VALU_DEP_1)
	v_add3_u32 v149, v0, v5, 0x7fff
                                        ; implicit-def: $vgpr0
; %bb.149:                              ;   in Loop: Header=BB167_40 Depth=1
	s_and_not1_saveexec_b32 s12, s1
; %bb.150:                              ;   in Loop: Header=BB167_40 Depth=1
	v_and_b32_e32 v5, 0xffff, v0
	v_or_b32_e32 v149, 0x10000, v0
	s_delay_alu instid0(VALU_DEP_2) | instskip(NEXT) | instid1(VALU_DEP_1)
	v_cmp_eq_u32_e64 s1, 0, v5
	v_cndmask_b32_e64 v149, v149, v0, s1
; %bb.151:                              ;   in Loop: Header=BB167_40 Depth=1
	s_or_b32 exec_lo, exec_lo, s12
	v_lshlrev_b32_e32 v0, 16, v1
                                        ; implicit-def: $vgpr150
	s_delay_alu instid0(VALU_DEP_1) | instskip(NEXT) | instid1(VALU_DEP_1)
	v_mul_f32_e32 v0, v133, v0
	v_and_b32_e32 v1, 0x7f800000, v0
	s_delay_alu instid0(VALU_DEP_1) | instskip(NEXT) | instid1(VALU_DEP_1)
	v_cmp_ne_u32_e64 s1, 0x7f800000, v1
	s_and_saveexec_b32 s12, s1
	s_delay_alu instid0(SALU_CYCLE_1)
	s_xor_b32 s1, exec_lo, s12
; %bb.152:                              ;   in Loop: Header=BB167_40 Depth=1
	v_bfe_u32 v1, v0, 16, 1
	s_delay_alu instid0(VALU_DEP_1)
	v_add3_u32 v150, v0, v1, 0x7fff
                                        ; implicit-def: $vgpr0
; %bb.153:                              ;   in Loop: Header=BB167_40 Depth=1
	s_and_not1_saveexec_b32 s12, s1
; %bb.154:                              ;   in Loop: Header=BB167_40 Depth=1
	v_and_b32_e32 v1, 0xffff, v0
	v_or_b32_e32 v5, 0x10000, v0
	s_delay_alu instid0(VALU_DEP_2) | instskip(NEXT) | instid1(VALU_DEP_1)
	v_cmp_eq_u32_e64 s1, 0, v1
	v_cndmask_b32_e64 v150, v5, v0, s1
; %bb.155:                              ;   in Loop: Header=BB167_40 Depth=1
	s_or_b32 exec_lo, exec_lo, s12
	v_lshlrev_b32_e32 v0, 16, v13
                                        ; implicit-def: $vgpr151
	s_delay_alu instid0(VALU_DEP_1) | instskip(NEXT) | instid1(VALU_DEP_1)
	v_mul_f32_e32 v0, v134, v0
	v_and_b32_e32 v1, 0x7f800000, v0
	s_delay_alu instid0(VALU_DEP_1) | instskip(NEXT) | instid1(VALU_DEP_1)
	v_cmp_ne_u32_e64 s1, 0x7f800000, v1
	s_and_saveexec_b32 s12, s1
	s_delay_alu instid0(SALU_CYCLE_1)
	s_xor_b32 s1, exec_lo, s12
; %bb.156:                              ;   in Loop: Header=BB167_40 Depth=1
	v_bfe_u32 v1, v0, 16, 1
	s_delay_alu instid0(VALU_DEP_1)
	v_add3_u32 v151, v0, v1, 0x7fff
                                        ; implicit-def: $vgpr0
; %bb.157:                              ;   in Loop: Header=BB167_40 Depth=1
	s_and_not1_saveexec_b32 s12, s1
; %bb.158:                              ;   in Loop: Header=BB167_40 Depth=1
	v_and_b32_e32 v1, 0xffff, v0
	v_or_b32_e32 v5, 0x10000, v0
	s_delay_alu instid0(VALU_DEP_2) | instskip(NEXT) | instid1(VALU_DEP_1)
	v_cmp_eq_u32_e64 s1, 0, v1
	v_cndmask_b32_e64 v151, v5, v0, s1
; %bb.159:                              ;   in Loop: Header=BB167_40 Depth=1
	s_or_b32 exec_lo, exec_lo, s12
	v_lshlrev_b32_e32 v0, 16, v2
                                        ; implicit-def: $vgpr160
	s_delay_alu instid0(VALU_DEP_1) | instskip(NEXT) | instid1(VALU_DEP_1)
	v_mul_f32_e32 v0, v135, v0
	v_and_b32_e32 v1, 0x7f800000, v0
	s_delay_alu instid0(VALU_DEP_1) | instskip(NEXT) | instid1(VALU_DEP_1)
	v_cmp_ne_u32_e64 s1, 0x7f800000, v1
	s_and_saveexec_b32 s12, s1
	s_delay_alu instid0(SALU_CYCLE_1)
	s_xor_b32 s1, exec_lo, s12
; %bb.160:                              ;   in Loop: Header=BB167_40 Depth=1
	v_bfe_u32 v1, v0, 16, 1
	s_delay_alu instid0(VALU_DEP_1)
	v_add3_u32 v160, v0, v1, 0x7fff
                                        ; implicit-def: $vgpr0
; %bb.161:                              ;   in Loop: Header=BB167_40 Depth=1
	s_and_not1_saveexec_b32 s12, s1
; %bb.162:                              ;   in Loop: Header=BB167_40 Depth=1
	v_and_b32_e32 v1, 0xffff, v0
	v_or_b32_e32 v2, 0x10000, v0
	s_delay_alu instid0(VALU_DEP_2) | instskip(NEXT) | instid1(VALU_DEP_1)
	v_cmp_eq_u32_e64 s1, 0, v1
	v_cndmask_b32_e64 v160, v2, v0, s1
; %bb.163:                              ;   in Loop: Header=BB167_40 Depth=1
	s_or_b32 exec_lo, exec_lo, s12
	v_lshlrev_b32_e32 v0, 16, v31
                                        ; implicit-def: $vgpr161
	s_delay_alu instid0(VALU_DEP_1) | instskip(NEXT) | instid1(VALU_DEP_1)
	v_mul_f32_e32 v0, v144, v0
	v_and_b32_e32 v1, 0x7f800000, v0
	s_delay_alu instid0(VALU_DEP_1) | instskip(NEXT) | instid1(VALU_DEP_1)
	v_cmp_ne_u32_e64 s1, 0x7f800000, v1
	s_and_saveexec_b32 s12, s1
	s_delay_alu instid0(SALU_CYCLE_1)
	s_xor_b32 s1, exec_lo, s12
; %bb.164:                              ;   in Loop: Header=BB167_40 Depth=1
	v_bfe_u32 v1, v0, 16, 1
	s_delay_alu instid0(VALU_DEP_1)
	v_add3_u32 v161, v0, v1, 0x7fff
                                        ; implicit-def: $vgpr0
; %bb.165:                              ;   in Loop: Header=BB167_40 Depth=1
	s_and_not1_saveexec_b32 s12, s1
; %bb.166:                              ;   in Loop: Header=BB167_40 Depth=1
	v_and_b32_e32 v1, 0xffff, v0
	v_or_b32_e32 v2, 0x10000, v0
	s_delay_alu instid0(VALU_DEP_2) | instskip(NEXT) | instid1(VALU_DEP_1)
	v_cmp_eq_u32_e64 s1, 0, v1
	v_cndmask_b32_e64 v161, v2, v0, s1
; %bb.167:                              ;   in Loop: Header=BB167_40 Depth=1
	s_or_b32 exec_lo, exec_lo, s12
	v_lshlrev_b32_e32 v0, 16, v3
                                        ; implicit-def: $vgpr162
	s_delay_alu instid0(VALU_DEP_1) | instskip(NEXT) | instid1(VALU_DEP_1)
	v_mul_f32_e32 v0, v145, v0
	v_and_b32_e32 v1, 0x7f800000, v0
	s_delay_alu instid0(VALU_DEP_1) | instskip(NEXT) | instid1(VALU_DEP_1)
	v_cmp_ne_u32_e64 s1, 0x7f800000, v1
	s_and_saveexec_b32 s12, s1
	s_delay_alu instid0(SALU_CYCLE_1)
	s_xor_b32 s1, exec_lo, s12
; %bb.168:                              ;   in Loop: Header=BB167_40 Depth=1
	v_bfe_u32 v1, v0, 16, 1
	s_delay_alu instid0(VALU_DEP_1)
	v_add3_u32 v162, v0, v1, 0x7fff
                                        ; implicit-def: $vgpr0
; %bb.169:                              ;   in Loop: Header=BB167_40 Depth=1
	s_and_not1_saveexec_b32 s12, s1
; %bb.170:                              ;   in Loop: Header=BB167_40 Depth=1
	v_and_b32_e32 v1, 0xffff, v0
	v_or_b32_e32 v2, 0x10000, v0
	s_delay_alu instid0(VALU_DEP_2) | instskip(NEXT) | instid1(VALU_DEP_1)
	v_cmp_eq_u32_e64 s1, 0, v1
	v_cndmask_b32_e64 v162, v2, v0, s1
; %bb.171:                              ;   in Loop: Header=BB167_40 Depth=1
	s_or_b32 exec_lo, exec_lo, s12
	v_lshlrev_b32_e32 v0, 16, v29
                                        ; implicit-def: $vgpr163
	s_delay_alu instid0(VALU_DEP_1) | instskip(NEXT) | instid1(VALU_DEP_1)
	v_mul_f32_e32 v0, v146, v0
	v_and_b32_e32 v1, 0x7f800000, v0
	s_delay_alu instid0(VALU_DEP_1) | instskip(NEXT) | instid1(VALU_DEP_1)
	v_cmp_ne_u32_e64 s1, 0x7f800000, v1
	s_and_saveexec_b32 s12, s1
	s_delay_alu instid0(SALU_CYCLE_1)
	s_xor_b32 s1, exec_lo, s12
; %bb.172:                              ;   in Loop: Header=BB167_40 Depth=1
	v_bfe_u32 v1, v0, 16, 1
	s_delay_alu instid0(VALU_DEP_1)
	v_add3_u32 v163, v0, v1, 0x7fff
                                        ; implicit-def: $vgpr0
; %bb.173:                              ;   in Loop: Header=BB167_40 Depth=1
	s_and_not1_saveexec_b32 s12, s1
; %bb.174:                              ;   in Loop: Header=BB167_40 Depth=1
	v_and_b32_e32 v1, 0xffff, v0
	v_or_b32_e32 v2, 0x10000, v0
	s_delay_alu instid0(VALU_DEP_2) | instskip(NEXT) | instid1(VALU_DEP_1)
	v_cmp_eq_u32_e64 s1, 0, v1
	v_cndmask_b32_e64 v163, v2, v0, s1
; %bb.175:                              ;   in Loop: Header=BB167_40 Depth=1
	s_or_b32 exec_lo, exec_lo, s12
	flat_load_b128 v[0:3], v[6:7] offset:1536
	s_waitcnt vmcnt(0) lgkmcnt(0)
	v_lshrrev_b32_e32 v5, 16, v0
	v_lshrrev_b32_e32 v13, 16, v1
	;; [unrolled: 1-line block ×4, first 2 shown]
	s_and_saveexec_b32 s12, vcc_lo
	s_cbranch_execz .LBB167_177
; %bb.176:                              ;   in Loop: Header=BB167_40 Depth=1
	v_cmp_lt_i32_e64 s1, v114, v32
	s_delay_alu instid0(VALU_DEP_1) | instskip(SKIP_1) | instid1(VALU_DEP_1)
	v_cndmask_b32_e64 v0, 0, v0, s1
	v_cmp_lt_i32_e64 s1, v128, v32
	v_cndmask_b32_e64 v5, 0, v5, s1
	v_cmp_lt_i32_e64 s1, v119, v32
	s_delay_alu instid0(VALU_DEP_1) | instskip(SKIP_1) | instid1(VALU_DEP_1)
	v_cndmask_b32_e64 v1, 0, v1, s1
	v_cmp_lt_i32_e64 s1, v118, v32
	v_cndmask_b32_e64 v13, 0, v13, s1
	v_cmp_lt_i32_e64 s1, v117, v32
	s_delay_alu instid0(VALU_DEP_1) | instskip(SKIP_1) | instid1(VALU_DEP_1)
	v_cndmask_b32_e64 v2, 0, v2, s1
	v_cmp_lt_i32_e64 s1, v115, v32
	v_cndmask_b32_e64 v31, 0, v31, s1
	v_cmp_lt_i32_e64 s1, v112, v32
	s_delay_alu instid0(VALU_DEP_1) | instskip(SKIP_1) | instid1(VALU_DEP_1)
	v_cndmask_b32_e64 v3, 0, v3, s1
	v_cmp_lt_i32_e64 s1, v116, v32
	v_cndmask_b32_e64 v29, 0, v29, s1
.LBB167_177:                            ;   in Loop: Header=BB167_40 Depth=1
	s_or_b32 exec_lo, exec_lo, s12
	v_lshlrev_b32_e32 v0, 16, v0
	s_delay_alu instid0(VALU_DEP_1) | instskip(NEXT) | instid1(VALU_DEP_1)
	v_mul_f32_e32 v0, v131, v0
	v_and_b32_e32 v164, 0x7f800000, v0
	s_delay_alu instid0(VALU_DEP_1) | instskip(NEXT) | instid1(VALU_DEP_1)
	v_cmp_ne_u32_e64 s1, 0x7f800000, v164
                                        ; implicit-def: $vgpr164
	s_and_saveexec_b32 s12, s1
	s_delay_alu instid0(SALU_CYCLE_1)
	s_xor_b32 s1, exec_lo, s12
; %bb.178:                              ;   in Loop: Header=BB167_40 Depth=1
	v_bfe_u32 v164, v0, 16, 1
	s_delay_alu instid0(VALU_DEP_1)
	v_add3_u32 v164, v0, v164, 0x7fff
                                        ; implicit-def: $vgpr0
; %bb.179:                              ;   in Loop: Header=BB167_40 Depth=1
	s_and_not1_saveexec_b32 s12, s1
; %bb.180:                              ;   in Loop: Header=BB167_40 Depth=1
	v_and_b32_e32 v164, 0xffff, v0
	v_or_b32_e32 v165, 0x10000, v0
	s_delay_alu instid0(VALU_DEP_2) | instskip(NEXT) | instid1(VALU_DEP_1)
	v_cmp_eq_u32_e64 s1, 0, v164
	v_cndmask_b32_e64 v164, v165, v0, s1
; %bb.181:                              ;   in Loop: Header=BB167_40 Depth=1
	s_or_b32 exec_lo, exec_lo, s12
	v_lshlrev_b32_e32 v0, 16, v5
                                        ; implicit-def: $vgpr165
	s_delay_alu instid0(VALU_DEP_1) | instskip(NEXT) | instid1(VALU_DEP_1)
	v_mul_f32_e32 v0, v132, v0
	v_and_b32_e32 v5, 0x7f800000, v0
	s_delay_alu instid0(VALU_DEP_1) | instskip(NEXT) | instid1(VALU_DEP_1)
	v_cmp_ne_u32_e64 s1, 0x7f800000, v5
	s_and_saveexec_b32 s12, s1
	s_delay_alu instid0(SALU_CYCLE_1)
	s_xor_b32 s1, exec_lo, s12
; %bb.182:                              ;   in Loop: Header=BB167_40 Depth=1
	v_bfe_u32 v5, v0, 16, 1
	s_delay_alu instid0(VALU_DEP_1)
	v_add3_u32 v165, v0, v5, 0x7fff
                                        ; implicit-def: $vgpr0
; %bb.183:                              ;   in Loop: Header=BB167_40 Depth=1
	s_and_not1_saveexec_b32 s12, s1
; %bb.184:                              ;   in Loop: Header=BB167_40 Depth=1
	v_and_b32_e32 v5, 0xffff, v0
	v_or_b32_e32 v165, 0x10000, v0
	s_delay_alu instid0(VALU_DEP_2) | instskip(NEXT) | instid1(VALU_DEP_1)
	v_cmp_eq_u32_e64 s1, 0, v5
	v_cndmask_b32_e64 v165, v165, v0, s1
; %bb.185:                              ;   in Loop: Header=BB167_40 Depth=1
	s_or_b32 exec_lo, exec_lo, s12
	v_lshlrev_b32_e32 v0, 16, v1
                                        ; implicit-def: $vgpr166
	s_delay_alu instid0(VALU_DEP_1) | instskip(NEXT) | instid1(VALU_DEP_1)
	v_mul_f32_e32 v0, v133, v0
	v_and_b32_e32 v1, 0x7f800000, v0
	s_delay_alu instid0(VALU_DEP_1) | instskip(NEXT) | instid1(VALU_DEP_1)
	v_cmp_ne_u32_e64 s1, 0x7f800000, v1
	s_and_saveexec_b32 s12, s1
	s_delay_alu instid0(SALU_CYCLE_1)
	s_xor_b32 s1, exec_lo, s12
; %bb.186:                              ;   in Loop: Header=BB167_40 Depth=1
	v_bfe_u32 v1, v0, 16, 1
	s_delay_alu instid0(VALU_DEP_1)
	v_add3_u32 v166, v0, v1, 0x7fff
                                        ; implicit-def: $vgpr0
; %bb.187:                              ;   in Loop: Header=BB167_40 Depth=1
	s_and_not1_saveexec_b32 s12, s1
; %bb.188:                              ;   in Loop: Header=BB167_40 Depth=1
	v_and_b32_e32 v1, 0xffff, v0
	v_or_b32_e32 v5, 0x10000, v0
	s_delay_alu instid0(VALU_DEP_2) | instskip(NEXT) | instid1(VALU_DEP_1)
	v_cmp_eq_u32_e64 s1, 0, v1
	v_cndmask_b32_e64 v166, v5, v0, s1
; %bb.189:                              ;   in Loop: Header=BB167_40 Depth=1
	s_or_b32 exec_lo, exec_lo, s12
	v_lshlrev_b32_e32 v0, 16, v13
                                        ; implicit-def: $vgpr167
	s_delay_alu instid0(VALU_DEP_1) | instskip(NEXT) | instid1(VALU_DEP_1)
	v_mul_f32_e32 v0, v134, v0
	v_and_b32_e32 v1, 0x7f800000, v0
	s_delay_alu instid0(VALU_DEP_1) | instskip(NEXT) | instid1(VALU_DEP_1)
	v_cmp_ne_u32_e64 s1, 0x7f800000, v1
	s_and_saveexec_b32 s12, s1
	s_delay_alu instid0(SALU_CYCLE_1)
	s_xor_b32 s1, exec_lo, s12
; %bb.190:                              ;   in Loop: Header=BB167_40 Depth=1
	v_bfe_u32 v1, v0, 16, 1
	s_delay_alu instid0(VALU_DEP_1)
	v_add3_u32 v167, v0, v1, 0x7fff
                                        ; implicit-def: $vgpr0
; %bb.191:                              ;   in Loop: Header=BB167_40 Depth=1
	s_and_not1_saveexec_b32 s12, s1
; %bb.192:                              ;   in Loop: Header=BB167_40 Depth=1
	v_and_b32_e32 v1, 0xffff, v0
	v_or_b32_e32 v5, 0x10000, v0
	s_delay_alu instid0(VALU_DEP_2) | instskip(NEXT) | instid1(VALU_DEP_1)
	v_cmp_eq_u32_e64 s1, 0, v1
	v_cndmask_b32_e64 v167, v5, v0, s1
; %bb.193:                              ;   in Loop: Header=BB167_40 Depth=1
	s_or_b32 exec_lo, exec_lo, s12
	v_lshlrev_b32_e32 v0, 16, v2
                                        ; implicit-def: $vgpr176
	s_delay_alu instid0(VALU_DEP_1) | instskip(NEXT) | instid1(VALU_DEP_1)
	v_mul_f32_e32 v0, v135, v0
	v_and_b32_e32 v1, 0x7f800000, v0
	s_delay_alu instid0(VALU_DEP_1) | instskip(NEXT) | instid1(VALU_DEP_1)
	v_cmp_ne_u32_e64 s1, 0x7f800000, v1
	s_and_saveexec_b32 s12, s1
	s_delay_alu instid0(SALU_CYCLE_1)
	s_xor_b32 s1, exec_lo, s12
; %bb.194:                              ;   in Loop: Header=BB167_40 Depth=1
	v_bfe_u32 v1, v0, 16, 1
	s_delay_alu instid0(VALU_DEP_1)
	v_add3_u32 v176, v0, v1, 0x7fff
                                        ; implicit-def: $vgpr0
; %bb.195:                              ;   in Loop: Header=BB167_40 Depth=1
	s_and_not1_saveexec_b32 s12, s1
; %bb.196:                              ;   in Loop: Header=BB167_40 Depth=1
	v_and_b32_e32 v1, 0xffff, v0
	v_or_b32_e32 v2, 0x10000, v0
	s_delay_alu instid0(VALU_DEP_2) | instskip(NEXT) | instid1(VALU_DEP_1)
	v_cmp_eq_u32_e64 s1, 0, v1
	v_cndmask_b32_e64 v176, v2, v0, s1
; %bb.197:                              ;   in Loop: Header=BB167_40 Depth=1
	s_or_b32 exec_lo, exec_lo, s12
	v_lshlrev_b32_e32 v0, 16, v31
                                        ; implicit-def: $vgpr177
	s_delay_alu instid0(VALU_DEP_1) | instskip(NEXT) | instid1(VALU_DEP_1)
	v_mul_f32_e32 v0, v144, v0
	v_and_b32_e32 v1, 0x7f800000, v0
	s_delay_alu instid0(VALU_DEP_1) | instskip(NEXT) | instid1(VALU_DEP_1)
	v_cmp_ne_u32_e64 s1, 0x7f800000, v1
	s_and_saveexec_b32 s12, s1
	s_delay_alu instid0(SALU_CYCLE_1)
	s_xor_b32 s1, exec_lo, s12
; %bb.198:                              ;   in Loop: Header=BB167_40 Depth=1
	v_bfe_u32 v1, v0, 16, 1
	s_delay_alu instid0(VALU_DEP_1)
	v_add3_u32 v177, v0, v1, 0x7fff
                                        ; implicit-def: $vgpr0
; %bb.199:                              ;   in Loop: Header=BB167_40 Depth=1
	s_and_not1_saveexec_b32 s12, s1
; %bb.200:                              ;   in Loop: Header=BB167_40 Depth=1
	v_and_b32_e32 v1, 0xffff, v0
	v_or_b32_e32 v2, 0x10000, v0
	s_delay_alu instid0(VALU_DEP_2) | instskip(NEXT) | instid1(VALU_DEP_1)
	v_cmp_eq_u32_e64 s1, 0, v1
	v_cndmask_b32_e64 v177, v2, v0, s1
; %bb.201:                              ;   in Loop: Header=BB167_40 Depth=1
	s_or_b32 exec_lo, exec_lo, s12
	v_lshlrev_b32_e32 v0, 16, v3
                                        ; implicit-def: $vgpr178
	s_delay_alu instid0(VALU_DEP_1) | instskip(NEXT) | instid1(VALU_DEP_1)
	v_mul_f32_e32 v0, v145, v0
	v_and_b32_e32 v1, 0x7f800000, v0
	s_delay_alu instid0(VALU_DEP_1) | instskip(NEXT) | instid1(VALU_DEP_1)
	v_cmp_ne_u32_e64 s1, 0x7f800000, v1
	s_and_saveexec_b32 s12, s1
	s_delay_alu instid0(SALU_CYCLE_1)
	s_xor_b32 s1, exec_lo, s12
; %bb.202:                              ;   in Loop: Header=BB167_40 Depth=1
	v_bfe_u32 v1, v0, 16, 1
	s_delay_alu instid0(VALU_DEP_1)
	v_add3_u32 v178, v0, v1, 0x7fff
                                        ; implicit-def: $vgpr0
; %bb.203:                              ;   in Loop: Header=BB167_40 Depth=1
	s_and_not1_saveexec_b32 s12, s1
; %bb.204:                              ;   in Loop: Header=BB167_40 Depth=1
	v_and_b32_e32 v1, 0xffff, v0
	v_or_b32_e32 v2, 0x10000, v0
	s_delay_alu instid0(VALU_DEP_2) | instskip(NEXT) | instid1(VALU_DEP_1)
	v_cmp_eq_u32_e64 s1, 0, v1
	v_cndmask_b32_e64 v178, v2, v0, s1
; %bb.205:                              ;   in Loop: Header=BB167_40 Depth=1
	s_or_b32 exec_lo, exec_lo, s12
	v_lshlrev_b32_e32 v0, 16, v29
                                        ; implicit-def: $vgpr179
	s_delay_alu instid0(VALU_DEP_1) | instskip(NEXT) | instid1(VALU_DEP_1)
	v_mul_f32_e32 v0, v146, v0
	v_and_b32_e32 v1, 0x7f800000, v0
	s_delay_alu instid0(VALU_DEP_1) | instskip(NEXT) | instid1(VALU_DEP_1)
	v_cmp_ne_u32_e64 s1, 0x7f800000, v1
	s_and_saveexec_b32 s12, s1
	s_delay_alu instid0(SALU_CYCLE_1)
	s_xor_b32 s1, exec_lo, s12
; %bb.206:                              ;   in Loop: Header=BB167_40 Depth=1
	v_bfe_u32 v1, v0, 16, 1
	s_delay_alu instid0(VALU_DEP_1)
	v_add3_u32 v179, v0, v1, 0x7fff
                                        ; implicit-def: $vgpr0
; %bb.207:                              ;   in Loop: Header=BB167_40 Depth=1
	s_and_not1_saveexec_b32 s12, s1
; %bb.208:                              ;   in Loop: Header=BB167_40 Depth=1
	v_and_b32_e32 v1, 0xffff, v0
	v_or_b32_e32 v2, 0x10000, v0
	s_delay_alu instid0(VALU_DEP_2) | instskip(NEXT) | instid1(VALU_DEP_1)
	v_cmp_eq_u32_e64 s1, 0, v1
	v_cndmask_b32_e64 v179, v2, v0, s1
; %bb.209:                              ;   in Loop: Header=BB167_40 Depth=1
	s_or_b32 exec_lo, exec_lo, s12
	flat_load_b128 v[0:3], v[6:7] offset:2048
	s_waitcnt vmcnt(0) lgkmcnt(0)
	v_lshrrev_b32_e32 v5, 16, v0
	v_lshrrev_b32_e32 v13, 16, v1
	;; [unrolled: 1-line block ×4, first 2 shown]
	s_and_saveexec_b32 s12, vcc_lo
	s_cbranch_execz .LBB167_211
; %bb.210:                              ;   in Loop: Header=BB167_40 Depth=1
	v_cmp_lt_i32_e64 s1, v114, v32
	s_delay_alu instid0(VALU_DEP_1) | instskip(SKIP_1) | instid1(VALU_DEP_1)
	v_cndmask_b32_e64 v0, 0, v0, s1
	v_cmp_lt_i32_e64 s1, v128, v32
	v_cndmask_b32_e64 v5, 0, v5, s1
	v_cmp_lt_i32_e64 s1, v119, v32
	s_delay_alu instid0(VALU_DEP_1) | instskip(SKIP_1) | instid1(VALU_DEP_1)
	v_cndmask_b32_e64 v1, 0, v1, s1
	v_cmp_lt_i32_e64 s1, v118, v32
	v_cndmask_b32_e64 v13, 0, v13, s1
	;; [unrolled: 5-line block ×4, first 2 shown]
.LBB167_211:                            ;   in Loop: Header=BB167_40 Depth=1
	s_or_b32 exec_lo, exec_lo, s12
	v_lshlrev_b32_e32 v0, 16, v0
	s_delay_alu instid0(VALU_DEP_1) | instskip(NEXT) | instid1(VALU_DEP_1)
	v_mul_f32_e32 v0, v131, v0
	v_and_b32_e32 v180, 0x7f800000, v0
	s_delay_alu instid0(VALU_DEP_1) | instskip(NEXT) | instid1(VALU_DEP_1)
	v_cmp_ne_u32_e64 s1, 0x7f800000, v180
                                        ; implicit-def: $vgpr180
	s_and_saveexec_b32 s12, s1
	s_delay_alu instid0(SALU_CYCLE_1)
	s_xor_b32 s1, exec_lo, s12
; %bb.212:                              ;   in Loop: Header=BB167_40 Depth=1
	v_bfe_u32 v180, v0, 16, 1
	s_delay_alu instid0(VALU_DEP_1)
	v_add3_u32 v180, v0, v180, 0x7fff
                                        ; implicit-def: $vgpr0
; %bb.213:                              ;   in Loop: Header=BB167_40 Depth=1
	s_and_not1_saveexec_b32 s12, s1
; %bb.214:                              ;   in Loop: Header=BB167_40 Depth=1
	v_and_b32_e32 v180, 0xffff, v0
	v_or_b32_e32 v181, 0x10000, v0
	s_delay_alu instid0(VALU_DEP_2) | instskip(NEXT) | instid1(VALU_DEP_1)
	v_cmp_eq_u32_e64 s1, 0, v180
	v_cndmask_b32_e64 v180, v181, v0, s1
; %bb.215:                              ;   in Loop: Header=BB167_40 Depth=1
	s_or_b32 exec_lo, exec_lo, s12
	v_lshlrev_b32_e32 v0, 16, v5
                                        ; implicit-def: $vgpr181
	s_delay_alu instid0(VALU_DEP_1) | instskip(NEXT) | instid1(VALU_DEP_1)
	v_mul_f32_e32 v0, v132, v0
	v_and_b32_e32 v5, 0x7f800000, v0
	s_delay_alu instid0(VALU_DEP_1) | instskip(NEXT) | instid1(VALU_DEP_1)
	v_cmp_ne_u32_e64 s1, 0x7f800000, v5
	s_and_saveexec_b32 s12, s1
	s_delay_alu instid0(SALU_CYCLE_1)
	s_xor_b32 s1, exec_lo, s12
; %bb.216:                              ;   in Loop: Header=BB167_40 Depth=1
	v_bfe_u32 v5, v0, 16, 1
	s_delay_alu instid0(VALU_DEP_1)
	v_add3_u32 v181, v0, v5, 0x7fff
                                        ; implicit-def: $vgpr0
; %bb.217:                              ;   in Loop: Header=BB167_40 Depth=1
	s_and_not1_saveexec_b32 s12, s1
; %bb.218:                              ;   in Loop: Header=BB167_40 Depth=1
	v_and_b32_e32 v5, 0xffff, v0
	v_or_b32_e32 v181, 0x10000, v0
	s_delay_alu instid0(VALU_DEP_2) | instskip(NEXT) | instid1(VALU_DEP_1)
	v_cmp_eq_u32_e64 s1, 0, v5
	v_cndmask_b32_e64 v181, v181, v0, s1
; %bb.219:                              ;   in Loop: Header=BB167_40 Depth=1
	s_or_b32 exec_lo, exec_lo, s12
	v_lshlrev_b32_e32 v0, 16, v1
                                        ; implicit-def: $vgpr182
	s_delay_alu instid0(VALU_DEP_1) | instskip(NEXT) | instid1(VALU_DEP_1)
	v_mul_f32_e32 v0, v133, v0
	v_and_b32_e32 v1, 0x7f800000, v0
	s_delay_alu instid0(VALU_DEP_1) | instskip(NEXT) | instid1(VALU_DEP_1)
	v_cmp_ne_u32_e64 s1, 0x7f800000, v1
	s_and_saveexec_b32 s12, s1
	s_delay_alu instid0(SALU_CYCLE_1)
	s_xor_b32 s1, exec_lo, s12
; %bb.220:                              ;   in Loop: Header=BB167_40 Depth=1
	v_bfe_u32 v1, v0, 16, 1
	s_delay_alu instid0(VALU_DEP_1)
	v_add3_u32 v182, v0, v1, 0x7fff
                                        ; implicit-def: $vgpr0
; %bb.221:                              ;   in Loop: Header=BB167_40 Depth=1
	s_and_not1_saveexec_b32 s12, s1
; %bb.222:                              ;   in Loop: Header=BB167_40 Depth=1
	v_and_b32_e32 v1, 0xffff, v0
	v_or_b32_e32 v5, 0x10000, v0
	s_delay_alu instid0(VALU_DEP_2) | instskip(NEXT) | instid1(VALU_DEP_1)
	v_cmp_eq_u32_e64 s1, 0, v1
	v_cndmask_b32_e64 v182, v5, v0, s1
; %bb.223:                              ;   in Loop: Header=BB167_40 Depth=1
	s_or_b32 exec_lo, exec_lo, s12
	v_lshlrev_b32_e32 v0, 16, v13
                                        ; implicit-def: $vgpr183
	s_delay_alu instid0(VALU_DEP_1) | instskip(NEXT) | instid1(VALU_DEP_1)
	v_mul_f32_e32 v0, v134, v0
	v_and_b32_e32 v1, 0x7f800000, v0
	s_delay_alu instid0(VALU_DEP_1) | instskip(NEXT) | instid1(VALU_DEP_1)
	v_cmp_ne_u32_e64 s1, 0x7f800000, v1
	s_and_saveexec_b32 s12, s1
	s_delay_alu instid0(SALU_CYCLE_1)
	s_xor_b32 s1, exec_lo, s12
; %bb.224:                              ;   in Loop: Header=BB167_40 Depth=1
	v_bfe_u32 v1, v0, 16, 1
	s_delay_alu instid0(VALU_DEP_1)
	v_add3_u32 v183, v0, v1, 0x7fff
                                        ; implicit-def: $vgpr0
; %bb.225:                              ;   in Loop: Header=BB167_40 Depth=1
	s_and_not1_saveexec_b32 s12, s1
; %bb.226:                              ;   in Loop: Header=BB167_40 Depth=1
	v_and_b32_e32 v1, 0xffff, v0
	v_or_b32_e32 v5, 0x10000, v0
	s_delay_alu instid0(VALU_DEP_2) | instskip(NEXT) | instid1(VALU_DEP_1)
	v_cmp_eq_u32_e64 s1, 0, v1
	v_cndmask_b32_e64 v183, v5, v0, s1
; %bb.227:                              ;   in Loop: Header=BB167_40 Depth=1
	s_or_b32 exec_lo, exec_lo, s12
	v_lshlrev_b32_e32 v0, 16, v2
                                        ; implicit-def: $vgpr40
	s_delay_alu instid0(VALU_DEP_1) | instskip(NEXT) | instid1(VALU_DEP_1)
	v_mul_f32_e32 v0, v135, v0
	v_and_b32_e32 v1, 0x7f800000, v0
	s_delay_alu instid0(VALU_DEP_1) | instskip(NEXT) | instid1(VALU_DEP_1)
	v_cmp_ne_u32_e64 s1, 0x7f800000, v1
	s_and_saveexec_b32 s12, s1
	s_delay_alu instid0(SALU_CYCLE_1)
	s_xor_b32 s1, exec_lo, s12
; %bb.228:                              ;   in Loop: Header=BB167_40 Depth=1
	v_bfe_u32 v1, v0, 16, 1
	s_delay_alu instid0(VALU_DEP_1)
	v_add3_u32 v40, v0, v1, 0x7fff
                                        ; implicit-def: $vgpr0
; %bb.229:                              ;   in Loop: Header=BB167_40 Depth=1
	s_and_not1_saveexec_b32 s12, s1
; %bb.230:                              ;   in Loop: Header=BB167_40 Depth=1
	v_and_b32_e32 v1, 0xffff, v0
	v_or_b32_e32 v2, 0x10000, v0
	s_delay_alu instid0(VALU_DEP_2) | instskip(NEXT) | instid1(VALU_DEP_1)
	v_cmp_eq_u32_e64 s1, 0, v1
	v_cndmask_b32_e64 v40, v2, v0, s1
; %bb.231:                              ;   in Loop: Header=BB167_40 Depth=1
	s_or_b32 exec_lo, exec_lo, s12
	v_lshlrev_b32_e32 v0, 16, v31
                                        ; implicit-def: $vgpr41
	s_delay_alu instid0(VALU_DEP_1) | instskip(NEXT) | instid1(VALU_DEP_1)
	v_mul_f32_e32 v0, v144, v0
	v_and_b32_e32 v1, 0x7f800000, v0
	s_delay_alu instid0(VALU_DEP_1) | instskip(NEXT) | instid1(VALU_DEP_1)
	v_cmp_ne_u32_e64 s1, 0x7f800000, v1
	s_and_saveexec_b32 s12, s1
	s_delay_alu instid0(SALU_CYCLE_1)
	s_xor_b32 s1, exec_lo, s12
; %bb.232:                              ;   in Loop: Header=BB167_40 Depth=1
	v_bfe_u32 v1, v0, 16, 1
	s_delay_alu instid0(VALU_DEP_1)
	v_add3_u32 v41, v0, v1, 0x7fff
                                        ; implicit-def: $vgpr0
; %bb.233:                              ;   in Loop: Header=BB167_40 Depth=1
	s_and_not1_saveexec_b32 s12, s1
; %bb.234:                              ;   in Loop: Header=BB167_40 Depth=1
	v_and_b32_e32 v1, 0xffff, v0
	v_or_b32_e32 v2, 0x10000, v0
	s_delay_alu instid0(VALU_DEP_2) | instskip(NEXT) | instid1(VALU_DEP_1)
	v_cmp_eq_u32_e64 s1, 0, v1
	v_cndmask_b32_e64 v41, v2, v0, s1
; %bb.235:                              ;   in Loop: Header=BB167_40 Depth=1
	s_or_b32 exec_lo, exec_lo, s12
	v_lshlrev_b32_e32 v0, 16, v3
                                        ; implicit-def: $vgpr42
	s_delay_alu instid0(VALU_DEP_1) | instskip(NEXT) | instid1(VALU_DEP_1)
	v_mul_f32_e32 v0, v145, v0
	v_and_b32_e32 v1, 0x7f800000, v0
	s_delay_alu instid0(VALU_DEP_1) | instskip(NEXT) | instid1(VALU_DEP_1)
	v_cmp_ne_u32_e64 s1, 0x7f800000, v1
	s_and_saveexec_b32 s12, s1
	s_delay_alu instid0(SALU_CYCLE_1)
	s_xor_b32 s1, exec_lo, s12
; %bb.236:                              ;   in Loop: Header=BB167_40 Depth=1
	v_bfe_u32 v1, v0, 16, 1
	s_delay_alu instid0(VALU_DEP_1)
	v_add3_u32 v42, v0, v1, 0x7fff
                                        ; implicit-def: $vgpr0
; %bb.237:                              ;   in Loop: Header=BB167_40 Depth=1
	s_and_not1_saveexec_b32 s12, s1
; %bb.238:                              ;   in Loop: Header=BB167_40 Depth=1
	v_and_b32_e32 v1, 0xffff, v0
	v_or_b32_e32 v2, 0x10000, v0
	s_delay_alu instid0(VALU_DEP_2) | instskip(NEXT) | instid1(VALU_DEP_1)
	v_cmp_eq_u32_e64 s1, 0, v1
	v_cndmask_b32_e64 v42, v2, v0, s1
; %bb.239:                              ;   in Loop: Header=BB167_40 Depth=1
	s_or_b32 exec_lo, exec_lo, s12
	v_lshlrev_b32_e32 v0, 16, v29
                                        ; implicit-def: $vgpr43
	s_delay_alu instid0(VALU_DEP_1) | instskip(NEXT) | instid1(VALU_DEP_1)
	v_mul_f32_e32 v0, v146, v0
	v_and_b32_e32 v1, 0x7f800000, v0
	s_delay_alu instid0(VALU_DEP_1) | instskip(NEXT) | instid1(VALU_DEP_1)
	v_cmp_ne_u32_e64 s1, 0x7f800000, v1
	s_and_saveexec_b32 s12, s1
	s_delay_alu instid0(SALU_CYCLE_1)
	s_xor_b32 s1, exec_lo, s12
; %bb.240:                              ;   in Loop: Header=BB167_40 Depth=1
	v_bfe_u32 v1, v0, 16, 1
	s_delay_alu instid0(VALU_DEP_1)
	v_add3_u32 v43, v0, v1, 0x7fff
                                        ; implicit-def: $vgpr0
; %bb.241:                              ;   in Loop: Header=BB167_40 Depth=1
	s_and_not1_saveexec_b32 s12, s1
; %bb.242:                              ;   in Loop: Header=BB167_40 Depth=1
	v_and_b32_e32 v1, 0xffff, v0
	v_or_b32_e32 v2, 0x10000, v0
	s_delay_alu instid0(VALU_DEP_2) | instskip(NEXT) | instid1(VALU_DEP_1)
	v_cmp_eq_u32_e64 s1, 0, v1
	v_cndmask_b32_e64 v43, v2, v0, s1
; %bb.243:                              ;   in Loop: Header=BB167_40 Depth=1
	s_or_b32 exec_lo, exec_lo, s12
	flat_load_b128 v[0:3], v[6:7] offset:2560
	s_waitcnt vmcnt(0) lgkmcnt(0)
	v_lshrrev_b32_e32 v5, 16, v0
	v_lshrrev_b32_e32 v13, 16, v1
	;; [unrolled: 1-line block ×4, first 2 shown]
	s_and_saveexec_b32 s12, vcc_lo
	s_cbranch_execz .LBB167_245
; %bb.244:                              ;   in Loop: Header=BB167_40 Depth=1
	v_cmp_lt_i32_e64 s1, v114, v32
	s_delay_alu instid0(VALU_DEP_1) | instskip(SKIP_1) | instid1(VALU_DEP_1)
	v_cndmask_b32_e64 v0, 0, v0, s1
	v_cmp_lt_i32_e64 s1, v128, v32
	v_cndmask_b32_e64 v5, 0, v5, s1
	v_cmp_lt_i32_e64 s1, v119, v32
	s_delay_alu instid0(VALU_DEP_1) | instskip(SKIP_1) | instid1(VALU_DEP_1)
	v_cndmask_b32_e64 v1, 0, v1, s1
	v_cmp_lt_i32_e64 s1, v118, v32
	v_cndmask_b32_e64 v13, 0, v13, s1
	;; [unrolled: 5-line block ×4, first 2 shown]
.LBB167_245:                            ;   in Loop: Header=BB167_40 Depth=1
	s_or_b32 exec_lo, exec_lo, s12
	v_lshlrev_b32_e32 v0, 16, v0
	s_delay_alu instid0(VALU_DEP_1) | instskip(NEXT) | instid1(VALU_DEP_1)
	v_mul_f32_e32 v0, v131, v0
	v_and_b32_e32 v44, 0x7f800000, v0
	s_delay_alu instid0(VALU_DEP_1) | instskip(NEXT) | instid1(VALU_DEP_1)
	v_cmp_ne_u32_e64 s1, 0x7f800000, v44
                                        ; implicit-def: $vgpr44
	s_and_saveexec_b32 s12, s1
	s_delay_alu instid0(SALU_CYCLE_1)
	s_xor_b32 s1, exec_lo, s12
; %bb.246:                              ;   in Loop: Header=BB167_40 Depth=1
	v_bfe_u32 v44, v0, 16, 1
	s_delay_alu instid0(VALU_DEP_1)
	v_add3_u32 v44, v0, v44, 0x7fff
                                        ; implicit-def: $vgpr0
; %bb.247:                              ;   in Loop: Header=BB167_40 Depth=1
	s_and_not1_saveexec_b32 s12, s1
; %bb.248:                              ;   in Loop: Header=BB167_40 Depth=1
	v_and_b32_e32 v44, 0xffff, v0
	v_or_b32_e32 v45, 0x10000, v0
	s_delay_alu instid0(VALU_DEP_2) | instskip(NEXT) | instid1(VALU_DEP_1)
	v_cmp_eq_u32_e64 s1, 0, v44
	v_cndmask_b32_e64 v44, v45, v0, s1
; %bb.249:                              ;   in Loop: Header=BB167_40 Depth=1
	s_or_b32 exec_lo, exec_lo, s12
	v_lshlrev_b32_e32 v0, 16, v5
                                        ; implicit-def: $vgpr45
	s_delay_alu instid0(VALU_DEP_1) | instskip(NEXT) | instid1(VALU_DEP_1)
	v_mul_f32_e32 v0, v132, v0
	v_and_b32_e32 v5, 0x7f800000, v0
	s_delay_alu instid0(VALU_DEP_1) | instskip(NEXT) | instid1(VALU_DEP_1)
	v_cmp_ne_u32_e64 s1, 0x7f800000, v5
	s_and_saveexec_b32 s12, s1
	s_delay_alu instid0(SALU_CYCLE_1)
	s_xor_b32 s1, exec_lo, s12
; %bb.250:                              ;   in Loop: Header=BB167_40 Depth=1
	v_bfe_u32 v5, v0, 16, 1
	s_delay_alu instid0(VALU_DEP_1)
	v_add3_u32 v45, v0, v5, 0x7fff
                                        ; implicit-def: $vgpr0
; %bb.251:                              ;   in Loop: Header=BB167_40 Depth=1
	s_and_not1_saveexec_b32 s12, s1
; %bb.252:                              ;   in Loop: Header=BB167_40 Depth=1
	v_and_b32_e32 v5, 0xffff, v0
	v_or_b32_e32 v45, 0x10000, v0
	s_delay_alu instid0(VALU_DEP_2) | instskip(NEXT) | instid1(VALU_DEP_1)
	v_cmp_eq_u32_e64 s1, 0, v5
	v_cndmask_b32_e64 v45, v45, v0, s1
; %bb.253:                              ;   in Loop: Header=BB167_40 Depth=1
	s_or_b32 exec_lo, exec_lo, s12
	v_lshlrev_b32_e32 v0, 16, v1
                                        ; implicit-def: $vgpr46
	s_delay_alu instid0(VALU_DEP_1) | instskip(NEXT) | instid1(VALU_DEP_1)
	v_mul_f32_e32 v0, v133, v0
	v_and_b32_e32 v1, 0x7f800000, v0
	s_delay_alu instid0(VALU_DEP_1) | instskip(NEXT) | instid1(VALU_DEP_1)
	v_cmp_ne_u32_e64 s1, 0x7f800000, v1
	s_and_saveexec_b32 s12, s1
	s_delay_alu instid0(SALU_CYCLE_1)
	s_xor_b32 s1, exec_lo, s12
; %bb.254:                              ;   in Loop: Header=BB167_40 Depth=1
	v_bfe_u32 v1, v0, 16, 1
	s_delay_alu instid0(VALU_DEP_1)
	v_add3_u32 v46, v0, v1, 0x7fff
                                        ; implicit-def: $vgpr0
; %bb.255:                              ;   in Loop: Header=BB167_40 Depth=1
	s_and_not1_saveexec_b32 s12, s1
; %bb.256:                              ;   in Loop: Header=BB167_40 Depth=1
	v_and_b32_e32 v1, 0xffff, v0
	v_or_b32_e32 v5, 0x10000, v0
	s_delay_alu instid0(VALU_DEP_2) | instskip(NEXT) | instid1(VALU_DEP_1)
	v_cmp_eq_u32_e64 s1, 0, v1
	v_cndmask_b32_e64 v46, v5, v0, s1
; %bb.257:                              ;   in Loop: Header=BB167_40 Depth=1
	s_or_b32 exec_lo, exec_lo, s12
	v_lshlrev_b32_e32 v0, 16, v13
                                        ; implicit-def: $vgpr47
	s_delay_alu instid0(VALU_DEP_1) | instskip(NEXT) | instid1(VALU_DEP_1)
	v_mul_f32_e32 v0, v134, v0
	v_and_b32_e32 v1, 0x7f800000, v0
	s_delay_alu instid0(VALU_DEP_1) | instskip(NEXT) | instid1(VALU_DEP_1)
	v_cmp_ne_u32_e64 s1, 0x7f800000, v1
	s_and_saveexec_b32 s12, s1
	s_delay_alu instid0(SALU_CYCLE_1)
	s_xor_b32 s1, exec_lo, s12
; %bb.258:                              ;   in Loop: Header=BB167_40 Depth=1
	v_bfe_u32 v1, v0, 16, 1
	s_delay_alu instid0(VALU_DEP_1)
	v_add3_u32 v47, v0, v1, 0x7fff
                                        ; implicit-def: $vgpr0
; %bb.259:                              ;   in Loop: Header=BB167_40 Depth=1
	s_and_not1_saveexec_b32 s12, s1
; %bb.260:                              ;   in Loop: Header=BB167_40 Depth=1
	v_and_b32_e32 v1, 0xffff, v0
	v_or_b32_e32 v5, 0x10000, v0
	s_delay_alu instid0(VALU_DEP_2) | instskip(NEXT) | instid1(VALU_DEP_1)
	v_cmp_eq_u32_e64 s1, 0, v1
	v_cndmask_b32_e64 v47, v5, v0, s1
; %bb.261:                              ;   in Loop: Header=BB167_40 Depth=1
	s_or_b32 exec_lo, exec_lo, s12
	v_lshlrev_b32_e32 v0, 16, v2
                                        ; implicit-def: $vgpr56
	s_delay_alu instid0(VALU_DEP_1) | instskip(NEXT) | instid1(VALU_DEP_1)
	v_mul_f32_e32 v0, v135, v0
	v_and_b32_e32 v1, 0x7f800000, v0
	s_delay_alu instid0(VALU_DEP_1) | instskip(NEXT) | instid1(VALU_DEP_1)
	v_cmp_ne_u32_e64 s1, 0x7f800000, v1
	s_and_saveexec_b32 s12, s1
	s_delay_alu instid0(SALU_CYCLE_1)
	s_xor_b32 s1, exec_lo, s12
; %bb.262:                              ;   in Loop: Header=BB167_40 Depth=1
	v_bfe_u32 v1, v0, 16, 1
	s_delay_alu instid0(VALU_DEP_1)
	v_add3_u32 v56, v0, v1, 0x7fff
                                        ; implicit-def: $vgpr0
; %bb.263:                              ;   in Loop: Header=BB167_40 Depth=1
	s_and_not1_saveexec_b32 s12, s1
; %bb.264:                              ;   in Loop: Header=BB167_40 Depth=1
	v_and_b32_e32 v1, 0xffff, v0
	v_or_b32_e32 v2, 0x10000, v0
	s_delay_alu instid0(VALU_DEP_2) | instskip(NEXT) | instid1(VALU_DEP_1)
	v_cmp_eq_u32_e64 s1, 0, v1
	v_cndmask_b32_e64 v56, v2, v0, s1
; %bb.265:                              ;   in Loop: Header=BB167_40 Depth=1
	s_or_b32 exec_lo, exec_lo, s12
	v_lshlrev_b32_e32 v0, 16, v31
                                        ; implicit-def: $vgpr57
	s_delay_alu instid0(VALU_DEP_1) | instskip(NEXT) | instid1(VALU_DEP_1)
	v_mul_f32_e32 v0, v144, v0
	v_and_b32_e32 v1, 0x7f800000, v0
	s_delay_alu instid0(VALU_DEP_1) | instskip(NEXT) | instid1(VALU_DEP_1)
	v_cmp_ne_u32_e64 s1, 0x7f800000, v1
	s_and_saveexec_b32 s12, s1
	s_delay_alu instid0(SALU_CYCLE_1)
	s_xor_b32 s1, exec_lo, s12
; %bb.266:                              ;   in Loop: Header=BB167_40 Depth=1
	v_bfe_u32 v1, v0, 16, 1
	s_delay_alu instid0(VALU_DEP_1)
	v_add3_u32 v57, v0, v1, 0x7fff
                                        ; implicit-def: $vgpr0
; %bb.267:                              ;   in Loop: Header=BB167_40 Depth=1
	s_and_not1_saveexec_b32 s12, s1
; %bb.268:                              ;   in Loop: Header=BB167_40 Depth=1
	v_and_b32_e32 v1, 0xffff, v0
	v_or_b32_e32 v2, 0x10000, v0
	s_delay_alu instid0(VALU_DEP_2) | instskip(NEXT) | instid1(VALU_DEP_1)
	v_cmp_eq_u32_e64 s1, 0, v1
	v_cndmask_b32_e64 v57, v2, v0, s1
; %bb.269:                              ;   in Loop: Header=BB167_40 Depth=1
	s_or_b32 exec_lo, exec_lo, s12
	v_lshlrev_b32_e32 v0, 16, v3
                                        ; implicit-def: $vgpr58
	s_delay_alu instid0(VALU_DEP_1) | instskip(NEXT) | instid1(VALU_DEP_1)
	v_mul_f32_e32 v0, v145, v0
	v_and_b32_e32 v1, 0x7f800000, v0
	s_delay_alu instid0(VALU_DEP_1) | instskip(NEXT) | instid1(VALU_DEP_1)
	v_cmp_ne_u32_e64 s1, 0x7f800000, v1
	s_and_saveexec_b32 s12, s1
	s_delay_alu instid0(SALU_CYCLE_1)
	s_xor_b32 s1, exec_lo, s12
; %bb.270:                              ;   in Loop: Header=BB167_40 Depth=1
	v_bfe_u32 v1, v0, 16, 1
	s_delay_alu instid0(VALU_DEP_1)
	v_add3_u32 v58, v0, v1, 0x7fff
                                        ; implicit-def: $vgpr0
; %bb.271:                              ;   in Loop: Header=BB167_40 Depth=1
	s_and_not1_saveexec_b32 s12, s1
; %bb.272:                              ;   in Loop: Header=BB167_40 Depth=1
	v_and_b32_e32 v1, 0xffff, v0
	v_or_b32_e32 v2, 0x10000, v0
	s_delay_alu instid0(VALU_DEP_2) | instskip(NEXT) | instid1(VALU_DEP_1)
	v_cmp_eq_u32_e64 s1, 0, v1
	v_cndmask_b32_e64 v58, v2, v0, s1
; %bb.273:                              ;   in Loop: Header=BB167_40 Depth=1
	s_or_b32 exec_lo, exec_lo, s12
	v_lshlrev_b32_e32 v0, 16, v29
                                        ; implicit-def: $vgpr59
	s_delay_alu instid0(VALU_DEP_1) | instskip(NEXT) | instid1(VALU_DEP_1)
	v_mul_f32_e32 v0, v146, v0
	v_and_b32_e32 v1, 0x7f800000, v0
	s_delay_alu instid0(VALU_DEP_1) | instskip(NEXT) | instid1(VALU_DEP_1)
	v_cmp_ne_u32_e64 s1, 0x7f800000, v1
	s_and_saveexec_b32 s12, s1
	s_delay_alu instid0(SALU_CYCLE_1)
	s_xor_b32 s1, exec_lo, s12
; %bb.274:                              ;   in Loop: Header=BB167_40 Depth=1
	v_bfe_u32 v1, v0, 16, 1
	s_delay_alu instid0(VALU_DEP_1)
	v_add3_u32 v59, v0, v1, 0x7fff
                                        ; implicit-def: $vgpr0
; %bb.275:                              ;   in Loop: Header=BB167_40 Depth=1
	s_and_not1_saveexec_b32 s12, s1
; %bb.276:                              ;   in Loop: Header=BB167_40 Depth=1
	v_and_b32_e32 v1, 0xffff, v0
	v_or_b32_e32 v2, 0x10000, v0
	s_delay_alu instid0(VALU_DEP_2) | instskip(NEXT) | instid1(VALU_DEP_1)
	v_cmp_eq_u32_e64 s1, 0, v1
	v_cndmask_b32_e64 v59, v2, v0, s1
; %bb.277:                              ;   in Loop: Header=BB167_40 Depth=1
	s_or_b32 exec_lo, exec_lo, s12
	flat_load_b128 v[0:3], v[6:7] offset:3072
	s_waitcnt vmcnt(0) lgkmcnt(0)
	v_lshrrev_b32_e32 v5, 16, v0
	v_lshrrev_b32_e32 v13, 16, v1
	;; [unrolled: 1-line block ×4, first 2 shown]
	s_and_saveexec_b32 s12, vcc_lo
	s_cbranch_execz .LBB167_279
; %bb.278:                              ;   in Loop: Header=BB167_40 Depth=1
	v_cmp_lt_i32_e64 s1, v114, v32
	s_delay_alu instid0(VALU_DEP_1) | instskip(SKIP_1) | instid1(VALU_DEP_1)
	v_cndmask_b32_e64 v0, 0, v0, s1
	v_cmp_lt_i32_e64 s1, v128, v32
	v_cndmask_b32_e64 v5, 0, v5, s1
	v_cmp_lt_i32_e64 s1, v119, v32
	s_delay_alu instid0(VALU_DEP_1) | instskip(SKIP_1) | instid1(VALU_DEP_1)
	v_cndmask_b32_e64 v1, 0, v1, s1
	v_cmp_lt_i32_e64 s1, v118, v32
	v_cndmask_b32_e64 v13, 0, v13, s1
	;; [unrolled: 5-line block ×4, first 2 shown]
.LBB167_279:                            ;   in Loop: Header=BB167_40 Depth=1
	s_or_b32 exec_lo, exec_lo, s12
	v_lshlrev_b32_e32 v0, 16, v0
	s_delay_alu instid0(VALU_DEP_1) | instskip(NEXT) | instid1(VALU_DEP_1)
	v_mul_f32_e32 v0, v131, v0
	v_and_b32_e32 v60, 0x7f800000, v0
	s_delay_alu instid0(VALU_DEP_1) | instskip(NEXT) | instid1(VALU_DEP_1)
	v_cmp_ne_u32_e64 s1, 0x7f800000, v60
                                        ; implicit-def: $vgpr60
	s_and_saveexec_b32 s12, s1
	s_delay_alu instid0(SALU_CYCLE_1)
	s_xor_b32 s1, exec_lo, s12
; %bb.280:                              ;   in Loop: Header=BB167_40 Depth=1
	v_bfe_u32 v60, v0, 16, 1
	s_delay_alu instid0(VALU_DEP_1)
	v_add3_u32 v60, v0, v60, 0x7fff
                                        ; implicit-def: $vgpr0
; %bb.281:                              ;   in Loop: Header=BB167_40 Depth=1
	s_and_not1_saveexec_b32 s12, s1
; %bb.282:                              ;   in Loop: Header=BB167_40 Depth=1
	v_and_b32_e32 v60, 0xffff, v0
	v_or_b32_e32 v61, 0x10000, v0
	s_delay_alu instid0(VALU_DEP_2) | instskip(NEXT) | instid1(VALU_DEP_1)
	v_cmp_eq_u32_e64 s1, 0, v60
	v_cndmask_b32_e64 v60, v61, v0, s1
; %bb.283:                              ;   in Loop: Header=BB167_40 Depth=1
	s_or_b32 exec_lo, exec_lo, s12
	v_lshlrev_b32_e32 v0, 16, v5
                                        ; implicit-def: $vgpr61
	s_delay_alu instid0(VALU_DEP_1) | instskip(NEXT) | instid1(VALU_DEP_1)
	v_mul_f32_e32 v0, v132, v0
	v_and_b32_e32 v5, 0x7f800000, v0
	s_delay_alu instid0(VALU_DEP_1) | instskip(NEXT) | instid1(VALU_DEP_1)
	v_cmp_ne_u32_e64 s1, 0x7f800000, v5
	s_and_saveexec_b32 s12, s1
	s_delay_alu instid0(SALU_CYCLE_1)
	s_xor_b32 s1, exec_lo, s12
; %bb.284:                              ;   in Loop: Header=BB167_40 Depth=1
	v_bfe_u32 v5, v0, 16, 1
	s_delay_alu instid0(VALU_DEP_1)
	v_add3_u32 v61, v0, v5, 0x7fff
                                        ; implicit-def: $vgpr0
; %bb.285:                              ;   in Loop: Header=BB167_40 Depth=1
	s_and_not1_saveexec_b32 s12, s1
; %bb.286:                              ;   in Loop: Header=BB167_40 Depth=1
	v_and_b32_e32 v5, 0xffff, v0
	v_or_b32_e32 v61, 0x10000, v0
	s_delay_alu instid0(VALU_DEP_2) | instskip(NEXT) | instid1(VALU_DEP_1)
	v_cmp_eq_u32_e64 s1, 0, v5
	v_cndmask_b32_e64 v61, v61, v0, s1
; %bb.287:                              ;   in Loop: Header=BB167_40 Depth=1
	s_or_b32 exec_lo, exec_lo, s12
	v_lshlrev_b32_e32 v0, 16, v1
                                        ; implicit-def: $vgpr62
	s_delay_alu instid0(VALU_DEP_1) | instskip(NEXT) | instid1(VALU_DEP_1)
	v_mul_f32_e32 v0, v133, v0
	v_and_b32_e32 v1, 0x7f800000, v0
	s_delay_alu instid0(VALU_DEP_1) | instskip(NEXT) | instid1(VALU_DEP_1)
	v_cmp_ne_u32_e64 s1, 0x7f800000, v1
	s_and_saveexec_b32 s12, s1
	s_delay_alu instid0(SALU_CYCLE_1)
	s_xor_b32 s1, exec_lo, s12
; %bb.288:                              ;   in Loop: Header=BB167_40 Depth=1
	v_bfe_u32 v1, v0, 16, 1
	s_delay_alu instid0(VALU_DEP_1)
	v_add3_u32 v62, v0, v1, 0x7fff
                                        ; implicit-def: $vgpr0
; %bb.289:                              ;   in Loop: Header=BB167_40 Depth=1
	s_and_not1_saveexec_b32 s12, s1
; %bb.290:                              ;   in Loop: Header=BB167_40 Depth=1
	v_and_b32_e32 v1, 0xffff, v0
	v_or_b32_e32 v5, 0x10000, v0
	s_delay_alu instid0(VALU_DEP_2) | instskip(NEXT) | instid1(VALU_DEP_1)
	v_cmp_eq_u32_e64 s1, 0, v1
	v_cndmask_b32_e64 v62, v5, v0, s1
; %bb.291:                              ;   in Loop: Header=BB167_40 Depth=1
	s_or_b32 exec_lo, exec_lo, s12
	v_lshlrev_b32_e32 v0, 16, v13
                                        ; implicit-def: $vgpr63
	s_delay_alu instid0(VALU_DEP_1) | instskip(NEXT) | instid1(VALU_DEP_1)
	v_mul_f32_e32 v0, v134, v0
	v_and_b32_e32 v1, 0x7f800000, v0
	s_delay_alu instid0(VALU_DEP_1) | instskip(NEXT) | instid1(VALU_DEP_1)
	v_cmp_ne_u32_e64 s1, 0x7f800000, v1
	s_and_saveexec_b32 s12, s1
	s_delay_alu instid0(SALU_CYCLE_1)
	s_xor_b32 s1, exec_lo, s12
; %bb.292:                              ;   in Loop: Header=BB167_40 Depth=1
	v_bfe_u32 v1, v0, 16, 1
	s_delay_alu instid0(VALU_DEP_1)
	v_add3_u32 v63, v0, v1, 0x7fff
                                        ; implicit-def: $vgpr0
; %bb.293:                              ;   in Loop: Header=BB167_40 Depth=1
	s_and_not1_saveexec_b32 s12, s1
; %bb.294:                              ;   in Loop: Header=BB167_40 Depth=1
	v_and_b32_e32 v1, 0xffff, v0
	v_or_b32_e32 v5, 0x10000, v0
	s_delay_alu instid0(VALU_DEP_2) | instskip(NEXT) | instid1(VALU_DEP_1)
	v_cmp_eq_u32_e64 s1, 0, v1
	v_cndmask_b32_e64 v63, v5, v0, s1
; %bb.295:                              ;   in Loop: Header=BB167_40 Depth=1
	s_or_b32 exec_lo, exec_lo, s12
	v_lshlrev_b32_e32 v0, 16, v2
                                        ; implicit-def: $vgpr72
	s_delay_alu instid0(VALU_DEP_1) | instskip(NEXT) | instid1(VALU_DEP_1)
	v_mul_f32_e32 v0, v135, v0
	v_and_b32_e32 v1, 0x7f800000, v0
	s_delay_alu instid0(VALU_DEP_1) | instskip(NEXT) | instid1(VALU_DEP_1)
	v_cmp_ne_u32_e64 s1, 0x7f800000, v1
	s_and_saveexec_b32 s12, s1
	s_delay_alu instid0(SALU_CYCLE_1)
	s_xor_b32 s1, exec_lo, s12
; %bb.296:                              ;   in Loop: Header=BB167_40 Depth=1
	v_bfe_u32 v1, v0, 16, 1
	s_delay_alu instid0(VALU_DEP_1)
	v_add3_u32 v72, v0, v1, 0x7fff
                                        ; implicit-def: $vgpr0
; %bb.297:                              ;   in Loop: Header=BB167_40 Depth=1
	s_and_not1_saveexec_b32 s12, s1
; %bb.298:                              ;   in Loop: Header=BB167_40 Depth=1
	v_and_b32_e32 v1, 0xffff, v0
	v_or_b32_e32 v2, 0x10000, v0
	s_delay_alu instid0(VALU_DEP_2) | instskip(NEXT) | instid1(VALU_DEP_1)
	v_cmp_eq_u32_e64 s1, 0, v1
	v_cndmask_b32_e64 v72, v2, v0, s1
; %bb.299:                              ;   in Loop: Header=BB167_40 Depth=1
	s_or_b32 exec_lo, exec_lo, s12
	v_lshlrev_b32_e32 v0, 16, v31
                                        ; implicit-def: $vgpr73
	s_delay_alu instid0(VALU_DEP_1) | instskip(NEXT) | instid1(VALU_DEP_1)
	v_mul_f32_e32 v0, v144, v0
	v_and_b32_e32 v1, 0x7f800000, v0
	s_delay_alu instid0(VALU_DEP_1) | instskip(NEXT) | instid1(VALU_DEP_1)
	v_cmp_ne_u32_e64 s1, 0x7f800000, v1
	s_and_saveexec_b32 s12, s1
	s_delay_alu instid0(SALU_CYCLE_1)
	s_xor_b32 s1, exec_lo, s12
; %bb.300:                              ;   in Loop: Header=BB167_40 Depth=1
	v_bfe_u32 v1, v0, 16, 1
	s_delay_alu instid0(VALU_DEP_1)
	v_add3_u32 v73, v0, v1, 0x7fff
                                        ; implicit-def: $vgpr0
; %bb.301:                              ;   in Loop: Header=BB167_40 Depth=1
	s_and_not1_saveexec_b32 s12, s1
; %bb.302:                              ;   in Loop: Header=BB167_40 Depth=1
	v_and_b32_e32 v1, 0xffff, v0
	v_or_b32_e32 v2, 0x10000, v0
	s_delay_alu instid0(VALU_DEP_2) | instskip(NEXT) | instid1(VALU_DEP_1)
	v_cmp_eq_u32_e64 s1, 0, v1
	v_cndmask_b32_e64 v73, v2, v0, s1
; %bb.303:                              ;   in Loop: Header=BB167_40 Depth=1
	s_or_b32 exec_lo, exec_lo, s12
	v_lshlrev_b32_e32 v0, 16, v3
                                        ; implicit-def: $vgpr74
	s_delay_alu instid0(VALU_DEP_1) | instskip(NEXT) | instid1(VALU_DEP_1)
	v_mul_f32_e32 v0, v145, v0
	v_and_b32_e32 v1, 0x7f800000, v0
	s_delay_alu instid0(VALU_DEP_1) | instskip(NEXT) | instid1(VALU_DEP_1)
	v_cmp_ne_u32_e64 s1, 0x7f800000, v1
	s_and_saveexec_b32 s12, s1
	s_delay_alu instid0(SALU_CYCLE_1)
	s_xor_b32 s1, exec_lo, s12
; %bb.304:                              ;   in Loop: Header=BB167_40 Depth=1
	v_bfe_u32 v1, v0, 16, 1
	s_delay_alu instid0(VALU_DEP_1)
	v_add3_u32 v74, v0, v1, 0x7fff
                                        ; implicit-def: $vgpr0
; %bb.305:                              ;   in Loop: Header=BB167_40 Depth=1
	s_and_not1_saveexec_b32 s12, s1
; %bb.306:                              ;   in Loop: Header=BB167_40 Depth=1
	v_and_b32_e32 v1, 0xffff, v0
	v_or_b32_e32 v2, 0x10000, v0
	s_delay_alu instid0(VALU_DEP_2) | instskip(NEXT) | instid1(VALU_DEP_1)
	v_cmp_eq_u32_e64 s1, 0, v1
	v_cndmask_b32_e64 v74, v2, v0, s1
; %bb.307:                              ;   in Loop: Header=BB167_40 Depth=1
	s_or_b32 exec_lo, exec_lo, s12
	v_lshlrev_b32_e32 v0, 16, v29
                                        ; implicit-def: $vgpr75
	s_delay_alu instid0(VALU_DEP_1) | instskip(NEXT) | instid1(VALU_DEP_1)
	v_mul_f32_e32 v0, v146, v0
	v_and_b32_e32 v1, 0x7f800000, v0
	s_delay_alu instid0(VALU_DEP_1) | instskip(NEXT) | instid1(VALU_DEP_1)
	v_cmp_ne_u32_e64 s1, 0x7f800000, v1
	s_and_saveexec_b32 s12, s1
	s_delay_alu instid0(SALU_CYCLE_1)
	s_xor_b32 s1, exec_lo, s12
; %bb.308:                              ;   in Loop: Header=BB167_40 Depth=1
	v_bfe_u32 v1, v0, 16, 1
	s_delay_alu instid0(VALU_DEP_1)
	v_add3_u32 v75, v0, v1, 0x7fff
                                        ; implicit-def: $vgpr0
; %bb.309:                              ;   in Loop: Header=BB167_40 Depth=1
	s_and_not1_saveexec_b32 s12, s1
; %bb.310:                              ;   in Loop: Header=BB167_40 Depth=1
	v_and_b32_e32 v1, 0xffff, v0
	v_or_b32_e32 v2, 0x10000, v0
	s_delay_alu instid0(VALU_DEP_2) | instskip(NEXT) | instid1(VALU_DEP_1)
	v_cmp_eq_u32_e64 s1, 0, v1
	v_cndmask_b32_e64 v75, v2, v0, s1
; %bb.311:                              ;   in Loop: Header=BB167_40 Depth=1
	s_or_b32 exec_lo, exec_lo, s12
	flat_load_b128 v[0:3], v[6:7] offset:3584
	s_waitcnt vmcnt(0) lgkmcnt(0)
	v_lshrrev_b32_e32 v5, 16, v0
	v_lshrrev_b32_e32 v13, 16, v1
	;; [unrolled: 1-line block ×4, first 2 shown]
	s_and_saveexec_b32 s12, vcc_lo
	s_cbranch_execz .LBB167_313
; %bb.312:                              ;   in Loop: Header=BB167_40 Depth=1
	v_cmp_lt_i32_e64 s1, v114, v32
	s_delay_alu instid0(VALU_DEP_1) | instskip(SKIP_1) | instid1(VALU_DEP_1)
	v_cndmask_b32_e64 v0, 0, v0, s1
	v_cmp_lt_i32_e64 s1, v128, v32
	v_cndmask_b32_e64 v5, 0, v5, s1
	v_cmp_lt_i32_e64 s1, v119, v32
	s_delay_alu instid0(VALU_DEP_1) | instskip(SKIP_1) | instid1(VALU_DEP_1)
	v_cndmask_b32_e64 v1, 0, v1, s1
	v_cmp_lt_i32_e64 s1, v118, v32
	v_cndmask_b32_e64 v13, 0, v13, s1
	;; [unrolled: 5-line block ×4, first 2 shown]
.LBB167_313:                            ;   in Loop: Header=BB167_40 Depth=1
	s_or_b32 exec_lo, exec_lo, s12
	v_lshlrev_b32_e32 v0, 16, v0
	s_delay_alu instid0(VALU_DEP_1) | instskip(NEXT) | instid1(VALU_DEP_1)
	v_mul_f32_e32 v0, v131, v0
	v_and_b32_e32 v6, 0x7f800000, v0
	s_delay_alu instid0(VALU_DEP_1) | instskip(NEXT) | instid1(VALU_DEP_1)
	v_cmp_ne_u32_e64 s1, 0x7f800000, v6
                                        ; implicit-def: $vgpr6
	s_and_saveexec_b32 s12, s1
	s_delay_alu instid0(SALU_CYCLE_1)
	s_xor_b32 s1, exec_lo, s12
; %bb.314:                              ;   in Loop: Header=BB167_40 Depth=1
	v_bfe_u32 v6, v0, 16, 1
	s_delay_alu instid0(VALU_DEP_1)
	v_add3_u32 v6, v0, v6, 0x7fff
                                        ; implicit-def: $vgpr0
; %bb.315:                              ;   in Loop: Header=BB167_40 Depth=1
	s_and_not1_saveexec_b32 s12, s1
; %bb.316:                              ;   in Loop: Header=BB167_40 Depth=1
	v_and_b32_e32 v6, 0xffff, v0
	v_or_b32_e32 v7, 0x10000, v0
	s_delay_alu instid0(VALU_DEP_2) | instskip(NEXT) | instid1(VALU_DEP_1)
	v_cmp_eq_u32_e64 s1, 0, v6
	v_cndmask_b32_e64 v6, v7, v0, s1
; %bb.317:                              ;   in Loop: Header=BB167_40 Depth=1
	s_or_b32 exec_lo, exec_lo, s12
	v_lshlrev_b32_e32 v0, 16, v5
                                        ; implicit-def: $vgpr7
	s_delay_alu instid0(VALU_DEP_1) | instskip(NEXT) | instid1(VALU_DEP_1)
	v_mul_f32_e32 v0, v132, v0
	v_and_b32_e32 v5, 0x7f800000, v0
	s_delay_alu instid0(VALU_DEP_1) | instskip(NEXT) | instid1(VALU_DEP_1)
	v_cmp_ne_u32_e64 s1, 0x7f800000, v5
	s_and_saveexec_b32 s12, s1
	s_delay_alu instid0(SALU_CYCLE_1)
	s_xor_b32 s1, exec_lo, s12
; %bb.318:                              ;   in Loop: Header=BB167_40 Depth=1
	v_bfe_u32 v5, v0, 16, 1
	s_delay_alu instid0(VALU_DEP_1)
	v_add3_u32 v7, v0, v5, 0x7fff
                                        ; implicit-def: $vgpr0
; %bb.319:                              ;   in Loop: Header=BB167_40 Depth=1
	s_and_not1_saveexec_b32 s12, s1
; %bb.320:                              ;   in Loop: Header=BB167_40 Depth=1
	v_and_b32_e32 v5, 0xffff, v0
	v_or_b32_e32 v7, 0x10000, v0
	s_delay_alu instid0(VALU_DEP_2) | instskip(NEXT) | instid1(VALU_DEP_1)
	v_cmp_eq_u32_e64 s1, 0, v5
	v_cndmask_b32_e64 v7, v7, v0, s1
; %bb.321:                              ;   in Loop: Header=BB167_40 Depth=1
	s_or_b32 exec_lo, exec_lo, s12
	v_lshlrev_b32_e32 v0, 16, v1
                                        ; implicit-def: $vgpr76
	s_delay_alu instid0(VALU_DEP_1) | instskip(NEXT) | instid1(VALU_DEP_1)
	v_mul_f32_e32 v0, v133, v0
	v_and_b32_e32 v1, 0x7f800000, v0
	s_delay_alu instid0(VALU_DEP_1) | instskip(NEXT) | instid1(VALU_DEP_1)
	v_cmp_ne_u32_e64 s1, 0x7f800000, v1
	s_and_saveexec_b32 s12, s1
	s_delay_alu instid0(SALU_CYCLE_1)
	s_xor_b32 s1, exec_lo, s12
; %bb.322:                              ;   in Loop: Header=BB167_40 Depth=1
	v_bfe_u32 v1, v0, 16, 1
	s_delay_alu instid0(VALU_DEP_1)
	v_add3_u32 v76, v0, v1, 0x7fff
                                        ; implicit-def: $vgpr0
; %bb.323:                              ;   in Loop: Header=BB167_40 Depth=1
	s_and_not1_saveexec_b32 s12, s1
; %bb.324:                              ;   in Loop: Header=BB167_40 Depth=1
	v_and_b32_e32 v1, 0xffff, v0
	v_or_b32_e32 v5, 0x10000, v0
	s_delay_alu instid0(VALU_DEP_2) | instskip(NEXT) | instid1(VALU_DEP_1)
	v_cmp_eq_u32_e64 s1, 0, v1
	v_cndmask_b32_e64 v76, v5, v0, s1
; %bb.325:                              ;   in Loop: Header=BB167_40 Depth=1
	s_or_b32 exec_lo, exec_lo, s12
	v_lshlrev_b32_e32 v0, 16, v13
                                        ; implicit-def: $vgpr77
	s_delay_alu instid0(VALU_DEP_1) | instskip(NEXT) | instid1(VALU_DEP_1)
	v_mul_f32_e32 v0, v134, v0
	v_and_b32_e32 v1, 0x7f800000, v0
	s_delay_alu instid0(VALU_DEP_1) | instskip(NEXT) | instid1(VALU_DEP_1)
	v_cmp_ne_u32_e64 s1, 0x7f800000, v1
	s_and_saveexec_b32 s12, s1
	s_delay_alu instid0(SALU_CYCLE_1)
	s_xor_b32 s1, exec_lo, s12
; %bb.326:                              ;   in Loop: Header=BB167_40 Depth=1
	v_bfe_u32 v1, v0, 16, 1
	s_delay_alu instid0(VALU_DEP_1)
	v_add3_u32 v77, v0, v1, 0x7fff
                                        ; implicit-def: $vgpr0
; %bb.327:                              ;   in Loop: Header=BB167_40 Depth=1
	s_and_not1_saveexec_b32 s12, s1
; %bb.328:                              ;   in Loop: Header=BB167_40 Depth=1
	v_and_b32_e32 v1, 0xffff, v0
	v_or_b32_e32 v5, 0x10000, v0
	s_delay_alu instid0(VALU_DEP_2) | instskip(NEXT) | instid1(VALU_DEP_1)
	v_cmp_eq_u32_e64 s1, 0, v1
	v_cndmask_b32_e64 v77, v5, v0, s1
; %bb.329:                              ;   in Loop: Header=BB167_40 Depth=1
	s_or_b32 exec_lo, exec_lo, s12
	v_lshlrev_b32_e32 v0, 16, v2
                                        ; implicit-def: $vgpr78
	s_delay_alu instid0(VALU_DEP_1) | instskip(NEXT) | instid1(VALU_DEP_1)
	v_mul_f32_e32 v0, v135, v0
	v_and_b32_e32 v1, 0x7f800000, v0
	s_delay_alu instid0(VALU_DEP_1) | instskip(NEXT) | instid1(VALU_DEP_1)
	v_cmp_ne_u32_e64 s1, 0x7f800000, v1
	s_and_saveexec_b32 s12, s1
	s_delay_alu instid0(SALU_CYCLE_1)
	s_xor_b32 s1, exec_lo, s12
; %bb.330:                              ;   in Loop: Header=BB167_40 Depth=1
	v_bfe_u32 v1, v0, 16, 1
	s_delay_alu instid0(VALU_DEP_1)
	v_add3_u32 v78, v0, v1, 0x7fff
                                        ; implicit-def: $vgpr0
; %bb.331:                              ;   in Loop: Header=BB167_40 Depth=1
	s_and_not1_saveexec_b32 s12, s1
; %bb.332:                              ;   in Loop: Header=BB167_40 Depth=1
	v_and_b32_e32 v1, 0xffff, v0
	v_or_b32_e32 v2, 0x10000, v0
	s_delay_alu instid0(VALU_DEP_2) | instskip(NEXT) | instid1(VALU_DEP_1)
	v_cmp_eq_u32_e64 s1, 0, v1
	v_cndmask_b32_e64 v78, v2, v0, s1
; %bb.333:                              ;   in Loop: Header=BB167_40 Depth=1
	s_or_b32 exec_lo, exec_lo, s12
	v_lshlrev_b32_e32 v0, 16, v31
                                        ; implicit-def: $vgpr79
	s_delay_alu instid0(VALU_DEP_1) | instskip(NEXT) | instid1(VALU_DEP_1)
	v_mul_f32_e32 v0, v144, v0
	v_and_b32_e32 v1, 0x7f800000, v0
	s_delay_alu instid0(VALU_DEP_1) | instskip(NEXT) | instid1(VALU_DEP_1)
	v_cmp_ne_u32_e64 s1, 0x7f800000, v1
	s_and_saveexec_b32 s12, s1
	s_delay_alu instid0(SALU_CYCLE_1)
	s_xor_b32 s1, exec_lo, s12
; %bb.334:                              ;   in Loop: Header=BB167_40 Depth=1
	v_bfe_u32 v1, v0, 16, 1
	s_delay_alu instid0(VALU_DEP_1)
	v_add3_u32 v79, v0, v1, 0x7fff
                                        ; implicit-def: $vgpr0
; %bb.335:                              ;   in Loop: Header=BB167_40 Depth=1
	s_and_not1_saveexec_b32 s12, s1
; %bb.336:                              ;   in Loop: Header=BB167_40 Depth=1
	v_and_b32_e32 v1, 0xffff, v0
	v_or_b32_e32 v2, 0x10000, v0
	s_delay_alu instid0(VALU_DEP_2) | instskip(NEXT) | instid1(VALU_DEP_1)
	v_cmp_eq_u32_e64 s1, 0, v1
	v_cndmask_b32_e64 v79, v2, v0, s1
; %bb.337:                              ;   in Loop: Header=BB167_40 Depth=1
	s_or_b32 exec_lo, exec_lo, s12
	v_lshlrev_b32_e32 v0, 16, v3
                                        ; implicit-def: $vgpr88
	s_delay_alu instid0(VALU_DEP_1) | instskip(NEXT) | instid1(VALU_DEP_1)
	v_mul_f32_e32 v0, v145, v0
	v_and_b32_e32 v1, 0x7f800000, v0
	s_delay_alu instid0(VALU_DEP_1) | instskip(NEXT) | instid1(VALU_DEP_1)
	v_cmp_ne_u32_e64 s1, 0x7f800000, v1
	s_and_saveexec_b32 s12, s1
	s_delay_alu instid0(SALU_CYCLE_1)
	s_xor_b32 s1, exec_lo, s12
; %bb.338:                              ;   in Loop: Header=BB167_40 Depth=1
	v_bfe_u32 v1, v0, 16, 1
	s_delay_alu instid0(VALU_DEP_1)
	v_add3_u32 v88, v0, v1, 0x7fff
                                        ; implicit-def: $vgpr0
; %bb.339:                              ;   in Loop: Header=BB167_40 Depth=1
	s_and_not1_saveexec_b32 s12, s1
; %bb.340:                              ;   in Loop: Header=BB167_40 Depth=1
	v_and_b32_e32 v1, 0xffff, v0
	v_or_b32_e32 v2, 0x10000, v0
	s_delay_alu instid0(VALU_DEP_2) | instskip(NEXT) | instid1(VALU_DEP_1)
	v_cmp_eq_u32_e64 s1, 0, v1
	v_cndmask_b32_e64 v88, v2, v0, s1
; %bb.341:                              ;   in Loop: Header=BB167_40 Depth=1
	s_or_b32 exec_lo, exec_lo, s12
	v_lshlrev_b32_e32 v0, 16, v29
                                        ; implicit-def: $vgpr89
	s_delay_alu instid0(VALU_DEP_1) | instskip(NEXT) | instid1(VALU_DEP_1)
	v_mul_f32_e32 v0, v146, v0
	v_and_b32_e32 v1, 0x7f800000, v0
	s_delay_alu instid0(VALU_DEP_1) | instskip(NEXT) | instid1(VALU_DEP_1)
	v_cmp_ne_u32_e64 s1, 0x7f800000, v1
	s_and_saveexec_b32 s12, s1
	s_delay_alu instid0(SALU_CYCLE_1)
	s_xor_b32 s1, exec_lo, s12
; %bb.342:                              ;   in Loop: Header=BB167_40 Depth=1
	v_bfe_u32 v1, v0, 16, 1
	s_delay_alu instid0(VALU_DEP_1)
	v_add3_u32 v89, v0, v1, 0x7fff
                                        ; implicit-def: $vgpr0
; %bb.343:                              ;   in Loop: Header=BB167_40 Depth=1
	s_and_not1_saveexec_b32 s12, s1
; %bb.344:                              ;   in Loop: Header=BB167_40 Depth=1
	v_and_b32_e32 v1, 0xffff, v0
	v_or_b32_e32 v2, 0x10000, v0
	s_delay_alu instid0(VALU_DEP_2) | instskip(NEXT) | instid1(VALU_DEP_1)
	v_cmp_eq_u32_e64 s1, 0, v1
	v_cndmask_b32_e64 v89, v2, v0, s1
; %bb.345:                              ;   in Loop: Header=BB167_40 Depth=1
	s_or_b32 exec_lo, exec_lo, s12
	v_add_co_u32 v0, s1, v129, v19
	s_delay_alu instid0(VALU_DEP_1)
	v_add_co_ci_u32_e64 v1, s1, 0, v130, s1
	flat_load_b128 v[0:3], v[0:1]
	s_waitcnt vmcnt(0) lgkmcnt(0)
	v_lshrrev_b32_e32 v5, 16, v0
	v_lshrrev_b32_e32 v13, 16, v1
	v_lshrrev_b32_e32 v31, 16, v2
	v_lshrrev_b32_e32 v29, 16, v3
	s_and_saveexec_b32 s12, vcc_lo
	s_cbranch_execz .LBB167_347
; %bb.346:                              ;   in Loop: Header=BB167_40 Depth=1
	v_cmp_lt_i32_e64 s1, v114, v32
	s_delay_alu instid0(VALU_DEP_1) | instskip(SKIP_1) | instid1(VALU_DEP_1)
	v_cndmask_b32_e64 v0, 0, v0, s1
	v_cmp_lt_i32_e64 s1, v128, v32
	v_cndmask_b32_e64 v5, 0, v5, s1
	v_cmp_lt_i32_e64 s1, v119, v32
	s_delay_alu instid0(VALU_DEP_1) | instskip(SKIP_1) | instid1(VALU_DEP_1)
	v_cndmask_b32_e64 v1, 0, v1, s1
	v_cmp_lt_i32_e64 s1, v118, v32
	v_cndmask_b32_e64 v13, 0, v13, s1
	;; [unrolled: 5-line block ×4, first 2 shown]
.LBB167_347:                            ;   in Loop: Header=BB167_40 Depth=1
	s_or_b32 exec_lo, exec_lo, s12
	v_lshlrev_b32_e32 v0, 16, v0
	s_delay_alu instid0(VALU_DEP_1) | instskip(NEXT) | instid1(VALU_DEP_1)
	v_mul_f32_e32 v0, v131, v0
	v_and_b32_e32 v90, 0x7f800000, v0
	s_delay_alu instid0(VALU_DEP_1) | instskip(NEXT) | instid1(VALU_DEP_1)
	v_cmp_ne_u32_e64 s1, 0x7f800000, v90
                                        ; implicit-def: $vgpr90
	s_and_saveexec_b32 s12, s1
	s_delay_alu instid0(SALU_CYCLE_1)
	s_xor_b32 s1, exec_lo, s12
; %bb.348:                              ;   in Loop: Header=BB167_40 Depth=1
	v_bfe_u32 v90, v0, 16, 1
	s_delay_alu instid0(VALU_DEP_1)
	v_add3_u32 v90, v0, v90, 0x7fff
                                        ; implicit-def: $vgpr0
; %bb.349:                              ;   in Loop: Header=BB167_40 Depth=1
	s_and_not1_saveexec_b32 s12, s1
; %bb.350:                              ;   in Loop: Header=BB167_40 Depth=1
	v_and_b32_e32 v90, 0xffff, v0
	v_or_b32_e32 v91, 0x10000, v0
	s_delay_alu instid0(VALU_DEP_2) | instskip(NEXT) | instid1(VALU_DEP_1)
	v_cmp_eq_u32_e64 s1, 0, v90
	v_cndmask_b32_e64 v90, v91, v0, s1
; %bb.351:                              ;   in Loop: Header=BB167_40 Depth=1
	s_or_b32 exec_lo, exec_lo, s12
	v_lshlrev_b32_e32 v0, 16, v5
                                        ; implicit-def: $vgpr91
	s_delay_alu instid0(VALU_DEP_1) | instskip(NEXT) | instid1(VALU_DEP_1)
	v_mul_f32_e32 v0, v132, v0
	v_and_b32_e32 v5, 0x7f800000, v0
	s_delay_alu instid0(VALU_DEP_1) | instskip(NEXT) | instid1(VALU_DEP_1)
	v_cmp_ne_u32_e64 s1, 0x7f800000, v5
	s_and_saveexec_b32 s12, s1
	s_delay_alu instid0(SALU_CYCLE_1)
	s_xor_b32 s1, exec_lo, s12
; %bb.352:                              ;   in Loop: Header=BB167_40 Depth=1
	v_bfe_u32 v5, v0, 16, 1
	s_delay_alu instid0(VALU_DEP_1)
	v_add3_u32 v91, v0, v5, 0x7fff
                                        ; implicit-def: $vgpr0
; %bb.353:                              ;   in Loop: Header=BB167_40 Depth=1
	s_and_not1_saveexec_b32 s12, s1
; %bb.354:                              ;   in Loop: Header=BB167_40 Depth=1
	v_and_b32_e32 v5, 0xffff, v0
	v_or_b32_e32 v91, 0x10000, v0
	s_delay_alu instid0(VALU_DEP_2) | instskip(NEXT) | instid1(VALU_DEP_1)
	v_cmp_eq_u32_e64 s1, 0, v5
	v_cndmask_b32_e64 v91, v91, v0, s1
; %bb.355:                              ;   in Loop: Header=BB167_40 Depth=1
	s_or_b32 exec_lo, exec_lo, s12
	v_lshlrev_b32_e32 v0, 16, v1
                                        ; implicit-def: $vgpr92
	s_delay_alu instid0(VALU_DEP_1) | instskip(NEXT) | instid1(VALU_DEP_1)
	v_mul_f32_e32 v0, v133, v0
	v_and_b32_e32 v1, 0x7f800000, v0
	s_delay_alu instid0(VALU_DEP_1) | instskip(NEXT) | instid1(VALU_DEP_1)
	v_cmp_ne_u32_e64 s1, 0x7f800000, v1
	s_and_saveexec_b32 s12, s1
	s_delay_alu instid0(SALU_CYCLE_1)
	s_xor_b32 s1, exec_lo, s12
; %bb.356:                              ;   in Loop: Header=BB167_40 Depth=1
	v_bfe_u32 v1, v0, 16, 1
	s_delay_alu instid0(VALU_DEP_1)
	v_add3_u32 v92, v0, v1, 0x7fff
                                        ; implicit-def: $vgpr0
; %bb.357:                              ;   in Loop: Header=BB167_40 Depth=1
	s_and_not1_saveexec_b32 s12, s1
; %bb.358:                              ;   in Loop: Header=BB167_40 Depth=1
	v_and_b32_e32 v1, 0xffff, v0
	v_or_b32_e32 v5, 0x10000, v0
	s_delay_alu instid0(VALU_DEP_2) | instskip(NEXT) | instid1(VALU_DEP_1)
	v_cmp_eq_u32_e64 s1, 0, v1
	v_cndmask_b32_e64 v92, v5, v0, s1
; %bb.359:                              ;   in Loop: Header=BB167_40 Depth=1
	s_or_b32 exec_lo, exec_lo, s12
	v_lshlrev_b32_e32 v0, 16, v13
                                        ; implicit-def: $vgpr93
	s_delay_alu instid0(VALU_DEP_1) | instskip(NEXT) | instid1(VALU_DEP_1)
	v_mul_f32_e32 v0, v134, v0
	v_and_b32_e32 v1, 0x7f800000, v0
	s_delay_alu instid0(VALU_DEP_1) | instskip(NEXT) | instid1(VALU_DEP_1)
	v_cmp_ne_u32_e64 s1, 0x7f800000, v1
	s_and_saveexec_b32 s12, s1
	s_delay_alu instid0(SALU_CYCLE_1)
	s_xor_b32 s1, exec_lo, s12
; %bb.360:                              ;   in Loop: Header=BB167_40 Depth=1
	v_bfe_u32 v1, v0, 16, 1
	s_delay_alu instid0(VALU_DEP_1)
	v_add3_u32 v93, v0, v1, 0x7fff
                                        ; implicit-def: $vgpr0
; %bb.361:                              ;   in Loop: Header=BB167_40 Depth=1
	s_and_not1_saveexec_b32 s12, s1
; %bb.362:                              ;   in Loop: Header=BB167_40 Depth=1
	v_and_b32_e32 v1, 0xffff, v0
	v_or_b32_e32 v5, 0x10000, v0
	s_delay_alu instid0(VALU_DEP_2) | instskip(NEXT) | instid1(VALU_DEP_1)
	v_cmp_eq_u32_e64 s1, 0, v1
	v_cndmask_b32_e64 v93, v5, v0, s1
; %bb.363:                              ;   in Loop: Header=BB167_40 Depth=1
	s_or_b32 exec_lo, exec_lo, s12
	v_lshlrev_b32_e32 v0, 16, v2
                                        ; implicit-def: $vgpr94
	s_delay_alu instid0(VALU_DEP_1) | instskip(NEXT) | instid1(VALU_DEP_1)
	v_mul_f32_e32 v0, v135, v0
	v_and_b32_e32 v1, 0x7f800000, v0
	s_delay_alu instid0(VALU_DEP_1) | instskip(NEXT) | instid1(VALU_DEP_1)
	v_cmp_ne_u32_e64 s1, 0x7f800000, v1
	s_and_saveexec_b32 s12, s1
	s_delay_alu instid0(SALU_CYCLE_1)
	s_xor_b32 s1, exec_lo, s12
; %bb.364:                              ;   in Loop: Header=BB167_40 Depth=1
	v_bfe_u32 v1, v0, 16, 1
	s_delay_alu instid0(VALU_DEP_1)
	v_add3_u32 v94, v0, v1, 0x7fff
                                        ; implicit-def: $vgpr0
; %bb.365:                              ;   in Loop: Header=BB167_40 Depth=1
	s_and_not1_saveexec_b32 s12, s1
; %bb.366:                              ;   in Loop: Header=BB167_40 Depth=1
	v_and_b32_e32 v1, 0xffff, v0
	v_or_b32_e32 v2, 0x10000, v0
	s_delay_alu instid0(VALU_DEP_2) | instskip(NEXT) | instid1(VALU_DEP_1)
	v_cmp_eq_u32_e64 s1, 0, v1
	v_cndmask_b32_e64 v94, v2, v0, s1
; %bb.367:                              ;   in Loop: Header=BB167_40 Depth=1
	s_or_b32 exec_lo, exec_lo, s12
	v_lshlrev_b32_e32 v0, 16, v31
                                        ; implicit-def: $vgpr95
	s_delay_alu instid0(VALU_DEP_1) | instskip(NEXT) | instid1(VALU_DEP_1)
	v_mul_f32_e32 v0, v144, v0
	v_and_b32_e32 v1, 0x7f800000, v0
	s_delay_alu instid0(VALU_DEP_1) | instskip(NEXT) | instid1(VALU_DEP_1)
	v_cmp_ne_u32_e64 s1, 0x7f800000, v1
	s_and_saveexec_b32 s12, s1
	s_delay_alu instid0(SALU_CYCLE_1)
	s_xor_b32 s1, exec_lo, s12
; %bb.368:                              ;   in Loop: Header=BB167_40 Depth=1
	v_bfe_u32 v1, v0, 16, 1
	s_delay_alu instid0(VALU_DEP_1)
	v_add3_u32 v95, v0, v1, 0x7fff
                                        ; implicit-def: $vgpr0
; %bb.369:                              ;   in Loop: Header=BB167_40 Depth=1
	s_and_not1_saveexec_b32 s12, s1
; %bb.370:                              ;   in Loop: Header=BB167_40 Depth=1
	v_and_b32_e32 v1, 0xffff, v0
	v_or_b32_e32 v2, 0x10000, v0
	s_delay_alu instid0(VALU_DEP_2) | instskip(NEXT) | instid1(VALU_DEP_1)
	v_cmp_eq_u32_e64 s1, 0, v1
	v_cndmask_b32_e64 v95, v2, v0, s1
; %bb.371:                              ;   in Loop: Header=BB167_40 Depth=1
	s_or_b32 exec_lo, exec_lo, s12
	v_lshlrev_b32_e32 v0, 16, v3
                                        ; implicit-def: $vgpr104
	s_delay_alu instid0(VALU_DEP_1) | instskip(NEXT) | instid1(VALU_DEP_1)
	v_mul_f32_e32 v0, v145, v0
	v_and_b32_e32 v1, 0x7f800000, v0
	s_delay_alu instid0(VALU_DEP_1) | instskip(NEXT) | instid1(VALU_DEP_1)
	v_cmp_ne_u32_e64 s1, 0x7f800000, v1
	s_and_saveexec_b32 s12, s1
	s_delay_alu instid0(SALU_CYCLE_1)
	s_xor_b32 s1, exec_lo, s12
; %bb.372:                              ;   in Loop: Header=BB167_40 Depth=1
	v_bfe_u32 v1, v0, 16, 1
	s_delay_alu instid0(VALU_DEP_1)
	v_add3_u32 v104, v0, v1, 0x7fff
                                        ; implicit-def: $vgpr0
; %bb.373:                              ;   in Loop: Header=BB167_40 Depth=1
	s_and_not1_saveexec_b32 s12, s1
; %bb.374:                              ;   in Loop: Header=BB167_40 Depth=1
	v_and_b32_e32 v1, 0xffff, v0
	v_or_b32_e32 v2, 0x10000, v0
	s_delay_alu instid0(VALU_DEP_2) | instskip(NEXT) | instid1(VALU_DEP_1)
	v_cmp_eq_u32_e64 s1, 0, v1
	v_cndmask_b32_e64 v104, v2, v0, s1
; %bb.375:                              ;   in Loop: Header=BB167_40 Depth=1
	s_or_b32 exec_lo, exec_lo, s12
	v_lshlrev_b32_e32 v0, 16, v29
                                        ; implicit-def: $vgpr105
	s_delay_alu instid0(VALU_DEP_1) | instskip(NEXT) | instid1(VALU_DEP_1)
	v_mul_f32_e32 v0, v146, v0
	v_and_b32_e32 v1, 0x7f800000, v0
	s_delay_alu instid0(VALU_DEP_1) | instskip(NEXT) | instid1(VALU_DEP_1)
	v_cmp_ne_u32_e64 s1, 0x7f800000, v1
	s_and_saveexec_b32 s12, s1
	s_delay_alu instid0(SALU_CYCLE_1)
	s_xor_b32 s1, exec_lo, s12
; %bb.376:                              ;   in Loop: Header=BB167_40 Depth=1
	v_bfe_u32 v1, v0, 16, 1
	s_delay_alu instid0(VALU_DEP_1)
	v_add3_u32 v105, v0, v1, 0x7fff
                                        ; implicit-def: $vgpr0
; %bb.377:                              ;   in Loop: Header=BB167_40 Depth=1
	s_and_not1_saveexec_b32 s12, s1
; %bb.378:                              ;   in Loop: Header=BB167_40 Depth=1
	v_and_b32_e32 v1, 0xffff, v0
	v_or_b32_e32 v2, 0x10000, v0
	s_delay_alu instid0(VALU_DEP_2) | instskip(NEXT) | instid1(VALU_DEP_1)
	v_cmp_eq_u32_e64 s1, 0, v1
	v_cndmask_b32_e64 v105, v2, v0, s1
; %bb.379:                              ;   in Loop: Header=BB167_40 Depth=1
	s_or_b32 exec_lo, exec_lo, s12
	v_add_co_u32 v0, s1, v129, v20
	s_delay_alu instid0(VALU_DEP_1)
	v_add_co_ci_u32_e64 v1, s1, 0, v130, s1
	flat_load_b128 v[0:3], v[0:1]
	s_waitcnt vmcnt(0) lgkmcnt(0)
	v_lshrrev_b32_e32 v5, 16, v0
	v_lshrrev_b32_e32 v13, 16, v1
	;; [unrolled: 1-line block ×4, first 2 shown]
	s_and_saveexec_b32 s12, vcc_lo
	s_cbranch_execz .LBB167_381
; %bb.380:                              ;   in Loop: Header=BB167_40 Depth=1
	v_cmp_lt_i32_e64 s1, v114, v32
	s_delay_alu instid0(VALU_DEP_1) | instskip(SKIP_1) | instid1(VALU_DEP_1)
	v_cndmask_b32_e64 v0, 0, v0, s1
	v_cmp_lt_i32_e64 s1, v128, v32
	v_cndmask_b32_e64 v5, 0, v5, s1
	v_cmp_lt_i32_e64 s1, v119, v32
	s_delay_alu instid0(VALU_DEP_1) | instskip(SKIP_1) | instid1(VALU_DEP_1)
	v_cndmask_b32_e64 v1, 0, v1, s1
	v_cmp_lt_i32_e64 s1, v118, v32
	v_cndmask_b32_e64 v13, 0, v13, s1
	v_cmp_lt_i32_e64 s1, v117, v32
	s_delay_alu instid0(VALU_DEP_1) | instskip(SKIP_1) | instid1(VALU_DEP_1)
	v_cndmask_b32_e64 v2, 0, v2, s1
	v_cmp_lt_i32_e64 s1, v115, v32
	v_cndmask_b32_e64 v31, 0, v31, s1
	v_cmp_lt_i32_e64 s1, v112, v32
	s_delay_alu instid0(VALU_DEP_1) | instskip(SKIP_1) | instid1(VALU_DEP_1)
	v_cndmask_b32_e64 v3, 0, v3, s1
	v_cmp_lt_i32_e64 s1, v116, v32
	v_cndmask_b32_e64 v29, 0, v29, s1
.LBB167_381:                            ;   in Loop: Header=BB167_40 Depth=1
	s_or_b32 exec_lo, exec_lo, s12
	v_lshlrev_b32_e32 v0, 16, v0
	s_delay_alu instid0(VALU_DEP_1) | instskip(NEXT) | instid1(VALU_DEP_1)
	v_mul_f32_e32 v0, v131, v0
	v_and_b32_e32 v106, 0x7f800000, v0
	s_delay_alu instid0(VALU_DEP_1) | instskip(NEXT) | instid1(VALU_DEP_1)
	v_cmp_ne_u32_e64 s1, 0x7f800000, v106
                                        ; implicit-def: $vgpr106
	s_and_saveexec_b32 s12, s1
	s_delay_alu instid0(SALU_CYCLE_1)
	s_xor_b32 s1, exec_lo, s12
; %bb.382:                              ;   in Loop: Header=BB167_40 Depth=1
	v_bfe_u32 v106, v0, 16, 1
	s_delay_alu instid0(VALU_DEP_1)
	v_add3_u32 v106, v0, v106, 0x7fff
                                        ; implicit-def: $vgpr0
; %bb.383:                              ;   in Loop: Header=BB167_40 Depth=1
	s_and_not1_saveexec_b32 s12, s1
; %bb.384:                              ;   in Loop: Header=BB167_40 Depth=1
	v_and_b32_e32 v106, 0xffff, v0
	v_or_b32_e32 v107, 0x10000, v0
	s_delay_alu instid0(VALU_DEP_2) | instskip(NEXT) | instid1(VALU_DEP_1)
	v_cmp_eq_u32_e64 s1, 0, v106
	v_cndmask_b32_e64 v106, v107, v0, s1
; %bb.385:                              ;   in Loop: Header=BB167_40 Depth=1
	s_or_b32 exec_lo, exec_lo, s12
	v_lshlrev_b32_e32 v0, 16, v5
                                        ; implicit-def: $vgpr107
	s_delay_alu instid0(VALU_DEP_1) | instskip(NEXT) | instid1(VALU_DEP_1)
	v_mul_f32_e32 v0, v132, v0
	v_and_b32_e32 v5, 0x7f800000, v0
	s_delay_alu instid0(VALU_DEP_1) | instskip(NEXT) | instid1(VALU_DEP_1)
	v_cmp_ne_u32_e64 s1, 0x7f800000, v5
	s_and_saveexec_b32 s12, s1
	s_delay_alu instid0(SALU_CYCLE_1)
	s_xor_b32 s1, exec_lo, s12
; %bb.386:                              ;   in Loop: Header=BB167_40 Depth=1
	v_bfe_u32 v5, v0, 16, 1
	s_delay_alu instid0(VALU_DEP_1)
	v_add3_u32 v107, v0, v5, 0x7fff
                                        ; implicit-def: $vgpr0
; %bb.387:                              ;   in Loop: Header=BB167_40 Depth=1
	s_and_not1_saveexec_b32 s12, s1
; %bb.388:                              ;   in Loop: Header=BB167_40 Depth=1
	v_and_b32_e32 v5, 0xffff, v0
	v_or_b32_e32 v107, 0x10000, v0
	s_delay_alu instid0(VALU_DEP_2) | instskip(NEXT) | instid1(VALU_DEP_1)
	v_cmp_eq_u32_e64 s1, 0, v5
	v_cndmask_b32_e64 v107, v107, v0, s1
; %bb.389:                              ;   in Loop: Header=BB167_40 Depth=1
	s_or_b32 exec_lo, exec_lo, s12
	v_lshlrev_b32_e32 v0, 16, v1
                                        ; implicit-def: $vgpr108
	s_delay_alu instid0(VALU_DEP_1) | instskip(NEXT) | instid1(VALU_DEP_1)
	v_mul_f32_e32 v0, v133, v0
	v_and_b32_e32 v1, 0x7f800000, v0
	s_delay_alu instid0(VALU_DEP_1) | instskip(NEXT) | instid1(VALU_DEP_1)
	v_cmp_ne_u32_e64 s1, 0x7f800000, v1
	s_and_saveexec_b32 s12, s1
	s_delay_alu instid0(SALU_CYCLE_1)
	s_xor_b32 s1, exec_lo, s12
; %bb.390:                              ;   in Loop: Header=BB167_40 Depth=1
	v_bfe_u32 v1, v0, 16, 1
	s_delay_alu instid0(VALU_DEP_1)
	v_add3_u32 v108, v0, v1, 0x7fff
                                        ; implicit-def: $vgpr0
; %bb.391:                              ;   in Loop: Header=BB167_40 Depth=1
	s_and_not1_saveexec_b32 s12, s1
; %bb.392:                              ;   in Loop: Header=BB167_40 Depth=1
	v_and_b32_e32 v1, 0xffff, v0
	v_or_b32_e32 v5, 0x10000, v0
	s_delay_alu instid0(VALU_DEP_2) | instskip(NEXT) | instid1(VALU_DEP_1)
	v_cmp_eq_u32_e64 s1, 0, v1
	v_cndmask_b32_e64 v108, v5, v0, s1
; %bb.393:                              ;   in Loop: Header=BB167_40 Depth=1
	s_or_b32 exec_lo, exec_lo, s12
	v_lshlrev_b32_e32 v0, 16, v13
                                        ; implicit-def: $vgpr109
	s_delay_alu instid0(VALU_DEP_1) | instskip(NEXT) | instid1(VALU_DEP_1)
	v_mul_f32_e32 v0, v134, v0
	v_and_b32_e32 v1, 0x7f800000, v0
	s_delay_alu instid0(VALU_DEP_1) | instskip(NEXT) | instid1(VALU_DEP_1)
	v_cmp_ne_u32_e64 s1, 0x7f800000, v1
	s_and_saveexec_b32 s12, s1
	s_delay_alu instid0(SALU_CYCLE_1)
	s_xor_b32 s1, exec_lo, s12
; %bb.394:                              ;   in Loop: Header=BB167_40 Depth=1
	v_bfe_u32 v1, v0, 16, 1
	s_delay_alu instid0(VALU_DEP_1)
	v_add3_u32 v109, v0, v1, 0x7fff
                                        ; implicit-def: $vgpr0
; %bb.395:                              ;   in Loop: Header=BB167_40 Depth=1
	s_and_not1_saveexec_b32 s12, s1
; %bb.396:                              ;   in Loop: Header=BB167_40 Depth=1
	v_and_b32_e32 v1, 0xffff, v0
	v_or_b32_e32 v5, 0x10000, v0
	s_delay_alu instid0(VALU_DEP_2) | instskip(NEXT) | instid1(VALU_DEP_1)
	v_cmp_eq_u32_e64 s1, 0, v1
	v_cndmask_b32_e64 v109, v5, v0, s1
; %bb.397:                              ;   in Loop: Header=BB167_40 Depth=1
	s_or_b32 exec_lo, exec_lo, s12
	v_lshlrev_b32_e32 v0, 16, v2
                                        ; implicit-def: $vgpr110
	s_delay_alu instid0(VALU_DEP_1) | instskip(NEXT) | instid1(VALU_DEP_1)
	v_mul_f32_e32 v0, v135, v0
	v_and_b32_e32 v1, 0x7f800000, v0
	s_delay_alu instid0(VALU_DEP_1) | instskip(NEXT) | instid1(VALU_DEP_1)
	v_cmp_ne_u32_e64 s1, 0x7f800000, v1
	s_and_saveexec_b32 s12, s1
	s_delay_alu instid0(SALU_CYCLE_1)
	s_xor_b32 s1, exec_lo, s12
; %bb.398:                              ;   in Loop: Header=BB167_40 Depth=1
	v_bfe_u32 v1, v0, 16, 1
	s_delay_alu instid0(VALU_DEP_1)
	v_add3_u32 v110, v0, v1, 0x7fff
                                        ; implicit-def: $vgpr0
; %bb.399:                              ;   in Loop: Header=BB167_40 Depth=1
	s_and_not1_saveexec_b32 s12, s1
; %bb.400:                              ;   in Loop: Header=BB167_40 Depth=1
	v_and_b32_e32 v1, 0xffff, v0
	v_or_b32_e32 v2, 0x10000, v0
	s_delay_alu instid0(VALU_DEP_2) | instskip(NEXT) | instid1(VALU_DEP_1)
	v_cmp_eq_u32_e64 s1, 0, v1
	v_cndmask_b32_e64 v110, v2, v0, s1
; %bb.401:                              ;   in Loop: Header=BB167_40 Depth=1
	s_or_b32 exec_lo, exec_lo, s12
	v_lshlrev_b32_e32 v0, 16, v31
                                        ; implicit-def: $vgpr111
	s_delay_alu instid0(VALU_DEP_1) | instskip(NEXT) | instid1(VALU_DEP_1)
	v_mul_f32_e32 v0, v144, v0
	v_and_b32_e32 v1, 0x7f800000, v0
	s_delay_alu instid0(VALU_DEP_1) | instskip(NEXT) | instid1(VALU_DEP_1)
	v_cmp_ne_u32_e64 s1, 0x7f800000, v1
	s_and_saveexec_b32 s12, s1
	s_delay_alu instid0(SALU_CYCLE_1)
	s_xor_b32 s1, exec_lo, s12
; %bb.402:                              ;   in Loop: Header=BB167_40 Depth=1
	v_bfe_u32 v1, v0, 16, 1
	s_delay_alu instid0(VALU_DEP_1)
	v_add3_u32 v111, v0, v1, 0x7fff
                                        ; implicit-def: $vgpr0
; %bb.403:                              ;   in Loop: Header=BB167_40 Depth=1
	s_and_not1_saveexec_b32 s12, s1
; %bb.404:                              ;   in Loop: Header=BB167_40 Depth=1
	v_and_b32_e32 v1, 0xffff, v0
	v_or_b32_e32 v2, 0x10000, v0
	s_delay_alu instid0(VALU_DEP_2) | instskip(NEXT) | instid1(VALU_DEP_1)
	v_cmp_eq_u32_e64 s1, 0, v1
	v_cndmask_b32_e64 v111, v2, v0, s1
; %bb.405:                              ;   in Loop: Header=BB167_40 Depth=1
	s_or_b32 exec_lo, exec_lo, s12
	v_lshlrev_b32_e32 v0, 16, v3
                                        ; implicit-def: $vgpr120
	s_delay_alu instid0(VALU_DEP_1) | instskip(NEXT) | instid1(VALU_DEP_1)
	v_mul_f32_e32 v0, v145, v0
	v_and_b32_e32 v1, 0x7f800000, v0
	s_delay_alu instid0(VALU_DEP_1) | instskip(NEXT) | instid1(VALU_DEP_1)
	v_cmp_ne_u32_e64 s1, 0x7f800000, v1
	s_and_saveexec_b32 s12, s1
	s_delay_alu instid0(SALU_CYCLE_1)
	s_xor_b32 s1, exec_lo, s12
; %bb.406:                              ;   in Loop: Header=BB167_40 Depth=1
	v_bfe_u32 v1, v0, 16, 1
	s_delay_alu instid0(VALU_DEP_1)
	v_add3_u32 v120, v0, v1, 0x7fff
                                        ; implicit-def: $vgpr0
; %bb.407:                              ;   in Loop: Header=BB167_40 Depth=1
	s_and_not1_saveexec_b32 s12, s1
; %bb.408:                              ;   in Loop: Header=BB167_40 Depth=1
	v_and_b32_e32 v1, 0xffff, v0
	v_or_b32_e32 v2, 0x10000, v0
	s_delay_alu instid0(VALU_DEP_2) | instskip(NEXT) | instid1(VALU_DEP_1)
	v_cmp_eq_u32_e64 s1, 0, v1
	v_cndmask_b32_e64 v120, v2, v0, s1
; %bb.409:                              ;   in Loop: Header=BB167_40 Depth=1
	s_or_b32 exec_lo, exec_lo, s12
	v_lshlrev_b32_e32 v0, 16, v29
                                        ; implicit-def: $vgpr121
	s_delay_alu instid0(VALU_DEP_1) | instskip(NEXT) | instid1(VALU_DEP_1)
	v_mul_f32_e32 v0, v146, v0
	v_and_b32_e32 v1, 0x7f800000, v0
	s_delay_alu instid0(VALU_DEP_1) | instskip(NEXT) | instid1(VALU_DEP_1)
	v_cmp_ne_u32_e64 s1, 0x7f800000, v1
	s_and_saveexec_b32 s12, s1
	s_delay_alu instid0(SALU_CYCLE_1)
	s_xor_b32 s1, exec_lo, s12
; %bb.410:                              ;   in Loop: Header=BB167_40 Depth=1
	v_bfe_u32 v1, v0, 16, 1
	s_delay_alu instid0(VALU_DEP_1)
	v_add3_u32 v121, v0, v1, 0x7fff
                                        ; implicit-def: $vgpr0
; %bb.411:                              ;   in Loop: Header=BB167_40 Depth=1
	s_and_not1_saveexec_b32 s12, s1
; %bb.412:                              ;   in Loop: Header=BB167_40 Depth=1
	v_and_b32_e32 v1, 0xffff, v0
	v_or_b32_e32 v2, 0x10000, v0
	s_delay_alu instid0(VALU_DEP_2) | instskip(NEXT) | instid1(VALU_DEP_1)
	v_cmp_eq_u32_e64 s1, 0, v1
	v_cndmask_b32_e64 v121, v2, v0, s1
; %bb.413:                              ;   in Loop: Header=BB167_40 Depth=1
	s_or_b32 exec_lo, exec_lo, s12
	v_add_co_u32 v0, s1, v129, v70
	s_delay_alu instid0(VALU_DEP_1)
	v_add_co_ci_u32_e64 v1, s1, 0, v130, s1
	flat_load_b128 v[0:3], v[0:1]
	s_waitcnt vmcnt(0) lgkmcnt(0)
	v_lshrrev_b32_e32 v5, 16, v0
	v_lshrrev_b32_e32 v13, 16, v1
	v_lshrrev_b32_e32 v31, 16, v2
	v_lshrrev_b32_e32 v29, 16, v3
	s_and_saveexec_b32 s12, vcc_lo
	s_cbranch_execz .LBB167_415
; %bb.414:                              ;   in Loop: Header=BB167_40 Depth=1
	v_cmp_lt_i32_e64 s1, v114, v32
	s_delay_alu instid0(VALU_DEP_1) | instskip(SKIP_1) | instid1(VALU_DEP_1)
	v_cndmask_b32_e64 v0, 0, v0, s1
	v_cmp_lt_i32_e64 s1, v128, v32
	v_cndmask_b32_e64 v5, 0, v5, s1
	v_cmp_lt_i32_e64 s1, v119, v32
	s_delay_alu instid0(VALU_DEP_1) | instskip(SKIP_1) | instid1(VALU_DEP_1)
	v_cndmask_b32_e64 v1, 0, v1, s1
	v_cmp_lt_i32_e64 s1, v118, v32
	v_cndmask_b32_e64 v13, 0, v13, s1
	;; [unrolled: 5-line block ×4, first 2 shown]
.LBB167_415:                            ;   in Loop: Header=BB167_40 Depth=1
	s_or_b32 exec_lo, exec_lo, s12
	v_lshlrev_b32_e32 v0, 16, v0
	s_delay_alu instid0(VALU_DEP_1) | instskip(NEXT) | instid1(VALU_DEP_1)
	v_mul_f32_e32 v0, v131, v0
	v_and_b32_e32 v122, 0x7f800000, v0
	s_delay_alu instid0(VALU_DEP_1) | instskip(NEXT) | instid1(VALU_DEP_1)
	v_cmp_ne_u32_e64 s1, 0x7f800000, v122
                                        ; implicit-def: $vgpr122
	s_and_saveexec_b32 s12, s1
	s_delay_alu instid0(SALU_CYCLE_1)
	s_xor_b32 s1, exec_lo, s12
; %bb.416:                              ;   in Loop: Header=BB167_40 Depth=1
	v_bfe_u32 v122, v0, 16, 1
	s_delay_alu instid0(VALU_DEP_1)
	v_add3_u32 v122, v0, v122, 0x7fff
                                        ; implicit-def: $vgpr0
; %bb.417:                              ;   in Loop: Header=BB167_40 Depth=1
	s_and_not1_saveexec_b32 s12, s1
; %bb.418:                              ;   in Loop: Header=BB167_40 Depth=1
	v_and_b32_e32 v122, 0xffff, v0
	v_or_b32_e32 v123, 0x10000, v0
	s_delay_alu instid0(VALU_DEP_2) | instskip(NEXT) | instid1(VALU_DEP_1)
	v_cmp_eq_u32_e64 s1, 0, v122
	v_cndmask_b32_e64 v122, v123, v0, s1
; %bb.419:                              ;   in Loop: Header=BB167_40 Depth=1
	s_or_b32 exec_lo, exec_lo, s12
	v_lshlrev_b32_e32 v0, 16, v5
                                        ; implicit-def: $vgpr123
	s_delay_alu instid0(VALU_DEP_1) | instskip(NEXT) | instid1(VALU_DEP_1)
	v_mul_f32_e32 v0, v132, v0
	v_and_b32_e32 v5, 0x7f800000, v0
	s_delay_alu instid0(VALU_DEP_1) | instskip(NEXT) | instid1(VALU_DEP_1)
	v_cmp_ne_u32_e64 s1, 0x7f800000, v5
	s_and_saveexec_b32 s12, s1
	s_delay_alu instid0(SALU_CYCLE_1)
	s_xor_b32 s1, exec_lo, s12
; %bb.420:                              ;   in Loop: Header=BB167_40 Depth=1
	v_bfe_u32 v5, v0, 16, 1
	s_delay_alu instid0(VALU_DEP_1)
	v_add3_u32 v123, v0, v5, 0x7fff
                                        ; implicit-def: $vgpr0
; %bb.421:                              ;   in Loop: Header=BB167_40 Depth=1
	s_and_not1_saveexec_b32 s12, s1
; %bb.422:                              ;   in Loop: Header=BB167_40 Depth=1
	v_and_b32_e32 v5, 0xffff, v0
	v_or_b32_e32 v123, 0x10000, v0
	s_delay_alu instid0(VALU_DEP_2) | instskip(NEXT) | instid1(VALU_DEP_1)
	v_cmp_eq_u32_e64 s1, 0, v5
	v_cndmask_b32_e64 v123, v123, v0, s1
; %bb.423:                              ;   in Loop: Header=BB167_40 Depth=1
	s_or_b32 exec_lo, exec_lo, s12
	v_lshlrev_b32_e32 v0, 16, v1
                                        ; implicit-def: $vgpr124
	s_delay_alu instid0(VALU_DEP_1) | instskip(NEXT) | instid1(VALU_DEP_1)
	v_mul_f32_e32 v0, v133, v0
	v_and_b32_e32 v1, 0x7f800000, v0
	s_delay_alu instid0(VALU_DEP_1) | instskip(NEXT) | instid1(VALU_DEP_1)
	v_cmp_ne_u32_e64 s1, 0x7f800000, v1
	s_and_saveexec_b32 s12, s1
	s_delay_alu instid0(SALU_CYCLE_1)
	s_xor_b32 s1, exec_lo, s12
; %bb.424:                              ;   in Loop: Header=BB167_40 Depth=1
	v_bfe_u32 v1, v0, 16, 1
	s_delay_alu instid0(VALU_DEP_1)
	v_add3_u32 v124, v0, v1, 0x7fff
                                        ; implicit-def: $vgpr0
; %bb.425:                              ;   in Loop: Header=BB167_40 Depth=1
	s_and_not1_saveexec_b32 s12, s1
; %bb.426:                              ;   in Loop: Header=BB167_40 Depth=1
	v_and_b32_e32 v1, 0xffff, v0
	v_or_b32_e32 v5, 0x10000, v0
	s_delay_alu instid0(VALU_DEP_2) | instskip(NEXT) | instid1(VALU_DEP_1)
	v_cmp_eq_u32_e64 s1, 0, v1
	v_cndmask_b32_e64 v124, v5, v0, s1
; %bb.427:                              ;   in Loop: Header=BB167_40 Depth=1
	s_or_b32 exec_lo, exec_lo, s12
	v_lshlrev_b32_e32 v0, 16, v13
                                        ; implicit-def: $vgpr125
	s_delay_alu instid0(VALU_DEP_1) | instskip(NEXT) | instid1(VALU_DEP_1)
	v_mul_f32_e32 v0, v134, v0
	v_and_b32_e32 v1, 0x7f800000, v0
	s_delay_alu instid0(VALU_DEP_1) | instskip(NEXT) | instid1(VALU_DEP_1)
	v_cmp_ne_u32_e64 s1, 0x7f800000, v1
	s_and_saveexec_b32 s12, s1
	s_delay_alu instid0(SALU_CYCLE_1)
	s_xor_b32 s1, exec_lo, s12
; %bb.428:                              ;   in Loop: Header=BB167_40 Depth=1
	v_bfe_u32 v1, v0, 16, 1
	s_delay_alu instid0(VALU_DEP_1)
	v_add3_u32 v125, v0, v1, 0x7fff
                                        ; implicit-def: $vgpr0
; %bb.429:                              ;   in Loop: Header=BB167_40 Depth=1
	s_and_not1_saveexec_b32 s12, s1
; %bb.430:                              ;   in Loop: Header=BB167_40 Depth=1
	v_and_b32_e32 v1, 0xffff, v0
	v_or_b32_e32 v5, 0x10000, v0
	s_delay_alu instid0(VALU_DEP_2) | instskip(NEXT) | instid1(VALU_DEP_1)
	v_cmp_eq_u32_e64 s1, 0, v1
	v_cndmask_b32_e64 v125, v5, v0, s1
; %bb.431:                              ;   in Loop: Header=BB167_40 Depth=1
	s_or_b32 exec_lo, exec_lo, s12
	v_lshlrev_b32_e32 v0, 16, v2
                                        ; implicit-def: $vgpr126
	s_delay_alu instid0(VALU_DEP_1) | instskip(NEXT) | instid1(VALU_DEP_1)
	v_mul_f32_e32 v0, v135, v0
	v_and_b32_e32 v1, 0x7f800000, v0
	s_delay_alu instid0(VALU_DEP_1) | instskip(NEXT) | instid1(VALU_DEP_1)
	v_cmp_ne_u32_e64 s1, 0x7f800000, v1
	s_and_saveexec_b32 s12, s1
	s_delay_alu instid0(SALU_CYCLE_1)
	s_xor_b32 s1, exec_lo, s12
; %bb.432:                              ;   in Loop: Header=BB167_40 Depth=1
	v_bfe_u32 v1, v0, 16, 1
	s_delay_alu instid0(VALU_DEP_1)
	v_add3_u32 v126, v0, v1, 0x7fff
                                        ; implicit-def: $vgpr0
; %bb.433:                              ;   in Loop: Header=BB167_40 Depth=1
	s_and_not1_saveexec_b32 s12, s1
; %bb.434:                              ;   in Loop: Header=BB167_40 Depth=1
	v_and_b32_e32 v1, 0xffff, v0
	v_or_b32_e32 v2, 0x10000, v0
	s_delay_alu instid0(VALU_DEP_2) | instskip(NEXT) | instid1(VALU_DEP_1)
	v_cmp_eq_u32_e64 s1, 0, v1
	v_cndmask_b32_e64 v126, v2, v0, s1
; %bb.435:                              ;   in Loop: Header=BB167_40 Depth=1
	s_or_b32 exec_lo, exec_lo, s12
	v_lshlrev_b32_e32 v0, 16, v31
                                        ; implicit-def: $vgpr127
	s_delay_alu instid0(VALU_DEP_1) | instskip(NEXT) | instid1(VALU_DEP_1)
	v_mul_f32_e32 v0, v144, v0
	v_and_b32_e32 v1, 0x7f800000, v0
	s_delay_alu instid0(VALU_DEP_1) | instskip(NEXT) | instid1(VALU_DEP_1)
	v_cmp_ne_u32_e64 s1, 0x7f800000, v1
	s_and_saveexec_b32 s12, s1
	s_delay_alu instid0(SALU_CYCLE_1)
	s_xor_b32 s1, exec_lo, s12
; %bb.436:                              ;   in Loop: Header=BB167_40 Depth=1
	v_bfe_u32 v1, v0, 16, 1
	s_delay_alu instid0(VALU_DEP_1)
	v_add3_u32 v127, v0, v1, 0x7fff
                                        ; implicit-def: $vgpr0
; %bb.437:                              ;   in Loop: Header=BB167_40 Depth=1
	s_and_not1_saveexec_b32 s12, s1
; %bb.438:                              ;   in Loop: Header=BB167_40 Depth=1
	v_and_b32_e32 v1, 0xffff, v0
	v_or_b32_e32 v2, 0x10000, v0
	s_delay_alu instid0(VALU_DEP_2) | instskip(NEXT) | instid1(VALU_DEP_1)
	v_cmp_eq_u32_e64 s1, 0, v1
	v_cndmask_b32_e64 v127, v2, v0, s1
; %bb.439:                              ;   in Loop: Header=BB167_40 Depth=1
	s_or_b32 exec_lo, exec_lo, s12
	v_lshlrev_b32_e32 v0, 16, v3
                                        ; implicit-def: $vgpr136
	s_delay_alu instid0(VALU_DEP_1) | instskip(NEXT) | instid1(VALU_DEP_1)
	v_mul_f32_e32 v0, v145, v0
	v_and_b32_e32 v1, 0x7f800000, v0
	s_delay_alu instid0(VALU_DEP_1) | instskip(NEXT) | instid1(VALU_DEP_1)
	v_cmp_ne_u32_e64 s1, 0x7f800000, v1
	s_and_saveexec_b32 s12, s1
	s_delay_alu instid0(SALU_CYCLE_1)
	s_xor_b32 s1, exec_lo, s12
; %bb.440:                              ;   in Loop: Header=BB167_40 Depth=1
	v_bfe_u32 v1, v0, 16, 1
	s_delay_alu instid0(VALU_DEP_1)
	v_add3_u32 v136, v0, v1, 0x7fff
                                        ; implicit-def: $vgpr0
; %bb.441:                              ;   in Loop: Header=BB167_40 Depth=1
	s_and_not1_saveexec_b32 s12, s1
; %bb.442:                              ;   in Loop: Header=BB167_40 Depth=1
	v_and_b32_e32 v1, 0xffff, v0
	v_or_b32_e32 v2, 0x10000, v0
	s_delay_alu instid0(VALU_DEP_2) | instskip(NEXT) | instid1(VALU_DEP_1)
	v_cmp_eq_u32_e64 s1, 0, v1
	v_cndmask_b32_e64 v136, v2, v0, s1
; %bb.443:                              ;   in Loop: Header=BB167_40 Depth=1
	s_or_b32 exec_lo, exec_lo, s12
	v_lshlrev_b32_e32 v0, 16, v29
                                        ; implicit-def: $vgpr137
	s_delay_alu instid0(VALU_DEP_1) | instskip(NEXT) | instid1(VALU_DEP_1)
	v_mul_f32_e32 v0, v146, v0
	v_and_b32_e32 v1, 0x7f800000, v0
	s_delay_alu instid0(VALU_DEP_1) | instskip(NEXT) | instid1(VALU_DEP_1)
	v_cmp_ne_u32_e64 s1, 0x7f800000, v1
	s_and_saveexec_b32 s12, s1
	s_delay_alu instid0(SALU_CYCLE_1)
	s_xor_b32 s1, exec_lo, s12
; %bb.444:                              ;   in Loop: Header=BB167_40 Depth=1
	v_bfe_u32 v1, v0, 16, 1
	s_delay_alu instid0(VALU_DEP_1)
	v_add3_u32 v137, v0, v1, 0x7fff
                                        ; implicit-def: $vgpr0
; %bb.445:                              ;   in Loop: Header=BB167_40 Depth=1
	s_and_not1_saveexec_b32 s12, s1
; %bb.446:                              ;   in Loop: Header=BB167_40 Depth=1
	v_and_b32_e32 v1, 0xffff, v0
	v_or_b32_e32 v2, 0x10000, v0
	s_delay_alu instid0(VALU_DEP_2) | instskip(NEXT) | instid1(VALU_DEP_1)
	v_cmp_eq_u32_e64 s1, 0, v1
	v_cndmask_b32_e64 v137, v2, v0, s1
; %bb.447:                              ;   in Loop: Header=BB167_40 Depth=1
	s_or_b32 exec_lo, exec_lo, s12
	v_add_co_u32 v0, s1, v129, v71
	s_delay_alu instid0(VALU_DEP_1)
	v_add_co_ci_u32_e64 v1, s1, 0, v130, s1
	flat_load_b128 v[0:3], v[0:1]
	s_waitcnt vmcnt(0) lgkmcnt(0)
	v_lshrrev_b32_e32 v5, 16, v0
	v_lshrrev_b32_e32 v13, 16, v1
	;; [unrolled: 1-line block ×4, first 2 shown]
	s_and_saveexec_b32 s12, vcc_lo
	s_cbranch_execz .LBB167_449
; %bb.448:                              ;   in Loop: Header=BB167_40 Depth=1
	v_cmp_lt_i32_e64 s1, v114, v32
	s_delay_alu instid0(VALU_DEP_1) | instskip(SKIP_1) | instid1(VALU_DEP_1)
	v_cndmask_b32_e64 v0, 0, v0, s1
	v_cmp_lt_i32_e64 s1, v128, v32
	v_cndmask_b32_e64 v5, 0, v5, s1
	v_cmp_lt_i32_e64 s1, v119, v32
	s_delay_alu instid0(VALU_DEP_1) | instskip(SKIP_1) | instid1(VALU_DEP_1)
	v_cndmask_b32_e64 v1, 0, v1, s1
	v_cmp_lt_i32_e64 s1, v118, v32
	v_cndmask_b32_e64 v13, 0, v13, s1
	;; [unrolled: 5-line block ×4, first 2 shown]
.LBB167_449:                            ;   in Loop: Header=BB167_40 Depth=1
	s_or_b32 exec_lo, exec_lo, s12
	v_lshlrev_b32_e32 v0, 16, v0
	s_delay_alu instid0(VALU_DEP_1) | instskip(NEXT) | instid1(VALU_DEP_1)
	v_mul_f32_e32 v0, v131, v0
	v_and_b32_e32 v138, 0x7f800000, v0
	s_delay_alu instid0(VALU_DEP_1) | instskip(NEXT) | instid1(VALU_DEP_1)
	v_cmp_ne_u32_e64 s1, 0x7f800000, v138
                                        ; implicit-def: $vgpr138
	s_and_saveexec_b32 s12, s1
	s_delay_alu instid0(SALU_CYCLE_1)
	s_xor_b32 s1, exec_lo, s12
; %bb.450:                              ;   in Loop: Header=BB167_40 Depth=1
	v_bfe_u32 v138, v0, 16, 1
	s_delay_alu instid0(VALU_DEP_1)
	v_add3_u32 v138, v0, v138, 0x7fff
                                        ; implicit-def: $vgpr0
; %bb.451:                              ;   in Loop: Header=BB167_40 Depth=1
	s_and_not1_saveexec_b32 s12, s1
; %bb.452:                              ;   in Loop: Header=BB167_40 Depth=1
	v_and_b32_e32 v138, 0xffff, v0
	v_or_b32_e32 v139, 0x10000, v0
	s_delay_alu instid0(VALU_DEP_2) | instskip(NEXT) | instid1(VALU_DEP_1)
	v_cmp_eq_u32_e64 s1, 0, v138
	v_cndmask_b32_e64 v138, v139, v0, s1
; %bb.453:                              ;   in Loop: Header=BB167_40 Depth=1
	s_or_b32 exec_lo, exec_lo, s12
	v_lshlrev_b32_e32 v0, 16, v5
                                        ; implicit-def: $vgpr139
	s_delay_alu instid0(VALU_DEP_1) | instskip(NEXT) | instid1(VALU_DEP_1)
	v_mul_f32_e32 v0, v132, v0
	v_and_b32_e32 v5, 0x7f800000, v0
	s_delay_alu instid0(VALU_DEP_1) | instskip(NEXT) | instid1(VALU_DEP_1)
	v_cmp_ne_u32_e64 s1, 0x7f800000, v5
	s_and_saveexec_b32 s12, s1
	s_delay_alu instid0(SALU_CYCLE_1)
	s_xor_b32 s1, exec_lo, s12
; %bb.454:                              ;   in Loop: Header=BB167_40 Depth=1
	v_bfe_u32 v5, v0, 16, 1
	s_delay_alu instid0(VALU_DEP_1)
	v_add3_u32 v139, v0, v5, 0x7fff
                                        ; implicit-def: $vgpr0
; %bb.455:                              ;   in Loop: Header=BB167_40 Depth=1
	s_and_not1_saveexec_b32 s12, s1
; %bb.456:                              ;   in Loop: Header=BB167_40 Depth=1
	v_and_b32_e32 v5, 0xffff, v0
	v_or_b32_e32 v139, 0x10000, v0
	s_delay_alu instid0(VALU_DEP_2) | instskip(NEXT) | instid1(VALU_DEP_1)
	v_cmp_eq_u32_e64 s1, 0, v5
	v_cndmask_b32_e64 v139, v139, v0, s1
; %bb.457:                              ;   in Loop: Header=BB167_40 Depth=1
	s_or_b32 exec_lo, exec_lo, s12
	v_lshlrev_b32_e32 v0, 16, v1
                                        ; implicit-def: $vgpr140
	s_delay_alu instid0(VALU_DEP_1) | instskip(NEXT) | instid1(VALU_DEP_1)
	v_mul_f32_e32 v0, v133, v0
	v_and_b32_e32 v1, 0x7f800000, v0
	s_delay_alu instid0(VALU_DEP_1) | instskip(NEXT) | instid1(VALU_DEP_1)
	v_cmp_ne_u32_e64 s1, 0x7f800000, v1
	s_and_saveexec_b32 s12, s1
	s_delay_alu instid0(SALU_CYCLE_1)
	s_xor_b32 s1, exec_lo, s12
; %bb.458:                              ;   in Loop: Header=BB167_40 Depth=1
	v_bfe_u32 v1, v0, 16, 1
	s_delay_alu instid0(VALU_DEP_1)
	v_add3_u32 v140, v0, v1, 0x7fff
                                        ; implicit-def: $vgpr0
; %bb.459:                              ;   in Loop: Header=BB167_40 Depth=1
	s_and_not1_saveexec_b32 s12, s1
; %bb.460:                              ;   in Loop: Header=BB167_40 Depth=1
	v_and_b32_e32 v1, 0xffff, v0
	v_or_b32_e32 v5, 0x10000, v0
	s_delay_alu instid0(VALU_DEP_2) | instskip(NEXT) | instid1(VALU_DEP_1)
	v_cmp_eq_u32_e64 s1, 0, v1
	v_cndmask_b32_e64 v140, v5, v0, s1
; %bb.461:                              ;   in Loop: Header=BB167_40 Depth=1
	s_or_b32 exec_lo, exec_lo, s12
	v_lshlrev_b32_e32 v0, 16, v13
                                        ; implicit-def: $vgpr141
	s_delay_alu instid0(VALU_DEP_1) | instskip(NEXT) | instid1(VALU_DEP_1)
	v_mul_f32_e32 v0, v134, v0
	v_and_b32_e32 v1, 0x7f800000, v0
	s_delay_alu instid0(VALU_DEP_1) | instskip(NEXT) | instid1(VALU_DEP_1)
	v_cmp_ne_u32_e64 s1, 0x7f800000, v1
	s_and_saveexec_b32 s12, s1
	s_delay_alu instid0(SALU_CYCLE_1)
	s_xor_b32 s1, exec_lo, s12
; %bb.462:                              ;   in Loop: Header=BB167_40 Depth=1
	v_bfe_u32 v1, v0, 16, 1
	s_delay_alu instid0(VALU_DEP_1)
	v_add3_u32 v141, v0, v1, 0x7fff
                                        ; implicit-def: $vgpr0
; %bb.463:                              ;   in Loop: Header=BB167_40 Depth=1
	s_and_not1_saveexec_b32 s12, s1
; %bb.464:                              ;   in Loop: Header=BB167_40 Depth=1
	v_and_b32_e32 v1, 0xffff, v0
	v_or_b32_e32 v5, 0x10000, v0
	s_delay_alu instid0(VALU_DEP_2) | instskip(NEXT) | instid1(VALU_DEP_1)
	v_cmp_eq_u32_e64 s1, 0, v1
	v_cndmask_b32_e64 v141, v5, v0, s1
; %bb.465:                              ;   in Loop: Header=BB167_40 Depth=1
	s_or_b32 exec_lo, exec_lo, s12
	v_lshlrev_b32_e32 v0, 16, v2
                                        ; implicit-def: $vgpr142
	s_delay_alu instid0(VALU_DEP_1) | instskip(NEXT) | instid1(VALU_DEP_1)
	v_mul_f32_e32 v0, v135, v0
	v_and_b32_e32 v1, 0x7f800000, v0
	s_delay_alu instid0(VALU_DEP_1) | instskip(NEXT) | instid1(VALU_DEP_1)
	v_cmp_ne_u32_e64 s1, 0x7f800000, v1
	s_and_saveexec_b32 s12, s1
	s_delay_alu instid0(SALU_CYCLE_1)
	s_xor_b32 s1, exec_lo, s12
; %bb.466:                              ;   in Loop: Header=BB167_40 Depth=1
	v_bfe_u32 v1, v0, 16, 1
	s_delay_alu instid0(VALU_DEP_1)
	v_add3_u32 v142, v0, v1, 0x7fff
                                        ; implicit-def: $vgpr0
; %bb.467:                              ;   in Loop: Header=BB167_40 Depth=1
	s_and_not1_saveexec_b32 s12, s1
; %bb.468:                              ;   in Loop: Header=BB167_40 Depth=1
	v_and_b32_e32 v1, 0xffff, v0
	v_or_b32_e32 v2, 0x10000, v0
	s_delay_alu instid0(VALU_DEP_2) | instskip(NEXT) | instid1(VALU_DEP_1)
	v_cmp_eq_u32_e64 s1, 0, v1
	v_cndmask_b32_e64 v142, v2, v0, s1
; %bb.469:                              ;   in Loop: Header=BB167_40 Depth=1
	s_or_b32 exec_lo, exec_lo, s12
	v_lshlrev_b32_e32 v0, 16, v31
                                        ; implicit-def: $vgpr143
	s_delay_alu instid0(VALU_DEP_1) | instskip(NEXT) | instid1(VALU_DEP_1)
	v_mul_f32_e32 v0, v144, v0
	v_and_b32_e32 v1, 0x7f800000, v0
	s_delay_alu instid0(VALU_DEP_1) | instskip(NEXT) | instid1(VALU_DEP_1)
	v_cmp_ne_u32_e64 s1, 0x7f800000, v1
	s_and_saveexec_b32 s12, s1
	s_delay_alu instid0(SALU_CYCLE_1)
	s_xor_b32 s1, exec_lo, s12
; %bb.470:                              ;   in Loop: Header=BB167_40 Depth=1
	v_bfe_u32 v1, v0, 16, 1
	s_delay_alu instid0(VALU_DEP_1)
	v_add3_u32 v143, v0, v1, 0x7fff
                                        ; implicit-def: $vgpr0
; %bb.471:                              ;   in Loop: Header=BB167_40 Depth=1
	s_and_not1_saveexec_b32 s12, s1
; %bb.472:                              ;   in Loop: Header=BB167_40 Depth=1
	v_and_b32_e32 v1, 0xffff, v0
	v_or_b32_e32 v2, 0x10000, v0
	s_delay_alu instid0(VALU_DEP_2) | instskip(NEXT) | instid1(VALU_DEP_1)
	v_cmp_eq_u32_e64 s1, 0, v1
	v_cndmask_b32_e64 v143, v2, v0, s1
; %bb.473:                              ;   in Loop: Header=BB167_40 Depth=1
	s_or_b32 exec_lo, exec_lo, s12
	v_lshlrev_b32_e32 v0, 16, v3
                                        ; implicit-def: $vgpr152
	s_delay_alu instid0(VALU_DEP_1) | instskip(NEXT) | instid1(VALU_DEP_1)
	v_mul_f32_e32 v0, v145, v0
	v_and_b32_e32 v1, 0x7f800000, v0
	s_delay_alu instid0(VALU_DEP_1) | instskip(NEXT) | instid1(VALU_DEP_1)
	v_cmp_ne_u32_e64 s1, 0x7f800000, v1
	s_and_saveexec_b32 s12, s1
	s_delay_alu instid0(SALU_CYCLE_1)
	s_xor_b32 s1, exec_lo, s12
; %bb.474:                              ;   in Loop: Header=BB167_40 Depth=1
	v_bfe_u32 v1, v0, 16, 1
	s_delay_alu instid0(VALU_DEP_1)
	v_add3_u32 v152, v0, v1, 0x7fff
                                        ; implicit-def: $vgpr0
; %bb.475:                              ;   in Loop: Header=BB167_40 Depth=1
	s_and_not1_saveexec_b32 s12, s1
; %bb.476:                              ;   in Loop: Header=BB167_40 Depth=1
	v_and_b32_e32 v1, 0xffff, v0
	v_or_b32_e32 v2, 0x10000, v0
	s_delay_alu instid0(VALU_DEP_2) | instskip(NEXT) | instid1(VALU_DEP_1)
	v_cmp_eq_u32_e64 s1, 0, v1
	v_cndmask_b32_e64 v152, v2, v0, s1
; %bb.477:                              ;   in Loop: Header=BB167_40 Depth=1
	s_or_b32 exec_lo, exec_lo, s12
	v_lshlrev_b32_e32 v0, 16, v29
                                        ; implicit-def: $vgpr153
	s_delay_alu instid0(VALU_DEP_1) | instskip(NEXT) | instid1(VALU_DEP_1)
	v_mul_f32_e32 v0, v146, v0
	v_and_b32_e32 v1, 0x7f800000, v0
	s_delay_alu instid0(VALU_DEP_1) | instskip(NEXT) | instid1(VALU_DEP_1)
	v_cmp_ne_u32_e64 s1, 0x7f800000, v1
	s_and_saveexec_b32 s12, s1
	s_delay_alu instid0(SALU_CYCLE_1)
	s_xor_b32 s1, exec_lo, s12
; %bb.478:                              ;   in Loop: Header=BB167_40 Depth=1
	v_bfe_u32 v1, v0, 16, 1
	s_delay_alu instid0(VALU_DEP_1)
	v_add3_u32 v153, v0, v1, 0x7fff
                                        ; implicit-def: $vgpr0
; %bb.479:                              ;   in Loop: Header=BB167_40 Depth=1
	s_and_not1_saveexec_b32 s12, s1
; %bb.480:                              ;   in Loop: Header=BB167_40 Depth=1
	v_and_b32_e32 v1, 0xffff, v0
	v_or_b32_e32 v2, 0x10000, v0
	s_delay_alu instid0(VALU_DEP_2) | instskip(NEXT) | instid1(VALU_DEP_1)
	v_cmp_eq_u32_e64 s1, 0, v1
	v_cndmask_b32_e64 v153, v2, v0, s1
; %bb.481:                              ;   in Loop: Header=BB167_40 Depth=1
	s_or_b32 exec_lo, exec_lo, s12
	v_add_co_u32 v0, s1, v129, v80
	s_delay_alu instid0(VALU_DEP_1)
	v_add_co_ci_u32_e64 v1, s1, 0, v130, s1
	flat_load_b128 v[0:3], v[0:1]
	s_waitcnt vmcnt(0) lgkmcnt(0)
	v_lshrrev_b32_e32 v5, 16, v0
	v_lshrrev_b32_e32 v13, 16, v1
	;; [unrolled: 1-line block ×4, first 2 shown]
	s_and_saveexec_b32 s12, vcc_lo
	s_cbranch_execz .LBB167_483
; %bb.482:                              ;   in Loop: Header=BB167_40 Depth=1
	v_cmp_lt_i32_e64 s1, v114, v32
	s_delay_alu instid0(VALU_DEP_1) | instskip(SKIP_1) | instid1(VALU_DEP_1)
	v_cndmask_b32_e64 v0, 0, v0, s1
	v_cmp_lt_i32_e64 s1, v128, v32
	v_cndmask_b32_e64 v5, 0, v5, s1
	v_cmp_lt_i32_e64 s1, v119, v32
	s_delay_alu instid0(VALU_DEP_1) | instskip(SKIP_1) | instid1(VALU_DEP_1)
	v_cndmask_b32_e64 v1, 0, v1, s1
	v_cmp_lt_i32_e64 s1, v118, v32
	v_cndmask_b32_e64 v13, 0, v13, s1
	;; [unrolled: 5-line block ×4, first 2 shown]
.LBB167_483:                            ;   in Loop: Header=BB167_40 Depth=1
	s_or_b32 exec_lo, exec_lo, s12
	v_lshlrev_b32_e32 v0, 16, v0
	s_delay_alu instid0(VALU_DEP_1) | instskip(NEXT) | instid1(VALU_DEP_1)
	v_mul_f32_e32 v0, v131, v0
	v_and_b32_e32 v154, 0x7f800000, v0
	s_delay_alu instid0(VALU_DEP_1) | instskip(NEXT) | instid1(VALU_DEP_1)
	v_cmp_ne_u32_e64 s1, 0x7f800000, v154
                                        ; implicit-def: $vgpr154
	s_and_saveexec_b32 s12, s1
	s_delay_alu instid0(SALU_CYCLE_1)
	s_xor_b32 s1, exec_lo, s12
; %bb.484:                              ;   in Loop: Header=BB167_40 Depth=1
	v_bfe_u32 v154, v0, 16, 1
	s_delay_alu instid0(VALU_DEP_1)
	v_add3_u32 v154, v0, v154, 0x7fff
                                        ; implicit-def: $vgpr0
; %bb.485:                              ;   in Loop: Header=BB167_40 Depth=1
	s_and_not1_saveexec_b32 s12, s1
; %bb.486:                              ;   in Loop: Header=BB167_40 Depth=1
	v_and_b32_e32 v154, 0xffff, v0
	v_or_b32_e32 v155, 0x10000, v0
	s_delay_alu instid0(VALU_DEP_2) | instskip(NEXT) | instid1(VALU_DEP_1)
	v_cmp_eq_u32_e64 s1, 0, v154
	v_cndmask_b32_e64 v154, v155, v0, s1
; %bb.487:                              ;   in Loop: Header=BB167_40 Depth=1
	s_or_b32 exec_lo, exec_lo, s12
	v_lshlrev_b32_e32 v0, 16, v5
                                        ; implicit-def: $vgpr155
	s_delay_alu instid0(VALU_DEP_1) | instskip(NEXT) | instid1(VALU_DEP_1)
	v_mul_f32_e32 v0, v132, v0
	v_and_b32_e32 v5, 0x7f800000, v0
	s_delay_alu instid0(VALU_DEP_1) | instskip(NEXT) | instid1(VALU_DEP_1)
	v_cmp_ne_u32_e64 s1, 0x7f800000, v5
	s_and_saveexec_b32 s12, s1
	s_delay_alu instid0(SALU_CYCLE_1)
	s_xor_b32 s1, exec_lo, s12
; %bb.488:                              ;   in Loop: Header=BB167_40 Depth=1
	v_bfe_u32 v5, v0, 16, 1
	s_delay_alu instid0(VALU_DEP_1)
	v_add3_u32 v155, v0, v5, 0x7fff
                                        ; implicit-def: $vgpr0
; %bb.489:                              ;   in Loop: Header=BB167_40 Depth=1
	s_and_not1_saveexec_b32 s12, s1
; %bb.490:                              ;   in Loop: Header=BB167_40 Depth=1
	v_and_b32_e32 v5, 0xffff, v0
	v_or_b32_e32 v155, 0x10000, v0
	s_delay_alu instid0(VALU_DEP_2) | instskip(NEXT) | instid1(VALU_DEP_1)
	v_cmp_eq_u32_e64 s1, 0, v5
	v_cndmask_b32_e64 v155, v155, v0, s1
; %bb.491:                              ;   in Loop: Header=BB167_40 Depth=1
	s_or_b32 exec_lo, exec_lo, s12
	v_lshlrev_b32_e32 v0, 16, v1
                                        ; implicit-def: $vgpr156
	s_delay_alu instid0(VALU_DEP_1) | instskip(NEXT) | instid1(VALU_DEP_1)
	v_mul_f32_e32 v0, v133, v0
	v_and_b32_e32 v1, 0x7f800000, v0
	s_delay_alu instid0(VALU_DEP_1) | instskip(NEXT) | instid1(VALU_DEP_1)
	v_cmp_ne_u32_e64 s1, 0x7f800000, v1
	s_and_saveexec_b32 s12, s1
	s_delay_alu instid0(SALU_CYCLE_1)
	s_xor_b32 s1, exec_lo, s12
; %bb.492:                              ;   in Loop: Header=BB167_40 Depth=1
	v_bfe_u32 v1, v0, 16, 1
	s_delay_alu instid0(VALU_DEP_1)
	v_add3_u32 v156, v0, v1, 0x7fff
                                        ; implicit-def: $vgpr0
; %bb.493:                              ;   in Loop: Header=BB167_40 Depth=1
	s_and_not1_saveexec_b32 s12, s1
; %bb.494:                              ;   in Loop: Header=BB167_40 Depth=1
	v_and_b32_e32 v1, 0xffff, v0
	v_or_b32_e32 v5, 0x10000, v0
	s_delay_alu instid0(VALU_DEP_2) | instskip(NEXT) | instid1(VALU_DEP_1)
	v_cmp_eq_u32_e64 s1, 0, v1
	v_cndmask_b32_e64 v156, v5, v0, s1
; %bb.495:                              ;   in Loop: Header=BB167_40 Depth=1
	s_or_b32 exec_lo, exec_lo, s12
	v_lshlrev_b32_e32 v0, 16, v13
                                        ; implicit-def: $vgpr157
	s_delay_alu instid0(VALU_DEP_1) | instskip(NEXT) | instid1(VALU_DEP_1)
	v_mul_f32_e32 v0, v134, v0
	v_and_b32_e32 v1, 0x7f800000, v0
	s_delay_alu instid0(VALU_DEP_1) | instskip(NEXT) | instid1(VALU_DEP_1)
	v_cmp_ne_u32_e64 s1, 0x7f800000, v1
	s_and_saveexec_b32 s12, s1
	s_delay_alu instid0(SALU_CYCLE_1)
	s_xor_b32 s1, exec_lo, s12
; %bb.496:                              ;   in Loop: Header=BB167_40 Depth=1
	v_bfe_u32 v1, v0, 16, 1
	s_delay_alu instid0(VALU_DEP_1)
	v_add3_u32 v157, v0, v1, 0x7fff
                                        ; implicit-def: $vgpr0
; %bb.497:                              ;   in Loop: Header=BB167_40 Depth=1
	s_and_not1_saveexec_b32 s12, s1
; %bb.498:                              ;   in Loop: Header=BB167_40 Depth=1
	v_and_b32_e32 v1, 0xffff, v0
	v_or_b32_e32 v5, 0x10000, v0
	s_delay_alu instid0(VALU_DEP_2) | instskip(NEXT) | instid1(VALU_DEP_1)
	v_cmp_eq_u32_e64 s1, 0, v1
	v_cndmask_b32_e64 v157, v5, v0, s1
; %bb.499:                              ;   in Loop: Header=BB167_40 Depth=1
	s_or_b32 exec_lo, exec_lo, s12
	v_lshlrev_b32_e32 v0, 16, v2
                                        ; implicit-def: $vgpr158
	s_delay_alu instid0(VALU_DEP_1) | instskip(NEXT) | instid1(VALU_DEP_1)
	v_mul_f32_e32 v0, v135, v0
	v_and_b32_e32 v1, 0x7f800000, v0
	s_delay_alu instid0(VALU_DEP_1) | instskip(NEXT) | instid1(VALU_DEP_1)
	v_cmp_ne_u32_e64 s1, 0x7f800000, v1
	s_and_saveexec_b32 s12, s1
	s_delay_alu instid0(SALU_CYCLE_1)
	s_xor_b32 s1, exec_lo, s12
; %bb.500:                              ;   in Loop: Header=BB167_40 Depth=1
	v_bfe_u32 v1, v0, 16, 1
	s_delay_alu instid0(VALU_DEP_1)
	v_add3_u32 v158, v0, v1, 0x7fff
                                        ; implicit-def: $vgpr0
; %bb.501:                              ;   in Loop: Header=BB167_40 Depth=1
	s_and_not1_saveexec_b32 s12, s1
; %bb.502:                              ;   in Loop: Header=BB167_40 Depth=1
	v_and_b32_e32 v1, 0xffff, v0
	v_or_b32_e32 v2, 0x10000, v0
	s_delay_alu instid0(VALU_DEP_2) | instskip(NEXT) | instid1(VALU_DEP_1)
	v_cmp_eq_u32_e64 s1, 0, v1
	v_cndmask_b32_e64 v158, v2, v0, s1
; %bb.503:                              ;   in Loop: Header=BB167_40 Depth=1
	s_or_b32 exec_lo, exec_lo, s12
	v_lshlrev_b32_e32 v0, 16, v31
                                        ; implicit-def: $vgpr159
	s_delay_alu instid0(VALU_DEP_1) | instskip(NEXT) | instid1(VALU_DEP_1)
	v_mul_f32_e32 v0, v144, v0
	v_and_b32_e32 v1, 0x7f800000, v0
	s_delay_alu instid0(VALU_DEP_1) | instskip(NEXT) | instid1(VALU_DEP_1)
	v_cmp_ne_u32_e64 s1, 0x7f800000, v1
	s_and_saveexec_b32 s12, s1
	s_delay_alu instid0(SALU_CYCLE_1)
	s_xor_b32 s1, exec_lo, s12
; %bb.504:                              ;   in Loop: Header=BB167_40 Depth=1
	v_bfe_u32 v1, v0, 16, 1
	s_delay_alu instid0(VALU_DEP_1)
	v_add3_u32 v159, v0, v1, 0x7fff
                                        ; implicit-def: $vgpr0
; %bb.505:                              ;   in Loop: Header=BB167_40 Depth=1
	s_and_not1_saveexec_b32 s12, s1
; %bb.506:                              ;   in Loop: Header=BB167_40 Depth=1
	v_and_b32_e32 v1, 0xffff, v0
	v_or_b32_e32 v2, 0x10000, v0
	s_delay_alu instid0(VALU_DEP_2) | instskip(NEXT) | instid1(VALU_DEP_1)
	v_cmp_eq_u32_e64 s1, 0, v1
	v_cndmask_b32_e64 v159, v2, v0, s1
; %bb.507:                              ;   in Loop: Header=BB167_40 Depth=1
	s_or_b32 exec_lo, exec_lo, s12
	v_lshlrev_b32_e32 v0, 16, v3
                                        ; implicit-def: $vgpr168
	s_delay_alu instid0(VALU_DEP_1) | instskip(NEXT) | instid1(VALU_DEP_1)
	v_mul_f32_e32 v0, v145, v0
	v_and_b32_e32 v1, 0x7f800000, v0
	s_delay_alu instid0(VALU_DEP_1) | instskip(NEXT) | instid1(VALU_DEP_1)
	v_cmp_ne_u32_e64 s1, 0x7f800000, v1
	s_and_saveexec_b32 s12, s1
	s_delay_alu instid0(SALU_CYCLE_1)
	s_xor_b32 s1, exec_lo, s12
; %bb.508:                              ;   in Loop: Header=BB167_40 Depth=1
	v_bfe_u32 v1, v0, 16, 1
	s_delay_alu instid0(VALU_DEP_1)
	v_add3_u32 v168, v0, v1, 0x7fff
                                        ; implicit-def: $vgpr0
; %bb.509:                              ;   in Loop: Header=BB167_40 Depth=1
	s_and_not1_saveexec_b32 s12, s1
; %bb.510:                              ;   in Loop: Header=BB167_40 Depth=1
	v_and_b32_e32 v1, 0xffff, v0
	v_or_b32_e32 v2, 0x10000, v0
	s_delay_alu instid0(VALU_DEP_2) | instskip(NEXT) | instid1(VALU_DEP_1)
	v_cmp_eq_u32_e64 s1, 0, v1
	v_cndmask_b32_e64 v168, v2, v0, s1
; %bb.511:                              ;   in Loop: Header=BB167_40 Depth=1
	s_or_b32 exec_lo, exec_lo, s12
	v_lshlrev_b32_e32 v0, 16, v29
                                        ; implicit-def: $vgpr169
	s_delay_alu instid0(VALU_DEP_1) | instskip(NEXT) | instid1(VALU_DEP_1)
	v_mul_f32_e32 v0, v146, v0
	v_and_b32_e32 v1, 0x7f800000, v0
	s_delay_alu instid0(VALU_DEP_1) | instskip(NEXT) | instid1(VALU_DEP_1)
	v_cmp_ne_u32_e64 s1, 0x7f800000, v1
	s_and_saveexec_b32 s12, s1
	s_delay_alu instid0(SALU_CYCLE_1)
	s_xor_b32 s1, exec_lo, s12
; %bb.512:                              ;   in Loop: Header=BB167_40 Depth=1
	v_bfe_u32 v1, v0, 16, 1
	s_delay_alu instid0(VALU_DEP_1)
	v_add3_u32 v169, v0, v1, 0x7fff
                                        ; implicit-def: $vgpr0
; %bb.513:                              ;   in Loop: Header=BB167_40 Depth=1
	s_and_not1_saveexec_b32 s12, s1
; %bb.514:                              ;   in Loop: Header=BB167_40 Depth=1
	v_and_b32_e32 v1, 0xffff, v0
	v_or_b32_e32 v2, 0x10000, v0
	s_delay_alu instid0(VALU_DEP_2) | instskip(NEXT) | instid1(VALU_DEP_1)
	v_cmp_eq_u32_e64 s1, 0, v1
	v_cndmask_b32_e64 v169, v2, v0, s1
; %bb.515:                              ;   in Loop: Header=BB167_40 Depth=1
	s_or_b32 exec_lo, exec_lo, s12
	v_add_co_u32 v0, s1, v129, v81
	s_delay_alu instid0(VALU_DEP_1)
	v_add_co_ci_u32_e64 v1, s1, 0, v130, s1
	flat_load_b128 v[0:3], v[0:1]
	s_waitcnt vmcnt(0) lgkmcnt(0)
	v_lshrrev_b32_e32 v5, 16, v0
	v_lshrrev_b32_e32 v13, 16, v1
	;; [unrolled: 1-line block ×4, first 2 shown]
	s_and_saveexec_b32 s12, vcc_lo
	s_cbranch_execz .LBB167_517
; %bb.516:                              ;   in Loop: Header=BB167_40 Depth=1
	v_cmp_lt_i32_e64 s1, v114, v32
	s_delay_alu instid0(VALU_DEP_1) | instskip(SKIP_1) | instid1(VALU_DEP_1)
	v_cndmask_b32_e64 v0, 0, v0, s1
	v_cmp_lt_i32_e64 s1, v128, v32
	v_cndmask_b32_e64 v5, 0, v5, s1
	v_cmp_lt_i32_e64 s1, v119, v32
	s_delay_alu instid0(VALU_DEP_1) | instskip(SKIP_1) | instid1(VALU_DEP_1)
	v_cndmask_b32_e64 v1, 0, v1, s1
	v_cmp_lt_i32_e64 s1, v118, v32
	v_cndmask_b32_e64 v13, 0, v13, s1
	;; [unrolled: 5-line block ×4, first 2 shown]
.LBB167_517:                            ;   in Loop: Header=BB167_40 Depth=1
	s_or_b32 exec_lo, exec_lo, s12
	v_lshlrev_b32_e32 v0, 16, v0
	s_delay_alu instid0(VALU_DEP_1) | instskip(NEXT) | instid1(VALU_DEP_1)
	v_mul_f32_e32 v0, v131, v0
	v_and_b32_e32 v170, 0x7f800000, v0
	s_delay_alu instid0(VALU_DEP_1) | instskip(NEXT) | instid1(VALU_DEP_1)
	v_cmp_ne_u32_e64 s1, 0x7f800000, v170
                                        ; implicit-def: $vgpr170
	s_and_saveexec_b32 s12, s1
	s_delay_alu instid0(SALU_CYCLE_1)
	s_xor_b32 s1, exec_lo, s12
; %bb.518:                              ;   in Loop: Header=BB167_40 Depth=1
	v_bfe_u32 v170, v0, 16, 1
	s_delay_alu instid0(VALU_DEP_1)
	v_add3_u32 v170, v0, v170, 0x7fff
                                        ; implicit-def: $vgpr0
; %bb.519:                              ;   in Loop: Header=BB167_40 Depth=1
	s_and_not1_saveexec_b32 s12, s1
; %bb.520:                              ;   in Loop: Header=BB167_40 Depth=1
	v_and_b32_e32 v170, 0xffff, v0
	v_or_b32_e32 v171, 0x10000, v0
	s_delay_alu instid0(VALU_DEP_2) | instskip(NEXT) | instid1(VALU_DEP_1)
	v_cmp_eq_u32_e64 s1, 0, v170
	v_cndmask_b32_e64 v170, v171, v0, s1
; %bb.521:                              ;   in Loop: Header=BB167_40 Depth=1
	s_or_b32 exec_lo, exec_lo, s12
	v_lshlrev_b32_e32 v0, 16, v5
                                        ; implicit-def: $vgpr171
	s_delay_alu instid0(VALU_DEP_1) | instskip(NEXT) | instid1(VALU_DEP_1)
	v_mul_f32_e32 v0, v132, v0
	v_and_b32_e32 v5, 0x7f800000, v0
	s_delay_alu instid0(VALU_DEP_1) | instskip(NEXT) | instid1(VALU_DEP_1)
	v_cmp_ne_u32_e64 s1, 0x7f800000, v5
	s_and_saveexec_b32 s12, s1
	s_delay_alu instid0(SALU_CYCLE_1)
	s_xor_b32 s1, exec_lo, s12
; %bb.522:                              ;   in Loop: Header=BB167_40 Depth=1
	v_bfe_u32 v5, v0, 16, 1
	s_delay_alu instid0(VALU_DEP_1)
	v_add3_u32 v171, v0, v5, 0x7fff
                                        ; implicit-def: $vgpr0
; %bb.523:                              ;   in Loop: Header=BB167_40 Depth=1
	s_and_not1_saveexec_b32 s12, s1
; %bb.524:                              ;   in Loop: Header=BB167_40 Depth=1
	v_and_b32_e32 v5, 0xffff, v0
	v_or_b32_e32 v171, 0x10000, v0
	s_delay_alu instid0(VALU_DEP_2) | instskip(NEXT) | instid1(VALU_DEP_1)
	v_cmp_eq_u32_e64 s1, 0, v5
	v_cndmask_b32_e64 v171, v171, v0, s1
; %bb.525:                              ;   in Loop: Header=BB167_40 Depth=1
	s_or_b32 exec_lo, exec_lo, s12
	v_lshlrev_b32_e32 v0, 16, v1
                                        ; implicit-def: $vgpr172
	s_delay_alu instid0(VALU_DEP_1) | instskip(NEXT) | instid1(VALU_DEP_1)
	v_mul_f32_e32 v0, v133, v0
	v_and_b32_e32 v1, 0x7f800000, v0
	s_delay_alu instid0(VALU_DEP_1) | instskip(NEXT) | instid1(VALU_DEP_1)
	v_cmp_ne_u32_e64 s1, 0x7f800000, v1
	s_and_saveexec_b32 s12, s1
	s_delay_alu instid0(SALU_CYCLE_1)
	s_xor_b32 s1, exec_lo, s12
; %bb.526:                              ;   in Loop: Header=BB167_40 Depth=1
	v_bfe_u32 v1, v0, 16, 1
	s_delay_alu instid0(VALU_DEP_1)
	v_add3_u32 v172, v0, v1, 0x7fff
                                        ; implicit-def: $vgpr0
; %bb.527:                              ;   in Loop: Header=BB167_40 Depth=1
	s_and_not1_saveexec_b32 s12, s1
; %bb.528:                              ;   in Loop: Header=BB167_40 Depth=1
	v_and_b32_e32 v1, 0xffff, v0
	v_or_b32_e32 v5, 0x10000, v0
	s_delay_alu instid0(VALU_DEP_2) | instskip(NEXT) | instid1(VALU_DEP_1)
	v_cmp_eq_u32_e64 s1, 0, v1
	v_cndmask_b32_e64 v172, v5, v0, s1
; %bb.529:                              ;   in Loop: Header=BB167_40 Depth=1
	s_or_b32 exec_lo, exec_lo, s12
	v_lshlrev_b32_e32 v0, 16, v13
                                        ; implicit-def: $vgpr173
	s_delay_alu instid0(VALU_DEP_1) | instskip(NEXT) | instid1(VALU_DEP_1)
	v_mul_f32_e32 v0, v134, v0
	v_and_b32_e32 v1, 0x7f800000, v0
	s_delay_alu instid0(VALU_DEP_1) | instskip(NEXT) | instid1(VALU_DEP_1)
	v_cmp_ne_u32_e64 s1, 0x7f800000, v1
	s_and_saveexec_b32 s12, s1
	s_delay_alu instid0(SALU_CYCLE_1)
	s_xor_b32 s1, exec_lo, s12
; %bb.530:                              ;   in Loop: Header=BB167_40 Depth=1
	v_bfe_u32 v1, v0, 16, 1
	s_delay_alu instid0(VALU_DEP_1)
	v_add3_u32 v173, v0, v1, 0x7fff
                                        ; implicit-def: $vgpr0
; %bb.531:                              ;   in Loop: Header=BB167_40 Depth=1
	s_and_not1_saveexec_b32 s12, s1
; %bb.532:                              ;   in Loop: Header=BB167_40 Depth=1
	v_and_b32_e32 v1, 0xffff, v0
	v_or_b32_e32 v5, 0x10000, v0
	s_delay_alu instid0(VALU_DEP_2) | instskip(NEXT) | instid1(VALU_DEP_1)
	v_cmp_eq_u32_e64 s1, 0, v1
	v_cndmask_b32_e64 v173, v5, v0, s1
; %bb.533:                              ;   in Loop: Header=BB167_40 Depth=1
	s_or_b32 exec_lo, exec_lo, s12
	v_lshlrev_b32_e32 v0, 16, v2
                                        ; implicit-def: $vgpr174
	s_delay_alu instid0(VALU_DEP_1) | instskip(NEXT) | instid1(VALU_DEP_1)
	v_mul_f32_e32 v0, v135, v0
	v_and_b32_e32 v1, 0x7f800000, v0
	s_delay_alu instid0(VALU_DEP_1) | instskip(NEXT) | instid1(VALU_DEP_1)
	v_cmp_ne_u32_e64 s1, 0x7f800000, v1
	s_and_saveexec_b32 s12, s1
	s_delay_alu instid0(SALU_CYCLE_1)
	s_xor_b32 s1, exec_lo, s12
; %bb.534:                              ;   in Loop: Header=BB167_40 Depth=1
	v_bfe_u32 v1, v0, 16, 1
	s_delay_alu instid0(VALU_DEP_1)
	v_add3_u32 v174, v0, v1, 0x7fff
                                        ; implicit-def: $vgpr0
; %bb.535:                              ;   in Loop: Header=BB167_40 Depth=1
	s_and_not1_saveexec_b32 s12, s1
; %bb.536:                              ;   in Loop: Header=BB167_40 Depth=1
	v_and_b32_e32 v1, 0xffff, v0
	v_or_b32_e32 v2, 0x10000, v0
	s_delay_alu instid0(VALU_DEP_2) | instskip(NEXT) | instid1(VALU_DEP_1)
	v_cmp_eq_u32_e64 s1, 0, v1
	v_cndmask_b32_e64 v174, v2, v0, s1
; %bb.537:                              ;   in Loop: Header=BB167_40 Depth=1
	s_or_b32 exec_lo, exec_lo, s12
	v_lshlrev_b32_e32 v0, 16, v31
                                        ; implicit-def: $vgpr175
	s_delay_alu instid0(VALU_DEP_1) | instskip(NEXT) | instid1(VALU_DEP_1)
	v_mul_f32_e32 v0, v144, v0
	v_and_b32_e32 v1, 0x7f800000, v0
	s_delay_alu instid0(VALU_DEP_1) | instskip(NEXT) | instid1(VALU_DEP_1)
	v_cmp_ne_u32_e64 s1, 0x7f800000, v1
	s_and_saveexec_b32 s12, s1
	s_delay_alu instid0(SALU_CYCLE_1)
	s_xor_b32 s1, exec_lo, s12
; %bb.538:                              ;   in Loop: Header=BB167_40 Depth=1
	v_bfe_u32 v1, v0, 16, 1
	s_delay_alu instid0(VALU_DEP_1)
	v_add3_u32 v175, v0, v1, 0x7fff
                                        ; implicit-def: $vgpr0
; %bb.539:                              ;   in Loop: Header=BB167_40 Depth=1
	s_and_not1_saveexec_b32 s12, s1
; %bb.540:                              ;   in Loop: Header=BB167_40 Depth=1
	v_and_b32_e32 v1, 0xffff, v0
	v_or_b32_e32 v2, 0x10000, v0
	s_delay_alu instid0(VALU_DEP_2) | instskip(NEXT) | instid1(VALU_DEP_1)
	v_cmp_eq_u32_e64 s1, 0, v1
	v_cndmask_b32_e64 v175, v2, v0, s1
; %bb.541:                              ;   in Loop: Header=BB167_40 Depth=1
	s_or_b32 exec_lo, exec_lo, s12
	v_lshlrev_b32_e32 v0, 16, v3
                                        ; implicit-def: $vgpr184
	s_delay_alu instid0(VALU_DEP_1) | instskip(NEXT) | instid1(VALU_DEP_1)
	v_mul_f32_e32 v0, v145, v0
	v_and_b32_e32 v1, 0x7f800000, v0
	s_delay_alu instid0(VALU_DEP_1) | instskip(NEXT) | instid1(VALU_DEP_1)
	v_cmp_ne_u32_e64 s1, 0x7f800000, v1
	s_and_saveexec_b32 s12, s1
	s_delay_alu instid0(SALU_CYCLE_1)
	s_xor_b32 s1, exec_lo, s12
; %bb.542:                              ;   in Loop: Header=BB167_40 Depth=1
	v_bfe_u32 v1, v0, 16, 1
	s_delay_alu instid0(VALU_DEP_1)
	v_add3_u32 v184, v0, v1, 0x7fff
                                        ; implicit-def: $vgpr0
; %bb.543:                              ;   in Loop: Header=BB167_40 Depth=1
	s_and_not1_saveexec_b32 s12, s1
; %bb.544:                              ;   in Loop: Header=BB167_40 Depth=1
	v_and_b32_e32 v1, 0xffff, v0
	v_or_b32_e32 v2, 0x10000, v0
	s_delay_alu instid0(VALU_DEP_2) | instskip(NEXT) | instid1(VALU_DEP_1)
	v_cmp_eq_u32_e64 s1, 0, v1
	v_cndmask_b32_e64 v184, v2, v0, s1
; %bb.545:                              ;   in Loop: Header=BB167_40 Depth=1
	s_or_b32 exec_lo, exec_lo, s12
	v_lshlrev_b32_e32 v0, 16, v29
                                        ; implicit-def: $vgpr185
	s_delay_alu instid0(VALU_DEP_1) | instskip(NEXT) | instid1(VALU_DEP_1)
	v_mul_f32_e32 v0, v146, v0
	v_and_b32_e32 v1, 0x7f800000, v0
	s_delay_alu instid0(VALU_DEP_1) | instskip(NEXT) | instid1(VALU_DEP_1)
	v_cmp_ne_u32_e64 s1, 0x7f800000, v1
	s_and_saveexec_b32 s12, s1
	s_delay_alu instid0(SALU_CYCLE_1)
	s_xor_b32 s1, exec_lo, s12
; %bb.546:                              ;   in Loop: Header=BB167_40 Depth=1
	v_bfe_u32 v1, v0, 16, 1
	s_delay_alu instid0(VALU_DEP_1)
	v_add3_u32 v185, v0, v1, 0x7fff
                                        ; implicit-def: $vgpr0
; %bb.547:                              ;   in Loop: Header=BB167_40 Depth=1
	s_and_not1_saveexec_b32 s12, s1
; %bb.548:                              ;   in Loop: Header=BB167_40 Depth=1
	v_and_b32_e32 v1, 0xffff, v0
	v_or_b32_e32 v2, 0x10000, v0
	s_delay_alu instid0(VALU_DEP_2) | instskip(NEXT) | instid1(VALU_DEP_1)
	v_cmp_eq_u32_e64 s1, 0, v1
	v_cndmask_b32_e64 v185, v2, v0, s1
; %bb.549:                              ;   in Loop: Header=BB167_40 Depth=1
	s_or_b32 exec_lo, exec_lo, s12
	v_add_co_u32 v0, s1, v129, v82
	s_delay_alu instid0(VALU_DEP_1)
	v_add_co_ci_u32_e64 v1, s1, 0, v130, s1
	flat_load_b128 v[0:3], v[0:1]
	s_waitcnt vmcnt(0) lgkmcnt(0)
	v_lshrrev_b32_e32 v5, 16, v0
	v_lshrrev_b32_e32 v13, 16, v1
	;; [unrolled: 1-line block ×4, first 2 shown]
	s_and_saveexec_b32 s12, vcc_lo
	s_cbranch_execz .LBB167_551
; %bb.550:                              ;   in Loop: Header=BB167_40 Depth=1
	v_cmp_lt_i32_e64 s1, v114, v32
	s_delay_alu instid0(VALU_DEP_1) | instskip(SKIP_1) | instid1(VALU_DEP_1)
	v_cndmask_b32_e64 v0, 0, v0, s1
	v_cmp_lt_i32_e64 s1, v128, v32
	v_cndmask_b32_e64 v5, 0, v5, s1
	v_cmp_lt_i32_e64 s1, v119, v32
	s_delay_alu instid0(VALU_DEP_1) | instskip(SKIP_1) | instid1(VALU_DEP_1)
	v_cndmask_b32_e64 v1, 0, v1, s1
	v_cmp_lt_i32_e64 s1, v118, v32
	v_cndmask_b32_e64 v13, 0, v13, s1
	;; [unrolled: 5-line block ×4, first 2 shown]
.LBB167_551:                            ;   in Loop: Header=BB167_40 Depth=1
	s_or_b32 exec_lo, exec_lo, s12
	v_lshlrev_b32_e32 v0, 16, v0
	s_delay_alu instid0(VALU_DEP_1) | instskip(NEXT) | instid1(VALU_DEP_1)
	v_mul_f32_e32 v0, v131, v0
	v_and_b32_e32 v186, 0x7f800000, v0
	s_delay_alu instid0(VALU_DEP_1) | instskip(NEXT) | instid1(VALU_DEP_1)
	v_cmp_ne_u32_e64 s1, 0x7f800000, v186
                                        ; implicit-def: $vgpr186
	s_and_saveexec_b32 s12, s1
	s_delay_alu instid0(SALU_CYCLE_1)
	s_xor_b32 s1, exec_lo, s12
; %bb.552:                              ;   in Loop: Header=BB167_40 Depth=1
	v_bfe_u32 v186, v0, 16, 1
	s_delay_alu instid0(VALU_DEP_1)
	v_add3_u32 v186, v0, v186, 0x7fff
                                        ; implicit-def: $vgpr0
; %bb.553:                              ;   in Loop: Header=BB167_40 Depth=1
	s_and_not1_saveexec_b32 s12, s1
; %bb.554:                              ;   in Loop: Header=BB167_40 Depth=1
	v_and_b32_e32 v186, 0xffff, v0
	v_or_b32_e32 v187, 0x10000, v0
	s_delay_alu instid0(VALU_DEP_2) | instskip(NEXT) | instid1(VALU_DEP_1)
	v_cmp_eq_u32_e64 s1, 0, v186
	v_cndmask_b32_e64 v186, v187, v0, s1
; %bb.555:                              ;   in Loop: Header=BB167_40 Depth=1
	s_or_b32 exec_lo, exec_lo, s12
	v_lshlrev_b32_e32 v0, 16, v5
                                        ; implicit-def: $vgpr187
	s_delay_alu instid0(VALU_DEP_1) | instskip(NEXT) | instid1(VALU_DEP_1)
	v_mul_f32_e32 v0, v132, v0
	v_and_b32_e32 v5, 0x7f800000, v0
	s_delay_alu instid0(VALU_DEP_1) | instskip(NEXT) | instid1(VALU_DEP_1)
	v_cmp_ne_u32_e64 s1, 0x7f800000, v5
	s_and_saveexec_b32 s12, s1
	s_delay_alu instid0(SALU_CYCLE_1)
	s_xor_b32 s1, exec_lo, s12
; %bb.556:                              ;   in Loop: Header=BB167_40 Depth=1
	v_bfe_u32 v5, v0, 16, 1
	s_delay_alu instid0(VALU_DEP_1)
	v_add3_u32 v187, v0, v5, 0x7fff
                                        ; implicit-def: $vgpr0
; %bb.557:                              ;   in Loop: Header=BB167_40 Depth=1
	s_and_not1_saveexec_b32 s12, s1
; %bb.558:                              ;   in Loop: Header=BB167_40 Depth=1
	v_and_b32_e32 v5, 0xffff, v0
	v_or_b32_e32 v187, 0x10000, v0
	s_delay_alu instid0(VALU_DEP_2) | instskip(NEXT) | instid1(VALU_DEP_1)
	v_cmp_eq_u32_e64 s1, 0, v5
	v_cndmask_b32_e64 v187, v187, v0, s1
; %bb.559:                              ;   in Loop: Header=BB167_40 Depth=1
	s_or_b32 exec_lo, exec_lo, s12
	v_lshlrev_b32_e32 v0, 16, v1
                                        ; implicit-def: $vgpr188
	s_delay_alu instid0(VALU_DEP_1) | instskip(NEXT) | instid1(VALU_DEP_1)
	v_mul_f32_e32 v0, v133, v0
	v_and_b32_e32 v1, 0x7f800000, v0
	s_delay_alu instid0(VALU_DEP_1) | instskip(NEXT) | instid1(VALU_DEP_1)
	v_cmp_ne_u32_e64 s1, 0x7f800000, v1
	s_and_saveexec_b32 s12, s1
	s_delay_alu instid0(SALU_CYCLE_1)
	s_xor_b32 s1, exec_lo, s12
; %bb.560:                              ;   in Loop: Header=BB167_40 Depth=1
	v_bfe_u32 v1, v0, 16, 1
	s_delay_alu instid0(VALU_DEP_1)
	v_add3_u32 v188, v0, v1, 0x7fff
                                        ; implicit-def: $vgpr0
; %bb.561:                              ;   in Loop: Header=BB167_40 Depth=1
	s_and_not1_saveexec_b32 s12, s1
; %bb.562:                              ;   in Loop: Header=BB167_40 Depth=1
	v_and_b32_e32 v1, 0xffff, v0
	v_or_b32_e32 v5, 0x10000, v0
	s_delay_alu instid0(VALU_DEP_2) | instskip(NEXT) | instid1(VALU_DEP_1)
	v_cmp_eq_u32_e64 s1, 0, v1
	v_cndmask_b32_e64 v188, v5, v0, s1
; %bb.563:                              ;   in Loop: Header=BB167_40 Depth=1
	s_or_b32 exec_lo, exec_lo, s12
	v_lshlrev_b32_e32 v0, 16, v13
                                        ; implicit-def: $vgpr189
	s_delay_alu instid0(VALU_DEP_1) | instskip(NEXT) | instid1(VALU_DEP_1)
	v_mul_f32_e32 v0, v134, v0
	v_and_b32_e32 v1, 0x7f800000, v0
	s_delay_alu instid0(VALU_DEP_1) | instskip(NEXT) | instid1(VALU_DEP_1)
	v_cmp_ne_u32_e64 s1, 0x7f800000, v1
	s_and_saveexec_b32 s12, s1
	s_delay_alu instid0(SALU_CYCLE_1)
	s_xor_b32 s1, exec_lo, s12
; %bb.564:                              ;   in Loop: Header=BB167_40 Depth=1
	v_bfe_u32 v1, v0, 16, 1
	s_delay_alu instid0(VALU_DEP_1)
	v_add3_u32 v189, v0, v1, 0x7fff
                                        ; implicit-def: $vgpr0
; %bb.565:                              ;   in Loop: Header=BB167_40 Depth=1
	s_and_not1_saveexec_b32 s12, s1
; %bb.566:                              ;   in Loop: Header=BB167_40 Depth=1
	v_and_b32_e32 v1, 0xffff, v0
	v_or_b32_e32 v5, 0x10000, v0
	s_delay_alu instid0(VALU_DEP_2) | instskip(NEXT) | instid1(VALU_DEP_1)
	v_cmp_eq_u32_e64 s1, 0, v1
	v_cndmask_b32_e64 v189, v5, v0, s1
; %bb.567:                              ;   in Loop: Header=BB167_40 Depth=1
	s_or_b32 exec_lo, exec_lo, s12
	v_lshlrev_b32_e32 v0, 16, v2
                                        ; implicit-def: $vgpr190
	s_delay_alu instid0(VALU_DEP_1) | instskip(NEXT) | instid1(VALU_DEP_1)
	v_mul_f32_e32 v0, v135, v0
	v_and_b32_e32 v1, 0x7f800000, v0
	s_delay_alu instid0(VALU_DEP_1) | instskip(NEXT) | instid1(VALU_DEP_1)
	v_cmp_ne_u32_e64 s1, 0x7f800000, v1
	s_and_saveexec_b32 s12, s1
	s_delay_alu instid0(SALU_CYCLE_1)
	s_xor_b32 s1, exec_lo, s12
; %bb.568:                              ;   in Loop: Header=BB167_40 Depth=1
	v_bfe_u32 v1, v0, 16, 1
	s_delay_alu instid0(VALU_DEP_1)
	v_add3_u32 v190, v0, v1, 0x7fff
                                        ; implicit-def: $vgpr0
; %bb.569:                              ;   in Loop: Header=BB167_40 Depth=1
	s_and_not1_saveexec_b32 s12, s1
; %bb.570:                              ;   in Loop: Header=BB167_40 Depth=1
	v_and_b32_e32 v1, 0xffff, v0
	v_or_b32_e32 v2, 0x10000, v0
	s_delay_alu instid0(VALU_DEP_2) | instskip(NEXT) | instid1(VALU_DEP_1)
	v_cmp_eq_u32_e64 s1, 0, v1
	v_cndmask_b32_e64 v190, v2, v0, s1
; %bb.571:                              ;   in Loop: Header=BB167_40 Depth=1
	s_or_b32 exec_lo, exec_lo, s12
	v_lshlrev_b32_e32 v0, 16, v29
                                        ; implicit-def: $vgpr191
	s_delay_alu instid0(VALU_DEP_1) | instskip(NEXT) | instid1(VALU_DEP_1)
	v_mul_f32_e32 v0, v144, v0
	v_and_b32_e32 v1, 0x7f800000, v0
	s_delay_alu instid0(VALU_DEP_1) | instskip(NEXT) | instid1(VALU_DEP_1)
	v_cmp_ne_u32_e64 s1, 0x7f800000, v1
	s_and_saveexec_b32 s12, s1
	s_delay_alu instid0(SALU_CYCLE_1)
	s_xor_b32 s1, exec_lo, s12
; %bb.572:                              ;   in Loop: Header=BB167_40 Depth=1
	v_bfe_u32 v1, v0, 16, 1
	s_delay_alu instid0(VALU_DEP_1)
	v_add3_u32 v191, v0, v1, 0x7fff
                                        ; implicit-def: $vgpr0
; %bb.573:                              ;   in Loop: Header=BB167_40 Depth=1
	s_and_not1_saveexec_b32 s12, s1
; %bb.574:                              ;   in Loop: Header=BB167_40 Depth=1
	v_and_b32_e32 v1, 0xffff, v0
	v_or_b32_e32 v2, 0x10000, v0
	s_delay_alu instid0(VALU_DEP_2) | instskip(NEXT) | instid1(VALU_DEP_1)
	v_cmp_eq_u32_e64 s1, 0, v1
	v_cndmask_b32_e64 v191, v2, v0, s1
; %bb.575:                              ;   in Loop: Header=BB167_40 Depth=1
	s_or_b32 exec_lo, exec_lo, s12
	v_lshlrev_b32_e32 v0, 16, v3
                                        ; implicit-def: $vgpr29
	s_delay_alu instid0(VALU_DEP_1) | instskip(NEXT) | instid1(VALU_DEP_1)
	v_mul_f32_e32 v0, v145, v0
	v_and_b32_e32 v1, 0x7f800000, v0
	s_delay_alu instid0(VALU_DEP_1) | instskip(NEXT) | instid1(VALU_DEP_1)
	v_cmp_ne_u32_e64 s1, 0x7f800000, v1
	s_and_saveexec_b32 s12, s1
	s_delay_alu instid0(SALU_CYCLE_1)
	s_xor_b32 s1, exec_lo, s12
; %bb.576:                              ;   in Loop: Header=BB167_40 Depth=1
	v_bfe_u32 v1, v0, 16, 1
	s_delay_alu instid0(VALU_DEP_1)
	v_add3_u32 v29, v0, v1, 0x7fff
                                        ; implicit-def: $vgpr0
; %bb.577:                              ;   in Loop: Header=BB167_40 Depth=1
	s_and_not1_saveexec_b32 s12, s1
; %bb.578:                              ;   in Loop: Header=BB167_40 Depth=1
	v_and_b32_e32 v1, 0xffff, v0
	v_or_b32_e32 v2, 0x10000, v0
	s_delay_alu instid0(VALU_DEP_2) | instskip(NEXT) | instid1(VALU_DEP_1)
	v_cmp_eq_u32_e64 s1, 0, v1
	v_cndmask_b32_e64 v29, v2, v0, s1
; %bb.579:                              ;   in Loop: Header=BB167_40 Depth=1
	s_or_b32 exec_lo, exec_lo, s12
	v_lshlrev_b32_e32 v0, 16, v31
                                        ; implicit-def: $vgpr31
	s_delay_alu instid0(VALU_DEP_1) | instskip(NEXT) | instid1(VALU_DEP_1)
	v_mul_f32_e32 v0, v146, v0
	v_and_b32_e32 v1, 0x7f800000, v0
	s_delay_alu instid0(VALU_DEP_1) | instskip(NEXT) | instid1(VALU_DEP_1)
	v_cmp_ne_u32_e64 s1, 0x7f800000, v1
	s_and_saveexec_b32 s12, s1
	s_delay_alu instid0(SALU_CYCLE_1)
	s_xor_b32 s1, exec_lo, s12
; %bb.580:                              ;   in Loop: Header=BB167_40 Depth=1
	v_bfe_u32 v1, v0, 16, 1
	s_delay_alu instid0(VALU_DEP_1)
	v_add3_u32 v31, v0, v1, 0x7fff
                                        ; implicit-def: $vgpr0
; %bb.581:                              ;   in Loop: Header=BB167_40 Depth=1
	s_and_not1_saveexec_b32 s12, s1
; %bb.582:                              ;   in Loop: Header=BB167_40 Depth=1
	v_and_b32_e32 v1, 0xffff, v0
	v_or_b32_e32 v2, 0x10000, v0
	s_delay_alu instid0(VALU_DEP_2) | instskip(NEXT) | instid1(VALU_DEP_1)
	v_cmp_eq_u32_e64 s1, 0, v1
	v_cndmask_b32_e64 v31, v2, v0, s1
; %bb.583:                              ;   in Loop: Header=BB167_40 Depth=1
	s_or_b32 exec_lo, exec_lo, s12
	v_add_co_u32 v0, s1, v129, v83
	s_delay_alu instid0(VALU_DEP_1)
	v_add_co_ci_u32_e64 v1, s1, 0, v130, s1
	flat_load_b128 v[0:3], v[0:1]
	s_waitcnt vmcnt(0) lgkmcnt(0)
	v_lshrrev_b32_e32 v5, 16, v0
	v_lshrrev_b32_e32 v13, 16, v1
	;; [unrolled: 1-line block ×4, first 2 shown]
	s_and_saveexec_b32 s1, vcc_lo
	s_cbranch_execz .LBB167_585
; %bb.584:                              ;   in Loop: Header=BB167_40 Depth=1
	v_cmp_lt_i32_e32 vcc_lo, v114, v32
	v_cndmask_b32_e32 v0, 0, v0, vcc_lo
	v_cmp_lt_i32_e32 vcc_lo, v128, v32
	v_cndmask_b32_e32 v5, 0, v5, vcc_lo
	v_cmp_lt_i32_e32 vcc_lo, v119, v32
	v_cndmask_b32_e32 v1, 0, v1, vcc_lo
	v_cmp_lt_i32_e32 vcc_lo, v118, v32
	v_cndmask_b32_e32 v13, 0, v13, vcc_lo
	v_cmp_lt_i32_e32 vcc_lo, v117, v32
	v_cndmask_b32_e32 v2, 0, v2, vcc_lo
	v_cmp_lt_i32_e32 vcc_lo, v115, v32
	v_cndmask_b32_e32 v130, 0, v130, vcc_lo
	v_cmp_lt_i32_e32 vcc_lo, v112, v32
	v_cndmask_b32_e32 v3, 0, v3, vcc_lo
	v_cmp_lt_i32_e32 vcc_lo, v116, v32
	v_cndmask_b32_e32 v129, 0, v129, vcc_lo
.LBB167_585:                            ;   in Loop: Header=BB167_40 Depth=1
	s_or_b32 exec_lo, exec_lo, s1
	v_lshlrev_b32_e32 v0, 16, v0
	s_delay_alu instid0(VALU_DEP_1) | instskip(NEXT) | instid1(VALU_DEP_1)
	v_mul_f32_e32 v112, v131, v0
	v_and_b32_e32 v0, 0x7f800000, v112
	s_delay_alu instid0(VALU_DEP_1) | instskip(SKIP_1) | instid1(SALU_CYCLE_1)
	v_cmp_ne_u32_e32 vcc_lo, 0x7f800000, v0
                                        ; implicit-def: $vgpr0
	s_and_saveexec_b32 s1, vcc_lo
	s_xor_b32 s1, exec_lo, s1
; %bb.586:                              ;   in Loop: Header=BB167_40 Depth=1
	v_bfe_u32 v0, v112, 16, 1
	s_delay_alu instid0(VALU_DEP_1)
	v_add3_u32 v0, v112, v0, 0x7fff
                                        ; implicit-def: $vgpr112
; %bb.587:                              ;   in Loop: Header=BB167_40 Depth=1
	s_and_not1_saveexec_b32 s1, s1
; %bb.588:                              ;   in Loop: Header=BB167_40 Depth=1
	v_and_b32_e32 v0, 0xffff, v112
	v_or_b32_e32 v114, 0x10000, v112
	s_delay_alu instid0(VALU_DEP_2) | instskip(NEXT) | instid1(VALU_DEP_2)
	v_cmp_eq_u32_e32 vcc_lo, 0, v0
	v_cndmask_b32_e32 v0, v114, v112, vcc_lo
; %bb.589:                              ;   in Loop: Header=BB167_40 Depth=1
	s_or_b32 exec_lo, exec_lo, s1
	v_lshlrev_b32_e32 v5, 16, v5
	s_delay_alu instid0(VALU_DEP_1) | instskip(NEXT) | instid1(VALU_DEP_1)
	v_mul_f32_e32 v5, v132, v5
	v_and_b32_e32 v112, 0x7f800000, v5
	s_delay_alu instid0(VALU_DEP_1) | instskip(SKIP_1) | instid1(SALU_CYCLE_1)
	v_cmp_ne_u32_e32 vcc_lo, 0x7f800000, v112
                                        ; implicit-def: $vgpr112
	s_and_saveexec_b32 s1, vcc_lo
	s_xor_b32 s1, exec_lo, s1
; %bb.590:                              ;   in Loop: Header=BB167_40 Depth=1
	v_bfe_u32 v112, v5, 16, 1
	s_delay_alu instid0(VALU_DEP_1)
	v_add3_u32 v112, v5, v112, 0x7fff
                                        ; implicit-def: $vgpr5
; %bb.591:                              ;   in Loop: Header=BB167_40 Depth=1
	s_and_not1_saveexec_b32 s1, s1
; %bb.592:                              ;   in Loop: Header=BB167_40 Depth=1
	v_and_b32_e32 v112, 0xffff, v5
	v_or_b32_e32 v114, 0x10000, v5
	s_delay_alu instid0(VALU_DEP_2) | instskip(NEXT) | instid1(VALU_DEP_2)
	v_cmp_eq_u32_e32 vcc_lo, 0, v112
	v_cndmask_b32_e32 v112, v114, v5, vcc_lo
; %bb.593:                              ;   in Loop: Header=BB167_40 Depth=1
	s_or_b32 exec_lo, exec_lo, s1
	v_lshlrev_b32_e32 v1, 16, v1
	s_delay_alu instid0(VALU_DEP_1) | instskip(NEXT) | instid1(VALU_DEP_1)
	v_mul_f32_e32 v5, v133, v1
	v_and_b32_e32 v1, 0x7f800000, v5
	s_delay_alu instid0(VALU_DEP_1) | instskip(SKIP_1) | instid1(SALU_CYCLE_1)
	v_cmp_ne_u32_e32 vcc_lo, 0x7f800000, v1
                                        ; implicit-def: $vgpr1
	s_and_saveexec_b32 s1, vcc_lo
	s_xor_b32 s1, exec_lo, s1
; %bb.594:                              ;   in Loop: Header=BB167_40 Depth=1
	v_bfe_u32 v1, v5, 16, 1
	s_delay_alu instid0(VALU_DEP_1)
	v_add3_u32 v1, v5, v1, 0x7fff
                                        ; implicit-def: $vgpr5
; %bb.595:                              ;   in Loop: Header=BB167_40 Depth=1
	s_and_not1_saveexec_b32 s1, s1
; %bb.596:                              ;   in Loop: Header=BB167_40 Depth=1
	v_and_b32_e32 v1, 0xffff, v5
	v_or_b32_e32 v114, 0x10000, v5
	s_delay_alu instid0(VALU_DEP_2) | instskip(NEXT) | instid1(VALU_DEP_2)
	v_cmp_eq_u32_e32 vcc_lo, 0, v1
	v_cndmask_b32_e32 v1, v114, v5, vcc_lo
; %bb.597:                              ;   in Loop: Header=BB167_40 Depth=1
	s_or_b32 exec_lo, exec_lo, s1
	v_lshlrev_b32_e32 v5, 16, v13
	s_mov_b32 s1, exec_lo
                                        ; implicit-def: $vgpr114
	s_delay_alu instid0(VALU_DEP_1) | instskip(NEXT) | instid1(VALU_DEP_1)
	v_mul_f32_e32 v5, v134, v5
	v_and_b32_e32 v13, 0x7f800000, v5
	s_delay_alu instid0(VALU_DEP_1)
	v_cmpx_ne_u32_e32 0x7f800000, v13
	s_xor_b32 s1, exec_lo, s1
; %bb.598:                              ;   in Loop: Header=BB167_40 Depth=1
	v_bfe_u32 v13, v5, 16, 1
	s_delay_alu instid0(VALU_DEP_1)
	v_add3_u32 v114, v5, v13, 0x7fff
                                        ; implicit-def: $vgpr5
; %bb.599:                              ;   in Loop: Header=BB167_40 Depth=1
	s_and_not1_saveexec_b32 s1, s1
; %bb.600:                              ;   in Loop: Header=BB167_40 Depth=1
	v_and_b32_e32 v13, 0xffff, v5
	v_or_b32_e32 v114, 0x10000, v5
	s_delay_alu instid0(VALU_DEP_2) | instskip(NEXT) | instid1(VALU_DEP_2)
	v_cmp_eq_u32_e32 vcc_lo, 0, v13
	v_cndmask_b32_e32 v114, v114, v5, vcc_lo
; %bb.601:                              ;   in Loop: Header=BB167_40 Depth=1
	s_or_b32 exec_lo, exec_lo, s1
	v_lshlrev_b32_e32 v2, 16, v2
	s_delay_alu instid0(VALU_DEP_1) | instskip(NEXT) | instid1(VALU_DEP_1)
	v_mul_f32_e32 v5, v135, v2
	v_and_b32_e32 v2, 0x7f800000, v5
	s_delay_alu instid0(VALU_DEP_1) | instskip(SKIP_1) | instid1(SALU_CYCLE_1)
	v_cmp_ne_u32_e32 vcc_lo, 0x7f800000, v2
                                        ; implicit-def: $vgpr2
	s_and_saveexec_b32 s1, vcc_lo
	s_xor_b32 s1, exec_lo, s1
; %bb.602:                              ;   in Loop: Header=BB167_40 Depth=1
	v_bfe_u32 v2, v5, 16, 1
	s_delay_alu instid0(VALU_DEP_1)
	v_add3_u32 v2, v5, v2, 0x7fff
                                        ; implicit-def: $vgpr5
; %bb.603:                              ;   in Loop: Header=BB167_40 Depth=1
	s_and_not1_saveexec_b32 s1, s1
; %bb.604:                              ;   in Loop: Header=BB167_40 Depth=1
	v_and_b32_e32 v2, 0xffff, v5
	v_or_b32_e32 v13, 0x10000, v5
	s_delay_alu instid0(VALU_DEP_2) | instskip(NEXT) | instid1(VALU_DEP_2)
	v_cmp_eq_u32_e32 vcc_lo, 0, v2
	v_cndmask_b32_e32 v2, v13, v5, vcc_lo
; %bb.605:                              ;   in Loop: Header=BB167_40 Depth=1
	s_or_b32 exec_lo, exec_lo, s1
	v_lshlrev_b32_e32 v5, 16, v130
	s_mov_b32 s1, exec_lo
                                        ; implicit-def: $vgpr115
	s_delay_alu instid0(VALU_DEP_1) | instskip(NEXT) | instid1(VALU_DEP_1)
	v_mul_f32_e32 v5, v144, v5
	v_and_b32_e32 v13, 0x7f800000, v5
	s_delay_alu instid0(VALU_DEP_1)
	v_cmpx_ne_u32_e32 0x7f800000, v13
	s_xor_b32 s1, exec_lo, s1
; %bb.606:                              ;   in Loop: Header=BB167_40 Depth=1
	v_bfe_u32 v13, v5, 16, 1
	s_delay_alu instid0(VALU_DEP_1)
	v_add3_u32 v115, v5, v13, 0x7fff
                                        ; implicit-def: $vgpr5
; %bb.607:                              ;   in Loop: Header=BB167_40 Depth=1
	s_and_not1_saveexec_b32 s1, s1
; %bb.608:                              ;   in Loop: Header=BB167_40 Depth=1
	v_and_b32_e32 v13, 0xffff, v5
	v_or_b32_e32 v115, 0x10000, v5
	s_delay_alu instid0(VALU_DEP_2) | instskip(NEXT) | instid1(VALU_DEP_2)
	v_cmp_eq_u32_e32 vcc_lo, 0, v13
	v_cndmask_b32_e32 v115, v115, v5, vcc_lo
; %bb.609:                              ;   in Loop: Header=BB167_40 Depth=1
	s_or_b32 exec_lo, exec_lo, s1
	v_lshlrev_b32_e32 v3, 16, v3
	s_delay_alu instid0(VALU_DEP_1) | instskip(NEXT) | instid1(VALU_DEP_1)
	v_mul_f32_e32 v5, v145, v3
	v_and_b32_e32 v3, 0x7f800000, v5
	s_delay_alu instid0(VALU_DEP_1) | instskip(SKIP_1) | instid1(SALU_CYCLE_1)
	v_cmp_ne_u32_e32 vcc_lo, 0x7f800000, v3
                                        ; implicit-def: $vgpr3
	s_and_saveexec_b32 s1, vcc_lo
	s_xor_b32 s1, exec_lo, s1
; %bb.610:                              ;   in Loop: Header=BB167_40 Depth=1
	v_bfe_u32 v3, v5, 16, 1
	s_delay_alu instid0(VALU_DEP_1)
	v_add3_u32 v3, v5, v3, 0x7fff
                                        ; implicit-def: $vgpr5
; %bb.611:                              ;   in Loop: Header=BB167_40 Depth=1
	s_and_not1_saveexec_b32 s1, s1
; %bb.612:                              ;   in Loop: Header=BB167_40 Depth=1
	v_and_b32_e32 v3, 0xffff, v5
	v_or_b32_e32 v13, 0x10000, v5
	s_delay_alu instid0(VALU_DEP_2) | instskip(NEXT) | instid1(VALU_DEP_2)
	v_cmp_eq_u32_e32 vcc_lo, 0, v3
	v_cndmask_b32_e32 v3, v13, v5, vcc_lo
; %bb.613:                              ;   in Loop: Header=BB167_40 Depth=1
	s_or_b32 exec_lo, exec_lo, s1
	v_lshlrev_b32_e32 v5, 16, v129
	s_mov_b32 s1, exec_lo
                                        ; implicit-def: $vgpr116
	s_delay_alu instid0(VALU_DEP_1) | instskip(NEXT) | instid1(VALU_DEP_1)
	v_mul_f32_e32 v5, v146, v5
	v_and_b32_e32 v13, 0x7f800000, v5
	s_delay_alu instid0(VALU_DEP_1)
	v_cmpx_ne_u32_e32 0x7f800000, v13
	s_xor_b32 s1, exec_lo, s1
; %bb.614:                              ;   in Loop: Header=BB167_40 Depth=1
	v_bfe_u32 v13, v5, 16, 1
	s_delay_alu instid0(VALU_DEP_1)
	v_add3_u32 v116, v5, v13, 0x7fff
                                        ; implicit-def: $vgpr5
; %bb.615:                              ;   in Loop: Header=BB167_40 Depth=1
	s_and_not1_saveexec_b32 s1, s1
	s_cbranch_execz .LBB167_38
; %bb.616:                              ;   in Loop: Header=BB167_40 Depth=1
	v_and_b32_e32 v13, 0xffff, v5
	v_or_b32_e32 v116, 0x10000, v5
	s_delay_alu instid0(VALU_DEP_2) | instskip(NEXT) | instid1(VALU_DEP_2)
	v_cmp_eq_u32_e32 vcc_lo, 0, v13
	v_cndmask_b32_e32 v116, v116, v5, vcc_lo
	s_branch .LBB167_38
.LBB167_617:
	s_or_b32 exec_lo, exec_lo, s9
.LBB167_618:
	s_delay_alu instid0(SALU_CYCLE_1)
	s_or_b32 exec_lo, exec_lo, s8
	ds_bpermute_b32 v0, v27, v67
	ds_bpermute_b32 v1, v27, v66
	;; [unrolled: 1-line block ×16, first 2 shown]
	s_waitcnt lgkmcnt(0)
	s_waitcnt_vscnt null, 0x0
	s_barrier
	buffer_gl0_inv
	s_load_b32 s1, s[2:3], 0x0
	v_add_f32_e32 v0, v67, v0
	v_dual_add_f32 v20, v66, v1 :: v_dual_add_f32 v19, v65, v2
	v_dual_add_f32 v18, v64, v3 :: v_dual_add_f32 v17, v55, v5
	;; [unrolled: 1-line block ×6, first 2 shown]
	v_dual_add_f32 v6, v38, v23 :: v_dual_and_b32 v5, 0x3c1, v30
	v_dual_add_f32 v3, v37, v24 :: v_dual_add_f32 v2, v28, v25
	v_lshrrev_b32_e32 v1, 1, v4
	s_mov_b32 s2, exec_lo
	s_waitcnt lgkmcnt(0)
	v_lshl_add_u32 v12, v12, 10, s1
	v_cmpx_eq_u32_e32 64, v5
	s_cbranch_execz .LBB167_620
; %bb.619:
	v_lshlrev_b32_e32 v4, 2, v1
	s_delay_alu instid0(VALU_DEP_1)
	v_add3_u32 v4, v12, v4, 0xfffff800
	ds_store_2addr_b32 v4, v0, v20 offset1:16
	ds_store_2addr_b32 v4, v19, v18 offset0:32 offset1:48
	ds_store_2addr_b32 v4, v17, v16 offset0:64 offset1:80
	;; [unrolled: 1-line block ×7, first 2 shown]
.LBB167_620:
	s_or_b32 exec_lo, exec_lo, s2
	v_and_b32_e32 v4, 1, v30
	s_waitcnt lgkmcnt(0)
	s_barrier
	buffer_gl0_inv
	v_cmp_eq_u32_e32 vcc_lo, 0, v4
	s_mov_b32 s2, exec_lo
	s_clause 0x1
	scratch_load_b32 v5, off, s32 offset:320
	scratch_load_b32 v13, off, s32 offset:324
	s_and_b32 s0, s2, s0
	s_delay_alu instid0(SALU_CYCLE_1)
	s_mov_b32 exec_lo, s0
	s_cbranch_execz .LBB167_639
; %bb.621:
	s_and_saveexec_b32 s0, vcc_lo
	s_cbranch_execnz .LBB167_728
; %bb.622:
	s_or_b32 exec_lo, exec_lo, s0
	s_and_saveexec_b32 s0, vcc_lo
	s_cbranch_execnz .LBB167_729
.LBB167_623:
	s_or_b32 exec_lo, exec_lo, s0
	s_and_saveexec_b32 s0, vcc_lo
	s_cbranch_execnz .LBB167_730
.LBB167_624:
	s_or_b32 exec_lo, exec_lo, s0
	s_and_saveexec_b32 s0, vcc_lo
	s_cbranch_execnz .LBB167_731
.LBB167_625:
	s_or_b32 exec_lo, exec_lo, s0
	s_and_saveexec_b32 s0, vcc_lo
	s_cbranch_execnz .LBB167_732
.LBB167_626:
	s_or_b32 exec_lo, exec_lo, s0
	s_and_saveexec_b32 s0, vcc_lo
	s_cbranch_execnz .LBB167_733
.LBB167_627:
	s_or_b32 exec_lo, exec_lo, s0
	s_and_saveexec_b32 s0, vcc_lo
	s_cbranch_execnz .LBB167_734
.LBB167_628:
	s_or_b32 exec_lo, exec_lo, s0
	s_and_saveexec_b32 s0, vcc_lo
	s_cbranch_execnz .LBB167_735
.LBB167_629:
	s_or_b32 exec_lo, exec_lo, s0
	s_and_saveexec_b32 s0, vcc_lo
	s_cbranch_execnz .LBB167_736
.LBB167_630:
	s_or_b32 exec_lo, exec_lo, s0
	s_and_saveexec_b32 s0, vcc_lo
	s_cbranch_execnz .LBB167_737
.LBB167_631:
	s_or_b32 exec_lo, exec_lo, s0
	s_and_saveexec_b32 s0, vcc_lo
	s_cbranch_execnz .LBB167_738
.LBB167_632:
	s_or_b32 exec_lo, exec_lo, s0
	s_and_saveexec_b32 s0, vcc_lo
	s_cbranch_execnz .LBB167_739
.LBB167_633:
	s_or_b32 exec_lo, exec_lo, s0
	s_and_saveexec_b32 s0, vcc_lo
	s_cbranch_execnz .LBB167_740
.LBB167_634:
	s_or_b32 exec_lo, exec_lo, s0
	s_and_saveexec_b32 s0, vcc_lo
	s_cbranch_execnz .LBB167_741
.LBB167_635:
	s_or_b32 exec_lo, exec_lo, s0
	s_and_saveexec_b32 s0, vcc_lo
	s_cbranch_execnz .LBB167_742
.LBB167_636:
	s_or_b32 exec_lo, exec_lo, s0
	s_and_saveexec_b32 s0, vcc_lo
	s_cbranch_execz .LBB167_638
.LBB167_637:
	v_lshl_add_u32 v4, v1, 2, v12
	ds_load_b32 v4, v4 offset:960
	s_waitcnt lgkmcnt(0)
	v_add_f32_e32 v2, v4, v2
.LBB167_638:
	s_or_b32 exec_lo, exec_lo, s0
.LBB167_639:
	s_delay_alu instid0(SALU_CYCLE_1)
	s_or_b32 exec_lo, exec_lo, s2
	v_and_b32_e32 v4, 0x3e1, v30
	s_mov_b32 s2, exec_lo
	s_waitcnt vmcnt(0)
	s_barrier
	buffer_gl0_inv
	v_cmpx_eq_u32_e32 32, v4
	s_cbranch_execz .LBB167_641
; %bb.640:
	v_lshl_add_u32 v4, v1, 2, s1
	ds_store_2addr_b32 v4, v0, v20 offset1:16
	ds_store_2addr_b32 v4, v19, v18 offset0:32 offset1:48
	ds_store_2addr_b32 v4, v17, v16 offset0:64 offset1:80
	;; [unrolled: 1-line block ×7, first 2 shown]
.LBB167_641:
	s_or_b32 exec_lo, exec_lo, s2
	v_cmp_gt_u32_e64 s0, 32, v30
	s_waitcnt lgkmcnt(0)
	s_barrier
	buffer_gl0_inv
	s_and_saveexec_b32 s1, s0
	s_cbranch_execz .LBB167_660
; %bb.642:
	v_lshl_add_u32 v1, v1, 2, v12
	s_and_saveexec_b32 s2, vcc_lo
	s_cbranch_execnz .LBB167_743
; %bb.643:
	s_or_b32 exec_lo, exec_lo, s2
	s_and_saveexec_b32 s2, vcc_lo
	s_cbranch_execnz .LBB167_744
.LBB167_644:
	s_or_b32 exec_lo, exec_lo, s2
	s_and_saveexec_b32 s2, vcc_lo
	s_cbranch_execnz .LBB167_745
.LBB167_645:
	s_or_b32 exec_lo, exec_lo, s2
	s_and_saveexec_b32 s2, vcc_lo
	s_cbranch_execnz .LBB167_746
.LBB167_646:
	s_or_b32 exec_lo, exec_lo, s2
	s_and_saveexec_b32 s2, vcc_lo
	s_cbranch_execnz .LBB167_747
.LBB167_647:
	s_or_b32 exec_lo, exec_lo, s2
	s_and_saveexec_b32 s2, vcc_lo
	s_cbranch_execnz .LBB167_748
.LBB167_648:
	s_or_b32 exec_lo, exec_lo, s2
	s_and_saveexec_b32 s2, vcc_lo
	s_cbranch_execnz .LBB167_749
.LBB167_649:
	s_or_b32 exec_lo, exec_lo, s2
	s_and_saveexec_b32 s2, vcc_lo
	s_cbranch_execnz .LBB167_750
.LBB167_650:
	s_or_b32 exec_lo, exec_lo, s2
	s_and_saveexec_b32 s2, vcc_lo
	s_cbranch_execnz .LBB167_751
.LBB167_651:
	s_or_b32 exec_lo, exec_lo, s2
	s_and_saveexec_b32 s2, vcc_lo
	s_cbranch_execnz .LBB167_752
.LBB167_652:
	s_or_b32 exec_lo, exec_lo, s2
	s_and_saveexec_b32 s2, vcc_lo
	s_cbranch_execnz .LBB167_753
.LBB167_653:
	s_or_b32 exec_lo, exec_lo, s2
	s_and_saveexec_b32 s2, vcc_lo
	s_cbranch_execnz .LBB167_754
.LBB167_654:
	s_or_b32 exec_lo, exec_lo, s2
	s_and_saveexec_b32 s2, vcc_lo
	s_cbranch_execnz .LBB167_755
.LBB167_655:
	s_or_b32 exec_lo, exec_lo, s2
	s_and_saveexec_b32 s2, vcc_lo
	s_cbranch_execnz .LBB167_756
.LBB167_656:
	s_or_b32 exec_lo, exec_lo, s2
	s_and_saveexec_b32 s2, vcc_lo
	s_cbranch_execnz .LBB167_757
.LBB167_657:
	s_or_b32 exec_lo, exec_lo, s2
	s_and_saveexec_b32 s2, vcc_lo
	s_cbranch_execz .LBB167_659
.LBB167_658:
	ds_load_b32 v1, v1 offset:960
	s_waitcnt lgkmcnt(0)
	v_add_f32_e32 v2, v1, v2
.LBB167_659:
	s_or_b32 exec_lo, exec_lo, s2
.LBB167_660:
	s_delay_alu instid0(SALU_CYCLE_1)
	s_or_b32 exec_lo, exec_lo, s1
	s_barrier
	buffer_gl0_inv
	s_and_b32 exec_lo, exec_lo, s0
	s_cbranch_execz .LBB167_727
; %bb.661:
	s_and_b32 exec_lo, exec_lo, vcc_lo
	s_cbranch_execz .LBB167_727
; %bb.662:
	v_and_b32_e32 v1, 0x7f800000, v0
	s_mov_b32 s0, exec_lo
                                        ; implicit-def: $vgpr4
	s_delay_alu instid0(VALU_DEP_1)
	v_cmpx_ne_u32_e32 0x7f800000, v1
	s_xor_b32 s0, exec_lo, s0
; %bb.663:
	v_bfe_u32 v1, v0, 16, 1
	s_delay_alu instid0(VALU_DEP_1)
	v_add3_u32 v4, v0, v1, 0x7fff
                                        ; implicit-def: $vgpr0
; %bb.664:
	s_and_not1_saveexec_b32 s0, s0
; %bb.665:
	v_and_b32_e32 v1, 0xffff, v0
	v_or_b32_e32 v4, 0x10000, v0
	s_delay_alu instid0(VALU_DEP_2) | instskip(NEXT) | instid1(VALU_DEP_2)
	v_cmp_eq_u32_e32 vcc_lo, 0, v1
	v_cndmask_b32_e32 v4, v4, v0, vcc_lo
; %bb.666:
	s_or_b32 exec_lo, exec_lo, s0
	scratch_load_b32 v0, off, s32 offset:328 ; 4-byte Folded Reload
	s_mul_i32 s1, s4, s6
	s_mul_i32 s0, s10, s4
	;; [unrolled: 1-line block ×3, first 2 shown]
	s_lshl_b32 s2, s14, 8
	s_lshl_b32 s6, s1, 8
	s_ashr_i32 s1, s0, 31
	s_ashr_i32 s3, s2, 31
	;; [unrolled: 1-line block ×3, first 2 shown]
	s_lshl_b64 s[0:1], s[0:1], 1
	s_lshl_b64 s[2:3], s[2:3], 1
	;; [unrolled: 1-line block ×3, first 2 shown]
	s_add_u32 s0, s2, s0
	s_addc_u32 s1, s3, s1
	s_add_u32 s0, s0, s6
	s_addc_u32 s1, s1, s7
	v_add_co_u32 v1, vcc_lo, s0, v13
	v_add_co_ci_u32_e32 v5, vcc_lo, s1, v5, vcc_lo
	v_and_b32_e32 v12, 0x7f800000, v20
	s_mov_b32 s0, exec_lo
	s_waitcnt vmcnt(0)
	v_lshlrev_b32_e32 v0, 1, v0
	s_delay_alu instid0(VALU_DEP_1)
	v_add_co_u32 v0, vcc_lo, v1, v0
	v_add_co_ci_u32_e32 v1, vcc_lo, 0, v5, vcc_lo
	flat_store_d16_hi_b16 v[0:1], v4
                                        ; implicit-def: $vgpr4
	v_cmpx_ne_u32_e32 0x7f800000, v12
	s_xor_b32 s0, exec_lo, s0
; %bb.667:
	v_bfe_u32 v4, v20, 16, 1
	s_delay_alu instid0(VALU_DEP_1)
	v_add3_u32 v4, v20, v4, 0x7fff
                                        ; implicit-def: $vgpr20
; %bb.668:
	s_and_not1_saveexec_b32 s0, s0
; %bb.669:
	v_and_b32_e32 v4, 0xffff, v20
	v_or_b32_e32 v5, 0x10000, v20
	s_delay_alu instid0(VALU_DEP_2) | instskip(NEXT) | instid1(VALU_DEP_2)
	v_cmp_eq_u32_e32 vcc_lo, 0, v4
	v_cndmask_b32_e32 v4, v5, v20, vcc_lo
; %bb.670:
	s_or_b32 exec_lo, exec_lo, s0
	v_and_b32_e32 v5, 0x7f800000, v19
	s_mov_b32 s0, exec_lo
	flat_store_d16_hi_b16 v[0:1], v4 offset:32
                                        ; implicit-def: $vgpr4
	v_cmpx_ne_u32_e32 0x7f800000, v5
	s_xor_b32 s0, exec_lo, s0
; %bb.671:
	v_bfe_u32 v4, v19, 16, 1
	s_delay_alu instid0(VALU_DEP_1)
	v_add3_u32 v4, v19, v4, 0x7fff
                                        ; implicit-def: $vgpr19
; %bb.672:
	s_and_not1_saveexec_b32 s0, s0
; %bb.673:
	v_and_b32_e32 v4, 0xffff, v19
	v_or_b32_e32 v5, 0x10000, v19
	s_delay_alu instid0(VALU_DEP_2) | instskip(NEXT) | instid1(VALU_DEP_2)
	v_cmp_eq_u32_e32 vcc_lo, 0, v4
	v_cndmask_b32_e32 v4, v5, v19, vcc_lo
; %bb.674:
	s_or_b32 exec_lo, exec_lo, s0
	v_and_b32_e32 v5, 0x7f800000, v18
	s_mov_b32 s0, exec_lo
	flat_store_d16_hi_b16 v[0:1], v4 offset:64
                                        ; implicit-def: $vgpr4
	v_cmpx_ne_u32_e32 0x7f800000, v5
	s_xor_b32 s0, exec_lo, s0
; %bb.675:
	v_bfe_u32 v4, v18, 16, 1
	s_delay_alu instid0(VALU_DEP_1)
	v_add3_u32 v4, v18, v4, 0x7fff
                                        ; implicit-def: $vgpr18
; %bb.676:
	s_and_not1_saveexec_b32 s0, s0
; %bb.677:
	v_and_b32_e32 v4, 0xffff, v18
	v_or_b32_e32 v5, 0x10000, v18
	s_delay_alu instid0(VALU_DEP_2) | instskip(NEXT) | instid1(VALU_DEP_2)
	v_cmp_eq_u32_e32 vcc_lo, 0, v4
	v_cndmask_b32_e32 v4, v5, v18, vcc_lo
; %bb.678:
	s_or_b32 exec_lo, exec_lo, s0
	v_and_b32_e32 v5, 0x7f800000, v17
	s_mov_b32 s0, exec_lo
	flat_store_d16_hi_b16 v[0:1], v4 offset:96
                                        ; implicit-def: $vgpr4
	v_cmpx_ne_u32_e32 0x7f800000, v5
	s_xor_b32 s0, exec_lo, s0
; %bb.679:
	v_bfe_u32 v4, v17, 16, 1
	s_delay_alu instid0(VALU_DEP_1)
	v_add3_u32 v4, v17, v4, 0x7fff
                                        ; implicit-def: $vgpr17
; %bb.680:
	s_and_not1_saveexec_b32 s0, s0
; %bb.681:
	v_and_b32_e32 v4, 0xffff, v17
	v_or_b32_e32 v5, 0x10000, v17
	s_delay_alu instid0(VALU_DEP_2) | instskip(NEXT) | instid1(VALU_DEP_2)
	v_cmp_eq_u32_e32 vcc_lo, 0, v4
	v_cndmask_b32_e32 v4, v5, v17, vcc_lo
; %bb.682:
	s_or_b32 exec_lo, exec_lo, s0
	v_and_b32_e32 v5, 0x7f800000, v16
	s_mov_b32 s0, exec_lo
	flat_store_d16_hi_b16 v[0:1], v4 offset:128
                                        ; implicit-def: $vgpr4
	v_cmpx_ne_u32_e32 0x7f800000, v5
	s_xor_b32 s0, exec_lo, s0
; %bb.683:
	v_bfe_u32 v4, v16, 16, 1
	s_delay_alu instid0(VALU_DEP_1)
	v_add3_u32 v4, v16, v4, 0x7fff
                                        ; implicit-def: $vgpr16
; %bb.684:
	s_and_not1_saveexec_b32 s0, s0
; %bb.685:
	v_and_b32_e32 v4, 0xffff, v16
	v_or_b32_e32 v5, 0x10000, v16
	s_delay_alu instid0(VALU_DEP_2) | instskip(NEXT) | instid1(VALU_DEP_2)
	v_cmp_eq_u32_e32 vcc_lo, 0, v4
	v_cndmask_b32_e32 v4, v5, v16, vcc_lo
; %bb.686:
	s_or_b32 exec_lo, exec_lo, s0
	v_and_b32_e32 v5, 0x7f800000, v15
	s_mov_b32 s0, exec_lo
	flat_store_d16_hi_b16 v[0:1], v4 offset:160
                                        ; implicit-def: $vgpr4
	v_cmpx_ne_u32_e32 0x7f800000, v5
	s_xor_b32 s0, exec_lo, s0
; %bb.687:
	v_bfe_u32 v4, v15, 16, 1
	s_delay_alu instid0(VALU_DEP_1)
	v_add3_u32 v4, v15, v4, 0x7fff
                                        ; implicit-def: $vgpr15
; %bb.688:
	s_and_not1_saveexec_b32 s0, s0
; %bb.689:
	v_and_b32_e32 v4, 0xffff, v15
	v_or_b32_e32 v5, 0x10000, v15
	s_delay_alu instid0(VALU_DEP_2) | instskip(NEXT) | instid1(VALU_DEP_2)
	v_cmp_eq_u32_e32 vcc_lo, 0, v4
	v_cndmask_b32_e32 v4, v5, v15, vcc_lo
; %bb.690:
	s_or_b32 exec_lo, exec_lo, s0
	v_and_b32_e32 v5, 0x7f800000, v14
	s_mov_b32 s0, exec_lo
	flat_store_d16_hi_b16 v[0:1], v4 offset:192
                                        ; implicit-def: $vgpr4
	v_cmpx_ne_u32_e32 0x7f800000, v5
	s_xor_b32 s0, exec_lo, s0
; %bb.691:
	v_bfe_u32 v4, v14, 16, 1
	s_delay_alu instid0(VALU_DEP_1)
	v_add3_u32 v4, v14, v4, 0x7fff
                                        ; implicit-def: $vgpr14
; %bb.692:
	s_and_not1_saveexec_b32 s0, s0
; %bb.693:
	v_and_b32_e32 v4, 0xffff, v14
	v_or_b32_e32 v5, 0x10000, v14
	s_delay_alu instid0(VALU_DEP_2) | instskip(NEXT) | instid1(VALU_DEP_2)
	v_cmp_eq_u32_e32 vcc_lo, 0, v4
	v_cndmask_b32_e32 v4, v5, v14, vcc_lo
; %bb.694:
	s_or_b32 exec_lo, exec_lo, s0
	v_and_b32_e32 v5, 0x7f800000, v11
	s_mov_b32 s0, exec_lo
	flat_store_d16_hi_b16 v[0:1], v4 offset:224
                                        ; implicit-def: $vgpr4
	v_cmpx_ne_u32_e32 0x7f800000, v5
	s_xor_b32 s0, exec_lo, s0
; %bb.695:
	v_bfe_u32 v4, v11, 16, 1
	s_delay_alu instid0(VALU_DEP_1)
	v_add3_u32 v4, v11, v4, 0x7fff
                                        ; implicit-def: $vgpr11
; %bb.696:
	s_and_not1_saveexec_b32 s0, s0
; %bb.697:
	v_and_b32_e32 v4, 0xffff, v11
	v_or_b32_e32 v5, 0x10000, v11
	s_delay_alu instid0(VALU_DEP_2) | instskip(NEXT) | instid1(VALU_DEP_2)
	v_cmp_eq_u32_e32 vcc_lo, 0, v4
	v_cndmask_b32_e32 v4, v5, v11, vcc_lo
; %bb.698:
	s_or_b32 exec_lo, exec_lo, s0
	v_and_b32_e32 v5, 0x7f800000, v10
	s_mov_b32 s0, exec_lo
	flat_store_d16_hi_b16 v[0:1], v4 offset:256
                                        ; implicit-def: $vgpr4
	v_cmpx_ne_u32_e32 0x7f800000, v5
	s_xor_b32 s0, exec_lo, s0
; %bb.699:
	v_bfe_u32 v4, v10, 16, 1
	s_delay_alu instid0(VALU_DEP_1)
	v_add3_u32 v4, v10, v4, 0x7fff
                                        ; implicit-def: $vgpr10
; %bb.700:
	s_and_not1_saveexec_b32 s0, s0
; %bb.701:
	v_and_b32_e32 v4, 0xffff, v10
	v_or_b32_e32 v5, 0x10000, v10
	s_delay_alu instid0(VALU_DEP_2) | instskip(NEXT) | instid1(VALU_DEP_2)
	v_cmp_eq_u32_e32 vcc_lo, 0, v4
	v_cndmask_b32_e32 v4, v5, v10, vcc_lo
; %bb.702:
	s_or_b32 exec_lo, exec_lo, s0
	v_and_b32_e32 v5, 0x7f800000, v9
	s_mov_b32 s0, exec_lo
	flat_store_d16_hi_b16 v[0:1], v4 offset:288
                                        ; implicit-def: $vgpr4
	v_cmpx_ne_u32_e32 0x7f800000, v5
	s_xor_b32 s0, exec_lo, s0
; %bb.703:
	v_bfe_u32 v4, v9, 16, 1
	s_delay_alu instid0(VALU_DEP_1)
	v_add3_u32 v4, v9, v4, 0x7fff
                                        ; implicit-def: $vgpr9
; %bb.704:
	s_and_not1_saveexec_b32 s0, s0
; %bb.705:
	v_and_b32_e32 v4, 0xffff, v9
	v_or_b32_e32 v5, 0x10000, v9
	s_delay_alu instid0(VALU_DEP_2) | instskip(NEXT) | instid1(VALU_DEP_2)
	v_cmp_eq_u32_e32 vcc_lo, 0, v4
	v_cndmask_b32_e32 v4, v5, v9, vcc_lo
; %bb.706:
	s_or_b32 exec_lo, exec_lo, s0
	v_and_b32_e32 v5, 0x7f800000, v8
	s_mov_b32 s0, exec_lo
	flat_store_d16_hi_b16 v[0:1], v4 offset:320
                                        ; implicit-def: $vgpr4
	v_cmpx_ne_u32_e32 0x7f800000, v5
	s_xor_b32 s0, exec_lo, s0
; %bb.707:
	v_bfe_u32 v4, v8, 16, 1
	s_delay_alu instid0(VALU_DEP_1)
	v_add3_u32 v4, v8, v4, 0x7fff
                                        ; implicit-def: $vgpr8
; %bb.708:
	s_and_not1_saveexec_b32 s0, s0
; %bb.709:
	v_and_b32_e32 v4, 0xffff, v8
	v_or_b32_e32 v5, 0x10000, v8
	s_delay_alu instid0(VALU_DEP_2) | instskip(NEXT) | instid1(VALU_DEP_2)
	v_cmp_eq_u32_e32 vcc_lo, 0, v4
	v_cndmask_b32_e32 v4, v5, v8, vcc_lo
; %bb.710:
	s_or_b32 exec_lo, exec_lo, s0
	v_and_b32_e32 v5, 0x7f800000, v7
	s_mov_b32 s0, exec_lo
	flat_store_d16_hi_b16 v[0:1], v4 offset:352
                                        ; implicit-def: $vgpr4
	v_cmpx_ne_u32_e32 0x7f800000, v5
	s_xor_b32 s0, exec_lo, s0
; %bb.711:
	v_bfe_u32 v4, v7, 16, 1
	s_delay_alu instid0(VALU_DEP_1)
	v_add3_u32 v4, v7, v4, 0x7fff
                                        ; implicit-def: $vgpr7
; %bb.712:
	s_and_not1_saveexec_b32 s0, s0
; %bb.713:
	v_and_b32_e32 v4, 0xffff, v7
	v_or_b32_e32 v5, 0x10000, v7
	s_delay_alu instid0(VALU_DEP_2) | instskip(NEXT) | instid1(VALU_DEP_2)
	v_cmp_eq_u32_e32 vcc_lo, 0, v4
	v_cndmask_b32_e32 v4, v5, v7, vcc_lo
; %bb.714:
	s_or_b32 exec_lo, exec_lo, s0
	v_and_b32_e32 v5, 0x7f800000, v6
	s_mov_b32 s0, exec_lo
	flat_store_d16_hi_b16 v[0:1], v4 offset:384
                                        ; implicit-def: $vgpr4
	v_cmpx_ne_u32_e32 0x7f800000, v5
	s_xor_b32 s0, exec_lo, s0
; %bb.715:
	v_bfe_u32 v4, v6, 16, 1
	s_delay_alu instid0(VALU_DEP_1)
	v_add3_u32 v4, v6, v4, 0x7fff
                                        ; implicit-def: $vgpr6
; %bb.716:
	s_and_not1_saveexec_b32 s0, s0
; %bb.717:
	v_and_b32_e32 v4, 0xffff, v6
	v_or_b32_e32 v5, 0x10000, v6
	s_delay_alu instid0(VALU_DEP_2) | instskip(NEXT) | instid1(VALU_DEP_2)
	v_cmp_eq_u32_e32 vcc_lo, 0, v4
	v_cndmask_b32_e32 v4, v5, v6, vcc_lo
; %bb.718:
	s_or_b32 exec_lo, exec_lo, s0
	v_and_b32_e32 v5, 0x7f800000, v3
	s_mov_b32 s0, exec_lo
	flat_store_d16_hi_b16 v[0:1], v4 offset:416
                                        ; implicit-def: $vgpr4
	v_cmpx_ne_u32_e32 0x7f800000, v5
	s_xor_b32 s0, exec_lo, s0
; %bb.719:
	v_bfe_u32 v4, v3, 16, 1
	s_delay_alu instid0(VALU_DEP_1)
	v_add3_u32 v4, v3, v4, 0x7fff
                                        ; implicit-def: $vgpr3
; %bb.720:
	s_and_not1_saveexec_b32 s0, s0
; %bb.721:
	v_and_b32_e32 v4, 0xffff, v3
	v_or_b32_e32 v5, 0x10000, v3
	s_delay_alu instid0(VALU_DEP_2) | instskip(NEXT) | instid1(VALU_DEP_2)
	v_cmp_eq_u32_e32 vcc_lo, 0, v4
	v_cndmask_b32_e32 v4, v5, v3, vcc_lo
; %bb.722:
	s_or_b32 exec_lo, exec_lo, s0
	v_and_b32_e32 v3, 0x7f800000, v2
	flat_store_d16_hi_b16 v[0:1], v4 offset:448
	v_cmp_ne_u32_e32 vcc_lo, 0x7f800000, v3
                                        ; implicit-def: $vgpr3
	s_and_saveexec_b32 s0, vcc_lo
	s_delay_alu instid0(SALU_CYCLE_1)
	s_xor_b32 s0, exec_lo, s0
; %bb.723:
	v_bfe_u32 v3, v2, 16, 1
	s_delay_alu instid0(VALU_DEP_1)
	v_add3_u32 v3, v2, v3, 0x7fff
                                        ; implicit-def: $vgpr2
; %bb.724:
	s_and_not1_saveexec_b32 s0, s0
; %bb.725:
	v_and_b32_e32 v3, 0xffff, v2
	v_or_b32_e32 v4, 0x10000, v2
	s_delay_alu instid0(VALU_DEP_2) | instskip(NEXT) | instid1(VALU_DEP_2)
	v_cmp_eq_u32_e32 vcc_lo, 0, v3
	v_cndmask_b32_e32 v3, v4, v2, vcc_lo
; %bb.726:
	s_or_b32 exec_lo, exec_lo, s0
	flat_store_d16_hi_b16 v[0:1], v3 offset:480
.LBB167_727:
	s_or_b32 exec_lo, exec_lo, s5
	s_clause 0x1f
	scratch_load_b32 v191, off, s32
	scratch_load_b32 v190, off, s32 offset:4
	scratch_load_b32 v189, off, s32 offset:8
	;; [unrolled: 1-line block ×31, first 2 shown]
	s_clause 0x1f
	scratch_load_b32 v127, off, s32 offset:128
	scratch_load_b32 v126, off, s32 offset:132
	;; [unrolled: 1-line block ×32, first 2 shown]
	s_clause 0xf
	scratch_load_b32 v63, off, s32 offset:256
	scratch_load_b32 v62, off, s32 offset:260
	;; [unrolled: 1-line block ×16, first 2 shown]
	s_waitcnt vmcnt(0) lgkmcnt(0)
	s_setpc_b64 s[30:31]
.LBB167_728:
	v_lshl_add_u32 v4, v1, 2, v12
	ds_load_b32 v4, v4
	s_waitcnt lgkmcnt(0)
	v_add_f32_e32 v0, v4, v0
	s_or_b32 exec_lo, exec_lo, s0
	s_and_saveexec_b32 s0, vcc_lo
	s_cbranch_execz .LBB167_623
.LBB167_729:
	v_lshl_add_u32 v4, v1, 2, v12
	ds_load_b32 v4, v4 offset:64
	s_waitcnt lgkmcnt(0)
	v_add_f32_e32 v20, v4, v20
	s_or_b32 exec_lo, exec_lo, s0
	s_and_saveexec_b32 s0, vcc_lo
	s_cbranch_execz .LBB167_624
.LBB167_730:
	v_lshl_add_u32 v4, v1, 2, v12
	ds_load_b32 v4, v4 offset:128
	s_waitcnt lgkmcnt(0)
	v_add_f32_e32 v19, v4, v19
	s_or_b32 exec_lo, exec_lo, s0
	s_and_saveexec_b32 s0, vcc_lo
	s_cbranch_execz .LBB167_625
.LBB167_731:
	v_lshl_add_u32 v4, v1, 2, v12
	ds_load_b32 v4, v4 offset:192
	s_waitcnt lgkmcnt(0)
	v_add_f32_e32 v18, v4, v18
	s_or_b32 exec_lo, exec_lo, s0
	s_and_saveexec_b32 s0, vcc_lo
	s_cbranch_execz .LBB167_626
.LBB167_732:
	v_lshl_add_u32 v4, v1, 2, v12
	ds_load_b32 v4, v4 offset:256
	s_waitcnt lgkmcnt(0)
	v_add_f32_e32 v17, v4, v17
	s_or_b32 exec_lo, exec_lo, s0
	s_and_saveexec_b32 s0, vcc_lo
	s_cbranch_execz .LBB167_627
.LBB167_733:
	v_lshl_add_u32 v4, v1, 2, v12
	ds_load_b32 v4, v4 offset:320
	s_waitcnt lgkmcnt(0)
	v_add_f32_e32 v16, v4, v16
	s_or_b32 exec_lo, exec_lo, s0
	s_and_saveexec_b32 s0, vcc_lo
	s_cbranch_execz .LBB167_628
.LBB167_734:
	v_lshl_add_u32 v4, v1, 2, v12
	ds_load_b32 v4, v4 offset:384
	s_waitcnt lgkmcnt(0)
	v_add_f32_e32 v15, v4, v15
	s_or_b32 exec_lo, exec_lo, s0
	s_and_saveexec_b32 s0, vcc_lo
	s_cbranch_execz .LBB167_629
.LBB167_735:
	v_lshl_add_u32 v4, v1, 2, v12
	ds_load_b32 v4, v4 offset:448
	s_waitcnt lgkmcnt(0)
	v_add_f32_e32 v14, v4, v14
	s_or_b32 exec_lo, exec_lo, s0
	s_and_saveexec_b32 s0, vcc_lo
	s_cbranch_execz .LBB167_630
.LBB167_736:
	v_lshl_add_u32 v4, v1, 2, v12
	ds_load_b32 v4, v4 offset:512
	s_waitcnt lgkmcnt(0)
	v_add_f32_e32 v11, v4, v11
	s_or_b32 exec_lo, exec_lo, s0
	s_and_saveexec_b32 s0, vcc_lo
	s_cbranch_execz .LBB167_631
.LBB167_737:
	v_lshl_add_u32 v4, v1, 2, v12
	ds_load_b32 v4, v4 offset:576
	s_waitcnt lgkmcnt(0)
	v_add_f32_e32 v10, v4, v10
	s_or_b32 exec_lo, exec_lo, s0
	s_and_saveexec_b32 s0, vcc_lo
	s_cbranch_execz .LBB167_632
.LBB167_738:
	v_lshl_add_u32 v4, v1, 2, v12
	ds_load_b32 v4, v4 offset:640
	s_waitcnt lgkmcnt(0)
	v_add_f32_e32 v9, v4, v9
	s_or_b32 exec_lo, exec_lo, s0
	s_and_saveexec_b32 s0, vcc_lo
	s_cbranch_execz .LBB167_633
.LBB167_739:
	v_lshl_add_u32 v4, v1, 2, v12
	ds_load_b32 v4, v4 offset:704
	s_waitcnt lgkmcnt(0)
	v_add_f32_e32 v8, v4, v8
	s_or_b32 exec_lo, exec_lo, s0
	s_and_saveexec_b32 s0, vcc_lo
	s_cbranch_execz .LBB167_634
.LBB167_740:
	v_lshl_add_u32 v4, v1, 2, v12
	ds_load_b32 v4, v4 offset:768
	s_waitcnt lgkmcnt(0)
	v_add_f32_e32 v7, v4, v7
	s_or_b32 exec_lo, exec_lo, s0
	s_and_saveexec_b32 s0, vcc_lo
	s_cbranch_execz .LBB167_635
.LBB167_741:
	v_lshl_add_u32 v4, v1, 2, v12
	ds_load_b32 v4, v4 offset:832
	s_waitcnt lgkmcnt(0)
	v_add_f32_e32 v6, v4, v6
	s_or_b32 exec_lo, exec_lo, s0
	s_and_saveexec_b32 s0, vcc_lo
	s_cbranch_execz .LBB167_636
.LBB167_742:
	v_lshl_add_u32 v4, v1, 2, v12
	ds_load_b32 v4, v4 offset:896
	s_waitcnt lgkmcnt(0)
	v_add_f32_e32 v3, v4, v3
	s_or_b32 exec_lo, exec_lo, s0
	s_and_saveexec_b32 s0, vcc_lo
	s_cbranch_execnz .LBB167_637
	s_branch .LBB167_638
.LBB167_743:
	ds_load_b32 v4, v1
	s_waitcnt lgkmcnt(0)
	v_add_f32_e32 v0, v4, v0
	s_or_b32 exec_lo, exec_lo, s2
	s_and_saveexec_b32 s2, vcc_lo
	s_cbranch_execz .LBB167_644
.LBB167_744:
	ds_load_b32 v4, v1 offset:64
	s_waitcnt lgkmcnt(0)
	v_add_f32_e32 v20, v4, v20
	s_or_b32 exec_lo, exec_lo, s2
	s_and_saveexec_b32 s2, vcc_lo
	s_cbranch_execz .LBB167_645
.LBB167_745:
	ds_load_b32 v4, v1 offset:128
	s_waitcnt lgkmcnt(0)
	v_add_f32_e32 v19, v4, v19
	s_or_b32 exec_lo, exec_lo, s2
	s_and_saveexec_b32 s2, vcc_lo
	s_cbranch_execz .LBB167_646
.LBB167_746:
	ds_load_b32 v4, v1 offset:192
	s_waitcnt lgkmcnt(0)
	v_add_f32_e32 v18, v4, v18
	s_or_b32 exec_lo, exec_lo, s2
	s_and_saveexec_b32 s2, vcc_lo
	s_cbranch_execz .LBB167_647
.LBB167_747:
	ds_load_b32 v4, v1 offset:256
	s_waitcnt lgkmcnt(0)
	v_add_f32_e32 v17, v4, v17
	s_or_b32 exec_lo, exec_lo, s2
	s_and_saveexec_b32 s2, vcc_lo
	s_cbranch_execz .LBB167_648
.LBB167_748:
	ds_load_b32 v4, v1 offset:320
	s_waitcnt lgkmcnt(0)
	v_add_f32_e32 v16, v4, v16
	s_or_b32 exec_lo, exec_lo, s2
	s_and_saveexec_b32 s2, vcc_lo
	s_cbranch_execz .LBB167_649
.LBB167_749:
	ds_load_b32 v4, v1 offset:384
	s_waitcnt lgkmcnt(0)
	v_add_f32_e32 v15, v4, v15
	s_or_b32 exec_lo, exec_lo, s2
	s_and_saveexec_b32 s2, vcc_lo
	s_cbranch_execz .LBB167_650
.LBB167_750:
	ds_load_b32 v4, v1 offset:448
	s_waitcnt lgkmcnt(0)
	v_add_f32_e32 v14, v4, v14
	s_or_b32 exec_lo, exec_lo, s2
	s_and_saveexec_b32 s2, vcc_lo
	s_cbranch_execz .LBB167_651
.LBB167_751:
	ds_load_b32 v4, v1 offset:512
	s_waitcnt lgkmcnt(0)
	v_add_f32_e32 v11, v4, v11
	s_or_b32 exec_lo, exec_lo, s2
	s_and_saveexec_b32 s2, vcc_lo
	s_cbranch_execz .LBB167_652
.LBB167_752:
	ds_load_b32 v4, v1 offset:576
	s_waitcnt lgkmcnt(0)
	v_add_f32_e32 v10, v4, v10
	s_or_b32 exec_lo, exec_lo, s2
	s_and_saveexec_b32 s2, vcc_lo
	s_cbranch_execz .LBB167_653
.LBB167_753:
	ds_load_b32 v4, v1 offset:640
	s_waitcnt lgkmcnt(0)
	v_add_f32_e32 v9, v4, v9
	s_or_b32 exec_lo, exec_lo, s2
	s_and_saveexec_b32 s2, vcc_lo
	s_cbranch_execz .LBB167_654
.LBB167_754:
	ds_load_b32 v4, v1 offset:704
	s_waitcnt lgkmcnt(0)
	v_add_f32_e32 v8, v4, v8
	s_or_b32 exec_lo, exec_lo, s2
	s_and_saveexec_b32 s2, vcc_lo
	s_cbranch_execz .LBB167_655
.LBB167_755:
	ds_load_b32 v4, v1 offset:768
	s_waitcnt lgkmcnt(0)
	v_add_f32_e32 v7, v4, v7
	s_or_b32 exec_lo, exec_lo, s2
	s_and_saveexec_b32 s2, vcc_lo
	s_cbranch_execz .LBB167_656
.LBB167_756:
	ds_load_b32 v4, v1 offset:832
	s_waitcnt lgkmcnt(0)
	v_add_f32_e32 v6, v4, v6
	s_or_b32 exec_lo, exec_lo, s2
	s_and_saveexec_b32 s2, vcc_lo
	s_cbranch_execz .LBB167_657
.LBB167_757:
	ds_load_b32 v4, v1 offset:896
	s_waitcnt lgkmcnt(0)
	v_add_f32_e32 v3, v4, v3
	s_or_b32 exec_lo, exec_lo, s2
	s_and_saveexec_b32 s2, vcc_lo
	s_cbranch_execnz .LBB167_658
	s_branch .LBB167_659
.Lfunc_end167:
	.size	_ZN4vllm22paged_attention_kernelI14__hip_bfloat16S1_Li256ELi16ELi128ELNS_18Fp8KVCacheDataTypeE0ELb1ELi512EEEvPfS3_PT_PKS4_PKT0_SA_ifPKiSC_iPKfiiiSE_SE_iiiii, .Lfunc_end167-_ZN4vllm22paged_attention_kernelI14__hip_bfloat16S1_Li256ELi16ELi128ELNS_18Fp8KVCacheDataTypeE0ELb1ELi512EEEvPfS3_PT_PKS4_PKT0_SA_ifPKiSC_iPKfiiiSE_SE_iiiii
                                        ; -- End function
	.section	.AMDGPU.csdata,"",@progbits
; Function info:
; codeLenInByte = 31840
; NumSgprs: 35
; NumVgprs: 192
; ScratchSize: 336
; MemoryBound: 0
	.section	.text._ZN4vllm25paged_attention_v2_kernelI14__hip_bfloat16S1_Li256ELi16ELi128ELNS_18Fp8KVCacheDataTypeE0ELb1ELi512EEEvPfS3_PT_PKS4_PKT0_SA_ifPKiSC_iPKfiiiSE_SE_iiiii,"axG",@progbits,_ZN4vllm25paged_attention_v2_kernelI14__hip_bfloat16S1_Li256ELi16ELi128ELNS_18Fp8KVCacheDataTypeE0ELb1ELi512EEEvPfS3_PT_PKS4_PKT0_SA_ifPKiSC_iPKfiiiSE_SE_iiiii,comdat
	.protected	_ZN4vllm25paged_attention_v2_kernelI14__hip_bfloat16S1_Li256ELi16ELi128ELNS_18Fp8KVCacheDataTypeE0ELb1ELi512EEEvPfS3_PT_PKS4_PKT0_SA_ifPKiSC_iPKfiiiSE_SE_iiiii ; -- Begin function _ZN4vllm25paged_attention_v2_kernelI14__hip_bfloat16S1_Li256ELi16ELi128ELNS_18Fp8KVCacheDataTypeE0ELb1ELi512EEEvPfS3_PT_PKS4_PKT0_SA_ifPKiSC_iPKfiiiSE_SE_iiiii
	.globl	_ZN4vllm25paged_attention_v2_kernelI14__hip_bfloat16S1_Li256ELi16ELi128ELNS_18Fp8KVCacheDataTypeE0ELb1ELi512EEEvPfS3_PT_PKS4_PKT0_SA_ifPKiSC_iPKfiiiSE_SE_iiiii
	.p2align	8
	.type	_ZN4vllm25paged_attention_v2_kernelI14__hip_bfloat16S1_Li256ELi16ELi128ELNS_18Fp8KVCacheDataTypeE0ELb1ELi512EEEvPfS3_PT_PKS4_PKT0_SA_ifPKiSC_iPKfiiiSE_SE_iiiii,@function
_ZN4vllm25paged_attention_v2_kernelI14__hip_bfloat16S1_Li256ELi16ELi128ELNS_18Fp8KVCacheDataTypeE0ELb1ELi512EEEvPfS3_PT_PKS4_PKT0_SA_ifPKiSC_iPKfiiiSE_SE_iiiii: ; @_ZN4vllm25paged_attention_v2_kernelI14__hip_bfloat16S1_Li256ELi16ELi128ELNS_18Fp8KVCacheDataTypeE0ELb1ELi512EEEvPfS3_PT_PKS4_PKT0_SA_ifPKiSC_iPKfiiiSE_SE_iiiii
; %bb.0:
	s_mov_b32 s12, s13
	s_clause 0x7
	s_load_b256 s[24:31], s[0:1], 0x0
	s_load_b256 s[16:23], s[0:1], 0x20
	s_load_b64 s[2:3], s[0:1], 0x40
	s_load_b64 s[10:11], s[0:1], 0x50
	s_load_b32 s13, s[0:1], 0x48
	s_load_b32 s33, s[0:1], 0x88
	s_load_b128 s[36:39], s[0:1], 0x58
	s_load_b128 s[4:7], s[0:1], 0x78
	v_mov_b32_e32 v31, v0
	s_add_u32 s8, s0, 0x90
	s_addc_u32 s9, s1, 0
	s_mov_b32 s32, 0
	s_getpc_b64 s[0:1]
	s_add_u32 s0, s0, _ZN4vllm22paged_attention_kernelI14__hip_bfloat16S1_Li256ELi16ELi128ELNS_18Fp8KVCacheDataTypeE0ELb1ELi512EEEvPfS3_PT_PKS4_PKT0_SA_ifPKiSC_iPKfiiiSE_SE_iiiii@rel32@lo+4
	s_addc_u32 s1, s1, _ZN4vllm22paged_attention_kernelI14__hip_bfloat16S1_Li256ELi16ELi128ELNS_18Fp8KVCacheDataTypeE0ELb1ELi512EEEvPfS3_PT_PKS4_PKT0_SA_ifPKiSC_iPKfiiiSE_SE_iiiii@rel32@hi+12
	s_waitcnt lgkmcnt(0)
	v_dual_mov_b32 v0, s24 :: v_dual_mov_b32 v1, s25
	v_dual_mov_b32 v2, s26 :: v_dual_mov_b32 v3, s27
	;; [unrolled: 1-line block ×14, first 2 shown]
	v_mov_b32_e32 v28, s33
	s_mov_b32 s13, s14
	s_mov_b32 s14, s15
	;; [unrolled: 1-line block ×3, first 2 shown]
	s_swappc_b64 s[30:31], s[0:1]
	s_endpgm
	.section	.rodata,"a",@progbits
	.p2align	6, 0x0
	.amdhsa_kernel _ZN4vllm25paged_attention_v2_kernelI14__hip_bfloat16S1_Li256ELi16ELi128ELNS_18Fp8KVCacheDataTypeE0ELb1ELi512EEEvPfS3_PT_PKS4_PKT0_SA_ifPKiSC_iPKfiiiSE_SE_iiiii
		.amdhsa_group_segment_fixed_size 544
		.amdhsa_private_segment_fixed_size 336
		.amdhsa_kernarg_size 400
		.amdhsa_user_sgpr_count 13
		.amdhsa_user_sgpr_dispatch_ptr 0
		.amdhsa_user_sgpr_queue_ptr 0
		.amdhsa_user_sgpr_kernarg_segment_ptr 1
		.amdhsa_user_sgpr_dispatch_id 0
		.amdhsa_user_sgpr_private_segment_size 0
		.amdhsa_wavefront_size32 1
		.amdhsa_uses_dynamic_stack 0
		.amdhsa_enable_private_segment 1
		.amdhsa_system_sgpr_workgroup_id_x 1
		.amdhsa_system_sgpr_workgroup_id_y 1
		.amdhsa_system_sgpr_workgroup_id_z 1
		.amdhsa_system_sgpr_workgroup_info 0
		.amdhsa_system_vgpr_workitem_id 0
		.amdhsa_next_free_vgpr 192
		.amdhsa_next_free_sgpr 40
		.amdhsa_reserve_vcc 1
		.amdhsa_float_round_mode_32 0
		.amdhsa_float_round_mode_16_64 0
		.amdhsa_float_denorm_mode_32 3
		.amdhsa_float_denorm_mode_16_64 3
		.amdhsa_dx10_clamp 1
		.amdhsa_ieee_mode 1
		.amdhsa_fp16_overflow 0
		.amdhsa_workgroup_processor_mode 1
		.amdhsa_memory_ordered 1
		.amdhsa_forward_progress 0
		.amdhsa_shared_vgpr_count 0
		.amdhsa_exception_fp_ieee_invalid_op 0
		.amdhsa_exception_fp_denorm_src 0
		.amdhsa_exception_fp_ieee_div_zero 0
		.amdhsa_exception_fp_ieee_overflow 0
		.amdhsa_exception_fp_ieee_underflow 0
		.amdhsa_exception_fp_ieee_inexact 0
		.amdhsa_exception_int_div_zero 0
	.end_amdhsa_kernel
	.section	.text._ZN4vllm25paged_attention_v2_kernelI14__hip_bfloat16S1_Li256ELi16ELi128ELNS_18Fp8KVCacheDataTypeE0ELb1ELi512EEEvPfS3_PT_PKS4_PKT0_SA_ifPKiSC_iPKfiiiSE_SE_iiiii,"axG",@progbits,_ZN4vllm25paged_attention_v2_kernelI14__hip_bfloat16S1_Li256ELi16ELi128ELNS_18Fp8KVCacheDataTypeE0ELb1ELi512EEEvPfS3_PT_PKS4_PKT0_SA_ifPKiSC_iPKfiiiSE_SE_iiiii,comdat
.Lfunc_end168:
	.size	_ZN4vllm25paged_attention_v2_kernelI14__hip_bfloat16S1_Li256ELi16ELi128ELNS_18Fp8KVCacheDataTypeE0ELb1ELi512EEEvPfS3_PT_PKS4_PKT0_SA_ifPKiSC_iPKfiiiSE_SE_iiiii, .Lfunc_end168-_ZN4vllm25paged_attention_v2_kernelI14__hip_bfloat16S1_Li256ELi16ELi128ELNS_18Fp8KVCacheDataTypeE0ELb1ELi512EEEvPfS3_PT_PKS4_PKT0_SA_ifPKiSC_iPKfiiiSE_SE_iiiii
                                        ; -- End function
	.section	.AMDGPU.csdata,"",@progbits
; Kernel info:
; codeLenInByte = 252
; NumSgprs: 42
; NumVgprs: 192
; ScratchSize: 336
; MemoryBound: 0
; FloatMode: 240
; IeeeMode: 1
; LDSByteSize: 544 bytes/workgroup (compile time only)
; SGPRBlocks: 5
; VGPRBlocks: 23
; NumSGPRsForWavesPerEU: 42
; NumVGPRsForWavesPerEU: 192
; Occupancy: 8
; WaveLimiterHint : 1
; COMPUTE_PGM_RSRC2:SCRATCH_EN: 1
; COMPUTE_PGM_RSRC2:USER_SGPR: 13
; COMPUTE_PGM_RSRC2:TRAP_HANDLER: 0
; COMPUTE_PGM_RSRC2:TGID_X_EN: 1
; COMPUTE_PGM_RSRC2:TGID_Y_EN: 1
; COMPUTE_PGM_RSRC2:TGID_Z_EN: 1
; COMPUTE_PGM_RSRC2:TIDIG_COMP_CNT: 0
	.section	.text._ZN4vllm25paged_attention_v2_kernelI14__hip_bfloat16S1_Li32ELi16ELi128ELNS_18Fp8KVCacheDataTypeE0ELb0ELi512EEEvPfS3_PT_PKS4_PKT0_SA_ifPKiSC_iPKfiiiSE_SE_iiiii,"axG",@progbits,_ZN4vllm25paged_attention_v2_kernelI14__hip_bfloat16S1_Li32ELi16ELi128ELNS_18Fp8KVCacheDataTypeE0ELb0ELi512EEEvPfS3_PT_PKS4_PKT0_SA_ifPKiSC_iPKfiiiSE_SE_iiiii,comdat
	.protected	_ZN4vllm25paged_attention_v2_kernelI14__hip_bfloat16S1_Li32ELi16ELi128ELNS_18Fp8KVCacheDataTypeE0ELb0ELi512EEEvPfS3_PT_PKS4_PKT0_SA_ifPKiSC_iPKfiiiSE_SE_iiiii ; -- Begin function _ZN4vllm25paged_attention_v2_kernelI14__hip_bfloat16S1_Li32ELi16ELi128ELNS_18Fp8KVCacheDataTypeE0ELb0ELi512EEEvPfS3_PT_PKS4_PKT0_SA_ifPKiSC_iPKfiiiSE_SE_iiiii
	.globl	_ZN4vllm25paged_attention_v2_kernelI14__hip_bfloat16S1_Li32ELi16ELi128ELNS_18Fp8KVCacheDataTypeE0ELb0ELi512EEEvPfS3_PT_PKS4_PKT0_SA_ifPKiSC_iPKfiiiSE_SE_iiiii
	.p2align	8
	.type	_ZN4vllm25paged_attention_v2_kernelI14__hip_bfloat16S1_Li32ELi16ELi128ELNS_18Fp8KVCacheDataTypeE0ELb0ELi512EEEvPfS3_PT_PKS4_PKT0_SA_ifPKiSC_iPKfiiiSE_SE_iiiii,@function
_ZN4vllm25paged_attention_v2_kernelI14__hip_bfloat16S1_Li32ELi16ELi128ELNS_18Fp8KVCacheDataTypeE0ELb0ELi512EEEvPfS3_PT_PKS4_PKT0_SA_ifPKiSC_iPKfiiiSE_SE_iiiii: ; @_ZN4vllm25paged_attention_v2_kernelI14__hip_bfloat16S1_Li32ELi16ELi128ELNS_18Fp8KVCacheDataTypeE0ELb0ELi512EEEvPfS3_PT_PKS4_PKT0_SA_ifPKiSC_iPKfiiiSE_SE_iiiii
; %bb.0:
	s_load_b64 s[2:3], s[0:1], 0x40
	s_mov_b32 s18, s15
	s_ashr_i32 s15, s14, 31
	s_delay_alu instid0(SALU_CYCLE_1)
	s_lshl_b64 s[4:5], s[14:15], 2
	s_waitcnt lgkmcnt(0)
	s_add_u32 s2, s2, s4
	s_addc_u32 s3, s3, s5
	s_lshl_b32 s31, s18, 9
	s_load_b32 s30, s[2:3], 0x0
	s_waitcnt lgkmcnt(0)
	s_cmp_ge_i32 s31, s30
	s_cbranch_scc1 .LBB169_161
; %bb.1:
	s_clause 0x1
	s_load_b32 s15, s[0:1], 0x90
	s_load_b64 s[28:29], s[0:1], 0x30
	s_mov_b32 s20, s13
	s_mov_b32 s19, 0
	s_waitcnt lgkmcnt(0)
	s_abs_i32 s5, s15
	s_abs_i32 s2, s28
	s_delay_alu instid0(SALU_CYCLE_1) | instskip(SKIP_1) | instid1(VALU_DEP_1)
	v_cvt_f32_u32_e32 v1, s2
	s_sub_i32 s4, 0, s2
	v_rcp_iflag_f32_e32 v1, v1
	s_waitcnt_depctr 0xfff
	v_mul_f32_e32 v1, 0x4f7ffffe, v1
	s_delay_alu instid0(VALU_DEP_1) | instskip(NEXT) | instid1(VALU_DEP_1)
	v_cvt_u32_f32_e32 v1, v1
	v_readfirstlane_b32 s3, v1
	s_delay_alu instid0(VALU_DEP_1) | instskip(NEXT) | instid1(SALU_CYCLE_1)
	s_mul_i32 s4, s4, s3
	s_mul_hi_u32 s4, s3, s4
	s_delay_alu instid0(SALU_CYCLE_1) | instskip(SKIP_4) | instid1(SALU_CYCLE_1)
	s_add_i32 s3, s3, s4
	s_xor_b32 s4, s15, s28
	s_mul_hi_u32 s3, s5, s3
	s_ashr_i32 s4, s4, 31
	s_mul_i32 s6, s3, s2
	s_sub_i32 s5, s5, s6
	s_add_i32 s6, s3, 1
	s_sub_i32 s7, s5, s2
	s_cmp_ge_u32 s5, s2
	s_cselect_b32 s3, s6, s3
	s_cselect_b32 s5, s7, s5
	s_add_i32 s6, s3, 1
	s_cmp_ge_u32 s5, s2
	s_cselect_b32 s2, s6, s3
	s_abs_i32 s10, s13
	s_xor_b32 s2, s2, s4
	s_delay_alu instid0(SALU_CYCLE_1) | instskip(SKIP_2) | instid1(SALU_CYCLE_1)
	s_sub_i32 s11, s2, s4
	s_load_b64 s[2:3], s[0:1], 0x50
	s_abs_i32 s8, s11
	v_cvt_f32_u32_e32 v1, s8
	s_sub_i32 s5, 0, s8
	s_delay_alu instid0(VALU_DEP_1) | instskip(SKIP_2) | instid1(VALU_DEP_1)
	v_rcp_iflag_f32_e32 v1, v1
	s_waitcnt_depctr 0xfff
	v_mul_f32_e32 v1, 0x4f7ffffe, v1
	v_cvt_u32_f32_e32 v1, v1
	s_delay_alu instid0(VALU_DEP_1) | instskip(NEXT) | instid1(VALU_DEP_1)
	v_readfirstlane_b32 s4, v1
	s_mul_i32 s5, s5, s4
	s_delay_alu instid0(SALU_CYCLE_1) | instskip(NEXT) | instid1(SALU_CYCLE_1)
	s_mul_hi_u32 s5, s4, s5
	s_add_i32 s4, s4, s5
	s_waitcnt lgkmcnt(0)
	s_cmp_eq_u64 s[2:3], 0
	s_mul_hi_u32 s9, s10, s4
	s_cbranch_scc1 .LBB169_3
; %bb.2:
	s_ashr_i32 s21, s20, 31
	s_delay_alu instid0(SALU_CYCLE_1) | instskip(NEXT) | instid1(SALU_CYCLE_1)
	s_lshl_b64 s[4:5], s[20:21], 2
	s_add_u32 s2, s2, s4
	s_addc_u32 s3, s3, s5
	s_load_b32 s19, s[2:3], 0x0
.LBB169_3:
	s_load_b128 s[4:7], s[0:1], 0x58
	v_lshrrev_b32_e32 v12, 1, v0
	v_and_b32_e32 v13, 1, v0
	v_lshlrev_b32_e32 v3, 3, v0
	s_ashr_i32 s2, s20, 31
	s_ashr_i32 s3, s11, 31
	s_lshl_b32 s12, s20, 5
	s_waitcnt lgkmcnt(0)
	s_mov_b32 s7, exec_lo
	v_cmpx_gt_u32_e32 8, v0
	s_cbranch_execz .LBB169_5
; %bb.4:
	s_load_b64 s[16:17], s[0:1], 0x18
	s_mul_i32 s22, s14, s4
	v_lshlrev_b32_e32 v4, 3, v12
	s_ashr_i32 s23, s22, 31
	s_delay_alu instid0(SALU_CYCLE_1) | instskip(NEXT) | instid1(VALU_DEP_1)
	s_lshl_b64 s[22:23], s[22:23], 1
	v_lshl_add_u32 v4, v13, 5, v4
	s_waitcnt lgkmcnt(0)
	s_add_u32 s4, s16, s22
	s_addc_u32 s11, s17, s23
	s_ashr_i32 s13, s12, 31
	s_delay_alu instid0(SALU_CYCLE_1) | instskip(NEXT) | instid1(SALU_CYCLE_1)
	s_lshl_b64 s[16:17], s[12:13], 1
	s_add_u32 s16, s4, s16
	s_addc_u32 s17, s11, s17
	global_load_b64 v[1:2], v3, s[16:17]
	s_waitcnt vmcnt(0)
	ds_store_b64 v4, v[1:2]
.LBB169_5:
	s_or_b32 exec_lo, exec_lo, s7
	s_add_i32 s7, s30, 15
	s_lshl_b32 s4, s18, 5
	s_ashr_i32 s11, s7, 31
	s_xor_b32 s2, s2, s3
	s_lshr_b32 s11, s11, 28
	s_add_i32 s3, s4, 32
	s_add_i32 s7, s7, s11
	s_clause 0x1
	s_load_b64 s[22:23], s[0:1], 0x38
	s_load_b32 s11, s[0:1], 0x48
	s_ashr_i32 s28, s7, 4
	s_mul_i32 s7, s9, s8
	s_min_i32 s21, s3, s28
	s_sub_i32 s3, s10, s7
	s_add_i32 s7, s9, 1
	s_sub_i32 s10, s3, s8
	s_cmp_ge_u32 s3, s8
	v_lshrrev_b32_e32 v14, 5, v0
	s_cselect_b32 s7, s7, s9
	s_cselect_b32 s3, s10, s3
	s_add_i32 s9, s7, 1
	s_cmp_ge_u32 s3, s8
	v_or_b32_e32 v9, s4, v14
	s_cselect_b32 s3, s9, s7
	v_mbcnt_lo_u32_b32 v4, -1, 0
	s_xor_b32 s3, s3, s2
	s_mov_b32 s8, exec_lo
	s_sub_i32 s3, s3, s2
	v_cmp_gt_i32_e64 s2, s21, v9
	s_waitcnt lgkmcnt(0)
	s_mul_i32 s24, s14, s11
	s_delay_alu instid0(SALU_CYCLE_1)
	s_ashr_i32 s25, s24, 31
	s_barrier
	buffer_gl0_inv
                                        ; implicit-def: $sgpr7
                                        ; implicit-def: $vgpr5
	v_cmpx_le_i32_e64 s21, v9
	s_xor_b32 s8, exec_lo, s8
; %bb.6:
	v_mbcnt_lo_u32_b32 v4, -1, 0
	v_mov_b32_e32 v5, 32
	s_mov_b32 s7, 0xff7fffff
; %bb.7:
	s_or_saveexec_b32 s33, s8
	s_clause 0x3
	s_load_b128 s[8:11], s[0:1], 0x0
	s_load_b64 s[16:17], s[0:1], 0x10
	s_load_b64 s[26:27], s[0:1], 0x28
	s_load_b32 s13, s[0:1], 0x98
	v_mov_b32_e32 v26, s7
	v_ashrrev_i32_e32 v10, 31, v9
	s_mul_i32 s6, s3, s6
	s_xor_b32 exec_lo, exec_lo, s33
	s_cbranch_execz .LBB169_13
; %bb.8:
	s_load_b64 s[0:1], s[0:1], 0x20
	v_lshlrev_b32_e32 v1, 5, v13
	v_bfe_u32 v2, v0, 1, 4
	s_ashr_i32 s7, s6, 31
	v_and_b32_e32 v5, 8, v3
	s_lshl_b64 s[34:35], s[6:7], 1
	ds_load_b128 v[15:18], v1
	ds_load_b128 v[26:29], v1 offset:16
	v_lshlrev_b32_e32 v1, 4, v2
	v_mov_b32_e32 v33, v9
	s_waitcnt lgkmcnt(0)
	s_add_u32 s0, s0, s34
	s_addc_u32 s1, s1, s35
	v_add_co_u32 v1, s0, s0, v1
	s_delay_alu instid0(VALU_DEP_1) | instskip(SKIP_1) | instid1(VALU_DEP_2)
	v_add_co_ci_u32_e64 v22, null, s1, 0, s0
	s_lshl_b64 s[34:35], s[24:25], 2
	v_add_co_u32 v21, vcc_lo, v1, v5
	v_xor_b32_e32 v1, 1, v4
	s_delay_alu instid0(VALU_DEP_3) | instskip(SKIP_2) | instid1(VALU_DEP_4)
	v_add_co_ci_u32_e32 v22, vcc_lo, 0, v22, vcc_lo
	v_lshlrev_b32_e32 v19, 16, v26
	v_and_b32_e32 v20, 0xffff0000, v26
	v_cmp_gt_i32_e32 vcc_lo, 32, v1
	v_lshlrev_b32_e32 v6, 16, v15
	v_lshlrev_b32_e32 v26, 2, v2
	s_sub_i32 s7, 1, s30
	s_add_u32 s1, s22, s34
	v_cndmask_b32_e32 v1, v4, v1, vcc_lo
	s_addc_u32 s3, s23, s35
	v_lshl_or_b32 v26, v14, 6, v26
	v_and_b32_e32 v7, 0xffff0000, v15
	v_dual_mov_b32 v5, 32 :: v_dual_lshlrev_b32 v8, 16, v16
	v_lshlrev_b32_e32 v30, 2, v1
	v_lshlrev_b32_e32 v1, 4, v14
	v_and_b32_e32 v11, 0xffff0000, v16
	v_lshlrev_b32_e32 v15, 16, v17
	v_and_b32_e32 v16, 0xffff0000, v17
	v_lshlrev_b32_e32 v17, 16, v18
	v_add3_u32 v31, s31, v1, v2
	v_lshlrev_b64 v[1:2], 2, v[9:10]
	v_and_b32_e32 v18, 0xffff0000, v18
	v_lshlrev_b32_e32 v23, 16, v27
	v_and_b32_e32 v24, 0xffff0000, v27
	v_lshlrev_b32_e32 v25, 16, v28
	v_and_b32_e32 v27, 0xffff0000, v28
	v_add_co_u32 v1, s1, s1, v1
	v_lshlrev_b32_e32 v28, 16, v29
	v_and_b32_e32 v29, 0xffff0000, v29
	v_cmp_eq_u32_e32 vcc_lo, 0, v13
	v_cmp_neq_f32_e64 s0, s19, 0
	v_add_nc_u32_e32 v32, 0x60, v26
	v_add_co_ci_u32_e64 v2, s1, s3, v2, s1
	v_mov_b32_e32 v26, 0xff7fffff
	s_mov_b32 s35, s5
	s_mov_b32 s34, 0
	s_branch .LBB169_10
.LBB169_9:                              ;   in Loop: Header=BB169_10 Depth=1
	s_or_b32 exec_lo, exec_lo, s3
	v_add_nc_u32_e32 v33, 4, v33
	v_add_co_u32 v1, s3, v1, 16
	v_add_nc_u32_e32 v31, 64, v31
	v_add_nc_u32_e32 v32, 0x100, v32
	s_delay_alu instid0(VALU_DEP_4) | instskip(SKIP_1) | instid1(VALU_DEP_2)
	v_cmp_le_i32_e64 s1, s21, v33
	v_add_co_ci_u32_e64 v2, s3, 0, v2, s3
	s_or_b32 s34, s1, s34
	s_delay_alu instid0(SALU_CYCLE_1)
	s_and_not1_b32 exec_lo, exec_lo, s34
	s_cbranch_execz .LBB169_12
.LBB169_10:                             ; =>This Inner Loop Header: Depth=1
	global_load_b32 v36, v[1:2], off
	s_waitcnt vmcnt(0) lgkmcnt(0)
	v_mad_i64_i32 v[34:35], null, v36, s35, 0
	s_delay_alu instid0(VALU_DEP_1) | instskip(NEXT) | instid1(VALU_DEP_1)
	v_lshlrev_b64 v[34:35], 1, v[34:35]
	v_add_co_u32 v34, s1, v21, v34
	s_delay_alu instid0(VALU_DEP_1)
	v_add_co_ci_u32_e64 v35, s1, v22, v35, s1
	s_clause 0x3
	global_load_b64 v[36:37], v[34:35], off
	global_load_b64 v[38:39], v[34:35], off offset:256
	global_load_b64 v[40:41], v[34:35], off offset:512
	;; [unrolled: 1-line block ×3, first 2 shown]
	s_waitcnt vmcnt(1)
	v_lshlrev_b32_e32 v47, 16, v41
	v_lshlrev_b32_e32 v44, 16, v38
	;; [unrolled: 1-line block ×4, first 2 shown]
	v_and_b32_e32 v40, 0xffff0000, v40
	s_waitcnt vmcnt(0)
	v_lshlrev_b32_e32 v48, 16, v34
	v_dual_mul_f32 v44, v15, v44 :: v_dual_lshlrev_b32 v45, 16, v39
	v_lshlrev_b32_e32 v42, 16, v36
	s_delay_alu instid0(VALU_DEP_2) | instskip(SKIP_1) | instid1(VALU_DEP_3)
	v_dual_mul_f32 v45, v17, v45 :: v_dual_and_b32 v34, 0xffff0000, v34
	v_and_b32_e32 v36, 0xffff0000, v36
	v_dual_fmac_f32 v44, v6, v42 :: v_dual_and_b32 v41, 0xffff0000, v41
	s_delay_alu instid0(VALU_DEP_1) | instskip(NEXT) | instid1(VALU_DEP_1)
	v_dual_fmac_f32 v45, v8, v43 :: v_dual_fmac_f32 v44, v19, v46
	v_dual_fmac_f32 v45, v23, v47 :: v_dual_and_b32 v38, 0xffff0000, v38
	s_delay_alu instid0(VALU_DEP_2) | instskip(NEXT) | instid1(VALU_DEP_2)
	v_dual_fmac_f32 v44, v25, v48 :: v_dual_and_b32 v37, 0xffff0000, v37
	v_dual_mul_f32 v38, v16, v38 :: v_dual_and_b32 v39, 0xffff0000, v39
	s_delay_alu instid0(VALU_DEP_1) | instskip(NEXT) | instid1(VALU_DEP_2)
	v_fmac_f32_e32 v38, v7, v36
	v_mul_f32_e32 v36, v18, v39
	s_delay_alu instid0(VALU_DEP_2) | instskip(NEXT) | instid1(VALU_DEP_1)
	v_dual_fmac_f32 v38, v20, v40 :: v_dual_lshlrev_b32 v39, 16, v35
	v_dual_fmac_f32 v36, v11, v37 :: v_dual_fmac_f32 v45, v28, v39
	s_delay_alu instid0(VALU_DEP_2) | instskip(NEXT) | instid1(VALU_DEP_2)
	v_fmac_f32_e32 v38, v27, v34
	v_fmac_f32_e32 v36, v24, v41
	s_delay_alu instid0(VALU_DEP_2) | instskip(NEXT) | instid1(VALU_DEP_1)
	v_dual_add_f32 v35, v44, v38 :: v_dual_and_b32 v34, 0xffff0000, v35
	v_fmac_f32_e32 v36, v29, v34
	s_delay_alu instid0(VALU_DEP_2) | instskip(NEXT) | instid1(VALU_DEP_1)
	v_add_f32_e32 v34, v35, v45
	v_add_f32_e32 v34, v36, v34
	ds_bpermute_b32 v35, v30, v34
	s_and_saveexec_b32 s3, vcc_lo
	s_cbranch_execz .LBB169_9
; %bb.11:                               ;   in Loop: Header=BB169_10 Depth=1
	s_waitcnt lgkmcnt(0)
	v_add_f32_e32 v34, v34, v35
	v_add_nc_u32_e32 v36, s7, v31
	v_cmp_gt_i32_e64 s1, s30, v31
	s_delay_alu instid0(VALU_DEP_2) | instskip(NEXT) | instid1(VALU_DEP_1)
	v_cvt_f32_i32_e32 v36, v36
	v_mul_f32_e32 v36, s19, v36
	s_delay_alu instid0(VALU_DEP_1) | instskip(SKIP_1) | instid1(VALU_DEP_2)
	v_cndmask_b32_e64 v35, 0, v36, s0
	v_max_f32_e32 v36, v26, v26
	v_fmac_f32_e32 v35, s29, v34
	s_delay_alu instid0(VALU_DEP_1) | instskip(SKIP_1) | instid1(VALU_DEP_2)
	v_max_f32_e32 v34, v36, v35
	v_cndmask_b32_e64 v35, 0, v35, s1
	v_cndmask_b32_e64 v26, v26, v34, s1
	ds_store_b32 v32, v35
	s_branch .LBB169_9
.LBB169_12:
	s_or_b32 exec_lo, exec_lo, s34
.LBB169_13:
	s_delay_alu instid0(SALU_CYCLE_1) | instskip(SKIP_4) | instid1(VALU_DEP_4)
	s_or_b32 exec_lo, exec_lo, s33
	v_xor_b32_e32 v1, 16, v4
	v_xor_b32_e32 v2, 8, v4
	;; [unrolled: 1-line block ×3, first 2 shown]
	v_dual_max_f32 v8, v26, v26 :: v_dual_and_b32 v15, 31, v0
	v_cmp_lt_i32_e32 vcc_lo, v1, v5
	v_cndmask_b32_e32 v1, v4, v1, vcc_lo
	v_cmp_lt_i32_e32 vcc_lo, v2, v5
	s_delay_alu instid0(VALU_DEP_2) | instskip(SKIP_3) | instid1(VALU_DEP_1)
	v_lshlrev_b32_e32 v6, 2, v1
	ds_bpermute_b32 v1, v6, v26
	s_waitcnt lgkmcnt(0)
	v_dual_cndmask_b32 v2, v4, v2 :: v_dual_max_f32 v1, v1, v1
	v_max_f32_e32 v1, v8, v1
	v_xor_b32_e32 v8, 4, v4
	s_delay_alu instid0(VALU_DEP_1) | instskip(NEXT) | instid1(VALU_DEP_4)
	v_cmp_lt_i32_e32 vcc_lo, v8, v5
	v_dual_cndmask_b32 v8, v4, v8 :: v_dual_lshlrev_b32 v7, 2, v2
	ds_bpermute_b32 v2, v7, v1
	v_cmp_lt_i32_e32 vcc_lo, v11, v5
	v_dual_cndmask_b32 v11, v4, v11 :: v_dual_lshlrev_b32 v8, 2, v8
	v_cmp_eq_u32_e32 vcc_lo, 0, v15
	s_waitcnt lgkmcnt(0)
	v_max_f32_e32 v2, v2, v2
	s_delay_alu instid0(VALU_DEP_1) | instskip(SKIP_3) | instid1(VALU_DEP_1)
	v_max_f32_e32 v1, v1, v2
	ds_bpermute_b32 v2, v8, v1
	s_waitcnt lgkmcnt(0)
	v_max_f32_e32 v2, v2, v2
	v_dual_max_f32 v1, v1, v2 :: v_dual_lshlrev_b32 v2, 2, v11
	v_lshlrev_b32_e32 v11, 2, v14
	ds_bpermute_b32 v16, v2, v1
	s_and_saveexec_b32 s0, vcc_lo
	s_cbranch_execz .LBB169_15
; %bb.14:
	s_waitcnt lgkmcnt(0)
	v_dual_max_f32 v16, v16, v16 :: v_dual_max_f32 v1, v1, v1
	s_delay_alu instid0(VALU_DEP_1)
	v_max_f32_e32 v1, v1, v16
	ds_store_b32 v11, v1 offset:64
.LBB169_15:
	s_or_b32 exec_lo, exec_lo, s0
	v_cmp_gt_u32_e64 s0, 4, v15
	v_mov_b32_e32 v1, 0xff7fffff
	v_lshlrev_b32_e32 v17, 2, v15
	s_waitcnt lgkmcnt(0)
	s_barrier
	buffer_gl0_inv
	s_and_saveexec_b32 s1, s0
	s_cbranch_execz .LBB169_17
; %bb.16:
	ds_load_b32 v1, v17 offset:64
.LBB169_17:
	s_or_b32 exec_lo, exec_lo, s1
	s_waitcnt lgkmcnt(0)
	ds_bpermute_b32 v16, v2, v1
	v_xor_b32_e32 v18, 1, v4
	v_max_f32_e32 v1, v1, v1
	s_delay_alu instid0(VALU_DEP_2) | instskip(NEXT) | instid1(VALU_DEP_1)
	v_cmp_lt_i32_e64 s1, v18, v5
	v_cndmask_b32_e64 v5, v4, v18, s1
	s_sub_i32 s1, s21, s4
	v_lshlrev_b32_e32 v4, 2, v4
	s_lshl_b32 s1, s1, 4
	s_delay_alu instid0(SALU_CYCLE_1) | instskip(NEXT) | instid1(SALU_CYCLE_1)
	s_add_i32 s1, s1, s31
	s_min_i32 s1, s1, s30
	s_waitcnt lgkmcnt(0)
	v_max_f32_e32 v18, v16, v16
	v_lshlrev_b32_e32 v16, 2, v5
	s_sub_i32 s7, s1, s31
	s_delay_alu instid0(SALU_CYCLE_1) | instskip(NEXT) | instid1(VALU_DEP_3)
	v_cmp_gt_i32_e64 s1, s7, v0
	v_dual_max_f32 v1, v1, v18 :: v_dual_mov_b32 v18, 0
	ds_bpermute_b32 v5, v16, v1
	s_waitcnt lgkmcnt(0)
	v_max_f32_e32 v5, v5, v5
	s_delay_alu instid0(VALU_DEP_1)
	v_max_f32_e32 v1, v1, v5
	v_and_b32_e32 v5, 0xffffff80, v4
	v_lshl_add_u32 v4, v0, 2, 0x60
	ds_bpermute_b32 v1, v5, v1
	s_and_saveexec_b32 s19, s1
	s_cbranch_execz .LBB169_21
; %bb.18:
	v_lshl_add_u32 v19, v0, 2, 0x60
	v_mov_b32_e32 v18, 0
	v_mov_b32_e32 v20, v0
	s_mov_b32 s29, 0
	.p2align	6
.LBB169_19:                             ; =>This Inner Loop Header: Depth=1
	ds_load_b32 v21, v19
	v_add_nc_u32_e32 v20, 0x80, v20
	s_delay_alu instid0(VALU_DEP_1) | instskip(NEXT) | instid1(VALU_DEP_1)
	v_cmp_le_i32_e64 s3, s7, v20
	s_or_b32 s29, s3, s29
	s_waitcnt lgkmcnt(0)
	v_sub_f32_e32 v21, v21, v1
	s_delay_alu instid0(VALU_DEP_1) | instskip(NEXT) | instid1(VALU_DEP_1)
	v_mul_f32_e32 v21, 0x3fb8aa3b, v21
	v_exp_f32_e32 v21, v21
	ds_store_b32 v19, v21
	v_dual_add_f32 v18, v18, v21 :: v_dual_add_nc_u32 v19, 0x200, v19
	s_and_not1_b32 exec_lo, exec_lo, s29
	s_cbranch_execnz .LBB169_19
; %bb.20:
	s_or_b32 exec_lo, exec_lo, s29
.LBB169_21:
	s_delay_alu instid0(SALU_CYCLE_1)
	s_or_b32 exec_lo, exec_lo, s19
	ds_bpermute_b32 v6, v6, v18
	s_waitcnt lgkmcnt(0)
	v_add_f32_e32 v6, v18, v6
	ds_bpermute_b32 v7, v7, v6
	s_waitcnt lgkmcnt(0)
	v_add_f32_e32 v6, v6, v7
	;; [unrolled: 3-line block ×5, first 2 shown]
	s_and_saveexec_b32 s3, vcc_lo
	s_cbranch_execz .LBB169_23
; %bb.22:
	ds_store_b32 v11, v6 offset:80
.LBB169_23:
	s_or_b32 exec_lo, exec_lo, s3
	s_waitcnt lgkmcnt(0)
	s_barrier
	buffer_gl0_inv
	s_and_saveexec_b32 s3, s0
	s_cbranch_execz .LBB169_25
; %bb.24:
	ds_load_b32 v6, v17 offset:80
.LBB169_25:
	s_or_b32 exec_lo, exec_lo, s3
	s_waitcnt lgkmcnt(0)
	ds_bpermute_b32 v2, v2, v6
	s_waitcnt lgkmcnt(0)
	v_add_f32_e32 v2, v6, v2
	ds_bpermute_b32 v6, v16, v2
	s_waitcnt lgkmcnt(0)
	v_add_f32_e32 v2, v2, v6
	ds_bpermute_b32 v2, v5, v2
	s_and_saveexec_b32 s0, s1
	s_cbranch_execz .LBB169_28
; %bb.26:
	s_waitcnt lgkmcnt(0)
	v_add_f32_e32 v5, 0x358637bd, v2
	s_mov_b32 s1, 0
	s_delay_alu instid0(VALU_DEP_1) | instskip(SKIP_1) | instid1(VALU_DEP_2)
	v_div_scale_f32 v6, null, v5, v5, 1.0
	v_div_scale_f32 v11, vcc_lo, 1.0, v5, 1.0
	v_rcp_f32_e32 v7, v6
	s_waitcnt_depctr 0xfff
	v_fma_f32 v8, -v6, v7, 1.0
	s_delay_alu instid0(VALU_DEP_1) | instskip(NEXT) | instid1(VALU_DEP_1)
	v_fmac_f32_e32 v7, v8, v7
	v_mul_f32_e32 v8, v11, v7
	s_delay_alu instid0(VALU_DEP_1) | instskip(NEXT) | instid1(VALU_DEP_1)
	v_fma_f32 v17, -v6, v8, v11
	v_fmac_f32_e32 v8, v17, v7
	s_delay_alu instid0(VALU_DEP_1) | instskip(NEXT) | instid1(VALU_DEP_1)
	v_fma_f32 v6, -v6, v8, v11
	v_div_fmas_f32 v6, v6, v7, v8
	s_delay_alu instid0(VALU_DEP_1)
	v_div_fixup_f32 v5, v6, v5, 1.0
	v_mov_b32_e32 v6, v0
.LBB169_27:                             ; =>This Inner Loop Header: Depth=1
	ds_load_b32 v7, v4
	s_waitcnt lgkmcnt(0)
	v_dual_mul_f32 v7, v5, v7 :: v_dual_add_nc_u32 v6, 0x80, v6
	s_delay_alu instid0(VALU_DEP_1) | instskip(SKIP_3) | instid1(SALU_CYCLE_1)
	v_cmp_le_i32_e32 vcc_lo, s7, v6
	ds_store_b32 v4, v7
	v_add_nc_u32_e32 v4, 0x200, v4
	s_or_b32 s1, vcc_lo, s1
	s_and_not1_b32 exec_lo, exec_lo, s1
	s_cbranch_execnz .LBB169_27
.LBB169_28:
	s_or_b32 exec_lo, exec_lo, s0
	s_delay_alu instid0(SALU_CYCLE_1)
	s_mov_b32 s0, exec_lo
	s_waitcnt lgkmcnt(0)
	s_barrier
	buffer_gl0_inv
	v_cmpx_eq_u32_e32 0, v0
	s_cbranch_execz .LBB169_30
; %bb.29:
	s_mul_i32 s1, s13, s14
	s_mul_i32 s36, s13, s20
	;; [unrolled: 1-line block ×3, first 2 shown]
	v_mov_b32_e32 v4, 0
	s_ashr_i32 s35, s34, 31
	s_delay_alu instid0(SALU_CYCLE_1) | instskip(NEXT) | instid1(SALU_CYCLE_1)
	s_lshl_b64 s[34:35], s[34:35], 2
	s_add_u32 s1, s10, s34
	s_addc_u32 s3, s11, s35
	s_ashr_i32 s37, s36, 31
	s_delay_alu instid0(SALU_CYCLE_1) | instskip(NEXT) | instid1(SALU_CYCLE_1)
	s_lshl_b64 s[10:11], s[36:37], 2
	s_add_u32 s1, s1, s10
	s_addc_u32 s3, s3, s11
	;; [unrolled: 5-line block ×3, first 2 shown]
	s_add_u32 s1, s8, s34
	s_addc_u32 s3, s9, s35
	s_add_u32 s1, s1, s10
	s_addc_u32 s3, s3, s11
	;; [unrolled: 2-line block ×3, first 2 shown]
	s_clause 0x1
	global_store_b32 v4, v1, s[36:37]
	global_store_b32 v4, v2, s[8:9]
.LBB169_30:
	s_or_b32 exec_lo, exec_lo, s0
	v_dual_mov_b32 v18, 0 :: v_dual_mov_b32 v17, 0
	s_mov_b32 s3, 0
	s_and_saveexec_b32 s1, s2
	s_cbranch_execz .LBB169_134
; %bb.31:
	v_dual_mov_b32 v18, 0 :: v_dual_lshlrev_b32 v1, 4, v0
	s_ashr_i32 s7, s6, 31
	v_dual_mov_b32 v17, 0 :: v_dual_and_b32 v2, 8, v3
	s_delay_alu instid0(VALU_DEP_2)
	v_and_b32_e32 v1, 0x1f0, v1
	v_lshl_add_u32 v4, v14, 4, s31
	s_lshl_b64 s[6:7], s[6:7], 1
	v_lshlrev_b32_e32 v3, 5, v13
	s_add_u32 s0, s26, s6
	s_addc_u32 s6, s27, s7
	v_add_co_u32 v19, s0, s0, v1
	v_add3_u32 v21, v4, v2, 7
	v_lshlrev_b64 v[1:2], 2, v[9:10]
	v_add_co_ci_u32_e64 v20, null, s6, 0, s0
	s_lshl_b64 s[6:7], s[24:25], 2
	s_add_i32 s2, s28, -1
	v_lshl_or_b32 v3, v14, 6, v3
	s_add_u32 s0, s22, s6
	s_addc_u32 s6, s23, s7
	v_add_co_u32 v10, vcc_lo, s0, v1
	s_delay_alu instid0(VALU_DEP_2)
	v_add_nc_u32_e32 v22, 0x60, v3
	v_add_co_ci_u32_e32 v11, vcc_lo, s6, v2, vcc_lo
	s_branch .LBB169_33
.LBB169_32:                             ;   in Loop: Header=BB169_33 Depth=1
	s_or_b32 exec_lo, exec_lo, s0
	v_and_b32_e32 v28, 0xffff0000, v28
	v_and_b32_e32 v6, 0xffff0000, v6
	;; [unrolled: 1-line block ×6, first 2 shown]
	s_delay_alu instid0(VALU_DEP_4) | instskip(SKIP_1) | instid1(VALU_DEP_4)
	v_dual_add_f32 v2, v2, v28 :: v_dual_and_b32 v23, 0xffff0000, v23
	v_and_b32_e32 v27, 0xffff0000, v27
	v_add_f32_e32 v1, v1, v6
	v_and_b32_e32 v25, 0xffff0000, v25
	v_and_b32_e32 v8, 0xffff0000, v8
	;; [unrolled: 1-line block ×3, first 2 shown]
	v_add_nc_u32_e32 v9, 4, v9
	v_add_f32_e32 v1, v1, v2
	v_and_b32_e32 v7, 0xffff0000, v7
	v_and_b32_e32 v26, 0xffff0000, v26
	;; [unrolled: 1-line block ×3, first 2 shown]
	v_cmp_le_i32_e32 vcc_lo, s21, v9
	v_add_co_u32 v10, s0, v10, 16
	v_add_f32_e32 v7, v7, v8
	v_dual_add_f32 v8, v23, v24 :: v_dual_and_b32 v23, 0xffff0000, v29
	v_add_nc_u32_e32 v21, 64, v21
	v_add_nc_u32_e32 v22, 0x100, v22
	v_add_co_ci_u32_e64 v11, s0, 0, v11, s0
	s_delay_alu instid0(VALU_DEP_4) | instskip(SKIP_2) | instid1(VALU_DEP_2)
	v_dual_add_f32 v6, v7, v8 :: v_dual_add_f32 v7, v25, v26
	v_dual_add_f32 v2, v3, v23 :: v_dual_and_b32 v3, 0xffff0000, v5
	s_or_b32 s3, vcc_lo, s3
	v_dual_add_f32 v5, v6, v7 :: v_dual_add_f32 v6, v27, v30
	s_delay_alu instid0(VALU_DEP_2) | instskip(NEXT) | instid1(VALU_DEP_2)
	v_dual_add_f32 v1, v1, v2 :: v_dual_add_f32 v2, v4, v3
	v_add_f32_e32 v3, v5, v6
	s_delay_alu instid0(VALU_DEP_2) | instskip(NEXT) | instid1(VALU_DEP_1)
	v_add_f32_e32 v1, v1, v2
	v_dual_add_f32 v17, v17, v3 :: v_dual_add_f32 v18, v18, v1
	s_and_not1_b32 exec_lo, exec_lo, s3
	s_cbranch_execz .LBB169_133
.LBB169_33:                             ; =>This Inner Loop Header: Depth=1
	global_load_b32 v28, v[10:11], off
	ds_load_2addr_b64 v[5:8], v22 offset1:1
	ds_load_2addr_b64 v[1:4], v22 offset0:2 offset1:3
	s_mov_b32 s0, exec_lo
                                        ; implicit-def: $vgpr36
	s_waitcnt lgkmcnt(1)
	v_and_b32_e32 v23, 0x7f800000, v5
	s_delay_alu instid0(VALU_DEP_1)
	v_cmpx_ne_u32_e32 0x7f800000, v23
	s_xor_b32 s0, exec_lo, s0
; %bb.34:                               ;   in Loop: Header=BB169_33 Depth=1
	v_bfe_u32 v23, v5, 16, 1
	s_delay_alu instid0(VALU_DEP_1)
	v_add3_u32 v36, v5, v23, 0x7fff
; %bb.35:                               ;   in Loop: Header=BB169_33 Depth=1
	s_and_not1_saveexec_b32 s0, s0
; %bb.36:                               ;   in Loop: Header=BB169_33 Depth=1
	v_and_b32_e32 v23, 0xffff, v5
	v_or_b32_e32 v24, 0x10000, v5
	s_delay_alu instid0(VALU_DEP_2) | instskip(NEXT) | instid1(VALU_DEP_2)
	v_cmp_eq_u32_e32 vcc_lo, 0, v23
	v_cndmask_b32_e32 v36, v24, v5, vcc_lo
; %bb.37:                               ;   in Loop: Header=BB169_33 Depth=1
	s_or_b32 exec_lo, exec_lo, s0
	v_and_b32_e32 v5, 0x7f800000, v6
	s_mov_b32 s0, exec_lo
                                        ; implicit-def: $vgpr37
	s_delay_alu instid0(VALU_DEP_1)
	v_cmpx_ne_u32_e32 0x7f800000, v5
	s_xor_b32 s0, exec_lo, s0
; %bb.38:                               ;   in Loop: Header=BB169_33 Depth=1
	v_bfe_u32 v5, v6, 16, 1
	s_delay_alu instid0(VALU_DEP_1)
	v_add3_u32 v37, v6, v5, 0x7fff
; %bb.39:                               ;   in Loop: Header=BB169_33 Depth=1
	s_and_not1_saveexec_b32 s0, s0
; %bb.40:                               ;   in Loop: Header=BB169_33 Depth=1
	v_and_b32_e32 v5, 0xffff, v6
	v_or_b32_e32 v23, 0x10000, v6
	s_delay_alu instid0(VALU_DEP_2) | instskip(NEXT) | instid1(VALU_DEP_2)
	v_cmp_eq_u32_e32 vcc_lo, 0, v5
	v_cndmask_b32_e32 v37, v23, v6, vcc_lo
; %bb.41:                               ;   in Loop: Header=BB169_33 Depth=1
	s_or_b32 exec_lo, exec_lo, s0
	v_and_b32_e32 v5, 0x7f800000, v7
	s_mov_b32 s0, exec_lo
                                        ; implicit-def: $vgpr23
	s_delay_alu instid0(VALU_DEP_1)
	v_cmpx_ne_u32_e32 0x7f800000, v5
	s_xor_b32 s0, exec_lo, s0
; %bb.42:                               ;   in Loop: Header=BB169_33 Depth=1
	v_bfe_u32 v5, v7, 16, 1
	s_delay_alu instid0(VALU_DEP_1)
	v_add3_u32 v23, v7, v5, 0x7fff
; %bb.43:                               ;   in Loop: Header=BB169_33 Depth=1
	s_and_not1_saveexec_b32 s0, s0
; %bb.44:                               ;   in Loop: Header=BB169_33 Depth=1
	v_and_b32_e32 v5, 0xffff, v7
	v_or_b32_e32 v6, 0x10000, v7
	s_delay_alu instid0(VALU_DEP_2) | instskip(NEXT) | instid1(VALU_DEP_2)
	v_cmp_eq_u32_e32 vcc_lo, 0, v5
	v_cndmask_b32_e32 v23, v6, v7, vcc_lo
; %bb.45:                               ;   in Loop: Header=BB169_33 Depth=1
	s_or_b32 exec_lo, exec_lo, s0
	v_and_b32_e32 v5, 0x7f800000, v8
	s_mov_b32 s0, exec_lo
                                        ; implicit-def: $vgpr24
	s_delay_alu instid0(VALU_DEP_1)
	v_cmpx_ne_u32_e32 0x7f800000, v5
	s_xor_b32 s0, exec_lo, s0
; %bb.46:                               ;   in Loop: Header=BB169_33 Depth=1
	v_bfe_u32 v5, v8, 16, 1
	s_delay_alu instid0(VALU_DEP_1)
	v_add3_u32 v24, v8, v5, 0x7fff
                                        ; implicit-def: $vgpr5_vgpr6_vgpr7_vgpr8
; %bb.47:                               ;   in Loop: Header=BB169_33 Depth=1
	s_and_not1_saveexec_b32 s0, s0
; %bb.48:                               ;   in Loop: Header=BB169_33 Depth=1
	v_and_b32_e32 v5, 0xffff, v8
	v_or_b32_e32 v6, 0x10000, v8
	s_delay_alu instid0(VALU_DEP_2) | instskip(NEXT) | instid1(VALU_DEP_2)
	v_cmp_eq_u32_e32 vcc_lo, 0, v5
	v_cndmask_b32_e32 v24, v6, v8, vcc_lo
; %bb.49:                               ;   in Loop: Header=BB169_33 Depth=1
	s_or_b32 exec_lo, exec_lo, s0
	s_waitcnt lgkmcnt(0)
	v_and_b32_e32 v5, 0x7f800000, v1
	s_mov_b32 s0, exec_lo
                                        ; implicit-def: $vgpr25
	s_delay_alu instid0(VALU_DEP_1)
	v_cmpx_ne_u32_e32 0x7f800000, v5
	s_xor_b32 s0, exec_lo, s0
; %bb.50:                               ;   in Loop: Header=BB169_33 Depth=1
	v_bfe_u32 v5, v1, 16, 1
	s_delay_alu instid0(VALU_DEP_1)
	v_add3_u32 v25, v1, v5, 0x7fff
; %bb.51:                               ;   in Loop: Header=BB169_33 Depth=1
	s_and_not1_saveexec_b32 s0, s0
; %bb.52:                               ;   in Loop: Header=BB169_33 Depth=1
	v_and_b32_e32 v5, 0xffff, v1
	v_or_b32_e32 v6, 0x10000, v1
	s_delay_alu instid0(VALU_DEP_2) | instskip(NEXT) | instid1(VALU_DEP_2)
	v_cmp_eq_u32_e32 vcc_lo, 0, v5
	v_cndmask_b32_e32 v25, v6, v1, vcc_lo
; %bb.53:                               ;   in Loop: Header=BB169_33 Depth=1
	s_or_b32 exec_lo, exec_lo, s0
	v_and_b32_e32 v1, 0x7f800000, v2
	s_mov_b32 s0, exec_lo
                                        ; implicit-def: $vgpr26
	s_delay_alu instid0(VALU_DEP_1)
	v_cmpx_ne_u32_e32 0x7f800000, v1
	s_xor_b32 s0, exec_lo, s0
; %bb.54:                               ;   in Loop: Header=BB169_33 Depth=1
	v_bfe_u32 v1, v2, 16, 1
	s_delay_alu instid0(VALU_DEP_1)
	v_add3_u32 v26, v2, v1, 0x7fff
; %bb.55:                               ;   in Loop: Header=BB169_33 Depth=1
	s_and_not1_saveexec_b32 s0, s0
; %bb.56:                               ;   in Loop: Header=BB169_33 Depth=1
	v_and_b32_e32 v1, 0xffff, v2
	v_or_b32_e32 v5, 0x10000, v2
	s_delay_alu instid0(VALU_DEP_2) | instskip(NEXT) | instid1(VALU_DEP_2)
	v_cmp_eq_u32_e32 vcc_lo, 0, v1
	v_cndmask_b32_e32 v26, v5, v2, vcc_lo
; %bb.57:                               ;   in Loop: Header=BB169_33 Depth=1
	s_or_b32 exec_lo, exec_lo, s0
	v_and_b32_e32 v1, 0x7f800000, v3
	s_mov_b32 s0, exec_lo
                                        ; implicit-def: $vgpr27
	s_delay_alu instid0(VALU_DEP_1)
	v_cmpx_ne_u32_e32 0x7f800000, v1
	s_xor_b32 s0, exec_lo, s0
; %bb.58:                               ;   in Loop: Header=BB169_33 Depth=1
	v_bfe_u32 v1, v3, 16, 1
	s_delay_alu instid0(VALU_DEP_1)
	v_add3_u32 v27, v3, v1, 0x7fff
; %bb.59:                               ;   in Loop: Header=BB169_33 Depth=1
	s_and_not1_saveexec_b32 s0, s0
; %bb.60:                               ;   in Loop: Header=BB169_33 Depth=1
	v_and_b32_e32 v1, 0xffff, v3
	v_or_b32_e32 v2, 0x10000, v3
	s_delay_alu instid0(VALU_DEP_2) | instskip(NEXT) | instid1(VALU_DEP_2)
	v_cmp_eq_u32_e32 vcc_lo, 0, v1
	v_cndmask_b32_e32 v27, v2, v3, vcc_lo
; %bb.61:                               ;   in Loop: Header=BB169_33 Depth=1
	s_or_b32 exec_lo, exec_lo, s0
	v_and_b32_e32 v1, 0x7f800000, v4
	s_mov_b32 s0, exec_lo
                                        ; implicit-def: $vgpr35
	s_delay_alu instid0(VALU_DEP_1)
	v_cmpx_ne_u32_e32 0x7f800000, v1
	s_xor_b32 s0, exec_lo, s0
; %bb.62:                               ;   in Loop: Header=BB169_33 Depth=1
	v_bfe_u32 v1, v4, 16, 1
	s_delay_alu instid0(VALU_DEP_1)
	v_add3_u32 v35, v4, v1, 0x7fff
                                        ; implicit-def: $vgpr1_vgpr2_vgpr3_vgpr4
; %bb.63:                               ;   in Loop: Header=BB169_33 Depth=1
	s_and_not1_saveexec_b32 s0, s0
; %bb.64:                               ;   in Loop: Header=BB169_33 Depth=1
	v_and_b32_e32 v1, 0xffff, v4
	v_or_b32_e32 v2, 0x10000, v4
	s_delay_alu instid0(VALU_DEP_2) | instskip(NEXT) | instid1(VALU_DEP_2)
	v_cmp_eq_u32_e32 vcc_lo, 0, v1
	v_cndmask_b32_e32 v35, v2, v4, vcc_lo
; %bb.65:                               ;   in Loop: Header=BB169_33 Depth=1
	s_or_b32 exec_lo, exec_lo, s0
	s_waitcnt vmcnt(0)
	v_mad_i64_i32 v[1:2], null, v28, s5, 0
	v_add_nc_u32_e32 v28, -7, v21
	v_add_nc_u32_e32 v34, -6, v21
	;; [unrolled: 1-line block ×6, first 2 shown]
	v_lshlrev_b64 v[1:2], 1, v[1:2]
	v_add_nc_u32_e32 v33, -1, v21
	s_delay_alu instid0(VALU_DEP_2) | instskip(NEXT) | instid1(VALU_DEP_3)
	v_add_co_u32 v5, vcc_lo, v19, v1
	v_add_co_ci_u32_e32 v6, vcc_lo, v20, v2, vcc_lo
	v_cmp_eq_u32_e32 vcc_lo, s2, v9
	global_load_b128 v[1:4], v[5:6], off
	s_waitcnt vmcnt(0)
	v_lshrrev_b32_e32 v8, 16, v1
	v_lshrrev_b32_e32 v40, 16, v2
	;; [unrolled: 1-line block ×4, first 2 shown]
	s_and_saveexec_b32 s6, vcc_lo
	s_cbranch_execz .LBB169_67
; %bb.66:                               ;   in Loop: Header=BB169_33 Depth=1
	v_cmp_gt_i32_e64 s0, s30, v28
	s_delay_alu instid0(VALU_DEP_1) | instskip(SKIP_1) | instid1(VALU_DEP_1)
	v_cndmask_b32_e64 v1, 0, v1, s0
	v_cmp_gt_i32_e64 s0, s30, v34
	v_cndmask_b32_e64 v8, 0, v8, s0
	v_cmp_gt_i32_e64 s0, s30, v32
	s_delay_alu instid0(VALU_DEP_1) | instskip(SKIP_1) | instid1(VALU_DEP_1)
	v_cndmask_b32_e64 v2, 0, v2, s0
	v_cmp_gt_i32_e64 s0, s30, v31
	v_cndmask_b32_e64 v40, 0, v40, s0
	;; [unrolled: 5-line block ×4, first 2 shown]
.LBB169_67:                             ;   in Loop: Header=BB169_33 Depth=1
	s_or_b32 exec_lo, exec_lo, s6
	v_and_b32_e32 v36, 0xffff0000, v36
	v_lshlrev_b32_e32 v1, 16, v1
	s_delay_alu instid0(VALU_DEP_1) | instskip(NEXT) | instid1(VALU_DEP_1)
	v_mul_f32_e32 v1, v36, v1
	v_and_b32_e32 v7, 0x7f800000, v1
	s_delay_alu instid0(VALU_DEP_1) | instskip(NEXT) | instid1(VALU_DEP_1)
	v_cmp_ne_u32_e64 s0, 0x7f800000, v7
                                        ; implicit-def: $vgpr7
	s_and_saveexec_b32 s6, s0
	s_delay_alu instid0(SALU_CYCLE_1)
	s_xor_b32 s0, exec_lo, s6
; %bb.68:                               ;   in Loop: Header=BB169_33 Depth=1
	v_bfe_u32 v7, v1, 16, 1
	s_delay_alu instid0(VALU_DEP_1)
	v_add3_u32 v7, v1, v7, 0x7fff
                                        ; implicit-def: $vgpr1
; %bb.69:                               ;   in Loop: Header=BB169_33 Depth=1
	s_and_not1_saveexec_b32 s6, s0
; %bb.70:                               ;   in Loop: Header=BB169_33 Depth=1
	v_and_b32_e32 v7, 0xffff, v1
	v_or_b32_e32 v38, 0x10000, v1
	s_delay_alu instid0(VALU_DEP_2) | instskip(NEXT) | instid1(VALU_DEP_1)
	v_cmp_eq_u32_e64 s0, 0, v7
	v_cndmask_b32_e64 v7, v38, v1, s0
; %bb.71:                               ;   in Loop: Header=BB169_33 Depth=1
	s_or_b32 exec_lo, exec_lo, s6
	v_and_b32_e32 v37, 0xffff0000, v37
	v_lshlrev_b32_e32 v1, 16, v8
	s_delay_alu instid0(VALU_DEP_1) | instskip(NEXT) | instid1(VALU_DEP_1)
	v_mul_f32_e32 v1, v37, v1
	v_and_b32_e32 v8, 0x7f800000, v1
	s_delay_alu instid0(VALU_DEP_1) | instskip(NEXT) | instid1(VALU_DEP_1)
	v_cmp_ne_u32_e64 s0, 0x7f800000, v8
                                        ; implicit-def: $vgpr8
	s_and_saveexec_b32 s6, s0
	s_delay_alu instid0(SALU_CYCLE_1)
	s_xor_b32 s0, exec_lo, s6
; %bb.72:                               ;   in Loop: Header=BB169_33 Depth=1
	v_bfe_u32 v8, v1, 16, 1
	s_delay_alu instid0(VALU_DEP_1)
	v_add3_u32 v8, v1, v8, 0x7fff
                                        ; implicit-def: $vgpr1
; %bb.73:                               ;   in Loop: Header=BB169_33 Depth=1
	s_and_not1_saveexec_b32 s6, s0
; %bb.74:                               ;   in Loop: Header=BB169_33 Depth=1
	v_and_b32_e32 v8, 0xffff, v1
	v_or_b32_e32 v38, 0x10000, v1
	s_delay_alu instid0(VALU_DEP_2) | instskip(NEXT) | instid1(VALU_DEP_1)
	v_cmp_eq_u32_e64 s0, 0, v8
	v_cndmask_b32_e64 v8, v38, v1, s0
; %bb.75:                               ;   in Loop: Header=BB169_33 Depth=1
	s_or_b32 exec_lo, exec_lo, s6
	v_and_b32_e32 v38, 0xffff0000, v23
	v_lshlrev_b32_e32 v1, 16, v2
                                        ; implicit-def: $vgpr23
	s_delay_alu instid0(VALU_DEP_1) | instskip(NEXT) | instid1(VALU_DEP_1)
	v_mul_f32_e32 v1, v38, v1
	v_and_b32_e32 v2, 0x7f800000, v1
	s_delay_alu instid0(VALU_DEP_1) | instskip(NEXT) | instid1(VALU_DEP_1)
	v_cmp_ne_u32_e64 s0, 0x7f800000, v2
	s_and_saveexec_b32 s6, s0
	s_delay_alu instid0(SALU_CYCLE_1)
	s_xor_b32 s0, exec_lo, s6
; %bb.76:                               ;   in Loop: Header=BB169_33 Depth=1
	v_bfe_u32 v2, v1, 16, 1
	s_delay_alu instid0(VALU_DEP_1)
	v_add3_u32 v23, v1, v2, 0x7fff
                                        ; implicit-def: $vgpr1
; %bb.77:                               ;   in Loop: Header=BB169_33 Depth=1
	s_and_not1_saveexec_b32 s6, s0
; %bb.78:                               ;   in Loop: Header=BB169_33 Depth=1
	v_and_b32_e32 v2, 0xffff, v1
	v_or_b32_e32 v23, 0x10000, v1
	s_delay_alu instid0(VALU_DEP_2) | instskip(NEXT) | instid1(VALU_DEP_1)
	v_cmp_eq_u32_e64 s0, 0, v2
	v_cndmask_b32_e64 v23, v23, v1, s0
; %bb.79:                               ;   in Loop: Header=BB169_33 Depth=1
	s_or_b32 exec_lo, exec_lo, s6
	v_and_b32_e32 v39, 0xffff0000, v24
	v_lshlrev_b32_e32 v1, 16, v40
                                        ; implicit-def: $vgpr24
	s_delay_alu instid0(VALU_DEP_1) | instskip(NEXT) | instid1(VALU_DEP_1)
	v_mul_f32_e32 v1, v39, v1
	v_and_b32_e32 v2, 0x7f800000, v1
	s_delay_alu instid0(VALU_DEP_1) | instskip(NEXT) | instid1(VALU_DEP_1)
	v_cmp_ne_u32_e64 s0, 0x7f800000, v2
	s_and_saveexec_b32 s6, s0
	s_delay_alu instid0(SALU_CYCLE_1)
	s_xor_b32 s0, exec_lo, s6
; %bb.80:                               ;   in Loop: Header=BB169_33 Depth=1
	v_bfe_u32 v2, v1, 16, 1
	s_delay_alu instid0(VALU_DEP_1)
	v_add3_u32 v24, v1, v2, 0x7fff
                                        ; implicit-def: $vgpr1
; %bb.81:                               ;   in Loop: Header=BB169_33 Depth=1
	s_and_not1_saveexec_b32 s6, s0
; %bb.82:                               ;   in Loop: Header=BB169_33 Depth=1
	v_and_b32_e32 v2, 0xffff, v1
	v_or_b32_e32 v24, 0x10000, v1
	s_delay_alu instid0(VALU_DEP_2) | instskip(NEXT) | instid1(VALU_DEP_1)
	v_cmp_eq_u32_e64 s0, 0, v2
	v_cndmask_b32_e64 v24, v24, v1, s0
; %bb.83:                               ;   in Loop: Header=BB169_33 Depth=1
	s_or_b32 exec_lo, exec_lo, s6
	v_and_b32_e32 v40, 0xffff0000, v25
	v_lshlrev_b32_e32 v1, 16, v3
                                        ; implicit-def: $vgpr25
	s_delay_alu instid0(VALU_DEP_1) | instskip(NEXT) | instid1(VALU_DEP_1)
	v_mul_f32_e32 v1, v40, v1
	v_and_b32_e32 v2, 0x7f800000, v1
	s_delay_alu instid0(VALU_DEP_1) | instskip(NEXT) | instid1(VALU_DEP_1)
	v_cmp_ne_u32_e64 s0, 0x7f800000, v2
	s_and_saveexec_b32 s6, s0
	s_delay_alu instid0(SALU_CYCLE_1)
	s_xor_b32 s0, exec_lo, s6
; %bb.84:                               ;   in Loop: Header=BB169_33 Depth=1
	v_bfe_u32 v2, v1, 16, 1
	s_delay_alu instid0(VALU_DEP_1)
	v_add3_u32 v25, v1, v2, 0x7fff
                                        ; implicit-def: $vgpr1
; %bb.85:                               ;   in Loop: Header=BB169_33 Depth=1
	s_and_not1_saveexec_b32 s6, s0
; %bb.86:                               ;   in Loop: Header=BB169_33 Depth=1
	v_and_b32_e32 v2, 0xffff, v1
	v_or_b32_e32 v3, 0x10000, v1
	s_delay_alu instid0(VALU_DEP_2) | instskip(NEXT) | instid1(VALU_DEP_1)
	v_cmp_eq_u32_e64 s0, 0, v2
	v_cndmask_b32_e64 v25, v3, v1, s0
; %bb.87:                               ;   in Loop: Header=BB169_33 Depth=1
	s_or_b32 exec_lo, exec_lo, s6
	v_and_b32_e32 v41, 0xffff0000, v26
	v_lshlrev_b32_e32 v1, 16, v42
                                        ; implicit-def: $vgpr26
	s_delay_alu instid0(VALU_DEP_1) | instskip(NEXT) | instid1(VALU_DEP_1)
	v_mul_f32_e32 v1, v41, v1
	v_and_b32_e32 v2, 0x7f800000, v1
	s_delay_alu instid0(VALU_DEP_1) | instskip(NEXT) | instid1(VALU_DEP_1)
	v_cmp_ne_u32_e64 s0, 0x7f800000, v2
	s_and_saveexec_b32 s6, s0
	s_delay_alu instid0(SALU_CYCLE_1)
	s_xor_b32 s0, exec_lo, s6
; %bb.88:                               ;   in Loop: Header=BB169_33 Depth=1
	v_bfe_u32 v2, v1, 16, 1
	s_delay_alu instid0(VALU_DEP_1)
	v_add3_u32 v26, v1, v2, 0x7fff
                                        ; implicit-def: $vgpr1
; %bb.89:                               ;   in Loop: Header=BB169_33 Depth=1
	s_and_not1_saveexec_b32 s6, s0
; %bb.90:                               ;   in Loop: Header=BB169_33 Depth=1
	v_and_b32_e32 v2, 0xffff, v1
	v_or_b32_e32 v3, 0x10000, v1
	s_delay_alu instid0(VALU_DEP_2) | instskip(NEXT) | instid1(VALU_DEP_1)
	v_cmp_eq_u32_e64 s0, 0, v2
	v_cndmask_b32_e64 v26, v3, v1, s0
; %bb.91:                               ;   in Loop: Header=BB169_33 Depth=1
	s_or_b32 exec_lo, exec_lo, s6
	v_and_b32_e32 v42, 0xffff0000, v27
	v_lshlrev_b32_e32 v1, 16, v4
                                        ; implicit-def: $vgpr27
	s_delay_alu instid0(VALU_DEP_1) | instskip(NEXT) | instid1(VALU_DEP_1)
	v_mul_f32_e32 v1, v42, v1
	v_and_b32_e32 v2, 0x7f800000, v1
	s_delay_alu instid0(VALU_DEP_1) | instskip(NEXT) | instid1(VALU_DEP_1)
	v_cmp_ne_u32_e64 s0, 0x7f800000, v2
	s_and_saveexec_b32 s6, s0
	s_delay_alu instid0(SALU_CYCLE_1)
	s_xor_b32 s0, exec_lo, s6
; %bb.92:                               ;   in Loop: Header=BB169_33 Depth=1
	v_bfe_u32 v2, v1, 16, 1
	s_delay_alu instid0(VALU_DEP_1)
	v_add3_u32 v27, v1, v2, 0x7fff
                                        ; implicit-def: $vgpr1
; %bb.93:                               ;   in Loop: Header=BB169_33 Depth=1
	s_and_not1_saveexec_b32 s6, s0
; %bb.94:                               ;   in Loop: Header=BB169_33 Depth=1
	v_and_b32_e32 v2, 0xffff, v1
	v_or_b32_e32 v3, 0x10000, v1
	s_delay_alu instid0(VALU_DEP_2) | instskip(NEXT) | instid1(VALU_DEP_1)
	v_cmp_eq_u32_e64 s0, 0, v2
	v_cndmask_b32_e64 v27, v3, v1, s0
; %bb.95:                               ;   in Loop: Header=BB169_33 Depth=1
	s_or_b32 exec_lo, exec_lo, s6
	v_and_b32_e32 v43, 0xffff0000, v35
	v_lshlrev_b32_e32 v1, 16, v44
                                        ; implicit-def: $vgpr35
	s_delay_alu instid0(VALU_DEP_1) | instskip(NEXT) | instid1(VALU_DEP_1)
	v_mul_f32_e32 v1, v43, v1
	v_and_b32_e32 v2, 0x7f800000, v1
	s_delay_alu instid0(VALU_DEP_1) | instskip(NEXT) | instid1(VALU_DEP_1)
	v_cmp_ne_u32_e64 s0, 0x7f800000, v2
	s_and_saveexec_b32 s6, s0
	s_delay_alu instid0(SALU_CYCLE_1)
	s_xor_b32 s0, exec_lo, s6
; %bb.96:                               ;   in Loop: Header=BB169_33 Depth=1
	v_bfe_u32 v2, v1, 16, 1
	s_delay_alu instid0(VALU_DEP_1)
	v_add3_u32 v35, v1, v2, 0x7fff
                                        ; implicit-def: $vgpr1
; %bb.97:                               ;   in Loop: Header=BB169_33 Depth=1
	s_and_not1_saveexec_b32 s6, s0
; %bb.98:                               ;   in Loop: Header=BB169_33 Depth=1
	v_and_b32_e32 v2, 0xffff, v1
	v_or_b32_e32 v3, 0x10000, v1
	s_delay_alu instid0(VALU_DEP_2) | instskip(NEXT) | instid1(VALU_DEP_1)
	v_cmp_eq_u32_e64 s0, 0, v2
	v_cndmask_b32_e64 v35, v3, v1, s0
; %bb.99:                               ;   in Loop: Header=BB169_33 Depth=1
	s_or_b32 exec_lo, exec_lo, s6
	global_load_b128 v[1:4], v[5:6], off offset:512
	s_waitcnt vmcnt(0)
	v_lshrrev_b32_e32 v6, 16, v1
	v_lshrrev_b32_e32 v45, 16, v2
	;; [unrolled: 1-line block ×4, first 2 shown]
	s_and_saveexec_b32 s0, vcc_lo
	s_cbranch_execz .LBB169_101
; %bb.100:                              ;   in Loop: Header=BB169_33 Depth=1
	v_cmp_gt_i32_e32 vcc_lo, s30, v28
	v_cndmask_b32_e32 v1, 0, v1, vcc_lo
	v_cmp_gt_i32_e32 vcc_lo, s30, v34
	v_cndmask_b32_e32 v6, 0, v6, vcc_lo
	;; [unrolled: 2-line block ×8, first 2 shown]
.LBB169_101:                            ;   in Loop: Header=BB169_33 Depth=1
	s_or_b32 exec_lo, exec_lo, s0
	v_lshlrev_b32_e32 v1, 16, v1
	s_delay_alu instid0(VALU_DEP_1) | instskip(NEXT) | instid1(VALU_DEP_1)
	v_mul_f32_e32 v28, v36, v1
	v_and_b32_e32 v1, 0x7f800000, v28
	s_delay_alu instid0(VALU_DEP_1) | instskip(SKIP_1) | instid1(SALU_CYCLE_1)
	v_cmp_ne_u32_e32 vcc_lo, 0x7f800000, v1
                                        ; implicit-def: $vgpr1
	s_and_saveexec_b32 s0, vcc_lo
	s_xor_b32 s0, exec_lo, s0
; %bb.102:                              ;   in Loop: Header=BB169_33 Depth=1
	v_bfe_u32 v1, v28, 16, 1
	s_delay_alu instid0(VALU_DEP_1)
	v_add3_u32 v1, v28, v1, 0x7fff
                                        ; implicit-def: $vgpr28
; %bb.103:                              ;   in Loop: Header=BB169_33 Depth=1
	s_and_not1_saveexec_b32 s0, s0
; %bb.104:                              ;   in Loop: Header=BB169_33 Depth=1
	v_and_b32_e32 v1, 0xffff, v28
	v_or_b32_e32 v29, 0x10000, v28
	s_delay_alu instid0(VALU_DEP_2) | instskip(NEXT) | instid1(VALU_DEP_2)
	v_cmp_eq_u32_e32 vcc_lo, 0, v1
	v_cndmask_b32_e32 v1, v29, v28, vcc_lo
; %bb.105:                              ;   in Loop: Header=BB169_33 Depth=1
	s_or_b32 exec_lo, exec_lo, s0
	v_lshlrev_b32_e32 v6, 16, v6
	s_delay_alu instid0(VALU_DEP_1) | instskip(NEXT) | instid1(VALU_DEP_1)
	v_mul_f32_e32 v28, v37, v6
	v_and_b32_e32 v6, 0x7f800000, v28
	s_delay_alu instid0(VALU_DEP_1) | instskip(SKIP_1) | instid1(SALU_CYCLE_1)
	v_cmp_ne_u32_e32 vcc_lo, 0x7f800000, v6
                                        ; implicit-def: $vgpr6
	s_and_saveexec_b32 s0, vcc_lo
	s_xor_b32 s0, exec_lo, s0
; %bb.106:                              ;   in Loop: Header=BB169_33 Depth=1
	v_bfe_u32 v6, v28, 16, 1
	s_delay_alu instid0(VALU_DEP_1)
	v_add3_u32 v6, v28, v6, 0x7fff
                                        ; implicit-def: $vgpr28
; %bb.107:                              ;   in Loop: Header=BB169_33 Depth=1
	s_and_not1_saveexec_b32 s0, s0
; %bb.108:                              ;   in Loop: Header=BB169_33 Depth=1
	v_and_b32_e32 v6, 0xffff, v28
	v_or_b32_e32 v29, 0x10000, v28
	s_delay_alu instid0(VALU_DEP_2) | instskip(NEXT) | instid1(VALU_DEP_2)
	v_cmp_eq_u32_e32 vcc_lo, 0, v6
	v_cndmask_b32_e32 v6, v29, v28, vcc_lo
; %bb.109:                              ;   in Loop: Header=BB169_33 Depth=1
	s_or_b32 exec_lo, exec_lo, s0
	v_lshlrev_b32_e32 v2, 16, v2
	s_delay_alu instid0(VALU_DEP_1) | instskip(NEXT) | instid1(VALU_DEP_1)
	v_mul_f32_e32 v28, v38, v2
	v_and_b32_e32 v2, 0x7f800000, v28
	s_delay_alu instid0(VALU_DEP_1) | instskip(SKIP_1) | instid1(SALU_CYCLE_1)
	v_cmp_ne_u32_e32 vcc_lo, 0x7f800000, v2
                                        ; implicit-def: $vgpr2
	s_and_saveexec_b32 s0, vcc_lo
	s_xor_b32 s0, exec_lo, s0
; %bb.110:                              ;   in Loop: Header=BB169_33 Depth=1
	v_bfe_u32 v2, v28, 16, 1
	s_delay_alu instid0(VALU_DEP_1)
	v_add3_u32 v2, v28, v2, 0x7fff
                                        ; implicit-def: $vgpr28
; %bb.111:                              ;   in Loop: Header=BB169_33 Depth=1
	s_and_not1_saveexec_b32 s0, s0
; %bb.112:                              ;   in Loop: Header=BB169_33 Depth=1
	v_and_b32_e32 v2, 0xffff, v28
	v_or_b32_e32 v29, 0x10000, v28
	s_delay_alu instid0(VALU_DEP_2) | instskip(NEXT) | instid1(VALU_DEP_2)
	v_cmp_eq_u32_e32 vcc_lo, 0, v2
	v_cndmask_b32_e32 v2, v29, v28, vcc_lo
; %bb.113:                              ;   in Loop: Header=BB169_33 Depth=1
	s_or_b32 exec_lo, exec_lo, s0
	v_lshlrev_b32_e32 v28, 16, v45
	s_delay_alu instid0(VALU_DEP_1) | instskip(NEXT) | instid1(VALU_DEP_1)
	v_mul_f32_e32 v29, v39, v28
	v_and_b32_e32 v28, 0x7f800000, v29
	s_delay_alu instid0(VALU_DEP_1) | instskip(SKIP_1) | instid1(SALU_CYCLE_1)
	v_cmp_ne_u32_e32 vcc_lo, 0x7f800000, v28
                                        ; implicit-def: $vgpr28
	s_and_saveexec_b32 s0, vcc_lo
	s_xor_b32 s0, exec_lo, s0
; %bb.114:                              ;   in Loop: Header=BB169_33 Depth=1
	v_bfe_u32 v28, v29, 16, 1
	s_delay_alu instid0(VALU_DEP_1)
	v_add3_u32 v28, v29, v28, 0x7fff
                                        ; implicit-def: $vgpr29
; %bb.115:                              ;   in Loop: Header=BB169_33 Depth=1
	s_and_not1_saveexec_b32 s0, s0
; %bb.116:                              ;   in Loop: Header=BB169_33 Depth=1
	v_and_b32_e32 v28, 0xffff, v29
	v_or_b32_e32 v30, 0x10000, v29
	s_delay_alu instid0(VALU_DEP_2) | instskip(NEXT) | instid1(VALU_DEP_2)
	v_cmp_eq_u32_e32 vcc_lo, 0, v28
	v_cndmask_b32_e32 v28, v30, v29, vcc_lo
; %bb.117:                              ;   in Loop: Header=BB169_33 Depth=1
	s_or_b32 exec_lo, exec_lo, s0
	v_lshlrev_b32_e32 v3, 16, v3
	s_delay_alu instid0(VALU_DEP_1) | instskip(NEXT) | instid1(VALU_DEP_1)
	v_mul_f32_e32 v29, v40, v3
	v_and_b32_e32 v3, 0x7f800000, v29
	s_delay_alu instid0(VALU_DEP_1) | instskip(SKIP_1) | instid1(SALU_CYCLE_1)
	v_cmp_ne_u32_e32 vcc_lo, 0x7f800000, v3
                                        ; implicit-def: $vgpr3
	s_and_saveexec_b32 s0, vcc_lo
	s_xor_b32 s0, exec_lo, s0
; %bb.118:                              ;   in Loop: Header=BB169_33 Depth=1
	v_bfe_u32 v3, v29, 16, 1
	s_delay_alu instid0(VALU_DEP_1)
	v_add3_u32 v3, v29, v3, 0x7fff
                                        ; implicit-def: $vgpr29
; %bb.119:                              ;   in Loop: Header=BB169_33 Depth=1
	s_and_not1_saveexec_b32 s0, s0
; %bb.120:                              ;   in Loop: Header=BB169_33 Depth=1
	v_and_b32_e32 v3, 0xffff, v29
	v_or_b32_e32 v30, 0x10000, v29
	s_delay_alu instid0(VALU_DEP_2) | instskip(NEXT) | instid1(VALU_DEP_2)
	v_cmp_eq_u32_e32 vcc_lo, 0, v3
	v_cndmask_b32_e32 v3, v30, v29, vcc_lo
; %bb.121:                              ;   in Loop: Header=BB169_33 Depth=1
	s_or_b32 exec_lo, exec_lo, s0
	v_lshlrev_b32_e32 v29, 16, v44
	s_delay_alu instid0(VALU_DEP_1) | instskip(NEXT) | instid1(VALU_DEP_1)
	v_mul_f32_e32 v30, v41, v29
	v_and_b32_e32 v29, 0x7f800000, v30
	s_delay_alu instid0(VALU_DEP_1) | instskip(SKIP_1) | instid1(SALU_CYCLE_1)
	v_cmp_ne_u32_e32 vcc_lo, 0x7f800000, v29
                                        ; implicit-def: $vgpr29
	s_and_saveexec_b32 s0, vcc_lo
	s_xor_b32 s0, exec_lo, s0
; %bb.122:                              ;   in Loop: Header=BB169_33 Depth=1
	v_bfe_u32 v29, v30, 16, 1
	s_delay_alu instid0(VALU_DEP_1)
	v_add3_u32 v29, v30, v29, 0x7fff
                                        ; implicit-def: $vgpr30
; %bb.123:                              ;   in Loop: Header=BB169_33 Depth=1
	s_and_not1_saveexec_b32 s0, s0
; %bb.124:                              ;   in Loop: Header=BB169_33 Depth=1
	v_and_b32_e32 v29, 0xffff, v30
	v_or_b32_e32 v31, 0x10000, v30
	s_delay_alu instid0(VALU_DEP_2) | instskip(NEXT) | instid1(VALU_DEP_2)
	v_cmp_eq_u32_e32 vcc_lo, 0, v29
	v_cndmask_b32_e32 v29, v31, v30, vcc_lo
; %bb.125:                              ;   in Loop: Header=BB169_33 Depth=1
	s_or_b32 exec_lo, exec_lo, s0
	v_lshlrev_b32_e32 v4, 16, v4
	s_delay_alu instid0(VALU_DEP_1) | instskip(NEXT) | instid1(VALU_DEP_1)
	v_mul_f32_e32 v30, v42, v4
	v_and_b32_e32 v4, 0x7f800000, v30
	s_delay_alu instid0(VALU_DEP_1) | instskip(SKIP_1) | instid1(SALU_CYCLE_1)
	v_cmp_ne_u32_e32 vcc_lo, 0x7f800000, v4
                                        ; implicit-def: $vgpr4
	s_and_saveexec_b32 s0, vcc_lo
	s_xor_b32 s0, exec_lo, s0
; %bb.126:                              ;   in Loop: Header=BB169_33 Depth=1
	v_bfe_u32 v4, v30, 16, 1
	s_delay_alu instid0(VALU_DEP_1)
	v_add3_u32 v4, v30, v4, 0x7fff
                                        ; implicit-def: $vgpr30
; %bb.127:                              ;   in Loop: Header=BB169_33 Depth=1
	s_and_not1_saveexec_b32 s0, s0
; %bb.128:                              ;   in Loop: Header=BB169_33 Depth=1
	v_and_b32_e32 v4, 0xffff, v30
	v_or_b32_e32 v31, 0x10000, v30
	s_delay_alu instid0(VALU_DEP_2) | instskip(NEXT) | instid1(VALU_DEP_2)
	v_cmp_eq_u32_e32 vcc_lo, 0, v4
	v_cndmask_b32_e32 v4, v31, v30, vcc_lo
; %bb.129:                              ;   in Loop: Header=BB169_33 Depth=1
	s_or_b32 exec_lo, exec_lo, s0
	v_lshlrev_b32_e32 v5, 16, v5
	s_delay_alu instid0(VALU_DEP_1) | instskip(NEXT) | instid1(VALU_DEP_1)
	v_mul_f32_e32 v30, v43, v5
	v_and_b32_e32 v5, 0x7f800000, v30
	s_delay_alu instid0(VALU_DEP_1) | instskip(SKIP_1) | instid1(SALU_CYCLE_1)
	v_cmp_ne_u32_e32 vcc_lo, 0x7f800000, v5
                                        ; implicit-def: $vgpr5
	s_and_saveexec_b32 s0, vcc_lo
	s_xor_b32 s0, exec_lo, s0
; %bb.130:                              ;   in Loop: Header=BB169_33 Depth=1
	v_bfe_u32 v5, v30, 16, 1
	s_delay_alu instid0(VALU_DEP_1)
	v_add3_u32 v5, v30, v5, 0x7fff
                                        ; implicit-def: $vgpr30
; %bb.131:                              ;   in Loop: Header=BB169_33 Depth=1
	s_and_not1_saveexec_b32 s0, s0
	s_cbranch_execz .LBB169_32
; %bb.132:                              ;   in Loop: Header=BB169_33 Depth=1
	v_and_b32_e32 v5, 0xffff, v30
	v_or_b32_e32 v31, 0x10000, v30
	s_delay_alu instid0(VALU_DEP_2) | instskip(NEXT) | instid1(VALU_DEP_2)
	v_cmp_eq_u32_e32 vcc_lo, 0, v5
	v_cndmask_b32_e32 v5, v31, v30, vcc_lo
	s_branch .LBB169_32
.LBB169_133:
	s_or_b32 exec_lo, exec_lo, s3
.LBB169_134:
	s_delay_alu instid0(SALU_CYCLE_1)
	s_or_b32 exec_lo, exec_lo, s1
	ds_bpermute_b32 v1, v16, v17
	ds_bpermute_b32 v4, v16, v18
	v_and_b32_e32 v5, 0x3c1, v0
	v_lshrrev_b32_e32 v3, 1, v15
	s_mov_b32 s0, exec_lo
	s_waitcnt lgkmcnt(0)
	s_waitcnt_vscnt null, 0x0
	s_barrier
	buffer_gl0_inv
	v_dual_add_f32 v2, v17, v1 :: v_dual_add_f32 v1, v18, v4
	v_cmpx_eq_u32_e32 64, v5
	s_cbranch_execz .LBB169_136
; %bb.135:
	v_lshl_add_u32 v4, v14, 7, 0x60
	v_lshlrev_b32_e32 v5, 2, v3
	s_delay_alu instid0(VALU_DEP_1)
	v_add3_u32 v4, v4, v5, 0xffffff00
	ds_store_2addr_b32 v4, v2, v1 offset1:16
.LBB169_136:
	s_or_b32 exec_lo, exec_lo, s0
	v_and_b32_e32 v4, 0x3e0, v0
	v_cmp_eq_u32_e32 vcc_lo, 0, v13
	s_mov_b32 s1, exec_lo
	s_waitcnt lgkmcnt(0)
	s_barrier
	v_lshl_add_u32 v4, v4, 2, 0x60
	buffer_gl0_inv
	v_cmpx_gt_u32_e32 64, v0
	s_cbranch_execz .LBB169_142
; %bb.137:
	s_and_saveexec_b32 s0, vcc_lo
	s_cbranch_execz .LBB169_139
; %bb.138:
	v_lshl_add_u32 v5, v3, 2, v4
	ds_load_b32 v5, v5
	s_waitcnt lgkmcnt(0)
	v_add_f32_e32 v2, v2, v5
.LBB169_139:
	s_or_b32 exec_lo, exec_lo, s0
	s_and_saveexec_b32 s0, vcc_lo
	s_cbranch_execz .LBB169_141
; %bb.140:
	v_lshl_add_u32 v5, v3, 2, v4
	ds_load_b32 v5, v5 offset:64
	s_waitcnt lgkmcnt(0)
	v_add_f32_e32 v1, v1, v5
.LBB169_141:
	s_or_b32 exec_lo, exec_lo, s0
.LBB169_142:
	s_delay_alu instid0(SALU_CYCLE_1)
	s_or_b32 exec_lo, exec_lo, s1
	v_and_b32_e32 v5, 0x3e1, v0
	s_mov_b32 s1, exec_lo
	s_barrier
	buffer_gl0_inv
	v_cmpx_eq_u32_e32 32, v5
	s_cbranch_execz .LBB169_144
; %bb.143:
	v_lshl_add_u32 v5, v3, 2, 0x60
	ds_store_2addr_b32 v5, v2, v1 offset1:16
.LBB169_144:
	s_or_b32 exec_lo, exec_lo, s1
	v_cmp_gt_u32_e64 s0, 32, v0
	s_waitcnt lgkmcnt(0)
	s_barrier
	buffer_gl0_inv
	s_and_saveexec_b32 s1, s0
	s_cbranch_execz .LBB169_150
; %bb.145:
	v_lshl_add_u32 v0, v3, 2, v4
	s_and_saveexec_b32 s2, vcc_lo
	s_cbranch_execz .LBB169_147
; %bb.146:
	ds_load_b32 v3, v0
	s_waitcnt lgkmcnt(0)
	v_add_f32_e32 v2, v2, v3
.LBB169_147:
	s_or_b32 exec_lo, exec_lo, s2
	s_and_saveexec_b32 s2, vcc_lo
	s_cbranch_execz .LBB169_149
; %bb.148:
	ds_load_b32 v0, v0 offset:64
	s_waitcnt lgkmcnt(0)
	v_add_f32_e32 v1, v1, v0
.LBB169_149:
	s_or_b32 exec_lo, exec_lo, s2
.LBB169_150:
	s_delay_alu instid0(SALU_CYCLE_1)
	s_or_b32 exec_lo, exec_lo, s1
	s_barrier
	buffer_gl0_inv
	s_and_saveexec_b32 s1, s0
	s_cbranch_execz .LBB169_161
; %bb.151:
	s_and_b32 exec_lo, exec_lo, vcc_lo
	s_cbranch_execz .LBB169_161
; %bb.152:
	v_and_b32_e32 v0, 0x7f800000, v2
	s_delay_alu instid0(VALU_DEP_1) | instskip(SKIP_1) | instid1(SALU_CYCLE_1)
	v_cmp_ne_u32_e32 vcc_lo, 0x7f800000, v0
                                        ; implicit-def: $vgpr0
	s_and_saveexec_b32 s0, vcc_lo
	s_xor_b32 s0, exec_lo, s0
; %bb.153:
	v_bfe_u32 v0, v2, 16, 1
	s_delay_alu instid0(VALU_DEP_1)
	v_add3_u32 v0, v2, v0, 0x7fff
; %bb.154:
	s_and_not1_saveexec_b32 s0, s0
; %bb.155:
	v_and_b32_e32 v0, 0xffff, v2
	v_or_b32_e32 v3, 0x10000, v2
	s_delay_alu instid0(VALU_DEP_2) | instskip(NEXT) | instid1(VALU_DEP_2)
	v_cmp_eq_u32_e32 vcc_lo, 0, v0
	v_cndmask_b32_e32 v0, v3, v2, vcc_lo
; %bb.156:
	s_or_b32 exec_lo, exec_lo, s0
	s_mul_i32 s0, s13, s14
	s_mul_i32 s2, s13, s12
	;; [unrolled: 1-line block ×3, first 2 shown]
	v_lshlrev_b32_e32 v4, 1, v12
	s_lshl_b32 s0, s0, 5
	v_and_b32_e32 v5, 0x7f800000, v1
	s_ashr_i32 s1, s0, 31
	s_delay_alu instid0(SALU_CYCLE_1) | instskip(NEXT) | instid1(SALU_CYCLE_1)
	s_lshl_b64 s[0:1], s[0:1], 1
	s_add_u32 s5, s16, s0
	s_addc_u32 s6, s17, s1
	s_ashr_i32 s3, s2, 31
	s_delay_alu instid0(SALU_CYCLE_1) | instskip(NEXT) | instid1(SALU_CYCLE_1)
	s_lshl_b64 s[0:1], s[2:3], 1
	s_add_u32 s2, s5, s0
	s_addc_u32 s3, s6, s1
	;; [unrolled: 5-line block ×3, first 2 shown]
	v_add_co_u32 v2, s2, s0, v4
	s_delay_alu instid0(VALU_DEP_1)
	v_add_co_ci_u32_e64 v3, null, s1, 0, s2
	global_store_d16_hi_b16 v4, v0, s[0:1]
	s_mov_b32 s0, exec_lo
                                        ; implicit-def: $vgpr4
	v_cmpx_ne_u32_e32 0x7f800000, v5
	s_xor_b32 s0, exec_lo, s0
; %bb.157:
	v_bfe_u32 v0, v1, 16, 1
	s_delay_alu instid0(VALU_DEP_1)
	v_add3_u32 v4, v1, v0, 0x7fff
                                        ; implicit-def: $vgpr0_vgpr1
; %bb.158:
	s_and_not1_saveexec_b32 s0, s0
; %bb.159:
	v_and_b32_e32 v0, 0xffff, v1
	v_or_b32_e32 v4, 0x10000, v1
	s_delay_alu instid0(VALU_DEP_2) | instskip(NEXT) | instid1(VALU_DEP_2)
	v_cmp_eq_u32_e32 vcc_lo, 0, v0
	v_cndmask_b32_e32 v4, v4, v1, vcc_lo
; %bb.160:
	s_or_b32 exec_lo, exec_lo, s0
	global_store_d16_hi_b16 v[2:3], v4, off offset:32
.LBB169_161:
	s_nop 0
	s_sendmsg sendmsg(MSG_DEALLOC_VGPRS)
	s_endpgm
	.section	.rodata,"a",@progbits
	.p2align	6, 0x0
	.amdhsa_kernel _ZN4vllm25paged_attention_v2_kernelI14__hip_bfloat16S1_Li32ELi16ELi128ELNS_18Fp8KVCacheDataTypeE0ELb0ELi512EEEvPfS3_PT_PKS4_PKT0_SA_ifPKiSC_iPKfiiiSE_SE_iiiii
		.amdhsa_group_segment_fixed_size 96
		.amdhsa_private_segment_fixed_size 0
		.amdhsa_kernarg_size 400
		.amdhsa_user_sgpr_count 13
		.amdhsa_user_sgpr_dispatch_ptr 0
		.amdhsa_user_sgpr_queue_ptr 0
		.amdhsa_user_sgpr_kernarg_segment_ptr 1
		.amdhsa_user_sgpr_dispatch_id 0
		.amdhsa_user_sgpr_private_segment_size 0
		.amdhsa_wavefront_size32 1
		.amdhsa_uses_dynamic_stack 0
		.amdhsa_enable_private_segment 0
		.amdhsa_system_sgpr_workgroup_id_x 1
		.amdhsa_system_sgpr_workgroup_id_y 1
		.amdhsa_system_sgpr_workgroup_id_z 1
		.amdhsa_system_sgpr_workgroup_info 0
		.amdhsa_system_vgpr_workitem_id 0
		.amdhsa_next_free_vgpr 49
		.amdhsa_next_free_sgpr 38
		.amdhsa_reserve_vcc 1
		.amdhsa_float_round_mode_32 0
		.amdhsa_float_round_mode_16_64 0
		.amdhsa_float_denorm_mode_32 3
		.amdhsa_float_denorm_mode_16_64 3
		.amdhsa_dx10_clamp 1
		.amdhsa_ieee_mode 1
		.amdhsa_fp16_overflow 0
		.amdhsa_workgroup_processor_mode 1
		.amdhsa_memory_ordered 1
		.amdhsa_forward_progress 0
		.amdhsa_shared_vgpr_count 0
		.amdhsa_exception_fp_ieee_invalid_op 0
		.amdhsa_exception_fp_denorm_src 0
		.amdhsa_exception_fp_ieee_div_zero 0
		.amdhsa_exception_fp_ieee_overflow 0
		.amdhsa_exception_fp_ieee_underflow 0
		.amdhsa_exception_fp_ieee_inexact 0
		.amdhsa_exception_int_div_zero 0
	.end_amdhsa_kernel
	.section	.text._ZN4vllm25paged_attention_v2_kernelI14__hip_bfloat16S1_Li32ELi16ELi128ELNS_18Fp8KVCacheDataTypeE0ELb0ELi512EEEvPfS3_PT_PKS4_PKT0_SA_ifPKiSC_iPKfiiiSE_SE_iiiii,"axG",@progbits,_ZN4vllm25paged_attention_v2_kernelI14__hip_bfloat16S1_Li32ELi16ELi128ELNS_18Fp8KVCacheDataTypeE0ELb0ELi512EEEvPfS3_PT_PKS4_PKT0_SA_ifPKiSC_iPKfiiiSE_SE_iiiii,comdat
.Lfunc_end169:
	.size	_ZN4vllm25paged_attention_v2_kernelI14__hip_bfloat16S1_Li32ELi16ELi128ELNS_18Fp8KVCacheDataTypeE0ELb0ELi512EEEvPfS3_PT_PKS4_PKT0_SA_ifPKiSC_iPKfiiiSE_SE_iiiii, .Lfunc_end169-_ZN4vllm25paged_attention_v2_kernelI14__hip_bfloat16S1_Li32ELi16ELi128ELNS_18Fp8KVCacheDataTypeE0ELb0ELi512EEEvPfS3_PT_PKS4_PKT0_SA_ifPKiSC_iPKfiiiSE_SE_iiiii
                                        ; -- End function
	.section	.AMDGPU.csdata,"",@progbits
; Kernel info:
; codeLenInByte = 6648
; NumSgprs: 40
; NumVgprs: 49
; ScratchSize: 0
; MemoryBound: 0
; FloatMode: 240
; IeeeMode: 1
; LDSByteSize: 96 bytes/workgroup (compile time only)
; SGPRBlocks: 4
; VGPRBlocks: 6
; NumSGPRsForWavesPerEU: 40
; NumVGPRsForWavesPerEU: 49
; Occupancy: 16
; WaveLimiterHint : 1
; COMPUTE_PGM_RSRC2:SCRATCH_EN: 0
; COMPUTE_PGM_RSRC2:USER_SGPR: 13
; COMPUTE_PGM_RSRC2:TRAP_HANDLER: 0
; COMPUTE_PGM_RSRC2:TGID_X_EN: 1
; COMPUTE_PGM_RSRC2:TGID_Y_EN: 1
; COMPUTE_PGM_RSRC2:TGID_Z_EN: 1
; COMPUTE_PGM_RSRC2:TIDIG_COMP_CNT: 0
	.section	.text._ZN4vllm25paged_attention_v2_kernelI14__hip_bfloat16S1_Li64ELi16ELi128ELNS_18Fp8KVCacheDataTypeE0ELb0ELi512EEEvPfS3_PT_PKS4_PKT0_SA_ifPKiSC_iPKfiiiSE_SE_iiiii,"axG",@progbits,_ZN4vllm25paged_attention_v2_kernelI14__hip_bfloat16S1_Li64ELi16ELi128ELNS_18Fp8KVCacheDataTypeE0ELb0ELi512EEEvPfS3_PT_PKS4_PKT0_SA_ifPKiSC_iPKfiiiSE_SE_iiiii,comdat
	.protected	_ZN4vllm25paged_attention_v2_kernelI14__hip_bfloat16S1_Li64ELi16ELi128ELNS_18Fp8KVCacheDataTypeE0ELb0ELi512EEEvPfS3_PT_PKS4_PKT0_SA_ifPKiSC_iPKfiiiSE_SE_iiiii ; -- Begin function _ZN4vllm25paged_attention_v2_kernelI14__hip_bfloat16S1_Li64ELi16ELi128ELNS_18Fp8KVCacheDataTypeE0ELb0ELi512EEEvPfS3_PT_PKS4_PKT0_SA_ifPKiSC_iPKfiiiSE_SE_iiiii
	.globl	_ZN4vllm25paged_attention_v2_kernelI14__hip_bfloat16S1_Li64ELi16ELi128ELNS_18Fp8KVCacheDataTypeE0ELb0ELi512EEEvPfS3_PT_PKS4_PKT0_SA_ifPKiSC_iPKfiiiSE_SE_iiiii
	.p2align	8
	.type	_ZN4vllm25paged_attention_v2_kernelI14__hip_bfloat16S1_Li64ELi16ELi128ELNS_18Fp8KVCacheDataTypeE0ELb0ELi512EEEvPfS3_PT_PKS4_PKT0_SA_ifPKiSC_iPKfiiiSE_SE_iiiii,@function
_ZN4vllm25paged_attention_v2_kernelI14__hip_bfloat16S1_Li64ELi16ELi128ELNS_18Fp8KVCacheDataTypeE0ELb0ELi512EEEvPfS3_PT_PKS4_PKT0_SA_ifPKiSC_iPKfiiiSE_SE_iiiii: ; @_ZN4vllm25paged_attention_v2_kernelI14__hip_bfloat16S1_Li64ELi16ELi128ELNS_18Fp8KVCacheDataTypeE0ELb0ELi512EEEvPfS3_PT_PKS4_PKT0_SA_ifPKiSC_iPKfiiiSE_SE_iiiii
; %bb.0:
	s_load_b64 s[2:3], s[0:1], 0x40
	s_mov_b32 s12, s15
	s_ashr_i32 s15, s14, 31
	s_delay_alu instid0(SALU_CYCLE_1)
	s_lshl_b64 s[4:5], s[14:15], 2
	s_waitcnt lgkmcnt(0)
	s_add_u32 s2, s2, s4
	s_addc_u32 s3, s3, s5
	s_lshl_b32 s31, s12, 9
	s_load_b32 s30, s[2:3], 0x0
	s_waitcnt lgkmcnt(0)
	s_cmp_ge_i32 s31, s30
	s_cbranch_scc1 .LBB170_239
; %bb.1:
	s_clause 0x1
	s_load_b32 s15, s[0:1], 0x90
	s_load_b64 s[28:29], s[0:1], 0x30
	s_mov_b32 s20, s13
	s_waitcnt lgkmcnt(0)
	s_abs_i32 s5, s15
	s_abs_i32 s2, s28
	s_delay_alu instid0(SALU_CYCLE_1) | instskip(SKIP_1) | instid1(VALU_DEP_1)
	v_cvt_f32_u32_e32 v1, s2
	s_sub_i32 s4, 0, s2
	v_rcp_iflag_f32_e32 v1, v1
	s_waitcnt_depctr 0xfff
	v_mul_f32_e32 v1, 0x4f7ffffe, v1
	s_delay_alu instid0(VALU_DEP_1) | instskip(NEXT) | instid1(VALU_DEP_1)
	v_cvt_u32_f32_e32 v1, v1
	v_readfirstlane_b32 s3, v1
	s_delay_alu instid0(VALU_DEP_1) | instskip(NEXT) | instid1(SALU_CYCLE_1)
	s_mul_i32 s4, s4, s3
	s_mul_hi_u32 s4, s3, s4
	s_delay_alu instid0(SALU_CYCLE_1)
	s_add_i32 s3, s3, s4
	s_xor_b32 s4, s15, s28
	s_mul_hi_u32 s3, s5, s3
	s_ashr_i32 s4, s4, 31
	s_mul_i32 s6, s3, s2
	s_mov_b32 s28, 0
	s_sub_i32 s5, s5, s6
	s_add_i32 s6, s3, 1
	s_sub_i32 s7, s5, s2
	s_cmp_ge_u32 s5, s2
	s_cselect_b32 s3, s6, s3
	s_cselect_b32 s5, s7, s5
	s_add_i32 s6, s3, 1
	s_cmp_ge_u32 s5, s2
	s_cselect_b32 s2, s6, s3
	s_abs_i32 s10, s13
	s_xor_b32 s2, s2, s4
	s_delay_alu instid0(SALU_CYCLE_1) | instskip(SKIP_2) | instid1(SALU_CYCLE_1)
	s_sub_i32 s11, s2, s4
	s_load_b64 s[2:3], s[0:1], 0x50
	s_abs_i32 s8, s11
	v_cvt_f32_u32_e32 v1, s8
	s_sub_i32 s5, 0, s8
	s_delay_alu instid0(VALU_DEP_1) | instskip(SKIP_2) | instid1(VALU_DEP_1)
	v_rcp_iflag_f32_e32 v1, v1
	s_waitcnt_depctr 0xfff
	v_mul_f32_e32 v1, 0x4f7ffffe, v1
	v_cvt_u32_f32_e32 v1, v1
	s_delay_alu instid0(VALU_DEP_1) | instskip(NEXT) | instid1(VALU_DEP_1)
	v_readfirstlane_b32 s4, v1
	s_mul_i32 s5, s5, s4
	s_delay_alu instid0(SALU_CYCLE_1) | instskip(NEXT) | instid1(SALU_CYCLE_1)
	s_mul_hi_u32 s5, s4, s5
	s_add_i32 s4, s4, s5
	s_waitcnt lgkmcnt(0)
	s_cmp_eq_u64 s[2:3], 0
	s_mul_hi_u32 s9, s10, s4
	s_cbranch_scc1 .LBB170_3
; %bb.2:
	s_ashr_i32 s21, s20, 31
	s_delay_alu instid0(SALU_CYCLE_1) | instskip(NEXT) | instid1(SALU_CYCLE_1)
	s_lshl_b64 s[4:5], s[20:21], 2
	s_add_u32 s2, s2, s4
	s_addc_u32 s3, s3, s5
	s_load_b32 s28, s[2:3], 0x0
.LBB170_3:
	s_load_b128 s[4:7], s[0:1], 0x58
	v_lshrrev_b32_e32 v12, 1, v0
	v_and_b32_e32 v13, 1, v0
	v_lshlrev_b32_e32 v3, 3, v0
	s_ashr_i32 s2, s20, 31
	s_ashr_i32 s3, s11, 31
	s_lshl_b32 s16, s20, 6
	s_waitcnt lgkmcnt(0)
	s_mov_b32 s7, exec_lo
	v_cmpx_gt_u32_e32 16, v0
	s_cbranch_execz .LBB170_5
; %bb.4:
	s_load_b64 s[18:19], s[0:1], 0x18
	s_mul_i32 s22, s14, s4
	v_lshlrev_b32_e32 v4, 3, v12
	s_ashr_i32 s23, s22, 31
	s_delay_alu instid0(SALU_CYCLE_1) | instskip(NEXT) | instid1(VALU_DEP_1)
	s_lshl_b64 s[22:23], s[22:23], 1
	v_lshl_add_u32 v4, v13, 6, v4
	s_waitcnt lgkmcnt(0)
	s_add_u32 s4, s18, s22
	s_addc_u32 s11, s19, s23
	s_ashr_i32 s17, s16, 31
	s_delay_alu instid0(SALU_CYCLE_1) | instskip(NEXT) | instid1(SALU_CYCLE_1)
	s_lshl_b64 s[18:19], s[16:17], 1
	s_add_u32 s18, s4, s18
	s_addc_u32 s19, s11, s19
	global_load_b64 v[1:2], v3, s[18:19]
	s_waitcnt vmcnt(0)
	ds_store_b64 v4, v[1:2]
.LBB170_5:
	s_or_b32 exec_lo, exec_lo, s7
	s_add_i32 s4, s30, 15
	s_lshl_b32 s13, s12, 5
	s_ashr_i32 s7, s4, 31
	s_xor_b32 s2, s2, s3
	s_lshr_b32 s7, s7, 28
	s_add_i32 s3, s13, 32
	s_add_i32 s4, s4, s7
	s_clause 0x1
	s_load_b64 s[22:23], s[0:1], 0x38
	s_load_b32 s7, s[0:1], 0x48
	s_ashr_i32 s21, s4, 4
	s_mul_i32 s4, s9, s8
	s_min_i32 s17, s3, s21
	s_sub_i32 s3, s10, s4
	s_add_i32 s4, s9, 1
	s_sub_i32 s10, s3, s8
	s_cmp_ge_u32 s3, s8
	v_lshrrev_b32_e32 v14, 5, v0
	s_cselect_b32 s4, s4, s9
	s_cselect_b32 s3, s10, s3
	s_add_i32 s9, s4, 1
	s_cmp_ge_u32 s3, s8
	v_or_b32_e32 v9, s13, v14
	s_cselect_b32 s3, s9, s4
	v_mbcnt_lo_u32_b32 v4, -1, 0
	s_xor_b32 s3, s3, s2
	s_mov_b32 s4, exec_lo
	s_sub_i32 s3, s3, s2
	v_cmp_gt_i32_e64 s2, s17, v9
	s_waitcnt lgkmcnt(0)
	s_mul_i32 s24, s14, s7
	s_delay_alu instid0(SALU_CYCLE_1)
	s_ashr_i32 s25, s24, 31
	s_barrier
	buffer_gl0_inv
                                        ; implicit-def: $sgpr7
                                        ; implicit-def: $vgpr5
	v_cmpx_le_i32_e64 s17, v9
	s_xor_b32 s4, exec_lo, s4
; %bb.6:
	v_mbcnt_lo_u32_b32 v4, -1, 0
	v_mov_b32_e32 v5, 32
	s_mov_b32 s7, 0xff7fffff
; %bb.7:
	s_or_saveexec_b32 s33, s4
	s_clause 0x3
	s_load_b128 s[8:11], s[0:1], 0x0
	s_load_b64 s[18:19], s[0:1], 0x10
	s_load_b64 s[26:27], s[0:1], 0x28
	s_load_b32 s4, s[0:1], 0x98
	v_mov_b32_e32 v42, s7
	v_ashrrev_i32_e32 v10, 31, v9
	s_mul_i32 s6, s3, s6
	s_xor_b32 exec_lo, exec_lo, s33
	s_cbranch_execz .LBB170_13
; %bb.8:
	s_load_b64 s[0:1], s[0:1], 0x20
	v_bfe_u32 v2, v0, 1, 4
	s_ashr_i32 s7, s6, 31
	v_lshlrev_b32_e32 v1, 6, v13
	s_lshl_b64 s[34:35], s[6:7], 1
	v_and_b32_e32 v5, 8, v3
	v_dual_mov_b32 v49, v9 :: v_dual_lshlrev_b32 v6, 4, v2
	ds_load_b128 v[15:18], v1
	ds_load_b128 v[25:28], v1 offset:16
	ds_load_b128 v[33:36], v1 offset:32
	;; [unrolled: 1-line block ×3, first 2 shown]
	s_waitcnt lgkmcnt(0)
	s_add_u32 s0, s0, s34
	s_addc_u32 s1, s1, s35
	v_add_co_u32 v1, s0, s0, v6
	s_delay_alu instid0(VALU_DEP_1) | instskip(SKIP_1) | instid1(VALU_DEP_2)
	v_add_co_ci_u32_e64 v20, null, s1, 0, s0
	s_lshl_b64 s[34:35], s[24:25], 2
	v_add_co_u32 v19, vcc_lo, v1, v5
	v_xor_b32_e32 v1, 1, v4
	s_delay_alu instid0(VALU_DEP_3) | instskip(SKIP_2) | instid1(VALU_DEP_4)
	v_add_co_ci_u32_e32 v20, vcc_lo, 0, v20, vcc_lo
	v_lshlrev_b32_e32 v37, 16, v42
	v_and_b32_e32 v38, 0xffff0000, v42
	v_cmp_gt_i32_e32 vcc_lo, 32, v1
	v_lshlrev_b32_e32 v42, 2, v2
	s_sub_i32 s7, 1, s30
	s_add_u32 s1, s22, s34
	s_addc_u32 s3, s23, s35
	v_cndmask_b32_e32 v1, v4, v1, vcc_lo
	v_lshl_or_b32 v42, v14, 6, v42
	v_dual_mov_b32 v5, 32 :: v_dual_lshlrev_b32 v6, 16, v15
	v_and_b32_e32 v7, 0xffff0000, v15
	s_delay_alu instid0(VALU_DEP_4)
	v_lshlrev_b32_e32 v46, 2, v1
	v_lshlrev_b32_e32 v1, 4, v14
	;; [unrolled: 1-line block ×3, first 2 shown]
	v_and_b32_e32 v11, 0xffff0000, v16
	v_lshlrev_b32_e32 v15, 16, v17
	v_and_b32_e32 v16, 0xffff0000, v17
	v_add3_u32 v47, s31, v1, v2
	v_lshlrev_b64 v[1:2], 2, v[9:10]
	v_lshlrev_b32_e32 v17, 16, v18
	v_and_b32_e32 v18, 0xffff0000, v18
	v_lshlrev_b32_e32 v21, 16, v25
	v_and_b32_e32 v22, 0xffff0000, v25
	v_lshlrev_b32_e32 v23, 16, v26
	v_add_co_u32 v1, s1, s1, v1
	v_and_b32_e32 v24, 0xffff0000, v26
	v_lshlrev_b32_e32 v25, 16, v27
	v_and_b32_e32 v26, 0xffff0000, v27
	v_lshlrev_b32_e32 v27, 16, v28
	;; [unrolled: 2-line block ×9, first 2 shown]
	v_and_b32_e32 v45, 0xffff0000, v45
	v_cmp_eq_u32_e32 vcc_lo, 0, v13
	v_cmp_neq_f32_e64 s0, s28, 0
	v_add_nc_u32_e32 v48, 0xa0, v42
	v_add_co_ci_u32_e64 v2, s1, s3, v2, s1
	v_mov_b32_e32 v42, 0xff7fffff
	s_mov_b32 s35, s5
	s_mov_b32 s34, 0
	s_branch .LBB170_10
.LBB170_9:                              ;   in Loop: Header=BB170_10 Depth=1
	s_or_b32 exec_lo, exec_lo, s3
	v_add_nc_u32_e32 v49, 4, v49
	v_add_co_u32 v1, s3, v1, 16
	v_add_nc_u32_e32 v47, 64, v47
	v_add_nc_u32_e32 v48, 0x100, v48
	s_delay_alu instid0(VALU_DEP_4) | instskip(SKIP_1) | instid1(VALU_DEP_2)
	v_cmp_le_i32_e64 s1, s17, v49
	v_add_co_ci_u32_e64 v2, s3, 0, v2, s3
	s_or_b32 s34, s1, s34
	s_delay_alu instid0(SALU_CYCLE_1)
	s_and_not1_b32 exec_lo, exec_lo, s34
	s_cbranch_execz .LBB170_12
.LBB170_10:                             ; =>This Inner Loop Header: Depth=1
	global_load_b32 v52, v[1:2], off
	s_waitcnt vmcnt(0) lgkmcnt(0)
	v_mad_i64_i32 v[50:51], null, v52, s35, 0
	s_delay_alu instid0(VALU_DEP_1) | instskip(NEXT) | instid1(VALU_DEP_1)
	v_lshlrev_b64 v[50:51], 1, v[50:51]
	v_add_co_u32 v50, s1, v19, v50
	s_delay_alu instid0(VALU_DEP_1)
	v_add_co_ci_u32_e64 v51, s1, v20, v51, s1
	s_clause 0x7
	global_load_b64 v[52:53], v[50:51], off
	global_load_b64 v[54:55], v[50:51], off offset:256
	global_load_b64 v[56:57], v[50:51], off offset:512
	global_load_b64 v[58:59], v[50:51], off offset:768
	global_load_b64 v[60:61], v[50:51], off offset:1024
	global_load_b64 v[62:63], v[50:51], off offset:1280
	global_load_b64 v[64:65], v[50:51], off offset:1536
	global_load_b64 v[50:51], v[50:51], off offset:1792
	s_waitcnt vmcnt(6)
	v_lshlrev_b32_e32 v69, 16, v55
	v_and_b32_e32 v55, 0xffff0000, v55
	v_lshlrev_b32_e32 v66, 16, v52
	s_delay_alu instid0(VALU_DEP_3) | instskip(NEXT) | instid1(VALU_DEP_3)
	v_dual_mul_f32 v69, v17, v69 :: v_dual_and_b32 v52, 0xffff0000, v52
	v_dual_mul_f32 v55, v18, v55 :: v_dual_lshlrev_b32 v68, 16, v54
	v_and_b32_e32 v54, 0xffff0000, v54
	v_lshlrev_b32_e32 v67, 16, v53
	s_delay_alu instid0(VALU_DEP_3) | instskip(NEXT) | instid1(VALU_DEP_3)
	v_dual_mul_f32 v68, v15, v68 :: v_dual_and_b32 v53, 0xffff0000, v53
	v_mul_f32_e32 v54, v16, v54
	s_delay_alu instid0(VALU_DEP_3) | instskip(NEXT) | instid1(VALU_DEP_3)
	v_fmac_f32_e32 v69, v8, v67
	v_dual_fmac_f32 v55, v11, v53 :: v_dual_fmac_f32 v68, v6, v66
	s_waitcnt vmcnt(5)
	v_lshlrev_b32_e32 v71, 16, v57
	v_lshlrev_b32_e32 v70, 16, v56
	v_dual_fmac_f32 v54, v7, v52 :: v_dual_and_b32 v57, 0xffff0000, v57
	s_delay_alu instid0(VALU_DEP_3) | instskip(SKIP_1) | instid1(VALU_DEP_3)
	v_dual_fmac_f32 v69, v23, v71 :: v_dual_and_b32 v56, 0xffff0000, v56
	s_waitcnt vmcnt(4)
	v_dual_fmac_f32 v68, v21, v70 :: v_dual_lshlrev_b32 v73, 16, v59
	s_delay_alu instid0(VALU_DEP_3) | instskip(NEXT) | instid1(VALU_DEP_3)
	v_dual_fmac_f32 v55, v24, v57 :: v_dual_lshlrev_b32 v72, 16, v58
	v_dual_fmac_f32 v54, v22, v56 :: v_dual_and_b32 v59, 0xffff0000, v59
	s_delay_alu instid0(VALU_DEP_3) | instskip(SKIP_1) | instid1(VALU_DEP_3)
	v_dual_fmac_f32 v69, v27, v73 :: v_dual_and_b32 v58, 0xffff0000, v58
	s_waitcnt vmcnt(3)
	v_dual_fmac_f32 v68, v25, v72 :: v_dual_lshlrev_b32 v75, 16, v61
	s_delay_alu instid0(VALU_DEP_3) | instskip(NEXT) | instid1(VALU_DEP_3)
	v_dual_fmac_f32 v55, v28, v59 :: v_dual_lshlrev_b32 v74, 16, v60
	;; [unrolled: 7-line block ×3, first 2 shown]
	v_dual_fmac_f32 v54, v30, v60 :: v_dual_and_b32 v63, 0xffff0000, v63
	s_delay_alu instid0(VALU_DEP_3) | instskip(SKIP_1) | instid1(VALU_DEP_3)
	v_dual_fmac_f32 v69, v35, v77 :: v_dual_and_b32 v62, 0xffff0000, v62
	s_waitcnt vmcnt(1)
	v_dual_fmac_f32 v68, v33, v76 :: v_dual_and_b32 v53, 0xffff0000, v65
	s_delay_alu instid0(VALU_DEP_3) | instskip(NEXT) | instid1(VALU_DEP_3)
	v_dual_fmac_f32 v55, v36, v63 :: v_dual_lshlrev_b32 v78, 16, v64
	v_fmac_f32_e32 v54, v34, v62
	s_waitcnt vmcnt(0)
	v_lshlrev_b32_e32 v57, 16, v50
	s_delay_alu instid0(VALU_DEP_3) | instskip(NEXT) | instid1(VALU_DEP_1)
	v_dual_fmac_f32 v55, v40, v53 :: v_dual_fmac_f32 v68, v37, v78
	v_fmac_f32_e32 v68, v41, v57
	v_and_b32_e32 v52, 0xffff0000, v64
	s_delay_alu instid0(VALU_DEP_1) | instskip(SKIP_2) | instid1(VALU_DEP_1)
	v_fmac_f32_e32 v54, v38, v52
	v_lshlrev_b32_e32 v52, 16, v51
	v_lshlrev_b32_e32 v56, 16, v65
	v_dual_fmac_f32 v69, v39, v56 :: v_dual_and_b32 v50, 0xffff0000, v50
	s_delay_alu instid0(VALU_DEP_1) | instskip(NEXT) | instid1(VALU_DEP_1)
	v_fmac_f32_e32 v54, v43, v50
	v_dual_add_f32 v51, v68, v54 :: v_dual_and_b32 v50, 0xffff0000, v51
	s_delay_alu instid0(VALU_DEP_1) | instskip(NEXT) | instid1(VALU_DEP_4)
	v_fmac_f32_e32 v55, v45, v50
	v_fmac_f32_e32 v69, v44, v52
	s_delay_alu instid0(VALU_DEP_1) | instskip(NEXT) | instid1(VALU_DEP_1)
	v_add_f32_e32 v50, v51, v69
	v_add_f32_e32 v50, v55, v50
	ds_bpermute_b32 v51, v46, v50
	s_and_saveexec_b32 s3, vcc_lo
	s_cbranch_execz .LBB170_9
; %bb.11:                               ;   in Loop: Header=BB170_10 Depth=1
	s_waitcnt lgkmcnt(0)
	v_add_f32_e32 v50, v50, v51
	v_add_nc_u32_e32 v52, s7, v47
	v_cmp_gt_i32_e64 s1, s30, v47
	s_delay_alu instid0(VALU_DEP_2) | instskip(NEXT) | instid1(VALU_DEP_1)
	v_cvt_f32_i32_e32 v52, v52
	v_mul_f32_e32 v52, s28, v52
	s_delay_alu instid0(VALU_DEP_1) | instskip(SKIP_1) | instid1(VALU_DEP_2)
	v_cndmask_b32_e64 v51, 0, v52, s0
	v_max_f32_e32 v52, v42, v42
	v_fmac_f32_e32 v51, s29, v50
	s_delay_alu instid0(VALU_DEP_1) | instskip(SKIP_1) | instid1(VALU_DEP_2)
	v_max_f32_e32 v50, v52, v51
	v_cndmask_b32_e64 v51, 0, v51, s1
	v_cndmask_b32_e64 v42, v42, v50, s1
	ds_store_b32 v48, v51
	s_branch .LBB170_9
.LBB170_12:
	s_or_b32 exec_lo, exec_lo, s34
.LBB170_13:
	s_delay_alu instid0(SALU_CYCLE_1) | instskip(SKIP_4) | instid1(VALU_DEP_4)
	s_or_b32 exec_lo, exec_lo, s33
	v_xor_b32_e32 v1, 16, v4
	v_xor_b32_e32 v2, 8, v4
	;; [unrolled: 1-line block ×3, first 2 shown]
	v_dual_max_f32 v8, v42, v42 :: v_dual_and_b32 v15, 31, v0
	v_cmp_lt_i32_e32 vcc_lo, v1, v5
	v_cndmask_b32_e32 v1, v4, v1, vcc_lo
	v_cmp_lt_i32_e32 vcc_lo, v2, v5
	s_delay_alu instid0(VALU_DEP_2) | instskip(SKIP_3) | instid1(VALU_DEP_1)
	v_lshlrev_b32_e32 v6, 2, v1
	ds_bpermute_b32 v1, v6, v42
	s_waitcnt lgkmcnt(0)
	v_dual_cndmask_b32 v2, v4, v2 :: v_dual_max_f32 v1, v1, v1
	v_max_f32_e32 v1, v8, v1
	v_xor_b32_e32 v8, 4, v4
	s_delay_alu instid0(VALU_DEP_1) | instskip(NEXT) | instid1(VALU_DEP_4)
	v_cmp_lt_i32_e32 vcc_lo, v8, v5
	v_dual_cndmask_b32 v8, v4, v8 :: v_dual_lshlrev_b32 v7, 2, v2
	ds_bpermute_b32 v2, v7, v1
	v_cmp_lt_i32_e32 vcc_lo, v11, v5
	v_dual_cndmask_b32 v11, v4, v11 :: v_dual_lshlrev_b32 v8, 2, v8
	v_cmp_eq_u32_e32 vcc_lo, 0, v15
	s_waitcnt lgkmcnt(0)
	v_max_f32_e32 v2, v2, v2
	s_delay_alu instid0(VALU_DEP_1) | instskip(SKIP_3) | instid1(VALU_DEP_1)
	v_max_f32_e32 v1, v1, v2
	ds_bpermute_b32 v2, v8, v1
	s_waitcnt lgkmcnt(0)
	v_max_f32_e32 v2, v2, v2
	v_dual_max_f32 v1, v1, v2 :: v_dual_lshlrev_b32 v2, 2, v11
	v_lshlrev_b32_e32 v11, 2, v14
	ds_bpermute_b32 v16, v2, v1
	s_and_saveexec_b32 s0, vcc_lo
	s_cbranch_execz .LBB170_15
; %bb.14:
	s_waitcnt lgkmcnt(0)
	v_dual_max_f32 v16, v16, v16 :: v_dual_max_f32 v1, v1, v1
	s_delay_alu instid0(VALU_DEP_1)
	v_max_f32_e32 v1, v1, v16
	ds_store_b32 v11, v1 offset:128
.LBB170_15:
	s_or_b32 exec_lo, exec_lo, s0
	v_cmp_gt_u32_e64 s0, 4, v15
	v_mov_b32_e32 v1, 0xff7fffff
	v_lshlrev_b32_e32 v17, 2, v15
	s_waitcnt lgkmcnt(0)
	s_barrier
	buffer_gl0_inv
	s_and_saveexec_b32 s1, s0
	s_cbranch_execz .LBB170_17
; %bb.16:
	ds_load_b32 v1, v17 offset:128
.LBB170_17:
	s_or_b32 exec_lo, exec_lo, s1
	s_waitcnt lgkmcnt(0)
	ds_bpermute_b32 v16, v2, v1
	v_xor_b32_e32 v18, 1, v4
	v_max_f32_e32 v1, v1, v1
	s_delay_alu instid0(VALU_DEP_2) | instskip(NEXT) | instid1(VALU_DEP_1)
	v_cmp_lt_i32_e64 s1, v18, v5
	v_cndmask_b32_e64 v5, v4, v18, s1
	s_sub_i32 s1, s17, s13
	v_lshlrev_b32_e32 v4, 2, v4
	s_lshl_b32 s1, s1, 4
	s_delay_alu instid0(SALU_CYCLE_1) | instskip(NEXT) | instid1(SALU_CYCLE_1)
	s_add_i32 s1, s1, s31
	s_min_i32 s1, s1, s30
	s_waitcnt lgkmcnt(0)
	v_max_f32_e32 v18, v16, v16
	v_lshlrev_b32_e32 v16, 2, v5
	s_sub_i32 s7, s1, s31
	s_delay_alu instid0(SALU_CYCLE_1) | instskip(NEXT) | instid1(VALU_DEP_3)
	v_cmp_gt_i32_e64 s1, s7, v0
	v_dual_max_f32 v1, v1, v18 :: v_dual_mov_b32 v18, 0
	ds_bpermute_b32 v5, v16, v1
	s_waitcnt lgkmcnt(0)
	v_max_f32_e32 v5, v5, v5
	s_delay_alu instid0(VALU_DEP_1)
	v_max_f32_e32 v1, v1, v5
	v_and_b32_e32 v5, 0xffffff80, v4
	v_lshl_add_u32 v4, v0, 2, 0xa0
	ds_bpermute_b32 v1, v5, v1
	s_and_saveexec_b32 s13, s1
	s_cbranch_execz .LBB170_21
; %bb.18:
	v_lshl_add_u32 v19, v0, 2, 0xa0
	v_mov_b32_e32 v18, 0
	v_mov_b32_e32 v20, v0
	s_mov_b32 s28, 0
	.p2align	6
.LBB170_19:                             ; =>This Inner Loop Header: Depth=1
	ds_load_b32 v21, v19
	v_add_nc_u32_e32 v20, 0x80, v20
	s_delay_alu instid0(VALU_DEP_1) | instskip(NEXT) | instid1(VALU_DEP_1)
	v_cmp_le_i32_e64 s3, s7, v20
	s_or_b32 s28, s3, s28
	s_waitcnt lgkmcnt(0)
	v_sub_f32_e32 v21, v21, v1
	s_delay_alu instid0(VALU_DEP_1) | instskip(NEXT) | instid1(VALU_DEP_1)
	v_mul_f32_e32 v21, 0x3fb8aa3b, v21
	v_exp_f32_e32 v21, v21
	ds_store_b32 v19, v21
	v_dual_add_f32 v18, v18, v21 :: v_dual_add_nc_u32 v19, 0x200, v19
	s_and_not1_b32 exec_lo, exec_lo, s28
	s_cbranch_execnz .LBB170_19
; %bb.20:
	s_or_b32 exec_lo, exec_lo, s28
.LBB170_21:
	s_delay_alu instid0(SALU_CYCLE_1)
	s_or_b32 exec_lo, exec_lo, s13
	ds_bpermute_b32 v6, v6, v18
	s_waitcnt lgkmcnt(0)
	v_add_f32_e32 v6, v18, v6
	ds_bpermute_b32 v7, v7, v6
	s_waitcnt lgkmcnt(0)
	v_add_f32_e32 v6, v6, v7
	;; [unrolled: 3-line block ×5, first 2 shown]
	s_and_saveexec_b32 s3, vcc_lo
	s_cbranch_execz .LBB170_23
; %bb.22:
	ds_store_b32 v11, v6 offset:144
.LBB170_23:
	s_or_b32 exec_lo, exec_lo, s3
	s_waitcnt lgkmcnt(0)
	s_barrier
	buffer_gl0_inv
	s_and_saveexec_b32 s3, s0
	s_cbranch_execz .LBB170_25
; %bb.24:
	ds_load_b32 v6, v17 offset:144
.LBB170_25:
	s_or_b32 exec_lo, exec_lo, s3
	s_waitcnt lgkmcnt(0)
	ds_bpermute_b32 v2, v2, v6
	s_waitcnt lgkmcnt(0)
	v_add_f32_e32 v2, v6, v2
	ds_bpermute_b32 v6, v16, v2
	s_waitcnt lgkmcnt(0)
	v_add_f32_e32 v2, v2, v6
	ds_bpermute_b32 v2, v5, v2
	s_and_saveexec_b32 s0, s1
	s_cbranch_execz .LBB170_28
; %bb.26:
	s_waitcnt lgkmcnt(0)
	v_add_f32_e32 v5, 0x358637bd, v2
	s_mov_b32 s1, 0
	s_delay_alu instid0(VALU_DEP_1) | instskip(SKIP_1) | instid1(VALU_DEP_2)
	v_div_scale_f32 v6, null, v5, v5, 1.0
	v_div_scale_f32 v11, vcc_lo, 1.0, v5, 1.0
	v_rcp_f32_e32 v7, v6
	s_waitcnt_depctr 0xfff
	v_fma_f32 v8, -v6, v7, 1.0
	s_delay_alu instid0(VALU_DEP_1) | instskip(NEXT) | instid1(VALU_DEP_1)
	v_fmac_f32_e32 v7, v8, v7
	v_mul_f32_e32 v8, v11, v7
	s_delay_alu instid0(VALU_DEP_1) | instskip(NEXT) | instid1(VALU_DEP_1)
	v_fma_f32 v17, -v6, v8, v11
	v_fmac_f32_e32 v8, v17, v7
	s_delay_alu instid0(VALU_DEP_1) | instskip(NEXT) | instid1(VALU_DEP_1)
	v_fma_f32 v6, -v6, v8, v11
	v_div_fmas_f32 v6, v6, v7, v8
	s_delay_alu instid0(VALU_DEP_1)
	v_div_fixup_f32 v5, v6, v5, 1.0
	v_mov_b32_e32 v6, v0
.LBB170_27:                             ; =>This Inner Loop Header: Depth=1
	ds_load_b32 v7, v4
	s_waitcnt lgkmcnt(0)
	v_dual_mul_f32 v7, v5, v7 :: v_dual_add_nc_u32 v6, 0x80, v6
	s_delay_alu instid0(VALU_DEP_1) | instskip(SKIP_3) | instid1(SALU_CYCLE_1)
	v_cmp_le_i32_e32 vcc_lo, s7, v6
	ds_store_b32 v4, v7
	v_add_nc_u32_e32 v4, 0x200, v4
	s_or_b32 s1, vcc_lo, s1
	s_and_not1_b32 exec_lo, exec_lo, s1
	s_cbranch_execnz .LBB170_27
.LBB170_28:
	s_or_b32 exec_lo, exec_lo, s0
	s_delay_alu instid0(SALU_CYCLE_1)
	s_mov_b32 s0, exec_lo
	s_waitcnt lgkmcnt(0)
	s_barrier
	buffer_gl0_inv
	v_cmpx_eq_u32_e32 0, v0
	s_cbranch_execz .LBB170_30
; %bb.29:
	s_mul_i32 s1, s4, s14
	s_mul_i32 s34, s4, s20
	s_mul_i32 s28, s1, s15
	v_mov_b32_e32 v4, 0
	s_ashr_i32 s29, s28, 31
	s_delay_alu instid0(SALU_CYCLE_1) | instskip(NEXT) | instid1(SALU_CYCLE_1)
	s_lshl_b64 s[28:29], s[28:29], 2
	s_add_u32 s1, s10, s28
	s_addc_u32 s3, s11, s29
	s_ashr_i32 s35, s34, 31
	s_delay_alu instid0(SALU_CYCLE_1) | instskip(NEXT) | instid1(SALU_CYCLE_1)
	s_lshl_b64 s[10:11], s[34:35], 2
	s_add_u32 s1, s1, s10
	s_addc_u32 s3, s3, s11
	;; [unrolled: 5-line block ×3, first 2 shown]
	s_add_u32 s1, s8, s28
	s_addc_u32 s3, s9, s29
	s_add_u32 s1, s1, s10
	s_addc_u32 s3, s3, s11
	;; [unrolled: 2-line block ×3, first 2 shown]
	s_clause 0x1
	global_store_b32 v4, v1, s[36:37]
	global_store_b32 v4, v2, s[8:9]
.LBB170_30:
	s_or_b32 exec_lo, exec_lo, s0
	v_dual_mov_b32 v18, 0 :: v_dual_mov_b32 v19, 0
	v_dual_mov_b32 v20, 0 :: v_dual_mov_b32 v17, 0
	s_mov_b32 s3, 0
	s_and_saveexec_b32 s1, s2
	s_cbranch_execz .LBB170_202
; %bb.31:
	v_dual_mov_b32 v20, 0 :: v_dual_lshlrev_b32 v1, 4, v0
	s_ashr_i32 s7, s6, 31
	v_dual_mov_b32 v17, 0 :: v_dual_and_b32 v2, 8, v3
	s_delay_alu instid0(VALU_DEP_2)
	v_and_b32_e32 v1, 0x1f0, v1
	v_lshl_add_u32 v4, v14, 4, s31
	s_lshl_b64 s[6:7], s[6:7], 1
	v_dual_mov_b32 v18, 0 :: v_dual_lshlrev_b32 v3, 5, v13
	s_add_u32 s0, s26, s6
	s_addc_u32 s6, s27, s7
	v_add_co_u32 v21, s0, s0, v1
	v_add3_u32 v23, v4, v2, 7
	v_lshlrev_b64 v[1:2], 2, v[9:10]
	v_add_co_ci_u32_e64 v22, null, s6, 0, s0
	s_lshl_b64 s[6:7], s[24:25], 2
	s_add_i32 s2, s21, -1
	v_lshl_or_b32 v3, v14, 6, v3
	s_add_u32 s0, s22, s6
	s_addc_u32 s6, s23, s7
	v_add_co_u32 v10, vcc_lo, s0, v1
	s_delay_alu instid0(VALU_DEP_2)
	v_dual_mov_b32 v19, 0 :: v_dual_add_nc_u32 v24, 0xa0, v3
	v_add_co_ci_u32_e32 v11, vcc_lo, s6, v2, vcc_lo
	s_branch .LBB170_33
.LBB170_32:                             ;   in Loop: Header=BB170_33 Depth=1
	s_or_b32 exec_lo, exec_lo, s0
	v_and_b32_e32 v33, 0xffff0000, v46
	v_and_b32_e32 v25, 0xffff0000, v25
	;; [unrolled: 1-line block ×9, first 2 shown]
	s_delay_alu instid0(VALU_DEP_4)
	v_dual_add_f32 v7, v7, v8 :: v_dual_add_f32 v8, v25, v26
	v_and_b32_e32 v25, 0xffff0000, v49
	v_and_b32_e32 v26, 0xffff0000, v47
	v_and_b32_e32 v2, 0xffff0000, v2
	v_and_b32_e32 v5, 0xffff0000, v5
	v_add_f32_e32 v7, v7, v8
	s_delay_alu instid0(VALU_DEP_4) | instskip(SKIP_3) | instid1(VALU_DEP_4)
	v_dual_add_f32 v25, v34, v25 :: v_dual_add_f32 v26, v33, v26
	v_and_b32_e32 v28, 0xffff0000, v28
	v_dual_add_f32 v2, v2, v31 :: v_dual_and_b32 v33, 0xffff0000, v50
	v_and_b32_e32 v1, 0xffff0000, v1
	v_dual_add_f32 v25, v26, v25 :: v_dual_and_b32 v8, 0xffff0000, v51
	v_and_b32_e32 v27, 0xffff0000, v27
	v_and_b32_e32 v3, 0xffff0000, v3
	s_delay_alu instid0(VALU_DEP_4) | instskip(NEXT) | instid1(VALU_DEP_4)
	v_add_f32_e32 v1, v1, v5
	v_dual_add_f32 v8, v33, v8 :: v_dual_add_nc_u32 v9, 4, v9
	s_delay_alu instid0(VALU_DEP_4) | instskip(NEXT) | instid1(VALU_DEP_3)
	v_dual_add_f32 v27, v27, v28 :: v_dual_and_b32 v28, 0xffff0000, v30
	v_dual_add_f32 v1, v1, v2 :: v_dual_and_b32 v30, 0xffff0000, v57
	v_and_b32_e32 v32, 0xffff0000, v32
	s_delay_alu instid0(VALU_DEP_4) | instskip(NEXT) | instid1(VALU_DEP_4)
	v_dual_add_f32 v8, v25, v8 :: v_dual_and_b32 v25, 0xffff0000, v59
	v_add_f32_e32 v7, v7, v27
	v_cmp_le_i32_e32 vcc_lo, s17, v9
	s_delay_alu instid0(VALU_DEP_4) | instskip(SKIP_3) | instid1(VALU_DEP_4)
	v_add_f32_e32 v2, v3, v32
	v_and_b32_e32 v34, 0xffff0000, v55
	v_and_b32_e32 v3, 0xffff0000, v6
	v_add_co_u32 v10, s0, v10, 16
	v_add_f32_e32 v1, v1, v2
	s_delay_alu instid0(VALU_DEP_4)
	v_add_f32_e32 v34, v35, v34
	v_add_f32_e32 v26, v29, v28
	v_and_b32_e32 v4, 0xffff0000, v4
	v_and_b32_e32 v33, 0xffff0000, v56
	v_add_nc_u32_e32 v23, 64, v23
	v_add_co_ci_u32_e64 v11, s0, 0, v11, s0
	s_delay_alu instid0(VALU_DEP_4) | instskip(NEXT) | instid1(VALU_DEP_4)
	v_dual_add_f32 v2, v4, v3 :: v_dual_and_b32 v27, 0xffff0000, v52
	v_add_f32_e32 v30, v33, v30
	v_dual_add_f32 v3, v7, v26 :: v_dual_and_b32 v28, 0xffff0000, v53
	s_delay_alu instid0(VALU_DEP_3) | instskip(SKIP_1) | instid1(VALU_DEP_3)
	v_add_f32_e32 v1, v1, v2
	s_or_b32 s3, vcc_lo, s3
	v_add_f32_e32 v5, v34, v30
	s_delay_alu instid0(VALU_DEP_3) | instskip(SKIP_2) | instid1(VALU_DEP_3)
	v_dual_add_f32 v6, v27, v28 :: v_dual_and_b32 v29, 0xffff0000, v58
	v_and_b32_e32 v37, 0xffff0000, v61
	v_dual_add_f32 v17, v17, v3 :: v_dual_add_f32 v18, v18, v1
	v_dual_add_f32 v25, v29, v25 :: v_dual_add_f32 v4, v8, v6
	v_and_b32_e32 v36, 0xffff0000, v60
	s_delay_alu instid0(VALU_DEP_2) | instskip(NEXT) | instid1(VALU_DEP_3)
	v_dual_add_f32 v5, v5, v25 :: v_dual_add_nc_u32 v24, 0x100, v24
	v_add_f32_e32 v20, v20, v4
	s_delay_alu instid0(VALU_DEP_3) | instskip(NEXT) | instid1(VALU_DEP_1)
	v_add_f32_e32 v25, v36, v37
	v_add_f32_e32 v5, v5, v25
	s_delay_alu instid0(VALU_DEP_1)
	v_add_f32_e32 v19, v19, v5
	s_and_not1_b32 exec_lo, exec_lo, s3
	s_cbranch_execz .LBB170_201
.LBB170_33:                             ; =>This Inner Loop Header: Depth=1
	global_load_b32 v31, v[10:11], off
	ds_load_2addr_b64 v[5:8], v24 offset1:1
	ds_load_2addr_b64 v[1:4], v24 offset0:2 offset1:3
	s_mov_b32 s0, exec_lo
                                        ; implicit-def: $vgpr38
	s_waitcnt lgkmcnt(1)
	v_and_b32_e32 v25, 0x7f800000, v5
	s_delay_alu instid0(VALU_DEP_1)
	v_cmpx_ne_u32_e32 0x7f800000, v25
	s_xor_b32 s0, exec_lo, s0
; %bb.34:                               ;   in Loop: Header=BB170_33 Depth=1
	v_bfe_u32 v25, v5, 16, 1
	s_delay_alu instid0(VALU_DEP_1)
	v_add3_u32 v38, v5, v25, 0x7fff
; %bb.35:                               ;   in Loop: Header=BB170_33 Depth=1
	s_and_not1_saveexec_b32 s0, s0
; %bb.36:                               ;   in Loop: Header=BB170_33 Depth=1
	v_and_b32_e32 v25, 0xffff, v5
	v_or_b32_e32 v26, 0x10000, v5
	s_delay_alu instid0(VALU_DEP_2) | instskip(NEXT) | instid1(VALU_DEP_2)
	v_cmp_eq_u32_e32 vcc_lo, 0, v25
	v_cndmask_b32_e32 v38, v26, v5, vcc_lo
; %bb.37:                               ;   in Loop: Header=BB170_33 Depth=1
	s_or_b32 exec_lo, exec_lo, s0
	v_and_b32_e32 v5, 0x7f800000, v6
	s_mov_b32 s0, exec_lo
                                        ; implicit-def: $vgpr39
	s_delay_alu instid0(VALU_DEP_1)
	v_cmpx_ne_u32_e32 0x7f800000, v5
	s_xor_b32 s0, exec_lo, s0
; %bb.38:                               ;   in Loop: Header=BB170_33 Depth=1
	v_bfe_u32 v5, v6, 16, 1
	s_delay_alu instid0(VALU_DEP_1)
	v_add3_u32 v39, v6, v5, 0x7fff
; %bb.39:                               ;   in Loop: Header=BB170_33 Depth=1
	s_and_not1_saveexec_b32 s0, s0
; %bb.40:                               ;   in Loop: Header=BB170_33 Depth=1
	v_and_b32_e32 v5, 0xffff, v6
	v_or_b32_e32 v25, 0x10000, v6
	s_delay_alu instid0(VALU_DEP_2) | instskip(NEXT) | instid1(VALU_DEP_2)
	v_cmp_eq_u32_e32 vcc_lo, 0, v5
	v_cndmask_b32_e32 v39, v25, v6, vcc_lo
; %bb.41:                               ;   in Loop: Header=BB170_33 Depth=1
	s_or_b32 exec_lo, exec_lo, s0
	v_and_b32_e32 v5, 0x7f800000, v7
	s_mov_b32 s0, exec_lo
                                        ; implicit-def: $vgpr25
	s_delay_alu instid0(VALU_DEP_1)
	v_cmpx_ne_u32_e32 0x7f800000, v5
	s_xor_b32 s0, exec_lo, s0
; %bb.42:                               ;   in Loop: Header=BB170_33 Depth=1
	v_bfe_u32 v5, v7, 16, 1
	s_delay_alu instid0(VALU_DEP_1)
	v_add3_u32 v25, v7, v5, 0x7fff
; %bb.43:                               ;   in Loop: Header=BB170_33 Depth=1
	s_and_not1_saveexec_b32 s0, s0
; %bb.44:                               ;   in Loop: Header=BB170_33 Depth=1
	v_and_b32_e32 v5, 0xffff, v7
	v_or_b32_e32 v6, 0x10000, v7
	s_delay_alu instid0(VALU_DEP_2) | instskip(NEXT) | instid1(VALU_DEP_2)
	v_cmp_eq_u32_e32 vcc_lo, 0, v5
	v_cndmask_b32_e32 v25, v6, v7, vcc_lo
; %bb.45:                               ;   in Loop: Header=BB170_33 Depth=1
	s_or_b32 exec_lo, exec_lo, s0
	v_and_b32_e32 v5, 0x7f800000, v8
	s_mov_b32 s0, exec_lo
                                        ; implicit-def: $vgpr26
	s_delay_alu instid0(VALU_DEP_1)
	v_cmpx_ne_u32_e32 0x7f800000, v5
	s_xor_b32 s0, exec_lo, s0
; %bb.46:                               ;   in Loop: Header=BB170_33 Depth=1
	v_bfe_u32 v5, v8, 16, 1
	s_delay_alu instid0(VALU_DEP_1)
	v_add3_u32 v26, v8, v5, 0x7fff
                                        ; implicit-def: $vgpr5_vgpr6_vgpr7_vgpr8
; %bb.47:                               ;   in Loop: Header=BB170_33 Depth=1
	s_and_not1_saveexec_b32 s0, s0
; %bb.48:                               ;   in Loop: Header=BB170_33 Depth=1
	v_and_b32_e32 v5, 0xffff, v8
	v_or_b32_e32 v6, 0x10000, v8
	s_delay_alu instid0(VALU_DEP_2) | instskip(NEXT) | instid1(VALU_DEP_2)
	v_cmp_eq_u32_e32 vcc_lo, 0, v5
	v_cndmask_b32_e32 v26, v6, v8, vcc_lo
; %bb.49:                               ;   in Loop: Header=BB170_33 Depth=1
	s_or_b32 exec_lo, exec_lo, s0
	s_waitcnt lgkmcnt(0)
	v_and_b32_e32 v5, 0x7f800000, v1
	s_mov_b32 s0, exec_lo
                                        ; implicit-def: $vgpr27
	s_delay_alu instid0(VALU_DEP_1)
	v_cmpx_ne_u32_e32 0x7f800000, v5
	s_xor_b32 s0, exec_lo, s0
; %bb.50:                               ;   in Loop: Header=BB170_33 Depth=1
	v_bfe_u32 v5, v1, 16, 1
	s_delay_alu instid0(VALU_DEP_1)
	v_add3_u32 v27, v1, v5, 0x7fff
; %bb.51:                               ;   in Loop: Header=BB170_33 Depth=1
	s_and_not1_saveexec_b32 s0, s0
; %bb.52:                               ;   in Loop: Header=BB170_33 Depth=1
	v_and_b32_e32 v5, 0xffff, v1
	v_or_b32_e32 v6, 0x10000, v1
	s_delay_alu instid0(VALU_DEP_2) | instskip(NEXT) | instid1(VALU_DEP_2)
	v_cmp_eq_u32_e32 vcc_lo, 0, v5
	v_cndmask_b32_e32 v27, v6, v1, vcc_lo
; %bb.53:                               ;   in Loop: Header=BB170_33 Depth=1
	s_or_b32 exec_lo, exec_lo, s0
	v_and_b32_e32 v1, 0x7f800000, v2
	s_mov_b32 s0, exec_lo
                                        ; implicit-def: $vgpr28
	s_delay_alu instid0(VALU_DEP_1)
	v_cmpx_ne_u32_e32 0x7f800000, v1
	s_xor_b32 s0, exec_lo, s0
; %bb.54:                               ;   in Loop: Header=BB170_33 Depth=1
	v_bfe_u32 v1, v2, 16, 1
	s_delay_alu instid0(VALU_DEP_1)
	v_add3_u32 v28, v2, v1, 0x7fff
; %bb.55:                               ;   in Loop: Header=BB170_33 Depth=1
	s_and_not1_saveexec_b32 s0, s0
; %bb.56:                               ;   in Loop: Header=BB170_33 Depth=1
	v_and_b32_e32 v1, 0xffff, v2
	v_or_b32_e32 v5, 0x10000, v2
	s_delay_alu instid0(VALU_DEP_2) | instskip(NEXT) | instid1(VALU_DEP_2)
	v_cmp_eq_u32_e32 vcc_lo, 0, v1
	v_cndmask_b32_e32 v28, v5, v2, vcc_lo
; %bb.57:                               ;   in Loop: Header=BB170_33 Depth=1
	s_or_b32 exec_lo, exec_lo, s0
	v_and_b32_e32 v1, 0x7f800000, v3
	s_mov_b32 s0, exec_lo
                                        ; implicit-def: $vgpr29
	s_delay_alu instid0(VALU_DEP_1)
	v_cmpx_ne_u32_e32 0x7f800000, v1
	s_xor_b32 s0, exec_lo, s0
; %bb.58:                               ;   in Loop: Header=BB170_33 Depth=1
	v_bfe_u32 v1, v3, 16, 1
	s_delay_alu instid0(VALU_DEP_1)
	v_add3_u32 v29, v3, v1, 0x7fff
; %bb.59:                               ;   in Loop: Header=BB170_33 Depth=1
	s_and_not1_saveexec_b32 s0, s0
; %bb.60:                               ;   in Loop: Header=BB170_33 Depth=1
	v_and_b32_e32 v1, 0xffff, v3
	v_or_b32_e32 v2, 0x10000, v3
	s_delay_alu instid0(VALU_DEP_2) | instskip(NEXT) | instid1(VALU_DEP_2)
	v_cmp_eq_u32_e32 vcc_lo, 0, v1
	v_cndmask_b32_e32 v29, v2, v3, vcc_lo
; %bb.61:                               ;   in Loop: Header=BB170_33 Depth=1
	s_or_b32 exec_lo, exec_lo, s0
	v_and_b32_e32 v1, 0x7f800000, v4
	s_mov_b32 s0, exec_lo
                                        ; implicit-def: $vgpr30
	s_delay_alu instid0(VALU_DEP_1)
	v_cmpx_ne_u32_e32 0x7f800000, v1
	s_xor_b32 s0, exec_lo, s0
; %bb.62:                               ;   in Loop: Header=BB170_33 Depth=1
	v_bfe_u32 v1, v4, 16, 1
	s_delay_alu instid0(VALU_DEP_1)
	v_add3_u32 v30, v4, v1, 0x7fff
                                        ; implicit-def: $vgpr1_vgpr2_vgpr3_vgpr4
; %bb.63:                               ;   in Loop: Header=BB170_33 Depth=1
	s_and_not1_saveexec_b32 s0, s0
; %bb.64:                               ;   in Loop: Header=BB170_33 Depth=1
	v_and_b32_e32 v1, 0xffff, v4
	v_or_b32_e32 v2, 0x10000, v4
	s_delay_alu instid0(VALU_DEP_2) | instskip(NEXT) | instid1(VALU_DEP_2)
	v_cmp_eq_u32_e32 vcc_lo, 0, v1
	v_cndmask_b32_e32 v30, v2, v4, vcc_lo
; %bb.65:                               ;   in Loop: Header=BB170_33 Depth=1
	s_or_b32 exec_lo, exec_lo, s0
	s_waitcnt vmcnt(0)
	v_mad_i64_i32 v[1:2], null, v31, s5, 0
	v_add_nc_u32_e32 v31, -7, v23
	v_add_nc_u32_e32 v37, -6, v23
	;; [unrolled: 1-line block ×6, first 2 shown]
	v_lshlrev_b64 v[1:2], 1, v[1:2]
	v_add_nc_u32_e32 v36, -1, v23
	s_delay_alu instid0(VALU_DEP_2) | instskip(NEXT) | instid1(VALU_DEP_3)
	v_add_co_u32 v5, vcc_lo, v21, v1
	v_add_co_ci_u32_e32 v6, vcc_lo, v22, v2, vcc_lo
	v_cmp_eq_u32_e32 vcc_lo, s2, v9
	global_load_b128 v[1:4], v[5:6], off
	s_waitcnt vmcnt(0)
	v_lshrrev_b32_e32 v8, 16, v1
	v_lshrrev_b32_e32 v42, 16, v2
	;; [unrolled: 1-line block ×4, first 2 shown]
	s_and_saveexec_b32 s6, vcc_lo
	s_cbranch_execz .LBB170_67
; %bb.66:                               ;   in Loop: Header=BB170_33 Depth=1
	v_cmp_gt_i32_e64 s0, s30, v31
	s_delay_alu instid0(VALU_DEP_1) | instskip(SKIP_1) | instid1(VALU_DEP_1)
	v_cndmask_b32_e64 v1, 0, v1, s0
	v_cmp_gt_i32_e64 s0, s30, v37
	v_cndmask_b32_e64 v8, 0, v8, s0
	v_cmp_gt_i32_e64 s0, s30, v35
	s_delay_alu instid0(VALU_DEP_1) | instskip(SKIP_1) | instid1(VALU_DEP_1)
	v_cndmask_b32_e64 v2, 0, v2, s0
	v_cmp_gt_i32_e64 s0, s30, v34
	v_cndmask_b32_e64 v42, 0, v42, s0
	;; [unrolled: 5-line block ×4, first 2 shown]
.LBB170_67:                             ;   in Loop: Header=BB170_33 Depth=1
	s_or_b32 exec_lo, exec_lo, s6
	v_and_b32_e32 v38, 0xffff0000, v38
	v_lshlrev_b32_e32 v1, 16, v1
	s_delay_alu instid0(VALU_DEP_1) | instskip(NEXT) | instid1(VALU_DEP_1)
	v_mul_f32_e32 v1, v38, v1
	v_and_b32_e32 v7, 0x7f800000, v1
	s_delay_alu instid0(VALU_DEP_1) | instskip(NEXT) | instid1(VALU_DEP_1)
	v_cmp_ne_u32_e64 s0, 0x7f800000, v7
                                        ; implicit-def: $vgpr7
	s_and_saveexec_b32 s6, s0
	s_delay_alu instid0(SALU_CYCLE_1)
	s_xor_b32 s0, exec_lo, s6
; %bb.68:                               ;   in Loop: Header=BB170_33 Depth=1
	v_bfe_u32 v7, v1, 16, 1
	s_delay_alu instid0(VALU_DEP_1)
	v_add3_u32 v7, v1, v7, 0x7fff
                                        ; implicit-def: $vgpr1
; %bb.69:                               ;   in Loop: Header=BB170_33 Depth=1
	s_and_not1_saveexec_b32 s6, s0
; %bb.70:                               ;   in Loop: Header=BB170_33 Depth=1
	v_and_b32_e32 v7, 0xffff, v1
	v_or_b32_e32 v40, 0x10000, v1
	s_delay_alu instid0(VALU_DEP_2) | instskip(NEXT) | instid1(VALU_DEP_1)
	v_cmp_eq_u32_e64 s0, 0, v7
	v_cndmask_b32_e64 v7, v40, v1, s0
; %bb.71:                               ;   in Loop: Header=BB170_33 Depth=1
	s_or_b32 exec_lo, exec_lo, s6
	v_and_b32_e32 v39, 0xffff0000, v39
	v_lshlrev_b32_e32 v1, 16, v8
	s_delay_alu instid0(VALU_DEP_1) | instskip(NEXT) | instid1(VALU_DEP_1)
	v_mul_f32_e32 v1, v39, v1
	v_and_b32_e32 v8, 0x7f800000, v1
	s_delay_alu instid0(VALU_DEP_1) | instskip(NEXT) | instid1(VALU_DEP_1)
	v_cmp_ne_u32_e64 s0, 0x7f800000, v8
                                        ; implicit-def: $vgpr8
	s_and_saveexec_b32 s6, s0
	s_delay_alu instid0(SALU_CYCLE_1)
	s_xor_b32 s0, exec_lo, s6
; %bb.72:                               ;   in Loop: Header=BB170_33 Depth=1
	v_bfe_u32 v8, v1, 16, 1
	s_delay_alu instid0(VALU_DEP_1)
	v_add3_u32 v8, v1, v8, 0x7fff
                                        ; implicit-def: $vgpr1
; %bb.73:                               ;   in Loop: Header=BB170_33 Depth=1
	s_and_not1_saveexec_b32 s6, s0
; %bb.74:                               ;   in Loop: Header=BB170_33 Depth=1
	v_and_b32_e32 v8, 0xffff, v1
	v_or_b32_e32 v40, 0x10000, v1
	s_delay_alu instid0(VALU_DEP_2) | instskip(NEXT) | instid1(VALU_DEP_1)
	v_cmp_eq_u32_e64 s0, 0, v8
	v_cndmask_b32_e64 v8, v40, v1, s0
; %bb.75:                               ;   in Loop: Header=BB170_33 Depth=1
	s_or_b32 exec_lo, exec_lo, s6
	v_and_b32_e32 v40, 0xffff0000, v25
	v_lshlrev_b32_e32 v1, 16, v2
                                        ; implicit-def: $vgpr25
	s_delay_alu instid0(VALU_DEP_1) | instskip(NEXT) | instid1(VALU_DEP_1)
	v_mul_f32_e32 v1, v40, v1
	v_and_b32_e32 v2, 0x7f800000, v1
	s_delay_alu instid0(VALU_DEP_1) | instskip(NEXT) | instid1(VALU_DEP_1)
	v_cmp_ne_u32_e64 s0, 0x7f800000, v2
	s_and_saveexec_b32 s6, s0
	s_delay_alu instid0(SALU_CYCLE_1)
	s_xor_b32 s0, exec_lo, s6
; %bb.76:                               ;   in Loop: Header=BB170_33 Depth=1
	v_bfe_u32 v2, v1, 16, 1
	s_delay_alu instid0(VALU_DEP_1)
	v_add3_u32 v25, v1, v2, 0x7fff
                                        ; implicit-def: $vgpr1
; %bb.77:                               ;   in Loop: Header=BB170_33 Depth=1
	s_and_not1_saveexec_b32 s6, s0
; %bb.78:                               ;   in Loop: Header=BB170_33 Depth=1
	v_and_b32_e32 v2, 0xffff, v1
	v_or_b32_e32 v25, 0x10000, v1
	s_delay_alu instid0(VALU_DEP_2) | instskip(NEXT) | instid1(VALU_DEP_1)
	v_cmp_eq_u32_e64 s0, 0, v2
	v_cndmask_b32_e64 v25, v25, v1, s0
; %bb.79:                               ;   in Loop: Header=BB170_33 Depth=1
	s_or_b32 exec_lo, exec_lo, s6
	v_and_b32_e32 v41, 0xffff0000, v26
	v_lshlrev_b32_e32 v1, 16, v42
                                        ; implicit-def: $vgpr26
	s_delay_alu instid0(VALU_DEP_1) | instskip(NEXT) | instid1(VALU_DEP_1)
	v_mul_f32_e32 v1, v41, v1
	v_and_b32_e32 v2, 0x7f800000, v1
	s_delay_alu instid0(VALU_DEP_1) | instskip(NEXT) | instid1(VALU_DEP_1)
	v_cmp_ne_u32_e64 s0, 0x7f800000, v2
	s_and_saveexec_b32 s6, s0
	s_delay_alu instid0(SALU_CYCLE_1)
	s_xor_b32 s0, exec_lo, s6
; %bb.80:                               ;   in Loop: Header=BB170_33 Depth=1
	v_bfe_u32 v2, v1, 16, 1
	s_delay_alu instid0(VALU_DEP_1)
	v_add3_u32 v26, v1, v2, 0x7fff
                                        ; implicit-def: $vgpr1
; %bb.81:                               ;   in Loop: Header=BB170_33 Depth=1
	s_and_not1_saveexec_b32 s6, s0
; %bb.82:                               ;   in Loop: Header=BB170_33 Depth=1
	v_and_b32_e32 v2, 0xffff, v1
	v_or_b32_e32 v26, 0x10000, v1
	s_delay_alu instid0(VALU_DEP_2) | instskip(NEXT) | instid1(VALU_DEP_1)
	v_cmp_eq_u32_e64 s0, 0, v2
	v_cndmask_b32_e64 v26, v26, v1, s0
; %bb.83:                               ;   in Loop: Header=BB170_33 Depth=1
	s_or_b32 exec_lo, exec_lo, s6
	v_and_b32_e32 v42, 0xffff0000, v27
	v_lshlrev_b32_e32 v1, 16, v3
                                        ; implicit-def: $vgpr27
	s_delay_alu instid0(VALU_DEP_1) | instskip(NEXT) | instid1(VALU_DEP_1)
	v_mul_f32_e32 v1, v42, v1
	v_and_b32_e32 v2, 0x7f800000, v1
	s_delay_alu instid0(VALU_DEP_1) | instskip(NEXT) | instid1(VALU_DEP_1)
	v_cmp_ne_u32_e64 s0, 0x7f800000, v2
	s_and_saveexec_b32 s6, s0
	s_delay_alu instid0(SALU_CYCLE_1)
	s_xor_b32 s0, exec_lo, s6
; %bb.84:                               ;   in Loop: Header=BB170_33 Depth=1
	v_bfe_u32 v2, v1, 16, 1
	s_delay_alu instid0(VALU_DEP_1)
	v_add3_u32 v27, v1, v2, 0x7fff
                                        ; implicit-def: $vgpr1
; %bb.85:                               ;   in Loop: Header=BB170_33 Depth=1
	s_and_not1_saveexec_b32 s6, s0
; %bb.86:                               ;   in Loop: Header=BB170_33 Depth=1
	v_and_b32_e32 v2, 0xffff, v1
	v_or_b32_e32 v3, 0x10000, v1
	s_delay_alu instid0(VALU_DEP_2) | instskip(NEXT) | instid1(VALU_DEP_1)
	v_cmp_eq_u32_e64 s0, 0, v2
	v_cndmask_b32_e64 v27, v3, v1, s0
; %bb.87:                               ;   in Loop: Header=BB170_33 Depth=1
	s_or_b32 exec_lo, exec_lo, s6
	v_and_b32_e32 v43, 0xffff0000, v28
	v_lshlrev_b32_e32 v1, 16, v44
                                        ; implicit-def: $vgpr28
	s_delay_alu instid0(VALU_DEP_1) | instskip(NEXT) | instid1(VALU_DEP_1)
	v_mul_f32_e32 v1, v43, v1
	v_and_b32_e32 v2, 0x7f800000, v1
	s_delay_alu instid0(VALU_DEP_1) | instskip(NEXT) | instid1(VALU_DEP_1)
	v_cmp_ne_u32_e64 s0, 0x7f800000, v2
	s_and_saveexec_b32 s6, s0
	s_delay_alu instid0(SALU_CYCLE_1)
	s_xor_b32 s0, exec_lo, s6
; %bb.88:                               ;   in Loop: Header=BB170_33 Depth=1
	v_bfe_u32 v2, v1, 16, 1
	s_delay_alu instid0(VALU_DEP_1)
	v_add3_u32 v28, v1, v2, 0x7fff
                                        ; implicit-def: $vgpr1
; %bb.89:                               ;   in Loop: Header=BB170_33 Depth=1
	s_and_not1_saveexec_b32 s6, s0
; %bb.90:                               ;   in Loop: Header=BB170_33 Depth=1
	v_and_b32_e32 v2, 0xffff, v1
	v_or_b32_e32 v3, 0x10000, v1
	s_delay_alu instid0(VALU_DEP_2) | instskip(NEXT) | instid1(VALU_DEP_1)
	v_cmp_eq_u32_e64 s0, 0, v2
	v_cndmask_b32_e64 v28, v3, v1, s0
; %bb.91:                               ;   in Loop: Header=BB170_33 Depth=1
	s_or_b32 exec_lo, exec_lo, s6
	v_and_b32_e32 v44, 0xffff0000, v29
	v_lshlrev_b32_e32 v1, 16, v4
                                        ; implicit-def: $vgpr29
	s_delay_alu instid0(VALU_DEP_1) | instskip(NEXT) | instid1(VALU_DEP_1)
	v_mul_f32_e32 v1, v44, v1
	v_and_b32_e32 v2, 0x7f800000, v1
	s_delay_alu instid0(VALU_DEP_1) | instskip(NEXT) | instid1(VALU_DEP_1)
	v_cmp_ne_u32_e64 s0, 0x7f800000, v2
	s_and_saveexec_b32 s6, s0
	s_delay_alu instid0(SALU_CYCLE_1)
	s_xor_b32 s0, exec_lo, s6
; %bb.92:                               ;   in Loop: Header=BB170_33 Depth=1
	v_bfe_u32 v2, v1, 16, 1
	s_delay_alu instid0(VALU_DEP_1)
	v_add3_u32 v29, v1, v2, 0x7fff
                                        ; implicit-def: $vgpr1
; %bb.93:                               ;   in Loop: Header=BB170_33 Depth=1
	s_and_not1_saveexec_b32 s6, s0
; %bb.94:                               ;   in Loop: Header=BB170_33 Depth=1
	v_and_b32_e32 v2, 0xffff, v1
	v_or_b32_e32 v3, 0x10000, v1
	s_delay_alu instid0(VALU_DEP_2) | instskip(NEXT) | instid1(VALU_DEP_1)
	v_cmp_eq_u32_e64 s0, 0, v2
	v_cndmask_b32_e64 v29, v3, v1, s0
; %bb.95:                               ;   in Loop: Header=BB170_33 Depth=1
	s_or_b32 exec_lo, exec_lo, s6
	v_and_b32_e32 v45, 0xffff0000, v30
	v_lshlrev_b32_e32 v1, 16, v46
                                        ; implicit-def: $vgpr30
	s_delay_alu instid0(VALU_DEP_1) | instskip(NEXT) | instid1(VALU_DEP_1)
	v_mul_f32_e32 v1, v45, v1
	v_and_b32_e32 v2, 0x7f800000, v1
	s_delay_alu instid0(VALU_DEP_1) | instskip(NEXT) | instid1(VALU_DEP_1)
	v_cmp_ne_u32_e64 s0, 0x7f800000, v2
	s_and_saveexec_b32 s6, s0
	s_delay_alu instid0(SALU_CYCLE_1)
	s_xor_b32 s0, exec_lo, s6
; %bb.96:                               ;   in Loop: Header=BB170_33 Depth=1
	v_bfe_u32 v2, v1, 16, 1
	s_delay_alu instid0(VALU_DEP_1)
	v_add3_u32 v30, v1, v2, 0x7fff
                                        ; implicit-def: $vgpr1
; %bb.97:                               ;   in Loop: Header=BB170_33 Depth=1
	s_and_not1_saveexec_b32 s6, s0
; %bb.98:                               ;   in Loop: Header=BB170_33 Depth=1
	v_and_b32_e32 v2, 0xffff, v1
	v_or_b32_e32 v3, 0x10000, v1
	s_delay_alu instid0(VALU_DEP_2) | instskip(NEXT) | instid1(VALU_DEP_1)
	v_cmp_eq_u32_e64 s0, 0, v2
	v_cndmask_b32_e64 v30, v3, v1, s0
; %bb.99:                               ;   in Loop: Header=BB170_33 Depth=1
	s_or_b32 exec_lo, exec_lo, s6
	global_load_b128 v[1:4], v[5:6], off offset:512
	s_waitcnt vmcnt(0)
	v_lshrrev_b32_e32 v47, 16, v1
	v_lshrrev_b32_e32 v49, 16, v2
	;; [unrolled: 1-line block ×4, first 2 shown]
	s_and_saveexec_b32 s6, vcc_lo
	s_cbranch_execz .LBB170_101
; %bb.100:                              ;   in Loop: Header=BB170_33 Depth=1
	v_cmp_gt_i32_e64 s0, s30, v31
	s_delay_alu instid0(VALU_DEP_1) | instskip(SKIP_1) | instid1(VALU_DEP_1)
	v_cndmask_b32_e64 v1, 0, v1, s0
	v_cmp_gt_i32_e64 s0, s30, v37
	v_cndmask_b32_e64 v47, 0, v47, s0
	v_cmp_gt_i32_e64 s0, s30, v35
	s_delay_alu instid0(VALU_DEP_1) | instskip(SKIP_1) | instid1(VALU_DEP_1)
	v_cndmask_b32_e64 v2, 0, v2, s0
	v_cmp_gt_i32_e64 s0, s30, v34
	v_cndmask_b32_e64 v49, 0, v49, s0
	;; [unrolled: 5-line block ×4, first 2 shown]
.LBB170_101:                            ;   in Loop: Header=BB170_33 Depth=1
	s_or_b32 exec_lo, exec_lo, s6
	v_lshlrev_b32_e32 v1, 16, v1
	s_delay_alu instid0(VALU_DEP_1) | instskip(NEXT) | instid1(VALU_DEP_1)
	v_mul_f32_e32 v1, v38, v1
	v_and_b32_e32 v46, 0x7f800000, v1
	s_delay_alu instid0(VALU_DEP_1) | instskip(NEXT) | instid1(VALU_DEP_1)
	v_cmp_ne_u32_e64 s0, 0x7f800000, v46
                                        ; implicit-def: $vgpr46
	s_and_saveexec_b32 s6, s0
	s_delay_alu instid0(SALU_CYCLE_1)
	s_xor_b32 s0, exec_lo, s6
; %bb.102:                              ;   in Loop: Header=BB170_33 Depth=1
	v_bfe_u32 v46, v1, 16, 1
	s_delay_alu instid0(VALU_DEP_1)
	v_add3_u32 v46, v1, v46, 0x7fff
                                        ; implicit-def: $vgpr1
; %bb.103:                              ;   in Loop: Header=BB170_33 Depth=1
	s_and_not1_saveexec_b32 s6, s0
; %bb.104:                              ;   in Loop: Header=BB170_33 Depth=1
	v_and_b32_e32 v46, 0xffff, v1
	v_or_b32_e32 v48, 0x10000, v1
	s_delay_alu instid0(VALU_DEP_2) | instskip(NEXT) | instid1(VALU_DEP_1)
	v_cmp_eq_u32_e64 s0, 0, v46
	v_cndmask_b32_e64 v46, v48, v1, s0
; %bb.105:                              ;   in Loop: Header=BB170_33 Depth=1
	s_or_b32 exec_lo, exec_lo, s6
	v_lshlrev_b32_e32 v1, 16, v47
	s_delay_alu instid0(VALU_DEP_1) | instskip(NEXT) | instid1(VALU_DEP_1)
	v_mul_f32_e32 v1, v39, v1
	v_and_b32_e32 v47, 0x7f800000, v1
	s_delay_alu instid0(VALU_DEP_1) | instskip(NEXT) | instid1(VALU_DEP_1)
	v_cmp_ne_u32_e64 s0, 0x7f800000, v47
                                        ; implicit-def: $vgpr47
	s_and_saveexec_b32 s6, s0
	s_delay_alu instid0(SALU_CYCLE_1)
	s_xor_b32 s0, exec_lo, s6
; %bb.106:                              ;   in Loop: Header=BB170_33 Depth=1
	v_bfe_u32 v47, v1, 16, 1
	s_delay_alu instid0(VALU_DEP_1)
	v_add3_u32 v47, v1, v47, 0x7fff
                                        ; implicit-def: $vgpr1
; %bb.107:                              ;   in Loop: Header=BB170_33 Depth=1
	s_and_not1_saveexec_b32 s6, s0
; %bb.108:                              ;   in Loop: Header=BB170_33 Depth=1
	v_and_b32_e32 v47, 0xffff, v1
	v_or_b32_e32 v48, 0x10000, v1
	s_delay_alu instid0(VALU_DEP_2) | instskip(NEXT) | instid1(VALU_DEP_1)
	v_cmp_eq_u32_e64 s0, 0, v47
	v_cndmask_b32_e64 v47, v48, v1, s0
; %bb.109:                              ;   in Loop: Header=BB170_33 Depth=1
	s_or_b32 exec_lo, exec_lo, s6
	v_lshlrev_b32_e32 v1, 16, v2
                                        ; implicit-def: $vgpr48
	s_delay_alu instid0(VALU_DEP_1) | instskip(NEXT) | instid1(VALU_DEP_1)
	v_mul_f32_e32 v1, v40, v1
	v_and_b32_e32 v2, 0x7f800000, v1
	s_delay_alu instid0(VALU_DEP_1) | instskip(NEXT) | instid1(VALU_DEP_1)
	v_cmp_ne_u32_e64 s0, 0x7f800000, v2
	s_and_saveexec_b32 s6, s0
	s_delay_alu instid0(SALU_CYCLE_1)
	s_xor_b32 s0, exec_lo, s6
; %bb.110:                              ;   in Loop: Header=BB170_33 Depth=1
	v_bfe_u32 v2, v1, 16, 1
	s_delay_alu instid0(VALU_DEP_1)
	v_add3_u32 v48, v1, v2, 0x7fff
                                        ; implicit-def: $vgpr1
; %bb.111:                              ;   in Loop: Header=BB170_33 Depth=1
	s_and_not1_saveexec_b32 s6, s0
; %bb.112:                              ;   in Loop: Header=BB170_33 Depth=1
	v_and_b32_e32 v2, 0xffff, v1
	v_or_b32_e32 v48, 0x10000, v1
	s_delay_alu instid0(VALU_DEP_2) | instskip(NEXT) | instid1(VALU_DEP_1)
	v_cmp_eq_u32_e64 s0, 0, v2
	v_cndmask_b32_e64 v48, v48, v1, s0
; %bb.113:                              ;   in Loop: Header=BB170_33 Depth=1
	s_or_b32 exec_lo, exec_lo, s6
	v_lshlrev_b32_e32 v1, 16, v49
                                        ; implicit-def: $vgpr49
	s_delay_alu instid0(VALU_DEP_1) | instskip(NEXT) | instid1(VALU_DEP_1)
	v_mul_f32_e32 v1, v41, v1
	v_and_b32_e32 v2, 0x7f800000, v1
	s_delay_alu instid0(VALU_DEP_1) | instskip(NEXT) | instid1(VALU_DEP_1)
	v_cmp_ne_u32_e64 s0, 0x7f800000, v2
	s_and_saveexec_b32 s6, s0
	s_delay_alu instid0(SALU_CYCLE_1)
	s_xor_b32 s0, exec_lo, s6
; %bb.114:                              ;   in Loop: Header=BB170_33 Depth=1
	v_bfe_u32 v2, v1, 16, 1
	s_delay_alu instid0(VALU_DEP_1)
	v_add3_u32 v49, v1, v2, 0x7fff
                                        ; implicit-def: $vgpr1
; %bb.115:                              ;   in Loop: Header=BB170_33 Depth=1
	s_and_not1_saveexec_b32 s6, s0
; %bb.116:                              ;   in Loop: Header=BB170_33 Depth=1
	v_and_b32_e32 v2, 0xffff, v1
	v_or_b32_e32 v49, 0x10000, v1
	s_delay_alu instid0(VALU_DEP_2) | instskip(NEXT) | instid1(VALU_DEP_1)
	v_cmp_eq_u32_e64 s0, 0, v2
	v_cndmask_b32_e64 v49, v49, v1, s0
; %bb.117:                              ;   in Loop: Header=BB170_33 Depth=1
	s_or_b32 exec_lo, exec_lo, s6
	v_lshlrev_b32_e32 v1, 16, v3
                                        ; implicit-def: $vgpr50
	s_delay_alu instid0(VALU_DEP_1) | instskip(NEXT) | instid1(VALU_DEP_1)
	v_mul_f32_e32 v1, v42, v1
	v_and_b32_e32 v2, 0x7f800000, v1
	s_delay_alu instid0(VALU_DEP_1) | instskip(NEXT) | instid1(VALU_DEP_1)
	v_cmp_ne_u32_e64 s0, 0x7f800000, v2
	s_and_saveexec_b32 s6, s0
	s_delay_alu instid0(SALU_CYCLE_1)
	s_xor_b32 s0, exec_lo, s6
; %bb.118:                              ;   in Loop: Header=BB170_33 Depth=1
	v_bfe_u32 v2, v1, 16, 1
	s_delay_alu instid0(VALU_DEP_1)
	v_add3_u32 v50, v1, v2, 0x7fff
                                        ; implicit-def: $vgpr1
; %bb.119:                              ;   in Loop: Header=BB170_33 Depth=1
	s_and_not1_saveexec_b32 s6, s0
; %bb.120:                              ;   in Loop: Header=BB170_33 Depth=1
	v_and_b32_e32 v2, 0xffff, v1
	v_or_b32_e32 v3, 0x10000, v1
	s_delay_alu instid0(VALU_DEP_2) | instskip(NEXT) | instid1(VALU_DEP_1)
	v_cmp_eq_u32_e64 s0, 0, v2
	v_cndmask_b32_e64 v50, v3, v1, s0
; %bb.121:                              ;   in Loop: Header=BB170_33 Depth=1
	s_or_b32 exec_lo, exec_lo, s6
	v_lshlrev_b32_e32 v1, 16, v51
                                        ; implicit-def: $vgpr51
	s_delay_alu instid0(VALU_DEP_1) | instskip(NEXT) | instid1(VALU_DEP_1)
	v_mul_f32_e32 v1, v43, v1
	v_and_b32_e32 v2, 0x7f800000, v1
	s_delay_alu instid0(VALU_DEP_1) | instskip(NEXT) | instid1(VALU_DEP_1)
	v_cmp_ne_u32_e64 s0, 0x7f800000, v2
	s_and_saveexec_b32 s6, s0
	s_delay_alu instid0(SALU_CYCLE_1)
	s_xor_b32 s0, exec_lo, s6
; %bb.122:                              ;   in Loop: Header=BB170_33 Depth=1
	v_bfe_u32 v2, v1, 16, 1
	s_delay_alu instid0(VALU_DEP_1)
	v_add3_u32 v51, v1, v2, 0x7fff
                                        ; implicit-def: $vgpr1
; %bb.123:                              ;   in Loop: Header=BB170_33 Depth=1
	s_and_not1_saveexec_b32 s6, s0
; %bb.124:                              ;   in Loop: Header=BB170_33 Depth=1
	v_and_b32_e32 v2, 0xffff, v1
	v_or_b32_e32 v3, 0x10000, v1
	s_delay_alu instid0(VALU_DEP_2) | instskip(NEXT) | instid1(VALU_DEP_1)
	v_cmp_eq_u32_e64 s0, 0, v2
	v_cndmask_b32_e64 v51, v3, v1, s0
; %bb.125:                              ;   in Loop: Header=BB170_33 Depth=1
	s_or_b32 exec_lo, exec_lo, s6
	v_lshlrev_b32_e32 v1, 16, v4
                                        ; implicit-def: $vgpr52
	s_delay_alu instid0(VALU_DEP_1) | instskip(NEXT) | instid1(VALU_DEP_1)
	v_mul_f32_e32 v1, v44, v1
	v_and_b32_e32 v2, 0x7f800000, v1
	s_delay_alu instid0(VALU_DEP_1) | instskip(NEXT) | instid1(VALU_DEP_1)
	v_cmp_ne_u32_e64 s0, 0x7f800000, v2
	s_and_saveexec_b32 s6, s0
	s_delay_alu instid0(SALU_CYCLE_1)
	s_xor_b32 s0, exec_lo, s6
; %bb.126:                              ;   in Loop: Header=BB170_33 Depth=1
	v_bfe_u32 v2, v1, 16, 1
	s_delay_alu instid0(VALU_DEP_1)
	v_add3_u32 v52, v1, v2, 0x7fff
                                        ; implicit-def: $vgpr1
; %bb.127:                              ;   in Loop: Header=BB170_33 Depth=1
	s_and_not1_saveexec_b32 s6, s0
; %bb.128:                              ;   in Loop: Header=BB170_33 Depth=1
	v_and_b32_e32 v2, 0xffff, v1
	v_or_b32_e32 v3, 0x10000, v1
	s_delay_alu instid0(VALU_DEP_2) | instskip(NEXT) | instid1(VALU_DEP_1)
	v_cmp_eq_u32_e64 s0, 0, v2
	v_cndmask_b32_e64 v52, v3, v1, s0
; %bb.129:                              ;   in Loop: Header=BB170_33 Depth=1
	s_or_b32 exec_lo, exec_lo, s6
	v_lshlrev_b32_e32 v1, 16, v53
                                        ; implicit-def: $vgpr53
	s_delay_alu instid0(VALU_DEP_1) | instskip(NEXT) | instid1(VALU_DEP_1)
	v_mul_f32_e32 v1, v45, v1
	v_and_b32_e32 v2, 0x7f800000, v1
	s_delay_alu instid0(VALU_DEP_1) | instskip(NEXT) | instid1(VALU_DEP_1)
	v_cmp_ne_u32_e64 s0, 0x7f800000, v2
	s_and_saveexec_b32 s6, s0
	s_delay_alu instid0(SALU_CYCLE_1)
	s_xor_b32 s0, exec_lo, s6
; %bb.130:                              ;   in Loop: Header=BB170_33 Depth=1
	v_bfe_u32 v2, v1, 16, 1
	s_delay_alu instid0(VALU_DEP_1)
	v_add3_u32 v53, v1, v2, 0x7fff
                                        ; implicit-def: $vgpr1
; %bb.131:                              ;   in Loop: Header=BB170_33 Depth=1
	s_and_not1_saveexec_b32 s6, s0
; %bb.132:                              ;   in Loop: Header=BB170_33 Depth=1
	v_and_b32_e32 v2, 0xffff, v1
	v_or_b32_e32 v3, 0x10000, v1
	s_delay_alu instid0(VALU_DEP_2) | instskip(NEXT) | instid1(VALU_DEP_1)
	v_cmp_eq_u32_e64 s0, 0, v2
	v_cndmask_b32_e64 v53, v3, v1, s0
; %bb.133:                              ;   in Loop: Header=BB170_33 Depth=1
	s_or_b32 exec_lo, exec_lo, s6
	global_load_b128 v[1:4], v[5:6], off offset:1024
	s_waitcnt vmcnt(0)
	v_lshrrev_b32_e32 v55, 16, v1
	v_lshrrev_b32_e32 v57, 16, v2
	;; [unrolled: 1-line block ×4, first 2 shown]
	s_and_saveexec_b32 s6, vcc_lo
	s_cbranch_execz .LBB170_135
; %bb.134:                              ;   in Loop: Header=BB170_33 Depth=1
	v_cmp_gt_i32_e64 s0, s30, v31
	s_delay_alu instid0(VALU_DEP_1) | instskip(SKIP_1) | instid1(VALU_DEP_1)
	v_cndmask_b32_e64 v1, 0, v1, s0
	v_cmp_gt_i32_e64 s0, s30, v37
	v_cndmask_b32_e64 v55, 0, v55, s0
	v_cmp_gt_i32_e64 s0, s30, v35
	s_delay_alu instid0(VALU_DEP_1) | instskip(SKIP_1) | instid1(VALU_DEP_1)
	v_cndmask_b32_e64 v2, 0, v2, s0
	v_cmp_gt_i32_e64 s0, s30, v34
	v_cndmask_b32_e64 v57, 0, v57, s0
	;; [unrolled: 5-line block ×4, first 2 shown]
.LBB170_135:                            ;   in Loop: Header=BB170_33 Depth=1
	s_or_b32 exec_lo, exec_lo, s6
	v_lshlrev_b32_e32 v1, 16, v1
	s_delay_alu instid0(VALU_DEP_1) | instskip(NEXT) | instid1(VALU_DEP_1)
	v_mul_f32_e32 v1, v38, v1
	v_and_b32_e32 v54, 0x7f800000, v1
	s_delay_alu instid0(VALU_DEP_1) | instskip(NEXT) | instid1(VALU_DEP_1)
	v_cmp_ne_u32_e64 s0, 0x7f800000, v54
                                        ; implicit-def: $vgpr54
	s_and_saveexec_b32 s6, s0
	s_delay_alu instid0(SALU_CYCLE_1)
	s_xor_b32 s0, exec_lo, s6
; %bb.136:                              ;   in Loop: Header=BB170_33 Depth=1
	v_bfe_u32 v54, v1, 16, 1
	s_delay_alu instid0(VALU_DEP_1)
	v_add3_u32 v54, v1, v54, 0x7fff
                                        ; implicit-def: $vgpr1
; %bb.137:                              ;   in Loop: Header=BB170_33 Depth=1
	s_and_not1_saveexec_b32 s6, s0
; %bb.138:                              ;   in Loop: Header=BB170_33 Depth=1
	v_and_b32_e32 v54, 0xffff, v1
	v_or_b32_e32 v56, 0x10000, v1
	s_delay_alu instid0(VALU_DEP_2) | instskip(NEXT) | instid1(VALU_DEP_1)
	v_cmp_eq_u32_e64 s0, 0, v54
	v_cndmask_b32_e64 v54, v56, v1, s0
; %bb.139:                              ;   in Loop: Header=BB170_33 Depth=1
	s_or_b32 exec_lo, exec_lo, s6
	v_lshlrev_b32_e32 v1, 16, v55
	s_delay_alu instid0(VALU_DEP_1) | instskip(NEXT) | instid1(VALU_DEP_1)
	v_mul_f32_e32 v1, v39, v1
	v_and_b32_e32 v55, 0x7f800000, v1
	s_delay_alu instid0(VALU_DEP_1) | instskip(NEXT) | instid1(VALU_DEP_1)
	v_cmp_ne_u32_e64 s0, 0x7f800000, v55
                                        ; implicit-def: $vgpr55
	s_and_saveexec_b32 s6, s0
	s_delay_alu instid0(SALU_CYCLE_1)
	s_xor_b32 s0, exec_lo, s6
; %bb.140:                              ;   in Loop: Header=BB170_33 Depth=1
	v_bfe_u32 v55, v1, 16, 1
	s_delay_alu instid0(VALU_DEP_1)
	v_add3_u32 v55, v1, v55, 0x7fff
                                        ; implicit-def: $vgpr1
; %bb.141:                              ;   in Loop: Header=BB170_33 Depth=1
	s_and_not1_saveexec_b32 s6, s0
; %bb.142:                              ;   in Loop: Header=BB170_33 Depth=1
	v_and_b32_e32 v55, 0xffff, v1
	v_or_b32_e32 v56, 0x10000, v1
	s_delay_alu instid0(VALU_DEP_2) | instskip(NEXT) | instid1(VALU_DEP_1)
	v_cmp_eq_u32_e64 s0, 0, v55
	v_cndmask_b32_e64 v55, v56, v1, s0
; %bb.143:                              ;   in Loop: Header=BB170_33 Depth=1
	s_or_b32 exec_lo, exec_lo, s6
	v_lshlrev_b32_e32 v1, 16, v2
                                        ; implicit-def: $vgpr56
	s_delay_alu instid0(VALU_DEP_1) | instskip(NEXT) | instid1(VALU_DEP_1)
	v_mul_f32_e32 v1, v40, v1
	v_and_b32_e32 v2, 0x7f800000, v1
	s_delay_alu instid0(VALU_DEP_1) | instskip(NEXT) | instid1(VALU_DEP_1)
	v_cmp_ne_u32_e64 s0, 0x7f800000, v2
	s_and_saveexec_b32 s6, s0
	s_delay_alu instid0(SALU_CYCLE_1)
	s_xor_b32 s0, exec_lo, s6
; %bb.144:                              ;   in Loop: Header=BB170_33 Depth=1
	v_bfe_u32 v2, v1, 16, 1
	s_delay_alu instid0(VALU_DEP_1)
	v_add3_u32 v56, v1, v2, 0x7fff
                                        ; implicit-def: $vgpr1
; %bb.145:                              ;   in Loop: Header=BB170_33 Depth=1
	s_and_not1_saveexec_b32 s6, s0
; %bb.146:                              ;   in Loop: Header=BB170_33 Depth=1
	v_and_b32_e32 v2, 0xffff, v1
	v_or_b32_e32 v56, 0x10000, v1
	s_delay_alu instid0(VALU_DEP_2) | instskip(NEXT) | instid1(VALU_DEP_1)
	v_cmp_eq_u32_e64 s0, 0, v2
	v_cndmask_b32_e64 v56, v56, v1, s0
; %bb.147:                              ;   in Loop: Header=BB170_33 Depth=1
	s_or_b32 exec_lo, exec_lo, s6
	v_lshlrev_b32_e32 v1, 16, v57
                                        ; implicit-def: $vgpr57
	s_delay_alu instid0(VALU_DEP_1) | instskip(NEXT) | instid1(VALU_DEP_1)
	v_mul_f32_e32 v1, v41, v1
	v_and_b32_e32 v2, 0x7f800000, v1
	s_delay_alu instid0(VALU_DEP_1) | instskip(NEXT) | instid1(VALU_DEP_1)
	v_cmp_ne_u32_e64 s0, 0x7f800000, v2
	s_and_saveexec_b32 s6, s0
	s_delay_alu instid0(SALU_CYCLE_1)
	s_xor_b32 s0, exec_lo, s6
; %bb.148:                              ;   in Loop: Header=BB170_33 Depth=1
	v_bfe_u32 v2, v1, 16, 1
	s_delay_alu instid0(VALU_DEP_1)
	v_add3_u32 v57, v1, v2, 0x7fff
                                        ; implicit-def: $vgpr1
; %bb.149:                              ;   in Loop: Header=BB170_33 Depth=1
	s_and_not1_saveexec_b32 s6, s0
; %bb.150:                              ;   in Loop: Header=BB170_33 Depth=1
	v_and_b32_e32 v2, 0xffff, v1
	v_or_b32_e32 v57, 0x10000, v1
	s_delay_alu instid0(VALU_DEP_2) | instskip(NEXT) | instid1(VALU_DEP_1)
	v_cmp_eq_u32_e64 s0, 0, v2
	v_cndmask_b32_e64 v57, v57, v1, s0
; %bb.151:                              ;   in Loop: Header=BB170_33 Depth=1
	s_or_b32 exec_lo, exec_lo, s6
	v_lshlrev_b32_e32 v1, 16, v3
                                        ; implicit-def: $vgpr58
	s_delay_alu instid0(VALU_DEP_1) | instskip(NEXT) | instid1(VALU_DEP_1)
	v_mul_f32_e32 v1, v42, v1
	v_and_b32_e32 v2, 0x7f800000, v1
	s_delay_alu instid0(VALU_DEP_1) | instskip(NEXT) | instid1(VALU_DEP_1)
	v_cmp_ne_u32_e64 s0, 0x7f800000, v2
	s_and_saveexec_b32 s6, s0
	s_delay_alu instid0(SALU_CYCLE_1)
	s_xor_b32 s0, exec_lo, s6
; %bb.152:                              ;   in Loop: Header=BB170_33 Depth=1
	v_bfe_u32 v2, v1, 16, 1
	s_delay_alu instid0(VALU_DEP_1)
	v_add3_u32 v58, v1, v2, 0x7fff
                                        ; implicit-def: $vgpr1
; %bb.153:                              ;   in Loop: Header=BB170_33 Depth=1
	s_and_not1_saveexec_b32 s6, s0
; %bb.154:                              ;   in Loop: Header=BB170_33 Depth=1
	v_and_b32_e32 v2, 0xffff, v1
	v_or_b32_e32 v3, 0x10000, v1
	s_delay_alu instid0(VALU_DEP_2) | instskip(NEXT) | instid1(VALU_DEP_1)
	v_cmp_eq_u32_e64 s0, 0, v2
	v_cndmask_b32_e64 v58, v3, v1, s0
; %bb.155:                              ;   in Loop: Header=BB170_33 Depth=1
	s_or_b32 exec_lo, exec_lo, s6
	v_lshlrev_b32_e32 v1, 16, v59
                                        ; implicit-def: $vgpr59
	s_delay_alu instid0(VALU_DEP_1) | instskip(NEXT) | instid1(VALU_DEP_1)
	v_mul_f32_e32 v1, v43, v1
	v_and_b32_e32 v2, 0x7f800000, v1
	s_delay_alu instid0(VALU_DEP_1) | instskip(NEXT) | instid1(VALU_DEP_1)
	v_cmp_ne_u32_e64 s0, 0x7f800000, v2
	s_and_saveexec_b32 s6, s0
	s_delay_alu instid0(SALU_CYCLE_1)
	s_xor_b32 s0, exec_lo, s6
; %bb.156:                              ;   in Loop: Header=BB170_33 Depth=1
	v_bfe_u32 v2, v1, 16, 1
	s_delay_alu instid0(VALU_DEP_1)
	v_add3_u32 v59, v1, v2, 0x7fff
                                        ; implicit-def: $vgpr1
; %bb.157:                              ;   in Loop: Header=BB170_33 Depth=1
	s_and_not1_saveexec_b32 s6, s0
; %bb.158:                              ;   in Loop: Header=BB170_33 Depth=1
	v_and_b32_e32 v2, 0xffff, v1
	v_or_b32_e32 v3, 0x10000, v1
	s_delay_alu instid0(VALU_DEP_2) | instskip(NEXT) | instid1(VALU_DEP_1)
	v_cmp_eq_u32_e64 s0, 0, v2
	v_cndmask_b32_e64 v59, v3, v1, s0
; %bb.159:                              ;   in Loop: Header=BB170_33 Depth=1
	s_or_b32 exec_lo, exec_lo, s6
	v_lshlrev_b32_e32 v1, 16, v4
                                        ; implicit-def: $vgpr60
	s_delay_alu instid0(VALU_DEP_1) | instskip(NEXT) | instid1(VALU_DEP_1)
	v_mul_f32_e32 v1, v44, v1
	v_and_b32_e32 v2, 0x7f800000, v1
	s_delay_alu instid0(VALU_DEP_1) | instskip(NEXT) | instid1(VALU_DEP_1)
	v_cmp_ne_u32_e64 s0, 0x7f800000, v2
	s_and_saveexec_b32 s6, s0
	s_delay_alu instid0(SALU_CYCLE_1)
	s_xor_b32 s0, exec_lo, s6
; %bb.160:                              ;   in Loop: Header=BB170_33 Depth=1
	v_bfe_u32 v2, v1, 16, 1
	s_delay_alu instid0(VALU_DEP_1)
	v_add3_u32 v60, v1, v2, 0x7fff
                                        ; implicit-def: $vgpr1
; %bb.161:                              ;   in Loop: Header=BB170_33 Depth=1
	s_and_not1_saveexec_b32 s6, s0
; %bb.162:                              ;   in Loop: Header=BB170_33 Depth=1
	v_and_b32_e32 v2, 0xffff, v1
	v_or_b32_e32 v3, 0x10000, v1
	s_delay_alu instid0(VALU_DEP_2) | instskip(NEXT) | instid1(VALU_DEP_1)
	v_cmp_eq_u32_e64 s0, 0, v2
	v_cndmask_b32_e64 v60, v3, v1, s0
; %bb.163:                              ;   in Loop: Header=BB170_33 Depth=1
	s_or_b32 exec_lo, exec_lo, s6
	v_lshlrev_b32_e32 v1, 16, v61
                                        ; implicit-def: $vgpr61
	s_delay_alu instid0(VALU_DEP_1) | instskip(NEXT) | instid1(VALU_DEP_1)
	v_mul_f32_e32 v1, v45, v1
	v_and_b32_e32 v2, 0x7f800000, v1
	s_delay_alu instid0(VALU_DEP_1) | instskip(NEXT) | instid1(VALU_DEP_1)
	v_cmp_ne_u32_e64 s0, 0x7f800000, v2
	s_and_saveexec_b32 s6, s0
	s_delay_alu instid0(SALU_CYCLE_1)
	s_xor_b32 s0, exec_lo, s6
; %bb.164:                              ;   in Loop: Header=BB170_33 Depth=1
	v_bfe_u32 v2, v1, 16, 1
	s_delay_alu instid0(VALU_DEP_1)
	v_add3_u32 v61, v1, v2, 0x7fff
                                        ; implicit-def: $vgpr1
; %bb.165:                              ;   in Loop: Header=BB170_33 Depth=1
	s_and_not1_saveexec_b32 s6, s0
; %bb.166:                              ;   in Loop: Header=BB170_33 Depth=1
	v_and_b32_e32 v2, 0xffff, v1
	v_or_b32_e32 v3, 0x10000, v1
	s_delay_alu instid0(VALU_DEP_2) | instskip(NEXT) | instid1(VALU_DEP_1)
	v_cmp_eq_u32_e64 s0, 0, v2
	v_cndmask_b32_e64 v61, v3, v1, s0
; %bb.167:                              ;   in Loop: Header=BB170_33 Depth=1
	s_or_b32 exec_lo, exec_lo, s6
	global_load_b128 v[1:4], v[5:6], off offset:1536
	s_waitcnt vmcnt(0)
	v_lshrrev_b32_e32 v5, 16, v1
	v_lshrrev_b32_e32 v63, 16, v2
	;; [unrolled: 1-line block ×4, first 2 shown]
	s_and_saveexec_b32 s0, vcc_lo
	s_cbranch_execz .LBB170_169
; %bb.168:                              ;   in Loop: Header=BB170_33 Depth=1
	v_cmp_gt_i32_e32 vcc_lo, s30, v31
	v_cndmask_b32_e32 v1, 0, v1, vcc_lo
	v_cmp_gt_i32_e32 vcc_lo, s30, v37
	v_cndmask_b32_e32 v5, 0, v5, vcc_lo
	;; [unrolled: 2-line block ×8, first 2 shown]
.LBB170_169:                            ;   in Loop: Header=BB170_33 Depth=1
	s_or_b32 exec_lo, exec_lo, s0
	v_lshlrev_b32_e32 v1, 16, v1
	s_delay_alu instid0(VALU_DEP_1) | instskip(NEXT) | instid1(VALU_DEP_1)
	v_mul_f32_e32 v31, v38, v1
	v_and_b32_e32 v1, 0x7f800000, v31
	s_delay_alu instid0(VALU_DEP_1) | instskip(SKIP_1) | instid1(SALU_CYCLE_1)
	v_cmp_ne_u32_e32 vcc_lo, 0x7f800000, v1
                                        ; implicit-def: $vgpr1
	s_and_saveexec_b32 s0, vcc_lo
	s_xor_b32 s0, exec_lo, s0
; %bb.170:                              ;   in Loop: Header=BB170_33 Depth=1
	v_bfe_u32 v1, v31, 16, 1
	s_delay_alu instid0(VALU_DEP_1)
	v_add3_u32 v1, v31, v1, 0x7fff
                                        ; implicit-def: $vgpr31
; %bb.171:                              ;   in Loop: Header=BB170_33 Depth=1
	s_and_not1_saveexec_b32 s0, s0
; %bb.172:                              ;   in Loop: Header=BB170_33 Depth=1
	v_and_b32_e32 v1, 0xffff, v31
	v_or_b32_e32 v32, 0x10000, v31
	s_delay_alu instid0(VALU_DEP_2) | instskip(NEXT) | instid1(VALU_DEP_2)
	v_cmp_eq_u32_e32 vcc_lo, 0, v1
	v_cndmask_b32_e32 v1, v32, v31, vcc_lo
; %bb.173:                              ;   in Loop: Header=BB170_33 Depth=1
	s_or_b32 exec_lo, exec_lo, s0
	v_lshlrev_b32_e32 v5, 16, v5
	s_delay_alu instid0(VALU_DEP_1) | instskip(NEXT) | instid1(VALU_DEP_1)
	v_mul_f32_e32 v31, v39, v5
	v_and_b32_e32 v5, 0x7f800000, v31
	s_delay_alu instid0(VALU_DEP_1) | instskip(SKIP_1) | instid1(SALU_CYCLE_1)
	v_cmp_ne_u32_e32 vcc_lo, 0x7f800000, v5
                                        ; implicit-def: $vgpr5
	s_and_saveexec_b32 s0, vcc_lo
	s_xor_b32 s0, exec_lo, s0
; %bb.174:                              ;   in Loop: Header=BB170_33 Depth=1
	v_bfe_u32 v5, v31, 16, 1
	s_delay_alu instid0(VALU_DEP_1)
	v_add3_u32 v5, v31, v5, 0x7fff
                                        ; implicit-def: $vgpr31
; %bb.175:                              ;   in Loop: Header=BB170_33 Depth=1
	s_and_not1_saveexec_b32 s0, s0
; %bb.176:                              ;   in Loop: Header=BB170_33 Depth=1
	v_and_b32_e32 v5, 0xffff, v31
	v_or_b32_e32 v32, 0x10000, v31
	s_delay_alu instid0(VALU_DEP_2) | instskip(NEXT) | instid1(VALU_DEP_2)
	v_cmp_eq_u32_e32 vcc_lo, 0, v5
	v_cndmask_b32_e32 v5, v32, v31, vcc_lo
; %bb.177:                              ;   in Loop: Header=BB170_33 Depth=1
	s_or_b32 exec_lo, exec_lo, s0
	v_lshlrev_b32_e32 v2, 16, v2
	s_delay_alu instid0(VALU_DEP_1) | instskip(NEXT) | instid1(VALU_DEP_1)
	v_mul_f32_e32 v31, v40, v2
	v_and_b32_e32 v2, 0x7f800000, v31
	s_delay_alu instid0(VALU_DEP_1) | instskip(SKIP_1) | instid1(SALU_CYCLE_1)
	v_cmp_ne_u32_e32 vcc_lo, 0x7f800000, v2
                                        ; implicit-def: $vgpr2
	s_and_saveexec_b32 s0, vcc_lo
	s_xor_b32 s0, exec_lo, s0
; %bb.178:                              ;   in Loop: Header=BB170_33 Depth=1
	v_bfe_u32 v2, v31, 16, 1
	s_delay_alu instid0(VALU_DEP_1)
	v_add3_u32 v2, v31, v2, 0x7fff
                                        ; implicit-def: $vgpr31
; %bb.179:                              ;   in Loop: Header=BB170_33 Depth=1
	s_and_not1_saveexec_b32 s0, s0
; %bb.180:                              ;   in Loop: Header=BB170_33 Depth=1
	v_and_b32_e32 v2, 0xffff, v31
	v_or_b32_e32 v32, 0x10000, v31
	s_delay_alu instid0(VALU_DEP_2) | instskip(NEXT) | instid1(VALU_DEP_2)
	v_cmp_eq_u32_e32 vcc_lo, 0, v2
	v_cndmask_b32_e32 v2, v32, v31, vcc_lo
; %bb.181:                              ;   in Loop: Header=BB170_33 Depth=1
	s_or_b32 exec_lo, exec_lo, s0
	v_lshlrev_b32_e32 v31, 16, v63
	s_delay_alu instid0(VALU_DEP_1) | instskip(NEXT) | instid1(VALU_DEP_1)
	v_mul_f32_e32 v32, v41, v31
	v_and_b32_e32 v31, 0x7f800000, v32
	s_delay_alu instid0(VALU_DEP_1) | instskip(SKIP_1) | instid1(SALU_CYCLE_1)
	v_cmp_ne_u32_e32 vcc_lo, 0x7f800000, v31
                                        ; implicit-def: $vgpr31
	s_and_saveexec_b32 s0, vcc_lo
	s_xor_b32 s0, exec_lo, s0
; %bb.182:                              ;   in Loop: Header=BB170_33 Depth=1
	v_bfe_u32 v31, v32, 16, 1
	s_delay_alu instid0(VALU_DEP_1)
	v_add3_u32 v31, v32, v31, 0x7fff
                                        ; implicit-def: $vgpr32
; %bb.183:                              ;   in Loop: Header=BB170_33 Depth=1
	s_and_not1_saveexec_b32 s0, s0
; %bb.184:                              ;   in Loop: Header=BB170_33 Depth=1
	v_and_b32_e32 v31, 0xffff, v32
	v_or_b32_e32 v33, 0x10000, v32
	s_delay_alu instid0(VALU_DEP_2) | instskip(NEXT) | instid1(VALU_DEP_2)
	v_cmp_eq_u32_e32 vcc_lo, 0, v31
	v_cndmask_b32_e32 v31, v33, v32, vcc_lo
; %bb.185:                              ;   in Loop: Header=BB170_33 Depth=1
	s_or_b32 exec_lo, exec_lo, s0
	v_lshlrev_b32_e32 v3, 16, v3
	s_delay_alu instid0(VALU_DEP_1) | instskip(NEXT) | instid1(VALU_DEP_1)
	v_mul_f32_e32 v32, v42, v3
	v_and_b32_e32 v3, 0x7f800000, v32
	s_delay_alu instid0(VALU_DEP_1) | instskip(SKIP_1) | instid1(SALU_CYCLE_1)
	v_cmp_ne_u32_e32 vcc_lo, 0x7f800000, v3
                                        ; implicit-def: $vgpr3
	s_and_saveexec_b32 s0, vcc_lo
	s_xor_b32 s0, exec_lo, s0
; %bb.186:                              ;   in Loop: Header=BB170_33 Depth=1
	v_bfe_u32 v3, v32, 16, 1
	s_delay_alu instid0(VALU_DEP_1)
	v_add3_u32 v3, v32, v3, 0x7fff
                                        ; implicit-def: $vgpr32
; %bb.187:                              ;   in Loop: Header=BB170_33 Depth=1
	s_and_not1_saveexec_b32 s0, s0
; %bb.188:                              ;   in Loop: Header=BB170_33 Depth=1
	v_and_b32_e32 v3, 0xffff, v32
	v_or_b32_e32 v33, 0x10000, v32
	s_delay_alu instid0(VALU_DEP_2) | instskip(NEXT) | instid1(VALU_DEP_2)
	v_cmp_eq_u32_e32 vcc_lo, 0, v3
	v_cndmask_b32_e32 v3, v33, v32, vcc_lo
; %bb.189:                              ;   in Loop: Header=BB170_33 Depth=1
	s_or_b32 exec_lo, exec_lo, s0
	v_lshlrev_b32_e32 v32, 16, v62
	s_delay_alu instid0(VALU_DEP_1) | instskip(NEXT) | instid1(VALU_DEP_1)
	v_mul_f32_e32 v33, v43, v32
	v_and_b32_e32 v32, 0x7f800000, v33
	s_delay_alu instid0(VALU_DEP_1) | instskip(SKIP_1) | instid1(SALU_CYCLE_1)
	v_cmp_ne_u32_e32 vcc_lo, 0x7f800000, v32
                                        ; implicit-def: $vgpr32
	s_and_saveexec_b32 s0, vcc_lo
	s_xor_b32 s0, exec_lo, s0
; %bb.190:                              ;   in Loop: Header=BB170_33 Depth=1
	v_bfe_u32 v32, v33, 16, 1
	s_delay_alu instid0(VALU_DEP_1)
	v_add3_u32 v32, v33, v32, 0x7fff
                                        ; implicit-def: $vgpr33
; %bb.191:                              ;   in Loop: Header=BB170_33 Depth=1
	s_and_not1_saveexec_b32 s0, s0
; %bb.192:                              ;   in Loop: Header=BB170_33 Depth=1
	v_and_b32_e32 v32, 0xffff, v33
	v_or_b32_e32 v34, 0x10000, v33
	s_delay_alu instid0(VALU_DEP_2) | instskip(NEXT) | instid1(VALU_DEP_2)
	v_cmp_eq_u32_e32 vcc_lo, 0, v32
	v_cndmask_b32_e32 v32, v34, v33, vcc_lo
; %bb.193:                              ;   in Loop: Header=BB170_33 Depth=1
	s_or_b32 exec_lo, exec_lo, s0
	v_lshlrev_b32_e32 v4, 16, v4
	s_delay_alu instid0(VALU_DEP_1) | instskip(NEXT) | instid1(VALU_DEP_1)
	v_mul_f32_e32 v33, v44, v4
	v_and_b32_e32 v4, 0x7f800000, v33
	s_delay_alu instid0(VALU_DEP_1) | instskip(SKIP_1) | instid1(SALU_CYCLE_1)
	v_cmp_ne_u32_e32 vcc_lo, 0x7f800000, v4
                                        ; implicit-def: $vgpr4
	s_and_saveexec_b32 s0, vcc_lo
	s_xor_b32 s0, exec_lo, s0
; %bb.194:                              ;   in Loop: Header=BB170_33 Depth=1
	v_bfe_u32 v4, v33, 16, 1
	s_delay_alu instid0(VALU_DEP_1)
	v_add3_u32 v4, v33, v4, 0x7fff
                                        ; implicit-def: $vgpr33
; %bb.195:                              ;   in Loop: Header=BB170_33 Depth=1
	s_and_not1_saveexec_b32 s0, s0
; %bb.196:                              ;   in Loop: Header=BB170_33 Depth=1
	v_and_b32_e32 v4, 0xffff, v33
	v_or_b32_e32 v34, 0x10000, v33
	s_delay_alu instid0(VALU_DEP_2) | instskip(NEXT) | instid1(VALU_DEP_2)
	v_cmp_eq_u32_e32 vcc_lo, 0, v4
	v_cndmask_b32_e32 v4, v34, v33, vcc_lo
; %bb.197:                              ;   in Loop: Header=BB170_33 Depth=1
	s_or_b32 exec_lo, exec_lo, s0
	v_lshlrev_b32_e32 v6, 16, v6
	s_delay_alu instid0(VALU_DEP_1) | instskip(NEXT) | instid1(VALU_DEP_1)
	v_mul_f32_e32 v33, v45, v6
	v_and_b32_e32 v6, 0x7f800000, v33
	s_delay_alu instid0(VALU_DEP_1) | instskip(SKIP_1) | instid1(SALU_CYCLE_1)
	v_cmp_ne_u32_e32 vcc_lo, 0x7f800000, v6
                                        ; implicit-def: $vgpr6
	s_and_saveexec_b32 s0, vcc_lo
	s_xor_b32 s0, exec_lo, s0
; %bb.198:                              ;   in Loop: Header=BB170_33 Depth=1
	v_bfe_u32 v6, v33, 16, 1
	s_delay_alu instid0(VALU_DEP_1)
	v_add3_u32 v6, v33, v6, 0x7fff
                                        ; implicit-def: $vgpr33
; %bb.199:                              ;   in Loop: Header=BB170_33 Depth=1
	s_and_not1_saveexec_b32 s0, s0
	s_cbranch_execz .LBB170_32
; %bb.200:                              ;   in Loop: Header=BB170_33 Depth=1
	v_and_b32_e32 v6, 0xffff, v33
	v_or_b32_e32 v34, 0x10000, v33
	s_delay_alu instid0(VALU_DEP_2) | instskip(NEXT) | instid1(VALU_DEP_2)
	v_cmp_eq_u32_e32 vcc_lo, 0, v6
	v_cndmask_b32_e32 v6, v34, v33, vcc_lo
	s_branch .LBB170_32
.LBB170_201:
	s_or_b32 exec_lo, exec_lo, s3
.LBB170_202:
	s_delay_alu instid0(SALU_CYCLE_1)
	s_or_b32 exec_lo, exec_lo, s1
	ds_bpermute_b32 v1, v16, v17
	ds_bpermute_b32 v2, v16, v20
	;; [unrolled: 1-line block ×4, first 2 shown]
	v_lshrrev_b32_e32 v5, 1, v15
	v_lshl_add_u32 v6, v14, 8, 0xa0
	v_and_b32_e32 v8, 0x3c1, v0
	s_mov_b32 s0, exec_lo
	s_waitcnt lgkmcnt(0)
	s_waitcnt_vscnt null, 0x0
	s_barrier
	buffer_gl0_inv
	v_add_f32_e32 v4, v17, v1
	v_dual_add_f32 v2, v20, v2 :: v_dual_add_f32 v1, v19, v3
	v_add_f32_e32 v3, v18, v7
	v_cmpx_eq_u32_e32 64, v8
	s_cbranch_execz .LBB170_204
; %bb.203:
	v_lshlrev_b32_e32 v7, 2, v5
	s_delay_alu instid0(VALU_DEP_1)
	v_add3_u32 v7, v6, v7, 0xfffffe00
	ds_store_2addr_b32 v7, v4, v2 offset1:16
	ds_store_2addr_b32 v7, v1, v3 offset0:32 offset1:48
.LBB170_204:
	s_or_b32 exec_lo, exec_lo, s0
	v_cmp_eq_u32_e32 vcc_lo, 0, v13
	s_mov_b32 s1, exec_lo
	s_waitcnt lgkmcnt(0)
	s_barrier
	buffer_gl0_inv
	v_cmpx_gt_u32_e32 64, v0
	s_cbranch_execz .LBB170_211
; %bb.205:
	s_and_saveexec_b32 s0, vcc_lo
	s_cbranch_execnz .LBB170_240
; %bb.206:
	s_or_b32 exec_lo, exec_lo, s0
	s_and_saveexec_b32 s0, vcc_lo
	s_cbranch_execnz .LBB170_241
.LBB170_207:
	s_or_b32 exec_lo, exec_lo, s0
	s_and_saveexec_b32 s0, vcc_lo
	s_cbranch_execnz .LBB170_242
.LBB170_208:
	s_or_b32 exec_lo, exec_lo, s0
	s_and_saveexec_b32 s0, vcc_lo
	s_cbranch_execz .LBB170_210
.LBB170_209:
	v_lshl_add_u32 v7, v5, 2, v6
	ds_load_b32 v7, v7 offset:192
	s_waitcnt lgkmcnt(0)
	v_add_f32_e32 v3, v3, v7
.LBB170_210:
	s_or_b32 exec_lo, exec_lo, s0
.LBB170_211:
	s_delay_alu instid0(SALU_CYCLE_1)
	s_or_b32 exec_lo, exec_lo, s1
	v_and_b32_e32 v7, 0x3e1, v0
	s_mov_b32 s1, exec_lo
	s_barrier
	buffer_gl0_inv
	v_cmpx_eq_u32_e32 32, v7
	s_cbranch_execz .LBB170_213
; %bb.212:
	v_lshl_add_u32 v7, v5, 2, 0xa0
	ds_store_2addr_b32 v7, v4, v2 offset1:16
	ds_store_2addr_b32 v7, v1, v3 offset0:32 offset1:48
.LBB170_213:
	s_or_b32 exec_lo, exec_lo, s1
	v_cmp_gt_u32_e64 s0, 32, v0
	s_waitcnt lgkmcnt(0)
	s_barrier
	buffer_gl0_inv
	s_and_saveexec_b32 s1, s0
	s_cbranch_execz .LBB170_220
; %bb.214:
	v_lshl_add_u32 v0, v5, 2, v6
	s_and_saveexec_b32 s2, vcc_lo
	s_cbranch_execnz .LBB170_243
; %bb.215:
	s_or_b32 exec_lo, exec_lo, s2
	s_and_saveexec_b32 s2, vcc_lo
	s_cbranch_execnz .LBB170_244
.LBB170_216:
	s_or_b32 exec_lo, exec_lo, s2
	s_and_saveexec_b32 s2, vcc_lo
	s_cbranch_execnz .LBB170_245
.LBB170_217:
	s_or_b32 exec_lo, exec_lo, s2
	s_and_saveexec_b32 s2, vcc_lo
	s_cbranch_execz .LBB170_219
.LBB170_218:
	ds_load_b32 v0, v0 offset:192
	s_waitcnt lgkmcnt(0)
	v_add_f32_e32 v3, v3, v0
.LBB170_219:
	s_or_b32 exec_lo, exec_lo, s2
.LBB170_220:
	s_delay_alu instid0(SALU_CYCLE_1)
	s_or_b32 exec_lo, exec_lo, s1
	s_barrier
	buffer_gl0_inv
	s_and_saveexec_b32 s1, s0
	s_cbranch_execz .LBB170_239
; %bb.221:
	s_and_b32 exec_lo, exec_lo, vcc_lo
	s_cbranch_execz .LBB170_239
; %bb.222:
	v_and_b32_e32 v0, 0x7f800000, v4
	s_delay_alu instid0(VALU_DEP_1) | instskip(SKIP_1) | instid1(SALU_CYCLE_1)
	v_cmp_ne_u32_e32 vcc_lo, 0x7f800000, v0
                                        ; implicit-def: $vgpr0
	s_and_saveexec_b32 s0, vcc_lo
	s_xor_b32 s0, exec_lo, s0
; %bb.223:
	v_bfe_u32 v0, v4, 16, 1
	s_delay_alu instid0(VALU_DEP_1)
	v_add3_u32 v0, v4, v0, 0x7fff
; %bb.224:
	s_and_not1_saveexec_b32 s0, s0
; %bb.225:
	v_and_b32_e32 v0, 0xffff, v4
	v_or_b32_e32 v5, 0x10000, v4
	s_delay_alu instid0(VALU_DEP_2) | instskip(NEXT) | instid1(VALU_DEP_2)
	v_cmp_eq_u32_e32 vcc_lo, 0, v0
	v_cndmask_b32_e32 v0, v5, v4, vcc_lo
; %bb.226:
	s_or_b32 exec_lo, exec_lo, s0
	s_mul_i32 s0, s4, s14
	s_mul_i32 s2, s4, s16
	s_mul_i32 s0, s0, s15
	v_lshlrev_b32_e32 v6, 1, v12
	s_lshl_b32 s0, s0, 6
	v_and_b32_e32 v7, 0x7f800000, v2
	s_ashr_i32 s1, s0, 31
	s_delay_alu instid0(SALU_CYCLE_1) | instskip(NEXT) | instid1(SALU_CYCLE_1)
	s_lshl_b64 s[0:1], s[0:1], 1
	s_add_u32 s4, s18, s0
	s_addc_u32 s5, s19, s1
	s_ashr_i32 s3, s2, 31
	s_delay_alu instid0(SALU_CYCLE_1) | instskip(NEXT) | instid1(SALU_CYCLE_1)
	s_lshl_b64 s[0:1], s[2:3], 1
	s_add_u32 s2, s4, s0
	s_addc_u32 s3, s5, s1
	s_lshl_b32 s0, s12, 6
	s_delay_alu instid0(SALU_CYCLE_1) | instskip(NEXT) | instid1(SALU_CYCLE_1)
	s_ashr_i32 s1, s0, 31
	s_lshl_b64 s[0:1], s[0:1], 1
	s_delay_alu instid0(SALU_CYCLE_1) | instskip(SKIP_2) | instid1(VALU_DEP_1)
	s_add_u32 s0, s2, s0
	s_addc_u32 s1, s3, s1
	v_add_co_u32 v4, s2, s0, v6
	v_add_co_ci_u32_e64 v5, null, s1, 0, s2
	global_store_d16_hi_b16 v6, v0, s[0:1]
	s_mov_b32 s0, exec_lo
                                        ; implicit-def: $vgpr0
	v_cmpx_ne_u32_e32 0x7f800000, v7
	s_xor_b32 s0, exec_lo, s0
; %bb.227:
	v_bfe_u32 v0, v2, 16, 1
	s_delay_alu instid0(VALU_DEP_1)
	v_add3_u32 v0, v2, v0, 0x7fff
; %bb.228:
	s_and_not1_saveexec_b32 s0, s0
; %bb.229:
	v_and_b32_e32 v0, 0xffff, v2
	v_or_b32_e32 v6, 0x10000, v2
	s_delay_alu instid0(VALU_DEP_2) | instskip(NEXT) | instid1(VALU_DEP_2)
	v_cmp_eq_u32_e32 vcc_lo, 0, v0
	v_cndmask_b32_e32 v0, v6, v2, vcc_lo
; %bb.230:
	s_or_b32 exec_lo, exec_lo, s0
	v_and_b32_e32 v2, 0x7f800000, v1
	s_mov_b32 s0, exec_lo
	global_store_d16_hi_b16 v[4:5], v0, off offset:32
                                        ; implicit-def: $vgpr0
	v_cmpx_ne_u32_e32 0x7f800000, v2
	s_xor_b32 s0, exec_lo, s0
; %bb.231:
	v_bfe_u32 v0, v1, 16, 1
	s_delay_alu instid0(VALU_DEP_1)
	v_add3_u32 v0, v1, v0, 0x7fff
; %bb.232:
	s_and_not1_saveexec_b32 s0, s0
; %bb.233:
	v_and_b32_e32 v0, 0xffff, v1
	v_or_b32_e32 v2, 0x10000, v1
	s_delay_alu instid0(VALU_DEP_2) | instskip(NEXT) | instid1(VALU_DEP_2)
	v_cmp_eq_u32_e32 vcc_lo, 0, v0
	v_cndmask_b32_e32 v0, v2, v1, vcc_lo
; %bb.234:
	s_or_b32 exec_lo, exec_lo, s0
	v_and_b32_e32 v1, 0x7f800000, v3
	s_mov_b32 s0, exec_lo
	global_store_d16_hi_b16 v[4:5], v0, off offset:64
                                        ; implicit-def: $vgpr6
	v_cmpx_ne_u32_e32 0x7f800000, v1
	s_xor_b32 s0, exec_lo, s0
; %bb.235:
	v_bfe_u32 v0, v3, 16, 1
	s_delay_alu instid0(VALU_DEP_1)
	v_add3_u32 v6, v3, v0, 0x7fff
                                        ; implicit-def: $vgpr0_vgpr1_vgpr2_vgpr3
; %bb.236:
	s_and_not1_saveexec_b32 s0, s0
; %bb.237:
	v_and_b32_e32 v0, 0xffff, v3
	v_or_b32_e32 v1, 0x10000, v3
	s_delay_alu instid0(VALU_DEP_2) | instskip(NEXT) | instid1(VALU_DEP_2)
	v_cmp_eq_u32_e32 vcc_lo, 0, v0
	v_cndmask_b32_e32 v6, v1, v3, vcc_lo
; %bb.238:
	s_or_b32 exec_lo, exec_lo, s0
	global_store_d16_hi_b16 v[4:5], v6, off offset:96
.LBB170_239:
	s_nop 0
	s_sendmsg sendmsg(MSG_DEALLOC_VGPRS)
	s_endpgm
.LBB170_240:
	v_lshl_add_u32 v7, v5, 2, v6
	ds_load_b32 v7, v7
	s_waitcnt lgkmcnt(0)
	v_add_f32_e32 v4, v4, v7
	s_or_b32 exec_lo, exec_lo, s0
	s_and_saveexec_b32 s0, vcc_lo
	s_cbranch_execz .LBB170_207
.LBB170_241:
	v_lshl_add_u32 v7, v5, 2, v6
	ds_load_b32 v7, v7 offset:64
	s_waitcnt lgkmcnt(0)
	v_add_f32_e32 v2, v2, v7
	s_or_b32 exec_lo, exec_lo, s0
	s_and_saveexec_b32 s0, vcc_lo
	s_cbranch_execz .LBB170_208
.LBB170_242:
	v_lshl_add_u32 v7, v5, 2, v6
	ds_load_b32 v7, v7 offset:128
	s_waitcnt lgkmcnt(0)
	v_add_f32_e32 v1, v1, v7
	s_or_b32 exec_lo, exec_lo, s0
	s_and_saveexec_b32 s0, vcc_lo
	s_cbranch_execnz .LBB170_209
	s_branch .LBB170_210
.LBB170_243:
	ds_load_b32 v5, v0
	s_waitcnt lgkmcnt(0)
	v_add_f32_e32 v4, v4, v5
	s_or_b32 exec_lo, exec_lo, s2
	s_and_saveexec_b32 s2, vcc_lo
	s_cbranch_execz .LBB170_216
.LBB170_244:
	ds_load_b32 v5, v0 offset:64
	s_waitcnt lgkmcnt(0)
	v_add_f32_e32 v2, v2, v5
	s_or_b32 exec_lo, exec_lo, s2
	s_and_saveexec_b32 s2, vcc_lo
	s_cbranch_execz .LBB170_217
.LBB170_245:
	ds_load_b32 v5, v0 offset:128
	s_waitcnt lgkmcnt(0)
	v_add_f32_e32 v1, v1, v5
	s_or_b32 exec_lo, exec_lo, s2
	s_and_saveexec_b32 s2, vcc_lo
	s_cbranch_execnz .LBB170_218
	s_branch .LBB170_219
	.section	.rodata,"a",@progbits
	.p2align	6, 0x0
	.amdhsa_kernel _ZN4vllm25paged_attention_v2_kernelI14__hip_bfloat16S1_Li64ELi16ELi128ELNS_18Fp8KVCacheDataTypeE0ELb0ELi512EEEvPfS3_PT_PKS4_PKT0_SA_ifPKiSC_iPKfiiiSE_SE_iiiii
		.amdhsa_group_segment_fixed_size 160
		.amdhsa_private_segment_fixed_size 0
		.amdhsa_kernarg_size 400
		.amdhsa_user_sgpr_count 13
		.amdhsa_user_sgpr_dispatch_ptr 0
		.amdhsa_user_sgpr_queue_ptr 0
		.amdhsa_user_sgpr_kernarg_segment_ptr 1
		.amdhsa_user_sgpr_dispatch_id 0
		.amdhsa_user_sgpr_private_segment_size 0
		.amdhsa_wavefront_size32 1
		.amdhsa_uses_dynamic_stack 0
		.amdhsa_enable_private_segment 0
		.amdhsa_system_sgpr_workgroup_id_x 1
		.amdhsa_system_sgpr_workgroup_id_y 1
		.amdhsa_system_sgpr_workgroup_id_z 1
		.amdhsa_system_sgpr_workgroup_info 0
		.amdhsa_system_vgpr_workitem_id 0
		.amdhsa_next_free_vgpr 79
		.amdhsa_next_free_sgpr 38
		.amdhsa_reserve_vcc 1
		.amdhsa_float_round_mode_32 0
		.amdhsa_float_round_mode_16_64 0
		.amdhsa_float_denorm_mode_32 3
		.amdhsa_float_denorm_mode_16_64 3
		.amdhsa_dx10_clamp 1
		.amdhsa_ieee_mode 1
		.amdhsa_fp16_overflow 0
		.amdhsa_workgroup_processor_mode 1
		.amdhsa_memory_ordered 1
		.amdhsa_forward_progress 0
		.amdhsa_shared_vgpr_count 0
		.amdhsa_exception_fp_ieee_invalid_op 0
		.amdhsa_exception_fp_denorm_src 0
		.amdhsa_exception_fp_ieee_div_zero 0
		.amdhsa_exception_fp_ieee_overflow 0
		.amdhsa_exception_fp_ieee_underflow 0
		.amdhsa_exception_fp_ieee_inexact 0
		.amdhsa_exception_int_div_zero 0
	.end_amdhsa_kernel
	.section	.text._ZN4vllm25paged_attention_v2_kernelI14__hip_bfloat16S1_Li64ELi16ELi128ELNS_18Fp8KVCacheDataTypeE0ELb0ELi512EEEvPfS3_PT_PKS4_PKT0_SA_ifPKiSC_iPKfiiiSE_SE_iiiii,"axG",@progbits,_ZN4vllm25paged_attention_v2_kernelI14__hip_bfloat16S1_Li64ELi16ELi128ELNS_18Fp8KVCacheDataTypeE0ELb0ELi512EEEvPfS3_PT_PKS4_PKT0_SA_ifPKiSC_iPKfiiiSE_SE_iiiii,comdat
.Lfunc_end170:
	.size	_ZN4vllm25paged_attention_v2_kernelI14__hip_bfloat16S1_Li64ELi16ELi128ELNS_18Fp8KVCacheDataTypeE0ELb0ELi512EEEvPfS3_PT_PKS4_PKT0_SA_ifPKiSC_iPKfiiiSE_SE_iiiii, .Lfunc_end170-_ZN4vllm25paged_attention_v2_kernelI14__hip_bfloat16S1_Li64ELi16ELi128ELNS_18Fp8KVCacheDataTypeE0ELb0ELi512EEEvPfS3_PT_PKS4_PKT0_SA_ifPKiSC_iPKfiiiSE_SE_iiiii
                                        ; -- End function
	.section	.AMDGPU.csdata,"",@progbits
; Kernel info:
; codeLenInByte = 9892
; NumSgprs: 40
; NumVgprs: 79
; ScratchSize: 0
; MemoryBound: 0
; FloatMode: 240
; IeeeMode: 1
; LDSByteSize: 160 bytes/workgroup (compile time only)
; SGPRBlocks: 4
; VGPRBlocks: 9
; NumSGPRsForWavesPerEU: 40
; NumVGPRsForWavesPerEU: 79
; Occupancy: 16
; WaveLimiterHint : 1
; COMPUTE_PGM_RSRC2:SCRATCH_EN: 0
; COMPUTE_PGM_RSRC2:USER_SGPR: 13
; COMPUTE_PGM_RSRC2:TRAP_HANDLER: 0
; COMPUTE_PGM_RSRC2:TGID_X_EN: 1
; COMPUTE_PGM_RSRC2:TGID_Y_EN: 1
; COMPUTE_PGM_RSRC2:TGID_Z_EN: 1
; COMPUTE_PGM_RSRC2:TIDIG_COMP_CNT: 0
	.section	.text._ZN4vllm25paged_attention_v2_kernelI14__hip_bfloat16S1_Li80ELi16ELi128ELNS_18Fp8KVCacheDataTypeE0ELb0ELi512EEEvPfS3_PT_PKS4_PKT0_SA_ifPKiSC_iPKfiiiSE_SE_iiiii,"axG",@progbits,_ZN4vllm25paged_attention_v2_kernelI14__hip_bfloat16S1_Li80ELi16ELi128ELNS_18Fp8KVCacheDataTypeE0ELb0ELi512EEEvPfS3_PT_PKS4_PKT0_SA_ifPKiSC_iPKfiiiSE_SE_iiiii,comdat
	.protected	_ZN4vllm25paged_attention_v2_kernelI14__hip_bfloat16S1_Li80ELi16ELi128ELNS_18Fp8KVCacheDataTypeE0ELb0ELi512EEEvPfS3_PT_PKS4_PKT0_SA_ifPKiSC_iPKfiiiSE_SE_iiiii ; -- Begin function _ZN4vllm25paged_attention_v2_kernelI14__hip_bfloat16S1_Li80ELi16ELi128ELNS_18Fp8KVCacheDataTypeE0ELb0ELi512EEEvPfS3_PT_PKS4_PKT0_SA_ifPKiSC_iPKfiiiSE_SE_iiiii
	.globl	_ZN4vllm25paged_attention_v2_kernelI14__hip_bfloat16S1_Li80ELi16ELi128ELNS_18Fp8KVCacheDataTypeE0ELb0ELi512EEEvPfS3_PT_PKS4_PKT0_SA_ifPKiSC_iPKfiiiSE_SE_iiiii
	.p2align	8
	.type	_ZN4vllm25paged_attention_v2_kernelI14__hip_bfloat16S1_Li80ELi16ELi128ELNS_18Fp8KVCacheDataTypeE0ELb0ELi512EEEvPfS3_PT_PKS4_PKT0_SA_ifPKiSC_iPKfiiiSE_SE_iiiii,@function
_ZN4vllm25paged_attention_v2_kernelI14__hip_bfloat16S1_Li80ELi16ELi128ELNS_18Fp8KVCacheDataTypeE0ELb0ELi512EEEvPfS3_PT_PKS4_PKT0_SA_ifPKiSC_iPKfiiiSE_SE_iiiii: ; @_ZN4vllm25paged_attention_v2_kernelI14__hip_bfloat16S1_Li80ELi16ELi128ELNS_18Fp8KVCacheDataTypeE0ELb0ELi512EEEvPfS3_PT_PKS4_PKT0_SA_ifPKiSC_iPKfiiiSE_SE_iiiii
; %bb.0:
	s_load_b64 s[2:3], s[0:1], 0x40
	s_mov_b32 s12, s15
	s_ashr_i32 s15, s14, 31
	s_delay_alu instid0(SALU_CYCLE_1)
	s_lshl_b64 s[4:5], s[14:15], 2
	s_waitcnt lgkmcnt(0)
	s_add_u32 s2, s2, s4
	s_addc_u32 s3, s3, s5
	s_lshl_b32 s31, s12, 9
	s_load_b32 s30, s[2:3], 0x0
	s_waitcnt lgkmcnt(0)
	s_cmp_ge_i32 s31, s30
	s_cbranch_scc1 .LBB171_279
; %bb.1:
	s_clause 0x1
	s_load_b32 s15, s[0:1], 0x90
	s_load_b64 s[28:29], s[0:1], 0x30
	s_mov_b32 s20, s13
	s_waitcnt lgkmcnt(0)
	s_abs_i32 s5, s15
	s_abs_i32 s2, s28
	s_delay_alu instid0(SALU_CYCLE_1) | instskip(SKIP_1) | instid1(VALU_DEP_1)
	v_cvt_f32_u32_e32 v1, s2
	s_sub_i32 s4, 0, s2
	v_rcp_iflag_f32_e32 v1, v1
	s_waitcnt_depctr 0xfff
	v_mul_f32_e32 v1, 0x4f7ffffe, v1
	s_delay_alu instid0(VALU_DEP_1) | instskip(NEXT) | instid1(VALU_DEP_1)
	v_cvt_u32_f32_e32 v1, v1
	v_readfirstlane_b32 s3, v1
	s_delay_alu instid0(VALU_DEP_1) | instskip(NEXT) | instid1(SALU_CYCLE_1)
	s_mul_i32 s4, s4, s3
	s_mul_hi_u32 s4, s3, s4
	s_delay_alu instid0(SALU_CYCLE_1)
	s_add_i32 s3, s3, s4
	s_xor_b32 s4, s15, s28
	s_mul_hi_u32 s3, s5, s3
	s_ashr_i32 s4, s4, 31
	s_mul_i32 s6, s3, s2
	s_mov_b32 s28, 0
	s_sub_i32 s5, s5, s6
	s_add_i32 s6, s3, 1
	s_sub_i32 s7, s5, s2
	s_cmp_ge_u32 s5, s2
	s_cselect_b32 s3, s6, s3
	s_cselect_b32 s5, s7, s5
	s_add_i32 s6, s3, 1
	s_cmp_ge_u32 s5, s2
	s_cselect_b32 s2, s6, s3
	s_abs_i32 s10, s13
	s_xor_b32 s2, s2, s4
	s_delay_alu instid0(SALU_CYCLE_1) | instskip(SKIP_2) | instid1(SALU_CYCLE_1)
	s_sub_i32 s11, s2, s4
	s_load_b64 s[2:3], s[0:1], 0x50
	s_abs_i32 s8, s11
	v_cvt_f32_u32_e32 v1, s8
	s_sub_i32 s5, 0, s8
	s_delay_alu instid0(VALU_DEP_1) | instskip(SKIP_2) | instid1(VALU_DEP_1)
	v_rcp_iflag_f32_e32 v1, v1
	s_waitcnt_depctr 0xfff
	v_mul_f32_e32 v1, 0x4f7ffffe, v1
	v_cvt_u32_f32_e32 v1, v1
	s_delay_alu instid0(VALU_DEP_1) | instskip(NEXT) | instid1(VALU_DEP_1)
	v_readfirstlane_b32 s4, v1
	s_mul_i32 s5, s5, s4
	s_delay_alu instid0(SALU_CYCLE_1) | instskip(NEXT) | instid1(SALU_CYCLE_1)
	s_mul_hi_u32 s5, s4, s5
	s_add_i32 s4, s4, s5
	s_waitcnt lgkmcnt(0)
	s_cmp_eq_u64 s[2:3], 0
	s_mul_hi_u32 s9, s10, s4
	s_cbranch_scc1 .LBB171_3
; %bb.2:
	s_ashr_i32 s21, s20, 31
	s_delay_alu instid0(SALU_CYCLE_1) | instskip(NEXT) | instid1(SALU_CYCLE_1)
	s_lshl_b64 s[4:5], s[20:21], 2
	s_add_u32 s2, s2, s4
	s_addc_u32 s3, s3, s5
	s_load_b32 s28, s[2:3], 0x0
.LBB171_3:
	s_load_b128 s[4:7], s[0:1], 0x58
	v_lshrrev_b32_e32 v12, 1, v0
	v_and_b32_e32 v13, 1, v0
	v_lshlrev_b32_e32 v3, 3, v0
	s_ashr_i32 s2, s20, 31
	s_ashr_i32 s3, s11, 31
	s_mul_i32 s16, s20, 0x50
	s_waitcnt lgkmcnt(0)
	s_mov_b32 s7, exec_lo
	v_cmpx_gt_u32_e32 20, v0
	s_cbranch_execz .LBB171_5
; %bb.4:
	s_load_b64 s[18:19], s[0:1], 0x18
	s_mul_i32 s22, s14, s4
	v_lshlrev_b32_e32 v4, 3, v12
	s_ashr_i32 s23, s22, 31
	s_delay_alu instid0(SALU_CYCLE_1) | instskip(NEXT) | instid1(VALU_DEP_1)
	s_lshl_b64 s[22:23], s[22:23], 1
	v_mad_u32_u24 v4, 0x50, v13, v4
	s_waitcnt lgkmcnt(0)
	s_add_u32 s4, s18, s22
	s_addc_u32 s11, s19, s23
	s_ashr_i32 s17, s16, 31
	s_delay_alu instid0(SALU_CYCLE_1) | instskip(NEXT) | instid1(SALU_CYCLE_1)
	s_lshl_b64 s[18:19], s[16:17], 1
	s_add_u32 s18, s4, s18
	s_addc_u32 s19, s11, s19
	global_load_b64 v[1:2], v3, s[18:19]
	s_waitcnt vmcnt(0)
	ds_store_b64 v4, v[1:2]
.LBB171_5:
	s_or_b32 exec_lo, exec_lo, s7
	s_add_i32 s4, s30, 15
	s_lshl_b32 s13, s12, 5
	s_ashr_i32 s7, s4, 31
	s_xor_b32 s2, s2, s3
	s_lshr_b32 s7, s7, 28
	s_add_i32 s3, s13, 32
	s_add_i32 s4, s4, s7
	s_clause 0x1
	s_load_b64 s[22:23], s[0:1], 0x38
	s_load_b32 s7, s[0:1], 0x48
	s_ashr_i32 s21, s4, 4
	s_mul_i32 s4, s9, s8
	s_min_i32 s17, s3, s21
	s_sub_i32 s3, s10, s4
	s_add_i32 s4, s9, 1
	s_sub_i32 s10, s3, s8
	s_cmp_ge_u32 s3, s8
	v_lshrrev_b32_e32 v14, 5, v0
	s_cselect_b32 s4, s4, s9
	s_cselect_b32 s3, s10, s3
	s_add_i32 s9, s4, 1
	s_cmp_ge_u32 s3, s8
	v_or_b32_e32 v9, s13, v14
	s_cselect_b32 s3, s9, s4
	v_mbcnt_lo_u32_b32 v4, -1, 0
	s_xor_b32 s3, s3, s2
	s_mov_b32 s4, exec_lo
	s_sub_i32 s3, s3, s2
	v_cmp_gt_i32_e64 s2, s17, v9
	s_waitcnt lgkmcnt(0)
	s_mul_i32 s24, s14, s7
	s_delay_alu instid0(SALU_CYCLE_1)
	s_ashr_i32 s25, s24, 31
	s_barrier
	buffer_gl0_inv
                                        ; implicit-def: $sgpr7
                                        ; implicit-def: $vgpr5
	v_cmpx_le_i32_e64 s17, v9
	s_xor_b32 s4, exec_lo, s4
; %bb.6:
	v_mbcnt_lo_u32_b32 v4, -1, 0
	v_mov_b32_e32 v5, 32
	s_mov_b32 s7, 0xff7fffff
; %bb.7:
	s_or_saveexec_b32 s33, s4
	s_clause 0x3
	s_load_b128 s[8:11], s[0:1], 0x0
	s_load_b64 s[18:19], s[0:1], 0x10
	s_load_b64 s[26:27], s[0:1], 0x28
	s_load_b32 s4, s[0:1], 0x98
	v_mov_b32_e32 v50, s7
	v_ashrrev_i32_e32 v10, 31, v9
	s_mul_i32 s6, s3, s6
	s_xor_b32 exec_lo, exec_lo, s33
	s_cbranch_execz .LBB171_13
; %bb.8:
	v_mul_u32_u24_e32 v1, 0x50, v13
	s_load_b64 s[0:1], s[0:1], 0x20
	v_bfe_u32 v2, v0, 1, 4
	s_ashr_i32 s7, s6, 31
	v_and_b32_e32 v5, 8, v3
	ds_load_b128 v[15:18], v1
	ds_load_b128 v[25:28], v1 offset:16
	ds_load_b128 v[33:36], v1 offset:32
	ds_load_b128 v[41:44], v1 offset:48
	ds_load_b128 v[50:53], v1 offset:64
	v_xor_b32_e32 v1, 1, v4
	v_lshlrev_b32_e32 v6, 4, v2
	s_lshl_b64 s[34:35], s[6:7], 1
	v_mov_b32_e32 v57, v9
	s_waitcnt lgkmcnt(0)
	s_add_u32 s0, s0, s34
	s_addc_u32 s1, s1, s35
	v_add_co_u32 v19, s0, s0, v6
	s_delay_alu instid0(VALU_DEP_1)
	v_add_co_ci_u32_e64 v20, null, s1, 0, s0
	v_lshlrev_b32_e32 v45, 16, v50
	v_and_b32_e32 v46, 0xffff0000, v50
	v_lshlrev_b32_e32 v50, 2, v2
	s_lshl_b64 s[34:35], s[24:25], 2
	s_sub_i32 s7, 1, s30
	s_add_u32 s1, s22, s34
	s_addc_u32 s3, s23, s35
	v_lshl_or_b32 v50, v14, 6, v50
	v_lshlrev_b32_e32 v6, 16, v15
	v_and_b32_e32 v7, 0xffff0000, v15
	v_lshlrev_b32_e32 v8, 16, v16
	v_and_b32_e32 v11, 0xffff0000, v16
	v_add_nc_u32_e32 v56, 0xc0, v50
	v_mov_b32_e32 v50, 0xff7fffff
	v_add_co_u32 v19, vcc_lo, v19, v5
	v_add_co_ci_u32_e32 v20, vcc_lo, 0, v20, vcc_lo
	v_cmp_gt_i32_e32 vcc_lo, 32, v1
	v_lshlrev_b32_e32 v15, 16, v17
	v_and_b32_e32 v16, 0xffff0000, v17
	v_lshlrev_b32_e32 v17, 16, v18
	v_dual_cndmask_b32 v1, v4, v1 :: v_dual_and_b32 v18, 0xffff0000, v18
	v_lshlrev_b32_e32 v21, 16, v25
	v_and_b32_e32 v22, 0xffff0000, v25
	v_lshlrev_b32_e32 v23, 16, v26
	v_and_b32_e32 v24, 0xffff0000, v26
	v_lshlrev_b32_e32 v54, 2, v1
	v_lshlrev_b32_e32 v1, 4, v14
	v_lshlrev_b32_e32 v25, 16, v27
	v_and_b32_e32 v26, 0xffff0000, v27
	v_lshlrev_b32_e32 v27, 16, v28
	v_and_b32_e32 v28, 0xffff0000, v28
	v_add3_u32 v55, s31, v1, v2
	v_lshlrev_b64 v[1:2], 2, v[9:10]
	v_lshlrev_b32_e32 v29, 16, v33
	v_and_b32_e32 v30, 0xffff0000, v33
	v_lshlrev_b32_e32 v31, 16, v34
	v_and_b32_e32 v32, 0xffff0000, v34
	v_lshlrev_b32_e32 v33, 16, v35
	v_add_co_u32 v1, s1, s1, v1
	v_and_b32_e32 v34, 0xffff0000, v35
	v_lshlrev_b32_e32 v35, 16, v36
	v_and_b32_e32 v36, 0xffff0000, v36
	v_lshlrev_b32_e32 v37, 16, v41
	;; [unrolled: 2-line block ×8, first 2 shown]
	v_and_b32_e32 v53, 0xffff0000, v53
	v_mov_b32_e32 v5, 32
	v_cmp_eq_u32_e32 vcc_lo, 0, v13
	v_cmp_neq_f32_e64 s0, s28, 0
	v_add_co_ci_u32_e64 v2, s1, s3, v2, s1
	s_mov_b32 s35, s5
	s_mov_b32 s34, 0
	s_branch .LBB171_10
.LBB171_9:                              ;   in Loop: Header=BB171_10 Depth=1
	s_or_b32 exec_lo, exec_lo, s3
	v_add_nc_u32_e32 v57, 4, v57
	v_add_co_u32 v1, s3, v1, 16
	v_add_nc_u32_e32 v55, 64, v55
	v_add_nc_u32_e32 v56, 0x100, v56
	s_delay_alu instid0(VALU_DEP_4) | instskip(SKIP_1) | instid1(VALU_DEP_2)
	v_cmp_le_i32_e64 s1, s17, v57
	v_add_co_ci_u32_e64 v2, s3, 0, v2, s3
	s_or_b32 s34, s1, s34
	s_delay_alu instid0(SALU_CYCLE_1)
	s_and_not1_b32 exec_lo, exec_lo, s34
	s_cbranch_execz .LBB171_12
.LBB171_10:                             ; =>This Inner Loop Header: Depth=1
	global_load_b32 v60, v[1:2], off
	s_waitcnt vmcnt(0) lgkmcnt(0)
	v_mad_i64_i32 v[58:59], null, v60, s35, 0
	s_delay_alu instid0(VALU_DEP_1) | instskip(NEXT) | instid1(VALU_DEP_1)
	v_lshlrev_b64 v[58:59], 1, v[58:59]
	v_add_co_u32 v58, s1, v19, v58
	s_delay_alu instid0(VALU_DEP_1)
	v_add_co_ci_u32_e64 v59, s1, v20, v59, s1
	s_clause 0x9
	global_load_b64 v[60:61], v[58:59], off
	global_load_b64 v[62:63], v[58:59], off offset:256
	global_load_b64 v[64:65], v[58:59], off offset:512
	;; [unrolled: 1-line block ×9, first 2 shown]
	s_waitcnt vmcnt(8)
	v_lshlrev_b32_e32 v81, 16, v63
	v_lshlrev_b32_e32 v78, 16, v60
	v_and_b32_e32 v63, 0xffff0000, v63
	s_delay_alu instid0(VALU_DEP_3) | instskip(SKIP_2) | instid1(VALU_DEP_4)
	v_dual_mul_f32 v81, v17, v81 :: v_dual_and_b32 v60, 0xffff0000, v60
	v_lshlrev_b32_e32 v80, 16, v62
	v_lshlrev_b32_e32 v79, 16, v61
	v_dual_mul_f32 v63, v18, v63 :: v_dual_and_b32 v62, 0xffff0000, v62
	s_delay_alu instid0(VALU_DEP_3) | instskip(NEXT) | instid1(VALU_DEP_3)
	v_dual_mul_f32 v80, v15, v80 :: v_dual_and_b32 v61, 0xffff0000, v61
	v_fmac_f32_e32 v81, v8, v79
	s_delay_alu instid0(VALU_DEP_2) | instskip(SKIP_1) | instid1(VALU_DEP_3)
	v_dual_mul_f32 v62, v16, v62 :: v_dual_fmac_f32 v63, v11, v61
	s_waitcnt vmcnt(7)
	v_dual_fmac_f32 v80, v6, v78 :: v_dual_lshlrev_b32 v83, 16, v65
	v_lshlrev_b32_e32 v82, 16, v64
	s_delay_alu instid0(VALU_DEP_3) | instskip(NEXT) | instid1(VALU_DEP_3)
	v_dual_fmac_f32 v62, v7, v60 :: v_dual_and_b32 v65, 0xffff0000, v65
	v_dual_fmac_f32 v81, v23, v83 :: v_dual_and_b32 v64, 0xffff0000, v64
	s_waitcnt vmcnt(6)
	s_delay_alu instid0(VALU_DEP_3) | instskip(NEXT) | instid1(VALU_DEP_3)
	v_dual_fmac_f32 v80, v21, v82 :: v_dual_lshlrev_b32 v85, 16, v67
	v_dual_fmac_f32 v63, v24, v65 :: v_dual_lshlrev_b32 v84, 16, v66
	s_delay_alu instid0(VALU_DEP_3) | instskip(NEXT) | instid1(VALU_DEP_2)
	v_dual_fmac_f32 v62, v22, v64 :: v_dual_and_b32 v67, 0xffff0000, v67
	v_dual_fmac_f32 v81, v27, v85 :: v_dual_fmac_f32 v80, v25, v84
	s_waitcnt vmcnt(5)
	v_lshlrev_b32_e32 v87, 16, v69
	v_lshlrev_b32_e32 v86, 16, v68
	v_dual_fmac_f32 v63, v28, v67 :: v_dual_and_b32 v66, 0xffff0000, v66
	s_delay_alu instid0(VALU_DEP_2) | instskip(SKIP_4) | instid1(VALU_DEP_3)
	v_dual_fmac_f32 v81, v31, v87 :: v_dual_fmac_f32 v80, v29, v86
	s_waitcnt vmcnt(4)
	v_lshlrev_b32_e32 v89, 16, v71
	v_lshlrev_b32_e32 v88, 16, v70
	v_dual_fmac_f32 v62, v26, v66 :: v_dual_and_b32 v69, 0xffff0000, v69
	v_dual_fmac_f32 v81, v35, v89 :: v_dual_and_b32 v68, 0xffff0000, v68
	s_waitcnt vmcnt(3)
	s_delay_alu instid0(VALU_DEP_3) | instskip(NEXT) | instid1(VALU_DEP_3)
	v_dual_fmac_f32 v80, v33, v88 :: v_dual_lshlrev_b32 v91, 16, v73
	v_dual_fmac_f32 v63, v32, v69 :: v_dual_lshlrev_b32 v90, 16, v72
	s_delay_alu instid0(VALU_DEP_3) | instskip(NEXT) | instid1(VALU_DEP_3)
	v_dual_fmac_f32 v62, v30, v68 :: v_dual_and_b32 v71, 0xffff0000, v71
	v_dual_fmac_f32 v81, v39, v91 :: v_dual_and_b32 v70, 0xffff0000, v70
	s_waitcnt vmcnt(2)
	s_delay_alu instid0(VALU_DEP_3) | instskip(NEXT) | instid1(VALU_DEP_3)
	v_dual_fmac_f32 v80, v37, v90 :: v_dual_lshlrev_b32 v93, 16, v75
	v_dual_fmac_f32 v63, v36, v71 :: v_dual_lshlrev_b32 v92, 16, v74
	s_delay_alu instid0(VALU_DEP_3) | instskip(NEXT) | instid1(VALU_DEP_3)
	v_dual_fmac_f32 v62, v34, v70 :: v_dual_and_b32 v73, 0xffff0000, v73
	v_dual_fmac_f32 v81, v43, v93 :: v_dual_and_b32 v72, 0xffff0000, v72
	s_waitcnt vmcnt(1)
	s_delay_alu instid0(VALU_DEP_3) | instskip(NEXT) | instid1(VALU_DEP_3)
	v_dual_fmac_f32 v80, v41, v92 :: v_dual_lshlrev_b32 v65, 16, v77
	v_dual_fmac_f32 v63, v40, v73 :: v_dual_and_b32 v60, 0xffff0000, v75
	s_delay_alu instid0(VALU_DEP_2) | instskip(NEXT) | instid1(VALU_DEP_2)
	v_dual_fmac_f32 v62, v38, v72 :: v_dual_fmac_f32 v81, v47, v65
	v_dual_fmac_f32 v63, v44, v60 :: v_dual_and_b32 v74, 0xffff0000, v74
	s_delay_alu instid0(VALU_DEP_1) | instskip(SKIP_1) | instid1(VALU_DEP_1)
	v_dual_fmac_f32 v62, v42, v74 :: v_dual_and_b32 v61, 0xffff0000, v76
	s_waitcnt vmcnt(0)
	v_dual_fmac_f32 v62, v46, v61 :: v_dual_lshlrev_b32 v67, 16, v58
	v_lshlrev_b32_e32 v61, 16, v59
	s_delay_alu instid0(VALU_DEP_1) | instskip(NEXT) | instid1(VALU_DEP_1)
	v_dual_fmac_f32 v81, v52, v61 :: v_dual_and_b32 v58, 0xffff0000, v58
	v_fmac_f32_e32 v62, v51, v58
	v_and_b32_e32 v66, 0xffff0000, v77
	v_lshlrev_b32_e32 v64, 16, v76
	s_delay_alu instid0(VALU_DEP_2) | instskip(NEXT) | instid1(VALU_DEP_2)
	v_dual_fmac_f32 v63, v48, v66 :: v_dual_and_b32 v58, 0xffff0000, v59
	v_fmac_f32_e32 v80, v45, v64
	s_delay_alu instid0(VALU_DEP_1) | instskip(NEXT) | instid1(VALU_DEP_1)
	v_fmac_f32_e32 v80, v49, v67
	v_add_f32_e32 v59, v80, v62
	s_delay_alu instid0(VALU_DEP_1) | instskip(NEXT) | instid1(VALU_DEP_1)
	v_dual_fmac_f32 v63, v53, v58 :: v_dual_add_f32 v58, v59, v81
	v_add_f32_e32 v58, v63, v58
	ds_bpermute_b32 v59, v54, v58
	s_and_saveexec_b32 s3, vcc_lo
	s_cbranch_execz .LBB171_9
; %bb.11:                               ;   in Loop: Header=BB171_10 Depth=1
	s_waitcnt lgkmcnt(0)
	v_add_f32_e32 v58, v58, v59
	v_add_nc_u32_e32 v60, s7, v55
	v_cmp_gt_i32_e64 s1, s30, v55
	s_delay_alu instid0(VALU_DEP_2) | instskip(NEXT) | instid1(VALU_DEP_1)
	v_cvt_f32_i32_e32 v60, v60
	v_mul_f32_e32 v60, s28, v60
	s_delay_alu instid0(VALU_DEP_1) | instskip(SKIP_1) | instid1(VALU_DEP_2)
	v_cndmask_b32_e64 v59, 0, v60, s0
	v_max_f32_e32 v60, v50, v50
	v_fmac_f32_e32 v59, s29, v58
	s_delay_alu instid0(VALU_DEP_1) | instskip(SKIP_1) | instid1(VALU_DEP_2)
	v_max_f32_e32 v58, v60, v59
	v_cndmask_b32_e64 v59, 0, v59, s1
	v_cndmask_b32_e64 v50, v50, v58, s1
	ds_store_b32 v56, v59
	s_branch .LBB171_9
.LBB171_12:
	s_or_b32 exec_lo, exec_lo, s34
.LBB171_13:
	s_delay_alu instid0(SALU_CYCLE_1) | instskip(SKIP_4) | instid1(VALU_DEP_4)
	s_or_b32 exec_lo, exec_lo, s33
	v_xor_b32_e32 v1, 16, v4
	v_xor_b32_e32 v2, 8, v4
	;; [unrolled: 1-line block ×3, first 2 shown]
	v_dual_max_f32 v8, v50, v50 :: v_dual_and_b32 v15, 31, v0
	v_cmp_lt_i32_e32 vcc_lo, v1, v5
	v_cndmask_b32_e32 v1, v4, v1, vcc_lo
	v_cmp_lt_i32_e32 vcc_lo, v2, v5
	s_delay_alu instid0(VALU_DEP_2) | instskip(SKIP_3) | instid1(VALU_DEP_1)
	v_lshlrev_b32_e32 v6, 2, v1
	ds_bpermute_b32 v1, v6, v50
	s_waitcnt lgkmcnt(0)
	v_dual_cndmask_b32 v2, v4, v2 :: v_dual_max_f32 v1, v1, v1
	v_max_f32_e32 v1, v8, v1
	v_xor_b32_e32 v8, 4, v4
	s_delay_alu instid0(VALU_DEP_1) | instskip(NEXT) | instid1(VALU_DEP_4)
	v_cmp_lt_i32_e32 vcc_lo, v8, v5
	v_dual_cndmask_b32 v8, v4, v8 :: v_dual_lshlrev_b32 v7, 2, v2
	ds_bpermute_b32 v2, v7, v1
	v_cmp_lt_i32_e32 vcc_lo, v11, v5
	v_dual_cndmask_b32 v11, v4, v11 :: v_dual_lshlrev_b32 v8, 2, v8
	v_cmp_eq_u32_e32 vcc_lo, 0, v15
	s_waitcnt lgkmcnt(0)
	v_max_f32_e32 v2, v2, v2
	s_delay_alu instid0(VALU_DEP_1) | instskip(SKIP_3) | instid1(VALU_DEP_1)
	v_max_f32_e32 v1, v1, v2
	ds_bpermute_b32 v2, v8, v1
	s_waitcnt lgkmcnt(0)
	v_max_f32_e32 v2, v2, v2
	v_dual_max_f32 v1, v1, v2 :: v_dual_lshlrev_b32 v2, 2, v11
	v_lshlrev_b32_e32 v11, 2, v14
	ds_bpermute_b32 v16, v2, v1
	s_and_saveexec_b32 s0, vcc_lo
	s_cbranch_execz .LBB171_15
; %bb.14:
	s_waitcnt lgkmcnt(0)
	v_dual_max_f32 v16, v16, v16 :: v_dual_max_f32 v1, v1, v1
	s_delay_alu instid0(VALU_DEP_1)
	v_max_f32_e32 v1, v1, v16
	ds_store_b32 v11, v1 offset:160
.LBB171_15:
	s_or_b32 exec_lo, exec_lo, s0
	v_cmp_gt_u32_e64 s0, 4, v15
	v_mov_b32_e32 v1, 0xff7fffff
	v_lshlrev_b32_e32 v17, 2, v15
	s_waitcnt lgkmcnt(0)
	s_barrier
	buffer_gl0_inv
	s_and_saveexec_b32 s1, s0
	s_cbranch_execz .LBB171_17
; %bb.16:
	ds_load_b32 v1, v17 offset:160
.LBB171_17:
	s_or_b32 exec_lo, exec_lo, s1
	s_waitcnt lgkmcnt(0)
	ds_bpermute_b32 v16, v2, v1
	v_xor_b32_e32 v18, 1, v4
	v_max_f32_e32 v1, v1, v1
	s_delay_alu instid0(VALU_DEP_2) | instskip(NEXT) | instid1(VALU_DEP_1)
	v_cmp_lt_i32_e64 s1, v18, v5
	v_cndmask_b32_e64 v5, v4, v18, s1
	s_sub_i32 s1, s17, s13
	v_lshlrev_b32_e32 v4, 2, v4
	s_lshl_b32 s1, s1, 4
	s_delay_alu instid0(SALU_CYCLE_1) | instskip(NEXT) | instid1(SALU_CYCLE_1)
	s_add_i32 s1, s1, s31
	s_min_i32 s1, s1, s30
	s_waitcnt lgkmcnt(0)
	v_max_f32_e32 v18, v16, v16
	v_lshlrev_b32_e32 v16, 2, v5
	s_sub_i32 s7, s1, s31
	s_delay_alu instid0(SALU_CYCLE_1) | instskip(NEXT) | instid1(VALU_DEP_3)
	v_cmp_gt_i32_e64 s1, s7, v0
	v_dual_max_f32 v1, v1, v18 :: v_dual_mov_b32 v18, 0
	ds_bpermute_b32 v5, v16, v1
	s_waitcnt lgkmcnt(0)
	v_max_f32_e32 v5, v5, v5
	s_delay_alu instid0(VALU_DEP_1)
	v_max_f32_e32 v1, v1, v5
	v_and_b32_e32 v5, 0xffffff80, v4
	v_lshl_add_u32 v4, v0, 2, 0xc0
	ds_bpermute_b32 v1, v5, v1
	s_and_saveexec_b32 s13, s1
	s_cbranch_execz .LBB171_21
; %bb.18:
	v_lshl_add_u32 v19, v0, 2, 0xc0
	v_mov_b32_e32 v18, 0
	v_mov_b32_e32 v20, v0
	s_mov_b32 s28, 0
	.p2align	6
.LBB171_19:                             ; =>This Inner Loop Header: Depth=1
	ds_load_b32 v21, v19
	v_add_nc_u32_e32 v20, 0x80, v20
	s_delay_alu instid0(VALU_DEP_1) | instskip(NEXT) | instid1(VALU_DEP_1)
	v_cmp_le_i32_e64 s3, s7, v20
	s_or_b32 s28, s3, s28
	s_waitcnt lgkmcnt(0)
	v_sub_f32_e32 v21, v21, v1
	s_delay_alu instid0(VALU_DEP_1) | instskip(NEXT) | instid1(VALU_DEP_1)
	v_mul_f32_e32 v21, 0x3fb8aa3b, v21
	v_exp_f32_e32 v21, v21
	ds_store_b32 v19, v21
	v_dual_add_f32 v18, v18, v21 :: v_dual_add_nc_u32 v19, 0x200, v19
	s_and_not1_b32 exec_lo, exec_lo, s28
	s_cbranch_execnz .LBB171_19
; %bb.20:
	s_or_b32 exec_lo, exec_lo, s28
.LBB171_21:
	s_delay_alu instid0(SALU_CYCLE_1)
	s_or_b32 exec_lo, exec_lo, s13
	ds_bpermute_b32 v6, v6, v18
	s_waitcnt lgkmcnt(0)
	v_add_f32_e32 v6, v18, v6
	ds_bpermute_b32 v7, v7, v6
	s_waitcnt lgkmcnt(0)
	v_add_f32_e32 v6, v6, v7
	;; [unrolled: 3-line block ×5, first 2 shown]
	s_and_saveexec_b32 s3, vcc_lo
	s_cbranch_execz .LBB171_23
; %bb.22:
	ds_store_b32 v11, v6 offset:176
.LBB171_23:
	s_or_b32 exec_lo, exec_lo, s3
	s_waitcnt lgkmcnt(0)
	s_barrier
	buffer_gl0_inv
	s_and_saveexec_b32 s3, s0
	s_cbranch_execz .LBB171_25
; %bb.24:
	ds_load_b32 v6, v17 offset:176
.LBB171_25:
	s_or_b32 exec_lo, exec_lo, s3
	s_waitcnt lgkmcnt(0)
	ds_bpermute_b32 v2, v2, v6
	s_waitcnt lgkmcnt(0)
	v_add_f32_e32 v2, v6, v2
	ds_bpermute_b32 v6, v16, v2
	s_waitcnt lgkmcnt(0)
	v_add_f32_e32 v2, v2, v6
	ds_bpermute_b32 v2, v5, v2
	s_and_saveexec_b32 s0, s1
	s_cbranch_execz .LBB171_28
; %bb.26:
	s_waitcnt lgkmcnt(0)
	v_add_f32_e32 v5, 0x358637bd, v2
	s_mov_b32 s1, 0
	s_delay_alu instid0(VALU_DEP_1) | instskip(SKIP_1) | instid1(VALU_DEP_2)
	v_div_scale_f32 v6, null, v5, v5, 1.0
	v_div_scale_f32 v11, vcc_lo, 1.0, v5, 1.0
	v_rcp_f32_e32 v7, v6
	s_waitcnt_depctr 0xfff
	v_fma_f32 v8, -v6, v7, 1.0
	s_delay_alu instid0(VALU_DEP_1) | instskip(NEXT) | instid1(VALU_DEP_1)
	v_fmac_f32_e32 v7, v8, v7
	v_mul_f32_e32 v8, v11, v7
	s_delay_alu instid0(VALU_DEP_1) | instskip(NEXT) | instid1(VALU_DEP_1)
	v_fma_f32 v17, -v6, v8, v11
	v_fmac_f32_e32 v8, v17, v7
	s_delay_alu instid0(VALU_DEP_1) | instskip(NEXT) | instid1(VALU_DEP_1)
	v_fma_f32 v6, -v6, v8, v11
	v_div_fmas_f32 v6, v6, v7, v8
	s_delay_alu instid0(VALU_DEP_1)
	v_div_fixup_f32 v5, v6, v5, 1.0
	v_mov_b32_e32 v6, v0
.LBB171_27:                             ; =>This Inner Loop Header: Depth=1
	ds_load_b32 v7, v4
	s_waitcnt lgkmcnt(0)
	v_dual_mul_f32 v7, v5, v7 :: v_dual_add_nc_u32 v6, 0x80, v6
	s_delay_alu instid0(VALU_DEP_1) | instskip(SKIP_3) | instid1(SALU_CYCLE_1)
	v_cmp_le_i32_e32 vcc_lo, s7, v6
	ds_store_b32 v4, v7
	v_add_nc_u32_e32 v4, 0x200, v4
	s_or_b32 s1, vcc_lo, s1
	s_and_not1_b32 exec_lo, exec_lo, s1
	s_cbranch_execnz .LBB171_27
.LBB171_28:
	s_or_b32 exec_lo, exec_lo, s0
	s_delay_alu instid0(SALU_CYCLE_1)
	s_mov_b32 s0, exec_lo
	s_waitcnt lgkmcnt(0)
	s_barrier
	buffer_gl0_inv
	v_cmpx_eq_u32_e32 0, v0
	s_cbranch_execz .LBB171_30
; %bb.29:
	s_mul_i32 s1, s4, s14
	s_mul_i32 s34, s4, s20
	;; [unrolled: 1-line block ×3, first 2 shown]
	v_mov_b32_e32 v4, 0
	s_ashr_i32 s29, s28, 31
	s_delay_alu instid0(SALU_CYCLE_1) | instskip(NEXT) | instid1(SALU_CYCLE_1)
	s_lshl_b64 s[28:29], s[28:29], 2
	s_add_u32 s1, s10, s28
	s_addc_u32 s3, s11, s29
	s_ashr_i32 s35, s34, 31
	s_delay_alu instid0(SALU_CYCLE_1) | instskip(NEXT) | instid1(SALU_CYCLE_1)
	s_lshl_b64 s[10:11], s[34:35], 2
	s_add_u32 s1, s1, s10
	s_addc_u32 s3, s3, s11
	;; [unrolled: 5-line block ×3, first 2 shown]
	s_add_u32 s1, s8, s28
	s_addc_u32 s3, s9, s29
	s_add_u32 s1, s1, s10
	s_addc_u32 s3, s3, s11
	;; [unrolled: 2-line block ×3, first 2 shown]
	s_clause 0x1
	global_store_b32 v4, v1, s[36:37]
	global_store_b32 v4, v2, s[8:9]
.LBB171_30:
	s_or_b32 exec_lo, exec_lo, s0
	v_dual_mov_b32 v18, 0 :: v_dual_mov_b32 v19, 0
	v_dual_mov_b32 v20, 0 :: v_dual_mov_b32 v21, 0
	v_mov_b32_e32 v17, 0
	s_mov_b32 s3, 0
	s_and_saveexec_b32 s1, s2
	s_cbranch_execz .LBB171_236
; %bb.31:
	v_dual_mov_b32 v20, 0 :: v_dual_lshlrev_b32 v1, 4, v0
	s_ashr_i32 s7, s6, 31
	v_dual_mov_b32 v17, 0 :: v_dual_and_b32 v2, 8, v3
	s_delay_alu instid0(VALU_DEP_2)
	v_and_b32_e32 v1, 0x1f0, v1
	v_lshl_add_u32 v4, v14, 4, s31
	s_lshl_b64 s[6:7], s[6:7], 1
	v_dual_mov_b32 v18, 0 :: v_dual_lshlrev_b32 v3, 5, v13
	s_add_u32 s0, s26, s6
	s_addc_u32 s6, s27, s7
	v_add_co_u32 v22, s0, s0, v1
	v_add3_u32 v24, v4, v2, 7
	v_lshlrev_b64 v[1:2], 2, v[9:10]
	v_add_co_ci_u32_e64 v23, null, s6, 0, s0
	s_lshl_b64 s[6:7], s[24:25], 2
	s_add_i32 s2, s21, -1
	v_lshl_or_b32 v3, v14, 6, v3
	s_add_u32 s0, s22, s6
	s_addc_u32 s6, s23, s7
	v_add_co_u32 v10, vcc_lo, s0, v1
	s_delay_alu instid0(VALU_DEP_2)
	v_add_nc_u32_e32 v25, 0xc0, v3
	v_add_co_ci_u32_e32 v11, vcc_lo, s6, v2, vcc_lo
	v_mov_b32_e32 v21, 0
	v_mov_b32_e32 v19, 0
	s_branch .LBB171_33
.LBB171_32:                             ;   in Loop: Header=BB171_33 Depth=1
	s_or_b32 exec_lo, exec_lo, s0
	v_and_b32_e32 v31, 0xffff0000, v31
	v_and_b32_e32 v2, 0xffff0000, v2
	;; [unrolled: 1-line block ×6, first 2 shown]
	v_dual_add_f32 v2, v2, v31 :: v_dual_and_b32 v5, 0xffff0000, v5
	v_and_b32_e32 v34, 0xffff0000, v55
	v_and_b32_e32 v7, 0xffff0000, v7
	;; [unrolled: 1-line block ×5, first 2 shown]
	s_delay_alu instid0(VALU_DEP_4) | instskip(NEXT) | instid1(VALU_DEP_4)
	v_dual_add_f32 v7, v7, v8 :: v_dual_and_b32 v36, 0xffff0000, v53
	v_add_f32_e32 v8, v26, v27
	v_dual_add_f32 v27, v28, v29 :: v_dual_and_b32 v26, 0xffff0000, v30
	v_and_b32_e32 v29, 0xffff0000, v48
	v_and_b32_e32 v37, 0xffff0000, v63
	s_delay_alu instid0(VALU_DEP_4) | instskip(SKIP_2) | instid1(VALU_DEP_3)
	v_dual_add_f32 v7, v7, v8 :: v_dual_and_b32 v38, 0xffff0000, v69
	v_and_b32_e32 v33, 0xffff0000, v33
	v_and_b32_e32 v3, 0xffff0000, v3
	v_dual_add_f32 v7, v7, v27 :: v_dual_and_b32 v4, 0xffff0000, v4
	v_and_b32_e32 v27, 0xffff0000, v49
	v_and_b32_e32 v30, 0xffff0000, v47
	v_dual_add_f32 v1, v1, v5 :: v_dual_and_b32 v8, 0xffff0000, v32
	v_add_co_u32 v10, s0, v10, 16
	s_delay_alu instid0(VALU_DEP_3) | instskip(NEXT) | instid1(VALU_DEP_3)
	v_dual_add_f32 v29, v30, v29 :: v_dual_and_b32 v28, 0xffff0000, v50
	v_add_f32_e32 v8, v26, v8
	v_and_b32_e32 v26, 0xffff0000, v52
	v_dual_add_f32 v1, v1, v2 :: v_dual_and_b32 v32, 0xffff0000, v51
	s_delay_alu instid0(VALU_DEP_4) | instskip(NEXT) | instid1(VALU_DEP_4)
	v_add_f32_e32 v27, v27, v28
	v_add_f32_e32 v7, v7, v8
	v_dual_add_f32 v2, v3, v33 :: v_dual_and_b32 v3, 0xffff0000, v6
	s_delay_alu instid0(VALU_DEP_3) | instskip(SKIP_3) | instid1(VALU_DEP_4)
	v_dual_add_f32 v26, v32, v26 :: v_dual_add_f32 v27, v29, v27
	v_and_b32_e32 v29, 0xffff0000, v60
	v_add_nc_u32_e32 v24, 64, v24
	v_add_co_ci_u32_e64 v11, s0, 0, v11, s0
	v_add_f32_e32 v26, v27, v26
	v_and_b32_e32 v32, 0xffff0000, v54
	v_and_b32_e32 v28, 0xffff0000, v58
	v_dual_add_f32 v1, v1, v2 :: v_dual_add_f32 v2, v4, v3
	v_add_nc_u32_e32 v9, 4, v9
	s_delay_alu instid0(VALU_DEP_4) | instskip(SKIP_3) | instid1(VALU_DEP_3)
	v_add_f32_e32 v27, v36, v32
	v_and_b32_e32 v36, 0xffff0000, v64
	v_dual_add_f32 v28, v35, v28 :: v_dual_and_b32 v35, 0xffff0000, v65
	v_and_b32_e32 v32, 0xffff0000, v67
	v_dual_add_f32 v3, v26, v27 :: v_dual_add_f32 v36, v37, v36
	v_and_b32_e32 v30, 0xffff0000, v56
	v_and_b32_e32 v39, 0xffff0000, v70
	v_add_f32_e32 v17, v17, v7
	s_delay_alu instid0(VALU_DEP_4)
	v_add_f32_e32 v21, v21, v3
	v_add_f32_e32 v1, v1, v2
	;; [unrolled: 1-line block ×3, first 2 shown]
	v_and_b32_e32 v34, 0xffff0000, v59
	v_cmp_le_i32_e32 vcc_lo, s17, v9
	v_add_nc_u32_e32 v25, 0x100, v25
	v_add_f32_e32 v18, v18, v1
	v_add_f32_e32 v8, v30, v28
	;; [unrolled: 1-line block ×3, first 2 shown]
	v_and_b32_e32 v34, 0xffff0000, v66
	v_and_b32_e32 v29, 0xffff0000, v61
	;; [unrolled: 1-line block ×3, first 2 shown]
	s_or_b32 s3, vcc_lo, s3
	v_add_f32_e32 v8, v8, v28
	v_and_b32_e32 v28, 0xffff0000, v68
	v_add_f32_e32 v34, v35, v34
	v_add_f32_e32 v6, v29, v30
	s_delay_alu instid0(VALU_DEP_3) | instskip(NEXT) | instid1(VALU_DEP_3)
	v_add_f32_e32 v28, v32, v28
	v_add_f32_e32 v5, v36, v34
	s_delay_alu instid0(VALU_DEP_1) | instskip(SKIP_1) | instid1(VALU_DEP_2)
	v_dual_add_f32 v4, v8, v6 :: v_dual_add_f32 v5, v5, v28
	v_add_f32_e32 v28, v38, v39
	v_add_f32_e32 v20, v20, v4
	s_delay_alu instid0(VALU_DEP_2) | instskip(NEXT) | instid1(VALU_DEP_1)
	v_add_f32_e32 v5, v5, v28
	v_add_f32_e32 v19, v19, v5
	s_and_not1_b32 exec_lo, exec_lo, s3
	s_cbranch_execz .LBB171_235
.LBB171_33:                             ; =>This Inner Loop Header: Depth=1
	global_load_b32 v31, v[10:11], off
	ds_load_2addr_b64 v[5:8], v25 offset1:1
	ds_load_2addr_b64 v[1:4], v25 offset0:2 offset1:3
	s_mov_b32 s0, exec_lo
                                        ; implicit-def: $vgpr39
	s_waitcnt lgkmcnt(1)
	v_and_b32_e32 v26, 0x7f800000, v5
	s_delay_alu instid0(VALU_DEP_1)
	v_cmpx_ne_u32_e32 0x7f800000, v26
	s_xor_b32 s0, exec_lo, s0
; %bb.34:                               ;   in Loop: Header=BB171_33 Depth=1
	v_bfe_u32 v26, v5, 16, 1
	s_delay_alu instid0(VALU_DEP_1)
	v_add3_u32 v39, v5, v26, 0x7fff
; %bb.35:                               ;   in Loop: Header=BB171_33 Depth=1
	s_and_not1_saveexec_b32 s0, s0
; %bb.36:                               ;   in Loop: Header=BB171_33 Depth=1
	v_and_b32_e32 v26, 0xffff, v5
	v_or_b32_e32 v27, 0x10000, v5
	s_delay_alu instid0(VALU_DEP_2) | instskip(NEXT) | instid1(VALU_DEP_2)
	v_cmp_eq_u32_e32 vcc_lo, 0, v26
	v_cndmask_b32_e32 v39, v27, v5, vcc_lo
; %bb.37:                               ;   in Loop: Header=BB171_33 Depth=1
	s_or_b32 exec_lo, exec_lo, s0
	v_and_b32_e32 v5, 0x7f800000, v6
	s_mov_b32 s0, exec_lo
                                        ; implicit-def: $vgpr40
	s_delay_alu instid0(VALU_DEP_1)
	v_cmpx_ne_u32_e32 0x7f800000, v5
	s_xor_b32 s0, exec_lo, s0
; %bb.38:                               ;   in Loop: Header=BB171_33 Depth=1
	v_bfe_u32 v5, v6, 16, 1
	s_delay_alu instid0(VALU_DEP_1)
	v_add3_u32 v40, v6, v5, 0x7fff
; %bb.39:                               ;   in Loop: Header=BB171_33 Depth=1
	s_and_not1_saveexec_b32 s0, s0
; %bb.40:                               ;   in Loop: Header=BB171_33 Depth=1
	v_and_b32_e32 v5, 0xffff, v6
	v_or_b32_e32 v26, 0x10000, v6
	s_delay_alu instid0(VALU_DEP_2) | instskip(NEXT) | instid1(VALU_DEP_2)
	v_cmp_eq_u32_e32 vcc_lo, 0, v5
	v_cndmask_b32_e32 v40, v26, v6, vcc_lo
; %bb.41:                               ;   in Loop: Header=BB171_33 Depth=1
	s_or_b32 exec_lo, exec_lo, s0
	v_and_b32_e32 v5, 0x7f800000, v7
	s_mov_b32 s0, exec_lo
                                        ; implicit-def: $vgpr26
	s_delay_alu instid0(VALU_DEP_1)
	v_cmpx_ne_u32_e32 0x7f800000, v5
	s_xor_b32 s0, exec_lo, s0
; %bb.42:                               ;   in Loop: Header=BB171_33 Depth=1
	v_bfe_u32 v5, v7, 16, 1
	s_delay_alu instid0(VALU_DEP_1)
	v_add3_u32 v26, v7, v5, 0x7fff
; %bb.43:                               ;   in Loop: Header=BB171_33 Depth=1
	s_and_not1_saveexec_b32 s0, s0
; %bb.44:                               ;   in Loop: Header=BB171_33 Depth=1
	v_and_b32_e32 v5, 0xffff, v7
	v_or_b32_e32 v6, 0x10000, v7
	s_delay_alu instid0(VALU_DEP_2) | instskip(NEXT) | instid1(VALU_DEP_2)
	v_cmp_eq_u32_e32 vcc_lo, 0, v5
	v_cndmask_b32_e32 v26, v6, v7, vcc_lo
; %bb.45:                               ;   in Loop: Header=BB171_33 Depth=1
	s_or_b32 exec_lo, exec_lo, s0
	v_and_b32_e32 v5, 0x7f800000, v8
	s_mov_b32 s0, exec_lo
                                        ; implicit-def: $vgpr27
	s_delay_alu instid0(VALU_DEP_1)
	v_cmpx_ne_u32_e32 0x7f800000, v5
	s_xor_b32 s0, exec_lo, s0
; %bb.46:                               ;   in Loop: Header=BB171_33 Depth=1
	v_bfe_u32 v5, v8, 16, 1
	s_delay_alu instid0(VALU_DEP_1)
	v_add3_u32 v27, v8, v5, 0x7fff
                                        ; implicit-def: $vgpr5_vgpr6_vgpr7_vgpr8
; %bb.47:                               ;   in Loop: Header=BB171_33 Depth=1
	s_and_not1_saveexec_b32 s0, s0
; %bb.48:                               ;   in Loop: Header=BB171_33 Depth=1
	v_and_b32_e32 v5, 0xffff, v8
	v_or_b32_e32 v6, 0x10000, v8
	s_delay_alu instid0(VALU_DEP_2) | instskip(NEXT) | instid1(VALU_DEP_2)
	v_cmp_eq_u32_e32 vcc_lo, 0, v5
	v_cndmask_b32_e32 v27, v6, v8, vcc_lo
; %bb.49:                               ;   in Loop: Header=BB171_33 Depth=1
	s_or_b32 exec_lo, exec_lo, s0
	s_waitcnt lgkmcnt(0)
	v_and_b32_e32 v5, 0x7f800000, v1
	s_mov_b32 s0, exec_lo
                                        ; implicit-def: $vgpr28
	s_delay_alu instid0(VALU_DEP_1)
	v_cmpx_ne_u32_e32 0x7f800000, v5
	s_xor_b32 s0, exec_lo, s0
; %bb.50:                               ;   in Loop: Header=BB171_33 Depth=1
	v_bfe_u32 v5, v1, 16, 1
	s_delay_alu instid0(VALU_DEP_1)
	v_add3_u32 v28, v1, v5, 0x7fff
; %bb.51:                               ;   in Loop: Header=BB171_33 Depth=1
	s_and_not1_saveexec_b32 s0, s0
; %bb.52:                               ;   in Loop: Header=BB171_33 Depth=1
	v_and_b32_e32 v5, 0xffff, v1
	v_or_b32_e32 v6, 0x10000, v1
	s_delay_alu instid0(VALU_DEP_2) | instskip(NEXT) | instid1(VALU_DEP_2)
	v_cmp_eq_u32_e32 vcc_lo, 0, v5
	v_cndmask_b32_e32 v28, v6, v1, vcc_lo
; %bb.53:                               ;   in Loop: Header=BB171_33 Depth=1
	s_or_b32 exec_lo, exec_lo, s0
	v_and_b32_e32 v1, 0x7f800000, v2
	s_mov_b32 s0, exec_lo
                                        ; implicit-def: $vgpr29
	s_delay_alu instid0(VALU_DEP_1)
	v_cmpx_ne_u32_e32 0x7f800000, v1
	s_xor_b32 s0, exec_lo, s0
; %bb.54:                               ;   in Loop: Header=BB171_33 Depth=1
	v_bfe_u32 v1, v2, 16, 1
	s_delay_alu instid0(VALU_DEP_1)
	v_add3_u32 v29, v2, v1, 0x7fff
; %bb.55:                               ;   in Loop: Header=BB171_33 Depth=1
	s_and_not1_saveexec_b32 s0, s0
; %bb.56:                               ;   in Loop: Header=BB171_33 Depth=1
	v_and_b32_e32 v1, 0xffff, v2
	v_or_b32_e32 v5, 0x10000, v2
	s_delay_alu instid0(VALU_DEP_2) | instskip(NEXT) | instid1(VALU_DEP_2)
	v_cmp_eq_u32_e32 vcc_lo, 0, v1
	v_cndmask_b32_e32 v29, v5, v2, vcc_lo
; %bb.57:                               ;   in Loop: Header=BB171_33 Depth=1
	s_or_b32 exec_lo, exec_lo, s0
	v_and_b32_e32 v1, 0x7f800000, v3
	s_mov_b32 s0, exec_lo
                                        ; implicit-def: $vgpr30
	s_delay_alu instid0(VALU_DEP_1)
	v_cmpx_ne_u32_e32 0x7f800000, v1
	s_xor_b32 s0, exec_lo, s0
; %bb.58:                               ;   in Loop: Header=BB171_33 Depth=1
	v_bfe_u32 v1, v3, 16, 1
	s_delay_alu instid0(VALU_DEP_1)
	v_add3_u32 v30, v3, v1, 0x7fff
; %bb.59:                               ;   in Loop: Header=BB171_33 Depth=1
	s_and_not1_saveexec_b32 s0, s0
; %bb.60:                               ;   in Loop: Header=BB171_33 Depth=1
	v_and_b32_e32 v1, 0xffff, v3
	v_or_b32_e32 v2, 0x10000, v3
	s_delay_alu instid0(VALU_DEP_2) | instskip(NEXT) | instid1(VALU_DEP_2)
	v_cmp_eq_u32_e32 vcc_lo, 0, v1
	v_cndmask_b32_e32 v30, v2, v3, vcc_lo
; %bb.61:                               ;   in Loop: Header=BB171_33 Depth=1
	s_or_b32 exec_lo, exec_lo, s0
	v_and_b32_e32 v1, 0x7f800000, v4
	s_mov_b32 s0, exec_lo
                                        ; implicit-def: $vgpr32
	s_delay_alu instid0(VALU_DEP_1)
	v_cmpx_ne_u32_e32 0x7f800000, v1
	s_xor_b32 s0, exec_lo, s0
; %bb.62:                               ;   in Loop: Header=BB171_33 Depth=1
	v_bfe_u32 v1, v4, 16, 1
	s_delay_alu instid0(VALU_DEP_1)
	v_add3_u32 v32, v4, v1, 0x7fff
                                        ; implicit-def: $vgpr1_vgpr2_vgpr3_vgpr4
; %bb.63:                               ;   in Loop: Header=BB171_33 Depth=1
	s_and_not1_saveexec_b32 s0, s0
; %bb.64:                               ;   in Loop: Header=BB171_33 Depth=1
	v_and_b32_e32 v1, 0xffff, v4
	v_or_b32_e32 v2, 0x10000, v4
	s_delay_alu instid0(VALU_DEP_2) | instskip(NEXT) | instid1(VALU_DEP_2)
	v_cmp_eq_u32_e32 vcc_lo, 0, v1
	v_cndmask_b32_e32 v32, v2, v4, vcc_lo
; %bb.65:                               ;   in Loop: Header=BB171_33 Depth=1
	s_or_b32 exec_lo, exec_lo, s0
	s_waitcnt vmcnt(0)
	v_mad_i64_i32 v[1:2], null, v31, s5, 0
	v_add_nc_u32_e32 v31, -7, v24
	v_add_nc_u32_e32 v38, -6, v24
	;; [unrolled: 1-line block ×6, first 2 shown]
	v_lshlrev_b64 v[1:2], 1, v[1:2]
	v_add_nc_u32_e32 v37, -1, v24
	s_delay_alu instid0(VALU_DEP_2) | instskip(NEXT) | instid1(VALU_DEP_3)
	v_add_co_u32 v5, vcc_lo, v22, v1
	v_add_co_ci_u32_e32 v6, vcc_lo, v23, v2, vcc_lo
	v_cmp_eq_u32_e32 vcc_lo, s2, v9
	global_load_b128 v[1:4], v[5:6], off
	s_waitcnt vmcnt(0)
	v_lshrrev_b32_e32 v8, 16, v1
	v_lshrrev_b32_e32 v43, 16, v2
	;; [unrolled: 1-line block ×4, first 2 shown]
	s_and_saveexec_b32 s6, vcc_lo
	s_cbranch_execz .LBB171_67
; %bb.66:                               ;   in Loop: Header=BB171_33 Depth=1
	v_cmp_gt_i32_e64 s0, s30, v31
	s_delay_alu instid0(VALU_DEP_1) | instskip(SKIP_1) | instid1(VALU_DEP_1)
	v_cndmask_b32_e64 v1, 0, v1, s0
	v_cmp_gt_i32_e64 s0, s30, v38
	v_cndmask_b32_e64 v8, 0, v8, s0
	v_cmp_gt_i32_e64 s0, s30, v36
	s_delay_alu instid0(VALU_DEP_1) | instskip(SKIP_1) | instid1(VALU_DEP_1)
	v_cndmask_b32_e64 v2, 0, v2, s0
	v_cmp_gt_i32_e64 s0, s30, v35
	v_cndmask_b32_e64 v43, 0, v43, s0
	;; [unrolled: 5-line block ×4, first 2 shown]
.LBB171_67:                             ;   in Loop: Header=BB171_33 Depth=1
	s_or_b32 exec_lo, exec_lo, s6
	v_and_b32_e32 v39, 0xffff0000, v39
	v_lshlrev_b32_e32 v1, 16, v1
	s_delay_alu instid0(VALU_DEP_1) | instskip(NEXT) | instid1(VALU_DEP_1)
	v_mul_f32_e32 v1, v39, v1
	v_and_b32_e32 v7, 0x7f800000, v1
	s_delay_alu instid0(VALU_DEP_1) | instskip(NEXT) | instid1(VALU_DEP_1)
	v_cmp_ne_u32_e64 s0, 0x7f800000, v7
                                        ; implicit-def: $vgpr7
	s_and_saveexec_b32 s6, s0
	s_delay_alu instid0(SALU_CYCLE_1)
	s_xor_b32 s0, exec_lo, s6
; %bb.68:                               ;   in Loop: Header=BB171_33 Depth=1
	v_bfe_u32 v7, v1, 16, 1
	s_delay_alu instid0(VALU_DEP_1)
	v_add3_u32 v7, v1, v7, 0x7fff
                                        ; implicit-def: $vgpr1
; %bb.69:                               ;   in Loop: Header=BB171_33 Depth=1
	s_and_not1_saveexec_b32 s6, s0
; %bb.70:                               ;   in Loop: Header=BB171_33 Depth=1
	v_and_b32_e32 v7, 0xffff, v1
	v_or_b32_e32 v41, 0x10000, v1
	s_delay_alu instid0(VALU_DEP_2) | instskip(NEXT) | instid1(VALU_DEP_1)
	v_cmp_eq_u32_e64 s0, 0, v7
	v_cndmask_b32_e64 v7, v41, v1, s0
; %bb.71:                               ;   in Loop: Header=BB171_33 Depth=1
	s_or_b32 exec_lo, exec_lo, s6
	v_and_b32_e32 v40, 0xffff0000, v40
	v_lshlrev_b32_e32 v1, 16, v8
	s_delay_alu instid0(VALU_DEP_1) | instskip(NEXT) | instid1(VALU_DEP_1)
	v_mul_f32_e32 v1, v40, v1
	v_and_b32_e32 v8, 0x7f800000, v1
	s_delay_alu instid0(VALU_DEP_1) | instskip(NEXT) | instid1(VALU_DEP_1)
	v_cmp_ne_u32_e64 s0, 0x7f800000, v8
                                        ; implicit-def: $vgpr8
	s_and_saveexec_b32 s6, s0
	s_delay_alu instid0(SALU_CYCLE_1)
	s_xor_b32 s0, exec_lo, s6
; %bb.72:                               ;   in Loop: Header=BB171_33 Depth=1
	v_bfe_u32 v8, v1, 16, 1
	s_delay_alu instid0(VALU_DEP_1)
	v_add3_u32 v8, v1, v8, 0x7fff
                                        ; implicit-def: $vgpr1
; %bb.73:                               ;   in Loop: Header=BB171_33 Depth=1
	s_and_not1_saveexec_b32 s6, s0
; %bb.74:                               ;   in Loop: Header=BB171_33 Depth=1
	v_and_b32_e32 v8, 0xffff, v1
	v_or_b32_e32 v41, 0x10000, v1
	s_delay_alu instid0(VALU_DEP_2) | instskip(NEXT) | instid1(VALU_DEP_1)
	v_cmp_eq_u32_e64 s0, 0, v8
	v_cndmask_b32_e64 v8, v41, v1, s0
; %bb.75:                               ;   in Loop: Header=BB171_33 Depth=1
	s_or_b32 exec_lo, exec_lo, s6
	v_and_b32_e32 v41, 0xffff0000, v26
	v_lshlrev_b32_e32 v1, 16, v2
                                        ; implicit-def: $vgpr26
	s_delay_alu instid0(VALU_DEP_1) | instskip(NEXT) | instid1(VALU_DEP_1)
	v_mul_f32_e32 v1, v41, v1
	v_and_b32_e32 v2, 0x7f800000, v1
	s_delay_alu instid0(VALU_DEP_1) | instskip(NEXT) | instid1(VALU_DEP_1)
	v_cmp_ne_u32_e64 s0, 0x7f800000, v2
	s_and_saveexec_b32 s6, s0
	s_delay_alu instid0(SALU_CYCLE_1)
	s_xor_b32 s0, exec_lo, s6
; %bb.76:                               ;   in Loop: Header=BB171_33 Depth=1
	v_bfe_u32 v2, v1, 16, 1
	s_delay_alu instid0(VALU_DEP_1)
	v_add3_u32 v26, v1, v2, 0x7fff
                                        ; implicit-def: $vgpr1
; %bb.77:                               ;   in Loop: Header=BB171_33 Depth=1
	s_and_not1_saveexec_b32 s6, s0
; %bb.78:                               ;   in Loop: Header=BB171_33 Depth=1
	v_and_b32_e32 v2, 0xffff, v1
	v_or_b32_e32 v26, 0x10000, v1
	s_delay_alu instid0(VALU_DEP_2) | instskip(NEXT) | instid1(VALU_DEP_1)
	v_cmp_eq_u32_e64 s0, 0, v2
	v_cndmask_b32_e64 v26, v26, v1, s0
; %bb.79:                               ;   in Loop: Header=BB171_33 Depth=1
	s_or_b32 exec_lo, exec_lo, s6
	v_and_b32_e32 v42, 0xffff0000, v27
	v_lshlrev_b32_e32 v1, 16, v43
                                        ; implicit-def: $vgpr27
	s_delay_alu instid0(VALU_DEP_1) | instskip(NEXT) | instid1(VALU_DEP_1)
	v_mul_f32_e32 v1, v42, v1
	v_and_b32_e32 v2, 0x7f800000, v1
	s_delay_alu instid0(VALU_DEP_1) | instskip(NEXT) | instid1(VALU_DEP_1)
	v_cmp_ne_u32_e64 s0, 0x7f800000, v2
	s_and_saveexec_b32 s6, s0
	s_delay_alu instid0(SALU_CYCLE_1)
	s_xor_b32 s0, exec_lo, s6
; %bb.80:                               ;   in Loop: Header=BB171_33 Depth=1
	v_bfe_u32 v2, v1, 16, 1
	s_delay_alu instid0(VALU_DEP_1)
	v_add3_u32 v27, v1, v2, 0x7fff
                                        ; implicit-def: $vgpr1
; %bb.81:                               ;   in Loop: Header=BB171_33 Depth=1
	s_and_not1_saveexec_b32 s6, s0
; %bb.82:                               ;   in Loop: Header=BB171_33 Depth=1
	v_and_b32_e32 v2, 0xffff, v1
	v_or_b32_e32 v27, 0x10000, v1
	s_delay_alu instid0(VALU_DEP_2) | instskip(NEXT) | instid1(VALU_DEP_1)
	v_cmp_eq_u32_e64 s0, 0, v2
	v_cndmask_b32_e64 v27, v27, v1, s0
; %bb.83:                               ;   in Loop: Header=BB171_33 Depth=1
	s_or_b32 exec_lo, exec_lo, s6
	v_and_b32_e32 v43, 0xffff0000, v28
	v_lshlrev_b32_e32 v1, 16, v3
                                        ; implicit-def: $vgpr28
	s_delay_alu instid0(VALU_DEP_1) | instskip(NEXT) | instid1(VALU_DEP_1)
	v_mul_f32_e32 v1, v43, v1
	v_and_b32_e32 v2, 0x7f800000, v1
	s_delay_alu instid0(VALU_DEP_1) | instskip(NEXT) | instid1(VALU_DEP_1)
	v_cmp_ne_u32_e64 s0, 0x7f800000, v2
	s_and_saveexec_b32 s6, s0
	s_delay_alu instid0(SALU_CYCLE_1)
	s_xor_b32 s0, exec_lo, s6
; %bb.84:                               ;   in Loop: Header=BB171_33 Depth=1
	v_bfe_u32 v2, v1, 16, 1
	s_delay_alu instid0(VALU_DEP_1)
	v_add3_u32 v28, v1, v2, 0x7fff
                                        ; implicit-def: $vgpr1
; %bb.85:                               ;   in Loop: Header=BB171_33 Depth=1
	s_and_not1_saveexec_b32 s6, s0
; %bb.86:                               ;   in Loop: Header=BB171_33 Depth=1
	v_and_b32_e32 v2, 0xffff, v1
	v_or_b32_e32 v3, 0x10000, v1
	s_delay_alu instid0(VALU_DEP_2) | instskip(NEXT) | instid1(VALU_DEP_1)
	v_cmp_eq_u32_e64 s0, 0, v2
	v_cndmask_b32_e64 v28, v3, v1, s0
; %bb.87:                               ;   in Loop: Header=BB171_33 Depth=1
	s_or_b32 exec_lo, exec_lo, s6
	v_and_b32_e32 v44, 0xffff0000, v29
	v_lshlrev_b32_e32 v1, 16, v45
                                        ; implicit-def: $vgpr29
	s_delay_alu instid0(VALU_DEP_1) | instskip(NEXT) | instid1(VALU_DEP_1)
	v_mul_f32_e32 v1, v44, v1
	v_and_b32_e32 v2, 0x7f800000, v1
	s_delay_alu instid0(VALU_DEP_1) | instskip(NEXT) | instid1(VALU_DEP_1)
	v_cmp_ne_u32_e64 s0, 0x7f800000, v2
	s_and_saveexec_b32 s6, s0
	s_delay_alu instid0(SALU_CYCLE_1)
	s_xor_b32 s0, exec_lo, s6
; %bb.88:                               ;   in Loop: Header=BB171_33 Depth=1
	v_bfe_u32 v2, v1, 16, 1
	s_delay_alu instid0(VALU_DEP_1)
	v_add3_u32 v29, v1, v2, 0x7fff
                                        ; implicit-def: $vgpr1
; %bb.89:                               ;   in Loop: Header=BB171_33 Depth=1
	s_and_not1_saveexec_b32 s6, s0
; %bb.90:                               ;   in Loop: Header=BB171_33 Depth=1
	v_and_b32_e32 v2, 0xffff, v1
	v_or_b32_e32 v3, 0x10000, v1
	s_delay_alu instid0(VALU_DEP_2) | instskip(NEXT) | instid1(VALU_DEP_1)
	v_cmp_eq_u32_e64 s0, 0, v2
	v_cndmask_b32_e64 v29, v3, v1, s0
; %bb.91:                               ;   in Loop: Header=BB171_33 Depth=1
	s_or_b32 exec_lo, exec_lo, s6
	v_and_b32_e32 v45, 0xffff0000, v30
	v_lshlrev_b32_e32 v1, 16, v4
                                        ; implicit-def: $vgpr30
	s_delay_alu instid0(VALU_DEP_1) | instskip(NEXT) | instid1(VALU_DEP_1)
	v_mul_f32_e32 v1, v45, v1
	v_and_b32_e32 v2, 0x7f800000, v1
	s_delay_alu instid0(VALU_DEP_1) | instskip(NEXT) | instid1(VALU_DEP_1)
	v_cmp_ne_u32_e64 s0, 0x7f800000, v2
	s_and_saveexec_b32 s6, s0
	s_delay_alu instid0(SALU_CYCLE_1)
	s_xor_b32 s0, exec_lo, s6
; %bb.92:                               ;   in Loop: Header=BB171_33 Depth=1
	v_bfe_u32 v2, v1, 16, 1
	s_delay_alu instid0(VALU_DEP_1)
	v_add3_u32 v30, v1, v2, 0x7fff
                                        ; implicit-def: $vgpr1
; %bb.93:                               ;   in Loop: Header=BB171_33 Depth=1
	s_and_not1_saveexec_b32 s6, s0
; %bb.94:                               ;   in Loop: Header=BB171_33 Depth=1
	v_and_b32_e32 v2, 0xffff, v1
	v_or_b32_e32 v3, 0x10000, v1
	s_delay_alu instid0(VALU_DEP_2) | instskip(NEXT) | instid1(VALU_DEP_1)
	v_cmp_eq_u32_e64 s0, 0, v2
	v_cndmask_b32_e64 v30, v3, v1, s0
; %bb.95:                               ;   in Loop: Header=BB171_33 Depth=1
	s_or_b32 exec_lo, exec_lo, s6
	v_and_b32_e32 v46, 0xffff0000, v32
	v_lshlrev_b32_e32 v1, 16, v47
                                        ; implicit-def: $vgpr32
	s_delay_alu instid0(VALU_DEP_1) | instskip(NEXT) | instid1(VALU_DEP_1)
	v_mul_f32_e32 v1, v46, v1
	v_and_b32_e32 v2, 0x7f800000, v1
	s_delay_alu instid0(VALU_DEP_1) | instskip(NEXT) | instid1(VALU_DEP_1)
	v_cmp_ne_u32_e64 s0, 0x7f800000, v2
	s_and_saveexec_b32 s6, s0
	s_delay_alu instid0(SALU_CYCLE_1)
	s_xor_b32 s0, exec_lo, s6
; %bb.96:                               ;   in Loop: Header=BB171_33 Depth=1
	v_bfe_u32 v2, v1, 16, 1
	s_delay_alu instid0(VALU_DEP_1)
	v_add3_u32 v32, v1, v2, 0x7fff
                                        ; implicit-def: $vgpr1
; %bb.97:                               ;   in Loop: Header=BB171_33 Depth=1
	s_and_not1_saveexec_b32 s6, s0
; %bb.98:                               ;   in Loop: Header=BB171_33 Depth=1
	v_and_b32_e32 v2, 0xffff, v1
	v_or_b32_e32 v3, 0x10000, v1
	s_delay_alu instid0(VALU_DEP_2) | instskip(NEXT) | instid1(VALU_DEP_1)
	v_cmp_eq_u32_e64 s0, 0, v2
	v_cndmask_b32_e64 v32, v3, v1, s0
; %bb.99:                               ;   in Loop: Header=BB171_33 Depth=1
	s_or_b32 exec_lo, exec_lo, s6
	global_load_b128 v[1:4], v[5:6], off offset:512
	s_waitcnt vmcnt(0)
	v_lshrrev_b32_e32 v48, 16, v1
	v_lshrrev_b32_e32 v50, 16, v2
	;; [unrolled: 1-line block ×4, first 2 shown]
	s_and_saveexec_b32 s6, vcc_lo
	s_cbranch_execz .LBB171_101
; %bb.100:                              ;   in Loop: Header=BB171_33 Depth=1
	v_cmp_gt_i32_e64 s0, s30, v31
	s_delay_alu instid0(VALU_DEP_1) | instskip(SKIP_1) | instid1(VALU_DEP_1)
	v_cndmask_b32_e64 v1, 0, v1, s0
	v_cmp_gt_i32_e64 s0, s30, v38
	v_cndmask_b32_e64 v48, 0, v48, s0
	v_cmp_gt_i32_e64 s0, s30, v36
	s_delay_alu instid0(VALU_DEP_1) | instskip(SKIP_1) | instid1(VALU_DEP_1)
	v_cndmask_b32_e64 v2, 0, v2, s0
	v_cmp_gt_i32_e64 s0, s30, v35
	v_cndmask_b32_e64 v50, 0, v50, s0
	;; [unrolled: 5-line block ×4, first 2 shown]
.LBB171_101:                            ;   in Loop: Header=BB171_33 Depth=1
	s_or_b32 exec_lo, exec_lo, s6
	v_lshlrev_b32_e32 v1, 16, v1
	s_delay_alu instid0(VALU_DEP_1) | instskip(NEXT) | instid1(VALU_DEP_1)
	v_mul_f32_e32 v1, v39, v1
	v_and_b32_e32 v47, 0x7f800000, v1
	s_delay_alu instid0(VALU_DEP_1) | instskip(NEXT) | instid1(VALU_DEP_1)
	v_cmp_ne_u32_e64 s0, 0x7f800000, v47
                                        ; implicit-def: $vgpr47
	s_and_saveexec_b32 s6, s0
	s_delay_alu instid0(SALU_CYCLE_1)
	s_xor_b32 s0, exec_lo, s6
; %bb.102:                              ;   in Loop: Header=BB171_33 Depth=1
	v_bfe_u32 v47, v1, 16, 1
	s_delay_alu instid0(VALU_DEP_1)
	v_add3_u32 v47, v1, v47, 0x7fff
                                        ; implicit-def: $vgpr1
; %bb.103:                              ;   in Loop: Header=BB171_33 Depth=1
	s_and_not1_saveexec_b32 s6, s0
; %bb.104:                              ;   in Loop: Header=BB171_33 Depth=1
	v_and_b32_e32 v47, 0xffff, v1
	v_or_b32_e32 v49, 0x10000, v1
	s_delay_alu instid0(VALU_DEP_2) | instskip(NEXT) | instid1(VALU_DEP_1)
	v_cmp_eq_u32_e64 s0, 0, v47
	v_cndmask_b32_e64 v47, v49, v1, s0
; %bb.105:                              ;   in Loop: Header=BB171_33 Depth=1
	s_or_b32 exec_lo, exec_lo, s6
	v_lshlrev_b32_e32 v1, 16, v48
	s_delay_alu instid0(VALU_DEP_1) | instskip(NEXT) | instid1(VALU_DEP_1)
	v_mul_f32_e32 v1, v40, v1
	v_and_b32_e32 v48, 0x7f800000, v1
	s_delay_alu instid0(VALU_DEP_1) | instskip(NEXT) | instid1(VALU_DEP_1)
	v_cmp_ne_u32_e64 s0, 0x7f800000, v48
                                        ; implicit-def: $vgpr48
	s_and_saveexec_b32 s6, s0
	s_delay_alu instid0(SALU_CYCLE_1)
	s_xor_b32 s0, exec_lo, s6
; %bb.106:                              ;   in Loop: Header=BB171_33 Depth=1
	v_bfe_u32 v48, v1, 16, 1
	s_delay_alu instid0(VALU_DEP_1)
	v_add3_u32 v48, v1, v48, 0x7fff
                                        ; implicit-def: $vgpr1
; %bb.107:                              ;   in Loop: Header=BB171_33 Depth=1
	s_and_not1_saveexec_b32 s6, s0
; %bb.108:                              ;   in Loop: Header=BB171_33 Depth=1
	v_and_b32_e32 v48, 0xffff, v1
	v_or_b32_e32 v49, 0x10000, v1
	s_delay_alu instid0(VALU_DEP_2) | instskip(NEXT) | instid1(VALU_DEP_1)
	v_cmp_eq_u32_e64 s0, 0, v48
	v_cndmask_b32_e64 v48, v49, v1, s0
; %bb.109:                              ;   in Loop: Header=BB171_33 Depth=1
	s_or_b32 exec_lo, exec_lo, s6
	v_lshlrev_b32_e32 v1, 16, v2
                                        ; implicit-def: $vgpr49
	s_delay_alu instid0(VALU_DEP_1) | instskip(NEXT) | instid1(VALU_DEP_1)
	v_mul_f32_e32 v1, v41, v1
	v_and_b32_e32 v2, 0x7f800000, v1
	s_delay_alu instid0(VALU_DEP_1) | instskip(NEXT) | instid1(VALU_DEP_1)
	v_cmp_ne_u32_e64 s0, 0x7f800000, v2
	s_and_saveexec_b32 s6, s0
	s_delay_alu instid0(SALU_CYCLE_1)
	s_xor_b32 s0, exec_lo, s6
; %bb.110:                              ;   in Loop: Header=BB171_33 Depth=1
	v_bfe_u32 v2, v1, 16, 1
	s_delay_alu instid0(VALU_DEP_1)
	v_add3_u32 v49, v1, v2, 0x7fff
                                        ; implicit-def: $vgpr1
; %bb.111:                              ;   in Loop: Header=BB171_33 Depth=1
	s_and_not1_saveexec_b32 s6, s0
; %bb.112:                              ;   in Loop: Header=BB171_33 Depth=1
	v_and_b32_e32 v2, 0xffff, v1
	v_or_b32_e32 v49, 0x10000, v1
	s_delay_alu instid0(VALU_DEP_2) | instskip(NEXT) | instid1(VALU_DEP_1)
	v_cmp_eq_u32_e64 s0, 0, v2
	v_cndmask_b32_e64 v49, v49, v1, s0
; %bb.113:                              ;   in Loop: Header=BB171_33 Depth=1
	s_or_b32 exec_lo, exec_lo, s6
	v_lshlrev_b32_e32 v1, 16, v50
                                        ; implicit-def: $vgpr50
	s_delay_alu instid0(VALU_DEP_1) | instskip(NEXT) | instid1(VALU_DEP_1)
	v_mul_f32_e32 v1, v42, v1
	v_and_b32_e32 v2, 0x7f800000, v1
	s_delay_alu instid0(VALU_DEP_1) | instskip(NEXT) | instid1(VALU_DEP_1)
	v_cmp_ne_u32_e64 s0, 0x7f800000, v2
	s_and_saveexec_b32 s6, s0
	s_delay_alu instid0(SALU_CYCLE_1)
	s_xor_b32 s0, exec_lo, s6
; %bb.114:                              ;   in Loop: Header=BB171_33 Depth=1
	v_bfe_u32 v2, v1, 16, 1
	s_delay_alu instid0(VALU_DEP_1)
	v_add3_u32 v50, v1, v2, 0x7fff
                                        ; implicit-def: $vgpr1
; %bb.115:                              ;   in Loop: Header=BB171_33 Depth=1
	s_and_not1_saveexec_b32 s6, s0
; %bb.116:                              ;   in Loop: Header=BB171_33 Depth=1
	v_and_b32_e32 v2, 0xffff, v1
	v_or_b32_e32 v50, 0x10000, v1
	s_delay_alu instid0(VALU_DEP_2) | instskip(NEXT) | instid1(VALU_DEP_1)
	v_cmp_eq_u32_e64 s0, 0, v2
	v_cndmask_b32_e64 v50, v50, v1, s0
; %bb.117:                              ;   in Loop: Header=BB171_33 Depth=1
	s_or_b32 exec_lo, exec_lo, s6
	v_lshlrev_b32_e32 v1, 16, v3
                                        ; implicit-def: $vgpr51
	s_delay_alu instid0(VALU_DEP_1) | instskip(NEXT) | instid1(VALU_DEP_1)
	v_mul_f32_e32 v1, v43, v1
	v_and_b32_e32 v2, 0x7f800000, v1
	s_delay_alu instid0(VALU_DEP_1) | instskip(NEXT) | instid1(VALU_DEP_1)
	v_cmp_ne_u32_e64 s0, 0x7f800000, v2
	s_and_saveexec_b32 s6, s0
	s_delay_alu instid0(SALU_CYCLE_1)
	s_xor_b32 s0, exec_lo, s6
; %bb.118:                              ;   in Loop: Header=BB171_33 Depth=1
	v_bfe_u32 v2, v1, 16, 1
	s_delay_alu instid0(VALU_DEP_1)
	v_add3_u32 v51, v1, v2, 0x7fff
                                        ; implicit-def: $vgpr1
; %bb.119:                              ;   in Loop: Header=BB171_33 Depth=1
	s_and_not1_saveexec_b32 s6, s0
; %bb.120:                              ;   in Loop: Header=BB171_33 Depth=1
	v_and_b32_e32 v2, 0xffff, v1
	v_or_b32_e32 v3, 0x10000, v1
	s_delay_alu instid0(VALU_DEP_2) | instskip(NEXT) | instid1(VALU_DEP_1)
	v_cmp_eq_u32_e64 s0, 0, v2
	v_cndmask_b32_e64 v51, v3, v1, s0
; %bb.121:                              ;   in Loop: Header=BB171_33 Depth=1
	s_or_b32 exec_lo, exec_lo, s6
	v_lshlrev_b32_e32 v1, 16, v52
                                        ; implicit-def: $vgpr52
	s_delay_alu instid0(VALU_DEP_1) | instskip(NEXT) | instid1(VALU_DEP_1)
	v_mul_f32_e32 v1, v44, v1
	v_and_b32_e32 v2, 0x7f800000, v1
	s_delay_alu instid0(VALU_DEP_1) | instskip(NEXT) | instid1(VALU_DEP_1)
	v_cmp_ne_u32_e64 s0, 0x7f800000, v2
	s_and_saveexec_b32 s6, s0
	s_delay_alu instid0(SALU_CYCLE_1)
	s_xor_b32 s0, exec_lo, s6
; %bb.122:                              ;   in Loop: Header=BB171_33 Depth=1
	v_bfe_u32 v2, v1, 16, 1
	s_delay_alu instid0(VALU_DEP_1)
	v_add3_u32 v52, v1, v2, 0x7fff
                                        ; implicit-def: $vgpr1
; %bb.123:                              ;   in Loop: Header=BB171_33 Depth=1
	s_and_not1_saveexec_b32 s6, s0
; %bb.124:                              ;   in Loop: Header=BB171_33 Depth=1
	v_and_b32_e32 v2, 0xffff, v1
	v_or_b32_e32 v3, 0x10000, v1
	s_delay_alu instid0(VALU_DEP_2) | instskip(NEXT) | instid1(VALU_DEP_1)
	v_cmp_eq_u32_e64 s0, 0, v2
	v_cndmask_b32_e64 v52, v3, v1, s0
; %bb.125:                              ;   in Loop: Header=BB171_33 Depth=1
	s_or_b32 exec_lo, exec_lo, s6
	v_lshlrev_b32_e32 v1, 16, v4
                                        ; implicit-def: $vgpr53
	s_delay_alu instid0(VALU_DEP_1) | instskip(NEXT) | instid1(VALU_DEP_1)
	v_mul_f32_e32 v1, v45, v1
	v_and_b32_e32 v2, 0x7f800000, v1
	s_delay_alu instid0(VALU_DEP_1) | instskip(NEXT) | instid1(VALU_DEP_1)
	v_cmp_ne_u32_e64 s0, 0x7f800000, v2
	s_and_saveexec_b32 s6, s0
	s_delay_alu instid0(SALU_CYCLE_1)
	s_xor_b32 s0, exec_lo, s6
; %bb.126:                              ;   in Loop: Header=BB171_33 Depth=1
	v_bfe_u32 v2, v1, 16, 1
	s_delay_alu instid0(VALU_DEP_1)
	v_add3_u32 v53, v1, v2, 0x7fff
                                        ; implicit-def: $vgpr1
; %bb.127:                              ;   in Loop: Header=BB171_33 Depth=1
	s_and_not1_saveexec_b32 s6, s0
; %bb.128:                              ;   in Loop: Header=BB171_33 Depth=1
	v_and_b32_e32 v2, 0xffff, v1
	v_or_b32_e32 v3, 0x10000, v1
	s_delay_alu instid0(VALU_DEP_2) | instskip(NEXT) | instid1(VALU_DEP_1)
	v_cmp_eq_u32_e64 s0, 0, v2
	v_cndmask_b32_e64 v53, v3, v1, s0
; %bb.129:                              ;   in Loop: Header=BB171_33 Depth=1
	s_or_b32 exec_lo, exec_lo, s6
	v_lshlrev_b32_e32 v1, 16, v54
                                        ; implicit-def: $vgpr54
	s_delay_alu instid0(VALU_DEP_1) | instskip(NEXT) | instid1(VALU_DEP_1)
	v_mul_f32_e32 v1, v46, v1
	v_and_b32_e32 v2, 0x7f800000, v1
	s_delay_alu instid0(VALU_DEP_1) | instskip(NEXT) | instid1(VALU_DEP_1)
	v_cmp_ne_u32_e64 s0, 0x7f800000, v2
	s_and_saveexec_b32 s6, s0
	s_delay_alu instid0(SALU_CYCLE_1)
	s_xor_b32 s0, exec_lo, s6
; %bb.130:                              ;   in Loop: Header=BB171_33 Depth=1
	v_bfe_u32 v2, v1, 16, 1
	s_delay_alu instid0(VALU_DEP_1)
	v_add3_u32 v54, v1, v2, 0x7fff
                                        ; implicit-def: $vgpr1
; %bb.131:                              ;   in Loop: Header=BB171_33 Depth=1
	s_and_not1_saveexec_b32 s6, s0
; %bb.132:                              ;   in Loop: Header=BB171_33 Depth=1
	v_and_b32_e32 v2, 0xffff, v1
	v_or_b32_e32 v3, 0x10000, v1
	s_delay_alu instid0(VALU_DEP_2) | instskip(NEXT) | instid1(VALU_DEP_1)
	v_cmp_eq_u32_e64 s0, 0, v2
	v_cndmask_b32_e64 v54, v3, v1, s0
; %bb.133:                              ;   in Loop: Header=BB171_33 Depth=1
	s_or_b32 exec_lo, exec_lo, s6
	global_load_b128 v[1:4], v[5:6], off offset:1024
	s_waitcnt vmcnt(0)
	v_lshrrev_b32_e32 v56, 16, v1
	v_lshrrev_b32_e32 v58, 16, v2
	;; [unrolled: 1-line block ×4, first 2 shown]
	s_and_saveexec_b32 s6, vcc_lo
	s_cbranch_execz .LBB171_135
; %bb.134:                              ;   in Loop: Header=BB171_33 Depth=1
	v_cmp_gt_i32_e64 s0, s30, v31
	s_delay_alu instid0(VALU_DEP_1) | instskip(SKIP_1) | instid1(VALU_DEP_1)
	v_cndmask_b32_e64 v1, 0, v1, s0
	v_cmp_gt_i32_e64 s0, s30, v38
	v_cndmask_b32_e64 v56, 0, v56, s0
	v_cmp_gt_i32_e64 s0, s30, v36
	s_delay_alu instid0(VALU_DEP_1) | instskip(SKIP_1) | instid1(VALU_DEP_1)
	v_cndmask_b32_e64 v2, 0, v2, s0
	v_cmp_gt_i32_e64 s0, s30, v35
	v_cndmask_b32_e64 v58, 0, v58, s0
	;; [unrolled: 5-line block ×4, first 2 shown]
.LBB171_135:                            ;   in Loop: Header=BB171_33 Depth=1
	s_or_b32 exec_lo, exec_lo, s6
	v_lshlrev_b32_e32 v1, 16, v1
	s_delay_alu instid0(VALU_DEP_1) | instskip(NEXT) | instid1(VALU_DEP_1)
	v_mul_f32_e32 v1, v39, v1
	v_and_b32_e32 v55, 0x7f800000, v1
	s_delay_alu instid0(VALU_DEP_1) | instskip(NEXT) | instid1(VALU_DEP_1)
	v_cmp_ne_u32_e64 s0, 0x7f800000, v55
                                        ; implicit-def: $vgpr55
	s_and_saveexec_b32 s6, s0
	s_delay_alu instid0(SALU_CYCLE_1)
	s_xor_b32 s0, exec_lo, s6
; %bb.136:                              ;   in Loop: Header=BB171_33 Depth=1
	v_bfe_u32 v55, v1, 16, 1
	s_delay_alu instid0(VALU_DEP_1)
	v_add3_u32 v55, v1, v55, 0x7fff
                                        ; implicit-def: $vgpr1
; %bb.137:                              ;   in Loop: Header=BB171_33 Depth=1
	s_and_not1_saveexec_b32 s6, s0
; %bb.138:                              ;   in Loop: Header=BB171_33 Depth=1
	v_and_b32_e32 v55, 0xffff, v1
	v_or_b32_e32 v57, 0x10000, v1
	s_delay_alu instid0(VALU_DEP_2) | instskip(NEXT) | instid1(VALU_DEP_1)
	v_cmp_eq_u32_e64 s0, 0, v55
	v_cndmask_b32_e64 v55, v57, v1, s0
; %bb.139:                              ;   in Loop: Header=BB171_33 Depth=1
	s_or_b32 exec_lo, exec_lo, s6
	v_lshlrev_b32_e32 v1, 16, v56
	s_delay_alu instid0(VALU_DEP_1) | instskip(NEXT) | instid1(VALU_DEP_1)
	v_mul_f32_e32 v1, v40, v1
	v_and_b32_e32 v56, 0x7f800000, v1
	s_delay_alu instid0(VALU_DEP_1) | instskip(NEXT) | instid1(VALU_DEP_1)
	v_cmp_ne_u32_e64 s0, 0x7f800000, v56
                                        ; implicit-def: $vgpr56
	s_and_saveexec_b32 s6, s0
	s_delay_alu instid0(SALU_CYCLE_1)
	s_xor_b32 s0, exec_lo, s6
; %bb.140:                              ;   in Loop: Header=BB171_33 Depth=1
	v_bfe_u32 v56, v1, 16, 1
	s_delay_alu instid0(VALU_DEP_1)
	v_add3_u32 v56, v1, v56, 0x7fff
                                        ; implicit-def: $vgpr1
; %bb.141:                              ;   in Loop: Header=BB171_33 Depth=1
	s_and_not1_saveexec_b32 s6, s0
; %bb.142:                              ;   in Loop: Header=BB171_33 Depth=1
	v_and_b32_e32 v56, 0xffff, v1
	v_or_b32_e32 v57, 0x10000, v1
	s_delay_alu instid0(VALU_DEP_2) | instskip(NEXT) | instid1(VALU_DEP_1)
	v_cmp_eq_u32_e64 s0, 0, v56
	v_cndmask_b32_e64 v56, v57, v1, s0
; %bb.143:                              ;   in Loop: Header=BB171_33 Depth=1
	s_or_b32 exec_lo, exec_lo, s6
	v_lshlrev_b32_e32 v1, 16, v2
                                        ; implicit-def: $vgpr57
	s_delay_alu instid0(VALU_DEP_1) | instskip(NEXT) | instid1(VALU_DEP_1)
	v_mul_f32_e32 v1, v41, v1
	v_and_b32_e32 v2, 0x7f800000, v1
	s_delay_alu instid0(VALU_DEP_1) | instskip(NEXT) | instid1(VALU_DEP_1)
	v_cmp_ne_u32_e64 s0, 0x7f800000, v2
	s_and_saveexec_b32 s6, s0
	s_delay_alu instid0(SALU_CYCLE_1)
	s_xor_b32 s0, exec_lo, s6
; %bb.144:                              ;   in Loop: Header=BB171_33 Depth=1
	v_bfe_u32 v2, v1, 16, 1
	s_delay_alu instid0(VALU_DEP_1)
	v_add3_u32 v57, v1, v2, 0x7fff
                                        ; implicit-def: $vgpr1
; %bb.145:                              ;   in Loop: Header=BB171_33 Depth=1
	s_and_not1_saveexec_b32 s6, s0
; %bb.146:                              ;   in Loop: Header=BB171_33 Depth=1
	v_and_b32_e32 v2, 0xffff, v1
	v_or_b32_e32 v57, 0x10000, v1
	s_delay_alu instid0(VALU_DEP_2) | instskip(NEXT) | instid1(VALU_DEP_1)
	v_cmp_eq_u32_e64 s0, 0, v2
	v_cndmask_b32_e64 v57, v57, v1, s0
; %bb.147:                              ;   in Loop: Header=BB171_33 Depth=1
	s_or_b32 exec_lo, exec_lo, s6
	v_lshlrev_b32_e32 v1, 16, v58
                                        ; implicit-def: $vgpr58
	s_delay_alu instid0(VALU_DEP_1) | instskip(NEXT) | instid1(VALU_DEP_1)
	v_mul_f32_e32 v1, v42, v1
	v_and_b32_e32 v2, 0x7f800000, v1
	s_delay_alu instid0(VALU_DEP_1) | instskip(NEXT) | instid1(VALU_DEP_1)
	v_cmp_ne_u32_e64 s0, 0x7f800000, v2
	s_and_saveexec_b32 s6, s0
	s_delay_alu instid0(SALU_CYCLE_1)
	s_xor_b32 s0, exec_lo, s6
; %bb.148:                              ;   in Loop: Header=BB171_33 Depth=1
	v_bfe_u32 v2, v1, 16, 1
	s_delay_alu instid0(VALU_DEP_1)
	v_add3_u32 v58, v1, v2, 0x7fff
                                        ; implicit-def: $vgpr1
; %bb.149:                              ;   in Loop: Header=BB171_33 Depth=1
	s_and_not1_saveexec_b32 s6, s0
; %bb.150:                              ;   in Loop: Header=BB171_33 Depth=1
	v_and_b32_e32 v2, 0xffff, v1
	v_or_b32_e32 v58, 0x10000, v1
	s_delay_alu instid0(VALU_DEP_2) | instskip(NEXT) | instid1(VALU_DEP_1)
	v_cmp_eq_u32_e64 s0, 0, v2
	v_cndmask_b32_e64 v58, v58, v1, s0
; %bb.151:                              ;   in Loop: Header=BB171_33 Depth=1
	s_or_b32 exec_lo, exec_lo, s6
	v_lshlrev_b32_e32 v1, 16, v3
                                        ; implicit-def: $vgpr59
	s_delay_alu instid0(VALU_DEP_1) | instskip(NEXT) | instid1(VALU_DEP_1)
	v_mul_f32_e32 v1, v43, v1
	v_and_b32_e32 v2, 0x7f800000, v1
	s_delay_alu instid0(VALU_DEP_1) | instskip(NEXT) | instid1(VALU_DEP_1)
	v_cmp_ne_u32_e64 s0, 0x7f800000, v2
	s_and_saveexec_b32 s6, s0
	s_delay_alu instid0(SALU_CYCLE_1)
	s_xor_b32 s0, exec_lo, s6
; %bb.152:                              ;   in Loop: Header=BB171_33 Depth=1
	v_bfe_u32 v2, v1, 16, 1
	s_delay_alu instid0(VALU_DEP_1)
	v_add3_u32 v59, v1, v2, 0x7fff
                                        ; implicit-def: $vgpr1
; %bb.153:                              ;   in Loop: Header=BB171_33 Depth=1
	s_and_not1_saveexec_b32 s6, s0
; %bb.154:                              ;   in Loop: Header=BB171_33 Depth=1
	v_and_b32_e32 v2, 0xffff, v1
	v_or_b32_e32 v3, 0x10000, v1
	s_delay_alu instid0(VALU_DEP_2) | instskip(NEXT) | instid1(VALU_DEP_1)
	v_cmp_eq_u32_e64 s0, 0, v2
	v_cndmask_b32_e64 v59, v3, v1, s0
; %bb.155:                              ;   in Loop: Header=BB171_33 Depth=1
	s_or_b32 exec_lo, exec_lo, s6
	v_lshlrev_b32_e32 v1, 16, v60
                                        ; implicit-def: $vgpr60
	s_delay_alu instid0(VALU_DEP_1) | instskip(NEXT) | instid1(VALU_DEP_1)
	v_mul_f32_e32 v1, v44, v1
	v_and_b32_e32 v2, 0x7f800000, v1
	s_delay_alu instid0(VALU_DEP_1) | instskip(NEXT) | instid1(VALU_DEP_1)
	v_cmp_ne_u32_e64 s0, 0x7f800000, v2
	s_and_saveexec_b32 s6, s0
	s_delay_alu instid0(SALU_CYCLE_1)
	s_xor_b32 s0, exec_lo, s6
; %bb.156:                              ;   in Loop: Header=BB171_33 Depth=1
	v_bfe_u32 v2, v1, 16, 1
	s_delay_alu instid0(VALU_DEP_1)
	v_add3_u32 v60, v1, v2, 0x7fff
                                        ; implicit-def: $vgpr1
; %bb.157:                              ;   in Loop: Header=BB171_33 Depth=1
	s_and_not1_saveexec_b32 s6, s0
; %bb.158:                              ;   in Loop: Header=BB171_33 Depth=1
	v_and_b32_e32 v2, 0xffff, v1
	v_or_b32_e32 v3, 0x10000, v1
	s_delay_alu instid0(VALU_DEP_2) | instskip(NEXT) | instid1(VALU_DEP_1)
	v_cmp_eq_u32_e64 s0, 0, v2
	v_cndmask_b32_e64 v60, v3, v1, s0
; %bb.159:                              ;   in Loop: Header=BB171_33 Depth=1
	s_or_b32 exec_lo, exec_lo, s6
	v_lshlrev_b32_e32 v1, 16, v4
                                        ; implicit-def: $vgpr61
	s_delay_alu instid0(VALU_DEP_1) | instskip(NEXT) | instid1(VALU_DEP_1)
	v_mul_f32_e32 v1, v45, v1
	v_and_b32_e32 v2, 0x7f800000, v1
	s_delay_alu instid0(VALU_DEP_1) | instskip(NEXT) | instid1(VALU_DEP_1)
	v_cmp_ne_u32_e64 s0, 0x7f800000, v2
	s_and_saveexec_b32 s6, s0
	s_delay_alu instid0(SALU_CYCLE_1)
	s_xor_b32 s0, exec_lo, s6
; %bb.160:                              ;   in Loop: Header=BB171_33 Depth=1
	v_bfe_u32 v2, v1, 16, 1
	s_delay_alu instid0(VALU_DEP_1)
	v_add3_u32 v61, v1, v2, 0x7fff
                                        ; implicit-def: $vgpr1
; %bb.161:                              ;   in Loop: Header=BB171_33 Depth=1
	s_and_not1_saveexec_b32 s6, s0
; %bb.162:                              ;   in Loop: Header=BB171_33 Depth=1
	v_and_b32_e32 v2, 0xffff, v1
	v_or_b32_e32 v3, 0x10000, v1
	s_delay_alu instid0(VALU_DEP_2) | instskip(NEXT) | instid1(VALU_DEP_1)
	v_cmp_eq_u32_e64 s0, 0, v2
	v_cndmask_b32_e64 v61, v3, v1, s0
; %bb.163:                              ;   in Loop: Header=BB171_33 Depth=1
	s_or_b32 exec_lo, exec_lo, s6
	v_lshlrev_b32_e32 v1, 16, v62
                                        ; implicit-def: $vgpr62
	s_delay_alu instid0(VALU_DEP_1) | instskip(NEXT) | instid1(VALU_DEP_1)
	v_mul_f32_e32 v1, v46, v1
	v_and_b32_e32 v2, 0x7f800000, v1
	s_delay_alu instid0(VALU_DEP_1) | instskip(NEXT) | instid1(VALU_DEP_1)
	v_cmp_ne_u32_e64 s0, 0x7f800000, v2
	s_and_saveexec_b32 s6, s0
	s_delay_alu instid0(SALU_CYCLE_1)
	s_xor_b32 s0, exec_lo, s6
; %bb.164:                              ;   in Loop: Header=BB171_33 Depth=1
	v_bfe_u32 v2, v1, 16, 1
	s_delay_alu instid0(VALU_DEP_1)
	v_add3_u32 v62, v1, v2, 0x7fff
                                        ; implicit-def: $vgpr1
; %bb.165:                              ;   in Loop: Header=BB171_33 Depth=1
	s_and_not1_saveexec_b32 s6, s0
; %bb.166:                              ;   in Loop: Header=BB171_33 Depth=1
	v_and_b32_e32 v2, 0xffff, v1
	v_or_b32_e32 v3, 0x10000, v1
	s_delay_alu instid0(VALU_DEP_2) | instskip(NEXT) | instid1(VALU_DEP_1)
	v_cmp_eq_u32_e64 s0, 0, v2
	v_cndmask_b32_e64 v62, v3, v1, s0
; %bb.167:                              ;   in Loop: Header=BB171_33 Depth=1
	s_or_b32 exec_lo, exec_lo, s6
	global_load_b128 v[1:4], v[5:6], off offset:1536
	s_waitcnt vmcnt(0)
	v_lshrrev_b32_e32 v64, 16, v1
	v_lshrrev_b32_e32 v66, 16, v2
	v_lshrrev_b32_e32 v68, 16, v3
	v_lshrrev_b32_e32 v70, 16, v4
	s_and_saveexec_b32 s6, vcc_lo
	s_cbranch_execz .LBB171_169
; %bb.168:                              ;   in Loop: Header=BB171_33 Depth=1
	v_cmp_gt_i32_e64 s0, s30, v31
	s_delay_alu instid0(VALU_DEP_1) | instskip(SKIP_1) | instid1(VALU_DEP_1)
	v_cndmask_b32_e64 v1, 0, v1, s0
	v_cmp_gt_i32_e64 s0, s30, v38
	v_cndmask_b32_e64 v64, 0, v64, s0
	v_cmp_gt_i32_e64 s0, s30, v36
	s_delay_alu instid0(VALU_DEP_1) | instskip(SKIP_1) | instid1(VALU_DEP_1)
	v_cndmask_b32_e64 v2, 0, v2, s0
	v_cmp_gt_i32_e64 s0, s30, v35
	v_cndmask_b32_e64 v66, 0, v66, s0
	;; [unrolled: 5-line block ×4, first 2 shown]
.LBB171_169:                            ;   in Loop: Header=BB171_33 Depth=1
	s_or_b32 exec_lo, exec_lo, s6
	v_lshlrev_b32_e32 v1, 16, v1
	s_delay_alu instid0(VALU_DEP_1) | instskip(NEXT) | instid1(VALU_DEP_1)
	v_mul_f32_e32 v1, v39, v1
	v_and_b32_e32 v63, 0x7f800000, v1
	s_delay_alu instid0(VALU_DEP_1) | instskip(NEXT) | instid1(VALU_DEP_1)
	v_cmp_ne_u32_e64 s0, 0x7f800000, v63
                                        ; implicit-def: $vgpr63
	s_and_saveexec_b32 s6, s0
	s_delay_alu instid0(SALU_CYCLE_1)
	s_xor_b32 s0, exec_lo, s6
; %bb.170:                              ;   in Loop: Header=BB171_33 Depth=1
	v_bfe_u32 v63, v1, 16, 1
	s_delay_alu instid0(VALU_DEP_1)
	v_add3_u32 v63, v1, v63, 0x7fff
                                        ; implicit-def: $vgpr1
; %bb.171:                              ;   in Loop: Header=BB171_33 Depth=1
	s_and_not1_saveexec_b32 s6, s0
; %bb.172:                              ;   in Loop: Header=BB171_33 Depth=1
	v_and_b32_e32 v63, 0xffff, v1
	v_or_b32_e32 v65, 0x10000, v1
	s_delay_alu instid0(VALU_DEP_2) | instskip(NEXT) | instid1(VALU_DEP_1)
	v_cmp_eq_u32_e64 s0, 0, v63
	v_cndmask_b32_e64 v63, v65, v1, s0
; %bb.173:                              ;   in Loop: Header=BB171_33 Depth=1
	s_or_b32 exec_lo, exec_lo, s6
	v_lshlrev_b32_e32 v1, 16, v64
	s_delay_alu instid0(VALU_DEP_1) | instskip(NEXT) | instid1(VALU_DEP_1)
	v_mul_f32_e32 v1, v40, v1
	v_and_b32_e32 v64, 0x7f800000, v1
	s_delay_alu instid0(VALU_DEP_1) | instskip(NEXT) | instid1(VALU_DEP_1)
	v_cmp_ne_u32_e64 s0, 0x7f800000, v64
                                        ; implicit-def: $vgpr64
	s_and_saveexec_b32 s6, s0
	s_delay_alu instid0(SALU_CYCLE_1)
	s_xor_b32 s0, exec_lo, s6
; %bb.174:                              ;   in Loop: Header=BB171_33 Depth=1
	v_bfe_u32 v64, v1, 16, 1
	s_delay_alu instid0(VALU_DEP_1)
	v_add3_u32 v64, v1, v64, 0x7fff
                                        ; implicit-def: $vgpr1
; %bb.175:                              ;   in Loop: Header=BB171_33 Depth=1
	s_and_not1_saveexec_b32 s6, s0
; %bb.176:                              ;   in Loop: Header=BB171_33 Depth=1
	v_and_b32_e32 v64, 0xffff, v1
	v_or_b32_e32 v65, 0x10000, v1
	s_delay_alu instid0(VALU_DEP_2) | instskip(NEXT) | instid1(VALU_DEP_1)
	v_cmp_eq_u32_e64 s0, 0, v64
	v_cndmask_b32_e64 v64, v65, v1, s0
; %bb.177:                              ;   in Loop: Header=BB171_33 Depth=1
	s_or_b32 exec_lo, exec_lo, s6
	v_lshlrev_b32_e32 v1, 16, v2
                                        ; implicit-def: $vgpr65
	s_delay_alu instid0(VALU_DEP_1) | instskip(NEXT) | instid1(VALU_DEP_1)
	v_mul_f32_e32 v1, v41, v1
	v_and_b32_e32 v2, 0x7f800000, v1
	s_delay_alu instid0(VALU_DEP_1) | instskip(NEXT) | instid1(VALU_DEP_1)
	v_cmp_ne_u32_e64 s0, 0x7f800000, v2
	s_and_saveexec_b32 s6, s0
	s_delay_alu instid0(SALU_CYCLE_1)
	s_xor_b32 s0, exec_lo, s6
; %bb.178:                              ;   in Loop: Header=BB171_33 Depth=1
	v_bfe_u32 v2, v1, 16, 1
	s_delay_alu instid0(VALU_DEP_1)
	v_add3_u32 v65, v1, v2, 0x7fff
                                        ; implicit-def: $vgpr1
; %bb.179:                              ;   in Loop: Header=BB171_33 Depth=1
	s_and_not1_saveexec_b32 s6, s0
; %bb.180:                              ;   in Loop: Header=BB171_33 Depth=1
	v_and_b32_e32 v2, 0xffff, v1
	v_or_b32_e32 v65, 0x10000, v1
	s_delay_alu instid0(VALU_DEP_2) | instskip(NEXT) | instid1(VALU_DEP_1)
	v_cmp_eq_u32_e64 s0, 0, v2
	v_cndmask_b32_e64 v65, v65, v1, s0
; %bb.181:                              ;   in Loop: Header=BB171_33 Depth=1
	s_or_b32 exec_lo, exec_lo, s6
	v_lshlrev_b32_e32 v1, 16, v66
                                        ; implicit-def: $vgpr66
	s_delay_alu instid0(VALU_DEP_1) | instskip(NEXT) | instid1(VALU_DEP_1)
	v_mul_f32_e32 v1, v42, v1
	v_and_b32_e32 v2, 0x7f800000, v1
	s_delay_alu instid0(VALU_DEP_1) | instskip(NEXT) | instid1(VALU_DEP_1)
	v_cmp_ne_u32_e64 s0, 0x7f800000, v2
	s_and_saveexec_b32 s6, s0
	s_delay_alu instid0(SALU_CYCLE_1)
	s_xor_b32 s0, exec_lo, s6
; %bb.182:                              ;   in Loop: Header=BB171_33 Depth=1
	v_bfe_u32 v2, v1, 16, 1
	s_delay_alu instid0(VALU_DEP_1)
	v_add3_u32 v66, v1, v2, 0x7fff
                                        ; implicit-def: $vgpr1
; %bb.183:                              ;   in Loop: Header=BB171_33 Depth=1
	s_and_not1_saveexec_b32 s6, s0
; %bb.184:                              ;   in Loop: Header=BB171_33 Depth=1
	v_and_b32_e32 v2, 0xffff, v1
	v_or_b32_e32 v66, 0x10000, v1
	s_delay_alu instid0(VALU_DEP_2) | instskip(NEXT) | instid1(VALU_DEP_1)
	v_cmp_eq_u32_e64 s0, 0, v2
	v_cndmask_b32_e64 v66, v66, v1, s0
; %bb.185:                              ;   in Loop: Header=BB171_33 Depth=1
	s_or_b32 exec_lo, exec_lo, s6
	v_lshlrev_b32_e32 v1, 16, v3
                                        ; implicit-def: $vgpr67
	s_delay_alu instid0(VALU_DEP_1) | instskip(NEXT) | instid1(VALU_DEP_1)
	v_mul_f32_e32 v1, v43, v1
	v_and_b32_e32 v2, 0x7f800000, v1
	s_delay_alu instid0(VALU_DEP_1) | instskip(NEXT) | instid1(VALU_DEP_1)
	v_cmp_ne_u32_e64 s0, 0x7f800000, v2
	s_and_saveexec_b32 s6, s0
	s_delay_alu instid0(SALU_CYCLE_1)
	s_xor_b32 s0, exec_lo, s6
; %bb.186:                              ;   in Loop: Header=BB171_33 Depth=1
	v_bfe_u32 v2, v1, 16, 1
	s_delay_alu instid0(VALU_DEP_1)
	v_add3_u32 v67, v1, v2, 0x7fff
                                        ; implicit-def: $vgpr1
; %bb.187:                              ;   in Loop: Header=BB171_33 Depth=1
	s_and_not1_saveexec_b32 s6, s0
; %bb.188:                              ;   in Loop: Header=BB171_33 Depth=1
	v_and_b32_e32 v2, 0xffff, v1
	v_or_b32_e32 v3, 0x10000, v1
	s_delay_alu instid0(VALU_DEP_2) | instskip(NEXT) | instid1(VALU_DEP_1)
	v_cmp_eq_u32_e64 s0, 0, v2
	v_cndmask_b32_e64 v67, v3, v1, s0
; %bb.189:                              ;   in Loop: Header=BB171_33 Depth=1
	s_or_b32 exec_lo, exec_lo, s6
	v_lshlrev_b32_e32 v1, 16, v68
                                        ; implicit-def: $vgpr68
	s_delay_alu instid0(VALU_DEP_1) | instskip(NEXT) | instid1(VALU_DEP_1)
	v_mul_f32_e32 v1, v44, v1
	v_and_b32_e32 v2, 0x7f800000, v1
	s_delay_alu instid0(VALU_DEP_1) | instskip(NEXT) | instid1(VALU_DEP_1)
	v_cmp_ne_u32_e64 s0, 0x7f800000, v2
	s_and_saveexec_b32 s6, s0
	s_delay_alu instid0(SALU_CYCLE_1)
	s_xor_b32 s0, exec_lo, s6
; %bb.190:                              ;   in Loop: Header=BB171_33 Depth=1
	v_bfe_u32 v2, v1, 16, 1
	s_delay_alu instid0(VALU_DEP_1)
	v_add3_u32 v68, v1, v2, 0x7fff
                                        ; implicit-def: $vgpr1
; %bb.191:                              ;   in Loop: Header=BB171_33 Depth=1
	s_and_not1_saveexec_b32 s6, s0
; %bb.192:                              ;   in Loop: Header=BB171_33 Depth=1
	v_and_b32_e32 v2, 0xffff, v1
	v_or_b32_e32 v3, 0x10000, v1
	s_delay_alu instid0(VALU_DEP_2) | instskip(NEXT) | instid1(VALU_DEP_1)
	v_cmp_eq_u32_e64 s0, 0, v2
	v_cndmask_b32_e64 v68, v3, v1, s0
; %bb.193:                              ;   in Loop: Header=BB171_33 Depth=1
	s_or_b32 exec_lo, exec_lo, s6
	v_lshlrev_b32_e32 v1, 16, v4
                                        ; implicit-def: $vgpr69
	s_delay_alu instid0(VALU_DEP_1) | instskip(NEXT) | instid1(VALU_DEP_1)
	v_mul_f32_e32 v1, v45, v1
	v_and_b32_e32 v2, 0x7f800000, v1
	s_delay_alu instid0(VALU_DEP_1) | instskip(NEXT) | instid1(VALU_DEP_1)
	v_cmp_ne_u32_e64 s0, 0x7f800000, v2
	s_and_saveexec_b32 s6, s0
	s_delay_alu instid0(SALU_CYCLE_1)
	s_xor_b32 s0, exec_lo, s6
; %bb.194:                              ;   in Loop: Header=BB171_33 Depth=1
	v_bfe_u32 v2, v1, 16, 1
	s_delay_alu instid0(VALU_DEP_1)
	v_add3_u32 v69, v1, v2, 0x7fff
                                        ; implicit-def: $vgpr1
; %bb.195:                              ;   in Loop: Header=BB171_33 Depth=1
	s_and_not1_saveexec_b32 s6, s0
; %bb.196:                              ;   in Loop: Header=BB171_33 Depth=1
	v_and_b32_e32 v2, 0xffff, v1
	v_or_b32_e32 v3, 0x10000, v1
	s_delay_alu instid0(VALU_DEP_2) | instskip(NEXT) | instid1(VALU_DEP_1)
	v_cmp_eq_u32_e64 s0, 0, v2
	v_cndmask_b32_e64 v69, v3, v1, s0
; %bb.197:                              ;   in Loop: Header=BB171_33 Depth=1
	s_or_b32 exec_lo, exec_lo, s6
	v_lshlrev_b32_e32 v1, 16, v70
                                        ; implicit-def: $vgpr70
	s_delay_alu instid0(VALU_DEP_1) | instskip(NEXT) | instid1(VALU_DEP_1)
	v_mul_f32_e32 v1, v46, v1
	v_and_b32_e32 v2, 0x7f800000, v1
	s_delay_alu instid0(VALU_DEP_1) | instskip(NEXT) | instid1(VALU_DEP_1)
	v_cmp_ne_u32_e64 s0, 0x7f800000, v2
	s_and_saveexec_b32 s6, s0
	s_delay_alu instid0(SALU_CYCLE_1)
	s_xor_b32 s0, exec_lo, s6
; %bb.198:                              ;   in Loop: Header=BB171_33 Depth=1
	v_bfe_u32 v2, v1, 16, 1
	s_delay_alu instid0(VALU_DEP_1)
	v_add3_u32 v70, v1, v2, 0x7fff
                                        ; implicit-def: $vgpr1
; %bb.199:                              ;   in Loop: Header=BB171_33 Depth=1
	s_and_not1_saveexec_b32 s6, s0
; %bb.200:                              ;   in Loop: Header=BB171_33 Depth=1
	v_and_b32_e32 v2, 0xffff, v1
	v_or_b32_e32 v3, 0x10000, v1
	s_delay_alu instid0(VALU_DEP_2) | instskip(NEXT) | instid1(VALU_DEP_1)
	v_cmp_eq_u32_e64 s0, 0, v2
	v_cndmask_b32_e64 v70, v3, v1, s0
; %bb.201:                              ;   in Loop: Header=BB171_33 Depth=1
	s_or_b32 exec_lo, exec_lo, s6
	global_load_b128 v[1:4], v[5:6], off offset:2048
	s_waitcnt vmcnt(0)
	v_lshrrev_b32_e32 v5, 16, v1
	v_lshrrev_b32_e32 v72, 16, v2
	;; [unrolled: 1-line block ×4, first 2 shown]
	s_and_saveexec_b32 s0, vcc_lo
	s_cbranch_execz .LBB171_203
; %bb.202:                              ;   in Loop: Header=BB171_33 Depth=1
	v_cmp_gt_i32_e32 vcc_lo, s30, v31
	v_cndmask_b32_e32 v1, 0, v1, vcc_lo
	v_cmp_gt_i32_e32 vcc_lo, s30, v38
	v_cndmask_b32_e32 v5, 0, v5, vcc_lo
	;; [unrolled: 2-line block ×8, first 2 shown]
.LBB171_203:                            ;   in Loop: Header=BB171_33 Depth=1
	s_or_b32 exec_lo, exec_lo, s0
	v_lshlrev_b32_e32 v1, 16, v1
	s_delay_alu instid0(VALU_DEP_1) | instskip(NEXT) | instid1(VALU_DEP_1)
	v_mul_f32_e32 v31, v39, v1
	v_and_b32_e32 v1, 0x7f800000, v31
	s_delay_alu instid0(VALU_DEP_1) | instskip(SKIP_1) | instid1(SALU_CYCLE_1)
	v_cmp_ne_u32_e32 vcc_lo, 0x7f800000, v1
                                        ; implicit-def: $vgpr1
	s_and_saveexec_b32 s0, vcc_lo
	s_xor_b32 s0, exec_lo, s0
; %bb.204:                              ;   in Loop: Header=BB171_33 Depth=1
	v_bfe_u32 v1, v31, 16, 1
	s_delay_alu instid0(VALU_DEP_1)
	v_add3_u32 v1, v31, v1, 0x7fff
                                        ; implicit-def: $vgpr31
; %bb.205:                              ;   in Loop: Header=BB171_33 Depth=1
	s_and_not1_saveexec_b32 s0, s0
; %bb.206:                              ;   in Loop: Header=BB171_33 Depth=1
	v_and_b32_e32 v1, 0xffff, v31
	v_or_b32_e32 v33, 0x10000, v31
	s_delay_alu instid0(VALU_DEP_2) | instskip(NEXT) | instid1(VALU_DEP_2)
	v_cmp_eq_u32_e32 vcc_lo, 0, v1
	v_cndmask_b32_e32 v1, v33, v31, vcc_lo
; %bb.207:                              ;   in Loop: Header=BB171_33 Depth=1
	s_or_b32 exec_lo, exec_lo, s0
	v_lshlrev_b32_e32 v5, 16, v5
	s_delay_alu instid0(VALU_DEP_1) | instskip(NEXT) | instid1(VALU_DEP_1)
	v_mul_f32_e32 v31, v40, v5
	v_and_b32_e32 v5, 0x7f800000, v31
	s_delay_alu instid0(VALU_DEP_1) | instskip(SKIP_1) | instid1(SALU_CYCLE_1)
	v_cmp_ne_u32_e32 vcc_lo, 0x7f800000, v5
                                        ; implicit-def: $vgpr5
	s_and_saveexec_b32 s0, vcc_lo
	s_xor_b32 s0, exec_lo, s0
; %bb.208:                              ;   in Loop: Header=BB171_33 Depth=1
	v_bfe_u32 v5, v31, 16, 1
	s_delay_alu instid0(VALU_DEP_1)
	v_add3_u32 v5, v31, v5, 0x7fff
                                        ; implicit-def: $vgpr31
; %bb.209:                              ;   in Loop: Header=BB171_33 Depth=1
	s_and_not1_saveexec_b32 s0, s0
; %bb.210:                              ;   in Loop: Header=BB171_33 Depth=1
	v_and_b32_e32 v5, 0xffff, v31
	v_or_b32_e32 v33, 0x10000, v31
	s_delay_alu instid0(VALU_DEP_2) | instskip(NEXT) | instid1(VALU_DEP_2)
	v_cmp_eq_u32_e32 vcc_lo, 0, v5
	v_cndmask_b32_e32 v5, v33, v31, vcc_lo
; %bb.211:                              ;   in Loop: Header=BB171_33 Depth=1
	s_or_b32 exec_lo, exec_lo, s0
	v_lshlrev_b32_e32 v2, 16, v2
	s_delay_alu instid0(VALU_DEP_1) | instskip(NEXT) | instid1(VALU_DEP_1)
	v_mul_f32_e32 v31, v41, v2
	v_and_b32_e32 v2, 0x7f800000, v31
	s_delay_alu instid0(VALU_DEP_1) | instskip(SKIP_1) | instid1(SALU_CYCLE_1)
	v_cmp_ne_u32_e32 vcc_lo, 0x7f800000, v2
                                        ; implicit-def: $vgpr2
	s_and_saveexec_b32 s0, vcc_lo
	s_xor_b32 s0, exec_lo, s0
; %bb.212:                              ;   in Loop: Header=BB171_33 Depth=1
	v_bfe_u32 v2, v31, 16, 1
	s_delay_alu instid0(VALU_DEP_1)
	v_add3_u32 v2, v31, v2, 0x7fff
                                        ; implicit-def: $vgpr31
; %bb.213:                              ;   in Loop: Header=BB171_33 Depth=1
	s_and_not1_saveexec_b32 s0, s0
; %bb.214:                              ;   in Loop: Header=BB171_33 Depth=1
	v_and_b32_e32 v2, 0xffff, v31
	v_or_b32_e32 v33, 0x10000, v31
	s_delay_alu instid0(VALU_DEP_2) | instskip(NEXT) | instid1(VALU_DEP_2)
	v_cmp_eq_u32_e32 vcc_lo, 0, v2
	v_cndmask_b32_e32 v2, v33, v31, vcc_lo
; %bb.215:                              ;   in Loop: Header=BB171_33 Depth=1
	s_or_b32 exec_lo, exec_lo, s0
	v_lshlrev_b32_e32 v31, 16, v72
	s_delay_alu instid0(VALU_DEP_1) | instskip(NEXT) | instid1(VALU_DEP_1)
	v_mul_f32_e32 v33, v42, v31
	v_and_b32_e32 v31, 0x7f800000, v33
	s_delay_alu instid0(VALU_DEP_1) | instskip(SKIP_1) | instid1(SALU_CYCLE_1)
	v_cmp_ne_u32_e32 vcc_lo, 0x7f800000, v31
                                        ; implicit-def: $vgpr31
	s_and_saveexec_b32 s0, vcc_lo
	s_xor_b32 s0, exec_lo, s0
; %bb.216:                              ;   in Loop: Header=BB171_33 Depth=1
	v_bfe_u32 v31, v33, 16, 1
	s_delay_alu instid0(VALU_DEP_1)
	v_add3_u32 v31, v33, v31, 0x7fff
                                        ; implicit-def: $vgpr33
; %bb.217:                              ;   in Loop: Header=BB171_33 Depth=1
	s_and_not1_saveexec_b32 s0, s0
; %bb.218:                              ;   in Loop: Header=BB171_33 Depth=1
	v_and_b32_e32 v31, 0xffff, v33
	v_or_b32_e32 v34, 0x10000, v33
	s_delay_alu instid0(VALU_DEP_2) | instskip(NEXT) | instid1(VALU_DEP_2)
	v_cmp_eq_u32_e32 vcc_lo, 0, v31
	v_cndmask_b32_e32 v31, v34, v33, vcc_lo
; %bb.219:                              ;   in Loop: Header=BB171_33 Depth=1
	s_or_b32 exec_lo, exec_lo, s0
	v_lshlrev_b32_e32 v3, 16, v3
	s_delay_alu instid0(VALU_DEP_1) | instskip(NEXT) | instid1(VALU_DEP_1)
	v_mul_f32_e32 v33, v43, v3
	v_and_b32_e32 v3, 0x7f800000, v33
	s_delay_alu instid0(VALU_DEP_1) | instskip(SKIP_1) | instid1(SALU_CYCLE_1)
	v_cmp_ne_u32_e32 vcc_lo, 0x7f800000, v3
                                        ; implicit-def: $vgpr3
	s_and_saveexec_b32 s0, vcc_lo
	s_xor_b32 s0, exec_lo, s0
; %bb.220:                              ;   in Loop: Header=BB171_33 Depth=1
	v_bfe_u32 v3, v33, 16, 1
	s_delay_alu instid0(VALU_DEP_1)
	v_add3_u32 v3, v33, v3, 0x7fff
                                        ; implicit-def: $vgpr33
; %bb.221:                              ;   in Loop: Header=BB171_33 Depth=1
	s_and_not1_saveexec_b32 s0, s0
; %bb.222:                              ;   in Loop: Header=BB171_33 Depth=1
	v_and_b32_e32 v3, 0xffff, v33
	v_or_b32_e32 v34, 0x10000, v33
	s_delay_alu instid0(VALU_DEP_2) | instskip(NEXT) | instid1(VALU_DEP_2)
	v_cmp_eq_u32_e32 vcc_lo, 0, v3
	v_cndmask_b32_e32 v3, v34, v33, vcc_lo
; %bb.223:                              ;   in Loop: Header=BB171_33 Depth=1
	s_or_b32 exec_lo, exec_lo, s0
	v_lshlrev_b32_e32 v33, 16, v71
	s_delay_alu instid0(VALU_DEP_1) | instskip(NEXT) | instid1(VALU_DEP_1)
	v_mul_f32_e32 v34, v44, v33
	v_and_b32_e32 v33, 0x7f800000, v34
	s_delay_alu instid0(VALU_DEP_1) | instskip(SKIP_1) | instid1(SALU_CYCLE_1)
	v_cmp_ne_u32_e32 vcc_lo, 0x7f800000, v33
                                        ; implicit-def: $vgpr33
	s_and_saveexec_b32 s0, vcc_lo
	s_xor_b32 s0, exec_lo, s0
; %bb.224:                              ;   in Loop: Header=BB171_33 Depth=1
	v_bfe_u32 v33, v34, 16, 1
	s_delay_alu instid0(VALU_DEP_1)
	v_add3_u32 v33, v34, v33, 0x7fff
                                        ; implicit-def: $vgpr34
; %bb.225:                              ;   in Loop: Header=BB171_33 Depth=1
	s_and_not1_saveexec_b32 s0, s0
; %bb.226:                              ;   in Loop: Header=BB171_33 Depth=1
	v_and_b32_e32 v33, 0xffff, v34
	v_or_b32_e32 v35, 0x10000, v34
	s_delay_alu instid0(VALU_DEP_2) | instskip(NEXT) | instid1(VALU_DEP_2)
	v_cmp_eq_u32_e32 vcc_lo, 0, v33
	v_cndmask_b32_e32 v33, v35, v34, vcc_lo
; %bb.227:                              ;   in Loop: Header=BB171_33 Depth=1
	s_or_b32 exec_lo, exec_lo, s0
	v_lshlrev_b32_e32 v4, 16, v4
	s_delay_alu instid0(VALU_DEP_1) | instskip(NEXT) | instid1(VALU_DEP_1)
	v_mul_f32_e32 v34, v45, v4
	v_and_b32_e32 v4, 0x7f800000, v34
	s_delay_alu instid0(VALU_DEP_1) | instskip(SKIP_1) | instid1(SALU_CYCLE_1)
	v_cmp_ne_u32_e32 vcc_lo, 0x7f800000, v4
                                        ; implicit-def: $vgpr4
	s_and_saveexec_b32 s0, vcc_lo
	s_xor_b32 s0, exec_lo, s0
; %bb.228:                              ;   in Loop: Header=BB171_33 Depth=1
	v_bfe_u32 v4, v34, 16, 1
	s_delay_alu instid0(VALU_DEP_1)
	v_add3_u32 v4, v34, v4, 0x7fff
                                        ; implicit-def: $vgpr34
; %bb.229:                              ;   in Loop: Header=BB171_33 Depth=1
	s_and_not1_saveexec_b32 s0, s0
; %bb.230:                              ;   in Loop: Header=BB171_33 Depth=1
	v_and_b32_e32 v4, 0xffff, v34
	v_or_b32_e32 v35, 0x10000, v34
	s_delay_alu instid0(VALU_DEP_2) | instskip(NEXT) | instid1(VALU_DEP_2)
	v_cmp_eq_u32_e32 vcc_lo, 0, v4
	v_cndmask_b32_e32 v4, v35, v34, vcc_lo
; %bb.231:                              ;   in Loop: Header=BB171_33 Depth=1
	s_or_b32 exec_lo, exec_lo, s0
	v_lshlrev_b32_e32 v6, 16, v6
	s_delay_alu instid0(VALU_DEP_1) | instskip(NEXT) | instid1(VALU_DEP_1)
	v_mul_f32_e32 v34, v46, v6
	v_and_b32_e32 v6, 0x7f800000, v34
	s_delay_alu instid0(VALU_DEP_1) | instskip(SKIP_1) | instid1(SALU_CYCLE_1)
	v_cmp_ne_u32_e32 vcc_lo, 0x7f800000, v6
                                        ; implicit-def: $vgpr6
	s_and_saveexec_b32 s0, vcc_lo
	s_xor_b32 s0, exec_lo, s0
; %bb.232:                              ;   in Loop: Header=BB171_33 Depth=1
	v_bfe_u32 v6, v34, 16, 1
	s_delay_alu instid0(VALU_DEP_1)
	v_add3_u32 v6, v34, v6, 0x7fff
                                        ; implicit-def: $vgpr34
; %bb.233:                              ;   in Loop: Header=BB171_33 Depth=1
	s_and_not1_saveexec_b32 s0, s0
	s_cbranch_execz .LBB171_32
; %bb.234:                              ;   in Loop: Header=BB171_33 Depth=1
	v_and_b32_e32 v6, 0xffff, v34
	v_or_b32_e32 v35, 0x10000, v34
	s_delay_alu instid0(VALU_DEP_2) | instskip(NEXT) | instid1(VALU_DEP_2)
	v_cmp_eq_u32_e32 vcc_lo, 0, v6
	v_cndmask_b32_e32 v6, v35, v34, vcc_lo
	s_branch .LBB171_32
.LBB171_235:
	s_or_b32 exec_lo, exec_lo, s3
.LBB171_236:
	s_delay_alu instid0(SALU_CYCLE_1)
	s_or_b32 exec_lo, exec_lo, s1
	ds_bpermute_b32 v1, v16, v17
	ds_bpermute_b32 v2, v16, v21
	;; [unrolled: 1-line block ×5, first 2 shown]
	v_and_b32_e32 v3, 0x3c1, v0
	v_lshrrev_b32_e32 v6, 1, v15
	s_movk_i32 s0, 0x140
	s_waitcnt lgkmcnt(0)
	s_waitcnt_vscnt null, 0x0
	v_mad_u32_u24 v7, v14, s0, 0xc0
	v_cmp_eq_u32_e32 vcc_lo, 64, v3
	s_barrier
	buffer_gl0_inv
	v_add_f32_e32 v5, v17, v1
	v_dual_add_f32 v3, v21, v2 :: v_dual_add_f32 v2, v20, v4
	v_dual_add_f32 v1, v19, v8 :: v_dual_lshlrev_b32 v8, 2, v6
	v_add_f32_e32 v4, v18, v9
	s_and_saveexec_b32 s0, vcc_lo
	s_cbranch_execz .LBB171_238
; %bb.237:
	s_delay_alu instid0(VALU_DEP_2)
	v_add3_u32 v9, v7, v8, 0xfffffd80
	ds_store_2addr_b32 v9, v5, v3 offset1:16
	ds_store_2addr_b32 v9, v2, v1 offset0:32 offset1:48
	ds_store_b32 v9, v4 offset:256
.LBB171_238:
	s_or_b32 exec_lo, exec_lo, s0
	v_cmp_eq_u32_e32 vcc_lo, 0, v13
	s_mov_b32 s1, exec_lo
	s_waitcnt lgkmcnt(0)
	s_barrier
	buffer_gl0_inv
	v_cmpx_gt_u32_e32 64, v0
	s_cbranch_execz .LBB171_246
; %bb.239:
	s_and_saveexec_b32 s0, vcc_lo
	s_cbranch_execnz .LBB171_280
; %bb.240:
	s_or_b32 exec_lo, exec_lo, s0
	s_and_saveexec_b32 s0, vcc_lo
	s_cbranch_execnz .LBB171_281
.LBB171_241:
	s_or_b32 exec_lo, exec_lo, s0
	s_and_saveexec_b32 s0, vcc_lo
	s_cbranch_execnz .LBB171_282
.LBB171_242:
	s_or_b32 exec_lo, exec_lo, s0
	s_and_saveexec_b32 s0, vcc_lo
	s_cbranch_execnz .LBB171_283
.LBB171_243:
	s_or_b32 exec_lo, exec_lo, s0
	s_and_saveexec_b32 s0, vcc_lo
	s_cbranch_execz .LBB171_245
.LBB171_244:
	v_lshl_add_u32 v9, v6, 2, v7
	ds_load_b32 v9, v9 offset:256
	s_waitcnt lgkmcnt(0)
	v_add_f32_e32 v4, v4, v9
.LBB171_245:
	s_or_b32 exec_lo, exec_lo, s0
.LBB171_246:
	s_delay_alu instid0(SALU_CYCLE_1)
	s_or_b32 exec_lo, exec_lo, s1
	v_and_b32_e32 v9, 0x3e1, v0
	s_mov_b32 s1, exec_lo
	s_barrier
	buffer_gl0_inv
	v_cmpx_eq_u32_e32 32, v9
	s_cbranch_execz .LBB171_248
; %bb.247:
	v_add3_u32 v8, v7, v8, 0xfffffec0
	ds_store_2addr_b32 v8, v5, v3 offset1:16
	ds_store_2addr_b32 v8, v2, v1 offset0:32 offset1:48
	ds_store_b32 v8, v4 offset:256
.LBB171_248:
	s_or_b32 exec_lo, exec_lo, s1
	v_cmp_gt_u32_e64 s0, 32, v0
	s_waitcnt lgkmcnt(0)
	s_barrier
	buffer_gl0_inv
	s_and_saveexec_b32 s1, s0
	s_cbranch_execz .LBB171_256
; %bb.249:
	v_lshl_add_u32 v0, v6, 2, v7
	s_and_saveexec_b32 s2, vcc_lo
	s_cbranch_execnz .LBB171_284
; %bb.250:
	s_or_b32 exec_lo, exec_lo, s2
	s_and_saveexec_b32 s2, vcc_lo
	s_cbranch_execnz .LBB171_285
.LBB171_251:
	s_or_b32 exec_lo, exec_lo, s2
	s_and_saveexec_b32 s2, vcc_lo
	s_cbranch_execnz .LBB171_286
.LBB171_252:
	s_or_b32 exec_lo, exec_lo, s2
	s_and_saveexec_b32 s2, vcc_lo
	s_cbranch_execnz .LBB171_287
.LBB171_253:
	s_or_b32 exec_lo, exec_lo, s2
	s_and_saveexec_b32 s2, vcc_lo
	s_cbranch_execz .LBB171_255
.LBB171_254:
	ds_load_b32 v0, v0 offset:256
	s_waitcnt lgkmcnt(0)
	v_add_f32_e32 v4, v4, v0
.LBB171_255:
	s_or_b32 exec_lo, exec_lo, s2
.LBB171_256:
	s_delay_alu instid0(SALU_CYCLE_1)
	s_or_b32 exec_lo, exec_lo, s1
	s_barrier
	buffer_gl0_inv
	s_and_saveexec_b32 s1, s0
	s_cbranch_execz .LBB171_279
; %bb.257:
	s_and_b32 exec_lo, exec_lo, vcc_lo
	s_cbranch_execz .LBB171_279
; %bb.258:
	v_and_b32_e32 v0, 0x7f800000, v5
	s_delay_alu instid0(VALU_DEP_1) | instskip(SKIP_1) | instid1(SALU_CYCLE_1)
	v_cmp_ne_u32_e32 vcc_lo, 0x7f800000, v0
                                        ; implicit-def: $vgpr0
	s_and_saveexec_b32 s0, vcc_lo
	s_xor_b32 s0, exec_lo, s0
; %bb.259:
	v_bfe_u32 v0, v5, 16, 1
	s_delay_alu instid0(VALU_DEP_1)
	v_add3_u32 v0, v5, v0, 0x7fff
; %bb.260:
	s_and_not1_saveexec_b32 s0, s0
; %bb.261:
	v_and_b32_e32 v0, 0xffff, v5
	v_or_b32_e32 v6, 0x10000, v5
	s_delay_alu instid0(VALU_DEP_2) | instskip(NEXT) | instid1(VALU_DEP_2)
	v_cmp_eq_u32_e32 vcc_lo, 0, v0
	v_cndmask_b32_e32 v0, v6, v5, vcc_lo
; %bb.262:
	s_or_b32 exec_lo, exec_lo, s0
	s_mul_i32 s0, s4, s14
	s_mul_i32 s2, s4, s16
	;; [unrolled: 1-line block ×3, first 2 shown]
	v_lshlrev_b32_e32 v7, 1, v12
	s_mulk_i32 s0, 0x50
	v_and_b32_e32 v8, 0x7f800000, v3
	s_ashr_i32 s1, s0, 31
	s_delay_alu instid0(SALU_CYCLE_1) | instskip(NEXT) | instid1(SALU_CYCLE_1)
	s_lshl_b64 s[0:1], s[0:1], 1
	s_add_u32 s4, s18, s0
	s_addc_u32 s5, s19, s1
	s_ashr_i32 s3, s2, 31
	s_delay_alu instid0(SALU_CYCLE_1) | instskip(SKIP_4) | instid1(SALU_CYCLE_1)
	s_lshl_b64 s[0:1], s[2:3], 1
	s_mul_i32 s2, s12, 0x50
	s_add_u32 s4, s4, s0
	s_addc_u32 s5, s5, s1
	s_ashr_i32 s3, s2, 31
	s_lshl_b64 s[0:1], s[2:3], 1
	s_delay_alu instid0(SALU_CYCLE_1) | instskip(SKIP_2) | instid1(VALU_DEP_1)
	s_add_u32 s0, s4, s0
	s_addc_u32 s1, s5, s1
	v_add_co_u32 v5, s2, s0, v7
	v_add_co_ci_u32_e64 v6, null, s1, 0, s2
	global_store_d16_hi_b16 v7, v0, s[0:1]
	s_mov_b32 s0, exec_lo
                                        ; implicit-def: $vgpr0
	v_cmpx_ne_u32_e32 0x7f800000, v8
	s_xor_b32 s0, exec_lo, s0
; %bb.263:
	v_bfe_u32 v0, v3, 16, 1
	s_delay_alu instid0(VALU_DEP_1)
	v_add3_u32 v0, v3, v0, 0x7fff
; %bb.264:
	s_and_not1_saveexec_b32 s0, s0
; %bb.265:
	v_and_b32_e32 v0, 0xffff, v3
	v_or_b32_e32 v7, 0x10000, v3
	s_delay_alu instid0(VALU_DEP_2) | instskip(NEXT) | instid1(VALU_DEP_2)
	v_cmp_eq_u32_e32 vcc_lo, 0, v0
	v_cndmask_b32_e32 v0, v7, v3, vcc_lo
; %bb.266:
	s_or_b32 exec_lo, exec_lo, s0
	v_and_b32_e32 v3, 0x7f800000, v2
	s_mov_b32 s0, exec_lo
	global_store_d16_hi_b16 v[5:6], v0, off offset:32
                                        ; implicit-def: $vgpr0
	v_cmpx_ne_u32_e32 0x7f800000, v3
	s_xor_b32 s0, exec_lo, s0
; %bb.267:
	v_bfe_u32 v0, v2, 16, 1
	s_delay_alu instid0(VALU_DEP_1)
	v_add3_u32 v0, v2, v0, 0x7fff
; %bb.268:
	s_and_not1_saveexec_b32 s0, s0
; %bb.269:
	v_and_b32_e32 v0, 0xffff, v2
	v_or_b32_e32 v3, 0x10000, v2
	s_delay_alu instid0(VALU_DEP_2) | instskip(NEXT) | instid1(VALU_DEP_2)
	v_cmp_eq_u32_e32 vcc_lo, 0, v0
	v_cndmask_b32_e32 v0, v3, v2, vcc_lo
; %bb.270:
	s_or_b32 exec_lo, exec_lo, s0
	v_and_b32_e32 v2, 0x7f800000, v1
	s_mov_b32 s0, exec_lo
	global_store_d16_hi_b16 v[5:6], v0, off offset:64
	;; [unrolled: 20-line block ×3, first 2 shown]
                                        ; implicit-def: $vgpr7
	v_cmpx_ne_u32_e32 0x7f800000, v1
	s_xor_b32 s0, exec_lo, s0
; %bb.275:
	v_bfe_u32 v0, v4, 16, 1
	s_delay_alu instid0(VALU_DEP_1)
	v_add3_u32 v7, v4, v0, 0x7fff
                                        ; implicit-def: $vgpr0_vgpr1_vgpr2_vgpr3_vgpr4
; %bb.276:
	s_and_not1_saveexec_b32 s0, s0
; %bb.277:
	v_and_b32_e32 v0, 0xffff, v4
	v_or_b32_e32 v1, 0x10000, v4
	s_delay_alu instid0(VALU_DEP_2) | instskip(NEXT) | instid1(VALU_DEP_2)
	v_cmp_eq_u32_e32 vcc_lo, 0, v0
	v_cndmask_b32_e32 v7, v1, v4, vcc_lo
; %bb.278:
	s_or_b32 exec_lo, exec_lo, s0
	global_store_d16_hi_b16 v[5:6], v7, off offset:128
.LBB171_279:
	s_nop 0
	s_sendmsg sendmsg(MSG_DEALLOC_VGPRS)
	s_endpgm
.LBB171_280:
	v_lshl_add_u32 v9, v6, 2, v7
	ds_load_b32 v9, v9
	s_waitcnt lgkmcnt(0)
	v_add_f32_e32 v5, v5, v9
	s_or_b32 exec_lo, exec_lo, s0
	s_and_saveexec_b32 s0, vcc_lo
	s_cbranch_execz .LBB171_241
.LBB171_281:
	v_lshl_add_u32 v9, v6, 2, v7
	ds_load_b32 v9, v9 offset:64
	s_waitcnt lgkmcnt(0)
	v_add_f32_e32 v3, v3, v9
	s_or_b32 exec_lo, exec_lo, s0
	s_and_saveexec_b32 s0, vcc_lo
	s_cbranch_execz .LBB171_242
.LBB171_282:
	v_lshl_add_u32 v9, v6, 2, v7
	ds_load_b32 v9, v9 offset:128
	s_waitcnt lgkmcnt(0)
	v_add_f32_e32 v2, v2, v9
	s_or_b32 exec_lo, exec_lo, s0
	s_and_saveexec_b32 s0, vcc_lo
	s_cbranch_execz .LBB171_243
.LBB171_283:
	v_lshl_add_u32 v9, v6, 2, v7
	ds_load_b32 v9, v9 offset:192
	s_waitcnt lgkmcnt(0)
	v_add_f32_e32 v1, v1, v9
	s_or_b32 exec_lo, exec_lo, s0
	s_and_saveexec_b32 s0, vcc_lo
	s_cbranch_execnz .LBB171_244
	s_branch .LBB171_245
.LBB171_284:
	ds_load_b32 v6, v0
	s_waitcnt lgkmcnt(0)
	v_add_f32_e32 v5, v5, v6
	s_or_b32 exec_lo, exec_lo, s2
	s_and_saveexec_b32 s2, vcc_lo
	s_cbranch_execz .LBB171_251
.LBB171_285:
	ds_load_b32 v6, v0 offset:64
	s_waitcnt lgkmcnt(0)
	v_add_f32_e32 v3, v3, v6
	s_or_b32 exec_lo, exec_lo, s2
	s_and_saveexec_b32 s2, vcc_lo
	s_cbranch_execz .LBB171_252
.LBB171_286:
	ds_load_b32 v6, v0 offset:128
	s_waitcnt lgkmcnt(0)
	v_add_f32_e32 v2, v2, v6
	s_or_b32 exec_lo, exec_lo, s2
	s_and_saveexec_b32 s2, vcc_lo
	s_cbranch_execz .LBB171_253
.LBB171_287:
	ds_load_b32 v6, v0 offset:192
	s_waitcnt lgkmcnt(0)
	v_add_f32_e32 v1, v1, v6
	s_or_b32 exec_lo, exec_lo, s2
	s_and_saveexec_b32 s2, vcc_lo
	s_cbranch_execnz .LBB171_254
	s_branch .LBB171_255
	.section	.rodata,"a",@progbits
	.p2align	6, 0x0
	.amdhsa_kernel _ZN4vllm25paged_attention_v2_kernelI14__hip_bfloat16S1_Li80ELi16ELi128ELNS_18Fp8KVCacheDataTypeE0ELb0ELi512EEEvPfS3_PT_PKS4_PKT0_SA_ifPKiSC_iPKfiiiSE_SE_iiiii
		.amdhsa_group_segment_fixed_size 192
		.amdhsa_private_segment_fixed_size 0
		.amdhsa_kernarg_size 400
		.amdhsa_user_sgpr_count 13
		.amdhsa_user_sgpr_dispatch_ptr 0
		.amdhsa_user_sgpr_queue_ptr 0
		.amdhsa_user_sgpr_kernarg_segment_ptr 1
		.amdhsa_user_sgpr_dispatch_id 0
		.amdhsa_user_sgpr_private_segment_size 0
		.amdhsa_wavefront_size32 1
		.amdhsa_uses_dynamic_stack 0
		.amdhsa_enable_private_segment 0
		.amdhsa_system_sgpr_workgroup_id_x 1
		.amdhsa_system_sgpr_workgroup_id_y 1
		.amdhsa_system_sgpr_workgroup_id_z 1
		.amdhsa_system_sgpr_workgroup_info 0
		.amdhsa_system_vgpr_workitem_id 0
		.amdhsa_next_free_vgpr 94
		.amdhsa_next_free_sgpr 38
		.amdhsa_reserve_vcc 1
		.amdhsa_float_round_mode_32 0
		.amdhsa_float_round_mode_16_64 0
		.amdhsa_float_denorm_mode_32 3
		.amdhsa_float_denorm_mode_16_64 3
		.amdhsa_dx10_clamp 1
		.amdhsa_ieee_mode 1
		.amdhsa_fp16_overflow 0
		.amdhsa_workgroup_processor_mode 1
		.amdhsa_memory_ordered 1
		.amdhsa_forward_progress 0
		.amdhsa_shared_vgpr_count 0
		.amdhsa_exception_fp_ieee_invalid_op 0
		.amdhsa_exception_fp_denorm_src 0
		.amdhsa_exception_fp_ieee_div_zero 0
		.amdhsa_exception_fp_ieee_overflow 0
		.amdhsa_exception_fp_ieee_underflow 0
		.amdhsa_exception_fp_ieee_inexact 0
		.amdhsa_exception_int_div_zero 0
	.end_amdhsa_kernel
	.section	.text._ZN4vllm25paged_attention_v2_kernelI14__hip_bfloat16S1_Li80ELi16ELi128ELNS_18Fp8KVCacheDataTypeE0ELb0ELi512EEEvPfS3_PT_PKS4_PKT0_SA_ifPKiSC_iPKfiiiSE_SE_iiiii,"axG",@progbits,_ZN4vllm25paged_attention_v2_kernelI14__hip_bfloat16S1_Li80ELi16ELi128ELNS_18Fp8KVCacheDataTypeE0ELb0ELi512EEEvPfS3_PT_PKS4_PKT0_SA_ifPKiSC_iPKfiiiSE_SE_iiiii,comdat
.Lfunc_end171:
	.size	_ZN4vllm25paged_attention_v2_kernelI14__hip_bfloat16S1_Li80ELi16ELi128ELNS_18Fp8KVCacheDataTypeE0ELb0ELi512EEEvPfS3_PT_PKS4_PKT0_SA_ifPKiSC_iPKfiiiSE_SE_iiiii, .Lfunc_end171-_ZN4vllm25paged_attention_v2_kernelI14__hip_bfloat16S1_Li80ELi16ELi128ELNS_18Fp8KVCacheDataTypeE0ELb0ELi512EEEvPfS3_PT_PKS4_PKT0_SA_ifPKiSC_iPKfiiiSE_SE_iiiii
                                        ; -- End function
	.section	.AMDGPU.csdata,"",@progbits
; Kernel info:
; codeLenInByte = 11480
; NumSgprs: 40
; NumVgprs: 94
; ScratchSize: 0
; MemoryBound: 0
; FloatMode: 240
; IeeeMode: 1
; LDSByteSize: 192 bytes/workgroup (compile time only)
; SGPRBlocks: 4
; VGPRBlocks: 11
; NumSGPRsForWavesPerEU: 40
; NumVGPRsForWavesPerEU: 94
; Occupancy: 16
; WaveLimiterHint : 1
; COMPUTE_PGM_RSRC2:SCRATCH_EN: 0
; COMPUTE_PGM_RSRC2:USER_SGPR: 13
; COMPUTE_PGM_RSRC2:TRAP_HANDLER: 0
; COMPUTE_PGM_RSRC2:TGID_X_EN: 1
; COMPUTE_PGM_RSRC2:TGID_Y_EN: 1
; COMPUTE_PGM_RSRC2:TGID_Z_EN: 1
; COMPUTE_PGM_RSRC2:TIDIG_COMP_CNT: 0
	.section	.text._ZN4vllm25paged_attention_v2_kernelI14__hip_bfloat16S1_Li96ELi16ELi128ELNS_18Fp8KVCacheDataTypeE0ELb0ELi512EEEvPfS3_PT_PKS4_PKT0_SA_ifPKiSC_iPKfiiiSE_SE_iiiii,"axG",@progbits,_ZN4vllm25paged_attention_v2_kernelI14__hip_bfloat16S1_Li96ELi16ELi128ELNS_18Fp8KVCacheDataTypeE0ELb0ELi512EEEvPfS3_PT_PKS4_PKT0_SA_ifPKiSC_iPKfiiiSE_SE_iiiii,comdat
	.protected	_ZN4vllm25paged_attention_v2_kernelI14__hip_bfloat16S1_Li96ELi16ELi128ELNS_18Fp8KVCacheDataTypeE0ELb0ELi512EEEvPfS3_PT_PKS4_PKT0_SA_ifPKiSC_iPKfiiiSE_SE_iiiii ; -- Begin function _ZN4vllm25paged_attention_v2_kernelI14__hip_bfloat16S1_Li96ELi16ELi128ELNS_18Fp8KVCacheDataTypeE0ELb0ELi512EEEvPfS3_PT_PKS4_PKT0_SA_ifPKiSC_iPKfiiiSE_SE_iiiii
	.globl	_ZN4vllm25paged_attention_v2_kernelI14__hip_bfloat16S1_Li96ELi16ELi128ELNS_18Fp8KVCacheDataTypeE0ELb0ELi512EEEvPfS3_PT_PKS4_PKT0_SA_ifPKiSC_iPKfiiiSE_SE_iiiii
	.p2align	8
	.type	_ZN4vllm25paged_attention_v2_kernelI14__hip_bfloat16S1_Li96ELi16ELi128ELNS_18Fp8KVCacheDataTypeE0ELb0ELi512EEEvPfS3_PT_PKS4_PKT0_SA_ifPKiSC_iPKfiiiSE_SE_iiiii,@function
_ZN4vllm25paged_attention_v2_kernelI14__hip_bfloat16S1_Li96ELi16ELi128ELNS_18Fp8KVCacheDataTypeE0ELb0ELi512EEEvPfS3_PT_PKS4_PKT0_SA_ifPKiSC_iPKfiiiSE_SE_iiiii: ; @_ZN4vllm25paged_attention_v2_kernelI14__hip_bfloat16S1_Li96ELi16ELi128ELNS_18Fp8KVCacheDataTypeE0ELb0ELi512EEEvPfS3_PT_PKS4_PKT0_SA_ifPKiSC_iPKfiiiSE_SE_iiiii
; %bb.0:
	s_load_b64 s[2:3], s[0:1], 0x40
	s_mov_b32 s12, s15
	s_ashr_i32 s15, s14, 31
	s_delay_alu instid0(SALU_CYCLE_1)
	s_lshl_b64 s[4:5], s[14:15], 2
	s_waitcnt lgkmcnt(0)
	s_add_u32 s2, s2, s4
	s_addc_u32 s3, s3, s5
	s_lshl_b32 s31, s12, 9
	s_load_b32 s30, s[2:3], 0x0
	s_waitcnt lgkmcnt(0)
	s_cmp_ge_i32 s31, s30
	s_cbranch_scc1 .LBB172_319
; %bb.1:
	s_clause 0x1
	s_load_b32 s15, s[0:1], 0x90
	s_load_b64 s[28:29], s[0:1], 0x30
	s_mov_b32 s20, s13
	s_waitcnt lgkmcnt(0)
	s_abs_i32 s5, s15
	s_abs_i32 s2, s28
	s_delay_alu instid0(SALU_CYCLE_1) | instskip(SKIP_1) | instid1(VALU_DEP_1)
	v_cvt_f32_u32_e32 v1, s2
	s_sub_i32 s4, 0, s2
	v_rcp_iflag_f32_e32 v1, v1
	s_waitcnt_depctr 0xfff
	v_mul_f32_e32 v1, 0x4f7ffffe, v1
	s_delay_alu instid0(VALU_DEP_1) | instskip(NEXT) | instid1(VALU_DEP_1)
	v_cvt_u32_f32_e32 v1, v1
	v_readfirstlane_b32 s3, v1
	s_delay_alu instid0(VALU_DEP_1) | instskip(NEXT) | instid1(SALU_CYCLE_1)
	s_mul_i32 s4, s4, s3
	s_mul_hi_u32 s4, s3, s4
	s_delay_alu instid0(SALU_CYCLE_1)
	s_add_i32 s3, s3, s4
	s_xor_b32 s4, s15, s28
	s_mul_hi_u32 s3, s5, s3
	s_ashr_i32 s4, s4, 31
	s_mul_i32 s6, s3, s2
	s_mov_b32 s28, 0
	s_sub_i32 s5, s5, s6
	s_add_i32 s6, s3, 1
	s_sub_i32 s7, s5, s2
	s_cmp_ge_u32 s5, s2
	s_cselect_b32 s3, s6, s3
	s_cselect_b32 s5, s7, s5
	s_add_i32 s6, s3, 1
	s_cmp_ge_u32 s5, s2
	s_cselect_b32 s2, s6, s3
	s_abs_i32 s10, s13
	s_xor_b32 s2, s2, s4
	s_delay_alu instid0(SALU_CYCLE_1) | instskip(SKIP_2) | instid1(SALU_CYCLE_1)
	s_sub_i32 s11, s2, s4
	s_load_b64 s[2:3], s[0:1], 0x50
	s_abs_i32 s8, s11
	v_cvt_f32_u32_e32 v1, s8
	s_sub_i32 s5, 0, s8
	s_delay_alu instid0(VALU_DEP_1) | instskip(SKIP_2) | instid1(VALU_DEP_1)
	v_rcp_iflag_f32_e32 v1, v1
	s_waitcnt_depctr 0xfff
	v_mul_f32_e32 v1, 0x4f7ffffe, v1
	v_cvt_u32_f32_e32 v1, v1
	s_delay_alu instid0(VALU_DEP_1) | instskip(NEXT) | instid1(VALU_DEP_1)
	v_readfirstlane_b32 s4, v1
	s_mul_i32 s5, s5, s4
	s_delay_alu instid0(SALU_CYCLE_1) | instskip(NEXT) | instid1(SALU_CYCLE_1)
	s_mul_hi_u32 s5, s4, s5
	s_add_i32 s4, s4, s5
	s_waitcnt lgkmcnt(0)
	s_cmp_eq_u64 s[2:3], 0
	s_mul_hi_u32 s9, s10, s4
	s_cbranch_scc1 .LBB172_3
; %bb.2:
	s_ashr_i32 s21, s20, 31
	s_delay_alu instid0(SALU_CYCLE_1) | instskip(NEXT) | instid1(SALU_CYCLE_1)
	s_lshl_b64 s[4:5], s[20:21], 2
	s_add_u32 s2, s2, s4
	s_addc_u32 s3, s3, s5
	s_load_b32 s28, s[2:3], 0x0
.LBB172_3:
	s_load_b128 s[4:7], s[0:1], 0x58
	v_lshrrev_b32_e32 v12, 1, v0
	v_and_b32_e32 v13, 1, v0
	v_lshlrev_b32_e32 v3, 3, v0
	s_ashr_i32 s2, s20, 31
	s_ashr_i32 s3, s11, 31
	s_mul_i32 s16, s20, 0x60
	s_waitcnt lgkmcnt(0)
	s_mov_b32 s7, exec_lo
	v_cmpx_gt_u32_e32 24, v0
	s_cbranch_execz .LBB172_5
; %bb.4:
	s_load_b64 s[18:19], s[0:1], 0x18
	s_mul_i32 s22, s14, s4
	v_lshlrev_b32_e32 v4, 3, v12
	s_ashr_i32 s23, s22, 31
	s_delay_alu instid0(SALU_CYCLE_1) | instskip(NEXT) | instid1(VALU_DEP_1)
	s_lshl_b64 s[22:23], s[22:23], 1
	v_mad_u32_u24 v4, 0x60, v13, v4
	s_waitcnt lgkmcnt(0)
	s_add_u32 s4, s18, s22
	s_addc_u32 s11, s19, s23
	s_ashr_i32 s17, s16, 31
	s_delay_alu instid0(SALU_CYCLE_1) | instskip(NEXT) | instid1(SALU_CYCLE_1)
	s_lshl_b64 s[18:19], s[16:17], 1
	s_add_u32 s18, s4, s18
	s_addc_u32 s19, s11, s19
	global_load_b64 v[1:2], v3, s[18:19]
	s_waitcnt vmcnt(0)
	ds_store_b64 v4, v[1:2]
.LBB172_5:
	s_or_b32 exec_lo, exec_lo, s7
	s_add_i32 s4, s30, 15
	s_lshl_b32 s13, s12, 5
	s_ashr_i32 s7, s4, 31
	s_xor_b32 s2, s2, s3
	s_lshr_b32 s7, s7, 28
	s_add_i32 s3, s13, 32
	s_add_i32 s4, s4, s7
	s_clause 0x1
	s_load_b64 s[22:23], s[0:1], 0x38
	s_load_b32 s7, s[0:1], 0x48
	s_ashr_i32 s21, s4, 4
	s_mul_i32 s4, s9, s8
	s_min_i32 s17, s3, s21
	s_sub_i32 s3, s10, s4
	s_add_i32 s4, s9, 1
	s_sub_i32 s10, s3, s8
	s_cmp_ge_u32 s3, s8
	v_lshrrev_b32_e32 v14, 5, v0
	s_cselect_b32 s4, s4, s9
	s_cselect_b32 s3, s10, s3
	s_add_i32 s9, s4, 1
	s_cmp_ge_u32 s3, s8
	v_or_b32_e32 v9, s13, v14
	s_cselect_b32 s3, s9, s4
	v_mbcnt_lo_u32_b32 v4, -1, 0
	s_xor_b32 s3, s3, s2
	s_mov_b32 s4, exec_lo
	s_sub_i32 s3, s3, s2
	v_cmp_gt_i32_e64 s2, s17, v9
	s_waitcnt lgkmcnt(0)
	s_mul_i32 s24, s14, s7
	s_delay_alu instid0(SALU_CYCLE_1)
	s_ashr_i32 s25, s24, 31
	s_barrier
	buffer_gl0_inv
                                        ; implicit-def: $sgpr7
                                        ; implicit-def: $vgpr5
	v_cmpx_le_i32_e64 s17, v9
	s_xor_b32 s4, exec_lo, s4
; %bb.6:
	v_mbcnt_lo_u32_b32 v4, -1, 0
	v_mov_b32_e32 v5, 32
	s_mov_b32 s7, 0xff7fffff
; %bb.7:
	s_or_saveexec_b32 s33, s4
	s_clause 0x3
	s_load_b128 s[8:11], s[0:1], 0x0
	s_load_b64 s[18:19], s[0:1], 0x10
	s_load_b64 s[26:27], s[0:1], 0x28
	s_load_b32 s4, s[0:1], 0x98
	v_mov_b32_e32 v58, s7
	v_ashrrev_i32_e32 v10, 31, v9
	s_mul_i32 s6, s3, s6
	s_xor_b32 exec_lo, exec_lo, s33
	s_cbranch_execz .LBB172_13
; %bb.8:
	v_mul_u32_u24_e32 v1, 0x60, v13
	s_load_b64 s[0:1], s[0:1], 0x20
	v_bfe_u32 v2, v0, 1, 4
	s_ashr_i32 s7, s6, 31
	v_and_b32_e32 v5, 8, v3
	ds_load_b128 v[15:18], v1
	ds_load_b128 v[25:28], v1 offset:16
	ds_load_b128 v[33:36], v1 offset:32
	;; [unrolled: 1-line block ×5, first 2 shown]
	v_xor_b32_e32 v1, 1, v4
	v_lshlrev_b32_e32 v6, 4, v2
	s_lshl_b64 s[34:35], s[6:7], 1
	v_mov_b32_e32 v65, v9
	s_waitcnt lgkmcnt(0)
	s_add_u32 s0, s0, s34
	s_addc_u32 s1, s1, s35
	v_add_co_u32 v19, s0, s0, v6
	s_delay_alu instid0(VALU_DEP_1)
	v_add_co_ci_u32_e64 v20, null, s1, 0, s0
	s_lshl_b64 s[34:35], s[24:25], 2
	v_lshlrev_b32_e32 v53, 16, v58
	v_and_b32_e32 v54, 0xffff0000, v58
	v_lshlrev_b32_e32 v58, 2, v2
	s_sub_i32 s7, 1, s30
	s_add_u32 s1, s22, s34
	s_addc_u32 s3, s23, s35
	v_lshlrev_b32_e32 v6, 16, v15
	v_lshl_or_b32 v58, v14, 6, v58
	v_and_b32_e32 v7, 0xffff0000, v15
	v_lshlrev_b32_e32 v8, 16, v16
	v_and_b32_e32 v11, 0xffff0000, v16
	v_lshlrev_b32_e32 v15, 16, v17
	v_add_nc_u32_e32 v64, 0xe0, v58
	v_mov_b32_e32 v58, 0xff7fffff
	v_add_co_u32 v19, vcc_lo, v19, v5
	v_add_co_ci_u32_e32 v20, vcc_lo, 0, v20, vcc_lo
	v_cmp_gt_i32_e32 vcc_lo, 32, v1
	v_and_b32_e32 v16, 0xffff0000, v17
	v_lshlrev_b32_e32 v17, 16, v18
	v_and_b32_e32 v18, 0xffff0000, v18
	v_lshlrev_b32_e32 v21, 16, v25
	v_cndmask_b32_e32 v1, v4, v1, vcc_lo
	v_and_b32_e32 v22, 0xffff0000, v25
	v_lshlrev_b32_e32 v23, 16, v26
	v_and_b32_e32 v24, 0xffff0000, v26
	v_lshlrev_b32_e32 v25, 16, v27
	v_lshlrev_b32_e32 v62, 2, v1
	v_lshlrev_b32_e32 v1, 4, v14
	v_and_b32_e32 v26, 0xffff0000, v27
	v_lshlrev_b32_e32 v27, 16, v28
	v_and_b32_e32 v28, 0xffff0000, v28
	v_lshlrev_b32_e32 v29, 16, v33
	v_add3_u32 v63, s31, v1, v2
	v_lshlrev_b64 v[1:2], 2, v[9:10]
	v_and_b32_e32 v30, 0xffff0000, v33
	v_lshlrev_b32_e32 v31, 16, v34
	v_and_b32_e32 v32, 0xffff0000, v34
	v_lshlrev_b32_e32 v33, 16, v35
	v_and_b32_e32 v34, 0xffff0000, v35
	v_add_co_u32 v1, s1, s1, v1
	v_lshlrev_b32_e32 v35, 16, v36
	v_and_b32_e32 v36, 0xffff0000, v36
	v_lshlrev_b32_e32 v37, 16, v41
	v_and_b32_e32 v38, 0xffff0000, v41
	;; [unrolled: 2-line block ×12, first 2 shown]
	v_mov_b32_e32 v5, 32
	v_cmp_eq_u32_e32 vcc_lo, 0, v13
	v_cmp_neq_f32_e64 s0, s28, 0
	v_add_co_ci_u32_e64 v2, s1, s3, v2, s1
	s_mov_b32 s35, s5
	s_mov_b32 s34, 0
	s_branch .LBB172_10
.LBB172_9:                              ;   in Loop: Header=BB172_10 Depth=1
	s_or_b32 exec_lo, exec_lo, s3
	v_add_nc_u32_e32 v65, 4, v65
	v_add_co_u32 v1, s3, v1, 16
	v_add_nc_u32_e32 v63, 64, v63
	v_add_nc_u32_e32 v64, 0x100, v64
	s_delay_alu instid0(VALU_DEP_4) | instskip(SKIP_1) | instid1(VALU_DEP_2)
	v_cmp_le_i32_e64 s1, s17, v65
	v_add_co_ci_u32_e64 v2, s3, 0, v2, s3
	s_or_b32 s34, s1, s34
	s_delay_alu instid0(SALU_CYCLE_1)
	s_and_not1_b32 exec_lo, exec_lo, s34
	s_cbranch_execz .LBB172_12
.LBB172_10:                             ; =>This Inner Loop Header: Depth=1
	global_load_b32 v68, v[1:2], off
	s_waitcnt vmcnt(0) lgkmcnt(0)
	v_mad_i64_i32 v[66:67], null, v68, s35, 0
	s_delay_alu instid0(VALU_DEP_1) | instskip(NEXT) | instid1(VALU_DEP_1)
	v_lshlrev_b64 v[66:67], 1, v[66:67]
	v_add_co_u32 v66, s1, v19, v66
	s_delay_alu instid0(VALU_DEP_1)
	v_add_co_ci_u32_e64 v67, s1, v20, v67, s1
	s_clause 0xb
	global_load_b64 v[68:69], v[66:67], off
	global_load_b64 v[70:71], v[66:67], off offset:256
	global_load_b64 v[72:73], v[66:67], off offset:512
	;; [unrolled: 1-line block ×11, first 2 shown]
	s_waitcnt vmcnt(10)
	v_lshlrev_b32_e32 v93, 16, v71
	v_and_b32_e32 v71, 0xffff0000, v71
	v_lshlrev_b32_e32 v90, 16, v68
	s_delay_alu instid0(VALU_DEP_3) | instskip(NEXT) | instid1(VALU_DEP_3)
	v_dual_mul_f32 v93, v17, v93 :: v_dual_and_b32 v68, 0xffff0000, v68
	v_dual_mul_f32 v71, v18, v71 :: v_dual_lshlrev_b32 v92, 16, v70
	v_and_b32_e32 v70, 0xffff0000, v70
	v_lshlrev_b32_e32 v91, 16, v69
	s_delay_alu instid0(VALU_DEP_3) | instskip(NEXT) | instid1(VALU_DEP_3)
	v_dual_mul_f32 v92, v15, v92 :: v_dual_and_b32 v69, 0xffff0000, v69
	v_mul_f32_e32 v70, v16, v70
	s_delay_alu instid0(VALU_DEP_3) | instskip(NEXT) | instid1(VALU_DEP_3)
	v_fmac_f32_e32 v93, v8, v91
	v_dual_fmac_f32 v71, v11, v69 :: v_dual_fmac_f32 v92, v6, v90
	s_waitcnt vmcnt(9)
	v_lshlrev_b32_e32 v95, 16, v73
	v_lshlrev_b32_e32 v94, 16, v72
	v_dual_fmac_f32 v70, v7, v68 :: v_dual_and_b32 v73, 0xffff0000, v73
	s_delay_alu instid0(VALU_DEP_3) | instskip(SKIP_1) | instid1(VALU_DEP_3)
	v_dual_fmac_f32 v93, v23, v95 :: v_dual_and_b32 v72, 0xffff0000, v72
	s_waitcnt vmcnt(8)
	v_dual_fmac_f32 v92, v21, v94 :: v_dual_lshlrev_b32 v97, 16, v75
	s_delay_alu instid0(VALU_DEP_3) | instskip(NEXT) | instid1(VALU_DEP_3)
	v_dual_fmac_f32 v71, v24, v73 :: v_dual_lshlrev_b32 v96, 16, v74
	v_dual_fmac_f32 v70, v22, v72 :: v_dual_and_b32 v75, 0xffff0000, v75
	s_delay_alu instid0(VALU_DEP_3) | instskip(SKIP_1) | instid1(VALU_DEP_3)
	v_dual_fmac_f32 v93, v27, v97 :: v_dual_and_b32 v74, 0xffff0000, v74
	s_waitcnt vmcnt(7)
	v_dual_fmac_f32 v92, v25, v96 :: v_dual_lshlrev_b32 v99, 16, v77
	s_delay_alu instid0(VALU_DEP_3) | instskip(NEXT) | instid1(VALU_DEP_3)
	v_dual_fmac_f32 v71, v28, v75 :: v_dual_lshlrev_b32 v98, 16, v76
	;; [unrolled: 7-line block ×6, first 2 shown]
	v_dual_fmac_f32 v70, v42, v82 :: v_dual_and_b32 v85, 0xffff0000, v85
	s_delay_alu instid0(VALU_DEP_3) | instskip(SKIP_1) | instid1(VALU_DEP_3)
	v_dual_fmac_f32 v93, v47, v107 :: v_dual_and_b32 v84, 0xffff0000, v84
	s_waitcnt vmcnt(2)
	v_dual_fmac_f32 v92, v45, v106 :: v_dual_and_b32 v69, 0xffff0000, v87
	s_delay_alu instid0(VALU_DEP_3) | instskip(NEXT) | instid1(VALU_DEP_1)
	v_dual_fmac_f32 v71, v48, v85 :: v_dual_and_b32 v68, 0xffff0000, v86
	v_dual_fmac_f32 v70, v46, v84 :: v_dual_fmac_f32 v71, v52, v69
	s_waitcnt vmcnt(1)
	s_delay_alu instid0(VALU_DEP_1) | instskip(SKIP_3) | instid1(VALU_DEP_1)
	v_dual_fmac_f32 v70, v50, v68 :: v_dual_lshlrev_b32 v75, 16, v89
	s_waitcnt vmcnt(0)
	v_lshlrev_b32_e32 v68, 16, v67
	v_and_b32_e32 v76, 0xffff0000, v89
	v_dual_fmac_f32 v71, v56, v76 :: v_dual_lshlrev_b32 v72, 16, v87
	s_delay_alu instid0(VALU_DEP_1) | instskip(SKIP_1) | instid1(VALU_DEP_2)
	v_dual_fmac_f32 v93, v51, v72 :: v_dual_lshlrev_b32 v108, 16, v86
	v_and_b32_e32 v74, 0xffff0000, v88
	v_dual_fmac_f32 v92, v49, v108 :: v_dual_fmac_f32 v93, v55, v75
	s_delay_alu instid0(VALU_DEP_2) | instskip(SKIP_2) | instid1(VALU_DEP_3)
	v_dual_fmac_f32 v70, v54, v74 :: v_dual_lshlrev_b32 v73, 16, v88
	v_lshlrev_b32_e32 v77, 16, v66
	v_and_b32_e32 v66, 0xffff0000, v66
	v_fmac_f32_e32 v92, v53, v73
	s_delay_alu instid0(VALU_DEP_2) | instskip(SKIP_1) | instid1(VALU_DEP_3)
	v_fmac_f32_e32 v70, v59, v66
	v_and_b32_e32 v66, 0xffff0000, v67
	v_fmac_f32_e32 v92, v57, v77
	s_delay_alu instid0(VALU_DEP_1) | instskip(SKIP_1) | instid1(VALU_DEP_1)
	v_add_f32_e32 v67, v92, v70
	v_fmac_f32_e32 v93, v60, v68
	v_dual_fmac_f32 v71, v61, v66 :: v_dual_add_f32 v66, v67, v93
	s_delay_alu instid0(VALU_DEP_1)
	v_add_f32_e32 v66, v71, v66
	ds_bpermute_b32 v67, v62, v66
	s_and_saveexec_b32 s3, vcc_lo
	s_cbranch_execz .LBB172_9
; %bb.11:                               ;   in Loop: Header=BB172_10 Depth=1
	s_waitcnt lgkmcnt(0)
	v_add_f32_e32 v66, v66, v67
	v_add_nc_u32_e32 v68, s7, v63
	v_cmp_gt_i32_e64 s1, s30, v63
	s_delay_alu instid0(VALU_DEP_2) | instskip(NEXT) | instid1(VALU_DEP_1)
	v_cvt_f32_i32_e32 v68, v68
	v_mul_f32_e32 v68, s28, v68
	s_delay_alu instid0(VALU_DEP_1) | instskip(SKIP_1) | instid1(VALU_DEP_2)
	v_cndmask_b32_e64 v67, 0, v68, s0
	v_max_f32_e32 v68, v58, v58
	v_fmac_f32_e32 v67, s29, v66
	s_delay_alu instid0(VALU_DEP_1) | instskip(SKIP_1) | instid1(VALU_DEP_2)
	v_max_f32_e32 v66, v68, v67
	v_cndmask_b32_e64 v67, 0, v67, s1
	v_cndmask_b32_e64 v58, v58, v66, s1
	ds_store_b32 v64, v67
	s_branch .LBB172_9
.LBB172_12:
	s_or_b32 exec_lo, exec_lo, s34
.LBB172_13:
	s_delay_alu instid0(SALU_CYCLE_1) | instskip(SKIP_4) | instid1(VALU_DEP_4)
	s_or_b32 exec_lo, exec_lo, s33
	v_xor_b32_e32 v1, 16, v4
	v_xor_b32_e32 v2, 8, v4
	;; [unrolled: 1-line block ×3, first 2 shown]
	v_dual_max_f32 v8, v58, v58 :: v_dual_and_b32 v15, 31, v0
	v_cmp_lt_i32_e32 vcc_lo, v1, v5
	v_cndmask_b32_e32 v1, v4, v1, vcc_lo
	v_cmp_lt_i32_e32 vcc_lo, v2, v5
	s_delay_alu instid0(VALU_DEP_2) | instskip(SKIP_3) | instid1(VALU_DEP_1)
	v_lshlrev_b32_e32 v6, 2, v1
	ds_bpermute_b32 v1, v6, v58
	s_waitcnt lgkmcnt(0)
	v_dual_cndmask_b32 v2, v4, v2 :: v_dual_max_f32 v1, v1, v1
	v_max_f32_e32 v1, v8, v1
	v_xor_b32_e32 v8, 4, v4
	s_delay_alu instid0(VALU_DEP_1) | instskip(NEXT) | instid1(VALU_DEP_4)
	v_cmp_lt_i32_e32 vcc_lo, v8, v5
	v_dual_cndmask_b32 v8, v4, v8 :: v_dual_lshlrev_b32 v7, 2, v2
	ds_bpermute_b32 v2, v7, v1
	v_cmp_lt_i32_e32 vcc_lo, v11, v5
	v_dual_cndmask_b32 v11, v4, v11 :: v_dual_lshlrev_b32 v8, 2, v8
	v_cmp_eq_u32_e32 vcc_lo, 0, v15
	s_waitcnt lgkmcnt(0)
	v_max_f32_e32 v2, v2, v2
	s_delay_alu instid0(VALU_DEP_1) | instskip(SKIP_3) | instid1(VALU_DEP_1)
	v_max_f32_e32 v1, v1, v2
	ds_bpermute_b32 v2, v8, v1
	s_waitcnt lgkmcnt(0)
	v_max_f32_e32 v2, v2, v2
	v_dual_max_f32 v1, v1, v2 :: v_dual_lshlrev_b32 v2, 2, v11
	v_lshlrev_b32_e32 v11, 2, v14
	ds_bpermute_b32 v16, v2, v1
	s_and_saveexec_b32 s0, vcc_lo
	s_cbranch_execz .LBB172_15
; %bb.14:
	s_waitcnt lgkmcnt(0)
	v_dual_max_f32 v16, v16, v16 :: v_dual_max_f32 v1, v1, v1
	s_delay_alu instid0(VALU_DEP_1)
	v_max_f32_e32 v1, v1, v16
	ds_store_b32 v11, v1 offset:192
.LBB172_15:
	s_or_b32 exec_lo, exec_lo, s0
	v_cmp_gt_u32_e64 s0, 4, v15
	v_mov_b32_e32 v1, 0xff7fffff
	v_lshlrev_b32_e32 v17, 2, v15
	s_waitcnt lgkmcnt(0)
	s_barrier
	buffer_gl0_inv
	s_and_saveexec_b32 s1, s0
	s_cbranch_execz .LBB172_17
; %bb.16:
	ds_load_b32 v1, v17 offset:192
.LBB172_17:
	s_or_b32 exec_lo, exec_lo, s1
	s_waitcnt lgkmcnt(0)
	ds_bpermute_b32 v16, v2, v1
	v_xor_b32_e32 v18, 1, v4
	v_max_f32_e32 v1, v1, v1
	s_delay_alu instid0(VALU_DEP_2) | instskip(NEXT) | instid1(VALU_DEP_1)
	v_cmp_lt_i32_e64 s1, v18, v5
	v_cndmask_b32_e64 v5, v4, v18, s1
	s_sub_i32 s1, s17, s13
	v_lshlrev_b32_e32 v4, 2, v4
	s_lshl_b32 s1, s1, 4
	s_delay_alu instid0(SALU_CYCLE_1) | instskip(NEXT) | instid1(SALU_CYCLE_1)
	s_add_i32 s1, s1, s31
	s_min_i32 s1, s1, s30
	s_waitcnt lgkmcnt(0)
	v_max_f32_e32 v18, v16, v16
	v_lshlrev_b32_e32 v16, 2, v5
	s_sub_i32 s7, s1, s31
	s_delay_alu instid0(SALU_CYCLE_1) | instskip(NEXT) | instid1(VALU_DEP_3)
	v_cmp_gt_i32_e64 s1, s7, v0
	v_dual_max_f32 v1, v1, v18 :: v_dual_mov_b32 v18, 0
	ds_bpermute_b32 v5, v16, v1
	s_waitcnt lgkmcnt(0)
	v_max_f32_e32 v5, v5, v5
	s_delay_alu instid0(VALU_DEP_1)
	v_max_f32_e32 v1, v1, v5
	v_and_b32_e32 v5, 0xffffff80, v4
	v_lshl_add_u32 v4, v0, 2, 0xe0
	ds_bpermute_b32 v1, v5, v1
	s_and_saveexec_b32 s13, s1
	s_cbranch_execz .LBB172_21
; %bb.18:
	v_lshl_add_u32 v19, v0, 2, 0xe0
	v_mov_b32_e32 v18, 0
	v_mov_b32_e32 v20, v0
	s_mov_b32 s28, 0
	.p2align	6
.LBB172_19:                             ; =>This Inner Loop Header: Depth=1
	ds_load_b32 v21, v19
	v_add_nc_u32_e32 v20, 0x80, v20
	s_delay_alu instid0(VALU_DEP_1) | instskip(NEXT) | instid1(VALU_DEP_1)
	v_cmp_le_i32_e64 s3, s7, v20
	s_or_b32 s28, s3, s28
	s_waitcnt lgkmcnt(0)
	v_sub_f32_e32 v21, v21, v1
	s_delay_alu instid0(VALU_DEP_1) | instskip(NEXT) | instid1(VALU_DEP_1)
	v_mul_f32_e32 v21, 0x3fb8aa3b, v21
	v_exp_f32_e32 v21, v21
	ds_store_b32 v19, v21
	v_dual_add_f32 v18, v18, v21 :: v_dual_add_nc_u32 v19, 0x200, v19
	s_and_not1_b32 exec_lo, exec_lo, s28
	s_cbranch_execnz .LBB172_19
; %bb.20:
	s_or_b32 exec_lo, exec_lo, s28
.LBB172_21:
	s_delay_alu instid0(SALU_CYCLE_1)
	s_or_b32 exec_lo, exec_lo, s13
	ds_bpermute_b32 v6, v6, v18
	s_waitcnt lgkmcnt(0)
	v_add_f32_e32 v6, v18, v6
	ds_bpermute_b32 v7, v7, v6
	s_waitcnt lgkmcnt(0)
	v_add_f32_e32 v6, v6, v7
	;; [unrolled: 3-line block ×5, first 2 shown]
	s_and_saveexec_b32 s3, vcc_lo
	s_cbranch_execz .LBB172_23
; %bb.22:
	ds_store_b32 v11, v6 offset:208
.LBB172_23:
	s_or_b32 exec_lo, exec_lo, s3
	s_waitcnt lgkmcnt(0)
	s_barrier
	buffer_gl0_inv
	s_and_saveexec_b32 s3, s0
	s_cbranch_execz .LBB172_25
; %bb.24:
	ds_load_b32 v6, v17 offset:208
.LBB172_25:
	s_or_b32 exec_lo, exec_lo, s3
	s_waitcnt lgkmcnt(0)
	ds_bpermute_b32 v2, v2, v6
	s_waitcnt lgkmcnt(0)
	v_add_f32_e32 v2, v6, v2
	ds_bpermute_b32 v6, v16, v2
	s_waitcnt lgkmcnt(0)
	v_add_f32_e32 v2, v2, v6
	ds_bpermute_b32 v2, v5, v2
	s_and_saveexec_b32 s0, s1
	s_cbranch_execz .LBB172_28
; %bb.26:
	s_waitcnt lgkmcnt(0)
	v_add_f32_e32 v5, 0x358637bd, v2
	s_mov_b32 s1, 0
	s_delay_alu instid0(VALU_DEP_1) | instskip(SKIP_1) | instid1(VALU_DEP_2)
	v_div_scale_f32 v6, null, v5, v5, 1.0
	v_div_scale_f32 v11, vcc_lo, 1.0, v5, 1.0
	v_rcp_f32_e32 v7, v6
	s_waitcnt_depctr 0xfff
	v_fma_f32 v8, -v6, v7, 1.0
	s_delay_alu instid0(VALU_DEP_1) | instskip(NEXT) | instid1(VALU_DEP_1)
	v_fmac_f32_e32 v7, v8, v7
	v_mul_f32_e32 v8, v11, v7
	s_delay_alu instid0(VALU_DEP_1) | instskip(NEXT) | instid1(VALU_DEP_1)
	v_fma_f32 v17, -v6, v8, v11
	v_fmac_f32_e32 v8, v17, v7
	s_delay_alu instid0(VALU_DEP_1) | instskip(NEXT) | instid1(VALU_DEP_1)
	v_fma_f32 v6, -v6, v8, v11
	v_div_fmas_f32 v6, v6, v7, v8
	s_delay_alu instid0(VALU_DEP_1)
	v_div_fixup_f32 v5, v6, v5, 1.0
	v_mov_b32_e32 v6, v0
.LBB172_27:                             ; =>This Inner Loop Header: Depth=1
	ds_load_b32 v7, v4
	s_waitcnt lgkmcnt(0)
	v_dual_mul_f32 v7, v5, v7 :: v_dual_add_nc_u32 v6, 0x80, v6
	s_delay_alu instid0(VALU_DEP_1) | instskip(SKIP_3) | instid1(SALU_CYCLE_1)
	v_cmp_le_i32_e32 vcc_lo, s7, v6
	ds_store_b32 v4, v7
	v_add_nc_u32_e32 v4, 0x200, v4
	s_or_b32 s1, vcc_lo, s1
	s_and_not1_b32 exec_lo, exec_lo, s1
	s_cbranch_execnz .LBB172_27
.LBB172_28:
	s_or_b32 exec_lo, exec_lo, s0
	s_delay_alu instid0(SALU_CYCLE_1)
	s_mov_b32 s0, exec_lo
	s_waitcnt lgkmcnt(0)
	s_barrier
	buffer_gl0_inv
	v_cmpx_eq_u32_e32 0, v0
	s_cbranch_execz .LBB172_30
; %bb.29:
	s_mul_i32 s1, s4, s14
	s_mul_i32 s34, s4, s20
	;; [unrolled: 1-line block ×3, first 2 shown]
	v_mov_b32_e32 v4, 0
	s_ashr_i32 s29, s28, 31
	s_delay_alu instid0(SALU_CYCLE_1) | instskip(NEXT) | instid1(SALU_CYCLE_1)
	s_lshl_b64 s[28:29], s[28:29], 2
	s_add_u32 s1, s10, s28
	s_addc_u32 s3, s11, s29
	s_ashr_i32 s35, s34, 31
	s_delay_alu instid0(SALU_CYCLE_1) | instskip(NEXT) | instid1(SALU_CYCLE_1)
	s_lshl_b64 s[10:11], s[34:35], 2
	s_add_u32 s1, s1, s10
	s_addc_u32 s3, s3, s11
	;; [unrolled: 5-line block ×3, first 2 shown]
	s_add_u32 s1, s8, s28
	s_addc_u32 s3, s9, s29
	s_add_u32 s1, s1, s10
	s_addc_u32 s3, s3, s11
	;; [unrolled: 2-line block ×3, first 2 shown]
	s_clause 0x1
	global_store_b32 v4, v1, s[36:37]
	global_store_b32 v4, v2, s[8:9]
.LBB172_30:
	s_or_b32 exec_lo, exec_lo, s0
	v_dual_mov_b32 v17, 0 :: v_dual_mov_b32 v20, 0
	v_dual_mov_b32 v19, 0 :: v_dual_mov_b32 v22, 0
	;; [unrolled: 1-line block ×3, first 2 shown]
	s_mov_b32 s3, 0
	s_and_saveexec_b32 s1, s2
	s_cbranch_execz .LBB172_270
; %bb.31:
	v_dual_mov_b32 v18, 0 :: v_dual_lshlrev_b32 v1, 4, v0
	s_ashr_i32 s7, s6, 31
	v_dual_mov_b32 v21, 0 :: v_dual_and_b32 v2, 8, v3
	s_delay_alu instid0(VALU_DEP_2)
	v_dual_mov_b32 v20, 0 :: v_dual_and_b32 v1, 0x1f0, v1
	v_lshl_add_u32 v4, v14, 4, s31
	s_lshl_b64 s[6:7], s[6:7], 1
	v_dual_mov_b32 v22, 0 :: v_dual_lshlrev_b32 v3, 5, v13
	s_add_u32 s0, s26, s6
	s_addc_u32 s6, s27, s7
	v_add_co_u32 v23, s0, s0, v1
	v_add3_u32 v25, v4, v2, 7
	v_lshlrev_b64 v[1:2], 2, v[9:10]
	v_add_co_ci_u32_e64 v24, null, s6, 0, s0
	s_lshl_b64 s[6:7], s[24:25], 2
	s_add_i32 s2, s21, -1
	v_lshl_or_b32 v3, v14, 6, v3
	s_add_u32 s0, s22, s6
	s_addc_u32 s6, s23, s7
	v_add_co_u32 v10, vcc_lo, s0, v1
	s_delay_alu instid0(VALU_DEP_2)
	v_dual_mov_b32 v19, 0 :: v_dual_add_nc_u32 v26, 0xe0, v3
	v_add_co_ci_u32_e32 v11, vcc_lo, s6, v2, vcc_lo
	v_mov_b32_e32 v17, 0
	s_branch .LBB172_33
.LBB172_32:                             ;   in Loop: Header=BB172_33 Depth=1
	s_or_b32 exec_lo, exec_lo, s0
	v_and_b32_e32 v28, 0xffff0000, v28
	v_and_b32_e32 v8, 0xffff0000, v8
	;; [unrolled: 1-line block ×10, first 2 shown]
	v_add_f32_e32 v7, v7, v8
	v_dual_add_f32 v8, v27, v28 :: v_dual_and_b32 v27, 0xffff0000, v31
	v_and_b32_e32 v1, 0xffff0000, v1
	v_and_b32_e32 v2, 0xffff0000, v2
	s_delay_alu instid0(VALU_DEP_3) | instskip(SKIP_3) | instid1(VALU_DEP_3)
	v_dual_add_f32 v7, v7, v8 :: v_dual_and_b32 v40, 0xffff0000, v79
	v_and_b32_e32 v8, 0xffff0000, v33
	v_and_b32_e32 v33, 0xffff0000, v52
	v_dual_add_f32 v1, v1, v5 :: v_dual_and_b32 v34, 0xffff0000, v34
	v_dual_add_f32 v8, v27, v8 :: v_dual_and_b32 v3, 0xffff0000, v3
	v_add_f32_e32 v28, v29, v30
	v_and_b32_e32 v30, 0xffff0000, v49
	v_and_b32_e32 v39, 0xffff0000, v78
	v_add_nc_u32_e32 v9, 4, v9
	v_add_co_u32 v10, s0, v10, 16
	v_dual_add_f32 v7, v7, v28 :: v_dual_and_b32 v28, 0xffff0000, v50
	s_delay_alu instid0(VALU_DEP_3) | instskip(SKIP_2) | instid1(VALU_DEP_4)
	v_cmp_le_i32_e32 vcc_lo, s17, v9
	v_add_nc_u32_e32 v25, 64, v25
	v_add_co_ci_u32_e64 v11, s0, 0, v11, s0
	v_add_f32_e32 v7, v7, v8
	v_dual_add_f32 v2, v2, v32 :: v_dual_and_b32 v27, 0xffff0000, v53
	v_and_b32_e32 v4, 0xffff0000, v4
	s_or_b32 s3, vcc_lo, s3
	s_delay_alu instid0(VALU_DEP_3) | instskip(NEXT) | instid1(VALU_DEP_3)
	v_add_f32_e32 v18, v18, v7
	v_add_f32_e32 v8, v33, v27
	v_and_b32_e32 v29, 0xffff0000, v51
	v_and_b32_e32 v31, 0xffff0000, v48
	v_add_f32_e32 v1, v1, v2
	v_and_b32_e32 v37, 0xffff0000, v62
	v_add_f32_e32 v2, v3, v34
	v_add_f32_e32 v28, v28, v29
	v_dual_add_f32 v30, v31, v30 :: v_dual_and_b32 v29, 0xffff0000, v57
	v_and_b32_e32 v31, 0xffff0000, v58
	v_and_b32_e32 v3, 0xffff0000, v6
	v_add_f32_e32 v1, v1, v2
	s_delay_alu instid0(VALU_DEP_4) | instskip(SKIP_3) | instid1(VALU_DEP_3)
	v_add_f32_e32 v27, v30, v28
	v_and_b32_e32 v30, 0xffff0000, v56
	v_add_nc_u32_e32 v26, 0x100, v26
	v_add_f32_e32 v2, v4, v3
	v_dual_add_f32 v8, v27, v8 :: v_dual_add_f32 v29, v30, v29
	s_delay_alu instid0(VALU_DEP_2) | instskip(NEXT) | instid1(VALU_DEP_1)
	v_dual_add_f32 v1, v1, v2 :: v_dual_and_b32 v30, 0xffff0000, v67
	v_dual_add_f32 v30, v36, v30 :: v_dual_and_b32 v27, 0xffff0000, v59
	s_delay_alu instid0(VALU_DEP_2) | instskip(NEXT) | instid1(VALU_DEP_2)
	v_add_f32_e32 v17, v17, v1
	v_add_f32_e32 v27, v31, v27
	v_and_b32_e32 v31, 0xffff0000, v65
	s_delay_alu instid0(VALU_DEP_2) | instskip(SKIP_1) | instid1(VALU_DEP_3)
	v_add_f32_e32 v27, v29, v27
	v_and_b32_e32 v29, 0xffff0000, v69
	v_add_f32_e32 v31, v35, v31
	v_and_b32_e32 v35, 0xffff0000, v68
	s_delay_alu instid0(VALU_DEP_1) | instskip(SKIP_4) | instid1(VALU_DEP_3)
	v_dual_add_f32 v29, v35, v29 :: v_dual_and_b32 v28, 0xffff0000, v55
	v_and_b32_e32 v33, 0xffff0000, v60
	v_and_b32_e32 v7, 0xffff0000, v54
	;; [unrolled: 1-line block ×4, first 2 shown]
	v_dual_add_f32 v7, v7, v28 :: v_dual_and_b32 v28, 0xffff0000, v61
	s_delay_alu instid0(VALU_DEP_1) | instskip(SKIP_2) | instid1(VALU_DEP_3)
	v_dual_add_f32 v7, v8, v7 :: v_dual_add_f32 v8, v31, v30
	v_and_b32_e32 v30, 0xffff0000, v70
	v_and_b32_e32 v31, 0xffff0000, v71
	v_add_f32_e32 v22, v22, v7
	s_delay_alu instid0(VALU_DEP_4) | instskip(SKIP_1) | instid1(VALU_DEP_4)
	v_add_f32_e32 v8, v8, v29
	v_add_f32_e32 v28, v33, v28
	v_dual_add_f32 v6, v30, v31 :: v_dual_and_b32 v29, 0xffff0000, v77
	s_delay_alu instid0(VALU_DEP_1) | instskip(NEXT) | instid1(VALU_DEP_1)
	v_dual_add_f32 v27, v27, v28 :: v_dual_add_f32 v4, v8, v6
	v_dual_add_f32 v20, v20, v4 :: v_dual_and_b32 v33, 0xffff0000, v63
	s_delay_alu instid0(VALU_DEP_1) | instskip(SKIP_3) | instid1(VALU_DEP_4)
	v_add_f32_e32 v28, v37, v33
	v_and_b32_e32 v37, 0xffff0000, v73
	v_and_b32_e32 v36, 0xffff0000, v74
	;; [unrolled: 1-line block ×3, first 2 shown]
	v_add_f32_e32 v3, v27, v28
	s_delay_alu instid0(VALU_DEP_4) | instskip(NEXT) | instid1(VALU_DEP_4)
	v_add_f32_e32 v37, v38, v37
	v_add_f32_e32 v35, v36, v35
	s_delay_alu instid0(VALU_DEP_4) | instskip(NEXT) | instid1(VALU_DEP_4)
	v_add_f32_e32 v29, v33, v29
	v_add_f32_e32 v21, v21, v3
	s_delay_alu instid0(VALU_DEP_3) | instskip(NEXT) | instid1(VALU_DEP_1)
	v_add_f32_e32 v5, v37, v35
	v_add_f32_e32 v5, v5, v29
	;; [unrolled: 1-line block ×3, first 2 shown]
	s_delay_alu instid0(VALU_DEP_1) | instskip(NEXT) | instid1(VALU_DEP_1)
	v_add_f32_e32 v5, v5, v29
	v_add_f32_e32 v19, v19, v5
	s_and_not1_b32 exec_lo, exec_lo, s3
	s_cbranch_execz .LBB172_269
.LBB172_33:                             ; =>This Inner Loop Header: Depth=1
	global_load_b32 v32, v[10:11], off
	ds_load_2addr_b64 v[5:8], v26 offset1:1
	ds_load_2addr_b64 v[1:4], v26 offset0:2 offset1:3
	s_mov_b32 s0, exec_lo
                                        ; implicit-def: $vgpr40
	s_waitcnt lgkmcnt(1)
	v_and_b32_e32 v27, 0x7f800000, v5
	s_delay_alu instid0(VALU_DEP_1)
	v_cmpx_ne_u32_e32 0x7f800000, v27
	s_xor_b32 s0, exec_lo, s0
; %bb.34:                               ;   in Loop: Header=BB172_33 Depth=1
	v_bfe_u32 v27, v5, 16, 1
	s_delay_alu instid0(VALU_DEP_1)
	v_add3_u32 v40, v5, v27, 0x7fff
; %bb.35:                               ;   in Loop: Header=BB172_33 Depth=1
	s_and_not1_saveexec_b32 s0, s0
; %bb.36:                               ;   in Loop: Header=BB172_33 Depth=1
	v_and_b32_e32 v27, 0xffff, v5
	v_or_b32_e32 v28, 0x10000, v5
	s_delay_alu instid0(VALU_DEP_2) | instskip(NEXT) | instid1(VALU_DEP_2)
	v_cmp_eq_u32_e32 vcc_lo, 0, v27
	v_cndmask_b32_e32 v40, v28, v5, vcc_lo
; %bb.37:                               ;   in Loop: Header=BB172_33 Depth=1
	s_or_b32 exec_lo, exec_lo, s0
	v_and_b32_e32 v5, 0x7f800000, v6
	s_mov_b32 s0, exec_lo
                                        ; implicit-def: $vgpr41
	s_delay_alu instid0(VALU_DEP_1)
	v_cmpx_ne_u32_e32 0x7f800000, v5
	s_xor_b32 s0, exec_lo, s0
; %bb.38:                               ;   in Loop: Header=BB172_33 Depth=1
	v_bfe_u32 v5, v6, 16, 1
	s_delay_alu instid0(VALU_DEP_1)
	v_add3_u32 v41, v6, v5, 0x7fff
; %bb.39:                               ;   in Loop: Header=BB172_33 Depth=1
	s_and_not1_saveexec_b32 s0, s0
; %bb.40:                               ;   in Loop: Header=BB172_33 Depth=1
	v_and_b32_e32 v5, 0xffff, v6
	v_or_b32_e32 v27, 0x10000, v6
	s_delay_alu instid0(VALU_DEP_2) | instskip(NEXT) | instid1(VALU_DEP_2)
	v_cmp_eq_u32_e32 vcc_lo, 0, v5
	v_cndmask_b32_e32 v41, v27, v6, vcc_lo
; %bb.41:                               ;   in Loop: Header=BB172_33 Depth=1
	s_or_b32 exec_lo, exec_lo, s0
	v_and_b32_e32 v5, 0x7f800000, v7
	s_mov_b32 s0, exec_lo
                                        ; implicit-def: $vgpr27
	s_delay_alu instid0(VALU_DEP_1)
	v_cmpx_ne_u32_e32 0x7f800000, v5
	s_xor_b32 s0, exec_lo, s0
; %bb.42:                               ;   in Loop: Header=BB172_33 Depth=1
	v_bfe_u32 v5, v7, 16, 1
	s_delay_alu instid0(VALU_DEP_1)
	v_add3_u32 v27, v7, v5, 0x7fff
; %bb.43:                               ;   in Loop: Header=BB172_33 Depth=1
	s_and_not1_saveexec_b32 s0, s0
; %bb.44:                               ;   in Loop: Header=BB172_33 Depth=1
	v_and_b32_e32 v5, 0xffff, v7
	v_or_b32_e32 v6, 0x10000, v7
	s_delay_alu instid0(VALU_DEP_2) | instskip(NEXT) | instid1(VALU_DEP_2)
	v_cmp_eq_u32_e32 vcc_lo, 0, v5
	v_cndmask_b32_e32 v27, v6, v7, vcc_lo
; %bb.45:                               ;   in Loop: Header=BB172_33 Depth=1
	s_or_b32 exec_lo, exec_lo, s0
	v_and_b32_e32 v5, 0x7f800000, v8
	s_mov_b32 s0, exec_lo
                                        ; implicit-def: $vgpr28
	s_delay_alu instid0(VALU_DEP_1)
	v_cmpx_ne_u32_e32 0x7f800000, v5
	s_xor_b32 s0, exec_lo, s0
; %bb.46:                               ;   in Loop: Header=BB172_33 Depth=1
	v_bfe_u32 v5, v8, 16, 1
	s_delay_alu instid0(VALU_DEP_1)
	v_add3_u32 v28, v8, v5, 0x7fff
                                        ; implicit-def: $vgpr5_vgpr6_vgpr7_vgpr8
; %bb.47:                               ;   in Loop: Header=BB172_33 Depth=1
	s_and_not1_saveexec_b32 s0, s0
; %bb.48:                               ;   in Loop: Header=BB172_33 Depth=1
	v_and_b32_e32 v5, 0xffff, v8
	v_or_b32_e32 v6, 0x10000, v8
	s_delay_alu instid0(VALU_DEP_2) | instskip(NEXT) | instid1(VALU_DEP_2)
	v_cmp_eq_u32_e32 vcc_lo, 0, v5
	v_cndmask_b32_e32 v28, v6, v8, vcc_lo
; %bb.49:                               ;   in Loop: Header=BB172_33 Depth=1
	s_or_b32 exec_lo, exec_lo, s0
	s_waitcnt lgkmcnt(0)
	v_and_b32_e32 v5, 0x7f800000, v1
	s_mov_b32 s0, exec_lo
                                        ; implicit-def: $vgpr29
	s_delay_alu instid0(VALU_DEP_1)
	v_cmpx_ne_u32_e32 0x7f800000, v5
	s_xor_b32 s0, exec_lo, s0
; %bb.50:                               ;   in Loop: Header=BB172_33 Depth=1
	v_bfe_u32 v5, v1, 16, 1
	s_delay_alu instid0(VALU_DEP_1)
	v_add3_u32 v29, v1, v5, 0x7fff
; %bb.51:                               ;   in Loop: Header=BB172_33 Depth=1
	s_and_not1_saveexec_b32 s0, s0
; %bb.52:                               ;   in Loop: Header=BB172_33 Depth=1
	v_and_b32_e32 v5, 0xffff, v1
	v_or_b32_e32 v6, 0x10000, v1
	s_delay_alu instid0(VALU_DEP_2) | instskip(NEXT) | instid1(VALU_DEP_2)
	v_cmp_eq_u32_e32 vcc_lo, 0, v5
	v_cndmask_b32_e32 v29, v6, v1, vcc_lo
; %bb.53:                               ;   in Loop: Header=BB172_33 Depth=1
	s_or_b32 exec_lo, exec_lo, s0
	v_and_b32_e32 v1, 0x7f800000, v2
	s_mov_b32 s0, exec_lo
                                        ; implicit-def: $vgpr30
	s_delay_alu instid0(VALU_DEP_1)
	v_cmpx_ne_u32_e32 0x7f800000, v1
	s_xor_b32 s0, exec_lo, s0
; %bb.54:                               ;   in Loop: Header=BB172_33 Depth=1
	v_bfe_u32 v1, v2, 16, 1
	s_delay_alu instid0(VALU_DEP_1)
	v_add3_u32 v30, v2, v1, 0x7fff
; %bb.55:                               ;   in Loop: Header=BB172_33 Depth=1
	s_and_not1_saveexec_b32 s0, s0
; %bb.56:                               ;   in Loop: Header=BB172_33 Depth=1
	v_and_b32_e32 v1, 0xffff, v2
	v_or_b32_e32 v5, 0x10000, v2
	s_delay_alu instid0(VALU_DEP_2) | instskip(NEXT) | instid1(VALU_DEP_2)
	v_cmp_eq_u32_e32 vcc_lo, 0, v1
	v_cndmask_b32_e32 v30, v5, v2, vcc_lo
; %bb.57:                               ;   in Loop: Header=BB172_33 Depth=1
	s_or_b32 exec_lo, exec_lo, s0
	v_and_b32_e32 v1, 0x7f800000, v3
	s_mov_b32 s0, exec_lo
                                        ; implicit-def: $vgpr31
	s_delay_alu instid0(VALU_DEP_1)
	v_cmpx_ne_u32_e32 0x7f800000, v1
	s_xor_b32 s0, exec_lo, s0
; %bb.58:                               ;   in Loop: Header=BB172_33 Depth=1
	v_bfe_u32 v1, v3, 16, 1
	s_delay_alu instid0(VALU_DEP_1)
	v_add3_u32 v31, v3, v1, 0x7fff
; %bb.59:                               ;   in Loop: Header=BB172_33 Depth=1
	s_and_not1_saveexec_b32 s0, s0
; %bb.60:                               ;   in Loop: Header=BB172_33 Depth=1
	v_and_b32_e32 v1, 0xffff, v3
	v_or_b32_e32 v2, 0x10000, v3
	s_delay_alu instid0(VALU_DEP_2) | instskip(NEXT) | instid1(VALU_DEP_2)
	v_cmp_eq_u32_e32 vcc_lo, 0, v1
	v_cndmask_b32_e32 v31, v2, v3, vcc_lo
; %bb.61:                               ;   in Loop: Header=BB172_33 Depth=1
	s_or_b32 exec_lo, exec_lo, s0
	v_and_b32_e32 v1, 0x7f800000, v4
	s_mov_b32 s0, exec_lo
                                        ; implicit-def: $vgpr33
	s_delay_alu instid0(VALU_DEP_1)
	v_cmpx_ne_u32_e32 0x7f800000, v1
	s_xor_b32 s0, exec_lo, s0
; %bb.62:                               ;   in Loop: Header=BB172_33 Depth=1
	v_bfe_u32 v1, v4, 16, 1
	s_delay_alu instid0(VALU_DEP_1)
	v_add3_u32 v33, v4, v1, 0x7fff
                                        ; implicit-def: $vgpr1_vgpr2_vgpr3_vgpr4
; %bb.63:                               ;   in Loop: Header=BB172_33 Depth=1
	s_and_not1_saveexec_b32 s0, s0
; %bb.64:                               ;   in Loop: Header=BB172_33 Depth=1
	v_and_b32_e32 v1, 0xffff, v4
	v_or_b32_e32 v2, 0x10000, v4
	s_delay_alu instid0(VALU_DEP_2) | instskip(NEXT) | instid1(VALU_DEP_2)
	v_cmp_eq_u32_e32 vcc_lo, 0, v1
	v_cndmask_b32_e32 v33, v2, v4, vcc_lo
; %bb.65:                               ;   in Loop: Header=BB172_33 Depth=1
	s_or_b32 exec_lo, exec_lo, s0
	s_waitcnt vmcnt(0)
	v_mad_i64_i32 v[1:2], null, v32, s5, 0
	v_add_nc_u32_e32 v32, -7, v25
	v_add_nc_u32_e32 v39, -6, v25
	;; [unrolled: 1-line block ×6, first 2 shown]
	v_lshlrev_b64 v[1:2], 1, v[1:2]
	v_add_nc_u32_e32 v38, -1, v25
	s_delay_alu instid0(VALU_DEP_2) | instskip(NEXT) | instid1(VALU_DEP_3)
	v_add_co_u32 v5, vcc_lo, v23, v1
	v_add_co_ci_u32_e32 v6, vcc_lo, v24, v2, vcc_lo
	v_cmp_eq_u32_e32 vcc_lo, s2, v9
	global_load_b128 v[1:4], v[5:6], off
	s_waitcnt vmcnt(0)
	v_lshrrev_b32_e32 v8, 16, v1
	v_lshrrev_b32_e32 v44, 16, v2
	;; [unrolled: 1-line block ×4, first 2 shown]
	s_and_saveexec_b32 s6, vcc_lo
	s_cbranch_execz .LBB172_67
; %bb.66:                               ;   in Loop: Header=BB172_33 Depth=1
	v_cmp_gt_i32_e64 s0, s30, v32
	s_delay_alu instid0(VALU_DEP_1) | instskip(SKIP_1) | instid1(VALU_DEP_1)
	v_cndmask_b32_e64 v1, 0, v1, s0
	v_cmp_gt_i32_e64 s0, s30, v39
	v_cndmask_b32_e64 v8, 0, v8, s0
	v_cmp_gt_i32_e64 s0, s30, v37
	s_delay_alu instid0(VALU_DEP_1) | instskip(SKIP_1) | instid1(VALU_DEP_1)
	v_cndmask_b32_e64 v2, 0, v2, s0
	v_cmp_gt_i32_e64 s0, s30, v36
	v_cndmask_b32_e64 v44, 0, v44, s0
	;; [unrolled: 5-line block ×4, first 2 shown]
.LBB172_67:                             ;   in Loop: Header=BB172_33 Depth=1
	s_or_b32 exec_lo, exec_lo, s6
	v_and_b32_e32 v40, 0xffff0000, v40
	v_lshlrev_b32_e32 v1, 16, v1
	s_delay_alu instid0(VALU_DEP_1) | instskip(NEXT) | instid1(VALU_DEP_1)
	v_mul_f32_e32 v1, v40, v1
	v_and_b32_e32 v7, 0x7f800000, v1
	s_delay_alu instid0(VALU_DEP_1) | instskip(NEXT) | instid1(VALU_DEP_1)
	v_cmp_ne_u32_e64 s0, 0x7f800000, v7
                                        ; implicit-def: $vgpr7
	s_and_saveexec_b32 s6, s0
	s_delay_alu instid0(SALU_CYCLE_1)
	s_xor_b32 s0, exec_lo, s6
; %bb.68:                               ;   in Loop: Header=BB172_33 Depth=1
	v_bfe_u32 v7, v1, 16, 1
	s_delay_alu instid0(VALU_DEP_1)
	v_add3_u32 v7, v1, v7, 0x7fff
                                        ; implicit-def: $vgpr1
; %bb.69:                               ;   in Loop: Header=BB172_33 Depth=1
	s_and_not1_saveexec_b32 s6, s0
; %bb.70:                               ;   in Loop: Header=BB172_33 Depth=1
	v_and_b32_e32 v7, 0xffff, v1
	v_or_b32_e32 v42, 0x10000, v1
	s_delay_alu instid0(VALU_DEP_2) | instskip(NEXT) | instid1(VALU_DEP_1)
	v_cmp_eq_u32_e64 s0, 0, v7
	v_cndmask_b32_e64 v7, v42, v1, s0
; %bb.71:                               ;   in Loop: Header=BB172_33 Depth=1
	s_or_b32 exec_lo, exec_lo, s6
	v_and_b32_e32 v41, 0xffff0000, v41
	v_lshlrev_b32_e32 v1, 16, v8
	s_delay_alu instid0(VALU_DEP_1) | instskip(NEXT) | instid1(VALU_DEP_1)
	v_mul_f32_e32 v1, v41, v1
	v_and_b32_e32 v8, 0x7f800000, v1
	s_delay_alu instid0(VALU_DEP_1) | instskip(NEXT) | instid1(VALU_DEP_1)
	v_cmp_ne_u32_e64 s0, 0x7f800000, v8
                                        ; implicit-def: $vgpr8
	s_and_saveexec_b32 s6, s0
	s_delay_alu instid0(SALU_CYCLE_1)
	s_xor_b32 s0, exec_lo, s6
; %bb.72:                               ;   in Loop: Header=BB172_33 Depth=1
	v_bfe_u32 v8, v1, 16, 1
	s_delay_alu instid0(VALU_DEP_1)
	v_add3_u32 v8, v1, v8, 0x7fff
                                        ; implicit-def: $vgpr1
; %bb.73:                               ;   in Loop: Header=BB172_33 Depth=1
	s_and_not1_saveexec_b32 s6, s0
; %bb.74:                               ;   in Loop: Header=BB172_33 Depth=1
	v_and_b32_e32 v8, 0xffff, v1
	v_or_b32_e32 v42, 0x10000, v1
	s_delay_alu instid0(VALU_DEP_2) | instskip(NEXT) | instid1(VALU_DEP_1)
	v_cmp_eq_u32_e64 s0, 0, v8
	v_cndmask_b32_e64 v8, v42, v1, s0
; %bb.75:                               ;   in Loop: Header=BB172_33 Depth=1
	s_or_b32 exec_lo, exec_lo, s6
	v_and_b32_e32 v42, 0xffff0000, v27
	v_lshlrev_b32_e32 v1, 16, v2
                                        ; implicit-def: $vgpr27
	s_delay_alu instid0(VALU_DEP_1) | instskip(NEXT) | instid1(VALU_DEP_1)
	v_mul_f32_e32 v1, v42, v1
	v_and_b32_e32 v2, 0x7f800000, v1
	s_delay_alu instid0(VALU_DEP_1) | instskip(NEXT) | instid1(VALU_DEP_1)
	v_cmp_ne_u32_e64 s0, 0x7f800000, v2
	s_and_saveexec_b32 s6, s0
	s_delay_alu instid0(SALU_CYCLE_1)
	s_xor_b32 s0, exec_lo, s6
; %bb.76:                               ;   in Loop: Header=BB172_33 Depth=1
	v_bfe_u32 v2, v1, 16, 1
	s_delay_alu instid0(VALU_DEP_1)
	v_add3_u32 v27, v1, v2, 0x7fff
                                        ; implicit-def: $vgpr1
; %bb.77:                               ;   in Loop: Header=BB172_33 Depth=1
	s_and_not1_saveexec_b32 s6, s0
; %bb.78:                               ;   in Loop: Header=BB172_33 Depth=1
	v_and_b32_e32 v2, 0xffff, v1
	v_or_b32_e32 v27, 0x10000, v1
	s_delay_alu instid0(VALU_DEP_2) | instskip(NEXT) | instid1(VALU_DEP_1)
	v_cmp_eq_u32_e64 s0, 0, v2
	v_cndmask_b32_e64 v27, v27, v1, s0
; %bb.79:                               ;   in Loop: Header=BB172_33 Depth=1
	s_or_b32 exec_lo, exec_lo, s6
	v_and_b32_e32 v43, 0xffff0000, v28
	v_lshlrev_b32_e32 v1, 16, v44
                                        ; implicit-def: $vgpr28
	s_delay_alu instid0(VALU_DEP_1) | instskip(NEXT) | instid1(VALU_DEP_1)
	v_mul_f32_e32 v1, v43, v1
	v_and_b32_e32 v2, 0x7f800000, v1
	s_delay_alu instid0(VALU_DEP_1) | instskip(NEXT) | instid1(VALU_DEP_1)
	v_cmp_ne_u32_e64 s0, 0x7f800000, v2
	s_and_saveexec_b32 s6, s0
	s_delay_alu instid0(SALU_CYCLE_1)
	s_xor_b32 s0, exec_lo, s6
; %bb.80:                               ;   in Loop: Header=BB172_33 Depth=1
	v_bfe_u32 v2, v1, 16, 1
	s_delay_alu instid0(VALU_DEP_1)
	v_add3_u32 v28, v1, v2, 0x7fff
                                        ; implicit-def: $vgpr1
; %bb.81:                               ;   in Loop: Header=BB172_33 Depth=1
	s_and_not1_saveexec_b32 s6, s0
; %bb.82:                               ;   in Loop: Header=BB172_33 Depth=1
	v_and_b32_e32 v2, 0xffff, v1
	v_or_b32_e32 v28, 0x10000, v1
	s_delay_alu instid0(VALU_DEP_2) | instskip(NEXT) | instid1(VALU_DEP_1)
	v_cmp_eq_u32_e64 s0, 0, v2
	v_cndmask_b32_e64 v28, v28, v1, s0
; %bb.83:                               ;   in Loop: Header=BB172_33 Depth=1
	s_or_b32 exec_lo, exec_lo, s6
	v_and_b32_e32 v44, 0xffff0000, v29
	v_lshlrev_b32_e32 v1, 16, v3
                                        ; implicit-def: $vgpr29
	s_delay_alu instid0(VALU_DEP_1) | instskip(NEXT) | instid1(VALU_DEP_1)
	v_mul_f32_e32 v1, v44, v1
	v_and_b32_e32 v2, 0x7f800000, v1
	s_delay_alu instid0(VALU_DEP_1) | instskip(NEXT) | instid1(VALU_DEP_1)
	v_cmp_ne_u32_e64 s0, 0x7f800000, v2
	s_and_saveexec_b32 s6, s0
	s_delay_alu instid0(SALU_CYCLE_1)
	s_xor_b32 s0, exec_lo, s6
; %bb.84:                               ;   in Loop: Header=BB172_33 Depth=1
	v_bfe_u32 v2, v1, 16, 1
	s_delay_alu instid0(VALU_DEP_1)
	v_add3_u32 v29, v1, v2, 0x7fff
                                        ; implicit-def: $vgpr1
; %bb.85:                               ;   in Loop: Header=BB172_33 Depth=1
	s_and_not1_saveexec_b32 s6, s0
; %bb.86:                               ;   in Loop: Header=BB172_33 Depth=1
	v_and_b32_e32 v2, 0xffff, v1
	v_or_b32_e32 v3, 0x10000, v1
	s_delay_alu instid0(VALU_DEP_2) | instskip(NEXT) | instid1(VALU_DEP_1)
	v_cmp_eq_u32_e64 s0, 0, v2
	v_cndmask_b32_e64 v29, v3, v1, s0
; %bb.87:                               ;   in Loop: Header=BB172_33 Depth=1
	s_or_b32 exec_lo, exec_lo, s6
	v_and_b32_e32 v45, 0xffff0000, v30
	v_lshlrev_b32_e32 v1, 16, v46
                                        ; implicit-def: $vgpr30
	s_delay_alu instid0(VALU_DEP_1) | instskip(NEXT) | instid1(VALU_DEP_1)
	v_mul_f32_e32 v1, v45, v1
	v_and_b32_e32 v2, 0x7f800000, v1
	s_delay_alu instid0(VALU_DEP_1) | instskip(NEXT) | instid1(VALU_DEP_1)
	v_cmp_ne_u32_e64 s0, 0x7f800000, v2
	s_and_saveexec_b32 s6, s0
	s_delay_alu instid0(SALU_CYCLE_1)
	s_xor_b32 s0, exec_lo, s6
; %bb.88:                               ;   in Loop: Header=BB172_33 Depth=1
	v_bfe_u32 v2, v1, 16, 1
	s_delay_alu instid0(VALU_DEP_1)
	v_add3_u32 v30, v1, v2, 0x7fff
                                        ; implicit-def: $vgpr1
; %bb.89:                               ;   in Loop: Header=BB172_33 Depth=1
	s_and_not1_saveexec_b32 s6, s0
; %bb.90:                               ;   in Loop: Header=BB172_33 Depth=1
	v_and_b32_e32 v2, 0xffff, v1
	v_or_b32_e32 v3, 0x10000, v1
	s_delay_alu instid0(VALU_DEP_2) | instskip(NEXT) | instid1(VALU_DEP_1)
	v_cmp_eq_u32_e64 s0, 0, v2
	v_cndmask_b32_e64 v30, v3, v1, s0
; %bb.91:                               ;   in Loop: Header=BB172_33 Depth=1
	s_or_b32 exec_lo, exec_lo, s6
	v_and_b32_e32 v46, 0xffff0000, v31
	v_lshlrev_b32_e32 v1, 16, v4
                                        ; implicit-def: $vgpr31
	s_delay_alu instid0(VALU_DEP_1) | instskip(NEXT) | instid1(VALU_DEP_1)
	v_mul_f32_e32 v1, v46, v1
	v_and_b32_e32 v2, 0x7f800000, v1
	s_delay_alu instid0(VALU_DEP_1) | instskip(NEXT) | instid1(VALU_DEP_1)
	v_cmp_ne_u32_e64 s0, 0x7f800000, v2
	s_and_saveexec_b32 s6, s0
	s_delay_alu instid0(SALU_CYCLE_1)
	s_xor_b32 s0, exec_lo, s6
; %bb.92:                               ;   in Loop: Header=BB172_33 Depth=1
	v_bfe_u32 v2, v1, 16, 1
	s_delay_alu instid0(VALU_DEP_1)
	v_add3_u32 v31, v1, v2, 0x7fff
                                        ; implicit-def: $vgpr1
; %bb.93:                               ;   in Loop: Header=BB172_33 Depth=1
	s_and_not1_saveexec_b32 s6, s0
; %bb.94:                               ;   in Loop: Header=BB172_33 Depth=1
	v_and_b32_e32 v2, 0xffff, v1
	v_or_b32_e32 v3, 0x10000, v1
	s_delay_alu instid0(VALU_DEP_2) | instskip(NEXT) | instid1(VALU_DEP_1)
	v_cmp_eq_u32_e64 s0, 0, v2
	v_cndmask_b32_e64 v31, v3, v1, s0
; %bb.95:                               ;   in Loop: Header=BB172_33 Depth=1
	s_or_b32 exec_lo, exec_lo, s6
	v_and_b32_e32 v47, 0xffff0000, v33
	v_lshlrev_b32_e32 v1, 16, v48
                                        ; implicit-def: $vgpr33
	s_delay_alu instid0(VALU_DEP_1) | instskip(NEXT) | instid1(VALU_DEP_1)
	v_mul_f32_e32 v1, v47, v1
	v_and_b32_e32 v2, 0x7f800000, v1
	s_delay_alu instid0(VALU_DEP_1) | instskip(NEXT) | instid1(VALU_DEP_1)
	v_cmp_ne_u32_e64 s0, 0x7f800000, v2
	s_and_saveexec_b32 s6, s0
	s_delay_alu instid0(SALU_CYCLE_1)
	s_xor_b32 s0, exec_lo, s6
; %bb.96:                               ;   in Loop: Header=BB172_33 Depth=1
	v_bfe_u32 v2, v1, 16, 1
	s_delay_alu instid0(VALU_DEP_1)
	v_add3_u32 v33, v1, v2, 0x7fff
                                        ; implicit-def: $vgpr1
; %bb.97:                               ;   in Loop: Header=BB172_33 Depth=1
	s_and_not1_saveexec_b32 s6, s0
; %bb.98:                               ;   in Loop: Header=BB172_33 Depth=1
	v_and_b32_e32 v2, 0xffff, v1
	v_or_b32_e32 v3, 0x10000, v1
	s_delay_alu instid0(VALU_DEP_2) | instskip(NEXT) | instid1(VALU_DEP_1)
	v_cmp_eq_u32_e64 s0, 0, v2
	v_cndmask_b32_e64 v33, v3, v1, s0
; %bb.99:                               ;   in Loop: Header=BB172_33 Depth=1
	s_or_b32 exec_lo, exec_lo, s6
	global_load_b128 v[1:4], v[5:6], off offset:512
	s_waitcnt vmcnt(0)
	v_lshrrev_b32_e32 v49, 16, v1
	v_lshrrev_b32_e32 v51, 16, v2
	;; [unrolled: 1-line block ×4, first 2 shown]
	s_and_saveexec_b32 s6, vcc_lo
	s_cbranch_execz .LBB172_101
; %bb.100:                              ;   in Loop: Header=BB172_33 Depth=1
	v_cmp_gt_i32_e64 s0, s30, v32
	s_delay_alu instid0(VALU_DEP_1) | instskip(SKIP_1) | instid1(VALU_DEP_1)
	v_cndmask_b32_e64 v1, 0, v1, s0
	v_cmp_gt_i32_e64 s0, s30, v39
	v_cndmask_b32_e64 v49, 0, v49, s0
	v_cmp_gt_i32_e64 s0, s30, v37
	s_delay_alu instid0(VALU_DEP_1) | instskip(SKIP_1) | instid1(VALU_DEP_1)
	v_cndmask_b32_e64 v2, 0, v2, s0
	v_cmp_gt_i32_e64 s0, s30, v36
	v_cndmask_b32_e64 v51, 0, v51, s0
	;; [unrolled: 5-line block ×4, first 2 shown]
.LBB172_101:                            ;   in Loop: Header=BB172_33 Depth=1
	s_or_b32 exec_lo, exec_lo, s6
	v_lshlrev_b32_e32 v1, 16, v1
	s_delay_alu instid0(VALU_DEP_1) | instskip(NEXT) | instid1(VALU_DEP_1)
	v_mul_f32_e32 v1, v40, v1
	v_and_b32_e32 v48, 0x7f800000, v1
	s_delay_alu instid0(VALU_DEP_1) | instskip(NEXT) | instid1(VALU_DEP_1)
	v_cmp_ne_u32_e64 s0, 0x7f800000, v48
                                        ; implicit-def: $vgpr48
	s_and_saveexec_b32 s6, s0
	s_delay_alu instid0(SALU_CYCLE_1)
	s_xor_b32 s0, exec_lo, s6
; %bb.102:                              ;   in Loop: Header=BB172_33 Depth=1
	v_bfe_u32 v48, v1, 16, 1
	s_delay_alu instid0(VALU_DEP_1)
	v_add3_u32 v48, v1, v48, 0x7fff
                                        ; implicit-def: $vgpr1
; %bb.103:                              ;   in Loop: Header=BB172_33 Depth=1
	s_and_not1_saveexec_b32 s6, s0
; %bb.104:                              ;   in Loop: Header=BB172_33 Depth=1
	v_and_b32_e32 v48, 0xffff, v1
	v_or_b32_e32 v50, 0x10000, v1
	s_delay_alu instid0(VALU_DEP_2) | instskip(NEXT) | instid1(VALU_DEP_1)
	v_cmp_eq_u32_e64 s0, 0, v48
	v_cndmask_b32_e64 v48, v50, v1, s0
; %bb.105:                              ;   in Loop: Header=BB172_33 Depth=1
	s_or_b32 exec_lo, exec_lo, s6
	v_lshlrev_b32_e32 v1, 16, v49
	s_delay_alu instid0(VALU_DEP_1) | instskip(NEXT) | instid1(VALU_DEP_1)
	v_mul_f32_e32 v1, v41, v1
	v_and_b32_e32 v49, 0x7f800000, v1
	s_delay_alu instid0(VALU_DEP_1) | instskip(NEXT) | instid1(VALU_DEP_1)
	v_cmp_ne_u32_e64 s0, 0x7f800000, v49
                                        ; implicit-def: $vgpr49
	s_and_saveexec_b32 s6, s0
	s_delay_alu instid0(SALU_CYCLE_1)
	s_xor_b32 s0, exec_lo, s6
; %bb.106:                              ;   in Loop: Header=BB172_33 Depth=1
	v_bfe_u32 v49, v1, 16, 1
	s_delay_alu instid0(VALU_DEP_1)
	v_add3_u32 v49, v1, v49, 0x7fff
                                        ; implicit-def: $vgpr1
; %bb.107:                              ;   in Loop: Header=BB172_33 Depth=1
	s_and_not1_saveexec_b32 s6, s0
; %bb.108:                              ;   in Loop: Header=BB172_33 Depth=1
	v_and_b32_e32 v49, 0xffff, v1
	v_or_b32_e32 v50, 0x10000, v1
	s_delay_alu instid0(VALU_DEP_2) | instskip(NEXT) | instid1(VALU_DEP_1)
	v_cmp_eq_u32_e64 s0, 0, v49
	v_cndmask_b32_e64 v49, v50, v1, s0
; %bb.109:                              ;   in Loop: Header=BB172_33 Depth=1
	s_or_b32 exec_lo, exec_lo, s6
	v_lshlrev_b32_e32 v1, 16, v2
                                        ; implicit-def: $vgpr50
	s_delay_alu instid0(VALU_DEP_1) | instskip(NEXT) | instid1(VALU_DEP_1)
	v_mul_f32_e32 v1, v42, v1
	v_and_b32_e32 v2, 0x7f800000, v1
	s_delay_alu instid0(VALU_DEP_1) | instskip(NEXT) | instid1(VALU_DEP_1)
	v_cmp_ne_u32_e64 s0, 0x7f800000, v2
	s_and_saveexec_b32 s6, s0
	s_delay_alu instid0(SALU_CYCLE_1)
	s_xor_b32 s0, exec_lo, s6
; %bb.110:                              ;   in Loop: Header=BB172_33 Depth=1
	v_bfe_u32 v2, v1, 16, 1
	s_delay_alu instid0(VALU_DEP_1)
	v_add3_u32 v50, v1, v2, 0x7fff
                                        ; implicit-def: $vgpr1
; %bb.111:                              ;   in Loop: Header=BB172_33 Depth=1
	s_and_not1_saveexec_b32 s6, s0
; %bb.112:                              ;   in Loop: Header=BB172_33 Depth=1
	v_and_b32_e32 v2, 0xffff, v1
	v_or_b32_e32 v50, 0x10000, v1
	s_delay_alu instid0(VALU_DEP_2) | instskip(NEXT) | instid1(VALU_DEP_1)
	v_cmp_eq_u32_e64 s0, 0, v2
	v_cndmask_b32_e64 v50, v50, v1, s0
; %bb.113:                              ;   in Loop: Header=BB172_33 Depth=1
	s_or_b32 exec_lo, exec_lo, s6
	v_lshlrev_b32_e32 v1, 16, v51
                                        ; implicit-def: $vgpr51
	s_delay_alu instid0(VALU_DEP_1) | instskip(NEXT) | instid1(VALU_DEP_1)
	v_mul_f32_e32 v1, v43, v1
	v_and_b32_e32 v2, 0x7f800000, v1
	s_delay_alu instid0(VALU_DEP_1) | instskip(NEXT) | instid1(VALU_DEP_1)
	v_cmp_ne_u32_e64 s0, 0x7f800000, v2
	s_and_saveexec_b32 s6, s0
	s_delay_alu instid0(SALU_CYCLE_1)
	s_xor_b32 s0, exec_lo, s6
; %bb.114:                              ;   in Loop: Header=BB172_33 Depth=1
	v_bfe_u32 v2, v1, 16, 1
	s_delay_alu instid0(VALU_DEP_1)
	v_add3_u32 v51, v1, v2, 0x7fff
                                        ; implicit-def: $vgpr1
; %bb.115:                              ;   in Loop: Header=BB172_33 Depth=1
	s_and_not1_saveexec_b32 s6, s0
; %bb.116:                              ;   in Loop: Header=BB172_33 Depth=1
	v_and_b32_e32 v2, 0xffff, v1
	v_or_b32_e32 v51, 0x10000, v1
	s_delay_alu instid0(VALU_DEP_2) | instskip(NEXT) | instid1(VALU_DEP_1)
	v_cmp_eq_u32_e64 s0, 0, v2
	v_cndmask_b32_e64 v51, v51, v1, s0
; %bb.117:                              ;   in Loop: Header=BB172_33 Depth=1
	s_or_b32 exec_lo, exec_lo, s6
	v_lshlrev_b32_e32 v1, 16, v3
                                        ; implicit-def: $vgpr52
	s_delay_alu instid0(VALU_DEP_1) | instskip(NEXT) | instid1(VALU_DEP_1)
	v_mul_f32_e32 v1, v44, v1
	v_and_b32_e32 v2, 0x7f800000, v1
	s_delay_alu instid0(VALU_DEP_1) | instskip(NEXT) | instid1(VALU_DEP_1)
	v_cmp_ne_u32_e64 s0, 0x7f800000, v2
	s_and_saveexec_b32 s6, s0
	s_delay_alu instid0(SALU_CYCLE_1)
	s_xor_b32 s0, exec_lo, s6
; %bb.118:                              ;   in Loop: Header=BB172_33 Depth=1
	v_bfe_u32 v2, v1, 16, 1
	s_delay_alu instid0(VALU_DEP_1)
	v_add3_u32 v52, v1, v2, 0x7fff
                                        ; implicit-def: $vgpr1
; %bb.119:                              ;   in Loop: Header=BB172_33 Depth=1
	s_and_not1_saveexec_b32 s6, s0
; %bb.120:                              ;   in Loop: Header=BB172_33 Depth=1
	v_and_b32_e32 v2, 0xffff, v1
	v_or_b32_e32 v3, 0x10000, v1
	s_delay_alu instid0(VALU_DEP_2) | instskip(NEXT) | instid1(VALU_DEP_1)
	v_cmp_eq_u32_e64 s0, 0, v2
	v_cndmask_b32_e64 v52, v3, v1, s0
; %bb.121:                              ;   in Loop: Header=BB172_33 Depth=1
	s_or_b32 exec_lo, exec_lo, s6
	v_lshlrev_b32_e32 v1, 16, v53
                                        ; implicit-def: $vgpr53
	s_delay_alu instid0(VALU_DEP_1) | instskip(NEXT) | instid1(VALU_DEP_1)
	v_mul_f32_e32 v1, v45, v1
	v_and_b32_e32 v2, 0x7f800000, v1
	s_delay_alu instid0(VALU_DEP_1) | instskip(NEXT) | instid1(VALU_DEP_1)
	v_cmp_ne_u32_e64 s0, 0x7f800000, v2
	s_and_saveexec_b32 s6, s0
	s_delay_alu instid0(SALU_CYCLE_1)
	s_xor_b32 s0, exec_lo, s6
; %bb.122:                              ;   in Loop: Header=BB172_33 Depth=1
	v_bfe_u32 v2, v1, 16, 1
	s_delay_alu instid0(VALU_DEP_1)
	v_add3_u32 v53, v1, v2, 0x7fff
                                        ; implicit-def: $vgpr1
; %bb.123:                              ;   in Loop: Header=BB172_33 Depth=1
	s_and_not1_saveexec_b32 s6, s0
; %bb.124:                              ;   in Loop: Header=BB172_33 Depth=1
	v_and_b32_e32 v2, 0xffff, v1
	v_or_b32_e32 v3, 0x10000, v1
	s_delay_alu instid0(VALU_DEP_2) | instskip(NEXT) | instid1(VALU_DEP_1)
	v_cmp_eq_u32_e64 s0, 0, v2
	v_cndmask_b32_e64 v53, v3, v1, s0
; %bb.125:                              ;   in Loop: Header=BB172_33 Depth=1
	s_or_b32 exec_lo, exec_lo, s6
	v_lshlrev_b32_e32 v1, 16, v4
                                        ; implicit-def: $vgpr54
	s_delay_alu instid0(VALU_DEP_1) | instskip(NEXT) | instid1(VALU_DEP_1)
	v_mul_f32_e32 v1, v46, v1
	v_and_b32_e32 v2, 0x7f800000, v1
	s_delay_alu instid0(VALU_DEP_1) | instskip(NEXT) | instid1(VALU_DEP_1)
	v_cmp_ne_u32_e64 s0, 0x7f800000, v2
	s_and_saveexec_b32 s6, s0
	s_delay_alu instid0(SALU_CYCLE_1)
	s_xor_b32 s0, exec_lo, s6
; %bb.126:                              ;   in Loop: Header=BB172_33 Depth=1
	v_bfe_u32 v2, v1, 16, 1
	s_delay_alu instid0(VALU_DEP_1)
	v_add3_u32 v54, v1, v2, 0x7fff
                                        ; implicit-def: $vgpr1
; %bb.127:                              ;   in Loop: Header=BB172_33 Depth=1
	s_and_not1_saveexec_b32 s6, s0
; %bb.128:                              ;   in Loop: Header=BB172_33 Depth=1
	v_and_b32_e32 v2, 0xffff, v1
	v_or_b32_e32 v3, 0x10000, v1
	s_delay_alu instid0(VALU_DEP_2) | instskip(NEXT) | instid1(VALU_DEP_1)
	v_cmp_eq_u32_e64 s0, 0, v2
	v_cndmask_b32_e64 v54, v3, v1, s0
; %bb.129:                              ;   in Loop: Header=BB172_33 Depth=1
	s_or_b32 exec_lo, exec_lo, s6
	v_lshlrev_b32_e32 v1, 16, v55
                                        ; implicit-def: $vgpr55
	s_delay_alu instid0(VALU_DEP_1) | instskip(NEXT) | instid1(VALU_DEP_1)
	v_mul_f32_e32 v1, v47, v1
	v_and_b32_e32 v2, 0x7f800000, v1
	s_delay_alu instid0(VALU_DEP_1) | instskip(NEXT) | instid1(VALU_DEP_1)
	v_cmp_ne_u32_e64 s0, 0x7f800000, v2
	s_and_saveexec_b32 s6, s0
	s_delay_alu instid0(SALU_CYCLE_1)
	s_xor_b32 s0, exec_lo, s6
; %bb.130:                              ;   in Loop: Header=BB172_33 Depth=1
	v_bfe_u32 v2, v1, 16, 1
	s_delay_alu instid0(VALU_DEP_1)
	v_add3_u32 v55, v1, v2, 0x7fff
                                        ; implicit-def: $vgpr1
; %bb.131:                              ;   in Loop: Header=BB172_33 Depth=1
	s_and_not1_saveexec_b32 s6, s0
; %bb.132:                              ;   in Loop: Header=BB172_33 Depth=1
	v_and_b32_e32 v2, 0xffff, v1
	v_or_b32_e32 v3, 0x10000, v1
	s_delay_alu instid0(VALU_DEP_2) | instskip(NEXT) | instid1(VALU_DEP_1)
	v_cmp_eq_u32_e64 s0, 0, v2
	v_cndmask_b32_e64 v55, v3, v1, s0
; %bb.133:                              ;   in Loop: Header=BB172_33 Depth=1
	s_or_b32 exec_lo, exec_lo, s6
	global_load_b128 v[1:4], v[5:6], off offset:1024
	s_waitcnt vmcnt(0)
	v_lshrrev_b32_e32 v57, 16, v1
	v_lshrrev_b32_e32 v59, 16, v2
	;; [unrolled: 1-line block ×4, first 2 shown]
	s_and_saveexec_b32 s6, vcc_lo
	s_cbranch_execz .LBB172_135
; %bb.134:                              ;   in Loop: Header=BB172_33 Depth=1
	v_cmp_gt_i32_e64 s0, s30, v32
	s_delay_alu instid0(VALU_DEP_1) | instskip(SKIP_1) | instid1(VALU_DEP_1)
	v_cndmask_b32_e64 v1, 0, v1, s0
	v_cmp_gt_i32_e64 s0, s30, v39
	v_cndmask_b32_e64 v57, 0, v57, s0
	v_cmp_gt_i32_e64 s0, s30, v37
	s_delay_alu instid0(VALU_DEP_1) | instskip(SKIP_1) | instid1(VALU_DEP_1)
	v_cndmask_b32_e64 v2, 0, v2, s0
	v_cmp_gt_i32_e64 s0, s30, v36
	v_cndmask_b32_e64 v59, 0, v59, s0
	;; [unrolled: 5-line block ×4, first 2 shown]
.LBB172_135:                            ;   in Loop: Header=BB172_33 Depth=1
	s_or_b32 exec_lo, exec_lo, s6
	v_lshlrev_b32_e32 v1, 16, v1
	s_delay_alu instid0(VALU_DEP_1) | instskip(NEXT) | instid1(VALU_DEP_1)
	v_mul_f32_e32 v1, v40, v1
	v_and_b32_e32 v56, 0x7f800000, v1
	s_delay_alu instid0(VALU_DEP_1) | instskip(NEXT) | instid1(VALU_DEP_1)
	v_cmp_ne_u32_e64 s0, 0x7f800000, v56
                                        ; implicit-def: $vgpr56
	s_and_saveexec_b32 s6, s0
	s_delay_alu instid0(SALU_CYCLE_1)
	s_xor_b32 s0, exec_lo, s6
; %bb.136:                              ;   in Loop: Header=BB172_33 Depth=1
	v_bfe_u32 v56, v1, 16, 1
	s_delay_alu instid0(VALU_DEP_1)
	v_add3_u32 v56, v1, v56, 0x7fff
                                        ; implicit-def: $vgpr1
; %bb.137:                              ;   in Loop: Header=BB172_33 Depth=1
	s_and_not1_saveexec_b32 s6, s0
; %bb.138:                              ;   in Loop: Header=BB172_33 Depth=1
	v_and_b32_e32 v56, 0xffff, v1
	v_or_b32_e32 v58, 0x10000, v1
	s_delay_alu instid0(VALU_DEP_2) | instskip(NEXT) | instid1(VALU_DEP_1)
	v_cmp_eq_u32_e64 s0, 0, v56
	v_cndmask_b32_e64 v56, v58, v1, s0
; %bb.139:                              ;   in Loop: Header=BB172_33 Depth=1
	s_or_b32 exec_lo, exec_lo, s6
	v_lshlrev_b32_e32 v1, 16, v57
	s_delay_alu instid0(VALU_DEP_1) | instskip(NEXT) | instid1(VALU_DEP_1)
	v_mul_f32_e32 v1, v41, v1
	v_and_b32_e32 v57, 0x7f800000, v1
	s_delay_alu instid0(VALU_DEP_1) | instskip(NEXT) | instid1(VALU_DEP_1)
	v_cmp_ne_u32_e64 s0, 0x7f800000, v57
                                        ; implicit-def: $vgpr57
	s_and_saveexec_b32 s6, s0
	s_delay_alu instid0(SALU_CYCLE_1)
	s_xor_b32 s0, exec_lo, s6
; %bb.140:                              ;   in Loop: Header=BB172_33 Depth=1
	v_bfe_u32 v57, v1, 16, 1
	s_delay_alu instid0(VALU_DEP_1)
	v_add3_u32 v57, v1, v57, 0x7fff
                                        ; implicit-def: $vgpr1
; %bb.141:                              ;   in Loop: Header=BB172_33 Depth=1
	s_and_not1_saveexec_b32 s6, s0
; %bb.142:                              ;   in Loop: Header=BB172_33 Depth=1
	v_and_b32_e32 v57, 0xffff, v1
	v_or_b32_e32 v58, 0x10000, v1
	s_delay_alu instid0(VALU_DEP_2) | instskip(NEXT) | instid1(VALU_DEP_1)
	v_cmp_eq_u32_e64 s0, 0, v57
	v_cndmask_b32_e64 v57, v58, v1, s0
; %bb.143:                              ;   in Loop: Header=BB172_33 Depth=1
	s_or_b32 exec_lo, exec_lo, s6
	v_lshlrev_b32_e32 v1, 16, v2
                                        ; implicit-def: $vgpr58
	s_delay_alu instid0(VALU_DEP_1) | instskip(NEXT) | instid1(VALU_DEP_1)
	v_mul_f32_e32 v1, v42, v1
	v_and_b32_e32 v2, 0x7f800000, v1
	s_delay_alu instid0(VALU_DEP_1) | instskip(NEXT) | instid1(VALU_DEP_1)
	v_cmp_ne_u32_e64 s0, 0x7f800000, v2
	s_and_saveexec_b32 s6, s0
	s_delay_alu instid0(SALU_CYCLE_1)
	s_xor_b32 s0, exec_lo, s6
; %bb.144:                              ;   in Loop: Header=BB172_33 Depth=1
	v_bfe_u32 v2, v1, 16, 1
	s_delay_alu instid0(VALU_DEP_1)
	v_add3_u32 v58, v1, v2, 0x7fff
                                        ; implicit-def: $vgpr1
; %bb.145:                              ;   in Loop: Header=BB172_33 Depth=1
	s_and_not1_saveexec_b32 s6, s0
; %bb.146:                              ;   in Loop: Header=BB172_33 Depth=1
	v_and_b32_e32 v2, 0xffff, v1
	v_or_b32_e32 v58, 0x10000, v1
	s_delay_alu instid0(VALU_DEP_2) | instskip(NEXT) | instid1(VALU_DEP_1)
	v_cmp_eq_u32_e64 s0, 0, v2
	v_cndmask_b32_e64 v58, v58, v1, s0
; %bb.147:                              ;   in Loop: Header=BB172_33 Depth=1
	s_or_b32 exec_lo, exec_lo, s6
	v_lshlrev_b32_e32 v1, 16, v59
                                        ; implicit-def: $vgpr59
	s_delay_alu instid0(VALU_DEP_1) | instskip(NEXT) | instid1(VALU_DEP_1)
	v_mul_f32_e32 v1, v43, v1
	v_and_b32_e32 v2, 0x7f800000, v1
	s_delay_alu instid0(VALU_DEP_1) | instskip(NEXT) | instid1(VALU_DEP_1)
	v_cmp_ne_u32_e64 s0, 0x7f800000, v2
	s_and_saveexec_b32 s6, s0
	s_delay_alu instid0(SALU_CYCLE_1)
	s_xor_b32 s0, exec_lo, s6
; %bb.148:                              ;   in Loop: Header=BB172_33 Depth=1
	v_bfe_u32 v2, v1, 16, 1
	s_delay_alu instid0(VALU_DEP_1)
	v_add3_u32 v59, v1, v2, 0x7fff
                                        ; implicit-def: $vgpr1
; %bb.149:                              ;   in Loop: Header=BB172_33 Depth=1
	s_and_not1_saveexec_b32 s6, s0
; %bb.150:                              ;   in Loop: Header=BB172_33 Depth=1
	v_and_b32_e32 v2, 0xffff, v1
	v_or_b32_e32 v59, 0x10000, v1
	s_delay_alu instid0(VALU_DEP_2) | instskip(NEXT) | instid1(VALU_DEP_1)
	v_cmp_eq_u32_e64 s0, 0, v2
	v_cndmask_b32_e64 v59, v59, v1, s0
; %bb.151:                              ;   in Loop: Header=BB172_33 Depth=1
	s_or_b32 exec_lo, exec_lo, s6
	v_lshlrev_b32_e32 v1, 16, v3
                                        ; implicit-def: $vgpr60
	s_delay_alu instid0(VALU_DEP_1) | instskip(NEXT) | instid1(VALU_DEP_1)
	v_mul_f32_e32 v1, v44, v1
	v_and_b32_e32 v2, 0x7f800000, v1
	s_delay_alu instid0(VALU_DEP_1) | instskip(NEXT) | instid1(VALU_DEP_1)
	v_cmp_ne_u32_e64 s0, 0x7f800000, v2
	s_and_saveexec_b32 s6, s0
	s_delay_alu instid0(SALU_CYCLE_1)
	s_xor_b32 s0, exec_lo, s6
; %bb.152:                              ;   in Loop: Header=BB172_33 Depth=1
	v_bfe_u32 v2, v1, 16, 1
	s_delay_alu instid0(VALU_DEP_1)
	v_add3_u32 v60, v1, v2, 0x7fff
                                        ; implicit-def: $vgpr1
; %bb.153:                              ;   in Loop: Header=BB172_33 Depth=1
	s_and_not1_saveexec_b32 s6, s0
; %bb.154:                              ;   in Loop: Header=BB172_33 Depth=1
	v_and_b32_e32 v2, 0xffff, v1
	v_or_b32_e32 v3, 0x10000, v1
	s_delay_alu instid0(VALU_DEP_2) | instskip(NEXT) | instid1(VALU_DEP_1)
	v_cmp_eq_u32_e64 s0, 0, v2
	v_cndmask_b32_e64 v60, v3, v1, s0
; %bb.155:                              ;   in Loop: Header=BB172_33 Depth=1
	s_or_b32 exec_lo, exec_lo, s6
	v_lshlrev_b32_e32 v1, 16, v61
                                        ; implicit-def: $vgpr61
	s_delay_alu instid0(VALU_DEP_1) | instskip(NEXT) | instid1(VALU_DEP_1)
	v_mul_f32_e32 v1, v45, v1
	v_and_b32_e32 v2, 0x7f800000, v1
	s_delay_alu instid0(VALU_DEP_1) | instskip(NEXT) | instid1(VALU_DEP_1)
	v_cmp_ne_u32_e64 s0, 0x7f800000, v2
	s_and_saveexec_b32 s6, s0
	s_delay_alu instid0(SALU_CYCLE_1)
	s_xor_b32 s0, exec_lo, s6
; %bb.156:                              ;   in Loop: Header=BB172_33 Depth=1
	v_bfe_u32 v2, v1, 16, 1
	s_delay_alu instid0(VALU_DEP_1)
	v_add3_u32 v61, v1, v2, 0x7fff
                                        ; implicit-def: $vgpr1
; %bb.157:                              ;   in Loop: Header=BB172_33 Depth=1
	s_and_not1_saveexec_b32 s6, s0
; %bb.158:                              ;   in Loop: Header=BB172_33 Depth=1
	v_and_b32_e32 v2, 0xffff, v1
	v_or_b32_e32 v3, 0x10000, v1
	s_delay_alu instid0(VALU_DEP_2) | instskip(NEXT) | instid1(VALU_DEP_1)
	v_cmp_eq_u32_e64 s0, 0, v2
	v_cndmask_b32_e64 v61, v3, v1, s0
; %bb.159:                              ;   in Loop: Header=BB172_33 Depth=1
	s_or_b32 exec_lo, exec_lo, s6
	v_lshlrev_b32_e32 v1, 16, v4
                                        ; implicit-def: $vgpr62
	s_delay_alu instid0(VALU_DEP_1) | instskip(NEXT) | instid1(VALU_DEP_1)
	v_mul_f32_e32 v1, v46, v1
	v_and_b32_e32 v2, 0x7f800000, v1
	s_delay_alu instid0(VALU_DEP_1) | instskip(NEXT) | instid1(VALU_DEP_1)
	v_cmp_ne_u32_e64 s0, 0x7f800000, v2
	s_and_saveexec_b32 s6, s0
	s_delay_alu instid0(SALU_CYCLE_1)
	s_xor_b32 s0, exec_lo, s6
; %bb.160:                              ;   in Loop: Header=BB172_33 Depth=1
	v_bfe_u32 v2, v1, 16, 1
	s_delay_alu instid0(VALU_DEP_1)
	v_add3_u32 v62, v1, v2, 0x7fff
                                        ; implicit-def: $vgpr1
; %bb.161:                              ;   in Loop: Header=BB172_33 Depth=1
	s_and_not1_saveexec_b32 s6, s0
; %bb.162:                              ;   in Loop: Header=BB172_33 Depth=1
	v_and_b32_e32 v2, 0xffff, v1
	v_or_b32_e32 v3, 0x10000, v1
	s_delay_alu instid0(VALU_DEP_2) | instskip(NEXT) | instid1(VALU_DEP_1)
	v_cmp_eq_u32_e64 s0, 0, v2
	v_cndmask_b32_e64 v62, v3, v1, s0
; %bb.163:                              ;   in Loop: Header=BB172_33 Depth=1
	s_or_b32 exec_lo, exec_lo, s6
	v_lshlrev_b32_e32 v1, 16, v63
                                        ; implicit-def: $vgpr63
	s_delay_alu instid0(VALU_DEP_1) | instskip(NEXT) | instid1(VALU_DEP_1)
	v_mul_f32_e32 v1, v47, v1
	v_and_b32_e32 v2, 0x7f800000, v1
	s_delay_alu instid0(VALU_DEP_1) | instskip(NEXT) | instid1(VALU_DEP_1)
	v_cmp_ne_u32_e64 s0, 0x7f800000, v2
	s_and_saveexec_b32 s6, s0
	s_delay_alu instid0(SALU_CYCLE_1)
	s_xor_b32 s0, exec_lo, s6
; %bb.164:                              ;   in Loop: Header=BB172_33 Depth=1
	v_bfe_u32 v2, v1, 16, 1
	s_delay_alu instid0(VALU_DEP_1)
	v_add3_u32 v63, v1, v2, 0x7fff
                                        ; implicit-def: $vgpr1
; %bb.165:                              ;   in Loop: Header=BB172_33 Depth=1
	s_and_not1_saveexec_b32 s6, s0
; %bb.166:                              ;   in Loop: Header=BB172_33 Depth=1
	v_and_b32_e32 v2, 0xffff, v1
	v_or_b32_e32 v3, 0x10000, v1
	s_delay_alu instid0(VALU_DEP_2) | instskip(NEXT) | instid1(VALU_DEP_1)
	v_cmp_eq_u32_e64 s0, 0, v2
	v_cndmask_b32_e64 v63, v3, v1, s0
; %bb.167:                              ;   in Loop: Header=BB172_33 Depth=1
	s_or_b32 exec_lo, exec_lo, s6
	global_load_b128 v[1:4], v[5:6], off offset:1536
	s_waitcnt vmcnt(0)
	v_lshrrev_b32_e32 v65, 16, v1
	v_lshrrev_b32_e32 v67, 16, v2
	;; [unrolled: 1-line block ×4, first 2 shown]
	s_and_saveexec_b32 s6, vcc_lo
	s_cbranch_execz .LBB172_169
; %bb.168:                              ;   in Loop: Header=BB172_33 Depth=1
	v_cmp_gt_i32_e64 s0, s30, v32
	s_delay_alu instid0(VALU_DEP_1) | instskip(SKIP_1) | instid1(VALU_DEP_1)
	v_cndmask_b32_e64 v1, 0, v1, s0
	v_cmp_gt_i32_e64 s0, s30, v39
	v_cndmask_b32_e64 v65, 0, v65, s0
	v_cmp_gt_i32_e64 s0, s30, v37
	s_delay_alu instid0(VALU_DEP_1) | instskip(SKIP_1) | instid1(VALU_DEP_1)
	v_cndmask_b32_e64 v2, 0, v2, s0
	v_cmp_gt_i32_e64 s0, s30, v36
	v_cndmask_b32_e64 v67, 0, v67, s0
	;; [unrolled: 5-line block ×4, first 2 shown]
.LBB172_169:                            ;   in Loop: Header=BB172_33 Depth=1
	s_or_b32 exec_lo, exec_lo, s6
	v_lshlrev_b32_e32 v1, 16, v1
	s_delay_alu instid0(VALU_DEP_1) | instskip(NEXT) | instid1(VALU_DEP_1)
	v_mul_f32_e32 v1, v40, v1
	v_and_b32_e32 v64, 0x7f800000, v1
	s_delay_alu instid0(VALU_DEP_1) | instskip(NEXT) | instid1(VALU_DEP_1)
	v_cmp_ne_u32_e64 s0, 0x7f800000, v64
                                        ; implicit-def: $vgpr64
	s_and_saveexec_b32 s6, s0
	s_delay_alu instid0(SALU_CYCLE_1)
	s_xor_b32 s0, exec_lo, s6
; %bb.170:                              ;   in Loop: Header=BB172_33 Depth=1
	v_bfe_u32 v64, v1, 16, 1
	s_delay_alu instid0(VALU_DEP_1)
	v_add3_u32 v64, v1, v64, 0x7fff
                                        ; implicit-def: $vgpr1
; %bb.171:                              ;   in Loop: Header=BB172_33 Depth=1
	s_and_not1_saveexec_b32 s6, s0
; %bb.172:                              ;   in Loop: Header=BB172_33 Depth=1
	v_and_b32_e32 v64, 0xffff, v1
	v_or_b32_e32 v66, 0x10000, v1
	s_delay_alu instid0(VALU_DEP_2) | instskip(NEXT) | instid1(VALU_DEP_1)
	v_cmp_eq_u32_e64 s0, 0, v64
	v_cndmask_b32_e64 v64, v66, v1, s0
; %bb.173:                              ;   in Loop: Header=BB172_33 Depth=1
	s_or_b32 exec_lo, exec_lo, s6
	v_lshlrev_b32_e32 v1, 16, v65
	s_delay_alu instid0(VALU_DEP_1) | instskip(NEXT) | instid1(VALU_DEP_1)
	v_mul_f32_e32 v1, v41, v1
	v_and_b32_e32 v65, 0x7f800000, v1
	s_delay_alu instid0(VALU_DEP_1) | instskip(NEXT) | instid1(VALU_DEP_1)
	v_cmp_ne_u32_e64 s0, 0x7f800000, v65
                                        ; implicit-def: $vgpr65
	s_and_saveexec_b32 s6, s0
	s_delay_alu instid0(SALU_CYCLE_1)
	s_xor_b32 s0, exec_lo, s6
; %bb.174:                              ;   in Loop: Header=BB172_33 Depth=1
	v_bfe_u32 v65, v1, 16, 1
	s_delay_alu instid0(VALU_DEP_1)
	v_add3_u32 v65, v1, v65, 0x7fff
                                        ; implicit-def: $vgpr1
; %bb.175:                              ;   in Loop: Header=BB172_33 Depth=1
	s_and_not1_saveexec_b32 s6, s0
; %bb.176:                              ;   in Loop: Header=BB172_33 Depth=1
	v_and_b32_e32 v65, 0xffff, v1
	v_or_b32_e32 v66, 0x10000, v1
	s_delay_alu instid0(VALU_DEP_2) | instskip(NEXT) | instid1(VALU_DEP_1)
	v_cmp_eq_u32_e64 s0, 0, v65
	v_cndmask_b32_e64 v65, v66, v1, s0
; %bb.177:                              ;   in Loop: Header=BB172_33 Depth=1
	s_or_b32 exec_lo, exec_lo, s6
	v_lshlrev_b32_e32 v1, 16, v2
                                        ; implicit-def: $vgpr66
	s_delay_alu instid0(VALU_DEP_1) | instskip(NEXT) | instid1(VALU_DEP_1)
	v_mul_f32_e32 v1, v42, v1
	v_and_b32_e32 v2, 0x7f800000, v1
	s_delay_alu instid0(VALU_DEP_1) | instskip(NEXT) | instid1(VALU_DEP_1)
	v_cmp_ne_u32_e64 s0, 0x7f800000, v2
	s_and_saveexec_b32 s6, s0
	s_delay_alu instid0(SALU_CYCLE_1)
	s_xor_b32 s0, exec_lo, s6
; %bb.178:                              ;   in Loop: Header=BB172_33 Depth=1
	v_bfe_u32 v2, v1, 16, 1
	s_delay_alu instid0(VALU_DEP_1)
	v_add3_u32 v66, v1, v2, 0x7fff
                                        ; implicit-def: $vgpr1
; %bb.179:                              ;   in Loop: Header=BB172_33 Depth=1
	s_and_not1_saveexec_b32 s6, s0
; %bb.180:                              ;   in Loop: Header=BB172_33 Depth=1
	v_and_b32_e32 v2, 0xffff, v1
	v_or_b32_e32 v66, 0x10000, v1
	s_delay_alu instid0(VALU_DEP_2) | instskip(NEXT) | instid1(VALU_DEP_1)
	v_cmp_eq_u32_e64 s0, 0, v2
	v_cndmask_b32_e64 v66, v66, v1, s0
; %bb.181:                              ;   in Loop: Header=BB172_33 Depth=1
	s_or_b32 exec_lo, exec_lo, s6
	v_lshlrev_b32_e32 v1, 16, v67
                                        ; implicit-def: $vgpr67
	s_delay_alu instid0(VALU_DEP_1) | instskip(NEXT) | instid1(VALU_DEP_1)
	v_mul_f32_e32 v1, v43, v1
	v_and_b32_e32 v2, 0x7f800000, v1
	s_delay_alu instid0(VALU_DEP_1) | instskip(NEXT) | instid1(VALU_DEP_1)
	v_cmp_ne_u32_e64 s0, 0x7f800000, v2
	s_and_saveexec_b32 s6, s0
	s_delay_alu instid0(SALU_CYCLE_1)
	s_xor_b32 s0, exec_lo, s6
; %bb.182:                              ;   in Loop: Header=BB172_33 Depth=1
	v_bfe_u32 v2, v1, 16, 1
	s_delay_alu instid0(VALU_DEP_1)
	v_add3_u32 v67, v1, v2, 0x7fff
                                        ; implicit-def: $vgpr1
; %bb.183:                              ;   in Loop: Header=BB172_33 Depth=1
	s_and_not1_saveexec_b32 s6, s0
; %bb.184:                              ;   in Loop: Header=BB172_33 Depth=1
	v_and_b32_e32 v2, 0xffff, v1
	v_or_b32_e32 v67, 0x10000, v1
	s_delay_alu instid0(VALU_DEP_2) | instskip(NEXT) | instid1(VALU_DEP_1)
	v_cmp_eq_u32_e64 s0, 0, v2
	v_cndmask_b32_e64 v67, v67, v1, s0
; %bb.185:                              ;   in Loop: Header=BB172_33 Depth=1
	s_or_b32 exec_lo, exec_lo, s6
	v_lshlrev_b32_e32 v1, 16, v3
                                        ; implicit-def: $vgpr68
	s_delay_alu instid0(VALU_DEP_1) | instskip(NEXT) | instid1(VALU_DEP_1)
	v_mul_f32_e32 v1, v44, v1
	v_and_b32_e32 v2, 0x7f800000, v1
	s_delay_alu instid0(VALU_DEP_1) | instskip(NEXT) | instid1(VALU_DEP_1)
	v_cmp_ne_u32_e64 s0, 0x7f800000, v2
	s_and_saveexec_b32 s6, s0
	s_delay_alu instid0(SALU_CYCLE_1)
	s_xor_b32 s0, exec_lo, s6
; %bb.186:                              ;   in Loop: Header=BB172_33 Depth=1
	v_bfe_u32 v2, v1, 16, 1
	s_delay_alu instid0(VALU_DEP_1)
	v_add3_u32 v68, v1, v2, 0x7fff
                                        ; implicit-def: $vgpr1
; %bb.187:                              ;   in Loop: Header=BB172_33 Depth=1
	s_and_not1_saveexec_b32 s6, s0
; %bb.188:                              ;   in Loop: Header=BB172_33 Depth=1
	v_and_b32_e32 v2, 0xffff, v1
	v_or_b32_e32 v3, 0x10000, v1
	s_delay_alu instid0(VALU_DEP_2) | instskip(NEXT) | instid1(VALU_DEP_1)
	v_cmp_eq_u32_e64 s0, 0, v2
	v_cndmask_b32_e64 v68, v3, v1, s0
; %bb.189:                              ;   in Loop: Header=BB172_33 Depth=1
	s_or_b32 exec_lo, exec_lo, s6
	v_lshlrev_b32_e32 v1, 16, v69
                                        ; implicit-def: $vgpr69
	s_delay_alu instid0(VALU_DEP_1) | instskip(NEXT) | instid1(VALU_DEP_1)
	v_mul_f32_e32 v1, v45, v1
	v_and_b32_e32 v2, 0x7f800000, v1
	s_delay_alu instid0(VALU_DEP_1) | instskip(NEXT) | instid1(VALU_DEP_1)
	v_cmp_ne_u32_e64 s0, 0x7f800000, v2
	s_and_saveexec_b32 s6, s0
	s_delay_alu instid0(SALU_CYCLE_1)
	s_xor_b32 s0, exec_lo, s6
; %bb.190:                              ;   in Loop: Header=BB172_33 Depth=1
	v_bfe_u32 v2, v1, 16, 1
	s_delay_alu instid0(VALU_DEP_1)
	v_add3_u32 v69, v1, v2, 0x7fff
                                        ; implicit-def: $vgpr1
; %bb.191:                              ;   in Loop: Header=BB172_33 Depth=1
	s_and_not1_saveexec_b32 s6, s0
; %bb.192:                              ;   in Loop: Header=BB172_33 Depth=1
	v_and_b32_e32 v2, 0xffff, v1
	v_or_b32_e32 v3, 0x10000, v1
	s_delay_alu instid0(VALU_DEP_2) | instskip(NEXT) | instid1(VALU_DEP_1)
	v_cmp_eq_u32_e64 s0, 0, v2
	v_cndmask_b32_e64 v69, v3, v1, s0
; %bb.193:                              ;   in Loop: Header=BB172_33 Depth=1
	s_or_b32 exec_lo, exec_lo, s6
	v_lshlrev_b32_e32 v1, 16, v4
                                        ; implicit-def: $vgpr70
	s_delay_alu instid0(VALU_DEP_1) | instskip(NEXT) | instid1(VALU_DEP_1)
	v_mul_f32_e32 v1, v46, v1
	v_and_b32_e32 v2, 0x7f800000, v1
	s_delay_alu instid0(VALU_DEP_1) | instskip(NEXT) | instid1(VALU_DEP_1)
	v_cmp_ne_u32_e64 s0, 0x7f800000, v2
	s_and_saveexec_b32 s6, s0
	s_delay_alu instid0(SALU_CYCLE_1)
	s_xor_b32 s0, exec_lo, s6
; %bb.194:                              ;   in Loop: Header=BB172_33 Depth=1
	v_bfe_u32 v2, v1, 16, 1
	s_delay_alu instid0(VALU_DEP_1)
	v_add3_u32 v70, v1, v2, 0x7fff
                                        ; implicit-def: $vgpr1
; %bb.195:                              ;   in Loop: Header=BB172_33 Depth=1
	s_and_not1_saveexec_b32 s6, s0
; %bb.196:                              ;   in Loop: Header=BB172_33 Depth=1
	v_and_b32_e32 v2, 0xffff, v1
	v_or_b32_e32 v3, 0x10000, v1
	s_delay_alu instid0(VALU_DEP_2) | instskip(NEXT) | instid1(VALU_DEP_1)
	v_cmp_eq_u32_e64 s0, 0, v2
	v_cndmask_b32_e64 v70, v3, v1, s0
; %bb.197:                              ;   in Loop: Header=BB172_33 Depth=1
	s_or_b32 exec_lo, exec_lo, s6
	v_lshlrev_b32_e32 v1, 16, v71
                                        ; implicit-def: $vgpr71
	s_delay_alu instid0(VALU_DEP_1) | instskip(NEXT) | instid1(VALU_DEP_1)
	v_mul_f32_e32 v1, v47, v1
	v_and_b32_e32 v2, 0x7f800000, v1
	s_delay_alu instid0(VALU_DEP_1) | instskip(NEXT) | instid1(VALU_DEP_1)
	v_cmp_ne_u32_e64 s0, 0x7f800000, v2
	s_and_saveexec_b32 s6, s0
	s_delay_alu instid0(SALU_CYCLE_1)
	s_xor_b32 s0, exec_lo, s6
; %bb.198:                              ;   in Loop: Header=BB172_33 Depth=1
	v_bfe_u32 v2, v1, 16, 1
	s_delay_alu instid0(VALU_DEP_1)
	v_add3_u32 v71, v1, v2, 0x7fff
                                        ; implicit-def: $vgpr1
; %bb.199:                              ;   in Loop: Header=BB172_33 Depth=1
	s_and_not1_saveexec_b32 s6, s0
; %bb.200:                              ;   in Loop: Header=BB172_33 Depth=1
	v_and_b32_e32 v2, 0xffff, v1
	v_or_b32_e32 v3, 0x10000, v1
	s_delay_alu instid0(VALU_DEP_2) | instskip(NEXT) | instid1(VALU_DEP_1)
	v_cmp_eq_u32_e64 s0, 0, v2
	v_cndmask_b32_e64 v71, v3, v1, s0
; %bb.201:                              ;   in Loop: Header=BB172_33 Depth=1
	s_or_b32 exec_lo, exec_lo, s6
	global_load_b128 v[1:4], v[5:6], off offset:2048
	s_waitcnt vmcnt(0)
	v_lshrrev_b32_e32 v73, 16, v1
	v_lshrrev_b32_e32 v75, 16, v2
	;; [unrolled: 1-line block ×4, first 2 shown]
	s_and_saveexec_b32 s6, vcc_lo
	s_cbranch_execz .LBB172_203
; %bb.202:                              ;   in Loop: Header=BB172_33 Depth=1
	v_cmp_gt_i32_e64 s0, s30, v32
	s_delay_alu instid0(VALU_DEP_1) | instskip(SKIP_1) | instid1(VALU_DEP_1)
	v_cndmask_b32_e64 v1, 0, v1, s0
	v_cmp_gt_i32_e64 s0, s30, v39
	v_cndmask_b32_e64 v73, 0, v73, s0
	v_cmp_gt_i32_e64 s0, s30, v37
	s_delay_alu instid0(VALU_DEP_1) | instskip(SKIP_1) | instid1(VALU_DEP_1)
	v_cndmask_b32_e64 v2, 0, v2, s0
	v_cmp_gt_i32_e64 s0, s30, v36
	v_cndmask_b32_e64 v75, 0, v75, s0
	;; [unrolled: 5-line block ×4, first 2 shown]
.LBB172_203:                            ;   in Loop: Header=BB172_33 Depth=1
	s_or_b32 exec_lo, exec_lo, s6
	v_lshlrev_b32_e32 v1, 16, v1
	s_delay_alu instid0(VALU_DEP_1) | instskip(NEXT) | instid1(VALU_DEP_1)
	v_mul_f32_e32 v1, v40, v1
	v_and_b32_e32 v72, 0x7f800000, v1
	s_delay_alu instid0(VALU_DEP_1) | instskip(NEXT) | instid1(VALU_DEP_1)
	v_cmp_ne_u32_e64 s0, 0x7f800000, v72
                                        ; implicit-def: $vgpr72
	s_and_saveexec_b32 s6, s0
	s_delay_alu instid0(SALU_CYCLE_1)
	s_xor_b32 s0, exec_lo, s6
; %bb.204:                              ;   in Loop: Header=BB172_33 Depth=1
	v_bfe_u32 v72, v1, 16, 1
	s_delay_alu instid0(VALU_DEP_1)
	v_add3_u32 v72, v1, v72, 0x7fff
                                        ; implicit-def: $vgpr1
; %bb.205:                              ;   in Loop: Header=BB172_33 Depth=1
	s_and_not1_saveexec_b32 s6, s0
; %bb.206:                              ;   in Loop: Header=BB172_33 Depth=1
	v_and_b32_e32 v72, 0xffff, v1
	v_or_b32_e32 v74, 0x10000, v1
	s_delay_alu instid0(VALU_DEP_2) | instskip(NEXT) | instid1(VALU_DEP_1)
	v_cmp_eq_u32_e64 s0, 0, v72
	v_cndmask_b32_e64 v72, v74, v1, s0
; %bb.207:                              ;   in Loop: Header=BB172_33 Depth=1
	s_or_b32 exec_lo, exec_lo, s6
	v_lshlrev_b32_e32 v1, 16, v73
	s_delay_alu instid0(VALU_DEP_1) | instskip(NEXT) | instid1(VALU_DEP_1)
	v_mul_f32_e32 v1, v41, v1
	v_and_b32_e32 v73, 0x7f800000, v1
	s_delay_alu instid0(VALU_DEP_1) | instskip(NEXT) | instid1(VALU_DEP_1)
	v_cmp_ne_u32_e64 s0, 0x7f800000, v73
                                        ; implicit-def: $vgpr73
	s_and_saveexec_b32 s6, s0
	s_delay_alu instid0(SALU_CYCLE_1)
	s_xor_b32 s0, exec_lo, s6
; %bb.208:                              ;   in Loop: Header=BB172_33 Depth=1
	v_bfe_u32 v73, v1, 16, 1
	s_delay_alu instid0(VALU_DEP_1)
	v_add3_u32 v73, v1, v73, 0x7fff
                                        ; implicit-def: $vgpr1
; %bb.209:                              ;   in Loop: Header=BB172_33 Depth=1
	s_and_not1_saveexec_b32 s6, s0
; %bb.210:                              ;   in Loop: Header=BB172_33 Depth=1
	v_and_b32_e32 v73, 0xffff, v1
	v_or_b32_e32 v74, 0x10000, v1
	s_delay_alu instid0(VALU_DEP_2) | instskip(NEXT) | instid1(VALU_DEP_1)
	v_cmp_eq_u32_e64 s0, 0, v73
	v_cndmask_b32_e64 v73, v74, v1, s0
; %bb.211:                              ;   in Loop: Header=BB172_33 Depth=1
	s_or_b32 exec_lo, exec_lo, s6
	v_lshlrev_b32_e32 v1, 16, v2
                                        ; implicit-def: $vgpr74
	s_delay_alu instid0(VALU_DEP_1) | instskip(NEXT) | instid1(VALU_DEP_1)
	v_mul_f32_e32 v1, v42, v1
	v_and_b32_e32 v2, 0x7f800000, v1
	s_delay_alu instid0(VALU_DEP_1) | instskip(NEXT) | instid1(VALU_DEP_1)
	v_cmp_ne_u32_e64 s0, 0x7f800000, v2
	s_and_saveexec_b32 s6, s0
	s_delay_alu instid0(SALU_CYCLE_1)
	s_xor_b32 s0, exec_lo, s6
; %bb.212:                              ;   in Loop: Header=BB172_33 Depth=1
	v_bfe_u32 v2, v1, 16, 1
	s_delay_alu instid0(VALU_DEP_1)
	v_add3_u32 v74, v1, v2, 0x7fff
                                        ; implicit-def: $vgpr1
; %bb.213:                              ;   in Loop: Header=BB172_33 Depth=1
	s_and_not1_saveexec_b32 s6, s0
; %bb.214:                              ;   in Loop: Header=BB172_33 Depth=1
	v_and_b32_e32 v2, 0xffff, v1
	v_or_b32_e32 v74, 0x10000, v1
	s_delay_alu instid0(VALU_DEP_2) | instskip(NEXT) | instid1(VALU_DEP_1)
	v_cmp_eq_u32_e64 s0, 0, v2
	v_cndmask_b32_e64 v74, v74, v1, s0
; %bb.215:                              ;   in Loop: Header=BB172_33 Depth=1
	s_or_b32 exec_lo, exec_lo, s6
	v_lshlrev_b32_e32 v1, 16, v75
                                        ; implicit-def: $vgpr75
	s_delay_alu instid0(VALU_DEP_1) | instskip(NEXT) | instid1(VALU_DEP_1)
	v_mul_f32_e32 v1, v43, v1
	v_and_b32_e32 v2, 0x7f800000, v1
	s_delay_alu instid0(VALU_DEP_1) | instskip(NEXT) | instid1(VALU_DEP_1)
	v_cmp_ne_u32_e64 s0, 0x7f800000, v2
	s_and_saveexec_b32 s6, s0
	s_delay_alu instid0(SALU_CYCLE_1)
	s_xor_b32 s0, exec_lo, s6
; %bb.216:                              ;   in Loop: Header=BB172_33 Depth=1
	v_bfe_u32 v2, v1, 16, 1
	s_delay_alu instid0(VALU_DEP_1)
	v_add3_u32 v75, v1, v2, 0x7fff
                                        ; implicit-def: $vgpr1
; %bb.217:                              ;   in Loop: Header=BB172_33 Depth=1
	s_and_not1_saveexec_b32 s6, s0
; %bb.218:                              ;   in Loop: Header=BB172_33 Depth=1
	v_and_b32_e32 v2, 0xffff, v1
	v_or_b32_e32 v75, 0x10000, v1
	s_delay_alu instid0(VALU_DEP_2) | instskip(NEXT) | instid1(VALU_DEP_1)
	v_cmp_eq_u32_e64 s0, 0, v2
	v_cndmask_b32_e64 v75, v75, v1, s0
; %bb.219:                              ;   in Loop: Header=BB172_33 Depth=1
	s_or_b32 exec_lo, exec_lo, s6
	v_lshlrev_b32_e32 v1, 16, v3
                                        ; implicit-def: $vgpr76
	s_delay_alu instid0(VALU_DEP_1) | instskip(NEXT) | instid1(VALU_DEP_1)
	v_mul_f32_e32 v1, v44, v1
	v_and_b32_e32 v2, 0x7f800000, v1
	s_delay_alu instid0(VALU_DEP_1) | instskip(NEXT) | instid1(VALU_DEP_1)
	v_cmp_ne_u32_e64 s0, 0x7f800000, v2
	s_and_saveexec_b32 s6, s0
	s_delay_alu instid0(SALU_CYCLE_1)
	s_xor_b32 s0, exec_lo, s6
; %bb.220:                              ;   in Loop: Header=BB172_33 Depth=1
	v_bfe_u32 v2, v1, 16, 1
	s_delay_alu instid0(VALU_DEP_1)
	v_add3_u32 v76, v1, v2, 0x7fff
                                        ; implicit-def: $vgpr1
; %bb.221:                              ;   in Loop: Header=BB172_33 Depth=1
	s_and_not1_saveexec_b32 s6, s0
; %bb.222:                              ;   in Loop: Header=BB172_33 Depth=1
	v_and_b32_e32 v2, 0xffff, v1
	v_or_b32_e32 v3, 0x10000, v1
	s_delay_alu instid0(VALU_DEP_2) | instskip(NEXT) | instid1(VALU_DEP_1)
	v_cmp_eq_u32_e64 s0, 0, v2
	v_cndmask_b32_e64 v76, v3, v1, s0
; %bb.223:                              ;   in Loop: Header=BB172_33 Depth=1
	s_or_b32 exec_lo, exec_lo, s6
	v_lshlrev_b32_e32 v1, 16, v77
                                        ; implicit-def: $vgpr77
	s_delay_alu instid0(VALU_DEP_1) | instskip(NEXT) | instid1(VALU_DEP_1)
	v_mul_f32_e32 v1, v45, v1
	v_and_b32_e32 v2, 0x7f800000, v1
	s_delay_alu instid0(VALU_DEP_1) | instskip(NEXT) | instid1(VALU_DEP_1)
	v_cmp_ne_u32_e64 s0, 0x7f800000, v2
	s_and_saveexec_b32 s6, s0
	s_delay_alu instid0(SALU_CYCLE_1)
	s_xor_b32 s0, exec_lo, s6
; %bb.224:                              ;   in Loop: Header=BB172_33 Depth=1
	v_bfe_u32 v2, v1, 16, 1
	s_delay_alu instid0(VALU_DEP_1)
	v_add3_u32 v77, v1, v2, 0x7fff
                                        ; implicit-def: $vgpr1
; %bb.225:                              ;   in Loop: Header=BB172_33 Depth=1
	s_and_not1_saveexec_b32 s6, s0
; %bb.226:                              ;   in Loop: Header=BB172_33 Depth=1
	v_and_b32_e32 v2, 0xffff, v1
	v_or_b32_e32 v3, 0x10000, v1
	s_delay_alu instid0(VALU_DEP_2) | instskip(NEXT) | instid1(VALU_DEP_1)
	v_cmp_eq_u32_e64 s0, 0, v2
	v_cndmask_b32_e64 v77, v3, v1, s0
; %bb.227:                              ;   in Loop: Header=BB172_33 Depth=1
	s_or_b32 exec_lo, exec_lo, s6
	v_lshlrev_b32_e32 v1, 16, v4
                                        ; implicit-def: $vgpr78
	s_delay_alu instid0(VALU_DEP_1) | instskip(NEXT) | instid1(VALU_DEP_1)
	v_mul_f32_e32 v1, v46, v1
	v_and_b32_e32 v2, 0x7f800000, v1
	s_delay_alu instid0(VALU_DEP_1) | instskip(NEXT) | instid1(VALU_DEP_1)
	v_cmp_ne_u32_e64 s0, 0x7f800000, v2
	s_and_saveexec_b32 s6, s0
	s_delay_alu instid0(SALU_CYCLE_1)
	s_xor_b32 s0, exec_lo, s6
; %bb.228:                              ;   in Loop: Header=BB172_33 Depth=1
	v_bfe_u32 v2, v1, 16, 1
	s_delay_alu instid0(VALU_DEP_1)
	v_add3_u32 v78, v1, v2, 0x7fff
                                        ; implicit-def: $vgpr1
; %bb.229:                              ;   in Loop: Header=BB172_33 Depth=1
	s_and_not1_saveexec_b32 s6, s0
; %bb.230:                              ;   in Loop: Header=BB172_33 Depth=1
	v_and_b32_e32 v2, 0xffff, v1
	v_or_b32_e32 v3, 0x10000, v1
	s_delay_alu instid0(VALU_DEP_2) | instskip(NEXT) | instid1(VALU_DEP_1)
	v_cmp_eq_u32_e64 s0, 0, v2
	v_cndmask_b32_e64 v78, v3, v1, s0
; %bb.231:                              ;   in Loop: Header=BB172_33 Depth=1
	s_or_b32 exec_lo, exec_lo, s6
	v_lshlrev_b32_e32 v1, 16, v79
                                        ; implicit-def: $vgpr79
	s_delay_alu instid0(VALU_DEP_1) | instskip(NEXT) | instid1(VALU_DEP_1)
	v_mul_f32_e32 v1, v47, v1
	v_and_b32_e32 v2, 0x7f800000, v1
	s_delay_alu instid0(VALU_DEP_1) | instskip(NEXT) | instid1(VALU_DEP_1)
	v_cmp_ne_u32_e64 s0, 0x7f800000, v2
	s_and_saveexec_b32 s6, s0
	s_delay_alu instid0(SALU_CYCLE_1)
	s_xor_b32 s0, exec_lo, s6
; %bb.232:                              ;   in Loop: Header=BB172_33 Depth=1
	v_bfe_u32 v2, v1, 16, 1
	s_delay_alu instid0(VALU_DEP_1)
	v_add3_u32 v79, v1, v2, 0x7fff
                                        ; implicit-def: $vgpr1
; %bb.233:                              ;   in Loop: Header=BB172_33 Depth=1
	s_and_not1_saveexec_b32 s6, s0
; %bb.234:                              ;   in Loop: Header=BB172_33 Depth=1
	v_and_b32_e32 v2, 0xffff, v1
	v_or_b32_e32 v3, 0x10000, v1
	s_delay_alu instid0(VALU_DEP_2) | instskip(NEXT) | instid1(VALU_DEP_1)
	v_cmp_eq_u32_e64 s0, 0, v2
	v_cndmask_b32_e64 v79, v3, v1, s0
; %bb.235:                              ;   in Loop: Header=BB172_33 Depth=1
	s_or_b32 exec_lo, exec_lo, s6
	global_load_b128 v[1:4], v[5:6], off offset:2560
	s_waitcnt vmcnt(0)
	v_lshrrev_b32_e32 v5, 16, v1
	v_lshrrev_b32_e32 v81, 16, v2
	;; [unrolled: 1-line block ×4, first 2 shown]
	s_and_saveexec_b32 s0, vcc_lo
	s_cbranch_execz .LBB172_237
; %bb.236:                              ;   in Loop: Header=BB172_33 Depth=1
	v_cmp_gt_i32_e32 vcc_lo, s30, v32
	v_cndmask_b32_e32 v1, 0, v1, vcc_lo
	v_cmp_gt_i32_e32 vcc_lo, s30, v39
	v_cndmask_b32_e32 v5, 0, v5, vcc_lo
	;; [unrolled: 2-line block ×8, first 2 shown]
.LBB172_237:                            ;   in Loop: Header=BB172_33 Depth=1
	s_or_b32 exec_lo, exec_lo, s0
	v_lshlrev_b32_e32 v1, 16, v1
	s_delay_alu instid0(VALU_DEP_1) | instskip(NEXT) | instid1(VALU_DEP_1)
	v_mul_f32_e32 v32, v40, v1
	v_and_b32_e32 v1, 0x7f800000, v32
	s_delay_alu instid0(VALU_DEP_1) | instskip(SKIP_1) | instid1(SALU_CYCLE_1)
	v_cmp_ne_u32_e32 vcc_lo, 0x7f800000, v1
                                        ; implicit-def: $vgpr1
	s_and_saveexec_b32 s0, vcc_lo
	s_xor_b32 s0, exec_lo, s0
; %bb.238:                              ;   in Loop: Header=BB172_33 Depth=1
	v_bfe_u32 v1, v32, 16, 1
	s_delay_alu instid0(VALU_DEP_1)
	v_add3_u32 v1, v32, v1, 0x7fff
                                        ; implicit-def: $vgpr32
; %bb.239:                              ;   in Loop: Header=BB172_33 Depth=1
	s_and_not1_saveexec_b32 s0, s0
; %bb.240:                              ;   in Loop: Header=BB172_33 Depth=1
	v_and_b32_e32 v1, 0xffff, v32
	v_or_b32_e32 v34, 0x10000, v32
	s_delay_alu instid0(VALU_DEP_2) | instskip(NEXT) | instid1(VALU_DEP_2)
	v_cmp_eq_u32_e32 vcc_lo, 0, v1
	v_cndmask_b32_e32 v1, v34, v32, vcc_lo
; %bb.241:                              ;   in Loop: Header=BB172_33 Depth=1
	s_or_b32 exec_lo, exec_lo, s0
	v_lshlrev_b32_e32 v5, 16, v5
	s_delay_alu instid0(VALU_DEP_1) | instskip(NEXT) | instid1(VALU_DEP_1)
	v_mul_f32_e32 v32, v41, v5
	v_and_b32_e32 v5, 0x7f800000, v32
	s_delay_alu instid0(VALU_DEP_1) | instskip(SKIP_1) | instid1(SALU_CYCLE_1)
	v_cmp_ne_u32_e32 vcc_lo, 0x7f800000, v5
                                        ; implicit-def: $vgpr5
	s_and_saveexec_b32 s0, vcc_lo
	s_xor_b32 s0, exec_lo, s0
; %bb.242:                              ;   in Loop: Header=BB172_33 Depth=1
	v_bfe_u32 v5, v32, 16, 1
	s_delay_alu instid0(VALU_DEP_1)
	v_add3_u32 v5, v32, v5, 0x7fff
                                        ; implicit-def: $vgpr32
; %bb.243:                              ;   in Loop: Header=BB172_33 Depth=1
	s_and_not1_saveexec_b32 s0, s0
; %bb.244:                              ;   in Loop: Header=BB172_33 Depth=1
	v_and_b32_e32 v5, 0xffff, v32
	v_or_b32_e32 v34, 0x10000, v32
	s_delay_alu instid0(VALU_DEP_2) | instskip(NEXT) | instid1(VALU_DEP_2)
	v_cmp_eq_u32_e32 vcc_lo, 0, v5
	v_cndmask_b32_e32 v5, v34, v32, vcc_lo
; %bb.245:                              ;   in Loop: Header=BB172_33 Depth=1
	s_or_b32 exec_lo, exec_lo, s0
	v_lshlrev_b32_e32 v2, 16, v2
	s_delay_alu instid0(VALU_DEP_1) | instskip(NEXT) | instid1(VALU_DEP_1)
	v_mul_f32_e32 v32, v42, v2
	v_and_b32_e32 v2, 0x7f800000, v32
	s_delay_alu instid0(VALU_DEP_1) | instskip(SKIP_1) | instid1(SALU_CYCLE_1)
	v_cmp_ne_u32_e32 vcc_lo, 0x7f800000, v2
                                        ; implicit-def: $vgpr2
	s_and_saveexec_b32 s0, vcc_lo
	s_xor_b32 s0, exec_lo, s0
; %bb.246:                              ;   in Loop: Header=BB172_33 Depth=1
	v_bfe_u32 v2, v32, 16, 1
	s_delay_alu instid0(VALU_DEP_1)
	v_add3_u32 v2, v32, v2, 0x7fff
                                        ; implicit-def: $vgpr32
; %bb.247:                              ;   in Loop: Header=BB172_33 Depth=1
	s_and_not1_saveexec_b32 s0, s0
; %bb.248:                              ;   in Loop: Header=BB172_33 Depth=1
	v_and_b32_e32 v2, 0xffff, v32
	v_or_b32_e32 v34, 0x10000, v32
	s_delay_alu instid0(VALU_DEP_2) | instskip(NEXT) | instid1(VALU_DEP_2)
	v_cmp_eq_u32_e32 vcc_lo, 0, v2
	v_cndmask_b32_e32 v2, v34, v32, vcc_lo
; %bb.249:                              ;   in Loop: Header=BB172_33 Depth=1
	s_or_b32 exec_lo, exec_lo, s0
	v_lshlrev_b32_e32 v32, 16, v81
	s_delay_alu instid0(VALU_DEP_1) | instskip(NEXT) | instid1(VALU_DEP_1)
	v_mul_f32_e32 v34, v43, v32
	v_and_b32_e32 v32, 0x7f800000, v34
	s_delay_alu instid0(VALU_DEP_1) | instskip(SKIP_1) | instid1(SALU_CYCLE_1)
	v_cmp_ne_u32_e32 vcc_lo, 0x7f800000, v32
                                        ; implicit-def: $vgpr32
	s_and_saveexec_b32 s0, vcc_lo
	s_xor_b32 s0, exec_lo, s0
; %bb.250:                              ;   in Loop: Header=BB172_33 Depth=1
	v_bfe_u32 v32, v34, 16, 1
	s_delay_alu instid0(VALU_DEP_1)
	v_add3_u32 v32, v34, v32, 0x7fff
                                        ; implicit-def: $vgpr34
; %bb.251:                              ;   in Loop: Header=BB172_33 Depth=1
	s_and_not1_saveexec_b32 s0, s0
; %bb.252:                              ;   in Loop: Header=BB172_33 Depth=1
	v_and_b32_e32 v32, 0xffff, v34
	v_or_b32_e32 v35, 0x10000, v34
	s_delay_alu instid0(VALU_DEP_2) | instskip(NEXT) | instid1(VALU_DEP_2)
	v_cmp_eq_u32_e32 vcc_lo, 0, v32
	v_cndmask_b32_e32 v32, v35, v34, vcc_lo
; %bb.253:                              ;   in Loop: Header=BB172_33 Depth=1
	s_or_b32 exec_lo, exec_lo, s0
	v_lshlrev_b32_e32 v3, 16, v3
	s_delay_alu instid0(VALU_DEP_1) | instskip(NEXT) | instid1(VALU_DEP_1)
	v_mul_f32_e32 v34, v44, v3
	v_and_b32_e32 v3, 0x7f800000, v34
	s_delay_alu instid0(VALU_DEP_1) | instskip(SKIP_1) | instid1(SALU_CYCLE_1)
	v_cmp_ne_u32_e32 vcc_lo, 0x7f800000, v3
                                        ; implicit-def: $vgpr3
	s_and_saveexec_b32 s0, vcc_lo
	s_xor_b32 s0, exec_lo, s0
; %bb.254:                              ;   in Loop: Header=BB172_33 Depth=1
	v_bfe_u32 v3, v34, 16, 1
	s_delay_alu instid0(VALU_DEP_1)
	v_add3_u32 v3, v34, v3, 0x7fff
                                        ; implicit-def: $vgpr34
; %bb.255:                              ;   in Loop: Header=BB172_33 Depth=1
	s_and_not1_saveexec_b32 s0, s0
; %bb.256:                              ;   in Loop: Header=BB172_33 Depth=1
	v_and_b32_e32 v3, 0xffff, v34
	v_or_b32_e32 v35, 0x10000, v34
	s_delay_alu instid0(VALU_DEP_2) | instskip(NEXT) | instid1(VALU_DEP_2)
	v_cmp_eq_u32_e32 vcc_lo, 0, v3
	v_cndmask_b32_e32 v3, v35, v34, vcc_lo
; %bb.257:                              ;   in Loop: Header=BB172_33 Depth=1
	s_or_b32 exec_lo, exec_lo, s0
	v_lshlrev_b32_e32 v34, 16, v80
	s_delay_alu instid0(VALU_DEP_1) | instskip(NEXT) | instid1(VALU_DEP_1)
	v_mul_f32_e32 v35, v45, v34
	v_and_b32_e32 v34, 0x7f800000, v35
	s_delay_alu instid0(VALU_DEP_1) | instskip(SKIP_1) | instid1(SALU_CYCLE_1)
	v_cmp_ne_u32_e32 vcc_lo, 0x7f800000, v34
                                        ; implicit-def: $vgpr34
	s_and_saveexec_b32 s0, vcc_lo
	s_xor_b32 s0, exec_lo, s0
; %bb.258:                              ;   in Loop: Header=BB172_33 Depth=1
	v_bfe_u32 v34, v35, 16, 1
	s_delay_alu instid0(VALU_DEP_1)
	v_add3_u32 v34, v35, v34, 0x7fff
                                        ; implicit-def: $vgpr35
; %bb.259:                              ;   in Loop: Header=BB172_33 Depth=1
	s_and_not1_saveexec_b32 s0, s0
; %bb.260:                              ;   in Loop: Header=BB172_33 Depth=1
	v_and_b32_e32 v34, 0xffff, v35
	v_or_b32_e32 v36, 0x10000, v35
	s_delay_alu instid0(VALU_DEP_2) | instskip(NEXT) | instid1(VALU_DEP_2)
	v_cmp_eq_u32_e32 vcc_lo, 0, v34
	v_cndmask_b32_e32 v34, v36, v35, vcc_lo
; %bb.261:                              ;   in Loop: Header=BB172_33 Depth=1
	s_or_b32 exec_lo, exec_lo, s0
	v_lshlrev_b32_e32 v4, 16, v4
	s_delay_alu instid0(VALU_DEP_1) | instskip(NEXT) | instid1(VALU_DEP_1)
	v_mul_f32_e32 v35, v46, v4
	v_and_b32_e32 v4, 0x7f800000, v35
	s_delay_alu instid0(VALU_DEP_1) | instskip(SKIP_1) | instid1(SALU_CYCLE_1)
	v_cmp_ne_u32_e32 vcc_lo, 0x7f800000, v4
                                        ; implicit-def: $vgpr4
	s_and_saveexec_b32 s0, vcc_lo
	s_xor_b32 s0, exec_lo, s0
; %bb.262:                              ;   in Loop: Header=BB172_33 Depth=1
	v_bfe_u32 v4, v35, 16, 1
	s_delay_alu instid0(VALU_DEP_1)
	v_add3_u32 v4, v35, v4, 0x7fff
                                        ; implicit-def: $vgpr35
; %bb.263:                              ;   in Loop: Header=BB172_33 Depth=1
	s_and_not1_saveexec_b32 s0, s0
; %bb.264:                              ;   in Loop: Header=BB172_33 Depth=1
	v_and_b32_e32 v4, 0xffff, v35
	v_or_b32_e32 v36, 0x10000, v35
	s_delay_alu instid0(VALU_DEP_2) | instskip(NEXT) | instid1(VALU_DEP_2)
	v_cmp_eq_u32_e32 vcc_lo, 0, v4
	v_cndmask_b32_e32 v4, v36, v35, vcc_lo
; %bb.265:                              ;   in Loop: Header=BB172_33 Depth=1
	s_or_b32 exec_lo, exec_lo, s0
	v_lshlrev_b32_e32 v6, 16, v6
	s_delay_alu instid0(VALU_DEP_1) | instskip(NEXT) | instid1(VALU_DEP_1)
	v_mul_f32_e32 v35, v47, v6
	v_and_b32_e32 v6, 0x7f800000, v35
	s_delay_alu instid0(VALU_DEP_1) | instskip(SKIP_1) | instid1(SALU_CYCLE_1)
	v_cmp_ne_u32_e32 vcc_lo, 0x7f800000, v6
                                        ; implicit-def: $vgpr6
	s_and_saveexec_b32 s0, vcc_lo
	s_xor_b32 s0, exec_lo, s0
; %bb.266:                              ;   in Loop: Header=BB172_33 Depth=1
	v_bfe_u32 v6, v35, 16, 1
	s_delay_alu instid0(VALU_DEP_1)
	v_add3_u32 v6, v35, v6, 0x7fff
                                        ; implicit-def: $vgpr35
; %bb.267:                              ;   in Loop: Header=BB172_33 Depth=1
	s_and_not1_saveexec_b32 s0, s0
	s_cbranch_execz .LBB172_32
; %bb.268:                              ;   in Loop: Header=BB172_33 Depth=1
	v_and_b32_e32 v6, 0xffff, v35
	v_or_b32_e32 v36, 0x10000, v35
	s_delay_alu instid0(VALU_DEP_2) | instskip(NEXT) | instid1(VALU_DEP_2)
	v_cmp_eq_u32_e32 vcc_lo, 0, v6
	v_cndmask_b32_e32 v6, v36, v35, vcc_lo
	s_branch .LBB172_32
.LBB172_269:
	s_or_b32 exec_lo, exec_lo, s3
.LBB172_270:
	s_delay_alu instid0(SALU_CYCLE_1)
	s_or_b32 exec_lo, exec_lo, s1
	ds_bpermute_b32 v1, v16, v18
	ds_bpermute_b32 v2, v16, v22
	;; [unrolled: 1-line block ×6, first 2 shown]
	v_and_b32_e32 v4, 0x3c1, v0
	v_lshrrev_b32_e32 v7, 1, v15
	s_movk_i32 s0, 0x180
	s_waitcnt lgkmcnt(0)
	s_waitcnt_vscnt null, 0x0
	v_mad_u32_u24 v8, v14, s0, 0xe0
	s_barrier
	buffer_gl0_inv
	v_dual_add_f32 v6, v18, v1 :: v_dual_add_f32 v3, v21, v3
	v_cmp_eq_u32_e32 vcc_lo, 64, v4
	v_dual_add_f32 v4, v22, v2 :: v_dual_add_f32 v1, v19, v9
	v_dual_add_f32 v2, v20, v5 :: v_dual_lshlrev_b32 v9, 2, v7
	v_add_f32_e32 v5, v17, v10
	s_and_saveexec_b32 s0, vcc_lo
	s_cbranch_execz .LBB172_272
; %bb.271:
	s_delay_alu instid0(VALU_DEP_2)
	v_add3_u32 v10, v8, v9, 0xfffffd00
	ds_store_2addr_b32 v10, v6, v4 offset1:16
	ds_store_2addr_b32 v10, v3, v2 offset0:32 offset1:48
	ds_store_2addr_b32 v10, v1, v5 offset0:64 offset1:80
.LBB172_272:
	s_or_b32 exec_lo, exec_lo, s0
	v_cmp_eq_u32_e32 vcc_lo, 0, v13
	s_mov_b32 s1, exec_lo
	s_waitcnt lgkmcnt(0)
	s_barrier
	buffer_gl0_inv
	v_cmpx_gt_u32_e32 64, v0
	s_cbranch_execz .LBB172_281
; %bb.273:
	s_and_saveexec_b32 s0, vcc_lo
	s_cbranch_execnz .LBB172_320
; %bb.274:
	s_or_b32 exec_lo, exec_lo, s0
	s_and_saveexec_b32 s0, vcc_lo
	s_cbranch_execnz .LBB172_321
.LBB172_275:
	s_or_b32 exec_lo, exec_lo, s0
	s_and_saveexec_b32 s0, vcc_lo
	s_cbranch_execnz .LBB172_322
.LBB172_276:
	s_or_b32 exec_lo, exec_lo, s0
	s_and_saveexec_b32 s0, vcc_lo
	s_cbranch_execnz .LBB172_323
.LBB172_277:
	s_or_b32 exec_lo, exec_lo, s0
	s_and_saveexec_b32 s0, vcc_lo
	s_cbranch_execnz .LBB172_324
.LBB172_278:
	s_or_b32 exec_lo, exec_lo, s0
	s_and_saveexec_b32 s0, vcc_lo
	s_cbranch_execz .LBB172_280
.LBB172_279:
	v_lshl_add_u32 v10, v7, 2, v8
	ds_load_b32 v10, v10 offset:320
	s_waitcnt lgkmcnt(0)
	v_add_f32_e32 v5, v5, v10
.LBB172_280:
	s_or_b32 exec_lo, exec_lo, s0
.LBB172_281:
	s_delay_alu instid0(SALU_CYCLE_1)
	s_or_b32 exec_lo, exec_lo, s1
	v_and_b32_e32 v10, 0x3e1, v0
	s_mov_b32 s1, exec_lo
	s_barrier
	buffer_gl0_inv
	v_cmpx_eq_u32_e32 32, v10
	s_cbranch_execz .LBB172_283
; %bb.282:
	v_add3_u32 v9, v8, v9, 0xfffffe80
	ds_store_2addr_b32 v9, v6, v4 offset1:16
	ds_store_2addr_b32 v9, v3, v2 offset0:32 offset1:48
	ds_store_2addr_b32 v9, v1, v5 offset0:64 offset1:80
.LBB172_283:
	s_or_b32 exec_lo, exec_lo, s1
	v_cmp_gt_u32_e64 s0, 32, v0
	s_waitcnt lgkmcnt(0)
	s_barrier
	buffer_gl0_inv
	s_and_saveexec_b32 s1, s0
	s_cbranch_execz .LBB172_292
; %bb.284:
	v_lshl_add_u32 v0, v7, 2, v8
	s_and_saveexec_b32 s2, vcc_lo
	s_cbranch_execnz .LBB172_325
; %bb.285:
	s_or_b32 exec_lo, exec_lo, s2
	s_and_saveexec_b32 s2, vcc_lo
	s_cbranch_execnz .LBB172_326
.LBB172_286:
	s_or_b32 exec_lo, exec_lo, s2
	s_and_saveexec_b32 s2, vcc_lo
	s_cbranch_execnz .LBB172_327
.LBB172_287:
	s_or_b32 exec_lo, exec_lo, s2
	s_and_saveexec_b32 s2, vcc_lo
	s_cbranch_execnz .LBB172_328
.LBB172_288:
	s_or_b32 exec_lo, exec_lo, s2
	s_and_saveexec_b32 s2, vcc_lo
	s_cbranch_execnz .LBB172_329
.LBB172_289:
	s_or_b32 exec_lo, exec_lo, s2
	s_and_saveexec_b32 s2, vcc_lo
	s_cbranch_execz .LBB172_291
.LBB172_290:
	ds_load_b32 v0, v0 offset:320
	s_waitcnt lgkmcnt(0)
	v_add_f32_e32 v5, v5, v0
.LBB172_291:
	s_or_b32 exec_lo, exec_lo, s2
.LBB172_292:
	s_delay_alu instid0(SALU_CYCLE_1)
	s_or_b32 exec_lo, exec_lo, s1
	s_barrier
	buffer_gl0_inv
	s_and_saveexec_b32 s1, s0
	s_cbranch_execz .LBB172_319
; %bb.293:
	s_and_b32 exec_lo, exec_lo, vcc_lo
	s_cbranch_execz .LBB172_319
; %bb.294:
	v_and_b32_e32 v0, 0x7f800000, v6
	s_delay_alu instid0(VALU_DEP_1) | instskip(SKIP_1) | instid1(SALU_CYCLE_1)
	v_cmp_ne_u32_e32 vcc_lo, 0x7f800000, v0
                                        ; implicit-def: $vgpr0
	s_and_saveexec_b32 s0, vcc_lo
	s_xor_b32 s0, exec_lo, s0
; %bb.295:
	v_bfe_u32 v0, v6, 16, 1
	s_delay_alu instid0(VALU_DEP_1)
	v_add3_u32 v0, v6, v0, 0x7fff
; %bb.296:
	s_and_not1_saveexec_b32 s0, s0
; %bb.297:
	v_and_b32_e32 v0, 0xffff, v6
	v_or_b32_e32 v7, 0x10000, v6
	s_delay_alu instid0(VALU_DEP_2) | instskip(NEXT) | instid1(VALU_DEP_2)
	v_cmp_eq_u32_e32 vcc_lo, 0, v0
	v_cndmask_b32_e32 v0, v7, v6, vcc_lo
; %bb.298:
	s_or_b32 exec_lo, exec_lo, s0
	s_mul_i32 s0, s4, s14
	s_mul_i32 s2, s4, s16
	;; [unrolled: 1-line block ×3, first 2 shown]
	v_lshlrev_b32_e32 v8, 1, v12
	s_mulk_i32 s0, 0x60
	v_and_b32_e32 v9, 0x7f800000, v4
	s_ashr_i32 s1, s0, 31
	s_delay_alu instid0(SALU_CYCLE_1) | instskip(NEXT) | instid1(SALU_CYCLE_1)
	s_lshl_b64 s[0:1], s[0:1], 1
	s_add_u32 s4, s18, s0
	s_addc_u32 s5, s19, s1
	s_ashr_i32 s3, s2, 31
	s_delay_alu instid0(SALU_CYCLE_1) | instskip(SKIP_4) | instid1(SALU_CYCLE_1)
	s_lshl_b64 s[0:1], s[2:3], 1
	s_mul_i32 s2, s12, 0x60
	s_add_u32 s4, s4, s0
	s_addc_u32 s5, s5, s1
	s_ashr_i32 s3, s2, 31
	s_lshl_b64 s[0:1], s[2:3], 1
	s_delay_alu instid0(SALU_CYCLE_1) | instskip(SKIP_2) | instid1(VALU_DEP_1)
	s_add_u32 s0, s4, s0
	s_addc_u32 s1, s5, s1
	v_add_co_u32 v6, s2, s0, v8
	v_add_co_ci_u32_e64 v7, null, s1, 0, s2
	global_store_d16_hi_b16 v8, v0, s[0:1]
	s_mov_b32 s0, exec_lo
                                        ; implicit-def: $vgpr0
	v_cmpx_ne_u32_e32 0x7f800000, v9
	s_xor_b32 s0, exec_lo, s0
; %bb.299:
	v_bfe_u32 v0, v4, 16, 1
	s_delay_alu instid0(VALU_DEP_1)
	v_add3_u32 v0, v4, v0, 0x7fff
; %bb.300:
	s_and_not1_saveexec_b32 s0, s0
; %bb.301:
	v_and_b32_e32 v0, 0xffff, v4
	v_or_b32_e32 v8, 0x10000, v4
	s_delay_alu instid0(VALU_DEP_2) | instskip(NEXT) | instid1(VALU_DEP_2)
	v_cmp_eq_u32_e32 vcc_lo, 0, v0
	v_cndmask_b32_e32 v0, v8, v4, vcc_lo
; %bb.302:
	s_or_b32 exec_lo, exec_lo, s0
	v_and_b32_e32 v4, 0x7f800000, v3
	s_mov_b32 s0, exec_lo
	global_store_d16_hi_b16 v[6:7], v0, off offset:32
                                        ; implicit-def: $vgpr0
	v_cmpx_ne_u32_e32 0x7f800000, v4
	s_xor_b32 s0, exec_lo, s0
; %bb.303:
	v_bfe_u32 v0, v3, 16, 1
	s_delay_alu instid0(VALU_DEP_1)
	v_add3_u32 v0, v3, v0, 0x7fff
; %bb.304:
	s_and_not1_saveexec_b32 s0, s0
; %bb.305:
	v_and_b32_e32 v0, 0xffff, v3
	v_or_b32_e32 v4, 0x10000, v3
	s_delay_alu instid0(VALU_DEP_2) | instskip(NEXT) | instid1(VALU_DEP_2)
	v_cmp_eq_u32_e32 vcc_lo, 0, v0
	v_cndmask_b32_e32 v0, v4, v3, vcc_lo
; %bb.306:
	s_or_b32 exec_lo, exec_lo, s0
	v_and_b32_e32 v3, 0x7f800000, v2
	s_mov_b32 s0, exec_lo
	global_store_d16_hi_b16 v[6:7], v0, off offset:64
	;; [unrolled: 20-line block ×4, first 2 shown]
                                        ; implicit-def: $vgpr8
	v_cmpx_ne_u32_e32 0x7f800000, v1
	s_xor_b32 s0, exec_lo, s0
; %bb.315:
	v_bfe_u32 v0, v5, 16, 1
	s_delay_alu instid0(VALU_DEP_1)
	v_add3_u32 v8, v5, v0, 0x7fff
                                        ; implicit-def: $vgpr0_vgpr1_vgpr2_vgpr3_vgpr4_vgpr5
; %bb.316:
	s_and_not1_saveexec_b32 s0, s0
; %bb.317:
	v_and_b32_e32 v0, 0xffff, v5
	v_or_b32_e32 v1, 0x10000, v5
	s_delay_alu instid0(VALU_DEP_2) | instskip(NEXT) | instid1(VALU_DEP_2)
	v_cmp_eq_u32_e32 vcc_lo, 0, v0
	v_cndmask_b32_e32 v8, v1, v5, vcc_lo
; %bb.318:
	s_or_b32 exec_lo, exec_lo, s0
	global_store_d16_hi_b16 v[6:7], v8, off offset:160
.LBB172_319:
	s_nop 0
	s_sendmsg sendmsg(MSG_DEALLOC_VGPRS)
	s_endpgm
.LBB172_320:
	v_lshl_add_u32 v10, v7, 2, v8
	ds_load_b32 v10, v10
	s_waitcnt lgkmcnt(0)
	v_add_f32_e32 v6, v6, v10
	s_or_b32 exec_lo, exec_lo, s0
	s_and_saveexec_b32 s0, vcc_lo
	s_cbranch_execz .LBB172_275
.LBB172_321:
	v_lshl_add_u32 v10, v7, 2, v8
	ds_load_b32 v10, v10 offset:64
	s_waitcnt lgkmcnt(0)
	v_add_f32_e32 v4, v4, v10
	s_or_b32 exec_lo, exec_lo, s0
	s_and_saveexec_b32 s0, vcc_lo
	s_cbranch_execz .LBB172_276
.LBB172_322:
	v_lshl_add_u32 v10, v7, 2, v8
	ds_load_b32 v10, v10 offset:128
	s_waitcnt lgkmcnt(0)
	v_add_f32_e32 v3, v3, v10
	s_or_b32 exec_lo, exec_lo, s0
	s_and_saveexec_b32 s0, vcc_lo
	s_cbranch_execz .LBB172_277
.LBB172_323:
	v_lshl_add_u32 v10, v7, 2, v8
	ds_load_b32 v10, v10 offset:192
	s_waitcnt lgkmcnt(0)
	v_add_f32_e32 v2, v2, v10
	s_or_b32 exec_lo, exec_lo, s0
	s_and_saveexec_b32 s0, vcc_lo
	s_cbranch_execz .LBB172_278
.LBB172_324:
	v_lshl_add_u32 v10, v7, 2, v8
	ds_load_b32 v10, v10 offset:256
	s_waitcnt lgkmcnt(0)
	v_add_f32_e32 v1, v1, v10
	s_or_b32 exec_lo, exec_lo, s0
	s_and_saveexec_b32 s0, vcc_lo
	s_cbranch_execnz .LBB172_279
	s_branch .LBB172_280
.LBB172_325:
	ds_load_b32 v7, v0
	s_waitcnt lgkmcnt(0)
	v_add_f32_e32 v6, v6, v7
	s_or_b32 exec_lo, exec_lo, s2
	s_and_saveexec_b32 s2, vcc_lo
	s_cbranch_execz .LBB172_286
.LBB172_326:
	ds_load_b32 v7, v0 offset:64
	s_waitcnt lgkmcnt(0)
	v_add_f32_e32 v4, v4, v7
	s_or_b32 exec_lo, exec_lo, s2
	s_and_saveexec_b32 s2, vcc_lo
	s_cbranch_execz .LBB172_287
.LBB172_327:
	ds_load_b32 v7, v0 offset:128
	s_waitcnt lgkmcnt(0)
	v_add_f32_e32 v3, v3, v7
	s_or_b32 exec_lo, exec_lo, s2
	s_and_saveexec_b32 s2, vcc_lo
	s_cbranch_execz .LBB172_288
.LBB172_328:
	ds_load_b32 v7, v0 offset:192
	s_waitcnt lgkmcnt(0)
	v_add_f32_e32 v2, v2, v7
	s_or_b32 exec_lo, exec_lo, s2
	s_and_saveexec_b32 s2, vcc_lo
	s_cbranch_execz .LBB172_289
.LBB172_329:
	ds_load_b32 v7, v0 offset:256
	s_waitcnt lgkmcnt(0)
	v_add_f32_e32 v1, v1, v7
	s_or_b32 exec_lo, exec_lo, s2
	s_and_saveexec_b32 s2, vcc_lo
	s_cbranch_execnz .LBB172_290
	s_branch .LBB172_291
	.section	.rodata,"a",@progbits
	.p2align	6, 0x0
	.amdhsa_kernel _ZN4vllm25paged_attention_v2_kernelI14__hip_bfloat16S1_Li96ELi16ELi128ELNS_18Fp8KVCacheDataTypeE0ELb0ELi512EEEvPfS3_PT_PKS4_PKT0_SA_ifPKiSC_iPKfiiiSE_SE_iiiii
		.amdhsa_group_segment_fixed_size 224
		.amdhsa_private_segment_fixed_size 0
		.amdhsa_kernarg_size 400
		.amdhsa_user_sgpr_count 13
		.amdhsa_user_sgpr_dispatch_ptr 0
		.amdhsa_user_sgpr_queue_ptr 0
		.amdhsa_user_sgpr_kernarg_segment_ptr 1
		.amdhsa_user_sgpr_dispatch_id 0
		.amdhsa_user_sgpr_private_segment_size 0
		.amdhsa_wavefront_size32 1
		.amdhsa_uses_dynamic_stack 0
		.amdhsa_enable_private_segment 0
		.amdhsa_system_sgpr_workgroup_id_x 1
		.amdhsa_system_sgpr_workgroup_id_y 1
		.amdhsa_system_sgpr_workgroup_id_z 1
		.amdhsa_system_sgpr_workgroup_info 0
		.amdhsa_system_vgpr_workitem_id 0
		.amdhsa_next_free_vgpr 109
		.amdhsa_next_free_sgpr 38
		.amdhsa_reserve_vcc 1
		.amdhsa_float_round_mode_32 0
		.amdhsa_float_round_mode_16_64 0
		.amdhsa_float_denorm_mode_32 3
		.amdhsa_float_denorm_mode_16_64 3
		.amdhsa_dx10_clamp 1
		.amdhsa_ieee_mode 1
		.amdhsa_fp16_overflow 0
		.amdhsa_workgroup_processor_mode 1
		.amdhsa_memory_ordered 1
		.amdhsa_forward_progress 0
		.amdhsa_shared_vgpr_count 0
		.amdhsa_exception_fp_ieee_invalid_op 0
		.amdhsa_exception_fp_denorm_src 0
		.amdhsa_exception_fp_ieee_div_zero 0
		.amdhsa_exception_fp_ieee_overflow 0
		.amdhsa_exception_fp_ieee_underflow 0
		.amdhsa_exception_fp_ieee_inexact 0
		.amdhsa_exception_int_div_zero 0
	.end_amdhsa_kernel
	.section	.text._ZN4vllm25paged_attention_v2_kernelI14__hip_bfloat16S1_Li96ELi16ELi128ELNS_18Fp8KVCacheDataTypeE0ELb0ELi512EEEvPfS3_PT_PKS4_PKT0_SA_ifPKiSC_iPKfiiiSE_SE_iiiii,"axG",@progbits,_ZN4vllm25paged_attention_v2_kernelI14__hip_bfloat16S1_Li96ELi16ELi128ELNS_18Fp8KVCacheDataTypeE0ELb0ELi512EEEvPfS3_PT_PKS4_PKT0_SA_ifPKiSC_iPKfiiiSE_SE_iiiii,comdat
.Lfunc_end172:
	.size	_ZN4vllm25paged_attention_v2_kernelI14__hip_bfloat16S1_Li96ELi16ELi128ELNS_18Fp8KVCacheDataTypeE0ELb0ELi512EEEvPfS3_PT_PKS4_PKT0_SA_ifPKiSC_iPKfiiiSE_SE_iiiii, .Lfunc_end172-_ZN4vllm25paged_attention_v2_kernelI14__hip_bfloat16S1_Li96ELi16ELi128ELNS_18Fp8KVCacheDataTypeE0ELb0ELi512EEEvPfS3_PT_PKS4_PKT0_SA_ifPKiSC_iPKfiiiSE_SE_iiiii
                                        ; -- End function
	.section	.AMDGPU.csdata,"",@progbits
; Kernel info:
; codeLenInByte = 13092
; NumSgprs: 40
; NumVgprs: 109
; ScratchSize: 0
; MemoryBound: 0
; FloatMode: 240
; IeeeMode: 1
; LDSByteSize: 224 bytes/workgroup (compile time only)
; SGPRBlocks: 4
; VGPRBlocks: 13
; NumSGPRsForWavesPerEU: 40
; NumVGPRsForWavesPerEU: 109
; Occupancy: 12
; WaveLimiterHint : 1
; COMPUTE_PGM_RSRC2:SCRATCH_EN: 0
; COMPUTE_PGM_RSRC2:USER_SGPR: 13
; COMPUTE_PGM_RSRC2:TRAP_HANDLER: 0
; COMPUTE_PGM_RSRC2:TGID_X_EN: 1
; COMPUTE_PGM_RSRC2:TGID_Y_EN: 1
; COMPUTE_PGM_RSRC2:TGID_Z_EN: 1
; COMPUTE_PGM_RSRC2:TIDIG_COMP_CNT: 0
	.section	.text._ZN4vllm25paged_attention_v2_kernelI14__hip_bfloat16S1_Li112ELi16ELi128ELNS_18Fp8KVCacheDataTypeE0ELb0ELi512EEEvPfS3_PT_PKS4_PKT0_SA_ifPKiSC_iPKfiiiSE_SE_iiiii,"axG",@progbits,_ZN4vllm25paged_attention_v2_kernelI14__hip_bfloat16S1_Li112ELi16ELi128ELNS_18Fp8KVCacheDataTypeE0ELb0ELi512EEEvPfS3_PT_PKS4_PKT0_SA_ifPKiSC_iPKfiiiSE_SE_iiiii,comdat
	.protected	_ZN4vllm25paged_attention_v2_kernelI14__hip_bfloat16S1_Li112ELi16ELi128ELNS_18Fp8KVCacheDataTypeE0ELb0ELi512EEEvPfS3_PT_PKS4_PKT0_SA_ifPKiSC_iPKfiiiSE_SE_iiiii ; -- Begin function _ZN4vllm25paged_attention_v2_kernelI14__hip_bfloat16S1_Li112ELi16ELi128ELNS_18Fp8KVCacheDataTypeE0ELb0ELi512EEEvPfS3_PT_PKS4_PKT0_SA_ifPKiSC_iPKfiiiSE_SE_iiiii
	.globl	_ZN4vllm25paged_attention_v2_kernelI14__hip_bfloat16S1_Li112ELi16ELi128ELNS_18Fp8KVCacheDataTypeE0ELb0ELi512EEEvPfS3_PT_PKS4_PKT0_SA_ifPKiSC_iPKfiiiSE_SE_iiiii
	.p2align	8
	.type	_ZN4vllm25paged_attention_v2_kernelI14__hip_bfloat16S1_Li112ELi16ELi128ELNS_18Fp8KVCacheDataTypeE0ELb0ELi512EEEvPfS3_PT_PKS4_PKT0_SA_ifPKiSC_iPKfiiiSE_SE_iiiii,@function
_ZN4vllm25paged_attention_v2_kernelI14__hip_bfloat16S1_Li112ELi16ELi128ELNS_18Fp8KVCacheDataTypeE0ELb0ELi512EEEvPfS3_PT_PKS4_PKT0_SA_ifPKiSC_iPKfiiiSE_SE_iiiii: ; @_ZN4vllm25paged_attention_v2_kernelI14__hip_bfloat16S1_Li112ELi16ELi128ELNS_18Fp8KVCacheDataTypeE0ELb0ELi512EEEvPfS3_PT_PKS4_PKT0_SA_ifPKiSC_iPKfiiiSE_SE_iiiii
; %bb.0:
	s_load_b64 s[2:3], s[0:1], 0x40
	s_mov_b32 s12, s15
	s_ashr_i32 s15, s14, 31
	s_delay_alu instid0(SALU_CYCLE_1)
	s_lshl_b64 s[4:5], s[14:15], 2
	s_waitcnt lgkmcnt(0)
	s_add_u32 s2, s2, s4
	s_addc_u32 s3, s3, s5
	s_lshl_b32 s31, s12, 9
	s_load_b32 s30, s[2:3], 0x0
	s_waitcnt lgkmcnt(0)
	s_cmp_ge_i32 s31, s30
	s_cbranch_scc1 .LBB173_359
; %bb.1:
	s_clause 0x1
	s_load_b32 s15, s[0:1], 0x90
	s_load_b64 s[28:29], s[0:1], 0x30
	s_mov_b32 s20, s13
	s_waitcnt lgkmcnt(0)
	s_abs_i32 s5, s15
	s_abs_i32 s2, s28
	s_delay_alu instid0(SALU_CYCLE_1) | instskip(SKIP_1) | instid1(VALU_DEP_1)
	v_cvt_f32_u32_e32 v1, s2
	s_sub_i32 s4, 0, s2
	v_rcp_iflag_f32_e32 v1, v1
	s_waitcnt_depctr 0xfff
	v_mul_f32_e32 v1, 0x4f7ffffe, v1
	s_delay_alu instid0(VALU_DEP_1) | instskip(NEXT) | instid1(VALU_DEP_1)
	v_cvt_u32_f32_e32 v1, v1
	v_readfirstlane_b32 s3, v1
	s_delay_alu instid0(VALU_DEP_1) | instskip(NEXT) | instid1(SALU_CYCLE_1)
	s_mul_i32 s4, s4, s3
	s_mul_hi_u32 s4, s3, s4
	s_delay_alu instid0(SALU_CYCLE_1)
	s_add_i32 s3, s3, s4
	s_xor_b32 s4, s15, s28
	s_mul_hi_u32 s3, s5, s3
	s_ashr_i32 s4, s4, 31
	s_mul_i32 s6, s3, s2
	s_mov_b32 s28, 0
	s_sub_i32 s5, s5, s6
	s_add_i32 s6, s3, 1
	s_sub_i32 s7, s5, s2
	s_cmp_ge_u32 s5, s2
	s_cselect_b32 s3, s6, s3
	s_cselect_b32 s5, s7, s5
	s_add_i32 s6, s3, 1
	s_cmp_ge_u32 s5, s2
	s_cselect_b32 s2, s6, s3
	s_abs_i32 s10, s13
	s_xor_b32 s2, s2, s4
	s_delay_alu instid0(SALU_CYCLE_1) | instskip(SKIP_2) | instid1(SALU_CYCLE_1)
	s_sub_i32 s11, s2, s4
	s_load_b64 s[2:3], s[0:1], 0x50
	s_abs_i32 s8, s11
	v_cvt_f32_u32_e32 v1, s8
	s_sub_i32 s5, 0, s8
	s_delay_alu instid0(VALU_DEP_1) | instskip(SKIP_2) | instid1(VALU_DEP_1)
	v_rcp_iflag_f32_e32 v1, v1
	s_waitcnt_depctr 0xfff
	v_mul_f32_e32 v1, 0x4f7ffffe, v1
	v_cvt_u32_f32_e32 v1, v1
	s_delay_alu instid0(VALU_DEP_1) | instskip(NEXT) | instid1(VALU_DEP_1)
	v_readfirstlane_b32 s4, v1
	s_mul_i32 s5, s5, s4
	s_delay_alu instid0(SALU_CYCLE_1) | instskip(NEXT) | instid1(SALU_CYCLE_1)
	s_mul_hi_u32 s5, s4, s5
	s_add_i32 s4, s4, s5
	s_waitcnt lgkmcnt(0)
	s_cmp_eq_u64 s[2:3], 0
	s_mul_hi_u32 s9, s10, s4
	s_cbranch_scc1 .LBB173_3
; %bb.2:
	s_ashr_i32 s21, s20, 31
	s_delay_alu instid0(SALU_CYCLE_1) | instskip(NEXT) | instid1(SALU_CYCLE_1)
	s_lshl_b64 s[4:5], s[20:21], 2
	s_add_u32 s2, s2, s4
	s_addc_u32 s3, s3, s5
	s_load_b32 s28, s[2:3], 0x0
.LBB173_3:
	s_load_b128 s[4:7], s[0:1], 0x58
	v_lshrrev_b32_e32 v12, 1, v0
	v_and_b32_e32 v13, 1, v0
	v_lshlrev_b32_e32 v3, 3, v0
	s_ashr_i32 s2, s20, 31
	s_ashr_i32 s3, s11, 31
	s_mul_i32 s16, s20, 0x70
	s_waitcnt lgkmcnt(0)
	s_mov_b32 s7, exec_lo
	v_cmpx_gt_u32_e32 28, v0
	s_cbranch_execz .LBB173_5
; %bb.4:
	s_load_b64 s[18:19], s[0:1], 0x18
	s_mul_i32 s22, s14, s4
	v_lshlrev_b32_e32 v4, 3, v12
	s_ashr_i32 s23, s22, 31
	s_delay_alu instid0(SALU_CYCLE_1) | instskip(NEXT) | instid1(VALU_DEP_1)
	s_lshl_b64 s[22:23], s[22:23], 1
	v_mad_u32_u24 v4, 0x70, v13, v4
	s_waitcnt lgkmcnt(0)
	s_add_u32 s4, s18, s22
	s_addc_u32 s11, s19, s23
	s_ashr_i32 s17, s16, 31
	s_delay_alu instid0(SALU_CYCLE_1) | instskip(NEXT) | instid1(SALU_CYCLE_1)
	s_lshl_b64 s[18:19], s[16:17], 1
	s_add_u32 s18, s4, s18
	s_addc_u32 s19, s11, s19
	global_load_b64 v[1:2], v3, s[18:19]
	s_waitcnt vmcnt(0)
	ds_store_b64 v4, v[1:2]
.LBB173_5:
	s_or_b32 exec_lo, exec_lo, s7
	s_add_i32 s4, s30, 15
	s_lshl_b32 s13, s12, 5
	s_ashr_i32 s7, s4, 31
	s_xor_b32 s2, s2, s3
	s_lshr_b32 s7, s7, 28
	s_add_i32 s3, s13, 32
	s_add_i32 s4, s4, s7
	s_clause 0x1
	s_load_b64 s[22:23], s[0:1], 0x38
	s_load_b32 s7, s[0:1], 0x48
	s_ashr_i32 s21, s4, 4
	s_mul_i32 s4, s9, s8
	s_min_i32 s17, s3, s21
	s_sub_i32 s3, s10, s4
	s_add_i32 s4, s9, 1
	s_sub_i32 s10, s3, s8
	s_cmp_ge_u32 s3, s8
	v_lshrrev_b32_e32 v14, 5, v0
	s_cselect_b32 s4, s4, s9
	s_cselect_b32 s3, s10, s3
	s_add_i32 s9, s4, 1
	s_cmp_ge_u32 s3, s8
	v_or_b32_e32 v9, s13, v14
	s_cselect_b32 s3, s9, s4
	v_mbcnt_lo_u32_b32 v4, -1, 0
	s_xor_b32 s3, s3, s2
	s_mov_b32 s4, exec_lo
	s_sub_i32 s3, s3, s2
	v_cmp_gt_i32_e64 s2, s17, v9
	s_waitcnt lgkmcnt(0)
	s_mul_i32 s24, s14, s7
	s_delay_alu instid0(SALU_CYCLE_1)
	s_ashr_i32 s25, s24, 31
	s_barrier
	buffer_gl0_inv
                                        ; implicit-def: $sgpr7
                                        ; implicit-def: $vgpr5
	v_cmpx_le_i32_e64 s17, v9
	s_xor_b32 s4, exec_lo, s4
; %bb.6:
	v_mbcnt_lo_u32_b32 v4, -1, 0
	v_mov_b32_e32 v5, 32
	s_mov_b32 s7, 0xff7fffff
; %bb.7:
	s_or_saveexec_b32 s33, s4
	s_clause 0x3
	s_load_b128 s[8:11], s[0:1], 0x0
	s_load_b64 s[18:19], s[0:1], 0x10
	s_load_b64 s[26:27], s[0:1], 0x28
	s_load_b32 s4, s[0:1], 0x98
	v_mov_b32_e32 v63, s7
	v_ashrrev_i32_e32 v10, 31, v9
	s_mul_i32 s6, s3, s6
	s_xor_b32 exec_lo, exec_lo, s33
	s_cbranch_execz .LBB173_13
; %bb.8:
	s_load_b64 s[0:1], s[0:1], 0x20
	v_mul_u32_u24_e32 v1, 0x70, v13
	v_bfe_u32 v2, v0, 1, 4
	s_ashr_i32 s7, s6, 31
	v_and_b32_e32 v5, 8, v3
	s_lshl_b64 s[34:35], s[6:7], 1
	ds_load_b128 v[15:18], v1
	ds_load_b128 v[25:28], v1 offset:16
	ds_load_b128 v[33:36], v1 offset:32
	;; [unrolled: 1-line block ×6, first 2 shown]
	v_xor_b32_e32 v1, 1, v4
	v_lshlrev_b32_e32 v6, 4, v2
	v_lshlrev_b32_e32 v63, 4, v14
	v_mov_b32_e32 v73, v9
	s_delay_alu instid0(VALU_DEP_2)
	v_add3_u32 v71, s31, v63, v2
	v_mov_b32_e32 v63, 0xff7fffff
	s_waitcnt lgkmcnt(0)
	s_add_u32 s0, s0, s34
	s_addc_u32 s1, s1, s35
	v_add_co_u32 v19, s0, s0, v6
	s_delay_alu instid0(VALU_DEP_1) | instskip(SKIP_1) | instid1(VALU_DEP_2)
	v_add_co_ci_u32_e64 v20, null, s1, 0, s0
	s_lshl_b64 s[34:35], s[24:25], 2
	v_add_co_u32 v19, vcc_lo, v19, v5
	s_delay_alu instid0(VALU_DEP_2)
	v_add_co_ci_u32_e32 v20, vcc_lo, 0, v20, vcc_lo
	v_cmp_gt_i32_e32 vcc_lo, 32, v1
	s_sub_i32 s7, 1, s30
	s_add_u32 s1, s22, s34
	s_addc_u32 s3, s23, s35
	v_dual_mov_b32 v5, 32 :: v_dual_lshlrev_b32 v6, 16, v15
	v_cndmask_b32_e32 v1, v4, v1, vcc_lo
	v_and_b32_e32 v7, 0xffff0000, v15
	v_lshlrev_b32_e32 v8, 16, v16
	v_and_b32_e32 v11, 0xffff0000, v16
	v_lshlrev_b32_e32 v15, 16, v17
	v_lshlrev_b32_e32 v66, 2, v1
	;; [unrolled: 1-line block ×3, first 2 shown]
	v_and_b32_e32 v16, 0xffff0000, v17
	v_lshlrev_b32_e32 v17, 16, v18
	v_and_b32_e32 v18, 0xffff0000, v18
	v_lshlrev_b32_e32 v21, 16, v25
	v_lshl_or_b32 v72, v14, 6, v1
	v_lshlrev_b64 v[1:2], 2, v[9:10]
	v_and_b32_e32 v22, 0xffff0000, v25
	v_lshlrev_b32_e32 v23, 16, v26
	v_and_b32_e32 v24, 0xffff0000, v26
	v_lshlrev_b32_e32 v25, 16, v27
	v_and_b32_e32 v26, 0xffff0000, v27
	v_add_co_u32 v1, s1, s1, v1
	v_lshlrev_b32_e32 v27, 16, v28
	v_and_b32_e32 v28, 0xffff0000, v28
	v_lshlrev_b32_e32 v29, 16, v33
	v_and_b32_e32 v30, 0xffff0000, v33
	;; [unrolled: 2-line block ×19, first 2 shown]
	v_cmp_eq_u32_e32 vcc_lo, 0, v13
	v_cmp_neq_f32_e64 s0, s28, 0
	v_lshlrev_b32_e32 v67, 16, v69
	v_and_b32_e32 v68, 0xffff0000, v69
	v_lshlrev_b32_e32 v69, 16, v70
	v_and_b32_e32 v70, 0xffff0000, v70
	v_add_nc_u32_e32 v72, 0x100, v72
	v_add_co_ci_u32_e64 v2, s1, s3, v2, s1
	s_mov_b32 s35, s5
	s_mov_b32 s34, 0
	s_branch .LBB173_10
.LBB173_9:                              ;   in Loop: Header=BB173_10 Depth=1
	s_or_b32 exec_lo, exec_lo, s3
	v_add_nc_u32_e32 v73, 4, v73
	v_add_co_u32 v1, s3, v1, 16
	v_add_nc_u32_e32 v71, 64, v71
	v_add_nc_u32_e32 v72, 0x100, v72
	s_delay_alu instid0(VALU_DEP_4) | instskip(SKIP_1) | instid1(VALU_DEP_2)
	v_cmp_le_i32_e64 s1, s17, v73
	v_add_co_ci_u32_e64 v2, s3, 0, v2, s3
	s_or_b32 s34, s1, s34
	s_delay_alu instid0(SALU_CYCLE_1)
	s_and_not1_b32 exec_lo, exec_lo, s34
	s_cbranch_execz .LBB173_12
.LBB173_10:                             ; =>This Inner Loop Header: Depth=1
	global_load_b32 v76, v[1:2], off
	s_waitcnt vmcnt(0) lgkmcnt(0)
	v_mad_i64_i32 v[74:75], null, v76, s35, 0
	s_delay_alu instid0(VALU_DEP_1) | instskip(NEXT) | instid1(VALU_DEP_1)
	v_lshlrev_b64 v[74:75], 1, v[74:75]
	v_add_co_u32 v74, s1, v19, v74
	s_delay_alu instid0(VALU_DEP_1)
	v_add_co_ci_u32_e64 v75, s1, v20, v75, s1
	s_clause 0xd
	global_load_b64 v[76:77], v[74:75], off
	global_load_b64 v[78:79], v[74:75], off offset:256
	global_load_b64 v[80:81], v[74:75], off offset:512
	;; [unrolled: 1-line block ×13, first 2 shown]
	s_waitcnt vmcnt(12)
	v_lshlrev_b32_e32 v105, 16, v79
	v_lshlrev_b32_e32 v102, 16, v76
	v_and_b32_e32 v79, 0xffff0000, v79
	s_delay_alu instid0(VALU_DEP_3) | instskip(SKIP_2) | instid1(VALU_DEP_4)
	v_dual_mul_f32 v105, v17, v105 :: v_dual_and_b32 v76, 0xffff0000, v76
	v_lshlrev_b32_e32 v104, 16, v78
	v_lshlrev_b32_e32 v103, 16, v77
	v_dual_mul_f32 v79, v18, v79 :: v_dual_and_b32 v78, 0xffff0000, v78
	s_delay_alu instid0(VALU_DEP_3) | instskip(NEXT) | instid1(VALU_DEP_3)
	v_dual_mul_f32 v104, v15, v104 :: v_dual_and_b32 v77, 0xffff0000, v77
	v_fmac_f32_e32 v105, v8, v103
	s_delay_alu instid0(VALU_DEP_2) | instskip(SKIP_1) | instid1(VALU_DEP_3)
	v_dual_mul_f32 v78, v16, v78 :: v_dual_fmac_f32 v79, v11, v77
	s_waitcnt vmcnt(11)
	v_dual_fmac_f32 v104, v6, v102 :: v_dual_lshlrev_b32 v107, 16, v81
	v_lshlrev_b32_e32 v106, 16, v80
	s_delay_alu instid0(VALU_DEP_3) | instskip(NEXT) | instid1(VALU_DEP_3)
	v_dual_fmac_f32 v78, v7, v76 :: v_dual_and_b32 v81, 0xffff0000, v81
	v_dual_fmac_f32 v105, v23, v107 :: v_dual_and_b32 v80, 0xffff0000, v80
	s_waitcnt vmcnt(10)
	s_delay_alu instid0(VALU_DEP_3) | instskip(NEXT) | instid1(VALU_DEP_3)
	v_dual_fmac_f32 v104, v21, v106 :: v_dual_lshlrev_b32 v109, 16, v83
	v_dual_fmac_f32 v79, v24, v81 :: v_dual_lshlrev_b32 v108, 16, v82
	s_delay_alu instid0(VALU_DEP_3) | instskip(NEXT) | instid1(VALU_DEP_3)
	v_dual_fmac_f32 v78, v22, v80 :: v_dual_and_b32 v83, 0xffff0000, v83
	v_dual_fmac_f32 v105, v27, v109 :: v_dual_and_b32 v82, 0xffff0000, v82
	s_waitcnt vmcnt(9)
	s_delay_alu instid0(VALU_DEP_3) | instskip(NEXT) | instid1(VALU_DEP_3)
	v_dual_fmac_f32 v104, v25, v108 :: v_dual_lshlrev_b32 v111, 16, v85
	v_dual_fmac_f32 v79, v28, v83 :: v_dual_lshlrev_b32 v110, 16, v84
	;; [unrolled: 7-line block ×7, first 2 shown]
	s_delay_alu instid0(VALU_DEP_3) | instskip(NEXT) | instid1(VALU_DEP_2)
	v_dual_fmac_f32 v78, v46, v92 :: v_dual_and_b32 v95, 0xffff0000, v95
	v_dual_fmac_f32 v105, v51, v121 :: v_dual_fmac_f32 v104, v49, v120
	s_waitcnt vmcnt(3)
	v_lshlrev_b32_e32 v123, 16, v97
	v_lshlrev_b32_e32 v122, 16, v96
	v_dual_fmac_f32 v79, v52, v95 :: v_dual_and_b32 v94, 0xffff0000, v94
	s_waitcnt vmcnt(1)
	v_lshlrev_b32_e32 v85, 16, v101
	v_and_b32_e32 v82, 0xffff0000, v99
	v_and_b32_e32 v76, 0xffff0000, v97
	v_dual_fmac_f32 v105, v55, v123 :: v_dual_lshlrev_b32 v80, 16, v98
	v_fmac_f32_e32 v104, v53, v122
	s_delay_alu instid0(VALU_DEP_3) | instskip(SKIP_4) | instid1(VALU_DEP_3)
	v_dual_fmac_f32 v78, v50, v94 :: v_dual_fmac_f32 v79, v56, v76
	v_lshlrev_b32_e32 v81, 16, v99
	s_waitcnt vmcnt(0)
	v_lshlrev_b32_e32 v76, 16, v75
	v_fmac_f32_e32 v104, v57, v80
	v_dual_fmac_f32 v105, v59, v81 :: v_dual_and_b32 v96, 0xffff0000, v96
	s_delay_alu instid0(VALU_DEP_1) | instskip(NEXT) | instid1(VALU_DEP_1)
	v_dual_fmac_f32 v78, v54, v96 :: v_dual_and_b32 v77, 0xffff0000, v98
	v_dual_fmac_f32 v78, v58, v77 :: v_dual_lshlrev_b32 v83, 16, v100
	s_delay_alu instid0(VALU_DEP_1) | instskip(SKIP_1) | instid1(VALU_DEP_2)
	v_dual_fmac_f32 v104, v61, v83 :: v_dual_fmac_f32 v105, v64, v85
	v_dual_fmac_f32 v79, v60, v82 :: v_dual_and_b32 v86, 0xffff0000, v101
	v_fmac_f32_e32 v105, v69, v76
	s_delay_alu instid0(VALU_DEP_2) | instskip(SKIP_2) | instid1(VALU_DEP_3)
	v_dual_fmac_f32 v79, v65, v86 :: v_dual_and_b32 v84, 0xffff0000, v100
	v_lshlrev_b32_e32 v87, 16, v74
	v_and_b32_e32 v74, 0xffff0000, v74
	v_fmac_f32_e32 v78, v62, v84
	s_delay_alu instid0(VALU_DEP_1) | instskip(SKIP_1) | instid1(VALU_DEP_1)
	v_fmac_f32_e32 v78, v68, v74
	v_and_b32_e32 v74, 0xffff0000, v75
	v_dual_fmac_f32 v104, v67, v87 :: v_dual_fmac_f32 v79, v70, v74
	s_delay_alu instid0(VALU_DEP_1) | instskip(NEXT) | instid1(VALU_DEP_1)
	v_add_f32_e32 v75, v104, v78
	v_add_f32_e32 v74, v75, v105
	s_delay_alu instid0(VALU_DEP_1)
	v_add_f32_e32 v74, v79, v74
	ds_bpermute_b32 v75, v66, v74
	s_and_saveexec_b32 s3, vcc_lo
	s_cbranch_execz .LBB173_9
; %bb.11:                               ;   in Loop: Header=BB173_10 Depth=1
	s_waitcnt lgkmcnt(0)
	v_add_f32_e32 v74, v74, v75
	v_add_nc_u32_e32 v76, s7, v71
	v_cmp_gt_i32_e64 s1, s30, v71
	s_delay_alu instid0(VALU_DEP_2) | instskip(NEXT) | instid1(VALU_DEP_1)
	v_cvt_f32_i32_e32 v76, v76
	v_mul_f32_e32 v76, s28, v76
	s_delay_alu instid0(VALU_DEP_1) | instskip(NEXT) | instid1(VALU_DEP_1)
	v_cndmask_b32_e64 v75, 0, v76, s0
	v_dual_max_f32 v76, v63, v63 :: v_dual_fmac_f32 v75, s29, v74
	s_delay_alu instid0(VALU_DEP_1) | instskip(SKIP_1) | instid1(VALU_DEP_2)
	v_max_f32_e32 v74, v76, v75
	v_cndmask_b32_e64 v75, 0, v75, s1
	v_cndmask_b32_e64 v63, v63, v74, s1
	ds_store_b32 v72, v75
	s_branch .LBB173_9
.LBB173_12:
	s_or_b32 exec_lo, exec_lo, s34
.LBB173_13:
	s_delay_alu instid0(SALU_CYCLE_1) | instskip(SKIP_4) | instid1(VALU_DEP_4)
	s_or_b32 exec_lo, exec_lo, s33
	v_xor_b32_e32 v1, 16, v4
	v_xor_b32_e32 v2, 8, v4
	;; [unrolled: 1-line block ×3, first 2 shown]
	v_dual_max_f32 v8, v63, v63 :: v_dual_and_b32 v15, 31, v0
	v_cmp_lt_i32_e32 vcc_lo, v1, v5
	v_cndmask_b32_e32 v1, v4, v1, vcc_lo
	v_cmp_lt_i32_e32 vcc_lo, v2, v5
	s_delay_alu instid0(VALU_DEP_2) | instskip(SKIP_3) | instid1(VALU_DEP_1)
	v_lshlrev_b32_e32 v6, 2, v1
	ds_bpermute_b32 v1, v6, v63
	s_waitcnt lgkmcnt(0)
	v_dual_cndmask_b32 v2, v4, v2 :: v_dual_max_f32 v1, v1, v1
	v_max_f32_e32 v1, v8, v1
	v_xor_b32_e32 v8, 4, v4
	s_delay_alu instid0(VALU_DEP_1) | instskip(NEXT) | instid1(VALU_DEP_4)
	v_cmp_lt_i32_e32 vcc_lo, v8, v5
	v_dual_cndmask_b32 v8, v4, v8 :: v_dual_lshlrev_b32 v7, 2, v2
	ds_bpermute_b32 v2, v7, v1
	v_cmp_lt_i32_e32 vcc_lo, v11, v5
	v_dual_cndmask_b32 v11, v4, v11 :: v_dual_lshlrev_b32 v8, 2, v8
	v_cmp_eq_u32_e32 vcc_lo, 0, v15
	s_waitcnt lgkmcnt(0)
	v_max_f32_e32 v2, v2, v2
	s_delay_alu instid0(VALU_DEP_1) | instskip(SKIP_3) | instid1(VALU_DEP_1)
	v_max_f32_e32 v1, v1, v2
	ds_bpermute_b32 v2, v8, v1
	s_waitcnt lgkmcnt(0)
	v_max_f32_e32 v2, v2, v2
	v_dual_max_f32 v1, v1, v2 :: v_dual_lshlrev_b32 v2, 2, v11
	v_lshlrev_b32_e32 v11, 2, v14
	ds_bpermute_b32 v16, v2, v1
	s_and_saveexec_b32 s0, vcc_lo
	s_cbranch_execz .LBB173_15
; %bb.14:
	s_waitcnt lgkmcnt(0)
	v_dual_max_f32 v16, v16, v16 :: v_dual_max_f32 v1, v1, v1
	s_delay_alu instid0(VALU_DEP_1)
	v_max_f32_e32 v1, v1, v16
	ds_store_b32 v11, v1 offset:224
.LBB173_15:
	s_or_b32 exec_lo, exec_lo, s0
	v_cmp_gt_u32_e64 s0, 4, v15
	v_mov_b32_e32 v1, 0xff7fffff
	v_lshlrev_b32_e32 v17, 2, v15
	s_waitcnt lgkmcnt(0)
	s_barrier
	buffer_gl0_inv
	s_and_saveexec_b32 s1, s0
	s_cbranch_execz .LBB173_17
; %bb.16:
	ds_load_b32 v1, v17 offset:224
.LBB173_17:
	s_or_b32 exec_lo, exec_lo, s1
	s_waitcnt lgkmcnt(0)
	ds_bpermute_b32 v16, v2, v1
	v_xor_b32_e32 v18, 1, v4
	v_max_f32_e32 v1, v1, v1
	s_delay_alu instid0(VALU_DEP_2) | instskip(NEXT) | instid1(VALU_DEP_1)
	v_cmp_lt_i32_e64 s1, v18, v5
	v_cndmask_b32_e64 v5, v4, v18, s1
	s_sub_i32 s1, s17, s13
	v_lshlrev_b32_e32 v4, 2, v4
	s_lshl_b32 s1, s1, 4
	s_delay_alu instid0(SALU_CYCLE_1) | instskip(NEXT) | instid1(SALU_CYCLE_1)
	s_add_i32 s1, s1, s31
	s_min_i32 s1, s1, s30
	s_waitcnt lgkmcnt(0)
	v_max_f32_e32 v18, v16, v16
	v_lshlrev_b32_e32 v16, 2, v5
	s_sub_i32 s7, s1, s31
	s_delay_alu instid0(SALU_CYCLE_1) | instskip(NEXT) | instid1(VALU_DEP_3)
	v_cmp_gt_i32_e64 s1, s7, v0
	v_dual_max_f32 v1, v1, v18 :: v_dual_mov_b32 v18, 0
	ds_bpermute_b32 v5, v16, v1
	s_waitcnt lgkmcnt(0)
	v_max_f32_e32 v5, v5, v5
	s_delay_alu instid0(VALU_DEP_1)
	v_max_f32_e32 v1, v1, v5
	v_and_b32_e32 v5, 0xffffff80, v4
	v_lshl_add_u32 v4, v0, 2, 0x100
	ds_bpermute_b32 v1, v5, v1
	s_and_saveexec_b32 s13, s1
	s_cbranch_execz .LBB173_21
; %bb.18:
	v_lshl_add_u32 v19, v0, 2, 0x100
	v_mov_b32_e32 v18, 0
	v_mov_b32_e32 v20, v0
	s_mov_b32 s28, 0
	.p2align	6
.LBB173_19:                             ; =>This Inner Loop Header: Depth=1
	ds_load_b32 v21, v19
	v_add_nc_u32_e32 v20, 0x80, v20
	s_delay_alu instid0(VALU_DEP_1) | instskip(NEXT) | instid1(VALU_DEP_1)
	v_cmp_le_i32_e64 s3, s7, v20
	s_or_b32 s28, s3, s28
	s_waitcnt lgkmcnt(0)
	v_sub_f32_e32 v21, v21, v1
	s_delay_alu instid0(VALU_DEP_1) | instskip(NEXT) | instid1(VALU_DEP_1)
	v_mul_f32_e32 v21, 0x3fb8aa3b, v21
	v_exp_f32_e32 v21, v21
	ds_store_b32 v19, v21
	v_dual_add_f32 v18, v18, v21 :: v_dual_add_nc_u32 v19, 0x200, v19
	s_and_not1_b32 exec_lo, exec_lo, s28
	s_cbranch_execnz .LBB173_19
; %bb.20:
	s_or_b32 exec_lo, exec_lo, s28
.LBB173_21:
	s_delay_alu instid0(SALU_CYCLE_1)
	s_or_b32 exec_lo, exec_lo, s13
	ds_bpermute_b32 v6, v6, v18
	s_waitcnt lgkmcnt(0)
	v_add_f32_e32 v6, v18, v6
	ds_bpermute_b32 v7, v7, v6
	s_waitcnt lgkmcnt(0)
	v_add_f32_e32 v6, v6, v7
	;; [unrolled: 3-line block ×5, first 2 shown]
	s_and_saveexec_b32 s3, vcc_lo
	s_cbranch_execz .LBB173_23
; %bb.22:
	ds_store_b32 v11, v6 offset:240
.LBB173_23:
	s_or_b32 exec_lo, exec_lo, s3
	s_waitcnt lgkmcnt(0)
	s_barrier
	buffer_gl0_inv
	s_and_saveexec_b32 s3, s0
	s_cbranch_execz .LBB173_25
; %bb.24:
	ds_load_b32 v6, v17 offset:240
.LBB173_25:
	s_or_b32 exec_lo, exec_lo, s3
	s_waitcnt lgkmcnt(0)
	ds_bpermute_b32 v2, v2, v6
	s_waitcnt lgkmcnt(0)
	v_add_f32_e32 v2, v6, v2
	ds_bpermute_b32 v6, v16, v2
	s_waitcnt lgkmcnt(0)
	v_add_f32_e32 v2, v2, v6
	ds_bpermute_b32 v2, v5, v2
	s_and_saveexec_b32 s0, s1
	s_cbranch_execz .LBB173_28
; %bb.26:
	s_waitcnt lgkmcnt(0)
	v_add_f32_e32 v5, 0x358637bd, v2
	s_mov_b32 s1, 0
	s_delay_alu instid0(VALU_DEP_1) | instskip(SKIP_1) | instid1(VALU_DEP_2)
	v_div_scale_f32 v6, null, v5, v5, 1.0
	v_div_scale_f32 v11, vcc_lo, 1.0, v5, 1.0
	v_rcp_f32_e32 v7, v6
	s_waitcnt_depctr 0xfff
	v_fma_f32 v8, -v6, v7, 1.0
	s_delay_alu instid0(VALU_DEP_1) | instskip(NEXT) | instid1(VALU_DEP_1)
	v_fmac_f32_e32 v7, v8, v7
	v_mul_f32_e32 v8, v11, v7
	s_delay_alu instid0(VALU_DEP_1) | instskip(NEXT) | instid1(VALU_DEP_1)
	v_fma_f32 v17, -v6, v8, v11
	v_fmac_f32_e32 v8, v17, v7
	s_delay_alu instid0(VALU_DEP_1) | instskip(NEXT) | instid1(VALU_DEP_1)
	v_fma_f32 v6, -v6, v8, v11
	v_div_fmas_f32 v6, v6, v7, v8
	s_delay_alu instid0(VALU_DEP_1)
	v_div_fixup_f32 v5, v6, v5, 1.0
	v_mov_b32_e32 v6, v0
.LBB173_27:                             ; =>This Inner Loop Header: Depth=1
	ds_load_b32 v7, v4
	s_waitcnt lgkmcnt(0)
	v_dual_mul_f32 v7, v5, v7 :: v_dual_add_nc_u32 v6, 0x80, v6
	s_delay_alu instid0(VALU_DEP_1) | instskip(SKIP_3) | instid1(SALU_CYCLE_1)
	v_cmp_le_i32_e32 vcc_lo, s7, v6
	ds_store_b32 v4, v7
	v_add_nc_u32_e32 v4, 0x200, v4
	s_or_b32 s1, vcc_lo, s1
	s_and_not1_b32 exec_lo, exec_lo, s1
	s_cbranch_execnz .LBB173_27
.LBB173_28:
	s_or_b32 exec_lo, exec_lo, s0
	s_delay_alu instid0(SALU_CYCLE_1)
	s_mov_b32 s0, exec_lo
	s_waitcnt lgkmcnt(0)
	s_barrier
	buffer_gl0_inv
	v_cmpx_eq_u32_e32 0, v0
	s_cbranch_execz .LBB173_30
; %bb.29:
	s_mul_i32 s1, s4, s14
	s_mul_i32 s34, s4, s20
	s_mul_i32 s28, s1, s15
	v_mov_b32_e32 v4, 0
	s_ashr_i32 s29, s28, 31
	s_delay_alu instid0(SALU_CYCLE_1) | instskip(NEXT) | instid1(SALU_CYCLE_1)
	s_lshl_b64 s[28:29], s[28:29], 2
	s_add_u32 s1, s10, s28
	s_addc_u32 s3, s11, s29
	s_ashr_i32 s35, s34, 31
	s_delay_alu instid0(SALU_CYCLE_1) | instskip(NEXT) | instid1(SALU_CYCLE_1)
	s_lshl_b64 s[10:11], s[34:35], 2
	s_add_u32 s1, s1, s10
	s_addc_u32 s3, s3, s11
	;; [unrolled: 5-line block ×3, first 2 shown]
	s_add_u32 s1, s8, s28
	s_addc_u32 s3, s9, s29
	s_add_u32 s1, s1, s10
	s_addc_u32 s3, s3, s11
	;; [unrolled: 2-line block ×3, first 2 shown]
	s_clause 0x1
	global_store_b32 v4, v1, s[36:37]
	global_store_b32 v4, v2, s[8:9]
.LBB173_30:
	s_or_b32 exec_lo, exec_lo, s0
	v_dual_mov_b32 v17, 0 :: v_dual_mov_b32 v20, 0
	v_dual_mov_b32 v19, 0 :: v_dual_mov_b32 v22, 0
	v_dual_mov_b32 v21, 0 :: v_dual_mov_b32 v18, 0
	v_mov_b32_e32 v23, 0
	s_mov_b32 s3, 0
	s_and_saveexec_b32 s1, s2
	s_cbranch_execz .LBB173_304
; %bb.31:
	v_dual_mov_b32 v18, 0 :: v_dual_lshlrev_b32 v1, 4, v0
	s_ashr_i32 s7, s6, 31
	v_dual_mov_b32 v23, 0 :: v_dual_and_b32 v2, 8, v3
	s_delay_alu instid0(VALU_DEP_2)
	v_dual_mov_b32 v20, 0 :: v_dual_and_b32 v1, 0x1f0, v1
	v_lshl_add_u32 v4, v14, 4, s31
	s_lshl_b64 s[6:7], s[6:7], 1
	v_dual_mov_b32 v22, 0 :: v_dual_lshlrev_b32 v3, 5, v13
	s_add_u32 s0, s26, s6
	s_addc_u32 s6, s27, s7
	v_add_co_u32 v24, s0, s0, v1
	v_add3_u32 v26, v4, v2, 7
	v_lshlrev_b64 v[1:2], 2, v[9:10]
	v_add_co_ci_u32_e64 v25, null, s6, 0, s0
	s_lshl_b64 s[6:7], s[24:25], 2
	s_add_i32 s2, s21, -1
	v_lshl_or_b32 v3, v14, 6, v3
	s_add_u32 s0, s22, s6
	s_addc_u32 s6, s23, s7
	v_add_co_u32 v10, vcc_lo, s0, v1
	s_delay_alu instid0(VALU_DEP_2)
	v_add_nc_u32_e32 v27, 0x100, v3
	v_add_co_ci_u32_e32 v11, vcc_lo, s6, v2, vcc_lo
	v_mov_b32_e32 v21, 0
	v_mov_b32_e32 v19, 0
	;; [unrolled: 1-line block ×3, first 2 shown]
	s_branch .LBB173_33
.LBB173_32:                             ;   in Loop: Header=BB173_33 Depth=1
	s_or_b32 exec_lo, exec_lo, s0
	v_and_b32_e32 v29, 0xffff0000, v29
	v_and_b32_e32 v28, 0xffff0000, v28
	;; [unrolled: 1-line block ×10, first 2 shown]
	v_dual_add_f32 v7, v7, v8 :: v_dual_add_f32 v8, v28, v29
	v_and_b32_e32 v28, 0xffff0000, v32
	v_and_b32_e32 v32, 0xffff0000, v51
	;; [unrolled: 1-line block ×4, first 2 shown]
	v_add_f32_e32 v7, v7, v8
	v_and_b32_e32 v8, 0xffff0000, v52
	v_and_b32_e32 v1, 0xffff0000, v1
	;; [unrolled: 1-line block ×3, first 2 shown]
	v_dual_add_f32 v2, v2, v6 :: v_dual_and_b32 v39, 0xffff0000, v81
	s_delay_alu instid0(VALU_DEP_4) | instskip(SKIP_3) | instid1(VALU_DEP_4)
	v_dual_add_f32 v8, v32, v8 :: v_dual_add_f32 v29, v30, v31
	v_and_b32_e32 v30, 0xffff0000, v50
	v_and_b32_e32 v31, 0xffff0000, v49
	v_dual_add_f32 v1, v1, v5 :: v_dual_and_b32 v32, 0xffff0000, v55
	v_dual_add_f32 v7, v7, v29 :: v_dual_and_b32 v34, 0xffff0000, v34
	s_delay_alu instid0(VALU_DEP_3) | instskip(SKIP_3) | instid1(VALU_DEP_4)
	v_dual_add_f32 v30, v31, v30 :: v_dual_and_b32 v31, 0xffff0000, v53
	v_and_b32_e32 v3, 0xffff0000, v3
	v_and_b32_e32 v41, 0xffff0000, v88
	v_add_co_u32 v10, s0, v10, 16
	v_add_f32_e32 v8, v30, v8
	v_and_b32_e32 v30, 0xffff0000, v60
	v_and_b32_e32 v33, 0xffff0000, v33
	v_add_nc_u32_e32 v26, 64, v26
	v_add_co_ci_u32_e64 v11, s0, 0, v11, s0
	s_delay_alu instid0(VALU_DEP_4) | instskip(SKIP_4) | instid1(VALU_DEP_4)
	v_add_f32_e32 v30, v37, v30
	v_and_b32_e32 v29, 0xffff0000, v54
	v_add_f32_e32 v1, v1, v2
	v_dual_add_f32 v2, v3, v34 :: v_dual_add_nc_u32 v9, 4, v9
	v_add_nc_u32_e32 v27, 0x100, v27
	v_add_f32_e32 v29, v31, v29
	v_dual_add_f32 v28, v28, v33 :: v_dual_and_b32 v33, 0xffff0000, v56
	s_delay_alu instid0(VALU_DEP_4) | instskip(SKIP_1) | instid1(VALU_DEP_3)
	v_add_f32_e32 v1, v1, v2
	v_cmp_le_i32_e32 vcc_lo, s17, v9
	v_dual_add_f32 v8, v8, v29 :: v_dual_add_f32 v7, v7, v28
	s_delay_alu instid0(VALU_DEP_4)
	v_add_f32_e32 v29, v32, v33
	v_and_b32_e32 v31, 0xffff0000, v58
	v_and_b32_e32 v33, 0xffff0000, v61
	s_or_b32 s3, vcc_lo, s3
	v_add_f32_e32 v18, v18, v7
	v_dual_add_f32 v8, v8, v29 :: v_dual_and_b32 v7, 0xffff0000, v63
	s_delay_alu instid0(VALU_DEP_1) | instskip(SKIP_1) | instid1(VALU_DEP_1)
	v_add_f32_e32 v23, v23, v8
	v_and_b32_e32 v8, 0xffff0000, v64
	v_dual_add_f32 v7, v7, v8 :: v_dual_and_b32 v32, 0xffff0000, v62
	s_delay_alu instid0(VALU_DEP_1) | instskip(SKIP_1) | instid1(VALU_DEP_1)
	v_add_f32_e32 v29, v33, v32
	v_dual_add_f32 v31, v36, v31 :: v_dual_and_b32 v36, 0xffff0000, v73
	v_dual_add_f32 v28, v31, v30 :: v_dual_and_b32 v31, 0xffff0000, v65
	s_delay_alu instid0(VALU_DEP_1) | instskip(NEXT) | instid1(VALU_DEP_1)
	v_add_f32_e32 v28, v28, v29
	v_dual_add_f32 v7, v28, v7 :: v_dual_and_b32 v8, 0xffff0000, v70
	v_and_b32_e32 v37, 0xffff0000, v75
	v_and_b32_e32 v30, 0xffff0000, v66
	s_delay_alu instid0(VALU_DEP_3) | instskip(NEXT) | instid1(VALU_DEP_2)
	v_add_f32_e32 v22, v22, v7
	v_dual_add_f32 v30, v31, v30 :: v_dual_and_b32 v31, 0xffff0000, v76
	v_and_b32_e32 v32, 0xffff0000, v67
	s_delay_alu instid0(VALU_DEP_2) | instskip(SKIP_1) | instid1(VALU_DEP_1)
	v_add_f32_e32 v31, v37, v31
	v_and_b32_e32 v29, 0xffff0000, v68
	v_dual_add_f32 v29, v32, v29 :: v_dual_and_b32 v32, 0xffff0000, v74
	s_delay_alu instid0(VALU_DEP_1) | instskip(NEXT) | instid1(VALU_DEP_2)
	v_dual_add_f32 v29, v30, v29 :: v_dual_and_b32 v30, 0xffff0000, v78
	v_add_f32_e32 v32, v36, v32
	v_and_b32_e32 v36, 0xffff0000, v77
	s_delay_alu instid0(VALU_DEP_2) | instskip(NEXT) | instid1(VALU_DEP_2)
	v_dual_add_f32 v28, v32, v31 :: v_dual_and_b32 v33, 0xffff0000, v69
	v_add_f32_e32 v30, v36, v30
	s_delay_alu instid0(VALU_DEP_2) | instskip(SKIP_4) | instid1(VALU_DEP_4)
	v_add_f32_e32 v8, v33, v8
	v_and_b32_e32 v33, 0xffff0000, v72
	v_and_b32_e32 v31, 0xffff0000, v79
	;; [unrolled: 1-line block ×3, first 2 shown]
	v_add_f32_e32 v28, v28, v30
	v_dual_add_f32 v8, v29, v8 :: v_dual_add_f32 v29, v38, v33
	v_and_b32_e32 v3, 0xffff0000, v35
	v_and_b32_e32 v30, 0xffff0000, v86
	;; [unrolled: 1-line block ×3, first 2 shown]
	s_delay_alu instid0(VALU_DEP_3)
	v_add_f32_e32 v2, v4, v3
	v_add_f32_e32 v3, v8, v29
	v_and_b32_e32 v37, 0xffff0000, v83
	v_and_b32_e32 v38, 0xffff0000, v82
	;; [unrolled: 1-line block ×3, first 2 shown]
	v_dual_add_f32 v1, v1, v2 :: v_dual_and_b32 v40, 0xffff0000, v87
	s_delay_alu instid0(VALU_DEP_4) | instskip(NEXT) | instid1(VALU_DEP_4)
	v_add_f32_e32 v36, v37, v36
	v_dual_add_f32 v21, v21, v3 :: v_dual_add_f32 v38, v39, v38
	s_delay_alu instid0(VALU_DEP_4) | instskip(NEXT) | instid1(VALU_DEP_4)
	v_add_f32_e32 v6, v33, v30
	v_dual_add_f32 v30, v31, v32 :: v_dual_add_f32 v17, v17, v1
	s_delay_alu instid0(VALU_DEP_1) | instskip(NEXT) | instid1(VALU_DEP_1)
	v_dual_add_f32 v5, v38, v36 :: v_dual_add_f32 v4, v28, v30
	v_dual_add_f32 v5, v5, v6 :: v_dual_add_f32 v6, v40, v41
	s_delay_alu instid0(VALU_DEP_1) | instskip(NEXT) | instid1(VALU_DEP_1)
	v_dual_add_f32 v20, v20, v4 :: v_dual_add_f32 v5, v5, v6
	v_add_f32_e32 v19, v19, v5
	s_and_not1_b32 exec_lo, exec_lo, s3
	s_cbranch_execz .LBB173_303
.LBB173_33:                             ; =>This Inner Loop Header: Depth=1
	global_load_b32 v34, v[10:11], off
	ds_load_2addr_b64 v[5:8], v27 offset1:1
	ds_load_2addr_b64 v[1:4], v27 offset0:2 offset1:3
	s_mov_b32 s0, exec_lo
                                        ; implicit-def: $vgpr41
	s_waitcnt lgkmcnt(1)
	v_and_b32_e32 v28, 0x7f800000, v5
	s_delay_alu instid0(VALU_DEP_1)
	v_cmpx_ne_u32_e32 0x7f800000, v28
	s_xor_b32 s0, exec_lo, s0
; %bb.34:                               ;   in Loop: Header=BB173_33 Depth=1
	v_bfe_u32 v28, v5, 16, 1
	s_delay_alu instid0(VALU_DEP_1)
	v_add3_u32 v41, v5, v28, 0x7fff
; %bb.35:                               ;   in Loop: Header=BB173_33 Depth=1
	s_and_not1_saveexec_b32 s0, s0
; %bb.36:                               ;   in Loop: Header=BB173_33 Depth=1
	v_and_b32_e32 v28, 0xffff, v5
	v_or_b32_e32 v29, 0x10000, v5
	s_delay_alu instid0(VALU_DEP_2) | instskip(NEXT) | instid1(VALU_DEP_2)
	v_cmp_eq_u32_e32 vcc_lo, 0, v28
	v_cndmask_b32_e32 v41, v29, v5, vcc_lo
; %bb.37:                               ;   in Loop: Header=BB173_33 Depth=1
	s_or_b32 exec_lo, exec_lo, s0
	v_and_b32_e32 v5, 0x7f800000, v6
	s_mov_b32 s0, exec_lo
                                        ; implicit-def: $vgpr42
	s_delay_alu instid0(VALU_DEP_1)
	v_cmpx_ne_u32_e32 0x7f800000, v5
	s_xor_b32 s0, exec_lo, s0
; %bb.38:                               ;   in Loop: Header=BB173_33 Depth=1
	v_bfe_u32 v5, v6, 16, 1
	s_delay_alu instid0(VALU_DEP_1)
	v_add3_u32 v42, v6, v5, 0x7fff
; %bb.39:                               ;   in Loop: Header=BB173_33 Depth=1
	s_and_not1_saveexec_b32 s0, s0
; %bb.40:                               ;   in Loop: Header=BB173_33 Depth=1
	v_and_b32_e32 v5, 0xffff, v6
	v_or_b32_e32 v28, 0x10000, v6
	s_delay_alu instid0(VALU_DEP_2) | instskip(NEXT) | instid1(VALU_DEP_2)
	v_cmp_eq_u32_e32 vcc_lo, 0, v5
	v_cndmask_b32_e32 v42, v28, v6, vcc_lo
; %bb.41:                               ;   in Loop: Header=BB173_33 Depth=1
	s_or_b32 exec_lo, exec_lo, s0
	v_and_b32_e32 v5, 0x7f800000, v7
	s_mov_b32 s0, exec_lo
                                        ; implicit-def: $vgpr28
	s_delay_alu instid0(VALU_DEP_1)
	v_cmpx_ne_u32_e32 0x7f800000, v5
	s_xor_b32 s0, exec_lo, s0
; %bb.42:                               ;   in Loop: Header=BB173_33 Depth=1
	v_bfe_u32 v5, v7, 16, 1
	s_delay_alu instid0(VALU_DEP_1)
	v_add3_u32 v28, v7, v5, 0x7fff
; %bb.43:                               ;   in Loop: Header=BB173_33 Depth=1
	s_and_not1_saveexec_b32 s0, s0
; %bb.44:                               ;   in Loop: Header=BB173_33 Depth=1
	v_and_b32_e32 v5, 0xffff, v7
	v_or_b32_e32 v6, 0x10000, v7
	s_delay_alu instid0(VALU_DEP_2) | instskip(NEXT) | instid1(VALU_DEP_2)
	v_cmp_eq_u32_e32 vcc_lo, 0, v5
	v_cndmask_b32_e32 v28, v6, v7, vcc_lo
; %bb.45:                               ;   in Loop: Header=BB173_33 Depth=1
	s_or_b32 exec_lo, exec_lo, s0
	v_and_b32_e32 v5, 0x7f800000, v8
	s_mov_b32 s0, exec_lo
                                        ; implicit-def: $vgpr29
	s_delay_alu instid0(VALU_DEP_1)
	v_cmpx_ne_u32_e32 0x7f800000, v5
	s_xor_b32 s0, exec_lo, s0
; %bb.46:                               ;   in Loop: Header=BB173_33 Depth=1
	v_bfe_u32 v5, v8, 16, 1
	s_delay_alu instid0(VALU_DEP_1)
	v_add3_u32 v29, v8, v5, 0x7fff
                                        ; implicit-def: $vgpr5_vgpr6_vgpr7_vgpr8
; %bb.47:                               ;   in Loop: Header=BB173_33 Depth=1
	s_and_not1_saveexec_b32 s0, s0
; %bb.48:                               ;   in Loop: Header=BB173_33 Depth=1
	v_and_b32_e32 v5, 0xffff, v8
	v_or_b32_e32 v6, 0x10000, v8
	s_delay_alu instid0(VALU_DEP_2) | instskip(NEXT) | instid1(VALU_DEP_2)
	v_cmp_eq_u32_e32 vcc_lo, 0, v5
	v_cndmask_b32_e32 v29, v6, v8, vcc_lo
; %bb.49:                               ;   in Loop: Header=BB173_33 Depth=1
	s_or_b32 exec_lo, exec_lo, s0
	s_waitcnt lgkmcnt(0)
	v_and_b32_e32 v5, 0x7f800000, v1
	s_mov_b32 s0, exec_lo
                                        ; implicit-def: $vgpr30
	s_delay_alu instid0(VALU_DEP_1)
	v_cmpx_ne_u32_e32 0x7f800000, v5
	s_xor_b32 s0, exec_lo, s0
; %bb.50:                               ;   in Loop: Header=BB173_33 Depth=1
	v_bfe_u32 v5, v1, 16, 1
	s_delay_alu instid0(VALU_DEP_1)
	v_add3_u32 v30, v1, v5, 0x7fff
; %bb.51:                               ;   in Loop: Header=BB173_33 Depth=1
	s_and_not1_saveexec_b32 s0, s0
; %bb.52:                               ;   in Loop: Header=BB173_33 Depth=1
	v_and_b32_e32 v5, 0xffff, v1
	v_or_b32_e32 v6, 0x10000, v1
	s_delay_alu instid0(VALU_DEP_2) | instskip(NEXT) | instid1(VALU_DEP_2)
	v_cmp_eq_u32_e32 vcc_lo, 0, v5
	v_cndmask_b32_e32 v30, v6, v1, vcc_lo
; %bb.53:                               ;   in Loop: Header=BB173_33 Depth=1
	s_or_b32 exec_lo, exec_lo, s0
	v_and_b32_e32 v1, 0x7f800000, v2
	s_mov_b32 s0, exec_lo
                                        ; implicit-def: $vgpr31
	s_delay_alu instid0(VALU_DEP_1)
	v_cmpx_ne_u32_e32 0x7f800000, v1
	s_xor_b32 s0, exec_lo, s0
; %bb.54:                               ;   in Loop: Header=BB173_33 Depth=1
	v_bfe_u32 v1, v2, 16, 1
	s_delay_alu instid0(VALU_DEP_1)
	v_add3_u32 v31, v2, v1, 0x7fff
; %bb.55:                               ;   in Loop: Header=BB173_33 Depth=1
	s_and_not1_saveexec_b32 s0, s0
; %bb.56:                               ;   in Loop: Header=BB173_33 Depth=1
	v_and_b32_e32 v1, 0xffff, v2
	v_or_b32_e32 v5, 0x10000, v2
	s_delay_alu instid0(VALU_DEP_2) | instskip(NEXT) | instid1(VALU_DEP_2)
	v_cmp_eq_u32_e32 vcc_lo, 0, v1
	v_cndmask_b32_e32 v31, v5, v2, vcc_lo
; %bb.57:                               ;   in Loop: Header=BB173_33 Depth=1
	s_or_b32 exec_lo, exec_lo, s0
	v_and_b32_e32 v1, 0x7f800000, v3
	s_mov_b32 s0, exec_lo
                                        ; implicit-def: $vgpr32
	s_delay_alu instid0(VALU_DEP_1)
	v_cmpx_ne_u32_e32 0x7f800000, v1
	s_xor_b32 s0, exec_lo, s0
; %bb.58:                               ;   in Loop: Header=BB173_33 Depth=1
	v_bfe_u32 v1, v3, 16, 1
	s_delay_alu instid0(VALU_DEP_1)
	v_add3_u32 v32, v3, v1, 0x7fff
; %bb.59:                               ;   in Loop: Header=BB173_33 Depth=1
	s_and_not1_saveexec_b32 s0, s0
; %bb.60:                               ;   in Loop: Header=BB173_33 Depth=1
	v_and_b32_e32 v1, 0xffff, v3
	v_or_b32_e32 v2, 0x10000, v3
	s_delay_alu instid0(VALU_DEP_2) | instskip(NEXT) | instid1(VALU_DEP_2)
	v_cmp_eq_u32_e32 vcc_lo, 0, v1
	v_cndmask_b32_e32 v32, v2, v3, vcc_lo
; %bb.61:                               ;   in Loop: Header=BB173_33 Depth=1
	s_or_b32 exec_lo, exec_lo, s0
	v_and_b32_e32 v1, 0x7f800000, v4
	s_mov_b32 s0, exec_lo
                                        ; implicit-def: $vgpr33
	s_delay_alu instid0(VALU_DEP_1)
	v_cmpx_ne_u32_e32 0x7f800000, v1
	s_xor_b32 s0, exec_lo, s0
; %bb.62:                               ;   in Loop: Header=BB173_33 Depth=1
	v_bfe_u32 v1, v4, 16, 1
	s_delay_alu instid0(VALU_DEP_1)
	v_add3_u32 v33, v4, v1, 0x7fff
                                        ; implicit-def: $vgpr1_vgpr2_vgpr3_vgpr4
; %bb.63:                               ;   in Loop: Header=BB173_33 Depth=1
	s_and_not1_saveexec_b32 s0, s0
; %bb.64:                               ;   in Loop: Header=BB173_33 Depth=1
	v_and_b32_e32 v1, 0xffff, v4
	v_or_b32_e32 v2, 0x10000, v4
	s_delay_alu instid0(VALU_DEP_2) | instskip(NEXT) | instid1(VALU_DEP_2)
	v_cmp_eq_u32_e32 vcc_lo, 0, v1
	v_cndmask_b32_e32 v33, v2, v4, vcc_lo
; %bb.65:                               ;   in Loop: Header=BB173_33 Depth=1
	s_or_b32 exec_lo, exec_lo, s0
	s_waitcnt vmcnt(0)
	v_mad_i64_i32 v[1:2], null, v34, s5, 0
	v_add_nc_u32_e32 v34, -7, v26
	v_add_nc_u32_e32 v40, -6, v26
	;; [unrolled: 1-line block ×6, first 2 shown]
	v_lshlrev_b64 v[1:2], 1, v[1:2]
	v_add_nc_u32_e32 v39, -1, v26
	s_delay_alu instid0(VALU_DEP_2) | instskip(NEXT) | instid1(VALU_DEP_3)
	v_add_co_u32 v5, vcc_lo, v24, v1
	v_add_co_ci_u32_e32 v6, vcc_lo, v25, v2, vcc_lo
	v_cmp_eq_u32_e32 vcc_lo, s2, v9
	global_load_b128 v[1:4], v[5:6], off
	s_waitcnt vmcnt(0)
	v_lshrrev_b32_e32 v8, 16, v1
	v_lshrrev_b32_e32 v45, 16, v2
	;; [unrolled: 1-line block ×4, first 2 shown]
	s_and_saveexec_b32 s6, vcc_lo
	s_cbranch_execz .LBB173_67
; %bb.66:                               ;   in Loop: Header=BB173_33 Depth=1
	v_cmp_gt_i32_e64 s0, s30, v34
	s_delay_alu instid0(VALU_DEP_1) | instskip(SKIP_1) | instid1(VALU_DEP_1)
	v_cndmask_b32_e64 v1, 0, v1, s0
	v_cmp_gt_i32_e64 s0, s30, v40
	v_cndmask_b32_e64 v8, 0, v8, s0
	v_cmp_gt_i32_e64 s0, s30, v38
	s_delay_alu instid0(VALU_DEP_1) | instskip(SKIP_1) | instid1(VALU_DEP_1)
	v_cndmask_b32_e64 v2, 0, v2, s0
	v_cmp_gt_i32_e64 s0, s30, v37
	v_cndmask_b32_e64 v45, 0, v45, s0
	;; [unrolled: 5-line block ×4, first 2 shown]
.LBB173_67:                             ;   in Loop: Header=BB173_33 Depth=1
	s_or_b32 exec_lo, exec_lo, s6
	v_and_b32_e32 v41, 0xffff0000, v41
	v_lshlrev_b32_e32 v1, 16, v1
	s_delay_alu instid0(VALU_DEP_1) | instskip(NEXT) | instid1(VALU_DEP_1)
	v_mul_f32_e32 v1, v41, v1
	v_and_b32_e32 v7, 0x7f800000, v1
	s_delay_alu instid0(VALU_DEP_1) | instskip(NEXT) | instid1(VALU_DEP_1)
	v_cmp_ne_u32_e64 s0, 0x7f800000, v7
                                        ; implicit-def: $vgpr7
	s_and_saveexec_b32 s6, s0
	s_delay_alu instid0(SALU_CYCLE_1)
	s_xor_b32 s0, exec_lo, s6
; %bb.68:                               ;   in Loop: Header=BB173_33 Depth=1
	v_bfe_u32 v7, v1, 16, 1
	s_delay_alu instid0(VALU_DEP_1)
	v_add3_u32 v7, v1, v7, 0x7fff
                                        ; implicit-def: $vgpr1
; %bb.69:                               ;   in Loop: Header=BB173_33 Depth=1
	s_and_not1_saveexec_b32 s6, s0
; %bb.70:                               ;   in Loop: Header=BB173_33 Depth=1
	v_and_b32_e32 v7, 0xffff, v1
	v_or_b32_e32 v43, 0x10000, v1
	s_delay_alu instid0(VALU_DEP_2) | instskip(NEXT) | instid1(VALU_DEP_1)
	v_cmp_eq_u32_e64 s0, 0, v7
	v_cndmask_b32_e64 v7, v43, v1, s0
; %bb.71:                               ;   in Loop: Header=BB173_33 Depth=1
	s_or_b32 exec_lo, exec_lo, s6
	v_and_b32_e32 v42, 0xffff0000, v42
	v_lshlrev_b32_e32 v1, 16, v8
	s_delay_alu instid0(VALU_DEP_1) | instskip(NEXT) | instid1(VALU_DEP_1)
	v_mul_f32_e32 v1, v42, v1
	v_and_b32_e32 v8, 0x7f800000, v1
	s_delay_alu instid0(VALU_DEP_1) | instskip(NEXT) | instid1(VALU_DEP_1)
	v_cmp_ne_u32_e64 s0, 0x7f800000, v8
                                        ; implicit-def: $vgpr8
	s_and_saveexec_b32 s6, s0
	s_delay_alu instid0(SALU_CYCLE_1)
	s_xor_b32 s0, exec_lo, s6
; %bb.72:                               ;   in Loop: Header=BB173_33 Depth=1
	v_bfe_u32 v8, v1, 16, 1
	s_delay_alu instid0(VALU_DEP_1)
	v_add3_u32 v8, v1, v8, 0x7fff
                                        ; implicit-def: $vgpr1
; %bb.73:                               ;   in Loop: Header=BB173_33 Depth=1
	s_and_not1_saveexec_b32 s6, s0
; %bb.74:                               ;   in Loop: Header=BB173_33 Depth=1
	v_and_b32_e32 v8, 0xffff, v1
	v_or_b32_e32 v43, 0x10000, v1
	s_delay_alu instid0(VALU_DEP_2) | instskip(NEXT) | instid1(VALU_DEP_1)
	v_cmp_eq_u32_e64 s0, 0, v8
	v_cndmask_b32_e64 v8, v43, v1, s0
; %bb.75:                               ;   in Loop: Header=BB173_33 Depth=1
	s_or_b32 exec_lo, exec_lo, s6
	v_and_b32_e32 v43, 0xffff0000, v28
	v_lshlrev_b32_e32 v1, 16, v2
                                        ; implicit-def: $vgpr28
	s_delay_alu instid0(VALU_DEP_1) | instskip(NEXT) | instid1(VALU_DEP_1)
	v_mul_f32_e32 v1, v43, v1
	v_and_b32_e32 v2, 0x7f800000, v1
	s_delay_alu instid0(VALU_DEP_1) | instskip(NEXT) | instid1(VALU_DEP_1)
	v_cmp_ne_u32_e64 s0, 0x7f800000, v2
	s_and_saveexec_b32 s6, s0
	s_delay_alu instid0(SALU_CYCLE_1)
	s_xor_b32 s0, exec_lo, s6
; %bb.76:                               ;   in Loop: Header=BB173_33 Depth=1
	v_bfe_u32 v2, v1, 16, 1
	s_delay_alu instid0(VALU_DEP_1)
	v_add3_u32 v28, v1, v2, 0x7fff
                                        ; implicit-def: $vgpr1
; %bb.77:                               ;   in Loop: Header=BB173_33 Depth=1
	s_and_not1_saveexec_b32 s6, s0
; %bb.78:                               ;   in Loop: Header=BB173_33 Depth=1
	v_and_b32_e32 v2, 0xffff, v1
	v_or_b32_e32 v28, 0x10000, v1
	s_delay_alu instid0(VALU_DEP_2) | instskip(NEXT) | instid1(VALU_DEP_1)
	v_cmp_eq_u32_e64 s0, 0, v2
	v_cndmask_b32_e64 v28, v28, v1, s0
; %bb.79:                               ;   in Loop: Header=BB173_33 Depth=1
	s_or_b32 exec_lo, exec_lo, s6
	v_and_b32_e32 v44, 0xffff0000, v29
	v_lshlrev_b32_e32 v1, 16, v45
                                        ; implicit-def: $vgpr29
	s_delay_alu instid0(VALU_DEP_1) | instskip(NEXT) | instid1(VALU_DEP_1)
	v_mul_f32_e32 v1, v44, v1
	v_and_b32_e32 v2, 0x7f800000, v1
	s_delay_alu instid0(VALU_DEP_1) | instskip(NEXT) | instid1(VALU_DEP_1)
	v_cmp_ne_u32_e64 s0, 0x7f800000, v2
	s_and_saveexec_b32 s6, s0
	s_delay_alu instid0(SALU_CYCLE_1)
	s_xor_b32 s0, exec_lo, s6
; %bb.80:                               ;   in Loop: Header=BB173_33 Depth=1
	v_bfe_u32 v2, v1, 16, 1
	s_delay_alu instid0(VALU_DEP_1)
	v_add3_u32 v29, v1, v2, 0x7fff
                                        ; implicit-def: $vgpr1
; %bb.81:                               ;   in Loop: Header=BB173_33 Depth=1
	s_and_not1_saveexec_b32 s6, s0
; %bb.82:                               ;   in Loop: Header=BB173_33 Depth=1
	v_and_b32_e32 v2, 0xffff, v1
	v_or_b32_e32 v29, 0x10000, v1
	s_delay_alu instid0(VALU_DEP_2) | instskip(NEXT) | instid1(VALU_DEP_1)
	v_cmp_eq_u32_e64 s0, 0, v2
	v_cndmask_b32_e64 v29, v29, v1, s0
; %bb.83:                               ;   in Loop: Header=BB173_33 Depth=1
	s_or_b32 exec_lo, exec_lo, s6
	v_and_b32_e32 v45, 0xffff0000, v30
	v_lshlrev_b32_e32 v1, 16, v3
                                        ; implicit-def: $vgpr30
	s_delay_alu instid0(VALU_DEP_1) | instskip(NEXT) | instid1(VALU_DEP_1)
	v_mul_f32_e32 v1, v45, v1
	v_and_b32_e32 v2, 0x7f800000, v1
	s_delay_alu instid0(VALU_DEP_1) | instskip(NEXT) | instid1(VALU_DEP_1)
	v_cmp_ne_u32_e64 s0, 0x7f800000, v2
	s_and_saveexec_b32 s6, s0
	s_delay_alu instid0(SALU_CYCLE_1)
	s_xor_b32 s0, exec_lo, s6
; %bb.84:                               ;   in Loop: Header=BB173_33 Depth=1
	v_bfe_u32 v2, v1, 16, 1
	s_delay_alu instid0(VALU_DEP_1)
	v_add3_u32 v30, v1, v2, 0x7fff
                                        ; implicit-def: $vgpr1
; %bb.85:                               ;   in Loop: Header=BB173_33 Depth=1
	s_and_not1_saveexec_b32 s6, s0
; %bb.86:                               ;   in Loop: Header=BB173_33 Depth=1
	v_and_b32_e32 v2, 0xffff, v1
	v_or_b32_e32 v3, 0x10000, v1
	s_delay_alu instid0(VALU_DEP_2) | instskip(NEXT) | instid1(VALU_DEP_1)
	v_cmp_eq_u32_e64 s0, 0, v2
	v_cndmask_b32_e64 v30, v3, v1, s0
; %bb.87:                               ;   in Loop: Header=BB173_33 Depth=1
	s_or_b32 exec_lo, exec_lo, s6
	v_and_b32_e32 v46, 0xffff0000, v31
	v_lshlrev_b32_e32 v1, 16, v47
                                        ; implicit-def: $vgpr31
	s_delay_alu instid0(VALU_DEP_1) | instskip(NEXT) | instid1(VALU_DEP_1)
	v_mul_f32_e32 v1, v46, v1
	v_and_b32_e32 v2, 0x7f800000, v1
	s_delay_alu instid0(VALU_DEP_1) | instskip(NEXT) | instid1(VALU_DEP_1)
	v_cmp_ne_u32_e64 s0, 0x7f800000, v2
	s_and_saveexec_b32 s6, s0
	s_delay_alu instid0(SALU_CYCLE_1)
	s_xor_b32 s0, exec_lo, s6
; %bb.88:                               ;   in Loop: Header=BB173_33 Depth=1
	v_bfe_u32 v2, v1, 16, 1
	s_delay_alu instid0(VALU_DEP_1)
	v_add3_u32 v31, v1, v2, 0x7fff
                                        ; implicit-def: $vgpr1
; %bb.89:                               ;   in Loop: Header=BB173_33 Depth=1
	s_and_not1_saveexec_b32 s6, s0
; %bb.90:                               ;   in Loop: Header=BB173_33 Depth=1
	v_and_b32_e32 v2, 0xffff, v1
	v_or_b32_e32 v3, 0x10000, v1
	s_delay_alu instid0(VALU_DEP_2) | instskip(NEXT) | instid1(VALU_DEP_1)
	v_cmp_eq_u32_e64 s0, 0, v2
	v_cndmask_b32_e64 v31, v3, v1, s0
; %bb.91:                               ;   in Loop: Header=BB173_33 Depth=1
	s_or_b32 exec_lo, exec_lo, s6
	v_and_b32_e32 v47, 0xffff0000, v32
	v_lshlrev_b32_e32 v1, 16, v4
                                        ; implicit-def: $vgpr32
	s_delay_alu instid0(VALU_DEP_1) | instskip(NEXT) | instid1(VALU_DEP_1)
	v_mul_f32_e32 v1, v47, v1
	v_and_b32_e32 v2, 0x7f800000, v1
	s_delay_alu instid0(VALU_DEP_1) | instskip(NEXT) | instid1(VALU_DEP_1)
	v_cmp_ne_u32_e64 s0, 0x7f800000, v2
	s_and_saveexec_b32 s6, s0
	s_delay_alu instid0(SALU_CYCLE_1)
	s_xor_b32 s0, exec_lo, s6
; %bb.92:                               ;   in Loop: Header=BB173_33 Depth=1
	v_bfe_u32 v2, v1, 16, 1
	s_delay_alu instid0(VALU_DEP_1)
	v_add3_u32 v32, v1, v2, 0x7fff
                                        ; implicit-def: $vgpr1
; %bb.93:                               ;   in Loop: Header=BB173_33 Depth=1
	s_and_not1_saveexec_b32 s6, s0
; %bb.94:                               ;   in Loop: Header=BB173_33 Depth=1
	v_and_b32_e32 v2, 0xffff, v1
	v_or_b32_e32 v3, 0x10000, v1
	s_delay_alu instid0(VALU_DEP_2) | instskip(NEXT) | instid1(VALU_DEP_1)
	v_cmp_eq_u32_e64 s0, 0, v2
	v_cndmask_b32_e64 v32, v3, v1, s0
; %bb.95:                               ;   in Loop: Header=BB173_33 Depth=1
	s_or_b32 exec_lo, exec_lo, s6
	v_and_b32_e32 v48, 0xffff0000, v33
	v_lshlrev_b32_e32 v1, 16, v49
                                        ; implicit-def: $vgpr33
	s_delay_alu instid0(VALU_DEP_1) | instskip(NEXT) | instid1(VALU_DEP_1)
	v_mul_f32_e32 v1, v48, v1
	v_and_b32_e32 v2, 0x7f800000, v1
	s_delay_alu instid0(VALU_DEP_1) | instskip(NEXT) | instid1(VALU_DEP_1)
	v_cmp_ne_u32_e64 s0, 0x7f800000, v2
	s_and_saveexec_b32 s6, s0
	s_delay_alu instid0(SALU_CYCLE_1)
	s_xor_b32 s0, exec_lo, s6
; %bb.96:                               ;   in Loop: Header=BB173_33 Depth=1
	v_bfe_u32 v2, v1, 16, 1
	s_delay_alu instid0(VALU_DEP_1)
	v_add3_u32 v33, v1, v2, 0x7fff
                                        ; implicit-def: $vgpr1
; %bb.97:                               ;   in Loop: Header=BB173_33 Depth=1
	s_and_not1_saveexec_b32 s6, s0
; %bb.98:                               ;   in Loop: Header=BB173_33 Depth=1
	v_and_b32_e32 v2, 0xffff, v1
	v_or_b32_e32 v3, 0x10000, v1
	s_delay_alu instid0(VALU_DEP_2) | instskip(NEXT) | instid1(VALU_DEP_1)
	v_cmp_eq_u32_e64 s0, 0, v2
	v_cndmask_b32_e64 v33, v3, v1, s0
; %bb.99:                               ;   in Loop: Header=BB173_33 Depth=1
	s_or_b32 exec_lo, exec_lo, s6
	global_load_b128 v[1:4], v[5:6], off offset:512
	s_waitcnt vmcnt(0)
	v_lshrrev_b32_e32 v50, 16, v1
	v_lshrrev_b32_e32 v52, 16, v2
	;; [unrolled: 1-line block ×4, first 2 shown]
	s_and_saveexec_b32 s6, vcc_lo
	s_cbranch_execz .LBB173_101
; %bb.100:                              ;   in Loop: Header=BB173_33 Depth=1
	v_cmp_gt_i32_e64 s0, s30, v34
	s_delay_alu instid0(VALU_DEP_1) | instskip(SKIP_1) | instid1(VALU_DEP_1)
	v_cndmask_b32_e64 v1, 0, v1, s0
	v_cmp_gt_i32_e64 s0, s30, v40
	v_cndmask_b32_e64 v50, 0, v50, s0
	v_cmp_gt_i32_e64 s0, s30, v38
	s_delay_alu instid0(VALU_DEP_1) | instskip(SKIP_1) | instid1(VALU_DEP_1)
	v_cndmask_b32_e64 v2, 0, v2, s0
	v_cmp_gt_i32_e64 s0, s30, v37
	v_cndmask_b32_e64 v52, 0, v52, s0
	;; [unrolled: 5-line block ×4, first 2 shown]
.LBB173_101:                            ;   in Loop: Header=BB173_33 Depth=1
	s_or_b32 exec_lo, exec_lo, s6
	v_lshlrev_b32_e32 v1, 16, v1
	s_delay_alu instid0(VALU_DEP_1) | instskip(NEXT) | instid1(VALU_DEP_1)
	v_mul_f32_e32 v1, v41, v1
	v_and_b32_e32 v49, 0x7f800000, v1
	s_delay_alu instid0(VALU_DEP_1) | instskip(NEXT) | instid1(VALU_DEP_1)
	v_cmp_ne_u32_e64 s0, 0x7f800000, v49
                                        ; implicit-def: $vgpr49
	s_and_saveexec_b32 s6, s0
	s_delay_alu instid0(SALU_CYCLE_1)
	s_xor_b32 s0, exec_lo, s6
; %bb.102:                              ;   in Loop: Header=BB173_33 Depth=1
	v_bfe_u32 v49, v1, 16, 1
	s_delay_alu instid0(VALU_DEP_1)
	v_add3_u32 v49, v1, v49, 0x7fff
                                        ; implicit-def: $vgpr1
; %bb.103:                              ;   in Loop: Header=BB173_33 Depth=1
	s_and_not1_saveexec_b32 s6, s0
; %bb.104:                              ;   in Loop: Header=BB173_33 Depth=1
	v_and_b32_e32 v49, 0xffff, v1
	v_or_b32_e32 v51, 0x10000, v1
	s_delay_alu instid0(VALU_DEP_2) | instskip(NEXT) | instid1(VALU_DEP_1)
	v_cmp_eq_u32_e64 s0, 0, v49
	v_cndmask_b32_e64 v49, v51, v1, s0
; %bb.105:                              ;   in Loop: Header=BB173_33 Depth=1
	s_or_b32 exec_lo, exec_lo, s6
	v_lshlrev_b32_e32 v1, 16, v50
	s_delay_alu instid0(VALU_DEP_1) | instskip(NEXT) | instid1(VALU_DEP_1)
	v_mul_f32_e32 v1, v42, v1
	v_and_b32_e32 v50, 0x7f800000, v1
	s_delay_alu instid0(VALU_DEP_1) | instskip(NEXT) | instid1(VALU_DEP_1)
	v_cmp_ne_u32_e64 s0, 0x7f800000, v50
                                        ; implicit-def: $vgpr50
	s_and_saveexec_b32 s6, s0
	s_delay_alu instid0(SALU_CYCLE_1)
	s_xor_b32 s0, exec_lo, s6
; %bb.106:                              ;   in Loop: Header=BB173_33 Depth=1
	v_bfe_u32 v50, v1, 16, 1
	s_delay_alu instid0(VALU_DEP_1)
	v_add3_u32 v50, v1, v50, 0x7fff
                                        ; implicit-def: $vgpr1
; %bb.107:                              ;   in Loop: Header=BB173_33 Depth=1
	s_and_not1_saveexec_b32 s6, s0
; %bb.108:                              ;   in Loop: Header=BB173_33 Depth=1
	v_and_b32_e32 v50, 0xffff, v1
	v_or_b32_e32 v51, 0x10000, v1
	s_delay_alu instid0(VALU_DEP_2) | instskip(NEXT) | instid1(VALU_DEP_1)
	v_cmp_eq_u32_e64 s0, 0, v50
	v_cndmask_b32_e64 v50, v51, v1, s0
; %bb.109:                              ;   in Loop: Header=BB173_33 Depth=1
	s_or_b32 exec_lo, exec_lo, s6
	v_lshlrev_b32_e32 v1, 16, v2
                                        ; implicit-def: $vgpr51
	s_delay_alu instid0(VALU_DEP_1) | instskip(NEXT) | instid1(VALU_DEP_1)
	v_mul_f32_e32 v1, v43, v1
	v_and_b32_e32 v2, 0x7f800000, v1
	s_delay_alu instid0(VALU_DEP_1) | instskip(NEXT) | instid1(VALU_DEP_1)
	v_cmp_ne_u32_e64 s0, 0x7f800000, v2
	s_and_saveexec_b32 s6, s0
	s_delay_alu instid0(SALU_CYCLE_1)
	s_xor_b32 s0, exec_lo, s6
; %bb.110:                              ;   in Loop: Header=BB173_33 Depth=1
	v_bfe_u32 v2, v1, 16, 1
	s_delay_alu instid0(VALU_DEP_1)
	v_add3_u32 v51, v1, v2, 0x7fff
                                        ; implicit-def: $vgpr1
; %bb.111:                              ;   in Loop: Header=BB173_33 Depth=1
	s_and_not1_saveexec_b32 s6, s0
; %bb.112:                              ;   in Loop: Header=BB173_33 Depth=1
	v_and_b32_e32 v2, 0xffff, v1
	v_or_b32_e32 v51, 0x10000, v1
	s_delay_alu instid0(VALU_DEP_2) | instskip(NEXT) | instid1(VALU_DEP_1)
	v_cmp_eq_u32_e64 s0, 0, v2
	v_cndmask_b32_e64 v51, v51, v1, s0
; %bb.113:                              ;   in Loop: Header=BB173_33 Depth=1
	s_or_b32 exec_lo, exec_lo, s6
	v_lshlrev_b32_e32 v1, 16, v52
                                        ; implicit-def: $vgpr52
	s_delay_alu instid0(VALU_DEP_1) | instskip(NEXT) | instid1(VALU_DEP_1)
	v_mul_f32_e32 v1, v44, v1
	v_and_b32_e32 v2, 0x7f800000, v1
	s_delay_alu instid0(VALU_DEP_1) | instskip(NEXT) | instid1(VALU_DEP_1)
	v_cmp_ne_u32_e64 s0, 0x7f800000, v2
	s_and_saveexec_b32 s6, s0
	s_delay_alu instid0(SALU_CYCLE_1)
	s_xor_b32 s0, exec_lo, s6
; %bb.114:                              ;   in Loop: Header=BB173_33 Depth=1
	v_bfe_u32 v2, v1, 16, 1
	s_delay_alu instid0(VALU_DEP_1)
	v_add3_u32 v52, v1, v2, 0x7fff
                                        ; implicit-def: $vgpr1
; %bb.115:                              ;   in Loop: Header=BB173_33 Depth=1
	s_and_not1_saveexec_b32 s6, s0
; %bb.116:                              ;   in Loop: Header=BB173_33 Depth=1
	v_and_b32_e32 v2, 0xffff, v1
	v_or_b32_e32 v52, 0x10000, v1
	s_delay_alu instid0(VALU_DEP_2) | instskip(NEXT) | instid1(VALU_DEP_1)
	v_cmp_eq_u32_e64 s0, 0, v2
	v_cndmask_b32_e64 v52, v52, v1, s0
; %bb.117:                              ;   in Loop: Header=BB173_33 Depth=1
	s_or_b32 exec_lo, exec_lo, s6
	v_lshlrev_b32_e32 v1, 16, v3
                                        ; implicit-def: $vgpr53
	s_delay_alu instid0(VALU_DEP_1) | instskip(NEXT) | instid1(VALU_DEP_1)
	v_mul_f32_e32 v1, v45, v1
	v_and_b32_e32 v2, 0x7f800000, v1
	s_delay_alu instid0(VALU_DEP_1) | instskip(NEXT) | instid1(VALU_DEP_1)
	v_cmp_ne_u32_e64 s0, 0x7f800000, v2
	s_and_saveexec_b32 s6, s0
	s_delay_alu instid0(SALU_CYCLE_1)
	s_xor_b32 s0, exec_lo, s6
; %bb.118:                              ;   in Loop: Header=BB173_33 Depth=1
	v_bfe_u32 v2, v1, 16, 1
	s_delay_alu instid0(VALU_DEP_1)
	v_add3_u32 v53, v1, v2, 0x7fff
                                        ; implicit-def: $vgpr1
; %bb.119:                              ;   in Loop: Header=BB173_33 Depth=1
	s_and_not1_saveexec_b32 s6, s0
; %bb.120:                              ;   in Loop: Header=BB173_33 Depth=1
	v_and_b32_e32 v2, 0xffff, v1
	v_or_b32_e32 v3, 0x10000, v1
	s_delay_alu instid0(VALU_DEP_2) | instskip(NEXT) | instid1(VALU_DEP_1)
	v_cmp_eq_u32_e64 s0, 0, v2
	v_cndmask_b32_e64 v53, v3, v1, s0
; %bb.121:                              ;   in Loop: Header=BB173_33 Depth=1
	s_or_b32 exec_lo, exec_lo, s6
	v_lshlrev_b32_e32 v1, 16, v54
                                        ; implicit-def: $vgpr54
	s_delay_alu instid0(VALU_DEP_1) | instskip(NEXT) | instid1(VALU_DEP_1)
	v_mul_f32_e32 v1, v46, v1
	v_and_b32_e32 v2, 0x7f800000, v1
	s_delay_alu instid0(VALU_DEP_1) | instskip(NEXT) | instid1(VALU_DEP_1)
	v_cmp_ne_u32_e64 s0, 0x7f800000, v2
	s_and_saveexec_b32 s6, s0
	s_delay_alu instid0(SALU_CYCLE_1)
	s_xor_b32 s0, exec_lo, s6
; %bb.122:                              ;   in Loop: Header=BB173_33 Depth=1
	v_bfe_u32 v2, v1, 16, 1
	s_delay_alu instid0(VALU_DEP_1)
	v_add3_u32 v54, v1, v2, 0x7fff
                                        ; implicit-def: $vgpr1
; %bb.123:                              ;   in Loop: Header=BB173_33 Depth=1
	s_and_not1_saveexec_b32 s6, s0
; %bb.124:                              ;   in Loop: Header=BB173_33 Depth=1
	v_and_b32_e32 v2, 0xffff, v1
	v_or_b32_e32 v3, 0x10000, v1
	s_delay_alu instid0(VALU_DEP_2) | instskip(NEXT) | instid1(VALU_DEP_1)
	v_cmp_eq_u32_e64 s0, 0, v2
	v_cndmask_b32_e64 v54, v3, v1, s0
; %bb.125:                              ;   in Loop: Header=BB173_33 Depth=1
	s_or_b32 exec_lo, exec_lo, s6
	v_lshlrev_b32_e32 v1, 16, v4
                                        ; implicit-def: $vgpr55
	s_delay_alu instid0(VALU_DEP_1) | instskip(NEXT) | instid1(VALU_DEP_1)
	v_mul_f32_e32 v1, v47, v1
	v_and_b32_e32 v2, 0x7f800000, v1
	s_delay_alu instid0(VALU_DEP_1) | instskip(NEXT) | instid1(VALU_DEP_1)
	v_cmp_ne_u32_e64 s0, 0x7f800000, v2
	s_and_saveexec_b32 s6, s0
	s_delay_alu instid0(SALU_CYCLE_1)
	s_xor_b32 s0, exec_lo, s6
; %bb.126:                              ;   in Loop: Header=BB173_33 Depth=1
	v_bfe_u32 v2, v1, 16, 1
	s_delay_alu instid0(VALU_DEP_1)
	v_add3_u32 v55, v1, v2, 0x7fff
                                        ; implicit-def: $vgpr1
; %bb.127:                              ;   in Loop: Header=BB173_33 Depth=1
	s_and_not1_saveexec_b32 s6, s0
; %bb.128:                              ;   in Loop: Header=BB173_33 Depth=1
	v_and_b32_e32 v2, 0xffff, v1
	v_or_b32_e32 v3, 0x10000, v1
	s_delay_alu instid0(VALU_DEP_2) | instskip(NEXT) | instid1(VALU_DEP_1)
	v_cmp_eq_u32_e64 s0, 0, v2
	v_cndmask_b32_e64 v55, v3, v1, s0
; %bb.129:                              ;   in Loop: Header=BB173_33 Depth=1
	s_or_b32 exec_lo, exec_lo, s6
	v_lshlrev_b32_e32 v1, 16, v56
                                        ; implicit-def: $vgpr56
	s_delay_alu instid0(VALU_DEP_1) | instskip(NEXT) | instid1(VALU_DEP_1)
	v_mul_f32_e32 v1, v48, v1
	v_and_b32_e32 v2, 0x7f800000, v1
	s_delay_alu instid0(VALU_DEP_1) | instskip(NEXT) | instid1(VALU_DEP_1)
	v_cmp_ne_u32_e64 s0, 0x7f800000, v2
	s_and_saveexec_b32 s6, s0
	s_delay_alu instid0(SALU_CYCLE_1)
	s_xor_b32 s0, exec_lo, s6
; %bb.130:                              ;   in Loop: Header=BB173_33 Depth=1
	v_bfe_u32 v2, v1, 16, 1
	s_delay_alu instid0(VALU_DEP_1)
	v_add3_u32 v56, v1, v2, 0x7fff
                                        ; implicit-def: $vgpr1
; %bb.131:                              ;   in Loop: Header=BB173_33 Depth=1
	s_and_not1_saveexec_b32 s6, s0
; %bb.132:                              ;   in Loop: Header=BB173_33 Depth=1
	v_and_b32_e32 v2, 0xffff, v1
	v_or_b32_e32 v3, 0x10000, v1
	s_delay_alu instid0(VALU_DEP_2) | instskip(NEXT) | instid1(VALU_DEP_1)
	v_cmp_eq_u32_e64 s0, 0, v2
	v_cndmask_b32_e64 v56, v3, v1, s0
; %bb.133:                              ;   in Loop: Header=BB173_33 Depth=1
	s_or_b32 exec_lo, exec_lo, s6
	global_load_b128 v[1:4], v[5:6], off offset:1024
	s_waitcnt vmcnt(0)
	v_lshrrev_b32_e32 v58, 16, v1
	v_lshrrev_b32_e32 v60, 16, v2
	;; [unrolled: 1-line block ×4, first 2 shown]
	s_and_saveexec_b32 s6, vcc_lo
	s_cbranch_execz .LBB173_135
; %bb.134:                              ;   in Loop: Header=BB173_33 Depth=1
	v_cmp_gt_i32_e64 s0, s30, v34
	s_delay_alu instid0(VALU_DEP_1) | instskip(SKIP_1) | instid1(VALU_DEP_1)
	v_cndmask_b32_e64 v1, 0, v1, s0
	v_cmp_gt_i32_e64 s0, s30, v40
	v_cndmask_b32_e64 v58, 0, v58, s0
	v_cmp_gt_i32_e64 s0, s30, v38
	s_delay_alu instid0(VALU_DEP_1) | instskip(SKIP_1) | instid1(VALU_DEP_1)
	v_cndmask_b32_e64 v2, 0, v2, s0
	v_cmp_gt_i32_e64 s0, s30, v37
	v_cndmask_b32_e64 v60, 0, v60, s0
	;; [unrolled: 5-line block ×4, first 2 shown]
.LBB173_135:                            ;   in Loop: Header=BB173_33 Depth=1
	s_or_b32 exec_lo, exec_lo, s6
	v_lshlrev_b32_e32 v1, 16, v1
	s_delay_alu instid0(VALU_DEP_1) | instskip(NEXT) | instid1(VALU_DEP_1)
	v_mul_f32_e32 v1, v41, v1
	v_and_b32_e32 v57, 0x7f800000, v1
	s_delay_alu instid0(VALU_DEP_1) | instskip(NEXT) | instid1(VALU_DEP_1)
	v_cmp_ne_u32_e64 s0, 0x7f800000, v57
                                        ; implicit-def: $vgpr57
	s_and_saveexec_b32 s6, s0
	s_delay_alu instid0(SALU_CYCLE_1)
	s_xor_b32 s0, exec_lo, s6
; %bb.136:                              ;   in Loop: Header=BB173_33 Depth=1
	v_bfe_u32 v57, v1, 16, 1
	s_delay_alu instid0(VALU_DEP_1)
	v_add3_u32 v57, v1, v57, 0x7fff
                                        ; implicit-def: $vgpr1
; %bb.137:                              ;   in Loop: Header=BB173_33 Depth=1
	s_and_not1_saveexec_b32 s6, s0
; %bb.138:                              ;   in Loop: Header=BB173_33 Depth=1
	v_and_b32_e32 v57, 0xffff, v1
	v_or_b32_e32 v59, 0x10000, v1
	s_delay_alu instid0(VALU_DEP_2) | instskip(NEXT) | instid1(VALU_DEP_1)
	v_cmp_eq_u32_e64 s0, 0, v57
	v_cndmask_b32_e64 v57, v59, v1, s0
; %bb.139:                              ;   in Loop: Header=BB173_33 Depth=1
	s_or_b32 exec_lo, exec_lo, s6
	v_lshlrev_b32_e32 v1, 16, v58
	s_delay_alu instid0(VALU_DEP_1) | instskip(NEXT) | instid1(VALU_DEP_1)
	v_mul_f32_e32 v1, v42, v1
	v_and_b32_e32 v58, 0x7f800000, v1
	s_delay_alu instid0(VALU_DEP_1) | instskip(NEXT) | instid1(VALU_DEP_1)
	v_cmp_ne_u32_e64 s0, 0x7f800000, v58
                                        ; implicit-def: $vgpr58
	s_and_saveexec_b32 s6, s0
	s_delay_alu instid0(SALU_CYCLE_1)
	s_xor_b32 s0, exec_lo, s6
; %bb.140:                              ;   in Loop: Header=BB173_33 Depth=1
	v_bfe_u32 v58, v1, 16, 1
	s_delay_alu instid0(VALU_DEP_1)
	v_add3_u32 v58, v1, v58, 0x7fff
                                        ; implicit-def: $vgpr1
; %bb.141:                              ;   in Loop: Header=BB173_33 Depth=1
	s_and_not1_saveexec_b32 s6, s0
; %bb.142:                              ;   in Loop: Header=BB173_33 Depth=1
	v_and_b32_e32 v58, 0xffff, v1
	v_or_b32_e32 v59, 0x10000, v1
	s_delay_alu instid0(VALU_DEP_2) | instskip(NEXT) | instid1(VALU_DEP_1)
	v_cmp_eq_u32_e64 s0, 0, v58
	v_cndmask_b32_e64 v58, v59, v1, s0
; %bb.143:                              ;   in Loop: Header=BB173_33 Depth=1
	s_or_b32 exec_lo, exec_lo, s6
	v_lshlrev_b32_e32 v1, 16, v2
                                        ; implicit-def: $vgpr59
	s_delay_alu instid0(VALU_DEP_1) | instskip(NEXT) | instid1(VALU_DEP_1)
	v_mul_f32_e32 v1, v43, v1
	v_and_b32_e32 v2, 0x7f800000, v1
	s_delay_alu instid0(VALU_DEP_1) | instskip(NEXT) | instid1(VALU_DEP_1)
	v_cmp_ne_u32_e64 s0, 0x7f800000, v2
	s_and_saveexec_b32 s6, s0
	s_delay_alu instid0(SALU_CYCLE_1)
	s_xor_b32 s0, exec_lo, s6
; %bb.144:                              ;   in Loop: Header=BB173_33 Depth=1
	v_bfe_u32 v2, v1, 16, 1
	s_delay_alu instid0(VALU_DEP_1)
	v_add3_u32 v59, v1, v2, 0x7fff
                                        ; implicit-def: $vgpr1
; %bb.145:                              ;   in Loop: Header=BB173_33 Depth=1
	s_and_not1_saveexec_b32 s6, s0
; %bb.146:                              ;   in Loop: Header=BB173_33 Depth=1
	v_and_b32_e32 v2, 0xffff, v1
	v_or_b32_e32 v59, 0x10000, v1
	s_delay_alu instid0(VALU_DEP_2) | instskip(NEXT) | instid1(VALU_DEP_1)
	v_cmp_eq_u32_e64 s0, 0, v2
	v_cndmask_b32_e64 v59, v59, v1, s0
; %bb.147:                              ;   in Loop: Header=BB173_33 Depth=1
	s_or_b32 exec_lo, exec_lo, s6
	v_lshlrev_b32_e32 v1, 16, v60
                                        ; implicit-def: $vgpr60
	s_delay_alu instid0(VALU_DEP_1) | instskip(NEXT) | instid1(VALU_DEP_1)
	v_mul_f32_e32 v1, v44, v1
	v_and_b32_e32 v2, 0x7f800000, v1
	s_delay_alu instid0(VALU_DEP_1) | instskip(NEXT) | instid1(VALU_DEP_1)
	v_cmp_ne_u32_e64 s0, 0x7f800000, v2
	s_and_saveexec_b32 s6, s0
	s_delay_alu instid0(SALU_CYCLE_1)
	s_xor_b32 s0, exec_lo, s6
; %bb.148:                              ;   in Loop: Header=BB173_33 Depth=1
	v_bfe_u32 v2, v1, 16, 1
	s_delay_alu instid0(VALU_DEP_1)
	v_add3_u32 v60, v1, v2, 0x7fff
                                        ; implicit-def: $vgpr1
; %bb.149:                              ;   in Loop: Header=BB173_33 Depth=1
	s_and_not1_saveexec_b32 s6, s0
; %bb.150:                              ;   in Loop: Header=BB173_33 Depth=1
	v_and_b32_e32 v2, 0xffff, v1
	v_or_b32_e32 v60, 0x10000, v1
	s_delay_alu instid0(VALU_DEP_2) | instskip(NEXT) | instid1(VALU_DEP_1)
	v_cmp_eq_u32_e64 s0, 0, v2
	v_cndmask_b32_e64 v60, v60, v1, s0
; %bb.151:                              ;   in Loop: Header=BB173_33 Depth=1
	s_or_b32 exec_lo, exec_lo, s6
	v_lshlrev_b32_e32 v1, 16, v3
                                        ; implicit-def: $vgpr61
	s_delay_alu instid0(VALU_DEP_1) | instskip(NEXT) | instid1(VALU_DEP_1)
	v_mul_f32_e32 v1, v45, v1
	v_and_b32_e32 v2, 0x7f800000, v1
	s_delay_alu instid0(VALU_DEP_1) | instskip(NEXT) | instid1(VALU_DEP_1)
	v_cmp_ne_u32_e64 s0, 0x7f800000, v2
	s_and_saveexec_b32 s6, s0
	s_delay_alu instid0(SALU_CYCLE_1)
	s_xor_b32 s0, exec_lo, s6
; %bb.152:                              ;   in Loop: Header=BB173_33 Depth=1
	v_bfe_u32 v2, v1, 16, 1
	s_delay_alu instid0(VALU_DEP_1)
	v_add3_u32 v61, v1, v2, 0x7fff
                                        ; implicit-def: $vgpr1
; %bb.153:                              ;   in Loop: Header=BB173_33 Depth=1
	s_and_not1_saveexec_b32 s6, s0
; %bb.154:                              ;   in Loop: Header=BB173_33 Depth=1
	v_and_b32_e32 v2, 0xffff, v1
	v_or_b32_e32 v3, 0x10000, v1
	s_delay_alu instid0(VALU_DEP_2) | instskip(NEXT) | instid1(VALU_DEP_1)
	v_cmp_eq_u32_e64 s0, 0, v2
	v_cndmask_b32_e64 v61, v3, v1, s0
; %bb.155:                              ;   in Loop: Header=BB173_33 Depth=1
	s_or_b32 exec_lo, exec_lo, s6
	v_lshlrev_b32_e32 v1, 16, v62
                                        ; implicit-def: $vgpr62
	s_delay_alu instid0(VALU_DEP_1) | instskip(NEXT) | instid1(VALU_DEP_1)
	v_mul_f32_e32 v1, v46, v1
	v_and_b32_e32 v2, 0x7f800000, v1
	s_delay_alu instid0(VALU_DEP_1) | instskip(NEXT) | instid1(VALU_DEP_1)
	v_cmp_ne_u32_e64 s0, 0x7f800000, v2
	s_and_saveexec_b32 s6, s0
	s_delay_alu instid0(SALU_CYCLE_1)
	s_xor_b32 s0, exec_lo, s6
; %bb.156:                              ;   in Loop: Header=BB173_33 Depth=1
	v_bfe_u32 v2, v1, 16, 1
	s_delay_alu instid0(VALU_DEP_1)
	v_add3_u32 v62, v1, v2, 0x7fff
                                        ; implicit-def: $vgpr1
; %bb.157:                              ;   in Loop: Header=BB173_33 Depth=1
	s_and_not1_saveexec_b32 s6, s0
; %bb.158:                              ;   in Loop: Header=BB173_33 Depth=1
	v_and_b32_e32 v2, 0xffff, v1
	v_or_b32_e32 v3, 0x10000, v1
	s_delay_alu instid0(VALU_DEP_2) | instskip(NEXT) | instid1(VALU_DEP_1)
	v_cmp_eq_u32_e64 s0, 0, v2
	v_cndmask_b32_e64 v62, v3, v1, s0
; %bb.159:                              ;   in Loop: Header=BB173_33 Depth=1
	s_or_b32 exec_lo, exec_lo, s6
	v_lshlrev_b32_e32 v1, 16, v4
                                        ; implicit-def: $vgpr63
	s_delay_alu instid0(VALU_DEP_1) | instskip(NEXT) | instid1(VALU_DEP_1)
	v_mul_f32_e32 v1, v47, v1
	v_and_b32_e32 v2, 0x7f800000, v1
	s_delay_alu instid0(VALU_DEP_1) | instskip(NEXT) | instid1(VALU_DEP_1)
	v_cmp_ne_u32_e64 s0, 0x7f800000, v2
	s_and_saveexec_b32 s6, s0
	s_delay_alu instid0(SALU_CYCLE_1)
	s_xor_b32 s0, exec_lo, s6
; %bb.160:                              ;   in Loop: Header=BB173_33 Depth=1
	v_bfe_u32 v2, v1, 16, 1
	s_delay_alu instid0(VALU_DEP_1)
	v_add3_u32 v63, v1, v2, 0x7fff
                                        ; implicit-def: $vgpr1
; %bb.161:                              ;   in Loop: Header=BB173_33 Depth=1
	s_and_not1_saveexec_b32 s6, s0
; %bb.162:                              ;   in Loop: Header=BB173_33 Depth=1
	v_and_b32_e32 v2, 0xffff, v1
	v_or_b32_e32 v3, 0x10000, v1
	s_delay_alu instid0(VALU_DEP_2) | instskip(NEXT) | instid1(VALU_DEP_1)
	v_cmp_eq_u32_e64 s0, 0, v2
	v_cndmask_b32_e64 v63, v3, v1, s0
; %bb.163:                              ;   in Loop: Header=BB173_33 Depth=1
	s_or_b32 exec_lo, exec_lo, s6
	v_lshlrev_b32_e32 v1, 16, v64
                                        ; implicit-def: $vgpr64
	s_delay_alu instid0(VALU_DEP_1) | instskip(NEXT) | instid1(VALU_DEP_1)
	v_mul_f32_e32 v1, v48, v1
	v_and_b32_e32 v2, 0x7f800000, v1
	s_delay_alu instid0(VALU_DEP_1) | instskip(NEXT) | instid1(VALU_DEP_1)
	v_cmp_ne_u32_e64 s0, 0x7f800000, v2
	s_and_saveexec_b32 s6, s0
	s_delay_alu instid0(SALU_CYCLE_1)
	s_xor_b32 s0, exec_lo, s6
; %bb.164:                              ;   in Loop: Header=BB173_33 Depth=1
	v_bfe_u32 v2, v1, 16, 1
	s_delay_alu instid0(VALU_DEP_1)
	v_add3_u32 v64, v1, v2, 0x7fff
                                        ; implicit-def: $vgpr1
; %bb.165:                              ;   in Loop: Header=BB173_33 Depth=1
	s_and_not1_saveexec_b32 s6, s0
; %bb.166:                              ;   in Loop: Header=BB173_33 Depth=1
	v_and_b32_e32 v2, 0xffff, v1
	v_or_b32_e32 v3, 0x10000, v1
	s_delay_alu instid0(VALU_DEP_2) | instskip(NEXT) | instid1(VALU_DEP_1)
	v_cmp_eq_u32_e64 s0, 0, v2
	v_cndmask_b32_e64 v64, v3, v1, s0
; %bb.167:                              ;   in Loop: Header=BB173_33 Depth=1
	s_or_b32 exec_lo, exec_lo, s6
	global_load_b128 v[1:4], v[5:6], off offset:1536
	s_waitcnt vmcnt(0)
	v_lshrrev_b32_e32 v66, 16, v1
	v_lshrrev_b32_e32 v68, 16, v2
	;; [unrolled: 1-line block ×4, first 2 shown]
	s_and_saveexec_b32 s6, vcc_lo
	s_cbranch_execz .LBB173_169
; %bb.168:                              ;   in Loop: Header=BB173_33 Depth=1
	v_cmp_gt_i32_e64 s0, s30, v34
	s_delay_alu instid0(VALU_DEP_1) | instskip(SKIP_1) | instid1(VALU_DEP_1)
	v_cndmask_b32_e64 v1, 0, v1, s0
	v_cmp_gt_i32_e64 s0, s30, v40
	v_cndmask_b32_e64 v66, 0, v66, s0
	v_cmp_gt_i32_e64 s0, s30, v38
	s_delay_alu instid0(VALU_DEP_1) | instskip(SKIP_1) | instid1(VALU_DEP_1)
	v_cndmask_b32_e64 v2, 0, v2, s0
	v_cmp_gt_i32_e64 s0, s30, v37
	v_cndmask_b32_e64 v68, 0, v68, s0
	;; [unrolled: 5-line block ×4, first 2 shown]
.LBB173_169:                            ;   in Loop: Header=BB173_33 Depth=1
	s_or_b32 exec_lo, exec_lo, s6
	v_lshlrev_b32_e32 v1, 16, v1
	s_delay_alu instid0(VALU_DEP_1) | instskip(NEXT) | instid1(VALU_DEP_1)
	v_mul_f32_e32 v1, v41, v1
	v_and_b32_e32 v65, 0x7f800000, v1
	s_delay_alu instid0(VALU_DEP_1) | instskip(NEXT) | instid1(VALU_DEP_1)
	v_cmp_ne_u32_e64 s0, 0x7f800000, v65
                                        ; implicit-def: $vgpr65
	s_and_saveexec_b32 s6, s0
	s_delay_alu instid0(SALU_CYCLE_1)
	s_xor_b32 s0, exec_lo, s6
; %bb.170:                              ;   in Loop: Header=BB173_33 Depth=1
	v_bfe_u32 v65, v1, 16, 1
	s_delay_alu instid0(VALU_DEP_1)
	v_add3_u32 v65, v1, v65, 0x7fff
                                        ; implicit-def: $vgpr1
; %bb.171:                              ;   in Loop: Header=BB173_33 Depth=1
	s_and_not1_saveexec_b32 s6, s0
; %bb.172:                              ;   in Loop: Header=BB173_33 Depth=1
	v_and_b32_e32 v65, 0xffff, v1
	v_or_b32_e32 v67, 0x10000, v1
	s_delay_alu instid0(VALU_DEP_2) | instskip(NEXT) | instid1(VALU_DEP_1)
	v_cmp_eq_u32_e64 s0, 0, v65
	v_cndmask_b32_e64 v65, v67, v1, s0
; %bb.173:                              ;   in Loop: Header=BB173_33 Depth=1
	s_or_b32 exec_lo, exec_lo, s6
	v_lshlrev_b32_e32 v1, 16, v66
	s_delay_alu instid0(VALU_DEP_1) | instskip(NEXT) | instid1(VALU_DEP_1)
	v_mul_f32_e32 v1, v42, v1
	v_and_b32_e32 v66, 0x7f800000, v1
	s_delay_alu instid0(VALU_DEP_1) | instskip(NEXT) | instid1(VALU_DEP_1)
	v_cmp_ne_u32_e64 s0, 0x7f800000, v66
                                        ; implicit-def: $vgpr66
	s_and_saveexec_b32 s6, s0
	s_delay_alu instid0(SALU_CYCLE_1)
	s_xor_b32 s0, exec_lo, s6
; %bb.174:                              ;   in Loop: Header=BB173_33 Depth=1
	v_bfe_u32 v66, v1, 16, 1
	s_delay_alu instid0(VALU_DEP_1)
	v_add3_u32 v66, v1, v66, 0x7fff
                                        ; implicit-def: $vgpr1
; %bb.175:                              ;   in Loop: Header=BB173_33 Depth=1
	s_and_not1_saveexec_b32 s6, s0
; %bb.176:                              ;   in Loop: Header=BB173_33 Depth=1
	v_and_b32_e32 v66, 0xffff, v1
	v_or_b32_e32 v67, 0x10000, v1
	s_delay_alu instid0(VALU_DEP_2) | instskip(NEXT) | instid1(VALU_DEP_1)
	v_cmp_eq_u32_e64 s0, 0, v66
	v_cndmask_b32_e64 v66, v67, v1, s0
; %bb.177:                              ;   in Loop: Header=BB173_33 Depth=1
	s_or_b32 exec_lo, exec_lo, s6
	v_lshlrev_b32_e32 v1, 16, v2
                                        ; implicit-def: $vgpr67
	s_delay_alu instid0(VALU_DEP_1) | instskip(NEXT) | instid1(VALU_DEP_1)
	v_mul_f32_e32 v1, v43, v1
	v_and_b32_e32 v2, 0x7f800000, v1
	s_delay_alu instid0(VALU_DEP_1) | instskip(NEXT) | instid1(VALU_DEP_1)
	v_cmp_ne_u32_e64 s0, 0x7f800000, v2
	s_and_saveexec_b32 s6, s0
	s_delay_alu instid0(SALU_CYCLE_1)
	s_xor_b32 s0, exec_lo, s6
; %bb.178:                              ;   in Loop: Header=BB173_33 Depth=1
	v_bfe_u32 v2, v1, 16, 1
	s_delay_alu instid0(VALU_DEP_1)
	v_add3_u32 v67, v1, v2, 0x7fff
                                        ; implicit-def: $vgpr1
; %bb.179:                              ;   in Loop: Header=BB173_33 Depth=1
	s_and_not1_saveexec_b32 s6, s0
; %bb.180:                              ;   in Loop: Header=BB173_33 Depth=1
	v_and_b32_e32 v2, 0xffff, v1
	v_or_b32_e32 v67, 0x10000, v1
	s_delay_alu instid0(VALU_DEP_2) | instskip(NEXT) | instid1(VALU_DEP_1)
	v_cmp_eq_u32_e64 s0, 0, v2
	v_cndmask_b32_e64 v67, v67, v1, s0
; %bb.181:                              ;   in Loop: Header=BB173_33 Depth=1
	s_or_b32 exec_lo, exec_lo, s6
	v_lshlrev_b32_e32 v1, 16, v68
                                        ; implicit-def: $vgpr68
	s_delay_alu instid0(VALU_DEP_1) | instskip(NEXT) | instid1(VALU_DEP_1)
	v_mul_f32_e32 v1, v44, v1
	v_and_b32_e32 v2, 0x7f800000, v1
	s_delay_alu instid0(VALU_DEP_1) | instskip(NEXT) | instid1(VALU_DEP_1)
	v_cmp_ne_u32_e64 s0, 0x7f800000, v2
	s_and_saveexec_b32 s6, s0
	s_delay_alu instid0(SALU_CYCLE_1)
	s_xor_b32 s0, exec_lo, s6
; %bb.182:                              ;   in Loop: Header=BB173_33 Depth=1
	v_bfe_u32 v2, v1, 16, 1
	s_delay_alu instid0(VALU_DEP_1)
	v_add3_u32 v68, v1, v2, 0x7fff
                                        ; implicit-def: $vgpr1
; %bb.183:                              ;   in Loop: Header=BB173_33 Depth=1
	s_and_not1_saveexec_b32 s6, s0
; %bb.184:                              ;   in Loop: Header=BB173_33 Depth=1
	v_and_b32_e32 v2, 0xffff, v1
	v_or_b32_e32 v68, 0x10000, v1
	s_delay_alu instid0(VALU_DEP_2) | instskip(NEXT) | instid1(VALU_DEP_1)
	v_cmp_eq_u32_e64 s0, 0, v2
	v_cndmask_b32_e64 v68, v68, v1, s0
; %bb.185:                              ;   in Loop: Header=BB173_33 Depth=1
	s_or_b32 exec_lo, exec_lo, s6
	v_lshlrev_b32_e32 v1, 16, v3
                                        ; implicit-def: $vgpr69
	s_delay_alu instid0(VALU_DEP_1) | instskip(NEXT) | instid1(VALU_DEP_1)
	v_mul_f32_e32 v1, v45, v1
	v_and_b32_e32 v2, 0x7f800000, v1
	s_delay_alu instid0(VALU_DEP_1) | instskip(NEXT) | instid1(VALU_DEP_1)
	v_cmp_ne_u32_e64 s0, 0x7f800000, v2
	s_and_saveexec_b32 s6, s0
	s_delay_alu instid0(SALU_CYCLE_1)
	s_xor_b32 s0, exec_lo, s6
; %bb.186:                              ;   in Loop: Header=BB173_33 Depth=1
	v_bfe_u32 v2, v1, 16, 1
	s_delay_alu instid0(VALU_DEP_1)
	v_add3_u32 v69, v1, v2, 0x7fff
                                        ; implicit-def: $vgpr1
; %bb.187:                              ;   in Loop: Header=BB173_33 Depth=1
	s_and_not1_saveexec_b32 s6, s0
; %bb.188:                              ;   in Loop: Header=BB173_33 Depth=1
	v_and_b32_e32 v2, 0xffff, v1
	v_or_b32_e32 v3, 0x10000, v1
	s_delay_alu instid0(VALU_DEP_2) | instskip(NEXT) | instid1(VALU_DEP_1)
	v_cmp_eq_u32_e64 s0, 0, v2
	v_cndmask_b32_e64 v69, v3, v1, s0
; %bb.189:                              ;   in Loop: Header=BB173_33 Depth=1
	s_or_b32 exec_lo, exec_lo, s6
	v_lshlrev_b32_e32 v1, 16, v70
                                        ; implicit-def: $vgpr70
	s_delay_alu instid0(VALU_DEP_1) | instskip(NEXT) | instid1(VALU_DEP_1)
	v_mul_f32_e32 v1, v46, v1
	v_and_b32_e32 v2, 0x7f800000, v1
	s_delay_alu instid0(VALU_DEP_1) | instskip(NEXT) | instid1(VALU_DEP_1)
	v_cmp_ne_u32_e64 s0, 0x7f800000, v2
	s_and_saveexec_b32 s6, s0
	s_delay_alu instid0(SALU_CYCLE_1)
	s_xor_b32 s0, exec_lo, s6
; %bb.190:                              ;   in Loop: Header=BB173_33 Depth=1
	v_bfe_u32 v2, v1, 16, 1
	s_delay_alu instid0(VALU_DEP_1)
	v_add3_u32 v70, v1, v2, 0x7fff
                                        ; implicit-def: $vgpr1
; %bb.191:                              ;   in Loop: Header=BB173_33 Depth=1
	s_and_not1_saveexec_b32 s6, s0
; %bb.192:                              ;   in Loop: Header=BB173_33 Depth=1
	v_and_b32_e32 v2, 0xffff, v1
	v_or_b32_e32 v3, 0x10000, v1
	s_delay_alu instid0(VALU_DEP_2) | instskip(NEXT) | instid1(VALU_DEP_1)
	v_cmp_eq_u32_e64 s0, 0, v2
	v_cndmask_b32_e64 v70, v3, v1, s0
; %bb.193:                              ;   in Loop: Header=BB173_33 Depth=1
	s_or_b32 exec_lo, exec_lo, s6
	v_lshlrev_b32_e32 v1, 16, v4
                                        ; implicit-def: $vgpr71
	s_delay_alu instid0(VALU_DEP_1) | instskip(NEXT) | instid1(VALU_DEP_1)
	v_mul_f32_e32 v1, v47, v1
	v_and_b32_e32 v2, 0x7f800000, v1
	s_delay_alu instid0(VALU_DEP_1) | instskip(NEXT) | instid1(VALU_DEP_1)
	v_cmp_ne_u32_e64 s0, 0x7f800000, v2
	s_and_saveexec_b32 s6, s0
	s_delay_alu instid0(SALU_CYCLE_1)
	s_xor_b32 s0, exec_lo, s6
; %bb.194:                              ;   in Loop: Header=BB173_33 Depth=1
	v_bfe_u32 v2, v1, 16, 1
	s_delay_alu instid0(VALU_DEP_1)
	v_add3_u32 v71, v1, v2, 0x7fff
                                        ; implicit-def: $vgpr1
; %bb.195:                              ;   in Loop: Header=BB173_33 Depth=1
	s_and_not1_saveexec_b32 s6, s0
; %bb.196:                              ;   in Loop: Header=BB173_33 Depth=1
	v_and_b32_e32 v2, 0xffff, v1
	v_or_b32_e32 v3, 0x10000, v1
	s_delay_alu instid0(VALU_DEP_2) | instskip(NEXT) | instid1(VALU_DEP_1)
	v_cmp_eq_u32_e64 s0, 0, v2
	v_cndmask_b32_e64 v71, v3, v1, s0
; %bb.197:                              ;   in Loop: Header=BB173_33 Depth=1
	s_or_b32 exec_lo, exec_lo, s6
	v_lshlrev_b32_e32 v1, 16, v72
                                        ; implicit-def: $vgpr72
	s_delay_alu instid0(VALU_DEP_1) | instskip(NEXT) | instid1(VALU_DEP_1)
	v_mul_f32_e32 v1, v48, v1
	v_and_b32_e32 v2, 0x7f800000, v1
	s_delay_alu instid0(VALU_DEP_1) | instskip(NEXT) | instid1(VALU_DEP_1)
	v_cmp_ne_u32_e64 s0, 0x7f800000, v2
	s_and_saveexec_b32 s6, s0
	s_delay_alu instid0(SALU_CYCLE_1)
	s_xor_b32 s0, exec_lo, s6
; %bb.198:                              ;   in Loop: Header=BB173_33 Depth=1
	v_bfe_u32 v2, v1, 16, 1
	s_delay_alu instid0(VALU_DEP_1)
	v_add3_u32 v72, v1, v2, 0x7fff
                                        ; implicit-def: $vgpr1
; %bb.199:                              ;   in Loop: Header=BB173_33 Depth=1
	s_and_not1_saveexec_b32 s6, s0
; %bb.200:                              ;   in Loop: Header=BB173_33 Depth=1
	v_and_b32_e32 v2, 0xffff, v1
	v_or_b32_e32 v3, 0x10000, v1
	s_delay_alu instid0(VALU_DEP_2) | instskip(NEXT) | instid1(VALU_DEP_1)
	v_cmp_eq_u32_e64 s0, 0, v2
	v_cndmask_b32_e64 v72, v3, v1, s0
; %bb.201:                              ;   in Loop: Header=BB173_33 Depth=1
	s_or_b32 exec_lo, exec_lo, s6
	global_load_b128 v[1:4], v[5:6], off offset:2048
	s_waitcnt vmcnt(0)
	v_lshrrev_b32_e32 v74, 16, v1
	v_lshrrev_b32_e32 v76, 16, v2
	;; [unrolled: 1-line block ×4, first 2 shown]
	s_and_saveexec_b32 s6, vcc_lo
	s_cbranch_execz .LBB173_203
; %bb.202:                              ;   in Loop: Header=BB173_33 Depth=1
	v_cmp_gt_i32_e64 s0, s30, v34
	s_delay_alu instid0(VALU_DEP_1) | instskip(SKIP_1) | instid1(VALU_DEP_1)
	v_cndmask_b32_e64 v1, 0, v1, s0
	v_cmp_gt_i32_e64 s0, s30, v40
	v_cndmask_b32_e64 v74, 0, v74, s0
	v_cmp_gt_i32_e64 s0, s30, v38
	s_delay_alu instid0(VALU_DEP_1) | instskip(SKIP_1) | instid1(VALU_DEP_1)
	v_cndmask_b32_e64 v2, 0, v2, s0
	v_cmp_gt_i32_e64 s0, s30, v37
	v_cndmask_b32_e64 v76, 0, v76, s0
	;; [unrolled: 5-line block ×4, first 2 shown]
.LBB173_203:                            ;   in Loop: Header=BB173_33 Depth=1
	s_or_b32 exec_lo, exec_lo, s6
	v_lshlrev_b32_e32 v1, 16, v1
	s_delay_alu instid0(VALU_DEP_1) | instskip(NEXT) | instid1(VALU_DEP_1)
	v_mul_f32_e32 v1, v41, v1
	v_and_b32_e32 v73, 0x7f800000, v1
	s_delay_alu instid0(VALU_DEP_1) | instskip(NEXT) | instid1(VALU_DEP_1)
	v_cmp_ne_u32_e64 s0, 0x7f800000, v73
                                        ; implicit-def: $vgpr73
	s_and_saveexec_b32 s6, s0
	s_delay_alu instid0(SALU_CYCLE_1)
	s_xor_b32 s0, exec_lo, s6
; %bb.204:                              ;   in Loop: Header=BB173_33 Depth=1
	v_bfe_u32 v73, v1, 16, 1
	s_delay_alu instid0(VALU_DEP_1)
	v_add3_u32 v73, v1, v73, 0x7fff
                                        ; implicit-def: $vgpr1
; %bb.205:                              ;   in Loop: Header=BB173_33 Depth=1
	s_and_not1_saveexec_b32 s6, s0
; %bb.206:                              ;   in Loop: Header=BB173_33 Depth=1
	v_and_b32_e32 v73, 0xffff, v1
	v_or_b32_e32 v75, 0x10000, v1
	s_delay_alu instid0(VALU_DEP_2) | instskip(NEXT) | instid1(VALU_DEP_1)
	v_cmp_eq_u32_e64 s0, 0, v73
	v_cndmask_b32_e64 v73, v75, v1, s0
; %bb.207:                              ;   in Loop: Header=BB173_33 Depth=1
	s_or_b32 exec_lo, exec_lo, s6
	v_lshlrev_b32_e32 v1, 16, v74
	s_delay_alu instid0(VALU_DEP_1) | instskip(NEXT) | instid1(VALU_DEP_1)
	v_mul_f32_e32 v1, v42, v1
	v_and_b32_e32 v74, 0x7f800000, v1
	s_delay_alu instid0(VALU_DEP_1) | instskip(NEXT) | instid1(VALU_DEP_1)
	v_cmp_ne_u32_e64 s0, 0x7f800000, v74
                                        ; implicit-def: $vgpr74
	s_and_saveexec_b32 s6, s0
	s_delay_alu instid0(SALU_CYCLE_1)
	s_xor_b32 s0, exec_lo, s6
; %bb.208:                              ;   in Loop: Header=BB173_33 Depth=1
	v_bfe_u32 v74, v1, 16, 1
	s_delay_alu instid0(VALU_DEP_1)
	v_add3_u32 v74, v1, v74, 0x7fff
                                        ; implicit-def: $vgpr1
; %bb.209:                              ;   in Loop: Header=BB173_33 Depth=1
	s_and_not1_saveexec_b32 s6, s0
; %bb.210:                              ;   in Loop: Header=BB173_33 Depth=1
	v_and_b32_e32 v74, 0xffff, v1
	v_or_b32_e32 v75, 0x10000, v1
	s_delay_alu instid0(VALU_DEP_2) | instskip(NEXT) | instid1(VALU_DEP_1)
	v_cmp_eq_u32_e64 s0, 0, v74
	v_cndmask_b32_e64 v74, v75, v1, s0
; %bb.211:                              ;   in Loop: Header=BB173_33 Depth=1
	s_or_b32 exec_lo, exec_lo, s6
	v_lshlrev_b32_e32 v1, 16, v2
                                        ; implicit-def: $vgpr75
	s_delay_alu instid0(VALU_DEP_1) | instskip(NEXT) | instid1(VALU_DEP_1)
	v_mul_f32_e32 v1, v43, v1
	v_and_b32_e32 v2, 0x7f800000, v1
	s_delay_alu instid0(VALU_DEP_1) | instskip(NEXT) | instid1(VALU_DEP_1)
	v_cmp_ne_u32_e64 s0, 0x7f800000, v2
	s_and_saveexec_b32 s6, s0
	s_delay_alu instid0(SALU_CYCLE_1)
	s_xor_b32 s0, exec_lo, s6
; %bb.212:                              ;   in Loop: Header=BB173_33 Depth=1
	v_bfe_u32 v2, v1, 16, 1
	s_delay_alu instid0(VALU_DEP_1)
	v_add3_u32 v75, v1, v2, 0x7fff
                                        ; implicit-def: $vgpr1
; %bb.213:                              ;   in Loop: Header=BB173_33 Depth=1
	s_and_not1_saveexec_b32 s6, s0
; %bb.214:                              ;   in Loop: Header=BB173_33 Depth=1
	v_and_b32_e32 v2, 0xffff, v1
	v_or_b32_e32 v75, 0x10000, v1
	s_delay_alu instid0(VALU_DEP_2) | instskip(NEXT) | instid1(VALU_DEP_1)
	v_cmp_eq_u32_e64 s0, 0, v2
	v_cndmask_b32_e64 v75, v75, v1, s0
; %bb.215:                              ;   in Loop: Header=BB173_33 Depth=1
	s_or_b32 exec_lo, exec_lo, s6
	v_lshlrev_b32_e32 v1, 16, v76
                                        ; implicit-def: $vgpr76
	s_delay_alu instid0(VALU_DEP_1) | instskip(NEXT) | instid1(VALU_DEP_1)
	v_mul_f32_e32 v1, v44, v1
	v_and_b32_e32 v2, 0x7f800000, v1
	s_delay_alu instid0(VALU_DEP_1) | instskip(NEXT) | instid1(VALU_DEP_1)
	v_cmp_ne_u32_e64 s0, 0x7f800000, v2
	s_and_saveexec_b32 s6, s0
	s_delay_alu instid0(SALU_CYCLE_1)
	s_xor_b32 s0, exec_lo, s6
; %bb.216:                              ;   in Loop: Header=BB173_33 Depth=1
	v_bfe_u32 v2, v1, 16, 1
	s_delay_alu instid0(VALU_DEP_1)
	v_add3_u32 v76, v1, v2, 0x7fff
                                        ; implicit-def: $vgpr1
; %bb.217:                              ;   in Loop: Header=BB173_33 Depth=1
	s_and_not1_saveexec_b32 s6, s0
; %bb.218:                              ;   in Loop: Header=BB173_33 Depth=1
	v_and_b32_e32 v2, 0xffff, v1
	v_or_b32_e32 v76, 0x10000, v1
	s_delay_alu instid0(VALU_DEP_2) | instskip(NEXT) | instid1(VALU_DEP_1)
	v_cmp_eq_u32_e64 s0, 0, v2
	v_cndmask_b32_e64 v76, v76, v1, s0
; %bb.219:                              ;   in Loop: Header=BB173_33 Depth=1
	s_or_b32 exec_lo, exec_lo, s6
	v_lshlrev_b32_e32 v1, 16, v3
                                        ; implicit-def: $vgpr77
	s_delay_alu instid0(VALU_DEP_1) | instskip(NEXT) | instid1(VALU_DEP_1)
	v_mul_f32_e32 v1, v45, v1
	v_and_b32_e32 v2, 0x7f800000, v1
	s_delay_alu instid0(VALU_DEP_1) | instskip(NEXT) | instid1(VALU_DEP_1)
	v_cmp_ne_u32_e64 s0, 0x7f800000, v2
	s_and_saveexec_b32 s6, s0
	s_delay_alu instid0(SALU_CYCLE_1)
	s_xor_b32 s0, exec_lo, s6
; %bb.220:                              ;   in Loop: Header=BB173_33 Depth=1
	v_bfe_u32 v2, v1, 16, 1
	s_delay_alu instid0(VALU_DEP_1)
	v_add3_u32 v77, v1, v2, 0x7fff
                                        ; implicit-def: $vgpr1
; %bb.221:                              ;   in Loop: Header=BB173_33 Depth=1
	s_and_not1_saveexec_b32 s6, s0
; %bb.222:                              ;   in Loop: Header=BB173_33 Depth=1
	v_and_b32_e32 v2, 0xffff, v1
	v_or_b32_e32 v3, 0x10000, v1
	s_delay_alu instid0(VALU_DEP_2) | instskip(NEXT) | instid1(VALU_DEP_1)
	v_cmp_eq_u32_e64 s0, 0, v2
	v_cndmask_b32_e64 v77, v3, v1, s0
; %bb.223:                              ;   in Loop: Header=BB173_33 Depth=1
	s_or_b32 exec_lo, exec_lo, s6
	v_lshlrev_b32_e32 v1, 16, v78
                                        ; implicit-def: $vgpr78
	s_delay_alu instid0(VALU_DEP_1) | instskip(NEXT) | instid1(VALU_DEP_1)
	v_mul_f32_e32 v1, v46, v1
	v_and_b32_e32 v2, 0x7f800000, v1
	s_delay_alu instid0(VALU_DEP_1) | instskip(NEXT) | instid1(VALU_DEP_1)
	v_cmp_ne_u32_e64 s0, 0x7f800000, v2
	s_and_saveexec_b32 s6, s0
	s_delay_alu instid0(SALU_CYCLE_1)
	s_xor_b32 s0, exec_lo, s6
; %bb.224:                              ;   in Loop: Header=BB173_33 Depth=1
	v_bfe_u32 v2, v1, 16, 1
	s_delay_alu instid0(VALU_DEP_1)
	v_add3_u32 v78, v1, v2, 0x7fff
                                        ; implicit-def: $vgpr1
; %bb.225:                              ;   in Loop: Header=BB173_33 Depth=1
	s_and_not1_saveexec_b32 s6, s0
; %bb.226:                              ;   in Loop: Header=BB173_33 Depth=1
	v_and_b32_e32 v2, 0xffff, v1
	v_or_b32_e32 v3, 0x10000, v1
	s_delay_alu instid0(VALU_DEP_2) | instskip(NEXT) | instid1(VALU_DEP_1)
	v_cmp_eq_u32_e64 s0, 0, v2
	v_cndmask_b32_e64 v78, v3, v1, s0
; %bb.227:                              ;   in Loop: Header=BB173_33 Depth=1
	s_or_b32 exec_lo, exec_lo, s6
	v_lshlrev_b32_e32 v1, 16, v4
                                        ; implicit-def: $vgpr79
	s_delay_alu instid0(VALU_DEP_1) | instskip(NEXT) | instid1(VALU_DEP_1)
	v_mul_f32_e32 v1, v47, v1
	v_and_b32_e32 v2, 0x7f800000, v1
	s_delay_alu instid0(VALU_DEP_1) | instskip(NEXT) | instid1(VALU_DEP_1)
	v_cmp_ne_u32_e64 s0, 0x7f800000, v2
	s_and_saveexec_b32 s6, s0
	s_delay_alu instid0(SALU_CYCLE_1)
	s_xor_b32 s0, exec_lo, s6
; %bb.228:                              ;   in Loop: Header=BB173_33 Depth=1
	v_bfe_u32 v2, v1, 16, 1
	s_delay_alu instid0(VALU_DEP_1)
	v_add3_u32 v79, v1, v2, 0x7fff
                                        ; implicit-def: $vgpr1
; %bb.229:                              ;   in Loop: Header=BB173_33 Depth=1
	s_and_not1_saveexec_b32 s6, s0
; %bb.230:                              ;   in Loop: Header=BB173_33 Depth=1
	v_and_b32_e32 v2, 0xffff, v1
	v_or_b32_e32 v3, 0x10000, v1
	s_delay_alu instid0(VALU_DEP_2) | instskip(NEXT) | instid1(VALU_DEP_1)
	v_cmp_eq_u32_e64 s0, 0, v2
	v_cndmask_b32_e64 v79, v3, v1, s0
; %bb.231:                              ;   in Loop: Header=BB173_33 Depth=1
	s_or_b32 exec_lo, exec_lo, s6
	v_lshlrev_b32_e32 v1, 16, v80
                                        ; implicit-def: $vgpr80
	s_delay_alu instid0(VALU_DEP_1) | instskip(NEXT) | instid1(VALU_DEP_1)
	v_mul_f32_e32 v1, v48, v1
	v_and_b32_e32 v2, 0x7f800000, v1
	s_delay_alu instid0(VALU_DEP_1) | instskip(NEXT) | instid1(VALU_DEP_1)
	v_cmp_ne_u32_e64 s0, 0x7f800000, v2
	s_and_saveexec_b32 s6, s0
	s_delay_alu instid0(SALU_CYCLE_1)
	s_xor_b32 s0, exec_lo, s6
; %bb.232:                              ;   in Loop: Header=BB173_33 Depth=1
	v_bfe_u32 v2, v1, 16, 1
	s_delay_alu instid0(VALU_DEP_1)
	v_add3_u32 v80, v1, v2, 0x7fff
                                        ; implicit-def: $vgpr1
; %bb.233:                              ;   in Loop: Header=BB173_33 Depth=1
	s_and_not1_saveexec_b32 s6, s0
; %bb.234:                              ;   in Loop: Header=BB173_33 Depth=1
	v_and_b32_e32 v2, 0xffff, v1
	v_or_b32_e32 v3, 0x10000, v1
	s_delay_alu instid0(VALU_DEP_2) | instskip(NEXT) | instid1(VALU_DEP_1)
	v_cmp_eq_u32_e64 s0, 0, v2
	v_cndmask_b32_e64 v80, v3, v1, s0
; %bb.235:                              ;   in Loop: Header=BB173_33 Depth=1
	s_or_b32 exec_lo, exec_lo, s6
	global_load_b128 v[1:4], v[5:6], off offset:2560
	s_waitcnt vmcnt(0)
	v_lshrrev_b32_e32 v82, 16, v1
	v_lshrrev_b32_e32 v84, 16, v2
	;; [unrolled: 1-line block ×4, first 2 shown]
	s_and_saveexec_b32 s6, vcc_lo
	s_cbranch_execz .LBB173_237
; %bb.236:                              ;   in Loop: Header=BB173_33 Depth=1
	v_cmp_gt_i32_e64 s0, s30, v34
	s_delay_alu instid0(VALU_DEP_1) | instskip(SKIP_1) | instid1(VALU_DEP_1)
	v_cndmask_b32_e64 v1, 0, v1, s0
	v_cmp_gt_i32_e64 s0, s30, v40
	v_cndmask_b32_e64 v82, 0, v82, s0
	v_cmp_gt_i32_e64 s0, s30, v38
	s_delay_alu instid0(VALU_DEP_1) | instskip(SKIP_1) | instid1(VALU_DEP_1)
	v_cndmask_b32_e64 v2, 0, v2, s0
	v_cmp_gt_i32_e64 s0, s30, v37
	v_cndmask_b32_e64 v84, 0, v84, s0
	;; [unrolled: 5-line block ×4, first 2 shown]
.LBB173_237:                            ;   in Loop: Header=BB173_33 Depth=1
	s_or_b32 exec_lo, exec_lo, s6
	v_lshlrev_b32_e32 v1, 16, v1
	s_delay_alu instid0(VALU_DEP_1) | instskip(NEXT) | instid1(VALU_DEP_1)
	v_mul_f32_e32 v1, v41, v1
	v_and_b32_e32 v81, 0x7f800000, v1
	s_delay_alu instid0(VALU_DEP_1) | instskip(NEXT) | instid1(VALU_DEP_1)
	v_cmp_ne_u32_e64 s0, 0x7f800000, v81
                                        ; implicit-def: $vgpr81
	s_and_saveexec_b32 s6, s0
	s_delay_alu instid0(SALU_CYCLE_1)
	s_xor_b32 s0, exec_lo, s6
; %bb.238:                              ;   in Loop: Header=BB173_33 Depth=1
	v_bfe_u32 v81, v1, 16, 1
	s_delay_alu instid0(VALU_DEP_1)
	v_add3_u32 v81, v1, v81, 0x7fff
                                        ; implicit-def: $vgpr1
; %bb.239:                              ;   in Loop: Header=BB173_33 Depth=1
	s_and_not1_saveexec_b32 s6, s0
; %bb.240:                              ;   in Loop: Header=BB173_33 Depth=1
	v_and_b32_e32 v81, 0xffff, v1
	v_or_b32_e32 v83, 0x10000, v1
	s_delay_alu instid0(VALU_DEP_2) | instskip(NEXT) | instid1(VALU_DEP_1)
	v_cmp_eq_u32_e64 s0, 0, v81
	v_cndmask_b32_e64 v81, v83, v1, s0
; %bb.241:                              ;   in Loop: Header=BB173_33 Depth=1
	s_or_b32 exec_lo, exec_lo, s6
	v_lshlrev_b32_e32 v1, 16, v82
	s_delay_alu instid0(VALU_DEP_1) | instskip(NEXT) | instid1(VALU_DEP_1)
	v_mul_f32_e32 v1, v42, v1
	v_and_b32_e32 v82, 0x7f800000, v1
	s_delay_alu instid0(VALU_DEP_1) | instskip(NEXT) | instid1(VALU_DEP_1)
	v_cmp_ne_u32_e64 s0, 0x7f800000, v82
                                        ; implicit-def: $vgpr82
	s_and_saveexec_b32 s6, s0
	s_delay_alu instid0(SALU_CYCLE_1)
	s_xor_b32 s0, exec_lo, s6
; %bb.242:                              ;   in Loop: Header=BB173_33 Depth=1
	v_bfe_u32 v82, v1, 16, 1
	s_delay_alu instid0(VALU_DEP_1)
	v_add3_u32 v82, v1, v82, 0x7fff
                                        ; implicit-def: $vgpr1
; %bb.243:                              ;   in Loop: Header=BB173_33 Depth=1
	s_and_not1_saveexec_b32 s6, s0
; %bb.244:                              ;   in Loop: Header=BB173_33 Depth=1
	v_and_b32_e32 v82, 0xffff, v1
	v_or_b32_e32 v83, 0x10000, v1
	s_delay_alu instid0(VALU_DEP_2) | instskip(NEXT) | instid1(VALU_DEP_1)
	v_cmp_eq_u32_e64 s0, 0, v82
	v_cndmask_b32_e64 v82, v83, v1, s0
; %bb.245:                              ;   in Loop: Header=BB173_33 Depth=1
	s_or_b32 exec_lo, exec_lo, s6
	v_lshlrev_b32_e32 v1, 16, v2
                                        ; implicit-def: $vgpr83
	s_delay_alu instid0(VALU_DEP_1) | instskip(NEXT) | instid1(VALU_DEP_1)
	v_mul_f32_e32 v1, v43, v1
	v_and_b32_e32 v2, 0x7f800000, v1
	s_delay_alu instid0(VALU_DEP_1) | instskip(NEXT) | instid1(VALU_DEP_1)
	v_cmp_ne_u32_e64 s0, 0x7f800000, v2
	s_and_saveexec_b32 s6, s0
	s_delay_alu instid0(SALU_CYCLE_1)
	s_xor_b32 s0, exec_lo, s6
; %bb.246:                              ;   in Loop: Header=BB173_33 Depth=1
	v_bfe_u32 v2, v1, 16, 1
	s_delay_alu instid0(VALU_DEP_1)
	v_add3_u32 v83, v1, v2, 0x7fff
                                        ; implicit-def: $vgpr1
; %bb.247:                              ;   in Loop: Header=BB173_33 Depth=1
	s_and_not1_saveexec_b32 s6, s0
; %bb.248:                              ;   in Loop: Header=BB173_33 Depth=1
	v_and_b32_e32 v2, 0xffff, v1
	v_or_b32_e32 v83, 0x10000, v1
	s_delay_alu instid0(VALU_DEP_2) | instskip(NEXT) | instid1(VALU_DEP_1)
	v_cmp_eq_u32_e64 s0, 0, v2
	v_cndmask_b32_e64 v83, v83, v1, s0
; %bb.249:                              ;   in Loop: Header=BB173_33 Depth=1
	s_or_b32 exec_lo, exec_lo, s6
	v_lshlrev_b32_e32 v1, 16, v84
                                        ; implicit-def: $vgpr84
	s_delay_alu instid0(VALU_DEP_1) | instskip(NEXT) | instid1(VALU_DEP_1)
	v_mul_f32_e32 v1, v44, v1
	v_and_b32_e32 v2, 0x7f800000, v1
	s_delay_alu instid0(VALU_DEP_1) | instskip(NEXT) | instid1(VALU_DEP_1)
	v_cmp_ne_u32_e64 s0, 0x7f800000, v2
	s_and_saveexec_b32 s6, s0
	s_delay_alu instid0(SALU_CYCLE_1)
	s_xor_b32 s0, exec_lo, s6
; %bb.250:                              ;   in Loop: Header=BB173_33 Depth=1
	v_bfe_u32 v2, v1, 16, 1
	s_delay_alu instid0(VALU_DEP_1)
	v_add3_u32 v84, v1, v2, 0x7fff
                                        ; implicit-def: $vgpr1
; %bb.251:                              ;   in Loop: Header=BB173_33 Depth=1
	s_and_not1_saveexec_b32 s6, s0
; %bb.252:                              ;   in Loop: Header=BB173_33 Depth=1
	v_and_b32_e32 v2, 0xffff, v1
	v_or_b32_e32 v84, 0x10000, v1
	s_delay_alu instid0(VALU_DEP_2) | instskip(NEXT) | instid1(VALU_DEP_1)
	v_cmp_eq_u32_e64 s0, 0, v2
	v_cndmask_b32_e64 v84, v84, v1, s0
; %bb.253:                              ;   in Loop: Header=BB173_33 Depth=1
	s_or_b32 exec_lo, exec_lo, s6
	v_lshlrev_b32_e32 v1, 16, v3
                                        ; implicit-def: $vgpr85
	s_delay_alu instid0(VALU_DEP_1) | instskip(NEXT) | instid1(VALU_DEP_1)
	v_mul_f32_e32 v1, v45, v1
	v_and_b32_e32 v2, 0x7f800000, v1
	s_delay_alu instid0(VALU_DEP_1) | instskip(NEXT) | instid1(VALU_DEP_1)
	v_cmp_ne_u32_e64 s0, 0x7f800000, v2
	s_and_saveexec_b32 s6, s0
	s_delay_alu instid0(SALU_CYCLE_1)
	s_xor_b32 s0, exec_lo, s6
; %bb.254:                              ;   in Loop: Header=BB173_33 Depth=1
	v_bfe_u32 v2, v1, 16, 1
	s_delay_alu instid0(VALU_DEP_1)
	v_add3_u32 v85, v1, v2, 0x7fff
                                        ; implicit-def: $vgpr1
; %bb.255:                              ;   in Loop: Header=BB173_33 Depth=1
	s_and_not1_saveexec_b32 s6, s0
; %bb.256:                              ;   in Loop: Header=BB173_33 Depth=1
	v_and_b32_e32 v2, 0xffff, v1
	v_or_b32_e32 v3, 0x10000, v1
	s_delay_alu instid0(VALU_DEP_2) | instskip(NEXT) | instid1(VALU_DEP_1)
	v_cmp_eq_u32_e64 s0, 0, v2
	v_cndmask_b32_e64 v85, v3, v1, s0
; %bb.257:                              ;   in Loop: Header=BB173_33 Depth=1
	s_or_b32 exec_lo, exec_lo, s6
	v_lshlrev_b32_e32 v1, 16, v86
                                        ; implicit-def: $vgpr86
	s_delay_alu instid0(VALU_DEP_1) | instskip(NEXT) | instid1(VALU_DEP_1)
	v_mul_f32_e32 v1, v46, v1
	v_and_b32_e32 v2, 0x7f800000, v1
	s_delay_alu instid0(VALU_DEP_1) | instskip(NEXT) | instid1(VALU_DEP_1)
	v_cmp_ne_u32_e64 s0, 0x7f800000, v2
	s_and_saveexec_b32 s6, s0
	s_delay_alu instid0(SALU_CYCLE_1)
	s_xor_b32 s0, exec_lo, s6
; %bb.258:                              ;   in Loop: Header=BB173_33 Depth=1
	v_bfe_u32 v2, v1, 16, 1
	s_delay_alu instid0(VALU_DEP_1)
	v_add3_u32 v86, v1, v2, 0x7fff
                                        ; implicit-def: $vgpr1
; %bb.259:                              ;   in Loop: Header=BB173_33 Depth=1
	s_and_not1_saveexec_b32 s6, s0
; %bb.260:                              ;   in Loop: Header=BB173_33 Depth=1
	v_and_b32_e32 v2, 0xffff, v1
	v_or_b32_e32 v3, 0x10000, v1
	s_delay_alu instid0(VALU_DEP_2) | instskip(NEXT) | instid1(VALU_DEP_1)
	v_cmp_eq_u32_e64 s0, 0, v2
	v_cndmask_b32_e64 v86, v3, v1, s0
; %bb.261:                              ;   in Loop: Header=BB173_33 Depth=1
	s_or_b32 exec_lo, exec_lo, s6
	v_lshlrev_b32_e32 v1, 16, v4
                                        ; implicit-def: $vgpr87
	s_delay_alu instid0(VALU_DEP_1) | instskip(NEXT) | instid1(VALU_DEP_1)
	v_mul_f32_e32 v1, v47, v1
	v_and_b32_e32 v2, 0x7f800000, v1
	s_delay_alu instid0(VALU_DEP_1) | instskip(NEXT) | instid1(VALU_DEP_1)
	v_cmp_ne_u32_e64 s0, 0x7f800000, v2
	s_and_saveexec_b32 s6, s0
	s_delay_alu instid0(SALU_CYCLE_1)
	s_xor_b32 s0, exec_lo, s6
; %bb.262:                              ;   in Loop: Header=BB173_33 Depth=1
	v_bfe_u32 v2, v1, 16, 1
	s_delay_alu instid0(VALU_DEP_1)
	v_add3_u32 v87, v1, v2, 0x7fff
                                        ; implicit-def: $vgpr1
; %bb.263:                              ;   in Loop: Header=BB173_33 Depth=1
	s_and_not1_saveexec_b32 s6, s0
; %bb.264:                              ;   in Loop: Header=BB173_33 Depth=1
	v_and_b32_e32 v2, 0xffff, v1
	v_or_b32_e32 v3, 0x10000, v1
	s_delay_alu instid0(VALU_DEP_2) | instskip(NEXT) | instid1(VALU_DEP_1)
	v_cmp_eq_u32_e64 s0, 0, v2
	v_cndmask_b32_e64 v87, v3, v1, s0
; %bb.265:                              ;   in Loop: Header=BB173_33 Depth=1
	s_or_b32 exec_lo, exec_lo, s6
	v_lshlrev_b32_e32 v1, 16, v88
                                        ; implicit-def: $vgpr88
	s_delay_alu instid0(VALU_DEP_1) | instskip(NEXT) | instid1(VALU_DEP_1)
	v_mul_f32_e32 v1, v48, v1
	v_and_b32_e32 v2, 0x7f800000, v1
	s_delay_alu instid0(VALU_DEP_1) | instskip(NEXT) | instid1(VALU_DEP_1)
	v_cmp_ne_u32_e64 s0, 0x7f800000, v2
	s_and_saveexec_b32 s6, s0
	s_delay_alu instid0(SALU_CYCLE_1)
	s_xor_b32 s0, exec_lo, s6
; %bb.266:                              ;   in Loop: Header=BB173_33 Depth=1
	v_bfe_u32 v2, v1, 16, 1
	s_delay_alu instid0(VALU_DEP_1)
	v_add3_u32 v88, v1, v2, 0x7fff
                                        ; implicit-def: $vgpr1
; %bb.267:                              ;   in Loop: Header=BB173_33 Depth=1
	s_and_not1_saveexec_b32 s6, s0
; %bb.268:                              ;   in Loop: Header=BB173_33 Depth=1
	v_and_b32_e32 v2, 0xffff, v1
	v_or_b32_e32 v3, 0x10000, v1
	s_delay_alu instid0(VALU_DEP_2) | instskip(NEXT) | instid1(VALU_DEP_1)
	v_cmp_eq_u32_e64 s0, 0, v2
	v_cndmask_b32_e64 v88, v3, v1, s0
; %bb.269:                              ;   in Loop: Header=BB173_33 Depth=1
	s_or_b32 exec_lo, exec_lo, s6
	global_load_b128 v[1:4], v[5:6], off offset:3072
	s_waitcnt vmcnt(0)
	v_lshrrev_b32_e32 v5, 16, v1
	v_lshrrev_b32_e32 v6, 16, v2
	v_lshrrev_b32_e32 v90, 16, v3
	v_lshrrev_b32_e32 v89, 16, v4
	s_and_saveexec_b32 s0, vcc_lo
	s_cbranch_execz .LBB173_271
; %bb.270:                              ;   in Loop: Header=BB173_33 Depth=1
	v_cmp_gt_i32_e32 vcc_lo, s30, v34
	v_cndmask_b32_e32 v1, 0, v1, vcc_lo
	v_cmp_gt_i32_e32 vcc_lo, s30, v40
	v_cndmask_b32_e32 v5, 0, v5, vcc_lo
	;; [unrolled: 2-line block ×8, first 2 shown]
.LBB173_271:                            ;   in Loop: Header=BB173_33 Depth=1
	s_or_b32 exec_lo, exec_lo, s0
	v_lshlrev_b32_e32 v1, 16, v1
	s_delay_alu instid0(VALU_DEP_1) | instskip(NEXT) | instid1(VALU_DEP_1)
	v_mul_f32_e32 v34, v41, v1
	v_and_b32_e32 v1, 0x7f800000, v34
	s_delay_alu instid0(VALU_DEP_1) | instskip(SKIP_1) | instid1(SALU_CYCLE_1)
	v_cmp_ne_u32_e32 vcc_lo, 0x7f800000, v1
                                        ; implicit-def: $vgpr1
	s_and_saveexec_b32 s0, vcc_lo
	s_xor_b32 s0, exec_lo, s0
; %bb.272:                              ;   in Loop: Header=BB173_33 Depth=1
	v_bfe_u32 v1, v34, 16, 1
	s_delay_alu instid0(VALU_DEP_1)
	v_add3_u32 v1, v34, v1, 0x7fff
                                        ; implicit-def: $vgpr34
; %bb.273:                              ;   in Loop: Header=BB173_33 Depth=1
	s_and_not1_saveexec_b32 s0, s0
; %bb.274:                              ;   in Loop: Header=BB173_33 Depth=1
	v_and_b32_e32 v1, 0xffff, v34
	v_or_b32_e32 v35, 0x10000, v34
	s_delay_alu instid0(VALU_DEP_2) | instskip(NEXT) | instid1(VALU_DEP_2)
	v_cmp_eq_u32_e32 vcc_lo, 0, v1
	v_cndmask_b32_e32 v1, v35, v34, vcc_lo
; %bb.275:                              ;   in Loop: Header=BB173_33 Depth=1
	s_or_b32 exec_lo, exec_lo, s0
	v_lshlrev_b32_e32 v5, 16, v5
	s_delay_alu instid0(VALU_DEP_1) | instskip(NEXT) | instid1(VALU_DEP_1)
	v_mul_f32_e32 v34, v42, v5
	v_and_b32_e32 v5, 0x7f800000, v34
	s_delay_alu instid0(VALU_DEP_1) | instskip(SKIP_1) | instid1(SALU_CYCLE_1)
	v_cmp_ne_u32_e32 vcc_lo, 0x7f800000, v5
                                        ; implicit-def: $vgpr5
	s_and_saveexec_b32 s0, vcc_lo
	s_xor_b32 s0, exec_lo, s0
; %bb.276:                              ;   in Loop: Header=BB173_33 Depth=1
	v_bfe_u32 v5, v34, 16, 1
	s_delay_alu instid0(VALU_DEP_1)
	v_add3_u32 v5, v34, v5, 0x7fff
                                        ; implicit-def: $vgpr34
; %bb.277:                              ;   in Loop: Header=BB173_33 Depth=1
	s_and_not1_saveexec_b32 s0, s0
; %bb.278:                              ;   in Loop: Header=BB173_33 Depth=1
	v_and_b32_e32 v5, 0xffff, v34
	v_or_b32_e32 v35, 0x10000, v34
	s_delay_alu instid0(VALU_DEP_2) | instskip(NEXT) | instid1(VALU_DEP_2)
	v_cmp_eq_u32_e32 vcc_lo, 0, v5
	v_cndmask_b32_e32 v5, v35, v34, vcc_lo
; %bb.279:                              ;   in Loop: Header=BB173_33 Depth=1
	s_or_b32 exec_lo, exec_lo, s0
	v_lshlrev_b32_e32 v2, 16, v2
	s_delay_alu instid0(VALU_DEP_1) | instskip(NEXT) | instid1(VALU_DEP_1)
	v_mul_f32_e32 v34, v43, v2
	v_and_b32_e32 v2, 0x7f800000, v34
	s_delay_alu instid0(VALU_DEP_1) | instskip(SKIP_1) | instid1(SALU_CYCLE_1)
	v_cmp_ne_u32_e32 vcc_lo, 0x7f800000, v2
                                        ; implicit-def: $vgpr2
	s_and_saveexec_b32 s0, vcc_lo
	s_xor_b32 s0, exec_lo, s0
; %bb.280:                              ;   in Loop: Header=BB173_33 Depth=1
	v_bfe_u32 v2, v34, 16, 1
	s_delay_alu instid0(VALU_DEP_1)
	v_add3_u32 v2, v34, v2, 0x7fff
                                        ; implicit-def: $vgpr34
; %bb.281:                              ;   in Loop: Header=BB173_33 Depth=1
	s_and_not1_saveexec_b32 s0, s0
; %bb.282:                              ;   in Loop: Header=BB173_33 Depth=1
	v_and_b32_e32 v2, 0xffff, v34
	v_or_b32_e32 v35, 0x10000, v34
	s_delay_alu instid0(VALU_DEP_2) | instskip(NEXT) | instid1(VALU_DEP_2)
	v_cmp_eq_u32_e32 vcc_lo, 0, v2
	v_cndmask_b32_e32 v2, v35, v34, vcc_lo
; %bb.283:                              ;   in Loop: Header=BB173_33 Depth=1
	s_or_b32 exec_lo, exec_lo, s0
	v_lshlrev_b32_e32 v6, 16, v6
	s_delay_alu instid0(VALU_DEP_1) | instskip(NEXT) | instid1(VALU_DEP_1)
	v_mul_f32_e32 v34, v44, v6
	v_and_b32_e32 v6, 0x7f800000, v34
	s_delay_alu instid0(VALU_DEP_1) | instskip(SKIP_1) | instid1(SALU_CYCLE_1)
	v_cmp_ne_u32_e32 vcc_lo, 0x7f800000, v6
                                        ; implicit-def: $vgpr6
	s_and_saveexec_b32 s0, vcc_lo
	s_xor_b32 s0, exec_lo, s0
; %bb.284:                              ;   in Loop: Header=BB173_33 Depth=1
	v_bfe_u32 v6, v34, 16, 1
	s_delay_alu instid0(VALU_DEP_1)
	v_add3_u32 v6, v34, v6, 0x7fff
                                        ; implicit-def: $vgpr34
; %bb.285:                              ;   in Loop: Header=BB173_33 Depth=1
	s_and_not1_saveexec_b32 s0, s0
; %bb.286:                              ;   in Loop: Header=BB173_33 Depth=1
	v_and_b32_e32 v6, 0xffff, v34
	v_or_b32_e32 v35, 0x10000, v34
	s_delay_alu instid0(VALU_DEP_2) | instskip(NEXT) | instid1(VALU_DEP_2)
	v_cmp_eq_u32_e32 vcc_lo, 0, v6
	v_cndmask_b32_e32 v6, v35, v34, vcc_lo
; %bb.287:                              ;   in Loop: Header=BB173_33 Depth=1
	s_or_b32 exec_lo, exec_lo, s0
	v_lshlrev_b32_e32 v3, 16, v3
	s_delay_alu instid0(VALU_DEP_1) | instskip(NEXT) | instid1(VALU_DEP_1)
	v_mul_f32_e32 v34, v45, v3
	v_and_b32_e32 v3, 0x7f800000, v34
	s_delay_alu instid0(VALU_DEP_1) | instskip(SKIP_1) | instid1(SALU_CYCLE_1)
	v_cmp_ne_u32_e32 vcc_lo, 0x7f800000, v3
                                        ; implicit-def: $vgpr3
	s_and_saveexec_b32 s0, vcc_lo
	s_xor_b32 s0, exec_lo, s0
; %bb.288:                              ;   in Loop: Header=BB173_33 Depth=1
	v_bfe_u32 v3, v34, 16, 1
	s_delay_alu instid0(VALU_DEP_1)
	v_add3_u32 v3, v34, v3, 0x7fff
                                        ; implicit-def: $vgpr34
; %bb.289:                              ;   in Loop: Header=BB173_33 Depth=1
	s_and_not1_saveexec_b32 s0, s0
; %bb.290:                              ;   in Loop: Header=BB173_33 Depth=1
	v_and_b32_e32 v3, 0xffff, v34
	v_or_b32_e32 v35, 0x10000, v34
	s_delay_alu instid0(VALU_DEP_2) | instskip(NEXT) | instid1(VALU_DEP_2)
	v_cmp_eq_u32_e32 vcc_lo, 0, v3
	v_cndmask_b32_e32 v3, v35, v34, vcc_lo
; %bb.291:                              ;   in Loop: Header=BB173_33 Depth=1
	s_or_b32 exec_lo, exec_lo, s0
	v_lshlrev_b32_e32 v34, 16, v90
	s_delay_alu instid0(VALU_DEP_1) | instskip(NEXT) | instid1(VALU_DEP_1)
	v_mul_f32_e32 v35, v46, v34
	v_and_b32_e32 v34, 0x7f800000, v35
	s_delay_alu instid0(VALU_DEP_1) | instskip(SKIP_1) | instid1(SALU_CYCLE_1)
	v_cmp_ne_u32_e32 vcc_lo, 0x7f800000, v34
                                        ; implicit-def: $vgpr34
	s_and_saveexec_b32 s0, vcc_lo
	s_xor_b32 s0, exec_lo, s0
; %bb.292:                              ;   in Loop: Header=BB173_33 Depth=1
	v_bfe_u32 v34, v35, 16, 1
	s_delay_alu instid0(VALU_DEP_1)
	v_add3_u32 v34, v35, v34, 0x7fff
                                        ; implicit-def: $vgpr35
; %bb.293:                              ;   in Loop: Header=BB173_33 Depth=1
	s_and_not1_saveexec_b32 s0, s0
; %bb.294:                              ;   in Loop: Header=BB173_33 Depth=1
	v_and_b32_e32 v34, 0xffff, v35
	v_or_b32_e32 v36, 0x10000, v35
	s_delay_alu instid0(VALU_DEP_2) | instskip(NEXT) | instid1(VALU_DEP_2)
	v_cmp_eq_u32_e32 vcc_lo, 0, v34
	v_cndmask_b32_e32 v34, v36, v35, vcc_lo
; %bb.295:                              ;   in Loop: Header=BB173_33 Depth=1
	s_or_b32 exec_lo, exec_lo, s0
	v_lshlrev_b32_e32 v4, 16, v4
	s_delay_alu instid0(VALU_DEP_1) | instskip(NEXT) | instid1(VALU_DEP_1)
	v_mul_f32_e32 v35, v47, v4
	v_and_b32_e32 v4, 0x7f800000, v35
	s_delay_alu instid0(VALU_DEP_1) | instskip(SKIP_1) | instid1(SALU_CYCLE_1)
	v_cmp_ne_u32_e32 vcc_lo, 0x7f800000, v4
                                        ; implicit-def: $vgpr4
	s_and_saveexec_b32 s0, vcc_lo
	s_xor_b32 s0, exec_lo, s0
; %bb.296:                              ;   in Loop: Header=BB173_33 Depth=1
	v_bfe_u32 v4, v35, 16, 1
	s_delay_alu instid0(VALU_DEP_1)
	v_add3_u32 v4, v35, v4, 0x7fff
                                        ; implicit-def: $vgpr35
; %bb.297:                              ;   in Loop: Header=BB173_33 Depth=1
	s_and_not1_saveexec_b32 s0, s0
; %bb.298:                              ;   in Loop: Header=BB173_33 Depth=1
	v_and_b32_e32 v4, 0xffff, v35
	v_or_b32_e32 v36, 0x10000, v35
	s_delay_alu instid0(VALU_DEP_2) | instskip(NEXT) | instid1(VALU_DEP_2)
	v_cmp_eq_u32_e32 vcc_lo, 0, v4
	v_cndmask_b32_e32 v4, v36, v35, vcc_lo
; %bb.299:                              ;   in Loop: Header=BB173_33 Depth=1
	s_or_b32 exec_lo, exec_lo, s0
	v_lshlrev_b32_e32 v35, 16, v89
	s_delay_alu instid0(VALU_DEP_1) | instskip(NEXT) | instid1(VALU_DEP_1)
	v_mul_f32_e32 v36, v48, v35
	v_and_b32_e32 v35, 0x7f800000, v36
	s_delay_alu instid0(VALU_DEP_1) | instskip(SKIP_1) | instid1(SALU_CYCLE_1)
	v_cmp_ne_u32_e32 vcc_lo, 0x7f800000, v35
                                        ; implicit-def: $vgpr35
	s_and_saveexec_b32 s0, vcc_lo
	s_xor_b32 s0, exec_lo, s0
; %bb.300:                              ;   in Loop: Header=BB173_33 Depth=1
	v_bfe_u32 v35, v36, 16, 1
	s_delay_alu instid0(VALU_DEP_1)
	v_add3_u32 v35, v36, v35, 0x7fff
                                        ; implicit-def: $vgpr36
; %bb.301:                              ;   in Loop: Header=BB173_33 Depth=1
	s_and_not1_saveexec_b32 s0, s0
	s_cbranch_execz .LBB173_32
; %bb.302:                              ;   in Loop: Header=BB173_33 Depth=1
	v_and_b32_e32 v35, 0xffff, v36
	v_or_b32_e32 v37, 0x10000, v36
	s_delay_alu instid0(VALU_DEP_2) | instskip(NEXT) | instid1(VALU_DEP_2)
	v_cmp_eq_u32_e32 vcc_lo, 0, v35
	v_cndmask_b32_e32 v35, v37, v36, vcc_lo
	s_branch .LBB173_32
.LBB173_303:
	s_or_b32 exec_lo, exec_lo, s3
.LBB173_304:
	s_delay_alu instid0(SALU_CYCLE_1)
	s_or_b32 exec_lo, exec_lo, s1
	ds_bpermute_b32 v1, v16, v18
	ds_bpermute_b32 v2, v16, v23
	;; [unrolled: 1-line block ×7, first 2 shown]
	v_and_b32_e32 v4, 0x3c1, v0
	v_lshrrev_b32_e32 v8, 1, v15
	s_movk_i32 s0, 0x1c0
	s_waitcnt lgkmcnt(0)
	s_waitcnt_vscnt null, 0x0
	v_mad_u32_u24 v9, v14, s0, 0x100
	s_barrier
	buffer_gl0_inv
	v_add_f32_e32 v7, v18, v1
	v_cmp_eq_u32_e32 vcc_lo, 64, v4
	v_dual_add_f32 v5, v23, v2 :: v_dual_add_f32 v4, v22, v3
	v_add_f32_e32 v3, v21, v6
	v_dual_add_f32 v2, v20, v10 :: v_dual_add_f32 v1, v19, v11
	v_add_f32_e32 v6, v17, v16
	v_lshlrev_b32_e32 v10, 2, v8
	s_and_saveexec_b32 s0, vcc_lo
	s_cbranch_execz .LBB173_306
; %bb.305:
	s_delay_alu instid0(VALU_DEP_1)
	v_add3_u32 v11, v9, v10, 0xfffffc80
	ds_store_2addr_b32 v11, v7, v5 offset1:16
	ds_store_2addr_b32 v11, v4, v3 offset0:32 offset1:48
	ds_store_2addr_b32 v11, v2, v1 offset0:64 offset1:80
	ds_store_b32 v11, v6 offset:384
.LBB173_306:
	s_or_b32 exec_lo, exec_lo, s0
	v_cmp_eq_u32_e32 vcc_lo, 0, v13
	s_mov_b32 s1, exec_lo
	s_waitcnt lgkmcnt(0)
	s_barrier
	buffer_gl0_inv
	v_cmpx_gt_u32_e32 64, v0
	s_cbranch_execz .LBB173_316
; %bb.307:
	s_and_saveexec_b32 s0, vcc_lo
	s_cbranch_execnz .LBB173_360
; %bb.308:
	s_or_b32 exec_lo, exec_lo, s0
	s_and_saveexec_b32 s0, vcc_lo
	s_cbranch_execnz .LBB173_361
.LBB173_309:
	s_or_b32 exec_lo, exec_lo, s0
	s_and_saveexec_b32 s0, vcc_lo
	s_cbranch_execnz .LBB173_362
.LBB173_310:
	s_or_b32 exec_lo, exec_lo, s0
	s_and_saveexec_b32 s0, vcc_lo
	s_cbranch_execnz .LBB173_363
.LBB173_311:
	s_or_b32 exec_lo, exec_lo, s0
	s_and_saveexec_b32 s0, vcc_lo
	s_cbranch_execnz .LBB173_364
.LBB173_312:
	s_or_b32 exec_lo, exec_lo, s0
	s_and_saveexec_b32 s0, vcc_lo
	s_cbranch_execnz .LBB173_365
.LBB173_313:
	s_or_b32 exec_lo, exec_lo, s0
	s_and_saveexec_b32 s0, vcc_lo
	s_cbranch_execz .LBB173_315
.LBB173_314:
	v_lshl_add_u32 v11, v8, 2, v9
	ds_load_b32 v11, v11 offset:384
	s_waitcnt lgkmcnt(0)
	v_add_f32_e32 v6, v6, v11
.LBB173_315:
	s_or_b32 exec_lo, exec_lo, s0
.LBB173_316:
	s_delay_alu instid0(SALU_CYCLE_1)
	s_or_b32 exec_lo, exec_lo, s1
	v_and_b32_e32 v11, 0x3e1, v0
	s_mov_b32 s1, exec_lo
	s_barrier
	buffer_gl0_inv
	v_cmpx_eq_u32_e32 32, v11
	s_cbranch_execz .LBB173_318
; %bb.317:
	v_add3_u32 v10, v9, v10, 0xfffffe40
	ds_store_2addr_b32 v10, v7, v5 offset1:16
	ds_store_2addr_b32 v10, v4, v3 offset0:32 offset1:48
	ds_store_2addr_b32 v10, v2, v1 offset0:64 offset1:80
	ds_store_b32 v10, v6 offset:384
.LBB173_318:
	s_or_b32 exec_lo, exec_lo, s1
	v_cmp_gt_u32_e64 s0, 32, v0
	s_waitcnt lgkmcnt(0)
	s_barrier
	buffer_gl0_inv
	s_and_saveexec_b32 s1, s0
	s_cbranch_execz .LBB173_328
; %bb.319:
	v_lshl_add_u32 v0, v8, 2, v9
	s_and_saveexec_b32 s2, vcc_lo
	s_cbranch_execnz .LBB173_366
; %bb.320:
	s_or_b32 exec_lo, exec_lo, s2
	s_and_saveexec_b32 s2, vcc_lo
	s_cbranch_execnz .LBB173_367
.LBB173_321:
	s_or_b32 exec_lo, exec_lo, s2
	s_and_saveexec_b32 s2, vcc_lo
	s_cbranch_execnz .LBB173_368
.LBB173_322:
	s_or_b32 exec_lo, exec_lo, s2
	s_and_saveexec_b32 s2, vcc_lo
	s_cbranch_execnz .LBB173_369
.LBB173_323:
	s_or_b32 exec_lo, exec_lo, s2
	s_and_saveexec_b32 s2, vcc_lo
	s_cbranch_execnz .LBB173_370
.LBB173_324:
	s_or_b32 exec_lo, exec_lo, s2
	s_and_saveexec_b32 s2, vcc_lo
	s_cbranch_execnz .LBB173_371
.LBB173_325:
	s_or_b32 exec_lo, exec_lo, s2
	s_and_saveexec_b32 s2, vcc_lo
	s_cbranch_execz .LBB173_327
.LBB173_326:
	ds_load_b32 v0, v0 offset:384
	s_waitcnt lgkmcnt(0)
	v_add_f32_e32 v6, v6, v0
.LBB173_327:
	s_or_b32 exec_lo, exec_lo, s2
.LBB173_328:
	s_delay_alu instid0(SALU_CYCLE_1)
	s_or_b32 exec_lo, exec_lo, s1
	s_barrier
	buffer_gl0_inv
	s_and_saveexec_b32 s1, s0
	s_cbranch_execz .LBB173_359
; %bb.329:
	s_and_b32 exec_lo, exec_lo, vcc_lo
	s_cbranch_execz .LBB173_359
; %bb.330:
	v_and_b32_e32 v0, 0x7f800000, v7
	s_delay_alu instid0(VALU_DEP_1) | instskip(SKIP_1) | instid1(SALU_CYCLE_1)
	v_cmp_ne_u32_e32 vcc_lo, 0x7f800000, v0
                                        ; implicit-def: $vgpr0
	s_and_saveexec_b32 s0, vcc_lo
	s_xor_b32 s0, exec_lo, s0
; %bb.331:
	v_bfe_u32 v0, v7, 16, 1
	s_delay_alu instid0(VALU_DEP_1)
	v_add3_u32 v0, v7, v0, 0x7fff
; %bb.332:
	s_and_not1_saveexec_b32 s0, s0
; %bb.333:
	v_and_b32_e32 v0, 0xffff, v7
	v_or_b32_e32 v8, 0x10000, v7
	s_delay_alu instid0(VALU_DEP_2) | instskip(NEXT) | instid1(VALU_DEP_2)
	v_cmp_eq_u32_e32 vcc_lo, 0, v0
	v_cndmask_b32_e32 v0, v8, v7, vcc_lo
; %bb.334:
	s_or_b32 exec_lo, exec_lo, s0
	s_mul_i32 s0, s4, s14
	s_mul_i32 s2, s4, s16
	s_mul_i32 s0, s0, s15
	v_lshlrev_b32_e32 v9, 1, v12
	s_mulk_i32 s0, 0x70
	v_and_b32_e32 v10, 0x7f800000, v5
	s_ashr_i32 s1, s0, 31
	s_delay_alu instid0(SALU_CYCLE_1) | instskip(NEXT) | instid1(SALU_CYCLE_1)
	s_lshl_b64 s[0:1], s[0:1], 1
	s_add_u32 s4, s18, s0
	s_addc_u32 s5, s19, s1
	s_ashr_i32 s3, s2, 31
	s_delay_alu instid0(SALU_CYCLE_1) | instskip(SKIP_4) | instid1(SALU_CYCLE_1)
	s_lshl_b64 s[0:1], s[2:3], 1
	s_mul_i32 s2, s12, 0x70
	s_add_u32 s4, s4, s0
	s_addc_u32 s5, s5, s1
	s_ashr_i32 s3, s2, 31
	s_lshl_b64 s[0:1], s[2:3], 1
	s_delay_alu instid0(SALU_CYCLE_1) | instskip(SKIP_2) | instid1(VALU_DEP_1)
	s_add_u32 s0, s4, s0
	s_addc_u32 s1, s5, s1
	v_add_co_u32 v7, s2, s0, v9
	v_add_co_ci_u32_e64 v8, null, s1, 0, s2
	global_store_d16_hi_b16 v9, v0, s[0:1]
	s_mov_b32 s0, exec_lo
                                        ; implicit-def: $vgpr0
	v_cmpx_ne_u32_e32 0x7f800000, v10
	s_xor_b32 s0, exec_lo, s0
; %bb.335:
	v_bfe_u32 v0, v5, 16, 1
	s_delay_alu instid0(VALU_DEP_1)
	v_add3_u32 v0, v5, v0, 0x7fff
; %bb.336:
	s_and_not1_saveexec_b32 s0, s0
; %bb.337:
	v_and_b32_e32 v0, 0xffff, v5
	v_or_b32_e32 v9, 0x10000, v5
	s_delay_alu instid0(VALU_DEP_2) | instskip(NEXT) | instid1(VALU_DEP_2)
	v_cmp_eq_u32_e32 vcc_lo, 0, v0
	v_cndmask_b32_e32 v0, v9, v5, vcc_lo
; %bb.338:
	s_or_b32 exec_lo, exec_lo, s0
	v_and_b32_e32 v5, 0x7f800000, v4
	s_mov_b32 s0, exec_lo
	global_store_d16_hi_b16 v[7:8], v0, off offset:32
                                        ; implicit-def: $vgpr0
	v_cmpx_ne_u32_e32 0x7f800000, v5
	s_xor_b32 s0, exec_lo, s0
; %bb.339:
	v_bfe_u32 v0, v4, 16, 1
	s_delay_alu instid0(VALU_DEP_1)
	v_add3_u32 v0, v4, v0, 0x7fff
; %bb.340:
	s_and_not1_saveexec_b32 s0, s0
; %bb.341:
	v_and_b32_e32 v0, 0xffff, v4
	v_or_b32_e32 v5, 0x10000, v4
	s_delay_alu instid0(VALU_DEP_2) | instskip(NEXT) | instid1(VALU_DEP_2)
	v_cmp_eq_u32_e32 vcc_lo, 0, v0
	v_cndmask_b32_e32 v0, v5, v4, vcc_lo
; %bb.342:
	s_or_b32 exec_lo, exec_lo, s0
	v_and_b32_e32 v4, 0x7f800000, v3
	s_mov_b32 s0, exec_lo
	global_store_d16_hi_b16 v[7:8], v0, off offset:64
	;; [unrolled: 20-line block ×5, first 2 shown]
                                        ; implicit-def: $vgpr9
	v_cmpx_ne_u32_e32 0x7f800000, v1
	s_xor_b32 s0, exec_lo, s0
; %bb.355:
	v_bfe_u32 v0, v6, 16, 1
	s_delay_alu instid0(VALU_DEP_1)
	v_add3_u32 v9, v6, v0, 0x7fff
                                        ; implicit-def: $vgpr0_vgpr1_vgpr2_vgpr3_vgpr4_vgpr5_vgpr6
; %bb.356:
	s_and_not1_saveexec_b32 s0, s0
; %bb.357:
	v_and_b32_e32 v0, 0xffff, v6
	v_or_b32_e32 v1, 0x10000, v6
	s_delay_alu instid0(VALU_DEP_2) | instskip(NEXT) | instid1(VALU_DEP_2)
	v_cmp_eq_u32_e32 vcc_lo, 0, v0
	v_cndmask_b32_e32 v9, v1, v6, vcc_lo
; %bb.358:
	s_or_b32 exec_lo, exec_lo, s0
	global_store_d16_hi_b16 v[7:8], v9, off offset:192
.LBB173_359:
	s_nop 0
	s_sendmsg sendmsg(MSG_DEALLOC_VGPRS)
	s_endpgm
.LBB173_360:
	v_lshl_add_u32 v11, v8, 2, v9
	ds_load_b32 v11, v11
	s_waitcnt lgkmcnt(0)
	v_add_f32_e32 v7, v7, v11
	s_or_b32 exec_lo, exec_lo, s0
	s_and_saveexec_b32 s0, vcc_lo
	s_cbranch_execz .LBB173_309
.LBB173_361:
	v_lshl_add_u32 v11, v8, 2, v9
	ds_load_b32 v11, v11 offset:64
	s_waitcnt lgkmcnt(0)
	v_add_f32_e32 v5, v5, v11
	s_or_b32 exec_lo, exec_lo, s0
	s_and_saveexec_b32 s0, vcc_lo
	s_cbranch_execz .LBB173_310
.LBB173_362:
	v_lshl_add_u32 v11, v8, 2, v9
	ds_load_b32 v11, v11 offset:128
	s_waitcnt lgkmcnt(0)
	v_add_f32_e32 v4, v4, v11
	s_or_b32 exec_lo, exec_lo, s0
	s_and_saveexec_b32 s0, vcc_lo
	s_cbranch_execz .LBB173_311
.LBB173_363:
	v_lshl_add_u32 v11, v8, 2, v9
	ds_load_b32 v11, v11 offset:192
	s_waitcnt lgkmcnt(0)
	v_add_f32_e32 v3, v3, v11
	s_or_b32 exec_lo, exec_lo, s0
	s_and_saveexec_b32 s0, vcc_lo
	s_cbranch_execz .LBB173_312
.LBB173_364:
	v_lshl_add_u32 v11, v8, 2, v9
	ds_load_b32 v11, v11 offset:256
	s_waitcnt lgkmcnt(0)
	v_add_f32_e32 v2, v2, v11
	s_or_b32 exec_lo, exec_lo, s0
	s_and_saveexec_b32 s0, vcc_lo
	s_cbranch_execz .LBB173_313
.LBB173_365:
	v_lshl_add_u32 v11, v8, 2, v9
	ds_load_b32 v11, v11 offset:320
	s_waitcnt lgkmcnt(0)
	v_add_f32_e32 v1, v1, v11
	s_or_b32 exec_lo, exec_lo, s0
	s_and_saveexec_b32 s0, vcc_lo
	s_cbranch_execnz .LBB173_314
	s_branch .LBB173_315
.LBB173_366:
	ds_load_b32 v8, v0
	s_waitcnt lgkmcnt(0)
	v_add_f32_e32 v7, v7, v8
	s_or_b32 exec_lo, exec_lo, s2
	s_and_saveexec_b32 s2, vcc_lo
	s_cbranch_execz .LBB173_321
.LBB173_367:
	ds_load_b32 v8, v0 offset:64
	s_waitcnt lgkmcnt(0)
	v_add_f32_e32 v5, v5, v8
	s_or_b32 exec_lo, exec_lo, s2
	s_and_saveexec_b32 s2, vcc_lo
	s_cbranch_execz .LBB173_322
.LBB173_368:
	ds_load_b32 v8, v0 offset:128
	s_waitcnt lgkmcnt(0)
	v_add_f32_e32 v4, v4, v8
	s_or_b32 exec_lo, exec_lo, s2
	s_and_saveexec_b32 s2, vcc_lo
	s_cbranch_execz .LBB173_323
.LBB173_369:
	ds_load_b32 v8, v0 offset:192
	s_waitcnt lgkmcnt(0)
	v_add_f32_e32 v3, v3, v8
	s_or_b32 exec_lo, exec_lo, s2
	s_and_saveexec_b32 s2, vcc_lo
	s_cbranch_execz .LBB173_324
.LBB173_370:
	ds_load_b32 v8, v0 offset:256
	s_waitcnt lgkmcnt(0)
	v_add_f32_e32 v2, v2, v8
	s_or_b32 exec_lo, exec_lo, s2
	s_and_saveexec_b32 s2, vcc_lo
	s_cbranch_execz .LBB173_325
.LBB173_371:
	ds_load_b32 v8, v0 offset:320
	s_waitcnt lgkmcnt(0)
	v_add_f32_e32 v1, v1, v8
	s_or_b32 exec_lo, exec_lo, s2
	s_and_saveexec_b32 s2, vcc_lo
	s_cbranch_execnz .LBB173_326
	s_branch .LBB173_327
	.section	.rodata,"a",@progbits
	.p2align	6, 0x0
	.amdhsa_kernel _ZN4vllm25paged_attention_v2_kernelI14__hip_bfloat16S1_Li112ELi16ELi128ELNS_18Fp8KVCacheDataTypeE0ELb0ELi512EEEvPfS3_PT_PKS4_PKT0_SA_ifPKiSC_iPKfiiiSE_SE_iiiii
		.amdhsa_group_segment_fixed_size 256
		.amdhsa_private_segment_fixed_size 0
		.amdhsa_kernarg_size 400
		.amdhsa_user_sgpr_count 13
		.amdhsa_user_sgpr_dispatch_ptr 0
		.amdhsa_user_sgpr_queue_ptr 0
		.amdhsa_user_sgpr_kernarg_segment_ptr 1
		.amdhsa_user_sgpr_dispatch_id 0
		.amdhsa_user_sgpr_private_segment_size 0
		.amdhsa_wavefront_size32 1
		.amdhsa_uses_dynamic_stack 0
		.amdhsa_enable_private_segment 0
		.amdhsa_system_sgpr_workgroup_id_x 1
		.amdhsa_system_sgpr_workgroup_id_y 1
		.amdhsa_system_sgpr_workgroup_id_z 1
		.amdhsa_system_sgpr_workgroup_info 0
		.amdhsa_system_vgpr_workitem_id 0
		.amdhsa_next_free_vgpr 124
		.amdhsa_next_free_sgpr 38
		.amdhsa_reserve_vcc 1
		.amdhsa_float_round_mode_32 0
		.amdhsa_float_round_mode_16_64 0
		.amdhsa_float_denorm_mode_32 3
		.amdhsa_float_denorm_mode_16_64 3
		.amdhsa_dx10_clamp 1
		.amdhsa_ieee_mode 1
		.amdhsa_fp16_overflow 0
		.amdhsa_workgroup_processor_mode 1
		.amdhsa_memory_ordered 1
		.amdhsa_forward_progress 0
		.amdhsa_shared_vgpr_count 0
		.amdhsa_exception_fp_ieee_invalid_op 0
		.amdhsa_exception_fp_denorm_src 0
		.amdhsa_exception_fp_ieee_div_zero 0
		.amdhsa_exception_fp_ieee_overflow 0
		.amdhsa_exception_fp_ieee_underflow 0
		.amdhsa_exception_fp_ieee_inexact 0
		.amdhsa_exception_int_div_zero 0
	.end_amdhsa_kernel
	.section	.text._ZN4vllm25paged_attention_v2_kernelI14__hip_bfloat16S1_Li112ELi16ELi128ELNS_18Fp8KVCacheDataTypeE0ELb0ELi512EEEvPfS3_PT_PKS4_PKT0_SA_ifPKiSC_iPKfiiiSE_SE_iiiii,"axG",@progbits,_ZN4vllm25paged_attention_v2_kernelI14__hip_bfloat16S1_Li112ELi16ELi128ELNS_18Fp8KVCacheDataTypeE0ELb0ELi512EEEvPfS3_PT_PKS4_PKT0_SA_ifPKiSC_iPKfiiiSE_SE_iiiii,comdat
.Lfunc_end173:
	.size	_ZN4vllm25paged_attention_v2_kernelI14__hip_bfloat16S1_Li112ELi16ELi128ELNS_18Fp8KVCacheDataTypeE0ELb0ELi512EEEvPfS3_PT_PKS4_PKT0_SA_ifPKiSC_iPKfiiiSE_SE_iiiii, .Lfunc_end173-_ZN4vllm25paged_attention_v2_kernelI14__hip_bfloat16S1_Li112ELi16ELi128ELNS_18Fp8KVCacheDataTypeE0ELb0ELi512EEEvPfS3_PT_PKS4_PKT0_SA_ifPKiSC_iPKfiiiSE_SE_iiiii
                                        ; -- End function
	.section	.AMDGPU.csdata,"",@progbits
; Kernel info:
; codeLenInByte = 14696
; NumSgprs: 40
; NumVgprs: 124
; ScratchSize: 0
; MemoryBound: 0
; FloatMode: 240
; IeeeMode: 1
; LDSByteSize: 256 bytes/workgroup (compile time only)
; SGPRBlocks: 4
; VGPRBlocks: 15
; NumSGPRsForWavesPerEU: 40
; NumVGPRsForWavesPerEU: 124
; Occupancy: 10
; WaveLimiterHint : 1
; COMPUTE_PGM_RSRC2:SCRATCH_EN: 0
; COMPUTE_PGM_RSRC2:USER_SGPR: 13
; COMPUTE_PGM_RSRC2:TRAP_HANDLER: 0
; COMPUTE_PGM_RSRC2:TGID_X_EN: 1
; COMPUTE_PGM_RSRC2:TGID_Y_EN: 1
; COMPUTE_PGM_RSRC2:TGID_Z_EN: 1
; COMPUTE_PGM_RSRC2:TIDIG_COMP_CNT: 0
	.section	.text._ZN4vllm25paged_attention_v2_kernelI14__hip_bfloat16S1_Li120ELi16ELi128ELNS_18Fp8KVCacheDataTypeE0ELb0ELi512EEEvPfS3_PT_PKS4_PKT0_SA_ifPKiSC_iPKfiiiSE_SE_iiiii,"axG",@progbits,_ZN4vllm25paged_attention_v2_kernelI14__hip_bfloat16S1_Li120ELi16ELi128ELNS_18Fp8KVCacheDataTypeE0ELb0ELi512EEEvPfS3_PT_PKS4_PKT0_SA_ifPKiSC_iPKfiiiSE_SE_iiiii,comdat
	.protected	_ZN4vllm25paged_attention_v2_kernelI14__hip_bfloat16S1_Li120ELi16ELi128ELNS_18Fp8KVCacheDataTypeE0ELb0ELi512EEEvPfS3_PT_PKS4_PKT0_SA_ifPKiSC_iPKfiiiSE_SE_iiiii ; -- Begin function _ZN4vllm25paged_attention_v2_kernelI14__hip_bfloat16S1_Li120ELi16ELi128ELNS_18Fp8KVCacheDataTypeE0ELb0ELi512EEEvPfS3_PT_PKS4_PKT0_SA_ifPKiSC_iPKfiiiSE_SE_iiiii
	.globl	_ZN4vllm25paged_attention_v2_kernelI14__hip_bfloat16S1_Li120ELi16ELi128ELNS_18Fp8KVCacheDataTypeE0ELb0ELi512EEEvPfS3_PT_PKS4_PKT0_SA_ifPKiSC_iPKfiiiSE_SE_iiiii
	.p2align	8
	.type	_ZN4vllm25paged_attention_v2_kernelI14__hip_bfloat16S1_Li120ELi16ELi128ELNS_18Fp8KVCacheDataTypeE0ELb0ELi512EEEvPfS3_PT_PKS4_PKT0_SA_ifPKiSC_iPKfiiiSE_SE_iiiii,@function
_ZN4vllm25paged_attention_v2_kernelI14__hip_bfloat16S1_Li120ELi16ELi128ELNS_18Fp8KVCacheDataTypeE0ELb0ELi512EEEvPfS3_PT_PKS4_PKT0_SA_ifPKiSC_iPKfiiiSE_SE_iiiii: ; @_ZN4vllm25paged_attention_v2_kernelI14__hip_bfloat16S1_Li120ELi16ELi128ELNS_18Fp8KVCacheDataTypeE0ELb0ELi512EEEvPfS3_PT_PKS4_PKT0_SA_ifPKiSC_iPKfiiiSE_SE_iiiii
; %bb.0:
	s_load_b64 s[2:3], s[0:1], 0x40
	s_mov_b32 s12, s15
	s_ashr_i32 s15, s14, 31
	s_delay_alu instid0(SALU_CYCLE_1)
	s_lshl_b64 s[4:5], s[14:15], 2
	s_waitcnt lgkmcnt(0)
	s_add_u32 s2, s2, s4
	s_addc_u32 s3, s3, s5
	s_lshl_b32 s33, s12, 9
	s_load_b32 s15, s[2:3], 0x0
	s_waitcnt lgkmcnt(0)
	s_cmp_ge_i32 s33, s15
	s_cbranch_scc1 .LBB174_425
; %bb.1:
	s_mov_b32 s20, s13
	s_clause 0x1
	s_load_b32 s13, s[0:1], 0x90
	s_load_b64 s[30:31], s[0:1], 0x30
	s_waitcnt lgkmcnt(0)
	s_abs_i32 s5, s13
	s_abs_i32 s2, s30
	s_delay_alu instid0(SALU_CYCLE_1) | instskip(SKIP_1) | instid1(VALU_DEP_1)
	v_cvt_f32_u32_e32 v1, s2
	s_sub_i32 s4, 0, s2
	v_rcp_iflag_f32_e32 v1, v1
	s_waitcnt_depctr 0xfff
	v_mul_f32_e32 v1, 0x4f7ffffe, v1
	s_delay_alu instid0(VALU_DEP_1) | instskip(NEXT) | instid1(VALU_DEP_1)
	v_cvt_u32_f32_e32 v1, v1
	v_readfirstlane_b32 s3, v1
	s_delay_alu instid0(VALU_DEP_1) | instskip(NEXT) | instid1(SALU_CYCLE_1)
	s_mul_i32 s4, s4, s3
	s_mul_hi_u32 s4, s3, s4
	s_delay_alu instid0(SALU_CYCLE_1)
	s_add_i32 s3, s3, s4
	s_xor_b32 s4, s13, s30
	s_mul_hi_u32 s3, s5, s3
	s_ashr_i32 s4, s4, 31
	s_mul_i32 s6, s3, s2
	s_mov_b32 s30, 0
	s_sub_i32 s5, s5, s6
	s_add_i32 s6, s3, 1
	s_sub_i32 s7, s5, s2
	s_cmp_ge_u32 s5, s2
	s_cselect_b32 s3, s6, s3
	s_cselect_b32 s5, s7, s5
	s_add_i32 s6, s3, 1
	s_cmp_ge_u32 s5, s2
	s_cselect_b32 s2, s6, s3
	s_abs_i32 s10, s20
	s_xor_b32 s2, s2, s4
	s_delay_alu instid0(SALU_CYCLE_1) | instskip(SKIP_2) | instid1(SALU_CYCLE_1)
	s_sub_i32 s11, s2, s4
	s_load_b64 s[2:3], s[0:1], 0x50
	s_abs_i32 s8, s11
	v_cvt_f32_u32_e32 v1, s8
	s_sub_i32 s5, 0, s8
	s_delay_alu instid0(VALU_DEP_1) | instskip(SKIP_2) | instid1(VALU_DEP_1)
	v_rcp_iflag_f32_e32 v1, v1
	s_waitcnt_depctr 0xfff
	v_mul_f32_e32 v1, 0x4f7ffffe, v1
	v_cvt_u32_f32_e32 v1, v1
	s_delay_alu instid0(VALU_DEP_1) | instskip(NEXT) | instid1(VALU_DEP_1)
	v_readfirstlane_b32 s4, v1
	s_mul_i32 s5, s5, s4
	s_delay_alu instid0(SALU_CYCLE_1) | instskip(NEXT) | instid1(SALU_CYCLE_1)
	s_mul_hi_u32 s5, s4, s5
	s_add_i32 s4, s4, s5
	s_waitcnt lgkmcnt(0)
	s_cmp_eq_u64 s[2:3], 0
	s_mul_hi_u32 s9, s10, s4
	s_cbranch_scc1 .LBB174_3
; %bb.2:
	s_ashr_i32 s21, s20, 31
	s_delay_alu instid0(SALU_CYCLE_1) | instskip(NEXT) | instid1(SALU_CYCLE_1)
	s_lshl_b64 s[4:5], s[20:21], 2
	s_add_u32 s2, s2, s4
	s_addc_u32 s3, s3, s5
	s_load_b32 s30, s[2:3], 0x0
.LBB174_3:
	s_load_b128 s[4:7], s[0:1], 0x58
	v_lshrrev_b32_e32 v12, 1, v0
	v_and_b32_e32 v13, 1, v0
	v_lshlrev_b32_e32 v3, 3, v0
	s_ashr_i32 s2, s20, 31
	s_ashr_i32 s3, s11, 31
	s_mul_i32 s16, s20, 0x78
	s_waitcnt lgkmcnt(0)
	s_mov_b32 s7, exec_lo
	v_cmpx_gt_u32_e32 30, v0
	s_cbranch_execz .LBB174_5
; %bb.4:
	s_load_b64 s[18:19], s[0:1], 0x18
	s_mul_i32 s22, s14, s4
	v_lshlrev_b32_e32 v4, 3, v12
	s_ashr_i32 s23, s22, 31
	s_delay_alu instid0(SALU_CYCLE_1) | instskip(NEXT) | instid1(VALU_DEP_1)
	s_lshl_b64 s[22:23], s[22:23], 1
	v_mad_u32_u24 v4, 0x78, v13, v4
	s_waitcnt lgkmcnt(0)
	s_add_u32 s4, s18, s22
	s_addc_u32 s11, s19, s23
	s_ashr_i32 s17, s16, 31
	s_delay_alu instid0(SALU_CYCLE_1) | instskip(NEXT) | instid1(SALU_CYCLE_1)
	s_lshl_b64 s[18:19], s[16:17], 1
	s_add_u32 s18, s4, s18
	s_addc_u32 s19, s11, s19
	global_load_b64 v[1:2], v3, s[18:19]
	s_waitcnt vmcnt(0)
	ds_store_b64 v4, v[1:2]
.LBB174_5:
	s_or_b32 exec_lo, exec_lo, s7
	s_add_i32 s4, s15, 15
	s_lshl_b32 s7, s12, 5
	s_ashr_i32 s11, s4, 31
	s_mul_i32 s18, s9, s8
	s_lshr_b32 s11, s11, 28
	s_xor_b32 s2, s2, s3
	s_add_i32 s4, s4, s11
	s_add_i32 s11, s7, 32
	s_ashr_i32 s21, s4, 4
	s_clause 0x1
	s_load_b64 s[22:23], s[0:1], 0x38
	s_load_b32 s4, s[0:1], 0x48
	s_sub_i32 s3, s10, s18
	s_min_i32 s17, s11, s21
	s_add_i32 s10, s9, 1
	s_sub_i32 s11, s3, s8
	s_cmp_ge_u32 s3, s8
	v_lshrrev_b32_e32 v14, 5, v0
	s_cselect_b32 s9, s10, s9
	s_cselect_b32 s3, s11, s3
	s_add_i32 s10, s9, 1
	s_cmp_ge_u32 s3, s8
	v_or_b32_e32 v9, s7, v14
	s_cselect_b32 s3, s10, s9
	v_mbcnt_lo_u32_b32 v4, -1, 0
	s_xor_b32 s3, s3, s2
	s_waitcnt lgkmcnt(0)
	s_sub_i32 s3, s3, s2
	v_cmp_le_i32_e64 s2, s17, v9
	s_barrier
	buffer_gl0_inv
	s_mul_i32 s24, s14, s4
                                        ; implicit-def: $sgpr28
                                        ; implicit-def: $vgpr5
	s_delay_alu instid0(SALU_CYCLE_1) | instskip(SKIP_1) | instid1(SALU_CYCLE_1)
	s_ashr_i32 s25, s24, 31
	s_and_saveexec_b32 s4, s2
	s_xor_b32 s4, exec_lo, s4
; %bb.6:
	v_mbcnt_lo_u32_b32 v4, -1, 0
	v_mov_b32_e32 v5, 32
	s_mov_b32 s28, 0xff7fffff
; %bb.7:
	s_or_saveexec_b32 s34, s4
	s_clause 0x3
	s_load_b128 s[8:11], s[0:1], 0x0
	s_load_b64 s[18:19], s[0:1], 0x10
	s_load_b64 s[26:27], s[0:1], 0x28
	s_load_b32 s4, s[0:1], 0x98
	v_mov_b32_e32 v66, s28
	v_ashrrev_i32_e32 v10, 31, v9
	s_mul_i32 s28, s3, s6
	s_xor_b32 exec_lo, exec_lo, s34
	s_cbranch_execz .LBB174_13
; %bb.8:
	s_load_b64 s[0:1], s[0:1], 0x20
	v_bfe_u32 v66, v0, 1, 4
	s_ashr_i32 s29, s28, 31
	v_mul_u32_u24_e32 v1, 0x78, v13
	s_lshl_b64 s[36:37], s[28:29], 1
	v_and_b32_e32 v2, 8, v3
	v_lshlrev_b32_e32 v5, 4, v66
	v_lshlrev_b32_e32 v75, 2, v66
	ds_load_2addr_b64 v[15:18], v1 offset1:1
	ds_load_2addr_b64 v[25:28], v1 offset0:2 offset1:3
	ds_load_2addr_b64 v[33:36], v1 offset0:4 offset1:5
	;; [unrolled: 1-line block ×6, first 2 shown]
	v_lshl_or_b32 v76, v14, 6, v75
	s_mov_b32 s35, s5
	s_mov_b32 s29, 0
	s_delay_alu instid0(VALU_DEP_1) | instskip(SKIP_4) | instid1(VALU_DEP_1)
	v_dual_mov_b32 v77, v9 :: v_dual_add_nc_u32 v76, 0x110, v76
	s_waitcnt lgkmcnt(0)
	s_add_u32 s0, s0, s36
	s_addc_u32 s1, s1, s37
	v_add_co_u32 v5, s0, s0, v5
	v_add_co_ci_u32_e64 v20, null, s1, 0, s0
	s_lshl_b64 s[36:37], s[24:25], 2
	s_delay_alu instid0(VALU_DEP_2)
	v_add_co_u32 v19, vcc_lo, v5, v2
	ds_load_b64 v[1:2], v1 offset:112
	v_xor_b32_e32 v5, 1, v4
	v_add_co_ci_u32_e32 v20, vcc_lo, 0, v20, vcc_lo
	s_sub_i32 s6, 1, s15
	s_add_u32 s1, s22, s36
	s_delay_alu instid0(VALU_DEP_2)
	v_cmp_gt_i32_e32 vcc_lo, 32, v5
	s_addc_u32 s3, s23, s37
	v_lshlrev_b32_e32 v6, 16, v15
	v_and_b32_e32 v7, 0xffff0000, v15
	v_dual_cndmask_b32 v65, v4, v5 :: v_dual_lshlrev_b32 v8, 16, v16
	v_and_b32_e32 v11, 0xffff0000, v16
	v_lshlrev_b32_e32 v15, 16, v17
	v_and_b32_e32 v16, 0xffff0000, v17
	v_lshlrev_b32_e32 v17, 16, v18
	;; [unrolled: 2-line block ×4, first 2 shown]
	s_waitcnt lgkmcnt(0)
	v_lshlrev_b32_e32 v71, 16, v1
	v_and_b32_e32 v72, 0xffff0000, v1
	v_lshlrev_b32_e32 v1, 4, v14
	v_lshlrev_b32_e32 v73, 16, v2
	v_and_b32_e32 v74, 0xffff0000, v2
	v_and_b32_e32 v24, 0xffff0000, v26
	v_lshlrev_b32_e32 v25, 16, v27
	v_add3_u32 v75, s33, v1, v66
	v_lshlrev_b64 v[1:2], 2, v[9:10]
	v_and_b32_e32 v26, 0xffff0000, v27
	v_lshlrev_b32_e32 v27, 16, v28
	v_and_b32_e32 v28, 0xffff0000, v28
	v_lshlrev_b32_e32 v29, 16, v33
	v_and_b32_e32 v30, 0xffff0000, v33
	v_add_co_u32 v1, s1, s1, v1
	v_lshlrev_b32_e32 v31, 16, v34
	v_and_b32_e32 v32, 0xffff0000, v34
	v_lshlrev_b32_e32 v33, 16, v35
	v_and_b32_e32 v34, 0xffff0000, v35
	;; [unrolled: 2-line block ×16, first 2 shown]
	v_lshlrev_b32_e32 v63, 16, v68
	v_dual_mov_b32 v5, 32 :: v_dual_and_b32 v64, 0xffff0000, v68
	v_lshlrev_b32_e32 v65, 2, v65
	v_cmp_eq_u32_e32 vcc_lo, 0, v13
	v_cmp_neq_f32_e64 s0, s30, 0
	v_lshlrev_b32_e32 v67, 16, v69
	v_and_b32_e32 v68, 0xffff0000, v69
	v_lshlrev_b32_e32 v69, 16, v70
	v_and_b32_e32 v70, 0xffff0000, v70
	v_add_co_ci_u32_e64 v2, s1, s3, v2, s1
	v_mov_b32_e32 v66, 0xff7fffff
	s_branch .LBB174_10
.LBB174_9:                              ;   in Loop: Header=BB174_10 Depth=1
	s_or_b32 exec_lo, exec_lo, s3
	v_add_nc_u32_e32 v77, 4, v77
	v_add_co_u32 v1, s3, v1, 16
	v_add_nc_u32_e32 v75, 64, v75
	v_add_nc_u32_e32 v76, 0x100, v76
	s_delay_alu instid0(VALU_DEP_4) | instskip(SKIP_1) | instid1(VALU_DEP_2)
	v_cmp_le_i32_e64 s1, s17, v77
	v_add_co_ci_u32_e64 v2, s3, 0, v2, s3
	s_or_b32 s29, s1, s29
	s_delay_alu instid0(SALU_CYCLE_1)
	s_and_not1_b32 exec_lo, exec_lo, s29
	s_cbranch_execz .LBB174_12
.LBB174_10:                             ; =>This Inner Loop Header: Depth=1
	global_load_b32 v80, v[1:2], off
	s_waitcnt vmcnt(0) lgkmcnt(0)
	v_mad_i64_i32 v[78:79], null, v80, s35, 0
	s_delay_alu instid0(VALU_DEP_1) | instskip(NEXT) | instid1(VALU_DEP_1)
	v_lshlrev_b64 v[78:79], 1, v[78:79]
	v_add_co_u32 v78, s1, v19, v78
	s_delay_alu instid0(VALU_DEP_1)
	v_add_co_ci_u32_e64 v79, s1, v20, v79, s1
	s_clause 0xb
	global_load_b64 v[80:81], v[78:79], off
	global_load_b64 v[82:83], v[78:79], off offset:256
	global_load_b64 v[84:85], v[78:79], off offset:512
	;; [unrolled: 1-line block ×11, first 2 shown]
	s_waitcnt vmcnt(9)
	v_lshlrev_b32_e32 v113, 16, v85
	v_lshlrev_b32_e32 v108, 16, v82
	v_and_b32_e32 v107, 0xffff0000, v81
	s_waitcnt vmcnt(8)
	v_lshlrev_b32_e32 v115, 16, v87
	v_lshlrev_b32_e32 v106, 16, v81
	;; [unrolled: 1-line block ×4, first 2 shown]
	v_dual_mul_f32 v108, v15, v108 :: v_dual_and_b32 v109, 0xffff0000, v82
	s_waitcnt vmcnt(5)
	v_lshlrev_b32_e32 v121, 16, v93
	s_waitcnt vmcnt(4)
	v_lshlrev_b32_e32 v123, 16, v95
	s_waitcnt vmcnt(3)
	v_dual_fmac_f32 v108, v6, v104 :: v_dual_lshlrev_b32 v125, 16, v97
	v_dual_mul_f32 v104, v16, v109 :: v_dual_and_b32 v105, 0xffff0000, v80
	global_load_b64 v[80:81], v[78:79], off offset:3072
	v_and_b32_e32 v111, 0xffff0000, v83
	s_clause 0x1
	global_load_b64 v[82:83], v[78:79], off offset:3328
	global_load_b64 v[78:79], v[78:79], off offset:3584
	v_dual_mul_f32 v109, v17, v110 :: v_dual_fmac_f32 v104, v7, v105
	s_waitcnt vmcnt(3)
	v_lshlrev_b32_e32 v110, 16, v103
	v_lshlrev_b32_e32 v124, 16, v96
	s_delay_alu instid0(VALU_DEP_3) | instskip(SKIP_2) | instid1(VALU_DEP_3)
	v_dual_fmac_f32 v109, v8, v106 :: v_dual_and_b32 v96, 0xffff0000, v96
	v_dual_mul_f32 v106, v18, v111 :: v_dual_lshlrev_b32 v117, 16, v89
	v_lshlrev_b32_e32 v126, 16, v98
	v_dual_fmac_f32 v109, v23, v113 :: v_dual_and_b32 v98, 0xffff0000, v98
	s_delay_alu instid0(VALU_DEP_3) | instskip(SKIP_1) | instid1(VALU_DEP_3)
	v_fmac_f32_e32 v106, v11, v107
	v_lshlrev_b32_e32 v128, 16, v100
	v_dual_fmac_f32 v109, v27, v115 :: v_dual_and_b32 v100, 0xffff0000, v100
	s_delay_alu instid0(VALU_DEP_1) | instskip(NEXT) | instid1(VALU_DEP_1)
	v_dual_fmac_f32 v109, v31, v117 :: v_dual_lshlrev_b32 v112, 16, v84
	v_dual_fmac_f32 v108, v21, v112 :: v_dual_and_b32 v85, 0xffff0000, v85
	s_delay_alu instid0(VALU_DEP_1) | instskip(NEXT) | instid1(VALU_DEP_1)
	v_dual_fmac_f32 v106, v24, v85 :: v_dual_lshlrev_b32 v119, 16, v91
	v_dual_fmac_f32 v109, v35, v119 :: v_dual_and_b32 v84, 0xffff0000, v84
	v_lshlrev_b32_e32 v114, 16, v86
	s_delay_alu instid0(VALU_DEP_2) | instskip(SKIP_1) | instid1(VALU_DEP_3)
	v_dual_fmac_f32 v104, v22, v84 :: v_dual_fmac_f32 v109, v39, v121
	v_and_b32_e32 v86, 0xffff0000, v86
	v_dual_fmac_f32 v108, v25, v114 :: v_dual_and_b32 v87, 0xffff0000, v87
	v_and_b32_e32 v93, 0xffff0000, v93
	s_delay_alu instid0(VALU_DEP_4) | instskip(NEXT) | instid1(VALU_DEP_4)
	v_dual_fmac_f32 v109, v43, v123 :: v_dual_lshlrev_b32 v116, 16, v88
	v_dual_fmac_f32 v104, v26, v86 :: v_dual_and_b32 v89, 0xffff0000, v89
	s_delay_alu instid0(VALU_DEP_4) | instskip(SKIP_1) | instid1(VALU_DEP_4)
	v_fmac_f32_e32 v106, v28, v87
	v_lshlrev_b32_e32 v127, 16, v99
	v_fmac_f32_e32 v109, v47, v125
	v_dual_fmac_f32 v108, v29, v116 :: v_dual_and_b32 v91, 0xffff0000, v91
	s_delay_alu instid0(VALU_DEP_4) | instskip(NEXT) | instid1(VALU_DEP_3)
	v_fmac_f32_e32 v106, v32, v89
	v_dual_fmac_f32 v109, v51, v127 :: v_dual_and_b32 v88, 0xffff0000, v88
	v_lshlrev_b32_e32 v129, 16, v101
	v_and_b32_e32 v84, 0xffff0000, v103
	s_delay_alu instid0(VALU_DEP_4) | instskip(SKIP_1) | instid1(VALU_DEP_4)
	v_fmac_f32_e32 v106, v36, v91
	v_lshlrev_b32_e32 v118, 16, v90
	v_dual_fmac_f32 v104, v30, v88 :: v_dual_fmac_f32 v109, v55, v129
	v_lshlrev_b32_e32 v120, 16, v92
	v_and_b32_e32 v92, 0xffff0000, v92
	s_delay_alu instid0(VALU_DEP_4)
	v_fmac_f32_e32 v108, v33, v118
	v_dual_fmac_f32 v106, v40, v93 :: v_dual_lshlrev_b32 v105, 16, v102
	v_fmac_f32_e32 v109, v59, v110
	v_and_b32_e32 v102, 0xffff0000, v102
	s_waitcnt vmcnt(2)
	v_dual_fmac_f32 v108, v37, v120 :: v_dual_lshlrev_b32 v85, 16, v81
	v_and_b32_e32 v90, 0xffff0000, v90
	s_waitcnt vmcnt(1)
	v_lshlrev_b32_e32 v88, 16, v83
	v_lshlrev_b32_e32 v86, 16, v80
	v_dual_fmac_f32 v109, v63, v85 :: v_dual_and_b32 v80, 0xffff0000, v80
	v_dual_fmac_f32 v104, v34, v90 :: v_dual_and_b32 v95, 0xffff0000, v95
	v_lshlrev_b32_e32 v122, 16, v94
	v_and_b32_e32 v97, 0xffff0000, v97
	s_delay_alu instid0(VALU_DEP_4) | instskip(NEXT) | instid1(VALU_DEP_4)
	v_dual_fmac_f32 v109, v69, v88 :: v_dual_and_b32 v94, 0xffff0000, v94
	v_dual_fmac_f32 v104, v38, v92 :: v_dual_and_b32 v99, 0xffff0000, v99
	s_delay_alu instid0(VALU_DEP_4) | instskip(SKIP_1) | instid1(VALU_DEP_3)
	v_dual_fmac_f32 v108, v41, v122 :: v_dual_and_b32 v101, 0xffff0000, v101
	v_dual_fmac_f32 v106, v44, v95 :: v_dual_lshlrev_b32 v87, 16, v82
	v_dual_fmac_f32 v104, v42, v94 :: v_dual_and_b32 v81, 0xffff0000, v81
	s_delay_alu instid0(VALU_DEP_3) | instskip(SKIP_1) | instid1(VALU_DEP_3)
	v_dual_fmac_f32 v108, v45, v124 :: v_dual_and_b32 v83, 0xffff0000, v83
	s_waitcnt vmcnt(0)
	v_dual_fmac_f32 v106, v48, v97 :: v_dual_lshlrev_b32 v89, 16, v78
	s_delay_alu instid0(VALU_DEP_3) | instskip(NEXT) | instid1(VALU_DEP_3)
	v_fmac_f32_e32 v104, v46, v96
	v_fmac_f32_e32 v108, v49, v126
	v_and_b32_e32 v82, 0xffff0000, v82
	s_delay_alu instid0(VALU_DEP_4) | instskip(SKIP_3) | instid1(VALU_DEP_4)
	v_fmac_f32_e32 v106, v52, v99
	v_and_b32_e32 v78, 0xffff0000, v78
	v_fmac_f32_e32 v104, v50, v98
	v_fmac_f32_e32 v108, v53, v128
	;; [unrolled: 1-line block ×3, first 2 shown]
	s_delay_alu instid0(VALU_DEP_3) | instskip(NEXT) | instid1(VALU_DEP_3)
	v_fmac_f32_e32 v104, v54, v100
	v_fmac_f32_e32 v108, v57, v105
	s_delay_alu instid0(VALU_DEP_3) | instskip(NEXT) | instid1(VALU_DEP_3)
	v_fmac_f32_e32 v106, v60, v84
	v_fmac_f32_e32 v104, v58, v102
	;; [unrolled: 3-line block ×4, first 2 shown]
	v_lshlrev_b32_e32 v80, 16, v79
	s_delay_alu instid0(VALU_DEP_4) | instskip(NEXT) | instid1(VALU_DEP_4)
	v_fmac_f32_e32 v106, v70, v83
	v_fmac_f32_e32 v104, v68, v82
	s_delay_alu instid0(VALU_DEP_3) | instskip(NEXT) | instid1(VALU_DEP_2)
	v_dual_fmac_f32 v108, v71, v89 :: v_dual_fmac_f32 v109, v73, v80
	v_fmac_f32_e32 v104, v72, v78
	s_delay_alu instid0(VALU_DEP_1) | instskip(NEXT) | instid1(VALU_DEP_1)
	v_dual_add_f32 v79, v108, v104 :: v_dual_and_b32 v78, 0xffff0000, v79
	v_fmac_f32_e32 v106, v74, v78
	s_delay_alu instid0(VALU_DEP_2) | instskip(NEXT) | instid1(VALU_DEP_1)
	v_add_f32_e32 v78, v79, v109
	v_add_f32_e32 v78, v106, v78
	ds_bpermute_b32 v79, v65, v78
	s_and_saveexec_b32 s3, vcc_lo
	s_cbranch_execz .LBB174_9
; %bb.11:                               ;   in Loop: Header=BB174_10 Depth=1
	s_waitcnt lgkmcnt(0)
	v_add_f32_e32 v78, v78, v79
	v_add_nc_u32_e32 v80, s6, v75
	v_cmp_gt_i32_e64 s1, s15, v75
	s_delay_alu instid0(VALU_DEP_2) | instskip(NEXT) | instid1(VALU_DEP_1)
	v_cvt_f32_i32_e32 v80, v80
	v_mul_f32_e32 v80, s30, v80
	s_delay_alu instid0(VALU_DEP_1) | instskip(SKIP_1) | instid1(VALU_DEP_2)
	v_cndmask_b32_e64 v79, 0, v80, s0
	v_max_f32_e32 v80, v66, v66
	v_fmac_f32_e32 v79, s31, v78
	s_delay_alu instid0(VALU_DEP_1) | instskip(SKIP_1) | instid1(VALU_DEP_2)
	v_max_f32_e32 v78, v80, v79
	v_cndmask_b32_e64 v79, 0, v79, s1
	v_cndmask_b32_e64 v66, v66, v78, s1
	ds_store_b32 v76, v79
	s_branch .LBB174_9
.LBB174_12:
	s_or_b32 exec_lo, exec_lo, s29
.LBB174_13:
	s_delay_alu instid0(SALU_CYCLE_1) | instskip(SKIP_4) | instid1(VALU_DEP_4)
	s_or_b32 exec_lo, exec_lo, s34
	v_xor_b32_e32 v1, 16, v4
	v_xor_b32_e32 v2, 8, v4
	v_lshlrev_b32_e32 v15, 2, v14
	v_max_f32_e32 v6, v66, v66
	v_cmp_lt_i32_e32 vcc_lo, v1, v5
	v_cndmask_b32_e32 v1, v4, v1, vcc_lo
	v_cmp_lt_i32_e32 vcc_lo, v2, v5
	s_delay_alu instid0(VALU_DEP_2) | instskip(SKIP_3) | instid1(VALU_DEP_1)
	v_dual_cndmask_b32 v2, v4, v2 :: v_dual_lshlrev_b32 v7, 2, v1
	ds_bpermute_b32 v1, v7, v66
	s_waitcnt lgkmcnt(0)
	v_dual_max_f32 v1, v1, v1 :: v_dual_lshlrev_b32 v8, 2, v2
	v_max_f32_e32 v1, v6, v1
	v_xor_b32_e32 v6, 4, v4
	s_delay_alu instid0(VALU_DEP_1) | instskip(SKIP_4) | instid1(VALU_DEP_1)
	v_cmp_lt_i32_e32 vcc_lo, v6, v5
	v_cndmask_b32_e32 v6, v4, v6, vcc_lo
	ds_bpermute_b32 v2, v8, v1
	v_lshlrev_b32_e32 v11, 2, v6
	v_xor_b32_e32 v6, 2, v4
	v_cmp_lt_i32_e32 vcc_lo, v6, v5
	v_cndmask_b32_e32 v6, v4, v6, vcc_lo
	s_waitcnt lgkmcnt(0)
	v_max_f32_e32 v2, v2, v2
	s_delay_alu instid0(VALU_DEP_2) | instskip(NEXT) | instid1(VALU_DEP_2)
	v_lshlrev_b32_e32 v6, 2, v6
	v_max_f32_e32 v1, v1, v2
	ds_bpermute_b32 v2, v11, v1
	s_waitcnt lgkmcnt(0)
	v_max_f32_e32 v2, v2, v2
	s_delay_alu instid0(VALU_DEP_1)
	v_dual_max_f32 v2, v1, v2 :: v_dual_and_b32 v1, 31, v0
	ds_bpermute_b32 v16, v6, v2
	v_cmp_eq_u32_e32 vcc_lo, 0, v1
	s_and_saveexec_b32 s0, vcc_lo
	s_cbranch_execz .LBB174_15
; %bb.14:
	s_waitcnt lgkmcnt(0)
	v_max_f32_e32 v16, v16, v16
	v_max_f32_e32 v2, v2, v2
	s_delay_alu instid0(VALU_DEP_1)
	v_max_f32_e32 v2, v2, v16
	ds_store_b32 v15, v2 offset:240
.LBB174_15:
	s_or_b32 exec_lo, exec_lo, s0
	v_cmp_gt_u32_e64 s0, 4, v1
	v_dual_mov_b32 v2, 0xff7fffff :: v_dual_lshlrev_b32 v17, 2, v1
	s_waitcnt lgkmcnt(0)
	s_barrier
	buffer_gl0_inv
	s_and_saveexec_b32 s1, s0
	s_cbranch_execz .LBB174_17
; %bb.16:
	ds_load_b32 v2, v17 offset:240
.LBB174_17:
	s_or_b32 exec_lo, exec_lo, s1
	s_waitcnt lgkmcnt(0)
	ds_bpermute_b32 v16, v6, v2
	v_xor_b32_e32 v18, 1, v4
	v_max_f32_e32 v2, v2, v2
	s_delay_alu instid0(VALU_DEP_2) | instskip(NEXT) | instid1(VALU_DEP_1)
	v_cmp_lt_i32_e64 s1, v18, v5
	v_cndmask_b32_e64 v5, v4, v18, s1
	v_lshlrev_b32_e32 v4, 2, v4
	s_sub_i32 s1, s17, s7
	s_delay_alu instid0(SALU_CYCLE_1) | instskip(NEXT) | instid1(SALU_CYCLE_1)
	s_lshl_b32 s1, s1, 4
	s_add_i32 s1, s1, s33
	s_delay_alu instid0(SALU_CYCLE_1) | instskip(SKIP_4) | instid1(SALU_CYCLE_1)
	s_min_i32 s1, s1, s15
	s_waitcnt lgkmcnt(0)
	v_max_f32_e32 v18, v16, v16
	v_lshlrev_b32_e32 v16, 2, v5
	s_sub_i32 s6, s1, s33
	v_cmp_gt_i32_e64 s1, s6, v0
	s_delay_alu instid0(VALU_DEP_3) | instskip(SKIP_4) | instid1(VALU_DEP_1)
	v_max_f32_e32 v2, v2, v18
	v_mov_b32_e32 v18, 0
	ds_bpermute_b32 v5, v16, v2
	s_waitcnt lgkmcnt(0)
	v_max_f32_e32 v5, v5, v5
	v_dual_max_f32 v2, v2, v5 :: v_dual_and_b32 v5, 0xffffff80, v4
	v_lshl_add_u32 v4, v0, 2, 0x110
	ds_bpermute_b32 v2, v5, v2
	s_and_saveexec_b32 s7, s1
	s_cbranch_execz .LBB174_21
; %bb.18:
	v_lshl_add_u32 v19, v0, 2, 0x110
	v_mov_b32_e32 v18, 0
	v_mov_b32_e32 v20, v0
	s_mov_b32 s29, 0
	.p2align	6
.LBB174_19:                             ; =>This Inner Loop Header: Depth=1
	ds_load_b32 v21, v19
	v_add_nc_u32_e32 v20, 0x80, v20
	s_delay_alu instid0(VALU_DEP_1) | instskip(NEXT) | instid1(VALU_DEP_1)
	v_cmp_le_i32_e64 s3, s6, v20
	s_or_b32 s29, s3, s29
	s_waitcnt lgkmcnt(0)
	v_sub_f32_e32 v21, v21, v2
	s_delay_alu instid0(VALU_DEP_1) | instskip(NEXT) | instid1(VALU_DEP_1)
	v_mul_f32_e32 v21, 0x3fb8aa3b, v21
	v_exp_f32_e32 v21, v21
	ds_store_b32 v19, v21
	v_dual_add_f32 v18, v18, v21 :: v_dual_add_nc_u32 v19, 0x200, v19
	s_and_not1_b32 exec_lo, exec_lo, s29
	s_cbranch_execnz .LBB174_19
; %bb.20:
	s_or_b32 exec_lo, exec_lo, s29
.LBB174_21:
	s_delay_alu instid0(SALU_CYCLE_1)
	s_or_b32 exec_lo, exec_lo, s7
	ds_bpermute_b32 v7, v7, v18
	s_waitcnt lgkmcnt(0)
	v_add_f32_e32 v7, v18, v7
	ds_bpermute_b32 v8, v8, v7
	s_waitcnt lgkmcnt(0)
	v_add_f32_e32 v7, v7, v8
	;; [unrolled: 3-line block ×5, first 2 shown]
	s_and_saveexec_b32 s3, vcc_lo
	s_cbranch_execz .LBB174_23
; %bb.22:
	ds_store_b32 v15, v7 offset:256
.LBB174_23:
	s_or_b32 exec_lo, exec_lo, s3
	s_waitcnt lgkmcnt(0)
	s_barrier
	buffer_gl0_inv
	s_and_saveexec_b32 s3, s0
	s_cbranch_execz .LBB174_25
; %bb.24:
	ds_load_b32 v7, v17 offset:256
.LBB174_25:
	s_or_b32 exec_lo, exec_lo, s3
	s_waitcnt lgkmcnt(0)
	ds_bpermute_b32 v6, v6, v7
	s_waitcnt lgkmcnt(0)
	v_add_f32_e32 v6, v7, v6
	ds_bpermute_b32 v7, v16, v6
	s_waitcnt lgkmcnt(0)
	v_add_f32_e32 v6, v6, v7
	ds_bpermute_b32 v5, v5, v6
	s_and_saveexec_b32 s0, s1
	s_cbranch_execz .LBB174_28
; %bb.26:
	s_waitcnt lgkmcnt(0)
	v_add_f32_e32 v6, 0x358637bd, v5
	s_mov_b32 s1, 0
	s_delay_alu instid0(VALU_DEP_1) | instskip(SKIP_1) | instid1(VALU_DEP_2)
	v_div_scale_f32 v7, null, v6, v6, 1.0
	v_div_scale_f32 v15, vcc_lo, 1.0, v6, 1.0
	v_rcp_f32_e32 v8, v7
	s_waitcnt_depctr 0xfff
	v_fma_f32 v11, -v7, v8, 1.0
	s_delay_alu instid0(VALU_DEP_1) | instskip(NEXT) | instid1(VALU_DEP_1)
	v_fmac_f32_e32 v8, v11, v8
	v_mul_f32_e32 v11, v15, v8
	s_delay_alu instid0(VALU_DEP_1) | instskip(NEXT) | instid1(VALU_DEP_1)
	v_fma_f32 v17, -v7, v11, v15
	v_fmac_f32_e32 v11, v17, v8
	s_delay_alu instid0(VALU_DEP_1) | instskip(NEXT) | instid1(VALU_DEP_1)
	v_fma_f32 v7, -v7, v11, v15
	v_div_fmas_f32 v7, v7, v8, v11
	s_delay_alu instid0(VALU_DEP_1)
	v_div_fixup_f32 v6, v7, v6, 1.0
	v_mov_b32_e32 v7, v0
.LBB174_27:                             ; =>This Inner Loop Header: Depth=1
	ds_load_b32 v8, v4
	s_waitcnt lgkmcnt(0)
	v_dual_mul_f32 v8, v6, v8 :: v_dual_add_nc_u32 v7, 0x80, v7
	s_delay_alu instid0(VALU_DEP_1) | instskip(SKIP_3) | instid1(SALU_CYCLE_1)
	v_cmp_le_i32_e32 vcc_lo, s6, v7
	ds_store_b32 v4, v8
	v_add_nc_u32_e32 v4, 0x200, v4
	s_or_b32 s1, vcc_lo, s1
	s_and_not1_b32 exec_lo, exec_lo, s1
	s_cbranch_execnz .LBB174_27
.LBB174_28:
	s_or_b32 exec_lo, exec_lo, s0
	s_mul_i32 s0, s4, s14
	s_waitcnt lgkmcnt(0)
	s_mul_i32 s6, s0, s13
	s_mov_b32 s0, exec_lo
	s_barrier
	buffer_gl0_inv
	v_cmpx_eq_u32_e32 0, v0
	s_cbranch_execz .LBB174_30
; %bb.29:
	s_ashr_i32 s7, s6, 31
	s_mul_i32 s34, s4, s20
	s_lshl_b64 s[30:31], s[6:7], 2
	v_mov_b32_e32 v4, 0
	s_add_u32 s1, s10, s30
	s_addc_u32 s3, s11, s31
	s_ashr_i32 s35, s34, 31
	s_delay_alu instid0(SALU_CYCLE_1) | instskip(NEXT) | instid1(SALU_CYCLE_1)
	s_lshl_b64 s[10:11], s[34:35], 2
	s_add_u32 s1, s1, s10
	s_addc_u32 s3, s3, s11
	s_ashr_i32 s13, s12, 31
	s_delay_alu instid0(SALU_CYCLE_1) | instskip(NEXT) | instid1(SALU_CYCLE_1)
	s_lshl_b64 s[34:35], s[12:13], 2
	s_add_u32 s36, s1, s34
	s_addc_u32 s37, s3, s35
	s_add_u32 s1, s8, s30
	s_addc_u32 s3, s9, s31
	;; [unrolled: 2-line block ×4, first 2 shown]
	s_clause 0x1
	global_store_b32 v4, v2, s[36:37]
	global_store_b32 v4, v5, s[8:9]
.LBB174_30:
	s_or_b32 exec_lo, exec_lo, s0
	v_lshrrev_b32_e32 v15, 1, v1
                                        ; implicit-def: $sgpr0
	s_and_saveexec_b32 s1, s2
	s_delay_alu instid0(SALU_CYCLE_1)
	s_xor_b32 s1, exec_lo, s1
; %bb.31:
	v_lshrrev_b32_e32 v15, 1, v1
	s_mov_b32 s0, 0
                                        ; implicit-def: $vgpr9
                                        ; implicit-def: $vgpr3
; %bb.32:
	s_or_saveexec_b32 s2, s1
	v_dual_mov_b32 v18, s0 :: v_dual_mov_b32 v19, s0
	v_dual_mov_b32 v20, s0 :: v_dual_mov_b32 v21, s0
	;; [unrolled: 1-line block ×4, first 2 shown]
	s_xor_b32 exec_lo, exec_lo, s2
	s_cbranch_execz .LBB174_342
; %bb.33:
	v_dual_mov_b32 v24, 0 :: v_dual_and_b32 v1, 8, v3
	v_or_b32_e32 v2, 0x70, v15
	v_lshl_add_u32 v5, v14, 4, s33
	s_ashr_i32 s29, s28, 31
	v_dual_mov_b32 v22, 0 :: v_dual_lshlrev_b32 v3, 5, v13
	s_lshl_b64 s[0:1], s[28:29], 1
	v_lshl_or_b32 v4, v15, 4, v1
	v_cmp_gt_u32_e32 vcc_lo, 0x78, v2
	v_lshl_or_b32 v6, v2, 4, v1
	v_add3_u32 v25, v5, v1, 7
	v_lshlrev_b64 v[1:2], 2, v[9:10]
	s_add_u32 s3, s26, s0
	s_addc_u32 s7, s27, s1
	s_lshl_b64 s[0:1], s[24:25], 2
	s_add_i32 s8, s21, -1
	v_lshl_or_b32 v3, v14, 6, v3
	s_add_u32 s0, s22, s0
	s_addc_u32 s1, s23, s1
	v_add_co_u32 v10, s0, s0, v1
	s_delay_alu instid0(VALU_DEP_2)
	v_dual_mov_b32 v17, 0 :: v_dual_add_nc_u32 v26, 0x110, v3
	v_add_co_ci_u32_e64 v11, s0, s1, v2, s0
	v_dual_mov_b32 v20, 0 :: v_dual_lshlrev_b32 v27, 1, v4
	v_dual_mov_b32 v23, 0 :: v_dual_lshlrev_b32 v28, 1, v6
	v_dual_mov_b32 v21, 0 :: v_dual_mov_b32 v18, 0
	v_mov_b32_e32 v19, 0
	s_mov_b32 s9, s5
	s_mov_b32 s5, 0
	s_branch .LBB174_36
.LBB174_34:                             ;   in Loop: Header=BB174_36 Depth=1
	s_or_b32 exec_lo, exec_lo, s1
	v_and_b32_e32 v37, 0xffff0000, v37
	v_and_b32_e32 v3, 0xffff0000, v3
	;; [unrolled: 1-line block ×5, first 2 shown]
	s_delay_alu instid0(VALU_DEP_4) | instskip(SKIP_1) | instid1(VALU_DEP_1)
	v_add_f32_e32 v3, v3, v37
	v_and_b32_e32 v35, 0xffff0000, v35
	v_dual_add_f32 v1, v1, v35 :: v_dual_and_b32 v38, 0xffff0000, v38
	s_delay_alu instid0(VALU_DEP_1) | instskip(NEXT) | instid1(VALU_DEP_1)
	v_add_f32_e32 v2, v2, v38
	v_dual_add_f32 v1, v1, v2 :: v_dual_and_b32 v2, 0xffff0000, v36
	s_delay_alu instid0(VALU_DEP_1) | instskip(NEXT) | instid1(VALU_DEP_1)
	v_dual_add_f32 v1, v1, v3 :: v_dual_add_f32 v2, v4, v2
	v_add_f32_e32 v1, v1, v2
	s_delay_alu instid0(VALU_DEP_1)
	v_add_f32_e32 v18, v18, v1
.LBB174_35:                             ;   in Loop: Header=BB174_36 Depth=1
	s_or_b32 exec_lo, exec_lo, s10
	v_and_b32_e32 v4, 0xffff0000, v7
	v_and_b32_e32 v7, 0xffff0000, v29
	;; [unrolled: 1-line block ×8, first 2 shown]
	v_add_f32_e32 v3, v4, v3
	v_dual_add_f32 v2, v7, v2 :: v_dual_and_b32 v1, 0xffff0000, v32
	v_and_b32_e32 v7, 0xffff0000, v47
	v_and_b32_e32 v39, 0xffff0000, v86
	;; [unrolled: 1-line block ×3, first 2 shown]
	v_dual_add_f32 v5, v5, v6 :: v_dual_and_b32 v36, 0xffff0000, v84
	v_add_f32_e32 v2, v3, v2
	v_and_b32_e32 v8, 0xffff0000, v31
	v_dual_add_f32 v6, v39, v38 :: v_dual_and_b32 v3, 0xffff0000, v51
	v_and_b32_e32 v35, 0xffff0000, v78
	v_add_nc_u32_e32 v9, 4, v9
	s_delay_alu instid0(VALU_DEP_4) | instskip(SKIP_2) | instid1(VALU_DEP_3)
	v_dual_add_f32 v1, v8, v1 :: v_dual_and_b32 v8, 0xffff0000, v50
	v_and_b32_e32 v4, 0xffff0000, v49
	v_add_co_u32 v10, s1, v10, 16
	v_add_f32_e32 v1, v2, v1
	s_delay_alu instid0(VALU_DEP_4) | instskip(SKIP_3) | instid1(VALU_DEP_4)
	v_dual_add_f32 v3, v8, v3 :: v_dual_and_b32 v32, 0xffff0000, v48
	v_cmp_le_i32_e64 s0, s17, v9
	v_add_nc_u32_e32 v25, 64, v25
	v_add_co_ci_u32_e64 v11, s1, 0, v11, s1
	v_dual_add_f32 v4, v32, v4 :: v_dual_and_b32 v31, 0xffff0000, v46
	v_and_b32_e32 v30, 0xffff0000, v34
	v_and_b32_e32 v34, 0xffff0000, v68
	;; [unrolled: 1-line block ×3, first 2 shown]
	s_or_b32 s5, s0, s5
	s_delay_alu instid0(VALU_DEP_3) | instskip(SKIP_2) | instid1(VALU_DEP_3)
	v_dual_add_f32 v7, v31, v7 :: v_dual_add_f32 v2, v29, v30
	v_dual_add_f32 v5, v5, v6 :: v_dual_and_b32 v30, 0xffff0000, v64
	v_add_nc_u32_e32 v26, 0x100, v26
	v_add_f32_e32 v4, v7, v4
	v_and_b32_e32 v29, 0xffff0000, v52
	v_and_b32_e32 v7, 0xffff0000, v53
	v_add_f32_e32 v1, v1, v2
	v_and_b32_e32 v8, 0xffff0000, v54
	v_add_f32_e32 v2, v4, v3
	s_delay_alu instid0(VALU_DEP_4) | instskip(NEXT) | instid1(VALU_DEP_4)
	v_add_f32_e32 v3, v29, v7
	v_add_f32_e32 v17, v17, v1
	v_and_b32_e32 v7, 0xffff0000, v55
	s_delay_alu instid0(VALU_DEP_3) | instskip(NEXT) | instid1(VALU_DEP_2)
	v_dual_add_f32 v1, v2, v3 :: v_dual_and_b32 v4, 0xffff0000, v57
	v_dual_add_f32 v3, v8, v7 :: v_dual_and_b32 v8, 0xffff0000, v61
	v_and_b32_e32 v2, 0xffff0000, v59
	v_and_b32_e32 v7, 0xffff0000, v58
	s_delay_alu instid0(VALU_DEP_4) | instskip(NEXT) | instid1(VALU_DEP_2)
	v_dual_add_f32 v24, v24, v1 :: v_dual_and_b32 v29, 0xffff0000, v56
	v_add_f32_e32 v2, v7, v2
	s_delay_alu instid0(VALU_DEP_2) | instskip(SKIP_1) | instid1(VALU_DEP_2)
	v_dual_add_f32 v4, v29, v4 :: v_dual_and_b32 v7, 0xffff0000, v63
	v_and_b32_e32 v29, 0xffff0000, v62
	v_dual_add_f32 v3, v3, v4 :: v_dual_and_b32 v4, 0xffff0000, v65
	s_delay_alu instid0(VALU_DEP_2) | instskip(NEXT) | instid1(VALU_DEP_2)
	v_add_f32_e32 v7, v29, v7
	v_dual_add_f32 v2, v3, v2 :: v_dual_and_b32 v29, 0xffff0000, v73
	s_delay_alu instid0(VALU_DEP_1) | instskip(SKIP_3) | instid1(VALU_DEP_4)
	v_dual_add_f32 v29, v33, v29 :: v_dual_add_f32 v4, v30, v4
	v_and_b32_e32 v30, 0xffff0000, v71
	v_and_b32_e32 v1, 0xffff0000, v60
	;; [unrolled: 1-line block ×3, first 2 shown]
	v_dual_add_f32 v4, v7, v4 :: v_dual_and_b32 v7, 0xffff0000, v75
	s_delay_alu instid0(VALU_DEP_4) | instskip(NEXT) | instid1(VALU_DEP_4)
	v_add_f32_e32 v30, v32, v30
	v_dual_add_f32 v1, v1, v8 :: v_dual_and_b32 v32, 0xffff0000, v74
	s_delay_alu instid0(VALU_DEP_1) | instskip(SKIP_1) | instid1(VALU_DEP_3)
	v_dual_add_f32 v8, v30, v29 :: v_dual_add_f32 v7, v32, v7
	v_and_b32_e32 v30, 0xffff0000, v77
	v_add_f32_e32 v1, v2, v1
	s_delay_alu instid0(VALU_DEP_3) | instskip(SKIP_1) | instid1(VALU_DEP_3)
	v_dual_add_f32 v7, v8, v7 :: v_dual_and_b32 v32, 0xffff0000, v81
	v_and_b32_e32 v3, 0xffff0000, v67
	v_dual_add_f32 v23, v23, v1 :: v_dual_and_b32 v8, 0xffff0000, v83
	s_delay_alu instid0(VALU_DEP_3) | instskip(SKIP_1) | instid1(VALU_DEP_2)
	v_dual_add_f32 v32, v33, v32 :: v_dual_and_b32 v31, 0xffff0000, v66
	v_and_b32_e32 v33, 0xffff0000, v89
	v_add_f32_e32 v3, v31, v3
	v_and_b32_e32 v31, 0xffff0000, v69
	s_delay_alu instid0(VALU_DEP_2) | instskip(NEXT) | instid1(VALU_DEP_2)
	v_add_f32_e32 v3, v4, v3
	v_add_f32_e32 v4, v34, v31
	v_and_b32_e32 v34, 0xffff0000, v79
	s_delay_alu instid0(VALU_DEP_2) | instskip(SKIP_1) | instid1(VALU_DEP_3)
	v_dual_add_f32 v2, v3, v4 :: v_dual_and_b32 v37, 0xffff0000, v85
	v_and_b32_e32 v31, 0xffff0000, v82
	v_dual_add_f32 v34, v35, v34 :: v_dual_and_b32 v35, 0xffff0000, v88
	s_delay_alu instid0(VALU_DEP_3) | instskip(NEXT) | instid1(VALU_DEP_2)
	v_dual_add_f32 v22, v22, v2 :: v_dual_and_b32 v29, 0xffff0000, v76
	v_add_f32_e32 v32, v34, v32
	s_delay_alu instid0(VALU_DEP_3) | instskip(NEXT) | instid1(VALU_DEP_3)
	v_dual_add_f32 v6, v35, v33 :: v_dual_and_b32 v33, 0xffff0000, v91
	v_dual_add_f32 v29, v29, v30 :: v_dual_add_f32 v30, v36, v37
	v_dual_add_f32 v8, v31, v8 :: v_dual_and_b32 v31, 0xffff0000, v90
	s_delay_alu instid0(VALU_DEP_3) | instskip(NEXT) | instid1(VALU_DEP_2)
	v_add_f32_e32 v5, v5, v6
	v_dual_add_f32 v3, v7, v29 :: v_dual_add_f32 v8, v32, v8
	s_delay_alu instid0(VALU_DEP_1) | instskip(NEXT) | instid1(VALU_DEP_2)
	v_dual_add_f32 v6, v31, v33 :: v_dual_add_f32 v21, v21, v3
	v_add_f32_e32 v4, v8, v30
	s_delay_alu instid0(VALU_DEP_1) | instskip(NEXT) | instid1(VALU_DEP_1)
	v_dual_add_f32 v5, v5, v6 :: v_dual_add_f32 v20, v20, v4
	v_add_f32_e32 v19, v19, v5
	s_and_not1_b32 exec_lo, exec_lo, s5
	s_cbranch_execz .LBB174_341
.LBB174_36:                             ; =>This Inner Loop Header: Depth=1
	global_load_b32 v35, v[10:11], off
	ds_load_2addr_b64 v[5:8], v26 offset1:1
	ds_load_2addr_b64 v[1:4], v26 offset0:2 offset1:3
                                        ; implicit-def: $vgpr38
	s_waitcnt lgkmcnt(1)
	v_and_b32_e32 v29, 0x7f800000, v5
	s_delay_alu instid0(VALU_DEP_1) | instskip(NEXT) | instid1(VALU_DEP_1)
	v_cmp_ne_u32_e64 s0, 0x7f800000, v29
	s_and_saveexec_b32 s1, s0
	s_delay_alu instid0(SALU_CYCLE_1)
	s_xor_b32 s0, exec_lo, s1
; %bb.37:                               ;   in Loop: Header=BB174_36 Depth=1
	v_bfe_u32 v29, v5, 16, 1
	s_delay_alu instid0(VALU_DEP_1)
	v_add3_u32 v38, v5, v29, 0x7fff
; %bb.38:                               ;   in Loop: Header=BB174_36 Depth=1
	s_and_not1_saveexec_b32 s1, s0
; %bb.39:                               ;   in Loop: Header=BB174_36 Depth=1
	v_and_b32_e32 v29, 0xffff, v5
	v_or_b32_e32 v30, 0x10000, v5
	s_delay_alu instid0(VALU_DEP_2) | instskip(NEXT) | instid1(VALU_DEP_1)
	v_cmp_eq_u32_e64 s0, 0, v29
	v_cndmask_b32_e64 v38, v30, v5, s0
; %bb.40:                               ;   in Loop: Header=BB174_36 Depth=1
	s_or_b32 exec_lo, exec_lo, s1
	v_and_b32_e32 v5, 0x7f800000, v6
                                        ; implicit-def: $vgpr39
	s_delay_alu instid0(VALU_DEP_1) | instskip(NEXT) | instid1(VALU_DEP_1)
	v_cmp_ne_u32_e64 s0, 0x7f800000, v5
	s_and_saveexec_b32 s1, s0
	s_delay_alu instid0(SALU_CYCLE_1)
	s_xor_b32 s0, exec_lo, s1
; %bb.41:                               ;   in Loop: Header=BB174_36 Depth=1
	v_bfe_u32 v5, v6, 16, 1
	s_delay_alu instid0(VALU_DEP_1)
	v_add3_u32 v39, v6, v5, 0x7fff
; %bb.42:                               ;   in Loop: Header=BB174_36 Depth=1
	s_and_not1_saveexec_b32 s1, s0
; %bb.43:                               ;   in Loop: Header=BB174_36 Depth=1
	v_and_b32_e32 v5, 0xffff, v6
	v_or_b32_e32 v29, 0x10000, v6
	s_delay_alu instid0(VALU_DEP_2) | instskip(NEXT) | instid1(VALU_DEP_1)
	v_cmp_eq_u32_e64 s0, 0, v5
	v_cndmask_b32_e64 v39, v29, v6, s0
; %bb.44:                               ;   in Loop: Header=BB174_36 Depth=1
	s_or_b32 exec_lo, exec_lo, s1
	v_and_b32_e32 v5, 0x7f800000, v7
                                        ; implicit-def: $vgpr29
	s_delay_alu instid0(VALU_DEP_1) | instskip(NEXT) | instid1(VALU_DEP_1)
	v_cmp_ne_u32_e64 s0, 0x7f800000, v5
	s_and_saveexec_b32 s1, s0
	s_delay_alu instid0(SALU_CYCLE_1)
	s_xor_b32 s0, exec_lo, s1
; %bb.45:                               ;   in Loop: Header=BB174_36 Depth=1
	v_bfe_u32 v5, v7, 16, 1
	s_delay_alu instid0(VALU_DEP_1)
	v_add3_u32 v29, v7, v5, 0x7fff
; %bb.46:                               ;   in Loop: Header=BB174_36 Depth=1
	s_and_not1_saveexec_b32 s1, s0
; %bb.47:                               ;   in Loop: Header=BB174_36 Depth=1
	v_and_b32_e32 v5, 0xffff, v7
	v_or_b32_e32 v6, 0x10000, v7
	s_delay_alu instid0(VALU_DEP_2) | instskip(NEXT) | instid1(VALU_DEP_1)
	v_cmp_eq_u32_e64 s0, 0, v5
	v_cndmask_b32_e64 v29, v6, v7, s0
; %bb.48:                               ;   in Loop: Header=BB174_36 Depth=1
	s_or_b32 exec_lo, exec_lo, s1
	v_and_b32_e32 v5, 0x7f800000, v8
                                        ; implicit-def: $vgpr30
	s_delay_alu instid0(VALU_DEP_1) | instskip(NEXT) | instid1(VALU_DEP_1)
	v_cmp_ne_u32_e64 s0, 0x7f800000, v5
	s_and_saveexec_b32 s1, s0
	s_delay_alu instid0(SALU_CYCLE_1)
	s_xor_b32 s0, exec_lo, s1
; %bb.49:                               ;   in Loop: Header=BB174_36 Depth=1
	v_bfe_u32 v5, v8, 16, 1
	s_delay_alu instid0(VALU_DEP_1)
	v_add3_u32 v30, v8, v5, 0x7fff
                                        ; implicit-def: $vgpr5_vgpr6_vgpr7_vgpr8
; %bb.50:                               ;   in Loop: Header=BB174_36 Depth=1
	s_and_not1_saveexec_b32 s1, s0
; %bb.51:                               ;   in Loop: Header=BB174_36 Depth=1
	v_and_b32_e32 v5, 0xffff, v8
	v_or_b32_e32 v6, 0x10000, v8
	s_delay_alu instid0(VALU_DEP_2) | instskip(NEXT) | instid1(VALU_DEP_1)
	v_cmp_eq_u32_e64 s0, 0, v5
	v_cndmask_b32_e64 v30, v6, v8, s0
; %bb.52:                               ;   in Loop: Header=BB174_36 Depth=1
	s_or_b32 exec_lo, exec_lo, s1
	s_waitcnt lgkmcnt(0)
	v_and_b32_e32 v5, 0x7f800000, v1
                                        ; implicit-def: $vgpr31
	s_delay_alu instid0(VALU_DEP_1) | instskip(NEXT) | instid1(VALU_DEP_1)
	v_cmp_ne_u32_e64 s0, 0x7f800000, v5
	s_and_saveexec_b32 s1, s0
	s_delay_alu instid0(SALU_CYCLE_1)
	s_xor_b32 s0, exec_lo, s1
; %bb.53:                               ;   in Loop: Header=BB174_36 Depth=1
	v_bfe_u32 v5, v1, 16, 1
	s_delay_alu instid0(VALU_DEP_1)
	v_add3_u32 v31, v1, v5, 0x7fff
; %bb.54:                               ;   in Loop: Header=BB174_36 Depth=1
	s_and_not1_saveexec_b32 s1, s0
; %bb.55:                               ;   in Loop: Header=BB174_36 Depth=1
	v_and_b32_e32 v5, 0xffff, v1
	v_or_b32_e32 v6, 0x10000, v1
	s_delay_alu instid0(VALU_DEP_2) | instskip(NEXT) | instid1(VALU_DEP_1)
	v_cmp_eq_u32_e64 s0, 0, v5
	v_cndmask_b32_e64 v31, v6, v1, s0
; %bb.56:                               ;   in Loop: Header=BB174_36 Depth=1
	s_or_b32 exec_lo, exec_lo, s1
	v_and_b32_e32 v1, 0x7f800000, v2
                                        ; implicit-def: $vgpr32
	s_delay_alu instid0(VALU_DEP_1) | instskip(NEXT) | instid1(VALU_DEP_1)
	v_cmp_ne_u32_e64 s0, 0x7f800000, v1
	s_and_saveexec_b32 s1, s0
	s_delay_alu instid0(SALU_CYCLE_1)
	s_xor_b32 s0, exec_lo, s1
; %bb.57:                               ;   in Loop: Header=BB174_36 Depth=1
	v_bfe_u32 v1, v2, 16, 1
	s_delay_alu instid0(VALU_DEP_1)
	v_add3_u32 v32, v2, v1, 0x7fff
; %bb.58:                               ;   in Loop: Header=BB174_36 Depth=1
	s_and_not1_saveexec_b32 s1, s0
; %bb.59:                               ;   in Loop: Header=BB174_36 Depth=1
	v_and_b32_e32 v1, 0xffff, v2
	v_or_b32_e32 v5, 0x10000, v2
	s_delay_alu instid0(VALU_DEP_2) | instskip(NEXT) | instid1(VALU_DEP_1)
	v_cmp_eq_u32_e64 s0, 0, v1
	v_cndmask_b32_e64 v32, v5, v2, s0
; %bb.60:                               ;   in Loop: Header=BB174_36 Depth=1
	s_or_b32 exec_lo, exec_lo, s1
	v_and_b32_e32 v1, 0x7f800000, v3
                                        ; implicit-def: $vgpr33
	s_delay_alu instid0(VALU_DEP_1) | instskip(NEXT) | instid1(VALU_DEP_1)
	v_cmp_ne_u32_e64 s0, 0x7f800000, v1
	s_and_saveexec_b32 s1, s0
	s_delay_alu instid0(SALU_CYCLE_1)
	s_xor_b32 s0, exec_lo, s1
; %bb.61:                               ;   in Loop: Header=BB174_36 Depth=1
	v_bfe_u32 v1, v3, 16, 1
	s_delay_alu instid0(VALU_DEP_1)
	v_add3_u32 v33, v3, v1, 0x7fff
; %bb.62:                               ;   in Loop: Header=BB174_36 Depth=1
	s_and_not1_saveexec_b32 s1, s0
; %bb.63:                               ;   in Loop: Header=BB174_36 Depth=1
	v_and_b32_e32 v1, 0xffff, v3
	v_or_b32_e32 v2, 0x10000, v3
	s_delay_alu instid0(VALU_DEP_2) | instskip(NEXT) | instid1(VALU_DEP_1)
	v_cmp_eq_u32_e64 s0, 0, v1
	v_cndmask_b32_e64 v33, v2, v3, s0
; %bb.64:                               ;   in Loop: Header=BB174_36 Depth=1
	s_or_b32 exec_lo, exec_lo, s1
	v_and_b32_e32 v1, 0x7f800000, v4
                                        ; implicit-def: $vgpr34
	s_delay_alu instid0(VALU_DEP_1) | instskip(NEXT) | instid1(VALU_DEP_1)
	v_cmp_ne_u32_e64 s0, 0x7f800000, v1
	s_and_saveexec_b32 s1, s0
	s_delay_alu instid0(SALU_CYCLE_1)
	s_xor_b32 s0, exec_lo, s1
; %bb.65:                               ;   in Loop: Header=BB174_36 Depth=1
	v_bfe_u32 v1, v4, 16, 1
	s_delay_alu instid0(VALU_DEP_1)
	v_add3_u32 v34, v4, v1, 0x7fff
                                        ; implicit-def: $vgpr1_vgpr2_vgpr3_vgpr4
; %bb.66:                               ;   in Loop: Header=BB174_36 Depth=1
	s_and_not1_saveexec_b32 s1, s0
; %bb.67:                               ;   in Loop: Header=BB174_36 Depth=1
	v_and_b32_e32 v1, 0xffff, v4
	v_or_b32_e32 v2, 0x10000, v4
	s_delay_alu instid0(VALU_DEP_2) | instskip(NEXT) | instid1(VALU_DEP_1)
	v_cmp_eq_u32_e64 s0, 0, v1
	v_cndmask_b32_e64 v34, v2, v4, s0
; %bb.68:                               ;   in Loop: Header=BB174_36 Depth=1
	s_or_b32 exec_lo, exec_lo, s1
	s_waitcnt vmcnt(0)
	v_mad_i64_i32 v[1:2], null, v35, s9, 0
	v_add_nc_u32_e32 v35, -7, v25
	s_delay_alu instid0(VALU_DEP_2) | instskip(NEXT) | instid1(VALU_DEP_1)
	v_lshlrev_b64 v[1:2], 1, v[1:2]
	v_add_co_u32 v36, s0, s3, v1
	s_delay_alu instid0(VALU_DEP_1) | instskip(NEXT) | instid1(VALU_DEP_2)
	v_add_co_ci_u32_e64 v37, s0, s7, v2, s0
	v_add_co_u32 v5, s0, v36, v27
	s_delay_alu instid0(VALU_DEP_1)
	v_add_co_ci_u32_e64 v6, s0, 0, v37, s0
	v_cmp_eq_u32_e64 s0, s8, v9
	global_load_b128 v[1:4], v[5:6], off
	s_waitcnt vmcnt(0)
	v_lshrrev_b32_e32 v8, 16, v1
	v_lshrrev_b32_e32 v42, 16, v2
	;; [unrolled: 1-line block ×4, first 2 shown]
	s_and_saveexec_b32 s10, s0
	s_cbranch_execz .LBB174_70
; %bb.69:                               ;   in Loop: Header=BB174_36 Depth=1
	v_add_nc_u32_e32 v7, -6, v25
	v_cmp_gt_i32_e64 s1, s15, v35
	v_add_nc_u32_e32 v40, -5, v25
	v_add_nc_u32_e32 v41, -2, v25
	s_delay_alu instid0(VALU_DEP_3) | instskip(SKIP_2) | instid1(VALU_DEP_2)
	v_cndmask_b32_e64 v1, 0, v1, s1
	v_cmp_gt_i32_e64 s1, s15, v7
	v_add_nc_u32_e32 v7, -4, v25
	v_cndmask_b32_e64 v8, 0, v8, s1
	v_cmp_gt_i32_e64 s1, s15, v40
	v_add_nc_u32_e32 v40, -3, v25
	s_delay_alu instid0(VALU_DEP_2) | instskip(SKIP_2) | instid1(VALU_DEP_2)
	v_cndmask_b32_e64 v2, 0, v2, s1
	v_cmp_gt_i32_e64 s1, s15, v7
	v_add_nc_u32_e32 v7, -1, v25
	v_cndmask_b32_e64 v42, 0, v42, s1
	v_cmp_gt_i32_e64 s1, s15, v40
	s_delay_alu instid0(VALU_DEP_1) | instskip(SKIP_1) | instid1(VALU_DEP_1)
	v_cndmask_b32_e64 v3, 0, v3, s1
	v_cmp_gt_i32_e64 s1, s15, v41
	v_cndmask_b32_e64 v44, 0, v44, s1
	v_cmp_gt_i32_e64 s1, s15, v7
	s_delay_alu instid0(VALU_DEP_1) | instskip(SKIP_1) | instid1(VALU_DEP_1)
	v_cndmask_b32_e64 v4, 0, v4, s1
	v_cmp_gt_i32_e64 s1, s15, v25
	v_cndmask_b32_e64 v46, 0, v46, s1
.LBB174_70:                             ;   in Loop: Header=BB174_36 Depth=1
	s_or_b32 exec_lo, exec_lo, s10
	v_and_b32_e32 v38, 0xffff0000, v38
	v_lshlrev_b32_e32 v1, 16, v1
	s_delay_alu instid0(VALU_DEP_1) | instskip(NEXT) | instid1(VALU_DEP_1)
	v_mul_f32_e32 v1, v38, v1
	v_and_b32_e32 v7, 0x7f800000, v1
	s_delay_alu instid0(VALU_DEP_1) | instskip(NEXT) | instid1(VALU_DEP_1)
	v_cmp_ne_u32_e64 s1, 0x7f800000, v7
                                        ; implicit-def: $vgpr7
	s_and_saveexec_b32 s10, s1
	s_delay_alu instid0(SALU_CYCLE_1)
	s_xor_b32 s1, exec_lo, s10
; %bb.71:                               ;   in Loop: Header=BB174_36 Depth=1
	v_bfe_u32 v7, v1, 16, 1
	s_delay_alu instid0(VALU_DEP_1)
	v_add3_u32 v7, v1, v7, 0x7fff
                                        ; implicit-def: $vgpr1
; %bb.72:                               ;   in Loop: Header=BB174_36 Depth=1
	s_and_not1_saveexec_b32 s10, s1
; %bb.73:                               ;   in Loop: Header=BB174_36 Depth=1
	v_and_b32_e32 v7, 0xffff, v1
	v_or_b32_e32 v40, 0x10000, v1
	s_delay_alu instid0(VALU_DEP_2) | instskip(NEXT) | instid1(VALU_DEP_1)
	v_cmp_eq_u32_e64 s1, 0, v7
	v_cndmask_b32_e64 v7, v40, v1, s1
; %bb.74:                               ;   in Loop: Header=BB174_36 Depth=1
	s_or_b32 exec_lo, exec_lo, s10
	v_and_b32_e32 v39, 0xffff0000, v39
	v_lshlrev_b32_e32 v1, 16, v8
	s_delay_alu instid0(VALU_DEP_1) | instskip(NEXT) | instid1(VALU_DEP_1)
	v_mul_f32_e32 v1, v39, v1
	v_and_b32_e32 v8, 0x7f800000, v1
	s_delay_alu instid0(VALU_DEP_1) | instskip(NEXT) | instid1(VALU_DEP_1)
	v_cmp_ne_u32_e64 s1, 0x7f800000, v8
                                        ; implicit-def: $vgpr8
	s_and_saveexec_b32 s10, s1
	s_delay_alu instid0(SALU_CYCLE_1)
	s_xor_b32 s1, exec_lo, s10
; %bb.75:                               ;   in Loop: Header=BB174_36 Depth=1
	v_bfe_u32 v8, v1, 16, 1
	s_delay_alu instid0(VALU_DEP_1)
	v_add3_u32 v8, v1, v8, 0x7fff
                                        ; implicit-def: $vgpr1
; %bb.76:                               ;   in Loop: Header=BB174_36 Depth=1
	s_and_not1_saveexec_b32 s10, s1
; %bb.77:                               ;   in Loop: Header=BB174_36 Depth=1
	v_and_b32_e32 v8, 0xffff, v1
	v_or_b32_e32 v40, 0x10000, v1
	s_delay_alu instid0(VALU_DEP_2) | instskip(NEXT) | instid1(VALU_DEP_1)
	v_cmp_eq_u32_e64 s1, 0, v8
	v_cndmask_b32_e64 v8, v40, v1, s1
; %bb.78:                               ;   in Loop: Header=BB174_36 Depth=1
	s_or_b32 exec_lo, exec_lo, s10
	v_and_b32_e32 v40, 0xffff0000, v29
	v_lshlrev_b32_e32 v1, 16, v2
                                        ; implicit-def: $vgpr29
	s_delay_alu instid0(VALU_DEP_1) | instskip(NEXT) | instid1(VALU_DEP_1)
	v_mul_f32_e32 v1, v40, v1
	v_and_b32_e32 v2, 0x7f800000, v1
	s_delay_alu instid0(VALU_DEP_1) | instskip(NEXT) | instid1(VALU_DEP_1)
	v_cmp_ne_u32_e64 s1, 0x7f800000, v2
	s_and_saveexec_b32 s10, s1
	s_delay_alu instid0(SALU_CYCLE_1)
	s_xor_b32 s1, exec_lo, s10
; %bb.79:                               ;   in Loop: Header=BB174_36 Depth=1
	v_bfe_u32 v2, v1, 16, 1
	s_delay_alu instid0(VALU_DEP_1)
	v_add3_u32 v29, v1, v2, 0x7fff
                                        ; implicit-def: $vgpr1
; %bb.80:                               ;   in Loop: Header=BB174_36 Depth=1
	s_and_not1_saveexec_b32 s10, s1
; %bb.81:                               ;   in Loop: Header=BB174_36 Depth=1
	v_and_b32_e32 v2, 0xffff, v1
	v_or_b32_e32 v29, 0x10000, v1
	s_delay_alu instid0(VALU_DEP_2) | instskip(NEXT) | instid1(VALU_DEP_1)
	v_cmp_eq_u32_e64 s1, 0, v2
	v_cndmask_b32_e64 v29, v29, v1, s1
; %bb.82:                               ;   in Loop: Header=BB174_36 Depth=1
	s_or_b32 exec_lo, exec_lo, s10
	v_and_b32_e32 v41, 0xffff0000, v30
	v_lshlrev_b32_e32 v1, 16, v42
                                        ; implicit-def: $vgpr30
	s_delay_alu instid0(VALU_DEP_1) | instskip(NEXT) | instid1(VALU_DEP_1)
	v_mul_f32_e32 v1, v41, v1
	v_and_b32_e32 v2, 0x7f800000, v1
	s_delay_alu instid0(VALU_DEP_1) | instskip(NEXT) | instid1(VALU_DEP_1)
	v_cmp_ne_u32_e64 s1, 0x7f800000, v2
	s_and_saveexec_b32 s10, s1
	s_delay_alu instid0(SALU_CYCLE_1)
	s_xor_b32 s1, exec_lo, s10
; %bb.83:                               ;   in Loop: Header=BB174_36 Depth=1
	v_bfe_u32 v2, v1, 16, 1
	s_delay_alu instid0(VALU_DEP_1)
	v_add3_u32 v30, v1, v2, 0x7fff
                                        ; implicit-def: $vgpr1
; %bb.84:                               ;   in Loop: Header=BB174_36 Depth=1
	s_and_not1_saveexec_b32 s10, s1
; %bb.85:                               ;   in Loop: Header=BB174_36 Depth=1
	v_and_b32_e32 v2, 0xffff, v1
	v_or_b32_e32 v30, 0x10000, v1
	s_delay_alu instid0(VALU_DEP_2) | instskip(NEXT) | instid1(VALU_DEP_1)
	v_cmp_eq_u32_e64 s1, 0, v2
	v_cndmask_b32_e64 v30, v30, v1, s1
; %bb.86:                               ;   in Loop: Header=BB174_36 Depth=1
	s_or_b32 exec_lo, exec_lo, s10
	v_and_b32_e32 v42, 0xffff0000, v31
	v_lshlrev_b32_e32 v1, 16, v3
                                        ; implicit-def: $vgpr31
	s_delay_alu instid0(VALU_DEP_1) | instskip(NEXT) | instid1(VALU_DEP_1)
	v_mul_f32_e32 v1, v42, v1
	v_and_b32_e32 v2, 0x7f800000, v1
	s_delay_alu instid0(VALU_DEP_1) | instskip(NEXT) | instid1(VALU_DEP_1)
	v_cmp_ne_u32_e64 s1, 0x7f800000, v2
	s_and_saveexec_b32 s10, s1
	s_delay_alu instid0(SALU_CYCLE_1)
	s_xor_b32 s1, exec_lo, s10
; %bb.87:                               ;   in Loop: Header=BB174_36 Depth=1
	v_bfe_u32 v2, v1, 16, 1
	s_delay_alu instid0(VALU_DEP_1)
	v_add3_u32 v31, v1, v2, 0x7fff
                                        ; implicit-def: $vgpr1
; %bb.88:                               ;   in Loop: Header=BB174_36 Depth=1
	s_and_not1_saveexec_b32 s10, s1
; %bb.89:                               ;   in Loop: Header=BB174_36 Depth=1
	v_and_b32_e32 v2, 0xffff, v1
	v_or_b32_e32 v3, 0x10000, v1
	s_delay_alu instid0(VALU_DEP_2) | instskip(NEXT) | instid1(VALU_DEP_1)
	v_cmp_eq_u32_e64 s1, 0, v2
	v_cndmask_b32_e64 v31, v3, v1, s1
; %bb.90:                               ;   in Loop: Header=BB174_36 Depth=1
	s_or_b32 exec_lo, exec_lo, s10
	v_and_b32_e32 v43, 0xffff0000, v32
	v_lshlrev_b32_e32 v1, 16, v44
                                        ; implicit-def: $vgpr32
	s_delay_alu instid0(VALU_DEP_1) | instskip(NEXT) | instid1(VALU_DEP_1)
	v_mul_f32_e32 v1, v43, v1
	v_and_b32_e32 v2, 0x7f800000, v1
	s_delay_alu instid0(VALU_DEP_1) | instskip(NEXT) | instid1(VALU_DEP_1)
	v_cmp_ne_u32_e64 s1, 0x7f800000, v2
	s_and_saveexec_b32 s10, s1
	s_delay_alu instid0(SALU_CYCLE_1)
	s_xor_b32 s1, exec_lo, s10
; %bb.91:                               ;   in Loop: Header=BB174_36 Depth=1
	v_bfe_u32 v2, v1, 16, 1
	s_delay_alu instid0(VALU_DEP_1)
	v_add3_u32 v32, v1, v2, 0x7fff
                                        ; implicit-def: $vgpr1
; %bb.92:                               ;   in Loop: Header=BB174_36 Depth=1
	s_and_not1_saveexec_b32 s10, s1
; %bb.93:                               ;   in Loop: Header=BB174_36 Depth=1
	v_and_b32_e32 v2, 0xffff, v1
	v_or_b32_e32 v3, 0x10000, v1
	s_delay_alu instid0(VALU_DEP_2) | instskip(NEXT) | instid1(VALU_DEP_1)
	v_cmp_eq_u32_e64 s1, 0, v2
	v_cndmask_b32_e64 v32, v3, v1, s1
; %bb.94:                               ;   in Loop: Header=BB174_36 Depth=1
	s_or_b32 exec_lo, exec_lo, s10
	v_and_b32_e32 v44, 0xffff0000, v33
	v_lshlrev_b32_e32 v1, 16, v4
                                        ; implicit-def: $vgpr33
	s_delay_alu instid0(VALU_DEP_1) | instskip(NEXT) | instid1(VALU_DEP_1)
	v_mul_f32_e32 v1, v44, v1
	v_and_b32_e32 v2, 0x7f800000, v1
	s_delay_alu instid0(VALU_DEP_1) | instskip(NEXT) | instid1(VALU_DEP_1)
	v_cmp_ne_u32_e64 s1, 0x7f800000, v2
	s_and_saveexec_b32 s10, s1
	s_delay_alu instid0(SALU_CYCLE_1)
	s_xor_b32 s1, exec_lo, s10
; %bb.95:                               ;   in Loop: Header=BB174_36 Depth=1
	v_bfe_u32 v2, v1, 16, 1
	s_delay_alu instid0(VALU_DEP_1)
	v_add3_u32 v33, v1, v2, 0x7fff
                                        ; implicit-def: $vgpr1
; %bb.96:                               ;   in Loop: Header=BB174_36 Depth=1
	s_and_not1_saveexec_b32 s10, s1
; %bb.97:                               ;   in Loop: Header=BB174_36 Depth=1
	v_and_b32_e32 v2, 0xffff, v1
	v_or_b32_e32 v3, 0x10000, v1
	s_delay_alu instid0(VALU_DEP_2) | instskip(NEXT) | instid1(VALU_DEP_1)
	v_cmp_eq_u32_e64 s1, 0, v2
	v_cndmask_b32_e64 v33, v3, v1, s1
; %bb.98:                               ;   in Loop: Header=BB174_36 Depth=1
	s_or_b32 exec_lo, exec_lo, s10
	v_and_b32_e32 v45, 0xffff0000, v34
	v_lshlrev_b32_e32 v1, 16, v46
                                        ; implicit-def: $vgpr34
	s_delay_alu instid0(VALU_DEP_1) | instskip(NEXT) | instid1(VALU_DEP_1)
	v_mul_f32_e32 v1, v45, v1
	v_and_b32_e32 v2, 0x7f800000, v1
	s_delay_alu instid0(VALU_DEP_1) | instskip(NEXT) | instid1(VALU_DEP_1)
	v_cmp_ne_u32_e64 s1, 0x7f800000, v2
	s_and_saveexec_b32 s10, s1
	s_delay_alu instid0(SALU_CYCLE_1)
	s_xor_b32 s1, exec_lo, s10
; %bb.99:                               ;   in Loop: Header=BB174_36 Depth=1
	v_bfe_u32 v2, v1, 16, 1
	s_delay_alu instid0(VALU_DEP_1)
	v_add3_u32 v34, v1, v2, 0x7fff
                                        ; implicit-def: $vgpr1
; %bb.100:                              ;   in Loop: Header=BB174_36 Depth=1
	s_and_not1_saveexec_b32 s10, s1
; %bb.101:                              ;   in Loop: Header=BB174_36 Depth=1
	v_and_b32_e32 v2, 0xffff, v1
	v_or_b32_e32 v3, 0x10000, v1
	s_delay_alu instid0(VALU_DEP_2) | instskip(NEXT) | instid1(VALU_DEP_1)
	v_cmp_eq_u32_e64 s1, 0, v2
	v_cndmask_b32_e64 v34, v3, v1, s1
; %bb.102:                              ;   in Loop: Header=BB174_36 Depth=1
	s_or_b32 exec_lo, exec_lo, s10
	global_load_b128 v[1:4], v[5:6], off offset:512
	s_waitcnt vmcnt(0)
	v_lshrrev_b32_e32 v47, 16, v1
	v_lshrrev_b32_e32 v49, 16, v2
	;; [unrolled: 1-line block ×4, first 2 shown]
	s_and_saveexec_b32 s10, s0
	s_cbranch_execz .LBB174_104
; %bb.103:                              ;   in Loop: Header=BB174_36 Depth=1
	v_add_nc_u32_e32 v46, -6, v25
	v_cmp_gt_i32_e64 s1, s15, v35
	v_add_nc_u32_e32 v48, -5, v25
	v_add_nc_u32_e32 v50, -2, v25
	s_delay_alu instid0(VALU_DEP_3) | instskip(SKIP_2) | instid1(VALU_DEP_2)
	v_cndmask_b32_e64 v1, 0, v1, s1
	v_cmp_gt_i32_e64 s1, s15, v46
	v_add_nc_u32_e32 v46, -4, v25
	v_cndmask_b32_e64 v47, 0, v47, s1
	v_cmp_gt_i32_e64 s1, s15, v48
	v_add_nc_u32_e32 v48, -3, v25
	s_delay_alu instid0(VALU_DEP_2) | instskip(SKIP_2) | instid1(VALU_DEP_2)
	v_cndmask_b32_e64 v2, 0, v2, s1
	v_cmp_gt_i32_e64 s1, s15, v46
	v_add_nc_u32_e32 v46, -1, v25
	v_cndmask_b32_e64 v49, 0, v49, s1
	v_cmp_gt_i32_e64 s1, s15, v48
	s_delay_alu instid0(VALU_DEP_1) | instskip(SKIP_1) | instid1(VALU_DEP_1)
	v_cndmask_b32_e64 v3, 0, v3, s1
	v_cmp_gt_i32_e64 s1, s15, v50
	v_cndmask_b32_e64 v51, 0, v51, s1
	v_cmp_gt_i32_e64 s1, s15, v46
	s_delay_alu instid0(VALU_DEP_1) | instskip(SKIP_1) | instid1(VALU_DEP_1)
	v_cndmask_b32_e64 v4, 0, v4, s1
	v_cmp_gt_i32_e64 s1, s15, v25
	v_cndmask_b32_e64 v53, 0, v53, s1
.LBB174_104:                            ;   in Loop: Header=BB174_36 Depth=1
	s_or_b32 exec_lo, exec_lo, s10
	v_lshlrev_b32_e32 v1, 16, v1
	s_delay_alu instid0(VALU_DEP_1) | instskip(NEXT) | instid1(VALU_DEP_1)
	v_mul_f32_e32 v1, v38, v1
	v_and_b32_e32 v46, 0x7f800000, v1
	s_delay_alu instid0(VALU_DEP_1) | instskip(NEXT) | instid1(VALU_DEP_1)
	v_cmp_ne_u32_e64 s1, 0x7f800000, v46
                                        ; implicit-def: $vgpr46
	s_and_saveexec_b32 s10, s1
	s_delay_alu instid0(SALU_CYCLE_1)
	s_xor_b32 s1, exec_lo, s10
; %bb.105:                              ;   in Loop: Header=BB174_36 Depth=1
	v_bfe_u32 v46, v1, 16, 1
	s_delay_alu instid0(VALU_DEP_1)
	v_add3_u32 v46, v1, v46, 0x7fff
                                        ; implicit-def: $vgpr1
; %bb.106:                              ;   in Loop: Header=BB174_36 Depth=1
	s_and_not1_saveexec_b32 s10, s1
; %bb.107:                              ;   in Loop: Header=BB174_36 Depth=1
	v_and_b32_e32 v46, 0xffff, v1
	v_or_b32_e32 v48, 0x10000, v1
	s_delay_alu instid0(VALU_DEP_2) | instskip(NEXT) | instid1(VALU_DEP_1)
	v_cmp_eq_u32_e64 s1, 0, v46
	v_cndmask_b32_e64 v46, v48, v1, s1
; %bb.108:                              ;   in Loop: Header=BB174_36 Depth=1
	s_or_b32 exec_lo, exec_lo, s10
	v_lshlrev_b32_e32 v1, 16, v47
	s_delay_alu instid0(VALU_DEP_1) | instskip(NEXT) | instid1(VALU_DEP_1)
	v_mul_f32_e32 v1, v39, v1
	v_and_b32_e32 v47, 0x7f800000, v1
	s_delay_alu instid0(VALU_DEP_1) | instskip(NEXT) | instid1(VALU_DEP_1)
	v_cmp_ne_u32_e64 s1, 0x7f800000, v47
                                        ; implicit-def: $vgpr47
	s_and_saveexec_b32 s10, s1
	s_delay_alu instid0(SALU_CYCLE_1)
	s_xor_b32 s1, exec_lo, s10
; %bb.109:                              ;   in Loop: Header=BB174_36 Depth=1
	v_bfe_u32 v47, v1, 16, 1
	s_delay_alu instid0(VALU_DEP_1)
	v_add3_u32 v47, v1, v47, 0x7fff
                                        ; implicit-def: $vgpr1
; %bb.110:                              ;   in Loop: Header=BB174_36 Depth=1
	s_and_not1_saveexec_b32 s10, s1
; %bb.111:                              ;   in Loop: Header=BB174_36 Depth=1
	v_and_b32_e32 v47, 0xffff, v1
	v_or_b32_e32 v48, 0x10000, v1
	s_delay_alu instid0(VALU_DEP_2) | instskip(NEXT) | instid1(VALU_DEP_1)
	v_cmp_eq_u32_e64 s1, 0, v47
	v_cndmask_b32_e64 v47, v48, v1, s1
; %bb.112:                              ;   in Loop: Header=BB174_36 Depth=1
	s_or_b32 exec_lo, exec_lo, s10
	v_lshlrev_b32_e32 v1, 16, v2
                                        ; implicit-def: $vgpr48
	s_delay_alu instid0(VALU_DEP_1) | instskip(NEXT) | instid1(VALU_DEP_1)
	v_mul_f32_e32 v1, v40, v1
	v_and_b32_e32 v2, 0x7f800000, v1
	s_delay_alu instid0(VALU_DEP_1) | instskip(NEXT) | instid1(VALU_DEP_1)
	v_cmp_ne_u32_e64 s1, 0x7f800000, v2
	s_and_saveexec_b32 s10, s1
	s_delay_alu instid0(SALU_CYCLE_1)
	s_xor_b32 s1, exec_lo, s10
; %bb.113:                              ;   in Loop: Header=BB174_36 Depth=1
	v_bfe_u32 v2, v1, 16, 1
	s_delay_alu instid0(VALU_DEP_1)
	v_add3_u32 v48, v1, v2, 0x7fff
                                        ; implicit-def: $vgpr1
; %bb.114:                              ;   in Loop: Header=BB174_36 Depth=1
	s_and_not1_saveexec_b32 s10, s1
; %bb.115:                              ;   in Loop: Header=BB174_36 Depth=1
	v_and_b32_e32 v2, 0xffff, v1
	v_or_b32_e32 v48, 0x10000, v1
	s_delay_alu instid0(VALU_DEP_2) | instskip(NEXT) | instid1(VALU_DEP_1)
	v_cmp_eq_u32_e64 s1, 0, v2
	v_cndmask_b32_e64 v48, v48, v1, s1
; %bb.116:                              ;   in Loop: Header=BB174_36 Depth=1
	s_or_b32 exec_lo, exec_lo, s10
	v_lshlrev_b32_e32 v1, 16, v49
                                        ; implicit-def: $vgpr49
	s_delay_alu instid0(VALU_DEP_1) | instskip(NEXT) | instid1(VALU_DEP_1)
	v_mul_f32_e32 v1, v41, v1
	v_and_b32_e32 v2, 0x7f800000, v1
	s_delay_alu instid0(VALU_DEP_1) | instskip(NEXT) | instid1(VALU_DEP_1)
	v_cmp_ne_u32_e64 s1, 0x7f800000, v2
	s_and_saveexec_b32 s10, s1
	s_delay_alu instid0(SALU_CYCLE_1)
	s_xor_b32 s1, exec_lo, s10
; %bb.117:                              ;   in Loop: Header=BB174_36 Depth=1
	v_bfe_u32 v2, v1, 16, 1
	s_delay_alu instid0(VALU_DEP_1)
	v_add3_u32 v49, v1, v2, 0x7fff
                                        ; implicit-def: $vgpr1
; %bb.118:                              ;   in Loop: Header=BB174_36 Depth=1
	s_and_not1_saveexec_b32 s10, s1
; %bb.119:                              ;   in Loop: Header=BB174_36 Depth=1
	v_and_b32_e32 v2, 0xffff, v1
	v_or_b32_e32 v49, 0x10000, v1
	s_delay_alu instid0(VALU_DEP_2) | instskip(NEXT) | instid1(VALU_DEP_1)
	v_cmp_eq_u32_e64 s1, 0, v2
	v_cndmask_b32_e64 v49, v49, v1, s1
; %bb.120:                              ;   in Loop: Header=BB174_36 Depth=1
	s_or_b32 exec_lo, exec_lo, s10
	v_lshlrev_b32_e32 v1, 16, v3
                                        ; implicit-def: $vgpr50
	s_delay_alu instid0(VALU_DEP_1) | instskip(NEXT) | instid1(VALU_DEP_1)
	v_mul_f32_e32 v1, v42, v1
	v_and_b32_e32 v2, 0x7f800000, v1
	s_delay_alu instid0(VALU_DEP_1) | instskip(NEXT) | instid1(VALU_DEP_1)
	v_cmp_ne_u32_e64 s1, 0x7f800000, v2
	s_and_saveexec_b32 s10, s1
	s_delay_alu instid0(SALU_CYCLE_1)
	s_xor_b32 s1, exec_lo, s10
; %bb.121:                              ;   in Loop: Header=BB174_36 Depth=1
	v_bfe_u32 v2, v1, 16, 1
	s_delay_alu instid0(VALU_DEP_1)
	v_add3_u32 v50, v1, v2, 0x7fff
                                        ; implicit-def: $vgpr1
; %bb.122:                              ;   in Loop: Header=BB174_36 Depth=1
	s_and_not1_saveexec_b32 s10, s1
; %bb.123:                              ;   in Loop: Header=BB174_36 Depth=1
	v_and_b32_e32 v2, 0xffff, v1
	v_or_b32_e32 v3, 0x10000, v1
	s_delay_alu instid0(VALU_DEP_2) | instskip(NEXT) | instid1(VALU_DEP_1)
	v_cmp_eq_u32_e64 s1, 0, v2
	v_cndmask_b32_e64 v50, v3, v1, s1
; %bb.124:                              ;   in Loop: Header=BB174_36 Depth=1
	s_or_b32 exec_lo, exec_lo, s10
	v_lshlrev_b32_e32 v1, 16, v51
                                        ; implicit-def: $vgpr51
	s_delay_alu instid0(VALU_DEP_1) | instskip(NEXT) | instid1(VALU_DEP_1)
	v_mul_f32_e32 v1, v43, v1
	v_and_b32_e32 v2, 0x7f800000, v1
	s_delay_alu instid0(VALU_DEP_1) | instskip(NEXT) | instid1(VALU_DEP_1)
	v_cmp_ne_u32_e64 s1, 0x7f800000, v2
	s_and_saveexec_b32 s10, s1
	s_delay_alu instid0(SALU_CYCLE_1)
	s_xor_b32 s1, exec_lo, s10
; %bb.125:                              ;   in Loop: Header=BB174_36 Depth=1
	v_bfe_u32 v2, v1, 16, 1
	s_delay_alu instid0(VALU_DEP_1)
	v_add3_u32 v51, v1, v2, 0x7fff
                                        ; implicit-def: $vgpr1
; %bb.126:                              ;   in Loop: Header=BB174_36 Depth=1
	s_and_not1_saveexec_b32 s10, s1
; %bb.127:                              ;   in Loop: Header=BB174_36 Depth=1
	v_and_b32_e32 v2, 0xffff, v1
	v_or_b32_e32 v3, 0x10000, v1
	s_delay_alu instid0(VALU_DEP_2) | instskip(NEXT) | instid1(VALU_DEP_1)
	v_cmp_eq_u32_e64 s1, 0, v2
	v_cndmask_b32_e64 v51, v3, v1, s1
; %bb.128:                              ;   in Loop: Header=BB174_36 Depth=1
	s_or_b32 exec_lo, exec_lo, s10
	v_lshlrev_b32_e32 v1, 16, v4
                                        ; implicit-def: $vgpr52
	s_delay_alu instid0(VALU_DEP_1) | instskip(NEXT) | instid1(VALU_DEP_1)
	v_mul_f32_e32 v1, v44, v1
	v_and_b32_e32 v2, 0x7f800000, v1
	s_delay_alu instid0(VALU_DEP_1) | instskip(NEXT) | instid1(VALU_DEP_1)
	v_cmp_ne_u32_e64 s1, 0x7f800000, v2
	s_and_saveexec_b32 s10, s1
	s_delay_alu instid0(SALU_CYCLE_1)
	s_xor_b32 s1, exec_lo, s10
; %bb.129:                              ;   in Loop: Header=BB174_36 Depth=1
	v_bfe_u32 v2, v1, 16, 1
	s_delay_alu instid0(VALU_DEP_1)
	v_add3_u32 v52, v1, v2, 0x7fff
                                        ; implicit-def: $vgpr1
; %bb.130:                              ;   in Loop: Header=BB174_36 Depth=1
	s_and_not1_saveexec_b32 s10, s1
; %bb.131:                              ;   in Loop: Header=BB174_36 Depth=1
	v_and_b32_e32 v2, 0xffff, v1
	v_or_b32_e32 v3, 0x10000, v1
	s_delay_alu instid0(VALU_DEP_2) | instskip(NEXT) | instid1(VALU_DEP_1)
	v_cmp_eq_u32_e64 s1, 0, v2
	v_cndmask_b32_e64 v52, v3, v1, s1
; %bb.132:                              ;   in Loop: Header=BB174_36 Depth=1
	s_or_b32 exec_lo, exec_lo, s10
	v_lshlrev_b32_e32 v1, 16, v53
                                        ; implicit-def: $vgpr53
	s_delay_alu instid0(VALU_DEP_1) | instskip(NEXT) | instid1(VALU_DEP_1)
	v_mul_f32_e32 v1, v45, v1
	v_and_b32_e32 v2, 0x7f800000, v1
	s_delay_alu instid0(VALU_DEP_1) | instskip(NEXT) | instid1(VALU_DEP_1)
	v_cmp_ne_u32_e64 s1, 0x7f800000, v2
	s_and_saveexec_b32 s10, s1
	s_delay_alu instid0(SALU_CYCLE_1)
	s_xor_b32 s1, exec_lo, s10
; %bb.133:                              ;   in Loop: Header=BB174_36 Depth=1
	v_bfe_u32 v2, v1, 16, 1
	s_delay_alu instid0(VALU_DEP_1)
	v_add3_u32 v53, v1, v2, 0x7fff
                                        ; implicit-def: $vgpr1
; %bb.134:                              ;   in Loop: Header=BB174_36 Depth=1
	s_and_not1_saveexec_b32 s10, s1
; %bb.135:                              ;   in Loop: Header=BB174_36 Depth=1
	v_and_b32_e32 v2, 0xffff, v1
	v_or_b32_e32 v3, 0x10000, v1
	s_delay_alu instid0(VALU_DEP_2) | instskip(NEXT) | instid1(VALU_DEP_1)
	v_cmp_eq_u32_e64 s1, 0, v2
	v_cndmask_b32_e64 v53, v3, v1, s1
; %bb.136:                              ;   in Loop: Header=BB174_36 Depth=1
	s_or_b32 exec_lo, exec_lo, s10
	global_load_b128 v[1:4], v[5:6], off offset:1024
	s_waitcnt vmcnt(0)
	v_lshrrev_b32_e32 v55, 16, v1
	v_lshrrev_b32_e32 v57, 16, v2
	;; [unrolled: 1-line block ×4, first 2 shown]
	s_and_saveexec_b32 s10, s0
	s_cbranch_execz .LBB174_138
; %bb.137:                              ;   in Loop: Header=BB174_36 Depth=1
	v_add_nc_u32_e32 v54, -6, v25
	v_cmp_gt_i32_e64 s1, s15, v35
	v_add_nc_u32_e32 v56, -5, v25
	v_add_nc_u32_e32 v58, -2, v25
	s_delay_alu instid0(VALU_DEP_3) | instskip(SKIP_2) | instid1(VALU_DEP_2)
	v_cndmask_b32_e64 v1, 0, v1, s1
	v_cmp_gt_i32_e64 s1, s15, v54
	v_add_nc_u32_e32 v54, -4, v25
	v_cndmask_b32_e64 v55, 0, v55, s1
	v_cmp_gt_i32_e64 s1, s15, v56
	v_add_nc_u32_e32 v56, -3, v25
	s_delay_alu instid0(VALU_DEP_2) | instskip(SKIP_2) | instid1(VALU_DEP_2)
	v_cndmask_b32_e64 v2, 0, v2, s1
	v_cmp_gt_i32_e64 s1, s15, v54
	v_add_nc_u32_e32 v54, -1, v25
	v_cndmask_b32_e64 v57, 0, v57, s1
	v_cmp_gt_i32_e64 s1, s15, v56
	s_delay_alu instid0(VALU_DEP_1) | instskip(SKIP_1) | instid1(VALU_DEP_1)
	v_cndmask_b32_e64 v3, 0, v3, s1
	v_cmp_gt_i32_e64 s1, s15, v58
	v_cndmask_b32_e64 v59, 0, v59, s1
	v_cmp_gt_i32_e64 s1, s15, v54
	s_delay_alu instid0(VALU_DEP_1) | instskip(SKIP_1) | instid1(VALU_DEP_1)
	v_cndmask_b32_e64 v4, 0, v4, s1
	v_cmp_gt_i32_e64 s1, s15, v25
	v_cndmask_b32_e64 v61, 0, v61, s1
.LBB174_138:                            ;   in Loop: Header=BB174_36 Depth=1
	s_or_b32 exec_lo, exec_lo, s10
	v_lshlrev_b32_e32 v1, 16, v1
	s_delay_alu instid0(VALU_DEP_1) | instskip(NEXT) | instid1(VALU_DEP_1)
	v_mul_f32_e32 v1, v38, v1
	v_and_b32_e32 v54, 0x7f800000, v1
	s_delay_alu instid0(VALU_DEP_1) | instskip(NEXT) | instid1(VALU_DEP_1)
	v_cmp_ne_u32_e64 s1, 0x7f800000, v54
                                        ; implicit-def: $vgpr54
	s_and_saveexec_b32 s10, s1
	s_delay_alu instid0(SALU_CYCLE_1)
	s_xor_b32 s1, exec_lo, s10
; %bb.139:                              ;   in Loop: Header=BB174_36 Depth=1
	v_bfe_u32 v54, v1, 16, 1
	s_delay_alu instid0(VALU_DEP_1)
	v_add3_u32 v54, v1, v54, 0x7fff
                                        ; implicit-def: $vgpr1
; %bb.140:                              ;   in Loop: Header=BB174_36 Depth=1
	s_and_not1_saveexec_b32 s10, s1
; %bb.141:                              ;   in Loop: Header=BB174_36 Depth=1
	v_and_b32_e32 v54, 0xffff, v1
	v_or_b32_e32 v56, 0x10000, v1
	s_delay_alu instid0(VALU_DEP_2) | instskip(NEXT) | instid1(VALU_DEP_1)
	v_cmp_eq_u32_e64 s1, 0, v54
	v_cndmask_b32_e64 v54, v56, v1, s1
; %bb.142:                              ;   in Loop: Header=BB174_36 Depth=1
	s_or_b32 exec_lo, exec_lo, s10
	v_lshlrev_b32_e32 v1, 16, v55
	s_delay_alu instid0(VALU_DEP_1) | instskip(NEXT) | instid1(VALU_DEP_1)
	v_mul_f32_e32 v1, v39, v1
	v_and_b32_e32 v55, 0x7f800000, v1
	s_delay_alu instid0(VALU_DEP_1) | instskip(NEXT) | instid1(VALU_DEP_1)
	v_cmp_ne_u32_e64 s1, 0x7f800000, v55
                                        ; implicit-def: $vgpr55
	s_and_saveexec_b32 s10, s1
	s_delay_alu instid0(SALU_CYCLE_1)
	s_xor_b32 s1, exec_lo, s10
; %bb.143:                              ;   in Loop: Header=BB174_36 Depth=1
	v_bfe_u32 v55, v1, 16, 1
	s_delay_alu instid0(VALU_DEP_1)
	v_add3_u32 v55, v1, v55, 0x7fff
                                        ; implicit-def: $vgpr1
; %bb.144:                              ;   in Loop: Header=BB174_36 Depth=1
	s_and_not1_saveexec_b32 s10, s1
; %bb.145:                              ;   in Loop: Header=BB174_36 Depth=1
	v_and_b32_e32 v55, 0xffff, v1
	v_or_b32_e32 v56, 0x10000, v1
	s_delay_alu instid0(VALU_DEP_2) | instskip(NEXT) | instid1(VALU_DEP_1)
	v_cmp_eq_u32_e64 s1, 0, v55
	v_cndmask_b32_e64 v55, v56, v1, s1
; %bb.146:                              ;   in Loop: Header=BB174_36 Depth=1
	s_or_b32 exec_lo, exec_lo, s10
	v_lshlrev_b32_e32 v1, 16, v2
                                        ; implicit-def: $vgpr56
	s_delay_alu instid0(VALU_DEP_1) | instskip(NEXT) | instid1(VALU_DEP_1)
	v_mul_f32_e32 v1, v40, v1
	v_and_b32_e32 v2, 0x7f800000, v1
	s_delay_alu instid0(VALU_DEP_1) | instskip(NEXT) | instid1(VALU_DEP_1)
	v_cmp_ne_u32_e64 s1, 0x7f800000, v2
	s_and_saveexec_b32 s10, s1
	s_delay_alu instid0(SALU_CYCLE_1)
	s_xor_b32 s1, exec_lo, s10
; %bb.147:                              ;   in Loop: Header=BB174_36 Depth=1
	v_bfe_u32 v2, v1, 16, 1
	s_delay_alu instid0(VALU_DEP_1)
	v_add3_u32 v56, v1, v2, 0x7fff
                                        ; implicit-def: $vgpr1
; %bb.148:                              ;   in Loop: Header=BB174_36 Depth=1
	s_and_not1_saveexec_b32 s10, s1
; %bb.149:                              ;   in Loop: Header=BB174_36 Depth=1
	v_and_b32_e32 v2, 0xffff, v1
	v_or_b32_e32 v56, 0x10000, v1
	s_delay_alu instid0(VALU_DEP_2) | instskip(NEXT) | instid1(VALU_DEP_1)
	v_cmp_eq_u32_e64 s1, 0, v2
	v_cndmask_b32_e64 v56, v56, v1, s1
; %bb.150:                              ;   in Loop: Header=BB174_36 Depth=1
	s_or_b32 exec_lo, exec_lo, s10
	v_lshlrev_b32_e32 v1, 16, v57
                                        ; implicit-def: $vgpr57
	s_delay_alu instid0(VALU_DEP_1) | instskip(NEXT) | instid1(VALU_DEP_1)
	v_mul_f32_e32 v1, v41, v1
	v_and_b32_e32 v2, 0x7f800000, v1
	s_delay_alu instid0(VALU_DEP_1) | instskip(NEXT) | instid1(VALU_DEP_1)
	v_cmp_ne_u32_e64 s1, 0x7f800000, v2
	s_and_saveexec_b32 s10, s1
	s_delay_alu instid0(SALU_CYCLE_1)
	s_xor_b32 s1, exec_lo, s10
; %bb.151:                              ;   in Loop: Header=BB174_36 Depth=1
	v_bfe_u32 v2, v1, 16, 1
	s_delay_alu instid0(VALU_DEP_1)
	v_add3_u32 v57, v1, v2, 0x7fff
                                        ; implicit-def: $vgpr1
; %bb.152:                              ;   in Loop: Header=BB174_36 Depth=1
	s_and_not1_saveexec_b32 s10, s1
; %bb.153:                              ;   in Loop: Header=BB174_36 Depth=1
	v_and_b32_e32 v2, 0xffff, v1
	v_or_b32_e32 v57, 0x10000, v1
	s_delay_alu instid0(VALU_DEP_2) | instskip(NEXT) | instid1(VALU_DEP_1)
	v_cmp_eq_u32_e64 s1, 0, v2
	v_cndmask_b32_e64 v57, v57, v1, s1
; %bb.154:                              ;   in Loop: Header=BB174_36 Depth=1
	s_or_b32 exec_lo, exec_lo, s10
	v_lshlrev_b32_e32 v1, 16, v3
                                        ; implicit-def: $vgpr58
	s_delay_alu instid0(VALU_DEP_1) | instskip(NEXT) | instid1(VALU_DEP_1)
	v_mul_f32_e32 v1, v42, v1
	v_and_b32_e32 v2, 0x7f800000, v1
	s_delay_alu instid0(VALU_DEP_1) | instskip(NEXT) | instid1(VALU_DEP_1)
	v_cmp_ne_u32_e64 s1, 0x7f800000, v2
	s_and_saveexec_b32 s10, s1
	s_delay_alu instid0(SALU_CYCLE_1)
	s_xor_b32 s1, exec_lo, s10
; %bb.155:                              ;   in Loop: Header=BB174_36 Depth=1
	v_bfe_u32 v2, v1, 16, 1
	s_delay_alu instid0(VALU_DEP_1)
	v_add3_u32 v58, v1, v2, 0x7fff
                                        ; implicit-def: $vgpr1
; %bb.156:                              ;   in Loop: Header=BB174_36 Depth=1
	s_and_not1_saveexec_b32 s10, s1
; %bb.157:                              ;   in Loop: Header=BB174_36 Depth=1
	v_and_b32_e32 v2, 0xffff, v1
	v_or_b32_e32 v3, 0x10000, v1
	s_delay_alu instid0(VALU_DEP_2) | instskip(NEXT) | instid1(VALU_DEP_1)
	v_cmp_eq_u32_e64 s1, 0, v2
	v_cndmask_b32_e64 v58, v3, v1, s1
; %bb.158:                              ;   in Loop: Header=BB174_36 Depth=1
	s_or_b32 exec_lo, exec_lo, s10
	v_lshlrev_b32_e32 v1, 16, v59
                                        ; implicit-def: $vgpr59
	s_delay_alu instid0(VALU_DEP_1) | instskip(NEXT) | instid1(VALU_DEP_1)
	v_mul_f32_e32 v1, v43, v1
	v_and_b32_e32 v2, 0x7f800000, v1
	s_delay_alu instid0(VALU_DEP_1) | instskip(NEXT) | instid1(VALU_DEP_1)
	v_cmp_ne_u32_e64 s1, 0x7f800000, v2
	s_and_saveexec_b32 s10, s1
	s_delay_alu instid0(SALU_CYCLE_1)
	s_xor_b32 s1, exec_lo, s10
; %bb.159:                              ;   in Loop: Header=BB174_36 Depth=1
	v_bfe_u32 v2, v1, 16, 1
	s_delay_alu instid0(VALU_DEP_1)
	v_add3_u32 v59, v1, v2, 0x7fff
                                        ; implicit-def: $vgpr1
; %bb.160:                              ;   in Loop: Header=BB174_36 Depth=1
	s_and_not1_saveexec_b32 s10, s1
; %bb.161:                              ;   in Loop: Header=BB174_36 Depth=1
	v_and_b32_e32 v2, 0xffff, v1
	v_or_b32_e32 v3, 0x10000, v1
	s_delay_alu instid0(VALU_DEP_2) | instskip(NEXT) | instid1(VALU_DEP_1)
	v_cmp_eq_u32_e64 s1, 0, v2
	v_cndmask_b32_e64 v59, v3, v1, s1
; %bb.162:                              ;   in Loop: Header=BB174_36 Depth=1
	s_or_b32 exec_lo, exec_lo, s10
	v_lshlrev_b32_e32 v1, 16, v4
                                        ; implicit-def: $vgpr60
	s_delay_alu instid0(VALU_DEP_1) | instskip(NEXT) | instid1(VALU_DEP_1)
	v_mul_f32_e32 v1, v44, v1
	v_and_b32_e32 v2, 0x7f800000, v1
	s_delay_alu instid0(VALU_DEP_1) | instskip(NEXT) | instid1(VALU_DEP_1)
	v_cmp_ne_u32_e64 s1, 0x7f800000, v2
	s_and_saveexec_b32 s10, s1
	s_delay_alu instid0(SALU_CYCLE_1)
	s_xor_b32 s1, exec_lo, s10
; %bb.163:                              ;   in Loop: Header=BB174_36 Depth=1
	v_bfe_u32 v2, v1, 16, 1
	s_delay_alu instid0(VALU_DEP_1)
	v_add3_u32 v60, v1, v2, 0x7fff
                                        ; implicit-def: $vgpr1
; %bb.164:                              ;   in Loop: Header=BB174_36 Depth=1
	s_and_not1_saveexec_b32 s10, s1
; %bb.165:                              ;   in Loop: Header=BB174_36 Depth=1
	v_and_b32_e32 v2, 0xffff, v1
	v_or_b32_e32 v3, 0x10000, v1
	s_delay_alu instid0(VALU_DEP_2) | instskip(NEXT) | instid1(VALU_DEP_1)
	v_cmp_eq_u32_e64 s1, 0, v2
	v_cndmask_b32_e64 v60, v3, v1, s1
; %bb.166:                              ;   in Loop: Header=BB174_36 Depth=1
	s_or_b32 exec_lo, exec_lo, s10
	v_lshlrev_b32_e32 v1, 16, v61
                                        ; implicit-def: $vgpr61
	s_delay_alu instid0(VALU_DEP_1) | instskip(NEXT) | instid1(VALU_DEP_1)
	v_mul_f32_e32 v1, v45, v1
	v_and_b32_e32 v2, 0x7f800000, v1
	s_delay_alu instid0(VALU_DEP_1) | instskip(NEXT) | instid1(VALU_DEP_1)
	v_cmp_ne_u32_e64 s1, 0x7f800000, v2
	s_and_saveexec_b32 s10, s1
	s_delay_alu instid0(SALU_CYCLE_1)
	s_xor_b32 s1, exec_lo, s10
; %bb.167:                              ;   in Loop: Header=BB174_36 Depth=1
	v_bfe_u32 v2, v1, 16, 1
	s_delay_alu instid0(VALU_DEP_1)
	v_add3_u32 v61, v1, v2, 0x7fff
                                        ; implicit-def: $vgpr1
; %bb.168:                              ;   in Loop: Header=BB174_36 Depth=1
	s_and_not1_saveexec_b32 s10, s1
; %bb.169:                              ;   in Loop: Header=BB174_36 Depth=1
	v_and_b32_e32 v2, 0xffff, v1
	v_or_b32_e32 v3, 0x10000, v1
	s_delay_alu instid0(VALU_DEP_2) | instskip(NEXT) | instid1(VALU_DEP_1)
	v_cmp_eq_u32_e64 s1, 0, v2
	v_cndmask_b32_e64 v61, v3, v1, s1
; %bb.170:                              ;   in Loop: Header=BB174_36 Depth=1
	s_or_b32 exec_lo, exec_lo, s10
	global_load_b128 v[1:4], v[5:6], off offset:1536
	s_waitcnt vmcnt(0)
	v_lshrrev_b32_e32 v63, 16, v1
	v_lshrrev_b32_e32 v65, 16, v2
	;; [unrolled: 1-line block ×4, first 2 shown]
	s_and_saveexec_b32 s10, s0
	s_cbranch_execz .LBB174_172
; %bb.171:                              ;   in Loop: Header=BB174_36 Depth=1
	v_add_nc_u32_e32 v62, -6, v25
	v_cmp_gt_i32_e64 s1, s15, v35
	v_add_nc_u32_e32 v64, -5, v25
	v_add_nc_u32_e32 v66, -2, v25
	s_delay_alu instid0(VALU_DEP_3) | instskip(SKIP_2) | instid1(VALU_DEP_2)
	v_cndmask_b32_e64 v1, 0, v1, s1
	v_cmp_gt_i32_e64 s1, s15, v62
	v_add_nc_u32_e32 v62, -4, v25
	v_cndmask_b32_e64 v63, 0, v63, s1
	v_cmp_gt_i32_e64 s1, s15, v64
	v_add_nc_u32_e32 v64, -3, v25
	s_delay_alu instid0(VALU_DEP_2) | instskip(SKIP_2) | instid1(VALU_DEP_2)
	v_cndmask_b32_e64 v2, 0, v2, s1
	v_cmp_gt_i32_e64 s1, s15, v62
	v_add_nc_u32_e32 v62, -1, v25
	v_cndmask_b32_e64 v65, 0, v65, s1
	v_cmp_gt_i32_e64 s1, s15, v64
	s_delay_alu instid0(VALU_DEP_1) | instskip(SKIP_1) | instid1(VALU_DEP_1)
	v_cndmask_b32_e64 v3, 0, v3, s1
	v_cmp_gt_i32_e64 s1, s15, v66
	v_cndmask_b32_e64 v67, 0, v67, s1
	v_cmp_gt_i32_e64 s1, s15, v62
	s_delay_alu instid0(VALU_DEP_1) | instskip(SKIP_1) | instid1(VALU_DEP_1)
	v_cndmask_b32_e64 v4, 0, v4, s1
	v_cmp_gt_i32_e64 s1, s15, v25
	v_cndmask_b32_e64 v69, 0, v69, s1
.LBB174_172:                            ;   in Loop: Header=BB174_36 Depth=1
	s_or_b32 exec_lo, exec_lo, s10
	v_lshlrev_b32_e32 v1, 16, v1
	s_delay_alu instid0(VALU_DEP_1) | instskip(NEXT) | instid1(VALU_DEP_1)
	v_mul_f32_e32 v1, v38, v1
	v_and_b32_e32 v62, 0x7f800000, v1
	s_delay_alu instid0(VALU_DEP_1) | instskip(NEXT) | instid1(VALU_DEP_1)
	v_cmp_ne_u32_e64 s1, 0x7f800000, v62
                                        ; implicit-def: $vgpr62
	s_and_saveexec_b32 s10, s1
	s_delay_alu instid0(SALU_CYCLE_1)
	s_xor_b32 s1, exec_lo, s10
; %bb.173:                              ;   in Loop: Header=BB174_36 Depth=1
	v_bfe_u32 v62, v1, 16, 1
	s_delay_alu instid0(VALU_DEP_1)
	v_add3_u32 v62, v1, v62, 0x7fff
                                        ; implicit-def: $vgpr1
; %bb.174:                              ;   in Loop: Header=BB174_36 Depth=1
	s_and_not1_saveexec_b32 s10, s1
; %bb.175:                              ;   in Loop: Header=BB174_36 Depth=1
	v_and_b32_e32 v62, 0xffff, v1
	v_or_b32_e32 v64, 0x10000, v1
	s_delay_alu instid0(VALU_DEP_2) | instskip(NEXT) | instid1(VALU_DEP_1)
	v_cmp_eq_u32_e64 s1, 0, v62
	v_cndmask_b32_e64 v62, v64, v1, s1
; %bb.176:                              ;   in Loop: Header=BB174_36 Depth=1
	s_or_b32 exec_lo, exec_lo, s10
	v_lshlrev_b32_e32 v1, 16, v63
	s_delay_alu instid0(VALU_DEP_1) | instskip(NEXT) | instid1(VALU_DEP_1)
	v_mul_f32_e32 v1, v39, v1
	v_and_b32_e32 v63, 0x7f800000, v1
	s_delay_alu instid0(VALU_DEP_1) | instskip(NEXT) | instid1(VALU_DEP_1)
	v_cmp_ne_u32_e64 s1, 0x7f800000, v63
                                        ; implicit-def: $vgpr63
	s_and_saveexec_b32 s10, s1
	s_delay_alu instid0(SALU_CYCLE_1)
	s_xor_b32 s1, exec_lo, s10
; %bb.177:                              ;   in Loop: Header=BB174_36 Depth=1
	v_bfe_u32 v63, v1, 16, 1
	s_delay_alu instid0(VALU_DEP_1)
	v_add3_u32 v63, v1, v63, 0x7fff
                                        ; implicit-def: $vgpr1
; %bb.178:                              ;   in Loop: Header=BB174_36 Depth=1
	s_and_not1_saveexec_b32 s10, s1
; %bb.179:                              ;   in Loop: Header=BB174_36 Depth=1
	v_and_b32_e32 v63, 0xffff, v1
	v_or_b32_e32 v64, 0x10000, v1
	s_delay_alu instid0(VALU_DEP_2) | instskip(NEXT) | instid1(VALU_DEP_1)
	v_cmp_eq_u32_e64 s1, 0, v63
	v_cndmask_b32_e64 v63, v64, v1, s1
; %bb.180:                              ;   in Loop: Header=BB174_36 Depth=1
	s_or_b32 exec_lo, exec_lo, s10
	v_lshlrev_b32_e32 v1, 16, v2
                                        ; implicit-def: $vgpr64
	s_delay_alu instid0(VALU_DEP_1) | instskip(NEXT) | instid1(VALU_DEP_1)
	v_mul_f32_e32 v1, v40, v1
	v_and_b32_e32 v2, 0x7f800000, v1
	s_delay_alu instid0(VALU_DEP_1) | instskip(NEXT) | instid1(VALU_DEP_1)
	v_cmp_ne_u32_e64 s1, 0x7f800000, v2
	s_and_saveexec_b32 s10, s1
	s_delay_alu instid0(SALU_CYCLE_1)
	s_xor_b32 s1, exec_lo, s10
; %bb.181:                              ;   in Loop: Header=BB174_36 Depth=1
	v_bfe_u32 v2, v1, 16, 1
	s_delay_alu instid0(VALU_DEP_1)
	v_add3_u32 v64, v1, v2, 0x7fff
                                        ; implicit-def: $vgpr1
; %bb.182:                              ;   in Loop: Header=BB174_36 Depth=1
	s_and_not1_saveexec_b32 s10, s1
; %bb.183:                              ;   in Loop: Header=BB174_36 Depth=1
	v_and_b32_e32 v2, 0xffff, v1
	v_or_b32_e32 v64, 0x10000, v1
	s_delay_alu instid0(VALU_DEP_2) | instskip(NEXT) | instid1(VALU_DEP_1)
	v_cmp_eq_u32_e64 s1, 0, v2
	v_cndmask_b32_e64 v64, v64, v1, s1
; %bb.184:                              ;   in Loop: Header=BB174_36 Depth=1
	s_or_b32 exec_lo, exec_lo, s10
	v_lshlrev_b32_e32 v1, 16, v65
                                        ; implicit-def: $vgpr65
	s_delay_alu instid0(VALU_DEP_1) | instskip(NEXT) | instid1(VALU_DEP_1)
	v_mul_f32_e32 v1, v41, v1
	v_and_b32_e32 v2, 0x7f800000, v1
	s_delay_alu instid0(VALU_DEP_1) | instskip(NEXT) | instid1(VALU_DEP_1)
	v_cmp_ne_u32_e64 s1, 0x7f800000, v2
	s_and_saveexec_b32 s10, s1
	s_delay_alu instid0(SALU_CYCLE_1)
	s_xor_b32 s1, exec_lo, s10
; %bb.185:                              ;   in Loop: Header=BB174_36 Depth=1
	v_bfe_u32 v2, v1, 16, 1
	s_delay_alu instid0(VALU_DEP_1)
	v_add3_u32 v65, v1, v2, 0x7fff
                                        ; implicit-def: $vgpr1
; %bb.186:                              ;   in Loop: Header=BB174_36 Depth=1
	s_and_not1_saveexec_b32 s10, s1
; %bb.187:                              ;   in Loop: Header=BB174_36 Depth=1
	v_and_b32_e32 v2, 0xffff, v1
	v_or_b32_e32 v65, 0x10000, v1
	s_delay_alu instid0(VALU_DEP_2) | instskip(NEXT) | instid1(VALU_DEP_1)
	v_cmp_eq_u32_e64 s1, 0, v2
	v_cndmask_b32_e64 v65, v65, v1, s1
; %bb.188:                              ;   in Loop: Header=BB174_36 Depth=1
	s_or_b32 exec_lo, exec_lo, s10
	v_lshlrev_b32_e32 v1, 16, v3
                                        ; implicit-def: $vgpr66
	s_delay_alu instid0(VALU_DEP_1) | instskip(NEXT) | instid1(VALU_DEP_1)
	v_mul_f32_e32 v1, v42, v1
	v_and_b32_e32 v2, 0x7f800000, v1
	s_delay_alu instid0(VALU_DEP_1) | instskip(NEXT) | instid1(VALU_DEP_1)
	v_cmp_ne_u32_e64 s1, 0x7f800000, v2
	s_and_saveexec_b32 s10, s1
	s_delay_alu instid0(SALU_CYCLE_1)
	s_xor_b32 s1, exec_lo, s10
; %bb.189:                              ;   in Loop: Header=BB174_36 Depth=1
	v_bfe_u32 v2, v1, 16, 1
	s_delay_alu instid0(VALU_DEP_1)
	v_add3_u32 v66, v1, v2, 0x7fff
                                        ; implicit-def: $vgpr1
; %bb.190:                              ;   in Loop: Header=BB174_36 Depth=1
	s_and_not1_saveexec_b32 s10, s1
; %bb.191:                              ;   in Loop: Header=BB174_36 Depth=1
	v_and_b32_e32 v2, 0xffff, v1
	v_or_b32_e32 v3, 0x10000, v1
	s_delay_alu instid0(VALU_DEP_2) | instskip(NEXT) | instid1(VALU_DEP_1)
	v_cmp_eq_u32_e64 s1, 0, v2
	v_cndmask_b32_e64 v66, v3, v1, s1
; %bb.192:                              ;   in Loop: Header=BB174_36 Depth=1
	s_or_b32 exec_lo, exec_lo, s10
	v_lshlrev_b32_e32 v1, 16, v67
                                        ; implicit-def: $vgpr67
	s_delay_alu instid0(VALU_DEP_1) | instskip(NEXT) | instid1(VALU_DEP_1)
	v_mul_f32_e32 v1, v43, v1
	v_and_b32_e32 v2, 0x7f800000, v1
	s_delay_alu instid0(VALU_DEP_1) | instskip(NEXT) | instid1(VALU_DEP_1)
	v_cmp_ne_u32_e64 s1, 0x7f800000, v2
	s_and_saveexec_b32 s10, s1
	s_delay_alu instid0(SALU_CYCLE_1)
	s_xor_b32 s1, exec_lo, s10
; %bb.193:                              ;   in Loop: Header=BB174_36 Depth=1
	v_bfe_u32 v2, v1, 16, 1
	s_delay_alu instid0(VALU_DEP_1)
	v_add3_u32 v67, v1, v2, 0x7fff
                                        ; implicit-def: $vgpr1
; %bb.194:                              ;   in Loop: Header=BB174_36 Depth=1
	s_and_not1_saveexec_b32 s10, s1
; %bb.195:                              ;   in Loop: Header=BB174_36 Depth=1
	v_and_b32_e32 v2, 0xffff, v1
	v_or_b32_e32 v3, 0x10000, v1
	s_delay_alu instid0(VALU_DEP_2) | instskip(NEXT) | instid1(VALU_DEP_1)
	v_cmp_eq_u32_e64 s1, 0, v2
	v_cndmask_b32_e64 v67, v3, v1, s1
; %bb.196:                              ;   in Loop: Header=BB174_36 Depth=1
	s_or_b32 exec_lo, exec_lo, s10
	v_lshlrev_b32_e32 v1, 16, v4
                                        ; implicit-def: $vgpr68
	s_delay_alu instid0(VALU_DEP_1) | instskip(NEXT) | instid1(VALU_DEP_1)
	v_mul_f32_e32 v1, v44, v1
	v_and_b32_e32 v2, 0x7f800000, v1
	s_delay_alu instid0(VALU_DEP_1) | instskip(NEXT) | instid1(VALU_DEP_1)
	v_cmp_ne_u32_e64 s1, 0x7f800000, v2
	s_and_saveexec_b32 s10, s1
	s_delay_alu instid0(SALU_CYCLE_1)
	s_xor_b32 s1, exec_lo, s10
; %bb.197:                              ;   in Loop: Header=BB174_36 Depth=1
	v_bfe_u32 v2, v1, 16, 1
	s_delay_alu instid0(VALU_DEP_1)
	v_add3_u32 v68, v1, v2, 0x7fff
                                        ; implicit-def: $vgpr1
; %bb.198:                              ;   in Loop: Header=BB174_36 Depth=1
	s_and_not1_saveexec_b32 s10, s1
; %bb.199:                              ;   in Loop: Header=BB174_36 Depth=1
	v_and_b32_e32 v2, 0xffff, v1
	v_or_b32_e32 v3, 0x10000, v1
	s_delay_alu instid0(VALU_DEP_2) | instskip(NEXT) | instid1(VALU_DEP_1)
	v_cmp_eq_u32_e64 s1, 0, v2
	v_cndmask_b32_e64 v68, v3, v1, s1
; %bb.200:                              ;   in Loop: Header=BB174_36 Depth=1
	s_or_b32 exec_lo, exec_lo, s10
	v_lshlrev_b32_e32 v1, 16, v69
                                        ; implicit-def: $vgpr69
	s_delay_alu instid0(VALU_DEP_1) | instskip(NEXT) | instid1(VALU_DEP_1)
	v_mul_f32_e32 v1, v45, v1
	v_and_b32_e32 v2, 0x7f800000, v1
	s_delay_alu instid0(VALU_DEP_1) | instskip(NEXT) | instid1(VALU_DEP_1)
	v_cmp_ne_u32_e64 s1, 0x7f800000, v2
	s_and_saveexec_b32 s10, s1
	s_delay_alu instid0(SALU_CYCLE_1)
	s_xor_b32 s1, exec_lo, s10
; %bb.201:                              ;   in Loop: Header=BB174_36 Depth=1
	v_bfe_u32 v2, v1, 16, 1
	s_delay_alu instid0(VALU_DEP_1)
	v_add3_u32 v69, v1, v2, 0x7fff
                                        ; implicit-def: $vgpr1
; %bb.202:                              ;   in Loop: Header=BB174_36 Depth=1
	s_and_not1_saveexec_b32 s10, s1
; %bb.203:                              ;   in Loop: Header=BB174_36 Depth=1
	v_and_b32_e32 v2, 0xffff, v1
	v_or_b32_e32 v3, 0x10000, v1
	s_delay_alu instid0(VALU_DEP_2) | instskip(NEXT) | instid1(VALU_DEP_1)
	v_cmp_eq_u32_e64 s1, 0, v2
	v_cndmask_b32_e64 v69, v3, v1, s1
; %bb.204:                              ;   in Loop: Header=BB174_36 Depth=1
	s_or_b32 exec_lo, exec_lo, s10
	global_load_b128 v[1:4], v[5:6], off offset:2048
	s_waitcnt vmcnt(0)
	v_lshrrev_b32_e32 v71, 16, v1
	v_lshrrev_b32_e32 v73, 16, v2
	;; [unrolled: 1-line block ×4, first 2 shown]
	s_and_saveexec_b32 s10, s0
	s_cbranch_execz .LBB174_206
; %bb.205:                              ;   in Loop: Header=BB174_36 Depth=1
	v_add_nc_u32_e32 v70, -6, v25
	v_cmp_gt_i32_e64 s1, s15, v35
	v_add_nc_u32_e32 v72, -5, v25
	v_add_nc_u32_e32 v74, -2, v25
	s_delay_alu instid0(VALU_DEP_3) | instskip(SKIP_2) | instid1(VALU_DEP_2)
	v_cndmask_b32_e64 v1, 0, v1, s1
	v_cmp_gt_i32_e64 s1, s15, v70
	v_add_nc_u32_e32 v70, -4, v25
	v_cndmask_b32_e64 v71, 0, v71, s1
	v_cmp_gt_i32_e64 s1, s15, v72
	v_add_nc_u32_e32 v72, -3, v25
	s_delay_alu instid0(VALU_DEP_2) | instskip(SKIP_2) | instid1(VALU_DEP_2)
	v_cndmask_b32_e64 v2, 0, v2, s1
	v_cmp_gt_i32_e64 s1, s15, v70
	v_add_nc_u32_e32 v70, -1, v25
	v_cndmask_b32_e64 v73, 0, v73, s1
	v_cmp_gt_i32_e64 s1, s15, v72
	s_delay_alu instid0(VALU_DEP_1) | instskip(SKIP_1) | instid1(VALU_DEP_1)
	v_cndmask_b32_e64 v3, 0, v3, s1
	v_cmp_gt_i32_e64 s1, s15, v74
	v_cndmask_b32_e64 v75, 0, v75, s1
	v_cmp_gt_i32_e64 s1, s15, v70
	s_delay_alu instid0(VALU_DEP_1) | instskip(SKIP_1) | instid1(VALU_DEP_1)
	v_cndmask_b32_e64 v4, 0, v4, s1
	v_cmp_gt_i32_e64 s1, s15, v25
	v_cndmask_b32_e64 v77, 0, v77, s1
.LBB174_206:                            ;   in Loop: Header=BB174_36 Depth=1
	s_or_b32 exec_lo, exec_lo, s10
	v_lshlrev_b32_e32 v1, 16, v1
	s_delay_alu instid0(VALU_DEP_1) | instskip(NEXT) | instid1(VALU_DEP_1)
	v_mul_f32_e32 v1, v38, v1
	v_and_b32_e32 v70, 0x7f800000, v1
	s_delay_alu instid0(VALU_DEP_1) | instskip(NEXT) | instid1(VALU_DEP_1)
	v_cmp_ne_u32_e64 s1, 0x7f800000, v70
                                        ; implicit-def: $vgpr70
	s_and_saveexec_b32 s10, s1
	s_delay_alu instid0(SALU_CYCLE_1)
	s_xor_b32 s1, exec_lo, s10
; %bb.207:                              ;   in Loop: Header=BB174_36 Depth=1
	v_bfe_u32 v70, v1, 16, 1
	s_delay_alu instid0(VALU_DEP_1)
	v_add3_u32 v70, v1, v70, 0x7fff
                                        ; implicit-def: $vgpr1
; %bb.208:                              ;   in Loop: Header=BB174_36 Depth=1
	s_and_not1_saveexec_b32 s10, s1
; %bb.209:                              ;   in Loop: Header=BB174_36 Depth=1
	v_and_b32_e32 v70, 0xffff, v1
	v_or_b32_e32 v72, 0x10000, v1
	s_delay_alu instid0(VALU_DEP_2) | instskip(NEXT) | instid1(VALU_DEP_1)
	v_cmp_eq_u32_e64 s1, 0, v70
	v_cndmask_b32_e64 v70, v72, v1, s1
; %bb.210:                              ;   in Loop: Header=BB174_36 Depth=1
	s_or_b32 exec_lo, exec_lo, s10
	v_lshlrev_b32_e32 v1, 16, v71
	s_delay_alu instid0(VALU_DEP_1) | instskip(NEXT) | instid1(VALU_DEP_1)
	v_mul_f32_e32 v1, v39, v1
	v_and_b32_e32 v71, 0x7f800000, v1
	s_delay_alu instid0(VALU_DEP_1) | instskip(NEXT) | instid1(VALU_DEP_1)
	v_cmp_ne_u32_e64 s1, 0x7f800000, v71
                                        ; implicit-def: $vgpr71
	s_and_saveexec_b32 s10, s1
	s_delay_alu instid0(SALU_CYCLE_1)
	s_xor_b32 s1, exec_lo, s10
; %bb.211:                              ;   in Loop: Header=BB174_36 Depth=1
	v_bfe_u32 v71, v1, 16, 1
	s_delay_alu instid0(VALU_DEP_1)
	v_add3_u32 v71, v1, v71, 0x7fff
                                        ; implicit-def: $vgpr1
; %bb.212:                              ;   in Loop: Header=BB174_36 Depth=1
	s_and_not1_saveexec_b32 s10, s1
; %bb.213:                              ;   in Loop: Header=BB174_36 Depth=1
	v_and_b32_e32 v71, 0xffff, v1
	v_or_b32_e32 v72, 0x10000, v1
	s_delay_alu instid0(VALU_DEP_2) | instskip(NEXT) | instid1(VALU_DEP_1)
	v_cmp_eq_u32_e64 s1, 0, v71
	v_cndmask_b32_e64 v71, v72, v1, s1
; %bb.214:                              ;   in Loop: Header=BB174_36 Depth=1
	s_or_b32 exec_lo, exec_lo, s10
	v_lshlrev_b32_e32 v1, 16, v2
                                        ; implicit-def: $vgpr72
	s_delay_alu instid0(VALU_DEP_1) | instskip(NEXT) | instid1(VALU_DEP_1)
	v_mul_f32_e32 v1, v40, v1
	v_and_b32_e32 v2, 0x7f800000, v1
	s_delay_alu instid0(VALU_DEP_1) | instskip(NEXT) | instid1(VALU_DEP_1)
	v_cmp_ne_u32_e64 s1, 0x7f800000, v2
	s_and_saveexec_b32 s10, s1
	s_delay_alu instid0(SALU_CYCLE_1)
	s_xor_b32 s1, exec_lo, s10
; %bb.215:                              ;   in Loop: Header=BB174_36 Depth=1
	v_bfe_u32 v2, v1, 16, 1
	s_delay_alu instid0(VALU_DEP_1)
	v_add3_u32 v72, v1, v2, 0x7fff
                                        ; implicit-def: $vgpr1
; %bb.216:                              ;   in Loop: Header=BB174_36 Depth=1
	s_and_not1_saveexec_b32 s10, s1
; %bb.217:                              ;   in Loop: Header=BB174_36 Depth=1
	v_and_b32_e32 v2, 0xffff, v1
	v_or_b32_e32 v72, 0x10000, v1
	s_delay_alu instid0(VALU_DEP_2) | instskip(NEXT) | instid1(VALU_DEP_1)
	v_cmp_eq_u32_e64 s1, 0, v2
	v_cndmask_b32_e64 v72, v72, v1, s1
; %bb.218:                              ;   in Loop: Header=BB174_36 Depth=1
	s_or_b32 exec_lo, exec_lo, s10
	v_lshlrev_b32_e32 v1, 16, v73
                                        ; implicit-def: $vgpr73
	s_delay_alu instid0(VALU_DEP_1) | instskip(NEXT) | instid1(VALU_DEP_1)
	v_mul_f32_e32 v1, v41, v1
	v_and_b32_e32 v2, 0x7f800000, v1
	s_delay_alu instid0(VALU_DEP_1) | instskip(NEXT) | instid1(VALU_DEP_1)
	v_cmp_ne_u32_e64 s1, 0x7f800000, v2
	s_and_saveexec_b32 s10, s1
	s_delay_alu instid0(SALU_CYCLE_1)
	s_xor_b32 s1, exec_lo, s10
; %bb.219:                              ;   in Loop: Header=BB174_36 Depth=1
	v_bfe_u32 v2, v1, 16, 1
	s_delay_alu instid0(VALU_DEP_1)
	v_add3_u32 v73, v1, v2, 0x7fff
                                        ; implicit-def: $vgpr1
; %bb.220:                              ;   in Loop: Header=BB174_36 Depth=1
	s_and_not1_saveexec_b32 s10, s1
; %bb.221:                              ;   in Loop: Header=BB174_36 Depth=1
	v_and_b32_e32 v2, 0xffff, v1
	v_or_b32_e32 v73, 0x10000, v1
	s_delay_alu instid0(VALU_DEP_2) | instskip(NEXT) | instid1(VALU_DEP_1)
	v_cmp_eq_u32_e64 s1, 0, v2
	v_cndmask_b32_e64 v73, v73, v1, s1
; %bb.222:                              ;   in Loop: Header=BB174_36 Depth=1
	s_or_b32 exec_lo, exec_lo, s10
	v_lshlrev_b32_e32 v1, 16, v3
                                        ; implicit-def: $vgpr74
	s_delay_alu instid0(VALU_DEP_1) | instskip(NEXT) | instid1(VALU_DEP_1)
	v_mul_f32_e32 v1, v42, v1
	v_and_b32_e32 v2, 0x7f800000, v1
	s_delay_alu instid0(VALU_DEP_1) | instskip(NEXT) | instid1(VALU_DEP_1)
	v_cmp_ne_u32_e64 s1, 0x7f800000, v2
	s_and_saveexec_b32 s10, s1
	s_delay_alu instid0(SALU_CYCLE_1)
	s_xor_b32 s1, exec_lo, s10
; %bb.223:                              ;   in Loop: Header=BB174_36 Depth=1
	v_bfe_u32 v2, v1, 16, 1
	s_delay_alu instid0(VALU_DEP_1)
	v_add3_u32 v74, v1, v2, 0x7fff
                                        ; implicit-def: $vgpr1
; %bb.224:                              ;   in Loop: Header=BB174_36 Depth=1
	s_and_not1_saveexec_b32 s10, s1
; %bb.225:                              ;   in Loop: Header=BB174_36 Depth=1
	v_and_b32_e32 v2, 0xffff, v1
	v_or_b32_e32 v3, 0x10000, v1
	s_delay_alu instid0(VALU_DEP_2) | instskip(NEXT) | instid1(VALU_DEP_1)
	v_cmp_eq_u32_e64 s1, 0, v2
	v_cndmask_b32_e64 v74, v3, v1, s1
; %bb.226:                              ;   in Loop: Header=BB174_36 Depth=1
	s_or_b32 exec_lo, exec_lo, s10
	v_lshlrev_b32_e32 v1, 16, v75
                                        ; implicit-def: $vgpr75
	s_delay_alu instid0(VALU_DEP_1) | instskip(NEXT) | instid1(VALU_DEP_1)
	v_mul_f32_e32 v1, v43, v1
	v_and_b32_e32 v2, 0x7f800000, v1
	s_delay_alu instid0(VALU_DEP_1) | instskip(NEXT) | instid1(VALU_DEP_1)
	v_cmp_ne_u32_e64 s1, 0x7f800000, v2
	s_and_saveexec_b32 s10, s1
	s_delay_alu instid0(SALU_CYCLE_1)
	s_xor_b32 s1, exec_lo, s10
; %bb.227:                              ;   in Loop: Header=BB174_36 Depth=1
	v_bfe_u32 v2, v1, 16, 1
	s_delay_alu instid0(VALU_DEP_1)
	v_add3_u32 v75, v1, v2, 0x7fff
                                        ; implicit-def: $vgpr1
; %bb.228:                              ;   in Loop: Header=BB174_36 Depth=1
	s_and_not1_saveexec_b32 s10, s1
; %bb.229:                              ;   in Loop: Header=BB174_36 Depth=1
	v_and_b32_e32 v2, 0xffff, v1
	v_or_b32_e32 v3, 0x10000, v1
	s_delay_alu instid0(VALU_DEP_2) | instskip(NEXT) | instid1(VALU_DEP_1)
	v_cmp_eq_u32_e64 s1, 0, v2
	v_cndmask_b32_e64 v75, v3, v1, s1
; %bb.230:                              ;   in Loop: Header=BB174_36 Depth=1
	s_or_b32 exec_lo, exec_lo, s10
	v_lshlrev_b32_e32 v1, 16, v4
                                        ; implicit-def: $vgpr76
	s_delay_alu instid0(VALU_DEP_1) | instskip(NEXT) | instid1(VALU_DEP_1)
	v_mul_f32_e32 v1, v44, v1
	v_and_b32_e32 v2, 0x7f800000, v1
	s_delay_alu instid0(VALU_DEP_1) | instskip(NEXT) | instid1(VALU_DEP_1)
	v_cmp_ne_u32_e64 s1, 0x7f800000, v2
	s_and_saveexec_b32 s10, s1
	s_delay_alu instid0(SALU_CYCLE_1)
	s_xor_b32 s1, exec_lo, s10
; %bb.231:                              ;   in Loop: Header=BB174_36 Depth=1
	v_bfe_u32 v2, v1, 16, 1
	s_delay_alu instid0(VALU_DEP_1)
	v_add3_u32 v76, v1, v2, 0x7fff
                                        ; implicit-def: $vgpr1
; %bb.232:                              ;   in Loop: Header=BB174_36 Depth=1
	s_and_not1_saveexec_b32 s10, s1
; %bb.233:                              ;   in Loop: Header=BB174_36 Depth=1
	v_and_b32_e32 v2, 0xffff, v1
	v_or_b32_e32 v3, 0x10000, v1
	s_delay_alu instid0(VALU_DEP_2) | instskip(NEXT) | instid1(VALU_DEP_1)
	v_cmp_eq_u32_e64 s1, 0, v2
	v_cndmask_b32_e64 v76, v3, v1, s1
; %bb.234:                              ;   in Loop: Header=BB174_36 Depth=1
	s_or_b32 exec_lo, exec_lo, s10
	v_lshlrev_b32_e32 v1, 16, v77
                                        ; implicit-def: $vgpr77
	s_delay_alu instid0(VALU_DEP_1) | instskip(NEXT) | instid1(VALU_DEP_1)
	v_mul_f32_e32 v1, v45, v1
	v_and_b32_e32 v2, 0x7f800000, v1
	s_delay_alu instid0(VALU_DEP_1) | instskip(NEXT) | instid1(VALU_DEP_1)
	v_cmp_ne_u32_e64 s1, 0x7f800000, v2
	s_and_saveexec_b32 s10, s1
	s_delay_alu instid0(SALU_CYCLE_1)
	s_xor_b32 s1, exec_lo, s10
; %bb.235:                              ;   in Loop: Header=BB174_36 Depth=1
	v_bfe_u32 v2, v1, 16, 1
	s_delay_alu instid0(VALU_DEP_1)
	v_add3_u32 v77, v1, v2, 0x7fff
                                        ; implicit-def: $vgpr1
; %bb.236:                              ;   in Loop: Header=BB174_36 Depth=1
	s_and_not1_saveexec_b32 s10, s1
; %bb.237:                              ;   in Loop: Header=BB174_36 Depth=1
	v_and_b32_e32 v2, 0xffff, v1
	v_or_b32_e32 v3, 0x10000, v1
	s_delay_alu instid0(VALU_DEP_2) | instskip(NEXT) | instid1(VALU_DEP_1)
	v_cmp_eq_u32_e64 s1, 0, v2
	v_cndmask_b32_e64 v77, v3, v1, s1
; %bb.238:                              ;   in Loop: Header=BB174_36 Depth=1
	s_or_b32 exec_lo, exec_lo, s10
	global_load_b128 v[1:4], v[5:6], off offset:2560
	s_waitcnt vmcnt(0)
	v_lshrrev_b32_e32 v79, 16, v1
	v_lshrrev_b32_e32 v81, 16, v2
	;; [unrolled: 1-line block ×4, first 2 shown]
	s_and_saveexec_b32 s10, s0
	s_cbranch_execz .LBB174_240
; %bb.239:                              ;   in Loop: Header=BB174_36 Depth=1
	v_add_nc_u32_e32 v78, -6, v25
	v_cmp_gt_i32_e64 s1, s15, v35
	v_add_nc_u32_e32 v80, -5, v25
	v_add_nc_u32_e32 v82, -2, v25
	s_delay_alu instid0(VALU_DEP_3) | instskip(SKIP_2) | instid1(VALU_DEP_2)
	v_cndmask_b32_e64 v1, 0, v1, s1
	v_cmp_gt_i32_e64 s1, s15, v78
	v_add_nc_u32_e32 v78, -4, v25
	v_cndmask_b32_e64 v79, 0, v79, s1
	v_cmp_gt_i32_e64 s1, s15, v80
	v_add_nc_u32_e32 v80, -3, v25
	s_delay_alu instid0(VALU_DEP_2) | instskip(SKIP_2) | instid1(VALU_DEP_2)
	v_cndmask_b32_e64 v2, 0, v2, s1
	v_cmp_gt_i32_e64 s1, s15, v78
	v_add_nc_u32_e32 v78, -1, v25
	v_cndmask_b32_e64 v81, 0, v81, s1
	v_cmp_gt_i32_e64 s1, s15, v80
	s_delay_alu instid0(VALU_DEP_1) | instskip(SKIP_1) | instid1(VALU_DEP_1)
	v_cndmask_b32_e64 v3, 0, v3, s1
	v_cmp_gt_i32_e64 s1, s15, v82
	v_cndmask_b32_e64 v83, 0, v83, s1
	v_cmp_gt_i32_e64 s1, s15, v78
	s_delay_alu instid0(VALU_DEP_1) | instskip(SKIP_1) | instid1(VALU_DEP_1)
	v_cndmask_b32_e64 v4, 0, v4, s1
	v_cmp_gt_i32_e64 s1, s15, v25
	v_cndmask_b32_e64 v85, 0, v85, s1
.LBB174_240:                            ;   in Loop: Header=BB174_36 Depth=1
	s_or_b32 exec_lo, exec_lo, s10
	v_lshlrev_b32_e32 v1, 16, v1
	s_delay_alu instid0(VALU_DEP_1) | instskip(NEXT) | instid1(VALU_DEP_1)
	v_mul_f32_e32 v1, v38, v1
	v_and_b32_e32 v78, 0x7f800000, v1
	s_delay_alu instid0(VALU_DEP_1) | instskip(NEXT) | instid1(VALU_DEP_1)
	v_cmp_ne_u32_e64 s1, 0x7f800000, v78
                                        ; implicit-def: $vgpr78
	s_and_saveexec_b32 s10, s1
	s_delay_alu instid0(SALU_CYCLE_1)
	s_xor_b32 s1, exec_lo, s10
; %bb.241:                              ;   in Loop: Header=BB174_36 Depth=1
	v_bfe_u32 v78, v1, 16, 1
	s_delay_alu instid0(VALU_DEP_1)
	v_add3_u32 v78, v1, v78, 0x7fff
                                        ; implicit-def: $vgpr1
; %bb.242:                              ;   in Loop: Header=BB174_36 Depth=1
	s_and_not1_saveexec_b32 s10, s1
; %bb.243:                              ;   in Loop: Header=BB174_36 Depth=1
	v_and_b32_e32 v78, 0xffff, v1
	v_or_b32_e32 v80, 0x10000, v1
	s_delay_alu instid0(VALU_DEP_2) | instskip(NEXT) | instid1(VALU_DEP_1)
	v_cmp_eq_u32_e64 s1, 0, v78
	v_cndmask_b32_e64 v78, v80, v1, s1
; %bb.244:                              ;   in Loop: Header=BB174_36 Depth=1
	s_or_b32 exec_lo, exec_lo, s10
	v_lshlrev_b32_e32 v1, 16, v79
	s_delay_alu instid0(VALU_DEP_1) | instskip(NEXT) | instid1(VALU_DEP_1)
	v_mul_f32_e32 v1, v39, v1
	v_and_b32_e32 v79, 0x7f800000, v1
	s_delay_alu instid0(VALU_DEP_1) | instskip(NEXT) | instid1(VALU_DEP_1)
	v_cmp_ne_u32_e64 s1, 0x7f800000, v79
                                        ; implicit-def: $vgpr79
	s_and_saveexec_b32 s10, s1
	s_delay_alu instid0(SALU_CYCLE_1)
	s_xor_b32 s1, exec_lo, s10
; %bb.245:                              ;   in Loop: Header=BB174_36 Depth=1
	v_bfe_u32 v79, v1, 16, 1
	s_delay_alu instid0(VALU_DEP_1)
	v_add3_u32 v79, v1, v79, 0x7fff
                                        ; implicit-def: $vgpr1
; %bb.246:                              ;   in Loop: Header=BB174_36 Depth=1
	s_and_not1_saveexec_b32 s10, s1
; %bb.247:                              ;   in Loop: Header=BB174_36 Depth=1
	v_and_b32_e32 v79, 0xffff, v1
	v_or_b32_e32 v80, 0x10000, v1
	s_delay_alu instid0(VALU_DEP_2) | instskip(NEXT) | instid1(VALU_DEP_1)
	v_cmp_eq_u32_e64 s1, 0, v79
	v_cndmask_b32_e64 v79, v80, v1, s1
; %bb.248:                              ;   in Loop: Header=BB174_36 Depth=1
	s_or_b32 exec_lo, exec_lo, s10
	v_lshlrev_b32_e32 v1, 16, v2
                                        ; implicit-def: $vgpr80
	s_delay_alu instid0(VALU_DEP_1) | instskip(NEXT) | instid1(VALU_DEP_1)
	v_mul_f32_e32 v1, v40, v1
	v_and_b32_e32 v2, 0x7f800000, v1
	s_delay_alu instid0(VALU_DEP_1) | instskip(NEXT) | instid1(VALU_DEP_1)
	v_cmp_ne_u32_e64 s1, 0x7f800000, v2
	s_and_saveexec_b32 s10, s1
	s_delay_alu instid0(SALU_CYCLE_1)
	s_xor_b32 s1, exec_lo, s10
; %bb.249:                              ;   in Loop: Header=BB174_36 Depth=1
	v_bfe_u32 v2, v1, 16, 1
	s_delay_alu instid0(VALU_DEP_1)
	v_add3_u32 v80, v1, v2, 0x7fff
                                        ; implicit-def: $vgpr1
; %bb.250:                              ;   in Loop: Header=BB174_36 Depth=1
	s_and_not1_saveexec_b32 s10, s1
; %bb.251:                              ;   in Loop: Header=BB174_36 Depth=1
	v_and_b32_e32 v2, 0xffff, v1
	v_or_b32_e32 v80, 0x10000, v1
	s_delay_alu instid0(VALU_DEP_2) | instskip(NEXT) | instid1(VALU_DEP_1)
	v_cmp_eq_u32_e64 s1, 0, v2
	v_cndmask_b32_e64 v80, v80, v1, s1
; %bb.252:                              ;   in Loop: Header=BB174_36 Depth=1
	s_or_b32 exec_lo, exec_lo, s10
	v_lshlrev_b32_e32 v1, 16, v81
                                        ; implicit-def: $vgpr81
	s_delay_alu instid0(VALU_DEP_1) | instskip(NEXT) | instid1(VALU_DEP_1)
	v_mul_f32_e32 v1, v41, v1
	v_and_b32_e32 v2, 0x7f800000, v1
	s_delay_alu instid0(VALU_DEP_1) | instskip(NEXT) | instid1(VALU_DEP_1)
	v_cmp_ne_u32_e64 s1, 0x7f800000, v2
	s_and_saveexec_b32 s10, s1
	s_delay_alu instid0(SALU_CYCLE_1)
	s_xor_b32 s1, exec_lo, s10
; %bb.253:                              ;   in Loop: Header=BB174_36 Depth=1
	v_bfe_u32 v2, v1, 16, 1
	s_delay_alu instid0(VALU_DEP_1)
	v_add3_u32 v81, v1, v2, 0x7fff
                                        ; implicit-def: $vgpr1
; %bb.254:                              ;   in Loop: Header=BB174_36 Depth=1
	s_and_not1_saveexec_b32 s10, s1
; %bb.255:                              ;   in Loop: Header=BB174_36 Depth=1
	v_and_b32_e32 v2, 0xffff, v1
	v_or_b32_e32 v81, 0x10000, v1
	s_delay_alu instid0(VALU_DEP_2) | instskip(NEXT) | instid1(VALU_DEP_1)
	v_cmp_eq_u32_e64 s1, 0, v2
	v_cndmask_b32_e64 v81, v81, v1, s1
; %bb.256:                              ;   in Loop: Header=BB174_36 Depth=1
	s_or_b32 exec_lo, exec_lo, s10
	v_lshlrev_b32_e32 v1, 16, v3
                                        ; implicit-def: $vgpr82
	s_delay_alu instid0(VALU_DEP_1) | instskip(NEXT) | instid1(VALU_DEP_1)
	v_mul_f32_e32 v1, v42, v1
	v_and_b32_e32 v2, 0x7f800000, v1
	s_delay_alu instid0(VALU_DEP_1) | instskip(NEXT) | instid1(VALU_DEP_1)
	v_cmp_ne_u32_e64 s1, 0x7f800000, v2
	s_and_saveexec_b32 s10, s1
	s_delay_alu instid0(SALU_CYCLE_1)
	s_xor_b32 s1, exec_lo, s10
; %bb.257:                              ;   in Loop: Header=BB174_36 Depth=1
	v_bfe_u32 v2, v1, 16, 1
	s_delay_alu instid0(VALU_DEP_1)
	v_add3_u32 v82, v1, v2, 0x7fff
                                        ; implicit-def: $vgpr1
; %bb.258:                              ;   in Loop: Header=BB174_36 Depth=1
	s_and_not1_saveexec_b32 s10, s1
; %bb.259:                              ;   in Loop: Header=BB174_36 Depth=1
	v_and_b32_e32 v2, 0xffff, v1
	v_or_b32_e32 v3, 0x10000, v1
	s_delay_alu instid0(VALU_DEP_2) | instskip(NEXT) | instid1(VALU_DEP_1)
	v_cmp_eq_u32_e64 s1, 0, v2
	v_cndmask_b32_e64 v82, v3, v1, s1
; %bb.260:                              ;   in Loop: Header=BB174_36 Depth=1
	s_or_b32 exec_lo, exec_lo, s10
	v_lshlrev_b32_e32 v1, 16, v83
                                        ; implicit-def: $vgpr83
	s_delay_alu instid0(VALU_DEP_1) | instskip(NEXT) | instid1(VALU_DEP_1)
	v_mul_f32_e32 v1, v43, v1
	v_and_b32_e32 v2, 0x7f800000, v1
	s_delay_alu instid0(VALU_DEP_1) | instskip(NEXT) | instid1(VALU_DEP_1)
	v_cmp_ne_u32_e64 s1, 0x7f800000, v2
	s_and_saveexec_b32 s10, s1
	s_delay_alu instid0(SALU_CYCLE_1)
	s_xor_b32 s1, exec_lo, s10
; %bb.261:                              ;   in Loop: Header=BB174_36 Depth=1
	v_bfe_u32 v2, v1, 16, 1
	s_delay_alu instid0(VALU_DEP_1)
	v_add3_u32 v83, v1, v2, 0x7fff
                                        ; implicit-def: $vgpr1
; %bb.262:                              ;   in Loop: Header=BB174_36 Depth=1
	s_and_not1_saveexec_b32 s10, s1
; %bb.263:                              ;   in Loop: Header=BB174_36 Depth=1
	v_and_b32_e32 v2, 0xffff, v1
	v_or_b32_e32 v3, 0x10000, v1
	s_delay_alu instid0(VALU_DEP_2) | instskip(NEXT) | instid1(VALU_DEP_1)
	v_cmp_eq_u32_e64 s1, 0, v2
	v_cndmask_b32_e64 v83, v3, v1, s1
; %bb.264:                              ;   in Loop: Header=BB174_36 Depth=1
	s_or_b32 exec_lo, exec_lo, s10
	v_lshlrev_b32_e32 v1, 16, v4
                                        ; implicit-def: $vgpr84
	s_delay_alu instid0(VALU_DEP_1) | instskip(NEXT) | instid1(VALU_DEP_1)
	v_mul_f32_e32 v1, v44, v1
	v_and_b32_e32 v2, 0x7f800000, v1
	s_delay_alu instid0(VALU_DEP_1) | instskip(NEXT) | instid1(VALU_DEP_1)
	v_cmp_ne_u32_e64 s1, 0x7f800000, v2
	s_and_saveexec_b32 s10, s1
	s_delay_alu instid0(SALU_CYCLE_1)
	s_xor_b32 s1, exec_lo, s10
; %bb.265:                              ;   in Loop: Header=BB174_36 Depth=1
	v_bfe_u32 v2, v1, 16, 1
	s_delay_alu instid0(VALU_DEP_1)
	v_add3_u32 v84, v1, v2, 0x7fff
                                        ; implicit-def: $vgpr1
; %bb.266:                              ;   in Loop: Header=BB174_36 Depth=1
	s_and_not1_saveexec_b32 s10, s1
; %bb.267:                              ;   in Loop: Header=BB174_36 Depth=1
	v_and_b32_e32 v2, 0xffff, v1
	v_or_b32_e32 v3, 0x10000, v1
	s_delay_alu instid0(VALU_DEP_2) | instskip(NEXT) | instid1(VALU_DEP_1)
	v_cmp_eq_u32_e64 s1, 0, v2
	v_cndmask_b32_e64 v84, v3, v1, s1
; %bb.268:                              ;   in Loop: Header=BB174_36 Depth=1
	s_or_b32 exec_lo, exec_lo, s10
	v_lshlrev_b32_e32 v1, 16, v85
                                        ; implicit-def: $vgpr85
	s_delay_alu instid0(VALU_DEP_1) | instskip(NEXT) | instid1(VALU_DEP_1)
	v_mul_f32_e32 v1, v45, v1
	v_and_b32_e32 v2, 0x7f800000, v1
	s_delay_alu instid0(VALU_DEP_1) | instskip(NEXT) | instid1(VALU_DEP_1)
	v_cmp_ne_u32_e64 s1, 0x7f800000, v2
	s_and_saveexec_b32 s10, s1
	s_delay_alu instid0(SALU_CYCLE_1)
	s_xor_b32 s1, exec_lo, s10
; %bb.269:                              ;   in Loop: Header=BB174_36 Depth=1
	v_bfe_u32 v2, v1, 16, 1
	s_delay_alu instid0(VALU_DEP_1)
	v_add3_u32 v85, v1, v2, 0x7fff
                                        ; implicit-def: $vgpr1
; %bb.270:                              ;   in Loop: Header=BB174_36 Depth=1
	s_and_not1_saveexec_b32 s10, s1
; %bb.271:                              ;   in Loop: Header=BB174_36 Depth=1
	v_and_b32_e32 v2, 0xffff, v1
	v_or_b32_e32 v3, 0x10000, v1
	s_delay_alu instid0(VALU_DEP_2) | instskip(NEXT) | instid1(VALU_DEP_1)
	v_cmp_eq_u32_e64 s1, 0, v2
	v_cndmask_b32_e64 v85, v3, v1, s1
; %bb.272:                              ;   in Loop: Header=BB174_36 Depth=1
	s_or_b32 exec_lo, exec_lo, s10
	global_load_b128 v[1:4], v[5:6], off offset:3072
	s_waitcnt vmcnt(0)
	v_lshrrev_b32_e32 v6, 16, v1
	v_lshrrev_b32_e32 v87, 16, v2
	;; [unrolled: 1-line block ×4, first 2 shown]
	s_and_saveexec_b32 s10, s0
	s_cbranch_execz .LBB174_274
; %bb.273:                              ;   in Loop: Header=BB174_36 Depth=1
	v_add_nc_u32_e32 v5, -6, v25
	v_cmp_gt_i32_e64 s1, s15, v35
	v_add_nc_u32_e32 v86, -5, v25
	v_add_nc_u32_e32 v88, -2, v25
	s_delay_alu instid0(VALU_DEP_3) | instskip(SKIP_2) | instid1(VALU_DEP_2)
	v_cndmask_b32_e64 v1, 0, v1, s1
	v_cmp_gt_i32_e64 s1, s15, v5
	v_add_nc_u32_e32 v5, -4, v25
	v_cndmask_b32_e64 v6, 0, v6, s1
	v_cmp_gt_i32_e64 s1, s15, v86
	v_add_nc_u32_e32 v86, -3, v25
	s_delay_alu instid0(VALU_DEP_2) | instskip(SKIP_2) | instid1(VALU_DEP_2)
	v_cndmask_b32_e64 v2, 0, v2, s1
	v_cmp_gt_i32_e64 s1, s15, v5
	v_add_nc_u32_e32 v5, -1, v25
	v_cndmask_b32_e64 v87, 0, v87, s1
	v_cmp_gt_i32_e64 s1, s15, v86
	s_delay_alu instid0(VALU_DEP_1) | instskip(SKIP_1) | instid1(VALU_DEP_1)
	v_cndmask_b32_e64 v3, 0, v3, s1
	v_cmp_gt_i32_e64 s1, s15, v88
	v_cndmask_b32_e64 v89, 0, v89, s1
	v_cmp_gt_i32_e64 s1, s15, v5
	s_delay_alu instid0(VALU_DEP_1) | instskip(SKIP_1) | instid1(VALU_DEP_1)
	v_cndmask_b32_e64 v4, 0, v4, s1
	v_cmp_gt_i32_e64 s1, s15, v25
	v_cndmask_b32_e64 v91, 0, v91, s1
.LBB174_274:                            ;   in Loop: Header=BB174_36 Depth=1
	s_or_b32 exec_lo, exec_lo, s10
	v_lshlrev_b32_e32 v1, 16, v1
	s_delay_alu instid0(VALU_DEP_1) | instskip(NEXT) | instid1(VALU_DEP_1)
	v_mul_f32_e32 v1, v38, v1
	v_and_b32_e32 v5, 0x7f800000, v1
	s_delay_alu instid0(VALU_DEP_1) | instskip(NEXT) | instid1(VALU_DEP_1)
	v_cmp_ne_u32_e64 s1, 0x7f800000, v5
                                        ; implicit-def: $vgpr5
	s_and_saveexec_b32 s10, s1
	s_delay_alu instid0(SALU_CYCLE_1)
	s_xor_b32 s1, exec_lo, s10
; %bb.275:                              ;   in Loop: Header=BB174_36 Depth=1
	v_bfe_u32 v5, v1, 16, 1
	s_delay_alu instid0(VALU_DEP_1)
	v_add3_u32 v5, v1, v5, 0x7fff
                                        ; implicit-def: $vgpr1
; %bb.276:                              ;   in Loop: Header=BB174_36 Depth=1
	s_and_not1_saveexec_b32 s10, s1
; %bb.277:                              ;   in Loop: Header=BB174_36 Depth=1
	v_and_b32_e32 v5, 0xffff, v1
	v_or_b32_e32 v86, 0x10000, v1
	s_delay_alu instid0(VALU_DEP_2) | instskip(NEXT) | instid1(VALU_DEP_1)
	v_cmp_eq_u32_e64 s1, 0, v5
	v_cndmask_b32_e64 v5, v86, v1, s1
; %bb.278:                              ;   in Loop: Header=BB174_36 Depth=1
	s_or_b32 exec_lo, exec_lo, s10
	v_lshlrev_b32_e32 v1, 16, v6
	s_delay_alu instid0(VALU_DEP_1) | instskip(NEXT) | instid1(VALU_DEP_1)
	v_mul_f32_e32 v1, v39, v1
	v_and_b32_e32 v6, 0x7f800000, v1
	s_delay_alu instid0(VALU_DEP_1) | instskip(NEXT) | instid1(VALU_DEP_1)
	v_cmp_ne_u32_e64 s1, 0x7f800000, v6
                                        ; implicit-def: $vgpr6
	s_and_saveexec_b32 s10, s1
	s_delay_alu instid0(SALU_CYCLE_1)
	s_xor_b32 s1, exec_lo, s10
; %bb.279:                              ;   in Loop: Header=BB174_36 Depth=1
	v_bfe_u32 v6, v1, 16, 1
	s_delay_alu instid0(VALU_DEP_1)
	v_add3_u32 v6, v1, v6, 0x7fff
                                        ; implicit-def: $vgpr1
; %bb.280:                              ;   in Loop: Header=BB174_36 Depth=1
	s_and_not1_saveexec_b32 s10, s1
; %bb.281:                              ;   in Loop: Header=BB174_36 Depth=1
	v_and_b32_e32 v6, 0xffff, v1
	v_or_b32_e32 v86, 0x10000, v1
	s_delay_alu instid0(VALU_DEP_2) | instskip(NEXT) | instid1(VALU_DEP_1)
	v_cmp_eq_u32_e64 s1, 0, v6
	v_cndmask_b32_e64 v6, v86, v1, s1
; %bb.282:                              ;   in Loop: Header=BB174_36 Depth=1
	s_or_b32 exec_lo, exec_lo, s10
	v_lshlrev_b32_e32 v1, 16, v2
                                        ; implicit-def: $vgpr86
	s_delay_alu instid0(VALU_DEP_1) | instskip(NEXT) | instid1(VALU_DEP_1)
	v_mul_f32_e32 v1, v40, v1
	v_and_b32_e32 v2, 0x7f800000, v1
	s_delay_alu instid0(VALU_DEP_1) | instskip(NEXT) | instid1(VALU_DEP_1)
	v_cmp_ne_u32_e64 s1, 0x7f800000, v2
	s_and_saveexec_b32 s10, s1
	s_delay_alu instid0(SALU_CYCLE_1)
	s_xor_b32 s1, exec_lo, s10
; %bb.283:                              ;   in Loop: Header=BB174_36 Depth=1
	v_bfe_u32 v2, v1, 16, 1
	s_delay_alu instid0(VALU_DEP_1)
	v_add3_u32 v86, v1, v2, 0x7fff
                                        ; implicit-def: $vgpr1
; %bb.284:                              ;   in Loop: Header=BB174_36 Depth=1
	s_and_not1_saveexec_b32 s10, s1
; %bb.285:                              ;   in Loop: Header=BB174_36 Depth=1
	v_and_b32_e32 v2, 0xffff, v1
	v_or_b32_e32 v86, 0x10000, v1
	s_delay_alu instid0(VALU_DEP_2) | instskip(NEXT) | instid1(VALU_DEP_1)
	v_cmp_eq_u32_e64 s1, 0, v2
	v_cndmask_b32_e64 v86, v86, v1, s1
; %bb.286:                              ;   in Loop: Header=BB174_36 Depth=1
	s_or_b32 exec_lo, exec_lo, s10
	v_lshlrev_b32_e32 v1, 16, v87
                                        ; implicit-def: $vgpr87
	s_delay_alu instid0(VALU_DEP_1) | instskip(NEXT) | instid1(VALU_DEP_1)
	v_mul_f32_e32 v1, v41, v1
	v_and_b32_e32 v2, 0x7f800000, v1
	s_delay_alu instid0(VALU_DEP_1) | instskip(NEXT) | instid1(VALU_DEP_1)
	v_cmp_ne_u32_e64 s1, 0x7f800000, v2
	s_and_saveexec_b32 s10, s1
	s_delay_alu instid0(SALU_CYCLE_1)
	s_xor_b32 s1, exec_lo, s10
; %bb.287:                              ;   in Loop: Header=BB174_36 Depth=1
	v_bfe_u32 v2, v1, 16, 1
	s_delay_alu instid0(VALU_DEP_1)
	v_add3_u32 v87, v1, v2, 0x7fff
                                        ; implicit-def: $vgpr1
; %bb.288:                              ;   in Loop: Header=BB174_36 Depth=1
	s_and_not1_saveexec_b32 s10, s1
; %bb.289:                              ;   in Loop: Header=BB174_36 Depth=1
	v_and_b32_e32 v2, 0xffff, v1
	v_or_b32_e32 v87, 0x10000, v1
	s_delay_alu instid0(VALU_DEP_2) | instskip(NEXT) | instid1(VALU_DEP_1)
	v_cmp_eq_u32_e64 s1, 0, v2
	v_cndmask_b32_e64 v87, v87, v1, s1
; %bb.290:                              ;   in Loop: Header=BB174_36 Depth=1
	s_or_b32 exec_lo, exec_lo, s10
	v_lshlrev_b32_e32 v1, 16, v3
                                        ; implicit-def: $vgpr88
	s_delay_alu instid0(VALU_DEP_1) | instskip(NEXT) | instid1(VALU_DEP_1)
	v_mul_f32_e32 v1, v42, v1
	v_and_b32_e32 v2, 0x7f800000, v1
	s_delay_alu instid0(VALU_DEP_1) | instskip(NEXT) | instid1(VALU_DEP_1)
	v_cmp_ne_u32_e64 s1, 0x7f800000, v2
	s_and_saveexec_b32 s10, s1
	s_delay_alu instid0(SALU_CYCLE_1)
	s_xor_b32 s1, exec_lo, s10
; %bb.291:                              ;   in Loop: Header=BB174_36 Depth=1
	v_bfe_u32 v2, v1, 16, 1
	s_delay_alu instid0(VALU_DEP_1)
	v_add3_u32 v88, v1, v2, 0x7fff
                                        ; implicit-def: $vgpr1
; %bb.292:                              ;   in Loop: Header=BB174_36 Depth=1
	s_and_not1_saveexec_b32 s10, s1
; %bb.293:                              ;   in Loop: Header=BB174_36 Depth=1
	v_and_b32_e32 v2, 0xffff, v1
	v_or_b32_e32 v3, 0x10000, v1
	s_delay_alu instid0(VALU_DEP_2) | instskip(NEXT) | instid1(VALU_DEP_1)
	v_cmp_eq_u32_e64 s1, 0, v2
	v_cndmask_b32_e64 v88, v3, v1, s1
; %bb.294:                              ;   in Loop: Header=BB174_36 Depth=1
	s_or_b32 exec_lo, exec_lo, s10
	v_lshlrev_b32_e32 v1, 16, v89
                                        ; implicit-def: $vgpr89
	s_delay_alu instid0(VALU_DEP_1) | instskip(NEXT) | instid1(VALU_DEP_1)
	v_mul_f32_e32 v1, v43, v1
	v_and_b32_e32 v2, 0x7f800000, v1
	s_delay_alu instid0(VALU_DEP_1) | instskip(NEXT) | instid1(VALU_DEP_1)
	v_cmp_ne_u32_e64 s1, 0x7f800000, v2
	s_and_saveexec_b32 s10, s1
	s_delay_alu instid0(SALU_CYCLE_1)
	s_xor_b32 s1, exec_lo, s10
; %bb.295:                              ;   in Loop: Header=BB174_36 Depth=1
	v_bfe_u32 v2, v1, 16, 1
	s_delay_alu instid0(VALU_DEP_1)
	v_add3_u32 v89, v1, v2, 0x7fff
                                        ; implicit-def: $vgpr1
; %bb.296:                              ;   in Loop: Header=BB174_36 Depth=1
	s_and_not1_saveexec_b32 s10, s1
; %bb.297:                              ;   in Loop: Header=BB174_36 Depth=1
	v_and_b32_e32 v2, 0xffff, v1
	v_or_b32_e32 v3, 0x10000, v1
	s_delay_alu instid0(VALU_DEP_2) | instskip(NEXT) | instid1(VALU_DEP_1)
	v_cmp_eq_u32_e64 s1, 0, v2
	v_cndmask_b32_e64 v89, v3, v1, s1
; %bb.298:                              ;   in Loop: Header=BB174_36 Depth=1
	s_or_b32 exec_lo, exec_lo, s10
	v_lshlrev_b32_e32 v1, 16, v4
                                        ; implicit-def: $vgpr90
	s_delay_alu instid0(VALU_DEP_1) | instskip(NEXT) | instid1(VALU_DEP_1)
	v_mul_f32_e32 v1, v44, v1
	v_and_b32_e32 v2, 0x7f800000, v1
	s_delay_alu instid0(VALU_DEP_1) | instskip(NEXT) | instid1(VALU_DEP_1)
	v_cmp_ne_u32_e64 s1, 0x7f800000, v2
	s_and_saveexec_b32 s10, s1
	s_delay_alu instid0(SALU_CYCLE_1)
	s_xor_b32 s1, exec_lo, s10
; %bb.299:                              ;   in Loop: Header=BB174_36 Depth=1
	v_bfe_u32 v2, v1, 16, 1
	s_delay_alu instid0(VALU_DEP_1)
	v_add3_u32 v90, v1, v2, 0x7fff
                                        ; implicit-def: $vgpr1
; %bb.300:                              ;   in Loop: Header=BB174_36 Depth=1
	s_and_not1_saveexec_b32 s10, s1
; %bb.301:                              ;   in Loop: Header=BB174_36 Depth=1
	v_and_b32_e32 v2, 0xffff, v1
	v_or_b32_e32 v3, 0x10000, v1
	s_delay_alu instid0(VALU_DEP_2) | instskip(NEXT) | instid1(VALU_DEP_1)
	v_cmp_eq_u32_e64 s1, 0, v2
	v_cndmask_b32_e64 v90, v3, v1, s1
; %bb.302:                              ;   in Loop: Header=BB174_36 Depth=1
	s_or_b32 exec_lo, exec_lo, s10
	v_lshlrev_b32_e32 v1, 16, v91
                                        ; implicit-def: $vgpr91
	s_delay_alu instid0(VALU_DEP_1) | instskip(NEXT) | instid1(VALU_DEP_1)
	v_mul_f32_e32 v1, v45, v1
	v_and_b32_e32 v2, 0x7f800000, v1
	s_delay_alu instid0(VALU_DEP_1) | instskip(NEXT) | instid1(VALU_DEP_1)
	v_cmp_ne_u32_e64 s1, 0x7f800000, v2
	s_and_saveexec_b32 s10, s1
	s_delay_alu instid0(SALU_CYCLE_1)
	s_xor_b32 s1, exec_lo, s10
	s_cbranch_execnz .LBB174_305
; %bb.303:                              ;   in Loop: Header=BB174_36 Depth=1
	s_and_not1_saveexec_b32 s10, s1
	s_cbranch_execnz .LBB174_306
.LBB174_304:                            ;   in Loop: Header=BB174_36 Depth=1
	s_or_b32 exec_lo, exec_lo, s10
	s_and_saveexec_b32 s10, vcc_lo
	s_cbranch_execz .LBB174_35
	s_branch .LBB174_307
.LBB174_305:                            ;   in Loop: Header=BB174_36 Depth=1
	v_bfe_u32 v2, v1, 16, 1
	s_delay_alu instid0(VALU_DEP_1)
	v_add3_u32 v91, v1, v2, 0x7fff
                                        ; implicit-def: $vgpr1
	s_and_not1_saveexec_b32 s10, s1
	s_cbranch_execz .LBB174_304
.LBB174_306:                            ;   in Loop: Header=BB174_36 Depth=1
	v_and_b32_e32 v2, 0xffff, v1
	v_or_b32_e32 v3, 0x10000, v1
	s_delay_alu instid0(VALU_DEP_2) | instskip(NEXT) | instid1(VALU_DEP_1)
	v_cmp_eq_u32_e64 s1, 0, v2
	v_cndmask_b32_e64 v91, v3, v1, s1
	s_or_b32 exec_lo, exec_lo, s10
	s_and_saveexec_b32 s10, vcc_lo
	s_cbranch_execz .LBB174_35
.LBB174_307:                            ;   in Loop: Header=BB174_36 Depth=1
	v_add_co_u32 v1, s1, v36, v28
	s_delay_alu instid0(VALU_DEP_1)
	v_add_co_ci_u32_e64 v2, s1, 0, v37, s1
	global_load_b128 v[1:4], v[1:2], off
	s_waitcnt vmcnt(0)
	v_lshrrev_b32_e32 v93, 16, v1
	v_lshrrev_b32_e32 v92, 16, v2
	;; [unrolled: 1-line block ×4, first 2 shown]
	s_and_saveexec_b32 s1, s0
	s_cbranch_execz .LBB174_309
; %bb.308:                              ;   in Loop: Header=BB174_36 Depth=1
	v_add_nc_u32_e32 v94, -6, v25
	v_cmp_gt_i32_e64 s0, s15, v35
	v_add_nc_u32_e32 v95, -5, v25
	v_add_nc_u32_e32 v35, -4, v25
	s_delay_alu instid0(VALU_DEP_3) | instskip(SKIP_2) | instid1(VALU_DEP_2)
	v_cndmask_b32_e64 v1, 0, v1, s0
	v_cmp_gt_i32_e64 s0, s15, v94
	v_add_nc_u32_e32 v94, -3, v25
	v_cndmask_b32_e64 v93, 0, v93, s0
	v_cmp_gt_i32_e64 s0, s15, v95
	v_add_nc_u32_e32 v95, -2, v25
	s_delay_alu instid0(VALU_DEP_2) | instskip(SKIP_2) | instid1(VALU_DEP_2)
	v_cndmask_b32_e64 v2, 0, v2, s0
	v_cmp_gt_i32_e64 s0, s15, v35
	v_add_nc_u32_e32 v35, -1, v25
	v_cndmask_b32_e64 v92, 0, v92, s0
	v_cmp_gt_i32_e64 s0, s15, v94
	s_delay_alu instid0(VALU_DEP_1) | instskip(SKIP_1) | instid1(VALU_DEP_1)
	v_cndmask_b32_e64 v3, 0, v3, s0
	v_cmp_gt_i32_e64 s0, s15, v95
	v_cndmask_b32_e64 v37, 0, v37, s0
	v_cmp_gt_i32_e64 s0, s15, v35
	s_delay_alu instid0(VALU_DEP_1) | instskip(SKIP_1) | instid1(VALU_DEP_1)
	v_cndmask_b32_e64 v4, 0, v4, s0
	v_cmp_gt_i32_e64 s0, s15, v25
	v_cndmask_b32_e64 v36, 0, v36, s0
.LBB174_309:                            ;   in Loop: Header=BB174_36 Depth=1
	s_or_b32 exec_lo, exec_lo, s1
	v_lshlrev_b32_e32 v1, 16, v1
	s_delay_alu instid0(VALU_DEP_1) | instskip(NEXT) | instid1(VALU_DEP_1)
	v_mul_f32_e32 v35, v38, v1
	v_and_b32_e32 v1, 0x7f800000, v35
	s_delay_alu instid0(VALU_DEP_1) | instskip(NEXT) | instid1(VALU_DEP_1)
	v_cmp_ne_u32_e64 s0, 0x7f800000, v1
                                        ; implicit-def: $vgpr1
	s_and_saveexec_b32 s1, s0
	s_delay_alu instid0(SALU_CYCLE_1)
	s_xor_b32 s0, exec_lo, s1
; %bb.310:                              ;   in Loop: Header=BB174_36 Depth=1
	v_bfe_u32 v1, v35, 16, 1
	s_delay_alu instid0(VALU_DEP_1)
	v_add3_u32 v1, v35, v1, 0x7fff
                                        ; implicit-def: $vgpr35
; %bb.311:                              ;   in Loop: Header=BB174_36 Depth=1
	s_and_not1_saveexec_b32 s1, s0
; %bb.312:                              ;   in Loop: Header=BB174_36 Depth=1
	v_and_b32_e32 v1, 0xffff, v35
	v_or_b32_e32 v38, 0x10000, v35
	s_delay_alu instid0(VALU_DEP_2) | instskip(NEXT) | instid1(VALU_DEP_1)
	v_cmp_eq_u32_e64 s0, 0, v1
	v_cndmask_b32_e64 v1, v38, v35, s0
; %bb.313:                              ;   in Loop: Header=BB174_36 Depth=1
	s_or_b32 exec_lo, exec_lo, s1
	v_lshlrev_b32_e32 v35, 16, v93
	s_delay_alu instid0(VALU_DEP_1) | instskip(NEXT) | instid1(VALU_DEP_1)
	v_mul_f32_e32 v38, v39, v35
	v_and_b32_e32 v35, 0x7f800000, v38
	s_delay_alu instid0(VALU_DEP_1) | instskip(NEXT) | instid1(VALU_DEP_1)
	v_cmp_ne_u32_e64 s0, 0x7f800000, v35
                                        ; implicit-def: $vgpr35
	s_and_saveexec_b32 s1, s0
	s_delay_alu instid0(SALU_CYCLE_1)
	s_xor_b32 s0, exec_lo, s1
; %bb.314:                              ;   in Loop: Header=BB174_36 Depth=1
	v_bfe_u32 v35, v38, 16, 1
	s_delay_alu instid0(VALU_DEP_1)
	v_add3_u32 v35, v38, v35, 0x7fff
                                        ; implicit-def: $vgpr38
; %bb.315:                              ;   in Loop: Header=BB174_36 Depth=1
	s_and_not1_saveexec_b32 s1, s0
; %bb.316:                              ;   in Loop: Header=BB174_36 Depth=1
	v_and_b32_e32 v35, 0xffff, v38
	v_or_b32_e32 v39, 0x10000, v38
	s_delay_alu instid0(VALU_DEP_2) | instskip(NEXT) | instid1(VALU_DEP_1)
	v_cmp_eq_u32_e64 s0, 0, v35
	v_cndmask_b32_e64 v35, v39, v38, s0
; %bb.317:                              ;   in Loop: Header=BB174_36 Depth=1
	s_or_b32 exec_lo, exec_lo, s1
	v_lshlrev_b32_e32 v2, 16, v2
	s_delay_alu instid0(VALU_DEP_1) | instskip(NEXT) | instid1(VALU_DEP_1)
	v_mul_f32_e32 v38, v40, v2
	v_and_b32_e32 v2, 0x7f800000, v38
	s_delay_alu instid0(VALU_DEP_1) | instskip(NEXT) | instid1(VALU_DEP_1)
	v_cmp_ne_u32_e64 s0, 0x7f800000, v2
                                        ; implicit-def: $vgpr2
	s_and_saveexec_b32 s1, s0
	s_delay_alu instid0(SALU_CYCLE_1)
	s_xor_b32 s0, exec_lo, s1
; %bb.318:                              ;   in Loop: Header=BB174_36 Depth=1
	v_bfe_u32 v2, v38, 16, 1
	s_delay_alu instid0(VALU_DEP_1)
	v_add3_u32 v2, v38, v2, 0x7fff
                                        ; implicit-def: $vgpr38
; %bb.319:                              ;   in Loop: Header=BB174_36 Depth=1
	s_and_not1_saveexec_b32 s1, s0
; %bb.320:                              ;   in Loop: Header=BB174_36 Depth=1
	v_and_b32_e32 v2, 0xffff, v38
	v_or_b32_e32 v39, 0x10000, v38
	s_delay_alu instid0(VALU_DEP_2) | instskip(NEXT) | instid1(VALU_DEP_1)
	v_cmp_eq_u32_e64 s0, 0, v2
	v_cndmask_b32_e64 v2, v39, v38, s0
; %bb.321:                              ;   in Loop: Header=BB174_36 Depth=1
	s_or_b32 exec_lo, exec_lo, s1
	v_lshlrev_b32_e32 v38, 16, v92
	s_delay_alu instid0(VALU_DEP_1) | instskip(NEXT) | instid1(VALU_DEP_1)
	v_mul_f32_e32 v39, v41, v38
	v_and_b32_e32 v38, 0x7f800000, v39
	s_delay_alu instid0(VALU_DEP_1) | instskip(NEXT) | instid1(VALU_DEP_1)
	v_cmp_ne_u32_e64 s0, 0x7f800000, v38
                                        ; implicit-def: $vgpr38
	s_and_saveexec_b32 s1, s0
	s_delay_alu instid0(SALU_CYCLE_1)
	s_xor_b32 s0, exec_lo, s1
; %bb.322:                              ;   in Loop: Header=BB174_36 Depth=1
	v_bfe_u32 v38, v39, 16, 1
	s_delay_alu instid0(VALU_DEP_1)
	v_add3_u32 v38, v39, v38, 0x7fff
                                        ; implicit-def: $vgpr39
; %bb.323:                              ;   in Loop: Header=BB174_36 Depth=1
	s_and_not1_saveexec_b32 s1, s0
; %bb.324:                              ;   in Loop: Header=BB174_36 Depth=1
	v_and_b32_e32 v38, 0xffff, v39
	v_or_b32_e32 v40, 0x10000, v39
	s_delay_alu instid0(VALU_DEP_2) | instskip(NEXT) | instid1(VALU_DEP_1)
	v_cmp_eq_u32_e64 s0, 0, v38
	v_cndmask_b32_e64 v38, v40, v39, s0
; %bb.325:                              ;   in Loop: Header=BB174_36 Depth=1
	s_or_b32 exec_lo, exec_lo, s1
	v_lshlrev_b32_e32 v3, 16, v3
	s_delay_alu instid0(VALU_DEP_1) | instskip(NEXT) | instid1(VALU_DEP_1)
	v_mul_f32_e32 v39, v42, v3
	v_and_b32_e32 v3, 0x7f800000, v39
	s_delay_alu instid0(VALU_DEP_1) | instskip(NEXT) | instid1(VALU_DEP_1)
	v_cmp_ne_u32_e64 s0, 0x7f800000, v3
                                        ; implicit-def: $vgpr3
	s_and_saveexec_b32 s1, s0
	s_delay_alu instid0(SALU_CYCLE_1)
	s_xor_b32 s0, exec_lo, s1
; %bb.326:                              ;   in Loop: Header=BB174_36 Depth=1
	v_bfe_u32 v3, v39, 16, 1
	s_delay_alu instid0(VALU_DEP_1)
	v_add3_u32 v3, v39, v3, 0x7fff
                                        ; implicit-def: $vgpr39
; %bb.327:                              ;   in Loop: Header=BB174_36 Depth=1
	s_and_not1_saveexec_b32 s1, s0
; %bb.328:                              ;   in Loop: Header=BB174_36 Depth=1
	v_and_b32_e32 v3, 0xffff, v39
	v_or_b32_e32 v40, 0x10000, v39
	s_delay_alu instid0(VALU_DEP_2) | instskip(NEXT) | instid1(VALU_DEP_1)
	v_cmp_eq_u32_e64 s0, 0, v3
	v_cndmask_b32_e64 v3, v40, v39, s0
; %bb.329:                              ;   in Loop: Header=BB174_36 Depth=1
	s_or_b32 exec_lo, exec_lo, s1
	v_lshlrev_b32_e32 v37, 16, v37
	s_delay_alu instid0(VALU_DEP_1) | instskip(NEXT) | instid1(VALU_DEP_1)
	v_mul_f32_e32 v39, v43, v37
	v_and_b32_e32 v37, 0x7f800000, v39
	s_delay_alu instid0(VALU_DEP_1) | instskip(NEXT) | instid1(VALU_DEP_1)
	v_cmp_ne_u32_e64 s0, 0x7f800000, v37
                                        ; implicit-def: $vgpr37
	s_and_saveexec_b32 s1, s0
	s_delay_alu instid0(SALU_CYCLE_1)
	s_xor_b32 s0, exec_lo, s1
; %bb.330:                              ;   in Loop: Header=BB174_36 Depth=1
	v_bfe_u32 v37, v39, 16, 1
	s_delay_alu instid0(VALU_DEP_1)
	v_add3_u32 v37, v39, v37, 0x7fff
                                        ; implicit-def: $vgpr39
; %bb.331:                              ;   in Loop: Header=BB174_36 Depth=1
	s_and_not1_saveexec_b32 s1, s0
; %bb.332:                              ;   in Loop: Header=BB174_36 Depth=1
	v_and_b32_e32 v37, 0xffff, v39
	v_or_b32_e32 v40, 0x10000, v39
	s_delay_alu instid0(VALU_DEP_2) | instskip(NEXT) | instid1(VALU_DEP_1)
	v_cmp_eq_u32_e64 s0, 0, v37
	v_cndmask_b32_e64 v37, v40, v39, s0
; %bb.333:                              ;   in Loop: Header=BB174_36 Depth=1
	s_or_b32 exec_lo, exec_lo, s1
	v_lshlrev_b32_e32 v4, 16, v4
	s_delay_alu instid0(VALU_DEP_1) | instskip(NEXT) | instid1(VALU_DEP_1)
	v_mul_f32_e32 v39, v44, v4
	v_and_b32_e32 v4, 0x7f800000, v39
	s_delay_alu instid0(VALU_DEP_1) | instskip(NEXT) | instid1(VALU_DEP_1)
	v_cmp_ne_u32_e64 s0, 0x7f800000, v4
                                        ; implicit-def: $vgpr4
	s_and_saveexec_b32 s1, s0
	s_delay_alu instid0(SALU_CYCLE_1)
	s_xor_b32 s0, exec_lo, s1
; %bb.334:                              ;   in Loop: Header=BB174_36 Depth=1
	v_bfe_u32 v4, v39, 16, 1
	s_delay_alu instid0(VALU_DEP_1)
	v_add3_u32 v4, v39, v4, 0x7fff
                                        ; implicit-def: $vgpr39
; %bb.335:                              ;   in Loop: Header=BB174_36 Depth=1
	s_and_not1_saveexec_b32 s1, s0
; %bb.336:                              ;   in Loop: Header=BB174_36 Depth=1
	v_and_b32_e32 v4, 0xffff, v39
	v_or_b32_e32 v40, 0x10000, v39
	s_delay_alu instid0(VALU_DEP_2) | instskip(NEXT) | instid1(VALU_DEP_1)
	v_cmp_eq_u32_e64 s0, 0, v4
	v_cndmask_b32_e64 v4, v40, v39, s0
; %bb.337:                              ;   in Loop: Header=BB174_36 Depth=1
	s_or_b32 exec_lo, exec_lo, s1
	v_lshlrev_b32_e32 v36, 16, v36
	s_delay_alu instid0(VALU_DEP_1) | instskip(NEXT) | instid1(VALU_DEP_1)
	v_mul_f32_e32 v39, v45, v36
	v_and_b32_e32 v36, 0x7f800000, v39
	s_delay_alu instid0(VALU_DEP_1) | instskip(NEXT) | instid1(VALU_DEP_1)
	v_cmp_ne_u32_e64 s0, 0x7f800000, v36
                                        ; implicit-def: $vgpr36
	s_and_saveexec_b32 s1, s0
	s_delay_alu instid0(SALU_CYCLE_1)
	s_xor_b32 s0, exec_lo, s1
; %bb.338:                              ;   in Loop: Header=BB174_36 Depth=1
	v_bfe_u32 v36, v39, 16, 1
	s_delay_alu instid0(VALU_DEP_1)
	v_add3_u32 v36, v39, v36, 0x7fff
                                        ; implicit-def: $vgpr39
; %bb.339:                              ;   in Loop: Header=BB174_36 Depth=1
	s_and_not1_saveexec_b32 s1, s0
	s_cbranch_execz .LBB174_34
; %bb.340:                              ;   in Loop: Header=BB174_36 Depth=1
	v_and_b32_e32 v36, 0xffff, v39
	v_or_b32_e32 v40, 0x10000, v39
	s_delay_alu instid0(VALU_DEP_2) | instskip(NEXT) | instid1(VALU_DEP_1)
	v_cmp_eq_u32_e64 s0, 0, v36
	v_cndmask_b32_e64 v36, v40, v39, s0
	s_branch .LBB174_34
.LBB174_341:
	s_or_b32 exec_lo, exec_lo, s5
.LBB174_342:
	s_delay_alu instid0(SALU_CYCLE_1)
	s_or_b32 exec_lo, exec_lo, s2
	ds_bpermute_b32 v1, v16, v17
	ds_bpermute_b32 v2, v16, v24
	ds_bpermute_b32 v3, v16, v23
	ds_bpermute_b32 v4, v16, v22
	ds_bpermute_b32 v7, v16, v21
	ds_bpermute_b32 v10, v16, v20
	ds_bpermute_b32 v11, v16, v19
	ds_bpermute_b32 v16, v16, v18
	s_movk_i32 s0, 0x1e0
	v_cmp_eq_u32_e32 vcc_lo, 0, v13
	v_and_b32_e32 v13, 0x3c0, v0
	v_mad_u32_u24 v9, v14, s0, 0x110
	s_mov_b32 s1, exec_lo
	s_waitcnt lgkmcnt(0)
	s_waitcnt_vscnt null, 0x0
	s_barrier
	buffer_gl0_inv
	v_add_f32_e32 v8, v17, v1
	v_dual_add_f32 v6, v24, v2 :: v_dual_add_f32 v5, v23, v3
	v_dual_add_f32 v4, v22, v4 :: v_dual_add_f32 v3, v21, v7
	;; [unrolled: 1-line block ×3, first 2 shown]
	v_add_f32_e32 v7, v18, v16
	v_cmpx_eq_u32_e32 64, v13
	s_cbranch_execz .LBB174_347
; %bb.343:
	v_add_nc_u32_e32 v10, 0xfffffc40, v9
	s_delay_alu instid0(VALU_DEP_1)
	v_lshl_add_u32 v10, v15, 2, v10
	s_and_saveexec_b32 s0, vcc_lo
	s_cbranch_execz .LBB174_345
; %bb.344:
	ds_store_2addr_b32 v10, v8, v6 offset1:16
	ds_store_2addr_b32 v10, v5, v4 offset0:32 offset1:48
	ds_store_2addr_b32 v10, v3, v2 offset0:64 offset1:80
	ds_store_b32 v10, v1 offset:384
.LBB174_345:
	s_or_b32 exec_lo, exec_lo, s0
	v_or_b32_e32 v11, 0x70, v15
	s_delay_alu instid0(VALU_DEP_1) | instskip(NEXT) | instid1(VALU_DEP_1)
	v_cmp_gt_u32_e64 s0, 0x78, v11
	s_and_b32 s0, vcc_lo, s0
	s_delay_alu instid0(SALU_CYCLE_1)
	s_and_b32 exec_lo, exec_lo, s0
	s_cbranch_execz .LBB174_347
; %bb.346:
	ds_store_b32 v10, v7 offset:448
.LBB174_347:
	s_or_b32 exec_lo, exec_lo, s1
	s_delay_alu instid0(SALU_CYCLE_1)
	s_mov_b32 s1, exec_lo
	s_waitcnt lgkmcnt(0)
	s_barrier
	buffer_gl0_inv
	v_cmpx_gt_u32_e32 64, v0
	s_cbranch_execz .LBB174_359
; %bb.348:
	s_and_saveexec_b32 s0, vcc_lo
	s_cbranch_execnz .LBB174_426
; %bb.349:
	s_or_b32 exec_lo, exec_lo, s0
	s_and_saveexec_b32 s0, vcc_lo
	s_cbranch_execnz .LBB174_427
.LBB174_350:
	s_or_b32 exec_lo, exec_lo, s0
	s_and_saveexec_b32 s0, vcc_lo
	s_cbranch_execnz .LBB174_428
.LBB174_351:
	s_or_b32 exec_lo, exec_lo, s0
	s_and_saveexec_b32 s0, vcc_lo
	s_cbranch_execnz .LBB174_429
.LBB174_352:
	s_or_b32 exec_lo, exec_lo, s0
	s_and_saveexec_b32 s0, vcc_lo
	s_cbranch_execnz .LBB174_430
.LBB174_353:
	s_or_b32 exec_lo, exec_lo, s0
	s_and_saveexec_b32 s0, vcc_lo
	s_cbranch_execnz .LBB174_431
.LBB174_354:
	s_or_b32 exec_lo, exec_lo, s0
	s_and_saveexec_b32 s0, vcc_lo
	s_cbranch_execz .LBB174_356
.LBB174_355:
	v_lshl_add_u32 v10, v15, 2, v9
	ds_load_b32 v10, v10 offset:384
	s_waitcnt lgkmcnt(0)
	v_add_f32_e32 v1, v1, v10
.LBB174_356:
	s_or_b32 exec_lo, exec_lo, s0
	v_or_b32_e32 v10, 0x70, v15
	s_delay_alu instid0(VALU_DEP_1) | instskip(NEXT) | instid1(VALU_DEP_1)
	v_cmp_gt_u32_e64 s0, 0x78, v10
	s_and_b32 s2, vcc_lo, s0
	s_delay_alu instid0(SALU_CYCLE_1)
	s_and_saveexec_b32 s0, s2
	s_cbranch_execz .LBB174_358
; %bb.357:
	v_lshl_add_u32 v10, v15, 2, v9
	ds_load_b32 v10, v10 offset:448
	s_waitcnt lgkmcnt(0)
	v_add_f32_e32 v7, v7, v10
.LBB174_358:
	s_or_b32 exec_lo, exec_lo, s0
.LBB174_359:
	s_delay_alu instid0(SALU_CYCLE_1)
	s_or_b32 exec_lo, exec_lo, s1
	v_and_b32_e32 v10, 0x3e0, v0
	s_mov_b32 s1, exec_lo
	s_barrier
	buffer_gl0_inv
	v_cmpx_eq_u32_e32 32, v10
	s_cbranch_execz .LBB174_364
; %bb.360:
	v_add_nc_u32_e32 v10, 0xfffffe20, v9
	s_delay_alu instid0(VALU_DEP_1)
	v_lshl_add_u32 v10, v15, 2, v10
	s_and_saveexec_b32 s0, vcc_lo
	s_cbranch_execz .LBB174_362
; %bb.361:
	ds_store_2addr_b32 v10, v8, v6 offset1:16
	ds_store_2addr_b32 v10, v5, v4 offset0:32 offset1:48
	ds_store_2addr_b32 v10, v3, v2 offset0:64 offset1:80
	ds_store_b32 v10, v1 offset:384
.LBB174_362:
	s_or_b32 exec_lo, exec_lo, s0
	v_or_b32_e32 v11, 0x70, v15
	s_delay_alu instid0(VALU_DEP_1) | instskip(NEXT) | instid1(VALU_DEP_1)
	v_cmp_gt_u32_e64 s0, 0x78, v11
	s_and_b32 s0, vcc_lo, s0
	s_delay_alu instid0(SALU_CYCLE_1)
	s_and_b32 exec_lo, exec_lo, s0
	s_cbranch_execz .LBB174_364
; %bb.363:
	ds_store_b32 v10, v7 offset:448
.LBB174_364:
	s_or_b32 exec_lo, exec_lo, s1
	v_cmp_gt_u32_e64 s0, 32, v0
	s_waitcnt lgkmcnt(0)
	s_barrier
	buffer_gl0_inv
	s_and_saveexec_b32 s2, s0
	s_cbranch_execz .LBB174_376
; %bb.365:
	v_lshl_add_u32 v0, v15, 2, v9
	s_and_saveexec_b32 s1, vcc_lo
	s_cbranch_execnz .LBB174_432
; %bb.366:
	s_or_b32 exec_lo, exec_lo, s1
	s_and_saveexec_b32 s1, vcc_lo
	s_cbranch_execnz .LBB174_433
.LBB174_367:
	s_or_b32 exec_lo, exec_lo, s1
	s_and_saveexec_b32 s1, vcc_lo
	s_cbranch_execnz .LBB174_434
.LBB174_368:
	s_or_b32 exec_lo, exec_lo, s1
	s_and_saveexec_b32 s1, vcc_lo
	s_cbranch_execnz .LBB174_435
.LBB174_369:
	s_or_b32 exec_lo, exec_lo, s1
	s_and_saveexec_b32 s1, vcc_lo
	s_cbranch_execnz .LBB174_436
.LBB174_370:
	s_or_b32 exec_lo, exec_lo, s1
	s_and_saveexec_b32 s1, vcc_lo
	s_cbranch_execnz .LBB174_437
.LBB174_371:
	s_or_b32 exec_lo, exec_lo, s1
	s_and_saveexec_b32 s1, vcc_lo
	s_cbranch_execz .LBB174_373
.LBB174_372:
	ds_load_b32 v9, v0 offset:384
	s_waitcnt lgkmcnt(0)
	v_add_f32_e32 v1, v1, v9
.LBB174_373:
	s_or_b32 exec_lo, exec_lo, s1
	v_or_b32_e32 v9, 0x70, v15
	s_delay_alu instid0(VALU_DEP_1) | instskip(NEXT) | instid1(VALU_DEP_1)
	v_cmp_gt_u32_e64 s1, 0x78, v9
	s_and_b32 s3, vcc_lo, s1
	s_delay_alu instid0(SALU_CYCLE_1)
	s_and_saveexec_b32 s1, s3
	s_cbranch_execz .LBB174_375
; %bb.374:
	ds_load_b32 v0, v0 offset:448
	s_waitcnt lgkmcnt(0)
	v_add_f32_e32 v7, v7, v0
.LBB174_375:
	s_or_b32 exec_lo, exec_lo, s1
.LBB174_376:
	s_delay_alu instid0(SALU_CYCLE_1)
	s_or_b32 exec_lo, exec_lo, s2
	s_barrier
	buffer_gl0_inv
	s_and_saveexec_b32 s1, s0
	s_cbranch_execz .LBB174_425
; %bb.377:
	s_mul_i32 s0, s6, 0x78
	s_mul_i32 s2, s4, s16
	s_ashr_i32 s1, s0, 31
	s_delay_alu instid0(SALU_CYCLE_1) | instskip(NEXT) | instid1(SALU_CYCLE_1)
	s_lshl_b64 s[0:1], s[0:1], 1
	s_add_u32 s4, s18, s0
	s_addc_u32 s5, s19, s1
	s_ashr_i32 s3, s2, 31
	s_delay_alu instid0(SALU_CYCLE_1) | instskip(SKIP_4) | instid1(SALU_CYCLE_1)
	s_lshl_b64 s[0:1], s[2:3], 1
	s_mul_i32 s2, s12, 0x78
	s_add_u32 s4, s4, s0
	s_addc_u32 s5, s5, s1
	s_ashr_i32 s3, s2, 31
	s_lshl_b64 s[0:1], s[2:3], 1
	s_delay_alu instid0(SALU_CYCLE_1)
	s_add_u32 s2, s4, s0
	s_addc_u32 s3, s5, s1
	s_and_saveexec_b32 s1, vcc_lo
	s_cbranch_execz .LBB174_383
; %bb.378:
	v_and_b32_e32 v0, 0x7f800000, v8
	s_delay_alu instid0(VALU_DEP_1) | instskip(NEXT) | instid1(VALU_DEP_1)
	v_cmp_ne_u32_e64 s0, 0x7f800000, v0
                                        ; implicit-def: $vgpr0
	s_and_saveexec_b32 s4, s0
	s_delay_alu instid0(SALU_CYCLE_1)
	s_xor_b32 s0, exec_lo, s4
; %bb.379:
	v_bfe_u32 v0, v8, 16, 1
	s_delay_alu instid0(VALU_DEP_1)
	v_add3_u32 v0, v8, v0, 0x7fff
; %bb.380:
	s_and_not1_saveexec_b32 s4, s0
; %bb.381:
	v_and_b32_e32 v0, 0xffff, v8
	v_or_b32_e32 v9, 0x10000, v8
	s_delay_alu instid0(VALU_DEP_2) | instskip(NEXT) | instid1(VALU_DEP_1)
	v_cmp_eq_u32_e64 s0, 0, v0
	v_cndmask_b32_e64 v0, v9, v8, s0
; %bb.382:
	s_or_b32 exec_lo, exec_lo, s4
	v_lshlrev_b32_e32 v8, 1, v12
	global_store_d16_hi_b16 v8, v0, s[2:3]
.LBB174_383:
	s_or_b32 exec_lo, exec_lo, s1
	v_or_b32_e32 v0, 16, v12
	s_delay_alu instid0(VALU_DEP_1) | instskip(NEXT) | instid1(VALU_DEP_1)
	v_cmp_gt_u32_e64 s0, 0x78, v0
	s_and_b32 s0, vcc_lo, s0
	s_delay_alu instid0(SALU_CYCLE_1)
	s_and_saveexec_b32 s1, s0
	s_cbranch_execz .LBB174_389
; %bb.384:
	v_and_b32_e32 v0, 0x7f800000, v6
	s_delay_alu instid0(VALU_DEP_1) | instskip(NEXT) | instid1(VALU_DEP_1)
	v_cmp_ne_u32_e64 s0, 0x7f800000, v0
                                        ; implicit-def: $vgpr0
	s_and_saveexec_b32 s4, s0
	s_delay_alu instid0(SALU_CYCLE_1)
	s_xor_b32 s0, exec_lo, s4
; %bb.385:
	v_bfe_u32 v0, v6, 16, 1
	s_delay_alu instid0(VALU_DEP_1)
	v_add3_u32 v0, v6, v0, 0x7fff
; %bb.386:
	s_and_not1_saveexec_b32 s4, s0
; %bb.387:
	v_and_b32_e32 v0, 0xffff, v6
	v_or_b32_e32 v8, 0x10000, v6
	s_delay_alu instid0(VALU_DEP_2) | instskip(NEXT) | instid1(VALU_DEP_1)
	v_cmp_eq_u32_e64 s0, 0, v0
	v_cndmask_b32_e64 v0, v8, v6, s0
; %bb.388:
	s_or_b32 exec_lo, exec_lo, s4
	v_lshlrev_b32_e32 v6, 1, v12
	global_store_d16_hi_b16 v6, v0, s[2:3] offset:32
.LBB174_389:
	s_or_b32 exec_lo, exec_lo, s1
	v_or_b32_e32 v0, 32, v12
	s_delay_alu instid0(VALU_DEP_1) | instskip(NEXT) | instid1(VALU_DEP_1)
	v_cmp_gt_u32_e64 s0, 0x78, v0
	s_and_b32 s0, vcc_lo, s0
	s_delay_alu instid0(SALU_CYCLE_1)
	s_and_saveexec_b32 s1, s0
	s_cbranch_execz .LBB174_395
; %bb.390:
	v_and_b32_e32 v0, 0x7f800000, v5
	s_delay_alu instid0(VALU_DEP_1) | instskip(NEXT) | instid1(VALU_DEP_1)
	v_cmp_ne_u32_e64 s0, 0x7f800000, v0
                                        ; implicit-def: $vgpr0
	s_and_saveexec_b32 s4, s0
	s_delay_alu instid0(SALU_CYCLE_1)
	s_xor_b32 s0, exec_lo, s4
; %bb.391:
	v_bfe_u32 v0, v5, 16, 1
	s_delay_alu instid0(VALU_DEP_1)
	v_add3_u32 v0, v5, v0, 0x7fff
; %bb.392:
	s_and_not1_saveexec_b32 s4, s0
; %bb.393:
	v_and_b32_e32 v0, 0xffff, v5
	v_or_b32_e32 v6, 0x10000, v5
	s_delay_alu instid0(VALU_DEP_2) | instskip(NEXT) | instid1(VALU_DEP_1)
	v_cmp_eq_u32_e64 s0, 0, v0
	v_cndmask_b32_e64 v0, v6, v5, s0
; %bb.394:
	s_or_b32 exec_lo, exec_lo, s4
	v_lshlrev_b32_e32 v5, 1, v12
	global_store_d16_hi_b16 v5, v0, s[2:3] offset:64
.LBB174_395:
	s_or_b32 exec_lo, exec_lo, s1
	v_or_b32_e32 v0, 48, v12
	s_delay_alu instid0(VALU_DEP_1) | instskip(NEXT) | instid1(VALU_DEP_1)
	v_cmp_gt_u32_e64 s0, 0x78, v0
	s_and_b32 s0, vcc_lo, s0
	s_delay_alu instid0(SALU_CYCLE_1)
	s_and_saveexec_b32 s1, s0
	s_cbranch_execz .LBB174_401
; %bb.396:
	v_and_b32_e32 v0, 0x7f800000, v4
	s_delay_alu instid0(VALU_DEP_1) | instskip(NEXT) | instid1(VALU_DEP_1)
	v_cmp_ne_u32_e64 s0, 0x7f800000, v0
                                        ; implicit-def: $vgpr0
	s_and_saveexec_b32 s4, s0
	s_delay_alu instid0(SALU_CYCLE_1)
	s_xor_b32 s0, exec_lo, s4
; %bb.397:
	v_bfe_u32 v0, v4, 16, 1
	s_delay_alu instid0(VALU_DEP_1)
	v_add3_u32 v0, v4, v0, 0x7fff
; %bb.398:
	s_and_not1_saveexec_b32 s4, s0
; %bb.399:
	v_and_b32_e32 v0, 0xffff, v4
	v_or_b32_e32 v5, 0x10000, v4
	s_delay_alu instid0(VALU_DEP_2) | instskip(NEXT) | instid1(VALU_DEP_1)
	v_cmp_eq_u32_e64 s0, 0, v0
	v_cndmask_b32_e64 v0, v5, v4, s0
; %bb.400:
	s_or_b32 exec_lo, exec_lo, s4
	v_lshlrev_b32_e32 v4, 1, v12
	global_store_d16_hi_b16 v4, v0, s[2:3] offset:96
.LBB174_401:
	s_or_b32 exec_lo, exec_lo, s1
	v_or_b32_e32 v0, 64, v12
	s_delay_alu instid0(VALU_DEP_1) | instskip(NEXT) | instid1(VALU_DEP_1)
	v_cmp_gt_u32_e64 s0, 0x78, v0
	s_and_b32 s0, vcc_lo, s0
	s_delay_alu instid0(SALU_CYCLE_1)
	s_and_saveexec_b32 s1, s0
	s_cbranch_execz .LBB174_407
; %bb.402:
	v_and_b32_e32 v0, 0x7f800000, v3
	s_delay_alu instid0(VALU_DEP_1) | instskip(NEXT) | instid1(VALU_DEP_1)
	v_cmp_ne_u32_e64 s0, 0x7f800000, v0
                                        ; implicit-def: $vgpr0
	s_and_saveexec_b32 s4, s0
	s_delay_alu instid0(SALU_CYCLE_1)
	s_xor_b32 s0, exec_lo, s4
; %bb.403:
	v_bfe_u32 v0, v3, 16, 1
	s_delay_alu instid0(VALU_DEP_1)
	v_add3_u32 v0, v3, v0, 0x7fff
; %bb.404:
	s_and_not1_saveexec_b32 s4, s0
; %bb.405:
	v_and_b32_e32 v0, 0xffff, v3
	v_or_b32_e32 v4, 0x10000, v3
	s_delay_alu instid0(VALU_DEP_2) | instskip(NEXT) | instid1(VALU_DEP_1)
	v_cmp_eq_u32_e64 s0, 0, v0
	v_cndmask_b32_e64 v0, v4, v3, s0
; %bb.406:
	s_or_b32 exec_lo, exec_lo, s4
	v_lshlrev_b32_e32 v3, 1, v12
	global_store_d16_hi_b16 v3, v0, s[2:3] offset:128
.LBB174_407:
	s_or_b32 exec_lo, exec_lo, s1
	v_or_b32_e32 v0, 0x50, v12
	s_delay_alu instid0(VALU_DEP_1) | instskip(NEXT) | instid1(VALU_DEP_1)
	v_cmp_gt_u32_e64 s0, 0x78, v0
	s_and_b32 s0, vcc_lo, s0
	s_delay_alu instid0(SALU_CYCLE_1)
	s_and_saveexec_b32 s1, s0
	s_cbranch_execz .LBB174_413
; %bb.408:
	v_and_b32_e32 v0, 0x7f800000, v2
	s_delay_alu instid0(VALU_DEP_1) | instskip(NEXT) | instid1(VALU_DEP_1)
	v_cmp_ne_u32_e64 s0, 0x7f800000, v0
                                        ; implicit-def: $vgpr0
	s_and_saveexec_b32 s4, s0
	s_delay_alu instid0(SALU_CYCLE_1)
	s_xor_b32 s0, exec_lo, s4
; %bb.409:
	v_bfe_u32 v0, v2, 16, 1
	s_delay_alu instid0(VALU_DEP_1)
	v_add3_u32 v0, v2, v0, 0x7fff
; %bb.410:
	s_and_not1_saveexec_b32 s4, s0
; %bb.411:
	v_and_b32_e32 v0, 0xffff, v2
	v_or_b32_e32 v3, 0x10000, v2
	s_delay_alu instid0(VALU_DEP_2) | instskip(NEXT) | instid1(VALU_DEP_1)
	v_cmp_eq_u32_e64 s0, 0, v0
	v_cndmask_b32_e64 v0, v3, v2, s0
; %bb.412:
	s_or_b32 exec_lo, exec_lo, s4
	v_lshlrev_b32_e32 v2, 1, v12
	global_store_d16_hi_b16 v2, v0, s[2:3] offset:160
.LBB174_413:
	s_or_b32 exec_lo, exec_lo, s1
	v_or_b32_e32 v0, 0x60, v12
	s_delay_alu instid0(VALU_DEP_1) | instskip(NEXT) | instid1(VALU_DEP_1)
	v_cmp_gt_u32_e64 s0, 0x78, v0
	s_and_b32 s0, vcc_lo, s0
	s_delay_alu instid0(SALU_CYCLE_1)
	s_and_saveexec_b32 s1, s0
	s_cbranch_execz .LBB174_419
; %bb.414:
	v_and_b32_e32 v0, 0x7f800000, v1
	s_delay_alu instid0(VALU_DEP_1) | instskip(NEXT) | instid1(VALU_DEP_1)
	v_cmp_ne_u32_e64 s0, 0x7f800000, v0
                                        ; implicit-def: $vgpr0
	s_and_saveexec_b32 s4, s0
	s_delay_alu instid0(SALU_CYCLE_1)
	s_xor_b32 s0, exec_lo, s4
; %bb.415:
	v_bfe_u32 v0, v1, 16, 1
	s_delay_alu instid0(VALU_DEP_1)
	v_add3_u32 v0, v1, v0, 0x7fff
; %bb.416:
	s_and_not1_saveexec_b32 s4, s0
; %bb.417:
	v_and_b32_e32 v0, 0xffff, v1
	v_or_b32_e32 v2, 0x10000, v1
	s_delay_alu instid0(VALU_DEP_2) | instskip(NEXT) | instid1(VALU_DEP_1)
	v_cmp_eq_u32_e64 s0, 0, v0
	v_cndmask_b32_e64 v0, v2, v1, s0
; %bb.418:
	s_or_b32 exec_lo, exec_lo, s4
	v_lshlrev_b32_e32 v1, 1, v12
	global_store_d16_hi_b16 v1, v0, s[2:3] offset:192
.LBB174_419:
	s_or_b32 exec_lo, exec_lo, s1
	v_or_b32_e32 v0, 0x70, v12
	s_delay_alu instid0(VALU_DEP_1) | instskip(NEXT) | instid1(VALU_DEP_1)
	v_cmp_gt_u32_e64 s0, 0x78, v0
	s_and_b32 s0, vcc_lo, s0
	s_delay_alu instid0(SALU_CYCLE_1)
	s_and_b32 exec_lo, exec_lo, s0
	s_cbranch_execz .LBB174_425
; %bb.420:
	v_and_b32_e32 v0, 0x7f800000, v7
	s_mov_b32 s0, exec_lo
                                        ; implicit-def: $vgpr8
	s_delay_alu instid0(VALU_DEP_1)
	v_cmpx_ne_u32_e32 0x7f800000, v0
	s_xor_b32 s0, exec_lo, s0
; %bb.421:
	v_bfe_u32 v0, v7, 16, 1
	s_delay_alu instid0(VALU_DEP_1)
	v_add3_u32 v8, v7, v0, 0x7fff
                                        ; implicit-def: $vgpr0_vgpr1_vgpr2_vgpr3_vgpr4_vgpr5_vgpr6_vgpr7
; %bb.422:
	s_and_not1_saveexec_b32 s0, s0
; %bb.423:
	v_and_b32_e32 v0, 0xffff, v7
	v_or_b32_e32 v1, 0x10000, v7
	s_delay_alu instid0(VALU_DEP_2) | instskip(NEXT) | instid1(VALU_DEP_2)
	v_cmp_eq_u32_e32 vcc_lo, 0, v0
	v_cndmask_b32_e32 v8, v1, v7, vcc_lo
; %bb.424:
	s_or_b32 exec_lo, exec_lo, s0
	v_lshlrev_b32_e32 v0, 1, v12
	global_store_d16_hi_b16 v0, v8, s[2:3] offset:224
.LBB174_425:
	s_nop 0
	s_sendmsg sendmsg(MSG_DEALLOC_VGPRS)
	s_endpgm
.LBB174_426:
	v_lshl_add_u32 v10, v15, 2, v9
	ds_load_b32 v10, v10
	s_waitcnt lgkmcnt(0)
	v_add_f32_e32 v8, v8, v10
	s_or_b32 exec_lo, exec_lo, s0
	s_and_saveexec_b32 s0, vcc_lo
	s_cbranch_execz .LBB174_350
.LBB174_427:
	v_lshl_add_u32 v10, v15, 2, v9
	ds_load_b32 v10, v10 offset:64
	s_waitcnt lgkmcnt(0)
	v_add_f32_e32 v6, v6, v10
	s_or_b32 exec_lo, exec_lo, s0
	s_and_saveexec_b32 s0, vcc_lo
	s_cbranch_execz .LBB174_351
.LBB174_428:
	v_lshl_add_u32 v10, v15, 2, v9
	ds_load_b32 v10, v10 offset:128
	s_waitcnt lgkmcnt(0)
	v_add_f32_e32 v5, v5, v10
	s_or_b32 exec_lo, exec_lo, s0
	s_and_saveexec_b32 s0, vcc_lo
	s_cbranch_execz .LBB174_352
.LBB174_429:
	v_lshl_add_u32 v10, v15, 2, v9
	ds_load_b32 v10, v10 offset:192
	s_waitcnt lgkmcnt(0)
	v_add_f32_e32 v4, v4, v10
	s_or_b32 exec_lo, exec_lo, s0
	s_and_saveexec_b32 s0, vcc_lo
	s_cbranch_execz .LBB174_353
.LBB174_430:
	v_lshl_add_u32 v10, v15, 2, v9
	ds_load_b32 v10, v10 offset:256
	s_waitcnt lgkmcnt(0)
	v_add_f32_e32 v3, v3, v10
	s_or_b32 exec_lo, exec_lo, s0
	s_and_saveexec_b32 s0, vcc_lo
	s_cbranch_execz .LBB174_354
.LBB174_431:
	v_lshl_add_u32 v10, v15, 2, v9
	ds_load_b32 v10, v10 offset:320
	s_waitcnt lgkmcnt(0)
	v_add_f32_e32 v2, v2, v10
	s_or_b32 exec_lo, exec_lo, s0
	s_and_saveexec_b32 s0, vcc_lo
	s_cbranch_execnz .LBB174_355
	s_branch .LBB174_356
.LBB174_432:
	ds_load_b32 v9, v0
	s_waitcnt lgkmcnt(0)
	v_add_f32_e32 v8, v8, v9
	s_or_b32 exec_lo, exec_lo, s1
	s_and_saveexec_b32 s1, vcc_lo
	s_cbranch_execz .LBB174_367
.LBB174_433:
	ds_load_b32 v9, v0 offset:64
	s_waitcnt lgkmcnt(0)
	v_add_f32_e32 v6, v6, v9
	s_or_b32 exec_lo, exec_lo, s1
	s_and_saveexec_b32 s1, vcc_lo
	s_cbranch_execz .LBB174_368
.LBB174_434:
	ds_load_b32 v9, v0 offset:128
	s_waitcnt lgkmcnt(0)
	v_add_f32_e32 v5, v5, v9
	s_or_b32 exec_lo, exec_lo, s1
	s_and_saveexec_b32 s1, vcc_lo
	s_cbranch_execz .LBB174_369
.LBB174_435:
	ds_load_b32 v9, v0 offset:192
	s_waitcnt lgkmcnt(0)
	v_add_f32_e32 v4, v4, v9
	s_or_b32 exec_lo, exec_lo, s1
	s_and_saveexec_b32 s1, vcc_lo
	s_cbranch_execz .LBB174_370
.LBB174_436:
	ds_load_b32 v9, v0 offset:256
	s_waitcnt lgkmcnt(0)
	v_add_f32_e32 v3, v3, v9
	s_or_b32 exec_lo, exec_lo, s1
	s_and_saveexec_b32 s1, vcc_lo
	s_cbranch_execz .LBB174_371
.LBB174_437:
	ds_load_b32 v9, v0 offset:320
	s_waitcnt lgkmcnt(0)
	v_add_f32_e32 v2, v2, v9
	s_or_b32 exec_lo, exec_lo, s1
	s_and_saveexec_b32 s1, vcc_lo
	s_cbranch_execnz .LBB174_372
	s_branch .LBB174_373
	.section	.rodata,"a",@progbits
	.p2align	6, 0x0
	.amdhsa_kernel _ZN4vllm25paged_attention_v2_kernelI14__hip_bfloat16S1_Li120ELi16ELi128ELNS_18Fp8KVCacheDataTypeE0ELb0ELi512EEEvPfS3_PT_PKS4_PKT0_SA_ifPKiSC_iPKfiiiSE_SE_iiiii
		.amdhsa_group_segment_fixed_size 272
		.amdhsa_private_segment_fixed_size 0
		.amdhsa_kernarg_size 400
		.amdhsa_user_sgpr_count 13
		.amdhsa_user_sgpr_dispatch_ptr 0
		.amdhsa_user_sgpr_queue_ptr 0
		.amdhsa_user_sgpr_kernarg_segment_ptr 1
		.amdhsa_user_sgpr_dispatch_id 0
		.amdhsa_user_sgpr_private_segment_size 0
		.amdhsa_wavefront_size32 1
		.amdhsa_uses_dynamic_stack 0
		.amdhsa_enable_private_segment 0
		.amdhsa_system_sgpr_workgroup_id_x 1
		.amdhsa_system_sgpr_workgroup_id_y 1
		.amdhsa_system_sgpr_workgroup_id_z 1
		.amdhsa_system_sgpr_workgroup_info 0
		.amdhsa_system_vgpr_workitem_id 0
		.amdhsa_next_free_vgpr 130
		.amdhsa_next_free_sgpr 38
		.amdhsa_reserve_vcc 1
		.amdhsa_float_round_mode_32 0
		.amdhsa_float_round_mode_16_64 0
		.amdhsa_float_denorm_mode_32 3
		.amdhsa_float_denorm_mode_16_64 3
		.amdhsa_dx10_clamp 1
		.amdhsa_ieee_mode 1
		.amdhsa_fp16_overflow 0
		.amdhsa_workgroup_processor_mode 1
		.amdhsa_memory_ordered 1
		.amdhsa_forward_progress 0
		.amdhsa_shared_vgpr_count 0
		.amdhsa_exception_fp_ieee_invalid_op 0
		.amdhsa_exception_fp_denorm_src 0
		.amdhsa_exception_fp_ieee_div_zero 0
		.amdhsa_exception_fp_ieee_overflow 0
		.amdhsa_exception_fp_ieee_underflow 0
		.amdhsa_exception_fp_ieee_inexact 0
		.amdhsa_exception_int_div_zero 0
	.end_amdhsa_kernel
	.section	.text._ZN4vllm25paged_attention_v2_kernelI14__hip_bfloat16S1_Li120ELi16ELi128ELNS_18Fp8KVCacheDataTypeE0ELb0ELi512EEEvPfS3_PT_PKS4_PKT0_SA_ifPKiSC_iPKfiiiSE_SE_iiiii,"axG",@progbits,_ZN4vllm25paged_attention_v2_kernelI14__hip_bfloat16S1_Li120ELi16ELi128ELNS_18Fp8KVCacheDataTypeE0ELb0ELi512EEEvPfS3_PT_PKS4_PKT0_SA_ifPKiSC_iPKfiiiSE_SE_iiiii,comdat
.Lfunc_end174:
	.size	_ZN4vllm25paged_attention_v2_kernelI14__hip_bfloat16S1_Li120ELi16ELi128ELNS_18Fp8KVCacheDataTypeE0ELb0ELi512EEEvPfS3_PT_PKS4_PKT0_SA_ifPKiSC_iPKfiiiSE_SE_iiiii, .Lfunc_end174-_ZN4vllm25paged_attention_v2_kernelI14__hip_bfloat16S1_Li120ELi16ELi128ELNS_18Fp8KVCacheDataTypeE0ELb0ELi512EEEvPfS3_PT_PKS4_PKT0_SA_ifPKiSC_iPKfiiiSE_SE_iiiii
                                        ; -- End function
	.section	.AMDGPU.csdata,"",@progbits
; Kernel info:
; codeLenInByte = 17440
; NumSgprs: 40
; NumVgprs: 130
; ScratchSize: 0
; MemoryBound: 0
; FloatMode: 240
; IeeeMode: 1
; LDSByteSize: 272 bytes/workgroup (compile time only)
; SGPRBlocks: 4
; VGPRBlocks: 16
; NumSGPRsForWavesPerEU: 40
; NumVGPRsForWavesPerEU: 130
; Occupancy: 10
; WaveLimiterHint : 1
; COMPUTE_PGM_RSRC2:SCRATCH_EN: 0
; COMPUTE_PGM_RSRC2:USER_SGPR: 13
; COMPUTE_PGM_RSRC2:TRAP_HANDLER: 0
; COMPUTE_PGM_RSRC2:TGID_X_EN: 1
; COMPUTE_PGM_RSRC2:TGID_Y_EN: 1
; COMPUTE_PGM_RSRC2:TGID_Z_EN: 1
; COMPUTE_PGM_RSRC2:TIDIG_COMP_CNT: 0
	.section	.text._ZN4vllm25paged_attention_v2_kernelI14__hip_bfloat16S1_Li128ELi16ELi128ELNS_18Fp8KVCacheDataTypeE0ELb0ELi512EEEvPfS3_PT_PKS4_PKT0_SA_ifPKiSC_iPKfiiiSE_SE_iiiii,"axG",@progbits,_ZN4vllm25paged_attention_v2_kernelI14__hip_bfloat16S1_Li128ELi16ELi128ELNS_18Fp8KVCacheDataTypeE0ELb0ELi512EEEvPfS3_PT_PKS4_PKT0_SA_ifPKiSC_iPKfiiiSE_SE_iiiii,comdat
	.protected	_ZN4vllm25paged_attention_v2_kernelI14__hip_bfloat16S1_Li128ELi16ELi128ELNS_18Fp8KVCacheDataTypeE0ELb0ELi512EEEvPfS3_PT_PKS4_PKT0_SA_ifPKiSC_iPKfiiiSE_SE_iiiii ; -- Begin function _ZN4vllm25paged_attention_v2_kernelI14__hip_bfloat16S1_Li128ELi16ELi128ELNS_18Fp8KVCacheDataTypeE0ELb0ELi512EEEvPfS3_PT_PKS4_PKT0_SA_ifPKiSC_iPKfiiiSE_SE_iiiii
	.globl	_ZN4vllm25paged_attention_v2_kernelI14__hip_bfloat16S1_Li128ELi16ELi128ELNS_18Fp8KVCacheDataTypeE0ELb0ELi512EEEvPfS3_PT_PKS4_PKT0_SA_ifPKiSC_iPKfiiiSE_SE_iiiii
	.p2align	8
	.type	_ZN4vllm25paged_attention_v2_kernelI14__hip_bfloat16S1_Li128ELi16ELi128ELNS_18Fp8KVCacheDataTypeE0ELb0ELi512EEEvPfS3_PT_PKS4_PKT0_SA_ifPKiSC_iPKfiiiSE_SE_iiiii,@function
_ZN4vllm25paged_attention_v2_kernelI14__hip_bfloat16S1_Li128ELi16ELi128ELNS_18Fp8KVCacheDataTypeE0ELb0ELi512EEEvPfS3_PT_PKS4_PKT0_SA_ifPKiSC_iPKfiiiSE_SE_iiiii: ; @_ZN4vllm25paged_attention_v2_kernelI14__hip_bfloat16S1_Li128ELi16ELi128ELNS_18Fp8KVCacheDataTypeE0ELb0ELi512EEEvPfS3_PT_PKS4_PKT0_SA_ifPKiSC_iPKfiiiSE_SE_iiiii
; %bb.0:
	s_load_b64 s[2:3], s[0:1], 0x40
	s_mov_b32 s12, s15
	s_ashr_i32 s15, s14, 31
	s_delay_alu instid0(SALU_CYCLE_1)
	s_lshl_b64 s[4:5], s[14:15], 2
	s_waitcnt lgkmcnt(0)
	s_add_u32 s2, s2, s4
	s_addc_u32 s3, s3, s5
	s_lshl_b32 s31, s12, 9
	s_load_b32 s30, s[2:3], 0x0
	s_waitcnt lgkmcnt(0)
	s_cmp_ge_i32 s31, s30
	s_cbranch_scc1 .LBB175_399
; %bb.1:
	s_clause 0x1
	s_load_b32 s15, s[0:1], 0x90
	s_load_b64 s[28:29], s[0:1], 0x30
	s_mov_b32 s20, s13
	s_mov_b32 s33, 0
	s_waitcnt lgkmcnt(0)
	s_abs_i32 s5, s15
	s_abs_i32 s2, s28
	s_delay_alu instid0(SALU_CYCLE_1) | instskip(SKIP_1) | instid1(VALU_DEP_1)
	v_cvt_f32_u32_e32 v1, s2
	s_sub_i32 s4, 0, s2
	v_rcp_iflag_f32_e32 v1, v1
	s_waitcnt_depctr 0xfff
	v_mul_f32_e32 v1, 0x4f7ffffe, v1
	s_delay_alu instid0(VALU_DEP_1) | instskip(NEXT) | instid1(VALU_DEP_1)
	v_cvt_u32_f32_e32 v1, v1
	v_readfirstlane_b32 s3, v1
	s_delay_alu instid0(VALU_DEP_1) | instskip(NEXT) | instid1(SALU_CYCLE_1)
	s_mul_i32 s4, s4, s3
	s_mul_hi_u32 s4, s3, s4
	s_delay_alu instid0(SALU_CYCLE_1) | instskip(SKIP_4) | instid1(SALU_CYCLE_1)
	s_add_i32 s3, s3, s4
	s_xor_b32 s4, s15, s28
	s_mul_hi_u32 s3, s5, s3
	s_ashr_i32 s4, s4, 31
	s_mul_i32 s6, s3, s2
	s_sub_i32 s5, s5, s6
	s_add_i32 s6, s3, 1
	s_sub_i32 s7, s5, s2
	s_cmp_ge_u32 s5, s2
	s_cselect_b32 s3, s6, s3
	s_cselect_b32 s5, s7, s5
	s_add_i32 s6, s3, 1
	s_cmp_ge_u32 s5, s2
	s_cselect_b32 s2, s6, s3
	s_abs_i32 s10, s13
	s_xor_b32 s2, s2, s4
	s_delay_alu instid0(SALU_CYCLE_1) | instskip(SKIP_2) | instid1(SALU_CYCLE_1)
	s_sub_i32 s11, s2, s4
	s_load_b64 s[2:3], s[0:1], 0x50
	s_abs_i32 s8, s11
	v_cvt_f32_u32_e32 v1, s8
	s_sub_i32 s5, 0, s8
	s_delay_alu instid0(VALU_DEP_1) | instskip(SKIP_2) | instid1(VALU_DEP_1)
	v_rcp_iflag_f32_e32 v1, v1
	s_waitcnt_depctr 0xfff
	v_mul_f32_e32 v1, 0x4f7ffffe, v1
	v_cvt_u32_f32_e32 v1, v1
	s_delay_alu instid0(VALU_DEP_1) | instskip(NEXT) | instid1(VALU_DEP_1)
	v_readfirstlane_b32 s4, v1
	s_mul_i32 s5, s5, s4
	s_delay_alu instid0(SALU_CYCLE_1) | instskip(NEXT) | instid1(SALU_CYCLE_1)
	s_mul_hi_u32 s5, s4, s5
	s_add_i32 s4, s4, s5
	s_waitcnt lgkmcnt(0)
	s_cmp_eq_u64 s[2:3], 0
	s_mul_hi_u32 s9, s10, s4
	s_cbranch_scc1 .LBB175_3
; %bb.2:
	s_ashr_i32 s21, s20, 31
	s_delay_alu instid0(SALU_CYCLE_1) | instskip(NEXT) | instid1(SALU_CYCLE_1)
	s_lshl_b64 s[4:5], s[20:21], 2
	s_add_u32 s2, s2, s4
	s_addc_u32 s3, s3, s5
	s_load_b32 s33, s[2:3], 0x0
.LBB175_3:
	s_load_b128 s[4:7], s[0:1], 0x58
	v_lshrrev_b32_e32 v12, 1, v0
	v_and_b32_e32 v13, 1, v0
	v_cmp_gt_u32_e64 s2, 32, v0
	v_lshlrev_b32_e32 v3, 3, v0
	s_ashr_i32 s3, s20, 31
	s_waitcnt lgkmcnt(0)
	s_ashr_i32 s7, s11, 31
	s_lshl_b32 s16, s20, 7
	s_and_saveexec_b32 s11, s2
	s_cbranch_execz .LBB175_5
; %bb.4:
	s_load_b64 s[18:19], s[0:1], 0x18
	s_mul_i32 s22, s14, s4
	v_lshlrev_b32_e32 v4, 3, v12
	s_ashr_i32 s23, s22, 31
	s_delay_alu instid0(SALU_CYCLE_1) | instskip(NEXT) | instid1(VALU_DEP_1)
	s_lshl_b64 s[22:23], s[22:23], 1
	v_lshl_add_u32 v4, v13, 7, v4
	s_waitcnt lgkmcnt(0)
	s_add_u32 s4, s18, s22
	s_addc_u32 s13, s19, s23
	s_ashr_i32 s17, s16, 31
	s_delay_alu instid0(SALU_CYCLE_1) | instskip(NEXT) | instid1(SALU_CYCLE_1)
	s_lshl_b64 s[18:19], s[16:17], 1
	s_add_u32 s18, s4, s18
	s_addc_u32 s19, s13, s19
	global_load_b64 v[1:2], v3, s[18:19]
	s_waitcnt vmcnt(0)
	ds_store_b64 v4, v[1:2]
.LBB175_5:
	s_or_b32 exec_lo, exec_lo, s11
	s_add_i32 s4, s30, 15
	s_lshl_b32 s13, s12, 5
	s_ashr_i32 s11, s4, 31
	s_xor_b32 s3, s3, s7
	s_lshr_b32 s11, s11, 28
	s_add_i32 s7, s13, 32
	s_add_i32 s4, s4, s11
	v_lshrrev_b32_e32 v14, 5, v0
	s_ashr_i32 s28, s4, 4
	s_mul_i32 s4, s9, s8
	s_min_i32 s21, s7, s28
	s_clause 0x1
	s_load_b64 s[22:23], s[0:1], 0x38
	s_load_b32 s7, s[0:1], 0x48
	s_sub_i32 s4, s10, s4
	s_add_i32 s10, s9, 1
	s_sub_i32 s11, s4, s8
	s_cmp_ge_u32 s4, s8
	v_or_b32_e32 v9, s13, v14
	s_cselect_b32 s9, s10, s9
	s_cselect_b32 s4, s11, s4
	s_add_i32 s10, s9, 1
	s_cmp_ge_u32 s4, s8
	v_mbcnt_lo_u32_b32 v4, -1, 0
	s_cselect_b32 s4, s10, s9
	s_mov_b32 s8, exec_lo
	s_xor_b32 s4, s4, s3
	s_waitcnt lgkmcnt(0)
	s_sub_i32 s4, s4, s3
	v_cmp_gt_i32_e64 s3, s21, v9
	s_barrier
	buffer_gl0_inv
                                        ; implicit-def: $vgpr5
	s_mul_i32 s24, s14, s7
                                        ; implicit-def: $sgpr7
	s_delay_alu instid0(SALU_CYCLE_1)
	s_ashr_i32 s25, s24, 31
	v_cmpx_le_i32_e64 s21, v9
	s_xor_b32 s8, exec_lo, s8
; %bb.6:
	v_mbcnt_lo_u32_b32 v4, -1, 0
	v_mov_b32_e32 v5, 32
	s_mov_b32 s7, 0xff7fffff
; %bb.7:
	s_or_saveexec_b32 s34, s8
	s_clause 0x3
	s_load_b128 s[8:11], s[0:1], 0x0
	s_load_b64 s[18:19], s[0:1], 0x10
	s_load_b64 s[26:27], s[0:1], 0x28
	s_load_b32 s17, s[0:1], 0x98
	v_mov_b32_e32 v68, s7
	v_ashrrev_i32_e32 v10, 31, v9
	s_mul_i32 s6, s4, s6
	s_xor_b32 exec_lo, exec_lo, s34
	s_cbranch_execz .LBB175_13
; %bb.8:
	v_lshlrev_b32_e32 v1, 7, v13
	s_load_b64 s[0:1], s[0:1], 0x20
	v_bfe_u32 v2, v0, 1, 4
	s_ashr_i32 s7, s6, 31
	v_and_b32_e32 v5, 8, v3
	ds_load_b128 v[15:18], v1
	ds_load_b128 v[25:28], v1 offset:16
	ds_load_b128 v[33:36], v1 offset:32
	;; [unrolled: 1-line block ×5, first 2 shown]
	s_lshl_b64 s[36:37], s[6:7], 1
	s_mov_b32 s35, 0
	v_mov_b32_e32 v81, v9
	s_waitcnt lgkmcnt(0)
	s_add_u32 s0, s0, s36
	s_addc_u32 s1, s1, s37
	s_lshl_b64 s[36:37], s[24:25], 2
	s_sub_i32 s7, 1, s30
	v_and_b32_e32 v7, 0xffff0000, v15
	v_lshlrev_b32_e32 v8, 16, v16
	v_lshlrev_b32_e32 v69, 16, v68
	v_and_b32_e32 v70, 0xffff0000, v68
	v_lshlrev_b32_e32 v68, 4, v14
	v_lshlrev_b32_e32 v61, 16, v65
	v_and_b32_e32 v62, 0xffff0000, v65
	v_and_b32_e32 v11, 0xffff0000, v16
	;; [unrolled: 1-line block ×3, first 2 shown]
	v_add3_u32 v79, s31, v68, v2
	v_mov_b32_e32 v68, 0xff7fffff
	ds_load_b128 v[49:52], v1 offset:64
	ds_load_b128 v[57:60], v1 offset:80
	v_xor_b32_e32 v1, 1, v4
	v_lshlrev_b32_e32 v6, 4, v2
	v_lshlrev_b32_e32 v21, 16, v25
	v_and_b32_e32 v22, 0xffff0000, v25
	v_lshlrev_b32_e32 v23, 16, v26
	v_and_b32_e32 v24, 0xffff0000, v26
	v_add_co_u32 v19, s0, s0, v6
	s_delay_alu instid0(VALU_DEP_1) | instskip(SKIP_1) | instid1(VALU_DEP_2)
	v_add_co_ci_u32_e64 v20, null, s1, 0, s0
	s_add_u32 s1, s22, s36
	v_add_co_u32 v19, vcc_lo, v19, v5
	s_delay_alu instid0(VALU_DEP_2)
	v_add_co_ci_u32_e32 v20, vcc_lo, 0, v20, vcc_lo
	v_cmp_gt_i32_e32 vcc_lo, 32, v1
	s_addc_u32 s4, s23, s37
	v_dual_mov_b32 v5, 32 :: v_dual_lshlrev_b32 v6, 16, v15
	v_lshlrev_b32_e32 v15, 16, v17
	v_cndmask_b32_e32 v1, v4, v1, vcc_lo
	v_lshlrev_b32_e32 v17, 16, v18
	v_and_b32_e32 v18, 0xffff0000, v18
	v_lshlrev_b32_e32 v25, 16, v27
	v_and_b32_e32 v26, 0xffff0000, v27
	v_lshlrev_b32_e32 v65, 2, v1
	v_lshlrev_b32_e32 v1, 2, v2
	;; [unrolled: 1-line block ×3, first 2 shown]
	v_and_b32_e32 v28, 0xffff0000, v28
	v_lshlrev_b32_e32 v29, 16, v33
	v_and_b32_e32 v30, 0xffff0000, v33
	v_lshl_or_b32 v80, v14, 6, v1
	v_lshlrev_b64 v[1:2], 2, v[9:10]
	v_lshlrev_b32_e32 v31, 16, v34
	v_and_b32_e32 v32, 0xffff0000, v34
	v_lshlrev_b32_e32 v33, 16, v35
	v_and_b32_e32 v34, 0xffff0000, v35
	v_lshlrev_b32_e32 v35, 16, v36
	v_add_co_u32 v1, s1, s1, v1
	v_and_b32_e32 v36, 0xffff0000, v36
	v_lshlrev_b32_e32 v37, 16, v41
	v_and_b32_e32 v38, 0xffff0000, v41
	v_lshlrev_b32_e32 v39, 16, v42
	;; [unrolled: 2-line block ×4, first 2 shown]
	v_and_b32_e32 v44, 0xffff0000, v44
	s_waitcnt lgkmcnt(1)
	v_lshlrev_b32_e32 v45, 16, v49
	v_and_b32_e32 v46, 0xffff0000, v49
	v_lshlrev_b32_e32 v47, 16, v50
	v_and_b32_e32 v48, 0xffff0000, v50
	;; [unrolled: 2-line block ×4, first 2 shown]
	s_waitcnt lgkmcnt(0)
	v_lshlrev_b32_e32 v53, 16, v57
	v_and_b32_e32 v54, 0xffff0000, v57
	v_lshlrev_b32_e32 v55, 16, v58
	v_and_b32_e32 v56, 0xffff0000, v58
	;; [unrolled: 2-line block ×5, first 2 shown]
	v_cmp_eq_u32_e32 vcc_lo, 0, v13
	v_cmp_neq_f32_e64 s0, s33, 0
	v_lshlrev_b32_e32 v66, 16, v67
	v_and_b32_e32 v67, 0xffff0000, v67
	v_lshlrev_b32_e32 v71, 16, v75
	v_and_b32_e32 v72, 0xffff0000, v75
	;; [unrolled: 2-line block ×5, first 2 shown]
	v_add_nc_u32_e32 v80, 0x120, v80
	v_add_co_ci_u32_e64 v2, s1, s4, v2, s1
	s_mov_b32 s36, s5
	s_branch .LBB175_10
.LBB175_9:                              ;   in Loop: Header=BB175_10 Depth=1
	s_or_b32 exec_lo, exec_lo, s4
	v_add_nc_u32_e32 v81, 4, v81
	v_add_co_u32 v1, s4, v1, 16
	v_add_nc_u32_e32 v79, 64, v79
	v_add_nc_u32_e32 v80, 0x100, v80
	s_delay_alu instid0(VALU_DEP_4) | instskip(SKIP_1) | instid1(VALU_DEP_2)
	v_cmp_le_i32_e64 s1, s21, v81
	v_add_co_ci_u32_e64 v2, s4, 0, v2, s4
	s_or_b32 s35, s1, s35
	s_delay_alu instid0(SALU_CYCLE_1)
	s_and_not1_b32 exec_lo, exec_lo, s35
	s_cbranch_execz .LBB175_12
.LBB175_10:                             ; =>This Inner Loop Header: Depth=1
	global_load_b32 v84, v[1:2], off
	s_waitcnt vmcnt(0) lgkmcnt(0)
	v_mad_i64_i32 v[82:83], null, v84, s36, 0
	s_delay_alu instid0(VALU_DEP_1) | instskip(NEXT) | instid1(VALU_DEP_1)
	v_lshlrev_b64 v[82:83], 1, v[82:83]
	v_add_co_u32 v82, s1, v19, v82
	s_delay_alu instid0(VALU_DEP_1)
	v_add_co_ci_u32_e64 v83, s1, v20, v83, s1
	s_clause 0xb
	global_load_b64 v[84:85], v[82:83], off
	global_load_b64 v[86:87], v[82:83], off offset:256
	global_load_b64 v[88:89], v[82:83], off offset:512
	;; [unrolled: 1-line block ×11, first 2 shown]
	s_waitcnt vmcnt(10)
	v_lshlrev_b32_e32 v111, 16, v87
	v_and_b32_e32 v87, 0xffff0000, v87
	v_lshlrev_b32_e32 v110, 16, v86
	v_lshlrev_b32_e32 v108, 16, v84
	;; [unrolled: 1-line block ×3, first 2 shown]
	s_delay_alu instid0(VALU_DEP_3) | instskip(SKIP_2) | instid1(VALU_DEP_3)
	v_dual_mul_f32 v111, v17, v111 :: v_dual_mul_f32 v110, v15, v110
	v_and_b32_e32 v84, 0xffff0000, v84
	v_and_b32_e32 v85, 0xffff0000, v85
	v_fmac_f32_e32 v111, v8, v109
	v_mul_f32_e32 v109, v18, v87
	v_fmac_f32_e32 v110, v6, v108
	v_and_b32_e32 v86, 0xffff0000, v86
	s_waitcnt vmcnt(9)
	v_lshlrev_b32_e32 v113, 16, v89
	v_dual_fmac_f32 v109, v11, v85 :: v_dual_lshlrev_b32 v112, 16, v88
	s_delay_alu instid0(VALU_DEP_2)
	v_dual_mul_f32 v108, v16, v86 :: v_dual_fmac_f32 v111, v23, v113
	global_load_b64 v[86:87], v[82:83], off offset:3328
	s_waitcnt vmcnt(9)
	v_dual_fmac_f32 v110, v21, v112 :: v_dual_lshlrev_b32 v115, 16, v91
	v_fmac_f32_e32 v108, v7, v84
	global_load_b64 v[84:85], v[82:83], off offset:3072
	v_dual_fmac_f32 v111, v27, v115 :: v_dual_and_b32 v114, 0xffff0000, v89
	s_delay_alu instid0(VALU_DEP_1) | instskip(NEXT) | instid1(VALU_DEP_1)
	v_dual_fmac_f32 v109, v24, v114 :: v_dual_and_b32 v88, 0xffff0000, v88
	v_dual_fmac_f32 v108, v22, v88 :: v_dual_lshlrev_b32 v89, 16, v90
	v_and_b32_e32 v91, 0xffff0000, v91
	v_and_b32_e32 v90, 0xffff0000, v90
	s_delay_alu instid0(VALU_DEP_3)
	v_fmac_f32_e32 v110, v25, v89
	s_clause 0x1
	global_load_b64 v[88:89], v[82:83], off offset:3584
	global_load_b64 v[82:83], v[82:83], off offset:3840
	s_waitcnt vmcnt(11)
	v_lshlrev_b32_e32 v117, 16, v93
	v_dual_fmac_f32 v109, v28, v91 :: v_dual_lshlrev_b32 v116, 16, v92
	v_dual_fmac_f32 v108, v26, v90 :: v_dual_and_b32 v93, 0xffff0000, v93
	s_delay_alu instid0(VALU_DEP_3) | instskip(SKIP_1) | instid1(VALU_DEP_3)
	v_dual_fmac_f32 v111, v31, v117 :: v_dual_and_b32 v92, 0xffff0000, v92
	s_waitcnt vmcnt(10)
	v_dual_fmac_f32 v110, v29, v116 :: v_dual_lshlrev_b32 v119, 16, v95
	s_delay_alu instid0(VALU_DEP_3) | instskip(NEXT) | instid1(VALU_DEP_3)
	v_dual_fmac_f32 v109, v32, v93 :: v_dual_lshlrev_b32 v118, 16, v94
	v_dual_fmac_f32 v108, v30, v92 :: v_dual_and_b32 v95, 0xffff0000, v95
	s_delay_alu instid0(VALU_DEP_3) | instskip(SKIP_1) | instid1(VALU_DEP_3)
	v_dual_fmac_f32 v111, v35, v119 :: v_dual_and_b32 v94, 0xffff0000, v94
	s_waitcnt vmcnt(9)
	v_dual_fmac_f32 v110, v33, v118 :: v_dual_lshlrev_b32 v121, 16, v97
	s_delay_alu instid0(VALU_DEP_3) | instskip(NEXT) | instid1(VALU_DEP_3)
	;; [unrolled: 7-line block ×7, first 2 shown]
	v_dual_fmac_f32 v109, v56, v105 :: v_dual_lshlrev_b32 v130, 16, v106
	v_dual_fmac_f32 v108, v54, v104 :: v_dual_and_b32 v107, 0xffff0000, v107
	s_delay_alu instid0(VALU_DEP_3) | instskip(NEXT) | instid1(VALU_DEP_2)
	v_dual_fmac_f32 v111, v59, v131 :: v_dual_and_b32 v106, 0xffff0000, v106
	v_dual_fmac_f32 v110, v57, v130 :: v_dual_fmac_f32 v109, v60, v107
	s_waitcnt vmcnt(3)
	s_delay_alu instid0(VALU_DEP_2) | instskip(SKIP_4) | instid1(VALU_DEP_1)
	v_dual_fmac_f32 v108, v58, v106 :: v_dual_lshlrev_b32 v91, 16, v87
	v_and_b32_e32 v87, 0xffff0000, v87
	s_waitcnt vmcnt(2)
	v_lshlrev_b32_e32 v112, 16, v85
	v_and_b32_e32 v85, 0xffff0000, v85
	v_dual_fmac_f32 v109, v64, v85 :: v_dual_lshlrev_b32 v90, 16, v84
	s_delay_alu instid0(VALU_DEP_1) | instskip(NEXT) | instid1(VALU_DEP_4)
	v_dual_fmac_f32 v110, v61, v90 :: v_dual_fmac_f32 v109, v70, v87
	v_dual_fmac_f32 v111, v63, v112 :: v_dual_lshlrev_b32 v92, 16, v86
	v_and_b32_e32 v84, 0xffff0000, v84
	s_waitcnt vmcnt(1)
	v_lshlrev_b32_e32 v94, 16, v89
	v_and_b32_e32 v89, 0xffff0000, v89
	v_dual_fmac_f32 v111, v69, v91 :: v_dual_and_b32 v86, 0xffff0000, v86
	v_fmac_f32_e32 v108, v62, v84
	v_fmac_f32_e32 v110, v66, v92
	s_delay_alu instid0(VALU_DEP_4)
	v_fmac_f32_e32 v109, v74, v89
	v_lshlrev_b32_e32 v93, 16, v88
	v_dual_fmac_f32 v111, v73, v94 :: v_dual_and_b32 v88, 0xffff0000, v88
	s_waitcnt vmcnt(0)
	v_dual_fmac_f32 v108, v67, v86 :: v_dual_lshlrev_b32 v85, 16, v83
	v_lshlrev_b32_e32 v84, 16, v82
	v_and_b32_e32 v82, 0xffff0000, v82
	v_fmac_f32_e32 v110, v71, v93
	s_delay_alu instid0(VALU_DEP_4) | instskip(NEXT) | instid1(VALU_DEP_1)
	v_dual_fmac_f32 v108, v72, v88 :: v_dual_fmac_f32 v111, v77, v85
	v_fmac_f32_e32 v108, v76, v82
	v_and_b32_e32 v82, 0xffff0000, v83
	s_delay_alu instid0(VALU_DEP_1) | instskip(NEXT) | instid1(VALU_DEP_1)
	v_dual_fmac_f32 v110, v75, v84 :: v_dual_fmac_f32 v109, v78, v82
	v_add_f32_e32 v83, v110, v108
	s_delay_alu instid0(VALU_DEP_1) | instskip(NEXT) | instid1(VALU_DEP_1)
	v_add_f32_e32 v82, v83, v111
	v_add_f32_e32 v82, v109, v82
	ds_bpermute_b32 v83, v65, v82
	s_and_saveexec_b32 s4, vcc_lo
	s_cbranch_execz .LBB175_9
; %bb.11:                               ;   in Loop: Header=BB175_10 Depth=1
	s_waitcnt lgkmcnt(0)
	v_add_f32_e32 v82, v82, v83
	v_add_nc_u32_e32 v84, s7, v79
	v_cmp_gt_i32_e64 s1, s30, v79
	s_delay_alu instid0(VALU_DEP_2) | instskip(NEXT) | instid1(VALU_DEP_1)
	v_cvt_f32_i32_e32 v84, v84
	v_mul_f32_e32 v84, s33, v84
	s_delay_alu instid0(VALU_DEP_1) | instskip(NEXT) | instid1(VALU_DEP_1)
	v_cndmask_b32_e64 v83, 0, v84, s0
	v_dual_max_f32 v84, v68, v68 :: v_dual_fmac_f32 v83, s29, v82
	s_delay_alu instid0(VALU_DEP_1) | instskip(SKIP_1) | instid1(VALU_DEP_2)
	v_max_f32_e32 v82, v84, v83
	v_cndmask_b32_e64 v83, 0, v83, s1
	v_cndmask_b32_e64 v68, v68, v82, s1
	ds_store_b32 v80, v83
	s_branch .LBB175_9
.LBB175_12:
	s_or_b32 exec_lo, exec_lo, s35
.LBB175_13:
	s_delay_alu instid0(SALU_CYCLE_1) | instskip(SKIP_4) | instid1(VALU_DEP_4)
	s_or_b32 exec_lo, exec_lo, s34
	v_xor_b32_e32 v1, 16, v4
	v_xor_b32_e32 v2, 8, v4
	v_xor_b32_e32 v11, 2, v4
	v_and_b32_e32 v15, 31, v0
	v_cmp_lt_i32_e32 vcc_lo, v1, v5
	v_cndmask_b32_e32 v1, v4, v1, vcc_lo
	v_cmp_lt_i32_e32 vcc_lo, v2, v5
	s_delay_alu instid0(VALU_DEP_2) | instskip(SKIP_4) | instid1(VALU_DEP_1)
	v_lshlrev_b32_e32 v6, 2, v1
	v_cndmask_b32_e32 v2, v4, v2, vcc_lo
	ds_bpermute_b32 v1, v6, v68
	s_waitcnt lgkmcnt(0)
	v_dual_max_f32 v8, v68, v68 :: v_dual_max_f32 v1, v1, v1
	v_max_f32_e32 v1, v8, v1
	v_xor_b32_e32 v8, 4, v4
	s_delay_alu instid0(VALU_DEP_1) | instskip(SKIP_2) | instid1(VALU_DEP_2)
	v_cmp_lt_i32_e32 vcc_lo, v8, v5
	v_dual_cndmask_b32 v8, v4, v8 :: v_dual_lshlrev_b32 v7, 2, v2
	v_cmp_lt_i32_e32 vcc_lo, v11, v5
	v_lshlrev_b32_e32 v8, 2, v8
	ds_bpermute_b32 v2, v7, v1
	v_cndmask_b32_e32 v11, v4, v11, vcc_lo
	v_cmp_eq_u32_e32 vcc_lo, 0, v15
	s_waitcnt lgkmcnt(0)
	v_max_f32_e32 v2, v2, v2
	s_delay_alu instid0(VALU_DEP_1) | instskip(SKIP_3) | instid1(VALU_DEP_1)
	v_max_f32_e32 v1, v1, v2
	ds_bpermute_b32 v2, v8, v1
	s_waitcnt lgkmcnt(0)
	v_max_f32_e32 v2, v2, v2
	v_dual_max_f32 v1, v1, v2 :: v_dual_lshlrev_b32 v2, 2, v11
	v_lshlrev_b32_e32 v11, 2, v14
	ds_bpermute_b32 v16, v2, v1
	s_and_saveexec_b32 s0, vcc_lo
	s_cbranch_execz .LBB175_15
; %bb.14:
	s_waitcnt lgkmcnt(0)
	v_dual_max_f32 v16, v16, v16 :: v_dual_max_f32 v1, v1, v1
	s_delay_alu instid0(VALU_DEP_1)
	v_max_f32_e32 v1, v1, v16
	ds_store_b32 v11, v1 offset:256
.LBB175_15:
	s_or_b32 exec_lo, exec_lo, s0
	v_cmp_gt_u32_e64 s0, 4, v15
	v_mov_b32_e32 v1, 0xff7fffff
	v_lshlrev_b32_e32 v17, 2, v15
	s_waitcnt lgkmcnt(0)
	s_barrier
	buffer_gl0_inv
	s_and_saveexec_b32 s1, s0
	s_cbranch_execz .LBB175_17
; %bb.16:
	ds_load_b32 v1, v17 offset:256
.LBB175_17:
	s_or_b32 exec_lo, exec_lo, s1
	s_waitcnt lgkmcnt(0)
	ds_bpermute_b32 v16, v2, v1
	v_xor_b32_e32 v18, 1, v4
	v_max_f32_e32 v1, v1, v1
	s_delay_alu instid0(VALU_DEP_2) | instskip(NEXT) | instid1(VALU_DEP_1)
	v_cmp_lt_i32_e64 s1, v18, v5
	v_cndmask_b32_e64 v5, v4, v18, s1
	s_sub_i32 s1, s21, s13
	v_lshlrev_b32_e32 v4, 2, v4
	s_lshl_b32 s1, s1, 4
	s_delay_alu instid0(SALU_CYCLE_1) | instskip(NEXT) | instid1(SALU_CYCLE_1)
	s_add_i32 s1, s1, s31
	s_min_i32 s1, s1, s30
	s_waitcnt lgkmcnt(0)
	v_max_f32_e32 v18, v16, v16
	v_lshlrev_b32_e32 v16, 2, v5
	s_sub_i32 s7, s1, s31
	s_delay_alu instid0(SALU_CYCLE_1) | instskip(NEXT) | instid1(VALU_DEP_3)
	v_cmp_gt_i32_e64 s1, s7, v0
	v_dual_max_f32 v1, v1, v18 :: v_dual_mov_b32 v18, 0
	ds_bpermute_b32 v5, v16, v1
	s_waitcnt lgkmcnt(0)
	v_max_f32_e32 v5, v5, v5
	s_delay_alu instid0(VALU_DEP_1)
	v_max_f32_e32 v1, v1, v5
	v_and_b32_e32 v5, 0xffffff80, v4
	v_lshl_add_u32 v4, v0, 2, 0x120
	ds_bpermute_b32 v1, v5, v1
	s_and_saveexec_b32 s13, s1
	s_cbranch_execz .LBB175_21
; %bb.18:
	v_lshl_add_u32 v19, v0, 2, 0x120
	v_mov_b32_e32 v18, 0
	v_mov_b32_e32 v20, v0
	s_mov_b32 s29, 0
	.p2align	6
.LBB175_19:                             ; =>This Inner Loop Header: Depth=1
	ds_load_b32 v21, v19
	v_add_nc_u32_e32 v20, 0x80, v20
	s_delay_alu instid0(VALU_DEP_1) | instskip(NEXT) | instid1(VALU_DEP_1)
	v_cmp_le_i32_e64 s4, s7, v20
	s_or_b32 s29, s4, s29
	s_waitcnt lgkmcnt(0)
	v_sub_f32_e32 v21, v21, v1
	s_delay_alu instid0(VALU_DEP_1) | instskip(NEXT) | instid1(VALU_DEP_1)
	v_mul_f32_e32 v21, 0x3fb8aa3b, v21
	v_exp_f32_e32 v21, v21
	ds_store_b32 v19, v21
	v_dual_add_f32 v18, v18, v21 :: v_dual_add_nc_u32 v19, 0x200, v19
	s_and_not1_b32 exec_lo, exec_lo, s29
	s_cbranch_execnz .LBB175_19
; %bb.20:
	s_or_b32 exec_lo, exec_lo, s29
.LBB175_21:
	s_delay_alu instid0(SALU_CYCLE_1)
	s_or_b32 exec_lo, exec_lo, s13
	ds_bpermute_b32 v6, v6, v18
	s_waitcnt lgkmcnt(0)
	v_add_f32_e32 v6, v18, v6
	ds_bpermute_b32 v7, v7, v6
	s_waitcnt lgkmcnt(0)
	v_add_f32_e32 v6, v6, v7
	ds_bpermute_b32 v7, v8, v6
	s_waitcnt lgkmcnt(0)
	v_add_f32_e32 v6, v6, v7
	ds_bpermute_b32 v7, v2, v6
	s_waitcnt lgkmcnt(0)
	v_add_f32_e32 v6, v6, v7
	ds_bpermute_b32 v7, v16, v6
	s_waitcnt lgkmcnt(0)
	v_add_f32_e32 v6, v6, v7
	s_and_saveexec_b32 s4, vcc_lo
	s_cbranch_execz .LBB175_23
; %bb.22:
	ds_store_b32 v11, v6 offset:272
.LBB175_23:
	s_or_b32 exec_lo, exec_lo, s4
	s_waitcnt lgkmcnt(0)
	s_barrier
	buffer_gl0_inv
	s_and_saveexec_b32 s4, s0
	s_cbranch_execz .LBB175_25
; %bb.24:
	ds_load_b32 v6, v17 offset:272
.LBB175_25:
	s_or_b32 exec_lo, exec_lo, s4
	s_waitcnt lgkmcnt(0)
	ds_bpermute_b32 v2, v2, v6
	s_waitcnt lgkmcnt(0)
	v_add_f32_e32 v2, v6, v2
	ds_bpermute_b32 v6, v16, v2
	s_waitcnt lgkmcnt(0)
	v_add_f32_e32 v2, v2, v6
	ds_bpermute_b32 v2, v5, v2
	s_and_saveexec_b32 s0, s1
	s_cbranch_execz .LBB175_28
; %bb.26:
	s_waitcnt lgkmcnt(0)
	v_add_f32_e32 v5, 0x358637bd, v2
	s_mov_b32 s1, 0
	s_delay_alu instid0(VALU_DEP_1) | instskip(SKIP_1) | instid1(VALU_DEP_2)
	v_div_scale_f32 v6, null, v5, v5, 1.0
	v_div_scale_f32 v11, vcc_lo, 1.0, v5, 1.0
	v_rcp_f32_e32 v7, v6
	s_waitcnt_depctr 0xfff
	v_fma_f32 v8, -v6, v7, 1.0
	s_delay_alu instid0(VALU_DEP_1) | instskip(NEXT) | instid1(VALU_DEP_1)
	v_fmac_f32_e32 v7, v8, v7
	v_mul_f32_e32 v8, v11, v7
	s_delay_alu instid0(VALU_DEP_1) | instskip(NEXT) | instid1(VALU_DEP_1)
	v_fma_f32 v17, -v6, v8, v11
	v_fmac_f32_e32 v8, v17, v7
	s_delay_alu instid0(VALU_DEP_1) | instskip(NEXT) | instid1(VALU_DEP_1)
	v_fma_f32 v6, -v6, v8, v11
	v_div_fmas_f32 v6, v6, v7, v8
	s_delay_alu instid0(VALU_DEP_1)
	v_div_fixup_f32 v5, v6, v5, 1.0
	v_mov_b32_e32 v6, v0
.LBB175_27:                             ; =>This Inner Loop Header: Depth=1
	ds_load_b32 v7, v4
	s_waitcnt lgkmcnt(0)
	v_dual_mul_f32 v7, v5, v7 :: v_dual_add_nc_u32 v6, 0x80, v6
	s_delay_alu instid0(VALU_DEP_1) | instskip(SKIP_3) | instid1(SALU_CYCLE_1)
	v_cmp_le_i32_e32 vcc_lo, s7, v6
	ds_store_b32 v4, v7
	v_add_nc_u32_e32 v4, 0x200, v4
	s_or_b32 s1, vcc_lo, s1
	s_and_not1_b32 exec_lo, exec_lo, s1
	s_cbranch_execnz .LBB175_27
.LBB175_28:
	s_or_b32 exec_lo, exec_lo, s0
	s_delay_alu instid0(SALU_CYCLE_1)
	s_mov_b32 s0, exec_lo
	s_waitcnt lgkmcnt(0)
	s_barrier
	buffer_gl0_inv
	v_cmpx_eq_u32_e32 0, v0
	s_cbranch_execz .LBB175_30
; %bb.29:
	s_mul_i32 s1, s17, s14
	s_mul_i32 s36, s17, s20
	;; [unrolled: 1-line block ×3, first 2 shown]
	v_mov_b32_e32 v4, 0
	s_ashr_i32 s35, s34, 31
	s_delay_alu instid0(SALU_CYCLE_1) | instskip(NEXT) | instid1(SALU_CYCLE_1)
	s_lshl_b64 s[34:35], s[34:35], 2
	s_add_u32 s1, s10, s34
	s_addc_u32 s4, s11, s35
	s_ashr_i32 s37, s36, 31
	s_delay_alu instid0(SALU_CYCLE_1) | instskip(NEXT) | instid1(SALU_CYCLE_1)
	s_lshl_b64 s[10:11], s[36:37], 2
	s_add_u32 s1, s1, s10
	s_addc_u32 s4, s4, s11
	;; [unrolled: 5-line block ×3, first 2 shown]
	s_add_u32 s1, s8, s34
	s_addc_u32 s4, s9, s35
	s_add_u32 s1, s1, s10
	s_addc_u32 s4, s4, s11
	;; [unrolled: 2-line block ×3, first 2 shown]
	s_clause 0x1
	global_store_b32 v4, v1, s[38:39]
	global_store_b32 v4, v2, s[8:9]
.LBB175_30:
	s_or_b32 exec_lo, exec_lo, s0
	v_dual_mov_b32 v17, 0 :: v_dual_mov_b32 v18, 0
	v_dual_mov_b32 v20, 0 :: v_dual_mov_b32 v21, 0
	;; [unrolled: 1-line block ×4, first 2 shown]
	s_mov_b32 s4, 0
	s_and_saveexec_b32 s1, s3
	s_cbranch_execz .LBB175_338
; %bb.31:
	v_dual_mov_b32 v24, 0 :: v_dual_lshlrev_b32 v1, 4, v0
	s_ashr_i32 s7, s6, 31
	v_dual_mov_b32 v19, 0 :: v_dual_and_b32 v2, 8, v3
	s_delay_alu instid0(VALU_DEP_2)
	v_dual_mov_b32 v20, 0 :: v_dual_and_b32 v1, 0x1f0, v1
	v_lshl_add_u32 v4, v14, 4, s31
	s_lshl_b64 s[6:7], s[6:7], 1
	v_dual_mov_b32 v22, 0 :: v_dual_lshlrev_b32 v3, 5, v13
	s_add_u32 s0, s26, s6
	s_addc_u32 s6, s27, s7
	v_add_co_u32 v25, s0, s0, v1
	v_add3_u32 v27, v4, v2, 7
	v_lshlrev_b64 v[1:2], 2, v[9:10]
	v_add_co_ci_u32_e64 v26, null, s6, 0, s0
	s_lshl_b64 s[6:7], s[24:25], 2
	s_add_i32 s3, s28, -1
	v_lshl_or_b32 v3, v14, 6, v3
	s_add_u32 s0, s22, s6
	s_addc_u32 s6, s23, s7
	v_add_co_u32 v10, vcc_lo, s0, v1
	s_delay_alu instid0(VALU_DEP_2)
	v_dual_mov_b32 v23, 0 :: v_dual_add_nc_u32 v28, 0x120, v3
	v_add_co_ci_u32_e32 v11, vcc_lo, s6, v2, vcc_lo
	v_dual_mov_b32 v21, 0 :: v_dual_mov_b32 v18, 0
	v_mov_b32_e32 v17, 0
	s_branch .LBB175_33
.LBB175_32:                             ;   in Loop: Header=BB175_33 Depth=1
	s_or_b32 exec_lo, exec_lo, s0
	v_and_b32_e32 v8, 0xffff0000, v8
	v_and_b32_e32 v29, 0xffff0000, v29
	;; [unrolled: 1-line block ×7, first 2 shown]
	s_delay_alu instid0(VALU_DEP_4) | instskip(SKIP_3) | instid1(VALU_DEP_4)
	v_dual_add_f32 v7, v7, v8 :: v_dual_add_f32 v8, v29, v30
	v_and_b32_e32 v29, 0xffff0000, v31
	v_and_b32_e32 v30, 0xffff0000, v33
	;; [unrolled: 1-line block ×3, first 2 shown]
	v_dual_add_f32 v7, v7, v8 :: v_dual_and_b32 v6, 0xffff0000, v6
	s_delay_alu instid0(VALU_DEP_4)
	v_add_f32_e32 v8, v29, v32
	v_and_b32_e32 v32, 0xffff0000, v51
	v_and_b32_e32 v2, 0xffff0000, v2
	;; [unrolled: 1-line block ×4, first 2 shown]
	v_dual_add_f32 v7, v7, v8 :: v_dual_add_f32 v8, v30, v31
	v_and_b32_e32 v1, 0xffff0000, v1
	v_and_b32_e32 v3, 0xffff0000, v3
	;; [unrolled: 1-line block ×3, first 2 shown]
	v_add_nc_u32_e32 v9, 4, v9
	v_add_f32_e32 v7, v7, v8
	v_and_b32_e32 v8, 0xffff0000, v56
	v_and_b32_e32 v33, 0xffff0000, v50
	v_add_f32_e32 v1, v1, v5
	v_cmp_le_i32_e32 vcc_lo, s21, v9
	v_add_co_u32 v10, s0, v10, 16
	v_add_f32_e32 v8, v8, v37
	v_dual_add_f32 v31, v33, v32 :: v_dual_and_b32 v30, 0xffff0000, v55
	v_and_b32_e32 v32, 0xffff0000, v54
	v_and_b32_e32 v33, 0xffff0000, v58
	;; [unrolled: 1-line block ×3, first 2 shown]
	v_add_nc_u32_e32 v27, 64, v27
	v_add_co_ci_u32_e64 v11, s0, 0, v11, s0
	v_add_f32_e32 v30, v32, v30
	v_and_b32_e32 v32, 0xffff0000, v59
	v_and_b32_e32 v29, 0xffff0000, v53
	v_add_f32_e32 v19, v19, v7
	s_or_b32 s4, vcc_lo, s4
	v_add_f32_e32 v2, v2, v6
	v_dual_add_f32 v32, v33, v32 :: v_dual_and_b32 v33, 0xffff0000, v62
	v_and_b32_e32 v35, 0xffff0000, v52
	s_delay_alu instid0(VALU_DEP_3) | instskip(SKIP_1) | instid1(VALU_DEP_3)
	v_dual_add_f32 v1, v1, v2 :: v_dual_and_b32 v42, 0xffff0000, v97
	v_and_b32_e32 v34, 0xffff0000, v34
	v_dual_add_f32 v29, v35, v29 :: v_dual_and_b32 v40, 0xffff0000, v90
	v_add_nc_u32_e32 v28, 0x100, v28
	s_delay_alu instid0(VALU_DEP_3) | instskip(NEXT) | instid1(VALU_DEP_3)
	v_dual_add_f32 v2, v3, v34 :: v_dual_and_b32 v3, 0xffff0000, v36
	v_add_f32_e32 v29, v31, v29
	v_and_b32_e32 v31, 0xffff0000, v61
	s_delay_alu instid0(VALU_DEP_3) | instskip(NEXT) | instid1(VALU_DEP_3)
	v_dual_add_f32 v1, v1, v2 :: v_dual_add_f32 v2, v4, v3
	v_dual_add_f32 v29, v29, v30 :: v_dual_and_b32 v30, 0xffff0000, v63
	s_delay_alu instid0(VALU_DEP_2) | instskip(NEXT) | instid1(VALU_DEP_2)
	v_add_f32_e32 v1, v1, v2
	v_add_f32_e32 v8, v29, v8
	s_delay_alu instid0(VALU_DEP_3) | instskip(SKIP_1) | instid1(VALU_DEP_3)
	v_dual_add_f32 v30, v33, v30 :: v_dual_and_b32 v35, 0xffff0000, v60
	v_and_b32_e32 v33, 0xffff0000, v67
	v_dual_add_f32 v17, v17, v1 :: v_dual_add_f32 v24, v24, v8
	s_delay_alu instid0(VALU_DEP_3) | instskip(SKIP_1) | instid1(VALU_DEP_2)
	v_dual_add_f32 v31, v35, v31 :: v_dual_and_b32 v8, 0xffff0000, v72
	v_and_b32_e32 v35, 0xffff0000, v64
	v_dual_add_f32 v31, v32, v31 :: v_dual_and_b32 v32, 0xffff0000, v69
	s_delay_alu instid0(VALU_DEP_1) | instskip(NEXT) | instid1(VALU_DEP_3)
	v_add_f32_e32 v30, v31, v30
	v_dual_add_f32 v31, v35, v37 :: v_dual_and_b32 v38, 0xffff0000, v66
	s_delay_alu instid0(VALU_DEP_3) | instskip(SKIP_1) | instid1(VALU_DEP_3)
	v_add_f32_e32 v32, v39, v32
	v_and_b32_e32 v39, 0xffff0000, v80
	v_add_f32_e32 v29, v30, v31
	s_delay_alu instid0(VALU_DEP_4) | instskip(SKIP_1) | instid1(VALU_DEP_3)
	v_add_f32_e32 v33, v38, v33
	v_and_b32_e32 v31, 0xffff0000, v75
	v_dual_add_f32 v23, v23, v29 :: v_dual_and_b32 v38, 0xffff0000, v84
	s_delay_alu instid0(VALU_DEP_3) | instskip(SKIP_2) | instid1(VALU_DEP_3)
	v_dual_add_f32 v7, v33, v32 :: v_dual_and_b32 v32, 0xffff0000, v74
	v_and_b32_e32 v29, 0xffff0000, v73
	v_and_b32_e32 v33, 0xffff0000, v76
	v_dual_add_f32 v31, v32, v31 :: v_dual_and_b32 v32, 0xffff0000, v85
	s_delay_alu instid0(VALU_DEP_3) | instskip(NEXT) | instid1(VALU_DEP_2)
	v_dual_add_f32 v8, v8, v29 :: v_dual_and_b32 v35, 0xffff0000, v71
	v_dual_add_f32 v32, v38, v32 :: v_dual_and_b32 v29, 0xffff0000, v79
	v_and_b32_e32 v37, 0xffff0000, v70
	v_and_b32_e32 v38, 0xffff0000, v92
	s_delay_alu instid0(VALU_DEP_2) | instskip(SKIP_1) | instid1(VALU_DEP_2)
	v_dual_add_f32 v30, v37, v35 :: v_dual_and_b32 v37, 0xffff0000, v82
	v_and_b32_e32 v35, 0xffff0000, v78
	v_dual_add_f32 v7, v7, v30 :: v_dual_and_b32 v30, 0xffff0000, v77
	s_delay_alu instid0(VALU_DEP_2) | instskip(SKIP_1) | instid1(VALU_DEP_3)
	v_add_f32_e32 v29, v35, v29
	v_and_b32_e32 v35, 0xffff0000, v81
	v_dual_add_f32 v7, v7, v8 :: v_dual_add_f32 v30, v33, v30
	v_and_b32_e32 v33, 0xffff0000, v83
	s_delay_alu instid0(VALU_DEP_2) | instskip(NEXT) | instid1(VALU_DEP_3)
	v_add_f32_e32 v22, v22, v7
	v_dual_add_f32 v30, v31, v30 :: v_dual_and_b32 v31, 0xffff0000, v87
	s_delay_alu instid0(VALU_DEP_3) | instskip(SKIP_1) | instid1(VALU_DEP_3)
	v_add_f32_e32 v33, v37, v33
	v_and_b32_e32 v37, 0xffff0000, v86
	v_dual_add_f32 v29, v30, v29 :: v_dual_add_f32 v30, v39, v35
	s_delay_alu instid0(VALU_DEP_3) | instskip(NEXT) | instid1(VALU_DEP_3)
	v_add_f32_e32 v8, v33, v32
	v_add_f32_e32 v31, v37, v31
	v_and_b32_e32 v37, 0xffff0000, v93
	v_and_b32_e32 v39, 0xffff0000, v91
	;; [unrolled: 1-line block ×4, first 2 shown]
	v_add_f32_e32 v8, v8, v31
	v_and_b32_e32 v31, 0xffff0000, v95
	v_add_f32_e32 v39, v40, v39
	v_add_f32_e32 v37, v38, v37
	v_and_b32_e32 v33, 0xffff0000, v89
	s_delay_alu instid0(VALU_DEP_4) | instskip(NEXT) | instid1(VALU_DEP_3)
	v_dual_add_f32 v3, v29, v30 :: v_dual_add_f32 v6, v35, v31
	v_add_f32_e32 v5, v39, v37
	s_delay_alu instid0(VALU_DEP_3) | instskip(NEXT) | instid1(VALU_DEP_3)
	v_add_f32_e32 v31, v32, v33
	v_add_f32_e32 v21, v21, v3
	s_delay_alu instid0(VALU_DEP_3) | instskip(SKIP_1) | instid1(VALU_DEP_1)
	v_add_f32_e32 v5, v5, v6
	v_add_f32_e32 v6, v41, v42
	v_dual_add_f32 v4, v8, v31 :: v_dual_add_f32 v5, v5, v6
	s_delay_alu instid0(VALU_DEP_1) | instskip(NEXT) | instid1(VALU_DEP_2)
	v_add_f32_e32 v20, v20, v4
	v_add_f32_e32 v18, v18, v5
	s_and_not1_b32 exec_lo, exec_lo, s4
	s_cbranch_execz .LBB175_337
.LBB175_33:                             ; =>This Inner Loop Header: Depth=1
	global_load_b32 v34, v[10:11], off
	ds_load_2addr_b64 v[5:8], v28 offset1:1
	ds_load_2addr_b64 v[1:4], v28 offset0:2 offset1:3
	s_mov_b32 s0, exec_lo
                                        ; implicit-def: $vgpr42
	s_waitcnt lgkmcnt(1)
	v_and_b32_e32 v29, 0x7f800000, v5
	s_delay_alu instid0(VALU_DEP_1)
	v_cmpx_ne_u32_e32 0x7f800000, v29
	s_xor_b32 s0, exec_lo, s0
; %bb.34:                               ;   in Loop: Header=BB175_33 Depth=1
	v_bfe_u32 v29, v5, 16, 1
	s_delay_alu instid0(VALU_DEP_1)
	v_add3_u32 v42, v5, v29, 0x7fff
; %bb.35:                               ;   in Loop: Header=BB175_33 Depth=1
	s_and_not1_saveexec_b32 s0, s0
; %bb.36:                               ;   in Loop: Header=BB175_33 Depth=1
	v_and_b32_e32 v29, 0xffff, v5
	v_or_b32_e32 v30, 0x10000, v5
	s_delay_alu instid0(VALU_DEP_2) | instskip(NEXT) | instid1(VALU_DEP_2)
	v_cmp_eq_u32_e32 vcc_lo, 0, v29
	v_cndmask_b32_e32 v42, v30, v5, vcc_lo
; %bb.37:                               ;   in Loop: Header=BB175_33 Depth=1
	s_or_b32 exec_lo, exec_lo, s0
	v_and_b32_e32 v5, 0x7f800000, v6
	s_mov_b32 s0, exec_lo
                                        ; implicit-def: $vgpr43
	s_delay_alu instid0(VALU_DEP_1)
	v_cmpx_ne_u32_e32 0x7f800000, v5
	s_xor_b32 s0, exec_lo, s0
; %bb.38:                               ;   in Loop: Header=BB175_33 Depth=1
	v_bfe_u32 v5, v6, 16, 1
	s_delay_alu instid0(VALU_DEP_1)
	v_add3_u32 v43, v6, v5, 0x7fff
; %bb.39:                               ;   in Loop: Header=BB175_33 Depth=1
	s_and_not1_saveexec_b32 s0, s0
; %bb.40:                               ;   in Loop: Header=BB175_33 Depth=1
	v_and_b32_e32 v5, 0xffff, v6
	v_or_b32_e32 v29, 0x10000, v6
	s_delay_alu instid0(VALU_DEP_2) | instskip(NEXT) | instid1(VALU_DEP_2)
	v_cmp_eq_u32_e32 vcc_lo, 0, v5
	v_cndmask_b32_e32 v43, v29, v6, vcc_lo
; %bb.41:                               ;   in Loop: Header=BB175_33 Depth=1
	s_or_b32 exec_lo, exec_lo, s0
	v_and_b32_e32 v5, 0x7f800000, v7
	s_mov_b32 s0, exec_lo
                                        ; implicit-def: $vgpr29
	s_delay_alu instid0(VALU_DEP_1)
	v_cmpx_ne_u32_e32 0x7f800000, v5
	s_xor_b32 s0, exec_lo, s0
; %bb.42:                               ;   in Loop: Header=BB175_33 Depth=1
	v_bfe_u32 v5, v7, 16, 1
	s_delay_alu instid0(VALU_DEP_1)
	v_add3_u32 v29, v7, v5, 0x7fff
; %bb.43:                               ;   in Loop: Header=BB175_33 Depth=1
	s_and_not1_saveexec_b32 s0, s0
; %bb.44:                               ;   in Loop: Header=BB175_33 Depth=1
	v_and_b32_e32 v5, 0xffff, v7
	v_or_b32_e32 v6, 0x10000, v7
	s_delay_alu instid0(VALU_DEP_2) | instskip(NEXT) | instid1(VALU_DEP_2)
	v_cmp_eq_u32_e32 vcc_lo, 0, v5
	v_cndmask_b32_e32 v29, v6, v7, vcc_lo
; %bb.45:                               ;   in Loop: Header=BB175_33 Depth=1
	s_or_b32 exec_lo, exec_lo, s0
	v_and_b32_e32 v5, 0x7f800000, v8
	s_mov_b32 s0, exec_lo
                                        ; implicit-def: $vgpr30
	s_delay_alu instid0(VALU_DEP_1)
	v_cmpx_ne_u32_e32 0x7f800000, v5
	s_xor_b32 s0, exec_lo, s0
; %bb.46:                               ;   in Loop: Header=BB175_33 Depth=1
	v_bfe_u32 v5, v8, 16, 1
	s_delay_alu instid0(VALU_DEP_1)
	v_add3_u32 v30, v8, v5, 0x7fff
                                        ; implicit-def: $vgpr5_vgpr6_vgpr7_vgpr8
; %bb.47:                               ;   in Loop: Header=BB175_33 Depth=1
	s_and_not1_saveexec_b32 s0, s0
; %bb.48:                               ;   in Loop: Header=BB175_33 Depth=1
	v_and_b32_e32 v5, 0xffff, v8
	v_or_b32_e32 v6, 0x10000, v8
	s_delay_alu instid0(VALU_DEP_2) | instskip(NEXT) | instid1(VALU_DEP_2)
	v_cmp_eq_u32_e32 vcc_lo, 0, v5
	v_cndmask_b32_e32 v30, v6, v8, vcc_lo
; %bb.49:                               ;   in Loop: Header=BB175_33 Depth=1
	s_or_b32 exec_lo, exec_lo, s0
	s_waitcnt lgkmcnt(0)
	v_and_b32_e32 v5, 0x7f800000, v1
	s_mov_b32 s0, exec_lo
                                        ; implicit-def: $vgpr31
	s_delay_alu instid0(VALU_DEP_1)
	v_cmpx_ne_u32_e32 0x7f800000, v5
	s_xor_b32 s0, exec_lo, s0
; %bb.50:                               ;   in Loop: Header=BB175_33 Depth=1
	v_bfe_u32 v5, v1, 16, 1
	s_delay_alu instid0(VALU_DEP_1)
	v_add3_u32 v31, v1, v5, 0x7fff
; %bb.51:                               ;   in Loop: Header=BB175_33 Depth=1
	s_and_not1_saveexec_b32 s0, s0
; %bb.52:                               ;   in Loop: Header=BB175_33 Depth=1
	v_and_b32_e32 v5, 0xffff, v1
	v_or_b32_e32 v6, 0x10000, v1
	s_delay_alu instid0(VALU_DEP_2) | instskip(NEXT) | instid1(VALU_DEP_2)
	v_cmp_eq_u32_e32 vcc_lo, 0, v5
	v_cndmask_b32_e32 v31, v6, v1, vcc_lo
; %bb.53:                               ;   in Loop: Header=BB175_33 Depth=1
	s_or_b32 exec_lo, exec_lo, s0
	v_and_b32_e32 v1, 0x7f800000, v2
	s_mov_b32 s0, exec_lo
                                        ; implicit-def: $vgpr32
	s_delay_alu instid0(VALU_DEP_1)
	v_cmpx_ne_u32_e32 0x7f800000, v1
	s_xor_b32 s0, exec_lo, s0
; %bb.54:                               ;   in Loop: Header=BB175_33 Depth=1
	v_bfe_u32 v1, v2, 16, 1
	s_delay_alu instid0(VALU_DEP_1)
	v_add3_u32 v32, v2, v1, 0x7fff
; %bb.55:                               ;   in Loop: Header=BB175_33 Depth=1
	s_and_not1_saveexec_b32 s0, s0
; %bb.56:                               ;   in Loop: Header=BB175_33 Depth=1
	v_and_b32_e32 v1, 0xffff, v2
	v_or_b32_e32 v5, 0x10000, v2
	s_delay_alu instid0(VALU_DEP_2) | instskip(NEXT) | instid1(VALU_DEP_2)
	v_cmp_eq_u32_e32 vcc_lo, 0, v1
	v_cndmask_b32_e32 v32, v5, v2, vcc_lo
; %bb.57:                               ;   in Loop: Header=BB175_33 Depth=1
	s_or_b32 exec_lo, exec_lo, s0
	v_and_b32_e32 v1, 0x7f800000, v3
	s_mov_b32 s0, exec_lo
                                        ; implicit-def: $vgpr33
	s_delay_alu instid0(VALU_DEP_1)
	v_cmpx_ne_u32_e32 0x7f800000, v1
	s_xor_b32 s0, exec_lo, s0
; %bb.58:                               ;   in Loop: Header=BB175_33 Depth=1
	v_bfe_u32 v1, v3, 16, 1
	s_delay_alu instid0(VALU_DEP_1)
	v_add3_u32 v33, v3, v1, 0x7fff
; %bb.59:                               ;   in Loop: Header=BB175_33 Depth=1
	s_and_not1_saveexec_b32 s0, s0
; %bb.60:                               ;   in Loop: Header=BB175_33 Depth=1
	v_and_b32_e32 v1, 0xffff, v3
	v_or_b32_e32 v2, 0x10000, v3
	s_delay_alu instid0(VALU_DEP_2) | instskip(NEXT) | instid1(VALU_DEP_2)
	v_cmp_eq_u32_e32 vcc_lo, 0, v1
	v_cndmask_b32_e32 v33, v2, v3, vcc_lo
; %bb.61:                               ;   in Loop: Header=BB175_33 Depth=1
	s_or_b32 exec_lo, exec_lo, s0
	v_and_b32_e32 v1, 0x7f800000, v4
	s_mov_b32 s0, exec_lo
                                        ; implicit-def: $vgpr35
	s_delay_alu instid0(VALU_DEP_1)
	v_cmpx_ne_u32_e32 0x7f800000, v1
	s_xor_b32 s0, exec_lo, s0
; %bb.62:                               ;   in Loop: Header=BB175_33 Depth=1
	v_bfe_u32 v1, v4, 16, 1
	s_delay_alu instid0(VALU_DEP_1)
	v_add3_u32 v35, v4, v1, 0x7fff
                                        ; implicit-def: $vgpr1_vgpr2_vgpr3_vgpr4
; %bb.63:                               ;   in Loop: Header=BB175_33 Depth=1
	s_and_not1_saveexec_b32 s0, s0
; %bb.64:                               ;   in Loop: Header=BB175_33 Depth=1
	v_and_b32_e32 v1, 0xffff, v4
	v_or_b32_e32 v2, 0x10000, v4
	s_delay_alu instid0(VALU_DEP_2) | instskip(NEXT) | instid1(VALU_DEP_2)
	v_cmp_eq_u32_e32 vcc_lo, 0, v1
	v_cndmask_b32_e32 v35, v2, v4, vcc_lo
; %bb.65:                               ;   in Loop: Header=BB175_33 Depth=1
	s_or_b32 exec_lo, exec_lo, s0
	s_waitcnt vmcnt(0)
	v_mad_i64_i32 v[1:2], null, v34, s5, 0
	v_add_nc_u32_e32 v34, -7, v27
	v_add_nc_u32_e32 v41, -6, v27
	;; [unrolled: 1-line block ×6, first 2 shown]
	v_lshlrev_b64 v[1:2], 1, v[1:2]
	v_add_nc_u32_e32 v40, -1, v27
	s_delay_alu instid0(VALU_DEP_2) | instskip(NEXT) | instid1(VALU_DEP_3)
	v_add_co_u32 v5, vcc_lo, v25, v1
	v_add_co_ci_u32_e32 v6, vcc_lo, v26, v2, vcc_lo
	v_cmp_eq_u32_e32 vcc_lo, s3, v9
	global_load_b128 v[1:4], v[5:6], off
	s_waitcnt vmcnt(0)
	v_lshrrev_b32_e32 v8, 16, v1
	v_lshrrev_b32_e32 v46, 16, v2
	;; [unrolled: 1-line block ×4, first 2 shown]
	s_and_saveexec_b32 s6, vcc_lo
	s_cbranch_execz .LBB175_67
; %bb.66:                               ;   in Loop: Header=BB175_33 Depth=1
	v_cmp_gt_i32_e64 s0, s30, v34
	s_delay_alu instid0(VALU_DEP_1) | instskip(SKIP_1) | instid1(VALU_DEP_1)
	v_cndmask_b32_e64 v1, 0, v1, s0
	v_cmp_gt_i32_e64 s0, s30, v41
	v_cndmask_b32_e64 v8, 0, v8, s0
	v_cmp_gt_i32_e64 s0, s30, v39
	s_delay_alu instid0(VALU_DEP_1) | instskip(SKIP_1) | instid1(VALU_DEP_1)
	v_cndmask_b32_e64 v2, 0, v2, s0
	v_cmp_gt_i32_e64 s0, s30, v38
	v_cndmask_b32_e64 v46, 0, v46, s0
	;; [unrolled: 5-line block ×4, first 2 shown]
.LBB175_67:                             ;   in Loop: Header=BB175_33 Depth=1
	s_or_b32 exec_lo, exec_lo, s6
	v_and_b32_e32 v42, 0xffff0000, v42
	v_lshlrev_b32_e32 v1, 16, v1
	s_delay_alu instid0(VALU_DEP_1) | instskip(NEXT) | instid1(VALU_DEP_1)
	v_mul_f32_e32 v1, v42, v1
	v_and_b32_e32 v7, 0x7f800000, v1
	s_delay_alu instid0(VALU_DEP_1) | instskip(NEXT) | instid1(VALU_DEP_1)
	v_cmp_ne_u32_e64 s0, 0x7f800000, v7
                                        ; implicit-def: $vgpr7
	s_and_saveexec_b32 s6, s0
	s_delay_alu instid0(SALU_CYCLE_1)
	s_xor_b32 s0, exec_lo, s6
; %bb.68:                               ;   in Loop: Header=BB175_33 Depth=1
	v_bfe_u32 v7, v1, 16, 1
	s_delay_alu instid0(VALU_DEP_1)
	v_add3_u32 v7, v1, v7, 0x7fff
                                        ; implicit-def: $vgpr1
; %bb.69:                               ;   in Loop: Header=BB175_33 Depth=1
	s_and_not1_saveexec_b32 s6, s0
; %bb.70:                               ;   in Loop: Header=BB175_33 Depth=1
	v_and_b32_e32 v7, 0xffff, v1
	v_or_b32_e32 v44, 0x10000, v1
	s_delay_alu instid0(VALU_DEP_2) | instskip(NEXT) | instid1(VALU_DEP_1)
	v_cmp_eq_u32_e64 s0, 0, v7
	v_cndmask_b32_e64 v7, v44, v1, s0
; %bb.71:                               ;   in Loop: Header=BB175_33 Depth=1
	s_or_b32 exec_lo, exec_lo, s6
	v_and_b32_e32 v43, 0xffff0000, v43
	v_lshlrev_b32_e32 v1, 16, v8
	s_delay_alu instid0(VALU_DEP_1) | instskip(NEXT) | instid1(VALU_DEP_1)
	v_mul_f32_e32 v1, v43, v1
	v_and_b32_e32 v8, 0x7f800000, v1
	s_delay_alu instid0(VALU_DEP_1) | instskip(NEXT) | instid1(VALU_DEP_1)
	v_cmp_ne_u32_e64 s0, 0x7f800000, v8
                                        ; implicit-def: $vgpr8
	s_and_saveexec_b32 s6, s0
	s_delay_alu instid0(SALU_CYCLE_1)
	s_xor_b32 s0, exec_lo, s6
; %bb.72:                               ;   in Loop: Header=BB175_33 Depth=1
	v_bfe_u32 v8, v1, 16, 1
	s_delay_alu instid0(VALU_DEP_1)
	v_add3_u32 v8, v1, v8, 0x7fff
                                        ; implicit-def: $vgpr1
; %bb.73:                               ;   in Loop: Header=BB175_33 Depth=1
	s_and_not1_saveexec_b32 s6, s0
; %bb.74:                               ;   in Loop: Header=BB175_33 Depth=1
	v_and_b32_e32 v8, 0xffff, v1
	v_or_b32_e32 v44, 0x10000, v1
	s_delay_alu instid0(VALU_DEP_2) | instskip(NEXT) | instid1(VALU_DEP_1)
	v_cmp_eq_u32_e64 s0, 0, v8
	v_cndmask_b32_e64 v8, v44, v1, s0
; %bb.75:                               ;   in Loop: Header=BB175_33 Depth=1
	s_or_b32 exec_lo, exec_lo, s6
	v_and_b32_e32 v44, 0xffff0000, v29
	v_lshlrev_b32_e32 v1, 16, v2
                                        ; implicit-def: $vgpr29
	s_delay_alu instid0(VALU_DEP_1) | instskip(NEXT) | instid1(VALU_DEP_1)
	v_mul_f32_e32 v1, v44, v1
	v_and_b32_e32 v2, 0x7f800000, v1
	s_delay_alu instid0(VALU_DEP_1) | instskip(NEXT) | instid1(VALU_DEP_1)
	v_cmp_ne_u32_e64 s0, 0x7f800000, v2
	s_and_saveexec_b32 s6, s0
	s_delay_alu instid0(SALU_CYCLE_1)
	s_xor_b32 s0, exec_lo, s6
; %bb.76:                               ;   in Loop: Header=BB175_33 Depth=1
	v_bfe_u32 v2, v1, 16, 1
	s_delay_alu instid0(VALU_DEP_1)
	v_add3_u32 v29, v1, v2, 0x7fff
                                        ; implicit-def: $vgpr1
; %bb.77:                               ;   in Loop: Header=BB175_33 Depth=1
	s_and_not1_saveexec_b32 s6, s0
; %bb.78:                               ;   in Loop: Header=BB175_33 Depth=1
	v_and_b32_e32 v2, 0xffff, v1
	v_or_b32_e32 v29, 0x10000, v1
	s_delay_alu instid0(VALU_DEP_2) | instskip(NEXT) | instid1(VALU_DEP_1)
	v_cmp_eq_u32_e64 s0, 0, v2
	v_cndmask_b32_e64 v29, v29, v1, s0
; %bb.79:                               ;   in Loop: Header=BB175_33 Depth=1
	s_or_b32 exec_lo, exec_lo, s6
	v_and_b32_e32 v45, 0xffff0000, v30
	v_lshlrev_b32_e32 v1, 16, v46
                                        ; implicit-def: $vgpr30
	s_delay_alu instid0(VALU_DEP_1) | instskip(NEXT) | instid1(VALU_DEP_1)
	v_mul_f32_e32 v1, v45, v1
	v_and_b32_e32 v2, 0x7f800000, v1
	s_delay_alu instid0(VALU_DEP_1) | instskip(NEXT) | instid1(VALU_DEP_1)
	v_cmp_ne_u32_e64 s0, 0x7f800000, v2
	s_and_saveexec_b32 s6, s0
	s_delay_alu instid0(SALU_CYCLE_1)
	s_xor_b32 s0, exec_lo, s6
; %bb.80:                               ;   in Loop: Header=BB175_33 Depth=1
	v_bfe_u32 v2, v1, 16, 1
	s_delay_alu instid0(VALU_DEP_1)
	v_add3_u32 v30, v1, v2, 0x7fff
                                        ; implicit-def: $vgpr1
; %bb.81:                               ;   in Loop: Header=BB175_33 Depth=1
	s_and_not1_saveexec_b32 s6, s0
; %bb.82:                               ;   in Loop: Header=BB175_33 Depth=1
	v_and_b32_e32 v2, 0xffff, v1
	v_or_b32_e32 v30, 0x10000, v1
	s_delay_alu instid0(VALU_DEP_2) | instskip(NEXT) | instid1(VALU_DEP_1)
	v_cmp_eq_u32_e64 s0, 0, v2
	v_cndmask_b32_e64 v30, v30, v1, s0
; %bb.83:                               ;   in Loop: Header=BB175_33 Depth=1
	s_or_b32 exec_lo, exec_lo, s6
	v_and_b32_e32 v46, 0xffff0000, v31
	v_lshlrev_b32_e32 v1, 16, v3
                                        ; implicit-def: $vgpr31
	s_delay_alu instid0(VALU_DEP_1) | instskip(NEXT) | instid1(VALU_DEP_1)
	v_mul_f32_e32 v1, v46, v1
	v_and_b32_e32 v2, 0x7f800000, v1
	s_delay_alu instid0(VALU_DEP_1) | instskip(NEXT) | instid1(VALU_DEP_1)
	v_cmp_ne_u32_e64 s0, 0x7f800000, v2
	s_and_saveexec_b32 s6, s0
	s_delay_alu instid0(SALU_CYCLE_1)
	s_xor_b32 s0, exec_lo, s6
; %bb.84:                               ;   in Loop: Header=BB175_33 Depth=1
	v_bfe_u32 v2, v1, 16, 1
	s_delay_alu instid0(VALU_DEP_1)
	v_add3_u32 v31, v1, v2, 0x7fff
                                        ; implicit-def: $vgpr1
; %bb.85:                               ;   in Loop: Header=BB175_33 Depth=1
	s_and_not1_saveexec_b32 s6, s0
; %bb.86:                               ;   in Loop: Header=BB175_33 Depth=1
	v_and_b32_e32 v2, 0xffff, v1
	v_or_b32_e32 v3, 0x10000, v1
	s_delay_alu instid0(VALU_DEP_2) | instskip(NEXT) | instid1(VALU_DEP_1)
	v_cmp_eq_u32_e64 s0, 0, v2
	v_cndmask_b32_e64 v31, v3, v1, s0
; %bb.87:                               ;   in Loop: Header=BB175_33 Depth=1
	s_or_b32 exec_lo, exec_lo, s6
	v_and_b32_e32 v47, 0xffff0000, v32
	v_lshlrev_b32_e32 v1, 16, v48
                                        ; implicit-def: $vgpr32
	s_delay_alu instid0(VALU_DEP_1) | instskip(NEXT) | instid1(VALU_DEP_1)
	v_mul_f32_e32 v1, v47, v1
	v_and_b32_e32 v2, 0x7f800000, v1
	s_delay_alu instid0(VALU_DEP_1) | instskip(NEXT) | instid1(VALU_DEP_1)
	v_cmp_ne_u32_e64 s0, 0x7f800000, v2
	s_and_saveexec_b32 s6, s0
	s_delay_alu instid0(SALU_CYCLE_1)
	s_xor_b32 s0, exec_lo, s6
; %bb.88:                               ;   in Loop: Header=BB175_33 Depth=1
	v_bfe_u32 v2, v1, 16, 1
	s_delay_alu instid0(VALU_DEP_1)
	v_add3_u32 v32, v1, v2, 0x7fff
                                        ; implicit-def: $vgpr1
; %bb.89:                               ;   in Loop: Header=BB175_33 Depth=1
	s_and_not1_saveexec_b32 s6, s0
; %bb.90:                               ;   in Loop: Header=BB175_33 Depth=1
	v_and_b32_e32 v2, 0xffff, v1
	v_or_b32_e32 v3, 0x10000, v1
	s_delay_alu instid0(VALU_DEP_2) | instskip(NEXT) | instid1(VALU_DEP_1)
	v_cmp_eq_u32_e64 s0, 0, v2
	v_cndmask_b32_e64 v32, v3, v1, s0
; %bb.91:                               ;   in Loop: Header=BB175_33 Depth=1
	s_or_b32 exec_lo, exec_lo, s6
	v_and_b32_e32 v48, 0xffff0000, v33
	v_lshlrev_b32_e32 v1, 16, v4
                                        ; implicit-def: $vgpr33
	s_delay_alu instid0(VALU_DEP_1) | instskip(NEXT) | instid1(VALU_DEP_1)
	v_mul_f32_e32 v1, v48, v1
	v_and_b32_e32 v2, 0x7f800000, v1
	s_delay_alu instid0(VALU_DEP_1) | instskip(NEXT) | instid1(VALU_DEP_1)
	v_cmp_ne_u32_e64 s0, 0x7f800000, v2
	s_and_saveexec_b32 s6, s0
	s_delay_alu instid0(SALU_CYCLE_1)
	s_xor_b32 s0, exec_lo, s6
; %bb.92:                               ;   in Loop: Header=BB175_33 Depth=1
	v_bfe_u32 v2, v1, 16, 1
	s_delay_alu instid0(VALU_DEP_1)
	v_add3_u32 v33, v1, v2, 0x7fff
                                        ; implicit-def: $vgpr1
; %bb.93:                               ;   in Loop: Header=BB175_33 Depth=1
	s_and_not1_saveexec_b32 s6, s0
; %bb.94:                               ;   in Loop: Header=BB175_33 Depth=1
	v_and_b32_e32 v2, 0xffff, v1
	v_or_b32_e32 v3, 0x10000, v1
	s_delay_alu instid0(VALU_DEP_2) | instskip(NEXT) | instid1(VALU_DEP_1)
	v_cmp_eq_u32_e64 s0, 0, v2
	v_cndmask_b32_e64 v33, v3, v1, s0
; %bb.95:                               ;   in Loop: Header=BB175_33 Depth=1
	s_or_b32 exec_lo, exec_lo, s6
	v_and_b32_e32 v49, 0xffff0000, v35
	v_lshlrev_b32_e32 v1, 16, v50
                                        ; implicit-def: $vgpr35
	s_delay_alu instid0(VALU_DEP_1) | instskip(NEXT) | instid1(VALU_DEP_1)
	v_mul_f32_e32 v1, v49, v1
	v_and_b32_e32 v2, 0x7f800000, v1
	s_delay_alu instid0(VALU_DEP_1) | instskip(NEXT) | instid1(VALU_DEP_1)
	v_cmp_ne_u32_e64 s0, 0x7f800000, v2
	s_and_saveexec_b32 s6, s0
	s_delay_alu instid0(SALU_CYCLE_1)
	s_xor_b32 s0, exec_lo, s6
; %bb.96:                               ;   in Loop: Header=BB175_33 Depth=1
	v_bfe_u32 v2, v1, 16, 1
	s_delay_alu instid0(VALU_DEP_1)
	v_add3_u32 v35, v1, v2, 0x7fff
                                        ; implicit-def: $vgpr1
; %bb.97:                               ;   in Loop: Header=BB175_33 Depth=1
	s_and_not1_saveexec_b32 s6, s0
; %bb.98:                               ;   in Loop: Header=BB175_33 Depth=1
	v_and_b32_e32 v2, 0xffff, v1
	v_or_b32_e32 v3, 0x10000, v1
	s_delay_alu instid0(VALU_DEP_2) | instskip(NEXT) | instid1(VALU_DEP_1)
	v_cmp_eq_u32_e64 s0, 0, v2
	v_cndmask_b32_e64 v35, v3, v1, s0
; %bb.99:                               ;   in Loop: Header=BB175_33 Depth=1
	s_or_b32 exec_lo, exec_lo, s6
	global_load_b128 v[1:4], v[5:6], off offset:512
	s_waitcnt vmcnt(0)
	v_lshrrev_b32_e32 v51, 16, v1
	v_lshrrev_b32_e32 v53, 16, v2
	;; [unrolled: 1-line block ×4, first 2 shown]
	s_and_saveexec_b32 s6, vcc_lo
	s_cbranch_execz .LBB175_101
; %bb.100:                              ;   in Loop: Header=BB175_33 Depth=1
	v_cmp_gt_i32_e64 s0, s30, v34
	s_delay_alu instid0(VALU_DEP_1) | instskip(SKIP_1) | instid1(VALU_DEP_1)
	v_cndmask_b32_e64 v1, 0, v1, s0
	v_cmp_gt_i32_e64 s0, s30, v41
	v_cndmask_b32_e64 v51, 0, v51, s0
	v_cmp_gt_i32_e64 s0, s30, v39
	s_delay_alu instid0(VALU_DEP_1) | instskip(SKIP_1) | instid1(VALU_DEP_1)
	v_cndmask_b32_e64 v2, 0, v2, s0
	v_cmp_gt_i32_e64 s0, s30, v38
	v_cndmask_b32_e64 v53, 0, v53, s0
	;; [unrolled: 5-line block ×4, first 2 shown]
.LBB175_101:                            ;   in Loop: Header=BB175_33 Depth=1
	s_or_b32 exec_lo, exec_lo, s6
	v_lshlrev_b32_e32 v1, 16, v1
	s_delay_alu instid0(VALU_DEP_1) | instskip(NEXT) | instid1(VALU_DEP_1)
	v_mul_f32_e32 v1, v42, v1
	v_and_b32_e32 v50, 0x7f800000, v1
	s_delay_alu instid0(VALU_DEP_1) | instskip(NEXT) | instid1(VALU_DEP_1)
	v_cmp_ne_u32_e64 s0, 0x7f800000, v50
                                        ; implicit-def: $vgpr50
	s_and_saveexec_b32 s6, s0
	s_delay_alu instid0(SALU_CYCLE_1)
	s_xor_b32 s0, exec_lo, s6
; %bb.102:                              ;   in Loop: Header=BB175_33 Depth=1
	v_bfe_u32 v50, v1, 16, 1
	s_delay_alu instid0(VALU_DEP_1)
	v_add3_u32 v50, v1, v50, 0x7fff
                                        ; implicit-def: $vgpr1
; %bb.103:                              ;   in Loop: Header=BB175_33 Depth=1
	s_and_not1_saveexec_b32 s6, s0
; %bb.104:                              ;   in Loop: Header=BB175_33 Depth=1
	v_and_b32_e32 v50, 0xffff, v1
	v_or_b32_e32 v52, 0x10000, v1
	s_delay_alu instid0(VALU_DEP_2) | instskip(NEXT) | instid1(VALU_DEP_1)
	v_cmp_eq_u32_e64 s0, 0, v50
	v_cndmask_b32_e64 v50, v52, v1, s0
; %bb.105:                              ;   in Loop: Header=BB175_33 Depth=1
	s_or_b32 exec_lo, exec_lo, s6
	v_lshlrev_b32_e32 v1, 16, v51
	s_delay_alu instid0(VALU_DEP_1) | instskip(NEXT) | instid1(VALU_DEP_1)
	v_mul_f32_e32 v1, v43, v1
	v_and_b32_e32 v51, 0x7f800000, v1
	s_delay_alu instid0(VALU_DEP_1) | instskip(NEXT) | instid1(VALU_DEP_1)
	v_cmp_ne_u32_e64 s0, 0x7f800000, v51
                                        ; implicit-def: $vgpr51
	s_and_saveexec_b32 s6, s0
	s_delay_alu instid0(SALU_CYCLE_1)
	s_xor_b32 s0, exec_lo, s6
; %bb.106:                              ;   in Loop: Header=BB175_33 Depth=1
	v_bfe_u32 v51, v1, 16, 1
	s_delay_alu instid0(VALU_DEP_1)
	v_add3_u32 v51, v1, v51, 0x7fff
                                        ; implicit-def: $vgpr1
; %bb.107:                              ;   in Loop: Header=BB175_33 Depth=1
	s_and_not1_saveexec_b32 s6, s0
; %bb.108:                              ;   in Loop: Header=BB175_33 Depth=1
	v_and_b32_e32 v51, 0xffff, v1
	v_or_b32_e32 v52, 0x10000, v1
	s_delay_alu instid0(VALU_DEP_2) | instskip(NEXT) | instid1(VALU_DEP_1)
	v_cmp_eq_u32_e64 s0, 0, v51
	v_cndmask_b32_e64 v51, v52, v1, s0
; %bb.109:                              ;   in Loop: Header=BB175_33 Depth=1
	s_or_b32 exec_lo, exec_lo, s6
	v_lshlrev_b32_e32 v1, 16, v2
                                        ; implicit-def: $vgpr52
	s_delay_alu instid0(VALU_DEP_1) | instskip(NEXT) | instid1(VALU_DEP_1)
	v_mul_f32_e32 v1, v44, v1
	v_and_b32_e32 v2, 0x7f800000, v1
	s_delay_alu instid0(VALU_DEP_1) | instskip(NEXT) | instid1(VALU_DEP_1)
	v_cmp_ne_u32_e64 s0, 0x7f800000, v2
	s_and_saveexec_b32 s6, s0
	s_delay_alu instid0(SALU_CYCLE_1)
	s_xor_b32 s0, exec_lo, s6
; %bb.110:                              ;   in Loop: Header=BB175_33 Depth=1
	v_bfe_u32 v2, v1, 16, 1
	s_delay_alu instid0(VALU_DEP_1)
	v_add3_u32 v52, v1, v2, 0x7fff
                                        ; implicit-def: $vgpr1
; %bb.111:                              ;   in Loop: Header=BB175_33 Depth=1
	s_and_not1_saveexec_b32 s6, s0
; %bb.112:                              ;   in Loop: Header=BB175_33 Depth=1
	v_and_b32_e32 v2, 0xffff, v1
	v_or_b32_e32 v52, 0x10000, v1
	s_delay_alu instid0(VALU_DEP_2) | instskip(NEXT) | instid1(VALU_DEP_1)
	v_cmp_eq_u32_e64 s0, 0, v2
	v_cndmask_b32_e64 v52, v52, v1, s0
; %bb.113:                              ;   in Loop: Header=BB175_33 Depth=1
	s_or_b32 exec_lo, exec_lo, s6
	v_lshlrev_b32_e32 v1, 16, v53
                                        ; implicit-def: $vgpr53
	s_delay_alu instid0(VALU_DEP_1) | instskip(NEXT) | instid1(VALU_DEP_1)
	v_mul_f32_e32 v1, v45, v1
	v_and_b32_e32 v2, 0x7f800000, v1
	s_delay_alu instid0(VALU_DEP_1) | instskip(NEXT) | instid1(VALU_DEP_1)
	v_cmp_ne_u32_e64 s0, 0x7f800000, v2
	s_and_saveexec_b32 s6, s0
	s_delay_alu instid0(SALU_CYCLE_1)
	s_xor_b32 s0, exec_lo, s6
; %bb.114:                              ;   in Loop: Header=BB175_33 Depth=1
	v_bfe_u32 v2, v1, 16, 1
	s_delay_alu instid0(VALU_DEP_1)
	v_add3_u32 v53, v1, v2, 0x7fff
                                        ; implicit-def: $vgpr1
; %bb.115:                              ;   in Loop: Header=BB175_33 Depth=1
	s_and_not1_saveexec_b32 s6, s0
; %bb.116:                              ;   in Loop: Header=BB175_33 Depth=1
	v_and_b32_e32 v2, 0xffff, v1
	v_or_b32_e32 v53, 0x10000, v1
	s_delay_alu instid0(VALU_DEP_2) | instskip(NEXT) | instid1(VALU_DEP_1)
	v_cmp_eq_u32_e64 s0, 0, v2
	v_cndmask_b32_e64 v53, v53, v1, s0
; %bb.117:                              ;   in Loop: Header=BB175_33 Depth=1
	s_or_b32 exec_lo, exec_lo, s6
	v_lshlrev_b32_e32 v1, 16, v3
                                        ; implicit-def: $vgpr54
	s_delay_alu instid0(VALU_DEP_1) | instskip(NEXT) | instid1(VALU_DEP_1)
	v_mul_f32_e32 v1, v46, v1
	v_and_b32_e32 v2, 0x7f800000, v1
	s_delay_alu instid0(VALU_DEP_1) | instskip(NEXT) | instid1(VALU_DEP_1)
	v_cmp_ne_u32_e64 s0, 0x7f800000, v2
	s_and_saveexec_b32 s6, s0
	s_delay_alu instid0(SALU_CYCLE_1)
	s_xor_b32 s0, exec_lo, s6
; %bb.118:                              ;   in Loop: Header=BB175_33 Depth=1
	v_bfe_u32 v2, v1, 16, 1
	s_delay_alu instid0(VALU_DEP_1)
	v_add3_u32 v54, v1, v2, 0x7fff
                                        ; implicit-def: $vgpr1
; %bb.119:                              ;   in Loop: Header=BB175_33 Depth=1
	s_and_not1_saveexec_b32 s6, s0
; %bb.120:                              ;   in Loop: Header=BB175_33 Depth=1
	v_and_b32_e32 v2, 0xffff, v1
	v_or_b32_e32 v3, 0x10000, v1
	s_delay_alu instid0(VALU_DEP_2) | instskip(NEXT) | instid1(VALU_DEP_1)
	v_cmp_eq_u32_e64 s0, 0, v2
	v_cndmask_b32_e64 v54, v3, v1, s0
; %bb.121:                              ;   in Loop: Header=BB175_33 Depth=1
	s_or_b32 exec_lo, exec_lo, s6
	v_lshlrev_b32_e32 v1, 16, v55
                                        ; implicit-def: $vgpr55
	s_delay_alu instid0(VALU_DEP_1) | instskip(NEXT) | instid1(VALU_DEP_1)
	v_mul_f32_e32 v1, v47, v1
	v_and_b32_e32 v2, 0x7f800000, v1
	s_delay_alu instid0(VALU_DEP_1) | instskip(NEXT) | instid1(VALU_DEP_1)
	v_cmp_ne_u32_e64 s0, 0x7f800000, v2
	s_and_saveexec_b32 s6, s0
	s_delay_alu instid0(SALU_CYCLE_1)
	s_xor_b32 s0, exec_lo, s6
; %bb.122:                              ;   in Loop: Header=BB175_33 Depth=1
	v_bfe_u32 v2, v1, 16, 1
	s_delay_alu instid0(VALU_DEP_1)
	v_add3_u32 v55, v1, v2, 0x7fff
                                        ; implicit-def: $vgpr1
; %bb.123:                              ;   in Loop: Header=BB175_33 Depth=1
	s_and_not1_saveexec_b32 s6, s0
; %bb.124:                              ;   in Loop: Header=BB175_33 Depth=1
	v_and_b32_e32 v2, 0xffff, v1
	v_or_b32_e32 v3, 0x10000, v1
	s_delay_alu instid0(VALU_DEP_2) | instskip(NEXT) | instid1(VALU_DEP_1)
	v_cmp_eq_u32_e64 s0, 0, v2
	v_cndmask_b32_e64 v55, v3, v1, s0
; %bb.125:                              ;   in Loop: Header=BB175_33 Depth=1
	s_or_b32 exec_lo, exec_lo, s6
	v_lshlrev_b32_e32 v1, 16, v4
                                        ; implicit-def: $vgpr56
	s_delay_alu instid0(VALU_DEP_1) | instskip(NEXT) | instid1(VALU_DEP_1)
	v_mul_f32_e32 v1, v48, v1
	v_and_b32_e32 v2, 0x7f800000, v1
	s_delay_alu instid0(VALU_DEP_1) | instskip(NEXT) | instid1(VALU_DEP_1)
	v_cmp_ne_u32_e64 s0, 0x7f800000, v2
	s_and_saveexec_b32 s6, s0
	s_delay_alu instid0(SALU_CYCLE_1)
	s_xor_b32 s0, exec_lo, s6
; %bb.126:                              ;   in Loop: Header=BB175_33 Depth=1
	v_bfe_u32 v2, v1, 16, 1
	s_delay_alu instid0(VALU_DEP_1)
	v_add3_u32 v56, v1, v2, 0x7fff
                                        ; implicit-def: $vgpr1
; %bb.127:                              ;   in Loop: Header=BB175_33 Depth=1
	s_and_not1_saveexec_b32 s6, s0
; %bb.128:                              ;   in Loop: Header=BB175_33 Depth=1
	v_and_b32_e32 v2, 0xffff, v1
	v_or_b32_e32 v3, 0x10000, v1
	s_delay_alu instid0(VALU_DEP_2) | instskip(NEXT) | instid1(VALU_DEP_1)
	v_cmp_eq_u32_e64 s0, 0, v2
	v_cndmask_b32_e64 v56, v3, v1, s0
; %bb.129:                              ;   in Loop: Header=BB175_33 Depth=1
	s_or_b32 exec_lo, exec_lo, s6
	v_lshlrev_b32_e32 v1, 16, v57
                                        ; implicit-def: $vgpr57
	s_delay_alu instid0(VALU_DEP_1) | instskip(NEXT) | instid1(VALU_DEP_1)
	v_mul_f32_e32 v1, v49, v1
	v_and_b32_e32 v2, 0x7f800000, v1
	s_delay_alu instid0(VALU_DEP_1) | instskip(NEXT) | instid1(VALU_DEP_1)
	v_cmp_ne_u32_e64 s0, 0x7f800000, v2
	s_and_saveexec_b32 s6, s0
	s_delay_alu instid0(SALU_CYCLE_1)
	s_xor_b32 s0, exec_lo, s6
; %bb.130:                              ;   in Loop: Header=BB175_33 Depth=1
	v_bfe_u32 v2, v1, 16, 1
	s_delay_alu instid0(VALU_DEP_1)
	v_add3_u32 v57, v1, v2, 0x7fff
                                        ; implicit-def: $vgpr1
; %bb.131:                              ;   in Loop: Header=BB175_33 Depth=1
	s_and_not1_saveexec_b32 s6, s0
; %bb.132:                              ;   in Loop: Header=BB175_33 Depth=1
	v_and_b32_e32 v2, 0xffff, v1
	v_or_b32_e32 v3, 0x10000, v1
	s_delay_alu instid0(VALU_DEP_2) | instskip(NEXT) | instid1(VALU_DEP_1)
	v_cmp_eq_u32_e64 s0, 0, v2
	v_cndmask_b32_e64 v57, v3, v1, s0
; %bb.133:                              ;   in Loop: Header=BB175_33 Depth=1
	s_or_b32 exec_lo, exec_lo, s6
	global_load_b128 v[1:4], v[5:6], off offset:1024
	s_waitcnt vmcnt(0)
	v_lshrrev_b32_e32 v59, 16, v1
	v_lshrrev_b32_e32 v61, 16, v2
	;; [unrolled: 1-line block ×4, first 2 shown]
	s_and_saveexec_b32 s6, vcc_lo
	s_cbranch_execz .LBB175_135
; %bb.134:                              ;   in Loop: Header=BB175_33 Depth=1
	v_cmp_gt_i32_e64 s0, s30, v34
	s_delay_alu instid0(VALU_DEP_1) | instskip(SKIP_1) | instid1(VALU_DEP_1)
	v_cndmask_b32_e64 v1, 0, v1, s0
	v_cmp_gt_i32_e64 s0, s30, v41
	v_cndmask_b32_e64 v59, 0, v59, s0
	v_cmp_gt_i32_e64 s0, s30, v39
	s_delay_alu instid0(VALU_DEP_1) | instskip(SKIP_1) | instid1(VALU_DEP_1)
	v_cndmask_b32_e64 v2, 0, v2, s0
	v_cmp_gt_i32_e64 s0, s30, v38
	v_cndmask_b32_e64 v61, 0, v61, s0
	;; [unrolled: 5-line block ×4, first 2 shown]
.LBB175_135:                            ;   in Loop: Header=BB175_33 Depth=1
	s_or_b32 exec_lo, exec_lo, s6
	v_lshlrev_b32_e32 v1, 16, v1
	s_delay_alu instid0(VALU_DEP_1) | instskip(NEXT) | instid1(VALU_DEP_1)
	v_mul_f32_e32 v1, v42, v1
	v_and_b32_e32 v58, 0x7f800000, v1
	s_delay_alu instid0(VALU_DEP_1) | instskip(NEXT) | instid1(VALU_DEP_1)
	v_cmp_ne_u32_e64 s0, 0x7f800000, v58
                                        ; implicit-def: $vgpr58
	s_and_saveexec_b32 s6, s0
	s_delay_alu instid0(SALU_CYCLE_1)
	s_xor_b32 s0, exec_lo, s6
; %bb.136:                              ;   in Loop: Header=BB175_33 Depth=1
	v_bfe_u32 v58, v1, 16, 1
	s_delay_alu instid0(VALU_DEP_1)
	v_add3_u32 v58, v1, v58, 0x7fff
                                        ; implicit-def: $vgpr1
; %bb.137:                              ;   in Loop: Header=BB175_33 Depth=1
	s_and_not1_saveexec_b32 s6, s0
; %bb.138:                              ;   in Loop: Header=BB175_33 Depth=1
	v_and_b32_e32 v58, 0xffff, v1
	v_or_b32_e32 v60, 0x10000, v1
	s_delay_alu instid0(VALU_DEP_2) | instskip(NEXT) | instid1(VALU_DEP_1)
	v_cmp_eq_u32_e64 s0, 0, v58
	v_cndmask_b32_e64 v58, v60, v1, s0
; %bb.139:                              ;   in Loop: Header=BB175_33 Depth=1
	s_or_b32 exec_lo, exec_lo, s6
	v_lshlrev_b32_e32 v1, 16, v59
	s_delay_alu instid0(VALU_DEP_1) | instskip(NEXT) | instid1(VALU_DEP_1)
	v_mul_f32_e32 v1, v43, v1
	v_and_b32_e32 v59, 0x7f800000, v1
	s_delay_alu instid0(VALU_DEP_1) | instskip(NEXT) | instid1(VALU_DEP_1)
	v_cmp_ne_u32_e64 s0, 0x7f800000, v59
                                        ; implicit-def: $vgpr59
	s_and_saveexec_b32 s6, s0
	s_delay_alu instid0(SALU_CYCLE_1)
	s_xor_b32 s0, exec_lo, s6
; %bb.140:                              ;   in Loop: Header=BB175_33 Depth=1
	v_bfe_u32 v59, v1, 16, 1
	s_delay_alu instid0(VALU_DEP_1)
	v_add3_u32 v59, v1, v59, 0x7fff
                                        ; implicit-def: $vgpr1
; %bb.141:                              ;   in Loop: Header=BB175_33 Depth=1
	s_and_not1_saveexec_b32 s6, s0
; %bb.142:                              ;   in Loop: Header=BB175_33 Depth=1
	v_and_b32_e32 v59, 0xffff, v1
	v_or_b32_e32 v60, 0x10000, v1
	s_delay_alu instid0(VALU_DEP_2) | instskip(NEXT) | instid1(VALU_DEP_1)
	v_cmp_eq_u32_e64 s0, 0, v59
	v_cndmask_b32_e64 v59, v60, v1, s0
; %bb.143:                              ;   in Loop: Header=BB175_33 Depth=1
	s_or_b32 exec_lo, exec_lo, s6
	v_lshlrev_b32_e32 v1, 16, v2
                                        ; implicit-def: $vgpr60
	s_delay_alu instid0(VALU_DEP_1) | instskip(NEXT) | instid1(VALU_DEP_1)
	v_mul_f32_e32 v1, v44, v1
	v_and_b32_e32 v2, 0x7f800000, v1
	s_delay_alu instid0(VALU_DEP_1) | instskip(NEXT) | instid1(VALU_DEP_1)
	v_cmp_ne_u32_e64 s0, 0x7f800000, v2
	s_and_saveexec_b32 s6, s0
	s_delay_alu instid0(SALU_CYCLE_1)
	s_xor_b32 s0, exec_lo, s6
; %bb.144:                              ;   in Loop: Header=BB175_33 Depth=1
	v_bfe_u32 v2, v1, 16, 1
	s_delay_alu instid0(VALU_DEP_1)
	v_add3_u32 v60, v1, v2, 0x7fff
                                        ; implicit-def: $vgpr1
; %bb.145:                              ;   in Loop: Header=BB175_33 Depth=1
	s_and_not1_saveexec_b32 s6, s0
; %bb.146:                              ;   in Loop: Header=BB175_33 Depth=1
	v_and_b32_e32 v2, 0xffff, v1
	v_or_b32_e32 v60, 0x10000, v1
	s_delay_alu instid0(VALU_DEP_2) | instskip(NEXT) | instid1(VALU_DEP_1)
	v_cmp_eq_u32_e64 s0, 0, v2
	v_cndmask_b32_e64 v60, v60, v1, s0
; %bb.147:                              ;   in Loop: Header=BB175_33 Depth=1
	s_or_b32 exec_lo, exec_lo, s6
	v_lshlrev_b32_e32 v1, 16, v61
                                        ; implicit-def: $vgpr61
	s_delay_alu instid0(VALU_DEP_1) | instskip(NEXT) | instid1(VALU_DEP_1)
	v_mul_f32_e32 v1, v45, v1
	v_and_b32_e32 v2, 0x7f800000, v1
	s_delay_alu instid0(VALU_DEP_1) | instskip(NEXT) | instid1(VALU_DEP_1)
	v_cmp_ne_u32_e64 s0, 0x7f800000, v2
	s_and_saveexec_b32 s6, s0
	s_delay_alu instid0(SALU_CYCLE_1)
	s_xor_b32 s0, exec_lo, s6
; %bb.148:                              ;   in Loop: Header=BB175_33 Depth=1
	v_bfe_u32 v2, v1, 16, 1
	s_delay_alu instid0(VALU_DEP_1)
	v_add3_u32 v61, v1, v2, 0x7fff
                                        ; implicit-def: $vgpr1
; %bb.149:                              ;   in Loop: Header=BB175_33 Depth=1
	s_and_not1_saveexec_b32 s6, s0
; %bb.150:                              ;   in Loop: Header=BB175_33 Depth=1
	v_and_b32_e32 v2, 0xffff, v1
	v_or_b32_e32 v61, 0x10000, v1
	s_delay_alu instid0(VALU_DEP_2) | instskip(NEXT) | instid1(VALU_DEP_1)
	v_cmp_eq_u32_e64 s0, 0, v2
	v_cndmask_b32_e64 v61, v61, v1, s0
; %bb.151:                              ;   in Loop: Header=BB175_33 Depth=1
	s_or_b32 exec_lo, exec_lo, s6
	v_lshlrev_b32_e32 v1, 16, v3
                                        ; implicit-def: $vgpr62
	s_delay_alu instid0(VALU_DEP_1) | instskip(NEXT) | instid1(VALU_DEP_1)
	v_mul_f32_e32 v1, v46, v1
	v_and_b32_e32 v2, 0x7f800000, v1
	s_delay_alu instid0(VALU_DEP_1) | instskip(NEXT) | instid1(VALU_DEP_1)
	v_cmp_ne_u32_e64 s0, 0x7f800000, v2
	s_and_saveexec_b32 s6, s0
	s_delay_alu instid0(SALU_CYCLE_1)
	s_xor_b32 s0, exec_lo, s6
; %bb.152:                              ;   in Loop: Header=BB175_33 Depth=1
	v_bfe_u32 v2, v1, 16, 1
	s_delay_alu instid0(VALU_DEP_1)
	v_add3_u32 v62, v1, v2, 0x7fff
                                        ; implicit-def: $vgpr1
; %bb.153:                              ;   in Loop: Header=BB175_33 Depth=1
	s_and_not1_saveexec_b32 s6, s0
; %bb.154:                              ;   in Loop: Header=BB175_33 Depth=1
	v_and_b32_e32 v2, 0xffff, v1
	v_or_b32_e32 v3, 0x10000, v1
	s_delay_alu instid0(VALU_DEP_2) | instskip(NEXT) | instid1(VALU_DEP_1)
	v_cmp_eq_u32_e64 s0, 0, v2
	v_cndmask_b32_e64 v62, v3, v1, s0
; %bb.155:                              ;   in Loop: Header=BB175_33 Depth=1
	s_or_b32 exec_lo, exec_lo, s6
	v_lshlrev_b32_e32 v1, 16, v63
                                        ; implicit-def: $vgpr63
	s_delay_alu instid0(VALU_DEP_1) | instskip(NEXT) | instid1(VALU_DEP_1)
	v_mul_f32_e32 v1, v47, v1
	v_and_b32_e32 v2, 0x7f800000, v1
	s_delay_alu instid0(VALU_DEP_1) | instskip(NEXT) | instid1(VALU_DEP_1)
	v_cmp_ne_u32_e64 s0, 0x7f800000, v2
	s_and_saveexec_b32 s6, s0
	s_delay_alu instid0(SALU_CYCLE_1)
	s_xor_b32 s0, exec_lo, s6
; %bb.156:                              ;   in Loop: Header=BB175_33 Depth=1
	v_bfe_u32 v2, v1, 16, 1
	s_delay_alu instid0(VALU_DEP_1)
	v_add3_u32 v63, v1, v2, 0x7fff
                                        ; implicit-def: $vgpr1
; %bb.157:                              ;   in Loop: Header=BB175_33 Depth=1
	s_and_not1_saveexec_b32 s6, s0
; %bb.158:                              ;   in Loop: Header=BB175_33 Depth=1
	v_and_b32_e32 v2, 0xffff, v1
	v_or_b32_e32 v3, 0x10000, v1
	s_delay_alu instid0(VALU_DEP_2) | instskip(NEXT) | instid1(VALU_DEP_1)
	v_cmp_eq_u32_e64 s0, 0, v2
	v_cndmask_b32_e64 v63, v3, v1, s0
; %bb.159:                              ;   in Loop: Header=BB175_33 Depth=1
	s_or_b32 exec_lo, exec_lo, s6
	v_lshlrev_b32_e32 v1, 16, v4
                                        ; implicit-def: $vgpr64
	s_delay_alu instid0(VALU_DEP_1) | instskip(NEXT) | instid1(VALU_DEP_1)
	v_mul_f32_e32 v1, v48, v1
	v_and_b32_e32 v2, 0x7f800000, v1
	s_delay_alu instid0(VALU_DEP_1) | instskip(NEXT) | instid1(VALU_DEP_1)
	v_cmp_ne_u32_e64 s0, 0x7f800000, v2
	s_and_saveexec_b32 s6, s0
	s_delay_alu instid0(SALU_CYCLE_1)
	s_xor_b32 s0, exec_lo, s6
; %bb.160:                              ;   in Loop: Header=BB175_33 Depth=1
	v_bfe_u32 v2, v1, 16, 1
	s_delay_alu instid0(VALU_DEP_1)
	v_add3_u32 v64, v1, v2, 0x7fff
                                        ; implicit-def: $vgpr1
; %bb.161:                              ;   in Loop: Header=BB175_33 Depth=1
	s_and_not1_saveexec_b32 s6, s0
; %bb.162:                              ;   in Loop: Header=BB175_33 Depth=1
	v_and_b32_e32 v2, 0xffff, v1
	v_or_b32_e32 v3, 0x10000, v1
	s_delay_alu instid0(VALU_DEP_2) | instskip(NEXT) | instid1(VALU_DEP_1)
	v_cmp_eq_u32_e64 s0, 0, v2
	v_cndmask_b32_e64 v64, v3, v1, s0
; %bb.163:                              ;   in Loop: Header=BB175_33 Depth=1
	s_or_b32 exec_lo, exec_lo, s6
	v_lshlrev_b32_e32 v1, 16, v65
                                        ; implicit-def: $vgpr65
	s_delay_alu instid0(VALU_DEP_1) | instskip(NEXT) | instid1(VALU_DEP_1)
	v_mul_f32_e32 v1, v49, v1
	v_and_b32_e32 v2, 0x7f800000, v1
	s_delay_alu instid0(VALU_DEP_1) | instskip(NEXT) | instid1(VALU_DEP_1)
	v_cmp_ne_u32_e64 s0, 0x7f800000, v2
	s_and_saveexec_b32 s6, s0
	s_delay_alu instid0(SALU_CYCLE_1)
	s_xor_b32 s0, exec_lo, s6
; %bb.164:                              ;   in Loop: Header=BB175_33 Depth=1
	v_bfe_u32 v2, v1, 16, 1
	s_delay_alu instid0(VALU_DEP_1)
	v_add3_u32 v65, v1, v2, 0x7fff
                                        ; implicit-def: $vgpr1
; %bb.165:                              ;   in Loop: Header=BB175_33 Depth=1
	s_and_not1_saveexec_b32 s6, s0
; %bb.166:                              ;   in Loop: Header=BB175_33 Depth=1
	v_and_b32_e32 v2, 0xffff, v1
	v_or_b32_e32 v3, 0x10000, v1
	s_delay_alu instid0(VALU_DEP_2) | instskip(NEXT) | instid1(VALU_DEP_1)
	v_cmp_eq_u32_e64 s0, 0, v2
	v_cndmask_b32_e64 v65, v3, v1, s0
; %bb.167:                              ;   in Loop: Header=BB175_33 Depth=1
	s_or_b32 exec_lo, exec_lo, s6
	global_load_b128 v[1:4], v[5:6], off offset:1536
	s_waitcnt vmcnt(0)
	v_lshrrev_b32_e32 v67, 16, v1
	v_lshrrev_b32_e32 v69, 16, v2
	;; [unrolled: 1-line block ×4, first 2 shown]
	s_and_saveexec_b32 s6, vcc_lo
	s_cbranch_execz .LBB175_169
; %bb.168:                              ;   in Loop: Header=BB175_33 Depth=1
	v_cmp_gt_i32_e64 s0, s30, v34
	s_delay_alu instid0(VALU_DEP_1) | instskip(SKIP_1) | instid1(VALU_DEP_1)
	v_cndmask_b32_e64 v1, 0, v1, s0
	v_cmp_gt_i32_e64 s0, s30, v41
	v_cndmask_b32_e64 v67, 0, v67, s0
	v_cmp_gt_i32_e64 s0, s30, v39
	s_delay_alu instid0(VALU_DEP_1) | instskip(SKIP_1) | instid1(VALU_DEP_1)
	v_cndmask_b32_e64 v2, 0, v2, s0
	v_cmp_gt_i32_e64 s0, s30, v38
	v_cndmask_b32_e64 v69, 0, v69, s0
	;; [unrolled: 5-line block ×4, first 2 shown]
.LBB175_169:                            ;   in Loop: Header=BB175_33 Depth=1
	s_or_b32 exec_lo, exec_lo, s6
	v_lshlrev_b32_e32 v1, 16, v1
	s_delay_alu instid0(VALU_DEP_1) | instskip(NEXT) | instid1(VALU_DEP_1)
	v_mul_f32_e32 v1, v42, v1
	v_and_b32_e32 v66, 0x7f800000, v1
	s_delay_alu instid0(VALU_DEP_1) | instskip(NEXT) | instid1(VALU_DEP_1)
	v_cmp_ne_u32_e64 s0, 0x7f800000, v66
                                        ; implicit-def: $vgpr66
	s_and_saveexec_b32 s6, s0
	s_delay_alu instid0(SALU_CYCLE_1)
	s_xor_b32 s0, exec_lo, s6
; %bb.170:                              ;   in Loop: Header=BB175_33 Depth=1
	v_bfe_u32 v66, v1, 16, 1
	s_delay_alu instid0(VALU_DEP_1)
	v_add3_u32 v66, v1, v66, 0x7fff
                                        ; implicit-def: $vgpr1
; %bb.171:                              ;   in Loop: Header=BB175_33 Depth=1
	s_and_not1_saveexec_b32 s6, s0
; %bb.172:                              ;   in Loop: Header=BB175_33 Depth=1
	v_and_b32_e32 v66, 0xffff, v1
	v_or_b32_e32 v68, 0x10000, v1
	s_delay_alu instid0(VALU_DEP_2) | instskip(NEXT) | instid1(VALU_DEP_1)
	v_cmp_eq_u32_e64 s0, 0, v66
	v_cndmask_b32_e64 v66, v68, v1, s0
; %bb.173:                              ;   in Loop: Header=BB175_33 Depth=1
	s_or_b32 exec_lo, exec_lo, s6
	v_lshlrev_b32_e32 v1, 16, v67
	s_delay_alu instid0(VALU_DEP_1) | instskip(NEXT) | instid1(VALU_DEP_1)
	v_mul_f32_e32 v1, v43, v1
	v_and_b32_e32 v67, 0x7f800000, v1
	s_delay_alu instid0(VALU_DEP_1) | instskip(NEXT) | instid1(VALU_DEP_1)
	v_cmp_ne_u32_e64 s0, 0x7f800000, v67
                                        ; implicit-def: $vgpr67
	s_and_saveexec_b32 s6, s0
	s_delay_alu instid0(SALU_CYCLE_1)
	s_xor_b32 s0, exec_lo, s6
; %bb.174:                              ;   in Loop: Header=BB175_33 Depth=1
	v_bfe_u32 v67, v1, 16, 1
	s_delay_alu instid0(VALU_DEP_1)
	v_add3_u32 v67, v1, v67, 0x7fff
                                        ; implicit-def: $vgpr1
; %bb.175:                              ;   in Loop: Header=BB175_33 Depth=1
	s_and_not1_saveexec_b32 s6, s0
; %bb.176:                              ;   in Loop: Header=BB175_33 Depth=1
	v_and_b32_e32 v67, 0xffff, v1
	v_or_b32_e32 v68, 0x10000, v1
	s_delay_alu instid0(VALU_DEP_2) | instskip(NEXT) | instid1(VALU_DEP_1)
	v_cmp_eq_u32_e64 s0, 0, v67
	v_cndmask_b32_e64 v67, v68, v1, s0
; %bb.177:                              ;   in Loop: Header=BB175_33 Depth=1
	s_or_b32 exec_lo, exec_lo, s6
	v_lshlrev_b32_e32 v1, 16, v2
                                        ; implicit-def: $vgpr68
	s_delay_alu instid0(VALU_DEP_1) | instskip(NEXT) | instid1(VALU_DEP_1)
	v_mul_f32_e32 v1, v44, v1
	v_and_b32_e32 v2, 0x7f800000, v1
	s_delay_alu instid0(VALU_DEP_1) | instskip(NEXT) | instid1(VALU_DEP_1)
	v_cmp_ne_u32_e64 s0, 0x7f800000, v2
	s_and_saveexec_b32 s6, s0
	s_delay_alu instid0(SALU_CYCLE_1)
	s_xor_b32 s0, exec_lo, s6
; %bb.178:                              ;   in Loop: Header=BB175_33 Depth=1
	v_bfe_u32 v2, v1, 16, 1
	s_delay_alu instid0(VALU_DEP_1)
	v_add3_u32 v68, v1, v2, 0x7fff
                                        ; implicit-def: $vgpr1
; %bb.179:                              ;   in Loop: Header=BB175_33 Depth=1
	s_and_not1_saveexec_b32 s6, s0
; %bb.180:                              ;   in Loop: Header=BB175_33 Depth=1
	v_and_b32_e32 v2, 0xffff, v1
	v_or_b32_e32 v68, 0x10000, v1
	s_delay_alu instid0(VALU_DEP_2) | instskip(NEXT) | instid1(VALU_DEP_1)
	v_cmp_eq_u32_e64 s0, 0, v2
	v_cndmask_b32_e64 v68, v68, v1, s0
; %bb.181:                              ;   in Loop: Header=BB175_33 Depth=1
	s_or_b32 exec_lo, exec_lo, s6
	v_lshlrev_b32_e32 v1, 16, v69
                                        ; implicit-def: $vgpr69
	s_delay_alu instid0(VALU_DEP_1) | instskip(NEXT) | instid1(VALU_DEP_1)
	v_mul_f32_e32 v1, v45, v1
	v_and_b32_e32 v2, 0x7f800000, v1
	s_delay_alu instid0(VALU_DEP_1) | instskip(NEXT) | instid1(VALU_DEP_1)
	v_cmp_ne_u32_e64 s0, 0x7f800000, v2
	s_and_saveexec_b32 s6, s0
	s_delay_alu instid0(SALU_CYCLE_1)
	s_xor_b32 s0, exec_lo, s6
; %bb.182:                              ;   in Loop: Header=BB175_33 Depth=1
	v_bfe_u32 v2, v1, 16, 1
	s_delay_alu instid0(VALU_DEP_1)
	v_add3_u32 v69, v1, v2, 0x7fff
                                        ; implicit-def: $vgpr1
; %bb.183:                              ;   in Loop: Header=BB175_33 Depth=1
	s_and_not1_saveexec_b32 s6, s0
; %bb.184:                              ;   in Loop: Header=BB175_33 Depth=1
	v_and_b32_e32 v2, 0xffff, v1
	v_or_b32_e32 v69, 0x10000, v1
	s_delay_alu instid0(VALU_DEP_2) | instskip(NEXT) | instid1(VALU_DEP_1)
	v_cmp_eq_u32_e64 s0, 0, v2
	v_cndmask_b32_e64 v69, v69, v1, s0
; %bb.185:                              ;   in Loop: Header=BB175_33 Depth=1
	s_or_b32 exec_lo, exec_lo, s6
	v_lshlrev_b32_e32 v1, 16, v3
                                        ; implicit-def: $vgpr70
	s_delay_alu instid0(VALU_DEP_1) | instskip(NEXT) | instid1(VALU_DEP_1)
	v_mul_f32_e32 v1, v46, v1
	v_and_b32_e32 v2, 0x7f800000, v1
	s_delay_alu instid0(VALU_DEP_1) | instskip(NEXT) | instid1(VALU_DEP_1)
	v_cmp_ne_u32_e64 s0, 0x7f800000, v2
	s_and_saveexec_b32 s6, s0
	s_delay_alu instid0(SALU_CYCLE_1)
	s_xor_b32 s0, exec_lo, s6
; %bb.186:                              ;   in Loop: Header=BB175_33 Depth=1
	v_bfe_u32 v2, v1, 16, 1
	s_delay_alu instid0(VALU_DEP_1)
	v_add3_u32 v70, v1, v2, 0x7fff
                                        ; implicit-def: $vgpr1
; %bb.187:                              ;   in Loop: Header=BB175_33 Depth=1
	s_and_not1_saveexec_b32 s6, s0
; %bb.188:                              ;   in Loop: Header=BB175_33 Depth=1
	v_and_b32_e32 v2, 0xffff, v1
	v_or_b32_e32 v3, 0x10000, v1
	s_delay_alu instid0(VALU_DEP_2) | instskip(NEXT) | instid1(VALU_DEP_1)
	v_cmp_eq_u32_e64 s0, 0, v2
	v_cndmask_b32_e64 v70, v3, v1, s0
; %bb.189:                              ;   in Loop: Header=BB175_33 Depth=1
	s_or_b32 exec_lo, exec_lo, s6
	v_lshlrev_b32_e32 v1, 16, v71
                                        ; implicit-def: $vgpr71
	s_delay_alu instid0(VALU_DEP_1) | instskip(NEXT) | instid1(VALU_DEP_1)
	v_mul_f32_e32 v1, v47, v1
	v_and_b32_e32 v2, 0x7f800000, v1
	s_delay_alu instid0(VALU_DEP_1) | instskip(NEXT) | instid1(VALU_DEP_1)
	v_cmp_ne_u32_e64 s0, 0x7f800000, v2
	s_and_saveexec_b32 s6, s0
	s_delay_alu instid0(SALU_CYCLE_1)
	s_xor_b32 s0, exec_lo, s6
; %bb.190:                              ;   in Loop: Header=BB175_33 Depth=1
	v_bfe_u32 v2, v1, 16, 1
	s_delay_alu instid0(VALU_DEP_1)
	v_add3_u32 v71, v1, v2, 0x7fff
                                        ; implicit-def: $vgpr1
; %bb.191:                              ;   in Loop: Header=BB175_33 Depth=1
	s_and_not1_saveexec_b32 s6, s0
; %bb.192:                              ;   in Loop: Header=BB175_33 Depth=1
	v_and_b32_e32 v2, 0xffff, v1
	v_or_b32_e32 v3, 0x10000, v1
	s_delay_alu instid0(VALU_DEP_2) | instskip(NEXT) | instid1(VALU_DEP_1)
	v_cmp_eq_u32_e64 s0, 0, v2
	v_cndmask_b32_e64 v71, v3, v1, s0
; %bb.193:                              ;   in Loop: Header=BB175_33 Depth=1
	s_or_b32 exec_lo, exec_lo, s6
	v_lshlrev_b32_e32 v1, 16, v4
                                        ; implicit-def: $vgpr72
	s_delay_alu instid0(VALU_DEP_1) | instskip(NEXT) | instid1(VALU_DEP_1)
	v_mul_f32_e32 v1, v48, v1
	v_and_b32_e32 v2, 0x7f800000, v1
	s_delay_alu instid0(VALU_DEP_1) | instskip(NEXT) | instid1(VALU_DEP_1)
	v_cmp_ne_u32_e64 s0, 0x7f800000, v2
	s_and_saveexec_b32 s6, s0
	s_delay_alu instid0(SALU_CYCLE_1)
	s_xor_b32 s0, exec_lo, s6
; %bb.194:                              ;   in Loop: Header=BB175_33 Depth=1
	v_bfe_u32 v2, v1, 16, 1
	s_delay_alu instid0(VALU_DEP_1)
	v_add3_u32 v72, v1, v2, 0x7fff
                                        ; implicit-def: $vgpr1
; %bb.195:                              ;   in Loop: Header=BB175_33 Depth=1
	s_and_not1_saveexec_b32 s6, s0
; %bb.196:                              ;   in Loop: Header=BB175_33 Depth=1
	v_and_b32_e32 v2, 0xffff, v1
	v_or_b32_e32 v3, 0x10000, v1
	s_delay_alu instid0(VALU_DEP_2) | instskip(NEXT) | instid1(VALU_DEP_1)
	v_cmp_eq_u32_e64 s0, 0, v2
	v_cndmask_b32_e64 v72, v3, v1, s0
; %bb.197:                              ;   in Loop: Header=BB175_33 Depth=1
	s_or_b32 exec_lo, exec_lo, s6
	v_lshlrev_b32_e32 v1, 16, v73
                                        ; implicit-def: $vgpr73
	s_delay_alu instid0(VALU_DEP_1) | instskip(NEXT) | instid1(VALU_DEP_1)
	v_mul_f32_e32 v1, v49, v1
	v_and_b32_e32 v2, 0x7f800000, v1
	s_delay_alu instid0(VALU_DEP_1) | instskip(NEXT) | instid1(VALU_DEP_1)
	v_cmp_ne_u32_e64 s0, 0x7f800000, v2
	s_and_saveexec_b32 s6, s0
	s_delay_alu instid0(SALU_CYCLE_1)
	s_xor_b32 s0, exec_lo, s6
; %bb.198:                              ;   in Loop: Header=BB175_33 Depth=1
	v_bfe_u32 v2, v1, 16, 1
	s_delay_alu instid0(VALU_DEP_1)
	v_add3_u32 v73, v1, v2, 0x7fff
                                        ; implicit-def: $vgpr1
; %bb.199:                              ;   in Loop: Header=BB175_33 Depth=1
	s_and_not1_saveexec_b32 s6, s0
; %bb.200:                              ;   in Loop: Header=BB175_33 Depth=1
	v_and_b32_e32 v2, 0xffff, v1
	v_or_b32_e32 v3, 0x10000, v1
	s_delay_alu instid0(VALU_DEP_2) | instskip(NEXT) | instid1(VALU_DEP_1)
	v_cmp_eq_u32_e64 s0, 0, v2
	v_cndmask_b32_e64 v73, v3, v1, s0
; %bb.201:                              ;   in Loop: Header=BB175_33 Depth=1
	s_or_b32 exec_lo, exec_lo, s6
	global_load_b128 v[1:4], v[5:6], off offset:2048
	s_waitcnt vmcnt(0)
	v_lshrrev_b32_e32 v75, 16, v1
	v_lshrrev_b32_e32 v77, 16, v2
	;; [unrolled: 1-line block ×4, first 2 shown]
	s_and_saveexec_b32 s6, vcc_lo
	s_cbranch_execz .LBB175_203
; %bb.202:                              ;   in Loop: Header=BB175_33 Depth=1
	v_cmp_gt_i32_e64 s0, s30, v34
	s_delay_alu instid0(VALU_DEP_1) | instskip(SKIP_1) | instid1(VALU_DEP_1)
	v_cndmask_b32_e64 v1, 0, v1, s0
	v_cmp_gt_i32_e64 s0, s30, v41
	v_cndmask_b32_e64 v75, 0, v75, s0
	v_cmp_gt_i32_e64 s0, s30, v39
	s_delay_alu instid0(VALU_DEP_1) | instskip(SKIP_1) | instid1(VALU_DEP_1)
	v_cndmask_b32_e64 v2, 0, v2, s0
	v_cmp_gt_i32_e64 s0, s30, v38
	v_cndmask_b32_e64 v77, 0, v77, s0
	;; [unrolled: 5-line block ×4, first 2 shown]
.LBB175_203:                            ;   in Loop: Header=BB175_33 Depth=1
	s_or_b32 exec_lo, exec_lo, s6
	v_lshlrev_b32_e32 v1, 16, v1
	s_delay_alu instid0(VALU_DEP_1) | instskip(NEXT) | instid1(VALU_DEP_1)
	v_mul_f32_e32 v1, v42, v1
	v_and_b32_e32 v74, 0x7f800000, v1
	s_delay_alu instid0(VALU_DEP_1) | instskip(NEXT) | instid1(VALU_DEP_1)
	v_cmp_ne_u32_e64 s0, 0x7f800000, v74
                                        ; implicit-def: $vgpr74
	s_and_saveexec_b32 s6, s0
	s_delay_alu instid0(SALU_CYCLE_1)
	s_xor_b32 s0, exec_lo, s6
; %bb.204:                              ;   in Loop: Header=BB175_33 Depth=1
	v_bfe_u32 v74, v1, 16, 1
	s_delay_alu instid0(VALU_DEP_1)
	v_add3_u32 v74, v1, v74, 0x7fff
                                        ; implicit-def: $vgpr1
; %bb.205:                              ;   in Loop: Header=BB175_33 Depth=1
	s_and_not1_saveexec_b32 s6, s0
; %bb.206:                              ;   in Loop: Header=BB175_33 Depth=1
	v_and_b32_e32 v74, 0xffff, v1
	v_or_b32_e32 v76, 0x10000, v1
	s_delay_alu instid0(VALU_DEP_2) | instskip(NEXT) | instid1(VALU_DEP_1)
	v_cmp_eq_u32_e64 s0, 0, v74
	v_cndmask_b32_e64 v74, v76, v1, s0
; %bb.207:                              ;   in Loop: Header=BB175_33 Depth=1
	s_or_b32 exec_lo, exec_lo, s6
	v_lshlrev_b32_e32 v1, 16, v75
	s_delay_alu instid0(VALU_DEP_1) | instskip(NEXT) | instid1(VALU_DEP_1)
	v_mul_f32_e32 v1, v43, v1
	v_and_b32_e32 v75, 0x7f800000, v1
	s_delay_alu instid0(VALU_DEP_1) | instskip(NEXT) | instid1(VALU_DEP_1)
	v_cmp_ne_u32_e64 s0, 0x7f800000, v75
                                        ; implicit-def: $vgpr75
	s_and_saveexec_b32 s6, s0
	s_delay_alu instid0(SALU_CYCLE_1)
	s_xor_b32 s0, exec_lo, s6
; %bb.208:                              ;   in Loop: Header=BB175_33 Depth=1
	v_bfe_u32 v75, v1, 16, 1
	s_delay_alu instid0(VALU_DEP_1)
	v_add3_u32 v75, v1, v75, 0x7fff
                                        ; implicit-def: $vgpr1
; %bb.209:                              ;   in Loop: Header=BB175_33 Depth=1
	s_and_not1_saveexec_b32 s6, s0
; %bb.210:                              ;   in Loop: Header=BB175_33 Depth=1
	v_and_b32_e32 v75, 0xffff, v1
	v_or_b32_e32 v76, 0x10000, v1
	s_delay_alu instid0(VALU_DEP_2) | instskip(NEXT) | instid1(VALU_DEP_1)
	v_cmp_eq_u32_e64 s0, 0, v75
	v_cndmask_b32_e64 v75, v76, v1, s0
; %bb.211:                              ;   in Loop: Header=BB175_33 Depth=1
	s_or_b32 exec_lo, exec_lo, s6
	v_lshlrev_b32_e32 v1, 16, v2
                                        ; implicit-def: $vgpr76
	s_delay_alu instid0(VALU_DEP_1) | instskip(NEXT) | instid1(VALU_DEP_1)
	v_mul_f32_e32 v1, v44, v1
	v_and_b32_e32 v2, 0x7f800000, v1
	s_delay_alu instid0(VALU_DEP_1) | instskip(NEXT) | instid1(VALU_DEP_1)
	v_cmp_ne_u32_e64 s0, 0x7f800000, v2
	s_and_saveexec_b32 s6, s0
	s_delay_alu instid0(SALU_CYCLE_1)
	s_xor_b32 s0, exec_lo, s6
; %bb.212:                              ;   in Loop: Header=BB175_33 Depth=1
	v_bfe_u32 v2, v1, 16, 1
	s_delay_alu instid0(VALU_DEP_1)
	v_add3_u32 v76, v1, v2, 0x7fff
                                        ; implicit-def: $vgpr1
; %bb.213:                              ;   in Loop: Header=BB175_33 Depth=1
	s_and_not1_saveexec_b32 s6, s0
; %bb.214:                              ;   in Loop: Header=BB175_33 Depth=1
	v_and_b32_e32 v2, 0xffff, v1
	v_or_b32_e32 v76, 0x10000, v1
	s_delay_alu instid0(VALU_DEP_2) | instskip(NEXT) | instid1(VALU_DEP_1)
	v_cmp_eq_u32_e64 s0, 0, v2
	v_cndmask_b32_e64 v76, v76, v1, s0
; %bb.215:                              ;   in Loop: Header=BB175_33 Depth=1
	s_or_b32 exec_lo, exec_lo, s6
	v_lshlrev_b32_e32 v1, 16, v77
                                        ; implicit-def: $vgpr77
	s_delay_alu instid0(VALU_DEP_1) | instskip(NEXT) | instid1(VALU_DEP_1)
	v_mul_f32_e32 v1, v45, v1
	v_and_b32_e32 v2, 0x7f800000, v1
	s_delay_alu instid0(VALU_DEP_1) | instskip(NEXT) | instid1(VALU_DEP_1)
	v_cmp_ne_u32_e64 s0, 0x7f800000, v2
	s_and_saveexec_b32 s6, s0
	s_delay_alu instid0(SALU_CYCLE_1)
	s_xor_b32 s0, exec_lo, s6
; %bb.216:                              ;   in Loop: Header=BB175_33 Depth=1
	v_bfe_u32 v2, v1, 16, 1
	s_delay_alu instid0(VALU_DEP_1)
	v_add3_u32 v77, v1, v2, 0x7fff
                                        ; implicit-def: $vgpr1
; %bb.217:                              ;   in Loop: Header=BB175_33 Depth=1
	s_and_not1_saveexec_b32 s6, s0
; %bb.218:                              ;   in Loop: Header=BB175_33 Depth=1
	v_and_b32_e32 v2, 0xffff, v1
	v_or_b32_e32 v77, 0x10000, v1
	s_delay_alu instid0(VALU_DEP_2) | instskip(NEXT) | instid1(VALU_DEP_1)
	v_cmp_eq_u32_e64 s0, 0, v2
	v_cndmask_b32_e64 v77, v77, v1, s0
; %bb.219:                              ;   in Loop: Header=BB175_33 Depth=1
	s_or_b32 exec_lo, exec_lo, s6
	v_lshlrev_b32_e32 v1, 16, v3
                                        ; implicit-def: $vgpr78
	s_delay_alu instid0(VALU_DEP_1) | instskip(NEXT) | instid1(VALU_DEP_1)
	v_mul_f32_e32 v1, v46, v1
	v_and_b32_e32 v2, 0x7f800000, v1
	s_delay_alu instid0(VALU_DEP_1) | instskip(NEXT) | instid1(VALU_DEP_1)
	v_cmp_ne_u32_e64 s0, 0x7f800000, v2
	s_and_saveexec_b32 s6, s0
	s_delay_alu instid0(SALU_CYCLE_1)
	s_xor_b32 s0, exec_lo, s6
; %bb.220:                              ;   in Loop: Header=BB175_33 Depth=1
	v_bfe_u32 v2, v1, 16, 1
	s_delay_alu instid0(VALU_DEP_1)
	v_add3_u32 v78, v1, v2, 0x7fff
                                        ; implicit-def: $vgpr1
; %bb.221:                              ;   in Loop: Header=BB175_33 Depth=1
	s_and_not1_saveexec_b32 s6, s0
; %bb.222:                              ;   in Loop: Header=BB175_33 Depth=1
	v_and_b32_e32 v2, 0xffff, v1
	v_or_b32_e32 v3, 0x10000, v1
	s_delay_alu instid0(VALU_DEP_2) | instskip(NEXT) | instid1(VALU_DEP_1)
	v_cmp_eq_u32_e64 s0, 0, v2
	v_cndmask_b32_e64 v78, v3, v1, s0
; %bb.223:                              ;   in Loop: Header=BB175_33 Depth=1
	s_or_b32 exec_lo, exec_lo, s6
	v_lshlrev_b32_e32 v1, 16, v79
                                        ; implicit-def: $vgpr79
	s_delay_alu instid0(VALU_DEP_1) | instskip(NEXT) | instid1(VALU_DEP_1)
	v_mul_f32_e32 v1, v47, v1
	v_and_b32_e32 v2, 0x7f800000, v1
	s_delay_alu instid0(VALU_DEP_1) | instskip(NEXT) | instid1(VALU_DEP_1)
	v_cmp_ne_u32_e64 s0, 0x7f800000, v2
	s_and_saveexec_b32 s6, s0
	s_delay_alu instid0(SALU_CYCLE_1)
	s_xor_b32 s0, exec_lo, s6
; %bb.224:                              ;   in Loop: Header=BB175_33 Depth=1
	v_bfe_u32 v2, v1, 16, 1
	s_delay_alu instid0(VALU_DEP_1)
	v_add3_u32 v79, v1, v2, 0x7fff
                                        ; implicit-def: $vgpr1
; %bb.225:                              ;   in Loop: Header=BB175_33 Depth=1
	s_and_not1_saveexec_b32 s6, s0
; %bb.226:                              ;   in Loop: Header=BB175_33 Depth=1
	v_and_b32_e32 v2, 0xffff, v1
	v_or_b32_e32 v3, 0x10000, v1
	s_delay_alu instid0(VALU_DEP_2) | instskip(NEXT) | instid1(VALU_DEP_1)
	v_cmp_eq_u32_e64 s0, 0, v2
	v_cndmask_b32_e64 v79, v3, v1, s0
; %bb.227:                              ;   in Loop: Header=BB175_33 Depth=1
	s_or_b32 exec_lo, exec_lo, s6
	v_lshlrev_b32_e32 v1, 16, v4
                                        ; implicit-def: $vgpr80
	s_delay_alu instid0(VALU_DEP_1) | instskip(NEXT) | instid1(VALU_DEP_1)
	v_mul_f32_e32 v1, v48, v1
	v_and_b32_e32 v2, 0x7f800000, v1
	s_delay_alu instid0(VALU_DEP_1) | instskip(NEXT) | instid1(VALU_DEP_1)
	v_cmp_ne_u32_e64 s0, 0x7f800000, v2
	s_and_saveexec_b32 s6, s0
	s_delay_alu instid0(SALU_CYCLE_1)
	s_xor_b32 s0, exec_lo, s6
; %bb.228:                              ;   in Loop: Header=BB175_33 Depth=1
	v_bfe_u32 v2, v1, 16, 1
	s_delay_alu instid0(VALU_DEP_1)
	v_add3_u32 v80, v1, v2, 0x7fff
                                        ; implicit-def: $vgpr1
; %bb.229:                              ;   in Loop: Header=BB175_33 Depth=1
	s_and_not1_saveexec_b32 s6, s0
; %bb.230:                              ;   in Loop: Header=BB175_33 Depth=1
	v_and_b32_e32 v2, 0xffff, v1
	v_or_b32_e32 v3, 0x10000, v1
	s_delay_alu instid0(VALU_DEP_2) | instskip(NEXT) | instid1(VALU_DEP_1)
	v_cmp_eq_u32_e64 s0, 0, v2
	v_cndmask_b32_e64 v80, v3, v1, s0
; %bb.231:                              ;   in Loop: Header=BB175_33 Depth=1
	s_or_b32 exec_lo, exec_lo, s6
	v_lshlrev_b32_e32 v1, 16, v81
                                        ; implicit-def: $vgpr81
	s_delay_alu instid0(VALU_DEP_1) | instskip(NEXT) | instid1(VALU_DEP_1)
	v_mul_f32_e32 v1, v49, v1
	v_and_b32_e32 v2, 0x7f800000, v1
	s_delay_alu instid0(VALU_DEP_1) | instskip(NEXT) | instid1(VALU_DEP_1)
	v_cmp_ne_u32_e64 s0, 0x7f800000, v2
	s_and_saveexec_b32 s6, s0
	s_delay_alu instid0(SALU_CYCLE_1)
	s_xor_b32 s0, exec_lo, s6
; %bb.232:                              ;   in Loop: Header=BB175_33 Depth=1
	v_bfe_u32 v2, v1, 16, 1
	s_delay_alu instid0(VALU_DEP_1)
	v_add3_u32 v81, v1, v2, 0x7fff
                                        ; implicit-def: $vgpr1
; %bb.233:                              ;   in Loop: Header=BB175_33 Depth=1
	s_and_not1_saveexec_b32 s6, s0
; %bb.234:                              ;   in Loop: Header=BB175_33 Depth=1
	v_and_b32_e32 v2, 0xffff, v1
	v_or_b32_e32 v3, 0x10000, v1
	s_delay_alu instid0(VALU_DEP_2) | instskip(NEXT) | instid1(VALU_DEP_1)
	v_cmp_eq_u32_e64 s0, 0, v2
	v_cndmask_b32_e64 v81, v3, v1, s0
; %bb.235:                              ;   in Loop: Header=BB175_33 Depth=1
	s_or_b32 exec_lo, exec_lo, s6
	global_load_b128 v[1:4], v[5:6], off offset:2560
	s_waitcnt vmcnt(0)
	v_lshrrev_b32_e32 v83, 16, v1
	v_lshrrev_b32_e32 v85, 16, v2
	;; [unrolled: 1-line block ×4, first 2 shown]
	s_and_saveexec_b32 s6, vcc_lo
	s_cbranch_execz .LBB175_237
; %bb.236:                              ;   in Loop: Header=BB175_33 Depth=1
	v_cmp_gt_i32_e64 s0, s30, v34
	s_delay_alu instid0(VALU_DEP_1) | instskip(SKIP_1) | instid1(VALU_DEP_1)
	v_cndmask_b32_e64 v1, 0, v1, s0
	v_cmp_gt_i32_e64 s0, s30, v41
	v_cndmask_b32_e64 v83, 0, v83, s0
	v_cmp_gt_i32_e64 s0, s30, v39
	s_delay_alu instid0(VALU_DEP_1) | instskip(SKIP_1) | instid1(VALU_DEP_1)
	v_cndmask_b32_e64 v2, 0, v2, s0
	v_cmp_gt_i32_e64 s0, s30, v38
	v_cndmask_b32_e64 v85, 0, v85, s0
	;; [unrolled: 5-line block ×4, first 2 shown]
.LBB175_237:                            ;   in Loop: Header=BB175_33 Depth=1
	s_or_b32 exec_lo, exec_lo, s6
	v_lshlrev_b32_e32 v1, 16, v1
	s_delay_alu instid0(VALU_DEP_1) | instskip(NEXT) | instid1(VALU_DEP_1)
	v_mul_f32_e32 v1, v42, v1
	v_and_b32_e32 v82, 0x7f800000, v1
	s_delay_alu instid0(VALU_DEP_1) | instskip(NEXT) | instid1(VALU_DEP_1)
	v_cmp_ne_u32_e64 s0, 0x7f800000, v82
                                        ; implicit-def: $vgpr82
	s_and_saveexec_b32 s6, s0
	s_delay_alu instid0(SALU_CYCLE_1)
	s_xor_b32 s0, exec_lo, s6
; %bb.238:                              ;   in Loop: Header=BB175_33 Depth=1
	v_bfe_u32 v82, v1, 16, 1
	s_delay_alu instid0(VALU_DEP_1)
	v_add3_u32 v82, v1, v82, 0x7fff
                                        ; implicit-def: $vgpr1
; %bb.239:                              ;   in Loop: Header=BB175_33 Depth=1
	s_and_not1_saveexec_b32 s6, s0
; %bb.240:                              ;   in Loop: Header=BB175_33 Depth=1
	v_and_b32_e32 v82, 0xffff, v1
	v_or_b32_e32 v84, 0x10000, v1
	s_delay_alu instid0(VALU_DEP_2) | instskip(NEXT) | instid1(VALU_DEP_1)
	v_cmp_eq_u32_e64 s0, 0, v82
	v_cndmask_b32_e64 v82, v84, v1, s0
; %bb.241:                              ;   in Loop: Header=BB175_33 Depth=1
	s_or_b32 exec_lo, exec_lo, s6
	v_lshlrev_b32_e32 v1, 16, v83
	s_delay_alu instid0(VALU_DEP_1) | instskip(NEXT) | instid1(VALU_DEP_1)
	v_mul_f32_e32 v1, v43, v1
	v_and_b32_e32 v83, 0x7f800000, v1
	s_delay_alu instid0(VALU_DEP_1) | instskip(NEXT) | instid1(VALU_DEP_1)
	v_cmp_ne_u32_e64 s0, 0x7f800000, v83
                                        ; implicit-def: $vgpr83
	s_and_saveexec_b32 s6, s0
	s_delay_alu instid0(SALU_CYCLE_1)
	s_xor_b32 s0, exec_lo, s6
; %bb.242:                              ;   in Loop: Header=BB175_33 Depth=1
	v_bfe_u32 v83, v1, 16, 1
	s_delay_alu instid0(VALU_DEP_1)
	v_add3_u32 v83, v1, v83, 0x7fff
                                        ; implicit-def: $vgpr1
; %bb.243:                              ;   in Loop: Header=BB175_33 Depth=1
	s_and_not1_saveexec_b32 s6, s0
; %bb.244:                              ;   in Loop: Header=BB175_33 Depth=1
	v_and_b32_e32 v83, 0xffff, v1
	v_or_b32_e32 v84, 0x10000, v1
	s_delay_alu instid0(VALU_DEP_2) | instskip(NEXT) | instid1(VALU_DEP_1)
	v_cmp_eq_u32_e64 s0, 0, v83
	v_cndmask_b32_e64 v83, v84, v1, s0
; %bb.245:                              ;   in Loop: Header=BB175_33 Depth=1
	s_or_b32 exec_lo, exec_lo, s6
	v_lshlrev_b32_e32 v1, 16, v2
                                        ; implicit-def: $vgpr84
	s_delay_alu instid0(VALU_DEP_1) | instskip(NEXT) | instid1(VALU_DEP_1)
	v_mul_f32_e32 v1, v44, v1
	v_and_b32_e32 v2, 0x7f800000, v1
	s_delay_alu instid0(VALU_DEP_1) | instskip(NEXT) | instid1(VALU_DEP_1)
	v_cmp_ne_u32_e64 s0, 0x7f800000, v2
	s_and_saveexec_b32 s6, s0
	s_delay_alu instid0(SALU_CYCLE_1)
	s_xor_b32 s0, exec_lo, s6
; %bb.246:                              ;   in Loop: Header=BB175_33 Depth=1
	v_bfe_u32 v2, v1, 16, 1
	s_delay_alu instid0(VALU_DEP_1)
	v_add3_u32 v84, v1, v2, 0x7fff
                                        ; implicit-def: $vgpr1
; %bb.247:                              ;   in Loop: Header=BB175_33 Depth=1
	s_and_not1_saveexec_b32 s6, s0
; %bb.248:                              ;   in Loop: Header=BB175_33 Depth=1
	v_and_b32_e32 v2, 0xffff, v1
	v_or_b32_e32 v84, 0x10000, v1
	s_delay_alu instid0(VALU_DEP_2) | instskip(NEXT) | instid1(VALU_DEP_1)
	v_cmp_eq_u32_e64 s0, 0, v2
	v_cndmask_b32_e64 v84, v84, v1, s0
; %bb.249:                              ;   in Loop: Header=BB175_33 Depth=1
	s_or_b32 exec_lo, exec_lo, s6
	v_lshlrev_b32_e32 v1, 16, v85
                                        ; implicit-def: $vgpr85
	s_delay_alu instid0(VALU_DEP_1) | instskip(NEXT) | instid1(VALU_DEP_1)
	v_mul_f32_e32 v1, v45, v1
	v_and_b32_e32 v2, 0x7f800000, v1
	s_delay_alu instid0(VALU_DEP_1) | instskip(NEXT) | instid1(VALU_DEP_1)
	v_cmp_ne_u32_e64 s0, 0x7f800000, v2
	s_and_saveexec_b32 s6, s0
	s_delay_alu instid0(SALU_CYCLE_1)
	s_xor_b32 s0, exec_lo, s6
; %bb.250:                              ;   in Loop: Header=BB175_33 Depth=1
	v_bfe_u32 v2, v1, 16, 1
	s_delay_alu instid0(VALU_DEP_1)
	v_add3_u32 v85, v1, v2, 0x7fff
                                        ; implicit-def: $vgpr1
; %bb.251:                              ;   in Loop: Header=BB175_33 Depth=1
	s_and_not1_saveexec_b32 s6, s0
; %bb.252:                              ;   in Loop: Header=BB175_33 Depth=1
	v_and_b32_e32 v2, 0xffff, v1
	v_or_b32_e32 v85, 0x10000, v1
	s_delay_alu instid0(VALU_DEP_2) | instskip(NEXT) | instid1(VALU_DEP_1)
	v_cmp_eq_u32_e64 s0, 0, v2
	v_cndmask_b32_e64 v85, v85, v1, s0
; %bb.253:                              ;   in Loop: Header=BB175_33 Depth=1
	s_or_b32 exec_lo, exec_lo, s6
	v_lshlrev_b32_e32 v1, 16, v3
                                        ; implicit-def: $vgpr86
	s_delay_alu instid0(VALU_DEP_1) | instskip(NEXT) | instid1(VALU_DEP_1)
	v_mul_f32_e32 v1, v46, v1
	v_and_b32_e32 v2, 0x7f800000, v1
	s_delay_alu instid0(VALU_DEP_1) | instskip(NEXT) | instid1(VALU_DEP_1)
	v_cmp_ne_u32_e64 s0, 0x7f800000, v2
	s_and_saveexec_b32 s6, s0
	s_delay_alu instid0(SALU_CYCLE_1)
	s_xor_b32 s0, exec_lo, s6
; %bb.254:                              ;   in Loop: Header=BB175_33 Depth=1
	v_bfe_u32 v2, v1, 16, 1
	s_delay_alu instid0(VALU_DEP_1)
	v_add3_u32 v86, v1, v2, 0x7fff
                                        ; implicit-def: $vgpr1
; %bb.255:                              ;   in Loop: Header=BB175_33 Depth=1
	s_and_not1_saveexec_b32 s6, s0
; %bb.256:                              ;   in Loop: Header=BB175_33 Depth=1
	v_and_b32_e32 v2, 0xffff, v1
	v_or_b32_e32 v3, 0x10000, v1
	s_delay_alu instid0(VALU_DEP_2) | instskip(NEXT) | instid1(VALU_DEP_1)
	v_cmp_eq_u32_e64 s0, 0, v2
	v_cndmask_b32_e64 v86, v3, v1, s0
; %bb.257:                              ;   in Loop: Header=BB175_33 Depth=1
	s_or_b32 exec_lo, exec_lo, s6
	v_lshlrev_b32_e32 v1, 16, v87
                                        ; implicit-def: $vgpr87
	s_delay_alu instid0(VALU_DEP_1) | instskip(NEXT) | instid1(VALU_DEP_1)
	v_mul_f32_e32 v1, v47, v1
	v_and_b32_e32 v2, 0x7f800000, v1
	s_delay_alu instid0(VALU_DEP_1) | instskip(NEXT) | instid1(VALU_DEP_1)
	v_cmp_ne_u32_e64 s0, 0x7f800000, v2
	s_and_saveexec_b32 s6, s0
	s_delay_alu instid0(SALU_CYCLE_1)
	s_xor_b32 s0, exec_lo, s6
; %bb.258:                              ;   in Loop: Header=BB175_33 Depth=1
	v_bfe_u32 v2, v1, 16, 1
	s_delay_alu instid0(VALU_DEP_1)
	v_add3_u32 v87, v1, v2, 0x7fff
                                        ; implicit-def: $vgpr1
; %bb.259:                              ;   in Loop: Header=BB175_33 Depth=1
	s_and_not1_saveexec_b32 s6, s0
; %bb.260:                              ;   in Loop: Header=BB175_33 Depth=1
	v_and_b32_e32 v2, 0xffff, v1
	v_or_b32_e32 v3, 0x10000, v1
	s_delay_alu instid0(VALU_DEP_2) | instskip(NEXT) | instid1(VALU_DEP_1)
	v_cmp_eq_u32_e64 s0, 0, v2
	v_cndmask_b32_e64 v87, v3, v1, s0
; %bb.261:                              ;   in Loop: Header=BB175_33 Depth=1
	s_or_b32 exec_lo, exec_lo, s6
	v_lshlrev_b32_e32 v1, 16, v4
                                        ; implicit-def: $vgpr88
	s_delay_alu instid0(VALU_DEP_1) | instskip(NEXT) | instid1(VALU_DEP_1)
	v_mul_f32_e32 v1, v48, v1
	v_and_b32_e32 v2, 0x7f800000, v1
	s_delay_alu instid0(VALU_DEP_1) | instskip(NEXT) | instid1(VALU_DEP_1)
	v_cmp_ne_u32_e64 s0, 0x7f800000, v2
	s_and_saveexec_b32 s6, s0
	s_delay_alu instid0(SALU_CYCLE_1)
	s_xor_b32 s0, exec_lo, s6
; %bb.262:                              ;   in Loop: Header=BB175_33 Depth=1
	v_bfe_u32 v2, v1, 16, 1
	s_delay_alu instid0(VALU_DEP_1)
	v_add3_u32 v88, v1, v2, 0x7fff
                                        ; implicit-def: $vgpr1
; %bb.263:                              ;   in Loop: Header=BB175_33 Depth=1
	s_and_not1_saveexec_b32 s6, s0
; %bb.264:                              ;   in Loop: Header=BB175_33 Depth=1
	v_and_b32_e32 v2, 0xffff, v1
	v_or_b32_e32 v3, 0x10000, v1
	s_delay_alu instid0(VALU_DEP_2) | instskip(NEXT) | instid1(VALU_DEP_1)
	v_cmp_eq_u32_e64 s0, 0, v2
	v_cndmask_b32_e64 v88, v3, v1, s0
; %bb.265:                              ;   in Loop: Header=BB175_33 Depth=1
	s_or_b32 exec_lo, exec_lo, s6
	v_lshlrev_b32_e32 v1, 16, v89
                                        ; implicit-def: $vgpr89
	s_delay_alu instid0(VALU_DEP_1) | instskip(NEXT) | instid1(VALU_DEP_1)
	v_mul_f32_e32 v1, v49, v1
	v_and_b32_e32 v2, 0x7f800000, v1
	s_delay_alu instid0(VALU_DEP_1) | instskip(NEXT) | instid1(VALU_DEP_1)
	v_cmp_ne_u32_e64 s0, 0x7f800000, v2
	s_and_saveexec_b32 s6, s0
	s_delay_alu instid0(SALU_CYCLE_1)
	s_xor_b32 s0, exec_lo, s6
; %bb.266:                              ;   in Loop: Header=BB175_33 Depth=1
	v_bfe_u32 v2, v1, 16, 1
	s_delay_alu instid0(VALU_DEP_1)
	v_add3_u32 v89, v1, v2, 0x7fff
                                        ; implicit-def: $vgpr1
; %bb.267:                              ;   in Loop: Header=BB175_33 Depth=1
	s_and_not1_saveexec_b32 s6, s0
; %bb.268:                              ;   in Loop: Header=BB175_33 Depth=1
	v_and_b32_e32 v2, 0xffff, v1
	v_or_b32_e32 v3, 0x10000, v1
	s_delay_alu instid0(VALU_DEP_2) | instskip(NEXT) | instid1(VALU_DEP_1)
	v_cmp_eq_u32_e64 s0, 0, v2
	v_cndmask_b32_e64 v89, v3, v1, s0
; %bb.269:                              ;   in Loop: Header=BB175_33 Depth=1
	s_or_b32 exec_lo, exec_lo, s6
	global_load_b128 v[1:4], v[5:6], off offset:3072
	s_waitcnt vmcnt(0)
	v_lshrrev_b32_e32 v91, 16, v1
	v_lshrrev_b32_e32 v93, 16, v2
	;; [unrolled: 1-line block ×4, first 2 shown]
	s_and_saveexec_b32 s6, vcc_lo
	s_cbranch_execz .LBB175_271
; %bb.270:                              ;   in Loop: Header=BB175_33 Depth=1
	v_cmp_gt_i32_e64 s0, s30, v34
	s_delay_alu instid0(VALU_DEP_1) | instskip(SKIP_1) | instid1(VALU_DEP_1)
	v_cndmask_b32_e64 v1, 0, v1, s0
	v_cmp_gt_i32_e64 s0, s30, v41
	v_cndmask_b32_e64 v91, 0, v91, s0
	v_cmp_gt_i32_e64 s0, s30, v39
	s_delay_alu instid0(VALU_DEP_1) | instskip(SKIP_1) | instid1(VALU_DEP_1)
	v_cndmask_b32_e64 v2, 0, v2, s0
	v_cmp_gt_i32_e64 s0, s30, v38
	v_cndmask_b32_e64 v93, 0, v93, s0
	;; [unrolled: 5-line block ×4, first 2 shown]
.LBB175_271:                            ;   in Loop: Header=BB175_33 Depth=1
	s_or_b32 exec_lo, exec_lo, s6
	v_lshlrev_b32_e32 v1, 16, v1
	s_delay_alu instid0(VALU_DEP_1) | instskip(NEXT) | instid1(VALU_DEP_1)
	v_mul_f32_e32 v1, v42, v1
	v_and_b32_e32 v90, 0x7f800000, v1
	s_delay_alu instid0(VALU_DEP_1) | instskip(NEXT) | instid1(VALU_DEP_1)
	v_cmp_ne_u32_e64 s0, 0x7f800000, v90
                                        ; implicit-def: $vgpr90
	s_and_saveexec_b32 s6, s0
	s_delay_alu instid0(SALU_CYCLE_1)
	s_xor_b32 s0, exec_lo, s6
; %bb.272:                              ;   in Loop: Header=BB175_33 Depth=1
	v_bfe_u32 v90, v1, 16, 1
	s_delay_alu instid0(VALU_DEP_1)
	v_add3_u32 v90, v1, v90, 0x7fff
                                        ; implicit-def: $vgpr1
; %bb.273:                              ;   in Loop: Header=BB175_33 Depth=1
	s_and_not1_saveexec_b32 s6, s0
; %bb.274:                              ;   in Loop: Header=BB175_33 Depth=1
	v_and_b32_e32 v90, 0xffff, v1
	v_or_b32_e32 v92, 0x10000, v1
	s_delay_alu instid0(VALU_DEP_2) | instskip(NEXT) | instid1(VALU_DEP_1)
	v_cmp_eq_u32_e64 s0, 0, v90
	v_cndmask_b32_e64 v90, v92, v1, s0
; %bb.275:                              ;   in Loop: Header=BB175_33 Depth=1
	s_or_b32 exec_lo, exec_lo, s6
	v_lshlrev_b32_e32 v1, 16, v91
	s_delay_alu instid0(VALU_DEP_1) | instskip(NEXT) | instid1(VALU_DEP_1)
	v_mul_f32_e32 v1, v43, v1
	v_and_b32_e32 v91, 0x7f800000, v1
	s_delay_alu instid0(VALU_DEP_1) | instskip(NEXT) | instid1(VALU_DEP_1)
	v_cmp_ne_u32_e64 s0, 0x7f800000, v91
                                        ; implicit-def: $vgpr91
	s_and_saveexec_b32 s6, s0
	s_delay_alu instid0(SALU_CYCLE_1)
	s_xor_b32 s0, exec_lo, s6
; %bb.276:                              ;   in Loop: Header=BB175_33 Depth=1
	v_bfe_u32 v91, v1, 16, 1
	s_delay_alu instid0(VALU_DEP_1)
	v_add3_u32 v91, v1, v91, 0x7fff
                                        ; implicit-def: $vgpr1
; %bb.277:                              ;   in Loop: Header=BB175_33 Depth=1
	s_and_not1_saveexec_b32 s6, s0
; %bb.278:                              ;   in Loop: Header=BB175_33 Depth=1
	v_and_b32_e32 v91, 0xffff, v1
	v_or_b32_e32 v92, 0x10000, v1
	s_delay_alu instid0(VALU_DEP_2) | instskip(NEXT) | instid1(VALU_DEP_1)
	v_cmp_eq_u32_e64 s0, 0, v91
	v_cndmask_b32_e64 v91, v92, v1, s0
; %bb.279:                              ;   in Loop: Header=BB175_33 Depth=1
	s_or_b32 exec_lo, exec_lo, s6
	v_lshlrev_b32_e32 v1, 16, v2
                                        ; implicit-def: $vgpr92
	s_delay_alu instid0(VALU_DEP_1) | instskip(NEXT) | instid1(VALU_DEP_1)
	v_mul_f32_e32 v1, v44, v1
	v_and_b32_e32 v2, 0x7f800000, v1
	s_delay_alu instid0(VALU_DEP_1) | instskip(NEXT) | instid1(VALU_DEP_1)
	v_cmp_ne_u32_e64 s0, 0x7f800000, v2
	s_and_saveexec_b32 s6, s0
	s_delay_alu instid0(SALU_CYCLE_1)
	s_xor_b32 s0, exec_lo, s6
; %bb.280:                              ;   in Loop: Header=BB175_33 Depth=1
	v_bfe_u32 v2, v1, 16, 1
	s_delay_alu instid0(VALU_DEP_1)
	v_add3_u32 v92, v1, v2, 0x7fff
                                        ; implicit-def: $vgpr1
; %bb.281:                              ;   in Loop: Header=BB175_33 Depth=1
	s_and_not1_saveexec_b32 s6, s0
; %bb.282:                              ;   in Loop: Header=BB175_33 Depth=1
	v_and_b32_e32 v2, 0xffff, v1
	v_or_b32_e32 v92, 0x10000, v1
	s_delay_alu instid0(VALU_DEP_2) | instskip(NEXT) | instid1(VALU_DEP_1)
	v_cmp_eq_u32_e64 s0, 0, v2
	v_cndmask_b32_e64 v92, v92, v1, s0
; %bb.283:                              ;   in Loop: Header=BB175_33 Depth=1
	s_or_b32 exec_lo, exec_lo, s6
	v_lshlrev_b32_e32 v1, 16, v93
                                        ; implicit-def: $vgpr93
	s_delay_alu instid0(VALU_DEP_1) | instskip(NEXT) | instid1(VALU_DEP_1)
	v_mul_f32_e32 v1, v45, v1
	v_and_b32_e32 v2, 0x7f800000, v1
	s_delay_alu instid0(VALU_DEP_1) | instskip(NEXT) | instid1(VALU_DEP_1)
	v_cmp_ne_u32_e64 s0, 0x7f800000, v2
	s_and_saveexec_b32 s6, s0
	s_delay_alu instid0(SALU_CYCLE_1)
	s_xor_b32 s0, exec_lo, s6
; %bb.284:                              ;   in Loop: Header=BB175_33 Depth=1
	v_bfe_u32 v2, v1, 16, 1
	s_delay_alu instid0(VALU_DEP_1)
	v_add3_u32 v93, v1, v2, 0x7fff
                                        ; implicit-def: $vgpr1
; %bb.285:                              ;   in Loop: Header=BB175_33 Depth=1
	s_and_not1_saveexec_b32 s6, s0
; %bb.286:                              ;   in Loop: Header=BB175_33 Depth=1
	v_and_b32_e32 v2, 0xffff, v1
	v_or_b32_e32 v93, 0x10000, v1
	s_delay_alu instid0(VALU_DEP_2) | instskip(NEXT) | instid1(VALU_DEP_1)
	v_cmp_eq_u32_e64 s0, 0, v2
	v_cndmask_b32_e64 v93, v93, v1, s0
; %bb.287:                              ;   in Loop: Header=BB175_33 Depth=1
	s_or_b32 exec_lo, exec_lo, s6
	v_lshlrev_b32_e32 v1, 16, v3
                                        ; implicit-def: $vgpr94
	s_delay_alu instid0(VALU_DEP_1) | instskip(NEXT) | instid1(VALU_DEP_1)
	v_mul_f32_e32 v1, v46, v1
	v_and_b32_e32 v2, 0x7f800000, v1
	s_delay_alu instid0(VALU_DEP_1) | instskip(NEXT) | instid1(VALU_DEP_1)
	v_cmp_ne_u32_e64 s0, 0x7f800000, v2
	s_and_saveexec_b32 s6, s0
	s_delay_alu instid0(SALU_CYCLE_1)
	s_xor_b32 s0, exec_lo, s6
; %bb.288:                              ;   in Loop: Header=BB175_33 Depth=1
	v_bfe_u32 v2, v1, 16, 1
	s_delay_alu instid0(VALU_DEP_1)
	v_add3_u32 v94, v1, v2, 0x7fff
                                        ; implicit-def: $vgpr1
; %bb.289:                              ;   in Loop: Header=BB175_33 Depth=1
	s_and_not1_saveexec_b32 s6, s0
; %bb.290:                              ;   in Loop: Header=BB175_33 Depth=1
	v_and_b32_e32 v2, 0xffff, v1
	v_or_b32_e32 v3, 0x10000, v1
	s_delay_alu instid0(VALU_DEP_2) | instskip(NEXT) | instid1(VALU_DEP_1)
	v_cmp_eq_u32_e64 s0, 0, v2
	v_cndmask_b32_e64 v94, v3, v1, s0
; %bb.291:                              ;   in Loop: Header=BB175_33 Depth=1
	s_or_b32 exec_lo, exec_lo, s6
	v_lshlrev_b32_e32 v1, 16, v95
                                        ; implicit-def: $vgpr95
	s_delay_alu instid0(VALU_DEP_1) | instskip(NEXT) | instid1(VALU_DEP_1)
	v_mul_f32_e32 v1, v47, v1
	v_and_b32_e32 v2, 0x7f800000, v1
	s_delay_alu instid0(VALU_DEP_1) | instskip(NEXT) | instid1(VALU_DEP_1)
	v_cmp_ne_u32_e64 s0, 0x7f800000, v2
	s_and_saveexec_b32 s6, s0
	s_delay_alu instid0(SALU_CYCLE_1)
	s_xor_b32 s0, exec_lo, s6
; %bb.292:                              ;   in Loop: Header=BB175_33 Depth=1
	v_bfe_u32 v2, v1, 16, 1
	s_delay_alu instid0(VALU_DEP_1)
	v_add3_u32 v95, v1, v2, 0x7fff
                                        ; implicit-def: $vgpr1
; %bb.293:                              ;   in Loop: Header=BB175_33 Depth=1
	s_and_not1_saveexec_b32 s6, s0
; %bb.294:                              ;   in Loop: Header=BB175_33 Depth=1
	v_and_b32_e32 v2, 0xffff, v1
	v_or_b32_e32 v3, 0x10000, v1
	s_delay_alu instid0(VALU_DEP_2) | instskip(NEXT) | instid1(VALU_DEP_1)
	v_cmp_eq_u32_e64 s0, 0, v2
	v_cndmask_b32_e64 v95, v3, v1, s0
; %bb.295:                              ;   in Loop: Header=BB175_33 Depth=1
	s_or_b32 exec_lo, exec_lo, s6
	v_lshlrev_b32_e32 v1, 16, v4
                                        ; implicit-def: $vgpr96
	s_delay_alu instid0(VALU_DEP_1) | instskip(NEXT) | instid1(VALU_DEP_1)
	v_mul_f32_e32 v1, v48, v1
	v_and_b32_e32 v2, 0x7f800000, v1
	s_delay_alu instid0(VALU_DEP_1) | instskip(NEXT) | instid1(VALU_DEP_1)
	v_cmp_ne_u32_e64 s0, 0x7f800000, v2
	s_and_saveexec_b32 s6, s0
	s_delay_alu instid0(SALU_CYCLE_1)
	s_xor_b32 s0, exec_lo, s6
; %bb.296:                              ;   in Loop: Header=BB175_33 Depth=1
	v_bfe_u32 v2, v1, 16, 1
	s_delay_alu instid0(VALU_DEP_1)
	v_add3_u32 v96, v1, v2, 0x7fff
                                        ; implicit-def: $vgpr1
; %bb.297:                              ;   in Loop: Header=BB175_33 Depth=1
	s_and_not1_saveexec_b32 s6, s0
; %bb.298:                              ;   in Loop: Header=BB175_33 Depth=1
	v_and_b32_e32 v2, 0xffff, v1
	v_or_b32_e32 v3, 0x10000, v1
	s_delay_alu instid0(VALU_DEP_2) | instskip(NEXT) | instid1(VALU_DEP_1)
	v_cmp_eq_u32_e64 s0, 0, v2
	v_cndmask_b32_e64 v96, v3, v1, s0
; %bb.299:                              ;   in Loop: Header=BB175_33 Depth=1
	s_or_b32 exec_lo, exec_lo, s6
	v_lshlrev_b32_e32 v1, 16, v97
                                        ; implicit-def: $vgpr97
	s_delay_alu instid0(VALU_DEP_1) | instskip(NEXT) | instid1(VALU_DEP_1)
	v_mul_f32_e32 v1, v49, v1
	v_and_b32_e32 v2, 0x7f800000, v1
	s_delay_alu instid0(VALU_DEP_1) | instskip(NEXT) | instid1(VALU_DEP_1)
	v_cmp_ne_u32_e64 s0, 0x7f800000, v2
	s_and_saveexec_b32 s6, s0
	s_delay_alu instid0(SALU_CYCLE_1)
	s_xor_b32 s0, exec_lo, s6
; %bb.300:                              ;   in Loop: Header=BB175_33 Depth=1
	v_bfe_u32 v2, v1, 16, 1
	s_delay_alu instid0(VALU_DEP_1)
	v_add3_u32 v97, v1, v2, 0x7fff
                                        ; implicit-def: $vgpr1
; %bb.301:                              ;   in Loop: Header=BB175_33 Depth=1
	s_and_not1_saveexec_b32 s6, s0
; %bb.302:                              ;   in Loop: Header=BB175_33 Depth=1
	v_and_b32_e32 v2, 0xffff, v1
	v_or_b32_e32 v3, 0x10000, v1
	s_delay_alu instid0(VALU_DEP_2) | instskip(NEXT) | instid1(VALU_DEP_1)
	v_cmp_eq_u32_e64 s0, 0, v2
	v_cndmask_b32_e64 v97, v3, v1, s0
; %bb.303:                              ;   in Loop: Header=BB175_33 Depth=1
	s_or_b32 exec_lo, exec_lo, s6
	global_load_b128 v[1:4], v[5:6], off offset:3584
	s_waitcnt vmcnt(0)
	v_lshrrev_b32_e32 v5, 16, v1
	v_lshrrev_b32_e32 v6, 16, v2
	;; [unrolled: 1-line block ×4, first 2 shown]
	s_and_saveexec_b32 s0, vcc_lo
	s_cbranch_execz .LBB175_305
; %bb.304:                              ;   in Loop: Header=BB175_33 Depth=1
	v_cmp_gt_i32_e32 vcc_lo, s30, v34
	v_cndmask_b32_e32 v1, 0, v1, vcc_lo
	v_cmp_gt_i32_e32 vcc_lo, s30, v41
	v_cndmask_b32_e32 v5, 0, v5, vcc_lo
	;; [unrolled: 2-line block ×8, first 2 shown]
.LBB175_305:                            ;   in Loop: Header=BB175_33 Depth=1
	s_or_b32 exec_lo, exec_lo, s0
	v_lshlrev_b32_e32 v1, 16, v1
	s_delay_alu instid0(VALU_DEP_1) | instskip(NEXT) | instid1(VALU_DEP_1)
	v_mul_f32_e32 v34, v42, v1
	v_and_b32_e32 v1, 0x7f800000, v34
	s_delay_alu instid0(VALU_DEP_1) | instskip(SKIP_1) | instid1(SALU_CYCLE_1)
	v_cmp_ne_u32_e32 vcc_lo, 0x7f800000, v1
                                        ; implicit-def: $vgpr1
	s_and_saveexec_b32 s0, vcc_lo
	s_xor_b32 s0, exec_lo, s0
; %bb.306:                              ;   in Loop: Header=BB175_33 Depth=1
	v_bfe_u32 v1, v34, 16, 1
	s_delay_alu instid0(VALU_DEP_1)
	v_add3_u32 v1, v34, v1, 0x7fff
                                        ; implicit-def: $vgpr34
; %bb.307:                              ;   in Loop: Header=BB175_33 Depth=1
	s_and_not1_saveexec_b32 s0, s0
; %bb.308:                              ;   in Loop: Header=BB175_33 Depth=1
	v_and_b32_e32 v1, 0xffff, v34
	v_or_b32_e32 v36, 0x10000, v34
	s_delay_alu instid0(VALU_DEP_2) | instskip(NEXT) | instid1(VALU_DEP_2)
	v_cmp_eq_u32_e32 vcc_lo, 0, v1
	v_cndmask_b32_e32 v1, v36, v34, vcc_lo
; %bb.309:                              ;   in Loop: Header=BB175_33 Depth=1
	s_or_b32 exec_lo, exec_lo, s0
	v_lshlrev_b32_e32 v5, 16, v5
	s_delay_alu instid0(VALU_DEP_1) | instskip(NEXT) | instid1(VALU_DEP_1)
	v_mul_f32_e32 v34, v43, v5
	v_and_b32_e32 v5, 0x7f800000, v34
	s_delay_alu instid0(VALU_DEP_1) | instskip(SKIP_1) | instid1(SALU_CYCLE_1)
	v_cmp_ne_u32_e32 vcc_lo, 0x7f800000, v5
                                        ; implicit-def: $vgpr5
	s_and_saveexec_b32 s0, vcc_lo
	s_xor_b32 s0, exec_lo, s0
; %bb.310:                              ;   in Loop: Header=BB175_33 Depth=1
	v_bfe_u32 v5, v34, 16, 1
	s_delay_alu instid0(VALU_DEP_1)
	v_add3_u32 v5, v34, v5, 0x7fff
                                        ; implicit-def: $vgpr34
; %bb.311:                              ;   in Loop: Header=BB175_33 Depth=1
	s_and_not1_saveexec_b32 s0, s0
; %bb.312:                              ;   in Loop: Header=BB175_33 Depth=1
	v_and_b32_e32 v5, 0xffff, v34
	v_or_b32_e32 v36, 0x10000, v34
	s_delay_alu instid0(VALU_DEP_2) | instskip(NEXT) | instid1(VALU_DEP_2)
	v_cmp_eq_u32_e32 vcc_lo, 0, v5
	v_cndmask_b32_e32 v5, v36, v34, vcc_lo
; %bb.313:                              ;   in Loop: Header=BB175_33 Depth=1
	s_or_b32 exec_lo, exec_lo, s0
	v_lshlrev_b32_e32 v2, 16, v2
	s_delay_alu instid0(VALU_DEP_1) | instskip(NEXT) | instid1(VALU_DEP_1)
	v_mul_f32_e32 v34, v44, v2
	v_and_b32_e32 v2, 0x7f800000, v34
	s_delay_alu instid0(VALU_DEP_1) | instskip(SKIP_1) | instid1(SALU_CYCLE_1)
	v_cmp_ne_u32_e32 vcc_lo, 0x7f800000, v2
                                        ; implicit-def: $vgpr2
	s_and_saveexec_b32 s0, vcc_lo
	s_xor_b32 s0, exec_lo, s0
; %bb.314:                              ;   in Loop: Header=BB175_33 Depth=1
	v_bfe_u32 v2, v34, 16, 1
	s_delay_alu instid0(VALU_DEP_1)
	v_add3_u32 v2, v34, v2, 0x7fff
                                        ; implicit-def: $vgpr34
; %bb.315:                              ;   in Loop: Header=BB175_33 Depth=1
	s_and_not1_saveexec_b32 s0, s0
; %bb.316:                              ;   in Loop: Header=BB175_33 Depth=1
	v_and_b32_e32 v2, 0xffff, v34
	v_or_b32_e32 v36, 0x10000, v34
	s_delay_alu instid0(VALU_DEP_2) | instskip(NEXT) | instid1(VALU_DEP_2)
	v_cmp_eq_u32_e32 vcc_lo, 0, v2
	v_cndmask_b32_e32 v2, v36, v34, vcc_lo
; %bb.317:                              ;   in Loop: Header=BB175_33 Depth=1
	s_or_b32 exec_lo, exec_lo, s0
	v_lshlrev_b32_e32 v6, 16, v6
	s_delay_alu instid0(VALU_DEP_1) | instskip(NEXT) | instid1(VALU_DEP_1)
	v_mul_f32_e32 v34, v45, v6
	v_and_b32_e32 v6, 0x7f800000, v34
	s_delay_alu instid0(VALU_DEP_1) | instskip(SKIP_1) | instid1(SALU_CYCLE_1)
	v_cmp_ne_u32_e32 vcc_lo, 0x7f800000, v6
                                        ; implicit-def: $vgpr6
	s_and_saveexec_b32 s0, vcc_lo
	s_xor_b32 s0, exec_lo, s0
; %bb.318:                              ;   in Loop: Header=BB175_33 Depth=1
	v_bfe_u32 v6, v34, 16, 1
	s_delay_alu instid0(VALU_DEP_1)
	v_add3_u32 v6, v34, v6, 0x7fff
                                        ; implicit-def: $vgpr34
; %bb.319:                              ;   in Loop: Header=BB175_33 Depth=1
	s_and_not1_saveexec_b32 s0, s0
; %bb.320:                              ;   in Loop: Header=BB175_33 Depth=1
	v_and_b32_e32 v6, 0xffff, v34
	v_or_b32_e32 v36, 0x10000, v34
	s_delay_alu instid0(VALU_DEP_2) | instskip(NEXT) | instid1(VALU_DEP_2)
	v_cmp_eq_u32_e32 vcc_lo, 0, v6
	v_cndmask_b32_e32 v6, v36, v34, vcc_lo
; %bb.321:                              ;   in Loop: Header=BB175_33 Depth=1
	s_or_b32 exec_lo, exec_lo, s0
	v_lshlrev_b32_e32 v3, 16, v3
	s_delay_alu instid0(VALU_DEP_1) | instskip(NEXT) | instid1(VALU_DEP_1)
	v_mul_f32_e32 v34, v46, v3
	v_and_b32_e32 v3, 0x7f800000, v34
	s_delay_alu instid0(VALU_DEP_1) | instskip(SKIP_1) | instid1(SALU_CYCLE_1)
	v_cmp_ne_u32_e32 vcc_lo, 0x7f800000, v3
                                        ; implicit-def: $vgpr3
	s_and_saveexec_b32 s0, vcc_lo
	s_xor_b32 s0, exec_lo, s0
; %bb.322:                              ;   in Loop: Header=BB175_33 Depth=1
	v_bfe_u32 v3, v34, 16, 1
	s_delay_alu instid0(VALU_DEP_1)
	v_add3_u32 v3, v34, v3, 0x7fff
                                        ; implicit-def: $vgpr34
; %bb.323:                              ;   in Loop: Header=BB175_33 Depth=1
	s_and_not1_saveexec_b32 s0, s0
; %bb.324:                              ;   in Loop: Header=BB175_33 Depth=1
	v_and_b32_e32 v3, 0xffff, v34
	v_or_b32_e32 v36, 0x10000, v34
	s_delay_alu instid0(VALU_DEP_2) | instskip(NEXT) | instid1(VALU_DEP_2)
	v_cmp_eq_u32_e32 vcc_lo, 0, v3
	v_cndmask_b32_e32 v3, v36, v34, vcc_lo
; %bb.325:                              ;   in Loop: Header=BB175_33 Depth=1
	s_or_b32 exec_lo, exec_lo, s0
	v_lshlrev_b32_e32 v34, 16, v99
	s_delay_alu instid0(VALU_DEP_1) | instskip(NEXT) | instid1(VALU_DEP_1)
	v_mul_f32_e32 v36, v47, v34
	v_and_b32_e32 v34, 0x7f800000, v36
	s_delay_alu instid0(VALU_DEP_1) | instskip(SKIP_1) | instid1(SALU_CYCLE_1)
	v_cmp_ne_u32_e32 vcc_lo, 0x7f800000, v34
                                        ; implicit-def: $vgpr34
	s_and_saveexec_b32 s0, vcc_lo
	s_xor_b32 s0, exec_lo, s0
; %bb.326:                              ;   in Loop: Header=BB175_33 Depth=1
	v_bfe_u32 v34, v36, 16, 1
	s_delay_alu instid0(VALU_DEP_1)
	v_add3_u32 v34, v36, v34, 0x7fff
                                        ; implicit-def: $vgpr36
; %bb.327:                              ;   in Loop: Header=BB175_33 Depth=1
	s_and_not1_saveexec_b32 s0, s0
; %bb.328:                              ;   in Loop: Header=BB175_33 Depth=1
	v_and_b32_e32 v34, 0xffff, v36
	v_or_b32_e32 v37, 0x10000, v36
	s_delay_alu instid0(VALU_DEP_2) | instskip(NEXT) | instid1(VALU_DEP_2)
	v_cmp_eq_u32_e32 vcc_lo, 0, v34
	v_cndmask_b32_e32 v34, v37, v36, vcc_lo
; %bb.329:                              ;   in Loop: Header=BB175_33 Depth=1
	s_or_b32 exec_lo, exec_lo, s0
	v_lshlrev_b32_e32 v4, 16, v4
	s_delay_alu instid0(VALU_DEP_1) | instskip(NEXT) | instid1(VALU_DEP_1)
	v_mul_f32_e32 v36, v48, v4
	v_and_b32_e32 v4, 0x7f800000, v36
	s_delay_alu instid0(VALU_DEP_1) | instskip(SKIP_1) | instid1(SALU_CYCLE_1)
	v_cmp_ne_u32_e32 vcc_lo, 0x7f800000, v4
                                        ; implicit-def: $vgpr4
	s_and_saveexec_b32 s0, vcc_lo
	s_xor_b32 s0, exec_lo, s0
; %bb.330:                              ;   in Loop: Header=BB175_33 Depth=1
	v_bfe_u32 v4, v36, 16, 1
	s_delay_alu instid0(VALU_DEP_1)
	v_add3_u32 v4, v36, v4, 0x7fff
                                        ; implicit-def: $vgpr36
; %bb.331:                              ;   in Loop: Header=BB175_33 Depth=1
	s_and_not1_saveexec_b32 s0, s0
; %bb.332:                              ;   in Loop: Header=BB175_33 Depth=1
	v_and_b32_e32 v4, 0xffff, v36
	v_or_b32_e32 v37, 0x10000, v36
	s_delay_alu instid0(VALU_DEP_2) | instskip(NEXT) | instid1(VALU_DEP_2)
	v_cmp_eq_u32_e32 vcc_lo, 0, v4
	v_cndmask_b32_e32 v4, v37, v36, vcc_lo
; %bb.333:                              ;   in Loop: Header=BB175_33 Depth=1
	s_or_b32 exec_lo, exec_lo, s0
	v_lshlrev_b32_e32 v36, 16, v98
	s_delay_alu instid0(VALU_DEP_1) | instskip(NEXT) | instid1(VALU_DEP_1)
	v_mul_f32_e32 v37, v49, v36
	v_and_b32_e32 v36, 0x7f800000, v37
	s_delay_alu instid0(VALU_DEP_1) | instskip(SKIP_1) | instid1(SALU_CYCLE_1)
	v_cmp_ne_u32_e32 vcc_lo, 0x7f800000, v36
                                        ; implicit-def: $vgpr36
	s_and_saveexec_b32 s0, vcc_lo
	s_xor_b32 s0, exec_lo, s0
; %bb.334:                              ;   in Loop: Header=BB175_33 Depth=1
	v_bfe_u32 v36, v37, 16, 1
	s_delay_alu instid0(VALU_DEP_1)
	v_add3_u32 v36, v37, v36, 0x7fff
                                        ; implicit-def: $vgpr37
; %bb.335:                              ;   in Loop: Header=BB175_33 Depth=1
	s_and_not1_saveexec_b32 s0, s0
	s_cbranch_execz .LBB175_32
; %bb.336:                              ;   in Loop: Header=BB175_33 Depth=1
	v_and_b32_e32 v36, 0xffff, v37
	v_or_b32_e32 v38, 0x10000, v37
	s_delay_alu instid0(VALU_DEP_2) | instskip(NEXT) | instid1(VALU_DEP_2)
	v_cmp_eq_u32_e32 vcc_lo, 0, v36
	v_cndmask_b32_e32 v36, v38, v37, vcc_lo
	s_branch .LBB175_32
.LBB175_337:
	s_or_b32 exec_lo, exec_lo, s4
.LBB175_338:
	s_delay_alu instid0(SALU_CYCLE_1)
	s_or_b32 exec_lo, exec_lo, s1
	ds_bpermute_b32 v1, v16, v19
	ds_bpermute_b32 v2, v16, v24
	;; [unrolled: 1-line block ×8, first 2 shown]
	v_lshrrev_b32_e32 v9, 1, v15
	v_lshl_add_u32 v10, v14, 9, 0x120
	v_and_b32_e32 v14, 0x3c1, v0
	s_mov_b32 s0, exec_lo
	s_waitcnt lgkmcnt(0)
	s_waitcnt_vscnt null, 0x0
	s_barrier
	buffer_gl0_inv
	v_add_f32_e32 v8, v19, v1
	v_dual_add_f32 v6, v24, v2 :: v_dual_add_f32 v5, v23, v3
	v_dual_add_f32 v4, v22, v4 :: v_dual_add_f32 v3, v21, v7
	;; [unrolled: 1-line block ×3, first 2 shown]
	v_add_f32_e32 v7, v17, v16
	v_cmpx_eq_u32_e32 64, v14
	s_cbranch_execz .LBB175_340
; %bb.339:
	v_lshlrev_b32_e32 v11, 2, v9
	s_delay_alu instid0(VALU_DEP_1)
	v_add3_u32 v11, v10, v11, 0xfffffc00
	ds_store_2addr_b32 v11, v8, v6 offset1:16
	ds_store_2addr_b32 v11, v5, v4 offset0:32 offset1:48
	ds_store_2addr_b32 v11, v3, v2 offset0:64 offset1:80
	;; [unrolled: 1-line block ×3, first 2 shown]
.LBB175_340:
	s_or_b32 exec_lo, exec_lo, s0
	v_cmp_eq_u32_e32 vcc_lo, 0, v13
	s_mov_b32 s1, exec_lo
	s_waitcnt lgkmcnt(0)
	s_barrier
	buffer_gl0_inv
	v_cmpx_gt_u32_e32 64, v0
	s_cbranch_execz .LBB175_351
; %bb.341:
	s_and_saveexec_b32 s0, vcc_lo
	s_cbranch_execnz .LBB175_400
; %bb.342:
	s_or_b32 exec_lo, exec_lo, s0
	s_and_saveexec_b32 s0, vcc_lo
	s_cbranch_execnz .LBB175_401
.LBB175_343:
	s_or_b32 exec_lo, exec_lo, s0
	s_and_saveexec_b32 s0, vcc_lo
	s_cbranch_execnz .LBB175_402
.LBB175_344:
	s_or_b32 exec_lo, exec_lo, s0
	s_and_saveexec_b32 s0, vcc_lo
	s_cbranch_execnz .LBB175_403
.LBB175_345:
	s_or_b32 exec_lo, exec_lo, s0
	s_and_saveexec_b32 s0, vcc_lo
	s_cbranch_execnz .LBB175_404
.LBB175_346:
	s_or_b32 exec_lo, exec_lo, s0
	s_and_saveexec_b32 s0, vcc_lo
	s_cbranch_execnz .LBB175_405
.LBB175_347:
	s_or_b32 exec_lo, exec_lo, s0
	s_and_saveexec_b32 s0, vcc_lo
	s_cbranch_execnz .LBB175_406
.LBB175_348:
	s_or_b32 exec_lo, exec_lo, s0
	s_and_saveexec_b32 s0, vcc_lo
	s_cbranch_execz .LBB175_350
.LBB175_349:
	v_lshl_add_u32 v11, v9, 2, v10
	ds_load_b32 v11, v11 offset:448
	s_waitcnt lgkmcnt(0)
	v_add_f32_e32 v7, v7, v11
.LBB175_350:
	s_or_b32 exec_lo, exec_lo, s0
.LBB175_351:
	s_delay_alu instid0(SALU_CYCLE_1)
	s_or_b32 exec_lo, exec_lo, s1
	v_and_b32_e32 v0, 0x3e1, v0
	s_mov_b32 s1, exec_lo
	s_barrier
	buffer_gl0_inv
	v_cmpx_eq_u32_e32 32, v0
	s_cbranch_execz .LBB175_353
; %bb.352:
	v_lshl_add_u32 v0, v9, 2, 0x120
	ds_store_2addr_b32 v0, v8, v6 offset1:16
	ds_store_2addr_b32 v0, v5, v4 offset0:32 offset1:48
	ds_store_2addr_b32 v0, v3, v2 offset0:64 offset1:80
	;; [unrolled: 1-line block ×3, first 2 shown]
.LBB175_353:
	s_or_b32 exec_lo, exec_lo, s1
	s_waitcnt lgkmcnt(0)
	s_barrier
	buffer_gl0_inv
	s_and_saveexec_b32 s0, s2
	s_cbranch_execz .LBB175_364
; %bb.354:
	v_lshl_add_u32 v0, v9, 2, v10
	s_and_saveexec_b32 s1, vcc_lo
	s_cbranch_execnz .LBB175_407
; %bb.355:
	s_or_b32 exec_lo, exec_lo, s1
	s_and_saveexec_b32 s1, vcc_lo
	s_cbranch_execnz .LBB175_408
.LBB175_356:
	s_or_b32 exec_lo, exec_lo, s1
	s_and_saveexec_b32 s1, vcc_lo
	s_cbranch_execnz .LBB175_409
.LBB175_357:
	s_or_b32 exec_lo, exec_lo, s1
	s_and_saveexec_b32 s1, vcc_lo
	s_cbranch_execnz .LBB175_410
.LBB175_358:
	s_or_b32 exec_lo, exec_lo, s1
	s_and_saveexec_b32 s1, vcc_lo
	s_cbranch_execnz .LBB175_411
.LBB175_359:
	s_or_b32 exec_lo, exec_lo, s1
	s_and_saveexec_b32 s1, vcc_lo
	s_cbranch_execnz .LBB175_412
.LBB175_360:
	s_or_b32 exec_lo, exec_lo, s1
	s_and_saveexec_b32 s1, vcc_lo
	s_cbranch_execnz .LBB175_413
.LBB175_361:
	s_or_b32 exec_lo, exec_lo, s1
	s_and_saveexec_b32 s1, vcc_lo
	s_cbranch_execz .LBB175_363
.LBB175_362:
	ds_load_b32 v0, v0 offset:448
	s_waitcnt lgkmcnt(0)
	v_add_f32_e32 v7, v7, v0
.LBB175_363:
	s_or_b32 exec_lo, exec_lo, s1
.LBB175_364:
	s_delay_alu instid0(SALU_CYCLE_1)
	s_or_b32 exec_lo, exec_lo, s0
	s_barrier
	buffer_gl0_inv
	s_and_saveexec_b32 s0, s2
	s_cbranch_execz .LBB175_399
; %bb.365:
	s_and_b32 exec_lo, exec_lo, vcc_lo
	s_cbranch_execz .LBB175_399
; %bb.366:
	v_and_b32_e32 v0, 0x7f800000, v8
	s_delay_alu instid0(VALU_DEP_1) | instskip(SKIP_1) | instid1(SALU_CYCLE_1)
	v_cmp_ne_u32_e32 vcc_lo, 0x7f800000, v0
                                        ; implicit-def: $vgpr0
	s_and_saveexec_b32 s0, vcc_lo
	s_xor_b32 s0, exec_lo, s0
; %bb.367:
	v_bfe_u32 v0, v8, 16, 1
	s_delay_alu instid0(VALU_DEP_1)
	v_add3_u32 v0, v8, v0, 0x7fff
; %bb.368:
	s_and_not1_saveexec_b32 s0, s0
; %bb.369:
	v_and_b32_e32 v0, 0xffff, v8
	v_or_b32_e32 v9, 0x10000, v8
	s_delay_alu instid0(VALU_DEP_2) | instskip(NEXT) | instid1(VALU_DEP_2)
	v_cmp_eq_u32_e32 vcc_lo, 0, v0
	v_cndmask_b32_e32 v0, v9, v8, vcc_lo
; %bb.370:
	s_or_b32 exec_lo, exec_lo, s0
	s_mul_i32 s0, s17, s14
	s_mul_i32 s2, s17, s16
	;; [unrolled: 1-line block ×3, first 2 shown]
	v_lshlrev_b32_e32 v10, 1, v12
	s_lshl_b32 s0, s0, 7
	v_and_b32_e32 v11, 0x7f800000, v6
	s_ashr_i32 s1, s0, 31
	s_delay_alu instid0(SALU_CYCLE_1) | instskip(NEXT) | instid1(SALU_CYCLE_1)
	s_lshl_b64 s[0:1], s[0:1], 1
	s_add_u32 s4, s18, s0
	s_addc_u32 s5, s19, s1
	s_ashr_i32 s3, s2, 31
	s_delay_alu instid0(SALU_CYCLE_1) | instskip(NEXT) | instid1(SALU_CYCLE_1)
	s_lshl_b64 s[0:1], s[2:3], 1
	s_add_u32 s2, s4, s0
	s_addc_u32 s3, s5, s1
	s_lshl_b32 s0, s12, 7
	s_delay_alu instid0(SALU_CYCLE_1) | instskip(NEXT) | instid1(SALU_CYCLE_1)
	s_ashr_i32 s1, s0, 31
	s_lshl_b64 s[0:1], s[0:1], 1
	s_delay_alu instid0(SALU_CYCLE_1) | instskip(SKIP_2) | instid1(VALU_DEP_1)
	s_add_u32 s0, s2, s0
	s_addc_u32 s1, s3, s1
	v_add_co_u32 v8, s2, s0, v10
	v_add_co_ci_u32_e64 v9, null, s1, 0, s2
	global_store_d16_hi_b16 v10, v0, s[0:1]
	s_mov_b32 s0, exec_lo
                                        ; implicit-def: $vgpr0
	v_cmpx_ne_u32_e32 0x7f800000, v11
	s_xor_b32 s0, exec_lo, s0
; %bb.371:
	v_bfe_u32 v0, v6, 16, 1
	s_delay_alu instid0(VALU_DEP_1)
	v_add3_u32 v0, v6, v0, 0x7fff
; %bb.372:
	s_and_not1_saveexec_b32 s0, s0
; %bb.373:
	v_and_b32_e32 v0, 0xffff, v6
	v_or_b32_e32 v10, 0x10000, v6
	s_delay_alu instid0(VALU_DEP_2) | instskip(NEXT) | instid1(VALU_DEP_2)
	v_cmp_eq_u32_e32 vcc_lo, 0, v0
	v_cndmask_b32_e32 v0, v10, v6, vcc_lo
; %bb.374:
	s_or_b32 exec_lo, exec_lo, s0
	v_and_b32_e32 v6, 0x7f800000, v5
	s_mov_b32 s0, exec_lo
	global_store_d16_hi_b16 v[8:9], v0, off offset:32
                                        ; implicit-def: $vgpr0
	v_cmpx_ne_u32_e32 0x7f800000, v6
	s_xor_b32 s0, exec_lo, s0
; %bb.375:
	v_bfe_u32 v0, v5, 16, 1
	s_delay_alu instid0(VALU_DEP_1)
	v_add3_u32 v0, v5, v0, 0x7fff
; %bb.376:
	s_and_not1_saveexec_b32 s0, s0
; %bb.377:
	v_and_b32_e32 v0, 0xffff, v5
	v_or_b32_e32 v6, 0x10000, v5
	s_delay_alu instid0(VALU_DEP_2) | instskip(NEXT) | instid1(VALU_DEP_2)
	v_cmp_eq_u32_e32 vcc_lo, 0, v0
	v_cndmask_b32_e32 v0, v6, v5, vcc_lo
; %bb.378:
	s_or_b32 exec_lo, exec_lo, s0
	v_and_b32_e32 v5, 0x7f800000, v4
	s_mov_b32 s0, exec_lo
	global_store_d16_hi_b16 v[8:9], v0, off offset:64
	;; [unrolled: 20-line block ×6, first 2 shown]
                                        ; implicit-def: $vgpr10
	v_cmpx_ne_u32_e32 0x7f800000, v1
	s_xor_b32 s0, exec_lo, s0
; %bb.395:
	v_bfe_u32 v0, v7, 16, 1
	s_delay_alu instid0(VALU_DEP_1)
	v_add3_u32 v10, v7, v0, 0x7fff
                                        ; implicit-def: $vgpr0_vgpr1_vgpr2_vgpr3_vgpr4_vgpr5_vgpr6_vgpr7
; %bb.396:
	s_and_not1_saveexec_b32 s0, s0
; %bb.397:
	v_and_b32_e32 v0, 0xffff, v7
	v_or_b32_e32 v1, 0x10000, v7
	s_delay_alu instid0(VALU_DEP_2) | instskip(NEXT) | instid1(VALU_DEP_2)
	v_cmp_eq_u32_e32 vcc_lo, 0, v0
	v_cndmask_b32_e32 v10, v1, v7, vcc_lo
; %bb.398:
	s_or_b32 exec_lo, exec_lo, s0
	global_store_d16_hi_b16 v[8:9], v10, off offset:224
.LBB175_399:
	s_nop 0
	s_sendmsg sendmsg(MSG_DEALLOC_VGPRS)
	s_endpgm
.LBB175_400:
	v_lshl_add_u32 v11, v9, 2, v10
	ds_load_b32 v11, v11
	s_waitcnt lgkmcnt(0)
	v_add_f32_e32 v8, v8, v11
	s_or_b32 exec_lo, exec_lo, s0
	s_and_saveexec_b32 s0, vcc_lo
	s_cbranch_execz .LBB175_343
.LBB175_401:
	v_lshl_add_u32 v11, v9, 2, v10
	ds_load_b32 v11, v11 offset:64
	s_waitcnt lgkmcnt(0)
	v_add_f32_e32 v6, v6, v11
	s_or_b32 exec_lo, exec_lo, s0
	s_and_saveexec_b32 s0, vcc_lo
	s_cbranch_execz .LBB175_344
.LBB175_402:
	v_lshl_add_u32 v11, v9, 2, v10
	ds_load_b32 v11, v11 offset:128
	s_waitcnt lgkmcnt(0)
	v_add_f32_e32 v5, v5, v11
	s_or_b32 exec_lo, exec_lo, s0
	s_and_saveexec_b32 s0, vcc_lo
	s_cbranch_execz .LBB175_345
.LBB175_403:
	v_lshl_add_u32 v11, v9, 2, v10
	ds_load_b32 v11, v11 offset:192
	s_waitcnt lgkmcnt(0)
	v_add_f32_e32 v4, v4, v11
	s_or_b32 exec_lo, exec_lo, s0
	s_and_saveexec_b32 s0, vcc_lo
	s_cbranch_execz .LBB175_346
.LBB175_404:
	v_lshl_add_u32 v11, v9, 2, v10
	ds_load_b32 v11, v11 offset:256
	s_waitcnt lgkmcnt(0)
	v_add_f32_e32 v3, v3, v11
	s_or_b32 exec_lo, exec_lo, s0
	s_and_saveexec_b32 s0, vcc_lo
	s_cbranch_execz .LBB175_347
.LBB175_405:
	v_lshl_add_u32 v11, v9, 2, v10
	ds_load_b32 v11, v11 offset:320
	s_waitcnt lgkmcnt(0)
	v_add_f32_e32 v2, v2, v11
	s_or_b32 exec_lo, exec_lo, s0
	s_and_saveexec_b32 s0, vcc_lo
	s_cbranch_execz .LBB175_348
.LBB175_406:
	v_lshl_add_u32 v11, v9, 2, v10
	ds_load_b32 v11, v11 offset:384
	s_waitcnt lgkmcnt(0)
	v_add_f32_e32 v1, v1, v11
	s_or_b32 exec_lo, exec_lo, s0
	s_and_saveexec_b32 s0, vcc_lo
	s_cbranch_execnz .LBB175_349
	s_branch .LBB175_350
.LBB175_407:
	ds_load_b32 v9, v0
	s_waitcnt lgkmcnt(0)
	v_add_f32_e32 v8, v8, v9
	s_or_b32 exec_lo, exec_lo, s1
	s_and_saveexec_b32 s1, vcc_lo
	s_cbranch_execz .LBB175_356
.LBB175_408:
	ds_load_b32 v9, v0 offset:64
	s_waitcnt lgkmcnt(0)
	v_add_f32_e32 v6, v6, v9
	s_or_b32 exec_lo, exec_lo, s1
	s_and_saveexec_b32 s1, vcc_lo
	s_cbranch_execz .LBB175_357
.LBB175_409:
	ds_load_b32 v9, v0 offset:128
	s_waitcnt lgkmcnt(0)
	v_add_f32_e32 v5, v5, v9
	s_or_b32 exec_lo, exec_lo, s1
	s_and_saveexec_b32 s1, vcc_lo
	s_cbranch_execz .LBB175_358
.LBB175_410:
	ds_load_b32 v9, v0 offset:192
	s_waitcnt lgkmcnt(0)
	v_add_f32_e32 v4, v4, v9
	s_or_b32 exec_lo, exec_lo, s1
	s_and_saveexec_b32 s1, vcc_lo
	s_cbranch_execz .LBB175_359
.LBB175_411:
	ds_load_b32 v9, v0 offset:256
	s_waitcnt lgkmcnt(0)
	v_add_f32_e32 v3, v3, v9
	s_or_b32 exec_lo, exec_lo, s1
	s_and_saveexec_b32 s1, vcc_lo
	s_cbranch_execz .LBB175_360
.LBB175_412:
	ds_load_b32 v9, v0 offset:320
	s_waitcnt lgkmcnt(0)
	v_add_f32_e32 v2, v2, v9
	s_or_b32 exec_lo, exec_lo, s1
	s_and_saveexec_b32 s1, vcc_lo
	s_cbranch_execz .LBB175_361
.LBB175_413:
	ds_load_b32 v9, v0 offset:384
	s_waitcnt lgkmcnt(0)
	v_add_f32_e32 v1, v1, v9
	s_or_b32 exec_lo, exec_lo, s1
	s_and_saveexec_b32 s1, vcc_lo
	s_cbranch_execnz .LBB175_362
	s_branch .LBB175_363
	.section	.rodata,"a",@progbits
	.p2align	6, 0x0
	.amdhsa_kernel _ZN4vllm25paged_attention_v2_kernelI14__hip_bfloat16S1_Li128ELi16ELi128ELNS_18Fp8KVCacheDataTypeE0ELb0ELi512EEEvPfS3_PT_PKS4_PKT0_SA_ifPKiSC_iPKfiiiSE_SE_iiiii
		.amdhsa_group_segment_fixed_size 288
		.amdhsa_private_segment_fixed_size 0
		.amdhsa_kernarg_size 400
		.amdhsa_user_sgpr_count 13
		.amdhsa_user_sgpr_dispatch_ptr 0
		.amdhsa_user_sgpr_queue_ptr 0
		.amdhsa_user_sgpr_kernarg_segment_ptr 1
		.amdhsa_user_sgpr_dispatch_id 0
		.amdhsa_user_sgpr_private_segment_size 0
		.amdhsa_wavefront_size32 1
		.amdhsa_uses_dynamic_stack 0
		.amdhsa_enable_private_segment 0
		.amdhsa_system_sgpr_workgroup_id_x 1
		.amdhsa_system_sgpr_workgroup_id_y 1
		.amdhsa_system_sgpr_workgroup_id_z 1
		.amdhsa_system_sgpr_workgroup_info 0
		.amdhsa_system_vgpr_workitem_id 0
		.amdhsa_next_free_vgpr 132
		.amdhsa_next_free_sgpr 40
		.amdhsa_reserve_vcc 1
		.amdhsa_float_round_mode_32 0
		.amdhsa_float_round_mode_16_64 0
		.amdhsa_float_denorm_mode_32 3
		.amdhsa_float_denorm_mode_16_64 3
		.amdhsa_dx10_clamp 1
		.amdhsa_ieee_mode 1
		.amdhsa_fp16_overflow 0
		.amdhsa_workgroup_processor_mode 1
		.amdhsa_memory_ordered 1
		.amdhsa_forward_progress 0
		.amdhsa_shared_vgpr_count 0
		.amdhsa_exception_fp_ieee_invalid_op 0
		.amdhsa_exception_fp_denorm_src 0
		.amdhsa_exception_fp_ieee_div_zero 0
		.amdhsa_exception_fp_ieee_overflow 0
		.amdhsa_exception_fp_ieee_underflow 0
		.amdhsa_exception_fp_ieee_inexact 0
		.amdhsa_exception_int_div_zero 0
	.end_amdhsa_kernel
	.section	.text._ZN4vllm25paged_attention_v2_kernelI14__hip_bfloat16S1_Li128ELi16ELi128ELNS_18Fp8KVCacheDataTypeE0ELb0ELi512EEEvPfS3_PT_PKS4_PKT0_SA_ifPKiSC_iPKfiiiSE_SE_iiiii,"axG",@progbits,_ZN4vllm25paged_attention_v2_kernelI14__hip_bfloat16S1_Li128ELi16ELi128ELNS_18Fp8KVCacheDataTypeE0ELb0ELi512EEEvPfS3_PT_PKS4_PKT0_SA_ifPKiSC_iPKfiiiSE_SE_iiiii,comdat
.Lfunc_end175:
	.size	_ZN4vllm25paged_attention_v2_kernelI14__hip_bfloat16S1_Li128ELi16ELi128ELNS_18Fp8KVCacheDataTypeE0ELb0ELi512EEEvPfS3_PT_PKS4_PKT0_SA_ifPKiSC_iPKfiiiSE_SE_iiiii, .Lfunc_end175-_ZN4vllm25paged_attention_v2_kernelI14__hip_bfloat16S1_Li128ELi16ELi128ELNS_18Fp8KVCacheDataTypeE0ELb0ELi512EEEvPfS3_PT_PKS4_PKT0_SA_ifPKiSC_iPKfiiiSE_SE_iiiii
                                        ; -- End function
	.section	.AMDGPU.csdata,"",@progbits
; Kernel info:
; codeLenInByte = 16272
; NumSgprs: 42
; NumVgprs: 132
; ScratchSize: 0
; MemoryBound: 0
; FloatMode: 240
; IeeeMode: 1
; LDSByteSize: 288 bytes/workgroup (compile time only)
; SGPRBlocks: 5
; VGPRBlocks: 16
; NumSGPRsForWavesPerEU: 42
; NumVGPRsForWavesPerEU: 132
; Occupancy: 10
; WaveLimiterHint : 1
; COMPUTE_PGM_RSRC2:SCRATCH_EN: 0
; COMPUTE_PGM_RSRC2:USER_SGPR: 13
; COMPUTE_PGM_RSRC2:TRAP_HANDLER: 0
; COMPUTE_PGM_RSRC2:TGID_X_EN: 1
; COMPUTE_PGM_RSRC2:TGID_Y_EN: 1
; COMPUTE_PGM_RSRC2:TGID_Z_EN: 1
; COMPUTE_PGM_RSRC2:TIDIG_COMP_CNT: 0
	.section	.text._ZN4vllm25paged_attention_v2_kernelI14__hip_bfloat16S1_Li192ELi16ELi128ELNS_18Fp8KVCacheDataTypeE0ELb0ELi512EEEvPfS3_PT_PKS4_PKT0_SA_ifPKiSC_iPKfiiiSE_SE_iiiii,"axG",@progbits,_ZN4vllm25paged_attention_v2_kernelI14__hip_bfloat16S1_Li192ELi16ELi128ELNS_18Fp8KVCacheDataTypeE0ELb0ELi512EEEvPfS3_PT_PKS4_PKT0_SA_ifPKiSC_iPKfiiiSE_SE_iiiii,comdat
	.protected	_ZN4vllm25paged_attention_v2_kernelI14__hip_bfloat16S1_Li192ELi16ELi128ELNS_18Fp8KVCacheDataTypeE0ELb0ELi512EEEvPfS3_PT_PKS4_PKT0_SA_ifPKiSC_iPKfiiiSE_SE_iiiii ; -- Begin function _ZN4vllm25paged_attention_v2_kernelI14__hip_bfloat16S1_Li192ELi16ELi128ELNS_18Fp8KVCacheDataTypeE0ELb0ELi512EEEvPfS3_PT_PKS4_PKT0_SA_ifPKiSC_iPKfiiiSE_SE_iiiii
	.globl	_ZN4vllm25paged_attention_v2_kernelI14__hip_bfloat16S1_Li192ELi16ELi128ELNS_18Fp8KVCacheDataTypeE0ELb0ELi512EEEvPfS3_PT_PKS4_PKT0_SA_ifPKiSC_iPKfiiiSE_SE_iiiii
	.p2align	8
	.type	_ZN4vllm25paged_attention_v2_kernelI14__hip_bfloat16S1_Li192ELi16ELi128ELNS_18Fp8KVCacheDataTypeE0ELb0ELi512EEEvPfS3_PT_PKS4_PKT0_SA_ifPKiSC_iPKfiiiSE_SE_iiiii,@function
_ZN4vllm25paged_attention_v2_kernelI14__hip_bfloat16S1_Li192ELi16ELi128ELNS_18Fp8KVCacheDataTypeE0ELb0ELi512EEEvPfS3_PT_PKS4_PKT0_SA_ifPKiSC_iPKfiiiSE_SE_iiiii: ; @_ZN4vllm25paged_attention_v2_kernelI14__hip_bfloat16S1_Li192ELi16ELi128ELNS_18Fp8KVCacheDataTypeE0ELb0ELi512EEEvPfS3_PT_PKS4_PKT0_SA_ifPKiSC_iPKfiiiSE_SE_iiiii
; %bb.0:
	s_load_b64 s[2:3], s[0:1], 0x40
	s_mov_b32 s12, s15
	s_ashr_i32 s15, s14, 31
	s_delay_alu instid0(SALU_CYCLE_1)
	s_lshl_b64 s[4:5], s[14:15], 2
	s_waitcnt lgkmcnt(0)
	s_add_u32 s2, s2, s4
	s_addc_u32 s3, s3, s5
	s_lshl_b32 s31, s12, 9
	s_load_b32 s30, s[2:3], 0x0
	s_waitcnt lgkmcnt(0)
	s_cmp_ge_i32 s31, s30
	s_cbranch_scc1 .LBB176_559
; %bb.1:
	s_clause 0x1
	s_load_b32 s15, s[0:1], 0x90
	s_load_b64 s[28:29], s[0:1], 0x30
	s_mov_b32 s20, s13
	s_waitcnt lgkmcnt(0)
	s_abs_i32 s5, s15
	s_abs_i32 s2, s28
	s_delay_alu instid0(SALU_CYCLE_1) | instskip(SKIP_1) | instid1(VALU_DEP_1)
	v_cvt_f32_u32_e32 v1, s2
	s_sub_i32 s4, 0, s2
	v_rcp_iflag_f32_e32 v1, v1
	s_waitcnt_depctr 0xfff
	v_mul_f32_e32 v1, 0x4f7ffffe, v1
	s_delay_alu instid0(VALU_DEP_1) | instskip(NEXT) | instid1(VALU_DEP_1)
	v_cvt_u32_f32_e32 v1, v1
	v_readfirstlane_b32 s3, v1
	s_delay_alu instid0(VALU_DEP_1) | instskip(NEXT) | instid1(SALU_CYCLE_1)
	s_mul_i32 s4, s4, s3
	s_mul_hi_u32 s4, s3, s4
	s_delay_alu instid0(SALU_CYCLE_1)
	s_add_i32 s3, s3, s4
	s_xor_b32 s4, s15, s28
	s_mul_hi_u32 s3, s5, s3
	s_ashr_i32 s4, s4, 31
	s_mul_i32 s6, s3, s2
	s_mov_b32 s28, 0
	s_sub_i32 s5, s5, s6
	s_add_i32 s6, s3, 1
	s_sub_i32 s7, s5, s2
	s_cmp_ge_u32 s5, s2
	s_cselect_b32 s3, s6, s3
	s_cselect_b32 s5, s7, s5
	s_add_i32 s6, s3, 1
	s_cmp_ge_u32 s5, s2
	s_cselect_b32 s2, s6, s3
	s_abs_i32 s10, s13
	s_xor_b32 s2, s2, s4
	s_delay_alu instid0(SALU_CYCLE_1) | instskip(SKIP_2) | instid1(SALU_CYCLE_1)
	s_sub_i32 s11, s2, s4
	s_load_b64 s[2:3], s[0:1], 0x50
	s_abs_i32 s8, s11
	v_cvt_f32_u32_e32 v1, s8
	s_sub_i32 s5, 0, s8
	s_delay_alu instid0(VALU_DEP_1) | instskip(SKIP_2) | instid1(VALU_DEP_1)
	v_rcp_iflag_f32_e32 v1, v1
	s_waitcnt_depctr 0xfff
	v_mul_f32_e32 v1, 0x4f7ffffe, v1
	v_cvt_u32_f32_e32 v1, v1
	s_delay_alu instid0(VALU_DEP_1) | instskip(NEXT) | instid1(VALU_DEP_1)
	v_readfirstlane_b32 s4, v1
	s_mul_i32 s5, s5, s4
	s_delay_alu instid0(SALU_CYCLE_1) | instskip(NEXT) | instid1(SALU_CYCLE_1)
	s_mul_hi_u32 s5, s4, s5
	s_add_i32 s4, s4, s5
	s_waitcnt lgkmcnt(0)
	s_cmp_eq_u64 s[2:3], 0
	s_mul_hi_u32 s9, s10, s4
	s_cbranch_scc1 .LBB176_3
; %bb.2:
	s_ashr_i32 s21, s20, 31
	s_delay_alu instid0(SALU_CYCLE_1) | instskip(NEXT) | instid1(SALU_CYCLE_1)
	s_lshl_b64 s[4:5], s[20:21], 2
	s_add_u32 s2, s2, s4
	s_addc_u32 s3, s3, s5
	s_load_b32 s28, s[2:3], 0x0
.LBB176_3:
	s_load_b128 s[4:7], s[0:1], 0x58
	v_lshrrev_b32_e32 v12, 1, v0
	v_and_b32_e32 v13, 1, v0
	v_lshlrev_b32_e32 v5, 3, v0
	s_ashr_i32 s2, s20, 31
	s_ashr_i32 s3, s11, 31
	s_mul_i32 s16, s20, 0xc0
	s_waitcnt lgkmcnt(0)
	s_mov_b32 s7, exec_lo
	v_cmpx_gt_u32_e32 48, v0
	s_cbranch_execz .LBB176_5
; %bb.4:
	s_load_b64 s[18:19], s[0:1], 0x18
	s_mul_i32 s22, s14, s4
	v_lshlrev_b32_e32 v3, 3, v12
	s_ashr_i32 s23, s22, 31
	s_delay_alu instid0(SALU_CYCLE_1) | instskip(NEXT) | instid1(VALU_DEP_1)
	s_lshl_b64 s[22:23], s[22:23], 1
	v_mad_u32_u24 v3, 0xc0, v13, v3
	s_waitcnt lgkmcnt(0)
	s_add_u32 s4, s18, s22
	s_addc_u32 s11, s19, s23
	s_ashr_i32 s17, s16, 31
	s_delay_alu instid0(SALU_CYCLE_1) | instskip(NEXT) | instid1(SALU_CYCLE_1)
	s_lshl_b64 s[18:19], s[16:17], 1
	s_add_u32 s18, s4, s18
	s_addc_u32 s19, s11, s19
	global_load_b64 v[1:2], v5, s[18:19]
	s_waitcnt vmcnt(0)
	ds_store_b64 v3, v[1:2]
.LBB176_5:
	s_or_b32 exec_lo, exec_lo, s7
	s_add_i32 s4, s30, 15
	s_lshl_b32 s13, s12, 5
	s_ashr_i32 s7, s4, 31
	s_xor_b32 s2, s2, s3
	s_lshr_b32 s7, s7, 28
	s_add_i32 s3, s13, 32
	s_add_i32 s4, s4, s7
	s_clause 0x1
	s_load_b64 s[22:23], s[0:1], 0x38
	s_load_b32 s7, s[0:1], 0x48
	s_ashr_i32 s21, s4, 4
	s_mul_i32 s4, s9, s8
	s_min_i32 s17, s3, s21
	s_sub_i32 s3, s10, s4
	s_add_i32 s4, s9, 1
	s_sub_i32 s10, s3, s8
	s_cmp_ge_u32 s3, s8
	v_lshrrev_b32_e32 v14, 5, v0
	s_cselect_b32 s4, s4, s9
	s_cselect_b32 s3, s10, s3
	s_add_i32 s9, s4, 1
	s_cmp_ge_u32 s3, s8
	v_or_b32_e32 v9, s13, v14
	s_cselect_b32 s3, s9, s4
	v_mbcnt_lo_u32_b32 v6, -1, 0
	s_xor_b32 s3, s3, s2
	s_mov_b32 s4, exec_lo
	s_sub_i32 s3, s3, s2
	v_cmp_gt_i32_e64 s2, s17, v9
	s_waitcnt lgkmcnt(0)
	s_mul_i32 s24, s14, s7
	s_delay_alu instid0(SALU_CYCLE_1)
	s_ashr_i32 s25, s24, 31
	s_barrier
	buffer_gl0_inv
                                        ; implicit-def: $sgpr7
                                        ; implicit-def: $vgpr65
	v_cmpx_le_i32_e64 s17, v9
	s_xor_b32 s4, exec_lo, s4
; %bb.6:
	v_mbcnt_lo_u32_b32 v6, -1, 0
	v_mov_b32_e32 v65, 32
	s_mov_b32 s7, 0xff7fffff
; %bb.7:
	s_or_saveexec_b32 s33, s4
	s_clause 0x3
	s_load_b128 s[8:11], s[0:1], 0x0
	s_load_b64 s[18:19], s[0:1], 0x10
	s_load_b64 s[26:27], s[0:1], 0x28
	s_load_b32 s4, s[0:1], 0x98
	v_mov_b32_e32 v109, s7
	v_ashrrev_i32_e32 v10, 31, v9
	s_mul_i32 s6, s3, s6
	s_xor_b32 exec_lo, exec_lo, s33
	s_cbranch_execz .LBB176_13
; %bb.8:
	v_mul_u32_u24_e32 v83, 0xc0, v13
	v_xor_b32_e32 v112, 1, v6
	s_load_b64 s[0:1], s[0:1], 0x20
	s_ashr_i32 s7, s6, 31
	v_lshlrev_b32_e32 v109, 4, v14
	ds_load_b128 v[1:4], v83
	ds_load_b128 v[24:27], v83 offset:16
	ds_load_b128 v[32:35], v83 offset:32
	;; [unrolled: 1-line block ×7, first 2 shown]
	s_lshl_b64 s[34:35], s[6:7], 1
	ds_load_b128 v[56:59], v83 offset:80
	v_mov_b32_e32 v115, v9
	ds_load_b128 v[89:92], v83 offset:144
	s_waitcnt lgkmcnt(0)
	v_lshlrev_b32_e32 v7, 16, v1
	v_and_b32_e32 v8, 0xffff0000, v1
	v_lshlrev_b32_e32 v11, 16, v2
	v_and_b32_e32 v15, 0xffff0000, v2
	;; [unrolled: 2-line block ×4, first 2 shown]
	ds_load_b128 v[1:4], v83 offset:64
	s_add_u32 s3, s0, s34
	s_addc_u32 s34, s1, s35
	s_lshl_b64 s[0:1], s[24:25], 2
	s_sub_i32 s7, 1, s30
	s_add_u32 s0, s22, s0
	s_addc_u32 s1, s23, s1
	v_lshlrev_b32_e32 v60, 16, v65
	v_and_b32_e32 v61, 0xffff0000, v65
	v_and_b32_e32 v65, 8, v5
	v_lshlrev_b32_e32 v20, 16, v24
	v_and_b32_e32 v21, 0xffff0000, v24
	v_lshlrev_b32_e32 v22, 16, v25
	;; [unrolled: 2-line block ×5, first 2 shown]
	v_and_b32_e32 v29, 0xffff0000, v32
	s_waitcnt lgkmcnt(0)
	v_lshlrev_b32_e32 v44, 16, v1
	v_and_b32_e32 v45, 0xffff0000, v1
	v_lshlrev_b32_e32 v46, 16, v2
	v_and_b32_e32 v47, 0xffff0000, v2
	;; [unrolled: 2-line block ×4, first 2 shown]
	ds_load_b128 v[1:4], v83 offset:128
	v_lshlrev_b32_e32 v30, 16, v33
	v_and_b32_e32 v31, 0xffff0000, v33
	v_lshlrev_b32_e32 v32, 16, v34
	v_and_b32_e32 v33, 0xffff0000, v34
	;; [unrolled: 2-line block ×9, first 2 shown]
	v_lshlrev_b32_e32 v56, 16, v58
	s_waitcnt lgkmcnt(0)
	v_lshlrev_b32_e32 v77, 16, v1
	v_and_b32_e32 v78, 0xffff0000, v1
	v_lshlrev_b32_e32 v79, 16, v2
	v_and_b32_e32 v80, 0xffff0000, v2
	v_lshlrev_b64 v[1:2], 2, v[9:10]
	v_lshlrev_b32_e32 v81, 16, v3
	v_and_b32_e32 v82, 0xffff0000, v3
	v_bfe_u32 v3, v0, 1, 4
	v_lshlrev_b32_e32 v83, 16, v4
	v_and_b32_e32 v84, 0xffff0000, v4
	v_add_co_u32 v1, vcc_lo, s0, v1
	s_delay_alu instid0(VALU_DEP_4) | instskip(SKIP_3) | instid1(VALU_DEP_4)
	v_lshlrev_b32_e32 v4, 4, v3
	v_add_co_ci_u32_e32 v2, vcc_lo, s1, v2, vcc_lo
	v_lshlrev_b32_e32 v111, 2, v3
	v_cmp_gt_i32_e32 vcc_lo, 32, v112
	v_add_co_u32 v4, s0, s3, v4
	s_delay_alu instid0(VALU_DEP_1)
	v_add_co_ci_u32_e64 v113, null, s34, 0, s0
	v_add3_u32 v110, s31, v109, v3
	v_cndmask_b32_e32 v3, v6, v112, vcc_lo
	v_lshl_or_b32 v109, v14, 6, v111
	v_add_co_u32 v111, vcc_lo, v4, v65
	v_add_co_ci_u32_e32 v112, vcc_lo, 0, v113, vcc_lo
	v_and_b32_e32 v57, 0xffff0000, v58
	v_lshlrev_b32_e32 v58, 16, v59
	v_and_b32_e32 v59, 0xffff0000, v59
	v_lshlrev_b32_e32 v62, 16, v66
	;; [unrolled: 2-line block ×21, first 2 shown]
	v_cmp_eq_u32_e32 vcc_lo, 0, v13
	v_cmp_neq_f32_e64 s0, s28, 0
	v_dual_mov_b32 v65, 32 :: v_dual_add_nc_u32 v114, 0x1a0, v109
	v_mov_b32_e32 v109, 0xff7fffff
	s_mov_b32 s35, s5
	s_mov_b32 s34, 0
	s_branch .LBB176_10
.LBB176_9:                              ;   in Loop: Header=BB176_10 Depth=1
	s_or_b32 exec_lo, exec_lo, s3
	v_add_nc_u32_e32 v115, 4, v115
	v_add_co_u32 v1, s3, v1, 16
	v_add_nc_u32_e32 v110, 64, v110
	v_add_nc_u32_e32 v114, 0x100, v114
	s_delay_alu instid0(VALU_DEP_4) | instskip(SKIP_1) | instid1(VALU_DEP_2)
	v_cmp_le_i32_e64 s1, s17, v115
	v_add_co_ci_u32_e64 v2, s3, 0, v2, s3
	s_or_b32 s34, s1, s34
	s_delay_alu instid0(SALU_CYCLE_1)
	s_and_not1_b32 exec_lo, exec_lo, s34
	s_cbranch_execz .LBB176_12
.LBB176_10:                             ; =>This Inner Loop Header: Depth=1
	global_load_b32 v116, v[1:2], off
	s_waitcnt vmcnt(0) lgkmcnt(0)
	v_mad_i64_i32 v[3:4], null, v116, s35, 0
	s_delay_alu instid0(VALU_DEP_1) | instskip(NEXT) | instid1(VALU_DEP_1)
	v_lshlrev_b64 v[3:4], 1, v[3:4]
	v_add_co_u32 v3, s1, v111, v3
	s_delay_alu instid0(VALU_DEP_1)
	v_add_co_ci_u32_e64 v4, s1, v112, v4, s1
	s_clause 0x8
	global_load_b64 v[116:117], v[3:4], off
	global_load_b64 v[118:119], v[3:4], off offset:256
	global_load_b64 v[120:121], v[3:4], off offset:512
	;; [unrolled: 1-line block ×8, first 2 shown]
	s_waitcnt vmcnt(7)
	v_lshlrev_b32_e32 v139, 16, v119
	s_waitcnt vmcnt(6)
	v_and_b32_e32 v141, 0xffff0000, v120
	v_lshlrev_b32_e32 v140, 16, v120
	v_and_b32_e32 v119, 0xffff0000, v119
	s_delay_alu instid0(VALU_DEP_1)
	v_dual_mul_f32 v119, v19, v119 :: v_dual_lshlrev_b32 v138, 16, v118
	v_and_b32_e32 v135, 0xffff0000, v116
	v_lshlrev_b32_e32 v136, 16, v117
	v_and_b32_e32 v118, 0xffff0000, v118
	v_lshlrev_b32_e32 v134, 16, v116
	v_and_b32_e32 v137, 0xffff0000, v117
	global_load_b64 v[116:117], v[3:4], off offset:2304
	s_waitcnt vmcnt(1)
	v_lshlrev_b32_e32 v160, 16, v132
	s_waitcnt vmcnt(0)
	v_and_b32_e32 v163, 0xffff0000, v116
	v_lshlrev_b32_e32 v162, 16, v116
	v_lshlrev_b32_e32 v164, 16, v117
	v_dual_mul_f32 v116, v16, v138 :: v_dual_and_b32 v165, 0xffff0000, v117
	v_dual_mul_f32 v117, v17, v118 :: v_dual_mul_f32 v118, v18, v139
	s_delay_alu instid0(VALU_DEP_1) | instskip(NEXT) | instid1(VALU_DEP_2)
	v_dual_fmac_f32 v116, v7, v134 :: v_dual_fmac_f32 v117, v8, v135
	v_dual_fmac_f32 v118, v11, v136 :: v_dual_and_b32 v143, 0xffff0000, v121
	v_fmac_f32_e32 v119, v15, v137
	v_lshlrev_b32_e32 v142, 16, v121
	s_delay_alu instid0(VALU_DEP_4) | instskip(SKIP_1) | instid1(VALU_DEP_4)
	v_dual_fmac_f32 v117, v21, v141 :: v_dual_fmac_f32 v116, v20, v140
	v_and_b32_e32 v145, 0xffff0000, v122
	v_dual_fmac_f32 v119, v23, v143 :: v_dual_lshlrev_b32 v144, 16, v122
	s_delay_alu instid0(VALU_DEP_2) | instskip(NEXT) | instid1(VALU_DEP_2)
	v_dual_fmac_f32 v118, v22, v142 :: v_dual_fmac_f32 v117, v25, v145
	v_dual_fmac_f32 v116, v24, v144 :: v_dual_and_b32 v151, 0xffff0000, v125
	v_lshlrev_b32_e32 v150, 16, v125
	v_and_b32_e32 v149, 0xffff0000, v124
	s_delay_alu instid0(VALU_DEP_1) | instskip(NEXT) | instid1(VALU_DEP_1)
	v_dual_fmac_f32 v117, v29, v149 :: v_dual_lshlrev_b32 v146, 16, v123
	v_dual_fmac_f32 v118, v26, v146 :: v_dual_and_b32 v147, 0xffff0000, v123
	s_clause 0x1
	global_load_b64 v[120:121], v[3:4], off offset:2560
	global_load_b64 v[122:123], v[3:4], off offset:2816
	v_dual_fmac_f32 v119, v27, v147 :: v_dual_lshlrev_b32 v148, 16, v124
	s_delay_alu instid0(VALU_DEP_1) | instskip(NEXT) | instid1(VALU_DEP_2)
	v_dual_fmac_f32 v116, v28, v148 :: v_dual_and_b32 v153, 0xffff0000, v126
	v_dual_fmac_f32 v119, v31, v151 :: v_dual_lshlrev_b32 v152, 16, v126
	v_lshlrev_b32_e32 v156, 16, v128
	s_delay_alu instid0(VALU_DEP_3) | instskip(NEXT) | instid1(VALU_DEP_3)
	v_dual_fmac_f32 v118, v30, v150 :: v_dual_fmac_f32 v117, v33, v153
	v_dual_fmac_f32 v116, v32, v152 :: v_dual_lshlrev_b32 v157, 16, v129
	v_lshlrev_b32_e32 v159, 16, v131
	v_and_b32_e32 v131, 0xffff0000, v131
	v_lshlrev_b32_e32 v158, 16, v130
	v_and_b32_e32 v129, 0xffff0000, v129
	v_and_b32_e32 v128, 0xffff0000, v128
	s_delay_alu instid0(VALU_DEP_1) | instskip(NEXT) | instid1(VALU_DEP_1)
	v_dual_fmac_f32 v117, v37, v128 :: v_dual_lshlrev_b32 v154, 16, v127
	v_dual_fmac_f32 v118, v34, v154 :: v_dual_and_b32 v155, 0xffff0000, v127
	s_delay_alu instid0(VALU_DEP_1) | instskip(NEXT) | instid1(VALU_DEP_2)
	v_dual_fmac_f32 v119, v35, v155 :: v_dual_fmac_f32 v116, v36, v156
	v_fmac_f32_e32 v118, v38, v157
	v_lshlrev_b32_e32 v161, 16, v133
	v_and_b32_e32 v133, 0xffff0000, v133
	v_and_b32_e32 v132, 0xffff0000, v132
	;; [unrolled: 1-line block ×3, first 2 shown]
	v_dual_fmac_f32 v116, v40, v158 :: v_dual_fmac_f32 v119, v39, v129
	s_delay_alu instid0(VALU_DEP_2) | instskip(NEXT) | instid1(VALU_DEP_2)
	v_dual_fmac_f32 v118, v42, v159 :: v_dual_fmac_f32 v117, v41, v130
	v_dual_fmac_f32 v116, v44, v160 :: v_dual_fmac_f32 v119, v43, v131
	s_delay_alu instid0(VALU_DEP_2) | instskip(NEXT) | instid1(VALU_DEP_2)
	v_fmac_f32_e32 v118, v46, v161
	v_dual_fmac_f32 v116, v48, v162 :: v_dual_fmac_f32 v119, v47, v133
	s_delay_alu instid0(VALU_DEP_4) | instskip(NEXT) | instid1(VALU_DEP_1)
	v_fmac_f32_e32 v117, v45, v132
	v_fmac_f32_e32 v117, v49, v163
	s_waitcnt vmcnt(1)
	v_and_b32_e32 v135, 0xffff0000, v120
	s_delay_alu instid0(VALU_DEP_1) | instskip(SKIP_3) | instid1(VALU_DEP_2)
	v_dual_fmac_f32 v117, v53, v135 :: v_dual_fmac_f32 v118, v50, v164
	v_dual_fmac_f32 v119, v51, v165 :: v_dual_lshlrev_b32 v134, 16, v120
	v_add_co_u32 v120, s1, 0x1000, v3
	s_waitcnt vmcnt(0)
	v_dual_fmac_f32 v116, v52, v134 :: v_dual_and_b32 v141, 0xffff0000, v123
	v_lshlrev_b32_e32 v140, 16, v123
	v_and_b32_e32 v139, 0xffff0000, v122
	s_delay_alu instid0(VALU_DEP_1) | instskip(NEXT) | instid1(VALU_DEP_1)
	v_dual_fmac_f32 v117, v57, v139 :: v_dual_lshlrev_b32 v136, 16, v121
	v_dual_fmac_f32 v118, v54, v136 :: v_dual_and_b32 v137, 0xffff0000, v121
	v_lshlrev_b32_e32 v138, 16, v122
	v_add_co_ci_u32_e64 v121, s1, 0, v4, s1
	s_delay_alu instid0(VALU_DEP_3)
	v_fmac_f32_e32 v119, v55, v137
	s_clause 0x3
	global_load_b64 v[122:123], v[3:4], off offset:3072
	global_load_b64 v[124:125], v[3:4], off offset:3328
	;; [unrolled: 1-line block ×4, first 2 shown]
	v_dual_fmac_f32 v116, v56, v138 :: v_dual_fmac_f32 v119, v59, v141
	s_waitcnt vmcnt(3)
	v_dual_fmac_f32 v118, v58, v140 :: v_dual_and_b32 v145, 0xffff0000, v123
	v_lshlrev_b32_e32 v144, 16, v123
	s_waitcnt vmcnt(0)
	v_and_b32_e32 v129, 0xffff0000, v3
	s_delay_alu instid0(VALU_DEP_3) | instskip(NEXT) | instid1(VALU_DEP_3)
	v_dual_fmac_f32 v119, v63, v145 :: v_dual_lshlrev_b32 v152, 16, v127
	v_dual_fmac_f32 v118, v62, v144 :: v_dual_and_b32 v143, 0xffff0000, v122
	v_lshlrev_b32_e32 v142, 16, v122
	v_and_b32_e32 v151, 0xffff0000, v126
	s_delay_alu instid0(VALU_DEP_2) | instskip(SKIP_1) | instid1(VALU_DEP_1)
	v_dual_fmac_f32 v117, v61, v143 :: v_dual_fmac_f32 v116, v60, v142
	v_and_b32_e32 v147, 0xffff0000, v124
	v_dual_fmac_f32 v117, v66, v147 :: v_dual_lshlrev_b32 v146, 16, v124
	v_lshlrev_b32_e32 v148, 16, v125
	s_delay_alu instid0(VALU_DEP_2) | instskip(NEXT) | instid1(VALU_DEP_2)
	v_dual_fmac_f32 v116, v64, v146 :: v_dual_fmac_f32 v117, v70, v151
	v_dual_fmac_f32 v118, v67, v148 :: v_dual_and_b32 v149, 0xffff0000, v125
	s_delay_alu instid0(VALU_DEP_1) | instskip(NEXT) | instid1(VALU_DEP_1)
	v_dual_fmac_f32 v119, v68, v149 :: v_dual_lshlrev_b32 v150, 16, v126
	v_dual_fmac_f32 v116, v69, v150 :: v_dual_and_b32 v153, 0xffff0000, v127
	s_delay_alu instid0(VALU_DEP_1) | instskip(NEXT) | instid1(VALU_DEP_1)
	v_dual_fmac_f32 v119, v72, v153 :: v_dual_lshlrev_b32 v128, 16, v3
	v_dual_fmac_f32 v116, v73, v128 :: v_dual_fmac_f32 v117, v74, v129
	v_lshlrev_b32_e32 v154, 16, v4
	v_fmac_f32_e32 v118, v71, v152
	v_and_b32_e32 v155, 0xffff0000, v4
	s_clause 0x3
	global_load_b64 v[3:4], v[120:121], off
	global_load_b64 v[122:123], v[120:121], off offset:256
	global_load_b64 v[124:125], v[120:121], off offset:512
	global_load_b64 v[126:127], v[120:121], off offset:768
	s_waitcnt vmcnt(3)
	v_and_b32_e32 v131, 0xffff0000, v3
	s_waitcnt vmcnt(0)
	v_lshlrev_b32_e32 v135, 16, v126
	v_lshlrev_b32_e32 v136, 16, v127
	s_delay_alu instid0(VALU_DEP_3)
	v_dual_fmac_f32 v117, v78, v131 :: v_dual_fmac_f32 v118, v75, v154
	v_dual_fmac_f32 v119, v76, v155 :: v_dual_lshlrev_b32 v156, 16, v4
	v_and_b32_e32 v133, 0xffff0000, v122
	v_and_b32_e32 v127, 0xffff0000, v127
	;; [unrolled: 1-line block ×4, first 2 shown]
	v_fmac_f32_e32 v118, v79, v156
	v_dual_fmac_f32 v117, v82, v133 :: v_dual_lshlrev_b32 v130, 16, v3
	v_lshlrev_b32_e32 v158, 16, v123
	s_delay_alu instid0(VALU_DEP_2) | instskip(NEXT) | instid1(VALU_DEP_2)
	v_dual_fmac_f32 v116, v77, v130 :: v_dual_fmac_f32 v117, v86, v160
	v_dual_fmac_f32 v118, v83, v158 :: v_dual_and_b32 v157, 0xffff0000, v4
	v_lshlrev_b32_e32 v132, 16, v122
	global_load_b64 v[3:4], v[120:121], off offset:1024
	v_fmac_f32_e32 v117, v90, v126
	v_fmac_f32_e32 v119, v80, v157
	v_dual_fmac_f32 v116, v81, v132 :: v_dual_and_b32 v159, 0xffff0000, v123
	global_load_b64 v[122:123], v[120:121], off offset:1280
	v_dual_fmac_f32 v119, v84, v159 :: v_dual_lshlrev_b32 v134, 16, v124
	s_delay_alu instid0(VALU_DEP_1) | instskip(NEXT) | instid1(VALU_DEP_1)
	v_dual_fmac_f32 v116, v85, v134 :: v_dual_lshlrev_b32 v161, 16, v125
	v_fmac_f32_e32 v118, v87, v161
	s_waitcnt vmcnt(0)
	s_delay_alu instid0(VALU_DEP_2)
	v_dual_fmac_f32 v116, v89, v135 :: v_dual_lshlrev_b32 v139, 16, v122
	v_and_b32_e32 v122, 0xffff0000, v122
	v_lshlrev_b32_e32 v138, 16, v4
	v_lshlrev_b32_e32 v137, 16, v3
	v_and_b32_e32 v3, 0xffff0000, v3
	v_and_b32_e32 v162, 0xffff0000, v125
	s_clause 0x1
	global_load_b64 v[124:125], v[120:121], off offset:1536
	global_load_b64 v[120:121], v[120:121], off offset:1792
	v_fmac_f32_e32 v117, v94, v3
	v_dual_fmac_f32 v119, v88, v162 :: v_dual_fmac_f32 v118, v91, v136
	s_delay_alu instid0(VALU_DEP_1)
	v_fmac_f32_e32 v119, v92, v127
	s_waitcnt vmcnt(1)
	v_lshlrev_b32_e32 v129, 16, v125
	v_and_b32_e32 v125, 0xffff0000, v125
	v_lshlrev_b32_e32 v128, 16, v124
	v_and_b32_e32 v124, 0xffff0000, v124
	;; [unrolled: 2-line block ×3, first 2 shown]
	v_and_b32_e32 v4, 0xffff0000, v4
	s_delay_alu instid0(VALU_DEP_1) | instskip(SKIP_2) | instid1(VALU_DEP_2)
	v_fmac_f32_e32 v119, v96, v4
	v_fmac_f32_e32 v117, v98, v122
	;; [unrolled: 1-line block ×3, first 2 shown]
	v_dual_fmac_f32 v116, v93, v137 :: v_dual_fmac_f32 v117, v102, v124
	s_delay_alu instid0(VALU_DEP_2) | instskip(SKIP_1) | instid1(VALU_DEP_2)
	v_dual_fmac_f32 v118, v99, v140 :: v_dual_fmac_f32 v119, v100, v123
	s_waitcnt vmcnt(0)
	v_dual_fmac_f32 v116, v97, v139 :: v_dual_lshlrev_b32 v3, 16, v120
	v_lshlrev_b32_e32 v4, 16, v121
	s_delay_alu instid0(VALU_DEP_3) | instskip(NEXT) | instid1(VALU_DEP_3)
	v_fmac_f32_e32 v118, v103, v129
	v_dual_fmac_f32 v119, v104, v125 :: v_dual_fmac_f32 v116, v101, v128
	s_delay_alu instid0(VALU_DEP_2) | instskip(SKIP_1) | instid1(VALU_DEP_3)
	v_fmac_f32_e32 v118, v107, v4
	v_and_b32_e32 v120, 0xffff0000, v120
	v_dual_fmac_f32 v116, v105, v3 :: v_dual_and_b32 v3, 0xffff0000, v121
	s_delay_alu instid0(VALU_DEP_2) | instskip(NEXT) | instid1(VALU_DEP_2)
	v_fmac_f32_e32 v117, v106, v120
	v_fmac_f32_e32 v119, v108, v3
	s_delay_alu instid0(VALU_DEP_2) | instskip(NEXT) | instid1(VALU_DEP_1)
	v_add_f32_e32 v4, v116, v117
	v_add_f32_e32 v3, v4, v118
	s_delay_alu instid0(VALU_DEP_1)
	v_add_f32_e32 v3, v119, v3
	ds_bpermute_b32 v4, v113, v3
	s_and_saveexec_b32 s3, vcc_lo
	s_cbranch_execz .LBB176_9
; %bb.11:                               ;   in Loop: Header=BB176_10 Depth=1
	s_waitcnt lgkmcnt(0)
	v_dual_add_f32 v3, v3, v4 :: v_dual_add_nc_u32 v116, s7, v110
	v_cmp_gt_i32_e64 s1, s30, v110
	s_delay_alu instid0(VALU_DEP_2) | instskip(NEXT) | instid1(VALU_DEP_1)
	v_cvt_f32_i32_e32 v116, v116
	v_mul_f32_e32 v116, s28, v116
	s_delay_alu instid0(VALU_DEP_1) | instskip(SKIP_1) | instid1(VALU_DEP_2)
	v_cndmask_b32_e64 v4, 0, v116, s0
	v_max_f32_e32 v116, v109, v109
	v_fmac_f32_e32 v4, s29, v3
	s_delay_alu instid0(VALU_DEP_1) | instskip(SKIP_1) | instid1(VALU_DEP_2)
	v_max_f32_e32 v3, v116, v4
	v_cndmask_b32_e64 v4, 0, v4, s1
	v_cndmask_b32_e64 v109, v109, v3, s1
	ds_store_b32 v114, v4
	s_branch .LBB176_9
.LBB176_12:
	s_or_b32 exec_lo, exec_lo, s34
.LBB176_13:
	s_delay_alu instid0(SALU_CYCLE_1) | instskip(SKIP_4) | instid1(VALU_DEP_4)
	s_or_b32 exec_lo, exec_lo, s33
	v_xor_b32_e32 v1, 16, v6
	v_xor_b32_e32 v2, 8, v6
	;; [unrolled: 1-line block ×3, first 2 shown]
	v_and_b32_e32 v15, 31, v0
	v_cmp_lt_i32_e32 vcc_lo, v1, v65
	v_cndmask_b32_e32 v1, v6, v1, vcc_lo
	v_cmp_lt_i32_e32 vcc_lo, v2, v65
	v_dual_max_f32 v7, v109, v109 :: v_dual_cndmask_b32 v2, v6, v2
	s_waitcnt lgkmcnt(0)
	s_delay_alu instid0(VALU_DEP_1) | instskip(SKIP_4) | instid1(VALU_DEP_1)
	v_lshlrev_b32_e32 v4, 2, v2
	v_lshlrev_b32_e32 v3, 2, v1
	ds_bpermute_b32 v1, v3, v109
	s_waitcnt lgkmcnt(0)
	v_max_f32_e32 v1, v1, v1
	v_max_f32_e32 v1, v7, v1
	v_xor_b32_e32 v7, 4, v6
	s_delay_alu instid0(VALU_DEP_1) | instskip(SKIP_2) | instid1(VALU_DEP_2)
	v_cmp_lt_i32_e32 vcc_lo, v7, v65
	v_cndmask_b32_e32 v7, v6, v7, vcc_lo
	v_cmp_lt_i32_e32 vcc_lo, v8, v65
	v_dual_cndmask_b32 v8, v6, v8 :: v_dual_lshlrev_b32 v7, 2, v7
	ds_bpermute_b32 v2, v4, v1
	v_cmp_eq_u32_e32 vcc_lo, 0, v15
	s_waitcnt lgkmcnt(0)
	v_max_f32_e32 v2, v2, v2
	s_delay_alu instid0(VALU_DEP_1) | instskip(SKIP_3) | instid1(VALU_DEP_1)
	v_max_f32_e32 v1, v1, v2
	ds_bpermute_b32 v2, v7, v1
	s_waitcnt lgkmcnt(0)
	v_max_f32_e32 v2, v2, v2
	v_dual_max_f32 v1, v1, v2 :: v_dual_lshlrev_b32 v2, 2, v8
	v_lshlrev_b32_e32 v8, 2, v14
	ds_bpermute_b32 v11, v2, v1
	s_and_saveexec_b32 s0, vcc_lo
	s_cbranch_execz .LBB176_15
; %bb.14:
	s_waitcnt lgkmcnt(0)
	v_max_f32_e32 v11, v11, v11
	v_max_f32_e32 v1, v1, v1
	s_delay_alu instid0(VALU_DEP_1)
	v_max_f32_e32 v1, v1, v11
	ds_store_b32 v8, v1 offset:384
.LBB176_15:
	s_or_b32 exec_lo, exec_lo, s0
	v_cmp_gt_u32_e64 s0, 4, v15
	v_mov_b32_e32 v1, 0xff7fffff
	s_waitcnt lgkmcnt(0)
	v_lshlrev_b32_e32 v11, 2, v15
	s_barrier
	buffer_gl0_inv
	s_and_saveexec_b32 s1, s0
	s_cbranch_execz .LBB176_17
; %bb.16:
	ds_load_b32 v1, v11 offset:384
.LBB176_17:
	s_or_b32 exec_lo, exec_lo, s1
	s_waitcnt lgkmcnt(0)
	ds_bpermute_b32 v16, v2, v1
	v_xor_b32_e32 v17, 1, v6
	v_max_f32_e32 v1, v1, v1
	s_delay_alu instid0(VALU_DEP_2) | instskip(NEXT) | instid1(VALU_DEP_1)
	v_cmp_lt_i32_e64 s1, v17, v65
	v_cndmask_b32_e64 v17, v6, v17, s1
	s_sub_i32 s1, s17, s13
	v_lshlrev_b32_e32 v6, 2, v6
	s_lshl_b32 s1, s1, 4
	s_delay_alu instid0(SALU_CYCLE_1) | instskip(NEXT) | instid1(SALU_CYCLE_1)
	s_add_i32 s1, s1, s31
	s_min_i32 s1, s1, s30
	s_waitcnt lgkmcnt(0)
	v_max_f32_e32 v18, v16, v16
	v_lshlrev_b32_e32 v16, 2, v17
	s_sub_i32 s7, s1, s31
	s_delay_alu instid0(SALU_CYCLE_1) | instskip(NEXT) | instid1(VALU_DEP_3)
	v_cmp_gt_i32_e64 s1, s7, v0
	v_dual_max_f32 v1, v1, v18 :: v_dual_mov_b32 v18, 0
	ds_bpermute_b32 v17, v16, v1
	s_waitcnt lgkmcnt(0)
	v_max_f32_e32 v17, v17, v17
	s_delay_alu instid0(VALU_DEP_1)
	v_max_f32_e32 v1, v1, v17
	v_and_b32_e32 v17, 0xffffff80, v6
	v_lshl_add_u32 v6, v0, 2, 0x1a0
	ds_bpermute_b32 v1, v17, v1
	s_and_saveexec_b32 s13, s1
	s_cbranch_execz .LBB176_21
; %bb.18:
	v_lshl_add_u32 v19, v0, 2, 0x1a0
	v_mov_b32_e32 v18, 0
	v_mov_b32_e32 v20, v0
	s_mov_b32 s28, 0
	.p2align	6
.LBB176_19:                             ; =>This Inner Loop Header: Depth=1
	ds_load_b32 v21, v19
	v_add_nc_u32_e32 v20, 0x80, v20
	s_delay_alu instid0(VALU_DEP_1) | instskip(NEXT) | instid1(VALU_DEP_1)
	v_cmp_le_i32_e64 s3, s7, v20
	s_or_b32 s28, s3, s28
	s_waitcnt lgkmcnt(0)
	v_sub_f32_e32 v21, v21, v1
	s_delay_alu instid0(VALU_DEP_1) | instskip(NEXT) | instid1(VALU_DEP_1)
	v_mul_f32_e32 v21, 0x3fb8aa3b, v21
	v_exp_f32_e32 v21, v21
	ds_store_b32 v19, v21
	v_dual_add_f32 v18, v18, v21 :: v_dual_add_nc_u32 v19, 0x200, v19
	s_and_not1_b32 exec_lo, exec_lo, s28
	s_cbranch_execnz .LBB176_19
; %bb.20:
	s_or_b32 exec_lo, exec_lo, s28
.LBB176_21:
	s_delay_alu instid0(SALU_CYCLE_1)
	s_or_b32 exec_lo, exec_lo, s13
	ds_bpermute_b32 v3, v3, v18
	s_waitcnt lgkmcnt(0)
	v_add_f32_e32 v3, v18, v3
	ds_bpermute_b32 v4, v4, v3
	s_waitcnt lgkmcnt(0)
	v_add_f32_e32 v3, v3, v4
	;; [unrolled: 3-line block ×5, first 2 shown]
	s_and_saveexec_b32 s3, vcc_lo
	s_cbranch_execz .LBB176_23
; %bb.22:
	ds_store_b32 v8, v3 offset:400
.LBB176_23:
	s_or_b32 exec_lo, exec_lo, s3
	s_waitcnt lgkmcnt(0)
	s_barrier
	buffer_gl0_inv
	s_and_saveexec_b32 s3, s0
	s_cbranch_execz .LBB176_25
; %bb.24:
	ds_load_b32 v3, v11 offset:400
.LBB176_25:
	s_or_b32 exec_lo, exec_lo, s3
	s_waitcnt lgkmcnt(0)
	ds_bpermute_b32 v2, v2, v3
	s_waitcnt lgkmcnt(0)
	v_add_f32_e32 v2, v3, v2
	ds_bpermute_b32 v3, v16, v2
	s_waitcnt lgkmcnt(0)
	v_add_f32_e32 v2, v2, v3
	ds_bpermute_b32 v2, v17, v2
	s_and_saveexec_b32 s0, s1
	s_cbranch_execz .LBB176_28
; %bb.26:
	s_waitcnt lgkmcnt(0)
	v_add_f32_e32 v3, 0x358637bd, v2
	s_mov_b32 s1, 0
	s_delay_alu instid0(VALU_DEP_1) | instskip(SKIP_1) | instid1(VALU_DEP_2)
	v_div_scale_f32 v4, null, v3, v3, 1.0
	v_div_scale_f32 v11, vcc_lo, 1.0, v3, 1.0
	v_rcp_f32_e32 v7, v4
	s_waitcnt_depctr 0xfff
	v_fma_f32 v8, -v4, v7, 1.0
	s_delay_alu instid0(VALU_DEP_1) | instskip(NEXT) | instid1(VALU_DEP_1)
	v_fmac_f32_e32 v7, v8, v7
	v_mul_f32_e32 v8, v11, v7
	s_delay_alu instid0(VALU_DEP_1) | instskip(NEXT) | instid1(VALU_DEP_1)
	v_fma_f32 v17, -v4, v8, v11
	v_fmac_f32_e32 v8, v17, v7
	s_delay_alu instid0(VALU_DEP_1) | instskip(NEXT) | instid1(VALU_DEP_1)
	v_fma_f32 v4, -v4, v8, v11
	v_div_fmas_f32 v4, v4, v7, v8
	s_delay_alu instid0(VALU_DEP_1)
	v_div_fixup_f32 v3, v4, v3, 1.0
	v_mov_b32_e32 v4, v0
.LBB176_27:                             ; =>This Inner Loop Header: Depth=1
	ds_load_b32 v7, v6
	s_waitcnt lgkmcnt(0)
	v_dual_mul_f32 v7, v3, v7 :: v_dual_add_nc_u32 v4, 0x80, v4
	s_delay_alu instid0(VALU_DEP_1) | instskip(SKIP_3) | instid1(SALU_CYCLE_1)
	v_cmp_le_i32_e32 vcc_lo, s7, v4
	ds_store_b32 v6, v7
	v_add_nc_u32_e32 v6, 0x200, v6
	s_or_b32 s1, vcc_lo, s1
	s_and_not1_b32 exec_lo, exec_lo, s1
	s_cbranch_execnz .LBB176_27
.LBB176_28:
	s_or_b32 exec_lo, exec_lo, s0
	s_delay_alu instid0(SALU_CYCLE_1)
	s_mov_b32 s0, exec_lo
	s_waitcnt lgkmcnt(0)
	s_barrier
	buffer_gl0_inv
	v_cmpx_eq_u32_e32 0, v0
	s_cbranch_execz .LBB176_30
; %bb.29:
	s_mul_i32 s1, s4, s14
	s_mul_i32 s34, s4, s20
	;; [unrolled: 1-line block ×3, first 2 shown]
	v_mov_b32_e32 v3, 0
	s_ashr_i32 s29, s28, 31
	s_delay_alu instid0(SALU_CYCLE_1) | instskip(NEXT) | instid1(SALU_CYCLE_1)
	s_lshl_b64 s[28:29], s[28:29], 2
	s_add_u32 s1, s10, s28
	s_addc_u32 s3, s11, s29
	s_ashr_i32 s35, s34, 31
	s_delay_alu instid0(SALU_CYCLE_1) | instskip(NEXT) | instid1(SALU_CYCLE_1)
	s_lshl_b64 s[10:11], s[34:35], 2
	s_add_u32 s1, s1, s10
	s_addc_u32 s3, s3, s11
	;; [unrolled: 5-line block ×3, first 2 shown]
	s_add_u32 s1, s8, s28
	s_addc_u32 s3, s9, s29
	s_add_u32 s1, s1, s10
	s_addc_u32 s3, s3, s11
	;; [unrolled: 2-line block ×3, first 2 shown]
	s_clause 0x1
	global_store_b32 v3, v1, s[36:37]
	global_store_b32 v3, v2, s[8:9]
.LBB176_30:
	s_or_b32 exec_lo, exec_lo, s0
	v_dual_mov_b32 v27, 0 :: v_dual_mov_b32 v28, 0
	v_dual_mov_b32 v26, 0 :: v_dual_mov_b32 v25, 0
	;; [unrolled: 1-line block ×6, first 2 shown]
	s_and_saveexec_b32 s1, s2
	s_cbranch_execz .LBB176_474
; %bb.31:
	v_dual_mov_b32 v20, 0 :: v_dual_and_b32 v3, 0xf8, v5
	v_and_b32_e32 v1, 8, v5
	v_dual_mov_b32 v17, 0 :: v_dual_lshlrev_b32 v2, 5, v13
	v_lshl_add_u32 v5, v14, 4, s31
	s_delay_alu instid0(VALU_DEP_4)
	v_or_b32_e32 v18, 0xb00, v3
	s_ashr_i32 s7, s6, 31
	v_or_b32_e32 v4, 0x800, v3
	s_lshl_b64 s[2:3], s[6:7], 1
	v_lshl_or_b32 v8, v14, 6, v2
	v_dual_mov_b32 v26, 0 :: v_dual_lshlrev_b32 v35, 1, v18
	v_mov_b32_e32 v18, 0
	v_add3_u32 v29, v5, v1, 7
	v_lshlrev_b64 v[1:2], 2, v[9:10]
	s_add_u32 s2, s26, s2
	s_addc_u32 s3, s27, s3
	s_lshl_b64 s[8:9], s[24:25], 2
	s_add_i32 s6, s21, -1
	v_or_b32_e32 v6, 0x900, v3
	v_or_b32_e32 v7, 0xa00, v3
	s_add_u32 s0, s22, s8
	s_addc_u32 s7, s23, s9
	v_add_co_u32 v10, vcc_lo, s0, v1
	v_dual_mov_b32 v19, 0 :: v_dual_add_nc_u32 v30, 0x1a0, v8
	v_add_co_ci_u32_e32 v11, vcc_lo, s7, v2, vcc_lo
	v_dual_mov_b32 v22, 0 :: v_dual_lshlrev_b32 v31, 1, v3
	v_dual_mov_b32 v21, 0 :: v_dual_lshlrev_b32 v32, 1, v4
	;; [unrolled: 1-line block ×4, first 2 shown]
	v_dual_mov_b32 v25, 0 :: v_dual_mov_b32 v28, 0
	v_mov_b32_e32 v27, 0
	s_mov_b32 s7, s5
	s_mov_b32 s5, 0
	s_branch .LBB176_33
.LBB176_32:                             ;   in Loop: Header=BB176_33 Depth=1
	s_or_b32 exec_lo, exec_lo, s0
	v_and_b32_e32 v54, 0xffff0000, v134
	v_and_b32_e32 v56, 0xffff0000, v133
	;; [unrolled: 1-line block ×5, first 2 shown]
	s_delay_alu instid0(VALU_DEP_4)
	v_dual_add_f32 v54, v56, v54 :: v_dual_and_b32 v61, 0xffff0000, v115
	v_and_b32_e32 v50, 0xffff0000, v130
	v_and_b32_e32 v52, 0xffff0000, v129
	;; [unrolled: 1-line block ×5, first 2 shown]
	s_delay_alu instid0(VALU_DEP_4) | instskip(NEXT) | instid1(VALU_DEP_4)
	v_dual_add_f32 v50, v52, v50 :: v_dual_and_b32 v43, 0xffff0000, v43
	v_dual_add_f32 v49, v53, v49 :: v_dual_and_b32 v52, 0xffff0000, v135
	v_and_b32_e32 v42, 0xffff0000, v42
	v_and_b32_e32 v44, 0xffff0000, v44
	;; [unrolled: 1-line block ×3, first 2 shown]
	s_delay_alu instid0(VALU_DEP_4) | instskip(NEXT) | instid1(VALU_DEP_4)
	v_dual_add_f32 v49, v50, v49 :: v_dual_and_b32 v36, 0xffff0000, v36
	v_add_f32_e32 v42, v42, v43
	v_and_b32_e32 v8, 0xffff0000, v8
	v_and_b32_e32 v2, 0xffff0000, v2
	s_delay_alu instid0(VALU_DEP_4)
	v_add_f32_e32 v49, v49, v54
	v_and_b32_e32 v54, 0xffff0000, v122
	v_and_b32_e32 v53, 0xffff0000, v136
	;; [unrolled: 1-line block ×5, first 2 shown]
	v_add_f32_e32 v54, v57, v54
	v_dual_add_f32 v52, v52, v53 :: v_dual_and_b32 v53, 0xffff0000, v124
	v_dual_add_f32 v5, v5, v6 :: v_dual_and_b32 v60, 0xffff0000, v113
	v_and_b32_e32 v45, 0xffff0000, v45
	s_delay_alu instid0(VALU_DEP_3) | instskip(NEXT) | instid1(VALU_DEP_4)
	v_dual_add_f32 v49, v49, v52 :: v_dual_and_b32 v52, 0xffff0000, v127
	v_dual_add_f32 v53, v58, v53 :: v_dual_and_b32 v58, 0xffff0000, v114
	v_and_b32_e32 v59, 0xffff0000, v128
	v_and_b32_e32 v50, 0xffff0000, v126
	s_delay_alu instid0(VALU_DEP_4) | instskip(NEXT) | instid1(VALU_DEP_4)
	v_add_f32_e32 v18, v18, v49
	v_dual_add_f32 v53, v54, v53 :: v_dual_and_b32 v54, 0xffff0000, v118
	s_delay_alu instid0(VALU_DEP_4)
	v_add_f32_e32 v52, v52, v59
	v_and_b32_e32 v56, 0xffff0000, v125
	v_and_b32_e32 v59, 0xffff0000, v77
	;; [unrolled: 1-line block ×4, first 2 shown]
	v_add_co_u32 v10, s0, v10, 16
	v_dual_add_f32 v50, v56, v50 :: v_dual_and_b32 v57, 0xffff0000, v116
	v_add_f32_e32 v56, v60, v58
	v_and_b32_e32 v58, 0xffff0000, v117
	v_add_nc_u32_e32 v30, 0x100, v30
	s_delay_alu instid0(VALU_DEP_4) | instskip(SKIP_1) | instid1(VALU_DEP_4)
	v_add_f32_e32 v50, v53, v50
	v_add_f32_e32 v57, v61, v57
	v_dual_add_f32 v54, v58, v54 :: v_dual_and_b32 v53, 0xffff0000, v119
	v_and_b32_e32 v58, 0xffff0000, v75
	v_add_co_ci_u32_e64 v11, s0, 0, v11, s0
	s_delay_alu instid0(VALU_DEP_4) | instskip(SKIP_2) | instid1(VALU_DEP_3)
	v_dual_add_f32 v56, v56, v57 :: v_dual_and_b32 v57, 0xffff0000, v120
	v_add_f32_e32 v49, v50, v52
	v_dual_add_f32 v7, v7, v8 :: v_dual_add_f32 v8, v36, v37
	v_add_f32_e32 v50, v56, v54
	s_delay_alu instid0(VALU_DEP_4) | instskip(NEXT) | instid1(VALU_DEP_4)
	v_dual_add_f32 v52, v53, v57 :: v_dual_and_b32 v53, 0xffff0000, v108
	v_dual_add_f32 v19, v19, v49 :: v_dual_and_b32 v54, 0xffff0000, v107
	v_and_b32_e32 v56, 0xffff0000, v101
	v_and_b32_e32 v57, 0xffff0000, v93
	v_and_b32_e32 v36, 0xffff0000, v47
	s_delay_alu instid0(VALU_DEP_4) | instskip(SKIP_1) | instid1(VALU_DEP_2)
	v_dual_add_f32 v6, v54, v53 :: v_dual_and_b32 v53, 0xffff0000, v112
	v_dual_add_f32 v49, v50, v52 :: v_dual_and_b32 v50, 0xffff0000, v110
	;; [unrolled: 1-line block ×3, first 2 shown]
	v_and_b32_e32 v1, 0xffff0000, v1
	s_delay_alu instid0(VALU_DEP_3) | instskip(NEXT) | instid1(VALU_DEP_3)
	v_dual_add_f32 v20, v20, v49 :: v_dual_and_b32 v49, 0xffff0000, v111
	v_add_f32_e32 v6, v52, v50
	v_and_b32_e32 v52, 0xffff0000, v100
	v_and_b32_e32 v51, 0xffff0000, v51
	v_dual_add_f32 v7, v7, v8 :: v_dual_add_f32 v8, v38, v39
	s_delay_alu instid0(VALU_DEP_4)
	v_add_f32_e32 v5, v5, v6
	v_dual_add_f32 v6, v49, v53 :: v_dual_and_b32 v49, 0xffff0000, v104
	v_and_b32_e32 v53, 0xffff0000, v103
	v_add_f32_e32 v43, v44, v51
	v_dual_add_f32 v7, v7, v8 :: v_dual_and_b32 v44, 0xffff0000, v55
	v_add_f32_e32 v1, v1, v45
	s_delay_alu instid0(VALU_DEP_4)
	v_add_f32_e32 v49, v53, v49
	v_and_b32_e32 v53, 0xffff0000, v92
	v_add_f32_e32 v5, v5, v6
	v_and_b32_e32 v50, 0xffff0000, v102
	v_and_b32_e32 v6, 0xffff0000, v105
	;; [unrolled: 1-line block ×4, first 2 shown]
	s_delay_alu instid0(VALU_DEP_4) | instskip(SKIP_2) | instid1(VALU_DEP_4)
	v_dual_add_f32 v21, v21, v5 :: v_dual_add_f32 v50, v56, v50
	v_and_b32_e32 v56, 0xffff0000, v91
	v_add_nc_u32_e32 v9, 4, v9
	v_dual_add_f32 v8, v40, v41 :: v_dual_and_b32 v3, 0xffff0000, v3
	v_add_nc_u32_e32 v29, 64, v29
	s_delay_alu instid0(VALU_DEP_4) | instskip(SKIP_2) | instid1(VALU_DEP_3)
	v_dual_add_f32 v53, v56, v53 :: v_dual_and_b32 v54, 0xffff0000, v99
	v_and_b32_e32 v56, 0xffff0000, v85
	v_cmp_le_i32_e32 vcc_lo, s17, v9
	v_add_f32_e32 v52, v54, v52
	v_and_b32_e32 v54, 0xffff0000, v106
	s_or_b32 s5, vcc_lo, s5
	s_delay_alu instid0(VALU_DEP_2) | instskip(NEXT) | instid1(VALU_DEP_2)
	v_add_f32_e32 v50, v52, v50
	v_add_f32_e32 v6, v6, v54
	v_and_b32_e32 v52, 0xffff0000, v94
	s_delay_alu instid0(VALU_DEP_3) | instskip(SKIP_1) | instid1(VALU_DEP_3)
	v_dual_add_f32 v49, v50, v49 :: v_dual_and_b32 v54, 0xffff0000, v95
	v_and_b32_e32 v50, 0xffff0000, v96
	v_dual_add_f32 v52, v57, v52 :: v_dual_and_b32 v57, 0xffff0000, v98
	s_delay_alu instid0(VALU_DEP_3) | instskip(NEXT) | instid1(VALU_DEP_2)
	v_dual_add_f32 v5, v49, v6 :: v_dual_and_b32 v6, 0xffff0000, v97
	v_dual_add_f32 v49, v53, v52 :: v_dual_add_f32 v50, v54, v50
	v_and_b32_e32 v52, 0xffff0000, v86
	s_delay_alu instid0(VALU_DEP_3) | instskip(NEXT) | instid1(VALU_DEP_3)
	v_dual_add_f32 v22, v22, v5 :: v_dual_and_b32 v53, 0xffff0000, v84
	v_dual_add_f32 v49, v49, v50 :: v_dual_and_b32 v54, 0xffff0000, v83
	v_and_b32_e32 v50, 0xffff0000, v88
	s_delay_alu instid0(VALU_DEP_4) | instskip(SKIP_1) | instid1(VALU_DEP_4)
	v_add_f32_e32 v52, v56, v52
	v_add_f32_e32 v6, v6, v57
	v_dual_add_f32 v53, v54, v53 :: v_dual_and_b32 v54, 0xffff0000, v87
	v_and_b32_e32 v56, 0xffff0000, v89
	s_delay_alu instid0(VALU_DEP_2) | instskip(NEXT) | instid1(VALU_DEP_3)
	v_dual_add_f32 v52, v53, v52 :: v_dual_and_b32 v57, 0xffff0000, v90
	v_add_f32_e32 v50, v54, v50
	v_and_b32_e32 v53, 0xffff0000, v78
	v_and_b32_e32 v54, 0xffff0000, v76
	v_add_f32_e32 v6, v49, v6
	s_delay_alu instid0(VALU_DEP_4) | instskip(SKIP_4) | instid1(VALU_DEP_4)
	v_add_f32_e32 v50, v52, v50
	v_add_f32_e32 v52, v56, v57
	v_and_b32_e32 v56, 0xffff0000, v80
	v_dual_add_f32 v54, v58, v54 :: v_dual_and_b32 v57, 0xffff0000, v79
	v_add_f32_e32 v53, v59, v53
	v_add_f32_e32 v49, v50, v52
	s_delay_alu instid0(VALU_DEP_3) | instskip(SKIP_1) | instid1(VALU_DEP_4)
	v_dual_add_f32 v23, v23, v6 :: v_dual_add_f32 v50, v57, v56
	v_and_b32_e32 v6, 0xffff0000, v81
	v_add_f32_e32 v5, v54, v53
	s_delay_alu instid0(VALU_DEP_4) | instskip(SKIP_2) | instid1(VALU_DEP_4)
	v_dual_add_f32 v24, v24, v49 :: v_dual_and_b32 v49, 0xffff0000, v82
	v_and_b32_e32 v52, 0xffff0000, v68
	v_and_b32_e32 v53, 0xffff0000, v67
	v_dual_add_f32 v5, v5, v50 :: v_dual_and_b32 v54, 0xffff0000, v69
	s_delay_alu instid0(VALU_DEP_4) | instskip(NEXT) | instid1(VALU_DEP_3)
	v_dual_add_f32 v6, v6, v49 :: v_dual_and_b32 v49, 0xffff0000, v72
	v_dual_add_f32 v52, v53, v52 :: v_dual_and_b32 v53, 0xffff0000, v73
	s_delay_alu instid0(VALU_DEP_2) | instskip(NEXT) | instid1(VALU_DEP_1)
	v_dual_add_f32 v5, v5, v6 :: v_dual_add_f32 v6, v42, v43
	v_add_f32_e32 v25, v25, v5
	v_dual_add_f32 v5, v7, v8 :: v_dual_and_b32 v50, 0xffff0000, v70
	s_delay_alu instid0(VALU_DEP_1) | instskip(NEXT) | instid1(VALU_DEP_1)
	v_dual_add_f32 v27, v27, v5 :: v_dual_add_f32 v50, v54, v50
	v_add_f32_e32 v50, v52, v50
	v_and_b32_e32 v52, 0xffff0000, v64
	s_delay_alu instid0(VALU_DEP_1) | instskip(SKIP_1) | instid1(VALU_DEP_2)
	v_add_f32_e32 v42, v44, v52
	v_add_f32_e32 v44, v53, v51
	;; [unrolled: 1-line block ×3, first 2 shown]
	v_and_b32_e32 v42, 0xffff0000, v46
	s_delay_alu instid0(VALU_DEP_1) | instskip(NEXT) | instid1(VALU_DEP_1)
	v_add_f32_e32 v2, v2, v42
	v_dual_add_f32 v1, v1, v2 :: v_dual_add_f32 v2, v3, v36
	v_and_b32_e32 v3, 0xffff0000, v48
	s_delay_alu instid0(VALU_DEP_1) | instskip(NEXT) | instid1(VALU_DEP_1)
	v_dual_add_f32 v1, v1, v2 :: v_dual_add_f32 v2, v4, v3
	v_dual_add_f32 v1, v1, v2 :: v_dual_and_b32 v56, 0xffff0000, v71
	s_delay_alu instid0(VALU_DEP_1) | instskip(NEXT) | instid1(VALU_DEP_2)
	v_add_f32_e32 v17, v17, v1
	v_add_f32_e32 v49, v56, v49
	s_delay_alu instid0(VALU_DEP_1) | instskip(SKIP_1) | instid1(VALU_DEP_2)
	v_add_f32_e32 v43, v50, v49
	v_and_b32_e32 v49, 0xffff0000, v65
	v_dual_add_f32 v3, v43, v44 :: v_dual_and_b32 v50, 0xffff0000, v66
	s_delay_alu instid0(VALU_DEP_1) | instskip(NEXT) | instid1(VALU_DEP_2)
	v_add_f32_e32 v36, v49, v50
	v_add_f32_e32 v26, v26, v3
	s_delay_alu instid0(VALU_DEP_2) | instskip(NEXT) | instid1(VALU_DEP_1)
	v_add_f32_e32 v4, v6, v36
	v_add_f32_e32 v28, v28, v4
	s_and_not1_b32 exec_lo, exec_lo, s5
	s_cbranch_execz .LBB176_473
.LBB176_33:                             ; =>This Inner Loop Header: Depth=1
	global_load_b32 v44, v[10:11], off
	ds_load_2addr_b64 v[5:8], v30 offset1:1
	ds_load_2addr_b64 v[1:4], v30 offset0:2 offset1:3
	s_mov_b32 s0, exec_lo
                                        ; implicit-def: $vgpr43
	s_waitcnt lgkmcnt(1)
	v_and_b32_e32 v36, 0x7f800000, v5
	s_delay_alu instid0(VALU_DEP_1)
	v_cmpx_ne_u32_e32 0x7f800000, v36
	s_xor_b32 s0, exec_lo, s0
; %bb.34:                               ;   in Loop: Header=BB176_33 Depth=1
	v_bfe_u32 v36, v5, 16, 1
	s_delay_alu instid0(VALU_DEP_1)
	v_add3_u32 v43, v5, v36, 0x7fff
; %bb.35:                               ;   in Loop: Header=BB176_33 Depth=1
	s_and_not1_saveexec_b32 s0, s0
; %bb.36:                               ;   in Loop: Header=BB176_33 Depth=1
	v_and_b32_e32 v36, 0xffff, v5
	v_or_b32_e32 v37, 0x10000, v5
	s_delay_alu instid0(VALU_DEP_2) | instskip(NEXT) | instid1(VALU_DEP_2)
	v_cmp_eq_u32_e32 vcc_lo, 0, v36
	v_cndmask_b32_e32 v43, v37, v5, vcc_lo
; %bb.37:                               ;   in Loop: Header=BB176_33 Depth=1
	s_or_b32 exec_lo, exec_lo, s0
	v_and_b32_e32 v5, 0x7f800000, v6
	s_mov_b32 s0, exec_lo
                                        ; implicit-def: $vgpr42
	s_delay_alu instid0(VALU_DEP_1)
	v_cmpx_ne_u32_e32 0x7f800000, v5
	s_xor_b32 s0, exec_lo, s0
; %bb.38:                               ;   in Loop: Header=BB176_33 Depth=1
	v_bfe_u32 v5, v6, 16, 1
	s_delay_alu instid0(VALU_DEP_1)
	v_add3_u32 v42, v6, v5, 0x7fff
; %bb.39:                               ;   in Loop: Header=BB176_33 Depth=1
	s_and_not1_saveexec_b32 s0, s0
; %bb.40:                               ;   in Loop: Header=BB176_33 Depth=1
	v_and_b32_e32 v5, 0xffff, v6
	v_or_b32_e32 v36, 0x10000, v6
	s_delay_alu instid0(VALU_DEP_2) | instskip(NEXT) | instid1(VALU_DEP_2)
	v_cmp_eq_u32_e32 vcc_lo, 0, v5
	v_cndmask_b32_e32 v42, v36, v6, vcc_lo
; %bb.41:                               ;   in Loop: Header=BB176_33 Depth=1
	s_or_b32 exec_lo, exec_lo, s0
	v_and_b32_e32 v5, 0x7f800000, v7
	s_mov_b32 s0, exec_lo
                                        ; implicit-def: $vgpr36
	s_delay_alu instid0(VALU_DEP_1)
	v_cmpx_ne_u32_e32 0x7f800000, v5
	s_xor_b32 s0, exec_lo, s0
; %bb.42:                               ;   in Loop: Header=BB176_33 Depth=1
	v_bfe_u32 v5, v7, 16, 1
	s_delay_alu instid0(VALU_DEP_1)
	v_add3_u32 v36, v7, v5, 0x7fff
; %bb.43:                               ;   in Loop: Header=BB176_33 Depth=1
	s_and_not1_saveexec_b32 s0, s0
; %bb.44:                               ;   in Loop: Header=BB176_33 Depth=1
	v_and_b32_e32 v5, 0xffff, v7
	v_or_b32_e32 v6, 0x10000, v7
	s_delay_alu instid0(VALU_DEP_2) | instskip(NEXT) | instid1(VALU_DEP_2)
	v_cmp_eq_u32_e32 vcc_lo, 0, v5
	v_cndmask_b32_e32 v36, v6, v7, vcc_lo
; %bb.45:                               ;   in Loop: Header=BB176_33 Depth=1
	s_or_b32 exec_lo, exec_lo, s0
	v_and_b32_e32 v5, 0x7f800000, v8
	s_mov_b32 s0, exec_lo
                                        ; implicit-def: $vgpr37
	s_delay_alu instid0(VALU_DEP_1)
	v_cmpx_ne_u32_e32 0x7f800000, v5
	s_xor_b32 s0, exec_lo, s0
; %bb.46:                               ;   in Loop: Header=BB176_33 Depth=1
	v_bfe_u32 v5, v8, 16, 1
	s_delay_alu instid0(VALU_DEP_1)
	v_add3_u32 v37, v8, v5, 0x7fff
                                        ; implicit-def: $vgpr5_vgpr6_vgpr7_vgpr8
; %bb.47:                               ;   in Loop: Header=BB176_33 Depth=1
	s_and_not1_saveexec_b32 s0, s0
; %bb.48:                               ;   in Loop: Header=BB176_33 Depth=1
	v_and_b32_e32 v5, 0xffff, v8
	v_or_b32_e32 v6, 0x10000, v8
	s_delay_alu instid0(VALU_DEP_2) | instskip(NEXT) | instid1(VALU_DEP_2)
	v_cmp_eq_u32_e32 vcc_lo, 0, v5
	v_cndmask_b32_e32 v37, v6, v8, vcc_lo
; %bb.49:                               ;   in Loop: Header=BB176_33 Depth=1
	s_or_b32 exec_lo, exec_lo, s0
	s_waitcnt lgkmcnt(0)
	v_and_b32_e32 v5, 0x7f800000, v1
	s_mov_b32 s0, exec_lo
                                        ; implicit-def: $vgpr38
	s_delay_alu instid0(VALU_DEP_1)
	v_cmpx_ne_u32_e32 0x7f800000, v5
	s_xor_b32 s0, exec_lo, s0
; %bb.50:                               ;   in Loop: Header=BB176_33 Depth=1
	v_bfe_u32 v5, v1, 16, 1
	s_delay_alu instid0(VALU_DEP_1)
	v_add3_u32 v38, v1, v5, 0x7fff
; %bb.51:                               ;   in Loop: Header=BB176_33 Depth=1
	s_and_not1_saveexec_b32 s0, s0
; %bb.52:                               ;   in Loop: Header=BB176_33 Depth=1
	v_and_b32_e32 v5, 0xffff, v1
	v_or_b32_e32 v6, 0x10000, v1
	s_delay_alu instid0(VALU_DEP_2) | instskip(NEXT) | instid1(VALU_DEP_2)
	v_cmp_eq_u32_e32 vcc_lo, 0, v5
	v_cndmask_b32_e32 v38, v6, v1, vcc_lo
; %bb.53:                               ;   in Loop: Header=BB176_33 Depth=1
	s_or_b32 exec_lo, exec_lo, s0
	v_and_b32_e32 v1, 0x7f800000, v2
	s_mov_b32 s0, exec_lo
                                        ; implicit-def: $vgpr39
	s_delay_alu instid0(VALU_DEP_1)
	v_cmpx_ne_u32_e32 0x7f800000, v1
	s_xor_b32 s0, exec_lo, s0
; %bb.54:                               ;   in Loop: Header=BB176_33 Depth=1
	v_bfe_u32 v1, v2, 16, 1
	s_delay_alu instid0(VALU_DEP_1)
	v_add3_u32 v39, v2, v1, 0x7fff
; %bb.55:                               ;   in Loop: Header=BB176_33 Depth=1
	s_and_not1_saveexec_b32 s0, s0
; %bb.56:                               ;   in Loop: Header=BB176_33 Depth=1
	v_and_b32_e32 v1, 0xffff, v2
	v_or_b32_e32 v5, 0x10000, v2
	s_delay_alu instid0(VALU_DEP_2) | instskip(NEXT) | instid1(VALU_DEP_2)
	v_cmp_eq_u32_e32 vcc_lo, 0, v1
	v_cndmask_b32_e32 v39, v5, v2, vcc_lo
; %bb.57:                               ;   in Loop: Header=BB176_33 Depth=1
	s_or_b32 exec_lo, exec_lo, s0
	v_and_b32_e32 v1, 0x7f800000, v3
	s_mov_b32 s0, exec_lo
                                        ; implicit-def: $vgpr40
	s_delay_alu instid0(VALU_DEP_1)
	v_cmpx_ne_u32_e32 0x7f800000, v1
	s_xor_b32 s0, exec_lo, s0
; %bb.58:                               ;   in Loop: Header=BB176_33 Depth=1
	v_bfe_u32 v1, v3, 16, 1
	s_delay_alu instid0(VALU_DEP_1)
	v_add3_u32 v40, v3, v1, 0x7fff
; %bb.59:                               ;   in Loop: Header=BB176_33 Depth=1
	s_and_not1_saveexec_b32 s0, s0
; %bb.60:                               ;   in Loop: Header=BB176_33 Depth=1
	v_and_b32_e32 v1, 0xffff, v3
	v_or_b32_e32 v2, 0x10000, v3
	s_delay_alu instid0(VALU_DEP_2) | instskip(NEXT) | instid1(VALU_DEP_2)
	v_cmp_eq_u32_e32 vcc_lo, 0, v1
	v_cndmask_b32_e32 v40, v2, v3, vcc_lo
; %bb.61:                               ;   in Loop: Header=BB176_33 Depth=1
	s_or_b32 exec_lo, exec_lo, s0
	v_and_b32_e32 v1, 0x7f800000, v4
	s_mov_b32 s0, exec_lo
                                        ; implicit-def: $vgpr41
	s_delay_alu instid0(VALU_DEP_1)
	v_cmpx_ne_u32_e32 0x7f800000, v1
	s_xor_b32 s0, exec_lo, s0
; %bb.62:                               ;   in Loop: Header=BB176_33 Depth=1
	v_bfe_u32 v1, v4, 16, 1
	s_delay_alu instid0(VALU_DEP_1)
	v_add3_u32 v41, v4, v1, 0x7fff
                                        ; implicit-def: $vgpr1_vgpr2_vgpr3_vgpr4
; %bb.63:                               ;   in Loop: Header=BB176_33 Depth=1
	s_and_not1_saveexec_b32 s0, s0
; %bb.64:                               ;   in Loop: Header=BB176_33 Depth=1
	v_and_b32_e32 v1, 0xffff, v4
	v_or_b32_e32 v2, 0x10000, v4
	s_delay_alu instid0(VALU_DEP_2) | instskip(NEXT) | instid1(VALU_DEP_2)
	v_cmp_eq_u32_e32 vcc_lo, 0, v1
	v_cndmask_b32_e32 v41, v2, v4, vcc_lo
; %bb.65:                               ;   in Loop: Header=BB176_33 Depth=1
	s_or_b32 exec_lo, exec_lo, s0
	s_waitcnt vmcnt(0)
	v_mad_i64_i32 v[1:2], null, v44, s7, 0
	v_add_nc_u32_e32 v45, -7, v29
	v_add_nc_u32_e32 v52, -6, v29
	;; [unrolled: 1-line block ×6, first 2 shown]
	v_lshlrev_b64 v[1:2], 1, v[1:2]
	v_add_nc_u32_e32 v50, -1, v29
	s_delay_alu instid0(VALU_DEP_2) | instskip(NEXT) | instid1(VALU_DEP_3)
	v_add_co_u32 v53, vcc_lo, s2, v1
	v_add_co_ci_u32_e32 v54, vcc_lo, s3, v2, vcc_lo
	s_delay_alu instid0(VALU_DEP_2) | instskip(NEXT) | instid1(VALU_DEP_2)
	v_add_co_u32 v5, vcc_lo, v53, v31
	v_add_co_ci_u32_e32 v6, vcc_lo, 0, v54, vcc_lo
	v_cmp_eq_u32_e32 vcc_lo, s6, v9
	global_load_b128 v[1:4], v[5:6], off
	s_waitcnt vmcnt(0)
	v_lshrrev_b32_e32 v8, 16, v1
	v_lshrrev_b32_e32 v55, 16, v2
	;; [unrolled: 1-line block ×4, first 2 shown]
	s_and_saveexec_b32 s8, vcc_lo
	s_cbranch_execz .LBB176_67
; %bb.66:                               ;   in Loop: Header=BB176_33 Depth=1
	v_cmp_gt_i32_e64 s0, s30, v45
	s_delay_alu instid0(VALU_DEP_1) | instskip(SKIP_1) | instid1(VALU_DEP_1)
	v_cndmask_b32_e64 v1, 0, v1, s0
	v_cmp_gt_i32_e64 s0, s30, v52
	v_cndmask_b32_e64 v8, 0, v8, s0
	v_cmp_gt_i32_e64 s0, s30, v49
	s_delay_alu instid0(VALU_DEP_1) | instskip(SKIP_1) | instid1(VALU_DEP_1)
	v_cndmask_b32_e64 v2, 0, v2, s0
	v_cmp_gt_i32_e64 s0, s30, v48
	v_cndmask_b32_e64 v55, 0, v55, s0
	;; [unrolled: 5-line block ×4, first 2 shown]
.LBB176_67:                             ;   in Loop: Header=BB176_33 Depth=1
	s_or_b32 exec_lo, exec_lo, s8
	v_and_b32_e32 v56, 0xffff0000, v43
	v_lshlrev_b32_e32 v1, 16, v1
	s_delay_alu instid0(VALU_DEP_1) | instskip(NEXT) | instid1(VALU_DEP_1)
	v_mul_f32_e32 v1, v56, v1
	v_and_b32_e32 v7, 0x7f800000, v1
	s_delay_alu instid0(VALU_DEP_1) | instskip(NEXT) | instid1(VALU_DEP_1)
	v_cmp_ne_u32_e64 s0, 0x7f800000, v7
                                        ; implicit-def: $vgpr7
	s_and_saveexec_b32 s8, s0
	s_delay_alu instid0(SALU_CYCLE_1)
	s_xor_b32 s0, exec_lo, s8
; %bb.68:                               ;   in Loop: Header=BB176_33 Depth=1
	v_bfe_u32 v7, v1, 16, 1
	s_delay_alu instid0(VALU_DEP_1)
	v_add3_u32 v7, v1, v7, 0x7fff
                                        ; implicit-def: $vgpr1
; %bb.69:                               ;   in Loop: Header=BB176_33 Depth=1
	s_and_not1_saveexec_b32 s8, s0
; %bb.70:                               ;   in Loop: Header=BB176_33 Depth=1
	v_and_b32_e32 v7, 0xffff, v1
	v_or_b32_e32 v43, 0x10000, v1
	s_delay_alu instid0(VALU_DEP_2) | instskip(NEXT) | instid1(VALU_DEP_1)
	v_cmp_eq_u32_e64 s0, 0, v7
	v_cndmask_b32_e64 v7, v43, v1, s0
; %bb.71:                               ;   in Loop: Header=BB176_33 Depth=1
	s_or_b32 exec_lo, exec_lo, s8
	v_and_b32_e32 v57, 0xffff0000, v42
	v_lshlrev_b32_e32 v1, 16, v8
	s_delay_alu instid0(VALU_DEP_1) | instskip(NEXT) | instid1(VALU_DEP_1)
	v_mul_f32_e32 v1, v57, v1
	v_and_b32_e32 v8, 0x7f800000, v1
	s_delay_alu instid0(VALU_DEP_1) | instskip(NEXT) | instid1(VALU_DEP_1)
	v_cmp_ne_u32_e64 s0, 0x7f800000, v8
                                        ; implicit-def: $vgpr8
	s_and_saveexec_b32 s8, s0
	s_delay_alu instid0(SALU_CYCLE_1)
	s_xor_b32 s0, exec_lo, s8
; %bb.72:                               ;   in Loop: Header=BB176_33 Depth=1
	v_bfe_u32 v8, v1, 16, 1
	s_delay_alu instid0(VALU_DEP_1)
	v_add3_u32 v8, v1, v8, 0x7fff
                                        ; implicit-def: $vgpr1
; %bb.73:                               ;   in Loop: Header=BB176_33 Depth=1
	s_and_not1_saveexec_b32 s8, s0
; %bb.74:                               ;   in Loop: Header=BB176_33 Depth=1
	v_and_b32_e32 v8, 0xffff, v1
	v_or_b32_e32 v42, 0x10000, v1
	s_delay_alu instid0(VALU_DEP_2) | instskip(NEXT) | instid1(VALU_DEP_1)
	v_cmp_eq_u32_e64 s0, 0, v8
	v_cndmask_b32_e64 v8, v42, v1, s0
; %bb.75:                               ;   in Loop: Header=BB176_33 Depth=1
	s_or_b32 exec_lo, exec_lo, s8
	v_and_b32_e32 v58, 0xffff0000, v36
	v_lshlrev_b32_e32 v1, 16, v2
                                        ; implicit-def: $vgpr36
	s_delay_alu instid0(VALU_DEP_1) | instskip(NEXT) | instid1(VALU_DEP_1)
	v_mul_f32_e32 v1, v58, v1
	v_and_b32_e32 v2, 0x7f800000, v1
	s_delay_alu instid0(VALU_DEP_1) | instskip(NEXT) | instid1(VALU_DEP_1)
	v_cmp_ne_u32_e64 s0, 0x7f800000, v2
	s_and_saveexec_b32 s8, s0
	s_delay_alu instid0(SALU_CYCLE_1)
	s_xor_b32 s0, exec_lo, s8
; %bb.76:                               ;   in Loop: Header=BB176_33 Depth=1
	v_bfe_u32 v2, v1, 16, 1
	s_delay_alu instid0(VALU_DEP_1)
	v_add3_u32 v36, v1, v2, 0x7fff
                                        ; implicit-def: $vgpr1
; %bb.77:                               ;   in Loop: Header=BB176_33 Depth=1
	s_and_not1_saveexec_b32 s8, s0
; %bb.78:                               ;   in Loop: Header=BB176_33 Depth=1
	v_and_b32_e32 v2, 0xffff, v1
	v_or_b32_e32 v36, 0x10000, v1
	s_delay_alu instid0(VALU_DEP_2) | instskip(NEXT) | instid1(VALU_DEP_1)
	v_cmp_eq_u32_e64 s0, 0, v2
	v_cndmask_b32_e64 v36, v36, v1, s0
; %bb.79:                               ;   in Loop: Header=BB176_33 Depth=1
	s_or_b32 exec_lo, exec_lo, s8
	v_and_b32_e32 v59, 0xffff0000, v37
	v_lshlrev_b32_e32 v1, 16, v55
                                        ; implicit-def: $vgpr37
	s_delay_alu instid0(VALU_DEP_1) | instskip(NEXT) | instid1(VALU_DEP_1)
	v_mul_f32_e32 v1, v59, v1
	v_and_b32_e32 v2, 0x7f800000, v1
	s_delay_alu instid0(VALU_DEP_1) | instskip(NEXT) | instid1(VALU_DEP_1)
	v_cmp_ne_u32_e64 s0, 0x7f800000, v2
	s_and_saveexec_b32 s8, s0
	s_delay_alu instid0(SALU_CYCLE_1)
	s_xor_b32 s0, exec_lo, s8
; %bb.80:                               ;   in Loop: Header=BB176_33 Depth=1
	v_bfe_u32 v2, v1, 16, 1
	s_delay_alu instid0(VALU_DEP_1)
	v_add3_u32 v37, v1, v2, 0x7fff
                                        ; implicit-def: $vgpr1
; %bb.81:                               ;   in Loop: Header=BB176_33 Depth=1
	s_and_not1_saveexec_b32 s8, s0
; %bb.82:                               ;   in Loop: Header=BB176_33 Depth=1
	v_and_b32_e32 v2, 0xffff, v1
	v_or_b32_e32 v37, 0x10000, v1
	s_delay_alu instid0(VALU_DEP_2) | instskip(NEXT) | instid1(VALU_DEP_1)
	v_cmp_eq_u32_e64 s0, 0, v2
	v_cndmask_b32_e64 v37, v37, v1, s0
; %bb.83:                               ;   in Loop: Header=BB176_33 Depth=1
	s_or_b32 exec_lo, exec_lo, s8
	v_and_b32_e32 v60, 0xffff0000, v38
	v_lshlrev_b32_e32 v1, 16, v3
                                        ; implicit-def: $vgpr38
	s_delay_alu instid0(VALU_DEP_1) | instskip(NEXT) | instid1(VALU_DEP_1)
	v_mul_f32_e32 v1, v60, v1
	v_and_b32_e32 v2, 0x7f800000, v1
	s_delay_alu instid0(VALU_DEP_1) | instskip(NEXT) | instid1(VALU_DEP_1)
	v_cmp_ne_u32_e64 s0, 0x7f800000, v2
	s_and_saveexec_b32 s8, s0
	s_delay_alu instid0(SALU_CYCLE_1)
	s_xor_b32 s0, exec_lo, s8
; %bb.84:                               ;   in Loop: Header=BB176_33 Depth=1
	v_bfe_u32 v2, v1, 16, 1
	s_delay_alu instid0(VALU_DEP_1)
	v_add3_u32 v38, v1, v2, 0x7fff
                                        ; implicit-def: $vgpr1
; %bb.85:                               ;   in Loop: Header=BB176_33 Depth=1
	s_and_not1_saveexec_b32 s8, s0
; %bb.86:                               ;   in Loop: Header=BB176_33 Depth=1
	v_and_b32_e32 v2, 0xffff, v1
	v_or_b32_e32 v3, 0x10000, v1
	s_delay_alu instid0(VALU_DEP_2) | instskip(NEXT) | instid1(VALU_DEP_1)
	v_cmp_eq_u32_e64 s0, 0, v2
	v_cndmask_b32_e64 v38, v3, v1, s0
; %bb.87:                               ;   in Loop: Header=BB176_33 Depth=1
	s_or_b32 exec_lo, exec_lo, s8
	v_and_b32_e32 v61, 0xffff0000, v39
	v_lshlrev_b32_e32 v1, 16, v51
                                        ; implicit-def: $vgpr39
	s_delay_alu instid0(VALU_DEP_1) | instskip(NEXT) | instid1(VALU_DEP_1)
	v_mul_f32_e32 v1, v61, v1
	v_and_b32_e32 v2, 0x7f800000, v1
	s_delay_alu instid0(VALU_DEP_1) | instskip(NEXT) | instid1(VALU_DEP_1)
	v_cmp_ne_u32_e64 s0, 0x7f800000, v2
	s_and_saveexec_b32 s8, s0
	s_delay_alu instid0(SALU_CYCLE_1)
	s_xor_b32 s0, exec_lo, s8
; %bb.88:                               ;   in Loop: Header=BB176_33 Depth=1
	v_bfe_u32 v2, v1, 16, 1
	s_delay_alu instid0(VALU_DEP_1)
	v_add3_u32 v39, v1, v2, 0x7fff
                                        ; implicit-def: $vgpr1
; %bb.89:                               ;   in Loop: Header=BB176_33 Depth=1
	s_and_not1_saveexec_b32 s8, s0
; %bb.90:                               ;   in Loop: Header=BB176_33 Depth=1
	v_and_b32_e32 v2, 0xffff, v1
	v_or_b32_e32 v3, 0x10000, v1
	s_delay_alu instid0(VALU_DEP_2) | instskip(NEXT) | instid1(VALU_DEP_1)
	v_cmp_eq_u32_e64 s0, 0, v2
	v_cndmask_b32_e64 v39, v3, v1, s0
; %bb.91:                               ;   in Loop: Header=BB176_33 Depth=1
	s_or_b32 exec_lo, exec_lo, s8
	v_and_b32_e32 v62, 0xffff0000, v40
	v_lshlrev_b32_e32 v1, 16, v4
                                        ; implicit-def: $vgpr40
	s_delay_alu instid0(VALU_DEP_1) | instskip(NEXT) | instid1(VALU_DEP_1)
	v_mul_f32_e32 v1, v62, v1
	v_and_b32_e32 v2, 0x7f800000, v1
	s_delay_alu instid0(VALU_DEP_1) | instskip(NEXT) | instid1(VALU_DEP_1)
	v_cmp_ne_u32_e64 s0, 0x7f800000, v2
	s_and_saveexec_b32 s8, s0
	s_delay_alu instid0(SALU_CYCLE_1)
	s_xor_b32 s0, exec_lo, s8
; %bb.92:                               ;   in Loop: Header=BB176_33 Depth=1
	v_bfe_u32 v2, v1, 16, 1
	s_delay_alu instid0(VALU_DEP_1)
	v_add3_u32 v40, v1, v2, 0x7fff
                                        ; implicit-def: $vgpr1
; %bb.93:                               ;   in Loop: Header=BB176_33 Depth=1
	s_and_not1_saveexec_b32 s8, s0
; %bb.94:                               ;   in Loop: Header=BB176_33 Depth=1
	v_and_b32_e32 v2, 0xffff, v1
	v_or_b32_e32 v3, 0x10000, v1
	s_delay_alu instid0(VALU_DEP_2) | instskip(NEXT) | instid1(VALU_DEP_1)
	v_cmp_eq_u32_e64 s0, 0, v2
	v_cndmask_b32_e64 v40, v3, v1, s0
; %bb.95:                               ;   in Loop: Header=BB176_33 Depth=1
	s_or_b32 exec_lo, exec_lo, s8
	v_and_b32_e32 v63, 0xffff0000, v41
	v_lshlrev_b32_e32 v1, 16, v44
                                        ; implicit-def: $vgpr41
	s_delay_alu instid0(VALU_DEP_1) | instskip(NEXT) | instid1(VALU_DEP_1)
	v_mul_f32_e32 v1, v63, v1
	v_and_b32_e32 v2, 0x7f800000, v1
	s_delay_alu instid0(VALU_DEP_1) | instskip(NEXT) | instid1(VALU_DEP_1)
	v_cmp_ne_u32_e64 s0, 0x7f800000, v2
	s_and_saveexec_b32 s8, s0
	s_delay_alu instid0(SALU_CYCLE_1)
	s_xor_b32 s0, exec_lo, s8
; %bb.96:                               ;   in Loop: Header=BB176_33 Depth=1
	v_bfe_u32 v2, v1, 16, 1
	s_delay_alu instid0(VALU_DEP_1)
	v_add3_u32 v41, v1, v2, 0x7fff
                                        ; implicit-def: $vgpr1
; %bb.97:                               ;   in Loop: Header=BB176_33 Depth=1
	s_and_not1_saveexec_b32 s8, s0
; %bb.98:                               ;   in Loop: Header=BB176_33 Depth=1
	v_and_b32_e32 v2, 0xffff, v1
	v_or_b32_e32 v3, 0x10000, v1
	s_delay_alu instid0(VALU_DEP_2) | instskip(NEXT) | instid1(VALU_DEP_1)
	v_cmp_eq_u32_e64 s0, 0, v2
	v_cndmask_b32_e64 v41, v3, v1, s0
; %bb.99:                               ;   in Loop: Header=BB176_33 Depth=1
	s_or_b32 exec_lo, exec_lo, s8
	global_load_b128 v[1:4], v[5:6], off offset:512
	s_waitcnt vmcnt(0)
	v_lshrrev_b32_e32 v43, 16, v1
	v_lshrrev_b32_e32 v51, 16, v2
	;; [unrolled: 1-line block ×4, first 2 shown]
	s_and_saveexec_b32 s8, vcc_lo
	s_cbranch_execz .LBB176_101
; %bb.100:                              ;   in Loop: Header=BB176_33 Depth=1
	v_cmp_gt_i32_e64 s0, s30, v45
	s_delay_alu instid0(VALU_DEP_1) | instskip(SKIP_1) | instid1(VALU_DEP_1)
	v_cndmask_b32_e64 v1, 0, v1, s0
	v_cmp_gt_i32_e64 s0, s30, v52
	v_cndmask_b32_e64 v43, 0, v43, s0
	v_cmp_gt_i32_e64 s0, s30, v49
	s_delay_alu instid0(VALU_DEP_1) | instskip(SKIP_1) | instid1(VALU_DEP_1)
	v_cndmask_b32_e64 v2, 0, v2, s0
	v_cmp_gt_i32_e64 s0, s30, v48
	v_cndmask_b32_e64 v51, 0, v51, s0
	;; [unrolled: 5-line block ×4, first 2 shown]
.LBB176_101:                            ;   in Loop: Header=BB176_33 Depth=1
	s_or_b32 exec_lo, exec_lo, s8
	v_lshlrev_b32_e32 v1, 16, v1
	s_delay_alu instid0(VALU_DEP_1) | instskip(NEXT) | instid1(VALU_DEP_1)
	v_mul_f32_e32 v1, v56, v1
	v_and_b32_e32 v42, 0x7f800000, v1
	s_delay_alu instid0(VALU_DEP_1) | instskip(NEXT) | instid1(VALU_DEP_1)
	v_cmp_ne_u32_e64 s0, 0x7f800000, v42
                                        ; implicit-def: $vgpr42
	s_and_saveexec_b32 s8, s0
	s_delay_alu instid0(SALU_CYCLE_1)
	s_xor_b32 s0, exec_lo, s8
; %bb.102:                              ;   in Loop: Header=BB176_33 Depth=1
	v_bfe_u32 v42, v1, 16, 1
	s_delay_alu instid0(VALU_DEP_1)
	v_add3_u32 v42, v1, v42, 0x7fff
                                        ; implicit-def: $vgpr1
; %bb.103:                              ;   in Loop: Header=BB176_33 Depth=1
	s_and_not1_saveexec_b32 s8, s0
; %bb.104:                              ;   in Loop: Header=BB176_33 Depth=1
	v_and_b32_e32 v42, 0xffff, v1
	v_or_b32_e32 v44, 0x10000, v1
	s_delay_alu instid0(VALU_DEP_2) | instskip(NEXT) | instid1(VALU_DEP_1)
	v_cmp_eq_u32_e64 s0, 0, v42
	v_cndmask_b32_e64 v42, v44, v1, s0
; %bb.105:                              ;   in Loop: Header=BB176_33 Depth=1
	s_or_b32 exec_lo, exec_lo, s8
	v_lshlrev_b32_e32 v1, 16, v43
	s_delay_alu instid0(VALU_DEP_1) | instskip(NEXT) | instid1(VALU_DEP_1)
	v_mul_f32_e32 v1, v57, v1
	v_and_b32_e32 v43, 0x7f800000, v1
	s_delay_alu instid0(VALU_DEP_1) | instskip(NEXT) | instid1(VALU_DEP_1)
	v_cmp_ne_u32_e64 s0, 0x7f800000, v43
                                        ; implicit-def: $vgpr43
	s_and_saveexec_b32 s8, s0
	s_delay_alu instid0(SALU_CYCLE_1)
	s_xor_b32 s0, exec_lo, s8
; %bb.106:                              ;   in Loop: Header=BB176_33 Depth=1
	v_bfe_u32 v43, v1, 16, 1
	s_delay_alu instid0(VALU_DEP_1)
	v_add3_u32 v43, v1, v43, 0x7fff
                                        ; implicit-def: $vgpr1
; %bb.107:                              ;   in Loop: Header=BB176_33 Depth=1
	s_and_not1_saveexec_b32 s8, s0
; %bb.108:                              ;   in Loop: Header=BB176_33 Depth=1
	v_and_b32_e32 v43, 0xffff, v1
	v_or_b32_e32 v44, 0x10000, v1
	s_delay_alu instid0(VALU_DEP_2) | instskip(NEXT) | instid1(VALU_DEP_1)
	v_cmp_eq_u32_e64 s0, 0, v43
	v_cndmask_b32_e64 v43, v44, v1, s0
; %bb.109:                              ;   in Loop: Header=BB176_33 Depth=1
	s_or_b32 exec_lo, exec_lo, s8
	v_lshlrev_b32_e32 v1, 16, v2
                                        ; implicit-def: $vgpr44
	s_delay_alu instid0(VALU_DEP_1) | instskip(NEXT) | instid1(VALU_DEP_1)
	v_mul_f32_e32 v1, v58, v1
	v_and_b32_e32 v2, 0x7f800000, v1
	s_delay_alu instid0(VALU_DEP_1) | instskip(NEXT) | instid1(VALU_DEP_1)
	v_cmp_ne_u32_e64 s0, 0x7f800000, v2
	s_and_saveexec_b32 s8, s0
	s_delay_alu instid0(SALU_CYCLE_1)
	s_xor_b32 s0, exec_lo, s8
; %bb.110:                              ;   in Loop: Header=BB176_33 Depth=1
	v_bfe_u32 v2, v1, 16, 1
	s_delay_alu instid0(VALU_DEP_1)
	v_add3_u32 v44, v1, v2, 0x7fff
                                        ; implicit-def: $vgpr1
; %bb.111:                              ;   in Loop: Header=BB176_33 Depth=1
	s_and_not1_saveexec_b32 s8, s0
; %bb.112:                              ;   in Loop: Header=BB176_33 Depth=1
	v_and_b32_e32 v2, 0xffff, v1
	v_or_b32_e32 v44, 0x10000, v1
	s_delay_alu instid0(VALU_DEP_2) | instskip(NEXT) | instid1(VALU_DEP_1)
	v_cmp_eq_u32_e64 s0, 0, v2
	v_cndmask_b32_e64 v44, v44, v1, s0
; %bb.113:                              ;   in Loop: Header=BB176_33 Depth=1
	s_or_b32 exec_lo, exec_lo, s8
	v_lshlrev_b32_e32 v1, 16, v51
                                        ; implicit-def: $vgpr51
	s_delay_alu instid0(VALU_DEP_1) | instskip(NEXT) | instid1(VALU_DEP_1)
	v_mul_f32_e32 v1, v59, v1
	v_and_b32_e32 v2, 0x7f800000, v1
	s_delay_alu instid0(VALU_DEP_1) | instskip(NEXT) | instid1(VALU_DEP_1)
	v_cmp_ne_u32_e64 s0, 0x7f800000, v2
	s_and_saveexec_b32 s8, s0
	s_delay_alu instid0(SALU_CYCLE_1)
	s_xor_b32 s0, exec_lo, s8
; %bb.114:                              ;   in Loop: Header=BB176_33 Depth=1
	v_bfe_u32 v2, v1, 16, 1
	s_delay_alu instid0(VALU_DEP_1)
	v_add3_u32 v51, v1, v2, 0x7fff
                                        ; implicit-def: $vgpr1
; %bb.115:                              ;   in Loop: Header=BB176_33 Depth=1
	s_and_not1_saveexec_b32 s8, s0
; %bb.116:                              ;   in Loop: Header=BB176_33 Depth=1
	v_and_b32_e32 v2, 0xffff, v1
	v_or_b32_e32 v51, 0x10000, v1
	s_delay_alu instid0(VALU_DEP_2) | instskip(NEXT) | instid1(VALU_DEP_1)
	v_cmp_eq_u32_e64 s0, 0, v2
	v_cndmask_b32_e64 v51, v51, v1, s0
; %bb.117:                              ;   in Loop: Header=BB176_33 Depth=1
	s_or_b32 exec_lo, exec_lo, s8
	v_lshlrev_b32_e32 v1, 16, v3
                                        ; implicit-def: $vgpr55
	s_delay_alu instid0(VALU_DEP_1) | instskip(NEXT) | instid1(VALU_DEP_1)
	v_mul_f32_e32 v1, v60, v1
	v_and_b32_e32 v2, 0x7f800000, v1
	s_delay_alu instid0(VALU_DEP_1) | instskip(NEXT) | instid1(VALU_DEP_1)
	v_cmp_ne_u32_e64 s0, 0x7f800000, v2
	s_and_saveexec_b32 s8, s0
	s_delay_alu instid0(SALU_CYCLE_1)
	s_xor_b32 s0, exec_lo, s8
; %bb.118:                              ;   in Loop: Header=BB176_33 Depth=1
	v_bfe_u32 v2, v1, 16, 1
	s_delay_alu instid0(VALU_DEP_1)
	v_add3_u32 v55, v1, v2, 0x7fff
                                        ; implicit-def: $vgpr1
; %bb.119:                              ;   in Loop: Header=BB176_33 Depth=1
	s_and_not1_saveexec_b32 s8, s0
; %bb.120:                              ;   in Loop: Header=BB176_33 Depth=1
	v_and_b32_e32 v2, 0xffff, v1
	v_or_b32_e32 v3, 0x10000, v1
	s_delay_alu instid0(VALU_DEP_2) | instskip(NEXT) | instid1(VALU_DEP_1)
	v_cmp_eq_u32_e64 s0, 0, v2
	v_cndmask_b32_e64 v55, v3, v1, s0
; %bb.121:                              ;   in Loop: Header=BB176_33 Depth=1
	s_or_b32 exec_lo, exec_lo, s8
	v_lshlrev_b32_e32 v1, 16, v64
                                        ; implicit-def: $vgpr64
	s_delay_alu instid0(VALU_DEP_1) | instskip(NEXT) | instid1(VALU_DEP_1)
	v_mul_f32_e32 v1, v61, v1
	v_and_b32_e32 v2, 0x7f800000, v1
	s_delay_alu instid0(VALU_DEP_1) | instskip(NEXT) | instid1(VALU_DEP_1)
	v_cmp_ne_u32_e64 s0, 0x7f800000, v2
	s_and_saveexec_b32 s8, s0
	s_delay_alu instid0(SALU_CYCLE_1)
	s_xor_b32 s0, exec_lo, s8
; %bb.122:                              ;   in Loop: Header=BB176_33 Depth=1
	v_bfe_u32 v2, v1, 16, 1
	s_delay_alu instid0(VALU_DEP_1)
	v_add3_u32 v64, v1, v2, 0x7fff
                                        ; implicit-def: $vgpr1
; %bb.123:                              ;   in Loop: Header=BB176_33 Depth=1
	s_and_not1_saveexec_b32 s8, s0
; %bb.124:                              ;   in Loop: Header=BB176_33 Depth=1
	v_and_b32_e32 v2, 0xffff, v1
	v_or_b32_e32 v3, 0x10000, v1
	s_delay_alu instid0(VALU_DEP_2) | instskip(NEXT) | instid1(VALU_DEP_1)
	v_cmp_eq_u32_e64 s0, 0, v2
	v_cndmask_b32_e64 v64, v3, v1, s0
; %bb.125:                              ;   in Loop: Header=BB176_33 Depth=1
	s_or_b32 exec_lo, exec_lo, s8
	v_lshlrev_b32_e32 v1, 16, v4
                                        ; implicit-def: $vgpr65
	s_delay_alu instid0(VALU_DEP_1) | instskip(NEXT) | instid1(VALU_DEP_1)
	v_mul_f32_e32 v1, v62, v1
	v_and_b32_e32 v2, 0x7f800000, v1
	s_delay_alu instid0(VALU_DEP_1) | instskip(NEXT) | instid1(VALU_DEP_1)
	v_cmp_ne_u32_e64 s0, 0x7f800000, v2
	s_and_saveexec_b32 s8, s0
	s_delay_alu instid0(SALU_CYCLE_1)
	s_xor_b32 s0, exec_lo, s8
; %bb.126:                              ;   in Loop: Header=BB176_33 Depth=1
	v_bfe_u32 v2, v1, 16, 1
	s_delay_alu instid0(VALU_DEP_1)
	v_add3_u32 v65, v1, v2, 0x7fff
                                        ; implicit-def: $vgpr1
; %bb.127:                              ;   in Loop: Header=BB176_33 Depth=1
	s_and_not1_saveexec_b32 s8, s0
; %bb.128:                              ;   in Loop: Header=BB176_33 Depth=1
	v_and_b32_e32 v2, 0xffff, v1
	v_or_b32_e32 v3, 0x10000, v1
	s_delay_alu instid0(VALU_DEP_2) | instskip(NEXT) | instid1(VALU_DEP_1)
	v_cmp_eq_u32_e64 s0, 0, v2
	v_cndmask_b32_e64 v65, v3, v1, s0
; %bb.129:                              ;   in Loop: Header=BB176_33 Depth=1
	s_or_b32 exec_lo, exec_lo, s8
	v_lshlrev_b32_e32 v1, 16, v66
                                        ; implicit-def: $vgpr66
	s_delay_alu instid0(VALU_DEP_1) | instskip(NEXT) | instid1(VALU_DEP_1)
	v_mul_f32_e32 v1, v63, v1
	v_and_b32_e32 v2, 0x7f800000, v1
	s_delay_alu instid0(VALU_DEP_1) | instskip(NEXT) | instid1(VALU_DEP_1)
	v_cmp_ne_u32_e64 s0, 0x7f800000, v2
	s_and_saveexec_b32 s8, s0
	s_delay_alu instid0(SALU_CYCLE_1)
	s_xor_b32 s0, exec_lo, s8
; %bb.130:                              ;   in Loop: Header=BB176_33 Depth=1
	v_bfe_u32 v2, v1, 16, 1
	s_delay_alu instid0(VALU_DEP_1)
	v_add3_u32 v66, v1, v2, 0x7fff
                                        ; implicit-def: $vgpr1
; %bb.131:                              ;   in Loop: Header=BB176_33 Depth=1
	s_and_not1_saveexec_b32 s8, s0
; %bb.132:                              ;   in Loop: Header=BB176_33 Depth=1
	v_and_b32_e32 v2, 0xffff, v1
	v_or_b32_e32 v3, 0x10000, v1
	s_delay_alu instid0(VALU_DEP_2) | instskip(NEXT) | instid1(VALU_DEP_1)
	v_cmp_eq_u32_e64 s0, 0, v2
	v_cndmask_b32_e64 v66, v3, v1, s0
; %bb.133:                              ;   in Loop: Header=BB176_33 Depth=1
	s_or_b32 exec_lo, exec_lo, s8
	global_load_b128 v[1:4], v[5:6], off offset:1024
	s_waitcnt vmcnt(0)
	v_lshrrev_b32_e32 v68, 16, v1
	v_lshrrev_b32_e32 v70, 16, v2
	;; [unrolled: 1-line block ×4, first 2 shown]
	s_and_saveexec_b32 s8, vcc_lo
	s_cbranch_execz .LBB176_135
; %bb.134:                              ;   in Loop: Header=BB176_33 Depth=1
	v_cmp_gt_i32_e64 s0, s30, v45
	s_delay_alu instid0(VALU_DEP_1) | instskip(SKIP_1) | instid1(VALU_DEP_1)
	v_cndmask_b32_e64 v1, 0, v1, s0
	v_cmp_gt_i32_e64 s0, s30, v52
	v_cndmask_b32_e64 v68, 0, v68, s0
	v_cmp_gt_i32_e64 s0, s30, v49
	s_delay_alu instid0(VALU_DEP_1) | instskip(SKIP_1) | instid1(VALU_DEP_1)
	v_cndmask_b32_e64 v2, 0, v2, s0
	v_cmp_gt_i32_e64 s0, s30, v48
	v_cndmask_b32_e64 v70, 0, v70, s0
	;; [unrolled: 5-line block ×4, first 2 shown]
.LBB176_135:                            ;   in Loop: Header=BB176_33 Depth=1
	s_or_b32 exec_lo, exec_lo, s8
	v_lshlrev_b32_e32 v1, 16, v1
	s_delay_alu instid0(VALU_DEP_1) | instskip(NEXT) | instid1(VALU_DEP_1)
	v_mul_f32_e32 v1, v56, v1
	v_and_b32_e32 v67, 0x7f800000, v1
	s_delay_alu instid0(VALU_DEP_1) | instskip(NEXT) | instid1(VALU_DEP_1)
	v_cmp_ne_u32_e64 s0, 0x7f800000, v67
                                        ; implicit-def: $vgpr67
	s_and_saveexec_b32 s8, s0
	s_delay_alu instid0(SALU_CYCLE_1)
	s_xor_b32 s0, exec_lo, s8
; %bb.136:                              ;   in Loop: Header=BB176_33 Depth=1
	v_bfe_u32 v67, v1, 16, 1
	s_delay_alu instid0(VALU_DEP_1)
	v_add3_u32 v67, v1, v67, 0x7fff
                                        ; implicit-def: $vgpr1
; %bb.137:                              ;   in Loop: Header=BB176_33 Depth=1
	s_and_not1_saveexec_b32 s8, s0
; %bb.138:                              ;   in Loop: Header=BB176_33 Depth=1
	v_and_b32_e32 v67, 0xffff, v1
	v_or_b32_e32 v69, 0x10000, v1
	s_delay_alu instid0(VALU_DEP_2) | instskip(NEXT) | instid1(VALU_DEP_1)
	v_cmp_eq_u32_e64 s0, 0, v67
	v_cndmask_b32_e64 v67, v69, v1, s0
; %bb.139:                              ;   in Loop: Header=BB176_33 Depth=1
	s_or_b32 exec_lo, exec_lo, s8
	v_lshlrev_b32_e32 v1, 16, v68
	s_delay_alu instid0(VALU_DEP_1) | instskip(NEXT) | instid1(VALU_DEP_1)
	v_mul_f32_e32 v1, v57, v1
	v_and_b32_e32 v68, 0x7f800000, v1
	s_delay_alu instid0(VALU_DEP_1) | instskip(NEXT) | instid1(VALU_DEP_1)
	v_cmp_ne_u32_e64 s0, 0x7f800000, v68
                                        ; implicit-def: $vgpr68
	s_and_saveexec_b32 s8, s0
	s_delay_alu instid0(SALU_CYCLE_1)
	s_xor_b32 s0, exec_lo, s8
; %bb.140:                              ;   in Loop: Header=BB176_33 Depth=1
	v_bfe_u32 v68, v1, 16, 1
	s_delay_alu instid0(VALU_DEP_1)
	v_add3_u32 v68, v1, v68, 0x7fff
                                        ; implicit-def: $vgpr1
; %bb.141:                              ;   in Loop: Header=BB176_33 Depth=1
	s_and_not1_saveexec_b32 s8, s0
; %bb.142:                              ;   in Loop: Header=BB176_33 Depth=1
	v_and_b32_e32 v68, 0xffff, v1
	v_or_b32_e32 v69, 0x10000, v1
	s_delay_alu instid0(VALU_DEP_2) | instskip(NEXT) | instid1(VALU_DEP_1)
	v_cmp_eq_u32_e64 s0, 0, v68
	v_cndmask_b32_e64 v68, v69, v1, s0
; %bb.143:                              ;   in Loop: Header=BB176_33 Depth=1
	s_or_b32 exec_lo, exec_lo, s8
	v_lshlrev_b32_e32 v1, 16, v2
                                        ; implicit-def: $vgpr69
	s_delay_alu instid0(VALU_DEP_1) | instskip(NEXT) | instid1(VALU_DEP_1)
	v_mul_f32_e32 v1, v58, v1
	v_and_b32_e32 v2, 0x7f800000, v1
	s_delay_alu instid0(VALU_DEP_1) | instskip(NEXT) | instid1(VALU_DEP_1)
	v_cmp_ne_u32_e64 s0, 0x7f800000, v2
	s_and_saveexec_b32 s8, s0
	s_delay_alu instid0(SALU_CYCLE_1)
	s_xor_b32 s0, exec_lo, s8
; %bb.144:                              ;   in Loop: Header=BB176_33 Depth=1
	v_bfe_u32 v2, v1, 16, 1
	s_delay_alu instid0(VALU_DEP_1)
	v_add3_u32 v69, v1, v2, 0x7fff
                                        ; implicit-def: $vgpr1
; %bb.145:                              ;   in Loop: Header=BB176_33 Depth=1
	s_and_not1_saveexec_b32 s8, s0
; %bb.146:                              ;   in Loop: Header=BB176_33 Depth=1
	v_and_b32_e32 v2, 0xffff, v1
	v_or_b32_e32 v69, 0x10000, v1
	s_delay_alu instid0(VALU_DEP_2) | instskip(NEXT) | instid1(VALU_DEP_1)
	v_cmp_eq_u32_e64 s0, 0, v2
	v_cndmask_b32_e64 v69, v69, v1, s0
; %bb.147:                              ;   in Loop: Header=BB176_33 Depth=1
	s_or_b32 exec_lo, exec_lo, s8
	v_lshlrev_b32_e32 v1, 16, v70
                                        ; implicit-def: $vgpr70
	s_delay_alu instid0(VALU_DEP_1) | instskip(NEXT) | instid1(VALU_DEP_1)
	v_mul_f32_e32 v1, v59, v1
	v_and_b32_e32 v2, 0x7f800000, v1
	s_delay_alu instid0(VALU_DEP_1) | instskip(NEXT) | instid1(VALU_DEP_1)
	v_cmp_ne_u32_e64 s0, 0x7f800000, v2
	s_and_saveexec_b32 s8, s0
	s_delay_alu instid0(SALU_CYCLE_1)
	s_xor_b32 s0, exec_lo, s8
; %bb.148:                              ;   in Loop: Header=BB176_33 Depth=1
	v_bfe_u32 v2, v1, 16, 1
	s_delay_alu instid0(VALU_DEP_1)
	v_add3_u32 v70, v1, v2, 0x7fff
                                        ; implicit-def: $vgpr1
; %bb.149:                              ;   in Loop: Header=BB176_33 Depth=1
	s_and_not1_saveexec_b32 s8, s0
; %bb.150:                              ;   in Loop: Header=BB176_33 Depth=1
	v_and_b32_e32 v2, 0xffff, v1
	v_or_b32_e32 v70, 0x10000, v1
	s_delay_alu instid0(VALU_DEP_2) | instskip(NEXT) | instid1(VALU_DEP_1)
	v_cmp_eq_u32_e64 s0, 0, v2
	v_cndmask_b32_e64 v70, v70, v1, s0
; %bb.151:                              ;   in Loop: Header=BB176_33 Depth=1
	s_or_b32 exec_lo, exec_lo, s8
	v_lshlrev_b32_e32 v1, 16, v3
                                        ; implicit-def: $vgpr71
	s_delay_alu instid0(VALU_DEP_1) | instskip(NEXT) | instid1(VALU_DEP_1)
	v_mul_f32_e32 v1, v60, v1
	v_and_b32_e32 v2, 0x7f800000, v1
	s_delay_alu instid0(VALU_DEP_1) | instskip(NEXT) | instid1(VALU_DEP_1)
	v_cmp_ne_u32_e64 s0, 0x7f800000, v2
	s_and_saveexec_b32 s8, s0
	s_delay_alu instid0(SALU_CYCLE_1)
	s_xor_b32 s0, exec_lo, s8
; %bb.152:                              ;   in Loop: Header=BB176_33 Depth=1
	v_bfe_u32 v2, v1, 16, 1
	s_delay_alu instid0(VALU_DEP_1)
	v_add3_u32 v71, v1, v2, 0x7fff
                                        ; implicit-def: $vgpr1
; %bb.153:                              ;   in Loop: Header=BB176_33 Depth=1
	s_and_not1_saveexec_b32 s8, s0
; %bb.154:                              ;   in Loop: Header=BB176_33 Depth=1
	v_and_b32_e32 v2, 0xffff, v1
	v_or_b32_e32 v3, 0x10000, v1
	s_delay_alu instid0(VALU_DEP_2) | instskip(NEXT) | instid1(VALU_DEP_1)
	v_cmp_eq_u32_e64 s0, 0, v2
	v_cndmask_b32_e64 v71, v3, v1, s0
; %bb.155:                              ;   in Loop: Header=BB176_33 Depth=1
	s_or_b32 exec_lo, exec_lo, s8
	v_lshlrev_b32_e32 v1, 16, v72
                                        ; implicit-def: $vgpr72
	s_delay_alu instid0(VALU_DEP_1) | instskip(NEXT) | instid1(VALU_DEP_1)
	v_mul_f32_e32 v1, v61, v1
	v_and_b32_e32 v2, 0x7f800000, v1
	s_delay_alu instid0(VALU_DEP_1) | instskip(NEXT) | instid1(VALU_DEP_1)
	v_cmp_ne_u32_e64 s0, 0x7f800000, v2
	s_and_saveexec_b32 s8, s0
	s_delay_alu instid0(SALU_CYCLE_1)
	s_xor_b32 s0, exec_lo, s8
; %bb.156:                              ;   in Loop: Header=BB176_33 Depth=1
	v_bfe_u32 v2, v1, 16, 1
	s_delay_alu instid0(VALU_DEP_1)
	v_add3_u32 v72, v1, v2, 0x7fff
                                        ; implicit-def: $vgpr1
; %bb.157:                              ;   in Loop: Header=BB176_33 Depth=1
	s_and_not1_saveexec_b32 s8, s0
; %bb.158:                              ;   in Loop: Header=BB176_33 Depth=1
	v_and_b32_e32 v2, 0xffff, v1
	v_or_b32_e32 v3, 0x10000, v1
	s_delay_alu instid0(VALU_DEP_2) | instskip(NEXT) | instid1(VALU_DEP_1)
	v_cmp_eq_u32_e64 s0, 0, v2
	v_cndmask_b32_e64 v72, v3, v1, s0
; %bb.159:                              ;   in Loop: Header=BB176_33 Depth=1
	s_or_b32 exec_lo, exec_lo, s8
	v_lshlrev_b32_e32 v1, 16, v4
                                        ; implicit-def: $vgpr73
	s_delay_alu instid0(VALU_DEP_1) | instskip(NEXT) | instid1(VALU_DEP_1)
	v_mul_f32_e32 v1, v62, v1
	v_and_b32_e32 v2, 0x7f800000, v1
	s_delay_alu instid0(VALU_DEP_1) | instskip(NEXT) | instid1(VALU_DEP_1)
	v_cmp_ne_u32_e64 s0, 0x7f800000, v2
	s_and_saveexec_b32 s8, s0
	s_delay_alu instid0(SALU_CYCLE_1)
	s_xor_b32 s0, exec_lo, s8
; %bb.160:                              ;   in Loop: Header=BB176_33 Depth=1
	v_bfe_u32 v2, v1, 16, 1
	s_delay_alu instid0(VALU_DEP_1)
	v_add3_u32 v73, v1, v2, 0x7fff
                                        ; implicit-def: $vgpr1
; %bb.161:                              ;   in Loop: Header=BB176_33 Depth=1
	s_and_not1_saveexec_b32 s8, s0
; %bb.162:                              ;   in Loop: Header=BB176_33 Depth=1
	v_and_b32_e32 v2, 0xffff, v1
	v_or_b32_e32 v3, 0x10000, v1
	s_delay_alu instid0(VALU_DEP_2) | instskip(NEXT) | instid1(VALU_DEP_1)
	v_cmp_eq_u32_e64 s0, 0, v2
	v_cndmask_b32_e64 v73, v3, v1, s0
; %bb.163:                              ;   in Loop: Header=BB176_33 Depth=1
	s_or_b32 exec_lo, exec_lo, s8
	v_lshlrev_b32_e32 v1, 16, v74
                                        ; implicit-def: $vgpr74
	s_delay_alu instid0(VALU_DEP_1) | instskip(NEXT) | instid1(VALU_DEP_1)
	v_mul_f32_e32 v1, v63, v1
	v_and_b32_e32 v2, 0x7f800000, v1
	s_delay_alu instid0(VALU_DEP_1) | instskip(NEXT) | instid1(VALU_DEP_1)
	v_cmp_ne_u32_e64 s0, 0x7f800000, v2
	s_and_saveexec_b32 s8, s0
	s_delay_alu instid0(SALU_CYCLE_1)
	s_xor_b32 s0, exec_lo, s8
; %bb.164:                              ;   in Loop: Header=BB176_33 Depth=1
	v_bfe_u32 v2, v1, 16, 1
	s_delay_alu instid0(VALU_DEP_1)
	v_add3_u32 v74, v1, v2, 0x7fff
                                        ; implicit-def: $vgpr1
; %bb.165:                              ;   in Loop: Header=BB176_33 Depth=1
	s_and_not1_saveexec_b32 s8, s0
; %bb.166:                              ;   in Loop: Header=BB176_33 Depth=1
	v_and_b32_e32 v2, 0xffff, v1
	v_or_b32_e32 v3, 0x10000, v1
	s_delay_alu instid0(VALU_DEP_2) | instskip(NEXT) | instid1(VALU_DEP_1)
	v_cmp_eq_u32_e64 s0, 0, v2
	v_cndmask_b32_e64 v74, v3, v1, s0
; %bb.167:                              ;   in Loop: Header=BB176_33 Depth=1
	s_or_b32 exec_lo, exec_lo, s8
	global_load_b128 v[1:4], v[5:6], off offset:1536
	s_waitcnt vmcnt(0)
	v_lshrrev_b32_e32 v76, 16, v1
	v_lshrrev_b32_e32 v78, 16, v2
	v_lshrrev_b32_e32 v80, 16, v3
	v_lshrrev_b32_e32 v82, 16, v4
	s_and_saveexec_b32 s8, vcc_lo
	s_cbranch_execz .LBB176_169
; %bb.168:                              ;   in Loop: Header=BB176_33 Depth=1
	v_cmp_gt_i32_e64 s0, s30, v45
	s_delay_alu instid0(VALU_DEP_1) | instskip(SKIP_1) | instid1(VALU_DEP_1)
	v_cndmask_b32_e64 v1, 0, v1, s0
	v_cmp_gt_i32_e64 s0, s30, v52
	v_cndmask_b32_e64 v76, 0, v76, s0
	v_cmp_gt_i32_e64 s0, s30, v49
	s_delay_alu instid0(VALU_DEP_1) | instskip(SKIP_1) | instid1(VALU_DEP_1)
	v_cndmask_b32_e64 v2, 0, v2, s0
	v_cmp_gt_i32_e64 s0, s30, v48
	v_cndmask_b32_e64 v78, 0, v78, s0
	;; [unrolled: 5-line block ×4, first 2 shown]
.LBB176_169:                            ;   in Loop: Header=BB176_33 Depth=1
	s_or_b32 exec_lo, exec_lo, s8
	v_lshlrev_b32_e32 v1, 16, v1
	s_delay_alu instid0(VALU_DEP_1) | instskip(NEXT) | instid1(VALU_DEP_1)
	v_mul_f32_e32 v1, v56, v1
	v_and_b32_e32 v75, 0x7f800000, v1
	s_delay_alu instid0(VALU_DEP_1) | instskip(NEXT) | instid1(VALU_DEP_1)
	v_cmp_ne_u32_e64 s0, 0x7f800000, v75
                                        ; implicit-def: $vgpr75
	s_and_saveexec_b32 s8, s0
	s_delay_alu instid0(SALU_CYCLE_1)
	s_xor_b32 s0, exec_lo, s8
; %bb.170:                              ;   in Loop: Header=BB176_33 Depth=1
	v_bfe_u32 v75, v1, 16, 1
	s_delay_alu instid0(VALU_DEP_1)
	v_add3_u32 v75, v1, v75, 0x7fff
                                        ; implicit-def: $vgpr1
; %bb.171:                              ;   in Loop: Header=BB176_33 Depth=1
	s_and_not1_saveexec_b32 s8, s0
; %bb.172:                              ;   in Loop: Header=BB176_33 Depth=1
	v_and_b32_e32 v75, 0xffff, v1
	v_or_b32_e32 v77, 0x10000, v1
	s_delay_alu instid0(VALU_DEP_2) | instskip(NEXT) | instid1(VALU_DEP_1)
	v_cmp_eq_u32_e64 s0, 0, v75
	v_cndmask_b32_e64 v75, v77, v1, s0
; %bb.173:                              ;   in Loop: Header=BB176_33 Depth=1
	s_or_b32 exec_lo, exec_lo, s8
	v_lshlrev_b32_e32 v1, 16, v76
	s_delay_alu instid0(VALU_DEP_1) | instskip(NEXT) | instid1(VALU_DEP_1)
	v_mul_f32_e32 v1, v57, v1
	v_and_b32_e32 v76, 0x7f800000, v1
	s_delay_alu instid0(VALU_DEP_1) | instskip(NEXT) | instid1(VALU_DEP_1)
	v_cmp_ne_u32_e64 s0, 0x7f800000, v76
                                        ; implicit-def: $vgpr76
	s_and_saveexec_b32 s8, s0
	s_delay_alu instid0(SALU_CYCLE_1)
	s_xor_b32 s0, exec_lo, s8
; %bb.174:                              ;   in Loop: Header=BB176_33 Depth=1
	v_bfe_u32 v76, v1, 16, 1
	s_delay_alu instid0(VALU_DEP_1)
	v_add3_u32 v76, v1, v76, 0x7fff
                                        ; implicit-def: $vgpr1
; %bb.175:                              ;   in Loop: Header=BB176_33 Depth=1
	s_and_not1_saveexec_b32 s8, s0
; %bb.176:                              ;   in Loop: Header=BB176_33 Depth=1
	v_and_b32_e32 v76, 0xffff, v1
	v_or_b32_e32 v77, 0x10000, v1
	s_delay_alu instid0(VALU_DEP_2) | instskip(NEXT) | instid1(VALU_DEP_1)
	v_cmp_eq_u32_e64 s0, 0, v76
	v_cndmask_b32_e64 v76, v77, v1, s0
; %bb.177:                              ;   in Loop: Header=BB176_33 Depth=1
	s_or_b32 exec_lo, exec_lo, s8
	v_lshlrev_b32_e32 v1, 16, v2
                                        ; implicit-def: $vgpr77
	s_delay_alu instid0(VALU_DEP_1) | instskip(NEXT) | instid1(VALU_DEP_1)
	v_mul_f32_e32 v1, v58, v1
	v_and_b32_e32 v2, 0x7f800000, v1
	s_delay_alu instid0(VALU_DEP_1) | instskip(NEXT) | instid1(VALU_DEP_1)
	v_cmp_ne_u32_e64 s0, 0x7f800000, v2
	s_and_saveexec_b32 s8, s0
	s_delay_alu instid0(SALU_CYCLE_1)
	s_xor_b32 s0, exec_lo, s8
; %bb.178:                              ;   in Loop: Header=BB176_33 Depth=1
	v_bfe_u32 v2, v1, 16, 1
	s_delay_alu instid0(VALU_DEP_1)
	v_add3_u32 v77, v1, v2, 0x7fff
                                        ; implicit-def: $vgpr1
; %bb.179:                              ;   in Loop: Header=BB176_33 Depth=1
	s_and_not1_saveexec_b32 s8, s0
; %bb.180:                              ;   in Loop: Header=BB176_33 Depth=1
	v_and_b32_e32 v2, 0xffff, v1
	v_or_b32_e32 v77, 0x10000, v1
	s_delay_alu instid0(VALU_DEP_2) | instskip(NEXT) | instid1(VALU_DEP_1)
	v_cmp_eq_u32_e64 s0, 0, v2
	v_cndmask_b32_e64 v77, v77, v1, s0
; %bb.181:                              ;   in Loop: Header=BB176_33 Depth=1
	s_or_b32 exec_lo, exec_lo, s8
	v_lshlrev_b32_e32 v1, 16, v78
                                        ; implicit-def: $vgpr78
	s_delay_alu instid0(VALU_DEP_1) | instskip(NEXT) | instid1(VALU_DEP_1)
	v_mul_f32_e32 v1, v59, v1
	v_and_b32_e32 v2, 0x7f800000, v1
	s_delay_alu instid0(VALU_DEP_1) | instskip(NEXT) | instid1(VALU_DEP_1)
	v_cmp_ne_u32_e64 s0, 0x7f800000, v2
	s_and_saveexec_b32 s8, s0
	s_delay_alu instid0(SALU_CYCLE_1)
	s_xor_b32 s0, exec_lo, s8
; %bb.182:                              ;   in Loop: Header=BB176_33 Depth=1
	v_bfe_u32 v2, v1, 16, 1
	s_delay_alu instid0(VALU_DEP_1)
	v_add3_u32 v78, v1, v2, 0x7fff
                                        ; implicit-def: $vgpr1
; %bb.183:                              ;   in Loop: Header=BB176_33 Depth=1
	s_and_not1_saveexec_b32 s8, s0
; %bb.184:                              ;   in Loop: Header=BB176_33 Depth=1
	v_and_b32_e32 v2, 0xffff, v1
	v_or_b32_e32 v78, 0x10000, v1
	s_delay_alu instid0(VALU_DEP_2) | instskip(NEXT) | instid1(VALU_DEP_1)
	v_cmp_eq_u32_e64 s0, 0, v2
	v_cndmask_b32_e64 v78, v78, v1, s0
; %bb.185:                              ;   in Loop: Header=BB176_33 Depth=1
	s_or_b32 exec_lo, exec_lo, s8
	v_lshlrev_b32_e32 v1, 16, v3
                                        ; implicit-def: $vgpr79
	s_delay_alu instid0(VALU_DEP_1) | instskip(NEXT) | instid1(VALU_DEP_1)
	v_mul_f32_e32 v1, v60, v1
	v_and_b32_e32 v2, 0x7f800000, v1
	s_delay_alu instid0(VALU_DEP_1) | instskip(NEXT) | instid1(VALU_DEP_1)
	v_cmp_ne_u32_e64 s0, 0x7f800000, v2
	s_and_saveexec_b32 s8, s0
	s_delay_alu instid0(SALU_CYCLE_1)
	s_xor_b32 s0, exec_lo, s8
; %bb.186:                              ;   in Loop: Header=BB176_33 Depth=1
	v_bfe_u32 v2, v1, 16, 1
	s_delay_alu instid0(VALU_DEP_1)
	v_add3_u32 v79, v1, v2, 0x7fff
                                        ; implicit-def: $vgpr1
; %bb.187:                              ;   in Loop: Header=BB176_33 Depth=1
	s_and_not1_saveexec_b32 s8, s0
; %bb.188:                              ;   in Loop: Header=BB176_33 Depth=1
	v_and_b32_e32 v2, 0xffff, v1
	v_or_b32_e32 v3, 0x10000, v1
	s_delay_alu instid0(VALU_DEP_2) | instskip(NEXT) | instid1(VALU_DEP_1)
	v_cmp_eq_u32_e64 s0, 0, v2
	v_cndmask_b32_e64 v79, v3, v1, s0
; %bb.189:                              ;   in Loop: Header=BB176_33 Depth=1
	s_or_b32 exec_lo, exec_lo, s8
	v_lshlrev_b32_e32 v1, 16, v80
                                        ; implicit-def: $vgpr80
	s_delay_alu instid0(VALU_DEP_1) | instskip(NEXT) | instid1(VALU_DEP_1)
	v_mul_f32_e32 v1, v61, v1
	v_and_b32_e32 v2, 0x7f800000, v1
	s_delay_alu instid0(VALU_DEP_1) | instskip(NEXT) | instid1(VALU_DEP_1)
	v_cmp_ne_u32_e64 s0, 0x7f800000, v2
	s_and_saveexec_b32 s8, s0
	s_delay_alu instid0(SALU_CYCLE_1)
	s_xor_b32 s0, exec_lo, s8
; %bb.190:                              ;   in Loop: Header=BB176_33 Depth=1
	v_bfe_u32 v2, v1, 16, 1
	s_delay_alu instid0(VALU_DEP_1)
	v_add3_u32 v80, v1, v2, 0x7fff
                                        ; implicit-def: $vgpr1
; %bb.191:                              ;   in Loop: Header=BB176_33 Depth=1
	s_and_not1_saveexec_b32 s8, s0
; %bb.192:                              ;   in Loop: Header=BB176_33 Depth=1
	v_and_b32_e32 v2, 0xffff, v1
	v_or_b32_e32 v3, 0x10000, v1
	s_delay_alu instid0(VALU_DEP_2) | instskip(NEXT) | instid1(VALU_DEP_1)
	v_cmp_eq_u32_e64 s0, 0, v2
	v_cndmask_b32_e64 v80, v3, v1, s0
; %bb.193:                              ;   in Loop: Header=BB176_33 Depth=1
	s_or_b32 exec_lo, exec_lo, s8
	v_lshlrev_b32_e32 v1, 16, v4
                                        ; implicit-def: $vgpr81
	s_delay_alu instid0(VALU_DEP_1) | instskip(NEXT) | instid1(VALU_DEP_1)
	v_mul_f32_e32 v1, v62, v1
	v_and_b32_e32 v2, 0x7f800000, v1
	s_delay_alu instid0(VALU_DEP_1) | instskip(NEXT) | instid1(VALU_DEP_1)
	v_cmp_ne_u32_e64 s0, 0x7f800000, v2
	s_and_saveexec_b32 s8, s0
	s_delay_alu instid0(SALU_CYCLE_1)
	s_xor_b32 s0, exec_lo, s8
; %bb.194:                              ;   in Loop: Header=BB176_33 Depth=1
	v_bfe_u32 v2, v1, 16, 1
	s_delay_alu instid0(VALU_DEP_1)
	v_add3_u32 v81, v1, v2, 0x7fff
                                        ; implicit-def: $vgpr1
; %bb.195:                              ;   in Loop: Header=BB176_33 Depth=1
	s_and_not1_saveexec_b32 s8, s0
; %bb.196:                              ;   in Loop: Header=BB176_33 Depth=1
	v_and_b32_e32 v2, 0xffff, v1
	v_or_b32_e32 v3, 0x10000, v1
	s_delay_alu instid0(VALU_DEP_2) | instskip(NEXT) | instid1(VALU_DEP_1)
	v_cmp_eq_u32_e64 s0, 0, v2
	v_cndmask_b32_e64 v81, v3, v1, s0
; %bb.197:                              ;   in Loop: Header=BB176_33 Depth=1
	s_or_b32 exec_lo, exec_lo, s8
	v_lshlrev_b32_e32 v1, 16, v82
                                        ; implicit-def: $vgpr82
	s_delay_alu instid0(VALU_DEP_1) | instskip(NEXT) | instid1(VALU_DEP_1)
	v_mul_f32_e32 v1, v63, v1
	v_and_b32_e32 v2, 0x7f800000, v1
	s_delay_alu instid0(VALU_DEP_1) | instskip(NEXT) | instid1(VALU_DEP_1)
	v_cmp_ne_u32_e64 s0, 0x7f800000, v2
	s_and_saveexec_b32 s8, s0
	s_delay_alu instid0(SALU_CYCLE_1)
	s_xor_b32 s0, exec_lo, s8
; %bb.198:                              ;   in Loop: Header=BB176_33 Depth=1
	v_bfe_u32 v2, v1, 16, 1
	s_delay_alu instid0(VALU_DEP_1)
	v_add3_u32 v82, v1, v2, 0x7fff
                                        ; implicit-def: $vgpr1
; %bb.199:                              ;   in Loop: Header=BB176_33 Depth=1
	s_and_not1_saveexec_b32 s8, s0
; %bb.200:                              ;   in Loop: Header=BB176_33 Depth=1
	v_and_b32_e32 v2, 0xffff, v1
	v_or_b32_e32 v3, 0x10000, v1
	s_delay_alu instid0(VALU_DEP_2) | instskip(NEXT) | instid1(VALU_DEP_1)
	v_cmp_eq_u32_e64 s0, 0, v2
	v_cndmask_b32_e64 v82, v3, v1, s0
; %bb.201:                              ;   in Loop: Header=BB176_33 Depth=1
	s_or_b32 exec_lo, exec_lo, s8
	global_load_b128 v[1:4], v[5:6], off offset:2048
	s_waitcnt vmcnt(0)
	v_lshrrev_b32_e32 v84, 16, v1
	v_lshrrev_b32_e32 v86, 16, v2
	;; [unrolled: 1-line block ×4, first 2 shown]
	s_and_saveexec_b32 s8, vcc_lo
	s_cbranch_execz .LBB176_203
; %bb.202:                              ;   in Loop: Header=BB176_33 Depth=1
	v_cmp_gt_i32_e64 s0, s30, v45
	s_delay_alu instid0(VALU_DEP_1) | instskip(SKIP_1) | instid1(VALU_DEP_1)
	v_cndmask_b32_e64 v1, 0, v1, s0
	v_cmp_gt_i32_e64 s0, s30, v52
	v_cndmask_b32_e64 v84, 0, v84, s0
	v_cmp_gt_i32_e64 s0, s30, v49
	s_delay_alu instid0(VALU_DEP_1) | instskip(SKIP_1) | instid1(VALU_DEP_1)
	v_cndmask_b32_e64 v2, 0, v2, s0
	v_cmp_gt_i32_e64 s0, s30, v48
	v_cndmask_b32_e64 v86, 0, v86, s0
	;; [unrolled: 5-line block ×4, first 2 shown]
.LBB176_203:                            ;   in Loop: Header=BB176_33 Depth=1
	s_or_b32 exec_lo, exec_lo, s8
	v_lshlrev_b32_e32 v1, 16, v1
	s_delay_alu instid0(VALU_DEP_1) | instskip(NEXT) | instid1(VALU_DEP_1)
	v_mul_f32_e32 v1, v56, v1
	v_and_b32_e32 v83, 0x7f800000, v1
	s_delay_alu instid0(VALU_DEP_1) | instskip(NEXT) | instid1(VALU_DEP_1)
	v_cmp_ne_u32_e64 s0, 0x7f800000, v83
                                        ; implicit-def: $vgpr83
	s_and_saveexec_b32 s8, s0
	s_delay_alu instid0(SALU_CYCLE_1)
	s_xor_b32 s0, exec_lo, s8
; %bb.204:                              ;   in Loop: Header=BB176_33 Depth=1
	v_bfe_u32 v83, v1, 16, 1
	s_delay_alu instid0(VALU_DEP_1)
	v_add3_u32 v83, v1, v83, 0x7fff
                                        ; implicit-def: $vgpr1
; %bb.205:                              ;   in Loop: Header=BB176_33 Depth=1
	s_and_not1_saveexec_b32 s8, s0
; %bb.206:                              ;   in Loop: Header=BB176_33 Depth=1
	v_and_b32_e32 v83, 0xffff, v1
	v_or_b32_e32 v85, 0x10000, v1
	s_delay_alu instid0(VALU_DEP_2) | instskip(NEXT) | instid1(VALU_DEP_1)
	v_cmp_eq_u32_e64 s0, 0, v83
	v_cndmask_b32_e64 v83, v85, v1, s0
; %bb.207:                              ;   in Loop: Header=BB176_33 Depth=1
	s_or_b32 exec_lo, exec_lo, s8
	v_lshlrev_b32_e32 v1, 16, v84
	s_delay_alu instid0(VALU_DEP_1) | instskip(NEXT) | instid1(VALU_DEP_1)
	v_mul_f32_e32 v1, v57, v1
	v_and_b32_e32 v84, 0x7f800000, v1
	s_delay_alu instid0(VALU_DEP_1) | instskip(NEXT) | instid1(VALU_DEP_1)
	v_cmp_ne_u32_e64 s0, 0x7f800000, v84
                                        ; implicit-def: $vgpr84
	s_and_saveexec_b32 s8, s0
	s_delay_alu instid0(SALU_CYCLE_1)
	s_xor_b32 s0, exec_lo, s8
; %bb.208:                              ;   in Loop: Header=BB176_33 Depth=1
	v_bfe_u32 v84, v1, 16, 1
	s_delay_alu instid0(VALU_DEP_1)
	v_add3_u32 v84, v1, v84, 0x7fff
                                        ; implicit-def: $vgpr1
; %bb.209:                              ;   in Loop: Header=BB176_33 Depth=1
	s_and_not1_saveexec_b32 s8, s0
; %bb.210:                              ;   in Loop: Header=BB176_33 Depth=1
	v_and_b32_e32 v84, 0xffff, v1
	v_or_b32_e32 v85, 0x10000, v1
	s_delay_alu instid0(VALU_DEP_2) | instskip(NEXT) | instid1(VALU_DEP_1)
	v_cmp_eq_u32_e64 s0, 0, v84
	v_cndmask_b32_e64 v84, v85, v1, s0
; %bb.211:                              ;   in Loop: Header=BB176_33 Depth=1
	s_or_b32 exec_lo, exec_lo, s8
	v_lshlrev_b32_e32 v1, 16, v2
                                        ; implicit-def: $vgpr85
	s_delay_alu instid0(VALU_DEP_1) | instskip(NEXT) | instid1(VALU_DEP_1)
	v_mul_f32_e32 v1, v58, v1
	v_and_b32_e32 v2, 0x7f800000, v1
	s_delay_alu instid0(VALU_DEP_1) | instskip(NEXT) | instid1(VALU_DEP_1)
	v_cmp_ne_u32_e64 s0, 0x7f800000, v2
	s_and_saveexec_b32 s8, s0
	s_delay_alu instid0(SALU_CYCLE_1)
	s_xor_b32 s0, exec_lo, s8
; %bb.212:                              ;   in Loop: Header=BB176_33 Depth=1
	v_bfe_u32 v2, v1, 16, 1
	s_delay_alu instid0(VALU_DEP_1)
	v_add3_u32 v85, v1, v2, 0x7fff
                                        ; implicit-def: $vgpr1
; %bb.213:                              ;   in Loop: Header=BB176_33 Depth=1
	s_and_not1_saveexec_b32 s8, s0
; %bb.214:                              ;   in Loop: Header=BB176_33 Depth=1
	v_and_b32_e32 v2, 0xffff, v1
	v_or_b32_e32 v85, 0x10000, v1
	s_delay_alu instid0(VALU_DEP_2) | instskip(NEXT) | instid1(VALU_DEP_1)
	v_cmp_eq_u32_e64 s0, 0, v2
	v_cndmask_b32_e64 v85, v85, v1, s0
; %bb.215:                              ;   in Loop: Header=BB176_33 Depth=1
	s_or_b32 exec_lo, exec_lo, s8
	v_lshlrev_b32_e32 v1, 16, v86
                                        ; implicit-def: $vgpr86
	s_delay_alu instid0(VALU_DEP_1) | instskip(NEXT) | instid1(VALU_DEP_1)
	v_mul_f32_e32 v1, v59, v1
	v_and_b32_e32 v2, 0x7f800000, v1
	s_delay_alu instid0(VALU_DEP_1) | instskip(NEXT) | instid1(VALU_DEP_1)
	v_cmp_ne_u32_e64 s0, 0x7f800000, v2
	s_and_saveexec_b32 s8, s0
	s_delay_alu instid0(SALU_CYCLE_1)
	s_xor_b32 s0, exec_lo, s8
; %bb.216:                              ;   in Loop: Header=BB176_33 Depth=1
	v_bfe_u32 v2, v1, 16, 1
	s_delay_alu instid0(VALU_DEP_1)
	v_add3_u32 v86, v1, v2, 0x7fff
                                        ; implicit-def: $vgpr1
; %bb.217:                              ;   in Loop: Header=BB176_33 Depth=1
	s_and_not1_saveexec_b32 s8, s0
; %bb.218:                              ;   in Loop: Header=BB176_33 Depth=1
	v_and_b32_e32 v2, 0xffff, v1
	v_or_b32_e32 v86, 0x10000, v1
	s_delay_alu instid0(VALU_DEP_2) | instskip(NEXT) | instid1(VALU_DEP_1)
	v_cmp_eq_u32_e64 s0, 0, v2
	v_cndmask_b32_e64 v86, v86, v1, s0
; %bb.219:                              ;   in Loop: Header=BB176_33 Depth=1
	s_or_b32 exec_lo, exec_lo, s8
	v_lshlrev_b32_e32 v1, 16, v3
                                        ; implicit-def: $vgpr87
	s_delay_alu instid0(VALU_DEP_1) | instskip(NEXT) | instid1(VALU_DEP_1)
	v_mul_f32_e32 v1, v60, v1
	v_and_b32_e32 v2, 0x7f800000, v1
	s_delay_alu instid0(VALU_DEP_1) | instskip(NEXT) | instid1(VALU_DEP_1)
	v_cmp_ne_u32_e64 s0, 0x7f800000, v2
	s_and_saveexec_b32 s8, s0
	s_delay_alu instid0(SALU_CYCLE_1)
	s_xor_b32 s0, exec_lo, s8
; %bb.220:                              ;   in Loop: Header=BB176_33 Depth=1
	v_bfe_u32 v2, v1, 16, 1
	s_delay_alu instid0(VALU_DEP_1)
	v_add3_u32 v87, v1, v2, 0x7fff
                                        ; implicit-def: $vgpr1
; %bb.221:                              ;   in Loop: Header=BB176_33 Depth=1
	s_and_not1_saveexec_b32 s8, s0
; %bb.222:                              ;   in Loop: Header=BB176_33 Depth=1
	v_and_b32_e32 v2, 0xffff, v1
	v_or_b32_e32 v3, 0x10000, v1
	s_delay_alu instid0(VALU_DEP_2) | instskip(NEXT) | instid1(VALU_DEP_1)
	v_cmp_eq_u32_e64 s0, 0, v2
	v_cndmask_b32_e64 v87, v3, v1, s0
; %bb.223:                              ;   in Loop: Header=BB176_33 Depth=1
	s_or_b32 exec_lo, exec_lo, s8
	v_lshlrev_b32_e32 v1, 16, v88
                                        ; implicit-def: $vgpr88
	s_delay_alu instid0(VALU_DEP_1) | instskip(NEXT) | instid1(VALU_DEP_1)
	v_mul_f32_e32 v1, v61, v1
	v_and_b32_e32 v2, 0x7f800000, v1
	s_delay_alu instid0(VALU_DEP_1) | instskip(NEXT) | instid1(VALU_DEP_1)
	v_cmp_ne_u32_e64 s0, 0x7f800000, v2
	s_and_saveexec_b32 s8, s0
	s_delay_alu instid0(SALU_CYCLE_1)
	s_xor_b32 s0, exec_lo, s8
; %bb.224:                              ;   in Loop: Header=BB176_33 Depth=1
	v_bfe_u32 v2, v1, 16, 1
	s_delay_alu instid0(VALU_DEP_1)
	v_add3_u32 v88, v1, v2, 0x7fff
                                        ; implicit-def: $vgpr1
; %bb.225:                              ;   in Loop: Header=BB176_33 Depth=1
	s_and_not1_saveexec_b32 s8, s0
; %bb.226:                              ;   in Loop: Header=BB176_33 Depth=1
	v_and_b32_e32 v2, 0xffff, v1
	v_or_b32_e32 v3, 0x10000, v1
	s_delay_alu instid0(VALU_DEP_2) | instskip(NEXT) | instid1(VALU_DEP_1)
	v_cmp_eq_u32_e64 s0, 0, v2
	v_cndmask_b32_e64 v88, v3, v1, s0
; %bb.227:                              ;   in Loop: Header=BB176_33 Depth=1
	s_or_b32 exec_lo, exec_lo, s8
	v_lshlrev_b32_e32 v1, 16, v4
                                        ; implicit-def: $vgpr89
	s_delay_alu instid0(VALU_DEP_1) | instskip(NEXT) | instid1(VALU_DEP_1)
	v_mul_f32_e32 v1, v62, v1
	v_and_b32_e32 v2, 0x7f800000, v1
	s_delay_alu instid0(VALU_DEP_1) | instskip(NEXT) | instid1(VALU_DEP_1)
	v_cmp_ne_u32_e64 s0, 0x7f800000, v2
	s_and_saveexec_b32 s8, s0
	s_delay_alu instid0(SALU_CYCLE_1)
	s_xor_b32 s0, exec_lo, s8
; %bb.228:                              ;   in Loop: Header=BB176_33 Depth=1
	v_bfe_u32 v2, v1, 16, 1
	s_delay_alu instid0(VALU_DEP_1)
	v_add3_u32 v89, v1, v2, 0x7fff
                                        ; implicit-def: $vgpr1
; %bb.229:                              ;   in Loop: Header=BB176_33 Depth=1
	s_and_not1_saveexec_b32 s8, s0
; %bb.230:                              ;   in Loop: Header=BB176_33 Depth=1
	v_and_b32_e32 v2, 0xffff, v1
	v_or_b32_e32 v3, 0x10000, v1
	s_delay_alu instid0(VALU_DEP_2) | instskip(NEXT) | instid1(VALU_DEP_1)
	v_cmp_eq_u32_e64 s0, 0, v2
	v_cndmask_b32_e64 v89, v3, v1, s0
; %bb.231:                              ;   in Loop: Header=BB176_33 Depth=1
	s_or_b32 exec_lo, exec_lo, s8
	v_lshlrev_b32_e32 v1, 16, v90
                                        ; implicit-def: $vgpr90
	s_delay_alu instid0(VALU_DEP_1) | instskip(NEXT) | instid1(VALU_DEP_1)
	v_mul_f32_e32 v1, v63, v1
	v_and_b32_e32 v2, 0x7f800000, v1
	s_delay_alu instid0(VALU_DEP_1) | instskip(NEXT) | instid1(VALU_DEP_1)
	v_cmp_ne_u32_e64 s0, 0x7f800000, v2
	s_and_saveexec_b32 s8, s0
	s_delay_alu instid0(SALU_CYCLE_1)
	s_xor_b32 s0, exec_lo, s8
; %bb.232:                              ;   in Loop: Header=BB176_33 Depth=1
	v_bfe_u32 v2, v1, 16, 1
	s_delay_alu instid0(VALU_DEP_1)
	v_add3_u32 v90, v1, v2, 0x7fff
                                        ; implicit-def: $vgpr1
; %bb.233:                              ;   in Loop: Header=BB176_33 Depth=1
	s_and_not1_saveexec_b32 s8, s0
; %bb.234:                              ;   in Loop: Header=BB176_33 Depth=1
	v_and_b32_e32 v2, 0xffff, v1
	v_or_b32_e32 v3, 0x10000, v1
	s_delay_alu instid0(VALU_DEP_2) | instskip(NEXT) | instid1(VALU_DEP_1)
	v_cmp_eq_u32_e64 s0, 0, v2
	v_cndmask_b32_e64 v90, v3, v1, s0
; %bb.235:                              ;   in Loop: Header=BB176_33 Depth=1
	s_or_b32 exec_lo, exec_lo, s8
	global_load_b128 v[1:4], v[5:6], off offset:2560
	s_waitcnt vmcnt(0)
	v_lshrrev_b32_e32 v92, 16, v1
	v_lshrrev_b32_e32 v94, 16, v2
	;; [unrolled: 1-line block ×4, first 2 shown]
	s_and_saveexec_b32 s8, vcc_lo
	s_cbranch_execz .LBB176_237
; %bb.236:                              ;   in Loop: Header=BB176_33 Depth=1
	v_cmp_gt_i32_e64 s0, s30, v45
	s_delay_alu instid0(VALU_DEP_1) | instskip(SKIP_1) | instid1(VALU_DEP_1)
	v_cndmask_b32_e64 v1, 0, v1, s0
	v_cmp_gt_i32_e64 s0, s30, v52
	v_cndmask_b32_e64 v92, 0, v92, s0
	v_cmp_gt_i32_e64 s0, s30, v49
	s_delay_alu instid0(VALU_DEP_1) | instskip(SKIP_1) | instid1(VALU_DEP_1)
	v_cndmask_b32_e64 v2, 0, v2, s0
	v_cmp_gt_i32_e64 s0, s30, v48
	v_cndmask_b32_e64 v94, 0, v94, s0
	;; [unrolled: 5-line block ×4, first 2 shown]
.LBB176_237:                            ;   in Loop: Header=BB176_33 Depth=1
	s_or_b32 exec_lo, exec_lo, s8
	v_lshlrev_b32_e32 v1, 16, v1
	s_delay_alu instid0(VALU_DEP_1) | instskip(NEXT) | instid1(VALU_DEP_1)
	v_mul_f32_e32 v1, v56, v1
	v_and_b32_e32 v91, 0x7f800000, v1
	s_delay_alu instid0(VALU_DEP_1) | instskip(NEXT) | instid1(VALU_DEP_1)
	v_cmp_ne_u32_e64 s0, 0x7f800000, v91
                                        ; implicit-def: $vgpr91
	s_and_saveexec_b32 s8, s0
	s_delay_alu instid0(SALU_CYCLE_1)
	s_xor_b32 s0, exec_lo, s8
; %bb.238:                              ;   in Loop: Header=BB176_33 Depth=1
	v_bfe_u32 v91, v1, 16, 1
	s_delay_alu instid0(VALU_DEP_1)
	v_add3_u32 v91, v1, v91, 0x7fff
                                        ; implicit-def: $vgpr1
; %bb.239:                              ;   in Loop: Header=BB176_33 Depth=1
	s_and_not1_saveexec_b32 s8, s0
; %bb.240:                              ;   in Loop: Header=BB176_33 Depth=1
	v_and_b32_e32 v91, 0xffff, v1
	v_or_b32_e32 v93, 0x10000, v1
	s_delay_alu instid0(VALU_DEP_2) | instskip(NEXT) | instid1(VALU_DEP_1)
	v_cmp_eq_u32_e64 s0, 0, v91
	v_cndmask_b32_e64 v91, v93, v1, s0
; %bb.241:                              ;   in Loop: Header=BB176_33 Depth=1
	s_or_b32 exec_lo, exec_lo, s8
	v_lshlrev_b32_e32 v1, 16, v92
	s_delay_alu instid0(VALU_DEP_1) | instskip(NEXT) | instid1(VALU_DEP_1)
	v_mul_f32_e32 v1, v57, v1
	v_and_b32_e32 v92, 0x7f800000, v1
	s_delay_alu instid0(VALU_DEP_1) | instskip(NEXT) | instid1(VALU_DEP_1)
	v_cmp_ne_u32_e64 s0, 0x7f800000, v92
                                        ; implicit-def: $vgpr92
	s_and_saveexec_b32 s8, s0
	s_delay_alu instid0(SALU_CYCLE_1)
	s_xor_b32 s0, exec_lo, s8
; %bb.242:                              ;   in Loop: Header=BB176_33 Depth=1
	v_bfe_u32 v92, v1, 16, 1
	s_delay_alu instid0(VALU_DEP_1)
	v_add3_u32 v92, v1, v92, 0x7fff
                                        ; implicit-def: $vgpr1
; %bb.243:                              ;   in Loop: Header=BB176_33 Depth=1
	s_and_not1_saveexec_b32 s8, s0
; %bb.244:                              ;   in Loop: Header=BB176_33 Depth=1
	v_and_b32_e32 v92, 0xffff, v1
	v_or_b32_e32 v93, 0x10000, v1
	s_delay_alu instid0(VALU_DEP_2) | instskip(NEXT) | instid1(VALU_DEP_1)
	v_cmp_eq_u32_e64 s0, 0, v92
	v_cndmask_b32_e64 v92, v93, v1, s0
; %bb.245:                              ;   in Loop: Header=BB176_33 Depth=1
	s_or_b32 exec_lo, exec_lo, s8
	v_lshlrev_b32_e32 v1, 16, v2
                                        ; implicit-def: $vgpr93
	s_delay_alu instid0(VALU_DEP_1) | instskip(NEXT) | instid1(VALU_DEP_1)
	v_mul_f32_e32 v1, v58, v1
	v_and_b32_e32 v2, 0x7f800000, v1
	s_delay_alu instid0(VALU_DEP_1) | instskip(NEXT) | instid1(VALU_DEP_1)
	v_cmp_ne_u32_e64 s0, 0x7f800000, v2
	s_and_saveexec_b32 s8, s0
	s_delay_alu instid0(SALU_CYCLE_1)
	s_xor_b32 s0, exec_lo, s8
; %bb.246:                              ;   in Loop: Header=BB176_33 Depth=1
	v_bfe_u32 v2, v1, 16, 1
	s_delay_alu instid0(VALU_DEP_1)
	v_add3_u32 v93, v1, v2, 0x7fff
                                        ; implicit-def: $vgpr1
; %bb.247:                              ;   in Loop: Header=BB176_33 Depth=1
	s_and_not1_saveexec_b32 s8, s0
; %bb.248:                              ;   in Loop: Header=BB176_33 Depth=1
	v_and_b32_e32 v2, 0xffff, v1
	v_or_b32_e32 v93, 0x10000, v1
	s_delay_alu instid0(VALU_DEP_2) | instskip(NEXT) | instid1(VALU_DEP_1)
	v_cmp_eq_u32_e64 s0, 0, v2
	v_cndmask_b32_e64 v93, v93, v1, s0
; %bb.249:                              ;   in Loop: Header=BB176_33 Depth=1
	s_or_b32 exec_lo, exec_lo, s8
	v_lshlrev_b32_e32 v1, 16, v94
                                        ; implicit-def: $vgpr94
	s_delay_alu instid0(VALU_DEP_1) | instskip(NEXT) | instid1(VALU_DEP_1)
	v_mul_f32_e32 v1, v59, v1
	v_and_b32_e32 v2, 0x7f800000, v1
	s_delay_alu instid0(VALU_DEP_1) | instskip(NEXT) | instid1(VALU_DEP_1)
	v_cmp_ne_u32_e64 s0, 0x7f800000, v2
	s_and_saveexec_b32 s8, s0
	s_delay_alu instid0(SALU_CYCLE_1)
	s_xor_b32 s0, exec_lo, s8
; %bb.250:                              ;   in Loop: Header=BB176_33 Depth=1
	v_bfe_u32 v2, v1, 16, 1
	s_delay_alu instid0(VALU_DEP_1)
	v_add3_u32 v94, v1, v2, 0x7fff
                                        ; implicit-def: $vgpr1
; %bb.251:                              ;   in Loop: Header=BB176_33 Depth=1
	s_and_not1_saveexec_b32 s8, s0
; %bb.252:                              ;   in Loop: Header=BB176_33 Depth=1
	v_and_b32_e32 v2, 0xffff, v1
	v_or_b32_e32 v94, 0x10000, v1
	s_delay_alu instid0(VALU_DEP_2) | instskip(NEXT) | instid1(VALU_DEP_1)
	v_cmp_eq_u32_e64 s0, 0, v2
	v_cndmask_b32_e64 v94, v94, v1, s0
; %bb.253:                              ;   in Loop: Header=BB176_33 Depth=1
	s_or_b32 exec_lo, exec_lo, s8
	v_lshlrev_b32_e32 v1, 16, v3
                                        ; implicit-def: $vgpr95
	s_delay_alu instid0(VALU_DEP_1) | instskip(NEXT) | instid1(VALU_DEP_1)
	v_mul_f32_e32 v1, v60, v1
	v_and_b32_e32 v2, 0x7f800000, v1
	s_delay_alu instid0(VALU_DEP_1) | instskip(NEXT) | instid1(VALU_DEP_1)
	v_cmp_ne_u32_e64 s0, 0x7f800000, v2
	s_and_saveexec_b32 s8, s0
	s_delay_alu instid0(SALU_CYCLE_1)
	s_xor_b32 s0, exec_lo, s8
; %bb.254:                              ;   in Loop: Header=BB176_33 Depth=1
	v_bfe_u32 v2, v1, 16, 1
	s_delay_alu instid0(VALU_DEP_1)
	v_add3_u32 v95, v1, v2, 0x7fff
                                        ; implicit-def: $vgpr1
; %bb.255:                              ;   in Loop: Header=BB176_33 Depth=1
	s_and_not1_saveexec_b32 s8, s0
; %bb.256:                              ;   in Loop: Header=BB176_33 Depth=1
	v_and_b32_e32 v2, 0xffff, v1
	v_or_b32_e32 v3, 0x10000, v1
	s_delay_alu instid0(VALU_DEP_2) | instskip(NEXT) | instid1(VALU_DEP_1)
	v_cmp_eq_u32_e64 s0, 0, v2
	v_cndmask_b32_e64 v95, v3, v1, s0
; %bb.257:                              ;   in Loop: Header=BB176_33 Depth=1
	s_or_b32 exec_lo, exec_lo, s8
	v_lshlrev_b32_e32 v1, 16, v96
                                        ; implicit-def: $vgpr96
	s_delay_alu instid0(VALU_DEP_1) | instskip(NEXT) | instid1(VALU_DEP_1)
	v_mul_f32_e32 v1, v61, v1
	v_and_b32_e32 v2, 0x7f800000, v1
	s_delay_alu instid0(VALU_DEP_1) | instskip(NEXT) | instid1(VALU_DEP_1)
	v_cmp_ne_u32_e64 s0, 0x7f800000, v2
	s_and_saveexec_b32 s8, s0
	s_delay_alu instid0(SALU_CYCLE_1)
	s_xor_b32 s0, exec_lo, s8
; %bb.258:                              ;   in Loop: Header=BB176_33 Depth=1
	v_bfe_u32 v2, v1, 16, 1
	s_delay_alu instid0(VALU_DEP_1)
	v_add3_u32 v96, v1, v2, 0x7fff
                                        ; implicit-def: $vgpr1
; %bb.259:                              ;   in Loop: Header=BB176_33 Depth=1
	s_and_not1_saveexec_b32 s8, s0
; %bb.260:                              ;   in Loop: Header=BB176_33 Depth=1
	v_and_b32_e32 v2, 0xffff, v1
	v_or_b32_e32 v3, 0x10000, v1
	s_delay_alu instid0(VALU_DEP_2) | instskip(NEXT) | instid1(VALU_DEP_1)
	v_cmp_eq_u32_e64 s0, 0, v2
	v_cndmask_b32_e64 v96, v3, v1, s0
; %bb.261:                              ;   in Loop: Header=BB176_33 Depth=1
	s_or_b32 exec_lo, exec_lo, s8
	v_lshlrev_b32_e32 v1, 16, v4
                                        ; implicit-def: $vgpr97
	s_delay_alu instid0(VALU_DEP_1) | instskip(NEXT) | instid1(VALU_DEP_1)
	v_mul_f32_e32 v1, v62, v1
	v_and_b32_e32 v2, 0x7f800000, v1
	s_delay_alu instid0(VALU_DEP_1) | instskip(NEXT) | instid1(VALU_DEP_1)
	v_cmp_ne_u32_e64 s0, 0x7f800000, v2
	s_and_saveexec_b32 s8, s0
	s_delay_alu instid0(SALU_CYCLE_1)
	s_xor_b32 s0, exec_lo, s8
; %bb.262:                              ;   in Loop: Header=BB176_33 Depth=1
	v_bfe_u32 v2, v1, 16, 1
	s_delay_alu instid0(VALU_DEP_1)
	v_add3_u32 v97, v1, v2, 0x7fff
                                        ; implicit-def: $vgpr1
; %bb.263:                              ;   in Loop: Header=BB176_33 Depth=1
	s_and_not1_saveexec_b32 s8, s0
; %bb.264:                              ;   in Loop: Header=BB176_33 Depth=1
	v_and_b32_e32 v2, 0xffff, v1
	v_or_b32_e32 v3, 0x10000, v1
	s_delay_alu instid0(VALU_DEP_2) | instskip(NEXT) | instid1(VALU_DEP_1)
	v_cmp_eq_u32_e64 s0, 0, v2
	v_cndmask_b32_e64 v97, v3, v1, s0
; %bb.265:                              ;   in Loop: Header=BB176_33 Depth=1
	s_or_b32 exec_lo, exec_lo, s8
	v_lshlrev_b32_e32 v1, 16, v98
                                        ; implicit-def: $vgpr98
	s_delay_alu instid0(VALU_DEP_1) | instskip(NEXT) | instid1(VALU_DEP_1)
	v_mul_f32_e32 v1, v63, v1
	v_and_b32_e32 v2, 0x7f800000, v1
	s_delay_alu instid0(VALU_DEP_1) | instskip(NEXT) | instid1(VALU_DEP_1)
	v_cmp_ne_u32_e64 s0, 0x7f800000, v2
	s_and_saveexec_b32 s8, s0
	s_delay_alu instid0(SALU_CYCLE_1)
	s_xor_b32 s0, exec_lo, s8
; %bb.266:                              ;   in Loop: Header=BB176_33 Depth=1
	v_bfe_u32 v2, v1, 16, 1
	s_delay_alu instid0(VALU_DEP_1)
	v_add3_u32 v98, v1, v2, 0x7fff
                                        ; implicit-def: $vgpr1
; %bb.267:                              ;   in Loop: Header=BB176_33 Depth=1
	s_and_not1_saveexec_b32 s8, s0
; %bb.268:                              ;   in Loop: Header=BB176_33 Depth=1
	v_and_b32_e32 v2, 0xffff, v1
	v_or_b32_e32 v3, 0x10000, v1
	s_delay_alu instid0(VALU_DEP_2) | instskip(NEXT) | instid1(VALU_DEP_1)
	v_cmp_eq_u32_e64 s0, 0, v2
	v_cndmask_b32_e64 v98, v3, v1, s0
; %bb.269:                              ;   in Loop: Header=BB176_33 Depth=1
	s_or_b32 exec_lo, exec_lo, s8
	global_load_b128 v[1:4], v[5:6], off offset:3072
	s_waitcnt vmcnt(0)
	v_lshrrev_b32_e32 v100, 16, v1
	v_lshrrev_b32_e32 v102, 16, v2
	;; [unrolled: 1-line block ×4, first 2 shown]
	s_and_saveexec_b32 s8, vcc_lo
	s_cbranch_execz .LBB176_271
; %bb.270:                              ;   in Loop: Header=BB176_33 Depth=1
	v_cmp_gt_i32_e64 s0, s30, v45
	s_delay_alu instid0(VALU_DEP_1) | instskip(SKIP_1) | instid1(VALU_DEP_1)
	v_cndmask_b32_e64 v1, 0, v1, s0
	v_cmp_gt_i32_e64 s0, s30, v52
	v_cndmask_b32_e64 v100, 0, v100, s0
	v_cmp_gt_i32_e64 s0, s30, v49
	s_delay_alu instid0(VALU_DEP_1) | instskip(SKIP_1) | instid1(VALU_DEP_1)
	v_cndmask_b32_e64 v2, 0, v2, s0
	v_cmp_gt_i32_e64 s0, s30, v48
	v_cndmask_b32_e64 v102, 0, v102, s0
	;; [unrolled: 5-line block ×4, first 2 shown]
.LBB176_271:                            ;   in Loop: Header=BB176_33 Depth=1
	s_or_b32 exec_lo, exec_lo, s8
	v_lshlrev_b32_e32 v1, 16, v1
	s_delay_alu instid0(VALU_DEP_1) | instskip(NEXT) | instid1(VALU_DEP_1)
	v_mul_f32_e32 v1, v56, v1
	v_and_b32_e32 v99, 0x7f800000, v1
	s_delay_alu instid0(VALU_DEP_1) | instskip(NEXT) | instid1(VALU_DEP_1)
	v_cmp_ne_u32_e64 s0, 0x7f800000, v99
                                        ; implicit-def: $vgpr99
	s_and_saveexec_b32 s8, s0
	s_delay_alu instid0(SALU_CYCLE_1)
	s_xor_b32 s0, exec_lo, s8
; %bb.272:                              ;   in Loop: Header=BB176_33 Depth=1
	v_bfe_u32 v99, v1, 16, 1
	s_delay_alu instid0(VALU_DEP_1)
	v_add3_u32 v99, v1, v99, 0x7fff
                                        ; implicit-def: $vgpr1
; %bb.273:                              ;   in Loop: Header=BB176_33 Depth=1
	s_and_not1_saveexec_b32 s8, s0
; %bb.274:                              ;   in Loop: Header=BB176_33 Depth=1
	v_and_b32_e32 v99, 0xffff, v1
	v_or_b32_e32 v101, 0x10000, v1
	s_delay_alu instid0(VALU_DEP_2) | instskip(NEXT) | instid1(VALU_DEP_1)
	v_cmp_eq_u32_e64 s0, 0, v99
	v_cndmask_b32_e64 v99, v101, v1, s0
; %bb.275:                              ;   in Loop: Header=BB176_33 Depth=1
	s_or_b32 exec_lo, exec_lo, s8
	v_lshlrev_b32_e32 v1, 16, v100
	s_delay_alu instid0(VALU_DEP_1) | instskip(NEXT) | instid1(VALU_DEP_1)
	v_mul_f32_e32 v1, v57, v1
	v_and_b32_e32 v100, 0x7f800000, v1
	s_delay_alu instid0(VALU_DEP_1) | instskip(NEXT) | instid1(VALU_DEP_1)
	v_cmp_ne_u32_e64 s0, 0x7f800000, v100
                                        ; implicit-def: $vgpr100
	s_and_saveexec_b32 s8, s0
	s_delay_alu instid0(SALU_CYCLE_1)
	s_xor_b32 s0, exec_lo, s8
; %bb.276:                              ;   in Loop: Header=BB176_33 Depth=1
	v_bfe_u32 v100, v1, 16, 1
	s_delay_alu instid0(VALU_DEP_1)
	v_add3_u32 v100, v1, v100, 0x7fff
                                        ; implicit-def: $vgpr1
; %bb.277:                              ;   in Loop: Header=BB176_33 Depth=1
	s_and_not1_saveexec_b32 s8, s0
; %bb.278:                              ;   in Loop: Header=BB176_33 Depth=1
	v_and_b32_e32 v100, 0xffff, v1
	v_or_b32_e32 v101, 0x10000, v1
	s_delay_alu instid0(VALU_DEP_2) | instskip(NEXT) | instid1(VALU_DEP_1)
	v_cmp_eq_u32_e64 s0, 0, v100
	v_cndmask_b32_e64 v100, v101, v1, s0
; %bb.279:                              ;   in Loop: Header=BB176_33 Depth=1
	s_or_b32 exec_lo, exec_lo, s8
	v_lshlrev_b32_e32 v1, 16, v2
                                        ; implicit-def: $vgpr101
	s_delay_alu instid0(VALU_DEP_1) | instskip(NEXT) | instid1(VALU_DEP_1)
	v_mul_f32_e32 v1, v58, v1
	v_and_b32_e32 v2, 0x7f800000, v1
	s_delay_alu instid0(VALU_DEP_1) | instskip(NEXT) | instid1(VALU_DEP_1)
	v_cmp_ne_u32_e64 s0, 0x7f800000, v2
	s_and_saveexec_b32 s8, s0
	s_delay_alu instid0(SALU_CYCLE_1)
	s_xor_b32 s0, exec_lo, s8
; %bb.280:                              ;   in Loop: Header=BB176_33 Depth=1
	v_bfe_u32 v2, v1, 16, 1
	s_delay_alu instid0(VALU_DEP_1)
	v_add3_u32 v101, v1, v2, 0x7fff
                                        ; implicit-def: $vgpr1
; %bb.281:                              ;   in Loop: Header=BB176_33 Depth=1
	s_and_not1_saveexec_b32 s8, s0
; %bb.282:                              ;   in Loop: Header=BB176_33 Depth=1
	v_and_b32_e32 v2, 0xffff, v1
	v_or_b32_e32 v101, 0x10000, v1
	s_delay_alu instid0(VALU_DEP_2) | instskip(NEXT) | instid1(VALU_DEP_1)
	v_cmp_eq_u32_e64 s0, 0, v2
	v_cndmask_b32_e64 v101, v101, v1, s0
; %bb.283:                              ;   in Loop: Header=BB176_33 Depth=1
	s_or_b32 exec_lo, exec_lo, s8
	v_lshlrev_b32_e32 v1, 16, v102
                                        ; implicit-def: $vgpr102
	s_delay_alu instid0(VALU_DEP_1) | instskip(NEXT) | instid1(VALU_DEP_1)
	v_mul_f32_e32 v1, v59, v1
	v_and_b32_e32 v2, 0x7f800000, v1
	s_delay_alu instid0(VALU_DEP_1) | instskip(NEXT) | instid1(VALU_DEP_1)
	v_cmp_ne_u32_e64 s0, 0x7f800000, v2
	s_and_saveexec_b32 s8, s0
	s_delay_alu instid0(SALU_CYCLE_1)
	s_xor_b32 s0, exec_lo, s8
; %bb.284:                              ;   in Loop: Header=BB176_33 Depth=1
	v_bfe_u32 v2, v1, 16, 1
	s_delay_alu instid0(VALU_DEP_1)
	v_add3_u32 v102, v1, v2, 0x7fff
                                        ; implicit-def: $vgpr1
; %bb.285:                              ;   in Loop: Header=BB176_33 Depth=1
	s_and_not1_saveexec_b32 s8, s0
; %bb.286:                              ;   in Loop: Header=BB176_33 Depth=1
	v_and_b32_e32 v2, 0xffff, v1
	v_or_b32_e32 v102, 0x10000, v1
	s_delay_alu instid0(VALU_DEP_2) | instskip(NEXT) | instid1(VALU_DEP_1)
	v_cmp_eq_u32_e64 s0, 0, v2
	v_cndmask_b32_e64 v102, v102, v1, s0
; %bb.287:                              ;   in Loop: Header=BB176_33 Depth=1
	s_or_b32 exec_lo, exec_lo, s8
	v_lshlrev_b32_e32 v1, 16, v3
                                        ; implicit-def: $vgpr103
	s_delay_alu instid0(VALU_DEP_1) | instskip(NEXT) | instid1(VALU_DEP_1)
	v_mul_f32_e32 v1, v60, v1
	v_and_b32_e32 v2, 0x7f800000, v1
	s_delay_alu instid0(VALU_DEP_1) | instskip(NEXT) | instid1(VALU_DEP_1)
	v_cmp_ne_u32_e64 s0, 0x7f800000, v2
	s_and_saveexec_b32 s8, s0
	s_delay_alu instid0(SALU_CYCLE_1)
	s_xor_b32 s0, exec_lo, s8
; %bb.288:                              ;   in Loop: Header=BB176_33 Depth=1
	v_bfe_u32 v2, v1, 16, 1
	s_delay_alu instid0(VALU_DEP_1)
	v_add3_u32 v103, v1, v2, 0x7fff
                                        ; implicit-def: $vgpr1
; %bb.289:                              ;   in Loop: Header=BB176_33 Depth=1
	s_and_not1_saveexec_b32 s8, s0
; %bb.290:                              ;   in Loop: Header=BB176_33 Depth=1
	v_and_b32_e32 v2, 0xffff, v1
	v_or_b32_e32 v3, 0x10000, v1
	s_delay_alu instid0(VALU_DEP_2) | instskip(NEXT) | instid1(VALU_DEP_1)
	v_cmp_eq_u32_e64 s0, 0, v2
	v_cndmask_b32_e64 v103, v3, v1, s0
; %bb.291:                              ;   in Loop: Header=BB176_33 Depth=1
	s_or_b32 exec_lo, exec_lo, s8
	v_lshlrev_b32_e32 v1, 16, v104
                                        ; implicit-def: $vgpr104
	s_delay_alu instid0(VALU_DEP_1) | instskip(NEXT) | instid1(VALU_DEP_1)
	v_mul_f32_e32 v1, v61, v1
	v_and_b32_e32 v2, 0x7f800000, v1
	s_delay_alu instid0(VALU_DEP_1) | instskip(NEXT) | instid1(VALU_DEP_1)
	v_cmp_ne_u32_e64 s0, 0x7f800000, v2
	s_and_saveexec_b32 s8, s0
	s_delay_alu instid0(SALU_CYCLE_1)
	s_xor_b32 s0, exec_lo, s8
; %bb.292:                              ;   in Loop: Header=BB176_33 Depth=1
	v_bfe_u32 v2, v1, 16, 1
	s_delay_alu instid0(VALU_DEP_1)
	v_add3_u32 v104, v1, v2, 0x7fff
                                        ; implicit-def: $vgpr1
; %bb.293:                              ;   in Loop: Header=BB176_33 Depth=1
	s_and_not1_saveexec_b32 s8, s0
; %bb.294:                              ;   in Loop: Header=BB176_33 Depth=1
	v_and_b32_e32 v2, 0xffff, v1
	v_or_b32_e32 v3, 0x10000, v1
	s_delay_alu instid0(VALU_DEP_2) | instskip(NEXT) | instid1(VALU_DEP_1)
	v_cmp_eq_u32_e64 s0, 0, v2
	v_cndmask_b32_e64 v104, v3, v1, s0
; %bb.295:                              ;   in Loop: Header=BB176_33 Depth=1
	s_or_b32 exec_lo, exec_lo, s8
	v_lshlrev_b32_e32 v1, 16, v4
                                        ; implicit-def: $vgpr105
	s_delay_alu instid0(VALU_DEP_1) | instskip(NEXT) | instid1(VALU_DEP_1)
	v_mul_f32_e32 v1, v62, v1
	v_and_b32_e32 v2, 0x7f800000, v1
	s_delay_alu instid0(VALU_DEP_1) | instskip(NEXT) | instid1(VALU_DEP_1)
	v_cmp_ne_u32_e64 s0, 0x7f800000, v2
	s_and_saveexec_b32 s8, s0
	s_delay_alu instid0(SALU_CYCLE_1)
	s_xor_b32 s0, exec_lo, s8
; %bb.296:                              ;   in Loop: Header=BB176_33 Depth=1
	v_bfe_u32 v2, v1, 16, 1
	s_delay_alu instid0(VALU_DEP_1)
	v_add3_u32 v105, v1, v2, 0x7fff
                                        ; implicit-def: $vgpr1
; %bb.297:                              ;   in Loop: Header=BB176_33 Depth=1
	s_and_not1_saveexec_b32 s8, s0
; %bb.298:                              ;   in Loop: Header=BB176_33 Depth=1
	v_and_b32_e32 v2, 0xffff, v1
	v_or_b32_e32 v3, 0x10000, v1
	s_delay_alu instid0(VALU_DEP_2) | instskip(NEXT) | instid1(VALU_DEP_1)
	v_cmp_eq_u32_e64 s0, 0, v2
	v_cndmask_b32_e64 v105, v3, v1, s0
; %bb.299:                              ;   in Loop: Header=BB176_33 Depth=1
	s_or_b32 exec_lo, exec_lo, s8
	v_lshlrev_b32_e32 v1, 16, v106
                                        ; implicit-def: $vgpr106
	s_delay_alu instid0(VALU_DEP_1) | instskip(NEXT) | instid1(VALU_DEP_1)
	v_mul_f32_e32 v1, v63, v1
	v_and_b32_e32 v2, 0x7f800000, v1
	s_delay_alu instid0(VALU_DEP_1) | instskip(NEXT) | instid1(VALU_DEP_1)
	v_cmp_ne_u32_e64 s0, 0x7f800000, v2
	s_and_saveexec_b32 s8, s0
	s_delay_alu instid0(SALU_CYCLE_1)
	s_xor_b32 s0, exec_lo, s8
; %bb.300:                              ;   in Loop: Header=BB176_33 Depth=1
	v_bfe_u32 v2, v1, 16, 1
	s_delay_alu instid0(VALU_DEP_1)
	v_add3_u32 v106, v1, v2, 0x7fff
                                        ; implicit-def: $vgpr1
; %bb.301:                              ;   in Loop: Header=BB176_33 Depth=1
	s_and_not1_saveexec_b32 s8, s0
; %bb.302:                              ;   in Loop: Header=BB176_33 Depth=1
	v_and_b32_e32 v2, 0xffff, v1
	v_or_b32_e32 v3, 0x10000, v1
	s_delay_alu instid0(VALU_DEP_2) | instskip(NEXT) | instid1(VALU_DEP_1)
	v_cmp_eq_u32_e64 s0, 0, v2
	v_cndmask_b32_e64 v106, v3, v1, s0
; %bb.303:                              ;   in Loop: Header=BB176_33 Depth=1
	s_or_b32 exec_lo, exec_lo, s8
	global_load_b128 v[1:4], v[5:6], off offset:3584
	s_waitcnt vmcnt(0)
	v_lshrrev_b32_e32 v6, 16, v1
	v_lshrrev_b32_e32 v108, 16, v2
	;; [unrolled: 1-line block ×4, first 2 shown]
	s_and_saveexec_b32 s8, vcc_lo
	s_cbranch_execz .LBB176_305
; %bb.304:                              ;   in Loop: Header=BB176_33 Depth=1
	v_cmp_gt_i32_e64 s0, s30, v45
	s_delay_alu instid0(VALU_DEP_1) | instskip(SKIP_1) | instid1(VALU_DEP_1)
	v_cndmask_b32_e64 v1, 0, v1, s0
	v_cmp_gt_i32_e64 s0, s30, v52
	v_cndmask_b32_e64 v6, 0, v6, s0
	v_cmp_gt_i32_e64 s0, s30, v49
	s_delay_alu instid0(VALU_DEP_1) | instskip(SKIP_1) | instid1(VALU_DEP_1)
	v_cndmask_b32_e64 v2, 0, v2, s0
	v_cmp_gt_i32_e64 s0, s30, v48
	v_cndmask_b32_e64 v108, 0, v108, s0
	;; [unrolled: 5-line block ×4, first 2 shown]
.LBB176_305:                            ;   in Loop: Header=BB176_33 Depth=1
	s_or_b32 exec_lo, exec_lo, s8
	v_lshlrev_b32_e32 v1, 16, v1
	s_delay_alu instid0(VALU_DEP_1) | instskip(NEXT) | instid1(VALU_DEP_1)
	v_mul_f32_e32 v1, v56, v1
	v_and_b32_e32 v5, 0x7f800000, v1
	s_delay_alu instid0(VALU_DEP_1) | instskip(NEXT) | instid1(VALU_DEP_1)
	v_cmp_ne_u32_e64 s0, 0x7f800000, v5
                                        ; implicit-def: $vgpr5
	s_and_saveexec_b32 s8, s0
	s_delay_alu instid0(SALU_CYCLE_1)
	s_xor_b32 s0, exec_lo, s8
; %bb.306:                              ;   in Loop: Header=BB176_33 Depth=1
	v_bfe_u32 v5, v1, 16, 1
	s_delay_alu instid0(VALU_DEP_1)
	v_add3_u32 v5, v1, v5, 0x7fff
                                        ; implicit-def: $vgpr1
; %bb.307:                              ;   in Loop: Header=BB176_33 Depth=1
	s_and_not1_saveexec_b32 s8, s0
; %bb.308:                              ;   in Loop: Header=BB176_33 Depth=1
	v_and_b32_e32 v5, 0xffff, v1
	v_or_b32_e32 v107, 0x10000, v1
	s_delay_alu instid0(VALU_DEP_2) | instskip(NEXT) | instid1(VALU_DEP_1)
	v_cmp_eq_u32_e64 s0, 0, v5
	v_cndmask_b32_e64 v5, v107, v1, s0
; %bb.309:                              ;   in Loop: Header=BB176_33 Depth=1
	s_or_b32 exec_lo, exec_lo, s8
	v_lshlrev_b32_e32 v1, 16, v6
	s_delay_alu instid0(VALU_DEP_1) | instskip(NEXT) | instid1(VALU_DEP_1)
	v_mul_f32_e32 v1, v57, v1
	v_and_b32_e32 v6, 0x7f800000, v1
	s_delay_alu instid0(VALU_DEP_1) | instskip(NEXT) | instid1(VALU_DEP_1)
	v_cmp_ne_u32_e64 s0, 0x7f800000, v6
                                        ; implicit-def: $vgpr6
	s_and_saveexec_b32 s8, s0
	s_delay_alu instid0(SALU_CYCLE_1)
	s_xor_b32 s0, exec_lo, s8
; %bb.310:                              ;   in Loop: Header=BB176_33 Depth=1
	v_bfe_u32 v6, v1, 16, 1
	s_delay_alu instid0(VALU_DEP_1)
	v_add3_u32 v6, v1, v6, 0x7fff
                                        ; implicit-def: $vgpr1
; %bb.311:                              ;   in Loop: Header=BB176_33 Depth=1
	s_and_not1_saveexec_b32 s8, s0
; %bb.312:                              ;   in Loop: Header=BB176_33 Depth=1
	v_and_b32_e32 v6, 0xffff, v1
	v_or_b32_e32 v107, 0x10000, v1
	s_delay_alu instid0(VALU_DEP_2) | instskip(NEXT) | instid1(VALU_DEP_1)
	v_cmp_eq_u32_e64 s0, 0, v6
	v_cndmask_b32_e64 v6, v107, v1, s0
; %bb.313:                              ;   in Loop: Header=BB176_33 Depth=1
	s_or_b32 exec_lo, exec_lo, s8
	v_lshlrev_b32_e32 v1, 16, v2
                                        ; implicit-def: $vgpr107
	s_delay_alu instid0(VALU_DEP_1) | instskip(NEXT) | instid1(VALU_DEP_1)
	v_mul_f32_e32 v1, v58, v1
	v_and_b32_e32 v2, 0x7f800000, v1
	s_delay_alu instid0(VALU_DEP_1) | instskip(NEXT) | instid1(VALU_DEP_1)
	v_cmp_ne_u32_e64 s0, 0x7f800000, v2
	s_and_saveexec_b32 s8, s0
	s_delay_alu instid0(SALU_CYCLE_1)
	s_xor_b32 s0, exec_lo, s8
; %bb.314:                              ;   in Loop: Header=BB176_33 Depth=1
	v_bfe_u32 v2, v1, 16, 1
	s_delay_alu instid0(VALU_DEP_1)
	v_add3_u32 v107, v1, v2, 0x7fff
                                        ; implicit-def: $vgpr1
; %bb.315:                              ;   in Loop: Header=BB176_33 Depth=1
	s_and_not1_saveexec_b32 s8, s0
; %bb.316:                              ;   in Loop: Header=BB176_33 Depth=1
	v_and_b32_e32 v2, 0xffff, v1
	v_or_b32_e32 v107, 0x10000, v1
	s_delay_alu instid0(VALU_DEP_2) | instskip(NEXT) | instid1(VALU_DEP_1)
	v_cmp_eq_u32_e64 s0, 0, v2
	v_cndmask_b32_e64 v107, v107, v1, s0
; %bb.317:                              ;   in Loop: Header=BB176_33 Depth=1
	s_or_b32 exec_lo, exec_lo, s8
	v_lshlrev_b32_e32 v1, 16, v108
                                        ; implicit-def: $vgpr108
	s_delay_alu instid0(VALU_DEP_1) | instskip(NEXT) | instid1(VALU_DEP_1)
	v_mul_f32_e32 v1, v59, v1
	v_and_b32_e32 v2, 0x7f800000, v1
	s_delay_alu instid0(VALU_DEP_1) | instskip(NEXT) | instid1(VALU_DEP_1)
	v_cmp_ne_u32_e64 s0, 0x7f800000, v2
	s_and_saveexec_b32 s8, s0
	s_delay_alu instid0(SALU_CYCLE_1)
	s_xor_b32 s0, exec_lo, s8
; %bb.318:                              ;   in Loop: Header=BB176_33 Depth=1
	v_bfe_u32 v2, v1, 16, 1
	s_delay_alu instid0(VALU_DEP_1)
	v_add3_u32 v108, v1, v2, 0x7fff
                                        ; implicit-def: $vgpr1
; %bb.319:                              ;   in Loop: Header=BB176_33 Depth=1
	s_and_not1_saveexec_b32 s8, s0
; %bb.320:                              ;   in Loop: Header=BB176_33 Depth=1
	v_and_b32_e32 v2, 0xffff, v1
	v_or_b32_e32 v108, 0x10000, v1
	s_delay_alu instid0(VALU_DEP_2) | instskip(NEXT) | instid1(VALU_DEP_1)
	v_cmp_eq_u32_e64 s0, 0, v2
	v_cndmask_b32_e64 v108, v108, v1, s0
; %bb.321:                              ;   in Loop: Header=BB176_33 Depth=1
	s_or_b32 exec_lo, exec_lo, s8
	v_lshlrev_b32_e32 v1, 16, v3
                                        ; implicit-def: $vgpr109
	s_delay_alu instid0(VALU_DEP_1) | instskip(NEXT) | instid1(VALU_DEP_1)
	v_mul_f32_e32 v1, v60, v1
	v_and_b32_e32 v2, 0x7f800000, v1
	s_delay_alu instid0(VALU_DEP_1) | instskip(NEXT) | instid1(VALU_DEP_1)
	v_cmp_ne_u32_e64 s0, 0x7f800000, v2
	s_and_saveexec_b32 s8, s0
	s_delay_alu instid0(SALU_CYCLE_1)
	s_xor_b32 s0, exec_lo, s8
; %bb.322:                              ;   in Loop: Header=BB176_33 Depth=1
	v_bfe_u32 v2, v1, 16, 1
	s_delay_alu instid0(VALU_DEP_1)
	v_add3_u32 v109, v1, v2, 0x7fff
                                        ; implicit-def: $vgpr1
; %bb.323:                              ;   in Loop: Header=BB176_33 Depth=1
	s_and_not1_saveexec_b32 s8, s0
; %bb.324:                              ;   in Loop: Header=BB176_33 Depth=1
	v_and_b32_e32 v2, 0xffff, v1
	v_or_b32_e32 v3, 0x10000, v1
	s_delay_alu instid0(VALU_DEP_2) | instskip(NEXT) | instid1(VALU_DEP_1)
	v_cmp_eq_u32_e64 s0, 0, v2
	v_cndmask_b32_e64 v109, v3, v1, s0
; %bb.325:                              ;   in Loop: Header=BB176_33 Depth=1
	s_or_b32 exec_lo, exec_lo, s8
	v_lshlrev_b32_e32 v1, 16, v110
                                        ; implicit-def: $vgpr110
	s_delay_alu instid0(VALU_DEP_1) | instskip(NEXT) | instid1(VALU_DEP_1)
	v_mul_f32_e32 v1, v61, v1
	v_and_b32_e32 v2, 0x7f800000, v1
	s_delay_alu instid0(VALU_DEP_1) | instskip(NEXT) | instid1(VALU_DEP_1)
	v_cmp_ne_u32_e64 s0, 0x7f800000, v2
	s_and_saveexec_b32 s8, s0
	s_delay_alu instid0(SALU_CYCLE_1)
	s_xor_b32 s0, exec_lo, s8
; %bb.326:                              ;   in Loop: Header=BB176_33 Depth=1
	v_bfe_u32 v2, v1, 16, 1
	s_delay_alu instid0(VALU_DEP_1)
	v_add3_u32 v110, v1, v2, 0x7fff
                                        ; implicit-def: $vgpr1
; %bb.327:                              ;   in Loop: Header=BB176_33 Depth=1
	s_and_not1_saveexec_b32 s8, s0
; %bb.328:                              ;   in Loop: Header=BB176_33 Depth=1
	v_and_b32_e32 v2, 0xffff, v1
	v_or_b32_e32 v3, 0x10000, v1
	s_delay_alu instid0(VALU_DEP_2) | instskip(NEXT) | instid1(VALU_DEP_1)
	v_cmp_eq_u32_e64 s0, 0, v2
	v_cndmask_b32_e64 v110, v3, v1, s0
; %bb.329:                              ;   in Loop: Header=BB176_33 Depth=1
	s_or_b32 exec_lo, exec_lo, s8
	v_lshlrev_b32_e32 v1, 16, v4
                                        ; implicit-def: $vgpr111
	s_delay_alu instid0(VALU_DEP_1) | instskip(NEXT) | instid1(VALU_DEP_1)
	v_mul_f32_e32 v1, v62, v1
	v_and_b32_e32 v2, 0x7f800000, v1
	s_delay_alu instid0(VALU_DEP_1) | instskip(NEXT) | instid1(VALU_DEP_1)
	v_cmp_ne_u32_e64 s0, 0x7f800000, v2
	s_and_saveexec_b32 s8, s0
	s_delay_alu instid0(SALU_CYCLE_1)
	s_xor_b32 s0, exec_lo, s8
; %bb.330:                              ;   in Loop: Header=BB176_33 Depth=1
	v_bfe_u32 v2, v1, 16, 1
	s_delay_alu instid0(VALU_DEP_1)
	v_add3_u32 v111, v1, v2, 0x7fff
                                        ; implicit-def: $vgpr1
; %bb.331:                              ;   in Loop: Header=BB176_33 Depth=1
	s_and_not1_saveexec_b32 s8, s0
; %bb.332:                              ;   in Loop: Header=BB176_33 Depth=1
	v_and_b32_e32 v2, 0xffff, v1
	v_or_b32_e32 v3, 0x10000, v1
	s_delay_alu instid0(VALU_DEP_2) | instskip(NEXT) | instid1(VALU_DEP_1)
	v_cmp_eq_u32_e64 s0, 0, v2
	v_cndmask_b32_e64 v111, v3, v1, s0
; %bb.333:                              ;   in Loop: Header=BB176_33 Depth=1
	s_or_b32 exec_lo, exec_lo, s8
	v_lshlrev_b32_e32 v1, 16, v112
                                        ; implicit-def: $vgpr112
	s_delay_alu instid0(VALU_DEP_1) | instskip(NEXT) | instid1(VALU_DEP_1)
	v_mul_f32_e32 v1, v63, v1
	v_and_b32_e32 v2, 0x7f800000, v1
	s_delay_alu instid0(VALU_DEP_1) | instskip(NEXT) | instid1(VALU_DEP_1)
	v_cmp_ne_u32_e64 s0, 0x7f800000, v2
	s_and_saveexec_b32 s8, s0
	s_delay_alu instid0(SALU_CYCLE_1)
	s_xor_b32 s0, exec_lo, s8
; %bb.334:                              ;   in Loop: Header=BB176_33 Depth=1
	v_bfe_u32 v2, v1, 16, 1
	s_delay_alu instid0(VALU_DEP_1)
	v_add3_u32 v112, v1, v2, 0x7fff
                                        ; implicit-def: $vgpr1
; %bb.335:                              ;   in Loop: Header=BB176_33 Depth=1
	s_and_not1_saveexec_b32 s8, s0
; %bb.336:                              ;   in Loop: Header=BB176_33 Depth=1
	v_and_b32_e32 v2, 0xffff, v1
	v_or_b32_e32 v3, 0x10000, v1
	s_delay_alu instid0(VALU_DEP_2) | instskip(NEXT) | instid1(VALU_DEP_1)
	v_cmp_eq_u32_e64 s0, 0, v2
	v_cndmask_b32_e64 v112, v3, v1, s0
; %bb.337:                              ;   in Loop: Header=BB176_33 Depth=1
	s_or_b32 exec_lo, exec_lo, s8
	v_add_co_u32 v1, s0, v53, v32
	s_delay_alu instid0(VALU_DEP_1)
	v_add_co_ci_u32_e64 v2, s0, 0, v54, s0
	global_load_b128 v[1:4], v[1:2], off
	s_waitcnt vmcnt(0)
	v_lshrrev_b32_e32 v114, 16, v1
	v_lshrrev_b32_e32 v116, 16, v2
	;; [unrolled: 1-line block ×4, first 2 shown]
	s_and_saveexec_b32 s8, vcc_lo
	s_cbranch_execz .LBB176_339
; %bb.338:                              ;   in Loop: Header=BB176_33 Depth=1
	v_cmp_gt_i32_e64 s0, s30, v45
	s_delay_alu instid0(VALU_DEP_1) | instskip(SKIP_1) | instid1(VALU_DEP_1)
	v_cndmask_b32_e64 v1, 0, v1, s0
	v_cmp_gt_i32_e64 s0, s30, v52
	v_cndmask_b32_e64 v114, 0, v114, s0
	v_cmp_gt_i32_e64 s0, s30, v49
	s_delay_alu instid0(VALU_DEP_1) | instskip(SKIP_1) | instid1(VALU_DEP_1)
	v_cndmask_b32_e64 v2, 0, v2, s0
	v_cmp_gt_i32_e64 s0, s30, v48
	v_cndmask_b32_e64 v116, 0, v116, s0
	v_cmp_gt_i32_e64 s0, s30, v47
	s_delay_alu instid0(VALU_DEP_1) | instskip(SKIP_1) | instid1(VALU_DEP_1)
	v_cndmask_b32_e64 v3, 0, v3, s0
	v_cmp_gt_i32_e64 s0, s30, v46
	v_cndmask_b32_e64 v118, 0, v118, s0
	v_cmp_gt_i32_e64 s0, s30, v50
	s_delay_alu instid0(VALU_DEP_1) | instskip(SKIP_1) | instid1(VALU_DEP_1)
	v_cndmask_b32_e64 v4, 0, v4, s0
	v_cmp_gt_i32_e64 s0, s30, v29
	v_cndmask_b32_e64 v120, 0, v120, s0
.LBB176_339:                            ;   in Loop: Header=BB176_33 Depth=1
	s_or_b32 exec_lo, exec_lo, s8
	v_lshlrev_b32_e32 v1, 16, v1
	s_delay_alu instid0(VALU_DEP_1) | instskip(NEXT) | instid1(VALU_DEP_1)
	v_mul_f32_e32 v1, v56, v1
	v_and_b32_e32 v113, 0x7f800000, v1
	s_delay_alu instid0(VALU_DEP_1) | instskip(NEXT) | instid1(VALU_DEP_1)
	v_cmp_ne_u32_e64 s0, 0x7f800000, v113
                                        ; implicit-def: $vgpr113
	s_and_saveexec_b32 s8, s0
	s_delay_alu instid0(SALU_CYCLE_1)
	s_xor_b32 s0, exec_lo, s8
; %bb.340:                              ;   in Loop: Header=BB176_33 Depth=1
	v_bfe_u32 v113, v1, 16, 1
	s_delay_alu instid0(VALU_DEP_1)
	v_add3_u32 v113, v1, v113, 0x7fff
                                        ; implicit-def: $vgpr1
; %bb.341:                              ;   in Loop: Header=BB176_33 Depth=1
	s_and_not1_saveexec_b32 s8, s0
; %bb.342:                              ;   in Loop: Header=BB176_33 Depth=1
	v_and_b32_e32 v113, 0xffff, v1
	v_or_b32_e32 v115, 0x10000, v1
	s_delay_alu instid0(VALU_DEP_2) | instskip(NEXT) | instid1(VALU_DEP_1)
	v_cmp_eq_u32_e64 s0, 0, v113
	v_cndmask_b32_e64 v113, v115, v1, s0
; %bb.343:                              ;   in Loop: Header=BB176_33 Depth=1
	s_or_b32 exec_lo, exec_lo, s8
	v_lshlrev_b32_e32 v1, 16, v114
	s_delay_alu instid0(VALU_DEP_1) | instskip(NEXT) | instid1(VALU_DEP_1)
	v_mul_f32_e32 v1, v57, v1
	v_and_b32_e32 v114, 0x7f800000, v1
	s_delay_alu instid0(VALU_DEP_1) | instskip(NEXT) | instid1(VALU_DEP_1)
	v_cmp_ne_u32_e64 s0, 0x7f800000, v114
                                        ; implicit-def: $vgpr114
	s_and_saveexec_b32 s8, s0
	s_delay_alu instid0(SALU_CYCLE_1)
	s_xor_b32 s0, exec_lo, s8
; %bb.344:                              ;   in Loop: Header=BB176_33 Depth=1
	v_bfe_u32 v114, v1, 16, 1
	s_delay_alu instid0(VALU_DEP_1)
	v_add3_u32 v114, v1, v114, 0x7fff
                                        ; implicit-def: $vgpr1
; %bb.345:                              ;   in Loop: Header=BB176_33 Depth=1
	s_and_not1_saveexec_b32 s8, s0
; %bb.346:                              ;   in Loop: Header=BB176_33 Depth=1
	v_and_b32_e32 v114, 0xffff, v1
	v_or_b32_e32 v115, 0x10000, v1
	s_delay_alu instid0(VALU_DEP_2) | instskip(NEXT) | instid1(VALU_DEP_1)
	v_cmp_eq_u32_e64 s0, 0, v114
	v_cndmask_b32_e64 v114, v115, v1, s0
; %bb.347:                              ;   in Loop: Header=BB176_33 Depth=1
	s_or_b32 exec_lo, exec_lo, s8
	v_lshlrev_b32_e32 v1, 16, v2
                                        ; implicit-def: $vgpr115
	s_delay_alu instid0(VALU_DEP_1) | instskip(NEXT) | instid1(VALU_DEP_1)
	v_mul_f32_e32 v1, v58, v1
	v_and_b32_e32 v2, 0x7f800000, v1
	s_delay_alu instid0(VALU_DEP_1) | instskip(NEXT) | instid1(VALU_DEP_1)
	v_cmp_ne_u32_e64 s0, 0x7f800000, v2
	s_and_saveexec_b32 s8, s0
	s_delay_alu instid0(SALU_CYCLE_1)
	s_xor_b32 s0, exec_lo, s8
; %bb.348:                              ;   in Loop: Header=BB176_33 Depth=1
	v_bfe_u32 v2, v1, 16, 1
	s_delay_alu instid0(VALU_DEP_1)
	v_add3_u32 v115, v1, v2, 0x7fff
                                        ; implicit-def: $vgpr1
; %bb.349:                              ;   in Loop: Header=BB176_33 Depth=1
	s_and_not1_saveexec_b32 s8, s0
; %bb.350:                              ;   in Loop: Header=BB176_33 Depth=1
	v_and_b32_e32 v2, 0xffff, v1
	v_or_b32_e32 v115, 0x10000, v1
	s_delay_alu instid0(VALU_DEP_2) | instskip(NEXT) | instid1(VALU_DEP_1)
	v_cmp_eq_u32_e64 s0, 0, v2
	v_cndmask_b32_e64 v115, v115, v1, s0
; %bb.351:                              ;   in Loop: Header=BB176_33 Depth=1
	s_or_b32 exec_lo, exec_lo, s8
	v_lshlrev_b32_e32 v1, 16, v116
                                        ; implicit-def: $vgpr116
	s_delay_alu instid0(VALU_DEP_1) | instskip(NEXT) | instid1(VALU_DEP_1)
	v_mul_f32_e32 v1, v59, v1
	v_and_b32_e32 v2, 0x7f800000, v1
	s_delay_alu instid0(VALU_DEP_1) | instskip(NEXT) | instid1(VALU_DEP_1)
	v_cmp_ne_u32_e64 s0, 0x7f800000, v2
	s_and_saveexec_b32 s8, s0
	s_delay_alu instid0(SALU_CYCLE_1)
	s_xor_b32 s0, exec_lo, s8
; %bb.352:                              ;   in Loop: Header=BB176_33 Depth=1
	v_bfe_u32 v2, v1, 16, 1
	s_delay_alu instid0(VALU_DEP_1)
	v_add3_u32 v116, v1, v2, 0x7fff
                                        ; implicit-def: $vgpr1
; %bb.353:                              ;   in Loop: Header=BB176_33 Depth=1
	s_and_not1_saveexec_b32 s8, s0
; %bb.354:                              ;   in Loop: Header=BB176_33 Depth=1
	v_and_b32_e32 v2, 0xffff, v1
	v_or_b32_e32 v116, 0x10000, v1
	s_delay_alu instid0(VALU_DEP_2) | instskip(NEXT) | instid1(VALU_DEP_1)
	v_cmp_eq_u32_e64 s0, 0, v2
	v_cndmask_b32_e64 v116, v116, v1, s0
; %bb.355:                              ;   in Loop: Header=BB176_33 Depth=1
	s_or_b32 exec_lo, exec_lo, s8
	v_lshlrev_b32_e32 v1, 16, v3
                                        ; implicit-def: $vgpr117
	s_delay_alu instid0(VALU_DEP_1) | instskip(NEXT) | instid1(VALU_DEP_1)
	v_mul_f32_e32 v1, v60, v1
	v_and_b32_e32 v2, 0x7f800000, v1
	s_delay_alu instid0(VALU_DEP_1) | instskip(NEXT) | instid1(VALU_DEP_1)
	v_cmp_ne_u32_e64 s0, 0x7f800000, v2
	s_and_saveexec_b32 s8, s0
	s_delay_alu instid0(SALU_CYCLE_1)
	s_xor_b32 s0, exec_lo, s8
; %bb.356:                              ;   in Loop: Header=BB176_33 Depth=1
	v_bfe_u32 v2, v1, 16, 1
	s_delay_alu instid0(VALU_DEP_1)
	v_add3_u32 v117, v1, v2, 0x7fff
                                        ; implicit-def: $vgpr1
; %bb.357:                              ;   in Loop: Header=BB176_33 Depth=1
	s_and_not1_saveexec_b32 s8, s0
; %bb.358:                              ;   in Loop: Header=BB176_33 Depth=1
	v_and_b32_e32 v2, 0xffff, v1
	v_or_b32_e32 v3, 0x10000, v1
	s_delay_alu instid0(VALU_DEP_2) | instskip(NEXT) | instid1(VALU_DEP_1)
	v_cmp_eq_u32_e64 s0, 0, v2
	v_cndmask_b32_e64 v117, v3, v1, s0
; %bb.359:                              ;   in Loop: Header=BB176_33 Depth=1
	s_or_b32 exec_lo, exec_lo, s8
	v_lshlrev_b32_e32 v1, 16, v118
                                        ; implicit-def: $vgpr118
	s_delay_alu instid0(VALU_DEP_1) | instskip(NEXT) | instid1(VALU_DEP_1)
	v_mul_f32_e32 v1, v61, v1
	v_and_b32_e32 v2, 0x7f800000, v1
	s_delay_alu instid0(VALU_DEP_1) | instskip(NEXT) | instid1(VALU_DEP_1)
	v_cmp_ne_u32_e64 s0, 0x7f800000, v2
	s_and_saveexec_b32 s8, s0
	s_delay_alu instid0(SALU_CYCLE_1)
	s_xor_b32 s0, exec_lo, s8
; %bb.360:                              ;   in Loop: Header=BB176_33 Depth=1
	v_bfe_u32 v2, v1, 16, 1
	s_delay_alu instid0(VALU_DEP_1)
	v_add3_u32 v118, v1, v2, 0x7fff
                                        ; implicit-def: $vgpr1
; %bb.361:                              ;   in Loop: Header=BB176_33 Depth=1
	s_and_not1_saveexec_b32 s8, s0
; %bb.362:                              ;   in Loop: Header=BB176_33 Depth=1
	v_and_b32_e32 v2, 0xffff, v1
	v_or_b32_e32 v3, 0x10000, v1
	s_delay_alu instid0(VALU_DEP_2) | instskip(NEXT) | instid1(VALU_DEP_1)
	v_cmp_eq_u32_e64 s0, 0, v2
	v_cndmask_b32_e64 v118, v3, v1, s0
; %bb.363:                              ;   in Loop: Header=BB176_33 Depth=1
	s_or_b32 exec_lo, exec_lo, s8
	v_lshlrev_b32_e32 v1, 16, v4
                                        ; implicit-def: $vgpr119
	s_delay_alu instid0(VALU_DEP_1) | instskip(NEXT) | instid1(VALU_DEP_1)
	v_mul_f32_e32 v1, v62, v1
	v_and_b32_e32 v2, 0x7f800000, v1
	s_delay_alu instid0(VALU_DEP_1) | instskip(NEXT) | instid1(VALU_DEP_1)
	v_cmp_ne_u32_e64 s0, 0x7f800000, v2
	s_and_saveexec_b32 s8, s0
	s_delay_alu instid0(SALU_CYCLE_1)
	s_xor_b32 s0, exec_lo, s8
; %bb.364:                              ;   in Loop: Header=BB176_33 Depth=1
	v_bfe_u32 v2, v1, 16, 1
	s_delay_alu instid0(VALU_DEP_1)
	v_add3_u32 v119, v1, v2, 0x7fff
                                        ; implicit-def: $vgpr1
; %bb.365:                              ;   in Loop: Header=BB176_33 Depth=1
	s_and_not1_saveexec_b32 s8, s0
; %bb.366:                              ;   in Loop: Header=BB176_33 Depth=1
	v_and_b32_e32 v2, 0xffff, v1
	v_or_b32_e32 v3, 0x10000, v1
	s_delay_alu instid0(VALU_DEP_2) | instskip(NEXT) | instid1(VALU_DEP_1)
	v_cmp_eq_u32_e64 s0, 0, v2
	v_cndmask_b32_e64 v119, v3, v1, s0
; %bb.367:                              ;   in Loop: Header=BB176_33 Depth=1
	s_or_b32 exec_lo, exec_lo, s8
	v_lshlrev_b32_e32 v1, 16, v120
                                        ; implicit-def: $vgpr120
	s_delay_alu instid0(VALU_DEP_1) | instskip(NEXT) | instid1(VALU_DEP_1)
	v_mul_f32_e32 v1, v63, v1
	v_and_b32_e32 v2, 0x7f800000, v1
	s_delay_alu instid0(VALU_DEP_1) | instskip(NEXT) | instid1(VALU_DEP_1)
	v_cmp_ne_u32_e64 s0, 0x7f800000, v2
	s_and_saveexec_b32 s8, s0
	s_delay_alu instid0(SALU_CYCLE_1)
	s_xor_b32 s0, exec_lo, s8
; %bb.368:                              ;   in Loop: Header=BB176_33 Depth=1
	v_bfe_u32 v2, v1, 16, 1
	s_delay_alu instid0(VALU_DEP_1)
	v_add3_u32 v120, v1, v2, 0x7fff
                                        ; implicit-def: $vgpr1
; %bb.369:                              ;   in Loop: Header=BB176_33 Depth=1
	s_and_not1_saveexec_b32 s8, s0
; %bb.370:                              ;   in Loop: Header=BB176_33 Depth=1
	v_and_b32_e32 v2, 0xffff, v1
	v_or_b32_e32 v3, 0x10000, v1
	s_delay_alu instid0(VALU_DEP_2) | instskip(NEXT) | instid1(VALU_DEP_1)
	v_cmp_eq_u32_e64 s0, 0, v2
	v_cndmask_b32_e64 v120, v3, v1, s0
; %bb.371:                              ;   in Loop: Header=BB176_33 Depth=1
	s_or_b32 exec_lo, exec_lo, s8
	v_add_co_u32 v1, s0, v53, v33
	s_delay_alu instid0(VALU_DEP_1)
	v_add_co_ci_u32_e64 v2, s0, 0, v54, s0
	global_load_b128 v[1:4], v[1:2], off
	s_waitcnt vmcnt(0)
	v_lshrrev_b32_e32 v122, 16, v1
	v_lshrrev_b32_e32 v124, 16, v2
	;; [unrolled: 1-line block ×4, first 2 shown]
	s_and_saveexec_b32 s8, vcc_lo
	s_cbranch_execz .LBB176_373
; %bb.372:                              ;   in Loop: Header=BB176_33 Depth=1
	v_cmp_gt_i32_e64 s0, s30, v45
	s_delay_alu instid0(VALU_DEP_1) | instskip(SKIP_1) | instid1(VALU_DEP_1)
	v_cndmask_b32_e64 v1, 0, v1, s0
	v_cmp_gt_i32_e64 s0, s30, v52
	v_cndmask_b32_e64 v122, 0, v122, s0
	v_cmp_gt_i32_e64 s0, s30, v49
	s_delay_alu instid0(VALU_DEP_1) | instskip(SKIP_1) | instid1(VALU_DEP_1)
	v_cndmask_b32_e64 v2, 0, v2, s0
	v_cmp_gt_i32_e64 s0, s30, v48
	v_cndmask_b32_e64 v124, 0, v124, s0
	;; [unrolled: 5-line block ×4, first 2 shown]
.LBB176_373:                            ;   in Loop: Header=BB176_33 Depth=1
	s_or_b32 exec_lo, exec_lo, s8
	v_lshlrev_b32_e32 v1, 16, v1
	s_delay_alu instid0(VALU_DEP_1) | instskip(NEXT) | instid1(VALU_DEP_1)
	v_mul_f32_e32 v1, v56, v1
	v_and_b32_e32 v121, 0x7f800000, v1
	s_delay_alu instid0(VALU_DEP_1) | instskip(NEXT) | instid1(VALU_DEP_1)
	v_cmp_ne_u32_e64 s0, 0x7f800000, v121
                                        ; implicit-def: $vgpr121
	s_and_saveexec_b32 s8, s0
	s_delay_alu instid0(SALU_CYCLE_1)
	s_xor_b32 s0, exec_lo, s8
; %bb.374:                              ;   in Loop: Header=BB176_33 Depth=1
	v_bfe_u32 v121, v1, 16, 1
	s_delay_alu instid0(VALU_DEP_1)
	v_add3_u32 v121, v1, v121, 0x7fff
                                        ; implicit-def: $vgpr1
; %bb.375:                              ;   in Loop: Header=BB176_33 Depth=1
	s_and_not1_saveexec_b32 s8, s0
; %bb.376:                              ;   in Loop: Header=BB176_33 Depth=1
	v_and_b32_e32 v121, 0xffff, v1
	v_or_b32_e32 v123, 0x10000, v1
	s_delay_alu instid0(VALU_DEP_2) | instskip(NEXT) | instid1(VALU_DEP_1)
	v_cmp_eq_u32_e64 s0, 0, v121
	v_cndmask_b32_e64 v121, v123, v1, s0
; %bb.377:                              ;   in Loop: Header=BB176_33 Depth=1
	s_or_b32 exec_lo, exec_lo, s8
	v_lshlrev_b32_e32 v1, 16, v122
	s_delay_alu instid0(VALU_DEP_1) | instskip(NEXT) | instid1(VALU_DEP_1)
	v_mul_f32_e32 v1, v57, v1
	v_and_b32_e32 v122, 0x7f800000, v1
	s_delay_alu instid0(VALU_DEP_1) | instskip(NEXT) | instid1(VALU_DEP_1)
	v_cmp_ne_u32_e64 s0, 0x7f800000, v122
                                        ; implicit-def: $vgpr122
	s_and_saveexec_b32 s8, s0
	s_delay_alu instid0(SALU_CYCLE_1)
	s_xor_b32 s0, exec_lo, s8
; %bb.378:                              ;   in Loop: Header=BB176_33 Depth=1
	v_bfe_u32 v122, v1, 16, 1
	s_delay_alu instid0(VALU_DEP_1)
	v_add3_u32 v122, v1, v122, 0x7fff
                                        ; implicit-def: $vgpr1
; %bb.379:                              ;   in Loop: Header=BB176_33 Depth=1
	s_and_not1_saveexec_b32 s8, s0
; %bb.380:                              ;   in Loop: Header=BB176_33 Depth=1
	v_and_b32_e32 v122, 0xffff, v1
	v_or_b32_e32 v123, 0x10000, v1
	s_delay_alu instid0(VALU_DEP_2) | instskip(NEXT) | instid1(VALU_DEP_1)
	v_cmp_eq_u32_e64 s0, 0, v122
	v_cndmask_b32_e64 v122, v123, v1, s0
; %bb.381:                              ;   in Loop: Header=BB176_33 Depth=1
	s_or_b32 exec_lo, exec_lo, s8
	v_lshlrev_b32_e32 v1, 16, v2
                                        ; implicit-def: $vgpr123
	s_delay_alu instid0(VALU_DEP_1) | instskip(NEXT) | instid1(VALU_DEP_1)
	v_mul_f32_e32 v1, v58, v1
	v_and_b32_e32 v2, 0x7f800000, v1
	s_delay_alu instid0(VALU_DEP_1) | instskip(NEXT) | instid1(VALU_DEP_1)
	v_cmp_ne_u32_e64 s0, 0x7f800000, v2
	s_and_saveexec_b32 s8, s0
	s_delay_alu instid0(SALU_CYCLE_1)
	s_xor_b32 s0, exec_lo, s8
; %bb.382:                              ;   in Loop: Header=BB176_33 Depth=1
	v_bfe_u32 v2, v1, 16, 1
	s_delay_alu instid0(VALU_DEP_1)
	v_add3_u32 v123, v1, v2, 0x7fff
                                        ; implicit-def: $vgpr1
; %bb.383:                              ;   in Loop: Header=BB176_33 Depth=1
	s_and_not1_saveexec_b32 s8, s0
; %bb.384:                              ;   in Loop: Header=BB176_33 Depth=1
	v_and_b32_e32 v2, 0xffff, v1
	v_or_b32_e32 v123, 0x10000, v1
	s_delay_alu instid0(VALU_DEP_2) | instskip(NEXT) | instid1(VALU_DEP_1)
	v_cmp_eq_u32_e64 s0, 0, v2
	v_cndmask_b32_e64 v123, v123, v1, s0
; %bb.385:                              ;   in Loop: Header=BB176_33 Depth=1
	s_or_b32 exec_lo, exec_lo, s8
	v_lshlrev_b32_e32 v1, 16, v124
                                        ; implicit-def: $vgpr124
	s_delay_alu instid0(VALU_DEP_1) | instskip(NEXT) | instid1(VALU_DEP_1)
	v_mul_f32_e32 v1, v59, v1
	v_and_b32_e32 v2, 0x7f800000, v1
	s_delay_alu instid0(VALU_DEP_1) | instskip(NEXT) | instid1(VALU_DEP_1)
	v_cmp_ne_u32_e64 s0, 0x7f800000, v2
	s_and_saveexec_b32 s8, s0
	s_delay_alu instid0(SALU_CYCLE_1)
	s_xor_b32 s0, exec_lo, s8
; %bb.386:                              ;   in Loop: Header=BB176_33 Depth=1
	v_bfe_u32 v2, v1, 16, 1
	s_delay_alu instid0(VALU_DEP_1)
	v_add3_u32 v124, v1, v2, 0x7fff
                                        ; implicit-def: $vgpr1
; %bb.387:                              ;   in Loop: Header=BB176_33 Depth=1
	s_and_not1_saveexec_b32 s8, s0
; %bb.388:                              ;   in Loop: Header=BB176_33 Depth=1
	v_and_b32_e32 v2, 0xffff, v1
	v_or_b32_e32 v124, 0x10000, v1
	s_delay_alu instid0(VALU_DEP_2) | instskip(NEXT) | instid1(VALU_DEP_1)
	v_cmp_eq_u32_e64 s0, 0, v2
	v_cndmask_b32_e64 v124, v124, v1, s0
; %bb.389:                              ;   in Loop: Header=BB176_33 Depth=1
	s_or_b32 exec_lo, exec_lo, s8
	v_lshlrev_b32_e32 v1, 16, v3
                                        ; implicit-def: $vgpr125
	s_delay_alu instid0(VALU_DEP_1) | instskip(NEXT) | instid1(VALU_DEP_1)
	v_mul_f32_e32 v1, v60, v1
	v_and_b32_e32 v2, 0x7f800000, v1
	s_delay_alu instid0(VALU_DEP_1) | instskip(NEXT) | instid1(VALU_DEP_1)
	v_cmp_ne_u32_e64 s0, 0x7f800000, v2
	s_and_saveexec_b32 s8, s0
	s_delay_alu instid0(SALU_CYCLE_1)
	s_xor_b32 s0, exec_lo, s8
; %bb.390:                              ;   in Loop: Header=BB176_33 Depth=1
	v_bfe_u32 v2, v1, 16, 1
	s_delay_alu instid0(VALU_DEP_1)
	v_add3_u32 v125, v1, v2, 0x7fff
                                        ; implicit-def: $vgpr1
; %bb.391:                              ;   in Loop: Header=BB176_33 Depth=1
	s_and_not1_saveexec_b32 s8, s0
; %bb.392:                              ;   in Loop: Header=BB176_33 Depth=1
	v_and_b32_e32 v2, 0xffff, v1
	v_or_b32_e32 v3, 0x10000, v1
	s_delay_alu instid0(VALU_DEP_2) | instskip(NEXT) | instid1(VALU_DEP_1)
	v_cmp_eq_u32_e64 s0, 0, v2
	v_cndmask_b32_e64 v125, v3, v1, s0
; %bb.393:                              ;   in Loop: Header=BB176_33 Depth=1
	s_or_b32 exec_lo, exec_lo, s8
	v_lshlrev_b32_e32 v1, 16, v126
                                        ; implicit-def: $vgpr126
	s_delay_alu instid0(VALU_DEP_1) | instskip(NEXT) | instid1(VALU_DEP_1)
	v_mul_f32_e32 v1, v61, v1
	v_and_b32_e32 v2, 0x7f800000, v1
	s_delay_alu instid0(VALU_DEP_1) | instskip(NEXT) | instid1(VALU_DEP_1)
	v_cmp_ne_u32_e64 s0, 0x7f800000, v2
	s_and_saveexec_b32 s8, s0
	s_delay_alu instid0(SALU_CYCLE_1)
	s_xor_b32 s0, exec_lo, s8
; %bb.394:                              ;   in Loop: Header=BB176_33 Depth=1
	v_bfe_u32 v2, v1, 16, 1
	s_delay_alu instid0(VALU_DEP_1)
	v_add3_u32 v126, v1, v2, 0x7fff
                                        ; implicit-def: $vgpr1
; %bb.395:                              ;   in Loop: Header=BB176_33 Depth=1
	s_and_not1_saveexec_b32 s8, s0
; %bb.396:                              ;   in Loop: Header=BB176_33 Depth=1
	v_and_b32_e32 v2, 0xffff, v1
	v_or_b32_e32 v3, 0x10000, v1
	s_delay_alu instid0(VALU_DEP_2) | instskip(NEXT) | instid1(VALU_DEP_1)
	v_cmp_eq_u32_e64 s0, 0, v2
	v_cndmask_b32_e64 v126, v3, v1, s0
; %bb.397:                              ;   in Loop: Header=BB176_33 Depth=1
	s_or_b32 exec_lo, exec_lo, s8
	v_lshlrev_b32_e32 v1, 16, v4
                                        ; implicit-def: $vgpr127
	s_delay_alu instid0(VALU_DEP_1) | instskip(NEXT) | instid1(VALU_DEP_1)
	v_mul_f32_e32 v1, v62, v1
	v_and_b32_e32 v2, 0x7f800000, v1
	s_delay_alu instid0(VALU_DEP_1) | instskip(NEXT) | instid1(VALU_DEP_1)
	v_cmp_ne_u32_e64 s0, 0x7f800000, v2
	s_and_saveexec_b32 s8, s0
	s_delay_alu instid0(SALU_CYCLE_1)
	s_xor_b32 s0, exec_lo, s8
; %bb.398:                              ;   in Loop: Header=BB176_33 Depth=1
	v_bfe_u32 v2, v1, 16, 1
	s_delay_alu instid0(VALU_DEP_1)
	v_add3_u32 v127, v1, v2, 0x7fff
                                        ; implicit-def: $vgpr1
; %bb.399:                              ;   in Loop: Header=BB176_33 Depth=1
	s_and_not1_saveexec_b32 s8, s0
; %bb.400:                              ;   in Loop: Header=BB176_33 Depth=1
	v_and_b32_e32 v2, 0xffff, v1
	v_or_b32_e32 v3, 0x10000, v1
	s_delay_alu instid0(VALU_DEP_2) | instskip(NEXT) | instid1(VALU_DEP_1)
	v_cmp_eq_u32_e64 s0, 0, v2
	v_cndmask_b32_e64 v127, v3, v1, s0
; %bb.401:                              ;   in Loop: Header=BB176_33 Depth=1
	s_or_b32 exec_lo, exec_lo, s8
	v_lshlrev_b32_e32 v1, 16, v128
                                        ; implicit-def: $vgpr128
	s_delay_alu instid0(VALU_DEP_1) | instskip(NEXT) | instid1(VALU_DEP_1)
	v_mul_f32_e32 v1, v63, v1
	v_and_b32_e32 v2, 0x7f800000, v1
	s_delay_alu instid0(VALU_DEP_1) | instskip(NEXT) | instid1(VALU_DEP_1)
	v_cmp_ne_u32_e64 s0, 0x7f800000, v2
	s_and_saveexec_b32 s8, s0
	s_delay_alu instid0(SALU_CYCLE_1)
	s_xor_b32 s0, exec_lo, s8
; %bb.402:                              ;   in Loop: Header=BB176_33 Depth=1
	v_bfe_u32 v2, v1, 16, 1
	s_delay_alu instid0(VALU_DEP_1)
	v_add3_u32 v128, v1, v2, 0x7fff
                                        ; implicit-def: $vgpr1
; %bb.403:                              ;   in Loop: Header=BB176_33 Depth=1
	s_and_not1_saveexec_b32 s8, s0
; %bb.404:                              ;   in Loop: Header=BB176_33 Depth=1
	v_and_b32_e32 v2, 0xffff, v1
	v_or_b32_e32 v3, 0x10000, v1
	s_delay_alu instid0(VALU_DEP_2) | instskip(NEXT) | instid1(VALU_DEP_1)
	v_cmp_eq_u32_e64 s0, 0, v2
	v_cndmask_b32_e64 v128, v3, v1, s0
; %bb.405:                              ;   in Loop: Header=BB176_33 Depth=1
	s_or_b32 exec_lo, exec_lo, s8
	v_add_co_u32 v1, s0, v53, v34
	s_delay_alu instid0(VALU_DEP_1)
	v_add_co_ci_u32_e64 v2, s0, 0, v54, s0
	global_load_b128 v[1:4], v[1:2], off
	s_waitcnt vmcnt(0)
	v_lshrrev_b32_e32 v130, 16, v1
	v_lshrrev_b32_e32 v132, 16, v2
	;; [unrolled: 1-line block ×4, first 2 shown]
	s_and_saveexec_b32 s8, vcc_lo
	s_cbranch_execz .LBB176_407
; %bb.406:                              ;   in Loop: Header=BB176_33 Depth=1
	v_cmp_gt_i32_e64 s0, s30, v45
	s_delay_alu instid0(VALU_DEP_1) | instskip(SKIP_1) | instid1(VALU_DEP_1)
	v_cndmask_b32_e64 v1, 0, v1, s0
	v_cmp_gt_i32_e64 s0, s30, v52
	v_cndmask_b32_e64 v130, 0, v130, s0
	v_cmp_gt_i32_e64 s0, s30, v49
	s_delay_alu instid0(VALU_DEP_1) | instskip(SKIP_1) | instid1(VALU_DEP_1)
	v_cndmask_b32_e64 v2, 0, v2, s0
	v_cmp_gt_i32_e64 s0, s30, v48
	v_cndmask_b32_e64 v132, 0, v132, s0
	;; [unrolled: 5-line block ×4, first 2 shown]
.LBB176_407:                            ;   in Loop: Header=BB176_33 Depth=1
	s_or_b32 exec_lo, exec_lo, s8
	v_lshlrev_b32_e32 v1, 16, v1
	s_delay_alu instid0(VALU_DEP_1) | instskip(NEXT) | instid1(VALU_DEP_1)
	v_mul_f32_e32 v1, v56, v1
	v_and_b32_e32 v129, 0x7f800000, v1
	s_delay_alu instid0(VALU_DEP_1) | instskip(NEXT) | instid1(VALU_DEP_1)
	v_cmp_ne_u32_e64 s0, 0x7f800000, v129
                                        ; implicit-def: $vgpr129
	s_and_saveexec_b32 s8, s0
	s_delay_alu instid0(SALU_CYCLE_1)
	s_xor_b32 s0, exec_lo, s8
; %bb.408:                              ;   in Loop: Header=BB176_33 Depth=1
	v_bfe_u32 v129, v1, 16, 1
	s_delay_alu instid0(VALU_DEP_1)
	v_add3_u32 v129, v1, v129, 0x7fff
                                        ; implicit-def: $vgpr1
; %bb.409:                              ;   in Loop: Header=BB176_33 Depth=1
	s_and_not1_saveexec_b32 s8, s0
; %bb.410:                              ;   in Loop: Header=BB176_33 Depth=1
	v_and_b32_e32 v129, 0xffff, v1
	v_or_b32_e32 v131, 0x10000, v1
	s_delay_alu instid0(VALU_DEP_2) | instskip(NEXT) | instid1(VALU_DEP_1)
	v_cmp_eq_u32_e64 s0, 0, v129
	v_cndmask_b32_e64 v129, v131, v1, s0
; %bb.411:                              ;   in Loop: Header=BB176_33 Depth=1
	s_or_b32 exec_lo, exec_lo, s8
	v_lshlrev_b32_e32 v1, 16, v130
	s_delay_alu instid0(VALU_DEP_1) | instskip(NEXT) | instid1(VALU_DEP_1)
	v_mul_f32_e32 v1, v57, v1
	v_and_b32_e32 v130, 0x7f800000, v1
	s_delay_alu instid0(VALU_DEP_1) | instskip(NEXT) | instid1(VALU_DEP_1)
	v_cmp_ne_u32_e64 s0, 0x7f800000, v130
                                        ; implicit-def: $vgpr130
	s_and_saveexec_b32 s8, s0
	s_delay_alu instid0(SALU_CYCLE_1)
	s_xor_b32 s0, exec_lo, s8
; %bb.412:                              ;   in Loop: Header=BB176_33 Depth=1
	v_bfe_u32 v130, v1, 16, 1
	s_delay_alu instid0(VALU_DEP_1)
	v_add3_u32 v130, v1, v130, 0x7fff
                                        ; implicit-def: $vgpr1
; %bb.413:                              ;   in Loop: Header=BB176_33 Depth=1
	s_and_not1_saveexec_b32 s8, s0
; %bb.414:                              ;   in Loop: Header=BB176_33 Depth=1
	v_and_b32_e32 v130, 0xffff, v1
	v_or_b32_e32 v131, 0x10000, v1
	s_delay_alu instid0(VALU_DEP_2) | instskip(NEXT) | instid1(VALU_DEP_1)
	v_cmp_eq_u32_e64 s0, 0, v130
	v_cndmask_b32_e64 v130, v131, v1, s0
; %bb.415:                              ;   in Loop: Header=BB176_33 Depth=1
	s_or_b32 exec_lo, exec_lo, s8
	v_lshlrev_b32_e32 v1, 16, v2
                                        ; implicit-def: $vgpr131
	s_delay_alu instid0(VALU_DEP_1) | instskip(NEXT) | instid1(VALU_DEP_1)
	v_mul_f32_e32 v1, v58, v1
	v_and_b32_e32 v2, 0x7f800000, v1
	s_delay_alu instid0(VALU_DEP_1) | instskip(NEXT) | instid1(VALU_DEP_1)
	v_cmp_ne_u32_e64 s0, 0x7f800000, v2
	s_and_saveexec_b32 s8, s0
	s_delay_alu instid0(SALU_CYCLE_1)
	s_xor_b32 s0, exec_lo, s8
; %bb.416:                              ;   in Loop: Header=BB176_33 Depth=1
	v_bfe_u32 v2, v1, 16, 1
	s_delay_alu instid0(VALU_DEP_1)
	v_add3_u32 v131, v1, v2, 0x7fff
                                        ; implicit-def: $vgpr1
; %bb.417:                              ;   in Loop: Header=BB176_33 Depth=1
	s_and_not1_saveexec_b32 s8, s0
; %bb.418:                              ;   in Loop: Header=BB176_33 Depth=1
	v_and_b32_e32 v2, 0xffff, v1
	v_or_b32_e32 v131, 0x10000, v1
	s_delay_alu instid0(VALU_DEP_2) | instskip(NEXT) | instid1(VALU_DEP_1)
	v_cmp_eq_u32_e64 s0, 0, v2
	v_cndmask_b32_e64 v131, v131, v1, s0
; %bb.419:                              ;   in Loop: Header=BB176_33 Depth=1
	s_or_b32 exec_lo, exec_lo, s8
	v_lshlrev_b32_e32 v1, 16, v132
                                        ; implicit-def: $vgpr132
	s_delay_alu instid0(VALU_DEP_1) | instskip(NEXT) | instid1(VALU_DEP_1)
	v_mul_f32_e32 v1, v59, v1
	v_and_b32_e32 v2, 0x7f800000, v1
	s_delay_alu instid0(VALU_DEP_1) | instskip(NEXT) | instid1(VALU_DEP_1)
	v_cmp_ne_u32_e64 s0, 0x7f800000, v2
	s_and_saveexec_b32 s8, s0
	s_delay_alu instid0(SALU_CYCLE_1)
	s_xor_b32 s0, exec_lo, s8
; %bb.420:                              ;   in Loop: Header=BB176_33 Depth=1
	v_bfe_u32 v2, v1, 16, 1
	s_delay_alu instid0(VALU_DEP_1)
	v_add3_u32 v132, v1, v2, 0x7fff
                                        ; implicit-def: $vgpr1
; %bb.421:                              ;   in Loop: Header=BB176_33 Depth=1
	s_and_not1_saveexec_b32 s8, s0
; %bb.422:                              ;   in Loop: Header=BB176_33 Depth=1
	v_and_b32_e32 v2, 0xffff, v1
	v_or_b32_e32 v132, 0x10000, v1
	s_delay_alu instid0(VALU_DEP_2) | instskip(NEXT) | instid1(VALU_DEP_1)
	v_cmp_eq_u32_e64 s0, 0, v2
	v_cndmask_b32_e64 v132, v132, v1, s0
; %bb.423:                              ;   in Loop: Header=BB176_33 Depth=1
	s_or_b32 exec_lo, exec_lo, s8
	v_lshlrev_b32_e32 v1, 16, v3
                                        ; implicit-def: $vgpr133
	s_delay_alu instid0(VALU_DEP_1) | instskip(NEXT) | instid1(VALU_DEP_1)
	v_mul_f32_e32 v1, v60, v1
	v_and_b32_e32 v2, 0x7f800000, v1
	s_delay_alu instid0(VALU_DEP_1) | instskip(NEXT) | instid1(VALU_DEP_1)
	v_cmp_ne_u32_e64 s0, 0x7f800000, v2
	s_and_saveexec_b32 s8, s0
	s_delay_alu instid0(SALU_CYCLE_1)
	s_xor_b32 s0, exec_lo, s8
; %bb.424:                              ;   in Loop: Header=BB176_33 Depth=1
	v_bfe_u32 v2, v1, 16, 1
	s_delay_alu instid0(VALU_DEP_1)
	v_add3_u32 v133, v1, v2, 0x7fff
                                        ; implicit-def: $vgpr1
; %bb.425:                              ;   in Loop: Header=BB176_33 Depth=1
	s_and_not1_saveexec_b32 s8, s0
; %bb.426:                              ;   in Loop: Header=BB176_33 Depth=1
	v_and_b32_e32 v2, 0xffff, v1
	v_or_b32_e32 v3, 0x10000, v1
	s_delay_alu instid0(VALU_DEP_2) | instskip(NEXT) | instid1(VALU_DEP_1)
	v_cmp_eq_u32_e64 s0, 0, v2
	v_cndmask_b32_e64 v133, v3, v1, s0
; %bb.427:                              ;   in Loop: Header=BB176_33 Depth=1
	s_or_b32 exec_lo, exec_lo, s8
	v_lshlrev_b32_e32 v1, 16, v134
                                        ; implicit-def: $vgpr134
	s_delay_alu instid0(VALU_DEP_1) | instskip(NEXT) | instid1(VALU_DEP_1)
	v_mul_f32_e32 v1, v61, v1
	v_and_b32_e32 v2, 0x7f800000, v1
	s_delay_alu instid0(VALU_DEP_1) | instskip(NEXT) | instid1(VALU_DEP_1)
	v_cmp_ne_u32_e64 s0, 0x7f800000, v2
	s_and_saveexec_b32 s8, s0
	s_delay_alu instid0(SALU_CYCLE_1)
	s_xor_b32 s0, exec_lo, s8
; %bb.428:                              ;   in Loop: Header=BB176_33 Depth=1
	v_bfe_u32 v2, v1, 16, 1
	s_delay_alu instid0(VALU_DEP_1)
	v_add3_u32 v134, v1, v2, 0x7fff
                                        ; implicit-def: $vgpr1
; %bb.429:                              ;   in Loop: Header=BB176_33 Depth=1
	s_and_not1_saveexec_b32 s8, s0
; %bb.430:                              ;   in Loop: Header=BB176_33 Depth=1
	v_and_b32_e32 v2, 0xffff, v1
	v_or_b32_e32 v3, 0x10000, v1
	s_delay_alu instid0(VALU_DEP_2) | instskip(NEXT) | instid1(VALU_DEP_1)
	v_cmp_eq_u32_e64 s0, 0, v2
	v_cndmask_b32_e64 v134, v3, v1, s0
; %bb.431:                              ;   in Loop: Header=BB176_33 Depth=1
	s_or_b32 exec_lo, exec_lo, s8
	v_lshlrev_b32_e32 v1, 16, v4
                                        ; implicit-def: $vgpr135
	s_delay_alu instid0(VALU_DEP_1) | instskip(NEXT) | instid1(VALU_DEP_1)
	v_mul_f32_e32 v1, v62, v1
	v_and_b32_e32 v2, 0x7f800000, v1
	s_delay_alu instid0(VALU_DEP_1) | instskip(NEXT) | instid1(VALU_DEP_1)
	v_cmp_ne_u32_e64 s0, 0x7f800000, v2
	s_and_saveexec_b32 s8, s0
	s_delay_alu instid0(SALU_CYCLE_1)
	s_xor_b32 s0, exec_lo, s8
; %bb.432:                              ;   in Loop: Header=BB176_33 Depth=1
	v_bfe_u32 v2, v1, 16, 1
	s_delay_alu instid0(VALU_DEP_1)
	v_add3_u32 v135, v1, v2, 0x7fff
                                        ; implicit-def: $vgpr1
; %bb.433:                              ;   in Loop: Header=BB176_33 Depth=1
	s_and_not1_saveexec_b32 s8, s0
; %bb.434:                              ;   in Loop: Header=BB176_33 Depth=1
	v_and_b32_e32 v2, 0xffff, v1
	v_or_b32_e32 v3, 0x10000, v1
	s_delay_alu instid0(VALU_DEP_2) | instskip(NEXT) | instid1(VALU_DEP_1)
	v_cmp_eq_u32_e64 s0, 0, v2
	v_cndmask_b32_e64 v135, v3, v1, s0
; %bb.435:                              ;   in Loop: Header=BB176_33 Depth=1
	s_or_b32 exec_lo, exec_lo, s8
	v_lshlrev_b32_e32 v1, 16, v136
                                        ; implicit-def: $vgpr136
	s_delay_alu instid0(VALU_DEP_1) | instskip(NEXT) | instid1(VALU_DEP_1)
	v_mul_f32_e32 v1, v63, v1
	v_and_b32_e32 v2, 0x7f800000, v1
	s_delay_alu instid0(VALU_DEP_1) | instskip(NEXT) | instid1(VALU_DEP_1)
	v_cmp_ne_u32_e64 s0, 0x7f800000, v2
	s_and_saveexec_b32 s8, s0
	s_delay_alu instid0(SALU_CYCLE_1)
	s_xor_b32 s0, exec_lo, s8
; %bb.436:                              ;   in Loop: Header=BB176_33 Depth=1
	v_bfe_u32 v2, v1, 16, 1
	s_delay_alu instid0(VALU_DEP_1)
	v_add3_u32 v136, v1, v2, 0x7fff
                                        ; implicit-def: $vgpr1
; %bb.437:                              ;   in Loop: Header=BB176_33 Depth=1
	s_and_not1_saveexec_b32 s8, s0
; %bb.438:                              ;   in Loop: Header=BB176_33 Depth=1
	v_and_b32_e32 v2, 0xffff, v1
	v_or_b32_e32 v3, 0x10000, v1
	s_delay_alu instid0(VALU_DEP_2) | instskip(NEXT) | instid1(VALU_DEP_1)
	v_cmp_eq_u32_e64 s0, 0, v2
	v_cndmask_b32_e64 v136, v3, v1, s0
; %bb.439:                              ;   in Loop: Header=BB176_33 Depth=1
	s_or_b32 exec_lo, exec_lo, s8
	v_add_co_u32 v1, s0, v53, v35
	s_delay_alu instid0(VALU_DEP_1)
	v_add_co_ci_u32_e64 v2, s0, 0, v54, s0
	global_load_b128 v[1:4], v[1:2], off
	s_waitcnt vmcnt(0)
	v_lshrrev_b32_e32 v138, 16, v1
	v_lshrrev_b32_e32 v137, 16, v2
	;; [unrolled: 1-line block ×4, first 2 shown]
	s_and_saveexec_b32 s0, vcc_lo
	s_cbranch_execz .LBB176_441
; %bb.440:                              ;   in Loop: Header=BB176_33 Depth=1
	v_cmp_gt_i32_e32 vcc_lo, s30, v45
	v_cndmask_b32_e32 v1, 0, v1, vcc_lo
	v_cmp_gt_i32_e32 vcc_lo, s30, v52
	v_cndmask_b32_e32 v138, 0, v138, vcc_lo
	;; [unrolled: 2-line block ×8, first 2 shown]
.LBB176_441:                            ;   in Loop: Header=BB176_33 Depth=1
	s_or_b32 exec_lo, exec_lo, s0
	v_lshlrev_b32_e32 v1, 16, v1
	s_delay_alu instid0(VALU_DEP_1) | instskip(NEXT) | instid1(VALU_DEP_1)
	v_mul_f32_e32 v45, v56, v1
	v_and_b32_e32 v1, 0x7f800000, v45
	s_delay_alu instid0(VALU_DEP_1) | instskip(SKIP_1) | instid1(SALU_CYCLE_1)
	v_cmp_ne_u32_e32 vcc_lo, 0x7f800000, v1
                                        ; implicit-def: $vgpr1
	s_and_saveexec_b32 s0, vcc_lo
	s_xor_b32 s0, exec_lo, s0
; %bb.442:                              ;   in Loop: Header=BB176_33 Depth=1
	v_bfe_u32 v1, v45, 16, 1
	s_delay_alu instid0(VALU_DEP_1)
	v_add3_u32 v1, v45, v1, 0x7fff
                                        ; implicit-def: $vgpr45
; %bb.443:                              ;   in Loop: Header=BB176_33 Depth=1
	s_and_not1_saveexec_b32 s0, s0
; %bb.444:                              ;   in Loop: Header=BB176_33 Depth=1
	v_and_b32_e32 v1, 0xffff, v45
	v_or_b32_e32 v46, 0x10000, v45
	s_delay_alu instid0(VALU_DEP_2) | instskip(NEXT) | instid1(VALU_DEP_2)
	v_cmp_eq_u32_e32 vcc_lo, 0, v1
	v_cndmask_b32_e32 v1, v46, v45, vcc_lo
; %bb.445:                              ;   in Loop: Header=BB176_33 Depth=1
	s_or_b32 exec_lo, exec_lo, s0
	v_lshlrev_b32_e32 v45, 16, v138
	s_delay_alu instid0(VALU_DEP_1) | instskip(NEXT) | instid1(VALU_DEP_1)
	v_mul_f32_e32 v46, v57, v45
	v_and_b32_e32 v45, 0x7f800000, v46
	s_delay_alu instid0(VALU_DEP_1) | instskip(SKIP_1) | instid1(SALU_CYCLE_1)
	v_cmp_ne_u32_e32 vcc_lo, 0x7f800000, v45
                                        ; implicit-def: $vgpr45
	s_and_saveexec_b32 s0, vcc_lo
	s_xor_b32 s0, exec_lo, s0
; %bb.446:                              ;   in Loop: Header=BB176_33 Depth=1
	v_bfe_u32 v45, v46, 16, 1
	s_delay_alu instid0(VALU_DEP_1)
	v_add3_u32 v45, v46, v45, 0x7fff
                                        ; implicit-def: $vgpr46
; %bb.447:                              ;   in Loop: Header=BB176_33 Depth=1
	s_and_not1_saveexec_b32 s0, s0
; %bb.448:                              ;   in Loop: Header=BB176_33 Depth=1
	v_and_b32_e32 v45, 0xffff, v46
	v_or_b32_e32 v47, 0x10000, v46
	s_delay_alu instid0(VALU_DEP_2) | instskip(NEXT) | instid1(VALU_DEP_2)
	v_cmp_eq_u32_e32 vcc_lo, 0, v45
	v_cndmask_b32_e32 v45, v47, v46, vcc_lo
; %bb.449:                              ;   in Loop: Header=BB176_33 Depth=1
	s_or_b32 exec_lo, exec_lo, s0
	v_lshlrev_b32_e32 v2, 16, v2
	s_delay_alu instid0(VALU_DEP_1) | instskip(NEXT) | instid1(VALU_DEP_1)
	v_mul_f32_e32 v46, v58, v2
	v_and_b32_e32 v2, 0x7f800000, v46
	s_delay_alu instid0(VALU_DEP_1) | instskip(SKIP_1) | instid1(SALU_CYCLE_1)
	v_cmp_ne_u32_e32 vcc_lo, 0x7f800000, v2
                                        ; implicit-def: $vgpr2
	s_and_saveexec_b32 s0, vcc_lo
	s_xor_b32 s0, exec_lo, s0
; %bb.450:                              ;   in Loop: Header=BB176_33 Depth=1
	v_bfe_u32 v2, v46, 16, 1
	s_delay_alu instid0(VALU_DEP_1)
	v_add3_u32 v2, v46, v2, 0x7fff
                                        ; implicit-def: $vgpr46
; %bb.451:                              ;   in Loop: Header=BB176_33 Depth=1
	s_and_not1_saveexec_b32 s0, s0
; %bb.452:                              ;   in Loop: Header=BB176_33 Depth=1
	v_and_b32_e32 v2, 0xffff, v46
	v_or_b32_e32 v47, 0x10000, v46
	s_delay_alu instid0(VALU_DEP_2) | instskip(NEXT) | instid1(VALU_DEP_2)
	v_cmp_eq_u32_e32 vcc_lo, 0, v2
	v_cndmask_b32_e32 v2, v47, v46, vcc_lo
; %bb.453:                              ;   in Loop: Header=BB176_33 Depth=1
	s_or_b32 exec_lo, exec_lo, s0
	v_lshlrev_b32_e32 v46, 16, v137
	s_delay_alu instid0(VALU_DEP_1) | instskip(NEXT) | instid1(VALU_DEP_1)
	v_mul_f32_e32 v47, v59, v46
	v_and_b32_e32 v46, 0x7f800000, v47
	s_delay_alu instid0(VALU_DEP_1) | instskip(SKIP_1) | instid1(SALU_CYCLE_1)
	v_cmp_ne_u32_e32 vcc_lo, 0x7f800000, v46
                                        ; implicit-def: $vgpr46
	s_and_saveexec_b32 s0, vcc_lo
	s_xor_b32 s0, exec_lo, s0
; %bb.454:                              ;   in Loop: Header=BB176_33 Depth=1
	v_bfe_u32 v46, v47, 16, 1
	s_delay_alu instid0(VALU_DEP_1)
	v_add3_u32 v46, v47, v46, 0x7fff
                                        ; implicit-def: $vgpr47
; %bb.455:                              ;   in Loop: Header=BB176_33 Depth=1
	s_and_not1_saveexec_b32 s0, s0
; %bb.456:                              ;   in Loop: Header=BB176_33 Depth=1
	v_and_b32_e32 v46, 0xffff, v47
	v_or_b32_e32 v48, 0x10000, v47
	s_delay_alu instid0(VALU_DEP_2) | instskip(NEXT) | instid1(VALU_DEP_2)
	v_cmp_eq_u32_e32 vcc_lo, 0, v46
	v_cndmask_b32_e32 v46, v48, v47, vcc_lo
; %bb.457:                              ;   in Loop: Header=BB176_33 Depth=1
	s_or_b32 exec_lo, exec_lo, s0
	v_lshlrev_b32_e32 v3, 16, v3
	s_delay_alu instid0(VALU_DEP_1) | instskip(NEXT) | instid1(VALU_DEP_1)
	v_mul_f32_e32 v47, v60, v3
	v_and_b32_e32 v3, 0x7f800000, v47
	s_delay_alu instid0(VALU_DEP_1) | instskip(SKIP_1) | instid1(SALU_CYCLE_1)
	v_cmp_ne_u32_e32 vcc_lo, 0x7f800000, v3
                                        ; implicit-def: $vgpr3
	s_and_saveexec_b32 s0, vcc_lo
	s_xor_b32 s0, exec_lo, s0
; %bb.458:                              ;   in Loop: Header=BB176_33 Depth=1
	v_bfe_u32 v3, v47, 16, 1
	s_delay_alu instid0(VALU_DEP_1)
	v_add3_u32 v3, v47, v3, 0x7fff
                                        ; implicit-def: $vgpr47
; %bb.459:                              ;   in Loop: Header=BB176_33 Depth=1
	s_and_not1_saveexec_b32 s0, s0
; %bb.460:                              ;   in Loop: Header=BB176_33 Depth=1
	v_and_b32_e32 v3, 0xffff, v47
	v_or_b32_e32 v48, 0x10000, v47
	s_delay_alu instid0(VALU_DEP_2) | instskip(NEXT) | instid1(VALU_DEP_2)
	v_cmp_eq_u32_e32 vcc_lo, 0, v3
	v_cndmask_b32_e32 v3, v48, v47, vcc_lo
; %bb.461:                              ;   in Loop: Header=BB176_33 Depth=1
	s_or_b32 exec_lo, exec_lo, s0
	v_lshlrev_b32_e32 v47, 16, v54
	s_delay_alu instid0(VALU_DEP_1) | instskip(NEXT) | instid1(VALU_DEP_1)
	v_mul_f32_e32 v48, v61, v47
	v_and_b32_e32 v47, 0x7f800000, v48
	s_delay_alu instid0(VALU_DEP_1) | instskip(SKIP_1) | instid1(SALU_CYCLE_1)
	v_cmp_ne_u32_e32 vcc_lo, 0x7f800000, v47
                                        ; implicit-def: $vgpr47
	s_and_saveexec_b32 s0, vcc_lo
	s_xor_b32 s0, exec_lo, s0
; %bb.462:                              ;   in Loop: Header=BB176_33 Depth=1
	v_bfe_u32 v47, v48, 16, 1
	s_delay_alu instid0(VALU_DEP_1)
	v_add3_u32 v47, v48, v47, 0x7fff
                                        ; implicit-def: $vgpr48
; %bb.463:                              ;   in Loop: Header=BB176_33 Depth=1
	s_and_not1_saveexec_b32 s0, s0
; %bb.464:                              ;   in Loop: Header=BB176_33 Depth=1
	v_and_b32_e32 v47, 0xffff, v48
	v_or_b32_e32 v49, 0x10000, v48
	s_delay_alu instid0(VALU_DEP_2) | instskip(NEXT) | instid1(VALU_DEP_2)
	v_cmp_eq_u32_e32 vcc_lo, 0, v47
	v_cndmask_b32_e32 v47, v49, v48, vcc_lo
; %bb.465:                              ;   in Loop: Header=BB176_33 Depth=1
	s_or_b32 exec_lo, exec_lo, s0
	v_lshlrev_b32_e32 v4, 16, v4
	s_delay_alu instid0(VALU_DEP_1) | instskip(NEXT) | instid1(VALU_DEP_1)
	v_mul_f32_e32 v48, v62, v4
	v_and_b32_e32 v4, 0x7f800000, v48
	s_delay_alu instid0(VALU_DEP_1) | instskip(SKIP_1) | instid1(SALU_CYCLE_1)
	v_cmp_ne_u32_e32 vcc_lo, 0x7f800000, v4
                                        ; implicit-def: $vgpr4
	s_and_saveexec_b32 s0, vcc_lo
	s_xor_b32 s0, exec_lo, s0
; %bb.466:                              ;   in Loop: Header=BB176_33 Depth=1
	v_bfe_u32 v4, v48, 16, 1
	s_delay_alu instid0(VALU_DEP_1)
	v_add3_u32 v4, v48, v4, 0x7fff
                                        ; implicit-def: $vgpr48
; %bb.467:                              ;   in Loop: Header=BB176_33 Depth=1
	s_and_not1_saveexec_b32 s0, s0
; %bb.468:                              ;   in Loop: Header=BB176_33 Depth=1
	v_and_b32_e32 v4, 0xffff, v48
	v_or_b32_e32 v49, 0x10000, v48
	s_delay_alu instid0(VALU_DEP_2) | instskip(NEXT) | instid1(VALU_DEP_2)
	v_cmp_eq_u32_e32 vcc_lo, 0, v4
	v_cndmask_b32_e32 v4, v49, v48, vcc_lo
; %bb.469:                              ;   in Loop: Header=BB176_33 Depth=1
	s_or_b32 exec_lo, exec_lo, s0
	v_lshlrev_b32_e32 v48, 16, v53
	s_delay_alu instid0(VALU_DEP_1) | instskip(NEXT) | instid1(VALU_DEP_1)
	v_mul_f32_e32 v49, v63, v48
	v_and_b32_e32 v48, 0x7f800000, v49
	s_delay_alu instid0(VALU_DEP_1) | instskip(SKIP_1) | instid1(SALU_CYCLE_1)
	v_cmp_ne_u32_e32 vcc_lo, 0x7f800000, v48
                                        ; implicit-def: $vgpr48
	s_and_saveexec_b32 s0, vcc_lo
	s_xor_b32 s0, exec_lo, s0
; %bb.470:                              ;   in Loop: Header=BB176_33 Depth=1
	v_bfe_u32 v48, v49, 16, 1
	s_delay_alu instid0(VALU_DEP_1)
	v_add3_u32 v48, v49, v48, 0x7fff
                                        ; implicit-def: $vgpr49
; %bb.471:                              ;   in Loop: Header=BB176_33 Depth=1
	s_and_not1_saveexec_b32 s0, s0
	s_cbranch_execz .LBB176_32
; %bb.472:                              ;   in Loop: Header=BB176_33 Depth=1
	v_and_b32_e32 v48, 0xffff, v49
	v_or_b32_e32 v50, 0x10000, v49
	s_delay_alu instid0(VALU_DEP_2) | instskip(NEXT) | instid1(VALU_DEP_2)
	v_cmp_eq_u32_e32 vcc_lo, 0, v48
	v_cndmask_b32_e32 v48, v50, v49, vcc_lo
	s_branch .LBB176_32
.LBB176_473:
	s_or_b32 exec_lo, exec_lo, s5
.LBB176_474:
	s_delay_alu instid0(SALU_CYCLE_1)
	s_or_b32 exec_lo, exec_lo, s1
	ds_bpermute_b32 v1, v16, v27
	ds_bpermute_b32 v2, v16, v28
	;; [unrolled: 1-line block ×12, first 2 shown]
	v_lshrrev_b32_e32 v15, 1, v15
	s_movk_i32 s0, 0x300
	s_waitcnt lgkmcnt(0)
	s_waitcnt_vscnt null, 0x0
	v_mad_u32_u24 v14, v14, s0, 0x1a0
	s_mov_b32 s0, exec_lo
	s_barrier
	buffer_gl0_inv
	v_dual_add_f32 v1, v27, v1 :: v_dual_add_f32 v16, v28, v2
	v_dual_add_f32 v11, v26, v3 :: v_dual_add_f32 v10, v25, v4
	;; [unrolled: 1-line block ×6, first 2 shown]
	v_and_b32_e32 v18, 0x3c1, v0
	v_lshlrev_b32_e32 v17, 2, v15
	s_delay_alu instid0(VALU_DEP_2)
	v_cmpx_eq_u32_e32 64, v18
	s_cbranch_execz .LBB176_476
; %bb.475:
	s_delay_alu instid0(VALU_DEP_2)
	v_add3_u32 v18, v14, v17, 0xfffffa00
	ds_store_2addr_b32 v18, v1, v16 offset1:16
	ds_store_2addr_b32 v18, v11, v10 offset0:32 offset1:48
	ds_store_2addr_b32 v18, v9, v8 offset0:64 offset1:80
	;; [unrolled: 1-line block ×5, first 2 shown]
.LBB176_476:
	s_or_b32 exec_lo, exec_lo, s0
	v_cmp_eq_u32_e32 vcc_lo, 0, v13
	s_mov_b32 s1, exec_lo
	s_waitcnt lgkmcnt(0)
	s_barrier
	buffer_gl0_inv
	v_cmpx_gt_u32_e32 64, v0
	s_cbranch_execz .LBB176_491
; %bb.477:
	s_and_saveexec_b32 s0, vcc_lo
	s_cbranch_execnz .LBB176_560
; %bb.478:
	s_or_b32 exec_lo, exec_lo, s0
	s_and_saveexec_b32 s0, vcc_lo
	s_cbranch_execnz .LBB176_561
.LBB176_479:
	s_or_b32 exec_lo, exec_lo, s0
	s_and_saveexec_b32 s0, vcc_lo
	s_cbranch_execnz .LBB176_562
.LBB176_480:
	s_or_b32 exec_lo, exec_lo, s0
	s_and_saveexec_b32 s0, vcc_lo
	s_cbranch_execnz .LBB176_563
.LBB176_481:
	s_or_b32 exec_lo, exec_lo, s0
	s_and_saveexec_b32 s0, vcc_lo
	s_cbranch_execnz .LBB176_564
.LBB176_482:
	s_or_b32 exec_lo, exec_lo, s0
	s_and_saveexec_b32 s0, vcc_lo
	s_cbranch_execnz .LBB176_565
.LBB176_483:
	s_or_b32 exec_lo, exec_lo, s0
	s_and_saveexec_b32 s0, vcc_lo
	s_cbranch_execnz .LBB176_566
.LBB176_484:
	s_or_b32 exec_lo, exec_lo, s0
	s_and_saveexec_b32 s0, vcc_lo
	s_cbranch_execnz .LBB176_567
.LBB176_485:
	s_or_b32 exec_lo, exec_lo, s0
	s_and_saveexec_b32 s0, vcc_lo
	s_cbranch_execnz .LBB176_568
.LBB176_486:
	s_or_b32 exec_lo, exec_lo, s0
	s_and_saveexec_b32 s0, vcc_lo
	s_cbranch_execnz .LBB176_569
.LBB176_487:
	s_or_b32 exec_lo, exec_lo, s0
	s_and_saveexec_b32 s0, vcc_lo
	s_cbranch_execnz .LBB176_570
.LBB176_488:
	s_or_b32 exec_lo, exec_lo, s0
	s_and_saveexec_b32 s0, vcc_lo
	s_cbranch_execz .LBB176_490
.LBB176_489:
	v_lshl_add_u32 v13, v15, 2, v14
	ds_load_b32 v13, v13 offset:704
	s_waitcnt lgkmcnt(0)
	v_add_f32_e32 v2, v2, v13
.LBB176_490:
	s_or_b32 exec_lo, exec_lo, s0
.LBB176_491:
	s_delay_alu instid0(SALU_CYCLE_1)
	s_or_b32 exec_lo, exec_lo, s1
	v_and_b32_e32 v13, 0x3e1, v0
	s_mov_b32 s1, exec_lo
	s_barrier
	buffer_gl0_inv
	v_cmpx_eq_u32_e32 32, v13
	s_cbranch_execz .LBB176_493
; %bb.492:
	v_add3_u32 v13, v14, v17, 0xfffffd00
	ds_store_2addr_b32 v13, v1, v16 offset1:16
	ds_store_2addr_b32 v13, v11, v10 offset0:32 offset1:48
	ds_store_2addr_b32 v13, v9, v8 offset0:64 offset1:80
	;; [unrolled: 1-line block ×5, first 2 shown]
.LBB176_493:
	s_or_b32 exec_lo, exec_lo, s1
	v_cmp_gt_u32_e64 s0, 32, v0
	s_waitcnt lgkmcnt(0)
	s_barrier
	buffer_gl0_inv
	s_and_saveexec_b32 s1, s0
	s_cbranch_execz .LBB176_508
; %bb.494:
	v_lshl_add_u32 v0, v15, 2, v14
	s_and_saveexec_b32 s2, vcc_lo
	s_cbranch_execnz .LBB176_571
; %bb.495:
	s_or_b32 exec_lo, exec_lo, s2
	s_and_saveexec_b32 s2, vcc_lo
	s_cbranch_execnz .LBB176_572
.LBB176_496:
	s_or_b32 exec_lo, exec_lo, s2
	s_and_saveexec_b32 s2, vcc_lo
	s_cbranch_execnz .LBB176_573
.LBB176_497:
	s_or_b32 exec_lo, exec_lo, s2
	s_and_saveexec_b32 s2, vcc_lo
	s_cbranch_execnz .LBB176_574
.LBB176_498:
	s_or_b32 exec_lo, exec_lo, s2
	s_and_saveexec_b32 s2, vcc_lo
	s_cbranch_execnz .LBB176_575
.LBB176_499:
	s_or_b32 exec_lo, exec_lo, s2
	s_and_saveexec_b32 s2, vcc_lo
	s_cbranch_execnz .LBB176_576
.LBB176_500:
	s_or_b32 exec_lo, exec_lo, s2
	s_and_saveexec_b32 s2, vcc_lo
	s_cbranch_execnz .LBB176_577
.LBB176_501:
	s_or_b32 exec_lo, exec_lo, s2
	s_and_saveexec_b32 s2, vcc_lo
	s_cbranch_execnz .LBB176_578
.LBB176_502:
	s_or_b32 exec_lo, exec_lo, s2
	s_and_saveexec_b32 s2, vcc_lo
	s_cbranch_execnz .LBB176_579
.LBB176_503:
	s_or_b32 exec_lo, exec_lo, s2
	s_and_saveexec_b32 s2, vcc_lo
	s_cbranch_execnz .LBB176_580
.LBB176_504:
	s_or_b32 exec_lo, exec_lo, s2
	s_and_saveexec_b32 s2, vcc_lo
	s_cbranch_execnz .LBB176_581
.LBB176_505:
	s_or_b32 exec_lo, exec_lo, s2
	s_and_saveexec_b32 s2, vcc_lo
	s_cbranch_execz .LBB176_507
.LBB176_506:
	ds_load_b32 v0, v0 offset:704
	s_waitcnt lgkmcnt(0)
	v_add_f32_e32 v2, v2, v0
.LBB176_507:
	s_or_b32 exec_lo, exec_lo, s2
.LBB176_508:
	s_delay_alu instid0(SALU_CYCLE_1)
	s_or_b32 exec_lo, exec_lo, s1
	s_barrier
	buffer_gl0_inv
	s_and_saveexec_b32 s1, s0
	s_cbranch_execz .LBB176_559
; %bb.509:
	s_and_b32 exec_lo, exec_lo, vcc_lo
	s_cbranch_execz .LBB176_559
; %bb.510:
	v_and_b32_e32 v0, 0x7f800000, v1
	s_mov_b32 s0, exec_lo
                                        ; implicit-def: $vgpr13
	s_delay_alu instid0(VALU_DEP_1)
	v_cmpx_ne_u32_e32 0x7f800000, v0
	s_xor_b32 s0, exec_lo, s0
; %bb.511:
	v_bfe_u32 v0, v1, 16, 1
	s_delay_alu instid0(VALU_DEP_1)
	v_add3_u32 v13, v1, v0, 0x7fff
                                        ; implicit-def: $vgpr1
; %bb.512:
	s_and_not1_saveexec_b32 s0, s0
; %bb.513:
	v_and_b32_e32 v0, 0xffff, v1
	v_or_b32_e32 v13, 0x10000, v1
	s_delay_alu instid0(VALU_DEP_2) | instskip(NEXT) | instid1(VALU_DEP_2)
	v_cmp_eq_u32_e32 vcc_lo, 0, v0
	v_cndmask_b32_e32 v13, v13, v1, vcc_lo
; %bb.514:
	s_or_b32 exec_lo, exec_lo, s0
	s_mul_i32 s0, s4, s14
	s_mul_i32 s2, s4, s16
	;; [unrolled: 1-line block ×3, first 2 shown]
	v_lshlrev_b32_e32 v12, 1, v12
	s_mulk_i32 s0, 0xc0
	v_and_b32_e32 v14, 0x7f800000, v16
	s_ashr_i32 s1, s0, 31
	s_delay_alu instid0(SALU_CYCLE_1) | instskip(NEXT) | instid1(SALU_CYCLE_1)
	s_lshl_b64 s[0:1], s[0:1], 1
	s_add_u32 s4, s18, s0
	s_addc_u32 s5, s19, s1
	s_ashr_i32 s3, s2, 31
	s_delay_alu instid0(SALU_CYCLE_1) | instskip(SKIP_4) | instid1(SALU_CYCLE_1)
	s_lshl_b64 s[0:1], s[2:3], 1
	s_mul_i32 s2, s12, 0xc0
	s_add_u32 s4, s4, s0
	s_addc_u32 s5, s5, s1
	s_ashr_i32 s3, s2, 31
	s_lshl_b64 s[0:1], s[2:3], 1
	s_delay_alu instid0(SALU_CYCLE_1) | instskip(SKIP_2) | instid1(VALU_DEP_1)
	s_add_u32 s0, s4, s0
	s_addc_u32 s1, s5, s1
	v_add_co_u32 v0, s2, s0, v12
	v_add_co_ci_u32_e64 v1, null, s1, 0, s2
	global_store_d16_hi_b16 v12, v13, s[0:1]
	s_mov_b32 s0, exec_lo
                                        ; implicit-def: $vgpr12
	v_cmpx_ne_u32_e32 0x7f800000, v14
	s_xor_b32 s0, exec_lo, s0
; %bb.515:
	v_bfe_u32 v12, v16, 16, 1
	s_delay_alu instid0(VALU_DEP_1)
	v_add3_u32 v12, v16, v12, 0x7fff
                                        ; implicit-def: $vgpr16
; %bb.516:
	s_and_not1_saveexec_b32 s0, s0
; %bb.517:
	v_and_b32_e32 v12, 0xffff, v16
	v_or_b32_e32 v13, 0x10000, v16
	s_delay_alu instid0(VALU_DEP_2) | instskip(NEXT) | instid1(VALU_DEP_2)
	v_cmp_eq_u32_e32 vcc_lo, 0, v12
	v_cndmask_b32_e32 v12, v13, v16, vcc_lo
; %bb.518:
	s_or_b32 exec_lo, exec_lo, s0
	v_and_b32_e32 v13, 0x7f800000, v11
	s_mov_b32 s0, exec_lo
	global_store_d16_hi_b16 v[0:1], v12, off offset:32
                                        ; implicit-def: $vgpr12
	v_cmpx_ne_u32_e32 0x7f800000, v13
	s_xor_b32 s0, exec_lo, s0
; %bb.519:
	v_bfe_u32 v12, v11, 16, 1
	s_delay_alu instid0(VALU_DEP_1)
	v_add3_u32 v12, v11, v12, 0x7fff
                                        ; implicit-def: $vgpr11
; %bb.520:
	s_and_not1_saveexec_b32 s0, s0
; %bb.521:
	v_and_b32_e32 v12, 0xffff, v11
	v_or_b32_e32 v13, 0x10000, v11
	s_delay_alu instid0(VALU_DEP_2) | instskip(NEXT) | instid1(VALU_DEP_2)
	v_cmp_eq_u32_e32 vcc_lo, 0, v12
	v_cndmask_b32_e32 v12, v13, v11, vcc_lo
; %bb.522:
	s_or_b32 exec_lo, exec_lo, s0
	v_and_b32_e32 v11, 0x7f800000, v10
	global_store_d16_hi_b16 v[0:1], v12, off offset:64
	v_cmp_ne_u32_e32 vcc_lo, 0x7f800000, v11
                                        ; implicit-def: $vgpr11
	s_and_saveexec_b32 s0, vcc_lo
	s_delay_alu instid0(SALU_CYCLE_1)
	s_xor_b32 s0, exec_lo, s0
; %bb.523:
	v_bfe_u32 v11, v10, 16, 1
	s_delay_alu instid0(VALU_DEP_1)
	v_add3_u32 v11, v10, v11, 0x7fff
                                        ; implicit-def: $vgpr10
; %bb.524:
	s_and_not1_saveexec_b32 s0, s0
; %bb.525:
	v_and_b32_e32 v11, 0xffff, v10
	v_or_b32_e32 v12, 0x10000, v10
	s_delay_alu instid0(VALU_DEP_2) | instskip(NEXT) | instid1(VALU_DEP_2)
	v_cmp_eq_u32_e32 vcc_lo, 0, v11
	v_cndmask_b32_e32 v11, v12, v10, vcc_lo
; %bb.526:
	s_or_b32 exec_lo, exec_lo, s0
	v_and_b32_e32 v10, 0x7f800000, v9
	global_store_d16_hi_b16 v[0:1], v11, off offset:96
	v_cmp_ne_u32_e32 vcc_lo, 0x7f800000, v10
                                        ; implicit-def: $vgpr10
	s_and_saveexec_b32 s0, vcc_lo
	s_delay_alu instid0(SALU_CYCLE_1)
	s_xor_b32 s0, exec_lo, s0
; %bb.527:
	v_bfe_u32 v10, v9, 16, 1
	s_delay_alu instid0(VALU_DEP_1)
	v_add3_u32 v10, v9, v10, 0x7fff
                                        ; implicit-def: $vgpr9
; %bb.528:
	s_and_not1_saveexec_b32 s0, s0
; %bb.529:
	v_and_b32_e32 v10, 0xffff, v9
	v_or_b32_e32 v11, 0x10000, v9
	s_delay_alu instid0(VALU_DEP_2) | instskip(NEXT) | instid1(VALU_DEP_2)
	v_cmp_eq_u32_e32 vcc_lo, 0, v10
	v_cndmask_b32_e32 v10, v11, v9, vcc_lo
; %bb.530:
	s_or_b32 exec_lo, exec_lo, s0
	v_and_b32_e32 v9, 0x7f800000, v8
	global_store_d16_hi_b16 v[0:1], v10, off offset:128
	v_cmp_ne_u32_e32 vcc_lo, 0x7f800000, v9
                                        ; implicit-def: $vgpr9
	s_and_saveexec_b32 s0, vcc_lo
	s_delay_alu instid0(SALU_CYCLE_1)
	s_xor_b32 s0, exec_lo, s0
; %bb.531:
	v_bfe_u32 v9, v8, 16, 1
	s_delay_alu instid0(VALU_DEP_1)
	v_add3_u32 v9, v8, v9, 0x7fff
                                        ; implicit-def: $vgpr8
; %bb.532:
	s_and_not1_saveexec_b32 s0, s0
; %bb.533:
	v_and_b32_e32 v9, 0xffff, v8
	v_or_b32_e32 v10, 0x10000, v8
	s_delay_alu instid0(VALU_DEP_2) | instskip(NEXT) | instid1(VALU_DEP_2)
	v_cmp_eq_u32_e32 vcc_lo, 0, v9
	v_cndmask_b32_e32 v9, v10, v8, vcc_lo
; %bb.534:
	s_or_b32 exec_lo, exec_lo, s0
	v_and_b32_e32 v8, 0x7f800000, v7
	global_store_d16_hi_b16 v[0:1], v9, off offset:160
	v_cmp_ne_u32_e32 vcc_lo, 0x7f800000, v8
                                        ; implicit-def: $vgpr8
	s_and_saveexec_b32 s0, vcc_lo
	s_delay_alu instid0(SALU_CYCLE_1)
	s_xor_b32 s0, exec_lo, s0
; %bb.535:
	v_bfe_u32 v8, v7, 16, 1
	s_delay_alu instid0(VALU_DEP_1)
	v_add3_u32 v8, v7, v8, 0x7fff
                                        ; implicit-def: $vgpr7
; %bb.536:
	s_and_not1_saveexec_b32 s0, s0
; %bb.537:
	v_and_b32_e32 v8, 0xffff, v7
	v_or_b32_e32 v9, 0x10000, v7
	s_delay_alu instid0(VALU_DEP_2) | instskip(NEXT) | instid1(VALU_DEP_2)
	v_cmp_eq_u32_e32 vcc_lo, 0, v8
	v_cndmask_b32_e32 v8, v9, v7, vcc_lo
; %bb.538:
	s_or_b32 exec_lo, exec_lo, s0
	v_and_b32_e32 v7, 0x7f800000, v6
	global_store_d16_hi_b16 v[0:1], v8, off offset:192
	v_cmp_ne_u32_e32 vcc_lo, 0x7f800000, v7
                                        ; implicit-def: $vgpr7
	s_and_saveexec_b32 s0, vcc_lo
	s_delay_alu instid0(SALU_CYCLE_1)
	s_xor_b32 s0, exec_lo, s0
; %bb.539:
	v_bfe_u32 v7, v6, 16, 1
	s_delay_alu instid0(VALU_DEP_1)
	v_add3_u32 v7, v6, v7, 0x7fff
                                        ; implicit-def: $vgpr6
; %bb.540:
	s_and_not1_saveexec_b32 s0, s0
; %bb.541:
	v_and_b32_e32 v7, 0xffff, v6
	v_or_b32_e32 v8, 0x10000, v6
	s_delay_alu instid0(VALU_DEP_2) | instskip(NEXT) | instid1(VALU_DEP_2)
	v_cmp_eq_u32_e32 vcc_lo, 0, v7
	v_cndmask_b32_e32 v7, v8, v6, vcc_lo
; %bb.542:
	s_or_b32 exec_lo, exec_lo, s0
	v_and_b32_e32 v6, 0x7f800000, v5
	global_store_d16_hi_b16 v[0:1], v7, off offset:224
	v_cmp_ne_u32_e32 vcc_lo, 0x7f800000, v6
                                        ; implicit-def: $vgpr6
	s_and_saveexec_b32 s0, vcc_lo
	s_delay_alu instid0(SALU_CYCLE_1)
	s_xor_b32 s0, exec_lo, s0
; %bb.543:
	v_bfe_u32 v6, v5, 16, 1
	s_delay_alu instid0(VALU_DEP_1)
	v_add3_u32 v6, v5, v6, 0x7fff
                                        ; implicit-def: $vgpr5
; %bb.544:
	s_and_not1_saveexec_b32 s0, s0
; %bb.545:
	v_and_b32_e32 v6, 0xffff, v5
	v_or_b32_e32 v7, 0x10000, v5
	s_delay_alu instid0(VALU_DEP_2) | instskip(NEXT) | instid1(VALU_DEP_2)
	v_cmp_eq_u32_e32 vcc_lo, 0, v6
	v_cndmask_b32_e32 v6, v7, v5, vcc_lo
; %bb.546:
	s_or_b32 exec_lo, exec_lo, s0
	v_and_b32_e32 v5, 0x7f800000, v4
	global_store_d16_hi_b16 v[0:1], v6, off offset:256
	v_cmp_ne_u32_e32 vcc_lo, 0x7f800000, v5
                                        ; implicit-def: $vgpr5
	s_and_saveexec_b32 s0, vcc_lo
	s_delay_alu instid0(SALU_CYCLE_1)
	s_xor_b32 s0, exec_lo, s0
; %bb.547:
	v_bfe_u32 v5, v4, 16, 1
	s_delay_alu instid0(VALU_DEP_1)
	v_add3_u32 v5, v4, v5, 0x7fff
                                        ; implicit-def: $vgpr4
; %bb.548:
	s_and_not1_saveexec_b32 s0, s0
; %bb.549:
	v_and_b32_e32 v5, 0xffff, v4
	v_or_b32_e32 v6, 0x10000, v4
	s_delay_alu instid0(VALU_DEP_2) | instskip(NEXT) | instid1(VALU_DEP_2)
	v_cmp_eq_u32_e32 vcc_lo, 0, v5
	v_cndmask_b32_e32 v5, v6, v4, vcc_lo
; %bb.550:
	s_or_b32 exec_lo, exec_lo, s0
	v_and_b32_e32 v4, 0x7f800000, v3
	global_store_d16_hi_b16 v[0:1], v5, off offset:288
	v_cmp_ne_u32_e32 vcc_lo, 0x7f800000, v4
                                        ; implicit-def: $vgpr4
	s_and_saveexec_b32 s0, vcc_lo
	s_delay_alu instid0(SALU_CYCLE_1)
	s_xor_b32 s0, exec_lo, s0
; %bb.551:
	v_bfe_u32 v4, v3, 16, 1
	s_delay_alu instid0(VALU_DEP_1)
	v_add3_u32 v4, v3, v4, 0x7fff
                                        ; implicit-def: $vgpr3
; %bb.552:
	s_and_not1_saveexec_b32 s0, s0
; %bb.553:
	v_and_b32_e32 v4, 0xffff, v3
	v_or_b32_e32 v5, 0x10000, v3
	s_delay_alu instid0(VALU_DEP_2) | instskip(NEXT) | instid1(VALU_DEP_2)
	v_cmp_eq_u32_e32 vcc_lo, 0, v4
	v_cndmask_b32_e32 v4, v5, v3, vcc_lo
; %bb.554:
	s_or_b32 exec_lo, exec_lo, s0
	v_and_b32_e32 v3, 0x7f800000, v2
	global_store_d16_hi_b16 v[0:1], v4, off offset:320
	v_cmp_ne_u32_e32 vcc_lo, 0x7f800000, v3
                                        ; implicit-def: $vgpr3
	s_and_saveexec_b32 s0, vcc_lo
	s_delay_alu instid0(SALU_CYCLE_1)
	s_xor_b32 s0, exec_lo, s0
; %bb.555:
	v_bfe_u32 v3, v2, 16, 1
	s_delay_alu instid0(VALU_DEP_1)
	v_add3_u32 v3, v2, v3, 0x7fff
                                        ; implicit-def: $vgpr2
; %bb.556:
	s_and_not1_saveexec_b32 s0, s0
; %bb.557:
	v_and_b32_e32 v3, 0xffff, v2
	v_or_b32_e32 v4, 0x10000, v2
	s_delay_alu instid0(VALU_DEP_2) | instskip(NEXT) | instid1(VALU_DEP_2)
	v_cmp_eq_u32_e32 vcc_lo, 0, v3
	v_cndmask_b32_e32 v3, v4, v2, vcc_lo
; %bb.558:
	s_or_b32 exec_lo, exec_lo, s0
	global_store_d16_hi_b16 v[0:1], v3, off offset:352
.LBB176_559:
	s_nop 0
	s_sendmsg sendmsg(MSG_DEALLOC_VGPRS)
	s_endpgm
.LBB176_560:
	v_lshl_add_u32 v13, v15, 2, v14
	ds_load_b32 v13, v13
	s_waitcnt lgkmcnt(0)
	v_add_f32_e32 v1, v1, v13
	s_or_b32 exec_lo, exec_lo, s0
	s_and_saveexec_b32 s0, vcc_lo
	s_cbranch_execz .LBB176_479
.LBB176_561:
	v_lshl_add_u32 v13, v15, 2, v14
	ds_load_b32 v13, v13 offset:64
	s_waitcnt lgkmcnt(0)
	v_add_f32_e32 v16, v16, v13
	s_or_b32 exec_lo, exec_lo, s0
	s_and_saveexec_b32 s0, vcc_lo
	s_cbranch_execz .LBB176_480
.LBB176_562:
	v_lshl_add_u32 v13, v15, 2, v14
	ds_load_b32 v13, v13 offset:128
	s_waitcnt lgkmcnt(0)
	v_add_f32_e32 v11, v11, v13
	s_or_b32 exec_lo, exec_lo, s0
	s_and_saveexec_b32 s0, vcc_lo
	s_cbranch_execz .LBB176_481
.LBB176_563:
	v_lshl_add_u32 v13, v15, 2, v14
	ds_load_b32 v13, v13 offset:192
	s_waitcnt lgkmcnt(0)
	v_add_f32_e32 v10, v10, v13
	s_or_b32 exec_lo, exec_lo, s0
	s_and_saveexec_b32 s0, vcc_lo
	s_cbranch_execz .LBB176_482
.LBB176_564:
	v_lshl_add_u32 v13, v15, 2, v14
	ds_load_b32 v13, v13 offset:256
	s_waitcnt lgkmcnt(0)
	v_add_f32_e32 v9, v9, v13
	s_or_b32 exec_lo, exec_lo, s0
	s_and_saveexec_b32 s0, vcc_lo
	s_cbranch_execz .LBB176_483
.LBB176_565:
	v_lshl_add_u32 v13, v15, 2, v14
	ds_load_b32 v13, v13 offset:320
	s_waitcnt lgkmcnt(0)
	v_add_f32_e32 v8, v8, v13
	s_or_b32 exec_lo, exec_lo, s0
	s_and_saveexec_b32 s0, vcc_lo
	s_cbranch_execz .LBB176_484
.LBB176_566:
	v_lshl_add_u32 v13, v15, 2, v14
	ds_load_b32 v13, v13 offset:384
	s_waitcnt lgkmcnt(0)
	v_add_f32_e32 v7, v7, v13
	s_or_b32 exec_lo, exec_lo, s0
	s_and_saveexec_b32 s0, vcc_lo
	s_cbranch_execz .LBB176_485
.LBB176_567:
	v_lshl_add_u32 v13, v15, 2, v14
	ds_load_b32 v13, v13 offset:448
	s_waitcnt lgkmcnt(0)
	v_add_f32_e32 v6, v6, v13
	s_or_b32 exec_lo, exec_lo, s0
	s_and_saveexec_b32 s0, vcc_lo
	s_cbranch_execz .LBB176_486
.LBB176_568:
	v_lshl_add_u32 v13, v15, 2, v14
	ds_load_b32 v13, v13 offset:512
	s_waitcnt lgkmcnt(0)
	v_add_f32_e32 v5, v5, v13
	s_or_b32 exec_lo, exec_lo, s0
	s_and_saveexec_b32 s0, vcc_lo
	s_cbranch_execz .LBB176_487
.LBB176_569:
	v_lshl_add_u32 v13, v15, 2, v14
	ds_load_b32 v13, v13 offset:576
	s_waitcnt lgkmcnt(0)
	v_add_f32_e32 v4, v4, v13
	s_or_b32 exec_lo, exec_lo, s0
	s_and_saveexec_b32 s0, vcc_lo
	s_cbranch_execz .LBB176_488
.LBB176_570:
	v_lshl_add_u32 v13, v15, 2, v14
	ds_load_b32 v13, v13 offset:640
	s_waitcnt lgkmcnt(0)
	v_add_f32_e32 v3, v3, v13
	s_or_b32 exec_lo, exec_lo, s0
	s_and_saveexec_b32 s0, vcc_lo
	s_cbranch_execnz .LBB176_489
	s_branch .LBB176_490
.LBB176_571:
	ds_load_b32 v13, v0
	s_waitcnt lgkmcnt(0)
	v_add_f32_e32 v1, v1, v13
	s_or_b32 exec_lo, exec_lo, s2
	s_and_saveexec_b32 s2, vcc_lo
	s_cbranch_execz .LBB176_496
.LBB176_572:
	ds_load_b32 v13, v0 offset:64
	s_waitcnt lgkmcnt(0)
	v_add_f32_e32 v16, v16, v13
	s_or_b32 exec_lo, exec_lo, s2
	s_and_saveexec_b32 s2, vcc_lo
	s_cbranch_execz .LBB176_497
.LBB176_573:
	ds_load_b32 v13, v0 offset:128
	s_waitcnt lgkmcnt(0)
	v_add_f32_e32 v11, v11, v13
	s_or_b32 exec_lo, exec_lo, s2
	s_and_saveexec_b32 s2, vcc_lo
	s_cbranch_execz .LBB176_498
.LBB176_574:
	ds_load_b32 v13, v0 offset:192
	s_waitcnt lgkmcnt(0)
	v_add_f32_e32 v10, v10, v13
	s_or_b32 exec_lo, exec_lo, s2
	s_and_saveexec_b32 s2, vcc_lo
	s_cbranch_execz .LBB176_499
.LBB176_575:
	ds_load_b32 v13, v0 offset:256
	s_waitcnt lgkmcnt(0)
	v_add_f32_e32 v9, v9, v13
	s_or_b32 exec_lo, exec_lo, s2
	s_and_saveexec_b32 s2, vcc_lo
	s_cbranch_execz .LBB176_500
.LBB176_576:
	ds_load_b32 v13, v0 offset:320
	s_waitcnt lgkmcnt(0)
	v_add_f32_e32 v8, v8, v13
	s_or_b32 exec_lo, exec_lo, s2
	s_and_saveexec_b32 s2, vcc_lo
	s_cbranch_execz .LBB176_501
.LBB176_577:
	ds_load_b32 v13, v0 offset:384
	s_waitcnt lgkmcnt(0)
	v_add_f32_e32 v7, v7, v13
	s_or_b32 exec_lo, exec_lo, s2
	s_and_saveexec_b32 s2, vcc_lo
	s_cbranch_execz .LBB176_502
.LBB176_578:
	ds_load_b32 v13, v0 offset:448
	s_waitcnt lgkmcnt(0)
	v_add_f32_e32 v6, v6, v13
	s_or_b32 exec_lo, exec_lo, s2
	s_and_saveexec_b32 s2, vcc_lo
	s_cbranch_execz .LBB176_503
.LBB176_579:
	ds_load_b32 v13, v0 offset:512
	s_waitcnt lgkmcnt(0)
	v_add_f32_e32 v5, v5, v13
	s_or_b32 exec_lo, exec_lo, s2
	s_and_saveexec_b32 s2, vcc_lo
	s_cbranch_execz .LBB176_504
.LBB176_580:
	ds_load_b32 v13, v0 offset:576
	s_waitcnt lgkmcnt(0)
	v_add_f32_e32 v4, v4, v13
	s_or_b32 exec_lo, exec_lo, s2
	s_and_saveexec_b32 s2, vcc_lo
	s_cbranch_execz .LBB176_505
.LBB176_581:
	ds_load_b32 v13, v0 offset:640
	s_waitcnt lgkmcnt(0)
	v_add_f32_e32 v3, v3, v13
	s_or_b32 exec_lo, exec_lo, s2
	s_and_saveexec_b32 s2, vcc_lo
	s_cbranch_execnz .LBB176_506
	s_branch .LBB176_507
	.section	.rodata,"a",@progbits
	.p2align	6, 0x0
	.amdhsa_kernel _ZN4vllm25paged_attention_v2_kernelI14__hip_bfloat16S1_Li192ELi16ELi128ELNS_18Fp8KVCacheDataTypeE0ELb0ELi512EEEvPfS3_PT_PKS4_PKT0_SA_ifPKiSC_iPKfiiiSE_SE_iiiii
		.amdhsa_group_segment_fixed_size 416
		.amdhsa_private_segment_fixed_size 0
		.amdhsa_kernarg_size 400
		.amdhsa_user_sgpr_count 13
		.amdhsa_user_sgpr_dispatch_ptr 0
		.amdhsa_user_sgpr_queue_ptr 0
		.amdhsa_user_sgpr_kernarg_segment_ptr 1
		.amdhsa_user_sgpr_dispatch_id 0
		.amdhsa_user_sgpr_private_segment_size 0
		.amdhsa_wavefront_size32 1
		.amdhsa_uses_dynamic_stack 0
		.amdhsa_enable_private_segment 0
		.amdhsa_system_sgpr_workgroup_id_x 1
		.amdhsa_system_sgpr_workgroup_id_y 1
		.amdhsa_system_sgpr_workgroup_id_z 1
		.amdhsa_system_sgpr_workgroup_info 0
		.amdhsa_system_vgpr_workitem_id 0
		.amdhsa_next_free_vgpr 166
		.amdhsa_next_free_sgpr 38
		.amdhsa_reserve_vcc 1
		.amdhsa_float_round_mode_32 0
		.amdhsa_float_round_mode_16_64 0
		.amdhsa_float_denorm_mode_32 3
		.amdhsa_float_denorm_mode_16_64 3
		.amdhsa_dx10_clamp 1
		.amdhsa_ieee_mode 1
		.amdhsa_fp16_overflow 0
		.amdhsa_workgroup_processor_mode 1
		.amdhsa_memory_ordered 1
		.amdhsa_forward_progress 0
		.amdhsa_shared_vgpr_count 0
		.amdhsa_exception_fp_ieee_invalid_op 0
		.amdhsa_exception_fp_denorm_src 0
		.amdhsa_exception_fp_ieee_div_zero 0
		.amdhsa_exception_fp_ieee_overflow 0
		.amdhsa_exception_fp_ieee_underflow 0
		.amdhsa_exception_fp_ieee_inexact 0
		.amdhsa_exception_int_div_zero 0
	.end_amdhsa_kernel
	.section	.text._ZN4vllm25paged_attention_v2_kernelI14__hip_bfloat16S1_Li192ELi16ELi128ELNS_18Fp8KVCacheDataTypeE0ELb0ELi512EEEvPfS3_PT_PKS4_PKT0_SA_ifPKiSC_iPKfiiiSE_SE_iiiii,"axG",@progbits,_ZN4vllm25paged_attention_v2_kernelI14__hip_bfloat16S1_Li192ELi16ELi128ELNS_18Fp8KVCacheDataTypeE0ELb0ELi512EEEvPfS3_PT_PKS4_PKT0_SA_ifPKiSC_iPKfiiiSE_SE_iiiii,comdat
.Lfunc_end176:
	.size	_ZN4vllm25paged_attention_v2_kernelI14__hip_bfloat16S1_Li192ELi16ELi128ELNS_18Fp8KVCacheDataTypeE0ELb0ELi512EEEvPfS3_PT_PKS4_PKT0_SA_ifPKiSC_iPKfiiiSE_SE_iiiii, .Lfunc_end176-_ZN4vllm25paged_attention_v2_kernelI14__hip_bfloat16S1_Li192ELi16ELi128ELNS_18Fp8KVCacheDataTypeE0ELb0ELi512EEEvPfS3_PT_PKS4_PKT0_SA_ifPKiSC_iPKfiiiSE_SE_iiiii
                                        ; -- End function
	.section	.AMDGPU.csdata,"",@progbits
; Kernel info:
; codeLenInByte = 22836
; NumSgprs: 40
; NumVgprs: 166
; ScratchSize: 0
; MemoryBound: 0
; FloatMode: 240
; IeeeMode: 1
; LDSByteSize: 416 bytes/workgroup (compile time only)
; SGPRBlocks: 4
; VGPRBlocks: 20
; NumSGPRsForWavesPerEU: 40
; NumVGPRsForWavesPerEU: 166
; Occupancy: 9
; WaveLimiterHint : 1
; COMPUTE_PGM_RSRC2:SCRATCH_EN: 0
; COMPUTE_PGM_RSRC2:USER_SGPR: 13
; COMPUTE_PGM_RSRC2:TRAP_HANDLER: 0
; COMPUTE_PGM_RSRC2:TGID_X_EN: 1
; COMPUTE_PGM_RSRC2:TGID_Y_EN: 1
; COMPUTE_PGM_RSRC2:TGID_Z_EN: 1
; COMPUTE_PGM_RSRC2:TIDIG_COMP_CNT: 0
	.text
	.p2align	2                               ; -- Begin function _ZN4vllm22paged_attention_kernelI14__hip_bfloat16S1_Li256ELi16ELi128ELNS_18Fp8KVCacheDataTypeE0ELb0ELi512EEEvPfS3_PT_PKS4_PKT0_SA_ifPKiSC_iPKfiiiSE_SE_iiiii
	.type	_ZN4vllm22paged_attention_kernelI14__hip_bfloat16S1_Li256ELi16ELi128ELNS_18Fp8KVCacheDataTypeE0ELb0ELi512EEEvPfS3_PT_PKS4_PKT0_SA_ifPKiSC_iPKfiiiSE_SE_iiiii,@function
_ZN4vllm22paged_attention_kernelI14__hip_bfloat16S1_Li256ELi16ELi128ELNS_18Fp8KVCacheDataTypeE0ELb0ELi512EEEvPfS3_PT_PKS4_PKT0_SA_ifPKiSC_iPKfiiiSE_SE_iiiii: ; @_ZN4vllm22paged_attention_kernelI14__hip_bfloat16S1_Li256ELi16ELi128ELNS_18Fp8KVCacheDataTypeE0ELb0ELi512EEEvPfS3_PT_PKS4_PKT0_SA_ifPKiSC_iPKfiiiSE_SE_iiiii
; %bb.0:
	s_waitcnt vmcnt(0) expcnt(0) lgkmcnt(0)
	s_clause 0x1f
	scratch_store_b32 off, v40, s32 offset:296
	; meta instruction
	scratch_store_b32 off, v41, s32 offset:292
	; meta instruction
	;; [unrolled: 2-line block ×31, first 2 shown]
	scratch_store_b32 off, v95, s32 offset:172
	s_clause 0x1f
	scratch_store_b32 off, v104, s32 offset:168
	; meta instruction
	scratch_store_b32 off, v105, s32 offset:164
	; meta instruction
	;; [unrolled: 2-line block ×31, first 2 shown]
	scratch_store_b32 off, v159, s32 offset:44
	s_clause 0xa
	scratch_store_b32 off, v168, s32 offset:40
	; meta instruction
	scratch_store_b32 off, v169, s32 offset:36
	; meta instruction
	;; [unrolled: 2-line block ×10, first 2 shown]
	scratch_store_b32 off, v186, s32
	s_mov_b32 s6, s13
	s_ashr_i32 s7, s13, 31
	s_lshl_b32 s18, s14, 9
	s_lshl_b64 s[0:1], s[6:7], 2
	s_mov_b32 s5, exec_lo
	v_add_co_u32 v16, vcc_lo, v16, s0
	v_add_co_ci_u32_e32 v17, vcc_lo, s1, v17, vcc_lo
	flat_load_b32 v27, v[16:17]
	s_waitcnt vmcnt(0) lgkmcnt(0)
	v_cmpx_lt_i32_e64 s18, v27
	s_cbranch_execz .LBB177_721
; %bb.1:
	v_sub_nc_u32_e32 v16, 0, v12
	s_clause 0x1
	s_load_b32 s0, s[8:9], 0x10
	s_load_b32 s1, s[8:9], 0x0
	s_mov_b32 s16, s15
	v_mov_b32_e32 v32, 0
	v_max_i32_e32 v16, v12, v16
	s_delay_alu instid0(VALU_DEP_1) | instskip(SKIP_1) | instid1(VALU_DEP_2)
	v_cvt_f32_u32_e32 v17, v16
	v_sub_nc_u32_e32 v24, 0, v16
	v_rcp_iflag_f32_e32 v17, v17
	s_waitcnt lgkmcnt(0)
	s_lshr_b32 s0, s0, 16
	s_delay_alu instid0(SALU_CYCLE_1) | instskip(SKIP_3) | instid1(SALU_CYCLE_1)
	s_cmp_lg_u32 s0, 0
	s_waitcnt_depctr 0xfff
	v_mul_f32_e32 v17, 0x4f7ffffe, v17
	s_cselect_b32 s0, -1, 0
	s_cmp_lg_u32 s0, 0
	s_delay_alu instid0(VALU_DEP_1)
	v_cvt_u32_f32_e32 v17, v17
	s_addc_u32 s7, s1, 0
	s_abs_i32 s1, s12
	s_abs_i32 s0, s7
	v_xor_b32_e32 v12, s7, v12
	v_mul_lo_u32 v24, v24, v17
	s_delay_alu instid0(VALU_DEP_2) | instskip(NEXT) | instid1(VALU_DEP_2)
	v_ashrrev_i32_e32 v12, 31, v12
	v_mul_hi_u32 v24, v17, v24
	s_delay_alu instid0(VALU_DEP_1) | instskip(NEXT) | instid1(VALU_DEP_1)
	v_add_nc_u32_e32 v17, v17, v24
	v_mul_hi_u32 v17, s0, v17
	s_delay_alu instid0(VALU_DEP_1) | instskip(SKIP_1) | instid1(VALU_DEP_2)
	v_mul_lo_u32 v24, v17, v16
	v_add_nc_u32_e32 v25, 1, v17
	v_sub_nc_u32_e32 v24, s0, v24
	s_mov_b32 s0, exec_lo
	s_delay_alu instid0(VALU_DEP_1) | instskip(SKIP_1) | instid1(VALU_DEP_2)
	v_sub_nc_u32_e32 v26, v24, v16
	v_cmp_ge_u32_e32 vcc_lo, v24, v16
	v_dual_cndmask_b32 v17, v17, v25 :: v_dual_cndmask_b32 v24, v24, v26
	s_delay_alu instid0(VALU_DEP_1) | instskip(NEXT) | instid1(VALU_DEP_2)
	v_add_nc_u32_e32 v25, 1, v17
	v_cmp_ge_u32_e32 vcc_lo, v24, v16
	s_delay_alu instid0(VALU_DEP_2) | instskip(NEXT) | instid1(VALU_DEP_1)
	v_cndmask_b32_e32 v16, v17, v25, vcc_lo
	v_xor_b32_e32 v16, v16, v12
	s_delay_alu instid0(VALU_DEP_1) | instskip(NEXT) | instid1(VALU_DEP_1)
	v_sub_nc_u32_e32 v12, v16, v12
	v_sub_nc_u32_e32 v16, 0, v12
	s_delay_alu instid0(VALU_DEP_1) | instskip(NEXT) | instid1(VALU_DEP_1)
	v_max_i32_e32 v24, v12, v16
	v_cvt_f32_u32_e32 v16, v24
	v_sub_nc_u32_e32 v17, 0, v24
	s_delay_alu instid0(VALU_DEP_2) | instskip(SKIP_2) | instid1(VALU_DEP_1)
	v_rcp_iflag_f32_e32 v16, v16
	s_waitcnt_depctr 0xfff
	v_mul_f32_e32 v16, 0x4f7ffffe, v16
	v_cvt_u32_f32_e32 v16, v16
	s_delay_alu instid0(VALU_DEP_1) | instskip(NEXT) | instid1(VALU_DEP_1)
	v_mul_lo_u32 v17, v17, v16
	v_mul_hi_u32 v17, v16, v17
	s_delay_alu instid0(VALU_DEP_1) | instskip(NEXT) | instid1(VALU_DEP_1)
	v_add_nc_u32_e32 v25, v16, v17
	v_mad_u64_u32 v[16:17], null, s1, v25, 0
	v_cmpx_ne_u64_e32 0, v[19:20]
	s_cbranch_execz .LBB177_3
; %bb.2:
	s_ashr_i32 s13, s12, 31
	s_delay_alu instid0(SALU_CYCLE_1) | instskip(NEXT) | instid1(SALU_CYCLE_1)
	s_lshl_b64 s[2:3], s[12:13], 2
	v_add_co_u32 v19, vcc_lo, v19, s2
	v_add_co_ci_u32_e32 v20, vcc_lo, s3, v20, vcc_lo
	flat_load_b32 v32, v[19:20]
.LBB177_3:
	s_or_b32 exec_lo, exec_lo, s0
	v_and_b32_e32 v25, 0x3ff, v31
	v_ashrrev_i32_e32 v16, 31, v12
	s_ashr_i32 s2, s12, 31
	s_lshl_b32 s10, s12, 8
	s_delay_alu instid0(VALU_DEP_2) | instskip(SKIP_3) | instid1(VALU_DEP_2)
	v_lshrrev_b32_e32 v12, 1, v25
	v_and_b32_e32 v26, 1, v25
	v_cmp_gt_u32_e64 s0, 64, v25
	v_lshlrev_b32_e32 v51, 3, v25
	s_and_saveexec_b32 s3, s0
	s_cbranch_execz .LBB177_5
; %bb.4:
	v_mul_lo_u32 v19, s6, v21
	s_ashr_i32 s11, s10, 31
	s_delay_alu instid0(SALU_CYCLE_1) | instskip(NEXT) | instid1(VALU_DEP_1)
	s_lshl_b64 s[20:21], s[10:11], 1
	v_ashrrev_i32_e32 v20, 31, v19
	s_delay_alu instid0(VALU_DEP_1) | instskip(NEXT) | instid1(VALU_DEP_1)
	v_lshlrev_b64 v[19:20], 1, v[19:20]
	v_add_co_u32 v6, vcc_lo, v6, v19
	s_delay_alu instid0(VALU_DEP_2) | instskip(SKIP_1) | instid1(VALU_DEP_3)
	v_add_co_ci_u32_e32 v7, vcc_lo, v7, v20, vcc_lo
	v_lshlrev_b32_e32 v19, 3, v12
	v_add_co_u32 v6, vcc_lo, v6, s20
	s_delay_alu instid0(VALU_DEP_3) | instskip(NEXT) | instid1(VALU_DEP_3)
	v_add_co_ci_u32_e32 v7, vcc_lo, s21, v7, vcc_lo
	v_lshl_add_u32 v19, v26, 8, v19
	s_delay_alu instid0(VALU_DEP_3) | instskip(NEXT) | instid1(VALU_DEP_3)
	v_add_co_u32 v6, vcc_lo, v6, v51
	v_add_co_ci_u32_e32 v7, vcc_lo, 0, v7, vcc_lo
	flat_load_b64 v[6:7], v[6:7]
	s_waitcnt vmcnt(0) lgkmcnt(0)
	ds_store_b64 v19, v[6:7]
.LBB177_5:
	s_or_b32 exec_lo, exec_lo, s3
	v_mul_lo_u32 v6, v17, v24
	v_add_nc_u32_e32 v7, 15, v27
	v_add_nc_u32_e32 v20, 1, v17
	v_lshrrev_b32_e32 v28, 5, v25
	s_lshl_b32 s13, s14, 5
	v_mbcnt_lo_u32_b32 v30, -1, 0
	v_ashrrev_i32_e32 v19, 31, v7
	s_waitcnt vmcnt(0) lgkmcnt(0)
	s_waitcnt_vscnt null, 0x0
	v_sub_nc_u32_e32 v6, s1, v6
	s_add_i32 s1, s13, 32
	s_barrier
	v_lshrrev_b32_e32 v19, 28, v19
	buffer_gl0_inv
	v_sub_nc_u32_e32 v21, v6, v24
	v_cmp_ge_u32_e32 vcc_lo, v6, v24
                                        ; implicit-def: $vgpr41
	v_add_nc_u32_e32 v7, v7, v19
	v_cndmask_b32_e32 v17, v17, v20, vcc_lo
	s_delay_alu instid0(VALU_DEP_4) | instskip(SKIP_1) | instid1(VALU_DEP_4)
	v_cndmask_b32_e32 v19, v6, v21, vcc_lo
	v_xor_b32_e32 v21, s2, v16
	v_ashrrev_i32_e32 v52, 4, v7
	v_mul_lo_u32 v6, s6, v18
	v_add_nc_u32_e32 v20, 1, v17
	v_cmp_ge_u32_e32 vcc_lo, v19, v24
	v_or_b32_e32 v16, s13, v28
	v_min_i32_e32 v29, s1, v52
                                        ; implicit-def: $sgpr2
	s_delay_alu instid0(VALU_DEP_4) | instskip(NEXT) | instid1(VALU_DEP_2)
	v_cndmask_b32_e32 v7, v17, v20, vcc_lo
	v_cmp_ge_i32_e64 s1, v16, v29
	s_delay_alu instid0(VALU_DEP_2) | instskip(SKIP_1) | instid1(VALU_DEP_2)
	v_xor_b32_e32 v17, v7, v21
	v_ashrrev_i32_e32 v7, 31, v6
	v_sub_nc_u32_e32 v17, v17, v21
	s_delay_alu instid0(VALU_DEP_4) | instskip(NEXT) | instid1(SALU_CYCLE_1)
	s_and_saveexec_b32 s3, s1
	s_xor_b32 s3, exec_lo, s3
; %bb.6:
	v_mbcnt_lo_u32_b32 v30, -1, 0
	v_mov_b32_e32 v41, 32
	s_mov_b32 s2, 0xff7fffff
                                        ; implicit-def: $vgpr32
                                        ; implicit-def: $vgpr13
                                        ; implicit-def: $vgpr8
                                        ; implicit-def: $vgpr9
; %bb.7:
	s_or_saveexec_b32 s15, s3
	s_clause 0x1
	s_load_b32 s19, s[8:9], 0x14
	s_load_b32 s11, s[8:9], 0x8
	v_mul_lo_u32 v18, v17, v23
	v_lshlrev_b64 v[6:7], 2, v[6:7]
	v_mov_b32_e32 v139, s2
	v_ashrrev_i32_e32 v17, 31, v16
	s_delay_alu instid0(VALU_DEP_4)
	v_ashrrev_i32_e32 v19, 31, v18
	s_xor_b32 exec_lo, exec_lo, s15
	s_cbranch_execz .LBB177_13
; %bb.8:
	v_xor_b32_e32 v140, 1, v30
	v_lshlrev_b32_e32 v20, 8, v26
	v_lshlrev_b64 v[23:24], 2, v[16:17]
	s_ashr_i32 s17, s16, 31
	s_getpc_b64 s[8:9]
	s_add_u32 s8, s8, llvm.amdgcn.dynlds.offset.table@rel32@lo+4
	s_addc_u32 s9, s9, llvm.amdgcn.dynlds.offset.table@rel32@hi+12
	ds_load_b128 v[36:39], v20
	ds_load_b128 v[64:67], v20 offset:16
	ds_load_b128 v[80:83], v20 offset:32
	;; [unrolled: 1-line block ×15, first 2 shown]
	v_lshlrev_b64 v[20:21], 1, v[18:19]
	s_lshl_b64 s[20:21], s[16:17], 2
	v_cmp_neq_f32_e64 s2, 0, v32
	v_sub_nc_u32_e32 v153, 1, v27
	s_waitcnt lgkmcnt(0)
	v_dual_mov_b32 v154, v16 :: v_dual_lshlrev_b32 v31, 16, v36
	v_add_co_u32 v8, vcc_lo, v8, v20
	v_add_co_ci_u32_e32 v9, vcc_lo, v9, v21, vcc_lo
	v_lshlrev_b32_e32 v180, 16, v41
	v_and_b32_e32 v181, 0xffff0000, v41
	v_bfe_u32 v41, v25, 1, 4
	v_add_co_u32 v21, vcc_lo, v6, v23
	v_add_co_ci_u32_e32 v23, vcc_lo, v7, v24, vcc_lo
	s_delay_alu instid0(VALU_DEP_3)
	v_lshlrev_b32_e32 v20, 4, v41
	v_lshlrev_b32_e32 v48, 16, v64
	v_and_b32_e32 v49, 0xffff0000, v64
	v_lshlrev_b32_e32 v50, 16, v65
	v_and_b32_e32 v53, 0xffff0000, v65
	v_add_co_u32 v20, vcc_lo, v8, v20
	v_add_co_ci_u32_e32 v24, vcc_lo, 0, v9, vcc_lo
	v_add_co_u32 v8, vcc_lo, v14, v21
	v_add_co_ci_u32_e32 v9, vcc_lo, v15, v23, vcc_lo
	v_cmp_gt_i32_e32 vcc_lo, 32, v140
	v_lshlrev_b32_e32 v54, 16, v66
	v_and_b32_e32 v55, 0xffff0000, v66
	v_lshlrev_b32_e32 v64, 16, v67
	v_and_b32_e32 v65, 0xffff0000, v67
	v_lshlrev_b32_e32 v66, 16, v80
	v_and_b32_e32 v67, 0xffff0000, v80
	v_lshlrev_b32_e32 v68, 16, v81
	v_and_b32_e32 v69, 0xffff0000, v81
	v_lshlrev_b32_e32 v70, 16, v82
	v_and_b32_e32 v71, 0xffff0000, v82
	v_lshlrev_b32_e32 v80, 16, v83
	v_and_b32_e32 v81, 0xffff0000, v83
	v_lshlrev_b32_e32 v82, 16, v96
	v_and_b32_e32 v83, 0xffff0000, v96
	v_lshlrev_b32_e32 v84, 16, v97
	v_and_b32_e32 v85, 0xffff0000, v97
	v_lshlrev_b32_e32 v86, 16, v98
	v_and_b32_e32 v87, 0xffff0000, v98
	v_lshlrev_b32_e32 v96, 16, v99
	v_and_b32_e32 v97, 0xffff0000, v99
	v_lshlrev_b32_e32 v98, 16, v112
	v_and_b32_e32 v99, 0xffff0000, v112
	v_lshlrev_b32_e32 v100, 16, v113
	v_and_b32_e32 v101, 0xffff0000, v113
	v_lshlrev_b32_e32 v102, 16, v114
	v_and_b32_e32 v103, 0xffff0000, v114
	v_lshlrev_b32_e32 v112, 16, v115
	v_and_b32_e32 v113, 0xffff0000, v115
	v_lshlrev_b32_e32 v114, 16, v128
	v_and_b32_e32 v115, 0xffff0000, v128
	v_lshlrev_b32_e32 v116, 16, v129
	v_and_b32_e32 v117, 0xffff0000, v129
	v_lshlrev_b32_e32 v118, 16, v130
	v_and_b32_e32 v119, 0xffff0000, v130
	v_lshlrev_b32_e32 v128, 16, v131
	v_and_b32_e32 v129, 0xffff0000, v131
	v_lshlrev_b32_e32 v130, 16, v144
	v_and_b32_e32 v131, 0xffff0000, v144
	v_lshlrev_b32_e32 v132, 16, v145
	v_and_b32_e32 v133, 0xffff0000, v145
	v_lshlrev_b32_e32 v134, 16, v146
	v_and_b32_e32 v135, 0xffff0000, v146
	v_lshlrev_b32_e32 v144, 16, v147
	v_and_b32_e32 v145, 0xffff0000, v147
	v_lshlrev_b32_e32 v146, 16, v160
	v_and_b32_e32 v147, 0xffff0000, v160
	v_lshlrev_b32_e32 v148, 16, v161
	v_and_b32_e32 v149, 0xffff0000, v161
	v_lshlrev_b32_e32 v150, 16, v162
	v_and_b32_e32 v151, 0xffff0000, v162
	v_lshlrev_b32_e32 v160, 16, v163
	v_and_b32_e32 v161, 0xffff0000, v163
	v_lshlrev_b32_e32 v162, 16, v176
	v_and_b32_e32 v163, 0xffff0000, v176
	v_lshlrev_b32_e32 v164, 16, v177
	v_and_b32_e32 v165, 0xffff0000, v177
	v_lshlrev_b32_e32 v166, 16, v178
	v_and_b32_e32 v167, 0xffff0000, v178
	v_lshlrev_b32_e32 v176, 16, v179
	v_and_b32_e32 v177, 0xffff0000, v179
	v_lshlrev_b32_e32 v178, 16, v40
	v_and_b32_e32 v179, 0xffff0000, v40
	v_lshlrev_b32_e32 v182, 16, v42
	v_and_b32_e32 v183, 0xffff0000, v42
	v_lshlrev_b32_e32 v40, 16, v43
	v_and_b32_e32 v42, 0xffff0000, v43
	v_lshlrev_b32_e32 v43, 16, v56
	v_and_b32_e32 v44, 0xffff0000, v56
	v_lshlrev_b32_e32 v45, 16, v57
	v_and_b32_e32 v46, 0xffff0000, v57
	v_lshlrev_b32_e32 v47, 16, v58
	v_and_b32_e32 v56, 0xffff0000, v58
	v_lshlrev_b32_e32 v57, 16, v59
	v_and_b32_e32 v58, 0xffff0000, v59
	v_lshlrev_b32_e32 v59, 16, v72
	v_and_b32_e32 v60, 0xffff0000, v72
	v_lshlrev_b32_e32 v61, 16, v73
	v_and_b32_e32 v62, 0xffff0000, v73
	v_lshlrev_b32_e32 v63, 16, v74
	v_and_b32_e32 v72, 0xffff0000, v74
	v_lshlrev_b32_e32 v73, 16, v75
	v_and_b32_e32 v74, 0xffff0000, v75
	v_lshlrev_b32_e32 v75, 16, v88
	v_and_b32_e32 v76, 0xffff0000, v88
	v_lshlrev_b32_e32 v77, 16, v89
	v_and_b32_e32 v78, 0xffff0000, v89
	v_lshlrev_b32_e32 v79, 16, v90
	v_and_b32_e32 v88, 0xffff0000, v90
	v_lshlrev_b32_e32 v89, 16, v91
	v_and_b32_e32 v90, 0xffff0000, v91
	v_lshlrev_b32_e32 v91, 16, v104
	v_and_b32_e32 v92, 0xffff0000, v104
	v_lshlrev_b32_e32 v93, 16, v105
	v_and_b32_e32 v94, 0xffff0000, v105
	v_lshlrev_b32_e32 v95, 16, v106
	v_and_b32_e32 v104, 0xffff0000, v106
	v_lshlrev_b32_e32 v105, 16, v107
	v_and_b32_e32 v106, 0xffff0000, v107
	v_lshlrev_b32_e32 v107, 16, v120
	v_and_b32_e32 v108, 0xffff0000, v120
	v_lshlrev_b32_e32 v109, 16, v121
	v_and_b32_e32 v110, 0xffff0000, v121
	v_lshlrev_b32_e32 v111, 16, v122
	v_and_b32_e32 v120, 0xffff0000, v122
	v_lshlrev_b32_e32 v121, 16, v123
	v_and_b32_e32 v122, 0xffff0000, v123
	v_lshlrev_b32_e32 v123, 16, v136
	v_and_b32_e32 v124, 0xffff0000, v136
	v_lshlrev_b32_e32 v125, 16, v137
	v_and_b32_e32 v126, 0xffff0000, v137
	v_lshlrev_b32_e32 v127, 16, v138
	v_and_b32_e32 v136, 0xffff0000, v138
	v_lshlrev_b32_e32 v137, 16, v139
	v_and_b32_e32 v138, 0xffff0000, v139
	v_and_b32_e32 v139, 8, v51
	v_cndmask_b32_e32 v21, v30, v140, vcc_lo
	v_and_b32_e32 v33, 0xffff0000, v36
	v_lshlrev_b32_e32 v34, 16, v37
	v_and_b32_e32 v35, 0xffff0000, v37
	v_add_co_u32 v140, vcc_lo, v20, v139
	v_lshlrev_b32_e32 v142, 2, v21
	v_lshlrev_b32_e32 v20, 4, v28
	;; [unrolled: 1-line block ×3, first 2 shown]
	v_add_co_ci_u32_e32 v141, vcc_lo, 0, v24, vcc_lo
	v_dual_mov_b32 v139, 0xff7fffff :: v_dual_lshlrev_b32 v36, 16, v38
	v_and_b32_e32 v37, 0xffff0000, v38
	v_lshlrev_b32_e32 v38, 16, v39
	v_and_b32_e32 v39, 0xffff0000, v39
	v_cmp_eq_u32_e32 vcc_lo, 0, v26
	v_add3_u32 v143, s18, v20, v41
	v_lshl_or_b32 v152, v28, 6, v21
	v_mov_b32_e32 v41, 32
	s_add_u32 s8, s20, s8
	s_mov_b32 s17, 0
	s_addc_u32 s9, s21, s9
	s_branch .LBB177_10
.LBB177_9:                              ;   in Loop: Header=BB177_10 Depth=1
	s_or_b32 exec_lo, exec_lo, s4
	v_add_nc_u32_e32 v154, 4, v154
	v_add_co_u32 v8, s4, v8, 16
	s_delay_alu instid0(VALU_DEP_1) | instskip(NEXT) | instid1(VALU_DEP_3)
	v_add_co_ci_u32_e64 v9, s4, 0, v9, s4
	v_cmp_ge_i32_e64 s3, v154, v29
	v_add_nc_u32_e32 v143, 64, v143
	v_add_nc_u32_e32 v152, 0x100, v152
	s_delay_alu instid0(VALU_DEP_3) | instskip(NEXT) | instid1(SALU_CYCLE_1)
	s_or_b32 s17, s3, s17
	s_and_not1_b32 exec_lo, exec_lo, s17
	s_cbranch_execz .LBB177_12
.LBB177_10:                             ; =>This Inner Loop Header: Depth=1
	flat_load_b32 v23, v[8:9]
	s_waitcnt vmcnt(0) lgkmcnt(0)
	v_mad_i64_i32 v[20:21], null, v23, v22, 0
	s_delay_alu instid0(VALU_DEP_1) | instskip(NEXT) | instid1(VALU_DEP_1)
	v_lshlrev_b64 v[20:21], 1, v[20:21]
	v_add_co_u32 v20, s3, v140, v20
	s_delay_alu instid0(VALU_DEP_1)
	v_add_co_ci_u32_e64 v21, s3, v141, v21, s3
	flat_load_b64 v[23:24], v[20:21]
	s_waitcnt vmcnt(0) lgkmcnt(0)
	v_lshlrev_b32_e32 v156, 16, v23
	v_and_b32_e32 v157, 0xffff0000, v23
	v_lshlrev_b32_e32 v158, 16, v24
	v_and_b32_e32 v159, 0xffff0000, v24
	flat_load_b64 v[23:24], v[20:21] offset:256
	s_waitcnt vmcnt(0) lgkmcnt(0)
	v_and_b32_e32 v170, 0xffff0000, v24
	v_lshlrev_b32_e32 v155, 16, v23
	s_delay_alu instid0(VALU_DEP_1) | instskip(NEXT) | instid1(VALU_DEP_1)
	v_mul_f32_e32 v155, v36, v155
	v_dual_fmac_f32 v155, v31, v156 :: v_dual_and_b32 v168, 0xffff0000, v23
	s_delay_alu instid0(VALU_DEP_1) | instskip(NEXT) | instid1(VALU_DEP_1)
	v_mul_f32_e32 v156, v37, v168
	v_dual_fmac_f32 v156, v33, v157 :: v_dual_lshlrev_b32 v169, 16, v24
	flat_load_b64 v[23:24], v[20:21] offset:512
	v_mul_f32_e32 v157, v38, v169
	s_delay_alu instid0(VALU_DEP_1) | instskip(SKIP_1) | instid1(VALU_DEP_1)
	v_fmac_f32_e32 v157, v34, v158
	v_mul_f32_e32 v158, v39, v170
	v_fmac_f32_e32 v158, v35, v159
	s_waitcnt vmcnt(0) lgkmcnt(0)
	v_and_b32_e32 v174, 0xffff0000, v24
	s_delay_alu instid0(VALU_DEP_1) | instskip(NEXT) | instid1(VALU_DEP_1)
	v_dual_fmac_f32 v158, v53, v174 :: v_dual_lshlrev_b32 v173, 16, v24
	v_dual_fmac_f32 v157, v50, v173 :: v_dual_and_b32 v172, 0xffff0000, v23
	v_lshlrev_b32_e32 v171, 16, v23
	flat_load_b64 v[23:24], v[20:21] offset:768
	v_dual_fmac_f32 v156, v49, v172 :: v_dual_fmac_f32 v155, v48, v171
	s_waitcnt vmcnt(0) lgkmcnt(0)
	v_and_b32_e32 v170, 0xffff0000, v24
	s_delay_alu instid0(VALU_DEP_1) | instskip(NEXT) | instid1(VALU_DEP_1)
	v_dual_fmac_f32 v158, v65, v170 :: v_dual_lshlrev_b32 v169, 16, v24
	v_dual_fmac_f32 v157, v64, v169 :: v_dual_and_b32 v168, 0xffff0000, v23
	v_lshlrev_b32_e32 v159, 16, v23
	flat_load_b64 v[23:24], v[20:21] offset:1024
	v_dual_fmac_f32 v156, v55, v168 :: v_dual_fmac_f32 v155, v54, v159
	;; [unrolled: 8-line block ×12, first 2 shown]
	s_waitcnt vmcnt(0) lgkmcnt(0)
	v_and_b32_e32 v174, 0xffff0000, v24
	s_delay_alu instid0(VALU_DEP_1) | instskip(NEXT) | instid1(VALU_DEP_1)
	v_dual_fmac_f32 v158, v149, v174 :: v_dual_lshlrev_b32 v173, 16, v24
	v_dual_fmac_f32 v157, v148, v173 :: v_dual_and_b32 v172, 0xffff0000, v23
	v_lshlrev_b32_e32 v171, 16, v23
	v_add_co_u32 v23, s3, 0x1000, v20
	s_delay_alu instid0(VALU_DEP_3) | instskip(SKIP_4) | instid1(VALU_DEP_1)
	v_fmac_f32_e32 v156, v147, v172
	v_add_co_ci_u32_e64 v24, s3, 0, v21, s3
	flat_load_b64 v[20:21], v[20:21] offset:3840
	s_waitcnt vmcnt(0) lgkmcnt(0)
	v_dual_fmac_f32 v155, v146, v171 :: v_dual_and_b32 v170, 0xffff0000, v21
	v_dual_fmac_f32 v158, v161, v170 :: v_dual_lshlrev_b32 v159, 16, v20
	s_delay_alu instid0(VALU_DEP_1)
	v_dual_fmac_f32 v155, v150, v159 :: v_dual_and_b32 v168, 0xffff0000, v20
	v_lshlrev_b32_e32 v169, 16, v21
	flat_load_b64 v[20:21], v[23:24]
	v_dual_fmac_f32 v156, v151, v168 :: v_dual_fmac_f32 v157, v160, v169
	s_waitcnt vmcnt(0) lgkmcnt(0)
	v_and_b32_e32 v172, 0xffff0000, v20
	v_lshlrev_b32_e32 v173, 16, v21
	v_and_b32_e32 v174, 0xffff0000, v21
	v_lshlrev_b32_e32 v171, 16, v20
	flat_load_b64 v[20:21], v[23:24] offset:256
	v_dual_fmac_f32 v156, v163, v172 :: v_dual_fmac_f32 v157, v164, v173
	v_dual_fmac_f32 v158, v165, v174 :: v_dual_fmac_f32 v155, v162, v171
	s_waitcnt vmcnt(0) lgkmcnt(0)
	v_and_b32_e32 v168, 0xffff0000, v20
	v_lshlrev_b32_e32 v169, 16, v21
	v_and_b32_e32 v170, 0xffff0000, v21
	v_lshlrev_b32_e32 v159, 16, v20
	flat_load_b64 v[20:21], v[23:24] offset:512
	v_dual_fmac_f32 v156, v167, v168 :: v_dual_fmac_f32 v157, v176, v169
	v_dual_fmac_f32 v158, v177, v170 :: v_dual_fmac_f32 v155, v166, v159
	s_waitcnt vmcnt(0) lgkmcnt(0)
	v_and_b32_e32 v172, 0xffff0000, v20
	v_lshlrev_b32_e32 v173, 16, v21
	v_and_b32_e32 v174, 0xffff0000, v21
	v_lshlrev_b32_e32 v171, 16, v20
	flat_load_b64 v[20:21], v[23:24] offset:768
	v_dual_fmac_f32 v156, v179, v172 :: v_dual_fmac_f32 v157, v180, v173
	v_dual_fmac_f32 v158, v181, v174 :: v_dual_fmac_f32 v155, v178, v171
	s_waitcnt vmcnt(0) lgkmcnt(0)
	v_and_b32_e32 v168, 0xffff0000, v20
	v_lshlrev_b32_e32 v169, 16, v21
	v_and_b32_e32 v170, 0xffff0000, v21
	v_lshlrev_b32_e32 v159, 16, v20
	flat_load_b64 v[20:21], v[23:24] offset:1024
	v_dual_fmac_f32 v156, v183, v168 :: v_dual_fmac_f32 v157, v40, v169
	v_fmac_f32_e32 v158, v42, v170
	s_waitcnt vmcnt(0) lgkmcnt(0)
	v_dual_fmac_f32 v155, v182, v159 :: v_dual_and_b32 v172, 0xffff0000, v20
	v_lshlrev_b32_e32 v173, 16, v21
	v_and_b32_e32 v174, 0xffff0000, v21
	v_lshlrev_b32_e32 v171, 16, v20
	flat_load_b64 v[20:21], v[23:24] offset:1280
	v_dual_fmac_f32 v156, v44, v172 :: v_dual_fmac_f32 v157, v45, v173
	v_dual_fmac_f32 v158, v46, v174 :: v_dual_fmac_f32 v155, v43, v171
	s_waitcnt vmcnt(0) lgkmcnt(0)
	v_and_b32_e32 v168, 0xffff0000, v20
	v_lshlrev_b32_e32 v169, 16, v21
	v_and_b32_e32 v170, 0xffff0000, v21
	v_lshlrev_b32_e32 v159, 16, v20
	flat_load_b64 v[20:21], v[23:24] offset:1536
	v_dual_fmac_f32 v156, v56, v168 :: v_dual_fmac_f32 v157, v57, v169
	v_dual_fmac_f32 v158, v58, v170 :: v_dual_fmac_f32 v155, v47, v159
	s_waitcnt vmcnt(0) lgkmcnt(0)
	v_and_b32_e32 v172, 0xffff0000, v20
	;; [unrolled: 8-line block ×9, first 2 shown]
	v_lshlrev_b32_e32 v169, 16, v21
	v_and_b32_e32 v170, 0xffff0000, v21
	v_lshlrev_b32_e32 v159, 16, v20
	flat_load_b64 v[20:21], v[23:24] offset:3584
	v_dual_fmac_f32 v156, v120, v168 :: v_dual_fmac_f32 v157, v121, v169
	v_dual_fmac_f32 v158, v122, v170 :: v_dual_fmac_f32 v155, v111, v159
	s_waitcnt vmcnt(0) lgkmcnt(0)
	v_lshlrev_b32_e32 v172, 16, v21
	v_and_b32_e32 v21, 0xffff0000, v21
	v_lshlrev_b32_e32 v171, 16, v20
	v_and_b32_e32 v20, 0xffff0000, v20
	s_delay_alu instid0(VALU_DEP_1) | instskip(NEXT) | instid1(VALU_DEP_4)
	v_fmac_f32_e32 v156, v124, v20
	v_fmac_f32_e32 v158, v126, v21
	flat_load_b64 v[20:21], v[23:24] offset:3840
	v_fmac_f32_e32 v155, v123, v171
	s_waitcnt vmcnt(0) lgkmcnt(0)
	v_lshlrev_b32_e32 v23, 16, v20
	s_delay_alu instid0(VALU_DEP_1) | instskip(SKIP_1) | instid1(VALU_DEP_2)
	v_dual_fmac_f32 v155, v127, v23 :: v_dual_and_b32 v20, 0xffff0000, v20
	v_fmac_f32_e32 v157, v125, v172
	v_fmac_f32_e32 v156, v136, v20
	v_lshlrev_b32_e32 v20, 16, v21
	v_and_b32_e32 v21, 0xffff0000, v21
	s_delay_alu instid0(VALU_DEP_2) | instskip(NEXT) | instid1(VALU_DEP_4)
	v_fmac_f32_e32 v157, v137, v20
	v_add_f32_e32 v20, v155, v156
	s_delay_alu instid0(VALU_DEP_3) | instskip(NEXT) | instid1(VALU_DEP_2)
	v_fmac_f32_e32 v158, v138, v21
	v_add_f32_e32 v20, v20, v157
	s_delay_alu instid0(VALU_DEP_1)
	v_add_f32_e32 v20, v158, v20
	ds_bpermute_b32 v21, v142, v20
	s_and_saveexec_b32 s4, vcc_lo
	s_cbranch_execz .LBB177_9
; %bb.11:                               ;   in Loop: Header=BB177_10 Depth=1
	s_waitcnt lgkmcnt(0)
	v_dual_add_f32 v20, v20, v21 :: v_dual_add_nc_u32 v23, v153, v143
	s_load_b32 s20, s[8:9], 0x0
	v_cmp_lt_i32_e64 s3, v143, v27
	s_delay_alu instid0(VALU_DEP_2) | instskip(NEXT) | instid1(VALU_DEP_1)
	v_cvt_f32_i32_e32 v23, v23
	v_mul_f32_e32 v23, v32, v23
	s_delay_alu instid0(VALU_DEP_1) | instskip(SKIP_1) | instid1(VALU_DEP_2)
	v_cndmask_b32_e64 v21, 0, v23, s2
	v_max_f32_e32 v23, v139, v139
	v_fmac_f32_e32 v21, v20, v13
	s_waitcnt lgkmcnt(0)
	s_delay_alu instid0(VALU_DEP_1) | instskip(SKIP_1) | instid1(VALU_DEP_2)
	v_dual_max_f32 v20, v23, v21 :: v_dual_add_nc_u32 v23, s20, v152
	v_cndmask_b32_e64 v21, 0, v21, s3
	v_cndmask_b32_e64 v139, v139, v20, s3
	ds_store_b32 v23, v21
	s_branch .LBB177_9
.LBB177_12:
	s_or_b32 exec_lo, exec_lo, s17
.LBB177_13:
	s_delay_alu instid0(SALU_CYCLE_1)
	s_or_b32 exec_lo, exec_lo, s15
	v_xor_b32_e32 v8, 16, v30
	v_xor_b32_e32 v9, 8, v30
	s_waitcnt lgkmcnt(0)
	s_lshr_b32 s8, s19, 16
	v_dual_max_f32 v13, v139, v139 :: v_dual_lshlrev_b32 v32, 2, v28
	v_cmp_lt_i32_e32 vcc_lo, v8, v41
	v_cndmask_b32_e32 v8, v30, v8, vcc_lo
	v_cmp_lt_i32_e32 vcc_lo, v9, v41
	s_delay_alu instid0(VALU_DEP_2) | instskip(SKIP_3) | instid1(VALU_DEP_1)
	v_lshlrev_b32_e32 v23, 2, v8
	ds_bpermute_b32 v8, v23, v139
	s_waitcnt lgkmcnt(0)
	v_dual_cndmask_b32 v9, v30, v9 :: v_dual_max_f32 v8, v8, v8
	v_lshlrev_b32_e32 v24, 2, v9
	s_delay_alu instid0(VALU_DEP_2) | instskip(SKIP_1) | instid1(VALU_DEP_1)
	v_max_f32_e32 v8, v13, v8
	v_xor_b32_e32 v13, 4, v30
	v_cmp_lt_i32_e32 vcc_lo, v13, v41
	v_cndmask_b32_e32 v13, v30, v13, vcc_lo
	ds_bpermute_b32 v9, v24, v8
	v_lshlrev_b32_e32 v31, 2, v13
	v_xor_b32_e32 v13, 2, v30
	s_delay_alu instid0(VALU_DEP_1) | instskip(SKIP_3) | instid1(VALU_DEP_2)
	v_cmp_lt_i32_e32 vcc_lo, v13, v41
	v_cndmask_b32_e32 v13, v30, v13, vcc_lo
	s_waitcnt lgkmcnt(0)
	v_max_f32_e32 v9, v9, v9
	v_lshlrev_b32_e32 v21, 2, v13
	v_and_b32_e32 v13, 31, v25
	s_delay_alu instid0(VALU_DEP_3) | instskip(NEXT) | instid1(VALU_DEP_2)
	v_max_f32_e32 v8, v8, v9
	v_cmp_eq_u32_e32 vcc_lo, 0, v13
	ds_bpermute_b32 v9, v31, v8
	s_waitcnt lgkmcnt(0)
	v_max_f32_e32 v9, v9, v9
	s_delay_alu instid0(VALU_DEP_1)
	v_max_f32_e32 v8, v8, v9
	ds_bpermute_b32 v9, v21, v8
	s_and_saveexec_b32 s2, vcc_lo
	s_cbranch_execz .LBB177_15
; %bb.14:
	s_waitcnt lgkmcnt(0)
	v_dual_max_f32 v9, v9, v9 :: v_dual_max_f32 v8, v8, v8
	s_delay_alu instid0(VALU_DEP_1)
	v_max_f32_e32 v8, v8, v9
	ds_store_b32 v32, v8 offset:512
.LBB177_15:
	s_or_b32 exec_lo, exec_lo, s2
	v_cmp_gt_u32_e64 s2, 4, v13
	v_dual_mov_b32 v8, 0xff7fffff :: v_dual_lshlrev_b32 v33, 2, v13
	s_waitcnt lgkmcnt(0)
	s_barrier
	buffer_gl0_inv
	s_and_saveexec_b32 s3, s2
	s_cbranch_execz .LBB177_17
; %bb.16:
	ds_load_b32 v8, v33 offset:512
.LBB177_17:
	s_or_b32 exec_lo, exec_lo, s3
	s_waitcnt lgkmcnt(0)
	ds_bpermute_b32 v9, v21, v8
	v_xor_b32_e32 v20, 1, v30
	v_max_f32_e32 v8, v8, v8
	v_subrev_nc_u32_e32 v34, s13, v29
	s_delay_alu instid0(VALU_DEP_3) | instskip(NEXT) | instid1(VALU_DEP_1)
	v_cmp_lt_i32_e64 s3, v20, v41
	v_cndmask_b32_e64 v20, v30, v20, s3
	v_lshlrev_b32_e32 v30, 2, v30
	s_delay_alu instid0(VALU_DEP_2) | instskip(SKIP_1) | instid1(VALU_DEP_2)
	v_lshlrev_b32_e32 v20, 2, v20
	s_waitcnt lgkmcnt(0)
	v_dual_max_f32 v9, v9, v9 :: v_dual_and_b32 v30, 0xffffff80, v30
	s_delay_alu instid0(VALU_DEP_1) | instskip(SKIP_3) | instid1(VALU_DEP_1)
	v_max_f32_e32 v8, v8, v9
	ds_bpermute_b32 v9, v20, v8
	s_waitcnt lgkmcnt(0)
	v_max_f32_e32 v9, v9, v9
	v_max_f32_e32 v8, v8, v9
	v_lshl_add_u32 v9, v34, 4, s18
	v_mov_b32_e32 v34, 0
	ds_bpermute_b32 v8, v30, v8
	v_min_i32_e32 v9, v9, v27
	s_delay_alu instid0(VALU_DEP_1) | instskip(NEXT) | instid1(VALU_DEP_1)
	v_subrev_nc_u32_e32 v9, s18, v9
	v_cmp_lt_i32_e64 s3, v25, v9
	s_delay_alu instid0(VALU_DEP_1)
	s_and_saveexec_b32 s9, s3
	s_cbranch_execz .LBB177_21
; %bb.18:
	s_getpc_b64 s[20:21]
	s_add_u32 s20, s20, llvm.amdgcn.dynlds.offset.table@rel32@lo+4
	s_addc_u32 s21, s21, llvm.amdgcn.dynlds.offset.table@rel32@hi+12
	s_ashr_i32 s17, s16, 31
	v_mov_b32_e32 v34, 0
	s_lshl_b64 s[22:23], s[16:17], 2
	v_mov_b32_e32 v36, v25
	s_add_u32 s20, s22, s20
	s_addc_u32 s21, s23, s21
	s_mov_b32 s13, 0
	s_load_b32 s4, s[20:21], 0x0
	s_waitcnt lgkmcnt(0)
	v_lshl_add_u32 v35, v25, 2, s4
	.p2align	6
.LBB177_19:                             ; =>This Inner Loop Header: Depth=1
	ds_load_b32 v37, v35
	v_add_nc_u32_e32 v36, 0x80, v36
	s_delay_alu instid0(VALU_DEP_1) | instskip(NEXT) | instid1(VALU_DEP_1)
	v_cmp_ge_i32_e64 s4, v36, v9
	s_or_b32 s13, s4, s13
	s_waitcnt lgkmcnt(0)
	v_sub_f32_e32 v37, v37, v8
	s_delay_alu instid0(VALU_DEP_1) | instskip(NEXT) | instid1(VALU_DEP_1)
	v_mul_f32_e32 v37, 0x3fb8aa3b, v37
	v_exp_f32_e32 v37, v37
	ds_store_b32 v35, v37
	v_dual_add_f32 v34, v34, v37 :: v_dual_add_nc_u32 v35, 0x200, v35
	s_and_not1_b32 exec_lo, exec_lo, s13
	s_cbranch_execnz .LBB177_19
; %bb.20:
	s_or_b32 exec_lo, exec_lo, s13
.LBB177_21:
	s_delay_alu instid0(SALU_CYCLE_1)
	s_or_b32 exec_lo, exec_lo, s9
	ds_bpermute_b32 v23, v23, v34
	s_waitcnt lgkmcnt(0)
	v_add_f32_e32 v23, v34, v23
	ds_bpermute_b32 v24, v24, v23
	s_waitcnt lgkmcnt(0)
	v_add_f32_e32 v23, v23, v24
	;; [unrolled: 3-line block ×5, first 2 shown]
	s_and_saveexec_b32 s4, vcc_lo
	s_cbranch_execz .LBB177_23
; %bb.22:
	ds_store_b32 v32, v23 offset:528
.LBB177_23:
	s_or_b32 exec_lo, exec_lo, s4
	s_waitcnt lgkmcnt(0)
	s_barrier
	buffer_gl0_inv
	s_and_saveexec_b32 s4, s2
	s_cbranch_execz .LBB177_25
; %bb.24:
	ds_load_b32 v23, v33 offset:528
.LBB177_25:
	s_or_b32 exec_lo, exec_lo, s4
	s_waitcnt lgkmcnt(0)
	ds_bpermute_b32 v21, v21, v23
	s_waitcnt lgkmcnt(0)
	v_add_f32_e32 v21, v23, v21
	ds_bpermute_b32 v23, v20, v21
	s_waitcnt lgkmcnt(0)
	v_add_f32_e32 v21, v21, v23
	ds_bpermute_b32 v21, v30, v21
	s_and_saveexec_b32 s2, s3
	s_cbranch_execz .LBB177_28
; %bb.26:
	s_waitcnt lgkmcnt(0)
	v_add_f32_e32 v24, 0x358637bd, v21
	s_getpc_b64 s[20:21]
	s_add_u32 s20, s20, llvm.amdgcn.dynlds.offset.table@rel32@lo+4
	s_addc_u32 s21, s21, llvm.amdgcn.dynlds.offset.table@rel32@hi+12
	s_ashr_i32 s17, s16, 31
	s_delay_alu instid0(SALU_CYCLE_1) | instskip(SKIP_3) | instid1(VALU_DEP_2)
	s_lshl_b64 s[22:23], s[16:17], 2
	v_div_scale_f32 v23, null, v24, v24, 1.0
	v_div_scale_f32 v32, vcc_lo, 1.0, v24, 1.0
	s_add_u32 s20, s22, s20
	v_rcp_f32_e32 v30, v23
	s_addc_u32 s21, s23, s21
	s_load_b32 s3, s[20:21], 0x0
	s_waitcnt_depctr 0xfff
	v_fma_f32 v31, -v23, v30, 1.0
	s_delay_alu instid0(VALU_DEP_1) | instskip(NEXT) | instid1(VALU_DEP_1)
	v_fmac_f32_e32 v30, v31, v30
	v_mul_f32_e32 v31, v32, v30
	s_delay_alu instid0(VALU_DEP_1) | instskip(NEXT) | instid1(VALU_DEP_1)
	v_fma_f32 v33, -v23, v31, v32
	v_fmac_f32_e32 v31, v33, v30
	s_delay_alu instid0(VALU_DEP_1) | instskip(NEXT) | instid1(VALU_DEP_1)
	v_fma_f32 v23, -v23, v31, v32
	v_div_fmas_f32 v30, v23, v30, v31
	s_waitcnt lgkmcnt(0)
	v_lshl_add_u32 v23, v25, 2, s3
	s_mov_b32 s3, 0
	s_delay_alu instid0(VALU_DEP_2)
	v_div_fixup_f32 v24, v30, v24, 1.0
	v_mov_b32_e32 v30, v25
.LBB177_27:                             ; =>This Inner Loop Header: Depth=1
	ds_load_b32 v31, v23
	s_waitcnt lgkmcnt(0)
	v_dual_mul_f32 v31, v24, v31 :: v_dual_add_nc_u32 v30, 0x80, v30
	s_delay_alu instid0(VALU_DEP_1) | instskip(SKIP_3) | instid1(SALU_CYCLE_1)
	v_cmp_ge_i32_e32 vcc_lo, v30, v9
	ds_store_b32 v23, v31
	v_add_nc_u32_e32 v23, 0x200, v23
	s_or_b32 s3, vcc_lo, s3
	s_and_not1_b32 exec_lo, exec_lo, s3
	s_cbranch_execnz .LBB177_27
.LBB177_28:
	s_or_b32 exec_lo, exec_lo, s2
	v_cmp_ne_u16_e64 s2, s8, 0
	s_mov_b32 s3, exec_lo
	s_waitcnt lgkmcnt(0)
	s_barrier
	buffer_gl0_inv
	s_cmp_lg_u32 s2, 0
	s_addc_u32 s2, s11, 0
	v_cmpx_eq_u32_e32 0, v25
	s_cbranch_execz .LBB177_30
; %bb.29:
	s_mul_i32 s4, s2, s6
	s_mul_i32 s8, s2, s12
	;; [unrolled: 1-line block ×3, first 2 shown]
	s_ashr_i32 s9, s8, 31
	s_ashr_i32 s15, s14, 31
	;; [unrolled: 1-line block ×3, first 2 shown]
	s_lshl_b64 s[8:9], s[8:9], 2
	s_lshl_b64 s[20:21], s[14:15], 2
	;; [unrolled: 1-line block ×3, first 2 shown]
	s_add_u32 s4, s20, s8
	s_addc_u32 s8, s21, s9
	s_add_u32 s4, s4, s12
	s_addc_u32 s8, s8, s13
	v_add_co_u32 v2, vcc_lo, s4, v2
	v_add_co_ci_u32_e32 v3, vcc_lo, s8, v3, vcc_lo
	v_add_co_u32 v0, vcc_lo, s4, v0
	v_add_co_ci_u32_e32 v1, vcc_lo, s8, v1, vcc_lo
	flat_store_b32 v[2:3], v8
	flat_store_b32 v[0:1], v21
.LBB177_30:
	s_or_b32 exec_lo, exec_lo, s3
                                        ; implicit-def: $sgpr4
	s_and_saveexec_b32 s3, s1
	s_delay_alu instid0(SALU_CYCLE_1)
	s_xor_b32 s1, exec_lo, s3
; %bb.31:
	s_ashr_i32 s17, s16, 31
	s_mov_b32 s4, 0
                                        ; implicit-def: $vgpr27
                                        ; implicit-def: $vgpr52
                                        ; implicit-def: $vgpr29
                                        ; implicit-def: $vgpr16
                                        ; implicit-def: $vgpr10
                                        ; implicit-def: $vgpr11
                                        ; implicit-def: $vgpr14
                                        ; implicit-def: $vgpr15
                                        ; implicit-def: $vgpr22
                                        ; implicit-def: $vgpr18
                                        ; implicit-def: $vgpr6_vgpr7
                                        ; implicit-def: $vgpr51
; %bb.32:
	s_or_saveexec_b32 s3, s1
	v_dual_mov_b32 v0, s16 :: v_dual_mov_b32 v49, s4
	v_dual_mov_b32 v48, s4 :: v_dual_mov_b32 v1, s17
	;; [unrolled: 1-line block ×9, first 2 shown]
	s_xor_b32 exec_lo, exec_lo, s3
	s_cbranch_execz .LBB177_612
; %bb.33:
	s_getpc_b64 s[8:9]
	s_add_u32 s8, s8, llvm.amdgcn.dynlds.offset.table@rel32@lo+4
	s_addc_u32 s9, s9, llvm.amdgcn.dynlds.offset.table@rel32@hi+12
	s_ashr_i32 s17, s16, 31
	v_lshlrev_b64 v[0:1], 1, v[18:19]
	s_lshl_b64 s[12:13], s[16:17], 2
	v_and_b32_e32 v3, 0xf8, v51
	s_add_u32 s8, s12, s8
	s_addc_u32 s9, s13, s9
	v_dual_mov_b32 v21, 0 :: v_dual_and_b32 v2, 8, v51
	s_load_b32 s1, s[8:9], 0x0
	v_add_co_u32 v18, vcc_lo, v10, v0
	v_or_b32_e32 v24, 0xb00, v3
	v_add_co_ci_u32_e32 v19, vcc_lo, v11, v1, vcc_lo
	v_lshlrev_b64 v[0:1], 2, v[16:17]
	v_lshlrev_b32_e32 v10, 5, v26
	s_delay_alu instid0(VALU_DEP_4)
	v_dual_mov_b32 v38, 0 :: v_dual_lshlrev_b32 v55, 1, v24
	v_mov_b32_e32 v24, 0
	v_or_b32_e32 v23, 0xa00, v3
	v_add_co_u32 v0, vcc_lo, v6, v0
	v_or_b32_e32 v8, 0x800, v3
	v_or_b32_e32 v9, 0x900, v3
	v_or_b32_e32 v30, 0xc00, v3
	v_or_b32_e32 v31, 0xd00, v3
	v_or_b32_e32 v32, 0xe00, v3
	v_or_b32_e32 v33, 0xf00, v3
	v_add_co_ci_u32_e32 v1, vcc_lo, v7, v1, vcc_lo
	v_lshl_add_u32 v6, v28, 4, s18
	v_dual_mov_b32 v23, 0 :: v_dual_lshlrev_b32 v54, 1, v23
	v_lshl_or_b32 v7, v28, 6, v10
	v_add_co_u32 v10, vcc_lo, v14, v0
	v_add_nc_u32_e32 v51, -1, v52
	v_add_co_ci_u32_e32 v11, vcc_lo, v15, v1, vcc_lo
	v_add3_u32 v14, v6, v2, 7
	s_waitcnt lgkmcnt(0)
	v_add_nc_u32_e32 v15, s1, v7
	v_dual_mov_b32 v34, 0 :: v_dual_lshlrev_b32 v17, 1, v3
	v_lshlrev_b32_e32 v52, 1, v8
	v_dual_mov_b32 v36, 0 :: v_dual_lshlrev_b32 v53, 1, v9
	v_dual_mov_b32 v35, 0 :: v_dual_lshlrev_b32 v64, 1, v30
	;; [unrolled: 1-line block ×5, first 2 shown]
	v_dual_mov_b32 v30, 0 :: v_dual_mov_b32 v31, 0
	v_dual_mov_b32 v32, 0 :: v_dual_mov_b32 v33, 0
	v_mov_b32_e32 v39, 0
	v_mov_b32_e32 v49, 0
	s_mov_b32 s4, 0
	s_branch .LBB177_35
.LBB177_34:                             ;   in Loop: Header=BB177_35 Depth=1
	s_or_b32 exec_lo, exec_lo, s1
	v_and_b32_e32 v114, 0xffff0000, v173
	v_and_b32_e32 v117, 0xffff0000, v159
	;; [unrolled: 1-line block ×8, first 2 shown]
	v_dual_add_f32 v113, v114, v113 :: v_dual_and_b32 v102, 0xffff0000, v170
	v_and_b32_e32 v101, 0xffff0000, v172
	v_and_b32_e32 v128, 0xffff0000, v137
	;; [unrolled: 1-line block ×3, first 2 shown]
	v_dual_add_f32 v130, v107, v130 :: v_dual_and_b32 v129, 0xffff0000, v139
	s_delay_alu instid0(VALU_DEP_4)
	v_dual_add_f32 v102, v103, v102 :: v_dual_add_f32 v101, v112, v101
	v_and_b32_e32 v103, 0xffff0000, v175
	v_and_b32_e32 v112, 0xffff0000, v184
	;; [unrolled: 1-line block ×4, first 2 shown]
	v_dual_add_f32 v101, v102, v101 :: v_dual_and_b32 v102, 0xffff0000, v158
	s_delay_alu instid0(VALU_DEP_4) | instskip(SKIP_1) | instid1(VALU_DEP_3)
	v_dual_add_f32 v103, v103, v112 :: v_dual_and_b32 v106, 0xffff0000, v106
	v_and_b32_e32 v105, 0xffff0000, v105
	v_add_f32_e32 v101, v101, v113
	s_delay_alu instid0(VALU_DEP_4) | instskip(SKIP_1) | instid1(VALU_DEP_3)
	v_dual_add_f32 v102, v116, v102 :: v_dual_and_b32 v113, 0xffff0000, v153
	v_and_b32_e32 v116, 0xffff0000, v141
	v_dual_add_f32 v101, v101, v103 :: v_dual_and_b32 v112, 0xffff0000, v154
	v_and_b32_e32 v7, 0xffff0000, v7
	v_and_b32_e32 v6, 0xffff0000, v6
	s_delay_alu instid0(VALU_DEP_3) | instskip(SKIP_4) | instid1(VALU_DEP_4)
	v_dual_add_f32 v112, v113, v112 :: v_dual_and_b32 v85, 0xffff0000, v85
	v_dual_add_f32 v113, v115, v114 :: v_dual_and_b32 v114, 0xffff0000, v140
	v_add_f32_e32 v23, v23, v101
	v_and_b32_e32 v83, 0xffff0000, v83
	v_and_b32_e32 v82, 0xffff0000, v82
	v_add_f32_e32 v112, v112, v113
	v_dual_add_f32 v114, v129, v114 :: v_dual_and_b32 v69, 0xffff0000, v69
	v_and_b32_e32 v0, 0xffff0000, v0
	s_delay_alu instid0(VALU_DEP_3)
	v_dual_add_f32 v102, v112, v102 :: v_dual_and_b32 v87, 0xffff0000, v87
	v_and_b32_e32 v115, 0xffff0000, v138
	v_and_b32_e32 v9, 0xffff0000, v9
	;; [unrolled: 1-line block ×5, first 2 shown]
	v_add_f32_e32 v115, v128, v115
	v_and_b32_e32 v3, 0xffff0000, v3
	v_add_co_u32 v10, s1, v10, 16
	s_delay_alu instid0(VALU_DEP_1) | instskip(NEXT) | instid1(VALU_DEP_4)
	v_add_co_ci_u32_e64 v11, s1, 0, v11, s1
	v_add_f32_e32 v114, v115, v114
	v_add_f32_e32 v112, v117, v119
	v_and_b32_e32 v117, 0xffff0000, v143
	v_and_b32_e32 v115, 0xffff0000, v152
	;; [unrolled: 1-line block ×3, first 2 shown]
	s_delay_alu instid0(VALU_DEP_4) | instskip(SKIP_1) | instid1(VALU_DEP_4)
	v_dual_add_f32 v102, v102, v112 :: v_dual_and_b32 v119, 0xffff0000, v121
	v_add_nc_u32_e32 v15, 0x100, v15
	v_dual_add_f32 v112, v117, v115 :: v_dual_and_b32 v117, 0xffff0000, v122
	v_and_b32_e32 v128, 0xffff0000, v127
	s_delay_alu instid0(VALU_DEP_4) | instskip(NEXT) | instid1(VALU_DEP_3)
	v_dual_add_f32 v24, v24, v102 :: v_dual_and_b32 v115, 0xffff0000, v124
	v_dual_add_f32 v6, v6, v7 :: v_dual_add_f32 v117, v119, v117
	v_add_f32_e32 v119, v105, v106
	v_dual_add_f32 v113, v116, v113 :: v_dual_and_b32 v116, 0xffff0000, v123
	v_dual_add_f32 v82, v82, v83 :: v_dual_and_b32 v105, 0xffff0000, v109
	s_delay_alu instid0(VALU_DEP_2) | instskip(NEXT) | instid1(VALU_DEP_3)
	v_dual_add_f32 v103, v114, v113 :: v_dual_and_b32 v84, 0xffff0000, v84
	v_dual_add_f32 v115, v116, v115 :: v_dual_and_b32 v114, 0xffff0000, v125
	s_delay_alu instid0(VALU_DEP_2) | instskip(NEXT) | instid1(VALU_DEP_3)
	v_dual_add_f32 v83, v84, v85 :: v_dual_and_b32 v116, 0xffff0000, v110
	v_add_f32_e32 v103, v103, v112
	v_and_b32_e32 v113, 0xffff0000, v126
	s_delay_alu instid0(VALU_DEP_4) | instskip(NEXT) | instid1(VALU_DEP_4)
	v_add_f32_e32 v115, v117, v115
	v_dual_add_f32 v117, v119, v130 :: v_dual_add_f32 v116, v105, v116
	s_delay_alu instid0(VALU_DEP_4) | instskip(NEXT) | instid1(VALU_DEP_4)
	v_add_f32_e32 v30, v30, v103
	v_dual_add_f32 v113, v114, v113 :: v_dual_and_b32 v114, 0xffff0000, v111
	v_and_b32_e32 v119, 0xffff0000, v120
	v_and_b32_e32 v84, 0xffff0000, v86
	;; [unrolled: 1-line block ×3, first 2 shown]
	s_delay_alu instid0(VALU_DEP_4) | instskip(NEXT) | instid1(VALU_DEP_4)
	v_dual_add_f32 v112, v115, v113 :: v_dual_add_f32 v115, v117, v116
	v_add_f32_e32 v114, v114, v119
	v_and_b32_e32 v117, 0xffff0000, v95
	v_and_b32_e32 v119, 0xffff0000, v104
	;; [unrolled: 1-line block ×4, first 2 shown]
	v_add_f32_e32 v102, v115, v114
	v_and_b32_e32 v114, 0xffff0000, v89
	v_and_b32_e32 v115, 0xffff0000, v91
	v_add_f32_e32 v113, v128, v129
	v_and_b32_e32 v128, 0xffff0000, v73
	v_dual_add_f32 v32, v32, v102 :: v_dual_and_b32 v129, 0xffff0000, v75
	s_delay_alu instid0(VALU_DEP_3)
	v_dual_add_f32 v101, v112, v113 :: v_dual_and_b32 v2, 0xffff0000, v2
	v_and_b32_e32 v112, 0xffff0000, v92
	v_and_b32_e32 v113, 0xffff0000, v90
	;; [unrolled: 1-line block ×5, first 2 shown]
	s_delay_alu instid0(VALU_DEP_4) | instskip(SKIP_3) | instid1(VALU_DEP_4)
	v_dual_add_f32 v112, v115, v112 :: v_dual_add_f32 v113, v114, v113
	v_and_b32_e32 v114, 0xffff0000, v76
	v_and_b32_e32 v115, 0xffff0000, v74
	;; [unrolled: 1-line block ×3, first 2 shown]
	v_dual_add_f32 v31, v31, v101 :: v_dual_add_f32 v112, v113, v112
	s_delay_alu instid0(VALU_DEP_3) | instskip(SKIP_2) | instid1(VALU_DEP_3)
	v_dual_add_f32 v114, v129, v114 :: v_dual_add_f32 v115, v128, v115
	v_dual_add_f32 v8, v8, v9 :: v_dual_and_b32 v113, 0xffff0000, v78
	v_dual_add_f32 v9, v68, v69 :: v_dual_and_b32 v68, 0xffff0000, v99
	v_add_f32_e32 v114, v115, v114
	v_and_b32_e32 v103, 0xffff0000, v94
	s_delay_alu instid0(VALU_DEP_3) | instskip(SKIP_1) | instid1(VALU_DEP_3)
	v_dual_add_f32 v8, v8, v9 :: v_dual_and_b32 v115, 0xffff0000, v88
	v_dual_add_f32 v9, v70, v71 :: v_dual_add_nc_u32 v16, 4, v16
	v_dual_add_f32 v103, v116, v103 :: v_dual_and_b32 v116, 0xffff0000, v77
	v_add_nc_u32_e32 v14, 64, v14
	s_delay_alu instid0(VALU_DEP_3) | instskip(SKIP_1) | instid1(VALU_DEP_4)
	v_add_f32_e32 v8, v8, v9
	v_add_f32_e32 v9, v80, v81
	;; [unrolled: 1-line block ×4, first 2 shown]
	v_and_b32_e32 v117, 0xffff0000, v79
	v_dual_add_f32 v113, v116, v113 :: v_dual_and_b32 v116, 0xffff0000, v147
	v_cmp_ge_i32_e32 vcc_lo, v16, v29
	s_delay_alu instid0(VALU_DEP_4) | instskip(NEXT) | instid1(VALU_DEP_3)
	v_add_f32_e32 v101, v103, v112
	v_dual_add_f32 v103, v117, v115 :: v_dual_add_f32 v102, v114, v113
	v_and_b32_e32 v114, 0xffff0000, v45
	v_and_b32_e32 v112, 0xffff0000, v60
	;; [unrolled: 1-line block ×3, first 2 shown]
	v_add_f32_e32 v33, v33, v101
	v_dual_add_f32 v101, v102, v103 :: v_dual_and_b32 v102, 0xffff0000, v62
	v_and_b32_e32 v103, 0xffff0000, v61
	s_delay_alu instid0(VALU_DEP_4) | instskip(SKIP_1) | instid1(VALU_DEP_4)
	v_add_f32_e32 v7, v113, v112
	v_and_b32_e32 v112, 0xffff0000, v72
	v_dual_add_f32 v34, v34, v101 :: v_dual_and_b32 v101, 0xffff0000, v63
	s_delay_alu instid0(VALU_DEP_3)
	v_dual_add_f32 v6, v6, v7 :: v_dual_and_b32 v117, 0xffff0000, v149
	v_add_f32_e32 v7, v103, v102
	v_and_b32_e32 v102, 0xffff0000, v46
	v_and_b32_e32 v103, 0xffff0000, v44
	;; [unrolled: 1-line block ×4, first 2 shown]
	s_or_b32 s4, vcc_lo, s4
	v_add_f32_e32 v102, v114, v102
	v_and_b32_e32 v114, 0xffff0000, v179
	v_dual_add_f32 v6, v6, v7 :: v_dual_add_f32 v7, v101, v112
	v_and_b32_e32 v101, 0xffff0000, v56
	v_and_b32_e32 v112, 0xffff0000, v47
	v_add_f32_e32 v103, v113, v103
	v_and_b32_e32 v113, 0xffff0000, v58
	s_delay_alu instid0(VALU_DEP_3) | instskip(NEXT) | instid1(VALU_DEP_3)
	v_dual_add_f32 v101, v112, v101 :: v_dual_and_b32 v112, 0xffff0000, v180
	v_add_f32_e32 v102, v103, v102
	s_delay_alu instid0(VALU_DEP_2) | instskip(SKIP_2) | instid1(VALU_DEP_4)
	v_dual_add_f32 v112, v114, v112 :: v_dual_and_b32 v103, 0xffff0000, v182
	v_and_b32_e32 v114, 0xffff0000, v165
	v_dual_add_f32 v6, v6, v7 :: v_dual_and_b32 v7, 0xffff0000, v57
	v_dual_add_f32 v101, v102, v101 :: v_dual_and_b32 v102, 0xffff0000, v40
	s_delay_alu instid0(VALU_DEP_4) | instskip(NEXT) | instid1(VALU_DEP_3)
	v_add_f32_e32 v103, v115, v103
	v_add_f32_e32 v35, v35, v6
	s_delay_alu instid0(VALU_DEP_4) | instskip(SKIP_1) | instid1(VALU_DEP_2)
	v_add_f32_e32 v7, v7, v113
	v_and_b32_e32 v113, 0xffff0000, v183
	v_dual_add_f32 v6, v101, v7 :: v_dual_and_b32 v115, 0xffff0000, v42
	s_delay_alu instid0(VALU_DEP_2) | instskip(SKIP_2) | instid1(VALU_DEP_4)
	v_dual_add_f32 v101, v112, v103 :: v_dual_add_f32 v102, v113, v102
	v_and_b32_e32 v103, 0xffff0000, v166
	v_and_b32_e32 v112, 0xffff0000, v164
	v_dual_add_f32 v36, v36, v6 :: v_dual_and_b32 v113, 0xffff0000, v163
	s_delay_alu instid0(VALU_DEP_4) | instskip(NEXT) | instid1(VALU_DEP_4)
	v_add_f32_e32 v101, v101, v102
	v_dual_add_f32 v103, v114, v103 :: v_dual_and_b32 v102, 0xffff0000, v176
	s_delay_alu instid0(VALU_DEP_3) | instskip(NEXT) | instid1(VALU_DEP_1)
	v_dual_add_f32 v112, v113, v112 :: v_dual_and_b32 v113, 0xffff0000, v167
	v_dual_add_f32 v103, v112, v103 :: v_dual_and_b32 v114, 0xffff0000, v177
	s_delay_alu instid0(VALU_DEP_2) | instskip(SKIP_1) | instid1(VALU_DEP_2)
	v_add_f32_e32 v102, v113, v102
	v_and_b32_e32 v112, 0xffff0000, v150
	v_dual_add_f32 v102, v103, v102 :: v_dual_and_b32 v113, 0xffff0000, v148
	s_delay_alu instid0(VALU_DEP_1) | instskip(NEXT) | instid1(VALU_DEP_1)
	v_dual_add_f32 v112, v117, v112 :: v_dual_add_f32 v113, v116, v113
	v_dual_add_f32 v6, v113, v112 :: v_dual_and_b32 v113, 0xffff0000, v133
	v_and_b32_e32 v7, 0xffff0000, v41
	v_and_b32_e32 v112, 0xffff0000, v131
	s_delay_alu instid0(VALU_DEP_2) | instskip(SKIP_1) | instid1(VALU_DEP_2)
	v_add_f32_e32 v7, v7, v115
	v_and_b32_e32 v115, 0xffff0000, v178
	v_add_f32_e32 v7, v101, v7
	s_delay_alu instid0(VALU_DEP_2) | instskip(SKIP_1) | instid1(VALU_DEP_3)
	v_dual_add_f32 v103, v114, v115 :: v_dual_and_b32 v114, 0xffff0000, v160
	v_and_b32_e32 v115, 0xffff0000, v151
	v_add_f32_e32 v37, v37, v7
	s_delay_alu instid0(VALU_DEP_3) | instskip(NEXT) | instid1(VALU_DEP_3)
	v_add_f32_e32 v101, v102, v103
	v_dual_add_f32 v102, v115, v114 :: v_dual_and_b32 v7, 0xffff0000, v161
	v_and_b32_e32 v103, 0xffff0000, v132
	v_and_b32_e32 v114, 0xffff0000, v135
	s_delay_alu instid0(VALU_DEP_4) | instskip(NEXT) | instid1(VALU_DEP_3)
	v_dual_add_f32 v38, v38, v101 :: v_dual_and_b32 v101, 0xffff0000, v162
	v_dual_add_f32 v6, v6, v102 :: v_dual_add_f32 v103, v112, v103
	v_and_b32_e32 v102, 0xffff0000, v134
	v_and_b32_e32 v112, 0xffff0000, v145
	s_delay_alu instid0(VALU_DEP_2) | instskip(NEXT) | instid1(VALU_DEP_1)
	v_dual_add_f32 v7, v7, v101 :: v_dual_add_f32 v102, v113, v102
	v_add_f32_e32 v6, v6, v7
	v_add_f32_e32 v7, v82, v83
	v_dual_add_f32 v82, v84, v87 :: v_dual_and_b32 v87, 0xffff0000, v96
	v_add_f32_e32 v84, v112, v86
	v_and_b32_e32 v86, 0xffff0000, v118
	v_add_f32_e32 v39, v39, v6
	s_delay_alu instid0(VALU_DEP_4) | instskip(SKIP_3) | instid1(VALU_DEP_3)
	v_add_f32_e32 v7, v7, v82
	v_and_b32_e32 v82, 0xffff0000, v98
	v_add_f32_e32 v0, v0, v87
	v_add_f32_e32 v102, v103, v102
	v_dual_add_f32 v6, v8, v9 :: v_dual_add_f32 v1, v1, v82
	s_delay_alu instid0(VALU_DEP_1) | instskip(NEXT) | instid1(VALU_DEP_2)
	v_add_f32_e32 v48, v48, v6
	v_dual_add_f32 v0, v0, v1 :: v_dual_add_f32 v1, v2, v68
	v_and_b32_e32 v101, 0xffff0000, v144
	v_and_b32_e32 v2, 0xffff0000, v100
	s_delay_alu instid0(VALU_DEP_3) | instskip(NEXT) | instid1(VALU_DEP_3)
	v_add_f32_e32 v0, v0, v1
	v_add_f32_e32 v85, v114, v101
	s_delay_alu instid0(VALU_DEP_3) | instskip(NEXT) | instid1(VALU_DEP_2)
	v_add_f32_e32 v1, v3, v2
	v_add_f32_e32 v83, v102, v85
	v_and_b32_e32 v85, 0xffff0000, v97
	s_delay_alu instid0(VALU_DEP_3) | instskip(NEXT) | instid1(VALU_DEP_3)
	v_add_f32_e32 v0, v0, v1
	v_add_f32_e32 v2, v83, v84
	s_delay_alu instid0(VALU_DEP_3) | instskip(NEXT) | instid1(VALU_DEP_3)
	v_add_f32_e32 v68, v85, v86
	v_add_f32_e32 v21, v21, v0
	;; [unrolled: 3-line block ×3, first 2 shown]
	s_delay_alu instid0(VALU_DEP_1)
	v_add_f32_e32 v50, v50, v3
	s_and_not1_b32 exec_lo, exec_lo, s4
	s_cbranch_execz .LBB177_611
.LBB177_35:                             ; =>This Inner Loop Header: Depth=1
	flat_load_b32 v84, v[10:11]
	ds_load_2addr_b64 v[6:9], v15 offset1:1
	ds_load_2addr_b64 v[0:3], v15 offset0:2 offset1:3
	s_mov_b32 s1, exec_lo
                                        ; implicit-def: $vgpr83
	s_waitcnt lgkmcnt(1)
	v_and_b32_e32 v68, 0x7f800000, v6
	s_delay_alu instid0(VALU_DEP_1)
	v_cmpx_ne_u32_e32 0x7f800000, v68
	s_xor_b32 s1, exec_lo, s1
; %bb.36:                               ;   in Loop: Header=BB177_35 Depth=1
	v_bfe_u32 v68, v6, 16, 1
	s_delay_alu instid0(VALU_DEP_1)
	v_add3_u32 v83, v6, v68, 0x7fff
; %bb.37:                               ;   in Loop: Header=BB177_35 Depth=1
	s_and_not1_saveexec_b32 s1, s1
; %bb.38:                               ;   in Loop: Header=BB177_35 Depth=1
	v_and_b32_e32 v68, 0xffff, v6
	v_or_b32_e32 v69, 0x10000, v6
	s_delay_alu instid0(VALU_DEP_2) | instskip(NEXT) | instid1(VALU_DEP_2)
	v_cmp_eq_u32_e32 vcc_lo, 0, v68
	v_cndmask_b32_e32 v83, v69, v6, vcc_lo
; %bb.39:                               ;   in Loop: Header=BB177_35 Depth=1
	s_or_b32 exec_lo, exec_lo, s1
	v_and_b32_e32 v6, 0x7f800000, v7
	s_mov_b32 s1, exec_lo
                                        ; implicit-def: $vgpr82
	s_delay_alu instid0(VALU_DEP_1)
	v_cmpx_ne_u32_e32 0x7f800000, v6
	s_xor_b32 s1, exec_lo, s1
; %bb.40:                               ;   in Loop: Header=BB177_35 Depth=1
	v_bfe_u32 v6, v7, 16, 1
	s_delay_alu instid0(VALU_DEP_1)
	v_add3_u32 v82, v7, v6, 0x7fff
; %bb.41:                               ;   in Loop: Header=BB177_35 Depth=1
	s_and_not1_saveexec_b32 s1, s1
; %bb.42:                               ;   in Loop: Header=BB177_35 Depth=1
	v_and_b32_e32 v6, 0xffff, v7
	v_or_b32_e32 v68, 0x10000, v7
	s_delay_alu instid0(VALU_DEP_2) | instskip(NEXT) | instid1(VALU_DEP_2)
	v_cmp_eq_u32_e32 vcc_lo, 0, v6
	v_cndmask_b32_e32 v82, v68, v7, vcc_lo
; %bb.43:                               ;   in Loop: Header=BB177_35 Depth=1
	s_or_b32 exec_lo, exec_lo, s1
	v_and_b32_e32 v6, 0x7f800000, v8
	s_mov_b32 s1, exec_lo
                                        ; implicit-def: $vgpr68
	s_delay_alu instid0(VALU_DEP_1)
	v_cmpx_ne_u32_e32 0x7f800000, v6
	s_xor_b32 s1, exec_lo, s1
; %bb.44:                               ;   in Loop: Header=BB177_35 Depth=1
	v_bfe_u32 v6, v8, 16, 1
	s_delay_alu instid0(VALU_DEP_1)
	v_add3_u32 v68, v8, v6, 0x7fff
; %bb.45:                               ;   in Loop: Header=BB177_35 Depth=1
	s_and_not1_saveexec_b32 s1, s1
; %bb.46:                               ;   in Loop: Header=BB177_35 Depth=1
	v_and_b32_e32 v6, 0xffff, v8
	v_or_b32_e32 v7, 0x10000, v8
	s_delay_alu instid0(VALU_DEP_2) | instskip(NEXT) | instid1(VALU_DEP_2)
	v_cmp_eq_u32_e32 vcc_lo, 0, v6
	v_cndmask_b32_e32 v68, v7, v8, vcc_lo
; %bb.47:                               ;   in Loop: Header=BB177_35 Depth=1
	s_or_b32 exec_lo, exec_lo, s1
	v_and_b32_e32 v6, 0x7f800000, v9
	s_mov_b32 s1, exec_lo
                                        ; implicit-def: $vgpr69
	s_delay_alu instid0(VALU_DEP_1)
	v_cmpx_ne_u32_e32 0x7f800000, v6
	s_xor_b32 s1, exec_lo, s1
; %bb.48:                               ;   in Loop: Header=BB177_35 Depth=1
	v_bfe_u32 v6, v9, 16, 1
	s_delay_alu instid0(VALU_DEP_1)
	v_add3_u32 v69, v9, v6, 0x7fff
                                        ; implicit-def: $vgpr6_vgpr7_vgpr8_vgpr9
; %bb.49:                               ;   in Loop: Header=BB177_35 Depth=1
	s_and_not1_saveexec_b32 s1, s1
; %bb.50:                               ;   in Loop: Header=BB177_35 Depth=1
	v_and_b32_e32 v6, 0xffff, v9
	v_or_b32_e32 v7, 0x10000, v9
	s_delay_alu instid0(VALU_DEP_2) | instskip(NEXT) | instid1(VALU_DEP_2)
	v_cmp_eq_u32_e32 vcc_lo, 0, v6
	v_cndmask_b32_e32 v69, v7, v9, vcc_lo
; %bb.51:                               ;   in Loop: Header=BB177_35 Depth=1
	s_or_b32 exec_lo, exec_lo, s1
	s_waitcnt lgkmcnt(0)
	v_and_b32_e32 v6, 0x7f800000, v0
	s_mov_b32 s1, exec_lo
                                        ; implicit-def: $vgpr70
	s_delay_alu instid0(VALU_DEP_1)
	v_cmpx_ne_u32_e32 0x7f800000, v6
	s_xor_b32 s1, exec_lo, s1
; %bb.52:                               ;   in Loop: Header=BB177_35 Depth=1
	v_bfe_u32 v6, v0, 16, 1
	s_delay_alu instid0(VALU_DEP_1)
	v_add3_u32 v70, v0, v6, 0x7fff
; %bb.53:                               ;   in Loop: Header=BB177_35 Depth=1
	s_and_not1_saveexec_b32 s1, s1
; %bb.54:                               ;   in Loop: Header=BB177_35 Depth=1
	v_and_b32_e32 v6, 0xffff, v0
	v_or_b32_e32 v7, 0x10000, v0
	s_delay_alu instid0(VALU_DEP_2) | instskip(NEXT) | instid1(VALU_DEP_2)
	v_cmp_eq_u32_e32 vcc_lo, 0, v6
	v_cndmask_b32_e32 v70, v7, v0, vcc_lo
; %bb.55:                               ;   in Loop: Header=BB177_35 Depth=1
	s_or_b32 exec_lo, exec_lo, s1
	v_and_b32_e32 v0, 0x7f800000, v1
	s_mov_b32 s1, exec_lo
                                        ; implicit-def: $vgpr71
	s_delay_alu instid0(VALU_DEP_1)
	v_cmpx_ne_u32_e32 0x7f800000, v0
	s_xor_b32 s1, exec_lo, s1
; %bb.56:                               ;   in Loop: Header=BB177_35 Depth=1
	v_bfe_u32 v0, v1, 16, 1
	s_delay_alu instid0(VALU_DEP_1)
	v_add3_u32 v71, v1, v0, 0x7fff
; %bb.57:                               ;   in Loop: Header=BB177_35 Depth=1
	s_and_not1_saveexec_b32 s1, s1
; %bb.58:                               ;   in Loop: Header=BB177_35 Depth=1
	v_and_b32_e32 v0, 0xffff, v1
	v_or_b32_e32 v6, 0x10000, v1
	s_delay_alu instid0(VALU_DEP_2) | instskip(NEXT) | instid1(VALU_DEP_2)
	v_cmp_eq_u32_e32 vcc_lo, 0, v0
	v_cndmask_b32_e32 v71, v6, v1, vcc_lo
; %bb.59:                               ;   in Loop: Header=BB177_35 Depth=1
	s_or_b32 exec_lo, exec_lo, s1
	v_and_b32_e32 v0, 0x7f800000, v2
	s_mov_b32 s1, exec_lo
                                        ; implicit-def: $vgpr80
	s_delay_alu instid0(VALU_DEP_1)
	v_cmpx_ne_u32_e32 0x7f800000, v0
	s_xor_b32 s1, exec_lo, s1
; %bb.60:                               ;   in Loop: Header=BB177_35 Depth=1
	v_bfe_u32 v0, v2, 16, 1
	s_delay_alu instid0(VALU_DEP_1)
	v_add3_u32 v80, v2, v0, 0x7fff
; %bb.61:                               ;   in Loop: Header=BB177_35 Depth=1
	s_and_not1_saveexec_b32 s1, s1
; %bb.62:                               ;   in Loop: Header=BB177_35 Depth=1
	v_and_b32_e32 v0, 0xffff, v2
	v_or_b32_e32 v1, 0x10000, v2
	s_delay_alu instid0(VALU_DEP_2) | instskip(NEXT) | instid1(VALU_DEP_2)
	v_cmp_eq_u32_e32 vcc_lo, 0, v0
	v_cndmask_b32_e32 v80, v1, v2, vcc_lo
; %bb.63:                               ;   in Loop: Header=BB177_35 Depth=1
	s_or_b32 exec_lo, exec_lo, s1
	v_and_b32_e32 v0, 0x7f800000, v3
	s_mov_b32 s1, exec_lo
                                        ; implicit-def: $vgpr81
	s_delay_alu instid0(VALU_DEP_1)
	v_cmpx_ne_u32_e32 0x7f800000, v0
	s_xor_b32 s1, exec_lo, s1
; %bb.64:                               ;   in Loop: Header=BB177_35 Depth=1
	v_bfe_u32 v0, v3, 16, 1
	s_delay_alu instid0(VALU_DEP_1)
	v_add3_u32 v81, v3, v0, 0x7fff
                                        ; implicit-def: $vgpr0_vgpr1_vgpr2_vgpr3
; %bb.65:                               ;   in Loop: Header=BB177_35 Depth=1
	s_and_not1_saveexec_b32 s1, s1
; %bb.66:                               ;   in Loop: Header=BB177_35 Depth=1
	v_and_b32_e32 v0, 0xffff, v3
	v_or_b32_e32 v1, 0x10000, v3
	s_delay_alu instid0(VALU_DEP_2) | instskip(NEXT) | instid1(VALU_DEP_2)
	v_cmp_eq_u32_e32 vcc_lo, 0, v0
	v_cndmask_b32_e32 v81, v1, v3, vcc_lo
; %bb.67:                               ;   in Loop: Header=BB177_35 Depth=1
	s_or_b32 exec_lo, exec_lo, s1
	s_waitcnt vmcnt(0)
	v_mad_i64_i32 v[0:1], null, v84, v22, 0
	v_add_nc_u32_e32 v96, -7, v14
	v_add_nc_u32_e32 v103, -6, v14
	;; [unrolled: 1-line block ×6, first 2 shown]
	v_lshlrev_b64 v[0:1], 1, v[0:1]
	v_add_nc_u32_e32 v102, -1, v14
	s_delay_alu instid0(VALU_DEP_2) | instskip(NEXT) | instid1(VALU_DEP_3)
	v_add_co_u32 v112, vcc_lo, v18, v0
	v_add_co_ci_u32_e32 v113, vcc_lo, v19, v1, vcc_lo
	s_delay_alu instid0(VALU_DEP_2) | instskip(NEXT) | instid1(VALU_DEP_2)
	v_add_co_u32 v6, vcc_lo, v112, v17
	v_add_co_ci_u32_e32 v7, vcc_lo, 0, v113, vcc_lo
	v_cmp_eq_u32_e32 vcc_lo, v51, v16
	flat_load_b128 v[0:3], v[6:7]
	s_waitcnt vmcnt(0) lgkmcnt(0)
	v_lshrrev_b32_e32 v9, 16, v0
	v_lshrrev_b32_e32 v86, 16, v1
	v_lshrrev_b32_e32 v85, 16, v2
	v_lshrrev_b32_e32 v84, 16, v3
	s_and_saveexec_b32 s8, vcc_lo
	s_cbranch_execz .LBB177_69
; %bb.68:                               ;   in Loop: Header=BB177_35 Depth=1
	v_cmp_lt_i32_e64 s1, v96, v27
	s_delay_alu instid0(VALU_DEP_1) | instskip(SKIP_1) | instid1(VALU_DEP_1)
	v_cndmask_b32_e64 v0, 0, v0, s1
	v_cmp_lt_i32_e64 s1, v103, v27
	v_cndmask_b32_e64 v9, 0, v9, s1
	v_cmp_lt_i32_e64 s1, v101, v27
	s_delay_alu instid0(VALU_DEP_1) | instskip(SKIP_1) | instid1(VALU_DEP_1)
	v_cndmask_b32_e64 v1, 0, v1, s1
	v_cmp_lt_i32_e64 s1, v100, v27
	v_cndmask_b32_e64 v86, 0, v86, s1
	;; [unrolled: 5-line block ×4, first 2 shown]
.LBB177_69:                             ;   in Loop: Header=BB177_35 Depth=1
	s_or_b32 exec_lo, exec_lo, s8
	v_and_b32_e32 v114, 0xffff0000, v83
	v_lshlrev_b32_e32 v0, 16, v0
	s_delay_alu instid0(VALU_DEP_1) | instskip(NEXT) | instid1(VALU_DEP_1)
	v_mul_f32_e32 v0, v114, v0
	v_and_b32_e32 v8, 0x7f800000, v0
	s_delay_alu instid0(VALU_DEP_1) | instskip(NEXT) | instid1(VALU_DEP_1)
	v_cmp_ne_u32_e64 s1, 0x7f800000, v8
                                        ; implicit-def: $vgpr8
	s_and_saveexec_b32 s8, s1
	s_delay_alu instid0(SALU_CYCLE_1)
	s_xor_b32 s1, exec_lo, s8
; %bb.70:                               ;   in Loop: Header=BB177_35 Depth=1
	v_bfe_u32 v8, v0, 16, 1
	s_delay_alu instid0(VALU_DEP_1)
	v_add3_u32 v8, v0, v8, 0x7fff
                                        ; implicit-def: $vgpr0
; %bb.71:                               ;   in Loop: Header=BB177_35 Depth=1
	s_and_not1_saveexec_b32 s8, s1
; %bb.72:                               ;   in Loop: Header=BB177_35 Depth=1
	v_and_b32_e32 v8, 0xffff, v0
	v_or_b32_e32 v83, 0x10000, v0
	s_delay_alu instid0(VALU_DEP_2) | instskip(NEXT) | instid1(VALU_DEP_1)
	v_cmp_eq_u32_e64 s1, 0, v8
	v_cndmask_b32_e64 v8, v83, v0, s1
; %bb.73:                               ;   in Loop: Header=BB177_35 Depth=1
	s_or_b32 exec_lo, exec_lo, s8
	v_and_b32_e32 v115, 0xffff0000, v82
	v_lshlrev_b32_e32 v0, 16, v9
	s_delay_alu instid0(VALU_DEP_1) | instskip(NEXT) | instid1(VALU_DEP_1)
	v_mul_f32_e32 v0, v115, v0
	v_and_b32_e32 v9, 0x7f800000, v0
	s_delay_alu instid0(VALU_DEP_1) | instskip(NEXT) | instid1(VALU_DEP_1)
	v_cmp_ne_u32_e64 s1, 0x7f800000, v9
                                        ; implicit-def: $vgpr9
	s_and_saveexec_b32 s8, s1
	s_delay_alu instid0(SALU_CYCLE_1)
	s_xor_b32 s1, exec_lo, s8
; %bb.74:                               ;   in Loop: Header=BB177_35 Depth=1
	v_bfe_u32 v9, v0, 16, 1
	s_delay_alu instid0(VALU_DEP_1)
	v_add3_u32 v9, v0, v9, 0x7fff
                                        ; implicit-def: $vgpr0
; %bb.75:                               ;   in Loop: Header=BB177_35 Depth=1
	s_and_not1_saveexec_b32 s8, s1
; %bb.76:                               ;   in Loop: Header=BB177_35 Depth=1
	v_and_b32_e32 v9, 0xffff, v0
	v_or_b32_e32 v82, 0x10000, v0
	s_delay_alu instid0(VALU_DEP_2) | instskip(NEXT) | instid1(VALU_DEP_1)
	v_cmp_eq_u32_e64 s1, 0, v9
	v_cndmask_b32_e64 v9, v82, v0, s1
; %bb.77:                               ;   in Loop: Header=BB177_35 Depth=1
	s_or_b32 exec_lo, exec_lo, s8
	v_and_b32_e32 v116, 0xffff0000, v68
	v_lshlrev_b32_e32 v0, 16, v1
                                        ; implicit-def: $vgpr68
	s_delay_alu instid0(VALU_DEP_1) | instskip(NEXT) | instid1(VALU_DEP_1)
	v_mul_f32_e32 v0, v116, v0
	v_and_b32_e32 v1, 0x7f800000, v0
	s_delay_alu instid0(VALU_DEP_1) | instskip(NEXT) | instid1(VALU_DEP_1)
	v_cmp_ne_u32_e64 s1, 0x7f800000, v1
	s_and_saveexec_b32 s8, s1
	s_delay_alu instid0(SALU_CYCLE_1)
	s_xor_b32 s1, exec_lo, s8
; %bb.78:                               ;   in Loop: Header=BB177_35 Depth=1
	v_bfe_u32 v1, v0, 16, 1
	s_delay_alu instid0(VALU_DEP_1)
	v_add3_u32 v68, v0, v1, 0x7fff
                                        ; implicit-def: $vgpr0
; %bb.79:                               ;   in Loop: Header=BB177_35 Depth=1
	s_and_not1_saveexec_b32 s8, s1
; %bb.80:                               ;   in Loop: Header=BB177_35 Depth=1
	v_and_b32_e32 v1, 0xffff, v0
	v_or_b32_e32 v68, 0x10000, v0
	s_delay_alu instid0(VALU_DEP_2) | instskip(NEXT) | instid1(VALU_DEP_1)
	v_cmp_eq_u32_e64 s1, 0, v1
	v_cndmask_b32_e64 v68, v68, v0, s1
; %bb.81:                               ;   in Loop: Header=BB177_35 Depth=1
	s_or_b32 exec_lo, exec_lo, s8
	v_and_b32_e32 v117, 0xffff0000, v69
	v_lshlrev_b32_e32 v0, 16, v86
                                        ; implicit-def: $vgpr69
	s_delay_alu instid0(VALU_DEP_1) | instskip(NEXT) | instid1(VALU_DEP_1)
	v_mul_f32_e32 v0, v117, v0
	v_and_b32_e32 v1, 0x7f800000, v0
	s_delay_alu instid0(VALU_DEP_1) | instskip(NEXT) | instid1(VALU_DEP_1)
	v_cmp_ne_u32_e64 s1, 0x7f800000, v1
	s_and_saveexec_b32 s8, s1
	s_delay_alu instid0(SALU_CYCLE_1)
	s_xor_b32 s1, exec_lo, s8
; %bb.82:                               ;   in Loop: Header=BB177_35 Depth=1
	v_bfe_u32 v1, v0, 16, 1
	s_delay_alu instid0(VALU_DEP_1)
	v_add3_u32 v69, v0, v1, 0x7fff
                                        ; implicit-def: $vgpr0
; %bb.83:                               ;   in Loop: Header=BB177_35 Depth=1
	s_and_not1_saveexec_b32 s8, s1
; %bb.84:                               ;   in Loop: Header=BB177_35 Depth=1
	v_and_b32_e32 v1, 0xffff, v0
	v_or_b32_e32 v69, 0x10000, v0
	s_delay_alu instid0(VALU_DEP_2) | instskip(NEXT) | instid1(VALU_DEP_1)
	v_cmp_eq_u32_e64 s1, 0, v1
	v_cndmask_b32_e64 v69, v69, v0, s1
; %bb.85:                               ;   in Loop: Header=BB177_35 Depth=1
	s_or_b32 exec_lo, exec_lo, s8
	v_and_b32_e32 v119, 0xffff0000, v70
	v_lshlrev_b32_e32 v0, 16, v2
                                        ; implicit-def: $vgpr70
	s_delay_alu instid0(VALU_DEP_1) | instskip(NEXT) | instid1(VALU_DEP_1)
	v_mul_f32_e32 v0, v119, v0
	v_and_b32_e32 v1, 0x7f800000, v0
	s_delay_alu instid0(VALU_DEP_1) | instskip(NEXT) | instid1(VALU_DEP_1)
	v_cmp_ne_u32_e64 s1, 0x7f800000, v1
	s_and_saveexec_b32 s8, s1
	s_delay_alu instid0(SALU_CYCLE_1)
	s_xor_b32 s1, exec_lo, s8
; %bb.86:                               ;   in Loop: Header=BB177_35 Depth=1
	v_bfe_u32 v1, v0, 16, 1
	s_delay_alu instid0(VALU_DEP_1)
	v_add3_u32 v70, v0, v1, 0x7fff
                                        ; implicit-def: $vgpr0
; %bb.87:                               ;   in Loop: Header=BB177_35 Depth=1
	s_and_not1_saveexec_b32 s8, s1
; %bb.88:                               ;   in Loop: Header=BB177_35 Depth=1
	v_and_b32_e32 v1, 0xffff, v0
	v_or_b32_e32 v2, 0x10000, v0
	s_delay_alu instid0(VALU_DEP_2) | instskip(NEXT) | instid1(VALU_DEP_1)
	v_cmp_eq_u32_e64 s1, 0, v1
	v_cndmask_b32_e64 v70, v2, v0, s1
; %bb.89:                               ;   in Loop: Header=BB177_35 Depth=1
	s_or_b32 exec_lo, exec_lo, s8
	v_and_b32_e32 v128, 0xffff0000, v71
	v_lshlrev_b32_e32 v0, 16, v85
                                        ; implicit-def: $vgpr71
	s_delay_alu instid0(VALU_DEP_1) | instskip(NEXT) | instid1(VALU_DEP_1)
	v_mul_f32_e32 v0, v128, v0
	v_and_b32_e32 v1, 0x7f800000, v0
	s_delay_alu instid0(VALU_DEP_1) | instskip(NEXT) | instid1(VALU_DEP_1)
	v_cmp_ne_u32_e64 s1, 0x7f800000, v1
	s_and_saveexec_b32 s8, s1
	s_delay_alu instid0(SALU_CYCLE_1)
	s_xor_b32 s1, exec_lo, s8
; %bb.90:                               ;   in Loop: Header=BB177_35 Depth=1
	v_bfe_u32 v1, v0, 16, 1
	s_delay_alu instid0(VALU_DEP_1)
	v_add3_u32 v71, v0, v1, 0x7fff
                                        ; implicit-def: $vgpr0
; %bb.91:                               ;   in Loop: Header=BB177_35 Depth=1
	s_and_not1_saveexec_b32 s8, s1
; %bb.92:                               ;   in Loop: Header=BB177_35 Depth=1
	v_and_b32_e32 v1, 0xffff, v0
	v_or_b32_e32 v2, 0x10000, v0
	s_delay_alu instid0(VALU_DEP_2) | instskip(NEXT) | instid1(VALU_DEP_1)
	v_cmp_eq_u32_e64 s1, 0, v1
	v_cndmask_b32_e64 v71, v2, v0, s1
; %bb.93:                               ;   in Loop: Header=BB177_35 Depth=1
	s_or_b32 exec_lo, exec_lo, s8
	v_and_b32_e32 v129, 0xffff0000, v80
	v_lshlrev_b32_e32 v0, 16, v3
                                        ; implicit-def: $vgpr80
	s_delay_alu instid0(VALU_DEP_1) | instskip(NEXT) | instid1(VALU_DEP_1)
	v_mul_f32_e32 v0, v129, v0
	v_and_b32_e32 v1, 0x7f800000, v0
	s_delay_alu instid0(VALU_DEP_1) | instskip(NEXT) | instid1(VALU_DEP_1)
	v_cmp_ne_u32_e64 s1, 0x7f800000, v1
	s_and_saveexec_b32 s8, s1
	s_delay_alu instid0(SALU_CYCLE_1)
	s_xor_b32 s1, exec_lo, s8
; %bb.94:                               ;   in Loop: Header=BB177_35 Depth=1
	v_bfe_u32 v1, v0, 16, 1
	s_delay_alu instid0(VALU_DEP_1)
	v_add3_u32 v80, v0, v1, 0x7fff
                                        ; implicit-def: $vgpr0
; %bb.95:                               ;   in Loop: Header=BB177_35 Depth=1
	s_and_not1_saveexec_b32 s8, s1
; %bb.96:                               ;   in Loop: Header=BB177_35 Depth=1
	v_and_b32_e32 v1, 0xffff, v0
	v_or_b32_e32 v2, 0x10000, v0
	s_delay_alu instid0(VALU_DEP_2) | instskip(NEXT) | instid1(VALU_DEP_1)
	v_cmp_eq_u32_e64 s1, 0, v1
	v_cndmask_b32_e64 v80, v2, v0, s1
; %bb.97:                               ;   in Loop: Header=BB177_35 Depth=1
	s_or_b32 exec_lo, exec_lo, s8
	v_and_b32_e32 v130, 0xffff0000, v81
	v_lshlrev_b32_e32 v0, 16, v84
                                        ; implicit-def: $vgpr81
	s_delay_alu instid0(VALU_DEP_1) | instskip(NEXT) | instid1(VALU_DEP_1)
	v_mul_f32_e32 v0, v130, v0
	v_and_b32_e32 v1, 0x7f800000, v0
	s_delay_alu instid0(VALU_DEP_1) | instskip(NEXT) | instid1(VALU_DEP_1)
	v_cmp_ne_u32_e64 s1, 0x7f800000, v1
	s_and_saveexec_b32 s8, s1
	s_delay_alu instid0(SALU_CYCLE_1)
	s_xor_b32 s1, exec_lo, s8
; %bb.98:                               ;   in Loop: Header=BB177_35 Depth=1
	v_bfe_u32 v1, v0, 16, 1
	s_delay_alu instid0(VALU_DEP_1)
	v_add3_u32 v81, v0, v1, 0x7fff
                                        ; implicit-def: $vgpr0
; %bb.99:                               ;   in Loop: Header=BB177_35 Depth=1
	s_and_not1_saveexec_b32 s8, s1
; %bb.100:                              ;   in Loop: Header=BB177_35 Depth=1
	v_and_b32_e32 v1, 0xffff, v0
	v_or_b32_e32 v2, 0x10000, v0
	s_delay_alu instid0(VALU_DEP_2) | instskip(NEXT) | instid1(VALU_DEP_1)
	v_cmp_eq_u32_e64 s1, 0, v1
	v_cndmask_b32_e64 v81, v2, v0, s1
; %bb.101:                              ;   in Loop: Header=BB177_35 Depth=1
	s_or_b32 exec_lo, exec_lo, s8
	flat_load_b128 v[0:3], v[6:7] offset:512
	s_waitcnt vmcnt(0) lgkmcnt(0)
	v_lshrrev_b32_e32 v83, 16, v0
	v_lshrrev_b32_e32 v85, 16, v1
	;; [unrolled: 1-line block ×4, first 2 shown]
	s_and_saveexec_b32 s8, vcc_lo
	s_cbranch_execz .LBB177_103
; %bb.102:                              ;   in Loop: Header=BB177_35 Depth=1
	v_cmp_lt_i32_e64 s1, v96, v27
	s_delay_alu instid0(VALU_DEP_1) | instskip(SKIP_1) | instid1(VALU_DEP_1)
	v_cndmask_b32_e64 v0, 0, v0, s1
	v_cmp_lt_i32_e64 s1, v103, v27
	v_cndmask_b32_e64 v83, 0, v83, s1
	v_cmp_lt_i32_e64 s1, v101, v27
	s_delay_alu instid0(VALU_DEP_1) | instskip(SKIP_1) | instid1(VALU_DEP_1)
	v_cndmask_b32_e64 v1, 0, v1, s1
	v_cmp_lt_i32_e64 s1, v100, v27
	v_cndmask_b32_e64 v85, 0, v85, s1
	;; [unrolled: 5-line block ×4, first 2 shown]
.LBB177_103:                            ;   in Loop: Header=BB177_35 Depth=1
	s_or_b32 exec_lo, exec_lo, s8
	v_lshlrev_b32_e32 v0, 16, v0
	s_delay_alu instid0(VALU_DEP_1) | instskip(NEXT) | instid1(VALU_DEP_1)
	v_mul_f32_e32 v0, v114, v0
	v_and_b32_e32 v82, 0x7f800000, v0
	s_delay_alu instid0(VALU_DEP_1) | instskip(NEXT) | instid1(VALU_DEP_1)
	v_cmp_ne_u32_e64 s1, 0x7f800000, v82
                                        ; implicit-def: $vgpr82
	s_and_saveexec_b32 s8, s1
	s_delay_alu instid0(SALU_CYCLE_1)
	s_xor_b32 s1, exec_lo, s8
; %bb.104:                              ;   in Loop: Header=BB177_35 Depth=1
	v_bfe_u32 v82, v0, 16, 1
	s_delay_alu instid0(VALU_DEP_1)
	v_add3_u32 v82, v0, v82, 0x7fff
                                        ; implicit-def: $vgpr0
; %bb.105:                              ;   in Loop: Header=BB177_35 Depth=1
	s_and_not1_saveexec_b32 s8, s1
; %bb.106:                              ;   in Loop: Header=BB177_35 Depth=1
	v_and_b32_e32 v82, 0xffff, v0
	v_or_b32_e32 v84, 0x10000, v0
	s_delay_alu instid0(VALU_DEP_2) | instskip(NEXT) | instid1(VALU_DEP_1)
	v_cmp_eq_u32_e64 s1, 0, v82
	v_cndmask_b32_e64 v82, v84, v0, s1
; %bb.107:                              ;   in Loop: Header=BB177_35 Depth=1
	s_or_b32 exec_lo, exec_lo, s8
	v_lshlrev_b32_e32 v0, 16, v83
	s_delay_alu instid0(VALU_DEP_1) | instskip(NEXT) | instid1(VALU_DEP_1)
	v_mul_f32_e32 v0, v115, v0
	v_and_b32_e32 v83, 0x7f800000, v0
	s_delay_alu instid0(VALU_DEP_1) | instskip(NEXT) | instid1(VALU_DEP_1)
	v_cmp_ne_u32_e64 s1, 0x7f800000, v83
                                        ; implicit-def: $vgpr83
	s_and_saveexec_b32 s8, s1
	s_delay_alu instid0(SALU_CYCLE_1)
	s_xor_b32 s1, exec_lo, s8
; %bb.108:                              ;   in Loop: Header=BB177_35 Depth=1
	v_bfe_u32 v83, v0, 16, 1
	s_delay_alu instid0(VALU_DEP_1)
	v_add3_u32 v83, v0, v83, 0x7fff
                                        ; implicit-def: $vgpr0
; %bb.109:                              ;   in Loop: Header=BB177_35 Depth=1
	s_and_not1_saveexec_b32 s8, s1
; %bb.110:                              ;   in Loop: Header=BB177_35 Depth=1
	v_and_b32_e32 v83, 0xffff, v0
	v_or_b32_e32 v84, 0x10000, v0
	s_delay_alu instid0(VALU_DEP_2) | instskip(NEXT) | instid1(VALU_DEP_1)
	v_cmp_eq_u32_e64 s1, 0, v83
	v_cndmask_b32_e64 v83, v84, v0, s1
; %bb.111:                              ;   in Loop: Header=BB177_35 Depth=1
	s_or_b32 exec_lo, exec_lo, s8
	v_lshlrev_b32_e32 v0, 16, v1
                                        ; implicit-def: $vgpr84
	s_delay_alu instid0(VALU_DEP_1) | instskip(NEXT) | instid1(VALU_DEP_1)
	v_mul_f32_e32 v0, v116, v0
	v_and_b32_e32 v1, 0x7f800000, v0
	s_delay_alu instid0(VALU_DEP_1) | instskip(NEXT) | instid1(VALU_DEP_1)
	v_cmp_ne_u32_e64 s1, 0x7f800000, v1
	s_and_saveexec_b32 s8, s1
	s_delay_alu instid0(SALU_CYCLE_1)
	s_xor_b32 s1, exec_lo, s8
; %bb.112:                              ;   in Loop: Header=BB177_35 Depth=1
	v_bfe_u32 v1, v0, 16, 1
	s_delay_alu instid0(VALU_DEP_1)
	v_add3_u32 v84, v0, v1, 0x7fff
                                        ; implicit-def: $vgpr0
; %bb.113:                              ;   in Loop: Header=BB177_35 Depth=1
	s_and_not1_saveexec_b32 s8, s1
; %bb.114:                              ;   in Loop: Header=BB177_35 Depth=1
	v_and_b32_e32 v1, 0xffff, v0
	v_or_b32_e32 v84, 0x10000, v0
	s_delay_alu instid0(VALU_DEP_2) | instskip(NEXT) | instid1(VALU_DEP_1)
	v_cmp_eq_u32_e64 s1, 0, v1
	v_cndmask_b32_e64 v84, v84, v0, s1
; %bb.115:                              ;   in Loop: Header=BB177_35 Depth=1
	s_or_b32 exec_lo, exec_lo, s8
	v_lshlrev_b32_e32 v0, 16, v85
                                        ; implicit-def: $vgpr85
	s_delay_alu instid0(VALU_DEP_1) | instskip(NEXT) | instid1(VALU_DEP_1)
	v_mul_f32_e32 v0, v117, v0
	v_and_b32_e32 v1, 0x7f800000, v0
	s_delay_alu instid0(VALU_DEP_1) | instskip(NEXT) | instid1(VALU_DEP_1)
	v_cmp_ne_u32_e64 s1, 0x7f800000, v1
	s_and_saveexec_b32 s8, s1
	s_delay_alu instid0(SALU_CYCLE_1)
	s_xor_b32 s1, exec_lo, s8
; %bb.116:                              ;   in Loop: Header=BB177_35 Depth=1
	v_bfe_u32 v1, v0, 16, 1
	s_delay_alu instid0(VALU_DEP_1)
	v_add3_u32 v85, v0, v1, 0x7fff
                                        ; implicit-def: $vgpr0
; %bb.117:                              ;   in Loop: Header=BB177_35 Depth=1
	s_and_not1_saveexec_b32 s8, s1
; %bb.118:                              ;   in Loop: Header=BB177_35 Depth=1
	v_and_b32_e32 v1, 0xffff, v0
	v_or_b32_e32 v85, 0x10000, v0
	s_delay_alu instid0(VALU_DEP_2) | instskip(NEXT) | instid1(VALU_DEP_1)
	v_cmp_eq_u32_e64 s1, 0, v1
	v_cndmask_b32_e64 v85, v85, v0, s1
; %bb.119:                              ;   in Loop: Header=BB177_35 Depth=1
	s_or_b32 exec_lo, exec_lo, s8
	v_lshlrev_b32_e32 v0, 16, v2
                                        ; implicit-def: $vgpr86
	s_delay_alu instid0(VALU_DEP_1) | instskip(NEXT) | instid1(VALU_DEP_1)
	v_mul_f32_e32 v0, v119, v0
	v_and_b32_e32 v1, 0x7f800000, v0
	s_delay_alu instid0(VALU_DEP_1) | instskip(NEXT) | instid1(VALU_DEP_1)
	v_cmp_ne_u32_e64 s1, 0x7f800000, v1
	s_and_saveexec_b32 s8, s1
	s_delay_alu instid0(SALU_CYCLE_1)
	s_xor_b32 s1, exec_lo, s8
; %bb.120:                              ;   in Loop: Header=BB177_35 Depth=1
	v_bfe_u32 v1, v0, 16, 1
	s_delay_alu instid0(VALU_DEP_1)
	v_add3_u32 v86, v0, v1, 0x7fff
                                        ; implicit-def: $vgpr0
; %bb.121:                              ;   in Loop: Header=BB177_35 Depth=1
	s_and_not1_saveexec_b32 s8, s1
; %bb.122:                              ;   in Loop: Header=BB177_35 Depth=1
	v_and_b32_e32 v1, 0xffff, v0
	v_or_b32_e32 v2, 0x10000, v0
	s_delay_alu instid0(VALU_DEP_2) | instskip(NEXT) | instid1(VALU_DEP_1)
	v_cmp_eq_u32_e64 s1, 0, v1
	v_cndmask_b32_e64 v86, v2, v0, s1
; %bb.123:                              ;   in Loop: Header=BB177_35 Depth=1
	s_or_b32 exec_lo, exec_lo, s8
	v_lshlrev_b32_e32 v0, 16, v87
                                        ; implicit-def: $vgpr87
	s_delay_alu instid0(VALU_DEP_1) | instskip(NEXT) | instid1(VALU_DEP_1)
	v_mul_f32_e32 v0, v128, v0
	v_and_b32_e32 v1, 0x7f800000, v0
	s_delay_alu instid0(VALU_DEP_1) | instskip(NEXT) | instid1(VALU_DEP_1)
	v_cmp_ne_u32_e64 s1, 0x7f800000, v1
	s_and_saveexec_b32 s8, s1
	s_delay_alu instid0(SALU_CYCLE_1)
	s_xor_b32 s1, exec_lo, s8
; %bb.124:                              ;   in Loop: Header=BB177_35 Depth=1
	v_bfe_u32 v1, v0, 16, 1
	s_delay_alu instid0(VALU_DEP_1)
	v_add3_u32 v87, v0, v1, 0x7fff
                                        ; implicit-def: $vgpr0
; %bb.125:                              ;   in Loop: Header=BB177_35 Depth=1
	s_and_not1_saveexec_b32 s8, s1
; %bb.126:                              ;   in Loop: Header=BB177_35 Depth=1
	v_and_b32_e32 v1, 0xffff, v0
	v_or_b32_e32 v2, 0x10000, v0
	s_delay_alu instid0(VALU_DEP_2) | instskip(NEXT) | instid1(VALU_DEP_1)
	v_cmp_eq_u32_e64 s1, 0, v1
	v_cndmask_b32_e64 v87, v2, v0, s1
; %bb.127:                              ;   in Loop: Header=BB177_35 Depth=1
	s_or_b32 exec_lo, exec_lo, s8
	v_lshlrev_b32_e32 v0, 16, v3
                                        ; implicit-def: $vgpr97
	s_delay_alu instid0(VALU_DEP_1) | instskip(NEXT) | instid1(VALU_DEP_1)
	v_mul_f32_e32 v0, v129, v0
	v_and_b32_e32 v1, 0x7f800000, v0
	s_delay_alu instid0(VALU_DEP_1) | instskip(NEXT) | instid1(VALU_DEP_1)
	v_cmp_ne_u32_e64 s1, 0x7f800000, v1
	s_and_saveexec_b32 s8, s1
	s_delay_alu instid0(SALU_CYCLE_1)
	s_xor_b32 s1, exec_lo, s8
; %bb.128:                              ;   in Loop: Header=BB177_35 Depth=1
	v_bfe_u32 v1, v0, 16, 1
	s_delay_alu instid0(VALU_DEP_1)
	v_add3_u32 v97, v0, v1, 0x7fff
                                        ; implicit-def: $vgpr0
; %bb.129:                              ;   in Loop: Header=BB177_35 Depth=1
	s_and_not1_saveexec_b32 s8, s1
; %bb.130:                              ;   in Loop: Header=BB177_35 Depth=1
	v_and_b32_e32 v1, 0xffff, v0
	v_or_b32_e32 v2, 0x10000, v0
	s_delay_alu instid0(VALU_DEP_2) | instskip(NEXT) | instid1(VALU_DEP_1)
	v_cmp_eq_u32_e64 s1, 0, v1
	v_cndmask_b32_e64 v97, v2, v0, s1
; %bb.131:                              ;   in Loop: Header=BB177_35 Depth=1
	s_or_b32 exec_lo, exec_lo, s8
	v_lshlrev_b32_e32 v0, 16, v118
                                        ; implicit-def: $vgpr118
	s_delay_alu instid0(VALU_DEP_1) | instskip(NEXT) | instid1(VALU_DEP_1)
	v_mul_f32_e32 v0, v130, v0
	v_and_b32_e32 v1, 0x7f800000, v0
	s_delay_alu instid0(VALU_DEP_1) | instskip(NEXT) | instid1(VALU_DEP_1)
	v_cmp_ne_u32_e64 s1, 0x7f800000, v1
	s_and_saveexec_b32 s8, s1
	s_delay_alu instid0(SALU_CYCLE_1)
	s_xor_b32 s1, exec_lo, s8
; %bb.132:                              ;   in Loop: Header=BB177_35 Depth=1
	v_bfe_u32 v1, v0, 16, 1
	s_delay_alu instid0(VALU_DEP_1)
	v_add3_u32 v118, v0, v1, 0x7fff
                                        ; implicit-def: $vgpr0
; %bb.133:                              ;   in Loop: Header=BB177_35 Depth=1
	s_and_not1_saveexec_b32 s8, s1
; %bb.134:                              ;   in Loop: Header=BB177_35 Depth=1
	v_and_b32_e32 v1, 0xffff, v0
	v_or_b32_e32 v2, 0x10000, v0
	s_delay_alu instid0(VALU_DEP_2) | instskip(NEXT) | instid1(VALU_DEP_1)
	v_cmp_eq_u32_e64 s1, 0, v1
	v_cndmask_b32_e64 v118, v2, v0, s1
; %bb.135:                              ;   in Loop: Header=BB177_35 Depth=1
	s_or_b32 exec_lo, exec_lo, s8
	flat_load_b128 v[0:3], v[6:7] offset:1024
	s_waitcnt vmcnt(0) lgkmcnt(0)
	v_lshrrev_b32_e32 v132, 16, v0
	v_lshrrev_b32_e32 v134, 16, v1
	;; [unrolled: 1-line block ×4, first 2 shown]
	s_and_saveexec_b32 s8, vcc_lo
	s_cbranch_execz .LBB177_137
; %bb.136:                              ;   in Loop: Header=BB177_35 Depth=1
	v_cmp_lt_i32_e64 s1, v96, v27
	s_delay_alu instid0(VALU_DEP_1) | instskip(SKIP_1) | instid1(VALU_DEP_1)
	v_cndmask_b32_e64 v0, 0, v0, s1
	v_cmp_lt_i32_e64 s1, v103, v27
	v_cndmask_b32_e64 v132, 0, v132, s1
	v_cmp_lt_i32_e64 s1, v101, v27
	s_delay_alu instid0(VALU_DEP_1) | instskip(SKIP_1) | instid1(VALU_DEP_1)
	v_cndmask_b32_e64 v1, 0, v1, s1
	v_cmp_lt_i32_e64 s1, v100, v27
	v_cndmask_b32_e64 v134, 0, v134, s1
	;; [unrolled: 5-line block ×4, first 2 shown]
.LBB177_137:                            ;   in Loop: Header=BB177_35 Depth=1
	s_or_b32 exec_lo, exec_lo, s8
	v_lshlrev_b32_e32 v0, 16, v0
	s_delay_alu instid0(VALU_DEP_1) | instskip(NEXT) | instid1(VALU_DEP_1)
	v_mul_f32_e32 v0, v114, v0
	v_and_b32_e32 v131, 0x7f800000, v0
	s_delay_alu instid0(VALU_DEP_1) | instskip(NEXT) | instid1(VALU_DEP_1)
	v_cmp_ne_u32_e64 s1, 0x7f800000, v131
                                        ; implicit-def: $vgpr131
	s_and_saveexec_b32 s8, s1
	s_delay_alu instid0(SALU_CYCLE_1)
	s_xor_b32 s1, exec_lo, s8
; %bb.138:                              ;   in Loop: Header=BB177_35 Depth=1
	v_bfe_u32 v131, v0, 16, 1
	s_delay_alu instid0(VALU_DEP_1)
	v_add3_u32 v131, v0, v131, 0x7fff
                                        ; implicit-def: $vgpr0
; %bb.139:                              ;   in Loop: Header=BB177_35 Depth=1
	s_and_not1_saveexec_b32 s8, s1
; %bb.140:                              ;   in Loop: Header=BB177_35 Depth=1
	v_and_b32_e32 v131, 0xffff, v0
	v_or_b32_e32 v133, 0x10000, v0
	s_delay_alu instid0(VALU_DEP_2) | instskip(NEXT) | instid1(VALU_DEP_1)
	v_cmp_eq_u32_e64 s1, 0, v131
	v_cndmask_b32_e64 v131, v133, v0, s1
; %bb.141:                              ;   in Loop: Header=BB177_35 Depth=1
	s_or_b32 exec_lo, exec_lo, s8
	v_lshlrev_b32_e32 v0, 16, v132
	s_delay_alu instid0(VALU_DEP_1) | instskip(NEXT) | instid1(VALU_DEP_1)
	v_mul_f32_e32 v0, v115, v0
	v_and_b32_e32 v132, 0x7f800000, v0
	s_delay_alu instid0(VALU_DEP_1) | instskip(NEXT) | instid1(VALU_DEP_1)
	v_cmp_ne_u32_e64 s1, 0x7f800000, v132
                                        ; implicit-def: $vgpr132
	s_and_saveexec_b32 s8, s1
	s_delay_alu instid0(SALU_CYCLE_1)
	s_xor_b32 s1, exec_lo, s8
; %bb.142:                              ;   in Loop: Header=BB177_35 Depth=1
	v_bfe_u32 v132, v0, 16, 1
	s_delay_alu instid0(VALU_DEP_1)
	v_add3_u32 v132, v0, v132, 0x7fff
                                        ; implicit-def: $vgpr0
; %bb.143:                              ;   in Loop: Header=BB177_35 Depth=1
	s_and_not1_saveexec_b32 s8, s1
; %bb.144:                              ;   in Loop: Header=BB177_35 Depth=1
	v_and_b32_e32 v132, 0xffff, v0
	v_or_b32_e32 v133, 0x10000, v0
	s_delay_alu instid0(VALU_DEP_2) | instskip(NEXT) | instid1(VALU_DEP_1)
	v_cmp_eq_u32_e64 s1, 0, v132
	v_cndmask_b32_e64 v132, v133, v0, s1
; %bb.145:                              ;   in Loop: Header=BB177_35 Depth=1
	s_or_b32 exec_lo, exec_lo, s8
	v_lshlrev_b32_e32 v0, 16, v1
                                        ; implicit-def: $vgpr133
	s_delay_alu instid0(VALU_DEP_1) | instskip(NEXT) | instid1(VALU_DEP_1)
	v_mul_f32_e32 v0, v116, v0
	v_and_b32_e32 v1, 0x7f800000, v0
	s_delay_alu instid0(VALU_DEP_1) | instskip(NEXT) | instid1(VALU_DEP_1)
	v_cmp_ne_u32_e64 s1, 0x7f800000, v1
	s_and_saveexec_b32 s8, s1
	s_delay_alu instid0(SALU_CYCLE_1)
	s_xor_b32 s1, exec_lo, s8
; %bb.146:                              ;   in Loop: Header=BB177_35 Depth=1
	v_bfe_u32 v1, v0, 16, 1
	s_delay_alu instid0(VALU_DEP_1)
	v_add3_u32 v133, v0, v1, 0x7fff
                                        ; implicit-def: $vgpr0
; %bb.147:                              ;   in Loop: Header=BB177_35 Depth=1
	s_and_not1_saveexec_b32 s8, s1
; %bb.148:                              ;   in Loop: Header=BB177_35 Depth=1
	v_and_b32_e32 v1, 0xffff, v0
	v_or_b32_e32 v133, 0x10000, v0
	s_delay_alu instid0(VALU_DEP_2) | instskip(NEXT) | instid1(VALU_DEP_1)
	v_cmp_eq_u32_e64 s1, 0, v1
	v_cndmask_b32_e64 v133, v133, v0, s1
; %bb.149:                              ;   in Loop: Header=BB177_35 Depth=1
	s_or_b32 exec_lo, exec_lo, s8
	v_lshlrev_b32_e32 v0, 16, v134
                                        ; implicit-def: $vgpr134
	s_delay_alu instid0(VALU_DEP_1) | instskip(NEXT) | instid1(VALU_DEP_1)
	v_mul_f32_e32 v0, v117, v0
	v_and_b32_e32 v1, 0x7f800000, v0
	s_delay_alu instid0(VALU_DEP_1) | instskip(NEXT) | instid1(VALU_DEP_1)
	v_cmp_ne_u32_e64 s1, 0x7f800000, v1
	s_and_saveexec_b32 s8, s1
	s_delay_alu instid0(SALU_CYCLE_1)
	s_xor_b32 s1, exec_lo, s8
; %bb.150:                              ;   in Loop: Header=BB177_35 Depth=1
	v_bfe_u32 v1, v0, 16, 1
	s_delay_alu instid0(VALU_DEP_1)
	v_add3_u32 v134, v0, v1, 0x7fff
                                        ; implicit-def: $vgpr0
; %bb.151:                              ;   in Loop: Header=BB177_35 Depth=1
	s_and_not1_saveexec_b32 s8, s1
; %bb.152:                              ;   in Loop: Header=BB177_35 Depth=1
	v_and_b32_e32 v1, 0xffff, v0
	v_or_b32_e32 v134, 0x10000, v0
	s_delay_alu instid0(VALU_DEP_2) | instskip(NEXT) | instid1(VALU_DEP_1)
	v_cmp_eq_u32_e64 s1, 0, v1
	v_cndmask_b32_e64 v134, v134, v0, s1
; %bb.153:                              ;   in Loop: Header=BB177_35 Depth=1
	s_or_b32 exec_lo, exec_lo, s8
	v_lshlrev_b32_e32 v0, 16, v2
                                        ; implicit-def: $vgpr135
	s_delay_alu instid0(VALU_DEP_1) | instskip(NEXT) | instid1(VALU_DEP_1)
	v_mul_f32_e32 v0, v119, v0
	v_and_b32_e32 v1, 0x7f800000, v0
	s_delay_alu instid0(VALU_DEP_1) | instskip(NEXT) | instid1(VALU_DEP_1)
	v_cmp_ne_u32_e64 s1, 0x7f800000, v1
	s_and_saveexec_b32 s8, s1
	s_delay_alu instid0(SALU_CYCLE_1)
	s_xor_b32 s1, exec_lo, s8
; %bb.154:                              ;   in Loop: Header=BB177_35 Depth=1
	v_bfe_u32 v1, v0, 16, 1
	s_delay_alu instid0(VALU_DEP_1)
	v_add3_u32 v135, v0, v1, 0x7fff
                                        ; implicit-def: $vgpr0
; %bb.155:                              ;   in Loop: Header=BB177_35 Depth=1
	s_and_not1_saveexec_b32 s8, s1
; %bb.156:                              ;   in Loop: Header=BB177_35 Depth=1
	v_and_b32_e32 v1, 0xffff, v0
	v_or_b32_e32 v2, 0x10000, v0
	s_delay_alu instid0(VALU_DEP_2) | instskip(NEXT) | instid1(VALU_DEP_1)
	v_cmp_eq_u32_e64 s1, 0, v1
	v_cndmask_b32_e64 v135, v2, v0, s1
; %bb.157:                              ;   in Loop: Header=BB177_35 Depth=1
	s_or_b32 exec_lo, exec_lo, s8
	v_lshlrev_b32_e32 v0, 16, v144
                                        ; implicit-def: $vgpr144
	s_delay_alu instid0(VALU_DEP_1) | instskip(NEXT) | instid1(VALU_DEP_1)
	v_mul_f32_e32 v0, v128, v0
	v_and_b32_e32 v1, 0x7f800000, v0
	s_delay_alu instid0(VALU_DEP_1) | instskip(NEXT) | instid1(VALU_DEP_1)
	v_cmp_ne_u32_e64 s1, 0x7f800000, v1
	s_and_saveexec_b32 s8, s1
	s_delay_alu instid0(SALU_CYCLE_1)
	s_xor_b32 s1, exec_lo, s8
; %bb.158:                              ;   in Loop: Header=BB177_35 Depth=1
	v_bfe_u32 v1, v0, 16, 1
	s_delay_alu instid0(VALU_DEP_1)
	v_add3_u32 v144, v0, v1, 0x7fff
                                        ; implicit-def: $vgpr0
; %bb.159:                              ;   in Loop: Header=BB177_35 Depth=1
	s_and_not1_saveexec_b32 s8, s1
; %bb.160:                              ;   in Loop: Header=BB177_35 Depth=1
	v_and_b32_e32 v1, 0xffff, v0
	v_or_b32_e32 v2, 0x10000, v0
	s_delay_alu instid0(VALU_DEP_2) | instskip(NEXT) | instid1(VALU_DEP_1)
	v_cmp_eq_u32_e64 s1, 0, v1
	v_cndmask_b32_e64 v144, v2, v0, s1
; %bb.161:                              ;   in Loop: Header=BB177_35 Depth=1
	s_or_b32 exec_lo, exec_lo, s8
	v_lshlrev_b32_e32 v0, 16, v3
                                        ; implicit-def: $vgpr145
	s_delay_alu instid0(VALU_DEP_1) | instskip(NEXT) | instid1(VALU_DEP_1)
	v_mul_f32_e32 v0, v129, v0
	v_and_b32_e32 v1, 0x7f800000, v0
	s_delay_alu instid0(VALU_DEP_1) | instskip(NEXT) | instid1(VALU_DEP_1)
	v_cmp_ne_u32_e64 s1, 0x7f800000, v1
	s_and_saveexec_b32 s8, s1
	s_delay_alu instid0(SALU_CYCLE_1)
	s_xor_b32 s1, exec_lo, s8
; %bb.162:                              ;   in Loop: Header=BB177_35 Depth=1
	v_bfe_u32 v1, v0, 16, 1
	s_delay_alu instid0(VALU_DEP_1)
	v_add3_u32 v145, v0, v1, 0x7fff
                                        ; implicit-def: $vgpr0
; %bb.163:                              ;   in Loop: Header=BB177_35 Depth=1
	s_and_not1_saveexec_b32 s8, s1
; %bb.164:                              ;   in Loop: Header=BB177_35 Depth=1
	v_and_b32_e32 v1, 0xffff, v0
	v_or_b32_e32 v2, 0x10000, v0
	s_delay_alu instid0(VALU_DEP_2) | instskip(NEXT) | instid1(VALU_DEP_1)
	v_cmp_eq_u32_e64 s1, 0, v1
	v_cndmask_b32_e64 v145, v2, v0, s1
; %bb.165:                              ;   in Loop: Header=BB177_35 Depth=1
	s_or_b32 exec_lo, exec_lo, s8
	v_lshlrev_b32_e32 v0, 16, v146
                                        ; implicit-def: $vgpr146
	s_delay_alu instid0(VALU_DEP_1) | instskip(NEXT) | instid1(VALU_DEP_1)
	v_mul_f32_e32 v0, v130, v0
	v_and_b32_e32 v1, 0x7f800000, v0
	s_delay_alu instid0(VALU_DEP_1) | instskip(NEXT) | instid1(VALU_DEP_1)
	v_cmp_ne_u32_e64 s1, 0x7f800000, v1
	s_and_saveexec_b32 s8, s1
	s_delay_alu instid0(SALU_CYCLE_1)
	s_xor_b32 s1, exec_lo, s8
; %bb.166:                              ;   in Loop: Header=BB177_35 Depth=1
	v_bfe_u32 v1, v0, 16, 1
	s_delay_alu instid0(VALU_DEP_1)
	v_add3_u32 v146, v0, v1, 0x7fff
                                        ; implicit-def: $vgpr0
; %bb.167:                              ;   in Loop: Header=BB177_35 Depth=1
	s_and_not1_saveexec_b32 s8, s1
; %bb.168:                              ;   in Loop: Header=BB177_35 Depth=1
	v_and_b32_e32 v1, 0xffff, v0
	v_or_b32_e32 v2, 0x10000, v0
	s_delay_alu instid0(VALU_DEP_2) | instskip(NEXT) | instid1(VALU_DEP_1)
	v_cmp_eq_u32_e64 s1, 0, v1
	v_cndmask_b32_e64 v146, v2, v0, s1
; %bb.169:                              ;   in Loop: Header=BB177_35 Depth=1
	s_or_b32 exec_lo, exec_lo, s8
	flat_load_b128 v[0:3], v[6:7] offset:1536
	s_waitcnt vmcnt(0) lgkmcnt(0)
	v_lshrrev_b32_e32 v148, 16, v0
	v_lshrrev_b32_e32 v150, 16, v1
	v_lshrrev_b32_e32 v160, 16, v2
	v_lshrrev_b32_e32 v162, 16, v3
	s_and_saveexec_b32 s8, vcc_lo
	s_cbranch_execz .LBB177_171
; %bb.170:                              ;   in Loop: Header=BB177_35 Depth=1
	v_cmp_lt_i32_e64 s1, v96, v27
	s_delay_alu instid0(VALU_DEP_1) | instskip(SKIP_1) | instid1(VALU_DEP_1)
	v_cndmask_b32_e64 v0, 0, v0, s1
	v_cmp_lt_i32_e64 s1, v103, v27
	v_cndmask_b32_e64 v148, 0, v148, s1
	v_cmp_lt_i32_e64 s1, v101, v27
	s_delay_alu instid0(VALU_DEP_1) | instskip(SKIP_1) | instid1(VALU_DEP_1)
	v_cndmask_b32_e64 v1, 0, v1, s1
	v_cmp_lt_i32_e64 s1, v100, v27
	v_cndmask_b32_e64 v150, 0, v150, s1
	;; [unrolled: 5-line block ×4, first 2 shown]
.LBB177_171:                            ;   in Loop: Header=BB177_35 Depth=1
	s_or_b32 exec_lo, exec_lo, s8
	v_lshlrev_b32_e32 v0, 16, v0
	s_delay_alu instid0(VALU_DEP_1) | instskip(NEXT) | instid1(VALU_DEP_1)
	v_mul_f32_e32 v0, v114, v0
	v_and_b32_e32 v147, 0x7f800000, v0
	s_delay_alu instid0(VALU_DEP_1) | instskip(NEXT) | instid1(VALU_DEP_1)
	v_cmp_ne_u32_e64 s1, 0x7f800000, v147
                                        ; implicit-def: $vgpr147
	s_and_saveexec_b32 s8, s1
	s_delay_alu instid0(SALU_CYCLE_1)
	s_xor_b32 s1, exec_lo, s8
; %bb.172:                              ;   in Loop: Header=BB177_35 Depth=1
	v_bfe_u32 v147, v0, 16, 1
	s_delay_alu instid0(VALU_DEP_1)
	v_add3_u32 v147, v0, v147, 0x7fff
                                        ; implicit-def: $vgpr0
; %bb.173:                              ;   in Loop: Header=BB177_35 Depth=1
	s_and_not1_saveexec_b32 s8, s1
; %bb.174:                              ;   in Loop: Header=BB177_35 Depth=1
	v_and_b32_e32 v147, 0xffff, v0
	v_or_b32_e32 v149, 0x10000, v0
	s_delay_alu instid0(VALU_DEP_2) | instskip(NEXT) | instid1(VALU_DEP_1)
	v_cmp_eq_u32_e64 s1, 0, v147
	v_cndmask_b32_e64 v147, v149, v0, s1
; %bb.175:                              ;   in Loop: Header=BB177_35 Depth=1
	s_or_b32 exec_lo, exec_lo, s8
	v_lshlrev_b32_e32 v0, 16, v148
	s_delay_alu instid0(VALU_DEP_1) | instskip(NEXT) | instid1(VALU_DEP_1)
	v_mul_f32_e32 v0, v115, v0
	v_and_b32_e32 v148, 0x7f800000, v0
	s_delay_alu instid0(VALU_DEP_1) | instskip(NEXT) | instid1(VALU_DEP_1)
	v_cmp_ne_u32_e64 s1, 0x7f800000, v148
                                        ; implicit-def: $vgpr148
	s_and_saveexec_b32 s8, s1
	s_delay_alu instid0(SALU_CYCLE_1)
	s_xor_b32 s1, exec_lo, s8
; %bb.176:                              ;   in Loop: Header=BB177_35 Depth=1
	v_bfe_u32 v148, v0, 16, 1
	s_delay_alu instid0(VALU_DEP_1)
	v_add3_u32 v148, v0, v148, 0x7fff
                                        ; implicit-def: $vgpr0
; %bb.177:                              ;   in Loop: Header=BB177_35 Depth=1
	s_and_not1_saveexec_b32 s8, s1
; %bb.178:                              ;   in Loop: Header=BB177_35 Depth=1
	v_and_b32_e32 v148, 0xffff, v0
	v_or_b32_e32 v149, 0x10000, v0
	s_delay_alu instid0(VALU_DEP_2) | instskip(NEXT) | instid1(VALU_DEP_1)
	v_cmp_eq_u32_e64 s1, 0, v148
	v_cndmask_b32_e64 v148, v149, v0, s1
; %bb.179:                              ;   in Loop: Header=BB177_35 Depth=1
	s_or_b32 exec_lo, exec_lo, s8
	v_lshlrev_b32_e32 v0, 16, v1
                                        ; implicit-def: $vgpr149
	s_delay_alu instid0(VALU_DEP_1) | instskip(NEXT) | instid1(VALU_DEP_1)
	v_mul_f32_e32 v0, v116, v0
	v_and_b32_e32 v1, 0x7f800000, v0
	s_delay_alu instid0(VALU_DEP_1) | instskip(NEXT) | instid1(VALU_DEP_1)
	v_cmp_ne_u32_e64 s1, 0x7f800000, v1
	s_and_saveexec_b32 s8, s1
	s_delay_alu instid0(SALU_CYCLE_1)
	s_xor_b32 s1, exec_lo, s8
; %bb.180:                              ;   in Loop: Header=BB177_35 Depth=1
	v_bfe_u32 v1, v0, 16, 1
	s_delay_alu instid0(VALU_DEP_1)
	v_add3_u32 v149, v0, v1, 0x7fff
                                        ; implicit-def: $vgpr0
; %bb.181:                              ;   in Loop: Header=BB177_35 Depth=1
	s_and_not1_saveexec_b32 s8, s1
; %bb.182:                              ;   in Loop: Header=BB177_35 Depth=1
	v_and_b32_e32 v1, 0xffff, v0
	v_or_b32_e32 v149, 0x10000, v0
	s_delay_alu instid0(VALU_DEP_2) | instskip(NEXT) | instid1(VALU_DEP_1)
	v_cmp_eq_u32_e64 s1, 0, v1
	v_cndmask_b32_e64 v149, v149, v0, s1
; %bb.183:                              ;   in Loop: Header=BB177_35 Depth=1
	s_or_b32 exec_lo, exec_lo, s8
	v_lshlrev_b32_e32 v0, 16, v150
                                        ; implicit-def: $vgpr150
	s_delay_alu instid0(VALU_DEP_1) | instskip(NEXT) | instid1(VALU_DEP_1)
	v_mul_f32_e32 v0, v117, v0
	v_and_b32_e32 v1, 0x7f800000, v0
	s_delay_alu instid0(VALU_DEP_1) | instskip(NEXT) | instid1(VALU_DEP_1)
	v_cmp_ne_u32_e64 s1, 0x7f800000, v1
	s_and_saveexec_b32 s8, s1
	s_delay_alu instid0(SALU_CYCLE_1)
	s_xor_b32 s1, exec_lo, s8
; %bb.184:                              ;   in Loop: Header=BB177_35 Depth=1
	v_bfe_u32 v1, v0, 16, 1
	s_delay_alu instid0(VALU_DEP_1)
	v_add3_u32 v150, v0, v1, 0x7fff
                                        ; implicit-def: $vgpr0
; %bb.185:                              ;   in Loop: Header=BB177_35 Depth=1
	s_and_not1_saveexec_b32 s8, s1
; %bb.186:                              ;   in Loop: Header=BB177_35 Depth=1
	v_and_b32_e32 v1, 0xffff, v0
	v_or_b32_e32 v150, 0x10000, v0
	s_delay_alu instid0(VALU_DEP_2) | instskip(NEXT) | instid1(VALU_DEP_1)
	v_cmp_eq_u32_e64 s1, 0, v1
	v_cndmask_b32_e64 v150, v150, v0, s1
; %bb.187:                              ;   in Loop: Header=BB177_35 Depth=1
	s_or_b32 exec_lo, exec_lo, s8
	v_lshlrev_b32_e32 v0, 16, v2
                                        ; implicit-def: $vgpr151
	s_delay_alu instid0(VALU_DEP_1) | instskip(NEXT) | instid1(VALU_DEP_1)
	v_mul_f32_e32 v0, v119, v0
	v_and_b32_e32 v1, 0x7f800000, v0
	s_delay_alu instid0(VALU_DEP_1) | instskip(NEXT) | instid1(VALU_DEP_1)
	v_cmp_ne_u32_e64 s1, 0x7f800000, v1
	s_and_saveexec_b32 s8, s1
	s_delay_alu instid0(SALU_CYCLE_1)
	s_xor_b32 s1, exec_lo, s8
; %bb.188:                              ;   in Loop: Header=BB177_35 Depth=1
	v_bfe_u32 v1, v0, 16, 1
	s_delay_alu instid0(VALU_DEP_1)
	v_add3_u32 v151, v0, v1, 0x7fff
                                        ; implicit-def: $vgpr0
; %bb.189:                              ;   in Loop: Header=BB177_35 Depth=1
	s_and_not1_saveexec_b32 s8, s1
; %bb.190:                              ;   in Loop: Header=BB177_35 Depth=1
	v_and_b32_e32 v1, 0xffff, v0
	v_or_b32_e32 v2, 0x10000, v0
	s_delay_alu instid0(VALU_DEP_2) | instskip(NEXT) | instid1(VALU_DEP_1)
	v_cmp_eq_u32_e64 s1, 0, v1
	v_cndmask_b32_e64 v151, v2, v0, s1
; %bb.191:                              ;   in Loop: Header=BB177_35 Depth=1
	s_or_b32 exec_lo, exec_lo, s8
	v_lshlrev_b32_e32 v0, 16, v160
                                        ; implicit-def: $vgpr160
	s_delay_alu instid0(VALU_DEP_1) | instskip(NEXT) | instid1(VALU_DEP_1)
	v_mul_f32_e32 v0, v128, v0
	v_and_b32_e32 v1, 0x7f800000, v0
	s_delay_alu instid0(VALU_DEP_1) | instskip(NEXT) | instid1(VALU_DEP_1)
	v_cmp_ne_u32_e64 s1, 0x7f800000, v1
	s_and_saveexec_b32 s8, s1
	s_delay_alu instid0(SALU_CYCLE_1)
	s_xor_b32 s1, exec_lo, s8
; %bb.192:                              ;   in Loop: Header=BB177_35 Depth=1
	v_bfe_u32 v1, v0, 16, 1
	s_delay_alu instid0(VALU_DEP_1)
	v_add3_u32 v160, v0, v1, 0x7fff
                                        ; implicit-def: $vgpr0
; %bb.193:                              ;   in Loop: Header=BB177_35 Depth=1
	s_and_not1_saveexec_b32 s8, s1
; %bb.194:                              ;   in Loop: Header=BB177_35 Depth=1
	v_and_b32_e32 v1, 0xffff, v0
	v_or_b32_e32 v2, 0x10000, v0
	s_delay_alu instid0(VALU_DEP_2) | instskip(NEXT) | instid1(VALU_DEP_1)
	v_cmp_eq_u32_e64 s1, 0, v1
	v_cndmask_b32_e64 v160, v2, v0, s1
; %bb.195:                              ;   in Loop: Header=BB177_35 Depth=1
	s_or_b32 exec_lo, exec_lo, s8
	v_lshlrev_b32_e32 v0, 16, v3
                                        ; implicit-def: $vgpr161
	s_delay_alu instid0(VALU_DEP_1) | instskip(NEXT) | instid1(VALU_DEP_1)
	v_mul_f32_e32 v0, v129, v0
	v_and_b32_e32 v1, 0x7f800000, v0
	s_delay_alu instid0(VALU_DEP_1) | instskip(NEXT) | instid1(VALU_DEP_1)
	v_cmp_ne_u32_e64 s1, 0x7f800000, v1
	s_and_saveexec_b32 s8, s1
	s_delay_alu instid0(SALU_CYCLE_1)
	s_xor_b32 s1, exec_lo, s8
; %bb.196:                              ;   in Loop: Header=BB177_35 Depth=1
	v_bfe_u32 v1, v0, 16, 1
	s_delay_alu instid0(VALU_DEP_1)
	v_add3_u32 v161, v0, v1, 0x7fff
                                        ; implicit-def: $vgpr0
; %bb.197:                              ;   in Loop: Header=BB177_35 Depth=1
	s_and_not1_saveexec_b32 s8, s1
; %bb.198:                              ;   in Loop: Header=BB177_35 Depth=1
	v_and_b32_e32 v1, 0xffff, v0
	v_or_b32_e32 v2, 0x10000, v0
	s_delay_alu instid0(VALU_DEP_2) | instskip(NEXT) | instid1(VALU_DEP_1)
	v_cmp_eq_u32_e64 s1, 0, v1
	v_cndmask_b32_e64 v161, v2, v0, s1
; %bb.199:                              ;   in Loop: Header=BB177_35 Depth=1
	s_or_b32 exec_lo, exec_lo, s8
	v_lshlrev_b32_e32 v0, 16, v162
                                        ; implicit-def: $vgpr162
	s_delay_alu instid0(VALU_DEP_1) | instskip(NEXT) | instid1(VALU_DEP_1)
	v_mul_f32_e32 v0, v130, v0
	v_and_b32_e32 v1, 0x7f800000, v0
	s_delay_alu instid0(VALU_DEP_1) | instskip(NEXT) | instid1(VALU_DEP_1)
	v_cmp_ne_u32_e64 s1, 0x7f800000, v1
	s_and_saveexec_b32 s8, s1
	s_delay_alu instid0(SALU_CYCLE_1)
	s_xor_b32 s1, exec_lo, s8
; %bb.200:                              ;   in Loop: Header=BB177_35 Depth=1
	v_bfe_u32 v1, v0, 16, 1
	s_delay_alu instid0(VALU_DEP_1)
	v_add3_u32 v162, v0, v1, 0x7fff
                                        ; implicit-def: $vgpr0
; %bb.201:                              ;   in Loop: Header=BB177_35 Depth=1
	s_and_not1_saveexec_b32 s8, s1
; %bb.202:                              ;   in Loop: Header=BB177_35 Depth=1
	v_and_b32_e32 v1, 0xffff, v0
	v_or_b32_e32 v2, 0x10000, v0
	s_delay_alu instid0(VALU_DEP_2) | instskip(NEXT) | instid1(VALU_DEP_1)
	v_cmp_eq_u32_e64 s1, 0, v1
	v_cndmask_b32_e64 v162, v2, v0, s1
; %bb.203:                              ;   in Loop: Header=BB177_35 Depth=1
	s_or_b32 exec_lo, exec_lo, s8
	flat_load_b128 v[0:3], v[6:7] offset:2048
	s_waitcnt vmcnt(0) lgkmcnt(0)
	v_lshrrev_b32_e32 v164, 16, v0
	v_lshrrev_b32_e32 v166, 16, v1
	;; [unrolled: 1-line block ×4, first 2 shown]
	s_and_saveexec_b32 s8, vcc_lo
	s_cbranch_execz .LBB177_205
; %bb.204:                              ;   in Loop: Header=BB177_35 Depth=1
	v_cmp_lt_i32_e64 s1, v96, v27
	s_delay_alu instid0(VALU_DEP_1) | instskip(SKIP_1) | instid1(VALU_DEP_1)
	v_cndmask_b32_e64 v0, 0, v0, s1
	v_cmp_lt_i32_e64 s1, v103, v27
	v_cndmask_b32_e64 v164, 0, v164, s1
	v_cmp_lt_i32_e64 s1, v101, v27
	s_delay_alu instid0(VALU_DEP_1) | instskip(SKIP_1) | instid1(VALU_DEP_1)
	v_cndmask_b32_e64 v1, 0, v1, s1
	v_cmp_lt_i32_e64 s1, v100, v27
	v_cndmask_b32_e64 v166, 0, v166, s1
	;; [unrolled: 5-line block ×4, first 2 shown]
.LBB177_205:                            ;   in Loop: Header=BB177_35 Depth=1
	s_or_b32 exec_lo, exec_lo, s8
	v_lshlrev_b32_e32 v0, 16, v0
	s_delay_alu instid0(VALU_DEP_1) | instskip(NEXT) | instid1(VALU_DEP_1)
	v_mul_f32_e32 v0, v114, v0
	v_and_b32_e32 v163, 0x7f800000, v0
	s_delay_alu instid0(VALU_DEP_1) | instskip(NEXT) | instid1(VALU_DEP_1)
	v_cmp_ne_u32_e64 s1, 0x7f800000, v163
                                        ; implicit-def: $vgpr163
	s_and_saveexec_b32 s8, s1
	s_delay_alu instid0(SALU_CYCLE_1)
	s_xor_b32 s1, exec_lo, s8
; %bb.206:                              ;   in Loop: Header=BB177_35 Depth=1
	v_bfe_u32 v163, v0, 16, 1
	s_delay_alu instid0(VALU_DEP_1)
	v_add3_u32 v163, v0, v163, 0x7fff
                                        ; implicit-def: $vgpr0
; %bb.207:                              ;   in Loop: Header=BB177_35 Depth=1
	s_and_not1_saveexec_b32 s8, s1
; %bb.208:                              ;   in Loop: Header=BB177_35 Depth=1
	v_and_b32_e32 v163, 0xffff, v0
	v_or_b32_e32 v165, 0x10000, v0
	s_delay_alu instid0(VALU_DEP_2) | instskip(NEXT) | instid1(VALU_DEP_1)
	v_cmp_eq_u32_e64 s1, 0, v163
	v_cndmask_b32_e64 v163, v165, v0, s1
; %bb.209:                              ;   in Loop: Header=BB177_35 Depth=1
	s_or_b32 exec_lo, exec_lo, s8
	v_lshlrev_b32_e32 v0, 16, v164
	s_delay_alu instid0(VALU_DEP_1) | instskip(NEXT) | instid1(VALU_DEP_1)
	v_mul_f32_e32 v0, v115, v0
	v_and_b32_e32 v164, 0x7f800000, v0
	s_delay_alu instid0(VALU_DEP_1) | instskip(NEXT) | instid1(VALU_DEP_1)
	v_cmp_ne_u32_e64 s1, 0x7f800000, v164
                                        ; implicit-def: $vgpr164
	s_and_saveexec_b32 s8, s1
	s_delay_alu instid0(SALU_CYCLE_1)
	s_xor_b32 s1, exec_lo, s8
; %bb.210:                              ;   in Loop: Header=BB177_35 Depth=1
	v_bfe_u32 v164, v0, 16, 1
	s_delay_alu instid0(VALU_DEP_1)
	v_add3_u32 v164, v0, v164, 0x7fff
                                        ; implicit-def: $vgpr0
; %bb.211:                              ;   in Loop: Header=BB177_35 Depth=1
	s_and_not1_saveexec_b32 s8, s1
; %bb.212:                              ;   in Loop: Header=BB177_35 Depth=1
	v_and_b32_e32 v164, 0xffff, v0
	v_or_b32_e32 v165, 0x10000, v0
	s_delay_alu instid0(VALU_DEP_2) | instskip(NEXT) | instid1(VALU_DEP_1)
	v_cmp_eq_u32_e64 s1, 0, v164
	v_cndmask_b32_e64 v164, v165, v0, s1
; %bb.213:                              ;   in Loop: Header=BB177_35 Depth=1
	s_or_b32 exec_lo, exec_lo, s8
	v_lshlrev_b32_e32 v0, 16, v1
                                        ; implicit-def: $vgpr165
	s_delay_alu instid0(VALU_DEP_1) | instskip(NEXT) | instid1(VALU_DEP_1)
	v_mul_f32_e32 v0, v116, v0
	v_and_b32_e32 v1, 0x7f800000, v0
	s_delay_alu instid0(VALU_DEP_1) | instskip(NEXT) | instid1(VALU_DEP_1)
	v_cmp_ne_u32_e64 s1, 0x7f800000, v1
	s_and_saveexec_b32 s8, s1
	s_delay_alu instid0(SALU_CYCLE_1)
	s_xor_b32 s1, exec_lo, s8
; %bb.214:                              ;   in Loop: Header=BB177_35 Depth=1
	v_bfe_u32 v1, v0, 16, 1
	s_delay_alu instid0(VALU_DEP_1)
	v_add3_u32 v165, v0, v1, 0x7fff
                                        ; implicit-def: $vgpr0
; %bb.215:                              ;   in Loop: Header=BB177_35 Depth=1
	s_and_not1_saveexec_b32 s8, s1
; %bb.216:                              ;   in Loop: Header=BB177_35 Depth=1
	v_and_b32_e32 v1, 0xffff, v0
	v_or_b32_e32 v165, 0x10000, v0
	s_delay_alu instid0(VALU_DEP_2) | instskip(NEXT) | instid1(VALU_DEP_1)
	v_cmp_eq_u32_e64 s1, 0, v1
	v_cndmask_b32_e64 v165, v165, v0, s1
; %bb.217:                              ;   in Loop: Header=BB177_35 Depth=1
	s_or_b32 exec_lo, exec_lo, s8
	v_lshlrev_b32_e32 v0, 16, v166
                                        ; implicit-def: $vgpr166
	s_delay_alu instid0(VALU_DEP_1) | instskip(NEXT) | instid1(VALU_DEP_1)
	v_mul_f32_e32 v0, v117, v0
	v_and_b32_e32 v1, 0x7f800000, v0
	s_delay_alu instid0(VALU_DEP_1) | instskip(NEXT) | instid1(VALU_DEP_1)
	v_cmp_ne_u32_e64 s1, 0x7f800000, v1
	s_and_saveexec_b32 s8, s1
	s_delay_alu instid0(SALU_CYCLE_1)
	s_xor_b32 s1, exec_lo, s8
; %bb.218:                              ;   in Loop: Header=BB177_35 Depth=1
	v_bfe_u32 v1, v0, 16, 1
	s_delay_alu instid0(VALU_DEP_1)
	v_add3_u32 v166, v0, v1, 0x7fff
                                        ; implicit-def: $vgpr0
; %bb.219:                              ;   in Loop: Header=BB177_35 Depth=1
	s_and_not1_saveexec_b32 s8, s1
; %bb.220:                              ;   in Loop: Header=BB177_35 Depth=1
	v_and_b32_e32 v1, 0xffff, v0
	v_or_b32_e32 v166, 0x10000, v0
	s_delay_alu instid0(VALU_DEP_2) | instskip(NEXT) | instid1(VALU_DEP_1)
	v_cmp_eq_u32_e64 s1, 0, v1
	v_cndmask_b32_e64 v166, v166, v0, s1
; %bb.221:                              ;   in Loop: Header=BB177_35 Depth=1
	s_or_b32 exec_lo, exec_lo, s8
	v_lshlrev_b32_e32 v0, 16, v2
                                        ; implicit-def: $vgpr167
	s_delay_alu instid0(VALU_DEP_1) | instskip(NEXT) | instid1(VALU_DEP_1)
	v_mul_f32_e32 v0, v119, v0
	v_and_b32_e32 v1, 0x7f800000, v0
	s_delay_alu instid0(VALU_DEP_1) | instskip(NEXT) | instid1(VALU_DEP_1)
	v_cmp_ne_u32_e64 s1, 0x7f800000, v1
	s_and_saveexec_b32 s8, s1
	s_delay_alu instid0(SALU_CYCLE_1)
	s_xor_b32 s1, exec_lo, s8
; %bb.222:                              ;   in Loop: Header=BB177_35 Depth=1
	v_bfe_u32 v1, v0, 16, 1
	s_delay_alu instid0(VALU_DEP_1)
	v_add3_u32 v167, v0, v1, 0x7fff
                                        ; implicit-def: $vgpr0
; %bb.223:                              ;   in Loop: Header=BB177_35 Depth=1
	s_and_not1_saveexec_b32 s8, s1
; %bb.224:                              ;   in Loop: Header=BB177_35 Depth=1
	v_and_b32_e32 v1, 0xffff, v0
	v_or_b32_e32 v2, 0x10000, v0
	s_delay_alu instid0(VALU_DEP_2) | instskip(NEXT) | instid1(VALU_DEP_1)
	v_cmp_eq_u32_e64 s1, 0, v1
	v_cndmask_b32_e64 v167, v2, v0, s1
; %bb.225:                              ;   in Loop: Header=BB177_35 Depth=1
	s_or_b32 exec_lo, exec_lo, s8
	v_lshlrev_b32_e32 v0, 16, v176
                                        ; implicit-def: $vgpr176
	s_delay_alu instid0(VALU_DEP_1) | instskip(NEXT) | instid1(VALU_DEP_1)
	v_mul_f32_e32 v0, v128, v0
	v_and_b32_e32 v1, 0x7f800000, v0
	s_delay_alu instid0(VALU_DEP_1) | instskip(NEXT) | instid1(VALU_DEP_1)
	v_cmp_ne_u32_e64 s1, 0x7f800000, v1
	s_and_saveexec_b32 s8, s1
	s_delay_alu instid0(SALU_CYCLE_1)
	s_xor_b32 s1, exec_lo, s8
; %bb.226:                              ;   in Loop: Header=BB177_35 Depth=1
	v_bfe_u32 v1, v0, 16, 1
	s_delay_alu instid0(VALU_DEP_1)
	v_add3_u32 v176, v0, v1, 0x7fff
                                        ; implicit-def: $vgpr0
; %bb.227:                              ;   in Loop: Header=BB177_35 Depth=1
	s_and_not1_saveexec_b32 s8, s1
; %bb.228:                              ;   in Loop: Header=BB177_35 Depth=1
	v_and_b32_e32 v1, 0xffff, v0
	v_or_b32_e32 v2, 0x10000, v0
	s_delay_alu instid0(VALU_DEP_2) | instskip(NEXT) | instid1(VALU_DEP_1)
	v_cmp_eq_u32_e64 s1, 0, v1
	v_cndmask_b32_e64 v176, v2, v0, s1
; %bb.229:                              ;   in Loop: Header=BB177_35 Depth=1
	s_or_b32 exec_lo, exec_lo, s8
	v_lshlrev_b32_e32 v0, 16, v3
                                        ; implicit-def: $vgpr177
	s_delay_alu instid0(VALU_DEP_1) | instskip(NEXT) | instid1(VALU_DEP_1)
	v_mul_f32_e32 v0, v129, v0
	v_and_b32_e32 v1, 0x7f800000, v0
	s_delay_alu instid0(VALU_DEP_1) | instskip(NEXT) | instid1(VALU_DEP_1)
	v_cmp_ne_u32_e64 s1, 0x7f800000, v1
	s_and_saveexec_b32 s8, s1
	s_delay_alu instid0(SALU_CYCLE_1)
	s_xor_b32 s1, exec_lo, s8
; %bb.230:                              ;   in Loop: Header=BB177_35 Depth=1
	v_bfe_u32 v1, v0, 16, 1
	s_delay_alu instid0(VALU_DEP_1)
	v_add3_u32 v177, v0, v1, 0x7fff
                                        ; implicit-def: $vgpr0
; %bb.231:                              ;   in Loop: Header=BB177_35 Depth=1
	s_and_not1_saveexec_b32 s8, s1
; %bb.232:                              ;   in Loop: Header=BB177_35 Depth=1
	v_and_b32_e32 v1, 0xffff, v0
	v_or_b32_e32 v2, 0x10000, v0
	s_delay_alu instid0(VALU_DEP_2) | instskip(NEXT) | instid1(VALU_DEP_1)
	v_cmp_eq_u32_e64 s1, 0, v1
	v_cndmask_b32_e64 v177, v2, v0, s1
; %bb.233:                              ;   in Loop: Header=BB177_35 Depth=1
	s_or_b32 exec_lo, exec_lo, s8
	v_lshlrev_b32_e32 v0, 16, v178
                                        ; implicit-def: $vgpr178
	s_delay_alu instid0(VALU_DEP_1) | instskip(NEXT) | instid1(VALU_DEP_1)
	v_mul_f32_e32 v0, v130, v0
	v_and_b32_e32 v1, 0x7f800000, v0
	s_delay_alu instid0(VALU_DEP_1) | instskip(NEXT) | instid1(VALU_DEP_1)
	v_cmp_ne_u32_e64 s1, 0x7f800000, v1
	s_and_saveexec_b32 s8, s1
	s_delay_alu instid0(SALU_CYCLE_1)
	s_xor_b32 s1, exec_lo, s8
; %bb.234:                              ;   in Loop: Header=BB177_35 Depth=1
	v_bfe_u32 v1, v0, 16, 1
	s_delay_alu instid0(VALU_DEP_1)
	v_add3_u32 v178, v0, v1, 0x7fff
                                        ; implicit-def: $vgpr0
; %bb.235:                              ;   in Loop: Header=BB177_35 Depth=1
	s_and_not1_saveexec_b32 s8, s1
; %bb.236:                              ;   in Loop: Header=BB177_35 Depth=1
	v_and_b32_e32 v1, 0xffff, v0
	v_or_b32_e32 v2, 0x10000, v0
	s_delay_alu instid0(VALU_DEP_2) | instskip(NEXT) | instid1(VALU_DEP_1)
	v_cmp_eq_u32_e64 s1, 0, v1
	v_cndmask_b32_e64 v178, v2, v0, s1
; %bb.237:                              ;   in Loop: Header=BB177_35 Depth=1
	s_or_b32 exec_lo, exec_lo, s8
	flat_load_b128 v[0:3], v[6:7] offset:2560
	s_waitcnt vmcnt(0) lgkmcnt(0)
	v_lshrrev_b32_e32 v180, 16, v0
	v_lshrrev_b32_e32 v182, 16, v1
	;; [unrolled: 1-line block ×4, first 2 shown]
	s_and_saveexec_b32 s8, vcc_lo
	s_cbranch_execz .LBB177_239
; %bb.238:                              ;   in Loop: Header=BB177_35 Depth=1
	v_cmp_lt_i32_e64 s1, v96, v27
	s_delay_alu instid0(VALU_DEP_1) | instskip(SKIP_1) | instid1(VALU_DEP_1)
	v_cndmask_b32_e64 v0, 0, v0, s1
	v_cmp_lt_i32_e64 s1, v103, v27
	v_cndmask_b32_e64 v180, 0, v180, s1
	v_cmp_lt_i32_e64 s1, v101, v27
	s_delay_alu instid0(VALU_DEP_1) | instskip(SKIP_1) | instid1(VALU_DEP_1)
	v_cndmask_b32_e64 v1, 0, v1, s1
	v_cmp_lt_i32_e64 s1, v100, v27
	v_cndmask_b32_e64 v182, 0, v182, s1
	;; [unrolled: 5-line block ×4, first 2 shown]
.LBB177_239:                            ;   in Loop: Header=BB177_35 Depth=1
	s_or_b32 exec_lo, exec_lo, s8
	v_lshlrev_b32_e32 v0, 16, v0
	s_delay_alu instid0(VALU_DEP_1) | instskip(NEXT) | instid1(VALU_DEP_1)
	v_mul_f32_e32 v0, v114, v0
	v_and_b32_e32 v179, 0x7f800000, v0
	s_delay_alu instid0(VALU_DEP_1) | instskip(NEXT) | instid1(VALU_DEP_1)
	v_cmp_ne_u32_e64 s1, 0x7f800000, v179
                                        ; implicit-def: $vgpr179
	s_and_saveexec_b32 s8, s1
	s_delay_alu instid0(SALU_CYCLE_1)
	s_xor_b32 s1, exec_lo, s8
; %bb.240:                              ;   in Loop: Header=BB177_35 Depth=1
	v_bfe_u32 v179, v0, 16, 1
	s_delay_alu instid0(VALU_DEP_1)
	v_add3_u32 v179, v0, v179, 0x7fff
                                        ; implicit-def: $vgpr0
; %bb.241:                              ;   in Loop: Header=BB177_35 Depth=1
	s_and_not1_saveexec_b32 s8, s1
; %bb.242:                              ;   in Loop: Header=BB177_35 Depth=1
	v_and_b32_e32 v179, 0xffff, v0
	v_or_b32_e32 v181, 0x10000, v0
	s_delay_alu instid0(VALU_DEP_2) | instskip(NEXT) | instid1(VALU_DEP_1)
	v_cmp_eq_u32_e64 s1, 0, v179
	v_cndmask_b32_e64 v179, v181, v0, s1
; %bb.243:                              ;   in Loop: Header=BB177_35 Depth=1
	s_or_b32 exec_lo, exec_lo, s8
	v_lshlrev_b32_e32 v0, 16, v180
	s_delay_alu instid0(VALU_DEP_1) | instskip(NEXT) | instid1(VALU_DEP_1)
	v_mul_f32_e32 v0, v115, v0
	v_and_b32_e32 v180, 0x7f800000, v0
	s_delay_alu instid0(VALU_DEP_1) | instskip(NEXT) | instid1(VALU_DEP_1)
	v_cmp_ne_u32_e64 s1, 0x7f800000, v180
                                        ; implicit-def: $vgpr180
	s_and_saveexec_b32 s8, s1
	s_delay_alu instid0(SALU_CYCLE_1)
	s_xor_b32 s1, exec_lo, s8
; %bb.244:                              ;   in Loop: Header=BB177_35 Depth=1
	v_bfe_u32 v180, v0, 16, 1
	s_delay_alu instid0(VALU_DEP_1)
	v_add3_u32 v180, v0, v180, 0x7fff
                                        ; implicit-def: $vgpr0
; %bb.245:                              ;   in Loop: Header=BB177_35 Depth=1
	s_and_not1_saveexec_b32 s8, s1
; %bb.246:                              ;   in Loop: Header=BB177_35 Depth=1
	v_and_b32_e32 v180, 0xffff, v0
	v_or_b32_e32 v181, 0x10000, v0
	s_delay_alu instid0(VALU_DEP_2) | instskip(NEXT) | instid1(VALU_DEP_1)
	v_cmp_eq_u32_e64 s1, 0, v180
	v_cndmask_b32_e64 v180, v181, v0, s1
; %bb.247:                              ;   in Loop: Header=BB177_35 Depth=1
	s_or_b32 exec_lo, exec_lo, s8
	v_lshlrev_b32_e32 v0, 16, v1
                                        ; implicit-def: $vgpr181
	s_delay_alu instid0(VALU_DEP_1) | instskip(NEXT) | instid1(VALU_DEP_1)
	v_mul_f32_e32 v0, v116, v0
	v_and_b32_e32 v1, 0x7f800000, v0
	s_delay_alu instid0(VALU_DEP_1) | instskip(NEXT) | instid1(VALU_DEP_1)
	v_cmp_ne_u32_e64 s1, 0x7f800000, v1
	s_and_saveexec_b32 s8, s1
	s_delay_alu instid0(SALU_CYCLE_1)
	s_xor_b32 s1, exec_lo, s8
; %bb.248:                              ;   in Loop: Header=BB177_35 Depth=1
	v_bfe_u32 v1, v0, 16, 1
	s_delay_alu instid0(VALU_DEP_1)
	v_add3_u32 v181, v0, v1, 0x7fff
                                        ; implicit-def: $vgpr0
; %bb.249:                              ;   in Loop: Header=BB177_35 Depth=1
	s_and_not1_saveexec_b32 s8, s1
; %bb.250:                              ;   in Loop: Header=BB177_35 Depth=1
	v_and_b32_e32 v1, 0xffff, v0
	v_or_b32_e32 v181, 0x10000, v0
	s_delay_alu instid0(VALU_DEP_2) | instskip(NEXT) | instid1(VALU_DEP_1)
	v_cmp_eq_u32_e64 s1, 0, v1
	v_cndmask_b32_e64 v181, v181, v0, s1
; %bb.251:                              ;   in Loop: Header=BB177_35 Depth=1
	s_or_b32 exec_lo, exec_lo, s8
	v_lshlrev_b32_e32 v0, 16, v182
                                        ; implicit-def: $vgpr182
	s_delay_alu instid0(VALU_DEP_1) | instskip(NEXT) | instid1(VALU_DEP_1)
	v_mul_f32_e32 v0, v117, v0
	v_and_b32_e32 v1, 0x7f800000, v0
	s_delay_alu instid0(VALU_DEP_1) | instskip(NEXT) | instid1(VALU_DEP_1)
	v_cmp_ne_u32_e64 s1, 0x7f800000, v1
	s_and_saveexec_b32 s8, s1
	s_delay_alu instid0(SALU_CYCLE_1)
	s_xor_b32 s1, exec_lo, s8
; %bb.252:                              ;   in Loop: Header=BB177_35 Depth=1
	v_bfe_u32 v1, v0, 16, 1
	s_delay_alu instid0(VALU_DEP_1)
	v_add3_u32 v182, v0, v1, 0x7fff
                                        ; implicit-def: $vgpr0
; %bb.253:                              ;   in Loop: Header=BB177_35 Depth=1
	s_and_not1_saveexec_b32 s8, s1
; %bb.254:                              ;   in Loop: Header=BB177_35 Depth=1
	v_and_b32_e32 v1, 0xffff, v0
	v_or_b32_e32 v182, 0x10000, v0
	s_delay_alu instid0(VALU_DEP_2) | instskip(NEXT) | instid1(VALU_DEP_1)
	v_cmp_eq_u32_e64 s1, 0, v1
	v_cndmask_b32_e64 v182, v182, v0, s1
; %bb.255:                              ;   in Loop: Header=BB177_35 Depth=1
	s_or_b32 exec_lo, exec_lo, s8
	v_lshlrev_b32_e32 v0, 16, v2
                                        ; implicit-def: $vgpr183
	s_delay_alu instid0(VALU_DEP_1) | instskip(NEXT) | instid1(VALU_DEP_1)
	v_mul_f32_e32 v0, v119, v0
	v_and_b32_e32 v1, 0x7f800000, v0
	s_delay_alu instid0(VALU_DEP_1) | instskip(NEXT) | instid1(VALU_DEP_1)
	v_cmp_ne_u32_e64 s1, 0x7f800000, v1
	s_and_saveexec_b32 s8, s1
	s_delay_alu instid0(SALU_CYCLE_1)
	s_xor_b32 s1, exec_lo, s8
; %bb.256:                              ;   in Loop: Header=BB177_35 Depth=1
	v_bfe_u32 v1, v0, 16, 1
	s_delay_alu instid0(VALU_DEP_1)
	v_add3_u32 v183, v0, v1, 0x7fff
                                        ; implicit-def: $vgpr0
; %bb.257:                              ;   in Loop: Header=BB177_35 Depth=1
	s_and_not1_saveexec_b32 s8, s1
; %bb.258:                              ;   in Loop: Header=BB177_35 Depth=1
	v_and_b32_e32 v1, 0xffff, v0
	v_or_b32_e32 v2, 0x10000, v0
	s_delay_alu instid0(VALU_DEP_2) | instskip(NEXT) | instid1(VALU_DEP_1)
	v_cmp_eq_u32_e64 s1, 0, v1
	v_cndmask_b32_e64 v183, v2, v0, s1
; %bb.259:                              ;   in Loop: Header=BB177_35 Depth=1
	s_or_b32 exec_lo, exec_lo, s8
	v_lshlrev_b32_e32 v0, 16, v40
                                        ; implicit-def: $vgpr40
	s_delay_alu instid0(VALU_DEP_1) | instskip(NEXT) | instid1(VALU_DEP_1)
	v_mul_f32_e32 v0, v128, v0
	v_and_b32_e32 v1, 0x7f800000, v0
	s_delay_alu instid0(VALU_DEP_1) | instskip(NEXT) | instid1(VALU_DEP_1)
	v_cmp_ne_u32_e64 s1, 0x7f800000, v1
	s_and_saveexec_b32 s8, s1
	s_delay_alu instid0(SALU_CYCLE_1)
	s_xor_b32 s1, exec_lo, s8
; %bb.260:                              ;   in Loop: Header=BB177_35 Depth=1
	v_bfe_u32 v1, v0, 16, 1
	s_delay_alu instid0(VALU_DEP_1)
	v_add3_u32 v40, v0, v1, 0x7fff
                                        ; implicit-def: $vgpr0
; %bb.261:                              ;   in Loop: Header=BB177_35 Depth=1
	s_and_not1_saveexec_b32 s8, s1
; %bb.262:                              ;   in Loop: Header=BB177_35 Depth=1
	v_and_b32_e32 v1, 0xffff, v0
	v_or_b32_e32 v2, 0x10000, v0
	s_delay_alu instid0(VALU_DEP_2) | instskip(NEXT) | instid1(VALU_DEP_1)
	v_cmp_eq_u32_e64 s1, 0, v1
	v_cndmask_b32_e64 v40, v2, v0, s1
; %bb.263:                              ;   in Loop: Header=BB177_35 Depth=1
	s_or_b32 exec_lo, exec_lo, s8
	v_lshlrev_b32_e32 v0, 16, v3
                                        ; implicit-def: $vgpr41
	s_delay_alu instid0(VALU_DEP_1) | instskip(NEXT) | instid1(VALU_DEP_1)
	v_mul_f32_e32 v0, v129, v0
	v_and_b32_e32 v1, 0x7f800000, v0
	s_delay_alu instid0(VALU_DEP_1) | instskip(NEXT) | instid1(VALU_DEP_1)
	v_cmp_ne_u32_e64 s1, 0x7f800000, v1
	s_and_saveexec_b32 s8, s1
	s_delay_alu instid0(SALU_CYCLE_1)
	s_xor_b32 s1, exec_lo, s8
; %bb.264:                              ;   in Loop: Header=BB177_35 Depth=1
	v_bfe_u32 v1, v0, 16, 1
	s_delay_alu instid0(VALU_DEP_1)
	v_add3_u32 v41, v0, v1, 0x7fff
                                        ; implicit-def: $vgpr0
; %bb.265:                              ;   in Loop: Header=BB177_35 Depth=1
	s_and_not1_saveexec_b32 s8, s1
; %bb.266:                              ;   in Loop: Header=BB177_35 Depth=1
	v_and_b32_e32 v1, 0xffff, v0
	v_or_b32_e32 v2, 0x10000, v0
	s_delay_alu instid0(VALU_DEP_2) | instskip(NEXT) | instid1(VALU_DEP_1)
	v_cmp_eq_u32_e64 s1, 0, v1
	v_cndmask_b32_e64 v41, v2, v0, s1
; %bb.267:                              ;   in Loop: Header=BB177_35 Depth=1
	s_or_b32 exec_lo, exec_lo, s8
	v_lshlrev_b32_e32 v0, 16, v42
                                        ; implicit-def: $vgpr42
	s_delay_alu instid0(VALU_DEP_1) | instskip(NEXT) | instid1(VALU_DEP_1)
	v_mul_f32_e32 v0, v130, v0
	v_and_b32_e32 v1, 0x7f800000, v0
	s_delay_alu instid0(VALU_DEP_1) | instskip(NEXT) | instid1(VALU_DEP_1)
	v_cmp_ne_u32_e64 s1, 0x7f800000, v1
	s_and_saveexec_b32 s8, s1
	s_delay_alu instid0(SALU_CYCLE_1)
	s_xor_b32 s1, exec_lo, s8
; %bb.268:                              ;   in Loop: Header=BB177_35 Depth=1
	v_bfe_u32 v1, v0, 16, 1
	s_delay_alu instid0(VALU_DEP_1)
	v_add3_u32 v42, v0, v1, 0x7fff
                                        ; implicit-def: $vgpr0
; %bb.269:                              ;   in Loop: Header=BB177_35 Depth=1
	s_and_not1_saveexec_b32 s8, s1
; %bb.270:                              ;   in Loop: Header=BB177_35 Depth=1
	v_and_b32_e32 v1, 0xffff, v0
	v_or_b32_e32 v2, 0x10000, v0
	s_delay_alu instid0(VALU_DEP_2) | instskip(NEXT) | instid1(VALU_DEP_1)
	v_cmp_eq_u32_e64 s1, 0, v1
	v_cndmask_b32_e64 v42, v2, v0, s1
; %bb.271:                              ;   in Loop: Header=BB177_35 Depth=1
	s_or_b32 exec_lo, exec_lo, s8
	flat_load_b128 v[0:3], v[6:7] offset:3072
	s_waitcnt vmcnt(0) lgkmcnt(0)
	v_lshrrev_b32_e32 v44, 16, v0
	v_lshrrev_b32_e32 v46, 16, v1
	;; [unrolled: 1-line block ×4, first 2 shown]
	s_and_saveexec_b32 s8, vcc_lo
	s_cbranch_execz .LBB177_273
; %bb.272:                              ;   in Loop: Header=BB177_35 Depth=1
	v_cmp_lt_i32_e64 s1, v96, v27
	s_delay_alu instid0(VALU_DEP_1) | instskip(SKIP_1) | instid1(VALU_DEP_1)
	v_cndmask_b32_e64 v0, 0, v0, s1
	v_cmp_lt_i32_e64 s1, v103, v27
	v_cndmask_b32_e64 v44, 0, v44, s1
	v_cmp_lt_i32_e64 s1, v101, v27
	s_delay_alu instid0(VALU_DEP_1) | instskip(SKIP_1) | instid1(VALU_DEP_1)
	v_cndmask_b32_e64 v1, 0, v1, s1
	v_cmp_lt_i32_e64 s1, v100, v27
	v_cndmask_b32_e64 v46, 0, v46, s1
	;; [unrolled: 5-line block ×4, first 2 shown]
.LBB177_273:                            ;   in Loop: Header=BB177_35 Depth=1
	s_or_b32 exec_lo, exec_lo, s8
	v_lshlrev_b32_e32 v0, 16, v0
	s_delay_alu instid0(VALU_DEP_1) | instskip(NEXT) | instid1(VALU_DEP_1)
	v_mul_f32_e32 v0, v114, v0
	v_and_b32_e32 v43, 0x7f800000, v0
	s_delay_alu instid0(VALU_DEP_1) | instskip(NEXT) | instid1(VALU_DEP_1)
	v_cmp_ne_u32_e64 s1, 0x7f800000, v43
                                        ; implicit-def: $vgpr43
	s_and_saveexec_b32 s8, s1
	s_delay_alu instid0(SALU_CYCLE_1)
	s_xor_b32 s1, exec_lo, s8
; %bb.274:                              ;   in Loop: Header=BB177_35 Depth=1
	v_bfe_u32 v43, v0, 16, 1
	s_delay_alu instid0(VALU_DEP_1)
	v_add3_u32 v43, v0, v43, 0x7fff
                                        ; implicit-def: $vgpr0
; %bb.275:                              ;   in Loop: Header=BB177_35 Depth=1
	s_and_not1_saveexec_b32 s8, s1
; %bb.276:                              ;   in Loop: Header=BB177_35 Depth=1
	v_and_b32_e32 v43, 0xffff, v0
	v_or_b32_e32 v45, 0x10000, v0
	s_delay_alu instid0(VALU_DEP_2) | instskip(NEXT) | instid1(VALU_DEP_1)
	v_cmp_eq_u32_e64 s1, 0, v43
	v_cndmask_b32_e64 v43, v45, v0, s1
; %bb.277:                              ;   in Loop: Header=BB177_35 Depth=1
	s_or_b32 exec_lo, exec_lo, s8
	v_lshlrev_b32_e32 v0, 16, v44
	s_delay_alu instid0(VALU_DEP_1) | instskip(NEXT) | instid1(VALU_DEP_1)
	v_mul_f32_e32 v0, v115, v0
	v_and_b32_e32 v44, 0x7f800000, v0
	s_delay_alu instid0(VALU_DEP_1) | instskip(NEXT) | instid1(VALU_DEP_1)
	v_cmp_ne_u32_e64 s1, 0x7f800000, v44
                                        ; implicit-def: $vgpr44
	s_and_saveexec_b32 s8, s1
	s_delay_alu instid0(SALU_CYCLE_1)
	s_xor_b32 s1, exec_lo, s8
; %bb.278:                              ;   in Loop: Header=BB177_35 Depth=1
	v_bfe_u32 v44, v0, 16, 1
	s_delay_alu instid0(VALU_DEP_1)
	v_add3_u32 v44, v0, v44, 0x7fff
                                        ; implicit-def: $vgpr0
; %bb.279:                              ;   in Loop: Header=BB177_35 Depth=1
	s_and_not1_saveexec_b32 s8, s1
; %bb.280:                              ;   in Loop: Header=BB177_35 Depth=1
	v_and_b32_e32 v44, 0xffff, v0
	v_or_b32_e32 v45, 0x10000, v0
	s_delay_alu instid0(VALU_DEP_2) | instskip(NEXT) | instid1(VALU_DEP_1)
	v_cmp_eq_u32_e64 s1, 0, v44
	v_cndmask_b32_e64 v44, v45, v0, s1
; %bb.281:                              ;   in Loop: Header=BB177_35 Depth=1
	s_or_b32 exec_lo, exec_lo, s8
	v_lshlrev_b32_e32 v0, 16, v1
                                        ; implicit-def: $vgpr45
	s_delay_alu instid0(VALU_DEP_1) | instskip(NEXT) | instid1(VALU_DEP_1)
	v_mul_f32_e32 v0, v116, v0
	v_and_b32_e32 v1, 0x7f800000, v0
	s_delay_alu instid0(VALU_DEP_1) | instskip(NEXT) | instid1(VALU_DEP_1)
	v_cmp_ne_u32_e64 s1, 0x7f800000, v1
	s_and_saveexec_b32 s8, s1
	s_delay_alu instid0(SALU_CYCLE_1)
	s_xor_b32 s1, exec_lo, s8
; %bb.282:                              ;   in Loop: Header=BB177_35 Depth=1
	v_bfe_u32 v1, v0, 16, 1
	s_delay_alu instid0(VALU_DEP_1)
	v_add3_u32 v45, v0, v1, 0x7fff
                                        ; implicit-def: $vgpr0
; %bb.283:                              ;   in Loop: Header=BB177_35 Depth=1
	s_and_not1_saveexec_b32 s8, s1
; %bb.284:                              ;   in Loop: Header=BB177_35 Depth=1
	v_and_b32_e32 v1, 0xffff, v0
	v_or_b32_e32 v45, 0x10000, v0
	s_delay_alu instid0(VALU_DEP_2) | instskip(NEXT) | instid1(VALU_DEP_1)
	v_cmp_eq_u32_e64 s1, 0, v1
	v_cndmask_b32_e64 v45, v45, v0, s1
; %bb.285:                              ;   in Loop: Header=BB177_35 Depth=1
	s_or_b32 exec_lo, exec_lo, s8
	v_lshlrev_b32_e32 v0, 16, v46
                                        ; implicit-def: $vgpr46
	s_delay_alu instid0(VALU_DEP_1) | instskip(NEXT) | instid1(VALU_DEP_1)
	v_mul_f32_e32 v0, v117, v0
	v_and_b32_e32 v1, 0x7f800000, v0
	s_delay_alu instid0(VALU_DEP_1) | instskip(NEXT) | instid1(VALU_DEP_1)
	v_cmp_ne_u32_e64 s1, 0x7f800000, v1
	s_and_saveexec_b32 s8, s1
	s_delay_alu instid0(SALU_CYCLE_1)
	s_xor_b32 s1, exec_lo, s8
; %bb.286:                              ;   in Loop: Header=BB177_35 Depth=1
	v_bfe_u32 v1, v0, 16, 1
	s_delay_alu instid0(VALU_DEP_1)
	v_add3_u32 v46, v0, v1, 0x7fff
                                        ; implicit-def: $vgpr0
; %bb.287:                              ;   in Loop: Header=BB177_35 Depth=1
	s_and_not1_saveexec_b32 s8, s1
; %bb.288:                              ;   in Loop: Header=BB177_35 Depth=1
	v_and_b32_e32 v1, 0xffff, v0
	v_or_b32_e32 v46, 0x10000, v0
	s_delay_alu instid0(VALU_DEP_2) | instskip(NEXT) | instid1(VALU_DEP_1)
	v_cmp_eq_u32_e64 s1, 0, v1
	v_cndmask_b32_e64 v46, v46, v0, s1
; %bb.289:                              ;   in Loop: Header=BB177_35 Depth=1
	s_or_b32 exec_lo, exec_lo, s8
	v_lshlrev_b32_e32 v0, 16, v2
                                        ; implicit-def: $vgpr47
	s_delay_alu instid0(VALU_DEP_1) | instskip(NEXT) | instid1(VALU_DEP_1)
	v_mul_f32_e32 v0, v119, v0
	v_and_b32_e32 v1, 0x7f800000, v0
	s_delay_alu instid0(VALU_DEP_1) | instskip(NEXT) | instid1(VALU_DEP_1)
	v_cmp_ne_u32_e64 s1, 0x7f800000, v1
	s_and_saveexec_b32 s8, s1
	s_delay_alu instid0(SALU_CYCLE_1)
	s_xor_b32 s1, exec_lo, s8
; %bb.290:                              ;   in Loop: Header=BB177_35 Depth=1
	v_bfe_u32 v1, v0, 16, 1
	s_delay_alu instid0(VALU_DEP_1)
	v_add3_u32 v47, v0, v1, 0x7fff
                                        ; implicit-def: $vgpr0
; %bb.291:                              ;   in Loop: Header=BB177_35 Depth=1
	s_and_not1_saveexec_b32 s8, s1
; %bb.292:                              ;   in Loop: Header=BB177_35 Depth=1
	v_and_b32_e32 v1, 0xffff, v0
	v_or_b32_e32 v2, 0x10000, v0
	s_delay_alu instid0(VALU_DEP_2) | instskip(NEXT) | instid1(VALU_DEP_1)
	v_cmp_eq_u32_e64 s1, 0, v1
	v_cndmask_b32_e64 v47, v2, v0, s1
; %bb.293:                              ;   in Loop: Header=BB177_35 Depth=1
	s_or_b32 exec_lo, exec_lo, s8
	v_lshlrev_b32_e32 v0, 16, v56
                                        ; implicit-def: $vgpr56
	s_delay_alu instid0(VALU_DEP_1) | instskip(NEXT) | instid1(VALU_DEP_1)
	v_mul_f32_e32 v0, v128, v0
	v_and_b32_e32 v1, 0x7f800000, v0
	s_delay_alu instid0(VALU_DEP_1) | instskip(NEXT) | instid1(VALU_DEP_1)
	v_cmp_ne_u32_e64 s1, 0x7f800000, v1
	s_and_saveexec_b32 s8, s1
	s_delay_alu instid0(SALU_CYCLE_1)
	s_xor_b32 s1, exec_lo, s8
; %bb.294:                              ;   in Loop: Header=BB177_35 Depth=1
	v_bfe_u32 v1, v0, 16, 1
	s_delay_alu instid0(VALU_DEP_1)
	v_add3_u32 v56, v0, v1, 0x7fff
                                        ; implicit-def: $vgpr0
; %bb.295:                              ;   in Loop: Header=BB177_35 Depth=1
	s_and_not1_saveexec_b32 s8, s1
; %bb.296:                              ;   in Loop: Header=BB177_35 Depth=1
	v_and_b32_e32 v1, 0xffff, v0
	v_or_b32_e32 v2, 0x10000, v0
	s_delay_alu instid0(VALU_DEP_2) | instskip(NEXT) | instid1(VALU_DEP_1)
	v_cmp_eq_u32_e64 s1, 0, v1
	v_cndmask_b32_e64 v56, v2, v0, s1
; %bb.297:                              ;   in Loop: Header=BB177_35 Depth=1
	s_or_b32 exec_lo, exec_lo, s8
	v_lshlrev_b32_e32 v0, 16, v3
                                        ; implicit-def: $vgpr57
	s_delay_alu instid0(VALU_DEP_1) | instskip(NEXT) | instid1(VALU_DEP_1)
	v_mul_f32_e32 v0, v129, v0
	v_and_b32_e32 v1, 0x7f800000, v0
	s_delay_alu instid0(VALU_DEP_1) | instskip(NEXT) | instid1(VALU_DEP_1)
	v_cmp_ne_u32_e64 s1, 0x7f800000, v1
	s_and_saveexec_b32 s8, s1
	s_delay_alu instid0(SALU_CYCLE_1)
	s_xor_b32 s1, exec_lo, s8
; %bb.298:                              ;   in Loop: Header=BB177_35 Depth=1
	v_bfe_u32 v1, v0, 16, 1
	s_delay_alu instid0(VALU_DEP_1)
	v_add3_u32 v57, v0, v1, 0x7fff
                                        ; implicit-def: $vgpr0
; %bb.299:                              ;   in Loop: Header=BB177_35 Depth=1
	s_and_not1_saveexec_b32 s8, s1
; %bb.300:                              ;   in Loop: Header=BB177_35 Depth=1
	v_and_b32_e32 v1, 0xffff, v0
	v_or_b32_e32 v2, 0x10000, v0
	s_delay_alu instid0(VALU_DEP_2) | instskip(NEXT) | instid1(VALU_DEP_1)
	v_cmp_eq_u32_e64 s1, 0, v1
	v_cndmask_b32_e64 v57, v2, v0, s1
; %bb.301:                              ;   in Loop: Header=BB177_35 Depth=1
	s_or_b32 exec_lo, exec_lo, s8
	v_lshlrev_b32_e32 v0, 16, v58
                                        ; implicit-def: $vgpr58
	s_delay_alu instid0(VALU_DEP_1) | instskip(NEXT) | instid1(VALU_DEP_1)
	v_mul_f32_e32 v0, v130, v0
	v_and_b32_e32 v1, 0x7f800000, v0
	s_delay_alu instid0(VALU_DEP_1) | instskip(NEXT) | instid1(VALU_DEP_1)
	v_cmp_ne_u32_e64 s1, 0x7f800000, v1
	s_and_saveexec_b32 s8, s1
	s_delay_alu instid0(SALU_CYCLE_1)
	s_xor_b32 s1, exec_lo, s8
; %bb.302:                              ;   in Loop: Header=BB177_35 Depth=1
	v_bfe_u32 v1, v0, 16, 1
	s_delay_alu instid0(VALU_DEP_1)
	v_add3_u32 v58, v0, v1, 0x7fff
                                        ; implicit-def: $vgpr0
; %bb.303:                              ;   in Loop: Header=BB177_35 Depth=1
	s_and_not1_saveexec_b32 s8, s1
; %bb.304:                              ;   in Loop: Header=BB177_35 Depth=1
	v_and_b32_e32 v1, 0xffff, v0
	v_or_b32_e32 v2, 0x10000, v0
	s_delay_alu instid0(VALU_DEP_2) | instskip(NEXT) | instid1(VALU_DEP_1)
	v_cmp_eq_u32_e64 s1, 0, v1
	v_cndmask_b32_e64 v58, v2, v0, s1
; %bb.305:                              ;   in Loop: Header=BB177_35 Depth=1
	s_or_b32 exec_lo, exec_lo, s8
	flat_load_b128 v[0:3], v[6:7] offset:3584
	s_waitcnt vmcnt(0) lgkmcnt(0)
	v_lshrrev_b32_e32 v7, 16, v0
	v_lshrrev_b32_e32 v60, 16, v1
	;; [unrolled: 1-line block ×4, first 2 shown]
	s_and_saveexec_b32 s8, vcc_lo
	s_cbranch_execz .LBB177_307
; %bb.306:                              ;   in Loop: Header=BB177_35 Depth=1
	v_cmp_lt_i32_e64 s1, v96, v27
	s_delay_alu instid0(VALU_DEP_1) | instskip(SKIP_1) | instid1(VALU_DEP_1)
	v_cndmask_b32_e64 v0, 0, v0, s1
	v_cmp_lt_i32_e64 s1, v103, v27
	v_cndmask_b32_e64 v7, 0, v7, s1
	v_cmp_lt_i32_e64 s1, v101, v27
	s_delay_alu instid0(VALU_DEP_1) | instskip(SKIP_1) | instid1(VALU_DEP_1)
	v_cndmask_b32_e64 v1, 0, v1, s1
	v_cmp_lt_i32_e64 s1, v100, v27
	v_cndmask_b32_e64 v60, 0, v60, s1
	;; [unrolled: 5-line block ×4, first 2 shown]
.LBB177_307:                            ;   in Loop: Header=BB177_35 Depth=1
	s_or_b32 exec_lo, exec_lo, s8
	v_lshlrev_b32_e32 v0, 16, v0
	s_delay_alu instid0(VALU_DEP_1) | instskip(NEXT) | instid1(VALU_DEP_1)
	v_mul_f32_e32 v0, v114, v0
	v_and_b32_e32 v6, 0x7f800000, v0
	s_delay_alu instid0(VALU_DEP_1) | instskip(NEXT) | instid1(VALU_DEP_1)
	v_cmp_ne_u32_e64 s1, 0x7f800000, v6
                                        ; implicit-def: $vgpr6
	s_and_saveexec_b32 s8, s1
	s_delay_alu instid0(SALU_CYCLE_1)
	s_xor_b32 s1, exec_lo, s8
; %bb.308:                              ;   in Loop: Header=BB177_35 Depth=1
	v_bfe_u32 v6, v0, 16, 1
	s_delay_alu instid0(VALU_DEP_1)
	v_add3_u32 v6, v0, v6, 0x7fff
                                        ; implicit-def: $vgpr0
; %bb.309:                              ;   in Loop: Header=BB177_35 Depth=1
	s_and_not1_saveexec_b32 s8, s1
; %bb.310:                              ;   in Loop: Header=BB177_35 Depth=1
	v_and_b32_e32 v6, 0xffff, v0
	v_or_b32_e32 v59, 0x10000, v0
	s_delay_alu instid0(VALU_DEP_2) | instskip(NEXT) | instid1(VALU_DEP_1)
	v_cmp_eq_u32_e64 s1, 0, v6
	v_cndmask_b32_e64 v6, v59, v0, s1
; %bb.311:                              ;   in Loop: Header=BB177_35 Depth=1
	s_or_b32 exec_lo, exec_lo, s8
	v_lshlrev_b32_e32 v0, 16, v7
	s_delay_alu instid0(VALU_DEP_1) | instskip(NEXT) | instid1(VALU_DEP_1)
	v_mul_f32_e32 v0, v115, v0
	v_and_b32_e32 v7, 0x7f800000, v0
	s_delay_alu instid0(VALU_DEP_1) | instskip(NEXT) | instid1(VALU_DEP_1)
	v_cmp_ne_u32_e64 s1, 0x7f800000, v7
                                        ; implicit-def: $vgpr7
	s_and_saveexec_b32 s8, s1
	s_delay_alu instid0(SALU_CYCLE_1)
	s_xor_b32 s1, exec_lo, s8
; %bb.312:                              ;   in Loop: Header=BB177_35 Depth=1
	v_bfe_u32 v7, v0, 16, 1
	s_delay_alu instid0(VALU_DEP_1)
	v_add3_u32 v7, v0, v7, 0x7fff
                                        ; implicit-def: $vgpr0
; %bb.313:                              ;   in Loop: Header=BB177_35 Depth=1
	s_and_not1_saveexec_b32 s8, s1
; %bb.314:                              ;   in Loop: Header=BB177_35 Depth=1
	v_and_b32_e32 v7, 0xffff, v0
	v_or_b32_e32 v59, 0x10000, v0
	s_delay_alu instid0(VALU_DEP_2) | instskip(NEXT) | instid1(VALU_DEP_1)
	v_cmp_eq_u32_e64 s1, 0, v7
	v_cndmask_b32_e64 v7, v59, v0, s1
; %bb.315:                              ;   in Loop: Header=BB177_35 Depth=1
	s_or_b32 exec_lo, exec_lo, s8
	v_lshlrev_b32_e32 v0, 16, v1
                                        ; implicit-def: $vgpr59
	s_delay_alu instid0(VALU_DEP_1) | instskip(NEXT) | instid1(VALU_DEP_1)
	v_mul_f32_e32 v0, v116, v0
	v_and_b32_e32 v1, 0x7f800000, v0
	s_delay_alu instid0(VALU_DEP_1) | instskip(NEXT) | instid1(VALU_DEP_1)
	v_cmp_ne_u32_e64 s1, 0x7f800000, v1
	s_and_saveexec_b32 s8, s1
	s_delay_alu instid0(SALU_CYCLE_1)
	s_xor_b32 s1, exec_lo, s8
; %bb.316:                              ;   in Loop: Header=BB177_35 Depth=1
	v_bfe_u32 v1, v0, 16, 1
	s_delay_alu instid0(VALU_DEP_1)
	v_add3_u32 v59, v0, v1, 0x7fff
                                        ; implicit-def: $vgpr0
; %bb.317:                              ;   in Loop: Header=BB177_35 Depth=1
	s_and_not1_saveexec_b32 s8, s1
; %bb.318:                              ;   in Loop: Header=BB177_35 Depth=1
	v_and_b32_e32 v1, 0xffff, v0
	v_or_b32_e32 v59, 0x10000, v0
	s_delay_alu instid0(VALU_DEP_2) | instskip(NEXT) | instid1(VALU_DEP_1)
	v_cmp_eq_u32_e64 s1, 0, v1
	v_cndmask_b32_e64 v59, v59, v0, s1
; %bb.319:                              ;   in Loop: Header=BB177_35 Depth=1
	s_or_b32 exec_lo, exec_lo, s8
	v_lshlrev_b32_e32 v0, 16, v60
                                        ; implicit-def: $vgpr60
	s_delay_alu instid0(VALU_DEP_1) | instskip(NEXT) | instid1(VALU_DEP_1)
	v_mul_f32_e32 v0, v117, v0
	v_and_b32_e32 v1, 0x7f800000, v0
	s_delay_alu instid0(VALU_DEP_1) | instskip(NEXT) | instid1(VALU_DEP_1)
	v_cmp_ne_u32_e64 s1, 0x7f800000, v1
	s_and_saveexec_b32 s8, s1
	s_delay_alu instid0(SALU_CYCLE_1)
	s_xor_b32 s1, exec_lo, s8
; %bb.320:                              ;   in Loop: Header=BB177_35 Depth=1
	v_bfe_u32 v1, v0, 16, 1
	s_delay_alu instid0(VALU_DEP_1)
	v_add3_u32 v60, v0, v1, 0x7fff
                                        ; implicit-def: $vgpr0
; %bb.321:                              ;   in Loop: Header=BB177_35 Depth=1
	s_and_not1_saveexec_b32 s8, s1
; %bb.322:                              ;   in Loop: Header=BB177_35 Depth=1
	v_and_b32_e32 v1, 0xffff, v0
	v_or_b32_e32 v60, 0x10000, v0
	s_delay_alu instid0(VALU_DEP_2) | instskip(NEXT) | instid1(VALU_DEP_1)
	v_cmp_eq_u32_e64 s1, 0, v1
	v_cndmask_b32_e64 v60, v60, v0, s1
; %bb.323:                              ;   in Loop: Header=BB177_35 Depth=1
	s_or_b32 exec_lo, exec_lo, s8
	v_lshlrev_b32_e32 v0, 16, v2
                                        ; implicit-def: $vgpr61
	s_delay_alu instid0(VALU_DEP_1) | instskip(NEXT) | instid1(VALU_DEP_1)
	v_mul_f32_e32 v0, v119, v0
	v_and_b32_e32 v1, 0x7f800000, v0
	s_delay_alu instid0(VALU_DEP_1) | instskip(NEXT) | instid1(VALU_DEP_1)
	v_cmp_ne_u32_e64 s1, 0x7f800000, v1
	s_and_saveexec_b32 s8, s1
	s_delay_alu instid0(SALU_CYCLE_1)
	s_xor_b32 s1, exec_lo, s8
; %bb.324:                              ;   in Loop: Header=BB177_35 Depth=1
	v_bfe_u32 v1, v0, 16, 1
	s_delay_alu instid0(VALU_DEP_1)
	v_add3_u32 v61, v0, v1, 0x7fff
                                        ; implicit-def: $vgpr0
; %bb.325:                              ;   in Loop: Header=BB177_35 Depth=1
	s_and_not1_saveexec_b32 s8, s1
; %bb.326:                              ;   in Loop: Header=BB177_35 Depth=1
	v_and_b32_e32 v1, 0xffff, v0
	v_or_b32_e32 v2, 0x10000, v0
	s_delay_alu instid0(VALU_DEP_2) | instskip(NEXT) | instid1(VALU_DEP_1)
	v_cmp_eq_u32_e64 s1, 0, v1
	v_cndmask_b32_e64 v61, v2, v0, s1
; %bb.327:                              ;   in Loop: Header=BB177_35 Depth=1
	s_or_b32 exec_lo, exec_lo, s8
	v_lshlrev_b32_e32 v0, 16, v62
                                        ; implicit-def: $vgpr62
	s_delay_alu instid0(VALU_DEP_1) | instskip(NEXT) | instid1(VALU_DEP_1)
	v_mul_f32_e32 v0, v128, v0
	v_and_b32_e32 v1, 0x7f800000, v0
	s_delay_alu instid0(VALU_DEP_1) | instskip(NEXT) | instid1(VALU_DEP_1)
	v_cmp_ne_u32_e64 s1, 0x7f800000, v1
	s_and_saveexec_b32 s8, s1
	s_delay_alu instid0(SALU_CYCLE_1)
	s_xor_b32 s1, exec_lo, s8
; %bb.328:                              ;   in Loop: Header=BB177_35 Depth=1
	v_bfe_u32 v1, v0, 16, 1
	s_delay_alu instid0(VALU_DEP_1)
	v_add3_u32 v62, v0, v1, 0x7fff
                                        ; implicit-def: $vgpr0
; %bb.329:                              ;   in Loop: Header=BB177_35 Depth=1
	s_and_not1_saveexec_b32 s8, s1
; %bb.330:                              ;   in Loop: Header=BB177_35 Depth=1
	v_and_b32_e32 v1, 0xffff, v0
	v_or_b32_e32 v2, 0x10000, v0
	s_delay_alu instid0(VALU_DEP_2) | instskip(NEXT) | instid1(VALU_DEP_1)
	v_cmp_eq_u32_e64 s1, 0, v1
	v_cndmask_b32_e64 v62, v2, v0, s1
; %bb.331:                              ;   in Loop: Header=BB177_35 Depth=1
	s_or_b32 exec_lo, exec_lo, s8
	v_lshlrev_b32_e32 v0, 16, v3
                                        ; implicit-def: $vgpr63
	s_delay_alu instid0(VALU_DEP_1) | instskip(NEXT) | instid1(VALU_DEP_1)
	v_mul_f32_e32 v0, v129, v0
	v_and_b32_e32 v1, 0x7f800000, v0
	s_delay_alu instid0(VALU_DEP_1) | instskip(NEXT) | instid1(VALU_DEP_1)
	v_cmp_ne_u32_e64 s1, 0x7f800000, v1
	s_and_saveexec_b32 s8, s1
	s_delay_alu instid0(SALU_CYCLE_1)
	s_xor_b32 s1, exec_lo, s8
; %bb.332:                              ;   in Loop: Header=BB177_35 Depth=1
	v_bfe_u32 v1, v0, 16, 1
	s_delay_alu instid0(VALU_DEP_1)
	v_add3_u32 v63, v0, v1, 0x7fff
                                        ; implicit-def: $vgpr0
; %bb.333:                              ;   in Loop: Header=BB177_35 Depth=1
	s_and_not1_saveexec_b32 s8, s1
; %bb.334:                              ;   in Loop: Header=BB177_35 Depth=1
	v_and_b32_e32 v1, 0xffff, v0
	v_or_b32_e32 v2, 0x10000, v0
	s_delay_alu instid0(VALU_DEP_2) | instskip(NEXT) | instid1(VALU_DEP_1)
	v_cmp_eq_u32_e64 s1, 0, v1
	v_cndmask_b32_e64 v63, v2, v0, s1
; %bb.335:                              ;   in Loop: Header=BB177_35 Depth=1
	s_or_b32 exec_lo, exec_lo, s8
	v_lshlrev_b32_e32 v0, 16, v72
                                        ; implicit-def: $vgpr72
	s_delay_alu instid0(VALU_DEP_1) | instskip(NEXT) | instid1(VALU_DEP_1)
	v_mul_f32_e32 v0, v130, v0
	v_and_b32_e32 v1, 0x7f800000, v0
	s_delay_alu instid0(VALU_DEP_1) | instskip(NEXT) | instid1(VALU_DEP_1)
	v_cmp_ne_u32_e64 s1, 0x7f800000, v1
	s_and_saveexec_b32 s8, s1
	s_delay_alu instid0(SALU_CYCLE_1)
	s_xor_b32 s1, exec_lo, s8
; %bb.336:                              ;   in Loop: Header=BB177_35 Depth=1
	v_bfe_u32 v1, v0, 16, 1
	s_delay_alu instid0(VALU_DEP_1)
	v_add3_u32 v72, v0, v1, 0x7fff
                                        ; implicit-def: $vgpr0
; %bb.337:                              ;   in Loop: Header=BB177_35 Depth=1
	s_and_not1_saveexec_b32 s8, s1
; %bb.338:                              ;   in Loop: Header=BB177_35 Depth=1
	v_and_b32_e32 v1, 0xffff, v0
	v_or_b32_e32 v2, 0x10000, v0
	s_delay_alu instid0(VALU_DEP_2) | instskip(NEXT) | instid1(VALU_DEP_1)
	v_cmp_eq_u32_e64 s1, 0, v1
	v_cndmask_b32_e64 v72, v2, v0, s1
; %bb.339:                              ;   in Loop: Header=BB177_35 Depth=1
	s_or_b32 exec_lo, exec_lo, s8
	v_add_co_u32 v0, s1, v112, v52
	s_delay_alu instid0(VALU_DEP_1)
	v_add_co_ci_u32_e64 v1, s1, 0, v113, s1
	flat_load_b128 v[0:3], v[0:1]
	s_waitcnt vmcnt(0) lgkmcnt(0)
	v_lshrrev_b32_e32 v74, 16, v0
	v_lshrrev_b32_e32 v76, 16, v1
	v_lshrrev_b32_e32 v78, 16, v2
	v_lshrrev_b32_e32 v88, 16, v3
	s_and_saveexec_b32 s8, vcc_lo
	s_cbranch_execz .LBB177_341
; %bb.340:                              ;   in Loop: Header=BB177_35 Depth=1
	v_cmp_lt_i32_e64 s1, v96, v27
	s_delay_alu instid0(VALU_DEP_1) | instskip(SKIP_1) | instid1(VALU_DEP_1)
	v_cndmask_b32_e64 v0, 0, v0, s1
	v_cmp_lt_i32_e64 s1, v103, v27
	v_cndmask_b32_e64 v74, 0, v74, s1
	v_cmp_lt_i32_e64 s1, v101, v27
	s_delay_alu instid0(VALU_DEP_1) | instskip(SKIP_1) | instid1(VALU_DEP_1)
	v_cndmask_b32_e64 v1, 0, v1, s1
	v_cmp_lt_i32_e64 s1, v100, v27
	v_cndmask_b32_e64 v76, 0, v76, s1
	;; [unrolled: 5-line block ×4, first 2 shown]
.LBB177_341:                            ;   in Loop: Header=BB177_35 Depth=1
	s_or_b32 exec_lo, exec_lo, s8
	v_lshlrev_b32_e32 v0, 16, v0
	s_delay_alu instid0(VALU_DEP_1) | instskip(NEXT) | instid1(VALU_DEP_1)
	v_mul_f32_e32 v0, v114, v0
	v_and_b32_e32 v73, 0x7f800000, v0
	s_delay_alu instid0(VALU_DEP_1) | instskip(NEXT) | instid1(VALU_DEP_1)
	v_cmp_ne_u32_e64 s1, 0x7f800000, v73
                                        ; implicit-def: $vgpr73
	s_and_saveexec_b32 s8, s1
	s_delay_alu instid0(SALU_CYCLE_1)
	s_xor_b32 s1, exec_lo, s8
; %bb.342:                              ;   in Loop: Header=BB177_35 Depth=1
	v_bfe_u32 v73, v0, 16, 1
	s_delay_alu instid0(VALU_DEP_1)
	v_add3_u32 v73, v0, v73, 0x7fff
                                        ; implicit-def: $vgpr0
; %bb.343:                              ;   in Loop: Header=BB177_35 Depth=1
	s_and_not1_saveexec_b32 s8, s1
; %bb.344:                              ;   in Loop: Header=BB177_35 Depth=1
	v_and_b32_e32 v73, 0xffff, v0
	v_or_b32_e32 v75, 0x10000, v0
	s_delay_alu instid0(VALU_DEP_2) | instskip(NEXT) | instid1(VALU_DEP_1)
	v_cmp_eq_u32_e64 s1, 0, v73
	v_cndmask_b32_e64 v73, v75, v0, s1
; %bb.345:                              ;   in Loop: Header=BB177_35 Depth=1
	s_or_b32 exec_lo, exec_lo, s8
	v_lshlrev_b32_e32 v0, 16, v74
	s_delay_alu instid0(VALU_DEP_1) | instskip(NEXT) | instid1(VALU_DEP_1)
	v_mul_f32_e32 v0, v115, v0
	v_and_b32_e32 v74, 0x7f800000, v0
	s_delay_alu instid0(VALU_DEP_1) | instskip(NEXT) | instid1(VALU_DEP_1)
	v_cmp_ne_u32_e64 s1, 0x7f800000, v74
                                        ; implicit-def: $vgpr74
	s_and_saveexec_b32 s8, s1
	s_delay_alu instid0(SALU_CYCLE_1)
	s_xor_b32 s1, exec_lo, s8
; %bb.346:                              ;   in Loop: Header=BB177_35 Depth=1
	v_bfe_u32 v74, v0, 16, 1
	s_delay_alu instid0(VALU_DEP_1)
	v_add3_u32 v74, v0, v74, 0x7fff
                                        ; implicit-def: $vgpr0
; %bb.347:                              ;   in Loop: Header=BB177_35 Depth=1
	s_and_not1_saveexec_b32 s8, s1
; %bb.348:                              ;   in Loop: Header=BB177_35 Depth=1
	v_and_b32_e32 v74, 0xffff, v0
	v_or_b32_e32 v75, 0x10000, v0
	s_delay_alu instid0(VALU_DEP_2) | instskip(NEXT) | instid1(VALU_DEP_1)
	v_cmp_eq_u32_e64 s1, 0, v74
	v_cndmask_b32_e64 v74, v75, v0, s1
; %bb.349:                              ;   in Loop: Header=BB177_35 Depth=1
	s_or_b32 exec_lo, exec_lo, s8
	v_lshlrev_b32_e32 v0, 16, v1
                                        ; implicit-def: $vgpr75
	s_delay_alu instid0(VALU_DEP_1) | instskip(NEXT) | instid1(VALU_DEP_1)
	v_mul_f32_e32 v0, v116, v0
	v_and_b32_e32 v1, 0x7f800000, v0
	s_delay_alu instid0(VALU_DEP_1) | instskip(NEXT) | instid1(VALU_DEP_1)
	v_cmp_ne_u32_e64 s1, 0x7f800000, v1
	s_and_saveexec_b32 s8, s1
	s_delay_alu instid0(SALU_CYCLE_1)
	s_xor_b32 s1, exec_lo, s8
; %bb.350:                              ;   in Loop: Header=BB177_35 Depth=1
	v_bfe_u32 v1, v0, 16, 1
	s_delay_alu instid0(VALU_DEP_1)
	v_add3_u32 v75, v0, v1, 0x7fff
                                        ; implicit-def: $vgpr0
; %bb.351:                              ;   in Loop: Header=BB177_35 Depth=1
	s_and_not1_saveexec_b32 s8, s1
; %bb.352:                              ;   in Loop: Header=BB177_35 Depth=1
	v_and_b32_e32 v1, 0xffff, v0
	v_or_b32_e32 v75, 0x10000, v0
	s_delay_alu instid0(VALU_DEP_2) | instskip(NEXT) | instid1(VALU_DEP_1)
	v_cmp_eq_u32_e64 s1, 0, v1
	v_cndmask_b32_e64 v75, v75, v0, s1
; %bb.353:                              ;   in Loop: Header=BB177_35 Depth=1
	s_or_b32 exec_lo, exec_lo, s8
	v_lshlrev_b32_e32 v0, 16, v76
                                        ; implicit-def: $vgpr76
	s_delay_alu instid0(VALU_DEP_1) | instskip(NEXT) | instid1(VALU_DEP_1)
	v_mul_f32_e32 v0, v117, v0
	v_and_b32_e32 v1, 0x7f800000, v0
	s_delay_alu instid0(VALU_DEP_1) | instskip(NEXT) | instid1(VALU_DEP_1)
	v_cmp_ne_u32_e64 s1, 0x7f800000, v1
	s_and_saveexec_b32 s8, s1
	s_delay_alu instid0(SALU_CYCLE_1)
	s_xor_b32 s1, exec_lo, s8
; %bb.354:                              ;   in Loop: Header=BB177_35 Depth=1
	v_bfe_u32 v1, v0, 16, 1
	s_delay_alu instid0(VALU_DEP_1)
	v_add3_u32 v76, v0, v1, 0x7fff
                                        ; implicit-def: $vgpr0
; %bb.355:                              ;   in Loop: Header=BB177_35 Depth=1
	s_and_not1_saveexec_b32 s8, s1
; %bb.356:                              ;   in Loop: Header=BB177_35 Depth=1
	v_and_b32_e32 v1, 0xffff, v0
	v_or_b32_e32 v76, 0x10000, v0
	s_delay_alu instid0(VALU_DEP_2) | instskip(NEXT) | instid1(VALU_DEP_1)
	v_cmp_eq_u32_e64 s1, 0, v1
	v_cndmask_b32_e64 v76, v76, v0, s1
; %bb.357:                              ;   in Loop: Header=BB177_35 Depth=1
	s_or_b32 exec_lo, exec_lo, s8
	v_lshlrev_b32_e32 v0, 16, v2
                                        ; implicit-def: $vgpr77
	s_delay_alu instid0(VALU_DEP_1) | instskip(NEXT) | instid1(VALU_DEP_1)
	v_mul_f32_e32 v0, v119, v0
	v_and_b32_e32 v1, 0x7f800000, v0
	s_delay_alu instid0(VALU_DEP_1) | instskip(NEXT) | instid1(VALU_DEP_1)
	v_cmp_ne_u32_e64 s1, 0x7f800000, v1
	s_and_saveexec_b32 s8, s1
	s_delay_alu instid0(SALU_CYCLE_1)
	s_xor_b32 s1, exec_lo, s8
; %bb.358:                              ;   in Loop: Header=BB177_35 Depth=1
	v_bfe_u32 v1, v0, 16, 1
	s_delay_alu instid0(VALU_DEP_1)
	v_add3_u32 v77, v0, v1, 0x7fff
                                        ; implicit-def: $vgpr0
; %bb.359:                              ;   in Loop: Header=BB177_35 Depth=1
	s_and_not1_saveexec_b32 s8, s1
; %bb.360:                              ;   in Loop: Header=BB177_35 Depth=1
	v_and_b32_e32 v1, 0xffff, v0
	v_or_b32_e32 v2, 0x10000, v0
	s_delay_alu instid0(VALU_DEP_2) | instskip(NEXT) | instid1(VALU_DEP_1)
	v_cmp_eq_u32_e64 s1, 0, v1
	v_cndmask_b32_e64 v77, v2, v0, s1
; %bb.361:                              ;   in Loop: Header=BB177_35 Depth=1
	s_or_b32 exec_lo, exec_lo, s8
	v_lshlrev_b32_e32 v0, 16, v78
                                        ; implicit-def: $vgpr78
	s_delay_alu instid0(VALU_DEP_1) | instskip(NEXT) | instid1(VALU_DEP_1)
	v_mul_f32_e32 v0, v128, v0
	v_and_b32_e32 v1, 0x7f800000, v0
	s_delay_alu instid0(VALU_DEP_1) | instskip(NEXT) | instid1(VALU_DEP_1)
	v_cmp_ne_u32_e64 s1, 0x7f800000, v1
	s_and_saveexec_b32 s8, s1
	s_delay_alu instid0(SALU_CYCLE_1)
	s_xor_b32 s1, exec_lo, s8
; %bb.362:                              ;   in Loop: Header=BB177_35 Depth=1
	v_bfe_u32 v1, v0, 16, 1
	s_delay_alu instid0(VALU_DEP_1)
	v_add3_u32 v78, v0, v1, 0x7fff
                                        ; implicit-def: $vgpr0
; %bb.363:                              ;   in Loop: Header=BB177_35 Depth=1
	s_and_not1_saveexec_b32 s8, s1
; %bb.364:                              ;   in Loop: Header=BB177_35 Depth=1
	v_and_b32_e32 v1, 0xffff, v0
	v_or_b32_e32 v2, 0x10000, v0
	s_delay_alu instid0(VALU_DEP_2) | instskip(NEXT) | instid1(VALU_DEP_1)
	v_cmp_eq_u32_e64 s1, 0, v1
	v_cndmask_b32_e64 v78, v2, v0, s1
; %bb.365:                              ;   in Loop: Header=BB177_35 Depth=1
	s_or_b32 exec_lo, exec_lo, s8
	v_lshlrev_b32_e32 v0, 16, v3
                                        ; implicit-def: $vgpr79
	s_delay_alu instid0(VALU_DEP_1) | instskip(NEXT) | instid1(VALU_DEP_1)
	v_mul_f32_e32 v0, v129, v0
	v_and_b32_e32 v1, 0x7f800000, v0
	s_delay_alu instid0(VALU_DEP_1) | instskip(NEXT) | instid1(VALU_DEP_1)
	v_cmp_ne_u32_e64 s1, 0x7f800000, v1
	s_and_saveexec_b32 s8, s1
	s_delay_alu instid0(SALU_CYCLE_1)
	s_xor_b32 s1, exec_lo, s8
; %bb.366:                              ;   in Loop: Header=BB177_35 Depth=1
	v_bfe_u32 v1, v0, 16, 1
	s_delay_alu instid0(VALU_DEP_1)
	v_add3_u32 v79, v0, v1, 0x7fff
                                        ; implicit-def: $vgpr0
; %bb.367:                              ;   in Loop: Header=BB177_35 Depth=1
	s_and_not1_saveexec_b32 s8, s1
; %bb.368:                              ;   in Loop: Header=BB177_35 Depth=1
	v_and_b32_e32 v1, 0xffff, v0
	v_or_b32_e32 v2, 0x10000, v0
	s_delay_alu instid0(VALU_DEP_2) | instskip(NEXT) | instid1(VALU_DEP_1)
	v_cmp_eq_u32_e64 s1, 0, v1
	v_cndmask_b32_e64 v79, v2, v0, s1
; %bb.369:                              ;   in Loop: Header=BB177_35 Depth=1
	s_or_b32 exec_lo, exec_lo, s8
	v_lshlrev_b32_e32 v0, 16, v88
                                        ; implicit-def: $vgpr88
	s_delay_alu instid0(VALU_DEP_1) | instskip(NEXT) | instid1(VALU_DEP_1)
	v_mul_f32_e32 v0, v130, v0
	v_and_b32_e32 v1, 0x7f800000, v0
	s_delay_alu instid0(VALU_DEP_1) | instskip(NEXT) | instid1(VALU_DEP_1)
	v_cmp_ne_u32_e64 s1, 0x7f800000, v1
	s_and_saveexec_b32 s8, s1
	s_delay_alu instid0(SALU_CYCLE_1)
	s_xor_b32 s1, exec_lo, s8
; %bb.370:                              ;   in Loop: Header=BB177_35 Depth=1
	v_bfe_u32 v1, v0, 16, 1
	s_delay_alu instid0(VALU_DEP_1)
	v_add3_u32 v88, v0, v1, 0x7fff
                                        ; implicit-def: $vgpr0
; %bb.371:                              ;   in Loop: Header=BB177_35 Depth=1
	s_and_not1_saveexec_b32 s8, s1
; %bb.372:                              ;   in Loop: Header=BB177_35 Depth=1
	v_and_b32_e32 v1, 0xffff, v0
	v_or_b32_e32 v2, 0x10000, v0
	s_delay_alu instid0(VALU_DEP_2) | instskip(NEXT) | instid1(VALU_DEP_1)
	v_cmp_eq_u32_e64 s1, 0, v1
	v_cndmask_b32_e64 v88, v2, v0, s1
; %bb.373:                              ;   in Loop: Header=BB177_35 Depth=1
	s_or_b32 exec_lo, exec_lo, s8
	v_add_co_u32 v0, s1, v112, v53
	s_delay_alu instid0(VALU_DEP_1)
	v_add_co_ci_u32_e64 v1, s1, 0, v113, s1
	flat_load_b128 v[0:3], v[0:1]
	s_waitcnt vmcnt(0) lgkmcnt(0)
	v_lshrrev_b32_e32 v90, 16, v0
	v_lshrrev_b32_e32 v92, 16, v1
	;; [unrolled: 1-line block ×4, first 2 shown]
	s_and_saveexec_b32 s8, vcc_lo
	s_cbranch_execz .LBB177_375
; %bb.374:                              ;   in Loop: Header=BB177_35 Depth=1
	v_cmp_lt_i32_e64 s1, v96, v27
	s_delay_alu instid0(VALU_DEP_1) | instskip(SKIP_1) | instid1(VALU_DEP_1)
	v_cndmask_b32_e64 v0, 0, v0, s1
	v_cmp_lt_i32_e64 s1, v103, v27
	v_cndmask_b32_e64 v90, 0, v90, s1
	v_cmp_lt_i32_e64 s1, v101, v27
	s_delay_alu instid0(VALU_DEP_1) | instskip(SKIP_1) | instid1(VALU_DEP_1)
	v_cndmask_b32_e64 v1, 0, v1, s1
	v_cmp_lt_i32_e64 s1, v100, v27
	v_cndmask_b32_e64 v92, 0, v92, s1
	;; [unrolled: 5-line block ×4, first 2 shown]
.LBB177_375:                            ;   in Loop: Header=BB177_35 Depth=1
	s_or_b32 exec_lo, exec_lo, s8
	v_lshlrev_b32_e32 v0, 16, v0
	s_delay_alu instid0(VALU_DEP_1) | instskip(NEXT) | instid1(VALU_DEP_1)
	v_mul_f32_e32 v0, v114, v0
	v_and_b32_e32 v89, 0x7f800000, v0
	s_delay_alu instid0(VALU_DEP_1) | instskip(NEXT) | instid1(VALU_DEP_1)
	v_cmp_ne_u32_e64 s1, 0x7f800000, v89
                                        ; implicit-def: $vgpr89
	s_and_saveexec_b32 s8, s1
	s_delay_alu instid0(SALU_CYCLE_1)
	s_xor_b32 s1, exec_lo, s8
; %bb.376:                              ;   in Loop: Header=BB177_35 Depth=1
	v_bfe_u32 v89, v0, 16, 1
	s_delay_alu instid0(VALU_DEP_1)
	v_add3_u32 v89, v0, v89, 0x7fff
                                        ; implicit-def: $vgpr0
; %bb.377:                              ;   in Loop: Header=BB177_35 Depth=1
	s_and_not1_saveexec_b32 s8, s1
; %bb.378:                              ;   in Loop: Header=BB177_35 Depth=1
	v_and_b32_e32 v89, 0xffff, v0
	v_or_b32_e32 v91, 0x10000, v0
	s_delay_alu instid0(VALU_DEP_2) | instskip(NEXT) | instid1(VALU_DEP_1)
	v_cmp_eq_u32_e64 s1, 0, v89
	v_cndmask_b32_e64 v89, v91, v0, s1
; %bb.379:                              ;   in Loop: Header=BB177_35 Depth=1
	s_or_b32 exec_lo, exec_lo, s8
	v_lshlrev_b32_e32 v0, 16, v90
	s_delay_alu instid0(VALU_DEP_1) | instskip(NEXT) | instid1(VALU_DEP_1)
	v_mul_f32_e32 v0, v115, v0
	v_and_b32_e32 v90, 0x7f800000, v0
	s_delay_alu instid0(VALU_DEP_1) | instskip(NEXT) | instid1(VALU_DEP_1)
	v_cmp_ne_u32_e64 s1, 0x7f800000, v90
                                        ; implicit-def: $vgpr90
	s_and_saveexec_b32 s8, s1
	s_delay_alu instid0(SALU_CYCLE_1)
	s_xor_b32 s1, exec_lo, s8
; %bb.380:                              ;   in Loop: Header=BB177_35 Depth=1
	v_bfe_u32 v90, v0, 16, 1
	s_delay_alu instid0(VALU_DEP_1)
	v_add3_u32 v90, v0, v90, 0x7fff
                                        ; implicit-def: $vgpr0
; %bb.381:                              ;   in Loop: Header=BB177_35 Depth=1
	s_and_not1_saveexec_b32 s8, s1
; %bb.382:                              ;   in Loop: Header=BB177_35 Depth=1
	v_and_b32_e32 v90, 0xffff, v0
	v_or_b32_e32 v91, 0x10000, v0
	s_delay_alu instid0(VALU_DEP_2) | instskip(NEXT) | instid1(VALU_DEP_1)
	v_cmp_eq_u32_e64 s1, 0, v90
	v_cndmask_b32_e64 v90, v91, v0, s1
; %bb.383:                              ;   in Loop: Header=BB177_35 Depth=1
	s_or_b32 exec_lo, exec_lo, s8
	v_lshlrev_b32_e32 v0, 16, v1
                                        ; implicit-def: $vgpr91
	s_delay_alu instid0(VALU_DEP_1) | instskip(NEXT) | instid1(VALU_DEP_1)
	v_mul_f32_e32 v0, v116, v0
	v_and_b32_e32 v1, 0x7f800000, v0
	s_delay_alu instid0(VALU_DEP_1) | instskip(NEXT) | instid1(VALU_DEP_1)
	v_cmp_ne_u32_e64 s1, 0x7f800000, v1
	s_and_saveexec_b32 s8, s1
	s_delay_alu instid0(SALU_CYCLE_1)
	s_xor_b32 s1, exec_lo, s8
; %bb.384:                              ;   in Loop: Header=BB177_35 Depth=1
	v_bfe_u32 v1, v0, 16, 1
	s_delay_alu instid0(VALU_DEP_1)
	v_add3_u32 v91, v0, v1, 0x7fff
                                        ; implicit-def: $vgpr0
; %bb.385:                              ;   in Loop: Header=BB177_35 Depth=1
	s_and_not1_saveexec_b32 s8, s1
; %bb.386:                              ;   in Loop: Header=BB177_35 Depth=1
	v_and_b32_e32 v1, 0xffff, v0
	v_or_b32_e32 v91, 0x10000, v0
	s_delay_alu instid0(VALU_DEP_2) | instskip(NEXT) | instid1(VALU_DEP_1)
	v_cmp_eq_u32_e64 s1, 0, v1
	v_cndmask_b32_e64 v91, v91, v0, s1
; %bb.387:                              ;   in Loop: Header=BB177_35 Depth=1
	s_or_b32 exec_lo, exec_lo, s8
	v_lshlrev_b32_e32 v0, 16, v92
                                        ; implicit-def: $vgpr92
	s_delay_alu instid0(VALU_DEP_1) | instskip(NEXT) | instid1(VALU_DEP_1)
	v_mul_f32_e32 v0, v117, v0
	v_and_b32_e32 v1, 0x7f800000, v0
	s_delay_alu instid0(VALU_DEP_1) | instskip(NEXT) | instid1(VALU_DEP_1)
	v_cmp_ne_u32_e64 s1, 0x7f800000, v1
	s_and_saveexec_b32 s8, s1
	s_delay_alu instid0(SALU_CYCLE_1)
	s_xor_b32 s1, exec_lo, s8
; %bb.388:                              ;   in Loop: Header=BB177_35 Depth=1
	v_bfe_u32 v1, v0, 16, 1
	s_delay_alu instid0(VALU_DEP_1)
	v_add3_u32 v92, v0, v1, 0x7fff
                                        ; implicit-def: $vgpr0
; %bb.389:                              ;   in Loop: Header=BB177_35 Depth=1
	s_and_not1_saveexec_b32 s8, s1
; %bb.390:                              ;   in Loop: Header=BB177_35 Depth=1
	v_and_b32_e32 v1, 0xffff, v0
	v_or_b32_e32 v92, 0x10000, v0
	s_delay_alu instid0(VALU_DEP_2) | instskip(NEXT) | instid1(VALU_DEP_1)
	v_cmp_eq_u32_e64 s1, 0, v1
	v_cndmask_b32_e64 v92, v92, v0, s1
; %bb.391:                              ;   in Loop: Header=BB177_35 Depth=1
	s_or_b32 exec_lo, exec_lo, s8
	v_lshlrev_b32_e32 v0, 16, v2
                                        ; implicit-def: $vgpr93
	s_delay_alu instid0(VALU_DEP_1) | instskip(NEXT) | instid1(VALU_DEP_1)
	v_mul_f32_e32 v0, v119, v0
	v_and_b32_e32 v1, 0x7f800000, v0
	s_delay_alu instid0(VALU_DEP_1) | instskip(NEXT) | instid1(VALU_DEP_1)
	v_cmp_ne_u32_e64 s1, 0x7f800000, v1
	s_and_saveexec_b32 s8, s1
	s_delay_alu instid0(SALU_CYCLE_1)
	s_xor_b32 s1, exec_lo, s8
; %bb.392:                              ;   in Loop: Header=BB177_35 Depth=1
	v_bfe_u32 v1, v0, 16, 1
	s_delay_alu instid0(VALU_DEP_1)
	v_add3_u32 v93, v0, v1, 0x7fff
                                        ; implicit-def: $vgpr0
; %bb.393:                              ;   in Loop: Header=BB177_35 Depth=1
	s_and_not1_saveexec_b32 s8, s1
; %bb.394:                              ;   in Loop: Header=BB177_35 Depth=1
	v_and_b32_e32 v1, 0xffff, v0
	v_or_b32_e32 v2, 0x10000, v0
	s_delay_alu instid0(VALU_DEP_2) | instskip(NEXT) | instid1(VALU_DEP_1)
	v_cmp_eq_u32_e64 s1, 0, v1
	v_cndmask_b32_e64 v93, v2, v0, s1
; %bb.395:                              ;   in Loop: Header=BB177_35 Depth=1
	s_or_b32 exec_lo, exec_lo, s8
	v_lshlrev_b32_e32 v0, 16, v94
                                        ; implicit-def: $vgpr94
	s_delay_alu instid0(VALU_DEP_1) | instskip(NEXT) | instid1(VALU_DEP_1)
	v_mul_f32_e32 v0, v128, v0
	v_and_b32_e32 v1, 0x7f800000, v0
	s_delay_alu instid0(VALU_DEP_1) | instskip(NEXT) | instid1(VALU_DEP_1)
	v_cmp_ne_u32_e64 s1, 0x7f800000, v1
	s_and_saveexec_b32 s8, s1
	s_delay_alu instid0(SALU_CYCLE_1)
	s_xor_b32 s1, exec_lo, s8
; %bb.396:                              ;   in Loop: Header=BB177_35 Depth=1
	v_bfe_u32 v1, v0, 16, 1
	s_delay_alu instid0(VALU_DEP_1)
	v_add3_u32 v94, v0, v1, 0x7fff
                                        ; implicit-def: $vgpr0
; %bb.397:                              ;   in Loop: Header=BB177_35 Depth=1
	s_and_not1_saveexec_b32 s8, s1
; %bb.398:                              ;   in Loop: Header=BB177_35 Depth=1
	v_and_b32_e32 v1, 0xffff, v0
	v_or_b32_e32 v2, 0x10000, v0
	s_delay_alu instid0(VALU_DEP_2) | instskip(NEXT) | instid1(VALU_DEP_1)
	v_cmp_eq_u32_e64 s1, 0, v1
	v_cndmask_b32_e64 v94, v2, v0, s1
; %bb.399:                              ;   in Loop: Header=BB177_35 Depth=1
	s_or_b32 exec_lo, exec_lo, s8
	v_lshlrev_b32_e32 v0, 16, v3
                                        ; implicit-def: $vgpr95
	s_delay_alu instid0(VALU_DEP_1) | instskip(NEXT) | instid1(VALU_DEP_1)
	v_mul_f32_e32 v0, v129, v0
	v_and_b32_e32 v1, 0x7f800000, v0
	s_delay_alu instid0(VALU_DEP_1) | instskip(NEXT) | instid1(VALU_DEP_1)
	v_cmp_ne_u32_e64 s1, 0x7f800000, v1
	s_and_saveexec_b32 s8, s1
	s_delay_alu instid0(SALU_CYCLE_1)
	s_xor_b32 s1, exec_lo, s8
; %bb.400:                              ;   in Loop: Header=BB177_35 Depth=1
	v_bfe_u32 v1, v0, 16, 1
	s_delay_alu instid0(VALU_DEP_1)
	v_add3_u32 v95, v0, v1, 0x7fff
                                        ; implicit-def: $vgpr0
; %bb.401:                              ;   in Loop: Header=BB177_35 Depth=1
	s_and_not1_saveexec_b32 s8, s1
; %bb.402:                              ;   in Loop: Header=BB177_35 Depth=1
	v_and_b32_e32 v1, 0xffff, v0
	v_or_b32_e32 v2, 0x10000, v0
	s_delay_alu instid0(VALU_DEP_2) | instskip(NEXT) | instid1(VALU_DEP_1)
	v_cmp_eq_u32_e64 s1, 0, v1
	v_cndmask_b32_e64 v95, v2, v0, s1
; %bb.403:                              ;   in Loop: Header=BB177_35 Depth=1
	s_or_b32 exec_lo, exec_lo, s8
	v_lshlrev_b32_e32 v0, 16, v104
                                        ; implicit-def: $vgpr104
	s_delay_alu instid0(VALU_DEP_1) | instskip(NEXT) | instid1(VALU_DEP_1)
	v_mul_f32_e32 v0, v130, v0
	v_and_b32_e32 v1, 0x7f800000, v0
	s_delay_alu instid0(VALU_DEP_1) | instskip(NEXT) | instid1(VALU_DEP_1)
	v_cmp_ne_u32_e64 s1, 0x7f800000, v1
	s_and_saveexec_b32 s8, s1
	s_delay_alu instid0(SALU_CYCLE_1)
	s_xor_b32 s1, exec_lo, s8
; %bb.404:                              ;   in Loop: Header=BB177_35 Depth=1
	v_bfe_u32 v1, v0, 16, 1
	s_delay_alu instid0(VALU_DEP_1)
	v_add3_u32 v104, v0, v1, 0x7fff
                                        ; implicit-def: $vgpr0
; %bb.405:                              ;   in Loop: Header=BB177_35 Depth=1
	s_and_not1_saveexec_b32 s8, s1
; %bb.406:                              ;   in Loop: Header=BB177_35 Depth=1
	v_and_b32_e32 v1, 0xffff, v0
	v_or_b32_e32 v2, 0x10000, v0
	s_delay_alu instid0(VALU_DEP_2) | instskip(NEXT) | instid1(VALU_DEP_1)
	v_cmp_eq_u32_e64 s1, 0, v1
	v_cndmask_b32_e64 v104, v2, v0, s1
; %bb.407:                              ;   in Loop: Header=BB177_35 Depth=1
	s_or_b32 exec_lo, exec_lo, s8
	v_add_co_u32 v0, s1, v112, v54
	s_delay_alu instid0(VALU_DEP_1)
	v_add_co_ci_u32_e64 v1, s1, 0, v113, s1
	flat_load_b128 v[0:3], v[0:1]
	s_waitcnt vmcnt(0) lgkmcnt(0)
	v_lshrrev_b32_e32 v106, 16, v0
	v_lshrrev_b32_e32 v108, 16, v1
	;; [unrolled: 1-line block ×4, first 2 shown]
	s_and_saveexec_b32 s8, vcc_lo
	s_cbranch_execz .LBB177_409
; %bb.408:                              ;   in Loop: Header=BB177_35 Depth=1
	v_cmp_lt_i32_e64 s1, v96, v27
	s_delay_alu instid0(VALU_DEP_1) | instskip(SKIP_1) | instid1(VALU_DEP_1)
	v_cndmask_b32_e64 v0, 0, v0, s1
	v_cmp_lt_i32_e64 s1, v103, v27
	v_cndmask_b32_e64 v106, 0, v106, s1
	v_cmp_lt_i32_e64 s1, v101, v27
	s_delay_alu instid0(VALU_DEP_1) | instskip(SKIP_1) | instid1(VALU_DEP_1)
	v_cndmask_b32_e64 v1, 0, v1, s1
	v_cmp_lt_i32_e64 s1, v100, v27
	v_cndmask_b32_e64 v108, 0, v108, s1
	;; [unrolled: 5-line block ×4, first 2 shown]
.LBB177_409:                            ;   in Loop: Header=BB177_35 Depth=1
	s_or_b32 exec_lo, exec_lo, s8
	v_lshlrev_b32_e32 v0, 16, v0
	s_delay_alu instid0(VALU_DEP_1) | instskip(NEXT) | instid1(VALU_DEP_1)
	v_mul_f32_e32 v0, v114, v0
	v_and_b32_e32 v105, 0x7f800000, v0
	s_delay_alu instid0(VALU_DEP_1) | instskip(NEXT) | instid1(VALU_DEP_1)
	v_cmp_ne_u32_e64 s1, 0x7f800000, v105
                                        ; implicit-def: $vgpr105
	s_and_saveexec_b32 s8, s1
	s_delay_alu instid0(SALU_CYCLE_1)
	s_xor_b32 s1, exec_lo, s8
; %bb.410:                              ;   in Loop: Header=BB177_35 Depth=1
	v_bfe_u32 v105, v0, 16, 1
	s_delay_alu instid0(VALU_DEP_1)
	v_add3_u32 v105, v0, v105, 0x7fff
                                        ; implicit-def: $vgpr0
; %bb.411:                              ;   in Loop: Header=BB177_35 Depth=1
	s_and_not1_saveexec_b32 s8, s1
; %bb.412:                              ;   in Loop: Header=BB177_35 Depth=1
	v_and_b32_e32 v105, 0xffff, v0
	v_or_b32_e32 v107, 0x10000, v0
	s_delay_alu instid0(VALU_DEP_2) | instskip(NEXT) | instid1(VALU_DEP_1)
	v_cmp_eq_u32_e64 s1, 0, v105
	v_cndmask_b32_e64 v105, v107, v0, s1
; %bb.413:                              ;   in Loop: Header=BB177_35 Depth=1
	s_or_b32 exec_lo, exec_lo, s8
	v_lshlrev_b32_e32 v0, 16, v106
	s_delay_alu instid0(VALU_DEP_1) | instskip(NEXT) | instid1(VALU_DEP_1)
	v_mul_f32_e32 v0, v115, v0
	v_and_b32_e32 v106, 0x7f800000, v0
	s_delay_alu instid0(VALU_DEP_1) | instskip(NEXT) | instid1(VALU_DEP_1)
	v_cmp_ne_u32_e64 s1, 0x7f800000, v106
                                        ; implicit-def: $vgpr106
	s_and_saveexec_b32 s8, s1
	s_delay_alu instid0(SALU_CYCLE_1)
	s_xor_b32 s1, exec_lo, s8
; %bb.414:                              ;   in Loop: Header=BB177_35 Depth=1
	v_bfe_u32 v106, v0, 16, 1
	s_delay_alu instid0(VALU_DEP_1)
	v_add3_u32 v106, v0, v106, 0x7fff
                                        ; implicit-def: $vgpr0
; %bb.415:                              ;   in Loop: Header=BB177_35 Depth=1
	s_and_not1_saveexec_b32 s8, s1
; %bb.416:                              ;   in Loop: Header=BB177_35 Depth=1
	v_and_b32_e32 v106, 0xffff, v0
	v_or_b32_e32 v107, 0x10000, v0
	s_delay_alu instid0(VALU_DEP_2) | instskip(NEXT) | instid1(VALU_DEP_1)
	v_cmp_eq_u32_e64 s1, 0, v106
	v_cndmask_b32_e64 v106, v107, v0, s1
; %bb.417:                              ;   in Loop: Header=BB177_35 Depth=1
	s_or_b32 exec_lo, exec_lo, s8
	v_lshlrev_b32_e32 v0, 16, v1
                                        ; implicit-def: $vgpr107
	s_delay_alu instid0(VALU_DEP_1) | instskip(NEXT) | instid1(VALU_DEP_1)
	v_mul_f32_e32 v0, v116, v0
	v_and_b32_e32 v1, 0x7f800000, v0
	s_delay_alu instid0(VALU_DEP_1) | instskip(NEXT) | instid1(VALU_DEP_1)
	v_cmp_ne_u32_e64 s1, 0x7f800000, v1
	s_and_saveexec_b32 s8, s1
	s_delay_alu instid0(SALU_CYCLE_1)
	s_xor_b32 s1, exec_lo, s8
; %bb.418:                              ;   in Loop: Header=BB177_35 Depth=1
	v_bfe_u32 v1, v0, 16, 1
	s_delay_alu instid0(VALU_DEP_1)
	v_add3_u32 v107, v0, v1, 0x7fff
                                        ; implicit-def: $vgpr0
; %bb.419:                              ;   in Loop: Header=BB177_35 Depth=1
	s_and_not1_saveexec_b32 s8, s1
; %bb.420:                              ;   in Loop: Header=BB177_35 Depth=1
	v_and_b32_e32 v1, 0xffff, v0
	v_or_b32_e32 v107, 0x10000, v0
	s_delay_alu instid0(VALU_DEP_2) | instskip(NEXT) | instid1(VALU_DEP_1)
	v_cmp_eq_u32_e64 s1, 0, v1
	v_cndmask_b32_e64 v107, v107, v0, s1
; %bb.421:                              ;   in Loop: Header=BB177_35 Depth=1
	s_or_b32 exec_lo, exec_lo, s8
	v_lshlrev_b32_e32 v0, 16, v108
                                        ; implicit-def: $vgpr108
	s_delay_alu instid0(VALU_DEP_1) | instskip(NEXT) | instid1(VALU_DEP_1)
	v_mul_f32_e32 v0, v117, v0
	v_and_b32_e32 v1, 0x7f800000, v0
	s_delay_alu instid0(VALU_DEP_1) | instskip(NEXT) | instid1(VALU_DEP_1)
	v_cmp_ne_u32_e64 s1, 0x7f800000, v1
	s_and_saveexec_b32 s8, s1
	s_delay_alu instid0(SALU_CYCLE_1)
	s_xor_b32 s1, exec_lo, s8
; %bb.422:                              ;   in Loop: Header=BB177_35 Depth=1
	v_bfe_u32 v1, v0, 16, 1
	s_delay_alu instid0(VALU_DEP_1)
	v_add3_u32 v108, v0, v1, 0x7fff
                                        ; implicit-def: $vgpr0
; %bb.423:                              ;   in Loop: Header=BB177_35 Depth=1
	s_and_not1_saveexec_b32 s8, s1
; %bb.424:                              ;   in Loop: Header=BB177_35 Depth=1
	v_and_b32_e32 v1, 0xffff, v0
	v_or_b32_e32 v108, 0x10000, v0
	s_delay_alu instid0(VALU_DEP_2) | instskip(NEXT) | instid1(VALU_DEP_1)
	v_cmp_eq_u32_e64 s1, 0, v1
	v_cndmask_b32_e64 v108, v108, v0, s1
; %bb.425:                              ;   in Loop: Header=BB177_35 Depth=1
	s_or_b32 exec_lo, exec_lo, s8
	v_lshlrev_b32_e32 v0, 16, v2
                                        ; implicit-def: $vgpr109
	s_delay_alu instid0(VALU_DEP_1) | instskip(NEXT) | instid1(VALU_DEP_1)
	v_mul_f32_e32 v0, v119, v0
	v_and_b32_e32 v1, 0x7f800000, v0
	s_delay_alu instid0(VALU_DEP_1) | instskip(NEXT) | instid1(VALU_DEP_1)
	v_cmp_ne_u32_e64 s1, 0x7f800000, v1
	s_and_saveexec_b32 s8, s1
	s_delay_alu instid0(SALU_CYCLE_1)
	s_xor_b32 s1, exec_lo, s8
; %bb.426:                              ;   in Loop: Header=BB177_35 Depth=1
	v_bfe_u32 v1, v0, 16, 1
	s_delay_alu instid0(VALU_DEP_1)
	v_add3_u32 v109, v0, v1, 0x7fff
                                        ; implicit-def: $vgpr0
; %bb.427:                              ;   in Loop: Header=BB177_35 Depth=1
	s_and_not1_saveexec_b32 s8, s1
; %bb.428:                              ;   in Loop: Header=BB177_35 Depth=1
	v_and_b32_e32 v1, 0xffff, v0
	v_or_b32_e32 v2, 0x10000, v0
	s_delay_alu instid0(VALU_DEP_2) | instskip(NEXT) | instid1(VALU_DEP_1)
	v_cmp_eq_u32_e64 s1, 0, v1
	v_cndmask_b32_e64 v109, v2, v0, s1
; %bb.429:                              ;   in Loop: Header=BB177_35 Depth=1
	s_or_b32 exec_lo, exec_lo, s8
	v_lshlrev_b32_e32 v0, 16, v110
                                        ; implicit-def: $vgpr110
	s_delay_alu instid0(VALU_DEP_1) | instskip(NEXT) | instid1(VALU_DEP_1)
	v_mul_f32_e32 v0, v128, v0
	v_and_b32_e32 v1, 0x7f800000, v0
	s_delay_alu instid0(VALU_DEP_1) | instskip(NEXT) | instid1(VALU_DEP_1)
	v_cmp_ne_u32_e64 s1, 0x7f800000, v1
	s_and_saveexec_b32 s8, s1
	s_delay_alu instid0(SALU_CYCLE_1)
	s_xor_b32 s1, exec_lo, s8
; %bb.430:                              ;   in Loop: Header=BB177_35 Depth=1
	v_bfe_u32 v1, v0, 16, 1
	s_delay_alu instid0(VALU_DEP_1)
	v_add3_u32 v110, v0, v1, 0x7fff
                                        ; implicit-def: $vgpr0
; %bb.431:                              ;   in Loop: Header=BB177_35 Depth=1
	s_and_not1_saveexec_b32 s8, s1
; %bb.432:                              ;   in Loop: Header=BB177_35 Depth=1
	v_and_b32_e32 v1, 0xffff, v0
	v_or_b32_e32 v2, 0x10000, v0
	s_delay_alu instid0(VALU_DEP_2) | instskip(NEXT) | instid1(VALU_DEP_1)
	v_cmp_eq_u32_e64 s1, 0, v1
	v_cndmask_b32_e64 v110, v2, v0, s1
; %bb.433:                              ;   in Loop: Header=BB177_35 Depth=1
	s_or_b32 exec_lo, exec_lo, s8
	v_lshlrev_b32_e32 v0, 16, v3
                                        ; implicit-def: $vgpr111
	s_delay_alu instid0(VALU_DEP_1) | instskip(NEXT) | instid1(VALU_DEP_1)
	v_mul_f32_e32 v0, v129, v0
	v_and_b32_e32 v1, 0x7f800000, v0
	s_delay_alu instid0(VALU_DEP_1) | instskip(NEXT) | instid1(VALU_DEP_1)
	v_cmp_ne_u32_e64 s1, 0x7f800000, v1
	s_and_saveexec_b32 s8, s1
	s_delay_alu instid0(SALU_CYCLE_1)
	s_xor_b32 s1, exec_lo, s8
; %bb.434:                              ;   in Loop: Header=BB177_35 Depth=1
	v_bfe_u32 v1, v0, 16, 1
	s_delay_alu instid0(VALU_DEP_1)
	v_add3_u32 v111, v0, v1, 0x7fff
                                        ; implicit-def: $vgpr0
; %bb.435:                              ;   in Loop: Header=BB177_35 Depth=1
	s_and_not1_saveexec_b32 s8, s1
; %bb.436:                              ;   in Loop: Header=BB177_35 Depth=1
	v_and_b32_e32 v1, 0xffff, v0
	v_or_b32_e32 v2, 0x10000, v0
	s_delay_alu instid0(VALU_DEP_2) | instskip(NEXT) | instid1(VALU_DEP_1)
	v_cmp_eq_u32_e64 s1, 0, v1
	v_cndmask_b32_e64 v111, v2, v0, s1
; %bb.437:                              ;   in Loop: Header=BB177_35 Depth=1
	s_or_b32 exec_lo, exec_lo, s8
	v_lshlrev_b32_e32 v0, 16, v120
                                        ; implicit-def: $vgpr120
	s_delay_alu instid0(VALU_DEP_1) | instskip(NEXT) | instid1(VALU_DEP_1)
	v_mul_f32_e32 v0, v130, v0
	v_and_b32_e32 v1, 0x7f800000, v0
	s_delay_alu instid0(VALU_DEP_1) | instskip(NEXT) | instid1(VALU_DEP_1)
	v_cmp_ne_u32_e64 s1, 0x7f800000, v1
	s_and_saveexec_b32 s8, s1
	s_delay_alu instid0(SALU_CYCLE_1)
	s_xor_b32 s1, exec_lo, s8
; %bb.438:                              ;   in Loop: Header=BB177_35 Depth=1
	v_bfe_u32 v1, v0, 16, 1
	s_delay_alu instid0(VALU_DEP_1)
	v_add3_u32 v120, v0, v1, 0x7fff
                                        ; implicit-def: $vgpr0
; %bb.439:                              ;   in Loop: Header=BB177_35 Depth=1
	s_and_not1_saveexec_b32 s8, s1
; %bb.440:                              ;   in Loop: Header=BB177_35 Depth=1
	v_and_b32_e32 v1, 0xffff, v0
	v_or_b32_e32 v2, 0x10000, v0
	s_delay_alu instid0(VALU_DEP_2) | instskip(NEXT) | instid1(VALU_DEP_1)
	v_cmp_eq_u32_e64 s1, 0, v1
	v_cndmask_b32_e64 v120, v2, v0, s1
; %bb.441:                              ;   in Loop: Header=BB177_35 Depth=1
	s_or_b32 exec_lo, exec_lo, s8
	v_add_co_u32 v0, s1, v112, v55
	s_delay_alu instid0(VALU_DEP_1)
	v_add_co_ci_u32_e64 v1, s1, 0, v113, s1
	flat_load_b128 v[0:3], v[0:1]
	s_waitcnt vmcnt(0) lgkmcnt(0)
	v_lshrrev_b32_e32 v122, 16, v0
	v_lshrrev_b32_e32 v124, 16, v1
	;; [unrolled: 1-line block ×4, first 2 shown]
	s_and_saveexec_b32 s8, vcc_lo
	s_cbranch_execz .LBB177_443
; %bb.442:                              ;   in Loop: Header=BB177_35 Depth=1
	v_cmp_lt_i32_e64 s1, v96, v27
	s_delay_alu instid0(VALU_DEP_1) | instskip(SKIP_1) | instid1(VALU_DEP_1)
	v_cndmask_b32_e64 v0, 0, v0, s1
	v_cmp_lt_i32_e64 s1, v103, v27
	v_cndmask_b32_e64 v122, 0, v122, s1
	v_cmp_lt_i32_e64 s1, v101, v27
	s_delay_alu instid0(VALU_DEP_1) | instskip(SKIP_1) | instid1(VALU_DEP_1)
	v_cndmask_b32_e64 v1, 0, v1, s1
	v_cmp_lt_i32_e64 s1, v100, v27
	v_cndmask_b32_e64 v124, 0, v124, s1
	;; [unrolled: 5-line block ×4, first 2 shown]
.LBB177_443:                            ;   in Loop: Header=BB177_35 Depth=1
	s_or_b32 exec_lo, exec_lo, s8
	v_lshlrev_b32_e32 v0, 16, v0
	s_delay_alu instid0(VALU_DEP_1) | instskip(NEXT) | instid1(VALU_DEP_1)
	v_mul_f32_e32 v0, v114, v0
	v_and_b32_e32 v121, 0x7f800000, v0
	s_delay_alu instid0(VALU_DEP_1) | instskip(NEXT) | instid1(VALU_DEP_1)
	v_cmp_ne_u32_e64 s1, 0x7f800000, v121
                                        ; implicit-def: $vgpr121
	s_and_saveexec_b32 s8, s1
	s_delay_alu instid0(SALU_CYCLE_1)
	s_xor_b32 s1, exec_lo, s8
; %bb.444:                              ;   in Loop: Header=BB177_35 Depth=1
	v_bfe_u32 v121, v0, 16, 1
	s_delay_alu instid0(VALU_DEP_1)
	v_add3_u32 v121, v0, v121, 0x7fff
                                        ; implicit-def: $vgpr0
; %bb.445:                              ;   in Loop: Header=BB177_35 Depth=1
	s_and_not1_saveexec_b32 s8, s1
; %bb.446:                              ;   in Loop: Header=BB177_35 Depth=1
	v_and_b32_e32 v121, 0xffff, v0
	v_or_b32_e32 v123, 0x10000, v0
	s_delay_alu instid0(VALU_DEP_2) | instskip(NEXT) | instid1(VALU_DEP_1)
	v_cmp_eq_u32_e64 s1, 0, v121
	v_cndmask_b32_e64 v121, v123, v0, s1
; %bb.447:                              ;   in Loop: Header=BB177_35 Depth=1
	s_or_b32 exec_lo, exec_lo, s8
	v_lshlrev_b32_e32 v0, 16, v122
	s_delay_alu instid0(VALU_DEP_1) | instskip(NEXT) | instid1(VALU_DEP_1)
	v_mul_f32_e32 v0, v115, v0
	v_and_b32_e32 v122, 0x7f800000, v0
	s_delay_alu instid0(VALU_DEP_1) | instskip(NEXT) | instid1(VALU_DEP_1)
	v_cmp_ne_u32_e64 s1, 0x7f800000, v122
                                        ; implicit-def: $vgpr122
	s_and_saveexec_b32 s8, s1
	s_delay_alu instid0(SALU_CYCLE_1)
	s_xor_b32 s1, exec_lo, s8
; %bb.448:                              ;   in Loop: Header=BB177_35 Depth=1
	v_bfe_u32 v122, v0, 16, 1
	s_delay_alu instid0(VALU_DEP_1)
	v_add3_u32 v122, v0, v122, 0x7fff
                                        ; implicit-def: $vgpr0
; %bb.449:                              ;   in Loop: Header=BB177_35 Depth=1
	s_and_not1_saveexec_b32 s8, s1
; %bb.450:                              ;   in Loop: Header=BB177_35 Depth=1
	v_and_b32_e32 v122, 0xffff, v0
	v_or_b32_e32 v123, 0x10000, v0
	s_delay_alu instid0(VALU_DEP_2) | instskip(NEXT) | instid1(VALU_DEP_1)
	v_cmp_eq_u32_e64 s1, 0, v122
	v_cndmask_b32_e64 v122, v123, v0, s1
; %bb.451:                              ;   in Loop: Header=BB177_35 Depth=1
	s_or_b32 exec_lo, exec_lo, s8
	v_lshlrev_b32_e32 v0, 16, v1
                                        ; implicit-def: $vgpr123
	s_delay_alu instid0(VALU_DEP_1) | instskip(NEXT) | instid1(VALU_DEP_1)
	v_mul_f32_e32 v0, v116, v0
	v_and_b32_e32 v1, 0x7f800000, v0
	s_delay_alu instid0(VALU_DEP_1) | instskip(NEXT) | instid1(VALU_DEP_1)
	v_cmp_ne_u32_e64 s1, 0x7f800000, v1
	s_and_saveexec_b32 s8, s1
	s_delay_alu instid0(SALU_CYCLE_1)
	s_xor_b32 s1, exec_lo, s8
; %bb.452:                              ;   in Loop: Header=BB177_35 Depth=1
	v_bfe_u32 v1, v0, 16, 1
	s_delay_alu instid0(VALU_DEP_1)
	v_add3_u32 v123, v0, v1, 0x7fff
                                        ; implicit-def: $vgpr0
; %bb.453:                              ;   in Loop: Header=BB177_35 Depth=1
	s_and_not1_saveexec_b32 s8, s1
; %bb.454:                              ;   in Loop: Header=BB177_35 Depth=1
	v_and_b32_e32 v1, 0xffff, v0
	v_or_b32_e32 v123, 0x10000, v0
	s_delay_alu instid0(VALU_DEP_2) | instskip(NEXT) | instid1(VALU_DEP_1)
	v_cmp_eq_u32_e64 s1, 0, v1
	v_cndmask_b32_e64 v123, v123, v0, s1
; %bb.455:                              ;   in Loop: Header=BB177_35 Depth=1
	s_or_b32 exec_lo, exec_lo, s8
	v_lshlrev_b32_e32 v0, 16, v124
                                        ; implicit-def: $vgpr124
	s_delay_alu instid0(VALU_DEP_1) | instskip(NEXT) | instid1(VALU_DEP_1)
	v_mul_f32_e32 v0, v117, v0
	v_and_b32_e32 v1, 0x7f800000, v0
	s_delay_alu instid0(VALU_DEP_1) | instskip(NEXT) | instid1(VALU_DEP_1)
	v_cmp_ne_u32_e64 s1, 0x7f800000, v1
	s_and_saveexec_b32 s8, s1
	s_delay_alu instid0(SALU_CYCLE_1)
	s_xor_b32 s1, exec_lo, s8
; %bb.456:                              ;   in Loop: Header=BB177_35 Depth=1
	v_bfe_u32 v1, v0, 16, 1
	s_delay_alu instid0(VALU_DEP_1)
	v_add3_u32 v124, v0, v1, 0x7fff
                                        ; implicit-def: $vgpr0
; %bb.457:                              ;   in Loop: Header=BB177_35 Depth=1
	s_and_not1_saveexec_b32 s8, s1
; %bb.458:                              ;   in Loop: Header=BB177_35 Depth=1
	v_and_b32_e32 v1, 0xffff, v0
	v_or_b32_e32 v124, 0x10000, v0
	s_delay_alu instid0(VALU_DEP_2) | instskip(NEXT) | instid1(VALU_DEP_1)
	v_cmp_eq_u32_e64 s1, 0, v1
	v_cndmask_b32_e64 v124, v124, v0, s1
; %bb.459:                              ;   in Loop: Header=BB177_35 Depth=1
	s_or_b32 exec_lo, exec_lo, s8
	v_lshlrev_b32_e32 v0, 16, v2
                                        ; implicit-def: $vgpr125
	s_delay_alu instid0(VALU_DEP_1) | instskip(NEXT) | instid1(VALU_DEP_1)
	v_mul_f32_e32 v0, v119, v0
	v_and_b32_e32 v1, 0x7f800000, v0
	s_delay_alu instid0(VALU_DEP_1) | instskip(NEXT) | instid1(VALU_DEP_1)
	v_cmp_ne_u32_e64 s1, 0x7f800000, v1
	s_and_saveexec_b32 s8, s1
	s_delay_alu instid0(SALU_CYCLE_1)
	s_xor_b32 s1, exec_lo, s8
; %bb.460:                              ;   in Loop: Header=BB177_35 Depth=1
	v_bfe_u32 v1, v0, 16, 1
	s_delay_alu instid0(VALU_DEP_1)
	v_add3_u32 v125, v0, v1, 0x7fff
                                        ; implicit-def: $vgpr0
; %bb.461:                              ;   in Loop: Header=BB177_35 Depth=1
	s_and_not1_saveexec_b32 s8, s1
; %bb.462:                              ;   in Loop: Header=BB177_35 Depth=1
	v_and_b32_e32 v1, 0xffff, v0
	v_or_b32_e32 v2, 0x10000, v0
	s_delay_alu instid0(VALU_DEP_2) | instskip(NEXT) | instid1(VALU_DEP_1)
	v_cmp_eq_u32_e64 s1, 0, v1
	v_cndmask_b32_e64 v125, v2, v0, s1
; %bb.463:                              ;   in Loop: Header=BB177_35 Depth=1
	s_or_b32 exec_lo, exec_lo, s8
	v_lshlrev_b32_e32 v0, 16, v126
                                        ; implicit-def: $vgpr126
	s_delay_alu instid0(VALU_DEP_1) | instskip(NEXT) | instid1(VALU_DEP_1)
	v_mul_f32_e32 v0, v128, v0
	v_and_b32_e32 v1, 0x7f800000, v0
	s_delay_alu instid0(VALU_DEP_1) | instskip(NEXT) | instid1(VALU_DEP_1)
	v_cmp_ne_u32_e64 s1, 0x7f800000, v1
	s_and_saveexec_b32 s8, s1
	s_delay_alu instid0(SALU_CYCLE_1)
	s_xor_b32 s1, exec_lo, s8
; %bb.464:                              ;   in Loop: Header=BB177_35 Depth=1
	v_bfe_u32 v1, v0, 16, 1
	s_delay_alu instid0(VALU_DEP_1)
	v_add3_u32 v126, v0, v1, 0x7fff
                                        ; implicit-def: $vgpr0
; %bb.465:                              ;   in Loop: Header=BB177_35 Depth=1
	s_and_not1_saveexec_b32 s8, s1
; %bb.466:                              ;   in Loop: Header=BB177_35 Depth=1
	v_and_b32_e32 v1, 0xffff, v0
	v_or_b32_e32 v2, 0x10000, v0
	s_delay_alu instid0(VALU_DEP_2) | instskip(NEXT) | instid1(VALU_DEP_1)
	v_cmp_eq_u32_e64 s1, 0, v1
	v_cndmask_b32_e64 v126, v2, v0, s1
; %bb.467:                              ;   in Loop: Header=BB177_35 Depth=1
	s_or_b32 exec_lo, exec_lo, s8
	v_lshlrev_b32_e32 v0, 16, v3
                                        ; implicit-def: $vgpr127
	s_delay_alu instid0(VALU_DEP_1) | instskip(NEXT) | instid1(VALU_DEP_1)
	v_mul_f32_e32 v0, v129, v0
	v_and_b32_e32 v1, 0x7f800000, v0
	s_delay_alu instid0(VALU_DEP_1) | instskip(NEXT) | instid1(VALU_DEP_1)
	v_cmp_ne_u32_e64 s1, 0x7f800000, v1
	s_and_saveexec_b32 s8, s1
	s_delay_alu instid0(SALU_CYCLE_1)
	s_xor_b32 s1, exec_lo, s8
; %bb.468:                              ;   in Loop: Header=BB177_35 Depth=1
	v_bfe_u32 v1, v0, 16, 1
	s_delay_alu instid0(VALU_DEP_1)
	v_add3_u32 v127, v0, v1, 0x7fff
                                        ; implicit-def: $vgpr0
; %bb.469:                              ;   in Loop: Header=BB177_35 Depth=1
	s_and_not1_saveexec_b32 s8, s1
; %bb.470:                              ;   in Loop: Header=BB177_35 Depth=1
	v_and_b32_e32 v1, 0xffff, v0
	v_or_b32_e32 v2, 0x10000, v0
	s_delay_alu instid0(VALU_DEP_2) | instskip(NEXT) | instid1(VALU_DEP_1)
	v_cmp_eq_u32_e64 s1, 0, v1
	v_cndmask_b32_e64 v127, v2, v0, s1
; %bb.471:                              ;   in Loop: Header=BB177_35 Depth=1
	s_or_b32 exec_lo, exec_lo, s8
	v_lshlrev_b32_e32 v0, 16, v136
                                        ; implicit-def: $vgpr136
	s_delay_alu instid0(VALU_DEP_1) | instskip(NEXT) | instid1(VALU_DEP_1)
	v_mul_f32_e32 v0, v130, v0
	v_and_b32_e32 v1, 0x7f800000, v0
	s_delay_alu instid0(VALU_DEP_1) | instskip(NEXT) | instid1(VALU_DEP_1)
	v_cmp_ne_u32_e64 s1, 0x7f800000, v1
	s_and_saveexec_b32 s8, s1
	s_delay_alu instid0(SALU_CYCLE_1)
	s_xor_b32 s1, exec_lo, s8
; %bb.472:                              ;   in Loop: Header=BB177_35 Depth=1
	v_bfe_u32 v1, v0, 16, 1
	s_delay_alu instid0(VALU_DEP_1)
	v_add3_u32 v136, v0, v1, 0x7fff
                                        ; implicit-def: $vgpr0
; %bb.473:                              ;   in Loop: Header=BB177_35 Depth=1
	s_and_not1_saveexec_b32 s8, s1
; %bb.474:                              ;   in Loop: Header=BB177_35 Depth=1
	v_and_b32_e32 v1, 0xffff, v0
	v_or_b32_e32 v2, 0x10000, v0
	s_delay_alu instid0(VALU_DEP_2) | instskip(NEXT) | instid1(VALU_DEP_1)
	v_cmp_eq_u32_e64 s1, 0, v1
	v_cndmask_b32_e64 v136, v2, v0, s1
; %bb.475:                              ;   in Loop: Header=BB177_35 Depth=1
	s_or_b32 exec_lo, exec_lo, s8
	v_add_co_u32 v0, s1, v112, v64
	s_delay_alu instid0(VALU_DEP_1)
	v_add_co_ci_u32_e64 v1, s1, 0, v113, s1
	flat_load_b128 v[0:3], v[0:1]
	s_waitcnt vmcnt(0) lgkmcnt(0)
	v_lshrrev_b32_e32 v138, 16, v0
	v_lshrrev_b32_e32 v140, 16, v1
	;; [unrolled: 1-line block ×4, first 2 shown]
	s_and_saveexec_b32 s8, vcc_lo
	s_cbranch_execz .LBB177_477
; %bb.476:                              ;   in Loop: Header=BB177_35 Depth=1
	v_cmp_lt_i32_e64 s1, v96, v27
	s_delay_alu instid0(VALU_DEP_1) | instskip(SKIP_1) | instid1(VALU_DEP_1)
	v_cndmask_b32_e64 v0, 0, v0, s1
	v_cmp_lt_i32_e64 s1, v103, v27
	v_cndmask_b32_e64 v138, 0, v138, s1
	v_cmp_lt_i32_e64 s1, v101, v27
	s_delay_alu instid0(VALU_DEP_1) | instskip(SKIP_1) | instid1(VALU_DEP_1)
	v_cndmask_b32_e64 v1, 0, v1, s1
	v_cmp_lt_i32_e64 s1, v100, v27
	v_cndmask_b32_e64 v140, 0, v140, s1
	;; [unrolled: 5-line block ×4, first 2 shown]
.LBB177_477:                            ;   in Loop: Header=BB177_35 Depth=1
	s_or_b32 exec_lo, exec_lo, s8
	v_lshlrev_b32_e32 v0, 16, v0
	s_delay_alu instid0(VALU_DEP_1) | instskip(NEXT) | instid1(VALU_DEP_1)
	v_mul_f32_e32 v0, v114, v0
	v_and_b32_e32 v137, 0x7f800000, v0
	s_delay_alu instid0(VALU_DEP_1) | instskip(NEXT) | instid1(VALU_DEP_1)
	v_cmp_ne_u32_e64 s1, 0x7f800000, v137
                                        ; implicit-def: $vgpr137
	s_and_saveexec_b32 s8, s1
	s_delay_alu instid0(SALU_CYCLE_1)
	s_xor_b32 s1, exec_lo, s8
; %bb.478:                              ;   in Loop: Header=BB177_35 Depth=1
	v_bfe_u32 v137, v0, 16, 1
	s_delay_alu instid0(VALU_DEP_1)
	v_add3_u32 v137, v0, v137, 0x7fff
                                        ; implicit-def: $vgpr0
; %bb.479:                              ;   in Loop: Header=BB177_35 Depth=1
	s_and_not1_saveexec_b32 s8, s1
; %bb.480:                              ;   in Loop: Header=BB177_35 Depth=1
	v_and_b32_e32 v137, 0xffff, v0
	v_or_b32_e32 v139, 0x10000, v0
	s_delay_alu instid0(VALU_DEP_2) | instskip(NEXT) | instid1(VALU_DEP_1)
	v_cmp_eq_u32_e64 s1, 0, v137
	v_cndmask_b32_e64 v137, v139, v0, s1
; %bb.481:                              ;   in Loop: Header=BB177_35 Depth=1
	s_or_b32 exec_lo, exec_lo, s8
	v_lshlrev_b32_e32 v0, 16, v138
	s_delay_alu instid0(VALU_DEP_1) | instskip(NEXT) | instid1(VALU_DEP_1)
	v_mul_f32_e32 v0, v115, v0
	v_and_b32_e32 v138, 0x7f800000, v0
	s_delay_alu instid0(VALU_DEP_1) | instskip(NEXT) | instid1(VALU_DEP_1)
	v_cmp_ne_u32_e64 s1, 0x7f800000, v138
                                        ; implicit-def: $vgpr138
	s_and_saveexec_b32 s8, s1
	s_delay_alu instid0(SALU_CYCLE_1)
	s_xor_b32 s1, exec_lo, s8
; %bb.482:                              ;   in Loop: Header=BB177_35 Depth=1
	v_bfe_u32 v138, v0, 16, 1
	s_delay_alu instid0(VALU_DEP_1)
	v_add3_u32 v138, v0, v138, 0x7fff
                                        ; implicit-def: $vgpr0
; %bb.483:                              ;   in Loop: Header=BB177_35 Depth=1
	s_and_not1_saveexec_b32 s8, s1
; %bb.484:                              ;   in Loop: Header=BB177_35 Depth=1
	v_and_b32_e32 v138, 0xffff, v0
	v_or_b32_e32 v139, 0x10000, v0
	s_delay_alu instid0(VALU_DEP_2) | instskip(NEXT) | instid1(VALU_DEP_1)
	v_cmp_eq_u32_e64 s1, 0, v138
	v_cndmask_b32_e64 v138, v139, v0, s1
; %bb.485:                              ;   in Loop: Header=BB177_35 Depth=1
	s_or_b32 exec_lo, exec_lo, s8
	v_lshlrev_b32_e32 v0, 16, v1
                                        ; implicit-def: $vgpr139
	s_delay_alu instid0(VALU_DEP_1) | instskip(NEXT) | instid1(VALU_DEP_1)
	v_mul_f32_e32 v0, v116, v0
	v_and_b32_e32 v1, 0x7f800000, v0
	s_delay_alu instid0(VALU_DEP_1) | instskip(NEXT) | instid1(VALU_DEP_1)
	v_cmp_ne_u32_e64 s1, 0x7f800000, v1
	s_and_saveexec_b32 s8, s1
	s_delay_alu instid0(SALU_CYCLE_1)
	s_xor_b32 s1, exec_lo, s8
; %bb.486:                              ;   in Loop: Header=BB177_35 Depth=1
	v_bfe_u32 v1, v0, 16, 1
	s_delay_alu instid0(VALU_DEP_1)
	v_add3_u32 v139, v0, v1, 0x7fff
                                        ; implicit-def: $vgpr0
; %bb.487:                              ;   in Loop: Header=BB177_35 Depth=1
	s_and_not1_saveexec_b32 s8, s1
; %bb.488:                              ;   in Loop: Header=BB177_35 Depth=1
	v_and_b32_e32 v1, 0xffff, v0
	v_or_b32_e32 v139, 0x10000, v0
	s_delay_alu instid0(VALU_DEP_2) | instskip(NEXT) | instid1(VALU_DEP_1)
	v_cmp_eq_u32_e64 s1, 0, v1
	v_cndmask_b32_e64 v139, v139, v0, s1
; %bb.489:                              ;   in Loop: Header=BB177_35 Depth=1
	s_or_b32 exec_lo, exec_lo, s8
	v_lshlrev_b32_e32 v0, 16, v140
                                        ; implicit-def: $vgpr140
	s_delay_alu instid0(VALU_DEP_1) | instskip(NEXT) | instid1(VALU_DEP_1)
	v_mul_f32_e32 v0, v117, v0
	v_and_b32_e32 v1, 0x7f800000, v0
	s_delay_alu instid0(VALU_DEP_1) | instskip(NEXT) | instid1(VALU_DEP_1)
	v_cmp_ne_u32_e64 s1, 0x7f800000, v1
	s_and_saveexec_b32 s8, s1
	s_delay_alu instid0(SALU_CYCLE_1)
	s_xor_b32 s1, exec_lo, s8
; %bb.490:                              ;   in Loop: Header=BB177_35 Depth=1
	v_bfe_u32 v1, v0, 16, 1
	s_delay_alu instid0(VALU_DEP_1)
	v_add3_u32 v140, v0, v1, 0x7fff
                                        ; implicit-def: $vgpr0
; %bb.491:                              ;   in Loop: Header=BB177_35 Depth=1
	s_and_not1_saveexec_b32 s8, s1
; %bb.492:                              ;   in Loop: Header=BB177_35 Depth=1
	v_and_b32_e32 v1, 0xffff, v0
	v_or_b32_e32 v140, 0x10000, v0
	s_delay_alu instid0(VALU_DEP_2) | instskip(NEXT) | instid1(VALU_DEP_1)
	v_cmp_eq_u32_e64 s1, 0, v1
	v_cndmask_b32_e64 v140, v140, v0, s1
; %bb.493:                              ;   in Loop: Header=BB177_35 Depth=1
	s_or_b32 exec_lo, exec_lo, s8
	v_lshlrev_b32_e32 v0, 16, v2
                                        ; implicit-def: $vgpr141
	s_delay_alu instid0(VALU_DEP_1) | instskip(NEXT) | instid1(VALU_DEP_1)
	v_mul_f32_e32 v0, v119, v0
	v_and_b32_e32 v1, 0x7f800000, v0
	s_delay_alu instid0(VALU_DEP_1) | instskip(NEXT) | instid1(VALU_DEP_1)
	v_cmp_ne_u32_e64 s1, 0x7f800000, v1
	s_and_saveexec_b32 s8, s1
	s_delay_alu instid0(SALU_CYCLE_1)
	s_xor_b32 s1, exec_lo, s8
; %bb.494:                              ;   in Loop: Header=BB177_35 Depth=1
	v_bfe_u32 v1, v0, 16, 1
	s_delay_alu instid0(VALU_DEP_1)
	v_add3_u32 v141, v0, v1, 0x7fff
                                        ; implicit-def: $vgpr0
; %bb.495:                              ;   in Loop: Header=BB177_35 Depth=1
	s_and_not1_saveexec_b32 s8, s1
; %bb.496:                              ;   in Loop: Header=BB177_35 Depth=1
	v_and_b32_e32 v1, 0xffff, v0
	v_or_b32_e32 v2, 0x10000, v0
	s_delay_alu instid0(VALU_DEP_2) | instskip(NEXT) | instid1(VALU_DEP_1)
	v_cmp_eq_u32_e64 s1, 0, v1
	v_cndmask_b32_e64 v141, v2, v0, s1
; %bb.497:                              ;   in Loop: Header=BB177_35 Depth=1
	s_or_b32 exec_lo, exec_lo, s8
	v_lshlrev_b32_e32 v0, 16, v142
                                        ; implicit-def: $vgpr142
	s_delay_alu instid0(VALU_DEP_1) | instskip(NEXT) | instid1(VALU_DEP_1)
	v_mul_f32_e32 v0, v128, v0
	v_and_b32_e32 v1, 0x7f800000, v0
	s_delay_alu instid0(VALU_DEP_1) | instskip(NEXT) | instid1(VALU_DEP_1)
	v_cmp_ne_u32_e64 s1, 0x7f800000, v1
	s_and_saveexec_b32 s8, s1
	s_delay_alu instid0(SALU_CYCLE_1)
	s_xor_b32 s1, exec_lo, s8
; %bb.498:                              ;   in Loop: Header=BB177_35 Depth=1
	v_bfe_u32 v1, v0, 16, 1
	s_delay_alu instid0(VALU_DEP_1)
	v_add3_u32 v142, v0, v1, 0x7fff
                                        ; implicit-def: $vgpr0
; %bb.499:                              ;   in Loop: Header=BB177_35 Depth=1
	s_and_not1_saveexec_b32 s8, s1
; %bb.500:                              ;   in Loop: Header=BB177_35 Depth=1
	v_and_b32_e32 v1, 0xffff, v0
	v_or_b32_e32 v2, 0x10000, v0
	s_delay_alu instid0(VALU_DEP_2) | instskip(NEXT) | instid1(VALU_DEP_1)
	v_cmp_eq_u32_e64 s1, 0, v1
	v_cndmask_b32_e64 v142, v2, v0, s1
; %bb.501:                              ;   in Loop: Header=BB177_35 Depth=1
	s_or_b32 exec_lo, exec_lo, s8
	v_lshlrev_b32_e32 v0, 16, v3
                                        ; implicit-def: $vgpr143
	s_delay_alu instid0(VALU_DEP_1) | instskip(NEXT) | instid1(VALU_DEP_1)
	v_mul_f32_e32 v0, v129, v0
	v_and_b32_e32 v1, 0x7f800000, v0
	s_delay_alu instid0(VALU_DEP_1) | instskip(NEXT) | instid1(VALU_DEP_1)
	v_cmp_ne_u32_e64 s1, 0x7f800000, v1
	s_and_saveexec_b32 s8, s1
	s_delay_alu instid0(SALU_CYCLE_1)
	s_xor_b32 s1, exec_lo, s8
; %bb.502:                              ;   in Loop: Header=BB177_35 Depth=1
	v_bfe_u32 v1, v0, 16, 1
	s_delay_alu instid0(VALU_DEP_1)
	v_add3_u32 v143, v0, v1, 0x7fff
                                        ; implicit-def: $vgpr0
; %bb.503:                              ;   in Loop: Header=BB177_35 Depth=1
	s_and_not1_saveexec_b32 s8, s1
; %bb.504:                              ;   in Loop: Header=BB177_35 Depth=1
	v_and_b32_e32 v1, 0xffff, v0
	v_or_b32_e32 v2, 0x10000, v0
	s_delay_alu instid0(VALU_DEP_2) | instskip(NEXT) | instid1(VALU_DEP_1)
	v_cmp_eq_u32_e64 s1, 0, v1
	v_cndmask_b32_e64 v143, v2, v0, s1
; %bb.505:                              ;   in Loop: Header=BB177_35 Depth=1
	s_or_b32 exec_lo, exec_lo, s8
	v_lshlrev_b32_e32 v0, 16, v152
                                        ; implicit-def: $vgpr152
	s_delay_alu instid0(VALU_DEP_1) | instskip(NEXT) | instid1(VALU_DEP_1)
	v_mul_f32_e32 v0, v130, v0
	v_and_b32_e32 v1, 0x7f800000, v0
	s_delay_alu instid0(VALU_DEP_1) | instskip(NEXT) | instid1(VALU_DEP_1)
	v_cmp_ne_u32_e64 s1, 0x7f800000, v1
	s_and_saveexec_b32 s8, s1
	s_delay_alu instid0(SALU_CYCLE_1)
	s_xor_b32 s1, exec_lo, s8
; %bb.506:                              ;   in Loop: Header=BB177_35 Depth=1
	v_bfe_u32 v1, v0, 16, 1
	s_delay_alu instid0(VALU_DEP_1)
	v_add3_u32 v152, v0, v1, 0x7fff
                                        ; implicit-def: $vgpr0
; %bb.507:                              ;   in Loop: Header=BB177_35 Depth=1
	s_and_not1_saveexec_b32 s8, s1
; %bb.508:                              ;   in Loop: Header=BB177_35 Depth=1
	v_and_b32_e32 v1, 0xffff, v0
	v_or_b32_e32 v2, 0x10000, v0
	s_delay_alu instid0(VALU_DEP_2) | instskip(NEXT) | instid1(VALU_DEP_1)
	v_cmp_eq_u32_e64 s1, 0, v1
	v_cndmask_b32_e64 v152, v2, v0, s1
; %bb.509:                              ;   in Loop: Header=BB177_35 Depth=1
	s_or_b32 exec_lo, exec_lo, s8
	v_add_co_u32 v0, s1, v112, v65
	s_delay_alu instid0(VALU_DEP_1)
	v_add_co_ci_u32_e64 v1, s1, 0, v113, s1
	flat_load_b128 v[0:3], v[0:1]
	s_waitcnt vmcnt(0) lgkmcnt(0)
	v_lshrrev_b32_e32 v154, 16, v0
	v_lshrrev_b32_e32 v156, 16, v1
	;; [unrolled: 1-line block ×4, first 2 shown]
	s_and_saveexec_b32 s8, vcc_lo
	s_cbranch_execz .LBB177_511
; %bb.510:                              ;   in Loop: Header=BB177_35 Depth=1
	v_cmp_lt_i32_e64 s1, v96, v27
	s_delay_alu instid0(VALU_DEP_1) | instskip(SKIP_1) | instid1(VALU_DEP_1)
	v_cndmask_b32_e64 v0, 0, v0, s1
	v_cmp_lt_i32_e64 s1, v103, v27
	v_cndmask_b32_e64 v154, 0, v154, s1
	v_cmp_lt_i32_e64 s1, v101, v27
	s_delay_alu instid0(VALU_DEP_1) | instskip(SKIP_1) | instid1(VALU_DEP_1)
	v_cndmask_b32_e64 v1, 0, v1, s1
	v_cmp_lt_i32_e64 s1, v100, v27
	v_cndmask_b32_e64 v156, 0, v156, s1
	v_cmp_lt_i32_e64 s1, v99, v27
	s_delay_alu instid0(VALU_DEP_1) | instskip(SKIP_1) | instid1(VALU_DEP_1)
	v_cndmask_b32_e64 v2, 0, v2, s1
	v_cmp_lt_i32_e64 s1, v98, v27
	v_cndmask_b32_e64 v158, 0, v158, s1
	v_cmp_lt_i32_e64 s1, v102, v27
	s_delay_alu instid0(VALU_DEP_1) | instskip(SKIP_1) | instid1(VALU_DEP_1)
	v_cndmask_b32_e64 v3, 0, v3, s1
	v_cmp_lt_i32_e64 s1, v14, v27
	v_cndmask_b32_e64 v168, 0, v168, s1
.LBB177_511:                            ;   in Loop: Header=BB177_35 Depth=1
	s_or_b32 exec_lo, exec_lo, s8
	v_lshlrev_b32_e32 v0, 16, v0
	s_delay_alu instid0(VALU_DEP_1) | instskip(NEXT) | instid1(VALU_DEP_1)
	v_mul_f32_e32 v0, v114, v0
	v_and_b32_e32 v153, 0x7f800000, v0
	s_delay_alu instid0(VALU_DEP_1) | instskip(NEXT) | instid1(VALU_DEP_1)
	v_cmp_ne_u32_e64 s1, 0x7f800000, v153
                                        ; implicit-def: $vgpr153
	s_and_saveexec_b32 s8, s1
	s_delay_alu instid0(SALU_CYCLE_1)
	s_xor_b32 s1, exec_lo, s8
; %bb.512:                              ;   in Loop: Header=BB177_35 Depth=1
	v_bfe_u32 v153, v0, 16, 1
	s_delay_alu instid0(VALU_DEP_1)
	v_add3_u32 v153, v0, v153, 0x7fff
                                        ; implicit-def: $vgpr0
; %bb.513:                              ;   in Loop: Header=BB177_35 Depth=1
	s_and_not1_saveexec_b32 s8, s1
; %bb.514:                              ;   in Loop: Header=BB177_35 Depth=1
	v_and_b32_e32 v153, 0xffff, v0
	v_or_b32_e32 v155, 0x10000, v0
	s_delay_alu instid0(VALU_DEP_2) | instskip(NEXT) | instid1(VALU_DEP_1)
	v_cmp_eq_u32_e64 s1, 0, v153
	v_cndmask_b32_e64 v153, v155, v0, s1
; %bb.515:                              ;   in Loop: Header=BB177_35 Depth=1
	s_or_b32 exec_lo, exec_lo, s8
	v_lshlrev_b32_e32 v0, 16, v154
	s_delay_alu instid0(VALU_DEP_1) | instskip(NEXT) | instid1(VALU_DEP_1)
	v_mul_f32_e32 v0, v115, v0
	v_and_b32_e32 v154, 0x7f800000, v0
	s_delay_alu instid0(VALU_DEP_1) | instskip(NEXT) | instid1(VALU_DEP_1)
	v_cmp_ne_u32_e64 s1, 0x7f800000, v154
                                        ; implicit-def: $vgpr154
	s_and_saveexec_b32 s8, s1
	s_delay_alu instid0(SALU_CYCLE_1)
	s_xor_b32 s1, exec_lo, s8
; %bb.516:                              ;   in Loop: Header=BB177_35 Depth=1
	v_bfe_u32 v154, v0, 16, 1
	s_delay_alu instid0(VALU_DEP_1)
	v_add3_u32 v154, v0, v154, 0x7fff
                                        ; implicit-def: $vgpr0
; %bb.517:                              ;   in Loop: Header=BB177_35 Depth=1
	s_and_not1_saveexec_b32 s8, s1
; %bb.518:                              ;   in Loop: Header=BB177_35 Depth=1
	v_and_b32_e32 v154, 0xffff, v0
	v_or_b32_e32 v155, 0x10000, v0
	s_delay_alu instid0(VALU_DEP_2) | instskip(NEXT) | instid1(VALU_DEP_1)
	v_cmp_eq_u32_e64 s1, 0, v154
	v_cndmask_b32_e64 v154, v155, v0, s1
; %bb.519:                              ;   in Loop: Header=BB177_35 Depth=1
	s_or_b32 exec_lo, exec_lo, s8
	v_lshlrev_b32_e32 v0, 16, v1
                                        ; implicit-def: $vgpr155
	s_delay_alu instid0(VALU_DEP_1) | instskip(NEXT) | instid1(VALU_DEP_1)
	v_mul_f32_e32 v0, v116, v0
	v_and_b32_e32 v1, 0x7f800000, v0
	s_delay_alu instid0(VALU_DEP_1) | instskip(NEXT) | instid1(VALU_DEP_1)
	v_cmp_ne_u32_e64 s1, 0x7f800000, v1
	s_and_saveexec_b32 s8, s1
	s_delay_alu instid0(SALU_CYCLE_1)
	s_xor_b32 s1, exec_lo, s8
; %bb.520:                              ;   in Loop: Header=BB177_35 Depth=1
	v_bfe_u32 v1, v0, 16, 1
	s_delay_alu instid0(VALU_DEP_1)
	v_add3_u32 v155, v0, v1, 0x7fff
                                        ; implicit-def: $vgpr0
; %bb.521:                              ;   in Loop: Header=BB177_35 Depth=1
	s_and_not1_saveexec_b32 s8, s1
; %bb.522:                              ;   in Loop: Header=BB177_35 Depth=1
	v_and_b32_e32 v1, 0xffff, v0
	v_or_b32_e32 v155, 0x10000, v0
	s_delay_alu instid0(VALU_DEP_2) | instskip(NEXT) | instid1(VALU_DEP_1)
	v_cmp_eq_u32_e64 s1, 0, v1
	v_cndmask_b32_e64 v155, v155, v0, s1
; %bb.523:                              ;   in Loop: Header=BB177_35 Depth=1
	s_or_b32 exec_lo, exec_lo, s8
	v_lshlrev_b32_e32 v0, 16, v156
                                        ; implicit-def: $vgpr156
	s_delay_alu instid0(VALU_DEP_1) | instskip(NEXT) | instid1(VALU_DEP_1)
	v_mul_f32_e32 v0, v117, v0
	v_and_b32_e32 v1, 0x7f800000, v0
	s_delay_alu instid0(VALU_DEP_1) | instskip(NEXT) | instid1(VALU_DEP_1)
	v_cmp_ne_u32_e64 s1, 0x7f800000, v1
	s_and_saveexec_b32 s8, s1
	s_delay_alu instid0(SALU_CYCLE_1)
	s_xor_b32 s1, exec_lo, s8
; %bb.524:                              ;   in Loop: Header=BB177_35 Depth=1
	v_bfe_u32 v1, v0, 16, 1
	s_delay_alu instid0(VALU_DEP_1)
	v_add3_u32 v156, v0, v1, 0x7fff
                                        ; implicit-def: $vgpr0
; %bb.525:                              ;   in Loop: Header=BB177_35 Depth=1
	s_and_not1_saveexec_b32 s8, s1
; %bb.526:                              ;   in Loop: Header=BB177_35 Depth=1
	v_and_b32_e32 v1, 0xffff, v0
	v_or_b32_e32 v156, 0x10000, v0
	s_delay_alu instid0(VALU_DEP_2) | instskip(NEXT) | instid1(VALU_DEP_1)
	v_cmp_eq_u32_e64 s1, 0, v1
	v_cndmask_b32_e64 v156, v156, v0, s1
; %bb.527:                              ;   in Loop: Header=BB177_35 Depth=1
	s_or_b32 exec_lo, exec_lo, s8
	v_lshlrev_b32_e32 v0, 16, v2
                                        ; implicit-def: $vgpr157
	s_delay_alu instid0(VALU_DEP_1) | instskip(NEXT) | instid1(VALU_DEP_1)
	v_mul_f32_e32 v0, v119, v0
	v_and_b32_e32 v1, 0x7f800000, v0
	s_delay_alu instid0(VALU_DEP_1) | instskip(NEXT) | instid1(VALU_DEP_1)
	v_cmp_ne_u32_e64 s1, 0x7f800000, v1
	s_and_saveexec_b32 s8, s1
	s_delay_alu instid0(SALU_CYCLE_1)
	s_xor_b32 s1, exec_lo, s8
; %bb.528:                              ;   in Loop: Header=BB177_35 Depth=1
	v_bfe_u32 v1, v0, 16, 1
	s_delay_alu instid0(VALU_DEP_1)
	v_add3_u32 v157, v0, v1, 0x7fff
                                        ; implicit-def: $vgpr0
; %bb.529:                              ;   in Loop: Header=BB177_35 Depth=1
	s_and_not1_saveexec_b32 s8, s1
; %bb.530:                              ;   in Loop: Header=BB177_35 Depth=1
	v_and_b32_e32 v1, 0xffff, v0
	v_or_b32_e32 v2, 0x10000, v0
	s_delay_alu instid0(VALU_DEP_2) | instskip(NEXT) | instid1(VALU_DEP_1)
	v_cmp_eq_u32_e64 s1, 0, v1
	v_cndmask_b32_e64 v157, v2, v0, s1
; %bb.531:                              ;   in Loop: Header=BB177_35 Depth=1
	s_or_b32 exec_lo, exec_lo, s8
	v_lshlrev_b32_e32 v0, 16, v158
                                        ; implicit-def: $vgpr158
	s_delay_alu instid0(VALU_DEP_1) | instskip(NEXT) | instid1(VALU_DEP_1)
	v_mul_f32_e32 v0, v128, v0
	v_and_b32_e32 v1, 0x7f800000, v0
	s_delay_alu instid0(VALU_DEP_1) | instskip(NEXT) | instid1(VALU_DEP_1)
	v_cmp_ne_u32_e64 s1, 0x7f800000, v1
	s_and_saveexec_b32 s8, s1
	s_delay_alu instid0(SALU_CYCLE_1)
	s_xor_b32 s1, exec_lo, s8
; %bb.532:                              ;   in Loop: Header=BB177_35 Depth=1
	v_bfe_u32 v1, v0, 16, 1
	s_delay_alu instid0(VALU_DEP_1)
	v_add3_u32 v158, v0, v1, 0x7fff
                                        ; implicit-def: $vgpr0
; %bb.533:                              ;   in Loop: Header=BB177_35 Depth=1
	s_and_not1_saveexec_b32 s8, s1
; %bb.534:                              ;   in Loop: Header=BB177_35 Depth=1
	v_and_b32_e32 v1, 0xffff, v0
	v_or_b32_e32 v2, 0x10000, v0
	s_delay_alu instid0(VALU_DEP_2) | instskip(NEXT) | instid1(VALU_DEP_1)
	v_cmp_eq_u32_e64 s1, 0, v1
	v_cndmask_b32_e64 v158, v2, v0, s1
; %bb.535:                              ;   in Loop: Header=BB177_35 Depth=1
	s_or_b32 exec_lo, exec_lo, s8
	v_lshlrev_b32_e32 v0, 16, v3
                                        ; implicit-def: $vgpr159
	s_delay_alu instid0(VALU_DEP_1) | instskip(NEXT) | instid1(VALU_DEP_1)
	v_mul_f32_e32 v0, v129, v0
	v_and_b32_e32 v1, 0x7f800000, v0
	s_delay_alu instid0(VALU_DEP_1) | instskip(NEXT) | instid1(VALU_DEP_1)
	v_cmp_ne_u32_e64 s1, 0x7f800000, v1
	s_and_saveexec_b32 s8, s1
	s_delay_alu instid0(SALU_CYCLE_1)
	s_xor_b32 s1, exec_lo, s8
; %bb.536:                              ;   in Loop: Header=BB177_35 Depth=1
	v_bfe_u32 v1, v0, 16, 1
	s_delay_alu instid0(VALU_DEP_1)
	v_add3_u32 v159, v0, v1, 0x7fff
                                        ; implicit-def: $vgpr0
; %bb.537:                              ;   in Loop: Header=BB177_35 Depth=1
	s_and_not1_saveexec_b32 s8, s1
; %bb.538:                              ;   in Loop: Header=BB177_35 Depth=1
	v_and_b32_e32 v1, 0xffff, v0
	v_or_b32_e32 v2, 0x10000, v0
	s_delay_alu instid0(VALU_DEP_2) | instskip(NEXT) | instid1(VALU_DEP_1)
	v_cmp_eq_u32_e64 s1, 0, v1
	v_cndmask_b32_e64 v159, v2, v0, s1
; %bb.539:                              ;   in Loop: Header=BB177_35 Depth=1
	s_or_b32 exec_lo, exec_lo, s8
	v_lshlrev_b32_e32 v0, 16, v168
                                        ; implicit-def: $vgpr168
	s_delay_alu instid0(VALU_DEP_1) | instskip(NEXT) | instid1(VALU_DEP_1)
	v_mul_f32_e32 v0, v130, v0
	v_and_b32_e32 v1, 0x7f800000, v0
	s_delay_alu instid0(VALU_DEP_1) | instskip(NEXT) | instid1(VALU_DEP_1)
	v_cmp_ne_u32_e64 s1, 0x7f800000, v1
	s_and_saveexec_b32 s8, s1
	s_delay_alu instid0(SALU_CYCLE_1)
	s_xor_b32 s1, exec_lo, s8
; %bb.540:                              ;   in Loop: Header=BB177_35 Depth=1
	v_bfe_u32 v1, v0, 16, 1
	s_delay_alu instid0(VALU_DEP_1)
	v_add3_u32 v168, v0, v1, 0x7fff
                                        ; implicit-def: $vgpr0
; %bb.541:                              ;   in Loop: Header=BB177_35 Depth=1
	s_and_not1_saveexec_b32 s8, s1
; %bb.542:                              ;   in Loop: Header=BB177_35 Depth=1
	v_and_b32_e32 v1, 0xffff, v0
	v_or_b32_e32 v2, 0x10000, v0
	s_delay_alu instid0(VALU_DEP_2) | instskip(NEXT) | instid1(VALU_DEP_1)
	v_cmp_eq_u32_e64 s1, 0, v1
	v_cndmask_b32_e64 v168, v2, v0, s1
; %bb.543:                              ;   in Loop: Header=BB177_35 Depth=1
	s_or_b32 exec_lo, exec_lo, s8
	v_add_co_u32 v0, s1, v112, v66
	s_delay_alu instid0(VALU_DEP_1)
	v_add_co_ci_u32_e64 v1, s1, 0, v113, s1
	flat_load_b128 v[0:3], v[0:1]
	s_waitcnt vmcnt(0) lgkmcnt(0)
	v_lshrrev_b32_e32 v170, 16, v0
	v_lshrrev_b32_e32 v172, 16, v1
	;; [unrolled: 1-line block ×4, first 2 shown]
	s_and_saveexec_b32 s8, vcc_lo
	s_cbranch_execz .LBB177_545
; %bb.544:                              ;   in Loop: Header=BB177_35 Depth=1
	v_cmp_lt_i32_e64 s1, v96, v27
	s_delay_alu instid0(VALU_DEP_1) | instskip(SKIP_1) | instid1(VALU_DEP_1)
	v_cndmask_b32_e64 v0, 0, v0, s1
	v_cmp_lt_i32_e64 s1, v103, v27
	v_cndmask_b32_e64 v170, 0, v170, s1
	v_cmp_lt_i32_e64 s1, v101, v27
	s_delay_alu instid0(VALU_DEP_1) | instskip(SKIP_1) | instid1(VALU_DEP_1)
	v_cndmask_b32_e64 v1, 0, v1, s1
	v_cmp_lt_i32_e64 s1, v100, v27
	v_cndmask_b32_e64 v172, 0, v172, s1
	;; [unrolled: 5-line block ×4, first 2 shown]
.LBB177_545:                            ;   in Loop: Header=BB177_35 Depth=1
	s_or_b32 exec_lo, exec_lo, s8
	v_lshlrev_b32_e32 v0, 16, v0
	s_delay_alu instid0(VALU_DEP_1) | instskip(NEXT) | instid1(VALU_DEP_1)
	v_mul_f32_e32 v0, v114, v0
	v_and_b32_e32 v169, 0x7f800000, v0
	s_delay_alu instid0(VALU_DEP_1) | instskip(NEXT) | instid1(VALU_DEP_1)
	v_cmp_ne_u32_e64 s1, 0x7f800000, v169
                                        ; implicit-def: $vgpr169
	s_and_saveexec_b32 s8, s1
	s_delay_alu instid0(SALU_CYCLE_1)
	s_xor_b32 s1, exec_lo, s8
; %bb.546:                              ;   in Loop: Header=BB177_35 Depth=1
	v_bfe_u32 v169, v0, 16, 1
	s_delay_alu instid0(VALU_DEP_1)
	v_add3_u32 v169, v0, v169, 0x7fff
                                        ; implicit-def: $vgpr0
; %bb.547:                              ;   in Loop: Header=BB177_35 Depth=1
	s_and_not1_saveexec_b32 s8, s1
; %bb.548:                              ;   in Loop: Header=BB177_35 Depth=1
	v_and_b32_e32 v169, 0xffff, v0
	v_or_b32_e32 v171, 0x10000, v0
	s_delay_alu instid0(VALU_DEP_2) | instskip(NEXT) | instid1(VALU_DEP_1)
	v_cmp_eq_u32_e64 s1, 0, v169
	v_cndmask_b32_e64 v169, v171, v0, s1
; %bb.549:                              ;   in Loop: Header=BB177_35 Depth=1
	s_or_b32 exec_lo, exec_lo, s8
	v_lshlrev_b32_e32 v0, 16, v170
	s_delay_alu instid0(VALU_DEP_1) | instskip(NEXT) | instid1(VALU_DEP_1)
	v_mul_f32_e32 v0, v115, v0
	v_and_b32_e32 v170, 0x7f800000, v0
	s_delay_alu instid0(VALU_DEP_1) | instskip(NEXT) | instid1(VALU_DEP_1)
	v_cmp_ne_u32_e64 s1, 0x7f800000, v170
                                        ; implicit-def: $vgpr170
	s_and_saveexec_b32 s8, s1
	s_delay_alu instid0(SALU_CYCLE_1)
	s_xor_b32 s1, exec_lo, s8
; %bb.550:                              ;   in Loop: Header=BB177_35 Depth=1
	v_bfe_u32 v170, v0, 16, 1
	s_delay_alu instid0(VALU_DEP_1)
	v_add3_u32 v170, v0, v170, 0x7fff
                                        ; implicit-def: $vgpr0
; %bb.551:                              ;   in Loop: Header=BB177_35 Depth=1
	s_and_not1_saveexec_b32 s8, s1
; %bb.552:                              ;   in Loop: Header=BB177_35 Depth=1
	v_and_b32_e32 v170, 0xffff, v0
	v_or_b32_e32 v171, 0x10000, v0
	s_delay_alu instid0(VALU_DEP_2) | instskip(NEXT) | instid1(VALU_DEP_1)
	v_cmp_eq_u32_e64 s1, 0, v170
	v_cndmask_b32_e64 v170, v171, v0, s1
; %bb.553:                              ;   in Loop: Header=BB177_35 Depth=1
	s_or_b32 exec_lo, exec_lo, s8
	v_lshlrev_b32_e32 v0, 16, v1
                                        ; implicit-def: $vgpr171
	s_delay_alu instid0(VALU_DEP_1) | instskip(NEXT) | instid1(VALU_DEP_1)
	v_mul_f32_e32 v0, v116, v0
	v_and_b32_e32 v1, 0x7f800000, v0
	s_delay_alu instid0(VALU_DEP_1) | instskip(NEXT) | instid1(VALU_DEP_1)
	v_cmp_ne_u32_e64 s1, 0x7f800000, v1
	s_and_saveexec_b32 s8, s1
	s_delay_alu instid0(SALU_CYCLE_1)
	s_xor_b32 s1, exec_lo, s8
; %bb.554:                              ;   in Loop: Header=BB177_35 Depth=1
	v_bfe_u32 v1, v0, 16, 1
	s_delay_alu instid0(VALU_DEP_1)
	v_add3_u32 v171, v0, v1, 0x7fff
                                        ; implicit-def: $vgpr0
; %bb.555:                              ;   in Loop: Header=BB177_35 Depth=1
	s_and_not1_saveexec_b32 s8, s1
; %bb.556:                              ;   in Loop: Header=BB177_35 Depth=1
	v_and_b32_e32 v1, 0xffff, v0
	v_or_b32_e32 v171, 0x10000, v0
	s_delay_alu instid0(VALU_DEP_2) | instskip(NEXT) | instid1(VALU_DEP_1)
	v_cmp_eq_u32_e64 s1, 0, v1
	v_cndmask_b32_e64 v171, v171, v0, s1
; %bb.557:                              ;   in Loop: Header=BB177_35 Depth=1
	s_or_b32 exec_lo, exec_lo, s8
	v_lshlrev_b32_e32 v0, 16, v172
                                        ; implicit-def: $vgpr172
	s_delay_alu instid0(VALU_DEP_1) | instskip(NEXT) | instid1(VALU_DEP_1)
	v_mul_f32_e32 v0, v117, v0
	v_and_b32_e32 v1, 0x7f800000, v0
	s_delay_alu instid0(VALU_DEP_1) | instskip(NEXT) | instid1(VALU_DEP_1)
	v_cmp_ne_u32_e64 s1, 0x7f800000, v1
	s_and_saveexec_b32 s8, s1
	s_delay_alu instid0(SALU_CYCLE_1)
	s_xor_b32 s1, exec_lo, s8
; %bb.558:                              ;   in Loop: Header=BB177_35 Depth=1
	v_bfe_u32 v1, v0, 16, 1
	s_delay_alu instid0(VALU_DEP_1)
	v_add3_u32 v172, v0, v1, 0x7fff
                                        ; implicit-def: $vgpr0
; %bb.559:                              ;   in Loop: Header=BB177_35 Depth=1
	s_and_not1_saveexec_b32 s8, s1
; %bb.560:                              ;   in Loop: Header=BB177_35 Depth=1
	v_and_b32_e32 v1, 0xffff, v0
	v_or_b32_e32 v172, 0x10000, v0
	s_delay_alu instid0(VALU_DEP_2) | instskip(NEXT) | instid1(VALU_DEP_1)
	v_cmp_eq_u32_e64 s1, 0, v1
	v_cndmask_b32_e64 v172, v172, v0, s1
; %bb.561:                              ;   in Loop: Header=BB177_35 Depth=1
	s_or_b32 exec_lo, exec_lo, s8
	v_lshlrev_b32_e32 v0, 16, v2
                                        ; implicit-def: $vgpr173
	s_delay_alu instid0(VALU_DEP_1) | instskip(NEXT) | instid1(VALU_DEP_1)
	v_mul_f32_e32 v0, v119, v0
	v_and_b32_e32 v1, 0x7f800000, v0
	s_delay_alu instid0(VALU_DEP_1) | instskip(NEXT) | instid1(VALU_DEP_1)
	v_cmp_ne_u32_e64 s1, 0x7f800000, v1
	s_and_saveexec_b32 s8, s1
	s_delay_alu instid0(SALU_CYCLE_1)
	s_xor_b32 s1, exec_lo, s8
; %bb.562:                              ;   in Loop: Header=BB177_35 Depth=1
	v_bfe_u32 v1, v0, 16, 1
	s_delay_alu instid0(VALU_DEP_1)
	v_add3_u32 v173, v0, v1, 0x7fff
                                        ; implicit-def: $vgpr0
; %bb.563:                              ;   in Loop: Header=BB177_35 Depth=1
	s_and_not1_saveexec_b32 s8, s1
; %bb.564:                              ;   in Loop: Header=BB177_35 Depth=1
	v_and_b32_e32 v1, 0xffff, v0
	v_or_b32_e32 v2, 0x10000, v0
	s_delay_alu instid0(VALU_DEP_2) | instskip(NEXT) | instid1(VALU_DEP_1)
	v_cmp_eq_u32_e64 s1, 0, v1
	v_cndmask_b32_e64 v173, v2, v0, s1
; %bb.565:                              ;   in Loop: Header=BB177_35 Depth=1
	s_or_b32 exec_lo, exec_lo, s8
	v_lshlrev_b32_e32 v0, 16, v174
                                        ; implicit-def: $vgpr174
	s_delay_alu instid0(VALU_DEP_1) | instskip(NEXT) | instid1(VALU_DEP_1)
	v_mul_f32_e32 v0, v128, v0
	v_and_b32_e32 v1, 0x7f800000, v0
	s_delay_alu instid0(VALU_DEP_1) | instskip(NEXT) | instid1(VALU_DEP_1)
	v_cmp_ne_u32_e64 s1, 0x7f800000, v1
	s_and_saveexec_b32 s8, s1
	s_delay_alu instid0(SALU_CYCLE_1)
	s_xor_b32 s1, exec_lo, s8
; %bb.566:                              ;   in Loop: Header=BB177_35 Depth=1
	v_bfe_u32 v1, v0, 16, 1
	s_delay_alu instid0(VALU_DEP_1)
	v_add3_u32 v174, v0, v1, 0x7fff
                                        ; implicit-def: $vgpr0
; %bb.567:                              ;   in Loop: Header=BB177_35 Depth=1
	s_and_not1_saveexec_b32 s8, s1
; %bb.568:                              ;   in Loop: Header=BB177_35 Depth=1
	v_and_b32_e32 v1, 0xffff, v0
	v_or_b32_e32 v2, 0x10000, v0
	s_delay_alu instid0(VALU_DEP_2) | instskip(NEXT) | instid1(VALU_DEP_1)
	v_cmp_eq_u32_e64 s1, 0, v1
	v_cndmask_b32_e64 v174, v2, v0, s1
; %bb.569:                              ;   in Loop: Header=BB177_35 Depth=1
	s_or_b32 exec_lo, exec_lo, s8
	v_lshlrev_b32_e32 v0, 16, v3
                                        ; implicit-def: $vgpr175
	s_delay_alu instid0(VALU_DEP_1) | instskip(NEXT) | instid1(VALU_DEP_1)
	v_mul_f32_e32 v0, v129, v0
	v_and_b32_e32 v1, 0x7f800000, v0
	s_delay_alu instid0(VALU_DEP_1) | instskip(NEXT) | instid1(VALU_DEP_1)
	v_cmp_ne_u32_e64 s1, 0x7f800000, v1
	s_and_saveexec_b32 s8, s1
	s_delay_alu instid0(SALU_CYCLE_1)
	s_xor_b32 s1, exec_lo, s8
; %bb.570:                              ;   in Loop: Header=BB177_35 Depth=1
	v_bfe_u32 v1, v0, 16, 1
	s_delay_alu instid0(VALU_DEP_1)
	v_add3_u32 v175, v0, v1, 0x7fff
                                        ; implicit-def: $vgpr0
; %bb.571:                              ;   in Loop: Header=BB177_35 Depth=1
	s_and_not1_saveexec_b32 s8, s1
; %bb.572:                              ;   in Loop: Header=BB177_35 Depth=1
	v_and_b32_e32 v1, 0xffff, v0
	v_or_b32_e32 v2, 0x10000, v0
	s_delay_alu instid0(VALU_DEP_2) | instskip(NEXT) | instid1(VALU_DEP_1)
	v_cmp_eq_u32_e64 s1, 0, v1
	v_cndmask_b32_e64 v175, v2, v0, s1
; %bb.573:                              ;   in Loop: Header=BB177_35 Depth=1
	s_or_b32 exec_lo, exec_lo, s8
	v_lshlrev_b32_e32 v0, 16, v184
                                        ; implicit-def: $vgpr184
	s_delay_alu instid0(VALU_DEP_1) | instskip(NEXT) | instid1(VALU_DEP_1)
	v_mul_f32_e32 v0, v130, v0
	v_and_b32_e32 v1, 0x7f800000, v0
	s_delay_alu instid0(VALU_DEP_1) | instskip(NEXT) | instid1(VALU_DEP_1)
	v_cmp_ne_u32_e64 s1, 0x7f800000, v1
	s_and_saveexec_b32 s8, s1
	s_delay_alu instid0(SALU_CYCLE_1)
	s_xor_b32 s1, exec_lo, s8
; %bb.574:                              ;   in Loop: Header=BB177_35 Depth=1
	v_bfe_u32 v1, v0, 16, 1
	s_delay_alu instid0(VALU_DEP_1)
	v_add3_u32 v184, v0, v1, 0x7fff
                                        ; implicit-def: $vgpr0
; %bb.575:                              ;   in Loop: Header=BB177_35 Depth=1
	s_and_not1_saveexec_b32 s8, s1
; %bb.576:                              ;   in Loop: Header=BB177_35 Depth=1
	v_and_b32_e32 v1, 0xffff, v0
	v_or_b32_e32 v2, 0x10000, v0
	s_delay_alu instid0(VALU_DEP_2) | instskip(NEXT) | instid1(VALU_DEP_1)
	v_cmp_eq_u32_e64 s1, 0, v1
	v_cndmask_b32_e64 v184, v2, v0, s1
; %bb.577:                              ;   in Loop: Header=BB177_35 Depth=1
	s_or_b32 exec_lo, exec_lo, s8
	v_add_co_u32 v0, s1, v112, v67
	s_delay_alu instid0(VALU_DEP_1)
	v_add_co_ci_u32_e64 v1, s1, 0, v113, s1
	flat_load_b128 v[0:3], v[0:1]
	s_waitcnt vmcnt(0) lgkmcnt(0)
	v_lshrrev_b32_e32 v186, 16, v0
	v_lshrrev_b32_e32 v185, 16, v1
	;; [unrolled: 1-line block ×4, first 2 shown]
	s_and_saveexec_b32 s1, vcc_lo
	s_cbranch_execz .LBB177_579
; %bb.578:                              ;   in Loop: Header=BB177_35 Depth=1
	v_cmp_lt_i32_e32 vcc_lo, v96, v27
	v_cndmask_b32_e32 v0, 0, v0, vcc_lo
	v_cmp_lt_i32_e32 vcc_lo, v103, v27
	v_cndmask_b32_e32 v186, 0, v186, vcc_lo
	;; [unrolled: 2-line block ×8, first 2 shown]
.LBB177_579:                            ;   in Loop: Header=BB177_35 Depth=1
	s_or_b32 exec_lo, exec_lo, s1
	v_lshlrev_b32_e32 v0, 16, v0
	s_delay_alu instid0(VALU_DEP_1) | instskip(NEXT) | instid1(VALU_DEP_1)
	v_mul_f32_e32 v96, v114, v0
	v_and_b32_e32 v0, 0x7f800000, v96
	s_delay_alu instid0(VALU_DEP_1) | instskip(SKIP_1) | instid1(SALU_CYCLE_1)
	v_cmp_ne_u32_e32 vcc_lo, 0x7f800000, v0
                                        ; implicit-def: $vgpr0
	s_and_saveexec_b32 s1, vcc_lo
	s_xor_b32 s1, exec_lo, s1
; %bb.580:                              ;   in Loop: Header=BB177_35 Depth=1
	v_bfe_u32 v0, v96, 16, 1
	s_delay_alu instid0(VALU_DEP_1)
	v_add3_u32 v0, v96, v0, 0x7fff
                                        ; implicit-def: $vgpr96
; %bb.581:                              ;   in Loop: Header=BB177_35 Depth=1
	s_and_not1_saveexec_b32 s1, s1
; %bb.582:                              ;   in Loop: Header=BB177_35 Depth=1
	v_and_b32_e32 v0, 0xffff, v96
	v_or_b32_e32 v98, 0x10000, v96
	s_delay_alu instid0(VALU_DEP_2) | instskip(NEXT) | instid1(VALU_DEP_2)
	v_cmp_eq_u32_e32 vcc_lo, 0, v0
	v_cndmask_b32_e32 v0, v98, v96, vcc_lo
; %bb.583:                              ;   in Loop: Header=BB177_35 Depth=1
	s_or_b32 exec_lo, exec_lo, s1
	v_lshlrev_b32_e32 v96, 16, v186
	s_delay_alu instid0(VALU_DEP_1) | instskip(NEXT) | instid1(VALU_DEP_1)
	v_mul_f32_e32 v98, v115, v96
	v_and_b32_e32 v96, 0x7f800000, v98
	s_delay_alu instid0(VALU_DEP_1) | instskip(SKIP_1) | instid1(SALU_CYCLE_1)
	v_cmp_ne_u32_e32 vcc_lo, 0x7f800000, v96
                                        ; implicit-def: $vgpr96
	s_and_saveexec_b32 s1, vcc_lo
	s_xor_b32 s1, exec_lo, s1
; %bb.584:                              ;   in Loop: Header=BB177_35 Depth=1
	v_bfe_u32 v96, v98, 16, 1
	s_delay_alu instid0(VALU_DEP_1)
	v_add3_u32 v96, v98, v96, 0x7fff
                                        ; implicit-def: $vgpr98
; %bb.585:                              ;   in Loop: Header=BB177_35 Depth=1
	s_and_not1_saveexec_b32 s1, s1
; %bb.586:                              ;   in Loop: Header=BB177_35 Depth=1
	v_and_b32_e32 v96, 0xffff, v98
	v_or_b32_e32 v99, 0x10000, v98
	s_delay_alu instid0(VALU_DEP_2) | instskip(NEXT) | instid1(VALU_DEP_2)
	v_cmp_eq_u32_e32 vcc_lo, 0, v96
	v_cndmask_b32_e32 v96, v99, v98, vcc_lo
; %bb.587:                              ;   in Loop: Header=BB177_35 Depth=1
	s_or_b32 exec_lo, exec_lo, s1
	v_lshlrev_b32_e32 v1, 16, v1
	s_delay_alu instid0(VALU_DEP_1) | instskip(NEXT) | instid1(VALU_DEP_1)
	v_mul_f32_e32 v98, v116, v1
	v_and_b32_e32 v1, 0x7f800000, v98
	s_delay_alu instid0(VALU_DEP_1) | instskip(SKIP_1) | instid1(SALU_CYCLE_1)
	v_cmp_ne_u32_e32 vcc_lo, 0x7f800000, v1
                                        ; implicit-def: $vgpr1
	s_and_saveexec_b32 s1, vcc_lo
	s_xor_b32 s1, exec_lo, s1
; %bb.588:                              ;   in Loop: Header=BB177_35 Depth=1
	v_bfe_u32 v1, v98, 16, 1
	s_delay_alu instid0(VALU_DEP_1)
	v_add3_u32 v1, v98, v1, 0x7fff
                                        ; implicit-def: $vgpr98
; %bb.589:                              ;   in Loop: Header=BB177_35 Depth=1
	s_and_not1_saveexec_b32 s1, s1
; %bb.590:                              ;   in Loop: Header=BB177_35 Depth=1
	v_and_b32_e32 v1, 0xffff, v98
	v_or_b32_e32 v99, 0x10000, v98
	s_delay_alu instid0(VALU_DEP_2) | instskip(NEXT) | instid1(VALU_DEP_2)
	v_cmp_eq_u32_e32 vcc_lo, 0, v1
	v_cndmask_b32_e32 v1, v99, v98, vcc_lo
; %bb.591:                              ;   in Loop: Header=BB177_35 Depth=1
	s_or_b32 exec_lo, exec_lo, s1
	v_lshlrev_b32_e32 v98, 16, v185
	s_delay_alu instid0(VALU_DEP_1) | instskip(NEXT) | instid1(VALU_DEP_1)
	v_mul_f32_e32 v99, v117, v98
	v_and_b32_e32 v98, 0x7f800000, v99
	s_delay_alu instid0(VALU_DEP_1) | instskip(SKIP_1) | instid1(SALU_CYCLE_1)
	v_cmp_ne_u32_e32 vcc_lo, 0x7f800000, v98
                                        ; implicit-def: $vgpr98
	s_and_saveexec_b32 s1, vcc_lo
	s_xor_b32 s1, exec_lo, s1
; %bb.592:                              ;   in Loop: Header=BB177_35 Depth=1
	v_bfe_u32 v98, v99, 16, 1
	s_delay_alu instid0(VALU_DEP_1)
	v_add3_u32 v98, v99, v98, 0x7fff
                                        ; implicit-def: $vgpr99
; %bb.593:                              ;   in Loop: Header=BB177_35 Depth=1
	s_and_not1_saveexec_b32 s1, s1
; %bb.594:                              ;   in Loop: Header=BB177_35 Depth=1
	v_and_b32_e32 v98, 0xffff, v99
	v_or_b32_e32 v100, 0x10000, v99
	s_delay_alu instid0(VALU_DEP_2) | instskip(NEXT) | instid1(VALU_DEP_2)
	v_cmp_eq_u32_e32 vcc_lo, 0, v98
	v_cndmask_b32_e32 v98, v100, v99, vcc_lo
; %bb.595:                              ;   in Loop: Header=BB177_35 Depth=1
	s_or_b32 exec_lo, exec_lo, s1
	v_lshlrev_b32_e32 v2, 16, v2
	s_delay_alu instid0(VALU_DEP_1) | instskip(NEXT) | instid1(VALU_DEP_1)
	v_mul_f32_e32 v99, v119, v2
	v_and_b32_e32 v2, 0x7f800000, v99
	s_delay_alu instid0(VALU_DEP_1) | instskip(SKIP_1) | instid1(SALU_CYCLE_1)
	v_cmp_ne_u32_e32 vcc_lo, 0x7f800000, v2
                                        ; implicit-def: $vgpr2
	s_and_saveexec_b32 s1, vcc_lo
	s_xor_b32 s1, exec_lo, s1
; %bb.596:                              ;   in Loop: Header=BB177_35 Depth=1
	v_bfe_u32 v2, v99, 16, 1
	s_delay_alu instid0(VALU_DEP_1)
	v_add3_u32 v2, v99, v2, 0x7fff
                                        ; implicit-def: $vgpr99
; %bb.597:                              ;   in Loop: Header=BB177_35 Depth=1
	s_and_not1_saveexec_b32 s1, s1
; %bb.598:                              ;   in Loop: Header=BB177_35 Depth=1
	v_and_b32_e32 v2, 0xffff, v99
	v_or_b32_e32 v100, 0x10000, v99
	s_delay_alu instid0(VALU_DEP_2) | instskip(NEXT) | instid1(VALU_DEP_2)
	v_cmp_eq_u32_e32 vcc_lo, 0, v2
	v_cndmask_b32_e32 v2, v100, v99, vcc_lo
; %bb.599:                              ;   in Loop: Header=BB177_35 Depth=1
	s_or_b32 exec_lo, exec_lo, s1
	v_lshlrev_b32_e32 v99, 16, v113
	s_delay_alu instid0(VALU_DEP_1) | instskip(NEXT) | instid1(VALU_DEP_1)
	v_mul_f32_e32 v100, v128, v99
	v_and_b32_e32 v99, 0x7f800000, v100
	s_delay_alu instid0(VALU_DEP_1) | instskip(SKIP_1) | instid1(SALU_CYCLE_1)
	v_cmp_ne_u32_e32 vcc_lo, 0x7f800000, v99
                                        ; implicit-def: $vgpr99
	s_and_saveexec_b32 s1, vcc_lo
	s_xor_b32 s1, exec_lo, s1
; %bb.600:                              ;   in Loop: Header=BB177_35 Depth=1
	v_bfe_u32 v99, v100, 16, 1
	s_delay_alu instid0(VALU_DEP_1)
	v_add3_u32 v99, v100, v99, 0x7fff
                                        ; implicit-def: $vgpr100
; %bb.601:                              ;   in Loop: Header=BB177_35 Depth=1
	s_and_not1_saveexec_b32 s1, s1
; %bb.602:                              ;   in Loop: Header=BB177_35 Depth=1
	v_and_b32_e32 v99, 0xffff, v100
	v_or_b32_e32 v101, 0x10000, v100
	s_delay_alu instid0(VALU_DEP_2) | instskip(NEXT) | instid1(VALU_DEP_2)
	v_cmp_eq_u32_e32 vcc_lo, 0, v99
	v_cndmask_b32_e32 v99, v101, v100, vcc_lo
; %bb.603:                              ;   in Loop: Header=BB177_35 Depth=1
	s_or_b32 exec_lo, exec_lo, s1
	v_lshlrev_b32_e32 v3, 16, v3
	s_delay_alu instid0(VALU_DEP_1) | instskip(NEXT) | instid1(VALU_DEP_1)
	v_mul_f32_e32 v100, v129, v3
	v_and_b32_e32 v3, 0x7f800000, v100
	s_delay_alu instid0(VALU_DEP_1) | instskip(SKIP_1) | instid1(SALU_CYCLE_1)
	v_cmp_ne_u32_e32 vcc_lo, 0x7f800000, v3
                                        ; implicit-def: $vgpr3
	s_and_saveexec_b32 s1, vcc_lo
	s_xor_b32 s1, exec_lo, s1
; %bb.604:                              ;   in Loop: Header=BB177_35 Depth=1
	v_bfe_u32 v3, v100, 16, 1
	s_delay_alu instid0(VALU_DEP_1)
	v_add3_u32 v3, v100, v3, 0x7fff
                                        ; implicit-def: $vgpr100
; %bb.605:                              ;   in Loop: Header=BB177_35 Depth=1
	s_and_not1_saveexec_b32 s1, s1
; %bb.606:                              ;   in Loop: Header=BB177_35 Depth=1
	v_and_b32_e32 v3, 0xffff, v100
	v_or_b32_e32 v101, 0x10000, v100
	s_delay_alu instid0(VALU_DEP_2) | instskip(NEXT) | instid1(VALU_DEP_2)
	v_cmp_eq_u32_e32 vcc_lo, 0, v3
	v_cndmask_b32_e32 v3, v101, v100, vcc_lo
; %bb.607:                              ;   in Loop: Header=BB177_35 Depth=1
	s_or_b32 exec_lo, exec_lo, s1
	v_lshlrev_b32_e32 v100, 16, v112
	s_delay_alu instid0(VALU_DEP_1) | instskip(NEXT) | instid1(VALU_DEP_1)
	v_mul_f32_e32 v101, v130, v100
	v_and_b32_e32 v100, 0x7f800000, v101
	s_delay_alu instid0(VALU_DEP_1) | instskip(SKIP_1) | instid1(SALU_CYCLE_1)
	v_cmp_ne_u32_e32 vcc_lo, 0x7f800000, v100
                                        ; implicit-def: $vgpr100
	s_and_saveexec_b32 s1, vcc_lo
	s_xor_b32 s1, exec_lo, s1
; %bb.608:                              ;   in Loop: Header=BB177_35 Depth=1
	v_bfe_u32 v100, v101, 16, 1
	s_delay_alu instid0(VALU_DEP_1)
	v_add3_u32 v100, v101, v100, 0x7fff
                                        ; implicit-def: $vgpr101
; %bb.609:                              ;   in Loop: Header=BB177_35 Depth=1
	s_and_not1_saveexec_b32 s1, s1
	s_cbranch_execz .LBB177_34
; %bb.610:                              ;   in Loop: Header=BB177_35 Depth=1
	v_and_b32_e32 v100, 0xffff, v101
	v_or_b32_e32 v102, 0x10000, v101
	s_delay_alu instid0(VALU_DEP_2) | instskip(NEXT) | instid1(VALU_DEP_2)
	v_cmp_eq_u32_e32 vcc_lo, 0, v100
	v_cndmask_b32_e32 v100, v102, v101, vcc_lo
	s_branch .LBB177_34
.LBB177_611:
	s_or_b32 exec_lo, exec_lo, s4
	v_dual_mov_b32 v0, s16 :: v_dual_mov_b32 v1, s17
.LBB177_612:
	s_or_b32 exec_lo, exec_lo, s3
	s_delay_alu instid0(VALU_DEP_1)
	v_lshlrev_b64 v[0:1], 2, v[0:1]
	s_getpc_b64 s[8:9]
	s_add_u32 s8, s8, llvm.amdgcn.dynlds.offset.table@rel32@lo+4
	s_addc_u32 s9, s9, llvm.amdgcn.dynlds.offset.table@rel32@hi+12
	s_waitcnt lgkmcnt(0)
	s_waitcnt_vscnt null, 0x0
	s_barrier
	buffer_gl0_inv
	ds_bpermute_b32 v2, v20, v50
	v_add_co_u32 v0, vcc_lo, v0, s8
	v_add_co_ci_u32_e32 v1, vcc_lo, s9, v1, vcc_lo
	ds_bpermute_b32 v3, v20, v49
	ds_bpermute_b32 v6, v20, v39
	;; [unrolled: 1-line block ×3, first 2 shown]
	global_load_b32 v22, v[0:1], off
	ds_bpermute_b32 v0, v20, v48
	ds_bpermute_b32 v8, v20, v37
	;; [unrolled: 1-line block ×12, first 2 shown]
	v_lshrrev_b32_e32 v1, 1, v13
	v_and_b32_e32 v55, 0x3c1, v25
	s_waitcnt lgkmcnt(15)
	v_add_f32_e32 v19, v50, v2
	s_mov_b32 s1, exec_lo
	s_waitcnt lgkmcnt(13)
	v_dual_add_f32 v18, v49, v3 :: v_dual_add_f32 v17, v39, v6
	s_waitcnt lgkmcnt(12)
	v_add_f32_e32 v16, v38, v7
	s_waitcnt lgkmcnt(11)
	v_add_f32_e32 v0, v48, v0
	s_waitcnt lgkmcnt(9)
	v_dual_add_f32 v15, v37, v8 :: v_dual_add_f32 v14, v36, v9
	s_waitcnt lgkmcnt(8)
	v_add_f32_e32 v13, v35, v10
	s_waitcnt lgkmcnt(7)
	v_add_f32_e32 v11, v34, v11
	s_waitcnt lgkmcnt(5)
	v_dual_add_f32 v10, v33, v27 :: v_dual_add_f32 v9, v32, v29
	s_waitcnt lgkmcnt(3)
	v_dual_add_f32 v8, v31, v51 :: v_dual_add_f32 v7, v30, v52
	;; [unrolled: 2-line block ×3, first 2 shown]
	s_waitcnt lgkmcnt(0)
	v_add_f32_e32 v2, v21, v20
	s_waitcnt vmcnt(0)
	v_lshl_add_u32 v20, v28, 10, v22
	v_cmpx_eq_u32_e32 64, v55
	s_cbranch_execz .LBB177_614
; %bb.613:
	v_lshlrev_b32_e32 v21, 2, v1
	s_delay_alu instid0(VALU_DEP_1)
	v_add3_u32 v21, v20, v21, 0xfffff800
	ds_store_2addr_b32 v21, v0, v19 offset1:16
	ds_store_2addr_b32 v21, v18, v17 offset0:32 offset1:48
	ds_store_2addr_b32 v21, v16, v15 offset0:64 offset1:80
	;; [unrolled: 1-line block ×7, first 2 shown]
.LBB177_614:
	s_or_b32 exec_lo, exec_lo, s1
	v_cmp_eq_u32_e32 vcc_lo, 0, v26
	s_waitcnt lgkmcnt(0)
	s_barrier
	buffer_gl0_inv
	s_and_saveexec_b32 s1, s0
	s_cbranch_execz .LBB177_633
; %bb.615:
	s_and_saveexec_b32 s0, vcc_lo
	s_cbranch_execnz .LBB177_722
; %bb.616:
	s_or_b32 exec_lo, exec_lo, s0
	s_and_saveexec_b32 s0, vcc_lo
	s_cbranch_execnz .LBB177_723
.LBB177_617:
	s_or_b32 exec_lo, exec_lo, s0
	s_and_saveexec_b32 s0, vcc_lo
	s_cbranch_execnz .LBB177_724
.LBB177_618:
	s_or_b32 exec_lo, exec_lo, s0
	s_and_saveexec_b32 s0, vcc_lo
	s_cbranch_execnz .LBB177_725
.LBB177_619:
	s_or_b32 exec_lo, exec_lo, s0
	s_and_saveexec_b32 s0, vcc_lo
	s_cbranch_execnz .LBB177_726
.LBB177_620:
	s_or_b32 exec_lo, exec_lo, s0
	s_and_saveexec_b32 s0, vcc_lo
	s_cbranch_execnz .LBB177_727
.LBB177_621:
	s_or_b32 exec_lo, exec_lo, s0
	s_and_saveexec_b32 s0, vcc_lo
	s_cbranch_execnz .LBB177_728
.LBB177_622:
	s_or_b32 exec_lo, exec_lo, s0
	s_and_saveexec_b32 s0, vcc_lo
	s_cbranch_execnz .LBB177_729
.LBB177_623:
	s_or_b32 exec_lo, exec_lo, s0
	s_and_saveexec_b32 s0, vcc_lo
	s_cbranch_execnz .LBB177_730
.LBB177_624:
	s_or_b32 exec_lo, exec_lo, s0
	s_and_saveexec_b32 s0, vcc_lo
	s_cbranch_execnz .LBB177_731
.LBB177_625:
	s_or_b32 exec_lo, exec_lo, s0
	s_and_saveexec_b32 s0, vcc_lo
	s_cbranch_execnz .LBB177_732
.LBB177_626:
	s_or_b32 exec_lo, exec_lo, s0
	s_and_saveexec_b32 s0, vcc_lo
	s_cbranch_execnz .LBB177_733
.LBB177_627:
	s_or_b32 exec_lo, exec_lo, s0
	s_and_saveexec_b32 s0, vcc_lo
	s_cbranch_execnz .LBB177_734
.LBB177_628:
	s_or_b32 exec_lo, exec_lo, s0
	s_and_saveexec_b32 s0, vcc_lo
	s_cbranch_execnz .LBB177_735
.LBB177_629:
	s_or_b32 exec_lo, exec_lo, s0
	s_and_saveexec_b32 s0, vcc_lo
	s_cbranch_execnz .LBB177_736
.LBB177_630:
	s_or_b32 exec_lo, exec_lo, s0
	s_and_saveexec_b32 s0, vcc_lo
	s_cbranch_execz .LBB177_632
.LBB177_631:
	v_lshl_add_u32 v21, v1, 2, v20
	ds_load_b32 v21, v21 offset:960
	s_waitcnt lgkmcnt(0)
	v_add_f32_e32 v2, v21, v2
.LBB177_632:
	s_or_b32 exec_lo, exec_lo, s0
.LBB177_633:
	s_delay_alu instid0(SALU_CYCLE_1)
	s_or_b32 exec_lo, exec_lo, s1
	v_and_b32_e32 v21, 0x3e1, v25
	s_mov_b32 s1, exec_lo
	s_barrier
	buffer_gl0_inv
	v_cmpx_eq_u32_e32 32, v21
	s_cbranch_execz .LBB177_635
; %bb.634:
	v_lshl_add_u32 v21, v1, 2, v22
	ds_store_2addr_b32 v21, v0, v19 offset1:16
	ds_store_2addr_b32 v21, v18, v17 offset0:32 offset1:48
	ds_store_2addr_b32 v21, v16, v15 offset0:64 offset1:80
	;; [unrolled: 1-line block ×7, first 2 shown]
.LBB177_635:
	s_or_b32 exec_lo, exec_lo, s1
	v_cmp_gt_u32_e64 s0, 32, v25
	s_waitcnt lgkmcnt(0)
	s_barrier
	buffer_gl0_inv
	s_and_saveexec_b32 s1, s0
	s_cbranch_execz .LBB177_654
; %bb.636:
	v_lshl_add_u32 v1, v1, 2, v20
	s_and_saveexec_b32 s3, vcc_lo
	s_cbranch_execnz .LBB177_737
; %bb.637:
	s_or_b32 exec_lo, exec_lo, s3
	s_and_saveexec_b32 s3, vcc_lo
	s_cbranch_execnz .LBB177_738
.LBB177_638:
	s_or_b32 exec_lo, exec_lo, s3
	s_and_saveexec_b32 s3, vcc_lo
	s_cbranch_execnz .LBB177_739
.LBB177_639:
	s_or_b32 exec_lo, exec_lo, s3
	s_and_saveexec_b32 s3, vcc_lo
	s_cbranch_execnz .LBB177_740
.LBB177_640:
	s_or_b32 exec_lo, exec_lo, s3
	s_and_saveexec_b32 s3, vcc_lo
	s_cbranch_execnz .LBB177_741
.LBB177_641:
	s_or_b32 exec_lo, exec_lo, s3
	s_and_saveexec_b32 s3, vcc_lo
	s_cbranch_execnz .LBB177_742
.LBB177_642:
	s_or_b32 exec_lo, exec_lo, s3
	s_and_saveexec_b32 s3, vcc_lo
	s_cbranch_execnz .LBB177_743
.LBB177_643:
	s_or_b32 exec_lo, exec_lo, s3
	s_and_saveexec_b32 s3, vcc_lo
	s_cbranch_execnz .LBB177_744
.LBB177_644:
	s_or_b32 exec_lo, exec_lo, s3
	s_and_saveexec_b32 s3, vcc_lo
	s_cbranch_execnz .LBB177_745
.LBB177_645:
	s_or_b32 exec_lo, exec_lo, s3
	s_and_saveexec_b32 s3, vcc_lo
	s_cbranch_execnz .LBB177_746
.LBB177_646:
	s_or_b32 exec_lo, exec_lo, s3
	s_and_saveexec_b32 s3, vcc_lo
	s_cbranch_execnz .LBB177_747
.LBB177_647:
	s_or_b32 exec_lo, exec_lo, s3
	s_and_saveexec_b32 s3, vcc_lo
	s_cbranch_execnz .LBB177_748
.LBB177_648:
	s_or_b32 exec_lo, exec_lo, s3
	s_and_saveexec_b32 s3, vcc_lo
	s_cbranch_execnz .LBB177_749
.LBB177_649:
	s_or_b32 exec_lo, exec_lo, s3
	s_and_saveexec_b32 s3, vcc_lo
	s_cbranch_execnz .LBB177_750
.LBB177_650:
	s_or_b32 exec_lo, exec_lo, s3
	s_and_saveexec_b32 s3, vcc_lo
	s_cbranch_execnz .LBB177_751
.LBB177_651:
	s_or_b32 exec_lo, exec_lo, s3
	s_and_saveexec_b32 s3, vcc_lo
	s_cbranch_execz .LBB177_653
.LBB177_652:
	ds_load_b32 v1, v1 offset:960
	s_waitcnt lgkmcnt(0)
	v_add_f32_e32 v2, v1, v2
.LBB177_653:
	s_or_b32 exec_lo, exec_lo, s3
.LBB177_654:
	s_delay_alu instid0(SALU_CYCLE_1)
	s_or_b32 exec_lo, exec_lo, s1
	s_barrier
	buffer_gl0_inv
	s_and_b32 exec_lo, exec_lo, s0
	s_cbranch_execz .LBB177_721
; %bb.655:
	s_and_b32 exec_lo, exec_lo, vcc_lo
	s_cbranch_execz .LBB177_721
; %bb.656:
	v_and_b32_e32 v1, 0x7f800000, v0
	s_mov_b32 s0, exec_lo
                                        ; implicit-def: $vgpr20
	s_delay_alu instid0(VALU_DEP_1)
	v_cmpx_ne_u32_e32 0x7f800000, v1
	s_xor_b32 s0, exec_lo, s0
; %bb.657:
	v_bfe_u32 v1, v0, 16, 1
	s_delay_alu instid0(VALU_DEP_1)
	v_add3_u32 v20, v0, v1, 0x7fff
                                        ; implicit-def: $vgpr0
; %bb.658:
	s_and_not1_saveexec_b32 s0, s0
; %bb.659:
	v_and_b32_e32 v1, 0xffff, v0
	v_or_b32_e32 v20, 0x10000, v0
	s_delay_alu instid0(VALU_DEP_2) | instskip(NEXT) | instid1(VALU_DEP_2)
	v_cmp_eq_u32_e32 vcc_lo, 0, v1
	v_cndmask_b32_e32 v20, v20, v0, vcc_lo
; %bb.660:
	s_or_b32 exec_lo, exec_lo, s0
	s_mul_i32 s1, s2, s6
	s_mul_i32 s0, s10, s2
	s_mul_i32 s1, s1, s7
	s_lshl_b32 s2, s14, 8
	s_lshl_b32 s6, s1, 8
	s_ashr_i32 s1, s0, 31
	s_ashr_i32 s3, s2, 31
	;; [unrolled: 1-line block ×3, first 2 shown]
	s_lshl_b64 s[0:1], s[0:1], 1
	s_lshl_b64 s[2:3], s[2:3], 1
	;; [unrolled: 1-line block ×3, first 2 shown]
	s_add_u32 s0, s2, s0
	s_addc_u32 s1, s3, s1
	s_add_u32 s0, s0, s6
	s_addc_u32 s1, s1, s7
	v_lshlrev_b32_e32 v0, 1, v12
	v_add_co_u32 v1, vcc_lo, s0, v4
	v_add_co_ci_u32_e32 v4, vcc_lo, s1, v5, vcc_lo
	v_and_b32_e32 v5, 0x7f800000, v19
	s_delay_alu instid0(VALU_DEP_3) | instskip(NEXT) | instid1(VALU_DEP_3)
	v_add_co_u32 v0, vcc_lo, v1, v0
	v_add_co_ci_u32_e32 v1, vcc_lo, 0, v4, vcc_lo
	s_mov_b32 s0, exec_lo
                                        ; implicit-def: $vgpr4
	flat_store_d16_hi_b16 v[0:1], v20
	v_cmpx_ne_u32_e32 0x7f800000, v5
	s_xor_b32 s0, exec_lo, s0
; %bb.661:
	v_bfe_u32 v4, v19, 16, 1
	s_delay_alu instid0(VALU_DEP_1)
	v_add3_u32 v4, v19, v4, 0x7fff
                                        ; implicit-def: $vgpr19
; %bb.662:
	s_and_not1_saveexec_b32 s0, s0
; %bb.663:
	v_and_b32_e32 v4, 0xffff, v19
	v_or_b32_e32 v5, 0x10000, v19
	s_delay_alu instid0(VALU_DEP_2) | instskip(NEXT) | instid1(VALU_DEP_2)
	v_cmp_eq_u32_e32 vcc_lo, 0, v4
	v_cndmask_b32_e32 v4, v5, v19, vcc_lo
; %bb.664:
	s_or_b32 exec_lo, exec_lo, s0
	v_and_b32_e32 v5, 0x7f800000, v18
	s_mov_b32 s0, exec_lo
	flat_store_d16_hi_b16 v[0:1], v4 offset:32
                                        ; implicit-def: $vgpr4
	v_cmpx_ne_u32_e32 0x7f800000, v5
	s_xor_b32 s0, exec_lo, s0
; %bb.665:
	v_bfe_u32 v4, v18, 16, 1
	s_delay_alu instid0(VALU_DEP_1)
	v_add3_u32 v4, v18, v4, 0x7fff
                                        ; implicit-def: $vgpr18
; %bb.666:
	s_and_not1_saveexec_b32 s0, s0
; %bb.667:
	v_and_b32_e32 v4, 0xffff, v18
	v_or_b32_e32 v5, 0x10000, v18
	s_delay_alu instid0(VALU_DEP_2) | instskip(NEXT) | instid1(VALU_DEP_2)
	v_cmp_eq_u32_e32 vcc_lo, 0, v4
	v_cndmask_b32_e32 v4, v5, v18, vcc_lo
; %bb.668:
	s_or_b32 exec_lo, exec_lo, s0
	v_and_b32_e32 v5, 0x7f800000, v17
	s_mov_b32 s0, exec_lo
	flat_store_d16_hi_b16 v[0:1], v4 offset:64
                                        ; implicit-def: $vgpr4
	v_cmpx_ne_u32_e32 0x7f800000, v5
	s_xor_b32 s0, exec_lo, s0
; %bb.669:
	v_bfe_u32 v4, v17, 16, 1
	s_delay_alu instid0(VALU_DEP_1)
	v_add3_u32 v4, v17, v4, 0x7fff
                                        ; implicit-def: $vgpr17
; %bb.670:
	s_and_not1_saveexec_b32 s0, s0
; %bb.671:
	v_and_b32_e32 v4, 0xffff, v17
	v_or_b32_e32 v5, 0x10000, v17
	s_delay_alu instid0(VALU_DEP_2) | instskip(NEXT) | instid1(VALU_DEP_2)
	v_cmp_eq_u32_e32 vcc_lo, 0, v4
	v_cndmask_b32_e32 v4, v5, v17, vcc_lo
; %bb.672:
	s_or_b32 exec_lo, exec_lo, s0
	v_and_b32_e32 v5, 0x7f800000, v16
	s_mov_b32 s0, exec_lo
	flat_store_d16_hi_b16 v[0:1], v4 offset:96
                                        ; implicit-def: $vgpr4
	v_cmpx_ne_u32_e32 0x7f800000, v5
	s_xor_b32 s0, exec_lo, s0
; %bb.673:
	v_bfe_u32 v4, v16, 16, 1
	s_delay_alu instid0(VALU_DEP_1)
	v_add3_u32 v4, v16, v4, 0x7fff
                                        ; implicit-def: $vgpr16
; %bb.674:
	s_and_not1_saveexec_b32 s0, s0
; %bb.675:
	v_and_b32_e32 v4, 0xffff, v16
	v_or_b32_e32 v5, 0x10000, v16
	s_delay_alu instid0(VALU_DEP_2) | instskip(NEXT) | instid1(VALU_DEP_2)
	v_cmp_eq_u32_e32 vcc_lo, 0, v4
	v_cndmask_b32_e32 v4, v5, v16, vcc_lo
; %bb.676:
	s_or_b32 exec_lo, exec_lo, s0
	v_and_b32_e32 v5, 0x7f800000, v15
	s_mov_b32 s0, exec_lo
	flat_store_d16_hi_b16 v[0:1], v4 offset:128
                                        ; implicit-def: $vgpr4
	v_cmpx_ne_u32_e32 0x7f800000, v5
	s_xor_b32 s0, exec_lo, s0
; %bb.677:
	v_bfe_u32 v4, v15, 16, 1
	s_delay_alu instid0(VALU_DEP_1)
	v_add3_u32 v4, v15, v4, 0x7fff
                                        ; implicit-def: $vgpr15
; %bb.678:
	s_and_not1_saveexec_b32 s0, s0
; %bb.679:
	v_and_b32_e32 v4, 0xffff, v15
	v_or_b32_e32 v5, 0x10000, v15
	s_delay_alu instid0(VALU_DEP_2) | instskip(NEXT) | instid1(VALU_DEP_2)
	v_cmp_eq_u32_e32 vcc_lo, 0, v4
	v_cndmask_b32_e32 v4, v5, v15, vcc_lo
; %bb.680:
	s_or_b32 exec_lo, exec_lo, s0
	v_and_b32_e32 v5, 0x7f800000, v14
	s_mov_b32 s0, exec_lo
	flat_store_d16_hi_b16 v[0:1], v4 offset:160
                                        ; implicit-def: $vgpr4
	v_cmpx_ne_u32_e32 0x7f800000, v5
	s_xor_b32 s0, exec_lo, s0
; %bb.681:
	v_bfe_u32 v4, v14, 16, 1
	s_delay_alu instid0(VALU_DEP_1)
	v_add3_u32 v4, v14, v4, 0x7fff
                                        ; implicit-def: $vgpr14
; %bb.682:
	s_and_not1_saveexec_b32 s0, s0
; %bb.683:
	v_and_b32_e32 v4, 0xffff, v14
	v_or_b32_e32 v5, 0x10000, v14
	s_delay_alu instid0(VALU_DEP_2) | instskip(NEXT) | instid1(VALU_DEP_2)
	v_cmp_eq_u32_e32 vcc_lo, 0, v4
	v_cndmask_b32_e32 v4, v5, v14, vcc_lo
; %bb.684:
	s_or_b32 exec_lo, exec_lo, s0
	v_and_b32_e32 v5, 0x7f800000, v13
	s_mov_b32 s0, exec_lo
	flat_store_d16_hi_b16 v[0:1], v4 offset:192
                                        ; implicit-def: $vgpr4
	v_cmpx_ne_u32_e32 0x7f800000, v5
	s_xor_b32 s0, exec_lo, s0
; %bb.685:
	v_bfe_u32 v4, v13, 16, 1
	s_delay_alu instid0(VALU_DEP_1)
	v_add3_u32 v4, v13, v4, 0x7fff
                                        ; implicit-def: $vgpr13
; %bb.686:
	s_and_not1_saveexec_b32 s0, s0
; %bb.687:
	v_and_b32_e32 v4, 0xffff, v13
	v_or_b32_e32 v5, 0x10000, v13
	s_delay_alu instid0(VALU_DEP_2) | instskip(NEXT) | instid1(VALU_DEP_2)
	v_cmp_eq_u32_e32 vcc_lo, 0, v4
	v_cndmask_b32_e32 v4, v5, v13, vcc_lo
; %bb.688:
	s_or_b32 exec_lo, exec_lo, s0
	v_and_b32_e32 v5, 0x7f800000, v11
	s_mov_b32 s0, exec_lo
	flat_store_d16_hi_b16 v[0:1], v4 offset:224
                                        ; implicit-def: $vgpr4
	v_cmpx_ne_u32_e32 0x7f800000, v5
	s_xor_b32 s0, exec_lo, s0
; %bb.689:
	v_bfe_u32 v4, v11, 16, 1
	s_delay_alu instid0(VALU_DEP_1)
	v_add3_u32 v4, v11, v4, 0x7fff
                                        ; implicit-def: $vgpr11
; %bb.690:
	s_and_not1_saveexec_b32 s0, s0
; %bb.691:
	v_and_b32_e32 v4, 0xffff, v11
	v_or_b32_e32 v5, 0x10000, v11
	s_delay_alu instid0(VALU_DEP_2) | instskip(NEXT) | instid1(VALU_DEP_2)
	v_cmp_eq_u32_e32 vcc_lo, 0, v4
	v_cndmask_b32_e32 v4, v5, v11, vcc_lo
; %bb.692:
	s_or_b32 exec_lo, exec_lo, s0
	v_and_b32_e32 v5, 0x7f800000, v10
	s_mov_b32 s0, exec_lo
	flat_store_d16_hi_b16 v[0:1], v4 offset:256
                                        ; implicit-def: $vgpr4
	v_cmpx_ne_u32_e32 0x7f800000, v5
	s_xor_b32 s0, exec_lo, s0
; %bb.693:
	v_bfe_u32 v4, v10, 16, 1
	s_delay_alu instid0(VALU_DEP_1)
	v_add3_u32 v4, v10, v4, 0x7fff
                                        ; implicit-def: $vgpr10
; %bb.694:
	s_and_not1_saveexec_b32 s0, s0
; %bb.695:
	v_and_b32_e32 v4, 0xffff, v10
	v_or_b32_e32 v5, 0x10000, v10
	s_delay_alu instid0(VALU_DEP_2) | instskip(NEXT) | instid1(VALU_DEP_2)
	v_cmp_eq_u32_e32 vcc_lo, 0, v4
	v_cndmask_b32_e32 v4, v5, v10, vcc_lo
; %bb.696:
	s_or_b32 exec_lo, exec_lo, s0
	v_and_b32_e32 v5, 0x7f800000, v9
	s_mov_b32 s0, exec_lo
	flat_store_d16_hi_b16 v[0:1], v4 offset:288
                                        ; implicit-def: $vgpr4
	v_cmpx_ne_u32_e32 0x7f800000, v5
	s_xor_b32 s0, exec_lo, s0
; %bb.697:
	v_bfe_u32 v4, v9, 16, 1
	s_delay_alu instid0(VALU_DEP_1)
	v_add3_u32 v4, v9, v4, 0x7fff
                                        ; implicit-def: $vgpr9
; %bb.698:
	s_and_not1_saveexec_b32 s0, s0
; %bb.699:
	v_and_b32_e32 v4, 0xffff, v9
	v_or_b32_e32 v5, 0x10000, v9
	s_delay_alu instid0(VALU_DEP_2) | instskip(NEXT) | instid1(VALU_DEP_2)
	v_cmp_eq_u32_e32 vcc_lo, 0, v4
	v_cndmask_b32_e32 v4, v5, v9, vcc_lo
; %bb.700:
	s_or_b32 exec_lo, exec_lo, s0
	v_and_b32_e32 v5, 0x7f800000, v8
	s_mov_b32 s0, exec_lo
	flat_store_d16_hi_b16 v[0:1], v4 offset:320
                                        ; implicit-def: $vgpr4
	v_cmpx_ne_u32_e32 0x7f800000, v5
	s_xor_b32 s0, exec_lo, s0
; %bb.701:
	v_bfe_u32 v4, v8, 16, 1
	s_delay_alu instid0(VALU_DEP_1)
	v_add3_u32 v4, v8, v4, 0x7fff
                                        ; implicit-def: $vgpr8
; %bb.702:
	s_and_not1_saveexec_b32 s0, s0
; %bb.703:
	v_and_b32_e32 v4, 0xffff, v8
	v_or_b32_e32 v5, 0x10000, v8
	s_delay_alu instid0(VALU_DEP_2) | instskip(NEXT) | instid1(VALU_DEP_2)
	v_cmp_eq_u32_e32 vcc_lo, 0, v4
	v_cndmask_b32_e32 v4, v5, v8, vcc_lo
; %bb.704:
	s_or_b32 exec_lo, exec_lo, s0
	v_and_b32_e32 v5, 0x7f800000, v7
	s_mov_b32 s0, exec_lo
	flat_store_d16_hi_b16 v[0:1], v4 offset:352
                                        ; implicit-def: $vgpr4
	v_cmpx_ne_u32_e32 0x7f800000, v5
	s_xor_b32 s0, exec_lo, s0
; %bb.705:
	v_bfe_u32 v4, v7, 16, 1
	s_delay_alu instid0(VALU_DEP_1)
	v_add3_u32 v4, v7, v4, 0x7fff
                                        ; implicit-def: $vgpr7
; %bb.706:
	s_and_not1_saveexec_b32 s0, s0
; %bb.707:
	v_and_b32_e32 v4, 0xffff, v7
	v_or_b32_e32 v5, 0x10000, v7
	s_delay_alu instid0(VALU_DEP_2) | instskip(NEXT) | instid1(VALU_DEP_2)
	v_cmp_eq_u32_e32 vcc_lo, 0, v4
	v_cndmask_b32_e32 v4, v5, v7, vcc_lo
; %bb.708:
	s_or_b32 exec_lo, exec_lo, s0
	v_and_b32_e32 v5, 0x7f800000, v6
	s_mov_b32 s0, exec_lo
	flat_store_d16_hi_b16 v[0:1], v4 offset:384
                                        ; implicit-def: $vgpr4
	v_cmpx_ne_u32_e32 0x7f800000, v5
	s_xor_b32 s0, exec_lo, s0
; %bb.709:
	v_bfe_u32 v4, v6, 16, 1
	s_delay_alu instid0(VALU_DEP_1)
	v_add3_u32 v4, v6, v4, 0x7fff
                                        ; implicit-def: $vgpr6
; %bb.710:
	s_and_not1_saveexec_b32 s0, s0
; %bb.711:
	v_and_b32_e32 v4, 0xffff, v6
	v_or_b32_e32 v5, 0x10000, v6
	s_delay_alu instid0(VALU_DEP_2) | instskip(NEXT) | instid1(VALU_DEP_2)
	v_cmp_eq_u32_e32 vcc_lo, 0, v4
	v_cndmask_b32_e32 v4, v5, v6, vcc_lo
; %bb.712:
	s_or_b32 exec_lo, exec_lo, s0
	v_and_b32_e32 v5, 0x7f800000, v3
	s_mov_b32 s0, exec_lo
	flat_store_d16_hi_b16 v[0:1], v4 offset:416
                                        ; implicit-def: $vgpr4
	v_cmpx_ne_u32_e32 0x7f800000, v5
	s_xor_b32 s0, exec_lo, s0
; %bb.713:
	v_bfe_u32 v4, v3, 16, 1
	s_delay_alu instid0(VALU_DEP_1)
	v_add3_u32 v4, v3, v4, 0x7fff
                                        ; implicit-def: $vgpr3
; %bb.714:
	s_and_not1_saveexec_b32 s0, s0
; %bb.715:
	v_and_b32_e32 v4, 0xffff, v3
	v_or_b32_e32 v5, 0x10000, v3
	s_delay_alu instid0(VALU_DEP_2) | instskip(NEXT) | instid1(VALU_DEP_2)
	v_cmp_eq_u32_e32 vcc_lo, 0, v4
	v_cndmask_b32_e32 v4, v5, v3, vcc_lo
; %bb.716:
	s_or_b32 exec_lo, exec_lo, s0
	v_and_b32_e32 v3, 0x7f800000, v2
	flat_store_d16_hi_b16 v[0:1], v4 offset:448
	v_cmp_ne_u32_e32 vcc_lo, 0x7f800000, v3
                                        ; implicit-def: $vgpr3
	s_and_saveexec_b32 s0, vcc_lo
	s_delay_alu instid0(SALU_CYCLE_1)
	s_xor_b32 s0, exec_lo, s0
; %bb.717:
	v_bfe_u32 v3, v2, 16, 1
	s_delay_alu instid0(VALU_DEP_1)
	v_add3_u32 v3, v2, v3, 0x7fff
                                        ; implicit-def: $vgpr2
; %bb.718:
	s_and_not1_saveexec_b32 s0, s0
; %bb.719:
	v_and_b32_e32 v3, 0xffff, v2
	v_or_b32_e32 v4, 0x10000, v2
	s_delay_alu instid0(VALU_DEP_2) | instskip(NEXT) | instid1(VALU_DEP_2)
	v_cmp_eq_u32_e32 vcc_lo, 0, v3
	v_cndmask_b32_e32 v3, v4, v2, vcc_lo
; %bb.720:
	s_or_b32 exec_lo, exec_lo, s0
	flat_store_d16_hi_b16 v[0:1], v3 offset:480
.LBB177_721:
	s_or_b32 exec_lo, exec_lo, s5
	s_clause 0x1f
	scratch_load_b32 v186, off, s32
	scratch_load_b32 v185, off, s32 offset:4
	scratch_load_b32 v184, off, s32 offset:8
	scratch_load_b32 v175, off, s32 offset:12
	scratch_load_b32 v174, off, s32 offset:16
	scratch_load_b32 v173, off, s32 offset:20
	scratch_load_b32 v172, off, s32 offset:24
	scratch_load_b32 v171, off, s32 offset:28
	scratch_load_b32 v170, off, s32 offset:32
	scratch_load_b32 v169, off, s32 offset:36
	scratch_load_b32 v168, off, s32 offset:40
	scratch_load_b32 v159, off, s32 offset:44
	scratch_load_b32 v158, off, s32 offset:48
	scratch_load_b32 v157, off, s32 offset:52
	scratch_load_b32 v156, off, s32 offset:56
	scratch_load_b32 v155, off, s32 offset:60
	scratch_load_b32 v154, off, s32 offset:64
	scratch_load_b32 v153, off, s32 offset:68
	scratch_load_b32 v152, off, s32 offset:72
	scratch_load_b32 v143, off, s32 offset:76
	scratch_load_b32 v142, off, s32 offset:80
	scratch_load_b32 v141, off, s32 offset:84
	scratch_load_b32 v140, off, s32 offset:88
	scratch_load_b32 v139, off, s32 offset:92
	scratch_load_b32 v138, off, s32 offset:96
	scratch_load_b32 v137, off, s32 offset:100
	scratch_load_b32 v136, off, s32 offset:104
	scratch_load_b32 v127, off, s32 offset:108
	scratch_load_b32 v126, off, s32 offset:112
	scratch_load_b32 v125, off, s32 offset:116
	scratch_load_b32 v124, off, s32 offset:120
	scratch_load_b32 v123, off, s32 offset:124
	s_clause 0x1f
	scratch_load_b32 v122, off, s32 offset:128
	scratch_load_b32 v121, off, s32 offset:132
	scratch_load_b32 v120, off, s32 offset:136
	scratch_load_b32 v111, off, s32 offset:140
	scratch_load_b32 v110, off, s32 offset:144
	scratch_load_b32 v109, off, s32 offset:148
	scratch_load_b32 v108, off, s32 offset:152
	scratch_load_b32 v107, off, s32 offset:156
	scratch_load_b32 v106, off, s32 offset:160
	scratch_load_b32 v105, off, s32 offset:164
	scratch_load_b32 v104, off, s32 offset:168
	scratch_load_b32 v95, off, s32 offset:172
	scratch_load_b32 v94, off, s32 offset:176
	scratch_load_b32 v93, off, s32 offset:180
	scratch_load_b32 v92, off, s32 offset:184
	scratch_load_b32 v91, off, s32 offset:188
	scratch_load_b32 v90, off, s32 offset:192
	scratch_load_b32 v89, off, s32 offset:196
	scratch_load_b32 v88, off, s32 offset:200
	scratch_load_b32 v79, off, s32 offset:204
	scratch_load_b32 v78, off, s32 offset:208
	scratch_load_b32 v77, off, s32 offset:212
	scratch_load_b32 v76, off, s32 offset:216
	scratch_load_b32 v75, off, s32 offset:220
	scratch_load_b32 v74, off, s32 offset:224
	scratch_load_b32 v73, off, s32 offset:228
	scratch_load_b32 v72, off, s32 offset:232
	scratch_load_b32 v63, off, s32 offset:236
	scratch_load_b32 v62, off, s32 offset:240
	scratch_load_b32 v61, off, s32 offset:244
	scratch_load_b32 v60, off, s32 offset:248
	scratch_load_b32 v59, off, s32 offset:252
	s_clause 0xa
	scratch_load_b32 v58, off, s32 offset:256
	scratch_load_b32 v57, off, s32 offset:260
	;; [unrolled: 1-line block ×11, first 2 shown]
	s_waitcnt vmcnt(0) lgkmcnt(0)
	s_setpc_b64 s[30:31]
.LBB177_722:
	v_lshl_add_u32 v21, v1, 2, v20
	ds_load_b32 v21, v21
	s_waitcnt lgkmcnt(0)
	v_add_f32_e32 v0, v21, v0
	s_or_b32 exec_lo, exec_lo, s0
	s_and_saveexec_b32 s0, vcc_lo
	s_cbranch_execz .LBB177_617
.LBB177_723:
	v_lshl_add_u32 v21, v1, 2, v20
	ds_load_b32 v21, v21 offset:64
	s_waitcnt lgkmcnt(0)
	v_add_f32_e32 v19, v21, v19
	s_or_b32 exec_lo, exec_lo, s0
	s_and_saveexec_b32 s0, vcc_lo
	s_cbranch_execz .LBB177_618
.LBB177_724:
	v_lshl_add_u32 v21, v1, 2, v20
	ds_load_b32 v21, v21 offset:128
	s_waitcnt lgkmcnt(0)
	v_add_f32_e32 v18, v21, v18
	s_or_b32 exec_lo, exec_lo, s0
	s_and_saveexec_b32 s0, vcc_lo
	s_cbranch_execz .LBB177_619
.LBB177_725:
	v_lshl_add_u32 v21, v1, 2, v20
	ds_load_b32 v21, v21 offset:192
	s_waitcnt lgkmcnt(0)
	v_add_f32_e32 v17, v21, v17
	s_or_b32 exec_lo, exec_lo, s0
	s_and_saveexec_b32 s0, vcc_lo
	s_cbranch_execz .LBB177_620
.LBB177_726:
	v_lshl_add_u32 v21, v1, 2, v20
	ds_load_b32 v21, v21 offset:256
	s_waitcnt lgkmcnt(0)
	v_add_f32_e32 v16, v21, v16
	s_or_b32 exec_lo, exec_lo, s0
	s_and_saveexec_b32 s0, vcc_lo
	s_cbranch_execz .LBB177_621
.LBB177_727:
	v_lshl_add_u32 v21, v1, 2, v20
	ds_load_b32 v21, v21 offset:320
	s_waitcnt lgkmcnt(0)
	v_add_f32_e32 v15, v21, v15
	s_or_b32 exec_lo, exec_lo, s0
	s_and_saveexec_b32 s0, vcc_lo
	s_cbranch_execz .LBB177_622
.LBB177_728:
	v_lshl_add_u32 v21, v1, 2, v20
	ds_load_b32 v21, v21 offset:384
	s_waitcnt lgkmcnt(0)
	v_add_f32_e32 v14, v21, v14
	s_or_b32 exec_lo, exec_lo, s0
	s_and_saveexec_b32 s0, vcc_lo
	s_cbranch_execz .LBB177_623
.LBB177_729:
	v_lshl_add_u32 v21, v1, 2, v20
	ds_load_b32 v21, v21 offset:448
	s_waitcnt lgkmcnt(0)
	v_add_f32_e32 v13, v21, v13
	s_or_b32 exec_lo, exec_lo, s0
	s_and_saveexec_b32 s0, vcc_lo
	s_cbranch_execz .LBB177_624
.LBB177_730:
	v_lshl_add_u32 v21, v1, 2, v20
	ds_load_b32 v21, v21 offset:512
	s_waitcnt lgkmcnt(0)
	v_add_f32_e32 v11, v21, v11
	s_or_b32 exec_lo, exec_lo, s0
	s_and_saveexec_b32 s0, vcc_lo
	s_cbranch_execz .LBB177_625
.LBB177_731:
	v_lshl_add_u32 v21, v1, 2, v20
	ds_load_b32 v21, v21 offset:576
	s_waitcnt lgkmcnt(0)
	v_add_f32_e32 v10, v21, v10
	s_or_b32 exec_lo, exec_lo, s0
	s_and_saveexec_b32 s0, vcc_lo
	s_cbranch_execz .LBB177_626
.LBB177_732:
	v_lshl_add_u32 v21, v1, 2, v20
	ds_load_b32 v21, v21 offset:640
	s_waitcnt lgkmcnt(0)
	v_add_f32_e32 v9, v21, v9
	s_or_b32 exec_lo, exec_lo, s0
	s_and_saveexec_b32 s0, vcc_lo
	s_cbranch_execz .LBB177_627
.LBB177_733:
	v_lshl_add_u32 v21, v1, 2, v20
	ds_load_b32 v21, v21 offset:704
	s_waitcnt lgkmcnt(0)
	v_add_f32_e32 v8, v21, v8
	s_or_b32 exec_lo, exec_lo, s0
	s_and_saveexec_b32 s0, vcc_lo
	s_cbranch_execz .LBB177_628
.LBB177_734:
	v_lshl_add_u32 v21, v1, 2, v20
	ds_load_b32 v21, v21 offset:768
	s_waitcnt lgkmcnt(0)
	v_add_f32_e32 v7, v21, v7
	s_or_b32 exec_lo, exec_lo, s0
	s_and_saveexec_b32 s0, vcc_lo
	s_cbranch_execz .LBB177_629
.LBB177_735:
	v_lshl_add_u32 v21, v1, 2, v20
	ds_load_b32 v21, v21 offset:832
	s_waitcnt lgkmcnt(0)
	v_add_f32_e32 v6, v21, v6
	s_or_b32 exec_lo, exec_lo, s0
	s_and_saveexec_b32 s0, vcc_lo
	s_cbranch_execz .LBB177_630
.LBB177_736:
	v_lshl_add_u32 v21, v1, 2, v20
	ds_load_b32 v21, v21 offset:896
	s_waitcnt lgkmcnt(0)
	v_add_f32_e32 v3, v21, v3
	s_or_b32 exec_lo, exec_lo, s0
	s_and_saveexec_b32 s0, vcc_lo
	s_cbranch_execnz .LBB177_631
	s_branch .LBB177_632
.LBB177_737:
	ds_load_b32 v20, v1
	s_waitcnt lgkmcnt(0)
	v_add_f32_e32 v0, v20, v0
	s_or_b32 exec_lo, exec_lo, s3
	s_and_saveexec_b32 s3, vcc_lo
	s_cbranch_execz .LBB177_638
.LBB177_738:
	ds_load_b32 v20, v1 offset:64
	s_waitcnt lgkmcnt(0)
	v_add_f32_e32 v19, v20, v19
	s_or_b32 exec_lo, exec_lo, s3
	s_and_saveexec_b32 s3, vcc_lo
	s_cbranch_execz .LBB177_639
.LBB177_739:
	ds_load_b32 v20, v1 offset:128
	s_waitcnt lgkmcnt(0)
	v_add_f32_e32 v18, v20, v18
	s_or_b32 exec_lo, exec_lo, s3
	s_and_saveexec_b32 s3, vcc_lo
	s_cbranch_execz .LBB177_640
.LBB177_740:
	ds_load_b32 v20, v1 offset:192
	s_waitcnt lgkmcnt(0)
	v_add_f32_e32 v17, v20, v17
	s_or_b32 exec_lo, exec_lo, s3
	s_and_saveexec_b32 s3, vcc_lo
	s_cbranch_execz .LBB177_641
.LBB177_741:
	ds_load_b32 v20, v1 offset:256
	s_waitcnt lgkmcnt(0)
	v_add_f32_e32 v16, v20, v16
	s_or_b32 exec_lo, exec_lo, s3
	s_and_saveexec_b32 s3, vcc_lo
	s_cbranch_execz .LBB177_642
.LBB177_742:
	ds_load_b32 v20, v1 offset:320
	s_waitcnt lgkmcnt(0)
	v_add_f32_e32 v15, v20, v15
	s_or_b32 exec_lo, exec_lo, s3
	s_and_saveexec_b32 s3, vcc_lo
	s_cbranch_execz .LBB177_643
.LBB177_743:
	ds_load_b32 v20, v1 offset:384
	s_waitcnt lgkmcnt(0)
	v_add_f32_e32 v14, v20, v14
	s_or_b32 exec_lo, exec_lo, s3
	s_and_saveexec_b32 s3, vcc_lo
	s_cbranch_execz .LBB177_644
.LBB177_744:
	ds_load_b32 v20, v1 offset:448
	s_waitcnt lgkmcnt(0)
	v_add_f32_e32 v13, v20, v13
	s_or_b32 exec_lo, exec_lo, s3
	s_and_saveexec_b32 s3, vcc_lo
	s_cbranch_execz .LBB177_645
.LBB177_745:
	ds_load_b32 v20, v1 offset:512
	s_waitcnt lgkmcnt(0)
	v_add_f32_e32 v11, v20, v11
	s_or_b32 exec_lo, exec_lo, s3
	s_and_saveexec_b32 s3, vcc_lo
	s_cbranch_execz .LBB177_646
.LBB177_746:
	ds_load_b32 v20, v1 offset:576
	s_waitcnt lgkmcnt(0)
	v_add_f32_e32 v10, v20, v10
	s_or_b32 exec_lo, exec_lo, s3
	s_and_saveexec_b32 s3, vcc_lo
	s_cbranch_execz .LBB177_647
.LBB177_747:
	ds_load_b32 v20, v1 offset:640
	s_waitcnt lgkmcnt(0)
	v_add_f32_e32 v9, v20, v9
	s_or_b32 exec_lo, exec_lo, s3
	s_and_saveexec_b32 s3, vcc_lo
	s_cbranch_execz .LBB177_648
.LBB177_748:
	ds_load_b32 v20, v1 offset:704
	s_waitcnt lgkmcnt(0)
	v_add_f32_e32 v8, v20, v8
	s_or_b32 exec_lo, exec_lo, s3
	s_and_saveexec_b32 s3, vcc_lo
	s_cbranch_execz .LBB177_649
.LBB177_749:
	ds_load_b32 v20, v1 offset:768
	s_waitcnt lgkmcnt(0)
	v_add_f32_e32 v7, v20, v7
	s_or_b32 exec_lo, exec_lo, s3
	s_and_saveexec_b32 s3, vcc_lo
	s_cbranch_execz .LBB177_650
.LBB177_750:
	ds_load_b32 v20, v1 offset:832
	s_waitcnt lgkmcnt(0)
	v_add_f32_e32 v6, v20, v6
	s_or_b32 exec_lo, exec_lo, s3
	s_and_saveexec_b32 s3, vcc_lo
	s_cbranch_execz .LBB177_651
.LBB177_751:
	ds_load_b32 v20, v1 offset:896
	s_waitcnt lgkmcnt(0)
	v_add_f32_e32 v3, v20, v3
	s_or_b32 exec_lo, exec_lo, s3
	s_and_saveexec_b32 s3, vcc_lo
	s_cbranch_execnz .LBB177_652
	s_branch .LBB177_653
.Lfunc_end177:
	.size	_ZN4vllm22paged_attention_kernelI14__hip_bfloat16S1_Li256ELi16ELi128ELNS_18Fp8KVCacheDataTypeE0ELb0ELi512EEEvPfS3_PT_PKS4_PKT0_SA_ifPKiSC_iPKfiiiSE_SE_iiiii, .Lfunc_end177-_ZN4vllm22paged_attention_kernelI14__hip_bfloat16S1_Li256ELi16ELi128ELNS_18Fp8KVCacheDataTypeE0ELb0ELi512EEEvPfS3_PT_PKS4_PKT0_SA_ifPKiSC_iPKfiiiSE_SE_iiiii
                                        ; -- End function
	.section	.AMDGPU.csdata,"",@progbits
; Function info:
; codeLenInByte = 30828
; NumSgprs: 35
; NumVgprs: 187
; ScratchSize: 304
; MemoryBound: 0
	.section	.text._ZN4vllm25paged_attention_v2_kernelI14__hip_bfloat16S1_Li256ELi16ELi128ELNS_18Fp8KVCacheDataTypeE0ELb0ELi512EEEvPfS3_PT_PKS4_PKT0_SA_ifPKiSC_iPKfiiiSE_SE_iiiii,"axG",@progbits,_ZN4vllm25paged_attention_v2_kernelI14__hip_bfloat16S1_Li256ELi16ELi128ELNS_18Fp8KVCacheDataTypeE0ELb0ELi512EEEvPfS3_PT_PKS4_PKT0_SA_ifPKiSC_iPKfiiiSE_SE_iiiii,comdat
	.protected	_ZN4vllm25paged_attention_v2_kernelI14__hip_bfloat16S1_Li256ELi16ELi128ELNS_18Fp8KVCacheDataTypeE0ELb0ELi512EEEvPfS3_PT_PKS4_PKT0_SA_ifPKiSC_iPKfiiiSE_SE_iiiii ; -- Begin function _ZN4vllm25paged_attention_v2_kernelI14__hip_bfloat16S1_Li256ELi16ELi128ELNS_18Fp8KVCacheDataTypeE0ELb0ELi512EEEvPfS3_PT_PKS4_PKT0_SA_ifPKiSC_iPKfiiiSE_SE_iiiii
	.globl	_ZN4vllm25paged_attention_v2_kernelI14__hip_bfloat16S1_Li256ELi16ELi128ELNS_18Fp8KVCacheDataTypeE0ELb0ELi512EEEvPfS3_PT_PKS4_PKT0_SA_ifPKiSC_iPKfiiiSE_SE_iiiii
	.p2align	8
	.type	_ZN4vllm25paged_attention_v2_kernelI14__hip_bfloat16S1_Li256ELi16ELi128ELNS_18Fp8KVCacheDataTypeE0ELb0ELi512EEEvPfS3_PT_PKS4_PKT0_SA_ifPKiSC_iPKfiiiSE_SE_iiiii,@function
_ZN4vllm25paged_attention_v2_kernelI14__hip_bfloat16S1_Li256ELi16ELi128ELNS_18Fp8KVCacheDataTypeE0ELb0ELi512EEEvPfS3_PT_PKS4_PKT0_SA_ifPKiSC_iPKfiiiSE_SE_iiiii: ; @_ZN4vllm25paged_attention_v2_kernelI14__hip_bfloat16S1_Li256ELi16ELi128ELNS_18Fp8KVCacheDataTypeE0ELb0ELi512EEEvPfS3_PT_PKS4_PKT0_SA_ifPKiSC_iPKfiiiSE_SE_iiiii
; %bb.0:
	s_mov_b32 s12, s13
	s_clause 0x5
	s_load_b256 s[24:31], s[0:1], 0x0
	s_load_b256 s[16:23], s[0:1], 0x20
	s_load_b64 s[2:3], s[0:1], 0x40
	s_load_b64 s[10:11], s[0:1], 0x50
	s_load_b32 s13, s[0:1], 0x48
	s_load_b128 s[4:7], s[0:1], 0x58
	v_mov_b32_e32 v31, v0
	s_add_u32 s8, s0, 0x90
	s_addc_u32 s9, s1, 0
	s_mov_b32 s32, 0
	s_getpc_b64 s[0:1]
	s_add_u32 s0, s0, _ZN4vllm22paged_attention_kernelI14__hip_bfloat16S1_Li256ELi16ELi128ELNS_18Fp8KVCacheDataTypeE0ELb0ELi512EEEvPfS3_PT_PKS4_PKT0_SA_ifPKiSC_iPKfiiiSE_SE_iiiii@rel32@lo+4
	s_addc_u32 s1, s1, _ZN4vllm22paged_attention_kernelI14__hip_bfloat16S1_Li256ELi16ELi128ELNS_18Fp8KVCacheDataTypeE0ELb0ELi512EEEvPfS3_PT_PKS4_PKT0_SA_ifPKiSC_iPKfiiiSE_SE_iiiii@rel32@hi+12
	s_waitcnt lgkmcnt(0)
	v_dual_mov_b32 v0, s24 :: v_dual_mov_b32 v1, s25
	v_dual_mov_b32 v2, s26 :: v_dual_mov_b32 v3, s27
	;; [unrolled: 1-line block ×12, first 2 shown]
	s_mov_b32 s13, s14
	s_mov_b32 s14, s15
	;; [unrolled: 1-line block ×3, first 2 shown]
	s_swappc_b64 s[30:31], s[0:1]
	s_endpgm
	.section	.rodata,"a",@progbits
	.p2align	6, 0x0
	.amdhsa_kernel _ZN4vllm25paged_attention_v2_kernelI14__hip_bfloat16S1_Li256ELi16ELi128ELNS_18Fp8KVCacheDataTypeE0ELb0ELi512EEEvPfS3_PT_PKS4_PKT0_SA_ifPKiSC_iPKfiiiSE_SE_iiiii
		.amdhsa_group_segment_fixed_size 544
		.amdhsa_private_segment_fixed_size 304
		.amdhsa_kernarg_size 400
		.amdhsa_user_sgpr_count 13
		.amdhsa_user_sgpr_dispatch_ptr 0
		.amdhsa_user_sgpr_queue_ptr 0
		.amdhsa_user_sgpr_kernarg_segment_ptr 1
		.amdhsa_user_sgpr_dispatch_id 0
		.amdhsa_user_sgpr_private_segment_size 0
		.amdhsa_wavefront_size32 1
		.amdhsa_uses_dynamic_stack 0
		.amdhsa_enable_private_segment 1
		.amdhsa_system_sgpr_workgroup_id_x 1
		.amdhsa_system_sgpr_workgroup_id_y 1
		.amdhsa_system_sgpr_workgroup_id_z 1
		.amdhsa_system_sgpr_workgroup_info 0
		.amdhsa_system_vgpr_workitem_id 0
		.amdhsa_next_free_vgpr 187
		.amdhsa_next_free_sgpr 33
		.amdhsa_reserve_vcc 1
		.amdhsa_float_round_mode_32 0
		.amdhsa_float_round_mode_16_64 0
		.amdhsa_float_denorm_mode_32 3
		.amdhsa_float_denorm_mode_16_64 3
		.amdhsa_dx10_clamp 1
		.amdhsa_ieee_mode 1
		.amdhsa_fp16_overflow 0
		.amdhsa_workgroup_processor_mode 1
		.amdhsa_memory_ordered 1
		.amdhsa_forward_progress 0
		.amdhsa_shared_vgpr_count 0
		.amdhsa_exception_fp_ieee_invalid_op 0
		.amdhsa_exception_fp_denorm_src 0
		.amdhsa_exception_fp_ieee_div_zero 0
		.amdhsa_exception_fp_ieee_overflow 0
		.amdhsa_exception_fp_ieee_underflow 0
		.amdhsa_exception_fp_ieee_inexact 0
		.amdhsa_exception_int_div_zero 0
	.end_amdhsa_kernel
	.section	.text._ZN4vllm25paged_attention_v2_kernelI14__hip_bfloat16S1_Li256ELi16ELi128ELNS_18Fp8KVCacheDataTypeE0ELb0ELi512EEEvPfS3_PT_PKS4_PKT0_SA_ifPKiSC_iPKfiiiSE_SE_iiiii,"axG",@progbits,_ZN4vllm25paged_attention_v2_kernelI14__hip_bfloat16S1_Li256ELi16ELi128ELNS_18Fp8KVCacheDataTypeE0ELb0ELi512EEEvPfS3_PT_PKS4_PKT0_SA_ifPKiSC_iPKfiiiSE_SE_iiiii,comdat
.Lfunc_end178:
	.size	_ZN4vllm25paged_attention_v2_kernelI14__hip_bfloat16S1_Li256ELi16ELi128ELNS_18Fp8KVCacheDataTypeE0ELb0ELi512EEEvPfS3_PT_PKS4_PKT0_SA_ifPKiSC_iPKfiiiSE_SE_iiiii, .Lfunc_end178-_ZN4vllm25paged_attention_v2_kernelI14__hip_bfloat16S1_Li256ELi16ELi128ELNS_18Fp8KVCacheDataTypeE0ELb0ELi512EEEvPfS3_PT_PKS4_PKT0_SA_ifPKiSC_iPKfiiiSE_SE_iiiii
                                        ; -- End function
	.section	.AMDGPU.csdata,"",@progbits
; Kernel info:
; codeLenInByte = 216
; NumSgprs: 35
; NumVgprs: 187
; ScratchSize: 304
; MemoryBound: 0
; FloatMode: 240
; IeeeMode: 1
; LDSByteSize: 544 bytes/workgroup (compile time only)
; SGPRBlocks: 4
; VGPRBlocks: 23
; NumSGPRsForWavesPerEU: 35
; NumVGPRsForWavesPerEU: 187
; Occupancy: 8
; WaveLimiterHint : 1
; COMPUTE_PGM_RSRC2:SCRATCH_EN: 1
; COMPUTE_PGM_RSRC2:USER_SGPR: 13
; COMPUTE_PGM_RSRC2:TRAP_HANDLER: 0
; COMPUTE_PGM_RSRC2:TGID_X_EN: 1
; COMPUTE_PGM_RSRC2:TGID_Y_EN: 1
; COMPUTE_PGM_RSRC2:TGID_Z_EN: 1
; COMPUTE_PGM_RSRC2:TIDIG_COMP_CNT: 0
	.section	.text._ZN4vllm25paged_attention_v2_kernelI14__hip_bfloat16S1_Li32ELi32ELi128ELNS_18Fp8KVCacheDataTypeE0ELb1ELi512EEEvPfS3_PT_PKS4_PKT0_SA_ifPKiSC_iPKfiiiSE_SE_iiiii,"axG",@progbits,_ZN4vllm25paged_attention_v2_kernelI14__hip_bfloat16S1_Li32ELi32ELi128ELNS_18Fp8KVCacheDataTypeE0ELb1ELi512EEEvPfS3_PT_PKS4_PKT0_SA_ifPKiSC_iPKfiiiSE_SE_iiiii,comdat
	.protected	_ZN4vllm25paged_attention_v2_kernelI14__hip_bfloat16S1_Li32ELi32ELi128ELNS_18Fp8KVCacheDataTypeE0ELb1ELi512EEEvPfS3_PT_PKS4_PKT0_SA_ifPKiSC_iPKfiiiSE_SE_iiiii ; -- Begin function _ZN4vllm25paged_attention_v2_kernelI14__hip_bfloat16S1_Li32ELi32ELi128ELNS_18Fp8KVCacheDataTypeE0ELb1ELi512EEEvPfS3_PT_PKS4_PKT0_SA_ifPKiSC_iPKfiiiSE_SE_iiiii
	.globl	_ZN4vllm25paged_attention_v2_kernelI14__hip_bfloat16S1_Li32ELi32ELi128ELNS_18Fp8KVCacheDataTypeE0ELb1ELi512EEEvPfS3_PT_PKS4_PKT0_SA_ifPKiSC_iPKfiiiSE_SE_iiiii
	.p2align	8
	.type	_ZN4vllm25paged_attention_v2_kernelI14__hip_bfloat16S1_Li32ELi32ELi128ELNS_18Fp8KVCacheDataTypeE0ELb1ELi512EEEvPfS3_PT_PKS4_PKT0_SA_ifPKiSC_iPKfiiiSE_SE_iiiii,@function
_ZN4vllm25paged_attention_v2_kernelI14__hip_bfloat16S1_Li32ELi32ELi128ELNS_18Fp8KVCacheDataTypeE0ELb1ELi512EEEvPfS3_PT_PKS4_PKT0_SA_ifPKiSC_iPKfiiiSE_SE_iiiii: ; @_ZN4vllm25paged_attention_v2_kernelI14__hip_bfloat16S1_Li32ELi32ELi128ELNS_18Fp8KVCacheDataTypeE0ELb1ELi512EEEvPfS3_PT_PKS4_PKT0_SA_ifPKiSC_iPKfiiiSE_SE_iiiii
; %bb.0:
	s_load_b64 s[2:3], s[0:1], 0x40
	s_mov_b32 s12, s15
	s_ashr_i32 s15, s14, 31
	s_mov_b32 s24, s13
	s_lshl_b64 s[4:5], s[14:15], 2
	s_waitcnt lgkmcnt(0)
	s_add_u32 s2, s2, s4
	s_addc_u32 s3, s3, s5
	s_lshl_b32 s13, s12, 9
	s_load_b32 s33, s[2:3], 0x0
	s_waitcnt lgkmcnt(0)
	s_cmp_ge_i32 s13, s33
	s_cbranch_scc1 .LBB179_245
; %bb.1:
	s_clause 0x1
	s_load_b32 s15, s[0:1], 0x90
	s_load_b64 s[2:3], s[0:1], 0x30
	s_mov_b32 s37, 0
	s_waitcnt lgkmcnt(0)
	s_abs_i32 s7, s15
	s_abs_i32 s4, s2
	s_delay_alu instid0(SALU_CYCLE_1) | instskip(SKIP_1) | instid1(VALU_DEP_1)
	v_cvt_f32_u32_e32 v1, s4
	s_sub_i32 s6, 0, s4
	v_rcp_iflag_f32_e32 v1, v1
	s_waitcnt_depctr 0xfff
	v_mul_f32_e32 v1, 0x4f7ffffe, v1
	s_delay_alu instid0(VALU_DEP_1) | instskip(NEXT) | instid1(VALU_DEP_1)
	v_cvt_u32_f32_e32 v1, v1
	v_readfirstlane_b32 s5, v1
	s_delay_alu instid0(VALU_DEP_1) | instskip(NEXT) | instid1(SALU_CYCLE_1)
	s_mul_i32 s6, s6, s5
	s_mul_hi_u32 s6, s5, s6
	s_delay_alu instid0(SALU_CYCLE_1) | instskip(SKIP_4) | instid1(SALU_CYCLE_1)
	s_add_i32 s5, s5, s6
	s_xor_b32 s6, s15, s2
	s_mul_hi_u32 s5, s7, s5
	s_ashr_i32 s6, s6, 31
	s_mul_i32 s8, s5, s4
	s_sub_i32 s7, s7, s8
	s_add_i32 s8, s5, 1
	s_sub_i32 s9, s7, s4
	s_cmp_ge_u32 s7, s4
	s_cselect_b32 s5, s8, s5
	s_cselect_b32 s7, s9, s7
	s_add_i32 s8, s5, 1
	s_cmp_ge_u32 s7, s4
	s_cselect_b32 s4, s8, s5
	s_abs_i32 s17, s24
	s_xor_b32 s4, s4, s6
	s_delay_alu instid0(SALU_CYCLE_1) | instskip(SKIP_2) | instid1(SALU_CYCLE_1)
	s_sub_i32 s8, s4, s6
	s_load_b64 s[4:5], s[0:1], 0x50
	s_abs_i32 s16, s8
	v_cvt_f32_u32_e32 v1, s16
	s_sub_i32 s7, 0, s16
	s_delay_alu instid0(VALU_DEP_1) | instskip(SKIP_2) | instid1(VALU_DEP_1)
	v_rcp_iflag_f32_e32 v1, v1
	s_waitcnt_depctr 0xfff
	v_mul_f32_e32 v1, 0x4f7ffffe, v1
	v_cvt_u32_f32_e32 v1, v1
	s_delay_alu instid0(VALU_DEP_1) | instskip(NEXT) | instid1(VALU_DEP_1)
	v_readfirstlane_b32 s6, v1
	s_mul_i32 s7, s7, s6
	s_delay_alu instid0(SALU_CYCLE_1) | instskip(NEXT) | instid1(SALU_CYCLE_1)
	s_mul_hi_u32 s7, s6, s7
	s_add_i32 s6, s6, s7
	s_waitcnt lgkmcnt(0)
	s_cmp_eq_u64 s[4:5], 0
	s_mul_hi_u32 s18, s17, s6
	s_cbranch_scc1 .LBB179_3
; %bb.2:
	s_ashr_i32 s25, s24, 31
	s_delay_alu instid0(SALU_CYCLE_1) | instskip(NEXT) | instid1(SALU_CYCLE_1)
	s_lshl_b64 s[6:7], s[24:25], 2
	s_add_u32 s4, s4, s6
	s_addc_u32 s5, s5, s7
	s_load_b32 s37, s[4:5], 0x0
.LBB179_3:
	s_load_b128 s[4:7], s[0:1], 0x58
	v_lshlrev_b32_e32 v3, 4, v0
	s_waitcnt lgkmcnt(0)
	s_ashr_i32 s7, s24, 31
	s_ashr_i32 s19, s8, 31
	s_lshl_b32 s20, s24, 5
	s_mov_b32 s8, exec_lo
	v_cmpx_gt_u32_e32 4, v0
	s_cbranch_execz .LBB179_5
; %bb.4:
	s_load_b64 s[10:11], s[0:1], 0x18
	s_mul_i32 s22, s14, s4
	s_delay_alu instid0(SALU_CYCLE_1) | instskip(NEXT) | instid1(SALU_CYCLE_1)
	s_ashr_i32 s23, s22, 31
	s_lshl_b64 s[22:23], s[22:23], 1
	s_waitcnt lgkmcnt(0)
	s_add_u32 s4, s10, s22
	s_addc_u32 s9, s11, s23
	s_ashr_i32 s21, s20, 31
	s_delay_alu instid0(SALU_CYCLE_1) | instskip(NEXT) | instid1(SALU_CYCLE_1)
	s_lshl_b64 s[10:11], s[20:21], 1
	s_add_u32 s10, s4, s10
	s_addc_u32 s11, s9, s11
	global_load_b128 v[4:7], v3, s[10:11]
	s_waitcnt vmcnt(0)
	ds_store_b128 v3, v[4:7]
.LBB179_5:
	s_or_b32 exec_lo, exec_lo, s8
	s_load_b128 s[8:11], s[0:1], 0x78
	s_mul_i32 s4, s18, s16
	s_xor_b32 s7, s7, s19
	s_sub_i32 s4, s17, s4
	s_add_i32 s17, s18, 1
	s_sub_i32 s19, s4, s16
	s_cmp_ge_u32 s4, s16
	s_waitcnt lgkmcnt(0)
	s_cselect_b32 s17, s17, s18
	s_cselect_b32 s4, s19, s4
	s_add_i32 s18, s17, 1
	s_cmp_ge_u32 s4, s16
	s_load_b32 s4, s[0:1], 0x88
	s_cselect_b32 s16, s18, s17
	s_mov_b32 s17, -1
	s_xor_b32 s16, s16, s7
	s_waitcnt lgkmcnt(0)
	s_barrier
	s_sub_i32 s7, s16, s7
	buffer_gl0_inv
                                        ; implicit-def: $sgpr34
	s_abs_i32 s21, s11
	s_delay_alu instid0(SALU_CYCLE_1) | instskip(SKIP_1) | instid1(VALU_DEP_1)
	v_cvt_f32_u32_e32 v1, s21
	s_sub_i32 s16, 0, s21
	v_rcp_iflag_f32_e32 v1, v1
	s_waitcnt_depctr 0xfff
	v_mul_f32_e32 v1, 0x4f7ffffe, v1
	s_delay_alu instid0(VALU_DEP_1) | instskip(NEXT) | instid1(VALU_DEP_1)
	v_cvt_u32_f32_e32 v1, v1
	v_readfirstlane_b32 s25, v1
	s_delay_alu instid0(VALU_DEP_1)
	s_mul_i32 s18, s16, s25
	s_add_i32 s16, s33, -1
	s_mul_hi_u32 s18, s25, s18
	s_abs_i32 s28, s16
	s_add_i32 s25, s25, s18
	s_cmp_lt_i32 s4, 0
	s_mul_hi_u32 s35, s28, s25
	s_cbranch_scc0 .LBB179_7
; %bb.6:
	s_mul_i32 s2, s8, s2
	s_mov_b32 s17, 0
	s_add_i32 s2, s7, s2
	s_delay_alu instid0(SALU_CYCLE_1) | instskip(NEXT) | instid1(SALU_CYCLE_1)
	s_mul_i32 s2, s2, s4
	s_sub_i32 s34, 1, s2
.LBB179_7:
	s_load_b64 s[26:27], s[0:1], 0x38
	s_ashr_i32 s2, s16, 31
	s_and_not1_b32 vcc_lo, exec_lo, s17
	s_ashr_i32 s11, s11, 31
	s_cbranch_vccnz .LBB179_9
; %bb.8:
	s_mul_i32 s8, s15, s8
	s_delay_alu instid0(SALU_CYCLE_1) | instskip(NEXT) | instid1(SALU_CYCLE_1)
	s_add_i32 s8, s8, s24
	s_mul_i32 s4, s8, s4
	s_delay_alu instid0(SALU_CYCLE_1)
	s_add_i32 s34, s4, 1
.LBB179_9:
	s_clause 0x4
	s_load_b32 s8, s[0:1], 0x48
	s_load_b64 s[30:31], s[0:1], 0x28
	s_load_b32 s4, s[0:1], 0x98
	s_load_b128 s[16:19], s[0:1], 0x0
	s_load_b64 s[22:23], s[0:1], 0x10
	s_xor_b32 s36, s2, s11
	s_mul_i32 s2, s35, s21
	s_add_i32 s38, s35, 1
	s_sub_i32 s2, s28, s2
	v_lshrrev_b32_e32 v12, 5, v0
	v_and_b32_e32 v13, 31, v0
	v_mov_b32_e32 v15, 0xff7fffff
	s_mul_i32 s6, s7, s6
	s_delay_alu instid0(VALU_DEP_3) | instskip(NEXT) | instid1(VALU_DEP_3)
	v_lshl_add_u32 v14, v12, 5, s13
	v_lshlrev_b32_e32 v4, 2, v13
	s_waitcnt lgkmcnt(0)
	s_mul_i32 s28, s14, s8
	s_sub_i32 s8, s2, s21
	s_ashr_i32 s29, s28, 31
	s_cmp_ge_u32 s2, s21
	s_cselect_b32 s35, s38, s35
	s_cselect_b32 s2, s8, s2
	s_add_i32 s8, s35, 1
	s_cmp_ge_u32 s2, s21
	s_cselect_b32 s2, s8, s35
	s_add_i32 s8, s33, 31
	s_lshl_b32 s38, s12, 4
	s_ashr_i32 s35, s8, 31
	v_add_nc_u32_e32 v9, s38, v12
	s_lshr_b32 s35, s35, 27
	s_add_i32 s39, s38, 16
	s_add_i32 s8, s8, s35
	s_xor_b32 s40, s2, s36
	s_ashr_i32 s35, s8, 5
	v_ashrrev_i32_e32 v10, 31, v9
	s_min_i32 s8, s39, s35
	s_sub_i32 s36, s40, s36
	v_cmp_gt_i32_e64 s2, s8, v9
	s_delay_alu instid0(VALU_DEP_1)
	s_and_saveexec_b32 s39, s2
	s_cbranch_execz .LBB179_17
; %bb.10:
	s_load_b64 s[0:1], s[0:1], 0x20
	s_ashr_i32 s7, s6, 31
	v_dual_mov_b32 v5, 0 :: v_dual_lshlrev_b32 v6, 4, v13
	s_lshl_b64 s[42:43], s[6:7], 1
	s_sub_i32 s40, s36, s9
	v_lshlrev_b64 v[1:2], 2, v[9:10]
	ds_load_b128 v[43:46], v5 offset:32
	ds_load_b128 v[47:50], v5 offset:48
	ds_load_b128 v[35:38], v5
	ds_load_b128 v[39:42], v5 offset:16
	v_subrev_nc_u32_e32 v15, s33, v13
	v_lshl_or_b32 v51, v12, 7, v4
	v_cmp_neq_f32_e64 vcc_lo, s37, 0
	s_waitcnt lgkmcnt(0)
	s_add_u32 s41, s0, s42
	s_addc_u32 s42, s1, s43
	s_abs_i32 s7, s10
	v_add_co_u32 v5, s41, s41, v6
	v_cvt_f32_u32_e32 v11, s7
	v_add_co_ci_u32_e64 v6, null, s42, 0, s41
	v_bfi_b32 v19, 0xffff, 0, v47
	v_lshlrev_b32_e32 v20, 16, v47
	s_delay_alu instid0(VALU_DEP_4)
	v_rcp_iflag_f32_e32 v24, v11
	s_sub_i32 s41, 0, s7
	v_bfi_b32 v11, 0xffff, 0, v39
	v_lshlrev_b32_e32 v16, 16, v39
	v_bfi_b32 v33, 0xffff, 0, v45
	v_lshlrev_b32_e32 v34, 16, v45
	s_lshl_b64 s[0:1], s[28:29], 2
	v_bfi_b32 v7, 0xffff, 0, v35
	s_add_u32 s0, s26, s0
	s_addc_u32 s1, s27, s1
	s_waitcnt_depctr 0xfff
	v_mul_f32_e32 v28, 0x4f7ffffe, v24
	v_add_co_u32 v1, s0, s0, v1
	v_lshlrev_b32_e32 v8, 16, v35
	v_bfi_b32 v17, 0xffff, 0, v43
	s_delay_alu instid0(VALU_DEP_4)
	v_cvt_u32_f32_e32 v47, v28
	v_lshlrev_b32_e32 v18, 16, v43
	v_bfi_b32 v21, 0xffff, 0, v36
	v_lshlrev_b32_e32 v22, 16, v36
	v_bfi_b32 v23, 0xffff, 0, v40
	v_mul_lo_u32 v39, s41, v47
	v_lshlrev_b32_e32 v24, 16, v40
	v_bfi_b32 v25, 0xffff, 0, v44
	v_lshlrev_b32_e32 v26, 16, v44
	v_bfi_b32 v27, 0xffff, 0, v48
	;; [unrolled: 2-line block ×3, first 2 shown]
	v_lshlrev_b32_e32 v30, 16, v37
	v_mul_hi_u32 v45, v47, v39
	v_bfi_b32 v31, 0xffff, 0, v41
	v_lshlrev_b32_e32 v32, 16, v41
	v_bfi_b32 v35, 0xffff, 0, v49
	v_dual_mov_b32 v49, 0xff7fffff :: v_dual_lshlrev_b32 v36, 16, v49
	v_bfi_b32 v37, 0xffff, 0, v38
	v_lshlrev_b32_e32 v38, 16, v38
	v_bfi_b32 v39, 0xffff, 0, v42
	v_lshlrev_b32_e32 v40, 16, v42
	;; [unrolled: 2-line block ×4, first 2 shown]
	v_add_nc_u32_e32 v45, v47, v45
	v_add_co_ci_u32_e64 v2, s0, s1, v2, s0
	v_lshl_add_u32 v46, v12, 5, s13
	v_dual_mov_b32 v50, v9 :: v_dual_add_nc_u32 v47, 1, v15
	v_add_nc_u32_e32 v48, 0x60, v51
	v_mov_b32_e32 v15, 0xff7fffff
	s_mov_b32 s42, s5
	s_mov_b32 s41, 0
	s_branch .LBB179_12
.LBB179_11:                             ;   in Loop: Header=BB179_12 Depth=1
	s_or_b32 exec_lo, exec_lo, s1
	v_add_nc_u32_e32 v50, 4, v50
	v_add_co_u32 v1, s1, v1, 16
	s_delay_alu instid0(VALU_DEP_1) | instskip(NEXT) | instid1(VALU_DEP_3)
	v_add_co_ci_u32_e64 v2, s1, 0, v2, s1
	v_cmp_le_i32_e64 s0, s8, v50
	v_add_nc_u32_e32 v46, 0x80, v46
	v_add_nc_u32_e32 v48, 0x200, v48
	s_delay_alu instid0(VALU_DEP_3) | instskip(NEXT) | instid1(SALU_CYCLE_1)
	s_or_b32 s41, s0, s41
	s_and_not1_b32 exec_lo, exec_lo, s41
	s_cbranch_execz .LBB179_16
.LBB179_12:                             ; =>This Inner Loop Header: Depth=1
	v_sub_nc_u32_e32 v51, 0, v46
	s_delay_alu instid0(VALU_DEP_1) | instskip(NEXT) | instid1(VALU_DEP_1)
	v_max_i32_e32 v51, v46, v51
	v_mul_hi_u32 v52, v51, s25
	s_delay_alu instid0(VALU_DEP_1) | instskip(NEXT) | instid1(VALU_DEP_1)
	v_mul_lo_u32 v53, v52, s21
	v_sub_nc_u32_e32 v51, v51, v53
	v_add_nc_u32_e32 v53, 1, v52
	s_delay_alu instid0(VALU_DEP_2) | instskip(SKIP_1) | instid1(VALU_DEP_1)
	v_subrev_nc_u32_e32 v54, s21, v51
	v_cmp_le_u32_e64 s0, s21, v51
	v_cndmask_b32_e64 v52, v52, v53, s0
	s_delay_alu instid0(VALU_DEP_3) | instskip(SKIP_1) | instid1(VALU_DEP_3)
	v_cndmask_b32_e64 v51, v51, v54, s0
	v_ashrrev_i32_e32 v53, 31, v46
	v_add_nc_u32_e32 v54, 1, v52
	s_delay_alu instid0(VALU_DEP_3) | instskip(NEXT) | instid1(VALU_DEP_3)
	v_cmp_le_u32_e64 s0, s21, v51
	v_xor_b32_e32 v53, s11, v53
	s_delay_alu instid0(VALU_DEP_2) | instskip(NEXT) | instid1(VALU_DEP_1)
	v_cndmask_b32_e64 v51, v52, v54, s0
	v_xor_b32_e32 v51, v51, v53
	s_delay_alu instid0(VALU_DEP_1) | instskip(NEXT) | instid1(VALU_DEP_1)
	v_sub_nc_u32_e32 v51, v51, v53
	v_add_nc_u32_e32 v52, s34, v51
	v_cmp_ge_i32_e64 s1, s40, v51
	s_delay_alu instid0(VALU_DEP_2) | instskip(NEXT) | instid1(VALU_DEP_1)
	v_sub_nc_u32_e32 v53, 0, v52
	v_max_i32_e32 v53, v52, v53
	v_ashrrev_i32_e32 v52, 31, v52
	s_delay_alu instid0(VALU_DEP_2) | instskip(NEXT) | instid1(VALU_DEP_1)
	v_mul_hi_u32 v54, v53, v45
	v_mul_lo_u32 v54, v54, s7
	s_delay_alu instid0(VALU_DEP_1) | instskip(NEXT) | instid1(VALU_DEP_1)
	v_sub_nc_u32_e32 v53, v53, v54
	v_subrev_nc_u32_e32 v54, s7, v53
	v_cmp_le_u32_e64 s0, s7, v53
	s_delay_alu instid0(VALU_DEP_1) | instskip(NEXT) | instid1(VALU_DEP_1)
	v_cndmask_b32_e64 v53, v53, v54, s0
	v_subrev_nc_u32_e32 v54, s7, v53
	v_cmp_le_u32_e64 s0, s7, v53
	s_delay_alu instid0(VALU_DEP_1) | instskip(NEXT) | instid1(VALU_DEP_1)
	v_cndmask_b32_e64 v53, v53, v54, s0
	v_xor_b32_e32 v53, v53, v52
	s_delay_alu instid0(VALU_DEP_1) | instskip(NEXT) | instid1(VALU_DEP_1)
	v_sub_nc_u32_e32 v52, v53, v52
	v_cmp_ne_u32_e64 s0, 0, v52
	s_delay_alu instid0(VALU_DEP_1) | instskip(NEXT) | instid1(SALU_CYCLE_1)
	s_and_b32 s0, s0, s1
	s_and_saveexec_b32 s1, s0
	s_delay_alu instid0(SALU_CYCLE_1)
	s_xor_b32 s0, exec_lo, s1
	s_cbranch_execz .LBB179_14
; %bb.13:                               ;   in Loop: Header=BB179_12 Depth=1
	ds_store_b32 v48, v49
.LBB179_14:                             ;   in Loop: Header=BB179_12 Depth=1
	s_and_not1_saveexec_b32 s1, s0
	s_cbranch_execz .LBB179_11
; %bb.15:                               ;   in Loop: Header=BB179_12 Depth=1
	global_load_b32 v53, v[1:2], off
	s_waitcnt vmcnt(0)
	v_mad_i64_i32 v[51:52], null, v53, s42, 0
	s_delay_alu instid0(VALU_DEP_1) | instskip(NEXT) | instid1(VALU_DEP_1)
	v_lshlrev_b64 v[51:52], 1, v[51:52]
	v_add_co_u32 v63, s0, v5, v51
	s_delay_alu instid0(VALU_DEP_1)
	v_add_co_ci_u32_e64 v64, s0, v6, v52, s0
	s_clause 0x3
	global_load_b128 v[51:54], v[63:64], off
	global_load_b128 v[55:58], v[63:64], off offset:512
	global_load_b128 v[59:62], v[63:64], off offset:1024
	;; [unrolled: 1-line block ×3, first 2 shown]
	s_waitcnt vmcnt(3)
	v_lshlrev_b32_e32 v72, 16, v52
	s_waitcnt vmcnt(2)
	v_and_b32_e32 v81, 0xffff0000, v58
	v_lshlrev_b32_e32 v58, 16, v58
	s_waitcnt vmcnt(0)
	v_lshlrev_b32_e32 v75, 16, v64
	v_and_b32_e32 v82, 0xffff0000, v62
	v_and_b32_e32 v78, 0xffff0000, v61
	v_lshlrev_b32_e32 v80, 16, v54
	v_dual_mul_f32 v58, v40, v58 :: v_dual_and_b32 v73, 0xffff0000, v56
	v_lshlrev_b32_e32 v56, 16, v56
	v_add_nc_u32_e32 v67, v47, v46
	s_delay_alu instid0(VALU_DEP_3) | instskip(NEXT) | instid1(VALU_DEP_3)
	v_dual_fmac_f32 v58, v38, v80 :: v_dual_and_b32 v77, 0xffff0000, v57
	v_dual_mul_f32 v56, v24, v56 :: v_dual_lshlrev_b32 v57, 16, v57
	v_and_b32_e32 v69, 0xffff0000, v55
	v_lshlrev_b32_e32 v71, 16, v63
	s_delay_alu instid0(VALU_DEP_3) | instskip(NEXT) | instid1(VALU_DEP_3)
	v_dual_mul_f32 v57, v32, v57 :: v_dual_fmac_f32 v56, v22, v72
	v_dual_mul_f32 v69, v11, v69 :: v_dual_lshlrev_b32 v68, 16, v51
	v_and_b32_e32 v51, 0xffff0000, v51
	s_delay_alu instid0(VALU_DEP_1) | instskip(SKIP_2) | instid1(VALU_DEP_2)
	v_dual_fmac_f32 v69, v7, v51 :: v_dual_and_b32 v52, 0xffff0000, v52
	v_dual_mul_f32 v62, v23, v73 :: v_dual_lshlrev_b32 v51, 16, v62
	v_lshlrev_b32_e32 v55, 16, v55
	v_dual_fmac_f32 v58, v42, v51 :: v_dual_lshlrev_b32 v61, 16, v61
	s_delay_alu instid0(VALU_DEP_2) | instskip(SKIP_1) | instid1(VALU_DEP_2)
	v_dual_fmac_f32 v62, v21, v52 :: v_dual_mul_f32 v55, v16, v55
	v_and_b32_e32 v70, 0xffff0000, v59
	v_dual_mul_f32 v52, v31, v77 :: v_dual_fmac_f32 v55, v8, v68
	v_and_b32_e32 v74, 0xffff0000, v60
	v_lshlrev_b32_e32 v60, 16, v60
	v_lshlrev_b32_e32 v59, 16, v59
	s_delay_alu instid0(VALU_DEP_2) | instskip(NEXT) | instid1(VALU_DEP_2)
	v_dual_fmac_f32 v69, v17, v70 :: v_dual_fmac_f32 v56, v26, v60
	v_fmac_f32_e32 v55, v18, v59
	v_dual_fmac_f32 v62, v25, v74 :: v_dual_and_b32 v63, 0xffff0000, v63
	v_and_b32_e32 v64, 0xffff0000, v64
	s_delay_alu instid0(VALU_DEP_3) | instskip(NEXT) | instid1(VALU_DEP_3)
	v_dual_fmac_f32 v55, v20, v71 :: v_dual_lshlrev_b32 v76, 16, v53
	v_fmac_f32_e32 v69, v19, v63
	s_delay_alu instid0(VALU_DEP_3) | instskip(NEXT) | instid1(VALU_DEP_3)
	v_dual_fmac_f32 v62, v27, v64 :: v_dual_and_b32 v53, 0xffff0000, v53
	v_dual_fmac_f32 v56, v28, v75 :: v_dual_fmac_f32 v57, v30, v76
	s_delay_alu instid0(VALU_DEP_3) | instskip(NEXT) | instid1(VALU_DEP_3)
	v_add_f32_e32 v55, v55, v69
	v_fmac_f32_e32 v52, v29, v53
	s_delay_alu instid0(VALU_DEP_3) | instskip(NEXT) | instid1(VALU_DEP_3)
	v_dual_fmac_f32 v57, v34, v61 :: v_dual_and_b32 v54, 0xffff0000, v54
	v_dual_add_f32 v53, v55, v56 :: v_dual_lshlrev_b32 v56, 16, v66
	v_lshlrev_b32_e32 v79, 16, v65
	v_and_b32_e32 v65, 0xffff0000, v65
	v_mul_f32_e32 v55, v39, v81
	s_delay_alu instid0(VALU_DEP_4) | instskip(SKIP_2) | instid1(VALU_DEP_4)
	v_dual_add_f32 v53, v62, v53 :: v_dual_fmac_f32 v52, v33, v78
	v_fmac_f32_e32 v58, v44, v56
	v_fmac_f32_e32 v57, v36, v79
	;; [unrolled: 1-line block ×3, first 2 shown]
	v_and_b32_e32 v54, 0xffff0000, v66
	v_fmac_f32_e32 v52, v35, v65
	s_delay_alu instid0(VALU_DEP_4) | instskip(SKIP_1) | instid1(VALU_DEP_1)
	v_add_f32_e32 v51, v57, v53
	v_cvt_f32_i32_e32 v53, v67
	v_dual_add_f32 v51, v52, v51 :: v_dual_mul_f32 v52, s37, v53
	v_max_f32_e32 v53, v15, v15
	s_delay_alu instid0(VALU_DEP_2) | instskip(SKIP_1) | instid1(VALU_DEP_1)
	v_dual_add_f32 v51, v58, v51 :: v_dual_cndmask_b32 v52, 0, v52
	v_fmac_f32_e32 v55, v41, v82
	v_fmac_f32_e32 v55, v43, v54
	s_delay_alu instid0(VALU_DEP_1) | instskip(NEXT) | instid1(VALU_DEP_1)
	v_add_f32_e32 v51, v55, v51
	v_dual_fmac_f32 v52, s3, v51 :: v_dual_add_nc_u32 v51, v13, v46
	s_delay_alu instid0(VALU_DEP_1) | instskip(NEXT) | instid1(VALU_DEP_2)
	v_max_f32_e32 v53, v53, v52
	v_cmp_gt_i32_e64 s0, s33, v51
	s_delay_alu instid0(VALU_DEP_1) | instskip(NEXT) | instid1(VALU_DEP_3)
	v_cndmask_b32_e64 v51, 0, v52, s0
	v_cndmask_b32_e64 v15, v15, v53, s0
	ds_store_b32 v48, v51
	s_branch .LBB179_11
.LBB179_16:
	s_or_b32 exec_lo, exec_lo, s41
.LBB179_17:
	s_delay_alu instid0(SALU_CYCLE_1) | instskip(SKIP_2) | instid1(VALU_DEP_2)
	s_or_b32 exec_lo, exec_lo, s39
	v_mbcnt_lo_u32_b32 v1, -1, 0
	v_max_f32_e32 v7, v15, v15
	v_xor_b32_e32 v2, 16, v1
	v_xor_b32_e32 v6, 8, v1
	s_delay_alu instid0(VALU_DEP_2) | instskip(SKIP_1) | instid1(VALU_DEP_3)
	v_cmp_gt_i32_e32 vcc_lo, 32, v2
	v_cndmask_b32_e32 v2, v1, v2, vcc_lo
	v_cmp_gt_i32_e32 vcc_lo, 32, v6
	s_delay_alu instid0(VALU_DEP_2) | instskip(SKIP_4) | instid1(VALU_DEP_1)
	v_lshlrev_b32_e32 v2, 2, v2
	v_cndmask_b32_e32 v6, v1, v6, vcc_lo
	ds_bpermute_b32 v5, v2, v15
	s_waitcnt lgkmcnt(0)
	v_dual_max_f32 v8, v5, v5 :: v_dual_lshlrev_b32 v5, 2, v6
	v_max_f32_e32 v6, v7, v8
	v_xor_b32_e32 v8, 4, v1
	ds_bpermute_b32 v7, v5, v6
	v_cmp_gt_i32_e32 vcc_lo, 32, v8
	s_waitcnt lgkmcnt(0)
	v_dual_cndmask_b32 v8, v1, v8 :: v_dual_max_f32 v11, v7, v7
	s_delay_alu instid0(VALU_DEP_1) | instskip(SKIP_1) | instid1(VALU_DEP_1)
	v_max_f32_e32 v6, v6, v11
	v_xor_b32_e32 v11, 2, v1
	v_cmp_gt_i32_e32 vcc_lo, 32, v11
	v_cndmask_b32_e32 v11, v1, v11, vcc_lo
	s_delay_alu instid0(VALU_DEP_1)
	v_lshlrev_b32_e32 v15, 2, v11
	v_lshlrev_b32_e32 v7, 2, v8
	v_xor_b32_e32 v11, 1, v1
	ds_bpermute_b32 v8, v7, v6
	v_cmp_gt_i32_e32 vcc_lo, 32, v11
	v_cndmask_b32_e32 v11, v1, v11, vcc_lo
	v_cmp_eq_u32_e32 vcc_lo, 0, v13
	s_delay_alu instid0(VALU_DEP_2) | instskip(SKIP_2) | instid1(VALU_DEP_1)
	v_lshlrev_b32_e32 v16, 2, v11
	s_waitcnt lgkmcnt(0)
	v_max_f32_e32 v8, v8, v8
	v_max_f32_e32 v6, v6, v8
	ds_bpermute_b32 v8, v15, v6
	s_waitcnt lgkmcnt(0)
	v_max_f32_e32 v8, v8, v8
	s_delay_alu instid0(VALU_DEP_1)
	v_max_f32_e32 v1, v6, v8
	v_lshlrev_b32_e32 v8, 2, v12
	ds_bpermute_b32 v6, v16, v1
	s_and_saveexec_b32 s0, vcc_lo
	s_cbranch_execz .LBB179_19
; %bb.18:
	s_waitcnt lgkmcnt(0)
	v_dual_max_f32 v6, v6, v6 :: v_dual_max_f32 v1, v1, v1
	s_delay_alu instid0(VALU_DEP_1)
	v_max_f32_e32 v1, v1, v6
	ds_store_b32 v8, v1 offset:64
.LBB179_19:
	s_or_b32 exec_lo, exec_lo, s0
	v_cmp_gt_u32_e64 s0, 4, v13
	v_mov_b32_e32 v1, 0xff7fffff
	s_waitcnt lgkmcnt(0)
	s_barrier
	buffer_gl0_inv
	s_and_saveexec_b32 s1, s0
	s_cbranch_execz .LBB179_21
; %bb.20:
	ds_load_b32 v1, v4 offset:64
.LBB179_21:
	s_or_b32 exec_lo, exec_lo, s1
	s_waitcnt lgkmcnt(0)
	ds_bpermute_b32 v6, v15, v1
	v_max_f32_e32 v1, v1, v1
	s_sub_i32 s1, s8, s38
	v_mov_b32_e32 v11, 0
	s_lshl_b32 s1, s1, 5
	s_delay_alu instid0(SALU_CYCLE_1) | instskip(NEXT) | instid1(SALU_CYCLE_1)
	s_add_i32 s1, s1, s13
	s_min_i32 s1, s1, s33
	s_delay_alu instid0(SALU_CYCLE_1) | instskip(NEXT) | instid1(SALU_CYCLE_1)
	s_sub_i32 s7, s1, s13
	v_cmp_gt_i32_e64 s1, s7, v0
	s_waitcnt lgkmcnt(0)
	v_max_f32_e32 v6, v6, v6
	s_delay_alu instid0(VALU_DEP_1) | instskip(SKIP_3) | instid1(VALU_DEP_1)
	v_max_f32_e32 v1, v1, v6
	ds_bpermute_b32 v6, v16, v1
	s_waitcnt lgkmcnt(0)
	v_max_f32_e32 v6, v6, v6
	v_max_f32_e32 v1, v1, v6
	v_lshl_add_u32 v6, v0, 2, 0x60
	ds_bpermute_b32 v1, v11, v1
	s_and_saveexec_b32 s13, s1
	s_cbranch_execz .LBB179_25
; %bb.22:
	v_lshl_add_u32 v17, v0, 2, 0x60
	v_dual_mov_b32 v11, 0 :: v_dual_mov_b32 v18, v0
	s_mov_b32 s37, 0
	.p2align	6
.LBB179_23:                             ; =>This Inner Loop Header: Depth=1
	ds_load_b32 v19, v17
	v_add_nc_u32_e32 v18, 0x80, v18
	s_delay_alu instid0(VALU_DEP_1) | instskip(NEXT) | instid1(VALU_DEP_1)
	v_cmp_le_i32_e64 s3, s7, v18
	s_or_b32 s37, s3, s37
	s_waitcnt lgkmcnt(0)
	v_sub_f32_e32 v19, v19, v1
	s_delay_alu instid0(VALU_DEP_1) | instskip(NEXT) | instid1(VALU_DEP_1)
	v_mul_f32_e32 v19, 0x3fb8aa3b, v19
	v_exp_f32_e32 v19, v19
	ds_store_b32 v17, v19
	v_add_f32_e32 v11, v11, v19
	v_add_nc_u32_e32 v17, 0x200, v17
	s_and_not1_b32 exec_lo, exec_lo, s37
	s_cbranch_execnz .LBB179_23
; %bb.24:
	s_or_b32 exec_lo, exec_lo, s37
.LBB179_25:
	s_delay_alu instid0(SALU_CYCLE_1)
	s_or_b32 exec_lo, exec_lo, s13
	ds_bpermute_b32 v2, v2, v11
	s_waitcnt lgkmcnt(0)
	v_add_f32_e32 v2, v11, v2
	ds_bpermute_b32 v5, v5, v2
	s_waitcnt lgkmcnt(0)
	v_add_f32_e32 v2, v2, v5
	;; [unrolled: 3-line block ×5, first 2 shown]
	s_and_saveexec_b32 s3, vcc_lo
	s_cbranch_execz .LBB179_27
; %bb.26:
	ds_store_b32 v8, v2 offset:80
.LBB179_27:
	s_or_b32 exec_lo, exec_lo, s3
	s_waitcnt lgkmcnt(0)
	s_barrier
	buffer_gl0_inv
	s_and_saveexec_b32 s3, s0
	s_cbranch_execz .LBB179_29
; %bb.28:
	ds_load_b32 v2, v4 offset:80
.LBB179_29:
	s_or_b32 exec_lo, exec_lo, s3
	s_waitcnt lgkmcnt(0)
	ds_bpermute_b32 v4, v15, v2
	s_waitcnt lgkmcnt(0)
	v_add_f32_e32 v2, v2, v4
	ds_bpermute_b32 v4, v16, v2
	s_waitcnt lgkmcnt(0)
	v_add_f32_e32 v2, v2, v4
	v_mov_b32_e32 v4, 0
	ds_bpermute_b32 v2, v4, v2
	s_and_saveexec_b32 s0, s1
	s_cbranch_execz .LBB179_32
; %bb.30:
	s_waitcnt lgkmcnt(0)
	v_add_f32_e32 v4, 0x358637bd, v2
	s_mov_b32 s1, 0
	s_delay_alu instid0(VALU_DEP_1) | instskip(NEXT) | instid1(VALU_DEP_1)
	v_div_scale_f32 v5, null, v4, v4, 1.0
	v_rcp_f32_e32 v7, v5
	s_waitcnt_depctr 0xfff
	v_fma_f32 v8, -v5, v7, 1.0
	s_delay_alu instid0(VALU_DEP_1) | instskip(SKIP_1) | instid1(VALU_DEP_1)
	v_fmac_f32_e32 v7, v8, v7
	v_div_scale_f32 v11, vcc_lo, 1.0, v4, 1.0
	v_mul_f32_e32 v8, v11, v7
	s_delay_alu instid0(VALU_DEP_1) | instskip(NEXT) | instid1(VALU_DEP_1)
	v_fma_f32 v17, -v5, v8, v11
	v_fmac_f32_e32 v8, v17, v7
	s_delay_alu instid0(VALU_DEP_1) | instskip(NEXT) | instid1(VALU_DEP_1)
	v_fma_f32 v5, -v5, v8, v11
	v_div_fmas_f32 v5, v5, v7, v8
	s_delay_alu instid0(VALU_DEP_1)
	v_div_fixup_f32 v4, v5, v4, 1.0
	v_mov_b32_e32 v5, v0
.LBB179_31:                             ; =>This Inner Loop Header: Depth=1
	ds_load_b32 v7, v6
	v_add_nc_u32_e32 v5, 0x80, v5
	s_delay_alu instid0(VALU_DEP_1)
	v_cmp_le_i32_e32 vcc_lo, s7, v5
	s_or_b32 s1, vcc_lo, s1
	s_waitcnt lgkmcnt(0)
	v_mul_f32_e32 v7, v4, v7
	ds_store_b32 v6, v7
	v_add_nc_u32_e32 v6, 0x200, v6
	s_and_not1_b32 exec_lo, exec_lo, s1
	s_cbranch_execnz .LBB179_31
.LBB179_32:
	s_or_b32 exec_lo, exec_lo, s0
	s_delay_alu instid0(SALU_CYCLE_1)
	s_mov_b32 s0, exec_lo
	s_waitcnt lgkmcnt(0)
	s_barrier
	buffer_gl0_inv
	v_cmpx_eq_u32_e32 0, v0
	s_cbranch_execz .LBB179_34
; %bb.33:
	s_mul_i32 s1, s4, s14
	s_mul_i32 s40, s4, s24
	;; [unrolled: 1-line block ×3, first 2 shown]
	v_mov_b32_e32 v4, 0
	s_ashr_i32 s39, s38, 31
	s_delay_alu instid0(SALU_CYCLE_1) | instskip(NEXT) | instid1(SALU_CYCLE_1)
	s_lshl_b64 s[38:39], s[38:39], 2
	s_add_u32 s1, s18, s38
	s_addc_u32 s3, s19, s39
	s_ashr_i32 s41, s40, 31
	s_delay_alu instid0(SALU_CYCLE_1) | instskip(NEXT) | instid1(SALU_CYCLE_1)
	s_lshl_b64 s[18:19], s[40:41], 2
	s_add_u32 s1, s1, s18
	s_addc_u32 s3, s3, s19
	;; [unrolled: 5-line block ×3, first 2 shown]
	s_add_u32 s1, s16, s38
	s_addc_u32 s3, s17, s39
	s_add_u32 s1, s1, s18
	s_addc_u32 s3, s3, s19
	;; [unrolled: 2-line block ×3, first 2 shown]
	s_clause 0x1
	global_store_b32 v4, v1, s[42:43]
	global_store_b32 v4, v2, s[16:17]
.LBB179_34:
	s_or_b32 exec_lo, exec_lo, s0
	v_dual_mov_b32 v21, 0 :: v_dual_mov_b32 v20, 0
	v_dual_mov_b32 v18, 0 :: v_dual_and_b32 v17, 3, v0
	v_mov_b32_e32 v19, 0
	s_mov_b32 s3, 0
	s_and_saveexec_b32 s1, s2
	s_cbranch_execz .LBB179_208
; %bb.35:
	s_ashr_i32 s7, s6, 31
	s_sub_i32 s2, s36, s9
	s_lshl_b64 s[6:7], s[6:7], 1
	v_dual_mov_b32 v18, 0 :: v_dual_and_b32 v3, 0x1f0, v3
	s_add_u32 s0, s30, s6
	s_addc_u32 s9, s31, s7
	s_abs_i32 s6, s10
	v_dual_mov_b32 v19, 0 :: v_dual_lshlrev_b32 v6, 5, v17
	v_cvt_f32_u32_e32 v1, s6
	s_sub_i32 s7, 0, s6
	v_add_co_u32 v23, s0, s0, v3
	s_lshl_b64 s[16:17], s[28:29], 2
	s_delay_alu instid0(VALU_DEP_2) | instskip(SKIP_4) | instid1(VALU_DEP_3)
	v_rcp_iflag_f32_e32 v1, v1
	v_lshlrev_b32_e32 v4, 3, v0
	v_lshl_or_b32 v6, v12, 7, v6
	v_add_co_ci_u32_e64 v24, null, s9, 0, s0
	v_dual_mov_b32 v20, 0 :: v_dual_mov_b32 v21, 0
	v_add_nc_u32_e32 v25, 0x60, v6
	s_waitcnt_depctr 0xfff
	v_dual_mul_f32 v5, 0x4f7ffffe, v1 :: v_dual_and_b32 v22, 24, v4
	v_lshlrev_b64 v[1:2], 2, v[9:10]
	s_delay_alu instid0(VALU_DEP_2) | instskip(NEXT) | instid1(VALU_DEP_1)
	v_cvt_u32_f32_e32 v5, v5
	v_mul_lo_u32 v4, s7, v5
	s_add_i32 s7, s35, -1
	s_add_u32 s0, s26, s16
	s_addc_u32 s9, s27, s17
	v_add_co_u32 v10, vcc_lo, s0, v1
	v_add_co_ci_u32_e32 v11, vcc_lo, s9, v2, vcc_lo
	s_delay_alu instid0(VALU_DEP_3) | instskip(NEXT) | instid1(VALU_DEP_1)
	v_mul_hi_u32 v3, v5, v4
	v_add_nc_u32_e32 v26, v5, v3
	s_branch .LBB179_38
.LBB179_36:                             ;   in Loop: Header=BB179_38 Depth=1
	s_or_b32 exec_lo, exec_lo, s0
	v_and_b32_e32 v42, 0xffff0000, v51
	v_and_b32_e32 v38, 0xffff0000, v59
	v_and_b32_e32 v43, 0xffff0000, v63
	v_and_b32_e32 v41, 0xffff0000, v49
	v_and_b32_e32 v35, 0xffff0000, v60
	v_and_b32_e32 v36, 0xffff0000, v58
	v_and_b32_e32 v28, 0xffff0000, v28
	v_and_b32_e32 v27, 0xffff0000, v27
	s_delay_alu instid0(VALU_DEP_4) | instskip(SKIP_4) | instid1(VALU_DEP_4)
	v_dual_add_f32 v35, v38, v35 :: v_dual_and_b32 v8, 0xffff0000, v8
	v_and_b32_e32 v38, 0xffff0000, v50
	v_and_b32_e32 v7, 0xffff0000, v7
	;; [unrolled: 1-line block ×4, first 2 shown]
	v_dual_add_f32 v38, v41, v38 :: v_dual_and_b32 v1, 0xffff0000, v1
	s_delay_alu instid0(VALU_DEP_4) | instskip(SKIP_4) | instid1(VALU_DEP_4)
	v_add_f32_e32 v7, v7, v8
	v_dual_add_f32 v8, v27, v28 :: v_dual_and_b32 v41, 0xffff0000, v53
	v_and_b32_e32 v37, 0xffff0000, v57
	v_and_b32_e32 v39, 0xffff0000, v62
	v_dual_add_f32 v1, v1, v5 :: v_dual_and_b32 v2, 0xffff0000, v2
	v_add_f32_e32 v5, v7, v8
	s_delay_alu instid0(VALU_DEP_4)
	v_add_f32_e32 v36, v37, v36
	v_and_b32_e32 v40, 0xffff0000, v61
	v_and_b32_e32 v27, 0xffff0000, v34
	;; [unrolled: 1-line block ×4, first 2 shown]
	v_add_f32_e32 v35, v36, v35
	v_dual_add_f32 v39, v40, v39 :: v_dual_and_b32 v36, 0xffff0000, v54
	v_and_b32_e32 v40, 0xffff0000, v64
	v_and_b32_e32 v31, 0xffff0000, v31
	s_delay_alu instid0(VALU_DEP_3) | instskip(SKIP_3) | instid1(VALU_DEP_3)
	v_dual_add_f32 v35, v35, v39 :: v_dual_and_b32 v4, 0xffff0000, v4
	v_and_b32_e32 v33, 0xffff0000, v33
	v_and_b32_e32 v37, 0xffff0000, v52
	v_add_f32_e32 v36, v41, v36
	v_add_f32_e32 v2, v2, v33
	s_delay_alu instid0(VALU_DEP_3) | instskip(NEXT) | instid1(VALU_DEP_2)
	v_add_f32_e32 v37, v42, v37
	v_add_f32_e32 v1, v1, v2
	s_delay_alu instid0(VALU_DEP_2) | instskip(SKIP_1) | instid1(VALU_DEP_2)
	v_dual_add_f32 v37, v38, v37 :: v_dual_add_f32 v2, v3, v27
	v_dual_add_f32 v7, v29, v30 :: v_dual_and_b32 v32, 0xffff0000, v32
	v_dual_add_f32 v36, v37, v36 :: v_dual_and_b32 v3, 0xffff0000, v6
	s_delay_alu instid0(VALU_DEP_3) | instskip(SKIP_1) | instid1(VALU_DEP_4)
	v_dual_add_f32 v1, v1, v2 :: v_dual_add_f32 v38, v43, v40
	v_and_b32_e32 v39, 0xffff0000, v55
	v_dual_add_f32 v5, v5, v7 :: v_dual_and_b32 v40, 0xffff0000, v56
	s_delay_alu instid0(VALU_DEP_4) | instskip(NEXT) | instid1(VALU_DEP_4)
	v_dual_add_f32 v7, v31, v32 :: v_dual_add_f32 v2, v4, v3
	v_add_f32_e32 v3, v35, v38
	s_delay_alu instid0(VALU_DEP_2) | instskip(NEXT) | instid1(VALU_DEP_3)
	v_dual_add_f32 v6, v39, v40 :: v_dual_add_f32 v5, v5, v7
	v_add_f32_e32 v1, v1, v2
	s_delay_alu instid0(VALU_DEP_2) | instskip(NEXT) | instid1(VALU_DEP_3)
	v_dual_add_f32 v19, v19, v3 :: v_dual_add_f32 v4, v36, v6
	v_add_f32_e32 v18, v18, v5
	s_delay_alu instid0(VALU_DEP_2)
	v_dual_add_f32 v21, v21, v1 :: v_dual_add_f32 v20, v20, v4
.LBB179_37:                             ;   in Loop: Header=BB179_38 Depth=1
	s_or_b32 exec_lo, exec_lo, s9
	v_add_nc_u32_e32 v9, 4, v9
	v_add_co_u32 v10, s0, v10, 16
	s_delay_alu instid0(VALU_DEP_1) | instskip(NEXT) | instid1(VALU_DEP_3)
	v_add_co_ci_u32_e64 v11, s0, 0, v11, s0
	v_cmp_le_i32_e32 vcc_lo, s8, v9
	v_add_nc_u32_e32 v14, 0x80, v14
	v_add_nc_u32_e32 v25, 0x200, v25
	s_or_b32 s3, vcc_lo, s3
	s_delay_alu instid0(SALU_CYCLE_1)
	s_and_not1_b32 exec_lo, exec_lo, s3
	s_cbranch_execz .LBB179_207
.LBB179_38:                             ; =>This Inner Loop Header: Depth=1
	v_sub_nc_u32_e32 v1, 0, v14
	s_delay_alu instid0(VALU_DEP_1) | instskip(NEXT) | instid1(VALU_DEP_1)
	v_max_i32_e32 v1, v14, v1
	v_mul_hi_u32 v2, v1, s25
	s_delay_alu instid0(VALU_DEP_1) | instskip(NEXT) | instid1(VALU_DEP_1)
	v_mul_lo_u32 v3, v2, s21
	v_sub_nc_u32_e32 v1, v1, v3
	v_add_nc_u32_e32 v3, 1, v2
	s_delay_alu instid0(VALU_DEP_2) | instskip(SKIP_1) | instid1(VALU_DEP_2)
	v_subrev_nc_u32_e32 v4, s21, v1
	v_cmp_le_u32_e32 vcc_lo, s21, v1
	v_dual_cndmask_b32 v2, v2, v3 :: v_dual_cndmask_b32 v1, v1, v4
	v_ashrrev_i32_e32 v3, 31, v14
	s_delay_alu instid0(VALU_DEP_2) | instskip(NEXT) | instid1(VALU_DEP_3)
	v_add_nc_u32_e32 v4, 1, v2
	v_cmp_le_u32_e32 vcc_lo, s21, v1
	s_delay_alu instid0(VALU_DEP_3) | instskip(NEXT) | instid1(VALU_DEP_3)
	v_xor_b32_e32 v3, s11, v3
	v_cndmask_b32_e32 v1, v2, v4, vcc_lo
	s_delay_alu instid0(VALU_DEP_1) | instskip(NEXT) | instid1(VALU_DEP_1)
	v_xor_b32_e32 v1, v1, v3
	v_sub_nc_u32_e32 v1, v1, v3
	s_delay_alu instid0(VALU_DEP_1) | instskip(SKIP_1) | instid1(VALU_DEP_2)
	v_add_nc_u32_e32 v2, s34, v1
	v_cmp_lt_i32_e64 s0, s2, v1
	v_sub_nc_u32_e32 v3, 0, v2
	s_delay_alu instid0(VALU_DEP_1) | instskip(NEXT) | instid1(VALU_DEP_1)
	v_max_i32_e32 v3, v2, v3
	v_mul_hi_u32 v4, v3, v26
	s_delay_alu instid0(VALU_DEP_1) | instskip(NEXT) | instid1(VALU_DEP_1)
	v_mul_lo_u32 v4, v4, s6
	v_sub_nc_u32_e32 v3, v3, v4
	s_delay_alu instid0(VALU_DEP_1) | instskip(SKIP_1) | instid1(VALU_DEP_2)
	v_subrev_nc_u32_e32 v4, s6, v3
	v_cmp_le_u32_e32 vcc_lo, s6, v3
	v_cndmask_b32_e32 v3, v3, v4, vcc_lo
	v_ashrrev_i32_e32 v2, 31, v2
	s_delay_alu instid0(VALU_DEP_2) | instskip(SKIP_1) | instid1(VALU_DEP_2)
	v_subrev_nc_u32_e32 v4, s6, v3
	v_cmp_le_u32_e32 vcc_lo, s6, v3
	v_cndmask_b32_e32 v3, v3, v4, vcc_lo
	s_delay_alu instid0(VALU_DEP_1) | instskip(NEXT) | instid1(VALU_DEP_1)
	v_xor_b32_e32 v3, v3, v2
	v_sub_nc_u32_e32 v2, v3, v2
	s_delay_alu instid0(VALU_DEP_1) | instskip(SKIP_1) | instid1(SALU_CYCLE_1)
	v_cmp_eq_u32_e32 vcc_lo, 0, v2
	s_or_b32 s0, vcc_lo, s0
	s_and_saveexec_b32 s9, s0
	s_cbranch_execz .LBB179_37
; %bb.39:                               ;   in Loop: Header=BB179_38 Depth=1
	global_load_b32 v33, v[10:11], off
	ds_load_2addr_b64 v[5:8], v25 offset1:1
	ds_load_2addr_b64 v[1:4], v25 offset0:2 offset1:3
	s_mov_b32 s0, exec_lo
                                        ; implicit-def: $vgpr41
	s_waitcnt lgkmcnt(1)
	v_and_b32_e32 v27, 0x7f800000, v5
	s_delay_alu instid0(VALU_DEP_1)
	v_cmpx_ne_u32_e32 0x7f800000, v27
	s_xor_b32 s0, exec_lo, s0
; %bb.40:                               ;   in Loop: Header=BB179_38 Depth=1
	v_bfe_u32 v27, v5, 16, 1
	s_delay_alu instid0(VALU_DEP_1)
	v_add3_u32 v41, v5, v27, 0x7fff
; %bb.41:                               ;   in Loop: Header=BB179_38 Depth=1
	s_and_not1_saveexec_b32 s0, s0
; %bb.42:                               ;   in Loop: Header=BB179_38 Depth=1
	v_and_b32_e32 v27, 0xffff, v5
	v_or_b32_e32 v28, 0x10000, v5
	s_delay_alu instid0(VALU_DEP_2) | instskip(NEXT) | instid1(VALU_DEP_2)
	v_cmp_eq_u32_e32 vcc_lo, 0, v27
	v_cndmask_b32_e32 v41, v28, v5, vcc_lo
; %bb.43:                               ;   in Loop: Header=BB179_38 Depth=1
	s_or_b32 exec_lo, exec_lo, s0
	v_and_b32_e32 v5, 0x7f800000, v6
	s_mov_b32 s0, exec_lo
                                        ; implicit-def: $vgpr42
	s_delay_alu instid0(VALU_DEP_1)
	v_cmpx_ne_u32_e32 0x7f800000, v5
	s_xor_b32 s0, exec_lo, s0
; %bb.44:                               ;   in Loop: Header=BB179_38 Depth=1
	v_bfe_u32 v5, v6, 16, 1
	s_delay_alu instid0(VALU_DEP_1)
	v_add3_u32 v42, v6, v5, 0x7fff
; %bb.45:                               ;   in Loop: Header=BB179_38 Depth=1
	s_and_not1_saveexec_b32 s0, s0
; %bb.46:                               ;   in Loop: Header=BB179_38 Depth=1
	v_and_b32_e32 v5, 0xffff, v6
	v_or_b32_e32 v27, 0x10000, v6
	s_delay_alu instid0(VALU_DEP_2) | instskip(NEXT) | instid1(VALU_DEP_2)
	v_cmp_eq_u32_e32 vcc_lo, 0, v5
	v_cndmask_b32_e32 v42, v27, v6, vcc_lo
; %bb.47:                               ;   in Loop: Header=BB179_38 Depth=1
	s_or_b32 exec_lo, exec_lo, s0
	v_and_b32_e32 v5, 0x7f800000, v7
	s_mov_b32 s0, exec_lo
                                        ; implicit-def: $vgpr27
	s_delay_alu instid0(VALU_DEP_1)
	v_cmpx_ne_u32_e32 0x7f800000, v5
	s_xor_b32 s0, exec_lo, s0
; %bb.48:                               ;   in Loop: Header=BB179_38 Depth=1
	v_bfe_u32 v5, v7, 16, 1
	s_delay_alu instid0(VALU_DEP_1)
	v_add3_u32 v27, v7, v5, 0x7fff
; %bb.49:                               ;   in Loop: Header=BB179_38 Depth=1
	s_and_not1_saveexec_b32 s0, s0
; %bb.50:                               ;   in Loop: Header=BB179_38 Depth=1
	v_and_b32_e32 v5, 0xffff, v7
	v_or_b32_e32 v6, 0x10000, v7
	s_delay_alu instid0(VALU_DEP_2) | instskip(NEXT) | instid1(VALU_DEP_2)
	v_cmp_eq_u32_e32 vcc_lo, 0, v5
	v_cndmask_b32_e32 v27, v6, v7, vcc_lo
; %bb.51:                               ;   in Loop: Header=BB179_38 Depth=1
	s_or_b32 exec_lo, exec_lo, s0
	v_and_b32_e32 v5, 0x7f800000, v8
	s_mov_b32 s0, exec_lo
                                        ; implicit-def: $vgpr28
	s_delay_alu instid0(VALU_DEP_1)
	v_cmpx_ne_u32_e32 0x7f800000, v5
	s_xor_b32 s0, exec_lo, s0
; %bb.52:                               ;   in Loop: Header=BB179_38 Depth=1
	v_bfe_u32 v5, v8, 16, 1
	s_delay_alu instid0(VALU_DEP_1)
	v_add3_u32 v28, v8, v5, 0x7fff
                                        ; implicit-def: $vgpr5_vgpr6_vgpr7_vgpr8
; %bb.53:                               ;   in Loop: Header=BB179_38 Depth=1
	s_and_not1_saveexec_b32 s0, s0
; %bb.54:                               ;   in Loop: Header=BB179_38 Depth=1
	v_and_b32_e32 v5, 0xffff, v8
	v_or_b32_e32 v6, 0x10000, v8
	s_delay_alu instid0(VALU_DEP_2) | instskip(NEXT) | instid1(VALU_DEP_2)
	v_cmp_eq_u32_e32 vcc_lo, 0, v5
	v_cndmask_b32_e32 v28, v6, v8, vcc_lo
; %bb.55:                               ;   in Loop: Header=BB179_38 Depth=1
	s_or_b32 exec_lo, exec_lo, s0
	s_waitcnt lgkmcnt(0)
	v_and_b32_e32 v5, 0x7f800000, v1
	s_mov_b32 s0, exec_lo
                                        ; implicit-def: $vgpr29
	s_delay_alu instid0(VALU_DEP_1)
	v_cmpx_ne_u32_e32 0x7f800000, v5
	s_xor_b32 s0, exec_lo, s0
; %bb.56:                               ;   in Loop: Header=BB179_38 Depth=1
	v_bfe_u32 v5, v1, 16, 1
	s_delay_alu instid0(VALU_DEP_1)
	v_add3_u32 v29, v1, v5, 0x7fff
; %bb.57:                               ;   in Loop: Header=BB179_38 Depth=1
	s_and_not1_saveexec_b32 s0, s0
; %bb.58:                               ;   in Loop: Header=BB179_38 Depth=1
	v_and_b32_e32 v5, 0xffff, v1
	v_or_b32_e32 v6, 0x10000, v1
	s_delay_alu instid0(VALU_DEP_2) | instskip(NEXT) | instid1(VALU_DEP_2)
	v_cmp_eq_u32_e32 vcc_lo, 0, v5
	v_cndmask_b32_e32 v29, v6, v1, vcc_lo
; %bb.59:                               ;   in Loop: Header=BB179_38 Depth=1
	s_or_b32 exec_lo, exec_lo, s0
	v_and_b32_e32 v1, 0x7f800000, v2
	s_mov_b32 s0, exec_lo
                                        ; implicit-def: $vgpr30
	s_delay_alu instid0(VALU_DEP_1)
	v_cmpx_ne_u32_e32 0x7f800000, v1
	s_xor_b32 s0, exec_lo, s0
; %bb.60:                               ;   in Loop: Header=BB179_38 Depth=1
	v_bfe_u32 v1, v2, 16, 1
	s_delay_alu instid0(VALU_DEP_1)
	v_add3_u32 v30, v2, v1, 0x7fff
; %bb.61:                               ;   in Loop: Header=BB179_38 Depth=1
	s_and_not1_saveexec_b32 s0, s0
; %bb.62:                               ;   in Loop: Header=BB179_38 Depth=1
	v_and_b32_e32 v1, 0xffff, v2
	v_or_b32_e32 v5, 0x10000, v2
	s_delay_alu instid0(VALU_DEP_2) | instskip(NEXT) | instid1(VALU_DEP_2)
	v_cmp_eq_u32_e32 vcc_lo, 0, v1
	v_cndmask_b32_e32 v30, v5, v2, vcc_lo
; %bb.63:                               ;   in Loop: Header=BB179_38 Depth=1
	s_or_b32 exec_lo, exec_lo, s0
	v_and_b32_e32 v1, 0x7f800000, v3
	s_mov_b32 s0, exec_lo
                                        ; implicit-def: $vgpr31
	s_delay_alu instid0(VALU_DEP_1)
	v_cmpx_ne_u32_e32 0x7f800000, v1
	s_xor_b32 s0, exec_lo, s0
; %bb.64:                               ;   in Loop: Header=BB179_38 Depth=1
	v_bfe_u32 v1, v3, 16, 1
	s_delay_alu instid0(VALU_DEP_1)
	v_add3_u32 v31, v3, v1, 0x7fff
; %bb.65:                               ;   in Loop: Header=BB179_38 Depth=1
	s_and_not1_saveexec_b32 s0, s0
; %bb.66:                               ;   in Loop: Header=BB179_38 Depth=1
	v_and_b32_e32 v1, 0xffff, v3
	v_or_b32_e32 v2, 0x10000, v3
	s_delay_alu instid0(VALU_DEP_2) | instskip(NEXT) | instid1(VALU_DEP_2)
	v_cmp_eq_u32_e32 vcc_lo, 0, v1
	v_cndmask_b32_e32 v31, v2, v3, vcc_lo
; %bb.67:                               ;   in Loop: Header=BB179_38 Depth=1
	s_or_b32 exec_lo, exec_lo, s0
	v_and_b32_e32 v1, 0x7f800000, v4
	s_mov_b32 s0, exec_lo
                                        ; implicit-def: $vgpr32
	s_delay_alu instid0(VALU_DEP_1)
	v_cmpx_ne_u32_e32 0x7f800000, v1
	s_xor_b32 s0, exec_lo, s0
; %bb.68:                               ;   in Loop: Header=BB179_38 Depth=1
	v_bfe_u32 v1, v4, 16, 1
	s_delay_alu instid0(VALU_DEP_1)
	v_add3_u32 v32, v4, v1, 0x7fff
                                        ; implicit-def: $vgpr1_vgpr2_vgpr3_vgpr4
; %bb.69:                               ;   in Loop: Header=BB179_38 Depth=1
	s_and_not1_saveexec_b32 s0, s0
; %bb.70:                               ;   in Loop: Header=BB179_38 Depth=1
	v_and_b32_e32 v1, 0xffff, v4
	v_or_b32_e32 v2, 0x10000, v4
	s_delay_alu instid0(VALU_DEP_2) | instskip(NEXT) | instid1(VALU_DEP_2)
	v_cmp_eq_u32_e32 vcc_lo, 0, v1
	v_cndmask_b32_e32 v32, v2, v4, vcc_lo
; %bb.71:                               ;   in Loop: Header=BB179_38 Depth=1
	s_or_b32 exec_lo, exec_lo, s0
	s_waitcnt vmcnt(0)
	v_mad_i64_i32 v[1:2], null, v33, s5, 0
	v_add_nc_u32_e32 v33, v22, v14
	s_delay_alu instid0(VALU_DEP_1) | instskip(NEXT) | instid1(VALU_DEP_3)
	v_add_nc_u32_e32 v40, 1, v33
	v_lshlrev_b64 v[1:2], 1, v[1:2]
	v_add_nc_u32_e32 v39, 2, v33
	v_add_nc_u32_e32 v37, 3, v33
	;; [unrolled: 1-line block ×5, first 2 shown]
	v_add_co_u32 v5, vcc_lo, v23, v1
	v_add_co_ci_u32_e32 v6, vcc_lo, v24, v2, vcc_lo
	v_cmp_eq_u32_e32 vcc_lo, s7, v9
	v_add_nc_u32_e32 v38, 7, v33
	global_load_b128 v[1:4], v[5:6], off
	s_waitcnt vmcnt(0)
	v_lshrrev_b32_e32 v8, 16, v1
	v_lshrrev_b32_e32 v45, 16, v2
	v_lshrrev_b32_e32 v47, 16, v3
	v_lshrrev_b32_e32 v49, 16, v4
	s_and_saveexec_b32 s10, vcc_lo
	s_cbranch_execz .LBB179_73
; %bb.72:                               ;   in Loop: Header=BB179_38 Depth=1
	v_cmp_gt_i32_e64 s0, s33, v33
	s_delay_alu instid0(VALU_DEP_1) | instskip(SKIP_1) | instid1(VALU_DEP_1)
	v_cndmask_b32_e64 v1, 0, v1, s0
	v_cmp_gt_i32_e64 s0, s33, v40
	v_cndmask_b32_e64 v8, 0, v8, s0
	v_cmp_gt_i32_e64 s0, s33, v39
	s_delay_alu instid0(VALU_DEP_1) | instskip(SKIP_1) | instid1(VALU_DEP_1)
	v_cndmask_b32_e64 v2, 0, v2, s0
	v_cmp_gt_i32_e64 s0, s33, v37
	v_cndmask_b32_e64 v45, 0, v45, s0
	;; [unrolled: 5-line block ×4, first 2 shown]
.LBB179_73:                             ;   in Loop: Header=BB179_38 Depth=1
	s_or_b32 exec_lo, exec_lo, s10
	v_and_b32_e32 v41, 0xffff0000, v41
	v_lshlrev_b32_e32 v1, 16, v1
	s_delay_alu instid0(VALU_DEP_1) | instskip(NEXT) | instid1(VALU_DEP_1)
	v_mul_f32_e32 v1, v41, v1
	v_and_b32_e32 v7, 0x7f800000, v1
	s_delay_alu instid0(VALU_DEP_1) | instskip(NEXT) | instid1(VALU_DEP_1)
	v_cmp_ne_u32_e64 s0, 0x7f800000, v7
                                        ; implicit-def: $vgpr7
	s_and_saveexec_b32 s10, s0
	s_delay_alu instid0(SALU_CYCLE_1)
	s_xor_b32 s0, exec_lo, s10
; %bb.74:                               ;   in Loop: Header=BB179_38 Depth=1
	v_bfe_u32 v7, v1, 16, 1
	s_delay_alu instid0(VALU_DEP_1)
	v_add3_u32 v7, v1, v7, 0x7fff
                                        ; implicit-def: $vgpr1
; %bb.75:                               ;   in Loop: Header=BB179_38 Depth=1
	s_and_not1_saveexec_b32 s10, s0
; %bb.76:                               ;   in Loop: Header=BB179_38 Depth=1
	v_and_b32_e32 v7, 0xffff, v1
	v_or_b32_e32 v43, 0x10000, v1
	s_delay_alu instid0(VALU_DEP_2) | instskip(NEXT) | instid1(VALU_DEP_1)
	v_cmp_eq_u32_e64 s0, 0, v7
	v_cndmask_b32_e64 v7, v43, v1, s0
; %bb.77:                               ;   in Loop: Header=BB179_38 Depth=1
	s_or_b32 exec_lo, exec_lo, s10
	v_and_b32_e32 v42, 0xffff0000, v42
	v_lshlrev_b32_e32 v1, 16, v8
	s_delay_alu instid0(VALU_DEP_1) | instskip(NEXT) | instid1(VALU_DEP_1)
	v_mul_f32_e32 v1, v42, v1
	v_and_b32_e32 v8, 0x7f800000, v1
	s_delay_alu instid0(VALU_DEP_1) | instskip(NEXT) | instid1(VALU_DEP_1)
	v_cmp_ne_u32_e64 s0, 0x7f800000, v8
                                        ; implicit-def: $vgpr8
	s_and_saveexec_b32 s10, s0
	s_delay_alu instid0(SALU_CYCLE_1)
	s_xor_b32 s0, exec_lo, s10
; %bb.78:                               ;   in Loop: Header=BB179_38 Depth=1
	v_bfe_u32 v8, v1, 16, 1
	s_delay_alu instid0(VALU_DEP_1)
	v_add3_u32 v8, v1, v8, 0x7fff
                                        ; implicit-def: $vgpr1
; %bb.79:                               ;   in Loop: Header=BB179_38 Depth=1
	s_and_not1_saveexec_b32 s10, s0
; %bb.80:                               ;   in Loop: Header=BB179_38 Depth=1
	v_and_b32_e32 v8, 0xffff, v1
	v_or_b32_e32 v43, 0x10000, v1
	s_delay_alu instid0(VALU_DEP_2) | instskip(NEXT) | instid1(VALU_DEP_1)
	v_cmp_eq_u32_e64 s0, 0, v8
	v_cndmask_b32_e64 v8, v43, v1, s0
; %bb.81:                               ;   in Loop: Header=BB179_38 Depth=1
	s_or_b32 exec_lo, exec_lo, s10
	v_and_b32_e32 v43, 0xffff0000, v27
	v_lshlrev_b32_e32 v1, 16, v2
                                        ; implicit-def: $vgpr27
	s_delay_alu instid0(VALU_DEP_1) | instskip(NEXT) | instid1(VALU_DEP_1)
	v_mul_f32_e32 v1, v43, v1
	v_and_b32_e32 v2, 0x7f800000, v1
	s_delay_alu instid0(VALU_DEP_1) | instskip(NEXT) | instid1(VALU_DEP_1)
	v_cmp_ne_u32_e64 s0, 0x7f800000, v2
	s_and_saveexec_b32 s10, s0
	s_delay_alu instid0(SALU_CYCLE_1)
	s_xor_b32 s0, exec_lo, s10
; %bb.82:                               ;   in Loop: Header=BB179_38 Depth=1
	v_bfe_u32 v2, v1, 16, 1
	s_delay_alu instid0(VALU_DEP_1)
	v_add3_u32 v27, v1, v2, 0x7fff
                                        ; implicit-def: $vgpr1
; %bb.83:                               ;   in Loop: Header=BB179_38 Depth=1
	s_and_not1_saveexec_b32 s10, s0
; %bb.84:                               ;   in Loop: Header=BB179_38 Depth=1
	v_and_b32_e32 v2, 0xffff, v1
	v_or_b32_e32 v27, 0x10000, v1
	s_delay_alu instid0(VALU_DEP_2) | instskip(NEXT) | instid1(VALU_DEP_1)
	v_cmp_eq_u32_e64 s0, 0, v2
	v_cndmask_b32_e64 v27, v27, v1, s0
; %bb.85:                               ;   in Loop: Header=BB179_38 Depth=1
	s_or_b32 exec_lo, exec_lo, s10
	v_and_b32_e32 v44, 0xffff0000, v28
	v_lshlrev_b32_e32 v1, 16, v45
                                        ; implicit-def: $vgpr28
	s_delay_alu instid0(VALU_DEP_1) | instskip(NEXT) | instid1(VALU_DEP_1)
	v_mul_f32_e32 v1, v44, v1
	v_and_b32_e32 v2, 0x7f800000, v1
	s_delay_alu instid0(VALU_DEP_1) | instskip(NEXT) | instid1(VALU_DEP_1)
	v_cmp_ne_u32_e64 s0, 0x7f800000, v2
	s_and_saveexec_b32 s10, s0
	s_delay_alu instid0(SALU_CYCLE_1)
	s_xor_b32 s0, exec_lo, s10
; %bb.86:                               ;   in Loop: Header=BB179_38 Depth=1
	v_bfe_u32 v2, v1, 16, 1
	s_delay_alu instid0(VALU_DEP_1)
	v_add3_u32 v28, v1, v2, 0x7fff
                                        ; implicit-def: $vgpr1
; %bb.87:                               ;   in Loop: Header=BB179_38 Depth=1
	s_and_not1_saveexec_b32 s10, s0
; %bb.88:                               ;   in Loop: Header=BB179_38 Depth=1
	v_and_b32_e32 v2, 0xffff, v1
	v_or_b32_e32 v28, 0x10000, v1
	s_delay_alu instid0(VALU_DEP_2) | instskip(NEXT) | instid1(VALU_DEP_1)
	v_cmp_eq_u32_e64 s0, 0, v2
	v_cndmask_b32_e64 v28, v28, v1, s0
; %bb.89:                               ;   in Loop: Header=BB179_38 Depth=1
	s_or_b32 exec_lo, exec_lo, s10
	v_and_b32_e32 v45, 0xffff0000, v29
	v_lshlrev_b32_e32 v1, 16, v3
                                        ; implicit-def: $vgpr29
	s_delay_alu instid0(VALU_DEP_1) | instskip(NEXT) | instid1(VALU_DEP_1)
	v_mul_f32_e32 v1, v45, v1
	v_and_b32_e32 v2, 0x7f800000, v1
	s_delay_alu instid0(VALU_DEP_1) | instskip(NEXT) | instid1(VALU_DEP_1)
	v_cmp_ne_u32_e64 s0, 0x7f800000, v2
	s_and_saveexec_b32 s10, s0
	s_delay_alu instid0(SALU_CYCLE_1)
	s_xor_b32 s0, exec_lo, s10
; %bb.90:                               ;   in Loop: Header=BB179_38 Depth=1
	v_bfe_u32 v2, v1, 16, 1
	s_delay_alu instid0(VALU_DEP_1)
	v_add3_u32 v29, v1, v2, 0x7fff
                                        ; implicit-def: $vgpr1
; %bb.91:                               ;   in Loop: Header=BB179_38 Depth=1
	s_and_not1_saveexec_b32 s10, s0
; %bb.92:                               ;   in Loop: Header=BB179_38 Depth=1
	v_and_b32_e32 v2, 0xffff, v1
	v_or_b32_e32 v3, 0x10000, v1
	s_delay_alu instid0(VALU_DEP_2) | instskip(NEXT) | instid1(VALU_DEP_1)
	v_cmp_eq_u32_e64 s0, 0, v2
	v_cndmask_b32_e64 v29, v3, v1, s0
; %bb.93:                               ;   in Loop: Header=BB179_38 Depth=1
	s_or_b32 exec_lo, exec_lo, s10
	v_and_b32_e32 v46, 0xffff0000, v30
	v_lshlrev_b32_e32 v1, 16, v47
                                        ; implicit-def: $vgpr30
	s_delay_alu instid0(VALU_DEP_1) | instskip(NEXT) | instid1(VALU_DEP_1)
	v_mul_f32_e32 v1, v46, v1
	v_and_b32_e32 v2, 0x7f800000, v1
	s_delay_alu instid0(VALU_DEP_1) | instskip(NEXT) | instid1(VALU_DEP_1)
	v_cmp_ne_u32_e64 s0, 0x7f800000, v2
	s_and_saveexec_b32 s10, s0
	s_delay_alu instid0(SALU_CYCLE_1)
	s_xor_b32 s0, exec_lo, s10
; %bb.94:                               ;   in Loop: Header=BB179_38 Depth=1
	v_bfe_u32 v2, v1, 16, 1
	s_delay_alu instid0(VALU_DEP_1)
	v_add3_u32 v30, v1, v2, 0x7fff
                                        ; implicit-def: $vgpr1
; %bb.95:                               ;   in Loop: Header=BB179_38 Depth=1
	s_and_not1_saveexec_b32 s10, s0
; %bb.96:                               ;   in Loop: Header=BB179_38 Depth=1
	v_and_b32_e32 v2, 0xffff, v1
	v_or_b32_e32 v3, 0x10000, v1
	s_delay_alu instid0(VALU_DEP_2) | instskip(NEXT) | instid1(VALU_DEP_1)
	v_cmp_eq_u32_e64 s0, 0, v2
	v_cndmask_b32_e64 v30, v3, v1, s0
; %bb.97:                               ;   in Loop: Header=BB179_38 Depth=1
	s_or_b32 exec_lo, exec_lo, s10
	v_and_b32_e32 v47, 0xffff0000, v31
	v_lshlrev_b32_e32 v1, 16, v4
                                        ; implicit-def: $vgpr31
	s_delay_alu instid0(VALU_DEP_1) | instskip(NEXT) | instid1(VALU_DEP_1)
	v_mul_f32_e32 v1, v47, v1
	v_and_b32_e32 v2, 0x7f800000, v1
	s_delay_alu instid0(VALU_DEP_1) | instskip(NEXT) | instid1(VALU_DEP_1)
	v_cmp_ne_u32_e64 s0, 0x7f800000, v2
	s_and_saveexec_b32 s10, s0
	s_delay_alu instid0(SALU_CYCLE_1)
	s_xor_b32 s0, exec_lo, s10
; %bb.98:                               ;   in Loop: Header=BB179_38 Depth=1
	v_bfe_u32 v2, v1, 16, 1
	s_delay_alu instid0(VALU_DEP_1)
	v_add3_u32 v31, v1, v2, 0x7fff
                                        ; implicit-def: $vgpr1
; %bb.99:                               ;   in Loop: Header=BB179_38 Depth=1
	s_and_not1_saveexec_b32 s10, s0
; %bb.100:                              ;   in Loop: Header=BB179_38 Depth=1
	v_and_b32_e32 v2, 0xffff, v1
	v_or_b32_e32 v3, 0x10000, v1
	s_delay_alu instid0(VALU_DEP_2) | instskip(NEXT) | instid1(VALU_DEP_1)
	v_cmp_eq_u32_e64 s0, 0, v2
	v_cndmask_b32_e64 v31, v3, v1, s0
; %bb.101:                              ;   in Loop: Header=BB179_38 Depth=1
	s_or_b32 exec_lo, exec_lo, s10
	v_and_b32_e32 v48, 0xffff0000, v32
	v_lshlrev_b32_e32 v1, 16, v49
                                        ; implicit-def: $vgpr32
	s_delay_alu instid0(VALU_DEP_1) | instskip(NEXT) | instid1(VALU_DEP_1)
	v_mul_f32_e32 v1, v48, v1
	v_and_b32_e32 v2, 0x7f800000, v1
	s_delay_alu instid0(VALU_DEP_1) | instskip(NEXT) | instid1(VALU_DEP_1)
	v_cmp_ne_u32_e64 s0, 0x7f800000, v2
	s_and_saveexec_b32 s10, s0
	s_delay_alu instid0(SALU_CYCLE_1)
	s_xor_b32 s0, exec_lo, s10
; %bb.102:                              ;   in Loop: Header=BB179_38 Depth=1
	v_bfe_u32 v2, v1, 16, 1
	s_delay_alu instid0(VALU_DEP_1)
	v_add3_u32 v32, v1, v2, 0x7fff
                                        ; implicit-def: $vgpr1
; %bb.103:                              ;   in Loop: Header=BB179_38 Depth=1
	s_and_not1_saveexec_b32 s10, s0
; %bb.104:                              ;   in Loop: Header=BB179_38 Depth=1
	v_and_b32_e32 v2, 0xffff, v1
	v_or_b32_e32 v3, 0x10000, v1
	s_delay_alu instid0(VALU_DEP_2) | instskip(NEXT) | instid1(VALU_DEP_1)
	v_cmp_eq_u32_e64 s0, 0, v2
	v_cndmask_b32_e64 v32, v3, v1, s0
; %bb.105:                              ;   in Loop: Header=BB179_38 Depth=1
	s_or_b32 exec_lo, exec_lo, s10
	global_load_b128 v[1:4], v[5:6], off offset:512
	s_waitcnt vmcnt(0)
	v_lshrrev_b32_e32 v50, 16, v1
	v_lshrrev_b32_e32 v52, 16, v2
	;; [unrolled: 1-line block ×4, first 2 shown]
	s_and_saveexec_b32 s10, vcc_lo
	s_cbranch_execz .LBB179_107
; %bb.106:                              ;   in Loop: Header=BB179_38 Depth=1
	v_cmp_gt_i32_e64 s0, s33, v33
	s_delay_alu instid0(VALU_DEP_1) | instskip(SKIP_1) | instid1(VALU_DEP_1)
	v_cndmask_b32_e64 v1, 0, v1, s0
	v_cmp_gt_i32_e64 s0, s33, v40
	v_cndmask_b32_e64 v50, 0, v50, s0
	v_cmp_gt_i32_e64 s0, s33, v39
	s_delay_alu instid0(VALU_DEP_1) | instskip(SKIP_1) | instid1(VALU_DEP_1)
	v_cndmask_b32_e64 v2, 0, v2, s0
	v_cmp_gt_i32_e64 s0, s33, v37
	v_cndmask_b32_e64 v52, 0, v52, s0
	;; [unrolled: 5-line block ×4, first 2 shown]
.LBB179_107:                            ;   in Loop: Header=BB179_38 Depth=1
	s_or_b32 exec_lo, exec_lo, s10
	v_lshlrev_b32_e32 v1, 16, v1
	s_delay_alu instid0(VALU_DEP_1) | instskip(NEXT) | instid1(VALU_DEP_1)
	v_mul_f32_e32 v1, v41, v1
	v_and_b32_e32 v49, 0x7f800000, v1
	s_delay_alu instid0(VALU_DEP_1) | instskip(NEXT) | instid1(VALU_DEP_1)
	v_cmp_ne_u32_e64 s0, 0x7f800000, v49
                                        ; implicit-def: $vgpr49
	s_and_saveexec_b32 s10, s0
	s_delay_alu instid0(SALU_CYCLE_1)
	s_xor_b32 s0, exec_lo, s10
; %bb.108:                              ;   in Loop: Header=BB179_38 Depth=1
	v_bfe_u32 v49, v1, 16, 1
	s_delay_alu instid0(VALU_DEP_1)
	v_add3_u32 v49, v1, v49, 0x7fff
                                        ; implicit-def: $vgpr1
; %bb.109:                              ;   in Loop: Header=BB179_38 Depth=1
	s_and_not1_saveexec_b32 s10, s0
; %bb.110:                              ;   in Loop: Header=BB179_38 Depth=1
	v_and_b32_e32 v49, 0xffff, v1
	v_or_b32_e32 v51, 0x10000, v1
	s_delay_alu instid0(VALU_DEP_2) | instskip(NEXT) | instid1(VALU_DEP_1)
	v_cmp_eq_u32_e64 s0, 0, v49
	v_cndmask_b32_e64 v49, v51, v1, s0
; %bb.111:                              ;   in Loop: Header=BB179_38 Depth=1
	s_or_b32 exec_lo, exec_lo, s10
	v_lshlrev_b32_e32 v1, 16, v50
	s_delay_alu instid0(VALU_DEP_1) | instskip(NEXT) | instid1(VALU_DEP_1)
	v_mul_f32_e32 v1, v42, v1
	v_and_b32_e32 v50, 0x7f800000, v1
	s_delay_alu instid0(VALU_DEP_1) | instskip(NEXT) | instid1(VALU_DEP_1)
	v_cmp_ne_u32_e64 s0, 0x7f800000, v50
                                        ; implicit-def: $vgpr50
	s_and_saveexec_b32 s10, s0
	s_delay_alu instid0(SALU_CYCLE_1)
	s_xor_b32 s0, exec_lo, s10
; %bb.112:                              ;   in Loop: Header=BB179_38 Depth=1
	v_bfe_u32 v50, v1, 16, 1
	s_delay_alu instid0(VALU_DEP_1)
	v_add3_u32 v50, v1, v50, 0x7fff
                                        ; implicit-def: $vgpr1
; %bb.113:                              ;   in Loop: Header=BB179_38 Depth=1
	s_and_not1_saveexec_b32 s10, s0
; %bb.114:                              ;   in Loop: Header=BB179_38 Depth=1
	v_and_b32_e32 v50, 0xffff, v1
	v_or_b32_e32 v51, 0x10000, v1
	s_delay_alu instid0(VALU_DEP_2) | instskip(NEXT) | instid1(VALU_DEP_1)
	v_cmp_eq_u32_e64 s0, 0, v50
	v_cndmask_b32_e64 v50, v51, v1, s0
; %bb.115:                              ;   in Loop: Header=BB179_38 Depth=1
	s_or_b32 exec_lo, exec_lo, s10
	v_lshlrev_b32_e32 v1, 16, v2
                                        ; implicit-def: $vgpr51
	s_delay_alu instid0(VALU_DEP_1) | instskip(NEXT) | instid1(VALU_DEP_1)
	v_mul_f32_e32 v1, v43, v1
	v_and_b32_e32 v2, 0x7f800000, v1
	s_delay_alu instid0(VALU_DEP_1) | instskip(NEXT) | instid1(VALU_DEP_1)
	v_cmp_ne_u32_e64 s0, 0x7f800000, v2
	s_and_saveexec_b32 s10, s0
	s_delay_alu instid0(SALU_CYCLE_1)
	s_xor_b32 s0, exec_lo, s10
; %bb.116:                              ;   in Loop: Header=BB179_38 Depth=1
	v_bfe_u32 v2, v1, 16, 1
	s_delay_alu instid0(VALU_DEP_1)
	v_add3_u32 v51, v1, v2, 0x7fff
                                        ; implicit-def: $vgpr1
; %bb.117:                              ;   in Loop: Header=BB179_38 Depth=1
	s_and_not1_saveexec_b32 s10, s0
; %bb.118:                              ;   in Loop: Header=BB179_38 Depth=1
	v_and_b32_e32 v2, 0xffff, v1
	v_or_b32_e32 v51, 0x10000, v1
	s_delay_alu instid0(VALU_DEP_2) | instskip(NEXT) | instid1(VALU_DEP_1)
	v_cmp_eq_u32_e64 s0, 0, v2
	v_cndmask_b32_e64 v51, v51, v1, s0
; %bb.119:                              ;   in Loop: Header=BB179_38 Depth=1
	s_or_b32 exec_lo, exec_lo, s10
	v_lshlrev_b32_e32 v1, 16, v52
                                        ; implicit-def: $vgpr52
	s_delay_alu instid0(VALU_DEP_1) | instskip(NEXT) | instid1(VALU_DEP_1)
	v_mul_f32_e32 v1, v44, v1
	v_and_b32_e32 v2, 0x7f800000, v1
	s_delay_alu instid0(VALU_DEP_1) | instskip(NEXT) | instid1(VALU_DEP_1)
	v_cmp_ne_u32_e64 s0, 0x7f800000, v2
	s_and_saveexec_b32 s10, s0
	s_delay_alu instid0(SALU_CYCLE_1)
	s_xor_b32 s0, exec_lo, s10
; %bb.120:                              ;   in Loop: Header=BB179_38 Depth=1
	v_bfe_u32 v2, v1, 16, 1
	s_delay_alu instid0(VALU_DEP_1)
	v_add3_u32 v52, v1, v2, 0x7fff
                                        ; implicit-def: $vgpr1
; %bb.121:                              ;   in Loop: Header=BB179_38 Depth=1
	s_and_not1_saveexec_b32 s10, s0
; %bb.122:                              ;   in Loop: Header=BB179_38 Depth=1
	v_and_b32_e32 v2, 0xffff, v1
	v_or_b32_e32 v52, 0x10000, v1
	s_delay_alu instid0(VALU_DEP_2) | instskip(NEXT) | instid1(VALU_DEP_1)
	v_cmp_eq_u32_e64 s0, 0, v2
	v_cndmask_b32_e64 v52, v52, v1, s0
; %bb.123:                              ;   in Loop: Header=BB179_38 Depth=1
	s_or_b32 exec_lo, exec_lo, s10
	v_lshlrev_b32_e32 v1, 16, v3
                                        ; implicit-def: $vgpr53
	s_delay_alu instid0(VALU_DEP_1) | instskip(NEXT) | instid1(VALU_DEP_1)
	v_mul_f32_e32 v1, v45, v1
	v_and_b32_e32 v2, 0x7f800000, v1
	s_delay_alu instid0(VALU_DEP_1) | instskip(NEXT) | instid1(VALU_DEP_1)
	v_cmp_ne_u32_e64 s0, 0x7f800000, v2
	s_and_saveexec_b32 s10, s0
	s_delay_alu instid0(SALU_CYCLE_1)
	s_xor_b32 s0, exec_lo, s10
; %bb.124:                              ;   in Loop: Header=BB179_38 Depth=1
	v_bfe_u32 v2, v1, 16, 1
	s_delay_alu instid0(VALU_DEP_1)
	v_add3_u32 v53, v1, v2, 0x7fff
                                        ; implicit-def: $vgpr1
; %bb.125:                              ;   in Loop: Header=BB179_38 Depth=1
	s_and_not1_saveexec_b32 s10, s0
; %bb.126:                              ;   in Loop: Header=BB179_38 Depth=1
	v_and_b32_e32 v2, 0xffff, v1
	v_or_b32_e32 v3, 0x10000, v1
	s_delay_alu instid0(VALU_DEP_2) | instskip(NEXT) | instid1(VALU_DEP_1)
	v_cmp_eq_u32_e64 s0, 0, v2
	v_cndmask_b32_e64 v53, v3, v1, s0
; %bb.127:                              ;   in Loop: Header=BB179_38 Depth=1
	s_or_b32 exec_lo, exec_lo, s10
	v_lshlrev_b32_e32 v1, 16, v54
                                        ; implicit-def: $vgpr54
	s_delay_alu instid0(VALU_DEP_1) | instskip(NEXT) | instid1(VALU_DEP_1)
	v_mul_f32_e32 v1, v46, v1
	v_and_b32_e32 v2, 0x7f800000, v1
	s_delay_alu instid0(VALU_DEP_1) | instskip(NEXT) | instid1(VALU_DEP_1)
	v_cmp_ne_u32_e64 s0, 0x7f800000, v2
	s_and_saveexec_b32 s10, s0
	s_delay_alu instid0(SALU_CYCLE_1)
	s_xor_b32 s0, exec_lo, s10
; %bb.128:                              ;   in Loop: Header=BB179_38 Depth=1
	v_bfe_u32 v2, v1, 16, 1
	s_delay_alu instid0(VALU_DEP_1)
	v_add3_u32 v54, v1, v2, 0x7fff
                                        ; implicit-def: $vgpr1
; %bb.129:                              ;   in Loop: Header=BB179_38 Depth=1
	s_and_not1_saveexec_b32 s10, s0
; %bb.130:                              ;   in Loop: Header=BB179_38 Depth=1
	v_and_b32_e32 v2, 0xffff, v1
	v_or_b32_e32 v3, 0x10000, v1
	s_delay_alu instid0(VALU_DEP_2) | instskip(NEXT) | instid1(VALU_DEP_1)
	v_cmp_eq_u32_e64 s0, 0, v2
	v_cndmask_b32_e64 v54, v3, v1, s0
; %bb.131:                              ;   in Loop: Header=BB179_38 Depth=1
	s_or_b32 exec_lo, exec_lo, s10
	v_lshlrev_b32_e32 v1, 16, v4
                                        ; implicit-def: $vgpr55
	s_delay_alu instid0(VALU_DEP_1) | instskip(NEXT) | instid1(VALU_DEP_1)
	v_mul_f32_e32 v1, v47, v1
	v_and_b32_e32 v2, 0x7f800000, v1
	s_delay_alu instid0(VALU_DEP_1) | instskip(NEXT) | instid1(VALU_DEP_1)
	v_cmp_ne_u32_e64 s0, 0x7f800000, v2
	s_and_saveexec_b32 s10, s0
	s_delay_alu instid0(SALU_CYCLE_1)
	s_xor_b32 s0, exec_lo, s10
; %bb.132:                              ;   in Loop: Header=BB179_38 Depth=1
	v_bfe_u32 v2, v1, 16, 1
	s_delay_alu instid0(VALU_DEP_1)
	v_add3_u32 v55, v1, v2, 0x7fff
                                        ; implicit-def: $vgpr1
; %bb.133:                              ;   in Loop: Header=BB179_38 Depth=1
	s_and_not1_saveexec_b32 s10, s0
; %bb.134:                              ;   in Loop: Header=BB179_38 Depth=1
	v_and_b32_e32 v2, 0xffff, v1
	v_or_b32_e32 v3, 0x10000, v1
	s_delay_alu instid0(VALU_DEP_2) | instskip(NEXT) | instid1(VALU_DEP_1)
	v_cmp_eq_u32_e64 s0, 0, v2
	v_cndmask_b32_e64 v55, v3, v1, s0
; %bb.135:                              ;   in Loop: Header=BB179_38 Depth=1
	s_or_b32 exec_lo, exec_lo, s10
	v_lshlrev_b32_e32 v1, 16, v56
                                        ; implicit-def: $vgpr56
	s_delay_alu instid0(VALU_DEP_1) | instskip(NEXT) | instid1(VALU_DEP_1)
	v_mul_f32_e32 v1, v48, v1
	v_and_b32_e32 v2, 0x7f800000, v1
	s_delay_alu instid0(VALU_DEP_1) | instskip(NEXT) | instid1(VALU_DEP_1)
	v_cmp_ne_u32_e64 s0, 0x7f800000, v2
	s_and_saveexec_b32 s10, s0
	s_delay_alu instid0(SALU_CYCLE_1)
	s_xor_b32 s0, exec_lo, s10
; %bb.136:                              ;   in Loop: Header=BB179_38 Depth=1
	v_bfe_u32 v2, v1, 16, 1
	s_delay_alu instid0(VALU_DEP_1)
	v_add3_u32 v56, v1, v2, 0x7fff
                                        ; implicit-def: $vgpr1
; %bb.137:                              ;   in Loop: Header=BB179_38 Depth=1
	s_and_not1_saveexec_b32 s10, s0
; %bb.138:                              ;   in Loop: Header=BB179_38 Depth=1
	v_and_b32_e32 v2, 0xffff, v1
	v_or_b32_e32 v3, 0x10000, v1
	s_delay_alu instid0(VALU_DEP_2) | instskip(NEXT) | instid1(VALU_DEP_1)
	v_cmp_eq_u32_e64 s0, 0, v2
	v_cndmask_b32_e64 v56, v3, v1, s0
; %bb.139:                              ;   in Loop: Header=BB179_38 Depth=1
	s_or_b32 exec_lo, exec_lo, s10
	global_load_b128 v[1:4], v[5:6], off offset:1024
	s_waitcnt vmcnt(0)
	v_lshrrev_b32_e32 v58, 16, v1
	v_lshrrev_b32_e32 v60, 16, v2
	;; [unrolled: 1-line block ×4, first 2 shown]
	s_and_saveexec_b32 s10, vcc_lo
	s_cbranch_execz .LBB179_141
; %bb.140:                              ;   in Loop: Header=BB179_38 Depth=1
	v_cmp_gt_i32_e64 s0, s33, v33
	s_delay_alu instid0(VALU_DEP_1) | instskip(SKIP_1) | instid1(VALU_DEP_1)
	v_cndmask_b32_e64 v1, 0, v1, s0
	v_cmp_gt_i32_e64 s0, s33, v40
	v_cndmask_b32_e64 v58, 0, v58, s0
	v_cmp_gt_i32_e64 s0, s33, v39
	s_delay_alu instid0(VALU_DEP_1) | instskip(SKIP_1) | instid1(VALU_DEP_1)
	v_cndmask_b32_e64 v2, 0, v2, s0
	v_cmp_gt_i32_e64 s0, s33, v37
	v_cndmask_b32_e64 v60, 0, v60, s0
	;; [unrolled: 5-line block ×4, first 2 shown]
.LBB179_141:                            ;   in Loop: Header=BB179_38 Depth=1
	s_or_b32 exec_lo, exec_lo, s10
	v_lshlrev_b32_e32 v1, 16, v1
	s_delay_alu instid0(VALU_DEP_1) | instskip(NEXT) | instid1(VALU_DEP_1)
	v_mul_f32_e32 v1, v41, v1
	v_and_b32_e32 v57, 0x7f800000, v1
	s_delay_alu instid0(VALU_DEP_1) | instskip(NEXT) | instid1(VALU_DEP_1)
	v_cmp_ne_u32_e64 s0, 0x7f800000, v57
                                        ; implicit-def: $vgpr57
	s_and_saveexec_b32 s10, s0
	s_delay_alu instid0(SALU_CYCLE_1)
	s_xor_b32 s0, exec_lo, s10
; %bb.142:                              ;   in Loop: Header=BB179_38 Depth=1
	v_bfe_u32 v57, v1, 16, 1
	s_delay_alu instid0(VALU_DEP_1)
	v_add3_u32 v57, v1, v57, 0x7fff
                                        ; implicit-def: $vgpr1
; %bb.143:                              ;   in Loop: Header=BB179_38 Depth=1
	s_and_not1_saveexec_b32 s10, s0
; %bb.144:                              ;   in Loop: Header=BB179_38 Depth=1
	v_and_b32_e32 v57, 0xffff, v1
	v_or_b32_e32 v59, 0x10000, v1
	s_delay_alu instid0(VALU_DEP_2) | instskip(NEXT) | instid1(VALU_DEP_1)
	v_cmp_eq_u32_e64 s0, 0, v57
	v_cndmask_b32_e64 v57, v59, v1, s0
; %bb.145:                              ;   in Loop: Header=BB179_38 Depth=1
	s_or_b32 exec_lo, exec_lo, s10
	v_lshlrev_b32_e32 v1, 16, v58
	s_delay_alu instid0(VALU_DEP_1) | instskip(NEXT) | instid1(VALU_DEP_1)
	v_mul_f32_e32 v1, v42, v1
	v_and_b32_e32 v58, 0x7f800000, v1
	s_delay_alu instid0(VALU_DEP_1) | instskip(NEXT) | instid1(VALU_DEP_1)
	v_cmp_ne_u32_e64 s0, 0x7f800000, v58
                                        ; implicit-def: $vgpr58
	s_and_saveexec_b32 s10, s0
	s_delay_alu instid0(SALU_CYCLE_1)
	s_xor_b32 s0, exec_lo, s10
; %bb.146:                              ;   in Loop: Header=BB179_38 Depth=1
	v_bfe_u32 v58, v1, 16, 1
	s_delay_alu instid0(VALU_DEP_1)
	v_add3_u32 v58, v1, v58, 0x7fff
                                        ; implicit-def: $vgpr1
; %bb.147:                              ;   in Loop: Header=BB179_38 Depth=1
	s_and_not1_saveexec_b32 s10, s0
; %bb.148:                              ;   in Loop: Header=BB179_38 Depth=1
	v_and_b32_e32 v58, 0xffff, v1
	v_or_b32_e32 v59, 0x10000, v1
	s_delay_alu instid0(VALU_DEP_2) | instskip(NEXT) | instid1(VALU_DEP_1)
	v_cmp_eq_u32_e64 s0, 0, v58
	v_cndmask_b32_e64 v58, v59, v1, s0
; %bb.149:                              ;   in Loop: Header=BB179_38 Depth=1
	s_or_b32 exec_lo, exec_lo, s10
	v_lshlrev_b32_e32 v1, 16, v2
                                        ; implicit-def: $vgpr59
	s_delay_alu instid0(VALU_DEP_1) | instskip(NEXT) | instid1(VALU_DEP_1)
	v_mul_f32_e32 v1, v43, v1
	v_and_b32_e32 v2, 0x7f800000, v1
	s_delay_alu instid0(VALU_DEP_1) | instskip(NEXT) | instid1(VALU_DEP_1)
	v_cmp_ne_u32_e64 s0, 0x7f800000, v2
	s_and_saveexec_b32 s10, s0
	s_delay_alu instid0(SALU_CYCLE_1)
	s_xor_b32 s0, exec_lo, s10
; %bb.150:                              ;   in Loop: Header=BB179_38 Depth=1
	v_bfe_u32 v2, v1, 16, 1
	s_delay_alu instid0(VALU_DEP_1)
	v_add3_u32 v59, v1, v2, 0x7fff
                                        ; implicit-def: $vgpr1
; %bb.151:                              ;   in Loop: Header=BB179_38 Depth=1
	s_and_not1_saveexec_b32 s10, s0
; %bb.152:                              ;   in Loop: Header=BB179_38 Depth=1
	v_and_b32_e32 v2, 0xffff, v1
	v_or_b32_e32 v59, 0x10000, v1
	s_delay_alu instid0(VALU_DEP_2) | instskip(NEXT) | instid1(VALU_DEP_1)
	v_cmp_eq_u32_e64 s0, 0, v2
	v_cndmask_b32_e64 v59, v59, v1, s0
; %bb.153:                              ;   in Loop: Header=BB179_38 Depth=1
	s_or_b32 exec_lo, exec_lo, s10
	v_lshlrev_b32_e32 v1, 16, v60
                                        ; implicit-def: $vgpr60
	s_delay_alu instid0(VALU_DEP_1) | instskip(NEXT) | instid1(VALU_DEP_1)
	v_mul_f32_e32 v1, v44, v1
	v_and_b32_e32 v2, 0x7f800000, v1
	s_delay_alu instid0(VALU_DEP_1) | instskip(NEXT) | instid1(VALU_DEP_1)
	v_cmp_ne_u32_e64 s0, 0x7f800000, v2
	s_and_saveexec_b32 s10, s0
	s_delay_alu instid0(SALU_CYCLE_1)
	s_xor_b32 s0, exec_lo, s10
; %bb.154:                              ;   in Loop: Header=BB179_38 Depth=1
	v_bfe_u32 v2, v1, 16, 1
	s_delay_alu instid0(VALU_DEP_1)
	v_add3_u32 v60, v1, v2, 0x7fff
                                        ; implicit-def: $vgpr1
; %bb.155:                              ;   in Loop: Header=BB179_38 Depth=1
	s_and_not1_saveexec_b32 s10, s0
; %bb.156:                              ;   in Loop: Header=BB179_38 Depth=1
	v_and_b32_e32 v2, 0xffff, v1
	v_or_b32_e32 v60, 0x10000, v1
	s_delay_alu instid0(VALU_DEP_2) | instskip(NEXT) | instid1(VALU_DEP_1)
	v_cmp_eq_u32_e64 s0, 0, v2
	v_cndmask_b32_e64 v60, v60, v1, s0
; %bb.157:                              ;   in Loop: Header=BB179_38 Depth=1
	s_or_b32 exec_lo, exec_lo, s10
	v_lshlrev_b32_e32 v1, 16, v3
                                        ; implicit-def: $vgpr61
	s_delay_alu instid0(VALU_DEP_1) | instskip(NEXT) | instid1(VALU_DEP_1)
	v_mul_f32_e32 v1, v45, v1
	v_and_b32_e32 v2, 0x7f800000, v1
	s_delay_alu instid0(VALU_DEP_1) | instskip(NEXT) | instid1(VALU_DEP_1)
	v_cmp_ne_u32_e64 s0, 0x7f800000, v2
	s_and_saveexec_b32 s10, s0
	s_delay_alu instid0(SALU_CYCLE_1)
	s_xor_b32 s0, exec_lo, s10
; %bb.158:                              ;   in Loop: Header=BB179_38 Depth=1
	v_bfe_u32 v2, v1, 16, 1
	s_delay_alu instid0(VALU_DEP_1)
	v_add3_u32 v61, v1, v2, 0x7fff
                                        ; implicit-def: $vgpr1
; %bb.159:                              ;   in Loop: Header=BB179_38 Depth=1
	s_and_not1_saveexec_b32 s10, s0
; %bb.160:                              ;   in Loop: Header=BB179_38 Depth=1
	v_and_b32_e32 v2, 0xffff, v1
	v_or_b32_e32 v3, 0x10000, v1
	s_delay_alu instid0(VALU_DEP_2) | instskip(NEXT) | instid1(VALU_DEP_1)
	v_cmp_eq_u32_e64 s0, 0, v2
	v_cndmask_b32_e64 v61, v3, v1, s0
; %bb.161:                              ;   in Loop: Header=BB179_38 Depth=1
	s_or_b32 exec_lo, exec_lo, s10
	v_lshlrev_b32_e32 v1, 16, v62
                                        ; implicit-def: $vgpr62
	s_delay_alu instid0(VALU_DEP_1) | instskip(NEXT) | instid1(VALU_DEP_1)
	v_mul_f32_e32 v1, v46, v1
	v_and_b32_e32 v2, 0x7f800000, v1
	s_delay_alu instid0(VALU_DEP_1) | instskip(NEXT) | instid1(VALU_DEP_1)
	v_cmp_ne_u32_e64 s0, 0x7f800000, v2
	s_and_saveexec_b32 s10, s0
	s_delay_alu instid0(SALU_CYCLE_1)
	s_xor_b32 s0, exec_lo, s10
; %bb.162:                              ;   in Loop: Header=BB179_38 Depth=1
	v_bfe_u32 v2, v1, 16, 1
	s_delay_alu instid0(VALU_DEP_1)
	v_add3_u32 v62, v1, v2, 0x7fff
                                        ; implicit-def: $vgpr1
; %bb.163:                              ;   in Loop: Header=BB179_38 Depth=1
	s_and_not1_saveexec_b32 s10, s0
; %bb.164:                              ;   in Loop: Header=BB179_38 Depth=1
	v_and_b32_e32 v2, 0xffff, v1
	v_or_b32_e32 v3, 0x10000, v1
	s_delay_alu instid0(VALU_DEP_2) | instskip(NEXT) | instid1(VALU_DEP_1)
	v_cmp_eq_u32_e64 s0, 0, v2
	v_cndmask_b32_e64 v62, v3, v1, s0
; %bb.165:                              ;   in Loop: Header=BB179_38 Depth=1
	s_or_b32 exec_lo, exec_lo, s10
	v_lshlrev_b32_e32 v1, 16, v4
                                        ; implicit-def: $vgpr63
	s_delay_alu instid0(VALU_DEP_1) | instskip(NEXT) | instid1(VALU_DEP_1)
	v_mul_f32_e32 v1, v47, v1
	v_and_b32_e32 v2, 0x7f800000, v1
	s_delay_alu instid0(VALU_DEP_1) | instskip(NEXT) | instid1(VALU_DEP_1)
	v_cmp_ne_u32_e64 s0, 0x7f800000, v2
	s_and_saveexec_b32 s10, s0
	s_delay_alu instid0(SALU_CYCLE_1)
	s_xor_b32 s0, exec_lo, s10
; %bb.166:                              ;   in Loop: Header=BB179_38 Depth=1
	v_bfe_u32 v2, v1, 16, 1
	s_delay_alu instid0(VALU_DEP_1)
	v_add3_u32 v63, v1, v2, 0x7fff
                                        ; implicit-def: $vgpr1
; %bb.167:                              ;   in Loop: Header=BB179_38 Depth=1
	s_and_not1_saveexec_b32 s10, s0
; %bb.168:                              ;   in Loop: Header=BB179_38 Depth=1
	v_and_b32_e32 v2, 0xffff, v1
	v_or_b32_e32 v3, 0x10000, v1
	s_delay_alu instid0(VALU_DEP_2) | instskip(NEXT) | instid1(VALU_DEP_1)
	v_cmp_eq_u32_e64 s0, 0, v2
	v_cndmask_b32_e64 v63, v3, v1, s0
; %bb.169:                              ;   in Loop: Header=BB179_38 Depth=1
	s_or_b32 exec_lo, exec_lo, s10
	v_lshlrev_b32_e32 v1, 16, v64
                                        ; implicit-def: $vgpr64
	s_delay_alu instid0(VALU_DEP_1) | instskip(NEXT) | instid1(VALU_DEP_1)
	v_mul_f32_e32 v1, v48, v1
	v_and_b32_e32 v2, 0x7f800000, v1
	s_delay_alu instid0(VALU_DEP_1) | instskip(NEXT) | instid1(VALU_DEP_1)
	v_cmp_ne_u32_e64 s0, 0x7f800000, v2
	s_and_saveexec_b32 s10, s0
	s_delay_alu instid0(SALU_CYCLE_1)
	s_xor_b32 s0, exec_lo, s10
; %bb.170:                              ;   in Loop: Header=BB179_38 Depth=1
	v_bfe_u32 v2, v1, 16, 1
	s_delay_alu instid0(VALU_DEP_1)
	v_add3_u32 v64, v1, v2, 0x7fff
                                        ; implicit-def: $vgpr1
; %bb.171:                              ;   in Loop: Header=BB179_38 Depth=1
	s_and_not1_saveexec_b32 s10, s0
; %bb.172:                              ;   in Loop: Header=BB179_38 Depth=1
	v_and_b32_e32 v2, 0xffff, v1
	v_or_b32_e32 v3, 0x10000, v1
	s_delay_alu instid0(VALU_DEP_2) | instskip(NEXT) | instid1(VALU_DEP_1)
	v_cmp_eq_u32_e64 s0, 0, v2
	v_cndmask_b32_e64 v64, v3, v1, s0
; %bb.173:                              ;   in Loop: Header=BB179_38 Depth=1
	s_or_b32 exec_lo, exec_lo, s10
	global_load_b128 v[1:4], v[5:6], off offset:1536
	s_waitcnt vmcnt(0)
	v_lshrrev_b32_e32 v5, 16, v1
	v_lshrrev_b32_e32 v66, 16, v2
	;; [unrolled: 1-line block ×4, first 2 shown]
	s_and_saveexec_b32 s0, vcc_lo
	s_cbranch_execz .LBB179_175
; %bb.174:                              ;   in Loop: Header=BB179_38 Depth=1
	v_cmp_gt_i32_e32 vcc_lo, s33, v33
	v_cndmask_b32_e32 v1, 0, v1, vcc_lo
	v_cmp_gt_i32_e32 vcc_lo, s33, v40
	v_cndmask_b32_e32 v5, 0, v5, vcc_lo
	v_cmp_gt_i32_e32 vcc_lo, s33, v39
	v_cndmask_b32_e32 v2, 0, v2, vcc_lo
	v_cmp_gt_i32_e32 vcc_lo, s33, v37
	v_cndmask_b32_e32 v66, 0, v66, vcc_lo
	v_cmp_gt_i32_e32 vcc_lo, s33, v36
	v_cndmask_b32_e32 v3, 0, v3, vcc_lo
	v_cmp_gt_i32_e32 vcc_lo, s33, v35
	v_cndmask_b32_e32 v65, 0, v65, vcc_lo
	v_cmp_gt_i32_e32 vcc_lo, s33, v34
	v_cndmask_b32_e32 v4, 0, v4, vcc_lo
	v_cmp_gt_i32_e32 vcc_lo, s33, v38
	v_cndmask_b32_e32 v6, 0, v6, vcc_lo
.LBB179_175:                            ;   in Loop: Header=BB179_38 Depth=1
	s_or_b32 exec_lo, exec_lo, s0
	v_lshlrev_b32_e32 v1, 16, v1
	s_delay_alu instid0(VALU_DEP_1) | instskip(NEXT) | instid1(VALU_DEP_1)
	v_mul_f32_e32 v33, v41, v1
	v_and_b32_e32 v1, 0x7f800000, v33
	s_delay_alu instid0(VALU_DEP_1) | instskip(SKIP_1) | instid1(SALU_CYCLE_1)
	v_cmp_ne_u32_e32 vcc_lo, 0x7f800000, v1
                                        ; implicit-def: $vgpr1
	s_and_saveexec_b32 s0, vcc_lo
	s_xor_b32 s0, exec_lo, s0
; %bb.176:                              ;   in Loop: Header=BB179_38 Depth=1
	v_bfe_u32 v1, v33, 16, 1
	s_delay_alu instid0(VALU_DEP_1)
	v_add3_u32 v1, v33, v1, 0x7fff
                                        ; implicit-def: $vgpr33
; %bb.177:                              ;   in Loop: Header=BB179_38 Depth=1
	s_and_not1_saveexec_b32 s0, s0
; %bb.178:                              ;   in Loop: Header=BB179_38 Depth=1
	v_and_b32_e32 v1, 0xffff, v33
	v_or_b32_e32 v34, 0x10000, v33
	s_delay_alu instid0(VALU_DEP_2) | instskip(NEXT) | instid1(VALU_DEP_2)
	v_cmp_eq_u32_e32 vcc_lo, 0, v1
	v_cndmask_b32_e32 v1, v34, v33, vcc_lo
; %bb.179:                              ;   in Loop: Header=BB179_38 Depth=1
	s_or_b32 exec_lo, exec_lo, s0
	v_lshlrev_b32_e32 v5, 16, v5
	s_delay_alu instid0(VALU_DEP_1) | instskip(NEXT) | instid1(VALU_DEP_1)
	v_mul_f32_e32 v33, v42, v5
	v_and_b32_e32 v5, 0x7f800000, v33
	s_delay_alu instid0(VALU_DEP_1) | instskip(SKIP_1) | instid1(SALU_CYCLE_1)
	v_cmp_ne_u32_e32 vcc_lo, 0x7f800000, v5
                                        ; implicit-def: $vgpr5
	s_and_saveexec_b32 s0, vcc_lo
	s_xor_b32 s0, exec_lo, s0
; %bb.180:                              ;   in Loop: Header=BB179_38 Depth=1
	v_bfe_u32 v5, v33, 16, 1
	s_delay_alu instid0(VALU_DEP_1)
	v_add3_u32 v5, v33, v5, 0x7fff
                                        ; implicit-def: $vgpr33
; %bb.181:                              ;   in Loop: Header=BB179_38 Depth=1
	s_and_not1_saveexec_b32 s0, s0
; %bb.182:                              ;   in Loop: Header=BB179_38 Depth=1
	v_and_b32_e32 v5, 0xffff, v33
	v_or_b32_e32 v34, 0x10000, v33
	s_delay_alu instid0(VALU_DEP_2) | instskip(NEXT) | instid1(VALU_DEP_2)
	v_cmp_eq_u32_e32 vcc_lo, 0, v5
	v_cndmask_b32_e32 v5, v34, v33, vcc_lo
; %bb.183:                              ;   in Loop: Header=BB179_38 Depth=1
	s_or_b32 exec_lo, exec_lo, s0
	v_lshlrev_b32_e32 v2, 16, v2
	s_delay_alu instid0(VALU_DEP_1) | instskip(NEXT) | instid1(VALU_DEP_1)
	v_mul_f32_e32 v33, v43, v2
	v_and_b32_e32 v2, 0x7f800000, v33
	s_delay_alu instid0(VALU_DEP_1) | instskip(SKIP_1) | instid1(SALU_CYCLE_1)
	v_cmp_ne_u32_e32 vcc_lo, 0x7f800000, v2
                                        ; implicit-def: $vgpr2
	s_and_saveexec_b32 s0, vcc_lo
	s_xor_b32 s0, exec_lo, s0
; %bb.184:                              ;   in Loop: Header=BB179_38 Depth=1
	v_bfe_u32 v2, v33, 16, 1
	s_delay_alu instid0(VALU_DEP_1)
	v_add3_u32 v2, v33, v2, 0x7fff
                                        ; implicit-def: $vgpr33
; %bb.185:                              ;   in Loop: Header=BB179_38 Depth=1
	s_and_not1_saveexec_b32 s0, s0
; %bb.186:                              ;   in Loop: Header=BB179_38 Depth=1
	v_and_b32_e32 v2, 0xffff, v33
	v_or_b32_e32 v34, 0x10000, v33
	s_delay_alu instid0(VALU_DEP_2) | instskip(NEXT) | instid1(VALU_DEP_2)
	v_cmp_eq_u32_e32 vcc_lo, 0, v2
	v_cndmask_b32_e32 v2, v34, v33, vcc_lo
; %bb.187:                              ;   in Loop: Header=BB179_38 Depth=1
	s_or_b32 exec_lo, exec_lo, s0
	v_lshlrev_b32_e32 v33, 16, v66
	s_delay_alu instid0(VALU_DEP_1) | instskip(NEXT) | instid1(VALU_DEP_1)
	v_mul_f32_e32 v34, v44, v33
	v_and_b32_e32 v33, 0x7f800000, v34
	s_delay_alu instid0(VALU_DEP_1) | instskip(SKIP_1) | instid1(SALU_CYCLE_1)
	v_cmp_ne_u32_e32 vcc_lo, 0x7f800000, v33
                                        ; implicit-def: $vgpr33
	s_and_saveexec_b32 s0, vcc_lo
	s_xor_b32 s0, exec_lo, s0
; %bb.188:                              ;   in Loop: Header=BB179_38 Depth=1
	v_bfe_u32 v33, v34, 16, 1
	s_delay_alu instid0(VALU_DEP_1)
	v_add3_u32 v33, v34, v33, 0x7fff
                                        ; implicit-def: $vgpr34
; %bb.189:                              ;   in Loop: Header=BB179_38 Depth=1
	s_and_not1_saveexec_b32 s0, s0
; %bb.190:                              ;   in Loop: Header=BB179_38 Depth=1
	v_and_b32_e32 v33, 0xffff, v34
	v_or_b32_e32 v35, 0x10000, v34
	s_delay_alu instid0(VALU_DEP_2) | instskip(NEXT) | instid1(VALU_DEP_2)
	v_cmp_eq_u32_e32 vcc_lo, 0, v33
	v_cndmask_b32_e32 v33, v35, v34, vcc_lo
; %bb.191:                              ;   in Loop: Header=BB179_38 Depth=1
	s_or_b32 exec_lo, exec_lo, s0
	v_lshlrev_b32_e32 v3, 16, v3
	s_delay_alu instid0(VALU_DEP_1) | instskip(NEXT) | instid1(VALU_DEP_1)
	v_mul_f32_e32 v34, v45, v3
	v_and_b32_e32 v3, 0x7f800000, v34
	s_delay_alu instid0(VALU_DEP_1) | instskip(SKIP_1) | instid1(SALU_CYCLE_1)
	v_cmp_ne_u32_e32 vcc_lo, 0x7f800000, v3
                                        ; implicit-def: $vgpr3
	s_and_saveexec_b32 s0, vcc_lo
	s_xor_b32 s0, exec_lo, s0
; %bb.192:                              ;   in Loop: Header=BB179_38 Depth=1
	v_bfe_u32 v3, v34, 16, 1
	s_delay_alu instid0(VALU_DEP_1)
	v_add3_u32 v3, v34, v3, 0x7fff
                                        ; implicit-def: $vgpr34
; %bb.193:                              ;   in Loop: Header=BB179_38 Depth=1
	s_and_not1_saveexec_b32 s0, s0
; %bb.194:                              ;   in Loop: Header=BB179_38 Depth=1
	v_and_b32_e32 v3, 0xffff, v34
	v_or_b32_e32 v35, 0x10000, v34
	s_delay_alu instid0(VALU_DEP_2) | instskip(NEXT) | instid1(VALU_DEP_2)
	v_cmp_eq_u32_e32 vcc_lo, 0, v3
	v_cndmask_b32_e32 v3, v35, v34, vcc_lo
; %bb.195:                              ;   in Loop: Header=BB179_38 Depth=1
	s_or_b32 exec_lo, exec_lo, s0
	v_lshlrev_b32_e32 v34, 16, v65
	s_delay_alu instid0(VALU_DEP_1) | instskip(NEXT) | instid1(VALU_DEP_1)
	v_mul_f32_e32 v35, v46, v34
	v_and_b32_e32 v34, 0x7f800000, v35
	s_delay_alu instid0(VALU_DEP_1) | instskip(SKIP_1) | instid1(SALU_CYCLE_1)
	v_cmp_ne_u32_e32 vcc_lo, 0x7f800000, v34
                                        ; implicit-def: $vgpr34
	s_and_saveexec_b32 s0, vcc_lo
	s_xor_b32 s0, exec_lo, s0
; %bb.196:                              ;   in Loop: Header=BB179_38 Depth=1
	v_bfe_u32 v34, v35, 16, 1
	s_delay_alu instid0(VALU_DEP_1)
	v_add3_u32 v34, v35, v34, 0x7fff
                                        ; implicit-def: $vgpr35
; %bb.197:                              ;   in Loop: Header=BB179_38 Depth=1
	s_and_not1_saveexec_b32 s0, s0
; %bb.198:                              ;   in Loop: Header=BB179_38 Depth=1
	v_and_b32_e32 v34, 0xffff, v35
	v_or_b32_e32 v36, 0x10000, v35
	s_delay_alu instid0(VALU_DEP_2) | instskip(NEXT) | instid1(VALU_DEP_2)
	v_cmp_eq_u32_e32 vcc_lo, 0, v34
	v_cndmask_b32_e32 v34, v36, v35, vcc_lo
; %bb.199:                              ;   in Loop: Header=BB179_38 Depth=1
	s_or_b32 exec_lo, exec_lo, s0
	v_lshlrev_b32_e32 v4, 16, v4
	s_delay_alu instid0(VALU_DEP_1) | instskip(NEXT) | instid1(VALU_DEP_1)
	v_mul_f32_e32 v35, v47, v4
	v_and_b32_e32 v4, 0x7f800000, v35
	s_delay_alu instid0(VALU_DEP_1) | instskip(SKIP_1) | instid1(SALU_CYCLE_1)
	v_cmp_ne_u32_e32 vcc_lo, 0x7f800000, v4
                                        ; implicit-def: $vgpr4
	s_and_saveexec_b32 s0, vcc_lo
	s_xor_b32 s0, exec_lo, s0
; %bb.200:                              ;   in Loop: Header=BB179_38 Depth=1
	v_bfe_u32 v4, v35, 16, 1
	s_delay_alu instid0(VALU_DEP_1)
	v_add3_u32 v4, v35, v4, 0x7fff
                                        ; implicit-def: $vgpr35
; %bb.201:                              ;   in Loop: Header=BB179_38 Depth=1
	s_and_not1_saveexec_b32 s0, s0
; %bb.202:                              ;   in Loop: Header=BB179_38 Depth=1
	v_and_b32_e32 v4, 0xffff, v35
	v_or_b32_e32 v36, 0x10000, v35
	s_delay_alu instid0(VALU_DEP_2) | instskip(NEXT) | instid1(VALU_DEP_2)
	v_cmp_eq_u32_e32 vcc_lo, 0, v4
	v_cndmask_b32_e32 v4, v36, v35, vcc_lo
; %bb.203:                              ;   in Loop: Header=BB179_38 Depth=1
	s_or_b32 exec_lo, exec_lo, s0
	v_lshlrev_b32_e32 v6, 16, v6
	s_delay_alu instid0(VALU_DEP_1) | instskip(NEXT) | instid1(VALU_DEP_1)
	v_mul_f32_e32 v35, v48, v6
	v_and_b32_e32 v6, 0x7f800000, v35
	s_delay_alu instid0(VALU_DEP_1) | instskip(SKIP_1) | instid1(SALU_CYCLE_1)
	v_cmp_ne_u32_e32 vcc_lo, 0x7f800000, v6
                                        ; implicit-def: $vgpr6
	s_and_saveexec_b32 s0, vcc_lo
	s_xor_b32 s0, exec_lo, s0
; %bb.204:                              ;   in Loop: Header=BB179_38 Depth=1
	v_bfe_u32 v6, v35, 16, 1
	s_delay_alu instid0(VALU_DEP_1)
	v_add3_u32 v6, v35, v6, 0x7fff
                                        ; implicit-def: $vgpr35
; %bb.205:                              ;   in Loop: Header=BB179_38 Depth=1
	s_and_not1_saveexec_b32 s0, s0
	s_cbranch_execz .LBB179_36
; %bb.206:                              ;   in Loop: Header=BB179_38 Depth=1
	v_and_b32_e32 v6, 0xffff, v35
	v_or_b32_e32 v36, 0x10000, v35
	s_delay_alu instid0(VALU_DEP_2) | instskip(NEXT) | instid1(VALU_DEP_2)
	v_cmp_eq_u32_e32 vcc_lo, 0, v6
	v_cndmask_b32_e32 v6, v36, v35, vcc_lo
	s_branch .LBB179_36
.LBB179_207:
	s_or_b32 exec_lo, exec_lo, s3
.LBB179_208:
	s_delay_alu instid0(SALU_CYCLE_1)
	s_or_b32 exec_lo, exec_lo, s1
	ds_bpermute_b32 v1, v15, v18
	ds_bpermute_b32 v2, v15, v20
	;; [unrolled: 1-line block ×4, first 2 shown]
	v_lshrrev_b32_e32 v5, 2, v13
	s_mov_b32 s0, exec_lo
	s_waitcnt lgkmcnt(0)
	s_waitcnt_vscnt null, 0x0
	s_barrier
	buffer_gl0_inv
	v_dual_add_f32 v1, v18, v1 :: v_dual_add_f32 v2, v20, v2
	v_dual_add_f32 v3, v19, v3 :: v_dual_add_f32 v6, v21, v4
	ds_bpermute_b32 v4, v16, v1
	ds_bpermute_b32 v7, v16, v2
	;; [unrolled: 1-line block ×4, first 2 shown]
	v_and_b32_e32 v10, 0x3c3, v0
	s_waitcnt lgkmcnt(3)
	v_add_f32_e32 v4, v1, v4
	s_waitcnt lgkmcnt(1)
	v_dual_add_f32 v2, v2, v7 :: v_dual_add_f32 v1, v3, v8
	s_waitcnt lgkmcnt(0)
	v_add_f32_e32 v3, v6, v9
	v_cmpx_eq_u32_e32 64, v10
	s_cbranch_execz .LBB179_210
; %bb.209:
	v_lshl_add_u32 v6, v12, 7, 0x60
	v_lshlrev_b32_e32 v7, 2, v5
	s_delay_alu instid0(VALU_DEP_1)
	v_add3_u32 v6, v6, v7, 0xffffff00
	ds_store_2addr_b32 v6, v4, v2 offset1:8
	ds_store_2addr_b32 v6, v1, v3 offset0:16 offset1:24
.LBB179_210:
	s_or_b32 exec_lo, exec_lo, s0
	v_and_b32_e32 v6, 0x3e0, v0
	v_cmp_eq_u32_e32 vcc_lo, 0, v17
	s_mov_b32 s1, exec_lo
	s_waitcnt lgkmcnt(0)
	s_barrier
	v_lshl_add_u32 v6, v6, 2, 0x60
	buffer_gl0_inv
	v_cmpx_gt_u32_e32 64, v0
	s_cbranch_execz .LBB179_217
; %bb.211:
	s_and_saveexec_b32 s0, vcc_lo
	s_cbranch_execnz .LBB179_246
; %bb.212:
	s_or_b32 exec_lo, exec_lo, s0
	s_and_saveexec_b32 s0, vcc_lo
	s_cbranch_execnz .LBB179_247
.LBB179_213:
	s_or_b32 exec_lo, exec_lo, s0
	s_and_saveexec_b32 s0, vcc_lo
	s_cbranch_execnz .LBB179_248
.LBB179_214:
	s_or_b32 exec_lo, exec_lo, s0
	s_and_saveexec_b32 s0, vcc_lo
	s_cbranch_execz .LBB179_216
.LBB179_215:
	v_lshl_add_u32 v7, v5, 2, v6
	ds_load_b32 v7, v7 offset:96
	s_waitcnt lgkmcnt(0)
	v_add_f32_e32 v3, v3, v7
.LBB179_216:
	s_or_b32 exec_lo, exec_lo, s0
.LBB179_217:
	s_delay_alu instid0(SALU_CYCLE_1)
	s_or_b32 exec_lo, exec_lo, s1
	v_and_b32_e32 v7, 0x3e3, v0
	s_mov_b32 s1, exec_lo
	s_barrier
	buffer_gl0_inv
	v_cmpx_eq_u32_e32 32, v7
	s_cbranch_execz .LBB179_219
; %bb.218:
	v_lshl_add_u32 v7, v5, 2, 0x60
	ds_store_2addr_b32 v7, v4, v2 offset1:8
	ds_store_2addr_b32 v7, v1, v3 offset0:16 offset1:24
.LBB179_219:
	s_or_b32 exec_lo, exec_lo, s1
	v_cmp_gt_u32_e64 s0, 32, v0
	s_waitcnt lgkmcnt(0)
	s_barrier
	buffer_gl0_inv
	s_and_saveexec_b32 s1, s0
	s_cbranch_execz .LBB179_226
; %bb.220:
	v_lshl_add_u32 v5, v5, 2, v6
	s_and_saveexec_b32 s2, vcc_lo
	s_cbranch_execnz .LBB179_249
; %bb.221:
	s_or_b32 exec_lo, exec_lo, s2
	s_and_saveexec_b32 s2, vcc_lo
	s_cbranch_execnz .LBB179_250
.LBB179_222:
	s_or_b32 exec_lo, exec_lo, s2
	s_and_saveexec_b32 s2, vcc_lo
	s_cbranch_execnz .LBB179_251
.LBB179_223:
	s_or_b32 exec_lo, exec_lo, s2
	s_and_saveexec_b32 s2, vcc_lo
	s_cbranch_execz .LBB179_225
.LBB179_224:
	ds_load_b32 v5, v5 offset:96
	s_waitcnt lgkmcnt(0)
	v_add_f32_e32 v3, v3, v5
.LBB179_225:
	s_or_b32 exec_lo, exec_lo, s2
.LBB179_226:
	s_delay_alu instid0(SALU_CYCLE_1)
	s_or_b32 exec_lo, exec_lo, s1
	s_barrier
	buffer_gl0_inv
	s_and_saveexec_b32 s1, s0
	s_cbranch_execz .LBB179_245
; %bb.227:
	s_and_b32 exec_lo, exec_lo, vcc_lo
	s_cbranch_execz .LBB179_245
; %bb.228:
	v_and_b32_e32 v5, 0x7f800000, v4
	s_mov_b32 s0, exec_lo
                                        ; implicit-def: $vgpr6
	s_delay_alu instid0(VALU_DEP_1)
	v_cmpx_ne_u32_e32 0x7f800000, v5
	s_xor_b32 s0, exec_lo, s0
; %bb.229:
	v_bfe_u32 v5, v4, 16, 1
	s_delay_alu instid0(VALU_DEP_1)
	v_add3_u32 v6, v4, v5, 0x7fff
; %bb.230:
	s_and_not1_saveexec_b32 s0, s0
; %bb.231:
	v_and_b32_e32 v5, 0xffff, v4
	v_or_b32_e32 v6, 0x10000, v4
	s_delay_alu instid0(VALU_DEP_2) | instskip(NEXT) | instid1(VALU_DEP_2)
	v_cmp_eq_u32_e32 vcc_lo, 0, v5
	v_cndmask_b32_e32 v6, v6, v4, vcc_lo
; %bb.232:
	s_or_b32 exec_lo, exec_lo, s0
	s_mul_i32 s0, s4, s14
	s_mul_i32 s2, s4, s20
	;; [unrolled: 1-line block ×3, first 2 shown]
	v_lshrrev_b32_e32 v0, 1, v0
	s_lshl_b32 s0, s0, 5
	v_and_b32_e32 v7, 0x7f800000, v2
	s_ashr_i32 s1, s0, 31
	s_delay_alu instid0(VALU_DEP_2) | instskip(SKIP_1) | instid1(SALU_CYCLE_1)
	v_and_b32_e32 v0, 0x1fe, v0
	s_lshl_b64 s[0:1], s[0:1], 1
	s_add_u32 s4, s22, s0
	s_addc_u32 s5, s23, s1
	s_ashr_i32 s3, s2, 31
	s_delay_alu instid0(SALU_CYCLE_1) | instskip(NEXT) | instid1(SALU_CYCLE_1)
	s_lshl_b64 s[0:1], s[2:3], 1
	s_add_u32 s2, s4, s0
	s_addc_u32 s3, s5, s1
	s_lshl_b32 s0, s12, 5
	s_delay_alu instid0(SALU_CYCLE_1) | instskip(NEXT) | instid1(SALU_CYCLE_1)
	s_ashr_i32 s1, s0, 31
	s_lshl_b64 s[0:1], s[0:1], 1
	s_delay_alu instid0(SALU_CYCLE_1) | instskip(SKIP_2) | instid1(VALU_DEP_1)
	s_add_u32 s0, s2, s0
	s_addc_u32 s1, s3, s1
	v_add_co_u32 v4, s2, s0, v0
	v_add_co_ci_u32_e64 v5, null, s1, 0, s2
	global_store_d16_hi_b16 v0, v6, s[0:1]
	s_mov_b32 s0, exec_lo
                                        ; implicit-def: $vgpr0
	v_cmpx_ne_u32_e32 0x7f800000, v7
	s_xor_b32 s0, exec_lo, s0
; %bb.233:
	v_bfe_u32 v0, v2, 16, 1
	s_delay_alu instid0(VALU_DEP_1)
	v_add3_u32 v0, v2, v0, 0x7fff
; %bb.234:
	s_and_not1_saveexec_b32 s0, s0
; %bb.235:
	v_and_b32_e32 v0, 0xffff, v2
	v_or_b32_e32 v6, 0x10000, v2
	s_delay_alu instid0(VALU_DEP_2) | instskip(NEXT) | instid1(VALU_DEP_2)
	v_cmp_eq_u32_e32 vcc_lo, 0, v0
	v_cndmask_b32_e32 v0, v6, v2, vcc_lo
; %bb.236:
	s_or_b32 exec_lo, exec_lo, s0
	v_and_b32_e32 v2, 0x7f800000, v1
	s_mov_b32 s0, exec_lo
	global_store_d16_hi_b16 v[4:5], v0, off offset:16
                                        ; implicit-def: $vgpr0
	v_cmpx_ne_u32_e32 0x7f800000, v2
	s_xor_b32 s0, exec_lo, s0
; %bb.237:
	v_bfe_u32 v0, v1, 16, 1
	s_delay_alu instid0(VALU_DEP_1)
	v_add3_u32 v0, v1, v0, 0x7fff
; %bb.238:
	s_and_not1_saveexec_b32 s0, s0
; %bb.239:
	v_and_b32_e32 v0, 0xffff, v1
	v_or_b32_e32 v2, 0x10000, v1
	s_delay_alu instid0(VALU_DEP_2) | instskip(NEXT) | instid1(VALU_DEP_2)
	v_cmp_eq_u32_e32 vcc_lo, 0, v0
	v_cndmask_b32_e32 v0, v2, v1, vcc_lo
; %bb.240:
	s_or_b32 exec_lo, exec_lo, s0
	v_and_b32_e32 v1, 0x7f800000, v3
	s_mov_b32 s0, exec_lo
	global_store_d16_hi_b16 v[4:5], v0, off offset:32
                                        ; implicit-def: $vgpr6
	v_cmpx_ne_u32_e32 0x7f800000, v1
	s_xor_b32 s0, exec_lo, s0
; %bb.241:
	v_bfe_u32 v0, v3, 16, 1
	s_delay_alu instid0(VALU_DEP_1)
	v_add3_u32 v6, v3, v0, 0x7fff
                                        ; implicit-def: $vgpr0_vgpr1_vgpr2_vgpr3
; %bb.242:
	s_and_not1_saveexec_b32 s0, s0
; %bb.243:
	v_and_b32_e32 v0, 0xffff, v3
	v_or_b32_e32 v1, 0x10000, v3
	s_delay_alu instid0(VALU_DEP_2) | instskip(NEXT) | instid1(VALU_DEP_2)
	v_cmp_eq_u32_e32 vcc_lo, 0, v0
	v_cndmask_b32_e32 v6, v1, v3, vcc_lo
; %bb.244:
	s_or_b32 exec_lo, exec_lo, s0
	global_store_d16_hi_b16 v[4:5], v6, off offset:48
.LBB179_245:
	s_nop 0
	s_sendmsg sendmsg(MSG_DEALLOC_VGPRS)
	s_endpgm
.LBB179_246:
	v_lshl_add_u32 v7, v5, 2, v6
	ds_load_b32 v7, v7
	s_waitcnt lgkmcnt(0)
	v_add_f32_e32 v4, v4, v7
	s_or_b32 exec_lo, exec_lo, s0
	s_and_saveexec_b32 s0, vcc_lo
	s_cbranch_execz .LBB179_213
.LBB179_247:
	v_lshl_add_u32 v7, v5, 2, v6
	ds_load_b32 v7, v7 offset:32
	s_waitcnt lgkmcnt(0)
	v_add_f32_e32 v2, v2, v7
	s_or_b32 exec_lo, exec_lo, s0
	s_and_saveexec_b32 s0, vcc_lo
	s_cbranch_execz .LBB179_214
.LBB179_248:
	v_lshl_add_u32 v7, v5, 2, v6
	ds_load_b32 v7, v7 offset:64
	s_waitcnt lgkmcnt(0)
	v_add_f32_e32 v1, v1, v7
	s_or_b32 exec_lo, exec_lo, s0
	s_and_saveexec_b32 s0, vcc_lo
	s_cbranch_execnz .LBB179_215
	s_branch .LBB179_216
.LBB179_249:
	ds_load_b32 v6, v5
	s_waitcnt lgkmcnt(0)
	v_add_f32_e32 v4, v4, v6
	s_or_b32 exec_lo, exec_lo, s2
	s_and_saveexec_b32 s2, vcc_lo
	s_cbranch_execz .LBB179_222
.LBB179_250:
	ds_load_b32 v6, v5 offset:32
	s_waitcnt lgkmcnt(0)
	v_add_f32_e32 v2, v2, v6
	s_or_b32 exec_lo, exec_lo, s2
	s_and_saveexec_b32 s2, vcc_lo
	s_cbranch_execz .LBB179_223
.LBB179_251:
	ds_load_b32 v6, v5 offset:64
	s_waitcnt lgkmcnt(0)
	v_add_f32_e32 v1, v1, v6
	s_or_b32 exec_lo, exec_lo, s2
	s_and_saveexec_b32 s2, vcc_lo
	s_cbranch_execnz .LBB179_224
	s_branch .LBB179_225
	.section	.rodata,"a",@progbits
	.p2align	6, 0x0
	.amdhsa_kernel _ZN4vllm25paged_attention_v2_kernelI14__hip_bfloat16S1_Li32ELi32ELi128ELNS_18Fp8KVCacheDataTypeE0ELb1ELi512EEEvPfS3_PT_PKS4_PKT0_SA_ifPKiSC_iPKfiiiSE_SE_iiiii
		.amdhsa_group_segment_fixed_size 96
		.amdhsa_private_segment_fixed_size 0
		.amdhsa_kernarg_size 400
		.amdhsa_user_sgpr_count 13
		.amdhsa_user_sgpr_dispatch_ptr 0
		.amdhsa_user_sgpr_queue_ptr 0
		.amdhsa_user_sgpr_kernarg_segment_ptr 1
		.amdhsa_user_sgpr_dispatch_id 0
		.amdhsa_user_sgpr_private_segment_size 0
		.amdhsa_wavefront_size32 1
		.amdhsa_uses_dynamic_stack 0
		.amdhsa_enable_private_segment 0
		.amdhsa_system_sgpr_workgroup_id_x 1
		.amdhsa_system_sgpr_workgroup_id_y 1
		.amdhsa_system_sgpr_workgroup_id_z 1
		.amdhsa_system_sgpr_workgroup_info 0
		.amdhsa_system_vgpr_workitem_id 0
		.amdhsa_next_free_vgpr 83
		.amdhsa_next_free_sgpr 44
		.amdhsa_reserve_vcc 1
		.amdhsa_float_round_mode_32 0
		.amdhsa_float_round_mode_16_64 0
		.amdhsa_float_denorm_mode_32 3
		.amdhsa_float_denorm_mode_16_64 3
		.amdhsa_dx10_clamp 1
		.amdhsa_ieee_mode 1
		.amdhsa_fp16_overflow 0
		.amdhsa_workgroup_processor_mode 1
		.amdhsa_memory_ordered 1
		.amdhsa_forward_progress 0
		.amdhsa_shared_vgpr_count 0
		.amdhsa_exception_fp_ieee_invalid_op 0
		.amdhsa_exception_fp_denorm_src 0
		.amdhsa_exception_fp_ieee_div_zero 0
		.amdhsa_exception_fp_ieee_overflow 0
		.amdhsa_exception_fp_ieee_underflow 0
		.amdhsa_exception_fp_ieee_inexact 0
		.amdhsa_exception_int_div_zero 0
	.end_amdhsa_kernel
	.section	.text._ZN4vllm25paged_attention_v2_kernelI14__hip_bfloat16S1_Li32ELi32ELi128ELNS_18Fp8KVCacheDataTypeE0ELb1ELi512EEEvPfS3_PT_PKS4_PKT0_SA_ifPKiSC_iPKfiiiSE_SE_iiiii,"axG",@progbits,_ZN4vllm25paged_attention_v2_kernelI14__hip_bfloat16S1_Li32ELi32ELi128ELNS_18Fp8KVCacheDataTypeE0ELb1ELi512EEEvPfS3_PT_PKS4_PKT0_SA_ifPKiSC_iPKfiiiSE_SE_iiiii,comdat
.Lfunc_end179:
	.size	_ZN4vllm25paged_attention_v2_kernelI14__hip_bfloat16S1_Li32ELi32ELi128ELNS_18Fp8KVCacheDataTypeE0ELb1ELi512EEEvPfS3_PT_PKS4_PKT0_SA_ifPKiSC_iPKfiiiSE_SE_iiiii, .Lfunc_end179-_ZN4vllm25paged_attention_v2_kernelI14__hip_bfloat16S1_Li32ELi32ELi128ELNS_18Fp8KVCacheDataTypeE0ELb1ELi512EEEvPfS3_PT_PKS4_PKT0_SA_ifPKiSC_iPKfiiiSE_SE_iiiii
                                        ; -- End function
	.section	.AMDGPU.csdata,"",@progbits
; Kernel info:
; codeLenInByte = 10736
; NumSgprs: 46
; NumVgprs: 83
; ScratchSize: 0
; MemoryBound: 0
; FloatMode: 240
; IeeeMode: 1
; LDSByteSize: 96 bytes/workgroup (compile time only)
; SGPRBlocks: 5
; VGPRBlocks: 10
; NumSGPRsForWavesPerEU: 46
; NumVGPRsForWavesPerEU: 83
; Occupancy: 16
; WaveLimiterHint : 1
; COMPUTE_PGM_RSRC2:SCRATCH_EN: 0
; COMPUTE_PGM_RSRC2:USER_SGPR: 13
; COMPUTE_PGM_RSRC2:TRAP_HANDLER: 0
; COMPUTE_PGM_RSRC2:TGID_X_EN: 1
; COMPUTE_PGM_RSRC2:TGID_Y_EN: 1
; COMPUTE_PGM_RSRC2:TGID_Z_EN: 1
; COMPUTE_PGM_RSRC2:TIDIG_COMP_CNT: 0
	.section	.text._ZN4vllm25paged_attention_v2_kernelI14__hip_bfloat16S1_Li64ELi32ELi128ELNS_18Fp8KVCacheDataTypeE0ELb1ELi512EEEvPfS3_PT_PKS4_PKT0_SA_ifPKiSC_iPKfiiiSE_SE_iiiii,"axG",@progbits,_ZN4vllm25paged_attention_v2_kernelI14__hip_bfloat16S1_Li64ELi32ELi128ELNS_18Fp8KVCacheDataTypeE0ELb1ELi512EEEvPfS3_PT_PKS4_PKT0_SA_ifPKiSC_iPKfiiiSE_SE_iiiii,comdat
	.protected	_ZN4vllm25paged_attention_v2_kernelI14__hip_bfloat16S1_Li64ELi32ELi128ELNS_18Fp8KVCacheDataTypeE0ELb1ELi512EEEvPfS3_PT_PKS4_PKT0_SA_ifPKiSC_iPKfiiiSE_SE_iiiii ; -- Begin function _ZN4vllm25paged_attention_v2_kernelI14__hip_bfloat16S1_Li64ELi32ELi128ELNS_18Fp8KVCacheDataTypeE0ELb1ELi512EEEvPfS3_PT_PKS4_PKT0_SA_ifPKiSC_iPKfiiiSE_SE_iiiii
	.globl	_ZN4vllm25paged_attention_v2_kernelI14__hip_bfloat16S1_Li64ELi32ELi128ELNS_18Fp8KVCacheDataTypeE0ELb1ELi512EEEvPfS3_PT_PKS4_PKT0_SA_ifPKiSC_iPKfiiiSE_SE_iiiii
	.p2align	8
	.type	_ZN4vllm25paged_attention_v2_kernelI14__hip_bfloat16S1_Li64ELi32ELi128ELNS_18Fp8KVCacheDataTypeE0ELb1ELi512EEEvPfS3_PT_PKS4_PKT0_SA_ifPKiSC_iPKfiiiSE_SE_iiiii,@function
_ZN4vllm25paged_attention_v2_kernelI14__hip_bfloat16S1_Li64ELi32ELi128ELNS_18Fp8KVCacheDataTypeE0ELb1ELi512EEEvPfS3_PT_PKS4_PKT0_SA_ifPKiSC_iPKfiiiSE_SE_iiiii: ; @_ZN4vllm25paged_attention_v2_kernelI14__hip_bfloat16S1_Li64ELi32ELi128ELNS_18Fp8KVCacheDataTypeE0ELb1ELi512EEEvPfS3_PT_PKS4_PKT0_SA_ifPKiSC_iPKfiiiSE_SE_iiiii
; %bb.0:
	s_load_b64 s[2:3], s[0:1], 0x40
	s_mov_b32 s12, s15
	s_ashr_i32 s15, s14, 31
	s_mov_b32 s24, s13
	s_lshl_b64 s[4:5], s[14:15], 2
	s_waitcnt lgkmcnt(0)
	s_add_u32 s2, s2, s4
	s_addc_u32 s3, s3, s5
	s_lshl_b32 s13, s12, 9
	s_load_b32 s33, s[2:3], 0x0
	s_waitcnt lgkmcnt(0)
	s_cmp_ge_i32 s13, s33
	s_cbranch_scc1 .LBB180_405
; %bb.1:
	s_clause 0x1
	s_load_b32 s15, s[0:1], 0x90
	s_load_b64 s[2:3], s[0:1], 0x30
	s_mov_b32 s37, 0
	s_waitcnt lgkmcnt(0)
	s_abs_i32 s7, s15
	s_abs_i32 s4, s2
	s_delay_alu instid0(SALU_CYCLE_1) | instskip(SKIP_1) | instid1(VALU_DEP_1)
	v_cvt_f32_u32_e32 v1, s4
	s_sub_i32 s6, 0, s4
	v_rcp_iflag_f32_e32 v1, v1
	s_waitcnt_depctr 0xfff
	v_mul_f32_e32 v1, 0x4f7ffffe, v1
	s_delay_alu instid0(VALU_DEP_1) | instskip(NEXT) | instid1(VALU_DEP_1)
	v_cvt_u32_f32_e32 v1, v1
	v_readfirstlane_b32 s5, v1
	s_delay_alu instid0(VALU_DEP_1) | instskip(NEXT) | instid1(SALU_CYCLE_1)
	s_mul_i32 s6, s6, s5
	s_mul_hi_u32 s6, s5, s6
	s_delay_alu instid0(SALU_CYCLE_1) | instskip(SKIP_4) | instid1(SALU_CYCLE_1)
	s_add_i32 s5, s5, s6
	s_xor_b32 s6, s15, s2
	s_mul_hi_u32 s5, s7, s5
	s_ashr_i32 s6, s6, 31
	s_mul_i32 s8, s5, s4
	s_sub_i32 s7, s7, s8
	s_add_i32 s8, s5, 1
	s_sub_i32 s9, s7, s4
	s_cmp_ge_u32 s7, s4
	s_cselect_b32 s5, s8, s5
	s_cselect_b32 s7, s9, s7
	s_add_i32 s8, s5, 1
	s_cmp_ge_u32 s7, s4
	s_cselect_b32 s4, s8, s5
	s_abs_i32 s17, s24
	s_xor_b32 s4, s4, s6
	s_delay_alu instid0(SALU_CYCLE_1) | instskip(SKIP_2) | instid1(SALU_CYCLE_1)
	s_sub_i32 s8, s4, s6
	s_load_b64 s[4:5], s[0:1], 0x50
	s_abs_i32 s16, s8
	v_cvt_f32_u32_e32 v1, s16
	s_sub_i32 s7, 0, s16
	s_delay_alu instid0(VALU_DEP_1) | instskip(SKIP_2) | instid1(VALU_DEP_1)
	v_rcp_iflag_f32_e32 v1, v1
	s_waitcnt_depctr 0xfff
	v_mul_f32_e32 v1, 0x4f7ffffe, v1
	v_cvt_u32_f32_e32 v1, v1
	s_delay_alu instid0(VALU_DEP_1) | instskip(NEXT) | instid1(VALU_DEP_1)
	v_readfirstlane_b32 s6, v1
	s_mul_i32 s7, s7, s6
	s_delay_alu instid0(SALU_CYCLE_1) | instskip(NEXT) | instid1(SALU_CYCLE_1)
	s_mul_hi_u32 s7, s6, s7
	s_add_i32 s6, s6, s7
	s_waitcnt lgkmcnt(0)
	s_cmp_eq_u64 s[4:5], 0
	s_mul_hi_u32 s18, s17, s6
	s_cbranch_scc1 .LBB180_3
; %bb.2:
	s_ashr_i32 s25, s24, 31
	s_delay_alu instid0(SALU_CYCLE_1) | instskip(NEXT) | instid1(SALU_CYCLE_1)
	s_lshl_b64 s[6:7], s[24:25], 2
	s_add_u32 s4, s4, s6
	s_addc_u32 s5, s5, s7
	s_load_b32 s37, s[4:5], 0x0
.LBB180_3:
	s_load_b128 s[4:7], s[0:1], 0x58
	v_lshlrev_b32_e32 v3, 4, v0
	s_waitcnt lgkmcnt(0)
	s_ashr_i32 s7, s24, 31
	s_ashr_i32 s19, s8, 31
	s_lshl_b32 s20, s24, 6
	s_mov_b32 s8, exec_lo
	v_cmpx_gt_u32_e32 8, v0
	s_cbranch_execz .LBB180_5
; %bb.4:
	s_load_b64 s[10:11], s[0:1], 0x18
	s_mul_i32 s22, s14, s4
	s_delay_alu instid0(SALU_CYCLE_1) | instskip(NEXT) | instid1(SALU_CYCLE_1)
	s_ashr_i32 s23, s22, 31
	s_lshl_b64 s[22:23], s[22:23], 1
	s_waitcnt lgkmcnt(0)
	s_add_u32 s4, s10, s22
	s_addc_u32 s9, s11, s23
	s_ashr_i32 s21, s20, 31
	s_delay_alu instid0(SALU_CYCLE_1) | instskip(NEXT) | instid1(SALU_CYCLE_1)
	s_lshl_b64 s[10:11], s[20:21], 1
	s_add_u32 s10, s4, s10
	s_addc_u32 s11, s9, s11
	global_load_b128 v[4:7], v3, s[10:11]
	s_waitcnt vmcnt(0)
	ds_store_b128 v3, v[4:7]
.LBB180_5:
	s_or_b32 exec_lo, exec_lo, s8
	s_load_b128 s[8:11], s[0:1], 0x78
	s_mul_i32 s4, s18, s16
	s_xor_b32 s7, s7, s19
	s_sub_i32 s4, s17, s4
	s_add_i32 s17, s18, 1
	s_sub_i32 s19, s4, s16
	s_cmp_ge_u32 s4, s16
	s_waitcnt lgkmcnt(0)
	s_cselect_b32 s17, s17, s18
	s_cselect_b32 s4, s19, s4
	s_add_i32 s18, s17, 1
	s_cmp_ge_u32 s4, s16
	s_load_b32 s4, s[0:1], 0x88
	s_cselect_b32 s16, s18, s17
	s_mov_b32 s17, -1
	s_xor_b32 s16, s16, s7
	s_waitcnt lgkmcnt(0)
	s_barrier
	s_sub_i32 s7, s16, s7
	buffer_gl0_inv
                                        ; implicit-def: $sgpr34
	s_abs_i32 s21, s11
	s_delay_alu instid0(SALU_CYCLE_1) | instskip(SKIP_1) | instid1(VALU_DEP_1)
	v_cvt_f32_u32_e32 v1, s21
	s_sub_i32 s16, 0, s21
	v_rcp_iflag_f32_e32 v1, v1
	s_waitcnt_depctr 0xfff
	v_mul_f32_e32 v1, 0x4f7ffffe, v1
	s_delay_alu instid0(VALU_DEP_1) | instskip(NEXT) | instid1(VALU_DEP_1)
	v_cvt_u32_f32_e32 v1, v1
	v_readfirstlane_b32 s25, v1
	s_delay_alu instid0(VALU_DEP_1)
	s_mul_i32 s18, s16, s25
	s_add_i32 s16, s33, -1
	s_mul_hi_u32 s18, s25, s18
	s_abs_i32 s28, s16
	s_add_i32 s25, s25, s18
	s_cmp_lt_i32 s4, 0
	s_mul_hi_u32 s35, s28, s25
	s_cbranch_scc0 .LBB180_7
; %bb.6:
	s_mul_i32 s2, s8, s2
	s_mov_b32 s17, 0
	s_add_i32 s2, s7, s2
	s_delay_alu instid0(SALU_CYCLE_1) | instskip(NEXT) | instid1(SALU_CYCLE_1)
	s_mul_i32 s2, s2, s4
	s_sub_i32 s34, 1, s2
.LBB180_7:
	s_load_b64 s[26:27], s[0:1], 0x38
	s_ashr_i32 s2, s16, 31
	s_and_not1_b32 vcc_lo, exec_lo, s17
	s_ashr_i32 s11, s11, 31
	s_cbranch_vccnz .LBB180_9
; %bb.8:
	s_mul_i32 s8, s15, s8
	s_delay_alu instid0(SALU_CYCLE_1) | instskip(NEXT) | instid1(SALU_CYCLE_1)
	s_add_i32 s8, s8, s24
	s_mul_i32 s4, s8, s4
	s_delay_alu instid0(SALU_CYCLE_1)
	s_add_i32 s34, s4, 1
.LBB180_9:
	s_clause 0x4
	s_load_b32 s8, s[0:1], 0x48
	s_load_b64 s[30:31], s[0:1], 0x28
	s_load_b32 s4, s[0:1], 0x98
	s_load_b128 s[16:19], s[0:1], 0x0
	s_load_b64 s[22:23], s[0:1], 0x10
	s_xor_b32 s36, s2, s11
	s_mul_i32 s2, s35, s21
	s_add_i32 s38, s35, 1
	s_sub_i32 s2, s28, s2
	v_lshrrev_b32_e32 v12, 5, v0
	v_dual_mov_b32 v60, 0xff7fffff :: v_dual_and_b32 v13, 31, v0
	s_mul_i32 s6, s7, s6
	s_delay_alu instid0(VALU_DEP_2) | instskip(NEXT) | instid1(VALU_DEP_2)
	v_lshl_add_u32 v14, v12, 5, s13
	v_lshlrev_b32_e32 v4, 2, v13
	s_waitcnt lgkmcnt(0)
	s_mul_i32 s28, s14, s8
	s_sub_i32 s8, s2, s21
	s_ashr_i32 s29, s28, 31
	s_cmp_ge_u32 s2, s21
	s_cselect_b32 s35, s38, s35
	s_cselect_b32 s2, s8, s2
	s_add_i32 s8, s35, 1
	s_cmp_ge_u32 s2, s21
	s_cselect_b32 s2, s8, s35
	s_add_i32 s8, s33, 31
	s_lshl_b32 s38, s12, 4
	s_ashr_i32 s35, s8, 31
	v_add_nc_u32_e32 v9, s38, v12
	s_lshr_b32 s35, s35, 27
	s_add_i32 s39, s38, 16
	s_add_i32 s8, s8, s35
	s_xor_b32 s40, s2, s36
	s_ashr_i32 s35, s8, 5
	v_ashrrev_i32_e32 v10, 31, v9
	s_min_i32 s8, s39, s35
	s_sub_i32 s36, s40, s36
	v_cmp_gt_i32_e64 s2, s8, v9
	s_delay_alu instid0(VALU_DEP_1)
	s_and_saveexec_b32 s39, s2
	s_cbranch_execz .LBB180_17
; %bb.10:
	s_load_b64 s[0:1], s[0:1], 0x20
	s_ashr_i32 s7, s6, 31
	v_dual_mov_b32 v1, 0 :: v_dual_lshlrev_b32 v2, 4, v13
	s_lshl_b64 s[42:43], s[6:7], 1
	s_sub_i32 s40, s36, s9
	ds_load_b128 v[57:60], v1
	ds_load_b128 v[61:64], v1 offset:16
	ds_load_b128 v[65:68], v1 offset:32
	;; [unrolled: 1-line block ×7, first 2 shown]
	v_cmp_neq_f32_e64 vcc_lo, s37, 0
	s_mov_b32 s41, 0
	s_waitcnt lgkmcnt(0)
	s_add_u32 s0, s0, s42
	s_addc_u32 s1, s1, s43
	s_abs_i32 s7, s10
	v_add_co_u32 v5, s0, s0, v2
	v_cvt_f32_u32_e32 v1, s7
	v_bfi_b32 v30, 0xffff, 0, v62
	v_lshlrev_b32_e32 v31, 16, v62
	v_add_co_ci_u32_e64 v6, null, s1, 0, s0
	s_delay_alu instid0(VALU_DEP_4)
	v_rcp_iflag_f32_e32 v1, v1
	s_sub_i32 s0, 0, s7
	v_bfi_b32 v22, 0xffff, 0, v77
	v_lshlrev_b32_e32 v23, 16, v77
	v_bfi_b32 v11, 0xffff, 0, v61
	v_lshlrev_b32_e32 v15, 16, v61
	;; [unrolled: 2-line block ×3, first 2 shown]
	v_lshlrev_b32_e32 v62, 16, v60
	v_bfi_b32 v32, 0xffff, 0, v66
	v_mul_f32_e32 v1, 0x4f7ffffe, v1
	v_lshlrev_b32_e32 v33, 16, v66
	v_bfi_b32 v48, 0xffff, 0, v67
	v_lshlrev_b32_e32 v49, 16, v67
	v_bfi_b32 v50, 0xffff, 0, v71
	v_cvt_u32_f32_e32 v1, v1
	v_lshlrev_b32_e32 v51, 16, v71
	v_bfi_b32 v61, 0xffff, 0, v60
	v_bfi_b32 v65, 0xffff, 0, v68
	v_lshlrev_b32_e32 v66, 16, v68
	v_mul_lo_u32 v2, s0, v1
	s_lshl_b64 s[0:1], s[28:29], 2
	v_bfi_b32 v67, 0xffff, 0, v72
	v_lshlrev_b32_e32 v68, 16, v72
	v_bfi_b32 v71, 0xffff, 0, v80
	v_lshlrev_b32_e32 v72, 16, v80
	v_subrev_nc_u32_e32 v60, s33, v13
	v_lshl_or_b32 v80, v12, 7, v4
	v_mul_hi_u32 v2, v1, v2
	s_add_u32 s0, s26, s0
	s_addc_u32 s1, s27, s1
	v_bfi_b32 v7, 0xffff, 0, v57
	v_lshlrev_b32_e32 v8, 16, v57
	v_bfi_b32 v18, 0xffff, 0, v69
	v_lshlrev_b32_e32 v19, 16, v69
	v_bfi_b32 v20, 0xffff, 0, v73
	v_add_nc_u32_e32 v77, v1, v2
	v_lshlrev_b64 v[1:2], 2, v[9:10]
	v_lshlrev_b32_e32 v21, 16, v73
	v_bfi_b32 v24, 0xffff, 0, v81
	v_lshlrev_b32_e32 v25, 16, v81
	v_mov_b32_e32 v81, 0xff7fffff
	v_bfi_b32 v26, 0xffff, 0, v85
	v_add_co_u32 v1, s0, s0, v1
	v_lshlrev_b32_e32 v27, 16, v85
	v_bfi_b32 v28, 0xffff, 0, v58
	v_lshlrev_b32_e32 v29, 16, v58
	v_bfi_b32 v34, 0xffff, 0, v70
	;; [unrolled: 2-line block ×16, first 2 shown]
	v_lshlrev_b32_e32 v76, 16, v88
	v_add_co_ci_u32_e64 v2, s0, s1, v2, s0
	v_lshl_add_u32 v78, v12, 5, s13
	v_add_nc_u32_e32 v79, 1, v60
	v_add_nc_u32_e32 v80, 0xa0, v80
	v_mov_b32_e32 v60, 0xff7fffff
	v_mov_b32_e32 v82, v9
	s_mov_b32 s42, s5
	s_branch .LBB180_12
.LBB180_11:                             ;   in Loop: Header=BB180_12 Depth=1
	s_or_b32 exec_lo, exec_lo, s1
	v_add_nc_u32_e32 v82, 4, v82
	v_add_co_u32 v1, s1, v1, 16
	s_delay_alu instid0(VALU_DEP_1) | instskip(NEXT) | instid1(VALU_DEP_3)
	v_add_co_ci_u32_e64 v2, s1, 0, v2, s1
	v_cmp_le_i32_e64 s0, s8, v82
	v_add_nc_u32_e32 v78, 0x80, v78
	v_add_nc_u32_e32 v80, 0x200, v80
	s_delay_alu instid0(VALU_DEP_3) | instskip(NEXT) | instid1(SALU_CYCLE_1)
	s_or_b32 s41, s0, s41
	s_and_not1_b32 exec_lo, exec_lo, s41
	s_cbranch_execz .LBB180_16
.LBB180_12:                             ; =>This Inner Loop Header: Depth=1
	v_sub_nc_u32_e32 v83, 0, v78
	s_delay_alu instid0(VALU_DEP_1) | instskip(NEXT) | instid1(VALU_DEP_1)
	v_max_i32_e32 v83, v78, v83
	v_mul_hi_u32 v84, v83, s25
	s_delay_alu instid0(VALU_DEP_1) | instskip(NEXT) | instid1(VALU_DEP_1)
	v_mul_lo_u32 v85, v84, s21
	v_sub_nc_u32_e32 v83, v83, v85
	v_add_nc_u32_e32 v85, 1, v84
	s_delay_alu instid0(VALU_DEP_2) | instskip(SKIP_1) | instid1(VALU_DEP_1)
	v_subrev_nc_u32_e32 v86, s21, v83
	v_cmp_le_u32_e64 s0, s21, v83
	v_cndmask_b32_e64 v84, v84, v85, s0
	s_delay_alu instid0(VALU_DEP_3) | instskip(SKIP_1) | instid1(VALU_DEP_3)
	v_cndmask_b32_e64 v83, v83, v86, s0
	v_ashrrev_i32_e32 v85, 31, v78
	v_add_nc_u32_e32 v86, 1, v84
	s_delay_alu instid0(VALU_DEP_3) | instskip(NEXT) | instid1(VALU_DEP_3)
	v_cmp_le_u32_e64 s0, s21, v83
	v_xor_b32_e32 v85, s11, v85
	s_delay_alu instid0(VALU_DEP_2) | instskip(NEXT) | instid1(VALU_DEP_1)
	v_cndmask_b32_e64 v83, v84, v86, s0
	v_xor_b32_e32 v83, v83, v85
	s_delay_alu instid0(VALU_DEP_1) | instskip(NEXT) | instid1(VALU_DEP_1)
	v_sub_nc_u32_e32 v83, v83, v85
	v_add_nc_u32_e32 v84, s34, v83
	v_cmp_ge_i32_e64 s1, s40, v83
	s_delay_alu instid0(VALU_DEP_2) | instskip(NEXT) | instid1(VALU_DEP_1)
	v_sub_nc_u32_e32 v85, 0, v84
	v_max_i32_e32 v85, v84, v85
	v_ashrrev_i32_e32 v84, 31, v84
	s_delay_alu instid0(VALU_DEP_2) | instskip(NEXT) | instid1(VALU_DEP_1)
	v_mul_hi_u32 v86, v85, v77
	v_mul_lo_u32 v86, v86, s7
	s_delay_alu instid0(VALU_DEP_1) | instskip(NEXT) | instid1(VALU_DEP_1)
	v_sub_nc_u32_e32 v85, v85, v86
	v_subrev_nc_u32_e32 v86, s7, v85
	v_cmp_le_u32_e64 s0, s7, v85
	s_delay_alu instid0(VALU_DEP_1) | instskip(NEXT) | instid1(VALU_DEP_1)
	v_cndmask_b32_e64 v85, v85, v86, s0
	v_subrev_nc_u32_e32 v86, s7, v85
	v_cmp_le_u32_e64 s0, s7, v85
	s_delay_alu instid0(VALU_DEP_1) | instskip(NEXT) | instid1(VALU_DEP_1)
	v_cndmask_b32_e64 v85, v85, v86, s0
	v_xor_b32_e32 v85, v85, v84
	s_delay_alu instid0(VALU_DEP_1) | instskip(NEXT) | instid1(VALU_DEP_1)
	v_sub_nc_u32_e32 v84, v85, v84
	v_cmp_ne_u32_e64 s0, 0, v84
	s_delay_alu instid0(VALU_DEP_1) | instskip(NEXT) | instid1(SALU_CYCLE_1)
	s_and_b32 s0, s0, s1
	s_and_saveexec_b32 s1, s0
	s_delay_alu instid0(SALU_CYCLE_1)
	s_xor_b32 s0, exec_lo, s1
	s_cbranch_execz .LBB180_14
; %bb.13:                               ;   in Loop: Header=BB180_12 Depth=1
	ds_store_b32 v80, v81
.LBB180_14:                             ;   in Loop: Header=BB180_12 Depth=1
	s_and_not1_saveexec_b32 s1, s0
	s_cbranch_execz .LBB180_11
; %bb.15:                               ;   in Loop: Header=BB180_12 Depth=1
	global_load_b32 v85, v[1:2], off
	s_waitcnt vmcnt(0)
	v_mad_i64_i32 v[83:84], null, v85, s42, 0
	s_delay_alu instid0(VALU_DEP_1) | instskip(NEXT) | instid1(VALU_DEP_1)
	v_lshlrev_b64 v[83:84], 1, v[83:84]
	v_add_co_u32 v111, s0, v5, v83
	s_delay_alu instid0(VALU_DEP_1)
	v_add_co_ci_u32_e64 v112, s0, v6, v84, s0
	s_clause 0x7
	global_load_b128 v[83:86], v[111:112], off
	global_load_b128 v[87:90], v[111:112], off offset:512
	global_load_b128 v[91:94], v[111:112], off offset:1024
	;; [unrolled: 1-line block ×7, first 2 shown]
	s_waitcnt vmcnt(6)
	v_and_b32_e32 v122, 0xffff0000, v89
	v_and_b32_e32 v117, 0xffff0000, v87
	s_waitcnt vmcnt(3)
	v_and_b32_e32 v134, 0xffff0000, v101
	v_lshlrev_b32_e32 v129, 16, v96
	v_and_b32_e32 v123, 0xffff0000, v90
	v_lshlrev_b32_e32 v90, 16, v90
	v_dual_mul_f32 v122, v46, v122 :: v_dual_lshlrev_b32 v87, 16, v87
	v_dual_mul_f32 v117, v11, v117 :: v_dual_lshlrev_b32 v116, 16, v83
	s_delay_alu instid0(VALU_DEP_3) | instskip(NEXT) | instid1(VALU_DEP_3)
	v_mul_f32_e32 v90, v64, v90
	v_dual_mul_f32 v87, v15, v87 :: v_dual_lshlrev_b32 v118, 16, v84
	s_waitcnt vmcnt(1)
	v_and_b32_e32 v141, 0xffff0000, v108
	v_lshlrev_b32_e32 v108, 16, v108
	s_waitcnt vmcnt(0)
	v_lshlrev_b32_e32 v145, 16, v112
	v_lshlrev_b32_e32 v131, 16, v98
	v_dual_fmac_f32 v87, v8, v116 :: v_dual_and_b32 v126, 0xffff0000, v93
	v_and_b32_e32 v121, 0xffff0000, v88
	v_lshlrev_b32_e32 v88, 16, v88
	v_and_b32_e32 v83, 0xffff0000, v83
	v_and_b32_e32 v127, 0xffff0000, v94
	v_lshlrev_b32_e32 v130, 16, v97
	s_delay_alu instid0(VALU_DEP_4) | instskip(SKIP_3) | instid1(VALU_DEP_4)
	v_dual_mul_f32 v88, v31, v88 :: v_dual_and_b32 v97, 0xffff0000, v97
	v_lshlrev_b32_e32 v119, 16, v85
	v_and_b32_e32 v125, 0xffff0000, v92
	v_dual_fmac_f32 v117, v7, v83 :: v_dual_lshlrev_b32 v138, 16, v105
	v_fmac_f32_e32 v88, v29, v118
	v_lshlrev_b32_e32 v92, 16, v92
	v_lshlrev_b32_e32 v89, 16, v89
	v_and_b32_e32 v143, 0xffff0000, v110
	v_lshlrev_b32_e32 v110, 16, v110
	v_lshlrev_b32_e32 v137, 16, v104
	v_fmac_f32_e32 v88, v33, v92
	v_dual_mul_f32 v89, v47, v89 :: v_dual_lshlrev_b32 v120, 16, v86
	v_and_b32_e32 v85, 0xffff0000, v85
	s_delay_alu instid0(VALU_DEP_3) | instskip(NEXT) | instid1(VALU_DEP_3)
	v_fmac_f32_e32 v88, v35, v129
	v_fmac_f32_e32 v90, v62, v120
	v_dual_mul_f32 v123, v63, v123 :: v_dual_and_b32 v86, 0xffff0000, v86
	v_and_b32_e32 v124, 0xffff0000, v91
	v_dual_fmac_f32 v122, v44, v85 :: v_dual_add_nc_u32 v115, v79, v78
	v_fmac_f32_e32 v89, v45, v119
	s_delay_alu instid0(VALU_DEP_4) | instskip(NEXT) | instid1(VALU_DEP_4)
	v_fmac_f32_e32 v123, v61, v86
	v_dual_fmac_f32 v117, v16, v124 :: v_dual_lshlrev_b32 v94, 16, v94
	v_lshlrev_b32_e32 v91, 16, v91
	v_cvt_f32_i32_e32 v85, v115
	v_lshlrev_b32_e32 v139, 16, v106
	s_delay_alu instid0(VALU_DEP_4) | instskip(NEXT) | instid1(VALU_DEP_4)
	v_fmac_f32_e32 v90, v66, v94
	v_dual_fmac_f32 v87, v17, v91 :: v_dual_and_b32 v86, 0xffff0000, v114
	v_fmac_f32_e32 v122, v48, v126
	v_dual_mul_f32 v121, v30, v121 :: v_dual_and_b32 v84, 0xffff0000, v84
	s_delay_alu instid0(VALU_DEP_1) | instskip(SKIP_2) | instid1(VALU_DEP_3)
	v_dual_fmac_f32 v122, v50, v97 :: v_dual_fmac_f32 v121, v28, v84
	v_lshlrev_b32_e32 v128, 16, v95
	v_lshlrev_b32_e32 v84, 16, v114
	v_dual_fmac_f32 v122, v52, v134 :: v_dual_and_b32 v105, 0xffff0000, v105
	v_and_b32_e32 v133, 0xffff0000, v100
	v_dual_fmac_f32 v121, v32, v125 :: v_dual_and_b32 v132, 0xffff0000, v99
	v_fmac_f32_e32 v87, v19, v128
	v_lshlrev_b32_e32 v100, 16, v100
	v_lshlrev_b32_e32 v93, 16, v93
	v_fmac_f32_e32 v122, v54, v105
	s_delay_alu instid0(VALU_DEP_3) | instskip(NEXT) | instid1(VALU_DEP_3)
	v_dual_fmac_f32 v88, v37, v100 :: v_dual_and_b32 v95, 0xffff0000, v95
	v_dual_fmac_f32 v89, v49, v93 :: v_dual_and_b32 v96, 0xffff0000, v96
	s_delay_alu instid0(VALU_DEP_2) | instskip(NEXT) | instid1(VALU_DEP_3)
	v_fmac_f32_e32 v88, v39, v137
	v_dual_fmac_f32 v117, v18, v95 :: v_dual_and_b32 v98, 0xffff0000, v98
	s_delay_alu instid0(VALU_DEP_3) | instskip(NEXT) | instid1(VALU_DEP_3)
	v_dual_fmac_f32 v121, v34, v96 :: v_dual_and_b32 v140, 0xffff0000, v107
	v_fmac_f32_e32 v88, v41, v108
	s_delay_alu instid0(VALU_DEP_3) | instskip(NEXT) | instid1(VALU_DEP_3)
	v_fmac_f32_e32 v117, v20, v132
	v_fmac_f32_e32 v121, v36, v133
	v_and_b32_e32 v142, 0xffff0000, v109
	s_delay_alu instid0(VALU_DEP_4) | instskip(SKIP_4) | instid1(VALU_DEP_3)
	v_fmac_f32_e32 v88, v43, v145
	v_fmac_f32_e32 v90, v68, v131
	v_dual_fmac_f32 v123, v65, v127 :: v_dual_and_b32 v104, 0xffff0000, v104
	v_dual_fmac_f32 v89, v51, v130 :: v_dual_lshlrev_b32 v136, 16, v103
	v_dual_fmac_f32 v122, v56, v142 :: v_dual_and_b32 v103, 0xffff0000, v103
	v_dual_fmac_f32 v123, v67, v98 :: v_dual_and_b32 v144, 0xffff0000, v111
	s_delay_alu instid0(VALU_DEP_4)
	v_dual_fmac_f32 v121, v38, v104 :: v_dual_lshlrev_b32 v146, 16, v113
	v_and_b32_e32 v113, 0xffff0000, v113
	v_and_b32_e32 v135, 0xffff0000, v102
	v_lshlrev_b32_e32 v102, 16, v102
	v_lshlrev_b32_e32 v99, 16, v99
	v_fmac_f32_e32 v117, v22, v103
	v_lshlrev_b32_e32 v111, 16, v111
	s_delay_alu instid0(VALU_DEP_4) | instskip(SKIP_3) | instid1(VALU_DEP_3)
	v_dual_fmac_f32 v90, v70, v102 :: v_dual_lshlrev_b32 v109, 16, v109
	v_lshlrev_b32_e32 v101, 16, v101
	v_dual_fmac_f32 v87, v21, v99 :: v_dual_and_b32 v106, 0xffff0000, v106
	v_fmac_f32_e32 v117, v24, v140
	v_dual_fmac_f32 v90, v72, v139 :: v_dual_fmac_f32 v89, v53, v101
	s_delay_alu instid0(VALU_DEP_3) | instskip(SKIP_1) | instid1(VALU_DEP_4)
	v_fmac_f32_e32 v87, v23, v136
	v_fmac_f32_e32 v121, v40, v141
	;; [unrolled: 1-line block ×3, first 2 shown]
	s_delay_alu instid0(VALU_DEP_4) | instskip(SKIP_1) | instid1(VALU_DEP_2)
	v_fmac_f32_e32 v90, v74, v110
	v_dual_fmac_f32 v89, v55, v138 :: v_dual_fmac_f32 v122, v58, v113
	v_dual_fmac_f32 v123, v69, v135 :: v_dual_fmac_f32 v90, v76, v84
	v_dual_mul_f32 v84, s37, v85 :: v_dual_lshlrev_b32 v107, 16, v107
	s_delay_alu instid0(VALU_DEP_3) | instskip(NEXT) | instid1(VALU_DEP_3)
	v_fmac_f32_e32 v89, v57, v109
	v_fmac_f32_e32 v123, v71, v106
	v_max_f32_e32 v85, v60, v60
	s_delay_alu instid0(VALU_DEP_4) | instskip(NEXT) | instid1(VALU_DEP_4)
	v_dual_cndmask_b32 v84, 0, v84 :: v_dual_fmac_f32 v87, v25, v107
	v_dual_fmac_f32 v89, v59, v146 :: v_dual_and_b32 v112, 0xffff0000, v112
	s_delay_alu instid0(VALU_DEP_4) | instskip(NEXT) | instid1(VALU_DEP_3)
	v_fmac_f32_e32 v123, v73, v143
	v_fmac_f32_e32 v87, v27, v111
	s_delay_alu instid0(VALU_DEP_3) | instskip(NEXT) | instid1(VALU_DEP_3)
	v_fmac_f32_e32 v121, v42, v112
	v_fmac_f32_e32 v123, v75, v86
	s_delay_alu instid0(VALU_DEP_3) | instskip(NEXT) | instid1(VALU_DEP_1)
	v_add_f32_e32 v83, v87, v117
	v_add_f32_e32 v83, v83, v88
	s_delay_alu instid0(VALU_DEP_1) | instskip(NEXT) | instid1(VALU_DEP_1)
	v_add_f32_e32 v83, v121, v83
	v_add_f32_e32 v83, v89, v83
	s_delay_alu instid0(VALU_DEP_1) | instskip(NEXT) | instid1(VALU_DEP_1)
	;; [unrolled: 3-line block ×3, first 2 shown]
	v_add_f32_e32 v83, v123, v83
	v_dual_fmac_f32 v84, s3, v83 :: v_dual_add_nc_u32 v83, v13, v78
	s_delay_alu instid0(VALU_DEP_1) | instskip(NEXT) | instid1(VALU_DEP_2)
	v_max_f32_e32 v85, v85, v84
	v_cmp_gt_i32_e64 s0, s33, v83
	s_delay_alu instid0(VALU_DEP_1) | instskip(NEXT) | instid1(VALU_DEP_3)
	v_cndmask_b32_e64 v83, 0, v84, s0
	v_cndmask_b32_e64 v60, v60, v85, s0
	ds_store_b32 v80, v83
	s_branch .LBB180_11
.LBB180_16:
	s_or_b32 exec_lo, exec_lo, s41
.LBB180_17:
	s_delay_alu instid0(SALU_CYCLE_1) | instskip(SKIP_2) | instid1(VALU_DEP_2)
	s_or_b32 exec_lo, exec_lo, s39
	v_mbcnt_lo_u32_b32 v1, -1, 0
	v_max_f32_e32 v7, v60, v60
	v_xor_b32_e32 v2, 16, v1
	v_xor_b32_e32 v6, 8, v1
	s_delay_alu instid0(VALU_DEP_2) | instskip(SKIP_1) | instid1(VALU_DEP_3)
	v_cmp_gt_i32_e32 vcc_lo, 32, v2
	v_cndmask_b32_e32 v2, v1, v2, vcc_lo
	v_cmp_gt_i32_e32 vcc_lo, 32, v6
	s_delay_alu instid0(VALU_DEP_2) | instskip(SKIP_4) | instid1(VALU_DEP_1)
	v_lshlrev_b32_e32 v2, 2, v2
	v_cndmask_b32_e32 v6, v1, v6, vcc_lo
	ds_bpermute_b32 v5, v2, v60
	s_waitcnt lgkmcnt(0)
	v_dual_max_f32 v8, v5, v5 :: v_dual_lshlrev_b32 v5, 2, v6
	v_max_f32_e32 v6, v7, v8
	v_xor_b32_e32 v8, 4, v1
	ds_bpermute_b32 v7, v5, v6
	v_cmp_gt_i32_e32 vcc_lo, 32, v8
	s_waitcnt lgkmcnt(0)
	v_dual_cndmask_b32 v8, v1, v8 :: v_dual_max_f32 v11, v7, v7
	s_delay_alu instid0(VALU_DEP_1) | instskip(SKIP_1) | instid1(VALU_DEP_1)
	v_max_f32_e32 v6, v6, v11
	v_xor_b32_e32 v11, 2, v1
	v_cmp_gt_i32_e32 vcc_lo, 32, v11
	v_cndmask_b32_e32 v11, v1, v11, vcc_lo
	s_delay_alu instid0(VALU_DEP_1) | instskip(SKIP_1) | instid1(VALU_DEP_1)
	v_lshlrev_b32_e32 v16, 2, v11
	v_xor_b32_e32 v11, 1, v1
	v_cmp_gt_i32_e32 vcc_lo, 32, v11
	v_cndmask_b32_e32 v11, v1, v11, vcc_lo
	v_cmp_eq_u32_e32 vcc_lo, 0, v13
	s_delay_alu instid0(VALU_DEP_2) | instskip(SKIP_4) | instid1(VALU_DEP_1)
	v_lshlrev_b32_e32 v15, 2, v11
	v_lshlrev_b32_e32 v7, 2, v8
	ds_bpermute_b32 v8, v7, v6
	s_waitcnt lgkmcnt(0)
	v_max_f32_e32 v8, v8, v8
	v_max_f32_e32 v6, v6, v8
	ds_bpermute_b32 v8, v16, v6
	s_waitcnt lgkmcnt(0)
	v_max_f32_e32 v8, v8, v8
	s_delay_alu instid0(VALU_DEP_1)
	v_max_f32_e32 v1, v6, v8
	v_lshlrev_b32_e32 v8, 2, v12
	ds_bpermute_b32 v6, v15, v1
	s_and_saveexec_b32 s0, vcc_lo
	s_cbranch_execz .LBB180_19
; %bb.18:
	s_waitcnt lgkmcnt(0)
	v_dual_max_f32 v6, v6, v6 :: v_dual_max_f32 v1, v1, v1
	s_delay_alu instid0(VALU_DEP_1)
	v_max_f32_e32 v1, v1, v6
	ds_store_b32 v8, v1 offset:128
.LBB180_19:
	s_or_b32 exec_lo, exec_lo, s0
	v_cmp_gt_u32_e64 s0, 4, v13
	v_mov_b32_e32 v1, 0xff7fffff
	s_waitcnt lgkmcnt(0)
	s_barrier
	buffer_gl0_inv
	s_and_saveexec_b32 s1, s0
	s_cbranch_execz .LBB180_21
; %bb.20:
	ds_load_b32 v1, v4 offset:128
.LBB180_21:
	s_or_b32 exec_lo, exec_lo, s1
	s_waitcnt lgkmcnt(0)
	ds_bpermute_b32 v6, v16, v1
	v_max_f32_e32 v1, v1, v1
	s_sub_i32 s1, s8, s38
	v_mov_b32_e32 v11, 0
	s_lshl_b32 s1, s1, 5
	s_delay_alu instid0(SALU_CYCLE_1) | instskip(NEXT) | instid1(SALU_CYCLE_1)
	s_add_i32 s1, s1, s13
	s_min_i32 s1, s1, s33
	s_delay_alu instid0(SALU_CYCLE_1) | instskip(NEXT) | instid1(SALU_CYCLE_1)
	s_sub_i32 s7, s1, s13
	v_cmp_gt_i32_e64 s1, s7, v0
	s_waitcnt lgkmcnt(0)
	v_max_f32_e32 v6, v6, v6
	s_delay_alu instid0(VALU_DEP_1) | instskip(SKIP_3) | instid1(VALU_DEP_1)
	v_max_f32_e32 v1, v1, v6
	ds_bpermute_b32 v6, v15, v1
	s_waitcnt lgkmcnt(0)
	v_max_f32_e32 v6, v6, v6
	v_max_f32_e32 v1, v1, v6
	v_lshl_add_u32 v6, v0, 2, 0xa0
	ds_bpermute_b32 v1, v11, v1
	s_and_saveexec_b32 s13, s1
	s_cbranch_execz .LBB180_25
; %bb.22:
	v_lshl_add_u32 v17, v0, 2, 0xa0
	v_dual_mov_b32 v11, 0 :: v_dual_mov_b32 v18, v0
	s_mov_b32 s37, 0
	.p2align	6
.LBB180_23:                             ; =>This Inner Loop Header: Depth=1
	ds_load_b32 v19, v17
	v_add_nc_u32_e32 v18, 0x80, v18
	s_delay_alu instid0(VALU_DEP_1) | instskip(NEXT) | instid1(VALU_DEP_1)
	v_cmp_le_i32_e64 s3, s7, v18
	s_or_b32 s37, s3, s37
	s_waitcnt lgkmcnt(0)
	v_sub_f32_e32 v19, v19, v1
	s_delay_alu instid0(VALU_DEP_1) | instskip(NEXT) | instid1(VALU_DEP_1)
	v_mul_f32_e32 v19, 0x3fb8aa3b, v19
	v_exp_f32_e32 v19, v19
	ds_store_b32 v17, v19
	v_add_f32_e32 v11, v11, v19
	v_add_nc_u32_e32 v17, 0x200, v17
	s_and_not1_b32 exec_lo, exec_lo, s37
	s_cbranch_execnz .LBB180_23
; %bb.24:
	s_or_b32 exec_lo, exec_lo, s37
.LBB180_25:
	s_delay_alu instid0(SALU_CYCLE_1)
	s_or_b32 exec_lo, exec_lo, s13
	ds_bpermute_b32 v2, v2, v11
	s_waitcnt lgkmcnt(0)
	v_add_f32_e32 v2, v11, v2
	ds_bpermute_b32 v5, v5, v2
	s_waitcnt lgkmcnt(0)
	v_add_f32_e32 v2, v2, v5
	;; [unrolled: 3-line block ×5, first 2 shown]
	s_and_saveexec_b32 s3, vcc_lo
	s_cbranch_execz .LBB180_27
; %bb.26:
	ds_store_b32 v8, v2 offset:144
.LBB180_27:
	s_or_b32 exec_lo, exec_lo, s3
	s_waitcnt lgkmcnt(0)
	s_barrier
	buffer_gl0_inv
	s_and_saveexec_b32 s3, s0
	s_cbranch_execz .LBB180_29
; %bb.28:
	ds_load_b32 v2, v4 offset:144
.LBB180_29:
	s_or_b32 exec_lo, exec_lo, s3
	s_waitcnt lgkmcnt(0)
	ds_bpermute_b32 v4, v16, v2
	s_waitcnt lgkmcnt(0)
	v_add_f32_e32 v2, v2, v4
	ds_bpermute_b32 v4, v15, v2
	s_waitcnt lgkmcnt(0)
	v_add_f32_e32 v2, v2, v4
	v_mov_b32_e32 v4, 0
	ds_bpermute_b32 v2, v4, v2
	s_and_saveexec_b32 s0, s1
	s_cbranch_execz .LBB180_32
; %bb.30:
	s_waitcnt lgkmcnt(0)
	v_add_f32_e32 v4, 0x358637bd, v2
	s_mov_b32 s1, 0
	s_delay_alu instid0(VALU_DEP_1) | instskip(NEXT) | instid1(VALU_DEP_1)
	v_div_scale_f32 v5, null, v4, v4, 1.0
	v_rcp_f32_e32 v7, v5
	s_waitcnt_depctr 0xfff
	v_fma_f32 v8, -v5, v7, 1.0
	s_delay_alu instid0(VALU_DEP_1) | instskip(SKIP_1) | instid1(VALU_DEP_1)
	v_fmac_f32_e32 v7, v8, v7
	v_div_scale_f32 v11, vcc_lo, 1.0, v4, 1.0
	v_mul_f32_e32 v8, v11, v7
	s_delay_alu instid0(VALU_DEP_1) | instskip(NEXT) | instid1(VALU_DEP_1)
	v_fma_f32 v17, -v5, v8, v11
	v_fmac_f32_e32 v8, v17, v7
	s_delay_alu instid0(VALU_DEP_1) | instskip(NEXT) | instid1(VALU_DEP_1)
	v_fma_f32 v5, -v5, v8, v11
	v_div_fmas_f32 v5, v5, v7, v8
	s_delay_alu instid0(VALU_DEP_1)
	v_div_fixup_f32 v4, v5, v4, 1.0
	v_mov_b32_e32 v5, v0
.LBB180_31:                             ; =>This Inner Loop Header: Depth=1
	ds_load_b32 v7, v6
	v_add_nc_u32_e32 v5, 0x80, v5
	s_delay_alu instid0(VALU_DEP_1)
	v_cmp_le_i32_e32 vcc_lo, s7, v5
	s_or_b32 s1, vcc_lo, s1
	s_waitcnt lgkmcnt(0)
	v_mul_f32_e32 v7, v4, v7
	ds_store_b32 v6, v7
	v_add_nc_u32_e32 v6, 0x200, v6
	s_and_not1_b32 exec_lo, exec_lo, s1
	s_cbranch_execnz .LBB180_31
.LBB180_32:
	s_or_b32 exec_lo, exec_lo, s0
	s_delay_alu instid0(SALU_CYCLE_1)
	s_mov_b32 s0, exec_lo
	s_waitcnt lgkmcnt(0)
	s_barrier
	buffer_gl0_inv
	v_cmpx_eq_u32_e32 0, v0
	s_cbranch_execz .LBB180_34
; %bb.33:
	s_mul_i32 s1, s4, s14
	s_mul_i32 s40, s4, s24
	;; [unrolled: 1-line block ×3, first 2 shown]
	v_mov_b32_e32 v4, 0
	s_ashr_i32 s39, s38, 31
	s_delay_alu instid0(SALU_CYCLE_1) | instskip(NEXT) | instid1(SALU_CYCLE_1)
	s_lshl_b64 s[38:39], s[38:39], 2
	s_add_u32 s1, s18, s38
	s_addc_u32 s3, s19, s39
	s_ashr_i32 s41, s40, 31
	s_delay_alu instid0(SALU_CYCLE_1) | instskip(NEXT) | instid1(SALU_CYCLE_1)
	s_lshl_b64 s[18:19], s[40:41], 2
	s_add_u32 s1, s1, s18
	s_addc_u32 s3, s3, s19
	;; [unrolled: 5-line block ×3, first 2 shown]
	s_add_u32 s1, s16, s38
	s_addc_u32 s3, s17, s39
	s_add_u32 s1, s1, s18
	s_addc_u32 s3, s3, s19
	;; [unrolled: 2-line block ×3, first 2 shown]
	s_clause 0x1
	global_store_b32 v4, v1, s[42:43]
	global_store_b32 v4, v2, s[16:17]
.LBB180_34:
	s_or_b32 exec_lo, exec_lo, s0
	v_dual_mov_b32 v25, 0 :: v_dual_mov_b32 v20, 0
	v_dual_mov_b32 v22, 0 :: v_dual_and_b32 v17, 3, v0
	v_dual_mov_b32 v19, 0 :: v_dual_mov_b32 v24, 0
	v_dual_mov_b32 v21, 0 :: v_dual_mov_b32 v18, 0
	v_mov_b32_e32 v23, 0
	s_mov_b32 s3, 0
	s_and_saveexec_b32 s1, s2
	s_cbranch_execz .LBB180_344
; %bb.35:
	s_ashr_i32 s7, s6, 31
	s_sub_i32 s2, s36, s9
	s_lshl_b64 s[6:7], s[6:7], 1
	v_dual_mov_b32 v18, 0 :: v_dual_lshlrev_b32 v5, 3, v0
	s_add_u32 s0, s30, s6
	s_addc_u32 s9, s31, s7
	s_abs_i32 s6, s10
	s_delay_alu instid0(VALU_DEP_1) | instskip(SKIP_4) | instid1(VALU_DEP_3)
	v_dual_mov_b32 v25, 0 :: v_dual_and_b32 v26, 24, v5
	v_cvt_f32_u32_e32 v1, s6
	s_sub_i32 s7, 0, s6
	v_dual_mov_b32 v24, 0 :: v_dual_and_b32 v3, 0x1f0, v3
	v_dual_mov_b32 v23, 0 :: v_dual_lshlrev_b32 v6, 5, v17
	v_rcp_iflag_f32_e32 v4, v1
	v_lshlrev_b64 v[1:2], 2, v[9:10]
	s_delay_alu instid0(VALU_DEP_3)
	v_add_co_u32 v27, s0, s0, v3
	s_lshl_b64 s[16:17], s[28:29], 2
	v_lshl_or_b32 v6, v12, 7, v6
	v_mov_b32_e32 v21, 0
	v_add_co_ci_u32_e64 v28, null, s9, 0, s0
	v_dual_mov_b32 v22, 0 :: v_dual_mov_b32 v19, 0
	s_delay_alu instid0(TRANS32_DEP_1) | instskip(SKIP_1) | instid1(VALU_DEP_2)
	v_mul_f32_e32 v4, 0x4f7ffffe, v4
	v_dual_mov_b32 v20, 0 :: v_dual_add_nc_u32 v29, 0xa0, v6
	v_cvt_u32_f32_e32 v4, v4
	s_delay_alu instid0(VALU_DEP_1)
	v_mul_lo_u32 v5, s7, v4
	s_add_i32 s7, s35, -1
	s_add_u32 s0, s26, s16
	s_addc_u32 s9, s27, s17
	v_add_co_u32 v10, vcc_lo, s0, v1
	v_add_co_ci_u32_e32 v11, vcc_lo, s9, v2, vcc_lo
	s_delay_alu instid0(VALU_DEP_3) | instskip(NEXT) | instid1(VALU_DEP_1)
	v_mul_hi_u32 v3, v4, v5
	v_add_nc_u32_e32 v30, v4, v3
	s_branch .LBB180_38
.LBB180_36:                             ;   in Loop: Header=BB180_38 Depth=1
	s_or_b32 exec_lo, exec_lo, s0
	v_and_b32_e32 v44, 0xffff0000, v98
	v_and_b32_e32 v45, 0xffff0000, v97
	;; [unrolled: 1-line block ×6, first 2 shown]
	v_dual_add_f32 v44, v45, v44 :: v_dual_and_b32 v41, 0xffff0000, v94
	v_and_b32_e32 v40, 0xffff0000, v96
	v_and_b32_e32 v46, 0xffff0000, v85
	;; [unrolled: 1-line block ×3, first 2 shown]
	s_delay_alu instid0(VALU_DEP_4) | instskip(NEXT) | instid1(VALU_DEP_4)
	v_dual_add_f32 v41, v42, v41 :: v_dual_and_b32 v2, 0xffff0000, v2
	v_add_f32_e32 v40, v43, v40
	v_and_b32_e32 v42, 0xffff0000, v99
	v_and_b32_e32 v34, 0xffff0000, v34
	s_delay_alu instid0(VALU_DEP_4) | instskip(NEXT) | instid1(VALU_DEP_4)
	v_dual_add_f32 v2, v2, v6 :: v_dual_and_b32 v5, 0xffff0000, v5
	v_dual_add_f32 v40, v41, v40 :: v_dual_and_b32 v45, 0xffff0000, v89
	v_and_b32_e32 v1, 0xffff0000, v1
	v_and_b32_e32 v32, 0xffff0000, v32
	;; [unrolled: 1-line block ×3, first 2 shown]
	s_delay_alu instid0(VALU_DEP_4)
	v_add_f32_e32 v40, v40, v44
	v_and_b32_e32 v43, 0xffff0000, v100
	v_and_b32_e32 v41, 0xffff0000, v90
	;; [unrolled: 1-line block ×5, first 2 shown]
	s_delay_alu instid0(VALU_DEP_4) | instskip(SKIP_2) | instid1(VALU_DEP_3)
	v_dual_add_f32 v42, v42, v43 :: v_dual_add_f32 v41, v45, v41
	v_and_b32_e32 v44, 0xffff0000, v86
	v_and_b32_e32 v51, 0xffff0000, v79
	v_dual_add_f32 v1, v1, v5 :: v_dual_add_f32 v40, v40, v42
	v_and_b32_e32 v42, 0xffff0000, v91
	s_delay_alu instid0(VALU_DEP_4) | instskip(SKIP_4) | instid1(VALU_DEP_4)
	v_add_f32_e32 v44, v46, v44
	v_and_b32_e32 v46, 0xffff0000, v80
	v_and_b32_e32 v43, 0xffff0000, v88
	v_add_f32_e32 v19, v19, v40
	v_and_b32_e32 v31, 0xffff0000, v31
	v_dual_add_f32 v46, v51, v46 :: v_dual_and_b32 v7, 0xffff0000, v7
	s_delay_alu instid0(VALU_DEP_4) | instskip(SKIP_1) | instid1(VALU_DEP_3)
	v_dual_add_f32 v43, v48, v43 :: v_dual_and_b32 v48, 0xffff0000, v78
	v_add_f32_e32 v1, v1, v2
	v_add_f32_e32 v7, v7, v8
	s_delay_alu instid0(VALU_DEP_3) | instskip(SKIP_3) | instid1(VALU_DEP_4)
	v_dual_add_f32 v8, v31, v32 :: v_dual_add_f32 v43, v44, v43
	v_and_b32_e32 v31, 0xffff0000, v37
	v_and_b32_e32 v47, 0xffff0000, v47
	;; [unrolled: 1-line block ×3, first 2 shown]
	v_add_f32_e32 v5, v7, v8
	v_add_f32_e32 v41, v43, v41
	v_and_b32_e32 v49, 0xffff0000, v92
	v_and_b32_e32 v43, 0xffff0000, v83
	v_add_f32_e32 v2, v3, v31
	v_and_b32_e32 v3, 0xffff0000, v39
	s_delay_alu instid0(VALU_DEP_4) | instskip(SKIP_1) | instid1(VALU_DEP_3)
	v_dual_add_f32 v42, v42, v49 :: v_dual_and_b32 v35, 0xffff0000, v35
	v_and_b32_e32 v49, 0xffff0000, v65
	v_dual_add_f32 v1, v1, v2 :: v_dual_add_f32 v2, v4, v3
	v_add_f32_e32 v6, v33, v34
	s_delay_alu instid0(VALU_DEP_4) | instskip(NEXT) | instid1(VALU_DEP_3)
	v_add_f32_e32 v40, v41, v42
	v_add_f32_e32 v1, v1, v2
	s_delay_alu instid0(VALU_DEP_3) | instskip(NEXT) | instid1(VALU_DEP_3)
	v_add_f32_e32 v5, v5, v6
	v_add_f32_e32 v21, v21, v40
	v_dual_add_f32 v45, v50, v48 :: v_dual_and_b32 v48, 0xffff0000, v81
	v_and_b32_e32 v50, 0xffff0000, v67
	v_dual_add_f32 v6, v35, v36 :: v_dual_add_f32 v25, v25, v1
	s_delay_alu instid0(VALU_DEP_3) | instskip(NEXT) | instid1(VALU_DEP_2)
	v_dual_add_f32 v45, v45, v46 :: v_dual_and_b32 v46, 0xffff0000, v84
	v_add_f32_e32 v5, v5, v6
	s_delay_alu instid0(VALU_DEP_2) | instskip(SKIP_2) | instid1(VALU_DEP_4)
	v_dual_add_f32 v42, v43, v46 :: v_dual_and_b32 v43, 0xffff0000, v72
	v_and_b32_e32 v46, 0xffff0000, v71
	v_and_b32_e32 v44, 0xffff0000, v82
	v_add_f32_e32 v18, v18, v5
	s_delay_alu instid0(VALU_DEP_2) | instskip(SKIP_1) | instid1(VALU_DEP_2)
	v_dual_add_f32 v43, v46, v43 :: v_dual_add_f32 v44, v48, v44
	v_and_b32_e32 v48, 0xffff0000, v63
	v_dual_add_f32 v41, v45, v44 :: v_dual_and_b32 v46, 0xffff0000, v61
	v_and_b32_e32 v44, 0xffff0000, v70
	s_delay_alu instid0(VALU_DEP_2) | instskip(NEXT) | instid1(VALU_DEP_1)
	v_dual_add_f32 v40, v41, v42 :: v_dual_and_b32 v45, 0xffff0000, v69
	v_dual_add_f32 v42, v45, v44 :: v_dual_and_b32 v41, 0xffff0000, v74
	v_and_b32_e32 v45, 0xffff0000, v76
	v_and_b32_e32 v44, 0xffff0000, v73
	s_delay_alu instid0(VALU_DEP_4) | instskip(SKIP_2) | instid1(VALU_DEP_4)
	v_add_f32_e32 v20, v20, v40
	v_and_b32_e32 v40, 0xffff0000, v75
	v_dual_add_f32 v42, v42, v43 :: v_dual_and_b32 v43, 0xffff0000, v64
	v_dual_add_f32 v41, v44, v41 :: v_dual_and_b32 v44, 0xffff0000, v62
	s_delay_alu instid0(VALU_DEP_3) | instskip(NEXT) | instid1(VALU_DEP_3)
	v_dual_add_f32 v40, v40, v45 :: v_dual_and_b32 v45, 0xffff0000, v59
	v_add_f32_e32 v43, v48, v43
	s_delay_alu instid0(VALU_DEP_3) | instskip(NEXT) | instid1(VALU_DEP_4)
	v_dual_add_f32 v41, v42, v41 :: v_dual_and_b32 v42, 0xffff0000, v66
	v_add_f32_e32 v44, v46, v44
	v_and_b32_e32 v48, 0xffff0000, v55
	v_and_b32_e32 v46, 0xffff0000, v56
	s_delay_alu instid0(VALU_DEP_4) | instskip(NEXT) | instid1(VALU_DEP_4)
	v_add_f32_e32 v3, v41, v40
	v_dual_add_f32 v42, v49, v42 :: v_dual_add_f32 v43, v44, v43
	s_delay_alu instid0(VALU_DEP_3) | instskip(SKIP_1) | instid1(VALU_DEP_4)
	v_add_f32_e32 v46, v48, v46
	v_and_b32_e32 v48, 0xffff0000, v68
	v_add_f32_e32 v22, v22, v3
	s_delay_alu instid0(VALU_DEP_2) | instskip(NEXT) | instid1(VALU_DEP_1)
	v_dual_add_f32 v42, v43, v42 :: v_dual_add_f32 v43, v50, v48
	v_add_f32_e32 v4, v42, v43
	s_delay_alu instid0(VALU_DEP_1) | instskip(NEXT) | instid1(VALU_DEP_1)
	v_dual_add_f32 v23, v23, v4 :: v_dual_and_b32 v38, 0xffff0000, v38
	v_dual_add_f32 v38, v38, v47 :: v_dual_and_b32 v47, 0xffff0000, v57
	s_delay_alu instid0(VALU_DEP_1) | instskip(SKIP_1) | instid1(VALU_DEP_1)
	v_add_f32_e32 v38, v38, v46
	v_and_b32_e32 v46, 0xffff0000, v60
	v_add_f32_e32 v7, v45, v46
	v_and_b32_e32 v44, 0xffff0000, v58
	s_delay_alu instid0(VALU_DEP_1) | instskip(NEXT) | instid1(VALU_DEP_1)
	v_add_f32_e32 v44, v47, v44
	v_add_f32_e32 v38, v38, v44
	s_delay_alu instid0(VALU_DEP_1) | instskip(NEXT) | instid1(VALU_DEP_1)
	v_add_f32_e32 v7, v38, v7
	v_add_f32_e32 v24, v24, v7
.LBB180_37:                             ;   in Loop: Header=BB180_38 Depth=1
	s_or_b32 exec_lo, exec_lo, s9
	v_add_nc_u32_e32 v9, 4, v9
	v_add_co_u32 v10, s0, v10, 16
	s_delay_alu instid0(VALU_DEP_1) | instskip(NEXT) | instid1(VALU_DEP_3)
	v_add_co_ci_u32_e64 v11, s0, 0, v11, s0
	v_cmp_le_i32_e32 vcc_lo, s8, v9
	v_add_nc_u32_e32 v14, 0x80, v14
	v_add_nc_u32_e32 v29, 0x200, v29
	s_or_b32 s3, vcc_lo, s3
	s_delay_alu instid0(SALU_CYCLE_1)
	s_and_not1_b32 exec_lo, exec_lo, s3
	s_cbranch_execz .LBB180_343
.LBB180_38:                             ; =>This Inner Loop Header: Depth=1
	v_sub_nc_u32_e32 v1, 0, v14
	s_delay_alu instid0(VALU_DEP_1) | instskip(NEXT) | instid1(VALU_DEP_1)
	v_max_i32_e32 v1, v14, v1
	v_mul_hi_u32 v2, v1, s25
	s_delay_alu instid0(VALU_DEP_1) | instskip(NEXT) | instid1(VALU_DEP_1)
	v_mul_lo_u32 v3, v2, s21
	v_sub_nc_u32_e32 v1, v1, v3
	v_add_nc_u32_e32 v3, 1, v2
	s_delay_alu instid0(VALU_DEP_2) | instskip(SKIP_1) | instid1(VALU_DEP_2)
	v_subrev_nc_u32_e32 v4, s21, v1
	v_cmp_le_u32_e32 vcc_lo, s21, v1
	v_dual_cndmask_b32 v2, v2, v3 :: v_dual_cndmask_b32 v1, v1, v4
	v_ashrrev_i32_e32 v3, 31, v14
	s_delay_alu instid0(VALU_DEP_2) | instskip(NEXT) | instid1(VALU_DEP_3)
	v_add_nc_u32_e32 v4, 1, v2
	v_cmp_le_u32_e32 vcc_lo, s21, v1
	s_delay_alu instid0(VALU_DEP_3) | instskip(NEXT) | instid1(VALU_DEP_3)
	v_xor_b32_e32 v3, s11, v3
	v_cndmask_b32_e32 v1, v2, v4, vcc_lo
	s_delay_alu instid0(VALU_DEP_1) | instskip(NEXT) | instid1(VALU_DEP_1)
	v_xor_b32_e32 v1, v1, v3
	v_sub_nc_u32_e32 v1, v1, v3
	s_delay_alu instid0(VALU_DEP_1) | instskip(SKIP_1) | instid1(VALU_DEP_2)
	v_add_nc_u32_e32 v2, s34, v1
	v_cmp_lt_i32_e64 s0, s2, v1
	v_sub_nc_u32_e32 v3, 0, v2
	s_delay_alu instid0(VALU_DEP_1) | instskip(NEXT) | instid1(VALU_DEP_1)
	v_max_i32_e32 v3, v2, v3
	v_mul_hi_u32 v4, v3, v30
	s_delay_alu instid0(VALU_DEP_1) | instskip(NEXT) | instid1(VALU_DEP_1)
	v_mul_lo_u32 v4, v4, s6
	v_sub_nc_u32_e32 v3, v3, v4
	s_delay_alu instid0(VALU_DEP_1) | instskip(SKIP_1) | instid1(VALU_DEP_2)
	v_subrev_nc_u32_e32 v4, s6, v3
	v_cmp_le_u32_e32 vcc_lo, s6, v3
	v_cndmask_b32_e32 v3, v3, v4, vcc_lo
	v_ashrrev_i32_e32 v2, 31, v2
	s_delay_alu instid0(VALU_DEP_2) | instskip(SKIP_1) | instid1(VALU_DEP_2)
	v_subrev_nc_u32_e32 v4, s6, v3
	v_cmp_le_u32_e32 vcc_lo, s6, v3
	v_cndmask_b32_e32 v3, v3, v4, vcc_lo
	s_delay_alu instid0(VALU_DEP_1) | instskip(NEXT) | instid1(VALU_DEP_1)
	v_xor_b32_e32 v3, v3, v2
	v_sub_nc_u32_e32 v2, v3, v2
	s_delay_alu instid0(VALU_DEP_1) | instskip(SKIP_1) | instid1(SALU_CYCLE_1)
	v_cmp_eq_u32_e32 vcc_lo, 0, v2
	s_or_b32 s0, vcc_lo, s0
	s_and_saveexec_b32 s9, s0
	s_cbranch_execz .LBB180_37
; %bb.39:                               ;   in Loop: Header=BB180_38 Depth=1
	global_load_b32 v37, v[10:11], off
	ds_load_2addr_b64 v[5:8], v29 offset1:1
	ds_load_2addr_b64 v[1:4], v29 offset0:2 offset1:3
	s_mov_b32 s0, exec_lo
                                        ; implicit-def: $vgpr46
	s_waitcnt lgkmcnt(1)
	v_and_b32_e32 v31, 0x7f800000, v5
	s_delay_alu instid0(VALU_DEP_1)
	v_cmpx_ne_u32_e32 0x7f800000, v31
	s_xor_b32 s0, exec_lo, s0
; %bb.40:                               ;   in Loop: Header=BB180_38 Depth=1
	v_bfe_u32 v31, v5, 16, 1
	s_delay_alu instid0(VALU_DEP_1)
	v_add3_u32 v46, v5, v31, 0x7fff
; %bb.41:                               ;   in Loop: Header=BB180_38 Depth=1
	s_and_not1_saveexec_b32 s0, s0
; %bb.42:                               ;   in Loop: Header=BB180_38 Depth=1
	v_and_b32_e32 v31, 0xffff, v5
	v_or_b32_e32 v32, 0x10000, v5
	s_delay_alu instid0(VALU_DEP_2) | instskip(NEXT) | instid1(VALU_DEP_2)
	v_cmp_eq_u32_e32 vcc_lo, 0, v31
	v_cndmask_b32_e32 v46, v32, v5, vcc_lo
; %bb.43:                               ;   in Loop: Header=BB180_38 Depth=1
	s_or_b32 exec_lo, exec_lo, s0
	v_and_b32_e32 v5, 0x7f800000, v6
	s_mov_b32 s0, exec_lo
                                        ; implicit-def: $vgpr38
	s_delay_alu instid0(VALU_DEP_1)
	v_cmpx_ne_u32_e32 0x7f800000, v5
	s_xor_b32 s0, exec_lo, s0
; %bb.44:                               ;   in Loop: Header=BB180_38 Depth=1
	v_bfe_u32 v5, v6, 16, 1
	s_delay_alu instid0(VALU_DEP_1)
	v_add3_u32 v38, v6, v5, 0x7fff
; %bb.45:                               ;   in Loop: Header=BB180_38 Depth=1
	s_and_not1_saveexec_b32 s0, s0
; %bb.46:                               ;   in Loop: Header=BB180_38 Depth=1
	v_and_b32_e32 v5, 0xffff, v6
	v_or_b32_e32 v31, 0x10000, v6
	s_delay_alu instid0(VALU_DEP_2) | instskip(NEXT) | instid1(VALU_DEP_2)
	v_cmp_eq_u32_e32 vcc_lo, 0, v5
	v_cndmask_b32_e32 v38, v31, v6, vcc_lo
; %bb.47:                               ;   in Loop: Header=BB180_38 Depth=1
	s_or_b32 exec_lo, exec_lo, s0
	v_and_b32_e32 v5, 0x7f800000, v7
	s_mov_b32 s0, exec_lo
                                        ; implicit-def: $vgpr31
	s_delay_alu instid0(VALU_DEP_1)
	v_cmpx_ne_u32_e32 0x7f800000, v5
	s_xor_b32 s0, exec_lo, s0
; %bb.48:                               ;   in Loop: Header=BB180_38 Depth=1
	v_bfe_u32 v5, v7, 16, 1
	s_delay_alu instid0(VALU_DEP_1)
	v_add3_u32 v31, v7, v5, 0x7fff
; %bb.49:                               ;   in Loop: Header=BB180_38 Depth=1
	s_and_not1_saveexec_b32 s0, s0
; %bb.50:                               ;   in Loop: Header=BB180_38 Depth=1
	v_and_b32_e32 v5, 0xffff, v7
	v_or_b32_e32 v6, 0x10000, v7
	s_delay_alu instid0(VALU_DEP_2) | instskip(NEXT) | instid1(VALU_DEP_2)
	v_cmp_eq_u32_e32 vcc_lo, 0, v5
	v_cndmask_b32_e32 v31, v6, v7, vcc_lo
; %bb.51:                               ;   in Loop: Header=BB180_38 Depth=1
	s_or_b32 exec_lo, exec_lo, s0
	v_and_b32_e32 v5, 0x7f800000, v8
	s_mov_b32 s0, exec_lo
                                        ; implicit-def: $vgpr32
	s_delay_alu instid0(VALU_DEP_1)
	v_cmpx_ne_u32_e32 0x7f800000, v5
	s_xor_b32 s0, exec_lo, s0
; %bb.52:                               ;   in Loop: Header=BB180_38 Depth=1
	v_bfe_u32 v5, v8, 16, 1
	s_delay_alu instid0(VALU_DEP_1)
	v_add3_u32 v32, v8, v5, 0x7fff
                                        ; implicit-def: $vgpr5_vgpr6_vgpr7_vgpr8
; %bb.53:                               ;   in Loop: Header=BB180_38 Depth=1
	s_and_not1_saveexec_b32 s0, s0
; %bb.54:                               ;   in Loop: Header=BB180_38 Depth=1
	v_and_b32_e32 v5, 0xffff, v8
	v_or_b32_e32 v6, 0x10000, v8
	s_delay_alu instid0(VALU_DEP_2) | instskip(NEXT) | instid1(VALU_DEP_2)
	v_cmp_eq_u32_e32 vcc_lo, 0, v5
	v_cndmask_b32_e32 v32, v6, v8, vcc_lo
; %bb.55:                               ;   in Loop: Header=BB180_38 Depth=1
	s_or_b32 exec_lo, exec_lo, s0
	s_waitcnt lgkmcnt(0)
	v_and_b32_e32 v5, 0x7f800000, v1
	s_mov_b32 s0, exec_lo
                                        ; implicit-def: $vgpr33
	s_delay_alu instid0(VALU_DEP_1)
	v_cmpx_ne_u32_e32 0x7f800000, v5
	s_xor_b32 s0, exec_lo, s0
; %bb.56:                               ;   in Loop: Header=BB180_38 Depth=1
	v_bfe_u32 v5, v1, 16, 1
	s_delay_alu instid0(VALU_DEP_1)
	v_add3_u32 v33, v1, v5, 0x7fff
; %bb.57:                               ;   in Loop: Header=BB180_38 Depth=1
	s_and_not1_saveexec_b32 s0, s0
; %bb.58:                               ;   in Loop: Header=BB180_38 Depth=1
	v_and_b32_e32 v5, 0xffff, v1
	v_or_b32_e32 v6, 0x10000, v1
	s_delay_alu instid0(VALU_DEP_2) | instskip(NEXT) | instid1(VALU_DEP_2)
	v_cmp_eq_u32_e32 vcc_lo, 0, v5
	v_cndmask_b32_e32 v33, v6, v1, vcc_lo
; %bb.59:                               ;   in Loop: Header=BB180_38 Depth=1
	s_or_b32 exec_lo, exec_lo, s0
	v_and_b32_e32 v1, 0x7f800000, v2
	s_mov_b32 s0, exec_lo
                                        ; implicit-def: $vgpr34
	s_delay_alu instid0(VALU_DEP_1)
	v_cmpx_ne_u32_e32 0x7f800000, v1
	s_xor_b32 s0, exec_lo, s0
; %bb.60:                               ;   in Loop: Header=BB180_38 Depth=1
	v_bfe_u32 v1, v2, 16, 1
	s_delay_alu instid0(VALU_DEP_1)
	v_add3_u32 v34, v2, v1, 0x7fff
; %bb.61:                               ;   in Loop: Header=BB180_38 Depth=1
	s_and_not1_saveexec_b32 s0, s0
; %bb.62:                               ;   in Loop: Header=BB180_38 Depth=1
	v_and_b32_e32 v1, 0xffff, v2
	v_or_b32_e32 v5, 0x10000, v2
	s_delay_alu instid0(VALU_DEP_2) | instskip(NEXT) | instid1(VALU_DEP_2)
	v_cmp_eq_u32_e32 vcc_lo, 0, v1
	v_cndmask_b32_e32 v34, v5, v2, vcc_lo
; %bb.63:                               ;   in Loop: Header=BB180_38 Depth=1
	s_or_b32 exec_lo, exec_lo, s0
	v_and_b32_e32 v1, 0x7f800000, v3
	s_mov_b32 s0, exec_lo
                                        ; implicit-def: $vgpr35
	s_delay_alu instid0(VALU_DEP_1)
	v_cmpx_ne_u32_e32 0x7f800000, v1
	s_xor_b32 s0, exec_lo, s0
; %bb.64:                               ;   in Loop: Header=BB180_38 Depth=1
	v_bfe_u32 v1, v3, 16, 1
	s_delay_alu instid0(VALU_DEP_1)
	v_add3_u32 v35, v3, v1, 0x7fff
; %bb.65:                               ;   in Loop: Header=BB180_38 Depth=1
	s_and_not1_saveexec_b32 s0, s0
; %bb.66:                               ;   in Loop: Header=BB180_38 Depth=1
	v_and_b32_e32 v1, 0xffff, v3
	v_or_b32_e32 v2, 0x10000, v3
	s_delay_alu instid0(VALU_DEP_2) | instskip(NEXT) | instid1(VALU_DEP_2)
	v_cmp_eq_u32_e32 vcc_lo, 0, v1
	v_cndmask_b32_e32 v35, v2, v3, vcc_lo
; %bb.67:                               ;   in Loop: Header=BB180_38 Depth=1
	s_or_b32 exec_lo, exec_lo, s0
	v_and_b32_e32 v1, 0x7f800000, v4
	s_mov_b32 s0, exec_lo
                                        ; implicit-def: $vgpr36
	s_delay_alu instid0(VALU_DEP_1)
	v_cmpx_ne_u32_e32 0x7f800000, v1
	s_xor_b32 s0, exec_lo, s0
; %bb.68:                               ;   in Loop: Header=BB180_38 Depth=1
	v_bfe_u32 v1, v4, 16, 1
	s_delay_alu instid0(VALU_DEP_1)
	v_add3_u32 v36, v4, v1, 0x7fff
                                        ; implicit-def: $vgpr1_vgpr2_vgpr3_vgpr4
; %bb.69:                               ;   in Loop: Header=BB180_38 Depth=1
	s_and_not1_saveexec_b32 s0, s0
; %bb.70:                               ;   in Loop: Header=BB180_38 Depth=1
	v_and_b32_e32 v1, 0xffff, v4
	v_or_b32_e32 v2, 0x10000, v4
	s_delay_alu instid0(VALU_DEP_2) | instskip(NEXT) | instid1(VALU_DEP_2)
	v_cmp_eq_u32_e32 vcc_lo, 0, v1
	v_cndmask_b32_e32 v36, v2, v4, vcc_lo
; %bb.71:                               ;   in Loop: Header=BB180_38 Depth=1
	s_or_b32 exec_lo, exec_lo, s0
	s_waitcnt vmcnt(0)
	v_mad_i64_i32 v[1:2], null, v37, s5, 0
	v_add_nc_u32_e32 v37, v26, v14
	s_delay_alu instid0(VALU_DEP_1) | instskip(NEXT) | instid1(VALU_DEP_3)
	v_add_nc_u32_e32 v45, 1, v37
	v_lshlrev_b64 v[1:2], 1, v[1:2]
	v_add_nc_u32_e32 v44, 2, v37
	v_add_nc_u32_e32 v42, 3, v37
	;; [unrolled: 1-line block ×5, first 2 shown]
	v_add_co_u32 v5, vcc_lo, v27, v1
	v_add_co_ci_u32_e32 v6, vcc_lo, v28, v2, vcc_lo
	v_cmp_eq_u32_e32 vcc_lo, s7, v9
	v_add_nc_u32_e32 v43, 7, v37
	global_load_b128 v[1:4], v[5:6], off
	s_waitcnt vmcnt(0)
	v_lshrrev_b32_e32 v8, 16, v1
	v_lshrrev_b32_e32 v51, 16, v2
	;; [unrolled: 1-line block ×4, first 2 shown]
	s_and_saveexec_b32 s10, vcc_lo
	s_cbranch_execz .LBB180_73
; %bb.72:                               ;   in Loop: Header=BB180_38 Depth=1
	v_cmp_gt_i32_e64 s0, s33, v37
	s_delay_alu instid0(VALU_DEP_1) | instskip(SKIP_1) | instid1(VALU_DEP_1)
	v_cndmask_b32_e64 v1, 0, v1, s0
	v_cmp_gt_i32_e64 s0, s33, v45
	v_cndmask_b32_e64 v8, 0, v8, s0
	v_cmp_gt_i32_e64 s0, s33, v44
	s_delay_alu instid0(VALU_DEP_1) | instskip(SKIP_1) | instid1(VALU_DEP_1)
	v_cndmask_b32_e64 v2, 0, v2, s0
	v_cmp_gt_i32_e64 s0, s33, v42
	v_cndmask_b32_e64 v51, 0, v51, s0
	v_cmp_gt_i32_e64 s0, s33, v41
	s_delay_alu instid0(VALU_DEP_1) | instskip(SKIP_1) | instid1(VALU_DEP_1)
	v_cndmask_b32_e64 v3, 0, v3, s0
	v_cmp_gt_i32_e64 s0, s33, v40
	v_cndmask_b32_e64 v53, 0, v53, s0
	v_cmp_gt_i32_e64 s0, s33, v39
	s_delay_alu instid0(VALU_DEP_1) | instskip(SKIP_1) | instid1(VALU_DEP_1)
	v_cndmask_b32_e64 v4, 0, v4, s0
	v_cmp_gt_i32_e64 s0, s33, v43
	v_cndmask_b32_e64 v47, 0, v47, s0
.LBB180_73:                             ;   in Loop: Header=BB180_38 Depth=1
	s_or_b32 exec_lo, exec_lo, s10
	v_and_b32_e32 v46, 0xffff0000, v46
	v_lshlrev_b32_e32 v1, 16, v1
	s_delay_alu instid0(VALU_DEP_1) | instskip(NEXT) | instid1(VALU_DEP_1)
	v_mul_f32_e32 v1, v46, v1
	v_and_b32_e32 v7, 0x7f800000, v1
	s_delay_alu instid0(VALU_DEP_1) | instskip(NEXT) | instid1(VALU_DEP_1)
	v_cmp_ne_u32_e64 s0, 0x7f800000, v7
                                        ; implicit-def: $vgpr7
	s_and_saveexec_b32 s10, s0
	s_delay_alu instid0(SALU_CYCLE_1)
	s_xor_b32 s0, exec_lo, s10
; %bb.74:                               ;   in Loop: Header=BB180_38 Depth=1
	v_bfe_u32 v7, v1, 16, 1
	s_delay_alu instid0(VALU_DEP_1)
	v_add3_u32 v7, v1, v7, 0x7fff
                                        ; implicit-def: $vgpr1
; %bb.75:                               ;   in Loop: Header=BB180_38 Depth=1
	s_and_not1_saveexec_b32 s10, s0
; %bb.76:                               ;   in Loop: Header=BB180_38 Depth=1
	v_and_b32_e32 v7, 0xffff, v1
	v_or_b32_e32 v48, 0x10000, v1
	s_delay_alu instid0(VALU_DEP_2) | instskip(NEXT) | instid1(VALU_DEP_1)
	v_cmp_eq_u32_e64 s0, 0, v7
	v_cndmask_b32_e64 v7, v48, v1, s0
; %bb.77:                               ;   in Loop: Header=BB180_38 Depth=1
	s_or_b32 exec_lo, exec_lo, s10
	v_and_b32_e32 v48, 0xffff0000, v38
	v_lshlrev_b32_e32 v1, 16, v8
	s_delay_alu instid0(VALU_DEP_1) | instskip(NEXT) | instid1(VALU_DEP_1)
	v_mul_f32_e32 v1, v48, v1
	v_and_b32_e32 v8, 0x7f800000, v1
	s_delay_alu instid0(VALU_DEP_1) | instskip(NEXT) | instid1(VALU_DEP_1)
	v_cmp_ne_u32_e64 s0, 0x7f800000, v8
                                        ; implicit-def: $vgpr8
	s_and_saveexec_b32 s10, s0
	s_delay_alu instid0(SALU_CYCLE_1)
	s_xor_b32 s0, exec_lo, s10
; %bb.78:                               ;   in Loop: Header=BB180_38 Depth=1
	v_bfe_u32 v8, v1, 16, 1
	s_delay_alu instid0(VALU_DEP_1)
	v_add3_u32 v8, v1, v8, 0x7fff
                                        ; implicit-def: $vgpr1
; %bb.79:                               ;   in Loop: Header=BB180_38 Depth=1
	s_and_not1_saveexec_b32 s10, s0
; %bb.80:                               ;   in Loop: Header=BB180_38 Depth=1
	v_and_b32_e32 v8, 0xffff, v1
	v_or_b32_e32 v38, 0x10000, v1
	s_delay_alu instid0(VALU_DEP_2) | instskip(NEXT) | instid1(VALU_DEP_1)
	v_cmp_eq_u32_e64 s0, 0, v8
	v_cndmask_b32_e64 v8, v38, v1, s0
; %bb.81:                               ;   in Loop: Header=BB180_38 Depth=1
	s_or_b32 exec_lo, exec_lo, s10
	v_and_b32_e32 v49, 0xffff0000, v31
	v_lshlrev_b32_e32 v1, 16, v2
                                        ; implicit-def: $vgpr31
	s_delay_alu instid0(VALU_DEP_1) | instskip(NEXT) | instid1(VALU_DEP_1)
	v_mul_f32_e32 v1, v49, v1
	v_and_b32_e32 v2, 0x7f800000, v1
	s_delay_alu instid0(VALU_DEP_1) | instskip(NEXT) | instid1(VALU_DEP_1)
	v_cmp_ne_u32_e64 s0, 0x7f800000, v2
	s_and_saveexec_b32 s10, s0
	s_delay_alu instid0(SALU_CYCLE_1)
	s_xor_b32 s0, exec_lo, s10
; %bb.82:                               ;   in Loop: Header=BB180_38 Depth=1
	v_bfe_u32 v2, v1, 16, 1
	s_delay_alu instid0(VALU_DEP_1)
	v_add3_u32 v31, v1, v2, 0x7fff
                                        ; implicit-def: $vgpr1
; %bb.83:                               ;   in Loop: Header=BB180_38 Depth=1
	s_and_not1_saveexec_b32 s10, s0
; %bb.84:                               ;   in Loop: Header=BB180_38 Depth=1
	v_and_b32_e32 v2, 0xffff, v1
	v_or_b32_e32 v31, 0x10000, v1
	s_delay_alu instid0(VALU_DEP_2) | instskip(NEXT) | instid1(VALU_DEP_1)
	v_cmp_eq_u32_e64 s0, 0, v2
	v_cndmask_b32_e64 v31, v31, v1, s0
; %bb.85:                               ;   in Loop: Header=BB180_38 Depth=1
	s_or_b32 exec_lo, exec_lo, s10
	v_and_b32_e32 v50, 0xffff0000, v32
	v_lshlrev_b32_e32 v1, 16, v51
                                        ; implicit-def: $vgpr32
	s_delay_alu instid0(VALU_DEP_1) | instskip(NEXT) | instid1(VALU_DEP_1)
	v_mul_f32_e32 v1, v50, v1
	v_and_b32_e32 v2, 0x7f800000, v1
	s_delay_alu instid0(VALU_DEP_1) | instskip(NEXT) | instid1(VALU_DEP_1)
	v_cmp_ne_u32_e64 s0, 0x7f800000, v2
	s_and_saveexec_b32 s10, s0
	s_delay_alu instid0(SALU_CYCLE_1)
	s_xor_b32 s0, exec_lo, s10
; %bb.86:                               ;   in Loop: Header=BB180_38 Depth=1
	v_bfe_u32 v2, v1, 16, 1
	s_delay_alu instid0(VALU_DEP_1)
	v_add3_u32 v32, v1, v2, 0x7fff
                                        ; implicit-def: $vgpr1
; %bb.87:                               ;   in Loop: Header=BB180_38 Depth=1
	s_and_not1_saveexec_b32 s10, s0
; %bb.88:                               ;   in Loop: Header=BB180_38 Depth=1
	v_and_b32_e32 v2, 0xffff, v1
	v_or_b32_e32 v32, 0x10000, v1
	s_delay_alu instid0(VALU_DEP_2) | instskip(NEXT) | instid1(VALU_DEP_1)
	v_cmp_eq_u32_e64 s0, 0, v2
	v_cndmask_b32_e64 v32, v32, v1, s0
; %bb.89:                               ;   in Loop: Header=BB180_38 Depth=1
	s_or_b32 exec_lo, exec_lo, s10
	v_and_b32_e32 v51, 0xffff0000, v33
	v_lshlrev_b32_e32 v1, 16, v3
                                        ; implicit-def: $vgpr33
	s_delay_alu instid0(VALU_DEP_1) | instskip(NEXT) | instid1(VALU_DEP_1)
	v_mul_f32_e32 v1, v51, v1
	v_and_b32_e32 v2, 0x7f800000, v1
	s_delay_alu instid0(VALU_DEP_1) | instskip(NEXT) | instid1(VALU_DEP_1)
	v_cmp_ne_u32_e64 s0, 0x7f800000, v2
	s_and_saveexec_b32 s10, s0
	s_delay_alu instid0(SALU_CYCLE_1)
	s_xor_b32 s0, exec_lo, s10
; %bb.90:                               ;   in Loop: Header=BB180_38 Depth=1
	v_bfe_u32 v2, v1, 16, 1
	s_delay_alu instid0(VALU_DEP_1)
	v_add3_u32 v33, v1, v2, 0x7fff
                                        ; implicit-def: $vgpr1
; %bb.91:                               ;   in Loop: Header=BB180_38 Depth=1
	s_and_not1_saveexec_b32 s10, s0
; %bb.92:                               ;   in Loop: Header=BB180_38 Depth=1
	v_and_b32_e32 v2, 0xffff, v1
	v_or_b32_e32 v3, 0x10000, v1
	s_delay_alu instid0(VALU_DEP_2) | instskip(NEXT) | instid1(VALU_DEP_1)
	v_cmp_eq_u32_e64 s0, 0, v2
	v_cndmask_b32_e64 v33, v3, v1, s0
; %bb.93:                               ;   in Loop: Header=BB180_38 Depth=1
	s_or_b32 exec_lo, exec_lo, s10
	v_and_b32_e32 v52, 0xffff0000, v34
	v_lshlrev_b32_e32 v1, 16, v53
                                        ; implicit-def: $vgpr34
	s_delay_alu instid0(VALU_DEP_1) | instskip(NEXT) | instid1(VALU_DEP_1)
	v_mul_f32_e32 v1, v52, v1
	v_and_b32_e32 v2, 0x7f800000, v1
	s_delay_alu instid0(VALU_DEP_1) | instskip(NEXT) | instid1(VALU_DEP_1)
	v_cmp_ne_u32_e64 s0, 0x7f800000, v2
	s_and_saveexec_b32 s10, s0
	s_delay_alu instid0(SALU_CYCLE_1)
	s_xor_b32 s0, exec_lo, s10
; %bb.94:                               ;   in Loop: Header=BB180_38 Depth=1
	v_bfe_u32 v2, v1, 16, 1
	s_delay_alu instid0(VALU_DEP_1)
	v_add3_u32 v34, v1, v2, 0x7fff
                                        ; implicit-def: $vgpr1
; %bb.95:                               ;   in Loop: Header=BB180_38 Depth=1
	s_and_not1_saveexec_b32 s10, s0
; %bb.96:                               ;   in Loop: Header=BB180_38 Depth=1
	v_and_b32_e32 v2, 0xffff, v1
	v_or_b32_e32 v3, 0x10000, v1
	s_delay_alu instid0(VALU_DEP_2) | instskip(NEXT) | instid1(VALU_DEP_1)
	v_cmp_eq_u32_e64 s0, 0, v2
	v_cndmask_b32_e64 v34, v3, v1, s0
; %bb.97:                               ;   in Loop: Header=BB180_38 Depth=1
	s_or_b32 exec_lo, exec_lo, s10
	v_and_b32_e32 v53, 0xffff0000, v35
	v_lshlrev_b32_e32 v1, 16, v4
                                        ; implicit-def: $vgpr35
	s_delay_alu instid0(VALU_DEP_1) | instskip(NEXT) | instid1(VALU_DEP_1)
	v_mul_f32_e32 v1, v53, v1
	v_and_b32_e32 v2, 0x7f800000, v1
	s_delay_alu instid0(VALU_DEP_1) | instskip(NEXT) | instid1(VALU_DEP_1)
	v_cmp_ne_u32_e64 s0, 0x7f800000, v2
	s_and_saveexec_b32 s10, s0
	s_delay_alu instid0(SALU_CYCLE_1)
	s_xor_b32 s0, exec_lo, s10
; %bb.98:                               ;   in Loop: Header=BB180_38 Depth=1
	v_bfe_u32 v2, v1, 16, 1
	s_delay_alu instid0(VALU_DEP_1)
	v_add3_u32 v35, v1, v2, 0x7fff
                                        ; implicit-def: $vgpr1
; %bb.99:                               ;   in Loop: Header=BB180_38 Depth=1
	s_and_not1_saveexec_b32 s10, s0
; %bb.100:                              ;   in Loop: Header=BB180_38 Depth=1
	v_and_b32_e32 v2, 0xffff, v1
	v_or_b32_e32 v3, 0x10000, v1
	s_delay_alu instid0(VALU_DEP_2) | instskip(NEXT) | instid1(VALU_DEP_1)
	v_cmp_eq_u32_e64 s0, 0, v2
	v_cndmask_b32_e64 v35, v3, v1, s0
; %bb.101:                              ;   in Loop: Header=BB180_38 Depth=1
	s_or_b32 exec_lo, exec_lo, s10
	v_and_b32_e32 v54, 0xffff0000, v36
	v_lshlrev_b32_e32 v1, 16, v47
                                        ; implicit-def: $vgpr36
	s_delay_alu instid0(VALU_DEP_1) | instskip(NEXT) | instid1(VALU_DEP_1)
	v_mul_f32_e32 v1, v54, v1
	v_and_b32_e32 v2, 0x7f800000, v1
	s_delay_alu instid0(VALU_DEP_1) | instskip(NEXT) | instid1(VALU_DEP_1)
	v_cmp_ne_u32_e64 s0, 0x7f800000, v2
	s_and_saveexec_b32 s10, s0
	s_delay_alu instid0(SALU_CYCLE_1)
	s_xor_b32 s0, exec_lo, s10
; %bb.102:                              ;   in Loop: Header=BB180_38 Depth=1
	v_bfe_u32 v2, v1, 16, 1
	s_delay_alu instid0(VALU_DEP_1)
	v_add3_u32 v36, v1, v2, 0x7fff
                                        ; implicit-def: $vgpr1
; %bb.103:                              ;   in Loop: Header=BB180_38 Depth=1
	s_and_not1_saveexec_b32 s10, s0
; %bb.104:                              ;   in Loop: Header=BB180_38 Depth=1
	v_and_b32_e32 v2, 0xffff, v1
	v_or_b32_e32 v3, 0x10000, v1
	s_delay_alu instid0(VALU_DEP_2) | instskip(NEXT) | instid1(VALU_DEP_1)
	v_cmp_eq_u32_e64 s0, 0, v2
	v_cndmask_b32_e64 v36, v3, v1, s0
; %bb.105:                              ;   in Loop: Header=BB180_38 Depth=1
	s_or_b32 exec_lo, exec_lo, s10
	global_load_b128 v[1:4], v[5:6], off offset:512
	s_waitcnt vmcnt(0)
	v_lshrrev_b32_e32 v47, 16, v1
	v_lshrrev_b32_e32 v56, 16, v2
	;; [unrolled: 1-line block ×4, first 2 shown]
	s_and_saveexec_b32 s10, vcc_lo
	s_cbranch_execz .LBB180_107
; %bb.106:                              ;   in Loop: Header=BB180_38 Depth=1
	v_cmp_gt_i32_e64 s0, s33, v37
	s_delay_alu instid0(VALU_DEP_1) | instskip(SKIP_1) | instid1(VALU_DEP_1)
	v_cndmask_b32_e64 v1, 0, v1, s0
	v_cmp_gt_i32_e64 s0, s33, v45
	v_cndmask_b32_e64 v47, 0, v47, s0
	v_cmp_gt_i32_e64 s0, s33, v44
	s_delay_alu instid0(VALU_DEP_1) | instskip(SKIP_1) | instid1(VALU_DEP_1)
	v_cndmask_b32_e64 v2, 0, v2, s0
	v_cmp_gt_i32_e64 s0, s33, v42
	v_cndmask_b32_e64 v56, 0, v56, s0
	;; [unrolled: 5-line block ×4, first 2 shown]
.LBB180_107:                            ;   in Loop: Header=BB180_38 Depth=1
	s_or_b32 exec_lo, exec_lo, s10
	v_lshlrev_b32_e32 v1, 16, v1
	s_delay_alu instid0(VALU_DEP_1) | instskip(NEXT) | instid1(VALU_DEP_1)
	v_mul_f32_e32 v1, v46, v1
	v_and_b32_e32 v38, 0x7f800000, v1
	s_delay_alu instid0(VALU_DEP_1) | instskip(NEXT) | instid1(VALU_DEP_1)
	v_cmp_ne_u32_e64 s0, 0x7f800000, v38
                                        ; implicit-def: $vgpr38
	s_and_saveexec_b32 s10, s0
	s_delay_alu instid0(SALU_CYCLE_1)
	s_xor_b32 s0, exec_lo, s10
; %bb.108:                              ;   in Loop: Header=BB180_38 Depth=1
	v_bfe_u32 v38, v1, 16, 1
	s_delay_alu instid0(VALU_DEP_1)
	v_add3_u32 v38, v1, v38, 0x7fff
                                        ; implicit-def: $vgpr1
; %bb.109:                              ;   in Loop: Header=BB180_38 Depth=1
	s_and_not1_saveexec_b32 s10, s0
; %bb.110:                              ;   in Loop: Header=BB180_38 Depth=1
	v_and_b32_e32 v38, 0xffff, v1
	v_or_b32_e32 v55, 0x10000, v1
	s_delay_alu instid0(VALU_DEP_2) | instskip(NEXT) | instid1(VALU_DEP_1)
	v_cmp_eq_u32_e64 s0, 0, v38
	v_cndmask_b32_e64 v38, v55, v1, s0
; %bb.111:                              ;   in Loop: Header=BB180_38 Depth=1
	s_or_b32 exec_lo, exec_lo, s10
	v_lshlrev_b32_e32 v1, 16, v47
	s_delay_alu instid0(VALU_DEP_1) | instskip(NEXT) | instid1(VALU_DEP_1)
	v_mul_f32_e32 v1, v48, v1
	v_and_b32_e32 v47, 0x7f800000, v1
	s_delay_alu instid0(VALU_DEP_1) | instskip(NEXT) | instid1(VALU_DEP_1)
	v_cmp_ne_u32_e64 s0, 0x7f800000, v47
                                        ; implicit-def: $vgpr47
	s_and_saveexec_b32 s10, s0
	s_delay_alu instid0(SALU_CYCLE_1)
	s_xor_b32 s0, exec_lo, s10
; %bb.112:                              ;   in Loop: Header=BB180_38 Depth=1
	v_bfe_u32 v47, v1, 16, 1
	s_delay_alu instid0(VALU_DEP_1)
	v_add3_u32 v47, v1, v47, 0x7fff
                                        ; implicit-def: $vgpr1
; %bb.113:                              ;   in Loop: Header=BB180_38 Depth=1
	s_and_not1_saveexec_b32 s10, s0
; %bb.114:                              ;   in Loop: Header=BB180_38 Depth=1
	v_and_b32_e32 v47, 0xffff, v1
	v_or_b32_e32 v55, 0x10000, v1
	s_delay_alu instid0(VALU_DEP_2) | instskip(NEXT) | instid1(VALU_DEP_1)
	v_cmp_eq_u32_e64 s0, 0, v47
	v_cndmask_b32_e64 v47, v55, v1, s0
; %bb.115:                              ;   in Loop: Header=BB180_38 Depth=1
	s_or_b32 exec_lo, exec_lo, s10
	v_lshlrev_b32_e32 v1, 16, v2
                                        ; implicit-def: $vgpr55
	s_delay_alu instid0(VALU_DEP_1) | instskip(NEXT) | instid1(VALU_DEP_1)
	v_mul_f32_e32 v1, v49, v1
	v_and_b32_e32 v2, 0x7f800000, v1
	s_delay_alu instid0(VALU_DEP_1) | instskip(NEXT) | instid1(VALU_DEP_1)
	v_cmp_ne_u32_e64 s0, 0x7f800000, v2
	s_and_saveexec_b32 s10, s0
	s_delay_alu instid0(SALU_CYCLE_1)
	s_xor_b32 s0, exec_lo, s10
; %bb.116:                              ;   in Loop: Header=BB180_38 Depth=1
	v_bfe_u32 v2, v1, 16, 1
	s_delay_alu instid0(VALU_DEP_1)
	v_add3_u32 v55, v1, v2, 0x7fff
                                        ; implicit-def: $vgpr1
; %bb.117:                              ;   in Loop: Header=BB180_38 Depth=1
	s_and_not1_saveexec_b32 s10, s0
; %bb.118:                              ;   in Loop: Header=BB180_38 Depth=1
	v_and_b32_e32 v2, 0xffff, v1
	v_or_b32_e32 v55, 0x10000, v1
	s_delay_alu instid0(VALU_DEP_2) | instskip(NEXT) | instid1(VALU_DEP_1)
	v_cmp_eq_u32_e64 s0, 0, v2
	v_cndmask_b32_e64 v55, v55, v1, s0
; %bb.119:                              ;   in Loop: Header=BB180_38 Depth=1
	s_or_b32 exec_lo, exec_lo, s10
	v_lshlrev_b32_e32 v1, 16, v56
                                        ; implicit-def: $vgpr56
	s_delay_alu instid0(VALU_DEP_1) | instskip(NEXT) | instid1(VALU_DEP_1)
	v_mul_f32_e32 v1, v50, v1
	v_and_b32_e32 v2, 0x7f800000, v1
	s_delay_alu instid0(VALU_DEP_1) | instskip(NEXT) | instid1(VALU_DEP_1)
	v_cmp_ne_u32_e64 s0, 0x7f800000, v2
	s_and_saveexec_b32 s10, s0
	s_delay_alu instid0(SALU_CYCLE_1)
	s_xor_b32 s0, exec_lo, s10
; %bb.120:                              ;   in Loop: Header=BB180_38 Depth=1
	v_bfe_u32 v2, v1, 16, 1
	s_delay_alu instid0(VALU_DEP_1)
	v_add3_u32 v56, v1, v2, 0x7fff
                                        ; implicit-def: $vgpr1
; %bb.121:                              ;   in Loop: Header=BB180_38 Depth=1
	s_and_not1_saveexec_b32 s10, s0
; %bb.122:                              ;   in Loop: Header=BB180_38 Depth=1
	v_and_b32_e32 v2, 0xffff, v1
	v_or_b32_e32 v56, 0x10000, v1
	s_delay_alu instid0(VALU_DEP_2) | instskip(NEXT) | instid1(VALU_DEP_1)
	v_cmp_eq_u32_e64 s0, 0, v2
	v_cndmask_b32_e64 v56, v56, v1, s0
; %bb.123:                              ;   in Loop: Header=BB180_38 Depth=1
	s_or_b32 exec_lo, exec_lo, s10
	v_lshlrev_b32_e32 v1, 16, v3
                                        ; implicit-def: $vgpr57
	s_delay_alu instid0(VALU_DEP_1) | instskip(NEXT) | instid1(VALU_DEP_1)
	v_mul_f32_e32 v1, v51, v1
	v_and_b32_e32 v2, 0x7f800000, v1
	s_delay_alu instid0(VALU_DEP_1) | instskip(NEXT) | instid1(VALU_DEP_1)
	v_cmp_ne_u32_e64 s0, 0x7f800000, v2
	s_and_saveexec_b32 s10, s0
	s_delay_alu instid0(SALU_CYCLE_1)
	s_xor_b32 s0, exec_lo, s10
; %bb.124:                              ;   in Loop: Header=BB180_38 Depth=1
	v_bfe_u32 v2, v1, 16, 1
	s_delay_alu instid0(VALU_DEP_1)
	v_add3_u32 v57, v1, v2, 0x7fff
                                        ; implicit-def: $vgpr1
; %bb.125:                              ;   in Loop: Header=BB180_38 Depth=1
	s_and_not1_saveexec_b32 s10, s0
; %bb.126:                              ;   in Loop: Header=BB180_38 Depth=1
	v_and_b32_e32 v2, 0xffff, v1
	v_or_b32_e32 v3, 0x10000, v1
	s_delay_alu instid0(VALU_DEP_2) | instskip(NEXT) | instid1(VALU_DEP_1)
	v_cmp_eq_u32_e64 s0, 0, v2
	v_cndmask_b32_e64 v57, v3, v1, s0
; %bb.127:                              ;   in Loop: Header=BB180_38 Depth=1
	s_or_b32 exec_lo, exec_lo, s10
	v_lshlrev_b32_e32 v1, 16, v58
                                        ; implicit-def: $vgpr58
	s_delay_alu instid0(VALU_DEP_1) | instskip(NEXT) | instid1(VALU_DEP_1)
	v_mul_f32_e32 v1, v52, v1
	v_and_b32_e32 v2, 0x7f800000, v1
	s_delay_alu instid0(VALU_DEP_1) | instskip(NEXT) | instid1(VALU_DEP_1)
	v_cmp_ne_u32_e64 s0, 0x7f800000, v2
	s_and_saveexec_b32 s10, s0
	s_delay_alu instid0(SALU_CYCLE_1)
	s_xor_b32 s0, exec_lo, s10
; %bb.128:                              ;   in Loop: Header=BB180_38 Depth=1
	v_bfe_u32 v2, v1, 16, 1
	s_delay_alu instid0(VALU_DEP_1)
	v_add3_u32 v58, v1, v2, 0x7fff
                                        ; implicit-def: $vgpr1
; %bb.129:                              ;   in Loop: Header=BB180_38 Depth=1
	s_and_not1_saveexec_b32 s10, s0
; %bb.130:                              ;   in Loop: Header=BB180_38 Depth=1
	v_and_b32_e32 v2, 0xffff, v1
	v_or_b32_e32 v3, 0x10000, v1
	s_delay_alu instid0(VALU_DEP_2) | instskip(NEXT) | instid1(VALU_DEP_1)
	v_cmp_eq_u32_e64 s0, 0, v2
	v_cndmask_b32_e64 v58, v3, v1, s0
; %bb.131:                              ;   in Loop: Header=BB180_38 Depth=1
	s_or_b32 exec_lo, exec_lo, s10
	v_lshlrev_b32_e32 v1, 16, v4
                                        ; implicit-def: $vgpr59
	s_delay_alu instid0(VALU_DEP_1) | instskip(NEXT) | instid1(VALU_DEP_1)
	v_mul_f32_e32 v1, v53, v1
	v_and_b32_e32 v2, 0x7f800000, v1
	s_delay_alu instid0(VALU_DEP_1) | instskip(NEXT) | instid1(VALU_DEP_1)
	v_cmp_ne_u32_e64 s0, 0x7f800000, v2
	s_and_saveexec_b32 s10, s0
	s_delay_alu instid0(SALU_CYCLE_1)
	s_xor_b32 s0, exec_lo, s10
; %bb.132:                              ;   in Loop: Header=BB180_38 Depth=1
	v_bfe_u32 v2, v1, 16, 1
	s_delay_alu instid0(VALU_DEP_1)
	v_add3_u32 v59, v1, v2, 0x7fff
                                        ; implicit-def: $vgpr1
; %bb.133:                              ;   in Loop: Header=BB180_38 Depth=1
	s_and_not1_saveexec_b32 s10, s0
; %bb.134:                              ;   in Loop: Header=BB180_38 Depth=1
	v_and_b32_e32 v2, 0xffff, v1
	v_or_b32_e32 v3, 0x10000, v1
	s_delay_alu instid0(VALU_DEP_2) | instskip(NEXT) | instid1(VALU_DEP_1)
	v_cmp_eq_u32_e64 s0, 0, v2
	v_cndmask_b32_e64 v59, v3, v1, s0
; %bb.135:                              ;   in Loop: Header=BB180_38 Depth=1
	s_or_b32 exec_lo, exec_lo, s10
	v_lshlrev_b32_e32 v1, 16, v60
                                        ; implicit-def: $vgpr60
	s_delay_alu instid0(VALU_DEP_1) | instskip(NEXT) | instid1(VALU_DEP_1)
	v_mul_f32_e32 v1, v54, v1
	v_and_b32_e32 v2, 0x7f800000, v1
	s_delay_alu instid0(VALU_DEP_1) | instskip(NEXT) | instid1(VALU_DEP_1)
	v_cmp_ne_u32_e64 s0, 0x7f800000, v2
	s_and_saveexec_b32 s10, s0
	s_delay_alu instid0(SALU_CYCLE_1)
	s_xor_b32 s0, exec_lo, s10
; %bb.136:                              ;   in Loop: Header=BB180_38 Depth=1
	v_bfe_u32 v2, v1, 16, 1
	s_delay_alu instid0(VALU_DEP_1)
	v_add3_u32 v60, v1, v2, 0x7fff
                                        ; implicit-def: $vgpr1
; %bb.137:                              ;   in Loop: Header=BB180_38 Depth=1
	s_and_not1_saveexec_b32 s10, s0
; %bb.138:                              ;   in Loop: Header=BB180_38 Depth=1
	v_and_b32_e32 v2, 0xffff, v1
	v_or_b32_e32 v3, 0x10000, v1
	s_delay_alu instid0(VALU_DEP_2) | instskip(NEXT) | instid1(VALU_DEP_1)
	v_cmp_eq_u32_e64 s0, 0, v2
	v_cndmask_b32_e64 v60, v3, v1, s0
; %bb.139:                              ;   in Loop: Header=BB180_38 Depth=1
	s_or_b32 exec_lo, exec_lo, s10
	global_load_b128 v[1:4], v[5:6], off offset:1024
	s_waitcnt vmcnt(0)
	v_lshrrev_b32_e32 v62, 16, v1
	v_lshrrev_b32_e32 v64, 16, v2
	;; [unrolled: 1-line block ×4, first 2 shown]
	s_and_saveexec_b32 s10, vcc_lo
	s_cbranch_execz .LBB180_141
; %bb.140:                              ;   in Loop: Header=BB180_38 Depth=1
	v_cmp_gt_i32_e64 s0, s33, v37
	s_delay_alu instid0(VALU_DEP_1) | instskip(SKIP_1) | instid1(VALU_DEP_1)
	v_cndmask_b32_e64 v1, 0, v1, s0
	v_cmp_gt_i32_e64 s0, s33, v45
	v_cndmask_b32_e64 v62, 0, v62, s0
	v_cmp_gt_i32_e64 s0, s33, v44
	s_delay_alu instid0(VALU_DEP_1) | instskip(SKIP_1) | instid1(VALU_DEP_1)
	v_cndmask_b32_e64 v2, 0, v2, s0
	v_cmp_gt_i32_e64 s0, s33, v42
	v_cndmask_b32_e64 v64, 0, v64, s0
	;; [unrolled: 5-line block ×4, first 2 shown]
.LBB180_141:                            ;   in Loop: Header=BB180_38 Depth=1
	s_or_b32 exec_lo, exec_lo, s10
	v_lshlrev_b32_e32 v1, 16, v1
	s_delay_alu instid0(VALU_DEP_1) | instskip(NEXT) | instid1(VALU_DEP_1)
	v_mul_f32_e32 v1, v46, v1
	v_and_b32_e32 v61, 0x7f800000, v1
	s_delay_alu instid0(VALU_DEP_1) | instskip(NEXT) | instid1(VALU_DEP_1)
	v_cmp_ne_u32_e64 s0, 0x7f800000, v61
                                        ; implicit-def: $vgpr61
	s_and_saveexec_b32 s10, s0
	s_delay_alu instid0(SALU_CYCLE_1)
	s_xor_b32 s0, exec_lo, s10
; %bb.142:                              ;   in Loop: Header=BB180_38 Depth=1
	v_bfe_u32 v61, v1, 16, 1
	s_delay_alu instid0(VALU_DEP_1)
	v_add3_u32 v61, v1, v61, 0x7fff
                                        ; implicit-def: $vgpr1
; %bb.143:                              ;   in Loop: Header=BB180_38 Depth=1
	s_and_not1_saveexec_b32 s10, s0
; %bb.144:                              ;   in Loop: Header=BB180_38 Depth=1
	v_and_b32_e32 v61, 0xffff, v1
	v_or_b32_e32 v63, 0x10000, v1
	s_delay_alu instid0(VALU_DEP_2) | instskip(NEXT) | instid1(VALU_DEP_1)
	v_cmp_eq_u32_e64 s0, 0, v61
	v_cndmask_b32_e64 v61, v63, v1, s0
; %bb.145:                              ;   in Loop: Header=BB180_38 Depth=1
	s_or_b32 exec_lo, exec_lo, s10
	v_lshlrev_b32_e32 v1, 16, v62
	s_delay_alu instid0(VALU_DEP_1) | instskip(NEXT) | instid1(VALU_DEP_1)
	v_mul_f32_e32 v1, v48, v1
	v_and_b32_e32 v62, 0x7f800000, v1
	s_delay_alu instid0(VALU_DEP_1) | instskip(NEXT) | instid1(VALU_DEP_1)
	v_cmp_ne_u32_e64 s0, 0x7f800000, v62
                                        ; implicit-def: $vgpr62
	s_and_saveexec_b32 s10, s0
	s_delay_alu instid0(SALU_CYCLE_1)
	s_xor_b32 s0, exec_lo, s10
; %bb.146:                              ;   in Loop: Header=BB180_38 Depth=1
	v_bfe_u32 v62, v1, 16, 1
	s_delay_alu instid0(VALU_DEP_1)
	v_add3_u32 v62, v1, v62, 0x7fff
                                        ; implicit-def: $vgpr1
; %bb.147:                              ;   in Loop: Header=BB180_38 Depth=1
	s_and_not1_saveexec_b32 s10, s0
; %bb.148:                              ;   in Loop: Header=BB180_38 Depth=1
	v_and_b32_e32 v62, 0xffff, v1
	v_or_b32_e32 v63, 0x10000, v1
	s_delay_alu instid0(VALU_DEP_2) | instskip(NEXT) | instid1(VALU_DEP_1)
	v_cmp_eq_u32_e64 s0, 0, v62
	v_cndmask_b32_e64 v62, v63, v1, s0
; %bb.149:                              ;   in Loop: Header=BB180_38 Depth=1
	s_or_b32 exec_lo, exec_lo, s10
	v_lshlrev_b32_e32 v1, 16, v2
                                        ; implicit-def: $vgpr63
	s_delay_alu instid0(VALU_DEP_1) | instskip(NEXT) | instid1(VALU_DEP_1)
	v_mul_f32_e32 v1, v49, v1
	v_and_b32_e32 v2, 0x7f800000, v1
	s_delay_alu instid0(VALU_DEP_1) | instskip(NEXT) | instid1(VALU_DEP_1)
	v_cmp_ne_u32_e64 s0, 0x7f800000, v2
	s_and_saveexec_b32 s10, s0
	s_delay_alu instid0(SALU_CYCLE_1)
	s_xor_b32 s0, exec_lo, s10
; %bb.150:                              ;   in Loop: Header=BB180_38 Depth=1
	v_bfe_u32 v2, v1, 16, 1
	s_delay_alu instid0(VALU_DEP_1)
	v_add3_u32 v63, v1, v2, 0x7fff
                                        ; implicit-def: $vgpr1
; %bb.151:                              ;   in Loop: Header=BB180_38 Depth=1
	s_and_not1_saveexec_b32 s10, s0
; %bb.152:                              ;   in Loop: Header=BB180_38 Depth=1
	v_and_b32_e32 v2, 0xffff, v1
	v_or_b32_e32 v63, 0x10000, v1
	s_delay_alu instid0(VALU_DEP_2) | instskip(NEXT) | instid1(VALU_DEP_1)
	v_cmp_eq_u32_e64 s0, 0, v2
	v_cndmask_b32_e64 v63, v63, v1, s0
; %bb.153:                              ;   in Loop: Header=BB180_38 Depth=1
	s_or_b32 exec_lo, exec_lo, s10
	v_lshlrev_b32_e32 v1, 16, v64
                                        ; implicit-def: $vgpr64
	s_delay_alu instid0(VALU_DEP_1) | instskip(NEXT) | instid1(VALU_DEP_1)
	v_mul_f32_e32 v1, v50, v1
	v_and_b32_e32 v2, 0x7f800000, v1
	s_delay_alu instid0(VALU_DEP_1) | instskip(NEXT) | instid1(VALU_DEP_1)
	v_cmp_ne_u32_e64 s0, 0x7f800000, v2
	s_and_saveexec_b32 s10, s0
	s_delay_alu instid0(SALU_CYCLE_1)
	s_xor_b32 s0, exec_lo, s10
; %bb.154:                              ;   in Loop: Header=BB180_38 Depth=1
	v_bfe_u32 v2, v1, 16, 1
	s_delay_alu instid0(VALU_DEP_1)
	v_add3_u32 v64, v1, v2, 0x7fff
                                        ; implicit-def: $vgpr1
; %bb.155:                              ;   in Loop: Header=BB180_38 Depth=1
	s_and_not1_saveexec_b32 s10, s0
; %bb.156:                              ;   in Loop: Header=BB180_38 Depth=1
	v_and_b32_e32 v2, 0xffff, v1
	v_or_b32_e32 v64, 0x10000, v1
	s_delay_alu instid0(VALU_DEP_2) | instskip(NEXT) | instid1(VALU_DEP_1)
	v_cmp_eq_u32_e64 s0, 0, v2
	v_cndmask_b32_e64 v64, v64, v1, s0
; %bb.157:                              ;   in Loop: Header=BB180_38 Depth=1
	s_or_b32 exec_lo, exec_lo, s10
	v_lshlrev_b32_e32 v1, 16, v3
                                        ; implicit-def: $vgpr65
	s_delay_alu instid0(VALU_DEP_1) | instskip(NEXT) | instid1(VALU_DEP_1)
	v_mul_f32_e32 v1, v51, v1
	v_and_b32_e32 v2, 0x7f800000, v1
	s_delay_alu instid0(VALU_DEP_1) | instskip(NEXT) | instid1(VALU_DEP_1)
	v_cmp_ne_u32_e64 s0, 0x7f800000, v2
	s_and_saveexec_b32 s10, s0
	s_delay_alu instid0(SALU_CYCLE_1)
	s_xor_b32 s0, exec_lo, s10
; %bb.158:                              ;   in Loop: Header=BB180_38 Depth=1
	v_bfe_u32 v2, v1, 16, 1
	s_delay_alu instid0(VALU_DEP_1)
	v_add3_u32 v65, v1, v2, 0x7fff
                                        ; implicit-def: $vgpr1
; %bb.159:                              ;   in Loop: Header=BB180_38 Depth=1
	s_and_not1_saveexec_b32 s10, s0
; %bb.160:                              ;   in Loop: Header=BB180_38 Depth=1
	v_and_b32_e32 v2, 0xffff, v1
	v_or_b32_e32 v3, 0x10000, v1
	s_delay_alu instid0(VALU_DEP_2) | instskip(NEXT) | instid1(VALU_DEP_1)
	v_cmp_eq_u32_e64 s0, 0, v2
	v_cndmask_b32_e64 v65, v3, v1, s0
; %bb.161:                              ;   in Loop: Header=BB180_38 Depth=1
	s_or_b32 exec_lo, exec_lo, s10
	v_lshlrev_b32_e32 v1, 16, v66
                                        ; implicit-def: $vgpr66
	s_delay_alu instid0(VALU_DEP_1) | instskip(NEXT) | instid1(VALU_DEP_1)
	v_mul_f32_e32 v1, v52, v1
	v_and_b32_e32 v2, 0x7f800000, v1
	s_delay_alu instid0(VALU_DEP_1) | instskip(NEXT) | instid1(VALU_DEP_1)
	v_cmp_ne_u32_e64 s0, 0x7f800000, v2
	s_and_saveexec_b32 s10, s0
	s_delay_alu instid0(SALU_CYCLE_1)
	s_xor_b32 s0, exec_lo, s10
; %bb.162:                              ;   in Loop: Header=BB180_38 Depth=1
	v_bfe_u32 v2, v1, 16, 1
	s_delay_alu instid0(VALU_DEP_1)
	v_add3_u32 v66, v1, v2, 0x7fff
                                        ; implicit-def: $vgpr1
; %bb.163:                              ;   in Loop: Header=BB180_38 Depth=1
	s_and_not1_saveexec_b32 s10, s0
; %bb.164:                              ;   in Loop: Header=BB180_38 Depth=1
	v_and_b32_e32 v2, 0xffff, v1
	v_or_b32_e32 v3, 0x10000, v1
	s_delay_alu instid0(VALU_DEP_2) | instskip(NEXT) | instid1(VALU_DEP_1)
	v_cmp_eq_u32_e64 s0, 0, v2
	v_cndmask_b32_e64 v66, v3, v1, s0
; %bb.165:                              ;   in Loop: Header=BB180_38 Depth=1
	s_or_b32 exec_lo, exec_lo, s10
	v_lshlrev_b32_e32 v1, 16, v4
                                        ; implicit-def: $vgpr67
	s_delay_alu instid0(VALU_DEP_1) | instskip(NEXT) | instid1(VALU_DEP_1)
	v_mul_f32_e32 v1, v53, v1
	v_and_b32_e32 v2, 0x7f800000, v1
	s_delay_alu instid0(VALU_DEP_1) | instskip(NEXT) | instid1(VALU_DEP_1)
	v_cmp_ne_u32_e64 s0, 0x7f800000, v2
	s_and_saveexec_b32 s10, s0
	s_delay_alu instid0(SALU_CYCLE_1)
	s_xor_b32 s0, exec_lo, s10
; %bb.166:                              ;   in Loop: Header=BB180_38 Depth=1
	v_bfe_u32 v2, v1, 16, 1
	s_delay_alu instid0(VALU_DEP_1)
	v_add3_u32 v67, v1, v2, 0x7fff
                                        ; implicit-def: $vgpr1
; %bb.167:                              ;   in Loop: Header=BB180_38 Depth=1
	s_and_not1_saveexec_b32 s10, s0
; %bb.168:                              ;   in Loop: Header=BB180_38 Depth=1
	v_and_b32_e32 v2, 0xffff, v1
	v_or_b32_e32 v3, 0x10000, v1
	s_delay_alu instid0(VALU_DEP_2) | instskip(NEXT) | instid1(VALU_DEP_1)
	v_cmp_eq_u32_e64 s0, 0, v2
	v_cndmask_b32_e64 v67, v3, v1, s0
; %bb.169:                              ;   in Loop: Header=BB180_38 Depth=1
	s_or_b32 exec_lo, exec_lo, s10
	v_lshlrev_b32_e32 v1, 16, v68
                                        ; implicit-def: $vgpr68
	s_delay_alu instid0(VALU_DEP_1) | instskip(NEXT) | instid1(VALU_DEP_1)
	v_mul_f32_e32 v1, v54, v1
	v_and_b32_e32 v2, 0x7f800000, v1
	s_delay_alu instid0(VALU_DEP_1) | instskip(NEXT) | instid1(VALU_DEP_1)
	v_cmp_ne_u32_e64 s0, 0x7f800000, v2
	s_and_saveexec_b32 s10, s0
	s_delay_alu instid0(SALU_CYCLE_1)
	s_xor_b32 s0, exec_lo, s10
; %bb.170:                              ;   in Loop: Header=BB180_38 Depth=1
	v_bfe_u32 v2, v1, 16, 1
	s_delay_alu instid0(VALU_DEP_1)
	v_add3_u32 v68, v1, v2, 0x7fff
                                        ; implicit-def: $vgpr1
; %bb.171:                              ;   in Loop: Header=BB180_38 Depth=1
	s_and_not1_saveexec_b32 s10, s0
; %bb.172:                              ;   in Loop: Header=BB180_38 Depth=1
	v_and_b32_e32 v2, 0xffff, v1
	v_or_b32_e32 v3, 0x10000, v1
	s_delay_alu instid0(VALU_DEP_2) | instskip(NEXT) | instid1(VALU_DEP_1)
	v_cmp_eq_u32_e64 s0, 0, v2
	v_cndmask_b32_e64 v68, v3, v1, s0
; %bb.173:                              ;   in Loop: Header=BB180_38 Depth=1
	s_or_b32 exec_lo, exec_lo, s10
	global_load_b128 v[1:4], v[5:6], off offset:1536
	s_waitcnt vmcnt(0)
	v_lshrrev_b32_e32 v70, 16, v1
	v_lshrrev_b32_e32 v72, 16, v2
	;; [unrolled: 1-line block ×4, first 2 shown]
	s_and_saveexec_b32 s10, vcc_lo
	s_cbranch_execz .LBB180_175
; %bb.174:                              ;   in Loop: Header=BB180_38 Depth=1
	v_cmp_gt_i32_e64 s0, s33, v37
	s_delay_alu instid0(VALU_DEP_1) | instskip(SKIP_1) | instid1(VALU_DEP_1)
	v_cndmask_b32_e64 v1, 0, v1, s0
	v_cmp_gt_i32_e64 s0, s33, v45
	v_cndmask_b32_e64 v70, 0, v70, s0
	v_cmp_gt_i32_e64 s0, s33, v44
	s_delay_alu instid0(VALU_DEP_1) | instskip(SKIP_1) | instid1(VALU_DEP_1)
	v_cndmask_b32_e64 v2, 0, v2, s0
	v_cmp_gt_i32_e64 s0, s33, v42
	v_cndmask_b32_e64 v72, 0, v72, s0
	;; [unrolled: 5-line block ×4, first 2 shown]
.LBB180_175:                            ;   in Loop: Header=BB180_38 Depth=1
	s_or_b32 exec_lo, exec_lo, s10
	v_lshlrev_b32_e32 v1, 16, v1
	s_delay_alu instid0(VALU_DEP_1) | instskip(NEXT) | instid1(VALU_DEP_1)
	v_mul_f32_e32 v1, v46, v1
	v_and_b32_e32 v69, 0x7f800000, v1
	s_delay_alu instid0(VALU_DEP_1) | instskip(NEXT) | instid1(VALU_DEP_1)
	v_cmp_ne_u32_e64 s0, 0x7f800000, v69
                                        ; implicit-def: $vgpr69
	s_and_saveexec_b32 s10, s0
	s_delay_alu instid0(SALU_CYCLE_1)
	s_xor_b32 s0, exec_lo, s10
; %bb.176:                              ;   in Loop: Header=BB180_38 Depth=1
	v_bfe_u32 v69, v1, 16, 1
	s_delay_alu instid0(VALU_DEP_1)
	v_add3_u32 v69, v1, v69, 0x7fff
                                        ; implicit-def: $vgpr1
; %bb.177:                              ;   in Loop: Header=BB180_38 Depth=1
	s_and_not1_saveexec_b32 s10, s0
; %bb.178:                              ;   in Loop: Header=BB180_38 Depth=1
	v_and_b32_e32 v69, 0xffff, v1
	v_or_b32_e32 v71, 0x10000, v1
	s_delay_alu instid0(VALU_DEP_2) | instskip(NEXT) | instid1(VALU_DEP_1)
	v_cmp_eq_u32_e64 s0, 0, v69
	v_cndmask_b32_e64 v69, v71, v1, s0
; %bb.179:                              ;   in Loop: Header=BB180_38 Depth=1
	s_or_b32 exec_lo, exec_lo, s10
	v_lshlrev_b32_e32 v1, 16, v70
	s_delay_alu instid0(VALU_DEP_1) | instskip(NEXT) | instid1(VALU_DEP_1)
	v_mul_f32_e32 v1, v48, v1
	v_and_b32_e32 v70, 0x7f800000, v1
	s_delay_alu instid0(VALU_DEP_1) | instskip(NEXT) | instid1(VALU_DEP_1)
	v_cmp_ne_u32_e64 s0, 0x7f800000, v70
                                        ; implicit-def: $vgpr70
	s_and_saveexec_b32 s10, s0
	s_delay_alu instid0(SALU_CYCLE_1)
	s_xor_b32 s0, exec_lo, s10
; %bb.180:                              ;   in Loop: Header=BB180_38 Depth=1
	v_bfe_u32 v70, v1, 16, 1
	s_delay_alu instid0(VALU_DEP_1)
	v_add3_u32 v70, v1, v70, 0x7fff
                                        ; implicit-def: $vgpr1
; %bb.181:                              ;   in Loop: Header=BB180_38 Depth=1
	s_and_not1_saveexec_b32 s10, s0
; %bb.182:                              ;   in Loop: Header=BB180_38 Depth=1
	v_and_b32_e32 v70, 0xffff, v1
	v_or_b32_e32 v71, 0x10000, v1
	s_delay_alu instid0(VALU_DEP_2) | instskip(NEXT) | instid1(VALU_DEP_1)
	v_cmp_eq_u32_e64 s0, 0, v70
	v_cndmask_b32_e64 v70, v71, v1, s0
; %bb.183:                              ;   in Loop: Header=BB180_38 Depth=1
	s_or_b32 exec_lo, exec_lo, s10
	v_lshlrev_b32_e32 v1, 16, v2
                                        ; implicit-def: $vgpr71
	s_delay_alu instid0(VALU_DEP_1) | instskip(NEXT) | instid1(VALU_DEP_1)
	v_mul_f32_e32 v1, v49, v1
	v_and_b32_e32 v2, 0x7f800000, v1
	s_delay_alu instid0(VALU_DEP_1) | instskip(NEXT) | instid1(VALU_DEP_1)
	v_cmp_ne_u32_e64 s0, 0x7f800000, v2
	s_and_saveexec_b32 s10, s0
	s_delay_alu instid0(SALU_CYCLE_1)
	s_xor_b32 s0, exec_lo, s10
; %bb.184:                              ;   in Loop: Header=BB180_38 Depth=1
	v_bfe_u32 v2, v1, 16, 1
	s_delay_alu instid0(VALU_DEP_1)
	v_add3_u32 v71, v1, v2, 0x7fff
                                        ; implicit-def: $vgpr1
; %bb.185:                              ;   in Loop: Header=BB180_38 Depth=1
	s_and_not1_saveexec_b32 s10, s0
; %bb.186:                              ;   in Loop: Header=BB180_38 Depth=1
	v_and_b32_e32 v2, 0xffff, v1
	v_or_b32_e32 v71, 0x10000, v1
	s_delay_alu instid0(VALU_DEP_2) | instskip(NEXT) | instid1(VALU_DEP_1)
	v_cmp_eq_u32_e64 s0, 0, v2
	v_cndmask_b32_e64 v71, v71, v1, s0
; %bb.187:                              ;   in Loop: Header=BB180_38 Depth=1
	s_or_b32 exec_lo, exec_lo, s10
	v_lshlrev_b32_e32 v1, 16, v72
                                        ; implicit-def: $vgpr72
	s_delay_alu instid0(VALU_DEP_1) | instskip(NEXT) | instid1(VALU_DEP_1)
	v_mul_f32_e32 v1, v50, v1
	v_and_b32_e32 v2, 0x7f800000, v1
	s_delay_alu instid0(VALU_DEP_1) | instskip(NEXT) | instid1(VALU_DEP_1)
	v_cmp_ne_u32_e64 s0, 0x7f800000, v2
	s_and_saveexec_b32 s10, s0
	s_delay_alu instid0(SALU_CYCLE_1)
	s_xor_b32 s0, exec_lo, s10
; %bb.188:                              ;   in Loop: Header=BB180_38 Depth=1
	v_bfe_u32 v2, v1, 16, 1
	s_delay_alu instid0(VALU_DEP_1)
	v_add3_u32 v72, v1, v2, 0x7fff
                                        ; implicit-def: $vgpr1
; %bb.189:                              ;   in Loop: Header=BB180_38 Depth=1
	s_and_not1_saveexec_b32 s10, s0
; %bb.190:                              ;   in Loop: Header=BB180_38 Depth=1
	v_and_b32_e32 v2, 0xffff, v1
	v_or_b32_e32 v72, 0x10000, v1
	s_delay_alu instid0(VALU_DEP_2) | instskip(NEXT) | instid1(VALU_DEP_1)
	v_cmp_eq_u32_e64 s0, 0, v2
	v_cndmask_b32_e64 v72, v72, v1, s0
; %bb.191:                              ;   in Loop: Header=BB180_38 Depth=1
	s_or_b32 exec_lo, exec_lo, s10
	v_lshlrev_b32_e32 v1, 16, v3
                                        ; implicit-def: $vgpr73
	s_delay_alu instid0(VALU_DEP_1) | instskip(NEXT) | instid1(VALU_DEP_1)
	v_mul_f32_e32 v1, v51, v1
	v_and_b32_e32 v2, 0x7f800000, v1
	s_delay_alu instid0(VALU_DEP_1) | instskip(NEXT) | instid1(VALU_DEP_1)
	v_cmp_ne_u32_e64 s0, 0x7f800000, v2
	s_and_saveexec_b32 s10, s0
	s_delay_alu instid0(SALU_CYCLE_1)
	s_xor_b32 s0, exec_lo, s10
; %bb.192:                              ;   in Loop: Header=BB180_38 Depth=1
	v_bfe_u32 v2, v1, 16, 1
	s_delay_alu instid0(VALU_DEP_1)
	v_add3_u32 v73, v1, v2, 0x7fff
                                        ; implicit-def: $vgpr1
; %bb.193:                              ;   in Loop: Header=BB180_38 Depth=1
	s_and_not1_saveexec_b32 s10, s0
; %bb.194:                              ;   in Loop: Header=BB180_38 Depth=1
	v_and_b32_e32 v2, 0xffff, v1
	v_or_b32_e32 v3, 0x10000, v1
	s_delay_alu instid0(VALU_DEP_2) | instskip(NEXT) | instid1(VALU_DEP_1)
	v_cmp_eq_u32_e64 s0, 0, v2
	v_cndmask_b32_e64 v73, v3, v1, s0
; %bb.195:                              ;   in Loop: Header=BB180_38 Depth=1
	s_or_b32 exec_lo, exec_lo, s10
	v_lshlrev_b32_e32 v1, 16, v74
                                        ; implicit-def: $vgpr74
	s_delay_alu instid0(VALU_DEP_1) | instskip(NEXT) | instid1(VALU_DEP_1)
	v_mul_f32_e32 v1, v52, v1
	v_and_b32_e32 v2, 0x7f800000, v1
	s_delay_alu instid0(VALU_DEP_1) | instskip(NEXT) | instid1(VALU_DEP_1)
	v_cmp_ne_u32_e64 s0, 0x7f800000, v2
	s_and_saveexec_b32 s10, s0
	s_delay_alu instid0(SALU_CYCLE_1)
	s_xor_b32 s0, exec_lo, s10
; %bb.196:                              ;   in Loop: Header=BB180_38 Depth=1
	v_bfe_u32 v2, v1, 16, 1
	s_delay_alu instid0(VALU_DEP_1)
	v_add3_u32 v74, v1, v2, 0x7fff
                                        ; implicit-def: $vgpr1
; %bb.197:                              ;   in Loop: Header=BB180_38 Depth=1
	s_and_not1_saveexec_b32 s10, s0
; %bb.198:                              ;   in Loop: Header=BB180_38 Depth=1
	v_and_b32_e32 v2, 0xffff, v1
	v_or_b32_e32 v3, 0x10000, v1
	s_delay_alu instid0(VALU_DEP_2) | instskip(NEXT) | instid1(VALU_DEP_1)
	v_cmp_eq_u32_e64 s0, 0, v2
	v_cndmask_b32_e64 v74, v3, v1, s0
; %bb.199:                              ;   in Loop: Header=BB180_38 Depth=1
	s_or_b32 exec_lo, exec_lo, s10
	v_lshlrev_b32_e32 v1, 16, v4
                                        ; implicit-def: $vgpr75
	s_delay_alu instid0(VALU_DEP_1) | instskip(NEXT) | instid1(VALU_DEP_1)
	v_mul_f32_e32 v1, v53, v1
	v_and_b32_e32 v2, 0x7f800000, v1
	s_delay_alu instid0(VALU_DEP_1) | instskip(NEXT) | instid1(VALU_DEP_1)
	v_cmp_ne_u32_e64 s0, 0x7f800000, v2
	s_and_saveexec_b32 s10, s0
	s_delay_alu instid0(SALU_CYCLE_1)
	s_xor_b32 s0, exec_lo, s10
; %bb.200:                              ;   in Loop: Header=BB180_38 Depth=1
	v_bfe_u32 v2, v1, 16, 1
	s_delay_alu instid0(VALU_DEP_1)
	v_add3_u32 v75, v1, v2, 0x7fff
                                        ; implicit-def: $vgpr1
; %bb.201:                              ;   in Loop: Header=BB180_38 Depth=1
	s_and_not1_saveexec_b32 s10, s0
; %bb.202:                              ;   in Loop: Header=BB180_38 Depth=1
	v_and_b32_e32 v2, 0xffff, v1
	v_or_b32_e32 v3, 0x10000, v1
	s_delay_alu instid0(VALU_DEP_2) | instskip(NEXT) | instid1(VALU_DEP_1)
	v_cmp_eq_u32_e64 s0, 0, v2
	v_cndmask_b32_e64 v75, v3, v1, s0
; %bb.203:                              ;   in Loop: Header=BB180_38 Depth=1
	s_or_b32 exec_lo, exec_lo, s10
	v_lshlrev_b32_e32 v1, 16, v76
                                        ; implicit-def: $vgpr76
	s_delay_alu instid0(VALU_DEP_1) | instskip(NEXT) | instid1(VALU_DEP_1)
	v_mul_f32_e32 v1, v54, v1
	v_and_b32_e32 v2, 0x7f800000, v1
	s_delay_alu instid0(VALU_DEP_1) | instskip(NEXT) | instid1(VALU_DEP_1)
	v_cmp_ne_u32_e64 s0, 0x7f800000, v2
	s_and_saveexec_b32 s10, s0
	s_delay_alu instid0(SALU_CYCLE_1)
	s_xor_b32 s0, exec_lo, s10
; %bb.204:                              ;   in Loop: Header=BB180_38 Depth=1
	v_bfe_u32 v2, v1, 16, 1
	s_delay_alu instid0(VALU_DEP_1)
	v_add3_u32 v76, v1, v2, 0x7fff
                                        ; implicit-def: $vgpr1
; %bb.205:                              ;   in Loop: Header=BB180_38 Depth=1
	s_and_not1_saveexec_b32 s10, s0
; %bb.206:                              ;   in Loop: Header=BB180_38 Depth=1
	v_and_b32_e32 v2, 0xffff, v1
	v_or_b32_e32 v3, 0x10000, v1
	s_delay_alu instid0(VALU_DEP_2) | instskip(NEXT) | instid1(VALU_DEP_1)
	v_cmp_eq_u32_e64 s0, 0, v2
	v_cndmask_b32_e64 v76, v3, v1, s0
; %bb.207:                              ;   in Loop: Header=BB180_38 Depth=1
	s_or_b32 exec_lo, exec_lo, s10
	global_load_b128 v[1:4], v[5:6], off offset:2048
	s_waitcnt vmcnt(0)
	v_lshrrev_b32_e32 v78, 16, v1
	v_lshrrev_b32_e32 v80, 16, v2
	;; [unrolled: 1-line block ×4, first 2 shown]
	s_and_saveexec_b32 s10, vcc_lo
	s_cbranch_execz .LBB180_209
; %bb.208:                              ;   in Loop: Header=BB180_38 Depth=1
	v_cmp_gt_i32_e64 s0, s33, v37
	s_delay_alu instid0(VALU_DEP_1) | instskip(SKIP_1) | instid1(VALU_DEP_1)
	v_cndmask_b32_e64 v1, 0, v1, s0
	v_cmp_gt_i32_e64 s0, s33, v45
	v_cndmask_b32_e64 v78, 0, v78, s0
	v_cmp_gt_i32_e64 s0, s33, v44
	s_delay_alu instid0(VALU_DEP_1) | instskip(SKIP_1) | instid1(VALU_DEP_1)
	v_cndmask_b32_e64 v2, 0, v2, s0
	v_cmp_gt_i32_e64 s0, s33, v42
	v_cndmask_b32_e64 v80, 0, v80, s0
	;; [unrolled: 5-line block ×4, first 2 shown]
.LBB180_209:                            ;   in Loop: Header=BB180_38 Depth=1
	s_or_b32 exec_lo, exec_lo, s10
	v_lshlrev_b32_e32 v1, 16, v1
	s_delay_alu instid0(VALU_DEP_1) | instskip(NEXT) | instid1(VALU_DEP_1)
	v_mul_f32_e32 v1, v46, v1
	v_and_b32_e32 v77, 0x7f800000, v1
	s_delay_alu instid0(VALU_DEP_1) | instskip(NEXT) | instid1(VALU_DEP_1)
	v_cmp_ne_u32_e64 s0, 0x7f800000, v77
                                        ; implicit-def: $vgpr77
	s_and_saveexec_b32 s10, s0
	s_delay_alu instid0(SALU_CYCLE_1)
	s_xor_b32 s0, exec_lo, s10
; %bb.210:                              ;   in Loop: Header=BB180_38 Depth=1
	v_bfe_u32 v77, v1, 16, 1
	s_delay_alu instid0(VALU_DEP_1)
	v_add3_u32 v77, v1, v77, 0x7fff
                                        ; implicit-def: $vgpr1
; %bb.211:                              ;   in Loop: Header=BB180_38 Depth=1
	s_and_not1_saveexec_b32 s10, s0
; %bb.212:                              ;   in Loop: Header=BB180_38 Depth=1
	v_and_b32_e32 v77, 0xffff, v1
	v_or_b32_e32 v79, 0x10000, v1
	s_delay_alu instid0(VALU_DEP_2) | instskip(NEXT) | instid1(VALU_DEP_1)
	v_cmp_eq_u32_e64 s0, 0, v77
	v_cndmask_b32_e64 v77, v79, v1, s0
; %bb.213:                              ;   in Loop: Header=BB180_38 Depth=1
	s_or_b32 exec_lo, exec_lo, s10
	v_lshlrev_b32_e32 v1, 16, v78
	s_delay_alu instid0(VALU_DEP_1) | instskip(NEXT) | instid1(VALU_DEP_1)
	v_mul_f32_e32 v1, v48, v1
	v_and_b32_e32 v78, 0x7f800000, v1
	s_delay_alu instid0(VALU_DEP_1) | instskip(NEXT) | instid1(VALU_DEP_1)
	v_cmp_ne_u32_e64 s0, 0x7f800000, v78
                                        ; implicit-def: $vgpr78
	s_and_saveexec_b32 s10, s0
	s_delay_alu instid0(SALU_CYCLE_1)
	s_xor_b32 s0, exec_lo, s10
; %bb.214:                              ;   in Loop: Header=BB180_38 Depth=1
	v_bfe_u32 v78, v1, 16, 1
	s_delay_alu instid0(VALU_DEP_1)
	v_add3_u32 v78, v1, v78, 0x7fff
                                        ; implicit-def: $vgpr1
; %bb.215:                              ;   in Loop: Header=BB180_38 Depth=1
	s_and_not1_saveexec_b32 s10, s0
; %bb.216:                              ;   in Loop: Header=BB180_38 Depth=1
	v_and_b32_e32 v78, 0xffff, v1
	v_or_b32_e32 v79, 0x10000, v1
	s_delay_alu instid0(VALU_DEP_2) | instskip(NEXT) | instid1(VALU_DEP_1)
	v_cmp_eq_u32_e64 s0, 0, v78
	v_cndmask_b32_e64 v78, v79, v1, s0
; %bb.217:                              ;   in Loop: Header=BB180_38 Depth=1
	s_or_b32 exec_lo, exec_lo, s10
	v_lshlrev_b32_e32 v1, 16, v2
                                        ; implicit-def: $vgpr79
	s_delay_alu instid0(VALU_DEP_1) | instskip(NEXT) | instid1(VALU_DEP_1)
	v_mul_f32_e32 v1, v49, v1
	v_and_b32_e32 v2, 0x7f800000, v1
	s_delay_alu instid0(VALU_DEP_1) | instskip(NEXT) | instid1(VALU_DEP_1)
	v_cmp_ne_u32_e64 s0, 0x7f800000, v2
	s_and_saveexec_b32 s10, s0
	s_delay_alu instid0(SALU_CYCLE_1)
	s_xor_b32 s0, exec_lo, s10
; %bb.218:                              ;   in Loop: Header=BB180_38 Depth=1
	v_bfe_u32 v2, v1, 16, 1
	s_delay_alu instid0(VALU_DEP_1)
	v_add3_u32 v79, v1, v2, 0x7fff
                                        ; implicit-def: $vgpr1
; %bb.219:                              ;   in Loop: Header=BB180_38 Depth=1
	s_and_not1_saveexec_b32 s10, s0
; %bb.220:                              ;   in Loop: Header=BB180_38 Depth=1
	v_and_b32_e32 v2, 0xffff, v1
	v_or_b32_e32 v79, 0x10000, v1
	s_delay_alu instid0(VALU_DEP_2) | instskip(NEXT) | instid1(VALU_DEP_1)
	v_cmp_eq_u32_e64 s0, 0, v2
	v_cndmask_b32_e64 v79, v79, v1, s0
; %bb.221:                              ;   in Loop: Header=BB180_38 Depth=1
	s_or_b32 exec_lo, exec_lo, s10
	v_lshlrev_b32_e32 v1, 16, v80
                                        ; implicit-def: $vgpr80
	s_delay_alu instid0(VALU_DEP_1) | instskip(NEXT) | instid1(VALU_DEP_1)
	v_mul_f32_e32 v1, v50, v1
	v_and_b32_e32 v2, 0x7f800000, v1
	s_delay_alu instid0(VALU_DEP_1) | instskip(NEXT) | instid1(VALU_DEP_1)
	v_cmp_ne_u32_e64 s0, 0x7f800000, v2
	s_and_saveexec_b32 s10, s0
	s_delay_alu instid0(SALU_CYCLE_1)
	s_xor_b32 s0, exec_lo, s10
; %bb.222:                              ;   in Loop: Header=BB180_38 Depth=1
	v_bfe_u32 v2, v1, 16, 1
	s_delay_alu instid0(VALU_DEP_1)
	v_add3_u32 v80, v1, v2, 0x7fff
                                        ; implicit-def: $vgpr1
; %bb.223:                              ;   in Loop: Header=BB180_38 Depth=1
	s_and_not1_saveexec_b32 s10, s0
; %bb.224:                              ;   in Loop: Header=BB180_38 Depth=1
	v_and_b32_e32 v2, 0xffff, v1
	v_or_b32_e32 v80, 0x10000, v1
	s_delay_alu instid0(VALU_DEP_2) | instskip(NEXT) | instid1(VALU_DEP_1)
	v_cmp_eq_u32_e64 s0, 0, v2
	v_cndmask_b32_e64 v80, v80, v1, s0
; %bb.225:                              ;   in Loop: Header=BB180_38 Depth=1
	s_or_b32 exec_lo, exec_lo, s10
	v_lshlrev_b32_e32 v1, 16, v3
                                        ; implicit-def: $vgpr81
	s_delay_alu instid0(VALU_DEP_1) | instskip(NEXT) | instid1(VALU_DEP_1)
	v_mul_f32_e32 v1, v51, v1
	v_and_b32_e32 v2, 0x7f800000, v1
	s_delay_alu instid0(VALU_DEP_1) | instskip(NEXT) | instid1(VALU_DEP_1)
	v_cmp_ne_u32_e64 s0, 0x7f800000, v2
	s_and_saveexec_b32 s10, s0
	s_delay_alu instid0(SALU_CYCLE_1)
	s_xor_b32 s0, exec_lo, s10
; %bb.226:                              ;   in Loop: Header=BB180_38 Depth=1
	v_bfe_u32 v2, v1, 16, 1
	s_delay_alu instid0(VALU_DEP_1)
	v_add3_u32 v81, v1, v2, 0x7fff
                                        ; implicit-def: $vgpr1
; %bb.227:                              ;   in Loop: Header=BB180_38 Depth=1
	s_and_not1_saveexec_b32 s10, s0
; %bb.228:                              ;   in Loop: Header=BB180_38 Depth=1
	v_and_b32_e32 v2, 0xffff, v1
	v_or_b32_e32 v3, 0x10000, v1
	s_delay_alu instid0(VALU_DEP_2) | instskip(NEXT) | instid1(VALU_DEP_1)
	v_cmp_eq_u32_e64 s0, 0, v2
	v_cndmask_b32_e64 v81, v3, v1, s0
; %bb.229:                              ;   in Loop: Header=BB180_38 Depth=1
	s_or_b32 exec_lo, exec_lo, s10
	v_lshlrev_b32_e32 v1, 16, v82
                                        ; implicit-def: $vgpr82
	s_delay_alu instid0(VALU_DEP_1) | instskip(NEXT) | instid1(VALU_DEP_1)
	v_mul_f32_e32 v1, v52, v1
	v_and_b32_e32 v2, 0x7f800000, v1
	s_delay_alu instid0(VALU_DEP_1) | instskip(NEXT) | instid1(VALU_DEP_1)
	v_cmp_ne_u32_e64 s0, 0x7f800000, v2
	s_and_saveexec_b32 s10, s0
	s_delay_alu instid0(SALU_CYCLE_1)
	s_xor_b32 s0, exec_lo, s10
; %bb.230:                              ;   in Loop: Header=BB180_38 Depth=1
	v_bfe_u32 v2, v1, 16, 1
	s_delay_alu instid0(VALU_DEP_1)
	v_add3_u32 v82, v1, v2, 0x7fff
                                        ; implicit-def: $vgpr1
; %bb.231:                              ;   in Loop: Header=BB180_38 Depth=1
	s_and_not1_saveexec_b32 s10, s0
; %bb.232:                              ;   in Loop: Header=BB180_38 Depth=1
	v_and_b32_e32 v2, 0xffff, v1
	v_or_b32_e32 v3, 0x10000, v1
	s_delay_alu instid0(VALU_DEP_2) | instskip(NEXT) | instid1(VALU_DEP_1)
	v_cmp_eq_u32_e64 s0, 0, v2
	v_cndmask_b32_e64 v82, v3, v1, s0
; %bb.233:                              ;   in Loop: Header=BB180_38 Depth=1
	s_or_b32 exec_lo, exec_lo, s10
	v_lshlrev_b32_e32 v1, 16, v4
                                        ; implicit-def: $vgpr83
	s_delay_alu instid0(VALU_DEP_1) | instskip(NEXT) | instid1(VALU_DEP_1)
	v_mul_f32_e32 v1, v53, v1
	v_and_b32_e32 v2, 0x7f800000, v1
	s_delay_alu instid0(VALU_DEP_1) | instskip(NEXT) | instid1(VALU_DEP_1)
	v_cmp_ne_u32_e64 s0, 0x7f800000, v2
	s_and_saveexec_b32 s10, s0
	s_delay_alu instid0(SALU_CYCLE_1)
	s_xor_b32 s0, exec_lo, s10
; %bb.234:                              ;   in Loop: Header=BB180_38 Depth=1
	v_bfe_u32 v2, v1, 16, 1
	s_delay_alu instid0(VALU_DEP_1)
	v_add3_u32 v83, v1, v2, 0x7fff
                                        ; implicit-def: $vgpr1
; %bb.235:                              ;   in Loop: Header=BB180_38 Depth=1
	s_and_not1_saveexec_b32 s10, s0
; %bb.236:                              ;   in Loop: Header=BB180_38 Depth=1
	v_and_b32_e32 v2, 0xffff, v1
	v_or_b32_e32 v3, 0x10000, v1
	s_delay_alu instid0(VALU_DEP_2) | instskip(NEXT) | instid1(VALU_DEP_1)
	v_cmp_eq_u32_e64 s0, 0, v2
	v_cndmask_b32_e64 v83, v3, v1, s0
; %bb.237:                              ;   in Loop: Header=BB180_38 Depth=1
	s_or_b32 exec_lo, exec_lo, s10
	v_lshlrev_b32_e32 v1, 16, v84
                                        ; implicit-def: $vgpr84
	s_delay_alu instid0(VALU_DEP_1) | instskip(NEXT) | instid1(VALU_DEP_1)
	v_mul_f32_e32 v1, v54, v1
	v_and_b32_e32 v2, 0x7f800000, v1
	s_delay_alu instid0(VALU_DEP_1) | instskip(NEXT) | instid1(VALU_DEP_1)
	v_cmp_ne_u32_e64 s0, 0x7f800000, v2
	s_and_saveexec_b32 s10, s0
	s_delay_alu instid0(SALU_CYCLE_1)
	s_xor_b32 s0, exec_lo, s10
; %bb.238:                              ;   in Loop: Header=BB180_38 Depth=1
	v_bfe_u32 v2, v1, 16, 1
	s_delay_alu instid0(VALU_DEP_1)
	v_add3_u32 v84, v1, v2, 0x7fff
                                        ; implicit-def: $vgpr1
; %bb.239:                              ;   in Loop: Header=BB180_38 Depth=1
	s_and_not1_saveexec_b32 s10, s0
; %bb.240:                              ;   in Loop: Header=BB180_38 Depth=1
	v_and_b32_e32 v2, 0xffff, v1
	v_or_b32_e32 v3, 0x10000, v1
	s_delay_alu instid0(VALU_DEP_2) | instskip(NEXT) | instid1(VALU_DEP_1)
	v_cmp_eq_u32_e64 s0, 0, v2
	v_cndmask_b32_e64 v84, v3, v1, s0
; %bb.241:                              ;   in Loop: Header=BB180_38 Depth=1
	s_or_b32 exec_lo, exec_lo, s10
	global_load_b128 v[1:4], v[5:6], off offset:2560
	s_waitcnt vmcnt(0)
	v_lshrrev_b32_e32 v86, 16, v1
	v_lshrrev_b32_e32 v88, 16, v2
	;; [unrolled: 1-line block ×4, first 2 shown]
	s_and_saveexec_b32 s10, vcc_lo
	s_cbranch_execz .LBB180_243
; %bb.242:                              ;   in Loop: Header=BB180_38 Depth=1
	v_cmp_gt_i32_e64 s0, s33, v37
	s_delay_alu instid0(VALU_DEP_1) | instskip(SKIP_1) | instid1(VALU_DEP_1)
	v_cndmask_b32_e64 v1, 0, v1, s0
	v_cmp_gt_i32_e64 s0, s33, v45
	v_cndmask_b32_e64 v86, 0, v86, s0
	v_cmp_gt_i32_e64 s0, s33, v44
	s_delay_alu instid0(VALU_DEP_1) | instskip(SKIP_1) | instid1(VALU_DEP_1)
	v_cndmask_b32_e64 v2, 0, v2, s0
	v_cmp_gt_i32_e64 s0, s33, v42
	v_cndmask_b32_e64 v88, 0, v88, s0
	v_cmp_gt_i32_e64 s0, s33, v41
	s_delay_alu instid0(VALU_DEP_1) | instskip(SKIP_1) | instid1(VALU_DEP_1)
	v_cndmask_b32_e64 v3, 0, v3, s0
	v_cmp_gt_i32_e64 s0, s33, v40
	v_cndmask_b32_e64 v90, 0, v90, s0
	v_cmp_gt_i32_e64 s0, s33, v39
	s_delay_alu instid0(VALU_DEP_1) | instskip(SKIP_1) | instid1(VALU_DEP_1)
	v_cndmask_b32_e64 v4, 0, v4, s0
	v_cmp_gt_i32_e64 s0, s33, v43
	v_cndmask_b32_e64 v92, 0, v92, s0
.LBB180_243:                            ;   in Loop: Header=BB180_38 Depth=1
	s_or_b32 exec_lo, exec_lo, s10
	v_lshlrev_b32_e32 v1, 16, v1
	s_delay_alu instid0(VALU_DEP_1) | instskip(NEXT) | instid1(VALU_DEP_1)
	v_mul_f32_e32 v1, v46, v1
	v_and_b32_e32 v85, 0x7f800000, v1
	s_delay_alu instid0(VALU_DEP_1) | instskip(NEXT) | instid1(VALU_DEP_1)
	v_cmp_ne_u32_e64 s0, 0x7f800000, v85
                                        ; implicit-def: $vgpr85
	s_and_saveexec_b32 s10, s0
	s_delay_alu instid0(SALU_CYCLE_1)
	s_xor_b32 s0, exec_lo, s10
; %bb.244:                              ;   in Loop: Header=BB180_38 Depth=1
	v_bfe_u32 v85, v1, 16, 1
	s_delay_alu instid0(VALU_DEP_1)
	v_add3_u32 v85, v1, v85, 0x7fff
                                        ; implicit-def: $vgpr1
; %bb.245:                              ;   in Loop: Header=BB180_38 Depth=1
	s_and_not1_saveexec_b32 s10, s0
; %bb.246:                              ;   in Loop: Header=BB180_38 Depth=1
	v_and_b32_e32 v85, 0xffff, v1
	v_or_b32_e32 v87, 0x10000, v1
	s_delay_alu instid0(VALU_DEP_2) | instskip(NEXT) | instid1(VALU_DEP_1)
	v_cmp_eq_u32_e64 s0, 0, v85
	v_cndmask_b32_e64 v85, v87, v1, s0
; %bb.247:                              ;   in Loop: Header=BB180_38 Depth=1
	s_or_b32 exec_lo, exec_lo, s10
	v_lshlrev_b32_e32 v1, 16, v86
	s_delay_alu instid0(VALU_DEP_1) | instskip(NEXT) | instid1(VALU_DEP_1)
	v_mul_f32_e32 v1, v48, v1
	v_and_b32_e32 v86, 0x7f800000, v1
	s_delay_alu instid0(VALU_DEP_1) | instskip(NEXT) | instid1(VALU_DEP_1)
	v_cmp_ne_u32_e64 s0, 0x7f800000, v86
                                        ; implicit-def: $vgpr86
	s_and_saveexec_b32 s10, s0
	s_delay_alu instid0(SALU_CYCLE_1)
	s_xor_b32 s0, exec_lo, s10
; %bb.248:                              ;   in Loop: Header=BB180_38 Depth=1
	v_bfe_u32 v86, v1, 16, 1
	s_delay_alu instid0(VALU_DEP_1)
	v_add3_u32 v86, v1, v86, 0x7fff
                                        ; implicit-def: $vgpr1
; %bb.249:                              ;   in Loop: Header=BB180_38 Depth=1
	s_and_not1_saveexec_b32 s10, s0
; %bb.250:                              ;   in Loop: Header=BB180_38 Depth=1
	v_and_b32_e32 v86, 0xffff, v1
	v_or_b32_e32 v87, 0x10000, v1
	s_delay_alu instid0(VALU_DEP_2) | instskip(NEXT) | instid1(VALU_DEP_1)
	v_cmp_eq_u32_e64 s0, 0, v86
	v_cndmask_b32_e64 v86, v87, v1, s0
; %bb.251:                              ;   in Loop: Header=BB180_38 Depth=1
	s_or_b32 exec_lo, exec_lo, s10
	v_lshlrev_b32_e32 v1, 16, v2
                                        ; implicit-def: $vgpr87
	s_delay_alu instid0(VALU_DEP_1) | instskip(NEXT) | instid1(VALU_DEP_1)
	v_mul_f32_e32 v1, v49, v1
	v_and_b32_e32 v2, 0x7f800000, v1
	s_delay_alu instid0(VALU_DEP_1) | instskip(NEXT) | instid1(VALU_DEP_1)
	v_cmp_ne_u32_e64 s0, 0x7f800000, v2
	s_and_saveexec_b32 s10, s0
	s_delay_alu instid0(SALU_CYCLE_1)
	s_xor_b32 s0, exec_lo, s10
; %bb.252:                              ;   in Loop: Header=BB180_38 Depth=1
	v_bfe_u32 v2, v1, 16, 1
	s_delay_alu instid0(VALU_DEP_1)
	v_add3_u32 v87, v1, v2, 0x7fff
                                        ; implicit-def: $vgpr1
; %bb.253:                              ;   in Loop: Header=BB180_38 Depth=1
	s_and_not1_saveexec_b32 s10, s0
; %bb.254:                              ;   in Loop: Header=BB180_38 Depth=1
	v_and_b32_e32 v2, 0xffff, v1
	v_or_b32_e32 v87, 0x10000, v1
	s_delay_alu instid0(VALU_DEP_2) | instskip(NEXT) | instid1(VALU_DEP_1)
	v_cmp_eq_u32_e64 s0, 0, v2
	v_cndmask_b32_e64 v87, v87, v1, s0
; %bb.255:                              ;   in Loop: Header=BB180_38 Depth=1
	s_or_b32 exec_lo, exec_lo, s10
	v_lshlrev_b32_e32 v1, 16, v88
                                        ; implicit-def: $vgpr88
	s_delay_alu instid0(VALU_DEP_1) | instskip(NEXT) | instid1(VALU_DEP_1)
	v_mul_f32_e32 v1, v50, v1
	v_and_b32_e32 v2, 0x7f800000, v1
	s_delay_alu instid0(VALU_DEP_1) | instskip(NEXT) | instid1(VALU_DEP_1)
	v_cmp_ne_u32_e64 s0, 0x7f800000, v2
	s_and_saveexec_b32 s10, s0
	s_delay_alu instid0(SALU_CYCLE_1)
	s_xor_b32 s0, exec_lo, s10
; %bb.256:                              ;   in Loop: Header=BB180_38 Depth=1
	v_bfe_u32 v2, v1, 16, 1
	s_delay_alu instid0(VALU_DEP_1)
	v_add3_u32 v88, v1, v2, 0x7fff
                                        ; implicit-def: $vgpr1
; %bb.257:                              ;   in Loop: Header=BB180_38 Depth=1
	s_and_not1_saveexec_b32 s10, s0
; %bb.258:                              ;   in Loop: Header=BB180_38 Depth=1
	v_and_b32_e32 v2, 0xffff, v1
	v_or_b32_e32 v88, 0x10000, v1
	s_delay_alu instid0(VALU_DEP_2) | instskip(NEXT) | instid1(VALU_DEP_1)
	v_cmp_eq_u32_e64 s0, 0, v2
	v_cndmask_b32_e64 v88, v88, v1, s0
; %bb.259:                              ;   in Loop: Header=BB180_38 Depth=1
	s_or_b32 exec_lo, exec_lo, s10
	v_lshlrev_b32_e32 v1, 16, v3
                                        ; implicit-def: $vgpr89
	s_delay_alu instid0(VALU_DEP_1) | instskip(NEXT) | instid1(VALU_DEP_1)
	v_mul_f32_e32 v1, v51, v1
	v_and_b32_e32 v2, 0x7f800000, v1
	s_delay_alu instid0(VALU_DEP_1) | instskip(NEXT) | instid1(VALU_DEP_1)
	v_cmp_ne_u32_e64 s0, 0x7f800000, v2
	s_and_saveexec_b32 s10, s0
	s_delay_alu instid0(SALU_CYCLE_1)
	s_xor_b32 s0, exec_lo, s10
; %bb.260:                              ;   in Loop: Header=BB180_38 Depth=1
	v_bfe_u32 v2, v1, 16, 1
	s_delay_alu instid0(VALU_DEP_1)
	v_add3_u32 v89, v1, v2, 0x7fff
                                        ; implicit-def: $vgpr1
; %bb.261:                              ;   in Loop: Header=BB180_38 Depth=1
	s_and_not1_saveexec_b32 s10, s0
; %bb.262:                              ;   in Loop: Header=BB180_38 Depth=1
	v_and_b32_e32 v2, 0xffff, v1
	v_or_b32_e32 v3, 0x10000, v1
	s_delay_alu instid0(VALU_DEP_2) | instskip(NEXT) | instid1(VALU_DEP_1)
	v_cmp_eq_u32_e64 s0, 0, v2
	v_cndmask_b32_e64 v89, v3, v1, s0
; %bb.263:                              ;   in Loop: Header=BB180_38 Depth=1
	s_or_b32 exec_lo, exec_lo, s10
	v_lshlrev_b32_e32 v1, 16, v90
                                        ; implicit-def: $vgpr90
	s_delay_alu instid0(VALU_DEP_1) | instskip(NEXT) | instid1(VALU_DEP_1)
	v_mul_f32_e32 v1, v52, v1
	v_and_b32_e32 v2, 0x7f800000, v1
	s_delay_alu instid0(VALU_DEP_1) | instskip(NEXT) | instid1(VALU_DEP_1)
	v_cmp_ne_u32_e64 s0, 0x7f800000, v2
	s_and_saveexec_b32 s10, s0
	s_delay_alu instid0(SALU_CYCLE_1)
	s_xor_b32 s0, exec_lo, s10
; %bb.264:                              ;   in Loop: Header=BB180_38 Depth=1
	v_bfe_u32 v2, v1, 16, 1
	s_delay_alu instid0(VALU_DEP_1)
	v_add3_u32 v90, v1, v2, 0x7fff
                                        ; implicit-def: $vgpr1
; %bb.265:                              ;   in Loop: Header=BB180_38 Depth=1
	s_and_not1_saveexec_b32 s10, s0
; %bb.266:                              ;   in Loop: Header=BB180_38 Depth=1
	v_and_b32_e32 v2, 0xffff, v1
	v_or_b32_e32 v3, 0x10000, v1
	s_delay_alu instid0(VALU_DEP_2) | instskip(NEXT) | instid1(VALU_DEP_1)
	v_cmp_eq_u32_e64 s0, 0, v2
	v_cndmask_b32_e64 v90, v3, v1, s0
; %bb.267:                              ;   in Loop: Header=BB180_38 Depth=1
	s_or_b32 exec_lo, exec_lo, s10
	v_lshlrev_b32_e32 v1, 16, v4
                                        ; implicit-def: $vgpr91
	s_delay_alu instid0(VALU_DEP_1) | instskip(NEXT) | instid1(VALU_DEP_1)
	v_mul_f32_e32 v1, v53, v1
	v_and_b32_e32 v2, 0x7f800000, v1
	s_delay_alu instid0(VALU_DEP_1) | instskip(NEXT) | instid1(VALU_DEP_1)
	v_cmp_ne_u32_e64 s0, 0x7f800000, v2
	s_and_saveexec_b32 s10, s0
	s_delay_alu instid0(SALU_CYCLE_1)
	s_xor_b32 s0, exec_lo, s10
; %bb.268:                              ;   in Loop: Header=BB180_38 Depth=1
	v_bfe_u32 v2, v1, 16, 1
	s_delay_alu instid0(VALU_DEP_1)
	v_add3_u32 v91, v1, v2, 0x7fff
                                        ; implicit-def: $vgpr1
; %bb.269:                              ;   in Loop: Header=BB180_38 Depth=1
	s_and_not1_saveexec_b32 s10, s0
; %bb.270:                              ;   in Loop: Header=BB180_38 Depth=1
	v_and_b32_e32 v2, 0xffff, v1
	v_or_b32_e32 v3, 0x10000, v1
	s_delay_alu instid0(VALU_DEP_2) | instskip(NEXT) | instid1(VALU_DEP_1)
	v_cmp_eq_u32_e64 s0, 0, v2
	v_cndmask_b32_e64 v91, v3, v1, s0
; %bb.271:                              ;   in Loop: Header=BB180_38 Depth=1
	s_or_b32 exec_lo, exec_lo, s10
	v_lshlrev_b32_e32 v1, 16, v92
                                        ; implicit-def: $vgpr92
	s_delay_alu instid0(VALU_DEP_1) | instskip(NEXT) | instid1(VALU_DEP_1)
	v_mul_f32_e32 v1, v54, v1
	v_and_b32_e32 v2, 0x7f800000, v1
	s_delay_alu instid0(VALU_DEP_1) | instskip(NEXT) | instid1(VALU_DEP_1)
	v_cmp_ne_u32_e64 s0, 0x7f800000, v2
	s_and_saveexec_b32 s10, s0
	s_delay_alu instid0(SALU_CYCLE_1)
	s_xor_b32 s0, exec_lo, s10
; %bb.272:                              ;   in Loop: Header=BB180_38 Depth=1
	v_bfe_u32 v2, v1, 16, 1
	s_delay_alu instid0(VALU_DEP_1)
	v_add3_u32 v92, v1, v2, 0x7fff
                                        ; implicit-def: $vgpr1
; %bb.273:                              ;   in Loop: Header=BB180_38 Depth=1
	s_and_not1_saveexec_b32 s10, s0
; %bb.274:                              ;   in Loop: Header=BB180_38 Depth=1
	v_and_b32_e32 v2, 0xffff, v1
	v_or_b32_e32 v3, 0x10000, v1
	s_delay_alu instid0(VALU_DEP_2) | instskip(NEXT) | instid1(VALU_DEP_1)
	v_cmp_eq_u32_e64 s0, 0, v2
	v_cndmask_b32_e64 v92, v3, v1, s0
; %bb.275:                              ;   in Loop: Header=BB180_38 Depth=1
	s_or_b32 exec_lo, exec_lo, s10
	global_load_b128 v[1:4], v[5:6], off offset:3072
	s_waitcnt vmcnt(0)
	v_lshrrev_b32_e32 v94, 16, v1
	v_lshrrev_b32_e32 v96, 16, v2
	;; [unrolled: 1-line block ×4, first 2 shown]
	s_and_saveexec_b32 s10, vcc_lo
	s_cbranch_execz .LBB180_277
; %bb.276:                              ;   in Loop: Header=BB180_38 Depth=1
	v_cmp_gt_i32_e64 s0, s33, v37
	s_delay_alu instid0(VALU_DEP_1) | instskip(SKIP_1) | instid1(VALU_DEP_1)
	v_cndmask_b32_e64 v1, 0, v1, s0
	v_cmp_gt_i32_e64 s0, s33, v45
	v_cndmask_b32_e64 v94, 0, v94, s0
	v_cmp_gt_i32_e64 s0, s33, v44
	s_delay_alu instid0(VALU_DEP_1) | instskip(SKIP_1) | instid1(VALU_DEP_1)
	v_cndmask_b32_e64 v2, 0, v2, s0
	v_cmp_gt_i32_e64 s0, s33, v42
	v_cndmask_b32_e64 v96, 0, v96, s0
	;; [unrolled: 5-line block ×4, first 2 shown]
.LBB180_277:                            ;   in Loop: Header=BB180_38 Depth=1
	s_or_b32 exec_lo, exec_lo, s10
	v_lshlrev_b32_e32 v1, 16, v1
	s_delay_alu instid0(VALU_DEP_1) | instskip(NEXT) | instid1(VALU_DEP_1)
	v_mul_f32_e32 v1, v46, v1
	v_and_b32_e32 v93, 0x7f800000, v1
	s_delay_alu instid0(VALU_DEP_1) | instskip(NEXT) | instid1(VALU_DEP_1)
	v_cmp_ne_u32_e64 s0, 0x7f800000, v93
                                        ; implicit-def: $vgpr93
	s_and_saveexec_b32 s10, s0
	s_delay_alu instid0(SALU_CYCLE_1)
	s_xor_b32 s0, exec_lo, s10
; %bb.278:                              ;   in Loop: Header=BB180_38 Depth=1
	v_bfe_u32 v93, v1, 16, 1
	s_delay_alu instid0(VALU_DEP_1)
	v_add3_u32 v93, v1, v93, 0x7fff
                                        ; implicit-def: $vgpr1
; %bb.279:                              ;   in Loop: Header=BB180_38 Depth=1
	s_and_not1_saveexec_b32 s10, s0
; %bb.280:                              ;   in Loop: Header=BB180_38 Depth=1
	v_and_b32_e32 v93, 0xffff, v1
	v_or_b32_e32 v95, 0x10000, v1
	s_delay_alu instid0(VALU_DEP_2) | instskip(NEXT) | instid1(VALU_DEP_1)
	v_cmp_eq_u32_e64 s0, 0, v93
	v_cndmask_b32_e64 v93, v95, v1, s0
; %bb.281:                              ;   in Loop: Header=BB180_38 Depth=1
	s_or_b32 exec_lo, exec_lo, s10
	v_lshlrev_b32_e32 v1, 16, v94
	s_delay_alu instid0(VALU_DEP_1) | instskip(NEXT) | instid1(VALU_DEP_1)
	v_mul_f32_e32 v1, v48, v1
	v_and_b32_e32 v94, 0x7f800000, v1
	s_delay_alu instid0(VALU_DEP_1) | instskip(NEXT) | instid1(VALU_DEP_1)
	v_cmp_ne_u32_e64 s0, 0x7f800000, v94
                                        ; implicit-def: $vgpr94
	s_and_saveexec_b32 s10, s0
	s_delay_alu instid0(SALU_CYCLE_1)
	s_xor_b32 s0, exec_lo, s10
; %bb.282:                              ;   in Loop: Header=BB180_38 Depth=1
	v_bfe_u32 v94, v1, 16, 1
	s_delay_alu instid0(VALU_DEP_1)
	v_add3_u32 v94, v1, v94, 0x7fff
                                        ; implicit-def: $vgpr1
; %bb.283:                              ;   in Loop: Header=BB180_38 Depth=1
	s_and_not1_saveexec_b32 s10, s0
; %bb.284:                              ;   in Loop: Header=BB180_38 Depth=1
	v_and_b32_e32 v94, 0xffff, v1
	v_or_b32_e32 v95, 0x10000, v1
	s_delay_alu instid0(VALU_DEP_2) | instskip(NEXT) | instid1(VALU_DEP_1)
	v_cmp_eq_u32_e64 s0, 0, v94
	v_cndmask_b32_e64 v94, v95, v1, s0
; %bb.285:                              ;   in Loop: Header=BB180_38 Depth=1
	s_or_b32 exec_lo, exec_lo, s10
	v_lshlrev_b32_e32 v1, 16, v2
                                        ; implicit-def: $vgpr95
	s_delay_alu instid0(VALU_DEP_1) | instskip(NEXT) | instid1(VALU_DEP_1)
	v_mul_f32_e32 v1, v49, v1
	v_and_b32_e32 v2, 0x7f800000, v1
	s_delay_alu instid0(VALU_DEP_1) | instskip(NEXT) | instid1(VALU_DEP_1)
	v_cmp_ne_u32_e64 s0, 0x7f800000, v2
	s_and_saveexec_b32 s10, s0
	s_delay_alu instid0(SALU_CYCLE_1)
	s_xor_b32 s0, exec_lo, s10
; %bb.286:                              ;   in Loop: Header=BB180_38 Depth=1
	v_bfe_u32 v2, v1, 16, 1
	s_delay_alu instid0(VALU_DEP_1)
	v_add3_u32 v95, v1, v2, 0x7fff
                                        ; implicit-def: $vgpr1
; %bb.287:                              ;   in Loop: Header=BB180_38 Depth=1
	s_and_not1_saveexec_b32 s10, s0
; %bb.288:                              ;   in Loop: Header=BB180_38 Depth=1
	v_and_b32_e32 v2, 0xffff, v1
	v_or_b32_e32 v95, 0x10000, v1
	s_delay_alu instid0(VALU_DEP_2) | instskip(NEXT) | instid1(VALU_DEP_1)
	v_cmp_eq_u32_e64 s0, 0, v2
	v_cndmask_b32_e64 v95, v95, v1, s0
; %bb.289:                              ;   in Loop: Header=BB180_38 Depth=1
	s_or_b32 exec_lo, exec_lo, s10
	v_lshlrev_b32_e32 v1, 16, v96
                                        ; implicit-def: $vgpr96
	s_delay_alu instid0(VALU_DEP_1) | instskip(NEXT) | instid1(VALU_DEP_1)
	v_mul_f32_e32 v1, v50, v1
	v_and_b32_e32 v2, 0x7f800000, v1
	s_delay_alu instid0(VALU_DEP_1) | instskip(NEXT) | instid1(VALU_DEP_1)
	v_cmp_ne_u32_e64 s0, 0x7f800000, v2
	s_and_saveexec_b32 s10, s0
	s_delay_alu instid0(SALU_CYCLE_1)
	s_xor_b32 s0, exec_lo, s10
; %bb.290:                              ;   in Loop: Header=BB180_38 Depth=1
	v_bfe_u32 v2, v1, 16, 1
	s_delay_alu instid0(VALU_DEP_1)
	v_add3_u32 v96, v1, v2, 0x7fff
                                        ; implicit-def: $vgpr1
; %bb.291:                              ;   in Loop: Header=BB180_38 Depth=1
	s_and_not1_saveexec_b32 s10, s0
; %bb.292:                              ;   in Loop: Header=BB180_38 Depth=1
	v_and_b32_e32 v2, 0xffff, v1
	v_or_b32_e32 v96, 0x10000, v1
	s_delay_alu instid0(VALU_DEP_2) | instskip(NEXT) | instid1(VALU_DEP_1)
	v_cmp_eq_u32_e64 s0, 0, v2
	v_cndmask_b32_e64 v96, v96, v1, s0
; %bb.293:                              ;   in Loop: Header=BB180_38 Depth=1
	s_or_b32 exec_lo, exec_lo, s10
	v_lshlrev_b32_e32 v1, 16, v3
                                        ; implicit-def: $vgpr97
	s_delay_alu instid0(VALU_DEP_1) | instskip(NEXT) | instid1(VALU_DEP_1)
	v_mul_f32_e32 v1, v51, v1
	v_and_b32_e32 v2, 0x7f800000, v1
	s_delay_alu instid0(VALU_DEP_1) | instskip(NEXT) | instid1(VALU_DEP_1)
	v_cmp_ne_u32_e64 s0, 0x7f800000, v2
	s_and_saveexec_b32 s10, s0
	s_delay_alu instid0(SALU_CYCLE_1)
	s_xor_b32 s0, exec_lo, s10
; %bb.294:                              ;   in Loop: Header=BB180_38 Depth=1
	v_bfe_u32 v2, v1, 16, 1
	s_delay_alu instid0(VALU_DEP_1)
	v_add3_u32 v97, v1, v2, 0x7fff
                                        ; implicit-def: $vgpr1
; %bb.295:                              ;   in Loop: Header=BB180_38 Depth=1
	s_and_not1_saveexec_b32 s10, s0
; %bb.296:                              ;   in Loop: Header=BB180_38 Depth=1
	v_and_b32_e32 v2, 0xffff, v1
	v_or_b32_e32 v3, 0x10000, v1
	s_delay_alu instid0(VALU_DEP_2) | instskip(NEXT) | instid1(VALU_DEP_1)
	v_cmp_eq_u32_e64 s0, 0, v2
	v_cndmask_b32_e64 v97, v3, v1, s0
; %bb.297:                              ;   in Loop: Header=BB180_38 Depth=1
	s_or_b32 exec_lo, exec_lo, s10
	v_lshlrev_b32_e32 v1, 16, v98
                                        ; implicit-def: $vgpr98
	s_delay_alu instid0(VALU_DEP_1) | instskip(NEXT) | instid1(VALU_DEP_1)
	v_mul_f32_e32 v1, v52, v1
	v_and_b32_e32 v2, 0x7f800000, v1
	s_delay_alu instid0(VALU_DEP_1) | instskip(NEXT) | instid1(VALU_DEP_1)
	v_cmp_ne_u32_e64 s0, 0x7f800000, v2
	s_and_saveexec_b32 s10, s0
	s_delay_alu instid0(SALU_CYCLE_1)
	s_xor_b32 s0, exec_lo, s10
; %bb.298:                              ;   in Loop: Header=BB180_38 Depth=1
	v_bfe_u32 v2, v1, 16, 1
	s_delay_alu instid0(VALU_DEP_1)
	v_add3_u32 v98, v1, v2, 0x7fff
                                        ; implicit-def: $vgpr1
; %bb.299:                              ;   in Loop: Header=BB180_38 Depth=1
	s_and_not1_saveexec_b32 s10, s0
; %bb.300:                              ;   in Loop: Header=BB180_38 Depth=1
	v_and_b32_e32 v2, 0xffff, v1
	v_or_b32_e32 v3, 0x10000, v1
	s_delay_alu instid0(VALU_DEP_2) | instskip(NEXT) | instid1(VALU_DEP_1)
	v_cmp_eq_u32_e64 s0, 0, v2
	v_cndmask_b32_e64 v98, v3, v1, s0
; %bb.301:                              ;   in Loop: Header=BB180_38 Depth=1
	s_or_b32 exec_lo, exec_lo, s10
	v_lshlrev_b32_e32 v1, 16, v4
                                        ; implicit-def: $vgpr99
	s_delay_alu instid0(VALU_DEP_1) | instskip(NEXT) | instid1(VALU_DEP_1)
	v_mul_f32_e32 v1, v53, v1
	v_and_b32_e32 v2, 0x7f800000, v1
	s_delay_alu instid0(VALU_DEP_1) | instskip(NEXT) | instid1(VALU_DEP_1)
	v_cmp_ne_u32_e64 s0, 0x7f800000, v2
	s_and_saveexec_b32 s10, s0
	s_delay_alu instid0(SALU_CYCLE_1)
	s_xor_b32 s0, exec_lo, s10
; %bb.302:                              ;   in Loop: Header=BB180_38 Depth=1
	v_bfe_u32 v2, v1, 16, 1
	s_delay_alu instid0(VALU_DEP_1)
	v_add3_u32 v99, v1, v2, 0x7fff
                                        ; implicit-def: $vgpr1
; %bb.303:                              ;   in Loop: Header=BB180_38 Depth=1
	s_and_not1_saveexec_b32 s10, s0
; %bb.304:                              ;   in Loop: Header=BB180_38 Depth=1
	v_and_b32_e32 v2, 0xffff, v1
	v_or_b32_e32 v3, 0x10000, v1
	s_delay_alu instid0(VALU_DEP_2) | instskip(NEXT) | instid1(VALU_DEP_1)
	v_cmp_eq_u32_e64 s0, 0, v2
	v_cndmask_b32_e64 v99, v3, v1, s0
; %bb.305:                              ;   in Loop: Header=BB180_38 Depth=1
	s_or_b32 exec_lo, exec_lo, s10
	v_lshlrev_b32_e32 v1, 16, v100
                                        ; implicit-def: $vgpr100
	s_delay_alu instid0(VALU_DEP_1) | instskip(NEXT) | instid1(VALU_DEP_1)
	v_mul_f32_e32 v1, v54, v1
	v_and_b32_e32 v2, 0x7f800000, v1
	s_delay_alu instid0(VALU_DEP_1) | instskip(NEXT) | instid1(VALU_DEP_1)
	v_cmp_ne_u32_e64 s0, 0x7f800000, v2
	s_and_saveexec_b32 s10, s0
	s_delay_alu instid0(SALU_CYCLE_1)
	s_xor_b32 s0, exec_lo, s10
; %bb.306:                              ;   in Loop: Header=BB180_38 Depth=1
	v_bfe_u32 v2, v1, 16, 1
	s_delay_alu instid0(VALU_DEP_1)
	v_add3_u32 v100, v1, v2, 0x7fff
                                        ; implicit-def: $vgpr1
; %bb.307:                              ;   in Loop: Header=BB180_38 Depth=1
	s_and_not1_saveexec_b32 s10, s0
; %bb.308:                              ;   in Loop: Header=BB180_38 Depth=1
	v_and_b32_e32 v2, 0xffff, v1
	v_or_b32_e32 v3, 0x10000, v1
	s_delay_alu instid0(VALU_DEP_2) | instskip(NEXT) | instid1(VALU_DEP_1)
	v_cmp_eq_u32_e64 s0, 0, v2
	v_cndmask_b32_e64 v100, v3, v1, s0
; %bb.309:                              ;   in Loop: Header=BB180_38 Depth=1
	s_or_b32 exec_lo, exec_lo, s10
	global_load_b128 v[1:4], v[5:6], off offset:3584
	s_waitcnt vmcnt(0)
	v_lshrrev_b32_e32 v5, 16, v1
	v_lshrrev_b32_e32 v6, 16, v2
	;; [unrolled: 1-line block ×4, first 2 shown]
	s_and_saveexec_b32 s0, vcc_lo
	s_cbranch_execz .LBB180_311
; %bb.310:                              ;   in Loop: Header=BB180_38 Depth=1
	v_cmp_gt_i32_e32 vcc_lo, s33, v37
	v_cndmask_b32_e32 v1, 0, v1, vcc_lo
	v_cmp_gt_i32_e32 vcc_lo, s33, v45
	v_cndmask_b32_e32 v5, 0, v5, vcc_lo
	;; [unrolled: 2-line block ×8, first 2 shown]
.LBB180_311:                            ;   in Loop: Header=BB180_38 Depth=1
	s_or_b32 exec_lo, exec_lo, s0
	v_lshlrev_b32_e32 v1, 16, v1
	s_delay_alu instid0(VALU_DEP_1) | instskip(NEXT) | instid1(VALU_DEP_1)
	v_mul_f32_e32 v37, v46, v1
	v_and_b32_e32 v1, 0x7f800000, v37
	s_delay_alu instid0(VALU_DEP_1) | instskip(SKIP_1) | instid1(SALU_CYCLE_1)
	v_cmp_ne_u32_e32 vcc_lo, 0x7f800000, v1
                                        ; implicit-def: $vgpr1
	s_and_saveexec_b32 s0, vcc_lo
	s_xor_b32 s0, exec_lo, s0
; %bb.312:                              ;   in Loop: Header=BB180_38 Depth=1
	v_bfe_u32 v1, v37, 16, 1
	s_delay_alu instid0(VALU_DEP_1)
	v_add3_u32 v1, v37, v1, 0x7fff
                                        ; implicit-def: $vgpr37
; %bb.313:                              ;   in Loop: Header=BB180_38 Depth=1
	s_and_not1_saveexec_b32 s0, s0
; %bb.314:                              ;   in Loop: Header=BB180_38 Depth=1
	v_and_b32_e32 v1, 0xffff, v37
	v_or_b32_e32 v39, 0x10000, v37
	s_delay_alu instid0(VALU_DEP_2) | instskip(NEXT) | instid1(VALU_DEP_2)
	v_cmp_eq_u32_e32 vcc_lo, 0, v1
	v_cndmask_b32_e32 v1, v39, v37, vcc_lo
; %bb.315:                              ;   in Loop: Header=BB180_38 Depth=1
	s_or_b32 exec_lo, exec_lo, s0
	v_lshlrev_b32_e32 v5, 16, v5
	s_delay_alu instid0(VALU_DEP_1) | instskip(NEXT) | instid1(VALU_DEP_1)
	v_mul_f32_e32 v37, v48, v5
	v_and_b32_e32 v5, 0x7f800000, v37
	s_delay_alu instid0(VALU_DEP_1) | instskip(SKIP_1) | instid1(SALU_CYCLE_1)
	v_cmp_ne_u32_e32 vcc_lo, 0x7f800000, v5
                                        ; implicit-def: $vgpr5
	s_and_saveexec_b32 s0, vcc_lo
	s_xor_b32 s0, exec_lo, s0
; %bb.316:                              ;   in Loop: Header=BB180_38 Depth=1
	v_bfe_u32 v5, v37, 16, 1
	s_delay_alu instid0(VALU_DEP_1)
	v_add3_u32 v5, v37, v5, 0x7fff
                                        ; implicit-def: $vgpr37
; %bb.317:                              ;   in Loop: Header=BB180_38 Depth=1
	s_and_not1_saveexec_b32 s0, s0
; %bb.318:                              ;   in Loop: Header=BB180_38 Depth=1
	v_and_b32_e32 v5, 0xffff, v37
	v_or_b32_e32 v39, 0x10000, v37
	s_delay_alu instid0(VALU_DEP_2) | instskip(NEXT) | instid1(VALU_DEP_2)
	v_cmp_eq_u32_e32 vcc_lo, 0, v5
	v_cndmask_b32_e32 v5, v39, v37, vcc_lo
; %bb.319:                              ;   in Loop: Header=BB180_38 Depth=1
	s_or_b32 exec_lo, exec_lo, s0
	v_lshlrev_b32_e32 v2, 16, v2
	s_delay_alu instid0(VALU_DEP_1) | instskip(NEXT) | instid1(VALU_DEP_1)
	v_mul_f32_e32 v37, v49, v2
	v_and_b32_e32 v2, 0x7f800000, v37
	s_delay_alu instid0(VALU_DEP_1) | instskip(SKIP_1) | instid1(SALU_CYCLE_1)
	v_cmp_ne_u32_e32 vcc_lo, 0x7f800000, v2
                                        ; implicit-def: $vgpr2
	s_and_saveexec_b32 s0, vcc_lo
	s_xor_b32 s0, exec_lo, s0
; %bb.320:                              ;   in Loop: Header=BB180_38 Depth=1
	v_bfe_u32 v2, v37, 16, 1
	s_delay_alu instid0(VALU_DEP_1)
	v_add3_u32 v2, v37, v2, 0x7fff
                                        ; implicit-def: $vgpr37
; %bb.321:                              ;   in Loop: Header=BB180_38 Depth=1
	s_and_not1_saveexec_b32 s0, s0
; %bb.322:                              ;   in Loop: Header=BB180_38 Depth=1
	v_and_b32_e32 v2, 0xffff, v37
	v_or_b32_e32 v39, 0x10000, v37
	s_delay_alu instid0(VALU_DEP_2) | instskip(NEXT) | instid1(VALU_DEP_2)
	v_cmp_eq_u32_e32 vcc_lo, 0, v2
	v_cndmask_b32_e32 v2, v39, v37, vcc_lo
; %bb.323:                              ;   in Loop: Header=BB180_38 Depth=1
	s_or_b32 exec_lo, exec_lo, s0
	v_lshlrev_b32_e32 v6, 16, v6
	s_delay_alu instid0(VALU_DEP_1) | instskip(NEXT) | instid1(VALU_DEP_1)
	v_mul_f32_e32 v37, v50, v6
	v_and_b32_e32 v6, 0x7f800000, v37
	s_delay_alu instid0(VALU_DEP_1) | instskip(SKIP_1) | instid1(SALU_CYCLE_1)
	v_cmp_ne_u32_e32 vcc_lo, 0x7f800000, v6
                                        ; implicit-def: $vgpr6
	s_and_saveexec_b32 s0, vcc_lo
	s_xor_b32 s0, exec_lo, s0
; %bb.324:                              ;   in Loop: Header=BB180_38 Depth=1
	v_bfe_u32 v6, v37, 16, 1
	s_delay_alu instid0(VALU_DEP_1)
	v_add3_u32 v6, v37, v6, 0x7fff
                                        ; implicit-def: $vgpr37
; %bb.325:                              ;   in Loop: Header=BB180_38 Depth=1
	s_and_not1_saveexec_b32 s0, s0
; %bb.326:                              ;   in Loop: Header=BB180_38 Depth=1
	v_and_b32_e32 v6, 0xffff, v37
	v_or_b32_e32 v39, 0x10000, v37
	s_delay_alu instid0(VALU_DEP_2) | instskip(NEXT) | instid1(VALU_DEP_2)
	v_cmp_eq_u32_e32 vcc_lo, 0, v6
	v_cndmask_b32_e32 v6, v39, v37, vcc_lo
; %bb.327:                              ;   in Loop: Header=BB180_38 Depth=1
	s_or_b32 exec_lo, exec_lo, s0
	v_lshlrev_b32_e32 v3, 16, v3
	s_delay_alu instid0(VALU_DEP_1) | instskip(NEXT) | instid1(VALU_DEP_1)
	v_mul_f32_e32 v37, v51, v3
	v_and_b32_e32 v3, 0x7f800000, v37
	s_delay_alu instid0(VALU_DEP_1) | instskip(SKIP_1) | instid1(SALU_CYCLE_1)
	v_cmp_ne_u32_e32 vcc_lo, 0x7f800000, v3
                                        ; implicit-def: $vgpr3
	s_and_saveexec_b32 s0, vcc_lo
	s_xor_b32 s0, exec_lo, s0
; %bb.328:                              ;   in Loop: Header=BB180_38 Depth=1
	v_bfe_u32 v3, v37, 16, 1
	s_delay_alu instid0(VALU_DEP_1)
	v_add3_u32 v3, v37, v3, 0x7fff
                                        ; implicit-def: $vgpr37
; %bb.329:                              ;   in Loop: Header=BB180_38 Depth=1
	s_and_not1_saveexec_b32 s0, s0
; %bb.330:                              ;   in Loop: Header=BB180_38 Depth=1
	v_and_b32_e32 v3, 0xffff, v37
	v_or_b32_e32 v39, 0x10000, v37
	s_delay_alu instid0(VALU_DEP_2) | instskip(NEXT) | instid1(VALU_DEP_2)
	v_cmp_eq_u32_e32 vcc_lo, 0, v3
	v_cndmask_b32_e32 v3, v39, v37, vcc_lo
; %bb.331:                              ;   in Loop: Header=BB180_38 Depth=1
	s_or_b32 exec_lo, exec_lo, s0
	v_lshlrev_b32_e32 v37, 16, v102
	s_delay_alu instid0(VALU_DEP_1) | instskip(NEXT) | instid1(VALU_DEP_1)
	v_mul_f32_e32 v39, v52, v37
	v_and_b32_e32 v37, 0x7f800000, v39
	s_delay_alu instid0(VALU_DEP_1) | instskip(SKIP_1) | instid1(SALU_CYCLE_1)
	v_cmp_ne_u32_e32 vcc_lo, 0x7f800000, v37
                                        ; implicit-def: $vgpr37
	s_and_saveexec_b32 s0, vcc_lo
	s_xor_b32 s0, exec_lo, s0
; %bb.332:                              ;   in Loop: Header=BB180_38 Depth=1
	v_bfe_u32 v37, v39, 16, 1
	s_delay_alu instid0(VALU_DEP_1)
	v_add3_u32 v37, v39, v37, 0x7fff
                                        ; implicit-def: $vgpr39
; %bb.333:                              ;   in Loop: Header=BB180_38 Depth=1
	s_and_not1_saveexec_b32 s0, s0
; %bb.334:                              ;   in Loop: Header=BB180_38 Depth=1
	v_and_b32_e32 v37, 0xffff, v39
	v_or_b32_e32 v40, 0x10000, v39
	s_delay_alu instid0(VALU_DEP_2) | instskip(NEXT) | instid1(VALU_DEP_2)
	v_cmp_eq_u32_e32 vcc_lo, 0, v37
	v_cndmask_b32_e32 v37, v40, v39, vcc_lo
; %bb.335:                              ;   in Loop: Header=BB180_38 Depth=1
	s_or_b32 exec_lo, exec_lo, s0
	v_lshlrev_b32_e32 v4, 16, v4
	s_delay_alu instid0(VALU_DEP_1) | instskip(NEXT) | instid1(VALU_DEP_1)
	v_mul_f32_e32 v39, v53, v4
	v_and_b32_e32 v4, 0x7f800000, v39
	s_delay_alu instid0(VALU_DEP_1) | instskip(SKIP_1) | instid1(SALU_CYCLE_1)
	v_cmp_ne_u32_e32 vcc_lo, 0x7f800000, v4
                                        ; implicit-def: $vgpr4
	s_and_saveexec_b32 s0, vcc_lo
	s_xor_b32 s0, exec_lo, s0
; %bb.336:                              ;   in Loop: Header=BB180_38 Depth=1
	v_bfe_u32 v4, v39, 16, 1
	s_delay_alu instid0(VALU_DEP_1)
	v_add3_u32 v4, v39, v4, 0x7fff
                                        ; implicit-def: $vgpr39
; %bb.337:                              ;   in Loop: Header=BB180_38 Depth=1
	s_and_not1_saveexec_b32 s0, s0
; %bb.338:                              ;   in Loop: Header=BB180_38 Depth=1
	v_and_b32_e32 v4, 0xffff, v39
	v_or_b32_e32 v40, 0x10000, v39
	s_delay_alu instid0(VALU_DEP_2) | instskip(NEXT) | instid1(VALU_DEP_2)
	v_cmp_eq_u32_e32 vcc_lo, 0, v4
	v_cndmask_b32_e32 v4, v40, v39, vcc_lo
; %bb.339:                              ;   in Loop: Header=BB180_38 Depth=1
	s_or_b32 exec_lo, exec_lo, s0
	v_lshlrev_b32_e32 v39, 16, v101
	s_delay_alu instid0(VALU_DEP_1) | instskip(NEXT) | instid1(VALU_DEP_1)
	v_mul_f32_e32 v40, v54, v39
	v_and_b32_e32 v39, 0x7f800000, v40
	s_delay_alu instid0(VALU_DEP_1) | instskip(SKIP_1) | instid1(SALU_CYCLE_1)
	v_cmp_ne_u32_e32 vcc_lo, 0x7f800000, v39
                                        ; implicit-def: $vgpr39
	s_and_saveexec_b32 s0, vcc_lo
	s_xor_b32 s0, exec_lo, s0
; %bb.340:                              ;   in Loop: Header=BB180_38 Depth=1
	v_bfe_u32 v39, v40, 16, 1
	s_delay_alu instid0(VALU_DEP_1)
	v_add3_u32 v39, v40, v39, 0x7fff
                                        ; implicit-def: $vgpr40
; %bb.341:                              ;   in Loop: Header=BB180_38 Depth=1
	s_and_not1_saveexec_b32 s0, s0
	s_cbranch_execz .LBB180_36
; %bb.342:                              ;   in Loop: Header=BB180_38 Depth=1
	v_and_b32_e32 v39, 0xffff, v40
	v_or_b32_e32 v41, 0x10000, v40
	s_delay_alu instid0(VALU_DEP_2) | instskip(NEXT) | instid1(VALU_DEP_2)
	v_cmp_eq_u32_e32 vcc_lo, 0, v39
	v_cndmask_b32_e32 v39, v41, v40, vcc_lo
	s_branch .LBB180_36
.LBB180_343:
	s_or_b32 exec_lo, exec_lo, s3
.LBB180_344:
	s_delay_alu instid0(SALU_CYCLE_1)
	s_or_b32 exec_lo, exec_lo, s1
	ds_bpermute_b32 v1, v16, v18
	ds_bpermute_b32 v2, v16, v24
	;; [unrolled: 1-line block ×8, first 2 shown]
	v_lshrrev_b32_e32 v9, 2, v13
	v_lshl_add_u32 v10, v12, 8, 0xa0
	s_mov_b32 s0, exec_lo
	s_waitcnt lgkmcnt(0)
	s_waitcnt_vscnt null, 0x0
	s_barrier
	buffer_gl0_inv
	v_dual_add_f32 v1, v18, v1 :: v_dual_add_f32 v2, v24, v2
	v_dual_add_f32 v3, v23, v3 :: v_dual_add_f32 v4, v22, v4
	v_dual_add_f32 v11, v20, v5 :: v_dual_add_f32 v14, v21, v6
	v_dual_add_f32 v7, v19, v7 :: v_dual_add_f32 v16, v25, v8
	ds_bpermute_b32 v5, v15, v1
	ds_bpermute_b32 v6, v15, v2
	;; [unrolled: 1-line block ×8, first 2 shown]
	v_and_b32_e32 v12, 0x3c3, v0
	s_waitcnt lgkmcnt(7)
	v_add_f32_e32 v8, v1, v5
	s_waitcnt lgkmcnt(6)
	v_add_f32_e32 v6, v2, v6
	s_waitcnt lgkmcnt(4)
	v_dual_add_f32 v5, v3, v18 :: v_dual_add_f32 v4, v4, v19
	s_waitcnt lgkmcnt(2)
	v_dual_add_f32 v3, v11, v20 :: v_dual_add_f32 v2, v14, v21
	s_waitcnt lgkmcnt(1)
	v_add_f32_e32 v1, v7, v22
	s_waitcnt lgkmcnt(0)
	v_add_f32_e32 v7, v16, v15
	v_cmpx_eq_u32_e32 64, v12
	s_cbranch_execz .LBB180_346
; %bb.345:
	v_lshlrev_b32_e32 v11, 2, v9
	s_delay_alu instid0(VALU_DEP_1)
	v_add3_u32 v11, v10, v11, 0xfffffe00
	ds_store_2addr_b32 v11, v8, v6 offset1:8
	ds_store_2addr_b32 v11, v5, v4 offset0:16 offset1:24
	ds_store_2addr_b32 v11, v3, v2 offset0:32 offset1:40
	;; [unrolled: 1-line block ×3, first 2 shown]
.LBB180_346:
	s_or_b32 exec_lo, exec_lo, s0
	v_cmp_eq_u32_e32 vcc_lo, 0, v17
	s_mov_b32 s1, exec_lo
	s_waitcnt lgkmcnt(0)
	s_barrier
	buffer_gl0_inv
	v_cmpx_gt_u32_e32 64, v0
	s_cbranch_execz .LBB180_357
; %bb.347:
	s_and_saveexec_b32 s0, vcc_lo
	s_cbranch_execnz .LBB180_406
; %bb.348:
	s_or_b32 exec_lo, exec_lo, s0
	s_and_saveexec_b32 s0, vcc_lo
	s_cbranch_execnz .LBB180_407
.LBB180_349:
	s_or_b32 exec_lo, exec_lo, s0
	s_and_saveexec_b32 s0, vcc_lo
	s_cbranch_execnz .LBB180_408
.LBB180_350:
	s_or_b32 exec_lo, exec_lo, s0
	s_and_saveexec_b32 s0, vcc_lo
	s_cbranch_execnz .LBB180_409
.LBB180_351:
	s_or_b32 exec_lo, exec_lo, s0
	s_and_saveexec_b32 s0, vcc_lo
	s_cbranch_execnz .LBB180_410
.LBB180_352:
	s_or_b32 exec_lo, exec_lo, s0
	s_and_saveexec_b32 s0, vcc_lo
	s_cbranch_execnz .LBB180_411
.LBB180_353:
	s_or_b32 exec_lo, exec_lo, s0
	s_and_saveexec_b32 s0, vcc_lo
	s_cbranch_execnz .LBB180_412
.LBB180_354:
	s_or_b32 exec_lo, exec_lo, s0
	s_and_saveexec_b32 s0, vcc_lo
	s_cbranch_execz .LBB180_356
.LBB180_355:
	v_lshl_add_u32 v11, v9, 2, v10
	ds_load_b32 v11, v11 offset:224
	s_waitcnt lgkmcnt(0)
	v_add_f32_e32 v7, v7, v11
.LBB180_356:
	s_or_b32 exec_lo, exec_lo, s0
.LBB180_357:
	s_delay_alu instid0(SALU_CYCLE_1)
	s_or_b32 exec_lo, exec_lo, s1
	v_and_b32_e32 v11, 0x3e3, v0
	s_mov_b32 s1, exec_lo
	s_barrier
	buffer_gl0_inv
	v_cmpx_eq_u32_e32 32, v11
	s_cbranch_execz .LBB180_359
; %bb.358:
	v_lshl_add_u32 v11, v9, 2, 0xa0
	ds_store_2addr_b32 v11, v8, v6 offset1:8
	ds_store_2addr_b32 v11, v5, v4 offset0:16 offset1:24
	ds_store_2addr_b32 v11, v3, v2 offset0:32 offset1:40
	;; [unrolled: 1-line block ×3, first 2 shown]
.LBB180_359:
	s_or_b32 exec_lo, exec_lo, s1
	v_cmp_gt_u32_e64 s0, 32, v0
	s_waitcnt lgkmcnt(0)
	s_barrier
	buffer_gl0_inv
	s_and_saveexec_b32 s1, s0
	s_cbranch_execz .LBB180_370
; %bb.360:
	v_lshl_add_u32 v9, v9, 2, v10
	s_and_saveexec_b32 s2, vcc_lo
	s_cbranch_execnz .LBB180_413
; %bb.361:
	s_or_b32 exec_lo, exec_lo, s2
	s_and_saveexec_b32 s2, vcc_lo
	s_cbranch_execnz .LBB180_414
.LBB180_362:
	s_or_b32 exec_lo, exec_lo, s2
	s_and_saveexec_b32 s2, vcc_lo
	s_cbranch_execnz .LBB180_415
.LBB180_363:
	s_or_b32 exec_lo, exec_lo, s2
	s_and_saveexec_b32 s2, vcc_lo
	s_cbranch_execnz .LBB180_416
.LBB180_364:
	s_or_b32 exec_lo, exec_lo, s2
	s_and_saveexec_b32 s2, vcc_lo
	s_cbranch_execnz .LBB180_417
.LBB180_365:
	s_or_b32 exec_lo, exec_lo, s2
	s_and_saveexec_b32 s2, vcc_lo
	s_cbranch_execnz .LBB180_418
.LBB180_366:
	s_or_b32 exec_lo, exec_lo, s2
	s_and_saveexec_b32 s2, vcc_lo
	s_cbranch_execnz .LBB180_419
.LBB180_367:
	s_or_b32 exec_lo, exec_lo, s2
	s_and_saveexec_b32 s2, vcc_lo
	s_cbranch_execz .LBB180_369
.LBB180_368:
	ds_load_b32 v9, v9 offset:224
	s_waitcnt lgkmcnt(0)
	v_add_f32_e32 v7, v7, v9
.LBB180_369:
	s_or_b32 exec_lo, exec_lo, s2
.LBB180_370:
	s_delay_alu instid0(SALU_CYCLE_1)
	s_or_b32 exec_lo, exec_lo, s1
	s_barrier
	buffer_gl0_inv
	s_and_saveexec_b32 s1, s0
	s_cbranch_execz .LBB180_405
; %bb.371:
	s_and_b32 exec_lo, exec_lo, vcc_lo
	s_cbranch_execz .LBB180_405
; %bb.372:
	v_and_b32_e32 v9, 0x7f800000, v8
	s_mov_b32 s0, exec_lo
                                        ; implicit-def: $vgpr10
	s_delay_alu instid0(VALU_DEP_1)
	v_cmpx_ne_u32_e32 0x7f800000, v9
	s_xor_b32 s0, exec_lo, s0
; %bb.373:
	v_bfe_u32 v9, v8, 16, 1
	s_delay_alu instid0(VALU_DEP_1)
	v_add3_u32 v10, v8, v9, 0x7fff
; %bb.374:
	s_and_not1_saveexec_b32 s0, s0
; %bb.375:
	v_and_b32_e32 v9, 0xffff, v8
	v_or_b32_e32 v10, 0x10000, v8
	s_delay_alu instid0(VALU_DEP_2) | instskip(NEXT) | instid1(VALU_DEP_2)
	v_cmp_eq_u32_e32 vcc_lo, 0, v9
	v_cndmask_b32_e32 v10, v10, v8, vcc_lo
; %bb.376:
	s_or_b32 exec_lo, exec_lo, s0
	s_mul_i32 s0, s4, s14
	s_mul_i32 s2, s4, s20
	;; [unrolled: 1-line block ×3, first 2 shown]
	v_lshrrev_b32_e32 v0, 1, v0
	s_lshl_b32 s0, s0, 6
	v_and_b32_e32 v11, 0x7f800000, v6
	s_ashr_i32 s1, s0, 31
	s_delay_alu instid0(VALU_DEP_2) | instskip(SKIP_1) | instid1(SALU_CYCLE_1)
	v_and_b32_e32 v0, 0x1fe, v0
	s_lshl_b64 s[0:1], s[0:1], 1
	s_add_u32 s4, s22, s0
	s_addc_u32 s5, s23, s1
	s_ashr_i32 s3, s2, 31
	s_delay_alu instid0(SALU_CYCLE_1) | instskip(NEXT) | instid1(SALU_CYCLE_1)
	s_lshl_b64 s[0:1], s[2:3], 1
	s_add_u32 s2, s4, s0
	s_addc_u32 s3, s5, s1
	s_lshl_b32 s0, s12, 6
	s_delay_alu instid0(SALU_CYCLE_1) | instskip(NEXT) | instid1(SALU_CYCLE_1)
	s_ashr_i32 s1, s0, 31
	s_lshl_b64 s[0:1], s[0:1], 1
	s_delay_alu instid0(SALU_CYCLE_1) | instskip(SKIP_2) | instid1(VALU_DEP_1)
	s_add_u32 s0, s2, s0
	s_addc_u32 s1, s3, s1
	v_add_co_u32 v8, s2, s0, v0
	v_add_co_ci_u32_e64 v9, null, s1, 0, s2
	global_store_d16_hi_b16 v0, v10, s[0:1]
	s_mov_b32 s0, exec_lo
                                        ; implicit-def: $vgpr0
	v_cmpx_ne_u32_e32 0x7f800000, v11
	s_xor_b32 s0, exec_lo, s0
; %bb.377:
	v_bfe_u32 v0, v6, 16, 1
	s_delay_alu instid0(VALU_DEP_1)
	v_add3_u32 v0, v6, v0, 0x7fff
; %bb.378:
	s_and_not1_saveexec_b32 s0, s0
; %bb.379:
	v_and_b32_e32 v0, 0xffff, v6
	v_or_b32_e32 v10, 0x10000, v6
	s_delay_alu instid0(VALU_DEP_2) | instskip(NEXT) | instid1(VALU_DEP_2)
	v_cmp_eq_u32_e32 vcc_lo, 0, v0
	v_cndmask_b32_e32 v0, v10, v6, vcc_lo
; %bb.380:
	s_or_b32 exec_lo, exec_lo, s0
	v_and_b32_e32 v6, 0x7f800000, v5
	s_mov_b32 s0, exec_lo
	global_store_d16_hi_b16 v[8:9], v0, off offset:16
                                        ; implicit-def: $vgpr0
	v_cmpx_ne_u32_e32 0x7f800000, v6
	s_xor_b32 s0, exec_lo, s0
; %bb.381:
	v_bfe_u32 v0, v5, 16, 1
	s_delay_alu instid0(VALU_DEP_1)
	v_add3_u32 v0, v5, v0, 0x7fff
; %bb.382:
	s_and_not1_saveexec_b32 s0, s0
; %bb.383:
	v_and_b32_e32 v0, 0xffff, v5
	v_or_b32_e32 v6, 0x10000, v5
	s_delay_alu instid0(VALU_DEP_2) | instskip(NEXT) | instid1(VALU_DEP_2)
	v_cmp_eq_u32_e32 vcc_lo, 0, v0
	v_cndmask_b32_e32 v0, v6, v5, vcc_lo
; %bb.384:
	s_or_b32 exec_lo, exec_lo, s0
	v_and_b32_e32 v5, 0x7f800000, v4
	s_mov_b32 s0, exec_lo
	global_store_d16_hi_b16 v[8:9], v0, off offset:32
	;; [unrolled: 20-line block ×6, first 2 shown]
                                        ; implicit-def: $vgpr10
	v_cmpx_ne_u32_e32 0x7f800000, v1
	s_xor_b32 s0, exec_lo, s0
; %bb.401:
	v_bfe_u32 v0, v7, 16, 1
	s_delay_alu instid0(VALU_DEP_1)
	v_add3_u32 v10, v7, v0, 0x7fff
                                        ; implicit-def: $vgpr0_vgpr1_vgpr2_vgpr3_vgpr4_vgpr5_vgpr6_vgpr7
; %bb.402:
	s_and_not1_saveexec_b32 s0, s0
; %bb.403:
	v_and_b32_e32 v0, 0xffff, v7
	v_or_b32_e32 v1, 0x10000, v7
	s_delay_alu instid0(VALU_DEP_2) | instskip(NEXT) | instid1(VALU_DEP_2)
	v_cmp_eq_u32_e32 vcc_lo, 0, v0
	v_cndmask_b32_e32 v10, v1, v7, vcc_lo
; %bb.404:
	s_or_b32 exec_lo, exec_lo, s0
	global_store_d16_hi_b16 v[8:9], v10, off offset:112
.LBB180_405:
	s_nop 0
	s_sendmsg sendmsg(MSG_DEALLOC_VGPRS)
	s_endpgm
.LBB180_406:
	v_lshl_add_u32 v11, v9, 2, v10
	ds_load_b32 v11, v11
	s_waitcnt lgkmcnt(0)
	v_add_f32_e32 v8, v8, v11
	s_or_b32 exec_lo, exec_lo, s0
	s_and_saveexec_b32 s0, vcc_lo
	s_cbranch_execz .LBB180_349
.LBB180_407:
	v_lshl_add_u32 v11, v9, 2, v10
	ds_load_b32 v11, v11 offset:32
	s_waitcnt lgkmcnt(0)
	v_add_f32_e32 v6, v6, v11
	s_or_b32 exec_lo, exec_lo, s0
	s_and_saveexec_b32 s0, vcc_lo
	s_cbranch_execz .LBB180_350
.LBB180_408:
	v_lshl_add_u32 v11, v9, 2, v10
	ds_load_b32 v11, v11 offset:64
	s_waitcnt lgkmcnt(0)
	v_add_f32_e32 v5, v5, v11
	s_or_b32 exec_lo, exec_lo, s0
	s_and_saveexec_b32 s0, vcc_lo
	s_cbranch_execz .LBB180_351
.LBB180_409:
	v_lshl_add_u32 v11, v9, 2, v10
	ds_load_b32 v11, v11 offset:96
	s_waitcnt lgkmcnt(0)
	v_add_f32_e32 v4, v4, v11
	s_or_b32 exec_lo, exec_lo, s0
	s_and_saveexec_b32 s0, vcc_lo
	s_cbranch_execz .LBB180_352
.LBB180_410:
	v_lshl_add_u32 v11, v9, 2, v10
	ds_load_b32 v11, v11 offset:128
	s_waitcnt lgkmcnt(0)
	v_add_f32_e32 v3, v3, v11
	s_or_b32 exec_lo, exec_lo, s0
	s_and_saveexec_b32 s0, vcc_lo
	s_cbranch_execz .LBB180_353
.LBB180_411:
	v_lshl_add_u32 v11, v9, 2, v10
	ds_load_b32 v11, v11 offset:160
	s_waitcnt lgkmcnt(0)
	v_add_f32_e32 v2, v2, v11
	s_or_b32 exec_lo, exec_lo, s0
	s_and_saveexec_b32 s0, vcc_lo
	s_cbranch_execz .LBB180_354
.LBB180_412:
	v_lshl_add_u32 v11, v9, 2, v10
	ds_load_b32 v11, v11 offset:192
	s_waitcnt lgkmcnt(0)
	v_add_f32_e32 v1, v1, v11
	s_or_b32 exec_lo, exec_lo, s0
	s_and_saveexec_b32 s0, vcc_lo
	s_cbranch_execnz .LBB180_355
	s_branch .LBB180_356
.LBB180_413:
	ds_load_b32 v10, v9
	s_waitcnt lgkmcnt(0)
	v_add_f32_e32 v8, v8, v10
	s_or_b32 exec_lo, exec_lo, s2
	s_and_saveexec_b32 s2, vcc_lo
	s_cbranch_execz .LBB180_362
.LBB180_414:
	ds_load_b32 v10, v9 offset:32
	s_waitcnt lgkmcnt(0)
	v_add_f32_e32 v6, v6, v10
	s_or_b32 exec_lo, exec_lo, s2
	s_and_saveexec_b32 s2, vcc_lo
	s_cbranch_execz .LBB180_363
.LBB180_415:
	ds_load_b32 v10, v9 offset:64
	s_waitcnt lgkmcnt(0)
	v_add_f32_e32 v5, v5, v10
	s_or_b32 exec_lo, exec_lo, s2
	s_and_saveexec_b32 s2, vcc_lo
	s_cbranch_execz .LBB180_364
.LBB180_416:
	ds_load_b32 v10, v9 offset:96
	s_waitcnt lgkmcnt(0)
	v_add_f32_e32 v4, v4, v10
	s_or_b32 exec_lo, exec_lo, s2
	s_and_saveexec_b32 s2, vcc_lo
	s_cbranch_execz .LBB180_365
.LBB180_417:
	ds_load_b32 v10, v9 offset:128
	s_waitcnt lgkmcnt(0)
	v_add_f32_e32 v3, v3, v10
	s_or_b32 exec_lo, exec_lo, s2
	s_and_saveexec_b32 s2, vcc_lo
	s_cbranch_execz .LBB180_366
.LBB180_418:
	ds_load_b32 v10, v9 offset:160
	s_waitcnt lgkmcnt(0)
	v_add_f32_e32 v2, v2, v10
	s_or_b32 exec_lo, exec_lo, s2
	s_and_saveexec_b32 s2, vcc_lo
	s_cbranch_execz .LBB180_367
.LBB180_419:
	ds_load_b32 v10, v9 offset:192
	s_waitcnt lgkmcnt(0)
	v_add_f32_e32 v1, v1, v10
	s_or_b32 exec_lo, exec_lo, s2
	s_and_saveexec_b32 s2, vcc_lo
	s_cbranch_execnz .LBB180_368
	s_branch .LBB180_369
	.section	.rodata,"a",@progbits
	.p2align	6, 0x0
	.amdhsa_kernel _ZN4vllm25paged_attention_v2_kernelI14__hip_bfloat16S1_Li64ELi32ELi128ELNS_18Fp8KVCacheDataTypeE0ELb1ELi512EEEvPfS3_PT_PKS4_PKT0_SA_ifPKiSC_iPKfiiiSE_SE_iiiii
		.amdhsa_group_segment_fixed_size 160
		.amdhsa_private_segment_fixed_size 0
		.amdhsa_kernarg_size 400
		.amdhsa_user_sgpr_count 13
		.amdhsa_user_sgpr_dispatch_ptr 0
		.amdhsa_user_sgpr_queue_ptr 0
		.amdhsa_user_sgpr_kernarg_segment_ptr 1
		.amdhsa_user_sgpr_dispatch_id 0
		.amdhsa_user_sgpr_private_segment_size 0
		.amdhsa_wavefront_size32 1
		.amdhsa_uses_dynamic_stack 0
		.amdhsa_enable_private_segment 0
		.amdhsa_system_sgpr_workgroup_id_x 1
		.amdhsa_system_sgpr_workgroup_id_y 1
		.amdhsa_system_sgpr_workgroup_id_z 1
		.amdhsa_system_sgpr_workgroup_info 0
		.amdhsa_system_vgpr_workitem_id 0
		.amdhsa_next_free_vgpr 147
		.amdhsa_next_free_sgpr 44
		.amdhsa_reserve_vcc 1
		.amdhsa_float_round_mode_32 0
		.amdhsa_float_round_mode_16_64 0
		.amdhsa_float_denorm_mode_32 3
		.amdhsa_float_denorm_mode_16_64 3
		.amdhsa_dx10_clamp 1
		.amdhsa_ieee_mode 1
		.amdhsa_fp16_overflow 0
		.amdhsa_workgroup_processor_mode 1
		.amdhsa_memory_ordered 1
		.amdhsa_forward_progress 0
		.amdhsa_shared_vgpr_count 0
		.amdhsa_exception_fp_ieee_invalid_op 0
		.amdhsa_exception_fp_denorm_src 0
		.amdhsa_exception_fp_ieee_div_zero 0
		.amdhsa_exception_fp_ieee_overflow 0
		.amdhsa_exception_fp_ieee_underflow 0
		.amdhsa_exception_fp_ieee_inexact 0
		.amdhsa_exception_int_div_zero 0
	.end_amdhsa_kernel
	.section	.text._ZN4vllm25paged_attention_v2_kernelI14__hip_bfloat16S1_Li64ELi32ELi128ELNS_18Fp8KVCacheDataTypeE0ELb1ELi512EEEvPfS3_PT_PKS4_PKT0_SA_ifPKiSC_iPKfiiiSE_SE_iiiii,"axG",@progbits,_ZN4vllm25paged_attention_v2_kernelI14__hip_bfloat16S1_Li64ELi32ELi128ELNS_18Fp8KVCacheDataTypeE0ELb1ELi512EEEvPfS3_PT_PKS4_PKT0_SA_ifPKiSC_iPKfiiiSE_SE_iiiii,comdat
.Lfunc_end180:
	.size	_ZN4vllm25paged_attention_v2_kernelI14__hip_bfloat16S1_Li64ELi32ELi128ELNS_18Fp8KVCacheDataTypeE0ELb1ELi512EEEvPfS3_PT_PKS4_PKT0_SA_ifPKiSC_iPKfiiiSE_SE_iiiii, .Lfunc_end180-_ZN4vllm25paged_attention_v2_kernelI14__hip_bfloat16S1_Li64ELi32ELi128ELNS_18Fp8KVCacheDataTypeE0ELb1ELi512EEEvPfS3_PT_PKS4_PKT0_SA_ifPKiSC_iPKfiiiSE_SE_iiiii
                                        ; -- End function
	.section	.AMDGPU.csdata,"",@progbits
; Kernel info:
; codeLenInByte = 17172
; NumSgprs: 46
; NumVgprs: 147
; ScratchSize: 0
; MemoryBound: 0
; FloatMode: 240
; IeeeMode: 1
; LDSByteSize: 160 bytes/workgroup (compile time only)
; SGPRBlocks: 5
; VGPRBlocks: 18
; NumSGPRsForWavesPerEU: 46
; NumVGPRsForWavesPerEU: 147
; Occupancy: 9
; WaveLimiterHint : 1
; COMPUTE_PGM_RSRC2:SCRATCH_EN: 0
; COMPUTE_PGM_RSRC2:USER_SGPR: 13
; COMPUTE_PGM_RSRC2:TRAP_HANDLER: 0
; COMPUTE_PGM_RSRC2:TGID_X_EN: 1
; COMPUTE_PGM_RSRC2:TGID_Y_EN: 1
; COMPUTE_PGM_RSRC2:TGID_Z_EN: 1
; COMPUTE_PGM_RSRC2:TIDIG_COMP_CNT: 0
	.section	.text._ZN4vllm25paged_attention_v2_kernelI14__hip_bfloat16S1_Li80ELi32ELi128ELNS_18Fp8KVCacheDataTypeE0ELb1ELi512EEEvPfS3_PT_PKS4_PKT0_SA_ifPKiSC_iPKfiiiSE_SE_iiiii,"axG",@progbits,_ZN4vllm25paged_attention_v2_kernelI14__hip_bfloat16S1_Li80ELi32ELi128ELNS_18Fp8KVCacheDataTypeE0ELb1ELi512EEEvPfS3_PT_PKS4_PKT0_SA_ifPKiSC_iPKfiiiSE_SE_iiiii,comdat
	.protected	_ZN4vllm25paged_attention_v2_kernelI14__hip_bfloat16S1_Li80ELi32ELi128ELNS_18Fp8KVCacheDataTypeE0ELb1ELi512EEEvPfS3_PT_PKS4_PKT0_SA_ifPKiSC_iPKfiiiSE_SE_iiiii ; -- Begin function _ZN4vllm25paged_attention_v2_kernelI14__hip_bfloat16S1_Li80ELi32ELi128ELNS_18Fp8KVCacheDataTypeE0ELb1ELi512EEEvPfS3_PT_PKS4_PKT0_SA_ifPKiSC_iPKfiiiSE_SE_iiiii
	.globl	_ZN4vllm25paged_attention_v2_kernelI14__hip_bfloat16S1_Li80ELi32ELi128ELNS_18Fp8KVCacheDataTypeE0ELb1ELi512EEEvPfS3_PT_PKS4_PKT0_SA_ifPKiSC_iPKfiiiSE_SE_iiiii
	.p2align	8
	.type	_ZN4vllm25paged_attention_v2_kernelI14__hip_bfloat16S1_Li80ELi32ELi128ELNS_18Fp8KVCacheDataTypeE0ELb1ELi512EEEvPfS3_PT_PKS4_PKT0_SA_ifPKiSC_iPKfiiiSE_SE_iiiii,@function
_ZN4vllm25paged_attention_v2_kernelI14__hip_bfloat16S1_Li80ELi32ELi128ELNS_18Fp8KVCacheDataTypeE0ELb1ELi512EEEvPfS3_PT_PKS4_PKT0_SA_ifPKiSC_iPKfiiiSE_SE_iiiii: ; @_ZN4vllm25paged_attention_v2_kernelI14__hip_bfloat16S1_Li80ELi32ELi128ELNS_18Fp8KVCacheDataTypeE0ELb1ELi512EEEvPfS3_PT_PKS4_PKT0_SA_ifPKiSC_iPKfiiiSE_SE_iiiii
; %bb.0:
	s_load_b64 s[2:3], s[0:1], 0x40
	s_mov_b32 s12, s15
	s_ashr_i32 s15, s14, 31
	s_mov_b32 s24, s13
	s_lshl_b64 s[4:5], s[14:15], 2
	s_waitcnt lgkmcnt(0)
	s_add_u32 s2, s2, s4
	s_addc_u32 s3, s3, s5
	s_lshl_b32 s13, s12, 9
	s_load_b32 s33, s[2:3], 0x0
	s_waitcnt lgkmcnt(0)
	s_cmp_ge_i32 s13, s33
	s_cbranch_scc1 .LBB181_485
; %bb.1:
	s_clause 0x1
	s_load_b32 s15, s[0:1], 0x90
	s_load_b64 s[2:3], s[0:1], 0x30
	s_mov_b32 s37, 0
	s_waitcnt lgkmcnt(0)
	s_abs_i32 s7, s15
	s_abs_i32 s4, s2
	s_delay_alu instid0(SALU_CYCLE_1) | instskip(SKIP_1) | instid1(VALU_DEP_1)
	v_cvt_f32_u32_e32 v1, s4
	s_sub_i32 s6, 0, s4
	v_rcp_iflag_f32_e32 v1, v1
	s_waitcnt_depctr 0xfff
	v_mul_f32_e32 v1, 0x4f7ffffe, v1
	s_delay_alu instid0(VALU_DEP_1) | instskip(NEXT) | instid1(VALU_DEP_1)
	v_cvt_u32_f32_e32 v1, v1
	v_readfirstlane_b32 s5, v1
	s_delay_alu instid0(VALU_DEP_1) | instskip(NEXT) | instid1(SALU_CYCLE_1)
	s_mul_i32 s6, s6, s5
	s_mul_hi_u32 s6, s5, s6
	s_delay_alu instid0(SALU_CYCLE_1) | instskip(SKIP_4) | instid1(SALU_CYCLE_1)
	s_add_i32 s5, s5, s6
	s_xor_b32 s6, s15, s2
	s_mul_hi_u32 s5, s7, s5
	s_ashr_i32 s6, s6, 31
	s_mul_i32 s8, s5, s4
	s_sub_i32 s7, s7, s8
	s_add_i32 s8, s5, 1
	s_sub_i32 s9, s7, s4
	s_cmp_ge_u32 s7, s4
	s_cselect_b32 s5, s8, s5
	s_cselect_b32 s7, s9, s7
	s_add_i32 s8, s5, 1
	s_cmp_ge_u32 s7, s4
	s_cselect_b32 s4, s8, s5
	s_abs_i32 s17, s24
	s_xor_b32 s4, s4, s6
	s_delay_alu instid0(SALU_CYCLE_1) | instskip(SKIP_2) | instid1(SALU_CYCLE_1)
	s_sub_i32 s8, s4, s6
	s_load_b64 s[4:5], s[0:1], 0x50
	s_abs_i32 s16, s8
	v_cvt_f32_u32_e32 v1, s16
	s_sub_i32 s7, 0, s16
	s_delay_alu instid0(VALU_DEP_1) | instskip(SKIP_2) | instid1(VALU_DEP_1)
	v_rcp_iflag_f32_e32 v1, v1
	s_waitcnt_depctr 0xfff
	v_mul_f32_e32 v1, 0x4f7ffffe, v1
	v_cvt_u32_f32_e32 v1, v1
	s_delay_alu instid0(VALU_DEP_1) | instskip(NEXT) | instid1(VALU_DEP_1)
	v_readfirstlane_b32 s6, v1
	s_mul_i32 s7, s7, s6
	s_delay_alu instid0(SALU_CYCLE_1) | instskip(NEXT) | instid1(SALU_CYCLE_1)
	s_mul_hi_u32 s7, s6, s7
	s_add_i32 s6, s6, s7
	s_waitcnt lgkmcnt(0)
	s_cmp_eq_u64 s[4:5], 0
	s_mul_hi_u32 s18, s17, s6
	s_cbranch_scc1 .LBB181_3
; %bb.2:
	s_ashr_i32 s25, s24, 31
	s_delay_alu instid0(SALU_CYCLE_1) | instskip(NEXT) | instid1(SALU_CYCLE_1)
	s_lshl_b64 s[6:7], s[24:25], 2
	s_add_u32 s4, s4, s6
	s_addc_u32 s5, s5, s7
	s_load_b32 s37, s[4:5], 0x0
.LBB181_3:
	s_load_b128 s[4:7], s[0:1], 0x58
	s_waitcnt lgkmcnt(0)
	s_ashr_i32 s7, s24, 31
	s_ashr_i32 s19, s8, 31
	s_mul_i32 s20, s24, 0x50
	s_mov_b32 s8, exec_lo
	v_cmpx_gt_u32_e32 10, v0
	s_cbranch_execz .LBB181_5
; %bb.4:
	s_load_b64 s[10:11], s[0:1], 0x18
	s_mul_i32 s22, s14, s4
	v_lshlrev_b32_e32 v5, 4, v0
	s_ashr_i32 s23, s22, 31
	s_delay_alu instid0(SALU_CYCLE_1) | instskip(SKIP_4) | instid1(SALU_CYCLE_1)
	s_lshl_b64 s[22:23], s[22:23], 1
	s_waitcnt lgkmcnt(0)
	s_add_u32 s4, s10, s22
	s_addc_u32 s9, s11, s23
	s_ashr_i32 s21, s20, 31
	s_lshl_b64 s[10:11], s[20:21], 1
	s_delay_alu instid0(SALU_CYCLE_1)
	s_add_u32 s10, s4, s10
	s_addc_u32 s11, s9, s11
	global_load_b128 v[1:4], v5, s[10:11]
	s_waitcnt vmcnt(0)
	ds_store_b128 v5, v[1:4]
.LBB181_5:
	s_or_b32 exec_lo, exec_lo, s8
	s_load_b128 s[8:11], s[0:1], 0x78
	s_mul_i32 s4, s18, s16
	s_xor_b32 s7, s7, s19
	s_sub_i32 s4, s17, s4
	s_add_i32 s17, s18, 1
	s_sub_i32 s19, s4, s16
	s_cmp_ge_u32 s4, s16
	s_waitcnt lgkmcnt(0)
	s_cselect_b32 s17, s17, s18
	s_cselect_b32 s4, s19, s4
	s_add_i32 s18, s17, 1
	s_cmp_ge_u32 s4, s16
	s_load_b32 s4, s[0:1], 0x88
	s_cselect_b32 s16, s18, s17
	s_mov_b32 s17, -1
	s_xor_b32 s16, s16, s7
	s_waitcnt lgkmcnt(0)
	s_barrier
	s_sub_i32 s7, s16, s7
	buffer_gl0_inv
                                        ; implicit-def: $sgpr34
	s_abs_i32 s21, s11
	s_delay_alu instid0(SALU_CYCLE_1) | instskip(SKIP_1) | instid1(VALU_DEP_1)
	v_cvt_f32_u32_e32 v1, s21
	s_sub_i32 s16, 0, s21
	v_rcp_iflag_f32_e32 v1, v1
	s_waitcnt_depctr 0xfff
	v_mul_f32_e32 v1, 0x4f7ffffe, v1
	s_delay_alu instid0(VALU_DEP_1) | instskip(NEXT) | instid1(VALU_DEP_1)
	v_cvt_u32_f32_e32 v1, v1
	v_readfirstlane_b32 s25, v1
	s_delay_alu instid0(VALU_DEP_1)
	s_mul_i32 s18, s16, s25
	s_add_i32 s16, s33, -1
	s_mul_hi_u32 s18, s25, s18
	s_abs_i32 s28, s16
	s_add_i32 s25, s25, s18
	s_cmp_lt_i32 s4, 0
	s_mul_hi_u32 s35, s28, s25
	s_cbranch_scc0 .LBB181_7
; %bb.6:
	s_mul_i32 s2, s8, s2
	s_mov_b32 s17, 0
	s_add_i32 s2, s7, s2
	s_delay_alu instid0(SALU_CYCLE_1) | instskip(NEXT) | instid1(SALU_CYCLE_1)
	s_mul_i32 s2, s2, s4
	s_sub_i32 s34, 1, s2
.LBB181_7:
	s_load_b64 s[26:27], s[0:1], 0x38
	s_ashr_i32 s2, s16, 31
	s_and_not1_b32 vcc_lo, exec_lo, s17
	s_ashr_i32 s11, s11, 31
	s_cbranch_vccnz .LBB181_9
; %bb.8:
	s_mul_i32 s8, s15, s8
	s_delay_alu instid0(SALU_CYCLE_1) | instskip(NEXT) | instid1(SALU_CYCLE_1)
	s_add_i32 s8, s8, s24
	s_mul_i32 s4, s8, s4
	s_delay_alu instid0(SALU_CYCLE_1)
	s_add_i32 s34, s4, 1
.LBB181_9:
	s_clause 0x4
	s_load_b32 s8, s[0:1], 0x48
	s_load_b64 s[30:31], s[0:1], 0x28
	s_load_b32 s4, s[0:1], 0x98
	s_load_b128 s[16:19], s[0:1], 0x0
	s_load_b64 s[22:23], s[0:1], 0x10
	s_xor_b32 s36, s2, s11
	s_mul_i32 s2, s35, s21
	s_add_i32 s38, s35, 1
	s_sub_i32 s2, s28, s2
	v_lshrrev_b32_e32 v13, 5, v0
	v_dual_mov_b32 v83, 0xff7fffff :: v_dual_and_b32 v14, 31, v0
	s_mul_i32 s6, s7, s6
	s_delay_alu instid0(VALU_DEP_2) | instskip(NEXT) | instid1(VALU_DEP_2)
	v_lshl_add_u32 v15, v13, 5, s13
	v_lshlrev_b32_e32 v17, 2, v14
	s_waitcnt lgkmcnt(0)
	s_mul_i32 s28, s14, s8
	s_sub_i32 s8, s2, s21
	s_ashr_i32 s29, s28, 31
	s_cmp_ge_u32 s2, s21
	s_cselect_b32 s35, s38, s35
	s_cselect_b32 s2, s8, s2
	s_add_i32 s8, s35, 1
	s_cmp_ge_u32 s2, s21
	s_cselect_b32 s2, s8, s35
	s_add_i32 s8, s33, 31
	s_lshl_b32 s38, s12, 4
	s_ashr_i32 s35, s8, 31
	v_add_nc_u32_e32 v9, s38, v13
	s_lshr_b32 s35, s35, 27
	s_add_i32 s39, s38, 16
	s_add_i32 s8, s8, s35
	s_xor_b32 s40, s2, s36
	s_ashr_i32 s35, s8, 5
	v_ashrrev_i32_e32 v10, 31, v9
	s_min_i32 s8, s39, s35
	s_sub_i32 s36, s40, s36
	v_cmp_gt_i32_e64 s2, s8, v9
	s_delay_alu instid0(VALU_DEP_1)
	s_and_saveexec_b32 s39, s2
	s_cbranch_execz .LBB181_17
; %bb.10:
	s_load_b64 s[0:1], s[0:1], 0x20
	v_mov_b32_e32 v11, 0
	s_ashr_i32 s7, s6, 31
	s_sub_i32 s40, s36, s9
	s_lshl_b64 s[42:43], s[6:7], 1
	ds_load_b128 v[1:4], v11
	ds_load_b128 v[5:8], v11 offset:16
	ds_load_b128 v[67:70], v11 offset:32
	;; [unrolled: 1-line block ×4, first 2 shown]
	v_dual_mov_b32 v104, 0xff7fffff :: v_dual_lshlrev_b32 v99, 4, v14
	v_lshl_add_u32 v103, v13, 5, s13
	v_mov_b32_e32 v105, v9
	s_waitcnt lgkmcnt(0)
	s_add_u32 s41, s0, s42
	s_addc_u32 s42, s1, s43
	s_abs_i32 s7, s10
	v_bfi_b32 v16, 0xffff, 0, v1
	v_lshlrev_b32_e32 v18, 16, v1
	v_cvt_f32_u32_e32 v1, s7
	v_bfi_b32 v57, 0xffff, 0, v3
	v_lshlrev_b32_e32 v58, 16, v3
	s_sub_i32 s0, 0, s7
	ds_load_b128 v[79:82], v11 offset:80
	ds_load_b128 v[83:86], v11 offset:96
	v_rcp_iflag_f32_e32 v1, v1
	v_lshlrev_b32_e32 v22, 16, v67
	ds_load_b128 v[87:90], v11 offset:112
	ds_load_b128 v[91:94], v11 offset:128
	;; [unrolled: 1-line block ×3, first 2 shown]
	v_bfi_b32 v37, 0xffff, 0, v2
	v_lshlrev_b32_e32 v38, 16, v2
	v_bfi_b32 v62, 0xffff, 0, v4
	v_lshlrev_b32_e32 v63, 16, v4
	;; [unrolled: 2-line block ×3, first 2 shown]
	v_mul_f32_e32 v1, 0x4f7ffffe, v1
	v_bfi_b32 v21, 0xffff, 0, v67
	v_bfi_b32 v23, 0xffff, 0, v71
	v_lshlrev_b32_e32 v24, 16, v71
	v_bfi_b32 v25, 0xffff, 0, v75
	v_cvt_u32_f32_e32 v3, v1
	v_lshlrev_b32_e32 v26, 16, v75
	v_bfi_b32 v39, 0xffff, 0, v6
	s_waitcnt lgkmcnt(4)
	v_bfi_b32 v27, 0xffff, 0, v79
	v_lshlrev_b32_e32 v28, 16, v79
	v_mul_lo_u32 v1, s0, v3
	s_lshl_b64 s[0:1], s[28:29], 2
	s_waitcnt lgkmcnt(3)
	v_bfi_b32 v29, 0xffff, 0, v83
	s_add_u32 s0, s26, s0
	s_addc_u32 s1, s27, s1
	v_lshlrev_b32_e32 v30, 16, v83
	s_waitcnt lgkmcnt(2)
	v_bfi_b32 v31, 0xffff, 0, v87
	v_lshlrev_b32_e32 v32, 16, v87
	v_mul_hi_u32 v4, v3, v1
	v_lshlrev_b64 v[1:2], 2, v[9:10]
	s_waitcnt lgkmcnt(1)
	v_bfi_b32 v33, 0xffff, 0, v91
	v_lshlrev_b32_e32 v34, 16, v91
	s_waitcnt lgkmcnt(0)
	v_bfi_b32 v35, 0xffff, 0, v95
	v_lshlrev_b32_e32 v36, 16, v95
	v_lshlrev_b32_e32 v40, 16, v6
	v_add_co_u32 v11, vcc_lo, s0, v1
	v_add_co_ci_u32_e32 v12, vcc_lo, s1, v2, vcc_lo
	v_subrev_nc_u32_e32 v1, s33, v14
	v_lshl_or_b32 v2, v13, 7, v17
	v_add_co_u32 v99, s0, s41, v99
	v_bfi_b32 v41, 0xffff, 0, v68
	v_lshlrev_b32_e32 v42, 16, v68
	v_bfi_b32 v43, 0xffff, 0, v72
	v_lshlrev_b32_e32 v44, 16, v72
	;; [unrolled: 2-line block ×19, first 2 shown]
	v_bfi_b32 v84, 0xffff, 0, v89
	v_bfi_b32 v85, 0xffff, 0, v86
	v_lshlrev_b32_e32 v86, 16, v86
	v_lshlrev_b32_e32 v87, 16, v89
	v_bfi_b32 v88, 0xffff, 0, v93
	v_bfi_b32 v89, 0xffff, 0, v90
	v_lshlrev_b32_e32 v90, 16, v90
	v_lshlrev_b32_e32 v91, 16, v93
	;; [unrolled: 4-line block ×3, first 2 shown]
	v_bfi_b32 v96, 0xffff, 0, v98
	v_lshlrev_b32_e32 v97, 16, v98
	v_add_nc_u32_e32 v98, v3, v4
	v_add_co_ci_u32_e64 v100, null, s42, 0, s0
	v_cmp_neq_f32_e64 vcc_lo, s37, 0
	v_add_nc_u32_e32 v101, 1, v1
	v_add_nc_u32_e32 v102, 0xc0, v2
	v_mov_b32_e32 v83, 0xff7fffff
	s_mov_b32 s42, s5
	s_mov_b32 s41, 0
	s_branch .LBB181_12
.LBB181_11:                             ;   in Loop: Header=BB181_12 Depth=1
	s_or_b32 exec_lo, exec_lo, s1
	v_add_nc_u32_e32 v105, 4, v105
	v_add_co_u32 v11, s1, v11, 16
	s_delay_alu instid0(VALU_DEP_1) | instskip(NEXT) | instid1(VALU_DEP_3)
	v_add_co_ci_u32_e64 v12, s1, 0, v12, s1
	v_cmp_le_i32_e64 s0, s8, v105
	v_add_nc_u32_e32 v103, 0x80, v103
	v_add_nc_u32_e32 v102, 0x200, v102
	s_delay_alu instid0(VALU_DEP_3) | instskip(NEXT) | instid1(SALU_CYCLE_1)
	s_or_b32 s41, s0, s41
	s_and_not1_b32 exec_lo, exec_lo, s41
	s_cbranch_execz .LBB181_16
.LBB181_12:                             ; =>This Inner Loop Header: Depth=1
	v_sub_nc_u32_e32 v1, 0, v103
	s_delay_alu instid0(VALU_DEP_1) | instskip(NEXT) | instid1(VALU_DEP_1)
	v_max_i32_e32 v1, v103, v1
	v_mul_hi_u32 v2, v1, s25
	s_delay_alu instid0(VALU_DEP_1) | instskip(NEXT) | instid1(VALU_DEP_1)
	v_mul_lo_u32 v3, v2, s21
	v_sub_nc_u32_e32 v1, v1, v3
	v_add_nc_u32_e32 v3, 1, v2
	s_delay_alu instid0(VALU_DEP_2) | instskip(SKIP_1) | instid1(VALU_DEP_1)
	v_subrev_nc_u32_e32 v4, s21, v1
	v_cmp_le_u32_e64 s0, s21, v1
	v_cndmask_b32_e64 v2, v2, v3, s0
	s_delay_alu instid0(VALU_DEP_3) | instskip(SKIP_1) | instid1(VALU_DEP_3)
	v_cndmask_b32_e64 v1, v1, v4, s0
	v_ashrrev_i32_e32 v3, 31, v103
	v_add_nc_u32_e32 v4, 1, v2
	s_delay_alu instid0(VALU_DEP_3) | instskip(NEXT) | instid1(VALU_DEP_3)
	v_cmp_le_u32_e64 s0, s21, v1
	v_xor_b32_e32 v3, s11, v3
	s_delay_alu instid0(VALU_DEP_2) | instskip(NEXT) | instid1(VALU_DEP_1)
	v_cndmask_b32_e64 v1, v2, v4, s0
	v_xor_b32_e32 v1, v1, v3
	s_delay_alu instid0(VALU_DEP_1) | instskip(NEXT) | instid1(VALU_DEP_1)
	v_sub_nc_u32_e32 v1, v1, v3
	v_add_nc_u32_e32 v2, s34, v1
	v_cmp_ge_i32_e64 s1, s40, v1
	s_delay_alu instid0(VALU_DEP_2) | instskip(NEXT) | instid1(VALU_DEP_1)
	v_sub_nc_u32_e32 v3, 0, v2
	v_max_i32_e32 v3, v2, v3
	v_ashrrev_i32_e32 v2, 31, v2
	s_delay_alu instid0(VALU_DEP_2) | instskip(NEXT) | instid1(VALU_DEP_1)
	v_mul_hi_u32 v4, v3, v98
	v_mul_lo_u32 v4, v4, s7
	s_delay_alu instid0(VALU_DEP_1) | instskip(NEXT) | instid1(VALU_DEP_1)
	v_sub_nc_u32_e32 v3, v3, v4
	v_subrev_nc_u32_e32 v4, s7, v3
	v_cmp_le_u32_e64 s0, s7, v3
	s_delay_alu instid0(VALU_DEP_1) | instskip(NEXT) | instid1(VALU_DEP_1)
	v_cndmask_b32_e64 v3, v3, v4, s0
	v_subrev_nc_u32_e32 v4, s7, v3
	v_cmp_le_u32_e64 s0, s7, v3
	s_delay_alu instid0(VALU_DEP_1) | instskip(NEXT) | instid1(VALU_DEP_1)
	v_cndmask_b32_e64 v3, v3, v4, s0
	v_xor_b32_e32 v3, v3, v2
	s_delay_alu instid0(VALU_DEP_1) | instskip(NEXT) | instid1(VALU_DEP_1)
	v_sub_nc_u32_e32 v2, v3, v2
	v_cmp_ne_u32_e64 s0, 0, v2
	s_delay_alu instid0(VALU_DEP_1) | instskip(NEXT) | instid1(SALU_CYCLE_1)
	s_and_b32 s0, s0, s1
	s_and_saveexec_b32 s1, s0
	s_delay_alu instid0(SALU_CYCLE_1)
	s_xor_b32 s0, exec_lo, s1
	s_cbranch_execz .LBB181_14
; %bb.13:                               ;   in Loop: Header=BB181_12 Depth=1
	ds_store_b32 v102, v104
.LBB181_14:                             ;   in Loop: Header=BB181_12 Depth=1
	s_and_not1_saveexec_b32 s1, s0
	s_cbranch_execz .LBB181_11
; %bb.15:                               ;   in Loop: Header=BB181_12 Depth=1
	global_load_b32 v3, v[11:12], off
	s_waitcnt vmcnt(0)
	v_mad_i64_i32 v[1:2], null, v3, s42, 0
	s_delay_alu instid0(VALU_DEP_1) | instskip(NEXT) | instid1(VALU_DEP_1)
	v_lshlrev_b64 v[1:2], 1, v[1:2]
	v_add_co_u32 v130, s0, v99, v1
	s_delay_alu instid0(VALU_DEP_1)
	v_add_co_ci_u32_e64 v131, s0, v100, v2, s0
	s_clause 0x7
	global_load_b128 v[5:8], v[130:131], off
	global_load_b128 v[1:4], v[130:131], off offset:512
	global_load_b128 v[106:109], v[130:131], off offset:1024
	;; [unrolled: 1-line block ×7, first 2 shown]
	v_add_co_u32 v134, s0, 0x1000, v130
	s_delay_alu instid0(VALU_DEP_1)
	v_add_co_ci_u32_e64 v135, s0, 0, v131, s0
	s_clause 0x1
	global_load_b128 v[130:133], v[134:135], off
	global_load_b128 v[134:137], v[134:135], off offset:512
	s_waitcnt vmcnt(7)
	v_and_b32_e32 v147, 0xffff0000, v106
	s_waitcnt vmcnt(6)
	v_lshlrev_b32_e32 v153, 16, v112
	s_waitcnt vmcnt(5)
	v_and_b32_e32 v157, 0xffff0000, v116
	v_lshlrev_b32_e32 v116, 16, v116
	v_lshlrev_b32_e32 v106, 16, v106
	v_and_b32_e32 v144, 0xffff0000, v3
	v_lshlrev_b32_e32 v3, 16, v3
	v_and_b32_e32 v140, 0xffff0000, v1
	v_and_b32_e32 v146, 0xffff0000, v4
	v_lshlrev_b32_e32 v143, 16, v7
	v_and_b32_e32 v149, 0xffff0000, v108
	v_mul_f32_e32 v3, v60, v3
	s_waitcnt vmcnt(4)
	v_lshlrev_b32_e32 v159, 16, v118
	v_lshlrev_b32_e32 v108, 16, v108
	v_mul_f32_e32 v146, v65, v146
	v_dual_fmac_f32 v3, v58, v143 :: v_dual_and_b32 v142, 0xffff0000, v2
	v_lshlrev_b32_e32 v2, 16, v2
	v_dual_mul_f32 v140, v19, v140 :: v_dual_lshlrev_b32 v139, 16, v5
	s_delay_alu instid0(VALU_DEP_3) | instskip(NEXT) | instid1(VALU_DEP_4)
	v_dual_mul_f32 v142, v39, v142 :: v_dual_and_b32 v5, 0xffff0000, v5
	v_fmac_f32_e32 v3, v64, v108
	s_delay_alu instid0(VALU_DEP_4) | instskip(SKIP_2) | instid1(VALU_DEP_4)
	v_dual_mul_f32 v2, v40, v2 :: v_dual_lshlrev_b32 v1, 16, v1
	v_add_nc_u32_e32 v138, v101, v103
	v_lshlrev_b32_e32 v141, 16, v6
	v_fmac_f32_e32 v3, v68, v153
	s_delay_alu instid0(VALU_DEP_4)
	v_dual_mul_f32 v1, v20, v1 :: v_dual_and_b32 v6, 0xffff0000, v6
	v_lshlrev_b32_e32 v161, 16, v120
	s_waitcnt vmcnt(3)
	v_and_b32_e32 v165, 0xffff0000, v124
	v_fmac_f32_e32 v3, v72, v116
	v_fmac_f32_e32 v1, v18, v139
	v_dual_fmac_f32 v142, v37, v6 :: v_dual_lshlrev_b32 v145, 16, v8
	v_lshlrev_b32_e32 v151, 16, v110
	s_delay_alu instid0(VALU_DEP_4) | instskip(NEXT) | instid1(VALU_DEP_4)
	v_dual_fmac_f32 v3, v76, v161 :: v_dual_and_b32 v110, 0xffff0000, v110
	v_dual_fmac_f32 v1, v22, v106 :: v_dual_lshlrev_b32 v124, 16, v124
	v_and_b32_e32 v8, 0xffff0000, v8
	v_lshlrev_b32_e32 v154, 16, v113
	v_and_b32_e32 v155, 0xffff0000, v114
	s_waitcnt vmcnt(2)
	v_lshlrev_b32_e32 v169, 16, v128
	v_fmac_f32_e32 v1, v24, v151
	v_dual_fmac_f32 v3, v80, v124 :: v_dual_lshlrev_b32 v114, 16, v114
	v_mul_f32_e32 v144, v59, v144
	v_dual_fmac_f32 v140, v16, v5 :: v_dual_lshlrev_b32 v167, 16, v126
	s_delay_alu instid0(VALU_DEP_3) | instskip(NEXT) | instid1(VALU_DEP_4)
	v_dual_fmac_f32 v3, v87, v169 :: v_dual_lshlrev_b32 v4, 16, v4
	v_fmac_f32_e32 v1, v26, v114
	v_dual_fmac_f32 v2, v38, v141 :: v_dual_and_b32 v7, 0xffff0000, v7
	v_lshlrev_b32_e32 v162, 16, v121
	s_delay_alu instid0(VALU_DEP_3) | instskip(NEXT) | instid1(VALU_DEP_3)
	v_dual_mul_f32 v4, v66, v4 :: v_dual_fmac_f32 v1, v28, v159
	v_fmac_f32_e32 v144, v57, v7
	s_waitcnt vmcnt(0)
	v_dual_fmac_f32 v140, v21, v147 :: v_dual_lshlrev_b32 v177, 16, v136
	v_fmac_f32_e32 v146, v62, v8
	v_and_b32_e32 v126, 0xffff0000, v126
	v_dual_fmac_f32 v144, v61, v149 :: v_dual_and_b32 v163, 0xffff0000, v122
	v_lshlrev_b32_e32 v122, 16, v122
	v_and_b32_e32 v148, 0xffff0000, v107
	v_dual_fmac_f32 v140, v23, v110 :: v_dual_lshlrev_b32 v107, 16, v107
	s_delay_alu instid0(VALU_DEP_3) | instskip(SKIP_1) | instid1(VALU_DEP_3)
	v_dual_fmac_f32 v1, v30, v122 :: v_dual_lshlrev_b32 v160, 16, v119
	v_and_b32_e32 v150, 0xffff0000, v109
	v_dual_fmac_f32 v140, v25, v155 :: v_dual_lshlrev_b32 v109, 16, v109
	v_and_b32_e32 v173, 0xffff0000, v132
	v_lshlrev_b32_e32 v132, 16, v132
	v_dual_fmac_f32 v1, v32, v167 :: v_dual_and_b32 v158, 0xffff0000, v117
	v_dual_fmac_f32 v146, v69, v150 :: v_dual_and_b32 v113, 0xffff0000, v113
	s_delay_alu instid0(VALU_DEP_3) | instskip(SKIP_2) | instid1(VALU_DEP_3)
	v_dual_fmac_f32 v3, v91, v132 :: v_dual_and_b32 v118, 0xffff0000, v118
	v_and_b32_e32 v171, 0xffff0000, v130
	v_lshlrev_b32_e32 v130, 16, v130
	v_dual_fmac_f32 v3, v95, v177 :: v_dual_lshlrev_b32 v176, 16, v135
	s_delay_alu instid0(VALU_DEP_4) | instskip(SKIP_1) | instid1(VALU_DEP_4)
	v_fmac_f32_e32 v140, v27, v118
	v_fmac_f32_e32 v146, v73, v113
	v_dual_fmac_f32 v1, v34, v130 :: v_dual_lshlrev_b32 v152, 16, v111
	v_and_b32_e32 v166, 0xffff0000, v125
	s_delay_alu instid0(VALU_DEP_4) | instskip(SKIP_3) | instid1(VALU_DEP_4)
	v_fmac_f32_e32 v140, v29, v163
	v_and_b32_e32 v135, 0xffff0000, v135
	v_dual_fmac_f32 v146, v77, v158 :: v_dual_lshlrev_b32 v125, 16, v125
	v_and_b32_e32 v175, 0xffff0000, v134
	v_fmac_f32_e32 v140, v31, v126
	v_lshlrev_b32_e32 v134, 16, v134
	v_fmac_f32_e32 v2, v42, v107
	v_dual_fmac_f32 v142, v41, v148 :: v_dual_and_b32 v111, 0xffff0000, v111
	s_delay_alu instid0(VALU_DEP_4) | instskip(NEXT) | instid1(VALU_DEP_4)
	v_fmac_f32_e32 v140, v33, v171
	v_dual_fmac_f32 v1, v36, v134 :: v_dual_and_b32 v112, 0xffff0000, v112
	v_fmac_f32_e32 v4, v63, v145
	v_fmac_f32_e32 v2, v44, v152
	s_delay_alu instid0(VALU_DEP_4) | instskip(SKIP_1) | instid1(VALU_DEP_4)
	v_fmac_f32_e32 v140, v35, v175
	v_and_b32_e32 v156, 0xffff0000, v115
	v_dual_fmac_f32 v4, v70, v109 :: v_dual_lshlrev_b32 v115, 16, v115
	v_dual_fmac_f32 v142, v43, v111 :: v_dual_lshlrev_b32 v117, 16, v117
	v_dual_fmac_f32 v144, v67, v112 :: v_dual_and_b32 v119, 0xffff0000, v119
	s_delay_alu instid0(VALU_DEP_3) | instskip(SKIP_1) | instid1(VALU_DEP_4)
	v_fmac_f32_e32 v2, v46, v115
	v_dual_add_f32 v1, v1, v140 :: v_dual_and_b32 v164, 0xffff0000, v123
	v_dual_fmac_f32 v142, v45, v156 :: v_dual_lshlrev_b32 v123, 16, v123
	s_delay_alu instid0(VALU_DEP_3) | instskip(SKIP_2) | instid1(VALU_DEP_4)
	v_fmac_f32_e32 v2, v48, v160
	v_lshlrev_b32_e32 v168, 16, v127
	v_lshlrev_b32_e32 v170, 16, v129
	v_dual_fmac_f32 v142, v47, v119 :: v_dual_and_b32 v129, 0xffff0000, v129
	v_and_b32_e32 v174, 0xffff0000, v133
	v_dual_fmac_f32 v2, v50, v123 :: v_dual_lshlrev_b32 v133, 16, v133
	v_dual_fmac_f32 v4, v74, v154 :: v_dual_and_b32 v121, 0xffff0000, v121
	v_and_b32_e32 v127, 0xffff0000, v127
	v_and_b32_e32 v172, 0xffff0000, v131
	v_dual_fmac_f32 v144, v71, v157 :: v_dual_lshlrev_b32 v131, 16, v131
	v_dual_fmac_f32 v142, v49, v164 :: v_dual_and_b32 v5, 0xffff0000, v137
	v_fmac_f32_e32 v2, v52, v168
	v_fmac_f32_e32 v4, v78, v117
	v_and_b32_e32 v128, 0xffff0000, v128
	s_delay_alu instid0(VALU_DEP_4)
	v_fmac_f32_e32 v142, v51, v127
	v_fmac_f32_e32 v146, v81, v121
	;; [unrolled: 1-line block ×4, first 2 shown]
	v_and_b32_e32 v136, 0xffff0000, v136
	v_fmac_f32_e32 v142, v53, v172
	v_fmac_f32_e32 v146, v85, v166
	v_fmac_f32_e32 v2, v56, v176
	v_fmac_f32_e32 v4, v86, v125
	s_delay_alu instid0(VALU_DEP_4) | instskip(NEXT) | instid1(VALU_DEP_4)
	v_fmac_f32_e32 v142, v55, v135
	v_fmac_f32_e32 v146, v89, v129
	s_delay_alu instid0(VALU_DEP_4) | instskip(NEXT) | instid1(VALU_DEP_4)
	v_add_f32_e32 v1, v1, v2
	v_fmac_f32_e32 v4, v90, v170
	v_lshlrev_b32_e32 v2, 16, v137
	s_delay_alu instid0(VALU_DEP_3) | instskip(SKIP_1) | instid1(VALU_DEP_4)
	v_dual_fmac_f32 v146, v93, v174 :: v_dual_add_f32 v1, v142, v1
	v_and_b32_e32 v120, 0xffff0000, v120
	v_fmac_f32_e32 v4, v94, v133
	s_delay_alu instid0(VALU_DEP_3) | instskip(NEXT) | instid1(VALU_DEP_4)
	v_fmac_f32_e32 v146, v96, v5
	v_add_f32_e32 v1, v3, v1
	s_delay_alu instid0(VALU_DEP_4) | instskip(SKIP_2) | instid1(VALU_DEP_3)
	v_fmac_f32_e32 v144, v75, v120
	v_cvt_f32_i32_e32 v3, v138
	v_fmac_f32_e32 v4, v97, v2
	v_fmac_f32_e32 v144, v79, v165
	s_delay_alu instid0(VALU_DEP_3) | instskip(NEXT) | instid1(VALU_DEP_2)
	v_mul_f32_e32 v2, s37, v3
	v_dual_max_f32 v3, v83, v83 :: v_dual_fmac_f32 v144, v84, v128
	s_delay_alu instid0(VALU_DEP_2) | instskip(NEXT) | instid1(VALU_DEP_2)
	v_cndmask_b32_e32 v2, 0, v2, vcc_lo
	v_fmac_f32_e32 v144, v88, v173
	s_delay_alu instid0(VALU_DEP_1) | instskip(NEXT) | instid1(VALU_DEP_1)
	v_fmac_f32_e32 v144, v92, v136
	v_add_f32_e32 v1, v144, v1
	s_delay_alu instid0(VALU_DEP_1) | instskip(NEXT) | instid1(VALU_DEP_1)
	v_add_f32_e32 v1, v4, v1
	v_add_f32_e32 v1, v146, v1
	s_delay_alu instid0(VALU_DEP_1) | instskip(NEXT) | instid1(VALU_DEP_1)
	v_dual_fmac_f32 v2, s3, v1 :: v_dual_add_nc_u32 v1, v14, v103
	v_max_f32_e32 v3, v3, v2
	s_delay_alu instid0(VALU_DEP_2) | instskip(NEXT) | instid1(VALU_DEP_1)
	v_cmp_gt_i32_e64 s0, s33, v1
	v_cndmask_b32_e64 v1, 0, v2, s0
	s_delay_alu instid0(VALU_DEP_3)
	v_cndmask_b32_e64 v83, v83, v3, s0
	ds_store_b32 v102, v1
	s_branch .LBB181_11
.LBB181_16:
	s_or_b32 exec_lo, exec_lo, s41
.LBB181_17:
	s_delay_alu instid0(SALU_CYCLE_1) | instskip(SKIP_2) | instid1(VALU_DEP_2)
	s_or_b32 exec_lo, exec_lo, s39
	v_mbcnt_lo_u32_b32 v1, -1, 0
	v_max_f32_e32 v5, v83, v83
	v_xor_b32_e32 v2, 16, v1
	v_xor_b32_e32 v4, 8, v1
	s_delay_alu instid0(VALU_DEP_2) | instskip(SKIP_1) | instid1(VALU_DEP_3)
	v_cmp_gt_i32_e32 vcc_lo, 32, v2
	v_cndmask_b32_e32 v2, v1, v2, vcc_lo
	v_cmp_gt_i32_e32 vcc_lo, 32, v4
	s_delay_alu instid0(VALU_DEP_2) | instskip(SKIP_4) | instid1(VALU_DEP_1)
	v_lshlrev_b32_e32 v2, 2, v2
	v_cndmask_b32_e32 v4, v1, v4, vcc_lo
	ds_bpermute_b32 v3, v2, v83
	s_waitcnt lgkmcnt(0)
	v_dual_max_f32 v6, v3, v3 :: v_dual_lshlrev_b32 v3, 2, v4
	v_max_f32_e32 v4, v5, v6
	v_xor_b32_e32 v6, 4, v1
	ds_bpermute_b32 v5, v3, v4
	v_cmp_gt_i32_e32 vcc_lo, 32, v6
	v_cndmask_b32_e32 v6, v1, v6, vcc_lo
	s_waitcnt lgkmcnt(0)
	v_max_f32_e32 v7, v5, v5
	s_delay_alu instid0(VALU_DEP_1)
	v_dual_max_f32 v4, v4, v7 :: v_dual_lshlrev_b32 v5, 2, v6
	v_xor_b32_e32 v7, 2, v1
	ds_bpermute_b32 v6, v5, v4
	v_cmp_gt_i32_e32 vcc_lo, 32, v7
	s_waitcnt lgkmcnt(0)
	v_dual_cndmask_b32 v7, v1, v7 :: v_dual_max_f32 v6, v6, v6
	s_delay_alu instid0(VALU_DEP_1) | instskip(NEXT) | instid1(VALU_DEP_2)
	v_max_f32_e32 v4, v4, v6
	v_lshlrev_b32_e32 v16, 2, v7
	v_xor_b32_e32 v7, 1, v1
	s_delay_alu instid0(VALU_DEP_1)
	v_cmp_gt_i32_e32 vcc_lo, 32, v7
	v_cndmask_b32_e32 v7, v1, v7, vcc_lo
	ds_bpermute_b32 v6, v16, v4
	v_cmp_eq_u32_e32 vcc_lo, 0, v14
	v_lshlrev_b32_e32 v12, 2, v7
	s_waitcnt lgkmcnt(0)
	v_max_f32_e32 v6, v6, v6
	s_delay_alu instid0(VALU_DEP_1)
	v_dual_max_f32 v1, v4, v6 :: v_dual_lshlrev_b32 v6, 2, v13
	ds_bpermute_b32 v4, v12, v1
	s_and_saveexec_b32 s0, vcc_lo
	s_cbranch_execz .LBB181_19
; %bb.18:
	s_waitcnt lgkmcnt(0)
	v_dual_max_f32 v4, v4, v4 :: v_dual_max_f32 v1, v1, v1
	s_delay_alu instid0(VALU_DEP_1)
	v_max_f32_e32 v1, v1, v4
	ds_store_b32 v6, v1 offset:160
.LBB181_19:
	s_or_b32 exec_lo, exec_lo, s0
	v_cmp_gt_u32_e64 s0, 4, v14
	v_mov_b32_e32 v1, 0xff7fffff
	s_waitcnt lgkmcnt(0)
	s_barrier
	buffer_gl0_inv
	s_and_saveexec_b32 s1, s0
	s_cbranch_execz .LBB181_21
; %bb.20:
	ds_load_b32 v1, v17 offset:160
.LBB181_21:
	s_or_b32 exec_lo, exec_lo, s1
	s_waitcnt lgkmcnt(0)
	ds_bpermute_b32 v4, v16, v1
	v_max_f32_e32 v1, v1, v1
	s_sub_i32 s1, s8, s38
	v_mov_b32_e32 v7, 0
	s_lshl_b32 s1, s1, 5
	s_delay_alu instid0(SALU_CYCLE_1) | instskip(NEXT) | instid1(SALU_CYCLE_1)
	s_add_i32 s1, s1, s13
	s_min_i32 s1, s1, s33
	s_delay_alu instid0(SALU_CYCLE_1) | instskip(NEXT) | instid1(SALU_CYCLE_1)
	s_sub_i32 s7, s1, s13
	v_cmp_gt_i32_e64 s1, s7, v0
	s_waitcnt lgkmcnt(0)
	v_max_f32_e32 v4, v4, v4
	s_delay_alu instid0(VALU_DEP_1) | instskip(SKIP_3) | instid1(VALU_DEP_1)
	v_max_f32_e32 v1, v1, v4
	ds_bpermute_b32 v4, v12, v1
	s_waitcnt lgkmcnt(0)
	v_max_f32_e32 v4, v4, v4
	v_max_f32_e32 v1, v1, v4
	v_lshl_add_u32 v4, v0, 2, 0xc0
	ds_bpermute_b32 v1, v7, v1
	s_and_saveexec_b32 s13, s1
	s_cbranch_execz .LBB181_25
; %bb.22:
	v_lshl_add_u32 v8, v0, 2, 0xc0
	v_mov_b32_e32 v7, 0
	v_mov_b32_e32 v11, v0
	s_mov_b32 s37, 0
	.p2align	6
.LBB181_23:                             ; =>This Inner Loop Header: Depth=1
	ds_load_b32 v18, v8
	v_add_nc_u32_e32 v11, 0x80, v11
	s_delay_alu instid0(VALU_DEP_1) | instskip(NEXT) | instid1(VALU_DEP_1)
	v_cmp_le_i32_e64 s3, s7, v11
	s_or_b32 s37, s3, s37
	s_waitcnt lgkmcnt(0)
	v_sub_f32_e32 v18, v18, v1
	s_delay_alu instid0(VALU_DEP_1) | instskip(NEXT) | instid1(VALU_DEP_1)
	v_mul_f32_e32 v18, 0x3fb8aa3b, v18
	v_exp_f32_e32 v18, v18
	ds_store_b32 v8, v18
	v_dual_add_f32 v7, v7, v18 :: v_dual_add_nc_u32 v8, 0x200, v8
	s_and_not1_b32 exec_lo, exec_lo, s37
	s_cbranch_execnz .LBB181_23
; %bb.24:
	s_or_b32 exec_lo, exec_lo, s37
.LBB181_25:
	s_delay_alu instid0(SALU_CYCLE_1)
	s_or_b32 exec_lo, exec_lo, s13
	ds_bpermute_b32 v2, v2, v7
	s_waitcnt lgkmcnt(0)
	v_add_f32_e32 v2, v7, v2
	ds_bpermute_b32 v3, v3, v2
	s_waitcnt lgkmcnt(0)
	v_add_f32_e32 v2, v2, v3
	;; [unrolled: 3-line block ×5, first 2 shown]
	s_and_saveexec_b32 s3, vcc_lo
	s_cbranch_execz .LBB181_27
; %bb.26:
	ds_store_b32 v6, v2 offset:176
.LBB181_27:
	s_or_b32 exec_lo, exec_lo, s3
	s_waitcnt lgkmcnt(0)
	s_barrier
	buffer_gl0_inv
	s_and_saveexec_b32 s3, s0
	s_cbranch_execz .LBB181_29
; %bb.28:
	ds_load_b32 v2, v17 offset:176
.LBB181_29:
	s_or_b32 exec_lo, exec_lo, s3
	s_waitcnt lgkmcnt(0)
	ds_bpermute_b32 v3, v16, v2
	s_waitcnt lgkmcnt(0)
	v_add_f32_e32 v2, v2, v3
	ds_bpermute_b32 v3, v12, v2
	s_waitcnt lgkmcnt(0)
	v_dual_add_f32 v2, v2, v3 :: v_dual_mov_b32 v3, 0
	ds_bpermute_b32 v2, v3, v2
	s_and_saveexec_b32 s0, s1
	s_cbranch_execz .LBB181_32
; %bb.30:
	s_waitcnt lgkmcnt(0)
	v_add_f32_e32 v3, 0x358637bd, v2
	s_mov_b32 s1, 0
	s_delay_alu instid0(VALU_DEP_1) | instskip(SKIP_1) | instid1(VALU_DEP_2)
	v_div_scale_f32 v5, null, v3, v3, 1.0
	v_div_scale_f32 v8, vcc_lo, 1.0, v3, 1.0
	v_rcp_f32_e32 v6, v5
	s_waitcnt_depctr 0xfff
	v_fma_f32 v7, -v5, v6, 1.0
	s_delay_alu instid0(VALU_DEP_1) | instskip(NEXT) | instid1(VALU_DEP_1)
	v_fmac_f32_e32 v6, v7, v6
	v_mul_f32_e32 v7, v8, v6
	s_delay_alu instid0(VALU_DEP_1) | instskip(NEXT) | instid1(VALU_DEP_1)
	v_fma_f32 v11, -v5, v7, v8
	v_fmac_f32_e32 v7, v11, v6
	s_delay_alu instid0(VALU_DEP_1) | instskip(NEXT) | instid1(VALU_DEP_1)
	v_fma_f32 v5, -v5, v7, v8
	v_div_fmas_f32 v5, v5, v6, v7
	s_delay_alu instid0(VALU_DEP_1)
	v_div_fixup_f32 v3, v5, v3, 1.0
	v_mov_b32_e32 v5, v0
.LBB181_31:                             ; =>This Inner Loop Header: Depth=1
	ds_load_b32 v6, v4
	s_waitcnt lgkmcnt(0)
	v_dual_mul_f32 v6, v3, v6 :: v_dual_add_nc_u32 v5, 0x80, v5
	s_delay_alu instid0(VALU_DEP_1) | instskip(SKIP_3) | instid1(SALU_CYCLE_1)
	v_cmp_le_i32_e32 vcc_lo, s7, v5
	ds_store_b32 v4, v6
	v_add_nc_u32_e32 v4, 0x200, v4
	s_or_b32 s1, vcc_lo, s1
	s_and_not1_b32 exec_lo, exec_lo, s1
	s_cbranch_execnz .LBB181_31
.LBB181_32:
	s_or_b32 exec_lo, exec_lo, s0
	s_delay_alu instid0(SALU_CYCLE_1)
	s_mov_b32 s0, exec_lo
	s_waitcnt lgkmcnt(0)
	s_barrier
	buffer_gl0_inv
	v_cmpx_eq_u32_e32 0, v0
	s_cbranch_execz .LBB181_34
; %bb.33:
	s_mul_i32 s1, s4, s14
	s_mul_i32 s40, s4, s24
	;; [unrolled: 1-line block ×3, first 2 shown]
	v_mov_b32_e32 v3, 0
	s_ashr_i32 s39, s38, 31
	s_delay_alu instid0(SALU_CYCLE_1) | instskip(NEXT) | instid1(SALU_CYCLE_1)
	s_lshl_b64 s[38:39], s[38:39], 2
	s_add_u32 s1, s18, s38
	s_addc_u32 s3, s19, s39
	s_ashr_i32 s41, s40, 31
	s_delay_alu instid0(SALU_CYCLE_1) | instskip(NEXT) | instid1(SALU_CYCLE_1)
	s_lshl_b64 s[18:19], s[40:41], 2
	s_add_u32 s1, s1, s18
	s_addc_u32 s3, s3, s19
	;; [unrolled: 5-line block ×3, first 2 shown]
	s_add_u32 s1, s16, s38
	s_addc_u32 s3, s17, s39
	s_add_u32 s1, s1, s18
	s_addc_u32 s3, s3, s19
	;; [unrolled: 2-line block ×3, first 2 shown]
	s_clause 0x1
	global_store_b32 v3, v1, s[42:43]
	global_store_b32 v3, v2, s[16:17]
.LBB181_34:
	s_or_b32 exec_lo, exec_lo, s0
	v_dual_mov_b32 v27, 0 :: v_dual_mov_b32 v26, 0
	v_dual_mov_b32 v24, 0 :: v_dual_and_b32 v17, 3, v0
	v_dual_mov_b32 v25, 0 :: v_dual_mov_b32 v22, 0
	v_dual_mov_b32 v23, 0 :: v_dual_mov_b32 v20, 0
	;; [unrolled: 1-line block ×3, first 2 shown]
	v_mov_b32_e32 v19, 0
	s_mov_b32 s3, 0
	s_and_saveexec_b32 s1, s2
	s_cbranch_execz .LBB181_412
; %bb.35:
	s_ashr_i32 s7, s6, 31
	s_sub_i32 s2, s36, s9
	s_lshl_b64 s[6:7], s[6:7], 1
	v_dual_mov_b32 v18, 0 :: v_dual_lshlrev_b32 v5, 5, v17
	s_add_u32 s6, s30, s6
	s_addc_u32 s7, s31, s7
	s_abs_i32 s9, s10
	v_dual_mov_b32 v19, 0 :: v_dual_lshlrev_b32 v4, 3, v0
	v_cvt_f32_u32_e32 v1, s9
	s_sub_i32 s0, 0, s9
	v_lshl_or_b32 v5, v13, 7, v5
	s_delay_alu instid0(VALU_DEP_3) | instskip(NEXT) | instid1(VALU_DEP_3)
	v_dual_mov_b32 v27, 0 :: v_dual_and_b32 v28, 24, v4
	v_rcp_iflag_f32_e32 v3, v1
	v_mov_b32_e32 v22, 0
	v_and_b32_e32 v4, 0xf8, v4
	v_lshlrev_b64 v[1:2], 2, v[9:10]
	v_add_nc_u32_e32 v29, 0xc0, v5
	s_lshl_b64 s[16:17], s[28:29], 2
	s_add_i32 s10, s35, -1
	v_or_b32_e32 v7, 0x800, v4
	v_or_b32_e32 v8, 0x900, v4
	v_dual_mov_b32 v20, 0 :: v_dual_mov_b32 v21, 0
	v_mul_f32_e32 v3, 0x4f7ffffe, v3
	v_dual_mov_b32 v23, 0 :: v_dual_mov_b32 v24, 0
	v_dual_mov_b32 v25, 0 :: v_dual_mov_b32 v26, 0
	s_delay_alu instid0(VALU_DEP_3) | instskip(SKIP_3) | instid1(VALU_DEP_4)
	v_cvt_u32_f32_e32 v3, v3
	v_lshlrev_b32_e32 v30, 1, v4
	v_lshlrev_b32_e32 v31, 1, v7
	;; [unrolled: 1-line block ×3, first 2 shown]
	v_mul_lo_u32 v6, s0, v3
	s_add_u32 s0, s26, s16
	s_addc_u32 s13, s27, s17
	v_add_co_u32 v10, vcc_lo, s0, v1
	v_add_co_ci_u32_e32 v11, vcc_lo, s13, v2, vcc_lo
	s_delay_alu instid0(VALU_DEP_3) | instskip(NEXT) | instid1(VALU_DEP_1)
	v_mul_hi_u32 v5, v3, v6
	v_add_nc_u32_e32 v33, v3, v5
	s_branch .LBB181_38
.LBB181_36:                             ;   in Loop: Header=BB181_38 Depth=1
	s_or_b32 exec_lo, exec_lo, s0
	v_and_b32_e32 v6, 0xffff0000, v6
	v_and_b32_e32 v5, 0xffff0000, v5
	;; [unrolled: 1-line block ×6, first 2 shown]
	v_dual_add_f32 v5, v5, v6 :: v_dual_and_b32 v56, 0xffff0000, v99
	s_delay_alu instid0(VALU_DEP_4)
	v_add_f32_e32 v55, v58, v55
	v_and_b32_e32 v57, 0xffff0000, v98
	v_and_b32_e32 v49, 0xffff0000, v114
	v_and_b32_e32 v47, 0xffff0000, v113
	v_and_b32_e32 v41, 0xffff0000, v41
	v_and_b32_e32 v42, 0xffff0000, v42
	v_and_b32_e32 v4, 0xffff0000, v4
	v_add_f32_e32 v46, v49, v46
	v_dual_add_f32 v47, v48, v47 :: v_dual_and_b32 v50, 0xffff0000, v117
	v_and_b32_e32 v51, 0xffff0000, v116
	v_and_b32_e32 v48, 0xffff0000, v118
	;; [unrolled: 1-line block ×4, first 2 shown]
	v_dual_add_f32 v46, v47, v46 :: v_dual_and_b32 v49, 0xffff0000, v119
	v_dual_add_f32 v50, v51, v50 :: v_dual_and_b32 v47, 0xffff0000, v109
	v_and_b32_e32 v51, 0xffff0000, v108
	s_delay_alu instid0(VALU_DEP_3) | instskip(NEXT) | instid1(VALU_DEP_3)
	v_dual_add_f32 v1, v1, v42 :: v_dual_add_f32 v48, v48, v49
	v_dual_add_f32 v46, v46, v50 :: v_dual_and_b32 v49, 0xffff0000, v107
	v_and_b32_e32 v50, 0xffff0000, v106
	v_and_b32_e32 v8, 0xffff0000, v8
	;; [unrolled: 1-line block ×3, first 2 shown]
	s_delay_alu instid0(VALU_DEP_4) | instskip(NEXT) | instid1(VALU_DEP_4)
	v_dual_add_f32 v46, v46, v48 :: v_dual_and_b32 v53, 0xffff0000, v110
	v_add_f32_e32 v6, v50, v49
	v_and_b32_e32 v54, 0xffff0000, v111
	v_and_b32_e32 v37, 0xffff0000, v37
	s_delay_alu instid0(VALU_DEP_4) | instskip(NEXT) | instid1(VALU_DEP_4)
	v_dual_add_f32 v19, v19, v46 :: v_dual_and_b32 v46, 0xffff0000, v95
	v_dual_add_f32 v5, v5, v6 :: v_dual_add_f32 v6, v51, v47
	v_and_b32_e32 v51, 0xffff0000, v105
	v_and_b32_e32 v34, 0xffff0000, v34
	;; [unrolled: 1-line block ×4, first 2 shown]
	v_add_f32_e32 v5, v5, v6
	v_add_f32_e32 v50, v57, v56
	;; [unrolled: 1-line block ×3, first 2 shown]
	v_and_b32_e32 v56, 0xffff0000, v102
	v_dual_add_f32 v40, v40, v41 :: v_dual_and_b32 v39, 0xffff0000, v39
	s_delay_alu instid0(VALU_DEP_4) | instskip(NEXT) | instid1(VALU_DEP_4)
	v_dual_add_f32 v50, v50, v55 :: v_dual_and_b32 v47, 0xffff0000, v104
	v_add_f32_e32 v5, v5, v6
	v_and_b32_e32 v55, 0xffff0000, v82
	v_and_b32_e32 v53, 0xffff0000, v96
	s_delay_alu instid0(VALU_DEP_4) | instskip(NEXT) | instid1(VALU_DEP_4)
	v_add_f32_e32 v47, v47, v51
	v_dual_add_f32 v20, v20, v5 :: v_dual_and_b32 v51, 0xffff0000, v94
	s_delay_alu instid0(VALU_DEP_1) | instskip(SKIP_1) | instid1(VALU_DEP_2)
	v_dual_add_f32 v46, v51, v46 :: v_dual_and_b32 v49, 0xffff0000, v103
	v_and_b32_e32 v51, 0xffff0000, v86
	v_dual_add_f32 v49, v56, v49 :: v_dual_and_b32 v56, 0xffff0000, v84
	s_delay_alu instid0(VALU_DEP_1) | instskip(NEXT) | instid1(VALU_DEP_1)
	v_dual_add_f32 v48, v50, v49 :: v_dual_and_b32 v49, 0xffff0000, v90
	v_add_f32_e32 v6, v48, v47
	v_and_b32_e32 v48, 0xffff0000, v91
	v_and_b32_e32 v47, 0xffff0000, v93
	s_delay_alu instid0(VALU_DEP_3) | instskip(SKIP_1) | instid1(VALU_DEP_1)
	v_dual_add_f32 v21, v21, v6 :: v_dual_and_b32 v54, 0xffff0000, v97
	v_and_b32_e32 v50, 0xffff0000, v92
	v_dual_add_f32 v48, v49, v48 :: v_dual_add_f32 v47, v50, v47
	v_and_b32_e32 v50, 0xffff0000, v83
	s_delay_alu instid0(VALU_DEP_2) | instskip(NEXT) | instid1(VALU_DEP_2)
	v_add_f32_e32 v47, v48, v47
	v_dual_add_f32 v50, v55, v50 :: v_dual_and_b32 v49, 0xffff0000, v85
	v_and_b32_e32 v48, 0xffff0000, v87
	s_delay_alu instid0(VALU_DEP_2) | instskip(SKIP_2) | instid1(VALU_DEP_3)
	v_dual_add_f32 v46, v47, v46 :: v_dual_add_f32 v49, v56, v49
	v_add_f32_e32 v47, v53, v54
	v_and_b32_e32 v53, 0xffff0000, v88
	v_add_f32_e32 v49, v50, v49
	s_delay_alu instid0(VALU_DEP_3) | instskip(NEXT) | instid1(VALU_DEP_1)
	v_dual_add_f32 v5, v46, v47 :: v_dual_and_b32 v50, 0xffff0000, v89
	v_dual_add_f32 v46, v53, v50 :: v_dual_and_b32 v47, 0xffff0000, v77
	s_delay_alu instid0(VALU_DEP_2) | instskip(SKIP_3) | instid1(VALU_DEP_3)
	v_add_f32_e32 v22, v22, v5
	v_add_f32_e32 v48, v51, v48
	v_and_b32_e32 v51, 0xffff0000, v68
	v_and_b32_e32 v50, 0xffff0000, v76
	v_add_f32_e32 v6, v49, v48
	v_and_b32_e32 v48, 0xffff0000, v75
	s_delay_alu instid0(VALU_DEP_3) | instskip(SKIP_1) | instid1(VALU_DEP_1)
	v_dual_add_f32 v47, v50, v47 :: v_dual_and_b32 v50, 0xffff0000, v66
	v_and_b32_e32 v49, 0xffff0000, v74
	v_dual_add_f32 v5, v6, v46 :: v_dual_add_f32 v46, v49, v48
	v_and_b32_e32 v49, 0xffff0000, v81
	s_delay_alu instid0(VALU_DEP_2) | instskip(SKIP_2) | instid1(VALU_DEP_2)
	v_dual_add_f32 v23, v23, v5 :: v_dual_and_b32 v48, 0xffff0000, v78
	v_and_b32_e32 v5, 0xffff0000, v80
	v_and_b32_e32 v6, 0xffff0000, v79
	v_dual_add_f32 v46, v46, v47 :: v_dual_add_f32 v5, v5, v49
	s_delay_alu instid0(VALU_DEP_2) | instskip(NEXT) | instid1(VALU_DEP_1)
	v_dual_add_f32 v6, v48, v6 :: v_dual_and_b32 v47, 0xffff0000, v69
	v_add_f32_e32 v6, v46, v6
	v_and_b32_e32 v36, 0xffff0000, v36
	v_and_b32_e32 v7, 0xffff0000, v7
	;; [unrolled: 1-line block ×3, first 2 shown]
	v_add_f32_e32 v47, v51, v47
	s_delay_alu instid0(VALU_DEP_3) | instskip(NEXT) | instid1(VALU_DEP_3)
	v_add_f32_e32 v7, v7, v8
	v_add_f32_e32 v48, v50, v48
	;; [unrolled: 1-line block ×3, first 2 shown]
	s_delay_alu instid0(VALU_DEP_2) | instskip(SKIP_4) | instid1(VALU_DEP_2)
	v_dual_add_f32 v47, v48, v47 :: v_dual_and_b32 v34, 0xffff0000, v44
	v_and_b32_e32 v51, 0xffff0000, v52
	v_and_b32_e32 v52, 0xffff0000, v72
	;; [unrolled: 1-line block ×3, first 2 shown]
	v_dual_add_f32 v7, v7, v8 :: v_dual_and_b32 v48, 0xffff0000, v63
	v_dual_add_f32 v8, v36, v37 :: v_dual_add_f32 v41, v51, v50
	v_and_b32_e32 v51, 0xffff0000, v73
	s_delay_alu instid0(VALU_DEP_2) | instskip(SKIP_1) | instid1(VALU_DEP_4)
	v_dual_add_f32 v7, v7, v8 :: v_dual_and_b32 v50, 0xffff0000, v62
	v_and_b32_e32 v46, 0xffff0000, v71
	v_dual_add_f32 v40, v40, v41 :: v_dual_and_b32 v53, 0xffff0000, v70
	s_delay_alu instid0(VALU_DEP_3) | instskip(SKIP_2) | instid1(VALU_DEP_4)
	v_add_f32_e32 v41, v50, v48
	v_add_f32_e32 v8, v38, v39
	v_and_b32_e32 v3, 0xffff0000, v3
	v_dual_add_f32 v46, v53, v46 :: v_dual_and_b32 v49, 0xffff0000, v65
	s_delay_alu instid0(VALU_DEP_4) | instskip(NEXT) | instid1(VALU_DEP_2)
	v_dual_add_f32 v40, v40, v41 :: v_dual_and_b32 v41, 0xffff0000, v43
	v_add_f32_e32 v46, v47, v46
	s_delay_alu instid0(VALU_DEP_2) | instskip(NEXT) | instid1(VALU_DEP_1)
	v_add_f32_e32 v2, v2, v41
	v_add_f32_e32 v1, v1, v2
	v_dual_add_f32 v47, v52, v51 :: v_dual_add_f32 v2, v3, v34
	v_and_b32_e32 v48, 0xffff0000, v64
	v_and_b32_e32 v3, 0xffff0000, v45
	s_delay_alu instid0(VALU_DEP_2) | instskip(NEXT) | instid1(VALU_DEP_2)
	v_dual_add_f32 v1, v1, v2 :: v_dual_add_f32 v34, v48, v49
	v_add_f32_e32 v2, v4, v3
	v_add_f32_e32 v4, v46, v47
	v_dual_add_f32 v3, v6, v5 :: v_dual_add_f32 v6, v7, v8
	s_delay_alu instid0(VALU_DEP_4) | instskip(NEXT) | instid1(VALU_DEP_4)
	v_add_f32_e32 v5, v40, v34
	v_add_f32_e32 v1, v1, v2
	s_delay_alu instid0(VALU_DEP_3) | instskip(NEXT) | instid1(VALU_DEP_3)
	v_dual_add_f32 v25, v25, v4 :: v_dual_add_f32 v24, v24, v3
	v_dual_add_f32 v27, v27, v6 :: v_dual_add_f32 v26, v26, v5
	s_delay_alu instid0(VALU_DEP_3)
	v_add_f32_e32 v18, v18, v1
.LBB181_37:                             ;   in Loop: Header=BB181_38 Depth=1
	s_or_b32 exec_lo, exec_lo, s13
	v_add_nc_u32_e32 v9, 4, v9
	v_add_co_u32 v10, s0, v10, 16
	s_delay_alu instid0(VALU_DEP_1) | instskip(NEXT) | instid1(VALU_DEP_3)
	v_add_co_ci_u32_e64 v11, s0, 0, v11, s0
	v_cmp_le_i32_e32 vcc_lo, s8, v9
	v_add_nc_u32_e32 v15, 0x80, v15
	v_add_nc_u32_e32 v29, 0x200, v29
	s_or_b32 s3, vcc_lo, s3
	s_delay_alu instid0(SALU_CYCLE_1)
	s_and_not1_b32 exec_lo, exec_lo, s3
	s_cbranch_execz .LBB181_411
.LBB181_38:                             ; =>This Inner Loop Header: Depth=1
	v_sub_nc_u32_e32 v1, 0, v15
	s_delay_alu instid0(VALU_DEP_1) | instskip(NEXT) | instid1(VALU_DEP_1)
	v_max_i32_e32 v1, v15, v1
	v_mul_hi_u32 v2, v1, s25
	s_delay_alu instid0(VALU_DEP_1) | instskip(NEXT) | instid1(VALU_DEP_1)
	v_mul_lo_u32 v3, v2, s21
	v_sub_nc_u32_e32 v1, v1, v3
	v_add_nc_u32_e32 v3, 1, v2
	s_delay_alu instid0(VALU_DEP_2) | instskip(SKIP_1) | instid1(VALU_DEP_2)
	v_subrev_nc_u32_e32 v4, s21, v1
	v_cmp_le_u32_e32 vcc_lo, s21, v1
	v_dual_cndmask_b32 v2, v2, v3 :: v_dual_cndmask_b32 v1, v1, v4
	v_ashrrev_i32_e32 v3, 31, v15
	s_delay_alu instid0(VALU_DEP_2) | instskip(NEXT) | instid1(VALU_DEP_3)
	v_add_nc_u32_e32 v4, 1, v2
	v_cmp_le_u32_e32 vcc_lo, s21, v1
	s_delay_alu instid0(VALU_DEP_3) | instskip(NEXT) | instid1(VALU_DEP_3)
	v_xor_b32_e32 v3, s11, v3
	v_cndmask_b32_e32 v1, v2, v4, vcc_lo
	s_delay_alu instid0(VALU_DEP_1) | instskip(NEXT) | instid1(VALU_DEP_1)
	v_xor_b32_e32 v1, v1, v3
	v_sub_nc_u32_e32 v1, v1, v3
	s_delay_alu instid0(VALU_DEP_1) | instskip(SKIP_1) | instid1(VALU_DEP_2)
	v_add_nc_u32_e32 v2, s34, v1
	v_cmp_lt_i32_e64 s0, s2, v1
	v_sub_nc_u32_e32 v3, 0, v2
	s_delay_alu instid0(VALU_DEP_1) | instskip(NEXT) | instid1(VALU_DEP_1)
	v_max_i32_e32 v3, v2, v3
	v_mul_hi_u32 v4, v3, v33
	s_delay_alu instid0(VALU_DEP_1) | instskip(NEXT) | instid1(VALU_DEP_1)
	v_mul_lo_u32 v4, v4, s9
	v_sub_nc_u32_e32 v3, v3, v4
	s_delay_alu instid0(VALU_DEP_1) | instskip(SKIP_1) | instid1(VALU_DEP_2)
	v_subrev_nc_u32_e32 v4, s9, v3
	v_cmp_le_u32_e32 vcc_lo, s9, v3
	v_cndmask_b32_e32 v3, v3, v4, vcc_lo
	v_ashrrev_i32_e32 v2, 31, v2
	s_delay_alu instid0(VALU_DEP_2) | instskip(SKIP_1) | instid1(VALU_DEP_2)
	v_subrev_nc_u32_e32 v4, s9, v3
	v_cmp_le_u32_e32 vcc_lo, s9, v3
	v_cndmask_b32_e32 v3, v3, v4, vcc_lo
	s_delay_alu instid0(VALU_DEP_1) | instskip(NEXT) | instid1(VALU_DEP_1)
	v_xor_b32_e32 v3, v3, v2
	v_sub_nc_u32_e32 v2, v3, v2
	s_delay_alu instid0(VALU_DEP_1) | instskip(SKIP_1) | instid1(SALU_CYCLE_1)
	v_cmp_eq_u32_e32 vcc_lo, 0, v2
	s_or_b32 s0, vcc_lo, s0
	s_and_saveexec_b32 s13, s0
	s_cbranch_execz .LBB181_37
; %bb.39:                               ;   in Loop: Header=BB181_38 Depth=1
	global_load_b32 v42, v[10:11], off
	ds_load_2addr_b64 v[5:8], v29 offset1:1
	ds_load_2addr_b64 v[1:4], v29 offset0:2 offset1:3
	s_mov_b32 s0, exec_lo
                                        ; implicit-def: $vgpr41
	s_waitcnt lgkmcnt(1)
	v_and_b32_e32 v34, 0x7f800000, v5
	s_delay_alu instid0(VALU_DEP_1)
	v_cmpx_ne_u32_e32 0x7f800000, v34
	s_xor_b32 s0, exec_lo, s0
; %bb.40:                               ;   in Loop: Header=BB181_38 Depth=1
	v_bfe_u32 v34, v5, 16, 1
	s_delay_alu instid0(VALU_DEP_1)
	v_add3_u32 v41, v5, v34, 0x7fff
; %bb.41:                               ;   in Loop: Header=BB181_38 Depth=1
	s_and_not1_saveexec_b32 s0, s0
; %bb.42:                               ;   in Loop: Header=BB181_38 Depth=1
	v_and_b32_e32 v34, 0xffff, v5
	v_or_b32_e32 v35, 0x10000, v5
	s_delay_alu instid0(VALU_DEP_2) | instskip(NEXT) | instid1(VALU_DEP_2)
	v_cmp_eq_u32_e32 vcc_lo, 0, v34
	v_cndmask_b32_e32 v41, v35, v5, vcc_lo
; %bb.43:                               ;   in Loop: Header=BB181_38 Depth=1
	s_or_b32 exec_lo, exec_lo, s0
	v_and_b32_e32 v5, 0x7f800000, v6
	s_mov_b32 s0, exec_lo
                                        ; implicit-def: $vgpr40
	s_delay_alu instid0(VALU_DEP_1)
	v_cmpx_ne_u32_e32 0x7f800000, v5
	s_xor_b32 s0, exec_lo, s0
; %bb.44:                               ;   in Loop: Header=BB181_38 Depth=1
	v_bfe_u32 v5, v6, 16, 1
	s_delay_alu instid0(VALU_DEP_1)
	v_add3_u32 v40, v6, v5, 0x7fff
; %bb.45:                               ;   in Loop: Header=BB181_38 Depth=1
	s_and_not1_saveexec_b32 s0, s0
; %bb.46:                               ;   in Loop: Header=BB181_38 Depth=1
	v_and_b32_e32 v5, 0xffff, v6
	v_or_b32_e32 v34, 0x10000, v6
	s_delay_alu instid0(VALU_DEP_2) | instskip(NEXT) | instid1(VALU_DEP_2)
	v_cmp_eq_u32_e32 vcc_lo, 0, v5
	v_cndmask_b32_e32 v40, v34, v6, vcc_lo
; %bb.47:                               ;   in Loop: Header=BB181_38 Depth=1
	s_or_b32 exec_lo, exec_lo, s0
	v_and_b32_e32 v5, 0x7f800000, v7
	s_mov_b32 s0, exec_lo
                                        ; implicit-def: $vgpr34
	s_delay_alu instid0(VALU_DEP_1)
	v_cmpx_ne_u32_e32 0x7f800000, v5
	s_xor_b32 s0, exec_lo, s0
; %bb.48:                               ;   in Loop: Header=BB181_38 Depth=1
	v_bfe_u32 v5, v7, 16, 1
	s_delay_alu instid0(VALU_DEP_1)
	v_add3_u32 v34, v7, v5, 0x7fff
; %bb.49:                               ;   in Loop: Header=BB181_38 Depth=1
	s_and_not1_saveexec_b32 s0, s0
; %bb.50:                               ;   in Loop: Header=BB181_38 Depth=1
	v_and_b32_e32 v5, 0xffff, v7
	v_or_b32_e32 v6, 0x10000, v7
	s_delay_alu instid0(VALU_DEP_2) | instskip(NEXT) | instid1(VALU_DEP_2)
	v_cmp_eq_u32_e32 vcc_lo, 0, v5
	v_cndmask_b32_e32 v34, v6, v7, vcc_lo
; %bb.51:                               ;   in Loop: Header=BB181_38 Depth=1
	s_or_b32 exec_lo, exec_lo, s0
	v_and_b32_e32 v5, 0x7f800000, v8
	s_mov_b32 s0, exec_lo
                                        ; implicit-def: $vgpr35
	s_delay_alu instid0(VALU_DEP_1)
	v_cmpx_ne_u32_e32 0x7f800000, v5
	s_xor_b32 s0, exec_lo, s0
; %bb.52:                               ;   in Loop: Header=BB181_38 Depth=1
	v_bfe_u32 v5, v8, 16, 1
	s_delay_alu instid0(VALU_DEP_1)
	v_add3_u32 v35, v8, v5, 0x7fff
                                        ; implicit-def: $vgpr5_vgpr6_vgpr7_vgpr8
; %bb.53:                               ;   in Loop: Header=BB181_38 Depth=1
	s_and_not1_saveexec_b32 s0, s0
; %bb.54:                               ;   in Loop: Header=BB181_38 Depth=1
	v_and_b32_e32 v5, 0xffff, v8
	v_or_b32_e32 v6, 0x10000, v8
	s_delay_alu instid0(VALU_DEP_2) | instskip(NEXT) | instid1(VALU_DEP_2)
	v_cmp_eq_u32_e32 vcc_lo, 0, v5
	v_cndmask_b32_e32 v35, v6, v8, vcc_lo
; %bb.55:                               ;   in Loop: Header=BB181_38 Depth=1
	s_or_b32 exec_lo, exec_lo, s0
	s_waitcnt lgkmcnt(0)
	v_and_b32_e32 v5, 0x7f800000, v1
	s_mov_b32 s0, exec_lo
                                        ; implicit-def: $vgpr36
	s_delay_alu instid0(VALU_DEP_1)
	v_cmpx_ne_u32_e32 0x7f800000, v5
	s_xor_b32 s0, exec_lo, s0
; %bb.56:                               ;   in Loop: Header=BB181_38 Depth=1
	v_bfe_u32 v5, v1, 16, 1
	s_delay_alu instid0(VALU_DEP_1)
	v_add3_u32 v36, v1, v5, 0x7fff
; %bb.57:                               ;   in Loop: Header=BB181_38 Depth=1
	s_and_not1_saveexec_b32 s0, s0
; %bb.58:                               ;   in Loop: Header=BB181_38 Depth=1
	v_and_b32_e32 v5, 0xffff, v1
	v_or_b32_e32 v6, 0x10000, v1
	s_delay_alu instid0(VALU_DEP_2) | instskip(NEXT) | instid1(VALU_DEP_2)
	v_cmp_eq_u32_e32 vcc_lo, 0, v5
	v_cndmask_b32_e32 v36, v6, v1, vcc_lo
; %bb.59:                               ;   in Loop: Header=BB181_38 Depth=1
	s_or_b32 exec_lo, exec_lo, s0
	v_and_b32_e32 v1, 0x7f800000, v2
	s_mov_b32 s0, exec_lo
                                        ; implicit-def: $vgpr37
	s_delay_alu instid0(VALU_DEP_1)
	v_cmpx_ne_u32_e32 0x7f800000, v1
	s_xor_b32 s0, exec_lo, s0
; %bb.60:                               ;   in Loop: Header=BB181_38 Depth=1
	v_bfe_u32 v1, v2, 16, 1
	s_delay_alu instid0(VALU_DEP_1)
	v_add3_u32 v37, v2, v1, 0x7fff
; %bb.61:                               ;   in Loop: Header=BB181_38 Depth=1
	s_and_not1_saveexec_b32 s0, s0
; %bb.62:                               ;   in Loop: Header=BB181_38 Depth=1
	v_and_b32_e32 v1, 0xffff, v2
	v_or_b32_e32 v5, 0x10000, v2
	s_delay_alu instid0(VALU_DEP_2) | instskip(NEXT) | instid1(VALU_DEP_2)
	v_cmp_eq_u32_e32 vcc_lo, 0, v1
	v_cndmask_b32_e32 v37, v5, v2, vcc_lo
; %bb.63:                               ;   in Loop: Header=BB181_38 Depth=1
	s_or_b32 exec_lo, exec_lo, s0
	v_and_b32_e32 v1, 0x7f800000, v3
	s_mov_b32 s0, exec_lo
                                        ; implicit-def: $vgpr38
	s_delay_alu instid0(VALU_DEP_1)
	v_cmpx_ne_u32_e32 0x7f800000, v1
	s_xor_b32 s0, exec_lo, s0
; %bb.64:                               ;   in Loop: Header=BB181_38 Depth=1
	v_bfe_u32 v1, v3, 16, 1
	s_delay_alu instid0(VALU_DEP_1)
	v_add3_u32 v38, v3, v1, 0x7fff
; %bb.65:                               ;   in Loop: Header=BB181_38 Depth=1
	s_and_not1_saveexec_b32 s0, s0
; %bb.66:                               ;   in Loop: Header=BB181_38 Depth=1
	v_and_b32_e32 v1, 0xffff, v3
	v_or_b32_e32 v2, 0x10000, v3
	s_delay_alu instid0(VALU_DEP_2) | instskip(NEXT) | instid1(VALU_DEP_2)
	v_cmp_eq_u32_e32 vcc_lo, 0, v1
	v_cndmask_b32_e32 v38, v2, v3, vcc_lo
; %bb.67:                               ;   in Loop: Header=BB181_38 Depth=1
	s_or_b32 exec_lo, exec_lo, s0
	v_and_b32_e32 v1, 0x7f800000, v4
	s_mov_b32 s0, exec_lo
                                        ; implicit-def: $vgpr39
	s_delay_alu instid0(VALU_DEP_1)
	v_cmpx_ne_u32_e32 0x7f800000, v1
	s_xor_b32 s0, exec_lo, s0
; %bb.68:                               ;   in Loop: Header=BB181_38 Depth=1
	v_bfe_u32 v1, v4, 16, 1
	s_delay_alu instid0(VALU_DEP_1)
	v_add3_u32 v39, v4, v1, 0x7fff
                                        ; implicit-def: $vgpr1_vgpr2_vgpr3_vgpr4
; %bb.69:                               ;   in Loop: Header=BB181_38 Depth=1
	s_and_not1_saveexec_b32 s0, s0
; %bb.70:                               ;   in Loop: Header=BB181_38 Depth=1
	v_and_b32_e32 v1, 0xffff, v4
	v_or_b32_e32 v2, 0x10000, v4
	s_delay_alu instid0(VALU_DEP_2) | instskip(NEXT) | instid1(VALU_DEP_2)
	v_cmp_eq_u32_e32 vcc_lo, 0, v1
	v_cndmask_b32_e32 v39, v2, v4, vcc_lo
; %bb.71:                               ;   in Loop: Header=BB181_38 Depth=1
	s_or_b32 exec_lo, exec_lo, s0
	s_waitcnt vmcnt(0)
	v_mad_i64_i32 v[1:2], null, v42, s5, 0
	v_add_nc_u32_e32 v42, v28, v15
	s_delay_alu instid0(VALU_DEP_1) | instskip(NEXT) | instid1(VALU_DEP_3)
	v_add_nc_u32_e32 v49, 1, v42
	v_lshlrev_b64 v[1:2], 1, v[1:2]
	v_add_nc_u32_e32 v48, 2, v42
	v_add_nc_u32_e32 v46, 3, v42
	;; [unrolled: 1-line block ×5, first 2 shown]
	v_add_co_u32 v50, vcc_lo, s6, v1
	v_add_co_ci_u32_e32 v51, vcc_lo, s7, v2, vcc_lo
	v_add_nc_u32_e32 v47, 7, v42
	s_delay_alu instid0(VALU_DEP_3) | instskip(NEXT) | instid1(VALU_DEP_3)
	v_add_co_u32 v5, vcc_lo, v50, v30
	v_add_co_ci_u32_e32 v6, vcc_lo, 0, v51, vcc_lo
	v_cmp_eq_u32_e32 vcc_lo, s10, v9
	global_load_b128 v[1:4], v[5:6], off
	s_waitcnt vmcnt(0)
	v_lshrrev_b32_e32 v8, 16, v1
	v_lshrrev_b32_e32 v57, 16, v2
	;; [unrolled: 1-line block ×4, first 2 shown]
	s_and_saveexec_b32 s16, vcc_lo
	s_cbranch_execz .LBB181_73
; %bb.72:                               ;   in Loop: Header=BB181_38 Depth=1
	v_cmp_gt_i32_e64 s0, s33, v42
	s_delay_alu instid0(VALU_DEP_1) | instskip(SKIP_1) | instid1(VALU_DEP_1)
	v_cndmask_b32_e64 v1, 0, v1, s0
	v_cmp_gt_i32_e64 s0, s33, v49
	v_cndmask_b32_e64 v8, 0, v8, s0
	v_cmp_gt_i32_e64 s0, s33, v48
	s_delay_alu instid0(VALU_DEP_1) | instskip(SKIP_1) | instid1(VALU_DEP_1)
	v_cndmask_b32_e64 v2, 0, v2, s0
	v_cmp_gt_i32_e64 s0, s33, v46
	v_cndmask_b32_e64 v57, 0, v57, s0
	;; [unrolled: 5-line block ×4, first 2 shown]
.LBB181_73:                             ;   in Loop: Header=BB181_38 Depth=1
	s_or_b32 exec_lo, exec_lo, s16
	v_and_b32_e32 v53, 0xffff0000, v41
	v_lshlrev_b32_e32 v1, 16, v1
	s_delay_alu instid0(VALU_DEP_1) | instskip(NEXT) | instid1(VALU_DEP_1)
	v_mul_f32_e32 v1, v53, v1
	v_and_b32_e32 v7, 0x7f800000, v1
	s_delay_alu instid0(VALU_DEP_1) | instskip(NEXT) | instid1(VALU_DEP_1)
	v_cmp_ne_u32_e64 s0, 0x7f800000, v7
                                        ; implicit-def: $vgpr7
	s_and_saveexec_b32 s16, s0
	s_delay_alu instid0(SALU_CYCLE_1)
	s_xor_b32 s0, exec_lo, s16
; %bb.74:                               ;   in Loop: Header=BB181_38 Depth=1
	v_bfe_u32 v7, v1, 16, 1
	s_delay_alu instid0(VALU_DEP_1)
	v_add3_u32 v7, v1, v7, 0x7fff
                                        ; implicit-def: $vgpr1
; %bb.75:                               ;   in Loop: Header=BB181_38 Depth=1
	s_and_not1_saveexec_b32 s16, s0
; %bb.76:                               ;   in Loop: Header=BB181_38 Depth=1
	v_and_b32_e32 v7, 0xffff, v1
	v_or_b32_e32 v41, 0x10000, v1
	s_delay_alu instid0(VALU_DEP_2) | instskip(NEXT) | instid1(VALU_DEP_1)
	v_cmp_eq_u32_e64 s0, 0, v7
	v_cndmask_b32_e64 v7, v41, v1, s0
; %bb.77:                               ;   in Loop: Header=BB181_38 Depth=1
	s_or_b32 exec_lo, exec_lo, s16
	v_and_b32_e32 v54, 0xffff0000, v40
	v_lshlrev_b32_e32 v1, 16, v8
	s_delay_alu instid0(VALU_DEP_1) | instskip(NEXT) | instid1(VALU_DEP_1)
	v_mul_f32_e32 v1, v54, v1
	v_and_b32_e32 v8, 0x7f800000, v1
	s_delay_alu instid0(VALU_DEP_1) | instskip(NEXT) | instid1(VALU_DEP_1)
	v_cmp_ne_u32_e64 s0, 0x7f800000, v8
                                        ; implicit-def: $vgpr8
	s_and_saveexec_b32 s16, s0
	s_delay_alu instid0(SALU_CYCLE_1)
	s_xor_b32 s0, exec_lo, s16
; %bb.78:                               ;   in Loop: Header=BB181_38 Depth=1
	v_bfe_u32 v8, v1, 16, 1
	s_delay_alu instid0(VALU_DEP_1)
	v_add3_u32 v8, v1, v8, 0x7fff
                                        ; implicit-def: $vgpr1
; %bb.79:                               ;   in Loop: Header=BB181_38 Depth=1
	s_and_not1_saveexec_b32 s16, s0
; %bb.80:                               ;   in Loop: Header=BB181_38 Depth=1
	v_and_b32_e32 v8, 0xffff, v1
	v_or_b32_e32 v40, 0x10000, v1
	s_delay_alu instid0(VALU_DEP_2) | instskip(NEXT) | instid1(VALU_DEP_1)
	v_cmp_eq_u32_e64 s0, 0, v8
	v_cndmask_b32_e64 v8, v40, v1, s0
; %bb.81:                               ;   in Loop: Header=BB181_38 Depth=1
	s_or_b32 exec_lo, exec_lo, s16
	v_and_b32_e32 v55, 0xffff0000, v34
	v_lshlrev_b32_e32 v1, 16, v2
                                        ; implicit-def: $vgpr34
	s_delay_alu instid0(VALU_DEP_1) | instskip(NEXT) | instid1(VALU_DEP_1)
	v_mul_f32_e32 v1, v55, v1
	v_and_b32_e32 v2, 0x7f800000, v1
	s_delay_alu instid0(VALU_DEP_1) | instskip(NEXT) | instid1(VALU_DEP_1)
	v_cmp_ne_u32_e64 s0, 0x7f800000, v2
	s_and_saveexec_b32 s16, s0
	s_delay_alu instid0(SALU_CYCLE_1)
	s_xor_b32 s0, exec_lo, s16
; %bb.82:                               ;   in Loop: Header=BB181_38 Depth=1
	v_bfe_u32 v2, v1, 16, 1
	s_delay_alu instid0(VALU_DEP_1)
	v_add3_u32 v34, v1, v2, 0x7fff
                                        ; implicit-def: $vgpr1
; %bb.83:                               ;   in Loop: Header=BB181_38 Depth=1
	s_and_not1_saveexec_b32 s16, s0
; %bb.84:                               ;   in Loop: Header=BB181_38 Depth=1
	v_and_b32_e32 v2, 0xffff, v1
	v_or_b32_e32 v34, 0x10000, v1
	s_delay_alu instid0(VALU_DEP_2) | instskip(NEXT) | instid1(VALU_DEP_1)
	v_cmp_eq_u32_e64 s0, 0, v2
	v_cndmask_b32_e64 v34, v34, v1, s0
; %bb.85:                               ;   in Loop: Header=BB181_38 Depth=1
	s_or_b32 exec_lo, exec_lo, s16
	v_and_b32_e32 v56, 0xffff0000, v35
	v_lshlrev_b32_e32 v1, 16, v57
                                        ; implicit-def: $vgpr35
	s_delay_alu instid0(VALU_DEP_1) | instskip(NEXT) | instid1(VALU_DEP_1)
	v_mul_f32_e32 v1, v56, v1
	v_and_b32_e32 v2, 0x7f800000, v1
	s_delay_alu instid0(VALU_DEP_1) | instskip(NEXT) | instid1(VALU_DEP_1)
	v_cmp_ne_u32_e64 s0, 0x7f800000, v2
	s_and_saveexec_b32 s16, s0
	s_delay_alu instid0(SALU_CYCLE_1)
	s_xor_b32 s0, exec_lo, s16
; %bb.86:                               ;   in Loop: Header=BB181_38 Depth=1
	v_bfe_u32 v2, v1, 16, 1
	s_delay_alu instid0(VALU_DEP_1)
	v_add3_u32 v35, v1, v2, 0x7fff
                                        ; implicit-def: $vgpr1
; %bb.87:                               ;   in Loop: Header=BB181_38 Depth=1
	s_and_not1_saveexec_b32 s16, s0
; %bb.88:                               ;   in Loop: Header=BB181_38 Depth=1
	v_and_b32_e32 v2, 0xffff, v1
	v_or_b32_e32 v35, 0x10000, v1
	s_delay_alu instid0(VALU_DEP_2) | instskip(NEXT) | instid1(VALU_DEP_1)
	v_cmp_eq_u32_e64 s0, 0, v2
	v_cndmask_b32_e64 v35, v35, v1, s0
; %bb.89:                               ;   in Loop: Header=BB181_38 Depth=1
	s_or_b32 exec_lo, exec_lo, s16
	v_and_b32_e32 v57, 0xffff0000, v36
	v_lshlrev_b32_e32 v1, 16, v3
                                        ; implicit-def: $vgpr36
	s_delay_alu instid0(VALU_DEP_1) | instskip(NEXT) | instid1(VALU_DEP_1)
	v_mul_f32_e32 v1, v57, v1
	v_and_b32_e32 v2, 0x7f800000, v1
	s_delay_alu instid0(VALU_DEP_1) | instskip(NEXT) | instid1(VALU_DEP_1)
	v_cmp_ne_u32_e64 s0, 0x7f800000, v2
	s_and_saveexec_b32 s16, s0
	s_delay_alu instid0(SALU_CYCLE_1)
	s_xor_b32 s0, exec_lo, s16
; %bb.90:                               ;   in Loop: Header=BB181_38 Depth=1
	v_bfe_u32 v2, v1, 16, 1
	s_delay_alu instid0(VALU_DEP_1)
	v_add3_u32 v36, v1, v2, 0x7fff
                                        ; implicit-def: $vgpr1
; %bb.91:                               ;   in Loop: Header=BB181_38 Depth=1
	s_and_not1_saveexec_b32 s16, s0
; %bb.92:                               ;   in Loop: Header=BB181_38 Depth=1
	v_and_b32_e32 v2, 0xffff, v1
	v_or_b32_e32 v3, 0x10000, v1
	s_delay_alu instid0(VALU_DEP_2) | instskip(NEXT) | instid1(VALU_DEP_1)
	v_cmp_eq_u32_e64 s0, 0, v2
	v_cndmask_b32_e64 v36, v3, v1, s0
; %bb.93:                               ;   in Loop: Header=BB181_38 Depth=1
	s_or_b32 exec_lo, exec_lo, s16
	v_and_b32_e32 v58, 0xffff0000, v37
	v_lshlrev_b32_e32 v1, 16, v59
                                        ; implicit-def: $vgpr37
	s_delay_alu instid0(VALU_DEP_1) | instskip(NEXT) | instid1(VALU_DEP_1)
	v_mul_f32_e32 v1, v58, v1
	v_and_b32_e32 v2, 0x7f800000, v1
	s_delay_alu instid0(VALU_DEP_1) | instskip(NEXT) | instid1(VALU_DEP_1)
	v_cmp_ne_u32_e64 s0, 0x7f800000, v2
	s_and_saveexec_b32 s16, s0
	s_delay_alu instid0(SALU_CYCLE_1)
	s_xor_b32 s0, exec_lo, s16
; %bb.94:                               ;   in Loop: Header=BB181_38 Depth=1
	v_bfe_u32 v2, v1, 16, 1
	s_delay_alu instid0(VALU_DEP_1)
	v_add3_u32 v37, v1, v2, 0x7fff
                                        ; implicit-def: $vgpr1
; %bb.95:                               ;   in Loop: Header=BB181_38 Depth=1
	s_and_not1_saveexec_b32 s16, s0
; %bb.96:                               ;   in Loop: Header=BB181_38 Depth=1
	v_and_b32_e32 v2, 0xffff, v1
	v_or_b32_e32 v3, 0x10000, v1
	s_delay_alu instid0(VALU_DEP_2) | instskip(NEXT) | instid1(VALU_DEP_1)
	v_cmp_eq_u32_e64 s0, 0, v2
	v_cndmask_b32_e64 v37, v3, v1, s0
; %bb.97:                               ;   in Loop: Header=BB181_38 Depth=1
	s_or_b32 exec_lo, exec_lo, s16
	v_and_b32_e32 v59, 0xffff0000, v38
	v_lshlrev_b32_e32 v1, 16, v4
                                        ; implicit-def: $vgpr38
	s_delay_alu instid0(VALU_DEP_1) | instskip(NEXT) | instid1(VALU_DEP_1)
	v_mul_f32_e32 v1, v59, v1
	v_and_b32_e32 v2, 0x7f800000, v1
	s_delay_alu instid0(VALU_DEP_1) | instskip(NEXT) | instid1(VALU_DEP_1)
	v_cmp_ne_u32_e64 s0, 0x7f800000, v2
	s_and_saveexec_b32 s16, s0
	s_delay_alu instid0(SALU_CYCLE_1)
	s_xor_b32 s0, exec_lo, s16
; %bb.98:                               ;   in Loop: Header=BB181_38 Depth=1
	v_bfe_u32 v2, v1, 16, 1
	s_delay_alu instid0(VALU_DEP_1)
	v_add3_u32 v38, v1, v2, 0x7fff
                                        ; implicit-def: $vgpr1
; %bb.99:                               ;   in Loop: Header=BB181_38 Depth=1
	s_and_not1_saveexec_b32 s16, s0
; %bb.100:                              ;   in Loop: Header=BB181_38 Depth=1
	v_and_b32_e32 v2, 0xffff, v1
	v_or_b32_e32 v3, 0x10000, v1
	s_delay_alu instid0(VALU_DEP_2) | instskip(NEXT) | instid1(VALU_DEP_1)
	v_cmp_eq_u32_e64 s0, 0, v2
	v_cndmask_b32_e64 v38, v3, v1, s0
; %bb.101:                              ;   in Loop: Header=BB181_38 Depth=1
	s_or_b32 exec_lo, exec_lo, s16
	v_and_b32_e32 v60, 0xffff0000, v39
	v_lshlrev_b32_e32 v1, 16, v52
                                        ; implicit-def: $vgpr39
	s_delay_alu instid0(VALU_DEP_1) | instskip(NEXT) | instid1(VALU_DEP_1)
	v_mul_f32_e32 v1, v60, v1
	v_and_b32_e32 v2, 0x7f800000, v1
	s_delay_alu instid0(VALU_DEP_1) | instskip(NEXT) | instid1(VALU_DEP_1)
	v_cmp_ne_u32_e64 s0, 0x7f800000, v2
	s_and_saveexec_b32 s16, s0
	s_delay_alu instid0(SALU_CYCLE_1)
	s_xor_b32 s0, exec_lo, s16
; %bb.102:                              ;   in Loop: Header=BB181_38 Depth=1
	v_bfe_u32 v2, v1, 16, 1
	s_delay_alu instid0(VALU_DEP_1)
	v_add3_u32 v39, v1, v2, 0x7fff
                                        ; implicit-def: $vgpr1
; %bb.103:                              ;   in Loop: Header=BB181_38 Depth=1
	s_and_not1_saveexec_b32 s16, s0
; %bb.104:                              ;   in Loop: Header=BB181_38 Depth=1
	v_and_b32_e32 v2, 0xffff, v1
	v_or_b32_e32 v3, 0x10000, v1
	s_delay_alu instid0(VALU_DEP_2) | instskip(NEXT) | instid1(VALU_DEP_1)
	v_cmp_eq_u32_e64 s0, 0, v2
	v_cndmask_b32_e64 v39, v3, v1, s0
; %bb.105:                              ;   in Loop: Header=BB181_38 Depth=1
	s_or_b32 exec_lo, exec_lo, s16
	global_load_b128 v[1:4], v[5:6], off offset:512
	s_waitcnt vmcnt(0)
	v_lshrrev_b32_e32 v41, 16, v1
	v_lshrrev_b32_e32 v61, 16, v2
	;; [unrolled: 1-line block ×4, first 2 shown]
	s_and_saveexec_b32 s16, vcc_lo
	s_cbranch_execz .LBB181_107
; %bb.106:                              ;   in Loop: Header=BB181_38 Depth=1
	v_cmp_gt_i32_e64 s0, s33, v42
	s_delay_alu instid0(VALU_DEP_1) | instskip(SKIP_1) | instid1(VALU_DEP_1)
	v_cndmask_b32_e64 v1, 0, v1, s0
	v_cmp_gt_i32_e64 s0, s33, v49
	v_cndmask_b32_e64 v41, 0, v41, s0
	v_cmp_gt_i32_e64 s0, s33, v48
	s_delay_alu instid0(VALU_DEP_1) | instskip(SKIP_1) | instid1(VALU_DEP_1)
	v_cndmask_b32_e64 v2, 0, v2, s0
	v_cmp_gt_i32_e64 s0, s33, v46
	v_cndmask_b32_e64 v61, 0, v61, s0
	;; [unrolled: 5-line block ×4, first 2 shown]
.LBB181_107:                            ;   in Loop: Header=BB181_38 Depth=1
	s_or_b32 exec_lo, exec_lo, s16
	v_lshlrev_b32_e32 v1, 16, v1
	s_delay_alu instid0(VALU_DEP_1) | instskip(NEXT) | instid1(VALU_DEP_1)
	v_mul_f32_e32 v1, v53, v1
	v_and_b32_e32 v40, 0x7f800000, v1
	s_delay_alu instid0(VALU_DEP_1) | instskip(NEXT) | instid1(VALU_DEP_1)
	v_cmp_ne_u32_e64 s0, 0x7f800000, v40
                                        ; implicit-def: $vgpr40
	s_and_saveexec_b32 s16, s0
	s_delay_alu instid0(SALU_CYCLE_1)
	s_xor_b32 s0, exec_lo, s16
; %bb.108:                              ;   in Loop: Header=BB181_38 Depth=1
	v_bfe_u32 v40, v1, 16, 1
	s_delay_alu instid0(VALU_DEP_1)
	v_add3_u32 v40, v1, v40, 0x7fff
                                        ; implicit-def: $vgpr1
; %bb.109:                              ;   in Loop: Header=BB181_38 Depth=1
	s_and_not1_saveexec_b32 s16, s0
; %bb.110:                              ;   in Loop: Header=BB181_38 Depth=1
	v_and_b32_e32 v40, 0xffff, v1
	v_or_b32_e32 v52, 0x10000, v1
	s_delay_alu instid0(VALU_DEP_2) | instskip(NEXT) | instid1(VALU_DEP_1)
	v_cmp_eq_u32_e64 s0, 0, v40
	v_cndmask_b32_e64 v40, v52, v1, s0
; %bb.111:                              ;   in Loop: Header=BB181_38 Depth=1
	s_or_b32 exec_lo, exec_lo, s16
	v_lshlrev_b32_e32 v1, 16, v41
	s_delay_alu instid0(VALU_DEP_1) | instskip(NEXT) | instid1(VALU_DEP_1)
	v_mul_f32_e32 v1, v54, v1
	v_and_b32_e32 v41, 0x7f800000, v1
	s_delay_alu instid0(VALU_DEP_1) | instskip(NEXT) | instid1(VALU_DEP_1)
	v_cmp_ne_u32_e64 s0, 0x7f800000, v41
                                        ; implicit-def: $vgpr41
	s_and_saveexec_b32 s16, s0
	s_delay_alu instid0(SALU_CYCLE_1)
	s_xor_b32 s0, exec_lo, s16
; %bb.112:                              ;   in Loop: Header=BB181_38 Depth=1
	v_bfe_u32 v41, v1, 16, 1
	s_delay_alu instid0(VALU_DEP_1)
	v_add3_u32 v41, v1, v41, 0x7fff
                                        ; implicit-def: $vgpr1
; %bb.113:                              ;   in Loop: Header=BB181_38 Depth=1
	s_and_not1_saveexec_b32 s16, s0
; %bb.114:                              ;   in Loop: Header=BB181_38 Depth=1
	v_and_b32_e32 v41, 0xffff, v1
	v_or_b32_e32 v52, 0x10000, v1
	s_delay_alu instid0(VALU_DEP_2) | instskip(NEXT) | instid1(VALU_DEP_1)
	v_cmp_eq_u32_e64 s0, 0, v41
	v_cndmask_b32_e64 v41, v52, v1, s0
; %bb.115:                              ;   in Loop: Header=BB181_38 Depth=1
	s_or_b32 exec_lo, exec_lo, s16
	v_lshlrev_b32_e32 v1, 16, v2
                                        ; implicit-def: $vgpr52
	s_delay_alu instid0(VALU_DEP_1) | instskip(NEXT) | instid1(VALU_DEP_1)
	v_mul_f32_e32 v1, v55, v1
	v_and_b32_e32 v2, 0x7f800000, v1
	s_delay_alu instid0(VALU_DEP_1) | instskip(NEXT) | instid1(VALU_DEP_1)
	v_cmp_ne_u32_e64 s0, 0x7f800000, v2
	s_and_saveexec_b32 s16, s0
	s_delay_alu instid0(SALU_CYCLE_1)
	s_xor_b32 s0, exec_lo, s16
; %bb.116:                              ;   in Loop: Header=BB181_38 Depth=1
	v_bfe_u32 v2, v1, 16, 1
	s_delay_alu instid0(VALU_DEP_1)
	v_add3_u32 v52, v1, v2, 0x7fff
                                        ; implicit-def: $vgpr1
; %bb.117:                              ;   in Loop: Header=BB181_38 Depth=1
	s_and_not1_saveexec_b32 s16, s0
; %bb.118:                              ;   in Loop: Header=BB181_38 Depth=1
	v_and_b32_e32 v2, 0xffff, v1
	v_or_b32_e32 v52, 0x10000, v1
	s_delay_alu instid0(VALU_DEP_2) | instskip(NEXT) | instid1(VALU_DEP_1)
	v_cmp_eq_u32_e64 s0, 0, v2
	v_cndmask_b32_e64 v52, v52, v1, s0
; %bb.119:                              ;   in Loop: Header=BB181_38 Depth=1
	s_or_b32 exec_lo, exec_lo, s16
	v_lshlrev_b32_e32 v1, 16, v61
                                        ; implicit-def: $vgpr61
	s_delay_alu instid0(VALU_DEP_1) | instskip(NEXT) | instid1(VALU_DEP_1)
	v_mul_f32_e32 v1, v56, v1
	v_and_b32_e32 v2, 0x7f800000, v1
	s_delay_alu instid0(VALU_DEP_1) | instskip(NEXT) | instid1(VALU_DEP_1)
	v_cmp_ne_u32_e64 s0, 0x7f800000, v2
	s_and_saveexec_b32 s16, s0
	s_delay_alu instid0(SALU_CYCLE_1)
	s_xor_b32 s0, exec_lo, s16
; %bb.120:                              ;   in Loop: Header=BB181_38 Depth=1
	v_bfe_u32 v2, v1, 16, 1
	s_delay_alu instid0(VALU_DEP_1)
	v_add3_u32 v61, v1, v2, 0x7fff
                                        ; implicit-def: $vgpr1
; %bb.121:                              ;   in Loop: Header=BB181_38 Depth=1
	s_and_not1_saveexec_b32 s16, s0
; %bb.122:                              ;   in Loop: Header=BB181_38 Depth=1
	v_and_b32_e32 v2, 0xffff, v1
	v_or_b32_e32 v61, 0x10000, v1
	s_delay_alu instid0(VALU_DEP_2) | instskip(NEXT) | instid1(VALU_DEP_1)
	v_cmp_eq_u32_e64 s0, 0, v2
	v_cndmask_b32_e64 v61, v61, v1, s0
; %bb.123:                              ;   in Loop: Header=BB181_38 Depth=1
	s_or_b32 exec_lo, exec_lo, s16
	v_lshlrev_b32_e32 v1, 16, v3
                                        ; implicit-def: $vgpr62
	s_delay_alu instid0(VALU_DEP_1) | instskip(NEXT) | instid1(VALU_DEP_1)
	v_mul_f32_e32 v1, v57, v1
	v_and_b32_e32 v2, 0x7f800000, v1
	s_delay_alu instid0(VALU_DEP_1) | instskip(NEXT) | instid1(VALU_DEP_1)
	v_cmp_ne_u32_e64 s0, 0x7f800000, v2
	s_and_saveexec_b32 s16, s0
	s_delay_alu instid0(SALU_CYCLE_1)
	s_xor_b32 s0, exec_lo, s16
; %bb.124:                              ;   in Loop: Header=BB181_38 Depth=1
	v_bfe_u32 v2, v1, 16, 1
	s_delay_alu instid0(VALU_DEP_1)
	v_add3_u32 v62, v1, v2, 0x7fff
                                        ; implicit-def: $vgpr1
; %bb.125:                              ;   in Loop: Header=BB181_38 Depth=1
	s_and_not1_saveexec_b32 s16, s0
; %bb.126:                              ;   in Loop: Header=BB181_38 Depth=1
	v_and_b32_e32 v2, 0xffff, v1
	v_or_b32_e32 v3, 0x10000, v1
	s_delay_alu instid0(VALU_DEP_2) | instskip(NEXT) | instid1(VALU_DEP_1)
	v_cmp_eq_u32_e64 s0, 0, v2
	v_cndmask_b32_e64 v62, v3, v1, s0
; %bb.127:                              ;   in Loop: Header=BB181_38 Depth=1
	s_or_b32 exec_lo, exec_lo, s16
	v_lshlrev_b32_e32 v1, 16, v63
                                        ; implicit-def: $vgpr63
	s_delay_alu instid0(VALU_DEP_1) | instskip(NEXT) | instid1(VALU_DEP_1)
	v_mul_f32_e32 v1, v58, v1
	v_and_b32_e32 v2, 0x7f800000, v1
	s_delay_alu instid0(VALU_DEP_1) | instskip(NEXT) | instid1(VALU_DEP_1)
	v_cmp_ne_u32_e64 s0, 0x7f800000, v2
	s_and_saveexec_b32 s16, s0
	s_delay_alu instid0(SALU_CYCLE_1)
	s_xor_b32 s0, exec_lo, s16
; %bb.128:                              ;   in Loop: Header=BB181_38 Depth=1
	v_bfe_u32 v2, v1, 16, 1
	s_delay_alu instid0(VALU_DEP_1)
	v_add3_u32 v63, v1, v2, 0x7fff
                                        ; implicit-def: $vgpr1
; %bb.129:                              ;   in Loop: Header=BB181_38 Depth=1
	s_and_not1_saveexec_b32 s16, s0
; %bb.130:                              ;   in Loop: Header=BB181_38 Depth=1
	v_and_b32_e32 v2, 0xffff, v1
	v_or_b32_e32 v3, 0x10000, v1
	s_delay_alu instid0(VALU_DEP_2) | instskip(NEXT) | instid1(VALU_DEP_1)
	v_cmp_eq_u32_e64 s0, 0, v2
	v_cndmask_b32_e64 v63, v3, v1, s0
; %bb.131:                              ;   in Loop: Header=BB181_38 Depth=1
	s_or_b32 exec_lo, exec_lo, s16
	v_lshlrev_b32_e32 v1, 16, v4
                                        ; implicit-def: $vgpr64
	s_delay_alu instid0(VALU_DEP_1) | instskip(NEXT) | instid1(VALU_DEP_1)
	v_mul_f32_e32 v1, v59, v1
	v_and_b32_e32 v2, 0x7f800000, v1
	s_delay_alu instid0(VALU_DEP_1) | instskip(NEXT) | instid1(VALU_DEP_1)
	v_cmp_ne_u32_e64 s0, 0x7f800000, v2
	s_and_saveexec_b32 s16, s0
	s_delay_alu instid0(SALU_CYCLE_1)
	s_xor_b32 s0, exec_lo, s16
; %bb.132:                              ;   in Loop: Header=BB181_38 Depth=1
	v_bfe_u32 v2, v1, 16, 1
	s_delay_alu instid0(VALU_DEP_1)
	v_add3_u32 v64, v1, v2, 0x7fff
                                        ; implicit-def: $vgpr1
; %bb.133:                              ;   in Loop: Header=BB181_38 Depth=1
	s_and_not1_saveexec_b32 s16, s0
; %bb.134:                              ;   in Loop: Header=BB181_38 Depth=1
	v_and_b32_e32 v2, 0xffff, v1
	v_or_b32_e32 v3, 0x10000, v1
	s_delay_alu instid0(VALU_DEP_2) | instskip(NEXT) | instid1(VALU_DEP_1)
	v_cmp_eq_u32_e64 s0, 0, v2
	v_cndmask_b32_e64 v64, v3, v1, s0
; %bb.135:                              ;   in Loop: Header=BB181_38 Depth=1
	s_or_b32 exec_lo, exec_lo, s16
	v_lshlrev_b32_e32 v1, 16, v65
                                        ; implicit-def: $vgpr65
	s_delay_alu instid0(VALU_DEP_1) | instskip(NEXT) | instid1(VALU_DEP_1)
	v_mul_f32_e32 v1, v60, v1
	v_and_b32_e32 v2, 0x7f800000, v1
	s_delay_alu instid0(VALU_DEP_1) | instskip(NEXT) | instid1(VALU_DEP_1)
	v_cmp_ne_u32_e64 s0, 0x7f800000, v2
	s_and_saveexec_b32 s16, s0
	s_delay_alu instid0(SALU_CYCLE_1)
	s_xor_b32 s0, exec_lo, s16
; %bb.136:                              ;   in Loop: Header=BB181_38 Depth=1
	v_bfe_u32 v2, v1, 16, 1
	s_delay_alu instid0(VALU_DEP_1)
	v_add3_u32 v65, v1, v2, 0x7fff
                                        ; implicit-def: $vgpr1
; %bb.137:                              ;   in Loop: Header=BB181_38 Depth=1
	s_and_not1_saveexec_b32 s16, s0
; %bb.138:                              ;   in Loop: Header=BB181_38 Depth=1
	v_and_b32_e32 v2, 0xffff, v1
	v_or_b32_e32 v3, 0x10000, v1
	s_delay_alu instid0(VALU_DEP_2) | instskip(NEXT) | instid1(VALU_DEP_1)
	v_cmp_eq_u32_e64 s0, 0, v2
	v_cndmask_b32_e64 v65, v3, v1, s0
; %bb.139:                              ;   in Loop: Header=BB181_38 Depth=1
	s_or_b32 exec_lo, exec_lo, s16
	global_load_b128 v[1:4], v[5:6], off offset:1024
	s_waitcnt vmcnt(0)
	v_lshrrev_b32_e32 v67, 16, v1
	v_lshrrev_b32_e32 v69, 16, v2
	;; [unrolled: 1-line block ×4, first 2 shown]
	s_and_saveexec_b32 s16, vcc_lo
	s_cbranch_execz .LBB181_141
; %bb.140:                              ;   in Loop: Header=BB181_38 Depth=1
	v_cmp_gt_i32_e64 s0, s33, v42
	s_delay_alu instid0(VALU_DEP_1) | instskip(SKIP_1) | instid1(VALU_DEP_1)
	v_cndmask_b32_e64 v1, 0, v1, s0
	v_cmp_gt_i32_e64 s0, s33, v49
	v_cndmask_b32_e64 v67, 0, v67, s0
	v_cmp_gt_i32_e64 s0, s33, v48
	s_delay_alu instid0(VALU_DEP_1) | instskip(SKIP_1) | instid1(VALU_DEP_1)
	v_cndmask_b32_e64 v2, 0, v2, s0
	v_cmp_gt_i32_e64 s0, s33, v46
	v_cndmask_b32_e64 v69, 0, v69, s0
	v_cmp_gt_i32_e64 s0, s33, v45
	s_delay_alu instid0(VALU_DEP_1) | instskip(SKIP_1) | instid1(VALU_DEP_1)
	v_cndmask_b32_e64 v3, 0, v3, s0
	v_cmp_gt_i32_e64 s0, s33, v44
	v_cndmask_b32_e64 v71, 0, v71, s0
	v_cmp_gt_i32_e64 s0, s33, v43
	s_delay_alu instid0(VALU_DEP_1) | instskip(SKIP_1) | instid1(VALU_DEP_1)
	v_cndmask_b32_e64 v4, 0, v4, s0
	v_cmp_gt_i32_e64 s0, s33, v47
	v_cndmask_b32_e64 v73, 0, v73, s0
.LBB181_141:                            ;   in Loop: Header=BB181_38 Depth=1
	s_or_b32 exec_lo, exec_lo, s16
	v_lshlrev_b32_e32 v1, 16, v1
	s_delay_alu instid0(VALU_DEP_1) | instskip(NEXT) | instid1(VALU_DEP_1)
	v_mul_f32_e32 v1, v53, v1
	v_and_b32_e32 v66, 0x7f800000, v1
	s_delay_alu instid0(VALU_DEP_1) | instskip(NEXT) | instid1(VALU_DEP_1)
	v_cmp_ne_u32_e64 s0, 0x7f800000, v66
                                        ; implicit-def: $vgpr66
	s_and_saveexec_b32 s16, s0
	s_delay_alu instid0(SALU_CYCLE_1)
	s_xor_b32 s0, exec_lo, s16
; %bb.142:                              ;   in Loop: Header=BB181_38 Depth=1
	v_bfe_u32 v66, v1, 16, 1
	s_delay_alu instid0(VALU_DEP_1)
	v_add3_u32 v66, v1, v66, 0x7fff
                                        ; implicit-def: $vgpr1
; %bb.143:                              ;   in Loop: Header=BB181_38 Depth=1
	s_and_not1_saveexec_b32 s16, s0
; %bb.144:                              ;   in Loop: Header=BB181_38 Depth=1
	v_and_b32_e32 v66, 0xffff, v1
	v_or_b32_e32 v68, 0x10000, v1
	s_delay_alu instid0(VALU_DEP_2) | instskip(NEXT) | instid1(VALU_DEP_1)
	v_cmp_eq_u32_e64 s0, 0, v66
	v_cndmask_b32_e64 v66, v68, v1, s0
; %bb.145:                              ;   in Loop: Header=BB181_38 Depth=1
	s_or_b32 exec_lo, exec_lo, s16
	v_lshlrev_b32_e32 v1, 16, v67
	s_delay_alu instid0(VALU_DEP_1) | instskip(NEXT) | instid1(VALU_DEP_1)
	v_mul_f32_e32 v1, v54, v1
	v_and_b32_e32 v67, 0x7f800000, v1
	s_delay_alu instid0(VALU_DEP_1) | instskip(NEXT) | instid1(VALU_DEP_1)
	v_cmp_ne_u32_e64 s0, 0x7f800000, v67
                                        ; implicit-def: $vgpr67
	s_and_saveexec_b32 s16, s0
	s_delay_alu instid0(SALU_CYCLE_1)
	s_xor_b32 s0, exec_lo, s16
; %bb.146:                              ;   in Loop: Header=BB181_38 Depth=1
	v_bfe_u32 v67, v1, 16, 1
	s_delay_alu instid0(VALU_DEP_1)
	v_add3_u32 v67, v1, v67, 0x7fff
                                        ; implicit-def: $vgpr1
; %bb.147:                              ;   in Loop: Header=BB181_38 Depth=1
	s_and_not1_saveexec_b32 s16, s0
; %bb.148:                              ;   in Loop: Header=BB181_38 Depth=1
	v_and_b32_e32 v67, 0xffff, v1
	v_or_b32_e32 v68, 0x10000, v1
	s_delay_alu instid0(VALU_DEP_2) | instskip(NEXT) | instid1(VALU_DEP_1)
	v_cmp_eq_u32_e64 s0, 0, v67
	v_cndmask_b32_e64 v67, v68, v1, s0
; %bb.149:                              ;   in Loop: Header=BB181_38 Depth=1
	s_or_b32 exec_lo, exec_lo, s16
	v_lshlrev_b32_e32 v1, 16, v2
                                        ; implicit-def: $vgpr68
	s_delay_alu instid0(VALU_DEP_1) | instskip(NEXT) | instid1(VALU_DEP_1)
	v_mul_f32_e32 v1, v55, v1
	v_and_b32_e32 v2, 0x7f800000, v1
	s_delay_alu instid0(VALU_DEP_1) | instskip(NEXT) | instid1(VALU_DEP_1)
	v_cmp_ne_u32_e64 s0, 0x7f800000, v2
	s_and_saveexec_b32 s16, s0
	s_delay_alu instid0(SALU_CYCLE_1)
	s_xor_b32 s0, exec_lo, s16
; %bb.150:                              ;   in Loop: Header=BB181_38 Depth=1
	v_bfe_u32 v2, v1, 16, 1
	s_delay_alu instid0(VALU_DEP_1)
	v_add3_u32 v68, v1, v2, 0x7fff
                                        ; implicit-def: $vgpr1
; %bb.151:                              ;   in Loop: Header=BB181_38 Depth=1
	s_and_not1_saveexec_b32 s16, s0
; %bb.152:                              ;   in Loop: Header=BB181_38 Depth=1
	v_and_b32_e32 v2, 0xffff, v1
	v_or_b32_e32 v68, 0x10000, v1
	s_delay_alu instid0(VALU_DEP_2) | instskip(NEXT) | instid1(VALU_DEP_1)
	v_cmp_eq_u32_e64 s0, 0, v2
	v_cndmask_b32_e64 v68, v68, v1, s0
; %bb.153:                              ;   in Loop: Header=BB181_38 Depth=1
	s_or_b32 exec_lo, exec_lo, s16
	v_lshlrev_b32_e32 v1, 16, v69
                                        ; implicit-def: $vgpr69
	s_delay_alu instid0(VALU_DEP_1) | instskip(NEXT) | instid1(VALU_DEP_1)
	v_mul_f32_e32 v1, v56, v1
	v_and_b32_e32 v2, 0x7f800000, v1
	s_delay_alu instid0(VALU_DEP_1) | instskip(NEXT) | instid1(VALU_DEP_1)
	v_cmp_ne_u32_e64 s0, 0x7f800000, v2
	s_and_saveexec_b32 s16, s0
	s_delay_alu instid0(SALU_CYCLE_1)
	s_xor_b32 s0, exec_lo, s16
; %bb.154:                              ;   in Loop: Header=BB181_38 Depth=1
	v_bfe_u32 v2, v1, 16, 1
	s_delay_alu instid0(VALU_DEP_1)
	v_add3_u32 v69, v1, v2, 0x7fff
                                        ; implicit-def: $vgpr1
; %bb.155:                              ;   in Loop: Header=BB181_38 Depth=1
	s_and_not1_saveexec_b32 s16, s0
; %bb.156:                              ;   in Loop: Header=BB181_38 Depth=1
	v_and_b32_e32 v2, 0xffff, v1
	v_or_b32_e32 v69, 0x10000, v1
	s_delay_alu instid0(VALU_DEP_2) | instskip(NEXT) | instid1(VALU_DEP_1)
	v_cmp_eq_u32_e64 s0, 0, v2
	v_cndmask_b32_e64 v69, v69, v1, s0
; %bb.157:                              ;   in Loop: Header=BB181_38 Depth=1
	s_or_b32 exec_lo, exec_lo, s16
	v_lshlrev_b32_e32 v1, 16, v3
                                        ; implicit-def: $vgpr70
	s_delay_alu instid0(VALU_DEP_1) | instskip(NEXT) | instid1(VALU_DEP_1)
	v_mul_f32_e32 v1, v57, v1
	v_and_b32_e32 v2, 0x7f800000, v1
	s_delay_alu instid0(VALU_DEP_1) | instskip(NEXT) | instid1(VALU_DEP_1)
	v_cmp_ne_u32_e64 s0, 0x7f800000, v2
	s_and_saveexec_b32 s16, s0
	s_delay_alu instid0(SALU_CYCLE_1)
	s_xor_b32 s0, exec_lo, s16
; %bb.158:                              ;   in Loop: Header=BB181_38 Depth=1
	v_bfe_u32 v2, v1, 16, 1
	s_delay_alu instid0(VALU_DEP_1)
	v_add3_u32 v70, v1, v2, 0x7fff
                                        ; implicit-def: $vgpr1
; %bb.159:                              ;   in Loop: Header=BB181_38 Depth=1
	s_and_not1_saveexec_b32 s16, s0
; %bb.160:                              ;   in Loop: Header=BB181_38 Depth=1
	v_and_b32_e32 v2, 0xffff, v1
	v_or_b32_e32 v3, 0x10000, v1
	s_delay_alu instid0(VALU_DEP_2) | instskip(NEXT) | instid1(VALU_DEP_1)
	v_cmp_eq_u32_e64 s0, 0, v2
	v_cndmask_b32_e64 v70, v3, v1, s0
; %bb.161:                              ;   in Loop: Header=BB181_38 Depth=1
	s_or_b32 exec_lo, exec_lo, s16
	v_lshlrev_b32_e32 v1, 16, v71
                                        ; implicit-def: $vgpr71
	s_delay_alu instid0(VALU_DEP_1) | instskip(NEXT) | instid1(VALU_DEP_1)
	v_mul_f32_e32 v1, v58, v1
	v_and_b32_e32 v2, 0x7f800000, v1
	s_delay_alu instid0(VALU_DEP_1) | instskip(NEXT) | instid1(VALU_DEP_1)
	v_cmp_ne_u32_e64 s0, 0x7f800000, v2
	s_and_saveexec_b32 s16, s0
	s_delay_alu instid0(SALU_CYCLE_1)
	s_xor_b32 s0, exec_lo, s16
; %bb.162:                              ;   in Loop: Header=BB181_38 Depth=1
	v_bfe_u32 v2, v1, 16, 1
	s_delay_alu instid0(VALU_DEP_1)
	v_add3_u32 v71, v1, v2, 0x7fff
                                        ; implicit-def: $vgpr1
; %bb.163:                              ;   in Loop: Header=BB181_38 Depth=1
	s_and_not1_saveexec_b32 s16, s0
; %bb.164:                              ;   in Loop: Header=BB181_38 Depth=1
	v_and_b32_e32 v2, 0xffff, v1
	v_or_b32_e32 v3, 0x10000, v1
	s_delay_alu instid0(VALU_DEP_2) | instskip(NEXT) | instid1(VALU_DEP_1)
	v_cmp_eq_u32_e64 s0, 0, v2
	v_cndmask_b32_e64 v71, v3, v1, s0
; %bb.165:                              ;   in Loop: Header=BB181_38 Depth=1
	s_or_b32 exec_lo, exec_lo, s16
	v_lshlrev_b32_e32 v1, 16, v4
                                        ; implicit-def: $vgpr72
	s_delay_alu instid0(VALU_DEP_1) | instskip(NEXT) | instid1(VALU_DEP_1)
	v_mul_f32_e32 v1, v59, v1
	v_and_b32_e32 v2, 0x7f800000, v1
	s_delay_alu instid0(VALU_DEP_1) | instskip(NEXT) | instid1(VALU_DEP_1)
	v_cmp_ne_u32_e64 s0, 0x7f800000, v2
	s_and_saveexec_b32 s16, s0
	s_delay_alu instid0(SALU_CYCLE_1)
	s_xor_b32 s0, exec_lo, s16
; %bb.166:                              ;   in Loop: Header=BB181_38 Depth=1
	v_bfe_u32 v2, v1, 16, 1
	s_delay_alu instid0(VALU_DEP_1)
	v_add3_u32 v72, v1, v2, 0x7fff
                                        ; implicit-def: $vgpr1
; %bb.167:                              ;   in Loop: Header=BB181_38 Depth=1
	s_and_not1_saveexec_b32 s16, s0
; %bb.168:                              ;   in Loop: Header=BB181_38 Depth=1
	v_and_b32_e32 v2, 0xffff, v1
	v_or_b32_e32 v3, 0x10000, v1
	s_delay_alu instid0(VALU_DEP_2) | instskip(NEXT) | instid1(VALU_DEP_1)
	v_cmp_eq_u32_e64 s0, 0, v2
	v_cndmask_b32_e64 v72, v3, v1, s0
; %bb.169:                              ;   in Loop: Header=BB181_38 Depth=1
	s_or_b32 exec_lo, exec_lo, s16
	v_lshlrev_b32_e32 v1, 16, v73
                                        ; implicit-def: $vgpr73
	s_delay_alu instid0(VALU_DEP_1) | instskip(NEXT) | instid1(VALU_DEP_1)
	v_mul_f32_e32 v1, v60, v1
	v_and_b32_e32 v2, 0x7f800000, v1
	s_delay_alu instid0(VALU_DEP_1) | instskip(NEXT) | instid1(VALU_DEP_1)
	v_cmp_ne_u32_e64 s0, 0x7f800000, v2
	s_and_saveexec_b32 s16, s0
	s_delay_alu instid0(SALU_CYCLE_1)
	s_xor_b32 s0, exec_lo, s16
; %bb.170:                              ;   in Loop: Header=BB181_38 Depth=1
	v_bfe_u32 v2, v1, 16, 1
	s_delay_alu instid0(VALU_DEP_1)
	v_add3_u32 v73, v1, v2, 0x7fff
                                        ; implicit-def: $vgpr1
; %bb.171:                              ;   in Loop: Header=BB181_38 Depth=1
	s_and_not1_saveexec_b32 s16, s0
; %bb.172:                              ;   in Loop: Header=BB181_38 Depth=1
	v_and_b32_e32 v2, 0xffff, v1
	v_or_b32_e32 v3, 0x10000, v1
	s_delay_alu instid0(VALU_DEP_2) | instskip(NEXT) | instid1(VALU_DEP_1)
	v_cmp_eq_u32_e64 s0, 0, v2
	v_cndmask_b32_e64 v73, v3, v1, s0
; %bb.173:                              ;   in Loop: Header=BB181_38 Depth=1
	s_or_b32 exec_lo, exec_lo, s16
	global_load_b128 v[1:4], v[5:6], off offset:1536
	s_waitcnt vmcnt(0)
	v_lshrrev_b32_e32 v75, 16, v1
	v_lshrrev_b32_e32 v77, 16, v2
	;; [unrolled: 1-line block ×4, first 2 shown]
	s_and_saveexec_b32 s16, vcc_lo
	s_cbranch_execz .LBB181_175
; %bb.174:                              ;   in Loop: Header=BB181_38 Depth=1
	v_cmp_gt_i32_e64 s0, s33, v42
	s_delay_alu instid0(VALU_DEP_1) | instskip(SKIP_1) | instid1(VALU_DEP_1)
	v_cndmask_b32_e64 v1, 0, v1, s0
	v_cmp_gt_i32_e64 s0, s33, v49
	v_cndmask_b32_e64 v75, 0, v75, s0
	v_cmp_gt_i32_e64 s0, s33, v48
	s_delay_alu instid0(VALU_DEP_1) | instskip(SKIP_1) | instid1(VALU_DEP_1)
	v_cndmask_b32_e64 v2, 0, v2, s0
	v_cmp_gt_i32_e64 s0, s33, v46
	v_cndmask_b32_e64 v77, 0, v77, s0
	;; [unrolled: 5-line block ×4, first 2 shown]
.LBB181_175:                            ;   in Loop: Header=BB181_38 Depth=1
	s_or_b32 exec_lo, exec_lo, s16
	v_lshlrev_b32_e32 v1, 16, v1
	s_delay_alu instid0(VALU_DEP_1) | instskip(NEXT) | instid1(VALU_DEP_1)
	v_mul_f32_e32 v1, v53, v1
	v_and_b32_e32 v74, 0x7f800000, v1
	s_delay_alu instid0(VALU_DEP_1) | instskip(NEXT) | instid1(VALU_DEP_1)
	v_cmp_ne_u32_e64 s0, 0x7f800000, v74
                                        ; implicit-def: $vgpr74
	s_and_saveexec_b32 s16, s0
	s_delay_alu instid0(SALU_CYCLE_1)
	s_xor_b32 s0, exec_lo, s16
; %bb.176:                              ;   in Loop: Header=BB181_38 Depth=1
	v_bfe_u32 v74, v1, 16, 1
	s_delay_alu instid0(VALU_DEP_1)
	v_add3_u32 v74, v1, v74, 0x7fff
                                        ; implicit-def: $vgpr1
; %bb.177:                              ;   in Loop: Header=BB181_38 Depth=1
	s_and_not1_saveexec_b32 s16, s0
; %bb.178:                              ;   in Loop: Header=BB181_38 Depth=1
	v_and_b32_e32 v74, 0xffff, v1
	v_or_b32_e32 v76, 0x10000, v1
	s_delay_alu instid0(VALU_DEP_2) | instskip(NEXT) | instid1(VALU_DEP_1)
	v_cmp_eq_u32_e64 s0, 0, v74
	v_cndmask_b32_e64 v74, v76, v1, s0
; %bb.179:                              ;   in Loop: Header=BB181_38 Depth=1
	s_or_b32 exec_lo, exec_lo, s16
	v_lshlrev_b32_e32 v1, 16, v75
	s_delay_alu instid0(VALU_DEP_1) | instskip(NEXT) | instid1(VALU_DEP_1)
	v_mul_f32_e32 v1, v54, v1
	v_and_b32_e32 v75, 0x7f800000, v1
	s_delay_alu instid0(VALU_DEP_1) | instskip(NEXT) | instid1(VALU_DEP_1)
	v_cmp_ne_u32_e64 s0, 0x7f800000, v75
                                        ; implicit-def: $vgpr75
	s_and_saveexec_b32 s16, s0
	s_delay_alu instid0(SALU_CYCLE_1)
	s_xor_b32 s0, exec_lo, s16
; %bb.180:                              ;   in Loop: Header=BB181_38 Depth=1
	v_bfe_u32 v75, v1, 16, 1
	s_delay_alu instid0(VALU_DEP_1)
	v_add3_u32 v75, v1, v75, 0x7fff
                                        ; implicit-def: $vgpr1
; %bb.181:                              ;   in Loop: Header=BB181_38 Depth=1
	s_and_not1_saveexec_b32 s16, s0
; %bb.182:                              ;   in Loop: Header=BB181_38 Depth=1
	v_and_b32_e32 v75, 0xffff, v1
	v_or_b32_e32 v76, 0x10000, v1
	s_delay_alu instid0(VALU_DEP_2) | instskip(NEXT) | instid1(VALU_DEP_1)
	v_cmp_eq_u32_e64 s0, 0, v75
	v_cndmask_b32_e64 v75, v76, v1, s0
; %bb.183:                              ;   in Loop: Header=BB181_38 Depth=1
	s_or_b32 exec_lo, exec_lo, s16
	v_lshlrev_b32_e32 v1, 16, v2
                                        ; implicit-def: $vgpr76
	s_delay_alu instid0(VALU_DEP_1) | instskip(NEXT) | instid1(VALU_DEP_1)
	v_mul_f32_e32 v1, v55, v1
	v_and_b32_e32 v2, 0x7f800000, v1
	s_delay_alu instid0(VALU_DEP_1) | instskip(NEXT) | instid1(VALU_DEP_1)
	v_cmp_ne_u32_e64 s0, 0x7f800000, v2
	s_and_saveexec_b32 s16, s0
	s_delay_alu instid0(SALU_CYCLE_1)
	s_xor_b32 s0, exec_lo, s16
; %bb.184:                              ;   in Loop: Header=BB181_38 Depth=1
	v_bfe_u32 v2, v1, 16, 1
	s_delay_alu instid0(VALU_DEP_1)
	v_add3_u32 v76, v1, v2, 0x7fff
                                        ; implicit-def: $vgpr1
; %bb.185:                              ;   in Loop: Header=BB181_38 Depth=1
	s_and_not1_saveexec_b32 s16, s0
; %bb.186:                              ;   in Loop: Header=BB181_38 Depth=1
	v_and_b32_e32 v2, 0xffff, v1
	v_or_b32_e32 v76, 0x10000, v1
	s_delay_alu instid0(VALU_DEP_2) | instskip(NEXT) | instid1(VALU_DEP_1)
	v_cmp_eq_u32_e64 s0, 0, v2
	v_cndmask_b32_e64 v76, v76, v1, s0
; %bb.187:                              ;   in Loop: Header=BB181_38 Depth=1
	s_or_b32 exec_lo, exec_lo, s16
	v_lshlrev_b32_e32 v1, 16, v77
                                        ; implicit-def: $vgpr77
	s_delay_alu instid0(VALU_DEP_1) | instskip(NEXT) | instid1(VALU_DEP_1)
	v_mul_f32_e32 v1, v56, v1
	v_and_b32_e32 v2, 0x7f800000, v1
	s_delay_alu instid0(VALU_DEP_1) | instskip(NEXT) | instid1(VALU_DEP_1)
	v_cmp_ne_u32_e64 s0, 0x7f800000, v2
	s_and_saveexec_b32 s16, s0
	s_delay_alu instid0(SALU_CYCLE_1)
	s_xor_b32 s0, exec_lo, s16
; %bb.188:                              ;   in Loop: Header=BB181_38 Depth=1
	v_bfe_u32 v2, v1, 16, 1
	s_delay_alu instid0(VALU_DEP_1)
	v_add3_u32 v77, v1, v2, 0x7fff
                                        ; implicit-def: $vgpr1
; %bb.189:                              ;   in Loop: Header=BB181_38 Depth=1
	s_and_not1_saveexec_b32 s16, s0
; %bb.190:                              ;   in Loop: Header=BB181_38 Depth=1
	v_and_b32_e32 v2, 0xffff, v1
	v_or_b32_e32 v77, 0x10000, v1
	s_delay_alu instid0(VALU_DEP_2) | instskip(NEXT) | instid1(VALU_DEP_1)
	v_cmp_eq_u32_e64 s0, 0, v2
	v_cndmask_b32_e64 v77, v77, v1, s0
; %bb.191:                              ;   in Loop: Header=BB181_38 Depth=1
	s_or_b32 exec_lo, exec_lo, s16
	v_lshlrev_b32_e32 v1, 16, v3
                                        ; implicit-def: $vgpr78
	s_delay_alu instid0(VALU_DEP_1) | instskip(NEXT) | instid1(VALU_DEP_1)
	v_mul_f32_e32 v1, v57, v1
	v_and_b32_e32 v2, 0x7f800000, v1
	s_delay_alu instid0(VALU_DEP_1) | instskip(NEXT) | instid1(VALU_DEP_1)
	v_cmp_ne_u32_e64 s0, 0x7f800000, v2
	s_and_saveexec_b32 s16, s0
	s_delay_alu instid0(SALU_CYCLE_1)
	s_xor_b32 s0, exec_lo, s16
; %bb.192:                              ;   in Loop: Header=BB181_38 Depth=1
	v_bfe_u32 v2, v1, 16, 1
	s_delay_alu instid0(VALU_DEP_1)
	v_add3_u32 v78, v1, v2, 0x7fff
                                        ; implicit-def: $vgpr1
; %bb.193:                              ;   in Loop: Header=BB181_38 Depth=1
	s_and_not1_saveexec_b32 s16, s0
; %bb.194:                              ;   in Loop: Header=BB181_38 Depth=1
	v_and_b32_e32 v2, 0xffff, v1
	v_or_b32_e32 v3, 0x10000, v1
	s_delay_alu instid0(VALU_DEP_2) | instskip(NEXT) | instid1(VALU_DEP_1)
	v_cmp_eq_u32_e64 s0, 0, v2
	v_cndmask_b32_e64 v78, v3, v1, s0
; %bb.195:                              ;   in Loop: Header=BB181_38 Depth=1
	s_or_b32 exec_lo, exec_lo, s16
	v_lshlrev_b32_e32 v1, 16, v79
                                        ; implicit-def: $vgpr79
	s_delay_alu instid0(VALU_DEP_1) | instskip(NEXT) | instid1(VALU_DEP_1)
	v_mul_f32_e32 v1, v58, v1
	v_and_b32_e32 v2, 0x7f800000, v1
	s_delay_alu instid0(VALU_DEP_1) | instskip(NEXT) | instid1(VALU_DEP_1)
	v_cmp_ne_u32_e64 s0, 0x7f800000, v2
	s_and_saveexec_b32 s16, s0
	s_delay_alu instid0(SALU_CYCLE_1)
	s_xor_b32 s0, exec_lo, s16
; %bb.196:                              ;   in Loop: Header=BB181_38 Depth=1
	v_bfe_u32 v2, v1, 16, 1
	s_delay_alu instid0(VALU_DEP_1)
	v_add3_u32 v79, v1, v2, 0x7fff
                                        ; implicit-def: $vgpr1
; %bb.197:                              ;   in Loop: Header=BB181_38 Depth=1
	s_and_not1_saveexec_b32 s16, s0
; %bb.198:                              ;   in Loop: Header=BB181_38 Depth=1
	v_and_b32_e32 v2, 0xffff, v1
	v_or_b32_e32 v3, 0x10000, v1
	s_delay_alu instid0(VALU_DEP_2) | instskip(NEXT) | instid1(VALU_DEP_1)
	v_cmp_eq_u32_e64 s0, 0, v2
	v_cndmask_b32_e64 v79, v3, v1, s0
; %bb.199:                              ;   in Loop: Header=BB181_38 Depth=1
	s_or_b32 exec_lo, exec_lo, s16
	v_lshlrev_b32_e32 v1, 16, v4
                                        ; implicit-def: $vgpr80
	s_delay_alu instid0(VALU_DEP_1) | instskip(NEXT) | instid1(VALU_DEP_1)
	v_mul_f32_e32 v1, v59, v1
	v_and_b32_e32 v2, 0x7f800000, v1
	s_delay_alu instid0(VALU_DEP_1) | instskip(NEXT) | instid1(VALU_DEP_1)
	v_cmp_ne_u32_e64 s0, 0x7f800000, v2
	s_and_saveexec_b32 s16, s0
	s_delay_alu instid0(SALU_CYCLE_1)
	s_xor_b32 s0, exec_lo, s16
; %bb.200:                              ;   in Loop: Header=BB181_38 Depth=1
	v_bfe_u32 v2, v1, 16, 1
	s_delay_alu instid0(VALU_DEP_1)
	v_add3_u32 v80, v1, v2, 0x7fff
                                        ; implicit-def: $vgpr1
; %bb.201:                              ;   in Loop: Header=BB181_38 Depth=1
	s_and_not1_saveexec_b32 s16, s0
; %bb.202:                              ;   in Loop: Header=BB181_38 Depth=1
	v_and_b32_e32 v2, 0xffff, v1
	v_or_b32_e32 v3, 0x10000, v1
	s_delay_alu instid0(VALU_DEP_2) | instskip(NEXT) | instid1(VALU_DEP_1)
	v_cmp_eq_u32_e64 s0, 0, v2
	v_cndmask_b32_e64 v80, v3, v1, s0
; %bb.203:                              ;   in Loop: Header=BB181_38 Depth=1
	s_or_b32 exec_lo, exec_lo, s16
	v_lshlrev_b32_e32 v1, 16, v81
                                        ; implicit-def: $vgpr81
	s_delay_alu instid0(VALU_DEP_1) | instskip(NEXT) | instid1(VALU_DEP_1)
	v_mul_f32_e32 v1, v60, v1
	v_and_b32_e32 v2, 0x7f800000, v1
	s_delay_alu instid0(VALU_DEP_1) | instskip(NEXT) | instid1(VALU_DEP_1)
	v_cmp_ne_u32_e64 s0, 0x7f800000, v2
	s_and_saveexec_b32 s16, s0
	s_delay_alu instid0(SALU_CYCLE_1)
	s_xor_b32 s0, exec_lo, s16
; %bb.204:                              ;   in Loop: Header=BB181_38 Depth=1
	v_bfe_u32 v2, v1, 16, 1
	s_delay_alu instid0(VALU_DEP_1)
	v_add3_u32 v81, v1, v2, 0x7fff
                                        ; implicit-def: $vgpr1
; %bb.205:                              ;   in Loop: Header=BB181_38 Depth=1
	s_and_not1_saveexec_b32 s16, s0
; %bb.206:                              ;   in Loop: Header=BB181_38 Depth=1
	v_and_b32_e32 v2, 0xffff, v1
	v_or_b32_e32 v3, 0x10000, v1
	s_delay_alu instid0(VALU_DEP_2) | instskip(NEXT) | instid1(VALU_DEP_1)
	v_cmp_eq_u32_e64 s0, 0, v2
	v_cndmask_b32_e64 v81, v3, v1, s0
; %bb.207:                              ;   in Loop: Header=BB181_38 Depth=1
	s_or_b32 exec_lo, exec_lo, s16
	global_load_b128 v[1:4], v[5:6], off offset:2048
	s_waitcnt vmcnt(0)
	v_lshrrev_b32_e32 v83, 16, v1
	v_lshrrev_b32_e32 v85, 16, v2
	;; [unrolled: 1-line block ×4, first 2 shown]
	s_and_saveexec_b32 s16, vcc_lo
	s_cbranch_execz .LBB181_209
; %bb.208:                              ;   in Loop: Header=BB181_38 Depth=1
	v_cmp_gt_i32_e64 s0, s33, v42
	s_delay_alu instid0(VALU_DEP_1) | instskip(SKIP_1) | instid1(VALU_DEP_1)
	v_cndmask_b32_e64 v1, 0, v1, s0
	v_cmp_gt_i32_e64 s0, s33, v49
	v_cndmask_b32_e64 v83, 0, v83, s0
	v_cmp_gt_i32_e64 s0, s33, v48
	s_delay_alu instid0(VALU_DEP_1) | instskip(SKIP_1) | instid1(VALU_DEP_1)
	v_cndmask_b32_e64 v2, 0, v2, s0
	v_cmp_gt_i32_e64 s0, s33, v46
	v_cndmask_b32_e64 v85, 0, v85, s0
	;; [unrolled: 5-line block ×4, first 2 shown]
.LBB181_209:                            ;   in Loop: Header=BB181_38 Depth=1
	s_or_b32 exec_lo, exec_lo, s16
	v_lshlrev_b32_e32 v1, 16, v1
	s_delay_alu instid0(VALU_DEP_1) | instskip(NEXT) | instid1(VALU_DEP_1)
	v_mul_f32_e32 v1, v53, v1
	v_and_b32_e32 v82, 0x7f800000, v1
	s_delay_alu instid0(VALU_DEP_1) | instskip(NEXT) | instid1(VALU_DEP_1)
	v_cmp_ne_u32_e64 s0, 0x7f800000, v82
                                        ; implicit-def: $vgpr82
	s_and_saveexec_b32 s16, s0
	s_delay_alu instid0(SALU_CYCLE_1)
	s_xor_b32 s0, exec_lo, s16
; %bb.210:                              ;   in Loop: Header=BB181_38 Depth=1
	v_bfe_u32 v82, v1, 16, 1
	s_delay_alu instid0(VALU_DEP_1)
	v_add3_u32 v82, v1, v82, 0x7fff
                                        ; implicit-def: $vgpr1
; %bb.211:                              ;   in Loop: Header=BB181_38 Depth=1
	s_and_not1_saveexec_b32 s16, s0
; %bb.212:                              ;   in Loop: Header=BB181_38 Depth=1
	v_and_b32_e32 v82, 0xffff, v1
	v_or_b32_e32 v84, 0x10000, v1
	s_delay_alu instid0(VALU_DEP_2) | instskip(NEXT) | instid1(VALU_DEP_1)
	v_cmp_eq_u32_e64 s0, 0, v82
	v_cndmask_b32_e64 v82, v84, v1, s0
; %bb.213:                              ;   in Loop: Header=BB181_38 Depth=1
	s_or_b32 exec_lo, exec_lo, s16
	v_lshlrev_b32_e32 v1, 16, v83
	s_delay_alu instid0(VALU_DEP_1) | instskip(NEXT) | instid1(VALU_DEP_1)
	v_mul_f32_e32 v1, v54, v1
	v_and_b32_e32 v83, 0x7f800000, v1
	s_delay_alu instid0(VALU_DEP_1) | instskip(NEXT) | instid1(VALU_DEP_1)
	v_cmp_ne_u32_e64 s0, 0x7f800000, v83
                                        ; implicit-def: $vgpr83
	s_and_saveexec_b32 s16, s0
	s_delay_alu instid0(SALU_CYCLE_1)
	s_xor_b32 s0, exec_lo, s16
; %bb.214:                              ;   in Loop: Header=BB181_38 Depth=1
	v_bfe_u32 v83, v1, 16, 1
	s_delay_alu instid0(VALU_DEP_1)
	v_add3_u32 v83, v1, v83, 0x7fff
                                        ; implicit-def: $vgpr1
; %bb.215:                              ;   in Loop: Header=BB181_38 Depth=1
	s_and_not1_saveexec_b32 s16, s0
; %bb.216:                              ;   in Loop: Header=BB181_38 Depth=1
	v_and_b32_e32 v83, 0xffff, v1
	v_or_b32_e32 v84, 0x10000, v1
	s_delay_alu instid0(VALU_DEP_2) | instskip(NEXT) | instid1(VALU_DEP_1)
	v_cmp_eq_u32_e64 s0, 0, v83
	v_cndmask_b32_e64 v83, v84, v1, s0
; %bb.217:                              ;   in Loop: Header=BB181_38 Depth=1
	s_or_b32 exec_lo, exec_lo, s16
	v_lshlrev_b32_e32 v1, 16, v2
                                        ; implicit-def: $vgpr84
	s_delay_alu instid0(VALU_DEP_1) | instskip(NEXT) | instid1(VALU_DEP_1)
	v_mul_f32_e32 v1, v55, v1
	v_and_b32_e32 v2, 0x7f800000, v1
	s_delay_alu instid0(VALU_DEP_1) | instskip(NEXT) | instid1(VALU_DEP_1)
	v_cmp_ne_u32_e64 s0, 0x7f800000, v2
	s_and_saveexec_b32 s16, s0
	s_delay_alu instid0(SALU_CYCLE_1)
	s_xor_b32 s0, exec_lo, s16
; %bb.218:                              ;   in Loop: Header=BB181_38 Depth=1
	v_bfe_u32 v2, v1, 16, 1
	s_delay_alu instid0(VALU_DEP_1)
	v_add3_u32 v84, v1, v2, 0x7fff
                                        ; implicit-def: $vgpr1
; %bb.219:                              ;   in Loop: Header=BB181_38 Depth=1
	s_and_not1_saveexec_b32 s16, s0
; %bb.220:                              ;   in Loop: Header=BB181_38 Depth=1
	v_and_b32_e32 v2, 0xffff, v1
	v_or_b32_e32 v84, 0x10000, v1
	s_delay_alu instid0(VALU_DEP_2) | instskip(NEXT) | instid1(VALU_DEP_1)
	v_cmp_eq_u32_e64 s0, 0, v2
	v_cndmask_b32_e64 v84, v84, v1, s0
; %bb.221:                              ;   in Loop: Header=BB181_38 Depth=1
	s_or_b32 exec_lo, exec_lo, s16
	v_lshlrev_b32_e32 v1, 16, v85
                                        ; implicit-def: $vgpr85
	s_delay_alu instid0(VALU_DEP_1) | instskip(NEXT) | instid1(VALU_DEP_1)
	v_mul_f32_e32 v1, v56, v1
	v_and_b32_e32 v2, 0x7f800000, v1
	s_delay_alu instid0(VALU_DEP_1) | instskip(NEXT) | instid1(VALU_DEP_1)
	v_cmp_ne_u32_e64 s0, 0x7f800000, v2
	s_and_saveexec_b32 s16, s0
	s_delay_alu instid0(SALU_CYCLE_1)
	s_xor_b32 s0, exec_lo, s16
; %bb.222:                              ;   in Loop: Header=BB181_38 Depth=1
	v_bfe_u32 v2, v1, 16, 1
	s_delay_alu instid0(VALU_DEP_1)
	v_add3_u32 v85, v1, v2, 0x7fff
                                        ; implicit-def: $vgpr1
; %bb.223:                              ;   in Loop: Header=BB181_38 Depth=1
	s_and_not1_saveexec_b32 s16, s0
; %bb.224:                              ;   in Loop: Header=BB181_38 Depth=1
	v_and_b32_e32 v2, 0xffff, v1
	v_or_b32_e32 v85, 0x10000, v1
	s_delay_alu instid0(VALU_DEP_2) | instskip(NEXT) | instid1(VALU_DEP_1)
	v_cmp_eq_u32_e64 s0, 0, v2
	v_cndmask_b32_e64 v85, v85, v1, s0
; %bb.225:                              ;   in Loop: Header=BB181_38 Depth=1
	s_or_b32 exec_lo, exec_lo, s16
	v_lshlrev_b32_e32 v1, 16, v3
                                        ; implicit-def: $vgpr86
	s_delay_alu instid0(VALU_DEP_1) | instskip(NEXT) | instid1(VALU_DEP_1)
	v_mul_f32_e32 v1, v57, v1
	v_and_b32_e32 v2, 0x7f800000, v1
	s_delay_alu instid0(VALU_DEP_1) | instskip(NEXT) | instid1(VALU_DEP_1)
	v_cmp_ne_u32_e64 s0, 0x7f800000, v2
	s_and_saveexec_b32 s16, s0
	s_delay_alu instid0(SALU_CYCLE_1)
	s_xor_b32 s0, exec_lo, s16
; %bb.226:                              ;   in Loop: Header=BB181_38 Depth=1
	v_bfe_u32 v2, v1, 16, 1
	s_delay_alu instid0(VALU_DEP_1)
	v_add3_u32 v86, v1, v2, 0x7fff
                                        ; implicit-def: $vgpr1
; %bb.227:                              ;   in Loop: Header=BB181_38 Depth=1
	s_and_not1_saveexec_b32 s16, s0
; %bb.228:                              ;   in Loop: Header=BB181_38 Depth=1
	v_and_b32_e32 v2, 0xffff, v1
	v_or_b32_e32 v3, 0x10000, v1
	s_delay_alu instid0(VALU_DEP_2) | instskip(NEXT) | instid1(VALU_DEP_1)
	v_cmp_eq_u32_e64 s0, 0, v2
	v_cndmask_b32_e64 v86, v3, v1, s0
; %bb.229:                              ;   in Loop: Header=BB181_38 Depth=1
	s_or_b32 exec_lo, exec_lo, s16
	v_lshlrev_b32_e32 v1, 16, v87
                                        ; implicit-def: $vgpr87
	s_delay_alu instid0(VALU_DEP_1) | instskip(NEXT) | instid1(VALU_DEP_1)
	v_mul_f32_e32 v1, v58, v1
	v_and_b32_e32 v2, 0x7f800000, v1
	s_delay_alu instid0(VALU_DEP_1) | instskip(NEXT) | instid1(VALU_DEP_1)
	v_cmp_ne_u32_e64 s0, 0x7f800000, v2
	s_and_saveexec_b32 s16, s0
	s_delay_alu instid0(SALU_CYCLE_1)
	s_xor_b32 s0, exec_lo, s16
; %bb.230:                              ;   in Loop: Header=BB181_38 Depth=1
	v_bfe_u32 v2, v1, 16, 1
	s_delay_alu instid0(VALU_DEP_1)
	v_add3_u32 v87, v1, v2, 0x7fff
                                        ; implicit-def: $vgpr1
; %bb.231:                              ;   in Loop: Header=BB181_38 Depth=1
	s_and_not1_saveexec_b32 s16, s0
; %bb.232:                              ;   in Loop: Header=BB181_38 Depth=1
	v_and_b32_e32 v2, 0xffff, v1
	v_or_b32_e32 v3, 0x10000, v1
	s_delay_alu instid0(VALU_DEP_2) | instskip(NEXT) | instid1(VALU_DEP_1)
	v_cmp_eq_u32_e64 s0, 0, v2
	v_cndmask_b32_e64 v87, v3, v1, s0
; %bb.233:                              ;   in Loop: Header=BB181_38 Depth=1
	s_or_b32 exec_lo, exec_lo, s16
	v_lshlrev_b32_e32 v1, 16, v4
                                        ; implicit-def: $vgpr88
	s_delay_alu instid0(VALU_DEP_1) | instskip(NEXT) | instid1(VALU_DEP_1)
	v_mul_f32_e32 v1, v59, v1
	v_and_b32_e32 v2, 0x7f800000, v1
	s_delay_alu instid0(VALU_DEP_1) | instskip(NEXT) | instid1(VALU_DEP_1)
	v_cmp_ne_u32_e64 s0, 0x7f800000, v2
	s_and_saveexec_b32 s16, s0
	s_delay_alu instid0(SALU_CYCLE_1)
	s_xor_b32 s0, exec_lo, s16
; %bb.234:                              ;   in Loop: Header=BB181_38 Depth=1
	v_bfe_u32 v2, v1, 16, 1
	s_delay_alu instid0(VALU_DEP_1)
	v_add3_u32 v88, v1, v2, 0x7fff
                                        ; implicit-def: $vgpr1
; %bb.235:                              ;   in Loop: Header=BB181_38 Depth=1
	s_and_not1_saveexec_b32 s16, s0
; %bb.236:                              ;   in Loop: Header=BB181_38 Depth=1
	v_and_b32_e32 v2, 0xffff, v1
	v_or_b32_e32 v3, 0x10000, v1
	s_delay_alu instid0(VALU_DEP_2) | instskip(NEXT) | instid1(VALU_DEP_1)
	v_cmp_eq_u32_e64 s0, 0, v2
	v_cndmask_b32_e64 v88, v3, v1, s0
; %bb.237:                              ;   in Loop: Header=BB181_38 Depth=1
	s_or_b32 exec_lo, exec_lo, s16
	v_lshlrev_b32_e32 v1, 16, v89
                                        ; implicit-def: $vgpr89
	s_delay_alu instid0(VALU_DEP_1) | instskip(NEXT) | instid1(VALU_DEP_1)
	v_mul_f32_e32 v1, v60, v1
	v_and_b32_e32 v2, 0x7f800000, v1
	s_delay_alu instid0(VALU_DEP_1) | instskip(NEXT) | instid1(VALU_DEP_1)
	v_cmp_ne_u32_e64 s0, 0x7f800000, v2
	s_and_saveexec_b32 s16, s0
	s_delay_alu instid0(SALU_CYCLE_1)
	s_xor_b32 s0, exec_lo, s16
; %bb.238:                              ;   in Loop: Header=BB181_38 Depth=1
	v_bfe_u32 v2, v1, 16, 1
	s_delay_alu instid0(VALU_DEP_1)
	v_add3_u32 v89, v1, v2, 0x7fff
                                        ; implicit-def: $vgpr1
; %bb.239:                              ;   in Loop: Header=BB181_38 Depth=1
	s_and_not1_saveexec_b32 s16, s0
; %bb.240:                              ;   in Loop: Header=BB181_38 Depth=1
	v_and_b32_e32 v2, 0xffff, v1
	v_or_b32_e32 v3, 0x10000, v1
	s_delay_alu instid0(VALU_DEP_2) | instskip(NEXT) | instid1(VALU_DEP_1)
	v_cmp_eq_u32_e64 s0, 0, v2
	v_cndmask_b32_e64 v89, v3, v1, s0
; %bb.241:                              ;   in Loop: Header=BB181_38 Depth=1
	s_or_b32 exec_lo, exec_lo, s16
	global_load_b128 v[1:4], v[5:6], off offset:2560
	s_waitcnt vmcnt(0)
	v_lshrrev_b32_e32 v91, 16, v1
	v_lshrrev_b32_e32 v93, 16, v2
	;; [unrolled: 1-line block ×4, first 2 shown]
	s_and_saveexec_b32 s16, vcc_lo
	s_cbranch_execz .LBB181_243
; %bb.242:                              ;   in Loop: Header=BB181_38 Depth=1
	v_cmp_gt_i32_e64 s0, s33, v42
	s_delay_alu instid0(VALU_DEP_1) | instskip(SKIP_1) | instid1(VALU_DEP_1)
	v_cndmask_b32_e64 v1, 0, v1, s0
	v_cmp_gt_i32_e64 s0, s33, v49
	v_cndmask_b32_e64 v91, 0, v91, s0
	v_cmp_gt_i32_e64 s0, s33, v48
	s_delay_alu instid0(VALU_DEP_1) | instskip(SKIP_1) | instid1(VALU_DEP_1)
	v_cndmask_b32_e64 v2, 0, v2, s0
	v_cmp_gt_i32_e64 s0, s33, v46
	v_cndmask_b32_e64 v93, 0, v93, s0
	;; [unrolled: 5-line block ×4, first 2 shown]
.LBB181_243:                            ;   in Loop: Header=BB181_38 Depth=1
	s_or_b32 exec_lo, exec_lo, s16
	v_lshlrev_b32_e32 v1, 16, v1
	s_delay_alu instid0(VALU_DEP_1) | instskip(NEXT) | instid1(VALU_DEP_1)
	v_mul_f32_e32 v1, v53, v1
	v_and_b32_e32 v90, 0x7f800000, v1
	s_delay_alu instid0(VALU_DEP_1) | instskip(NEXT) | instid1(VALU_DEP_1)
	v_cmp_ne_u32_e64 s0, 0x7f800000, v90
                                        ; implicit-def: $vgpr90
	s_and_saveexec_b32 s16, s0
	s_delay_alu instid0(SALU_CYCLE_1)
	s_xor_b32 s0, exec_lo, s16
; %bb.244:                              ;   in Loop: Header=BB181_38 Depth=1
	v_bfe_u32 v90, v1, 16, 1
	s_delay_alu instid0(VALU_DEP_1)
	v_add3_u32 v90, v1, v90, 0x7fff
                                        ; implicit-def: $vgpr1
; %bb.245:                              ;   in Loop: Header=BB181_38 Depth=1
	s_and_not1_saveexec_b32 s16, s0
; %bb.246:                              ;   in Loop: Header=BB181_38 Depth=1
	v_and_b32_e32 v90, 0xffff, v1
	v_or_b32_e32 v92, 0x10000, v1
	s_delay_alu instid0(VALU_DEP_2) | instskip(NEXT) | instid1(VALU_DEP_1)
	v_cmp_eq_u32_e64 s0, 0, v90
	v_cndmask_b32_e64 v90, v92, v1, s0
; %bb.247:                              ;   in Loop: Header=BB181_38 Depth=1
	s_or_b32 exec_lo, exec_lo, s16
	v_lshlrev_b32_e32 v1, 16, v91
	s_delay_alu instid0(VALU_DEP_1) | instskip(NEXT) | instid1(VALU_DEP_1)
	v_mul_f32_e32 v1, v54, v1
	v_and_b32_e32 v91, 0x7f800000, v1
	s_delay_alu instid0(VALU_DEP_1) | instskip(NEXT) | instid1(VALU_DEP_1)
	v_cmp_ne_u32_e64 s0, 0x7f800000, v91
                                        ; implicit-def: $vgpr91
	s_and_saveexec_b32 s16, s0
	s_delay_alu instid0(SALU_CYCLE_1)
	s_xor_b32 s0, exec_lo, s16
; %bb.248:                              ;   in Loop: Header=BB181_38 Depth=1
	v_bfe_u32 v91, v1, 16, 1
	s_delay_alu instid0(VALU_DEP_1)
	v_add3_u32 v91, v1, v91, 0x7fff
                                        ; implicit-def: $vgpr1
; %bb.249:                              ;   in Loop: Header=BB181_38 Depth=1
	s_and_not1_saveexec_b32 s16, s0
; %bb.250:                              ;   in Loop: Header=BB181_38 Depth=1
	v_and_b32_e32 v91, 0xffff, v1
	v_or_b32_e32 v92, 0x10000, v1
	s_delay_alu instid0(VALU_DEP_2) | instskip(NEXT) | instid1(VALU_DEP_1)
	v_cmp_eq_u32_e64 s0, 0, v91
	v_cndmask_b32_e64 v91, v92, v1, s0
; %bb.251:                              ;   in Loop: Header=BB181_38 Depth=1
	s_or_b32 exec_lo, exec_lo, s16
	v_lshlrev_b32_e32 v1, 16, v2
                                        ; implicit-def: $vgpr92
	s_delay_alu instid0(VALU_DEP_1) | instskip(NEXT) | instid1(VALU_DEP_1)
	v_mul_f32_e32 v1, v55, v1
	v_and_b32_e32 v2, 0x7f800000, v1
	s_delay_alu instid0(VALU_DEP_1) | instskip(NEXT) | instid1(VALU_DEP_1)
	v_cmp_ne_u32_e64 s0, 0x7f800000, v2
	s_and_saveexec_b32 s16, s0
	s_delay_alu instid0(SALU_CYCLE_1)
	s_xor_b32 s0, exec_lo, s16
; %bb.252:                              ;   in Loop: Header=BB181_38 Depth=1
	v_bfe_u32 v2, v1, 16, 1
	s_delay_alu instid0(VALU_DEP_1)
	v_add3_u32 v92, v1, v2, 0x7fff
                                        ; implicit-def: $vgpr1
; %bb.253:                              ;   in Loop: Header=BB181_38 Depth=1
	s_and_not1_saveexec_b32 s16, s0
; %bb.254:                              ;   in Loop: Header=BB181_38 Depth=1
	v_and_b32_e32 v2, 0xffff, v1
	v_or_b32_e32 v92, 0x10000, v1
	s_delay_alu instid0(VALU_DEP_2) | instskip(NEXT) | instid1(VALU_DEP_1)
	v_cmp_eq_u32_e64 s0, 0, v2
	v_cndmask_b32_e64 v92, v92, v1, s0
; %bb.255:                              ;   in Loop: Header=BB181_38 Depth=1
	s_or_b32 exec_lo, exec_lo, s16
	v_lshlrev_b32_e32 v1, 16, v93
                                        ; implicit-def: $vgpr93
	s_delay_alu instid0(VALU_DEP_1) | instskip(NEXT) | instid1(VALU_DEP_1)
	v_mul_f32_e32 v1, v56, v1
	v_and_b32_e32 v2, 0x7f800000, v1
	s_delay_alu instid0(VALU_DEP_1) | instskip(NEXT) | instid1(VALU_DEP_1)
	v_cmp_ne_u32_e64 s0, 0x7f800000, v2
	s_and_saveexec_b32 s16, s0
	s_delay_alu instid0(SALU_CYCLE_1)
	s_xor_b32 s0, exec_lo, s16
; %bb.256:                              ;   in Loop: Header=BB181_38 Depth=1
	v_bfe_u32 v2, v1, 16, 1
	s_delay_alu instid0(VALU_DEP_1)
	v_add3_u32 v93, v1, v2, 0x7fff
                                        ; implicit-def: $vgpr1
; %bb.257:                              ;   in Loop: Header=BB181_38 Depth=1
	s_and_not1_saveexec_b32 s16, s0
; %bb.258:                              ;   in Loop: Header=BB181_38 Depth=1
	v_and_b32_e32 v2, 0xffff, v1
	v_or_b32_e32 v93, 0x10000, v1
	s_delay_alu instid0(VALU_DEP_2) | instskip(NEXT) | instid1(VALU_DEP_1)
	v_cmp_eq_u32_e64 s0, 0, v2
	v_cndmask_b32_e64 v93, v93, v1, s0
; %bb.259:                              ;   in Loop: Header=BB181_38 Depth=1
	s_or_b32 exec_lo, exec_lo, s16
	v_lshlrev_b32_e32 v1, 16, v3
                                        ; implicit-def: $vgpr94
	s_delay_alu instid0(VALU_DEP_1) | instskip(NEXT) | instid1(VALU_DEP_1)
	v_mul_f32_e32 v1, v57, v1
	v_and_b32_e32 v2, 0x7f800000, v1
	s_delay_alu instid0(VALU_DEP_1) | instskip(NEXT) | instid1(VALU_DEP_1)
	v_cmp_ne_u32_e64 s0, 0x7f800000, v2
	s_and_saveexec_b32 s16, s0
	s_delay_alu instid0(SALU_CYCLE_1)
	s_xor_b32 s0, exec_lo, s16
; %bb.260:                              ;   in Loop: Header=BB181_38 Depth=1
	v_bfe_u32 v2, v1, 16, 1
	s_delay_alu instid0(VALU_DEP_1)
	v_add3_u32 v94, v1, v2, 0x7fff
                                        ; implicit-def: $vgpr1
; %bb.261:                              ;   in Loop: Header=BB181_38 Depth=1
	s_and_not1_saveexec_b32 s16, s0
; %bb.262:                              ;   in Loop: Header=BB181_38 Depth=1
	v_and_b32_e32 v2, 0xffff, v1
	v_or_b32_e32 v3, 0x10000, v1
	s_delay_alu instid0(VALU_DEP_2) | instskip(NEXT) | instid1(VALU_DEP_1)
	v_cmp_eq_u32_e64 s0, 0, v2
	v_cndmask_b32_e64 v94, v3, v1, s0
; %bb.263:                              ;   in Loop: Header=BB181_38 Depth=1
	s_or_b32 exec_lo, exec_lo, s16
	v_lshlrev_b32_e32 v1, 16, v95
                                        ; implicit-def: $vgpr95
	s_delay_alu instid0(VALU_DEP_1) | instskip(NEXT) | instid1(VALU_DEP_1)
	v_mul_f32_e32 v1, v58, v1
	v_and_b32_e32 v2, 0x7f800000, v1
	s_delay_alu instid0(VALU_DEP_1) | instskip(NEXT) | instid1(VALU_DEP_1)
	v_cmp_ne_u32_e64 s0, 0x7f800000, v2
	s_and_saveexec_b32 s16, s0
	s_delay_alu instid0(SALU_CYCLE_1)
	s_xor_b32 s0, exec_lo, s16
; %bb.264:                              ;   in Loop: Header=BB181_38 Depth=1
	v_bfe_u32 v2, v1, 16, 1
	s_delay_alu instid0(VALU_DEP_1)
	v_add3_u32 v95, v1, v2, 0x7fff
                                        ; implicit-def: $vgpr1
; %bb.265:                              ;   in Loop: Header=BB181_38 Depth=1
	s_and_not1_saveexec_b32 s16, s0
; %bb.266:                              ;   in Loop: Header=BB181_38 Depth=1
	v_and_b32_e32 v2, 0xffff, v1
	v_or_b32_e32 v3, 0x10000, v1
	s_delay_alu instid0(VALU_DEP_2) | instskip(NEXT) | instid1(VALU_DEP_1)
	v_cmp_eq_u32_e64 s0, 0, v2
	v_cndmask_b32_e64 v95, v3, v1, s0
; %bb.267:                              ;   in Loop: Header=BB181_38 Depth=1
	s_or_b32 exec_lo, exec_lo, s16
	v_lshlrev_b32_e32 v1, 16, v4
                                        ; implicit-def: $vgpr96
	s_delay_alu instid0(VALU_DEP_1) | instskip(NEXT) | instid1(VALU_DEP_1)
	v_mul_f32_e32 v1, v59, v1
	v_and_b32_e32 v2, 0x7f800000, v1
	s_delay_alu instid0(VALU_DEP_1) | instskip(NEXT) | instid1(VALU_DEP_1)
	v_cmp_ne_u32_e64 s0, 0x7f800000, v2
	s_and_saveexec_b32 s16, s0
	s_delay_alu instid0(SALU_CYCLE_1)
	s_xor_b32 s0, exec_lo, s16
; %bb.268:                              ;   in Loop: Header=BB181_38 Depth=1
	v_bfe_u32 v2, v1, 16, 1
	s_delay_alu instid0(VALU_DEP_1)
	v_add3_u32 v96, v1, v2, 0x7fff
                                        ; implicit-def: $vgpr1
; %bb.269:                              ;   in Loop: Header=BB181_38 Depth=1
	s_and_not1_saveexec_b32 s16, s0
; %bb.270:                              ;   in Loop: Header=BB181_38 Depth=1
	v_and_b32_e32 v2, 0xffff, v1
	v_or_b32_e32 v3, 0x10000, v1
	s_delay_alu instid0(VALU_DEP_2) | instskip(NEXT) | instid1(VALU_DEP_1)
	v_cmp_eq_u32_e64 s0, 0, v2
	v_cndmask_b32_e64 v96, v3, v1, s0
; %bb.271:                              ;   in Loop: Header=BB181_38 Depth=1
	s_or_b32 exec_lo, exec_lo, s16
	v_lshlrev_b32_e32 v1, 16, v97
                                        ; implicit-def: $vgpr97
	s_delay_alu instid0(VALU_DEP_1) | instskip(NEXT) | instid1(VALU_DEP_1)
	v_mul_f32_e32 v1, v60, v1
	v_and_b32_e32 v2, 0x7f800000, v1
	s_delay_alu instid0(VALU_DEP_1) | instskip(NEXT) | instid1(VALU_DEP_1)
	v_cmp_ne_u32_e64 s0, 0x7f800000, v2
	s_and_saveexec_b32 s16, s0
	s_delay_alu instid0(SALU_CYCLE_1)
	s_xor_b32 s0, exec_lo, s16
; %bb.272:                              ;   in Loop: Header=BB181_38 Depth=1
	v_bfe_u32 v2, v1, 16, 1
	s_delay_alu instid0(VALU_DEP_1)
	v_add3_u32 v97, v1, v2, 0x7fff
                                        ; implicit-def: $vgpr1
; %bb.273:                              ;   in Loop: Header=BB181_38 Depth=1
	s_and_not1_saveexec_b32 s16, s0
; %bb.274:                              ;   in Loop: Header=BB181_38 Depth=1
	v_and_b32_e32 v2, 0xffff, v1
	v_or_b32_e32 v3, 0x10000, v1
	s_delay_alu instid0(VALU_DEP_2) | instskip(NEXT) | instid1(VALU_DEP_1)
	v_cmp_eq_u32_e64 s0, 0, v2
	v_cndmask_b32_e64 v97, v3, v1, s0
; %bb.275:                              ;   in Loop: Header=BB181_38 Depth=1
	s_or_b32 exec_lo, exec_lo, s16
	global_load_b128 v[1:4], v[5:6], off offset:3072
	s_waitcnt vmcnt(0)
	v_lshrrev_b32_e32 v99, 16, v1
	v_lshrrev_b32_e32 v101, 16, v2
	;; [unrolled: 1-line block ×4, first 2 shown]
	s_and_saveexec_b32 s16, vcc_lo
	s_cbranch_execz .LBB181_277
; %bb.276:                              ;   in Loop: Header=BB181_38 Depth=1
	v_cmp_gt_i32_e64 s0, s33, v42
	s_delay_alu instid0(VALU_DEP_1) | instskip(SKIP_1) | instid1(VALU_DEP_1)
	v_cndmask_b32_e64 v1, 0, v1, s0
	v_cmp_gt_i32_e64 s0, s33, v49
	v_cndmask_b32_e64 v99, 0, v99, s0
	v_cmp_gt_i32_e64 s0, s33, v48
	s_delay_alu instid0(VALU_DEP_1) | instskip(SKIP_1) | instid1(VALU_DEP_1)
	v_cndmask_b32_e64 v2, 0, v2, s0
	v_cmp_gt_i32_e64 s0, s33, v46
	v_cndmask_b32_e64 v101, 0, v101, s0
	;; [unrolled: 5-line block ×4, first 2 shown]
.LBB181_277:                            ;   in Loop: Header=BB181_38 Depth=1
	s_or_b32 exec_lo, exec_lo, s16
	v_lshlrev_b32_e32 v1, 16, v1
	s_delay_alu instid0(VALU_DEP_1) | instskip(NEXT) | instid1(VALU_DEP_1)
	v_mul_f32_e32 v1, v53, v1
	v_and_b32_e32 v98, 0x7f800000, v1
	s_delay_alu instid0(VALU_DEP_1) | instskip(NEXT) | instid1(VALU_DEP_1)
	v_cmp_ne_u32_e64 s0, 0x7f800000, v98
                                        ; implicit-def: $vgpr98
	s_and_saveexec_b32 s16, s0
	s_delay_alu instid0(SALU_CYCLE_1)
	s_xor_b32 s0, exec_lo, s16
; %bb.278:                              ;   in Loop: Header=BB181_38 Depth=1
	v_bfe_u32 v98, v1, 16, 1
	s_delay_alu instid0(VALU_DEP_1)
	v_add3_u32 v98, v1, v98, 0x7fff
                                        ; implicit-def: $vgpr1
; %bb.279:                              ;   in Loop: Header=BB181_38 Depth=1
	s_and_not1_saveexec_b32 s16, s0
; %bb.280:                              ;   in Loop: Header=BB181_38 Depth=1
	v_and_b32_e32 v98, 0xffff, v1
	v_or_b32_e32 v100, 0x10000, v1
	s_delay_alu instid0(VALU_DEP_2) | instskip(NEXT) | instid1(VALU_DEP_1)
	v_cmp_eq_u32_e64 s0, 0, v98
	v_cndmask_b32_e64 v98, v100, v1, s0
; %bb.281:                              ;   in Loop: Header=BB181_38 Depth=1
	s_or_b32 exec_lo, exec_lo, s16
	v_lshlrev_b32_e32 v1, 16, v99
	s_delay_alu instid0(VALU_DEP_1) | instskip(NEXT) | instid1(VALU_DEP_1)
	v_mul_f32_e32 v1, v54, v1
	v_and_b32_e32 v99, 0x7f800000, v1
	s_delay_alu instid0(VALU_DEP_1) | instskip(NEXT) | instid1(VALU_DEP_1)
	v_cmp_ne_u32_e64 s0, 0x7f800000, v99
                                        ; implicit-def: $vgpr99
	s_and_saveexec_b32 s16, s0
	s_delay_alu instid0(SALU_CYCLE_1)
	s_xor_b32 s0, exec_lo, s16
; %bb.282:                              ;   in Loop: Header=BB181_38 Depth=1
	v_bfe_u32 v99, v1, 16, 1
	s_delay_alu instid0(VALU_DEP_1)
	v_add3_u32 v99, v1, v99, 0x7fff
                                        ; implicit-def: $vgpr1
; %bb.283:                              ;   in Loop: Header=BB181_38 Depth=1
	s_and_not1_saveexec_b32 s16, s0
; %bb.284:                              ;   in Loop: Header=BB181_38 Depth=1
	v_and_b32_e32 v99, 0xffff, v1
	v_or_b32_e32 v100, 0x10000, v1
	s_delay_alu instid0(VALU_DEP_2) | instskip(NEXT) | instid1(VALU_DEP_1)
	v_cmp_eq_u32_e64 s0, 0, v99
	v_cndmask_b32_e64 v99, v100, v1, s0
; %bb.285:                              ;   in Loop: Header=BB181_38 Depth=1
	s_or_b32 exec_lo, exec_lo, s16
	v_lshlrev_b32_e32 v1, 16, v2
                                        ; implicit-def: $vgpr100
	s_delay_alu instid0(VALU_DEP_1) | instskip(NEXT) | instid1(VALU_DEP_1)
	v_mul_f32_e32 v1, v55, v1
	v_and_b32_e32 v2, 0x7f800000, v1
	s_delay_alu instid0(VALU_DEP_1) | instskip(NEXT) | instid1(VALU_DEP_1)
	v_cmp_ne_u32_e64 s0, 0x7f800000, v2
	s_and_saveexec_b32 s16, s0
	s_delay_alu instid0(SALU_CYCLE_1)
	s_xor_b32 s0, exec_lo, s16
; %bb.286:                              ;   in Loop: Header=BB181_38 Depth=1
	v_bfe_u32 v2, v1, 16, 1
	s_delay_alu instid0(VALU_DEP_1)
	v_add3_u32 v100, v1, v2, 0x7fff
                                        ; implicit-def: $vgpr1
; %bb.287:                              ;   in Loop: Header=BB181_38 Depth=1
	s_and_not1_saveexec_b32 s16, s0
; %bb.288:                              ;   in Loop: Header=BB181_38 Depth=1
	v_and_b32_e32 v2, 0xffff, v1
	v_or_b32_e32 v100, 0x10000, v1
	s_delay_alu instid0(VALU_DEP_2) | instskip(NEXT) | instid1(VALU_DEP_1)
	v_cmp_eq_u32_e64 s0, 0, v2
	v_cndmask_b32_e64 v100, v100, v1, s0
; %bb.289:                              ;   in Loop: Header=BB181_38 Depth=1
	s_or_b32 exec_lo, exec_lo, s16
	v_lshlrev_b32_e32 v1, 16, v101
                                        ; implicit-def: $vgpr101
	s_delay_alu instid0(VALU_DEP_1) | instskip(NEXT) | instid1(VALU_DEP_1)
	v_mul_f32_e32 v1, v56, v1
	v_and_b32_e32 v2, 0x7f800000, v1
	s_delay_alu instid0(VALU_DEP_1) | instskip(NEXT) | instid1(VALU_DEP_1)
	v_cmp_ne_u32_e64 s0, 0x7f800000, v2
	s_and_saveexec_b32 s16, s0
	s_delay_alu instid0(SALU_CYCLE_1)
	s_xor_b32 s0, exec_lo, s16
; %bb.290:                              ;   in Loop: Header=BB181_38 Depth=1
	v_bfe_u32 v2, v1, 16, 1
	s_delay_alu instid0(VALU_DEP_1)
	v_add3_u32 v101, v1, v2, 0x7fff
                                        ; implicit-def: $vgpr1
; %bb.291:                              ;   in Loop: Header=BB181_38 Depth=1
	s_and_not1_saveexec_b32 s16, s0
; %bb.292:                              ;   in Loop: Header=BB181_38 Depth=1
	v_and_b32_e32 v2, 0xffff, v1
	v_or_b32_e32 v101, 0x10000, v1
	s_delay_alu instid0(VALU_DEP_2) | instskip(NEXT) | instid1(VALU_DEP_1)
	v_cmp_eq_u32_e64 s0, 0, v2
	v_cndmask_b32_e64 v101, v101, v1, s0
; %bb.293:                              ;   in Loop: Header=BB181_38 Depth=1
	s_or_b32 exec_lo, exec_lo, s16
	v_lshlrev_b32_e32 v1, 16, v3
                                        ; implicit-def: $vgpr102
	s_delay_alu instid0(VALU_DEP_1) | instskip(NEXT) | instid1(VALU_DEP_1)
	v_mul_f32_e32 v1, v57, v1
	v_and_b32_e32 v2, 0x7f800000, v1
	s_delay_alu instid0(VALU_DEP_1) | instskip(NEXT) | instid1(VALU_DEP_1)
	v_cmp_ne_u32_e64 s0, 0x7f800000, v2
	s_and_saveexec_b32 s16, s0
	s_delay_alu instid0(SALU_CYCLE_1)
	s_xor_b32 s0, exec_lo, s16
; %bb.294:                              ;   in Loop: Header=BB181_38 Depth=1
	v_bfe_u32 v2, v1, 16, 1
	s_delay_alu instid0(VALU_DEP_1)
	v_add3_u32 v102, v1, v2, 0x7fff
                                        ; implicit-def: $vgpr1
; %bb.295:                              ;   in Loop: Header=BB181_38 Depth=1
	s_and_not1_saveexec_b32 s16, s0
; %bb.296:                              ;   in Loop: Header=BB181_38 Depth=1
	v_and_b32_e32 v2, 0xffff, v1
	v_or_b32_e32 v3, 0x10000, v1
	s_delay_alu instid0(VALU_DEP_2) | instskip(NEXT) | instid1(VALU_DEP_1)
	v_cmp_eq_u32_e64 s0, 0, v2
	v_cndmask_b32_e64 v102, v3, v1, s0
; %bb.297:                              ;   in Loop: Header=BB181_38 Depth=1
	s_or_b32 exec_lo, exec_lo, s16
	v_lshlrev_b32_e32 v1, 16, v103
                                        ; implicit-def: $vgpr103
	s_delay_alu instid0(VALU_DEP_1) | instskip(NEXT) | instid1(VALU_DEP_1)
	v_mul_f32_e32 v1, v58, v1
	v_and_b32_e32 v2, 0x7f800000, v1
	s_delay_alu instid0(VALU_DEP_1) | instskip(NEXT) | instid1(VALU_DEP_1)
	v_cmp_ne_u32_e64 s0, 0x7f800000, v2
	s_and_saveexec_b32 s16, s0
	s_delay_alu instid0(SALU_CYCLE_1)
	s_xor_b32 s0, exec_lo, s16
; %bb.298:                              ;   in Loop: Header=BB181_38 Depth=1
	v_bfe_u32 v2, v1, 16, 1
	s_delay_alu instid0(VALU_DEP_1)
	v_add3_u32 v103, v1, v2, 0x7fff
                                        ; implicit-def: $vgpr1
; %bb.299:                              ;   in Loop: Header=BB181_38 Depth=1
	s_and_not1_saveexec_b32 s16, s0
; %bb.300:                              ;   in Loop: Header=BB181_38 Depth=1
	v_and_b32_e32 v2, 0xffff, v1
	v_or_b32_e32 v3, 0x10000, v1
	s_delay_alu instid0(VALU_DEP_2) | instskip(NEXT) | instid1(VALU_DEP_1)
	v_cmp_eq_u32_e64 s0, 0, v2
	v_cndmask_b32_e64 v103, v3, v1, s0
; %bb.301:                              ;   in Loop: Header=BB181_38 Depth=1
	s_or_b32 exec_lo, exec_lo, s16
	v_lshlrev_b32_e32 v1, 16, v4
                                        ; implicit-def: $vgpr104
	s_delay_alu instid0(VALU_DEP_1) | instskip(NEXT) | instid1(VALU_DEP_1)
	v_mul_f32_e32 v1, v59, v1
	v_and_b32_e32 v2, 0x7f800000, v1
	s_delay_alu instid0(VALU_DEP_1) | instskip(NEXT) | instid1(VALU_DEP_1)
	v_cmp_ne_u32_e64 s0, 0x7f800000, v2
	s_and_saveexec_b32 s16, s0
	s_delay_alu instid0(SALU_CYCLE_1)
	s_xor_b32 s0, exec_lo, s16
; %bb.302:                              ;   in Loop: Header=BB181_38 Depth=1
	v_bfe_u32 v2, v1, 16, 1
	s_delay_alu instid0(VALU_DEP_1)
	v_add3_u32 v104, v1, v2, 0x7fff
                                        ; implicit-def: $vgpr1
; %bb.303:                              ;   in Loop: Header=BB181_38 Depth=1
	s_and_not1_saveexec_b32 s16, s0
; %bb.304:                              ;   in Loop: Header=BB181_38 Depth=1
	v_and_b32_e32 v2, 0xffff, v1
	v_or_b32_e32 v3, 0x10000, v1
	s_delay_alu instid0(VALU_DEP_2) | instskip(NEXT) | instid1(VALU_DEP_1)
	v_cmp_eq_u32_e64 s0, 0, v2
	v_cndmask_b32_e64 v104, v3, v1, s0
; %bb.305:                              ;   in Loop: Header=BB181_38 Depth=1
	s_or_b32 exec_lo, exec_lo, s16
	v_lshlrev_b32_e32 v1, 16, v105
                                        ; implicit-def: $vgpr105
	s_delay_alu instid0(VALU_DEP_1) | instskip(NEXT) | instid1(VALU_DEP_1)
	v_mul_f32_e32 v1, v60, v1
	v_and_b32_e32 v2, 0x7f800000, v1
	s_delay_alu instid0(VALU_DEP_1) | instskip(NEXT) | instid1(VALU_DEP_1)
	v_cmp_ne_u32_e64 s0, 0x7f800000, v2
	s_and_saveexec_b32 s16, s0
	s_delay_alu instid0(SALU_CYCLE_1)
	s_xor_b32 s0, exec_lo, s16
; %bb.306:                              ;   in Loop: Header=BB181_38 Depth=1
	v_bfe_u32 v2, v1, 16, 1
	s_delay_alu instid0(VALU_DEP_1)
	v_add3_u32 v105, v1, v2, 0x7fff
                                        ; implicit-def: $vgpr1
; %bb.307:                              ;   in Loop: Header=BB181_38 Depth=1
	s_and_not1_saveexec_b32 s16, s0
; %bb.308:                              ;   in Loop: Header=BB181_38 Depth=1
	v_and_b32_e32 v2, 0xffff, v1
	v_or_b32_e32 v3, 0x10000, v1
	s_delay_alu instid0(VALU_DEP_2) | instskip(NEXT) | instid1(VALU_DEP_1)
	v_cmp_eq_u32_e64 s0, 0, v2
	v_cndmask_b32_e64 v105, v3, v1, s0
; %bb.309:                              ;   in Loop: Header=BB181_38 Depth=1
	s_or_b32 exec_lo, exec_lo, s16
	global_load_b128 v[1:4], v[5:6], off offset:3584
	s_waitcnt vmcnt(0)
	v_lshrrev_b32_e32 v6, 16, v1
	v_lshrrev_b32_e32 v107, 16, v2
	;; [unrolled: 1-line block ×4, first 2 shown]
	s_and_saveexec_b32 s16, vcc_lo
	s_cbranch_execz .LBB181_311
; %bb.310:                              ;   in Loop: Header=BB181_38 Depth=1
	v_cmp_gt_i32_e64 s0, s33, v42
	s_delay_alu instid0(VALU_DEP_1) | instskip(SKIP_1) | instid1(VALU_DEP_1)
	v_cndmask_b32_e64 v1, 0, v1, s0
	v_cmp_gt_i32_e64 s0, s33, v49
	v_cndmask_b32_e64 v6, 0, v6, s0
	v_cmp_gt_i32_e64 s0, s33, v48
	s_delay_alu instid0(VALU_DEP_1) | instskip(SKIP_1) | instid1(VALU_DEP_1)
	v_cndmask_b32_e64 v2, 0, v2, s0
	v_cmp_gt_i32_e64 s0, s33, v46
	v_cndmask_b32_e64 v107, 0, v107, s0
	;; [unrolled: 5-line block ×4, first 2 shown]
.LBB181_311:                            ;   in Loop: Header=BB181_38 Depth=1
	s_or_b32 exec_lo, exec_lo, s16
	v_lshlrev_b32_e32 v1, 16, v1
	s_delay_alu instid0(VALU_DEP_1) | instskip(NEXT) | instid1(VALU_DEP_1)
	v_mul_f32_e32 v1, v53, v1
	v_and_b32_e32 v5, 0x7f800000, v1
	s_delay_alu instid0(VALU_DEP_1) | instskip(NEXT) | instid1(VALU_DEP_1)
	v_cmp_ne_u32_e64 s0, 0x7f800000, v5
                                        ; implicit-def: $vgpr5
	s_and_saveexec_b32 s16, s0
	s_delay_alu instid0(SALU_CYCLE_1)
	s_xor_b32 s0, exec_lo, s16
; %bb.312:                              ;   in Loop: Header=BB181_38 Depth=1
	v_bfe_u32 v5, v1, 16, 1
	s_delay_alu instid0(VALU_DEP_1)
	v_add3_u32 v5, v1, v5, 0x7fff
                                        ; implicit-def: $vgpr1
; %bb.313:                              ;   in Loop: Header=BB181_38 Depth=1
	s_and_not1_saveexec_b32 s16, s0
; %bb.314:                              ;   in Loop: Header=BB181_38 Depth=1
	v_and_b32_e32 v5, 0xffff, v1
	v_or_b32_e32 v106, 0x10000, v1
	s_delay_alu instid0(VALU_DEP_2) | instskip(NEXT) | instid1(VALU_DEP_1)
	v_cmp_eq_u32_e64 s0, 0, v5
	v_cndmask_b32_e64 v5, v106, v1, s0
; %bb.315:                              ;   in Loop: Header=BB181_38 Depth=1
	s_or_b32 exec_lo, exec_lo, s16
	v_lshlrev_b32_e32 v1, 16, v6
	s_delay_alu instid0(VALU_DEP_1) | instskip(NEXT) | instid1(VALU_DEP_1)
	v_mul_f32_e32 v1, v54, v1
	v_and_b32_e32 v6, 0x7f800000, v1
	s_delay_alu instid0(VALU_DEP_1) | instskip(NEXT) | instid1(VALU_DEP_1)
	v_cmp_ne_u32_e64 s0, 0x7f800000, v6
                                        ; implicit-def: $vgpr6
	s_and_saveexec_b32 s16, s0
	s_delay_alu instid0(SALU_CYCLE_1)
	s_xor_b32 s0, exec_lo, s16
; %bb.316:                              ;   in Loop: Header=BB181_38 Depth=1
	v_bfe_u32 v6, v1, 16, 1
	s_delay_alu instid0(VALU_DEP_1)
	v_add3_u32 v6, v1, v6, 0x7fff
                                        ; implicit-def: $vgpr1
; %bb.317:                              ;   in Loop: Header=BB181_38 Depth=1
	s_and_not1_saveexec_b32 s16, s0
; %bb.318:                              ;   in Loop: Header=BB181_38 Depth=1
	v_and_b32_e32 v6, 0xffff, v1
	v_or_b32_e32 v106, 0x10000, v1
	s_delay_alu instid0(VALU_DEP_2) | instskip(NEXT) | instid1(VALU_DEP_1)
	v_cmp_eq_u32_e64 s0, 0, v6
	v_cndmask_b32_e64 v6, v106, v1, s0
; %bb.319:                              ;   in Loop: Header=BB181_38 Depth=1
	s_or_b32 exec_lo, exec_lo, s16
	v_lshlrev_b32_e32 v1, 16, v2
                                        ; implicit-def: $vgpr106
	s_delay_alu instid0(VALU_DEP_1) | instskip(NEXT) | instid1(VALU_DEP_1)
	v_mul_f32_e32 v1, v55, v1
	v_and_b32_e32 v2, 0x7f800000, v1
	s_delay_alu instid0(VALU_DEP_1) | instskip(NEXT) | instid1(VALU_DEP_1)
	v_cmp_ne_u32_e64 s0, 0x7f800000, v2
	s_and_saveexec_b32 s16, s0
	s_delay_alu instid0(SALU_CYCLE_1)
	s_xor_b32 s0, exec_lo, s16
; %bb.320:                              ;   in Loop: Header=BB181_38 Depth=1
	v_bfe_u32 v2, v1, 16, 1
	s_delay_alu instid0(VALU_DEP_1)
	v_add3_u32 v106, v1, v2, 0x7fff
                                        ; implicit-def: $vgpr1
; %bb.321:                              ;   in Loop: Header=BB181_38 Depth=1
	s_and_not1_saveexec_b32 s16, s0
; %bb.322:                              ;   in Loop: Header=BB181_38 Depth=1
	v_and_b32_e32 v2, 0xffff, v1
	v_or_b32_e32 v106, 0x10000, v1
	s_delay_alu instid0(VALU_DEP_2) | instskip(NEXT) | instid1(VALU_DEP_1)
	v_cmp_eq_u32_e64 s0, 0, v2
	v_cndmask_b32_e64 v106, v106, v1, s0
; %bb.323:                              ;   in Loop: Header=BB181_38 Depth=1
	s_or_b32 exec_lo, exec_lo, s16
	v_lshlrev_b32_e32 v1, 16, v107
                                        ; implicit-def: $vgpr107
	s_delay_alu instid0(VALU_DEP_1) | instskip(NEXT) | instid1(VALU_DEP_1)
	v_mul_f32_e32 v1, v56, v1
	v_and_b32_e32 v2, 0x7f800000, v1
	s_delay_alu instid0(VALU_DEP_1) | instskip(NEXT) | instid1(VALU_DEP_1)
	v_cmp_ne_u32_e64 s0, 0x7f800000, v2
	s_and_saveexec_b32 s16, s0
	s_delay_alu instid0(SALU_CYCLE_1)
	s_xor_b32 s0, exec_lo, s16
; %bb.324:                              ;   in Loop: Header=BB181_38 Depth=1
	v_bfe_u32 v2, v1, 16, 1
	s_delay_alu instid0(VALU_DEP_1)
	v_add3_u32 v107, v1, v2, 0x7fff
                                        ; implicit-def: $vgpr1
; %bb.325:                              ;   in Loop: Header=BB181_38 Depth=1
	s_and_not1_saveexec_b32 s16, s0
; %bb.326:                              ;   in Loop: Header=BB181_38 Depth=1
	v_and_b32_e32 v2, 0xffff, v1
	v_or_b32_e32 v107, 0x10000, v1
	s_delay_alu instid0(VALU_DEP_2) | instskip(NEXT) | instid1(VALU_DEP_1)
	v_cmp_eq_u32_e64 s0, 0, v2
	v_cndmask_b32_e64 v107, v107, v1, s0
; %bb.327:                              ;   in Loop: Header=BB181_38 Depth=1
	s_or_b32 exec_lo, exec_lo, s16
	v_lshlrev_b32_e32 v1, 16, v3
                                        ; implicit-def: $vgpr108
	s_delay_alu instid0(VALU_DEP_1) | instskip(NEXT) | instid1(VALU_DEP_1)
	v_mul_f32_e32 v1, v57, v1
	v_and_b32_e32 v2, 0x7f800000, v1
	s_delay_alu instid0(VALU_DEP_1) | instskip(NEXT) | instid1(VALU_DEP_1)
	v_cmp_ne_u32_e64 s0, 0x7f800000, v2
	s_and_saveexec_b32 s16, s0
	s_delay_alu instid0(SALU_CYCLE_1)
	s_xor_b32 s0, exec_lo, s16
; %bb.328:                              ;   in Loop: Header=BB181_38 Depth=1
	v_bfe_u32 v2, v1, 16, 1
	s_delay_alu instid0(VALU_DEP_1)
	v_add3_u32 v108, v1, v2, 0x7fff
                                        ; implicit-def: $vgpr1
; %bb.329:                              ;   in Loop: Header=BB181_38 Depth=1
	s_and_not1_saveexec_b32 s16, s0
; %bb.330:                              ;   in Loop: Header=BB181_38 Depth=1
	v_and_b32_e32 v2, 0xffff, v1
	v_or_b32_e32 v3, 0x10000, v1
	s_delay_alu instid0(VALU_DEP_2) | instskip(NEXT) | instid1(VALU_DEP_1)
	v_cmp_eq_u32_e64 s0, 0, v2
	v_cndmask_b32_e64 v108, v3, v1, s0
; %bb.331:                              ;   in Loop: Header=BB181_38 Depth=1
	s_or_b32 exec_lo, exec_lo, s16
	v_lshlrev_b32_e32 v1, 16, v109
                                        ; implicit-def: $vgpr109
	s_delay_alu instid0(VALU_DEP_1) | instskip(NEXT) | instid1(VALU_DEP_1)
	v_mul_f32_e32 v1, v58, v1
	v_and_b32_e32 v2, 0x7f800000, v1
	s_delay_alu instid0(VALU_DEP_1) | instskip(NEXT) | instid1(VALU_DEP_1)
	v_cmp_ne_u32_e64 s0, 0x7f800000, v2
	s_and_saveexec_b32 s16, s0
	s_delay_alu instid0(SALU_CYCLE_1)
	s_xor_b32 s0, exec_lo, s16
; %bb.332:                              ;   in Loop: Header=BB181_38 Depth=1
	v_bfe_u32 v2, v1, 16, 1
	s_delay_alu instid0(VALU_DEP_1)
	v_add3_u32 v109, v1, v2, 0x7fff
                                        ; implicit-def: $vgpr1
; %bb.333:                              ;   in Loop: Header=BB181_38 Depth=1
	s_and_not1_saveexec_b32 s16, s0
; %bb.334:                              ;   in Loop: Header=BB181_38 Depth=1
	v_and_b32_e32 v2, 0xffff, v1
	v_or_b32_e32 v3, 0x10000, v1
	s_delay_alu instid0(VALU_DEP_2) | instskip(NEXT) | instid1(VALU_DEP_1)
	v_cmp_eq_u32_e64 s0, 0, v2
	v_cndmask_b32_e64 v109, v3, v1, s0
; %bb.335:                              ;   in Loop: Header=BB181_38 Depth=1
	s_or_b32 exec_lo, exec_lo, s16
	v_lshlrev_b32_e32 v1, 16, v4
                                        ; implicit-def: $vgpr110
	s_delay_alu instid0(VALU_DEP_1) | instskip(NEXT) | instid1(VALU_DEP_1)
	v_mul_f32_e32 v1, v59, v1
	v_and_b32_e32 v2, 0x7f800000, v1
	s_delay_alu instid0(VALU_DEP_1) | instskip(NEXT) | instid1(VALU_DEP_1)
	v_cmp_ne_u32_e64 s0, 0x7f800000, v2
	s_and_saveexec_b32 s16, s0
	s_delay_alu instid0(SALU_CYCLE_1)
	s_xor_b32 s0, exec_lo, s16
; %bb.336:                              ;   in Loop: Header=BB181_38 Depth=1
	v_bfe_u32 v2, v1, 16, 1
	s_delay_alu instid0(VALU_DEP_1)
	v_add3_u32 v110, v1, v2, 0x7fff
                                        ; implicit-def: $vgpr1
; %bb.337:                              ;   in Loop: Header=BB181_38 Depth=1
	s_and_not1_saveexec_b32 s16, s0
; %bb.338:                              ;   in Loop: Header=BB181_38 Depth=1
	v_and_b32_e32 v2, 0xffff, v1
	v_or_b32_e32 v3, 0x10000, v1
	s_delay_alu instid0(VALU_DEP_2) | instskip(NEXT) | instid1(VALU_DEP_1)
	v_cmp_eq_u32_e64 s0, 0, v2
	v_cndmask_b32_e64 v110, v3, v1, s0
; %bb.339:                              ;   in Loop: Header=BB181_38 Depth=1
	s_or_b32 exec_lo, exec_lo, s16
	v_lshlrev_b32_e32 v1, 16, v111
                                        ; implicit-def: $vgpr111
	s_delay_alu instid0(VALU_DEP_1) | instskip(NEXT) | instid1(VALU_DEP_1)
	v_mul_f32_e32 v1, v60, v1
	v_and_b32_e32 v2, 0x7f800000, v1
	s_delay_alu instid0(VALU_DEP_1) | instskip(NEXT) | instid1(VALU_DEP_1)
	v_cmp_ne_u32_e64 s0, 0x7f800000, v2
	s_and_saveexec_b32 s16, s0
	s_delay_alu instid0(SALU_CYCLE_1)
	s_xor_b32 s0, exec_lo, s16
; %bb.340:                              ;   in Loop: Header=BB181_38 Depth=1
	v_bfe_u32 v2, v1, 16, 1
	s_delay_alu instid0(VALU_DEP_1)
	v_add3_u32 v111, v1, v2, 0x7fff
                                        ; implicit-def: $vgpr1
; %bb.341:                              ;   in Loop: Header=BB181_38 Depth=1
	s_and_not1_saveexec_b32 s16, s0
; %bb.342:                              ;   in Loop: Header=BB181_38 Depth=1
	v_and_b32_e32 v2, 0xffff, v1
	v_or_b32_e32 v3, 0x10000, v1
	s_delay_alu instid0(VALU_DEP_2) | instskip(NEXT) | instid1(VALU_DEP_1)
	v_cmp_eq_u32_e64 s0, 0, v2
	v_cndmask_b32_e64 v111, v3, v1, s0
; %bb.343:                              ;   in Loop: Header=BB181_38 Depth=1
	s_or_b32 exec_lo, exec_lo, s16
	v_add_co_u32 v1, s0, v50, v31
	s_delay_alu instid0(VALU_DEP_1)
	v_add_co_ci_u32_e64 v2, s0, 0, v51, s0
	global_load_b128 v[1:4], v[1:2], off
	s_waitcnt vmcnt(0)
	v_lshrrev_b32_e32 v113, 16, v1
	v_lshrrev_b32_e32 v115, 16, v2
	;; [unrolled: 1-line block ×4, first 2 shown]
	s_and_saveexec_b32 s16, vcc_lo
	s_cbranch_execz .LBB181_345
; %bb.344:                              ;   in Loop: Header=BB181_38 Depth=1
	v_cmp_gt_i32_e64 s0, s33, v42
	s_delay_alu instid0(VALU_DEP_1) | instskip(SKIP_1) | instid1(VALU_DEP_1)
	v_cndmask_b32_e64 v1, 0, v1, s0
	v_cmp_gt_i32_e64 s0, s33, v49
	v_cndmask_b32_e64 v113, 0, v113, s0
	v_cmp_gt_i32_e64 s0, s33, v48
	s_delay_alu instid0(VALU_DEP_1) | instskip(SKIP_1) | instid1(VALU_DEP_1)
	v_cndmask_b32_e64 v2, 0, v2, s0
	v_cmp_gt_i32_e64 s0, s33, v46
	v_cndmask_b32_e64 v115, 0, v115, s0
	;; [unrolled: 5-line block ×4, first 2 shown]
.LBB181_345:                            ;   in Loop: Header=BB181_38 Depth=1
	s_or_b32 exec_lo, exec_lo, s16
	v_lshlrev_b32_e32 v1, 16, v1
	s_delay_alu instid0(VALU_DEP_1) | instskip(NEXT) | instid1(VALU_DEP_1)
	v_mul_f32_e32 v1, v53, v1
	v_and_b32_e32 v112, 0x7f800000, v1
	s_delay_alu instid0(VALU_DEP_1) | instskip(NEXT) | instid1(VALU_DEP_1)
	v_cmp_ne_u32_e64 s0, 0x7f800000, v112
                                        ; implicit-def: $vgpr112
	s_and_saveexec_b32 s16, s0
	s_delay_alu instid0(SALU_CYCLE_1)
	s_xor_b32 s0, exec_lo, s16
; %bb.346:                              ;   in Loop: Header=BB181_38 Depth=1
	v_bfe_u32 v112, v1, 16, 1
	s_delay_alu instid0(VALU_DEP_1)
	v_add3_u32 v112, v1, v112, 0x7fff
                                        ; implicit-def: $vgpr1
; %bb.347:                              ;   in Loop: Header=BB181_38 Depth=1
	s_and_not1_saveexec_b32 s16, s0
; %bb.348:                              ;   in Loop: Header=BB181_38 Depth=1
	v_and_b32_e32 v112, 0xffff, v1
	v_or_b32_e32 v114, 0x10000, v1
	s_delay_alu instid0(VALU_DEP_2) | instskip(NEXT) | instid1(VALU_DEP_1)
	v_cmp_eq_u32_e64 s0, 0, v112
	v_cndmask_b32_e64 v112, v114, v1, s0
; %bb.349:                              ;   in Loop: Header=BB181_38 Depth=1
	s_or_b32 exec_lo, exec_lo, s16
	v_lshlrev_b32_e32 v1, 16, v113
	s_delay_alu instid0(VALU_DEP_1) | instskip(NEXT) | instid1(VALU_DEP_1)
	v_mul_f32_e32 v1, v54, v1
	v_and_b32_e32 v113, 0x7f800000, v1
	s_delay_alu instid0(VALU_DEP_1) | instskip(NEXT) | instid1(VALU_DEP_1)
	v_cmp_ne_u32_e64 s0, 0x7f800000, v113
                                        ; implicit-def: $vgpr113
	s_and_saveexec_b32 s16, s0
	s_delay_alu instid0(SALU_CYCLE_1)
	s_xor_b32 s0, exec_lo, s16
; %bb.350:                              ;   in Loop: Header=BB181_38 Depth=1
	v_bfe_u32 v113, v1, 16, 1
	s_delay_alu instid0(VALU_DEP_1)
	v_add3_u32 v113, v1, v113, 0x7fff
                                        ; implicit-def: $vgpr1
; %bb.351:                              ;   in Loop: Header=BB181_38 Depth=1
	s_and_not1_saveexec_b32 s16, s0
; %bb.352:                              ;   in Loop: Header=BB181_38 Depth=1
	v_and_b32_e32 v113, 0xffff, v1
	v_or_b32_e32 v114, 0x10000, v1
	s_delay_alu instid0(VALU_DEP_2) | instskip(NEXT) | instid1(VALU_DEP_1)
	v_cmp_eq_u32_e64 s0, 0, v113
	v_cndmask_b32_e64 v113, v114, v1, s0
; %bb.353:                              ;   in Loop: Header=BB181_38 Depth=1
	s_or_b32 exec_lo, exec_lo, s16
	v_lshlrev_b32_e32 v1, 16, v2
                                        ; implicit-def: $vgpr114
	s_delay_alu instid0(VALU_DEP_1) | instskip(NEXT) | instid1(VALU_DEP_1)
	v_mul_f32_e32 v1, v55, v1
	v_and_b32_e32 v2, 0x7f800000, v1
	s_delay_alu instid0(VALU_DEP_1) | instskip(NEXT) | instid1(VALU_DEP_1)
	v_cmp_ne_u32_e64 s0, 0x7f800000, v2
	s_and_saveexec_b32 s16, s0
	s_delay_alu instid0(SALU_CYCLE_1)
	s_xor_b32 s0, exec_lo, s16
; %bb.354:                              ;   in Loop: Header=BB181_38 Depth=1
	v_bfe_u32 v2, v1, 16, 1
	s_delay_alu instid0(VALU_DEP_1)
	v_add3_u32 v114, v1, v2, 0x7fff
                                        ; implicit-def: $vgpr1
; %bb.355:                              ;   in Loop: Header=BB181_38 Depth=1
	s_and_not1_saveexec_b32 s16, s0
; %bb.356:                              ;   in Loop: Header=BB181_38 Depth=1
	v_and_b32_e32 v2, 0xffff, v1
	v_or_b32_e32 v114, 0x10000, v1
	s_delay_alu instid0(VALU_DEP_2) | instskip(NEXT) | instid1(VALU_DEP_1)
	v_cmp_eq_u32_e64 s0, 0, v2
	v_cndmask_b32_e64 v114, v114, v1, s0
; %bb.357:                              ;   in Loop: Header=BB181_38 Depth=1
	s_or_b32 exec_lo, exec_lo, s16
	v_lshlrev_b32_e32 v1, 16, v115
                                        ; implicit-def: $vgpr115
	s_delay_alu instid0(VALU_DEP_1) | instskip(NEXT) | instid1(VALU_DEP_1)
	v_mul_f32_e32 v1, v56, v1
	v_and_b32_e32 v2, 0x7f800000, v1
	s_delay_alu instid0(VALU_DEP_1) | instskip(NEXT) | instid1(VALU_DEP_1)
	v_cmp_ne_u32_e64 s0, 0x7f800000, v2
	s_and_saveexec_b32 s16, s0
	s_delay_alu instid0(SALU_CYCLE_1)
	s_xor_b32 s0, exec_lo, s16
; %bb.358:                              ;   in Loop: Header=BB181_38 Depth=1
	v_bfe_u32 v2, v1, 16, 1
	s_delay_alu instid0(VALU_DEP_1)
	v_add3_u32 v115, v1, v2, 0x7fff
                                        ; implicit-def: $vgpr1
; %bb.359:                              ;   in Loop: Header=BB181_38 Depth=1
	s_and_not1_saveexec_b32 s16, s0
; %bb.360:                              ;   in Loop: Header=BB181_38 Depth=1
	v_and_b32_e32 v2, 0xffff, v1
	v_or_b32_e32 v115, 0x10000, v1
	s_delay_alu instid0(VALU_DEP_2) | instskip(NEXT) | instid1(VALU_DEP_1)
	v_cmp_eq_u32_e64 s0, 0, v2
	v_cndmask_b32_e64 v115, v115, v1, s0
; %bb.361:                              ;   in Loop: Header=BB181_38 Depth=1
	s_or_b32 exec_lo, exec_lo, s16
	v_lshlrev_b32_e32 v1, 16, v3
                                        ; implicit-def: $vgpr116
	s_delay_alu instid0(VALU_DEP_1) | instskip(NEXT) | instid1(VALU_DEP_1)
	v_mul_f32_e32 v1, v57, v1
	v_and_b32_e32 v2, 0x7f800000, v1
	s_delay_alu instid0(VALU_DEP_1) | instskip(NEXT) | instid1(VALU_DEP_1)
	v_cmp_ne_u32_e64 s0, 0x7f800000, v2
	s_and_saveexec_b32 s16, s0
	s_delay_alu instid0(SALU_CYCLE_1)
	s_xor_b32 s0, exec_lo, s16
; %bb.362:                              ;   in Loop: Header=BB181_38 Depth=1
	v_bfe_u32 v2, v1, 16, 1
	s_delay_alu instid0(VALU_DEP_1)
	v_add3_u32 v116, v1, v2, 0x7fff
                                        ; implicit-def: $vgpr1
; %bb.363:                              ;   in Loop: Header=BB181_38 Depth=1
	s_and_not1_saveexec_b32 s16, s0
; %bb.364:                              ;   in Loop: Header=BB181_38 Depth=1
	v_and_b32_e32 v2, 0xffff, v1
	v_or_b32_e32 v3, 0x10000, v1
	s_delay_alu instid0(VALU_DEP_2) | instskip(NEXT) | instid1(VALU_DEP_1)
	v_cmp_eq_u32_e64 s0, 0, v2
	v_cndmask_b32_e64 v116, v3, v1, s0
; %bb.365:                              ;   in Loop: Header=BB181_38 Depth=1
	s_or_b32 exec_lo, exec_lo, s16
	v_lshlrev_b32_e32 v1, 16, v117
                                        ; implicit-def: $vgpr117
	s_delay_alu instid0(VALU_DEP_1) | instskip(NEXT) | instid1(VALU_DEP_1)
	v_mul_f32_e32 v1, v58, v1
	v_and_b32_e32 v2, 0x7f800000, v1
	s_delay_alu instid0(VALU_DEP_1) | instskip(NEXT) | instid1(VALU_DEP_1)
	v_cmp_ne_u32_e64 s0, 0x7f800000, v2
	s_and_saveexec_b32 s16, s0
	s_delay_alu instid0(SALU_CYCLE_1)
	s_xor_b32 s0, exec_lo, s16
; %bb.366:                              ;   in Loop: Header=BB181_38 Depth=1
	v_bfe_u32 v2, v1, 16, 1
	s_delay_alu instid0(VALU_DEP_1)
	v_add3_u32 v117, v1, v2, 0x7fff
                                        ; implicit-def: $vgpr1
; %bb.367:                              ;   in Loop: Header=BB181_38 Depth=1
	s_and_not1_saveexec_b32 s16, s0
; %bb.368:                              ;   in Loop: Header=BB181_38 Depth=1
	v_and_b32_e32 v2, 0xffff, v1
	v_or_b32_e32 v3, 0x10000, v1
	s_delay_alu instid0(VALU_DEP_2) | instskip(NEXT) | instid1(VALU_DEP_1)
	v_cmp_eq_u32_e64 s0, 0, v2
	v_cndmask_b32_e64 v117, v3, v1, s0
; %bb.369:                              ;   in Loop: Header=BB181_38 Depth=1
	s_or_b32 exec_lo, exec_lo, s16
	v_lshlrev_b32_e32 v1, 16, v4
                                        ; implicit-def: $vgpr118
	s_delay_alu instid0(VALU_DEP_1) | instskip(NEXT) | instid1(VALU_DEP_1)
	v_mul_f32_e32 v1, v59, v1
	v_and_b32_e32 v2, 0x7f800000, v1
	s_delay_alu instid0(VALU_DEP_1) | instskip(NEXT) | instid1(VALU_DEP_1)
	v_cmp_ne_u32_e64 s0, 0x7f800000, v2
	s_and_saveexec_b32 s16, s0
	s_delay_alu instid0(SALU_CYCLE_1)
	s_xor_b32 s0, exec_lo, s16
; %bb.370:                              ;   in Loop: Header=BB181_38 Depth=1
	v_bfe_u32 v2, v1, 16, 1
	s_delay_alu instid0(VALU_DEP_1)
	v_add3_u32 v118, v1, v2, 0x7fff
                                        ; implicit-def: $vgpr1
; %bb.371:                              ;   in Loop: Header=BB181_38 Depth=1
	s_and_not1_saveexec_b32 s16, s0
; %bb.372:                              ;   in Loop: Header=BB181_38 Depth=1
	v_and_b32_e32 v2, 0xffff, v1
	v_or_b32_e32 v3, 0x10000, v1
	s_delay_alu instid0(VALU_DEP_2) | instskip(NEXT) | instid1(VALU_DEP_1)
	v_cmp_eq_u32_e64 s0, 0, v2
	v_cndmask_b32_e64 v118, v3, v1, s0
; %bb.373:                              ;   in Loop: Header=BB181_38 Depth=1
	s_or_b32 exec_lo, exec_lo, s16
	v_lshlrev_b32_e32 v1, 16, v119
                                        ; implicit-def: $vgpr119
	s_delay_alu instid0(VALU_DEP_1) | instskip(NEXT) | instid1(VALU_DEP_1)
	v_mul_f32_e32 v1, v60, v1
	v_and_b32_e32 v2, 0x7f800000, v1
	s_delay_alu instid0(VALU_DEP_1) | instskip(NEXT) | instid1(VALU_DEP_1)
	v_cmp_ne_u32_e64 s0, 0x7f800000, v2
	s_and_saveexec_b32 s16, s0
	s_delay_alu instid0(SALU_CYCLE_1)
	s_xor_b32 s0, exec_lo, s16
; %bb.374:                              ;   in Loop: Header=BB181_38 Depth=1
	v_bfe_u32 v2, v1, 16, 1
	s_delay_alu instid0(VALU_DEP_1)
	v_add3_u32 v119, v1, v2, 0x7fff
                                        ; implicit-def: $vgpr1
; %bb.375:                              ;   in Loop: Header=BB181_38 Depth=1
	s_and_not1_saveexec_b32 s16, s0
; %bb.376:                              ;   in Loop: Header=BB181_38 Depth=1
	v_and_b32_e32 v2, 0xffff, v1
	v_or_b32_e32 v3, 0x10000, v1
	s_delay_alu instid0(VALU_DEP_2) | instskip(NEXT) | instid1(VALU_DEP_1)
	v_cmp_eq_u32_e64 s0, 0, v2
	v_cndmask_b32_e64 v119, v3, v1, s0
; %bb.377:                              ;   in Loop: Header=BB181_38 Depth=1
	s_or_b32 exec_lo, exec_lo, s16
	v_add_co_u32 v1, s0, v50, v32
	s_delay_alu instid0(VALU_DEP_1)
	v_add_co_ci_u32_e64 v2, s0, 0, v51, s0
	global_load_b128 v[1:4], v[1:2], off
	s_waitcnt vmcnt(0)
	v_lshrrev_b32_e32 v121, 16, v1
	v_lshrrev_b32_e32 v120, 16, v2
	;; [unrolled: 1-line block ×4, first 2 shown]
	s_and_saveexec_b32 s0, vcc_lo
	s_cbranch_execz .LBB181_379
; %bb.378:                              ;   in Loop: Header=BB181_38 Depth=1
	v_cmp_gt_i32_e32 vcc_lo, s33, v42
	v_cndmask_b32_e32 v1, 0, v1, vcc_lo
	v_cmp_gt_i32_e32 vcc_lo, s33, v49
	v_cndmask_b32_e32 v121, 0, v121, vcc_lo
	;; [unrolled: 2-line block ×8, first 2 shown]
.LBB181_379:                            ;   in Loop: Header=BB181_38 Depth=1
	s_or_b32 exec_lo, exec_lo, s0
	v_lshlrev_b32_e32 v1, 16, v1
	s_delay_alu instid0(VALU_DEP_1) | instskip(NEXT) | instid1(VALU_DEP_1)
	v_mul_f32_e32 v42, v53, v1
	v_and_b32_e32 v1, 0x7f800000, v42
	s_delay_alu instid0(VALU_DEP_1) | instskip(SKIP_1) | instid1(SALU_CYCLE_1)
	v_cmp_ne_u32_e32 vcc_lo, 0x7f800000, v1
                                        ; implicit-def: $vgpr1
	s_and_saveexec_b32 s0, vcc_lo
	s_xor_b32 s0, exec_lo, s0
; %bb.380:                              ;   in Loop: Header=BB181_38 Depth=1
	v_bfe_u32 v1, v42, 16, 1
	s_delay_alu instid0(VALU_DEP_1)
	v_add3_u32 v1, v42, v1, 0x7fff
                                        ; implicit-def: $vgpr42
; %bb.381:                              ;   in Loop: Header=BB181_38 Depth=1
	s_and_not1_saveexec_b32 s0, s0
; %bb.382:                              ;   in Loop: Header=BB181_38 Depth=1
	v_and_b32_e32 v1, 0xffff, v42
	v_or_b32_e32 v43, 0x10000, v42
	s_delay_alu instid0(VALU_DEP_2) | instskip(NEXT) | instid1(VALU_DEP_2)
	v_cmp_eq_u32_e32 vcc_lo, 0, v1
	v_cndmask_b32_e32 v1, v43, v42, vcc_lo
; %bb.383:                              ;   in Loop: Header=BB181_38 Depth=1
	s_or_b32 exec_lo, exec_lo, s0
	v_lshlrev_b32_e32 v42, 16, v121
	s_delay_alu instid0(VALU_DEP_1) | instskip(NEXT) | instid1(VALU_DEP_1)
	v_mul_f32_e32 v43, v54, v42
	v_and_b32_e32 v42, 0x7f800000, v43
	s_delay_alu instid0(VALU_DEP_1) | instskip(SKIP_1) | instid1(SALU_CYCLE_1)
	v_cmp_ne_u32_e32 vcc_lo, 0x7f800000, v42
                                        ; implicit-def: $vgpr42
	s_and_saveexec_b32 s0, vcc_lo
	s_xor_b32 s0, exec_lo, s0
; %bb.384:                              ;   in Loop: Header=BB181_38 Depth=1
	v_bfe_u32 v42, v43, 16, 1
	s_delay_alu instid0(VALU_DEP_1)
	v_add3_u32 v42, v43, v42, 0x7fff
                                        ; implicit-def: $vgpr43
; %bb.385:                              ;   in Loop: Header=BB181_38 Depth=1
	s_and_not1_saveexec_b32 s0, s0
; %bb.386:                              ;   in Loop: Header=BB181_38 Depth=1
	v_and_b32_e32 v42, 0xffff, v43
	v_or_b32_e32 v44, 0x10000, v43
	s_delay_alu instid0(VALU_DEP_2) | instskip(NEXT) | instid1(VALU_DEP_2)
	v_cmp_eq_u32_e32 vcc_lo, 0, v42
	v_cndmask_b32_e32 v42, v44, v43, vcc_lo
; %bb.387:                              ;   in Loop: Header=BB181_38 Depth=1
	s_or_b32 exec_lo, exec_lo, s0
	v_lshlrev_b32_e32 v2, 16, v2
	s_delay_alu instid0(VALU_DEP_1) | instskip(NEXT) | instid1(VALU_DEP_1)
	v_mul_f32_e32 v43, v55, v2
	v_and_b32_e32 v2, 0x7f800000, v43
	s_delay_alu instid0(VALU_DEP_1) | instskip(SKIP_1) | instid1(SALU_CYCLE_1)
	v_cmp_ne_u32_e32 vcc_lo, 0x7f800000, v2
                                        ; implicit-def: $vgpr2
	s_and_saveexec_b32 s0, vcc_lo
	s_xor_b32 s0, exec_lo, s0
; %bb.388:                              ;   in Loop: Header=BB181_38 Depth=1
	v_bfe_u32 v2, v43, 16, 1
	s_delay_alu instid0(VALU_DEP_1)
	v_add3_u32 v2, v43, v2, 0x7fff
                                        ; implicit-def: $vgpr43
; %bb.389:                              ;   in Loop: Header=BB181_38 Depth=1
	s_and_not1_saveexec_b32 s0, s0
; %bb.390:                              ;   in Loop: Header=BB181_38 Depth=1
	v_and_b32_e32 v2, 0xffff, v43
	v_or_b32_e32 v44, 0x10000, v43
	s_delay_alu instid0(VALU_DEP_2) | instskip(NEXT) | instid1(VALU_DEP_2)
	v_cmp_eq_u32_e32 vcc_lo, 0, v2
	v_cndmask_b32_e32 v2, v44, v43, vcc_lo
; %bb.391:                              ;   in Loop: Header=BB181_38 Depth=1
	s_or_b32 exec_lo, exec_lo, s0
	v_lshlrev_b32_e32 v43, 16, v120
	s_delay_alu instid0(VALU_DEP_1) | instskip(NEXT) | instid1(VALU_DEP_1)
	v_mul_f32_e32 v44, v56, v43
	v_and_b32_e32 v43, 0x7f800000, v44
	s_delay_alu instid0(VALU_DEP_1) | instskip(SKIP_1) | instid1(SALU_CYCLE_1)
	v_cmp_ne_u32_e32 vcc_lo, 0x7f800000, v43
                                        ; implicit-def: $vgpr43
	s_and_saveexec_b32 s0, vcc_lo
	s_xor_b32 s0, exec_lo, s0
; %bb.392:                              ;   in Loop: Header=BB181_38 Depth=1
	v_bfe_u32 v43, v44, 16, 1
	s_delay_alu instid0(VALU_DEP_1)
	v_add3_u32 v43, v44, v43, 0x7fff
                                        ; implicit-def: $vgpr44
; %bb.393:                              ;   in Loop: Header=BB181_38 Depth=1
	s_and_not1_saveexec_b32 s0, s0
; %bb.394:                              ;   in Loop: Header=BB181_38 Depth=1
	v_and_b32_e32 v43, 0xffff, v44
	v_or_b32_e32 v45, 0x10000, v44
	s_delay_alu instid0(VALU_DEP_2) | instskip(NEXT) | instid1(VALU_DEP_2)
	v_cmp_eq_u32_e32 vcc_lo, 0, v43
	v_cndmask_b32_e32 v43, v45, v44, vcc_lo
; %bb.395:                              ;   in Loop: Header=BB181_38 Depth=1
	s_or_b32 exec_lo, exec_lo, s0
	v_lshlrev_b32_e32 v3, 16, v3
	s_delay_alu instid0(VALU_DEP_1) | instskip(NEXT) | instid1(VALU_DEP_1)
	v_mul_f32_e32 v44, v57, v3
	v_and_b32_e32 v3, 0x7f800000, v44
	s_delay_alu instid0(VALU_DEP_1) | instskip(SKIP_1) | instid1(SALU_CYCLE_1)
	v_cmp_ne_u32_e32 vcc_lo, 0x7f800000, v3
                                        ; implicit-def: $vgpr3
	s_and_saveexec_b32 s0, vcc_lo
	s_xor_b32 s0, exec_lo, s0
; %bb.396:                              ;   in Loop: Header=BB181_38 Depth=1
	v_bfe_u32 v3, v44, 16, 1
	s_delay_alu instid0(VALU_DEP_1)
	v_add3_u32 v3, v44, v3, 0x7fff
                                        ; implicit-def: $vgpr44
; %bb.397:                              ;   in Loop: Header=BB181_38 Depth=1
	s_and_not1_saveexec_b32 s0, s0
; %bb.398:                              ;   in Loop: Header=BB181_38 Depth=1
	v_and_b32_e32 v3, 0xffff, v44
	v_or_b32_e32 v45, 0x10000, v44
	s_delay_alu instid0(VALU_DEP_2) | instskip(NEXT) | instid1(VALU_DEP_2)
	v_cmp_eq_u32_e32 vcc_lo, 0, v3
	v_cndmask_b32_e32 v3, v45, v44, vcc_lo
; %bb.399:                              ;   in Loop: Header=BB181_38 Depth=1
	s_or_b32 exec_lo, exec_lo, s0
	v_lshlrev_b32_e32 v44, 16, v51
	s_delay_alu instid0(VALU_DEP_1) | instskip(NEXT) | instid1(VALU_DEP_1)
	v_mul_f32_e32 v45, v58, v44
	v_and_b32_e32 v44, 0x7f800000, v45
	s_delay_alu instid0(VALU_DEP_1) | instskip(SKIP_1) | instid1(SALU_CYCLE_1)
	v_cmp_ne_u32_e32 vcc_lo, 0x7f800000, v44
                                        ; implicit-def: $vgpr44
	s_and_saveexec_b32 s0, vcc_lo
	s_xor_b32 s0, exec_lo, s0
; %bb.400:                              ;   in Loop: Header=BB181_38 Depth=1
	v_bfe_u32 v44, v45, 16, 1
	s_delay_alu instid0(VALU_DEP_1)
	v_add3_u32 v44, v45, v44, 0x7fff
                                        ; implicit-def: $vgpr45
; %bb.401:                              ;   in Loop: Header=BB181_38 Depth=1
	s_and_not1_saveexec_b32 s0, s0
; %bb.402:                              ;   in Loop: Header=BB181_38 Depth=1
	v_and_b32_e32 v44, 0xffff, v45
	v_or_b32_e32 v46, 0x10000, v45
	s_delay_alu instid0(VALU_DEP_2) | instskip(NEXT) | instid1(VALU_DEP_2)
	v_cmp_eq_u32_e32 vcc_lo, 0, v44
	v_cndmask_b32_e32 v44, v46, v45, vcc_lo
; %bb.403:                              ;   in Loop: Header=BB181_38 Depth=1
	s_or_b32 exec_lo, exec_lo, s0
	v_lshlrev_b32_e32 v4, 16, v4
	s_delay_alu instid0(VALU_DEP_1) | instskip(NEXT) | instid1(VALU_DEP_1)
	v_mul_f32_e32 v45, v59, v4
	v_and_b32_e32 v4, 0x7f800000, v45
	s_delay_alu instid0(VALU_DEP_1) | instskip(SKIP_1) | instid1(SALU_CYCLE_1)
	v_cmp_ne_u32_e32 vcc_lo, 0x7f800000, v4
                                        ; implicit-def: $vgpr4
	s_and_saveexec_b32 s0, vcc_lo
	s_xor_b32 s0, exec_lo, s0
; %bb.404:                              ;   in Loop: Header=BB181_38 Depth=1
	v_bfe_u32 v4, v45, 16, 1
	s_delay_alu instid0(VALU_DEP_1)
	v_add3_u32 v4, v45, v4, 0x7fff
                                        ; implicit-def: $vgpr45
; %bb.405:                              ;   in Loop: Header=BB181_38 Depth=1
	s_and_not1_saveexec_b32 s0, s0
; %bb.406:                              ;   in Loop: Header=BB181_38 Depth=1
	v_and_b32_e32 v4, 0xffff, v45
	v_or_b32_e32 v46, 0x10000, v45
	s_delay_alu instid0(VALU_DEP_2) | instskip(NEXT) | instid1(VALU_DEP_2)
	v_cmp_eq_u32_e32 vcc_lo, 0, v4
	v_cndmask_b32_e32 v4, v46, v45, vcc_lo
; %bb.407:                              ;   in Loop: Header=BB181_38 Depth=1
	s_or_b32 exec_lo, exec_lo, s0
	v_lshlrev_b32_e32 v45, 16, v50
	s_delay_alu instid0(VALU_DEP_1) | instskip(NEXT) | instid1(VALU_DEP_1)
	v_mul_f32_e32 v46, v60, v45
	v_and_b32_e32 v45, 0x7f800000, v46
	s_delay_alu instid0(VALU_DEP_1) | instskip(SKIP_1) | instid1(SALU_CYCLE_1)
	v_cmp_ne_u32_e32 vcc_lo, 0x7f800000, v45
                                        ; implicit-def: $vgpr45
	s_and_saveexec_b32 s0, vcc_lo
	s_xor_b32 s0, exec_lo, s0
; %bb.408:                              ;   in Loop: Header=BB181_38 Depth=1
	v_bfe_u32 v45, v46, 16, 1
	s_delay_alu instid0(VALU_DEP_1)
	v_add3_u32 v45, v46, v45, 0x7fff
                                        ; implicit-def: $vgpr46
; %bb.409:                              ;   in Loop: Header=BB181_38 Depth=1
	s_and_not1_saveexec_b32 s0, s0
	s_cbranch_execz .LBB181_36
; %bb.410:                              ;   in Loop: Header=BB181_38 Depth=1
	v_and_b32_e32 v45, 0xffff, v46
	v_or_b32_e32 v47, 0x10000, v46
	s_delay_alu instid0(VALU_DEP_2) | instskip(NEXT) | instid1(VALU_DEP_2)
	v_cmp_eq_u32_e32 vcc_lo, 0, v45
	v_cndmask_b32_e32 v45, v47, v46, vcc_lo
	s_branch .LBB181_36
.LBB181_411:
	s_or_b32 exec_lo, exec_lo, s3
.LBB181_412:
	s_delay_alu instid0(SALU_CYCLE_1)
	s_or_b32 exec_lo, exec_lo, s1
	ds_bpermute_b32 v1, v16, v27
	ds_bpermute_b32 v2, v16, v26
	;; [unrolled: 1-line block ×10, first 2 shown]
	v_lshrrev_b32_e32 v11, 2, v14
	s_movk_i32 s0, 0x140
	s_waitcnt lgkmcnt(0)
	s_waitcnt_vscnt null, 0x0
	s_barrier
	buffer_gl0_inv
	v_dual_add_f32 v1, v27, v1 :: v_dual_add_f32 v2, v26, v2
	v_dual_add_f32 v3, v25, v3 :: v_dual_add_f32 v4, v24, v4
	;; [unrolled: 1-line block ×5, first 2 shown]
	ds_bpermute_b32 v7, v12, v1
	ds_bpermute_b32 v8, v12, v2
	;; [unrolled: 1-line block ×10, first 2 shown]
	v_and_b32_e32 v10, 0x3c3, v0
	v_mad_u32_u24 v12, v13, s0, 0xc0
	v_lshlrev_b32_e32 v13, 2, v11
	s_waitcnt lgkmcnt(9)
	v_add_f32_e32 v1, v1, v7
	v_cmp_eq_u32_e32 vcc_lo, 64, v10
	s_waitcnt lgkmcnt(7)
	v_dual_add_f32 v10, v2, v8 :: v_dual_add_f32 v9, v3, v9
	s_waitcnt lgkmcnt(5)
	v_dual_add_f32 v8, v4, v20 :: v_dual_add_f32 v7, v5, v21
	;; [unrolled: 2-line block ×4, first 2 shown]
	s_waitcnt lgkmcnt(0)
	v_add_f32_e32 v2, v18, v26
	s_and_saveexec_b32 s0, vcc_lo
	s_cbranch_execz .LBB181_414
; %bb.413:
	v_add3_u32 v14, v12, v13, 0xfffffd80
	ds_store_2addr_b32 v14, v1, v10 offset1:8
	ds_store_2addr_b32 v14, v9, v8 offset0:16 offset1:24
	ds_store_2addr_b32 v14, v7, v6 offset0:32 offset1:40
	;; [unrolled: 1-line block ×4, first 2 shown]
.LBB181_414:
	s_or_b32 exec_lo, exec_lo, s0
	v_cmp_eq_u32_e32 vcc_lo, 0, v17
	s_mov_b32 s1, exec_lo
	s_waitcnt lgkmcnt(0)
	s_barrier
	buffer_gl0_inv
	v_cmpx_gt_u32_e32 64, v0
	s_cbranch_execz .LBB181_427
; %bb.415:
	s_and_saveexec_b32 s0, vcc_lo
	s_cbranch_execnz .LBB181_486
; %bb.416:
	s_or_b32 exec_lo, exec_lo, s0
	s_and_saveexec_b32 s0, vcc_lo
	s_cbranch_execnz .LBB181_487
.LBB181_417:
	s_or_b32 exec_lo, exec_lo, s0
	s_and_saveexec_b32 s0, vcc_lo
	s_cbranch_execnz .LBB181_488
.LBB181_418:
	s_or_b32 exec_lo, exec_lo, s0
	s_and_saveexec_b32 s0, vcc_lo
	s_cbranch_execnz .LBB181_489
.LBB181_419:
	s_or_b32 exec_lo, exec_lo, s0
	s_and_saveexec_b32 s0, vcc_lo
	s_cbranch_execnz .LBB181_490
.LBB181_420:
	s_or_b32 exec_lo, exec_lo, s0
	s_and_saveexec_b32 s0, vcc_lo
	s_cbranch_execnz .LBB181_491
.LBB181_421:
	s_or_b32 exec_lo, exec_lo, s0
	s_and_saveexec_b32 s0, vcc_lo
	s_cbranch_execnz .LBB181_492
.LBB181_422:
	s_or_b32 exec_lo, exec_lo, s0
	s_and_saveexec_b32 s0, vcc_lo
	s_cbranch_execnz .LBB181_493
.LBB181_423:
	s_or_b32 exec_lo, exec_lo, s0
	s_and_saveexec_b32 s0, vcc_lo
	s_cbranch_execnz .LBB181_494
.LBB181_424:
	s_or_b32 exec_lo, exec_lo, s0
	s_and_saveexec_b32 s0, vcc_lo
	s_cbranch_execz .LBB181_426
.LBB181_425:
	v_lshl_add_u32 v14, v11, 2, v12
	ds_load_b32 v14, v14 offset:288
	s_waitcnt lgkmcnt(0)
	v_add_f32_e32 v2, v2, v14
.LBB181_426:
	s_or_b32 exec_lo, exec_lo, s0
.LBB181_427:
	s_delay_alu instid0(SALU_CYCLE_1)
	s_or_b32 exec_lo, exec_lo, s1
	v_and_b32_e32 v14, 0x3e3, v0
	s_mov_b32 s1, exec_lo
	s_barrier
	buffer_gl0_inv
	v_cmpx_eq_u32_e32 32, v14
	s_cbranch_execz .LBB181_429
; %bb.428:
	v_add3_u32 v13, v12, v13, 0xfffffec0
	ds_store_2addr_b32 v13, v1, v10 offset1:8
	ds_store_2addr_b32 v13, v9, v8 offset0:16 offset1:24
	ds_store_2addr_b32 v13, v7, v6 offset0:32 offset1:40
	;; [unrolled: 1-line block ×4, first 2 shown]
.LBB181_429:
	s_or_b32 exec_lo, exec_lo, s1
	v_cmp_gt_u32_e64 s0, 32, v0
	s_waitcnt lgkmcnt(0)
	s_barrier
	buffer_gl0_inv
	s_and_saveexec_b32 s1, s0
	s_cbranch_execz .LBB181_442
; %bb.430:
	v_lshl_add_u32 v11, v11, 2, v12
	s_and_saveexec_b32 s2, vcc_lo
	s_cbranch_execnz .LBB181_495
; %bb.431:
	s_or_b32 exec_lo, exec_lo, s2
	s_and_saveexec_b32 s2, vcc_lo
	s_cbranch_execnz .LBB181_496
.LBB181_432:
	s_or_b32 exec_lo, exec_lo, s2
	s_and_saveexec_b32 s2, vcc_lo
	s_cbranch_execnz .LBB181_497
.LBB181_433:
	s_or_b32 exec_lo, exec_lo, s2
	s_and_saveexec_b32 s2, vcc_lo
	s_cbranch_execnz .LBB181_498
.LBB181_434:
	s_or_b32 exec_lo, exec_lo, s2
	s_and_saveexec_b32 s2, vcc_lo
	s_cbranch_execnz .LBB181_499
.LBB181_435:
	s_or_b32 exec_lo, exec_lo, s2
	s_and_saveexec_b32 s2, vcc_lo
	s_cbranch_execnz .LBB181_500
.LBB181_436:
	s_or_b32 exec_lo, exec_lo, s2
	s_and_saveexec_b32 s2, vcc_lo
	s_cbranch_execnz .LBB181_501
.LBB181_437:
	s_or_b32 exec_lo, exec_lo, s2
	s_and_saveexec_b32 s2, vcc_lo
	s_cbranch_execnz .LBB181_502
.LBB181_438:
	s_or_b32 exec_lo, exec_lo, s2
	s_and_saveexec_b32 s2, vcc_lo
	s_cbranch_execnz .LBB181_503
.LBB181_439:
	s_or_b32 exec_lo, exec_lo, s2
	s_and_saveexec_b32 s2, vcc_lo
	s_cbranch_execz .LBB181_441
.LBB181_440:
	ds_load_b32 v11, v11 offset:288
	s_waitcnt lgkmcnt(0)
	v_add_f32_e32 v2, v2, v11
.LBB181_441:
	s_or_b32 exec_lo, exec_lo, s2
.LBB181_442:
	s_delay_alu instid0(SALU_CYCLE_1)
	s_or_b32 exec_lo, exec_lo, s1
	s_barrier
	buffer_gl0_inv
	s_and_saveexec_b32 s1, s0
	s_cbranch_execz .LBB181_485
; %bb.443:
	s_and_b32 exec_lo, exec_lo, vcc_lo
	s_cbranch_execz .LBB181_485
; %bb.444:
	v_and_b32_e32 v11, 0x7f800000, v1
	s_delay_alu instid0(VALU_DEP_1) | instskip(SKIP_1) | instid1(SALU_CYCLE_1)
	v_cmp_ne_u32_e32 vcc_lo, 0x7f800000, v11
                                        ; implicit-def: $vgpr11
	s_and_saveexec_b32 s0, vcc_lo
	s_xor_b32 s0, exec_lo, s0
; %bb.445:
	v_bfe_u32 v11, v1, 16, 1
	s_delay_alu instid0(VALU_DEP_1)
	v_add3_u32 v11, v1, v11, 0x7fff
                                        ; implicit-def: $vgpr1
; %bb.446:
	s_and_not1_saveexec_b32 s0, s0
; %bb.447:
	v_and_b32_e32 v11, 0xffff, v1
	v_or_b32_e32 v12, 0x10000, v1
	s_delay_alu instid0(VALU_DEP_2) | instskip(NEXT) | instid1(VALU_DEP_2)
	v_cmp_eq_u32_e32 vcc_lo, 0, v11
	v_cndmask_b32_e32 v11, v12, v1, vcc_lo
; %bb.448:
	s_or_b32 exec_lo, exec_lo, s0
	s_mul_i32 s0, s4, s14
	s_mul_i32 s2, s4, s20
	;; [unrolled: 1-line block ×3, first 2 shown]
	v_lshrrev_b32_e32 v0, 1, v0
	s_mulk_i32 s0, 0x50
	v_and_b32_e32 v13, 0x7f800000, v10
	s_ashr_i32 s1, s0, 31
	s_delay_alu instid0(VALU_DEP_2) | instskip(SKIP_1) | instid1(SALU_CYCLE_1)
	v_and_b32_e32 v12, 0x1fe, v0
	s_lshl_b64 s[0:1], s[0:1], 1
	s_add_u32 s4, s22, s0
	s_addc_u32 s5, s23, s1
	s_ashr_i32 s3, s2, 31
	s_delay_alu instid0(SALU_CYCLE_1) | instskip(SKIP_4) | instid1(SALU_CYCLE_1)
	s_lshl_b64 s[0:1], s[2:3], 1
	s_mul_i32 s2, s12, 0x50
	s_add_u32 s4, s4, s0
	s_addc_u32 s5, s5, s1
	s_ashr_i32 s3, s2, 31
	s_lshl_b64 s[0:1], s[2:3], 1
	s_delay_alu instid0(SALU_CYCLE_1) | instskip(SKIP_2) | instid1(VALU_DEP_1)
	s_add_u32 s0, s4, s0
	s_addc_u32 s1, s5, s1
	v_add_co_u32 v0, s2, s0, v12
	v_add_co_ci_u32_e64 v1, null, s1, 0, s2
	global_store_d16_hi_b16 v12, v11, s[0:1]
	s_mov_b32 s0, exec_lo
                                        ; implicit-def: $vgpr11
	v_cmpx_ne_u32_e32 0x7f800000, v13
	s_xor_b32 s0, exec_lo, s0
; %bb.449:
	v_bfe_u32 v11, v10, 16, 1
	s_delay_alu instid0(VALU_DEP_1)
	v_add3_u32 v11, v10, v11, 0x7fff
                                        ; implicit-def: $vgpr10
; %bb.450:
	s_and_not1_saveexec_b32 s0, s0
; %bb.451:
	v_and_b32_e32 v11, 0xffff, v10
	v_or_b32_e32 v12, 0x10000, v10
	s_delay_alu instid0(VALU_DEP_2) | instskip(NEXT) | instid1(VALU_DEP_2)
	v_cmp_eq_u32_e32 vcc_lo, 0, v11
	v_cndmask_b32_e32 v11, v12, v10, vcc_lo
; %bb.452:
	s_or_b32 exec_lo, exec_lo, s0
	v_and_b32_e32 v10, 0x7f800000, v9
	global_store_d16_hi_b16 v[0:1], v11, off offset:16
	v_cmp_ne_u32_e32 vcc_lo, 0x7f800000, v10
                                        ; implicit-def: $vgpr10
	s_and_saveexec_b32 s0, vcc_lo
	s_delay_alu instid0(SALU_CYCLE_1)
	s_xor_b32 s0, exec_lo, s0
; %bb.453:
	v_bfe_u32 v10, v9, 16, 1
	s_delay_alu instid0(VALU_DEP_1)
	v_add3_u32 v10, v9, v10, 0x7fff
                                        ; implicit-def: $vgpr9
; %bb.454:
	s_and_not1_saveexec_b32 s0, s0
; %bb.455:
	v_and_b32_e32 v10, 0xffff, v9
	v_or_b32_e32 v11, 0x10000, v9
	s_delay_alu instid0(VALU_DEP_2) | instskip(NEXT) | instid1(VALU_DEP_2)
	v_cmp_eq_u32_e32 vcc_lo, 0, v10
	v_cndmask_b32_e32 v10, v11, v9, vcc_lo
; %bb.456:
	s_or_b32 exec_lo, exec_lo, s0
	v_and_b32_e32 v9, 0x7f800000, v8
	global_store_d16_hi_b16 v[0:1], v10, off offset:32
	v_cmp_ne_u32_e32 vcc_lo, 0x7f800000, v9
                                        ; implicit-def: $vgpr9
	s_and_saveexec_b32 s0, vcc_lo
	s_delay_alu instid0(SALU_CYCLE_1)
	s_xor_b32 s0, exec_lo, s0
; %bb.457:
	v_bfe_u32 v9, v8, 16, 1
	s_delay_alu instid0(VALU_DEP_1)
	v_add3_u32 v9, v8, v9, 0x7fff
                                        ; implicit-def: $vgpr8
; %bb.458:
	s_and_not1_saveexec_b32 s0, s0
; %bb.459:
	v_and_b32_e32 v9, 0xffff, v8
	v_or_b32_e32 v10, 0x10000, v8
	s_delay_alu instid0(VALU_DEP_2) | instskip(NEXT) | instid1(VALU_DEP_2)
	v_cmp_eq_u32_e32 vcc_lo, 0, v9
	v_cndmask_b32_e32 v9, v10, v8, vcc_lo
; %bb.460:
	s_or_b32 exec_lo, exec_lo, s0
	v_and_b32_e32 v8, 0x7f800000, v7
	global_store_d16_hi_b16 v[0:1], v9, off offset:48
	v_cmp_ne_u32_e32 vcc_lo, 0x7f800000, v8
                                        ; implicit-def: $vgpr8
	s_and_saveexec_b32 s0, vcc_lo
	s_delay_alu instid0(SALU_CYCLE_1)
	s_xor_b32 s0, exec_lo, s0
; %bb.461:
	v_bfe_u32 v8, v7, 16, 1
	s_delay_alu instid0(VALU_DEP_1)
	v_add3_u32 v8, v7, v8, 0x7fff
                                        ; implicit-def: $vgpr7
; %bb.462:
	s_and_not1_saveexec_b32 s0, s0
; %bb.463:
	v_and_b32_e32 v8, 0xffff, v7
	v_or_b32_e32 v9, 0x10000, v7
	s_delay_alu instid0(VALU_DEP_2) | instskip(NEXT) | instid1(VALU_DEP_2)
	v_cmp_eq_u32_e32 vcc_lo, 0, v8
	v_cndmask_b32_e32 v8, v9, v7, vcc_lo
; %bb.464:
	s_or_b32 exec_lo, exec_lo, s0
	v_and_b32_e32 v7, 0x7f800000, v6
	global_store_d16_hi_b16 v[0:1], v8, off offset:64
	v_cmp_ne_u32_e32 vcc_lo, 0x7f800000, v7
                                        ; implicit-def: $vgpr7
	s_and_saveexec_b32 s0, vcc_lo
	s_delay_alu instid0(SALU_CYCLE_1)
	s_xor_b32 s0, exec_lo, s0
; %bb.465:
	v_bfe_u32 v7, v6, 16, 1
	s_delay_alu instid0(VALU_DEP_1)
	v_add3_u32 v7, v6, v7, 0x7fff
                                        ; implicit-def: $vgpr6
; %bb.466:
	s_and_not1_saveexec_b32 s0, s0
; %bb.467:
	v_and_b32_e32 v7, 0xffff, v6
	v_or_b32_e32 v8, 0x10000, v6
	s_delay_alu instid0(VALU_DEP_2) | instskip(NEXT) | instid1(VALU_DEP_2)
	v_cmp_eq_u32_e32 vcc_lo, 0, v7
	v_cndmask_b32_e32 v7, v8, v6, vcc_lo
; %bb.468:
	s_or_b32 exec_lo, exec_lo, s0
	v_and_b32_e32 v6, 0x7f800000, v5
	global_store_d16_hi_b16 v[0:1], v7, off offset:80
	v_cmp_ne_u32_e32 vcc_lo, 0x7f800000, v6
                                        ; implicit-def: $vgpr6
	s_and_saveexec_b32 s0, vcc_lo
	s_delay_alu instid0(SALU_CYCLE_1)
	s_xor_b32 s0, exec_lo, s0
; %bb.469:
	v_bfe_u32 v6, v5, 16, 1
	s_delay_alu instid0(VALU_DEP_1)
	v_add3_u32 v6, v5, v6, 0x7fff
                                        ; implicit-def: $vgpr5
; %bb.470:
	s_and_not1_saveexec_b32 s0, s0
; %bb.471:
	v_and_b32_e32 v6, 0xffff, v5
	v_or_b32_e32 v7, 0x10000, v5
	s_delay_alu instid0(VALU_DEP_2) | instskip(NEXT) | instid1(VALU_DEP_2)
	v_cmp_eq_u32_e32 vcc_lo, 0, v6
	v_cndmask_b32_e32 v6, v7, v5, vcc_lo
; %bb.472:
	s_or_b32 exec_lo, exec_lo, s0
	v_and_b32_e32 v5, 0x7f800000, v4
	global_store_d16_hi_b16 v[0:1], v6, off offset:96
	v_cmp_ne_u32_e32 vcc_lo, 0x7f800000, v5
                                        ; implicit-def: $vgpr5
	s_and_saveexec_b32 s0, vcc_lo
	s_delay_alu instid0(SALU_CYCLE_1)
	s_xor_b32 s0, exec_lo, s0
; %bb.473:
	v_bfe_u32 v5, v4, 16, 1
	s_delay_alu instid0(VALU_DEP_1)
	v_add3_u32 v5, v4, v5, 0x7fff
                                        ; implicit-def: $vgpr4
; %bb.474:
	s_and_not1_saveexec_b32 s0, s0
; %bb.475:
	v_and_b32_e32 v5, 0xffff, v4
	v_or_b32_e32 v6, 0x10000, v4
	s_delay_alu instid0(VALU_DEP_2) | instskip(NEXT) | instid1(VALU_DEP_2)
	v_cmp_eq_u32_e32 vcc_lo, 0, v5
	v_cndmask_b32_e32 v5, v6, v4, vcc_lo
; %bb.476:
	s_or_b32 exec_lo, exec_lo, s0
	v_and_b32_e32 v4, 0x7f800000, v3
	global_store_d16_hi_b16 v[0:1], v5, off offset:112
	v_cmp_ne_u32_e32 vcc_lo, 0x7f800000, v4
                                        ; implicit-def: $vgpr4
	s_and_saveexec_b32 s0, vcc_lo
	s_delay_alu instid0(SALU_CYCLE_1)
	s_xor_b32 s0, exec_lo, s0
; %bb.477:
	v_bfe_u32 v4, v3, 16, 1
	s_delay_alu instid0(VALU_DEP_1)
	v_add3_u32 v4, v3, v4, 0x7fff
                                        ; implicit-def: $vgpr3
; %bb.478:
	s_and_not1_saveexec_b32 s0, s0
; %bb.479:
	v_and_b32_e32 v4, 0xffff, v3
	v_or_b32_e32 v5, 0x10000, v3
	s_delay_alu instid0(VALU_DEP_2) | instskip(NEXT) | instid1(VALU_DEP_2)
	v_cmp_eq_u32_e32 vcc_lo, 0, v4
	v_cndmask_b32_e32 v4, v5, v3, vcc_lo
; %bb.480:
	s_or_b32 exec_lo, exec_lo, s0
	v_and_b32_e32 v3, 0x7f800000, v2
	global_store_d16_hi_b16 v[0:1], v4, off offset:128
	v_cmp_ne_u32_e32 vcc_lo, 0x7f800000, v3
                                        ; implicit-def: $vgpr3
	s_and_saveexec_b32 s0, vcc_lo
	s_delay_alu instid0(SALU_CYCLE_1)
	s_xor_b32 s0, exec_lo, s0
; %bb.481:
	v_bfe_u32 v3, v2, 16, 1
	s_delay_alu instid0(VALU_DEP_1)
	v_add3_u32 v3, v2, v3, 0x7fff
                                        ; implicit-def: $vgpr2
; %bb.482:
	s_and_not1_saveexec_b32 s0, s0
; %bb.483:
	v_and_b32_e32 v3, 0xffff, v2
	v_or_b32_e32 v4, 0x10000, v2
	s_delay_alu instid0(VALU_DEP_2) | instskip(NEXT) | instid1(VALU_DEP_2)
	v_cmp_eq_u32_e32 vcc_lo, 0, v3
	v_cndmask_b32_e32 v3, v4, v2, vcc_lo
; %bb.484:
	s_or_b32 exec_lo, exec_lo, s0
	global_store_d16_hi_b16 v[0:1], v3, off offset:144
.LBB181_485:
	s_nop 0
	s_sendmsg sendmsg(MSG_DEALLOC_VGPRS)
	s_endpgm
.LBB181_486:
	v_lshl_add_u32 v14, v11, 2, v12
	ds_load_b32 v14, v14
	s_waitcnt lgkmcnt(0)
	v_add_f32_e32 v1, v1, v14
	s_or_b32 exec_lo, exec_lo, s0
	s_and_saveexec_b32 s0, vcc_lo
	s_cbranch_execz .LBB181_417
.LBB181_487:
	v_lshl_add_u32 v14, v11, 2, v12
	ds_load_b32 v14, v14 offset:32
	s_waitcnt lgkmcnt(0)
	v_add_f32_e32 v10, v10, v14
	s_or_b32 exec_lo, exec_lo, s0
	s_and_saveexec_b32 s0, vcc_lo
	s_cbranch_execz .LBB181_418
.LBB181_488:
	v_lshl_add_u32 v14, v11, 2, v12
	ds_load_b32 v14, v14 offset:64
	s_waitcnt lgkmcnt(0)
	v_add_f32_e32 v9, v9, v14
	s_or_b32 exec_lo, exec_lo, s0
	s_and_saveexec_b32 s0, vcc_lo
	s_cbranch_execz .LBB181_419
.LBB181_489:
	v_lshl_add_u32 v14, v11, 2, v12
	ds_load_b32 v14, v14 offset:96
	s_waitcnt lgkmcnt(0)
	v_add_f32_e32 v8, v8, v14
	s_or_b32 exec_lo, exec_lo, s0
	s_and_saveexec_b32 s0, vcc_lo
	s_cbranch_execz .LBB181_420
.LBB181_490:
	v_lshl_add_u32 v14, v11, 2, v12
	ds_load_b32 v14, v14 offset:128
	s_waitcnt lgkmcnt(0)
	v_add_f32_e32 v7, v7, v14
	s_or_b32 exec_lo, exec_lo, s0
	s_and_saveexec_b32 s0, vcc_lo
	s_cbranch_execz .LBB181_421
.LBB181_491:
	v_lshl_add_u32 v14, v11, 2, v12
	ds_load_b32 v14, v14 offset:160
	s_waitcnt lgkmcnt(0)
	v_add_f32_e32 v6, v6, v14
	s_or_b32 exec_lo, exec_lo, s0
	s_and_saveexec_b32 s0, vcc_lo
	s_cbranch_execz .LBB181_422
.LBB181_492:
	v_lshl_add_u32 v14, v11, 2, v12
	ds_load_b32 v14, v14 offset:192
	s_waitcnt lgkmcnt(0)
	v_add_f32_e32 v5, v5, v14
	s_or_b32 exec_lo, exec_lo, s0
	s_and_saveexec_b32 s0, vcc_lo
	s_cbranch_execz .LBB181_423
.LBB181_493:
	v_lshl_add_u32 v14, v11, 2, v12
	ds_load_b32 v14, v14 offset:224
	s_waitcnt lgkmcnt(0)
	v_add_f32_e32 v4, v4, v14
	s_or_b32 exec_lo, exec_lo, s0
	s_and_saveexec_b32 s0, vcc_lo
	s_cbranch_execz .LBB181_424
.LBB181_494:
	v_lshl_add_u32 v14, v11, 2, v12
	ds_load_b32 v14, v14 offset:256
	s_waitcnt lgkmcnt(0)
	v_add_f32_e32 v3, v3, v14
	s_or_b32 exec_lo, exec_lo, s0
	s_and_saveexec_b32 s0, vcc_lo
	s_cbranch_execnz .LBB181_425
	s_branch .LBB181_426
.LBB181_495:
	ds_load_b32 v12, v11
	s_waitcnt lgkmcnt(0)
	v_add_f32_e32 v1, v1, v12
	s_or_b32 exec_lo, exec_lo, s2
	s_and_saveexec_b32 s2, vcc_lo
	s_cbranch_execz .LBB181_432
.LBB181_496:
	ds_load_b32 v12, v11 offset:32
	s_waitcnt lgkmcnt(0)
	v_add_f32_e32 v10, v10, v12
	s_or_b32 exec_lo, exec_lo, s2
	s_and_saveexec_b32 s2, vcc_lo
	s_cbranch_execz .LBB181_433
.LBB181_497:
	ds_load_b32 v12, v11 offset:64
	s_waitcnt lgkmcnt(0)
	v_add_f32_e32 v9, v9, v12
	s_or_b32 exec_lo, exec_lo, s2
	s_and_saveexec_b32 s2, vcc_lo
	s_cbranch_execz .LBB181_434
.LBB181_498:
	ds_load_b32 v12, v11 offset:96
	s_waitcnt lgkmcnt(0)
	v_add_f32_e32 v8, v8, v12
	s_or_b32 exec_lo, exec_lo, s2
	s_and_saveexec_b32 s2, vcc_lo
	s_cbranch_execz .LBB181_435
.LBB181_499:
	ds_load_b32 v12, v11 offset:128
	s_waitcnt lgkmcnt(0)
	v_add_f32_e32 v7, v7, v12
	s_or_b32 exec_lo, exec_lo, s2
	s_and_saveexec_b32 s2, vcc_lo
	s_cbranch_execz .LBB181_436
.LBB181_500:
	ds_load_b32 v12, v11 offset:160
	s_waitcnt lgkmcnt(0)
	v_add_f32_e32 v6, v6, v12
	s_or_b32 exec_lo, exec_lo, s2
	s_and_saveexec_b32 s2, vcc_lo
	s_cbranch_execz .LBB181_437
.LBB181_501:
	ds_load_b32 v12, v11 offset:192
	s_waitcnt lgkmcnt(0)
	v_add_f32_e32 v5, v5, v12
	s_or_b32 exec_lo, exec_lo, s2
	s_and_saveexec_b32 s2, vcc_lo
	s_cbranch_execz .LBB181_438
.LBB181_502:
	ds_load_b32 v12, v11 offset:224
	s_waitcnt lgkmcnt(0)
	v_add_f32_e32 v4, v4, v12
	s_or_b32 exec_lo, exec_lo, s2
	s_and_saveexec_b32 s2, vcc_lo
	s_cbranch_execz .LBB181_439
.LBB181_503:
	ds_load_b32 v12, v11 offset:256
	s_waitcnt lgkmcnt(0)
	v_add_f32_e32 v3, v3, v12
	s_or_b32 exec_lo, exec_lo, s2
	s_and_saveexec_b32 s2, vcc_lo
	s_cbranch_execnz .LBB181_440
	s_branch .LBB181_441
	.section	.rodata,"a",@progbits
	.p2align	6, 0x0
	.amdhsa_kernel _ZN4vllm25paged_attention_v2_kernelI14__hip_bfloat16S1_Li80ELi32ELi128ELNS_18Fp8KVCacheDataTypeE0ELb1ELi512EEEvPfS3_PT_PKS4_PKT0_SA_ifPKiSC_iPKfiiiSE_SE_iiiii
		.amdhsa_group_segment_fixed_size 192
		.amdhsa_private_segment_fixed_size 0
		.amdhsa_kernarg_size 400
		.amdhsa_user_sgpr_count 13
		.amdhsa_user_sgpr_dispatch_ptr 0
		.amdhsa_user_sgpr_queue_ptr 0
		.amdhsa_user_sgpr_kernarg_segment_ptr 1
		.amdhsa_user_sgpr_dispatch_id 0
		.amdhsa_user_sgpr_private_segment_size 0
		.amdhsa_wavefront_size32 1
		.amdhsa_uses_dynamic_stack 0
		.amdhsa_enable_private_segment 0
		.amdhsa_system_sgpr_workgroup_id_x 1
		.amdhsa_system_sgpr_workgroup_id_y 1
		.amdhsa_system_sgpr_workgroup_id_z 1
		.amdhsa_system_sgpr_workgroup_info 0
		.amdhsa_system_vgpr_workitem_id 0
		.amdhsa_next_free_vgpr 178
		.amdhsa_next_free_sgpr 44
		.amdhsa_reserve_vcc 1
		.amdhsa_float_round_mode_32 0
		.amdhsa_float_round_mode_16_64 0
		.amdhsa_float_denorm_mode_32 3
		.amdhsa_float_denorm_mode_16_64 3
		.amdhsa_dx10_clamp 1
		.amdhsa_ieee_mode 1
		.amdhsa_fp16_overflow 0
		.amdhsa_workgroup_processor_mode 1
		.amdhsa_memory_ordered 1
		.amdhsa_forward_progress 0
		.amdhsa_shared_vgpr_count 0
		.amdhsa_exception_fp_ieee_invalid_op 0
		.amdhsa_exception_fp_denorm_src 0
		.amdhsa_exception_fp_ieee_div_zero 0
		.amdhsa_exception_fp_ieee_overflow 0
		.amdhsa_exception_fp_ieee_underflow 0
		.amdhsa_exception_fp_ieee_inexact 0
		.amdhsa_exception_int_div_zero 0
	.end_amdhsa_kernel
	.section	.text._ZN4vllm25paged_attention_v2_kernelI14__hip_bfloat16S1_Li80ELi32ELi128ELNS_18Fp8KVCacheDataTypeE0ELb1ELi512EEEvPfS3_PT_PKS4_PKT0_SA_ifPKiSC_iPKfiiiSE_SE_iiiii,"axG",@progbits,_ZN4vllm25paged_attention_v2_kernelI14__hip_bfloat16S1_Li80ELi32ELi128ELNS_18Fp8KVCacheDataTypeE0ELb1ELi512EEEvPfS3_PT_PKS4_PKT0_SA_ifPKiSC_iPKfiiiSE_SE_iiiii,comdat
.Lfunc_end181:
	.size	_ZN4vllm25paged_attention_v2_kernelI14__hip_bfloat16S1_Li80ELi32ELi128ELNS_18Fp8KVCacheDataTypeE0ELb1ELi512EEEvPfS3_PT_PKS4_PKT0_SA_ifPKiSC_iPKfiiiSE_SE_iiiii, .Lfunc_end181-_ZN4vllm25paged_attention_v2_kernelI14__hip_bfloat16S1_Li80ELi32ELi128ELNS_18Fp8KVCacheDataTypeE0ELb1ELi512EEEvPfS3_PT_PKS4_PKT0_SA_ifPKiSC_iPKfiiiSE_SE_iiiii
                                        ; -- End function
	.section	.AMDGPU.csdata,"",@progbits
; Kernel info:
; codeLenInByte = 20512
; NumSgprs: 46
; NumVgprs: 178
; ScratchSize: 0
; MemoryBound: 0
; FloatMode: 240
; IeeeMode: 1
; LDSByteSize: 192 bytes/workgroup (compile time only)
; SGPRBlocks: 5
; VGPRBlocks: 22
; NumSGPRsForWavesPerEU: 46
; NumVGPRsForWavesPerEU: 178
; Occupancy: 8
; WaveLimiterHint : 1
; COMPUTE_PGM_RSRC2:SCRATCH_EN: 0
; COMPUTE_PGM_RSRC2:USER_SGPR: 13
; COMPUTE_PGM_RSRC2:TRAP_HANDLER: 0
; COMPUTE_PGM_RSRC2:TGID_X_EN: 1
; COMPUTE_PGM_RSRC2:TGID_Y_EN: 1
; COMPUTE_PGM_RSRC2:TGID_Z_EN: 1
; COMPUTE_PGM_RSRC2:TIDIG_COMP_CNT: 0
	.section	.text._ZN4vllm25paged_attention_v2_kernelI14__hip_bfloat16S1_Li96ELi32ELi128ELNS_18Fp8KVCacheDataTypeE0ELb1ELi512EEEvPfS3_PT_PKS4_PKT0_SA_ifPKiSC_iPKfiiiSE_SE_iiiii,"axG",@progbits,_ZN4vllm25paged_attention_v2_kernelI14__hip_bfloat16S1_Li96ELi32ELi128ELNS_18Fp8KVCacheDataTypeE0ELb1ELi512EEEvPfS3_PT_PKS4_PKT0_SA_ifPKiSC_iPKfiiiSE_SE_iiiii,comdat
	.protected	_ZN4vllm25paged_attention_v2_kernelI14__hip_bfloat16S1_Li96ELi32ELi128ELNS_18Fp8KVCacheDataTypeE0ELb1ELi512EEEvPfS3_PT_PKS4_PKT0_SA_ifPKiSC_iPKfiiiSE_SE_iiiii ; -- Begin function _ZN4vllm25paged_attention_v2_kernelI14__hip_bfloat16S1_Li96ELi32ELi128ELNS_18Fp8KVCacheDataTypeE0ELb1ELi512EEEvPfS3_PT_PKS4_PKT0_SA_ifPKiSC_iPKfiiiSE_SE_iiiii
	.globl	_ZN4vllm25paged_attention_v2_kernelI14__hip_bfloat16S1_Li96ELi32ELi128ELNS_18Fp8KVCacheDataTypeE0ELb1ELi512EEEvPfS3_PT_PKS4_PKT0_SA_ifPKiSC_iPKfiiiSE_SE_iiiii
	.p2align	8
	.type	_ZN4vllm25paged_attention_v2_kernelI14__hip_bfloat16S1_Li96ELi32ELi128ELNS_18Fp8KVCacheDataTypeE0ELb1ELi512EEEvPfS3_PT_PKS4_PKT0_SA_ifPKiSC_iPKfiiiSE_SE_iiiii,@function
_ZN4vllm25paged_attention_v2_kernelI14__hip_bfloat16S1_Li96ELi32ELi128ELNS_18Fp8KVCacheDataTypeE0ELb1ELi512EEEvPfS3_PT_PKS4_PKT0_SA_ifPKiSC_iPKfiiiSE_SE_iiiii: ; @_ZN4vllm25paged_attention_v2_kernelI14__hip_bfloat16S1_Li96ELi32ELi128ELNS_18Fp8KVCacheDataTypeE0ELb1ELi512EEEvPfS3_PT_PKS4_PKT0_SA_ifPKiSC_iPKfiiiSE_SE_iiiii
; %bb.0:
	s_load_b64 s[2:3], s[0:1], 0x40
	s_mov_b32 s12, s15
	s_ashr_i32 s15, s14, 31
	s_mov_b32 s24, s13
	s_lshl_b64 s[4:5], s[14:15], 2
	s_waitcnt lgkmcnt(0)
	s_add_u32 s2, s2, s4
	s_addc_u32 s3, s3, s5
	s_lshl_b32 s13, s12, 9
	s_load_b32 s33, s[2:3], 0x0
	s_waitcnt lgkmcnt(0)
	s_cmp_ge_i32 s13, s33
	s_cbranch_scc1 .LBB182_565
; %bb.1:
	s_clause 0x1
	s_load_b32 s15, s[0:1], 0x90
	s_load_b64 s[2:3], s[0:1], 0x30
	s_mov_b32 s37, 0
	s_waitcnt lgkmcnt(0)
	s_abs_i32 s7, s15
	s_abs_i32 s4, s2
	s_delay_alu instid0(SALU_CYCLE_1) | instskip(SKIP_1) | instid1(VALU_DEP_1)
	v_cvt_f32_u32_e32 v1, s4
	s_sub_i32 s6, 0, s4
	v_rcp_iflag_f32_e32 v1, v1
	s_waitcnt_depctr 0xfff
	v_mul_f32_e32 v1, 0x4f7ffffe, v1
	s_delay_alu instid0(VALU_DEP_1) | instskip(NEXT) | instid1(VALU_DEP_1)
	v_cvt_u32_f32_e32 v1, v1
	v_readfirstlane_b32 s5, v1
	s_delay_alu instid0(VALU_DEP_1) | instskip(NEXT) | instid1(SALU_CYCLE_1)
	s_mul_i32 s6, s6, s5
	s_mul_hi_u32 s6, s5, s6
	s_delay_alu instid0(SALU_CYCLE_1) | instskip(SKIP_4) | instid1(SALU_CYCLE_1)
	s_add_i32 s5, s5, s6
	s_xor_b32 s6, s15, s2
	s_mul_hi_u32 s5, s7, s5
	s_ashr_i32 s6, s6, 31
	s_mul_i32 s8, s5, s4
	s_sub_i32 s7, s7, s8
	s_add_i32 s8, s5, 1
	s_sub_i32 s9, s7, s4
	s_cmp_ge_u32 s7, s4
	s_cselect_b32 s5, s8, s5
	s_cselect_b32 s7, s9, s7
	s_add_i32 s8, s5, 1
	s_cmp_ge_u32 s7, s4
	s_cselect_b32 s4, s8, s5
	s_abs_i32 s17, s24
	s_xor_b32 s4, s4, s6
	s_delay_alu instid0(SALU_CYCLE_1) | instskip(SKIP_2) | instid1(SALU_CYCLE_1)
	s_sub_i32 s8, s4, s6
	s_load_b64 s[4:5], s[0:1], 0x50
	s_abs_i32 s16, s8
	v_cvt_f32_u32_e32 v1, s16
	s_sub_i32 s7, 0, s16
	s_delay_alu instid0(VALU_DEP_1) | instskip(SKIP_2) | instid1(VALU_DEP_1)
	v_rcp_iflag_f32_e32 v1, v1
	s_waitcnt_depctr 0xfff
	v_mul_f32_e32 v1, 0x4f7ffffe, v1
	v_cvt_u32_f32_e32 v1, v1
	s_delay_alu instid0(VALU_DEP_1) | instskip(NEXT) | instid1(VALU_DEP_1)
	v_readfirstlane_b32 s6, v1
	s_mul_i32 s7, s7, s6
	s_delay_alu instid0(SALU_CYCLE_1) | instskip(NEXT) | instid1(SALU_CYCLE_1)
	s_mul_hi_u32 s7, s6, s7
	s_add_i32 s6, s6, s7
	s_waitcnt lgkmcnt(0)
	s_cmp_eq_u64 s[4:5], 0
	s_mul_hi_u32 s18, s17, s6
	s_cbranch_scc1 .LBB182_3
; %bb.2:
	s_ashr_i32 s25, s24, 31
	s_delay_alu instid0(SALU_CYCLE_1) | instskip(NEXT) | instid1(SALU_CYCLE_1)
	s_lshl_b64 s[6:7], s[24:25], 2
	s_add_u32 s4, s4, s6
	s_addc_u32 s5, s5, s7
	s_load_b32 s37, s[4:5], 0x0
.LBB182_3:
	s_load_b128 s[4:7], s[0:1], 0x58
	s_waitcnt lgkmcnt(0)
	s_ashr_i32 s7, s24, 31
	s_ashr_i32 s19, s8, 31
	s_mul_i32 s20, s24, 0x60
	s_mov_b32 s8, exec_lo
	v_cmpx_gt_u32_e32 12, v0
	s_cbranch_execz .LBB182_5
; %bb.4:
	s_load_b64 s[10:11], s[0:1], 0x18
	s_mul_i32 s22, s14, s4
	v_lshlrev_b32_e32 v5, 4, v0
	s_ashr_i32 s23, s22, 31
	s_delay_alu instid0(SALU_CYCLE_1) | instskip(SKIP_4) | instid1(SALU_CYCLE_1)
	s_lshl_b64 s[22:23], s[22:23], 1
	s_waitcnt lgkmcnt(0)
	s_add_u32 s4, s10, s22
	s_addc_u32 s9, s11, s23
	s_ashr_i32 s21, s20, 31
	s_lshl_b64 s[10:11], s[20:21], 1
	s_delay_alu instid0(SALU_CYCLE_1)
	s_add_u32 s10, s4, s10
	s_addc_u32 s11, s9, s11
	global_load_b128 v[1:4], v5, s[10:11]
	s_waitcnt vmcnt(0)
	ds_store_b128 v5, v[1:4]
.LBB182_5:
	s_or_b32 exec_lo, exec_lo, s8
	s_load_b128 s[8:11], s[0:1], 0x78
	s_mul_i32 s4, s18, s16
	s_xor_b32 s7, s7, s19
	s_sub_i32 s4, s17, s4
	s_add_i32 s17, s18, 1
	s_sub_i32 s19, s4, s16
	s_cmp_ge_u32 s4, s16
	s_waitcnt lgkmcnt(0)
	s_cselect_b32 s17, s17, s18
	s_cselect_b32 s4, s19, s4
	s_add_i32 s18, s17, 1
	s_cmp_ge_u32 s4, s16
	s_load_b32 s4, s[0:1], 0x88
	s_cselect_b32 s16, s18, s17
	s_mov_b32 s17, -1
	s_xor_b32 s16, s16, s7
	s_waitcnt lgkmcnt(0)
	s_barrier
	s_sub_i32 s7, s16, s7
	buffer_gl0_inv
                                        ; implicit-def: $sgpr34
	s_abs_i32 s21, s11
	s_delay_alu instid0(SALU_CYCLE_1) | instskip(SKIP_1) | instid1(VALU_DEP_1)
	v_cvt_f32_u32_e32 v1, s21
	s_sub_i32 s16, 0, s21
	v_rcp_iflag_f32_e32 v1, v1
	s_waitcnt_depctr 0xfff
	v_mul_f32_e32 v1, 0x4f7ffffe, v1
	s_delay_alu instid0(VALU_DEP_1) | instskip(NEXT) | instid1(VALU_DEP_1)
	v_cvt_u32_f32_e32 v1, v1
	v_readfirstlane_b32 s25, v1
	s_delay_alu instid0(VALU_DEP_1)
	s_mul_i32 s18, s16, s25
	s_add_i32 s16, s33, -1
	s_mul_hi_u32 s18, s25, s18
	s_abs_i32 s28, s16
	s_add_i32 s25, s25, s18
	s_cmp_lt_i32 s4, 0
	s_mul_hi_u32 s35, s28, s25
	s_cbranch_scc0 .LBB182_7
; %bb.6:
	s_mul_i32 s2, s8, s2
	s_mov_b32 s17, 0
	s_add_i32 s2, s7, s2
	s_delay_alu instid0(SALU_CYCLE_1) | instskip(NEXT) | instid1(SALU_CYCLE_1)
	s_mul_i32 s2, s2, s4
	s_sub_i32 s34, 1, s2
.LBB182_7:
	s_load_b64 s[26:27], s[0:1], 0x38
	s_ashr_i32 s2, s16, 31
	s_and_not1_b32 vcc_lo, exec_lo, s17
	s_ashr_i32 s11, s11, 31
	s_cbranch_vccnz .LBB182_9
; %bb.8:
	s_mul_i32 s8, s15, s8
	s_delay_alu instid0(SALU_CYCLE_1) | instskip(NEXT) | instid1(SALU_CYCLE_1)
	s_add_i32 s8, s8, s24
	s_mul_i32 s4, s8, s4
	s_delay_alu instid0(SALU_CYCLE_1)
	s_add_i32 s34, s4, 1
.LBB182_9:
	s_clause 0x4
	s_load_b32 s8, s[0:1], 0x48
	s_load_b64 s[30:31], s[0:1], 0x28
	s_load_b32 s4, s[0:1], 0x98
	s_load_b128 s[16:19], s[0:1], 0x0
	s_load_b64 s[22:23], s[0:1], 0x10
	s_xor_b32 s36, s2, s11
	s_mul_i32 s2, s35, s21
	s_add_i32 s38, s35, 1
	s_sub_i32 s2, s28, s2
	v_lshrrev_b32_e32 v41, 5, v0
	v_and_b32_e32 v42, 31, v0
	s_mul_i32 s6, s7, s6
	s_delay_alu instid0(VALU_DEP_2) | instskip(NEXT) | instid1(VALU_DEP_2)
	v_lshl_add_u32 v43, v41, 5, s13
	v_lshlrev_b32_e32 v44, 2, v42
	s_waitcnt lgkmcnt(0)
	s_mul_i32 s28, s14, s8
	s_sub_i32 s8, s2, s21
	s_ashr_i32 s29, s28, 31
	s_cmp_ge_u32 s2, s21
	s_cselect_b32 s35, s38, s35
	s_cselect_b32 s2, s8, s2
	s_add_i32 s8, s35, 1
	s_cmp_ge_u32 s2, s21
	s_cselect_b32 s2, s8, s35
	s_add_i32 s8, s33, 31
	s_lshl_b32 s38, s12, 4
	s_ashr_i32 s35, s8, 31
	v_dual_mov_b32 v130, 0xff7fffff :: v_dual_add_nc_u32 v37, s38, v41
	s_lshr_b32 s35, s35, 27
	s_add_i32 s39, s38, 16
	s_add_i32 s8, s8, s35
	s_xor_b32 s40, s2, s36
	s_ashr_i32 s35, s8, 5
	v_ashrrev_i32_e32 v38, 31, v37
	s_min_i32 s8, s39, s35
	s_sub_i32 s36, s40, s36
	v_cmp_gt_i32_e64 s2, s8, v37
	s_delay_alu instid0(VALU_DEP_1)
	s_and_saveexec_b32 s39, s2
	s_cbranch_execz .LBB182_17
; %bb.10:
	v_mov_b32_e32 v33, 0
	s_load_b64 s[0:1], s[0:1], 0x20
	s_ashr_i32 s7, s6, 31
	v_lshl_add_u32 v147, v41, 5, s13
	s_lshl_b64 s[40:41], s[6:7], 1
	ds_load_b128 v[1:4], v33
	ds_load_b128 v[5:8], v33 offset:16
	ds_load_b128 v[9:12], v33 offset:32
	;; [unrolled: 1-line block ×7, first 2 shown]
	s_sub_i32 s7, s36, s9
	v_dual_mov_b32 v149, v37 :: v_dual_mov_b32 v148, 0xff7fffff
	v_mov_b32_e32 v130, 0xff7fffff
	s_waitcnt lgkmcnt(0)
	v_lshlrev_b32_e32 v46, 16, v1
	v_bfi_b32 v45, 0xffff, 0, v1
	v_bfi_b32 v47, 0xffff, 0, v2
	v_lshlrev_b32_e32 v48, 16, v2
	v_bfi_b32 v49, 0xffff, 0, v3
	v_lshlrev_b32_e32 v50, 16, v3
	v_bfi_b32 v51, 0xffff, 0, v4
	v_lshlrev_b32_e32 v52, 16, v4
	ds_load_b128 v[1:4], v33 offset:128
	s_add_u32 s42, s0, s40
	s_addc_u32 s41, s1, s41
	s_abs_i32 s40, s10
	v_bfi_b32 v53, 0xffff, 0, v5
	v_lshlrev_b32_e32 v54, 16, v5
	v_bfi_b32 v55, 0xffff, 0, v6
	v_lshlrev_b32_e32 v56, 16, v6
	;; [unrolled: 2-line block ×4, first 2 shown]
	ds_load_b128 v[5:8], v33 offset:144
	s_sub_i32 s0, 0, s40
	v_bfi_b32 v61, 0xffff, 0, v9
	v_lshlrev_b32_e32 v62, 16, v9
	v_bfi_b32 v63, 0xffff, 0, v10
	v_lshlrev_b32_e32 v64, 16, v10
	;; [unrolled: 2-line block ×3, first 2 shown]
	s_waitcnt lgkmcnt(1)
	v_bfi_b32 v79, 0xffff, 0, v1
	v_lshlrev_b32_e32 v80, 16, v1
	v_cvt_f32_u32_e32 v1, s40
	v_bfi_b32 v113, 0xffff, 0, v3
	v_lshlrev_b32_e32 v116, 16, v3
	v_bfi_b32 v121, 0xffff, 0, v4
	v_lshlrev_b32_e32 v122, 16, v4
	v_rcp_iflag_f32_e32 v1, v1
	v_bfi_b32 v67, 0xffff, 0, v12
	v_lshlrev_b32_e32 v68, 16, v12
	v_bfi_b32 v69, 0xffff, 0, v13
	v_lshlrev_b32_e32 v70, 16, v13
	;; [unrolled: 2-line block ×4, first 2 shown]
	v_bfi_b32 v102, 0xffff, 0, v16
	v_mul_f32_e32 v1, 0x4f7ffffe, v1
	v_lshlrev_b32_e32 v103, 16, v16
	ds_load_b128 v[9:12], v33 offset:160
	ds_load_b128 v[13:16], v33 offset:176
	v_bfi_b32 v93, 0xffff, 0, v2
	v_cvt_u32_f32_e32 v3, v1
	v_lshlrev_b32_e32 v94, 16, v2
	v_lshlrev_b64 v[1:2], 2, v[37:38]
	v_bfi_b32 v71, 0xffff, 0, v17
	v_lshlrev_b32_e32 v72, 16, v17
	v_mul_lo_u32 v4, s0, v3
	s_lshl_b64 s[0:1], s[28:29], 2
	v_bfi_b32 v73, 0xffff, 0, v21
	s_add_u32 s0, s26, s0
	s_addc_u32 s1, s27, s1
	v_add_co_u32 v39, vcc_lo, s0, v1
	v_add_co_ci_u32_e32 v40, vcc_lo, s1, v2, vcc_lo
	s_delay_alu instid0(VALU_DEP_4)
	v_mul_hi_u32 v4, v3, v4
	v_subrev_nc_u32_e32 v1, s33, v42
	v_lshl_or_b32 v2, v41, 7, v44
	v_lshlrev_b32_e32 v74, 16, v21
	v_bfi_b32 v75, 0xffff, 0, v25
	v_lshlrev_b32_e32 v76, 16, v25
	v_bfi_b32 v77, 0xffff, 0, v29
	v_lshlrev_b32_e32 v78, 16, v29
	v_add_nc_u32_e32 v142, v3, v4
	v_lshlrev_b32_e32 v3, 4, v42
	s_waitcnt lgkmcnt(2)
	v_bfi_b32 v81, 0xffff, 0, v5
	v_lshlrev_b32_e32 v82, 16, v5
	v_bfi_b32 v85, 0xffff, 0, v18
	v_lshlrev_b32_e32 v86, 16, v18
	v_add_co_u32 v145, s0, s42, v3
	v_bfi_b32 v87, 0xffff, 0, v22
	v_lshlrev_b32_e32 v88, 16, v22
	v_bfi_b32 v89, 0xffff, 0, v26
	v_lshlrev_b32_e32 v90, 16, v26
	;; [unrolled: 2-line block ×6, first 2 shown]
	v_bfi_b32 v105, 0xffff, 0, v27
	v_bfi_b32 v106, 0xffff, 0, v20
	v_lshlrev_b32_e32 v107, 16, v20
	v_lshlrev_b32_e32 v108, 16, v27
	v_bfi_b32 v109, 0xffff, 0, v31
	v_bfi_b32 v110, 0xffff, 0, v24
	v_lshlrev_b32_e32 v111, 16, v24
	v_lshlrev_b32_e32 v112, 16, v31
	v_bfi_b32 v114, 0xffff, 0, v28
	v_lshlrev_b32_e32 v115, 16, v28
	v_bfi_b32 v117, 0xffff, 0, v7
	v_bfi_b32 v118, 0xffff, 0, v32
	v_lshlrev_b32_e32 v119, 16, v32
	v_lshlrev_b32_e32 v120, 16, v7
	v_bfi_b32 v123, 0xffff, 0, v8
	v_lshlrev_b32_e32 v124, 16, v8
	s_waitcnt lgkmcnt(1)
	v_bfi_b32 v125, 0xffff, 0, v9
	v_lshlrev_b32_e32 v126, 16, v9
	v_bfi_b32 v127, 0xffff, 0, v10
	v_lshlrev_b32_e32 v128, 16, v10
	;; [unrolled: 2-line block ×4, first 2 shown]
	s_waitcnt lgkmcnt(0)
	v_bfi_b32 v134, 0xffff, 0, v13
	v_lshlrev_b32_e32 v135, 16, v13
	v_bfi_b32 v136, 0xffff, 0, v14
	v_lshlrev_b32_e32 v137, 16, v14
	;; [unrolled: 2-line block ×4, first 2 shown]
	v_cmp_neq_f32_e64 vcc_lo, s37, 0
	v_add_nc_u32_e32 v143, 1, v1
	v_add_nc_u32_e32 v144, 0xe0, v2
	v_add_co_ci_u32_e64 v146, null, s41, 0, s0
	s_mov_b32 s42, s5
	s_mov_b32 s41, 0
	s_branch .LBB182_12
.LBB182_11:                             ;   in Loop: Header=BB182_12 Depth=1
	s_or_b32 exec_lo, exec_lo, s43
	v_add_nc_u32_e32 v149, 4, v149
	v_add_co_u32 v39, s1, v39, 16
	s_delay_alu instid0(VALU_DEP_1) | instskip(NEXT) | instid1(VALU_DEP_3)
	v_add_co_ci_u32_e64 v40, s1, 0, v40, s1
	v_cmp_le_i32_e64 s0, s8, v149
	v_add_nc_u32_e32 v147, 0x80, v147
	v_add_nc_u32_e32 v144, 0x200, v144
	s_delay_alu instid0(VALU_DEP_3) | instskip(NEXT) | instid1(SALU_CYCLE_1)
	s_or_b32 s41, s0, s41
	s_and_not1_b32 exec_lo, exec_lo, s41
	s_cbranch_execz .LBB182_16
.LBB182_12:                             ; =>This Inner Loop Header: Depth=1
	v_sub_nc_u32_e32 v1, 0, v147
	s_delay_alu instid0(VALU_DEP_1) | instskip(NEXT) | instid1(VALU_DEP_1)
	v_max_i32_e32 v1, v147, v1
	v_mul_hi_u32 v2, v1, s25
	s_delay_alu instid0(VALU_DEP_1) | instskip(NEXT) | instid1(VALU_DEP_1)
	v_mul_lo_u32 v3, v2, s21
	v_sub_nc_u32_e32 v1, v1, v3
	v_add_nc_u32_e32 v3, 1, v2
	s_delay_alu instid0(VALU_DEP_2) | instskip(SKIP_1) | instid1(VALU_DEP_1)
	v_subrev_nc_u32_e32 v4, s21, v1
	v_cmp_le_u32_e64 s0, s21, v1
	v_cndmask_b32_e64 v2, v2, v3, s0
	s_delay_alu instid0(VALU_DEP_3) | instskip(SKIP_1) | instid1(VALU_DEP_3)
	v_cndmask_b32_e64 v1, v1, v4, s0
	v_ashrrev_i32_e32 v3, 31, v147
	v_add_nc_u32_e32 v4, 1, v2
	s_delay_alu instid0(VALU_DEP_3) | instskip(NEXT) | instid1(VALU_DEP_3)
	v_cmp_le_u32_e64 s0, s21, v1
	v_xor_b32_e32 v3, s11, v3
	s_delay_alu instid0(VALU_DEP_2) | instskip(NEXT) | instid1(VALU_DEP_1)
	v_cndmask_b32_e64 v1, v2, v4, s0
	v_xor_b32_e32 v1, v1, v3
	s_delay_alu instid0(VALU_DEP_1) | instskip(NEXT) | instid1(VALU_DEP_1)
	v_sub_nc_u32_e32 v1, v1, v3
	v_add_nc_u32_e32 v2, s34, v1
	v_cmp_ge_i32_e64 s1, s7, v1
	s_delay_alu instid0(VALU_DEP_2) | instskip(NEXT) | instid1(VALU_DEP_1)
	v_sub_nc_u32_e32 v3, 0, v2
	v_max_i32_e32 v3, v2, v3
	v_ashrrev_i32_e32 v2, 31, v2
	s_delay_alu instid0(VALU_DEP_2) | instskip(NEXT) | instid1(VALU_DEP_1)
	v_mul_hi_u32 v4, v3, v142
	v_mul_lo_u32 v4, v4, s40
	s_delay_alu instid0(VALU_DEP_1) | instskip(NEXT) | instid1(VALU_DEP_1)
	v_sub_nc_u32_e32 v3, v3, v4
	v_subrev_nc_u32_e32 v4, s40, v3
	v_cmp_le_u32_e64 s0, s40, v3
	s_delay_alu instid0(VALU_DEP_1) | instskip(NEXT) | instid1(VALU_DEP_1)
	v_cndmask_b32_e64 v3, v3, v4, s0
	v_subrev_nc_u32_e32 v4, s40, v3
	v_cmp_le_u32_e64 s0, s40, v3
	s_delay_alu instid0(VALU_DEP_1) | instskip(NEXT) | instid1(VALU_DEP_1)
	v_cndmask_b32_e64 v3, v3, v4, s0
	v_xor_b32_e32 v3, v3, v2
	s_delay_alu instid0(VALU_DEP_1) | instskip(NEXT) | instid1(VALU_DEP_1)
	v_sub_nc_u32_e32 v2, v3, v2
	v_cmp_ne_u32_e64 s0, 0, v2
	s_delay_alu instid0(VALU_DEP_1) | instskip(NEXT) | instid1(SALU_CYCLE_1)
	s_and_b32 s0, s0, s1
	s_and_saveexec_b32 s1, s0
	s_delay_alu instid0(SALU_CYCLE_1)
	s_xor_b32 s0, exec_lo, s1
	s_cbranch_execz .LBB182_14
; %bb.13:                               ;   in Loop: Header=BB182_12 Depth=1
	ds_store_b32 v144, v148
.LBB182_14:                             ;   in Loop: Header=BB182_12 Depth=1
	s_and_not1_saveexec_b32 s43, s0
	s_cbranch_execz .LBB182_11
; %bb.15:                               ;   in Loop: Header=BB182_12 Depth=1
	global_load_b32 v3, v[39:40], off
	s_waitcnt vmcnt(0)
	v_mad_i64_i32 v[1:2], null, v3, s42, 0
	s_delay_alu instid0(VALU_DEP_1) | instskip(NEXT) | instid1(VALU_DEP_1)
	v_lshlrev_b64 v[1:2], 1, v[1:2]
	v_add_co_u32 v5, s0, v145, v1
	v_add_nc_u32_e32 v1, v143, v147
	s_delay_alu instid0(VALU_DEP_3) | instskip(NEXT) | instid1(VALU_DEP_2)
	v_add_co_ci_u32_e64 v6, s0, v146, v2, s0
	v_cvt_f32_i32_e32 v1, v1
	v_add_nc_u32_e32 v4, v42, v147
	global_load_b128 v[17:20], v[5:6], off offset:2048
	v_mul_f32_e32 v1, s37, v1
	v_cmp_gt_i32_e64 s0, s33, v4
	s_delay_alu instid0(VALU_DEP_2)
	v_cndmask_b32_e32 v150, 0, v1, vcc_lo
	global_load_b128 v[1:4], v[5:6], off
	s_waitcnt vmcnt(0)
	v_lshlrev_b32_e32 v161, 16, v2
	v_and_b32_e32 v160, 0xffff0000, v1
	v_lshlrev_b32_e32 v159, 16, v1
	v_and_b32_e32 v162, 0xffff0000, v2
	;; [unrolled: 2-line block ×4, first 2 shown]
	global_load_b128 v[1:4], v[5:6], off offset:512
	s_waitcnt vmcnt(0)
	v_and_b32_e32 v165, 0xffff0000, v2
	v_lshlrev_b32_e32 v166, 16, v2
	v_and_b32_e32 v152, 0xffff0000, v1
	v_and_b32_e32 v167, 0xffff0000, v3
	v_lshlrev_b32_e32 v168, 16, v3
	v_lshlrev_b32_e32 v151, 16, v1
	v_and_b32_e32 v155, 0xffff0000, v4
	v_lshlrev_b32_e32 v156, 16, v4
	s_clause 0x4
	global_load_b128 v[1:4], v[5:6], off offset:1024
	global_load_b128 v[33:36], v[5:6], off offset:1536
	global_load_b128 v[29:32], v[5:6], off offset:2560
	global_load_b128 v[25:28], v[5:6], off offset:3072
	global_load_b128 v[21:24], v[5:6], off offset:3584
	v_dual_mul_f32 v151, v54, v151 :: v_dual_mul_f32 v152, v53, v152
	s_delay_alu instid0(VALU_DEP_1) | instskip(SKIP_4) | instid1(VALU_DEP_3)
	v_dual_fmac_f32 v152, v45, v160 :: v_dual_fmac_f32 v151, v46, v159
	s_waitcnt vmcnt(4)
	v_and_b32_e32 v169, 0xffff0000, v1
	v_lshlrev_b32_e32 v170, 16, v1
	v_add_co_u32 v1, s1, 0x1000, v5
	v_dual_fmac_f32 v152, v61, v169 :: v_dual_and_b32 v157, 0xffff0000, v4
	s_delay_alu instid0(VALU_DEP_3) | instskip(SKIP_3) | instid1(VALU_DEP_2)
	v_fmac_f32_e32 v151, v62, v170
	s_waitcnt vmcnt(3)
	v_lshlrev_b32_e32 v159, 16, v33
	v_and_b32_e32 v33, 0xffff0000, v33
	v_dual_fmac_f32 v151, v70, v159 :: v_dual_lshlrev_b32 v158, 16, v4
	s_delay_alu instid0(VALU_DEP_2) | instskip(SKIP_2) | instid1(VALU_DEP_2)
	v_fmac_f32_e32 v152, v69, v33
	v_and_b32_e32 v33, 0xffff0000, v17
	v_lshlrev_b32_e32 v17, 16, v17
	v_fmac_f32_e32 v152, v71, v33
	s_delay_alu instid0(VALU_DEP_2) | instskip(SKIP_3) | instid1(VALU_DEP_2)
	v_fmac_f32_e32 v151, v72, v17
	s_waitcnt vmcnt(2)
	v_lshlrev_b32_e32 v17, 16, v29
	v_and_b32_e32 v29, 0xffff0000, v29
	v_fmac_f32_e32 v151, v74, v17
	s_delay_alu instid0(VALU_DEP_2) | instskip(SKIP_3) | instid1(VALU_DEP_2)
	v_fmac_f32_e32 v152, v73, v29
	s_waitcnt vmcnt(1)
	v_and_b32_e32 v17, 0xffff0000, v25
	v_lshlrev_b32_e32 v25, 16, v25
	v_fmac_f32_e32 v152, v75, v17
	s_delay_alu instid0(VALU_DEP_2)
	v_fmac_f32_e32 v151, v76, v25
	s_waitcnt vmcnt(0)
	v_lshlrev_b32_e32 v17, 16, v21
	v_lshlrev_b32_e32 v172, 16, v2
	v_and_b32_e32 v21, 0xffff0000, v21
	v_and_b32_e32 v171, 0xffff0000, v2
	v_add_co_ci_u32_e64 v2, s1, 0, v6, s1
	v_fmac_f32_e32 v151, v78, v17
	s_delay_alu instid0(VALU_DEP_4)
	v_dual_fmac_f32 v152, v77, v21 :: v_dual_and_b32 v173, 0xffff0000, v3
	v_lshlrev_b32_e32 v174, 16, v3
	s_clause 0x3
	global_load_b128 v[13:16], v[1:2], off
	global_load_b128 v[9:12], v[1:2], off offset:512
	global_load_b128 v[5:8], v[1:2], off offset:1024
	;; [unrolled: 1-line block ×3, first 2 shown]
	s_waitcnt vmcnt(3)
	v_and_b32_e32 v17, 0xffff0000, v13
	v_lshlrev_b32_e32 v13, 16, v13
	s_delay_alu instid0(VALU_DEP_2) | instskip(NEXT) | instid1(VALU_DEP_2)
	v_fmac_f32_e32 v152, v79, v17
	v_fmac_f32_e32 v151, v80, v13
	s_waitcnt vmcnt(2)
	v_lshlrev_b32_e32 v13, 16, v9
	v_and_b32_e32 v9, 0xffff0000, v9
	s_delay_alu instid0(VALU_DEP_2) | instskip(NEXT) | instid1(VALU_DEP_2)
	v_fmac_f32_e32 v151, v82, v13
	v_fmac_f32_e32 v152, v81, v9
	s_waitcnt vmcnt(1)
	v_and_b32_e32 v9, 0xffff0000, v5
	v_lshlrev_b32_e32 v5, 16, v5
	v_and_b32_e32 v13, 0xffff0000, v34
	s_delay_alu instid0(VALU_DEP_2) | instskip(SKIP_3) | instid1(VALU_DEP_2)
	v_fmac_f32_e32 v151, v126, v5
	s_waitcnt vmcnt(0)
	v_lshlrev_b32_e32 v5, 16, v1
	v_and_b32_e32 v1, 0xffff0000, v1
	v_fmac_f32_e32 v151, v135, v5
	v_mul_f32_e32 v5, v56, v166
	s_delay_alu instid0(VALU_DEP_1) | instskip(SKIP_1) | instid1(VALU_DEP_1)
	v_fmac_f32_e32 v5, v48, v161
	v_dual_fmac_f32 v152, v125, v9 :: v_dual_lshlrev_b32 v9, 16, v34
	v_dual_fmac_f32 v5, v64, v172 :: v_dual_fmac_f32 v152, v134, v1
	v_mul_f32_e32 v1, v55, v165
	s_delay_alu instid0(VALU_DEP_2) | instskip(SKIP_1) | instid1(VALU_DEP_3)
	v_fmac_f32_e32 v5, v84, v9
	v_and_b32_e32 v9, 0xffff0000, v18
	v_fmac_f32_e32 v1, v47, v162
	s_delay_alu instid0(VALU_DEP_1) | instskip(NEXT) | instid1(VALU_DEP_1)
	v_fmac_f32_e32 v1, v63, v171
	v_fmac_f32_e32 v1, v83, v13
	v_lshlrev_b32_e32 v13, 16, v18
	s_delay_alu instid0(VALU_DEP_2) | instskip(NEXT) | instid1(VALU_DEP_2)
	v_fmac_f32_e32 v1, v85, v9
	v_fmac_f32_e32 v5, v86, v13
	v_lshlrev_b32_e32 v9, 16, v30
	v_and_b32_e32 v13, 0xffff0000, v30
	s_delay_alu instid0(VALU_DEP_2) | instskip(NEXT) | instid1(VALU_DEP_2)
	v_fmac_f32_e32 v5, v88, v9
	v_fmac_f32_e32 v1, v87, v13
	v_and_b32_e32 v9, 0xffff0000, v26
	v_lshlrev_b32_e32 v13, 16, v26
	s_delay_alu instid0(VALU_DEP_2) | instskip(NEXT) | instid1(VALU_DEP_2)
	v_fmac_f32_e32 v1, v89, v9
	v_fmac_f32_e32 v5, v90, v13
	v_lshlrev_b32_e32 v9, 16, v22
	v_and_b32_e32 v13, 0xffff0000, v22
	s_delay_alu instid0(VALU_DEP_2) | instskip(NEXT) | instid1(VALU_DEP_2)
	v_fmac_f32_e32 v5, v92, v9
	v_fmac_f32_e32 v1, v91, v13
	v_and_b32_e32 v9, 0xffff0000, v14
	v_lshlrev_b32_e32 v13, 16, v14
	s_delay_alu instid0(VALU_DEP_2) | instskip(NEXT) | instid1(VALU_DEP_2)
	v_fmac_f32_e32 v1, v93, v9
	v_fmac_f32_e32 v5, v94, v13
	v_lshlrev_b32_e32 v9, 16, v10
	s_delay_alu instid0(VALU_DEP_1) | instskip(NEXT) | instid1(VALU_DEP_1)
	v_dual_fmac_f32 v5, v96, v9 :: v_dual_and_b32 v10, 0xffff0000, v10
	v_fmac_f32_e32 v1, v95, v10
	v_and_b32_e32 v9, 0xffff0000, v6
	v_lshlrev_b32_e32 v6, 16, v6
	s_delay_alu instid0(VALU_DEP_2) | instskip(NEXT) | instid1(VALU_DEP_2)
	v_dual_fmac_f32 v1, v127, v9 :: v_dual_and_b32 v10, 0xffff0000, v35
	v_fmac_f32_e32 v5, v128, v6
	v_lshlrev_b32_e32 v6, 16, v2
	v_and_b32_e32 v2, 0xffff0000, v2
	v_lshlrev_b32_e32 v9, 16, v35
	s_delay_alu instid0(VALU_DEP_3) | instskip(NEXT) | instid1(VALU_DEP_3)
	v_fmac_f32_e32 v5, v137, v6
	v_dual_fmac_f32 v1, v136, v2 :: v_dual_mul_f32 v6, v58, v168
	v_mul_f32_e32 v2, v57, v167
	s_delay_alu instid0(VALU_DEP_2) | instskip(NEXT) | instid1(VALU_DEP_2)
	v_fmac_f32_e32 v6, v50, v163
	v_fmac_f32_e32 v2, v49, v164
	s_delay_alu instid0(VALU_DEP_2) | instskip(NEXT) | instid1(VALU_DEP_2)
	v_fmac_f32_e32 v6, v66, v174
	v_fmac_f32_e32 v2, v65, v173
	s_delay_alu instid0(VALU_DEP_2) | instskip(NEXT) | instid1(VALU_DEP_2)
	v_fmac_f32_e32 v6, v98, v9
	v_dual_fmac_f32 v2, v97, v10 :: v_dual_and_b32 v9, 0xffff0000, v19
	v_lshlrev_b32_e32 v10, 16, v19
	s_delay_alu instid0(VALU_DEP_2) | instskip(NEXT) | instid1(VALU_DEP_2)
	v_fmac_f32_e32 v2, v99, v9
	v_dual_fmac_f32 v6, v100, v10 :: v_dual_lshlrev_b32 v9, 16, v31
	v_and_b32_e32 v10, 0xffff0000, v31
	s_delay_alu instid0(VALU_DEP_2) | instskip(NEXT) | instid1(VALU_DEP_2)
	v_fmac_f32_e32 v6, v104, v9
	v_dual_fmac_f32 v2, v101, v10 :: v_dual_and_b32 v9, 0xffff0000, v27
	v_lshlrev_b32_e32 v10, 16, v27
	s_delay_alu instid0(VALU_DEP_2) | instskip(NEXT) | instid1(VALU_DEP_2)
	v_fmac_f32_e32 v2, v105, v9
	v_dual_fmac_f32 v6, v108, v10 :: v_dual_lshlrev_b32 v9, 16, v23
	v_and_b32_e32 v10, 0xffff0000, v23
	;; [unrolled: 8-line block ×3, first 2 shown]
	s_delay_alu instid0(VALU_DEP_2) | instskip(NEXT) | instid1(VALU_DEP_2)
	v_fmac_f32_e32 v6, v120, v9
	v_dual_fmac_f32 v2, v117, v10 :: v_dual_and_b32 v9, 0xffff0000, v7
	v_lshlrev_b32_e32 v7, 16, v7
	v_and_b32_e32 v10, 0xffff0000, v36
	s_delay_alu instid0(VALU_DEP_3) | instskip(NEXT) | instid1(VALU_DEP_3)
	v_fmac_f32_e32 v2, v129, v9
	v_fmac_f32_e32 v6, v131, v7
	v_lshlrev_b32_e32 v7, 16, v3
	v_and_b32_e32 v3, 0xffff0000, v3
	s_delay_alu instid0(VALU_DEP_2) | instskip(NEXT) | instid1(VALU_DEP_2)
	v_dual_fmac_f32 v6, v139, v7 :: v_dual_lshlrev_b32 v9, 16, v36
	v_dual_fmac_f32 v2, v138, v3 :: v_dual_mul_f32 v7, v60, v156
	v_mul_f32_e32 v3, v59, v155
	s_delay_alu instid0(VALU_DEP_2) | instskip(NEXT) | instid1(VALU_DEP_2)
	v_fmac_f32_e32 v7, v52, v153
	v_fmac_f32_e32 v3, v51, v154
	s_delay_alu instid0(VALU_DEP_2) | instskip(NEXT) | instid1(VALU_DEP_2)
	v_fmac_f32_e32 v7, v68, v158
	v_fmac_f32_e32 v3, v67, v157
	;; [unrolled: 3-line block ×3, first 2 shown]
	v_and_b32_e32 v9, 0xffff0000, v20
	s_delay_alu instid0(VALU_DEP_1) | instskip(NEXT) | instid1(VALU_DEP_1)
	v_dual_fmac_f32 v3, v106, v9 :: v_dual_lshlrev_b32 v10, 16, v20
	v_fmac_f32_e32 v7, v107, v10
	v_lshlrev_b32_e32 v9, 16, v32
	s_delay_alu instid0(VALU_DEP_1) | instskip(NEXT) | instid1(VALU_DEP_1)
	v_dual_fmac_f32 v7, v111, v9 :: v_dual_and_b32 v10, 0xffff0000, v32
	v_fmac_f32_e32 v3, v110, v10
	v_and_b32_e32 v9, 0xffff0000, v28
	s_delay_alu instid0(VALU_DEP_1) | instskip(NEXT) | instid1(VALU_DEP_1)
	v_dual_fmac_f32 v3, v114, v9 :: v_dual_lshlrev_b32 v10, 16, v28
	v_fmac_f32_e32 v7, v115, v10
	v_lshlrev_b32_e32 v9, 16, v24
	s_delay_alu instid0(VALU_DEP_1) | instskip(NEXT) | instid1(VALU_DEP_1)
	v_dual_fmac_f32 v7, v119, v9 :: v_dual_and_b32 v10, 0xffff0000, v24
	v_fmac_f32_e32 v3, v118, v10
	;; [unrolled: 8-line block ×3, first 2 shown]
	v_and_b32_e32 v9, 0xffff0000, v8
	s_delay_alu instid0(VALU_DEP_1) | instskip(NEXT) | instid1(VALU_DEP_1)
	v_dual_fmac_f32 v3, v132, v9 :: v_dual_lshlrev_b32 v8, 16, v8
	v_fmac_f32_e32 v7, v133, v8
	v_lshlrev_b32_e32 v8, 16, v4
	v_and_b32_e32 v4, 0xffff0000, v4
	s_delay_alu instid0(VALU_DEP_2) | instskip(NEXT) | instid1(VALU_DEP_2)
	v_fmac_f32_e32 v7, v141, v8
	v_fmac_f32_e32 v3, v140, v4
	v_add_f32_e32 v4, v151, v152
	s_delay_alu instid0(VALU_DEP_1) | instskip(NEXT) | instid1(VALU_DEP_1)
	v_add_f32_e32 v4, v4, v5
	v_add_f32_e32 v1, v1, v4
	s_delay_alu instid0(VALU_DEP_1) | instskip(NEXT) | instid1(VALU_DEP_1)
	v_add_f32_e32 v1, v6, v1
	v_add_f32_e32 v1, v2, v1
	s_delay_alu instid0(VALU_DEP_1) | instskip(NEXT) | instid1(VALU_DEP_1)
	v_dual_max_f32 v2, v130, v130 :: v_dual_add_f32 v1, v7, v1
	v_add_f32_e32 v1, v3, v1
	s_delay_alu instid0(VALU_DEP_1) | instskip(NEXT) | instid1(VALU_DEP_1)
	v_fmac_f32_e32 v150, s3, v1
	v_max_f32_e32 v2, v2, v150
	v_cndmask_b32_e64 v1, 0, v150, s0
	s_delay_alu instid0(VALU_DEP_2)
	v_cndmask_b32_e64 v130, v130, v2, s0
	ds_store_b32 v144, v1
	s_branch .LBB182_11
.LBB182_16:
	s_or_b32 exec_lo, exec_lo, s41
.LBB182_17:
	s_delay_alu instid0(SALU_CYCLE_1) | instskip(SKIP_1) | instid1(VALU_DEP_1)
	s_or_b32 exec_lo, exec_lo, s39
	v_mbcnt_lo_u32_b32 v1, -1, 0
	v_xor_b32_e32 v2, 16, v1
	v_xor_b32_e32 v4, 8, v1
	s_delay_alu instid0(VALU_DEP_2) | instskip(SKIP_1) | instid1(VALU_DEP_3)
	v_cmp_gt_i32_e32 vcc_lo, 32, v2
	v_cndmask_b32_e32 v2, v1, v2, vcc_lo
	v_cmp_gt_i32_e32 vcc_lo, 32, v4
	v_max_f32_e32 v5, v130, v130
	s_delay_alu instid0(VALU_DEP_3) | instskip(SKIP_4) | instid1(VALU_DEP_1)
	v_lshlrev_b32_e32 v2, 2, v2
	v_cndmask_b32_e32 v4, v1, v4, vcc_lo
	ds_bpermute_b32 v3, v2, v130
	s_waitcnt lgkmcnt(0)
	v_dual_max_f32 v6, v3, v3 :: v_dual_lshlrev_b32 v3, 2, v4
	v_max_f32_e32 v4, v5, v6
	v_xor_b32_e32 v6, 4, v1
	ds_bpermute_b32 v5, v3, v4
	v_cmp_gt_i32_e32 vcc_lo, 32, v6
	v_cndmask_b32_e32 v6, v1, v6, vcc_lo
	s_waitcnt lgkmcnt(0)
	v_max_f32_e32 v7, v5, v5
	s_delay_alu instid0(VALU_DEP_1)
	v_dual_max_f32 v4, v4, v7 :: v_dual_lshlrev_b32 v5, 2, v6
	v_xor_b32_e32 v7, 2, v1
	ds_bpermute_b32 v6, v5, v4
	v_cmp_gt_i32_e32 vcc_lo, 32, v7
	s_waitcnt lgkmcnt(0)
	v_dual_cndmask_b32 v7, v1, v7 :: v_dual_max_f32 v6, v6, v6
	s_delay_alu instid0(VALU_DEP_1) | instskip(NEXT) | instid1(VALU_DEP_2)
	v_max_f32_e32 v4, v4, v6
	v_lshlrev_b32_e32 v12, 2, v7
	v_xor_b32_e32 v7, 1, v1
	s_delay_alu instid0(VALU_DEP_1)
	v_cmp_gt_i32_e32 vcc_lo, 32, v7
	v_cndmask_b32_e32 v7, v1, v7, vcc_lo
	ds_bpermute_b32 v6, v12, v4
	v_cmp_eq_u32_e32 vcc_lo, 0, v42
	s_waitcnt lgkmcnt(0)
	v_dual_max_f32 v6, v6, v6 :: v_dual_lshlrev_b32 v11, 2, v7
	s_delay_alu instid0(VALU_DEP_1)
	v_dual_max_f32 v1, v4, v6 :: v_dual_lshlrev_b32 v6, 2, v41
	ds_bpermute_b32 v4, v11, v1
	s_and_saveexec_b32 s0, vcc_lo
	s_cbranch_execz .LBB182_19
; %bb.18:
	s_waitcnt lgkmcnt(0)
	v_dual_max_f32 v4, v4, v4 :: v_dual_max_f32 v1, v1, v1
	s_delay_alu instid0(VALU_DEP_1)
	v_max_f32_e32 v1, v1, v4
	ds_store_b32 v6, v1 offset:192
.LBB182_19:
	s_or_b32 exec_lo, exec_lo, s0
	v_cmp_gt_u32_e64 s0, 4, v42
	v_mov_b32_e32 v1, 0xff7fffff
	s_waitcnt lgkmcnt(0)
	s_barrier
	buffer_gl0_inv
	s_and_saveexec_b32 s1, s0
	s_cbranch_execz .LBB182_21
; %bb.20:
	ds_load_b32 v1, v44 offset:192
.LBB182_21:
	s_or_b32 exec_lo, exec_lo, s1
	s_waitcnt lgkmcnt(0)
	ds_bpermute_b32 v4, v12, v1
	v_max_f32_e32 v1, v1, v1
	s_sub_i32 s1, s8, s38
	v_mov_b32_e32 v7, 0
	s_lshl_b32 s1, s1, 5
	s_delay_alu instid0(SALU_CYCLE_1) | instskip(NEXT) | instid1(SALU_CYCLE_1)
	s_add_i32 s1, s1, s13
	s_min_i32 s1, s1, s33
	s_delay_alu instid0(SALU_CYCLE_1) | instskip(NEXT) | instid1(SALU_CYCLE_1)
	s_sub_i32 s7, s1, s13
	v_cmp_gt_i32_e64 s1, s7, v0
	s_waitcnt lgkmcnt(0)
	v_max_f32_e32 v4, v4, v4
	s_delay_alu instid0(VALU_DEP_1) | instskip(SKIP_3) | instid1(VALU_DEP_1)
	v_max_f32_e32 v1, v1, v4
	ds_bpermute_b32 v4, v11, v1
	s_waitcnt lgkmcnt(0)
	v_max_f32_e32 v4, v4, v4
	v_max_f32_e32 v1, v1, v4
	v_lshl_add_u32 v4, v0, 2, 0xe0
	ds_bpermute_b32 v1, v7, v1
	s_and_saveexec_b32 s13, s1
	s_cbranch_execz .LBB182_25
; %bb.22:
	v_lshl_add_u32 v8, v0, 2, 0xe0
	v_mov_b32_e32 v7, 0
	v_mov_b32_e32 v9, v0
	s_mov_b32 s37, 0
	.p2align	6
.LBB182_23:                             ; =>This Inner Loop Header: Depth=1
	ds_load_b32 v10, v8
	v_add_nc_u32_e32 v9, 0x80, v9
	s_delay_alu instid0(VALU_DEP_1) | instskip(NEXT) | instid1(VALU_DEP_1)
	v_cmp_le_i32_e64 s3, s7, v9
	s_or_b32 s37, s3, s37
	s_waitcnt lgkmcnt(0)
	v_sub_f32_e32 v10, v10, v1
	s_delay_alu instid0(VALU_DEP_1) | instskip(NEXT) | instid1(VALU_DEP_1)
	v_mul_f32_e32 v10, 0x3fb8aa3b, v10
	v_exp_f32_e32 v10, v10
	ds_store_b32 v8, v10
	v_dual_add_f32 v7, v7, v10 :: v_dual_add_nc_u32 v8, 0x200, v8
	s_and_not1_b32 exec_lo, exec_lo, s37
	s_cbranch_execnz .LBB182_23
; %bb.24:
	s_or_b32 exec_lo, exec_lo, s37
.LBB182_25:
	s_delay_alu instid0(SALU_CYCLE_1)
	s_or_b32 exec_lo, exec_lo, s13
	ds_bpermute_b32 v2, v2, v7
	s_waitcnt lgkmcnt(0)
	v_add_f32_e32 v2, v7, v2
	ds_bpermute_b32 v3, v3, v2
	s_waitcnt lgkmcnt(0)
	v_add_f32_e32 v2, v2, v3
	;; [unrolled: 3-line block ×5, first 2 shown]
	s_and_saveexec_b32 s3, vcc_lo
	s_cbranch_execz .LBB182_27
; %bb.26:
	ds_store_b32 v6, v2 offset:208
.LBB182_27:
	s_or_b32 exec_lo, exec_lo, s3
	s_waitcnt lgkmcnt(0)
	s_barrier
	buffer_gl0_inv
	s_and_saveexec_b32 s3, s0
	s_cbranch_execz .LBB182_29
; %bb.28:
	ds_load_b32 v2, v44 offset:208
.LBB182_29:
	s_or_b32 exec_lo, exec_lo, s3
	s_waitcnt lgkmcnt(0)
	ds_bpermute_b32 v3, v12, v2
	s_waitcnt lgkmcnt(0)
	v_add_f32_e32 v2, v2, v3
	ds_bpermute_b32 v3, v11, v2
	s_waitcnt lgkmcnt(0)
	v_dual_add_f32 v2, v2, v3 :: v_dual_mov_b32 v3, 0
	ds_bpermute_b32 v2, v3, v2
	s_and_saveexec_b32 s0, s1
	s_cbranch_execz .LBB182_32
; %bb.30:
	s_waitcnt lgkmcnt(0)
	v_add_f32_e32 v3, 0x358637bd, v2
	s_mov_b32 s1, 0
	s_delay_alu instid0(VALU_DEP_1) | instskip(SKIP_1) | instid1(VALU_DEP_2)
	v_div_scale_f32 v5, null, v3, v3, 1.0
	v_div_scale_f32 v8, vcc_lo, 1.0, v3, 1.0
	v_rcp_f32_e32 v6, v5
	s_waitcnt_depctr 0xfff
	v_fma_f32 v7, -v5, v6, 1.0
	s_delay_alu instid0(VALU_DEP_1) | instskip(NEXT) | instid1(VALU_DEP_1)
	v_fmac_f32_e32 v6, v7, v6
	v_mul_f32_e32 v7, v8, v6
	s_delay_alu instid0(VALU_DEP_1) | instskip(NEXT) | instid1(VALU_DEP_1)
	v_fma_f32 v9, -v5, v7, v8
	v_fmac_f32_e32 v7, v9, v6
	s_delay_alu instid0(VALU_DEP_1) | instskip(NEXT) | instid1(VALU_DEP_1)
	v_fma_f32 v5, -v5, v7, v8
	v_div_fmas_f32 v5, v5, v6, v7
	s_delay_alu instid0(VALU_DEP_1)
	v_div_fixup_f32 v3, v5, v3, 1.0
	v_mov_b32_e32 v5, v0
.LBB182_31:                             ; =>This Inner Loop Header: Depth=1
	ds_load_b32 v6, v4
	s_waitcnt lgkmcnt(0)
	v_dual_mul_f32 v6, v3, v6 :: v_dual_add_nc_u32 v5, 0x80, v5
	s_delay_alu instid0(VALU_DEP_1) | instskip(SKIP_3) | instid1(SALU_CYCLE_1)
	v_cmp_le_i32_e32 vcc_lo, s7, v5
	ds_store_b32 v4, v6
	v_add_nc_u32_e32 v4, 0x200, v4
	s_or_b32 s1, vcc_lo, s1
	s_and_not1_b32 exec_lo, exec_lo, s1
	s_cbranch_execnz .LBB182_31
.LBB182_32:
	s_or_b32 exec_lo, exec_lo, s0
	s_delay_alu instid0(SALU_CYCLE_1)
	s_mov_b32 s0, exec_lo
	s_waitcnt lgkmcnt(0)
	s_barrier
	buffer_gl0_inv
	v_cmpx_eq_u32_e32 0, v0
	s_cbranch_execz .LBB182_34
; %bb.33:
	s_mul_i32 s1, s4, s14
	s_mul_i32 s40, s4, s24
	;; [unrolled: 1-line block ×3, first 2 shown]
	v_mov_b32_e32 v3, 0
	s_ashr_i32 s39, s38, 31
	s_delay_alu instid0(SALU_CYCLE_1) | instskip(NEXT) | instid1(SALU_CYCLE_1)
	s_lshl_b64 s[38:39], s[38:39], 2
	s_add_u32 s1, s18, s38
	s_addc_u32 s3, s19, s39
	s_ashr_i32 s41, s40, 31
	s_delay_alu instid0(SALU_CYCLE_1) | instskip(NEXT) | instid1(SALU_CYCLE_1)
	s_lshl_b64 s[18:19], s[40:41], 2
	s_add_u32 s1, s1, s18
	s_addc_u32 s3, s3, s19
	;; [unrolled: 5-line block ×3, first 2 shown]
	s_add_u32 s1, s16, s38
	s_addc_u32 s3, s17, s39
	s_add_u32 s1, s1, s18
	s_addc_u32 s3, s3, s19
	;; [unrolled: 2-line block ×3, first 2 shown]
	s_clause 0x1
	global_store_b32 v3, v1, s[42:43]
	global_store_b32 v3, v2, s[16:17]
.LBB182_34:
	s_or_b32 exec_lo, exec_lo, s0
	v_dual_mov_b32 v25, 0 :: v_dual_mov_b32 v24, 0
	v_dual_mov_b32 v22, 0 :: v_dual_and_b32 v13, 3, v0
	v_dual_mov_b32 v23, 0 :: v_dual_mov_b32 v20, 0
	v_dual_mov_b32 v21, 0 :: v_dual_mov_b32 v18, 0
	;; [unrolled: 1-line block ×4, first 2 shown]
	v_mov_b32_e32 v15, 0
	s_mov_b32 s3, 0
	s_and_saveexec_b32 s1, s2
	s_cbranch_execz .LBB182_480
; %bb.35:
	s_ashr_i32 s7, s6, 31
	s_sub_i32 s2, s36, s9
	s_lshl_b64 s[6:7], s[6:7], 1
	v_dual_mov_b32 v15, 0 :: v_dual_lshlrev_b32 v4, 3, v0
	s_add_u32 s6, s30, s6
	s_addc_u32 s7, s31, s7
	s_abs_i32 s9, s10
	s_delay_alu instid0(VALU_DEP_1) | instskip(SKIP_4) | instid1(VALU_DEP_3)
	v_and_b32_e32 v26, 24, v4
	v_cvt_f32_u32_e32 v3, s9
	s_sub_i32 s0, 0, s9
	v_and_b32_e32 v4, 0xf8, v4
	v_dual_mov_b32 v14, 0 :: v_dual_lshlrev_b32 v5, 5, v13
	v_rcp_iflag_f32_e32 v3, v3
	v_lshlrev_b64 v[1:2], 2, v[37:38]
	s_delay_alu instid0(VALU_DEP_3)
	v_or_b32_e32 v7, 0x800, v4
	v_or_b32_e32 v8, 0x900, v4
	;; [unrolled: 1-line block ×4, first 2 shown]
	v_lshlrev_b32_e32 v28, 1, v4
	s_lshl_b64 s[16:17], s[28:29], 2
	v_mov_b32_e32 v24, 0
	s_add_i32 s10, s35, -1
	v_mul_f32_e32 v3, 0x4f7ffffe, v3
	v_lshl_or_b32 v5, v41, 7, v5
	s_add_u32 s13, s26, s16
	v_dual_mov_b32 v16, 0 :: v_dual_mov_b32 v17, 0
	s_delay_alu instid0(VALU_DEP_3) | instskip(SKIP_2) | instid1(VALU_DEP_3)
	v_cvt_u32_f32_e32 v3, v3
	v_add_co_u32 v9, vcc_lo, s13, v1
	v_dual_mov_b32 v18, 0 :: v_dual_mov_b32 v19, 0
	v_mul_lo_u32 v6, s0, v3
	s_addc_u32 s0, s27, s17
	v_dual_mov_b32 v20, 0 :: v_dual_mov_b32 v21, 0
	v_dual_mov_b32 v22, 0 :: v_dual_mov_b32 v23, 0
	v_add_nc_u32_e32 v27, 0xe0, v5
	v_add_co_ci_u32_e32 v10, vcc_lo, s0, v2, vcc_lo
	v_mul_hi_u32 v4, v3, v6
	v_lshlrev_b32_e32 v29, 1, v7
	v_lshlrev_b32_e32 v30, 1, v8
	;; [unrolled: 1-line block ×3, first 2 shown]
	v_dual_mov_b32 v25, 0 :: v_dual_lshlrev_b32 v32, 1, v32
	v_add_nc_u32_e32 v33, v3, v4
	s_branch .LBB182_38
.LBB182_36:                             ;   in Loop: Header=BB182_38 Depth=1
	s_or_b32 exec_lo, exec_lo, s0
	v_and_b32_e32 v53, 0xffff0000, v132
	v_and_b32_e32 v54, 0xffff0000, v134
	v_and_b32_e32 v52, 0xffff0000, v133
	v_and_b32_e32 v51, 0xffff0000, v135
	v_and_b32_e32 v62, 0xffff0000, v116
	v_and_b32_e32 v57, 0xffff0000, v136
	v_and_b32_e32 v6, 0xffff0000, v6
	s_delay_alu instid0(VALU_DEP_4) | instskip(SKIP_3) | instid1(VALU_DEP_4)
	v_dual_add_f32 v52, v53, v52 :: v_dual_add_f32 v51, v54, v51
	v_and_b32_e32 v53, 0xffff0000, v138
	v_and_b32_e32 v5, 0xffff0000, v5
	;; [unrolled: 1-line block ×3, first 2 shown]
	v_dual_add_f32 v51, v52, v51 :: v_dual_and_b32 v66, 0xffff0000, v104
	v_and_b32_e32 v54, 0xffff0000, v139
	s_delay_alu instid0(VALU_DEP_4) | instskip(SKIP_2) | instid1(VALU_DEP_4)
	v_dual_add_f32 v5, v5, v6 :: v_dual_and_b32 v56, 0xffff0000, v137
	v_and_b32_e32 v55, 0xffff0000, v55
	v_and_b32_e32 v45, 0xffff0000, v45
	v_add_f32_e32 v53, v53, v54
	s_delay_alu instid0(VALU_DEP_4) | instskip(SKIP_3) | instid1(VALU_DEP_4)
	v_add_f32_e32 v56, v57, v56
	v_and_b32_e32 v54, 0xffff0000, v125
	v_and_b32_e32 v44, 0xffff0000, v44
	;; [unrolled: 1-line block ×3, first 2 shown]
	v_dual_add_f32 v51, v51, v56 :: v_dual_and_b32 v34, 0xffff0000, v34
	v_and_b32_e32 v58, 0xffff0000, v126
	s_delay_alu instid0(VALU_DEP_4) | instskip(NEXT) | instid1(VALU_DEP_3)
	v_dual_add_f32 v44, v44, v45 :: v_dual_and_b32 v7, 0xffff0000, v7
	v_dual_add_f32 v51, v51, v53 :: v_dual_and_b32 v8, 0xffff0000, v8
	v_and_b32_e32 v64, 0xffff0000, v118
	v_and_b32_e32 v2, 0xffff0000, v2
	;; [unrolled: 1-line block ×3, first 2 shown]
	s_delay_alu instid0(VALU_DEP_4) | instskip(SKIP_4) | instid1(VALU_DEP_4)
	v_dual_add_f32 v15, v15, v51 :: v_dual_and_b32 v38, 0xffff0000, v38
	v_and_b32_e32 v56, 0xffff0000, v124
	v_and_b32_e32 v36, 0xffff0000, v36
	;; [unrolled: 1-line block ×3, first 2 shown]
	v_dual_add_f32 v45, v46, v55 :: v_dual_and_b32 v4, 0xffff0000, v4
	v_dual_add_f32 v54, v56, v54 :: v_dual_and_b32 v57, 0xffff0000, v127
	v_and_b32_e32 v59, 0xffff0000, v128
	v_and_b32_e32 v46, 0xffff0000, v63
	s_delay_alu instid0(VALU_DEP_4) | instskip(NEXT) | instid1(VALU_DEP_4)
	v_dual_add_f32 v44, v44, v45 :: v_dual_and_b32 v51, 0xffff0000, v99
	v_dual_add_f32 v56, v58, v57 :: v_dual_add_f32 v7, v7, v8
	v_and_b32_e32 v35, 0xffff0000, v35
	v_and_b32_e32 v1, 0xffff0000, v1
	s_delay_alu instid0(VALU_DEP_3) | instskip(SKIP_1) | instid1(VALU_DEP_4)
	v_dual_add_f32 v54, v54, v56 :: v_dual_and_b32 v55, 0xffff0000, v77
	v_and_b32_e32 v57, 0xffff0000, v119
	v_add_f32_e32 v8, v34, v35
	s_delay_alu instid0(VALU_DEP_4) | instskip(SKIP_1) | instid1(VALU_DEP_4)
	v_dual_add_f32 v1, v1, v47 :: v_dual_and_b32 v34, 0xffff0000, v49
	v_and_b32_e32 v39, 0xffff0000, v39
	v_dual_add_f32 v57, v64, v57 :: v_dual_and_b32 v64, 0xffff0000, v103
	s_delay_alu instid0(VALU_DEP_4) | instskip(SKIP_1) | instid1(VALU_DEP_2)
	v_dual_add_f32 v7, v7, v8 :: v_dual_and_b32 v58, 0xffff0000, v117
	v_dual_add_f32 v8, v36, v38 :: v_dual_and_b32 v3, 0xffff0000, v3
	v_add_f32_e32 v58, v62, v58
	v_and_b32_e32 v60, 0xffff0000, v130
	s_delay_alu instid0(VALU_DEP_3) | instskip(NEXT) | instid1(VALU_DEP_3)
	v_dual_add_f32 v7, v7, v8 :: v_dual_and_b32 v62, 0xffff0000, v105
	v_dual_add_f32 v8, v39, v40 :: v_dual_add_f32 v57, v58, v57
	v_and_b32_e32 v52, 0xffff0000, v129
	s_delay_alu instid0(VALU_DEP_3) | instskip(SKIP_1) | instid1(VALU_DEP_3)
	v_dual_add_f32 v62, v66, v62 :: v_dual_and_b32 v61, 0xffff0000, v131
	v_and_b32_e32 v56, 0xffff0000, v121
	v_add_f32_e32 v52, v59, v52
	v_and_b32_e32 v59, 0xffff0000, v120
	s_delay_alu instid0(VALU_DEP_2) | instskip(SKIP_1) | instid1(VALU_DEP_3)
	v_add_f32_e32 v52, v54, v52
	v_add_f32_e32 v54, v60, v61
	v_dual_add_f32 v56, v59, v56 :: v_dual_and_b32 v59, 0xffff0000, v110
	v_and_b32_e32 v60, 0xffff0000, v122
	s_delay_alu instid0(VALU_DEP_3) | instskip(NEXT) | instid1(VALU_DEP_3)
	v_dual_add_f32 v52, v52, v54 :: v_dual_and_b32 v61, 0xffff0000, v115
	v_add_f32_e32 v53, v57, v56
	v_and_b32_e32 v57, 0xffff0000, v112
	v_and_b32_e32 v58, 0xffff0000, v123
	s_delay_alu instid0(VALU_DEP_4) | instskip(SKIP_1) | instid1(VALU_DEP_3)
	v_add_f32_e32 v16, v16, v52
	v_and_b32_e32 v52, 0xffff0000, v97
	v_add_f32_e32 v54, v60, v58
	s_delay_alu instid0(VALU_DEP_1) | instskip(NEXT) | instid1(VALU_DEP_1)
	v_dual_add_f32 v53, v53, v54 :: v_dual_and_b32 v58, 0xffff0000, v111
	v_add_f32_e32 v6, v59, v58
	s_delay_alu instid0(VALU_DEP_2) | instskip(NEXT) | instid1(VALU_DEP_2)
	v_dual_add_f32 v17, v17, v53 :: v_dual_and_b32 v58, 0xffff0000, v107
	v_dual_add_f32 v5, v5, v6 :: v_dual_and_b32 v56, 0xffff0000, v113
	s_delay_alu instid0(VALU_DEP_1) | instskip(SKIP_1) | instid1(VALU_DEP_2)
	v_dual_add_f32 v6, v57, v56 :: v_dual_and_b32 v53, 0xffff0000, v95
	v_dual_add_f32 v59, v65, v64 :: v_dual_and_b32 v64, 0xffff0000, v106
	;; [unrolled: 1-line block ×3, first 2 shown]
	s_delay_alu instid0(VALU_DEP_2) | instskip(NEXT) | instid1(VALU_DEP_3)
	v_add_f32_e32 v57, v59, v62
	v_dual_add_f32 v58, v64, v58 :: v_dual_and_b32 v59, 0xffff0000, v109
	s_delay_alu instid0(VALU_DEP_1) | instskip(NEXT) | instid1(VALU_DEP_2)
	v_add_f32_e32 v54, v57, v58
	v_dual_add_f32 v56, v56, v59 :: v_dual_and_b32 v57, 0xffff0000, v98
	v_and_b32_e32 v60, 0xffff0000, v114
	v_and_b32_e32 v59, 0xffff0000, v101
	s_delay_alu instid0(VALU_DEP_3) | instskip(NEXT) | instid1(VALU_DEP_3)
	v_dual_add_f32 v51, v57, v51 :: v_dual_and_b32 v58, 0xffff0000, v100
	v_add_f32_e32 v6, v60, v61
	v_and_b32_e32 v60, 0xffff0000, v86
	v_and_b32_e32 v61, 0xffff0000, v88
	;; [unrolled: 1-line block ×3, first 2 shown]
	s_delay_alu instid0(VALU_DEP_4) | instskip(SKIP_2) | instid1(VALU_DEP_3)
	v_dual_add_f32 v5, v5, v6 :: v_dual_add_f32 v6, v54, v56
	v_and_b32_e32 v54, 0xffff0000, v94
	v_and_b32_e32 v56, 0xffff0000, v96
	v_dual_add_f32 v18, v18, v5 :: v_dual_add_f32 v19, v19, v6
	s_delay_alu instid0(VALU_DEP_2) | instskip(SKIP_2) | instid1(VALU_DEP_3)
	v_dual_add_f32 v53, v54, v53 :: v_dual_add_f32 v52, v56, v52
	v_and_b32_e32 v54, 0xffff0000, v89
	v_and_b32_e32 v56, 0xffff0000, v87
	v_dual_add_f32 v52, v53, v52 :: v_dual_and_b32 v53, 0xffff0000, v91
	s_delay_alu instid0(VALU_DEP_2) | instskip(NEXT) | instid1(VALU_DEP_2)
	v_add_f32_e32 v56, v60, v56
	v_add_f32_e32 v51, v52, v51
	;; [unrolled: 1-line block ×4, first 2 shown]
	v_dual_add_f32 v53, v57, v53 :: v_dual_and_b32 v58, 0xffff0000, v92
	v_and_b32_e32 v57, 0xffff0000, v72
	s_delay_alu instid0(VALU_DEP_3) | instskip(SKIP_2) | instid1(VALU_DEP_3)
	v_dual_add_f32 v5, v51, v52 :: v_dual_add_f32 v54, v56, v54
	v_and_b32_e32 v56, 0xffff0000, v93
	v_and_b32_e32 v52, 0xffff0000, v81
	v_add_f32_e32 v20, v20, v5
	s_delay_alu instid0(VALU_DEP_4) | instskip(NEXT) | instid1(VALU_DEP_4)
	v_add_f32_e32 v6, v54, v53
	v_add_f32_e32 v51, v58, v56
	v_and_b32_e32 v53, 0xffff0000, v79
	v_and_b32_e32 v54, 0xffff0000, v78
	v_and_b32_e32 v56, 0xffff0000, v80
	s_delay_alu instid0(VALU_DEP_4) | instskip(NEXT) | instid1(VALU_DEP_3)
	v_dual_add_f32 v5, v6, v51 :: v_dual_and_b32 v58, 0xffff0000, v74
	v_dual_add_f32 v51, v54, v53 :: v_dual_and_b32 v6, 0xffff0000, v83
	s_delay_alu instid0(VALU_DEP_3) | instskip(NEXT) | instid1(VALU_DEP_3)
	v_dual_add_f32 v52, v56, v52 :: v_dual_and_b32 v53, 0xffff0000, v82
	v_add_f32_e32 v21, v21, v5
	v_and_b32_e32 v5, 0xffff0000, v84
	v_and_b32_e32 v54, 0xffff0000, v85
	s_delay_alu instid0(VALU_DEP_4) | instskip(SKIP_2) | instid1(VALU_DEP_4)
	v_dual_add_f32 v6, v53, v6 :: v_dual_add_f32 v51, v51, v52
	v_and_b32_e32 v52, 0xffff0000, v73
	v_and_b32_e32 v53, 0xffff0000, v71
	v_add_f32_e32 v5, v5, v54
	s_delay_alu instid0(VALU_DEP_4) | instskip(SKIP_2) | instid1(VALU_DEP_2)
	v_add_f32_e32 v6, v51, v6
	v_and_b32_e32 v56, 0xffff0000, v70
	v_dual_add_f32 v52, v57, v52 :: v_dual_and_b32 v51, 0xffff0000, v75
	v_add_f32_e32 v53, v56, v53
	s_delay_alu instid0(VALU_DEP_1) | instskip(SKIP_1) | instid1(VALU_DEP_1)
	v_dual_add_f32 v51, v58, v51 :: v_dual_add_f32 v52, v53, v52
	v_and_b32_e32 v53, 0xffff0000, v67
	v_dual_add_f32 v45, v46, v53 :: v_dual_add_f32 v46, v52, v51
	v_and_b32_e32 v52, 0xffff0000, v68
	v_and_b32_e32 v53, 0xffff0000, v69
	s_delay_alu instid0(VALU_DEP_3) | instskip(NEXT) | instid1(VALU_DEP_1)
	v_dual_add_f32 v44, v44, v45 :: v_dual_and_b32 v45, 0xffff0000, v48
	v_add_f32_e32 v2, v2, v45
	s_delay_alu instid0(VALU_DEP_1) | instskip(SKIP_2) | instid1(VALU_DEP_2)
	v_add_f32_e32 v1, v1, v2
	v_add_f32_e32 v2, v3, v34
	v_dual_add_f32 v34, v52, v53 :: v_dual_and_b32 v3, 0xffff0000, v50
	v_dual_add_f32 v1, v1, v2 :: v_dual_and_b32 v56, 0xffff0000, v76
	s_delay_alu instid0(VALU_DEP_2) | instskip(NEXT) | instid1(VALU_DEP_3)
	v_dual_add_f32 v2, v4, v3 :: v_dual_add_f32 v3, v6, v5
	v_add_f32_e32 v5, v44, v34
	s_delay_alu instid0(VALU_DEP_3) | instskip(NEXT) | instid1(VALU_DEP_3)
	v_dual_add_f32 v51, v56, v55 :: v_dual_add_f32 v6, v7, v8
	v_dual_add_f32 v1, v1, v2 :: v_dual_add_f32 v22, v22, v3
	s_delay_alu instid0(VALU_DEP_3) | instskip(NEXT) | instid1(VALU_DEP_3)
	v_add_f32_e32 v24, v24, v5
	v_dual_add_f32 v4, v46, v51 :: v_dual_add_f32 v25, v25, v6
	s_delay_alu instid0(VALU_DEP_1)
	v_dual_add_f32 v14, v14, v1 :: v_dual_add_f32 v23, v23, v4
.LBB182_37:                             ;   in Loop: Header=BB182_38 Depth=1
	s_or_b32 exec_lo, exec_lo, s13
	v_add_nc_u32_e32 v37, 4, v37
	v_add_co_u32 v9, s0, v9, 16
	s_delay_alu instid0(VALU_DEP_1) | instskip(NEXT) | instid1(VALU_DEP_3)
	v_add_co_ci_u32_e64 v10, s0, 0, v10, s0
	v_cmp_le_i32_e32 vcc_lo, s8, v37
	v_add_nc_u32_e32 v43, 0x80, v43
	v_add_nc_u32_e32 v27, 0x200, v27
	s_or_b32 s3, vcc_lo, s3
	s_delay_alu instid0(SALU_CYCLE_1)
	s_and_not1_b32 exec_lo, exec_lo, s3
	s_cbranch_execz .LBB182_479
.LBB182_38:                             ; =>This Inner Loop Header: Depth=1
	v_sub_nc_u32_e32 v1, 0, v43
	s_delay_alu instid0(VALU_DEP_1) | instskip(NEXT) | instid1(VALU_DEP_1)
	v_max_i32_e32 v1, v43, v1
	v_mul_hi_u32 v2, v1, s25
	s_delay_alu instid0(VALU_DEP_1) | instskip(NEXT) | instid1(VALU_DEP_1)
	v_mul_lo_u32 v3, v2, s21
	v_sub_nc_u32_e32 v1, v1, v3
	v_add_nc_u32_e32 v3, 1, v2
	s_delay_alu instid0(VALU_DEP_2) | instskip(SKIP_1) | instid1(VALU_DEP_2)
	v_subrev_nc_u32_e32 v4, s21, v1
	v_cmp_le_u32_e32 vcc_lo, s21, v1
	v_dual_cndmask_b32 v2, v2, v3 :: v_dual_cndmask_b32 v1, v1, v4
	v_ashrrev_i32_e32 v3, 31, v43
	s_delay_alu instid0(VALU_DEP_2) | instskip(NEXT) | instid1(VALU_DEP_3)
	v_add_nc_u32_e32 v4, 1, v2
	v_cmp_le_u32_e32 vcc_lo, s21, v1
	s_delay_alu instid0(VALU_DEP_3) | instskip(NEXT) | instid1(VALU_DEP_3)
	v_xor_b32_e32 v3, s11, v3
	v_cndmask_b32_e32 v1, v2, v4, vcc_lo
	s_delay_alu instid0(VALU_DEP_1) | instskip(NEXT) | instid1(VALU_DEP_1)
	v_xor_b32_e32 v1, v1, v3
	v_sub_nc_u32_e32 v1, v1, v3
	s_delay_alu instid0(VALU_DEP_1) | instskip(SKIP_1) | instid1(VALU_DEP_2)
	v_add_nc_u32_e32 v2, s34, v1
	v_cmp_lt_i32_e64 s0, s2, v1
	v_sub_nc_u32_e32 v3, 0, v2
	s_delay_alu instid0(VALU_DEP_1) | instskip(NEXT) | instid1(VALU_DEP_1)
	v_max_i32_e32 v3, v2, v3
	v_mul_hi_u32 v4, v3, v33
	s_delay_alu instid0(VALU_DEP_1) | instskip(NEXT) | instid1(VALU_DEP_1)
	v_mul_lo_u32 v4, v4, s9
	v_sub_nc_u32_e32 v3, v3, v4
	s_delay_alu instid0(VALU_DEP_1) | instskip(SKIP_1) | instid1(VALU_DEP_2)
	v_subrev_nc_u32_e32 v4, s9, v3
	v_cmp_le_u32_e32 vcc_lo, s9, v3
	v_cndmask_b32_e32 v3, v3, v4, vcc_lo
	v_ashrrev_i32_e32 v2, 31, v2
	s_delay_alu instid0(VALU_DEP_2) | instskip(SKIP_1) | instid1(VALU_DEP_2)
	v_subrev_nc_u32_e32 v4, s9, v3
	v_cmp_le_u32_e32 vcc_lo, s9, v3
	v_cndmask_b32_e32 v3, v3, v4, vcc_lo
	s_delay_alu instid0(VALU_DEP_1) | instskip(NEXT) | instid1(VALU_DEP_1)
	v_xor_b32_e32 v3, v3, v2
	v_sub_nc_u32_e32 v2, v3, v2
	s_delay_alu instid0(VALU_DEP_1) | instskip(SKIP_1) | instid1(SALU_CYCLE_1)
	v_cmp_eq_u32_e32 vcc_lo, 0, v2
	s_or_b32 s0, vcc_lo, s0
	s_and_saveexec_b32 s13, s0
	s_cbranch_execz .LBB182_37
; %bb.39:                               ;   in Loop: Header=BB182_38 Depth=1
	global_load_b32 v46, v[9:10], off
	ds_load_2addr_b64 v[5:8], v27 offset1:1
	ds_load_2addr_b64 v[1:4], v27 offset0:2 offset1:3
	s_mov_b32 s0, exec_lo
                                        ; implicit-def: $vgpr45
	s_waitcnt lgkmcnt(1)
	v_and_b32_e32 v34, 0x7f800000, v5
	s_delay_alu instid0(VALU_DEP_1)
	v_cmpx_ne_u32_e32 0x7f800000, v34
	s_xor_b32 s0, exec_lo, s0
; %bb.40:                               ;   in Loop: Header=BB182_38 Depth=1
	v_bfe_u32 v34, v5, 16, 1
	s_delay_alu instid0(VALU_DEP_1)
	v_add3_u32 v45, v5, v34, 0x7fff
; %bb.41:                               ;   in Loop: Header=BB182_38 Depth=1
	s_and_not1_saveexec_b32 s0, s0
; %bb.42:                               ;   in Loop: Header=BB182_38 Depth=1
	v_and_b32_e32 v34, 0xffff, v5
	v_or_b32_e32 v35, 0x10000, v5
	s_delay_alu instid0(VALU_DEP_2) | instskip(NEXT) | instid1(VALU_DEP_2)
	v_cmp_eq_u32_e32 vcc_lo, 0, v34
	v_cndmask_b32_e32 v45, v35, v5, vcc_lo
; %bb.43:                               ;   in Loop: Header=BB182_38 Depth=1
	s_or_b32 exec_lo, exec_lo, s0
	v_and_b32_e32 v5, 0x7f800000, v6
	s_mov_b32 s0, exec_lo
                                        ; implicit-def: $vgpr44
	s_delay_alu instid0(VALU_DEP_1)
	v_cmpx_ne_u32_e32 0x7f800000, v5
	s_xor_b32 s0, exec_lo, s0
; %bb.44:                               ;   in Loop: Header=BB182_38 Depth=1
	v_bfe_u32 v5, v6, 16, 1
	s_delay_alu instid0(VALU_DEP_1)
	v_add3_u32 v44, v6, v5, 0x7fff
; %bb.45:                               ;   in Loop: Header=BB182_38 Depth=1
	s_and_not1_saveexec_b32 s0, s0
; %bb.46:                               ;   in Loop: Header=BB182_38 Depth=1
	v_and_b32_e32 v5, 0xffff, v6
	v_or_b32_e32 v34, 0x10000, v6
	s_delay_alu instid0(VALU_DEP_2) | instskip(NEXT) | instid1(VALU_DEP_2)
	v_cmp_eq_u32_e32 vcc_lo, 0, v5
	v_cndmask_b32_e32 v44, v34, v6, vcc_lo
; %bb.47:                               ;   in Loop: Header=BB182_38 Depth=1
	s_or_b32 exec_lo, exec_lo, s0
	v_and_b32_e32 v5, 0x7f800000, v7
	s_mov_b32 s0, exec_lo
                                        ; implicit-def: $vgpr34
	s_delay_alu instid0(VALU_DEP_1)
	v_cmpx_ne_u32_e32 0x7f800000, v5
	s_xor_b32 s0, exec_lo, s0
; %bb.48:                               ;   in Loop: Header=BB182_38 Depth=1
	v_bfe_u32 v5, v7, 16, 1
	s_delay_alu instid0(VALU_DEP_1)
	v_add3_u32 v34, v7, v5, 0x7fff
; %bb.49:                               ;   in Loop: Header=BB182_38 Depth=1
	s_and_not1_saveexec_b32 s0, s0
; %bb.50:                               ;   in Loop: Header=BB182_38 Depth=1
	v_and_b32_e32 v5, 0xffff, v7
	v_or_b32_e32 v6, 0x10000, v7
	s_delay_alu instid0(VALU_DEP_2) | instskip(NEXT) | instid1(VALU_DEP_2)
	v_cmp_eq_u32_e32 vcc_lo, 0, v5
	v_cndmask_b32_e32 v34, v6, v7, vcc_lo
; %bb.51:                               ;   in Loop: Header=BB182_38 Depth=1
	s_or_b32 exec_lo, exec_lo, s0
	v_and_b32_e32 v5, 0x7f800000, v8
	s_mov_b32 s0, exec_lo
                                        ; implicit-def: $vgpr35
	s_delay_alu instid0(VALU_DEP_1)
	v_cmpx_ne_u32_e32 0x7f800000, v5
	s_xor_b32 s0, exec_lo, s0
; %bb.52:                               ;   in Loop: Header=BB182_38 Depth=1
	v_bfe_u32 v5, v8, 16, 1
	s_delay_alu instid0(VALU_DEP_1)
	v_add3_u32 v35, v8, v5, 0x7fff
                                        ; implicit-def: $vgpr5_vgpr6_vgpr7_vgpr8
; %bb.53:                               ;   in Loop: Header=BB182_38 Depth=1
	s_and_not1_saveexec_b32 s0, s0
; %bb.54:                               ;   in Loop: Header=BB182_38 Depth=1
	v_and_b32_e32 v5, 0xffff, v8
	v_or_b32_e32 v6, 0x10000, v8
	s_delay_alu instid0(VALU_DEP_2) | instskip(NEXT) | instid1(VALU_DEP_2)
	v_cmp_eq_u32_e32 vcc_lo, 0, v5
	v_cndmask_b32_e32 v35, v6, v8, vcc_lo
; %bb.55:                               ;   in Loop: Header=BB182_38 Depth=1
	s_or_b32 exec_lo, exec_lo, s0
	s_waitcnt lgkmcnt(0)
	v_and_b32_e32 v5, 0x7f800000, v1
	s_mov_b32 s0, exec_lo
                                        ; implicit-def: $vgpr36
	s_delay_alu instid0(VALU_DEP_1)
	v_cmpx_ne_u32_e32 0x7f800000, v5
	s_xor_b32 s0, exec_lo, s0
; %bb.56:                               ;   in Loop: Header=BB182_38 Depth=1
	v_bfe_u32 v5, v1, 16, 1
	s_delay_alu instid0(VALU_DEP_1)
	v_add3_u32 v36, v1, v5, 0x7fff
; %bb.57:                               ;   in Loop: Header=BB182_38 Depth=1
	s_and_not1_saveexec_b32 s0, s0
; %bb.58:                               ;   in Loop: Header=BB182_38 Depth=1
	v_and_b32_e32 v5, 0xffff, v1
	v_or_b32_e32 v6, 0x10000, v1
	s_delay_alu instid0(VALU_DEP_2) | instskip(NEXT) | instid1(VALU_DEP_2)
	v_cmp_eq_u32_e32 vcc_lo, 0, v5
	v_cndmask_b32_e32 v36, v6, v1, vcc_lo
; %bb.59:                               ;   in Loop: Header=BB182_38 Depth=1
	s_or_b32 exec_lo, exec_lo, s0
	v_and_b32_e32 v1, 0x7f800000, v2
	s_mov_b32 s0, exec_lo
                                        ; implicit-def: $vgpr38
	s_delay_alu instid0(VALU_DEP_1)
	v_cmpx_ne_u32_e32 0x7f800000, v1
	s_xor_b32 s0, exec_lo, s0
; %bb.60:                               ;   in Loop: Header=BB182_38 Depth=1
	v_bfe_u32 v1, v2, 16, 1
	s_delay_alu instid0(VALU_DEP_1)
	v_add3_u32 v38, v2, v1, 0x7fff
; %bb.61:                               ;   in Loop: Header=BB182_38 Depth=1
	s_and_not1_saveexec_b32 s0, s0
; %bb.62:                               ;   in Loop: Header=BB182_38 Depth=1
	v_and_b32_e32 v1, 0xffff, v2
	v_or_b32_e32 v5, 0x10000, v2
	s_delay_alu instid0(VALU_DEP_2) | instskip(NEXT) | instid1(VALU_DEP_2)
	v_cmp_eq_u32_e32 vcc_lo, 0, v1
	v_cndmask_b32_e32 v38, v5, v2, vcc_lo
; %bb.63:                               ;   in Loop: Header=BB182_38 Depth=1
	s_or_b32 exec_lo, exec_lo, s0
	v_and_b32_e32 v1, 0x7f800000, v3
	s_mov_b32 s0, exec_lo
                                        ; implicit-def: $vgpr39
	s_delay_alu instid0(VALU_DEP_1)
	v_cmpx_ne_u32_e32 0x7f800000, v1
	s_xor_b32 s0, exec_lo, s0
; %bb.64:                               ;   in Loop: Header=BB182_38 Depth=1
	v_bfe_u32 v1, v3, 16, 1
	s_delay_alu instid0(VALU_DEP_1)
	v_add3_u32 v39, v3, v1, 0x7fff
; %bb.65:                               ;   in Loop: Header=BB182_38 Depth=1
	s_and_not1_saveexec_b32 s0, s0
; %bb.66:                               ;   in Loop: Header=BB182_38 Depth=1
	v_and_b32_e32 v1, 0xffff, v3
	v_or_b32_e32 v2, 0x10000, v3
	s_delay_alu instid0(VALU_DEP_2) | instskip(NEXT) | instid1(VALU_DEP_2)
	v_cmp_eq_u32_e32 vcc_lo, 0, v1
	v_cndmask_b32_e32 v39, v2, v3, vcc_lo
; %bb.67:                               ;   in Loop: Header=BB182_38 Depth=1
	s_or_b32 exec_lo, exec_lo, s0
	v_and_b32_e32 v1, 0x7f800000, v4
	s_mov_b32 s0, exec_lo
                                        ; implicit-def: $vgpr40
	s_delay_alu instid0(VALU_DEP_1)
	v_cmpx_ne_u32_e32 0x7f800000, v1
	s_xor_b32 s0, exec_lo, s0
; %bb.68:                               ;   in Loop: Header=BB182_38 Depth=1
	v_bfe_u32 v1, v4, 16, 1
	s_delay_alu instid0(VALU_DEP_1)
	v_add3_u32 v40, v4, v1, 0x7fff
                                        ; implicit-def: $vgpr1_vgpr2_vgpr3_vgpr4
; %bb.69:                               ;   in Loop: Header=BB182_38 Depth=1
	s_and_not1_saveexec_b32 s0, s0
; %bb.70:                               ;   in Loop: Header=BB182_38 Depth=1
	v_and_b32_e32 v1, 0xffff, v4
	v_or_b32_e32 v2, 0x10000, v4
	s_delay_alu instid0(VALU_DEP_2) | instskip(NEXT) | instid1(VALU_DEP_2)
	v_cmp_eq_u32_e32 vcc_lo, 0, v1
	v_cndmask_b32_e32 v40, v2, v4, vcc_lo
; %bb.71:                               ;   in Loop: Header=BB182_38 Depth=1
	s_or_b32 exec_lo, exec_lo, s0
	s_waitcnt vmcnt(0)
	v_mad_i64_i32 v[1:2], null, v46, s5, 0
	v_add_nc_u32_e32 v47, v26, v43
	s_delay_alu instid0(VALU_DEP_1) | instskip(NEXT) | instid1(VALU_DEP_3)
	v_add_nc_u32_e32 v54, 1, v47
	v_lshlrev_b64 v[1:2], 1, v[1:2]
	v_add_nc_u32_e32 v53, 2, v47
	v_add_nc_u32_e32 v51, 3, v47
	;; [unrolled: 1-line block ×5, first 2 shown]
	v_add_co_u32 v56, vcc_lo, s6, v1
	v_add_co_ci_u32_e32 v57, vcc_lo, s7, v2, vcc_lo
	v_add_nc_u32_e32 v52, 7, v47
	s_delay_alu instid0(VALU_DEP_3) | instskip(NEXT) | instid1(VALU_DEP_3)
	v_add_co_u32 v5, vcc_lo, v56, v28
	v_add_co_ci_u32_e32 v6, vcc_lo, 0, v57, vcc_lo
	v_cmp_eq_u32_e32 vcc_lo, s10, v37
	global_load_b128 v[1:4], v[5:6], off
	s_waitcnt vmcnt(0)
	v_lshrrev_b32_e32 v8, 16, v1
	v_lshrrev_b32_e32 v62, 16, v2
	;; [unrolled: 1-line block ×4, first 2 shown]
	s_and_saveexec_b32 s16, vcc_lo
	s_cbranch_execz .LBB182_73
; %bb.72:                               ;   in Loop: Header=BB182_38 Depth=1
	v_cmp_gt_i32_e64 s0, s33, v47
	s_delay_alu instid0(VALU_DEP_1) | instskip(SKIP_1) | instid1(VALU_DEP_1)
	v_cndmask_b32_e64 v1, 0, v1, s0
	v_cmp_gt_i32_e64 s0, s33, v54
	v_cndmask_b32_e64 v8, 0, v8, s0
	v_cmp_gt_i32_e64 s0, s33, v53
	s_delay_alu instid0(VALU_DEP_1) | instskip(SKIP_1) | instid1(VALU_DEP_1)
	v_cndmask_b32_e64 v2, 0, v2, s0
	v_cmp_gt_i32_e64 s0, s33, v51
	v_cndmask_b32_e64 v62, 0, v62, s0
	;; [unrolled: 5-line block ×4, first 2 shown]
.LBB182_73:                             ;   in Loop: Header=BB182_38 Depth=1
	s_or_b32 exec_lo, exec_lo, s16
	v_and_b32_e32 v58, 0xffff0000, v45
	v_lshlrev_b32_e32 v1, 16, v1
	s_delay_alu instid0(VALU_DEP_1) | instskip(NEXT) | instid1(VALU_DEP_1)
	v_mul_f32_e32 v1, v58, v1
	v_and_b32_e32 v7, 0x7f800000, v1
	s_delay_alu instid0(VALU_DEP_1) | instskip(NEXT) | instid1(VALU_DEP_1)
	v_cmp_ne_u32_e64 s0, 0x7f800000, v7
                                        ; implicit-def: $vgpr7
	s_and_saveexec_b32 s16, s0
	s_delay_alu instid0(SALU_CYCLE_1)
	s_xor_b32 s0, exec_lo, s16
; %bb.74:                               ;   in Loop: Header=BB182_38 Depth=1
	v_bfe_u32 v7, v1, 16, 1
	s_delay_alu instid0(VALU_DEP_1)
	v_add3_u32 v7, v1, v7, 0x7fff
                                        ; implicit-def: $vgpr1
; %bb.75:                               ;   in Loop: Header=BB182_38 Depth=1
	s_and_not1_saveexec_b32 s16, s0
; %bb.76:                               ;   in Loop: Header=BB182_38 Depth=1
	v_and_b32_e32 v7, 0xffff, v1
	v_or_b32_e32 v45, 0x10000, v1
	s_delay_alu instid0(VALU_DEP_2) | instskip(NEXT) | instid1(VALU_DEP_1)
	v_cmp_eq_u32_e64 s0, 0, v7
	v_cndmask_b32_e64 v7, v45, v1, s0
; %bb.77:                               ;   in Loop: Header=BB182_38 Depth=1
	s_or_b32 exec_lo, exec_lo, s16
	v_and_b32_e32 v59, 0xffff0000, v44
	v_lshlrev_b32_e32 v1, 16, v8
	s_delay_alu instid0(VALU_DEP_1) | instskip(NEXT) | instid1(VALU_DEP_1)
	v_mul_f32_e32 v1, v59, v1
	v_and_b32_e32 v8, 0x7f800000, v1
	s_delay_alu instid0(VALU_DEP_1) | instskip(NEXT) | instid1(VALU_DEP_1)
	v_cmp_ne_u32_e64 s0, 0x7f800000, v8
                                        ; implicit-def: $vgpr8
	s_and_saveexec_b32 s16, s0
	s_delay_alu instid0(SALU_CYCLE_1)
	s_xor_b32 s0, exec_lo, s16
; %bb.78:                               ;   in Loop: Header=BB182_38 Depth=1
	v_bfe_u32 v8, v1, 16, 1
	s_delay_alu instid0(VALU_DEP_1)
	v_add3_u32 v8, v1, v8, 0x7fff
                                        ; implicit-def: $vgpr1
; %bb.79:                               ;   in Loop: Header=BB182_38 Depth=1
	s_and_not1_saveexec_b32 s16, s0
; %bb.80:                               ;   in Loop: Header=BB182_38 Depth=1
	v_and_b32_e32 v8, 0xffff, v1
	v_or_b32_e32 v44, 0x10000, v1
	s_delay_alu instid0(VALU_DEP_2) | instskip(NEXT) | instid1(VALU_DEP_1)
	v_cmp_eq_u32_e64 s0, 0, v8
	v_cndmask_b32_e64 v8, v44, v1, s0
; %bb.81:                               ;   in Loop: Header=BB182_38 Depth=1
	s_or_b32 exec_lo, exec_lo, s16
	v_and_b32_e32 v60, 0xffff0000, v34
	v_lshlrev_b32_e32 v1, 16, v2
                                        ; implicit-def: $vgpr34
	s_delay_alu instid0(VALU_DEP_1) | instskip(NEXT) | instid1(VALU_DEP_1)
	v_mul_f32_e32 v1, v60, v1
	v_and_b32_e32 v2, 0x7f800000, v1
	s_delay_alu instid0(VALU_DEP_1) | instskip(NEXT) | instid1(VALU_DEP_1)
	v_cmp_ne_u32_e64 s0, 0x7f800000, v2
	s_and_saveexec_b32 s16, s0
	s_delay_alu instid0(SALU_CYCLE_1)
	s_xor_b32 s0, exec_lo, s16
; %bb.82:                               ;   in Loop: Header=BB182_38 Depth=1
	v_bfe_u32 v2, v1, 16, 1
	s_delay_alu instid0(VALU_DEP_1)
	v_add3_u32 v34, v1, v2, 0x7fff
                                        ; implicit-def: $vgpr1
; %bb.83:                               ;   in Loop: Header=BB182_38 Depth=1
	s_and_not1_saveexec_b32 s16, s0
; %bb.84:                               ;   in Loop: Header=BB182_38 Depth=1
	v_and_b32_e32 v2, 0xffff, v1
	v_or_b32_e32 v34, 0x10000, v1
	s_delay_alu instid0(VALU_DEP_2) | instskip(NEXT) | instid1(VALU_DEP_1)
	v_cmp_eq_u32_e64 s0, 0, v2
	v_cndmask_b32_e64 v34, v34, v1, s0
; %bb.85:                               ;   in Loop: Header=BB182_38 Depth=1
	s_or_b32 exec_lo, exec_lo, s16
	v_and_b32_e32 v61, 0xffff0000, v35
	v_lshlrev_b32_e32 v1, 16, v62
                                        ; implicit-def: $vgpr35
	s_delay_alu instid0(VALU_DEP_1) | instskip(NEXT) | instid1(VALU_DEP_1)
	v_mul_f32_e32 v1, v61, v1
	v_and_b32_e32 v2, 0x7f800000, v1
	s_delay_alu instid0(VALU_DEP_1) | instskip(NEXT) | instid1(VALU_DEP_1)
	v_cmp_ne_u32_e64 s0, 0x7f800000, v2
	s_and_saveexec_b32 s16, s0
	s_delay_alu instid0(SALU_CYCLE_1)
	s_xor_b32 s0, exec_lo, s16
; %bb.86:                               ;   in Loop: Header=BB182_38 Depth=1
	v_bfe_u32 v2, v1, 16, 1
	s_delay_alu instid0(VALU_DEP_1)
	v_add3_u32 v35, v1, v2, 0x7fff
                                        ; implicit-def: $vgpr1
; %bb.87:                               ;   in Loop: Header=BB182_38 Depth=1
	s_and_not1_saveexec_b32 s16, s0
; %bb.88:                               ;   in Loop: Header=BB182_38 Depth=1
	v_and_b32_e32 v2, 0xffff, v1
	v_or_b32_e32 v35, 0x10000, v1
	s_delay_alu instid0(VALU_DEP_2) | instskip(NEXT) | instid1(VALU_DEP_1)
	v_cmp_eq_u32_e64 s0, 0, v2
	v_cndmask_b32_e64 v35, v35, v1, s0
; %bb.89:                               ;   in Loop: Header=BB182_38 Depth=1
	s_or_b32 exec_lo, exec_lo, s16
	v_and_b32_e32 v62, 0xffff0000, v36
	v_lshlrev_b32_e32 v1, 16, v3
                                        ; implicit-def: $vgpr36
	s_delay_alu instid0(VALU_DEP_1) | instskip(NEXT) | instid1(VALU_DEP_1)
	v_mul_f32_e32 v1, v62, v1
	v_and_b32_e32 v2, 0x7f800000, v1
	s_delay_alu instid0(VALU_DEP_1) | instskip(NEXT) | instid1(VALU_DEP_1)
	v_cmp_ne_u32_e64 s0, 0x7f800000, v2
	s_and_saveexec_b32 s16, s0
	s_delay_alu instid0(SALU_CYCLE_1)
	s_xor_b32 s0, exec_lo, s16
; %bb.90:                               ;   in Loop: Header=BB182_38 Depth=1
	v_bfe_u32 v2, v1, 16, 1
	s_delay_alu instid0(VALU_DEP_1)
	v_add3_u32 v36, v1, v2, 0x7fff
                                        ; implicit-def: $vgpr1
; %bb.91:                               ;   in Loop: Header=BB182_38 Depth=1
	s_and_not1_saveexec_b32 s16, s0
; %bb.92:                               ;   in Loop: Header=BB182_38 Depth=1
	v_and_b32_e32 v2, 0xffff, v1
	v_or_b32_e32 v3, 0x10000, v1
	s_delay_alu instid0(VALU_DEP_2) | instskip(NEXT) | instid1(VALU_DEP_1)
	v_cmp_eq_u32_e64 s0, 0, v2
	v_cndmask_b32_e64 v36, v3, v1, s0
; %bb.93:                               ;   in Loop: Header=BB182_38 Depth=1
	s_or_b32 exec_lo, exec_lo, s16
	v_and_b32_e32 v64, 0xffff0000, v38
	v_lshlrev_b32_e32 v1, 16, v55
                                        ; implicit-def: $vgpr38
	s_delay_alu instid0(VALU_DEP_1) | instskip(NEXT) | instid1(VALU_DEP_1)
	v_mul_f32_e32 v1, v64, v1
	v_and_b32_e32 v2, 0x7f800000, v1
	s_delay_alu instid0(VALU_DEP_1) | instskip(NEXT) | instid1(VALU_DEP_1)
	v_cmp_ne_u32_e64 s0, 0x7f800000, v2
	s_and_saveexec_b32 s16, s0
	s_delay_alu instid0(SALU_CYCLE_1)
	s_xor_b32 s0, exec_lo, s16
; %bb.94:                               ;   in Loop: Header=BB182_38 Depth=1
	v_bfe_u32 v2, v1, 16, 1
	s_delay_alu instid0(VALU_DEP_1)
	v_add3_u32 v38, v1, v2, 0x7fff
                                        ; implicit-def: $vgpr1
; %bb.95:                               ;   in Loop: Header=BB182_38 Depth=1
	s_and_not1_saveexec_b32 s16, s0
; %bb.96:                               ;   in Loop: Header=BB182_38 Depth=1
	v_and_b32_e32 v2, 0xffff, v1
	v_or_b32_e32 v3, 0x10000, v1
	s_delay_alu instid0(VALU_DEP_2) | instskip(NEXT) | instid1(VALU_DEP_1)
	v_cmp_eq_u32_e64 s0, 0, v2
	v_cndmask_b32_e64 v38, v3, v1, s0
; %bb.97:                               ;   in Loop: Header=BB182_38 Depth=1
	s_or_b32 exec_lo, exec_lo, s16
	v_and_b32_e32 v65, 0xffff0000, v39
	v_lshlrev_b32_e32 v1, 16, v4
                                        ; implicit-def: $vgpr39
	s_delay_alu instid0(VALU_DEP_1) | instskip(NEXT) | instid1(VALU_DEP_1)
	v_mul_f32_e32 v1, v65, v1
	v_and_b32_e32 v2, 0x7f800000, v1
	s_delay_alu instid0(VALU_DEP_1) | instskip(NEXT) | instid1(VALU_DEP_1)
	v_cmp_ne_u32_e64 s0, 0x7f800000, v2
	s_and_saveexec_b32 s16, s0
	s_delay_alu instid0(SALU_CYCLE_1)
	s_xor_b32 s0, exec_lo, s16
; %bb.98:                               ;   in Loop: Header=BB182_38 Depth=1
	v_bfe_u32 v2, v1, 16, 1
	s_delay_alu instid0(VALU_DEP_1)
	v_add3_u32 v39, v1, v2, 0x7fff
                                        ; implicit-def: $vgpr1
; %bb.99:                               ;   in Loop: Header=BB182_38 Depth=1
	s_and_not1_saveexec_b32 s16, s0
; %bb.100:                              ;   in Loop: Header=BB182_38 Depth=1
	v_and_b32_e32 v2, 0xffff, v1
	v_or_b32_e32 v3, 0x10000, v1
	s_delay_alu instid0(VALU_DEP_2) | instskip(NEXT) | instid1(VALU_DEP_1)
	v_cmp_eq_u32_e64 s0, 0, v2
	v_cndmask_b32_e64 v39, v3, v1, s0
; %bb.101:                              ;   in Loop: Header=BB182_38 Depth=1
	s_or_b32 exec_lo, exec_lo, s16
	v_and_b32_e32 v66, 0xffff0000, v40
	v_lshlrev_b32_e32 v1, 16, v46
                                        ; implicit-def: $vgpr40
	s_delay_alu instid0(VALU_DEP_1) | instskip(NEXT) | instid1(VALU_DEP_1)
	v_mul_f32_e32 v1, v66, v1
	v_and_b32_e32 v2, 0x7f800000, v1
	s_delay_alu instid0(VALU_DEP_1) | instskip(NEXT) | instid1(VALU_DEP_1)
	v_cmp_ne_u32_e64 s0, 0x7f800000, v2
	s_and_saveexec_b32 s16, s0
	s_delay_alu instid0(SALU_CYCLE_1)
	s_xor_b32 s0, exec_lo, s16
; %bb.102:                              ;   in Loop: Header=BB182_38 Depth=1
	v_bfe_u32 v2, v1, 16, 1
	s_delay_alu instid0(VALU_DEP_1)
	v_add3_u32 v40, v1, v2, 0x7fff
                                        ; implicit-def: $vgpr1
; %bb.103:                              ;   in Loop: Header=BB182_38 Depth=1
	s_and_not1_saveexec_b32 s16, s0
; %bb.104:                              ;   in Loop: Header=BB182_38 Depth=1
	v_and_b32_e32 v2, 0xffff, v1
	v_or_b32_e32 v3, 0x10000, v1
	s_delay_alu instid0(VALU_DEP_2) | instskip(NEXT) | instid1(VALU_DEP_1)
	v_cmp_eq_u32_e64 s0, 0, v2
	v_cndmask_b32_e64 v40, v3, v1, s0
; %bb.105:                              ;   in Loop: Header=BB182_38 Depth=1
	s_or_b32 exec_lo, exec_lo, s16
	global_load_b128 v[1:4], v[5:6], off offset:512
	s_waitcnt vmcnt(0)
	v_lshrrev_b32_e32 v45, 16, v1
	v_lshrrev_b32_e32 v55, 16, v2
	;; [unrolled: 1-line block ×4, first 2 shown]
	s_and_saveexec_b32 s16, vcc_lo
	s_cbranch_execz .LBB182_107
; %bb.106:                              ;   in Loop: Header=BB182_38 Depth=1
	v_cmp_gt_i32_e64 s0, s33, v47
	s_delay_alu instid0(VALU_DEP_1) | instskip(SKIP_1) | instid1(VALU_DEP_1)
	v_cndmask_b32_e64 v1, 0, v1, s0
	v_cmp_gt_i32_e64 s0, s33, v54
	v_cndmask_b32_e64 v45, 0, v45, s0
	v_cmp_gt_i32_e64 s0, s33, v53
	s_delay_alu instid0(VALU_DEP_1) | instskip(SKIP_1) | instid1(VALU_DEP_1)
	v_cndmask_b32_e64 v2, 0, v2, s0
	v_cmp_gt_i32_e64 s0, s33, v51
	v_cndmask_b32_e64 v55, 0, v55, s0
	;; [unrolled: 5-line block ×4, first 2 shown]
.LBB182_107:                            ;   in Loop: Header=BB182_38 Depth=1
	s_or_b32 exec_lo, exec_lo, s16
	v_lshlrev_b32_e32 v1, 16, v1
	s_delay_alu instid0(VALU_DEP_1) | instskip(NEXT) | instid1(VALU_DEP_1)
	v_mul_f32_e32 v1, v58, v1
	v_and_b32_e32 v44, 0x7f800000, v1
	s_delay_alu instid0(VALU_DEP_1) | instskip(NEXT) | instid1(VALU_DEP_1)
	v_cmp_ne_u32_e64 s0, 0x7f800000, v44
                                        ; implicit-def: $vgpr44
	s_and_saveexec_b32 s16, s0
	s_delay_alu instid0(SALU_CYCLE_1)
	s_xor_b32 s0, exec_lo, s16
; %bb.108:                              ;   in Loop: Header=BB182_38 Depth=1
	v_bfe_u32 v44, v1, 16, 1
	s_delay_alu instid0(VALU_DEP_1)
	v_add3_u32 v44, v1, v44, 0x7fff
                                        ; implicit-def: $vgpr1
; %bb.109:                              ;   in Loop: Header=BB182_38 Depth=1
	s_and_not1_saveexec_b32 s16, s0
; %bb.110:                              ;   in Loop: Header=BB182_38 Depth=1
	v_and_b32_e32 v44, 0xffff, v1
	v_or_b32_e32 v46, 0x10000, v1
	s_delay_alu instid0(VALU_DEP_2) | instskip(NEXT) | instid1(VALU_DEP_1)
	v_cmp_eq_u32_e64 s0, 0, v44
	v_cndmask_b32_e64 v44, v46, v1, s0
; %bb.111:                              ;   in Loop: Header=BB182_38 Depth=1
	s_or_b32 exec_lo, exec_lo, s16
	v_lshlrev_b32_e32 v1, 16, v45
	s_delay_alu instid0(VALU_DEP_1) | instskip(NEXT) | instid1(VALU_DEP_1)
	v_mul_f32_e32 v1, v59, v1
	v_and_b32_e32 v45, 0x7f800000, v1
	s_delay_alu instid0(VALU_DEP_1) | instskip(NEXT) | instid1(VALU_DEP_1)
	v_cmp_ne_u32_e64 s0, 0x7f800000, v45
                                        ; implicit-def: $vgpr45
	s_and_saveexec_b32 s16, s0
	s_delay_alu instid0(SALU_CYCLE_1)
	s_xor_b32 s0, exec_lo, s16
; %bb.112:                              ;   in Loop: Header=BB182_38 Depth=1
	v_bfe_u32 v45, v1, 16, 1
	s_delay_alu instid0(VALU_DEP_1)
	v_add3_u32 v45, v1, v45, 0x7fff
                                        ; implicit-def: $vgpr1
; %bb.113:                              ;   in Loop: Header=BB182_38 Depth=1
	s_and_not1_saveexec_b32 s16, s0
; %bb.114:                              ;   in Loop: Header=BB182_38 Depth=1
	v_and_b32_e32 v45, 0xffff, v1
	v_or_b32_e32 v46, 0x10000, v1
	s_delay_alu instid0(VALU_DEP_2) | instskip(NEXT) | instid1(VALU_DEP_1)
	v_cmp_eq_u32_e64 s0, 0, v45
	v_cndmask_b32_e64 v45, v46, v1, s0
; %bb.115:                              ;   in Loop: Header=BB182_38 Depth=1
	s_or_b32 exec_lo, exec_lo, s16
	v_lshlrev_b32_e32 v1, 16, v2
                                        ; implicit-def: $vgpr46
	s_delay_alu instid0(VALU_DEP_1) | instskip(NEXT) | instid1(VALU_DEP_1)
	v_mul_f32_e32 v1, v60, v1
	v_and_b32_e32 v2, 0x7f800000, v1
	s_delay_alu instid0(VALU_DEP_1) | instskip(NEXT) | instid1(VALU_DEP_1)
	v_cmp_ne_u32_e64 s0, 0x7f800000, v2
	s_and_saveexec_b32 s16, s0
	s_delay_alu instid0(SALU_CYCLE_1)
	s_xor_b32 s0, exec_lo, s16
; %bb.116:                              ;   in Loop: Header=BB182_38 Depth=1
	v_bfe_u32 v2, v1, 16, 1
	s_delay_alu instid0(VALU_DEP_1)
	v_add3_u32 v46, v1, v2, 0x7fff
                                        ; implicit-def: $vgpr1
; %bb.117:                              ;   in Loop: Header=BB182_38 Depth=1
	s_and_not1_saveexec_b32 s16, s0
; %bb.118:                              ;   in Loop: Header=BB182_38 Depth=1
	v_and_b32_e32 v2, 0xffff, v1
	v_or_b32_e32 v46, 0x10000, v1
	s_delay_alu instid0(VALU_DEP_2) | instskip(NEXT) | instid1(VALU_DEP_1)
	v_cmp_eq_u32_e64 s0, 0, v2
	v_cndmask_b32_e64 v46, v46, v1, s0
; %bb.119:                              ;   in Loop: Header=BB182_38 Depth=1
	s_or_b32 exec_lo, exec_lo, s16
	v_lshlrev_b32_e32 v1, 16, v55
                                        ; implicit-def: $vgpr55
	s_delay_alu instid0(VALU_DEP_1) | instskip(NEXT) | instid1(VALU_DEP_1)
	v_mul_f32_e32 v1, v61, v1
	v_and_b32_e32 v2, 0x7f800000, v1
	s_delay_alu instid0(VALU_DEP_1) | instskip(NEXT) | instid1(VALU_DEP_1)
	v_cmp_ne_u32_e64 s0, 0x7f800000, v2
	s_and_saveexec_b32 s16, s0
	s_delay_alu instid0(SALU_CYCLE_1)
	s_xor_b32 s0, exec_lo, s16
; %bb.120:                              ;   in Loop: Header=BB182_38 Depth=1
	v_bfe_u32 v2, v1, 16, 1
	s_delay_alu instid0(VALU_DEP_1)
	v_add3_u32 v55, v1, v2, 0x7fff
                                        ; implicit-def: $vgpr1
; %bb.121:                              ;   in Loop: Header=BB182_38 Depth=1
	s_and_not1_saveexec_b32 s16, s0
; %bb.122:                              ;   in Loop: Header=BB182_38 Depth=1
	v_and_b32_e32 v2, 0xffff, v1
	v_or_b32_e32 v55, 0x10000, v1
	s_delay_alu instid0(VALU_DEP_2) | instskip(NEXT) | instid1(VALU_DEP_1)
	v_cmp_eq_u32_e64 s0, 0, v2
	v_cndmask_b32_e64 v55, v55, v1, s0
; %bb.123:                              ;   in Loop: Header=BB182_38 Depth=1
	s_or_b32 exec_lo, exec_lo, s16
	v_lshlrev_b32_e32 v1, 16, v3
                                        ; implicit-def: $vgpr63
	s_delay_alu instid0(VALU_DEP_1) | instskip(NEXT) | instid1(VALU_DEP_1)
	v_mul_f32_e32 v1, v62, v1
	v_and_b32_e32 v2, 0x7f800000, v1
	s_delay_alu instid0(VALU_DEP_1) | instskip(NEXT) | instid1(VALU_DEP_1)
	v_cmp_ne_u32_e64 s0, 0x7f800000, v2
	s_and_saveexec_b32 s16, s0
	s_delay_alu instid0(SALU_CYCLE_1)
	s_xor_b32 s0, exec_lo, s16
; %bb.124:                              ;   in Loop: Header=BB182_38 Depth=1
	v_bfe_u32 v2, v1, 16, 1
	s_delay_alu instid0(VALU_DEP_1)
	v_add3_u32 v63, v1, v2, 0x7fff
                                        ; implicit-def: $vgpr1
; %bb.125:                              ;   in Loop: Header=BB182_38 Depth=1
	s_and_not1_saveexec_b32 s16, s0
; %bb.126:                              ;   in Loop: Header=BB182_38 Depth=1
	v_and_b32_e32 v2, 0xffff, v1
	v_or_b32_e32 v3, 0x10000, v1
	s_delay_alu instid0(VALU_DEP_2) | instskip(NEXT) | instid1(VALU_DEP_1)
	v_cmp_eq_u32_e64 s0, 0, v2
	v_cndmask_b32_e64 v63, v3, v1, s0
; %bb.127:                              ;   in Loop: Header=BB182_38 Depth=1
	s_or_b32 exec_lo, exec_lo, s16
	v_lshlrev_b32_e32 v1, 16, v67
                                        ; implicit-def: $vgpr67
	s_delay_alu instid0(VALU_DEP_1) | instskip(NEXT) | instid1(VALU_DEP_1)
	v_mul_f32_e32 v1, v64, v1
	v_and_b32_e32 v2, 0x7f800000, v1
	s_delay_alu instid0(VALU_DEP_1) | instskip(NEXT) | instid1(VALU_DEP_1)
	v_cmp_ne_u32_e64 s0, 0x7f800000, v2
	s_and_saveexec_b32 s16, s0
	s_delay_alu instid0(SALU_CYCLE_1)
	s_xor_b32 s0, exec_lo, s16
; %bb.128:                              ;   in Loop: Header=BB182_38 Depth=1
	v_bfe_u32 v2, v1, 16, 1
	s_delay_alu instid0(VALU_DEP_1)
	v_add3_u32 v67, v1, v2, 0x7fff
                                        ; implicit-def: $vgpr1
; %bb.129:                              ;   in Loop: Header=BB182_38 Depth=1
	s_and_not1_saveexec_b32 s16, s0
; %bb.130:                              ;   in Loop: Header=BB182_38 Depth=1
	v_and_b32_e32 v2, 0xffff, v1
	v_or_b32_e32 v3, 0x10000, v1
	s_delay_alu instid0(VALU_DEP_2) | instskip(NEXT) | instid1(VALU_DEP_1)
	v_cmp_eq_u32_e64 s0, 0, v2
	v_cndmask_b32_e64 v67, v3, v1, s0
; %bb.131:                              ;   in Loop: Header=BB182_38 Depth=1
	s_or_b32 exec_lo, exec_lo, s16
	v_lshlrev_b32_e32 v1, 16, v4
                                        ; implicit-def: $vgpr68
	s_delay_alu instid0(VALU_DEP_1) | instskip(NEXT) | instid1(VALU_DEP_1)
	v_mul_f32_e32 v1, v65, v1
	v_and_b32_e32 v2, 0x7f800000, v1
	s_delay_alu instid0(VALU_DEP_1) | instskip(NEXT) | instid1(VALU_DEP_1)
	v_cmp_ne_u32_e64 s0, 0x7f800000, v2
	s_and_saveexec_b32 s16, s0
	s_delay_alu instid0(SALU_CYCLE_1)
	s_xor_b32 s0, exec_lo, s16
; %bb.132:                              ;   in Loop: Header=BB182_38 Depth=1
	v_bfe_u32 v2, v1, 16, 1
	s_delay_alu instid0(VALU_DEP_1)
	v_add3_u32 v68, v1, v2, 0x7fff
                                        ; implicit-def: $vgpr1
; %bb.133:                              ;   in Loop: Header=BB182_38 Depth=1
	s_and_not1_saveexec_b32 s16, s0
; %bb.134:                              ;   in Loop: Header=BB182_38 Depth=1
	v_and_b32_e32 v2, 0xffff, v1
	v_or_b32_e32 v3, 0x10000, v1
	s_delay_alu instid0(VALU_DEP_2) | instskip(NEXT) | instid1(VALU_DEP_1)
	v_cmp_eq_u32_e64 s0, 0, v2
	v_cndmask_b32_e64 v68, v3, v1, s0
; %bb.135:                              ;   in Loop: Header=BB182_38 Depth=1
	s_or_b32 exec_lo, exec_lo, s16
	v_lshlrev_b32_e32 v1, 16, v69
                                        ; implicit-def: $vgpr69
	s_delay_alu instid0(VALU_DEP_1) | instskip(NEXT) | instid1(VALU_DEP_1)
	v_mul_f32_e32 v1, v66, v1
	v_and_b32_e32 v2, 0x7f800000, v1
	s_delay_alu instid0(VALU_DEP_1) | instskip(NEXT) | instid1(VALU_DEP_1)
	v_cmp_ne_u32_e64 s0, 0x7f800000, v2
	s_and_saveexec_b32 s16, s0
	s_delay_alu instid0(SALU_CYCLE_1)
	s_xor_b32 s0, exec_lo, s16
; %bb.136:                              ;   in Loop: Header=BB182_38 Depth=1
	v_bfe_u32 v2, v1, 16, 1
	s_delay_alu instid0(VALU_DEP_1)
	v_add3_u32 v69, v1, v2, 0x7fff
                                        ; implicit-def: $vgpr1
; %bb.137:                              ;   in Loop: Header=BB182_38 Depth=1
	s_and_not1_saveexec_b32 s16, s0
; %bb.138:                              ;   in Loop: Header=BB182_38 Depth=1
	v_and_b32_e32 v2, 0xffff, v1
	v_or_b32_e32 v3, 0x10000, v1
	s_delay_alu instid0(VALU_DEP_2) | instskip(NEXT) | instid1(VALU_DEP_1)
	v_cmp_eq_u32_e64 s0, 0, v2
	v_cndmask_b32_e64 v69, v3, v1, s0
; %bb.139:                              ;   in Loop: Header=BB182_38 Depth=1
	s_or_b32 exec_lo, exec_lo, s16
	global_load_b128 v[1:4], v[5:6], off offset:1024
	s_waitcnt vmcnt(0)
	v_lshrrev_b32_e32 v71, 16, v1
	v_lshrrev_b32_e32 v73, 16, v2
	;; [unrolled: 1-line block ×4, first 2 shown]
	s_and_saveexec_b32 s16, vcc_lo
	s_cbranch_execz .LBB182_141
; %bb.140:                              ;   in Loop: Header=BB182_38 Depth=1
	v_cmp_gt_i32_e64 s0, s33, v47
	s_delay_alu instid0(VALU_DEP_1) | instskip(SKIP_1) | instid1(VALU_DEP_1)
	v_cndmask_b32_e64 v1, 0, v1, s0
	v_cmp_gt_i32_e64 s0, s33, v54
	v_cndmask_b32_e64 v71, 0, v71, s0
	v_cmp_gt_i32_e64 s0, s33, v53
	s_delay_alu instid0(VALU_DEP_1) | instskip(SKIP_1) | instid1(VALU_DEP_1)
	v_cndmask_b32_e64 v2, 0, v2, s0
	v_cmp_gt_i32_e64 s0, s33, v51
	v_cndmask_b32_e64 v73, 0, v73, s0
	;; [unrolled: 5-line block ×4, first 2 shown]
.LBB182_141:                            ;   in Loop: Header=BB182_38 Depth=1
	s_or_b32 exec_lo, exec_lo, s16
	v_lshlrev_b32_e32 v1, 16, v1
	s_delay_alu instid0(VALU_DEP_1) | instskip(NEXT) | instid1(VALU_DEP_1)
	v_mul_f32_e32 v1, v58, v1
	v_and_b32_e32 v70, 0x7f800000, v1
	s_delay_alu instid0(VALU_DEP_1) | instskip(NEXT) | instid1(VALU_DEP_1)
	v_cmp_ne_u32_e64 s0, 0x7f800000, v70
                                        ; implicit-def: $vgpr70
	s_and_saveexec_b32 s16, s0
	s_delay_alu instid0(SALU_CYCLE_1)
	s_xor_b32 s0, exec_lo, s16
; %bb.142:                              ;   in Loop: Header=BB182_38 Depth=1
	v_bfe_u32 v70, v1, 16, 1
	s_delay_alu instid0(VALU_DEP_1)
	v_add3_u32 v70, v1, v70, 0x7fff
                                        ; implicit-def: $vgpr1
; %bb.143:                              ;   in Loop: Header=BB182_38 Depth=1
	s_and_not1_saveexec_b32 s16, s0
; %bb.144:                              ;   in Loop: Header=BB182_38 Depth=1
	v_and_b32_e32 v70, 0xffff, v1
	v_or_b32_e32 v72, 0x10000, v1
	s_delay_alu instid0(VALU_DEP_2) | instskip(NEXT) | instid1(VALU_DEP_1)
	v_cmp_eq_u32_e64 s0, 0, v70
	v_cndmask_b32_e64 v70, v72, v1, s0
; %bb.145:                              ;   in Loop: Header=BB182_38 Depth=1
	s_or_b32 exec_lo, exec_lo, s16
	v_lshlrev_b32_e32 v1, 16, v71
	s_delay_alu instid0(VALU_DEP_1) | instskip(NEXT) | instid1(VALU_DEP_1)
	v_mul_f32_e32 v1, v59, v1
	v_and_b32_e32 v71, 0x7f800000, v1
	s_delay_alu instid0(VALU_DEP_1) | instskip(NEXT) | instid1(VALU_DEP_1)
	v_cmp_ne_u32_e64 s0, 0x7f800000, v71
                                        ; implicit-def: $vgpr71
	s_and_saveexec_b32 s16, s0
	s_delay_alu instid0(SALU_CYCLE_1)
	s_xor_b32 s0, exec_lo, s16
; %bb.146:                              ;   in Loop: Header=BB182_38 Depth=1
	v_bfe_u32 v71, v1, 16, 1
	s_delay_alu instid0(VALU_DEP_1)
	v_add3_u32 v71, v1, v71, 0x7fff
                                        ; implicit-def: $vgpr1
; %bb.147:                              ;   in Loop: Header=BB182_38 Depth=1
	s_and_not1_saveexec_b32 s16, s0
; %bb.148:                              ;   in Loop: Header=BB182_38 Depth=1
	v_and_b32_e32 v71, 0xffff, v1
	v_or_b32_e32 v72, 0x10000, v1
	s_delay_alu instid0(VALU_DEP_2) | instskip(NEXT) | instid1(VALU_DEP_1)
	v_cmp_eq_u32_e64 s0, 0, v71
	v_cndmask_b32_e64 v71, v72, v1, s0
; %bb.149:                              ;   in Loop: Header=BB182_38 Depth=1
	s_or_b32 exec_lo, exec_lo, s16
	v_lshlrev_b32_e32 v1, 16, v2
                                        ; implicit-def: $vgpr72
	s_delay_alu instid0(VALU_DEP_1) | instskip(NEXT) | instid1(VALU_DEP_1)
	v_mul_f32_e32 v1, v60, v1
	v_and_b32_e32 v2, 0x7f800000, v1
	s_delay_alu instid0(VALU_DEP_1) | instskip(NEXT) | instid1(VALU_DEP_1)
	v_cmp_ne_u32_e64 s0, 0x7f800000, v2
	s_and_saveexec_b32 s16, s0
	s_delay_alu instid0(SALU_CYCLE_1)
	s_xor_b32 s0, exec_lo, s16
; %bb.150:                              ;   in Loop: Header=BB182_38 Depth=1
	v_bfe_u32 v2, v1, 16, 1
	s_delay_alu instid0(VALU_DEP_1)
	v_add3_u32 v72, v1, v2, 0x7fff
                                        ; implicit-def: $vgpr1
; %bb.151:                              ;   in Loop: Header=BB182_38 Depth=1
	s_and_not1_saveexec_b32 s16, s0
; %bb.152:                              ;   in Loop: Header=BB182_38 Depth=1
	v_and_b32_e32 v2, 0xffff, v1
	v_or_b32_e32 v72, 0x10000, v1
	s_delay_alu instid0(VALU_DEP_2) | instskip(NEXT) | instid1(VALU_DEP_1)
	v_cmp_eq_u32_e64 s0, 0, v2
	v_cndmask_b32_e64 v72, v72, v1, s0
; %bb.153:                              ;   in Loop: Header=BB182_38 Depth=1
	s_or_b32 exec_lo, exec_lo, s16
	v_lshlrev_b32_e32 v1, 16, v73
                                        ; implicit-def: $vgpr73
	s_delay_alu instid0(VALU_DEP_1) | instskip(NEXT) | instid1(VALU_DEP_1)
	v_mul_f32_e32 v1, v61, v1
	v_and_b32_e32 v2, 0x7f800000, v1
	s_delay_alu instid0(VALU_DEP_1) | instskip(NEXT) | instid1(VALU_DEP_1)
	v_cmp_ne_u32_e64 s0, 0x7f800000, v2
	s_and_saveexec_b32 s16, s0
	s_delay_alu instid0(SALU_CYCLE_1)
	s_xor_b32 s0, exec_lo, s16
; %bb.154:                              ;   in Loop: Header=BB182_38 Depth=1
	v_bfe_u32 v2, v1, 16, 1
	s_delay_alu instid0(VALU_DEP_1)
	v_add3_u32 v73, v1, v2, 0x7fff
                                        ; implicit-def: $vgpr1
; %bb.155:                              ;   in Loop: Header=BB182_38 Depth=1
	s_and_not1_saveexec_b32 s16, s0
; %bb.156:                              ;   in Loop: Header=BB182_38 Depth=1
	v_and_b32_e32 v2, 0xffff, v1
	v_or_b32_e32 v73, 0x10000, v1
	s_delay_alu instid0(VALU_DEP_2) | instskip(NEXT) | instid1(VALU_DEP_1)
	v_cmp_eq_u32_e64 s0, 0, v2
	v_cndmask_b32_e64 v73, v73, v1, s0
; %bb.157:                              ;   in Loop: Header=BB182_38 Depth=1
	s_or_b32 exec_lo, exec_lo, s16
	v_lshlrev_b32_e32 v1, 16, v3
                                        ; implicit-def: $vgpr74
	s_delay_alu instid0(VALU_DEP_1) | instskip(NEXT) | instid1(VALU_DEP_1)
	v_mul_f32_e32 v1, v62, v1
	v_and_b32_e32 v2, 0x7f800000, v1
	s_delay_alu instid0(VALU_DEP_1) | instskip(NEXT) | instid1(VALU_DEP_1)
	v_cmp_ne_u32_e64 s0, 0x7f800000, v2
	s_and_saveexec_b32 s16, s0
	s_delay_alu instid0(SALU_CYCLE_1)
	s_xor_b32 s0, exec_lo, s16
; %bb.158:                              ;   in Loop: Header=BB182_38 Depth=1
	v_bfe_u32 v2, v1, 16, 1
	s_delay_alu instid0(VALU_DEP_1)
	v_add3_u32 v74, v1, v2, 0x7fff
                                        ; implicit-def: $vgpr1
; %bb.159:                              ;   in Loop: Header=BB182_38 Depth=1
	s_and_not1_saveexec_b32 s16, s0
; %bb.160:                              ;   in Loop: Header=BB182_38 Depth=1
	v_and_b32_e32 v2, 0xffff, v1
	v_or_b32_e32 v3, 0x10000, v1
	s_delay_alu instid0(VALU_DEP_2) | instskip(NEXT) | instid1(VALU_DEP_1)
	v_cmp_eq_u32_e64 s0, 0, v2
	v_cndmask_b32_e64 v74, v3, v1, s0
; %bb.161:                              ;   in Loop: Header=BB182_38 Depth=1
	s_or_b32 exec_lo, exec_lo, s16
	v_lshlrev_b32_e32 v1, 16, v75
                                        ; implicit-def: $vgpr75
	s_delay_alu instid0(VALU_DEP_1) | instskip(NEXT) | instid1(VALU_DEP_1)
	v_mul_f32_e32 v1, v64, v1
	v_and_b32_e32 v2, 0x7f800000, v1
	s_delay_alu instid0(VALU_DEP_1) | instskip(NEXT) | instid1(VALU_DEP_1)
	v_cmp_ne_u32_e64 s0, 0x7f800000, v2
	s_and_saveexec_b32 s16, s0
	s_delay_alu instid0(SALU_CYCLE_1)
	s_xor_b32 s0, exec_lo, s16
; %bb.162:                              ;   in Loop: Header=BB182_38 Depth=1
	v_bfe_u32 v2, v1, 16, 1
	s_delay_alu instid0(VALU_DEP_1)
	v_add3_u32 v75, v1, v2, 0x7fff
                                        ; implicit-def: $vgpr1
; %bb.163:                              ;   in Loop: Header=BB182_38 Depth=1
	s_and_not1_saveexec_b32 s16, s0
; %bb.164:                              ;   in Loop: Header=BB182_38 Depth=1
	v_and_b32_e32 v2, 0xffff, v1
	v_or_b32_e32 v3, 0x10000, v1
	s_delay_alu instid0(VALU_DEP_2) | instskip(NEXT) | instid1(VALU_DEP_1)
	v_cmp_eq_u32_e64 s0, 0, v2
	v_cndmask_b32_e64 v75, v3, v1, s0
; %bb.165:                              ;   in Loop: Header=BB182_38 Depth=1
	s_or_b32 exec_lo, exec_lo, s16
	v_lshlrev_b32_e32 v1, 16, v4
                                        ; implicit-def: $vgpr76
	s_delay_alu instid0(VALU_DEP_1) | instskip(NEXT) | instid1(VALU_DEP_1)
	v_mul_f32_e32 v1, v65, v1
	v_and_b32_e32 v2, 0x7f800000, v1
	s_delay_alu instid0(VALU_DEP_1) | instskip(NEXT) | instid1(VALU_DEP_1)
	v_cmp_ne_u32_e64 s0, 0x7f800000, v2
	s_and_saveexec_b32 s16, s0
	s_delay_alu instid0(SALU_CYCLE_1)
	s_xor_b32 s0, exec_lo, s16
; %bb.166:                              ;   in Loop: Header=BB182_38 Depth=1
	v_bfe_u32 v2, v1, 16, 1
	s_delay_alu instid0(VALU_DEP_1)
	v_add3_u32 v76, v1, v2, 0x7fff
                                        ; implicit-def: $vgpr1
; %bb.167:                              ;   in Loop: Header=BB182_38 Depth=1
	s_and_not1_saveexec_b32 s16, s0
; %bb.168:                              ;   in Loop: Header=BB182_38 Depth=1
	v_and_b32_e32 v2, 0xffff, v1
	v_or_b32_e32 v3, 0x10000, v1
	s_delay_alu instid0(VALU_DEP_2) | instskip(NEXT) | instid1(VALU_DEP_1)
	v_cmp_eq_u32_e64 s0, 0, v2
	v_cndmask_b32_e64 v76, v3, v1, s0
; %bb.169:                              ;   in Loop: Header=BB182_38 Depth=1
	s_or_b32 exec_lo, exec_lo, s16
	v_lshlrev_b32_e32 v1, 16, v77
                                        ; implicit-def: $vgpr77
	s_delay_alu instid0(VALU_DEP_1) | instskip(NEXT) | instid1(VALU_DEP_1)
	v_mul_f32_e32 v1, v66, v1
	v_and_b32_e32 v2, 0x7f800000, v1
	s_delay_alu instid0(VALU_DEP_1) | instskip(NEXT) | instid1(VALU_DEP_1)
	v_cmp_ne_u32_e64 s0, 0x7f800000, v2
	s_and_saveexec_b32 s16, s0
	s_delay_alu instid0(SALU_CYCLE_1)
	s_xor_b32 s0, exec_lo, s16
; %bb.170:                              ;   in Loop: Header=BB182_38 Depth=1
	v_bfe_u32 v2, v1, 16, 1
	s_delay_alu instid0(VALU_DEP_1)
	v_add3_u32 v77, v1, v2, 0x7fff
                                        ; implicit-def: $vgpr1
; %bb.171:                              ;   in Loop: Header=BB182_38 Depth=1
	s_and_not1_saveexec_b32 s16, s0
; %bb.172:                              ;   in Loop: Header=BB182_38 Depth=1
	v_and_b32_e32 v2, 0xffff, v1
	v_or_b32_e32 v3, 0x10000, v1
	s_delay_alu instid0(VALU_DEP_2) | instskip(NEXT) | instid1(VALU_DEP_1)
	v_cmp_eq_u32_e64 s0, 0, v2
	v_cndmask_b32_e64 v77, v3, v1, s0
; %bb.173:                              ;   in Loop: Header=BB182_38 Depth=1
	s_or_b32 exec_lo, exec_lo, s16
	global_load_b128 v[1:4], v[5:6], off offset:1536
	s_waitcnt vmcnt(0)
	v_lshrrev_b32_e32 v79, 16, v1
	v_lshrrev_b32_e32 v81, 16, v2
	;; [unrolled: 1-line block ×4, first 2 shown]
	s_and_saveexec_b32 s16, vcc_lo
	s_cbranch_execz .LBB182_175
; %bb.174:                              ;   in Loop: Header=BB182_38 Depth=1
	v_cmp_gt_i32_e64 s0, s33, v47
	s_delay_alu instid0(VALU_DEP_1) | instskip(SKIP_1) | instid1(VALU_DEP_1)
	v_cndmask_b32_e64 v1, 0, v1, s0
	v_cmp_gt_i32_e64 s0, s33, v54
	v_cndmask_b32_e64 v79, 0, v79, s0
	v_cmp_gt_i32_e64 s0, s33, v53
	s_delay_alu instid0(VALU_DEP_1) | instskip(SKIP_1) | instid1(VALU_DEP_1)
	v_cndmask_b32_e64 v2, 0, v2, s0
	v_cmp_gt_i32_e64 s0, s33, v51
	v_cndmask_b32_e64 v81, 0, v81, s0
	v_cmp_gt_i32_e64 s0, s33, v50
	s_delay_alu instid0(VALU_DEP_1) | instskip(SKIP_1) | instid1(VALU_DEP_1)
	v_cndmask_b32_e64 v3, 0, v3, s0
	v_cmp_gt_i32_e64 s0, s33, v49
	v_cndmask_b32_e64 v83, 0, v83, s0
	v_cmp_gt_i32_e64 s0, s33, v48
	s_delay_alu instid0(VALU_DEP_1) | instskip(SKIP_1) | instid1(VALU_DEP_1)
	v_cndmask_b32_e64 v4, 0, v4, s0
	v_cmp_gt_i32_e64 s0, s33, v52
	v_cndmask_b32_e64 v85, 0, v85, s0
.LBB182_175:                            ;   in Loop: Header=BB182_38 Depth=1
	s_or_b32 exec_lo, exec_lo, s16
	v_lshlrev_b32_e32 v1, 16, v1
	s_delay_alu instid0(VALU_DEP_1) | instskip(NEXT) | instid1(VALU_DEP_1)
	v_mul_f32_e32 v1, v58, v1
	v_and_b32_e32 v78, 0x7f800000, v1
	s_delay_alu instid0(VALU_DEP_1) | instskip(NEXT) | instid1(VALU_DEP_1)
	v_cmp_ne_u32_e64 s0, 0x7f800000, v78
                                        ; implicit-def: $vgpr78
	s_and_saveexec_b32 s16, s0
	s_delay_alu instid0(SALU_CYCLE_1)
	s_xor_b32 s0, exec_lo, s16
; %bb.176:                              ;   in Loop: Header=BB182_38 Depth=1
	v_bfe_u32 v78, v1, 16, 1
	s_delay_alu instid0(VALU_DEP_1)
	v_add3_u32 v78, v1, v78, 0x7fff
                                        ; implicit-def: $vgpr1
; %bb.177:                              ;   in Loop: Header=BB182_38 Depth=1
	s_and_not1_saveexec_b32 s16, s0
; %bb.178:                              ;   in Loop: Header=BB182_38 Depth=1
	v_and_b32_e32 v78, 0xffff, v1
	v_or_b32_e32 v80, 0x10000, v1
	s_delay_alu instid0(VALU_DEP_2) | instskip(NEXT) | instid1(VALU_DEP_1)
	v_cmp_eq_u32_e64 s0, 0, v78
	v_cndmask_b32_e64 v78, v80, v1, s0
; %bb.179:                              ;   in Loop: Header=BB182_38 Depth=1
	s_or_b32 exec_lo, exec_lo, s16
	v_lshlrev_b32_e32 v1, 16, v79
	s_delay_alu instid0(VALU_DEP_1) | instskip(NEXT) | instid1(VALU_DEP_1)
	v_mul_f32_e32 v1, v59, v1
	v_and_b32_e32 v79, 0x7f800000, v1
	s_delay_alu instid0(VALU_DEP_1) | instskip(NEXT) | instid1(VALU_DEP_1)
	v_cmp_ne_u32_e64 s0, 0x7f800000, v79
                                        ; implicit-def: $vgpr79
	s_and_saveexec_b32 s16, s0
	s_delay_alu instid0(SALU_CYCLE_1)
	s_xor_b32 s0, exec_lo, s16
; %bb.180:                              ;   in Loop: Header=BB182_38 Depth=1
	v_bfe_u32 v79, v1, 16, 1
	s_delay_alu instid0(VALU_DEP_1)
	v_add3_u32 v79, v1, v79, 0x7fff
                                        ; implicit-def: $vgpr1
; %bb.181:                              ;   in Loop: Header=BB182_38 Depth=1
	s_and_not1_saveexec_b32 s16, s0
; %bb.182:                              ;   in Loop: Header=BB182_38 Depth=1
	v_and_b32_e32 v79, 0xffff, v1
	v_or_b32_e32 v80, 0x10000, v1
	s_delay_alu instid0(VALU_DEP_2) | instskip(NEXT) | instid1(VALU_DEP_1)
	v_cmp_eq_u32_e64 s0, 0, v79
	v_cndmask_b32_e64 v79, v80, v1, s0
; %bb.183:                              ;   in Loop: Header=BB182_38 Depth=1
	s_or_b32 exec_lo, exec_lo, s16
	v_lshlrev_b32_e32 v1, 16, v2
                                        ; implicit-def: $vgpr80
	s_delay_alu instid0(VALU_DEP_1) | instskip(NEXT) | instid1(VALU_DEP_1)
	v_mul_f32_e32 v1, v60, v1
	v_and_b32_e32 v2, 0x7f800000, v1
	s_delay_alu instid0(VALU_DEP_1) | instskip(NEXT) | instid1(VALU_DEP_1)
	v_cmp_ne_u32_e64 s0, 0x7f800000, v2
	s_and_saveexec_b32 s16, s0
	s_delay_alu instid0(SALU_CYCLE_1)
	s_xor_b32 s0, exec_lo, s16
; %bb.184:                              ;   in Loop: Header=BB182_38 Depth=1
	v_bfe_u32 v2, v1, 16, 1
	s_delay_alu instid0(VALU_DEP_1)
	v_add3_u32 v80, v1, v2, 0x7fff
                                        ; implicit-def: $vgpr1
; %bb.185:                              ;   in Loop: Header=BB182_38 Depth=1
	s_and_not1_saveexec_b32 s16, s0
; %bb.186:                              ;   in Loop: Header=BB182_38 Depth=1
	v_and_b32_e32 v2, 0xffff, v1
	v_or_b32_e32 v80, 0x10000, v1
	s_delay_alu instid0(VALU_DEP_2) | instskip(NEXT) | instid1(VALU_DEP_1)
	v_cmp_eq_u32_e64 s0, 0, v2
	v_cndmask_b32_e64 v80, v80, v1, s0
; %bb.187:                              ;   in Loop: Header=BB182_38 Depth=1
	s_or_b32 exec_lo, exec_lo, s16
	v_lshlrev_b32_e32 v1, 16, v81
                                        ; implicit-def: $vgpr81
	s_delay_alu instid0(VALU_DEP_1) | instskip(NEXT) | instid1(VALU_DEP_1)
	v_mul_f32_e32 v1, v61, v1
	v_and_b32_e32 v2, 0x7f800000, v1
	s_delay_alu instid0(VALU_DEP_1) | instskip(NEXT) | instid1(VALU_DEP_1)
	v_cmp_ne_u32_e64 s0, 0x7f800000, v2
	s_and_saveexec_b32 s16, s0
	s_delay_alu instid0(SALU_CYCLE_1)
	s_xor_b32 s0, exec_lo, s16
; %bb.188:                              ;   in Loop: Header=BB182_38 Depth=1
	v_bfe_u32 v2, v1, 16, 1
	s_delay_alu instid0(VALU_DEP_1)
	v_add3_u32 v81, v1, v2, 0x7fff
                                        ; implicit-def: $vgpr1
; %bb.189:                              ;   in Loop: Header=BB182_38 Depth=1
	s_and_not1_saveexec_b32 s16, s0
; %bb.190:                              ;   in Loop: Header=BB182_38 Depth=1
	v_and_b32_e32 v2, 0xffff, v1
	v_or_b32_e32 v81, 0x10000, v1
	s_delay_alu instid0(VALU_DEP_2) | instskip(NEXT) | instid1(VALU_DEP_1)
	v_cmp_eq_u32_e64 s0, 0, v2
	v_cndmask_b32_e64 v81, v81, v1, s0
; %bb.191:                              ;   in Loop: Header=BB182_38 Depth=1
	s_or_b32 exec_lo, exec_lo, s16
	v_lshlrev_b32_e32 v1, 16, v3
                                        ; implicit-def: $vgpr82
	s_delay_alu instid0(VALU_DEP_1) | instskip(NEXT) | instid1(VALU_DEP_1)
	v_mul_f32_e32 v1, v62, v1
	v_and_b32_e32 v2, 0x7f800000, v1
	s_delay_alu instid0(VALU_DEP_1) | instskip(NEXT) | instid1(VALU_DEP_1)
	v_cmp_ne_u32_e64 s0, 0x7f800000, v2
	s_and_saveexec_b32 s16, s0
	s_delay_alu instid0(SALU_CYCLE_1)
	s_xor_b32 s0, exec_lo, s16
; %bb.192:                              ;   in Loop: Header=BB182_38 Depth=1
	v_bfe_u32 v2, v1, 16, 1
	s_delay_alu instid0(VALU_DEP_1)
	v_add3_u32 v82, v1, v2, 0x7fff
                                        ; implicit-def: $vgpr1
; %bb.193:                              ;   in Loop: Header=BB182_38 Depth=1
	s_and_not1_saveexec_b32 s16, s0
; %bb.194:                              ;   in Loop: Header=BB182_38 Depth=1
	v_and_b32_e32 v2, 0xffff, v1
	v_or_b32_e32 v3, 0x10000, v1
	s_delay_alu instid0(VALU_DEP_2) | instskip(NEXT) | instid1(VALU_DEP_1)
	v_cmp_eq_u32_e64 s0, 0, v2
	v_cndmask_b32_e64 v82, v3, v1, s0
; %bb.195:                              ;   in Loop: Header=BB182_38 Depth=1
	s_or_b32 exec_lo, exec_lo, s16
	v_lshlrev_b32_e32 v1, 16, v83
                                        ; implicit-def: $vgpr83
	s_delay_alu instid0(VALU_DEP_1) | instskip(NEXT) | instid1(VALU_DEP_1)
	v_mul_f32_e32 v1, v64, v1
	v_and_b32_e32 v2, 0x7f800000, v1
	s_delay_alu instid0(VALU_DEP_1) | instskip(NEXT) | instid1(VALU_DEP_1)
	v_cmp_ne_u32_e64 s0, 0x7f800000, v2
	s_and_saveexec_b32 s16, s0
	s_delay_alu instid0(SALU_CYCLE_1)
	s_xor_b32 s0, exec_lo, s16
; %bb.196:                              ;   in Loop: Header=BB182_38 Depth=1
	v_bfe_u32 v2, v1, 16, 1
	s_delay_alu instid0(VALU_DEP_1)
	v_add3_u32 v83, v1, v2, 0x7fff
                                        ; implicit-def: $vgpr1
; %bb.197:                              ;   in Loop: Header=BB182_38 Depth=1
	s_and_not1_saveexec_b32 s16, s0
; %bb.198:                              ;   in Loop: Header=BB182_38 Depth=1
	v_and_b32_e32 v2, 0xffff, v1
	v_or_b32_e32 v3, 0x10000, v1
	s_delay_alu instid0(VALU_DEP_2) | instskip(NEXT) | instid1(VALU_DEP_1)
	v_cmp_eq_u32_e64 s0, 0, v2
	v_cndmask_b32_e64 v83, v3, v1, s0
; %bb.199:                              ;   in Loop: Header=BB182_38 Depth=1
	s_or_b32 exec_lo, exec_lo, s16
	v_lshlrev_b32_e32 v1, 16, v4
                                        ; implicit-def: $vgpr84
	s_delay_alu instid0(VALU_DEP_1) | instskip(NEXT) | instid1(VALU_DEP_1)
	v_mul_f32_e32 v1, v65, v1
	v_and_b32_e32 v2, 0x7f800000, v1
	s_delay_alu instid0(VALU_DEP_1) | instskip(NEXT) | instid1(VALU_DEP_1)
	v_cmp_ne_u32_e64 s0, 0x7f800000, v2
	s_and_saveexec_b32 s16, s0
	s_delay_alu instid0(SALU_CYCLE_1)
	s_xor_b32 s0, exec_lo, s16
; %bb.200:                              ;   in Loop: Header=BB182_38 Depth=1
	v_bfe_u32 v2, v1, 16, 1
	s_delay_alu instid0(VALU_DEP_1)
	v_add3_u32 v84, v1, v2, 0x7fff
                                        ; implicit-def: $vgpr1
; %bb.201:                              ;   in Loop: Header=BB182_38 Depth=1
	s_and_not1_saveexec_b32 s16, s0
; %bb.202:                              ;   in Loop: Header=BB182_38 Depth=1
	v_and_b32_e32 v2, 0xffff, v1
	v_or_b32_e32 v3, 0x10000, v1
	s_delay_alu instid0(VALU_DEP_2) | instskip(NEXT) | instid1(VALU_DEP_1)
	v_cmp_eq_u32_e64 s0, 0, v2
	v_cndmask_b32_e64 v84, v3, v1, s0
; %bb.203:                              ;   in Loop: Header=BB182_38 Depth=1
	s_or_b32 exec_lo, exec_lo, s16
	v_lshlrev_b32_e32 v1, 16, v85
                                        ; implicit-def: $vgpr85
	s_delay_alu instid0(VALU_DEP_1) | instskip(NEXT) | instid1(VALU_DEP_1)
	v_mul_f32_e32 v1, v66, v1
	v_and_b32_e32 v2, 0x7f800000, v1
	s_delay_alu instid0(VALU_DEP_1) | instskip(NEXT) | instid1(VALU_DEP_1)
	v_cmp_ne_u32_e64 s0, 0x7f800000, v2
	s_and_saveexec_b32 s16, s0
	s_delay_alu instid0(SALU_CYCLE_1)
	s_xor_b32 s0, exec_lo, s16
; %bb.204:                              ;   in Loop: Header=BB182_38 Depth=1
	v_bfe_u32 v2, v1, 16, 1
	s_delay_alu instid0(VALU_DEP_1)
	v_add3_u32 v85, v1, v2, 0x7fff
                                        ; implicit-def: $vgpr1
; %bb.205:                              ;   in Loop: Header=BB182_38 Depth=1
	s_and_not1_saveexec_b32 s16, s0
; %bb.206:                              ;   in Loop: Header=BB182_38 Depth=1
	v_and_b32_e32 v2, 0xffff, v1
	v_or_b32_e32 v3, 0x10000, v1
	s_delay_alu instid0(VALU_DEP_2) | instskip(NEXT) | instid1(VALU_DEP_1)
	v_cmp_eq_u32_e64 s0, 0, v2
	v_cndmask_b32_e64 v85, v3, v1, s0
; %bb.207:                              ;   in Loop: Header=BB182_38 Depth=1
	s_or_b32 exec_lo, exec_lo, s16
	global_load_b128 v[1:4], v[5:6], off offset:2048
	s_waitcnt vmcnt(0)
	v_lshrrev_b32_e32 v87, 16, v1
	v_lshrrev_b32_e32 v89, 16, v2
	;; [unrolled: 1-line block ×4, first 2 shown]
	s_and_saveexec_b32 s16, vcc_lo
	s_cbranch_execz .LBB182_209
; %bb.208:                              ;   in Loop: Header=BB182_38 Depth=1
	v_cmp_gt_i32_e64 s0, s33, v47
	s_delay_alu instid0(VALU_DEP_1) | instskip(SKIP_1) | instid1(VALU_DEP_1)
	v_cndmask_b32_e64 v1, 0, v1, s0
	v_cmp_gt_i32_e64 s0, s33, v54
	v_cndmask_b32_e64 v87, 0, v87, s0
	v_cmp_gt_i32_e64 s0, s33, v53
	s_delay_alu instid0(VALU_DEP_1) | instskip(SKIP_1) | instid1(VALU_DEP_1)
	v_cndmask_b32_e64 v2, 0, v2, s0
	v_cmp_gt_i32_e64 s0, s33, v51
	v_cndmask_b32_e64 v89, 0, v89, s0
	;; [unrolled: 5-line block ×4, first 2 shown]
.LBB182_209:                            ;   in Loop: Header=BB182_38 Depth=1
	s_or_b32 exec_lo, exec_lo, s16
	v_lshlrev_b32_e32 v1, 16, v1
	s_delay_alu instid0(VALU_DEP_1) | instskip(NEXT) | instid1(VALU_DEP_1)
	v_mul_f32_e32 v1, v58, v1
	v_and_b32_e32 v86, 0x7f800000, v1
	s_delay_alu instid0(VALU_DEP_1) | instskip(NEXT) | instid1(VALU_DEP_1)
	v_cmp_ne_u32_e64 s0, 0x7f800000, v86
                                        ; implicit-def: $vgpr86
	s_and_saveexec_b32 s16, s0
	s_delay_alu instid0(SALU_CYCLE_1)
	s_xor_b32 s0, exec_lo, s16
; %bb.210:                              ;   in Loop: Header=BB182_38 Depth=1
	v_bfe_u32 v86, v1, 16, 1
	s_delay_alu instid0(VALU_DEP_1)
	v_add3_u32 v86, v1, v86, 0x7fff
                                        ; implicit-def: $vgpr1
; %bb.211:                              ;   in Loop: Header=BB182_38 Depth=1
	s_and_not1_saveexec_b32 s16, s0
; %bb.212:                              ;   in Loop: Header=BB182_38 Depth=1
	v_and_b32_e32 v86, 0xffff, v1
	v_or_b32_e32 v88, 0x10000, v1
	s_delay_alu instid0(VALU_DEP_2) | instskip(NEXT) | instid1(VALU_DEP_1)
	v_cmp_eq_u32_e64 s0, 0, v86
	v_cndmask_b32_e64 v86, v88, v1, s0
; %bb.213:                              ;   in Loop: Header=BB182_38 Depth=1
	s_or_b32 exec_lo, exec_lo, s16
	v_lshlrev_b32_e32 v1, 16, v87
	s_delay_alu instid0(VALU_DEP_1) | instskip(NEXT) | instid1(VALU_DEP_1)
	v_mul_f32_e32 v1, v59, v1
	v_and_b32_e32 v87, 0x7f800000, v1
	s_delay_alu instid0(VALU_DEP_1) | instskip(NEXT) | instid1(VALU_DEP_1)
	v_cmp_ne_u32_e64 s0, 0x7f800000, v87
                                        ; implicit-def: $vgpr87
	s_and_saveexec_b32 s16, s0
	s_delay_alu instid0(SALU_CYCLE_1)
	s_xor_b32 s0, exec_lo, s16
; %bb.214:                              ;   in Loop: Header=BB182_38 Depth=1
	v_bfe_u32 v87, v1, 16, 1
	s_delay_alu instid0(VALU_DEP_1)
	v_add3_u32 v87, v1, v87, 0x7fff
                                        ; implicit-def: $vgpr1
; %bb.215:                              ;   in Loop: Header=BB182_38 Depth=1
	s_and_not1_saveexec_b32 s16, s0
; %bb.216:                              ;   in Loop: Header=BB182_38 Depth=1
	v_and_b32_e32 v87, 0xffff, v1
	v_or_b32_e32 v88, 0x10000, v1
	s_delay_alu instid0(VALU_DEP_2) | instskip(NEXT) | instid1(VALU_DEP_1)
	v_cmp_eq_u32_e64 s0, 0, v87
	v_cndmask_b32_e64 v87, v88, v1, s0
; %bb.217:                              ;   in Loop: Header=BB182_38 Depth=1
	s_or_b32 exec_lo, exec_lo, s16
	v_lshlrev_b32_e32 v1, 16, v2
                                        ; implicit-def: $vgpr88
	s_delay_alu instid0(VALU_DEP_1) | instskip(NEXT) | instid1(VALU_DEP_1)
	v_mul_f32_e32 v1, v60, v1
	v_and_b32_e32 v2, 0x7f800000, v1
	s_delay_alu instid0(VALU_DEP_1) | instskip(NEXT) | instid1(VALU_DEP_1)
	v_cmp_ne_u32_e64 s0, 0x7f800000, v2
	s_and_saveexec_b32 s16, s0
	s_delay_alu instid0(SALU_CYCLE_1)
	s_xor_b32 s0, exec_lo, s16
; %bb.218:                              ;   in Loop: Header=BB182_38 Depth=1
	v_bfe_u32 v2, v1, 16, 1
	s_delay_alu instid0(VALU_DEP_1)
	v_add3_u32 v88, v1, v2, 0x7fff
                                        ; implicit-def: $vgpr1
; %bb.219:                              ;   in Loop: Header=BB182_38 Depth=1
	s_and_not1_saveexec_b32 s16, s0
; %bb.220:                              ;   in Loop: Header=BB182_38 Depth=1
	v_and_b32_e32 v2, 0xffff, v1
	v_or_b32_e32 v88, 0x10000, v1
	s_delay_alu instid0(VALU_DEP_2) | instskip(NEXT) | instid1(VALU_DEP_1)
	v_cmp_eq_u32_e64 s0, 0, v2
	v_cndmask_b32_e64 v88, v88, v1, s0
; %bb.221:                              ;   in Loop: Header=BB182_38 Depth=1
	s_or_b32 exec_lo, exec_lo, s16
	v_lshlrev_b32_e32 v1, 16, v89
                                        ; implicit-def: $vgpr89
	s_delay_alu instid0(VALU_DEP_1) | instskip(NEXT) | instid1(VALU_DEP_1)
	v_mul_f32_e32 v1, v61, v1
	v_and_b32_e32 v2, 0x7f800000, v1
	s_delay_alu instid0(VALU_DEP_1) | instskip(NEXT) | instid1(VALU_DEP_1)
	v_cmp_ne_u32_e64 s0, 0x7f800000, v2
	s_and_saveexec_b32 s16, s0
	s_delay_alu instid0(SALU_CYCLE_1)
	s_xor_b32 s0, exec_lo, s16
; %bb.222:                              ;   in Loop: Header=BB182_38 Depth=1
	v_bfe_u32 v2, v1, 16, 1
	s_delay_alu instid0(VALU_DEP_1)
	v_add3_u32 v89, v1, v2, 0x7fff
                                        ; implicit-def: $vgpr1
; %bb.223:                              ;   in Loop: Header=BB182_38 Depth=1
	s_and_not1_saveexec_b32 s16, s0
; %bb.224:                              ;   in Loop: Header=BB182_38 Depth=1
	v_and_b32_e32 v2, 0xffff, v1
	v_or_b32_e32 v89, 0x10000, v1
	s_delay_alu instid0(VALU_DEP_2) | instskip(NEXT) | instid1(VALU_DEP_1)
	v_cmp_eq_u32_e64 s0, 0, v2
	v_cndmask_b32_e64 v89, v89, v1, s0
; %bb.225:                              ;   in Loop: Header=BB182_38 Depth=1
	s_or_b32 exec_lo, exec_lo, s16
	v_lshlrev_b32_e32 v1, 16, v3
                                        ; implicit-def: $vgpr90
	s_delay_alu instid0(VALU_DEP_1) | instskip(NEXT) | instid1(VALU_DEP_1)
	v_mul_f32_e32 v1, v62, v1
	v_and_b32_e32 v2, 0x7f800000, v1
	s_delay_alu instid0(VALU_DEP_1) | instskip(NEXT) | instid1(VALU_DEP_1)
	v_cmp_ne_u32_e64 s0, 0x7f800000, v2
	s_and_saveexec_b32 s16, s0
	s_delay_alu instid0(SALU_CYCLE_1)
	s_xor_b32 s0, exec_lo, s16
; %bb.226:                              ;   in Loop: Header=BB182_38 Depth=1
	v_bfe_u32 v2, v1, 16, 1
	s_delay_alu instid0(VALU_DEP_1)
	v_add3_u32 v90, v1, v2, 0x7fff
                                        ; implicit-def: $vgpr1
; %bb.227:                              ;   in Loop: Header=BB182_38 Depth=1
	s_and_not1_saveexec_b32 s16, s0
; %bb.228:                              ;   in Loop: Header=BB182_38 Depth=1
	v_and_b32_e32 v2, 0xffff, v1
	v_or_b32_e32 v3, 0x10000, v1
	s_delay_alu instid0(VALU_DEP_2) | instskip(NEXT) | instid1(VALU_DEP_1)
	v_cmp_eq_u32_e64 s0, 0, v2
	v_cndmask_b32_e64 v90, v3, v1, s0
; %bb.229:                              ;   in Loop: Header=BB182_38 Depth=1
	s_or_b32 exec_lo, exec_lo, s16
	v_lshlrev_b32_e32 v1, 16, v91
                                        ; implicit-def: $vgpr91
	s_delay_alu instid0(VALU_DEP_1) | instskip(NEXT) | instid1(VALU_DEP_1)
	v_mul_f32_e32 v1, v64, v1
	v_and_b32_e32 v2, 0x7f800000, v1
	s_delay_alu instid0(VALU_DEP_1) | instskip(NEXT) | instid1(VALU_DEP_1)
	v_cmp_ne_u32_e64 s0, 0x7f800000, v2
	s_and_saveexec_b32 s16, s0
	s_delay_alu instid0(SALU_CYCLE_1)
	s_xor_b32 s0, exec_lo, s16
; %bb.230:                              ;   in Loop: Header=BB182_38 Depth=1
	v_bfe_u32 v2, v1, 16, 1
	s_delay_alu instid0(VALU_DEP_1)
	v_add3_u32 v91, v1, v2, 0x7fff
                                        ; implicit-def: $vgpr1
; %bb.231:                              ;   in Loop: Header=BB182_38 Depth=1
	s_and_not1_saveexec_b32 s16, s0
; %bb.232:                              ;   in Loop: Header=BB182_38 Depth=1
	v_and_b32_e32 v2, 0xffff, v1
	v_or_b32_e32 v3, 0x10000, v1
	s_delay_alu instid0(VALU_DEP_2) | instskip(NEXT) | instid1(VALU_DEP_1)
	v_cmp_eq_u32_e64 s0, 0, v2
	v_cndmask_b32_e64 v91, v3, v1, s0
; %bb.233:                              ;   in Loop: Header=BB182_38 Depth=1
	s_or_b32 exec_lo, exec_lo, s16
	v_lshlrev_b32_e32 v1, 16, v4
                                        ; implicit-def: $vgpr92
	s_delay_alu instid0(VALU_DEP_1) | instskip(NEXT) | instid1(VALU_DEP_1)
	v_mul_f32_e32 v1, v65, v1
	v_and_b32_e32 v2, 0x7f800000, v1
	s_delay_alu instid0(VALU_DEP_1) | instskip(NEXT) | instid1(VALU_DEP_1)
	v_cmp_ne_u32_e64 s0, 0x7f800000, v2
	s_and_saveexec_b32 s16, s0
	s_delay_alu instid0(SALU_CYCLE_1)
	s_xor_b32 s0, exec_lo, s16
; %bb.234:                              ;   in Loop: Header=BB182_38 Depth=1
	v_bfe_u32 v2, v1, 16, 1
	s_delay_alu instid0(VALU_DEP_1)
	v_add3_u32 v92, v1, v2, 0x7fff
                                        ; implicit-def: $vgpr1
; %bb.235:                              ;   in Loop: Header=BB182_38 Depth=1
	s_and_not1_saveexec_b32 s16, s0
; %bb.236:                              ;   in Loop: Header=BB182_38 Depth=1
	v_and_b32_e32 v2, 0xffff, v1
	v_or_b32_e32 v3, 0x10000, v1
	s_delay_alu instid0(VALU_DEP_2) | instskip(NEXT) | instid1(VALU_DEP_1)
	v_cmp_eq_u32_e64 s0, 0, v2
	v_cndmask_b32_e64 v92, v3, v1, s0
; %bb.237:                              ;   in Loop: Header=BB182_38 Depth=1
	s_or_b32 exec_lo, exec_lo, s16
	v_lshlrev_b32_e32 v1, 16, v93
                                        ; implicit-def: $vgpr93
	s_delay_alu instid0(VALU_DEP_1) | instskip(NEXT) | instid1(VALU_DEP_1)
	v_mul_f32_e32 v1, v66, v1
	v_and_b32_e32 v2, 0x7f800000, v1
	s_delay_alu instid0(VALU_DEP_1) | instskip(NEXT) | instid1(VALU_DEP_1)
	v_cmp_ne_u32_e64 s0, 0x7f800000, v2
	s_and_saveexec_b32 s16, s0
	s_delay_alu instid0(SALU_CYCLE_1)
	s_xor_b32 s0, exec_lo, s16
; %bb.238:                              ;   in Loop: Header=BB182_38 Depth=1
	v_bfe_u32 v2, v1, 16, 1
	s_delay_alu instid0(VALU_DEP_1)
	v_add3_u32 v93, v1, v2, 0x7fff
                                        ; implicit-def: $vgpr1
; %bb.239:                              ;   in Loop: Header=BB182_38 Depth=1
	s_and_not1_saveexec_b32 s16, s0
; %bb.240:                              ;   in Loop: Header=BB182_38 Depth=1
	v_and_b32_e32 v2, 0xffff, v1
	v_or_b32_e32 v3, 0x10000, v1
	s_delay_alu instid0(VALU_DEP_2) | instskip(NEXT) | instid1(VALU_DEP_1)
	v_cmp_eq_u32_e64 s0, 0, v2
	v_cndmask_b32_e64 v93, v3, v1, s0
; %bb.241:                              ;   in Loop: Header=BB182_38 Depth=1
	s_or_b32 exec_lo, exec_lo, s16
	global_load_b128 v[1:4], v[5:6], off offset:2560
	s_waitcnt vmcnt(0)
	v_lshrrev_b32_e32 v95, 16, v1
	v_lshrrev_b32_e32 v97, 16, v2
	;; [unrolled: 1-line block ×4, first 2 shown]
	s_and_saveexec_b32 s16, vcc_lo
	s_cbranch_execz .LBB182_243
; %bb.242:                              ;   in Loop: Header=BB182_38 Depth=1
	v_cmp_gt_i32_e64 s0, s33, v47
	s_delay_alu instid0(VALU_DEP_1) | instskip(SKIP_1) | instid1(VALU_DEP_1)
	v_cndmask_b32_e64 v1, 0, v1, s0
	v_cmp_gt_i32_e64 s0, s33, v54
	v_cndmask_b32_e64 v95, 0, v95, s0
	v_cmp_gt_i32_e64 s0, s33, v53
	s_delay_alu instid0(VALU_DEP_1) | instskip(SKIP_1) | instid1(VALU_DEP_1)
	v_cndmask_b32_e64 v2, 0, v2, s0
	v_cmp_gt_i32_e64 s0, s33, v51
	v_cndmask_b32_e64 v97, 0, v97, s0
	v_cmp_gt_i32_e64 s0, s33, v50
	s_delay_alu instid0(VALU_DEP_1) | instskip(SKIP_1) | instid1(VALU_DEP_1)
	v_cndmask_b32_e64 v3, 0, v3, s0
	v_cmp_gt_i32_e64 s0, s33, v49
	v_cndmask_b32_e64 v99, 0, v99, s0
	v_cmp_gt_i32_e64 s0, s33, v48
	s_delay_alu instid0(VALU_DEP_1) | instskip(SKIP_1) | instid1(VALU_DEP_1)
	v_cndmask_b32_e64 v4, 0, v4, s0
	v_cmp_gt_i32_e64 s0, s33, v52
	v_cndmask_b32_e64 v101, 0, v101, s0
.LBB182_243:                            ;   in Loop: Header=BB182_38 Depth=1
	s_or_b32 exec_lo, exec_lo, s16
	v_lshlrev_b32_e32 v1, 16, v1
	s_delay_alu instid0(VALU_DEP_1) | instskip(NEXT) | instid1(VALU_DEP_1)
	v_mul_f32_e32 v1, v58, v1
	v_and_b32_e32 v94, 0x7f800000, v1
	s_delay_alu instid0(VALU_DEP_1) | instskip(NEXT) | instid1(VALU_DEP_1)
	v_cmp_ne_u32_e64 s0, 0x7f800000, v94
                                        ; implicit-def: $vgpr94
	s_and_saveexec_b32 s16, s0
	s_delay_alu instid0(SALU_CYCLE_1)
	s_xor_b32 s0, exec_lo, s16
; %bb.244:                              ;   in Loop: Header=BB182_38 Depth=1
	v_bfe_u32 v94, v1, 16, 1
	s_delay_alu instid0(VALU_DEP_1)
	v_add3_u32 v94, v1, v94, 0x7fff
                                        ; implicit-def: $vgpr1
; %bb.245:                              ;   in Loop: Header=BB182_38 Depth=1
	s_and_not1_saveexec_b32 s16, s0
; %bb.246:                              ;   in Loop: Header=BB182_38 Depth=1
	v_and_b32_e32 v94, 0xffff, v1
	v_or_b32_e32 v96, 0x10000, v1
	s_delay_alu instid0(VALU_DEP_2) | instskip(NEXT) | instid1(VALU_DEP_1)
	v_cmp_eq_u32_e64 s0, 0, v94
	v_cndmask_b32_e64 v94, v96, v1, s0
; %bb.247:                              ;   in Loop: Header=BB182_38 Depth=1
	s_or_b32 exec_lo, exec_lo, s16
	v_lshlrev_b32_e32 v1, 16, v95
	s_delay_alu instid0(VALU_DEP_1) | instskip(NEXT) | instid1(VALU_DEP_1)
	v_mul_f32_e32 v1, v59, v1
	v_and_b32_e32 v95, 0x7f800000, v1
	s_delay_alu instid0(VALU_DEP_1) | instskip(NEXT) | instid1(VALU_DEP_1)
	v_cmp_ne_u32_e64 s0, 0x7f800000, v95
                                        ; implicit-def: $vgpr95
	s_and_saveexec_b32 s16, s0
	s_delay_alu instid0(SALU_CYCLE_1)
	s_xor_b32 s0, exec_lo, s16
; %bb.248:                              ;   in Loop: Header=BB182_38 Depth=1
	v_bfe_u32 v95, v1, 16, 1
	s_delay_alu instid0(VALU_DEP_1)
	v_add3_u32 v95, v1, v95, 0x7fff
                                        ; implicit-def: $vgpr1
; %bb.249:                              ;   in Loop: Header=BB182_38 Depth=1
	s_and_not1_saveexec_b32 s16, s0
; %bb.250:                              ;   in Loop: Header=BB182_38 Depth=1
	v_and_b32_e32 v95, 0xffff, v1
	v_or_b32_e32 v96, 0x10000, v1
	s_delay_alu instid0(VALU_DEP_2) | instskip(NEXT) | instid1(VALU_DEP_1)
	v_cmp_eq_u32_e64 s0, 0, v95
	v_cndmask_b32_e64 v95, v96, v1, s0
; %bb.251:                              ;   in Loop: Header=BB182_38 Depth=1
	s_or_b32 exec_lo, exec_lo, s16
	v_lshlrev_b32_e32 v1, 16, v2
                                        ; implicit-def: $vgpr96
	s_delay_alu instid0(VALU_DEP_1) | instskip(NEXT) | instid1(VALU_DEP_1)
	v_mul_f32_e32 v1, v60, v1
	v_and_b32_e32 v2, 0x7f800000, v1
	s_delay_alu instid0(VALU_DEP_1) | instskip(NEXT) | instid1(VALU_DEP_1)
	v_cmp_ne_u32_e64 s0, 0x7f800000, v2
	s_and_saveexec_b32 s16, s0
	s_delay_alu instid0(SALU_CYCLE_1)
	s_xor_b32 s0, exec_lo, s16
; %bb.252:                              ;   in Loop: Header=BB182_38 Depth=1
	v_bfe_u32 v2, v1, 16, 1
	s_delay_alu instid0(VALU_DEP_1)
	v_add3_u32 v96, v1, v2, 0x7fff
                                        ; implicit-def: $vgpr1
; %bb.253:                              ;   in Loop: Header=BB182_38 Depth=1
	s_and_not1_saveexec_b32 s16, s0
; %bb.254:                              ;   in Loop: Header=BB182_38 Depth=1
	v_and_b32_e32 v2, 0xffff, v1
	v_or_b32_e32 v96, 0x10000, v1
	s_delay_alu instid0(VALU_DEP_2) | instskip(NEXT) | instid1(VALU_DEP_1)
	v_cmp_eq_u32_e64 s0, 0, v2
	v_cndmask_b32_e64 v96, v96, v1, s0
; %bb.255:                              ;   in Loop: Header=BB182_38 Depth=1
	s_or_b32 exec_lo, exec_lo, s16
	v_lshlrev_b32_e32 v1, 16, v97
                                        ; implicit-def: $vgpr97
	s_delay_alu instid0(VALU_DEP_1) | instskip(NEXT) | instid1(VALU_DEP_1)
	v_mul_f32_e32 v1, v61, v1
	v_and_b32_e32 v2, 0x7f800000, v1
	s_delay_alu instid0(VALU_DEP_1) | instskip(NEXT) | instid1(VALU_DEP_1)
	v_cmp_ne_u32_e64 s0, 0x7f800000, v2
	s_and_saveexec_b32 s16, s0
	s_delay_alu instid0(SALU_CYCLE_1)
	s_xor_b32 s0, exec_lo, s16
; %bb.256:                              ;   in Loop: Header=BB182_38 Depth=1
	v_bfe_u32 v2, v1, 16, 1
	s_delay_alu instid0(VALU_DEP_1)
	v_add3_u32 v97, v1, v2, 0x7fff
                                        ; implicit-def: $vgpr1
; %bb.257:                              ;   in Loop: Header=BB182_38 Depth=1
	s_and_not1_saveexec_b32 s16, s0
; %bb.258:                              ;   in Loop: Header=BB182_38 Depth=1
	v_and_b32_e32 v2, 0xffff, v1
	v_or_b32_e32 v97, 0x10000, v1
	s_delay_alu instid0(VALU_DEP_2) | instskip(NEXT) | instid1(VALU_DEP_1)
	v_cmp_eq_u32_e64 s0, 0, v2
	v_cndmask_b32_e64 v97, v97, v1, s0
; %bb.259:                              ;   in Loop: Header=BB182_38 Depth=1
	s_or_b32 exec_lo, exec_lo, s16
	v_lshlrev_b32_e32 v1, 16, v3
                                        ; implicit-def: $vgpr98
	s_delay_alu instid0(VALU_DEP_1) | instskip(NEXT) | instid1(VALU_DEP_1)
	v_mul_f32_e32 v1, v62, v1
	v_and_b32_e32 v2, 0x7f800000, v1
	s_delay_alu instid0(VALU_DEP_1) | instskip(NEXT) | instid1(VALU_DEP_1)
	v_cmp_ne_u32_e64 s0, 0x7f800000, v2
	s_and_saveexec_b32 s16, s0
	s_delay_alu instid0(SALU_CYCLE_1)
	s_xor_b32 s0, exec_lo, s16
; %bb.260:                              ;   in Loop: Header=BB182_38 Depth=1
	v_bfe_u32 v2, v1, 16, 1
	s_delay_alu instid0(VALU_DEP_1)
	v_add3_u32 v98, v1, v2, 0x7fff
                                        ; implicit-def: $vgpr1
; %bb.261:                              ;   in Loop: Header=BB182_38 Depth=1
	s_and_not1_saveexec_b32 s16, s0
; %bb.262:                              ;   in Loop: Header=BB182_38 Depth=1
	v_and_b32_e32 v2, 0xffff, v1
	v_or_b32_e32 v3, 0x10000, v1
	s_delay_alu instid0(VALU_DEP_2) | instskip(NEXT) | instid1(VALU_DEP_1)
	v_cmp_eq_u32_e64 s0, 0, v2
	v_cndmask_b32_e64 v98, v3, v1, s0
; %bb.263:                              ;   in Loop: Header=BB182_38 Depth=1
	s_or_b32 exec_lo, exec_lo, s16
	v_lshlrev_b32_e32 v1, 16, v99
                                        ; implicit-def: $vgpr99
	s_delay_alu instid0(VALU_DEP_1) | instskip(NEXT) | instid1(VALU_DEP_1)
	v_mul_f32_e32 v1, v64, v1
	v_and_b32_e32 v2, 0x7f800000, v1
	s_delay_alu instid0(VALU_DEP_1) | instskip(NEXT) | instid1(VALU_DEP_1)
	v_cmp_ne_u32_e64 s0, 0x7f800000, v2
	s_and_saveexec_b32 s16, s0
	s_delay_alu instid0(SALU_CYCLE_1)
	s_xor_b32 s0, exec_lo, s16
; %bb.264:                              ;   in Loop: Header=BB182_38 Depth=1
	v_bfe_u32 v2, v1, 16, 1
	s_delay_alu instid0(VALU_DEP_1)
	v_add3_u32 v99, v1, v2, 0x7fff
                                        ; implicit-def: $vgpr1
; %bb.265:                              ;   in Loop: Header=BB182_38 Depth=1
	s_and_not1_saveexec_b32 s16, s0
; %bb.266:                              ;   in Loop: Header=BB182_38 Depth=1
	v_and_b32_e32 v2, 0xffff, v1
	v_or_b32_e32 v3, 0x10000, v1
	s_delay_alu instid0(VALU_DEP_2) | instskip(NEXT) | instid1(VALU_DEP_1)
	v_cmp_eq_u32_e64 s0, 0, v2
	v_cndmask_b32_e64 v99, v3, v1, s0
; %bb.267:                              ;   in Loop: Header=BB182_38 Depth=1
	s_or_b32 exec_lo, exec_lo, s16
	v_lshlrev_b32_e32 v1, 16, v4
                                        ; implicit-def: $vgpr100
	s_delay_alu instid0(VALU_DEP_1) | instskip(NEXT) | instid1(VALU_DEP_1)
	v_mul_f32_e32 v1, v65, v1
	v_and_b32_e32 v2, 0x7f800000, v1
	s_delay_alu instid0(VALU_DEP_1) | instskip(NEXT) | instid1(VALU_DEP_1)
	v_cmp_ne_u32_e64 s0, 0x7f800000, v2
	s_and_saveexec_b32 s16, s0
	s_delay_alu instid0(SALU_CYCLE_1)
	s_xor_b32 s0, exec_lo, s16
; %bb.268:                              ;   in Loop: Header=BB182_38 Depth=1
	v_bfe_u32 v2, v1, 16, 1
	s_delay_alu instid0(VALU_DEP_1)
	v_add3_u32 v100, v1, v2, 0x7fff
                                        ; implicit-def: $vgpr1
; %bb.269:                              ;   in Loop: Header=BB182_38 Depth=1
	s_and_not1_saveexec_b32 s16, s0
; %bb.270:                              ;   in Loop: Header=BB182_38 Depth=1
	v_and_b32_e32 v2, 0xffff, v1
	v_or_b32_e32 v3, 0x10000, v1
	s_delay_alu instid0(VALU_DEP_2) | instskip(NEXT) | instid1(VALU_DEP_1)
	v_cmp_eq_u32_e64 s0, 0, v2
	v_cndmask_b32_e64 v100, v3, v1, s0
; %bb.271:                              ;   in Loop: Header=BB182_38 Depth=1
	s_or_b32 exec_lo, exec_lo, s16
	v_lshlrev_b32_e32 v1, 16, v101
                                        ; implicit-def: $vgpr101
	s_delay_alu instid0(VALU_DEP_1) | instskip(NEXT) | instid1(VALU_DEP_1)
	v_mul_f32_e32 v1, v66, v1
	v_and_b32_e32 v2, 0x7f800000, v1
	s_delay_alu instid0(VALU_DEP_1) | instskip(NEXT) | instid1(VALU_DEP_1)
	v_cmp_ne_u32_e64 s0, 0x7f800000, v2
	s_and_saveexec_b32 s16, s0
	s_delay_alu instid0(SALU_CYCLE_1)
	s_xor_b32 s0, exec_lo, s16
; %bb.272:                              ;   in Loop: Header=BB182_38 Depth=1
	v_bfe_u32 v2, v1, 16, 1
	s_delay_alu instid0(VALU_DEP_1)
	v_add3_u32 v101, v1, v2, 0x7fff
                                        ; implicit-def: $vgpr1
; %bb.273:                              ;   in Loop: Header=BB182_38 Depth=1
	s_and_not1_saveexec_b32 s16, s0
; %bb.274:                              ;   in Loop: Header=BB182_38 Depth=1
	v_and_b32_e32 v2, 0xffff, v1
	v_or_b32_e32 v3, 0x10000, v1
	s_delay_alu instid0(VALU_DEP_2) | instskip(NEXT) | instid1(VALU_DEP_1)
	v_cmp_eq_u32_e64 s0, 0, v2
	v_cndmask_b32_e64 v101, v3, v1, s0
; %bb.275:                              ;   in Loop: Header=BB182_38 Depth=1
	s_or_b32 exec_lo, exec_lo, s16
	global_load_b128 v[1:4], v[5:6], off offset:3072
	s_waitcnt vmcnt(0)
	v_lshrrev_b32_e32 v103, 16, v1
	v_lshrrev_b32_e32 v105, 16, v2
	;; [unrolled: 1-line block ×4, first 2 shown]
	s_and_saveexec_b32 s16, vcc_lo
	s_cbranch_execz .LBB182_277
; %bb.276:                              ;   in Loop: Header=BB182_38 Depth=1
	v_cmp_gt_i32_e64 s0, s33, v47
	s_delay_alu instid0(VALU_DEP_1) | instskip(SKIP_1) | instid1(VALU_DEP_1)
	v_cndmask_b32_e64 v1, 0, v1, s0
	v_cmp_gt_i32_e64 s0, s33, v54
	v_cndmask_b32_e64 v103, 0, v103, s0
	v_cmp_gt_i32_e64 s0, s33, v53
	s_delay_alu instid0(VALU_DEP_1) | instskip(SKIP_1) | instid1(VALU_DEP_1)
	v_cndmask_b32_e64 v2, 0, v2, s0
	v_cmp_gt_i32_e64 s0, s33, v51
	v_cndmask_b32_e64 v105, 0, v105, s0
	;; [unrolled: 5-line block ×4, first 2 shown]
.LBB182_277:                            ;   in Loop: Header=BB182_38 Depth=1
	s_or_b32 exec_lo, exec_lo, s16
	v_lshlrev_b32_e32 v1, 16, v1
	s_delay_alu instid0(VALU_DEP_1) | instskip(NEXT) | instid1(VALU_DEP_1)
	v_mul_f32_e32 v1, v58, v1
	v_and_b32_e32 v102, 0x7f800000, v1
	s_delay_alu instid0(VALU_DEP_1) | instskip(NEXT) | instid1(VALU_DEP_1)
	v_cmp_ne_u32_e64 s0, 0x7f800000, v102
                                        ; implicit-def: $vgpr102
	s_and_saveexec_b32 s16, s0
	s_delay_alu instid0(SALU_CYCLE_1)
	s_xor_b32 s0, exec_lo, s16
; %bb.278:                              ;   in Loop: Header=BB182_38 Depth=1
	v_bfe_u32 v102, v1, 16, 1
	s_delay_alu instid0(VALU_DEP_1)
	v_add3_u32 v102, v1, v102, 0x7fff
                                        ; implicit-def: $vgpr1
; %bb.279:                              ;   in Loop: Header=BB182_38 Depth=1
	s_and_not1_saveexec_b32 s16, s0
; %bb.280:                              ;   in Loop: Header=BB182_38 Depth=1
	v_and_b32_e32 v102, 0xffff, v1
	v_or_b32_e32 v104, 0x10000, v1
	s_delay_alu instid0(VALU_DEP_2) | instskip(NEXT) | instid1(VALU_DEP_1)
	v_cmp_eq_u32_e64 s0, 0, v102
	v_cndmask_b32_e64 v102, v104, v1, s0
; %bb.281:                              ;   in Loop: Header=BB182_38 Depth=1
	s_or_b32 exec_lo, exec_lo, s16
	v_lshlrev_b32_e32 v1, 16, v103
	s_delay_alu instid0(VALU_DEP_1) | instskip(NEXT) | instid1(VALU_DEP_1)
	v_mul_f32_e32 v1, v59, v1
	v_and_b32_e32 v103, 0x7f800000, v1
	s_delay_alu instid0(VALU_DEP_1) | instskip(NEXT) | instid1(VALU_DEP_1)
	v_cmp_ne_u32_e64 s0, 0x7f800000, v103
                                        ; implicit-def: $vgpr103
	s_and_saveexec_b32 s16, s0
	s_delay_alu instid0(SALU_CYCLE_1)
	s_xor_b32 s0, exec_lo, s16
; %bb.282:                              ;   in Loop: Header=BB182_38 Depth=1
	v_bfe_u32 v103, v1, 16, 1
	s_delay_alu instid0(VALU_DEP_1)
	v_add3_u32 v103, v1, v103, 0x7fff
                                        ; implicit-def: $vgpr1
; %bb.283:                              ;   in Loop: Header=BB182_38 Depth=1
	s_and_not1_saveexec_b32 s16, s0
; %bb.284:                              ;   in Loop: Header=BB182_38 Depth=1
	v_and_b32_e32 v103, 0xffff, v1
	v_or_b32_e32 v104, 0x10000, v1
	s_delay_alu instid0(VALU_DEP_2) | instskip(NEXT) | instid1(VALU_DEP_1)
	v_cmp_eq_u32_e64 s0, 0, v103
	v_cndmask_b32_e64 v103, v104, v1, s0
; %bb.285:                              ;   in Loop: Header=BB182_38 Depth=1
	s_or_b32 exec_lo, exec_lo, s16
	v_lshlrev_b32_e32 v1, 16, v2
                                        ; implicit-def: $vgpr104
	s_delay_alu instid0(VALU_DEP_1) | instskip(NEXT) | instid1(VALU_DEP_1)
	v_mul_f32_e32 v1, v60, v1
	v_and_b32_e32 v2, 0x7f800000, v1
	s_delay_alu instid0(VALU_DEP_1) | instskip(NEXT) | instid1(VALU_DEP_1)
	v_cmp_ne_u32_e64 s0, 0x7f800000, v2
	s_and_saveexec_b32 s16, s0
	s_delay_alu instid0(SALU_CYCLE_1)
	s_xor_b32 s0, exec_lo, s16
; %bb.286:                              ;   in Loop: Header=BB182_38 Depth=1
	v_bfe_u32 v2, v1, 16, 1
	s_delay_alu instid0(VALU_DEP_1)
	v_add3_u32 v104, v1, v2, 0x7fff
                                        ; implicit-def: $vgpr1
; %bb.287:                              ;   in Loop: Header=BB182_38 Depth=1
	s_and_not1_saveexec_b32 s16, s0
; %bb.288:                              ;   in Loop: Header=BB182_38 Depth=1
	v_and_b32_e32 v2, 0xffff, v1
	v_or_b32_e32 v104, 0x10000, v1
	s_delay_alu instid0(VALU_DEP_2) | instskip(NEXT) | instid1(VALU_DEP_1)
	v_cmp_eq_u32_e64 s0, 0, v2
	v_cndmask_b32_e64 v104, v104, v1, s0
; %bb.289:                              ;   in Loop: Header=BB182_38 Depth=1
	s_or_b32 exec_lo, exec_lo, s16
	v_lshlrev_b32_e32 v1, 16, v105
                                        ; implicit-def: $vgpr105
	s_delay_alu instid0(VALU_DEP_1) | instskip(NEXT) | instid1(VALU_DEP_1)
	v_mul_f32_e32 v1, v61, v1
	v_and_b32_e32 v2, 0x7f800000, v1
	s_delay_alu instid0(VALU_DEP_1) | instskip(NEXT) | instid1(VALU_DEP_1)
	v_cmp_ne_u32_e64 s0, 0x7f800000, v2
	s_and_saveexec_b32 s16, s0
	s_delay_alu instid0(SALU_CYCLE_1)
	s_xor_b32 s0, exec_lo, s16
; %bb.290:                              ;   in Loop: Header=BB182_38 Depth=1
	v_bfe_u32 v2, v1, 16, 1
	s_delay_alu instid0(VALU_DEP_1)
	v_add3_u32 v105, v1, v2, 0x7fff
                                        ; implicit-def: $vgpr1
; %bb.291:                              ;   in Loop: Header=BB182_38 Depth=1
	s_and_not1_saveexec_b32 s16, s0
; %bb.292:                              ;   in Loop: Header=BB182_38 Depth=1
	v_and_b32_e32 v2, 0xffff, v1
	v_or_b32_e32 v105, 0x10000, v1
	s_delay_alu instid0(VALU_DEP_2) | instskip(NEXT) | instid1(VALU_DEP_1)
	v_cmp_eq_u32_e64 s0, 0, v2
	v_cndmask_b32_e64 v105, v105, v1, s0
; %bb.293:                              ;   in Loop: Header=BB182_38 Depth=1
	s_or_b32 exec_lo, exec_lo, s16
	v_lshlrev_b32_e32 v1, 16, v3
                                        ; implicit-def: $vgpr106
	s_delay_alu instid0(VALU_DEP_1) | instskip(NEXT) | instid1(VALU_DEP_1)
	v_mul_f32_e32 v1, v62, v1
	v_and_b32_e32 v2, 0x7f800000, v1
	s_delay_alu instid0(VALU_DEP_1) | instskip(NEXT) | instid1(VALU_DEP_1)
	v_cmp_ne_u32_e64 s0, 0x7f800000, v2
	s_and_saveexec_b32 s16, s0
	s_delay_alu instid0(SALU_CYCLE_1)
	s_xor_b32 s0, exec_lo, s16
; %bb.294:                              ;   in Loop: Header=BB182_38 Depth=1
	v_bfe_u32 v2, v1, 16, 1
	s_delay_alu instid0(VALU_DEP_1)
	v_add3_u32 v106, v1, v2, 0x7fff
                                        ; implicit-def: $vgpr1
; %bb.295:                              ;   in Loop: Header=BB182_38 Depth=1
	s_and_not1_saveexec_b32 s16, s0
; %bb.296:                              ;   in Loop: Header=BB182_38 Depth=1
	v_and_b32_e32 v2, 0xffff, v1
	v_or_b32_e32 v3, 0x10000, v1
	s_delay_alu instid0(VALU_DEP_2) | instskip(NEXT) | instid1(VALU_DEP_1)
	v_cmp_eq_u32_e64 s0, 0, v2
	v_cndmask_b32_e64 v106, v3, v1, s0
; %bb.297:                              ;   in Loop: Header=BB182_38 Depth=1
	s_or_b32 exec_lo, exec_lo, s16
	v_lshlrev_b32_e32 v1, 16, v107
                                        ; implicit-def: $vgpr107
	s_delay_alu instid0(VALU_DEP_1) | instskip(NEXT) | instid1(VALU_DEP_1)
	v_mul_f32_e32 v1, v64, v1
	v_and_b32_e32 v2, 0x7f800000, v1
	s_delay_alu instid0(VALU_DEP_1) | instskip(NEXT) | instid1(VALU_DEP_1)
	v_cmp_ne_u32_e64 s0, 0x7f800000, v2
	s_and_saveexec_b32 s16, s0
	s_delay_alu instid0(SALU_CYCLE_1)
	s_xor_b32 s0, exec_lo, s16
; %bb.298:                              ;   in Loop: Header=BB182_38 Depth=1
	v_bfe_u32 v2, v1, 16, 1
	s_delay_alu instid0(VALU_DEP_1)
	v_add3_u32 v107, v1, v2, 0x7fff
                                        ; implicit-def: $vgpr1
; %bb.299:                              ;   in Loop: Header=BB182_38 Depth=1
	s_and_not1_saveexec_b32 s16, s0
; %bb.300:                              ;   in Loop: Header=BB182_38 Depth=1
	v_and_b32_e32 v2, 0xffff, v1
	v_or_b32_e32 v3, 0x10000, v1
	s_delay_alu instid0(VALU_DEP_2) | instskip(NEXT) | instid1(VALU_DEP_1)
	v_cmp_eq_u32_e64 s0, 0, v2
	v_cndmask_b32_e64 v107, v3, v1, s0
; %bb.301:                              ;   in Loop: Header=BB182_38 Depth=1
	s_or_b32 exec_lo, exec_lo, s16
	v_lshlrev_b32_e32 v1, 16, v4
                                        ; implicit-def: $vgpr108
	s_delay_alu instid0(VALU_DEP_1) | instskip(NEXT) | instid1(VALU_DEP_1)
	v_mul_f32_e32 v1, v65, v1
	v_and_b32_e32 v2, 0x7f800000, v1
	s_delay_alu instid0(VALU_DEP_1) | instskip(NEXT) | instid1(VALU_DEP_1)
	v_cmp_ne_u32_e64 s0, 0x7f800000, v2
	s_and_saveexec_b32 s16, s0
	s_delay_alu instid0(SALU_CYCLE_1)
	s_xor_b32 s0, exec_lo, s16
; %bb.302:                              ;   in Loop: Header=BB182_38 Depth=1
	v_bfe_u32 v2, v1, 16, 1
	s_delay_alu instid0(VALU_DEP_1)
	v_add3_u32 v108, v1, v2, 0x7fff
                                        ; implicit-def: $vgpr1
; %bb.303:                              ;   in Loop: Header=BB182_38 Depth=1
	s_and_not1_saveexec_b32 s16, s0
; %bb.304:                              ;   in Loop: Header=BB182_38 Depth=1
	v_and_b32_e32 v2, 0xffff, v1
	v_or_b32_e32 v3, 0x10000, v1
	s_delay_alu instid0(VALU_DEP_2) | instskip(NEXT) | instid1(VALU_DEP_1)
	v_cmp_eq_u32_e64 s0, 0, v2
	v_cndmask_b32_e64 v108, v3, v1, s0
; %bb.305:                              ;   in Loop: Header=BB182_38 Depth=1
	s_or_b32 exec_lo, exec_lo, s16
	v_lshlrev_b32_e32 v1, 16, v109
                                        ; implicit-def: $vgpr109
	s_delay_alu instid0(VALU_DEP_1) | instskip(NEXT) | instid1(VALU_DEP_1)
	v_mul_f32_e32 v1, v66, v1
	v_and_b32_e32 v2, 0x7f800000, v1
	s_delay_alu instid0(VALU_DEP_1) | instskip(NEXT) | instid1(VALU_DEP_1)
	v_cmp_ne_u32_e64 s0, 0x7f800000, v2
	s_and_saveexec_b32 s16, s0
	s_delay_alu instid0(SALU_CYCLE_1)
	s_xor_b32 s0, exec_lo, s16
; %bb.306:                              ;   in Loop: Header=BB182_38 Depth=1
	v_bfe_u32 v2, v1, 16, 1
	s_delay_alu instid0(VALU_DEP_1)
	v_add3_u32 v109, v1, v2, 0x7fff
                                        ; implicit-def: $vgpr1
; %bb.307:                              ;   in Loop: Header=BB182_38 Depth=1
	s_and_not1_saveexec_b32 s16, s0
; %bb.308:                              ;   in Loop: Header=BB182_38 Depth=1
	v_and_b32_e32 v2, 0xffff, v1
	v_or_b32_e32 v3, 0x10000, v1
	s_delay_alu instid0(VALU_DEP_2) | instskip(NEXT) | instid1(VALU_DEP_1)
	v_cmp_eq_u32_e64 s0, 0, v2
	v_cndmask_b32_e64 v109, v3, v1, s0
; %bb.309:                              ;   in Loop: Header=BB182_38 Depth=1
	s_or_b32 exec_lo, exec_lo, s16
	global_load_b128 v[1:4], v[5:6], off offset:3584
	s_waitcnt vmcnt(0)
	v_lshrrev_b32_e32 v6, 16, v1
	v_lshrrev_b32_e32 v111, 16, v2
	;; [unrolled: 1-line block ×4, first 2 shown]
	s_and_saveexec_b32 s16, vcc_lo
	s_cbranch_execz .LBB182_311
; %bb.310:                              ;   in Loop: Header=BB182_38 Depth=1
	v_cmp_gt_i32_e64 s0, s33, v47
	s_delay_alu instid0(VALU_DEP_1) | instskip(SKIP_1) | instid1(VALU_DEP_1)
	v_cndmask_b32_e64 v1, 0, v1, s0
	v_cmp_gt_i32_e64 s0, s33, v54
	v_cndmask_b32_e64 v6, 0, v6, s0
	v_cmp_gt_i32_e64 s0, s33, v53
	s_delay_alu instid0(VALU_DEP_1) | instskip(SKIP_1) | instid1(VALU_DEP_1)
	v_cndmask_b32_e64 v2, 0, v2, s0
	v_cmp_gt_i32_e64 s0, s33, v51
	v_cndmask_b32_e64 v111, 0, v111, s0
	;; [unrolled: 5-line block ×4, first 2 shown]
.LBB182_311:                            ;   in Loop: Header=BB182_38 Depth=1
	s_or_b32 exec_lo, exec_lo, s16
	v_lshlrev_b32_e32 v1, 16, v1
	s_delay_alu instid0(VALU_DEP_1) | instskip(NEXT) | instid1(VALU_DEP_1)
	v_mul_f32_e32 v1, v58, v1
	v_and_b32_e32 v5, 0x7f800000, v1
	s_delay_alu instid0(VALU_DEP_1) | instskip(NEXT) | instid1(VALU_DEP_1)
	v_cmp_ne_u32_e64 s0, 0x7f800000, v5
                                        ; implicit-def: $vgpr5
	s_and_saveexec_b32 s16, s0
	s_delay_alu instid0(SALU_CYCLE_1)
	s_xor_b32 s0, exec_lo, s16
; %bb.312:                              ;   in Loop: Header=BB182_38 Depth=1
	v_bfe_u32 v5, v1, 16, 1
	s_delay_alu instid0(VALU_DEP_1)
	v_add3_u32 v5, v1, v5, 0x7fff
                                        ; implicit-def: $vgpr1
; %bb.313:                              ;   in Loop: Header=BB182_38 Depth=1
	s_and_not1_saveexec_b32 s16, s0
; %bb.314:                              ;   in Loop: Header=BB182_38 Depth=1
	v_and_b32_e32 v5, 0xffff, v1
	v_or_b32_e32 v110, 0x10000, v1
	s_delay_alu instid0(VALU_DEP_2) | instskip(NEXT) | instid1(VALU_DEP_1)
	v_cmp_eq_u32_e64 s0, 0, v5
	v_cndmask_b32_e64 v5, v110, v1, s0
; %bb.315:                              ;   in Loop: Header=BB182_38 Depth=1
	s_or_b32 exec_lo, exec_lo, s16
	v_lshlrev_b32_e32 v1, 16, v6
	s_delay_alu instid0(VALU_DEP_1) | instskip(NEXT) | instid1(VALU_DEP_1)
	v_mul_f32_e32 v1, v59, v1
	v_and_b32_e32 v6, 0x7f800000, v1
	s_delay_alu instid0(VALU_DEP_1) | instskip(NEXT) | instid1(VALU_DEP_1)
	v_cmp_ne_u32_e64 s0, 0x7f800000, v6
                                        ; implicit-def: $vgpr6
	s_and_saveexec_b32 s16, s0
	s_delay_alu instid0(SALU_CYCLE_1)
	s_xor_b32 s0, exec_lo, s16
; %bb.316:                              ;   in Loop: Header=BB182_38 Depth=1
	v_bfe_u32 v6, v1, 16, 1
	s_delay_alu instid0(VALU_DEP_1)
	v_add3_u32 v6, v1, v6, 0x7fff
                                        ; implicit-def: $vgpr1
; %bb.317:                              ;   in Loop: Header=BB182_38 Depth=1
	s_and_not1_saveexec_b32 s16, s0
; %bb.318:                              ;   in Loop: Header=BB182_38 Depth=1
	v_and_b32_e32 v6, 0xffff, v1
	v_or_b32_e32 v110, 0x10000, v1
	s_delay_alu instid0(VALU_DEP_2) | instskip(NEXT) | instid1(VALU_DEP_1)
	v_cmp_eq_u32_e64 s0, 0, v6
	v_cndmask_b32_e64 v6, v110, v1, s0
; %bb.319:                              ;   in Loop: Header=BB182_38 Depth=1
	s_or_b32 exec_lo, exec_lo, s16
	v_lshlrev_b32_e32 v1, 16, v2
                                        ; implicit-def: $vgpr110
	s_delay_alu instid0(VALU_DEP_1) | instskip(NEXT) | instid1(VALU_DEP_1)
	v_mul_f32_e32 v1, v60, v1
	v_and_b32_e32 v2, 0x7f800000, v1
	s_delay_alu instid0(VALU_DEP_1) | instskip(NEXT) | instid1(VALU_DEP_1)
	v_cmp_ne_u32_e64 s0, 0x7f800000, v2
	s_and_saveexec_b32 s16, s0
	s_delay_alu instid0(SALU_CYCLE_1)
	s_xor_b32 s0, exec_lo, s16
; %bb.320:                              ;   in Loop: Header=BB182_38 Depth=1
	v_bfe_u32 v2, v1, 16, 1
	s_delay_alu instid0(VALU_DEP_1)
	v_add3_u32 v110, v1, v2, 0x7fff
                                        ; implicit-def: $vgpr1
; %bb.321:                              ;   in Loop: Header=BB182_38 Depth=1
	s_and_not1_saveexec_b32 s16, s0
; %bb.322:                              ;   in Loop: Header=BB182_38 Depth=1
	v_and_b32_e32 v2, 0xffff, v1
	v_or_b32_e32 v110, 0x10000, v1
	s_delay_alu instid0(VALU_DEP_2) | instskip(NEXT) | instid1(VALU_DEP_1)
	v_cmp_eq_u32_e64 s0, 0, v2
	v_cndmask_b32_e64 v110, v110, v1, s0
; %bb.323:                              ;   in Loop: Header=BB182_38 Depth=1
	s_or_b32 exec_lo, exec_lo, s16
	v_lshlrev_b32_e32 v1, 16, v111
                                        ; implicit-def: $vgpr111
	s_delay_alu instid0(VALU_DEP_1) | instskip(NEXT) | instid1(VALU_DEP_1)
	v_mul_f32_e32 v1, v61, v1
	v_and_b32_e32 v2, 0x7f800000, v1
	s_delay_alu instid0(VALU_DEP_1) | instskip(NEXT) | instid1(VALU_DEP_1)
	v_cmp_ne_u32_e64 s0, 0x7f800000, v2
	s_and_saveexec_b32 s16, s0
	s_delay_alu instid0(SALU_CYCLE_1)
	s_xor_b32 s0, exec_lo, s16
; %bb.324:                              ;   in Loop: Header=BB182_38 Depth=1
	v_bfe_u32 v2, v1, 16, 1
	s_delay_alu instid0(VALU_DEP_1)
	v_add3_u32 v111, v1, v2, 0x7fff
                                        ; implicit-def: $vgpr1
; %bb.325:                              ;   in Loop: Header=BB182_38 Depth=1
	s_and_not1_saveexec_b32 s16, s0
; %bb.326:                              ;   in Loop: Header=BB182_38 Depth=1
	v_and_b32_e32 v2, 0xffff, v1
	v_or_b32_e32 v111, 0x10000, v1
	s_delay_alu instid0(VALU_DEP_2) | instskip(NEXT) | instid1(VALU_DEP_1)
	v_cmp_eq_u32_e64 s0, 0, v2
	v_cndmask_b32_e64 v111, v111, v1, s0
; %bb.327:                              ;   in Loop: Header=BB182_38 Depth=1
	s_or_b32 exec_lo, exec_lo, s16
	v_lshlrev_b32_e32 v1, 16, v3
                                        ; implicit-def: $vgpr112
	s_delay_alu instid0(VALU_DEP_1) | instskip(NEXT) | instid1(VALU_DEP_1)
	v_mul_f32_e32 v1, v62, v1
	v_and_b32_e32 v2, 0x7f800000, v1
	s_delay_alu instid0(VALU_DEP_1) | instskip(NEXT) | instid1(VALU_DEP_1)
	v_cmp_ne_u32_e64 s0, 0x7f800000, v2
	s_and_saveexec_b32 s16, s0
	s_delay_alu instid0(SALU_CYCLE_1)
	s_xor_b32 s0, exec_lo, s16
; %bb.328:                              ;   in Loop: Header=BB182_38 Depth=1
	v_bfe_u32 v2, v1, 16, 1
	s_delay_alu instid0(VALU_DEP_1)
	v_add3_u32 v112, v1, v2, 0x7fff
                                        ; implicit-def: $vgpr1
; %bb.329:                              ;   in Loop: Header=BB182_38 Depth=1
	s_and_not1_saveexec_b32 s16, s0
; %bb.330:                              ;   in Loop: Header=BB182_38 Depth=1
	v_and_b32_e32 v2, 0xffff, v1
	v_or_b32_e32 v3, 0x10000, v1
	s_delay_alu instid0(VALU_DEP_2) | instskip(NEXT) | instid1(VALU_DEP_1)
	v_cmp_eq_u32_e64 s0, 0, v2
	v_cndmask_b32_e64 v112, v3, v1, s0
; %bb.331:                              ;   in Loop: Header=BB182_38 Depth=1
	s_or_b32 exec_lo, exec_lo, s16
	v_lshlrev_b32_e32 v1, 16, v113
                                        ; implicit-def: $vgpr113
	s_delay_alu instid0(VALU_DEP_1) | instskip(NEXT) | instid1(VALU_DEP_1)
	v_mul_f32_e32 v1, v64, v1
	v_and_b32_e32 v2, 0x7f800000, v1
	s_delay_alu instid0(VALU_DEP_1) | instskip(NEXT) | instid1(VALU_DEP_1)
	v_cmp_ne_u32_e64 s0, 0x7f800000, v2
	s_and_saveexec_b32 s16, s0
	s_delay_alu instid0(SALU_CYCLE_1)
	s_xor_b32 s0, exec_lo, s16
; %bb.332:                              ;   in Loop: Header=BB182_38 Depth=1
	v_bfe_u32 v2, v1, 16, 1
	s_delay_alu instid0(VALU_DEP_1)
	v_add3_u32 v113, v1, v2, 0x7fff
                                        ; implicit-def: $vgpr1
; %bb.333:                              ;   in Loop: Header=BB182_38 Depth=1
	s_and_not1_saveexec_b32 s16, s0
; %bb.334:                              ;   in Loop: Header=BB182_38 Depth=1
	v_and_b32_e32 v2, 0xffff, v1
	v_or_b32_e32 v3, 0x10000, v1
	s_delay_alu instid0(VALU_DEP_2) | instskip(NEXT) | instid1(VALU_DEP_1)
	v_cmp_eq_u32_e64 s0, 0, v2
	v_cndmask_b32_e64 v113, v3, v1, s0
; %bb.335:                              ;   in Loop: Header=BB182_38 Depth=1
	s_or_b32 exec_lo, exec_lo, s16
	v_lshlrev_b32_e32 v1, 16, v4
                                        ; implicit-def: $vgpr114
	s_delay_alu instid0(VALU_DEP_1) | instskip(NEXT) | instid1(VALU_DEP_1)
	v_mul_f32_e32 v1, v65, v1
	v_and_b32_e32 v2, 0x7f800000, v1
	s_delay_alu instid0(VALU_DEP_1) | instskip(NEXT) | instid1(VALU_DEP_1)
	v_cmp_ne_u32_e64 s0, 0x7f800000, v2
	s_and_saveexec_b32 s16, s0
	s_delay_alu instid0(SALU_CYCLE_1)
	s_xor_b32 s0, exec_lo, s16
; %bb.336:                              ;   in Loop: Header=BB182_38 Depth=1
	v_bfe_u32 v2, v1, 16, 1
	s_delay_alu instid0(VALU_DEP_1)
	v_add3_u32 v114, v1, v2, 0x7fff
                                        ; implicit-def: $vgpr1
; %bb.337:                              ;   in Loop: Header=BB182_38 Depth=1
	s_and_not1_saveexec_b32 s16, s0
; %bb.338:                              ;   in Loop: Header=BB182_38 Depth=1
	v_and_b32_e32 v2, 0xffff, v1
	v_or_b32_e32 v3, 0x10000, v1
	s_delay_alu instid0(VALU_DEP_2) | instskip(NEXT) | instid1(VALU_DEP_1)
	v_cmp_eq_u32_e64 s0, 0, v2
	v_cndmask_b32_e64 v114, v3, v1, s0
; %bb.339:                              ;   in Loop: Header=BB182_38 Depth=1
	s_or_b32 exec_lo, exec_lo, s16
	v_lshlrev_b32_e32 v1, 16, v115
                                        ; implicit-def: $vgpr115
	s_delay_alu instid0(VALU_DEP_1) | instskip(NEXT) | instid1(VALU_DEP_1)
	v_mul_f32_e32 v1, v66, v1
	v_and_b32_e32 v2, 0x7f800000, v1
	s_delay_alu instid0(VALU_DEP_1) | instskip(NEXT) | instid1(VALU_DEP_1)
	v_cmp_ne_u32_e64 s0, 0x7f800000, v2
	s_and_saveexec_b32 s16, s0
	s_delay_alu instid0(SALU_CYCLE_1)
	s_xor_b32 s0, exec_lo, s16
; %bb.340:                              ;   in Loop: Header=BB182_38 Depth=1
	v_bfe_u32 v2, v1, 16, 1
	s_delay_alu instid0(VALU_DEP_1)
	v_add3_u32 v115, v1, v2, 0x7fff
                                        ; implicit-def: $vgpr1
; %bb.341:                              ;   in Loop: Header=BB182_38 Depth=1
	s_and_not1_saveexec_b32 s16, s0
; %bb.342:                              ;   in Loop: Header=BB182_38 Depth=1
	v_and_b32_e32 v2, 0xffff, v1
	v_or_b32_e32 v3, 0x10000, v1
	s_delay_alu instid0(VALU_DEP_2) | instskip(NEXT) | instid1(VALU_DEP_1)
	v_cmp_eq_u32_e64 s0, 0, v2
	v_cndmask_b32_e64 v115, v3, v1, s0
; %bb.343:                              ;   in Loop: Header=BB182_38 Depth=1
	s_or_b32 exec_lo, exec_lo, s16
	v_add_co_u32 v1, s0, v56, v29
	s_delay_alu instid0(VALU_DEP_1)
	v_add_co_ci_u32_e64 v2, s0, 0, v57, s0
	global_load_b128 v[1:4], v[1:2], off
	s_waitcnt vmcnt(0)
	v_lshrrev_b32_e32 v117, 16, v1
	v_lshrrev_b32_e32 v119, 16, v2
	;; [unrolled: 1-line block ×4, first 2 shown]
	s_and_saveexec_b32 s16, vcc_lo
	s_cbranch_execz .LBB182_345
; %bb.344:                              ;   in Loop: Header=BB182_38 Depth=1
	v_cmp_gt_i32_e64 s0, s33, v47
	s_delay_alu instid0(VALU_DEP_1) | instskip(SKIP_1) | instid1(VALU_DEP_1)
	v_cndmask_b32_e64 v1, 0, v1, s0
	v_cmp_gt_i32_e64 s0, s33, v54
	v_cndmask_b32_e64 v117, 0, v117, s0
	v_cmp_gt_i32_e64 s0, s33, v53
	s_delay_alu instid0(VALU_DEP_1) | instskip(SKIP_1) | instid1(VALU_DEP_1)
	v_cndmask_b32_e64 v2, 0, v2, s0
	v_cmp_gt_i32_e64 s0, s33, v51
	v_cndmask_b32_e64 v119, 0, v119, s0
	;; [unrolled: 5-line block ×4, first 2 shown]
.LBB182_345:                            ;   in Loop: Header=BB182_38 Depth=1
	s_or_b32 exec_lo, exec_lo, s16
	v_lshlrev_b32_e32 v1, 16, v1
	s_delay_alu instid0(VALU_DEP_1) | instskip(NEXT) | instid1(VALU_DEP_1)
	v_mul_f32_e32 v1, v58, v1
	v_and_b32_e32 v116, 0x7f800000, v1
	s_delay_alu instid0(VALU_DEP_1) | instskip(NEXT) | instid1(VALU_DEP_1)
	v_cmp_ne_u32_e64 s0, 0x7f800000, v116
                                        ; implicit-def: $vgpr116
	s_and_saveexec_b32 s16, s0
	s_delay_alu instid0(SALU_CYCLE_1)
	s_xor_b32 s0, exec_lo, s16
; %bb.346:                              ;   in Loop: Header=BB182_38 Depth=1
	v_bfe_u32 v116, v1, 16, 1
	s_delay_alu instid0(VALU_DEP_1)
	v_add3_u32 v116, v1, v116, 0x7fff
                                        ; implicit-def: $vgpr1
; %bb.347:                              ;   in Loop: Header=BB182_38 Depth=1
	s_and_not1_saveexec_b32 s16, s0
; %bb.348:                              ;   in Loop: Header=BB182_38 Depth=1
	v_and_b32_e32 v116, 0xffff, v1
	v_or_b32_e32 v118, 0x10000, v1
	s_delay_alu instid0(VALU_DEP_2) | instskip(NEXT) | instid1(VALU_DEP_1)
	v_cmp_eq_u32_e64 s0, 0, v116
	v_cndmask_b32_e64 v116, v118, v1, s0
; %bb.349:                              ;   in Loop: Header=BB182_38 Depth=1
	s_or_b32 exec_lo, exec_lo, s16
	v_lshlrev_b32_e32 v1, 16, v117
	s_delay_alu instid0(VALU_DEP_1) | instskip(NEXT) | instid1(VALU_DEP_1)
	v_mul_f32_e32 v1, v59, v1
	v_and_b32_e32 v117, 0x7f800000, v1
	s_delay_alu instid0(VALU_DEP_1) | instskip(NEXT) | instid1(VALU_DEP_1)
	v_cmp_ne_u32_e64 s0, 0x7f800000, v117
                                        ; implicit-def: $vgpr117
	s_and_saveexec_b32 s16, s0
	s_delay_alu instid0(SALU_CYCLE_1)
	s_xor_b32 s0, exec_lo, s16
; %bb.350:                              ;   in Loop: Header=BB182_38 Depth=1
	v_bfe_u32 v117, v1, 16, 1
	s_delay_alu instid0(VALU_DEP_1)
	v_add3_u32 v117, v1, v117, 0x7fff
                                        ; implicit-def: $vgpr1
; %bb.351:                              ;   in Loop: Header=BB182_38 Depth=1
	s_and_not1_saveexec_b32 s16, s0
; %bb.352:                              ;   in Loop: Header=BB182_38 Depth=1
	v_and_b32_e32 v117, 0xffff, v1
	v_or_b32_e32 v118, 0x10000, v1
	s_delay_alu instid0(VALU_DEP_2) | instskip(NEXT) | instid1(VALU_DEP_1)
	v_cmp_eq_u32_e64 s0, 0, v117
	v_cndmask_b32_e64 v117, v118, v1, s0
; %bb.353:                              ;   in Loop: Header=BB182_38 Depth=1
	s_or_b32 exec_lo, exec_lo, s16
	v_lshlrev_b32_e32 v1, 16, v2
                                        ; implicit-def: $vgpr118
	s_delay_alu instid0(VALU_DEP_1) | instskip(NEXT) | instid1(VALU_DEP_1)
	v_mul_f32_e32 v1, v60, v1
	v_and_b32_e32 v2, 0x7f800000, v1
	s_delay_alu instid0(VALU_DEP_1) | instskip(NEXT) | instid1(VALU_DEP_1)
	v_cmp_ne_u32_e64 s0, 0x7f800000, v2
	s_and_saveexec_b32 s16, s0
	s_delay_alu instid0(SALU_CYCLE_1)
	s_xor_b32 s0, exec_lo, s16
; %bb.354:                              ;   in Loop: Header=BB182_38 Depth=1
	v_bfe_u32 v2, v1, 16, 1
	s_delay_alu instid0(VALU_DEP_1)
	v_add3_u32 v118, v1, v2, 0x7fff
                                        ; implicit-def: $vgpr1
; %bb.355:                              ;   in Loop: Header=BB182_38 Depth=1
	s_and_not1_saveexec_b32 s16, s0
; %bb.356:                              ;   in Loop: Header=BB182_38 Depth=1
	v_and_b32_e32 v2, 0xffff, v1
	v_or_b32_e32 v118, 0x10000, v1
	s_delay_alu instid0(VALU_DEP_2) | instskip(NEXT) | instid1(VALU_DEP_1)
	v_cmp_eq_u32_e64 s0, 0, v2
	v_cndmask_b32_e64 v118, v118, v1, s0
; %bb.357:                              ;   in Loop: Header=BB182_38 Depth=1
	s_or_b32 exec_lo, exec_lo, s16
	v_lshlrev_b32_e32 v1, 16, v119
                                        ; implicit-def: $vgpr119
	s_delay_alu instid0(VALU_DEP_1) | instskip(NEXT) | instid1(VALU_DEP_1)
	v_mul_f32_e32 v1, v61, v1
	v_and_b32_e32 v2, 0x7f800000, v1
	s_delay_alu instid0(VALU_DEP_1) | instskip(NEXT) | instid1(VALU_DEP_1)
	v_cmp_ne_u32_e64 s0, 0x7f800000, v2
	s_and_saveexec_b32 s16, s0
	s_delay_alu instid0(SALU_CYCLE_1)
	s_xor_b32 s0, exec_lo, s16
; %bb.358:                              ;   in Loop: Header=BB182_38 Depth=1
	v_bfe_u32 v2, v1, 16, 1
	s_delay_alu instid0(VALU_DEP_1)
	v_add3_u32 v119, v1, v2, 0x7fff
                                        ; implicit-def: $vgpr1
; %bb.359:                              ;   in Loop: Header=BB182_38 Depth=1
	s_and_not1_saveexec_b32 s16, s0
; %bb.360:                              ;   in Loop: Header=BB182_38 Depth=1
	v_and_b32_e32 v2, 0xffff, v1
	v_or_b32_e32 v119, 0x10000, v1
	s_delay_alu instid0(VALU_DEP_2) | instskip(NEXT) | instid1(VALU_DEP_1)
	v_cmp_eq_u32_e64 s0, 0, v2
	v_cndmask_b32_e64 v119, v119, v1, s0
; %bb.361:                              ;   in Loop: Header=BB182_38 Depth=1
	s_or_b32 exec_lo, exec_lo, s16
	v_lshlrev_b32_e32 v1, 16, v3
                                        ; implicit-def: $vgpr120
	s_delay_alu instid0(VALU_DEP_1) | instskip(NEXT) | instid1(VALU_DEP_1)
	v_mul_f32_e32 v1, v62, v1
	v_and_b32_e32 v2, 0x7f800000, v1
	s_delay_alu instid0(VALU_DEP_1) | instskip(NEXT) | instid1(VALU_DEP_1)
	v_cmp_ne_u32_e64 s0, 0x7f800000, v2
	s_and_saveexec_b32 s16, s0
	s_delay_alu instid0(SALU_CYCLE_1)
	s_xor_b32 s0, exec_lo, s16
; %bb.362:                              ;   in Loop: Header=BB182_38 Depth=1
	v_bfe_u32 v2, v1, 16, 1
	s_delay_alu instid0(VALU_DEP_1)
	v_add3_u32 v120, v1, v2, 0x7fff
                                        ; implicit-def: $vgpr1
; %bb.363:                              ;   in Loop: Header=BB182_38 Depth=1
	s_and_not1_saveexec_b32 s16, s0
; %bb.364:                              ;   in Loop: Header=BB182_38 Depth=1
	v_and_b32_e32 v2, 0xffff, v1
	v_or_b32_e32 v3, 0x10000, v1
	s_delay_alu instid0(VALU_DEP_2) | instskip(NEXT) | instid1(VALU_DEP_1)
	v_cmp_eq_u32_e64 s0, 0, v2
	v_cndmask_b32_e64 v120, v3, v1, s0
; %bb.365:                              ;   in Loop: Header=BB182_38 Depth=1
	s_or_b32 exec_lo, exec_lo, s16
	v_lshlrev_b32_e32 v1, 16, v121
                                        ; implicit-def: $vgpr121
	s_delay_alu instid0(VALU_DEP_1) | instskip(NEXT) | instid1(VALU_DEP_1)
	v_mul_f32_e32 v1, v64, v1
	v_and_b32_e32 v2, 0x7f800000, v1
	s_delay_alu instid0(VALU_DEP_1) | instskip(NEXT) | instid1(VALU_DEP_1)
	v_cmp_ne_u32_e64 s0, 0x7f800000, v2
	s_and_saveexec_b32 s16, s0
	s_delay_alu instid0(SALU_CYCLE_1)
	s_xor_b32 s0, exec_lo, s16
; %bb.366:                              ;   in Loop: Header=BB182_38 Depth=1
	v_bfe_u32 v2, v1, 16, 1
	s_delay_alu instid0(VALU_DEP_1)
	v_add3_u32 v121, v1, v2, 0x7fff
                                        ; implicit-def: $vgpr1
; %bb.367:                              ;   in Loop: Header=BB182_38 Depth=1
	s_and_not1_saveexec_b32 s16, s0
; %bb.368:                              ;   in Loop: Header=BB182_38 Depth=1
	v_and_b32_e32 v2, 0xffff, v1
	v_or_b32_e32 v3, 0x10000, v1
	s_delay_alu instid0(VALU_DEP_2) | instskip(NEXT) | instid1(VALU_DEP_1)
	v_cmp_eq_u32_e64 s0, 0, v2
	v_cndmask_b32_e64 v121, v3, v1, s0
; %bb.369:                              ;   in Loop: Header=BB182_38 Depth=1
	s_or_b32 exec_lo, exec_lo, s16
	v_lshlrev_b32_e32 v1, 16, v4
                                        ; implicit-def: $vgpr122
	s_delay_alu instid0(VALU_DEP_1) | instskip(NEXT) | instid1(VALU_DEP_1)
	v_mul_f32_e32 v1, v65, v1
	v_and_b32_e32 v2, 0x7f800000, v1
	s_delay_alu instid0(VALU_DEP_1) | instskip(NEXT) | instid1(VALU_DEP_1)
	v_cmp_ne_u32_e64 s0, 0x7f800000, v2
	s_and_saveexec_b32 s16, s0
	s_delay_alu instid0(SALU_CYCLE_1)
	s_xor_b32 s0, exec_lo, s16
; %bb.370:                              ;   in Loop: Header=BB182_38 Depth=1
	v_bfe_u32 v2, v1, 16, 1
	s_delay_alu instid0(VALU_DEP_1)
	v_add3_u32 v122, v1, v2, 0x7fff
                                        ; implicit-def: $vgpr1
; %bb.371:                              ;   in Loop: Header=BB182_38 Depth=1
	s_and_not1_saveexec_b32 s16, s0
; %bb.372:                              ;   in Loop: Header=BB182_38 Depth=1
	v_and_b32_e32 v2, 0xffff, v1
	v_or_b32_e32 v3, 0x10000, v1
	s_delay_alu instid0(VALU_DEP_2) | instskip(NEXT) | instid1(VALU_DEP_1)
	v_cmp_eq_u32_e64 s0, 0, v2
	v_cndmask_b32_e64 v122, v3, v1, s0
; %bb.373:                              ;   in Loop: Header=BB182_38 Depth=1
	s_or_b32 exec_lo, exec_lo, s16
	v_lshlrev_b32_e32 v1, 16, v123
                                        ; implicit-def: $vgpr123
	s_delay_alu instid0(VALU_DEP_1) | instskip(NEXT) | instid1(VALU_DEP_1)
	v_mul_f32_e32 v1, v66, v1
	v_and_b32_e32 v2, 0x7f800000, v1
	s_delay_alu instid0(VALU_DEP_1) | instskip(NEXT) | instid1(VALU_DEP_1)
	v_cmp_ne_u32_e64 s0, 0x7f800000, v2
	s_and_saveexec_b32 s16, s0
	s_delay_alu instid0(SALU_CYCLE_1)
	s_xor_b32 s0, exec_lo, s16
; %bb.374:                              ;   in Loop: Header=BB182_38 Depth=1
	v_bfe_u32 v2, v1, 16, 1
	s_delay_alu instid0(VALU_DEP_1)
	v_add3_u32 v123, v1, v2, 0x7fff
                                        ; implicit-def: $vgpr1
; %bb.375:                              ;   in Loop: Header=BB182_38 Depth=1
	s_and_not1_saveexec_b32 s16, s0
; %bb.376:                              ;   in Loop: Header=BB182_38 Depth=1
	v_and_b32_e32 v2, 0xffff, v1
	v_or_b32_e32 v3, 0x10000, v1
	s_delay_alu instid0(VALU_DEP_2) | instskip(NEXT) | instid1(VALU_DEP_1)
	v_cmp_eq_u32_e64 s0, 0, v2
	v_cndmask_b32_e64 v123, v3, v1, s0
; %bb.377:                              ;   in Loop: Header=BB182_38 Depth=1
	s_or_b32 exec_lo, exec_lo, s16
	v_add_co_u32 v1, s0, v56, v30
	s_delay_alu instid0(VALU_DEP_1)
	v_add_co_ci_u32_e64 v2, s0, 0, v57, s0
	global_load_b128 v[1:4], v[1:2], off
	s_waitcnt vmcnt(0)
	v_lshrrev_b32_e32 v125, 16, v1
	v_lshrrev_b32_e32 v127, 16, v2
	;; [unrolled: 1-line block ×4, first 2 shown]
	s_and_saveexec_b32 s16, vcc_lo
	s_cbranch_execz .LBB182_379
; %bb.378:                              ;   in Loop: Header=BB182_38 Depth=1
	v_cmp_gt_i32_e64 s0, s33, v47
	s_delay_alu instid0(VALU_DEP_1) | instskip(SKIP_1) | instid1(VALU_DEP_1)
	v_cndmask_b32_e64 v1, 0, v1, s0
	v_cmp_gt_i32_e64 s0, s33, v54
	v_cndmask_b32_e64 v125, 0, v125, s0
	v_cmp_gt_i32_e64 s0, s33, v53
	s_delay_alu instid0(VALU_DEP_1) | instskip(SKIP_1) | instid1(VALU_DEP_1)
	v_cndmask_b32_e64 v2, 0, v2, s0
	v_cmp_gt_i32_e64 s0, s33, v51
	v_cndmask_b32_e64 v127, 0, v127, s0
	;; [unrolled: 5-line block ×4, first 2 shown]
.LBB182_379:                            ;   in Loop: Header=BB182_38 Depth=1
	s_or_b32 exec_lo, exec_lo, s16
	v_lshlrev_b32_e32 v1, 16, v1
	s_delay_alu instid0(VALU_DEP_1) | instskip(NEXT) | instid1(VALU_DEP_1)
	v_mul_f32_e32 v1, v58, v1
	v_and_b32_e32 v124, 0x7f800000, v1
	s_delay_alu instid0(VALU_DEP_1) | instskip(NEXT) | instid1(VALU_DEP_1)
	v_cmp_ne_u32_e64 s0, 0x7f800000, v124
                                        ; implicit-def: $vgpr124
	s_and_saveexec_b32 s16, s0
	s_delay_alu instid0(SALU_CYCLE_1)
	s_xor_b32 s0, exec_lo, s16
; %bb.380:                              ;   in Loop: Header=BB182_38 Depth=1
	v_bfe_u32 v124, v1, 16, 1
	s_delay_alu instid0(VALU_DEP_1)
	v_add3_u32 v124, v1, v124, 0x7fff
                                        ; implicit-def: $vgpr1
; %bb.381:                              ;   in Loop: Header=BB182_38 Depth=1
	s_and_not1_saveexec_b32 s16, s0
; %bb.382:                              ;   in Loop: Header=BB182_38 Depth=1
	v_and_b32_e32 v124, 0xffff, v1
	v_or_b32_e32 v126, 0x10000, v1
	s_delay_alu instid0(VALU_DEP_2) | instskip(NEXT) | instid1(VALU_DEP_1)
	v_cmp_eq_u32_e64 s0, 0, v124
	v_cndmask_b32_e64 v124, v126, v1, s0
; %bb.383:                              ;   in Loop: Header=BB182_38 Depth=1
	s_or_b32 exec_lo, exec_lo, s16
	v_lshlrev_b32_e32 v1, 16, v125
	s_delay_alu instid0(VALU_DEP_1) | instskip(NEXT) | instid1(VALU_DEP_1)
	v_mul_f32_e32 v1, v59, v1
	v_and_b32_e32 v125, 0x7f800000, v1
	s_delay_alu instid0(VALU_DEP_1) | instskip(NEXT) | instid1(VALU_DEP_1)
	v_cmp_ne_u32_e64 s0, 0x7f800000, v125
                                        ; implicit-def: $vgpr125
	s_and_saveexec_b32 s16, s0
	s_delay_alu instid0(SALU_CYCLE_1)
	s_xor_b32 s0, exec_lo, s16
; %bb.384:                              ;   in Loop: Header=BB182_38 Depth=1
	v_bfe_u32 v125, v1, 16, 1
	s_delay_alu instid0(VALU_DEP_1)
	v_add3_u32 v125, v1, v125, 0x7fff
                                        ; implicit-def: $vgpr1
; %bb.385:                              ;   in Loop: Header=BB182_38 Depth=1
	s_and_not1_saveexec_b32 s16, s0
; %bb.386:                              ;   in Loop: Header=BB182_38 Depth=1
	v_and_b32_e32 v125, 0xffff, v1
	v_or_b32_e32 v126, 0x10000, v1
	s_delay_alu instid0(VALU_DEP_2) | instskip(NEXT) | instid1(VALU_DEP_1)
	v_cmp_eq_u32_e64 s0, 0, v125
	v_cndmask_b32_e64 v125, v126, v1, s0
; %bb.387:                              ;   in Loop: Header=BB182_38 Depth=1
	s_or_b32 exec_lo, exec_lo, s16
	v_lshlrev_b32_e32 v1, 16, v2
                                        ; implicit-def: $vgpr126
	s_delay_alu instid0(VALU_DEP_1) | instskip(NEXT) | instid1(VALU_DEP_1)
	v_mul_f32_e32 v1, v60, v1
	v_and_b32_e32 v2, 0x7f800000, v1
	s_delay_alu instid0(VALU_DEP_1) | instskip(NEXT) | instid1(VALU_DEP_1)
	v_cmp_ne_u32_e64 s0, 0x7f800000, v2
	s_and_saveexec_b32 s16, s0
	s_delay_alu instid0(SALU_CYCLE_1)
	s_xor_b32 s0, exec_lo, s16
; %bb.388:                              ;   in Loop: Header=BB182_38 Depth=1
	v_bfe_u32 v2, v1, 16, 1
	s_delay_alu instid0(VALU_DEP_1)
	v_add3_u32 v126, v1, v2, 0x7fff
                                        ; implicit-def: $vgpr1
; %bb.389:                              ;   in Loop: Header=BB182_38 Depth=1
	s_and_not1_saveexec_b32 s16, s0
; %bb.390:                              ;   in Loop: Header=BB182_38 Depth=1
	v_and_b32_e32 v2, 0xffff, v1
	v_or_b32_e32 v126, 0x10000, v1
	s_delay_alu instid0(VALU_DEP_2) | instskip(NEXT) | instid1(VALU_DEP_1)
	v_cmp_eq_u32_e64 s0, 0, v2
	v_cndmask_b32_e64 v126, v126, v1, s0
; %bb.391:                              ;   in Loop: Header=BB182_38 Depth=1
	s_or_b32 exec_lo, exec_lo, s16
	v_lshlrev_b32_e32 v1, 16, v127
                                        ; implicit-def: $vgpr127
	s_delay_alu instid0(VALU_DEP_1) | instskip(NEXT) | instid1(VALU_DEP_1)
	v_mul_f32_e32 v1, v61, v1
	v_and_b32_e32 v2, 0x7f800000, v1
	s_delay_alu instid0(VALU_DEP_1) | instskip(NEXT) | instid1(VALU_DEP_1)
	v_cmp_ne_u32_e64 s0, 0x7f800000, v2
	s_and_saveexec_b32 s16, s0
	s_delay_alu instid0(SALU_CYCLE_1)
	s_xor_b32 s0, exec_lo, s16
; %bb.392:                              ;   in Loop: Header=BB182_38 Depth=1
	v_bfe_u32 v2, v1, 16, 1
	s_delay_alu instid0(VALU_DEP_1)
	v_add3_u32 v127, v1, v2, 0x7fff
                                        ; implicit-def: $vgpr1
; %bb.393:                              ;   in Loop: Header=BB182_38 Depth=1
	s_and_not1_saveexec_b32 s16, s0
; %bb.394:                              ;   in Loop: Header=BB182_38 Depth=1
	v_and_b32_e32 v2, 0xffff, v1
	v_or_b32_e32 v127, 0x10000, v1
	s_delay_alu instid0(VALU_DEP_2) | instskip(NEXT) | instid1(VALU_DEP_1)
	v_cmp_eq_u32_e64 s0, 0, v2
	v_cndmask_b32_e64 v127, v127, v1, s0
; %bb.395:                              ;   in Loop: Header=BB182_38 Depth=1
	s_or_b32 exec_lo, exec_lo, s16
	v_lshlrev_b32_e32 v1, 16, v3
                                        ; implicit-def: $vgpr128
	s_delay_alu instid0(VALU_DEP_1) | instskip(NEXT) | instid1(VALU_DEP_1)
	v_mul_f32_e32 v1, v62, v1
	v_and_b32_e32 v2, 0x7f800000, v1
	s_delay_alu instid0(VALU_DEP_1) | instskip(NEXT) | instid1(VALU_DEP_1)
	v_cmp_ne_u32_e64 s0, 0x7f800000, v2
	s_and_saveexec_b32 s16, s0
	s_delay_alu instid0(SALU_CYCLE_1)
	s_xor_b32 s0, exec_lo, s16
; %bb.396:                              ;   in Loop: Header=BB182_38 Depth=1
	v_bfe_u32 v2, v1, 16, 1
	s_delay_alu instid0(VALU_DEP_1)
	v_add3_u32 v128, v1, v2, 0x7fff
                                        ; implicit-def: $vgpr1
; %bb.397:                              ;   in Loop: Header=BB182_38 Depth=1
	s_and_not1_saveexec_b32 s16, s0
; %bb.398:                              ;   in Loop: Header=BB182_38 Depth=1
	v_and_b32_e32 v2, 0xffff, v1
	v_or_b32_e32 v3, 0x10000, v1
	s_delay_alu instid0(VALU_DEP_2) | instskip(NEXT) | instid1(VALU_DEP_1)
	v_cmp_eq_u32_e64 s0, 0, v2
	v_cndmask_b32_e64 v128, v3, v1, s0
; %bb.399:                              ;   in Loop: Header=BB182_38 Depth=1
	s_or_b32 exec_lo, exec_lo, s16
	v_lshlrev_b32_e32 v1, 16, v129
                                        ; implicit-def: $vgpr129
	s_delay_alu instid0(VALU_DEP_1) | instskip(NEXT) | instid1(VALU_DEP_1)
	v_mul_f32_e32 v1, v64, v1
	v_and_b32_e32 v2, 0x7f800000, v1
	s_delay_alu instid0(VALU_DEP_1) | instskip(NEXT) | instid1(VALU_DEP_1)
	v_cmp_ne_u32_e64 s0, 0x7f800000, v2
	s_and_saveexec_b32 s16, s0
	s_delay_alu instid0(SALU_CYCLE_1)
	s_xor_b32 s0, exec_lo, s16
; %bb.400:                              ;   in Loop: Header=BB182_38 Depth=1
	v_bfe_u32 v2, v1, 16, 1
	s_delay_alu instid0(VALU_DEP_1)
	v_add3_u32 v129, v1, v2, 0x7fff
                                        ; implicit-def: $vgpr1
; %bb.401:                              ;   in Loop: Header=BB182_38 Depth=1
	s_and_not1_saveexec_b32 s16, s0
; %bb.402:                              ;   in Loop: Header=BB182_38 Depth=1
	v_and_b32_e32 v2, 0xffff, v1
	v_or_b32_e32 v3, 0x10000, v1
	s_delay_alu instid0(VALU_DEP_2) | instskip(NEXT) | instid1(VALU_DEP_1)
	v_cmp_eq_u32_e64 s0, 0, v2
	v_cndmask_b32_e64 v129, v3, v1, s0
; %bb.403:                              ;   in Loop: Header=BB182_38 Depth=1
	s_or_b32 exec_lo, exec_lo, s16
	v_lshlrev_b32_e32 v1, 16, v4
                                        ; implicit-def: $vgpr130
	s_delay_alu instid0(VALU_DEP_1) | instskip(NEXT) | instid1(VALU_DEP_1)
	v_mul_f32_e32 v1, v65, v1
	v_and_b32_e32 v2, 0x7f800000, v1
	s_delay_alu instid0(VALU_DEP_1) | instskip(NEXT) | instid1(VALU_DEP_1)
	v_cmp_ne_u32_e64 s0, 0x7f800000, v2
	s_and_saveexec_b32 s16, s0
	s_delay_alu instid0(SALU_CYCLE_1)
	s_xor_b32 s0, exec_lo, s16
; %bb.404:                              ;   in Loop: Header=BB182_38 Depth=1
	v_bfe_u32 v2, v1, 16, 1
	s_delay_alu instid0(VALU_DEP_1)
	v_add3_u32 v130, v1, v2, 0x7fff
                                        ; implicit-def: $vgpr1
; %bb.405:                              ;   in Loop: Header=BB182_38 Depth=1
	s_and_not1_saveexec_b32 s16, s0
; %bb.406:                              ;   in Loop: Header=BB182_38 Depth=1
	v_and_b32_e32 v2, 0xffff, v1
	v_or_b32_e32 v3, 0x10000, v1
	s_delay_alu instid0(VALU_DEP_2) | instskip(NEXT) | instid1(VALU_DEP_1)
	v_cmp_eq_u32_e64 s0, 0, v2
	v_cndmask_b32_e64 v130, v3, v1, s0
; %bb.407:                              ;   in Loop: Header=BB182_38 Depth=1
	s_or_b32 exec_lo, exec_lo, s16
	v_lshlrev_b32_e32 v1, 16, v131
                                        ; implicit-def: $vgpr131
	s_delay_alu instid0(VALU_DEP_1) | instskip(NEXT) | instid1(VALU_DEP_1)
	v_mul_f32_e32 v1, v66, v1
	v_and_b32_e32 v2, 0x7f800000, v1
	s_delay_alu instid0(VALU_DEP_1) | instskip(NEXT) | instid1(VALU_DEP_1)
	v_cmp_ne_u32_e64 s0, 0x7f800000, v2
	s_and_saveexec_b32 s16, s0
	s_delay_alu instid0(SALU_CYCLE_1)
	s_xor_b32 s0, exec_lo, s16
; %bb.408:                              ;   in Loop: Header=BB182_38 Depth=1
	v_bfe_u32 v2, v1, 16, 1
	s_delay_alu instid0(VALU_DEP_1)
	v_add3_u32 v131, v1, v2, 0x7fff
                                        ; implicit-def: $vgpr1
; %bb.409:                              ;   in Loop: Header=BB182_38 Depth=1
	s_and_not1_saveexec_b32 s16, s0
; %bb.410:                              ;   in Loop: Header=BB182_38 Depth=1
	v_and_b32_e32 v2, 0xffff, v1
	v_or_b32_e32 v3, 0x10000, v1
	s_delay_alu instid0(VALU_DEP_2) | instskip(NEXT) | instid1(VALU_DEP_1)
	v_cmp_eq_u32_e64 s0, 0, v2
	v_cndmask_b32_e64 v131, v3, v1, s0
; %bb.411:                              ;   in Loop: Header=BB182_38 Depth=1
	s_or_b32 exec_lo, exec_lo, s16
	v_add_co_u32 v1, s0, v56, v31
	s_delay_alu instid0(VALU_DEP_1)
	v_add_co_ci_u32_e64 v2, s0, 0, v57, s0
	global_load_b128 v[1:4], v[1:2], off
	s_waitcnt vmcnt(0)
	v_lshrrev_b32_e32 v133, 16, v1
	v_lshrrev_b32_e32 v135, 16, v2
	;; [unrolled: 1-line block ×4, first 2 shown]
	s_and_saveexec_b32 s16, vcc_lo
	s_cbranch_execz .LBB182_413
; %bb.412:                              ;   in Loop: Header=BB182_38 Depth=1
	v_cmp_gt_i32_e64 s0, s33, v47
	s_delay_alu instid0(VALU_DEP_1) | instskip(SKIP_1) | instid1(VALU_DEP_1)
	v_cndmask_b32_e64 v1, 0, v1, s0
	v_cmp_gt_i32_e64 s0, s33, v54
	v_cndmask_b32_e64 v133, 0, v133, s0
	v_cmp_gt_i32_e64 s0, s33, v53
	s_delay_alu instid0(VALU_DEP_1) | instskip(SKIP_1) | instid1(VALU_DEP_1)
	v_cndmask_b32_e64 v2, 0, v2, s0
	v_cmp_gt_i32_e64 s0, s33, v51
	v_cndmask_b32_e64 v135, 0, v135, s0
	;; [unrolled: 5-line block ×4, first 2 shown]
.LBB182_413:                            ;   in Loop: Header=BB182_38 Depth=1
	s_or_b32 exec_lo, exec_lo, s16
	v_lshlrev_b32_e32 v1, 16, v1
	s_delay_alu instid0(VALU_DEP_1) | instskip(NEXT) | instid1(VALU_DEP_1)
	v_mul_f32_e32 v1, v58, v1
	v_and_b32_e32 v132, 0x7f800000, v1
	s_delay_alu instid0(VALU_DEP_1) | instskip(NEXT) | instid1(VALU_DEP_1)
	v_cmp_ne_u32_e64 s0, 0x7f800000, v132
                                        ; implicit-def: $vgpr132
	s_and_saveexec_b32 s16, s0
	s_delay_alu instid0(SALU_CYCLE_1)
	s_xor_b32 s0, exec_lo, s16
; %bb.414:                              ;   in Loop: Header=BB182_38 Depth=1
	v_bfe_u32 v132, v1, 16, 1
	s_delay_alu instid0(VALU_DEP_1)
	v_add3_u32 v132, v1, v132, 0x7fff
                                        ; implicit-def: $vgpr1
; %bb.415:                              ;   in Loop: Header=BB182_38 Depth=1
	s_and_not1_saveexec_b32 s16, s0
; %bb.416:                              ;   in Loop: Header=BB182_38 Depth=1
	v_and_b32_e32 v132, 0xffff, v1
	v_or_b32_e32 v134, 0x10000, v1
	s_delay_alu instid0(VALU_DEP_2) | instskip(NEXT) | instid1(VALU_DEP_1)
	v_cmp_eq_u32_e64 s0, 0, v132
	v_cndmask_b32_e64 v132, v134, v1, s0
; %bb.417:                              ;   in Loop: Header=BB182_38 Depth=1
	s_or_b32 exec_lo, exec_lo, s16
	v_lshlrev_b32_e32 v1, 16, v133
	s_delay_alu instid0(VALU_DEP_1) | instskip(NEXT) | instid1(VALU_DEP_1)
	v_mul_f32_e32 v1, v59, v1
	v_and_b32_e32 v133, 0x7f800000, v1
	s_delay_alu instid0(VALU_DEP_1) | instskip(NEXT) | instid1(VALU_DEP_1)
	v_cmp_ne_u32_e64 s0, 0x7f800000, v133
                                        ; implicit-def: $vgpr133
	s_and_saveexec_b32 s16, s0
	s_delay_alu instid0(SALU_CYCLE_1)
	s_xor_b32 s0, exec_lo, s16
; %bb.418:                              ;   in Loop: Header=BB182_38 Depth=1
	v_bfe_u32 v133, v1, 16, 1
	s_delay_alu instid0(VALU_DEP_1)
	v_add3_u32 v133, v1, v133, 0x7fff
                                        ; implicit-def: $vgpr1
; %bb.419:                              ;   in Loop: Header=BB182_38 Depth=1
	s_and_not1_saveexec_b32 s16, s0
; %bb.420:                              ;   in Loop: Header=BB182_38 Depth=1
	v_and_b32_e32 v133, 0xffff, v1
	v_or_b32_e32 v134, 0x10000, v1
	s_delay_alu instid0(VALU_DEP_2) | instskip(NEXT) | instid1(VALU_DEP_1)
	v_cmp_eq_u32_e64 s0, 0, v133
	v_cndmask_b32_e64 v133, v134, v1, s0
; %bb.421:                              ;   in Loop: Header=BB182_38 Depth=1
	s_or_b32 exec_lo, exec_lo, s16
	v_lshlrev_b32_e32 v1, 16, v2
                                        ; implicit-def: $vgpr134
	s_delay_alu instid0(VALU_DEP_1) | instskip(NEXT) | instid1(VALU_DEP_1)
	v_mul_f32_e32 v1, v60, v1
	v_and_b32_e32 v2, 0x7f800000, v1
	s_delay_alu instid0(VALU_DEP_1) | instskip(NEXT) | instid1(VALU_DEP_1)
	v_cmp_ne_u32_e64 s0, 0x7f800000, v2
	s_and_saveexec_b32 s16, s0
	s_delay_alu instid0(SALU_CYCLE_1)
	s_xor_b32 s0, exec_lo, s16
; %bb.422:                              ;   in Loop: Header=BB182_38 Depth=1
	v_bfe_u32 v2, v1, 16, 1
	s_delay_alu instid0(VALU_DEP_1)
	v_add3_u32 v134, v1, v2, 0x7fff
                                        ; implicit-def: $vgpr1
; %bb.423:                              ;   in Loop: Header=BB182_38 Depth=1
	s_and_not1_saveexec_b32 s16, s0
; %bb.424:                              ;   in Loop: Header=BB182_38 Depth=1
	v_and_b32_e32 v2, 0xffff, v1
	v_or_b32_e32 v134, 0x10000, v1
	s_delay_alu instid0(VALU_DEP_2) | instskip(NEXT) | instid1(VALU_DEP_1)
	v_cmp_eq_u32_e64 s0, 0, v2
	v_cndmask_b32_e64 v134, v134, v1, s0
; %bb.425:                              ;   in Loop: Header=BB182_38 Depth=1
	s_or_b32 exec_lo, exec_lo, s16
	v_lshlrev_b32_e32 v1, 16, v135
                                        ; implicit-def: $vgpr135
	s_delay_alu instid0(VALU_DEP_1) | instskip(NEXT) | instid1(VALU_DEP_1)
	v_mul_f32_e32 v1, v61, v1
	v_and_b32_e32 v2, 0x7f800000, v1
	s_delay_alu instid0(VALU_DEP_1) | instskip(NEXT) | instid1(VALU_DEP_1)
	v_cmp_ne_u32_e64 s0, 0x7f800000, v2
	s_and_saveexec_b32 s16, s0
	s_delay_alu instid0(SALU_CYCLE_1)
	s_xor_b32 s0, exec_lo, s16
; %bb.426:                              ;   in Loop: Header=BB182_38 Depth=1
	v_bfe_u32 v2, v1, 16, 1
	s_delay_alu instid0(VALU_DEP_1)
	v_add3_u32 v135, v1, v2, 0x7fff
                                        ; implicit-def: $vgpr1
; %bb.427:                              ;   in Loop: Header=BB182_38 Depth=1
	s_and_not1_saveexec_b32 s16, s0
; %bb.428:                              ;   in Loop: Header=BB182_38 Depth=1
	v_and_b32_e32 v2, 0xffff, v1
	v_or_b32_e32 v135, 0x10000, v1
	s_delay_alu instid0(VALU_DEP_2) | instskip(NEXT) | instid1(VALU_DEP_1)
	v_cmp_eq_u32_e64 s0, 0, v2
	v_cndmask_b32_e64 v135, v135, v1, s0
; %bb.429:                              ;   in Loop: Header=BB182_38 Depth=1
	s_or_b32 exec_lo, exec_lo, s16
	v_lshlrev_b32_e32 v1, 16, v3
                                        ; implicit-def: $vgpr136
	s_delay_alu instid0(VALU_DEP_1) | instskip(NEXT) | instid1(VALU_DEP_1)
	v_mul_f32_e32 v1, v62, v1
	v_and_b32_e32 v2, 0x7f800000, v1
	s_delay_alu instid0(VALU_DEP_1) | instskip(NEXT) | instid1(VALU_DEP_1)
	v_cmp_ne_u32_e64 s0, 0x7f800000, v2
	s_and_saveexec_b32 s16, s0
	s_delay_alu instid0(SALU_CYCLE_1)
	s_xor_b32 s0, exec_lo, s16
; %bb.430:                              ;   in Loop: Header=BB182_38 Depth=1
	v_bfe_u32 v2, v1, 16, 1
	s_delay_alu instid0(VALU_DEP_1)
	v_add3_u32 v136, v1, v2, 0x7fff
                                        ; implicit-def: $vgpr1
; %bb.431:                              ;   in Loop: Header=BB182_38 Depth=1
	s_and_not1_saveexec_b32 s16, s0
; %bb.432:                              ;   in Loop: Header=BB182_38 Depth=1
	v_and_b32_e32 v2, 0xffff, v1
	v_or_b32_e32 v3, 0x10000, v1
	s_delay_alu instid0(VALU_DEP_2) | instskip(NEXT) | instid1(VALU_DEP_1)
	v_cmp_eq_u32_e64 s0, 0, v2
	v_cndmask_b32_e64 v136, v3, v1, s0
; %bb.433:                              ;   in Loop: Header=BB182_38 Depth=1
	s_or_b32 exec_lo, exec_lo, s16
	v_lshlrev_b32_e32 v1, 16, v137
                                        ; implicit-def: $vgpr137
	s_delay_alu instid0(VALU_DEP_1) | instskip(NEXT) | instid1(VALU_DEP_1)
	v_mul_f32_e32 v1, v64, v1
	v_and_b32_e32 v2, 0x7f800000, v1
	s_delay_alu instid0(VALU_DEP_1) | instskip(NEXT) | instid1(VALU_DEP_1)
	v_cmp_ne_u32_e64 s0, 0x7f800000, v2
	s_and_saveexec_b32 s16, s0
	s_delay_alu instid0(SALU_CYCLE_1)
	s_xor_b32 s0, exec_lo, s16
; %bb.434:                              ;   in Loop: Header=BB182_38 Depth=1
	v_bfe_u32 v2, v1, 16, 1
	s_delay_alu instid0(VALU_DEP_1)
	v_add3_u32 v137, v1, v2, 0x7fff
                                        ; implicit-def: $vgpr1
; %bb.435:                              ;   in Loop: Header=BB182_38 Depth=1
	s_and_not1_saveexec_b32 s16, s0
; %bb.436:                              ;   in Loop: Header=BB182_38 Depth=1
	v_and_b32_e32 v2, 0xffff, v1
	v_or_b32_e32 v3, 0x10000, v1
	s_delay_alu instid0(VALU_DEP_2) | instskip(NEXT) | instid1(VALU_DEP_1)
	v_cmp_eq_u32_e64 s0, 0, v2
	v_cndmask_b32_e64 v137, v3, v1, s0
; %bb.437:                              ;   in Loop: Header=BB182_38 Depth=1
	s_or_b32 exec_lo, exec_lo, s16
	v_lshlrev_b32_e32 v1, 16, v4
                                        ; implicit-def: $vgpr138
	s_delay_alu instid0(VALU_DEP_1) | instskip(NEXT) | instid1(VALU_DEP_1)
	v_mul_f32_e32 v1, v65, v1
	v_and_b32_e32 v2, 0x7f800000, v1
	s_delay_alu instid0(VALU_DEP_1) | instskip(NEXT) | instid1(VALU_DEP_1)
	v_cmp_ne_u32_e64 s0, 0x7f800000, v2
	s_and_saveexec_b32 s16, s0
	s_delay_alu instid0(SALU_CYCLE_1)
	s_xor_b32 s0, exec_lo, s16
; %bb.438:                              ;   in Loop: Header=BB182_38 Depth=1
	v_bfe_u32 v2, v1, 16, 1
	s_delay_alu instid0(VALU_DEP_1)
	v_add3_u32 v138, v1, v2, 0x7fff
                                        ; implicit-def: $vgpr1
; %bb.439:                              ;   in Loop: Header=BB182_38 Depth=1
	s_and_not1_saveexec_b32 s16, s0
; %bb.440:                              ;   in Loop: Header=BB182_38 Depth=1
	v_and_b32_e32 v2, 0xffff, v1
	v_or_b32_e32 v3, 0x10000, v1
	s_delay_alu instid0(VALU_DEP_2) | instskip(NEXT) | instid1(VALU_DEP_1)
	v_cmp_eq_u32_e64 s0, 0, v2
	v_cndmask_b32_e64 v138, v3, v1, s0
; %bb.441:                              ;   in Loop: Header=BB182_38 Depth=1
	s_or_b32 exec_lo, exec_lo, s16
	v_lshlrev_b32_e32 v1, 16, v139
                                        ; implicit-def: $vgpr139
	s_delay_alu instid0(VALU_DEP_1) | instskip(NEXT) | instid1(VALU_DEP_1)
	v_mul_f32_e32 v1, v66, v1
	v_and_b32_e32 v2, 0x7f800000, v1
	s_delay_alu instid0(VALU_DEP_1) | instskip(NEXT) | instid1(VALU_DEP_1)
	v_cmp_ne_u32_e64 s0, 0x7f800000, v2
	s_and_saveexec_b32 s16, s0
	s_delay_alu instid0(SALU_CYCLE_1)
	s_xor_b32 s0, exec_lo, s16
; %bb.442:                              ;   in Loop: Header=BB182_38 Depth=1
	v_bfe_u32 v2, v1, 16, 1
	s_delay_alu instid0(VALU_DEP_1)
	v_add3_u32 v139, v1, v2, 0x7fff
                                        ; implicit-def: $vgpr1
; %bb.443:                              ;   in Loop: Header=BB182_38 Depth=1
	s_and_not1_saveexec_b32 s16, s0
; %bb.444:                              ;   in Loop: Header=BB182_38 Depth=1
	v_and_b32_e32 v2, 0xffff, v1
	v_or_b32_e32 v3, 0x10000, v1
	s_delay_alu instid0(VALU_DEP_2) | instskip(NEXT) | instid1(VALU_DEP_1)
	v_cmp_eq_u32_e64 s0, 0, v2
	v_cndmask_b32_e64 v139, v3, v1, s0
; %bb.445:                              ;   in Loop: Header=BB182_38 Depth=1
	s_or_b32 exec_lo, exec_lo, s16
	v_add_co_u32 v1, s0, v56, v32
	s_delay_alu instid0(VALU_DEP_1)
	v_add_co_ci_u32_e64 v2, s0, 0, v57, s0
	global_load_b128 v[1:4], v[1:2], off
	s_waitcnt vmcnt(0)
	v_lshrrev_b32_e32 v141, 16, v1
	v_lshrrev_b32_e32 v140, 16, v2
	;; [unrolled: 1-line block ×4, first 2 shown]
	s_and_saveexec_b32 s0, vcc_lo
	s_cbranch_execz .LBB182_447
; %bb.446:                              ;   in Loop: Header=BB182_38 Depth=1
	v_cmp_gt_i32_e32 vcc_lo, s33, v47
	v_cndmask_b32_e32 v1, 0, v1, vcc_lo
	v_cmp_gt_i32_e32 vcc_lo, s33, v54
	v_cndmask_b32_e32 v141, 0, v141, vcc_lo
	v_cmp_gt_i32_e32 vcc_lo, s33, v53
	v_cndmask_b32_e32 v2, 0, v2, vcc_lo
	v_cmp_gt_i32_e32 vcc_lo, s33, v51
	v_cndmask_b32_e32 v140, 0, v140, vcc_lo
	v_cmp_gt_i32_e32 vcc_lo, s33, v50
	v_cndmask_b32_e32 v3, 0, v3, vcc_lo
	v_cmp_gt_i32_e32 vcc_lo, s33, v49
	v_cndmask_b32_e32 v57, 0, v57, vcc_lo
	v_cmp_gt_i32_e32 vcc_lo, s33, v48
	v_cndmask_b32_e32 v4, 0, v4, vcc_lo
	v_cmp_gt_i32_e32 vcc_lo, s33, v52
	v_cndmask_b32_e32 v56, 0, v56, vcc_lo
.LBB182_447:                            ;   in Loop: Header=BB182_38 Depth=1
	s_or_b32 exec_lo, exec_lo, s0
	v_lshlrev_b32_e32 v1, 16, v1
	s_delay_alu instid0(VALU_DEP_1) | instskip(NEXT) | instid1(VALU_DEP_1)
	v_mul_f32_e32 v47, v58, v1
	v_and_b32_e32 v1, 0x7f800000, v47
	s_delay_alu instid0(VALU_DEP_1) | instskip(SKIP_1) | instid1(SALU_CYCLE_1)
	v_cmp_ne_u32_e32 vcc_lo, 0x7f800000, v1
                                        ; implicit-def: $vgpr1
	s_and_saveexec_b32 s0, vcc_lo
	s_xor_b32 s0, exec_lo, s0
; %bb.448:                              ;   in Loop: Header=BB182_38 Depth=1
	v_bfe_u32 v1, v47, 16, 1
	s_delay_alu instid0(VALU_DEP_1)
	v_add3_u32 v1, v47, v1, 0x7fff
                                        ; implicit-def: $vgpr47
; %bb.449:                              ;   in Loop: Header=BB182_38 Depth=1
	s_and_not1_saveexec_b32 s0, s0
; %bb.450:                              ;   in Loop: Header=BB182_38 Depth=1
	v_and_b32_e32 v1, 0xffff, v47
	v_or_b32_e32 v48, 0x10000, v47
	s_delay_alu instid0(VALU_DEP_2) | instskip(NEXT) | instid1(VALU_DEP_2)
	v_cmp_eq_u32_e32 vcc_lo, 0, v1
	v_cndmask_b32_e32 v1, v48, v47, vcc_lo
; %bb.451:                              ;   in Loop: Header=BB182_38 Depth=1
	s_or_b32 exec_lo, exec_lo, s0
	v_lshlrev_b32_e32 v47, 16, v141
	s_delay_alu instid0(VALU_DEP_1) | instskip(NEXT) | instid1(VALU_DEP_1)
	v_mul_f32_e32 v48, v59, v47
	v_and_b32_e32 v47, 0x7f800000, v48
	s_delay_alu instid0(VALU_DEP_1) | instskip(SKIP_1) | instid1(SALU_CYCLE_1)
	v_cmp_ne_u32_e32 vcc_lo, 0x7f800000, v47
                                        ; implicit-def: $vgpr47
	s_and_saveexec_b32 s0, vcc_lo
	s_xor_b32 s0, exec_lo, s0
; %bb.452:                              ;   in Loop: Header=BB182_38 Depth=1
	v_bfe_u32 v47, v48, 16, 1
	s_delay_alu instid0(VALU_DEP_1)
	v_add3_u32 v47, v48, v47, 0x7fff
                                        ; implicit-def: $vgpr48
; %bb.453:                              ;   in Loop: Header=BB182_38 Depth=1
	s_and_not1_saveexec_b32 s0, s0
; %bb.454:                              ;   in Loop: Header=BB182_38 Depth=1
	v_and_b32_e32 v47, 0xffff, v48
	v_or_b32_e32 v49, 0x10000, v48
	s_delay_alu instid0(VALU_DEP_2) | instskip(NEXT) | instid1(VALU_DEP_2)
	v_cmp_eq_u32_e32 vcc_lo, 0, v47
	v_cndmask_b32_e32 v47, v49, v48, vcc_lo
; %bb.455:                              ;   in Loop: Header=BB182_38 Depth=1
	s_or_b32 exec_lo, exec_lo, s0
	v_lshlrev_b32_e32 v2, 16, v2
	s_delay_alu instid0(VALU_DEP_1) | instskip(NEXT) | instid1(VALU_DEP_1)
	v_mul_f32_e32 v48, v60, v2
	v_and_b32_e32 v2, 0x7f800000, v48
	s_delay_alu instid0(VALU_DEP_1) | instskip(SKIP_1) | instid1(SALU_CYCLE_1)
	v_cmp_ne_u32_e32 vcc_lo, 0x7f800000, v2
                                        ; implicit-def: $vgpr2
	s_and_saveexec_b32 s0, vcc_lo
	s_xor_b32 s0, exec_lo, s0
; %bb.456:                              ;   in Loop: Header=BB182_38 Depth=1
	v_bfe_u32 v2, v48, 16, 1
	s_delay_alu instid0(VALU_DEP_1)
	v_add3_u32 v2, v48, v2, 0x7fff
                                        ; implicit-def: $vgpr48
; %bb.457:                              ;   in Loop: Header=BB182_38 Depth=1
	s_and_not1_saveexec_b32 s0, s0
; %bb.458:                              ;   in Loop: Header=BB182_38 Depth=1
	v_and_b32_e32 v2, 0xffff, v48
	v_or_b32_e32 v49, 0x10000, v48
	s_delay_alu instid0(VALU_DEP_2) | instskip(NEXT) | instid1(VALU_DEP_2)
	v_cmp_eq_u32_e32 vcc_lo, 0, v2
	v_cndmask_b32_e32 v2, v49, v48, vcc_lo
; %bb.459:                              ;   in Loop: Header=BB182_38 Depth=1
	s_or_b32 exec_lo, exec_lo, s0
	v_lshlrev_b32_e32 v48, 16, v140
	s_delay_alu instid0(VALU_DEP_1) | instskip(NEXT) | instid1(VALU_DEP_1)
	v_mul_f32_e32 v49, v61, v48
	v_and_b32_e32 v48, 0x7f800000, v49
	s_delay_alu instid0(VALU_DEP_1) | instskip(SKIP_1) | instid1(SALU_CYCLE_1)
	v_cmp_ne_u32_e32 vcc_lo, 0x7f800000, v48
                                        ; implicit-def: $vgpr48
	s_and_saveexec_b32 s0, vcc_lo
	s_xor_b32 s0, exec_lo, s0
; %bb.460:                              ;   in Loop: Header=BB182_38 Depth=1
	v_bfe_u32 v48, v49, 16, 1
	s_delay_alu instid0(VALU_DEP_1)
	v_add3_u32 v48, v49, v48, 0x7fff
                                        ; implicit-def: $vgpr49
; %bb.461:                              ;   in Loop: Header=BB182_38 Depth=1
	s_and_not1_saveexec_b32 s0, s0
; %bb.462:                              ;   in Loop: Header=BB182_38 Depth=1
	v_and_b32_e32 v48, 0xffff, v49
	v_or_b32_e32 v50, 0x10000, v49
	s_delay_alu instid0(VALU_DEP_2) | instskip(NEXT) | instid1(VALU_DEP_2)
	v_cmp_eq_u32_e32 vcc_lo, 0, v48
	v_cndmask_b32_e32 v48, v50, v49, vcc_lo
; %bb.463:                              ;   in Loop: Header=BB182_38 Depth=1
	s_or_b32 exec_lo, exec_lo, s0
	v_lshlrev_b32_e32 v3, 16, v3
	s_delay_alu instid0(VALU_DEP_1) | instskip(NEXT) | instid1(VALU_DEP_1)
	v_mul_f32_e32 v49, v62, v3
	v_and_b32_e32 v3, 0x7f800000, v49
	s_delay_alu instid0(VALU_DEP_1) | instskip(SKIP_1) | instid1(SALU_CYCLE_1)
	v_cmp_ne_u32_e32 vcc_lo, 0x7f800000, v3
                                        ; implicit-def: $vgpr3
	s_and_saveexec_b32 s0, vcc_lo
	s_xor_b32 s0, exec_lo, s0
; %bb.464:                              ;   in Loop: Header=BB182_38 Depth=1
	v_bfe_u32 v3, v49, 16, 1
	s_delay_alu instid0(VALU_DEP_1)
	v_add3_u32 v3, v49, v3, 0x7fff
                                        ; implicit-def: $vgpr49
; %bb.465:                              ;   in Loop: Header=BB182_38 Depth=1
	s_and_not1_saveexec_b32 s0, s0
; %bb.466:                              ;   in Loop: Header=BB182_38 Depth=1
	v_and_b32_e32 v3, 0xffff, v49
	v_or_b32_e32 v50, 0x10000, v49
	s_delay_alu instid0(VALU_DEP_2) | instskip(NEXT) | instid1(VALU_DEP_2)
	v_cmp_eq_u32_e32 vcc_lo, 0, v3
	v_cndmask_b32_e32 v3, v50, v49, vcc_lo
; %bb.467:                              ;   in Loop: Header=BB182_38 Depth=1
	s_or_b32 exec_lo, exec_lo, s0
	v_lshlrev_b32_e32 v49, 16, v57
	s_delay_alu instid0(VALU_DEP_1) | instskip(NEXT) | instid1(VALU_DEP_1)
	v_mul_f32_e32 v50, v64, v49
	v_and_b32_e32 v49, 0x7f800000, v50
	s_delay_alu instid0(VALU_DEP_1) | instskip(SKIP_1) | instid1(SALU_CYCLE_1)
	v_cmp_ne_u32_e32 vcc_lo, 0x7f800000, v49
                                        ; implicit-def: $vgpr49
	s_and_saveexec_b32 s0, vcc_lo
	s_xor_b32 s0, exec_lo, s0
; %bb.468:                              ;   in Loop: Header=BB182_38 Depth=1
	v_bfe_u32 v49, v50, 16, 1
	s_delay_alu instid0(VALU_DEP_1)
	v_add3_u32 v49, v50, v49, 0x7fff
                                        ; implicit-def: $vgpr50
; %bb.469:                              ;   in Loop: Header=BB182_38 Depth=1
	s_and_not1_saveexec_b32 s0, s0
; %bb.470:                              ;   in Loop: Header=BB182_38 Depth=1
	v_and_b32_e32 v49, 0xffff, v50
	v_or_b32_e32 v51, 0x10000, v50
	s_delay_alu instid0(VALU_DEP_2) | instskip(NEXT) | instid1(VALU_DEP_2)
	v_cmp_eq_u32_e32 vcc_lo, 0, v49
	v_cndmask_b32_e32 v49, v51, v50, vcc_lo
; %bb.471:                              ;   in Loop: Header=BB182_38 Depth=1
	s_or_b32 exec_lo, exec_lo, s0
	v_lshlrev_b32_e32 v4, 16, v4
	s_delay_alu instid0(VALU_DEP_1) | instskip(NEXT) | instid1(VALU_DEP_1)
	v_mul_f32_e32 v50, v65, v4
	v_and_b32_e32 v4, 0x7f800000, v50
	s_delay_alu instid0(VALU_DEP_1) | instskip(SKIP_1) | instid1(SALU_CYCLE_1)
	v_cmp_ne_u32_e32 vcc_lo, 0x7f800000, v4
                                        ; implicit-def: $vgpr4
	s_and_saveexec_b32 s0, vcc_lo
	s_xor_b32 s0, exec_lo, s0
; %bb.472:                              ;   in Loop: Header=BB182_38 Depth=1
	v_bfe_u32 v4, v50, 16, 1
	s_delay_alu instid0(VALU_DEP_1)
	v_add3_u32 v4, v50, v4, 0x7fff
                                        ; implicit-def: $vgpr50
; %bb.473:                              ;   in Loop: Header=BB182_38 Depth=1
	s_and_not1_saveexec_b32 s0, s0
; %bb.474:                              ;   in Loop: Header=BB182_38 Depth=1
	v_and_b32_e32 v4, 0xffff, v50
	v_or_b32_e32 v51, 0x10000, v50
	s_delay_alu instid0(VALU_DEP_2) | instskip(NEXT) | instid1(VALU_DEP_2)
	v_cmp_eq_u32_e32 vcc_lo, 0, v4
	v_cndmask_b32_e32 v4, v51, v50, vcc_lo
; %bb.475:                              ;   in Loop: Header=BB182_38 Depth=1
	s_or_b32 exec_lo, exec_lo, s0
	v_lshlrev_b32_e32 v50, 16, v56
	s_delay_alu instid0(VALU_DEP_1) | instskip(NEXT) | instid1(VALU_DEP_1)
	v_mul_f32_e32 v51, v66, v50
	v_and_b32_e32 v50, 0x7f800000, v51
	s_delay_alu instid0(VALU_DEP_1) | instskip(SKIP_1) | instid1(SALU_CYCLE_1)
	v_cmp_ne_u32_e32 vcc_lo, 0x7f800000, v50
                                        ; implicit-def: $vgpr50
	s_and_saveexec_b32 s0, vcc_lo
	s_xor_b32 s0, exec_lo, s0
; %bb.476:                              ;   in Loop: Header=BB182_38 Depth=1
	v_bfe_u32 v50, v51, 16, 1
	s_delay_alu instid0(VALU_DEP_1)
	v_add3_u32 v50, v51, v50, 0x7fff
                                        ; implicit-def: $vgpr51
; %bb.477:                              ;   in Loop: Header=BB182_38 Depth=1
	s_and_not1_saveexec_b32 s0, s0
	s_cbranch_execz .LBB182_36
; %bb.478:                              ;   in Loop: Header=BB182_38 Depth=1
	v_and_b32_e32 v50, 0xffff, v51
	v_or_b32_e32 v52, 0x10000, v51
	s_delay_alu instid0(VALU_DEP_2) | instskip(NEXT) | instid1(VALU_DEP_2)
	v_cmp_eq_u32_e32 vcc_lo, 0, v50
	v_cndmask_b32_e32 v50, v52, v51, vcc_lo
	s_branch .LBB182_36
.LBB182_479:
	s_or_b32 exec_lo, exec_lo, s3
.LBB182_480:
	s_delay_alu instid0(SALU_CYCLE_1)
	s_or_b32 exec_lo, exec_lo, s1
	ds_bpermute_b32 v1, v12, v25
	ds_bpermute_b32 v2, v12, v24
	;; [unrolled: 1-line block ×12, first 2 shown]
	s_movk_i32 s0, 0x180
	s_waitcnt lgkmcnt(0)
	s_waitcnt_vscnt null, 0x0
	s_barrier
	buffer_gl0_inv
	v_dual_add_f32 v1, v25, v1 :: v_dual_add_f32 v2, v24, v2
	v_add_f32_e32 v17, v17, v9
	v_dual_add_f32 v3, v23, v3 :: v_dual_add_f32 v4, v22, v4
	v_add_f32_e32 v5, v21, v5
	ds_bpermute_b32 v9, v11, v2
	v_dual_add_f32 v7, v19, v7 :: v_dual_add_f32 v16, v16, v10
	v_add_f32_e32 v18, v18, v8
	v_add_f32_e32 v6, v20, v6
	;; [unrolled: 1-line block ×4, first 2 shown]
	ds_bpermute_b32 v10, v11, v3
	ds_bpermute_b32 v14, v11, v4
	;; [unrolled: 1-line block ×10, first 2 shown]
	s_waitcnt lgkmcnt(10)
	v_add_f32_e32 v12, v2, v9
	ds_bpermute_b32 v26, v11, v15
	s_waitcnt lgkmcnt(10)
	v_add_f32_e32 v11, v3, v10
	s_waitcnt lgkmcnt(8)
	v_dual_add_f32 v10, v4, v14 :: v_dual_add_f32 v9, v5, v20
	s_waitcnt lgkmcnt(6)
	v_dual_add_f32 v7, v7, v22 :: v_dual_add_f32 v4, v16, v25
	v_and_b32_e32 v16, 0x3c3, v0
	v_lshrrev_b32_e32 v14, 2, v42
	s_waitcnt lgkmcnt(4)
	v_dual_add_f32 v1, v1, v8 :: v_dual_add_f32 v8, v6, v21
	s_waitcnt lgkmcnt(2)
	v_dual_add_f32 v6, v18, v23 :: v_dual_add_f32 v5, v17, v24
	s_waitcnt lgkmcnt(1)
	v_add_f32_e32 v2, v19, v27
	v_cmp_eq_u32_e32 vcc_lo, 64, v16
	v_lshlrev_b32_e32 v16, 2, v14
	s_waitcnt lgkmcnt(0)
	v_add_f32_e32 v3, v15, v26
	v_mad_u32_u24 v15, v41, s0, 0xe0
	s_and_saveexec_b32 s0, vcc_lo
	s_cbranch_execz .LBB182_482
; %bb.481:
	s_delay_alu instid0(VALU_DEP_1)
	v_add3_u32 v17, v15, v16, 0xfffffd00
	ds_store_2addr_b32 v17, v1, v12 offset1:8
	ds_store_2addr_b32 v17, v11, v10 offset0:16 offset1:24
	ds_store_2addr_b32 v17, v9, v8 offset0:32 offset1:40
	ds_store_2addr_b32 v17, v7, v6 offset0:48 offset1:56
	ds_store_2addr_b32 v17, v5, v4 offset0:64 offset1:72
	ds_store_2addr_b32 v17, v3, v2 offset0:80 offset1:88
.LBB182_482:
	s_or_b32 exec_lo, exec_lo, s0
	v_cmp_eq_u32_e32 vcc_lo, 0, v13
	s_mov_b32 s1, exec_lo
	s_waitcnt lgkmcnt(0)
	s_barrier
	buffer_gl0_inv
	v_cmpx_gt_u32_e32 64, v0
	s_cbranch_execz .LBB182_497
; %bb.483:
	s_and_saveexec_b32 s0, vcc_lo
	s_cbranch_execnz .LBB182_566
; %bb.484:
	s_or_b32 exec_lo, exec_lo, s0
	s_and_saveexec_b32 s0, vcc_lo
	s_cbranch_execnz .LBB182_567
.LBB182_485:
	s_or_b32 exec_lo, exec_lo, s0
	s_and_saveexec_b32 s0, vcc_lo
	s_cbranch_execnz .LBB182_568
.LBB182_486:
	s_or_b32 exec_lo, exec_lo, s0
	s_and_saveexec_b32 s0, vcc_lo
	s_cbranch_execnz .LBB182_569
.LBB182_487:
	s_or_b32 exec_lo, exec_lo, s0
	s_and_saveexec_b32 s0, vcc_lo
	s_cbranch_execnz .LBB182_570
.LBB182_488:
	s_or_b32 exec_lo, exec_lo, s0
	s_and_saveexec_b32 s0, vcc_lo
	s_cbranch_execnz .LBB182_571
.LBB182_489:
	s_or_b32 exec_lo, exec_lo, s0
	s_and_saveexec_b32 s0, vcc_lo
	s_cbranch_execnz .LBB182_572
.LBB182_490:
	s_or_b32 exec_lo, exec_lo, s0
	s_and_saveexec_b32 s0, vcc_lo
	s_cbranch_execnz .LBB182_573
.LBB182_491:
	s_or_b32 exec_lo, exec_lo, s0
	s_and_saveexec_b32 s0, vcc_lo
	s_cbranch_execnz .LBB182_574
.LBB182_492:
	s_or_b32 exec_lo, exec_lo, s0
	s_and_saveexec_b32 s0, vcc_lo
	s_cbranch_execnz .LBB182_575
.LBB182_493:
	s_or_b32 exec_lo, exec_lo, s0
	s_and_saveexec_b32 s0, vcc_lo
	s_cbranch_execnz .LBB182_576
.LBB182_494:
	s_or_b32 exec_lo, exec_lo, s0
	s_and_saveexec_b32 s0, vcc_lo
	s_cbranch_execz .LBB182_496
.LBB182_495:
	v_lshl_add_u32 v13, v14, 2, v15
	ds_load_b32 v13, v13 offset:352
	s_waitcnt lgkmcnt(0)
	v_add_f32_e32 v2, v2, v13
.LBB182_496:
	s_or_b32 exec_lo, exec_lo, s0
.LBB182_497:
	s_delay_alu instid0(SALU_CYCLE_1)
	s_or_b32 exec_lo, exec_lo, s1
	v_and_b32_e32 v13, 0x3e3, v0
	s_mov_b32 s1, exec_lo
	s_barrier
	buffer_gl0_inv
	v_cmpx_eq_u32_e32 32, v13
	s_cbranch_execz .LBB182_499
; %bb.498:
	v_add3_u32 v13, v15, v16, 0xfffffe80
	ds_store_2addr_b32 v13, v1, v12 offset1:8
	ds_store_2addr_b32 v13, v11, v10 offset0:16 offset1:24
	ds_store_2addr_b32 v13, v9, v8 offset0:32 offset1:40
	;; [unrolled: 1-line block ×5, first 2 shown]
.LBB182_499:
	s_or_b32 exec_lo, exec_lo, s1
	v_cmp_gt_u32_e64 s0, 32, v0
	s_waitcnt lgkmcnt(0)
	s_barrier
	buffer_gl0_inv
	s_and_saveexec_b32 s1, s0
	s_cbranch_execz .LBB182_514
; %bb.500:
	v_lshl_add_u32 v13, v14, 2, v15
	s_and_saveexec_b32 s2, vcc_lo
	s_cbranch_execnz .LBB182_577
; %bb.501:
	s_or_b32 exec_lo, exec_lo, s2
	s_and_saveexec_b32 s2, vcc_lo
	s_cbranch_execnz .LBB182_578
.LBB182_502:
	s_or_b32 exec_lo, exec_lo, s2
	s_and_saveexec_b32 s2, vcc_lo
	s_cbranch_execnz .LBB182_579
.LBB182_503:
	s_or_b32 exec_lo, exec_lo, s2
	s_and_saveexec_b32 s2, vcc_lo
	s_cbranch_execnz .LBB182_580
.LBB182_504:
	s_or_b32 exec_lo, exec_lo, s2
	s_and_saveexec_b32 s2, vcc_lo
	s_cbranch_execnz .LBB182_581
.LBB182_505:
	s_or_b32 exec_lo, exec_lo, s2
	s_and_saveexec_b32 s2, vcc_lo
	s_cbranch_execnz .LBB182_582
.LBB182_506:
	s_or_b32 exec_lo, exec_lo, s2
	s_and_saveexec_b32 s2, vcc_lo
	s_cbranch_execnz .LBB182_583
.LBB182_507:
	s_or_b32 exec_lo, exec_lo, s2
	s_and_saveexec_b32 s2, vcc_lo
	s_cbranch_execnz .LBB182_584
.LBB182_508:
	s_or_b32 exec_lo, exec_lo, s2
	s_and_saveexec_b32 s2, vcc_lo
	s_cbranch_execnz .LBB182_585
.LBB182_509:
	s_or_b32 exec_lo, exec_lo, s2
	s_and_saveexec_b32 s2, vcc_lo
	s_cbranch_execnz .LBB182_586
.LBB182_510:
	s_or_b32 exec_lo, exec_lo, s2
	s_and_saveexec_b32 s2, vcc_lo
	s_cbranch_execnz .LBB182_587
.LBB182_511:
	s_or_b32 exec_lo, exec_lo, s2
	s_and_saveexec_b32 s2, vcc_lo
	s_cbranch_execz .LBB182_513
.LBB182_512:
	ds_load_b32 v13, v13 offset:352
	s_waitcnt lgkmcnt(0)
	v_add_f32_e32 v2, v2, v13
.LBB182_513:
	s_or_b32 exec_lo, exec_lo, s2
.LBB182_514:
	s_delay_alu instid0(SALU_CYCLE_1)
	s_or_b32 exec_lo, exec_lo, s1
	s_barrier
	buffer_gl0_inv
	s_and_saveexec_b32 s1, s0
	s_cbranch_execz .LBB182_565
; %bb.515:
	s_and_b32 exec_lo, exec_lo, vcc_lo
	s_cbranch_execz .LBB182_565
; %bb.516:
	v_and_b32_e32 v13, 0x7f800000, v1
	s_delay_alu instid0(VALU_DEP_1) | instskip(SKIP_1) | instid1(SALU_CYCLE_1)
	v_cmp_ne_u32_e32 vcc_lo, 0x7f800000, v13
                                        ; implicit-def: $vgpr13
	s_and_saveexec_b32 s0, vcc_lo
	s_xor_b32 s0, exec_lo, s0
; %bb.517:
	v_bfe_u32 v13, v1, 16, 1
	s_delay_alu instid0(VALU_DEP_1)
	v_add3_u32 v13, v1, v13, 0x7fff
                                        ; implicit-def: $vgpr1
; %bb.518:
	s_and_not1_saveexec_b32 s0, s0
; %bb.519:
	v_and_b32_e32 v13, 0xffff, v1
	v_or_b32_e32 v14, 0x10000, v1
	s_delay_alu instid0(VALU_DEP_2) | instskip(NEXT) | instid1(VALU_DEP_2)
	v_cmp_eq_u32_e32 vcc_lo, 0, v13
	v_cndmask_b32_e32 v13, v14, v1, vcc_lo
; %bb.520:
	s_or_b32 exec_lo, exec_lo, s0
	s_mul_i32 s0, s4, s14
	s_mul_i32 s2, s4, s20
	;; [unrolled: 1-line block ×3, first 2 shown]
	v_lshrrev_b32_e32 v0, 1, v0
	s_mulk_i32 s0, 0x60
	v_and_b32_e32 v15, 0x7f800000, v12
	s_ashr_i32 s1, s0, 31
	s_delay_alu instid0(VALU_DEP_2) | instskip(SKIP_1) | instid1(SALU_CYCLE_1)
	v_and_b32_e32 v14, 0x1fe, v0
	s_lshl_b64 s[0:1], s[0:1], 1
	s_add_u32 s4, s22, s0
	s_addc_u32 s5, s23, s1
	s_ashr_i32 s3, s2, 31
	s_delay_alu instid0(SALU_CYCLE_1) | instskip(SKIP_4) | instid1(SALU_CYCLE_1)
	s_lshl_b64 s[0:1], s[2:3], 1
	s_mul_i32 s2, s12, 0x60
	s_add_u32 s4, s4, s0
	s_addc_u32 s5, s5, s1
	s_ashr_i32 s3, s2, 31
	s_lshl_b64 s[0:1], s[2:3], 1
	s_delay_alu instid0(SALU_CYCLE_1) | instskip(SKIP_2) | instid1(VALU_DEP_1)
	s_add_u32 s0, s4, s0
	s_addc_u32 s1, s5, s1
	v_add_co_u32 v0, s2, s0, v14
	v_add_co_ci_u32_e64 v1, null, s1, 0, s2
	global_store_d16_hi_b16 v14, v13, s[0:1]
	s_mov_b32 s0, exec_lo
                                        ; implicit-def: $vgpr13
	v_cmpx_ne_u32_e32 0x7f800000, v15
	s_xor_b32 s0, exec_lo, s0
; %bb.521:
	v_bfe_u32 v13, v12, 16, 1
	s_delay_alu instid0(VALU_DEP_1)
	v_add3_u32 v13, v12, v13, 0x7fff
                                        ; implicit-def: $vgpr12
; %bb.522:
	s_and_not1_saveexec_b32 s0, s0
; %bb.523:
	v_and_b32_e32 v13, 0xffff, v12
	v_or_b32_e32 v14, 0x10000, v12
	s_delay_alu instid0(VALU_DEP_2) | instskip(NEXT) | instid1(VALU_DEP_2)
	v_cmp_eq_u32_e32 vcc_lo, 0, v13
	v_cndmask_b32_e32 v13, v14, v12, vcc_lo
; %bb.524:
	s_or_b32 exec_lo, exec_lo, s0
	v_and_b32_e32 v12, 0x7f800000, v11
	global_store_d16_hi_b16 v[0:1], v13, off offset:16
	v_cmp_ne_u32_e32 vcc_lo, 0x7f800000, v12
                                        ; implicit-def: $vgpr12
	s_and_saveexec_b32 s0, vcc_lo
	s_delay_alu instid0(SALU_CYCLE_1)
	s_xor_b32 s0, exec_lo, s0
; %bb.525:
	v_bfe_u32 v12, v11, 16, 1
	s_delay_alu instid0(VALU_DEP_1)
	v_add3_u32 v12, v11, v12, 0x7fff
                                        ; implicit-def: $vgpr11
; %bb.526:
	s_and_not1_saveexec_b32 s0, s0
; %bb.527:
	v_and_b32_e32 v12, 0xffff, v11
	v_or_b32_e32 v13, 0x10000, v11
	s_delay_alu instid0(VALU_DEP_2) | instskip(NEXT) | instid1(VALU_DEP_2)
	v_cmp_eq_u32_e32 vcc_lo, 0, v12
	v_cndmask_b32_e32 v12, v13, v11, vcc_lo
; %bb.528:
	s_or_b32 exec_lo, exec_lo, s0
	v_and_b32_e32 v11, 0x7f800000, v10
	global_store_d16_hi_b16 v[0:1], v12, off offset:32
	v_cmp_ne_u32_e32 vcc_lo, 0x7f800000, v11
                                        ; implicit-def: $vgpr11
	s_and_saveexec_b32 s0, vcc_lo
	s_delay_alu instid0(SALU_CYCLE_1)
	s_xor_b32 s0, exec_lo, s0
; %bb.529:
	v_bfe_u32 v11, v10, 16, 1
	s_delay_alu instid0(VALU_DEP_1)
	v_add3_u32 v11, v10, v11, 0x7fff
                                        ; implicit-def: $vgpr10
; %bb.530:
	s_and_not1_saveexec_b32 s0, s0
; %bb.531:
	v_and_b32_e32 v11, 0xffff, v10
	v_or_b32_e32 v12, 0x10000, v10
	s_delay_alu instid0(VALU_DEP_2) | instskip(NEXT) | instid1(VALU_DEP_2)
	v_cmp_eq_u32_e32 vcc_lo, 0, v11
	v_cndmask_b32_e32 v11, v12, v10, vcc_lo
; %bb.532:
	s_or_b32 exec_lo, exec_lo, s0
	v_and_b32_e32 v10, 0x7f800000, v9
	global_store_d16_hi_b16 v[0:1], v11, off offset:48
	v_cmp_ne_u32_e32 vcc_lo, 0x7f800000, v10
                                        ; implicit-def: $vgpr10
	s_and_saveexec_b32 s0, vcc_lo
	s_delay_alu instid0(SALU_CYCLE_1)
	s_xor_b32 s0, exec_lo, s0
; %bb.533:
	v_bfe_u32 v10, v9, 16, 1
	s_delay_alu instid0(VALU_DEP_1)
	v_add3_u32 v10, v9, v10, 0x7fff
                                        ; implicit-def: $vgpr9
; %bb.534:
	s_and_not1_saveexec_b32 s0, s0
; %bb.535:
	v_and_b32_e32 v10, 0xffff, v9
	v_or_b32_e32 v11, 0x10000, v9
	s_delay_alu instid0(VALU_DEP_2) | instskip(NEXT) | instid1(VALU_DEP_2)
	v_cmp_eq_u32_e32 vcc_lo, 0, v10
	v_cndmask_b32_e32 v10, v11, v9, vcc_lo
; %bb.536:
	s_or_b32 exec_lo, exec_lo, s0
	v_and_b32_e32 v9, 0x7f800000, v8
	global_store_d16_hi_b16 v[0:1], v10, off offset:64
	v_cmp_ne_u32_e32 vcc_lo, 0x7f800000, v9
                                        ; implicit-def: $vgpr9
	s_and_saveexec_b32 s0, vcc_lo
	s_delay_alu instid0(SALU_CYCLE_1)
	s_xor_b32 s0, exec_lo, s0
; %bb.537:
	v_bfe_u32 v9, v8, 16, 1
	s_delay_alu instid0(VALU_DEP_1)
	v_add3_u32 v9, v8, v9, 0x7fff
                                        ; implicit-def: $vgpr8
; %bb.538:
	s_and_not1_saveexec_b32 s0, s0
; %bb.539:
	v_and_b32_e32 v9, 0xffff, v8
	v_or_b32_e32 v10, 0x10000, v8
	s_delay_alu instid0(VALU_DEP_2) | instskip(NEXT) | instid1(VALU_DEP_2)
	v_cmp_eq_u32_e32 vcc_lo, 0, v9
	v_cndmask_b32_e32 v9, v10, v8, vcc_lo
; %bb.540:
	s_or_b32 exec_lo, exec_lo, s0
	v_and_b32_e32 v8, 0x7f800000, v7
	global_store_d16_hi_b16 v[0:1], v9, off offset:80
	v_cmp_ne_u32_e32 vcc_lo, 0x7f800000, v8
                                        ; implicit-def: $vgpr8
	s_and_saveexec_b32 s0, vcc_lo
	s_delay_alu instid0(SALU_CYCLE_1)
	s_xor_b32 s0, exec_lo, s0
; %bb.541:
	v_bfe_u32 v8, v7, 16, 1
	s_delay_alu instid0(VALU_DEP_1)
	v_add3_u32 v8, v7, v8, 0x7fff
                                        ; implicit-def: $vgpr7
; %bb.542:
	s_and_not1_saveexec_b32 s0, s0
; %bb.543:
	v_and_b32_e32 v8, 0xffff, v7
	v_or_b32_e32 v9, 0x10000, v7
	s_delay_alu instid0(VALU_DEP_2) | instskip(NEXT) | instid1(VALU_DEP_2)
	v_cmp_eq_u32_e32 vcc_lo, 0, v8
	v_cndmask_b32_e32 v8, v9, v7, vcc_lo
; %bb.544:
	s_or_b32 exec_lo, exec_lo, s0
	v_and_b32_e32 v7, 0x7f800000, v6
	global_store_d16_hi_b16 v[0:1], v8, off offset:96
	v_cmp_ne_u32_e32 vcc_lo, 0x7f800000, v7
                                        ; implicit-def: $vgpr7
	s_and_saveexec_b32 s0, vcc_lo
	s_delay_alu instid0(SALU_CYCLE_1)
	s_xor_b32 s0, exec_lo, s0
; %bb.545:
	v_bfe_u32 v7, v6, 16, 1
	s_delay_alu instid0(VALU_DEP_1)
	v_add3_u32 v7, v6, v7, 0x7fff
                                        ; implicit-def: $vgpr6
; %bb.546:
	s_and_not1_saveexec_b32 s0, s0
; %bb.547:
	v_and_b32_e32 v7, 0xffff, v6
	v_or_b32_e32 v8, 0x10000, v6
	s_delay_alu instid0(VALU_DEP_2) | instskip(NEXT) | instid1(VALU_DEP_2)
	v_cmp_eq_u32_e32 vcc_lo, 0, v7
	v_cndmask_b32_e32 v7, v8, v6, vcc_lo
; %bb.548:
	s_or_b32 exec_lo, exec_lo, s0
	v_and_b32_e32 v6, 0x7f800000, v5
	global_store_d16_hi_b16 v[0:1], v7, off offset:112
	v_cmp_ne_u32_e32 vcc_lo, 0x7f800000, v6
                                        ; implicit-def: $vgpr6
	s_and_saveexec_b32 s0, vcc_lo
	s_delay_alu instid0(SALU_CYCLE_1)
	s_xor_b32 s0, exec_lo, s0
; %bb.549:
	v_bfe_u32 v6, v5, 16, 1
	s_delay_alu instid0(VALU_DEP_1)
	v_add3_u32 v6, v5, v6, 0x7fff
                                        ; implicit-def: $vgpr5
; %bb.550:
	s_and_not1_saveexec_b32 s0, s0
; %bb.551:
	v_and_b32_e32 v6, 0xffff, v5
	v_or_b32_e32 v7, 0x10000, v5
	s_delay_alu instid0(VALU_DEP_2) | instskip(NEXT) | instid1(VALU_DEP_2)
	v_cmp_eq_u32_e32 vcc_lo, 0, v6
	v_cndmask_b32_e32 v6, v7, v5, vcc_lo
; %bb.552:
	s_or_b32 exec_lo, exec_lo, s0
	v_and_b32_e32 v5, 0x7f800000, v4
	global_store_d16_hi_b16 v[0:1], v6, off offset:128
	v_cmp_ne_u32_e32 vcc_lo, 0x7f800000, v5
                                        ; implicit-def: $vgpr5
	s_and_saveexec_b32 s0, vcc_lo
	s_delay_alu instid0(SALU_CYCLE_1)
	s_xor_b32 s0, exec_lo, s0
; %bb.553:
	v_bfe_u32 v5, v4, 16, 1
	s_delay_alu instid0(VALU_DEP_1)
	v_add3_u32 v5, v4, v5, 0x7fff
                                        ; implicit-def: $vgpr4
; %bb.554:
	s_and_not1_saveexec_b32 s0, s0
; %bb.555:
	v_and_b32_e32 v5, 0xffff, v4
	v_or_b32_e32 v6, 0x10000, v4
	s_delay_alu instid0(VALU_DEP_2) | instskip(NEXT) | instid1(VALU_DEP_2)
	v_cmp_eq_u32_e32 vcc_lo, 0, v5
	v_cndmask_b32_e32 v5, v6, v4, vcc_lo
; %bb.556:
	s_or_b32 exec_lo, exec_lo, s0
	v_and_b32_e32 v4, 0x7f800000, v3
	global_store_d16_hi_b16 v[0:1], v5, off offset:144
	v_cmp_ne_u32_e32 vcc_lo, 0x7f800000, v4
                                        ; implicit-def: $vgpr4
	s_and_saveexec_b32 s0, vcc_lo
	s_delay_alu instid0(SALU_CYCLE_1)
	s_xor_b32 s0, exec_lo, s0
; %bb.557:
	v_bfe_u32 v4, v3, 16, 1
	s_delay_alu instid0(VALU_DEP_1)
	v_add3_u32 v4, v3, v4, 0x7fff
                                        ; implicit-def: $vgpr3
; %bb.558:
	s_and_not1_saveexec_b32 s0, s0
; %bb.559:
	v_and_b32_e32 v4, 0xffff, v3
	v_or_b32_e32 v5, 0x10000, v3
	s_delay_alu instid0(VALU_DEP_2) | instskip(NEXT) | instid1(VALU_DEP_2)
	v_cmp_eq_u32_e32 vcc_lo, 0, v4
	v_cndmask_b32_e32 v4, v5, v3, vcc_lo
; %bb.560:
	s_or_b32 exec_lo, exec_lo, s0
	v_and_b32_e32 v3, 0x7f800000, v2
	global_store_d16_hi_b16 v[0:1], v4, off offset:160
	v_cmp_ne_u32_e32 vcc_lo, 0x7f800000, v3
                                        ; implicit-def: $vgpr3
	s_and_saveexec_b32 s0, vcc_lo
	s_delay_alu instid0(SALU_CYCLE_1)
	s_xor_b32 s0, exec_lo, s0
; %bb.561:
	v_bfe_u32 v3, v2, 16, 1
	s_delay_alu instid0(VALU_DEP_1)
	v_add3_u32 v3, v2, v3, 0x7fff
                                        ; implicit-def: $vgpr2
; %bb.562:
	s_and_not1_saveexec_b32 s0, s0
; %bb.563:
	v_and_b32_e32 v3, 0xffff, v2
	v_or_b32_e32 v4, 0x10000, v2
	s_delay_alu instid0(VALU_DEP_2) | instskip(NEXT) | instid1(VALU_DEP_2)
	v_cmp_eq_u32_e32 vcc_lo, 0, v3
	v_cndmask_b32_e32 v3, v4, v2, vcc_lo
; %bb.564:
	s_or_b32 exec_lo, exec_lo, s0
	global_store_d16_hi_b16 v[0:1], v3, off offset:176
.LBB182_565:
	s_nop 0
	s_sendmsg sendmsg(MSG_DEALLOC_VGPRS)
	s_endpgm
.LBB182_566:
	v_lshl_add_u32 v13, v14, 2, v15
	ds_load_b32 v13, v13
	s_waitcnt lgkmcnt(0)
	v_add_f32_e32 v1, v1, v13
	s_or_b32 exec_lo, exec_lo, s0
	s_and_saveexec_b32 s0, vcc_lo
	s_cbranch_execz .LBB182_485
.LBB182_567:
	v_lshl_add_u32 v13, v14, 2, v15
	ds_load_b32 v13, v13 offset:32
	s_waitcnt lgkmcnt(0)
	v_add_f32_e32 v12, v12, v13
	s_or_b32 exec_lo, exec_lo, s0
	s_and_saveexec_b32 s0, vcc_lo
	s_cbranch_execz .LBB182_486
.LBB182_568:
	v_lshl_add_u32 v13, v14, 2, v15
	ds_load_b32 v13, v13 offset:64
	s_waitcnt lgkmcnt(0)
	v_add_f32_e32 v11, v11, v13
	s_or_b32 exec_lo, exec_lo, s0
	s_and_saveexec_b32 s0, vcc_lo
	s_cbranch_execz .LBB182_487
.LBB182_569:
	v_lshl_add_u32 v13, v14, 2, v15
	ds_load_b32 v13, v13 offset:96
	s_waitcnt lgkmcnt(0)
	v_add_f32_e32 v10, v10, v13
	s_or_b32 exec_lo, exec_lo, s0
	s_and_saveexec_b32 s0, vcc_lo
	s_cbranch_execz .LBB182_488
.LBB182_570:
	v_lshl_add_u32 v13, v14, 2, v15
	ds_load_b32 v13, v13 offset:128
	s_waitcnt lgkmcnt(0)
	v_add_f32_e32 v9, v9, v13
	s_or_b32 exec_lo, exec_lo, s0
	s_and_saveexec_b32 s0, vcc_lo
	s_cbranch_execz .LBB182_489
.LBB182_571:
	v_lshl_add_u32 v13, v14, 2, v15
	ds_load_b32 v13, v13 offset:160
	s_waitcnt lgkmcnt(0)
	v_add_f32_e32 v8, v8, v13
	s_or_b32 exec_lo, exec_lo, s0
	s_and_saveexec_b32 s0, vcc_lo
	s_cbranch_execz .LBB182_490
.LBB182_572:
	v_lshl_add_u32 v13, v14, 2, v15
	ds_load_b32 v13, v13 offset:192
	s_waitcnt lgkmcnt(0)
	v_add_f32_e32 v7, v7, v13
	s_or_b32 exec_lo, exec_lo, s0
	s_and_saveexec_b32 s0, vcc_lo
	s_cbranch_execz .LBB182_491
.LBB182_573:
	v_lshl_add_u32 v13, v14, 2, v15
	ds_load_b32 v13, v13 offset:224
	s_waitcnt lgkmcnt(0)
	v_add_f32_e32 v6, v6, v13
	s_or_b32 exec_lo, exec_lo, s0
	s_and_saveexec_b32 s0, vcc_lo
	s_cbranch_execz .LBB182_492
.LBB182_574:
	v_lshl_add_u32 v13, v14, 2, v15
	ds_load_b32 v13, v13 offset:256
	s_waitcnt lgkmcnt(0)
	v_add_f32_e32 v5, v5, v13
	s_or_b32 exec_lo, exec_lo, s0
	s_and_saveexec_b32 s0, vcc_lo
	s_cbranch_execz .LBB182_493
.LBB182_575:
	v_lshl_add_u32 v13, v14, 2, v15
	ds_load_b32 v13, v13 offset:288
	s_waitcnt lgkmcnt(0)
	v_add_f32_e32 v4, v4, v13
	s_or_b32 exec_lo, exec_lo, s0
	s_and_saveexec_b32 s0, vcc_lo
	s_cbranch_execz .LBB182_494
.LBB182_576:
	v_lshl_add_u32 v13, v14, 2, v15
	ds_load_b32 v13, v13 offset:320
	s_waitcnt lgkmcnt(0)
	v_add_f32_e32 v3, v3, v13
	s_or_b32 exec_lo, exec_lo, s0
	s_and_saveexec_b32 s0, vcc_lo
	s_cbranch_execnz .LBB182_495
	s_branch .LBB182_496
.LBB182_577:
	ds_load_b32 v14, v13
	s_waitcnt lgkmcnt(0)
	v_add_f32_e32 v1, v1, v14
	s_or_b32 exec_lo, exec_lo, s2
	s_and_saveexec_b32 s2, vcc_lo
	s_cbranch_execz .LBB182_502
.LBB182_578:
	ds_load_b32 v14, v13 offset:32
	s_waitcnt lgkmcnt(0)
	v_add_f32_e32 v12, v12, v14
	s_or_b32 exec_lo, exec_lo, s2
	s_and_saveexec_b32 s2, vcc_lo
	s_cbranch_execz .LBB182_503
.LBB182_579:
	ds_load_b32 v14, v13 offset:64
	s_waitcnt lgkmcnt(0)
	v_add_f32_e32 v11, v11, v14
	s_or_b32 exec_lo, exec_lo, s2
	s_and_saveexec_b32 s2, vcc_lo
	s_cbranch_execz .LBB182_504
.LBB182_580:
	ds_load_b32 v14, v13 offset:96
	s_waitcnt lgkmcnt(0)
	v_add_f32_e32 v10, v10, v14
	s_or_b32 exec_lo, exec_lo, s2
	s_and_saveexec_b32 s2, vcc_lo
	s_cbranch_execz .LBB182_505
.LBB182_581:
	ds_load_b32 v14, v13 offset:128
	s_waitcnt lgkmcnt(0)
	v_add_f32_e32 v9, v9, v14
	s_or_b32 exec_lo, exec_lo, s2
	s_and_saveexec_b32 s2, vcc_lo
	s_cbranch_execz .LBB182_506
.LBB182_582:
	ds_load_b32 v14, v13 offset:160
	s_waitcnt lgkmcnt(0)
	v_add_f32_e32 v8, v8, v14
	s_or_b32 exec_lo, exec_lo, s2
	s_and_saveexec_b32 s2, vcc_lo
	s_cbranch_execz .LBB182_507
.LBB182_583:
	ds_load_b32 v14, v13 offset:192
	s_waitcnt lgkmcnt(0)
	v_add_f32_e32 v7, v7, v14
	s_or_b32 exec_lo, exec_lo, s2
	s_and_saveexec_b32 s2, vcc_lo
	s_cbranch_execz .LBB182_508
.LBB182_584:
	ds_load_b32 v14, v13 offset:224
	s_waitcnt lgkmcnt(0)
	v_add_f32_e32 v6, v6, v14
	s_or_b32 exec_lo, exec_lo, s2
	s_and_saveexec_b32 s2, vcc_lo
	s_cbranch_execz .LBB182_509
.LBB182_585:
	ds_load_b32 v14, v13 offset:256
	s_waitcnt lgkmcnt(0)
	v_add_f32_e32 v5, v5, v14
	s_or_b32 exec_lo, exec_lo, s2
	s_and_saveexec_b32 s2, vcc_lo
	s_cbranch_execz .LBB182_510
.LBB182_586:
	ds_load_b32 v14, v13 offset:288
	s_waitcnt lgkmcnt(0)
	v_add_f32_e32 v4, v4, v14
	s_or_b32 exec_lo, exec_lo, s2
	s_and_saveexec_b32 s2, vcc_lo
	s_cbranch_execz .LBB182_511
.LBB182_587:
	ds_load_b32 v14, v13 offset:320
	s_waitcnt lgkmcnt(0)
	v_add_f32_e32 v3, v3, v14
	s_or_b32 exec_lo, exec_lo, s2
	s_and_saveexec_b32 s2, vcc_lo
	s_cbranch_execnz .LBB182_512
	s_branch .LBB182_513
	.section	.rodata,"a",@progbits
	.p2align	6, 0x0
	.amdhsa_kernel _ZN4vllm25paged_attention_v2_kernelI14__hip_bfloat16S1_Li96ELi32ELi128ELNS_18Fp8KVCacheDataTypeE0ELb1ELi512EEEvPfS3_PT_PKS4_PKT0_SA_ifPKiSC_iPKfiiiSE_SE_iiiii
		.amdhsa_group_segment_fixed_size 224
		.amdhsa_private_segment_fixed_size 0
		.amdhsa_kernarg_size 400
		.amdhsa_user_sgpr_count 13
		.amdhsa_user_sgpr_dispatch_ptr 0
		.amdhsa_user_sgpr_queue_ptr 0
		.amdhsa_user_sgpr_kernarg_segment_ptr 1
		.amdhsa_user_sgpr_dispatch_id 0
		.amdhsa_user_sgpr_private_segment_size 0
		.amdhsa_wavefront_size32 1
		.amdhsa_uses_dynamic_stack 0
		.amdhsa_enable_private_segment 0
		.amdhsa_system_sgpr_workgroup_id_x 1
		.amdhsa_system_sgpr_workgroup_id_y 1
		.amdhsa_system_sgpr_workgroup_id_z 1
		.amdhsa_system_sgpr_workgroup_info 0
		.amdhsa_system_vgpr_workitem_id 0
		.amdhsa_next_free_vgpr 175
		.amdhsa_next_free_sgpr 44
		.amdhsa_reserve_vcc 1
		.amdhsa_float_round_mode_32 0
		.amdhsa_float_round_mode_16_64 0
		.amdhsa_float_denorm_mode_32 3
		.amdhsa_float_denorm_mode_16_64 3
		.amdhsa_dx10_clamp 1
		.amdhsa_ieee_mode 1
		.amdhsa_fp16_overflow 0
		.amdhsa_workgroup_processor_mode 1
		.amdhsa_memory_ordered 1
		.amdhsa_forward_progress 0
		.amdhsa_shared_vgpr_count 0
		.amdhsa_exception_fp_ieee_invalid_op 0
		.amdhsa_exception_fp_denorm_src 0
		.amdhsa_exception_fp_ieee_div_zero 0
		.amdhsa_exception_fp_ieee_overflow 0
		.amdhsa_exception_fp_ieee_underflow 0
		.amdhsa_exception_fp_ieee_inexact 0
		.amdhsa_exception_int_div_zero 0
	.end_amdhsa_kernel
	.section	.text._ZN4vllm25paged_attention_v2_kernelI14__hip_bfloat16S1_Li96ELi32ELi128ELNS_18Fp8KVCacheDataTypeE0ELb1ELi512EEEvPfS3_PT_PKS4_PKT0_SA_ifPKiSC_iPKfiiiSE_SE_iiiii,"axG",@progbits,_ZN4vllm25paged_attention_v2_kernelI14__hip_bfloat16S1_Li96ELi32ELi128ELNS_18Fp8KVCacheDataTypeE0ELb1ELi512EEEvPfS3_PT_PKS4_PKT0_SA_ifPKiSC_iPKfiiiSE_SE_iiiii,comdat
.Lfunc_end182:
	.size	_ZN4vllm25paged_attention_v2_kernelI14__hip_bfloat16S1_Li96ELi32ELi128ELNS_18Fp8KVCacheDataTypeE0ELb1ELi512EEEvPfS3_PT_PKS4_PKT0_SA_ifPKiSC_iPKfiiiSE_SE_iiiii, .Lfunc_end182-_ZN4vllm25paged_attention_v2_kernelI14__hip_bfloat16S1_Li96ELi32ELi128ELNS_18Fp8KVCacheDataTypeE0ELb1ELi512EEEvPfS3_PT_PKS4_PKT0_SA_ifPKiSC_iPKfiiiSE_SE_iiiii
                                        ; -- End function
	.section	.AMDGPU.csdata,"",@progbits
; Kernel info:
; codeLenInByte = 23912
; NumSgprs: 46
; NumVgprs: 175
; ScratchSize: 0
; MemoryBound: 0
; FloatMode: 240
; IeeeMode: 1
; LDSByteSize: 224 bytes/workgroup (compile time only)
; SGPRBlocks: 5
; VGPRBlocks: 21
; NumSGPRsForWavesPerEU: 46
; NumVGPRsForWavesPerEU: 175
; Occupancy: 8
; WaveLimiterHint : 1
; COMPUTE_PGM_RSRC2:SCRATCH_EN: 0
; COMPUTE_PGM_RSRC2:USER_SGPR: 13
; COMPUTE_PGM_RSRC2:TRAP_HANDLER: 0
; COMPUTE_PGM_RSRC2:TGID_X_EN: 1
; COMPUTE_PGM_RSRC2:TGID_Y_EN: 1
; COMPUTE_PGM_RSRC2:TGID_Z_EN: 1
; COMPUTE_PGM_RSRC2:TIDIG_COMP_CNT: 0
	.text
	.p2align	2                               ; -- Begin function _ZN4vllm22paged_attention_kernelI14__hip_bfloat16S1_Li112ELi32ELi128ELNS_18Fp8KVCacheDataTypeE0ELb1ELi512EEEvPfS3_PT_PKS4_PKT0_SA_ifPKiSC_iPKfiiiSE_SE_iiiii
	.type	_ZN4vllm22paged_attention_kernelI14__hip_bfloat16S1_Li112ELi32ELi128ELNS_18Fp8KVCacheDataTypeE0ELb1ELi512EEEvPfS3_PT_PKS4_PKT0_SA_ifPKiSC_iPKfiiiSE_SE_iiiii,@function
_ZN4vllm22paged_attention_kernelI14__hip_bfloat16S1_Li112ELi32ELi128ELNS_18Fp8KVCacheDataTypeE0ELb1ELi512EEEvPfS3_PT_PKS4_PKT0_SA_ifPKiSC_iPKfiiiSE_SE_iiiii: ; @_ZN4vllm22paged_attention_kernelI14__hip_bfloat16S1_Li112ELi32ELi128ELNS_18Fp8KVCacheDataTypeE0ELb1ELi512EEEvPfS3_PT_PKS4_PKT0_SA_ifPKiSC_iPKfiiiSE_SE_iiiii
; %bb.0:
	s_waitcnt vmcnt(0) expcnt(0) lgkmcnt(0)
	s_clause 0x1f
	scratch_store_b32 off, v40, s32 offset:316
	; meta instruction
	scratch_store_b32 off, v41, s32 offset:312
	; meta instruction
	;; [unrolled: 2-line block ×31, first 2 shown]
	scratch_store_b32 off, v95, s32 offset:192
	s_clause 0x1f
	scratch_store_b32 off, v104, s32 offset:188
	; meta instruction
	scratch_store_b32 off, v105, s32 offset:184
	; meta instruction
	;; [unrolled: 2-line block ×31, first 2 shown]
	scratch_store_b32 off, v159, s32 offset:64
	s_clause 0xf
	scratch_store_b32 off, v168, s32 offset:60
	; meta instruction
	scratch_store_b32 off, v169, s32 offset:56
	; meta instruction
	;; [unrolled: 2-line block ×15, first 2 shown]
	scratch_store_b32 off, v191, s32
	s_mov_b32 s4, s13
	s_ashr_i32 s5, s13, 31
	v_dual_mov_b32 v29, v1 :: v_dual_mov_b32 v30, v0
	s_lshl_b64 s[0:1], s[4:5], 2
	v_dual_mov_b32 v155, v5 :: v_dual_mov_b32 v156, v4
	v_add_co_u32 v0, vcc_lo, v16, s0
	v_add_co_ci_u32_e32 v1, vcc_lo, s1, v17, vcc_lo
	v_dual_mov_b32 v32, v3 :: v_dual_mov_b32 v33, v2
	s_lshl_b32 s3, s14, 9
	flat_load_b32 v86, v[0:1]
	s_mov_b32 s5, exec_lo
	s_waitcnt vmcnt(0) lgkmcnt(0)
	v_cmpx_lt_i32_e64 s3, v86
	s_cbranch_execz .LBB183_645
; %bb.1:
	v_sub_nc_u32_e32 v0, 0, v12
	s_clause 0x1
	s_load_b32 s0, s[8:9], 0x10
	s_load_b32 s1, s[8:9], 0x0
	s_mov_b32 s10, s15
	v_mov_b32_e32 v102, 0
	v_max_i32_e32 v0, v12, v0
	s_delay_alu instid0(VALU_DEP_1) | instskip(SKIP_1) | instid1(VALU_DEP_2)
	v_cvt_f32_u32_e32 v1, v0
	v_sub_nc_u32_e32 v2, 0, v0
	v_rcp_iflag_f32_e32 v1, v1
	s_waitcnt lgkmcnt(0)
	s_lshr_b32 s0, s0, 16
	s_delay_alu instid0(SALU_CYCLE_1) | instskip(SKIP_3) | instid1(SALU_CYCLE_1)
	s_cmp_lg_u32 s0, 0
	s_waitcnt_depctr 0xfff
	v_mul_f32_e32 v1, 0x4f7ffffe, v1
	s_cselect_b32 s0, -1, 0
	s_cmp_lg_u32 s0, 0
	s_delay_alu instid0(VALU_DEP_1) | instskip(SKIP_3) | instid1(VALU_DEP_1)
	v_cvt_u32_f32_e32 v1, v1
	s_addc_u32 s16, s1, 0
	s_mov_b32 s1, exec_lo
	s_abs_i32 s0, s16
	v_mul_lo_u32 v2, v2, v1
	s_delay_alu instid0(VALU_DEP_1) | instskip(NEXT) | instid1(VALU_DEP_1)
	v_mul_hi_u32 v2, v1, v2
	v_add_nc_u32_e32 v1, v1, v2
	s_delay_alu instid0(VALU_DEP_1) | instskip(NEXT) | instid1(VALU_DEP_1)
	v_mul_hi_u32 v1, s0, v1
	v_mul_lo_u32 v2, v1, v0
	v_add_nc_u32_e32 v3, 1, v1
	s_delay_alu instid0(VALU_DEP_2) | instskip(SKIP_1) | instid1(VALU_DEP_1)
	v_sub_nc_u32_e32 v2, s0, v2
	s_abs_i32 s0, s12
	v_sub_nc_u32_e32 v4, v2, v0
	v_cmp_ge_u32_e32 vcc_lo, v2, v0
	s_delay_alu instid0(VALU_DEP_2) | instskip(SKIP_1) | instid1(VALU_DEP_2)
	v_dual_cndmask_b32 v1, v1, v3 :: v_dual_cndmask_b32 v2, v2, v4
	v_xor_b32_e32 v3, s16, v12
	v_add_nc_u32_e32 v4, 1, v1
	s_delay_alu instid0(VALU_DEP_3) | instskip(NEXT) | instid1(VALU_DEP_3)
	v_cmp_ge_u32_e32 vcc_lo, v2, v0
	v_ashrrev_i32_e32 v3, 31, v3
	s_delay_alu instid0(VALU_DEP_3) | instskip(NEXT) | instid1(VALU_DEP_1)
	v_cndmask_b32_e32 v0, v1, v4, vcc_lo
	v_xor_b32_e32 v0, v0, v3
	s_delay_alu instid0(VALU_DEP_1) | instskip(NEXT) | instid1(VALU_DEP_1)
	v_sub_nc_u32_e32 v1, v0, v3
	v_sub_nc_u32_e32 v0, 0, v1
	s_delay_alu instid0(VALU_DEP_1) | instskip(NEXT) | instid1(VALU_DEP_1)
	v_max_i32_e32 v0, v1, v0
	v_cvt_f32_u32_e32 v2, v0
	v_sub_nc_u32_e32 v3, 0, v0
	s_delay_alu instid0(VALU_DEP_2) | instskip(SKIP_2) | instid1(VALU_DEP_1)
	v_rcp_iflag_f32_e32 v2, v2
	s_waitcnt_depctr 0xfff
	v_mul_f32_e32 v2, 0x4f7ffffe, v2
	v_cvt_u32_f32_e32 v2, v2
	s_delay_alu instid0(VALU_DEP_1) | instskip(NEXT) | instid1(VALU_DEP_1)
	v_mul_lo_u32 v3, v3, v2
	v_mul_hi_u32 v3, v2, v3
	s_delay_alu instid0(VALU_DEP_1) | instskip(NEXT) | instid1(VALU_DEP_1)
	v_add_nc_u32_e32 v2, v2, v3
	v_mad_u64_u32 v[16:17], null, s0, v2, 0
	v_cmpx_ne_u64_e32 0, v[19:20]
	s_cbranch_execz .LBB183_3
; %bb.2:
	s_ashr_i32 s13, s12, 31
	s_delay_alu instid0(SALU_CYCLE_1) | instskip(NEXT) | instid1(SALU_CYCLE_1)
	s_lshl_b64 s[6:7], s[12:13], 2
	v_add_co_u32 v2, vcc_lo, v19, s6
	v_add_co_ci_u32_e32 v3, vcc_lo, s7, v20, vcc_lo
	flat_load_b32 v102, v[2:3]
.LBB183_3:
	s_or_b32 exec_lo, exec_lo, s1
	v_and_b32_e32 v157, 0x3ff, v31
	v_ashrrev_i32_e32 v1, 31, v1
	s_ashr_i32 s1, s12, 31
	s_mul_i32 s6, s12, 0x70
	s_mov_b32 s2, exec_lo
	v_cmpx_gt_u32_e32 14, v157
	s_cbranch_execz .LBB183_5
; %bb.4:
	v_mul_lo_u32 v2, s4, v21
	s_ashr_i32 s7, s6, 31
	v_lshlrev_b32_e32 v16, 4, v157
	s_lshl_b64 s[18:19], s[6:7], 1
	s_delay_alu instid0(VALU_DEP_2) | instskip(NEXT) | instid1(VALU_DEP_1)
	v_ashrrev_i32_e32 v3, 31, v2
	v_lshlrev_b64 v[2:3], 1, v[2:3]
	s_delay_alu instid0(VALU_DEP_1) | instskip(NEXT) | instid1(VALU_DEP_2)
	v_add_co_u32 v2, vcc_lo, v6, v2
	v_add_co_ci_u32_e32 v3, vcc_lo, v7, v3, vcc_lo
	s_delay_alu instid0(VALU_DEP_2) | instskip(NEXT) | instid1(VALU_DEP_2)
	v_add_co_u32 v2, vcc_lo, v2, s18
	v_add_co_ci_u32_e32 v3, vcc_lo, s19, v3, vcc_lo
	s_delay_alu instid0(VALU_DEP_2) | instskip(NEXT) | instid1(VALU_DEP_2)
	v_add_co_u32 v2, vcc_lo, v2, v16
	v_add_co_ci_u32_e32 v3, vcc_lo, 0, v3, vcc_lo
	flat_load_b128 v[2:5], v[2:3]
	s_waitcnt vmcnt(0) lgkmcnt(0)
	ds_store_b128 v16, v[2:5]
.LBB183_5:
	s_or_b32 exec_lo, exec_lo, s2
	v_sub_nc_u32_e32 v2, 0, v27
	v_mul_lo_u32 v3, v17, v0
	v_xor_b32_e32 v1, s1, v1
                                        ; implicit-def: $vgpr20
	v_add_nc_u32_e32 v5, 1, v17
	s_delay_alu instid0(VALU_DEP_4) | instskip(NEXT) | instid1(VALU_DEP_4)
	v_max_i32_e32 v87, v27, v2
	v_sub_nc_u32_e32 v3, s0, v3
	s_delay_alu instid0(VALU_DEP_2) | instskip(SKIP_1) | instid1(VALU_DEP_2)
	v_cvt_f32_u32_e32 v2, v87
	s_mov_b32 s0, exec_lo
	v_sub_nc_u32_e32 v6, v3, v0
	s_delay_alu instid0(VALU_DEP_2) | instskip(SKIP_3) | instid1(VALU_DEP_1)
	v_rcp_iflag_f32_e32 v2, v2
	v_cmp_ge_u32_e32 vcc_lo, v3, v0
	s_waitcnt_depctr 0xfff
	v_dual_cndmask_b32 v5, v17, v5 :: v_dual_mul_f32 v2, 0x4f7ffffe, v2
	v_cvt_u32_f32_e32 v4, v2
	v_sub_nc_u32_e32 v2, 0, v87
	s_delay_alu instid0(VALU_DEP_1) | instskip(SKIP_2) | instid1(VALU_DEP_2)
	v_mul_lo_u32 v7, v2, v4
	v_add_nc_u32_e32 v2, -1, v86
	v_dual_cndmask_b32 v3, v3, v6 :: v_dual_add_nc_u32 v6, 1, v5
	v_sub_nc_u32_e32 v16, 0, v2
	s_delay_alu instid0(VALU_DEP_2) | instskip(SKIP_1) | instid1(VALU_DEP_3)
	v_cmp_ge_u32_e32 vcc_lo, v3, v0
	v_mul_hi_u32 v7, v4, v7
	v_max_i32_e32 v0, v2, v16
	s_delay_alu instid0(VALU_DEP_2) | instskip(NEXT) | instid1(VALU_DEP_1)
	v_dual_cndmask_b32 v3, v5, v6 :: v_dual_add_nc_u32 v4, v4, v7
	v_xor_b32_e32 v3, v3, v1
	s_delay_alu instid0(VALU_DEP_2) | instskip(NEXT) | instid1(VALU_DEP_2)
	v_mad_u64_u32 v[6:7], null, v0, v4, 0
	v_sub_nc_u32_e32 v6, v3, v1
	scratch_store_b32 off, v4, s32 offset:320 ; 4-byte Folded Spill
	s_waitcnt vmcnt(0) lgkmcnt(0)
	s_waitcnt_vscnt null, 0x0
	s_barrier
	buffer_gl0_inv
	v_cmpx_gt_i32_e32 0, v28
	s_xor_b32 s0, exec_lo, s0
; %bb.6:
	v_mad_u64_u32 v[3:4], null, v24, v12, v[6:7]
                                        ; implicit-def: $vgpr24
	s_delay_alu instid0(VALU_DEP_1) | instskip(NEXT) | instid1(VALU_DEP_1)
	v_mul_lo_u32 v1, v3, v28
                                        ; implicit-def: $vgpr28
	v_sub_nc_u32_e32 v20, 1, v1
; %bb.7:
	s_or_saveexec_b32 s0, s0
	v_ashrrev_i32_e32 v1, 31, v2
	v_ashrrev_i32_e32 v158, 31, v27
	s_xor_b32 exec_lo, exec_lo, s0
; %bb.8:
	v_mad_u64_u32 v[2:3], null, s16, v24, s[12:13]
	s_delay_alu instid0(VALU_DEP_1)
	v_mad_u64_u32 v[20:21], null, v2, v28, 1
; %bb.9:
	s_or_b32 exec_lo, exec_lo, s0
	v_mul_lo_u32 v2, v7, v87
	v_add_nc_u32_e32 v4, 1, v7
	v_xor_b32_e32 v5, v1, v158
	s_clause 0x1
	s_load_b32 s15, s[8:9], 0x14
	s_load_b32 s7, s[8:9], 0x8
	v_lshrrev_b32_e32 v191, 5, v157
	s_lshl_b32 s13, s14, 4
	v_mul_lo_u32 v48, v6, v23
	s_add_i32 s0, s13, 16
	v_sub_nc_u32_e32 v2, v0, v2
	v_mul_lo_u32 v0, s4, v18
	v_add_nc_u32_e32 v23, s13, v191
	v_sub_nc_u32_e32 v39, 0, v26
	v_lshl_add_u32 v98, v191, 5, s3
	v_cmp_ge_u32_e32 vcc_lo, v2, v87
	v_add_nc_u32_e32 v3, 31, v86
	v_sub_nc_u32_e32 v12, v2, v87
	v_ashrrev_i32_e32 v49, 31, v48
	v_ashrrev_i32_e32 v24, 31, v23
	v_cndmask_b32_e32 v4, v7, v4, vcc_lo
	v_ashrrev_i32_e32 v1, 31, v3
	s_delay_alu instid0(VALU_DEP_2) | instskip(NEXT) | instid1(VALU_DEP_2)
	v_dual_mov_b32 v172, 0xff7fffff :: v_dual_add_nc_u32 v7, 1, v4
	v_lshrrev_b32_e32 v1, 27, v1
	v_cndmask_b32_e32 v2, v2, v12, vcc_lo
	v_and_b32_e32 v12, 31, v157
	s_delay_alu instid0(VALU_DEP_3) | instskip(NEXT) | instid1(VALU_DEP_3)
	v_add_nc_u32_e32 v1, v3, v1
	v_cmp_ge_u32_e32 vcc_lo, v2, v87
	s_delay_alu instid0(VALU_DEP_2) | instskip(SKIP_2) | instid1(VALU_DEP_3)
	v_ashrrev_i32_e32 v21, 5, v1
	v_cndmask_b32_e32 v2, v4, v7, vcc_lo
	v_ashrrev_i32_e32 v1, 31, v0
	v_min_i32_e32 v99, s0, v21
	s_delay_alu instid0(VALU_DEP_3) | instskip(NEXT) | instid1(VALU_DEP_3)
	v_xor_b32_e32 v2, v2, v5
	v_lshlrev_b64 v[51:52], 2, v[0:1]
	s_delay_alu instid0(VALU_DEP_3) | instskip(NEXT) | instid1(VALU_DEP_3)
	v_cmp_lt_i32_e64 s0, v23, v99
	v_sub_nc_u32_e32 v2, v2, v5
	s_delay_alu instid0(VALU_DEP_1)
	v_sub_nc_u32_e32 v0, v2, v25
	s_clause 0x1
	scratch_store_b32 off, v0, s32 offset:324
	scratch_store_b32 off, v12, s32 offset:328
	v_lshlrev_b32_e32 v12, 2, v12
	s_and_saveexec_b32 s17, s0
	s_cbranch_execz .LBB183_17
; %bb.10:
	s_clause 0x9
	scratch_store_b32 off, v21, s32 offset:452
	scratch_store_b32 off, v33, s32 offset:432
	;; [unrolled: 1-line block ×10, first 2 shown]
	v_mov_b32_e32 v10, 0
	v_max_i32_e32 v127, v26, v39
	s_getpc_b64 s[8:9]
	s_add_u32 s8, s8, llvm.amdgcn.dynlds.offset.table@rel32@lo+4
	s_addc_u32 s9, s9, llvm.amdgcn.dynlds.offset.table@rel32@hi+12
	s_ashr_i32 s11, s10, 31
	ds_load_b128 v[0:3], v10
	ds_load_b128 v[4:7], v10 offset:16
	ds_load_b128 v[16:19], v10 offset:32
	;; [unrolled: 1-line block ×3, first 2 shown]
	s_lshl_b64 s[18:19], s[10:11], 2
	v_lshl_add_u32 v190, v191, 5, s3
	s_add_u32 s8, s18, s8
	s_addc_u32 s9, s19, s9
	s_mov_b32 s18, 0
	s_waitcnt lgkmcnt(0)
	v_dual_mov_b32 v172, 0xff7fffff :: v_dual_lshlrev_b32 v133, 16, v3
	v_bfi_b32 v11, 0xffff, 0, v0
	v_lshlrev_b32_e32 v0, 16, v0
	v_bfi_b32 v134, 0xffff, 0, v7
	v_lshlrev_b32_e32 v135, 16, v7
	v_bfi_b32 v144, 0xffff, 0, v16
	s_clause 0x1
	scratch_store_b32 off, v11, s32 offset:332
	scratch_store_b32 off, v0, s32 offset:336
	v_bfi_b32 v0, 0xffff, 0, v4
	v_lshlrev_b32_e32 v145, 16, v16
	v_bfi_b32 v146, 0xffff, 0, v17
	v_lshlrev_b32_e32 v147, 16, v17
	v_bfi_b32 v148, 0xffff, 0, v18
	scratch_store_b32 off, v0, s32 offset:340 ; 4-byte Folded Spill
	v_lshlrev_b32_e32 v0, 16, v4
	v_lshlrev_b32_e32 v149, 16, v18
	v_bfi_b32 v150, 0xffff, 0, v19
	v_lshlrev_b32_e32 v151, 16, v19
	ds_load_b128 v[16:19], v10 offset:96
	ds_load_b128 v[31:34], v10 offset:112
	scratch_store_b32 off, v0, s32 offset:344 ; 4-byte Folded Spill
	v_bfi_b32 v0, 0xffff, 0, v1
	v_bfi_b32 v160, 0xffff, 0, v27
	v_lshlrev_b32_e32 v161, 16, v27
	v_bfi_b32 v162, 0xffff, 0, v28
	v_lshlrev_b32_e32 v163, 16, v28
	scratch_store_b32 off, v0, s32 offset:348 ; 4-byte Folded Spill
	v_lshlrev_b32_e32 v0, 16, v1
	v_bfi_b32 v164, 0xffff, 0, v29
	v_lshlrev_b32_e32 v165, 16, v29
	v_bfi_b32 v166, 0xffff, 0, v30
	v_lshlrev_b32_e32 v167, 16, v30
	scratch_store_b32 off, v0, s32 offset:352 ; 4-byte Folded Spill
	v_bfi_b32 v0, 0xffff, 0, v5
	ds_load_b128 v[27:30], v10 offset:144
	scratch_store_b32 off, v0, s32 offset:356 ; 4-byte Folded Spill
	v_lshlrev_b32_e32 v0, 16, v5
	s_waitcnt lgkmcnt(2)
	v_bfi_b32 v42, 0xffff, 0, v16
	v_lshlrev_b32_e32 v43, 16, v16
	v_bfi_b32 v56, 0xffff, 0, v17
	v_lshlrev_b32_e32 v57, 16, v17
	scratch_store_b32 off, v0, s32 offset:360 ; 4-byte Folded Spill
	v_bfi_b32 v0, 0xffff, 0, v2
	v_bfi_b32 v62, 0xffff, 0, v18
	v_lshlrev_b32_e32 v63, 16, v18
	v_bfi_b32 v76, 0xffff, 0, v19
	v_lshlrev_b32_e32 v77, 16, v19
	scratch_store_b32 off, v0, s32 offset:364 ; 4-byte Folded Spill
	v_lshlrev_b32_e32 v0, 16, v2
	ds_load_b128 v[16:19], v10 offset:192
	s_waitcnt lgkmcnt(2)
	v_bfi_b32 v44, 0xffff, 0, v31
	v_lshlrev_b32_e32 v45, 16, v31
	v_bfi_b32 v58, 0xffff, 0, v32
	scratch_store_b32 off, v0, s32 offset:368 ; 4-byte Folded Spill
	v_bfi_b32 v0, 0xffff, 0, v6
	v_lshlrev_b32_e32 v59, 16, v32
	v_bfi_b32 v72, 0xffff, 0, v33
	v_lshlrev_b32_e32 v75, 16, v33
	v_bfi_b32 v78, 0xffff, 0, v34
	scratch_store_b32 off, v0, s32 offset:372 ; 4-byte Folded Spill
	v_lshlrev_b32_e32 v0, 16, v6
	ds_load_b128 v[4:7], v10 offset:80
	v_lshlrev_b32_e32 v79, 16, v34
	s_waitcnt lgkmcnt(2)
	v_bfi_b32 v104, 0xffff, 0, v27
	v_lshlrev_b32_e32 v105, 16, v27
	scratch_store_b32 off, v0, s32 offset:376 ; 4-byte Folded Spill
	v_bfi_b32 v0, 0xffff, 0, v3
	v_bfi_b32 v106, 0xffff, 0, v28
	v_lshlrev_b32_e32 v107, 16, v28
	v_bfi_b32 v108, 0xffff, 0, v29
	v_lshlrev_b32_e32 v109, 16, v29
	scratch_store_b32 off, v0, s32 offset:380 ; 4-byte Folded Spill
	ds_load_b128 v[0:3], v10 offset:64
	v_bfi_b32 v110, 0xffff, 0, v30
	v_lshlrev_b32_e32 v111, 16, v30
	s_waitcnt lgkmcnt(2)
	v_bfi_b32 v153, 0xffff, 0, v16
	v_lshlrev_b32_e32 v154, 16, v16
	v_bfi_b32 v155, 0xffff, 0, v17
	v_lshlrev_b32_e32 v156, 16, v17
	;; [unrolled: 2-line block ×3, first 2 shown]
	s_waitcnt lgkmcnt(1)
	v_bfi_b32 v40, 0xffff, 0, v4
	v_lshlrev_b32_e32 v41, 16, v4
	v_bfi_b32 v46, 0xffff, 0, v5
	v_lshlrev_b32_e32 v47, 16, v5
	;; [unrolled: 2-line block ×4, first 2 shown]
	ds_load_b128 v[4:7], v10 offset:160
	v_bfi_b32 v159, 0xffff, 0, v19
	v_lshlrev_b32_e32 v168, 16, v19
	s_waitcnt lgkmcnt(1)
	v_bfi_b32 v176, 0xffff, 0, v0
	v_lshlrev_b32_e32 v177, 16, v0
	v_bfi_b32 v178, 0xffff, 0, v1
	v_lshlrev_b32_e32 v179, 16, v1
	v_bfi_b32 v180, 0xffff, 0, v2
	v_lshlrev_b32_e32 v181, 16, v2
	v_bfi_b32 v182, 0xffff, 0, v3
	v_lshlrev_b32_e32 v183, 16, v3
	ds_load_b128 v[0:3], v10 offset:128
	s_waitcnt lgkmcnt(0)
	v_bfi_b32 v88, 0xffff, 0, v0
	v_lshlrev_b32_e32 v89, 16, v0
	v_bfi_b32 v90, 0xffff, 0, v1
	v_lshlrev_b32_e32 v91, 16, v1
	;; [unrolled: 2-line block ×4, first 2 shown]
	ds_load_b128 v[0:3], v10 offset:176
	s_clause 0x1
	scratch_store_b32 off, v26, s32 offset:416
	scratch_store_b32 off, v39, s32 offset:456
	v_bfi_b32 v120, 0xffff, 0, v4
	v_lshlrev_b32_e32 v121, 16, v4
	v_bfi_b32 v122, 0xffff, 0, v5
	v_lshlrev_b32_e32 v123, 16, v5
	;; [unrolled: 2-line block ×4, first 2 shown]
	ds_load_b128 v[4:7], v10 offset:208
	s_load_b32 s11, s[8:9], 0x0
	s_clause 0x3
	scratch_store_b64 off, v[48:49], s32 offset:444
	scratch_store_b64 off, v[51:52], s32 offset:436
	scratch_store_b32 off, v14, s32 offset:404
	scratch_store_b32 off, v15, s32 offset:400
	s_waitcnt lgkmcnt(0)
	v_bfi_b32 v137, 0xffff, 0, v0
	v_lshlrev_b32_e32 v138, 16, v0
	v_cvt_f32_u32_e32 v0, v127
	v_bfi_b32 v141, 0xffff, 0, v2
	v_lshlrev_b32_e32 v142, 16, v2
	v_sub_nc_u32_e32 v2, 0, v127
	v_bfi_b32 v139, 0xffff, 0, v1
	v_rcp_iflag_f32_e32 v0, v0
	v_lshlrev_b32_e32 v140, 16, v1
	v_bfi_b32 v143, 0xffff, 0, v3
	v_bfi_b32 v169, 0xffff, 0, v4
	v_lshlrev_b32_e32 v170, 16, v4
	v_bfi_b32 v171, 0xffff, 0, v5
	v_lshlrev_b32_e32 v173, 16, v5
	v_lshlrev_b32_e32 v152, 16, v3
	v_bfi_b32 v174, 0xffff, 0, v6
	s_delay_alu instid0(TRANS32_DEP_1) | instskip(SKIP_2) | instid1(VALU_DEP_3)
	v_dual_mul_f32 v0, 0x4f7ffffe, v0 :: v_dual_lshlrev_b32 v175, 16, v6
	v_bfi_b32 v184, 0xffff, 0, v7
	v_lshlrev_b32_e32 v185, 16, v7
	v_cvt_u32_f32_e32 v4, v0
	v_lshlrev_b64 v[0:1], 1, v[48:49]
	s_delay_alu instid0(VALU_DEP_2) | instskip(SKIP_1) | instid1(VALU_DEP_3)
	v_mul_lo_u32 v5, v2, v4
	v_lshlrev_b64 v[2:3], 2, v[23:24]
	v_add_co_u32 v0, vcc_lo, v8, v0
	s_delay_alu instid0(VALU_DEP_4) | instskip(NEXT) | instid1(VALU_DEP_3)
	v_add_co_ci_u32_e32 v1, vcc_lo, v9, v1, vcc_lo
	v_add_co_u32 v2, vcc_lo, v51, v2
	v_mul_hi_u32 v5, v4, v5
	v_add_co_ci_u32_e32 v3, vcc_lo, v52, v3, vcc_lo
	s_delay_alu instid0(VALU_DEP_3) | instskip(NEXT) | instid1(VALU_DEP_2)
	v_add_co_u32 v84, vcc_lo, v14, v2
	v_add_co_ci_u32_e32 v85, vcc_lo, v15, v3, vcc_lo
	s_delay_alu instid0(VALU_DEP_4)
	v_add_nc_u32_e32 v186, v4, v5
	scratch_load_b32 v5, off, s32 offset:328 ; 4-byte Folded Reload
	s_clause 0x1
	scratch_store_b32 off, v191, s32 offset:396
	scratch_store_b32 off, v12, s32 offset:460
	v_lshl_or_b32 v191, v191, 7, v12
	v_mov_b32_e32 v12, 0xff7fffff
	s_waitcnt vmcnt(0)
	v_lshlrev_b32_e32 v4, 4, v5
	v_sub_nc_u32_e32 v2, v5, v86
	v_mov_b32_e32 v5, v23
	s_delay_alu instid0(VALU_DEP_3)
	v_add_co_u32 v187, vcc_lo, v0, v4
	v_add_co_ci_u32_e32 v188, vcc_lo, 0, v1, vcc_lo
	v_cmp_neq_f32_e32 vcc_lo, 0, v102
	v_add_nc_u32_e32 v189, 1, v2
	s_branch .LBB183_12
.LBB183_11:                             ;   in Loop: Header=BB183_12 Depth=1
	s_or_b32 exec_lo, exec_lo, s19
	v_add_nc_u32_e32 v5, 4, v5
	v_add_co_u32 v84, s2, v84, 16
	s_delay_alu instid0(VALU_DEP_1) | instskip(NEXT) | instid1(VALU_DEP_3)
	v_add_co_ci_u32_e64 v85, s2, 0, v85, s2
	v_cmp_ge_i32_e64 s1, v5, v99
	v_add_nc_u32_e32 v190, 0x80, v190
	v_add_nc_u32_e32 v191, 0x200, v191
	s_delay_alu instid0(VALU_DEP_3) | instskip(NEXT) | instid1(SALU_CYCLE_1)
	s_or_b32 s18, s1, s18
	s_and_not1_b32 exec_lo, exec_lo, s18
	s_cbranch_execz .LBB183_16
.LBB183_12:                             ; =>This Inner Loop Header: Depth=1
	scratch_load_b32 v1, off, s32 offset:320 ; 4-byte Folded Reload
	v_sub_nc_u32_e32 v0, 0, v190
	s_delay_alu instid0(VALU_DEP_1) | instskip(SKIP_1) | instid1(VALU_DEP_1)
	v_max_i32_e32 v0, v190, v0
	s_waitcnt vmcnt(0)
	v_mul_hi_u32 v1, v0, v1
	s_delay_alu instid0(VALU_DEP_1) | instskip(NEXT) | instid1(VALU_DEP_1)
	v_mul_lo_u32 v2, v1, v87
	v_sub_nc_u32_e32 v0, v0, v2
	v_add_nc_u32_e32 v2, 1, v1
	s_delay_alu instid0(VALU_DEP_2) | instskip(SKIP_1) | instid1(VALU_DEP_1)
	v_sub_nc_u32_e32 v3, v0, v87
	v_cmp_ge_u32_e64 s1, v0, v87
	v_cndmask_b32_e64 v1, v1, v2, s1
	s_delay_alu instid0(VALU_DEP_3) | instskip(SKIP_1) | instid1(VALU_DEP_3)
	v_cndmask_b32_e64 v0, v0, v3, s1
	v_ashrrev_i32_e32 v2, 31, v190
	v_add_nc_u32_e32 v3, 1, v1
	s_delay_alu instid0(VALU_DEP_3) | instskip(NEXT) | instid1(VALU_DEP_3)
	v_cmp_ge_u32_e64 s1, v0, v87
	v_xor_b32_e32 v2, v2, v158
	s_delay_alu instid0(VALU_DEP_2) | instskip(NEXT) | instid1(VALU_DEP_1)
	v_cndmask_b32_e64 v0, v1, v3, s1
	v_xor_b32_e32 v0, v0, v2
	s_delay_alu instid0(VALU_DEP_1) | instskip(NEXT) | instid1(VALU_DEP_1)
	v_sub_nc_u32_e32 v0, v0, v2
	v_add_nc_u32_e32 v1, v0, v20
	s_delay_alu instid0(VALU_DEP_1) | instskip(NEXT) | instid1(VALU_DEP_1)
	v_sub_nc_u32_e32 v2, 0, v1
	v_max_i32_e32 v2, v1, v2
	v_ashrrev_i32_e32 v1, 31, v1
	s_delay_alu instid0(VALU_DEP_2) | instskip(NEXT) | instid1(VALU_DEP_1)
	v_mul_hi_u32 v3, v2, v186
	v_mul_lo_u32 v3, v3, v127
	s_delay_alu instid0(VALU_DEP_1) | instskip(NEXT) | instid1(VALU_DEP_1)
	v_sub_nc_u32_e32 v2, v2, v3
	v_sub_nc_u32_e32 v3, v2, v127
	v_cmp_ge_u32_e64 s1, v2, v127
	s_delay_alu instid0(VALU_DEP_1) | instskip(NEXT) | instid1(VALU_DEP_1)
	v_cndmask_b32_e64 v2, v2, v3, s1
	v_sub_nc_u32_e32 v3, v2, v127
	v_cmp_ge_u32_e64 s1, v2, v127
	s_delay_alu instid0(VALU_DEP_1) | instskip(NEXT) | instid1(VALU_DEP_1)
	v_cndmask_b32_e64 v2, v2, v3, s1
	v_xor_b32_e32 v2, v2, v1
	s_delay_alu instid0(VALU_DEP_1) | instskip(NEXT) | instid1(VALU_DEP_1)
	v_sub_nc_u32_e32 v1, v2, v1
	v_cmp_ne_u32_e64 s1, 0, v1
	scratch_load_b32 v1, off, s32 offset:324 ; 4-byte Folded Reload
	s_waitcnt vmcnt(0)
	v_cmp_le_i32_e64 s2, v0, v1
	s_delay_alu instid0(VALU_DEP_1) | instskip(NEXT) | instid1(SALU_CYCLE_1)
	s_and_b32 s1, s1, s2
	s_and_saveexec_b32 s2, s1
	s_delay_alu instid0(SALU_CYCLE_1)
	s_xor_b32 s1, exec_lo, s2
	s_cbranch_execz .LBB183_14
; %bb.13:                               ;   in Loop: Header=BB183_12 Depth=1
	v_add_nc_u32_e32 v0, s11, v191
	ds_store_b32 v0, v12
.LBB183_14:                             ;   in Loop: Header=BB183_12 Depth=1
	s_and_not1_saveexec_b32 s19, s1
	s_cbranch_execz .LBB183_11
; %bb.15:                               ;   in Loop: Header=BB183_12 Depth=1
	flat_load_b32 v2, v[84:85]
	scratch_load_b32 v0, off, s32 offset:328 ; 4-byte Folded Reload
	s_load_b32 s2, s[8:9], 0x0
	s_waitcnt lgkmcnt(0)
	v_add_nc_u32_e32 v4, s2, v191
	s_waitcnt vmcnt(0)
	v_add_nc_u32_e32 v3, v0, v190
	v_mad_i64_i32 v[0:1], null, v2, v22, 0
	s_delay_alu instid0(VALU_DEP_1) | instskip(NEXT) | instid1(VALU_DEP_1)
	v_lshlrev_b64 v[0:1], 1, v[0:1]
	v_add_co_u32 v27, s1, v187, v0
	v_add_nc_u32_e32 v0, v189, v190
	s_delay_alu instid0(VALU_DEP_3) | instskip(NEXT) | instid1(VALU_DEP_2)
	v_add_co_ci_u32_e64 v28, s1, v188, v1, s1
	v_cvt_f32_i32_e32 v0, v0
	flat_load_b128 v[6:9], v[27:28] offset:3072
	v_mul_f32_e32 v0, v102, v0
	v_cmp_lt_i32_e64 s1, v3, v86
	s_delay_alu instid0(VALU_DEP_2)
	v_cndmask_b32_e32 v101, 0, v0, vcc_lo
	s_clause 0x1
	flat_load_b128 v[0:3], v[27:28]
	flat_load_b128 v[14:17], v[27:28] offset:512
	scratch_load_b32 v18, off, s32 offset:344 ; 4-byte Folded Reload
	s_waitcnt vmcnt(1) lgkmcnt(0)
	v_and_b32_e32 v11, 0xffff0000, v14
	v_lshlrev_b32_e32 v14, 16, v14
	s_waitcnt vmcnt(0)
	s_delay_alu instid0(VALU_DEP_1)
	v_mul_f32_e32 v80, v18, v14
	scratch_load_b32 v14, off, s32 offset:340 ; 4-byte Folded Reload
	s_waitcnt vmcnt(0)
	v_mul_f32_e32 v81, v14, v11
	s_clause 0x1
	scratch_load_b32 v11, off, s32 offset:332
	scratch_load_b32 v14, off, s32 offset:360
	v_lshlrev_b32_e32 v10, 16, v0
	v_and_b32_e32 v0, 0xffff0000, v0
	s_waitcnt vmcnt(1)
	s_delay_alu instid0(VALU_DEP_1) | instskip(SKIP_3) | instid1(VALU_DEP_1)
	v_fmac_f32_e32 v81, v11, v0
	scratch_load_b32 v0, off, s32 offset:336 ; 4-byte Folded Reload
	v_lshlrev_b32_e32 v11, 16, v15
	s_waitcnt vmcnt(1)
	v_mul_f32_e32 v21, v14, v11
	scratch_load_b32 v11, off, s32 offset:356 ; 4-byte Folded Reload
	s_waitcnt vmcnt(1)
	v_fmac_f32_e32 v80, v0, v10
	v_and_b32_e32 v10, 0xffff0000, v15
	v_lshlrev_b32_e32 v0, 16, v1
	s_waitcnt vmcnt(0)
	s_delay_alu instid0(VALU_DEP_2)
	v_dual_mul_f32 v100, v11, v10 :: v_dual_and_b32 v1, 0xffff0000, v1
	s_clause 0x1
	scratch_load_b32 v10, off, s32 offset:348
	scratch_load_b32 v11, off, s32 offset:376
	s_waitcnt vmcnt(1)
	v_fmac_f32_e32 v100, v10, v1
	scratch_load_b32 v1, off, s32 offset:352 ; 4-byte Folded Reload
	v_lshlrev_b32_e32 v10, 16, v16
	s_waitcnt vmcnt(1)
	s_delay_alu instid0(VALU_DEP_1)
	v_mul_f32_e32 v39, v11, v10
	scratch_load_b32 v10, off, s32 offset:372 ; 4-byte Folded Reload
	s_waitcnt vmcnt(1)
	v_dual_fmac_f32 v21, v1, v0 :: v_dual_lshlrev_b32 v0, 16, v2
	v_and_b32_e32 v1, 0xffff0000, v2
	v_and_b32_e32 v2, 0xffff0000, v16
	s_waitcnt vmcnt(0)
	s_delay_alu instid0(VALU_DEP_1)
	v_mul_f32_e32 v103, v10, v2
	scratch_load_b32 v2, off, s32 offset:364 ; 4-byte Folded Reload
	s_waitcnt vmcnt(0)
	v_fmac_f32_e32 v103, v2, v1
	scratch_load_b32 v1, off, s32 offset:368 ; 4-byte Folded Reload
	v_and_b32_e32 v2, 0xffff0000, v17
	s_delay_alu instid0(VALU_DEP_1)
	v_mul_f32_e32 v82, v134, v2
	scratch_load_b32 v2, off, s32 offset:380 ; 4-byte Folded Reload
	s_waitcnt vmcnt(1)
	v_dual_fmac_f32 v39, v1, v0 :: v_dual_lshlrev_b32 v0, 16, v3
	v_and_b32_e32 v1, 0xffff0000, v3
	v_lshlrev_b32_e32 v3, 16, v17
	flat_load_b128 v[16:19], v[27:28] offset:2048
	s_waitcnt vmcnt(1)
	v_dual_fmac_f32 v82, v2, v1 :: v_dual_mul_f32 v83, v135, v3
	s_delay_alu instid0(VALU_DEP_1)
	v_fmac_f32_e32 v83, v133, v0
	flat_load_b128 v[0:3], v[27:28] offset:1024
	s_waitcnt vmcnt(1) lgkmcnt(1)
	v_lshlrev_b32_e32 v119, 16, v16
	v_and_b32_e32 v128, 0xffff0000, v17
	v_lshlrev_b32_e32 v129, 16, v17
	s_waitcnt vmcnt(0) lgkmcnt(0)
	v_and_b32_e32 v25, 0xffff0000, v0
	v_lshlrev_b32_e32 v96, 16, v0
	v_and_b32_e32 v97, 0xffff0000, v1
	v_lshlrev_b32_e32 v112, 16, v1
	;; [unrolled: 2-line block ×4, first 2 shown]
	s_clause 0x2
	flat_load_b128 v[0:3], v[27:28] offset:1536
	flat_load_b128 v[68:71], v[27:28] offset:2560
	;; [unrolled: 1-line block ×3, first 2 shown]
	v_dual_fmac_f32 v80, v145, v96 :: v_dual_fmac_f32 v81, v144, v25
	v_and_b32_e32 v130, 0xffff0000, v18
	s_waitcnt vmcnt(2) lgkmcnt(2)
	v_lshlrev_b32_e32 v26, 16, v0
	v_and_b32_e32 v115, 0xffff0000, v1
	s_waitcnt vmcnt(1) lgkmcnt(1)
	v_lshlrev_b32_e32 v25, 16, v68
	v_lshlrev_b32_e32 v114, 16, v1
	v_and_b32_e32 v118, 0xffff0000, v16
	v_fmac_f32_e32 v80, v161, v26
	v_add_co_u32 v16, s2, 0x1000, v27
	s_delay_alu instid0(VALU_DEP_1) | instskip(NEXT) | instid1(VALU_DEP_3)
	v_add_co_ci_u32_e64 v17, s2, 0, v28, s2
	v_fmac_f32_e32 v80, v177, v119
	v_lshlrev_b32_e32 v116, 16, v2
	v_and_b32_e32 v117, 0xffff0000, v2
	v_and_b32_e32 v1, 0xffff0000, v19
	v_lshlrev_b32_e32 v2, 16, v19
	v_dual_fmac_f32 v80, v41, v25 :: v_dual_and_b32 v25, 0xffff0000, v6
	v_lshlrev_b32_e32 v6, 16, v6
	v_dual_fmac_f32 v39, v149, v15 :: v_dual_and_b32 v26, 0xffff0000, v68
	s_delay_alu instid0(VALU_DEP_2)
	v_fmac_f32_e32 v80, v43, v6
	v_dual_fmac_f32 v100, v146, v97 :: v_dual_lshlrev_b32 v131, 16, v18
	s_clause 0x5
	flat_load_b128 v[52:55], v[16:17]
	flat_load_b128 v[48:51], v[16:17] offset:512
	flat_load_b128 v[35:38], v[16:17] offset:1024
	;; [unrolled: 1-line block ×5, first 2 shown]
	s_waitcnt vmcnt(6) lgkmcnt(6)
	v_lshlrev_b32_e32 v6, 16, v64
	s_delay_alu instid0(VALU_DEP_1) | instskip(SKIP_1) | instid1(VALU_DEP_2)
	v_dual_fmac_f32 v80, v45, v6 :: v_dual_and_b32 v113, 0xffff0000, v0
	v_fmac_f32_e32 v83, v151, v11
	v_fmac_f32_e32 v81, v160, v113
	s_delay_alu instid0(VALU_DEP_1) | instskip(NEXT) | instid1(VALU_DEP_1)
	v_fmac_f32_e32 v81, v176, v118
	v_fmac_f32_e32 v81, v40, v26
	s_delay_alu instid0(VALU_DEP_1) | instskip(SKIP_2) | instid1(VALU_DEP_2)
	v_fmac_f32_e32 v81, v42, v25
	v_and_b32_e32 v25, 0xffff0000, v64
	v_fmac_f32_e32 v103, v148, v14
	v_dual_fmac_f32 v81, v44, v25 :: v_dual_fmac_f32 v82, v150, v10
	s_waitcnt vmcnt(5) lgkmcnt(5)
	v_and_b32_e32 v6, 0xffff0000, v52
	v_lshlrev_b32_e32 v25, 16, v52
	s_delay_alu instid0(VALU_DEP_1) | instskip(SKIP_3) | instid1(VALU_DEP_2)
	v_dual_fmac_f32 v81, v88, v6 :: v_dual_fmac_f32 v80, v89, v25
	s_waitcnt vmcnt(4) lgkmcnt(4)
	v_lshlrev_b32_e32 v6, 16, v48
	v_and_b32_e32 v25, 0xffff0000, v48
	v_dual_fmac_f32 v21, v147, v112 :: v_dual_fmac_f32 v80, v105, v6
	s_waitcnt vmcnt(3) lgkmcnt(3)
	s_delay_alu instid0(VALU_DEP_2) | instskip(SKIP_1) | instid1(VALU_DEP_2)
	v_dual_fmac_f32 v81, v104, v25 :: v_dual_and_b32 v6, 0xffff0000, v35
	v_lshlrev_b32_e32 v25, 16, v35
	v_dual_fmac_f32 v100, v162, v115 :: v_dual_fmac_f32 v81, v120, v6
	s_delay_alu instid0(VALU_DEP_2) | instskip(SKIP_4) | instid1(VALU_DEP_3)
	v_fmac_f32_e32 v80, v121, v25
	s_waitcnt vmcnt(2) lgkmcnt(2)
	v_dual_fmac_f32 v103, v164, v117 :: v_dual_lshlrev_b32 v6, 16, v31
	v_and_b32_e32 v25, 0xffff0000, v31
	v_fmac_f32_e32 v21, v163, v114
	v_fmac_f32_e32 v80, v138, v6
	s_delay_alu instid0(VALU_DEP_4)
	v_fmac_f32_e32 v103, v180, v130
	s_waitcnt vmcnt(1) lgkmcnt(1)
	v_dual_fmac_f32 v81, v137, v25 :: v_dual_and_b32 v6, 0xffff0000, v27
	v_fmac_f32_e32 v39, v165, v116
	v_lshlrev_b32_e32 v25, 16, v27
	v_lshlrev_b32_e32 v0, 16, v3
	v_and_b32_e32 v3, 0xffff0000, v3
	s_waitcnt vmcnt(0) lgkmcnt(0)
	v_dual_fmac_f32 v81, v153, v6 :: v_dual_lshlrev_b32 v6, 16, v16
	v_dual_fmac_f32 v39, v181, v131 :: v_dual_fmac_f32 v80, v154, v25
	s_delay_alu instid0(VALU_DEP_1) | instskip(SKIP_1) | instid1(VALU_DEP_1)
	v_dual_fmac_f32 v80, v170, v6 :: v_dual_fmac_f32 v21, v179, v129
	v_lshlrev_b32_e32 v6, 16, v69
	v_dual_fmac_f32 v82, v166, v3 :: v_dual_fmac_f32 v21, v47, v6
	v_and_b32_e32 v6, 0xffff0000, v7
	v_lshlrev_b32_e32 v7, 16, v7
	s_delay_alu instid0(VALU_DEP_1) | instskip(NEXT) | instid1(VALU_DEP_1)
	v_dual_fmac_f32 v21, v57, v7 :: v_dual_and_b32 v16, 0xffff0000, v16
	v_fmac_f32_e32 v81, v169, v16
	v_fmac_f32_e32 v100, v178, v128
	v_dual_fmac_f32 v82, v182, v1 :: v_dual_and_b32 v1, 0xffff0000, v71
	v_and_b32_e32 v16, 0xffff0000, v69
	s_delay_alu instid0(VALU_DEP_2) | instskip(SKIP_2) | instid1(VALU_DEP_3)
	v_dual_fmac_f32 v82, v73, v1 :: v_dual_fmac_f32 v83, v167, v0
	v_lshlrev_b32_e32 v1, 16, v9
	v_lshlrev_b32_e32 v0, 16, v71
	v_dual_fmac_f32 v100, v46, v16 :: v_dual_fmac_f32 v83, v183, v2
	s_delay_alu instid0(VALU_DEP_1) | instskip(NEXT) | instid1(VALU_DEP_2)
	v_fmac_f32_e32 v100, v56, v6
	v_dual_fmac_f32 v83, v74, v0 :: v_dual_lshlrev_b32 v6, 16, v65
	v_and_b32_e32 v0, 0xffff0000, v9
	v_and_b32_e32 v7, 0xffff0000, v65
	s_delay_alu instid0(VALU_DEP_3) | instskip(NEXT) | instid1(VALU_DEP_3)
	v_fmac_f32_e32 v21, v59, v6
	v_dual_fmac_f32 v83, v77, v1 :: v_dual_fmac_f32 v82, v76, v0
	v_and_b32_e32 v1, 0xffff0000, v67
	s_delay_alu instid0(VALU_DEP_4) | instskip(SKIP_1) | instid1(VALU_DEP_3)
	v_fmac_f32_e32 v100, v58, v7
	v_and_b32_e32 v6, 0xffff0000, v53
	v_dual_fmac_f32 v82, v78, v1 :: v_dual_lshlrev_b32 v1, 16, v55
	v_lshlrev_b32_e32 v0, 16, v67
	s_delay_alu instid0(VALU_DEP_3) | instskip(NEXT) | instid1(VALU_DEP_2)
	v_fmac_f32_e32 v100, v90, v6
	v_dual_fmac_f32 v83, v79, v0 :: v_dual_lshlrev_b32 v6, 16, v49
	v_and_b32_e32 v0, 0xffff0000, v55
	v_lshlrev_b32_e32 v7, 16, v53
	s_delay_alu instid0(VALU_DEP_2) | instskip(SKIP_2) | instid1(VALU_DEP_4)
	v_dual_fmac_f32 v83, v95, v1 :: v_dual_fmac_f32 v82, v94, v0
	v_lshlrev_b32_e32 v0, 16, v51
	v_and_b32_e32 v1, 0xffff0000, v51
	v_fmac_f32_e32 v21, v91, v7
	s_delay_alu instid0(VALU_DEP_2) | instskip(SKIP_4) | instid1(VALU_DEP_4)
	v_dual_fmac_f32 v83, v111, v0 :: v_dual_fmac_f32 v82, v110, v1
	v_and_b32_e32 v0, 0xffff0000, v38
	v_and_b32_e32 v7, 0xffff0000, v49
	v_lshlrev_b32_e32 v1, 16, v38
	v_dual_fmac_f32 v21, v107, v6 :: v_dual_and_b32 v6, 0xffff0000, v36
	v_fmac_f32_e32 v82, v126, v0
	s_delay_alu instid0(VALU_DEP_4) | instskip(NEXT) | instid1(VALU_DEP_4)
	v_dual_fmac_f32 v100, v106, v7 :: v_dual_lshlrev_b32 v7, 16, v36
	v_dual_fmac_f32 v83, v136, v1 :: v_dual_lshlrev_b32 v0, 16, v34
	v_and_b32_e32 v1, 0xffff0000, v34
	s_delay_alu instid0(VALU_DEP_3) | instskip(SKIP_1) | instid1(VALU_DEP_3)
	v_dual_fmac_f32 v100, v122, v6 :: v_dual_fmac_f32 v21, v123, v7
	v_lshlrev_b32_e32 v6, 16, v32
	v_dual_fmac_f32 v82, v143, v1 :: v_dual_and_b32 v7, 0xffff0000, v32
	v_dual_fmac_f32 v83, v152, v0 :: v_dual_and_b32 v0, 0xffff0000, v30
	s_delay_alu instid0(VALU_DEP_2) | instskip(NEXT) | instid1(VALU_DEP_4)
	v_dual_fmac_f32 v100, v139, v7 :: v_dual_lshlrev_b32 v1, 16, v30
	v_dual_fmac_f32 v21, v140, v6 :: v_dual_and_b32 v6, 0xffff0000, v28
	s_delay_alu instid0(VALU_DEP_2) | instskip(SKIP_1) | instid1(VALU_DEP_3)
	v_dual_fmac_f32 v82, v159, v0 :: v_dual_fmac_f32 v83, v168, v1
	v_and_b32_e32 v1, 0xffff0000, v19
	v_dual_fmac_f32 v100, v155, v6 :: v_dual_lshlrev_b32 v7, 16, v28
	v_lshlrev_b32_e32 v6, 16, v17
	v_lshlrev_b32_e32 v0, 16, v19
	s_delay_alu instid0(VALU_DEP_4) | instskip(NEXT) | instid1(VALU_DEP_4)
	v_fmac_f32_e32 v82, v184, v1
	v_fmac_f32_e32 v21, v156, v7
	v_max_f32_e32 v1, v172, v172
	s_delay_alu instid0(VALU_DEP_4) | instskip(NEXT) | instid1(VALU_DEP_3)
	v_dual_fmac_f32 v83, v185, v0 :: v_dual_add_f32 v0, v80, v81
	v_fmac_f32_e32 v21, v173, v6
	v_lshlrev_b32_e32 v6, 16, v70
	s_delay_alu instid0(VALU_DEP_1) | instskip(NEXT) | instid1(VALU_DEP_3)
	v_dual_fmac_f32 v39, v61, v6 :: v_dual_and_b32 v6, 0xffff0000, v8
	v_add_f32_e32 v0, v0, v21
	v_and_b32_e32 v7, 0xffff0000, v17
	s_delay_alu instid0(VALU_DEP_1) | instskip(NEXT) | instid1(VALU_DEP_1)
	v_dual_fmac_f32 v100, v171, v7 :: v_dual_and_b32 v7, 0xffff0000, v70
	v_add_f32_e32 v0, v100, v0
	s_delay_alu instid0(VALU_DEP_2) | instskip(SKIP_1) | instid1(VALU_DEP_2)
	v_fmac_f32_e32 v103, v60, v7
	v_lshlrev_b32_e32 v7, 16, v8
	v_fmac_f32_e32 v103, v62, v6
	s_delay_alu instid0(VALU_DEP_2) | instskip(SKIP_1) | instid1(VALU_DEP_2)
	v_dual_fmac_f32 v39, v63, v7 :: v_dual_lshlrev_b32 v6, 16, v66
	v_and_b32_e32 v7, 0xffff0000, v66
	v_fmac_f32_e32 v39, v75, v6
	s_delay_alu instid0(VALU_DEP_2) | instskip(SKIP_1) | instid1(VALU_DEP_2)
	v_dual_fmac_f32 v103, v72, v7 :: v_dual_and_b32 v6, 0xffff0000, v54
	v_lshlrev_b32_e32 v7, 16, v54
	v_fmac_f32_e32 v103, v92, v6
	s_delay_alu instid0(VALU_DEP_2) | instskip(SKIP_1) | instid1(VALU_DEP_2)
	v_dual_fmac_f32 v39, v93, v7 :: v_dual_lshlrev_b32 v6, 16, v50
	v_and_b32_e32 v7, 0xffff0000, v50
	v_fmac_f32_e32 v39, v109, v6
	s_delay_alu instid0(VALU_DEP_2) | instskip(SKIP_1) | instid1(VALU_DEP_2)
	v_dual_fmac_f32 v103, v108, v7 :: v_dual_and_b32 v6, 0xffff0000, v37
	;; [unrolled: 8-line block ×3, first 2 shown]
	v_lshlrev_b32_e32 v7, 16, v29
	v_fmac_f32_e32 v103, v157, v6
	s_delay_alu instid0(VALU_DEP_2) | instskip(SKIP_1) | instid1(VALU_DEP_2)
	v_dual_fmac_f32 v39, v132, v7 :: v_dual_lshlrev_b32 v6, 16, v18
	v_and_b32_e32 v7, 0xffff0000, v18
	v_fmac_f32_e32 v39, v175, v6
	s_delay_alu instid0(VALU_DEP_1) | instskip(NEXT) | instid1(VALU_DEP_1)
	v_dual_fmac_f32 v103, v174, v7 :: v_dual_add_f32 v0, v39, v0
	v_add_f32_e32 v0, v103, v0
	s_delay_alu instid0(VALU_DEP_1) | instskip(NEXT) | instid1(VALU_DEP_1)
	v_add_f32_e32 v0, v83, v0
	v_add_f32_e32 v0, v82, v0
	s_delay_alu instid0(VALU_DEP_1) | instskip(NEXT) | instid1(VALU_DEP_1)
	v_fmac_f32_e32 v101, v0, v13
	v_max_f32_e32 v1, v1, v101
	v_cndmask_b32_e64 v0, 0, v101, s1
	s_delay_alu instid0(VALU_DEP_2)
	v_cndmask_b32_e64 v172, v172, v1, s1
	ds_store_b32 v4, v0
	s_branch .LBB183_11
.LBB183_16:
	s_or_b32 exec_lo, exec_lo, s18
	s_clause 0x11
	scratch_load_b32 v155, off, s32 offset:384
	scratch_load_b32 v156, off, s32 offset:388
	;; [unrolled: 1-line block ×13, first 2 shown]
	scratch_load_b64 v[51:52], off, s32 offset:436
	scratch_load_b64 v[48:49], off, s32 offset:444
	scratch_load_b32 v21, off, s32 offset:452
	scratch_load_b32 v39, off, s32 offset:456
	;; [unrolled: 1-line block ×3, first 2 shown]
.LBB183_17:
	s_or_b32 exec_lo, exec_lo, s17
	v_mbcnt_lo_u32_b32 v0, -1, 0
	s_waitcnt lgkmcnt(0)
	s_lshr_b32 s8, s15, 16
	s_delay_alu instid0(VALU_DEP_1) | instskip(SKIP_2) | instid1(VALU_DEP_3)
	v_xor_b32_e32 v1, 16, v0
	v_xor_b32_e32 v3, 8, v0
	v_xor_b32_e32 v5, 4, v0
	v_cmp_gt_i32_e32 vcc_lo, 32, v1
	v_cndmask_b32_e32 v1, v0, v1, vcc_lo
	s_delay_alu instid0(VALU_DEP_4) | instskip(NEXT) | instid1(VALU_DEP_2)
	v_cmp_gt_i32_e32 vcc_lo, 32, v3
	v_dual_cndmask_b32 v3, v0, v3 :: v_dual_lshlrev_b32 v2, 2, v1
	v_cmp_gt_i32_e32 vcc_lo, 32, v5
	ds_bpermute_b32 v1, v2, v172
	v_dual_max_f32 v4, v172, v172 :: v_dual_lshlrev_b32 v3, 2, v3
	v_cndmask_b32_e32 v5, v0, v5, vcc_lo
	s_waitcnt lgkmcnt(0)
	v_max_f32_e32 v1, v1, v1
	s_delay_alu instid0(VALU_DEP_1) | instskip(SKIP_3) | instid1(VALU_DEP_1)
	v_max_f32_e32 v1, v4, v1
	ds_bpermute_b32 v4, v3, v1
	s_waitcnt lgkmcnt(0)
	v_max_f32_e32 v6, v4, v4
	v_dual_max_f32 v1, v1, v6 :: v_dual_lshlrev_b32 v4, 2, v5
	v_xor_b32_e32 v6, 2, v0
	ds_bpermute_b32 v5, v4, v1
	v_cmp_gt_i32_e32 vcc_lo, 32, v6
	s_waitcnt lgkmcnt(0)
	v_dual_cndmask_b32 v6, v0, v6 :: v_dual_max_f32 v5, v5, v5
	s_delay_alu instid0(VALU_DEP_1) | instskip(SKIP_1) | instid1(VALU_DEP_1)
	v_lshlrev_b32_e32 v16, 2, v6
	v_xor_b32_e32 v6, 1, v0
	v_cmp_gt_i32_e32 vcc_lo, 32, v6
	s_delay_alu instid0(VALU_DEP_4) | instskip(SKIP_4) | instid1(VALU_DEP_1)
	v_dual_max_f32 v1, v1, v5 :: v_dual_cndmask_b32 v6, v0, v6
	ds_bpermute_b32 v5, v16, v1
	v_lshlrev_b32_e32 v13, 2, v6
	s_waitcnt lgkmcnt(0)
	v_max_f32_e32 v5, v5, v5
	v_max_f32_e32 v0, v1, v5
	scratch_load_b32 v5, off, s32 offset:328 ; 4-byte Folded Reload
	ds_bpermute_b32 v1, v13, v0
	s_waitcnt vmcnt(0)
	v_cmp_eq_u32_e32 vcc_lo, 0, v5
	v_lshlrev_b32_e32 v5, 2, v191
	s_and_saveexec_b32 s1, vcc_lo
	s_cbranch_execz .LBB183_19
; %bb.18:
	s_waitcnt lgkmcnt(0)
	v_dual_max_f32 v1, v1, v1 :: v_dual_max_f32 v0, v0, v0
	s_delay_alu instid0(VALU_DEP_1)
	v_max_f32_e32 v0, v0, v1
	ds_store_b32 v5, v0 offset:224
.LBB183_19:
	s_or_b32 exec_lo, exec_lo, s1
	scratch_load_b32 v0, off, s32 offset:328 ; 4-byte Folded Reload
	s_waitcnt vmcnt(0) lgkmcnt(0)
	s_waitcnt_vscnt null, 0x0
	s_barrier
	buffer_gl0_inv
	v_cmp_gt_u32_e64 s1, 4, v0
	v_mov_b32_e32 v0, 0xff7fffff
	s_delay_alu instid0(VALU_DEP_2)
	s_and_saveexec_b32 s2, s1
	s_cbranch_execz .LBB183_21
; %bb.20:
	ds_load_b32 v0, v12 offset:224
.LBB183_21:
	s_or_b32 exec_lo, exec_lo, s2
	s_waitcnt lgkmcnt(0)
	ds_bpermute_b32 v1, v16, v0
	v_max_f32_e32 v0, v0, v0
	v_subrev_nc_u32_e32 v7, s13, v99
	s_waitcnt lgkmcnt(0)
	v_dual_mov_b32 v6, 0 :: v_dual_max_f32 v1, v1, v1
	s_delay_alu instid0(VALU_DEP_1) | instskip(SKIP_3) | instid1(VALU_DEP_1)
	v_max_f32_e32 v0, v0, v1
	ds_bpermute_b32 v1, v13, v0
	s_waitcnt lgkmcnt(0)
	v_max_f32_e32 v1, v1, v1
	v_max_f32_e32 v0, v0, v1
	v_lshl_add_u32 v1, v7, 5, s3
	ds_bpermute_b32 v0, v6, v0
	v_min_i32_e32 v1, v1, v86
	s_delay_alu instid0(VALU_DEP_1) | instskip(NEXT) | instid1(VALU_DEP_1)
	v_subrev_nc_u32_e32 v1, s3, v1
	v_cmp_lt_i32_e64 s2, v157, v1
	s_delay_alu instid0(VALU_DEP_1)
	s_and_saveexec_b32 s9, s2
	s_cbranch_execz .LBB183_25
; %bb.22:
	s_getpc_b64 s[18:19]
	s_add_u32 s18, s18, llvm.amdgcn.dynlds.offset.table@rel32@lo+4
	s_addc_u32 s19, s19, llvm.amdgcn.dynlds.offset.table@rel32@hi+12
	s_ashr_i32 s11, s10, 31
	v_mov_b32_e32 v6, 0
	s_lshl_b64 s[20:21], s[10:11], 2
	v_mov_b32_e32 v8, v157
	s_add_u32 s18, s20, s18
	s_addc_u32 s19, s21, s19
	s_mov_b32 s11, 0
	s_load_b32 s3, s[18:19], 0x0
	s_waitcnt lgkmcnt(0)
	v_lshl_add_u32 v7, v157, 2, s3
	.p2align	6
.LBB183_23:                             ; =>This Inner Loop Header: Depth=1
	ds_load_b32 v9, v7
	v_add_nc_u32_e32 v8, 0x80, v8
	s_delay_alu instid0(VALU_DEP_1) | instskip(NEXT) | instid1(VALU_DEP_1)
	v_cmp_ge_i32_e64 s3, v8, v1
	s_or_b32 s11, s3, s11
	s_waitcnt lgkmcnt(0)
	v_sub_f32_e32 v9, v9, v0
	s_delay_alu instid0(VALU_DEP_1) | instskip(NEXT) | instid1(VALU_DEP_1)
	v_mul_f32_e32 v9, 0x3fb8aa3b, v9
	v_exp_f32_e32 v9, v9
	ds_store_b32 v7, v9
	v_dual_add_f32 v6, v6, v9 :: v_dual_add_nc_u32 v7, 0x200, v7
	s_and_not1_b32 exec_lo, exec_lo, s11
	s_cbranch_execnz .LBB183_23
; %bb.24:
	s_or_b32 exec_lo, exec_lo, s11
.LBB183_25:
	s_delay_alu instid0(SALU_CYCLE_1)
	s_or_b32 exec_lo, exec_lo, s9
	ds_bpermute_b32 v2, v2, v6
	s_waitcnt lgkmcnt(0)
	v_add_f32_e32 v2, v6, v2
	ds_bpermute_b32 v3, v3, v2
	s_waitcnt lgkmcnt(0)
	v_add_f32_e32 v2, v2, v3
	;; [unrolled: 3-line block ×5, first 2 shown]
	s_and_saveexec_b32 s3, vcc_lo
	s_cbranch_execz .LBB183_27
; %bb.26:
	ds_store_b32 v5, v2 offset:240
.LBB183_27:
	s_or_b32 exec_lo, exec_lo, s3
	s_waitcnt lgkmcnt(0)
	s_barrier
	buffer_gl0_inv
	s_and_saveexec_b32 s3, s1
	s_cbranch_execz .LBB183_29
; %bb.28:
	ds_load_b32 v2, v12 offset:240
.LBB183_29:
	s_or_b32 exec_lo, exec_lo, s3
	s_waitcnt lgkmcnt(0)
	ds_bpermute_b32 v3, v16, v2
	s_waitcnt lgkmcnt(0)
	v_add_f32_e32 v2, v2, v3
	ds_bpermute_b32 v3, v13, v2
	s_waitcnt lgkmcnt(0)
	v_dual_add_f32 v2, v2, v3 :: v_dual_mov_b32 v3, 0
	ds_bpermute_b32 v2, v3, v2
	s_and_saveexec_b32 s1, s2
	s_cbranch_execz .LBB183_32
; %bb.30:
	s_waitcnt lgkmcnt(0)
	v_add_f32_e32 v4, 0x358637bd, v2
	s_getpc_b64 s[2:3]
	s_add_u32 s2, s2, llvm.amdgcn.dynlds.offset.table@rel32@lo+4
	s_addc_u32 s3, s3, llvm.amdgcn.dynlds.offset.table@rel32@hi+12
	s_ashr_i32 s11, s10, 31
	s_delay_alu instid0(SALU_CYCLE_1) | instskip(SKIP_4) | instid1(VALU_DEP_1)
	s_lshl_b64 s[18:19], s[10:11], 2
	v_div_scale_f32 v3, null, v4, v4, 1.0
	s_add_u32 s2, s18, s2
	s_addc_u32 s3, s19, s3
	s_load_b32 s2, s[2:3], 0x0
	v_rcp_f32_e32 v5, v3
	s_waitcnt_depctr 0xfff
	v_fma_f32 v6, -v3, v5, 1.0
	s_delay_alu instid0(VALU_DEP_1) | instskip(SKIP_1) | instid1(VALU_DEP_1)
	v_fmac_f32_e32 v5, v6, v5
	v_div_scale_f32 v7, vcc_lo, 1.0, v4, 1.0
	v_mul_f32_e32 v6, v7, v5
	s_delay_alu instid0(VALU_DEP_1) | instskip(NEXT) | instid1(VALU_DEP_1)
	v_fma_f32 v8, -v3, v6, v7
	v_fmac_f32_e32 v6, v8, v5
	s_delay_alu instid0(VALU_DEP_1) | instskip(NEXT) | instid1(VALU_DEP_1)
	v_fma_f32 v3, -v3, v6, v7
	v_div_fmas_f32 v5, v3, v5, v6
	s_waitcnt lgkmcnt(0)
	v_lshl_add_u32 v3, v157, 2, s2
	s_mov_b32 s2, 0
	s_delay_alu instid0(VALU_DEP_2)
	v_div_fixup_f32 v4, v5, v4, 1.0
	v_mov_b32_e32 v5, v157
.LBB183_31:                             ; =>This Inner Loop Header: Depth=1
	ds_load_b32 v6, v3
	s_waitcnt lgkmcnt(0)
	v_dual_mul_f32 v6, v4, v6 :: v_dual_add_nc_u32 v5, 0x80, v5
	s_delay_alu instid0(VALU_DEP_1) | instskip(SKIP_3) | instid1(SALU_CYCLE_1)
	v_cmp_ge_i32_e32 vcc_lo, v5, v1
	ds_store_b32 v3, v6
	v_add_nc_u32_e32 v3, 0x200, v3
	s_or_b32 s2, vcc_lo, s2
	s_and_not1_b32 exec_lo, exec_lo, s2
	s_cbranch_execnz .LBB183_31
.LBB183_32:
	s_or_b32 exec_lo, exec_lo, s1
	v_cmp_ne_u16_e64 s1, s8, 0
	s_mov_b32 s2, exec_lo
	s_waitcnt lgkmcnt(0)
	s_barrier
	buffer_gl0_inv
	s_cmp_lg_u32 s1, 0
	s_addc_u32 s1, s7, 0
	v_cmpx_eq_u32_e32 0, v157
	s_cbranch_execz .LBB183_34
; %bb.33:
	s_mul_i32 s3, s1, s4
	s_mul_i32 s8, s1, s12
	;; [unrolled: 1-line block ×3, first 2 shown]
	s_ashr_i32 s9, s8, 31
	s_ashr_i32 s15, s14, 31
	;; [unrolled: 1-line block ×3, first 2 shown]
	s_lshl_b64 s[8:9], s[8:9], 2
	s_lshl_b64 s[18:19], s[14:15], 2
	;; [unrolled: 1-line block ×3, first 2 shown]
	s_add_u32 s3, s18, s8
	s_addc_u32 s7, s19, s9
	s_add_u32 s3, s3, s12
	s_addc_u32 s7, s7, s13
	v_add_co_u32 v3, vcc_lo, s3, v33
	v_add_co_ci_u32_e32 v4, vcc_lo, s7, v32, vcc_lo
	v_add_co_u32 v5, vcc_lo, s3, v30
	v_add_co_ci_u32_e32 v6, vcc_lo, s7, v29, vcc_lo
	flat_store_b32 v[3:4], v0
	flat_store_b32 v[5:6], v2
.LBB183_34:
	s_or_b32 exec_lo, exec_lo, s2
	s_ashr_i32 s11, s10, 31
	s_getpc_b64 s[2:3]
	s_add_u32 s2, s2, llvm.amdgcn.dynlds.offset.table@rel32@lo+4
	s_addc_u32 s3, s3, llvm.amdgcn.dynlds.offset.table@rel32@hi+12
	s_lshl_b64 s[8:9], s[10:11], 2
	v_dual_mov_b32 v37, 0 :: v_dual_mov_b32 v38, 0
	v_dual_mov_b32 v36, 0 :: v_dual_and_b32 v17, 3, v157
	v_dual_mov_b32 v35, 0 :: v_dual_mov_b32 v34, 0
	v_dual_mov_b32 v33, 0 :: v_dual_mov_b32 v32, 0
	;; [unrolled: 1-line block ×5, first 2 shown]
	v_mov_b32_e32 v19, 0
	s_add_u32 s2, s8, s2
	s_addc_u32 s3, s9, s3
	s_mov_b32 s8, 0
	s_and_saveexec_b32 s7, s0
	s_cbranch_execz .LBB183_548
; %bb.35:
	v_max_i32_e32 v26, v26, v39
	v_lshlrev_b64 v[0:1], 1, v[48:49]
	s_load_b32 s0, s[2:3], 0x0
	v_lshlrev_b64 v[2:3], 2, v[23:24]
	v_dual_mov_b32 v19, 0 :: v_dual_lshlrev_b32 v4, 3, v157
	v_cvt_f32_u32_e32 v5, v26
	s_delay_alu instid0(VALU_DEP_4) | instskip(SKIP_2) | instid1(VALU_DEP_4)
	v_add_co_u32 v49, vcc_lo, v10, v0
	v_sub_nc_u32_e32 v7, 0, v26
	v_add_co_ci_u32_e32 v50, vcc_lo, v11, v1, vcc_lo
	v_rcp_iflag_f32_e32 v5, v5
	v_add_co_u32 v1, vcc_lo, v51, v2
	v_dual_mov_b32 v29, 0 :: v_dual_lshlrev_b32 v6, 5, v17
	v_dual_mov_b32 v31, 0 :: v_dual_and_b32 v24, 24, v4
	v_dual_mov_b32 v33, 0 :: v_dual_and_b32 v4, 0xf8, v4
	s_waitcnt_depctr 0xfff
	v_dual_mov_b32 v35, 0 :: v_dual_mul_f32 v0, 0x4f7ffffe, v5
	v_add_co_ci_u32_e32 v2, vcc_lo, v52, v3, vcc_lo
	v_add_co_u32 v10, vcc_lo, v14, v1
	s_delay_alu instid0(VALU_DEP_3) | instskip(SKIP_3) | instid1(VALU_DEP_4)
	v_cvt_u32_f32_e32 v0, v0
	v_dual_mov_b32 v27, 0 :: v_dual_add_nc_u32 v48, -1, v21
	v_lshl_or_b32 v6, v191, 7, v6
	v_or_b32_e32 v3, 0x800, v4
	v_mul_lo_u32 v7, v7, v0
	v_or_b32_e32 v5, 0x900, v4
	v_or_b32_e32 v8, 0xa00, v4
	;; [unrolled: 1-line block ×5, first 2 shown]
	v_dual_mov_b32 v18, 0 :: v_dual_lshlrev_b32 v51, 1, v4
	v_mul_hi_u32 v1, v0, v7
	v_add_co_ci_u32_e32 v11, vcc_lo, v15, v2, vcc_lo
	v_dual_mov_b32 v37, 0 :: v_dual_lshlrev_b32 v14, 1, v3
	v_dual_mov_b32 v28, 0 :: v_dual_lshlrev_b32 v15, 1, v5
	v_lshlrev_b32_e32 v52, 1, v8
	v_dual_mov_b32 v30, 0 :: v_dual_lshlrev_b32 v53, 1, v9
	v_lshlrev_b32_e32 v54, 1, v12
	v_dual_mov_b32 v32, 0 :: v_dual_lshlrev_b32 v55, 1, v21
	s_waitcnt lgkmcnt(0)
	v_add_nc_u32_e32 v64, s0, v6
	v_dual_mov_b32 v34, 0 :: v_dual_add_nc_u32 v65, v0, v1
	v_mov_b32_e32 v36, 0
	v_mov_b32_e32 v38, 0
	s_branch .LBB183_38
.LBB183_36:                             ;   in Loop: Header=BB183_38 Depth=1
	s_or_b32 exec_lo, exec_lo, s0
	v_and_b32_e32 v112, 0xffff0000, v142
	v_and_b32_e32 v115, 0xffff0000, v123
	;; [unrolled: 1-line block ×7, first 2 shown]
	s_delay_alu instid0(VALU_DEP_4)
	v_dual_add_f32 v112, v113, v112 :: v_dual_and_b32 v7, 0xffff0000, v7
	v_and_b32_e32 v103, 0xffff0000, v139
	v_and_b32_e32 v96, 0xffff0000, v138
	;; [unrolled: 1-line block ×5, first 2 shown]
	s_delay_alu instid0(VALU_DEP_4) | instskip(NEXT) | instid1(VALU_DEP_4)
	v_dual_add_f32 v25, v103, v25 :: v_dual_add_f32 v96, v97, v96
	v_dual_add_f32 v6, v6, v7 :: v_dual_and_b32 v103, 0xffff0000, v152
	v_and_b32_e32 v21, 0xffff0000, v21
	v_and_b32_e32 v5, 0xffff0000, v5
	s_delay_alu instid0(VALU_DEP_4) | instskip(SKIP_3) | instid1(VALU_DEP_4)
	v_dual_add_f32 v25, v96, v25 :: v_dual_and_b32 v96, 0xffff0000, v126
	v_and_b32_e32 v97, 0xffff0000, v143
	v_and_b32_e32 v67, 0xffff0000, v67
	;; [unrolled: 1-line block ×3, first 2 shown]
	v_dual_add_f32 v25, v25, v112 :: v_dual_and_b32 v112, 0xffff0000, v122
	v_add_f32_e32 v96, v113, v96
	v_add_f32_e32 v97, v97, v103
	v_and_b32_e32 v103, 0xffff0000, v124
	v_add_f32_e32 v21, v21, v39
	v_and_b32_e32 v113, 0xffff0000, v109
	s_delay_alu instid0(VALU_DEP_4) | instskip(NEXT) | instid1(VALU_DEP_4)
	v_dual_add_f32 v25, v25, v97 :: v_dual_and_b32 v116, 0xffff0000, v136
	v_dual_add_f32 v103, v115, v103 :: v_dual_add_f32 v112, v114, v112
	v_and_b32_e32 v114, 0xffff0000, v108
	v_and_b32_e32 v115, 0xffff0000, v107
	s_delay_alu instid0(VALU_DEP_4) | instskip(NEXT) | instid1(VALU_DEP_4)
	v_dual_add_f32 v19, v19, v25 :: v_dual_and_b32 v12, 0xffff0000, v12
	v_dual_add_f32 v103, v112, v103 :: v_dual_and_b32 v112, 0xffff0000, v110
	s_delay_alu instid0(VALU_DEP_3) | instskip(NEXT) | instid1(VALU_DEP_3)
	v_add_f32_e32 v39, v115, v114
	v_add_f32_e32 v5, v12, v5
	v_and_b32_e32 v12, 0xffff0000, v89
	v_and_b32_e32 v115, 0xffff0000, v88
	v_and_b32_e32 v97, 0xffff0000, v127
	v_add_f32_e32 v21, v21, v39
	v_add_f32_e32 v39, v113, v112
	v_dual_add_f32 v96, v103, v96 :: v_dual_and_b32 v103, 0xffff0000, v111
	v_and_b32_e32 v112, 0xffff0000, v120
	v_add_f32_e32 v12, v115, v12
	v_add_f32_e32 v97, v97, v116
	v_dual_add_f32 v21, v21, v39 :: v_dual_and_b32 v114, 0xffff0000, v78
	s_delay_alu instid0(VALU_DEP_4) | instskip(SKIP_1) | instid1(VALU_DEP_4)
	v_add_f32_e32 v39, v103, v112
	v_and_b32_e32 v103, 0xffff0000, v94
	v_add_f32_e32 v25, v96, v97
	v_and_b32_e32 v97, 0xffff0000, v95
	v_and_b32_e32 v96, 0xffff0000, v105
	;; [unrolled: 1-line block ×4, first 2 shown]
	s_delay_alu instid0(VALU_DEP_4) | instskip(NEXT) | instid1(VALU_DEP_3)
	v_dual_add_f32 v97, v103, v97 :: v_dual_and_b32 v116, 0xffff0000, v58
	v_dual_add_f32 v96, v112, v96 :: v_dual_and_b32 v103, 0xffff0000, v79
	v_and_b32_e32 v112, 0xffff0000, v90
	s_delay_alu instid0(VALU_DEP_4) | instskip(NEXT) | instid1(VALU_DEP_4)
	v_add_f32_e32 v4, v4, v113
	v_add_f32_e32 v5, v97, v5
	v_and_b32_e32 v97, 0xffff0000, v91
	v_dual_add_f32 v103, v114, v103 :: v_dual_and_b32 v114, 0xffff0000, v57
	v_add_f32_e32 v27, v27, v25
	s_delay_alu instid0(VALU_DEP_4) | instskip(NEXT) | instid1(VALU_DEP_4)
	v_add_f32_e32 v5, v5, v96
	v_dual_add_f32 v97, v112, v97 :: v_dual_and_b32 v96, 0xffff0000, v92
	v_and_b32_e32 v112, 0xffff0000, v77
	v_dual_add_f32 v12, v103, v12 :: v_dual_and_b32 v103, 0xffff0000, v93
	s_delay_alu instid0(VALU_DEP_4) | instskip(SKIP_1) | instid1(VALU_DEP_3)
	v_dual_add_f32 v4, v5, v4 :: v_dual_and_b32 v25, 0xffff0000, v75
	v_and_b32_e32 v113, 0xffff0000, v59
	v_add_f32_e32 v5, v12, v97
	s_delay_alu instid0(VALU_DEP_4)
	v_add_f32_e32 v12, v96, v103
	v_and_b32_e32 v96, 0xffff0000, v73
	v_and_b32_e32 v97, 0xffff0000, v72
	v_add_f32_e32 v21, v21, v39
	v_and_b32_e32 v39, 0xffff0000, v74
	v_and_b32_e32 v103, 0xffff0000, v76
	;; [unrolled: 1-line block ×3, first 2 shown]
	v_dual_add_f32 v7, v97, v96 :: v_dual_and_b32 v96, 0xffff0000, v61
	v_add_f32_e32 v113, v116, v113
	v_add_f32_e32 v29, v29, v4
	s_delay_alu instid0(VALU_DEP_3) | instskip(SKIP_2) | instid1(VALU_DEP_2)
	v_dual_add_f32 v97, v115, v114 :: v_dual_add_f32 v6, v6, v7
	v_dual_add_f32 v7, v39, v25 :: v_dual_and_b32 v114, 0xffff0000, v60
	v_dual_add_f32 v28, v28, v21 :: v_dual_and_b32 v25, 0xffff0000, v62
	;; [unrolled: 1-line block ×3, first 2 shown]
	v_add_f32_e32 v7, v103, v112
	s_delay_alu instid0(VALU_DEP_4) | instskip(SKIP_2) | instid1(VALU_DEP_4)
	v_add_f32_e32 v96, v114, v96
	v_dual_add_f32 v5, v5, v12 :: v_dual_and_b32 v112, 0xffff0000, v178
	v_and_b32_e32 v8, 0xffff0000, v8
	v_add_f32_e32 v4, v6, v7
	v_and_b32_e32 v6, 0xffff0000, v45
	v_add_f32_e32 v39, v97, v113
	v_dual_add_f32 v30, v30, v5 :: v_dual_and_b32 v97, 0xffff0000, v63
	v_dual_add_f32 v8, v8, v9 :: v_dual_and_b32 v7, 0xffff0000, v43
	s_delay_alu instid0(VALU_DEP_2)
	v_dual_add_f32 v12, v39, v96 :: v_dual_add_f32 v25, v25, v97
	v_and_b32_e32 v39, 0xffff0000, v44
	v_and_b32_e32 v96, 0xffff0000, v46
	v_and_b32_e32 v97, 0xffff0000, v47
	v_add_f32_e32 v31, v31, v4
	v_dual_add_f32 v5, v12, v25 :: v_dual_and_b32 v80, 0xffff0000, v80
	v_and_b32_e32 v12, 0xffff0000, v41
	v_and_b32_e32 v25, 0xffff0000, v42
	v_add_f32_e32 v6, v39, v6
	v_and_b32_e32 v68, 0xffff0000, v68
	v_and_b32_e32 v66, 0xffff0000, v66
	v_add_f32_e32 v12, v21, v12
	v_add_f32_e32 v7, v25, v7
	v_and_b32_e32 v25, 0xffff0000, v177
	v_and_b32_e32 v1, 0xffff0000, v1
	;; [unrolled: 1-line block ×4, first 2 shown]
	v_add_f32_e32 v7, v12, v7
	v_add_f32_e32 v9, v66, v67
	v_and_b32_e32 v103, 0xffff0000, v176
	v_and_b32_e32 v12, 0xffff0000, v181
	s_delay_alu instid0(VALU_DEP_4) | instskip(SKIP_3) | instid1(VALU_DEP_3)
	v_dual_add_f32 v21, v112, v21 :: v_dual_add_f32 v6, v7, v6
	v_add_f32_e32 v7, v96, v97
	v_dual_add_f32 v8, v8, v9 :: v_dual_and_b32 v39, 0xffff0000, v180
	v_dual_add_f32 v25, v103, v25 :: v_dual_and_b32 v96, 0xffff0000, v182
	v_add_f32_e32 v4, v6, v7
	s_delay_alu instid0(VALU_DEP_3) | instskip(SKIP_1) | instid1(VALU_DEP_4)
	v_add_f32_e32 v12, v39, v12
	v_add_f32_e32 v32, v32, v5
	;; [unrolled: 1-line block ×3, first 2 shown]
	v_and_b32_e32 v25, 0xffff0000, v183
	v_add_f32_e32 v33, v33, v4
	v_and_b32_e32 v7, 0xffff0000, v163
	v_and_b32_e32 v39, 0xffff0000, v146
	s_delay_alu instid0(VALU_DEP_4)
	v_dual_add_f32 v5, v21, v12 :: v_dual_add_f32 v6, v96, v25
	v_and_b32_e32 v12, 0xffff0000, v161
	v_and_b32_e32 v21, 0xffff0000, v160
	v_and_b32_e32 v25, 0xffff0000, v162
	v_and_b32_e32 v66, 0xffff0000, v101
	v_dual_add_f32 v4, v5, v6 :: v_dual_and_b32 v5, 0xffff0000, v165
	s_delay_alu instid0(VALU_DEP_4) | instskip(NEXT) | instid1(VALU_DEP_4)
	v_add_f32_e32 v6, v21, v12
	v_dual_add_f32 v7, v25, v7 :: v_dual_and_b32 v12, 0xffff0000, v164
	v_and_b32_e32 v25, 0xffff0000, v144
	s_delay_alu instid0(VALU_DEP_4) | instskip(SKIP_1) | instid1(VALU_DEP_4)
	v_add_f32_e32 v34, v34, v4
	v_and_b32_e32 v4, 0xffff0000, v166
	v_dual_add_f32 v6, v6, v7 :: v_dual_add_f32 v5, v12, v5
	v_and_b32_e32 v2, 0xffff0000, v2
	v_and_b32_e32 v7, 0xffff0000, v147
	;; [unrolled: 1-line block ×4, first 2 shown]
	v_add_f32_e32 v5, v6, v5
	s_delay_alu instid0(VALU_DEP_4) | instskip(NEXT) | instid1(VALU_DEP_4)
	v_dual_add_f32 v7, v39, v7 :: v_dual_and_b32 v6, 0xffff0000, v149
	v_dual_add_f32 v12, v25, v12 :: v_dual_and_b32 v25, 0xffff0000, v83
	v_and_b32_e32 v39, 0xffff0000, v81
	v_dual_add_f32 v4, v4, v21 :: v_dual_and_b32 v81, 0xffff0000, v82
	s_delay_alu instid0(VALU_DEP_3) | instskip(NEXT) | instid1(VALU_DEP_3)
	v_dual_add_f32 v7, v12, v7 :: v_dual_and_b32 v12, 0xffff0000, v117
	v_add_f32_e32 v39, v80, v39
	s_delay_alu instid0(VALU_DEP_3) | instskip(SKIP_3) | instid1(VALU_DEP_4)
	v_dual_add_f32 v25, v81, v25 :: v_dual_and_b32 v80, 0xffff0000, v84
	v_and_b32_e32 v96, 0xffff0000, v148
	v_and_b32_e32 v82, 0xffff0000, v150
	;; [unrolled: 1-line block ×3, first 2 shown]
	v_dual_add_f32 v21, v39, v25 :: v_dual_add_f32 v12, v80, v12
	v_and_b32_e32 v80, 0xffff0000, v85
	v_add_f32_e32 v6, v96, v6
	v_and_b32_e32 v25, 0xffff0000, v134
	s_delay_alu instid0(VALU_DEP_4)
	v_dual_add_f32 v12, v21, v12 :: v_dual_and_b32 v39, 0xffff0000, v135
	v_and_b32_e32 v21, 0xffff0000, v69
	v_and_b32_e32 v69, 0xffff0000, v70
	;; [unrolled: 1-line block ×5, first 2 shown]
	v_dual_add_f32 v9, v68, v21 :: v_dual_add_f32 v6, v7, v6
	v_add_f32_e32 v7, v82, v81
	s_delay_alu instid0(VALU_DEP_4) | instskip(NEXT) | instid1(VALU_DEP_3)
	v_dual_add_f32 v1, v1, v71 :: v_dual_add_f32 v0, v0, v80
	v_dual_add_f32 v21, v25, v39 :: v_dual_add_f32 v8, v8, v9
	s_delay_alu instid0(VALU_DEP_2) | instskip(SKIP_2) | instid1(VALU_DEP_1)
	v_dual_add_f32 v9, v69, v70 :: v_dual_add_f32 v0, v0, v1
	v_add_f32_e32 v1, v2, v66
	v_and_b32_e32 v2, 0xffff0000, v102
	v_dual_add_f32 v0, v0, v1 :: v_dual_add_f32 v1, v3, v2
	v_dual_add_f32 v2, v5, v4 :: v_dual_add_f32 v3, v6, v7
	v_add_f32_e32 v4, v12, v21
	v_add_f32_e32 v5, v8, v9
	s_delay_alu instid0(VALU_DEP_3) | instskip(NEXT) | instid1(VALU_DEP_4)
	v_dual_add_f32 v0, v0, v1 :: v_dual_add_f32 v35, v35, v2
	v_add_f32_e32 v36, v36, v3
	s_delay_alu instid0(VALU_DEP_3) | instskip(NEXT) | instid1(VALU_DEP_3)
	v_dual_add_f32 v38, v38, v4 :: v_dual_add_f32 v37, v37, v5
	v_add_f32_e32 v18, v18, v0
.LBB183_37:                             ;   in Loop: Header=BB183_38 Depth=1
	s_or_b32 exec_lo, exec_lo, s9
	v_add_nc_u32_e32 v23, 4, v23
	v_add_co_u32 v10, s0, v10, 16
	s_delay_alu instid0(VALU_DEP_1) | instskip(NEXT) | instid1(VALU_DEP_3)
	v_add_co_ci_u32_e64 v11, s0, 0, v11, s0
	v_cmp_ge_i32_e32 vcc_lo, v23, v99
	v_add_nc_u32_e32 v98, 0x80, v98
	v_add_nc_u32_e32 v64, 0x200, v64
	s_or_b32 s8, vcc_lo, s8
	s_delay_alu instid0(SALU_CYCLE_1)
	s_and_not1_b32 exec_lo, exec_lo, s8
	s_cbranch_execz .LBB183_547
.LBB183_38:                             ; =>This Inner Loop Header: Depth=1
	scratch_load_b32 v1, off, s32 offset:320 ; 4-byte Folded Reload
	v_sub_nc_u32_e32 v0, 0, v98
	s_delay_alu instid0(VALU_DEP_1) | instskip(SKIP_1) | instid1(VALU_DEP_1)
	v_max_i32_e32 v0, v98, v0
	s_waitcnt vmcnt(0)
	v_mul_hi_u32 v1, v0, v1
	s_delay_alu instid0(VALU_DEP_1) | instskip(NEXT) | instid1(VALU_DEP_1)
	v_mul_lo_u32 v2, v1, v87
	v_sub_nc_u32_e32 v0, v0, v2
	v_add_nc_u32_e32 v2, 1, v1
	s_delay_alu instid0(VALU_DEP_2) | instskip(SKIP_1) | instid1(VALU_DEP_2)
	v_sub_nc_u32_e32 v3, v0, v87
	v_cmp_ge_u32_e32 vcc_lo, v0, v87
	v_dual_cndmask_b32 v1, v1, v2 :: v_dual_cndmask_b32 v0, v0, v3
	v_ashrrev_i32_e32 v2, 31, v98
	s_delay_alu instid0(VALU_DEP_2) | instskip(NEXT) | instid1(VALU_DEP_3)
	v_add_nc_u32_e32 v3, 1, v1
	v_cmp_ge_u32_e32 vcc_lo, v0, v87
	s_delay_alu instid0(VALU_DEP_3) | instskip(NEXT) | instid1(VALU_DEP_3)
	v_xor_b32_e32 v2, v2, v158
	v_cndmask_b32_e32 v0, v1, v3, vcc_lo
	s_delay_alu instid0(VALU_DEP_1) | instskip(NEXT) | instid1(VALU_DEP_1)
	v_xor_b32_e32 v0, v0, v2
	v_sub_nc_u32_e32 v0, v0, v2
	s_delay_alu instid0(VALU_DEP_1) | instskip(NEXT) | instid1(VALU_DEP_1)
	v_add_nc_u32_e32 v1, v0, v20
	v_sub_nc_u32_e32 v2, 0, v1
	s_delay_alu instid0(VALU_DEP_1) | instskip(NEXT) | instid1(VALU_DEP_1)
	v_max_i32_e32 v2, v1, v2
	v_mul_hi_u32 v3, v2, v65
	s_delay_alu instid0(VALU_DEP_1) | instskip(NEXT) | instid1(VALU_DEP_1)
	v_mul_lo_u32 v3, v3, v26
	v_sub_nc_u32_e32 v2, v2, v3
	s_delay_alu instid0(VALU_DEP_1) | instskip(SKIP_1) | instid1(VALU_DEP_2)
	v_sub_nc_u32_e32 v3, v2, v26
	v_cmp_ge_u32_e32 vcc_lo, v2, v26
	v_cndmask_b32_e32 v2, v2, v3, vcc_lo
	v_ashrrev_i32_e32 v1, 31, v1
	s_delay_alu instid0(VALU_DEP_2) | instskip(SKIP_1) | instid1(VALU_DEP_2)
	v_sub_nc_u32_e32 v3, v2, v26
	v_cmp_ge_u32_e32 vcc_lo, v2, v26
	v_cndmask_b32_e32 v2, v2, v3, vcc_lo
	s_delay_alu instid0(VALU_DEP_1) | instskip(NEXT) | instid1(VALU_DEP_1)
	v_xor_b32_e32 v2, v2, v1
	v_sub_nc_u32_e32 v1, v2, v1
	s_delay_alu instid0(VALU_DEP_1) | instskip(SKIP_3) | instid1(VALU_DEP_1)
	v_cmp_eq_u32_e32 vcc_lo, 0, v1
	scratch_load_b32 v1, off, s32 offset:324 ; 4-byte Folded Reload
	s_waitcnt vmcnt(0)
	v_cmp_gt_i32_e64 s0, v0, v1
	s_or_b32 s0, vcc_lo, s0
	s_delay_alu instid0(SALU_CYCLE_1)
	s_and_saveexec_b32 s9, s0
	s_cbranch_execz .LBB183_37
; %bb.39:                               ;   in Loop: Header=BB183_38 Depth=1
	flat_load_b32 v69, v[10:11]
	ds_load_2addr_b64 v[6:9], v64 offset1:1
	ds_load_2addr_b64 v[0:3], v64 offset0:2 offset1:3
	s_mov_b32 s0, exec_lo
                                        ; implicit-def: $vgpr68
	s_waitcnt lgkmcnt(1)
	v_and_b32_e32 v4, 0x7f800000, v6
	s_delay_alu instid0(VALU_DEP_1)
	v_cmpx_ne_u32_e32 0x7f800000, v4
	s_xor_b32 s0, exec_lo, s0
; %bb.40:                               ;   in Loop: Header=BB183_38 Depth=1
	v_bfe_u32 v4, v6, 16, 1
	s_delay_alu instid0(VALU_DEP_1)
	v_add3_u32 v68, v6, v4, 0x7fff
; %bb.41:                               ;   in Loop: Header=BB183_38 Depth=1
	s_and_not1_saveexec_b32 s0, s0
; %bb.42:                               ;   in Loop: Header=BB183_38 Depth=1
	v_and_b32_e32 v4, 0xffff, v6
	v_or_b32_e32 v5, 0x10000, v6
	s_delay_alu instid0(VALU_DEP_2) | instskip(NEXT) | instid1(VALU_DEP_2)
	v_cmp_eq_u32_e32 vcc_lo, 0, v4
	v_cndmask_b32_e32 v68, v5, v6, vcc_lo
; %bb.43:                               ;   in Loop: Header=BB183_38 Depth=1
	s_or_b32 exec_lo, exec_lo, s0
	v_and_b32_e32 v4, 0x7f800000, v7
	s_mov_b32 s0, exec_lo
                                        ; implicit-def: $vgpr67
	s_delay_alu instid0(VALU_DEP_1)
	v_cmpx_ne_u32_e32 0x7f800000, v4
	s_xor_b32 s0, exec_lo, s0
; %bb.44:                               ;   in Loop: Header=BB183_38 Depth=1
	v_bfe_u32 v4, v7, 16, 1
	s_delay_alu instid0(VALU_DEP_1)
	v_add3_u32 v67, v7, v4, 0x7fff
; %bb.45:                               ;   in Loop: Header=BB183_38 Depth=1
	s_and_not1_saveexec_b32 s0, s0
; %bb.46:                               ;   in Loop: Header=BB183_38 Depth=1
	v_and_b32_e32 v4, 0xffff, v7
	v_or_b32_e32 v5, 0x10000, v7
	s_delay_alu instid0(VALU_DEP_2) | instskip(NEXT) | instid1(VALU_DEP_2)
	v_cmp_eq_u32_e32 vcc_lo, 0, v4
	v_cndmask_b32_e32 v67, v5, v7, vcc_lo
; %bb.47:                               ;   in Loop: Header=BB183_38 Depth=1
	s_or_b32 exec_lo, exec_lo, s0
	v_and_b32_e32 v4, 0x7f800000, v8
	s_mov_b32 s0, exec_lo
                                        ; implicit-def: $vgpr66
	s_delay_alu instid0(VALU_DEP_1)
	v_cmpx_ne_u32_e32 0x7f800000, v4
	s_xor_b32 s0, exec_lo, s0
; %bb.48:                               ;   in Loop: Header=BB183_38 Depth=1
	v_bfe_u32 v4, v8, 16, 1
	s_delay_alu instid0(VALU_DEP_1)
	v_add3_u32 v66, v8, v4, 0x7fff
; %bb.49:                               ;   in Loop: Header=BB183_38 Depth=1
	s_and_not1_saveexec_b32 s0, s0
; %bb.50:                               ;   in Loop: Header=BB183_38 Depth=1
	v_and_b32_e32 v4, 0xffff, v8
	v_or_b32_e32 v5, 0x10000, v8
	s_delay_alu instid0(VALU_DEP_2) | instskip(NEXT) | instid1(VALU_DEP_2)
	v_cmp_eq_u32_e32 vcc_lo, 0, v4
	v_cndmask_b32_e32 v66, v5, v8, vcc_lo
; %bb.51:                               ;   in Loop: Header=BB183_38 Depth=1
	s_or_b32 exec_lo, exec_lo, s0
	v_and_b32_e32 v4, 0x7f800000, v9
	s_mov_b32 s0, exec_lo
                                        ; implicit-def: $vgpr39
	s_delay_alu instid0(VALU_DEP_1)
	v_cmpx_ne_u32_e32 0x7f800000, v4
	s_xor_b32 s0, exec_lo, s0
; %bb.52:                               ;   in Loop: Header=BB183_38 Depth=1
	v_bfe_u32 v4, v9, 16, 1
	s_delay_alu instid0(VALU_DEP_1)
	v_add3_u32 v39, v9, v4, 0x7fff
                                        ; implicit-def: $vgpr6_vgpr7_vgpr8_vgpr9
; %bb.53:                               ;   in Loop: Header=BB183_38 Depth=1
	s_and_not1_saveexec_b32 s0, s0
; %bb.54:                               ;   in Loop: Header=BB183_38 Depth=1
	v_and_b32_e32 v4, 0xffff, v9
	v_or_b32_e32 v5, 0x10000, v9
	s_delay_alu instid0(VALU_DEP_2) | instskip(NEXT) | instid1(VALU_DEP_2)
	v_cmp_eq_u32_e32 vcc_lo, 0, v4
	v_cndmask_b32_e32 v39, v5, v9, vcc_lo
; %bb.55:                               ;   in Loop: Header=BB183_38 Depth=1
	s_or_b32 exec_lo, exec_lo, s0
	s_waitcnt lgkmcnt(0)
	v_and_b32_e32 v4, 0x7f800000, v0
	s_mov_b32 s0, exec_lo
                                        ; implicit-def: $vgpr21
	s_delay_alu instid0(VALU_DEP_1)
	v_cmpx_ne_u32_e32 0x7f800000, v4
	s_xor_b32 s0, exec_lo, s0
; %bb.56:                               ;   in Loop: Header=BB183_38 Depth=1
	v_bfe_u32 v4, v0, 16, 1
	s_delay_alu instid0(VALU_DEP_1)
	v_add3_u32 v21, v0, v4, 0x7fff
; %bb.57:                               ;   in Loop: Header=BB183_38 Depth=1
	s_and_not1_saveexec_b32 s0, s0
; %bb.58:                               ;   in Loop: Header=BB183_38 Depth=1
	v_and_b32_e32 v4, 0xffff, v0
	v_or_b32_e32 v5, 0x10000, v0
	s_delay_alu instid0(VALU_DEP_2) | instskip(NEXT) | instid1(VALU_DEP_2)
	v_cmp_eq_u32_e32 vcc_lo, 0, v4
	v_cndmask_b32_e32 v21, v5, v0, vcc_lo
; %bb.59:                               ;   in Loop: Header=BB183_38 Depth=1
	s_or_b32 exec_lo, exec_lo, s0
	v_and_b32_e32 v0, 0x7f800000, v1
	s_mov_b32 s0, exec_lo
                                        ; implicit-def: $vgpr12
	s_delay_alu instid0(VALU_DEP_1)
	v_cmpx_ne_u32_e32 0x7f800000, v0
	s_xor_b32 s0, exec_lo, s0
; %bb.60:                               ;   in Loop: Header=BB183_38 Depth=1
	v_bfe_u32 v0, v1, 16, 1
	s_delay_alu instid0(VALU_DEP_1)
	v_add3_u32 v12, v1, v0, 0x7fff
; %bb.61:                               ;   in Loop: Header=BB183_38 Depth=1
	s_and_not1_saveexec_b32 s0, s0
; %bb.62:                               ;   in Loop: Header=BB183_38 Depth=1
	v_and_b32_e32 v0, 0xffff, v1
	v_or_b32_e32 v4, 0x10000, v1
	s_delay_alu instid0(VALU_DEP_2) | instskip(NEXT) | instid1(VALU_DEP_2)
	v_cmp_eq_u32_e32 vcc_lo, 0, v0
	v_cndmask_b32_e32 v12, v4, v1, vcc_lo
; %bb.63:                               ;   in Loop: Header=BB183_38 Depth=1
	s_or_b32 exec_lo, exec_lo, s0
	v_and_b32_e32 v0, 0x7f800000, v2
	s_mov_b32 s0, exec_lo
                                        ; implicit-def: $vgpr5
	s_delay_alu instid0(VALU_DEP_1)
	v_cmpx_ne_u32_e32 0x7f800000, v0
	s_xor_b32 s0, exec_lo, s0
; %bb.64:                               ;   in Loop: Header=BB183_38 Depth=1
	v_bfe_u32 v0, v2, 16, 1
	s_delay_alu instid0(VALU_DEP_1)
	v_add3_u32 v5, v2, v0, 0x7fff
; %bb.65:                               ;   in Loop: Header=BB183_38 Depth=1
	s_and_not1_saveexec_b32 s0, s0
; %bb.66:                               ;   in Loop: Header=BB183_38 Depth=1
	v_and_b32_e32 v0, 0xffff, v2
	v_or_b32_e32 v1, 0x10000, v2
	s_delay_alu instid0(VALU_DEP_2) | instskip(NEXT) | instid1(VALU_DEP_2)
	v_cmp_eq_u32_e32 vcc_lo, 0, v0
	v_cndmask_b32_e32 v5, v1, v2, vcc_lo
; %bb.67:                               ;   in Loop: Header=BB183_38 Depth=1
	s_or_b32 exec_lo, exec_lo, s0
	v_and_b32_e32 v0, 0x7f800000, v3
	s_mov_b32 s0, exec_lo
                                        ; implicit-def: $vgpr4
	s_delay_alu instid0(VALU_DEP_1)
	v_cmpx_ne_u32_e32 0x7f800000, v0
	s_xor_b32 s0, exec_lo, s0
; %bb.68:                               ;   in Loop: Header=BB183_38 Depth=1
	v_bfe_u32 v0, v3, 16, 1
	s_delay_alu instid0(VALU_DEP_1)
	v_add3_u32 v4, v3, v0, 0x7fff
                                        ; implicit-def: $vgpr0_vgpr1_vgpr2_vgpr3
; %bb.69:                               ;   in Loop: Header=BB183_38 Depth=1
	s_and_not1_saveexec_b32 s0, s0
; %bb.70:                               ;   in Loop: Header=BB183_38 Depth=1
	v_and_b32_e32 v0, 0xffff, v3
	v_or_b32_e32 v1, 0x10000, v3
	s_delay_alu instid0(VALU_DEP_2) | instskip(NEXT) | instid1(VALU_DEP_2)
	v_cmp_eq_u32_e32 vcc_lo, 0, v0
	v_cndmask_b32_e32 v4, v1, v3, vcc_lo
; %bb.71:                               ;   in Loop: Header=BB183_38 Depth=1
	s_or_b32 exec_lo, exec_lo, s0
	s_waitcnt vmcnt(0)
	v_mad_i64_i32 v[0:1], null, v69, v22, 0
	v_add_nc_u32_e32 v85, v24, v98
	s_delay_alu instid0(VALU_DEP_1) | instskip(NEXT) | instid1(VALU_DEP_3)
	v_add_nc_u32_e32 v114, 1, v85
	v_lshlrev_b64 v[0:1], 1, v[0:1]
	v_add_nc_u32_e32 v113, 2, v85
	v_add_nc_u32_e32 v103, 3, v85
	;; [unrolled: 1-line block ×5, first 2 shown]
	v_add_co_u32 v115, vcc_lo, v49, v0
	v_add_co_ci_u32_e32 v116, vcc_lo, v50, v1, vcc_lo
	v_add_nc_u32_e32 v112, 7, v85
	s_delay_alu instid0(VALU_DEP_3) | instskip(NEXT) | instid1(VALU_DEP_3)
	v_add_co_u32 v6, vcc_lo, v115, v51
	v_add_co_ci_u32_e32 v7, vcc_lo, 0, v116, vcc_lo
	v_cmp_eq_u32_e32 vcc_lo, v48, v23
	flat_load_b128 v[0:3], v[6:7]
	s_waitcnt vmcnt(0) lgkmcnt(0)
	v_lshrrev_b32_e32 v9, 16, v0
	v_lshrrev_b32_e32 v70, 16, v1
	;; [unrolled: 1-line block ×4, first 2 shown]
	s_and_saveexec_b32 s10, vcc_lo
	s_cbranch_execz .LBB183_73
; %bb.72:                               ;   in Loop: Header=BB183_38 Depth=1
	v_cmp_lt_i32_e64 s0, v85, v86
	s_delay_alu instid0(VALU_DEP_1) | instskip(SKIP_1) | instid1(VALU_DEP_1)
	v_cndmask_b32_e64 v0, 0, v0, s0
	v_cmp_lt_i32_e64 s0, v114, v86
	v_cndmask_b32_e64 v9, 0, v9, s0
	v_cmp_lt_i32_e64 s0, v113, v86
	s_delay_alu instid0(VALU_DEP_1) | instskip(SKIP_1) | instid1(VALU_DEP_1)
	v_cndmask_b32_e64 v1, 0, v1, s0
	v_cmp_lt_i32_e64 s0, v103, v86
	v_cndmask_b32_e64 v70, 0, v70, s0
	;; [unrolled: 5-line block ×4, first 2 shown]
.LBB183_73:                             ;   in Loop: Header=BB183_38 Depth=1
	s_or_b32 exec_lo, exec_lo, s10
	v_and_b32_e32 v118, 0xffff0000, v68
	v_lshlrev_b32_e32 v0, 16, v0
	s_delay_alu instid0(VALU_DEP_1) | instskip(NEXT) | instid1(VALU_DEP_1)
	v_mul_f32_e32 v0, v118, v0
	v_and_b32_e32 v8, 0x7f800000, v0
	s_delay_alu instid0(VALU_DEP_1) | instskip(NEXT) | instid1(VALU_DEP_1)
	v_cmp_ne_u32_e64 s0, 0x7f800000, v8
                                        ; implicit-def: $vgpr8
	s_and_saveexec_b32 s10, s0
	s_delay_alu instid0(SALU_CYCLE_1)
	s_xor_b32 s0, exec_lo, s10
; %bb.74:                               ;   in Loop: Header=BB183_38 Depth=1
	v_bfe_u32 v8, v0, 16, 1
	s_delay_alu instid0(VALU_DEP_1)
	v_add3_u32 v8, v0, v8, 0x7fff
                                        ; implicit-def: $vgpr0
; %bb.75:                               ;   in Loop: Header=BB183_38 Depth=1
	s_and_not1_saveexec_b32 s10, s0
; %bb.76:                               ;   in Loop: Header=BB183_38 Depth=1
	v_and_b32_e32 v8, 0xffff, v0
	v_or_b32_e32 v25, 0x10000, v0
	s_delay_alu instid0(VALU_DEP_2) | instskip(NEXT) | instid1(VALU_DEP_1)
	v_cmp_eq_u32_e64 s0, 0, v8
	v_cndmask_b32_e64 v8, v25, v0, s0
; %bb.77:                               ;   in Loop: Header=BB183_38 Depth=1
	s_or_b32 exec_lo, exec_lo, s10
	v_and_b32_e32 v119, 0xffff0000, v67
	v_lshlrev_b32_e32 v0, 16, v9
	s_delay_alu instid0(VALU_DEP_1) | instskip(NEXT) | instid1(VALU_DEP_1)
	v_mul_f32_e32 v0, v119, v0
	v_and_b32_e32 v9, 0x7f800000, v0
	s_delay_alu instid0(VALU_DEP_1) | instskip(NEXT) | instid1(VALU_DEP_1)
	v_cmp_ne_u32_e64 s0, 0x7f800000, v9
                                        ; implicit-def: $vgpr9
	s_and_saveexec_b32 s10, s0
	s_delay_alu instid0(SALU_CYCLE_1)
	s_xor_b32 s0, exec_lo, s10
; %bb.78:                               ;   in Loop: Header=BB183_38 Depth=1
	v_bfe_u32 v9, v0, 16, 1
	s_delay_alu instid0(VALU_DEP_1)
	v_add3_u32 v9, v0, v9, 0x7fff
                                        ; implicit-def: $vgpr0
; %bb.79:                               ;   in Loop: Header=BB183_38 Depth=1
	s_and_not1_saveexec_b32 s10, s0
; %bb.80:                               ;   in Loop: Header=BB183_38 Depth=1
	v_and_b32_e32 v9, 0xffff, v0
	v_or_b32_e32 v25, 0x10000, v0
	s_delay_alu instid0(VALU_DEP_2) | instskip(NEXT) | instid1(VALU_DEP_1)
	v_cmp_eq_u32_e64 s0, 0, v9
	v_cndmask_b32_e64 v9, v25, v0, s0
; %bb.81:                               ;   in Loop: Header=BB183_38 Depth=1
	s_or_b32 exec_lo, exec_lo, s10
	v_and_b32_e32 v128, 0xffff0000, v66
	v_lshlrev_b32_e32 v0, 16, v1
                                        ; implicit-def: $vgpr66
	s_delay_alu instid0(VALU_DEP_1) | instskip(NEXT) | instid1(VALU_DEP_1)
	v_mul_f32_e32 v0, v128, v0
	v_and_b32_e32 v1, 0x7f800000, v0
	s_delay_alu instid0(VALU_DEP_1) | instskip(NEXT) | instid1(VALU_DEP_1)
	v_cmp_ne_u32_e64 s0, 0x7f800000, v1
	s_and_saveexec_b32 s10, s0
	s_delay_alu instid0(SALU_CYCLE_1)
	s_xor_b32 s0, exec_lo, s10
; %bb.82:                               ;   in Loop: Header=BB183_38 Depth=1
	v_bfe_u32 v1, v0, 16, 1
	s_delay_alu instid0(VALU_DEP_1)
	v_add3_u32 v66, v0, v1, 0x7fff
                                        ; implicit-def: $vgpr0
; %bb.83:                               ;   in Loop: Header=BB183_38 Depth=1
	s_and_not1_saveexec_b32 s10, s0
; %bb.84:                               ;   in Loop: Header=BB183_38 Depth=1
	v_and_b32_e32 v1, 0xffff, v0
	v_or_b32_e32 v25, 0x10000, v0
	s_delay_alu instid0(VALU_DEP_2) | instskip(NEXT) | instid1(VALU_DEP_1)
	v_cmp_eq_u32_e64 s0, 0, v1
	v_cndmask_b32_e64 v66, v25, v0, s0
; %bb.85:                               ;   in Loop: Header=BB183_38 Depth=1
	s_or_b32 exec_lo, exec_lo, s10
	v_and_b32_e32 v129, 0xffff0000, v39
	v_lshlrev_b32_e32 v0, 16, v70
                                        ; implicit-def: $vgpr67
	s_delay_alu instid0(VALU_DEP_1) | instskip(NEXT) | instid1(VALU_DEP_1)
	v_mul_f32_e32 v0, v129, v0
	v_and_b32_e32 v1, 0x7f800000, v0
	s_delay_alu instid0(VALU_DEP_1) | instskip(NEXT) | instid1(VALU_DEP_1)
	v_cmp_ne_u32_e64 s0, 0x7f800000, v1
	s_and_saveexec_b32 s10, s0
	s_delay_alu instid0(SALU_CYCLE_1)
	s_xor_b32 s0, exec_lo, s10
; %bb.86:                               ;   in Loop: Header=BB183_38 Depth=1
	v_bfe_u32 v1, v0, 16, 1
	s_delay_alu instid0(VALU_DEP_1)
	v_add3_u32 v67, v0, v1, 0x7fff
                                        ; implicit-def: $vgpr0
; %bb.87:                               ;   in Loop: Header=BB183_38 Depth=1
	s_and_not1_saveexec_b32 s10, s0
; %bb.88:                               ;   in Loop: Header=BB183_38 Depth=1
	v_and_b32_e32 v1, 0xffff, v0
	v_or_b32_e32 v25, 0x10000, v0
	s_delay_alu instid0(VALU_DEP_2) | instskip(NEXT) | instid1(VALU_DEP_1)
	v_cmp_eq_u32_e64 s0, 0, v1
	v_cndmask_b32_e64 v67, v25, v0, s0
; %bb.89:                               ;   in Loop: Header=BB183_38 Depth=1
	s_or_b32 exec_lo, exec_lo, s10
	v_and_b32_e32 v130, 0xffff0000, v21
	v_lshlrev_b32_e32 v0, 16, v2
                                        ; implicit-def: $vgpr68
	s_delay_alu instid0(VALU_DEP_1) | instskip(NEXT) | instid1(VALU_DEP_1)
	v_mul_f32_e32 v0, v130, v0
	v_and_b32_e32 v1, 0x7f800000, v0
	s_delay_alu instid0(VALU_DEP_1) | instskip(NEXT) | instid1(VALU_DEP_1)
	v_cmp_ne_u32_e64 s0, 0x7f800000, v1
	s_and_saveexec_b32 s10, s0
	s_delay_alu instid0(SALU_CYCLE_1)
	s_xor_b32 s0, exec_lo, s10
; %bb.90:                               ;   in Loop: Header=BB183_38 Depth=1
	v_bfe_u32 v1, v0, 16, 1
	s_delay_alu instid0(VALU_DEP_1)
	v_add3_u32 v68, v0, v1, 0x7fff
                                        ; implicit-def: $vgpr0
; %bb.91:                               ;   in Loop: Header=BB183_38 Depth=1
	s_and_not1_saveexec_b32 s10, s0
; %bb.92:                               ;   in Loop: Header=BB183_38 Depth=1
	v_and_b32_e32 v1, 0xffff, v0
	v_or_b32_e32 v2, 0x10000, v0
	s_delay_alu instid0(VALU_DEP_2) | instskip(NEXT) | instid1(VALU_DEP_1)
	v_cmp_eq_u32_e64 s0, 0, v1
	v_cndmask_b32_e64 v68, v2, v0, s0
; %bb.93:                               ;   in Loop: Header=BB183_38 Depth=1
	s_or_b32 exec_lo, exec_lo, s10
	v_and_b32_e32 v131, 0xffff0000, v12
	v_lshlrev_b32_e32 v0, 16, v69
                                        ; implicit-def: $vgpr69
	s_delay_alu instid0(VALU_DEP_1) | instskip(NEXT) | instid1(VALU_DEP_1)
	v_mul_f32_e32 v0, v131, v0
	v_and_b32_e32 v1, 0x7f800000, v0
	s_delay_alu instid0(VALU_DEP_1) | instskip(NEXT) | instid1(VALU_DEP_1)
	v_cmp_ne_u32_e64 s0, 0x7f800000, v1
	s_and_saveexec_b32 s10, s0
	s_delay_alu instid0(SALU_CYCLE_1)
	s_xor_b32 s0, exec_lo, s10
; %bb.94:                               ;   in Loop: Header=BB183_38 Depth=1
	v_bfe_u32 v1, v0, 16, 1
	s_delay_alu instid0(VALU_DEP_1)
	v_add3_u32 v69, v0, v1, 0x7fff
                                        ; implicit-def: $vgpr0
; %bb.95:                               ;   in Loop: Header=BB183_38 Depth=1
	s_and_not1_saveexec_b32 s10, s0
; %bb.96:                               ;   in Loop: Header=BB183_38 Depth=1
	v_and_b32_e32 v1, 0xffff, v0
	v_or_b32_e32 v2, 0x10000, v0
	s_delay_alu instid0(VALU_DEP_2) | instskip(NEXT) | instid1(VALU_DEP_1)
	v_cmp_eq_u32_e64 s0, 0, v1
	v_cndmask_b32_e64 v69, v2, v0, s0
; %bb.97:                               ;   in Loop: Header=BB183_38 Depth=1
	s_or_b32 exec_lo, exec_lo, s10
	v_and_b32_e32 v132, 0xffff0000, v5
	v_lshlrev_b32_e32 v0, 16, v3
                                        ; implicit-def: $vgpr70
	s_delay_alu instid0(VALU_DEP_1) | instskip(NEXT) | instid1(VALU_DEP_1)
	v_mul_f32_e32 v0, v132, v0
	v_and_b32_e32 v1, 0x7f800000, v0
	s_delay_alu instid0(VALU_DEP_1) | instskip(NEXT) | instid1(VALU_DEP_1)
	v_cmp_ne_u32_e64 s0, 0x7f800000, v1
	s_and_saveexec_b32 s10, s0
	s_delay_alu instid0(SALU_CYCLE_1)
	s_xor_b32 s0, exec_lo, s10
; %bb.98:                               ;   in Loop: Header=BB183_38 Depth=1
	v_bfe_u32 v1, v0, 16, 1
	s_delay_alu instid0(VALU_DEP_1)
	v_add3_u32 v70, v0, v1, 0x7fff
                                        ; implicit-def: $vgpr0
; %bb.99:                               ;   in Loop: Header=BB183_38 Depth=1
	s_and_not1_saveexec_b32 s10, s0
; %bb.100:                              ;   in Loop: Header=BB183_38 Depth=1
	v_and_b32_e32 v1, 0xffff, v0
	v_or_b32_e32 v2, 0x10000, v0
	s_delay_alu instid0(VALU_DEP_2) | instskip(NEXT) | instid1(VALU_DEP_1)
	v_cmp_eq_u32_e64 s0, 0, v1
	v_cndmask_b32_e64 v70, v2, v0, s0
; %bb.101:                              ;   in Loop: Header=BB183_38 Depth=1
	s_or_b32 exec_lo, exec_lo, s10
	v_and_b32_e32 v133, 0xffff0000, v4
	v_lshlrev_b32_e32 v0, 16, v71
                                        ; implicit-def: $vgpr71
	s_delay_alu instid0(VALU_DEP_1) | instskip(NEXT) | instid1(VALU_DEP_1)
	v_mul_f32_e32 v0, v133, v0
	v_and_b32_e32 v1, 0x7f800000, v0
	s_delay_alu instid0(VALU_DEP_1) | instskip(NEXT) | instid1(VALU_DEP_1)
	v_cmp_ne_u32_e64 s0, 0x7f800000, v1
	s_and_saveexec_b32 s10, s0
	s_delay_alu instid0(SALU_CYCLE_1)
	s_xor_b32 s0, exec_lo, s10
; %bb.102:                              ;   in Loop: Header=BB183_38 Depth=1
	v_bfe_u32 v1, v0, 16, 1
	s_delay_alu instid0(VALU_DEP_1)
	v_add3_u32 v71, v0, v1, 0x7fff
                                        ; implicit-def: $vgpr0
; %bb.103:                              ;   in Loop: Header=BB183_38 Depth=1
	s_and_not1_saveexec_b32 s10, s0
; %bb.104:                              ;   in Loop: Header=BB183_38 Depth=1
	v_and_b32_e32 v1, 0xffff, v0
	v_or_b32_e32 v2, 0x10000, v0
	s_delay_alu instid0(VALU_DEP_2) | instskip(NEXT) | instid1(VALU_DEP_1)
	v_cmp_eq_u32_e64 s0, 0, v1
	v_cndmask_b32_e64 v71, v2, v0, s0
; %bb.105:                              ;   in Loop: Header=BB183_38 Depth=1
	s_or_b32 exec_lo, exec_lo, s10
	flat_load_b128 v[0:3], v[6:7] offset:512
	s_waitcnt vmcnt(0) lgkmcnt(0)
	v_lshrrev_b32_e32 v21, 16, v0
	v_lshrrev_b32_e32 v12, 16, v1
	;; [unrolled: 1-line block ×4, first 2 shown]
	s_and_saveexec_b32 s10, vcc_lo
	s_cbranch_execz .LBB183_107
; %bb.106:                              ;   in Loop: Header=BB183_38 Depth=1
	v_cmp_lt_i32_e64 s0, v85, v86
	s_delay_alu instid0(VALU_DEP_1) | instskip(SKIP_1) | instid1(VALU_DEP_1)
	v_cndmask_b32_e64 v0, 0, v0, s0
	v_cmp_lt_i32_e64 s0, v114, v86
	v_cndmask_b32_e64 v21, 0, v21, s0
	v_cmp_lt_i32_e64 s0, v113, v86
	s_delay_alu instid0(VALU_DEP_1) | instskip(SKIP_1) | instid1(VALU_DEP_1)
	v_cndmask_b32_e64 v1, 0, v1, s0
	v_cmp_lt_i32_e64 s0, v103, v86
	v_cndmask_b32_e64 v12, 0, v12, s0
	;; [unrolled: 5-line block ×4, first 2 shown]
.LBB183_107:                            ;   in Loop: Header=BB183_38 Depth=1
	s_or_b32 exec_lo, exec_lo, s10
	v_lshlrev_b32_e32 v0, 16, v0
                                        ; implicit-def: $vgpr80
	s_delay_alu instid0(VALU_DEP_1) | instskip(NEXT) | instid1(VALU_DEP_1)
	v_mul_f32_e32 v0, v118, v0
	v_and_b32_e32 v25, 0x7f800000, v0
	s_delay_alu instid0(VALU_DEP_1) | instskip(NEXT) | instid1(VALU_DEP_1)
	v_cmp_ne_u32_e64 s0, 0x7f800000, v25
	s_and_saveexec_b32 s10, s0
	s_delay_alu instid0(SALU_CYCLE_1)
	s_xor_b32 s0, exec_lo, s10
; %bb.108:                              ;   in Loop: Header=BB183_38 Depth=1
	v_bfe_u32 v25, v0, 16, 1
	s_delay_alu instid0(VALU_DEP_1)
	v_add3_u32 v80, v0, v25, 0x7fff
                                        ; implicit-def: $vgpr0
; %bb.109:                              ;   in Loop: Header=BB183_38 Depth=1
	s_and_not1_saveexec_b32 s10, s0
; %bb.110:                              ;   in Loop: Header=BB183_38 Depth=1
	v_and_b32_e32 v25, 0xffff, v0
	v_or_b32_e32 v39, 0x10000, v0
	s_delay_alu instid0(VALU_DEP_2) | instskip(NEXT) | instid1(VALU_DEP_1)
	v_cmp_eq_u32_e64 s0, 0, v25
	v_cndmask_b32_e64 v80, v39, v0, s0
; %bb.111:                              ;   in Loop: Header=BB183_38 Depth=1
	s_or_b32 exec_lo, exec_lo, s10
	v_lshlrev_b32_e32 v0, 16, v21
                                        ; implicit-def: $vgpr81
	s_delay_alu instid0(VALU_DEP_1) | instskip(NEXT) | instid1(VALU_DEP_1)
	v_mul_f32_e32 v0, v119, v0
	v_and_b32_e32 v21, 0x7f800000, v0
	s_delay_alu instid0(VALU_DEP_1) | instskip(NEXT) | instid1(VALU_DEP_1)
	v_cmp_ne_u32_e64 s0, 0x7f800000, v21
	s_and_saveexec_b32 s10, s0
	s_delay_alu instid0(SALU_CYCLE_1)
	s_xor_b32 s0, exec_lo, s10
; %bb.112:                              ;   in Loop: Header=BB183_38 Depth=1
	v_bfe_u32 v21, v0, 16, 1
	s_delay_alu instid0(VALU_DEP_1)
	v_add3_u32 v81, v0, v21, 0x7fff
                                        ; implicit-def: $vgpr0
; %bb.113:                              ;   in Loop: Header=BB183_38 Depth=1
	s_and_not1_saveexec_b32 s10, s0
; %bb.114:                              ;   in Loop: Header=BB183_38 Depth=1
	v_and_b32_e32 v21, 0xffff, v0
	v_or_b32_e32 v25, 0x10000, v0
	s_delay_alu instid0(VALU_DEP_2) | instskip(NEXT) | instid1(VALU_DEP_1)
	v_cmp_eq_u32_e64 s0, 0, v21
	v_cndmask_b32_e64 v81, v25, v0, s0
; %bb.115:                              ;   in Loop: Header=BB183_38 Depth=1
	s_or_b32 exec_lo, exec_lo, s10
	v_lshlrev_b32_e32 v0, 16, v1
                                        ; implicit-def: $vgpr82
	s_delay_alu instid0(VALU_DEP_1) | instskip(NEXT) | instid1(VALU_DEP_1)
	v_mul_f32_e32 v0, v128, v0
	v_and_b32_e32 v1, 0x7f800000, v0
	s_delay_alu instid0(VALU_DEP_1) | instskip(NEXT) | instid1(VALU_DEP_1)
	v_cmp_ne_u32_e64 s0, 0x7f800000, v1
	s_and_saveexec_b32 s10, s0
	s_delay_alu instid0(SALU_CYCLE_1)
	s_xor_b32 s0, exec_lo, s10
; %bb.116:                              ;   in Loop: Header=BB183_38 Depth=1
	v_bfe_u32 v1, v0, 16, 1
	s_delay_alu instid0(VALU_DEP_1)
	v_add3_u32 v82, v0, v1, 0x7fff
                                        ; implicit-def: $vgpr0
; %bb.117:                              ;   in Loop: Header=BB183_38 Depth=1
	s_and_not1_saveexec_b32 s10, s0
; %bb.118:                              ;   in Loop: Header=BB183_38 Depth=1
	v_and_b32_e32 v1, 0xffff, v0
	v_or_b32_e32 v21, 0x10000, v0
	s_delay_alu instid0(VALU_DEP_2) | instskip(NEXT) | instid1(VALU_DEP_1)
	v_cmp_eq_u32_e64 s0, 0, v1
	v_cndmask_b32_e64 v82, v21, v0, s0
; %bb.119:                              ;   in Loop: Header=BB183_38 Depth=1
	s_or_b32 exec_lo, exec_lo, s10
	v_lshlrev_b32_e32 v0, 16, v12
                                        ; implicit-def: $vgpr83
	s_delay_alu instid0(VALU_DEP_1) | instskip(NEXT) | instid1(VALU_DEP_1)
	v_mul_f32_e32 v0, v129, v0
	v_and_b32_e32 v1, 0x7f800000, v0
	s_delay_alu instid0(VALU_DEP_1) | instskip(NEXT) | instid1(VALU_DEP_1)
	v_cmp_ne_u32_e64 s0, 0x7f800000, v1
	s_and_saveexec_b32 s10, s0
	s_delay_alu instid0(SALU_CYCLE_1)
	s_xor_b32 s0, exec_lo, s10
; %bb.120:                              ;   in Loop: Header=BB183_38 Depth=1
	v_bfe_u32 v1, v0, 16, 1
	s_delay_alu instid0(VALU_DEP_1)
	v_add3_u32 v83, v0, v1, 0x7fff
                                        ; implicit-def: $vgpr0
; %bb.121:                              ;   in Loop: Header=BB183_38 Depth=1
	s_and_not1_saveexec_b32 s10, s0
; %bb.122:                              ;   in Loop: Header=BB183_38 Depth=1
	v_and_b32_e32 v1, 0xffff, v0
	v_or_b32_e32 v12, 0x10000, v0
	s_delay_alu instid0(VALU_DEP_2) | instskip(NEXT) | instid1(VALU_DEP_1)
	v_cmp_eq_u32_e64 s0, 0, v1
	v_cndmask_b32_e64 v83, v12, v0, s0
; %bb.123:                              ;   in Loop: Header=BB183_38 Depth=1
	s_or_b32 exec_lo, exec_lo, s10
	v_lshlrev_b32_e32 v0, 16, v2
                                        ; implicit-def: $vgpr84
	s_delay_alu instid0(VALU_DEP_1) | instskip(NEXT) | instid1(VALU_DEP_1)
	v_mul_f32_e32 v0, v130, v0
	v_and_b32_e32 v1, 0x7f800000, v0
	s_delay_alu instid0(VALU_DEP_1) | instskip(NEXT) | instid1(VALU_DEP_1)
	v_cmp_ne_u32_e64 s0, 0x7f800000, v1
	s_and_saveexec_b32 s10, s0
	s_delay_alu instid0(SALU_CYCLE_1)
	s_xor_b32 s0, exec_lo, s10
; %bb.124:                              ;   in Loop: Header=BB183_38 Depth=1
	v_bfe_u32 v1, v0, 16, 1
	s_delay_alu instid0(VALU_DEP_1)
	v_add3_u32 v84, v0, v1, 0x7fff
                                        ; implicit-def: $vgpr0
; %bb.125:                              ;   in Loop: Header=BB183_38 Depth=1
	s_and_not1_saveexec_b32 s10, s0
; %bb.126:                              ;   in Loop: Header=BB183_38 Depth=1
	v_and_b32_e32 v1, 0xffff, v0
	v_or_b32_e32 v2, 0x10000, v0
	s_delay_alu instid0(VALU_DEP_2) | instskip(NEXT) | instid1(VALU_DEP_1)
	v_cmp_eq_u32_e64 s0, 0, v1
	v_cndmask_b32_e64 v84, v2, v0, s0
; %bb.127:                              ;   in Loop: Header=BB183_38 Depth=1
	s_or_b32 exec_lo, exec_lo, s10
	v_lshlrev_b32_e32 v0, 16, v5
                                        ; implicit-def: $vgpr117
	s_delay_alu instid0(VALU_DEP_1) | instskip(NEXT) | instid1(VALU_DEP_1)
	v_mul_f32_e32 v0, v131, v0
	v_and_b32_e32 v1, 0x7f800000, v0
	s_delay_alu instid0(VALU_DEP_1) | instskip(NEXT) | instid1(VALU_DEP_1)
	v_cmp_ne_u32_e64 s0, 0x7f800000, v1
	s_and_saveexec_b32 s10, s0
	s_delay_alu instid0(SALU_CYCLE_1)
	s_xor_b32 s0, exec_lo, s10
; %bb.128:                              ;   in Loop: Header=BB183_38 Depth=1
	v_bfe_u32 v1, v0, 16, 1
	s_delay_alu instid0(VALU_DEP_1)
	v_add3_u32 v117, v0, v1, 0x7fff
                                        ; implicit-def: $vgpr0
; %bb.129:                              ;   in Loop: Header=BB183_38 Depth=1
	s_and_not1_saveexec_b32 s10, s0
; %bb.130:                              ;   in Loop: Header=BB183_38 Depth=1
	v_and_b32_e32 v1, 0xffff, v0
	v_or_b32_e32 v2, 0x10000, v0
	s_delay_alu instid0(VALU_DEP_2) | instskip(NEXT) | instid1(VALU_DEP_1)
	v_cmp_eq_u32_e64 s0, 0, v1
	v_cndmask_b32_e64 v117, v2, v0, s0
; %bb.131:                              ;   in Loop: Header=BB183_38 Depth=1
	s_or_b32 exec_lo, exec_lo, s10
	v_lshlrev_b32_e32 v0, 16, v3
                                        ; implicit-def: $vgpr134
	s_delay_alu instid0(VALU_DEP_1) | instskip(NEXT) | instid1(VALU_DEP_1)
	v_mul_f32_e32 v0, v132, v0
	v_and_b32_e32 v1, 0x7f800000, v0
	s_delay_alu instid0(VALU_DEP_1) | instskip(NEXT) | instid1(VALU_DEP_1)
	v_cmp_ne_u32_e64 s0, 0x7f800000, v1
	s_and_saveexec_b32 s10, s0
	s_delay_alu instid0(SALU_CYCLE_1)
	s_xor_b32 s0, exec_lo, s10
; %bb.132:                              ;   in Loop: Header=BB183_38 Depth=1
	v_bfe_u32 v1, v0, 16, 1
	s_delay_alu instid0(VALU_DEP_1)
	v_add3_u32 v134, v0, v1, 0x7fff
                                        ; implicit-def: $vgpr0
; %bb.133:                              ;   in Loop: Header=BB183_38 Depth=1
	s_and_not1_saveexec_b32 s10, s0
; %bb.134:                              ;   in Loop: Header=BB183_38 Depth=1
	v_and_b32_e32 v1, 0xffff, v0
	v_or_b32_e32 v2, 0x10000, v0
	s_delay_alu instid0(VALU_DEP_2) | instskip(NEXT) | instid1(VALU_DEP_1)
	v_cmp_eq_u32_e64 s0, 0, v1
	v_cndmask_b32_e64 v134, v2, v0, s0
; %bb.135:                              ;   in Loop: Header=BB183_38 Depth=1
	s_or_b32 exec_lo, exec_lo, s10
	v_lshlrev_b32_e32 v0, 16, v4
                                        ; implicit-def: $vgpr135
	s_delay_alu instid0(VALU_DEP_1) | instskip(NEXT) | instid1(VALU_DEP_1)
	v_mul_f32_e32 v0, v133, v0
	v_and_b32_e32 v1, 0x7f800000, v0
	s_delay_alu instid0(VALU_DEP_1) | instskip(NEXT) | instid1(VALU_DEP_1)
	v_cmp_ne_u32_e64 s0, 0x7f800000, v1
	s_and_saveexec_b32 s10, s0
	s_delay_alu instid0(SALU_CYCLE_1)
	s_xor_b32 s0, exec_lo, s10
; %bb.136:                              ;   in Loop: Header=BB183_38 Depth=1
	v_bfe_u32 v1, v0, 16, 1
	s_delay_alu instid0(VALU_DEP_1)
	v_add3_u32 v135, v0, v1, 0x7fff
                                        ; implicit-def: $vgpr0
; %bb.137:                              ;   in Loop: Header=BB183_38 Depth=1
	s_and_not1_saveexec_b32 s10, s0
; %bb.138:                              ;   in Loop: Header=BB183_38 Depth=1
	v_and_b32_e32 v1, 0xffff, v0
	v_or_b32_e32 v2, 0x10000, v0
	s_delay_alu instid0(VALU_DEP_2) | instskip(NEXT) | instid1(VALU_DEP_1)
	v_cmp_eq_u32_e64 s0, 0, v1
	v_cndmask_b32_e64 v135, v2, v0, s0
; %bb.139:                              ;   in Loop: Header=BB183_38 Depth=1
	s_or_b32 exec_lo, exec_lo, s10
	flat_load_b128 v[0:3], v[6:7] offset:1024
	s_waitcnt vmcnt(0) lgkmcnt(0)
	v_lshrrev_b32_e32 v21, 16, v0
	v_lshrrev_b32_e32 v12, 16, v1
	;; [unrolled: 1-line block ×4, first 2 shown]
	s_and_saveexec_b32 s10, vcc_lo
	s_cbranch_execz .LBB183_141
; %bb.140:                              ;   in Loop: Header=BB183_38 Depth=1
	v_cmp_lt_i32_e64 s0, v85, v86
	s_delay_alu instid0(VALU_DEP_1) | instskip(SKIP_1) | instid1(VALU_DEP_1)
	v_cndmask_b32_e64 v0, 0, v0, s0
	v_cmp_lt_i32_e64 s0, v114, v86
	v_cndmask_b32_e64 v21, 0, v21, s0
	v_cmp_lt_i32_e64 s0, v113, v86
	s_delay_alu instid0(VALU_DEP_1) | instskip(SKIP_1) | instid1(VALU_DEP_1)
	v_cndmask_b32_e64 v1, 0, v1, s0
	v_cmp_lt_i32_e64 s0, v103, v86
	v_cndmask_b32_e64 v12, 0, v12, s0
	;; [unrolled: 5-line block ×4, first 2 shown]
.LBB183_141:                            ;   in Loop: Header=BB183_38 Depth=1
	s_or_b32 exec_lo, exec_lo, s10
	v_lshlrev_b32_e32 v0, 16, v0
                                        ; implicit-def: $vgpr144
	s_delay_alu instid0(VALU_DEP_1) | instskip(NEXT) | instid1(VALU_DEP_1)
	v_mul_f32_e32 v0, v118, v0
	v_and_b32_e32 v25, 0x7f800000, v0
	s_delay_alu instid0(VALU_DEP_1) | instskip(NEXT) | instid1(VALU_DEP_1)
	v_cmp_ne_u32_e64 s0, 0x7f800000, v25
	s_and_saveexec_b32 s10, s0
	s_delay_alu instid0(SALU_CYCLE_1)
	s_xor_b32 s0, exec_lo, s10
; %bb.142:                              ;   in Loop: Header=BB183_38 Depth=1
	v_bfe_u32 v25, v0, 16, 1
	s_delay_alu instid0(VALU_DEP_1)
	v_add3_u32 v144, v0, v25, 0x7fff
                                        ; implicit-def: $vgpr0
; %bb.143:                              ;   in Loop: Header=BB183_38 Depth=1
	s_and_not1_saveexec_b32 s10, s0
; %bb.144:                              ;   in Loop: Header=BB183_38 Depth=1
	v_and_b32_e32 v25, 0xffff, v0
	v_or_b32_e32 v39, 0x10000, v0
	s_delay_alu instid0(VALU_DEP_2) | instskip(NEXT) | instid1(VALU_DEP_1)
	v_cmp_eq_u32_e64 s0, 0, v25
	v_cndmask_b32_e64 v144, v39, v0, s0
; %bb.145:                              ;   in Loop: Header=BB183_38 Depth=1
	s_or_b32 exec_lo, exec_lo, s10
	v_lshlrev_b32_e32 v0, 16, v21
                                        ; implicit-def: $vgpr145
	s_delay_alu instid0(VALU_DEP_1) | instskip(NEXT) | instid1(VALU_DEP_1)
	v_mul_f32_e32 v0, v119, v0
	v_and_b32_e32 v21, 0x7f800000, v0
	s_delay_alu instid0(VALU_DEP_1) | instskip(NEXT) | instid1(VALU_DEP_1)
	v_cmp_ne_u32_e64 s0, 0x7f800000, v21
	s_and_saveexec_b32 s10, s0
	s_delay_alu instid0(SALU_CYCLE_1)
	s_xor_b32 s0, exec_lo, s10
; %bb.146:                              ;   in Loop: Header=BB183_38 Depth=1
	v_bfe_u32 v21, v0, 16, 1
	s_delay_alu instid0(VALU_DEP_1)
	v_add3_u32 v145, v0, v21, 0x7fff
                                        ; implicit-def: $vgpr0
; %bb.147:                              ;   in Loop: Header=BB183_38 Depth=1
	s_and_not1_saveexec_b32 s10, s0
; %bb.148:                              ;   in Loop: Header=BB183_38 Depth=1
	v_and_b32_e32 v21, 0xffff, v0
	v_or_b32_e32 v25, 0x10000, v0
	s_delay_alu instid0(VALU_DEP_2) | instskip(NEXT) | instid1(VALU_DEP_1)
	v_cmp_eq_u32_e64 s0, 0, v21
	v_cndmask_b32_e64 v145, v25, v0, s0
; %bb.149:                              ;   in Loop: Header=BB183_38 Depth=1
	s_or_b32 exec_lo, exec_lo, s10
	v_lshlrev_b32_e32 v0, 16, v1
                                        ; implicit-def: $vgpr146
	s_delay_alu instid0(VALU_DEP_1) | instskip(NEXT) | instid1(VALU_DEP_1)
	v_mul_f32_e32 v0, v128, v0
	v_and_b32_e32 v1, 0x7f800000, v0
	s_delay_alu instid0(VALU_DEP_1) | instskip(NEXT) | instid1(VALU_DEP_1)
	v_cmp_ne_u32_e64 s0, 0x7f800000, v1
	s_and_saveexec_b32 s10, s0
	s_delay_alu instid0(SALU_CYCLE_1)
	s_xor_b32 s0, exec_lo, s10
; %bb.150:                              ;   in Loop: Header=BB183_38 Depth=1
	v_bfe_u32 v1, v0, 16, 1
	s_delay_alu instid0(VALU_DEP_1)
	v_add3_u32 v146, v0, v1, 0x7fff
                                        ; implicit-def: $vgpr0
; %bb.151:                              ;   in Loop: Header=BB183_38 Depth=1
	s_and_not1_saveexec_b32 s10, s0
; %bb.152:                              ;   in Loop: Header=BB183_38 Depth=1
	v_and_b32_e32 v1, 0xffff, v0
	v_or_b32_e32 v21, 0x10000, v0
	s_delay_alu instid0(VALU_DEP_2) | instskip(NEXT) | instid1(VALU_DEP_1)
	v_cmp_eq_u32_e64 s0, 0, v1
	v_cndmask_b32_e64 v146, v21, v0, s0
; %bb.153:                              ;   in Loop: Header=BB183_38 Depth=1
	s_or_b32 exec_lo, exec_lo, s10
	v_lshlrev_b32_e32 v0, 16, v12
                                        ; implicit-def: $vgpr147
	s_delay_alu instid0(VALU_DEP_1) | instskip(NEXT) | instid1(VALU_DEP_1)
	v_mul_f32_e32 v0, v129, v0
	v_and_b32_e32 v1, 0x7f800000, v0
	s_delay_alu instid0(VALU_DEP_1) | instskip(NEXT) | instid1(VALU_DEP_1)
	v_cmp_ne_u32_e64 s0, 0x7f800000, v1
	s_and_saveexec_b32 s10, s0
	s_delay_alu instid0(SALU_CYCLE_1)
	s_xor_b32 s0, exec_lo, s10
; %bb.154:                              ;   in Loop: Header=BB183_38 Depth=1
	v_bfe_u32 v1, v0, 16, 1
	s_delay_alu instid0(VALU_DEP_1)
	v_add3_u32 v147, v0, v1, 0x7fff
                                        ; implicit-def: $vgpr0
; %bb.155:                              ;   in Loop: Header=BB183_38 Depth=1
	s_and_not1_saveexec_b32 s10, s0
; %bb.156:                              ;   in Loop: Header=BB183_38 Depth=1
	v_and_b32_e32 v1, 0xffff, v0
	v_or_b32_e32 v12, 0x10000, v0
	s_delay_alu instid0(VALU_DEP_2) | instskip(NEXT) | instid1(VALU_DEP_1)
	v_cmp_eq_u32_e64 s0, 0, v1
	v_cndmask_b32_e64 v147, v12, v0, s0
; %bb.157:                              ;   in Loop: Header=BB183_38 Depth=1
	s_or_b32 exec_lo, exec_lo, s10
	v_lshlrev_b32_e32 v0, 16, v2
                                        ; implicit-def: $vgpr148
	s_delay_alu instid0(VALU_DEP_1) | instskip(NEXT) | instid1(VALU_DEP_1)
	v_mul_f32_e32 v0, v130, v0
	v_and_b32_e32 v1, 0x7f800000, v0
	s_delay_alu instid0(VALU_DEP_1) | instskip(NEXT) | instid1(VALU_DEP_1)
	v_cmp_ne_u32_e64 s0, 0x7f800000, v1
	s_and_saveexec_b32 s10, s0
	s_delay_alu instid0(SALU_CYCLE_1)
	s_xor_b32 s0, exec_lo, s10
; %bb.158:                              ;   in Loop: Header=BB183_38 Depth=1
	v_bfe_u32 v1, v0, 16, 1
	s_delay_alu instid0(VALU_DEP_1)
	v_add3_u32 v148, v0, v1, 0x7fff
                                        ; implicit-def: $vgpr0
; %bb.159:                              ;   in Loop: Header=BB183_38 Depth=1
	s_and_not1_saveexec_b32 s10, s0
; %bb.160:                              ;   in Loop: Header=BB183_38 Depth=1
	v_and_b32_e32 v1, 0xffff, v0
	v_or_b32_e32 v2, 0x10000, v0
	s_delay_alu instid0(VALU_DEP_2) | instskip(NEXT) | instid1(VALU_DEP_1)
	v_cmp_eq_u32_e64 s0, 0, v1
	v_cndmask_b32_e64 v148, v2, v0, s0
; %bb.161:                              ;   in Loop: Header=BB183_38 Depth=1
	s_or_b32 exec_lo, exec_lo, s10
	v_lshlrev_b32_e32 v0, 16, v5
                                        ; implicit-def: $vgpr149
	s_delay_alu instid0(VALU_DEP_1) | instskip(NEXT) | instid1(VALU_DEP_1)
	v_mul_f32_e32 v0, v131, v0
	v_and_b32_e32 v1, 0x7f800000, v0
	s_delay_alu instid0(VALU_DEP_1) | instskip(NEXT) | instid1(VALU_DEP_1)
	v_cmp_ne_u32_e64 s0, 0x7f800000, v1
	s_and_saveexec_b32 s10, s0
	s_delay_alu instid0(SALU_CYCLE_1)
	s_xor_b32 s0, exec_lo, s10
; %bb.162:                              ;   in Loop: Header=BB183_38 Depth=1
	v_bfe_u32 v1, v0, 16, 1
	s_delay_alu instid0(VALU_DEP_1)
	v_add3_u32 v149, v0, v1, 0x7fff
                                        ; implicit-def: $vgpr0
; %bb.163:                              ;   in Loop: Header=BB183_38 Depth=1
	s_and_not1_saveexec_b32 s10, s0
; %bb.164:                              ;   in Loop: Header=BB183_38 Depth=1
	v_and_b32_e32 v1, 0xffff, v0
	v_or_b32_e32 v2, 0x10000, v0
	s_delay_alu instid0(VALU_DEP_2) | instskip(NEXT) | instid1(VALU_DEP_1)
	v_cmp_eq_u32_e64 s0, 0, v1
	v_cndmask_b32_e64 v149, v2, v0, s0
; %bb.165:                              ;   in Loop: Header=BB183_38 Depth=1
	s_or_b32 exec_lo, exec_lo, s10
	v_lshlrev_b32_e32 v0, 16, v3
                                        ; implicit-def: $vgpr150
	s_delay_alu instid0(VALU_DEP_1) | instskip(NEXT) | instid1(VALU_DEP_1)
	v_mul_f32_e32 v0, v132, v0
	v_and_b32_e32 v1, 0x7f800000, v0
	s_delay_alu instid0(VALU_DEP_1) | instskip(NEXT) | instid1(VALU_DEP_1)
	v_cmp_ne_u32_e64 s0, 0x7f800000, v1
	s_and_saveexec_b32 s10, s0
	s_delay_alu instid0(SALU_CYCLE_1)
	s_xor_b32 s0, exec_lo, s10
; %bb.166:                              ;   in Loop: Header=BB183_38 Depth=1
	v_bfe_u32 v1, v0, 16, 1
	s_delay_alu instid0(VALU_DEP_1)
	v_add3_u32 v150, v0, v1, 0x7fff
                                        ; implicit-def: $vgpr0
; %bb.167:                              ;   in Loop: Header=BB183_38 Depth=1
	s_and_not1_saveexec_b32 s10, s0
; %bb.168:                              ;   in Loop: Header=BB183_38 Depth=1
	v_and_b32_e32 v1, 0xffff, v0
	v_or_b32_e32 v2, 0x10000, v0
	s_delay_alu instid0(VALU_DEP_2) | instskip(NEXT) | instid1(VALU_DEP_1)
	v_cmp_eq_u32_e64 s0, 0, v1
	v_cndmask_b32_e64 v150, v2, v0, s0
; %bb.169:                              ;   in Loop: Header=BB183_38 Depth=1
	s_or_b32 exec_lo, exec_lo, s10
	v_lshlrev_b32_e32 v0, 16, v4
                                        ; implicit-def: $vgpr151
	s_delay_alu instid0(VALU_DEP_1) | instskip(NEXT) | instid1(VALU_DEP_1)
	v_mul_f32_e32 v0, v133, v0
	v_and_b32_e32 v1, 0x7f800000, v0
	s_delay_alu instid0(VALU_DEP_1) | instskip(NEXT) | instid1(VALU_DEP_1)
	v_cmp_ne_u32_e64 s0, 0x7f800000, v1
	s_and_saveexec_b32 s10, s0
	s_delay_alu instid0(SALU_CYCLE_1)
	s_xor_b32 s0, exec_lo, s10
; %bb.170:                              ;   in Loop: Header=BB183_38 Depth=1
	v_bfe_u32 v1, v0, 16, 1
	s_delay_alu instid0(VALU_DEP_1)
	v_add3_u32 v151, v0, v1, 0x7fff
                                        ; implicit-def: $vgpr0
; %bb.171:                              ;   in Loop: Header=BB183_38 Depth=1
	s_and_not1_saveexec_b32 s10, s0
; %bb.172:                              ;   in Loop: Header=BB183_38 Depth=1
	v_and_b32_e32 v1, 0xffff, v0
	v_or_b32_e32 v2, 0x10000, v0
	s_delay_alu instid0(VALU_DEP_2) | instskip(NEXT) | instid1(VALU_DEP_1)
	v_cmp_eq_u32_e64 s0, 0, v1
	v_cndmask_b32_e64 v151, v2, v0, s0
; %bb.173:                              ;   in Loop: Header=BB183_38 Depth=1
	s_or_b32 exec_lo, exec_lo, s10
	flat_load_b128 v[0:3], v[6:7] offset:1536
	s_waitcnt vmcnt(0) lgkmcnt(0)
	v_lshrrev_b32_e32 v21, 16, v0
	v_lshrrev_b32_e32 v12, 16, v1
	;; [unrolled: 1-line block ×4, first 2 shown]
	s_and_saveexec_b32 s10, vcc_lo
	s_cbranch_execz .LBB183_175
; %bb.174:                              ;   in Loop: Header=BB183_38 Depth=1
	v_cmp_lt_i32_e64 s0, v85, v86
	s_delay_alu instid0(VALU_DEP_1) | instskip(SKIP_1) | instid1(VALU_DEP_1)
	v_cndmask_b32_e64 v0, 0, v0, s0
	v_cmp_lt_i32_e64 s0, v114, v86
	v_cndmask_b32_e64 v21, 0, v21, s0
	v_cmp_lt_i32_e64 s0, v113, v86
	s_delay_alu instid0(VALU_DEP_1) | instskip(SKIP_1) | instid1(VALU_DEP_1)
	v_cndmask_b32_e64 v1, 0, v1, s0
	v_cmp_lt_i32_e64 s0, v103, v86
	v_cndmask_b32_e64 v12, 0, v12, s0
	;; [unrolled: 5-line block ×4, first 2 shown]
.LBB183_175:                            ;   in Loop: Header=BB183_38 Depth=1
	s_or_b32 exec_lo, exec_lo, s10
	v_lshlrev_b32_e32 v0, 16, v0
                                        ; implicit-def: $vgpr160
	s_delay_alu instid0(VALU_DEP_1) | instskip(NEXT) | instid1(VALU_DEP_1)
	v_mul_f32_e32 v0, v118, v0
	v_and_b32_e32 v25, 0x7f800000, v0
	s_delay_alu instid0(VALU_DEP_1) | instskip(NEXT) | instid1(VALU_DEP_1)
	v_cmp_ne_u32_e64 s0, 0x7f800000, v25
	s_and_saveexec_b32 s10, s0
	s_delay_alu instid0(SALU_CYCLE_1)
	s_xor_b32 s0, exec_lo, s10
; %bb.176:                              ;   in Loop: Header=BB183_38 Depth=1
	v_bfe_u32 v25, v0, 16, 1
	s_delay_alu instid0(VALU_DEP_1)
	v_add3_u32 v160, v0, v25, 0x7fff
                                        ; implicit-def: $vgpr0
; %bb.177:                              ;   in Loop: Header=BB183_38 Depth=1
	s_and_not1_saveexec_b32 s10, s0
; %bb.178:                              ;   in Loop: Header=BB183_38 Depth=1
	v_and_b32_e32 v25, 0xffff, v0
	v_or_b32_e32 v39, 0x10000, v0
	s_delay_alu instid0(VALU_DEP_2) | instskip(NEXT) | instid1(VALU_DEP_1)
	v_cmp_eq_u32_e64 s0, 0, v25
	v_cndmask_b32_e64 v160, v39, v0, s0
; %bb.179:                              ;   in Loop: Header=BB183_38 Depth=1
	s_or_b32 exec_lo, exec_lo, s10
	v_lshlrev_b32_e32 v0, 16, v21
                                        ; implicit-def: $vgpr161
	s_delay_alu instid0(VALU_DEP_1) | instskip(NEXT) | instid1(VALU_DEP_1)
	v_mul_f32_e32 v0, v119, v0
	v_and_b32_e32 v21, 0x7f800000, v0
	s_delay_alu instid0(VALU_DEP_1) | instskip(NEXT) | instid1(VALU_DEP_1)
	v_cmp_ne_u32_e64 s0, 0x7f800000, v21
	s_and_saveexec_b32 s10, s0
	s_delay_alu instid0(SALU_CYCLE_1)
	s_xor_b32 s0, exec_lo, s10
; %bb.180:                              ;   in Loop: Header=BB183_38 Depth=1
	v_bfe_u32 v21, v0, 16, 1
	s_delay_alu instid0(VALU_DEP_1)
	v_add3_u32 v161, v0, v21, 0x7fff
                                        ; implicit-def: $vgpr0
; %bb.181:                              ;   in Loop: Header=BB183_38 Depth=1
	s_and_not1_saveexec_b32 s10, s0
; %bb.182:                              ;   in Loop: Header=BB183_38 Depth=1
	v_and_b32_e32 v21, 0xffff, v0
	v_or_b32_e32 v25, 0x10000, v0
	s_delay_alu instid0(VALU_DEP_2) | instskip(NEXT) | instid1(VALU_DEP_1)
	v_cmp_eq_u32_e64 s0, 0, v21
	v_cndmask_b32_e64 v161, v25, v0, s0
; %bb.183:                              ;   in Loop: Header=BB183_38 Depth=1
	s_or_b32 exec_lo, exec_lo, s10
	v_lshlrev_b32_e32 v0, 16, v1
                                        ; implicit-def: $vgpr162
	s_delay_alu instid0(VALU_DEP_1) | instskip(NEXT) | instid1(VALU_DEP_1)
	v_mul_f32_e32 v0, v128, v0
	v_and_b32_e32 v1, 0x7f800000, v0
	s_delay_alu instid0(VALU_DEP_1) | instskip(NEXT) | instid1(VALU_DEP_1)
	v_cmp_ne_u32_e64 s0, 0x7f800000, v1
	s_and_saveexec_b32 s10, s0
	s_delay_alu instid0(SALU_CYCLE_1)
	s_xor_b32 s0, exec_lo, s10
; %bb.184:                              ;   in Loop: Header=BB183_38 Depth=1
	v_bfe_u32 v1, v0, 16, 1
	s_delay_alu instid0(VALU_DEP_1)
	v_add3_u32 v162, v0, v1, 0x7fff
                                        ; implicit-def: $vgpr0
; %bb.185:                              ;   in Loop: Header=BB183_38 Depth=1
	s_and_not1_saveexec_b32 s10, s0
; %bb.186:                              ;   in Loop: Header=BB183_38 Depth=1
	v_and_b32_e32 v1, 0xffff, v0
	v_or_b32_e32 v21, 0x10000, v0
	s_delay_alu instid0(VALU_DEP_2) | instskip(NEXT) | instid1(VALU_DEP_1)
	v_cmp_eq_u32_e64 s0, 0, v1
	v_cndmask_b32_e64 v162, v21, v0, s0
; %bb.187:                              ;   in Loop: Header=BB183_38 Depth=1
	s_or_b32 exec_lo, exec_lo, s10
	v_lshlrev_b32_e32 v0, 16, v12
                                        ; implicit-def: $vgpr163
	s_delay_alu instid0(VALU_DEP_1) | instskip(NEXT) | instid1(VALU_DEP_1)
	v_mul_f32_e32 v0, v129, v0
	v_and_b32_e32 v1, 0x7f800000, v0
	s_delay_alu instid0(VALU_DEP_1) | instskip(NEXT) | instid1(VALU_DEP_1)
	v_cmp_ne_u32_e64 s0, 0x7f800000, v1
	s_and_saveexec_b32 s10, s0
	s_delay_alu instid0(SALU_CYCLE_1)
	s_xor_b32 s0, exec_lo, s10
; %bb.188:                              ;   in Loop: Header=BB183_38 Depth=1
	v_bfe_u32 v1, v0, 16, 1
	s_delay_alu instid0(VALU_DEP_1)
	v_add3_u32 v163, v0, v1, 0x7fff
                                        ; implicit-def: $vgpr0
; %bb.189:                              ;   in Loop: Header=BB183_38 Depth=1
	s_and_not1_saveexec_b32 s10, s0
; %bb.190:                              ;   in Loop: Header=BB183_38 Depth=1
	v_and_b32_e32 v1, 0xffff, v0
	v_or_b32_e32 v12, 0x10000, v0
	s_delay_alu instid0(VALU_DEP_2) | instskip(NEXT) | instid1(VALU_DEP_1)
	v_cmp_eq_u32_e64 s0, 0, v1
	v_cndmask_b32_e64 v163, v12, v0, s0
; %bb.191:                              ;   in Loop: Header=BB183_38 Depth=1
	s_or_b32 exec_lo, exec_lo, s10
	v_lshlrev_b32_e32 v0, 16, v2
                                        ; implicit-def: $vgpr164
	s_delay_alu instid0(VALU_DEP_1) | instskip(NEXT) | instid1(VALU_DEP_1)
	v_mul_f32_e32 v0, v130, v0
	v_and_b32_e32 v1, 0x7f800000, v0
	s_delay_alu instid0(VALU_DEP_1) | instskip(NEXT) | instid1(VALU_DEP_1)
	v_cmp_ne_u32_e64 s0, 0x7f800000, v1
	s_and_saveexec_b32 s10, s0
	s_delay_alu instid0(SALU_CYCLE_1)
	s_xor_b32 s0, exec_lo, s10
; %bb.192:                              ;   in Loop: Header=BB183_38 Depth=1
	v_bfe_u32 v1, v0, 16, 1
	s_delay_alu instid0(VALU_DEP_1)
	v_add3_u32 v164, v0, v1, 0x7fff
                                        ; implicit-def: $vgpr0
; %bb.193:                              ;   in Loop: Header=BB183_38 Depth=1
	s_and_not1_saveexec_b32 s10, s0
; %bb.194:                              ;   in Loop: Header=BB183_38 Depth=1
	v_and_b32_e32 v1, 0xffff, v0
	v_or_b32_e32 v2, 0x10000, v0
	s_delay_alu instid0(VALU_DEP_2) | instskip(NEXT) | instid1(VALU_DEP_1)
	v_cmp_eq_u32_e64 s0, 0, v1
	v_cndmask_b32_e64 v164, v2, v0, s0
; %bb.195:                              ;   in Loop: Header=BB183_38 Depth=1
	s_or_b32 exec_lo, exec_lo, s10
	v_lshlrev_b32_e32 v0, 16, v5
                                        ; implicit-def: $vgpr165
	s_delay_alu instid0(VALU_DEP_1) | instskip(NEXT) | instid1(VALU_DEP_1)
	v_mul_f32_e32 v0, v131, v0
	v_and_b32_e32 v1, 0x7f800000, v0
	s_delay_alu instid0(VALU_DEP_1) | instskip(NEXT) | instid1(VALU_DEP_1)
	v_cmp_ne_u32_e64 s0, 0x7f800000, v1
	s_and_saveexec_b32 s10, s0
	s_delay_alu instid0(SALU_CYCLE_1)
	s_xor_b32 s0, exec_lo, s10
; %bb.196:                              ;   in Loop: Header=BB183_38 Depth=1
	v_bfe_u32 v1, v0, 16, 1
	s_delay_alu instid0(VALU_DEP_1)
	v_add3_u32 v165, v0, v1, 0x7fff
                                        ; implicit-def: $vgpr0
; %bb.197:                              ;   in Loop: Header=BB183_38 Depth=1
	s_and_not1_saveexec_b32 s10, s0
; %bb.198:                              ;   in Loop: Header=BB183_38 Depth=1
	v_and_b32_e32 v1, 0xffff, v0
	v_or_b32_e32 v2, 0x10000, v0
	s_delay_alu instid0(VALU_DEP_2) | instskip(NEXT) | instid1(VALU_DEP_1)
	v_cmp_eq_u32_e64 s0, 0, v1
	v_cndmask_b32_e64 v165, v2, v0, s0
; %bb.199:                              ;   in Loop: Header=BB183_38 Depth=1
	s_or_b32 exec_lo, exec_lo, s10
	v_lshlrev_b32_e32 v0, 16, v3
                                        ; implicit-def: $vgpr166
	s_delay_alu instid0(VALU_DEP_1) | instskip(NEXT) | instid1(VALU_DEP_1)
	v_mul_f32_e32 v0, v132, v0
	v_and_b32_e32 v1, 0x7f800000, v0
	s_delay_alu instid0(VALU_DEP_1) | instskip(NEXT) | instid1(VALU_DEP_1)
	v_cmp_ne_u32_e64 s0, 0x7f800000, v1
	s_and_saveexec_b32 s10, s0
	s_delay_alu instid0(SALU_CYCLE_1)
	s_xor_b32 s0, exec_lo, s10
; %bb.200:                              ;   in Loop: Header=BB183_38 Depth=1
	v_bfe_u32 v1, v0, 16, 1
	s_delay_alu instid0(VALU_DEP_1)
	v_add3_u32 v166, v0, v1, 0x7fff
                                        ; implicit-def: $vgpr0
; %bb.201:                              ;   in Loop: Header=BB183_38 Depth=1
	s_and_not1_saveexec_b32 s10, s0
; %bb.202:                              ;   in Loop: Header=BB183_38 Depth=1
	v_and_b32_e32 v1, 0xffff, v0
	v_or_b32_e32 v2, 0x10000, v0
	s_delay_alu instid0(VALU_DEP_2) | instskip(NEXT) | instid1(VALU_DEP_1)
	v_cmp_eq_u32_e64 s0, 0, v1
	v_cndmask_b32_e64 v166, v2, v0, s0
; %bb.203:                              ;   in Loop: Header=BB183_38 Depth=1
	s_or_b32 exec_lo, exec_lo, s10
	v_lshlrev_b32_e32 v0, 16, v4
                                        ; implicit-def: $vgpr167
	s_delay_alu instid0(VALU_DEP_1) | instskip(NEXT) | instid1(VALU_DEP_1)
	v_mul_f32_e32 v0, v133, v0
	v_and_b32_e32 v1, 0x7f800000, v0
	s_delay_alu instid0(VALU_DEP_1) | instskip(NEXT) | instid1(VALU_DEP_1)
	v_cmp_ne_u32_e64 s0, 0x7f800000, v1
	s_and_saveexec_b32 s10, s0
	s_delay_alu instid0(SALU_CYCLE_1)
	s_xor_b32 s0, exec_lo, s10
; %bb.204:                              ;   in Loop: Header=BB183_38 Depth=1
	v_bfe_u32 v1, v0, 16, 1
	s_delay_alu instid0(VALU_DEP_1)
	v_add3_u32 v167, v0, v1, 0x7fff
                                        ; implicit-def: $vgpr0
; %bb.205:                              ;   in Loop: Header=BB183_38 Depth=1
	s_and_not1_saveexec_b32 s10, s0
; %bb.206:                              ;   in Loop: Header=BB183_38 Depth=1
	v_and_b32_e32 v1, 0xffff, v0
	v_or_b32_e32 v2, 0x10000, v0
	s_delay_alu instid0(VALU_DEP_2) | instskip(NEXT) | instid1(VALU_DEP_1)
	v_cmp_eq_u32_e64 s0, 0, v1
	v_cndmask_b32_e64 v167, v2, v0, s0
; %bb.207:                              ;   in Loop: Header=BB183_38 Depth=1
	s_or_b32 exec_lo, exec_lo, s10
	flat_load_b128 v[0:3], v[6:7] offset:2048
	s_waitcnt vmcnt(0) lgkmcnt(0)
	v_lshrrev_b32_e32 v21, 16, v0
	v_lshrrev_b32_e32 v12, 16, v1
	;; [unrolled: 1-line block ×4, first 2 shown]
	s_and_saveexec_b32 s10, vcc_lo
	s_cbranch_execz .LBB183_209
; %bb.208:                              ;   in Loop: Header=BB183_38 Depth=1
	v_cmp_lt_i32_e64 s0, v85, v86
	s_delay_alu instid0(VALU_DEP_1) | instskip(SKIP_1) | instid1(VALU_DEP_1)
	v_cndmask_b32_e64 v0, 0, v0, s0
	v_cmp_lt_i32_e64 s0, v114, v86
	v_cndmask_b32_e64 v21, 0, v21, s0
	v_cmp_lt_i32_e64 s0, v113, v86
	s_delay_alu instid0(VALU_DEP_1) | instskip(SKIP_1) | instid1(VALU_DEP_1)
	v_cndmask_b32_e64 v1, 0, v1, s0
	v_cmp_lt_i32_e64 s0, v103, v86
	v_cndmask_b32_e64 v12, 0, v12, s0
	;; [unrolled: 5-line block ×4, first 2 shown]
.LBB183_209:                            ;   in Loop: Header=BB183_38 Depth=1
	s_or_b32 exec_lo, exec_lo, s10
	v_lshlrev_b32_e32 v0, 16, v0
                                        ; implicit-def: $vgpr176
	s_delay_alu instid0(VALU_DEP_1) | instskip(NEXT) | instid1(VALU_DEP_1)
	v_mul_f32_e32 v0, v118, v0
	v_and_b32_e32 v25, 0x7f800000, v0
	s_delay_alu instid0(VALU_DEP_1) | instskip(NEXT) | instid1(VALU_DEP_1)
	v_cmp_ne_u32_e64 s0, 0x7f800000, v25
	s_and_saveexec_b32 s10, s0
	s_delay_alu instid0(SALU_CYCLE_1)
	s_xor_b32 s0, exec_lo, s10
; %bb.210:                              ;   in Loop: Header=BB183_38 Depth=1
	v_bfe_u32 v25, v0, 16, 1
	s_delay_alu instid0(VALU_DEP_1)
	v_add3_u32 v176, v0, v25, 0x7fff
                                        ; implicit-def: $vgpr0
; %bb.211:                              ;   in Loop: Header=BB183_38 Depth=1
	s_and_not1_saveexec_b32 s10, s0
; %bb.212:                              ;   in Loop: Header=BB183_38 Depth=1
	v_and_b32_e32 v25, 0xffff, v0
	v_or_b32_e32 v39, 0x10000, v0
	s_delay_alu instid0(VALU_DEP_2) | instskip(NEXT) | instid1(VALU_DEP_1)
	v_cmp_eq_u32_e64 s0, 0, v25
	v_cndmask_b32_e64 v176, v39, v0, s0
; %bb.213:                              ;   in Loop: Header=BB183_38 Depth=1
	s_or_b32 exec_lo, exec_lo, s10
	v_lshlrev_b32_e32 v0, 16, v21
                                        ; implicit-def: $vgpr177
	s_delay_alu instid0(VALU_DEP_1) | instskip(NEXT) | instid1(VALU_DEP_1)
	v_mul_f32_e32 v0, v119, v0
	v_and_b32_e32 v21, 0x7f800000, v0
	s_delay_alu instid0(VALU_DEP_1) | instskip(NEXT) | instid1(VALU_DEP_1)
	v_cmp_ne_u32_e64 s0, 0x7f800000, v21
	s_and_saveexec_b32 s10, s0
	s_delay_alu instid0(SALU_CYCLE_1)
	s_xor_b32 s0, exec_lo, s10
; %bb.214:                              ;   in Loop: Header=BB183_38 Depth=1
	v_bfe_u32 v21, v0, 16, 1
	s_delay_alu instid0(VALU_DEP_1)
	v_add3_u32 v177, v0, v21, 0x7fff
                                        ; implicit-def: $vgpr0
; %bb.215:                              ;   in Loop: Header=BB183_38 Depth=1
	s_and_not1_saveexec_b32 s10, s0
; %bb.216:                              ;   in Loop: Header=BB183_38 Depth=1
	v_and_b32_e32 v21, 0xffff, v0
	v_or_b32_e32 v25, 0x10000, v0
	s_delay_alu instid0(VALU_DEP_2) | instskip(NEXT) | instid1(VALU_DEP_1)
	v_cmp_eq_u32_e64 s0, 0, v21
	v_cndmask_b32_e64 v177, v25, v0, s0
; %bb.217:                              ;   in Loop: Header=BB183_38 Depth=1
	s_or_b32 exec_lo, exec_lo, s10
	v_lshlrev_b32_e32 v0, 16, v1
                                        ; implicit-def: $vgpr178
	s_delay_alu instid0(VALU_DEP_1) | instskip(NEXT) | instid1(VALU_DEP_1)
	v_mul_f32_e32 v0, v128, v0
	v_and_b32_e32 v1, 0x7f800000, v0
	s_delay_alu instid0(VALU_DEP_1) | instskip(NEXT) | instid1(VALU_DEP_1)
	v_cmp_ne_u32_e64 s0, 0x7f800000, v1
	s_and_saveexec_b32 s10, s0
	s_delay_alu instid0(SALU_CYCLE_1)
	s_xor_b32 s0, exec_lo, s10
; %bb.218:                              ;   in Loop: Header=BB183_38 Depth=1
	v_bfe_u32 v1, v0, 16, 1
	s_delay_alu instid0(VALU_DEP_1)
	v_add3_u32 v178, v0, v1, 0x7fff
                                        ; implicit-def: $vgpr0
; %bb.219:                              ;   in Loop: Header=BB183_38 Depth=1
	s_and_not1_saveexec_b32 s10, s0
; %bb.220:                              ;   in Loop: Header=BB183_38 Depth=1
	v_and_b32_e32 v1, 0xffff, v0
	v_or_b32_e32 v21, 0x10000, v0
	s_delay_alu instid0(VALU_DEP_2) | instskip(NEXT) | instid1(VALU_DEP_1)
	v_cmp_eq_u32_e64 s0, 0, v1
	v_cndmask_b32_e64 v178, v21, v0, s0
; %bb.221:                              ;   in Loop: Header=BB183_38 Depth=1
	s_or_b32 exec_lo, exec_lo, s10
	v_lshlrev_b32_e32 v0, 16, v12
                                        ; implicit-def: $vgpr179
	s_delay_alu instid0(VALU_DEP_1) | instskip(NEXT) | instid1(VALU_DEP_1)
	v_mul_f32_e32 v0, v129, v0
	v_and_b32_e32 v1, 0x7f800000, v0
	s_delay_alu instid0(VALU_DEP_1) | instskip(NEXT) | instid1(VALU_DEP_1)
	v_cmp_ne_u32_e64 s0, 0x7f800000, v1
	s_and_saveexec_b32 s10, s0
	s_delay_alu instid0(SALU_CYCLE_1)
	s_xor_b32 s0, exec_lo, s10
; %bb.222:                              ;   in Loop: Header=BB183_38 Depth=1
	v_bfe_u32 v1, v0, 16, 1
	s_delay_alu instid0(VALU_DEP_1)
	v_add3_u32 v179, v0, v1, 0x7fff
                                        ; implicit-def: $vgpr0
; %bb.223:                              ;   in Loop: Header=BB183_38 Depth=1
	s_and_not1_saveexec_b32 s10, s0
; %bb.224:                              ;   in Loop: Header=BB183_38 Depth=1
	v_and_b32_e32 v1, 0xffff, v0
	v_or_b32_e32 v12, 0x10000, v0
	s_delay_alu instid0(VALU_DEP_2) | instskip(NEXT) | instid1(VALU_DEP_1)
	v_cmp_eq_u32_e64 s0, 0, v1
	v_cndmask_b32_e64 v179, v12, v0, s0
; %bb.225:                              ;   in Loop: Header=BB183_38 Depth=1
	s_or_b32 exec_lo, exec_lo, s10
	v_lshlrev_b32_e32 v0, 16, v2
                                        ; implicit-def: $vgpr180
	s_delay_alu instid0(VALU_DEP_1) | instskip(NEXT) | instid1(VALU_DEP_1)
	v_mul_f32_e32 v0, v130, v0
	v_and_b32_e32 v1, 0x7f800000, v0
	s_delay_alu instid0(VALU_DEP_1) | instskip(NEXT) | instid1(VALU_DEP_1)
	v_cmp_ne_u32_e64 s0, 0x7f800000, v1
	s_and_saveexec_b32 s10, s0
	s_delay_alu instid0(SALU_CYCLE_1)
	s_xor_b32 s0, exec_lo, s10
; %bb.226:                              ;   in Loop: Header=BB183_38 Depth=1
	v_bfe_u32 v1, v0, 16, 1
	s_delay_alu instid0(VALU_DEP_1)
	v_add3_u32 v180, v0, v1, 0x7fff
                                        ; implicit-def: $vgpr0
; %bb.227:                              ;   in Loop: Header=BB183_38 Depth=1
	s_and_not1_saveexec_b32 s10, s0
; %bb.228:                              ;   in Loop: Header=BB183_38 Depth=1
	v_and_b32_e32 v1, 0xffff, v0
	v_or_b32_e32 v2, 0x10000, v0
	s_delay_alu instid0(VALU_DEP_2) | instskip(NEXT) | instid1(VALU_DEP_1)
	v_cmp_eq_u32_e64 s0, 0, v1
	v_cndmask_b32_e64 v180, v2, v0, s0
; %bb.229:                              ;   in Loop: Header=BB183_38 Depth=1
	s_or_b32 exec_lo, exec_lo, s10
	v_lshlrev_b32_e32 v0, 16, v5
                                        ; implicit-def: $vgpr181
	s_delay_alu instid0(VALU_DEP_1) | instskip(NEXT) | instid1(VALU_DEP_1)
	v_mul_f32_e32 v0, v131, v0
	v_and_b32_e32 v1, 0x7f800000, v0
	s_delay_alu instid0(VALU_DEP_1) | instskip(NEXT) | instid1(VALU_DEP_1)
	v_cmp_ne_u32_e64 s0, 0x7f800000, v1
	s_and_saveexec_b32 s10, s0
	s_delay_alu instid0(SALU_CYCLE_1)
	s_xor_b32 s0, exec_lo, s10
; %bb.230:                              ;   in Loop: Header=BB183_38 Depth=1
	v_bfe_u32 v1, v0, 16, 1
	s_delay_alu instid0(VALU_DEP_1)
	v_add3_u32 v181, v0, v1, 0x7fff
                                        ; implicit-def: $vgpr0
; %bb.231:                              ;   in Loop: Header=BB183_38 Depth=1
	s_and_not1_saveexec_b32 s10, s0
; %bb.232:                              ;   in Loop: Header=BB183_38 Depth=1
	v_and_b32_e32 v1, 0xffff, v0
	v_or_b32_e32 v2, 0x10000, v0
	s_delay_alu instid0(VALU_DEP_2) | instskip(NEXT) | instid1(VALU_DEP_1)
	v_cmp_eq_u32_e64 s0, 0, v1
	v_cndmask_b32_e64 v181, v2, v0, s0
; %bb.233:                              ;   in Loop: Header=BB183_38 Depth=1
	s_or_b32 exec_lo, exec_lo, s10
	v_lshlrev_b32_e32 v0, 16, v3
                                        ; implicit-def: $vgpr182
	s_delay_alu instid0(VALU_DEP_1) | instskip(NEXT) | instid1(VALU_DEP_1)
	v_mul_f32_e32 v0, v132, v0
	v_and_b32_e32 v1, 0x7f800000, v0
	s_delay_alu instid0(VALU_DEP_1) | instskip(NEXT) | instid1(VALU_DEP_1)
	v_cmp_ne_u32_e64 s0, 0x7f800000, v1
	s_and_saveexec_b32 s10, s0
	s_delay_alu instid0(SALU_CYCLE_1)
	s_xor_b32 s0, exec_lo, s10
; %bb.234:                              ;   in Loop: Header=BB183_38 Depth=1
	v_bfe_u32 v1, v0, 16, 1
	s_delay_alu instid0(VALU_DEP_1)
	v_add3_u32 v182, v0, v1, 0x7fff
                                        ; implicit-def: $vgpr0
; %bb.235:                              ;   in Loop: Header=BB183_38 Depth=1
	s_and_not1_saveexec_b32 s10, s0
; %bb.236:                              ;   in Loop: Header=BB183_38 Depth=1
	v_and_b32_e32 v1, 0xffff, v0
	v_or_b32_e32 v2, 0x10000, v0
	s_delay_alu instid0(VALU_DEP_2) | instskip(NEXT) | instid1(VALU_DEP_1)
	v_cmp_eq_u32_e64 s0, 0, v1
	v_cndmask_b32_e64 v182, v2, v0, s0
; %bb.237:                              ;   in Loop: Header=BB183_38 Depth=1
	s_or_b32 exec_lo, exec_lo, s10
	v_lshlrev_b32_e32 v0, 16, v4
                                        ; implicit-def: $vgpr183
	s_delay_alu instid0(VALU_DEP_1) | instskip(NEXT) | instid1(VALU_DEP_1)
	v_mul_f32_e32 v0, v133, v0
	v_and_b32_e32 v1, 0x7f800000, v0
	s_delay_alu instid0(VALU_DEP_1) | instskip(NEXT) | instid1(VALU_DEP_1)
	v_cmp_ne_u32_e64 s0, 0x7f800000, v1
	s_and_saveexec_b32 s10, s0
	s_delay_alu instid0(SALU_CYCLE_1)
	s_xor_b32 s0, exec_lo, s10
; %bb.238:                              ;   in Loop: Header=BB183_38 Depth=1
	v_bfe_u32 v1, v0, 16, 1
	s_delay_alu instid0(VALU_DEP_1)
	v_add3_u32 v183, v0, v1, 0x7fff
                                        ; implicit-def: $vgpr0
; %bb.239:                              ;   in Loop: Header=BB183_38 Depth=1
	s_and_not1_saveexec_b32 s10, s0
; %bb.240:                              ;   in Loop: Header=BB183_38 Depth=1
	v_and_b32_e32 v1, 0xffff, v0
	v_or_b32_e32 v2, 0x10000, v0
	s_delay_alu instid0(VALU_DEP_2) | instskip(NEXT) | instid1(VALU_DEP_1)
	v_cmp_eq_u32_e64 s0, 0, v1
	v_cndmask_b32_e64 v183, v2, v0, s0
; %bb.241:                              ;   in Loop: Header=BB183_38 Depth=1
	s_or_b32 exec_lo, exec_lo, s10
	flat_load_b128 v[0:3], v[6:7] offset:2560
	s_waitcnt vmcnt(0) lgkmcnt(0)
	v_lshrrev_b32_e32 v21, 16, v0
	v_lshrrev_b32_e32 v12, 16, v1
	v_lshrrev_b32_e32 v5, 16, v2
	v_lshrrev_b32_e32 v4, 16, v3
	s_and_saveexec_b32 s10, vcc_lo
	s_cbranch_execz .LBB183_243
; %bb.242:                              ;   in Loop: Header=BB183_38 Depth=1
	v_cmp_lt_i32_e64 s0, v85, v86
	s_delay_alu instid0(VALU_DEP_1) | instskip(SKIP_1) | instid1(VALU_DEP_1)
	v_cndmask_b32_e64 v0, 0, v0, s0
	v_cmp_lt_i32_e64 s0, v114, v86
	v_cndmask_b32_e64 v21, 0, v21, s0
	v_cmp_lt_i32_e64 s0, v113, v86
	s_delay_alu instid0(VALU_DEP_1) | instskip(SKIP_1) | instid1(VALU_DEP_1)
	v_cndmask_b32_e64 v1, 0, v1, s0
	v_cmp_lt_i32_e64 s0, v103, v86
	v_cndmask_b32_e64 v12, 0, v12, s0
	;; [unrolled: 5-line block ×4, first 2 shown]
.LBB183_243:                            ;   in Loop: Header=BB183_38 Depth=1
	s_or_b32 exec_lo, exec_lo, s10
	v_lshlrev_b32_e32 v0, 16, v0
                                        ; implicit-def: $vgpr40
	s_delay_alu instid0(VALU_DEP_1) | instskip(NEXT) | instid1(VALU_DEP_1)
	v_mul_f32_e32 v0, v118, v0
	v_and_b32_e32 v25, 0x7f800000, v0
	s_delay_alu instid0(VALU_DEP_1) | instskip(NEXT) | instid1(VALU_DEP_1)
	v_cmp_ne_u32_e64 s0, 0x7f800000, v25
	s_and_saveexec_b32 s10, s0
	s_delay_alu instid0(SALU_CYCLE_1)
	s_xor_b32 s0, exec_lo, s10
; %bb.244:                              ;   in Loop: Header=BB183_38 Depth=1
	v_bfe_u32 v25, v0, 16, 1
	s_delay_alu instid0(VALU_DEP_1)
	v_add3_u32 v40, v0, v25, 0x7fff
                                        ; implicit-def: $vgpr0
; %bb.245:                              ;   in Loop: Header=BB183_38 Depth=1
	s_and_not1_saveexec_b32 s10, s0
; %bb.246:                              ;   in Loop: Header=BB183_38 Depth=1
	v_and_b32_e32 v25, 0xffff, v0
	v_or_b32_e32 v39, 0x10000, v0
	s_delay_alu instid0(VALU_DEP_2) | instskip(NEXT) | instid1(VALU_DEP_1)
	v_cmp_eq_u32_e64 s0, 0, v25
	v_cndmask_b32_e64 v40, v39, v0, s0
; %bb.247:                              ;   in Loop: Header=BB183_38 Depth=1
	s_or_b32 exec_lo, exec_lo, s10
	v_lshlrev_b32_e32 v0, 16, v21
                                        ; implicit-def: $vgpr41
	s_delay_alu instid0(VALU_DEP_1) | instskip(NEXT) | instid1(VALU_DEP_1)
	v_mul_f32_e32 v0, v119, v0
	v_and_b32_e32 v21, 0x7f800000, v0
	s_delay_alu instid0(VALU_DEP_1) | instskip(NEXT) | instid1(VALU_DEP_1)
	v_cmp_ne_u32_e64 s0, 0x7f800000, v21
	s_and_saveexec_b32 s10, s0
	s_delay_alu instid0(SALU_CYCLE_1)
	s_xor_b32 s0, exec_lo, s10
; %bb.248:                              ;   in Loop: Header=BB183_38 Depth=1
	v_bfe_u32 v21, v0, 16, 1
	s_delay_alu instid0(VALU_DEP_1)
	v_add3_u32 v41, v0, v21, 0x7fff
                                        ; implicit-def: $vgpr0
; %bb.249:                              ;   in Loop: Header=BB183_38 Depth=1
	s_and_not1_saveexec_b32 s10, s0
; %bb.250:                              ;   in Loop: Header=BB183_38 Depth=1
	v_and_b32_e32 v21, 0xffff, v0
	v_or_b32_e32 v25, 0x10000, v0
	s_delay_alu instid0(VALU_DEP_2) | instskip(NEXT) | instid1(VALU_DEP_1)
	v_cmp_eq_u32_e64 s0, 0, v21
	v_cndmask_b32_e64 v41, v25, v0, s0
; %bb.251:                              ;   in Loop: Header=BB183_38 Depth=1
	s_or_b32 exec_lo, exec_lo, s10
	v_lshlrev_b32_e32 v0, 16, v1
                                        ; implicit-def: $vgpr42
	s_delay_alu instid0(VALU_DEP_1) | instskip(NEXT) | instid1(VALU_DEP_1)
	v_mul_f32_e32 v0, v128, v0
	v_and_b32_e32 v1, 0x7f800000, v0
	s_delay_alu instid0(VALU_DEP_1) | instskip(NEXT) | instid1(VALU_DEP_1)
	v_cmp_ne_u32_e64 s0, 0x7f800000, v1
	s_and_saveexec_b32 s10, s0
	s_delay_alu instid0(SALU_CYCLE_1)
	s_xor_b32 s0, exec_lo, s10
; %bb.252:                              ;   in Loop: Header=BB183_38 Depth=1
	v_bfe_u32 v1, v0, 16, 1
	s_delay_alu instid0(VALU_DEP_1)
	v_add3_u32 v42, v0, v1, 0x7fff
                                        ; implicit-def: $vgpr0
; %bb.253:                              ;   in Loop: Header=BB183_38 Depth=1
	s_and_not1_saveexec_b32 s10, s0
; %bb.254:                              ;   in Loop: Header=BB183_38 Depth=1
	v_and_b32_e32 v1, 0xffff, v0
	v_or_b32_e32 v21, 0x10000, v0
	s_delay_alu instid0(VALU_DEP_2) | instskip(NEXT) | instid1(VALU_DEP_1)
	v_cmp_eq_u32_e64 s0, 0, v1
	v_cndmask_b32_e64 v42, v21, v0, s0
; %bb.255:                              ;   in Loop: Header=BB183_38 Depth=1
	s_or_b32 exec_lo, exec_lo, s10
	v_lshlrev_b32_e32 v0, 16, v12
                                        ; implicit-def: $vgpr43
	s_delay_alu instid0(VALU_DEP_1) | instskip(NEXT) | instid1(VALU_DEP_1)
	v_mul_f32_e32 v0, v129, v0
	v_and_b32_e32 v1, 0x7f800000, v0
	s_delay_alu instid0(VALU_DEP_1) | instskip(NEXT) | instid1(VALU_DEP_1)
	v_cmp_ne_u32_e64 s0, 0x7f800000, v1
	s_and_saveexec_b32 s10, s0
	s_delay_alu instid0(SALU_CYCLE_1)
	s_xor_b32 s0, exec_lo, s10
; %bb.256:                              ;   in Loop: Header=BB183_38 Depth=1
	v_bfe_u32 v1, v0, 16, 1
	s_delay_alu instid0(VALU_DEP_1)
	v_add3_u32 v43, v0, v1, 0x7fff
                                        ; implicit-def: $vgpr0
; %bb.257:                              ;   in Loop: Header=BB183_38 Depth=1
	s_and_not1_saveexec_b32 s10, s0
; %bb.258:                              ;   in Loop: Header=BB183_38 Depth=1
	v_and_b32_e32 v1, 0xffff, v0
	v_or_b32_e32 v12, 0x10000, v0
	s_delay_alu instid0(VALU_DEP_2) | instskip(NEXT) | instid1(VALU_DEP_1)
	v_cmp_eq_u32_e64 s0, 0, v1
	v_cndmask_b32_e64 v43, v12, v0, s0
; %bb.259:                              ;   in Loop: Header=BB183_38 Depth=1
	s_or_b32 exec_lo, exec_lo, s10
	v_lshlrev_b32_e32 v0, 16, v2
                                        ; implicit-def: $vgpr44
	s_delay_alu instid0(VALU_DEP_1) | instskip(NEXT) | instid1(VALU_DEP_1)
	v_mul_f32_e32 v0, v130, v0
	v_and_b32_e32 v1, 0x7f800000, v0
	s_delay_alu instid0(VALU_DEP_1) | instskip(NEXT) | instid1(VALU_DEP_1)
	v_cmp_ne_u32_e64 s0, 0x7f800000, v1
	s_and_saveexec_b32 s10, s0
	s_delay_alu instid0(SALU_CYCLE_1)
	s_xor_b32 s0, exec_lo, s10
; %bb.260:                              ;   in Loop: Header=BB183_38 Depth=1
	v_bfe_u32 v1, v0, 16, 1
	s_delay_alu instid0(VALU_DEP_1)
	v_add3_u32 v44, v0, v1, 0x7fff
                                        ; implicit-def: $vgpr0
; %bb.261:                              ;   in Loop: Header=BB183_38 Depth=1
	s_and_not1_saveexec_b32 s10, s0
; %bb.262:                              ;   in Loop: Header=BB183_38 Depth=1
	v_and_b32_e32 v1, 0xffff, v0
	v_or_b32_e32 v2, 0x10000, v0
	s_delay_alu instid0(VALU_DEP_2) | instskip(NEXT) | instid1(VALU_DEP_1)
	v_cmp_eq_u32_e64 s0, 0, v1
	v_cndmask_b32_e64 v44, v2, v0, s0
; %bb.263:                              ;   in Loop: Header=BB183_38 Depth=1
	s_or_b32 exec_lo, exec_lo, s10
	v_lshlrev_b32_e32 v0, 16, v5
                                        ; implicit-def: $vgpr45
	s_delay_alu instid0(VALU_DEP_1) | instskip(NEXT) | instid1(VALU_DEP_1)
	v_mul_f32_e32 v0, v131, v0
	v_and_b32_e32 v1, 0x7f800000, v0
	s_delay_alu instid0(VALU_DEP_1) | instskip(NEXT) | instid1(VALU_DEP_1)
	v_cmp_ne_u32_e64 s0, 0x7f800000, v1
	s_and_saveexec_b32 s10, s0
	s_delay_alu instid0(SALU_CYCLE_1)
	s_xor_b32 s0, exec_lo, s10
; %bb.264:                              ;   in Loop: Header=BB183_38 Depth=1
	v_bfe_u32 v1, v0, 16, 1
	s_delay_alu instid0(VALU_DEP_1)
	v_add3_u32 v45, v0, v1, 0x7fff
                                        ; implicit-def: $vgpr0
; %bb.265:                              ;   in Loop: Header=BB183_38 Depth=1
	s_and_not1_saveexec_b32 s10, s0
; %bb.266:                              ;   in Loop: Header=BB183_38 Depth=1
	v_and_b32_e32 v1, 0xffff, v0
	v_or_b32_e32 v2, 0x10000, v0
	s_delay_alu instid0(VALU_DEP_2) | instskip(NEXT) | instid1(VALU_DEP_1)
	v_cmp_eq_u32_e64 s0, 0, v1
	v_cndmask_b32_e64 v45, v2, v0, s0
; %bb.267:                              ;   in Loop: Header=BB183_38 Depth=1
	s_or_b32 exec_lo, exec_lo, s10
	v_lshlrev_b32_e32 v0, 16, v3
                                        ; implicit-def: $vgpr46
	s_delay_alu instid0(VALU_DEP_1) | instskip(NEXT) | instid1(VALU_DEP_1)
	v_mul_f32_e32 v0, v132, v0
	v_and_b32_e32 v1, 0x7f800000, v0
	s_delay_alu instid0(VALU_DEP_1) | instskip(NEXT) | instid1(VALU_DEP_1)
	v_cmp_ne_u32_e64 s0, 0x7f800000, v1
	s_and_saveexec_b32 s10, s0
	s_delay_alu instid0(SALU_CYCLE_1)
	s_xor_b32 s0, exec_lo, s10
; %bb.268:                              ;   in Loop: Header=BB183_38 Depth=1
	v_bfe_u32 v1, v0, 16, 1
	s_delay_alu instid0(VALU_DEP_1)
	v_add3_u32 v46, v0, v1, 0x7fff
                                        ; implicit-def: $vgpr0
; %bb.269:                              ;   in Loop: Header=BB183_38 Depth=1
	s_and_not1_saveexec_b32 s10, s0
; %bb.270:                              ;   in Loop: Header=BB183_38 Depth=1
	v_and_b32_e32 v1, 0xffff, v0
	v_or_b32_e32 v2, 0x10000, v0
	s_delay_alu instid0(VALU_DEP_2) | instskip(NEXT) | instid1(VALU_DEP_1)
	v_cmp_eq_u32_e64 s0, 0, v1
	v_cndmask_b32_e64 v46, v2, v0, s0
; %bb.271:                              ;   in Loop: Header=BB183_38 Depth=1
	s_or_b32 exec_lo, exec_lo, s10
	v_lshlrev_b32_e32 v0, 16, v4
                                        ; implicit-def: $vgpr47
	s_delay_alu instid0(VALU_DEP_1) | instskip(NEXT) | instid1(VALU_DEP_1)
	v_mul_f32_e32 v0, v133, v0
	v_and_b32_e32 v1, 0x7f800000, v0
	s_delay_alu instid0(VALU_DEP_1) | instskip(NEXT) | instid1(VALU_DEP_1)
	v_cmp_ne_u32_e64 s0, 0x7f800000, v1
	s_and_saveexec_b32 s10, s0
	s_delay_alu instid0(SALU_CYCLE_1)
	s_xor_b32 s0, exec_lo, s10
; %bb.272:                              ;   in Loop: Header=BB183_38 Depth=1
	v_bfe_u32 v1, v0, 16, 1
	s_delay_alu instid0(VALU_DEP_1)
	v_add3_u32 v47, v0, v1, 0x7fff
                                        ; implicit-def: $vgpr0
; %bb.273:                              ;   in Loop: Header=BB183_38 Depth=1
	s_and_not1_saveexec_b32 s10, s0
; %bb.274:                              ;   in Loop: Header=BB183_38 Depth=1
	v_and_b32_e32 v1, 0xffff, v0
	v_or_b32_e32 v2, 0x10000, v0
	s_delay_alu instid0(VALU_DEP_2) | instskip(NEXT) | instid1(VALU_DEP_1)
	v_cmp_eq_u32_e64 s0, 0, v1
	v_cndmask_b32_e64 v47, v2, v0, s0
; %bb.275:                              ;   in Loop: Header=BB183_38 Depth=1
	s_or_b32 exec_lo, exec_lo, s10
	flat_load_b128 v[0:3], v[6:7] offset:3072
	s_waitcnt vmcnt(0) lgkmcnt(0)
	v_lshrrev_b32_e32 v21, 16, v0
	v_lshrrev_b32_e32 v12, 16, v1
	;; [unrolled: 1-line block ×4, first 2 shown]
	s_and_saveexec_b32 s10, vcc_lo
	s_cbranch_execz .LBB183_277
; %bb.276:                              ;   in Loop: Header=BB183_38 Depth=1
	v_cmp_lt_i32_e64 s0, v85, v86
	s_delay_alu instid0(VALU_DEP_1) | instskip(SKIP_1) | instid1(VALU_DEP_1)
	v_cndmask_b32_e64 v0, 0, v0, s0
	v_cmp_lt_i32_e64 s0, v114, v86
	v_cndmask_b32_e64 v21, 0, v21, s0
	v_cmp_lt_i32_e64 s0, v113, v86
	s_delay_alu instid0(VALU_DEP_1) | instskip(SKIP_1) | instid1(VALU_DEP_1)
	v_cndmask_b32_e64 v1, 0, v1, s0
	v_cmp_lt_i32_e64 s0, v103, v86
	v_cndmask_b32_e64 v12, 0, v12, s0
	;; [unrolled: 5-line block ×4, first 2 shown]
.LBB183_277:                            ;   in Loop: Header=BB183_38 Depth=1
	s_or_b32 exec_lo, exec_lo, s10
	v_lshlrev_b32_e32 v0, 16, v0
                                        ; implicit-def: $vgpr56
	s_delay_alu instid0(VALU_DEP_1) | instskip(NEXT) | instid1(VALU_DEP_1)
	v_mul_f32_e32 v0, v118, v0
	v_and_b32_e32 v25, 0x7f800000, v0
	s_delay_alu instid0(VALU_DEP_1) | instskip(NEXT) | instid1(VALU_DEP_1)
	v_cmp_ne_u32_e64 s0, 0x7f800000, v25
	s_and_saveexec_b32 s10, s0
	s_delay_alu instid0(SALU_CYCLE_1)
	s_xor_b32 s0, exec_lo, s10
; %bb.278:                              ;   in Loop: Header=BB183_38 Depth=1
	v_bfe_u32 v25, v0, 16, 1
	s_delay_alu instid0(VALU_DEP_1)
	v_add3_u32 v56, v0, v25, 0x7fff
                                        ; implicit-def: $vgpr0
; %bb.279:                              ;   in Loop: Header=BB183_38 Depth=1
	s_and_not1_saveexec_b32 s10, s0
; %bb.280:                              ;   in Loop: Header=BB183_38 Depth=1
	v_and_b32_e32 v25, 0xffff, v0
	v_or_b32_e32 v39, 0x10000, v0
	s_delay_alu instid0(VALU_DEP_2) | instskip(NEXT) | instid1(VALU_DEP_1)
	v_cmp_eq_u32_e64 s0, 0, v25
	v_cndmask_b32_e64 v56, v39, v0, s0
; %bb.281:                              ;   in Loop: Header=BB183_38 Depth=1
	s_or_b32 exec_lo, exec_lo, s10
	v_lshlrev_b32_e32 v0, 16, v21
                                        ; implicit-def: $vgpr57
	s_delay_alu instid0(VALU_DEP_1) | instskip(NEXT) | instid1(VALU_DEP_1)
	v_mul_f32_e32 v0, v119, v0
	v_and_b32_e32 v21, 0x7f800000, v0
	s_delay_alu instid0(VALU_DEP_1) | instskip(NEXT) | instid1(VALU_DEP_1)
	v_cmp_ne_u32_e64 s0, 0x7f800000, v21
	s_and_saveexec_b32 s10, s0
	s_delay_alu instid0(SALU_CYCLE_1)
	s_xor_b32 s0, exec_lo, s10
; %bb.282:                              ;   in Loop: Header=BB183_38 Depth=1
	v_bfe_u32 v21, v0, 16, 1
	s_delay_alu instid0(VALU_DEP_1)
	v_add3_u32 v57, v0, v21, 0x7fff
                                        ; implicit-def: $vgpr0
; %bb.283:                              ;   in Loop: Header=BB183_38 Depth=1
	s_and_not1_saveexec_b32 s10, s0
; %bb.284:                              ;   in Loop: Header=BB183_38 Depth=1
	v_and_b32_e32 v21, 0xffff, v0
	v_or_b32_e32 v25, 0x10000, v0
	s_delay_alu instid0(VALU_DEP_2) | instskip(NEXT) | instid1(VALU_DEP_1)
	v_cmp_eq_u32_e64 s0, 0, v21
	v_cndmask_b32_e64 v57, v25, v0, s0
; %bb.285:                              ;   in Loop: Header=BB183_38 Depth=1
	s_or_b32 exec_lo, exec_lo, s10
	v_lshlrev_b32_e32 v0, 16, v1
                                        ; implicit-def: $vgpr58
	s_delay_alu instid0(VALU_DEP_1) | instskip(NEXT) | instid1(VALU_DEP_1)
	v_mul_f32_e32 v0, v128, v0
	v_and_b32_e32 v1, 0x7f800000, v0
	s_delay_alu instid0(VALU_DEP_1) | instskip(NEXT) | instid1(VALU_DEP_1)
	v_cmp_ne_u32_e64 s0, 0x7f800000, v1
	s_and_saveexec_b32 s10, s0
	s_delay_alu instid0(SALU_CYCLE_1)
	s_xor_b32 s0, exec_lo, s10
; %bb.286:                              ;   in Loop: Header=BB183_38 Depth=1
	v_bfe_u32 v1, v0, 16, 1
	s_delay_alu instid0(VALU_DEP_1)
	v_add3_u32 v58, v0, v1, 0x7fff
                                        ; implicit-def: $vgpr0
; %bb.287:                              ;   in Loop: Header=BB183_38 Depth=1
	s_and_not1_saveexec_b32 s10, s0
; %bb.288:                              ;   in Loop: Header=BB183_38 Depth=1
	v_and_b32_e32 v1, 0xffff, v0
	v_or_b32_e32 v21, 0x10000, v0
	s_delay_alu instid0(VALU_DEP_2) | instskip(NEXT) | instid1(VALU_DEP_1)
	v_cmp_eq_u32_e64 s0, 0, v1
	v_cndmask_b32_e64 v58, v21, v0, s0
; %bb.289:                              ;   in Loop: Header=BB183_38 Depth=1
	s_or_b32 exec_lo, exec_lo, s10
	v_lshlrev_b32_e32 v0, 16, v12
                                        ; implicit-def: $vgpr59
	s_delay_alu instid0(VALU_DEP_1) | instskip(NEXT) | instid1(VALU_DEP_1)
	v_mul_f32_e32 v0, v129, v0
	v_and_b32_e32 v1, 0x7f800000, v0
	s_delay_alu instid0(VALU_DEP_1) | instskip(NEXT) | instid1(VALU_DEP_1)
	v_cmp_ne_u32_e64 s0, 0x7f800000, v1
	s_and_saveexec_b32 s10, s0
	s_delay_alu instid0(SALU_CYCLE_1)
	s_xor_b32 s0, exec_lo, s10
; %bb.290:                              ;   in Loop: Header=BB183_38 Depth=1
	v_bfe_u32 v1, v0, 16, 1
	s_delay_alu instid0(VALU_DEP_1)
	v_add3_u32 v59, v0, v1, 0x7fff
                                        ; implicit-def: $vgpr0
; %bb.291:                              ;   in Loop: Header=BB183_38 Depth=1
	s_and_not1_saveexec_b32 s10, s0
; %bb.292:                              ;   in Loop: Header=BB183_38 Depth=1
	v_and_b32_e32 v1, 0xffff, v0
	v_or_b32_e32 v12, 0x10000, v0
	s_delay_alu instid0(VALU_DEP_2) | instskip(NEXT) | instid1(VALU_DEP_1)
	v_cmp_eq_u32_e64 s0, 0, v1
	v_cndmask_b32_e64 v59, v12, v0, s0
; %bb.293:                              ;   in Loop: Header=BB183_38 Depth=1
	s_or_b32 exec_lo, exec_lo, s10
	v_lshlrev_b32_e32 v0, 16, v2
                                        ; implicit-def: $vgpr60
	s_delay_alu instid0(VALU_DEP_1) | instskip(NEXT) | instid1(VALU_DEP_1)
	v_mul_f32_e32 v0, v130, v0
	v_and_b32_e32 v1, 0x7f800000, v0
	s_delay_alu instid0(VALU_DEP_1) | instskip(NEXT) | instid1(VALU_DEP_1)
	v_cmp_ne_u32_e64 s0, 0x7f800000, v1
	s_and_saveexec_b32 s10, s0
	s_delay_alu instid0(SALU_CYCLE_1)
	s_xor_b32 s0, exec_lo, s10
; %bb.294:                              ;   in Loop: Header=BB183_38 Depth=1
	v_bfe_u32 v1, v0, 16, 1
	s_delay_alu instid0(VALU_DEP_1)
	v_add3_u32 v60, v0, v1, 0x7fff
                                        ; implicit-def: $vgpr0
; %bb.295:                              ;   in Loop: Header=BB183_38 Depth=1
	s_and_not1_saveexec_b32 s10, s0
; %bb.296:                              ;   in Loop: Header=BB183_38 Depth=1
	v_and_b32_e32 v1, 0xffff, v0
	v_or_b32_e32 v2, 0x10000, v0
	s_delay_alu instid0(VALU_DEP_2) | instskip(NEXT) | instid1(VALU_DEP_1)
	v_cmp_eq_u32_e64 s0, 0, v1
	v_cndmask_b32_e64 v60, v2, v0, s0
; %bb.297:                              ;   in Loop: Header=BB183_38 Depth=1
	s_or_b32 exec_lo, exec_lo, s10
	v_lshlrev_b32_e32 v0, 16, v5
                                        ; implicit-def: $vgpr61
	s_delay_alu instid0(VALU_DEP_1) | instskip(NEXT) | instid1(VALU_DEP_1)
	v_mul_f32_e32 v0, v131, v0
	v_and_b32_e32 v1, 0x7f800000, v0
	s_delay_alu instid0(VALU_DEP_1) | instskip(NEXT) | instid1(VALU_DEP_1)
	v_cmp_ne_u32_e64 s0, 0x7f800000, v1
	s_and_saveexec_b32 s10, s0
	s_delay_alu instid0(SALU_CYCLE_1)
	s_xor_b32 s0, exec_lo, s10
; %bb.298:                              ;   in Loop: Header=BB183_38 Depth=1
	v_bfe_u32 v1, v0, 16, 1
	s_delay_alu instid0(VALU_DEP_1)
	v_add3_u32 v61, v0, v1, 0x7fff
                                        ; implicit-def: $vgpr0
; %bb.299:                              ;   in Loop: Header=BB183_38 Depth=1
	s_and_not1_saveexec_b32 s10, s0
; %bb.300:                              ;   in Loop: Header=BB183_38 Depth=1
	v_and_b32_e32 v1, 0xffff, v0
	v_or_b32_e32 v2, 0x10000, v0
	s_delay_alu instid0(VALU_DEP_2) | instskip(NEXT) | instid1(VALU_DEP_1)
	v_cmp_eq_u32_e64 s0, 0, v1
	v_cndmask_b32_e64 v61, v2, v0, s0
; %bb.301:                              ;   in Loop: Header=BB183_38 Depth=1
	s_or_b32 exec_lo, exec_lo, s10
	v_lshlrev_b32_e32 v0, 16, v3
                                        ; implicit-def: $vgpr62
	s_delay_alu instid0(VALU_DEP_1) | instskip(NEXT) | instid1(VALU_DEP_1)
	v_mul_f32_e32 v0, v132, v0
	v_and_b32_e32 v1, 0x7f800000, v0
	s_delay_alu instid0(VALU_DEP_1) | instskip(NEXT) | instid1(VALU_DEP_1)
	v_cmp_ne_u32_e64 s0, 0x7f800000, v1
	s_and_saveexec_b32 s10, s0
	s_delay_alu instid0(SALU_CYCLE_1)
	s_xor_b32 s0, exec_lo, s10
; %bb.302:                              ;   in Loop: Header=BB183_38 Depth=1
	v_bfe_u32 v1, v0, 16, 1
	s_delay_alu instid0(VALU_DEP_1)
	v_add3_u32 v62, v0, v1, 0x7fff
                                        ; implicit-def: $vgpr0
; %bb.303:                              ;   in Loop: Header=BB183_38 Depth=1
	s_and_not1_saveexec_b32 s10, s0
; %bb.304:                              ;   in Loop: Header=BB183_38 Depth=1
	v_and_b32_e32 v1, 0xffff, v0
	v_or_b32_e32 v2, 0x10000, v0
	s_delay_alu instid0(VALU_DEP_2) | instskip(NEXT) | instid1(VALU_DEP_1)
	v_cmp_eq_u32_e64 s0, 0, v1
	v_cndmask_b32_e64 v62, v2, v0, s0
; %bb.305:                              ;   in Loop: Header=BB183_38 Depth=1
	s_or_b32 exec_lo, exec_lo, s10
	v_lshlrev_b32_e32 v0, 16, v4
                                        ; implicit-def: $vgpr63
	s_delay_alu instid0(VALU_DEP_1) | instskip(NEXT) | instid1(VALU_DEP_1)
	v_mul_f32_e32 v0, v133, v0
	v_and_b32_e32 v1, 0x7f800000, v0
	s_delay_alu instid0(VALU_DEP_1) | instskip(NEXT) | instid1(VALU_DEP_1)
	v_cmp_ne_u32_e64 s0, 0x7f800000, v1
	s_and_saveexec_b32 s10, s0
	s_delay_alu instid0(SALU_CYCLE_1)
	s_xor_b32 s0, exec_lo, s10
; %bb.306:                              ;   in Loop: Header=BB183_38 Depth=1
	v_bfe_u32 v1, v0, 16, 1
	s_delay_alu instid0(VALU_DEP_1)
	v_add3_u32 v63, v0, v1, 0x7fff
                                        ; implicit-def: $vgpr0
; %bb.307:                              ;   in Loop: Header=BB183_38 Depth=1
	s_and_not1_saveexec_b32 s10, s0
; %bb.308:                              ;   in Loop: Header=BB183_38 Depth=1
	v_and_b32_e32 v1, 0xffff, v0
	v_or_b32_e32 v2, 0x10000, v0
	s_delay_alu instid0(VALU_DEP_2) | instskip(NEXT) | instid1(VALU_DEP_1)
	v_cmp_eq_u32_e64 s0, 0, v1
	v_cndmask_b32_e64 v63, v2, v0, s0
; %bb.309:                              ;   in Loop: Header=BB183_38 Depth=1
	s_or_b32 exec_lo, exec_lo, s10
	flat_load_b128 v[0:3], v[6:7] offset:3584
	s_waitcnt vmcnt(0) lgkmcnt(0)
	v_lshrrev_b32_e32 v7, 16, v0
	v_lshrrev_b32_e32 v12, 16, v1
	;; [unrolled: 1-line block ×4, first 2 shown]
	s_and_saveexec_b32 s10, vcc_lo
	s_cbranch_execz .LBB183_311
; %bb.310:                              ;   in Loop: Header=BB183_38 Depth=1
	v_cmp_lt_i32_e64 s0, v85, v86
	s_delay_alu instid0(VALU_DEP_1) | instskip(SKIP_1) | instid1(VALU_DEP_1)
	v_cndmask_b32_e64 v0, 0, v0, s0
	v_cmp_lt_i32_e64 s0, v114, v86
	v_cndmask_b32_e64 v7, 0, v7, s0
	v_cmp_lt_i32_e64 s0, v113, v86
	s_delay_alu instid0(VALU_DEP_1) | instskip(SKIP_1) | instid1(VALU_DEP_1)
	v_cndmask_b32_e64 v1, 0, v1, s0
	v_cmp_lt_i32_e64 s0, v103, v86
	v_cndmask_b32_e64 v12, 0, v12, s0
	;; [unrolled: 5-line block ×4, first 2 shown]
.LBB183_311:                            ;   in Loop: Header=BB183_38 Depth=1
	s_or_b32 exec_lo, exec_lo, s10
	v_lshlrev_b32_e32 v0, 16, v0
	s_delay_alu instid0(VALU_DEP_1) | instskip(NEXT) | instid1(VALU_DEP_1)
	v_mul_f32_e32 v0, v118, v0
	v_and_b32_e32 v6, 0x7f800000, v0
	s_delay_alu instid0(VALU_DEP_1) | instskip(NEXT) | instid1(VALU_DEP_1)
	v_cmp_ne_u32_e64 s0, 0x7f800000, v6
                                        ; implicit-def: $vgpr6
	s_and_saveexec_b32 s10, s0
	s_delay_alu instid0(SALU_CYCLE_1)
	s_xor_b32 s0, exec_lo, s10
; %bb.312:                              ;   in Loop: Header=BB183_38 Depth=1
	v_bfe_u32 v6, v0, 16, 1
	s_delay_alu instid0(VALU_DEP_1)
	v_add3_u32 v6, v0, v6, 0x7fff
                                        ; implicit-def: $vgpr0
; %bb.313:                              ;   in Loop: Header=BB183_38 Depth=1
	s_and_not1_saveexec_b32 s10, s0
; %bb.314:                              ;   in Loop: Header=BB183_38 Depth=1
	v_and_b32_e32 v6, 0xffff, v0
	v_or_b32_e32 v21, 0x10000, v0
	s_delay_alu instid0(VALU_DEP_2) | instskip(NEXT) | instid1(VALU_DEP_1)
	v_cmp_eq_u32_e64 s0, 0, v6
	v_cndmask_b32_e64 v6, v21, v0, s0
; %bb.315:                              ;   in Loop: Header=BB183_38 Depth=1
	s_or_b32 exec_lo, exec_lo, s10
	v_lshlrev_b32_e32 v0, 16, v7
	s_delay_alu instid0(VALU_DEP_1) | instskip(NEXT) | instid1(VALU_DEP_1)
	v_mul_f32_e32 v0, v119, v0
	v_and_b32_e32 v7, 0x7f800000, v0
	s_delay_alu instid0(VALU_DEP_1) | instskip(NEXT) | instid1(VALU_DEP_1)
	v_cmp_ne_u32_e64 s0, 0x7f800000, v7
                                        ; implicit-def: $vgpr7
	s_and_saveexec_b32 s10, s0
	s_delay_alu instid0(SALU_CYCLE_1)
	s_xor_b32 s0, exec_lo, s10
; %bb.316:                              ;   in Loop: Header=BB183_38 Depth=1
	v_bfe_u32 v7, v0, 16, 1
	s_delay_alu instid0(VALU_DEP_1)
	v_add3_u32 v7, v0, v7, 0x7fff
                                        ; implicit-def: $vgpr0
; %bb.317:                              ;   in Loop: Header=BB183_38 Depth=1
	s_and_not1_saveexec_b32 s10, s0
; %bb.318:                              ;   in Loop: Header=BB183_38 Depth=1
	v_and_b32_e32 v7, 0xffff, v0
	v_or_b32_e32 v21, 0x10000, v0
	s_delay_alu instid0(VALU_DEP_2) | instskip(NEXT) | instid1(VALU_DEP_1)
	v_cmp_eq_u32_e64 s0, 0, v7
	v_cndmask_b32_e64 v7, v21, v0, s0
; %bb.319:                              ;   in Loop: Header=BB183_38 Depth=1
	s_or_b32 exec_lo, exec_lo, s10
	v_lshlrev_b32_e32 v0, 16, v1
                                        ; implicit-def: $vgpr72
	s_delay_alu instid0(VALU_DEP_1) | instskip(NEXT) | instid1(VALU_DEP_1)
	v_mul_f32_e32 v0, v128, v0
	v_and_b32_e32 v1, 0x7f800000, v0
	s_delay_alu instid0(VALU_DEP_1) | instskip(NEXT) | instid1(VALU_DEP_1)
	v_cmp_ne_u32_e64 s0, 0x7f800000, v1
	s_and_saveexec_b32 s10, s0
	s_delay_alu instid0(SALU_CYCLE_1)
	s_xor_b32 s0, exec_lo, s10
; %bb.320:                              ;   in Loop: Header=BB183_38 Depth=1
	v_bfe_u32 v1, v0, 16, 1
	s_delay_alu instid0(VALU_DEP_1)
	v_add3_u32 v72, v0, v1, 0x7fff
                                        ; implicit-def: $vgpr0
; %bb.321:                              ;   in Loop: Header=BB183_38 Depth=1
	s_and_not1_saveexec_b32 s10, s0
; %bb.322:                              ;   in Loop: Header=BB183_38 Depth=1
	v_and_b32_e32 v1, 0xffff, v0
	v_or_b32_e32 v21, 0x10000, v0
	s_delay_alu instid0(VALU_DEP_2) | instskip(NEXT) | instid1(VALU_DEP_1)
	v_cmp_eq_u32_e64 s0, 0, v1
	v_cndmask_b32_e64 v72, v21, v0, s0
; %bb.323:                              ;   in Loop: Header=BB183_38 Depth=1
	s_or_b32 exec_lo, exec_lo, s10
	v_lshlrev_b32_e32 v0, 16, v12
                                        ; implicit-def: $vgpr73
	s_delay_alu instid0(VALU_DEP_1) | instskip(NEXT) | instid1(VALU_DEP_1)
	v_mul_f32_e32 v0, v129, v0
	v_and_b32_e32 v1, 0x7f800000, v0
	s_delay_alu instid0(VALU_DEP_1) | instskip(NEXT) | instid1(VALU_DEP_1)
	v_cmp_ne_u32_e64 s0, 0x7f800000, v1
	s_and_saveexec_b32 s10, s0
	s_delay_alu instid0(SALU_CYCLE_1)
	s_xor_b32 s0, exec_lo, s10
; %bb.324:                              ;   in Loop: Header=BB183_38 Depth=1
	v_bfe_u32 v1, v0, 16, 1
	s_delay_alu instid0(VALU_DEP_1)
	v_add3_u32 v73, v0, v1, 0x7fff
                                        ; implicit-def: $vgpr0
; %bb.325:                              ;   in Loop: Header=BB183_38 Depth=1
	s_and_not1_saveexec_b32 s10, s0
; %bb.326:                              ;   in Loop: Header=BB183_38 Depth=1
	v_and_b32_e32 v1, 0xffff, v0
	v_or_b32_e32 v12, 0x10000, v0
	s_delay_alu instid0(VALU_DEP_2) | instskip(NEXT) | instid1(VALU_DEP_1)
	v_cmp_eq_u32_e64 s0, 0, v1
	v_cndmask_b32_e64 v73, v12, v0, s0
; %bb.327:                              ;   in Loop: Header=BB183_38 Depth=1
	s_or_b32 exec_lo, exec_lo, s10
	v_lshlrev_b32_e32 v0, 16, v2
                                        ; implicit-def: $vgpr74
	s_delay_alu instid0(VALU_DEP_1) | instskip(NEXT) | instid1(VALU_DEP_1)
	v_mul_f32_e32 v0, v130, v0
	v_and_b32_e32 v1, 0x7f800000, v0
	s_delay_alu instid0(VALU_DEP_1) | instskip(NEXT) | instid1(VALU_DEP_1)
	v_cmp_ne_u32_e64 s0, 0x7f800000, v1
	s_and_saveexec_b32 s10, s0
	s_delay_alu instid0(SALU_CYCLE_1)
	s_xor_b32 s0, exec_lo, s10
; %bb.328:                              ;   in Loop: Header=BB183_38 Depth=1
	v_bfe_u32 v1, v0, 16, 1
	s_delay_alu instid0(VALU_DEP_1)
	v_add3_u32 v74, v0, v1, 0x7fff
                                        ; implicit-def: $vgpr0
; %bb.329:                              ;   in Loop: Header=BB183_38 Depth=1
	s_and_not1_saveexec_b32 s10, s0
; %bb.330:                              ;   in Loop: Header=BB183_38 Depth=1
	v_and_b32_e32 v1, 0xffff, v0
	v_or_b32_e32 v2, 0x10000, v0
	s_delay_alu instid0(VALU_DEP_2) | instskip(NEXT) | instid1(VALU_DEP_1)
	v_cmp_eq_u32_e64 s0, 0, v1
	v_cndmask_b32_e64 v74, v2, v0, s0
; %bb.331:                              ;   in Loop: Header=BB183_38 Depth=1
	s_or_b32 exec_lo, exec_lo, s10
	v_lshlrev_b32_e32 v0, 16, v5
                                        ; implicit-def: $vgpr75
	s_delay_alu instid0(VALU_DEP_1) | instskip(NEXT) | instid1(VALU_DEP_1)
	v_mul_f32_e32 v0, v131, v0
	v_and_b32_e32 v1, 0x7f800000, v0
	s_delay_alu instid0(VALU_DEP_1) | instskip(NEXT) | instid1(VALU_DEP_1)
	v_cmp_ne_u32_e64 s0, 0x7f800000, v1
	s_and_saveexec_b32 s10, s0
	s_delay_alu instid0(SALU_CYCLE_1)
	s_xor_b32 s0, exec_lo, s10
; %bb.332:                              ;   in Loop: Header=BB183_38 Depth=1
	v_bfe_u32 v1, v0, 16, 1
	s_delay_alu instid0(VALU_DEP_1)
	v_add3_u32 v75, v0, v1, 0x7fff
                                        ; implicit-def: $vgpr0
; %bb.333:                              ;   in Loop: Header=BB183_38 Depth=1
	s_and_not1_saveexec_b32 s10, s0
; %bb.334:                              ;   in Loop: Header=BB183_38 Depth=1
	v_and_b32_e32 v1, 0xffff, v0
	v_or_b32_e32 v2, 0x10000, v0
	s_delay_alu instid0(VALU_DEP_2) | instskip(NEXT) | instid1(VALU_DEP_1)
	v_cmp_eq_u32_e64 s0, 0, v1
	v_cndmask_b32_e64 v75, v2, v0, s0
; %bb.335:                              ;   in Loop: Header=BB183_38 Depth=1
	s_or_b32 exec_lo, exec_lo, s10
	v_lshlrev_b32_e32 v0, 16, v3
                                        ; implicit-def: $vgpr76
	s_delay_alu instid0(VALU_DEP_1) | instskip(NEXT) | instid1(VALU_DEP_1)
	v_mul_f32_e32 v0, v132, v0
	v_and_b32_e32 v1, 0x7f800000, v0
	s_delay_alu instid0(VALU_DEP_1) | instskip(NEXT) | instid1(VALU_DEP_1)
	v_cmp_ne_u32_e64 s0, 0x7f800000, v1
	s_and_saveexec_b32 s10, s0
	s_delay_alu instid0(SALU_CYCLE_1)
	s_xor_b32 s0, exec_lo, s10
; %bb.336:                              ;   in Loop: Header=BB183_38 Depth=1
	v_bfe_u32 v1, v0, 16, 1
	s_delay_alu instid0(VALU_DEP_1)
	v_add3_u32 v76, v0, v1, 0x7fff
                                        ; implicit-def: $vgpr0
; %bb.337:                              ;   in Loop: Header=BB183_38 Depth=1
	s_and_not1_saveexec_b32 s10, s0
; %bb.338:                              ;   in Loop: Header=BB183_38 Depth=1
	v_and_b32_e32 v1, 0xffff, v0
	v_or_b32_e32 v2, 0x10000, v0
	s_delay_alu instid0(VALU_DEP_2) | instskip(NEXT) | instid1(VALU_DEP_1)
	v_cmp_eq_u32_e64 s0, 0, v1
	v_cndmask_b32_e64 v76, v2, v0, s0
; %bb.339:                              ;   in Loop: Header=BB183_38 Depth=1
	s_or_b32 exec_lo, exec_lo, s10
	v_lshlrev_b32_e32 v0, 16, v4
                                        ; implicit-def: $vgpr77
	s_delay_alu instid0(VALU_DEP_1) | instskip(NEXT) | instid1(VALU_DEP_1)
	v_mul_f32_e32 v0, v133, v0
	v_and_b32_e32 v1, 0x7f800000, v0
	s_delay_alu instid0(VALU_DEP_1) | instskip(NEXT) | instid1(VALU_DEP_1)
	v_cmp_ne_u32_e64 s0, 0x7f800000, v1
	s_and_saveexec_b32 s10, s0
	s_delay_alu instid0(SALU_CYCLE_1)
	s_xor_b32 s0, exec_lo, s10
; %bb.340:                              ;   in Loop: Header=BB183_38 Depth=1
	v_bfe_u32 v1, v0, 16, 1
	s_delay_alu instid0(VALU_DEP_1)
	v_add3_u32 v77, v0, v1, 0x7fff
                                        ; implicit-def: $vgpr0
; %bb.341:                              ;   in Loop: Header=BB183_38 Depth=1
	s_and_not1_saveexec_b32 s10, s0
; %bb.342:                              ;   in Loop: Header=BB183_38 Depth=1
	v_and_b32_e32 v1, 0xffff, v0
	v_or_b32_e32 v2, 0x10000, v0
	s_delay_alu instid0(VALU_DEP_2) | instskip(NEXT) | instid1(VALU_DEP_1)
	v_cmp_eq_u32_e64 s0, 0, v1
	v_cndmask_b32_e64 v77, v2, v0, s0
; %bb.343:                              ;   in Loop: Header=BB183_38 Depth=1
	s_or_b32 exec_lo, exec_lo, s10
	v_add_co_u32 v0, s0, v115, v14
	s_delay_alu instid0(VALU_DEP_1)
	v_add_co_ci_u32_e64 v1, s0, 0, v116, s0
	flat_load_b128 v[0:3], v[0:1]
	s_waitcnt vmcnt(0) lgkmcnt(0)
	v_lshrrev_b32_e32 v21, 16, v0
	v_lshrrev_b32_e32 v12, 16, v1
	;; [unrolled: 1-line block ×4, first 2 shown]
	s_and_saveexec_b32 s10, vcc_lo
	s_cbranch_execz .LBB183_345
; %bb.344:                              ;   in Loop: Header=BB183_38 Depth=1
	v_cmp_lt_i32_e64 s0, v85, v86
	s_delay_alu instid0(VALU_DEP_1) | instskip(SKIP_1) | instid1(VALU_DEP_1)
	v_cndmask_b32_e64 v0, 0, v0, s0
	v_cmp_lt_i32_e64 s0, v114, v86
	v_cndmask_b32_e64 v21, 0, v21, s0
	v_cmp_lt_i32_e64 s0, v113, v86
	s_delay_alu instid0(VALU_DEP_1) | instskip(SKIP_1) | instid1(VALU_DEP_1)
	v_cndmask_b32_e64 v1, 0, v1, s0
	v_cmp_lt_i32_e64 s0, v103, v86
	v_cndmask_b32_e64 v12, 0, v12, s0
	;; [unrolled: 5-line block ×4, first 2 shown]
.LBB183_345:                            ;   in Loop: Header=BB183_38 Depth=1
	s_or_b32 exec_lo, exec_lo, s10
	v_lshlrev_b32_e32 v0, 16, v0
                                        ; implicit-def: $vgpr78
	s_delay_alu instid0(VALU_DEP_1) | instskip(NEXT) | instid1(VALU_DEP_1)
	v_mul_f32_e32 v0, v118, v0
	v_and_b32_e32 v25, 0x7f800000, v0
	s_delay_alu instid0(VALU_DEP_1) | instskip(NEXT) | instid1(VALU_DEP_1)
	v_cmp_ne_u32_e64 s0, 0x7f800000, v25
	s_and_saveexec_b32 s10, s0
	s_delay_alu instid0(SALU_CYCLE_1)
	s_xor_b32 s0, exec_lo, s10
; %bb.346:                              ;   in Loop: Header=BB183_38 Depth=1
	v_bfe_u32 v25, v0, 16, 1
	s_delay_alu instid0(VALU_DEP_1)
	v_add3_u32 v78, v0, v25, 0x7fff
                                        ; implicit-def: $vgpr0
; %bb.347:                              ;   in Loop: Header=BB183_38 Depth=1
	s_and_not1_saveexec_b32 s10, s0
; %bb.348:                              ;   in Loop: Header=BB183_38 Depth=1
	v_and_b32_e32 v25, 0xffff, v0
	v_or_b32_e32 v39, 0x10000, v0
	s_delay_alu instid0(VALU_DEP_2) | instskip(NEXT) | instid1(VALU_DEP_1)
	v_cmp_eq_u32_e64 s0, 0, v25
	v_cndmask_b32_e64 v78, v39, v0, s0
; %bb.349:                              ;   in Loop: Header=BB183_38 Depth=1
	s_or_b32 exec_lo, exec_lo, s10
	v_lshlrev_b32_e32 v0, 16, v21
                                        ; implicit-def: $vgpr79
	s_delay_alu instid0(VALU_DEP_1) | instskip(NEXT) | instid1(VALU_DEP_1)
	v_mul_f32_e32 v0, v119, v0
	v_and_b32_e32 v21, 0x7f800000, v0
	s_delay_alu instid0(VALU_DEP_1) | instskip(NEXT) | instid1(VALU_DEP_1)
	v_cmp_ne_u32_e64 s0, 0x7f800000, v21
	s_and_saveexec_b32 s10, s0
	s_delay_alu instid0(SALU_CYCLE_1)
	s_xor_b32 s0, exec_lo, s10
; %bb.350:                              ;   in Loop: Header=BB183_38 Depth=1
	v_bfe_u32 v21, v0, 16, 1
	s_delay_alu instid0(VALU_DEP_1)
	v_add3_u32 v79, v0, v21, 0x7fff
                                        ; implicit-def: $vgpr0
; %bb.351:                              ;   in Loop: Header=BB183_38 Depth=1
	s_and_not1_saveexec_b32 s10, s0
; %bb.352:                              ;   in Loop: Header=BB183_38 Depth=1
	v_and_b32_e32 v21, 0xffff, v0
	v_or_b32_e32 v25, 0x10000, v0
	s_delay_alu instid0(VALU_DEP_2) | instskip(NEXT) | instid1(VALU_DEP_1)
	v_cmp_eq_u32_e64 s0, 0, v21
	v_cndmask_b32_e64 v79, v25, v0, s0
; %bb.353:                              ;   in Loop: Header=BB183_38 Depth=1
	s_or_b32 exec_lo, exec_lo, s10
	v_lshlrev_b32_e32 v0, 16, v1
                                        ; implicit-def: $vgpr88
	s_delay_alu instid0(VALU_DEP_1) | instskip(NEXT) | instid1(VALU_DEP_1)
	v_mul_f32_e32 v0, v128, v0
	v_and_b32_e32 v1, 0x7f800000, v0
	s_delay_alu instid0(VALU_DEP_1) | instskip(NEXT) | instid1(VALU_DEP_1)
	v_cmp_ne_u32_e64 s0, 0x7f800000, v1
	s_and_saveexec_b32 s10, s0
	s_delay_alu instid0(SALU_CYCLE_1)
	s_xor_b32 s0, exec_lo, s10
; %bb.354:                              ;   in Loop: Header=BB183_38 Depth=1
	v_bfe_u32 v1, v0, 16, 1
	s_delay_alu instid0(VALU_DEP_1)
	v_add3_u32 v88, v0, v1, 0x7fff
                                        ; implicit-def: $vgpr0
; %bb.355:                              ;   in Loop: Header=BB183_38 Depth=1
	s_and_not1_saveexec_b32 s10, s0
; %bb.356:                              ;   in Loop: Header=BB183_38 Depth=1
	v_and_b32_e32 v1, 0xffff, v0
	v_or_b32_e32 v21, 0x10000, v0
	s_delay_alu instid0(VALU_DEP_2) | instskip(NEXT) | instid1(VALU_DEP_1)
	v_cmp_eq_u32_e64 s0, 0, v1
	v_cndmask_b32_e64 v88, v21, v0, s0
; %bb.357:                              ;   in Loop: Header=BB183_38 Depth=1
	s_or_b32 exec_lo, exec_lo, s10
	v_lshlrev_b32_e32 v0, 16, v12
                                        ; implicit-def: $vgpr89
	s_delay_alu instid0(VALU_DEP_1) | instskip(NEXT) | instid1(VALU_DEP_1)
	v_mul_f32_e32 v0, v129, v0
	v_and_b32_e32 v1, 0x7f800000, v0
	s_delay_alu instid0(VALU_DEP_1) | instskip(NEXT) | instid1(VALU_DEP_1)
	v_cmp_ne_u32_e64 s0, 0x7f800000, v1
	s_and_saveexec_b32 s10, s0
	s_delay_alu instid0(SALU_CYCLE_1)
	s_xor_b32 s0, exec_lo, s10
; %bb.358:                              ;   in Loop: Header=BB183_38 Depth=1
	v_bfe_u32 v1, v0, 16, 1
	s_delay_alu instid0(VALU_DEP_1)
	v_add3_u32 v89, v0, v1, 0x7fff
                                        ; implicit-def: $vgpr0
; %bb.359:                              ;   in Loop: Header=BB183_38 Depth=1
	s_and_not1_saveexec_b32 s10, s0
; %bb.360:                              ;   in Loop: Header=BB183_38 Depth=1
	v_and_b32_e32 v1, 0xffff, v0
	v_or_b32_e32 v12, 0x10000, v0
	s_delay_alu instid0(VALU_DEP_2) | instskip(NEXT) | instid1(VALU_DEP_1)
	v_cmp_eq_u32_e64 s0, 0, v1
	v_cndmask_b32_e64 v89, v12, v0, s0
; %bb.361:                              ;   in Loop: Header=BB183_38 Depth=1
	s_or_b32 exec_lo, exec_lo, s10
	v_lshlrev_b32_e32 v0, 16, v2
                                        ; implicit-def: $vgpr90
	s_delay_alu instid0(VALU_DEP_1) | instskip(NEXT) | instid1(VALU_DEP_1)
	v_mul_f32_e32 v0, v130, v0
	v_and_b32_e32 v1, 0x7f800000, v0
	s_delay_alu instid0(VALU_DEP_1) | instskip(NEXT) | instid1(VALU_DEP_1)
	v_cmp_ne_u32_e64 s0, 0x7f800000, v1
	s_and_saveexec_b32 s10, s0
	s_delay_alu instid0(SALU_CYCLE_1)
	s_xor_b32 s0, exec_lo, s10
; %bb.362:                              ;   in Loop: Header=BB183_38 Depth=1
	v_bfe_u32 v1, v0, 16, 1
	s_delay_alu instid0(VALU_DEP_1)
	v_add3_u32 v90, v0, v1, 0x7fff
                                        ; implicit-def: $vgpr0
; %bb.363:                              ;   in Loop: Header=BB183_38 Depth=1
	s_and_not1_saveexec_b32 s10, s0
; %bb.364:                              ;   in Loop: Header=BB183_38 Depth=1
	v_and_b32_e32 v1, 0xffff, v0
	v_or_b32_e32 v2, 0x10000, v0
	s_delay_alu instid0(VALU_DEP_2) | instskip(NEXT) | instid1(VALU_DEP_1)
	v_cmp_eq_u32_e64 s0, 0, v1
	v_cndmask_b32_e64 v90, v2, v0, s0
; %bb.365:                              ;   in Loop: Header=BB183_38 Depth=1
	s_or_b32 exec_lo, exec_lo, s10
	v_lshlrev_b32_e32 v0, 16, v5
                                        ; implicit-def: $vgpr91
	s_delay_alu instid0(VALU_DEP_1) | instskip(NEXT) | instid1(VALU_DEP_1)
	v_mul_f32_e32 v0, v131, v0
	v_and_b32_e32 v1, 0x7f800000, v0
	s_delay_alu instid0(VALU_DEP_1) | instskip(NEXT) | instid1(VALU_DEP_1)
	v_cmp_ne_u32_e64 s0, 0x7f800000, v1
	s_and_saveexec_b32 s10, s0
	s_delay_alu instid0(SALU_CYCLE_1)
	s_xor_b32 s0, exec_lo, s10
; %bb.366:                              ;   in Loop: Header=BB183_38 Depth=1
	v_bfe_u32 v1, v0, 16, 1
	s_delay_alu instid0(VALU_DEP_1)
	v_add3_u32 v91, v0, v1, 0x7fff
                                        ; implicit-def: $vgpr0
; %bb.367:                              ;   in Loop: Header=BB183_38 Depth=1
	s_and_not1_saveexec_b32 s10, s0
; %bb.368:                              ;   in Loop: Header=BB183_38 Depth=1
	v_and_b32_e32 v1, 0xffff, v0
	v_or_b32_e32 v2, 0x10000, v0
	s_delay_alu instid0(VALU_DEP_2) | instskip(NEXT) | instid1(VALU_DEP_1)
	v_cmp_eq_u32_e64 s0, 0, v1
	v_cndmask_b32_e64 v91, v2, v0, s0
; %bb.369:                              ;   in Loop: Header=BB183_38 Depth=1
	s_or_b32 exec_lo, exec_lo, s10
	v_lshlrev_b32_e32 v0, 16, v3
                                        ; implicit-def: $vgpr92
	s_delay_alu instid0(VALU_DEP_1) | instskip(NEXT) | instid1(VALU_DEP_1)
	v_mul_f32_e32 v0, v132, v0
	v_and_b32_e32 v1, 0x7f800000, v0
	s_delay_alu instid0(VALU_DEP_1) | instskip(NEXT) | instid1(VALU_DEP_1)
	v_cmp_ne_u32_e64 s0, 0x7f800000, v1
	s_and_saveexec_b32 s10, s0
	s_delay_alu instid0(SALU_CYCLE_1)
	s_xor_b32 s0, exec_lo, s10
; %bb.370:                              ;   in Loop: Header=BB183_38 Depth=1
	v_bfe_u32 v1, v0, 16, 1
	s_delay_alu instid0(VALU_DEP_1)
	v_add3_u32 v92, v0, v1, 0x7fff
                                        ; implicit-def: $vgpr0
; %bb.371:                              ;   in Loop: Header=BB183_38 Depth=1
	s_and_not1_saveexec_b32 s10, s0
; %bb.372:                              ;   in Loop: Header=BB183_38 Depth=1
	v_and_b32_e32 v1, 0xffff, v0
	v_or_b32_e32 v2, 0x10000, v0
	s_delay_alu instid0(VALU_DEP_2) | instskip(NEXT) | instid1(VALU_DEP_1)
	v_cmp_eq_u32_e64 s0, 0, v1
	v_cndmask_b32_e64 v92, v2, v0, s0
; %bb.373:                              ;   in Loop: Header=BB183_38 Depth=1
	s_or_b32 exec_lo, exec_lo, s10
	v_lshlrev_b32_e32 v0, 16, v4
                                        ; implicit-def: $vgpr93
	s_delay_alu instid0(VALU_DEP_1) | instskip(NEXT) | instid1(VALU_DEP_1)
	v_mul_f32_e32 v0, v133, v0
	v_and_b32_e32 v1, 0x7f800000, v0
	s_delay_alu instid0(VALU_DEP_1) | instskip(NEXT) | instid1(VALU_DEP_1)
	v_cmp_ne_u32_e64 s0, 0x7f800000, v1
	s_and_saveexec_b32 s10, s0
	s_delay_alu instid0(SALU_CYCLE_1)
	s_xor_b32 s0, exec_lo, s10
; %bb.374:                              ;   in Loop: Header=BB183_38 Depth=1
	v_bfe_u32 v1, v0, 16, 1
	s_delay_alu instid0(VALU_DEP_1)
	v_add3_u32 v93, v0, v1, 0x7fff
                                        ; implicit-def: $vgpr0
; %bb.375:                              ;   in Loop: Header=BB183_38 Depth=1
	s_and_not1_saveexec_b32 s10, s0
; %bb.376:                              ;   in Loop: Header=BB183_38 Depth=1
	v_and_b32_e32 v1, 0xffff, v0
	v_or_b32_e32 v2, 0x10000, v0
	s_delay_alu instid0(VALU_DEP_2) | instskip(NEXT) | instid1(VALU_DEP_1)
	v_cmp_eq_u32_e64 s0, 0, v1
	v_cndmask_b32_e64 v93, v2, v0, s0
; %bb.377:                              ;   in Loop: Header=BB183_38 Depth=1
	s_or_b32 exec_lo, exec_lo, s10
	v_add_co_u32 v0, s0, v115, v15
	s_delay_alu instid0(VALU_DEP_1)
	v_add_co_ci_u32_e64 v1, s0, 0, v116, s0
	flat_load_b128 v[0:3], v[0:1]
	s_waitcnt vmcnt(0) lgkmcnt(0)
	v_lshrrev_b32_e32 v12, 16, v0
	v_lshrrev_b32_e32 v5, 16, v1
	v_lshrrev_b32_e32 v4, 16, v2
	v_lshrrev_b32_e32 v21, 16, v3
	s_and_saveexec_b32 s10, vcc_lo
	s_cbranch_execz .LBB183_379
; %bb.378:                              ;   in Loop: Header=BB183_38 Depth=1
	v_cmp_lt_i32_e64 s0, v85, v86
	s_delay_alu instid0(VALU_DEP_1) | instskip(SKIP_1) | instid1(VALU_DEP_1)
	v_cndmask_b32_e64 v0, 0, v0, s0
	v_cmp_lt_i32_e64 s0, v114, v86
	v_cndmask_b32_e64 v12, 0, v12, s0
	v_cmp_lt_i32_e64 s0, v113, v86
	s_delay_alu instid0(VALU_DEP_1) | instskip(SKIP_1) | instid1(VALU_DEP_1)
	v_cndmask_b32_e64 v1, 0, v1, s0
	v_cmp_lt_i32_e64 s0, v103, v86
	v_cndmask_b32_e64 v5, 0, v5, s0
	;; [unrolled: 5-line block ×4, first 2 shown]
.LBB183_379:                            ;   in Loop: Header=BB183_38 Depth=1
	s_or_b32 exec_lo, exec_lo, s10
	v_lshlrev_b32_e32 v0, 16, v0
                                        ; implicit-def: $vgpr94
	s_delay_alu instid0(VALU_DEP_1) | instskip(NEXT) | instid1(VALU_DEP_1)
	v_mul_f32_e32 v0, v118, v0
	v_and_b32_e32 v25, 0x7f800000, v0
	s_delay_alu instid0(VALU_DEP_1) | instskip(NEXT) | instid1(VALU_DEP_1)
	v_cmp_ne_u32_e64 s0, 0x7f800000, v25
	s_and_saveexec_b32 s10, s0
	s_delay_alu instid0(SALU_CYCLE_1)
	s_xor_b32 s0, exec_lo, s10
; %bb.380:                              ;   in Loop: Header=BB183_38 Depth=1
	v_bfe_u32 v25, v0, 16, 1
	s_delay_alu instid0(VALU_DEP_1)
	v_add3_u32 v94, v0, v25, 0x7fff
                                        ; implicit-def: $vgpr0
; %bb.381:                              ;   in Loop: Header=BB183_38 Depth=1
	s_and_not1_saveexec_b32 s10, s0
; %bb.382:                              ;   in Loop: Header=BB183_38 Depth=1
	v_and_b32_e32 v25, 0xffff, v0
	v_or_b32_e32 v39, 0x10000, v0
	s_delay_alu instid0(VALU_DEP_2) | instskip(NEXT) | instid1(VALU_DEP_1)
	v_cmp_eq_u32_e64 s0, 0, v25
	v_cndmask_b32_e64 v94, v39, v0, s0
; %bb.383:                              ;   in Loop: Header=BB183_38 Depth=1
	s_or_b32 exec_lo, exec_lo, s10
	v_lshlrev_b32_e32 v0, 16, v12
                                        ; implicit-def: $vgpr95
	s_delay_alu instid0(VALU_DEP_1) | instskip(NEXT) | instid1(VALU_DEP_1)
	v_mul_f32_e32 v0, v119, v0
	v_and_b32_e32 v12, 0x7f800000, v0
	s_delay_alu instid0(VALU_DEP_1) | instskip(NEXT) | instid1(VALU_DEP_1)
	v_cmp_ne_u32_e64 s0, 0x7f800000, v12
	s_and_saveexec_b32 s10, s0
	s_delay_alu instid0(SALU_CYCLE_1)
	s_xor_b32 s0, exec_lo, s10
; %bb.384:                              ;   in Loop: Header=BB183_38 Depth=1
	v_bfe_u32 v12, v0, 16, 1
	s_delay_alu instid0(VALU_DEP_1)
	v_add3_u32 v95, v0, v12, 0x7fff
                                        ; implicit-def: $vgpr0
; %bb.385:                              ;   in Loop: Header=BB183_38 Depth=1
	s_and_not1_saveexec_b32 s10, s0
; %bb.386:                              ;   in Loop: Header=BB183_38 Depth=1
	v_and_b32_e32 v12, 0xffff, v0
	v_or_b32_e32 v25, 0x10000, v0
	s_delay_alu instid0(VALU_DEP_2) | instskip(NEXT) | instid1(VALU_DEP_1)
	v_cmp_eq_u32_e64 s0, 0, v12
	v_cndmask_b32_e64 v95, v25, v0, s0
; %bb.387:                              ;   in Loop: Header=BB183_38 Depth=1
	s_or_b32 exec_lo, exec_lo, s10
	v_lshlrev_b32_e32 v0, 16, v1
                                        ; implicit-def: $vgpr12
	s_delay_alu instid0(VALU_DEP_1) | instskip(NEXT) | instid1(VALU_DEP_1)
	v_mul_f32_e32 v0, v128, v0
	v_and_b32_e32 v1, 0x7f800000, v0
	s_delay_alu instid0(VALU_DEP_1) | instskip(NEXT) | instid1(VALU_DEP_1)
	v_cmp_ne_u32_e64 s0, 0x7f800000, v1
	s_and_saveexec_b32 s10, s0
	s_delay_alu instid0(SALU_CYCLE_1)
	s_xor_b32 s0, exec_lo, s10
; %bb.388:                              ;   in Loop: Header=BB183_38 Depth=1
	v_bfe_u32 v1, v0, 16, 1
	s_delay_alu instid0(VALU_DEP_1)
	v_add3_u32 v12, v0, v1, 0x7fff
                                        ; implicit-def: $vgpr0
; %bb.389:                              ;   in Loop: Header=BB183_38 Depth=1
	s_and_not1_saveexec_b32 s10, s0
; %bb.390:                              ;   in Loop: Header=BB183_38 Depth=1
	v_and_b32_e32 v1, 0xffff, v0
	v_or_b32_e32 v12, 0x10000, v0
	s_delay_alu instid0(VALU_DEP_2) | instskip(NEXT) | instid1(VALU_DEP_1)
	v_cmp_eq_u32_e64 s0, 0, v1
	v_cndmask_b32_e64 v12, v12, v0, s0
; %bb.391:                              ;   in Loop: Header=BB183_38 Depth=1
	s_or_b32 exec_lo, exec_lo, s10
	v_lshlrev_b32_e32 v0, 16, v5
                                        ; implicit-def: $vgpr5
	s_delay_alu instid0(VALU_DEP_1) | instskip(NEXT) | instid1(VALU_DEP_1)
	v_mul_f32_e32 v0, v129, v0
	v_and_b32_e32 v1, 0x7f800000, v0
	s_delay_alu instid0(VALU_DEP_1) | instskip(NEXT) | instid1(VALU_DEP_1)
	v_cmp_ne_u32_e64 s0, 0x7f800000, v1
	s_and_saveexec_b32 s10, s0
	s_delay_alu instid0(SALU_CYCLE_1)
	s_xor_b32 s0, exec_lo, s10
; %bb.392:                              ;   in Loop: Header=BB183_38 Depth=1
	v_bfe_u32 v1, v0, 16, 1
	s_delay_alu instid0(VALU_DEP_1)
	v_add3_u32 v5, v0, v1, 0x7fff
                                        ; implicit-def: $vgpr0
; %bb.393:                              ;   in Loop: Header=BB183_38 Depth=1
	s_and_not1_saveexec_b32 s10, s0
; %bb.394:                              ;   in Loop: Header=BB183_38 Depth=1
	v_and_b32_e32 v1, 0xffff, v0
	v_or_b32_e32 v5, 0x10000, v0
	s_delay_alu instid0(VALU_DEP_2) | instskip(NEXT) | instid1(VALU_DEP_1)
	v_cmp_eq_u32_e64 s0, 0, v1
	v_cndmask_b32_e64 v5, v5, v0, s0
; %bb.395:                              ;   in Loop: Header=BB183_38 Depth=1
	s_or_b32 exec_lo, exec_lo, s10
	v_lshlrev_b32_e32 v0, 16, v2
                                        ; implicit-def: $vgpr104
	s_delay_alu instid0(VALU_DEP_1) | instskip(NEXT) | instid1(VALU_DEP_1)
	v_mul_f32_e32 v0, v130, v0
	v_and_b32_e32 v1, 0x7f800000, v0
	s_delay_alu instid0(VALU_DEP_1) | instskip(NEXT) | instid1(VALU_DEP_1)
	v_cmp_ne_u32_e64 s0, 0x7f800000, v1
	s_and_saveexec_b32 s10, s0
	s_delay_alu instid0(SALU_CYCLE_1)
	s_xor_b32 s0, exec_lo, s10
; %bb.396:                              ;   in Loop: Header=BB183_38 Depth=1
	v_bfe_u32 v1, v0, 16, 1
	s_delay_alu instid0(VALU_DEP_1)
	v_add3_u32 v104, v0, v1, 0x7fff
                                        ; implicit-def: $vgpr0
; %bb.397:                              ;   in Loop: Header=BB183_38 Depth=1
	s_and_not1_saveexec_b32 s10, s0
; %bb.398:                              ;   in Loop: Header=BB183_38 Depth=1
	v_and_b32_e32 v1, 0xffff, v0
	v_or_b32_e32 v2, 0x10000, v0
	s_delay_alu instid0(VALU_DEP_2) | instskip(NEXT) | instid1(VALU_DEP_1)
	v_cmp_eq_u32_e64 s0, 0, v1
	v_cndmask_b32_e64 v104, v2, v0, s0
; %bb.399:                              ;   in Loop: Header=BB183_38 Depth=1
	s_or_b32 exec_lo, exec_lo, s10
	v_lshlrev_b32_e32 v0, 16, v4
                                        ; implicit-def: $vgpr105
	s_delay_alu instid0(VALU_DEP_1) | instskip(NEXT) | instid1(VALU_DEP_1)
	v_mul_f32_e32 v0, v131, v0
	v_and_b32_e32 v1, 0x7f800000, v0
	s_delay_alu instid0(VALU_DEP_1) | instskip(NEXT) | instid1(VALU_DEP_1)
	v_cmp_ne_u32_e64 s0, 0x7f800000, v1
	s_and_saveexec_b32 s10, s0
	s_delay_alu instid0(SALU_CYCLE_1)
	s_xor_b32 s0, exec_lo, s10
; %bb.400:                              ;   in Loop: Header=BB183_38 Depth=1
	v_bfe_u32 v1, v0, 16, 1
	s_delay_alu instid0(VALU_DEP_1)
	v_add3_u32 v105, v0, v1, 0x7fff
                                        ; implicit-def: $vgpr0
; %bb.401:                              ;   in Loop: Header=BB183_38 Depth=1
	s_and_not1_saveexec_b32 s10, s0
; %bb.402:                              ;   in Loop: Header=BB183_38 Depth=1
	v_and_b32_e32 v1, 0xffff, v0
	v_or_b32_e32 v2, 0x10000, v0
	s_delay_alu instid0(VALU_DEP_2) | instskip(NEXT) | instid1(VALU_DEP_1)
	v_cmp_eq_u32_e64 s0, 0, v1
	v_cndmask_b32_e64 v105, v2, v0, s0
; %bb.403:                              ;   in Loop: Header=BB183_38 Depth=1
	s_or_b32 exec_lo, exec_lo, s10
	v_lshlrev_b32_e32 v0, 16, v3
                                        ; implicit-def: $vgpr4
	s_delay_alu instid0(VALU_DEP_1) | instskip(NEXT) | instid1(VALU_DEP_1)
	v_mul_f32_e32 v0, v132, v0
	v_and_b32_e32 v1, 0x7f800000, v0
	s_delay_alu instid0(VALU_DEP_1) | instskip(NEXT) | instid1(VALU_DEP_1)
	v_cmp_ne_u32_e64 s0, 0x7f800000, v1
	s_and_saveexec_b32 s10, s0
	s_delay_alu instid0(SALU_CYCLE_1)
	s_xor_b32 s0, exec_lo, s10
; %bb.404:                              ;   in Loop: Header=BB183_38 Depth=1
	v_bfe_u32 v1, v0, 16, 1
	s_delay_alu instid0(VALU_DEP_1)
	v_add3_u32 v4, v0, v1, 0x7fff
                                        ; implicit-def: $vgpr0
; %bb.405:                              ;   in Loop: Header=BB183_38 Depth=1
	s_and_not1_saveexec_b32 s10, s0
; %bb.406:                              ;   in Loop: Header=BB183_38 Depth=1
	v_and_b32_e32 v1, 0xffff, v0
	v_or_b32_e32 v2, 0x10000, v0
	s_delay_alu instid0(VALU_DEP_2) | instskip(NEXT) | instid1(VALU_DEP_1)
	v_cmp_eq_u32_e64 s0, 0, v1
	v_cndmask_b32_e64 v4, v2, v0, s0
; %bb.407:                              ;   in Loop: Header=BB183_38 Depth=1
	s_or_b32 exec_lo, exec_lo, s10
	v_lshlrev_b32_e32 v0, 16, v21
                                        ; implicit-def: $vgpr106
	s_delay_alu instid0(VALU_DEP_1) | instskip(NEXT) | instid1(VALU_DEP_1)
	v_mul_f32_e32 v0, v133, v0
	v_and_b32_e32 v1, 0x7f800000, v0
	s_delay_alu instid0(VALU_DEP_1) | instskip(NEXT) | instid1(VALU_DEP_1)
	v_cmp_ne_u32_e64 s0, 0x7f800000, v1
	s_and_saveexec_b32 s10, s0
	s_delay_alu instid0(SALU_CYCLE_1)
	s_xor_b32 s0, exec_lo, s10
; %bb.408:                              ;   in Loop: Header=BB183_38 Depth=1
	v_bfe_u32 v1, v0, 16, 1
	s_delay_alu instid0(VALU_DEP_1)
	v_add3_u32 v106, v0, v1, 0x7fff
                                        ; implicit-def: $vgpr0
; %bb.409:                              ;   in Loop: Header=BB183_38 Depth=1
	s_and_not1_saveexec_b32 s10, s0
; %bb.410:                              ;   in Loop: Header=BB183_38 Depth=1
	v_and_b32_e32 v1, 0xffff, v0
	v_or_b32_e32 v2, 0x10000, v0
	s_delay_alu instid0(VALU_DEP_2) | instskip(NEXT) | instid1(VALU_DEP_1)
	v_cmp_eq_u32_e64 s0, 0, v1
	v_cndmask_b32_e64 v106, v2, v0, s0
; %bb.411:                              ;   in Loop: Header=BB183_38 Depth=1
	s_or_b32 exec_lo, exec_lo, s10
	v_add_co_u32 v0, s0, v115, v52
	s_delay_alu instid0(VALU_DEP_1)
	v_add_co_ci_u32_e64 v1, s0, 0, v116, s0
	flat_load_b128 v[0:3], v[0:1]
	s_waitcnt vmcnt(0) lgkmcnt(0)
	v_lshrrev_b32_e32 v39, 16, v0
	v_lshrrev_b32_e32 v108, 16, v1
	;; [unrolled: 1-line block ×4, first 2 shown]
	s_and_saveexec_b32 s10, vcc_lo
	s_cbranch_execz .LBB183_413
; %bb.412:                              ;   in Loop: Header=BB183_38 Depth=1
	v_cmp_lt_i32_e64 s0, v85, v86
	s_delay_alu instid0(VALU_DEP_1) | instskip(SKIP_1) | instid1(VALU_DEP_1)
	v_cndmask_b32_e64 v0, 0, v0, s0
	v_cmp_lt_i32_e64 s0, v114, v86
	v_cndmask_b32_e64 v39, 0, v39, s0
	v_cmp_lt_i32_e64 s0, v113, v86
	s_delay_alu instid0(VALU_DEP_1) | instskip(SKIP_1) | instid1(VALU_DEP_1)
	v_cndmask_b32_e64 v1, 0, v1, s0
	v_cmp_lt_i32_e64 s0, v103, v86
	v_cndmask_b32_e64 v108, 0, v108, s0
	v_cmp_lt_i32_e64 s0, v102, v86
	s_delay_alu instid0(VALU_DEP_1) | instskip(SKIP_1) | instid1(VALU_DEP_1)
	v_cndmask_b32_e64 v2, 0, v2, s0
	v_cmp_lt_i32_e64 s0, v101, v86
	v_cndmask_b32_e64 v110, 0, v110, s0
	v_cmp_lt_i32_e64 s0, v100, v86
	s_delay_alu instid0(VALU_DEP_1) | instskip(SKIP_1) | instid1(VALU_DEP_1)
	v_cndmask_b32_e64 v3, 0, v3, s0
	v_cmp_lt_i32_e64 s0, v112, v86
	v_cndmask_b32_e64 v120, 0, v120, s0
.LBB183_413:                            ;   in Loop: Header=BB183_38 Depth=1
	s_or_b32 exec_lo, exec_lo, s10
	v_lshlrev_b32_e32 v0, 16, v0
	s_delay_alu instid0(VALU_DEP_1) | instskip(NEXT) | instid1(VALU_DEP_1)
	v_mul_f32_e32 v0, v118, v0
	v_and_b32_e32 v21, 0x7f800000, v0
	s_delay_alu instid0(VALU_DEP_1) | instskip(NEXT) | instid1(VALU_DEP_1)
	v_cmp_ne_u32_e64 s0, 0x7f800000, v21
                                        ; implicit-def: $vgpr21
	s_and_saveexec_b32 s10, s0
	s_delay_alu instid0(SALU_CYCLE_1)
	s_xor_b32 s0, exec_lo, s10
; %bb.414:                              ;   in Loop: Header=BB183_38 Depth=1
	v_bfe_u32 v21, v0, 16, 1
	s_delay_alu instid0(VALU_DEP_1)
	v_add3_u32 v21, v0, v21, 0x7fff
                                        ; implicit-def: $vgpr0
; %bb.415:                              ;   in Loop: Header=BB183_38 Depth=1
	s_and_not1_saveexec_b32 s10, s0
; %bb.416:                              ;   in Loop: Header=BB183_38 Depth=1
	v_and_b32_e32 v21, 0xffff, v0
	v_or_b32_e32 v25, 0x10000, v0
	s_delay_alu instid0(VALU_DEP_2) | instskip(NEXT) | instid1(VALU_DEP_1)
	v_cmp_eq_u32_e64 s0, 0, v21
	v_cndmask_b32_e64 v21, v25, v0, s0
; %bb.417:                              ;   in Loop: Header=BB183_38 Depth=1
	s_or_b32 exec_lo, exec_lo, s10
	v_lshlrev_b32_e32 v0, 16, v39
                                        ; implicit-def: $vgpr39
	s_delay_alu instid0(VALU_DEP_1) | instskip(NEXT) | instid1(VALU_DEP_1)
	v_mul_f32_e32 v0, v119, v0
	v_and_b32_e32 v25, 0x7f800000, v0
	s_delay_alu instid0(VALU_DEP_1) | instskip(NEXT) | instid1(VALU_DEP_1)
	v_cmp_ne_u32_e64 s0, 0x7f800000, v25
	s_and_saveexec_b32 s10, s0
	s_delay_alu instid0(SALU_CYCLE_1)
	s_xor_b32 s0, exec_lo, s10
; %bb.418:                              ;   in Loop: Header=BB183_38 Depth=1
	v_bfe_u32 v25, v0, 16, 1
	s_delay_alu instid0(VALU_DEP_1)
	v_add3_u32 v39, v0, v25, 0x7fff
                                        ; implicit-def: $vgpr0
; %bb.419:                              ;   in Loop: Header=BB183_38 Depth=1
	s_and_not1_saveexec_b32 s10, s0
; %bb.420:                              ;   in Loop: Header=BB183_38 Depth=1
	v_and_b32_e32 v25, 0xffff, v0
	v_or_b32_e32 v39, 0x10000, v0
	s_delay_alu instid0(VALU_DEP_2) | instskip(NEXT) | instid1(VALU_DEP_1)
	v_cmp_eq_u32_e64 s0, 0, v25
	v_cndmask_b32_e64 v39, v39, v0, s0
; %bb.421:                              ;   in Loop: Header=BB183_38 Depth=1
	s_or_b32 exec_lo, exec_lo, s10
	v_lshlrev_b32_e32 v0, 16, v1
                                        ; implicit-def: $vgpr107
	s_delay_alu instid0(VALU_DEP_1) | instskip(NEXT) | instid1(VALU_DEP_1)
	v_mul_f32_e32 v0, v128, v0
	v_and_b32_e32 v1, 0x7f800000, v0
	s_delay_alu instid0(VALU_DEP_1) | instskip(NEXT) | instid1(VALU_DEP_1)
	v_cmp_ne_u32_e64 s0, 0x7f800000, v1
	s_and_saveexec_b32 s10, s0
	s_delay_alu instid0(SALU_CYCLE_1)
	s_xor_b32 s0, exec_lo, s10
; %bb.422:                              ;   in Loop: Header=BB183_38 Depth=1
	v_bfe_u32 v1, v0, 16, 1
	s_delay_alu instid0(VALU_DEP_1)
	v_add3_u32 v107, v0, v1, 0x7fff
                                        ; implicit-def: $vgpr0
; %bb.423:                              ;   in Loop: Header=BB183_38 Depth=1
	s_and_not1_saveexec_b32 s10, s0
; %bb.424:                              ;   in Loop: Header=BB183_38 Depth=1
	v_and_b32_e32 v1, 0xffff, v0
	v_or_b32_e32 v25, 0x10000, v0
	s_delay_alu instid0(VALU_DEP_2) | instskip(NEXT) | instid1(VALU_DEP_1)
	v_cmp_eq_u32_e64 s0, 0, v1
	v_cndmask_b32_e64 v107, v25, v0, s0
; %bb.425:                              ;   in Loop: Header=BB183_38 Depth=1
	s_or_b32 exec_lo, exec_lo, s10
	v_lshlrev_b32_e32 v0, 16, v108
                                        ; implicit-def: $vgpr108
	s_delay_alu instid0(VALU_DEP_1) | instskip(NEXT) | instid1(VALU_DEP_1)
	v_mul_f32_e32 v0, v129, v0
	v_and_b32_e32 v1, 0x7f800000, v0
	s_delay_alu instid0(VALU_DEP_1) | instskip(NEXT) | instid1(VALU_DEP_1)
	v_cmp_ne_u32_e64 s0, 0x7f800000, v1
	s_and_saveexec_b32 s10, s0
	s_delay_alu instid0(SALU_CYCLE_1)
	s_xor_b32 s0, exec_lo, s10
; %bb.426:                              ;   in Loop: Header=BB183_38 Depth=1
	v_bfe_u32 v1, v0, 16, 1
	s_delay_alu instid0(VALU_DEP_1)
	v_add3_u32 v108, v0, v1, 0x7fff
                                        ; implicit-def: $vgpr0
; %bb.427:                              ;   in Loop: Header=BB183_38 Depth=1
	s_and_not1_saveexec_b32 s10, s0
; %bb.428:                              ;   in Loop: Header=BB183_38 Depth=1
	v_and_b32_e32 v1, 0xffff, v0
	v_or_b32_e32 v25, 0x10000, v0
	s_delay_alu instid0(VALU_DEP_2) | instskip(NEXT) | instid1(VALU_DEP_1)
	v_cmp_eq_u32_e64 s0, 0, v1
	v_cndmask_b32_e64 v108, v25, v0, s0
; %bb.429:                              ;   in Loop: Header=BB183_38 Depth=1
	s_or_b32 exec_lo, exec_lo, s10
	v_lshlrev_b32_e32 v0, 16, v2
                                        ; implicit-def: $vgpr109
	s_delay_alu instid0(VALU_DEP_1) | instskip(NEXT) | instid1(VALU_DEP_1)
	v_mul_f32_e32 v0, v130, v0
	v_and_b32_e32 v1, 0x7f800000, v0
	s_delay_alu instid0(VALU_DEP_1) | instskip(NEXT) | instid1(VALU_DEP_1)
	v_cmp_ne_u32_e64 s0, 0x7f800000, v1
	s_and_saveexec_b32 s10, s0
	s_delay_alu instid0(SALU_CYCLE_1)
	s_xor_b32 s0, exec_lo, s10
; %bb.430:                              ;   in Loop: Header=BB183_38 Depth=1
	v_bfe_u32 v1, v0, 16, 1
	s_delay_alu instid0(VALU_DEP_1)
	v_add3_u32 v109, v0, v1, 0x7fff
                                        ; implicit-def: $vgpr0
; %bb.431:                              ;   in Loop: Header=BB183_38 Depth=1
	s_and_not1_saveexec_b32 s10, s0
; %bb.432:                              ;   in Loop: Header=BB183_38 Depth=1
	v_and_b32_e32 v1, 0xffff, v0
	v_or_b32_e32 v2, 0x10000, v0
	s_delay_alu instid0(VALU_DEP_2) | instskip(NEXT) | instid1(VALU_DEP_1)
	v_cmp_eq_u32_e64 s0, 0, v1
	v_cndmask_b32_e64 v109, v2, v0, s0
; %bb.433:                              ;   in Loop: Header=BB183_38 Depth=1
	s_or_b32 exec_lo, exec_lo, s10
	v_lshlrev_b32_e32 v0, 16, v110
                                        ; implicit-def: $vgpr110
	s_delay_alu instid0(VALU_DEP_1) | instskip(NEXT) | instid1(VALU_DEP_1)
	v_mul_f32_e32 v0, v131, v0
	v_and_b32_e32 v1, 0x7f800000, v0
	s_delay_alu instid0(VALU_DEP_1) | instskip(NEXT) | instid1(VALU_DEP_1)
	v_cmp_ne_u32_e64 s0, 0x7f800000, v1
	s_and_saveexec_b32 s10, s0
	s_delay_alu instid0(SALU_CYCLE_1)
	s_xor_b32 s0, exec_lo, s10
; %bb.434:                              ;   in Loop: Header=BB183_38 Depth=1
	v_bfe_u32 v1, v0, 16, 1
	s_delay_alu instid0(VALU_DEP_1)
	v_add3_u32 v110, v0, v1, 0x7fff
                                        ; implicit-def: $vgpr0
; %bb.435:                              ;   in Loop: Header=BB183_38 Depth=1
	s_and_not1_saveexec_b32 s10, s0
; %bb.436:                              ;   in Loop: Header=BB183_38 Depth=1
	v_and_b32_e32 v1, 0xffff, v0
	v_or_b32_e32 v2, 0x10000, v0
	s_delay_alu instid0(VALU_DEP_2) | instskip(NEXT) | instid1(VALU_DEP_1)
	v_cmp_eq_u32_e64 s0, 0, v1
	v_cndmask_b32_e64 v110, v2, v0, s0
; %bb.437:                              ;   in Loop: Header=BB183_38 Depth=1
	s_or_b32 exec_lo, exec_lo, s10
	v_lshlrev_b32_e32 v0, 16, v3
                                        ; implicit-def: $vgpr111
	s_delay_alu instid0(VALU_DEP_1) | instskip(NEXT) | instid1(VALU_DEP_1)
	v_mul_f32_e32 v0, v132, v0
	v_and_b32_e32 v1, 0x7f800000, v0
	s_delay_alu instid0(VALU_DEP_1) | instskip(NEXT) | instid1(VALU_DEP_1)
	v_cmp_ne_u32_e64 s0, 0x7f800000, v1
	s_and_saveexec_b32 s10, s0
	s_delay_alu instid0(SALU_CYCLE_1)
	s_xor_b32 s0, exec_lo, s10
; %bb.438:                              ;   in Loop: Header=BB183_38 Depth=1
	v_bfe_u32 v1, v0, 16, 1
	s_delay_alu instid0(VALU_DEP_1)
	v_add3_u32 v111, v0, v1, 0x7fff
                                        ; implicit-def: $vgpr0
; %bb.439:                              ;   in Loop: Header=BB183_38 Depth=1
	s_and_not1_saveexec_b32 s10, s0
; %bb.440:                              ;   in Loop: Header=BB183_38 Depth=1
	v_and_b32_e32 v1, 0xffff, v0
	v_or_b32_e32 v2, 0x10000, v0
	s_delay_alu instid0(VALU_DEP_2) | instskip(NEXT) | instid1(VALU_DEP_1)
	v_cmp_eq_u32_e64 s0, 0, v1
	v_cndmask_b32_e64 v111, v2, v0, s0
; %bb.441:                              ;   in Loop: Header=BB183_38 Depth=1
	s_or_b32 exec_lo, exec_lo, s10
	v_lshlrev_b32_e32 v0, 16, v120
                                        ; implicit-def: $vgpr120
	s_delay_alu instid0(VALU_DEP_1) | instskip(NEXT) | instid1(VALU_DEP_1)
	v_mul_f32_e32 v0, v133, v0
	v_and_b32_e32 v1, 0x7f800000, v0
	s_delay_alu instid0(VALU_DEP_1) | instskip(NEXT) | instid1(VALU_DEP_1)
	v_cmp_ne_u32_e64 s0, 0x7f800000, v1
	s_and_saveexec_b32 s10, s0
	s_delay_alu instid0(SALU_CYCLE_1)
	s_xor_b32 s0, exec_lo, s10
; %bb.442:                              ;   in Loop: Header=BB183_38 Depth=1
	v_bfe_u32 v1, v0, 16, 1
	s_delay_alu instid0(VALU_DEP_1)
	v_add3_u32 v120, v0, v1, 0x7fff
                                        ; implicit-def: $vgpr0
; %bb.443:                              ;   in Loop: Header=BB183_38 Depth=1
	s_and_not1_saveexec_b32 s10, s0
; %bb.444:                              ;   in Loop: Header=BB183_38 Depth=1
	v_and_b32_e32 v1, 0xffff, v0
	v_or_b32_e32 v2, 0x10000, v0
	s_delay_alu instid0(VALU_DEP_2) | instskip(NEXT) | instid1(VALU_DEP_1)
	v_cmp_eq_u32_e64 s0, 0, v1
	v_cndmask_b32_e64 v120, v2, v0, s0
; %bb.445:                              ;   in Loop: Header=BB183_38 Depth=1
	s_or_b32 exec_lo, exec_lo, s10
	v_add_co_u32 v0, s0, v115, v53
	s_delay_alu instid0(VALU_DEP_1)
	v_add_co_ci_u32_e64 v1, s0, 0, v116, s0
	flat_load_b128 v[0:3], v[0:1]
	s_waitcnt vmcnt(0) lgkmcnt(0)
	v_lshrrev_b32_e32 v122, 16, v0
	v_lshrrev_b32_e32 v124, 16, v1
	;; [unrolled: 1-line block ×4, first 2 shown]
	s_and_saveexec_b32 s10, vcc_lo
	s_cbranch_execz .LBB183_447
; %bb.446:                              ;   in Loop: Header=BB183_38 Depth=1
	v_cmp_lt_i32_e64 s0, v85, v86
	s_delay_alu instid0(VALU_DEP_1) | instskip(SKIP_1) | instid1(VALU_DEP_1)
	v_cndmask_b32_e64 v0, 0, v0, s0
	v_cmp_lt_i32_e64 s0, v114, v86
	v_cndmask_b32_e64 v122, 0, v122, s0
	v_cmp_lt_i32_e64 s0, v113, v86
	s_delay_alu instid0(VALU_DEP_1) | instskip(SKIP_1) | instid1(VALU_DEP_1)
	v_cndmask_b32_e64 v1, 0, v1, s0
	v_cmp_lt_i32_e64 s0, v103, v86
	v_cndmask_b32_e64 v124, 0, v124, s0
	;; [unrolled: 5-line block ×4, first 2 shown]
.LBB183_447:                            ;   in Loop: Header=BB183_38 Depth=1
	s_or_b32 exec_lo, exec_lo, s10
	v_lshlrev_b32_e32 v0, 16, v0
                                        ; implicit-def: $vgpr121
	s_delay_alu instid0(VALU_DEP_1) | instskip(NEXT) | instid1(VALU_DEP_1)
	v_mul_f32_e32 v0, v118, v0
	v_and_b32_e32 v25, 0x7f800000, v0
	s_delay_alu instid0(VALU_DEP_1) | instskip(NEXT) | instid1(VALU_DEP_1)
	v_cmp_ne_u32_e64 s0, 0x7f800000, v25
	s_and_saveexec_b32 s10, s0
	s_delay_alu instid0(SALU_CYCLE_1)
	s_xor_b32 s0, exec_lo, s10
; %bb.448:                              ;   in Loop: Header=BB183_38 Depth=1
	v_bfe_u32 v25, v0, 16, 1
	s_delay_alu instid0(VALU_DEP_1)
	v_add3_u32 v121, v0, v25, 0x7fff
                                        ; implicit-def: $vgpr0
; %bb.449:                              ;   in Loop: Header=BB183_38 Depth=1
	s_and_not1_saveexec_b32 s10, s0
; %bb.450:                              ;   in Loop: Header=BB183_38 Depth=1
	v_and_b32_e32 v25, 0xffff, v0
	v_or_b32_e32 v96, 0x10000, v0
	s_delay_alu instid0(VALU_DEP_2) | instskip(NEXT) | instid1(VALU_DEP_1)
	v_cmp_eq_u32_e64 s0, 0, v25
	v_cndmask_b32_e64 v121, v96, v0, s0
; %bb.451:                              ;   in Loop: Header=BB183_38 Depth=1
	s_or_b32 exec_lo, exec_lo, s10
	v_lshlrev_b32_e32 v0, 16, v122
                                        ; implicit-def: $vgpr122
	s_delay_alu instid0(VALU_DEP_1) | instskip(NEXT) | instid1(VALU_DEP_1)
	v_mul_f32_e32 v0, v119, v0
	v_and_b32_e32 v25, 0x7f800000, v0
	s_delay_alu instid0(VALU_DEP_1) | instskip(NEXT) | instid1(VALU_DEP_1)
	v_cmp_ne_u32_e64 s0, 0x7f800000, v25
	s_and_saveexec_b32 s10, s0
	s_delay_alu instid0(SALU_CYCLE_1)
	s_xor_b32 s0, exec_lo, s10
; %bb.452:                              ;   in Loop: Header=BB183_38 Depth=1
	v_bfe_u32 v25, v0, 16, 1
	s_delay_alu instid0(VALU_DEP_1)
	v_add3_u32 v122, v0, v25, 0x7fff
                                        ; implicit-def: $vgpr0
; %bb.453:                              ;   in Loop: Header=BB183_38 Depth=1
	s_and_not1_saveexec_b32 s10, s0
; %bb.454:                              ;   in Loop: Header=BB183_38 Depth=1
	v_and_b32_e32 v25, 0xffff, v0
	v_or_b32_e32 v96, 0x10000, v0
	s_delay_alu instid0(VALU_DEP_2) | instskip(NEXT) | instid1(VALU_DEP_1)
	v_cmp_eq_u32_e64 s0, 0, v25
	v_cndmask_b32_e64 v122, v96, v0, s0
; %bb.455:                              ;   in Loop: Header=BB183_38 Depth=1
	s_or_b32 exec_lo, exec_lo, s10
	v_lshlrev_b32_e32 v0, 16, v1
                                        ; implicit-def: $vgpr123
	s_delay_alu instid0(VALU_DEP_1) | instskip(NEXT) | instid1(VALU_DEP_1)
	v_mul_f32_e32 v0, v128, v0
	v_and_b32_e32 v1, 0x7f800000, v0
	s_delay_alu instid0(VALU_DEP_1) | instskip(NEXT) | instid1(VALU_DEP_1)
	v_cmp_ne_u32_e64 s0, 0x7f800000, v1
	s_and_saveexec_b32 s10, s0
	s_delay_alu instid0(SALU_CYCLE_1)
	s_xor_b32 s0, exec_lo, s10
; %bb.456:                              ;   in Loop: Header=BB183_38 Depth=1
	v_bfe_u32 v1, v0, 16, 1
	s_delay_alu instid0(VALU_DEP_1)
	v_add3_u32 v123, v0, v1, 0x7fff
                                        ; implicit-def: $vgpr0
; %bb.457:                              ;   in Loop: Header=BB183_38 Depth=1
	s_and_not1_saveexec_b32 s10, s0
; %bb.458:                              ;   in Loop: Header=BB183_38 Depth=1
	v_and_b32_e32 v1, 0xffff, v0
	v_or_b32_e32 v25, 0x10000, v0
	s_delay_alu instid0(VALU_DEP_2) | instskip(NEXT) | instid1(VALU_DEP_1)
	v_cmp_eq_u32_e64 s0, 0, v1
	v_cndmask_b32_e64 v123, v25, v0, s0
; %bb.459:                              ;   in Loop: Header=BB183_38 Depth=1
	s_or_b32 exec_lo, exec_lo, s10
	v_lshlrev_b32_e32 v0, 16, v124
                                        ; implicit-def: $vgpr124
	s_delay_alu instid0(VALU_DEP_1) | instskip(NEXT) | instid1(VALU_DEP_1)
	v_mul_f32_e32 v0, v129, v0
	v_and_b32_e32 v1, 0x7f800000, v0
	s_delay_alu instid0(VALU_DEP_1) | instskip(NEXT) | instid1(VALU_DEP_1)
	v_cmp_ne_u32_e64 s0, 0x7f800000, v1
	s_and_saveexec_b32 s10, s0
	s_delay_alu instid0(SALU_CYCLE_1)
	s_xor_b32 s0, exec_lo, s10
; %bb.460:                              ;   in Loop: Header=BB183_38 Depth=1
	v_bfe_u32 v1, v0, 16, 1
	s_delay_alu instid0(VALU_DEP_1)
	v_add3_u32 v124, v0, v1, 0x7fff
                                        ; implicit-def: $vgpr0
; %bb.461:                              ;   in Loop: Header=BB183_38 Depth=1
	s_and_not1_saveexec_b32 s10, s0
; %bb.462:                              ;   in Loop: Header=BB183_38 Depth=1
	v_and_b32_e32 v1, 0xffff, v0
	v_or_b32_e32 v25, 0x10000, v0
	s_delay_alu instid0(VALU_DEP_2) | instskip(NEXT) | instid1(VALU_DEP_1)
	v_cmp_eq_u32_e64 s0, 0, v1
	v_cndmask_b32_e64 v124, v25, v0, s0
; %bb.463:                              ;   in Loop: Header=BB183_38 Depth=1
	s_or_b32 exec_lo, exec_lo, s10
	v_lshlrev_b32_e32 v0, 16, v2
                                        ; implicit-def: $vgpr125
	s_delay_alu instid0(VALU_DEP_1) | instskip(NEXT) | instid1(VALU_DEP_1)
	v_mul_f32_e32 v0, v130, v0
	v_and_b32_e32 v1, 0x7f800000, v0
	s_delay_alu instid0(VALU_DEP_1) | instskip(NEXT) | instid1(VALU_DEP_1)
	v_cmp_ne_u32_e64 s0, 0x7f800000, v1
	s_and_saveexec_b32 s10, s0
	s_delay_alu instid0(SALU_CYCLE_1)
	s_xor_b32 s0, exec_lo, s10
; %bb.464:                              ;   in Loop: Header=BB183_38 Depth=1
	v_bfe_u32 v1, v0, 16, 1
	s_delay_alu instid0(VALU_DEP_1)
	v_add3_u32 v125, v0, v1, 0x7fff
                                        ; implicit-def: $vgpr0
; %bb.465:                              ;   in Loop: Header=BB183_38 Depth=1
	s_and_not1_saveexec_b32 s10, s0
; %bb.466:                              ;   in Loop: Header=BB183_38 Depth=1
	v_and_b32_e32 v1, 0xffff, v0
	v_or_b32_e32 v2, 0x10000, v0
	s_delay_alu instid0(VALU_DEP_2) | instskip(NEXT) | instid1(VALU_DEP_1)
	v_cmp_eq_u32_e64 s0, 0, v1
	v_cndmask_b32_e64 v125, v2, v0, s0
; %bb.467:                              ;   in Loop: Header=BB183_38 Depth=1
	s_or_b32 exec_lo, exec_lo, s10
	v_lshlrev_b32_e32 v0, 16, v126
                                        ; implicit-def: $vgpr126
	s_delay_alu instid0(VALU_DEP_1) | instskip(NEXT) | instid1(VALU_DEP_1)
	v_mul_f32_e32 v0, v131, v0
	v_and_b32_e32 v1, 0x7f800000, v0
	s_delay_alu instid0(VALU_DEP_1) | instskip(NEXT) | instid1(VALU_DEP_1)
	v_cmp_ne_u32_e64 s0, 0x7f800000, v1
	s_and_saveexec_b32 s10, s0
	s_delay_alu instid0(SALU_CYCLE_1)
	s_xor_b32 s0, exec_lo, s10
; %bb.468:                              ;   in Loop: Header=BB183_38 Depth=1
	v_bfe_u32 v1, v0, 16, 1
	s_delay_alu instid0(VALU_DEP_1)
	v_add3_u32 v126, v0, v1, 0x7fff
                                        ; implicit-def: $vgpr0
; %bb.469:                              ;   in Loop: Header=BB183_38 Depth=1
	s_and_not1_saveexec_b32 s10, s0
; %bb.470:                              ;   in Loop: Header=BB183_38 Depth=1
	v_and_b32_e32 v1, 0xffff, v0
	v_or_b32_e32 v2, 0x10000, v0
	s_delay_alu instid0(VALU_DEP_2) | instskip(NEXT) | instid1(VALU_DEP_1)
	v_cmp_eq_u32_e64 s0, 0, v1
	v_cndmask_b32_e64 v126, v2, v0, s0
; %bb.471:                              ;   in Loop: Header=BB183_38 Depth=1
	s_or_b32 exec_lo, exec_lo, s10
	v_lshlrev_b32_e32 v0, 16, v3
                                        ; implicit-def: $vgpr127
	s_delay_alu instid0(VALU_DEP_1) | instskip(NEXT) | instid1(VALU_DEP_1)
	v_mul_f32_e32 v0, v132, v0
	v_and_b32_e32 v1, 0x7f800000, v0
	s_delay_alu instid0(VALU_DEP_1) | instskip(NEXT) | instid1(VALU_DEP_1)
	v_cmp_ne_u32_e64 s0, 0x7f800000, v1
	s_and_saveexec_b32 s10, s0
	s_delay_alu instid0(SALU_CYCLE_1)
	s_xor_b32 s0, exec_lo, s10
; %bb.472:                              ;   in Loop: Header=BB183_38 Depth=1
	v_bfe_u32 v1, v0, 16, 1
	s_delay_alu instid0(VALU_DEP_1)
	v_add3_u32 v127, v0, v1, 0x7fff
                                        ; implicit-def: $vgpr0
; %bb.473:                              ;   in Loop: Header=BB183_38 Depth=1
	s_and_not1_saveexec_b32 s10, s0
; %bb.474:                              ;   in Loop: Header=BB183_38 Depth=1
	v_and_b32_e32 v1, 0xffff, v0
	v_or_b32_e32 v2, 0x10000, v0
	s_delay_alu instid0(VALU_DEP_2) | instskip(NEXT) | instid1(VALU_DEP_1)
	v_cmp_eq_u32_e64 s0, 0, v1
	v_cndmask_b32_e64 v127, v2, v0, s0
; %bb.475:                              ;   in Loop: Header=BB183_38 Depth=1
	s_or_b32 exec_lo, exec_lo, s10
	v_lshlrev_b32_e32 v0, 16, v136
                                        ; implicit-def: $vgpr136
	s_delay_alu instid0(VALU_DEP_1) | instskip(NEXT) | instid1(VALU_DEP_1)
	v_mul_f32_e32 v0, v133, v0
	v_and_b32_e32 v1, 0x7f800000, v0
	s_delay_alu instid0(VALU_DEP_1) | instskip(NEXT) | instid1(VALU_DEP_1)
	v_cmp_ne_u32_e64 s0, 0x7f800000, v1
	s_and_saveexec_b32 s10, s0
	s_delay_alu instid0(SALU_CYCLE_1)
	s_xor_b32 s0, exec_lo, s10
; %bb.476:                              ;   in Loop: Header=BB183_38 Depth=1
	v_bfe_u32 v1, v0, 16, 1
	s_delay_alu instid0(VALU_DEP_1)
	v_add3_u32 v136, v0, v1, 0x7fff
                                        ; implicit-def: $vgpr0
; %bb.477:                              ;   in Loop: Header=BB183_38 Depth=1
	s_and_not1_saveexec_b32 s10, s0
; %bb.478:                              ;   in Loop: Header=BB183_38 Depth=1
	v_and_b32_e32 v1, 0xffff, v0
	v_or_b32_e32 v2, 0x10000, v0
	s_delay_alu instid0(VALU_DEP_2) | instskip(NEXT) | instid1(VALU_DEP_1)
	v_cmp_eq_u32_e64 s0, 0, v1
	v_cndmask_b32_e64 v136, v2, v0, s0
; %bb.479:                              ;   in Loop: Header=BB183_38 Depth=1
	s_or_b32 exec_lo, exec_lo, s10
	v_add_co_u32 v0, s0, v115, v54
	s_delay_alu instid0(VALU_DEP_1)
	v_add_co_ci_u32_e64 v1, s0, 0, v116, s0
	flat_load_b128 v[0:3], v[0:1]
	s_waitcnt vmcnt(0) lgkmcnt(0)
	v_lshrrev_b32_e32 v138, 16, v0
	v_lshrrev_b32_e32 v140, 16, v1
	;; [unrolled: 1-line block ×4, first 2 shown]
	s_and_saveexec_b32 s10, vcc_lo
	s_cbranch_execz .LBB183_481
; %bb.480:                              ;   in Loop: Header=BB183_38 Depth=1
	v_cmp_lt_i32_e64 s0, v85, v86
	s_delay_alu instid0(VALU_DEP_1) | instskip(SKIP_1) | instid1(VALU_DEP_1)
	v_cndmask_b32_e64 v0, 0, v0, s0
	v_cmp_lt_i32_e64 s0, v114, v86
	v_cndmask_b32_e64 v138, 0, v138, s0
	v_cmp_lt_i32_e64 s0, v113, v86
	s_delay_alu instid0(VALU_DEP_1) | instskip(SKIP_1) | instid1(VALU_DEP_1)
	v_cndmask_b32_e64 v1, 0, v1, s0
	v_cmp_lt_i32_e64 s0, v103, v86
	v_cndmask_b32_e64 v140, 0, v140, s0
	;; [unrolled: 5-line block ×4, first 2 shown]
.LBB183_481:                            ;   in Loop: Header=BB183_38 Depth=1
	s_or_b32 exec_lo, exec_lo, s10
	v_lshlrev_b32_e32 v0, 16, v0
                                        ; implicit-def: $vgpr137
	s_delay_alu instid0(VALU_DEP_1) | instskip(NEXT) | instid1(VALU_DEP_1)
	v_mul_f32_e32 v0, v118, v0
	v_and_b32_e32 v25, 0x7f800000, v0
	s_delay_alu instid0(VALU_DEP_1) | instskip(NEXT) | instid1(VALU_DEP_1)
	v_cmp_ne_u32_e64 s0, 0x7f800000, v25
	s_and_saveexec_b32 s10, s0
	s_delay_alu instid0(SALU_CYCLE_1)
	s_xor_b32 s0, exec_lo, s10
; %bb.482:                              ;   in Loop: Header=BB183_38 Depth=1
	v_bfe_u32 v25, v0, 16, 1
	s_delay_alu instid0(VALU_DEP_1)
	v_add3_u32 v137, v0, v25, 0x7fff
                                        ; implicit-def: $vgpr0
; %bb.483:                              ;   in Loop: Header=BB183_38 Depth=1
	s_and_not1_saveexec_b32 s10, s0
; %bb.484:                              ;   in Loop: Header=BB183_38 Depth=1
	v_and_b32_e32 v25, 0xffff, v0
	v_or_b32_e32 v96, 0x10000, v0
	s_delay_alu instid0(VALU_DEP_2) | instskip(NEXT) | instid1(VALU_DEP_1)
	v_cmp_eq_u32_e64 s0, 0, v25
	v_cndmask_b32_e64 v137, v96, v0, s0
; %bb.485:                              ;   in Loop: Header=BB183_38 Depth=1
	s_or_b32 exec_lo, exec_lo, s10
	v_lshlrev_b32_e32 v0, 16, v138
                                        ; implicit-def: $vgpr138
	s_delay_alu instid0(VALU_DEP_1) | instskip(NEXT) | instid1(VALU_DEP_1)
	v_mul_f32_e32 v0, v119, v0
	v_and_b32_e32 v25, 0x7f800000, v0
	s_delay_alu instid0(VALU_DEP_1) | instskip(NEXT) | instid1(VALU_DEP_1)
	v_cmp_ne_u32_e64 s0, 0x7f800000, v25
	s_and_saveexec_b32 s10, s0
	s_delay_alu instid0(SALU_CYCLE_1)
	s_xor_b32 s0, exec_lo, s10
; %bb.486:                              ;   in Loop: Header=BB183_38 Depth=1
	v_bfe_u32 v25, v0, 16, 1
	s_delay_alu instid0(VALU_DEP_1)
	v_add3_u32 v138, v0, v25, 0x7fff
                                        ; implicit-def: $vgpr0
; %bb.487:                              ;   in Loop: Header=BB183_38 Depth=1
	s_and_not1_saveexec_b32 s10, s0
; %bb.488:                              ;   in Loop: Header=BB183_38 Depth=1
	v_and_b32_e32 v25, 0xffff, v0
	v_or_b32_e32 v96, 0x10000, v0
	s_delay_alu instid0(VALU_DEP_2) | instskip(NEXT) | instid1(VALU_DEP_1)
	v_cmp_eq_u32_e64 s0, 0, v25
	v_cndmask_b32_e64 v138, v96, v0, s0
; %bb.489:                              ;   in Loop: Header=BB183_38 Depth=1
	s_or_b32 exec_lo, exec_lo, s10
	v_lshlrev_b32_e32 v0, 16, v1
                                        ; implicit-def: $vgpr139
	s_delay_alu instid0(VALU_DEP_1) | instskip(NEXT) | instid1(VALU_DEP_1)
	v_mul_f32_e32 v0, v128, v0
	v_and_b32_e32 v1, 0x7f800000, v0
	s_delay_alu instid0(VALU_DEP_1) | instskip(NEXT) | instid1(VALU_DEP_1)
	v_cmp_ne_u32_e64 s0, 0x7f800000, v1
	s_and_saveexec_b32 s10, s0
	s_delay_alu instid0(SALU_CYCLE_1)
	s_xor_b32 s0, exec_lo, s10
; %bb.490:                              ;   in Loop: Header=BB183_38 Depth=1
	v_bfe_u32 v1, v0, 16, 1
	s_delay_alu instid0(VALU_DEP_1)
	v_add3_u32 v139, v0, v1, 0x7fff
                                        ; implicit-def: $vgpr0
; %bb.491:                              ;   in Loop: Header=BB183_38 Depth=1
	s_and_not1_saveexec_b32 s10, s0
; %bb.492:                              ;   in Loop: Header=BB183_38 Depth=1
	v_and_b32_e32 v1, 0xffff, v0
	v_or_b32_e32 v25, 0x10000, v0
	s_delay_alu instid0(VALU_DEP_2) | instskip(NEXT) | instid1(VALU_DEP_1)
	v_cmp_eq_u32_e64 s0, 0, v1
	v_cndmask_b32_e64 v139, v25, v0, s0
; %bb.493:                              ;   in Loop: Header=BB183_38 Depth=1
	s_or_b32 exec_lo, exec_lo, s10
	v_lshlrev_b32_e32 v0, 16, v140
                                        ; implicit-def: $vgpr140
	s_delay_alu instid0(VALU_DEP_1) | instskip(NEXT) | instid1(VALU_DEP_1)
	v_mul_f32_e32 v0, v129, v0
	v_and_b32_e32 v1, 0x7f800000, v0
	s_delay_alu instid0(VALU_DEP_1) | instskip(NEXT) | instid1(VALU_DEP_1)
	v_cmp_ne_u32_e64 s0, 0x7f800000, v1
	s_and_saveexec_b32 s10, s0
	s_delay_alu instid0(SALU_CYCLE_1)
	s_xor_b32 s0, exec_lo, s10
; %bb.494:                              ;   in Loop: Header=BB183_38 Depth=1
	v_bfe_u32 v1, v0, 16, 1
	s_delay_alu instid0(VALU_DEP_1)
	v_add3_u32 v140, v0, v1, 0x7fff
                                        ; implicit-def: $vgpr0
; %bb.495:                              ;   in Loop: Header=BB183_38 Depth=1
	s_and_not1_saveexec_b32 s10, s0
; %bb.496:                              ;   in Loop: Header=BB183_38 Depth=1
	v_and_b32_e32 v1, 0xffff, v0
	v_or_b32_e32 v25, 0x10000, v0
	s_delay_alu instid0(VALU_DEP_2) | instskip(NEXT) | instid1(VALU_DEP_1)
	v_cmp_eq_u32_e64 s0, 0, v1
	v_cndmask_b32_e64 v140, v25, v0, s0
; %bb.497:                              ;   in Loop: Header=BB183_38 Depth=1
	s_or_b32 exec_lo, exec_lo, s10
	v_lshlrev_b32_e32 v0, 16, v2
                                        ; implicit-def: $vgpr141
	s_delay_alu instid0(VALU_DEP_1) | instskip(NEXT) | instid1(VALU_DEP_1)
	v_mul_f32_e32 v0, v130, v0
	v_and_b32_e32 v1, 0x7f800000, v0
	s_delay_alu instid0(VALU_DEP_1) | instskip(NEXT) | instid1(VALU_DEP_1)
	v_cmp_ne_u32_e64 s0, 0x7f800000, v1
	s_and_saveexec_b32 s10, s0
	s_delay_alu instid0(SALU_CYCLE_1)
	s_xor_b32 s0, exec_lo, s10
; %bb.498:                              ;   in Loop: Header=BB183_38 Depth=1
	v_bfe_u32 v1, v0, 16, 1
	s_delay_alu instid0(VALU_DEP_1)
	v_add3_u32 v141, v0, v1, 0x7fff
                                        ; implicit-def: $vgpr0
; %bb.499:                              ;   in Loop: Header=BB183_38 Depth=1
	s_and_not1_saveexec_b32 s10, s0
; %bb.500:                              ;   in Loop: Header=BB183_38 Depth=1
	v_and_b32_e32 v1, 0xffff, v0
	v_or_b32_e32 v2, 0x10000, v0
	s_delay_alu instid0(VALU_DEP_2) | instskip(NEXT) | instid1(VALU_DEP_1)
	v_cmp_eq_u32_e64 s0, 0, v1
	v_cndmask_b32_e64 v141, v2, v0, s0
; %bb.501:                              ;   in Loop: Header=BB183_38 Depth=1
	s_or_b32 exec_lo, exec_lo, s10
	v_lshlrev_b32_e32 v0, 16, v142
                                        ; implicit-def: $vgpr142
	s_delay_alu instid0(VALU_DEP_1) | instskip(NEXT) | instid1(VALU_DEP_1)
	v_mul_f32_e32 v0, v131, v0
	v_and_b32_e32 v1, 0x7f800000, v0
	s_delay_alu instid0(VALU_DEP_1) | instskip(NEXT) | instid1(VALU_DEP_1)
	v_cmp_ne_u32_e64 s0, 0x7f800000, v1
	s_and_saveexec_b32 s10, s0
	s_delay_alu instid0(SALU_CYCLE_1)
	s_xor_b32 s0, exec_lo, s10
; %bb.502:                              ;   in Loop: Header=BB183_38 Depth=1
	v_bfe_u32 v1, v0, 16, 1
	s_delay_alu instid0(VALU_DEP_1)
	v_add3_u32 v142, v0, v1, 0x7fff
                                        ; implicit-def: $vgpr0
; %bb.503:                              ;   in Loop: Header=BB183_38 Depth=1
	s_and_not1_saveexec_b32 s10, s0
; %bb.504:                              ;   in Loop: Header=BB183_38 Depth=1
	v_and_b32_e32 v1, 0xffff, v0
	v_or_b32_e32 v2, 0x10000, v0
	s_delay_alu instid0(VALU_DEP_2) | instskip(NEXT) | instid1(VALU_DEP_1)
	v_cmp_eq_u32_e64 s0, 0, v1
	v_cndmask_b32_e64 v142, v2, v0, s0
; %bb.505:                              ;   in Loop: Header=BB183_38 Depth=1
	s_or_b32 exec_lo, exec_lo, s10
	v_lshlrev_b32_e32 v0, 16, v3
                                        ; implicit-def: $vgpr143
	s_delay_alu instid0(VALU_DEP_1) | instskip(NEXT) | instid1(VALU_DEP_1)
	v_mul_f32_e32 v0, v132, v0
	v_and_b32_e32 v1, 0x7f800000, v0
	s_delay_alu instid0(VALU_DEP_1) | instskip(NEXT) | instid1(VALU_DEP_1)
	v_cmp_ne_u32_e64 s0, 0x7f800000, v1
	s_and_saveexec_b32 s10, s0
	s_delay_alu instid0(SALU_CYCLE_1)
	s_xor_b32 s0, exec_lo, s10
; %bb.506:                              ;   in Loop: Header=BB183_38 Depth=1
	v_bfe_u32 v1, v0, 16, 1
	s_delay_alu instid0(VALU_DEP_1)
	v_add3_u32 v143, v0, v1, 0x7fff
                                        ; implicit-def: $vgpr0
; %bb.507:                              ;   in Loop: Header=BB183_38 Depth=1
	s_and_not1_saveexec_b32 s10, s0
; %bb.508:                              ;   in Loop: Header=BB183_38 Depth=1
	v_and_b32_e32 v1, 0xffff, v0
	v_or_b32_e32 v2, 0x10000, v0
	s_delay_alu instid0(VALU_DEP_2) | instskip(NEXT) | instid1(VALU_DEP_1)
	v_cmp_eq_u32_e64 s0, 0, v1
	v_cndmask_b32_e64 v143, v2, v0, s0
; %bb.509:                              ;   in Loop: Header=BB183_38 Depth=1
	s_or_b32 exec_lo, exec_lo, s10
	v_lshlrev_b32_e32 v0, 16, v152
                                        ; implicit-def: $vgpr152
	s_delay_alu instid0(VALU_DEP_1) | instskip(NEXT) | instid1(VALU_DEP_1)
	v_mul_f32_e32 v0, v133, v0
	v_and_b32_e32 v1, 0x7f800000, v0
	s_delay_alu instid0(VALU_DEP_1) | instskip(NEXT) | instid1(VALU_DEP_1)
	v_cmp_ne_u32_e64 s0, 0x7f800000, v1
	s_and_saveexec_b32 s10, s0
	s_delay_alu instid0(SALU_CYCLE_1)
	s_xor_b32 s0, exec_lo, s10
; %bb.510:                              ;   in Loop: Header=BB183_38 Depth=1
	v_bfe_u32 v1, v0, 16, 1
	s_delay_alu instid0(VALU_DEP_1)
	v_add3_u32 v152, v0, v1, 0x7fff
                                        ; implicit-def: $vgpr0
; %bb.511:                              ;   in Loop: Header=BB183_38 Depth=1
	s_and_not1_saveexec_b32 s10, s0
; %bb.512:                              ;   in Loop: Header=BB183_38 Depth=1
	v_and_b32_e32 v1, 0xffff, v0
	v_or_b32_e32 v2, 0x10000, v0
	s_delay_alu instid0(VALU_DEP_2) | instskip(NEXT) | instid1(VALU_DEP_1)
	v_cmp_eq_u32_e64 s0, 0, v1
	v_cndmask_b32_e64 v152, v2, v0, s0
; %bb.513:                              ;   in Loop: Header=BB183_38 Depth=1
	s_or_b32 exec_lo, exec_lo, s10
	v_add_co_u32 v0, s0, v115, v55
	s_delay_alu instid0(VALU_DEP_1)
	v_add_co_ci_u32_e64 v1, s0, 0, v116, s0
	flat_load_b128 v[0:3], v[0:1]
	s_waitcnt vmcnt(0) lgkmcnt(0)
	v_lshrrev_b32_e32 v154, 16, v0
	v_lshrrev_b32_e32 v153, 16, v1
	;; [unrolled: 1-line block ×4, first 2 shown]
	s_and_saveexec_b32 s0, vcc_lo
	s_cbranch_execz .LBB183_515
; %bb.514:                              ;   in Loop: Header=BB183_38 Depth=1
	v_cmp_lt_i32_e32 vcc_lo, v85, v86
	v_cndmask_b32_e32 v0, 0, v0, vcc_lo
	v_cmp_lt_i32_e32 vcc_lo, v114, v86
	v_cndmask_b32_e32 v154, 0, v154, vcc_lo
	;; [unrolled: 2-line block ×8, first 2 shown]
.LBB183_515:                            ;   in Loop: Header=BB183_38 Depth=1
	s_or_b32 exec_lo, exec_lo, s0
	v_lshlrev_b32_e32 v0, 16, v0
	s_delay_alu instid0(VALU_DEP_1) | instskip(NEXT) | instid1(VALU_DEP_1)
	v_mul_f32_e32 v85, v118, v0
	v_and_b32_e32 v0, 0x7f800000, v85
	s_delay_alu instid0(VALU_DEP_1) | instskip(SKIP_1) | instid1(SALU_CYCLE_1)
	v_cmp_ne_u32_e32 vcc_lo, 0x7f800000, v0
                                        ; implicit-def: $vgpr0
	s_and_saveexec_b32 s0, vcc_lo
	s_xor_b32 s0, exec_lo, s0
; %bb.516:                              ;   in Loop: Header=BB183_38 Depth=1
	v_bfe_u32 v0, v85, 16, 1
	s_delay_alu instid0(VALU_DEP_1)
	v_add3_u32 v0, v85, v0, 0x7fff
                                        ; implicit-def: $vgpr85
; %bb.517:                              ;   in Loop: Header=BB183_38 Depth=1
	s_and_not1_saveexec_b32 s0, s0
; %bb.518:                              ;   in Loop: Header=BB183_38 Depth=1
	v_and_b32_e32 v0, 0xffff, v85
	v_or_b32_e32 v25, 0x10000, v85
	s_delay_alu instid0(VALU_DEP_2) | instskip(NEXT) | instid1(VALU_DEP_2)
	v_cmp_eq_u32_e32 vcc_lo, 0, v0
	v_cndmask_b32_e32 v0, v25, v85, vcc_lo
; %bb.519:                              ;   in Loop: Header=BB183_38 Depth=1
	s_or_b32 exec_lo, exec_lo, s0
	v_lshlrev_b32_e32 v25, 16, v154
	s_mov_b32 s0, exec_lo
                                        ; implicit-def: $vgpr85
	s_delay_alu instid0(VALU_DEP_1) | instskip(NEXT) | instid1(VALU_DEP_1)
	v_mul_f32_e32 v100, v119, v25
	v_and_b32_e32 v25, 0x7f800000, v100
	s_delay_alu instid0(VALU_DEP_1)
	v_cmpx_ne_u32_e32 0x7f800000, v25
	s_xor_b32 s0, exec_lo, s0
; %bb.520:                              ;   in Loop: Header=BB183_38 Depth=1
	v_bfe_u32 v25, v100, 16, 1
	s_delay_alu instid0(VALU_DEP_1)
	v_add3_u32 v85, v100, v25, 0x7fff
                                        ; implicit-def: $vgpr100
; %bb.521:                              ;   in Loop: Header=BB183_38 Depth=1
	s_and_not1_saveexec_b32 s0, s0
; %bb.522:                              ;   in Loop: Header=BB183_38 Depth=1
	v_and_b32_e32 v25, 0xffff, v100
	v_or_b32_e32 v85, 0x10000, v100
	s_delay_alu instid0(VALU_DEP_2) | instskip(NEXT) | instid1(VALU_DEP_2)
	v_cmp_eq_u32_e32 vcc_lo, 0, v25
	v_cndmask_b32_e32 v85, v85, v100, vcc_lo
; %bb.523:                              ;   in Loop: Header=BB183_38 Depth=1
	s_or_b32 exec_lo, exec_lo, s0
	v_lshlrev_b32_e32 v1, 16, v1
	s_delay_alu instid0(VALU_DEP_1) | instskip(NEXT) | instid1(VALU_DEP_1)
	v_mul_f32_e32 v100, v128, v1
	v_and_b32_e32 v1, 0x7f800000, v100
	s_delay_alu instid0(VALU_DEP_1) | instskip(SKIP_1) | instid1(SALU_CYCLE_1)
	v_cmp_ne_u32_e32 vcc_lo, 0x7f800000, v1
                                        ; implicit-def: $vgpr1
	s_and_saveexec_b32 s0, vcc_lo
	s_xor_b32 s0, exec_lo, s0
; %bb.524:                              ;   in Loop: Header=BB183_38 Depth=1
	v_bfe_u32 v1, v100, 16, 1
	s_delay_alu instid0(VALU_DEP_1)
	v_add3_u32 v1, v100, v1, 0x7fff
                                        ; implicit-def: $vgpr100
; %bb.525:                              ;   in Loop: Header=BB183_38 Depth=1
	s_and_not1_saveexec_b32 s0, s0
; %bb.526:                              ;   in Loop: Header=BB183_38 Depth=1
	v_and_b32_e32 v1, 0xffff, v100
	v_or_b32_e32 v25, 0x10000, v100
	s_delay_alu instid0(VALU_DEP_2) | instskip(NEXT) | instid1(VALU_DEP_2)
	v_cmp_eq_u32_e32 vcc_lo, 0, v1
	v_cndmask_b32_e32 v1, v25, v100, vcc_lo
; %bb.527:                              ;   in Loop: Header=BB183_38 Depth=1
	s_or_b32 exec_lo, exec_lo, s0
	v_lshlrev_b32_e32 v25, 16, v153
	s_mov_b32 s0, exec_lo
                                        ; implicit-def: $vgpr100
	s_delay_alu instid0(VALU_DEP_1) | instskip(NEXT) | instid1(VALU_DEP_1)
	v_mul_f32_e32 v101, v129, v25
	v_and_b32_e32 v25, 0x7f800000, v101
	s_delay_alu instid0(VALU_DEP_1)
	v_cmpx_ne_u32_e32 0x7f800000, v25
	s_xor_b32 s0, exec_lo, s0
; %bb.528:                              ;   in Loop: Header=BB183_38 Depth=1
	v_bfe_u32 v25, v101, 16, 1
	s_delay_alu instid0(VALU_DEP_1)
	v_add3_u32 v100, v101, v25, 0x7fff
                                        ; implicit-def: $vgpr101
; %bb.529:                              ;   in Loop: Header=BB183_38 Depth=1
	s_and_not1_saveexec_b32 s0, s0
; %bb.530:                              ;   in Loop: Header=BB183_38 Depth=1
	v_and_b32_e32 v25, 0xffff, v101
	v_or_b32_e32 v96, 0x10000, v101
	s_delay_alu instid0(VALU_DEP_2) | instskip(NEXT) | instid1(VALU_DEP_2)
	v_cmp_eq_u32_e32 vcc_lo, 0, v25
	v_cndmask_b32_e32 v100, v96, v101, vcc_lo
; %bb.531:                              ;   in Loop: Header=BB183_38 Depth=1
	s_or_b32 exec_lo, exec_lo, s0
	v_lshlrev_b32_e32 v2, 16, v2
	s_delay_alu instid0(VALU_DEP_1) | instskip(NEXT) | instid1(VALU_DEP_1)
	v_mul_f32_e32 v101, v130, v2
	v_and_b32_e32 v2, 0x7f800000, v101
	s_delay_alu instid0(VALU_DEP_1) | instskip(SKIP_1) | instid1(SALU_CYCLE_1)
	v_cmp_ne_u32_e32 vcc_lo, 0x7f800000, v2
                                        ; implicit-def: $vgpr2
	s_and_saveexec_b32 s0, vcc_lo
	s_xor_b32 s0, exec_lo, s0
; %bb.532:                              ;   in Loop: Header=BB183_38 Depth=1
	v_bfe_u32 v2, v101, 16, 1
	s_delay_alu instid0(VALU_DEP_1)
	v_add3_u32 v2, v101, v2, 0x7fff
                                        ; implicit-def: $vgpr101
; %bb.533:                              ;   in Loop: Header=BB183_38 Depth=1
	s_and_not1_saveexec_b32 s0, s0
; %bb.534:                              ;   in Loop: Header=BB183_38 Depth=1
	v_and_b32_e32 v2, 0xffff, v101
	v_or_b32_e32 v25, 0x10000, v101
	s_delay_alu instid0(VALU_DEP_2) | instskip(NEXT) | instid1(VALU_DEP_2)
	v_cmp_eq_u32_e32 vcc_lo, 0, v2
	v_cndmask_b32_e32 v2, v25, v101, vcc_lo
; %bb.535:                              ;   in Loop: Header=BB183_38 Depth=1
	s_or_b32 exec_lo, exec_lo, s0
	v_lshlrev_b32_e32 v25, 16, v116
	s_mov_b32 s0, exec_lo
                                        ; implicit-def: $vgpr101
	s_delay_alu instid0(VALU_DEP_1) | instskip(NEXT) | instid1(VALU_DEP_1)
	v_mul_f32_e32 v102, v131, v25
	v_and_b32_e32 v25, 0x7f800000, v102
	s_delay_alu instid0(VALU_DEP_1)
	v_cmpx_ne_u32_e32 0x7f800000, v25
	s_xor_b32 s0, exec_lo, s0
; %bb.536:                              ;   in Loop: Header=BB183_38 Depth=1
	v_bfe_u32 v25, v102, 16, 1
	s_delay_alu instid0(VALU_DEP_1)
	v_add3_u32 v101, v102, v25, 0x7fff
                                        ; implicit-def: $vgpr102
; %bb.537:                              ;   in Loop: Header=BB183_38 Depth=1
	s_and_not1_saveexec_b32 s0, s0
; %bb.538:                              ;   in Loop: Header=BB183_38 Depth=1
	v_and_b32_e32 v25, 0xffff, v102
	v_or_b32_e32 v96, 0x10000, v102
	s_delay_alu instid0(VALU_DEP_2) | instskip(NEXT) | instid1(VALU_DEP_2)
	v_cmp_eq_u32_e32 vcc_lo, 0, v25
	v_cndmask_b32_e32 v101, v96, v102, vcc_lo
; %bb.539:                              ;   in Loop: Header=BB183_38 Depth=1
	s_or_b32 exec_lo, exec_lo, s0
	v_lshlrev_b32_e32 v3, 16, v3
	s_delay_alu instid0(VALU_DEP_1) | instskip(NEXT) | instid1(VALU_DEP_1)
	v_mul_f32_e32 v102, v132, v3
	v_and_b32_e32 v3, 0x7f800000, v102
	s_delay_alu instid0(VALU_DEP_1) | instskip(SKIP_1) | instid1(SALU_CYCLE_1)
	v_cmp_ne_u32_e32 vcc_lo, 0x7f800000, v3
                                        ; implicit-def: $vgpr3
	s_and_saveexec_b32 s0, vcc_lo
	s_xor_b32 s0, exec_lo, s0
; %bb.540:                              ;   in Loop: Header=BB183_38 Depth=1
	v_bfe_u32 v3, v102, 16, 1
	s_delay_alu instid0(VALU_DEP_1)
	v_add3_u32 v3, v102, v3, 0x7fff
                                        ; implicit-def: $vgpr102
; %bb.541:                              ;   in Loop: Header=BB183_38 Depth=1
	s_and_not1_saveexec_b32 s0, s0
; %bb.542:                              ;   in Loop: Header=BB183_38 Depth=1
	v_and_b32_e32 v3, 0xffff, v102
	v_or_b32_e32 v25, 0x10000, v102
	s_delay_alu instid0(VALU_DEP_2) | instskip(NEXT) | instid1(VALU_DEP_2)
	v_cmp_eq_u32_e32 vcc_lo, 0, v3
	v_cndmask_b32_e32 v3, v25, v102, vcc_lo
; %bb.543:                              ;   in Loop: Header=BB183_38 Depth=1
	s_or_b32 exec_lo, exec_lo, s0
	v_lshlrev_b32_e32 v25, 16, v115
	s_mov_b32 s0, exec_lo
                                        ; implicit-def: $vgpr102
	s_delay_alu instid0(VALU_DEP_1) | instskip(NEXT) | instid1(VALU_DEP_1)
	v_mul_f32_e32 v103, v133, v25
	v_and_b32_e32 v25, 0x7f800000, v103
	s_delay_alu instid0(VALU_DEP_1)
	v_cmpx_ne_u32_e32 0x7f800000, v25
	s_xor_b32 s0, exec_lo, s0
; %bb.544:                              ;   in Loop: Header=BB183_38 Depth=1
	v_bfe_u32 v25, v103, 16, 1
	s_delay_alu instid0(VALU_DEP_1)
	v_add3_u32 v102, v103, v25, 0x7fff
                                        ; implicit-def: $vgpr103
; %bb.545:                              ;   in Loop: Header=BB183_38 Depth=1
	s_and_not1_saveexec_b32 s0, s0
	s_cbranch_execz .LBB183_36
; %bb.546:                              ;   in Loop: Header=BB183_38 Depth=1
	v_and_b32_e32 v25, 0xffff, v103
	v_or_b32_e32 v96, 0x10000, v103
	s_delay_alu instid0(VALU_DEP_2) | instskip(NEXT) | instid1(VALU_DEP_2)
	v_cmp_eq_u32_e32 vcc_lo, 0, v25
	v_cndmask_b32_e32 v102, v96, v103, vcc_lo
	s_branch .LBB183_36
.LBB183_547:
	s_or_b32 exec_lo, exec_lo, s8
.LBB183_548:
	s_delay_alu instid0(SALU_CYCLE_1)
	s_or_b32 exec_lo, exec_lo, s7
	ds_bpermute_b32 v0, v16, v37
	ds_bpermute_b32 v1, v16, v38
	ds_bpermute_b32 v8, v16, v30
	ds_bpermute_b32 v2, v16, v36
	ds_bpermute_b32 v3, v16, v35
	ds_bpermute_b32 v4, v16, v34
	ds_bpermute_b32 v5, v16, v33
	ds_bpermute_b32 v6, v16, v32
	ds_bpermute_b32 v7, v16, v31
	ds_bpermute_b32 v9, v16, v29
	ds_bpermute_b32 v10, v16, v28
	ds_bpermute_b32 v11, v16, v27
	ds_bpermute_b32 v12, v16, v19
	ds_bpermute_b32 v14, v16, v18
	s_waitcnt lgkmcnt(0)
	s_waitcnt_vscnt null, 0x0
	s_barrier
	buffer_gl0_inv
	s_load_b32 s0, s[2:3], 0x0
	v_dual_add_f32 v0, v37, v0 :: v_dual_add_f32 v1, v38, v1
	v_add_f32_e32 v22, v30, v8
	v_dual_add_f32 v2, v36, v2 :: v_dual_add_f32 v3, v35, v3
	v_dual_add_f32 v4, v34, v4 :: v_dual_add_f32 v5, v33, v5
	ds_bpermute_b32 v16, v13, v1
	v_dual_add_f32 v6, v32, v6 :: v_dual_add_f32 v7, v31, v7
	v_add_f32_e32 v29, v29, v9
	ds_bpermute_b32 v26, v13, v22
	v_dual_add_f32 v19, v19, v12 :: v_dual_add_f32 v18, v18, v14
	v_dual_add_f32 v28, v28, v10 :: v_dual_add_f32 v27, v27, v11
	ds_bpermute_b32 v15, v13, v0
	ds_bpermute_b32 v20, v13, v2
	;; [unrolled: 1-line block ×11, first 2 shown]
	s_waitcnt lgkmcnt(0)
	v_add_f32_e32 v14, v1, v16
	scratch_load_b32 v1, off, s32 offset:328 ; 4-byte Folded Reload
	ds_bpermute_b32 v34, v13, v18
	v_and_b32_e32 v16, 0x3c3, v157
	s_delay_alu instid0(VALU_DEP_1)
	v_cmp_eq_u32_e32 vcc_lo, 64, v16
	v_dual_add_f32 v0, v0, v15 :: v_dual_add_f32 v13, v2, v20
	v_dual_add_f32 v12, v3, v21 :: v_dual_add_f32 v11, v4, v8
	;; [unrolled: 1-line block ×5, first 2 shown]
	v_add_f32_e32 v3, v19, v33
	v_add_f32_e32 v4, v27, v32
	v_mad_u32_u24 v15, 0x1c0, v191, s0
	s_waitcnt lgkmcnt(0)
	v_add_f32_e32 v2, v18, v34
	s_waitcnt vmcnt(0)
	v_lshrrev_b32_e32 v1, 2, v1
	s_delay_alu instid0(VALU_DEP_1)
	v_lshlrev_b32_e32 v16, 2, v1
	s_and_saveexec_b32 s0, vcc_lo
	s_cbranch_execz .LBB183_550
; %bb.549:
	s_delay_alu instid0(VALU_DEP_1)
	v_add3_u32 v18, v15, v16, 0xfffffc80
	ds_store_2addr_b32 v18, v0, v14 offset1:8
	ds_store_2addr_b32 v18, v13, v12 offset0:16 offset1:24
	ds_store_2addr_b32 v18, v11, v10 offset0:32 offset1:40
	;; [unrolled: 1-line block ×6, first 2 shown]
.LBB183_550:
	s_or_b32 exec_lo, exec_lo, s0
	v_cmp_eq_u32_e32 vcc_lo, 0, v17
	s_mov_b32 s2, exec_lo
	s_waitcnt lgkmcnt(0)
	s_barrier
	buffer_gl0_inv
	v_cmpx_gt_u32_e32 64, v157
	s_cbranch_execz .LBB183_567
; %bb.551:
	s_and_saveexec_b32 s0, vcc_lo
	s_cbranch_execnz .LBB183_646
; %bb.552:
	s_or_b32 exec_lo, exec_lo, s0
	s_and_saveexec_b32 s0, vcc_lo
	s_cbranch_execnz .LBB183_647
.LBB183_553:
	s_or_b32 exec_lo, exec_lo, s0
	s_and_saveexec_b32 s0, vcc_lo
	s_cbranch_execnz .LBB183_648
.LBB183_554:
	s_or_b32 exec_lo, exec_lo, s0
	s_and_saveexec_b32 s0, vcc_lo
	s_cbranch_execnz .LBB183_649
.LBB183_555:
	s_or_b32 exec_lo, exec_lo, s0
	s_and_saveexec_b32 s0, vcc_lo
	s_cbranch_execnz .LBB183_650
.LBB183_556:
	s_or_b32 exec_lo, exec_lo, s0
	s_and_saveexec_b32 s0, vcc_lo
	s_cbranch_execnz .LBB183_651
.LBB183_557:
	s_or_b32 exec_lo, exec_lo, s0
	s_and_saveexec_b32 s0, vcc_lo
	s_cbranch_execnz .LBB183_652
.LBB183_558:
	s_or_b32 exec_lo, exec_lo, s0
	s_and_saveexec_b32 s0, vcc_lo
	s_cbranch_execnz .LBB183_653
.LBB183_559:
	s_or_b32 exec_lo, exec_lo, s0
	s_and_saveexec_b32 s0, vcc_lo
	s_cbranch_execnz .LBB183_654
.LBB183_560:
	s_or_b32 exec_lo, exec_lo, s0
	s_and_saveexec_b32 s0, vcc_lo
	s_cbranch_execnz .LBB183_655
.LBB183_561:
	s_or_b32 exec_lo, exec_lo, s0
	s_and_saveexec_b32 s0, vcc_lo
	s_cbranch_execnz .LBB183_656
.LBB183_562:
	s_or_b32 exec_lo, exec_lo, s0
	s_and_saveexec_b32 s0, vcc_lo
	s_cbranch_execnz .LBB183_657
.LBB183_563:
	s_or_b32 exec_lo, exec_lo, s0
	s_and_saveexec_b32 s0, vcc_lo
	s_cbranch_execnz .LBB183_658
.LBB183_564:
	s_or_b32 exec_lo, exec_lo, s0
	s_and_saveexec_b32 s0, vcc_lo
	s_cbranch_execz .LBB183_566
.LBB183_565:
	v_lshl_add_u32 v17, v1, 2, v15
	ds_load_b32 v17, v17 offset:416
	s_waitcnt lgkmcnt(0)
	v_add_f32_e32 v2, v17, v2
.LBB183_566:
	s_or_b32 exec_lo, exec_lo, s0
.LBB183_567:
	s_delay_alu instid0(SALU_CYCLE_1)
	s_or_b32 exec_lo, exec_lo, s2
	v_and_b32_e32 v17, 0x3e3, v157
	s_mov_b32 s2, exec_lo
	s_barrier
	buffer_gl0_inv
	v_cmpx_eq_u32_e32 32, v17
	s_cbranch_execz .LBB183_569
; %bb.568:
	v_add3_u32 v16, v15, v16, 0xfffffe40
	ds_store_2addr_b32 v16, v0, v14 offset1:8
	ds_store_2addr_b32 v16, v13, v12 offset0:16 offset1:24
	ds_store_2addr_b32 v16, v11, v10 offset0:32 offset1:40
	;; [unrolled: 1-line block ×6, first 2 shown]
.LBB183_569:
	s_or_b32 exec_lo, exec_lo, s2
	v_cmp_gt_u32_e64 s0, 32, v157
	s_waitcnt lgkmcnt(0)
	s_barrier
	buffer_gl0_inv
	s_and_saveexec_b32 s2, s0
	s_cbranch_execz .LBB183_586
; %bb.570:
	v_lshl_add_u32 v1, v1, 2, v15
	s_and_saveexec_b32 s3, vcc_lo
	s_cbranch_execnz .LBB183_659
; %bb.571:
	s_or_b32 exec_lo, exec_lo, s3
	s_and_saveexec_b32 s3, vcc_lo
	s_cbranch_execnz .LBB183_660
.LBB183_572:
	s_or_b32 exec_lo, exec_lo, s3
	s_and_saveexec_b32 s3, vcc_lo
	s_cbranch_execnz .LBB183_661
.LBB183_573:
	s_or_b32 exec_lo, exec_lo, s3
	s_and_saveexec_b32 s3, vcc_lo
	s_cbranch_execnz .LBB183_662
.LBB183_574:
	s_or_b32 exec_lo, exec_lo, s3
	s_and_saveexec_b32 s3, vcc_lo
	s_cbranch_execnz .LBB183_663
.LBB183_575:
	s_or_b32 exec_lo, exec_lo, s3
	s_and_saveexec_b32 s3, vcc_lo
	s_cbranch_execnz .LBB183_664
.LBB183_576:
	s_or_b32 exec_lo, exec_lo, s3
	s_and_saveexec_b32 s3, vcc_lo
	s_cbranch_execnz .LBB183_665
.LBB183_577:
	s_or_b32 exec_lo, exec_lo, s3
	s_and_saveexec_b32 s3, vcc_lo
	s_cbranch_execnz .LBB183_666
.LBB183_578:
	s_or_b32 exec_lo, exec_lo, s3
	s_and_saveexec_b32 s3, vcc_lo
	s_cbranch_execnz .LBB183_667
.LBB183_579:
	s_or_b32 exec_lo, exec_lo, s3
	s_and_saveexec_b32 s3, vcc_lo
	s_cbranch_execnz .LBB183_668
.LBB183_580:
	s_or_b32 exec_lo, exec_lo, s3
	s_and_saveexec_b32 s3, vcc_lo
	s_cbranch_execnz .LBB183_669
.LBB183_581:
	s_or_b32 exec_lo, exec_lo, s3
	s_and_saveexec_b32 s3, vcc_lo
	s_cbranch_execnz .LBB183_670
.LBB183_582:
	s_or_b32 exec_lo, exec_lo, s3
	s_and_saveexec_b32 s3, vcc_lo
	s_cbranch_execnz .LBB183_671
.LBB183_583:
	s_or_b32 exec_lo, exec_lo, s3
	s_and_saveexec_b32 s3, vcc_lo
	s_cbranch_execz .LBB183_585
.LBB183_584:
	ds_load_b32 v1, v1 offset:416
	s_waitcnt lgkmcnt(0)
	v_add_f32_e32 v2, v1, v2
.LBB183_585:
	s_or_b32 exec_lo, exec_lo, s3
.LBB183_586:
	s_delay_alu instid0(SALU_CYCLE_1)
	s_or_b32 exec_lo, exec_lo, s2
	s_barrier
	buffer_gl0_inv
	s_and_b32 exec_lo, exec_lo, s0
	s_cbranch_execz .LBB183_645
; %bb.587:
	s_and_b32 exec_lo, exec_lo, vcc_lo
	s_cbranch_execz .LBB183_645
; %bb.588:
	v_and_b32_e32 v1, 0x7f800000, v0
	s_mov_b32 s0, exec_lo
                                        ; implicit-def: $vgpr15
	s_delay_alu instid0(VALU_DEP_1)
	v_cmpx_ne_u32_e32 0x7f800000, v1
	s_xor_b32 s0, exec_lo, s0
; %bb.589:
	v_bfe_u32 v1, v0, 16, 1
	s_delay_alu instid0(VALU_DEP_1)
	v_add3_u32 v15, v0, v1, 0x7fff
                                        ; implicit-def: $vgpr0
; %bb.590:
	s_and_not1_saveexec_b32 s0, s0
; %bb.591:
	v_and_b32_e32 v1, 0xffff, v0
	v_or_b32_e32 v15, 0x10000, v0
	s_delay_alu instid0(VALU_DEP_2) | instskip(NEXT) | instid1(VALU_DEP_2)
	v_cmp_eq_u32_e32 vcc_lo, 0, v1
	v_cndmask_b32_e32 v15, v15, v0, vcc_lo
; %bb.592:
	s_or_b32 exec_lo, exec_lo, s0
	s_mul_i32 s2, s1, s4
	s_mul_i32 s0, s6, s1
	;; [unrolled: 1-line block ×5, first 2 shown]
	s_ashr_i32 s1, s0, 31
	s_ashr_i32 s3, s2, 31
	;; [unrolled: 1-line block ×3, first 2 shown]
	s_lshl_b64 s[0:1], s[0:1], 1
	s_lshl_b64 s[2:3], s[2:3], 1
	s_lshl_b64 s[6:7], s[6:7], 1
	v_lshrrev_b32_e32 v0, 1, v157
	s_add_u32 s0, s2, s0
	s_addc_u32 s1, s3, s1
	s_add_u32 s0, s0, s6
	s_addc_u32 s1, s1, s7
	v_and_b32_e32 v0, 0x1fe, v0
	v_add_co_u32 v1, vcc_lo, s0, v156
	v_add_co_ci_u32_e32 v16, vcc_lo, s1, v155, vcc_lo
	v_and_b32_e32 v17, 0x7f800000, v14
	s_delay_alu instid0(VALU_DEP_3) | instskip(NEXT) | instid1(VALU_DEP_3)
	v_add_co_u32 v0, vcc_lo, v1, v0
	v_add_co_ci_u32_e32 v1, vcc_lo, 0, v16, vcc_lo
	s_mov_b32 s0, exec_lo
	flat_store_d16_hi_b16 v[0:1], v15
                                        ; implicit-def: $vgpr15
	v_cmpx_ne_u32_e32 0x7f800000, v17
	s_xor_b32 s0, exec_lo, s0
; %bb.593:
	v_bfe_u32 v15, v14, 16, 1
	s_delay_alu instid0(VALU_DEP_1)
	v_add3_u32 v15, v14, v15, 0x7fff
                                        ; implicit-def: $vgpr14
; %bb.594:
	s_and_not1_saveexec_b32 s0, s0
; %bb.595:
	v_and_b32_e32 v15, 0xffff, v14
	v_or_b32_e32 v16, 0x10000, v14
	s_delay_alu instid0(VALU_DEP_2) | instskip(NEXT) | instid1(VALU_DEP_2)
	v_cmp_eq_u32_e32 vcc_lo, 0, v15
	v_cndmask_b32_e32 v15, v16, v14, vcc_lo
; %bb.596:
	s_or_b32 exec_lo, exec_lo, s0
	v_and_b32_e32 v14, 0x7f800000, v13
	flat_store_d16_hi_b16 v[0:1], v15 offset:16
	v_cmp_ne_u32_e32 vcc_lo, 0x7f800000, v14
                                        ; implicit-def: $vgpr14
	s_and_saveexec_b32 s0, vcc_lo
	s_delay_alu instid0(SALU_CYCLE_1)
	s_xor_b32 s0, exec_lo, s0
; %bb.597:
	v_bfe_u32 v14, v13, 16, 1
	s_delay_alu instid0(VALU_DEP_1)
	v_add3_u32 v14, v13, v14, 0x7fff
                                        ; implicit-def: $vgpr13
; %bb.598:
	s_and_not1_saveexec_b32 s0, s0
; %bb.599:
	v_and_b32_e32 v14, 0xffff, v13
	v_or_b32_e32 v15, 0x10000, v13
	s_delay_alu instid0(VALU_DEP_2) | instskip(NEXT) | instid1(VALU_DEP_2)
	v_cmp_eq_u32_e32 vcc_lo, 0, v14
	v_cndmask_b32_e32 v14, v15, v13, vcc_lo
; %bb.600:
	s_or_b32 exec_lo, exec_lo, s0
	v_and_b32_e32 v13, 0x7f800000, v12
	flat_store_d16_hi_b16 v[0:1], v14 offset:32
	v_cmp_ne_u32_e32 vcc_lo, 0x7f800000, v13
                                        ; implicit-def: $vgpr13
	s_and_saveexec_b32 s0, vcc_lo
	s_delay_alu instid0(SALU_CYCLE_1)
	s_xor_b32 s0, exec_lo, s0
; %bb.601:
	v_bfe_u32 v13, v12, 16, 1
	s_delay_alu instid0(VALU_DEP_1)
	v_add3_u32 v13, v12, v13, 0x7fff
                                        ; implicit-def: $vgpr12
; %bb.602:
	s_and_not1_saveexec_b32 s0, s0
; %bb.603:
	v_and_b32_e32 v13, 0xffff, v12
	v_or_b32_e32 v14, 0x10000, v12
	s_delay_alu instid0(VALU_DEP_2) | instskip(NEXT) | instid1(VALU_DEP_2)
	v_cmp_eq_u32_e32 vcc_lo, 0, v13
	v_cndmask_b32_e32 v13, v14, v12, vcc_lo
; %bb.604:
	s_or_b32 exec_lo, exec_lo, s0
	v_and_b32_e32 v12, 0x7f800000, v11
	flat_store_d16_hi_b16 v[0:1], v13 offset:48
	v_cmp_ne_u32_e32 vcc_lo, 0x7f800000, v12
                                        ; implicit-def: $vgpr12
	s_and_saveexec_b32 s0, vcc_lo
	s_delay_alu instid0(SALU_CYCLE_1)
	s_xor_b32 s0, exec_lo, s0
; %bb.605:
	v_bfe_u32 v12, v11, 16, 1
	s_delay_alu instid0(VALU_DEP_1)
	v_add3_u32 v12, v11, v12, 0x7fff
                                        ; implicit-def: $vgpr11
; %bb.606:
	s_and_not1_saveexec_b32 s0, s0
; %bb.607:
	v_and_b32_e32 v12, 0xffff, v11
	v_or_b32_e32 v13, 0x10000, v11
	s_delay_alu instid0(VALU_DEP_2) | instskip(NEXT) | instid1(VALU_DEP_2)
	v_cmp_eq_u32_e32 vcc_lo, 0, v12
	v_cndmask_b32_e32 v12, v13, v11, vcc_lo
; %bb.608:
	s_or_b32 exec_lo, exec_lo, s0
	v_and_b32_e32 v11, 0x7f800000, v10
	flat_store_d16_hi_b16 v[0:1], v12 offset:64
	v_cmp_ne_u32_e32 vcc_lo, 0x7f800000, v11
                                        ; implicit-def: $vgpr11
	s_and_saveexec_b32 s0, vcc_lo
	s_delay_alu instid0(SALU_CYCLE_1)
	s_xor_b32 s0, exec_lo, s0
; %bb.609:
	v_bfe_u32 v11, v10, 16, 1
	s_delay_alu instid0(VALU_DEP_1)
	v_add3_u32 v11, v10, v11, 0x7fff
                                        ; implicit-def: $vgpr10
; %bb.610:
	s_and_not1_saveexec_b32 s0, s0
; %bb.611:
	v_and_b32_e32 v11, 0xffff, v10
	v_or_b32_e32 v12, 0x10000, v10
	s_delay_alu instid0(VALU_DEP_2) | instskip(NEXT) | instid1(VALU_DEP_2)
	v_cmp_eq_u32_e32 vcc_lo, 0, v11
	v_cndmask_b32_e32 v11, v12, v10, vcc_lo
; %bb.612:
	s_or_b32 exec_lo, exec_lo, s0
	v_and_b32_e32 v10, 0x7f800000, v9
	flat_store_d16_hi_b16 v[0:1], v11 offset:80
	v_cmp_ne_u32_e32 vcc_lo, 0x7f800000, v10
                                        ; implicit-def: $vgpr10
	s_and_saveexec_b32 s0, vcc_lo
	s_delay_alu instid0(SALU_CYCLE_1)
	s_xor_b32 s0, exec_lo, s0
; %bb.613:
	v_bfe_u32 v10, v9, 16, 1
	s_delay_alu instid0(VALU_DEP_1)
	v_add3_u32 v10, v9, v10, 0x7fff
                                        ; implicit-def: $vgpr9
; %bb.614:
	s_and_not1_saveexec_b32 s0, s0
; %bb.615:
	v_and_b32_e32 v10, 0xffff, v9
	v_or_b32_e32 v11, 0x10000, v9
	s_delay_alu instid0(VALU_DEP_2) | instskip(NEXT) | instid1(VALU_DEP_2)
	v_cmp_eq_u32_e32 vcc_lo, 0, v10
	v_cndmask_b32_e32 v10, v11, v9, vcc_lo
; %bb.616:
	s_or_b32 exec_lo, exec_lo, s0
	v_and_b32_e32 v9, 0x7f800000, v8
	flat_store_d16_hi_b16 v[0:1], v10 offset:96
	v_cmp_ne_u32_e32 vcc_lo, 0x7f800000, v9
                                        ; implicit-def: $vgpr9
	s_and_saveexec_b32 s0, vcc_lo
	s_delay_alu instid0(SALU_CYCLE_1)
	s_xor_b32 s0, exec_lo, s0
; %bb.617:
	v_bfe_u32 v9, v8, 16, 1
	s_delay_alu instid0(VALU_DEP_1)
	v_add3_u32 v9, v8, v9, 0x7fff
                                        ; implicit-def: $vgpr8
; %bb.618:
	s_and_not1_saveexec_b32 s0, s0
; %bb.619:
	v_and_b32_e32 v9, 0xffff, v8
	v_or_b32_e32 v10, 0x10000, v8
	s_delay_alu instid0(VALU_DEP_2) | instskip(NEXT) | instid1(VALU_DEP_2)
	v_cmp_eq_u32_e32 vcc_lo, 0, v9
	v_cndmask_b32_e32 v9, v10, v8, vcc_lo
; %bb.620:
	s_or_b32 exec_lo, exec_lo, s0
	v_and_b32_e32 v8, 0x7f800000, v7
	flat_store_d16_hi_b16 v[0:1], v9 offset:112
	v_cmp_ne_u32_e32 vcc_lo, 0x7f800000, v8
                                        ; implicit-def: $vgpr8
	s_and_saveexec_b32 s0, vcc_lo
	s_delay_alu instid0(SALU_CYCLE_1)
	s_xor_b32 s0, exec_lo, s0
; %bb.621:
	v_bfe_u32 v8, v7, 16, 1
	s_delay_alu instid0(VALU_DEP_1)
	v_add3_u32 v8, v7, v8, 0x7fff
                                        ; implicit-def: $vgpr7
; %bb.622:
	s_and_not1_saveexec_b32 s0, s0
; %bb.623:
	v_and_b32_e32 v8, 0xffff, v7
	v_or_b32_e32 v9, 0x10000, v7
	s_delay_alu instid0(VALU_DEP_2) | instskip(NEXT) | instid1(VALU_DEP_2)
	v_cmp_eq_u32_e32 vcc_lo, 0, v8
	v_cndmask_b32_e32 v8, v9, v7, vcc_lo
; %bb.624:
	s_or_b32 exec_lo, exec_lo, s0
	v_and_b32_e32 v7, 0x7f800000, v6
	flat_store_d16_hi_b16 v[0:1], v8 offset:128
	v_cmp_ne_u32_e32 vcc_lo, 0x7f800000, v7
                                        ; implicit-def: $vgpr7
	s_and_saveexec_b32 s0, vcc_lo
	s_delay_alu instid0(SALU_CYCLE_1)
	s_xor_b32 s0, exec_lo, s0
; %bb.625:
	v_bfe_u32 v7, v6, 16, 1
	s_delay_alu instid0(VALU_DEP_1)
	v_add3_u32 v7, v6, v7, 0x7fff
                                        ; implicit-def: $vgpr6
; %bb.626:
	s_and_not1_saveexec_b32 s0, s0
; %bb.627:
	v_and_b32_e32 v7, 0xffff, v6
	v_or_b32_e32 v8, 0x10000, v6
	s_delay_alu instid0(VALU_DEP_2) | instskip(NEXT) | instid1(VALU_DEP_2)
	v_cmp_eq_u32_e32 vcc_lo, 0, v7
	v_cndmask_b32_e32 v7, v8, v6, vcc_lo
; %bb.628:
	s_or_b32 exec_lo, exec_lo, s0
	v_and_b32_e32 v6, 0x7f800000, v5
	flat_store_d16_hi_b16 v[0:1], v7 offset:144
	v_cmp_ne_u32_e32 vcc_lo, 0x7f800000, v6
                                        ; implicit-def: $vgpr6
	s_and_saveexec_b32 s0, vcc_lo
	s_delay_alu instid0(SALU_CYCLE_1)
	s_xor_b32 s0, exec_lo, s0
; %bb.629:
	v_bfe_u32 v6, v5, 16, 1
	s_delay_alu instid0(VALU_DEP_1)
	v_add3_u32 v6, v5, v6, 0x7fff
                                        ; implicit-def: $vgpr5
; %bb.630:
	s_and_not1_saveexec_b32 s0, s0
; %bb.631:
	v_and_b32_e32 v6, 0xffff, v5
	v_or_b32_e32 v7, 0x10000, v5
	s_delay_alu instid0(VALU_DEP_2) | instskip(NEXT) | instid1(VALU_DEP_2)
	v_cmp_eq_u32_e32 vcc_lo, 0, v6
	v_cndmask_b32_e32 v6, v7, v5, vcc_lo
; %bb.632:
	s_or_b32 exec_lo, exec_lo, s0
	v_and_b32_e32 v5, 0x7f800000, v4
	flat_store_d16_hi_b16 v[0:1], v6 offset:160
	v_cmp_ne_u32_e32 vcc_lo, 0x7f800000, v5
                                        ; implicit-def: $vgpr5
	s_and_saveexec_b32 s0, vcc_lo
	s_delay_alu instid0(SALU_CYCLE_1)
	s_xor_b32 s0, exec_lo, s0
; %bb.633:
	v_bfe_u32 v5, v4, 16, 1
	s_delay_alu instid0(VALU_DEP_1)
	v_add3_u32 v5, v4, v5, 0x7fff
                                        ; implicit-def: $vgpr4
; %bb.634:
	s_and_not1_saveexec_b32 s0, s0
; %bb.635:
	v_and_b32_e32 v5, 0xffff, v4
	v_or_b32_e32 v6, 0x10000, v4
	s_delay_alu instid0(VALU_DEP_2) | instskip(NEXT) | instid1(VALU_DEP_2)
	v_cmp_eq_u32_e32 vcc_lo, 0, v5
	v_cndmask_b32_e32 v5, v6, v4, vcc_lo
; %bb.636:
	s_or_b32 exec_lo, exec_lo, s0
	v_and_b32_e32 v4, 0x7f800000, v3
	flat_store_d16_hi_b16 v[0:1], v5 offset:176
	v_cmp_ne_u32_e32 vcc_lo, 0x7f800000, v4
                                        ; implicit-def: $vgpr4
	s_and_saveexec_b32 s0, vcc_lo
	s_delay_alu instid0(SALU_CYCLE_1)
	s_xor_b32 s0, exec_lo, s0
; %bb.637:
	v_bfe_u32 v4, v3, 16, 1
	s_delay_alu instid0(VALU_DEP_1)
	v_add3_u32 v4, v3, v4, 0x7fff
                                        ; implicit-def: $vgpr3
; %bb.638:
	s_and_not1_saveexec_b32 s0, s0
; %bb.639:
	v_and_b32_e32 v4, 0xffff, v3
	v_or_b32_e32 v5, 0x10000, v3
	s_delay_alu instid0(VALU_DEP_2) | instskip(NEXT) | instid1(VALU_DEP_2)
	v_cmp_eq_u32_e32 vcc_lo, 0, v4
	v_cndmask_b32_e32 v4, v5, v3, vcc_lo
; %bb.640:
	s_or_b32 exec_lo, exec_lo, s0
	v_and_b32_e32 v3, 0x7f800000, v2
	flat_store_d16_hi_b16 v[0:1], v4 offset:192
	v_cmp_ne_u32_e32 vcc_lo, 0x7f800000, v3
                                        ; implicit-def: $vgpr3
	s_and_saveexec_b32 s0, vcc_lo
	s_delay_alu instid0(SALU_CYCLE_1)
	s_xor_b32 s0, exec_lo, s0
; %bb.641:
	v_bfe_u32 v3, v2, 16, 1
	s_delay_alu instid0(VALU_DEP_1)
	v_add3_u32 v3, v2, v3, 0x7fff
                                        ; implicit-def: $vgpr2
; %bb.642:
	s_and_not1_saveexec_b32 s0, s0
; %bb.643:
	v_and_b32_e32 v3, 0xffff, v2
	v_or_b32_e32 v4, 0x10000, v2
	s_delay_alu instid0(VALU_DEP_2) | instskip(NEXT) | instid1(VALU_DEP_2)
	v_cmp_eq_u32_e32 vcc_lo, 0, v3
	v_cndmask_b32_e32 v3, v4, v2, vcc_lo
; %bb.644:
	s_or_b32 exec_lo, exec_lo, s0
	flat_store_d16_hi_b16 v[0:1], v3 offset:208
.LBB183_645:
	s_or_b32 exec_lo, exec_lo, s5
	s_clause 0x1f
	scratch_load_b32 v191, off, s32
	scratch_load_b32 v190, off, s32 offset:4
	scratch_load_b32 v189, off, s32 offset:8
	;; [unrolled: 1-line block ×31, first 2 shown]
	s_clause 0x1f
	scratch_load_b32 v127, off, s32 offset:128
	scratch_load_b32 v126, off, s32 offset:132
	;; [unrolled: 1-line block ×32, first 2 shown]
	s_clause 0xf
	scratch_load_b32 v63, off, s32 offset:256
	scratch_load_b32 v62, off, s32 offset:260
	;; [unrolled: 1-line block ×16, first 2 shown]
	s_waitcnt vmcnt(0) lgkmcnt(0)
	s_setpc_b64 s[30:31]
.LBB183_646:
	v_lshl_add_u32 v17, v1, 2, v15
	ds_load_b32 v17, v17
	s_waitcnt lgkmcnt(0)
	v_add_f32_e32 v0, v17, v0
	s_or_b32 exec_lo, exec_lo, s0
	s_and_saveexec_b32 s0, vcc_lo
	s_cbranch_execz .LBB183_553
.LBB183_647:
	v_lshl_add_u32 v17, v1, 2, v15
	ds_load_b32 v17, v17 offset:32
	s_waitcnt lgkmcnt(0)
	v_add_f32_e32 v14, v17, v14
	s_or_b32 exec_lo, exec_lo, s0
	s_and_saveexec_b32 s0, vcc_lo
	s_cbranch_execz .LBB183_554
.LBB183_648:
	v_lshl_add_u32 v17, v1, 2, v15
	ds_load_b32 v17, v17 offset:64
	s_waitcnt lgkmcnt(0)
	v_add_f32_e32 v13, v17, v13
	s_or_b32 exec_lo, exec_lo, s0
	s_and_saveexec_b32 s0, vcc_lo
	s_cbranch_execz .LBB183_555
.LBB183_649:
	v_lshl_add_u32 v17, v1, 2, v15
	ds_load_b32 v17, v17 offset:96
	s_waitcnt lgkmcnt(0)
	v_add_f32_e32 v12, v17, v12
	s_or_b32 exec_lo, exec_lo, s0
	s_and_saveexec_b32 s0, vcc_lo
	s_cbranch_execz .LBB183_556
.LBB183_650:
	v_lshl_add_u32 v17, v1, 2, v15
	ds_load_b32 v17, v17 offset:128
	s_waitcnt lgkmcnt(0)
	v_add_f32_e32 v11, v17, v11
	s_or_b32 exec_lo, exec_lo, s0
	s_and_saveexec_b32 s0, vcc_lo
	s_cbranch_execz .LBB183_557
.LBB183_651:
	v_lshl_add_u32 v17, v1, 2, v15
	ds_load_b32 v17, v17 offset:160
	s_waitcnt lgkmcnt(0)
	v_add_f32_e32 v10, v17, v10
	s_or_b32 exec_lo, exec_lo, s0
	s_and_saveexec_b32 s0, vcc_lo
	s_cbranch_execz .LBB183_558
.LBB183_652:
	v_lshl_add_u32 v17, v1, 2, v15
	ds_load_b32 v17, v17 offset:192
	s_waitcnt lgkmcnt(0)
	v_add_f32_e32 v9, v17, v9
	s_or_b32 exec_lo, exec_lo, s0
	s_and_saveexec_b32 s0, vcc_lo
	s_cbranch_execz .LBB183_559
.LBB183_653:
	v_lshl_add_u32 v17, v1, 2, v15
	ds_load_b32 v17, v17 offset:224
	s_waitcnt lgkmcnt(0)
	v_add_f32_e32 v8, v17, v8
	s_or_b32 exec_lo, exec_lo, s0
	s_and_saveexec_b32 s0, vcc_lo
	s_cbranch_execz .LBB183_560
.LBB183_654:
	v_lshl_add_u32 v17, v1, 2, v15
	ds_load_b32 v17, v17 offset:256
	s_waitcnt lgkmcnt(0)
	v_add_f32_e32 v7, v17, v7
	s_or_b32 exec_lo, exec_lo, s0
	s_and_saveexec_b32 s0, vcc_lo
	s_cbranch_execz .LBB183_561
.LBB183_655:
	v_lshl_add_u32 v17, v1, 2, v15
	ds_load_b32 v17, v17 offset:288
	s_waitcnt lgkmcnt(0)
	v_add_f32_e32 v6, v17, v6
	s_or_b32 exec_lo, exec_lo, s0
	s_and_saveexec_b32 s0, vcc_lo
	s_cbranch_execz .LBB183_562
.LBB183_656:
	v_lshl_add_u32 v17, v1, 2, v15
	ds_load_b32 v17, v17 offset:320
	s_waitcnt lgkmcnt(0)
	v_add_f32_e32 v5, v17, v5
	s_or_b32 exec_lo, exec_lo, s0
	s_and_saveexec_b32 s0, vcc_lo
	s_cbranch_execz .LBB183_563
.LBB183_657:
	v_lshl_add_u32 v17, v1, 2, v15
	ds_load_b32 v17, v17 offset:352
	s_waitcnt lgkmcnt(0)
	v_add_f32_e32 v4, v17, v4
	s_or_b32 exec_lo, exec_lo, s0
	s_and_saveexec_b32 s0, vcc_lo
	s_cbranch_execz .LBB183_564
.LBB183_658:
	v_lshl_add_u32 v17, v1, 2, v15
	ds_load_b32 v17, v17 offset:384
	s_waitcnt lgkmcnt(0)
	v_add_f32_e32 v3, v17, v3
	s_or_b32 exec_lo, exec_lo, s0
	s_and_saveexec_b32 s0, vcc_lo
	s_cbranch_execnz .LBB183_565
	s_branch .LBB183_566
.LBB183_659:
	ds_load_b32 v15, v1
	s_waitcnt lgkmcnt(0)
	v_add_f32_e32 v0, v15, v0
	s_or_b32 exec_lo, exec_lo, s3
	s_and_saveexec_b32 s3, vcc_lo
	s_cbranch_execz .LBB183_572
.LBB183_660:
	ds_load_b32 v15, v1 offset:32
	s_waitcnt lgkmcnt(0)
	v_add_f32_e32 v14, v15, v14
	s_or_b32 exec_lo, exec_lo, s3
	s_and_saveexec_b32 s3, vcc_lo
	s_cbranch_execz .LBB183_573
.LBB183_661:
	ds_load_b32 v15, v1 offset:64
	s_waitcnt lgkmcnt(0)
	v_add_f32_e32 v13, v15, v13
	s_or_b32 exec_lo, exec_lo, s3
	s_and_saveexec_b32 s3, vcc_lo
	s_cbranch_execz .LBB183_574
.LBB183_662:
	ds_load_b32 v15, v1 offset:96
	s_waitcnt lgkmcnt(0)
	v_add_f32_e32 v12, v15, v12
	s_or_b32 exec_lo, exec_lo, s3
	s_and_saveexec_b32 s3, vcc_lo
	s_cbranch_execz .LBB183_575
.LBB183_663:
	ds_load_b32 v15, v1 offset:128
	s_waitcnt lgkmcnt(0)
	v_add_f32_e32 v11, v15, v11
	s_or_b32 exec_lo, exec_lo, s3
	s_and_saveexec_b32 s3, vcc_lo
	s_cbranch_execz .LBB183_576
.LBB183_664:
	ds_load_b32 v15, v1 offset:160
	s_waitcnt lgkmcnt(0)
	v_add_f32_e32 v10, v15, v10
	s_or_b32 exec_lo, exec_lo, s3
	s_and_saveexec_b32 s3, vcc_lo
	s_cbranch_execz .LBB183_577
.LBB183_665:
	ds_load_b32 v15, v1 offset:192
	s_waitcnt lgkmcnt(0)
	v_add_f32_e32 v9, v15, v9
	s_or_b32 exec_lo, exec_lo, s3
	s_and_saveexec_b32 s3, vcc_lo
	s_cbranch_execz .LBB183_578
.LBB183_666:
	ds_load_b32 v15, v1 offset:224
	s_waitcnt lgkmcnt(0)
	v_add_f32_e32 v8, v15, v8
	s_or_b32 exec_lo, exec_lo, s3
	s_and_saveexec_b32 s3, vcc_lo
	s_cbranch_execz .LBB183_579
.LBB183_667:
	ds_load_b32 v15, v1 offset:256
	s_waitcnt lgkmcnt(0)
	v_add_f32_e32 v7, v15, v7
	s_or_b32 exec_lo, exec_lo, s3
	s_and_saveexec_b32 s3, vcc_lo
	s_cbranch_execz .LBB183_580
.LBB183_668:
	ds_load_b32 v15, v1 offset:288
	s_waitcnt lgkmcnt(0)
	v_add_f32_e32 v6, v15, v6
	s_or_b32 exec_lo, exec_lo, s3
	s_and_saveexec_b32 s3, vcc_lo
	s_cbranch_execz .LBB183_581
.LBB183_669:
	ds_load_b32 v15, v1 offset:320
	s_waitcnt lgkmcnt(0)
	v_add_f32_e32 v5, v15, v5
	s_or_b32 exec_lo, exec_lo, s3
	s_and_saveexec_b32 s3, vcc_lo
	s_cbranch_execz .LBB183_582
.LBB183_670:
	ds_load_b32 v15, v1 offset:352
	s_waitcnt lgkmcnt(0)
	v_add_f32_e32 v4, v15, v4
	s_or_b32 exec_lo, exec_lo, s3
	s_and_saveexec_b32 s3, vcc_lo
	s_cbranch_execz .LBB183_583
.LBB183_671:
	ds_load_b32 v15, v1 offset:384
	s_waitcnt lgkmcnt(0)
	v_add_f32_e32 v3, v15, v3
	s_or_b32 exec_lo, exec_lo, s3
	s_and_saveexec_b32 s3, vcc_lo
	s_cbranch_execnz .LBB183_584
	s_branch .LBB183_585
.Lfunc_end183:
	.size	_ZN4vllm22paged_attention_kernelI14__hip_bfloat16S1_Li112ELi32ELi128ELNS_18Fp8KVCacheDataTypeE0ELb1ELi512EEEvPfS3_PT_PKS4_PKT0_SA_ifPKiSC_iPKfiiiSE_SE_iiiii, .Lfunc_end183-_ZN4vllm22paged_attention_kernelI14__hip_bfloat16S1_Li112ELi32ELi128ELNS_18Fp8KVCacheDataTypeE0ELb1ELi512EEEvPfS3_PT_PKS4_PKT0_SA_ifPKiSC_iPKfiiiSE_SE_iiiii
                                        ; -- End function
	.section	.AMDGPU.csdata,"",@progbits
; Function info:
; codeLenInByte = 29472
; NumSgprs: 35
; NumVgprs: 192
; ScratchSize: 468
; MemoryBound: 0
	.section	.text._ZN4vllm25paged_attention_v2_kernelI14__hip_bfloat16S1_Li112ELi32ELi128ELNS_18Fp8KVCacheDataTypeE0ELb1ELi512EEEvPfS3_PT_PKS4_PKT0_SA_ifPKiSC_iPKfiiiSE_SE_iiiii,"axG",@progbits,_ZN4vllm25paged_attention_v2_kernelI14__hip_bfloat16S1_Li112ELi32ELi128ELNS_18Fp8KVCacheDataTypeE0ELb1ELi512EEEvPfS3_PT_PKS4_PKT0_SA_ifPKiSC_iPKfiiiSE_SE_iiiii,comdat
	.protected	_ZN4vllm25paged_attention_v2_kernelI14__hip_bfloat16S1_Li112ELi32ELi128ELNS_18Fp8KVCacheDataTypeE0ELb1ELi512EEEvPfS3_PT_PKS4_PKT0_SA_ifPKiSC_iPKfiiiSE_SE_iiiii ; -- Begin function _ZN4vllm25paged_attention_v2_kernelI14__hip_bfloat16S1_Li112ELi32ELi128ELNS_18Fp8KVCacheDataTypeE0ELb1ELi512EEEvPfS3_PT_PKS4_PKT0_SA_ifPKiSC_iPKfiiiSE_SE_iiiii
	.globl	_ZN4vllm25paged_attention_v2_kernelI14__hip_bfloat16S1_Li112ELi32ELi128ELNS_18Fp8KVCacheDataTypeE0ELb1ELi512EEEvPfS3_PT_PKS4_PKT0_SA_ifPKiSC_iPKfiiiSE_SE_iiiii
	.p2align	8
	.type	_ZN4vllm25paged_attention_v2_kernelI14__hip_bfloat16S1_Li112ELi32ELi128ELNS_18Fp8KVCacheDataTypeE0ELb1ELi512EEEvPfS3_PT_PKS4_PKT0_SA_ifPKiSC_iPKfiiiSE_SE_iiiii,@function
_ZN4vllm25paged_attention_v2_kernelI14__hip_bfloat16S1_Li112ELi32ELi128ELNS_18Fp8KVCacheDataTypeE0ELb1ELi512EEEvPfS3_PT_PKS4_PKT0_SA_ifPKiSC_iPKfiiiSE_SE_iiiii: ; @_ZN4vllm25paged_attention_v2_kernelI14__hip_bfloat16S1_Li112ELi32ELi128ELNS_18Fp8KVCacheDataTypeE0ELb1ELi512EEEvPfS3_PT_PKS4_PKT0_SA_ifPKiSC_iPKfiiiSE_SE_iiiii
; %bb.0:
	s_mov_b32 s12, s13
	s_clause 0x7
	s_load_b256 s[24:31], s[0:1], 0x0
	s_load_b256 s[16:23], s[0:1], 0x20
	s_load_b64 s[2:3], s[0:1], 0x40
	s_load_b64 s[10:11], s[0:1], 0x50
	s_load_b32 s13, s[0:1], 0x48
	s_load_b32 s33, s[0:1], 0x88
	s_load_b128 s[36:39], s[0:1], 0x58
	s_load_b128 s[4:7], s[0:1], 0x78
	v_mov_b32_e32 v31, v0
	s_add_u32 s8, s0, 0x90
	s_addc_u32 s9, s1, 0
	s_mov_b32 s32, 0
	s_getpc_b64 s[0:1]
	s_add_u32 s0, s0, _ZN4vllm22paged_attention_kernelI14__hip_bfloat16S1_Li112ELi32ELi128ELNS_18Fp8KVCacheDataTypeE0ELb1ELi512EEEvPfS3_PT_PKS4_PKT0_SA_ifPKiSC_iPKfiiiSE_SE_iiiii@rel32@lo+4
	s_addc_u32 s1, s1, _ZN4vllm22paged_attention_kernelI14__hip_bfloat16S1_Li112ELi32ELi128ELNS_18Fp8KVCacheDataTypeE0ELb1ELi512EEEvPfS3_PT_PKS4_PKT0_SA_ifPKiSC_iPKfiiiSE_SE_iiiii@rel32@hi+12
	s_waitcnt lgkmcnt(0)
	v_dual_mov_b32 v0, s24 :: v_dual_mov_b32 v1, s25
	v_dual_mov_b32 v2, s26 :: v_dual_mov_b32 v3, s27
	;; [unrolled: 1-line block ×14, first 2 shown]
	v_mov_b32_e32 v28, s33
	s_mov_b32 s13, s14
	s_mov_b32 s14, s15
	s_mov_b32 s15, 1
	s_swappc_b64 s[30:31], s[0:1]
	s_endpgm
	.section	.rodata,"a",@progbits
	.p2align	6, 0x0
	.amdhsa_kernel _ZN4vllm25paged_attention_v2_kernelI14__hip_bfloat16S1_Li112ELi32ELi128ELNS_18Fp8KVCacheDataTypeE0ELb1ELi512EEEvPfS3_PT_PKS4_PKT0_SA_ifPKiSC_iPKfiiiSE_SE_iiiii
		.amdhsa_group_segment_fixed_size 256
		.amdhsa_private_segment_fixed_size 468
		.amdhsa_kernarg_size 400
		.amdhsa_user_sgpr_count 13
		.amdhsa_user_sgpr_dispatch_ptr 0
		.amdhsa_user_sgpr_queue_ptr 0
		.amdhsa_user_sgpr_kernarg_segment_ptr 1
		.amdhsa_user_sgpr_dispatch_id 0
		.amdhsa_user_sgpr_private_segment_size 0
		.amdhsa_wavefront_size32 1
		.amdhsa_uses_dynamic_stack 0
		.amdhsa_enable_private_segment 1
		.amdhsa_system_sgpr_workgroup_id_x 1
		.amdhsa_system_sgpr_workgroup_id_y 1
		.amdhsa_system_sgpr_workgroup_id_z 1
		.amdhsa_system_sgpr_workgroup_info 0
		.amdhsa_system_vgpr_workitem_id 0
		.amdhsa_next_free_vgpr 192
		.amdhsa_next_free_sgpr 40
		.amdhsa_reserve_vcc 1
		.amdhsa_float_round_mode_32 0
		.amdhsa_float_round_mode_16_64 0
		.amdhsa_float_denorm_mode_32 3
		.amdhsa_float_denorm_mode_16_64 3
		.amdhsa_dx10_clamp 1
		.amdhsa_ieee_mode 1
		.amdhsa_fp16_overflow 0
		.amdhsa_workgroup_processor_mode 1
		.amdhsa_memory_ordered 1
		.amdhsa_forward_progress 0
		.amdhsa_shared_vgpr_count 0
		.amdhsa_exception_fp_ieee_invalid_op 0
		.amdhsa_exception_fp_denorm_src 0
		.amdhsa_exception_fp_ieee_div_zero 0
		.amdhsa_exception_fp_ieee_overflow 0
		.amdhsa_exception_fp_ieee_underflow 0
		.amdhsa_exception_fp_ieee_inexact 0
		.amdhsa_exception_int_div_zero 0
	.end_amdhsa_kernel
	.section	.text._ZN4vllm25paged_attention_v2_kernelI14__hip_bfloat16S1_Li112ELi32ELi128ELNS_18Fp8KVCacheDataTypeE0ELb1ELi512EEEvPfS3_PT_PKS4_PKT0_SA_ifPKiSC_iPKfiiiSE_SE_iiiii,"axG",@progbits,_ZN4vllm25paged_attention_v2_kernelI14__hip_bfloat16S1_Li112ELi32ELi128ELNS_18Fp8KVCacheDataTypeE0ELb1ELi512EEEvPfS3_PT_PKS4_PKT0_SA_ifPKiSC_iPKfiiiSE_SE_iiiii,comdat
.Lfunc_end184:
	.size	_ZN4vllm25paged_attention_v2_kernelI14__hip_bfloat16S1_Li112ELi32ELi128ELNS_18Fp8KVCacheDataTypeE0ELb1ELi512EEEvPfS3_PT_PKS4_PKT0_SA_ifPKiSC_iPKfiiiSE_SE_iiiii, .Lfunc_end184-_ZN4vllm25paged_attention_v2_kernelI14__hip_bfloat16S1_Li112ELi32ELi128ELNS_18Fp8KVCacheDataTypeE0ELb1ELi512EEEvPfS3_PT_PKS4_PKT0_SA_ifPKiSC_iPKfiiiSE_SE_iiiii
                                        ; -- End function
	.section	.AMDGPU.csdata,"",@progbits
; Kernel info:
; codeLenInByte = 252
; NumSgprs: 42
; NumVgprs: 192
; ScratchSize: 468
; MemoryBound: 0
; FloatMode: 240
; IeeeMode: 1
; LDSByteSize: 256 bytes/workgroup (compile time only)
; SGPRBlocks: 5
; VGPRBlocks: 23
; NumSGPRsForWavesPerEU: 42
; NumVGPRsForWavesPerEU: 192
; Occupancy: 8
; WaveLimiterHint : 1
; COMPUTE_PGM_RSRC2:SCRATCH_EN: 1
; COMPUTE_PGM_RSRC2:USER_SGPR: 13
; COMPUTE_PGM_RSRC2:TRAP_HANDLER: 0
; COMPUTE_PGM_RSRC2:TGID_X_EN: 1
; COMPUTE_PGM_RSRC2:TGID_Y_EN: 1
; COMPUTE_PGM_RSRC2:TGID_Z_EN: 1
; COMPUTE_PGM_RSRC2:TIDIG_COMP_CNT: 0
	.text
	.p2align	2                               ; -- Begin function _ZN4vllm22paged_attention_kernelI14__hip_bfloat16S1_Li120ELi32ELi128ELNS_18Fp8KVCacheDataTypeE0ELb1ELi512EEEvPfS3_PT_PKS4_PKT0_SA_ifPKiSC_iPKfiiiSE_SE_iiiii
	.type	_ZN4vllm22paged_attention_kernelI14__hip_bfloat16S1_Li120ELi32ELi128ELNS_18Fp8KVCacheDataTypeE0ELb1ELi512EEEvPfS3_PT_PKS4_PKT0_SA_ifPKiSC_iPKfiiiSE_SE_iiiii,@function
_ZN4vllm22paged_attention_kernelI14__hip_bfloat16S1_Li120ELi32ELi128ELNS_18Fp8KVCacheDataTypeE0ELb1ELi512EEEvPfS3_PT_PKS4_PKT0_SA_ifPKiSC_iPKfiiiSE_SE_iiiii: ; @_ZN4vllm22paged_attention_kernelI14__hip_bfloat16S1_Li120ELi32ELi128ELNS_18Fp8KVCacheDataTypeE0ELb1ELi512EEEvPfS3_PT_PKS4_PKT0_SA_ifPKiSC_iPKfiiiSE_SE_iiiii
; %bb.0:
	s_waitcnt vmcnt(0) expcnt(0) lgkmcnt(0)
	s_clause 0x1f
	scratch_store_b32 off, v40, s32 offset:316
	; meta instruction
	scratch_store_b32 off, v41, s32 offset:312
	; meta instruction
	scratch_store_b32 off, v42, s32 offset:308
	; meta instruction
	scratch_store_b32 off, v43, s32 offset:304
	; meta instruction
	scratch_store_b32 off, v44, s32 offset:300
	; meta instruction
	scratch_store_b32 off, v45, s32 offset:296
	; meta instruction
	scratch_store_b32 off, v46, s32 offset:292
	; meta instruction
	scratch_store_b32 off, v47, s32 offset:288
	; meta instruction
	scratch_store_b32 off, v56, s32 offset:284
	; meta instruction
	scratch_store_b32 off, v57, s32 offset:280
	; meta instruction
	scratch_store_b32 off, v58, s32 offset:276
	; meta instruction
	scratch_store_b32 off, v59, s32 offset:272
	; meta instruction
	scratch_store_b32 off, v60, s32 offset:268
	; meta instruction
	scratch_store_b32 off, v61, s32 offset:264
	; meta instruction
	scratch_store_b32 off, v62, s32 offset:260
	; meta instruction
	scratch_store_b32 off, v63, s32 offset:256
	; meta instruction
	scratch_store_b32 off, v72, s32 offset:252
	; meta instruction
	scratch_store_b32 off, v73, s32 offset:248
	; meta instruction
	scratch_store_b32 off, v74, s32 offset:244
	; meta instruction
	scratch_store_b32 off, v75, s32 offset:240
	; meta instruction
	scratch_store_b32 off, v76, s32 offset:236
	; meta instruction
	scratch_store_b32 off, v77, s32 offset:232
	; meta instruction
	scratch_store_b32 off, v78, s32 offset:228
	; meta instruction
	scratch_store_b32 off, v79, s32 offset:224
	; meta instruction
	scratch_store_b32 off, v88, s32 offset:220
	; meta instruction
	scratch_store_b32 off, v89, s32 offset:216
	; meta instruction
	scratch_store_b32 off, v90, s32 offset:212
	; meta instruction
	scratch_store_b32 off, v91, s32 offset:208
	; meta instruction
	scratch_store_b32 off, v92, s32 offset:204
	; meta instruction
	scratch_store_b32 off, v93, s32 offset:200
	; meta instruction
	scratch_store_b32 off, v94, s32 offset:196
	; meta instruction
	scratch_store_b32 off, v95, s32 offset:192
	s_clause 0x1f
	scratch_store_b32 off, v104, s32 offset:188
	; meta instruction
	scratch_store_b32 off, v105, s32 offset:184
	; meta instruction
	;; [unrolled: 2-line block ×31, first 2 shown]
	scratch_store_b32 off, v159, s32 offset:64
	s_clause 0xf
	scratch_store_b32 off, v168, s32 offset:60
	; meta instruction
	scratch_store_b32 off, v169, s32 offset:56
	; meta instruction
	;; [unrolled: 2-line block ×15, first 2 shown]
	scratch_store_b32 off, v191, s32
	s_mov_b32 s4, s13
	s_ashr_i32 s5, s13, 31
	v_dual_mov_b32 v29, v1 :: v_dual_mov_b32 v30, v0
	s_lshl_b64 s[0:1], s[4:5], 2
	v_dual_mov_b32 v170, v5 :: v_dual_mov_b32 v171, v4
	v_add_co_u32 v0, vcc_lo, v16, s0
	v_add_co_ci_u32_e32 v1, vcc_lo, s1, v17, vcc_lo
	v_dual_mov_b32 v32, v3 :: v_dual_mov_b32 v33, v2
	s_lshl_b32 s3, s14, 9
	flat_load_b32 v86, v[0:1]
	s_mov_b32 s5, exec_lo
	s_waitcnt vmcnt(0) lgkmcnt(0)
	v_cmpx_lt_i32_e64 s3, v86
	s_cbranch_execz .LBB185_685
; %bb.1:
	v_sub_nc_u32_e32 v0, 0, v12
	s_clause 0x1
	s_load_b32 s0, s[8:9], 0x10
	s_load_b32 s1, s[8:9], 0x0
	s_mov_b32 s10, s15
	v_mov_b32_e32 v102, 0
	v_max_i32_e32 v0, v12, v0
	s_delay_alu instid0(VALU_DEP_1) | instskip(SKIP_1) | instid1(VALU_DEP_2)
	v_cvt_f32_u32_e32 v1, v0
	v_sub_nc_u32_e32 v2, 0, v0
	v_rcp_iflag_f32_e32 v1, v1
	s_waitcnt lgkmcnt(0)
	s_lshr_b32 s0, s0, 16
	s_delay_alu instid0(SALU_CYCLE_1) | instskip(SKIP_3) | instid1(SALU_CYCLE_1)
	s_cmp_lg_u32 s0, 0
	s_waitcnt_depctr 0xfff
	v_mul_f32_e32 v1, 0x4f7ffffe, v1
	s_cselect_b32 s0, -1, 0
	s_cmp_lg_u32 s0, 0
	s_delay_alu instid0(VALU_DEP_1) | instskip(SKIP_3) | instid1(VALU_DEP_1)
	v_cvt_u32_f32_e32 v1, v1
	s_addc_u32 s16, s1, 0
	s_mov_b32 s1, exec_lo
	s_abs_i32 s0, s16
	v_mul_lo_u32 v2, v2, v1
	s_delay_alu instid0(VALU_DEP_1) | instskip(NEXT) | instid1(VALU_DEP_1)
	v_mul_hi_u32 v2, v1, v2
	v_add_nc_u32_e32 v1, v1, v2
	s_delay_alu instid0(VALU_DEP_1) | instskip(NEXT) | instid1(VALU_DEP_1)
	v_mul_hi_u32 v1, s0, v1
	v_mul_lo_u32 v2, v1, v0
	v_add_nc_u32_e32 v3, 1, v1
	s_delay_alu instid0(VALU_DEP_2) | instskip(SKIP_1) | instid1(VALU_DEP_1)
	v_sub_nc_u32_e32 v2, s0, v2
	s_abs_i32 s0, s12
	v_sub_nc_u32_e32 v4, v2, v0
	v_cmp_ge_u32_e32 vcc_lo, v2, v0
	s_delay_alu instid0(VALU_DEP_2) | instskip(SKIP_1) | instid1(VALU_DEP_2)
	v_dual_cndmask_b32 v1, v1, v3 :: v_dual_cndmask_b32 v2, v2, v4
	v_xor_b32_e32 v3, s16, v12
	v_add_nc_u32_e32 v4, 1, v1
	s_delay_alu instid0(VALU_DEP_3) | instskip(NEXT) | instid1(VALU_DEP_3)
	v_cmp_ge_u32_e32 vcc_lo, v2, v0
	v_ashrrev_i32_e32 v3, 31, v3
	s_delay_alu instid0(VALU_DEP_3) | instskip(NEXT) | instid1(VALU_DEP_1)
	v_cndmask_b32_e32 v0, v1, v4, vcc_lo
	v_xor_b32_e32 v0, v0, v3
	s_delay_alu instid0(VALU_DEP_1) | instskip(NEXT) | instid1(VALU_DEP_1)
	v_sub_nc_u32_e32 v1, v0, v3
	v_sub_nc_u32_e32 v0, 0, v1
	s_delay_alu instid0(VALU_DEP_1) | instskip(NEXT) | instid1(VALU_DEP_1)
	v_max_i32_e32 v0, v1, v0
	v_cvt_f32_u32_e32 v2, v0
	v_sub_nc_u32_e32 v3, 0, v0
	s_delay_alu instid0(VALU_DEP_2) | instskip(SKIP_2) | instid1(VALU_DEP_1)
	v_rcp_iflag_f32_e32 v2, v2
	s_waitcnt_depctr 0xfff
	v_mul_f32_e32 v2, 0x4f7ffffe, v2
	v_cvt_u32_f32_e32 v2, v2
	s_delay_alu instid0(VALU_DEP_1) | instskip(NEXT) | instid1(VALU_DEP_1)
	v_mul_lo_u32 v3, v3, v2
	v_mul_hi_u32 v3, v2, v3
	s_delay_alu instid0(VALU_DEP_1) | instskip(NEXT) | instid1(VALU_DEP_1)
	v_add_nc_u32_e32 v2, v2, v3
	v_mad_u64_u32 v[16:17], null, s0, v2, 0
	v_cmpx_ne_u64_e32 0, v[19:20]
	s_cbranch_execz .LBB185_3
; %bb.2:
	s_ashr_i32 s13, s12, 31
	s_delay_alu instid0(SALU_CYCLE_1) | instskip(NEXT) | instid1(SALU_CYCLE_1)
	s_lshl_b64 s[6:7], s[12:13], 2
	v_add_co_u32 v2, vcc_lo, v19, s6
	v_add_co_ci_u32_e32 v3, vcc_lo, s7, v20, vcc_lo
	flat_load_b32 v102, v[2:3]
.LBB185_3:
	s_or_b32 exec_lo, exec_lo, s1
	v_and_b32_e32 v172, 0x3ff, v31
	v_ashrrev_i32_e32 v1, 31, v1
	s_ashr_i32 s1, s12, 31
	s_mul_i32 s6, s12, 0x78
	s_mov_b32 s2, exec_lo
	v_cmpx_gt_u32_e32 15, v172
	s_cbranch_execz .LBB185_5
; %bb.4:
	v_mul_lo_u32 v2, s4, v21
	s_ashr_i32 s7, s6, 31
	v_lshlrev_b32_e32 v16, 4, v172
	s_lshl_b64 s[18:19], s[6:7], 1
	s_delay_alu instid0(VALU_DEP_2) | instskip(NEXT) | instid1(VALU_DEP_1)
	v_ashrrev_i32_e32 v3, 31, v2
	v_lshlrev_b64 v[2:3], 1, v[2:3]
	s_delay_alu instid0(VALU_DEP_1) | instskip(NEXT) | instid1(VALU_DEP_2)
	v_add_co_u32 v2, vcc_lo, v6, v2
	v_add_co_ci_u32_e32 v3, vcc_lo, v7, v3, vcc_lo
	s_delay_alu instid0(VALU_DEP_2) | instskip(NEXT) | instid1(VALU_DEP_2)
	v_add_co_u32 v2, vcc_lo, v2, s18
	v_add_co_ci_u32_e32 v3, vcc_lo, s19, v3, vcc_lo
	s_delay_alu instid0(VALU_DEP_2) | instskip(NEXT) | instid1(VALU_DEP_2)
	v_add_co_u32 v2, vcc_lo, v2, v16
	v_add_co_ci_u32_e32 v3, vcc_lo, 0, v3, vcc_lo
	flat_load_b128 v[2:5], v[2:3]
	s_waitcnt vmcnt(0) lgkmcnt(0)
	ds_store_b128 v16, v[2:5]
.LBB185_5:
	s_or_b32 exec_lo, exec_lo, s2
	v_sub_nc_u32_e32 v2, 0, v27
	v_mul_lo_u32 v3, v17, v0
	v_xor_b32_e32 v1, s1, v1
                                        ; implicit-def: $vgpr20
	v_add_nc_u32_e32 v5, 1, v17
	s_delay_alu instid0(VALU_DEP_4) | instskip(NEXT) | instid1(VALU_DEP_4)
	v_max_i32_e32 v87, v27, v2
	v_sub_nc_u32_e32 v3, s0, v3
	s_delay_alu instid0(VALU_DEP_2) | instskip(SKIP_1) | instid1(VALU_DEP_2)
	v_cvt_f32_u32_e32 v2, v87
	s_mov_b32 s0, exec_lo
	v_sub_nc_u32_e32 v6, v3, v0
	s_delay_alu instid0(VALU_DEP_2) | instskip(SKIP_3) | instid1(VALU_DEP_1)
	v_rcp_iflag_f32_e32 v2, v2
	v_cmp_ge_u32_e32 vcc_lo, v3, v0
	s_waitcnt_depctr 0xfff
	v_dual_cndmask_b32 v5, v17, v5 :: v_dual_mul_f32 v2, 0x4f7ffffe, v2
	v_cvt_u32_f32_e32 v4, v2
	v_sub_nc_u32_e32 v2, 0, v87
	s_delay_alu instid0(VALU_DEP_1) | instskip(SKIP_2) | instid1(VALU_DEP_2)
	v_mul_lo_u32 v7, v2, v4
	v_add_nc_u32_e32 v2, -1, v86
	v_dual_cndmask_b32 v3, v3, v6 :: v_dual_add_nc_u32 v6, 1, v5
	v_sub_nc_u32_e32 v16, 0, v2
	s_delay_alu instid0(VALU_DEP_2) | instskip(SKIP_1) | instid1(VALU_DEP_3)
	v_cmp_ge_u32_e32 vcc_lo, v3, v0
	v_mul_hi_u32 v7, v4, v7
	v_max_i32_e32 v0, v2, v16
	s_delay_alu instid0(VALU_DEP_2) | instskip(NEXT) | instid1(VALU_DEP_1)
	v_dual_cndmask_b32 v3, v5, v6 :: v_dual_add_nc_u32 v4, v4, v7
	v_xor_b32_e32 v3, v3, v1
	s_delay_alu instid0(VALU_DEP_2) | instskip(NEXT) | instid1(VALU_DEP_2)
	v_mad_u64_u32 v[6:7], null, v0, v4, 0
	v_sub_nc_u32_e32 v6, v3, v1
	scratch_store_b32 off, v4, s32 offset:320 ; 4-byte Folded Spill
	s_waitcnt vmcnt(0) lgkmcnt(0)
	s_waitcnt_vscnt null, 0x0
	s_barrier
	buffer_gl0_inv
	v_cmpx_gt_i32_e32 0, v28
	s_xor_b32 s0, exec_lo, s0
; %bb.6:
	v_mad_u64_u32 v[3:4], null, v24, v12, v[6:7]
                                        ; implicit-def: $vgpr24
	s_delay_alu instid0(VALU_DEP_1) | instskip(NEXT) | instid1(VALU_DEP_1)
	v_mul_lo_u32 v1, v3, v28
                                        ; implicit-def: $vgpr28
	v_sub_nc_u32_e32 v20, 1, v1
; %bb.7:
	s_or_saveexec_b32 s0, s0
	v_ashrrev_i32_e32 v1, 31, v2
	v_ashrrev_i32_e32 v174, 31, v27
	s_xor_b32 exec_lo, exec_lo, s0
; %bb.8:
	v_mad_u64_u32 v[2:3], null, s16, v24, s[12:13]
	s_delay_alu instid0(VALU_DEP_1)
	v_mad_u64_u32 v[20:21], null, v2, v28, 1
; %bb.9:
	s_or_b32 exec_lo, exec_lo, s0
	v_mul_lo_u32 v2, v7, v87
	v_add_nc_u32_e32 v4, 1, v7
	v_xor_b32_e32 v5, v1, v174
	s_clause 0x1
	s_load_b32 s15, s[8:9], 0x14
	s_load_b32 s7, s[8:9], 0x8
	s_lshl_b32 s13, s14, 4
	v_lshrrev_b32_e32 v173, 5, v172
	v_mul_lo_u32 v49, v6, v23
	s_add_i32 s0, s13, 16
	v_sub_nc_u32_e32 v2, v0, v2
	v_mul_lo_u32 v0, s4, v18
	v_sub_nc_u32_e32 v39, 0, v26
	v_lshl_add_u32 v98, v173, 5, s3
	v_mov_b32_e32 v188, 0xff7fffff
	v_cmp_ge_u32_e32 vcc_lo, v2, v87
	v_add_nc_u32_e32 v3, 31, v86
	v_sub_nc_u32_e32 v12, v2, v87
	v_ashrrev_i32_e32 v50, 31, v49
	v_dual_cndmask_b32 v4, v7, v4 :: v_dual_add_nc_u32 v23, s13, v173
	s_delay_alu instid0(VALU_DEP_4) | instskip(NEXT) | instid1(VALU_DEP_2)
	v_ashrrev_i32_e32 v1, 31, v3
	v_ashrrev_i32_e32 v24, 31, v23
	s_delay_alu instid0(VALU_DEP_3) | instskip(NEXT) | instid1(VALU_DEP_3)
	v_add_nc_u32_e32 v7, 1, v4
	v_lshrrev_b32_e32 v1, 27, v1
	v_cndmask_b32_e32 v2, v2, v12, vcc_lo
	v_and_b32_e32 v12, 31, v172
	s_delay_alu instid0(VALU_DEP_3) | instskip(NEXT) | instid1(VALU_DEP_3)
	v_add_nc_u32_e32 v1, v3, v1
	v_cmp_ge_u32_e32 vcc_lo, v2, v87
	s_delay_alu instid0(VALU_DEP_2) | instskip(SKIP_2) | instid1(VALU_DEP_3)
	v_ashrrev_i32_e32 v21, 5, v1
	v_cndmask_b32_e32 v2, v4, v7, vcc_lo
	v_ashrrev_i32_e32 v1, 31, v0
	v_min_i32_e32 v99, s0, v21
	s_delay_alu instid0(VALU_DEP_3) | instskip(NEXT) | instid1(VALU_DEP_3)
	v_xor_b32_e32 v2, v2, v5
	v_lshlrev_b64 v[52:53], 2, v[0:1]
	s_delay_alu instid0(VALU_DEP_3) | instskip(NEXT) | instid1(VALU_DEP_3)
	v_cmp_lt_i32_e64 s0, v23, v99
	v_sub_nc_u32_e32 v2, v2, v5
	s_delay_alu instid0(VALU_DEP_1)
	v_sub_nc_u32_e32 v0, v2, v25
	v_lshlrev_b32_e32 v25, 2, v12
	s_clause 0x1
	scratch_store_b32 off, v0, s32 offset:324
	scratch_store_b32 off, v12, s32 offset:328
	s_and_saveexec_b32 s17, s0
	s_cbranch_execz .LBB185_17
; %bb.10:
	s_clause 0x9
	scratch_store_b32 off, v21, s32 offset:484
	scratch_store_b32 off, v33, s32 offset:464
	scratch_store_b32 off, v32, s32 offset:460
	scratch_store_b32 off, v30, s32 offset:456
	scratch_store_b32 off, v29, s32 offset:452
	scratch_store_b32 off, v10, s32 offset:444
	scratch_store_b32 off, v11, s32 offset:440
	scratch_store_b32 off, v172, s32 offset:424
	scratch_store_b32 off, v171, s32 offset:420
	scratch_store_b32 off, v170, s32 offset:416
	v_mov_b32_e32 v10, 0
	v_max_i32_e32 v143, v26, v39
	s_getpc_b64 s[8:9]
	s_add_u32 s8, s8, llvm.amdgcn.dynlds.offset.table@rel32@lo+4
	s_addc_u32 s9, s9, llvm.amdgcn.dynlds.offset.table@rel32@hi+12
	s_ashr_i32 s11, s10, 31
	ds_load_b128 v[0:3], v10
	ds_load_b128 v[4:7], v10 offset:16
	ds_load_b128 v[16:19], v10 offset:32
	;; [unrolled: 1-line block ×3, first 2 shown]
	s_lshl_b64 s[18:19], s[10:11], 2
	v_mov_b32_e32 v188, 0xff7fffff
	s_add_u32 s8, s18, s8
	s_addc_u32 s9, s19, s9
	s_mov_b32 s18, 0
	v_mov_b32_e32 v21, v23
	s_waitcnt lgkmcnt(0)
	v_bfi_b32 v11, 0xffff, 0, v0
	v_lshlrev_b32_e32 v149, 16, v7
	v_lshlrev_b32_e32 v0, 16, v0
	ds_load_b128 v[29:32], v10 offset:64
	v_bfi_b32 v150, 0xffff, 0, v19
	scratch_store_b32 off, v11, s32 offset:332 ; 4-byte Folded Spill
	v_lshlrev_b32_e32 v151, 16, v19
	scratch_store_b32 off, v0, s32 offset:336 ; 4-byte Folded Spill
	v_bfi_b32 v0, 0xffff, 0, v4
	v_bfi_b32 v160, 0xffff, 0, v33
	;; [unrolled: 1-line block ×3, first 2 shown]
	v_lshlrev_b32_e32 v163, 16, v34
	v_bfi_b32 v164, 0xffff, 0, v35
	scratch_store_b32 off, v0, s32 offset:340 ; 4-byte Folded Spill
	v_lshlrev_b32_e32 v0, 16, v4
	v_lshlrev_b32_e32 v165, 16, v35
	v_bfi_b32 v166, 0xffff, 0, v36
	v_lshlrev_b32_e32 v167, 16, v36
	scratch_store_b32 off, v0, s32 offset:344 ; 4-byte Folded Spill
	v_bfi_b32 v0, 0xffff, 0, v16
	scratch_store_b32 off, v0, s32 offset:348 ; 4-byte Folded Spill
	v_lshlrev_b32_e32 v0, 16, v16
	scratch_store_b32 off, v0, s32 offset:352 ; 4-byte Folded Spill
	v_bfi_b32 v0, 0xffff, 0, v1
	scratch_store_b32 off, v0, s32 offset:356 ; 4-byte Folded Spill
	;; [unrolled: 4-line block ×9, first 2 shown]
	ds_load_b128 v[0:3], v10 offset:80
	ds_load_b128 v[4:7], v10 offset:96
	;; [unrolled: 1-line block ×3, first 2 shown]
	s_waitcnt lgkmcnt(3)
	v_bfi_b32 v176, 0xffff, 0, v29
	v_lshlrev_b32_e32 v177, 16, v29
	v_bfi_b32 v178, 0xffff, 0, v30
	v_lshlrev_b32_e32 v179, 16, v30
	ds_load_b128 v[27:30], v10 offset:128
	v_bfi_b32 v180, 0xffff, 0, v31
	v_lshlrev_b32_e32 v181, 16, v31
	v_bfi_b32 v182, 0xffff, 0, v32
	v_lshlrev_b32_e32 v183, 16, v32
	s_waitcnt lgkmcnt(3)
	v_bfi_b32 v40, 0xffff, 0, v0
	v_lshlrev_b32_e32 v41, 16, v0
	v_bfi_b32 v42, 0xffff, 0, v1
	v_lshlrev_b32_e32 v43, 16, v1
	v_bfi_b32 v44, 0xffff, 0, v2
	v_lshlrev_b32_e32 v45, 16, v2
	v_bfi_b32 v46, 0xffff, 0, v3
	v_lshlrev_b32_e32 v47, 16, v3
	ds_load_b128 v[0:3], v10 offset:144
	s_waitcnt lgkmcnt(3)
	v_bfi_b32 v56, 0xffff, 0, v4
	v_lshlrev_b32_e32 v57, 16, v4
	v_bfi_b32 v60, 0xffff, 0, v5
	v_lshlrev_b32_e32 v61, 16, v5
	v_bfi_b32 v72, 0xffff, 0, v6
	v_lshlrev_b32_e32 v73, 16, v6
	v_bfi_b32 v76, 0xffff, 0, v7
	v_lshlrev_b32_e32 v77, 16, v7
	ds_load_b128 v[4:7], v10 offset:160
	;; [unrolled: 10-line block ×3, first 2 shown]
	s_waitcnt lgkmcnt(3)
	v_bfi_b32 v88, 0xffff, 0, v27
	s_waitcnt lgkmcnt(2)
	v_bfi_b32 v104, 0xffff, 0, v0
	v_lshlrev_b32_e32 v105, 16, v0
	v_bfi_b32 v106, 0xffff, 0, v1
	v_lshlrev_b32_e32 v107, 16, v1
	;; [unrolled: 2-line block ×4, first 2 shown]
	ds_load_b128 v[0:3], v10 offset:192
	s_waitcnt lgkmcnt(2)
	v_bfi_b32 v120, 0xffff, 0, v4
	v_lshlrev_b32_e32 v121, 16, v4
	v_bfi_b32 v122, 0xffff, 0, v5
	v_lshlrev_b32_e32 v123, 16, v5
	;; [unrolled: 2-line block ×4, first 2 shown]
	ds_load_b128 v[4:7], v10 offset:208
	s_clause 0x1
	scratch_store_b32 off, v26, s32 offset:448
	scratch_store_b32 off, v39, s32 offset:488
	s_waitcnt lgkmcnt(2)
	v_bfi_b32 v136, 0xffff, 0, v16
	v_lshlrev_b32_e32 v137, 16, v16
	v_bfi_b32 v138, 0xffff, 0, v17
	v_lshlrev_b32_e32 v139, 16, v17
	;; [unrolled: 2-line block ×4, first 2 shown]
	ds_load_b128 v[16:19], v10 offset:224
	s_waitcnt lgkmcnt(2)
	v_bfi_b32 v153, 0xffff, 0, v0
	v_lshlrev_b32_e32 v154, 16, v0
	v_cvt_f32_u32_e32 v0, v143
	v_bfi_b32 v157, 0xffff, 0, v2
	v_lshlrev_b32_e32 v158, 16, v2
	v_sub_nc_u32_e32 v2, 0, v143
	v_mov_b32_e32 v10, v173
	v_rcp_iflag_f32_e32 v0, v0
	v_lshlrev_b32_e32 v161, 16, v33
	s_waitcnt lgkmcnt(1)
	v_bfi_b32 v175, 0xffff, 0, v7
	v_lshlrev_b32_e32 v184, 16, v7
	scratch_load_b32 v7, off, s32 offset:328 ; 4-byte Folded Reload
	v_bfi_b32 v169, 0xffff, 0, v4
	v_lshlrev_b32_e32 v170, 16, v4
	v_bfi_b32 v173, 0xffff, 0, v6
	v_lshlrev_b32_e32 v148, 16, v6
	v_bfi_b32 v155, 0xffff, 0, v1
	v_mul_f32_e32 v0, 0x4f7ffffe, v0
	v_lshlrev_b32_e32 v156, 16, v1
	v_bfi_b32 v159, 0xffff, 0, v3
	v_lshlrev_b32_e32 v168, 16, v3
	s_load_b32 s11, s[8:9], 0x0
	v_cvt_u32_f32_e32 v4, v0
	v_lshlrev_b64 v[0:1], 1, v[49:50]
	v_lshlrev_b32_e32 v89, 16, v27
	v_bfi_b32 v90, 0xffff, 0, v28
	v_lshlrev_b32_e32 v91, 16, v28
	v_mul_lo_u32 v6, v2, v4
	v_lshlrev_b64 v[2:3], 2, v[23:24]
	v_add_co_u32 v0, vcc_lo, v8, v0
	v_add_co_ci_u32_e32 v1, vcc_lo, v9, v1, vcc_lo
	v_bfi_b32 v92, 0xffff, 0, v29
	s_delay_alu instid0(VALU_DEP_4) | instskip(SKIP_2) | instid1(VALU_DEP_3)
	v_add_co_u32 v2, vcc_lo, v52, v2
	v_mul_hi_u32 v6, v4, v6
	v_add_co_ci_u32_e32 v3, vcc_lo, v53, v3, vcc_lo
	v_add_co_u32 v84, vcc_lo, v14, v2
	v_lshlrev_b32_e32 v93, 16, v29
	s_delay_alu instid0(VALU_DEP_3)
	v_add_co_ci_u32_e32 v85, vcc_lo, v15, v3, vcc_lo
	v_add_nc_u32_e32 v4, v4, v6
	v_bfi_b32 v94, 0xffff, 0, v30
	v_lshlrev_b32_e32 v95, 16, v30
	v_bfi_b32 v171, 0xffff, 0, v5
	v_lshlrev_b32_e32 v172, 16, v5
	s_waitcnt lgkmcnt(0)
	v_bfi_b32 v185, 0xffff, 0, v16
	v_lshlrev_b32_e32 v186, 16, v16
	v_bfi_b32 v187, 0xffff, 0, v17
	v_lshlrev_b32_e32 v189, 16, v17
	;; [unrolled: 2-line block ×4, first 2 shown]
	v_lshl_add_u32 v80, v10, 5, s3
	v_lshl_or_b32 v81, v10, 7, v25
	v_mov_b32_e32 v39, 0xff7fffff
	s_clause 0x5
	scratch_store_b64 off, v[49:50], s32 offset:476
	scratch_store_b64 off, v[52:53], s32 offset:468
	scratch_store_b32 off, v14, s32 offset:436
	scratch_store_b32 off, v15, s32 offset:432
	;; [unrolled: 1-line block ×4, first 2 shown]
	s_waitcnt vmcnt(0)
	v_lshlrev_b32_e32 v6, 4, v7
	v_sub_nc_u32_e32 v2, v7, v86
	s_delay_alu instid0(VALU_DEP_2) | instskip(SKIP_2) | instid1(VALU_DEP_4)
	v_add_co_u32 v101, vcc_lo, v0, v6
	v_add_co_ci_u32_e32 v100, vcc_lo, 0, v1, vcc_lo
	v_cmp_neq_f32_e32 vcc_lo, 0, v102
	v_add_nc_u32_e32 v103, 1, v2
	s_branch .LBB185_12
.LBB185_11:                             ;   in Loop: Header=BB185_12 Depth=1
	s_or_b32 exec_lo, exec_lo, s19
	v_add_nc_u32_e32 v21, 4, v21
	v_add_co_u32 v84, s2, v84, 16
	s_delay_alu instid0(VALU_DEP_1) | instskip(NEXT) | instid1(VALU_DEP_3)
	v_add_co_ci_u32_e64 v85, s2, 0, v85, s2
	v_cmp_ge_i32_e64 s1, v21, v99
	v_add_nc_u32_e32 v80, 0x80, v80
	v_add_nc_u32_e32 v81, 0x200, v81
	s_delay_alu instid0(VALU_DEP_3) | instskip(NEXT) | instid1(SALU_CYCLE_1)
	s_or_b32 s18, s1, s18
	s_and_not1_b32 exec_lo, exec_lo, s18
	s_cbranch_execz .LBB185_16
.LBB185_12:                             ; =>This Inner Loop Header: Depth=1
	scratch_load_b32 v1, off, s32 offset:320 ; 4-byte Folded Reload
	v_sub_nc_u32_e32 v0, 0, v80
	s_delay_alu instid0(VALU_DEP_1) | instskip(SKIP_1) | instid1(VALU_DEP_1)
	v_max_i32_e32 v0, v80, v0
	s_waitcnt vmcnt(0)
	v_mul_hi_u32 v1, v0, v1
	s_delay_alu instid0(VALU_DEP_1) | instskip(NEXT) | instid1(VALU_DEP_1)
	v_mul_lo_u32 v2, v1, v87
	v_sub_nc_u32_e32 v0, v0, v2
	v_add_nc_u32_e32 v2, 1, v1
	s_delay_alu instid0(VALU_DEP_2) | instskip(SKIP_1) | instid1(VALU_DEP_1)
	v_sub_nc_u32_e32 v3, v0, v87
	v_cmp_ge_u32_e64 s1, v0, v87
	v_cndmask_b32_e64 v1, v1, v2, s1
	s_delay_alu instid0(VALU_DEP_3) | instskip(SKIP_1) | instid1(VALU_DEP_3)
	v_cndmask_b32_e64 v0, v0, v3, s1
	v_ashrrev_i32_e32 v2, 31, v80
	v_add_nc_u32_e32 v3, 1, v1
	s_delay_alu instid0(VALU_DEP_3) | instskip(NEXT) | instid1(VALU_DEP_3)
	v_cmp_ge_u32_e64 s1, v0, v87
	v_xor_b32_e32 v2, v2, v174
	s_delay_alu instid0(VALU_DEP_2) | instskip(NEXT) | instid1(VALU_DEP_1)
	v_cndmask_b32_e64 v0, v1, v3, s1
	v_xor_b32_e32 v0, v0, v2
	s_delay_alu instid0(VALU_DEP_1) | instskip(NEXT) | instid1(VALU_DEP_1)
	v_sub_nc_u32_e32 v0, v0, v2
	v_add_nc_u32_e32 v1, v0, v20
	s_delay_alu instid0(VALU_DEP_1) | instskip(NEXT) | instid1(VALU_DEP_1)
	v_sub_nc_u32_e32 v2, 0, v1
	v_max_i32_e32 v2, v1, v2
	v_ashrrev_i32_e32 v1, 31, v1
	s_delay_alu instid0(VALU_DEP_2) | instskip(NEXT) | instid1(VALU_DEP_1)
	v_mul_hi_u32 v3, v2, v4
	v_mul_lo_u32 v3, v3, v143
	s_delay_alu instid0(VALU_DEP_1) | instskip(NEXT) | instid1(VALU_DEP_1)
	v_sub_nc_u32_e32 v2, v2, v3
	v_sub_nc_u32_e32 v3, v2, v143
	v_cmp_ge_u32_e64 s1, v2, v143
	s_delay_alu instid0(VALU_DEP_1) | instskip(NEXT) | instid1(VALU_DEP_1)
	v_cndmask_b32_e64 v2, v2, v3, s1
	v_sub_nc_u32_e32 v3, v2, v143
	v_cmp_ge_u32_e64 s1, v2, v143
	s_delay_alu instid0(VALU_DEP_1) | instskip(NEXT) | instid1(VALU_DEP_1)
	v_cndmask_b32_e64 v2, v2, v3, s1
	v_xor_b32_e32 v2, v2, v1
	s_delay_alu instid0(VALU_DEP_1) | instskip(NEXT) | instid1(VALU_DEP_1)
	v_sub_nc_u32_e32 v1, v2, v1
	v_cmp_ne_u32_e64 s1, 0, v1
	scratch_load_b32 v1, off, s32 offset:324 ; 4-byte Folded Reload
	s_waitcnt vmcnt(0)
	v_cmp_le_i32_e64 s2, v0, v1
	s_delay_alu instid0(VALU_DEP_1) | instskip(NEXT) | instid1(SALU_CYCLE_1)
	s_and_b32 s1, s1, s2
	s_and_saveexec_b32 s2, s1
	s_delay_alu instid0(SALU_CYCLE_1)
	s_xor_b32 s1, exec_lo, s2
	s_cbranch_execz .LBB185_14
; %bb.13:                               ;   in Loop: Header=BB185_12 Depth=1
	v_add_nc_u32_e32 v0, s11, v81
	ds_store_b32 v0, v39
.LBB185_14:                             ;   in Loop: Header=BB185_12 Depth=1
	s_and_not1_saveexec_b32 s19, s1
	s_cbranch_execz .LBB185_11
; %bb.15:                               ;   in Loop: Header=BB185_12 Depth=1
	flat_load_b32 v2, v[84:85]
	scratch_load_b32 v0, off, s32 offset:328 ; 4-byte Folded Reload
	s_load_b32 s2, s[8:9], 0x0
	s_waitcnt lgkmcnt(0)
	v_add_nc_u32_e32 v83, s2, v81
	s_waitcnt vmcnt(0)
	v_add_nc_u32_e32 v3, v0, v80
	v_mad_i64_i32 v[0:1], null, v2, v22, 0
	s_delay_alu instid0(VALU_DEP_1) | instskip(NEXT) | instid1(VALU_DEP_1)
	v_lshlrev_b64 v[0:1], 1, v[0:1]
	v_add_co_u32 v33, s1, v101, v0
	s_delay_alu instid0(VALU_DEP_1)
	v_add_co_ci_u32_e64 v34, s1, v100, v1, s1
	v_cmp_lt_i32_e64 s1, v3, v86
	s_clause 0x3
	flat_load_b128 v[6:9], v[33:34] offset:3584
	flat_load_b128 v[14:17], v[33:34]
	flat_load_b128 v[25:28], v[33:34] offset:512
	flat_load_b128 v[29:32], v[33:34] offset:1024
	s_clause 0x1
	scratch_load_b32 v10, off, s32 offset:340
	scratch_load_b32 v18, off, s32 offset:412
	flat_load_b128 v[68:71], v[33:34] offset:3072
	s_waitcnt vmcnt(4) lgkmcnt(2)
	v_and_b32_e32 v3, 0xffff0000, v25
	v_lshlrev_b32_e32 v1, 16, v14
	v_lshlrev_b32_e32 v2, 16, v25
	s_waitcnt vmcnt(2)
	s_delay_alu instid0(VALU_DEP_3)
	v_mul_f32_e32 v10, v10, v3
	scratch_load_b32 v3, off, s32 offset:344 ; 4-byte Folded Reload
	s_waitcnt vmcnt(0)
	v_mul_f32_e32 v11, v3, v2
	scratch_load_b32 v2, off, s32 offset:336 ; 4-byte Folded Reload
	v_add_nc_u32_e32 v0, v103, v80
	s_delay_alu instid0(VALU_DEP_1) | instskip(NEXT) | instid1(VALU_DEP_1)
	v_cvt_f32_i32_e32 v0, v0
	v_mul_f32_e32 v0, v102, v0
	s_delay_alu instid0(VALU_DEP_1)
	v_cndmask_b32_e32 v82, 0, v0, vcc_lo
	v_and_b32_e32 v0, 0xffff0000, v14
	scratch_load_b32 v14, off, s32 offset:364 ; 4-byte Folded Reload
	s_waitcnt vmcnt(1)
	v_fmac_f32_e32 v11, v2, v1
	s_clause 0x1
	scratch_load_b32 v1, off, s32 offset:332
	scratch_load_b32 v2, off, s32 offset:348
	s_waitcnt vmcnt(1) lgkmcnt(1)
	v_dual_fmac_f32 v10, v1, v0 :: v_dual_and_b32 v1, 0xffff0000, v29
	v_lshlrev_b32_e32 v0, 16, v29
	s_waitcnt vmcnt(0)
	s_delay_alu instid0(VALU_DEP_2)
	v_fmac_f32_e32 v10, v2, v1
	scratch_load_b32 v1, off, s32 offset:352 ; 4-byte Folded Reload
	s_waitcnt vmcnt(0)
	v_dual_fmac_f32 v11, v1, v0 :: v_dual_and_b32 v2, 0xffff0000, v15
	v_and_b32_e32 v0, 0xffff0000, v26
	v_lshlrev_b32_e32 v3, 16, v15
	v_lshlrev_b32_e32 v1, 16, v26
	v_lshlrev_b32_e32 v15, 16, v16
	s_delay_alu instid0(VALU_DEP_4)
	v_mul_f32_e32 v0, v14, v0
	scratch_load_b32 v14, off, s32 offset:368 ; 4-byte Folded Reload
	s_waitcnt vmcnt(0)
	v_mul_f32_e32 v1, v14, v1
	scratch_load_b32 v14, off, s32 offset:360 ; 4-byte Folded Reload
	s_waitcnt vmcnt(0)
	v_fmac_f32_e32 v1, v14, v3
	s_clause 0x1
	scratch_load_b32 v3, off, s32 offset:356
	scratch_load_b32 v14, off, s32 offset:372
	s_waitcnt vmcnt(1)
	v_fmac_f32_e32 v0, v3, v2
	v_and_b32_e32 v3, 0xffff0000, v30
	s_waitcnt vmcnt(0)
	s_delay_alu instid0(VALU_DEP_1)
	v_fmac_f32_e32 v0, v14, v3
	scratch_load_b32 v3, off, s32 offset:376 ; 4-byte Folded Reload
	v_and_b32_e32 v14, 0xffff0000, v16
	scratch_load_b32 v16, off, s32 offset:388 ; 4-byte Folded Reload
	v_lshlrev_b32_e32 v2, 16, v30
	s_waitcnt vmcnt(1)
	s_delay_alu instid0(VALU_DEP_1) | instskip(SKIP_2) | instid1(VALU_DEP_1)
	v_dual_fmac_f32 v1, v3, v2 :: v_dual_lshlrev_b32 v2, 16, v27
	v_and_b32_e32 v3, 0xffff0000, v27
	s_waitcnt vmcnt(0)
	v_mul_f32_e32 v3, v16, v3
	scratch_load_b32 v16, off, s32 offset:392 ; 4-byte Folded Reload
	s_waitcnt vmcnt(0)
	v_mul_f32_e32 v2, v16, v2
	scratch_load_b32 v16, off, s32 offset:384 ; 4-byte Folded Reload
	s_waitcnt vmcnt(0)
	v_fmac_f32_e32 v2, v16, v15
	s_clause 0x1
	scratch_load_b32 v15, off, s32 offset:380
	scratch_load_b32 v16, off, s32 offset:396
	s_waitcnt vmcnt(1)
	v_fmac_f32_e32 v3, v15, v14
	v_and_b32_e32 v15, 0xffff0000, v31
	s_waitcnt vmcnt(0)
	s_delay_alu instid0(VALU_DEP_1)
	v_fmac_f32_e32 v3, v16, v15
	scratch_load_b32 v15, off, s32 offset:400 ; 4-byte Folded Reload
	v_and_b32_e32 v16, 0xffff0000, v17
	v_lshlrev_b32_e32 v17, 16, v17
	v_lshlrev_b32_e32 v14, 16, v31
	s_waitcnt vmcnt(0)
	s_delay_alu instid0(VALU_DEP_1) | instskip(NEXT) | instid1(VALU_DEP_1)
	v_dual_fmac_f32 v2, v15, v14 :: v_dual_lshlrev_b32 v15, 16, v28
	v_dual_mul_f32 v15, v149, v15 :: v_dual_and_b32 v14, 0xffff0000, v28
	s_delay_alu instid0(VALU_DEP_1)
	v_mul_f32_e32 v14, v18, v14
	scratch_load_b32 v18, off, s32 offset:408 ; 4-byte Folded Reload
	s_waitcnt vmcnt(0)
	v_fmac_f32_e32 v15, v18, v17
	scratch_load_b32 v17, off, s32 offset:404 ; 4-byte Folded Reload
	s_waitcnt vmcnt(0)
	v_fmac_f32_e32 v14, v17, v16
	v_lshlrev_b32_e32 v16, 16, v32
	v_and_b32_e32 v17, 0xffff0000, v32
	s_delay_alu instid0(VALU_DEP_1)
	v_dual_fmac_f32 v15, v151, v16 :: v_dual_fmac_f32 v14, v150, v17
	flat_load_b128 v[16:19], v[33:34] offset:1536
	s_waitcnt vmcnt(0) lgkmcnt(0)
	v_and_b32_e32 v115, 0xffff0000, v16
	v_lshlrev_b32_e32 v116, 16, v16
	v_and_b32_e32 v117, 0xffff0000, v17
	v_lshlrev_b32_e32 v118, 16, v17
	v_and_b32_e32 v25, 0xffff0000, v19
	s_delay_alu instid0(VALU_DEP_4)
	v_dual_fmac_f32 v11, v161, v116 :: v_dual_lshlrev_b32 v96, 16, v19
	v_and_b32_e32 v114, 0xffff0000, v18
	v_dual_fmac_f32 v10, v160, v115 :: v_dual_lshlrev_b32 v115, 16, v68
	v_and_b32_e32 v68, 0xffff0000, v68
	v_lshlrev_b32_e32 v119, 16, v18
	flat_load_b128 v[16:19], v[33:34] offset:2048
	v_dual_fmac_f32 v0, v162, v117 :: v_dual_fmac_f32 v1, v163, v118
	s_waitcnt vmcnt(0) lgkmcnt(0)
	v_lshlrev_b32_e32 v128, 16, v16
	v_and_b32_e32 v129, 0xffff0000, v16
	v_lshlrev_b32_e32 v130, 16, v17
	v_and_b32_e32 v131, 0xffff0000, v17
	;; [unrolled: 2-line block ×4, first 2 shown]
	flat_load_b128 v[16:19], v[33:34] offset:2560
	v_dual_fmac_f32 v10, v176, v129 :: v_dual_fmac_f32 v11, v177, v128
	s_waitcnt vmcnt(0) lgkmcnt(0)
	v_dual_fmac_f32 v3, v164, v114 :: v_dual_and_b32 v134, 0xffff0000, v16
	v_lshlrev_b32_e32 v135, 16, v16
	v_add_co_u32 v16, s2, 0x1000, v33
	v_and_b32_e32 v144, 0xffff0000, v17
	v_lshlrev_b32_e32 v145, 16, v17
	v_add_co_ci_u32_e64 v17, s2, 0, v34, s2
	v_and_b32_e32 v146, 0xffff0000, v18
	v_lshlrev_b32_e32 v147, 16, v18
	v_and_b32_e32 v26, 0xffff0000, v19
	v_lshlrev_b32_e32 v113, 16, v19
	s_clause 0x6
	flat_load_b128 v[64:67], v[16:17]
	flat_load_b128 v[52:55], v[16:17] offset:512
	flat_load_b128 v[48:51], v[16:17] offset:1024
	;; [unrolled: 1-line block ×6, first 2 shown]
	v_dual_fmac_f32 v11, v41, v135 :: v_dual_fmac_f32 v10, v40, v134
	s_delay_alu instid0(VALU_DEP_1) | instskip(SKIP_3) | instid1(VALU_DEP_2)
	v_dual_fmac_f32 v11, v57, v115 :: v_dual_fmac_f32 v10, v56, v68
	v_and_b32_e32 v68, 0xffff0000, v6
	v_lshlrev_b32_e32 v6, 16, v6
	v_fmac_f32_e32 v2, v165, v119
	v_dual_fmac_f32 v10, v58, v68 :: v_dual_fmac_f32 v11, v59, v6
	v_fmac_f32_e32 v14, v166, v25
	s_waitcnt vmcnt(6) lgkmcnt(6)
	v_lshlrev_b32_e32 v6, 16, v64
	s_delay_alu instid0(VALU_DEP_1) | instskip(NEXT) | instid1(VALU_DEP_1)
	v_dual_fmac_f32 v11, v89, v6 :: v_dual_and_b32 v64, 0xffff0000, v64
	v_fmac_f32_e32 v10, v88, v64
	s_waitcnt vmcnt(5) lgkmcnt(5)
	v_and_b32_e32 v6, 0xffff0000, v52
	v_lshlrev_b32_e32 v52, 16, v52
	v_dual_fmac_f32 v0, v178, v131 :: v_dual_fmac_f32 v15, v167, v96
	s_delay_alu instid0(VALU_DEP_2) | instskip(SKIP_3) | instid1(VALU_DEP_1)
	v_dual_fmac_f32 v10, v104, v6 :: v_dual_fmac_f32 v11, v105, v52
	s_waitcnt vmcnt(4) lgkmcnt(4)
	v_lshlrev_b32_e32 v6, 16, v48
	v_dual_fmac_f32 v1, v179, v130 :: v_dual_and_b32 v48, 0xffff0000, v48
	v_dual_fmac_f32 v11, v121, v6 :: v_dual_fmac_f32 v10, v120, v48
	s_waitcnt vmcnt(3) lgkmcnt(3)
	v_dual_fmac_f32 v3, v180, v133 :: v_dual_and_b32 v6, 0xffff0000, v35
	s_delay_alu instid0(VALU_DEP_1) | instskip(SKIP_2) | instid1(VALU_DEP_2)
	v_dual_fmac_f32 v10, v136, v6 :: v_dual_lshlrev_b32 v35, 16, v35
	s_waitcnt vmcnt(2) lgkmcnt(2)
	v_lshlrev_b32_e32 v6, 16, v31
	v_fmac_f32_e32 v11, v137, v35
	v_and_b32_e32 v31, 0xffff0000, v31
	v_dual_fmac_f32 v15, v183, v97 :: v_dual_fmac_f32 v2, v181, v132
	s_delay_alu instid0(VALU_DEP_2) | instskip(SKIP_4) | instid1(VALU_DEP_2)
	v_dual_fmac_f32 v11, v154, v6 :: v_dual_fmac_f32 v10, v153, v31
	s_waitcnt vmcnt(1) lgkmcnt(1)
	v_and_b32_e32 v6, 0xffff0000, v27
	v_lshlrev_b32_e32 v27, 16, v27
	v_dual_fmac_f32 v15, v47, v113 :: v_dual_fmac_f32 v14, v182, v112
	v_dual_fmac_f32 v10, v169, v6 :: v_dual_fmac_f32 v11, v170, v27
	v_fmac_f32_e32 v1, v43, v145
	s_waitcnt vmcnt(0) lgkmcnt(0)
	v_dual_fmac_f32 v3, v44, v146 :: v_dual_lshlrev_b32 v6, 16, v16
	v_and_b32_e32 v16, 0xffff0000, v16
	v_fmac_f32_e32 v14, v46, v26
	s_delay_alu instid0(VALU_DEP_2) | instskip(SKIP_4) | instid1(VALU_DEP_2)
	v_dual_fmac_f32 v11, v186, v6 :: v_dual_fmac_f32 v10, v185, v16
	v_fmac_f32_e32 v0, v42, v144
	v_lshlrev_b32_e32 v6, 16, v69
	v_and_b32_e32 v16, 0xffff0000, v69
	v_fmac_f32_e32 v2, v45, v147
	v_dual_fmac_f32 v1, v61, v6 :: v_dual_fmac_f32 v0, v60, v16
	v_and_b32_e32 v6, 0xffff0000, v7
	s_delay_alu instid0(VALU_DEP_1) | instskip(NEXT) | instid1(VALU_DEP_1)
	v_dual_fmac_f32 v0, v62, v6 :: v_dual_lshlrev_b32 v7, 16, v7
	v_dual_fmac_f32 v1, v63, v7 :: v_dual_lshlrev_b32 v6, 16, v65
	v_and_b32_e32 v7, 0xffff0000, v65
	s_delay_alu instid0(VALU_DEP_1) | instskip(SKIP_1) | instid1(VALU_DEP_1)
	v_dual_fmac_f32 v1, v91, v6 :: v_dual_fmac_f32 v0, v90, v7
	v_lshlrev_b32_e32 v7, 16, v53
	v_dual_fmac_f32 v1, v107, v7 :: v_dual_and_b32 v6, 0xffff0000, v53
	s_delay_alu instid0(VALU_DEP_1) | instskip(SKIP_2) | instid1(VALU_DEP_1)
	v_fmac_f32_e32 v0, v106, v6
	v_lshlrev_b32_e32 v6, 16, v49
	v_and_b32_e32 v7, 0xffff0000, v49
	v_dual_fmac_f32 v1, v123, v6 :: v_dual_fmac_f32 v0, v122, v7
	v_lshlrev_b32_e32 v7, 16, v36
	s_delay_alu instid0(VALU_DEP_1) | instskip(NEXT) | instid1(VALU_DEP_1)
	v_dual_fmac_f32 v1, v139, v7 :: v_dual_and_b32 v6, 0xffff0000, v36
	v_fmac_f32_e32 v0, v138, v6
	v_lshlrev_b32_e32 v6, 16, v32
	v_and_b32_e32 v7, 0xffff0000, v32
	s_delay_alu instid0(VALU_DEP_1) | instskip(SKIP_1) | instid1(VALU_DEP_1)
	v_dual_fmac_f32 v1, v156, v6 :: v_dual_fmac_f32 v0, v155, v7
	v_lshlrev_b32_e32 v7, 16, v28
	v_dual_fmac_f32 v1, v172, v7 :: v_dual_and_b32 v6, 0xffff0000, v28
	s_delay_alu instid0(VALU_DEP_1) | instskip(SKIP_2) | instid1(VALU_DEP_1)
	v_fmac_f32_e32 v0, v171, v6
	v_lshlrev_b32_e32 v6, 16, v17
	v_and_b32_e32 v7, 0xffff0000, v17
	v_dual_fmac_f32 v1, v189, v6 :: v_dual_fmac_f32 v0, v187, v7
	v_and_b32_e32 v7, 0xffff0000, v70
	s_delay_alu instid0(VALU_DEP_1) | instskip(NEXT) | instid1(VALU_DEP_1)
	v_dual_fmac_f32 v3, v72, v7 :: v_dual_lshlrev_b32 v6, 16, v70
	v_dual_fmac_f32 v2, v73, v6 :: v_dual_lshlrev_b32 v7, 16, v8
	v_and_b32_e32 v6, 0xffff0000, v8
	s_delay_alu instid0(VALU_DEP_1) | instskip(SKIP_2) | instid1(VALU_DEP_1)
	v_dual_fmac_f32 v2, v75, v7 :: v_dual_fmac_f32 v3, v74, v6
	v_lshlrev_b32_e32 v6, 16, v66
	v_and_b32_e32 v7, 0xffff0000, v66
	v_dual_fmac_f32 v2, v93, v6 :: v_dual_fmac_f32 v3, v92, v7
	v_and_b32_e32 v6, 0xffff0000, v54
	v_lshlrev_b32_e32 v7, 16, v54
	s_delay_alu instid0(VALU_DEP_1) | instskip(SKIP_2) | instid1(VALU_DEP_1)
	v_dual_fmac_f32 v3, v108, v6 :: v_dual_fmac_f32 v2, v109, v7
	v_lshlrev_b32_e32 v6, 16, v50
	v_and_b32_e32 v7, 0xffff0000, v50
	v_dual_fmac_f32 v2, v125, v6 :: v_dual_fmac_f32 v3, v124, v7
	v_and_b32_e32 v6, 0xffff0000, v37
	v_lshlrev_b32_e32 v7, 16, v37
	s_delay_alu instid0(VALU_DEP_1) | instskip(SKIP_1) | instid1(VALU_DEP_1)
	v_dual_fmac_f32 v3, v140, v6 :: v_dual_fmac_f32 v2, v141, v7
	v_lshlrev_b32_e32 v6, 16, v33
	v_dual_fmac_f32 v2, v158, v6 :: v_dual_and_b32 v7, 0xffff0000, v33
	s_delay_alu instid0(VALU_DEP_1) | instskip(SKIP_1) | instid1(VALU_DEP_1)
	v_dual_fmac_f32 v3, v157, v7 :: v_dual_and_b32 v6, 0xffff0000, v29
	v_lshlrev_b32_e32 v7, 16, v29
	v_dual_fmac_f32 v3, v173, v6 :: v_dual_fmac_f32 v2, v148, v7
	v_lshlrev_b32_e32 v6, 16, v18
	s_delay_alu instid0(VALU_DEP_1) | instskip(SKIP_2) | instid1(VALU_DEP_2)
	v_fmac_f32_e32 v2, v191, v6
	v_and_b32_e32 v7, 0xffff0000, v18
	v_lshlrev_b32_e32 v6, 16, v71
	v_fmac_f32_e32 v3, v190, v7
	v_and_b32_e32 v7, 0xffff0000, v71
	s_delay_alu instid0(VALU_DEP_3) | instskip(NEXT) | instid1(VALU_DEP_2)
	v_dual_fmac_f32 v15, v77, v6 :: v_dual_and_b32 v6, 0xffff0000, v9
	v_dual_fmac_f32 v14, v76, v7 :: v_dual_lshlrev_b32 v7, 16, v9
	s_delay_alu instid0(VALU_DEP_1) | instskip(SKIP_2) | instid1(VALU_DEP_1)
	v_dual_fmac_f32 v14, v78, v6 :: v_dual_fmac_f32 v15, v79, v7
	v_lshlrev_b32_e32 v6, 16, v67
	v_and_b32_e32 v7, 0xffff0000, v67
	v_dual_fmac_f32 v15, v95, v6 :: v_dual_fmac_f32 v14, v94, v7
	v_and_b32_e32 v6, 0xffff0000, v55
	s_delay_alu instid0(VALU_DEP_1) | instskip(NEXT) | instid1(VALU_DEP_1)
	v_dual_fmac_f32 v14, v110, v6 :: v_dual_lshlrev_b32 v7, 16, v55
	v_fmac_f32_e32 v15, v111, v7
	v_and_b32_e32 v7, 0xffff0000, v51
	v_lshlrev_b32_e32 v6, 16, v51
	s_delay_alu instid0(VALU_DEP_1) | instskip(SKIP_2) | instid1(VALU_DEP_1)
	v_dual_fmac_f32 v14, v126, v7 :: v_dual_fmac_f32 v15, v127, v6
	v_and_b32_e32 v6, 0xffff0000, v38
	v_lshlrev_b32_e32 v7, 16, v38
	v_dual_fmac_f32 v14, v142, v6 :: v_dual_fmac_f32 v15, v152, v7
	v_lshlrev_b32_e32 v6, 16, v34
	v_and_b32_e32 v7, 0xffff0000, v34
	s_delay_alu instid0(VALU_DEP_1) | instskip(SKIP_2) | instid1(VALU_DEP_1)
	v_dual_fmac_f32 v15, v168, v6 :: v_dual_fmac_f32 v14, v159, v7
	v_and_b32_e32 v6, 0xffff0000, v30
	v_lshlrev_b32_e32 v7, 16, v30
	v_dual_fmac_f32 v14, v175, v6 :: v_dual_fmac_f32 v15, v184, v7
	v_lshlrev_b32_e32 v6, 16, v19
	v_and_b32_e32 v7, 0xffff0000, v19
	s_delay_alu instid0(VALU_DEP_2) | instskip(SKIP_1) | instid1(VALU_DEP_1)
	v_fmac_f32_e32 v15, v5, v6
	v_add_f32_e32 v6, v11, v10
	v_dual_add_f32 v1, v6, v1 :: v_dual_fmac_f32 v14, v12, v7
	s_delay_alu instid0(VALU_DEP_1) | instskip(NEXT) | instid1(VALU_DEP_1)
	v_add_f32_e32 v0, v0, v1
	v_add_f32_e32 v0, v2, v0
	s_delay_alu instid0(VALU_DEP_1) | instskip(NEXT) | instid1(VALU_DEP_1)
	v_add_f32_e32 v0, v3, v0
	v_add_f32_e32 v0, v15, v0
	s_delay_alu instid0(VALU_DEP_1) | instskip(NEXT) | instid1(VALU_DEP_1)
	v_add_f32_e32 v0, v14, v0
	v_fmac_f32_e32 v82, v0, v13
	s_delay_alu instid0(VALU_DEP_1) | instskip(SKIP_2) | instid1(VALU_DEP_1)
	v_cndmask_b32_e64 v0, 0, v82, s1
	ds_store_b32 v83, v0
	v_max_f32_e32 v0, v188, v188
	v_max_f32_e32 v0, v0, v82
	s_delay_alu instid0(VALU_DEP_1)
	v_cndmask_b32_e64 v188, v188, v0, s1
	s_branch .LBB185_11
.LBB185_16:
	s_or_b32 exec_lo, exec_lo, s18
	s_clause 0x11
	scratch_load_b32 v170, off, s32 offset:416
	scratch_load_b32 v171, off, s32 offset:420
	;; [unrolled: 1-line block ×13, first 2 shown]
	scratch_load_b64 v[52:53], off, s32 offset:468
	scratch_load_b64 v[49:50], off, s32 offset:476
	scratch_load_b32 v21, off, s32 offset:484
	scratch_load_b32 v39, off, s32 offset:488
	;; [unrolled: 1-line block ×3, first 2 shown]
.LBB185_17:
	s_or_b32 exec_lo, exec_lo, s17
	v_mbcnt_lo_u32_b32 v0, -1, 0
	s_waitcnt lgkmcnt(0)
	s_lshr_b32 s8, s15, 16
	s_delay_alu instid0(VALU_DEP_1) | instskip(SKIP_2) | instid1(VALU_DEP_3)
	v_xor_b32_e32 v1, 16, v0
	v_xor_b32_e32 v3, 8, v0
	;; [unrolled: 1-line block ×3, first 2 shown]
	v_cmp_gt_i32_e32 vcc_lo, 32, v1
	v_cndmask_b32_e32 v1, v0, v1, vcc_lo
	s_delay_alu instid0(VALU_DEP_4) | instskip(NEXT) | instid1(VALU_DEP_2)
	v_cmp_gt_i32_e32 vcc_lo, 32, v3
	v_dual_cndmask_b32 v3, v0, v3 :: v_dual_lshlrev_b32 v2, 2, v1
	v_cmp_gt_i32_e32 vcc_lo, 32, v5
	ds_bpermute_b32 v1, v2, v188
	v_dual_max_f32 v4, v188, v188 :: v_dual_lshlrev_b32 v3, 2, v3
	v_cndmask_b32_e32 v5, v0, v5, vcc_lo
	s_waitcnt lgkmcnt(0)
	v_max_f32_e32 v1, v1, v1
	s_delay_alu instid0(VALU_DEP_1) | instskip(SKIP_3) | instid1(VALU_DEP_1)
	v_max_f32_e32 v1, v4, v1
	ds_bpermute_b32 v4, v3, v1
	s_waitcnt lgkmcnt(0)
	v_max_f32_e32 v6, v4, v4
	v_dual_max_f32 v1, v1, v6 :: v_dual_lshlrev_b32 v4, 2, v5
	v_xor_b32_e32 v6, 2, v0
	ds_bpermute_b32 v5, v4, v1
	v_cmp_gt_i32_e32 vcc_lo, 32, v6
	s_waitcnt lgkmcnt(0)
	v_dual_cndmask_b32 v6, v0, v6 :: v_dual_max_f32 v5, v5, v5
	s_delay_alu instid0(VALU_DEP_1) | instskip(SKIP_1) | instid1(VALU_DEP_1)
	v_lshlrev_b32_e32 v16, 2, v6
	v_xor_b32_e32 v6, 1, v0
	v_cmp_gt_i32_e32 vcc_lo, 32, v6
	s_delay_alu instid0(VALU_DEP_4) | instskip(SKIP_4) | instid1(VALU_DEP_1)
	v_dual_max_f32 v1, v1, v5 :: v_dual_cndmask_b32 v6, v0, v6
	ds_bpermute_b32 v5, v16, v1
	v_lshlrev_b32_e32 v13, 2, v6
	s_waitcnt lgkmcnt(0)
	v_max_f32_e32 v5, v5, v5
	v_max_f32_e32 v0, v1, v5
	scratch_load_b32 v5, off, s32 offset:328 ; 4-byte Folded Reload
	ds_bpermute_b32 v1, v13, v0
	s_waitcnt vmcnt(0)
	v_cmp_eq_u32_e32 vcc_lo, 0, v5
	v_lshlrev_b32_e32 v5, 2, v173
	s_and_saveexec_b32 s1, vcc_lo
	s_cbranch_execz .LBB185_19
; %bb.18:
	s_waitcnt lgkmcnt(0)
	v_dual_max_f32 v1, v1, v1 :: v_dual_max_f32 v0, v0, v0
	s_delay_alu instid0(VALU_DEP_1)
	v_max_f32_e32 v0, v0, v1
	ds_store_b32 v5, v0 offset:240
.LBB185_19:
	s_or_b32 exec_lo, exec_lo, s1
	scratch_load_b32 v0, off, s32 offset:328 ; 4-byte Folded Reload
	s_waitcnt vmcnt(0) lgkmcnt(0)
	s_waitcnt_vscnt null, 0x0
	s_barrier
	buffer_gl0_inv
	v_cmp_gt_u32_e64 s1, 4, v0
	v_mov_b32_e32 v0, 0xff7fffff
	s_delay_alu instid0(VALU_DEP_2)
	s_and_saveexec_b32 s2, s1
	s_cbranch_execz .LBB185_21
; %bb.20:
	ds_load_b32 v0, v25 offset:240
.LBB185_21:
	s_or_b32 exec_lo, exec_lo, s2
	s_waitcnt lgkmcnt(0)
	ds_bpermute_b32 v1, v16, v0
	v_max_f32_e32 v0, v0, v0
	v_subrev_nc_u32_e32 v7, s13, v99
	s_waitcnt lgkmcnt(0)
	v_dual_mov_b32 v6, 0 :: v_dual_max_f32 v1, v1, v1
	s_delay_alu instid0(VALU_DEP_1) | instskip(SKIP_3) | instid1(VALU_DEP_1)
	v_max_f32_e32 v0, v0, v1
	ds_bpermute_b32 v1, v13, v0
	s_waitcnt lgkmcnt(0)
	v_max_f32_e32 v1, v1, v1
	v_max_f32_e32 v0, v0, v1
	v_lshl_add_u32 v1, v7, 5, s3
	ds_bpermute_b32 v0, v6, v0
	v_min_i32_e32 v1, v1, v86
	s_delay_alu instid0(VALU_DEP_1) | instskip(NEXT) | instid1(VALU_DEP_1)
	v_subrev_nc_u32_e32 v1, s3, v1
	v_cmp_lt_i32_e64 s2, v172, v1
	s_delay_alu instid0(VALU_DEP_1)
	s_and_saveexec_b32 s9, s2
	s_cbranch_execz .LBB185_25
; %bb.22:
	s_getpc_b64 s[18:19]
	s_add_u32 s18, s18, llvm.amdgcn.dynlds.offset.table@rel32@lo+4
	s_addc_u32 s19, s19, llvm.amdgcn.dynlds.offset.table@rel32@hi+12
	s_ashr_i32 s11, s10, 31
	v_mov_b32_e32 v6, 0
	s_lshl_b64 s[20:21], s[10:11], 2
	v_mov_b32_e32 v8, v172
	s_add_u32 s18, s20, s18
	s_addc_u32 s19, s21, s19
	s_mov_b32 s11, 0
	s_load_b32 s3, s[18:19], 0x0
	s_waitcnt lgkmcnt(0)
	v_lshl_add_u32 v7, v172, 2, s3
	.p2align	6
.LBB185_23:                             ; =>This Inner Loop Header: Depth=1
	ds_load_b32 v9, v7
	v_add_nc_u32_e32 v8, 0x80, v8
	s_delay_alu instid0(VALU_DEP_1) | instskip(NEXT) | instid1(VALU_DEP_1)
	v_cmp_ge_i32_e64 s3, v8, v1
	s_or_b32 s11, s3, s11
	s_waitcnt lgkmcnt(0)
	v_sub_f32_e32 v9, v9, v0
	s_delay_alu instid0(VALU_DEP_1) | instskip(NEXT) | instid1(VALU_DEP_1)
	v_mul_f32_e32 v9, 0x3fb8aa3b, v9
	v_exp_f32_e32 v9, v9
	ds_store_b32 v7, v9
	v_dual_add_f32 v6, v6, v9 :: v_dual_add_nc_u32 v7, 0x200, v7
	s_and_not1_b32 exec_lo, exec_lo, s11
	s_cbranch_execnz .LBB185_23
; %bb.24:
	s_or_b32 exec_lo, exec_lo, s11
.LBB185_25:
	s_delay_alu instid0(SALU_CYCLE_1)
	s_or_b32 exec_lo, exec_lo, s9
	ds_bpermute_b32 v2, v2, v6
	s_waitcnt lgkmcnt(0)
	v_add_f32_e32 v2, v6, v2
	ds_bpermute_b32 v3, v3, v2
	s_waitcnt lgkmcnt(0)
	v_add_f32_e32 v2, v2, v3
	;; [unrolled: 3-line block ×5, first 2 shown]
	s_and_saveexec_b32 s3, vcc_lo
	s_cbranch_execz .LBB185_27
; %bb.26:
	ds_store_b32 v5, v2 offset:256
.LBB185_27:
	s_or_b32 exec_lo, exec_lo, s3
	s_waitcnt lgkmcnt(0)
	s_barrier
	buffer_gl0_inv
	s_and_saveexec_b32 s3, s1
	s_cbranch_execz .LBB185_29
; %bb.28:
	ds_load_b32 v2, v25 offset:256
.LBB185_29:
	s_or_b32 exec_lo, exec_lo, s3
	s_waitcnt lgkmcnt(0)
	ds_bpermute_b32 v3, v16, v2
	s_waitcnt lgkmcnt(0)
	v_add_f32_e32 v2, v2, v3
	ds_bpermute_b32 v3, v13, v2
	s_waitcnt lgkmcnt(0)
	v_dual_add_f32 v2, v2, v3 :: v_dual_mov_b32 v3, 0
	ds_bpermute_b32 v2, v3, v2
	s_and_saveexec_b32 s1, s2
	s_cbranch_execz .LBB185_32
; %bb.30:
	s_waitcnt lgkmcnt(0)
	v_add_f32_e32 v4, 0x358637bd, v2
	s_getpc_b64 s[2:3]
	s_add_u32 s2, s2, llvm.amdgcn.dynlds.offset.table@rel32@lo+4
	s_addc_u32 s3, s3, llvm.amdgcn.dynlds.offset.table@rel32@hi+12
	s_ashr_i32 s11, s10, 31
	s_delay_alu instid0(SALU_CYCLE_1) | instskip(SKIP_4) | instid1(VALU_DEP_1)
	s_lshl_b64 s[18:19], s[10:11], 2
	v_div_scale_f32 v3, null, v4, v4, 1.0
	s_add_u32 s2, s18, s2
	s_addc_u32 s3, s19, s3
	s_load_b32 s2, s[2:3], 0x0
	v_rcp_f32_e32 v5, v3
	s_waitcnt_depctr 0xfff
	v_fma_f32 v6, -v3, v5, 1.0
	s_delay_alu instid0(VALU_DEP_1) | instskip(SKIP_1) | instid1(VALU_DEP_1)
	v_fmac_f32_e32 v5, v6, v5
	v_div_scale_f32 v7, vcc_lo, 1.0, v4, 1.0
	v_mul_f32_e32 v6, v7, v5
	s_delay_alu instid0(VALU_DEP_1) | instskip(NEXT) | instid1(VALU_DEP_1)
	v_fma_f32 v8, -v3, v6, v7
	v_fmac_f32_e32 v6, v8, v5
	s_delay_alu instid0(VALU_DEP_1) | instskip(NEXT) | instid1(VALU_DEP_1)
	v_fma_f32 v3, -v3, v6, v7
	v_div_fmas_f32 v5, v3, v5, v6
	s_waitcnt lgkmcnt(0)
	v_lshl_add_u32 v3, v172, 2, s2
	s_mov_b32 s2, 0
	s_delay_alu instid0(VALU_DEP_2)
	v_div_fixup_f32 v4, v5, v4, 1.0
	v_mov_b32_e32 v5, v172
.LBB185_31:                             ; =>This Inner Loop Header: Depth=1
	ds_load_b32 v6, v3
	s_waitcnt lgkmcnt(0)
	v_dual_mul_f32 v6, v4, v6 :: v_dual_add_nc_u32 v5, 0x80, v5
	s_delay_alu instid0(VALU_DEP_1) | instskip(SKIP_3) | instid1(SALU_CYCLE_1)
	v_cmp_ge_i32_e32 vcc_lo, v5, v1
	ds_store_b32 v3, v6
	v_add_nc_u32_e32 v3, 0x200, v3
	s_or_b32 s2, vcc_lo, s2
	s_and_not1_b32 exec_lo, exec_lo, s2
	s_cbranch_execnz .LBB185_31
.LBB185_32:
	s_or_b32 exec_lo, exec_lo, s1
	v_cmp_ne_u16_e64 s1, s8, 0
	s_mov_b32 s2, exec_lo
	s_waitcnt lgkmcnt(0)
	s_barrier
	buffer_gl0_inv
	s_cmp_lg_u32 s1, 0
	s_addc_u32 s1, s7, 0
	v_cmpx_eq_u32_e32 0, v172
	s_cbranch_execz .LBB185_34
; %bb.33:
	s_mul_i32 s3, s1, s4
	s_mul_i32 s8, s1, s12
	;; [unrolled: 1-line block ×3, first 2 shown]
	s_ashr_i32 s9, s8, 31
	s_ashr_i32 s15, s14, 31
	;; [unrolled: 1-line block ×3, first 2 shown]
	s_lshl_b64 s[8:9], s[8:9], 2
	s_lshl_b64 s[18:19], s[14:15], 2
	s_lshl_b64 s[12:13], s[12:13], 2
	s_add_u32 s3, s18, s8
	s_addc_u32 s7, s19, s9
	s_add_u32 s3, s3, s12
	s_addc_u32 s7, s7, s13
	v_add_co_u32 v3, vcc_lo, s3, v33
	v_add_co_ci_u32_e32 v4, vcc_lo, s7, v32, vcc_lo
	v_add_co_u32 v5, vcc_lo, s3, v30
	v_add_co_ci_u32_e32 v6, vcc_lo, s7, v29, vcc_lo
	flat_store_b32 v[3:4], v0
	flat_store_b32 v[5:6], v2
.LBB185_34:
	s_or_b32 exec_lo, exec_lo, s2
	s_ashr_i32 s11, s10, 31
	s_getpc_b64 s[2:3]
	s_add_u32 s2, s2, llvm.amdgcn.dynlds.offset.table@rel32@lo+4
	s_addc_u32 s3, s3, llvm.amdgcn.dynlds.offset.table@rel32@hi+12
	s_lshl_b64 s[8:9], s[10:11], 2
	v_dual_mov_b32 v38, 0 :: v_dual_and_b32 v17, 3, v172
	v_dual_mov_b32 v48, 0 :: v_dual_mov_b32 v37, 0
	v_dual_mov_b32 v36, 0 :: v_dual_mov_b32 v35, 0
	;; [unrolled: 1-line block ×7, first 2 shown]
	s_add_u32 s2, s8, s2
	s_addc_u32 s3, s9, s3
	s_mov_b32 s8, 0
	s_and_saveexec_b32 s7, s0
	s_cbranch_execz .LBB185_582
; %bb.35:
	v_max_i32_e32 v26, v26, v39
	v_lshlrev_b64 v[0:1], 1, v[49:50]
	s_load_b32 s0, s[2:3], 0x0
	v_lshlrev_b32_e32 v4, 3, v172
	v_dual_mov_b32 v18, 0 :: v_dual_add_nc_u32 v49, -1, v21
	v_cvt_f32_u32_e32 v2, v26
	s_delay_alu instid0(VALU_DEP_4) | instskip(SKIP_2) | instid1(VALU_DEP_4)
	v_add_co_u32 v50, vcc_lo, v10, v0
	v_sub_nc_u32_e32 v7, 0, v26
	v_add_co_ci_u32_e32 v51, vcc_lo, v11, v1, vcc_lo
	v_rcp_iflag_f32_e32 v6, v2
	v_lshlrev_b32_e32 v5, 5, v17
	v_lshlrev_b64 v[2:3], 2, v[23:24]
	v_dual_mov_b32 v27, 0 :: v_dual_and_b32 v24, 24, v4
	v_dual_mov_b32 v29, 0 :: v_dual_and_b32 v4, 0xf8, v4
	v_mov_b32_e32 v31, 0
	s_delay_alu instid0(VALU_DEP_4) | instskip(NEXT) | instid1(TRANS32_DEP_1)
	v_add_co_u32 v1, vcc_lo, v52, v2
	v_mul_f32_e32 v0, 0x4f7ffffe, v6
	v_add_co_ci_u32_e32 v2, vcc_lo, v53, v3, vcc_lo
	s_delay_alu instid0(VALU_DEP_3) | instskip(NEXT) | instid1(VALU_DEP_3)
	v_add_co_u32 v10, vcc_lo, v14, v1
	v_cvt_u32_f32_e32 v0, v0
	v_lshl_or_b32 v5, v173, 7, v5
	v_or_b32_e32 v3, 0x800, v4
	v_or_b32_e32 v6, 0x900, v4
	;; [unrolled: 1-line block ×3, first 2 shown]
	v_mul_lo_u32 v7, v7, v0
	v_or_b32_e32 v9, 0xb00, v4
	v_or_b32_e32 v12, 0xc00, v4
	;; [unrolled: 1-line block ×4, first 2 shown]
	v_lshlrev_b32_e32 v52, 1, v4
	v_add_co_ci_u32_e32 v11, vcc_lo, v15, v2, vcc_lo
	v_mul_hi_u32 v1, v0, v7
	v_dual_mov_b32 v33, 0 :: v_dual_lshlrev_b32 v14, 1, v3
	v_dual_mov_b32 v28, 0 :: v_dual_lshlrev_b32 v15, 1, v6
	;; [unrolled: 1-line block ×7, first 2 shown]
	s_waitcnt lgkmcnt(0)
	v_add_nc_u32_e32 v66, s0, v5
	v_dual_mov_b32 v36, 0 :: v_dual_add_nc_u32 v67, v0, v1
	v_dual_mov_b32 v19, 0 :: v_dual_mov_b32 v48, 0
	v_mov_b32_e32 v38, 0
	s_branch .LBB185_38
.LBB185_36:                             ;   in Loop: Header=BB185_38 Depth=1
	s_or_b32 exec_lo, exec_lo, s0
	v_and_b32_e32 v128, 0xffff0000, v140
	v_and_b32_e32 v129, 0xffff0000, v139
	;; [unrolled: 1-line block ×8, first 2 shown]
	s_delay_alu instid0(VALU_DEP_4)
	v_dual_add_f32 v119, v131, v119 :: v_dual_and_b32 v4, 0xffff0000, v4
	v_and_b32_e32 v115, 0xffff0000, v155
	v_and_b32_e32 v113, 0xffff0000, v157
	v_and_b32_e32 v6, 0xffff0000, v6
	v_and_b32_e32 v83, 0xffff0000, v83
	v_and_b32_e32 v84, 0xffff0000, v84
	v_dual_add_f32 v114, v115, v114 :: v_dual_and_b32 v97, 0xffff0000, v97
	v_add_f32_e32 v115, v129, v128
	v_add_f32_e32 v112, v113, v112
	v_and_b32_e32 v128, 0xffff0000, v143
	v_and_b32_e32 v82, 0xffff0000, v82
	v_add_f32_e32 v96, v96, v97
	v_and_b32_e32 v9, 0xffff0000, v9
	v_and_b32_e32 v3, 0xffff0000, v3
	;; [unrolled: 1-line block ×4, first 2 shown]
	v_add_f32_e32 v96, v114, v96
	v_dual_add_f32 v114, v115, v119 :: v_dual_and_b32 v115, 0xffff0000, v154
	v_and_b32_e32 v2, 0xffff0000, v2
	s_delay_alu instid0(VALU_DEP_3) | instskip(SKIP_4) | instid1(VALU_DEP_4)
	v_dual_add_f32 v96, v96, v112 :: v_dual_and_b32 v25, 0xffff0000, v25
	v_and_b32_e32 v113, 0xffff0000, v153
	v_and_b32_e32 v118, 0xffff0000, v168
	;; [unrolled: 1-line block ×4, first 2 shown]
	v_dual_add_f32 v4, v4, v5 :: v_dual_add_f32 v113, v113, v115
	v_dual_add_f32 v82, v82, v83 :: v_dual_and_b32 v97, 0xffff0000, v152
	v_dual_add_f32 v8, v8, v9 :: v_dual_and_b32 v83, 0xffff0000, v100
	v_add_f32_e32 v0, v0, v25
	s_delay_alu instid0(VALU_DEP_3) | instskip(NEXT) | instid1(VALU_DEP_1)
	v_dual_add_f32 v97, v128, v97 :: v_dual_and_b32 v116, 0xffff0000, v159
	v_dual_add_f32 v97, v114, v97 :: v_dual_add_f32 v112, v116, v118
	v_and_b32_e32 v116, 0xffff0000, v125
	s_delay_alu instid0(VALU_DEP_2) | instskip(SKIP_3) | instid1(VALU_DEP_4)
	v_dual_add_f32 v97, v97, v113 :: v_dual_add_f32 v96, v96, v112
	v_and_b32_e32 v128, 0xffff0000, v138
	v_and_b32_e32 v12, 0xffff0000, v12
	;; [unrolled: 1-line block ×3, first 2 shown]
	v_add_f32_e32 v27, v27, v97
	v_dual_add_f32 v19, v19, v96 :: v_dual_and_b32 v96, 0xffff0000, v105
	v_and_b32_e32 v97, 0xffff0000, v104
	v_and_b32_e32 v21, 0xffff0000, v21
	v_dual_add_f32 v113, v116, v113 :: v_dual_and_b32 v116, 0xffff0000, v88
	s_delay_alu instid0(VALU_DEP_3) | instskip(NEXT) | instid1(VALU_DEP_3)
	v_add_f32_e32 v96, v97, v96
	v_dual_add_f32 v5, v12, v21 :: v_dual_and_b32 v114, 0xffff0000, v124
	v_and_b32_e32 v115, 0xffff0000, v123
	v_and_b32_e32 v97, 0xffff0000, v91
	;; [unrolled: 1-line block ×3, first 2 shown]
	s_delay_alu instid0(VALU_DEP_4) | instskip(NEXT) | instid1(VALU_DEP_4)
	v_add_f32_e32 v4, v4, v5
	v_dual_add_f32 v114, v115, v114 :: v_dual_and_b32 v119, 0xffff0000, v137
	v_and_b32_e32 v112, 0xffff0000, v136
	s_delay_alu instid0(VALU_DEP_2) | instskip(NEXT) | instid1(VALU_DEP_3)
	v_dual_add_f32 v39, v119, v128 :: v_dual_and_b32 v118, 0xffff0000, v127
	v_add_f32_e32 v113, v114, v113
	v_and_b32_e32 v119, 0xffff0000, v60
	s_delay_alu instid0(VALU_DEP_3) | instskip(NEXT) | instid1(VALU_DEP_1)
	v_add_f32_e32 v112, v118, v112
	v_dual_add_f32 v21, v113, v112 :: v_dual_and_b32 v118, 0xffff0000, v90
	s_delay_alu instid0(VALU_DEP_1) | instskip(SKIP_1) | instid1(VALU_DEP_3)
	v_dual_add_f32 v97, v118, v97 :: v_dual_and_b32 v114, 0xffff0000, v120
	v_and_b32_e32 v112, 0xffff0000, v121
	v_dual_add_f32 v21, v21, v39 :: v_dual_and_b32 v118, 0xffff0000, v58
	s_delay_alu instid0(VALU_DEP_3) | instskip(SKIP_2) | instid1(VALU_DEP_4)
	v_add_f32_e32 v5, v12, v114
	v_and_b32_e32 v39, 0xffff0000, v107
	v_and_b32_e32 v12, 0xffff0000, v122
	v_add_f32_e32 v28, v28, v21
	s_delay_alu instid0(VALU_DEP_4) | instskip(NEXT) | instid1(VALU_DEP_3)
	v_add_f32_e32 v4, v4, v5
	v_dual_add_f32 v5, v112, v12 :: v_dual_and_b32 v12, 0xffff0000, v109
	v_and_b32_e32 v112, 0xffff0000, v106
	s_delay_alu instid0(VALU_DEP_2) | instskip(NEXT) | instid1(VALU_DEP_2)
	v_dual_add_f32 v4, v4, v5 :: v_dual_and_b32 v113, 0xffff0000, v108
	v_dual_add_f32 v39, v112, v39 :: v_dual_and_b32 v112, 0xffff0000, v89
	s_delay_alu instid0(VALU_DEP_2) | instskip(NEXT) | instid1(VALU_DEP_3)
	v_dual_add_f32 v12, v113, v12 :: v_dual_and_b32 v115, 0xffff0000, v111
	v_add_f32_e32 v29, v29, v4
	s_delay_alu instid0(VALU_DEP_3) | instskip(NEXT) | instid1(VALU_DEP_4)
	v_add_f32_e32 v39, v96, v39
	v_add_f32_e32 v112, v116, v112
	v_and_b32_e32 v114, 0xffff0000, v110
	v_and_b32_e32 v116, 0xffff0000, v59
	s_delay_alu instid0(VALU_DEP_3) | instskip(NEXT) | instid1(VALU_DEP_3)
	v_dual_add_f32 v12, v39, v12 :: v_dual_add_f32 v97, v112, v97
	v_add_f32_e32 v39, v114, v115
	v_and_b32_e32 v112, 0xffff0000, v95
	s_delay_alu instid0(VALU_DEP_2) | instskip(SKIP_2) | instid1(VALU_DEP_3)
	v_add_f32_e32 v5, v12, v39
	v_and_b32_e32 v39, 0xffff0000, v77
	v_and_b32_e32 v114, 0xffff0000, v94
	v_add_f32_e32 v30, v30, v5
	s_delay_alu instid0(VALU_DEP_2)
	v_add_f32_e32 v21, v114, v112
	v_and_b32_e32 v7, 0xffff0000, v7
	v_and_b32_e32 v113, 0xffff0000, v92
	;; [unrolled: 1-line block ×5, first 2 shown]
	v_add_f32_e32 v6, v6, v7
	s_delay_alu instid0(VALU_DEP_3) | instskip(NEXT) | instid1(VALU_DEP_1)
	v_dual_add_f32 v96, v113, v96 :: v_dual_and_b32 v113, 0xffff0000, v78
	v_dual_add_f32 v12, v97, v96 :: v_dual_and_b32 v97, 0xffff0000, v75
	v_and_b32_e32 v96, 0xffff0000, v76
	s_delay_alu instid0(VALU_DEP_2) | instskip(NEXT) | instid1(VALU_DEP_3)
	v_add_f32_e32 v12, v12, v21
	v_add_f32_e32 v7, v112, v97
	v_and_b32_e32 v115, 0xffff0000, v61
	v_and_b32_e32 v97, 0xffff0000, v63
	s_delay_alu instid0(VALU_DEP_4)
	v_add_f32_e32 v31, v31, v12
	v_add_f32_e32 v112, v118, v116
	v_and_b32_e32 v116, 0xffff0000, v62
	v_add_f32_e32 v6, v6, v7
	v_add_f32_e32 v115, v119, v115
	;; [unrolled: 1-line block ×3, first 2 shown]
	v_and_b32_e32 v39, 0xffff0000, v72
	v_add_f32_e32 v97, v116, v97
	s_delay_alu instid0(VALU_DEP_4) | instskip(NEXT) | instid1(VALU_DEP_4)
	v_add_f32_e32 v96, v112, v115
	v_dual_add_f32 v6, v6, v7 :: v_dual_add_f32 v7, v113, v114
	v_and_b32_e32 v113, 0xffff0000, v178
	v_and_b32_e32 v112, 0xffff0000, v73
	s_delay_alu instid0(VALU_DEP_4) | instskip(NEXT) | instid1(VALU_DEP_4)
	v_add_f32_e32 v21, v96, v97
	v_dual_add_f32 v4, v6, v7 :: v_dual_and_b32 v97, 0xffff0000, v56
	v_and_b32_e32 v7, 0xffff0000, v45
	s_delay_alu instid0(VALU_DEP_4) | instskip(SKIP_1) | instid1(VALU_DEP_2)
	v_dual_add_f32 v39, v39, v112 :: v_dual_and_b32 v112, 0xffff0000, v57
	v_and_b32_e32 v12, 0xffff0000, v43
	v_dual_add_f32 v32, v32, v4 :: v_dual_add_f32 v5, v21, v39
	v_and_b32_e32 v21, 0xffff0000, v42
	s_delay_alu instid0(VALU_DEP_2) | instskip(NEXT) | instid1(VALU_DEP_2)
	v_dual_add_f32 v33, v33, v5 :: v_dual_and_b32 v114, 0xffff0000, v180
	v_dual_add_f32 v12, v21, v12 :: v_dual_and_b32 v21, 0xffff0000, v181
	s_delay_alu instid0(VALU_DEP_1) | instskip(SKIP_1) | instid1(VALU_DEP_1)
	v_dual_add_f32 v21, v114, v21 :: v_dual_and_b32 v6, 0xffff0000, v47
	v_and_b32_e32 v96, 0xffff0000, v46
	v_dual_add_f32 v6, v96, v6 :: v_dual_and_b32 v39, 0xffff0000, v44
	s_delay_alu instid0(VALU_DEP_1) | instskip(SKIP_1) | instid1(VALU_DEP_2)
	v_add_f32_e32 v7, v39, v7
	v_and_b32_e32 v39, 0xffff0000, v179
	v_dual_add_f32 v7, v12, v7 :: v_dual_and_b32 v96, 0xffff0000, v182
	v_and_b32_e32 v12, 0xffff0000, v183
	s_delay_alu instid0(VALU_DEP_2) | instskip(NEXT) | instid1(VALU_DEP_1)
	v_dual_add_f32 v39, v113, v39 :: v_dual_add_f32 v6, v7, v6
	v_dual_add_f32 v12, v96, v12 :: v_dual_add_f32 v21, v39, v21
	v_and_b32_e32 v96, 0xffff0000, v148
	s_delay_alu instid0(VALU_DEP_2) | instskip(SKIP_3) | instid1(VALU_DEP_3)
	v_add_f32_e32 v5, v21, v12
	v_add_f32_e32 v7, v97, v112
	v_and_b32_e32 v97, 0xffff0000, v40
	v_and_b32_e32 v12, 0xffff0000, v163
	v_dual_add_f32 v4, v6, v7 :: v_dual_and_b32 v39, 0xffff0000, v41
	s_delay_alu instid0(VALU_DEP_1) | instskip(NEXT) | instid1(VALU_DEP_2)
	v_dual_add_f32 v34, v34, v4 :: v_dual_and_b32 v7, 0xffff0000, v165
	v_dual_add_f32 v6, v97, v39 :: v_dual_and_b32 v39, 0xffff0000, v164
	v_and_b32_e32 v97, 0xffff0000, v150
	s_delay_alu instid0(VALU_DEP_2) | instskip(SKIP_2) | instid1(VALU_DEP_3)
	v_dual_add_f32 v4, v5, v6 :: v_dual_add_f32 v7, v39, v7
	v_and_b32_e32 v21, 0xffff0000, v162
	v_and_b32_e32 v5, 0xffff0000, v167
	v_add_f32_e32 v35, v35, v4
	s_delay_alu instid0(VALU_DEP_3) | instskip(NEXT) | instid1(VALU_DEP_1)
	v_add_f32_e32 v6, v21, v12
	v_dual_add_f32 v6, v6, v7 :: v_dual_and_b32 v7, 0xffff0000, v149
	s_delay_alu instid0(VALU_DEP_1) | instskip(NEXT) | instid1(VALU_DEP_1)
	v_dual_add_f32 v7, v96, v7 :: v_dual_and_b32 v12, 0xffff0000, v166
	v_dual_add_f32 v5, v12, v5 :: v_dual_and_b32 v4, 0xffff0000, v176
	v_and_b32_e32 v12, 0xffff0000, v147
	v_and_b32_e32 v39, 0xffff0000, v146
	v_and_b32_e32 v21, 0xffff0000, v177
	s_delay_alu instid0(VALU_DEP_2) | instskip(NEXT) | instid1(VALU_DEP_2)
	v_dual_add_f32 v5, v6, v5 :: v_dual_add_f32 v12, v39, v12
	v_add_f32_e32 v4, v4, v21
	v_and_b32_e32 v69, 0xffff0000, v69
	v_and_b32_e32 v6, 0xffff0000, v151
	s_delay_alu instid0(VALU_DEP_4) | instskip(NEXT) | instid1(VALU_DEP_3)
	v_add_f32_e32 v7, v12, v7
	v_dual_add_f32 v9, v68, v69 :: v_dual_and_b32 v68, 0xffff0000, v102
	v_and_b32_e32 v12, 0xffff0000, v117
	s_delay_alu instid0(VALU_DEP_2) | instskip(NEXT) | instid1(VALU_DEP_2)
	v_add_f32_e32 v8, v8, v9
	v_add_f32_e32 v12, v83, v12
	v_dual_add_f32 v6, v97, v6 :: v_dual_and_b32 v39, 0xffff0000, v85
	s_delay_alu instid0(VALU_DEP_1) | instskip(NEXT) | instid1(VALU_DEP_2)
	v_dual_add_f32 v6, v7, v6 :: v_dual_and_b32 v85, 0xffff0000, v160
	v_add_f32_e32 v39, v84, v39
	s_delay_alu instid0(VALU_DEP_1) | instskip(NEXT) | instid1(VALU_DEP_1)
	v_add_f32_e32 v21, v82, v39
	v_dual_add_f32 v12, v21, v12 :: v_dual_and_b32 v39, 0xffff0000, v130
	v_and_b32_e32 v21, 0xffff0000, v71
	v_and_b32_e32 v71, 0xffff0000, v80
	;; [unrolled: 1-line block ×4, first 2 shown]
	s_delay_alu instid0(VALU_DEP_1) | instskip(NEXT) | instid1(VALU_DEP_1)
	v_dual_add_f32 v1, v1, v81 :: v_dual_and_b32 v70, 0xffff0000, v70
	v_add_f32_e32 v0, v0, v1
	s_delay_alu instid0(VALU_DEP_2) | instskip(SKIP_1) | instid1(VALU_DEP_2)
	v_add_f32_e32 v9, v70, v21
	v_dual_add_f32 v1, v2, v68 :: v_dual_and_b32 v2, 0xffff0000, v103
	v_add_f32_e32 v8, v8, v9
	v_dual_add_f32 v9, v71, v80 :: v_dual_and_b32 v82, 0xffff0000, v145
	v_and_b32_e32 v84, 0xffff0000, v161
	s_delay_alu instid0(VALU_DEP_4) | instskip(NEXT) | instid1(VALU_DEP_3)
	v_dual_add_f32 v0, v0, v1 :: v_dual_add_f32 v1, v3, v2
	v_dual_add_f32 v21, v39, v82 :: v_dual_add_f32 v2, v5, v4
	s_delay_alu instid0(VALU_DEP_3) | instskip(SKIP_1) | instid1(VALU_DEP_4)
	v_add_f32_e32 v7, v85, v84
	v_add_f32_e32 v5, v8, v9
	;; [unrolled: 1-line block ×3, first 2 shown]
	s_delay_alu instid0(VALU_DEP_4) | instskip(NEXT) | instid1(VALU_DEP_4)
	v_add_f32_e32 v4, v12, v21
	v_dual_add_f32 v36, v36, v2 :: v_dual_add_f32 v3, v6, v7
	s_delay_alu instid0(VALU_DEP_4) | instskip(NEXT) | instid1(VALU_DEP_4)
	v_add_f32_e32 v38, v38, v5
	v_add_f32_e32 v18, v18, v0
	s_delay_alu instid0(VALU_DEP_3)
	v_dual_add_f32 v48, v48, v4 :: v_dual_add_f32 v37, v37, v3
.LBB185_37:                             ;   in Loop: Header=BB185_38 Depth=1
	s_or_b32 exec_lo, exec_lo, s9
	v_add_nc_u32_e32 v23, 4, v23
	v_add_co_u32 v10, s0, v10, 16
	s_delay_alu instid0(VALU_DEP_1) | instskip(NEXT) | instid1(VALU_DEP_3)
	v_add_co_ci_u32_e64 v11, s0, 0, v11, s0
	v_cmp_ge_i32_e32 vcc_lo, v23, v99
	v_add_nc_u32_e32 v98, 0x80, v98
	v_add_nc_u32_e32 v66, 0x200, v66
	s_or_b32 s8, vcc_lo, s8
	s_delay_alu instid0(SALU_CYCLE_1)
	s_and_not1_b32 exec_lo, exec_lo, s8
	s_cbranch_execz .LBB185_581
.LBB185_38:                             ; =>This Inner Loop Header: Depth=1
	scratch_load_b32 v1, off, s32 offset:320 ; 4-byte Folded Reload
	v_sub_nc_u32_e32 v0, 0, v98
	s_delay_alu instid0(VALU_DEP_1) | instskip(SKIP_1) | instid1(VALU_DEP_1)
	v_max_i32_e32 v0, v98, v0
	s_waitcnt vmcnt(0)
	v_mul_hi_u32 v1, v0, v1
	s_delay_alu instid0(VALU_DEP_1) | instskip(NEXT) | instid1(VALU_DEP_1)
	v_mul_lo_u32 v2, v1, v87
	v_sub_nc_u32_e32 v0, v0, v2
	v_add_nc_u32_e32 v2, 1, v1
	s_delay_alu instid0(VALU_DEP_2) | instskip(SKIP_1) | instid1(VALU_DEP_2)
	v_sub_nc_u32_e32 v3, v0, v87
	v_cmp_ge_u32_e32 vcc_lo, v0, v87
	v_dual_cndmask_b32 v1, v1, v2 :: v_dual_cndmask_b32 v0, v0, v3
	v_ashrrev_i32_e32 v2, 31, v98
	s_delay_alu instid0(VALU_DEP_2) | instskip(NEXT) | instid1(VALU_DEP_3)
	v_add_nc_u32_e32 v3, 1, v1
	v_cmp_ge_u32_e32 vcc_lo, v0, v87
	s_delay_alu instid0(VALU_DEP_3) | instskip(NEXT) | instid1(VALU_DEP_3)
	v_xor_b32_e32 v2, v2, v174
	v_cndmask_b32_e32 v0, v1, v3, vcc_lo
	s_delay_alu instid0(VALU_DEP_1) | instskip(NEXT) | instid1(VALU_DEP_1)
	v_xor_b32_e32 v0, v0, v2
	v_sub_nc_u32_e32 v0, v0, v2
	s_delay_alu instid0(VALU_DEP_1) | instskip(NEXT) | instid1(VALU_DEP_1)
	v_add_nc_u32_e32 v1, v0, v20
	v_sub_nc_u32_e32 v2, 0, v1
	s_delay_alu instid0(VALU_DEP_1) | instskip(NEXT) | instid1(VALU_DEP_1)
	v_max_i32_e32 v2, v1, v2
	v_mul_hi_u32 v3, v2, v67
	s_delay_alu instid0(VALU_DEP_1) | instskip(NEXT) | instid1(VALU_DEP_1)
	v_mul_lo_u32 v3, v3, v26
	v_sub_nc_u32_e32 v2, v2, v3
	s_delay_alu instid0(VALU_DEP_1) | instskip(SKIP_1) | instid1(VALU_DEP_2)
	v_sub_nc_u32_e32 v3, v2, v26
	v_cmp_ge_u32_e32 vcc_lo, v2, v26
	v_cndmask_b32_e32 v2, v2, v3, vcc_lo
	v_ashrrev_i32_e32 v1, 31, v1
	s_delay_alu instid0(VALU_DEP_2) | instskip(SKIP_1) | instid1(VALU_DEP_2)
	v_sub_nc_u32_e32 v3, v2, v26
	v_cmp_ge_u32_e32 vcc_lo, v2, v26
	v_cndmask_b32_e32 v2, v2, v3, vcc_lo
	s_delay_alu instid0(VALU_DEP_1) | instskip(NEXT) | instid1(VALU_DEP_1)
	v_xor_b32_e32 v2, v2, v1
	v_sub_nc_u32_e32 v1, v2, v1
	s_delay_alu instid0(VALU_DEP_1) | instskip(SKIP_3) | instid1(VALU_DEP_1)
	v_cmp_eq_u32_e32 vcc_lo, 0, v1
	scratch_load_b32 v1, off, s32 offset:324 ; 4-byte Folded Reload
	s_waitcnt vmcnt(0)
	v_cmp_gt_i32_e64 s0, v0, v1
	s_or_b32 s0, vcc_lo, s0
	s_delay_alu instid0(SALU_CYCLE_1)
	s_and_saveexec_b32 s9, s0
	s_cbranch_execz .LBB185_37
; %bb.39:                               ;   in Loop: Header=BB185_38 Depth=1
	flat_load_b32 v70, v[10:11]
	ds_load_2addr_b64 v[6:9], v66 offset1:1
	ds_load_2addr_b64 v[0:3], v66 offset0:2 offset1:3
	s_mov_b32 s0, exec_lo
                                        ; implicit-def: $vgpr69
	s_waitcnt lgkmcnt(1)
	v_and_b32_e32 v4, 0x7f800000, v6
	s_delay_alu instid0(VALU_DEP_1)
	v_cmpx_ne_u32_e32 0x7f800000, v4
	s_xor_b32 s0, exec_lo, s0
; %bb.40:                               ;   in Loop: Header=BB185_38 Depth=1
	v_bfe_u32 v4, v6, 16, 1
	s_delay_alu instid0(VALU_DEP_1)
	v_add3_u32 v69, v6, v4, 0x7fff
; %bb.41:                               ;   in Loop: Header=BB185_38 Depth=1
	s_and_not1_saveexec_b32 s0, s0
; %bb.42:                               ;   in Loop: Header=BB185_38 Depth=1
	v_and_b32_e32 v4, 0xffff, v6
	v_or_b32_e32 v5, 0x10000, v6
	s_delay_alu instid0(VALU_DEP_2) | instskip(NEXT) | instid1(VALU_DEP_2)
	v_cmp_eq_u32_e32 vcc_lo, 0, v4
	v_cndmask_b32_e32 v69, v5, v6, vcc_lo
; %bb.43:                               ;   in Loop: Header=BB185_38 Depth=1
	s_or_b32 exec_lo, exec_lo, s0
	v_and_b32_e32 v4, 0x7f800000, v7
	s_mov_b32 s0, exec_lo
                                        ; implicit-def: $vgpr68
	s_delay_alu instid0(VALU_DEP_1)
	v_cmpx_ne_u32_e32 0x7f800000, v4
	s_xor_b32 s0, exec_lo, s0
; %bb.44:                               ;   in Loop: Header=BB185_38 Depth=1
	v_bfe_u32 v4, v7, 16, 1
	s_delay_alu instid0(VALU_DEP_1)
	v_add3_u32 v68, v7, v4, 0x7fff
; %bb.45:                               ;   in Loop: Header=BB185_38 Depth=1
	s_and_not1_saveexec_b32 s0, s0
; %bb.46:                               ;   in Loop: Header=BB185_38 Depth=1
	v_and_b32_e32 v4, 0xffff, v7
	v_or_b32_e32 v5, 0x10000, v7
	s_delay_alu instid0(VALU_DEP_2) | instskip(NEXT) | instid1(VALU_DEP_2)
	v_cmp_eq_u32_e32 vcc_lo, 0, v4
	v_cndmask_b32_e32 v68, v5, v7, vcc_lo
; %bb.47:                               ;   in Loop: Header=BB185_38 Depth=1
	s_or_b32 exec_lo, exec_lo, s0
	v_and_b32_e32 v4, 0x7f800000, v8
	s_mov_b32 s0, exec_lo
                                        ; implicit-def: $vgpr39
	s_delay_alu instid0(VALU_DEP_1)
	v_cmpx_ne_u32_e32 0x7f800000, v4
	s_xor_b32 s0, exec_lo, s0
; %bb.48:                               ;   in Loop: Header=BB185_38 Depth=1
	v_bfe_u32 v4, v8, 16, 1
	s_delay_alu instid0(VALU_DEP_1)
	v_add3_u32 v39, v8, v4, 0x7fff
; %bb.49:                               ;   in Loop: Header=BB185_38 Depth=1
	s_and_not1_saveexec_b32 s0, s0
; %bb.50:                               ;   in Loop: Header=BB185_38 Depth=1
	v_and_b32_e32 v4, 0xffff, v8
	v_or_b32_e32 v5, 0x10000, v8
	s_delay_alu instid0(VALU_DEP_2) | instskip(NEXT) | instid1(VALU_DEP_2)
	v_cmp_eq_u32_e32 vcc_lo, 0, v4
	v_cndmask_b32_e32 v39, v5, v8, vcc_lo
; %bb.51:                               ;   in Loop: Header=BB185_38 Depth=1
	s_or_b32 exec_lo, exec_lo, s0
	v_and_b32_e32 v4, 0x7f800000, v9
	s_mov_b32 s0, exec_lo
                                        ; implicit-def: $vgpr25
	s_delay_alu instid0(VALU_DEP_1)
	v_cmpx_ne_u32_e32 0x7f800000, v4
	s_xor_b32 s0, exec_lo, s0
; %bb.52:                               ;   in Loop: Header=BB185_38 Depth=1
	v_bfe_u32 v4, v9, 16, 1
	s_delay_alu instid0(VALU_DEP_1)
	v_add3_u32 v25, v9, v4, 0x7fff
                                        ; implicit-def: $vgpr6_vgpr7_vgpr8_vgpr9
; %bb.53:                               ;   in Loop: Header=BB185_38 Depth=1
	s_and_not1_saveexec_b32 s0, s0
; %bb.54:                               ;   in Loop: Header=BB185_38 Depth=1
	v_and_b32_e32 v4, 0xffff, v9
	v_or_b32_e32 v5, 0x10000, v9
	s_delay_alu instid0(VALU_DEP_2) | instskip(NEXT) | instid1(VALU_DEP_2)
	v_cmp_eq_u32_e32 vcc_lo, 0, v4
	v_cndmask_b32_e32 v25, v5, v9, vcc_lo
; %bb.55:                               ;   in Loop: Header=BB185_38 Depth=1
	s_or_b32 exec_lo, exec_lo, s0
	s_waitcnt lgkmcnt(0)
	v_and_b32_e32 v4, 0x7f800000, v0
	s_mov_b32 s0, exec_lo
                                        ; implicit-def: $vgpr21
	s_delay_alu instid0(VALU_DEP_1)
	v_cmpx_ne_u32_e32 0x7f800000, v4
	s_xor_b32 s0, exec_lo, s0
; %bb.56:                               ;   in Loop: Header=BB185_38 Depth=1
	v_bfe_u32 v4, v0, 16, 1
	s_delay_alu instid0(VALU_DEP_1)
	v_add3_u32 v21, v0, v4, 0x7fff
; %bb.57:                               ;   in Loop: Header=BB185_38 Depth=1
	s_and_not1_saveexec_b32 s0, s0
; %bb.58:                               ;   in Loop: Header=BB185_38 Depth=1
	v_and_b32_e32 v4, 0xffff, v0
	v_or_b32_e32 v5, 0x10000, v0
	s_delay_alu instid0(VALU_DEP_2) | instskip(NEXT) | instid1(VALU_DEP_2)
	v_cmp_eq_u32_e32 vcc_lo, 0, v4
	v_cndmask_b32_e32 v21, v5, v0, vcc_lo
; %bb.59:                               ;   in Loop: Header=BB185_38 Depth=1
	s_or_b32 exec_lo, exec_lo, s0
	v_and_b32_e32 v0, 0x7f800000, v1
	s_mov_b32 s0, exec_lo
                                        ; implicit-def: $vgpr12
	s_delay_alu instid0(VALU_DEP_1)
	v_cmpx_ne_u32_e32 0x7f800000, v0
	s_xor_b32 s0, exec_lo, s0
; %bb.60:                               ;   in Loop: Header=BB185_38 Depth=1
	v_bfe_u32 v0, v1, 16, 1
	s_delay_alu instid0(VALU_DEP_1)
	v_add3_u32 v12, v1, v0, 0x7fff
; %bb.61:                               ;   in Loop: Header=BB185_38 Depth=1
	s_and_not1_saveexec_b32 s0, s0
; %bb.62:                               ;   in Loop: Header=BB185_38 Depth=1
	v_and_b32_e32 v0, 0xffff, v1
	v_or_b32_e32 v4, 0x10000, v1
	s_delay_alu instid0(VALU_DEP_2) | instskip(NEXT) | instid1(VALU_DEP_2)
	v_cmp_eq_u32_e32 vcc_lo, 0, v0
	v_cndmask_b32_e32 v12, v4, v1, vcc_lo
; %bb.63:                               ;   in Loop: Header=BB185_38 Depth=1
	s_or_b32 exec_lo, exec_lo, s0
	v_and_b32_e32 v0, 0x7f800000, v2
	s_mov_b32 s0, exec_lo
                                        ; implicit-def: $vgpr5
	s_delay_alu instid0(VALU_DEP_1)
	v_cmpx_ne_u32_e32 0x7f800000, v0
	s_xor_b32 s0, exec_lo, s0
; %bb.64:                               ;   in Loop: Header=BB185_38 Depth=1
	v_bfe_u32 v0, v2, 16, 1
	s_delay_alu instid0(VALU_DEP_1)
	v_add3_u32 v5, v2, v0, 0x7fff
; %bb.65:                               ;   in Loop: Header=BB185_38 Depth=1
	s_and_not1_saveexec_b32 s0, s0
; %bb.66:                               ;   in Loop: Header=BB185_38 Depth=1
	v_and_b32_e32 v0, 0xffff, v2
	v_or_b32_e32 v1, 0x10000, v2
	s_delay_alu instid0(VALU_DEP_2) | instskip(NEXT) | instid1(VALU_DEP_2)
	v_cmp_eq_u32_e32 vcc_lo, 0, v0
	v_cndmask_b32_e32 v5, v1, v2, vcc_lo
; %bb.67:                               ;   in Loop: Header=BB185_38 Depth=1
	s_or_b32 exec_lo, exec_lo, s0
	v_and_b32_e32 v0, 0x7f800000, v3
	s_mov_b32 s0, exec_lo
                                        ; implicit-def: $vgpr4
	s_delay_alu instid0(VALU_DEP_1)
	v_cmpx_ne_u32_e32 0x7f800000, v0
	s_xor_b32 s0, exec_lo, s0
; %bb.68:                               ;   in Loop: Header=BB185_38 Depth=1
	v_bfe_u32 v0, v3, 16, 1
	s_delay_alu instid0(VALU_DEP_1)
	v_add3_u32 v4, v3, v0, 0x7fff
                                        ; implicit-def: $vgpr0_vgpr1_vgpr2_vgpr3
; %bb.69:                               ;   in Loop: Header=BB185_38 Depth=1
	s_and_not1_saveexec_b32 s0, s0
; %bb.70:                               ;   in Loop: Header=BB185_38 Depth=1
	v_and_b32_e32 v0, 0xffff, v3
	v_or_b32_e32 v1, 0x10000, v3
	s_delay_alu instid0(VALU_DEP_2) | instskip(NEXT) | instid1(VALU_DEP_2)
	v_cmp_eq_u32_e32 vcc_lo, 0, v0
	v_cndmask_b32_e32 v4, v1, v3, vcc_lo
; %bb.71:                               ;   in Loop: Header=BB185_38 Depth=1
	s_or_b32 exec_lo, exec_lo, s0
	s_waitcnt vmcnt(0)
	v_mad_i64_i32 v[0:1], null, v70, v22, 0
	v_add_nc_u32_e32 v101, v24, v98
	s_delay_alu instid0(VALU_DEP_1) | instskip(NEXT) | instid1(VALU_DEP_3)
	v_add_nc_u32_e32 v116, 1, v101
	v_lshlrev_b64 v[0:1], 1, v[0:1]
	v_add_nc_u32_e32 v115, 2, v101
	v_add_nc_u32_e32 v113, 3, v101
	;; [unrolled: 1-line block ×5, first 2 shown]
	v_add_co_u32 v118, vcc_lo, v50, v0
	v_add_co_ci_u32_e32 v119, vcc_lo, v51, v1, vcc_lo
	v_add_nc_u32_e32 v114, 7, v101
	s_delay_alu instid0(VALU_DEP_3) | instskip(NEXT) | instid1(VALU_DEP_3)
	v_add_co_u32 v6, vcc_lo, v118, v52
	v_add_co_ci_u32_e32 v7, vcc_lo, 0, v119, vcc_lo
	v_cmp_eq_u32_e32 vcc_lo, v49, v23
	flat_load_b128 v[0:3], v[6:7]
	s_waitcnt vmcnt(0) lgkmcnt(0)
	v_lshrrev_b32_e32 v9, 16, v0
	v_lshrrev_b32_e32 v70, 16, v1
	;; [unrolled: 1-line block ×4, first 2 shown]
	s_and_saveexec_b32 s10, vcc_lo
	s_cbranch_execz .LBB185_73
; %bb.72:                               ;   in Loop: Header=BB185_38 Depth=1
	v_cmp_lt_i32_e64 s0, v101, v86
	s_delay_alu instid0(VALU_DEP_1) | instskip(SKIP_1) | instid1(VALU_DEP_1)
	v_cndmask_b32_e64 v0, 0, v0, s0
	v_cmp_lt_i32_e64 s0, v116, v86
	v_cndmask_b32_e64 v9, 0, v9, s0
	v_cmp_lt_i32_e64 s0, v115, v86
	s_delay_alu instid0(VALU_DEP_1) | instskip(SKIP_1) | instid1(VALU_DEP_1)
	v_cndmask_b32_e64 v1, 0, v1, s0
	v_cmp_lt_i32_e64 s0, v113, v86
	v_cndmask_b32_e64 v70, 0, v70, s0
	;; [unrolled: 5-line block ×4, first 2 shown]
.LBB185_73:                             ;   in Loop: Header=BB185_38 Depth=1
	s_or_b32 exec_lo, exec_lo, s10
	v_and_b32_e32 v128, 0xffff0000, v69
	v_lshlrev_b32_e32 v0, 16, v0
	s_delay_alu instid0(VALU_DEP_1) | instskip(NEXT) | instid1(VALU_DEP_1)
	v_mul_f32_e32 v0, v128, v0
	v_and_b32_e32 v8, 0x7f800000, v0
	s_delay_alu instid0(VALU_DEP_1) | instskip(NEXT) | instid1(VALU_DEP_1)
	v_cmp_ne_u32_e64 s0, 0x7f800000, v8
                                        ; implicit-def: $vgpr8
	s_and_saveexec_b32 s10, s0
	s_delay_alu instid0(SALU_CYCLE_1)
	s_xor_b32 s0, exec_lo, s10
; %bb.74:                               ;   in Loop: Header=BB185_38 Depth=1
	v_bfe_u32 v8, v0, 16, 1
	s_delay_alu instid0(VALU_DEP_1)
	v_add3_u32 v8, v0, v8, 0x7fff
                                        ; implicit-def: $vgpr0
; %bb.75:                               ;   in Loop: Header=BB185_38 Depth=1
	s_and_not1_saveexec_b32 s10, s0
; %bb.76:                               ;   in Loop: Header=BB185_38 Depth=1
	v_and_b32_e32 v8, 0xffff, v0
	v_or_b32_e32 v69, 0x10000, v0
	s_delay_alu instid0(VALU_DEP_2) | instskip(NEXT) | instid1(VALU_DEP_1)
	v_cmp_eq_u32_e64 s0, 0, v8
	v_cndmask_b32_e64 v8, v69, v0, s0
; %bb.77:                               ;   in Loop: Header=BB185_38 Depth=1
	s_or_b32 exec_lo, exec_lo, s10
	v_and_b32_e32 v129, 0xffff0000, v68
	v_lshlrev_b32_e32 v0, 16, v9
	s_delay_alu instid0(VALU_DEP_1) | instskip(NEXT) | instid1(VALU_DEP_1)
	v_mul_f32_e32 v0, v129, v0
	v_and_b32_e32 v9, 0x7f800000, v0
	s_delay_alu instid0(VALU_DEP_1) | instskip(NEXT) | instid1(VALU_DEP_1)
	v_cmp_ne_u32_e64 s0, 0x7f800000, v9
                                        ; implicit-def: $vgpr9
	s_and_saveexec_b32 s10, s0
	s_delay_alu instid0(SALU_CYCLE_1)
	s_xor_b32 s0, exec_lo, s10
; %bb.78:                               ;   in Loop: Header=BB185_38 Depth=1
	v_bfe_u32 v9, v0, 16, 1
	s_delay_alu instid0(VALU_DEP_1)
	v_add3_u32 v9, v0, v9, 0x7fff
                                        ; implicit-def: $vgpr0
; %bb.79:                               ;   in Loop: Header=BB185_38 Depth=1
	s_and_not1_saveexec_b32 s10, s0
; %bb.80:                               ;   in Loop: Header=BB185_38 Depth=1
	v_and_b32_e32 v9, 0xffff, v0
	v_or_b32_e32 v68, 0x10000, v0
	s_delay_alu instid0(VALU_DEP_2) | instskip(NEXT) | instid1(VALU_DEP_1)
	v_cmp_eq_u32_e64 s0, 0, v9
	v_cndmask_b32_e64 v9, v68, v0, s0
; %bb.81:                               ;   in Loop: Header=BB185_38 Depth=1
	s_or_b32 exec_lo, exec_lo, s10
	v_and_b32_e32 v131, 0xffff0000, v39
	v_lshlrev_b32_e32 v0, 16, v1
                                        ; implicit-def: $vgpr68
	s_delay_alu instid0(VALU_DEP_1) | instskip(NEXT) | instid1(VALU_DEP_1)
	v_mul_f32_e32 v0, v131, v0
	v_and_b32_e32 v1, 0x7f800000, v0
	s_delay_alu instid0(VALU_DEP_1) | instskip(NEXT) | instid1(VALU_DEP_1)
	v_cmp_ne_u32_e64 s0, 0x7f800000, v1
	s_and_saveexec_b32 s10, s0
	s_delay_alu instid0(SALU_CYCLE_1)
	s_xor_b32 s0, exec_lo, s10
; %bb.82:                               ;   in Loop: Header=BB185_38 Depth=1
	v_bfe_u32 v1, v0, 16, 1
	s_delay_alu instid0(VALU_DEP_1)
	v_add3_u32 v68, v0, v1, 0x7fff
                                        ; implicit-def: $vgpr0
; %bb.83:                               ;   in Loop: Header=BB185_38 Depth=1
	s_and_not1_saveexec_b32 s10, s0
; %bb.84:                               ;   in Loop: Header=BB185_38 Depth=1
	v_and_b32_e32 v1, 0xffff, v0
	v_or_b32_e32 v39, 0x10000, v0
	s_delay_alu instid0(VALU_DEP_2) | instskip(NEXT) | instid1(VALU_DEP_1)
	v_cmp_eq_u32_e64 s0, 0, v1
	v_cndmask_b32_e64 v68, v39, v0, s0
; %bb.85:                               ;   in Loop: Header=BB185_38 Depth=1
	s_or_b32 exec_lo, exec_lo, s10
	v_and_b32_e32 v132, 0xffff0000, v25
	v_lshlrev_b32_e32 v0, 16, v70
                                        ; implicit-def: $vgpr69
	s_delay_alu instid0(VALU_DEP_1) | instskip(NEXT) | instid1(VALU_DEP_1)
	v_mul_f32_e32 v0, v132, v0
	v_and_b32_e32 v1, 0x7f800000, v0
	s_delay_alu instid0(VALU_DEP_1) | instskip(NEXT) | instid1(VALU_DEP_1)
	v_cmp_ne_u32_e64 s0, 0x7f800000, v1
	s_and_saveexec_b32 s10, s0
	s_delay_alu instid0(SALU_CYCLE_1)
	s_xor_b32 s0, exec_lo, s10
; %bb.86:                               ;   in Loop: Header=BB185_38 Depth=1
	v_bfe_u32 v1, v0, 16, 1
	s_delay_alu instid0(VALU_DEP_1)
	v_add3_u32 v69, v0, v1, 0x7fff
                                        ; implicit-def: $vgpr0
; %bb.87:                               ;   in Loop: Header=BB185_38 Depth=1
	s_and_not1_saveexec_b32 s10, s0
; %bb.88:                               ;   in Loop: Header=BB185_38 Depth=1
	v_and_b32_e32 v1, 0xffff, v0
	v_or_b32_e32 v25, 0x10000, v0
	s_delay_alu instid0(VALU_DEP_2) | instskip(NEXT) | instid1(VALU_DEP_1)
	v_cmp_eq_u32_e64 s0, 0, v1
	v_cndmask_b32_e64 v69, v25, v0, s0
; %bb.89:                               ;   in Loop: Header=BB185_38 Depth=1
	s_or_b32 exec_lo, exec_lo, s10
	v_and_b32_e32 v133, 0xffff0000, v21
	v_lshlrev_b32_e32 v0, 16, v2
                                        ; implicit-def: $vgpr70
	s_delay_alu instid0(VALU_DEP_1) | instskip(NEXT) | instid1(VALU_DEP_1)
	v_mul_f32_e32 v0, v133, v0
	v_and_b32_e32 v1, 0x7f800000, v0
	s_delay_alu instid0(VALU_DEP_1) | instskip(NEXT) | instid1(VALU_DEP_1)
	v_cmp_ne_u32_e64 s0, 0x7f800000, v1
	s_and_saveexec_b32 s10, s0
	s_delay_alu instid0(SALU_CYCLE_1)
	s_xor_b32 s0, exec_lo, s10
; %bb.90:                               ;   in Loop: Header=BB185_38 Depth=1
	v_bfe_u32 v1, v0, 16, 1
	s_delay_alu instid0(VALU_DEP_1)
	v_add3_u32 v70, v0, v1, 0x7fff
                                        ; implicit-def: $vgpr0
; %bb.91:                               ;   in Loop: Header=BB185_38 Depth=1
	s_and_not1_saveexec_b32 s10, s0
; %bb.92:                               ;   in Loop: Header=BB185_38 Depth=1
	v_and_b32_e32 v1, 0xffff, v0
	v_or_b32_e32 v2, 0x10000, v0
	s_delay_alu instid0(VALU_DEP_2) | instskip(NEXT) | instid1(VALU_DEP_1)
	v_cmp_eq_u32_e64 s0, 0, v1
	v_cndmask_b32_e64 v70, v2, v0, s0
; %bb.93:                               ;   in Loop: Header=BB185_38 Depth=1
	s_or_b32 exec_lo, exec_lo, s10
	v_and_b32_e32 v134, 0xffff0000, v12
	v_lshlrev_b32_e32 v0, 16, v71
                                        ; implicit-def: $vgpr71
	s_delay_alu instid0(VALU_DEP_1) | instskip(NEXT) | instid1(VALU_DEP_1)
	v_mul_f32_e32 v0, v134, v0
	v_and_b32_e32 v1, 0x7f800000, v0
	s_delay_alu instid0(VALU_DEP_1) | instskip(NEXT) | instid1(VALU_DEP_1)
	v_cmp_ne_u32_e64 s0, 0x7f800000, v1
	s_and_saveexec_b32 s10, s0
	s_delay_alu instid0(SALU_CYCLE_1)
	s_xor_b32 s0, exec_lo, s10
; %bb.94:                               ;   in Loop: Header=BB185_38 Depth=1
	v_bfe_u32 v1, v0, 16, 1
	s_delay_alu instid0(VALU_DEP_1)
	v_add3_u32 v71, v0, v1, 0x7fff
                                        ; implicit-def: $vgpr0
; %bb.95:                               ;   in Loop: Header=BB185_38 Depth=1
	s_and_not1_saveexec_b32 s10, s0
; %bb.96:                               ;   in Loop: Header=BB185_38 Depth=1
	v_and_b32_e32 v1, 0xffff, v0
	v_or_b32_e32 v2, 0x10000, v0
	s_delay_alu instid0(VALU_DEP_2) | instskip(NEXT) | instid1(VALU_DEP_1)
	v_cmp_eq_u32_e64 s0, 0, v1
	v_cndmask_b32_e64 v71, v2, v0, s0
; %bb.97:                               ;   in Loop: Header=BB185_38 Depth=1
	s_or_b32 exec_lo, exec_lo, s10
	v_and_b32_e32 v135, 0xffff0000, v5
	v_lshlrev_b32_e32 v0, 16, v3
                                        ; implicit-def: $vgpr80
	s_delay_alu instid0(VALU_DEP_1) | instskip(NEXT) | instid1(VALU_DEP_1)
	v_mul_f32_e32 v0, v135, v0
	v_and_b32_e32 v1, 0x7f800000, v0
	s_delay_alu instid0(VALU_DEP_1) | instskip(NEXT) | instid1(VALU_DEP_1)
	v_cmp_ne_u32_e64 s0, 0x7f800000, v1
	s_and_saveexec_b32 s10, s0
	s_delay_alu instid0(SALU_CYCLE_1)
	s_xor_b32 s0, exec_lo, s10
; %bb.98:                               ;   in Loop: Header=BB185_38 Depth=1
	v_bfe_u32 v1, v0, 16, 1
	s_delay_alu instid0(VALU_DEP_1)
	v_add3_u32 v80, v0, v1, 0x7fff
                                        ; implicit-def: $vgpr0
; %bb.99:                               ;   in Loop: Header=BB185_38 Depth=1
	s_and_not1_saveexec_b32 s10, s0
; %bb.100:                              ;   in Loop: Header=BB185_38 Depth=1
	v_and_b32_e32 v1, 0xffff, v0
	v_or_b32_e32 v2, 0x10000, v0
	s_delay_alu instid0(VALU_DEP_2) | instskip(NEXT) | instid1(VALU_DEP_1)
	v_cmp_eq_u32_e64 s0, 0, v1
	v_cndmask_b32_e64 v80, v2, v0, s0
; %bb.101:                              ;   in Loop: Header=BB185_38 Depth=1
	s_or_b32 exec_lo, exec_lo, s10
	v_and_b32_e32 v144, 0xffff0000, v4
	v_lshlrev_b32_e32 v0, 16, v81
                                        ; implicit-def: $vgpr81
	s_delay_alu instid0(VALU_DEP_1) | instskip(NEXT) | instid1(VALU_DEP_1)
	v_mul_f32_e32 v0, v144, v0
	v_and_b32_e32 v1, 0x7f800000, v0
	s_delay_alu instid0(VALU_DEP_1) | instskip(NEXT) | instid1(VALU_DEP_1)
	v_cmp_ne_u32_e64 s0, 0x7f800000, v1
	s_and_saveexec_b32 s10, s0
	s_delay_alu instid0(SALU_CYCLE_1)
	s_xor_b32 s0, exec_lo, s10
; %bb.102:                              ;   in Loop: Header=BB185_38 Depth=1
	v_bfe_u32 v1, v0, 16, 1
	s_delay_alu instid0(VALU_DEP_1)
	v_add3_u32 v81, v0, v1, 0x7fff
                                        ; implicit-def: $vgpr0
; %bb.103:                              ;   in Loop: Header=BB185_38 Depth=1
	s_and_not1_saveexec_b32 s10, s0
; %bb.104:                              ;   in Loop: Header=BB185_38 Depth=1
	v_and_b32_e32 v1, 0xffff, v0
	v_or_b32_e32 v2, 0x10000, v0
	s_delay_alu instid0(VALU_DEP_2) | instskip(NEXT) | instid1(VALU_DEP_1)
	v_cmp_eq_u32_e64 s0, 0, v1
	v_cndmask_b32_e64 v81, v2, v0, s0
; %bb.105:                              ;   in Loop: Header=BB185_38 Depth=1
	s_or_b32 exec_lo, exec_lo, s10
	flat_load_b128 v[0:3], v[6:7] offset:512
	s_waitcnt vmcnt(0) lgkmcnt(0)
	v_lshrrev_b32_e32 v21, 16, v0
	v_lshrrev_b32_e32 v12, 16, v1
	;; [unrolled: 1-line block ×4, first 2 shown]
	s_and_saveexec_b32 s10, vcc_lo
	s_cbranch_execz .LBB185_107
; %bb.106:                              ;   in Loop: Header=BB185_38 Depth=1
	v_cmp_lt_i32_e64 s0, v101, v86
	s_delay_alu instid0(VALU_DEP_1) | instskip(SKIP_1) | instid1(VALU_DEP_1)
	v_cndmask_b32_e64 v0, 0, v0, s0
	v_cmp_lt_i32_e64 s0, v116, v86
	v_cndmask_b32_e64 v21, 0, v21, s0
	v_cmp_lt_i32_e64 s0, v115, v86
	s_delay_alu instid0(VALU_DEP_1) | instskip(SKIP_1) | instid1(VALU_DEP_1)
	v_cndmask_b32_e64 v1, 0, v1, s0
	v_cmp_lt_i32_e64 s0, v113, v86
	v_cndmask_b32_e64 v12, 0, v12, s0
	;; [unrolled: 5-line block ×4, first 2 shown]
.LBB185_107:                            ;   in Loop: Header=BB185_38 Depth=1
	s_or_b32 exec_lo, exec_lo, s10
	v_lshlrev_b32_e32 v0, 16, v0
                                        ; implicit-def: $vgpr82
	s_delay_alu instid0(VALU_DEP_1) | instskip(NEXT) | instid1(VALU_DEP_1)
	v_mul_f32_e32 v0, v128, v0
	v_and_b32_e32 v25, 0x7f800000, v0
	s_delay_alu instid0(VALU_DEP_1) | instskip(NEXT) | instid1(VALU_DEP_1)
	v_cmp_ne_u32_e64 s0, 0x7f800000, v25
	s_and_saveexec_b32 s10, s0
	s_delay_alu instid0(SALU_CYCLE_1)
	s_xor_b32 s0, exec_lo, s10
; %bb.108:                              ;   in Loop: Header=BB185_38 Depth=1
	v_bfe_u32 v25, v0, 16, 1
	s_delay_alu instid0(VALU_DEP_1)
	v_add3_u32 v82, v0, v25, 0x7fff
                                        ; implicit-def: $vgpr0
; %bb.109:                              ;   in Loop: Header=BB185_38 Depth=1
	s_and_not1_saveexec_b32 s10, s0
; %bb.110:                              ;   in Loop: Header=BB185_38 Depth=1
	v_and_b32_e32 v25, 0xffff, v0
	v_or_b32_e32 v39, 0x10000, v0
	s_delay_alu instid0(VALU_DEP_2) | instskip(NEXT) | instid1(VALU_DEP_1)
	v_cmp_eq_u32_e64 s0, 0, v25
	v_cndmask_b32_e64 v82, v39, v0, s0
; %bb.111:                              ;   in Loop: Header=BB185_38 Depth=1
	s_or_b32 exec_lo, exec_lo, s10
	v_lshlrev_b32_e32 v0, 16, v21
                                        ; implicit-def: $vgpr83
	s_delay_alu instid0(VALU_DEP_1) | instskip(NEXT) | instid1(VALU_DEP_1)
	v_mul_f32_e32 v0, v129, v0
	v_and_b32_e32 v21, 0x7f800000, v0
	s_delay_alu instid0(VALU_DEP_1) | instskip(NEXT) | instid1(VALU_DEP_1)
	v_cmp_ne_u32_e64 s0, 0x7f800000, v21
	s_and_saveexec_b32 s10, s0
	s_delay_alu instid0(SALU_CYCLE_1)
	s_xor_b32 s0, exec_lo, s10
; %bb.112:                              ;   in Loop: Header=BB185_38 Depth=1
	v_bfe_u32 v21, v0, 16, 1
	s_delay_alu instid0(VALU_DEP_1)
	v_add3_u32 v83, v0, v21, 0x7fff
                                        ; implicit-def: $vgpr0
; %bb.113:                              ;   in Loop: Header=BB185_38 Depth=1
	s_and_not1_saveexec_b32 s10, s0
; %bb.114:                              ;   in Loop: Header=BB185_38 Depth=1
	v_and_b32_e32 v21, 0xffff, v0
	v_or_b32_e32 v25, 0x10000, v0
	s_delay_alu instid0(VALU_DEP_2) | instskip(NEXT) | instid1(VALU_DEP_1)
	v_cmp_eq_u32_e64 s0, 0, v21
	v_cndmask_b32_e64 v83, v25, v0, s0
; %bb.115:                              ;   in Loop: Header=BB185_38 Depth=1
	s_or_b32 exec_lo, exec_lo, s10
	v_lshlrev_b32_e32 v0, 16, v1
                                        ; implicit-def: $vgpr84
	s_delay_alu instid0(VALU_DEP_1) | instskip(NEXT) | instid1(VALU_DEP_1)
	v_mul_f32_e32 v0, v131, v0
	v_and_b32_e32 v1, 0x7f800000, v0
	s_delay_alu instid0(VALU_DEP_1) | instskip(NEXT) | instid1(VALU_DEP_1)
	v_cmp_ne_u32_e64 s0, 0x7f800000, v1
	s_and_saveexec_b32 s10, s0
	s_delay_alu instid0(SALU_CYCLE_1)
	s_xor_b32 s0, exec_lo, s10
; %bb.116:                              ;   in Loop: Header=BB185_38 Depth=1
	v_bfe_u32 v1, v0, 16, 1
	s_delay_alu instid0(VALU_DEP_1)
	v_add3_u32 v84, v0, v1, 0x7fff
                                        ; implicit-def: $vgpr0
; %bb.117:                              ;   in Loop: Header=BB185_38 Depth=1
	s_and_not1_saveexec_b32 s10, s0
; %bb.118:                              ;   in Loop: Header=BB185_38 Depth=1
	v_and_b32_e32 v1, 0xffff, v0
	v_or_b32_e32 v21, 0x10000, v0
	s_delay_alu instid0(VALU_DEP_2) | instskip(NEXT) | instid1(VALU_DEP_1)
	v_cmp_eq_u32_e64 s0, 0, v1
	v_cndmask_b32_e64 v84, v21, v0, s0
; %bb.119:                              ;   in Loop: Header=BB185_38 Depth=1
	s_or_b32 exec_lo, exec_lo, s10
	v_lshlrev_b32_e32 v0, 16, v12
                                        ; implicit-def: $vgpr85
	s_delay_alu instid0(VALU_DEP_1) | instskip(NEXT) | instid1(VALU_DEP_1)
	v_mul_f32_e32 v0, v132, v0
	v_and_b32_e32 v1, 0x7f800000, v0
	s_delay_alu instid0(VALU_DEP_1) | instskip(NEXT) | instid1(VALU_DEP_1)
	v_cmp_ne_u32_e64 s0, 0x7f800000, v1
	s_and_saveexec_b32 s10, s0
	s_delay_alu instid0(SALU_CYCLE_1)
	s_xor_b32 s0, exec_lo, s10
; %bb.120:                              ;   in Loop: Header=BB185_38 Depth=1
	v_bfe_u32 v1, v0, 16, 1
	s_delay_alu instid0(VALU_DEP_1)
	v_add3_u32 v85, v0, v1, 0x7fff
                                        ; implicit-def: $vgpr0
; %bb.121:                              ;   in Loop: Header=BB185_38 Depth=1
	s_and_not1_saveexec_b32 s10, s0
; %bb.122:                              ;   in Loop: Header=BB185_38 Depth=1
	v_and_b32_e32 v1, 0xffff, v0
	v_or_b32_e32 v12, 0x10000, v0
	s_delay_alu instid0(VALU_DEP_2) | instskip(NEXT) | instid1(VALU_DEP_1)
	v_cmp_eq_u32_e64 s0, 0, v1
	v_cndmask_b32_e64 v85, v12, v0, s0
; %bb.123:                              ;   in Loop: Header=BB185_38 Depth=1
	s_or_b32 exec_lo, exec_lo, s10
	v_lshlrev_b32_e32 v0, 16, v2
                                        ; implicit-def: $vgpr100
	s_delay_alu instid0(VALU_DEP_1) | instskip(NEXT) | instid1(VALU_DEP_1)
	v_mul_f32_e32 v0, v133, v0
	v_and_b32_e32 v1, 0x7f800000, v0
	s_delay_alu instid0(VALU_DEP_1) | instskip(NEXT) | instid1(VALU_DEP_1)
	v_cmp_ne_u32_e64 s0, 0x7f800000, v1
	s_and_saveexec_b32 s10, s0
	s_delay_alu instid0(SALU_CYCLE_1)
	s_xor_b32 s0, exec_lo, s10
; %bb.124:                              ;   in Loop: Header=BB185_38 Depth=1
	v_bfe_u32 v1, v0, 16, 1
	s_delay_alu instid0(VALU_DEP_1)
	v_add3_u32 v100, v0, v1, 0x7fff
                                        ; implicit-def: $vgpr0
; %bb.125:                              ;   in Loop: Header=BB185_38 Depth=1
	s_and_not1_saveexec_b32 s10, s0
; %bb.126:                              ;   in Loop: Header=BB185_38 Depth=1
	v_and_b32_e32 v1, 0xffff, v0
	v_or_b32_e32 v2, 0x10000, v0
	s_delay_alu instid0(VALU_DEP_2) | instskip(NEXT) | instid1(VALU_DEP_1)
	v_cmp_eq_u32_e64 s0, 0, v1
	v_cndmask_b32_e64 v100, v2, v0, s0
; %bb.127:                              ;   in Loop: Header=BB185_38 Depth=1
	s_or_b32 exec_lo, exec_lo, s10
	v_lshlrev_b32_e32 v0, 16, v5
                                        ; implicit-def: $vgpr117
	s_delay_alu instid0(VALU_DEP_1) | instskip(NEXT) | instid1(VALU_DEP_1)
	v_mul_f32_e32 v0, v134, v0
	v_and_b32_e32 v1, 0x7f800000, v0
	s_delay_alu instid0(VALU_DEP_1) | instskip(NEXT) | instid1(VALU_DEP_1)
	v_cmp_ne_u32_e64 s0, 0x7f800000, v1
	s_and_saveexec_b32 s10, s0
	s_delay_alu instid0(SALU_CYCLE_1)
	s_xor_b32 s0, exec_lo, s10
; %bb.128:                              ;   in Loop: Header=BB185_38 Depth=1
	v_bfe_u32 v1, v0, 16, 1
	s_delay_alu instid0(VALU_DEP_1)
	v_add3_u32 v117, v0, v1, 0x7fff
                                        ; implicit-def: $vgpr0
; %bb.129:                              ;   in Loop: Header=BB185_38 Depth=1
	s_and_not1_saveexec_b32 s10, s0
; %bb.130:                              ;   in Loop: Header=BB185_38 Depth=1
	v_and_b32_e32 v1, 0xffff, v0
	v_or_b32_e32 v2, 0x10000, v0
	s_delay_alu instid0(VALU_DEP_2) | instskip(NEXT) | instid1(VALU_DEP_1)
	v_cmp_eq_u32_e64 s0, 0, v1
	v_cndmask_b32_e64 v117, v2, v0, s0
; %bb.131:                              ;   in Loop: Header=BB185_38 Depth=1
	s_or_b32 exec_lo, exec_lo, s10
	v_lshlrev_b32_e32 v0, 16, v3
                                        ; implicit-def: $vgpr130
	s_delay_alu instid0(VALU_DEP_1) | instskip(NEXT) | instid1(VALU_DEP_1)
	v_mul_f32_e32 v0, v135, v0
	v_and_b32_e32 v1, 0x7f800000, v0
	s_delay_alu instid0(VALU_DEP_1) | instskip(NEXT) | instid1(VALU_DEP_1)
	v_cmp_ne_u32_e64 s0, 0x7f800000, v1
	s_and_saveexec_b32 s10, s0
	s_delay_alu instid0(SALU_CYCLE_1)
	s_xor_b32 s0, exec_lo, s10
; %bb.132:                              ;   in Loop: Header=BB185_38 Depth=1
	v_bfe_u32 v1, v0, 16, 1
	s_delay_alu instid0(VALU_DEP_1)
	v_add3_u32 v130, v0, v1, 0x7fff
                                        ; implicit-def: $vgpr0
; %bb.133:                              ;   in Loop: Header=BB185_38 Depth=1
	s_and_not1_saveexec_b32 s10, s0
; %bb.134:                              ;   in Loop: Header=BB185_38 Depth=1
	v_and_b32_e32 v1, 0xffff, v0
	v_or_b32_e32 v2, 0x10000, v0
	s_delay_alu instid0(VALU_DEP_2) | instskip(NEXT) | instid1(VALU_DEP_1)
	v_cmp_eq_u32_e64 s0, 0, v1
	v_cndmask_b32_e64 v130, v2, v0, s0
; %bb.135:                              ;   in Loop: Header=BB185_38 Depth=1
	s_or_b32 exec_lo, exec_lo, s10
	v_lshlrev_b32_e32 v0, 16, v4
                                        ; implicit-def: $vgpr145
	s_delay_alu instid0(VALU_DEP_1) | instskip(NEXT) | instid1(VALU_DEP_1)
	v_mul_f32_e32 v0, v144, v0
	v_and_b32_e32 v1, 0x7f800000, v0
	s_delay_alu instid0(VALU_DEP_1) | instskip(NEXT) | instid1(VALU_DEP_1)
	v_cmp_ne_u32_e64 s0, 0x7f800000, v1
	s_and_saveexec_b32 s10, s0
	s_delay_alu instid0(SALU_CYCLE_1)
	s_xor_b32 s0, exec_lo, s10
; %bb.136:                              ;   in Loop: Header=BB185_38 Depth=1
	v_bfe_u32 v1, v0, 16, 1
	s_delay_alu instid0(VALU_DEP_1)
	v_add3_u32 v145, v0, v1, 0x7fff
                                        ; implicit-def: $vgpr0
; %bb.137:                              ;   in Loop: Header=BB185_38 Depth=1
	s_and_not1_saveexec_b32 s10, s0
; %bb.138:                              ;   in Loop: Header=BB185_38 Depth=1
	v_and_b32_e32 v1, 0xffff, v0
	v_or_b32_e32 v2, 0x10000, v0
	s_delay_alu instid0(VALU_DEP_2) | instskip(NEXT) | instid1(VALU_DEP_1)
	v_cmp_eq_u32_e64 s0, 0, v1
	v_cndmask_b32_e64 v145, v2, v0, s0
; %bb.139:                              ;   in Loop: Header=BB185_38 Depth=1
	s_or_b32 exec_lo, exec_lo, s10
	flat_load_b128 v[0:3], v[6:7] offset:1024
	s_waitcnt vmcnt(0) lgkmcnt(0)
	v_lshrrev_b32_e32 v21, 16, v0
	v_lshrrev_b32_e32 v12, 16, v1
	;; [unrolled: 1-line block ×4, first 2 shown]
	s_and_saveexec_b32 s10, vcc_lo
	s_cbranch_execz .LBB185_141
; %bb.140:                              ;   in Loop: Header=BB185_38 Depth=1
	v_cmp_lt_i32_e64 s0, v101, v86
	s_delay_alu instid0(VALU_DEP_1) | instskip(SKIP_1) | instid1(VALU_DEP_1)
	v_cndmask_b32_e64 v0, 0, v0, s0
	v_cmp_lt_i32_e64 s0, v116, v86
	v_cndmask_b32_e64 v21, 0, v21, s0
	v_cmp_lt_i32_e64 s0, v115, v86
	s_delay_alu instid0(VALU_DEP_1) | instskip(SKIP_1) | instid1(VALU_DEP_1)
	v_cndmask_b32_e64 v1, 0, v1, s0
	v_cmp_lt_i32_e64 s0, v113, v86
	v_cndmask_b32_e64 v12, 0, v12, s0
	;; [unrolled: 5-line block ×4, first 2 shown]
.LBB185_141:                            ;   in Loop: Header=BB185_38 Depth=1
	s_or_b32 exec_lo, exec_lo, s10
	v_lshlrev_b32_e32 v0, 16, v0
                                        ; implicit-def: $vgpr146
	s_delay_alu instid0(VALU_DEP_1) | instskip(NEXT) | instid1(VALU_DEP_1)
	v_mul_f32_e32 v0, v128, v0
	v_and_b32_e32 v25, 0x7f800000, v0
	s_delay_alu instid0(VALU_DEP_1) | instskip(NEXT) | instid1(VALU_DEP_1)
	v_cmp_ne_u32_e64 s0, 0x7f800000, v25
	s_and_saveexec_b32 s10, s0
	s_delay_alu instid0(SALU_CYCLE_1)
	s_xor_b32 s0, exec_lo, s10
; %bb.142:                              ;   in Loop: Header=BB185_38 Depth=1
	v_bfe_u32 v25, v0, 16, 1
	s_delay_alu instid0(VALU_DEP_1)
	v_add3_u32 v146, v0, v25, 0x7fff
                                        ; implicit-def: $vgpr0
; %bb.143:                              ;   in Loop: Header=BB185_38 Depth=1
	s_and_not1_saveexec_b32 s10, s0
; %bb.144:                              ;   in Loop: Header=BB185_38 Depth=1
	v_and_b32_e32 v25, 0xffff, v0
	v_or_b32_e32 v39, 0x10000, v0
	s_delay_alu instid0(VALU_DEP_2) | instskip(NEXT) | instid1(VALU_DEP_1)
	v_cmp_eq_u32_e64 s0, 0, v25
	v_cndmask_b32_e64 v146, v39, v0, s0
; %bb.145:                              ;   in Loop: Header=BB185_38 Depth=1
	s_or_b32 exec_lo, exec_lo, s10
	v_lshlrev_b32_e32 v0, 16, v21
                                        ; implicit-def: $vgpr147
	s_delay_alu instid0(VALU_DEP_1) | instskip(NEXT) | instid1(VALU_DEP_1)
	v_mul_f32_e32 v0, v129, v0
	v_and_b32_e32 v21, 0x7f800000, v0
	s_delay_alu instid0(VALU_DEP_1) | instskip(NEXT) | instid1(VALU_DEP_1)
	v_cmp_ne_u32_e64 s0, 0x7f800000, v21
	s_and_saveexec_b32 s10, s0
	s_delay_alu instid0(SALU_CYCLE_1)
	s_xor_b32 s0, exec_lo, s10
; %bb.146:                              ;   in Loop: Header=BB185_38 Depth=1
	v_bfe_u32 v21, v0, 16, 1
	s_delay_alu instid0(VALU_DEP_1)
	v_add3_u32 v147, v0, v21, 0x7fff
                                        ; implicit-def: $vgpr0
; %bb.147:                              ;   in Loop: Header=BB185_38 Depth=1
	s_and_not1_saveexec_b32 s10, s0
; %bb.148:                              ;   in Loop: Header=BB185_38 Depth=1
	v_and_b32_e32 v21, 0xffff, v0
	v_or_b32_e32 v25, 0x10000, v0
	s_delay_alu instid0(VALU_DEP_2) | instskip(NEXT) | instid1(VALU_DEP_1)
	v_cmp_eq_u32_e64 s0, 0, v21
	v_cndmask_b32_e64 v147, v25, v0, s0
; %bb.149:                              ;   in Loop: Header=BB185_38 Depth=1
	s_or_b32 exec_lo, exec_lo, s10
	v_lshlrev_b32_e32 v0, 16, v1
                                        ; implicit-def: $vgpr148
	s_delay_alu instid0(VALU_DEP_1) | instskip(NEXT) | instid1(VALU_DEP_1)
	v_mul_f32_e32 v0, v131, v0
	v_and_b32_e32 v1, 0x7f800000, v0
	s_delay_alu instid0(VALU_DEP_1) | instskip(NEXT) | instid1(VALU_DEP_1)
	v_cmp_ne_u32_e64 s0, 0x7f800000, v1
	s_and_saveexec_b32 s10, s0
	s_delay_alu instid0(SALU_CYCLE_1)
	s_xor_b32 s0, exec_lo, s10
; %bb.150:                              ;   in Loop: Header=BB185_38 Depth=1
	v_bfe_u32 v1, v0, 16, 1
	s_delay_alu instid0(VALU_DEP_1)
	v_add3_u32 v148, v0, v1, 0x7fff
                                        ; implicit-def: $vgpr0
; %bb.151:                              ;   in Loop: Header=BB185_38 Depth=1
	s_and_not1_saveexec_b32 s10, s0
; %bb.152:                              ;   in Loop: Header=BB185_38 Depth=1
	v_and_b32_e32 v1, 0xffff, v0
	v_or_b32_e32 v21, 0x10000, v0
	s_delay_alu instid0(VALU_DEP_2) | instskip(NEXT) | instid1(VALU_DEP_1)
	v_cmp_eq_u32_e64 s0, 0, v1
	v_cndmask_b32_e64 v148, v21, v0, s0
; %bb.153:                              ;   in Loop: Header=BB185_38 Depth=1
	s_or_b32 exec_lo, exec_lo, s10
	v_lshlrev_b32_e32 v0, 16, v12
                                        ; implicit-def: $vgpr149
	s_delay_alu instid0(VALU_DEP_1) | instskip(NEXT) | instid1(VALU_DEP_1)
	v_mul_f32_e32 v0, v132, v0
	v_and_b32_e32 v1, 0x7f800000, v0
	s_delay_alu instid0(VALU_DEP_1) | instskip(NEXT) | instid1(VALU_DEP_1)
	v_cmp_ne_u32_e64 s0, 0x7f800000, v1
	s_and_saveexec_b32 s10, s0
	s_delay_alu instid0(SALU_CYCLE_1)
	s_xor_b32 s0, exec_lo, s10
; %bb.154:                              ;   in Loop: Header=BB185_38 Depth=1
	v_bfe_u32 v1, v0, 16, 1
	s_delay_alu instid0(VALU_DEP_1)
	v_add3_u32 v149, v0, v1, 0x7fff
                                        ; implicit-def: $vgpr0
; %bb.155:                              ;   in Loop: Header=BB185_38 Depth=1
	s_and_not1_saveexec_b32 s10, s0
; %bb.156:                              ;   in Loop: Header=BB185_38 Depth=1
	v_and_b32_e32 v1, 0xffff, v0
	v_or_b32_e32 v12, 0x10000, v0
	s_delay_alu instid0(VALU_DEP_2) | instskip(NEXT) | instid1(VALU_DEP_1)
	v_cmp_eq_u32_e64 s0, 0, v1
	v_cndmask_b32_e64 v149, v12, v0, s0
; %bb.157:                              ;   in Loop: Header=BB185_38 Depth=1
	s_or_b32 exec_lo, exec_lo, s10
	v_lshlrev_b32_e32 v0, 16, v2
                                        ; implicit-def: $vgpr150
	s_delay_alu instid0(VALU_DEP_1) | instskip(NEXT) | instid1(VALU_DEP_1)
	v_mul_f32_e32 v0, v133, v0
	v_and_b32_e32 v1, 0x7f800000, v0
	s_delay_alu instid0(VALU_DEP_1) | instskip(NEXT) | instid1(VALU_DEP_1)
	v_cmp_ne_u32_e64 s0, 0x7f800000, v1
	s_and_saveexec_b32 s10, s0
	s_delay_alu instid0(SALU_CYCLE_1)
	s_xor_b32 s0, exec_lo, s10
; %bb.158:                              ;   in Loop: Header=BB185_38 Depth=1
	v_bfe_u32 v1, v0, 16, 1
	s_delay_alu instid0(VALU_DEP_1)
	v_add3_u32 v150, v0, v1, 0x7fff
                                        ; implicit-def: $vgpr0
; %bb.159:                              ;   in Loop: Header=BB185_38 Depth=1
	s_and_not1_saveexec_b32 s10, s0
; %bb.160:                              ;   in Loop: Header=BB185_38 Depth=1
	v_and_b32_e32 v1, 0xffff, v0
	v_or_b32_e32 v2, 0x10000, v0
	s_delay_alu instid0(VALU_DEP_2) | instskip(NEXT) | instid1(VALU_DEP_1)
	v_cmp_eq_u32_e64 s0, 0, v1
	v_cndmask_b32_e64 v150, v2, v0, s0
; %bb.161:                              ;   in Loop: Header=BB185_38 Depth=1
	s_or_b32 exec_lo, exec_lo, s10
	v_lshlrev_b32_e32 v0, 16, v5
                                        ; implicit-def: $vgpr151
	s_delay_alu instid0(VALU_DEP_1) | instskip(NEXT) | instid1(VALU_DEP_1)
	v_mul_f32_e32 v0, v134, v0
	v_and_b32_e32 v1, 0x7f800000, v0
	s_delay_alu instid0(VALU_DEP_1) | instskip(NEXT) | instid1(VALU_DEP_1)
	v_cmp_ne_u32_e64 s0, 0x7f800000, v1
	s_and_saveexec_b32 s10, s0
	s_delay_alu instid0(SALU_CYCLE_1)
	s_xor_b32 s0, exec_lo, s10
; %bb.162:                              ;   in Loop: Header=BB185_38 Depth=1
	v_bfe_u32 v1, v0, 16, 1
	s_delay_alu instid0(VALU_DEP_1)
	v_add3_u32 v151, v0, v1, 0x7fff
                                        ; implicit-def: $vgpr0
; %bb.163:                              ;   in Loop: Header=BB185_38 Depth=1
	s_and_not1_saveexec_b32 s10, s0
; %bb.164:                              ;   in Loop: Header=BB185_38 Depth=1
	v_and_b32_e32 v1, 0xffff, v0
	v_or_b32_e32 v2, 0x10000, v0
	s_delay_alu instid0(VALU_DEP_2) | instskip(NEXT) | instid1(VALU_DEP_1)
	v_cmp_eq_u32_e64 s0, 0, v1
	v_cndmask_b32_e64 v151, v2, v0, s0
; %bb.165:                              ;   in Loop: Header=BB185_38 Depth=1
	s_or_b32 exec_lo, exec_lo, s10
	v_lshlrev_b32_e32 v0, 16, v3
                                        ; implicit-def: $vgpr160
	s_delay_alu instid0(VALU_DEP_1) | instskip(NEXT) | instid1(VALU_DEP_1)
	v_mul_f32_e32 v0, v135, v0
	v_and_b32_e32 v1, 0x7f800000, v0
	s_delay_alu instid0(VALU_DEP_1) | instskip(NEXT) | instid1(VALU_DEP_1)
	v_cmp_ne_u32_e64 s0, 0x7f800000, v1
	s_and_saveexec_b32 s10, s0
	s_delay_alu instid0(SALU_CYCLE_1)
	s_xor_b32 s0, exec_lo, s10
; %bb.166:                              ;   in Loop: Header=BB185_38 Depth=1
	v_bfe_u32 v1, v0, 16, 1
	s_delay_alu instid0(VALU_DEP_1)
	v_add3_u32 v160, v0, v1, 0x7fff
                                        ; implicit-def: $vgpr0
; %bb.167:                              ;   in Loop: Header=BB185_38 Depth=1
	s_and_not1_saveexec_b32 s10, s0
; %bb.168:                              ;   in Loop: Header=BB185_38 Depth=1
	v_and_b32_e32 v1, 0xffff, v0
	v_or_b32_e32 v2, 0x10000, v0
	s_delay_alu instid0(VALU_DEP_2) | instskip(NEXT) | instid1(VALU_DEP_1)
	v_cmp_eq_u32_e64 s0, 0, v1
	v_cndmask_b32_e64 v160, v2, v0, s0
; %bb.169:                              ;   in Loop: Header=BB185_38 Depth=1
	s_or_b32 exec_lo, exec_lo, s10
	v_lshlrev_b32_e32 v0, 16, v4
                                        ; implicit-def: $vgpr161
	s_delay_alu instid0(VALU_DEP_1) | instskip(NEXT) | instid1(VALU_DEP_1)
	v_mul_f32_e32 v0, v144, v0
	v_and_b32_e32 v1, 0x7f800000, v0
	s_delay_alu instid0(VALU_DEP_1) | instskip(NEXT) | instid1(VALU_DEP_1)
	v_cmp_ne_u32_e64 s0, 0x7f800000, v1
	s_and_saveexec_b32 s10, s0
	s_delay_alu instid0(SALU_CYCLE_1)
	s_xor_b32 s0, exec_lo, s10
; %bb.170:                              ;   in Loop: Header=BB185_38 Depth=1
	v_bfe_u32 v1, v0, 16, 1
	s_delay_alu instid0(VALU_DEP_1)
	v_add3_u32 v161, v0, v1, 0x7fff
                                        ; implicit-def: $vgpr0
; %bb.171:                              ;   in Loop: Header=BB185_38 Depth=1
	s_and_not1_saveexec_b32 s10, s0
; %bb.172:                              ;   in Loop: Header=BB185_38 Depth=1
	v_and_b32_e32 v1, 0xffff, v0
	v_or_b32_e32 v2, 0x10000, v0
	s_delay_alu instid0(VALU_DEP_2) | instskip(NEXT) | instid1(VALU_DEP_1)
	v_cmp_eq_u32_e64 s0, 0, v1
	v_cndmask_b32_e64 v161, v2, v0, s0
; %bb.173:                              ;   in Loop: Header=BB185_38 Depth=1
	s_or_b32 exec_lo, exec_lo, s10
	flat_load_b128 v[0:3], v[6:7] offset:1536
	s_waitcnt vmcnt(0) lgkmcnt(0)
	v_lshrrev_b32_e32 v21, 16, v0
	v_lshrrev_b32_e32 v12, 16, v1
	;; [unrolled: 1-line block ×4, first 2 shown]
	s_and_saveexec_b32 s10, vcc_lo
	s_cbranch_execz .LBB185_175
; %bb.174:                              ;   in Loop: Header=BB185_38 Depth=1
	v_cmp_lt_i32_e64 s0, v101, v86
	s_delay_alu instid0(VALU_DEP_1) | instskip(SKIP_1) | instid1(VALU_DEP_1)
	v_cndmask_b32_e64 v0, 0, v0, s0
	v_cmp_lt_i32_e64 s0, v116, v86
	v_cndmask_b32_e64 v21, 0, v21, s0
	v_cmp_lt_i32_e64 s0, v115, v86
	s_delay_alu instid0(VALU_DEP_1) | instskip(SKIP_1) | instid1(VALU_DEP_1)
	v_cndmask_b32_e64 v1, 0, v1, s0
	v_cmp_lt_i32_e64 s0, v113, v86
	v_cndmask_b32_e64 v12, 0, v12, s0
	;; [unrolled: 5-line block ×4, first 2 shown]
.LBB185_175:                            ;   in Loop: Header=BB185_38 Depth=1
	s_or_b32 exec_lo, exec_lo, s10
	v_lshlrev_b32_e32 v0, 16, v0
                                        ; implicit-def: $vgpr162
	s_delay_alu instid0(VALU_DEP_1) | instskip(NEXT) | instid1(VALU_DEP_1)
	v_mul_f32_e32 v0, v128, v0
	v_and_b32_e32 v25, 0x7f800000, v0
	s_delay_alu instid0(VALU_DEP_1) | instskip(NEXT) | instid1(VALU_DEP_1)
	v_cmp_ne_u32_e64 s0, 0x7f800000, v25
	s_and_saveexec_b32 s10, s0
	s_delay_alu instid0(SALU_CYCLE_1)
	s_xor_b32 s0, exec_lo, s10
; %bb.176:                              ;   in Loop: Header=BB185_38 Depth=1
	v_bfe_u32 v25, v0, 16, 1
	s_delay_alu instid0(VALU_DEP_1)
	v_add3_u32 v162, v0, v25, 0x7fff
                                        ; implicit-def: $vgpr0
; %bb.177:                              ;   in Loop: Header=BB185_38 Depth=1
	s_and_not1_saveexec_b32 s10, s0
; %bb.178:                              ;   in Loop: Header=BB185_38 Depth=1
	v_and_b32_e32 v25, 0xffff, v0
	v_or_b32_e32 v39, 0x10000, v0
	s_delay_alu instid0(VALU_DEP_2) | instskip(NEXT) | instid1(VALU_DEP_1)
	v_cmp_eq_u32_e64 s0, 0, v25
	v_cndmask_b32_e64 v162, v39, v0, s0
; %bb.179:                              ;   in Loop: Header=BB185_38 Depth=1
	s_or_b32 exec_lo, exec_lo, s10
	v_lshlrev_b32_e32 v0, 16, v21
                                        ; implicit-def: $vgpr163
	s_delay_alu instid0(VALU_DEP_1) | instskip(NEXT) | instid1(VALU_DEP_1)
	v_mul_f32_e32 v0, v129, v0
	v_and_b32_e32 v21, 0x7f800000, v0
	s_delay_alu instid0(VALU_DEP_1) | instskip(NEXT) | instid1(VALU_DEP_1)
	v_cmp_ne_u32_e64 s0, 0x7f800000, v21
	s_and_saveexec_b32 s10, s0
	s_delay_alu instid0(SALU_CYCLE_1)
	s_xor_b32 s0, exec_lo, s10
; %bb.180:                              ;   in Loop: Header=BB185_38 Depth=1
	v_bfe_u32 v21, v0, 16, 1
	s_delay_alu instid0(VALU_DEP_1)
	v_add3_u32 v163, v0, v21, 0x7fff
                                        ; implicit-def: $vgpr0
; %bb.181:                              ;   in Loop: Header=BB185_38 Depth=1
	s_and_not1_saveexec_b32 s10, s0
; %bb.182:                              ;   in Loop: Header=BB185_38 Depth=1
	v_and_b32_e32 v21, 0xffff, v0
	v_or_b32_e32 v25, 0x10000, v0
	s_delay_alu instid0(VALU_DEP_2) | instskip(NEXT) | instid1(VALU_DEP_1)
	v_cmp_eq_u32_e64 s0, 0, v21
	v_cndmask_b32_e64 v163, v25, v0, s0
; %bb.183:                              ;   in Loop: Header=BB185_38 Depth=1
	s_or_b32 exec_lo, exec_lo, s10
	v_lshlrev_b32_e32 v0, 16, v1
                                        ; implicit-def: $vgpr164
	s_delay_alu instid0(VALU_DEP_1) | instskip(NEXT) | instid1(VALU_DEP_1)
	v_mul_f32_e32 v0, v131, v0
	v_and_b32_e32 v1, 0x7f800000, v0
	s_delay_alu instid0(VALU_DEP_1) | instskip(NEXT) | instid1(VALU_DEP_1)
	v_cmp_ne_u32_e64 s0, 0x7f800000, v1
	s_and_saveexec_b32 s10, s0
	s_delay_alu instid0(SALU_CYCLE_1)
	s_xor_b32 s0, exec_lo, s10
; %bb.184:                              ;   in Loop: Header=BB185_38 Depth=1
	v_bfe_u32 v1, v0, 16, 1
	s_delay_alu instid0(VALU_DEP_1)
	v_add3_u32 v164, v0, v1, 0x7fff
                                        ; implicit-def: $vgpr0
; %bb.185:                              ;   in Loop: Header=BB185_38 Depth=1
	s_and_not1_saveexec_b32 s10, s0
; %bb.186:                              ;   in Loop: Header=BB185_38 Depth=1
	v_and_b32_e32 v1, 0xffff, v0
	v_or_b32_e32 v21, 0x10000, v0
	s_delay_alu instid0(VALU_DEP_2) | instskip(NEXT) | instid1(VALU_DEP_1)
	v_cmp_eq_u32_e64 s0, 0, v1
	v_cndmask_b32_e64 v164, v21, v0, s0
; %bb.187:                              ;   in Loop: Header=BB185_38 Depth=1
	s_or_b32 exec_lo, exec_lo, s10
	v_lshlrev_b32_e32 v0, 16, v12
                                        ; implicit-def: $vgpr165
	s_delay_alu instid0(VALU_DEP_1) | instskip(NEXT) | instid1(VALU_DEP_1)
	v_mul_f32_e32 v0, v132, v0
	v_and_b32_e32 v1, 0x7f800000, v0
	s_delay_alu instid0(VALU_DEP_1) | instskip(NEXT) | instid1(VALU_DEP_1)
	v_cmp_ne_u32_e64 s0, 0x7f800000, v1
	s_and_saveexec_b32 s10, s0
	s_delay_alu instid0(SALU_CYCLE_1)
	s_xor_b32 s0, exec_lo, s10
; %bb.188:                              ;   in Loop: Header=BB185_38 Depth=1
	v_bfe_u32 v1, v0, 16, 1
	s_delay_alu instid0(VALU_DEP_1)
	v_add3_u32 v165, v0, v1, 0x7fff
                                        ; implicit-def: $vgpr0
; %bb.189:                              ;   in Loop: Header=BB185_38 Depth=1
	s_and_not1_saveexec_b32 s10, s0
; %bb.190:                              ;   in Loop: Header=BB185_38 Depth=1
	v_and_b32_e32 v1, 0xffff, v0
	v_or_b32_e32 v12, 0x10000, v0
	s_delay_alu instid0(VALU_DEP_2) | instskip(NEXT) | instid1(VALU_DEP_1)
	v_cmp_eq_u32_e64 s0, 0, v1
	v_cndmask_b32_e64 v165, v12, v0, s0
; %bb.191:                              ;   in Loop: Header=BB185_38 Depth=1
	s_or_b32 exec_lo, exec_lo, s10
	v_lshlrev_b32_e32 v0, 16, v2
                                        ; implicit-def: $vgpr166
	s_delay_alu instid0(VALU_DEP_1) | instskip(NEXT) | instid1(VALU_DEP_1)
	v_mul_f32_e32 v0, v133, v0
	v_and_b32_e32 v1, 0x7f800000, v0
	s_delay_alu instid0(VALU_DEP_1) | instskip(NEXT) | instid1(VALU_DEP_1)
	v_cmp_ne_u32_e64 s0, 0x7f800000, v1
	s_and_saveexec_b32 s10, s0
	s_delay_alu instid0(SALU_CYCLE_1)
	s_xor_b32 s0, exec_lo, s10
; %bb.192:                              ;   in Loop: Header=BB185_38 Depth=1
	v_bfe_u32 v1, v0, 16, 1
	s_delay_alu instid0(VALU_DEP_1)
	v_add3_u32 v166, v0, v1, 0x7fff
                                        ; implicit-def: $vgpr0
; %bb.193:                              ;   in Loop: Header=BB185_38 Depth=1
	s_and_not1_saveexec_b32 s10, s0
; %bb.194:                              ;   in Loop: Header=BB185_38 Depth=1
	v_and_b32_e32 v1, 0xffff, v0
	v_or_b32_e32 v2, 0x10000, v0
	s_delay_alu instid0(VALU_DEP_2) | instskip(NEXT) | instid1(VALU_DEP_1)
	v_cmp_eq_u32_e64 s0, 0, v1
	v_cndmask_b32_e64 v166, v2, v0, s0
; %bb.195:                              ;   in Loop: Header=BB185_38 Depth=1
	s_or_b32 exec_lo, exec_lo, s10
	v_lshlrev_b32_e32 v0, 16, v5
                                        ; implicit-def: $vgpr167
	s_delay_alu instid0(VALU_DEP_1) | instskip(NEXT) | instid1(VALU_DEP_1)
	v_mul_f32_e32 v0, v134, v0
	v_and_b32_e32 v1, 0x7f800000, v0
	s_delay_alu instid0(VALU_DEP_1) | instskip(NEXT) | instid1(VALU_DEP_1)
	v_cmp_ne_u32_e64 s0, 0x7f800000, v1
	s_and_saveexec_b32 s10, s0
	s_delay_alu instid0(SALU_CYCLE_1)
	s_xor_b32 s0, exec_lo, s10
; %bb.196:                              ;   in Loop: Header=BB185_38 Depth=1
	v_bfe_u32 v1, v0, 16, 1
	s_delay_alu instid0(VALU_DEP_1)
	v_add3_u32 v167, v0, v1, 0x7fff
                                        ; implicit-def: $vgpr0
; %bb.197:                              ;   in Loop: Header=BB185_38 Depth=1
	s_and_not1_saveexec_b32 s10, s0
; %bb.198:                              ;   in Loop: Header=BB185_38 Depth=1
	v_and_b32_e32 v1, 0xffff, v0
	v_or_b32_e32 v2, 0x10000, v0
	s_delay_alu instid0(VALU_DEP_2) | instskip(NEXT) | instid1(VALU_DEP_1)
	v_cmp_eq_u32_e64 s0, 0, v1
	v_cndmask_b32_e64 v167, v2, v0, s0
; %bb.199:                              ;   in Loop: Header=BB185_38 Depth=1
	s_or_b32 exec_lo, exec_lo, s10
	v_lshlrev_b32_e32 v0, 16, v3
                                        ; implicit-def: $vgpr176
	s_delay_alu instid0(VALU_DEP_1) | instskip(NEXT) | instid1(VALU_DEP_1)
	v_mul_f32_e32 v0, v135, v0
	v_and_b32_e32 v1, 0x7f800000, v0
	s_delay_alu instid0(VALU_DEP_1) | instskip(NEXT) | instid1(VALU_DEP_1)
	v_cmp_ne_u32_e64 s0, 0x7f800000, v1
	s_and_saveexec_b32 s10, s0
	s_delay_alu instid0(SALU_CYCLE_1)
	s_xor_b32 s0, exec_lo, s10
; %bb.200:                              ;   in Loop: Header=BB185_38 Depth=1
	v_bfe_u32 v1, v0, 16, 1
	s_delay_alu instid0(VALU_DEP_1)
	v_add3_u32 v176, v0, v1, 0x7fff
                                        ; implicit-def: $vgpr0
; %bb.201:                              ;   in Loop: Header=BB185_38 Depth=1
	s_and_not1_saveexec_b32 s10, s0
; %bb.202:                              ;   in Loop: Header=BB185_38 Depth=1
	v_and_b32_e32 v1, 0xffff, v0
	v_or_b32_e32 v2, 0x10000, v0
	s_delay_alu instid0(VALU_DEP_2) | instskip(NEXT) | instid1(VALU_DEP_1)
	v_cmp_eq_u32_e64 s0, 0, v1
	v_cndmask_b32_e64 v176, v2, v0, s0
; %bb.203:                              ;   in Loop: Header=BB185_38 Depth=1
	s_or_b32 exec_lo, exec_lo, s10
	v_lshlrev_b32_e32 v0, 16, v4
                                        ; implicit-def: $vgpr177
	s_delay_alu instid0(VALU_DEP_1) | instskip(NEXT) | instid1(VALU_DEP_1)
	v_mul_f32_e32 v0, v144, v0
	v_and_b32_e32 v1, 0x7f800000, v0
	s_delay_alu instid0(VALU_DEP_1) | instskip(NEXT) | instid1(VALU_DEP_1)
	v_cmp_ne_u32_e64 s0, 0x7f800000, v1
	s_and_saveexec_b32 s10, s0
	s_delay_alu instid0(SALU_CYCLE_1)
	s_xor_b32 s0, exec_lo, s10
; %bb.204:                              ;   in Loop: Header=BB185_38 Depth=1
	v_bfe_u32 v1, v0, 16, 1
	s_delay_alu instid0(VALU_DEP_1)
	v_add3_u32 v177, v0, v1, 0x7fff
                                        ; implicit-def: $vgpr0
; %bb.205:                              ;   in Loop: Header=BB185_38 Depth=1
	s_and_not1_saveexec_b32 s10, s0
; %bb.206:                              ;   in Loop: Header=BB185_38 Depth=1
	v_and_b32_e32 v1, 0xffff, v0
	v_or_b32_e32 v2, 0x10000, v0
	s_delay_alu instid0(VALU_DEP_2) | instskip(NEXT) | instid1(VALU_DEP_1)
	v_cmp_eq_u32_e64 s0, 0, v1
	v_cndmask_b32_e64 v177, v2, v0, s0
; %bb.207:                              ;   in Loop: Header=BB185_38 Depth=1
	s_or_b32 exec_lo, exec_lo, s10
	flat_load_b128 v[0:3], v[6:7] offset:2048
	s_waitcnt vmcnt(0) lgkmcnt(0)
	v_lshrrev_b32_e32 v21, 16, v0
	v_lshrrev_b32_e32 v12, 16, v1
	;; [unrolled: 1-line block ×4, first 2 shown]
	s_and_saveexec_b32 s10, vcc_lo
	s_cbranch_execz .LBB185_209
; %bb.208:                              ;   in Loop: Header=BB185_38 Depth=1
	v_cmp_lt_i32_e64 s0, v101, v86
	s_delay_alu instid0(VALU_DEP_1) | instskip(SKIP_1) | instid1(VALU_DEP_1)
	v_cndmask_b32_e64 v0, 0, v0, s0
	v_cmp_lt_i32_e64 s0, v116, v86
	v_cndmask_b32_e64 v21, 0, v21, s0
	v_cmp_lt_i32_e64 s0, v115, v86
	s_delay_alu instid0(VALU_DEP_1) | instskip(SKIP_1) | instid1(VALU_DEP_1)
	v_cndmask_b32_e64 v1, 0, v1, s0
	v_cmp_lt_i32_e64 s0, v113, v86
	v_cndmask_b32_e64 v12, 0, v12, s0
	;; [unrolled: 5-line block ×4, first 2 shown]
.LBB185_209:                            ;   in Loop: Header=BB185_38 Depth=1
	s_or_b32 exec_lo, exec_lo, s10
	v_lshlrev_b32_e32 v0, 16, v0
                                        ; implicit-def: $vgpr178
	s_delay_alu instid0(VALU_DEP_1) | instskip(NEXT) | instid1(VALU_DEP_1)
	v_mul_f32_e32 v0, v128, v0
	v_and_b32_e32 v25, 0x7f800000, v0
	s_delay_alu instid0(VALU_DEP_1) | instskip(NEXT) | instid1(VALU_DEP_1)
	v_cmp_ne_u32_e64 s0, 0x7f800000, v25
	s_and_saveexec_b32 s10, s0
	s_delay_alu instid0(SALU_CYCLE_1)
	s_xor_b32 s0, exec_lo, s10
; %bb.210:                              ;   in Loop: Header=BB185_38 Depth=1
	v_bfe_u32 v25, v0, 16, 1
	s_delay_alu instid0(VALU_DEP_1)
	v_add3_u32 v178, v0, v25, 0x7fff
                                        ; implicit-def: $vgpr0
; %bb.211:                              ;   in Loop: Header=BB185_38 Depth=1
	s_and_not1_saveexec_b32 s10, s0
; %bb.212:                              ;   in Loop: Header=BB185_38 Depth=1
	v_and_b32_e32 v25, 0xffff, v0
	v_or_b32_e32 v39, 0x10000, v0
	s_delay_alu instid0(VALU_DEP_2) | instskip(NEXT) | instid1(VALU_DEP_1)
	v_cmp_eq_u32_e64 s0, 0, v25
	v_cndmask_b32_e64 v178, v39, v0, s0
; %bb.213:                              ;   in Loop: Header=BB185_38 Depth=1
	s_or_b32 exec_lo, exec_lo, s10
	v_lshlrev_b32_e32 v0, 16, v21
                                        ; implicit-def: $vgpr179
	s_delay_alu instid0(VALU_DEP_1) | instskip(NEXT) | instid1(VALU_DEP_1)
	v_mul_f32_e32 v0, v129, v0
	v_and_b32_e32 v21, 0x7f800000, v0
	s_delay_alu instid0(VALU_DEP_1) | instskip(NEXT) | instid1(VALU_DEP_1)
	v_cmp_ne_u32_e64 s0, 0x7f800000, v21
	s_and_saveexec_b32 s10, s0
	s_delay_alu instid0(SALU_CYCLE_1)
	s_xor_b32 s0, exec_lo, s10
; %bb.214:                              ;   in Loop: Header=BB185_38 Depth=1
	v_bfe_u32 v21, v0, 16, 1
	s_delay_alu instid0(VALU_DEP_1)
	v_add3_u32 v179, v0, v21, 0x7fff
                                        ; implicit-def: $vgpr0
; %bb.215:                              ;   in Loop: Header=BB185_38 Depth=1
	s_and_not1_saveexec_b32 s10, s0
; %bb.216:                              ;   in Loop: Header=BB185_38 Depth=1
	v_and_b32_e32 v21, 0xffff, v0
	v_or_b32_e32 v25, 0x10000, v0
	s_delay_alu instid0(VALU_DEP_2) | instskip(NEXT) | instid1(VALU_DEP_1)
	v_cmp_eq_u32_e64 s0, 0, v21
	v_cndmask_b32_e64 v179, v25, v0, s0
; %bb.217:                              ;   in Loop: Header=BB185_38 Depth=1
	s_or_b32 exec_lo, exec_lo, s10
	v_lshlrev_b32_e32 v0, 16, v1
                                        ; implicit-def: $vgpr180
	s_delay_alu instid0(VALU_DEP_1) | instskip(NEXT) | instid1(VALU_DEP_1)
	v_mul_f32_e32 v0, v131, v0
	v_and_b32_e32 v1, 0x7f800000, v0
	s_delay_alu instid0(VALU_DEP_1) | instskip(NEXT) | instid1(VALU_DEP_1)
	v_cmp_ne_u32_e64 s0, 0x7f800000, v1
	s_and_saveexec_b32 s10, s0
	s_delay_alu instid0(SALU_CYCLE_1)
	s_xor_b32 s0, exec_lo, s10
; %bb.218:                              ;   in Loop: Header=BB185_38 Depth=1
	v_bfe_u32 v1, v0, 16, 1
	s_delay_alu instid0(VALU_DEP_1)
	v_add3_u32 v180, v0, v1, 0x7fff
                                        ; implicit-def: $vgpr0
; %bb.219:                              ;   in Loop: Header=BB185_38 Depth=1
	s_and_not1_saveexec_b32 s10, s0
; %bb.220:                              ;   in Loop: Header=BB185_38 Depth=1
	v_and_b32_e32 v1, 0xffff, v0
	v_or_b32_e32 v21, 0x10000, v0
	s_delay_alu instid0(VALU_DEP_2) | instskip(NEXT) | instid1(VALU_DEP_1)
	v_cmp_eq_u32_e64 s0, 0, v1
	v_cndmask_b32_e64 v180, v21, v0, s0
; %bb.221:                              ;   in Loop: Header=BB185_38 Depth=1
	s_or_b32 exec_lo, exec_lo, s10
	v_lshlrev_b32_e32 v0, 16, v12
                                        ; implicit-def: $vgpr181
	s_delay_alu instid0(VALU_DEP_1) | instskip(NEXT) | instid1(VALU_DEP_1)
	v_mul_f32_e32 v0, v132, v0
	v_and_b32_e32 v1, 0x7f800000, v0
	s_delay_alu instid0(VALU_DEP_1) | instskip(NEXT) | instid1(VALU_DEP_1)
	v_cmp_ne_u32_e64 s0, 0x7f800000, v1
	s_and_saveexec_b32 s10, s0
	s_delay_alu instid0(SALU_CYCLE_1)
	s_xor_b32 s0, exec_lo, s10
; %bb.222:                              ;   in Loop: Header=BB185_38 Depth=1
	v_bfe_u32 v1, v0, 16, 1
	s_delay_alu instid0(VALU_DEP_1)
	v_add3_u32 v181, v0, v1, 0x7fff
                                        ; implicit-def: $vgpr0
; %bb.223:                              ;   in Loop: Header=BB185_38 Depth=1
	s_and_not1_saveexec_b32 s10, s0
; %bb.224:                              ;   in Loop: Header=BB185_38 Depth=1
	v_and_b32_e32 v1, 0xffff, v0
	v_or_b32_e32 v12, 0x10000, v0
	s_delay_alu instid0(VALU_DEP_2) | instskip(NEXT) | instid1(VALU_DEP_1)
	v_cmp_eq_u32_e64 s0, 0, v1
	v_cndmask_b32_e64 v181, v12, v0, s0
; %bb.225:                              ;   in Loop: Header=BB185_38 Depth=1
	s_or_b32 exec_lo, exec_lo, s10
	v_lshlrev_b32_e32 v0, 16, v2
                                        ; implicit-def: $vgpr182
	s_delay_alu instid0(VALU_DEP_1) | instskip(NEXT) | instid1(VALU_DEP_1)
	v_mul_f32_e32 v0, v133, v0
	v_and_b32_e32 v1, 0x7f800000, v0
	s_delay_alu instid0(VALU_DEP_1) | instskip(NEXT) | instid1(VALU_DEP_1)
	v_cmp_ne_u32_e64 s0, 0x7f800000, v1
	s_and_saveexec_b32 s10, s0
	s_delay_alu instid0(SALU_CYCLE_1)
	s_xor_b32 s0, exec_lo, s10
; %bb.226:                              ;   in Loop: Header=BB185_38 Depth=1
	v_bfe_u32 v1, v0, 16, 1
	s_delay_alu instid0(VALU_DEP_1)
	v_add3_u32 v182, v0, v1, 0x7fff
                                        ; implicit-def: $vgpr0
; %bb.227:                              ;   in Loop: Header=BB185_38 Depth=1
	s_and_not1_saveexec_b32 s10, s0
; %bb.228:                              ;   in Loop: Header=BB185_38 Depth=1
	v_and_b32_e32 v1, 0xffff, v0
	v_or_b32_e32 v2, 0x10000, v0
	s_delay_alu instid0(VALU_DEP_2) | instskip(NEXT) | instid1(VALU_DEP_1)
	v_cmp_eq_u32_e64 s0, 0, v1
	v_cndmask_b32_e64 v182, v2, v0, s0
; %bb.229:                              ;   in Loop: Header=BB185_38 Depth=1
	s_or_b32 exec_lo, exec_lo, s10
	v_lshlrev_b32_e32 v0, 16, v5
                                        ; implicit-def: $vgpr183
	s_delay_alu instid0(VALU_DEP_1) | instskip(NEXT) | instid1(VALU_DEP_1)
	v_mul_f32_e32 v0, v134, v0
	v_and_b32_e32 v1, 0x7f800000, v0
	s_delay_alu instid0(VALU_DEP_1) | instskip(NEXT) | instid1(VALU_DEP_1)
	v_cmp_ne_u32_e64 s0, 0x7f800000, v1
	s_and_saveexec_b32 s10, s0
	s_delay_alu instid0(SALU_CYCLE_1)
	s_xor_b32 s0, exec_lo, s10
; %bb.230:                              ;   in Loop: Header=BB185_38 Depth=1
	v_bfe_u32 v1, v0, 16, 1
	s_delay_alu instid0(VALU_DEP_1)
	v_add3_u32 v183, v0, v1, 0x7fff
                                        ; implicit-def: $vgpr0
; %bb.231:                              ;   in Loop: Header=BB185_38 Depth=1
	s_and_not1_saveexec_b32 s10, s0
; %bb.232:                              ;   in Loop: Header=BB185_38 Depth=1
	v_and_b32_e32 v1, 0xffff, v0
	v_or_b32_e32 v2, 0x10000, v0
	s_delay_alu instid0(VALU_DEP_2) | instskip(NEXT) | instid1(VALU_DEP_1)
	v_cmp_eq_u32_e64 s0, 0, v1
	v_cndmask_b32_e64 v183, v2, v0, s0
; %bb.233:                              ;   in Loop: Header=BB185_38 Depth=1
	s_or_b32 exec_lo, exec_lo, s10
	v_lshlrev_b32_e32 v0, 16, v3
                                        ; implicit-def: $vgpr40
	s_delay_alu instid0(VALU_DEP_1) | instskip(NEXT) | instid1(VALU_DEP_1)
	v_mul_f32_e32 v0, v135, v0
	v_and_b32_e32 v1, 0x7f800000, v0
	s_delay_alu instid0(VALU_DEP_1) | instskip(NEXT) | instid1(VALU_DEP_1)
	v_cmp_ne_u32_e64 s0, 0x7f800000, v1
	s_and_saveexec_b32 s10, s0
	s_delay_alu instid0(SALU_CYCLE_1)
	s_xor_b32 s0, exec_lo, s10
; %bb.234:                              ;   in Loop: Header=BB185_38 Depth=1
	v_bfe_u32 v1, v0, 16, 1
	s_delay_alu instid0(VALU_DEP_1)
	v_add3_u32 v40, v0, v1, 0x7fff
                                        ; implicit-def: $vgpr0
; %bb.235:                              ;   in Loop: Header=BB185_38 Depth=1
	s_and_not1_saveexec_b32 s10, s0
; %bb.236:                              ;   in Loop: Header=BB185_38 Depth=1
	v_and_b32_e32 v1, 0xffff, v0
	v_or_b32_e32 v2, 0x10000, v0
	s_delay_alu instid0(VALU_DEP_2) | instskip(NEXT) | instid1(VALU_DEP_1)
	v_cmp_eq_u32_e64 s0, 0, v1
	v_cndmask_b32_e64 v40, v2, v0, s0
; %bb.237:                              ;   in Loop: Header=BB185_38 Depth=1
	s_or_b32 exec_lo, exec_lo, s10
	v_lshlrev_b32_e32 v0, 16, v4
                                        ; implicit-def: $vgpr41
	s_delay_alu instid0(VALU_DEP_1) | instskip(NEXT) | instid1(VALU_DEP_1)
	v_mul_f32_e32 v0, v144, v0
	v_and_b32_e32 v1, 0x7f800000, v0
	s_delay_alu instid0(VALU_DEP_1) | instskip(NEXT) | instid1(VALU_DEP_1)
	v_cmp_ne_u32_e64 s0, 0x7f800000, v1
	s_and_saveexec_b32 s10, s0
	s_delay_alu instid0(SALU_CYCLE_1)
	s_xor_b32 s0, exec_lo, s10
; %bb.238:                              ;   in Loop: Header=BB185_38 Depth=1
	v_bfe_u32 v1, v0, 16, 1
	s_delay_alu instid0(VALU_DEP_1)
	v_add3_u32 v41, v0, v1, 0x7fff
                                        ; implicit-def: $vgpr0
; %bb.239:                              ;   in Loop: Header=BB185_38 Depth=1
	s_and_not1_saveexec_b32 s10, s0
; %bb.240:                              ;   in Loop: Header=BB185_38 Depth=1
	v_and_b32_e32 v1, 0xffff, v0
	v_or_b32_e32 v2, 0x10000, v0
	s_delay_alu instid0(VALU_DEP_2) | instskip(NEXT) | instid1(VALU_DEP_1)
	v_cmp_eq_u32_e64 s0, 0, v1
	v_cndmask_b32_e64 v41, v2, v0, s0
; %bb.241:                              ;   in Loop: Header=BB185_38 Depth=1
	s_or_b32 exec_lo, exec_lo, s10
	flat_load_b128 v[0:3], v[6:7] offset:2560
	s_waitcnt vmcnt(0) lgkmcnt(0)
	v_lshrrev_b32_e32 v21, 16, v0
	v_lshrrev_b32_e32 v12, 16, v1
	;; [unrolled: 1-line block ×4, first 2 shown]
	s_and_saveexec_b32 s10, vcc_lo
	s_cbranch_execz .LBB185_243
; %bb.242:                              ;   in Loop: Header=BB185_38 Depth=1
	v_cmp_lt_i32_e64 s0, v101, v86
	s_delay_alu instid0(VALU_DEP_1) | instskip(SKIP_1) | instid1(VALU_DEP_1)
	v_cndmask_b32_e64 v0, 0, v0, s0
	v_cmp_lt_i32_e64 s0, v116, v86
	v_cndmask_b32_e64 v21, 0, v21, s0
	v_cmp_lt_i32_e64 s0, v115, v86
	s_delay_alu instid0(VALU_DEP_1) | instskip(SKIP_1) | instid1(VALU_DEP_1)
	v_cndmask_b32_e64 v1, 0, v1, s0
	v_cmp_lt_i32_e64 s0, v113, v86
	v_cndmask_b32_e64 v12, 0, v12, s0
	;; [unrolled: 5-line block ×4, first 2 shown]
.LBB185_243:                            ;   in Loop: Header=BB185_38 Depth=1
	s_or_b32 exec_lo, exec_lo, s10
	v_lshlrev_b32_e32 v0, 16, v0
                                        ; implicit-def: $vgpr42
	s_delay_alu instid0(VALU_DEP_1) | instskip(NEXT) | instid1(VALU_DEP_1)
	v_mul_f32_e32 v0, v128, v0
	v_and_b32_e32 v25, 0x7f800000, v0
	s_delay_alu instid0(VALU_DEP_1) | instskip(NEXT) | instid1(VALU_DEP_1)
	v_cmp_ne_u32_e64 s0, 0x7f800000, v25
	s_and_saveexec_b32 s10, s0
	s_delay_alu instid0(SALU_CYCLE_1)
	s_xor_b32 s0, exec_lo, s10
; %bb.244:                              ;   in Loop: Header=BB185_38 Depth=1
	v_bfe_u32 v25, v0, 16, 1
	s_delay_alu instid0(VALU_DEP_1)
	v_add3_u32 v42, v0, v25, 0x7fff
                                        ; implicit-def: $vgpr0
; %bb.245:                              ;   in Loop: Header=BB185_38 Depth=1
	s_and_not1_saveexec_b32 s10, s0
; %bb.246:                              ;   in Loop: Header=BB185_38 Depth=1
	v_and_b32_e32 v25, 0xffff, v0
	v_or_b32_e32 v39, 0x10000, v0
	s_delay_alu instid0(VALU_DEP_2) | instskip(NEXT) | instid1(VALU_DEP_1)
	v_cmp_eq_u32_e64 s0, 0, v25
	v_cndmask_b32_e64 v42, v39, v0, s0
; %bb.247:                              ;   in Loop: Header=BB185_38 Depth=1
	s_or_b32 exec_lo, exec_lo, s10
	v_lshlrev_b32_e32 v0, 16, v21
                                        ; implicit-def: $vgpr43
	s_delay_alu instid0(VALU_DEP_1) | instskip(NEXT) | instid1(VALU_DEP_1)
	v_mul_f32_e32 v0, v129, v0
	v_and_b32_e32 v21, 0x7f800000, v0
	s_delay_alu instid0(VALU_DEP_1) | instskip(NEXT) | instid1(VALU_DEP_1)
	v_cmp_ne_u32_e64 s0, 0x7f800000, v21
	s_and_saveexec_b32 s10, s0
	s_delay_alu instid0(SALU_CYCLE_1)
	s_xor_b32 s0, exec_lo, s10
; %bb.248:                              ;   in Loop: Header=BB185_38 Depth=1
	v_bfe_u32 v21, v0, 16, 1
	s_delay_alu instid0(VALU_DEP_1)
	v_add3_u32 v43, v0, v21, 0x7fff
                                        ; implicit-def: $vgpr0
; %bb.249:                              ;   in Loop: Header=BB185_38 Depth=1
	s_and_not1_saveexec_b32 s10, s0
; %bb.250:                              ;   in Loop: Header=BB185_38 Depth=1
	v_and_b32_e32 v21, 0xffff, v0
	v_or_b32_e32 v25, 0x10000, v0
	s_delay_alu instid0(VALU_DEP_2) | instskip(NEXT) | instid1(VALU_DEP_1)
	v_cmp_eq_u32_e64 s0, 0, v21
	v_cndmask_b32_e64 v43, v25, v0, s0
; %bb.251:                              ;   in Loop: Header=BB185_38 Depth=1
	s_or_b32 exec_lo, exec_lo, s10
	v_lshlrev_b32_e32 v0, 16, v1
                                        ; implicit-def: $vgpr44
	s_delay_alu instid0(VALU_DEP_1) | instskip(NEXT) | instid1(VALU_DEP_1)
	v_mul_f32_e32 v0, v131, v0
	v_and_b32_e32 v1, 0x7f800000, v0
	s_delay_alu instid0(VALU_DEP_1) | instskip(NEXT) | instid1(VALU_DEP_1)
	v_cmp_ne_u32_e64 s0, 0x7f800000, v1
	s_and_saveexec_b32 s10, s0
	s_delay_alu instid0(SALU_CYCLE_1)
	s_xor_b32 s0, exec_lo, s10
; %bb.252:                              ;   in Loop: Header=BB185_38 Depth=1
	v_bfe_u32 v1, v0, 16, 1
	s_delay_alu instid0(VALU_DEP_1)
	v_add3_u32 v44, v0, v1, 0x7fff
                                        ; implicit-def: $vgpr0
; %bb.253:                              ;   in Loop: Header=BB185_38 Depth=1
	s_and_not1_saveexec_b32 s10, s0
; %bb.254:                              ;   in Loop: Header=BB185_38 Depth=1
	v_and_b32_e32 v1, 0xffff, v0
	v_or_b32_e32 v21, 0x10000, v0
	s_delay_alu instid0(VALU_DEP_2) | instskip(NEXT) | instid1(VALU_DEP_1)
	v_cmp_eq_u32_e64 s0, 0, v1
	v_cndmask_b32_e64 v44, v21, v0, s0
; %bb.255:                              ;   in Loop: Header=BB185_38 Depth=1
	s_or_b32 exec_lo, exec_lo, s10
	v_lshlrev_b32_e32 v0, 16, v12
                                        ; implicit-def: $vgpr45
	s_delay_alu instid0(VALU_DEP_1) | instskip(NEXT) | instid1(VALU_DEP_1)
	v_mul_f32_e32 v0, v132, v0
	v_and_b32_e32 v1, 0x7f800000, v0
	s_delay_alu instid0(VALU_DEP_1) | instskip(NEXT) | instid1(VALU_DEP_1)
	v_cmp_ne_u32_e64 s0, 0x7f800000, v1
	s_and_saveexec_b32 s10, s0
	s_delay_alu instid0(SALU_CYCLE_1)
	s_xor_b32 s0, exec_lo, s10
; %bb.256:                              ;   in Loop: Header=BB185_38 Depth=1
	v_bfe_u32 v1, v0, 16, 1
	s_delay_alu instid0(VALU_DEP_1)
	v_add3_u32 v45, v0, v1, 0x7fff
                                        ; implicit-def: $vgpr0
; %bb.257:                              ;   in Loop: Header=BB185_38 Depth=1
	s_and_not1_saveexec_b32 s10, s0
; %bb.258:                              ;   in Loop: Header=BB185_38 Depth=1
	v_and_b32_e32 v1, 0xffff, v0
	v_or_b32_e32 v12, 0x10000, v0
	s_delay_alu instid0(VALU_DEP_2) | instskip(NEXT) | instid1(VALU_DEP_1)
	v_cmp_eq_u32_e64 s0, 0, v1
	v_cndmask_b32_e64 v45, v12, v0, s0
; %bb.259:                              ;   in Loop: Header=BB185_38 Depth=1
	s_or_b32 exec_lo, exec_lo, s10
	v_lshlrev_b32_e32 v0, 16, v2
                                        ; implicit-def: $vgpr46
	s_delay_alu instid0(VALU_DEP_1) | instskip(NEXT) | instid1(VALU_DEP_1)
	v_mul_f32_e32 v0, v133, v0
	v_and_b32_e32 v1, 0x7f800000, v0
	s_delay_alu instid0(VALU_DEP_1) | instskip(NEXT) | instid1(VALU_DEP_1)
	v_cmp_ne_u32_e64 s0, 0x7f800000, v1
	s_and_saveexec_b32 s10, s0
	s_delay_alu instid0(SALU_CYCLE_1)
	s_xor_b32 s0, exec_lo, s10
; %bb.260:                              ;   in Loop: Header=BB185_38 Depth=1
	v_bfe_u32 v1, v0, 16, 1
	s_delay_alu instid0(VALU_DEP_1)
	v_add3_u32 v46, v0, v1, 0x7fff
                                        ; implicit-def: $vgpr0
; %bb.261:                              ;   in Loop: Header=BB185_38 Depth=1
	s_and_not1_saveexec_b32 s10, s0
; %bb.262:                              ;   in Loop: Header=BB185_38 Depth=1
	v_and_b32_e32 v1, 0xffff, v0
	v_or_b32_e32 v2, 0x10000, v0
	s_delay_alu instid0(VALU_DEP_2) | instskip(NEXT) | instid1(VALU_DEP_1)
	v_cmp_eq_u32_e64 s0, 0, v1
	v_cndmask_b32_e64 v46, v2, v0, s0
; %bb.263:                              ;   in Loop: Header=BB185_38 Depth=1
	s_or_b32 exec_lo, exec_lo, s10
	v_lshlrev_b32_e32 v0, 16, v5
                                        ; implicit-def: $vgpr47
	s_delay_alu instid0(VALU_DEP_1) | instskip(NEXT) | instid1(VALU_DEP_1)
	v_mul_f32_e32 v0, v134, v0
	v_and_b32_e32 v1, 0x7f800000, v0
	s_delay_alu instid0(VALU_DEP_1) | instskip(NEXT) | instid1(VALU_DEP_1)
	v_cmp_ne_u32_e64 s0, 0x7f800000, v1
	s_and_saveexec_b32 s10, s0
	s_delay_alu instid0(SALU_CYCLE_1)
	s_xor_b32 s0, exec_lo, s10
; %bb.264:                              ;   in Loop: Header=BB185_38 Depth=1
	v_bfe_u32 v1, v0, 16, 1
	s_delay_alu instid0(VALU_DEP_1)
	v_add3_u32 v47, v0, v1, 0x7fff
                                        ; implicit-def: $vgpr0
; %bb.265:                              ;   in Loop: Header=BB185_38 Depth=1
	s_and_not1_saveexec_b32 s10, s0
; %bb.266:                              ;   in Loop: Header=BB185_38 Depth=1
	v_and_b32_e32 v1, 0xffff, v0
	v_or_b32_e32 v2, 0x10000, v0
	s_delay_alu instid0(VALU_DEP_2) | instskip(NEXT) | instid1(VALU_DEP_1)
	v_cmp_eq_u32_e64 s0, 0, v1
	v_cndmask_b32_e64 v47, v2, v0, s0
; %bb.267:                              ;   in Loop: Header=BB185_38 Depth=1
	s_or_b32 exec_lo, exec_lo, s10
	v_lshlrev_b32_e32 v0, 16, v3
                                        ; implicit-def: $vgpr56
	s_delay_alu instid0(VALU_DEP_1) | instskip(NEXT) | instid1(VALU_DEP_1)
	v_mul_f32_e32 v0, v135, v0
	v_and_b32_e32 v1, 0x7f800000, v0
	s_delay_alu instid0(VALU_DEP_1) | instskip(NEXT) | instid1(VALU_DEP_1)
	v_cmp_ne_u32_e64 s0, 0x7f800000, v1
	s_and_saveexec_b32 s10, s0
	s_delay_alu instid0(SALU_CYCLE_1)
	s_xor_b32 s0, exec_lo, s10
; %bb.268:                              ;   in Loop: Header=BB185_38 Depth=1
	v_bfe_u32 v1, v0, 16, 1
	s_delay_alu instid0(VALU_DEP_1)
	v_add3_u32 v56, v0, v1, 0x7fff
                                        ; implicit-def: $vgpr0
; %bb.269:                              ;   in Loop: Header=BB185_38 Depth=1
	s_and_not1_saveexec_b32 s10, s0
; %bb.270:                              ;   in Loop: Header=BB185_38 Depth=1
	v_and_b32_e32 v1, 0xffff, v0
	v_or_b32_e32 v2, 0x10000, v0
	s_delay_alu instid0(VALU_DEP_2) | instskip(NEXT) | instid1(VALU_DEP_1)
	v_cmp_eq_u32_e64 s0, 0, v1
	v_cndmask_b32_e64 v56, v2, v0, s0
; %bb.271:                              ;   in Loop: Header=BB185_38 Depth=1
	s_or_b32 exec_lo, exec_lo, s10
	v_lshlrev_b32_e32 v0, 16, v4
                                        ; implicit-def: $vgpr57
	s_delay_alu instid0(VALU_DEP_1) | instskip(NEXT) | instid1(VALU_DEP_1)
	v_mul_f32_e32 v0, v144, v0
	v_and_b32_e32 v1, 0x7f800000, v0
	s_delay_alu instid0(VALU_DEP_1) | instskip(NEXT) | instid1(VALU_DEP_1)
	v_cmp_ne_u32_e64 s0, 0x7f800000, v1
	s_and_saveexec_b32 s10, s0
	s_delay_alu instid0(SALU_CYCLE_1)
	s_xor_b32 s0, exec_lo, s10
; %bb.272:                              ;   in Loop: Header=BB185_38 Depth=1
	v_bfe_u32 v1, v0, 16, 1
	s_delay_alu instid0(VALU_DEP_1)
	v_add3_u32 v57, v0, v1, 0x7fff
                                        ; implicit-def: $vgpr0
; %bb.273:                              ;   in Loop: Header=BB185_38 Depth=1
	s_and_not1_saveexec_b32 s10, s0
; %bb.274:                              ;   in Loop: Header=BB185_38 Depth=1
	v_and_b32_e32 v1, 0xffff, v0
	v_or_b32_e32 v2, 0x10000, v0
	s_delay_alu instid0(VALU_DEP_2) | instskip(NEXT) | instid1(VALU_DEP_1)
	v_cmp_eq_u32_e64 s0, 0, v1
	v_cndmask_b32_e64 v57, v2, v0, s0
; %bb.275:                              ;   in Loop: Header=BB185_38 Depth=1
	s_or_b32 exec_lo, exec_lo, s10
	flat_load_b128 v[0:3], v[6:7] offset:3072
	s_waitcnt vmcnt(0) lgkmcnt(0)
	v_lshrrev_b32_e32 v21, 16, v0
	v_lshrrev_b32_e32 v12, 16, v1
	;; [unrolled: 1-line block ×4, first 2 shown]
	s_and_saveexec_b32 s10, vcc_lo
	s_cbranch_execz .LBB185_277
; %bb.276:                              ;   in Loop: Header=BB185_38 Depth=1
	v_cmp_lt_i32_e64 s0, v101, v86
	s_delay_alu instid0(VALU_DEP_1) | instskip(SKIP_1) | instid1(VALU_DEP_1)
	v_cndmask_b32_e64 v0, 0, v0, s0
	v_cmp_lt_i32_e64 s0, v116, v86
	v_cndmask_b32_e64 v21, 0, v21, s0
	v_cmp_lt_i32_e64 s0, v115, v86
	s_delay_alu instid0(VALU_DEP_1) | instskip(SKIP_1) | instid1(VALU_DEP_1)
	v_cndmask_b32_e64 v1, 0, v1, s0
	v_cmp_lt_i32_e64 s0, v113, v86
	v_cndmask_b32_e64 v12, 0, v12, s0
	;; [unrolled: 5-line block ×4, first 2 shown]
.LBB185_277:                            ;   in Loop: Header=BB185_38 Depth=1
	s_or_b32 exec_lo, exec_lo, s10
	v_lshlrev_b32_e32 v0, 16, v0
                                        ; implicit-def: $vgpr58
	s_delay_alu instid0(VALU_DEP_1) | instskip(NEXT) | instid1(VALU_DEP_1)
	v_mul_f32_e32 v0, v128, v0
	v_and_b32_e32 v25, 0x7f800000, v0
	s_delay_alu instid0(VALU_DEP_1) | instskip(NEXT) | instid1(VALU_DEP_1)
	v_cmp_ne_u32_e64 s0, 0x7f800000, v25
	s_and_saveexec_b32 s10, s0
	s_delay_alu instid0(SALU_CYCLE_1)
	s_xor_b32 s0, exec_lo, s10
; %bb.278:                              ;   in Loop: Header=BB185_38 Depth=1
	v_bfe_u32 v25, v0, 16, 1
	s_delay_alu instid0(VALU_DEP_1)
	v_add3_u32 v58, v0, v25, 0x7fff
                                        ; implicit-def: $vgpr0
; %bb.279:                              ;   in Loop: Header=BB185_38 Depth=1
	s_and_not1_saveexec_b32 s10, s0
; %bb.280:                              ;   in Loop: Header=BB185_38 Depth=1
	v_and_b32_e32 v25, 0xffff, v0
	v_or_b32_e32 v39, 0x10000, v0
	s_delay_alu instid0(VALU_DEP_2) | instskip(NEXT) | instid1(VALU_DEP_1)
	v_cmp_eq_u32_e64 s0, 0, v25
	v_cndmask_b32_e64 v58, v39, v0, s0
; %bb.281:                              ;   in Loop: Header=BB185_38 Depth=1
	s_or_b32 exec_lo, exec_lo, s10
	v_lshlrev_b32_e32 v0, 16, v21
                                        ; implicit-def: $vgpr59
	s_delay_alu instid0(VALU_DEP_1) | instskip(NEXT) | instid1(VALU_DEP_1)
	v_mul_f32_e32 v0, v129, v0
	v_and_b32_e32 v21, 0x7f800000, v0
	s_delay_alu instid0(VALU_DEP_1) | instskip(NEXT) | instid1(VALU_DEP_1)
	v_cmp_ne_u32_e64 s0, 0x7f800000, v21
	s_and_saveexec_b32 s10, s0
	s_delay_alu instid0(SALU_CYCLE_1)
	s_xor_b32 s0, exec_lo, s10
; %bb.282:                              ;   in Loop: Header=BB185_38 Depth=1
	v_bfe_u32 v21, v0, 16, 1
	s_delay_alu instid0(VALU_DEP_1)
	v_add3_u32 v59, v0, v21, 0x7fff
                                        ; implicit-def: $vgpr0
; %bb.283:                              ;   in Loop: Header=BB185_38 Depth=1
	s_and_not1_saveexec_b32 s10, s0
; %bb.284:                              ;   in Loop: Header=BB185_38 Depth=1
	v_and_b32_e32 v21, 0xffff, v0
	v_or_b32_e32 v25, 0x10000, v0
	s_delay_alu instid0(VALU_DEP_2) | instskip(NEXT) | instid1(VALU_DEP_1)
	v_cmp_eq_u32_e64 s0, 0, v21
	v_cndmask_b32_e64 v59, v25, v0, s0
; %bb.285:                              ;   in Loop: Header=BB185_38 Depth=1
	s_or_b32 exec_lo, exec_lo, s10
	v_lshlrev_b32_e32 v0, 16, v1
                                        ; implicit-def: $vgpr60
	s_delay_alu instid0(VALU_DEP_1) | instskip(NEXT) | instid1(VALU_DEP_1)
	v_mul_f32_e32 v0, v131, v0
	v_and_b32_e32 v1, 0x7f800000, v0
	s_delay_alu instid0(VALU_DEP_1) | instskip(NEXT) | instid1(VALU_DEP_1)
	v_cmp_ne_u32_e64 s0, 0x7f800000, v1
	s_and_saveexec_b32 s10, s0
	s_delay_alu instid0(SALU_CYCLE_1)
	s_xor_b32 s0, exec_lo, s10
; %bb.286:                              ;   in Loop: Header=BB185_38 Depth=1
	v_bfe_u32 v1, v0, 16, 1
	s_delay_alu instid0(VALU_DEP_1)
	v_add3_u32 v60, v0, v1, 0x7fff
                                        ; implicit-def: $vgpr0
; %bb.287:                              ;   in Loop: Header=BB185_38 Depth=1
	s_and_not1_saveexec_b32 s10, s0
; %bb.288:                              ;   in Loop: Header=BB185_38 Depth=1
	v_and_b32_e32 v1, 0xffff, v0
	v_or_b32_e32 v21, 0x10000, v0
	s_delay_alu instid0(VALU_DEP_2) | instskip(NEXT) | instid1(VALU_DEP_1)
	v_cmp_eq_u32_e64 s0, 0, v1
	v_cndmask_b32_e64 v60, v21, v0, s0
; %bb.289:                              ;   in Loop: Header=BB185_38 Depth=1
	s_or_b32 exec_lo, exec_lo, s10
	v_lshlrev_b32_e32 v0, 16, v12
                                        ; implicit-def: $vgpr61
	s_delay_alu instid0(VALU_DEP_1) | instskip(NEXT) | instid1(VALU_DEP_1)
	v_mul_f32_e32 v0, v132, v0
	v_and_b32_e32 v1, 0x7f800000, v0
	s_delay_alu instid0(VALU_DEP_1) | instskip(NEXT) | instid1(VALU_DEP_1)
	v_cmp_ne_u32_e64 s0, 0x7f800000, v1
	s_and_saveexec_b32 s10, s0
	s_delay_alu instid0(SALU_CYCLE_1)
	s_xor_b32 s0, exec_lo, s10
; %bb.290:                              ;   in Loop: Header=BB185_38 Depth=1
	v_bfe_u32 v1, v0, 16, 1
	s_delay_alu instid0(VALU_DEP_1)
	v_add3_u32 v61, v0, v1, 0x7fff
                                        ; implicit-def: $vgpr0
; %bb.291:                              ;   in Loop: Header=BB185_38 Depth=1
	s_and_not1_saveexec_b32 s10, s0
; %bb.292:                              ;   in Loop: Header=BB185_38 Depth=1
	v_and_b32_e32 v1, 0xffff, v0
	v_or_b32_e32 v12, 0x10000, v0
	s_delay_alu instid0(VALU_DEP_2) | instskip(NEXT) | instid1(VALU_DEP_1)
	v_cmp_eq_u32_e64 s0, 0, v1
	v_cndmask_b32_e64 v61, v12, v0, s0
; %bb.293:                              ;   in Loop: Header=BB185_38 Depth=1
	s_or_b32 exec_lo, exec_lo, s10
	v_lshlrev_b32_e32 v0, 16, v2
                                        ; implicit-def: $vgpr62
	s_delay_alu instid0(VALU_DEP_1) | instskip(NEXT) | instid1(VALU_DEP_1)
	v_mul_f32_e32 v0, v133, v0
	v_and_b32_e32 v1, 0x7f800000, v0
	s_delay_alu instid0(VALU_DEP_1) | instskip(NEXT) | instid1(VALU_DEP_1)
	v_cmp_ne_u32_e64 s0, 0x7f800000, v1
	s_and_saveexec_b32 s10, s0
	s_delay_alu instid0(SALU_CYCLE_1)
	s_xor_b32 s0, exec_lo, s10
; %bb.294:                              ;   in Loop: Header=BB185_38 Depth=1
	v_bfe_u32 v1, v0, 16, 1
	s_delay_alu instid0(VALU_DEP_1)
	v_add3_u32 v62, v0, v1, 0x7fff
                                        ; implicit-def: $vgpr0
; %bb.295:                              ;   in Loop: Header=BB185_38 Depth=1
	s_and_not1_saveexec_b32 s10, s0
; %bb.296:                              ;   in Loop: Header=BB185_38 Depth=1
	v_and_b32_e32 v1, 0xffff, v0
	v_or_b32_e32 v2, 0x10000, v0
	s_delay_alu instid0(VALU_DEP_2) | instskip(NEXT) | instid1(VALU_DEP_1)
	v_cmp_eq_u32_e64 s0, 0, v1
	v_cndmask_b32_e64 v62, v2, v0, s0
; %bb.297:                              ;   in Loop: Header=BB185_38 Depth=1
	s_or_b32 exec_lo, exec_lo, s10
	v_lshlrev_b32_e32 v0, 16, v5
                                        ; implicit-def: $vgpr63
	s_delay_alu instid0(VALU_DEP_1) | instskip(NEXT) | instid1(VALU_DEP_1)
	v_mul_f32_e32 v0, v134, v0
	v_and_b32_e32 v1, 0x7f800000, v0
	s_delay_alu instid0(VALU_DEP_1) | instskip(NEXT) | instid1(VALU_DEP_1)
	v_cmp_ne_u32_e64 s0, 0x7f800000, v1
	s_and_saveexec_b32 s10, s0
	s_delay_alu instid0(SALU_CYCLE_1)
	s_xor_b32 s0, exec_lo, s10
; %bb.298:                              ;   in Loop: Header=BB185_38 Depth=1
	v_bfe_u32 v1, v0, 16, 1
	s_delay_alu instid0(VALU_DEP_1)
	v_add3_u32 v63, v0, v1, 0x7fff
                                        ; implicit-def: $vgpr0
; %bb.299:                              ;   in Loop: Header=BB185_38 Depth=1
	s_and_not1_saveexec_b32 s10, s0
; %bb.300:                              ;   in Loop: Header=BB185_38 Depth=1
	v_and_b32_e32 v1, 0xffff, v0
	v_or_b32_e32 v2, 0x10000, v0
	s_delay_alu instid0(VALU_DEP_2) | instskip(NEXT) | instid1(VALU_DEP_1)
	v_cmp_eq_u32_e64 s0, 0, v1
	v_cndmask_b32_e64 v63, v2, v0, s0
; %bb.301:                              ;   in Loop: Header=BB185_38 Depth=1
	s_or_b32 exec_lo, exec_lo, s10
	v_lshlrev_b32_e32 v0, 16, v3
                                        ; implicit-def: $vgpr72
	s_delay_alu instid0(VALU_DEP_1) | instskip(NEXT) | instid1(VALU_DEP_1)
	v_mul_f32_e32 v0, v135, v0
	v_and_b32_e32 v1, 0x7f800000, v0
	s_delay_alu instid0(VALU_DEP_1) | instskip(NEXT) | instid1(VALU_DEP_1)
	v_cmp_ne_u32_e64 s0, 0x7f800000, v1
	s_and_saveexec_b32 s10, s0
	s_delay_alu instid0(SALU_CYCLE_1)
	s_xor_b32 s0, exec_lo, s10
; %bb.302:                              ;   in Loop: Header=BB185_38 Depth=1
	v_bfe_u32 v1, v0, 16, 1
	s_delay_alu instid0(VALU_DEP_1)
	v_add3_u32 v72, v0, v1, 0x7fff
                                        ; implicit-def: $vgpr0
; %bb.303:                              ;   in Loop: Header=BB185_38 Depth=1
	s_and_not1_saveexec_b32 s10, s0
; %bb.304:                              ;   in Loop: Header=BB185_38 Depth=1
	v_and_b32_e32 v1, 0xffff, v0
	v_or_b32_e32 v2, 0x10000, v0
	s_delay_alu instid0(VALU_DEP_2) | instskip(NEXT) | instid1(VALU_DEP_1)
	v_cmp_eq_u32_e64 s0, 0, v1
	v_cndmask_b32_e64 v72, v2, v0, s0
; %bb.305:                              ;   in Loop: Header=BB185_38 Depth=1
	s_or_b32 exec_lo, exec_lo, s10
	v_lshlrev_b32_e32 v0, 16, v4
                                        ; implicit-def: $vgpr73
	s_delay_alu instid0(VALU_DEP_1) | instskip(NEXT) | instid1(VALU_DEP_1)
	v_mul_f32_e32 v0, v144, v0
	v_and_b32_e32 v1, 0x7f800000, v0
	s_delay_alu instid0(VALU_DEP_1) | instskip(NEXT) | instid1(VALU_DEP_1)
	v_cmp_ne_u32_e64 s0, 0x7f800000, v1
	s_and_saveexec_b32 s10, s0
	s_delay_alu instid0(SALU_CYCLE_1)
	s_xor_b32 s0, exec_lo, s10
; %bb.306:                              ;   in Loop: Header=BB185_38 Depth=1
	v_bfe_u32 v1, v0, 16, 1
	s_delay_alu instid0(VALU_DEP_1)
	v_add3_u32 v73, v0, v1, 0x7fff
                                        ; implicit-def: $vgpr0
; %bb.307:                              ;   in Loop: Header=BB185_38 Depth=1
	s_and_not1_saveexec_b32 s10, s0
; %bb.308:                              ;   in Loop: Header=BB185_38 Depth=1
	v_and_b32_e32 v1, 0xffff, v0
	v_or_b32_e32 v2, 0x10000, v0
	s_delay_alu instid0(VALU_DEP_2) | instskip(NEXT) | instid1(VALU_DEP_1)
	v_cmp_eq_u32_e64 s0, 0, v1
	v_cndmask_b32_e64 v73, v2, v0, s0
; %bb.309:                              ;   in Loop: Header=BB185_38 Depth=1
	s_or_b32 exec_lo, exec_lo, s10
	flat_load_b128 v[0:3], v[6:7] offset:3584
	s_waitcnt vmcnt(0) lgkmcnt(0)
	v_lshrrev_b32_e32 v7, 16, v0
	v_lshrrev_b32_e32 v12, 16, v1
	;; [unrolled: 1-line block ×4, first 2 shown]
	s_and_saveexec_b32 s10, vcc_lo
	s_cbranch_execz .LBB185_311
; %bb.310:                              ;   in Loop: Header=BB185_38 Depth=1
	v_cmp_lt_i32_e64 s0, v101, v86
	s_delay_alu instid0(VALU_DEP_1) | instskip(SKIP_1) | instid1(VALU_DEP_1)
	v_cndmask_b32_e64 v0, 0, v0, s0
	v_cmp_lt_i32_e64 s0, v116, v86
	v_cndmask_b32_e64 v7, 0, v7, s0
	v_cmp_lt_i32_e64 s0, v115, v86
	s_delay_alu instid0(VALU_DEP_1) | instskip(SKIP_1) | instid1(VALU_DEP_1)
	v_cndmask_b32_e64 v1, 0, v1, s0
	v_cmp_lt_i32_e64 s0, v113, v86
	v_cndmask_b32_e64 v12, 0, v12, s0
	;; [unrolled: 5-line block ×4, first 2 shown]
.LBB185_311:                            ;   in Loop: Header=BB185_38 Depth=1
	s_or_b32 exec_lo, exec_lo, s10
	v_lshlrev_b32_e32 v0, 16, v0
	s_delay_alu instid0(VALU_DEP_1) | instskip(NEXT) | instid1(VALU_DEP_1)
	v_mul_f32_e32 v0, v128, v0
	v_and_b32_e32 v6, 0x7f800000, v0
	s_delay_alu instid0(VALU_DEP_1) | instskip(NEXT) | instid1(VALU_DEP_1)
	v_cmp_ne_u32_e64 s0, 0x7f800000, v6
                                        ; implicit-def: $vgpr6
	s_and_saveexec_b32 s10, s0
	s_delay_alu instid0(SALU_CYCLE_1)
	s_xor_b32 s0, exec_lo, s10
; %bb.312:                              ;   in Loop: Header=BB185_38 Depth=1
	v_bfe_u32 v6, v0, 16, 1
	s_delay_alu instid0(VALU_DEP_1)
	v_add3_u32 v6, v0, v6, 0x7fff
                                        ; implicit-def: $vgpr0
; %bb.313:                              ;   in Loop: Header=BB185_38 Depth=1
	s_and_not1_saveexec_b32 s10, s0
; %bb.314:                              ;   in Loop: Header=BB185_38 Depth=1
	v_and_b32_e32 v6, 0xffff, v0
	v_or_b32_e32 v21, 0x10000, v0
	s_delay_alu instid0(VALU_DEP_2) | instskip(NEXT) | instid1(VALU_DEP_1)
	v_cmp_eq_u32_e64 s0, 0, v6
	v_cndmask_b32_e64 v6, v21, v0, s0
; %bb.315:                              ;   in Loop: Header=BB185_38 Depth=1
	s_or_b32 exec_lo, exec_lo, s10
	v_lshlrev_b32_e32 v0, 16, v7
	s_delay_alu instid0(VALU_DEP_1) | instskip(NEXT) | instid1(VALU_DEP_1)
	v_mul_f32_e32 v0, v129, v0
	v_and_b32_e32 v7, 0x7f800000, v0
	s_delay_alu instid0(VALU_DEP_1) | instskip(NEXT) | instid1(VALU_DEP_1)
	v_cmp_ne_u32_e64 s0, 0x7f800000, v7
                                        ; implicit-def: $vgpr7
	s_and_saveexec_b32 s10, s0
	s_delay_alu instid0(SALU_CYCLE_1)
	s_xor_b32 s0, exec_lo, s10
; %bb.316:                              ;   in Loop: Header=BB185_38 Depth=1
	v_bfe_u32 v7, v0, 16, 1
	s_delay_alu instid0(VALU_DEP_1)
	v_add3_u32 v7, v0, v7, 0x7fff
                                        ; implicit-def: $vgpr0
; %bb.317:                              ;   in Loop: Header=BB185_38 Depth=1
	s_and_not1_saveexec_b32 s10, s0
; %bb.318:                              ;   in Loop: Header=BB185_38 Depth=1
	v_and_b32_e32 v7, 0xffff, v0
	v_or_b32_e32 v21, 0x10000, v0
	s_delay_alu instid0(VALU_DEP_2) | instskip(NEXT) | instid1(VALU_DEP_1)
	v_cmp_eq_u32_e64 s0, 0, v7
	v_cndmask_b32_e64 v7, v21, v0, s0
; %bb.319:                              ;   in Loop: Header=BB185_38 Depth=1
	s_or_b32 exec_lo, exec_lo, s10
	v_lshlrev_b32_e32 v0, 16, v1
                                        ; implicit-def: $vgpr74
	s_delay_alu instid0(VALU_DEP_1) | instskip(NEXT) | instid1(VALU_DEP_1)
	v_mul_f32_e32 v0, v131, v0
	v_and_b32_e32 v1, 0x7f800000, v0
	s_delay_alu instid0(VALU_DEP_1) | instskip(NEXT) | instid1(VALU_DEP_1)
	v_cmp_ne_u32_e64 s0, 0x7f800000, v1
	s_and_saveexec_b32 s10, s0
	s_delay_alu instid0(SALU_CYCLE_1)
	s_xor_b32 s0, exec_lo, s10
; %bb.320:                              ;   in Loop: Header=BB185_38 Depth=1
	v_bfe_u32 v1, v0, 16, 1
	s_delay_alu instid0(VALU_DEP_1)
	v_add3_u32 v74, v0, v1, 0x7fff
                                        ; implicit-def: $vgpr0
; %bb.321:                              ;   in Loop: Header=BB185_38 Depth=1
	s_and_not1_saveexec_b32 s10, s0
; %bb.322:                              ;   in Loop: Header=BB185_38 Depth=1
	v_and_b32_e32 v1, 0xffff, v0
	v_or_b32_e32 v21, 0x10000, v0
	s_delay_alu instid0(VALU_DEP_2) | instskip(NEXT) | instid1(VALU_DEP_1)
	v_cmp_eq_u32_e64 s0, 0, v1
	v_cndmask_b32_e64 v74, v21, v0, s0
; %bb.323:                              ;   in Loop: Header=BB185_38 Depth=1
	s_or_b32 exec_lo, exec_lo, s10
	v_lshlrev_b32_e32 v0, 16, v12
                                        ; implicit-def: $vgpr75
	s_delay_alu instid0(VALU_DEP_1) | instskip(NEXT) | instid1(VALU_DEP_1)
	v_mul_f32_e32 v0, v132, v0
	v_and_b32_e32 v1, 0x7f800000, v0
	s_delay_alu instid0(VALU_DEP_1) | instskip(NEXT) | instid1(VALU_DEP_1)
	v_cmp_ne_u32_e64 s0, 0x7f800000, v1
	s_and_saveexec_b32 s10, s0
	s_delay_alu instid0(SALU_CYCLE_1)
	s_xor_b32 s0, exec_lo, s10
; %bb.324:                              ;   in Loop: Header=BB185_38 Depth=1
	v_bfe_u32 v1, v0, 16, 1
	s_delay_alu instid0(VALU_DEP_1)
	v_add3_u32 v75, v0, v1, 0x7fff
                                        ; implicit-def: $vgpr0
; %bb.325:                              ;   in Loop: Header=BB185_38 Depth=1
	s_and_not1_saveexec_b32 s10, s0
; %bb.326:                              ;   in Loop: Header=BB185_38 Depth=1
	v_and_b32_e32 v1, 0xffff, v0
	v_or_b32_e32 v12, 0x10000, v0
	s_delay_alu instid0(VALU_DEP_2) | instskip(NEXT) | instid1(VALU_DEP_1)
	v_cmp_eq_u32_e64 s0, 0, v1
	v_cndmask_b32_e64 v75, v12, v0, s0
; %bb.327:                              ;   in Loop: Header=BB185_38 Depth=1
	s_or_b32 exec_lo, exec_lo, s10
	v_lshlrev_b32_e32 v0, 16, v2
                                        ; implicit-def: $vgpr76
	s_delay_alu instid0(VALU_DEP_1) | instskip(NEXT) | instid1(VALU_DEP_1)
	v_mul_f32_e32 v0, v133, v0
	v_and_b32_e32 v1, 0x7f800000, v0
	s_delay_alu instid0(VALU_DEP_1) | instskip(NEXT) | instid1(VALU_DEP_1)
	v_cmp_ne_u32_e64 s0, 0x7f800000, v1
	s_and_saveexec_b32 s10, s0
	s_delay_alu instid0(SALU_CYCLE_1)
	s_xor_b32 s0, exec_lo, s10
; %bb.328:                              ;   in Loop: Header=BB185_38 Depth=1
	v_bfe_u32 v1, v0, 16, 1
	s_delay_alu instid0(VALU_DEP_1)
	v_add3_u32 v76, v0, v1, 0x7fff
                                        ; implicit-def: $vgpr0
; %bb.329:                              ;   in Loop: Header=BB185_38 Depth=1
	s_and_not1_saveexec_b32 s10, s0
; %bb.330:                              ;   in Loop: Header=BB185_38 Depth=1
	v_and_b32_e32 v1, 0xffff, v0
	v_or_b32_e32 v2, 0x10000, v0
	s_delay_alu instid0(VALU_DEP_2) | instskip(NEXT) | instid1(VALU_DEP_1)
	v_cmp_eq_u32_e64 s0, 0, v1
	v_cndmask_b32_e64 v76, v2, v0, s0
; %bb.331:                              ;   in Loop: Header=BB185_38 Depth=1
	s_or_b32 exec_lo, exec_lo, s10
	v_lshlrev_b32_e32 v0, 16, v5
                                        ; implicit-def: $vgpr77
	s_delay_alu instid0(VALU_DEP_1) | instskip(NEXT) | instid1(VALU_DEP_1)
	v_mul_f32_e32 v0, v134, v0
	v_and_b32_e32 v1, 0x7f800000, v0
	s_delay_alu instid0(VALU_DEP_1) | instskip(NEXT) | instid1(VALU_DEP_1)
	v_cmp_ne_u32_e64 s0, 0x7f800000, v1
	s_and_saveexec_b32 s10, s0
	s_delay_alu instid0(SALU_CYCLE_1)
	s_xor_b32 s0, exec_lo, s10
; %bb.332:                              ;   in Loop: Header=BB185_38 Depth=1
	v_bfe_u32 v1, v0, 16, 1
	s_delay_alu instid0(VALU_DEP_1)
	v_add3_u32 v77, v0, v1, 0x7fff
                                        ; implicit-def: $vgpr0
; %bb.333:                              ;   in Loop: Header=BB185_38 Depth=1
	s_and_not1_saveexec_b32 s10, s0
; %bb.334:                              ;   in Loop: Header=BB185_38 Depth=1
	v_and_b32_e32 v1, 0xffff, v0
	v_or_b32_e32 v2, 0x10000, v0
	s_delay_alu instid0(VALU_DEP_2) | instskip(NEXT) | instid1(VALU_DEP_1)
	v_cmp_eq_u32_e64 s0, 0, v1
	v_cndmask_b32_e64 v77, v2, v0, s0
; %bb.335:                              ;   in Loop: Header=BB185_38 Depth=1
	s_or_b32 exec_lo, exec_lo, s10
	v_lshlrev_b32_e32 v0, 16, v3
                                        ; implicit-def: $vgpr78
	s_delay_alu instid0(VALU_DEP_1) | instskip(NEXT) | instid1(VALU_DEP_1)
	v_mul_f32_e32 v0, v135, v0
	v_and_b32_e32 v1, 0x7f800000, v0
	s_delay_alu instid0(VALU_DEP_1) | instskip(NEXT) | instid1(VALU_DEP_1)
	v_cmp_ne_u32_e64 s0, 0x7f800000, v1
	s_and_saveexec_b32 s10, s0
	s_delay_alu instid0(SALU_CYCLE_1)
	s_xor_b32 s0, exec_lo, s10
; %bb.336:                              ;   in Loop: Header=BB185_38 Depth=1
	v_bfe_u32 v1, v0, 16, 1
	s_delay_alu instid0(VALU_DEP_1)
	v_add3_u32 v78, v0, v1, 0x7fff
                                        ; implicit-def: $vgpr0
; %bb.337:                              ;   in Loop: Header=BB185_38 Depth=1
	s_and_not1_saveexec_b32 s10, s0
; %bb.338:                              ;   in Loop: Header=BB185_38 Depth=1
	v_and_b32_e32 v1, 0xffff, v0
	v_or_b32_e32 v2, 0x10000, v0
	s_delay_alu instid0(VALU_DEP_2) | instskip(NEXT) | instid1(VALU_DEP_1)
	v_cmp_eq_u32_e64 s0, 0, v1
	v_cndmask_b32_e64 v78, v2, v0, s0
; %bb.339:                              ;   in Loop: Header=BB185_38 Depth=1
	s_or_b32 exec_lo, exec_lo, s10
	v_lshlrev_b32_e32 v0, 16, v4
                                        ; implicit-def: $vgpr79
	s_delay_alu instid0(VALU_DEP_1) | instskip(NEXT) | instid1(VALU_DEP_1)
	v_mul_f32_e32 v0, v144, v0
	v_and_b32_e32 v1, 0x7f800000, v0
	s_delay_alu instid0(VALU_DEP_1) | instskip(NEXT) | instid1(VALU_DEP_1)
	v_cmp_ne_u32_e64 s0, 0x7f800000, v1
	s_and_saveexec_b32 s10, s0
	s_delay_alu instid0(SALU_CYCLE_1)
	s_xor_b32 s0, exec_lo, s10
; %bb.340:                              ;   in Loop: Header=BB185_38 Depth=1
	v_bfe_u32 v1, v0, 16, 1
	s_delay_alu instid0(VALU_DEP_1)
	v_add3_u32 v79, v0, v1, 0x7fff
                                        ; implicit-def: $vgpr0
; %bb.341:                              ;   in Loop: Header=BB185_38 Depth=1
	s_and_not1_saveexec_b32 s10, s0
; %bb.342:                              ;   in Loop: Header=BB185_38 Depth=1
	v_and_b32_e32 v1, 0xffff, v0
	v_or_b32_e32 v2, 0x10000, v0
	s_delay_alu instid0(VALU_DEP_2) | instskip(NEXT) | instid1(VALU_DEP_1)
	v_cmp_eq_u32_e64 s0, 0, v1
	v_cndmask_b32_e64 v79, v2, v0, s0
; %bb.343:                              ;   in Loop: Header=BB185_38 Depth=1
	s_or_b32 exec_lo, exec_lo, s10
	v_add_co_u32 v0, s0, v118, v14
	s_delay_alu instid0(VALU_DEP_1)
	v_add_co_ci_u32_e64 v1, s0, 0, v119, s0
	flat_load_b128 v[0:3], v[0:1]
	s_waitcnt vmcnt(0) lgkmcnt(0)
	v_lshrrev_b32_e32 v21, 16, v0
	v_lshrrev_b32_e32 v12, 16, v1
	;; [unrolled: 1-line block ×4, first 2 shown]
	s_and_saveexec_b32 s10, vcc_lo
	s_cbranch_execz .LBB185_345
; %bb.344:                              ;   in Loop: Header=BB185_38 Depth=1
	v_cmp_lt_i32_e64 s0, v101, v86
	s_delay_alu instid0(VALU_DEP_1) | instskip(SKIP_1) | instid1(VALU_DEP_1)
	v_cndmask_b32_e64 v0, 0, v0, s0
	v_cmp_lt_i32_e64 s0, v116, v86
	v_cndmask_b32_e64 v21, 0, v21, s0
	v_cmp_lt_i32_e64 s0, v115, v86
	s_delay_alu instid0(VALU_DEP_1) | instskip(SKIP_1) | instid1(VALU_DEP_1)
	v_cndmask_b32_e64 v1, 0, v1, s0
	v_cmp_lt_i32_e64 s0, v113, v86
	v_cndmask_b32_e64 v12, 0, v12, s0
	;; [unrolled: 5-line block ×4, first 2 shown]
.LBB185_345:                            ;   in Loop: Header=BB185_38 Depth=1
	s_or_b32 exec_lo, exec_lo, s10
	v_lshlrev_b32_e32 v0, 16, v0
                                        ; implicit-def: $vgpr88
	s_delay_alu instid0(VALU_DEP_1) | instskip(NEXT) | instid1(VALU_DEP_1)
	v_mul_f32_e32 v0, v128, v0
	v_and_b32_e32 v25, 0x7f800000, v0
	s_delay_alu instid0(VALU_DEP_1) | instskip(NEXT) | instid1(VALU_DEP_1)
	v_cmp_ne_u32_e64 s0, 0x7f800000, v25
	s_and_saveexec_b32 s10, s0
	s_delay_alu instid0(SALU_CYCLE_1)
	s_xor_b32 s0, exec_lo, s10
; %bb.346:                              ;   in Loop: Header=BB185_38 Depth=1
	v_bfe_u32 v25, v0, 16, 1
	s_delay_alu instid0(VALU_DEP_1)
	v_add3_u32 v88, v0, v25, 0x7fff
                                        ; implicit-def: $vgpr0
; %bb.347:                              ;   in Loop: Header=BB185_38 Depth=1
	s_and_not1_saveexec_b32 s10, s0
; %bb.348:                              ;   in Loop: Header=BB185_38 Depth=1
	v_and_b32_e32 v25, 0xffff, v0
	v_or_b32_e32 v39, 0x10000, v0
	s_delay_alu instid0(VALU_DEP_2) | instskip(NEXT) | instid1(VALU_DEP_1)
	v_cmp_eq_u32_e64 s0, 0, v25
	v_cndmask_b32_e64 v88, v39, v0, s0
; %bb.349:                              ;   in Loop: Header=BB185_38 Depth=1
	s_or_b32 exec_lo, exec_lo, s10
	v_lshlrev_b32_e32 v0, 16, v21
                                        ; implicit-def: $vgpr89
	s_delay_alu instid0(VALU_DEP_1) | instskip(NEXT) | instid1(VALU_DEP_1)
	v_mul_f32_e32 v0, v129, v0
	v_and_b32_e32 v21, 0x7f800000, v0
	s_delay_alu instid0(VALU_DEP_1) | instskip(NEXT) | instid1(VALU_DEP_1)
	v_cmp_ne_u32_e64 s0, 0x7f800000, v21
	s_and_saveexec_b32 s10, s0
	s_delay_alu instid0(SALU_CYCLE_1)
	s_xor_b32 s0, exec_lo, s10
; %bb.350:                              ;   in Loop: Header=BB185_38 Depth=1
	v_bfe_u32 v21, v0, 16, 1
	s_delay_alu instid0(VALU_DEP_1)
	v_add3_u32 v89, v0, v21, 0x7fff
                                        ; implicit-def: $vgpr0
; %bb.351:                              ;   in Loop: Header=BB185_38 Depth=1
	s_and_not1_saveexec_b32 s10, s0
; %bb.352:                              ;   in Loop: Header=BB185_38 Depth=1
	v_and_b32_e32 v21, 0xffff, v0
	v_or_b32_e32 v25, 0x10000, v0
	s_delay_alu instid0(VALU_DEP_2) | instskip(NEXT) | instid1(VALU_DEP_1)
	v_cmp_eq_u32_e64 s0, 0, v21
	v_cndmask_b32_e64 v89, v25, v0, s0
; %bb.353:                              ;   in Loop: Header=BB185_38 Depth=1
	s_or_b32 exec_lo, exec_lo, s10
	v_lshlrev_b32_e32 v0, 16, v1
                                        ; implicit-def: $vgpr90
	s_delay_alu instid0(VALU_DEP_1) | instskip(NEXT) | instid1(VALU_DEP_1)
	v_mul_f32_e32 v0, v131, v0
	v_and_b32_e32 v1, 0x7f800000, v0
	s_delay_alu instid0(VALU_DEP_1) | instskip(NEXT) | instid1(VALU_DEP_1)
	v_cmp_ne_u32_e64 s0, 0x7f800000, v1
	s_and_saveexec_b32 s10, s0
	s_delay_alu instid0(SALU_CYCLE_1)
	s_xor_b32 s0, exec_lo, s10
; %bb.354:                              ;   in Loop: Header=BB185_38 Depth=1
	v_bfe_u32 v1, v0, 16, 1
	s_delay_alu instid0(VALU_DEP_1)
	v_add3_u32 v90, v0, v1, 0x7fff
                                        ; implicit-def: $vgpr0
; %bb.355:                              ;   in Loop: Header=BB185_38 Depth=1
	s_and_not1_saveexec_b32 s10, s0
; %bb.356:                              ;   in Loop: Header=BB185_38 Depth=1
	v_and_b32_e32 v1, 0xffff, v0
	v_or_b32_e32 v21, 0x10000, v0
	s_delay_alu instid0(VALU_DEP_2) | instskip(NEXT) | instid1(VALU_DEP_1)
	v_cmp_eq_u32_e64 s0, 0, v1
	v_cndmask_b32_e64 v90, v21, v0, s0
; %bb.357:                              ;   in Loop: Header=BB185_38 Depth=1
	s_or_b32 exec_lo, exec_lo, s10
	v_lshlrev_b32_e32 v0, 16, v12
                                        ; implicit-def: $vgpr91
	s_delay_alu instid0(VALU_DEP_1) | instskip(NEXT) | instid1(VALU_DEP_1)
	v_mul_f32_e32 v0, v132, v0
	v_and_b32_e32 v1, 0x7f800000, v0
	s_delay_alu instid0(VALU_DEP_1) | instskip(NEXT) | instid1(VALU_DEP_1)
	v_cmp_ne_u32_e64 s0, 0x7f800000, v1
	s_and_saveexec_b32 s10, s0
	s_delay_alu instid0(SALU_CYCLE_1)
	s_xor_b32 s0, exec_lo, s10
; %bb.358:                              ;   in Loop: Header=BB185_38 Depth=1
	v_bfe_u32 v1, v0, 16, 1
	s_delay_alu instid0(VALU_DEP_1)
	v_add3_u32 v91, v0, v1, 0x7fff
                                        ; implicit-def: $vgpr0
; %bb.359:                              ;   in Loop: Header=BB185_38 Depth=1
	s_and_not1_saveexec_b32 s10, s0
; %bb.360:                              ;   in Loop: Header=BB185_38 Depth=1
	v_and_b32_e32 v1, 0xffff, v0
	v_or_b32_e32 v12, 0x10000, v0
	s_delay_alu instid0(VALU_DEP_2) | instskip(NEXT) | instid1(VALU_DEP_1)
	v_cmp_eq_u32_e64 s0, 0, v1
	v_cndmask_b32_e64 v91, v12, v0, s0
; %bb.361:                              ;   in Loop: Header=BB185_38 Depth=1
	s_or_b32 exec_lo, exec_lo, s10
	v_lshlrev_b32_e32 v0, 16, v2
                                        ; implicit-def: $vgpr92
	s_delay_alu instid0(VALU_DEP_1) | instskip(NEXT) | instid1(VALU_DEP_1)
	v_mul_f32_e32 v0, v133, v0
	v_and_b32_e32 v1, 0x7f800000, v0
	s_delay_alu instid0(VALU_DEP_1) | instskip(NEXT) | instid1(VALU_DEP_1)
	v_cmp_ne_u32_e64 s0, 0x7f800000, v1
	s_and_saveexec_b32 s10, s0
	s_delay_alu instid0(SALU_CYCLE_1)
	s_xor_b32 s0, exec_lo, s10
; %bb.362:                              ;   in Loop: Header=BB185_38 Depth=1
	v_bfe_u32 v1, v0, 16, 1
	s_delay_alu instid0(VALU_DEP_1)
	v_add3_u32 v92, v0, v1, 0x7fff
                                        ; implicit-def: $vgpr0
; %bb.363:                              ;   in Loop: Header=BB185_38 Depth=1
	s_and_not1_saveexec_b32 s10, s0
; %bb.364:                              ;   in Loop: Header=BB185_38 Depth=1
	v_and_b32_e32 v1, 0xffff, v0
	v_or_b32_e32 v2, 0x10000, v0
	s_delay_alu instid0(VALU_DEP_2) | instskip(NEXT) | instid1(VALU_DEP_1)
	v_cmp_eq_u32_e64 s0, 0, v1
	v_cndmask_b32_e64 v92, v2, v0, s0
; %bb.365:                              ;   in Loop: Header=BB185_38 Depth=1
	s_or_b32 exec_lo, exec_lo, s10
	v_lshlrev_b32_e32 v0, 16, v5
                                        ; implicit-def: $vgpr93
	s_delay_alu instid0(VALU_DEP_1) | instskip(NEXT) | instid1(VALU_DEP_1)
	v_mul_f32_e32 v0, v134, v0
	v_and_b32_e32 v1, 0x7f800000, v0
	s_delay_alu instid0(VALU_DEP_1) | instskip(NEXT) | instid1(VALU_DEP_1)
	v_cmp_ne_u32_e64 s0, 0x7f800000, v1
	s_and_saveexec_b32 s10, s0
	s_delay_alu instid0(SALU_CYCLE_1)
	s_xor_b32 s0, exec_lo, s10
; %bb.366:                              ;   in Loop: Header=BB185_38 Depth=1
	v_bfe_u32 v1, v0, 16, 1
	s_delay_alu instid0(VALU_DEP_1)
	v_add3_u32 v93, v0, v1, 0x7fff
                                        ; implicit-def: $vgpr0
; %bb.367:                              ;   in Loop: Header=BB185_38 Depth=1
	s_and_not1_saveexec_b32 s10, s0
; %bb.368:                              ;   in Loop: Header=BB185_38 Depth=1
	v_and_b32_e32 v1, 0xffff, v0
	v_or_b32_e32 v2, 0x10000, v0
	s_delay_alu instid0(VALU_DEP_2) | instskip(NEXT) | instid1(VALU_DEP_1)
	v_cmp_eq_u32_e64 s0, 0, v1
	v_cndmask_b32_e64 v93, v2, v0, s0
; %bb.369:                              ;   in Loop: Header=BB185_38 Depth=1
	s_or_b32 exec_lo, exec_lo, s10
	v_lshlrev_b32_e32 v0, 16, v3
                                        ; implicit-def: $vgpr94
	s_delay_alu instid0(VALU_DEP_1) | instskip(NEXT) | instid1(VALU_DEP_1)
	v_mul_f32_e32 v0, v135, v0
	v_and_b32_e32 v1, 0x7f800000, v0
	s_delay_alu instid0(VALU_DEP_1) | instskip(NEXT) | instid1(VALU_DEP_1)
	v_cmp_ne_u32_e64 s0, 0x7f800000, v1
	s_and_saveexec_b32 s10, s0
	s_delay_alu instid0(SALU_CYCLE_1)
	s_xor_b32 s0, exec_lo, s10
; %bb.370:                              ;   in Loop: Header=BB185_38 Depth=1
	v_bfe_u32 v1, v0, 16, 1
	s_delay_alu instid0(VALU_DEP_1)
	v_add3_u32 v94, v0, v1, 0x7fff
                                        ; implicit-def: $vgpr0
; %bb.371:                              ;   in Loop: Header=BB185_38 Depth=1
	s_and_not1_saveexec_b32 s10, s0
; %bb.372:                              ;   in Loop: Header=BB185_38 Depth=1
	v_and_b32_e32 v1, 0xffff, v0
	v_or_b32_e32 v2, 0x10000, v0
	s_delay_alu instid0(VALU_DEP_2) | instskip(NEXT) | instid1(VALU_DEP_1)
	v_cmp_eq_u32_e64 s0, 0, v1
	v_cndmask_b32_e64 v94, v2, v0, s0
; %bb.373:                              ;   in Loop: Header=BB185_38 Depth=1
	s_or_b32 exec_lo, exec_lo, s10
	v_lshlrev_b32_e32 v0, 16, v4
                                        ; implicit-def: $vgpr95
	s_delay_alu instid0(VALU_DEP_1) | instskip(NEXT) | instid1(VALU_DEP_1)
	v_mul_f32_e32 v0, v144, v0
	v_and_b32_e32 v1, 0x7f800000, v0
	s_delay_alu instid0(VALU_DEP_1) | instskip(NEXT) | instid1(VALU_DEP_1)
	v_cmp_ne_u32_e64 s0, 0x7f800000, v1
	s_and_saveexec_b32 s10, s0
	s_delay_alu instid0(SALU_CYCLE_1)
	s_xor_b32 s0, exec_lo, s10
; %bb.374:                              ;   in Loop: Header=BB185_38 Depth=1
	v_bfe_u32 v1, v0, 16, 1
	s_delay_alu instid0(VALU_DEP_1)
	v_add3_u32 v95, v0, v1, 0x7fff
                                        ; implicit-def: $vgpr0
; %bb.375:                              ;   in Loop: Header=BB185_38 Depth=1
	s_and_not1_saveexec_b32 s10, s0
; %bb.376:                              ;   in Loop: Header=BB185_38 Depth=1
	v_and_b32_e32 v1, 0xffff, v0
	v_or_b32_e32 v2, 0x10000, v0
	s_delay_alu instid0(VALU_DEP_2) | instskip(NEXT) | instid1(VALU_DEP_1)
	v_cmp_eq_u32_e64 s0, 0, v1
	v_cndmask_b32_e64 v95, v2, v0, s0
; %bb.377:                              ;   in Loop: Header=BB185_38 Depth=1
	s_or_b32 exec_lo, exec_lo, s10
	v_add_co_u32 v0, s0, v118, v15
	s_delay_alu instid0(VALU_DEP_1)
	v_add_co_ci_u32_e64 v1, s0, 0, v119, s0
	flat_load_b128 v[0:3], v[0:1]
	s_waitcnt vmcnt(0) lgkmcnt(0)
	v_lshrrev_b32_e32 v21, 16, v0
	v_lshrrev_b32_e32 v12, 16, v1
	;; [unrolled: 1-line block ×4, first 2 shown]
	s_and_saveexec_b32 s10, vcc_lo
	s_cbranch_execz .LBB185_379
; %bb.378:                              ;   in Loop: Header=BB185_38 Depth=1
	v_cmp_lt_i32_e64 s0, v101, v86
	s_delay_alu instid0(VALU_DEP_1) | instskip(SKIP_1) | instid1(VALU_DEP_1)
	v_cndmask_b32_e64 v0, 0, v0, s0
	v_cmp_lt_i32_e64 s0, v116, v86
	v_cndmask_b32_e64 v21, 0, v21, s0
	v_cmp_lt_i32_e64 s0, v115, v86
	s_delay_alu instid0(VALU_DEP_1) | instskip(SKIP_1) | instid1(VALU_DEP_1)
	v_cndmask_b32_e64 v1, 0, v1, s0
	v_cmp_lt_i32_e64 s0, v113, v86
	v_cndmask_b32_e64 v12, 0, v12, s0
	v_cmp_lt_i32_e64 s0, v112, v86
	s_delay_alu instid0(VALU_DEP_1) | instskip(SKIP_1) | instid1(VALU_DEP_1)
	v_cndmask_b32_e64 v2, 0, v2, s0
	v_cmp_lt_i32_e64 s0, v103, v86
	v_cndmask_b32_e64 v5, 0, v5, s0
	v_cmp_lt_i32_e64 s0, v102, v86
	s_delay_alu instid0(VALU_DEP_1) | instskip(SKIP_1) | instid1(VALU_DEP_1)
	v_cndmask_b32_e64 v3, 0, v3, s0
	v_cmp_lt_i32_e64 s0, v114, v86
	v_cndmask_b32_e64 v4, 0, v4, s0
.LBB185_379:                            ;   in Loop: Header=BB185_38 Depth=1
	s_or_b32 exec_lo, exec_lo, s10
	v_lshlrev_b32_e32 v0, 16, v0
                                        ; implicit-def: $vgpr104
	s_delay_alu instid0(VALU_DEP_1) | instskip(NEXT) | instid1(VALU_DEP_1)
	v_mul_f32_e32 v0, v128, v0
	v_and_b32_e32 v25, 0x7f800000, v0
	s_delay_alu instid0(VALU_DEP_1) | instskip(NEXT) | instid1(VALU_DEP_1)
	v_cmp_ne_u32_e64 s0, 0x7f800000, v25
	s_and_saveexec_b32 s10, s0
	s_delay_alu instid0(SALU_CYCLE_1)
	s_xor_b32 s0, exec_lo, s10
; %bb.380:                              ;   in Loop: Header=BB185_38 Depth=1
	v_bfe_u32 v25, v0, 16, 1
	s_delay_alu instid0(VALU_DEP_1)
	v_add3_u32 v104, v0, v25, 0x7fff
                                        ; implicit-def: $vgpr0
; %bb.381:                              ;   in Loop: Header=BB185_38 Depth=1
	s_and_not1_saveexec_b32 s10, s0
; %bb.382:                              ;   in Loop: Header=BB185_38 Depth=1
	v_and_b32_e32 v25, 0xffff, v0
	v_or_b32_e32 v39, 0x10000, v0
	s_delay_alu instid0(VALU_DEP_2) | instskip(NEXT) | instid1(VALU_DEP_1)
	v_cmp_eq_u32_e64 s0, 0, v25
	v_cndmask_b32_e64 v104, v39, v0, s0
; %bb.383:                              ;   in Loop: Header=BB185_38 Depth=1
	s_or_b32 exec_lo, exec_lo, s10
	v_lshlrev_b32_e32 v0, 16, v21
                                        ; implicit-def: $vgpr105
	s_delay_alu instid0(VALU_DEP_1) | instskip(NEXT) | instid1(VALU_DEP_1)
	v_mul_f32_e32 v0, v129, v0
	v_and_b32_e32 v21, 0x7f800000, v0
	s_delay_alu instid0(VALU_DEP_1) | instskip(NEXT) | instid1(VALU_DEP_1)
	v_cmp_ne_u32_e64 s0, 0x7f800000, v21
	s_and_saveexec_b32 s10, s0
	s_delay_alu instid0(SALU_CYCLE_1)
	s_xor_b32 s0, exec_lo, s10
; %bb.384:                              ;   in Loop: Header=BB185_38 Depth=1
	v_bfe_u32 v21, v0, 16, 1
	s_delay_alu instid0(VALU_DEP_1)
	v_add3_u32 v105, v0, v21, 0x7fff
                                        ; implicit-def: $vgpr0
; %bb.385:                              ;   in Loop: Header=BB185_38 Depth=1
	s_and_not1_saveexec_b32 s10, s0
; %bb.386:                              ;   in Loop: Header=BB185_38 Depth=1
	v_and_b32_e32 v21, 0xffff, v0
	v_or_b32_e32 v25, 0x10000, v0
	s_delay_alu instid0(VALU_DEP_2) | instskip(NEXT) | instid1(VALU_DEP_1)
	v_cmp_eq_u32_e64 s0, 0, v21
	v_cndmask_b32_e64 v105, v25, v0, s0
; %bb.387:                              ;   in Loop: Header=BB185_38 Depth=1
	s_or_b32 exec_lo, exec_lo, s10
	v_lshlrev_b32_e32 v0, 16, v1
                                        ; implicit-def: $vgpr106
	s_delay_alu instid0(VALU_DEP_1) | instskip(NEXT) | instid1(VALU_DEP_1)
	v_mul_f32_e32 v0, v131, v0
	v_and_b32_e32 v1, 0x7f800000, v0
	s_delay_alu instid0(VALU_DEP_1) | instskip(NEXT) | instid1(VALU_DEP_1)
	v_cmp_ne_u32_e64 s0, 0x7f800000, v1
	s_and_saveexec_b32 s10, s0
	s_delay_alu instid0(SALU_CYCLE_1)
	s_xor_b32 s0, exec_lo, s10
; %bb.388:                              ;   in Loop: Header=BB185_38 Depth=1
	v_bfe_u32 v1, v0, 16, 1
	s_delay_alu instid0(VALU_DEP_1)
	v_add3_u32 v106, v0, v1, 0x7fff
                                        ; implicit-def: $vgpr0
; %bb.389:                              ;   in Loop: Header=BB185_38 Depth=1
	s_and_not1_saveexec_b32 s10, s0
; %bb.390:                              ;   in Loop: Header=BB185_38 Depth=1
	v_and_b32_e32 v1, 0xffff, v0
	v_or_b32_e32 v21, 0x10000, v0
	s_delay_alu instid0(VALU_DEP_2) | instskip(NEXT) | instid1(VALU_DEP_1)
	v_cmp_eq_u32_e64 s0, 0, v1
	v_cndmask_b32_e64 v106, v21, v0, s0
; %bb.391:                              ;   in Loop: Header=BB185_38 Depth=1
	s_or_b32 exec_lo, exec_lo, s10
	v_lshlrev_b32_e32 v0, 16, v12
                                        ; implicit-def: $vgpr107
	s_delay_alu instid0(VALU_DEP_1) | instskip(NEXT) | instid1(VALU_DEP_1)
	v_mul_f32_e32 v0, v132, v0
	v_and_b32_e32 v1, 0x7f800000, v0
	s_delay_alu instid0(VALU_DEP_1) | instskip(NEXT) | instid1(VALU_DEP_1)
	v_cmp_ne_u32_e64 s0, 0x7f800000, v1
	s_and_saveexec_b32 s10, s0
	s_delay_alu instid0(SALU_CYCLE_1)
	s_xor_b32 s0, exec_lo, s10
; %bb.392:                              ;   in Loop: Header=BB185_38 Depth=1
	v_bfe_u32 v1, v0, 16, 1
	s_delay_alu instid0(VALU_DEP_1)
	v_add3_u32 v107, v0, v1, 0x7fff
                                        ; implicit-def: $vgpr0
; %bb.393:                              ;   in Loop: Header=BB185_38 Depth=1
	s_and_not1_saveexec_b32 s10, s0
; %bb.394:                              ;   in Loop: Header=BB185_38 Depth=1
	v_and_b32_e32 v1, 0xffff, v0
	v_or_b32_e32 v12, 0x10000, v0
	s_delay_alu instid0(VALU_DEP_2) | instskip(NEXT) | instid1(VALU_DEP_1)
	v_cmp_eq_u32_e64 s0, 0, v1
	v_cndmask_b32_e64 v107, v12, v0, s0
; %bb.395:                              ;   in Loop: Header=BB185_38 Depth=1
	s_or_b32 exec_lo, exec_lo, s10
	v_lshlrev_b32_e32 v0, 16, v2
                                        ; implicit-def: $vgpr108
	s_delay_alu instid0(VALU_DEP_1) | instskip(NEXT) | instid1(VALU_DEP_1)
	v_mul_f32_e32 v0, v133, v0
	v_and_b32_e32 v1, 0x7f800000, v0
	s_delay_alu instid0(VALU_DEP_1) | instskip(NEXT) | instid1(VALU_DEP_1)
	v_cmp_ne_u32_e64 s0, 0x7f800000, v1
	s_and_saveexec_b32 s10, s0
	s_delay_alu instid0(SALU_CYCLE_1)
	s_xor_b32 s0, exec_lo, s10
; %bb.396:                              ;   in Loop: Header=BB185_38 Depth=1
	v_bfe_u32 v1, v0, 16, 1
	s_delay_alu instid0(VALU_DEP_1)
	v_add3_u32 v108, v0, v1, 0x7fff
                                        ; implicit-def: $vgpr0
; %bb.397:                              ;   in Loop: Header=BB185_38 Depth=1
	s_and_not1_saveexec_b32 s10, s0
; %bb.398:                              ;   in Loop: Header=BB185_38 Depth=1
	v_and_b32_e32 v1, 0xffff, v0
	v_or_b32_e32 v2, 0x10000, v0
	s_delay_alu instid0(VALU_DEP_2) | instskip(NEXT) | instid1(VALU_DEP_1)
	v_cmp_eq_u32_e64 s0, 0, v1
	v_cndmask_b32_e64 v108, v2, v0, s0
; %bb.399:                              ;   in Loop: Header=BB185_38 Depth=1
	s_or_b32 exec_lo, exec_lo, s10
	v_lshlrev_b32_e32 v0, 16, v5
                                        ; implicit-def: $vgpr109
	s_delay_alu instid0(VALU_DEP_1) | instskip(NEXT) | instid1(VALU_DEP_1)
	v_mul_f32_e32 v0, v134, v0
	v_and_b32_e32 v1, 0x7f800000, v0
	s_delay_alu instid0(VALU_DEP_1) | instskip(NEXT) | instid1(VALU_DEP_1)
	v_cmp_ne_u32_e64 s0, 0x7f800000, v1
	s_and_saveexec_b32 s10, s0
	s_delay_alu instid0(SALU_CYCLE_1)
	s_xor_b32 s0, exec_lo, s10
; %bb.400:                              ;   in Loop: Header=BB185_38 Depth=1
	v_bfe_u32 v1, v0, 16, 1
	s_delay_alu instid0(VALU_DEP_1)
	v_add3_u32 v109, v0, v1, 0x7fff
                                        ; implicit-def: $vgpr0
; %bb.401:                              ;   in Loop: Header=BB185_38 Depth=1
	s_and_not1_saveexec_b32 s10, s0
; %bb.402:                              ;   in Loop: Header=BB185_38 Depth=1
	v_and_b32_e32 v1, 0xffff, v0
	v_or_b32_e32 v2, 0x10000, v0
	s_delay_alu instid0(VALU_DEP_2) | instskip(NEXT) | instid1(VALU_DEP_1)
	v_cmp_eq_u32_e64 s0, 0, v1
	v_cndmask_b32_e64 v109, v2, v0, s0
; %bb.403:                              ;   in Loop: Header=BB185_38 Depth=1
	s_or_b32 exec_lo, exec_lo, s10
	v_lshlrev_b32_e32 v0, 16, v3
                                        ; implicit-def: $vgpr110
	s_delay_alu instid0(VALU_DEP_1) | instskip(NEXT) | instid1(VALU_DEP_1)
	v_mul_f32_e32 v0, v135, v0
	v_and_b32_e32 v1, 0x7f800000, v0
	s_delay_alu instid0(VALU_DEP_1) | instskip(NEXT) | instid1(VALU_DEP_1)
	v_cmp_ne_u32_e64 s0, 0x7f800000, v1
	s_and_saveexec_b32 s10, s0
	s_delay_alu instid0(SALU_CYCLE_1)
	s_xor_b32 s0, exec_lo, s10
; %bb.404:                              ;   in Loop: Header=BB185_38 Depth=1
	v_bfe_u32 v1, v0, 16, 1
	s_delay_alu instid0(VALU_DEP_1)
	v_add3_u32 v110, v0, v1, 0x7fff
                                        ; implicit-def: $vgpr0
; %bb.405:                              ;   in Loop: Header=BB185_38 Depth=1
	s_and_not1_saveexec_b32 s10, s0
; %bb.406:                              ;   in Loop: Header=BB185_38 Depth=1
	v_and_b32_e32 v1, 0xffff, v0
	v_or_b32_e32 v2, 0x10000, v0
	s_delay_alu instid0(VALU_DEP_2) | instskip(NEXT) | instid1(VALU_DEP_1)
	v_cmp_eq_u32_e64 s0, 0, v1
	v_cndmask_b32_e64 v110, v2, v0, s0
; %bb.407:                              ;   in Loop: Header=BB185_38 Depth=1
	s_or_b32 exec_lo, exec_lo, s10
	v_lshlrev_b32_e32 v0, 16, v4
                                        ; implicit-def: $vgpr111
	s_delay_alu instid0(VALU_DEP_1) | instskip(NEXT) | instid1(VALU_DEP_1)
	v_mul_f32_e32 v0, v144, v0
	v_and_b32_e32 v1, 0x7f800000, v0
	s_delay_alu instid0(VALU_DEP_1) | instskip(NEXT) | instid1(VALU_DEP_1)
	v_cmp_ne_u32_e64 s0, 0x7f800000, v1
	s_and_saveexec_b32 s10, s0
	s_delay_alu instid0(SALU_CYCLE_1)
	s_xor_b32 s0, exec_lo, s10
; %bb.408:                              ;   in Loop: Header=BB185_38 Depth=1
	v_bfe_u32 v1, v0, 16, 1
	s_delay_alu instid0(VALU_DEP_1)
	v_add3_u32 v111, v0, v1, 0x7fff
                                        ; implicit-def: $vgpr0
; %bb.409:                              ;   in Loop: Header=BB185_38 Depth=1
	s_and_not1_saveexec_b32 s10, s0
; %bb.410:                              ;   in Loop: Header=BB185_38 Depth=1
	v_and_b32_e32 v1, 0xffff, v0
	v_or_b32_e32 v2, 0x10000, v0
	s_delay_alu instid0(VALU_DEP_2) | instskip(NEXT) | instid1(VALU_DEP_1)
	v_cmp_eq_u32_e64 s0, 0, v1
	v_cndmask_b32_e64 v111, v2, v0, s0
; %bb.411:                              ;   in Loop: Header=BB185_38 Depth=1
	s_or_b32 exec_lo, exec_lo, s10
	v_add_co_u32 v0, s0, v118, v53
	s_delay_alu instid0(VALU_DEP_1)
	v_add_co_ci_u32_e64 v1, s0, 0, v119, s0
	flat_load_b128 v[0:3], v[0:1]
	s_waitcnt vmcnt(0) lgkmcnt(0)
	v_lshrrev_b32_e32 v5, 16, v0
	v_lshrrev_b32_e32 v21, 16, v1
	;; [unrolled: 1-line block ×4, first 2 shown]
	s_and_saveexec_b32 s10, vcc_lo
	s_cbranch_execz .LBB185_413
; %bb.412:                              ;   in Loop: Header=BB185_38 Depth=1
	v_cmp_lt_i32_e64 s0, v101, v86
	s_delay_alu instid0(VALU_DEP_1) | instskip(SKIP_1) | instid1(VALU_DEP_1)
	v_cndmask_b32_e64 v0, 0, v0, s0
	v_cmp_lt_i32_e64 s0, v116, v86
	v_cndmask_b32_e64 v5, 0, v5, s0
	v_cmp_lt_i32_e64 s0, v115, v86
	s_delay_alu instid0(VALU_DEP_1) | instskip(SKIP_1) | instid1(VALU_DEP_1)
	v_cndmask_b32_e64 v1, 0, v1, s0
	v_cmp_lt_i32_e64 s0, v113, v86
	v_cndmask_b32_e64 v21, 0, v21, s0
	;; [unrolled: 5-line block ×4, first 2 shown]
.LBB185_413:                            ;   in Loop: Header=BB185_38 Depth=1
	s_or_b32 exec_lo, exec_lo, s10
	v_lshlrev_b32_e32 v0, 16, v0
	s_delay_alu instid0(VALU_DEP_1) | instskip(NEXT) | instid1(VALU_DEP_1)
	v_mul_f32_e32 v0, v128, v0
	v_and_b32_e32 v4, 0x7f800000, v0
	s_delay_alu instid0(VALU_DEP_1) | instskip(NEXT) | instid1(VALU_DEP_1)
	v_cmp_ne_u32_e64 s0, 0x7f800000, v4
                                        ; implicit-def: $vgpr4
	s_and_saveexec_b32 s10, s0
	s_delay_alu instid0(SALU_CYCLE_1)
	s_xor_b32 s0, exec_lo, s10
; %bb.414:                              ;   in Loop: Header=BB185_38 Depth=1
	v_bfe_u32 v4, v0, 16, 1
	s_delay_alu instid0(VALU_DEP_1)
	v_add3_u32 v4, v0, v4, 0x7fff
                                        ; implicit-def: $vgpr0
; %bb.415:                              ;   in Loop: Header=BB185_38 Depth=1
	s_and_not1_saveexec_b32 s10, s0
; %bb.416:                              ;   in Loop: Header=BB185_38 Depth=1
	v_and_b32_e32 v4, 0xffff, v0
	v_or_b32_e32 v12, 0x10000, v0
	s_delay_alu instid0(VALU_DEP_2) | instskip(NEXT) | instid1(VALU_DEP_1)
	v_cmp_eq_u32_e64 s0, 0, v4
	v_cndmask_b32_e64 v4, v12, v0, s0
; %bb.417:                              ;   in Loop: Header=BB185_38 Depth=1
	s_or_b32 exec_lo, exec_lo, s10
	v_lshlrev_b32_e32 v0, 16, v5
	s_delay_alu instid0(VALU_DEP_1) | instskip(NEXT) | instid1(VALU_DEP_1)
	v_mul_f32_e32 v0, v129, v0
	v_and_b32_e32 v5, 0x7f800000, v0
	s_delay_alu instid0(VALU_DEP_1) | instskip(NEXT) | instid1(VALU_DEP_1)
	v_cmp_ne_u32_e64 s0, 0x7f800000, v5
                                        ; implicit-def: $vgpr5
	s_and_saveexec_b32 s10, s0
	s_delay_alu instid0(SALU_CYCLE_1)
	s_xor_b32 s0, exec_lo, s10
; %bb.418:                              ;   in Loop: Header=BB185_38 Depth=1
	v_bfe_u32 v5, v0, 16, 1
	s_delay_alu instid0(VALU_DEP_1)
	v_add3_u32 v5, v0, v5, 0x7fff
                                        ; implicit-def: $vgpr0
; %bb.419:                              ;   in Loop: Header=BB185_38 Depth=1
	s_and_not1_saveexec_b32 s10, s0
; %bb.420:                              ;   in Loop: Header=BB185_38 Depth=1
	v_and_b32_e32 v5, 0xffff, v0
	v_or_b32_e32 v12, 0x10000, v0
	s_delay_alu instid0(VALU_DEP_2) | instskip(NEXT) | instid1(VALU_DEP_1)
	v_cmp_eq_u32_e64 s0, 0, v5
	v_cndmask_b32_e64 v5, v12, v0, s0
; %bb.421:                              ;   in Loop: Header=BB185_38 Depth=1
	s_or_b32 exec_lo, exec_lo, s10
	v_lshlrev_b32_e32 v0, 16, v1
                                        ; implicit-def: $vgpr12
	s_delay_alu instid0(VALU_DEP_1) | instskip(NEXT) | instid1(VALU_DEP_1)
	v_mul_f32_e32 v0, v131, v0
	v_and_b32_e32 v1, 0x7f800000, v0
	s_delay_alu instid0(VALU_DEP_1) | instskip(NEXT) | instid1(VALU_DEP_1)
	v_cmp_ne_u32_e64 s0, 0x7f800000, v1
	s_and_saveexec_b32 s10, s0
	s_delay_alu instid0(SALU_CYCLE_1)
	s_xor_b32 s0, exec_lo, s10
; %bb.422:                              ;   in Loop: Header=BB185_38 Depth=1
	v_bfe_u32 v1, v0, 16, 1
	s_delay_alu instid0(VALU_DEP_1)
	v_add3_u32 v12, v0, v1, 0x7fff
                                        ; implicit-def: $vgpr0
; %bb.423:                              ;   in Loop: Header=BB185_38 Depth=1
	s_and_not1_saveexec_b32 s10, s0
; %bb.424:                              ;   in Loop: Header=BB185_38 Depth=1
	v_and_b32_e32 v1, 0xffff, v0
	v_or_b32_e32 v12, 0x10000, v0
	s_delay_alu instid0(VALU_DEP_2) | instskip(NEXT) | instid1(VALU_DEP_1)
	v_cmp_eq_u32_e64 s0, 0, v1
	v_cndmask_b32_e64 v12, v12, v0, s0
; %bb.425:                              ;   in Loop: Header=BB185_38 Depth=1
	s_or_b32 exec_lo, exec_lo, s10
	v_lshlrev_b32_e32 v0, 16, v21
                                        ; implicit-def: $vgpr21
	s_delay_alu instid0(VALU_DEP_1) | instskip(NEXT) | instid1(VALU_DEP_1)
	v_mul_f32_e32 v0, v132, v0
	v_and_b32_e32 v1, 0x7f800000, v0
	s_delay_alu instid0(VALU_DEP_1) | instskip(NEXT) | instid1(VALU_DEP_1)
	v_cmp_ne_u32_e64 s0, 0x7f800000, v1
	s_and_saveexec_b32 s10, s0
	s_delay_alu instid0(SALU_CYCLE_1)
	s_xor_b32 s0, exec_lo, s10
; %bb.426:                              ;   in Loop: Header=BB185_38 Depth=1
	v_bfe_u32 v1, v0, 16, 1
	s_delay_alu instid0(VALU_DEP_1)
	v_add3_u32 v21, v0, v1, 0x7fff
                                        ; implicit-def: $vgpr0
; %bb.427:                              ;   in Loop: Header=BB185_38 Depth=1
	s_and_not1_saveexec_b32 s10, s0
; %bb.428:                              ;   in Loop: Header=BB185_38 Depth=1
	v_and_b32_e32 v1, 0xffff, v0
	v_or_b32_e32 v21, 0x10000, v0
	s_delay_alu instid0(VALU_DEP_2) | instskip(NEXT) | instid1(VALU_DEP_1)
	v_cmp_eq_u32_e64 s0, 0, v1
	v_cndmask_b32_e64 v21, v21, v0, s0
; %bb.429:                              ;   in Loop: Header=BB185_38 Depth=1
	s_or_b32 exec_lo, exec_lo, s10
	v_lshlrev_b32_e32 v0, 16, v2
                                        ; implicit-def: $vgpr39
	s_delay_alu instid0(VALU_DEP_1) | instskip(NEXT) | instid1(VALU_DEP_1)
	v_mul_f32_e32 v0, v133, v0
	v_and_b32_e32 v1, 0x7f800000, v0
	s_delay_alu instid0(VALU_DEP_1) | instskip(NEXT) | instid1(VALU_DEP_1)
	v_cmp_ne_u32_e64 s0, 0x7f800000, v1
	s_and_saveexec_b32 s10, s0
	s_delay_alu instid0(SALU_CYCLE_1)
	s_xor_b32 s0, exec_lo, s10
; %bb.430:                              ;   in Loop: Header=BB185_38 Depth=1
	v_bfe_u32 v1, v0, 16, 1
	s_delay_alu instid0(VALU_DEP_1)
	v_add3_u32 v39, v0, v1, 0x7fff
                                        ; implicit-def: $vgpr0
; %bb.431:                              ;   in Loop: Header=BB185_38 Depth=1
	s_and_not1_saveexec_b32 s10, s0
; %bb.432:                              ;   in Loop: Header=BB185_38 Depth=1
	v_and_b32_e32 v1, 0xffff, v0
	v_or_b32_e32 v2, 0x10000, v0
	s_delay_alu instid0(VALU_DEP_2) | instskip(NEXT) | instid1(VALU_DEP_1)
	v_cmp_eq_u32_e64 s0, 0, v1
	v_cndmask_b32_e64 v39, v2, v0, s0
; %bb.433:                              ;   in Loop: Header=BB185_38 Depth=1
	s_or_b32 exec_lo, exec_lo, s10
	v_lshlrev_b32_e32 v0, 16, v96
                                        ; implicit-def: $vgpr120
	s_delay_alu instid0(VALU_DEP_1) | instskip(NEXT) | instid1(VALU_DEP_1)
	v_mul_f32_e32 v0, v134, v0
	v_and_b32_e32 v1, 0x7f800000, v0
	s_delay_alu instid0(VALU_DEP_1) | instskip(NEXT) | instid1(VALU_DEP_1)
	v_cmp_ne_u32_e64 s0, 0x7f800000, v1
	s_and_saveexec_b32 s10, s0
	s_delay_alu instid0(SALU_CYCLE_1)
	s_xor_b32 s0, exec_lo, s10
; %bb.434:                              ;   in Loop: Header=BB185_38 Depth=1
	v_bfe_u32 v1, v0, 16, 1
	s_delay_alu instid0(VALU_DEP_1)
	v_add3_u32 v120, v0, v1, 0x7fff
                                        ; implicit-def: $vgpr0
; %bb.435:                              ;   in Loop: Header=BB185_38 Depth=1
	s_and_not1_saveexec_b32 s10, s0
; %bb.436:                              ;   in Loop: Header=BB185_38 Depth=1
	v_and_b32_e32 v1, 0xffff, v0
	v_or_b32_e32 v2, 0x10000, v0
	s_delay_alu instid0(VALU_DEP_2) | instskip(NEXT) | instid1(VALU_DEP_1)
	v_cmp_eq_u32_e64 s0, 0, v1
	v_cndmask_b32_e64 v120, v2, v0, s0
; %bb.437:                              ;   in Loop: Header=BB185_38 Depth=1
	s_or_b32 exec_lo, exec_lo, s10
	v_lshlrev_b32_e32 v0, 16, v3
                                        ; implicit-def: $vgpr121
	s_delay_alu instid0(VALU_DEP_1) | instskip(NEXT) | instid1(VALU_DEP_1)
	v_mul_f32_e32 v0, v135, v0
	v_and_b32_e32 v1, 0x7f800000, v0
	s_delay_alu instid0(VALU_DEP_1) | instskip(NEXT) | instid1(VALU_DEP_1)
	v_cmp_ne_u32_e64 s0, 0x7f800000, v1
	s_and_saveexec_b32 s10, s0
	s_delay_alu instid0(SALU_CYCLE_1)
	s_xor_b32 s0, exec_lo, s10
; %bb.438:                              ;   in Loop: Header=BB185_38 Depth=1
	v_bfe_u32 v1, v0, 16, 1
	s_delay_alu instid0(VALU_DEP_1)
	v_add3_u32 v121, v0, v1, 0x7fff
                                        ; implicit-def: $vgpr0
; %bb.439:                              ;   in Loop: Header=BB185_38 Depth=1
	s_and_not1_saveexec_b32 s10, s0
; %bb.440:                              ;   in Loop: Header=BB185_38 Depth=1
	v_and_b32_e32 v1, 0xffff, v0
	v_or_b32_e32 v2, 0x10000, v0
	s_delay_alu instid0(VALU_DEP_2) | instskip(NEXT) | instid1(VALU_DEP_1)
	v_cmp_eq_u32_e64 s0, 0, v1
	v_cndmask_b32_e64 v121, v2, v0, s0
; %bb.441:                              ;   in Loop: Header=BB185_38 Depth=1
	s_or_b32 exec_lo, exec_lo, s10
	v_lshlrev_b32_e32 v0, 16, v25
                                        ; implicit-def: $vgpr122
	s_delay_alu instid0(VALU_DEP_1) | instskip(NEXT) | instid1(VALU_DEP_1)
	v_mul_f32_e32 v0, v144, v0
	v_and_b32_e32 v1, 0x7f800000, v0
	s_delay_alu instid0(VALU_DEP_1) | instskip(NEXT) | instid1(VALU_DEP_1)
	v_cmp_ne_u32_e64 s0, 0x7f800000, v1
	s_and_saveexec_b32 s10, s0
	s_delay_alu instid0(SALU_CYCLE_1)
	s_xor_b32 s0, exec_lo, s10
; %bb.442:                              ;   in Loop: Header=BB185_38 Depth=1
	v_bfe_u32 v1, v0, 16, 1
	s_delay_alu instid0(VALU_DEP_1)
	v_add3_u32 v122, v0, v1, 0x7fff
                                        ; implicit-def: $vgpr0
; %bb.443:                              ;   in Loop: Header=BB185_38 Depth=1
	s_and_not1_saveexec_b32 s10, s0
; %bb.444:                              ;   in Loop: Header=BB185_38 Depth=1
	v_and_b32_e32 v1, 0xffff, v0
	v_or_b32_e32 v2, 0x10000, v0
	s_delay_alu instid0(VALU_DEP_2) | instskip(NEXT) | instid1(VALU_DEP_1)
	v_cmp_eq_u32_e64 s0, 0, v1
	v_cndmask_b32_e64 v122, v2, v0, s0
; %bb.445:                              ;   in Loop: Header=BB185_38 Depth=1
	s_or_b32 exec_lo, exec_lo, s10
	v_add_co_u32 v0, s0, v118, v54
	s_delay_alu instid0(VALU_DEP_1)
	v_add_co_ci_u32_e64 v1, s0, 0, v119, s0
	flat_load_b128 v[0:3], v[0:1]
	s_waitcnt vmcnt(0) lgkmcnt(0)
	v_lshrrev_b32_e32 v124, 16, v0
	v_lshrrev_b32_e32 v97, 16, v1
	;; [unrolled: 1-line block ×4, first 2 shown]
	s_and_saveexec_b32 s10, vcc_lo
	s_cbranch_execz .LBB185_447
; %bb.446:                              ;   in Loop: Header=BB185_38 Depth=1
	v_cmp_lt_i32_e64 s0, v101, v86
	s_delay_alu instid0(VALU_DEP_1) | instskip(SKIP_1) | instid1(VALU_DEP_1)
	v_cndmask_b32_e64 v0, 0, v0, s0
	v_cmp_lt_i32_e64 s0, v116, v86
	v_cndmask_b32_e64 v124, 0, v124, s0
	v_cmp_lt_i32_e64 s0, v115, v86
	s_delay_alu instid0(VALU_DEP_1) | instskip(SKIP_1) | instid1(VALU_DEP_1)
	v_cndmask_b32_e64 v1, 0, v1, s0
	v_cmp_lt_i32_e64 s0, v113, v86
	v_cndmask_b32_e64 v97, 0, v97, s0
	;; [unrolled: 5-line block ×4, first 2 shown]
.LBB185_447:                            ;   in Loop: Header=BB185_38 Depth=1
	s_or_b32 exec_lo, exec_lo, s10
	v_lshlrev_b32_e32 v0, 16, v0
	s_delay_alu instid0(VALU_DEP_1) | instskip(NEXT) | instid1(VALU_DEP_1)
	v_mul_f32_e32 v0, v128, v0
	v_and_b32_e32 v123, 0x7f800000, v0
	s_delay_alu instid0(VALU_DEP_1) | instskip(NEXT) | instid1(VALU_DEP_1)
	v_cmp_ne_u32_e64 s0, 0x7f800000, v123
                                        ; implicit-def: $vgpr123
	s_and_saveexec_b32 s10, s0
	s_delay_alu instid0(SALU_CYCLE_1)
	s_xor_b32 s0, exec_lo, s10
; %bb.448:                              ;   in Loop: Header=BB185_38 Depth=1
	v_bfe_u32 v123, v0, 16, 1
	s_delay_alu instid0(VALU_DEP_1)
	v_add3_u32 v123, v0, v123, 0x7fff
                                        ; implicit-def: $vgpr0
; %bb.449:                              ;   in Loop: Header=BB185_38 Depth=1
	s_and_not1_saveexec_b32 s10, s0
; %bb.450:                              ;   in Loop: Header=BB185_38 Depth=1
	v_and_b32_e32 v123, 0xffff, v0
	v_or_b32_e32 v125, 0x10000, v0
	s_delay_alu instid0(VALU_DEP_2) | instskip(NEXT) | instid1(VALU_DEP_1)
	v_cmp_eq_u32_e64 s0, 0, v123
	v_cndmask_b32_e64 v123, v125, v0, s0
; %bb.451:                              ;   in Loop: Header=BB185_38 Depth=1
	s_or_b32 exec_lo, exec_lo, s10
	v_lshlrev_b32_e32 v0, 16, v124
	s_delay_alu instid0(VALU_DEP_1) | instskip(NEXT) | instid1(VALU_DEP_1)
	v_mul_f32_e32 v0, v129, v0
	v_and_b32_e32 v124, 0x7f800000, v0
	s_delay_alu instid0(VALU_DEP_1) | instskip(NEXT) | instid1(VALU_DEP_1)
	v_cmp_ne_u32_e64 s0, 0x7f800000, v124
                                        ; implicit-def: $vgpr124
	s_and_saveexec_b32 s10, s0
	s_delay_alu instid0(SALU_CYCLE_1)
	s_xor_b32 s0, exec_lo, s10
; %bb.452:                              ;   in Loop: Header=BB185_38 Depth=1
	v_bfe_u32 v124, v0, 16, 1
	s_delay_alu instid0(VALU_DEP_1)
	v_add3_u32 v124, v0, v124, 0x7fff
                                        ; implicit-def: $vgpr0
; %bb.453:                              ;   in Loop: Header=BB185_38 Depth=1
	s_and_not1_saveexec_b32 s10, s0
; %bb.454:                              ;   in Loop: Header=BB185_38 Depth=1
	v_and_b32_e32 v124, 0xffff, v0
	v_or_b32_e32 v125, 0x10000, v0
	s_delay_alu instid0(VALU_DEP_2) | instskip(NEXT) | instid1(VALU_DEP_1)
	v_cmp_eq_u32_e64 s0, 0, v124
	v_cndmask_b32_e64 v124, v125, v0, s0
; %bb.455:                              ;   in Loop: Header=BB185_38 Depth=1
	s_or_b32 exec_lo, exec_lo, s10
	v_lshlrev_b32_e32 v0, 16, v1
                                        ; implicit-def: $vgpr125
	s_delay_alu instid0(VALU_DEP_1) | instskip(NEXT) | instid1(VALU_DEP_1)
	v_mul_f32_e32 v0, v131, v0
	v_and_b32_e32 v1, 0x7f800000, v0
	s_delay_alu instid0(VALU_DEP_1) | instskip(NEXT) | instid1(VALU_DEP_1)
	v_cmp_ne_u32_e64 s0, 0x7f800000, v1
	s_and_saveexec_b32 s10, s0
	s_delay_alu instid0(SALU_CYCLE_1)
	s_xor_b32 s0, exec_lo, s10
; %bb.456:                              ;   in Loop: Header=BB185_38 Depth=1
	v_bfe_u32 v1, v0, 16, 1
	s_delay_alu instid0(VALU_DEP_1)
	v_add3_u32 v125, v0, v1, 0x7fff
                                        ; implicit-def: $vgpr0
; %bb.457:                              ;   in Loop: Header=BB185_38 Depth=1
	s_and_not1_saveexec_b32 s10, s0
; %bb.458:                              ;   in Loop: Header=BB185_38 Depth=1
	v_and_b32_e32 v1, 0xffff, v0
	v_or_b32_e32 v125, 0x10000, v0
	s_delay_alu instid0(VALU_DEP_2) | instskip(NEXT) | instid1(VALU_DEP_1)
	v_cmp_eq_u32_e64 s0, 0, v1
	v_cndmask_b32_e64 v125, v125, v0, s0
; %bb.459:                              ;   in Loop: Header=BB185_38 Depth=1
	s_or_b32 exec_lo, exec_lo, s10
	v_lshlrev_b32_e32 v0, 16, v97
                                        ; implicit-def: $vgpr126
	s_delay_alu instid0(VALU_DEP_1) | instskip(NEXT) | instid1(VALU_DEP_1)
	v_mul_f32_e32 v0, v132, v0
	v_and_b32_e32 v1, 0x7f800000, v0
	s_delay_alu instid0(VALU_DEP_1) | instskip(NEXT) | instid1(VALU_DEP_1)
	v_cmp_ne_u32_e64 s0, 0x7f800000, v1
	s_and_saveexec_b32 s10, s0
	s_delay_alu instid0(SALU_CYCLE_1)
	s_xor_b32 s0, exec_lo, s10
; %bb.460:                              ;   in Loop: Header=BB185_38 Depth=1
	v_bfe_u32 v1, v0, 16, 1
	s_delay_alu instid0(VALU_DEP_1)
	v_add3_u32 v126, v0, v1, 0x7fff
                                        ; implicit-def: $vgpr0
; %bb.461:                              ;   in Loop: Header=BB185_38 Depth=1
	s_and_not1_saveexec_b32 s10, s0
; %bb.462:                              ;   in Loop: Header=BB185_38 Depth=1
	v_and_b32_e32 v1, 0xffff, v0
	v_or_b32_e32 v97, 0x10000, v0
	s_delay_alu instid0(VALU_DEP_2) | instskip(NEXT) | instid1(VALU_DEP_1)
	v_cmp_eq_u32_e64 s0, 0, v1
	v_cndmask_b32_e64 v126, v97, v0, s0
; %bb.463:                              ;   in Loop: Header=BB185_38 Depth=1
	s_or_b32 exec_lo, exec_lo, s10
	v_lshlrev_b32_e32 v0, 16, v2
                                        ; implicit-def: $vgpr127
	s_delay_alu instid0(VALU_DEP_1) | instskip(NEXT) | instid1(VALU_DEP_1)
	v_mul_f32_e32 v0, v133, v0
	v_and_b32_e32 v1, 0x7f800000, v0
	s_delay_alu instid0(VALU_DEP_1) | instskip(NEXT) | instid1(VALU_DEP_1)
	v_cmp_ne_u32_e64 s0, 0x7f800000, v1
	s_and_saveexec_b32 s10, s0
	s_delay_alu instid0(SALU_CYCLE_1)
	s_xor_b32 s0, exec_lo, s10
; %bb.464:                              ;   in Loop: Header=BB185_38 Depth=1
	v_bfe_u32 v1, v0, 16, 1
	s_delay_alu instid0(VALU_DEP_1)
	v_add3_u32 v127, v0, v1, 0x7fff
                                        ; implicit-def: $vgpr0
; %bb.465:                              ;   in Loop: Header=BB185_38 Depth=1
	s_and_not1_saveexec_b32 s10, s0
; %bb.466:                              ;   in Loop: Header=BB185_38 Depth=1
	v_and_b32_e32 v1, 0xffff, v0
	v_or_b32_e32 v2, 0x10000, v0
	s_delay_alu instid0(VALU_DEP_2) | instskip(NEXT) | instid1(VALU_DEP_1)
	v_cmp_eq_u32_e64 s0, 0, v1
	v_cndmask_b32_e64 v127, v2, v0, s0
; %bb.467:                              ;   in Loop: Header=BB185_38 Depth=1
	s_or_b32 exec_lo, exec_lo, s10
	v_lshlrev_b32_e32 v0, 16, v96
                                        ; implicit-def: $vgpr136
	s_delay_alu instid0(VALU_DEP_1) | instskip(NEXT) | instid1(VALU_DEP_1)
	v_mul_f32_e32 v0, v134, v0
	v_and_b32_e32 v1, 0x7f800000, v0
	s_delay_alu instid0(VALU_DEP_1) | instskip(NEXT) | instid1(VALU_DEP_1)
	v_cmp_ne_u32_e64 s0, 0x7f800000, v1
	s_and_saveexec_b32 s10, s0
	s_delay_alu instid0(SALU_CYCLE_1)
	s_xor_b32 s0, exec_lo, s10
; %bb.468:                              ;   in Loop: Header=BB185_38 Depth=1
	v_bfe_u32 v1, v0, 16, 1
	s_delay_alu instid0(VALU_DEP_1)
	v_add3_u32 v136, v0, v1, 0x7fff
                                        ; implicit-def: $vgpr0
; %bb.469:                              ;   in Loop: Header=BB185_38 Depth=1
	s_and_not1_saveexec_b32 s10, s0
; %bb.470:                              ;   in Loop: Header=BB185_38 Depth=1
	v_and_b32_e32 v1, 0xffff, v0
	v_or_b32_e32 v2, 0x10000, v0
	s_delay_alu instid0(VALU_DEP_2) | instskip(NEXT) | instid1(VALU_DEP_1)
	v_cmp_eq_u32_e64 s0, 0, v1
	v_cndmask_b32_e64 v136, v2, v0, s0
; %bb.471:                              ;   in Loop: Header=BB185_38 Depth=1
	s_or_b32 exec_lo, exec_lo, s10
	v_lshlrev_b32_e32 v0, 16, v3
                                        ; implicit-def: $vgpr137
	s_delay_alu instid0(VALU_DEP_1) | instskip(NEXT) | instid1(VALU_DEP_1)
	v_mul_f32_e32 v0, v135, v0
	v_and_b32_e32 v1, 0x7f800000, v0
	s_delay_alu instid0(VALU_DEP_1) | instskip(NEXT) | instid1(VALU_DEP_1)
	v_cmp_ne_u32_e64 s0, 0x7f800000, v1
	s_and_saveexec_b32 s10, s0
	s_delay_alu instid0(SALU_CYCLE_1)
	s_xor_b32 s0, exec_lo, s10
; %bb.472:                              ;   in Loop: Header=BB185_38 Depth=1
	v_bfe_u32 v1, v0, 16, 1
	s_delay_alu instid0(VALU_DEP_1)
	v_add3_u32 v137, v0, v1, 0x7fff
                                        ; implicit-def: $vgpr0
; %bb.473:                              ;   in Loop: Header=BB185_38 Depth=1
	s_and_not1_saveexec_b32 s10, s0
; %bb.474:                              ;   in Loop: Header=BB185_38 Depth=1
	v_and_b32_e32 v1, 0xffff, v0
	v_or_b32_e32 v2, 0x10000, v0
	s_delay_alu instid0(VALU_DEP_2) | instskip(NEXT) | instid1(VALU_DEP_1)
	v_cmp_eq_u32_e64 s0, 0, v1
	v_cndmask_b32_e64 v137, v2, v0, s0
; %bb.475:                              ;   in Loop: Header=BB185_38 Depth=1
	s_or_b32 exec_lo, exec_lo, s10
	v_lshlrev_b32_e32 v0, 16, v25
                                        ; implicit-def: $vgpr138
	s_delay_alu instid0(VALU_DEP_1) | instskip(NEXT) | instid1(VALU_DEP_1)
	v_mul_f32_e32 v0, v144, v0
	v_and_b32_e32 v1, 0x7f800000, v0
	s_delay_alu instid0(VALU_DEP_1) | instskip(NEXT) | instid1(VALU_DEP_1)
	v_cmp_ne_u32_e64 s0, 0x7f800000, v1
	s_and_saveexec_b32 s10, s0
	s_delay_alu instid0(SALU_CYCLE_1)
	s_xor_b32 s0, exec_lo, s10
; %bb.476:                              ;   in Loop: Header=BB185_38 Depth=1
	v_bfe_u32 v1, v0, 16, 1
	s_delay_alu instid0(VALU_DEP_1)
	v_add3_u32 v138, v0, v1, 0x7fff
                                        ; implicit-def: $vgpr0
; %bb.477:                              ;   in Loop: Header=BB185_38 Depth=1
	s_and_not1_saveexec_b32 s10, s0
; %bb.478:                              ;   in Loop: Header=BB185_38 Depth=1
	v_and_b32_e32 v1, 0xffff, v0
	v_or_b32_e32 v2, 0x10000, v0
	s_delay_alu instid0(VALU_DEP_2) | instskip(NEXT) | instid1(VALU_DEP_1)
	v_cmp_eq_u32_e64 s0, 0, v1
	v_cndmask_b32_e64 v138, v2, v0, s0
; %bb.479:                              ;   in Loop: Header=BB185_38 Depth=1
	s_or_b32 exec_lo, exec_lo, s10
	v_add_co_u32 v0, s0, v118, v55
	s_delay_alu instid0(VALU_DEP_1)
	v_add_co_ci_u32_e64 v1, s0, 0, v119, s0
	flat_load_b128 v[0:3], v[0:1]
	s_waitcnt vmcnt(0) lgkmcnt(0)
	v_lshrrev_b32_e32 v140, 16, v0
	v_lshrrev_b32_e32 v97, 16, v1
	;; [unrolled: 1-line block ×4, first 2 shown]
	s_and_saveexec_b32 s10, vcc_lo
	s_cbranch_execz .LBB185_481
; %bb.480:                              ;   in Loop: Header=BB185_38 Depth=1
	v_cmp_lt_i32_e64 s0, v101, v86
	s_delay_alu instid0(VALU_DEP_1) | instskip(SKIP_1) | instid1(VALU_DEP_1)
	v_cndmask_b32_e64 v0, 0, v0, s0
	v_cmp_lt_i32_e64 s0, v116, v86
	v_cndmask_b32_e64 v140, 0, v140, s0
	v_cmp_lt_i32_e64 s0, v115, v86
	s_delay_alu instid0(VALU_DEP_1) | instskip(SKIP_1) | instid1(VALU_DEP_1)
	v_cndmask_b32_e64 v1, 0, v1, s0
	v_cmp_lt_i32_e64 s0, v113, v86
	v_cndmask_b32_e64 v97, 0, v97, s0
	;; [unrolled: 5-line block ×4, first 2 shown]
.LBB185_481:                            ;   in Loop: Header=BB185_38 Depth=1
	s_or_b32 exec_lo, exec_lo, s10
	v_lshlrev_b32_e32 v0, 16, v0
	s_delay_alu instid0(VALU_DEP_1) | instskip(NEXT) | instid1(VALU_DEP_1)
	v_mul_f32_e32 v0, v128, v0
	v_and_b32_e32 v139, 0x7f800000, v0
	s_delay_alu instid0(VALU_DEP_1) | instskip(NEXT) | instid1(VALU_DEP_1)
	v_cmp_ne_u32_e64 s0, 0x7f800000, v139
                                        ; implicit-def: $vgpr139
	s_and_saveexec_b32 s10, s0
	s_delay_alu instid0(SALU_CYCLE_1)
	s_xor_b32 s0, exec_lo, s10
; %bb.482:                              ;   in Loop: Header=BB185_38 Depth=1
	v_bfe_u32 v139, v0, 16, 1
	s_delay_alu instid0(VALU_DEP_1)
	v_add3_u32 v139, v0, v139, 0x7fff
                                        ; implicit-def: $vgpr0
; %bb.483:                              ;   in Loop: Header=BB185_38 Depth=1
	s_and_not1_saveexec_b32 s10, s0
; %bb.484:                              ;   in Loop: Header=BB185_38 Depth=1
	v_and_b32_e32 v139, 0xffff, v0
	v_or_b32_e32 v141, 0x10000, v0
	s_delay_alu instid0(VALU_DEP_2) | instskip(NEXT) | instid1(VALU_DEP_1)
	v_cmp_eq_u32_e64 s0, 0, v139
	v_cndmask_b32_e64 v139, v141, v0, s0
; %bb.485:                              ;   in Loop: Header=BB185_38 Depth=1
	s_or_b32 exec_lo, exec_lo, s10
	v_lshlrev_b32_e32 v0, 16, v140
	s_delay_alu instid0(VALU_DEP_1) | instskip(NEXT) | instid1(VALU_DEP_1)
	v_mul_f32_e32 v0, v129, v0
	v_and_b32_e32 v140, 0x7f800000, v0
	s_delay_alu instid0(VALU_DEP_1) | instskip(NEXT) | instid1(VALU_DEP_1)
	v_cmp_ne_u32_e64 s0, 0x7f800000, v140
                                        ; implicit-def: $vgpr140
	s_and_saveexec_b32 s10, s0
	s_delay_alu instid0(SALU_CYCLE_1)
	s_xor_b32 s0, exec_lo, s10
; %bb.486:                              ;   in Loop: Header=BB185_38 Depth=1
	v_bfe_u32 v140, v0, 16, 1
	s_delay_alu instid0(VALU_DEP_1)
	v_add3_u32 v140, v0, v140, 0x7fff
                                        ; implicit-def: $vgpr0
; %bb.487:                              ;   in Loop: Header=BB185_38 Depth=1
	s_and_not1_saveexec_b32 s10, s0
; %bb.488:                              ;   in Loop: Header=BB185_38 Depth=1
	v_and_b32_e32 v140, 0xffff, v0
	v_or_b32_e32 v141, 0x10000, v0
	s_delay_alu instid0(VALU_DEP_2) | instskip(NEXT) | instid1(VALU_DEP_1)
	v_cmp_eq_u32_e64 s0, 0, v140
	v_cndmask_b32_e64 v140, v141, v0, s0
; %bb.489:                              ;   in Loop: Header=BB185_38 Depth=1
	s_or_b32 exec_lo, exec_lo, s10
	v_lshlrev_b32_e32 v0, 16, v1
                                        ; implicit-def: $vgpr141
	s_delay_alu instid0(VALU_DEP_1) | instskip(NEXT) | instid1(VALU_DEP_1)
	v_mul_f32_e32 v0, v131, v0
	v_and_b32_e32 v1, 0x7f800000, v0
	s_delay_alu instid0(VALU_DEP_1) | instskip(NEXT) | instid1(VALU_DEP_1)
	v_cmp_ne_u32_e64 s0, 0x7f800000, v1
	s_and_saveexec_b32 s10, s0
	s_delay_alu instid0(SALU_CYCLE_1)
	s_xor_b32 s0, exec_lo, s10
; %bb.490:                              ;   in Loop: Header=BB185_38 Depth=1
	v_bfe_u32 v1, v0, 16, 1
	s_delay_alu instid0(VALU_DEP_1)
	v_add3_u32 v141, v0, v1, 0x7fff
                                        ; implicit-def: $vgpr0
; %bb.491:                              ;   in Loop: Header=BB185_38 Depth=1
	s_and_not1_saveexec_b32 s10, s0
; %bb.492:                              ;   in Loop: Header=BB185_38 Depth=1
	v_and_b32_e32 v1, 0xffff, v0
	v_or_b32_e32 v141, 0x10000, v0
	s_delay_alu instid0(VALU_DEP_2) | instskip(NEXT) | instid1(VALU_DEP_1)
	v_cmp_eq_u32_e64 s0, 0, v1
	v_cndmask_b32_e64 v141, v141, v0, s0
; %bb.493:                              ;   in Loop: Header=BB185_38 Depth=1
	s_or_b32 exec_lo, exec_lo, s10
	v_lshlrev_b32_e32 v0, 16, v97
                                        ; implicit-def: $vgpr142
	s_delay_alu instid0(VALU_DEP_1) | instskip(NEXT) | instid1(VALU_DEP_1)
	v_mul_f32_e32 v0, v132, v0
	v_and_b32_e32 v1, 0x7f800000, v0
	s_delay_alu instid0(VALU_DEP_1) | instskip(NEXT) | instid1(VALU_DEP_1)
	v_cmp_ne_u32_e64 s0, 0x7f800000, v1
	s_and_saveexec_b32 s10, s0
	s_delay_alu instid0(SALU_CYCLE_1)
	s_xor_b32 s0, exec_lo, s10
; %bb.494:                              ;   in Loop: Header=BB185_38 Depth=1
	v_bfe_u32 v1, v0, 16, 1
	s_delay_alu instid0(VALU_DEP_1)
	v_add3_u32 v142, v0, v1, 0x7fff
                                        ; implicit-def: $vgpr0
; %bb.495:                              ;   in Loop: Header=BB185_38 Depth=1
	s_and_not1_saveexec_b32 s10, s0
; %bb.496:                              ;   in Loop: Header=BB185_38 Depth=1
	v_and_b32_e32 v1, 0xffff, v0
	v_or_b32_e32 v97, 0x10000, v0
	s_delay_alu instid0(VALU_DEP_2) | instskip(NEXT) | instid1(VALU_DEP_1)
	v_cmp_eq_u32_e64 s0, 0, v1
	v_cndmask_b32_e64 v142, v97, v0, s0
; %bb.497:                              ;   in Loop: Header=BB185_38 Depth=1
	s_or_b32 exec_lo, exec_lo, s10
	v_lshlrev_b32_e32 v0, 16, v2
                                        ; implicit-def: $vgpr143
	s_delay_alu instid0(VALU_DEP_1) | instskip(NEXT) | instid1(VALU_DEP_1)
	v_mul_f32_e32 v0, v133, v0
	v_and_b32_e32 v1, 0x7f800000, v0
	s_delay_alu instid0(VALU_DEP_1) | instskip(NEXT) | instid1(VALU_DEP_1)
	v_cmp_ne_u32_e64 s0, 0x7f800000, v1
	s_and_saveexec_b32 s10, s0
	s_delay_alu instid0(SALU_CYCLE_1)
	s_xor_b32 s0, exec_lo, s10
; %bb.498:                              ;   in Loop: Header=BB185_38 Depth=1
	v_bfe_u32 v1, v0, 16, 1
	s_delay_alu instid0(VALU_DEP_1)
	v_add3_u32 v143, v0, v1, 0x7fff
                                        ; implicit-def: $vgpr0
; %bb.499:                              ;   in Loop: Header=BB185_38 Depth=1
	s_and_not1_saveexec_b32 s10, s0
; %bb.500:                              ;   in Loop: Header=BB185_38 Depth=1
	v_and_b32_e32 v1, 0xffff, v0
	v_or_b32_e32 v2, 0x10000, v0
	s_delay_alu instid0(VALU_DEP_2) | instskip(NEXT) | instid1(VALU_DEP_1)
	v_cmp_eq_u32_e64 s0, 0, v1
	v_cndmask_b32_e64 v143, v2, v0, s0
; %bb.501:                              ;   in Loop: Header=BB185_38 Depth=1
	s_or_b32 exec_lo, exec_lo, s10
	v_lshlrev_b32_e32 v0, 16, v96
                                        ; implicit-def: $vgpr152
	s_delay_alu instid0(VALU_DEP_1) | instskip(NEXT) | instid1(VALU_DEP_1)
	v_mul_f32_e32 v0, v134, v0
	v_and_b32_e32 v1, 0x7f800000, v0
	s_delay_alu instid0(VALU_DEP_1) | instskip(NEXT) | instid1(VALU_DEP_1)
	v_cmp_ne_u32_e64 s0, 0x7f800000, v1
	s_and_saveexec_b32 s10, s0
	s_delay_alu instid0(SALU_CYCLE_1)
	s_xor_b32 s0, exec_lo, s10
; %bb.502:                              ;   in Loop: Header=BB185_38 Depth=1
	v_bfe_u32 v1, v0, 16, 1
	s_delay_alu instid0(VALU_DEP_1)
	v_add3_u32 v152, v0, v1, 0x7fff
                                        ; implicit-def: $vgpr0
; %bb.503:                              ;   in Loop: Header=BB185_38 Depth=1
	s_and_not1_saveexec_b32 s10, s0
; %bb.504:                              ;   in Loop: Header=BB185_38 Depth=1
	v_and_b32_e32 v1, 0xffff, v0
	v_or_b32_e32 v2, 0x10000, v0
	s_delay_alu instid0(VALU_DEP_2) | instskip(NEXT) | instid1(VALU_DEP_1)
	v_cmp_eq_u32_e64 s0, 0, v1
	v_cndmask_b32_e64 v152, v2, v0, s0
; %bb.505:                              ;   in Loop: Header=BB185_38 Depth=1
	s_or_b32 exec_lo, exec_lo, s10
	v_lshlrev_b32_e32 v0, 16, v3
                                        ; implicit-def: $vgpr153
	s_delay_alu instid0(VALU_DEP_1) | instskip(NEXT) | instid1(VALU_DEP_1)
	v_mul_f32_e32 v0, v135, v0
	v_and_b32_e32 v1, 0x7f800000, v0
	s_delay_alu instid0(VALU_DEP_1) | instskip(NEXT) | instid1(VALU_DEP_1)
	v_cmp_ne_u32_e64 s0, 0x7f800000, v1
	s_and_saveexec_b32 s10, s0
	s_delay_alu instid0(SALU_CYCLE_1)
	s_xor_b32 s0, exec_lo, s10
; %bb.506:                              ;   in Loop: Header=BB185_38 Depth=1
	v_bfe_u32 v1, v0, 16, 1
	s_delay_alu instid0(VALU_DEP_1)
	v_add3_u32 v153, v0, v1, 0x7fff
                                        ; implicit-def: $vgpr0
; %bb.507:                              ;   in Loop: Header=BB185_38 Depth=1
	s_and_not1_saveexec_b32 s10, s0
; %bb.508:                              ;   in Loop: Header=BB185_38 Depth=1
	v_and_b32_e32 v1, 0xffff, v0
	v_or_b32_e32 v2, 0x10000, v0
	s_delay_alu instid0(VALU_DEP_2) | instskip(NEXT) | instid1(VALU_DEP_1)
	v_cmp_eq_u32_e64 s0, 0, v1
	v_cndmask_b32_e64 v153, v2, v0, s0
; %bb.509:                              ;   in Loop: Header=BB185_38 Depth=1
	s_or_b32 exec_lo, exec_lo, s10
	v_lshlrev_b32_e32 v0, 16, v25
                                        ; implicit-def: $vgpr154
	s_delay_alu instid0(VALU_DEP_1) | instskip(NEXT) | instid1(VALU_DEP_1)
	v_mul_f32_e32 v0, v144, v0
	v_and_b32_e32 v1, 0x7f800000, v0
	s_delay_alu instid0(VALU_DEP_1) | instskip(NEXT) | instid1(VALU_DEP_1)
	v_cmp_ne_u32_e64 s0, 0x7f800000, v1
	s_and_saveexec_b32 s10, s0
	s_delay_alu instid0(SALU_CYCLE_1)
	s_xor_b32 s0, exec_lo, s10
; %bb.510:                              ;   in Loop: Header=BB185_38 Depth=1
	v_bfe_u32 v1, v0, 16, 1
	s_delay_alu instid0(VALU_DEP_1)
	v_add3_u32 v154, v0, v1, 0x7fff
                                        ; implicit-def: $vgpr0
; %bb.511:                              ;   in Loop: Header=BB185_38 Depth=1
	s_and_not1_saveexec_b32 s10, s0
; %bb.512:                              ;   in Loop: Header=BB185_38 Depth=1
	v_and_b32_e32 v1, 0xffff, v0
	v_or_b32_e32 v2, 0x10000, v0
	s_delay_alu instid0(VALU_DEP_2) | instskip(NEXT) | instid1(VALU_DEP_1)
	v_cmp_eq_u32_e64 s0, 0, v1
	v_cndmask_b32_e64 v154, v2, v0, s0
; %bb.513:                              ;   in Loop: Header=BB185_38 Depth=1
	s_or_b32 exec_lo, exec_lo, s10
	v_add_co_u32 v0, s0, v118, v64
	s_delay_alu instid0(VALU_DEP_1)
	v_add_co_ci_u32_e64 v1, s0, 0, v119, s0
	flat_load_b128 v[0:3], v[0:1]
	s_waitcnt vmcnt(0) lgkmcnt(0)
	v_lshrrev_b32_e32 v96, 16, v0
	v_lshrrev_b32_e32 v97, 16, v1
	;; [unrolled: 1-line block ×4, first 2 shown]
	s_and_saveexec_b32 s10, vcc_lo
	s_cbranch_execz .LBB185_515
; %bb.514:                              ;   in Loop: Header=BB185_38 Depth=1
	v_cmp_lt_i32_e64 s0, v101, v86
	s_delay_alu instid0(VALU_DEP_1) | instskip(SKIP_1) | instid1(VALU_DEP_1)
	v_cndmask_b32_e64 v0, 0, v0, s0
	v_cmp_lt_i32_e64 s0, v116, v86
	v_cndmask_b32_e64 v96, 0, v96, s0
	v_cmp_lt_i32_e64 s0, v115, v86
	s_delay_alu instid0(VALU_DEP_1) | instskip(SKIP_1) | instid1(VALU_DEP_1)
	v_cndmask_b32_e64 v1, 0, v1, s0
	v_cmp_lt_i32_e64 s0, v113, v86
	v_cndmask_b32_e64 v97, 0, v97, s0
	;; [unrolled: 5-line block ×4, first 2 shown]
.LBB185_515:                            ;   in Loop: Header=BB185_38 Depth=1
	s_or_b32 exec_lo, exec_lo, s10
	v_lshlrev_b32_e32 v0, 16, v0
	s_delay_alu instid0(VALU_DEP_1) | instskip(NEXT) | instid1(VALU_DEP_1)
	v_mul_f32_e32 v0, v128, v0
	v_and_b32_e32 v155, 0x7f800000, v0
	s_delay_alu instid0(VALU_DEP_1) | instskip(NEXT) | instid1(VALU_DEP_1)
	v_cmp_ne_u32_e64 s0, 0x7f800000, v155
                                        ; implicit-def: $vgpr155
	s_and_saveexec_b32 s10, s0
	s_delay_alu instid0(SALU_CYCLE_1)
	s_xor_b32 s0, exec_lo, s10
; %bb.516:                              ;   in Loop: Header=BB185_38 Depth=1
	v_bfe_u32 v155, v0, 16, 1
	s_delay_alu instid0(VALU_DEP_1)
	v_add3_u32 v155, v0, v155, 0x7fff
                                        ; implicit-def: $vgpr0
; %bb.517:                              ;   in Loop: Header=BB185_38 Depth=1
	s_and_not1_saveexec_b32 s10, s0
; %bb.518:                              ;   in Loop: Header=BB185_38 Depth=1
	v_and_b32_e32 v155, 0xffff, v0
	v_or_b32_e32 v156, 0x10000, v0
	s_delay_alu instid0(VALU_DEP_2) | instskip(NEXT) | instid1(VALU_DEP_1)
	v_cmp_eq_u32_e64 s0, 0, v155
	v_cndmask_b32_e64 v155, v156, v0, s0
; %bb.519:                              ;   in Loop: Header=BB185_38 Depth=1
	s_or_b32 exec_lo, exec_lo, s10
	v_lshlrev_b32_e32 v0, 16, v96
                                        ; implicit-def: $vgpr156
	s_delay_alu instid0(VALU_DEP_1) | instskip(NEXT) | instid1(VALU_DEP_1)
	v_mul_f32_e32 v0, v129, v0
	v_and_b32_e32 v96, 0x7f800000, v0
	s_delay_alu instid0(VALU_DEP_1) | instskip(NEXT) | instid1(VALU_DEP_1)
	v_cmp_ne_u32_e64 s0, 0x7f800000, v96
	s_and_saveexec_b32 s10, s0
	s_delay_alu instid0(SALU_CYCLE_1)
	s_xor_b32 s0, exec_lo, s10
; %bb.520:                              ;   in Loop: Header=BB185_38 Depth=1
	v_bfe_u32 v96, v0, 16, 1
	s_delay_alu instid0(VALU_DEP_1)
	v_add3_u32 v156, v0, v96, 0x7fff
                                        ; implicit-def: $vgpr0
; %bb.521:                              ;   in Loop: Header=BB185_38 Depth=1
	s_and_not1_saveexec_b32 s10, s0
; %bb.522:                              ;   in Loop: Header=BB185_38 Depth=1
	v_and_b32_e32 v96, 0xffff, v0
	v_or_b32_e32 v156, 0x10000, v0
	s_delay_alu instid0(VALU_DEP_2) | instskip(NEXT) | instid1(VALU_DEP_1)
	v_cmp_eq_u32_e64 s0, 0, v96
	v_cndmask_b32_e64 v156, v156, v0, s0
; %bb.523:                              ;   in Loop: Header=BB185_38 Depth=1
	s_or_b32 exec_lo, exec_lo, s10
	v_lshlrev_b32_e32 v0, 16, v1
                                        ; implicit-def: $vgpr96
	s_delay_alu instid0(VALU_DEP_1) | instskip(NEXT) | instid1(VALU_DEP_1)
	v_mul_f32_e32 v0, v131, v0
	v_and_b32_e32 v1, 0x7f800000, v0
	s_delay_alu instid0(VALU_DEP_1) | instskip(NEXT) | instid1(VALU_DEP_1)
	v_cmp_ne_u32_e64 s0, 0x7f800000, v1
	s_and_saveexec_b32 s10, s0
	s_delay_alu instid0(SALU_CYCLE_1)
	s_xor_b32 s0, exec_lo, s10
; %bb.524:                              ;   in Loop: Header=BB185_38 Depth=1
	v_bfe_u32 v1, v0, 16, 1
	s_delay_alu instid0(VALU_DEP_1)
	v_add3_u32 v96, v0, v1, 0x7fff
                                        ; implicit-def: $vgpr0
; %bb.525:                              ;   in Loop: Header=BB185_38 Depth=1
	s_and_not1_saveexec_b32 s10, s0
; %bb.526:                              ;   in Loop: Header=BB185_38 Depth=1
	v_and_b32_e32 v1, 0xffff, v0
	v_or_b32_e32 v96, 0x10000, v0
	s_delay_alu instid0(VALU_DEP_2) | instskip(NEXT) | instid1(VALU_DEP_1)
	v_cmp_eq_u32_e64 s0, 0, v1
	v_cndmask_b32_e64 v96, v96, v0, s0
; %bb.527:                              ;   in Loop: Header=BB185_38 Depth=1
	s_or_b32 exec_lo, exec_lo, s10
	v_lshlrev_b32_e32 v0, 16, v97
                                        ; implicit-def: $vgpr97
	s_delay_alu instid0(VALU_DEP_1) | instskip(NEXT) | instid1(VALU_DEP_1)
	v_mul_f32_e32 v0, v132, v0
	v_and_b32_e32 v1, 0x7f800000, v0
	s_delay_alu instid0(VALU_DEP_1) | instskip(NEXT) | instid1(VALU_DEP_1)
	v_cmp_ne_u32_e64 s0, 0x7f800000, v1
	s_and_saveexec_b32 s10, s0
	s_delay_alu instid0(SALU_CYCLE_1)
	s_xor_b32 s0, exec_lo, s10
; %bb.528:                              ;   in Loop: Header=BB185_38 Depth=1
	v_bfe_u32 v1, v0, 16, 1
	s_delay_alu instid0(VALU_DEP_1)
	v_add3_u32 v97, v0, v1, 0x7fff
                                        ; implicit-def: $vgpr0
; %bb.529:                              ;   in Loop: Header=BB185_38 Depth=1
	s_and_not1_saveexec_b32 s10, s0
; %bb.530:                              ;   in Loop: Header=BB185_38 Depth=1
	v_and_b32_e32 v1, 0xffff, v0
	v_or_b32_e32 v97, 0x10000, v0
	s_delay_alu instid0(VALU_DEP_2) | instskip(NEXT) | instid1(VALU_DEP_1)
	v_cmp_eq_u32_e64 s0, 0, v1
	v_cndmask_b32_e64 v97, v97, v0, s0
; %bb.531:                              ;   in Loop: Header=BB185_38 Depth=1
	s_or_b32 exec_lo, exec_lo, s10
	v_lshlrev_b32_e32 v0, 16, v2
                                        ; implicit-def: $vgpr157
	s_delay_alu instid0(VALU_DEP_1) | instskip(NEXT) | instid1(VALU_DEP_1)
	v_mul_f32_e32 v0, v133, v0
	v_and_b32_e32 v1, 0x7f800000, v0
	s_delay_alu instid0(VALU_DEP_1) | instskip(NEXT) | instid1(VALU_DEP_1)
	v_cmp_ne_u32_e64 s0, 0x7f800000, v1
	s_and_saveexec_b32 s10, s0
	s_delay_alu instid0(SALU_CYCLE_1)
	s_xor_b32 s0, exec_lo, s10
; %bb.532:                              ;   in Loop: Header=BB185_38 Depth=1
	v_bfe_u32 v1, v0, 16, 1
	s_delay_alu instid0(VALU_DEP_1)
	v_add3_u32 v157, v0, v1, 0x7fff
                                        ; implicit-def: $vgpr0
; %bb.533:                              ;   in Loop: Header=BB185_38 Depth=1
	s_and_not1_saveexec_b32 s10, s0
; %bb.534:                              ;   in Loop: Header=BB185_38 Depth=1
	v_and_b32_e32 v1, 0xffff, v0
	v_or_b32_e32 v2, 0x10000, v0
	s_delay_alu instid0(VALU_DEP_2) | instskip(NEXT) | instid1(VALU_DEP_1)
	v_cmp_eq_u32_e64 s0, 0, v1
	v_cndmask_b32_e64 v157, v2, v0, s0
; %bb.535:                              ;   in Loop: Header=BB185_38 Depth=1
	s_or_b32 exec_lo, exec_lo, s10
	v_lshlrev_b32_e32 v0, 16, v158
                                        ; implicit-def: $vgpr158
	s_delay_alu instid0(VALU_DEP_1) | instskip(NEXT) | instid1(VALU_DEP_1)
	v_mul_f32_e32 v0, v134, v0
	v_and_b32_e32 v1, 0x7f800000, v0
	s_delay_alu instid0(VALU_DEP_1) | instskip(NEXT) | instid1(VALU_DEP_1)
	v_cmp_ne_u32_e64 s0, 0x7f800000, v1
	s_and_saveexec_b32 s10, s0
	s_delay_alu instid0(SALU_CYCLE_1)
	s_xor_b32 s0, exec_lo, s10
; %bb.536:                              ;   in Loop: Header=BB185_38 Depth=1
	v_bfe_u32 v1, v0, 16, 1
	s_delay_alu instid0(VALU_DEP_1)
	v_add3_u32 v158, v0, v1, 0x7fff
                                        ; implicit-def: $vgpr0
; %bb.537:                              ;   in Loop: Header=BB185_38 Depth=1
	s_and_not1_saveexec_b32 s10, s0
; %bb.538:                              ;   in Loop: Header=BB185_38 Depth=1
	v_and_b32_e32 v1, 0xffff, v0
	v_or_b32_e32 v2, 0x10000, v0
	s_delay_alu instid0(VALU_DEP_2) | instskip(NEXT) | instid1(VALU_DEP_1)
	v_cmp_eq_u32_e64 s0, 0, v1
	v_cndmask_b32_e64 v158, v2, v0, s0
; %bb.539:                              ;   in Loop: Header=BB185_38 Depth=1
	s_or_b32 exec_lo, exec_lo, s10
	v_lshlrev_b32_e32 v0, 16, v3
                                        ; implicit-def: $vgpr159
	s_delay_alu instid0(VALU_DEP_1) | instskip(NEXT) | instid1(VALU_DEP_1)
	v_mul_f32_e32 v0, v135, v0
	v_and_b32_e32 v1, 0x7f800000, v0
	s_delay_alu instid0(VALU_DEP_1) | instskip(NEXT) | instid1(VALU_DEP_1)
	v_cmp_ne_u32_e64 s0, 0x7f800000, v1
	s_and_saveexec_b32 s10, s0
	s_delay_alu instid0(SALU_CYCLE_1)
	s_xor_b32 s0, exec_lo, s10
; %bb.540:                              ;   in Loop: Header=BB185_38 Depth=1
	v_bfe_u32 v1, v0, 16, 1
	s_delay_alu instid0(VALU_DEP_1)
	v_add3_u32 v159, v0, v1, 0x7fff
                                        ; implicit-def: $vgpr0
; %bb.541:                              ;   in Loop: Header=BB185_38 Depth=1
	s_and_not1_saveexec_b32 s10, s0
; %bb.542:                              ;   in Loop: Header=BB185_38 Depth=1
	v_and_b32_e32 v1, 0xffff, v0
	v_or_b32_e32 v2, 0x10000, v0
	s_delay_alu instid0(VALU_DEP_2) | instskip(NEXT) | instid1(VALU_DEP_1)
	v_cmp_eq_u32_e64 s0, 0, v1
	v_cndmask_b32_e64 v159, v2, v0, s0
; %bb.543:                              ;   in Loop: Header=BB185_38 Depth=1
	s_or_b32 exec_lo, exec_lo, s10
	v_lshlrev_b32_e32 v0, 16, v25
                                        ; implicit-def: $vgpr168
	s_delay_alu instid0(VALU_DEP_1) | instskip(NEXT) | instid1(VALU_DEP_1)
	v_mul_f32_e32 v0, v144, v0
	v_and_b32_e32 v1, 0x7f800000, v0
	s_delay_alu instid0(VALU_DEP_1) | instskip(NEXT) | instid1(VALU_DEP_1)
	v_cmp_ne_u32_e64 s0, 0x7f800000, v1
	s_and_saveexec_b32 s10, s0
	s_delay_alu instid0(SALU_CYCLE_1)
	s_xor_b32 s0, exec_lo, s10
; %bb.544:                              ;   in Loop: Header=BB185_38 Depth=1
	v_bfe_u32 v1, v0, 16, 1
	s_delay_alu instid0(VALU_DEP_1)
	v_add3_u32 v168, v0, v1, 0x7fff
                                        ; implicit-def: $vgpr0
; %bb.545:                              ;   in Loop: Header=BB185_38 Depth=1
	s_and_not1_saveexec_b32 s10, s0
; %bb.546:                              ;   in Loop: Header=BB185_38 Depth=1
	v_and_b32_e32 v1, 0xffff, v0
	v_or_b32_e32 v2, 0x10000, v0
	s_delay_alu instid0(VALU_DEP_2) | instskip(NEXT) | instid1(VALU_DEP_1)
	v_cmp_eq_u32_e64 s0, 0, v1
	v_cndmask_b32_e64 v168, v2, v0, s0
; %bb.547:                              ;   in Loop: Header=BB185_38 Depth=1
	s_or_b32 exec_lo, exec_lo, s10
	v_add_co_u32 v0, s0, v118, v65
	s_delay_alu instid0(VALU_DEP_1)
	v_add_co_ci_u32_e64 v1, s0, 0, v119, s0
	flat_load_b128 v[0:3], v[0:1]
	s_waitcnt vmcnt(0) lgkmcnt(0)
	v_lshrrev_b32_e32 v25, 16, v0
	v_lshrrev_b32_e32 v169, 16, v1
	;; [unrolled: 1-line block ×4, first 2 shown]
	s_and_saveexec_b32 s0, vcc_lo
	s_cbranch_execz .LBB185_549
; %bb.548:                              ;   in Loop: Header=BB185_38 Depth=1
	v_cmp_lt_i32_e32 vcc_lo, v101, v86
	v_cndmask_b32_e32 v0, 0, v0, vcc_lo
	v_cmp_lt_i32_e32 vcc_lo, v116, v86
	v_cndmask_b32_e32 v25, 0, v25, vcc_lo
	;; [unrolled: 2-line block ×8, first 2 shown]
.LBB185_549:                            ;   in Loop: Header=BB185_38 Depth=1
	s_or_b32 exec_lo, exec_lo, s0
	v_lshlrev_b32_e32 v0, 16, v0
	s_delay_alu instid0(VALU_DEP_1) | instskip(NEXT) | instid1(VALU_DEP_1)
	v_mul_f32_e32 v101, v128, v0
	v_and_b32_e32 v0, 0x7f800000, v101
	s_delay_alu instid0(VALU_DEP_1) | instskip(SKIP_1) | instid1(SALU_CYCLE_1)
	v_cmp_ne_u32_e32 vcc_lo, 0x7f800000, v0
                                        ; implicit-def: $vgpr0
	s_and_saveexec_b32 s0, vcc_lo
	s_xor_b32 s0, exec_lo, s0
; %bb.550:                              ;   in Loop: Header=BB185_38 Depth=1
	v_bfe_u32 v0, v101, 16, 1
	s_delay_alu instid0(VALU_DEP_1)
	v_add3_u32 v0, v101, v0, 0x7fff
                                        ; implicit-def: $vgpr101
; %bb.551:                              ;   in Loop: Header=BB185_38 Depth=1
	s_and_not1_saveexec_b32 s0, s0
; %bb.552:                              ;   in Loop: Header=BB185_38 Depth=1
	v_and_b32_e32 v0, 0xffff, v101
	v_or_b32_e32 v102, 0x10000, v101
	s_delay_alu instid0(VALU_DEP_2) | instskip(NEXT) | instid1(VALU_DEP_2)
	v_cmp_eq_u32_e32 vcc_lo, 0, v0
	v_cndmask_b32_e32 v0, v102, v101, vcc_lo
; %bb.553:                              ;   in Loop: Header=BB185_38 Depth=1
	s_or_b32 exec_lo, exec_lo, s0
	v_lshlrev_b32_e32 v25, 16, v25
	s_delay_alu instid0(VALU_DEP_1) | instskip(NEXT) | instid1(VALU_DEP_1)
	v_mul_f32_e32 v101, v129, v25
	v_and_b32_e32 v25, 0x7f800000, v101
	s_delay_alu instid0(VALU_DEP_1) | instskip(SKIP_1) | instid1(SALU_CYCLE_1)
	v_cmp_ne_u32_e32 vcc_lo, 0x7f800000, v25
                                        ; implicit-def: $vgpr25
	s_and_saveexec_b32 s0, vcc_lo
	s_xor_b32 s0, exec_lo, s0
; %bb.554:                              ;   in Loop: Header=BB185_38 Depth=1
	v_bfe_u32 v25, v101, 16, 1
	s_delay_alu instid0(VALU_DEP_1)
	v_add3_u32 v25, v101, v25, 0x7fff
                                        ; implicit-def: $vgpr101
; %bb.555:                              ;   in Loop: Header=BB185_38 Depth=1
	s_and_not1_saveexec_b32 s0, s0
; %bb.556:                              ;   in Loop: Header=BB185_38 Depth=1
	v_and_b32_e32 v25, 0xffff, v101
	v_or_b32_e32 v102, 0x10000, v101
	s_delay_alu instid0(VALU_DEP_2) | instskip(NEXT) | instid1(VALU_DEP_2)
	v_cmp_eq_u32_e32 vcc_lo, 0, v25
	v_cndmask_b32_e32 v25, v102, v101, vcc_lo
; %bb.557:                              ;   in Loop: Header=BB185_38 Depth=1
	s_or_b32 exec_lo, exec_lo, s0
	v_lshlrev_b32_e32 v1, 16, v1
	s_delay_alu instid0(VALU_DEP_1) | instskip(NEXT) | instid1(VALU_DEP_1)
	v_mul_f32_e32 v101, v131, v1
	v_and_b32_e32 v1, 0x7f800000, v101
	s_delay_alu instid0(VALU_DEP_1) | instskip(SKIP_1) | instid1(SALU_CYCLE_1)
	v_cmp_ne_u32_e32 vcc_lo, 0x7f800000, v1
                                        ; implicit-def: $vgpr1
	s_and_saveexec_b32 s0, vcc_lo
	s_xor_b32 s0, exec_lo, s0
; %bb.558:                              ;   in Loop: Header=BB185_38 Depth=1
	v_bfe_u32 v1, v101, 16, 1
	s_delay_alu instid0(VALU_DEP_1)
	v_add3_u32 v1, v101, v1, 0x7fff
                                        ; implicit-def: $vgpr101
; %bb.559:                              ;   in Loop: Header=BB185_38 Depth=1
	s_and_not1_saveexec_b32 s0, s0
; %bb.560:                              ;   in Loop: Header=BB185_38 Depth=1
	v_and_b32_e32 v1, 0xffff, v101
	v_or_b32_e32 v102, 0x10000, v101
	s_delay_alu instid0(VALU_DEP_2) | instskip(NEXT) | instid1(VALU_DEP_2)
	v_cmp_eq_u32_e32 vcc_lo, 0, v1
	v_cndmask_b32_e32 v1, v102, v101, vcc_lo
; %bb.561:                              ;   in Loop: Header=BB185_38 Depth=1
	s_or_b32 exec_lo, exec_lo, s0
	v_lshlrev_b32_e32 v101, 16, v169
	s_delay_alu instid0(VALU_DEP_1) | instskip(NEXT) | instid1(VALU_DEP_1)
	v_mul_f32_e32 v102, v132, v101
	v_and_b32_e32 v101, 0x7f800000, v102
	s_delay_alu instid0(VALU_DEP_1) | instskip(SKIP_1) | instid1(SALU_CYCLE_1)
	v_cmp_ne_u32_e32 vcc_lo, 0x7f800000, v101
                                        ; implicit-def: $vgpr101
	s_and_saveexec_b32 s0, vcc_lo
	s_xor_b32 s0, exec_lo, s0
; %bb.562:                              ;   in Loop: Header=BB185_38 Depth=1
	v_bfe_u32 v101, v102, 16, 1
	s_delay_alu instid0(VALU_DEP_1)
	v_add3_u32 v101, v102, v101, 0x7fff
                                        ; implicit-def: $vgpr102
; %bb.563:                              ;   in Loop: Header=BB185_38 Depth=1
	s_and_not1_saveexec_b32 s0, s0
; %bb.564:                              ;   in Loop: Header=BB185_38 Depth=1
	v_and_b32_e32 v101, 0xffff, v102
	v_or_b32_e32 v103, 0x10000, v102
	s_delay_alu instid0(VALU_DEP_2) | instskip(NEXT) | instid1(VALU_DEP_2)
	v_cmp_eq_u32_e32 vcc_lo, 0, v101
	v_cndmask_b32_e32 v101, v103, v102, vcc_lo
; %bb.565:                              ;   in Loop: Header=BB185_38 Depth=1
	s_or_b32 exec_lo, exec_lo, s0
	v_lshlrev_b32_e32 v2, 16, v2
	s_delay_alu instid0(VALU_DEP_1) | instskip(NEXT) | instid1(VALU_DEP_1)
	v_mul_f32_e32 v102, v133, v2
	v_and_b32_e32 v2, 0x7f800000, v102
	s_delay_alu instid0(VALU_DEP_1) | instskip(SKIP_1) | instid1(SALU_CYCLE_1)
	v_cmp_ne_u32_e32 vcc_lo, 0x7f800000, v2
                                        ; implicit-def: $vgpr2
	s_and_saveexec_b32 s0, vcc_lo
	s_xor_b32 s0, exec_lo, s0
; %bb.566:                              ;   in Loop: Header=BB185_38 Depth=1
	v_bfe_u32 v2, v102, 16, 1
	s_delay_alu instid0(VALU_DEP_1)
	v_add3_u32 v2, v102, v2, 0x7fff
                                        ; implicit-def: $vgpr102
; %bb.567:                              ;   in Loop: Header=BB185_38 Depth=1
	s_and_not1_saveexec_b32 s0, s0
; %bb.568:                              ;   in Loop: Header=BB185_38 Depth=1
	v_and_b32_e32 v2, 0xffff, v102
	v_or_b32_e32 v103, 0x10000, v102
	s_delay_alu instid0(VALU_DEP_2) | instskip(NEXT) | instid1(VALU_DEP_2)
	v_cmp_eq_u32_e32 vcc_lo, 0, v2
	v_cndmask_b32_e32 v2, v103, v102, vcc_lo
; %bb.569:                              ;   in Loop: Header=BB185_38 Depth=1
	s_or_b32 exec_lo, exec_lo, s0
	v_lshlrev_b32_e32 v102, 16, v119
	s_delay_alu instid0(VALU_DEP_1) | instskip(NEXT) | instid1(VALU_DEP_1)
	v_mul_f32_e32 v103, v134, v102
	v_and_b32_e32 v102, 0x7f800000, v103
	s_delay_alu instid0(VALU_DEP_1) | instskip(SKIP_1) | instid1(SALU_CYCLE_1)
	v_cmp_ne_u32_e32 vcc_lo, 0x7f800000, v102
                                        ; implicit-def: $vgpr102
	s_and_saveexec_b32 s0, vcc_lo
	s_xor_b32 s0, exec_lo, s0
; %bb.570:                              ;   in Loop: Header=BB185_38 Depth=1
	v_bfe_u32 v102, v103, 16, 1
	s_delay_alu instid0(VALU_DEP_1)
	v_add3_u32 v102, v103, v102, 0x7fff
                                        ; implicit-def: $vgpr103
; %bb.571:                              ;   in Loop: Header=BB185_38 Depth=1
	s_and_not1_saveexec_b32 s0, s0
; %bb.572:                              ;   in Loop: Header=BB185_38 Depth=1
	v_and_b32_e32 v102, 0xffff, v103
	v_or_b32_e32 v112, 0x10000, v103
	s_delay_alu instid0(VALU_DEP_2) | instskip(NEXT) | instid1(VALU_DEP_2)
	v_cmp_eq_u32_e32 vcc_lo, 0, v102
	v_cndmask_b32_e32 v102, v112, v103, vcc_lo
; %bb.573:                              ;   in Loop: Header=BB185_38 Depth=1
	s_or_b32 exec_lo, exec_lo, s0
	v_lshlrev_b32_e32 v3, 16, v3
	s_delay_alu instid0(VALU_DEP_1) | instskip(NEXT) | instid1(VALU_DEP_1)
	v_mul_f32_e32 v103, v135, v3
	v_and_b32_e32 v3, 0x7f800000, v103
	s_delay_alu instid0(VALU_DEP_1) | instskip(SKIP_1) | instid1(SALU_CYCLE_1)
	v_cmp_ne_u32_e32 vcc_lo, 0x7f800000, v3
                                        ; implicit-def: $vgpr3
	s_and_saveexec_b32 s0, vcc_lo
	s_xor_b32 s0, exec_lo, s0
; %bb.574:                              ;   in Loop: Header=BB185_38 Depth=1
	v_bfe_u32 v3, v103, 16, 1
	s_delay_alu instid0(VALU_DEP_1)
	v_add3_u32 v3, v103, v3, 0x7fff
                                        ; implicit-def: $vgpr103
; %bb.575:                              ;   in Loop: Header=BB185_38 Depth=1
	s_and_not1_saveexec_b32 s0, s0
; %bb.576:                              ;   in Loop: Header=BB185_38 Depth=1
	v_and_b32_e32 v3, 0xffff, v103
	v_or_b32_e32 v112, 0x10000, v103
	s_delay_alu instid0(VALU_DEP_2) | instskip(NEXT) | instid1(VALU_DEP_2)
	v_cmp_eq_u32_e32 vcc_lo, 0, v3
	v_cndmask_b32_e32 v3, v112, v103, vcc_lo
; %bb.577:                              ;   in Loop: Header=BB185_38 Depth=1
	s_or_b32 exec_lo, exec_lo, s0
	v_lshlrev_b32_e32 v103, 16, v118
	s_delay_alu instid0(VALU_DEP_1) | instskip(NEXT) | instid1(VALU_DEP_1)
	v_mul_f32_e32 v112, v144, v103
	v_and_b32_e32 v103, 0x7f800000, v112
	s_delay_alu instid0(VALU_DEP_1) | instskip(SKIP_1) | instid1(SALU_CYCLE_1)
	v_cmp_ne_u32_e32 vcc_lo, 0x7f800000, v103
                                        ; implicit-def: $vgpr103
	s_and_saveexec_b32 s0, vcc_lo
	s_xor_b32 s0, exec_lo, s0
; %bb.578:                              ;   in Loop: Header=BB185_38 Depth=1
	v_bfe_u32 v103, v112, 16, 1
	s_delay_alu instid0(VALU_DEP_1)
	v_add3_u32 v103, v112, v103, 0x7fff
                                        ; implicit-def: $vgpr112
; %bb.579:                              ;   in Loop: Header=BB185_38 Depth=1
	s_and_not1_saveexec_b32 s0, s0
	s_cbranch_execz .LBB185_36
; %bb.580:                              ;   in Loop: Header=BB185_38 Depth=1
	v_and_b32_e32 v103, 0xffff, v112
	v_or_b32_e32 v113, 0x10000, v112
	s_delay_alu instid0(VALU_DEP_2) | instskip(NEXT) | instid1(VALU_DEP_2)
	v_cmp_eq_u32_e32 vcc_lo, 0, v103
	v_cndmask_b32_e32 v103, v113, v112, vcc_lo
	s_branch .LBB185_36
.LBB185_581:
	s_or_b32 exec_lo, exec_lo, s8
.LBB185_582:
	s_delay_alu instid0(SALU_CYCLE_1)
	s_or_b32 exec_lo, exec_lo, s7
	ds_bpermute_b32 v0, v16, v38
	ds_bpermute_b32 v1, v16, v48
	;; [unrolled: 1-line block ×3, first 2 shown]
	s_waitcnt lgkmcnt(0)
	s_waitcnt_vscnt null, 0x0
	s_barrier
	buffer_gl0_inv
	ds_bpermute_b32 v2, v16, v37
	ds_bpermute_b32 v3, v16, v36
	ds_bpermute_b32 v4, v16, v35
	ds_bpermute_b32 v5, v16, v34
	ds_bpermute_b32 v6, v16, v33
	ds_bpermute_b32 v7, v16, v32
	ds_bpermute_b32 v8, v16, v31
	ds_bpermute_b32 v9, v16, v30
	ds_bpermute_b32 v10, v16, v29
	ds_bpermute_b32 v11, v16, v28
	ds_bpermute_b32 v12, v16, v27
	ds_bpermute_b32 v14, v16, v19
	s_load_b32 s0, s[2:3], 0x0
	v_dual_add_f32 v0, v38, v0 :: v_dual_add_f32 v1, v48, v1
	ds_bpermute_b32 v16, v13, v0
	ds_bpermute_b32 v20, v13, v1
	v_add_f32_e32 v18, v18, v15
	s_waitcnt lgkmcnt(0)
	v_dual_add_f32 v2, v37, v2 :: v_dual_add_f32 v3, v36, v3
	v_dual_add_f32 v4, v35, v4 :: v_dual_add_f32 v5, v34, v5
	;; [unrolled: 1-line block ×6, first 2 shown]
	ds_bpermute_b32 v21, v13, v2
	ds_bpermute_b32 v22, v13, v3
	;; [unrolled: 1-line block ×6, first 2 shown]
	v_add_f32_e32 v15, v1, v20
	scratch_load_b32 v1, off, s32 offset:328 ; 4-byte Folded Reload
	ds_bpermute_b32 v30, v13, v8
	ds_bpermute_b32 v31, v13, v24
	;; [unrolled: 1-line block ×7, first 2 shown]
	v_add_f32_e32 v0, v0, v16
	v_and_b32_e32 v20, 0x3c3, v172
	v_mad_u32_u24 v16, 0x1e0, v173, s0
	s_mov_b32 s0, exec_lo
	s_waitcnt lgkmcnt(11)
	v_dual_add_f32 v14, v2, v21 :: v_dual_add_f32 v13, v3, v22
	s_waitcnt lgkmcnt(9)
	v_dual_add_f32 v12, v4, v23 :: v_dual_add_f32 v11, v5, v9
	;; [unrolled: 2-line block ×3, first 2 shown]
	s_waitcnt lgkmcnt(6)
	v_add_f32_e32 v8, v8, v30
	s_waitcnt lgkmcnt(4)
	v_dual_add_f32 v7, v24, v31 :: v_dual_add_f32 v6, v29, v32
	s_waitcnt lgkmcnt(2)
	v_dual_add_f32 v5, v28, v33 :: v_dual_add_f32 v4, v27, v34
	;; [unrolled: 2-line block ×3, first 2 shown]
	s_waitcnt vmcnt(0)
	v_lshrrev_b32_e32 v1, 2, v1
	s_delay_alu instid0(VALU_DEP_1)
	v_lshlrev_b32_e32 v18, 2, v1
	v_cmpx_eq_u32_e32 64, v20
	s_cbranch_execz .LBB185_584
; %bb.583:
	s_delay_alu instid0(VALU_DEP_2)
	v_add3_u32 v19, v16, v18, 0xfffffc40
	ds_store_2addr_b32 v19, v0, v15 offset1:8
	ds_store_2addr_b32 v19, v14, v13 offset0:16 offset1:24
	ds_store_2addr_b32 v19, v12, v11 offset0:32 offset1:40
	;; [unrolled: 1-line block ×6, first 2 shown]
	ds_store_b32 v19, v2 offset:448
.LBB185_584:
	s_or_b32 exec_lo, exec_lo, s0
	v_cmp_eq_u32_e32 vcc_lo, 0, v17
	s_mov_b32 s2, exec_lo
	s_waitcnt lgkmcnt(0)
	s_barrier
	buffer_gl0_inv
	v_cmpx_gt_u32_e32 64, v172
	s_cbranch_execz .LBB185_602
; %bb.585:
	s_and_saveexec_b32 s0, vcc_lo
	s_cbranch_execnz .LBB185_686
; %bb.586:
	s_or_b32 exec_lo, exec_lo, s0
	s_and_saveexec_b32 s0, vcc_lo
	s_cbranch_execnz .LBB185_687
.LBB185_587:
	s_or_b32 exec_lo, exec_lo, s0
	s_and_saveexec_b32 s0, vcc_lo
	s_cbranch_execnz .LBB185_688
.LBB185_588:
	s_or_b32 exec_lo, exec_lo, s0
	s_and_saveexec_b32 s0, vcc_lo
	s_cbranch_execnz .LBB185_689
.LBB185_589:
	s_or_b32 exec_lo, exec_lo, s0
	s_and_saveexec_b32 s0, vcc_lo
	s_cbranch_execnz .LBB185_690
.LBB185_590:
	s_or_b32 exec_lo, exec_lo, s0
	s_and_saveexec_b32 s0, vcc_lo
	s_cbranch_execnz .LBB185_691
.LBB185_591:
	s_or_b32 exec_lo, exec_lo, s0
	s_and_saveexec_b32 s0, vcc_lo
	s_cbranch_execnz .LBB185_692
.LBB185_592:
	s_or_b32 exec_lo, exec_lo, s0
	s_and_saveexec_b32 s0, vcc_lo
	s_cbranch_execnz .LBB185_693
.LBB185_593:
	s_or_b32 exec_lo, exec_lo, s0
	s_and_saveexec_b32 s0, vcc_lo
	s_cbranch_execnz .LBB185_694
.LBB185_594:
	s_or_b32 exec_lo, exec_lo, s0
	s_and_saveexec_b32 s0, vcc_lo
	s_cbranch_execnz .LBB185_695
.LBB185_595:
	s_or_b32 exec_lo, exec_lo, s0
	s_and_saveexec_b32 s0, vcc_lo
	s_cbranch_execnz .LBB185_696
.LBB185_596:
	s_or_b32 exec_lo, exec_lo, s0
	s_and_saveexec_b32 s0, vcc_lo
	s_cbranch_execnz .LBB185_697
.LBB185_597:
	s_or_b32 exec_lo, exec_lo, s0
	s_and_saveexec_b32 s0, vcc_lo
	s_cbranch_execnz .LBB185_698
.LBB185_598:
	s_or_b32 exec_lo, exec_lo, s0
	s_and_saveexec_b32 s0, vcc_lo
	s_cbranch_execnz .LBB185_699
.LBB185_599:
	s_or_b32 exec_lo, exec_lo, s0
	s_and_saveexec_b32 s0, vcc_lo
	s_cbranch_execz .LBB185_601
.LBB185_600:
	v_lshl_add_u32 v17, v1, 2, v16
	ds_load_b32 v17, v17 offset:448
	s_waitcnt lgkmcnt(0)
	v_add_f32_e32 v2, v17, v2
.LBB185_601:
	s_or_b32 exec_lo, exec_lo, s0
.LBB185_602:
	s_delay_alu instid0(SALU_CYCLE_1)
	s_or_b32 exec_lo, exec_lo, s2
	v_and_b32_e32 v17, 0x3e3, v172
	s_mov_b32 s2, exec_lo
	s_barrier
	buffer_gl0_inv
	v_cmpx_eq_u32_e32 32, v17
	s_cbranch_execz .LBB185_604
; %bb.603:
	v_add3_u32 v17, v16, v18, 0xfffffe20
	ds_store_2addr_b32 v17, v0, v15 offset1:8
	ds_store_2addr_b32 v17, v14, v13 offset0:16 offset1:24
	ds_store_2addr_b32 v17, v12, v11 offset0:32 offset1:40
	;; [unrolled: 1-line block ×6, first 2 shown]
	ds_store_b32 v17, v2 offset:448
.LBB185_604:
	s_or_b32 exec_lo, exec_lo, s2
	v_cmp_gt_u32_e64 s0, 32, v172
	s_waitcnt lgkmcnt(0)
	s_barrier
	buffer_gl0_inv
	s_and_saveexec_b32 s2, s0
	s_cbranch_execz .LBB185_622
; %bb.605:
	v_lshl_add_u32 v1, v1, 2, v16
	s_and_saveexec_b32 s3, vcc_lo
	s_cbranch_execnz .LBB185_700
; %bb.606:
	s_or_b32 exec_lo, exec_lo, s3
	s_and_saveexec_b32 s3, vcc_lo
	s_cbranch_execnz .LBB185_701
.LBB185_607:
	s_or_b32 exec_lo, exec_lo, s3
	s_and_saveexec_b32 s3, vcc_lo
	s_cbranch_execnz .LBB185_702
.LBB185_608:
	s_or_b32 exec_lo, exec_lo, s3
	s_and_saveexec_b32 s3, vcc_lo
	s_cbranch_execnz .LBB185_703
.LBB185_609:
	s_or_b32 exec_lo, exec_lo, s3
	s_and_saveexec_b32 s3, vcc_lo
	s_cbranch_execnz .LBB185_704
.LBB185_610:
	s_or_b32 exec_lo, exec_lo, s3
	s_and_saveexec_b32 s3, vcc_lo
	s_cbranch_execnz .LBB185_705
.LBB185_611:
	s_or_b32 exec_lo, exec_lo, s3
	s_and_saveexec_b32 s3, vcc_lo
	s_cbranch_execnz .LBB185_706
.LBB185_612:
	s_or_b32 exec_lo, exec_lo, s3
	s_and_saveexec_b32 s3, vcc_lo
	s_cbranch_execnz .LBB185_707
.LBB185_613:
	s_or_b32 exec_lo, exec_lo, s3
	s_and_saveexec_b32 s3, vcc_lo
	s_cbranch_execnz .LBB185_708
.LBB185_614:
	s_or_b32 exec_lo, exec_lo, s3
	s_and_saveexec_b32 s3, vcc_lo
	s_cbranch_execnz .LBB185_709
.LBB185_615:
	s_or_b32 exec_lo, exec_lo, s3
	s_and_saveexec_b32 s3, vcc_lo
	s_cbranch_execnz .LBB185_710
.LBB185_616:
	s_or_b32 exec_lo, exec_lo, s3
	s_and_saveexec_b32 s3, vcc_lo
	s_cbranch_execnz .LBB185_711
.LBB185_617:
	s_or_b32 exec_lo, exec_lo, s3
	s_and_saveexec_b32 s3, vcc_lo
	s_cbranch_execnz .LBB185_712
.LBB185_618:
	s_or_b32 exec_lo, exec_lo, s3
	s_and_saveexec_b32 s3, vcc_lo
	s_cbranch_execnz .LBB185_713
.LBB185_619:
	s_or_b32 exec_lo, exec_lo, s3
	s_and_saveexec_b32 s3, vcc_lo
	s_cbranch_execz .LBB185_621
.LBB185_620:
	ds_load_b32 v1, v1 offset:448
	s_waitcnt lgkmcnt(0)
	v_add_f32_e32 v2, v1, v2
.LBB185_621:
	s_or_b32 exec_lo, exec_lo, s3
.LBB185_622:
	s_delay_alu instid0(SALU_CYCLE_1)
	s_or_b32 exec_lo, exec_lo, s2
	s_barrier
	buffer_gl0_inv
	s_and_b32 exec_lo, exec_lo, s0
	s_cbranch_execz .LBB185_685
; %bb.623:
	s_and_b32 exec_lo, exec_lo, vcc_lo
	s_cbranch_execz .LBB185_685
; %bb.624:
	v_and_b32_e32 v1, 0x7f800000, v0
	s_mov_b32 s0, exec_lo
                                        ; implicit-def: $vgpr16
	s_delay_alu instid0(VALU_DEP_1)
	v_cmpx_ne_u32_e32 0x7f800000, v1
	s_xor_b32 s0, exec_lo, s0
; %bb.625:
	v_bfe_u32 v1, v0, 16, 1
	s_delay_alu instid0(VALU_DEP_1)
	v_add3_u32 v16, v0, v1, 0x7fff
                                        ; implicit-def: $vgpr0
; %bb.626:
	s_and_not1_saveexec_b32 s0, s0
; %bb.627:
	v_and_b32_e32 v1, 0xffff, v0
	v_or_b32_e32 v16, 0x10000, v0
	s_delay_alu instid0(VALU_DEP_2) | instskip(NEXT) | instid1(VALU_DEP_2)
	v_cmp_eq_u32_e32 vcc_lo, 0, v1
	v_cndmask_b32_e32 v16, v16, v0, vcc_lo
; %bb.628:
	s_or_b32 exec_lo, exec_lo, s0
	s_mul_i32 s2, s1, s4
	s_mul_i32 s0, s6, s1
	;; [unrolled: 1-line block ×5, first 2 shown]
	s_ashr_i32 s1, s0, 31
	s_ashr_i32 s3, s2, 31
	;; [unrolled: 1-line block ×3, first 2 shown]
	s_lshl_b64 s[0:1], s[0:1], 1
	s_lshl_b64 s[2:3], s[2:3], 1
	;; [unrolled: 1-line block ×3, first 2 shown]
	v_lshrrev_b32_e32 v0, 1, v172
	s_add_u32 s0, s2, s0
	s_addc_u32 s1, s3, s1
	s_add_u32 s0, s0, s6
	s_addc_u32 s1, s1, s7
	v_and_b32_e32 v0, 0x1fe, v0
	v_add_co_u32 v1, vcc_lo, s0, v171
	v_add_co_ci_u32_e32 v17, vcc_lo, s1, v170, vcc_lo
	v_and_b32_e32 v18, 0x7f800000, v15
	s_delay_alu instid0(VALU_DEP_3) | instskip(NEXT) | instid1(VALU_DEP_3)
	v_add_co_u32 v0, vcc_lo, v1, v0
	v_add_co_ci_u32_e32 v1, vcc_lo, 0, v17, vcc_lo
	s_mov_b32 s0, exec_lo
	flat_store_d16_hi_b16 v[0:1], v16
                                        ; implicit-def: $vgpr16
	v_cmpx_ne_u32_e32 0x7f800000, v18
	s_xor_b32 s0, exec_lo, s0
; %bb.629:
	v_bfe_u32 v16, v15, 16, 1
	s_delay_alu instid0(VALU_DEP_1)
	v_add3_u32 v16, v15, v16, 0x7fff
                                        ; implicit-def: $vgpr15
; %bb.630:
	s_and_not1_saveexec_b32 s0, s0
; %bb.631:
	v_and_b32_e32 v16, 0xffff, v15
	v_or_b32_e32 v17, 0x10000, v15
	s_delay_alu instid0(VALU_DEP_2) | instskip(NEXT) | instid1(VALU_DEP_2)
	v_cmp_eq_u32_e32 vcc_lo, 0, v16
	v_cndmask_b32_e32 v16, v17, v15, vcc_lo
; %bb.632:
	s_or_b32 exec_lo, exec_lo, s0
	v_and_b32_e32 v15, 0x7f800000, v14
	flat_store_d16_hi_b16 v[0:1], v16 offset:16
	v_cmp_ne_u32_e32 vcc_lo, 0x7f800000, v15
                                        ; implicit-def: $vgpr15
	s_and_saveexec_b32 s0, vcc_lo
	s_delay_alu instid0(SALU_CYCLE_1)
	s_xor_b32 s0, exec_lo, s0
; %bb.633:
	v_bfe_u32 v15, v14, 16, 1
	s_delay_alu instid0(VALU_DEP_1)
	v_add3_u32 v15, v14, v15, 0x7fff
                                        ; implicit-def: $vgpr14
; %bb.634:
	s_and_not1_saveexec_b32 s0, s0
; %bb.635:
	v_and_b32_e32 v15, 0xffff, v14
	v_or_b32_e32 v16, 0x10000, v14
	s_delay_alu instid0(VALU_DEP_2) | instskip(NEXT) | instid1(VALU_DEP_2)
	v_cmp_eq_u32_e32 vcc_lo, 0, v15
	v_cndmask_b32_e32 v15, v16, v14, vcc_lo
; %bb.636:
	s_or_b32 exec_lo, exec_lo, s0
	v_and_b32_e32 v14, 0x7f800000, v13
	flat_store_d16_hi_b16 v[0:1], v15 offset:32
	v_cmp_ne_u32_e32 vcc_lo, 0x7f800000, v14
                                        ; implicit-def: $vgpr14
	s_and_saveexec_b32 s0, vcc_lo
	s_delay_alu instid0(SALU_CYCLE_1)
	s_xor_b32 s0, exec_lo, s0
; %bb.637:
	v_bfe_u32 v14, v13, 16, 1
	s_delay_alu instid0(VALU_DEP_1)
	v_add3_u32 v14, v13, v14, 0x7fff
                                        ; implicit-def: $vgpr13
; %bb.638:
	s_and_not1_saveexec_b32 s0, s0
; %bb.639:
	v_and_b32_e32 v14, 0xffff, v13
	v_or_b32_e32 v15, 0x10000, v13
	s_delay_alu instid0(VALU_DEP_2) | instskip(NEXT) | instid1(VALU_DEP_2)
	v_cmp_eq_u32_e32 vcc_lo, 0, v14
	v_cndmask_b32_e32 v14, v15, v13, vcc_lo
; %bb.640:
	s_or_b32 exec_lo, exec_lo, s0
	v_and_b32_e32 v13, 0x7f800000, v12
	flat_store_d16_hi_b16 v[0:1], v14 offset:48
	v_cmp_ne_u32_e32 vcc_lo, 0x7f800000, v13
                                        ; implicit-def: $vgpr13
	s_and_saveexec_b32 s0, vcc_lo
	s_delay_alu instid0(SALU_CYCLE_1)
	s_xor_b32 s0, exec_lo, s0
; %bb.641:
	v_bfe_u32 v13, v12, 16, 1
	s_delay_alu instid0(VALU_DEP_1)
	v_add3_u32 v13, v12, v13, 0x7fff
                                        ; implicit-def: $vgpr12
; %bb.642:
	s_and_not1_saveexec_b32 s0, s0
; %bb.643:
	v_and_b32_e32 v13, 0xffff, v12
	v_or_b32_e32 v14, 0x10000, v12
	s_delay_alu instid0(VALU_DEP_2) | instskip(NEXT) | instid1(VALU_DEP_2)
	v_cmp_eq_u32_e32 vcc_lo, 0, v13
	v_cndmask_b32_e32 v13, v14, v12, vcc_lo
; %bb.644:
	s_or_b32 exec_lo, exec_lo, s0
	v_and_b32_e32 v12, 0x7f800000, v11
	flat_store_d16_hi_b16 v[0:1], v13 offset:64
	v_cmp_ne_u32_e32 vcc_lo, 0x7f800000, v12
                                        ; implicit-def: $vgpr12
	s_and_saveexec_b32 s0, vcc_lo
	s_delay_alu instid0(SALU_CYCLE_1)
	s_xor_b32 s0, exec_lo, s0
; %bb.645:
	v_bfe_u32 v12, v11, 16, 1
	s_delay_alu instid0(VALU_DEP_1)
	v_add3_u32 v12, v11, v12, 0x7fff
                                        ; implicit-def: $vgpr11
; %bb.646:
	s_and_not1_saveexec_b32 s0, s0
; %bb.647:
	v_and_b32_e32 v12, 0xffff, v11
	v_or_b32_e32 v13, 0x10000, v11
	s_delay_alu instid0(VALU_DEP_2) | instskip(NEXT) | instid1(VALU_DEP_2)
	v_cmp_eq_u32_e32 vcc_lo, 0, v12
	v_cndmask_b32_e32 v12, v13, v11, vcc_lo
; %bb.648:
	s_or_b32 exec_lo, exec_lo, s0
	v_and_b32_e32 v11, 0x7f800000, v10
	flat_store_d16_hi_b16 v[0:1], v12 offset:80
	v_cmp_ne_u32_e32 vcc_lo, 0x7f800000, v11
                                        ; implicit-def: $vgpr11
	s_and_saveexec_b32 s0, vcc_lo
	s_delay_alu instid0(SALU_CYCLE_1)
	s_xor_b32 s0, exec_lo, s0
; %bb.649:
	v_bfe_u32 v11, v10, 16, 1
	s_delay_alu instid0(VALU_DEP_1)
	v_add3_u32 v11, v10, v11, 0x7fff
                                        ; implicit-def: $vgpr10
; %bb.650:
	s_and_not1_saveexec_b32 s0, s0
; %bb.651:
	v_and_b32_e32 v11, 0xffff, v10
	v_or_b32_e32 v12, 0x10000, v10
	s_delay_alu instid0(VALU_DEP_2) | instskip(NEXT) | instid1(VALU_DEP_2)
	v_cmp_eq_u32_e32 vcc_lo, 0, v11
	v_cndmask_b32_e32 v11, v12, v10, vcc_lo
; %bb.652:
	s_or_b32 exec_lo, exec_lo, s0
	v_and_b32_e32 v10, 0x7f800000, v9
	flat_store_d16_hi_b16 v[0:1], v11 offset:96
	v_cmp_ne_u32_e32 vcc_lo, 0x7f800000, v10
                                        ; implicit-def: $vgpr10
	s_and_saveexec_b32 s0, vcc_lo
	s_delay_alu instid0(SALU_CYCLE_1)
	s_xor_b32 s0, exec_lo, s0
; %bb.653:
	v_bfe_u32 v10, v9, 16, 1
	s_delay_alu instid0(VALU_DEP_1)
	v_add3_u32 v10, v9, v10, 0x7fff
                                        ; implicit-def: $vgpr9
; %bb.654:
	s_and_not1_saveexec_b32 s0, s0
; %bb.655:
	v_and_b32_e32 v10, 0xffff, v9
	v_or_b32_e32 v11, 0x10000, v9
	s_delay_alu instid0(VALU_DEP_2) | instskip(NEXT) | instid1(VALU_DEP_2)
	v_cmp_eq_u32_e32 vcc_lo, 0, v10
	v_cndmask_b32_e32 v10, v11, v9, vcc_lo
; %bb.656:
	s_or_b32 exec_lo, exec_lo, s0
	v_and_b32_e32 v9, 0x7f800000, v8
	flat_store_d16_hi_b16 v[0:1], v10 offset:112
	v_cmp_ne_u32_e32 vcc_lo, 0x7f800000, v9
                                        ; implicit-def: $vgpr9
	s_and_saveexec_b32 s0, vcc_lo
	s_delay_alu instid0(SALU_CYCLE_1)
	s_xor_b32 s0, exec_lo, s0
; %bb.657:
	v_bfe_u32 v9, v8, 16, 1
	s_delay_alu instid0(VALU_DEP_1)
	v_add3_u32 v9, v8, v9, 0x7fff
                                        ; implicit-def: $vgpr8
; %bb.658:
	s_and_not1_saveexec_b32 s0, s0
; %bb.659:
	v_and_b32_e32 v9, 0xffff, v8
	v_or_b32_e32 v10, 0x10000, v8
	s_delay_alu instid0(VALU_DEP_2) | instskip(NEXT) | instid1(VALU_DEP_2)
	v_cmp_eq_u32_e32 vcc_lo, 0, v9
	v_cndmask_b32_e32 v9, v10, v8, vcc_lo
; %bb.660:
	s_or_b32 exec_lo, exec_lo, s0
	v_and_b32_e32 v8, 0x7f800000, v7
	flat_store_d16_hi_b16 v[0:1], v9 offset:128
	v_cmp_ne_u32_e32 vcc_lo, 0x7f800000, v8
                                        ; implicit-def: $vgpr8
	s_and_saveexec_b32 s0, vcc_lo
	s_delay_alu instid0(SALU_CYCLE_1)
	s_xor_b32 s0, exec_lo, s0
; %bb.661:
	v_bfe_u32 v8, v7, 16, 1
	s_delay_alu instid0(VALU_DEP_1)
	v_add3_u32 v8, v7, v8, 0x7fff
                                        ; implicit-def: $vgpr7
; %bb.662:
	s_and_not1_saveexec_b32 s0, s0
; %bb.663:
	v_and_b32_e32 v8, 0xffff, v7
	v_or_b32_e32 v9, 0x10000, v7
	s_delay_alu instid0(VALU_DEP_2) | instskip(NEXT) | instid1(VALU_DEP_2)
	v_cmp_eq_u32_e32 vcc_lo, 0, v8
	v_cndmask_b32_e32 v8, v9, v7, vcc_lo
; %bb.664:
	s_or_b32 exec_lo, exec_lo, s0
	v_and_b32_e32 v7, 0x7f800000, v6
	flat_store_d16_hi_b16 v[0:1], v8 offset:144
	v_cmp_ne_u32_e32 vcc_lo, 0x7f800000, v7
                                        ; implicit-def: $vgpr7
	s_and_saveexec_b32 s0, vcc_lo
	s_delay_alu instid0(SALU_CYCLE_1)
	s_xor_b32 s0, exec_lo, s0
; %bb.665:
	v_bfe_u32 v7, v6, 16, 1
	s_delay_alu instid0(VALU_DEP_1)
	v_add3_u32 v7, v6, v7, 0x7fff
                                        ; implicit-def: $vgpr6
; %bb.666:
	s_and_not1_saveexec_b32 s0, s0
; %bb.667:
	v_and_b32_e32 v7, 0xffff, v6
	v_or_b32_e32 v8, 0x10000, v6
	s_delay_alu instid0(VALU_DEP_2) | instskip(NEXT) | instid1(VALU_DEP_2)
	v_cmp_eq_u32_e32 vcc_lo, 0, v7
	v_cndmask_b32_e32 v7, v8, v6, vcc_lo
; %bb.668:
	s_or_b32 exec_lo, exec_lo, s0
	v_and_b32_e32 v6, 0x7f800000, v5
	flat_store_d16_hi_b16 v[0:1], v7 offset:160
	v_cmp_ne_u32_e32 vcc_lo, 0x7f800000, v6
                                        ; implicit-def: $vgpr6
	s_and_saveexec_b32 s0, vcc_lo
	s_delay_alu instid0(SALU_CYCLE_1)
	s_xor_b32 s0, exec_lo, s0
; %bb.669:
	v_bfe_u32 v6, v5, 16, 1
	s_delay_alu instid0(VALU_DEP_1)
	v_add3_u32 v6, v5, v6, 0x7fff
                                        ; implicit-def: $vgpr5
; %bb.670:
	s_and_not1_saveexec_b32 s0, s0
; %bb.671:
	v_and_b32_e32 v6, 0xffff, v5
	v_or_b32_e32 v7, 0x10000, v5
	s_delay_alu instid0(VALU_DEP_2) | instskip(NEXT) | instid1(VALU_DEP_2)
	v_cmp_eq_u32_e32 vcc_lo, 0, v6
	v_cndmask_b32_e32 v6, v7, v5, vcc_lo
; %bb.672:
	s_or_b32 exec_lo, exec_lo, s0
	v_and_b32_e32 v5, 0x7f800000, v4
	flat_store_d16_hi_b16 v[0:1], v6 offset:176
	v_cmp_ne_u32_e32 vcc_lo, 0x7f800000, v5
                                        ; implicit-def: $vgpr5
	s_and_saveexec_b32 s0, vcc_lo
	s_delay_alu instid0(SALU_CYCLE_1)
	s_xor_b32 s0, exec_lo, s0
; %bb.673:
	v_bfe_u32 v5, v4, 16, 1
	s_delay_alu instid0(VALU_DEP_1)
	v_add3_u32 v5, v4, v5, 0x7fff
                                        ; implicit-def: $vgpr4
; %bb.674:
	s_and_not1_saveexec_b32 s0, s0
; %bb.675:
	v_and_b32_e32 v5, 0xffff, v4
	v_or_b32_e32 v6, 0x10000, v4
	s_delay_alu instid0(VALU_DEP_2) | instskip(NEXT) | instid1(VALU_DEP_2)
	v_cmp_eq_u32_e32 vcc_lo, 0, v5
	v_cndmask_b32_e32 v5, v6, v4, vcc_lo
; %bb.676:
	s_or_b32 exec_lo, exec_lo, s0
	v_and_b32_e32 v4, 0x7f800000, v3
	flat_store_d16_hi_b16 v[0:1], v5 offset:192
	v_cmp_ne_u32_e32 vcc_lo, 0x7f800000, v4
                                        ; implicit-def: $vgpr4
	s_and_saveexec_b32 s0, vcc_lo
	s_delay_alu instid0(SALU_CYCLE_1)
	s_xor_b32 s0, exec_lo, s0
; %bb.677:
	v_bfe_u32 v4, v3, 16, 1
	s_delay_alu instid0(VALU_DEP_1)
	v_add3_u32 v4, v3, v4, 0x7fff
                                        ; implicit-def: $vgpr3
; %bb.678:
	s_and_not1_saveexec_b32 s0, s0
; %bb.679:
	v_and_b32_e32 v4, 0xffff, v3
	v_or_b32_e32 v5, 0x10000, v3
	s_delay_alu instid0(VALU_DEP_2) | instskip(NEXT) | instid1(VALU_DEP_2)
	v_cmp_eq_u32_e32 vcc_lo, 0, v4
	v_cndmask_b32_e32 v4, v5, v3, vcc_lo
; %bb.680:
	s_or_b32 exec_lo, exec_lo, s0
	v_and_b32_e32 v3, 0x7f800000, v2
	flat_store_d16_hi_b16 v[0:1], v4 offset:208
	v_cmp_ne_u32_e32 vcc_lo, 0x7f800000, v3
                                        ; implicit-def: $vgpr3
	s_and_saveexec_b32 s0, vcc_lo
	s_delay_alu instid0(SALU_CYCLE_1)
	s_xor_b32 s0, exec_lo, s0
; %bb.681:
	v_bfe_u32 v3, v2, 16, 1
	s_delay_alu instid0(VALU_DEP_1)
	v_add3_u32 v3, v2, v3, 0x7fff
                                        ; implicit-def: $vgpr2
; %bb.682:
	s_and_not1_saveexec_b32 s0, s0
; %bb.683:
	v_and_b32_e32 v3, 0xffff, v2
	v_or_b32_e32 v4, 0x10000, v2
	s_delay_alu instid0(VALU_DEP_2) | instskip(NEXT) | instid1(VALU_DEP_2)
	v_cmp_eq_u32_e32 vcc_lo, 0, v3
	v_cndmask_b32_e32 v3, v4, v2, vcc_lo
; %bb.684:
	s_or_b32 exec_lo, exec_lo, s0
	flat_store_d16_hi_b16 v[0:1], v3 offset:224
.LBB185_685:
	s_or_b32 exec_lo, exec_lo, s5
	s_clause 0x1f
	scratch_load_b32 v191, off, s32
	scratch_load_b32 v190, off, s32 offset:4
	scratch_load_b32 v189, off, s32 offset:8
	;; [unrolled: 1-line block ×31, first 2 shown]
	s_clause 0x1f
	scratch_load_b32 v127, off, s32 offset:128
	scratch_load_b32 v126, off, s32 offset:132
	;; [unrolled: 1-line block ×32, first 2 shown]
	s_clause 0xf
	scratch_load_b32 v63, off, s32 offset:256
	scratch_load_b32 v62, off, s32 offset:260
	;; [unrolled: 1-line block ×16, first 2 shown]
	s_waitcnt vmcnt(0) lgkmcnt(0)
	s_setpc_b64 s[30:31]
.LBB185_686:
	v_lshl_add_u32 v17, v1, 2, v16
	ds_load_b32 v17, v17
	s_waitcnt lgkmcnt(0)
	v_add_f32_e32 v0, v17, v0
	s_or_b32 exec_lo, exec_lo, s0
	s_and_saveexec_b32 s0, vcc_lo
	s_cbranch_execz .LBB185_587
.LBB185_687:
	v_lshl_add_u32 v17, v1, 2, v16
	ds_load_b32 v17, v17 offset:32
	s_waitcnt lgkmcnt(0)
	v_add_f32_e32 v15, v17, v15
	s_or_b32 exec_lo, exec_lo, s0
	s_and_saveexec_b32 s0, vcc_lo
	s_cbranch_execz .LBB185_588
.LBB185_688:
	v_lshl_add_u32 v17, v1, 2, v16
	ds_load_b32 v17, v17 offset:64
	s_waitcnt lgkmcnt(0)
	v_add_f32_e32 v14, v17, v14
	s_or_b32 exec_lo, exec_lo, s0
	s_and_saveexec_b32 s0, vcc_lo
	s_cbranch_execz .LBB185_589
.LBB185_689:
	v_lshl_add_u32 v17, v1, 2, v16
	ds_load_b32 v17, v17 offset:96
	s_waitcnt lgkmcnt(0)
	v_add_f32_e32 v13, v17, v13
	s_or_b32 exec_lo, exec_lo, s0
	s_and_saveexec_b32 s0, vcc_lo
	s_cbranch_execz .LBB185_590
.LBB185_690:
	v_lshl_add_u32 v17, v1, 2, v16
	ds_load_b32 v17, v17 offset:128
	s_waitcnt lgkmcnt(0)
	v_add_f32_e32 v12, v17, v12
	s_or_b32 exec_lo, exec_lo, s0
	s_and_saveexec_b32 s0, vcc_lo
	s_cbranch_execz .LBB185_591
.LBB185_691:
	v_lshl_add_u32 v17, v1, 2, v16
	ds_load_b32 v17, v17 offset:160
	s_waitcnt lgkmcnt(0)
	v_add_f32_e32 v11, v17, v11
	s_or_b32 exec_lo, exec_lo, s0
	s_and_saveexec_b32 s0, vcc_lo
	s_cbranch_execz .LBB185_592
.LBB185_692:
	v_lshl_add_u32 v17, v1, 2, v16
	ds_load_b32 v17, v17 offset:192
	s_waitcnt lgkmcnt(0)
	v_add_f32_e32 v10, v17, v10
	s_or_b32 exec_lo, exec_lo, s0
	s_and_saveexec_b32 s0, vcc_lo
	s_cbranch_execz .LBB185_593
.LBB185_693:
	v_lshl_add_u32 v17, v1, 2, v16
	ds_load_b32 v17, v17 offset:224
	s_waitcnt lgkmcnt(0)
	v_add_f32_e32 v9, v17, v9
	s_or_b32 exec_lo, exec_lo, s0
	s_and_saveexec_b32 s0, vcc_lo
	s_cbranch_execz .LBB185_594
.LBB185_694:
	v_lshl_add_u32 v17, v1, 2, v16
	ds_load_b32 v17, v17 offset:256
	s_waitcnt lgkmcnt(0)
	v_add_f32_e32 v8, v17, v8
	s_or_b32 exec_lo, exec_lo, s0
	s_and_saveexec_b32 s0, vcc_lo
	s_cbranch_execz .LBB185_595
.LBB185_695:
	v_lshl_add_u32 v17, v1, 2, v16
	ds_load_b32 v17, v17 offset:288
	s_waitcnt lgkmcnt(0)
	v_add_f32_e32 v7, v17, v7
	s_or_b32 exec_lo, exec_lo, s0
	s_and_saveexec_b32 s0, vcc_lo
	s_cbranch_execz .LBB185_596
.LBB185_696:
	v_lshl_add_u32 v17, v1, 2, v16
	ds_load_b32 v17, v17 offset:320
	s_waitcnt lgkmcnt(0)
	v_add_f32_e32 v6, v17, v6
	s_or_b32 exec_lo, exec_lo, s0
	s_and_saveexec_b32 s0, vcc_lo
	s_cbranch_execz .LBB185_597
.LBB185_697:
	v_lshl_add_u32 v17, v1, 2, v16
	ds_load_b32 v17, v17 offset:352
	s_waitcnt lgkmcnt(0)
	v_add_f32_e32 v5, v17, v5
	s_or_b32 exec_lo, exec_lo, s0
	s_and_saveexec_b32 s0, vcc_lo
	s_cbranch_execz .LBB185_598
.LBB185_698:
	v_lshl_add_u32 v17, v1, 2, v16
	ds_load_b32 v17, v17 offset:384
	s_waitcnt lgkmcnt(0)
	v_add_f32_e32 v4, v17, v4
	s_or_b32 exec_lo, exec_lo, s0
	s_and_saveexec_b32 s0, vcc_lo
	s_cbranch_execz .LBB185_599
.LBB185_699:
	v_lshl_add_u32 v17, v1, 2, v16
	ds_load_b32 v17, v17 offset:416
	s_waitcnt lgkmcnt(0)
	v_add_f32_e32 v3, v17, v3
	s_or_b32 exec_lo, exec_lo, s0
	s_and_saveexec_b32 s0, vcc_lo
	s_cbranch_execnz .LBB185_600
	s_branch .LBB185_601
.LBB185_700:
	ds_load_b32 v16, v1
	s_waitcnt lgkmcnt(0)
	v_add_f32_e32 v0, v16, v0
	s_or_b32 exec_lo, exec_lo, s3
	s_and_saveexec_b32 s3, vcc_lo
	s_cbranch_execz .LBB185_607
.LBB185_701:
	ds_load_b32 v16, v1 offset:32
	s_waitcnt lgkmcnt(0)
	v_add_f32_e32 v15, v16, v15
	s_or_b32 exec_lo, exec_lo, s3
	s_and_saveexec_b32 s3, vcc_lo
	s_cbranch_execz .LBB185_608
.LBB185_702:
	ds_load_b32 v16, v1 offset:64
	s_waitcnt lgkmcnt(0)
	v_add_f32_e32 v14, v16, v14
	s_or_b32 exec_lo, exec_lo, s3
	s_and_saveexec_b32 s3, vcc_lo
	s_cbranch_execz .LBB185_609
.LBB185_703:
	ds_load_b32 v16, v1 offset:96
	s_waitcnt lgkmcnt(0)
	v_add_f32_e32 v13, v16, v13
	s_or_b32 exec_lo, exec_lo, s3
	s_and_saveexec_b32 s3, vcc_lo
	s_cbranch_execz .LBB185_610
.LBB185_704:
	ds_load_b32 v16, v1 offset:128
	s_waitcnt lgkmcnt(0)
	v_add_f32_e32 v12, v16, v12
	s_or_b32 exec_lo, exec_lo, s3
	s_and_saveexec_b32 s3, vcc_lo
	s_cbranch_execz .LBB185_611
.LBB185_705:
	ds_load_b32 v16, v1 offset:160
	s_waitcnt lgkmcnt(0)
	v_add_f32_e32 v11, v16, v11
	s_or_b32 exec_lo, exec_lo, s3
	s_and_saveexec_b32 s3, vcc_lo
	s_cbranch_execz .LBB185_612
.LBB185_706:
	ds_load_b32 v16, v1 offset:192
	s_waitcnt lgkmcnt(0)
	v_add_f32_e32 v10, v16, v10
	s_or_b32 exec_lo, exec_lo, s3
	s_and_saveexec_b32 s3, vcc_lo
	s_cbranch_execz .LBB185_613
.LBB185_707:
	ds_load_b32 v16, v1 offset:224
	s_waitcnt lgkmcnt(0)
	v_add_f32_e32 v9, v16, v9
	s_or_b32 exec_lo, exec_lo, s3
	s_and_saveexec_b32 s3, vcc_lo
	s_cbranch_execz .LBB185_614
.LBB185_708:
	ds_load_b32 v16, v1 offset:256
	s_waitcnt lgkmcnt(0)
	v_add_f32_e32 v8, v16, v8
	s_or_b32 exec_lo, exec_lo, s3
	s_and_saveexec_b32 s3, vcc_lo
	s_cbranch_execz .LBB185_615
.LBB185_709:
	ds_load_b32 v16, v1 offset:288
	s_waitcnt lgkmcnt(0)
	v_add_f32_e32 v7, v16, v7
	s_or_b32 exec_lo, exec_lo, s3
	s_and_saveexec_b32 s3, vcc_lo
	s_cbranch_execz .LBB185_616
.LBB185_710:
	ds_load_b32 v16, v1 offset:320
	s_waitcnt lgkmcnt(0)
	v_add_f32_e32 v6, v16, v6
	s_or_b32 exec_lo, exec_lo, s3
	s_and_saveexec_b32 s3, vcc_lo
	s_cbranch_execz .LBB185_617
.LBB185_711:
	ds_load_b32 v16, v1 offset:352
	s_waitcnt lgkmcnt(0)
	v_add_f32_e32 v5, v16, v5
	s_or_b32 exec_lo, exec_lo, s3
	s_and_saveexec_b32 s3, vcc_lo
	s_cbranch_execz .LBB185_618
.LBB185_712:
	ds_load_b32 v16, v1 offset:384
	s_waitcnt lgkmcnt(0)
	v_add_f32_e32 v4, v16, v4
	s_or_b32 exec_lo, exec_lo, s3
	s_and_saveexec_b32 s3, vcc_lo
	s_cbranch_execz .LBB185_619
.LBB185_713:
	ds_load_b32 v16, v1 offset:416
	s_waitcnt lgkmcnt(0)
	v_add_f32_e32 v3, v16, v3
	s_or_b32 exec_lo, exec_lo, s3
	s_and_saveexec_b32 s3, vcc_lo
	s_cbranch_execnz .LBB185_620
	s_branch .LBB185_621
.Lfunc_end185:
	.size	_ZN4vllm22paged_attention_kernelI14__hip_bfloat16S1_Li120ELi32ELi128ELNS_18Fp8KVCacheDataTypeE0ELb1ELi512EEEvPfS3_PT_PKS4_PKT0_SA_ifPKiSC_iPKfiiiSE_SE_iiiii, .Lfunc_end185-_ZN4vllm22paged_attention_kernelI14__hip_bfloat16S1_Li120ELi32ELi128ELNS_18Fp8KVCacheDataTypeE0ELb1ELi512EEEvPfS3_PT_PKS4_PKT0_SA_ifPKiSC_iPKfiiiSE_SE_iiiii
                                        ; -- End function
	.section	.AMDGPU.csdata,"",@progbits
; Function info:
; codeLenInByte = 31320
; NumSgprs: 35
; NumVgprs: 192
; ScratchSize: 500
; MemoryBound: 0
	.section	.text._ZN4vllm25paged_attention_v2_kernelI14__hip_bfloat16S1_Li120ELi32ELi128ELNS_18Fp8KVCacheDataTypeE0ELb1ELi512EEEvPfS3_PT_PKS4_PKT0_SA_ifPKiSC_iPKfiiiSE_SE_iiiii,"axG",@progbits,_ZN4vllm25paged_attention_v2_kernelI14__hip_bfloat16S1_Li120ELi32ELi128ELNS_18Fp8KVCacheDataTypeE0ELb1ELi512EEEvPfS3_PT_PKS4_PKT0_SA_ifPKiSC_iPKfiiiSE_SE_iiiii,comdat
	.protected	_ZN4vllm25paged_attention_v2_kernelI14__hip_bfloat16S1_Li120ELi32ELi128ELNS_18Fp8KVCacheDataTypeE0ELb1ELi512EEEvPfS3_PT_PKS4_PKT0_SA_ifPKiSC_iPKfiiiSE_SE_iiiii ; -- Begin function _ZN4vllm25paged_attention_v2_kernelI14__hip_bfloat16S1_Li120ELi32ELi128ELNS_18Fp8KVCacheDataTypeE0ELb1ELi512EEEvPfS3_PT_PKS4_PKT0_SA_ifPKiSC_iPKfiiiSE_SE_iiiii
	.globl	_ZN4vllm25paged_attention_v2_kernelI14__hip_bfloat16S1_Li120ELi32ELi128ELNS_18Fp8KVCacheDataTypeE0ELb1ELi512EEEvPfS3_PT_PKS4_PKT0_SA_ifPKiSC_iPKfiiiSE_SE_iiiii
	.p2align	8
	.type	_ZN4vllm25paged_attention_v2_kernelI14__hip_bfloat16S1_Li120ELi32ELi128ELNS_18Fp8KVCacheDataTypeE0ELb1ELi512EEEvPfS3_PT_PKS4_PKT0_SA_ifPKiSC_iPKfiiiSE_SE_iiiii,@function
_ZN4vllm25paged_attention_v2_kernelI14__hip_bfloat16S1_Li120ELi32ELi128ELNS_18Fp8KVCacheDataTypeE0ELb1ELi512EEEvPfS3_PT_PKS4_PKT0_SA_ifPKiSC_iPKfiiiSE_SE_iiiii: ; @_ZN4vllm25paged_attention_v2_kernelI14__hip_bfloat16S1_Li120ELi32ELi128ELNS_18Fp8KVCacheDataTypeE0ELb1ELi512EEEvPfS3_PT_PKS4_PKT0_SA_ifPKiSC_iPKfiiiSE_SE_iiiii
; %bb.0:
	s_mov_b32 s12, s13
	s_clause 0x7
	s_load_b256 s[24:31], s[0:1], 0x0
	s_load_b256 s[16:23], s[0:1], 0x20
	s_load_b64 s[2:3], s[0:1], 0x40
	s_load_b64 s[10:11], s[0:1], 0x50
	s_load_b32 s13, s[0:1], 0x48
	s_load_b32 s33, s[0:1], 0x88
	s_load_b128 s[36:39], s[0:1], 0x58
	s_load_b128 s[4:7], s[0:1], 0x78
	v_mov_b32_e32 v31, v0
	s_add_u32 s8, s0, 0x90
	s_addc_u32 s9, s1, 0
	s_mov_b32 s32, 0
	s_getpc_b64 s[0:1]
	s_add_u32 s0, s0, _ZN4vllm22paged_attention_kernelI14__hip_bfloat16S1_Li120ELi32ELi128ELNS_18Fp8KVCacheDataTypeE0ELb1ELi512EEEvPfS3_PT_PKS4_PKT0_SA_ifPKiSC_iPKfiiiSE_SE_iiiii@rel32@lo+4
	s_addc_u32 s1, s1, _ZN4vllm22paged_attention_kernelI14__hip_bfloat16S1_Li120ELi32ELi128ELNS_18Fp8KVCacheDataTypeE0ELb1ELi512EEEvPfS3_PT_PKS4_PKT0_SA_ifPKiSC_iPKfiiiSE_SE_iiiii@rel32@hi+12
	s_waitcnt lgkmcnt(0)
	v_dual_mov_b32 v0, s24 :: v_dual_mov_b32 v1, s25
	v_dual_mov_b32 v2, s26 :: v_dual_mov_b32 v3, s27
	;; [unrolled: 1-line block ×14, first 2 shown]
	v_mov_b32_e32 v28, s33
	s_mov_b32 s13, s14
	s_mov_b32 s14, s15
	;; [unrolled: 1-line block ×3, first 2 shown]
	s_swappc_b64 s[30:31], s[0:1]
	s_endpgm
	.section	.rodata,"a",@progbits
	.p2align	6, 0x0
	.amdhsa_kernel _ZN4vllm25paged_attention_v2_kernelI14__hip_bfloat16S1_Li120ELi32ELi128ELNS_18Fp8KVCacheDataTypeE0ELb1ELi512EEEvPfS3_PT_PKS4_PKT0_SA_ifPKiSC_iPKfiiiSE_SE_iiiii
		.amdhsa_group_segment_fixed_size 272
		.amdhsa_private_segment_fixed_size 500
		.amdhsa_kernarg_size 400
		.amdhsa_user_sgpr_count 13
		.amdhsa_user_sgpr_dispatch_ptr 0
		.amdhsa_user_sgpr_queue_ptr 0
		.amdhsa_user_sgpr_kernarg_segment_ptr 1
		.amdhsa_user_sgpr_dispatch_id 0
		.amdhsa_user_sgpr_private_segment_size 0
		.amdhsa_wavefront_size32 1
		.amdhsa_uses_dynamic_stack 0
		.amdhsa_enable_private_segment 1
		.amdhsa_system_sgpr_workgroup_id_x 1
		.amdhsa_system_sgpr_workgroup_id_y 1
		.amdhsa_system_sgpr_workgroup_id_z 1
		.amdhsa_system_sgpr_workgroup_info 0
		.amdhsa_system_vgpr_workitem_id 0
		.amdhsa_next_free_vgpr 192
		.amdhsa_next_free_sgpr 40
		.amdhsa_reserve_vcc 1
		.amdhsa_float_round_mode_32 0
		.amdhsa_float_round_mode_16_64 0
		.amdhsa_float_denorm_mode_32 3
		.amdhsa_float_denorm_mode_16_64 3
		.amdhsa_dx10_clamp 1
		.amdhsa_ieee_mode 1
		.amdhsa_fp16_overflow 0
		.amdhsa_workgroup_processor_mode 1
		.amdhsa_memory_ordered 1
		.amdhsa_forward_progress 0
		.amdhsa_shared_vgpr_count 0
		.amdhsa_exception_fp_ieee_invalid_op 0
		.amdhsa_exception_fp_denorm_src 0
		.amdhsa_exception_fp_ieee_div_zero 0
		.amdhsa_exception_fp_ieee_overflow 0
		.amdhsa_exception_fp_ieee_underflow 0
		.amdhsa_exception_fp_ieee_inexact 0
		.amdhsa_exception_int_div_zero 0
	.end_amdhsa_kernel
	.section	.text._ZN4vllm25paged_attention_v2_kernelI14__hip_bfloat16S1_Li120ELi32ELi128ELNS_18Fp8KVCacheDataTypeE0ELb1ELi512EEEvPfS3_PT_PKS4_PKT0_SA_ifPKiSC_iPKfiiiSE_SE_iiiii,"axG",@progbits,_ZN4vllm25paged_attention_v2_kernelI14__hip_bfloat16S1_Li120ELi32ELi128ELNS_18Fp8KVCacheDataTypeE0ELb1ELi512EEEvPfS3_PT_PKS4_PKT0_SA_ifPKiSC_iPKfiiiSE_SE_iiiii,comdat
.Lfunc_end186:
	.size	_ZN4vllm25paged_attention_v2_kernelI14__hip_bfloat16S1_Li120ELi32ELi128ELNS_18Fp8KVCacheDataTypeE0ELb1ELi512EEEvPfS3_PT_PKS4_PKT0_SA_ifPKiSC_iPKfiiiSE_SE_iiiii, .Lfunc_end186-_ZN4vllm25paged_attention_v2_kernelI14__hip_bfloat16S1_Li120ELi32ELi128ELNS_18Fp8KVCacheDataTypeE0ELb1ELi512EEEvPfS3_PT_PKS4_PKT0_SA_ifPKiSC_iPKfiiiSE_SE_iiiii
                                        ; -- End function
	.section	.AMDGPU.csdata,"",@progbits
; Kernel info:
; codeLenInByte = 252
; NumSgprs: 42
; NumVgprs: 192
; ScratchSize: 500
; MemoryBound: 0
; FloatMode: 240
; IeeeMode: 1
; LDSByteSize: 272 bytes/workgroup (compile time only)
; SGPRBlocks: 5
; VGPRBlocks: 23
; NumSGPRsForWavesPerEU: 42
; NumVGPRsForWavesPerEU: 192
; Occupancy: 8
; WaveLimiterHint : 1
; COMPUTE_PGM_RSRC2:SCRATCH_EN: 1
; COMPUTE_PGM_RSRC2:USER_SGPR: 13
; COMPUTE_PGM_RSRC2:TRAP_HANDLER: 0
; COMPUTE_PGM_RSRC2:TGID_X_EN: 1
; COMPUTE_PGM_RSRC2:TGID_Y_EN: 1
; COMPUTE_PGM_RSRC2:TGID_Z_EN: 1
; COMPUTE_PGM_RSRC2:TIDIG_COMP_CNT: 0
	.text
	.p2align	2                               ; -- Begin function _ZN4vllm22paged_attention_kernelI14__hip_bfloat16S1_Li128ELi32ELi128ELNS_18Fp8KVCacheDataTypeE0ELb1ELi512EEEvPfS3_PT_PKS4_PKT0_SA_ifPKiSC_iPKfiiiSE_SE_iiiii
	.type	_ZN4vllm22paged_attention_kernelI14__hip_bfloat16S1_Li128ELi32ELi128ELNS_18Fp8KVCacheDataTypeE0ELb1ELi512EEEvPfS3_PT_PKS4_PKT0_SA_ifPKiSC_iPKfiiiSE_SE_iiiii,@function
_ZN4vllm22paged_attention_kernelI14__hip_bfloat16S1_Li128ELi32ELi128ELNS_18Fp8KVCacheDataTypeE0ELb1ELi512EEEvPfS3_PT_PKS4_PKT0_SA_ifPKiSC_iPKfiiiSE_SE_iiiii: ; @_ZN4vllm22paged_attention_kernelI14__hip_bfloat16S1_Li128ELi32ELi128ELNS_18Fp8KVCacheDataTypeE0ELb1ELi512EEEvPfS3_PT_PKS4_PKT0_SA_ifPKiSC_iPKfiiiSE_SE_iiiii
; %bb.0:
	s_waitcnt vmcnt(0) expcnt(0) lgkmcnt(0)
	s_clause 0x1f
	scratch_store_b32 off, v40, s32 offset:316
	; meta instruction
	scratch_store_b32 off, v41, s32 offset:312
	; meta instruction
	;; [unrolled: 2-line block ×31, first 2 shown]
	scratch_store_b32 off, v95, s32 offset:192
	s_clause 0x1f
	scratch_store_b32 off, v104, s32 offset:188
	; meta instruction
	scratch_store_b32 off, v105, s32 offset:184
	; meta instruction
	;; [unrolled: 2-line block ×31, first 2 shown]
	scratch_store_b32 off, v159, s32 offset:64
	s_clause 0xf
	scratch_store_b32 off, v168, s32 offset:60
	; meta instruction
	scratch_store_b32 off, v169, s32 offset:56
	; meta instruction
	;; [unrolled: 2-line block ×15, first 2 shown]
	scratch_store_b32 off, v191, s32
	s_mov_b32 s4, s13
	s_ashr_i32 s5, s13, 31
	v_dual_mov_b32 v29, v1 :: v_dual_mov_b32 v30, v0
	s_lshl_b64 s[0:1], s[4:5], 2
	v_dual_mov_b32 v188, v5 :: v_dual_mov_b32 v189, v4
	v_add_co_u32 v0, vcc_lo, v16, s0
	v_add_co_ci_u32_e32 v1, vcc_lo, s1, v17, vcc_lo
	v_dual_mov_b32 v32, v3 :: v_dual_mov_b32 v33, v2
	s_lshl_b32 s3, s14, 9
	flat_load_b32 v86, v[0:1]
	s_mov_b32 s5, exec_lo
	s_waitcnt vmcnt(0) lgkmcnt(0)
	v_cmpx_lt_i32_e64 s3, v86
	s_cbranch_execz .LBB187_725
; %bb.1:
	v_sub_nc_u32_e32 v0, 0, v12
	s_clause 0x1
	s_load_b32 s0, s[8:9], 0x10
	s_load_b32 s1, s[8:9], 0x0
	s_mov_b32 s10, s15
	v_mov_b32_e32 v102, 0
	v_max_i32_e32 v0, v12, v0
	s_delay_alu instid0(VALU_DEP_1) | instskip(SKIP_1) | instid1(VALU_DEP_2)
	v_cvt_f32_u32_e32 v1, v0
	v_sub_nc_u32_e32 v2, 0, v0
	v_rcp_iflag_f32_e32 v1, v1
	s_waitcnt lgkmcnt(0)
	s_lshr_b32 s0, s0, 16
	s_delay_alu instid0(SALU_CYCLE_1) | instskip(SKIP_3) | instid1(SALU_CYCLE_1)
	s_cmp_lg_u32 s0, 0
	s_waitcnt_depctr 0xfff
	v_mul_f32_e32 v1, 0x4f7ffffe, v1
	s_cselect_b32 s0, -1, 0
	s_cmp_lg_u32 s0, 0
	s_delay_alu instid0(VALU_DEP_1) | instskip(SKIP_3) | instid1(VALU_DEP_1)
	v_cvt_u32_f32_e32 v1, v1
	s_addc_u32 s16, s1, 0
	s_mov_b32 s1, exec_lo
	s_abs_i32 s0, s16
	v_mul_lo_u32 v2, v2, v1
	s_delay_alu instid0(VALU_DEP_1) | instskip(NEXT) | instid1(VALU_DEP_1)
	v_mul_hi_u32 v2, v1, v2
	v_add_nc_u32_e32 v1, v1, v2
	s_delay_alu instid0(VALU_DEP_1) | instskip(NEXT) | instid1(VALU_DEP_1)
	v_mul_hi_u32 v1, s0, v1
	v_mul_lo_u32 v2, v1, v0
	v_add_nc_u32_e32 v3, 1, v1
	s_delay_alu instid0(VALU_DEP_2) | instskip(SKIP_1) | instid1(VALU_DEP_1)
	v_sub_nc_u32_e32 v2, s0, v2
	s_abs_i32 s0, s12
	v_sub_nc_u32_e32 v4, v2, v0
	v_cmp_ge_u32_e32 vcc_lo, v2, v0
	s_delay_alu instid0(VALU_DEP_2) | instskip(SKIP_1) | instid1(VALU_DEP_2)
	v_dual_cndmask_b32 v1, v1, v3 :: v_dual_cndmask_b32 v2, v2, v4
	v_xor_b32_e32 v3, s16, v12
	v_add_nc_u32_e32 v4, 1, v1
	s_delay_alu instid0(VALU_DEP_3) | instskip(NEXT) | instid1(VALU_DEP_3)
	v_cmp_ge_u32_e32 vcc_lo, v2, v0
	v_ashrrev_i32_e32 v3, 31, v3
	s_delay_alu instid0(VALU_DEP_3) | instskip(NEXT) | instid1(VALU_DEP_1)
	v_cndmask_b32_e32 v0, v1, v4, vcc_lo
	v_xor_b32_e32 v0, v0, v3
	s_delay_alu instid0(VALU_DEP_1) | instskip(NEXT) | instid1(VALU_DEP_1)
	v_sub_nc_u32_e32 v1, v0, v3
	v_sub_nc_u32_e32 v0, 0, v1
	s_delay_alu instid0(VALU_DEP_1) | instskip(NEXT) | instid1(VALU_DEP_1)
	v_max_i32_e32 v0, v1, v0
	v_cvt_f32_u32_e32 v2, v0
	v_sub_nc_u32_e32 v3, 0, v0
	s_delay_alu instid0(VALU_DEP_2) | instskip(SKIP_2) | instid1(VALU_DEP_1)
	v_rcp_iflag_f32_e32 v2, v2
	s_waitcnt_depctr 0xfff
	v_mul_f32_e32 v2, 0x4f7ffffe, v2
	v_cvt_u32_f32_e32 v2, v2
	s_delay_alu instid0(VALU_DEP_1) | instskip(NEXT) | instid1(VALU_DEP_1)
	v_mul_lo_u32 v3, v3, v2
	v_mul_hi_u32 v3, v2, v3
	s_delay_alu instid0(VALU_DEP_1) | instskip(NEXT) | instid1(VALU_DEP_1)
	v_add_nc_u32_e32 v2, v2, v3
	v_mad_u64_u32 v[16:17], null, s0, v2, 0
	v_cmpx_ne_u64_e32 0, v[19:20]
	s_cbranch_execz .LBB187_3
; %bb.2:
	s_ashr_i32 s13, s12, 31
	s_delay_alu instid0(SALU_CYCLE_1) | instskip(NEXT) | instid1(SALU_CYCLE_1)
	s_lshl_b64 s[6:7], s[12:13], 2
	v_add_co_u32 v2, vcc_lo, v19, s6
	v_add_co_ci_u32_e32 v3, vcc_lo, s7, v20, vcc_lo
	flat_load_b32 v102, v[2:3]
.LBB187_3:
	s_or_b32 exec_lo, exec_lo, s1
	v_and_b32_e32 v190, 0x3ff, v31
	v_ashrrev_i32_e32 v1, 31, v1
	s_ashr_i32 s1, s12, 31
	s_lshl_b32 s6, s12, 7
	s_mov_b32 s2, exec_lo
	v_cmpx_gt_u32_e32 16, v190
	s_cbranch_execz .LBB187_5
; %bb.4:
	v_mul_lo_u32 v2, s4, v21
	s_ashr_i32 s7, s6, 31
	v_lshlrev_b32_e32 v16, 4, v190
	s_lshl_b64 s[18:19], s[6:7], 1
	s_delay_alu instid0(VALU_DEP_2) | instskip(NEXT) | instid1(VALU_DEP_1)
	v_ashrrev_i32_e32 v3, 31, v2
	v_lshlrev_b64 v[2:3], 1, v[2:3]
	s_delay_alu instid0(VALU_DEP_1) | instskip(NEXT) | instid1(VALU_DEP_2)
	v_add_co_u32 v2, vcc_lo, v6, v2
	v_add_co_ci_u32_e32 v3, vcc_lo, v7, v3, vcc_lo
	s_delay_alu instid0(VALU_DEP_2) | instskip(NEXT) | instid1(VALU_DEP_2)
	v_add_co_u32 v2, vcc_lo, v2, s18
	v_add_co_ci_u32_e32 v3, vcc_lo, s19, v3, vcc_lo
	s_delay_alu instid0(VALU_DEP_2) | instskip(NEXT) | instid1(VALU_DEP_2)
	v_add_co_u32 v2, vcc_lo, v2, v16
	v_add_co_ci_u32_e32 v3, vcc_lo, 0, v3, vcc_lo
	flat_load_b128 v[2:5], v[2:3]
	s_waitcnt vmcnt(0) lgkmcnt(0)
	ds_store_b128 v16, v[2:5]
.LBB187_5:
	s_or_b32 exec_lo, exec_lo, s2
	v_sub_nc_u32_e32 v2, 0, v27
	v_mul_lo_u32 v3, v17, v0
	v_xor_b32_e32 v1, s1, v1
                                        ; implicit-def: $vgpr20
	v_add_nc_u32_e32 v5, 1, v17
	s_delay_alu instid0(VALU_DEP_4) | instskip(NEXT) | instid1(VALU_DEP_4)
	v_max_i32_e32 v87, v27, v2
	v_sub_nc_u32_e32 v3, s0, v3
	s_delay_alu instid0(VALU_DEP_2) | instskip(SKIP_1) | instid1(VALU_DEP_2)
	v_cvt_f32_u32_e32 v2, v87
	s_mov_b32 s0, exec_lo
	v_sub_nc_u32_e32 v6, v3, v0
	s_delay_alu instid0(VALU_DEP_2) | instskip(SKIP_3) | instid1(VALU_DEP_1)
	v_rcp_iflag_f32_e32 v2, v2
	v_cmp_ge_u32_e32 vcc_lo, v3, v0
	s_waitcnt_depctr 0xfff
	v_dual_cndmask_b32 v5, v17, v5 :: v_dual_mul_f32 v2, 0x4f7ffffe, v2
	v_cvt_u32_f32_e32 v4, v2
	v_sub_nc_u32_e32 v2, 0, v87
	s_delay_alu instid0(VALU_DEP_1) | instskip(SKIP_2) | instid1(VALU_DEP_2)
	v_mul_lo_u32 v7, v2, v4
	v_add_nc_u32_e32 v2, -1, v86
	v_dual_cndmask_b32 v3, v3, v6 :: v_dual_add_nc_u32 v6, 1, v5
	v_sub_nc_u32_e32 v16, 0, v2
	s_delay_alu instid0(VALU_DEP_2) | instskip(SKIP_1) | instid1(VALU_DEP_3)
	v_cmp_ge_u32_e32 vcc_lo, v3, v0
	v_mul_hi_u32 v7, v4, v7
	v_max_i32_e32 v0, v2, v16
	s_delay_alu instid0(VALU_DEP_2) | instskip(NEXT) | instid1(VALU_DEP_1)
	v_dual_cndmask_b32 v3, v5, v6 :: v_dual_add_nc_u32 v4, v4, v7
	v_xor_b32_e32 v3, v3, v1
	s_delay_alu instid0(VALU_DEP_2) | instskip(NEXT) | instid1(VALU_DEP_2)
	v_mad_u64_u32 v[6:7], null, v0, v4, 0
	v_sub_nc_u32_e32 v6, v3, v1
	scratch_store_b32 off, v4, s32 offset:324 ; 4-byte Folded Spill
	s_waitcnt vmcnt(0) lgkmcnt(0)
	s_waitcnt_vscnt null, 0x0
	s_barrier
	buffer_gl0_inv
	v_cmpx_gt_i32_e32 0, v28
	s_xor_b32 s0, exec_lo, s0
; %bb.6:
	v_mad_u64_u32 v[3:4], null, v24, v12, v[6:7]
                                        ; implicit-def: $vgpr24
	s_delay_alu instid0(VALU_DEP_1) | instskip(NEXT) | instid1(VALU_DEP_1)
	v_mul_lo_u32 v1, v3, v28
                                        ; implicit-def: $vgpr28
	v_sub_nc_u32_e32 v20, 1, v1
; %bb.7:
	s_or_saveexec_b32 s0, s0
	v_ashrrev_i32_e32 v1, 31, v2
	v_ashrrev_i32_e32 v2, 31, v27
	scratch_store_b32 off, v2, s32 offset:320 ; 4-byte Folded Spill
	s_xor_b32 exec_lo, exec_lo, s0
; %bb.8:
	v_mad_u64_u32 v[2:3], null, s16, v24, s[12:13]
	s_delay_alu instid0(VALU_DEP_1)
	v_mad_u64_u32 v[20:21], null, v2, v28, 1
; %bb.9:
	s_or_b32 exec_lo, exec_lo, s0
	s_clause 0x1
	s_load_b32 s15, s[8:9], 0x14
	s_load_b32 s7, s[8:9], 0x8
	scratch_load_b32 v5, off, s32 offset:320 ; 4-byte Folded Reload
	v_mul_lo_u32 v2, v7, v87
	v_add_nc_u32_e32 v4, 1, v7
	v_lshrrev_b32_e32 v191, 5, v190
	s_lshl_b32 s13, s14, 4
	v_mul_lo_u32 v50, v6, v23
	s_add_i32 s0, s13, 16
	v_sub_nc_u32_e32 v39, 0, v26
	v_add_nc_u32_e32 v23, s13, v191
	v_sub_nc_u32_e32 v2, v0, v2
	v_mul_lo_u32 v0, s4, v18
	v_lshl_add_u32 v98, v191, 5, s3
	v_mov_b32_e32 v100, 0xff7fffff
	v_ashrrev_i32_e32 v51, 31, v50
	v_cmp_ge_u32_e32 vcc_lo, v2, v87
	v_add_nc_u32_e32 v3, 31, v86
	v_sub_nc_u32_e32 v12, v2, v87
	v_ashrrev_i32_e32 v24, 31, v23
	v_cndmask_b32_e32 v4, v7, v4, vcc_lo
	s_delay_alu instid0(VALU_DEP_1) | instskip(SKIP_3) | instid1(VALU_DEP_1)
	v_add_nc_u32_e32 v7, 1, v4
	s_waitcnt vmcnt(0)
	v_xor_b32_e32 v5, v1, v5
	v_ashrrev_i32_e32 v1, 31, v3
	v_lshrrev_b32_e32 v1, 27, v1
	v_cndmask_b32_e32 v2, v2, v12, vcc_lo
	v_and_b32_e32 v12, 31, v190
	s_delay_alu instid0(VALU_DEP_3) | instskip(NEXT) | instid1(VALU_DEP_3)
	v_add_nc_u32_e32 v1, v3, v1
	v_cmp_ge_u32_e32 vcc_lo, v2, v87
	s_delay_alu instid0(VALU_DEP_2) | instskip(SKIP_2) | instid1(VALU_DEP_3)
	v_ashrrev_i32_e32 v21, 5, v1
	v_cndmask_b32_e32 v2, v4, v7, vcc_lo
	v_ashrrev_i32_e32 v1, 31, v0
	v_min_i32_e32 v99, s0, v21
	s_delay_alu instid0(VALU_DEP_3) | instskip(NEXT) | instid1(VALU_DEP_3)
	v_xor_b32_e32 v2, v2, v5
	v_lshlrev_b64 v[53:54], 2, v[0:1]
	s_delay_alu instid0(VALU_DEP_3) | instskip(NEXT) | instid1(VALU_DEP_3)
	v_cmp_lt_i32_e64 s0, v23, v99
	v_sub_nc_u32_e32 v2, v2, v5
	s_delay_alu instid0(VALU_DEP_1)
	v_sub_nc_u32_e32 v0, v2, v25
	s_clause 0x1
	scratch_store_b32 off, v0, s32 offset:328
	scratch_store_b32 off, v12, s32 offset:332
	v_lshlrev_b32_e32 v12, 2, v12
	s_and_saveexec_b32 s17, s0
	s_cbranch_execz .LBB187_17
; %bb.10:
	s_clause 0x9
	scratch_store_b32 off, v21, s32 offset:516
	scratch_store_b32 off, v33, s32 offset:496
	;; [unrolled: 1-line block ×10, first 2 shown]
	v_mov_b32_e32 v10, 0
	v_max_i32_e32 v159, v26, v39
	s_getpc_b64 s[8:9]
	s_add_u32 s8, s8, llvm.amdgcn.dynlds.offset.table@rel32@lo+4
	s_addc_u32 s9, s9, llvm.amdgcn.dynlds.offset.table@rel32@hi+12
	s_ashr_i32 s11, s10, 31
	ds_load_b128 v[0:3], v10
	ds_load_b128 v[4:7], v10 offset:16
	ds_load_b128 v[16:19], v10 offset:32
	;; [unrolled: 1-line block ×3, first 2 shown]
	s_lshl_b64 s[18:19], s[10:11], 2
	v_mov_b32_e32 v100, 0xff7fffff
	s_add_u32 s8, s18, s8
	s_addc_u32 s9, s19, s9
	s_mov_b32 s18, 0
	s_waitcnt lgkmcnt(0)
	v_bfi_b32 v11, 0xffff, 0, v0
	v_lshlrev_b32_e32 v0, 16, v0
	v_lshlrev_b32_e32 v165, 16, v19
	ds_load_b128 v[29:32], v10 offset:64
	v_bfi_b32 v164, 0xffff, 0, v19
	s_clause 0x1
	scratch_store_b32 off, v11, s32 offset:336
	scratch_store_b32 off, v0, s32 offset:340
	v_bfi_b32 v0, 0xffff, 0, v4
	v_bfi_b32 v166, 0xffff, 0, v38
	scratch_store_b32 off, v0, s32 offset:344 ; 4-byte Folded Spill
	v_lshlrev_b32_e32 v0, 16, v4
	scratch_store_b32 off, v0, s32 offset:348 ; 4-byte Folded Spill
	v_bfi_b32 v0, 0xffff, 0, v16
	scratch_store_b32 off, v0, s32 offset:352 ; 4-byte Folded Spill
	v_lshlrev_b32_e32 v0, 16, v16
	scratch_store_b32 off, v0, s32 offset:356 ; 4-byte Folded Spill
	;; [unrolled: 4-line block ×6, first 2 shown]
	v_bfi_b32 v0, 0xffff, 0, v36
	scratch_store_b32 off, v0, s32 offset:392 ; 4-byte Folded Spill
	v_lshlrev_b32_e32 v0, 16, v36
	ds_load_b128 v[33:36], v10 offset:80
	s_waitcnt lgkmcnt(1)
	v_bfi_b32 v176, 0xffff, 0, v29
	v_lshlrev_b32_e32 v177, 16, v29
	v_bfi_b32 v178, 0xffff, 0, v30
	scratch_store_b32 off, v0, s32 offset:396 ; 4-byte Folded Spill
	v_bfi_b32 v0, 0xffff, 0, v2
	v_lshlrev_b32_e32 v179, 16, v30
	v_bfi_b32 v180, 0xffff, 0, v31
	v_lshlrev_b32_e32 v181, 16, v31
	v_bfi_b32 v182, 0xffff, 0, v32
	scratch_store_b32 off, v0, s32 offset:400 ; 4-byte Folded Spill
	v_lshlrev_b32_e32 v0, 16, v2
	v_lshlrev_b32_e32 v183, 16, v32
	ds_load_b128 v[27:30], v10 offset:144
	scratch_store_b32 off, v0, s32 offset:404 ; 4-byte Folded Spill
	v_bfi_b32 v0, 0xffff, 0, v6
	s_waitcnt lgkmcnt(1)
	v_bfi_b32 v40, 0xffff, 0, v33
	v_lshlrev_b32_e32 v41, 16, v33
	scratch_store_b32 off, v0, s32 offset:408 ; 4-byte Folded Spill
	v_lshlrev_b32_e32 v0, 16, v6
	v_bfi_b32 v42, 0xffff, 0, v34
	v_lshlrev_b32_e32 v43, 16, v34
	v_bfi_b32 v44, 0xffff, 0, v35
	v_lshlrev_b32_e32 v45, 16, v35
	scratch_store_b32 off, v0, s32 offset:412 ; 4-byte Folded Spill
	v_bfi_b32 v0, 0xffff, 0, v18
	v_bfi_b32 v46, 0xffff, 0, v36
	v_lshlrev_b32_e32 v47, 16, v36
	s_waitcnt lgkmcnt(0)
	v_bfi_b32 v104, 0xffff, 0, v27
	scratch_store_b32 off, v0, s32 offset:416 ; 4-byte Folded Spill
	v_lshlrev_b32_e32 v0, 16, v18
	ds_load_b128 v[16:19], v10 offset:128
	v_lshlrev_b32_e32 v105, 16, v27
	v_bfi_b32 v106, 0xffff, 0, v28
	v_lshlrev_b32_e32 v107, 16, v28
	scratch_store_b32 off, v0, s32 offset:420 ; 4-byte Folded Spill
	v_bfi_b32 v0, 0xffff, 0, v37
	v_bfi_b32 v108, 0xffff, 0, v29
	v_lshlrev_b32_e32 v109, 16, v29
	v_bfi_b32 v110, 0xffff, 0, v30
	v_lshlrev_b32_e32 v111, 16, v30
	scratch_store_b32 off, v0, s32 offset:424 ; 4-byte Folded Spill
	v_lshlrev_b32_e32 v0, 16, v37
	scratch_store_b32 off, v0, s32 offset:428 ; 4-byte Folded Spill
	v_bfi_b32 v0, 0xffff, 0, v3
	s_waitcnt lgkmcnt(0)
	v_bfi_b32 v88, 0xffff, 0, v16
	v_lshlrev_b32_e32 v89, 16, v16
	scratch_store_b32 off, v0, s32 offset:432 ; 4-byte Folded Spill
	v_lshlrev_b32_e32 v0, 16, v3
	v_bfi_b32 v90, 0xffff, 0, v17
	v_lshlrev_b32_e32 v91, 16, v17
	v_bfi_b32 v92, 0xffff, 0, v18
	v_lshlrev_b32_e32 v93, 16, v18
	scratch_store_b32 off, v0, s32 offset:436 ; 4-byte Folded Spill
	v_bfi_b32 v0, 0xffff, 0, v7
	v_bfi_b32 v94, 0xffff, 0, v19
	v_lshlrev_b32_e32 v95, 16, v19
	ds_load_b128 v[16:19], v10 offset:192
	scratch_store_b32 off, v0, s32 offset:440 ; 4-byte Folded Spill
	v_lshlrev_b32_e32 v0, 16, v7
	ds_load_b128 v[4:7], v10 offset:112
	scratch_store_b32 off, v0, s32 offset:444 ; 4-byte Folded Spill
	ds_load_b128 v[0:3], v10 offset:96
	s_waitcnt lgkmcnt(1)
	v_bfi_b32 v72, 0xffff, 0, v4
	v_lshlrev_b32_e32 v73, 16, v4
	v_bfi_b32 v74, 0xffff, 0, v5
	v_lshlrev_b32_e32 v75, 16, v5
	v_bfi_b32 v76, 0xffff, 0, v6
	s_waitcnt lgkmcnt(0)
	v_bfi_b32 v56, 0xffff, 0, v0
	v_lshlrev_b32_e32 v57, 16, v0
	v_bfi_b32 v58, 0xffff, 0, v1
	v_lshlrev_b32_e32 v59, 16, v1
	;; [unrolled: 2-line block ×4, first 2 shown]
	ds_load_b128 v[0:3], v10 offset:160
	v_lshlrev_b32_e32 v77, 16, v6
	v_bfi_b32 v78, 0xffff, 0, v7
	v_lshlrev_b32_e32 v79, 16, v7
	ds_load_b128 v[4:7], v10 offset:176
	s_waitcnt lgkmcnt(1)
	v_bfi_b32 v120, 0xffff, 0, v0
	v_lshlrev_b32_e32 v121, 16, v0
	v_bfi_b32 v122, 0xffff, 0, v1
	v_lshlrev_b32_e32 v123, 16, v1
	;; [unrolled: 2-line block ×4, first 2 shown]
	ds_load_b128 v[0:3], v10 offset:208
	s_waitcnt lgkmcnt(1)
	v_bfi_b32 v136, 0xffff, 0, v4
	v_lshlrev_b32_e32 v137, 16, v4
	v_bfi_b32 v138, 0xffff, 0, v5
	v_lshlrev_b32_e32 v139, 16, v5
	;; [unrolled: 2-line block ×4, first 2 shown]
	ds_load_b128 v[4:7], v10 offset:224
	v_lshlrev_b32_e32 v167, 16, v38
	v_bfi_b32 v152, 0xffff, 0, v16
	v_lshlrev_b32_e32 v153, 16, v16
	v_bfi_b32 v156, 0xffff, 0, v18
	v_dual_mov_b32 v18, v191 :: v_dual_lshlrev_b32 v157, 16, v18
	v_mov_b32_e32 v16, v12
	s_clause 0x1
	scratch_store_b32 off, v26, s32 offset:480
	scratch_store_b32 off, v39, s32 offset:520
	ds_load_b128 v[25:28], v10 offset:240
	s_load_b32 s11, s[8:9], 0x0
	s_waitcnt lgkmcnt(0)
	v_bfi_b32 v169, 0xffff, 0, v0
	v_lshlrev_b32_e32 v170, 16, v0
	v_cvt_f32_u32_e32 v0, v159
	v_bfi_b32 v173, 0xffff, 0, v2
	v_lshlrev_b32_e32 v174, 16, v2
	v_sub_nc_u32_e32 v2, 0, v159
	v_bfi_b32 v171, 0xffff, 0, v1
	v_rcp_iflag_f32_e32 v0, v0
	v_lshlrev_b32_e32 v172, 16, v1
	v_bfi_b32 v189, 0xffff, 0, v6
	v_lshlrev_b32_e32 v190, 16, v6
	v_bfi_b32 v191, 0xffff, 0, v7
	v_lshlrev_b32_e32 v12, 16, v7
	v_bfi_b32 v175, 0xffff, 0, v3
	v_lshlrev_b32_e32 v184, 16, v3
	v_bfi_b32 v154, 0xffff, 0, v17
	s_delay_alu instid0(TRANS32_DEP_1)
	v_dual_mul_f32 v0, 0x4f7ffffe, v0 :: v_dual_lshlrev_b32 v155, 16, v17
	v_bfi_b32 v158, 0xffff, 0, v19
	v_lshlrev_b32_e32 v168, 16, v19
	v_bfi_b32 v185, 0xffff, 0, v4
	v_lshlrev_b32_e32 v186, 16, v4
	v_cvt_u32_f32_e32 v6, v0
	v_lshlrev_b64 v[0:1], 1, v[50:51]
	v_bfi_b32 v187, 0xffff, 0, v5
	v_lshlrev_b32_e32 v188, 16, v5
	v_bfi_b32 v5, 0xffff, 0, v25
	v_mul_lo_u32 v7, v2, v6
	v_lshlrev_b64 v[2:3], 2, v[23:24]
	v_add_co_u32 v0, vcc_lo, v8, v0
	v_add_co_ci_u32_e32 v1, vcc_lo, v9, v1, vcc_lo
	v_lshlrev_b32_e32 v4, 16, v25
	s_delay_alu instid0(VALU_DEP_4) | instskip(SKIP_2) | instid1(VALU_DEP_3)
	v_add_co_u32 v2, vcc_lo, v53, v2
	v_mul_hi_u32 v7, v6, v7
	v_add_co_ci_u32_e32 v3, vcc_lo, v54, v3, vcc_lo
	v_add_co_u32 v84, vcc_lo, v14, v2
	v_bfi_b32 v101, 0xffff, 0, v26
	s_delay_alu instid0(VALU_DEP_3)
	v_add_co_ci_u32_e32 v85, vcc_lo, v15, v3, vcc_lo
	v_add_nc_u32_e32 v82, v6, v7
	scratch_load_b32 v7, off, s32 offset:332 ; 4-byte Folded Reload
	v_lshlrev_b32_e32 v103, 16, v26
	v_bfi_b32 v80, 0xffff, 0, v27
	v_lshlrev_b32_e32 v81, 16, v27
	v_bfi_b32 v39, 0xffff, 0, v28
	v_lshlrev_b32_e32 v21, 16, v28
	v_lshl_or_b32 v3, v18, 7, v16
	s_clause 0x5
	scratch_store_b64 off, v[50:51], s32 offset:508
	scratch_store_b64 off, v[53:54], s32 offset:500
	scratch_store_b32 off, v14, s32 offset:468
	scratch_store_b32 off, v15, s32 offset:464
	;; [unrolled: 1-line block ×4, first 2 shown]
	s_waitcnt vmcnt(0)
	v_lshlrev_b32_e32 v6, 4, v7
	v_sub_nc_u32_e32 v2, v7, v86
	s_delay_alu instid0(VALU_DEP_2) | instskip(SKIP_2) | instid1(VALU_DEP_4)
	v_add_co_u32 v83, vcc_lo, v0, v6
	v_add_co_ci_u32_e32 v10, vcc_lo, 0, v1, vcc_lo
	v_cmp_neq_f32_e32 vcc_lo, 0, v102
	v_add_nc_u32_e32 v11, 1, v2
	v_lshl_add_u32 v0, v18, 5, s3
	v_dual_mov_b32 v1, 0xff7fffff :: v_dual_mov_b32 v2, v23
	s_branch .LBB187_12
.LBB187_11:                             ;   in Loop: Header=BB187_12 Depth=1
	s_or_b32 exec_lo, exec_lo, s2
	v_add_nc_u32_e32 v2, 4, v2
	v_add_co_u32 v84, s2, v84, 16
	s_delay_alu instid0(VALU_DEP_1) | instskip(NEXT) | instid1(VALU_DEP_3)
	v_add_co_ci_u32_e64 v85, s2, 0, v85, s2
	v_cmp_ge_i32_e64 s1, v2, v99
	v_add_nc_u32_e32 v0, 0x80, v0
	v_add_nc_u32_e32 v3, 0x200, v3
	s_delay_alu instid0(VALU_DEP_3) | instskip(NEXT) | instid1(SALU_CYCLE_1)
	s_or_b32 s18, s1, s18
	s_and_not1_b32 exec_lo, exec_lo, s18
	s_cbranch_execz .LBB187_16
.LBB187_12:                             ; =>This Inner Loop Header: Depth=1
	s_clause 0x1
	scratch_load_b32 v7, off, s32 offset:324
	scratch_load_b32 v14, off, s32 offset:320
	v_sub_nc_u32_e32 v6, 0, v0
	s_delay_alu instid0(VALU_DEP_1) | instskip(SKIP_1) | instid1(VALU_DEP_1)
	v_max_i32_e32 v6, v0, v6
	s_waitcnt vmcnt(1)
	v_mul_hi_u32 v7, v6, v7
	s_delay_alu instid0(VALU_DEP_1) | instskip(NEXT) | instid1(VALU_DEP_1)
	v_mul_lo_u32 v8, v7, v87
	v_sub_nc_u32_e32 v6, v6, v8
	v_add_nc_u32_e32 v8, 1, v7
	s_delay_alu instid0(VALU_DEP_2) | instskip(SKIP_1) | instid1(VALU_DEP_1)
	v_sub_nc_u32_e32 v9, v6, v87
	v_cmp_ge_u32_e64 s1, v6, v87
	v_cndmask_b32_e64 v7, v7, v8, s1
	s_delay_alu instid0(VALU_DEP_3) | instskip(SKIP_1) | instid1(VALU_DEP_3)
	v_cndmask_b32_e64 v6, v6, v9, s1
	v_ashrrev_i32_e32 v8, 31, v0
	v_add_nc_u32_e32 v9, 1, v7
	s_delay_alu instid0(VALU_DEP_3) | instskip(SKIP_1) | instid1(VALU_DEP_3)
	v_cmp_ge_u32_e64 s1, v6, v87
	s_waitcnt vmcnt(0)
	v_xor_b32_e32 v8, v8, v14
	s_delay_alu instid0(VALU_DEP_2) | instskip(NEXT) | instid1(VALU_DEP_1)
	v_cndmask_b32_e64 v6, v7, v9, s1
	v_xor_b32_e32 v6, v6, v8
	s_delay_alu instid0(VALU_DEP_1) | instskip(NEXT) | instid1(VALU_DEP_1)
	v_sub_nc_u32_e32 v6, v6, v8
	v_add_nc_u32_e32 v7, v6, v20
	s_delay_alu instid0(VALU_DEP_1) | instskip(NEXT) | instid1(VALU_DEP_1)
	v_sub_nc_u32_e32 v8, 0, v7
	v_max_i32_e32 v8, v7, v8
	v_ashrrev_i32_e32 v7, 31, v7
	s_delay_alu instid0(VALU_DEP_2) | instskip(NEXT) | instid1(VALU_DEP_1)
	v_mul_hi_u32 v9, v8, v82
	v_mul_lo_u32 v9, v9, v159
	s_delay_alu instid0(VALU_DEP_1) | instskip(NEXT) | instid1(VALU_DEP_1)
	v_sub_nc_u32_e32 v8, v8, v9
	v_sub_nc_u32_e32 v9, v8, v159
	v_cmp_ge_u32_e64 s1, v8, v159
	s_delay_alu instid0(VALU_DEP_1) | instskip(NEXT) | instid1(VALU_DEP_1)
	v_cndmask_b32_e64 v8, v8, v9, s1
	v_sub_nc_u32_e32 v9, v8, v159
	v_cmp_ge_u32_e64 s1, v8, v159
	s_delay_alu instid0(VALU_DEP_1) | instskip(NEXT) | instid1(VALU_DEP_1)
	v_cndmask_b32_e64 v8, v8, v9, s1
	v_xor_b32_e32 v8, v8, v7
	s_delay_alu instid0(VALU_DEP_1) | instskip(NEXT) | instid1(VALU_DEP_1)
	v_sub_nc_u32_e32 v7, v8, v7
	v_cmp_ne_u32_e64 s1, 0, v7
	scratch_load_b32 v7, off, s32 offset:328 ; 4-byte Folded Reload
	s_waitcnt vmcnt(0)
	v_cmp_le_i32_e64 s2, v6, v7
	s_delay_alu instid0(VALU_DEP_1) | instskip(NEXT) | instid1(SALU_CYCLE_1)
	s_and_b32 s1, s1, s2
	s_and_saveexec_b32 s2, s1
	s_delay_alu instid0(SALU_CYCLE_1)
	s_xor_b32 s1, exec_lo, s2
	s_cbranch_execz .LBB187_14
; %bb.13:                               ;   in Loop: Header=BB187_12 Depth=1
	v_add_nc_u32_e32 v6, s11, v3
	ds_store_b32 v6, v1
.LBB187_14:                             ;   in Loop: Header=BB187_12 Depth=1
	s_and_not1_saveexec_b32 s2, s1
	s_cbranch_execz .LBB187_11
; %bb.15:                               ;   in Loop: Header=BB187_12 Depth=1
	flat_load_b32 v8, v[84:85]
	scratch_load_b32 v6, off, s32 offset:332 ; 4-byte Folded Reload
	s_load_b32 s19, s[8:9], 0x0
	s_waitcnt vmcnt(0)
	v_add_nc_u32_e32 v15, v6, v0
	s_waitcnt lgkmcnt(0)
	v_mad_i64_i32 v[6:7], null, v8, v22, 0
	s_delay_alu instid0(VALU_DEP_1) | instskip(NEXT) | instid1(VALU_DEP_1)
	v_lshlrev_b64 v[6:7], 1, v[6:7]
	v_add_co_u32 v18, s1, v83, v6
	v_add_nc_u32_e32 v6, v11, v0
	s_delay_alu instid0(VALU_DEP_3) | instskip(NEXT) | instid1(VALU_DEP_3)
	v_add_co_ci_u32_e64 v19, s1, v10, v7, s1
	v_add_co_u32 v16, s1, 0x1000, v18
	s_delay_alu instid0(VALU_DEP_3) | instskip(NEXT) | instid1(VALU_DEP_3)
	v_cvt_f32_i32_e32 v6, v6
	v_add_co_ci_u32_e64 v17, s1, 0, v19, s1
	s_delay_alu instid0(VALU_DEP_2) | instskip(NEXT) | instid1(VALU_DEP_1)
	v_mul_f32_e32 v6, v102, v6
	v_cndmask_b32_e32 v14, 0, v6, vcc_lo
	s_clause 0x4
	flat_load_b128 v[6:9], v[16:17]
	flat_load_b128 v[25:28], v[18:19]
	flat_load_b128 v[29:32], v[18:19] offset:512
	flat_load_b128 v[33:36], v[18:19] offset:1024
	;; [unrolled: 1-line block ×3, first 2 shown]
	v_cmp_lt_i32_e64 s1, v15, v86
	v_add_nc_u32_e32 v15, s19, v3
	s_waitcnt vmcnt(3) lgkmcnt(3)
	v_and_b32_e32 v38, 0xffff0000, v25
	s_waitcnt vmcnt(2) lgkmcnt(2)
	v_and_b32_e32 v52, 0xffff0000, v29
	v_lshlrev_b32_e32 v37, 16, v25
	v_lshlrev_b32_e32 v25, 16, v29
	scratch_load_b32 v29, off, s32 offset:348 ; 4-byte Folded Reload
	s_waitcnt vmcnt(0)
	v_mul_f32_e32 v25, v29, v25
	scratch_load_b32 v29, off, s32 offset:344 ; 4-byte Folded Reload
	s_waitcnt vmcnt(0)
	v_mul_f32_e32 v96, v29, v52
	scratch_load_b32 v29, off, s32 offset:336 ; 4-byte Folded Reload
	s_waitcnt vmcnt(0)
	v_fmac_f32_e32 v96, v29, v38
	scratch_load_b32 v29, off, s32 offset:340 ; 4-byte Folded Reload
	s_waitcnt vmcnt(0)
	v_fmac_f32_e32 v25, v29, v37
	scratch_load_b32 v37, off, s32 offset:356 ; 4-byte Folded Reload
	s_waitcnt lgkmcnt(1)
	v_and_b32_e32 v29, 0xffff0000, v33
	v_lshlrev_b32_e32 v33, 16, v33
	s_waitcnt vmcnt(0)
	s_delay_alu instid0(VALU_DEP_1)
	v_fmac_f32_e32 v25, v37, v33
	s_clause 0x1
	scratch_load_b32 v33, off, s32 offset:352
	scratch_load_b32 v37, off, s32 offset:360
	s_waitcnt vmcnt(1) lgkmcnt(0)
	v_dual_fmac_f32 v96, v33, v29 :: v_dual_lshlrev_b32 v29, 16, v48
	v_and_b32_e32 v33, 0xffff0000, v48
	s_waitcnt vmcnt(0)
	s_delay_alu instid0(VALU_DEP_1)
	v_fmac_f32_e32 v96, v37, v33
	s_clause 0x1
	scratch_load_b32 v33, off, s32 offset:364
	scratch_load_b32 v37, off, s32 offset:380
	s_waitcnt vmcnt(1)
	v_fmac_f32_e32 v25, v33, v29
	v_and_b32_e32 v33, 0xffff0000, v30
	v_lshlrev_b32_e32 v30, 16, v30
	v_lshlrev_b32_e32 v29, 16, v26
	v_and_b32_e32 v26, 0xffff0000, v26
	s_waitcnt vmcnt(0)
	s_delay_alu instid0(VALU_DEP_3)
	v_mul_f32_e32 v112, v37, v30
	scratch_load_b32 v30, off, s32 offset:376 ; 4-byte Folded Reload
	s_waitcnt vmcnt(0)
	v_mul_f32_e32 v97, v30, v33
	scratch_load_b32 v30, off, s32 offset:368 ; 4-byte Folded Reload
	s_waitcnt vmcnt(0)
	v_fmac_f32_e32 v97, v30, v26
	s_clause 0x1
	scratch_load_b32 v26, off, s32 offset:372
	scratch_load_b32 v30, off, s32 offset:388
	s_waitcnt vmcnt(1)
	v_dual_fmac_f32 v112, v26, v29 :: v_dual_lshlrev_b32 v29, 16, v34
	v_and_b32_e32 v26, 0xffff0000, v34
	s_waitcnt vmcnt(0)
	s_delay_alu instid0(VALU_DEP_2)
	v_fmac_f32_e32 v112, v30, v29
	s_clause 0x1
	scratch_load_b32 v29, off, s32 offset:384
	scratch_load_b32 v30, off, s32 offset:392
	s_waitcnt vmcnt(1)
	v_fmac_f32_e32 v97, v29, v26
	v_and_b32_e32 v29, 0xffff0000, v49
	s_waitcnt vmcnt(0)
	s_delay_alu instid0(VALU_DEP_1) | instskip(SKIP_3) | instid1(VALU_DEP_1)
	v_dual_fmac_f32 v97, v30, v29 :: v_dual_lshlrev_b32 v30, 16, v31
	scratch_load_b32 v29, off, s32 offset:396 ; 4-byte Folded Reload
	v_lshlrev_b32_e32 v26, 16, v49
	s_waitcnt vmcnt(0)
	v_fmac_f32_e32 v112, v29, v26
	v_and_b32_e32 v26, 0xffff0000, v31
	scratch_load_b32 v31, off, s32 offset:412 ; 4-byte Folded Reload
	v_lshlrev_b32_e32 v29, 16, v27
	v_and_b32_e32 v27, 0xffff0000, v27
	s_waitcnt vmcnt(0)
	v_mul_f32_e32 v113, v31, v30
	s_clause 0x1
	scratch_load_b32 v30, off, s32 offset:408
	scratch_load_b32 v31, off, s32 offset:444
	s_waitcnt vmcnt(1)
	v_mul_f32_e32 v26, v30, v26
	scratch_load_b32 v30, off, s32 offset:400 ; 4-byte Folded Reload
	s_waitcnt vmcnt(0)
	v_fmac_f32_e32 v26, v30, v27
	s_clause 0x1
	scratch_load_b32 v27, off, s32 offset:404
	scratch_load_b32 v30, off, s32 offset:420
	s_waitcnt vmcnt(1)
	v_fmac_f32_e32 v113, v27, v29
	v_lshlrev_b32_e32 v29, 16, v35
	v_and_b32_e32 v27, 0xffff0000, v35
	s_waitcnt vmcnt(0)
	s_delay_alu instid0(VALU_DEP_2)
	v_fmac_f32_e32 v113, v30, v29
	s_clause 0x1
	scratch_load_b32 v29, off, s32 offset:416
	scratch_load_b32 v30, off, s32 offset:424
	s_waitcnt vmcnt(1)
	v_dual_fmac_f32 v26, v29, v27 :: v_dual_and_b32 v29, 0xffff0000, v50
	s_waitcnt vmcnt(0)
	s_delay_alu instid0(VALU_DEP_1) | instskip(SKIP_2) | instid1(VALU_DEP_1)
	v_dual_fmac_f32 v26, v30, v29 :: v_dual_lshlrev_b32 v27, 16, v50
	scratch_load_b32 v29, off, s32 offset:428 ; 4-byte Folded Reload
	v_lshlrev_b32_e32 v30, 16, v32
	v_mul_f32_e32 v115, v31, v30
	scratch_load_b32 v30, off, s32 offset:440 ; 4-byte Folded Reload
	s_waitcnt vmcnt(1)
	v_fmac_f32_e32 v113, v29, v27
	v_and_b32_e32 v29, 0xffff0000, v32
	v_lshlrev_b32_e32 v27, 16, v28
	v_and_b32_e32 v28, 0xffff0000, v28
	s_waitcnt vmcnt(0)
	s_delay_alu instid0(VALU_DEP_3)
	v_mul_f32_e32 v114, v30, v29
	scratch_load_b32 v29, off, s32 offset:432 ; 4-byte Folded Reload
	s_waitcnt vmcnt(0)
	v_fmac_f32_e32 v114, v29, v28
	scratch_load_b32 v28, off, s32 offset:436 ; 4-byte Folded Reload
	s_waitcnt vmcnt(0)
	v_fmac_f32_e32 v115, v28, v27
	v_and_b32_e32 v27, 0xffff0000, v36
	v_lshlrev_b32_e32 v28, 16, v36
	s_delay_alu instid0(VALU_DEP_1) | instskip(SKIP_2) | instid1(VALU_DEP_1)
	v_dual_fmac_f32 v114, v164, v27 :: v_dual_fmac_f32 v115, v165, v28
	v_lshlrev_b32_e32 v27, 16, v51
	v_and_b32_e32 v28, 0xffff0000, v51
	v_dual_fmac_f32 v115, v167, v27 :: v_dual_fmac_f32 v114, v166, v28
	flat_load_b128 v[27:30], v[18:19] offset:2048
	s_waitcnt vmcnt(0) lgkmcnt(0)
	v_and_b32_e32 v134, 0xffff0000, v28
	v_and_b32_e32 v132, 0xffff0000, v27
	v_lshlrev_b32_e32 v133, 16, v27
	v_lshlrev_b32_e32 v135, 16, v28
	v_and_b32_e32 v130, 0xffff0000, v29
	v_lshlrev_b32_e32 v131, 16, v29
	v_and_b32_e32 v116, 0xffff0000, v30
	v_lshlrev_b32_e32 v117, 16, v30
	flat_load_b128 v[27:30], v[18:19] offset:2560
	v_fmac_f32_e32 v96, v176, v132
	s_waitcnt vmcnt(0) lgkmcnt(0)
	v_lshlrev_b32_e32 v144, 16, v27
	v_and_b32_e32 v145, 0xffff0000, v27
	v_lshlrev_b32_e32 v146, 16, v28
	v_and_b32_e32 v147, 0xffff0000, v28
	;; [unrolled: 2-line block ×4, first 2 shown]
	flat_load_b128 v[27:30], v[18:19] offset:3072
	v_fmac_f32_e32 v96, v40, v145
	s_waitcnt vmcnt(0) lgkmcnt(0)
	v_and_b32_e32 v150, 0xffff0000, v27
	v_lshlrev_b32_e32 v151, 16, v27
	v_and_b32_e32 v160, 0xffff0000, v28
	v_lshlrev_b32_e32 v161, 16, v28
	;; [unrolled: 2-line block ×4, first 2 shown]
	s_clause 0x7
	flat_load_b128 v[68:71], v[18:19] offset:3584
	flat_load_b128 v[64:67], v[16:17] offset:512
	;; [unrolled: 1-line block ×8, first 2 shown]
	v_fmac_f32_e32 v96, v56, v150
	s_waitcnt vmcnt(7) lgkmcnt(7)
	v_dual_fmac_f32 v97, v178, v134 :: v_dual_lshlrev_b32 v132, 16, v68
	v_and_b32_e32 v68, 0xffff0000, v68
	s_delay_alu instid0(VALU_DEP_1) | instskip(SKIP_2) | instid1(VALU_DEP_2)
	v_fmac_f32_e32 v96, v72, v68
	v_and_b32_e32 v68, 0xffff0000, v6
	v_lshlrev_b32_e32 v6, 16, v6
	v_dual_fmac_f32 v96, v88, v68 :: v_dual_fmac_f32 v25, v177, v133
	v_fmac_f32_e32 v114, v182, v116
	s_delay_alu instid0(VALU_DEP_2) | instskip(NEXT) | instid1(VALU_DEP_1)
	v_dual_fmac_f32 v25, v41, v144 :: v_dual_fmac_f32 v26, v180, v130
	v_fmac_f32_e32 v25, v57, v151
	s_delay_alu instid0(VALU_DEP_1) | instskip(SKIP_1) | instid1(VALU_DEP_1)
	v_fmac_f32_e32 v25, v73, v132
	s_waitcnt vmcnt(6) lgkmcnt(6)
	v_dual_fmac_f32 v25, v89, v6 :: v_dual_lshlrev_b32 v6, 16, v64
	s_delay_alu instid0(VALU_DEP_1) | instskip(NEXT) | instid1(VALU_DEP_1)
	v_dual_fmac_f32 v25, v105, v6 :: v_dual_and_b32 v64, 0xffff0000, v64
	v_fmac_f32_e32 v96, v104, v64
	s_waitcnt vmcnt(5) lgkmcnt(5)
	v_and_b32_e32 v6, 0xffff0000, v52
	v_dual_fmac_f32 v113, v181, v131 :: v_dual_lshlrev_b32 v52, 16, v52
	s_delay_alu instid0(VALU_DEP_1) | instskip(SKIP_4) | instid1(VALU_DEP_2)
	v_dual_fmac_f32 v96, v120, v6 :: v_dual_fmac_f32 v25, v121, v52
	s_waitcnt vmcnt(4) lgkmcnt(4)
	v_lshlrev_b32_e32 v6, 16, v48
	v_and_b32_e32 v48, 0xffff0000, v48
	v_fmac_f32_e32 v113, v45, v148
	v_dual_fmac_f32 v25, v137, v6 :: v_dual_fmac_f32 v96, v136, v48
	s_waitcnt vmcnt(3) lgkmcnt(3)
	v_and_b32_e32 v6, 0xffff0000, v35
	v_lshlrev_b32_e32 v35, 16, v35
	s_delay_alu instid0(VALU_DEP_2) | instskip(NEXT) | instid1(VALU_DEP_2)
	v_dual_fmac_f32 v115, v183, v117 :: v_dual_fmac_f32 v96, v152, v6
	v_fmac_f32_e32 v25, v153, v35
	s_waitcnt vmcnt(2) lgkmcnt(2)
	v_lshlrev_b32_e32 v6, 16, v31
	v_and_b32_e32 v31, 0xffff0000, v31
	v_fmac_f32_e32 v112, v179, v135
	v_dual_fmac_f32 v115, v47, v118 :: v_dual_fmac_f32 v114, v46, v119
	s_delay_alu instid0(VALU_DEP_3) | instskip(SKIP_3) | instid1(VALU_DEP_1)
	v_dual_fmac_f32 v25, v170, v6 :: v_dual_fmac_f32 v96, v169, v31
	s_waitcnt vmcnt(1) lgkmcnt(1)
	v_and_b32_e32 v6, 0xffff0000, v27
	v_dual_fmac_f32 v112, v43, v146 :: v_dual_lshlrev_b32 v27, 16, v27
	v_dual_fmac_f32 v96, v185, v6 :: v_dual_fmac_f32 v25, v186, v27
	s_waitcnt vmcnt(0) lgkmcnt(0)
	v_lshlrev_b32_e32 v6, 16, v16
	s_delay_alu instid0(VALU_DEP_3) | instskip(SKIP_1) | instid1(VALU_DEP_3)
	v_fmac_f32_e32 v112, v59, v161
	v_dual_fmac_f32 v115, v63, v129 :: v_dual_and_b32 v16, 0xffff0000, v16
	v_dual_fmac_f32 v114, v62, v128 :: v_dual_fmac_f32 v25, v4, v6
	v_dual_fmac_f32 v97, v42, v147 :: v_dual_lshlrev_b32 v6, 16, v69
	s_delay_alu instid0(VALU_DEP_3) | instskip(SKIP_1) | instid1(VALU_DEP_3)
	v_fmac_f32_e32 v96, v5, v16
	v_fmac_f32_e32 v26, v44, v149
	;; [unrolled: 1-line block ×3, first 2 shown]
	v_and_b32_e32 v6, 0xffff0000, v7
	v_lshlrev_b32_e32 v7, 16, v7
	s_delay_alu instid0(VALU_DEP_4) | instskip(NEXT) | instid1(VALU_DEP_2)
	v_dual_fmac_f32 v97, v58, v160 :: v_dual_fmac_f32 v26, v60, v162
	v_fmac_f32_e32 v112, v91, v7
	v_dual_fmac_f32 v113, v61, v163 :: v_dual_and_b32 v16, 0xffff0000, v69
	v_and_b32_e32 v7, 0xffff0000, v65
	s_delay_alu instid0(VALU_DEP_2) | instskip(NEXT) | instid1(VALU_DEP_1)
	v_fmac_f32_e32 v97, v74, v16
	v_dual_fmac_f32 v97, v90, v6 :: v_dual_lshlrev_b32 v6, 16, v65
	s_delay_alu instid0(VALU_DEP_1) | instskip(SKIP_2) | instid1(VALU_DEP_1)
	v_dual_fmac_f32 v97, v106, v7 :: v_dual_fmac_f32 v112, v107, v6
	v_and_b32_e32 v6, 0xffff0000, v53
	v_lshlrev_b32_e32 v7, 16, v53
	v_dual_fmac_f32 v97, v122, v6 :: v_dual_fmac_f32 v112, v123, v7
	v_and_b32_e32 v7, 0xffff0000, v49
	s_delay_alu instid0(VALU_DEP_1) | instskip(NEXT) | instid1(VALU_DEP_1)
	v_dual_fmac_f32 v97, v138, v7 :: v_dual_lshlrev_b32 v6, 16, v49
	v_fmac_f32_e32 v112, v139, v6
	v_and_b32_e32 v6, 0xffff0000, v36
	v_lshlrev_b32_e32 v7, 16, v36
	s_delay_alu instid0(VALU_DEP_1) | instskip(SKIP_1) | instid1(VALU_DEP_1)
	v_dual_fmac_f32 v97, v154, v6 :: v_dual_fmac_f32 v112, v155, v7
	v_and_b32_e32 v7, 0xffff0000, v32
	v_dual_fmac_f32 v97, v171, v7 :: v_dual_lshlrev_b32 v6, 16, v32
	s_delay_alu instid0(VALU_DEP_1) | instskip(SKIP_2) | instid1(VALU_DEP_1)
	v_fmac_f32_e32 v112, v172, v6
	v_and_b32_e32 v6, 0xffff0000, v28
	v_lshlrev_b32_e32 v7, 16, v28
	v_dual_fmac_f32 v97, v187, v6 :: v_dual_fmac_f32 v112, v188, v7
	v_and_b32_e32 v7, 0xffff0000, v17
	s_delay_alu instid0(VALU_DEP_1) | instskip(NEXT) | instid1(VALU_DEP_1)
	v_dual_fmac_f32 v97, v101, v7 :: v_dual_lshlrev_b32 v6, 16, v17
	v_fmac_f32_e32 v112, v103, v6
	v_lshlrev_b32_e32 v6, 16, v70
	v_and_b32_e32 v7, 0xffff0000, v70
	s_delay_alu instid0(VALU_DEP_1) | instskip(SKIP_1) | instid1(VALU_DEP_1)
	v_dual_fmac_f32 v113, v77, v6 :: v_dual_fmac_f32 v26, v76, v7
	v_and_b32_e32 v6, 0xffff0000, v8
	v_dual_fmac_f32 v26, v92, v6 :: v_dual_lshlrev_b32 v7, 16, v8
	s_delay_alu instid0(VALU_DEP_1) | instskip(SKIP_1) | instid1(VALU_DEP_1)
	v_dual_fmac_f32 v113, v93, v7 :: v_dual_lshlrev_b32 v6, 16, v66
	v_and_b32_e32 v7, 0xffff0000, v66
	v_dual_fmac_f32 v113, v109, v6 :: v_dual_fmac_f32 v26, v108, v7
	v_and_b32_e32 v6, 0xffff0000, v54
	v_lshlrev_b32_e32 v7, 16, v54
	s_delay_alu instid0(VALU_DEP_1) | instskip(SKIP_2) | instid1(VALU_DEP_1)
	v_dual_fmac_f32 v26, v124, v6 :: v_dual_fmac_f32 v113, v125, v7
	v_lshlrev_b32_e32 v6, 16, v50
	v_and_b32_e32 v7, 0xffff0000, v50
	v_dual_fmac_f32 v113, v141, v6 :: v_dual_fmac_f32 v26, v140, v7
	v_and_b32_e32 v6, 0xffff0000, v37
	s_delay_alu instid0(VALU_DEP_1) | instskip(NEXT) | instid1(VALU_DEP_1)
	v_dual_fmac_f32 v26, v156, v6 :: v_dual_lshlrev_b32 v7, 16, v37
	v_dual_fmac_f32 v113, v157, v7 :: v_dual_lshlrev_b32 v6, 16, v33
	v_and_b32_e32 v7, 0xffff0000, v33
	s_delay_alu instid0(VALU_DEP_1) | instskip(SKIP_1) | instid1(VALU_DEP_1)
	v_dual_fmac_f32 v113, v174, v6 :: v_dual_fmac_f32 v26, v173, v7
	v_and_b32_e32 v6, 0xffff0000, v29
	v_dual_fmac_f32 v26, v189, v6 :: v_dual_lshlrev_b32 v7, 16, v29
	s_delay_alu instid0(VALU_DEP_1) | instskip(SKIP_1) | instid1(VALU_DEP_1)
	v_dual_fmac_f32 v113, v190, v7 :: v_dual_lshlrev_b32 v6, 16, v18
	v_and_b32_e32 v7, 0xffff0000, v18
	v_dual_fmac_f32 v113, v81, v6 :: v_dual_fmac_f32 v26, v80, v7
	v_lshlrev_b32_e32 v6, 16, v71
	v_and_b32_e32 v7, 0xffff0000, v71
	s_delay_alu instid0(VALU_DEP_1) | instskip(SKIP_1) | instid1(VALU_DEP_1)
	v_dual_fmac_f32 v115, v79, v6 :: v_dual_fmac_f32 v114, v78, v7
	v_and_b32_e32 v6, 0xffff0000, v9
	v_dual_fmac_f32 v114, v94, v6 :: v_dual_lshlrev_b32 v7, 16, v9
	s_delay_alu instid0(VALU_DEP_1) | instskip(SKIP_2) | instid1(VALU_DEP_1)
	v_fmac_f32_e32 v115, v95, v7
	v_lshlrev_b32_e32 v6, 16, v67
	v_and_b32_e32 v7, 0xffff0000, v67
	v_dual_fmac_f32 v115, v111, v6 :: v_dual_fmac_f32 v114, v110, v7
	v_and_b32_e32 v6, 0xffff0000, v55
	s_delay_alu instid0(VALU_DEP_1) | instskip(NEXT) | instid1(VALU_DEP_1)
	v_dual_fmac_f32 v114, v126, v6 :: v_dual_lshlrev_b32 v7, 16, v55
	v_fmac_f32_e32 v115, v127, v7
	v_lshlrev_b32_e32 v6, 16, v51
	v_and_b32_e32 v7, 0xffff0000, v51
	s_delay_alu instid0(VALU_DEP_1) | instskip(SKIP_2) | instid1(VALU_DEP_1)
	v_dual_fmac_f32 v115, v143, v6 :: v_dual_fmac_f32 v114, v142, v7
	v_and_b32_e32 v6, 0xffff0000, v38
	v_lshlrev_b32_e32 v7, 16, v38
	v_dual_fmac_f32 v114, v158, v6 :: v_dual_fmac_f32 v115, v168, v7
	v_lshlrev_b32_e32 v6, 16, v34
	v_and_b32_e32 v7, 0xffff0000, v34
	s_delay_alu instid0(VALU_DEP_1) | instskip(SKIP_2) | instid1(VALU_DEP_1)
	v_dual_fmac_f32 v115, v184, v6 :: v_dual_fmac_f32 v114, v175, v7
	v_and_b32_e32 v6, 0xffff0000, v30
	v_lshlrev_b32_e32 v7, 16, v30
	v_dual_fmac_f32 v114, v191, v6 :: v_dual_fmac_f32 v115, v12, v7
	v_lshlrev_b32_e32 v6, 16, v19
	s_delay_alu instid0(VALU_DEP_1) | instskip(SKIP_1) | instid1(VALU_DEP_1)
	v_fmac_f32_e32 v115, v21, v6
	v_add_f32_e32 v6, v25, v96
	v_add_f32_e32 v6, v6, v112
	s_delay_alu instid0(VALU_DEP_1) | instskip(NEXT) | instid1(VALU_DEP_1)
	v_add_f32_e32 v6, v97, v6
	v_add_f32_e32 v6, v113, v6
	s_delay_alu instid0(VALU_DEP_1) | instskip(NEXT) | instid1(VALU_DEP_1)
	v_dual_add_f32 v6, v26, v6 :: v_dual_and_b32 v7, 0xffff0000, v19
	v_add_f32_e32 v6, v115, v6
	s_delay_alu instid0(VALU_DEP_2) | instskip(NEXT) | instid1(VALU_DEP_1)
	v_fmac_f32_e32 v114, v39, v7
	v_add_f32_e32 v6, v114, v6
	s_delay_alu instid0(VALU_DEP_1) | instskip(NEXT) | instid1(VALU_DEP_1)
	v_fmac_f32_e32 v14, v6, v13
	v_cndmask_b32_e64 v6, 0, v14, s1
	ds_store_b32 v15, v6
	v_max_f32_e32 v6, v100, v100
	s_delay_alu instid0(VALU_DEP_1) | instskip(NEXT) | instid1(VALU_DEP_1)
	v_max_f32_e32 v6, v6, v14
	v_cndmask_b32_e64 v100, v100, v6, s1
	s_branch .LBB187_11
.LBB187_16:
	s_or_b32 exec_lo, exec_lo, s18
	s_clause 0x11
	scratch_load_b32 v188, off, s32 offset:448
	scratch_load_b32 v189, off, s32 offset:452
	;; [unrolled: 1-line block ×13, first 2 shown]
	scratch_load_b64 v[53:54], off, s32 offset:500
	scratch_load_b64 v[50:51], off, s32 offset:508
	scratch_load_b32 v21, off, s32 offset:516
	scratch_load_b32 v39, off, s32 offset:520
	;; [unrolled: 1-line block ×3, first 2 shown]
.LBB187_17:
	s_or_b32 exec_lo, exec_lo, s17
	v_mbcnt_lo_u32_b32 v0, -1, 0
	s_waitcnt lgkmcnt(0)
	s_lshr_b32 s8, s15, 16
	s_delay_alu instid0(VALU_DEP_1) | instskip(SKIP_2) | instid1(VALU_DEP_3)
	v_xor_b32_e32 v1, 16, v0
	v_xor_b32_e32 v3, 8, v0
	;; [unrolled: 1-line block ×3, first 2 shown]
	v_cmp_gt_i32_e32 vcc_lo, 32, v1
	v_cndmask_b32_e32 v1, v0, v1, vcc_lo
	s_delay_alu instid0(VALU_DEP_4) | instskip(NEXT) | instid1(VALU_DEP_2)
	v_cmp_gt_i32_e32 vcc_lo, 32, v3
	v_dual_cndmask_b32 v3, v0, v3 :: v_dual_lshlrev_b32 v2, 2, v1
	v_cmp_gt_i32_e32 vcc_lo, 32, v5
	ds_bpermute_b32 v1, v2, v100
	v_dual_max_f32 v4, v100, v100 :: v_dual_lshlrev_b32 v3, 2, v3
	v_cndmask_b32_e32 v5, v0, v5, vcc_lo
	s_waitcnt lgkmcnt(0)
	v_max_f32_e32 v1, v1, v1
	s_delay_alu instid0(VALU_DEP_1) | instskip(SKIP_3) | instid1(VALU_DEP_1)
	v_max_f32_e32 v1, v4, v1
	ds_bpermute_b32 v4, v3, v1
	s_waitcnt lgkmcnt(0)
	v_max_f32_e32 v6, v4, v4
	v_dual_max_f32 v1, v1, v6 :: v_dual_lshlrev_b32 v4, 2, v5
	v_xor_b32_e32 v6, 2, v0
	ds_bpermute_b32 v5, v4, v1
	v_cmp_gt_i32_e32 vcc_lo, 32, v6
	s_waitcnt lgkmcnt(0)
	v_dual_cndmask_b32 v6, v0, v6 :: v_dual_max_f32 v5, v5, v5
	s_delay_alu instid0(VALU_DEP_1) | instskip(SKIP_1) | instid1(VALU_DEP_1)
	v_lshlrev_b32_e32 v16, 2, v6
	v_xor_b32_e32 v6, 1, v0
	v_cmp_gt_i32_e32 vcc_lo, 32, v6
	s_delay_alu instid0(VALU_DEP_4) | instskip(SKIP_4) | instid1(VALU_DEP_1)
	v_dual_max_f32 v1, v1, v5 :: v_dual_cndmask_b32 v6, v0, v6
	ds_bpermute_b32 v5, v16, v1
	v_lshlrev_b32_e32 v13, 2, v6
	s_waitcnt lgkmcnt(0)
	v_max_f32_e32 v5, v5, v5
	v_max_f32_e32 v0, v1, v5
	scratch_load_b32 v5, off, s32 offset:332 ; 4-byte Folded Reload
	ds_bpermute_b32 v1, v13, v0
	s_waitcnt vmcnt(0)
	v_cmp_eq_u32_e32 vcc_lo, 0, v5
	v_lshlrev_b32_e32 v5, 2, v191
	s_and_saveexec_b32 s1, vcc_lo
	s_cbranch_execz .LBB187_19
; %bb.18:
	s_waitcnt lgkmcnt(0)
	v_dual_max_f32 v1, v1, v1 :: v_dual_max_f32 v0, v0, v0
	s_delay_alu instid0(VALU_DEP_1)
	v_max_f32_e32 v0, v0, v1
	ds_store_b32 v5, v0 offset:256
.LBB187_19:
	s_or_b32 exec_lo, exec_lo, s1
	scratch_load_b32 v0, off, s32 offset:332 ; 4-byte Folded Reload
	s_waitcnt vmcnt(0) lgkmcnt(0)
	s_waitcnt_vscnt null, 0x0
	s_barrier
	buffer_gl0_inv
	v_cmp_gt_u32_e64 s1, 4, v0
	v_mov_b32_e32 v0, 0xff7fffff
	s_delay_alu instid0(VALU_DEP_2)
	s_and_saveexec_b32 s2, s1
	s_cbranch_execz .LBB187_21
; %bb.20:
	ds_load_b32 v0, v12 offset:256
.LBB187_21:
	s_or_b32 exec_lo, exec_lo, s2
	s_waitcnt lgkmcnt(0)
	ds_bpermute_b32 v1, v16, v0
	v_max_f32_e32 v0, v0, v0
	v_subrev_nc_u32_e32 v7, s13, v99
	s_waitcnt lgkmcnt(0)
	v_dual_mov_b32 v6, 0 :: v_dual_max_f32 v1, v1, v1
	s_delay_alu instid0(VALU_DEP_1) | instskip(SKIP_3) | instid1(VALU_DEP_1)
	v_max_f32_e32 v0, v0, v1
	ds_bpermute_b32 v1, v13, v0
	s_waitcnt lgkmcnt(0)
	v_max_f32_e32 v1, v1, v1
	v_max_f32_e32 v0, v0, v1
	v_lshl_add_u32 v1, v7, 5, s3
	ds_bpermute_b32 v0, v6, v0
	v_min_i32_e32 v1, v1, v86
	s_delay_alu instid0(VALU_DEP_1) | instskip(NEXT) | instid1(VALU_DEP_1)
	v_subrev_nc_u32_e32 v1, s3, v1
	v_cmp_lt_i32_e64 s2, v190, v1
	s_delay_alu instid0(VALU_DEP_1)
	s_and_saveexec_b32 s9, s2
	s_cbranch_execz .LBB187_25
; %bb.22:
	s_getpc_b64 s[18:19]
	s_add_u32 s18, s18, llvm.amdgcn.dynlds.offset.table@rel32@lo+4
	s_addc_u32 s19, s19, llvm.amdgcn.dynlds.offset.table@rel32@hi+12
	s_ashr_i32 s11, s10, 31
	v_mov_b32_e32 v6, 0
	s_lshl_b64 s[20:21], s[10:11], 2
	v_mov_b32_e32 v8, v190
	s_add_u32 s18, s20, s18
	s_addc_u32 s19, s21, s19
	s_mov_b32 s11, 0
	s_load_b32 s3, s[18:19], 0x0
	s_waitcnt lgkmcnt(0)
	v_lshl_add_u32 v7, v190, 2, s3
	.p2align	6
.LBB187_23:                             ; =>This Inner Loop Header: Depth=1
	ds_load_b32 v9, v7
	v_add_nc_u32_e32 v8, 0x80, v8
	s_delay_alu instid0(VALU_DEP_1) | instskip(NEXT) | instid1(VALU_DEP_1)
	v_cmp_ge_i32_e64 s3, v8, v1
	s_or_b32 s11, s3, s11
	s_waitcnt lgkmcnt(0)
	v_sub_f32_e32 v9, v9, v0
	s_delay_alu instid0(VALU_DEP_1) | instskip(NEXT) | instid1(VALU_DEP_1)
	v_mul_f32_e32 v9, 0x3fb8aa3b, v9
	v_exp_f32_e32 v9, v9
	ds_store_b32 v7, v9
	v_dual_add_f32 v6, v6, v9 :: v_dual_add_nc_u32 v7, 0x200, v7
	s_and_not1_b32 exec_lo, exec_lo, s11
	s_cbranch_execnz .LBB187_23
; %bb.24:
	s_or_b32 exec_lo, exec_lo, s11
.LBB187_25:
	s_delay_alu instid0(SALU_CYCLE_1)
	s_or_b32 exec_lo, exec_lo, s9
	ds_bpermute_b32 v2, v2, v6
	s_waitcnt lgkmcnt(0)
	v_add_f32_e32 v2, v6, v2
	ds_bpermute_b32 v3, v3, v2
	s_waitcnt lgkmcnt(0)
	v_add_f32_e32 v2, v2, v3
	;; [unrolled: 3-line block ×5, first 2 shown]
	s_and_saveexec_b32 s3, vcc_lo
	s_cbranch_execz .LBB187_27
; %bb.26:
	ds_store_b32 v5, v2 offset:272
.LBB187_27:
	s_or_b32 exec_lo, exec_lo, s3
	s_waitcnt lgkmcnt(0)
	s_barrier
	buffer_gl0_inv
	s_and_saveexec_b32 s3, s1
	s_cbranch_execz .LBB187_29
; %bb.28:
	ds_load_b32 v2, v12 offset:272
.LBB187_29:
	s_or_b32 exec_lo, exec_lo, s3
	s_waitcnt lgkmcnt(0)
	ds_bpermute_b32 v3, v16, v2
	s_waitcnt lgkmcnt(0)
	v_add_f32_e32 v2, v2, v3
	ds_bpermute_b32 v3, v13, v2
	s_waitcnt lgkmcnt(0)
	v_dual_add_f32 v2, v2, v3 :: v_dual_mov_b32 v3, 0
	ds_bpermute_b32 v2, v3, v2
	s_and_saveexec_b32 s1, s2
	s_cbranch_execz .LBB187_32
; %bb.30:
	s_waitcnt lgkmcnt(0)
	v_add_f32_e32 v4, 0x358637bd, v2
	s_getpc_b64 s[2:3]
	s_add_u32 s2, s2, llvm.amdgcn.dynlds.offset.table@rel32@lo+4
	s_addc_u32 s3, s3, llvm.amdgcn.dynlds.offset.table@rel32@hi+12
	s_ashr_i32 s11, s10, 31
	s_delay_alu instid0(SALU_CYCLE_1) | instskip(SKIP_4) | instid1(VALU_DEP_1)
	s_lshl_b64 s[18:19], s[10:11], 2
	v_div_scale_f32 v3, null, v4, v4, 1.0
	s_add_u32 s2, s18, s2
	s_addc_u32 s3, s19, s3
	s_load_b32 s2, s[2:3], 0x0
	v_rcp_f32_e32 v5, v3
	s_waitcnt_depctr 0xfff
	v_fma_f32 v6, -v3, v5, 1.0
	s_delay_alu instid0(VALU_DEP_1) | instskip(SKIP_1) | instid1(VALU_DEP_1)
	v_fmac_f32_e32 v5, v6, v5
	v_div_scale_f32 v7, vcc_lo, 1.0, v4, 1.0
	v_mul_f32_e32 v6, v7, v5
	s_delay_alu instid0(VALU_DEP_1) | instskip(NEXT) | instid1(VALU_DEP_1)
	v_fma_f32 v8, -v3, v6, v7
	v_fmac_f32_e32 v6, v8, v5
	s_delay_alu instid0(VALU_DEP_1) | instskip(NEXT) | instid1(VALU_DEP_1)
	v_fma_f32 v3, -v3, v6, v7
	v_div_fmas_f32 v5, v3, v5, v6
	s_waitcnt lgkmcnt(0)
	v_lshl_add_u32 v3, v190, 2, s2
	s_mov_b32 s2, 0
	s_delay_alu instid0(VALU_DEP_2)
	v_div_fixup_f32 v4, v5, v4, 1.0
	v_mov_b32_e32 v5, v190
.LBB187_31:                             ; =>This Inner Loop Header: Depth=1
	ds_load_b32 v6, v3
	s_waitcnt lgkmcnt(0)
	v_dual_mul_f32 v6, v4, v6 :: v_dual_add_nc_u32 v5, 0x80, v5
	s_delay_alu instid0(VALU_DEP_1) | instskip(SKIP_3) | instid1(SALU_CYCLE_1)
	v_cmp_ge_i32_e32 vcc_lo, v5, v1
	ds_store_b32 v3, v6
	v_add_nc_u32_e32 v3, 0x200, v3
	s_or_b32 s2, vcc_lo, s2
	s_and_not1_b32 exec_lo, exec_lo, s2
	s_cbranch_execnz .LBB187_31
.LBB187_32:
	s_or_b32 exec_lo, exec_lo, s1
	v_cmp_ne_u16_e64 s1, s8, 0
	s_mov_b32 s2, exec_lo
	s_waitcnt lgkmcnt(0)
	s_barrier
	buffer_gl0_inv
	s_cmp_lg_u32 s1, 0
	s_addc_u32 s1, s7, 0
	v_cmpx_eq_u32_e32 0, v190
	s_cbranch_execz .LBB187_34
; %bb.33:
	s_mul_i32 s3, s1, s4
	s_mul_i32 s8, s1, s12
	;; [unrolled: 1-line block ×3, first 2 shown]
	s_ashr_i32 s9, s8, 31
	s_ashr_i32 s15, s14, 31
	;; [unrolled: 1-line block ×3, first 2 shown]
	s_lshl_b64 s[8:9], s[8:9], 2
	s_lshl_b64 s[18:19], s[14:15], 2
	;; [unrolled: 1-line block ×3, first 2 shown]
	s_add_u32 s3, s18, s8
	s_addc_u32 s7, s19, s9
	s_add_u32 s3, s3, s12
	s_addc_u32 s7, s7, s13
	v_add_co_u32 v3, vcc_lo, s3, v33
	v_add_co_ci_u32_e32 v4, vcc_lo, s7, v32, vcc_lo
	v_add_co_u32 v5, vcc_lo, s3, v30
	v_add_co_ci_u32_e32 v6, vcc_lo, s7, v29, vcc_lo
	flat_store_b32 v[3:4], v0
	flat_store_b32 v[5:6], v2
.LBB187_34:
	s_or_b32 exec_lo, exec_lo, s2
	s_ashr_i32 s11, s10, 31
	s_getpc_b64 s[2:3]
	s_add_u32 s2, s2, llvm.amdgcn.dynlds.offset.table@rel32@lo+4
	s_addc_u32 s3, s3, llvm.amdgcn.dynlds.offset.table@rel32@hi+12
	s_lshl_b64 s[8:9], s[10:11], 2
	v_dual_mov_b32 v48, 0 :: v_dual_and_b32 v17, 3, v190
	v_dual_mov_b32 v49, 0 :: v_dual_mov_b32 v38, 0
	v_dual_mov_b32 v37, 0 :: v_dual_mov_b32 v36, 0
	;; [unrolled: 1-line block ×7, first 2 shown]
	v_mov_b32_e32 v19, 0
	s_add_u32 s2, s8, s2
	s_addc_u32 s3, s9, s3
	s_mov_b32 s8, 0
	s_and_saveexec_b32 s7, s0
	s_cbranch_execz .LBB187_616
; %bb.35:
	v_max_i32_e32 v26, v26, v39
	v_lshlrev_b64 v[0:1], 1, v[50:51]
	v_lshlrev_b32_e32 v4, 3, v190
	s_load_b32 s0, s[2:3], 0x0
	v_dual_mov_b32 v18, 0 :: v_dual_lshlrev_b32 v5, 5, v17
	v_cvt_f32_u32_e32 v2, v26
	s_delay_alu instid0(VALU_DEP_4) | instskip(SKIP_1) | instid1(VALU_DEP_3)
	v_add_co_u32 v51, vcc_lo, v10, v0
	v_add_co_ci_u32_e32 v52, vcc_lo, v11, v1, vcc_lo
	v_rcp_iflag_f32_e32 v6, v2
	v_lshlrev_b64 v[2:3], 2, v[23:24]
	v_dual_mov_b32 v29, 0 :: v_dual_and_b32 v24, 24, v4
	v_dual_mov_b32 v31, 0 :: v_dual_and_b32 v4, 0xf8, v4
	v_sub_nc_u32_e32 v7, 0, v26
	s_delay_alu instid0(VALU_DEP_4) | instskip(SKIP_4) | instid1(VALU_DEP_3)
	v_add_co_u32 v1, vcc_lo, v53, v2
	s_waitcnt_depctr 0xfff
	v_dual_mul_f32 v0, 0x4f7ffffe, v6 :: v_dual_lshlrev_b32 v53, 1, v4
	v_add_co_ci_u32_e32 v2, vcc_lo, v54, v3, vcc_lo
	v_add_co_u32 v10, vcc_lo, v14, v1
	v_cvt_u32_f32_e32 v0, v0
	v_dual_mov_b32 v27, 0 :: v_dual_add_nc_u32 v50, -1, v21
	v_lshl_or_b32 v5, v191, 7, v5
	v_or_b32_e32 v3, 0x800, v4
	s_delay_alu instid0(VALU_DEP_4)
	v_mul_lo_u32 v7, v7, v0
	v_or_b32_e32 v6, 0x900, v4
	v_or_b32_e32 v8, 0xa00, v4
	;; [unrolled: 1-line block ×7, first 2 shown]
	v_mul_hi_u32 v1, v0, v7
	v_add_co_ci_u32_e32 v11, vcc_lo, v15, v2, vcc_lo
	v_dual_mov_b32 v33, 0 :: v_dual_lshlrev_b32 v14, 1, v3
	v_dual_mov_b32 v28, 0 :: v_dual_lshlrev_b32 v15, 1, v6
	;; [unrolled: 1-line block ×6, first 2 shown]
	s_waitcnt lgkmcnt(0)
	v_dual_mov_b32 v49, 0 :: v_dual_add_nc_u32 v66, s0, v5
	v_dual_mov_b32 v34, 0 :: v_dual_add_nc_u32 v67, v0, v1
	v_lshlrev_b32_e32 v68, 1, v21
	v_dual_mov_b32 v36, 0 :: v_dual_lshlrev_b32 v69, 1, v25
	v_dual_mov_b32 v19, 0 :: v_dual_mov_b32 v38, 0
	v_mov_b32_e32 v48, 0
	s_branch .LBB187_38
.LBB187_36:                             ;   in Loop: Header=BB187_38 Depth=1
	s_or_b32 exec_lo, exec_lo, s0
	v_and_b32_e32 v131, 0xffff0000, v155
	v_and_b32_e32 v132, 0xffff0000, v154
	;; [unrolled: 1-line block ×5, first 2 shown]
	s_delay_alu instid0(VALU_DEP_4) | instskip(SKIP_1) | instid1(VALU_DEP_4)
	v_dual_add_f32 v131, v132, v131 :: v_dual_and_b32 v134, 0xffff0000, v169
	v_and_b32_e32 v144, 0xffff0000, v139
	v_dual_add_f32 v12, v12, v21 :: v_dual_and_b32 v145, 0xffff0000, v138
	v_and_b32_e32 v129, 0xffff0000, v175
	v_and_b32_e32 v119, 0xffff0000, v170
	s_delay_alu instid0(VALU_DEP_3) | instskip(NEXT) | instid1(VALU_DEP_3)
	v_dual_add_f32 v132, v145, v144 :: v_dual_and_b32 v135, 0xffff0000, v141
	v_dual_add_f32 v129, v130, v129 :: v_dual_and_b32 v128, 0xffff0000, v172
	v_and_b32_e32 v118, 0xffff0000, v171
	v_and_b32_e32 v117, 0xffff0000, v173
	v_and_b32_e32 v25, 0xffff0000, v25
	v_and_b32_e32 v7, 0xffff0000, v7
	v_and_b32_e32 v6, 0xffff0000, v6
	s_delay_alu instid0(VALU_DEP_4) | instskip(SKIP_2) | instid1(VALU_DEP_4)
	v_dual_add_f32 v118, v119, v118 :: v_dual_add_f32 v117, v128, v117
	v_and_b32_e32 v5, 0xffff0000, v5
	v_and_b32_e32 v71, 0xffff0000, v71
	v_dual_add_f32 v6, v6, v7 :: v_dual_and_b32 v9, 0xffff0000, v9
	s_delay_alu instid0(VALU_DEP_4) | instskip(SKIP_3) | instid1(VALU_DEP_4)
	v_dual_add_f32 v117, v118, v117 :: v_dual_and_b32 v130, 0xffff0000, v158
	v_and_b32_e32 v1, 0xffff0000, v1
	v_and_b32_e32 v0, 0xffff0000, v0
	;; [unrolled: 1-line block ×3, first 2 shown]
	v_dual_add_f32 v117, v117, v129 :: v_dual_and_b32 v146, 0xffff0000, v140
	v_and_b32_e32 v128, 0xffff0000, v185
	v_and_b32_e32 v70, 0xffff0000, v70
	;; [unrolled: 1-line block ×3, first 2 shown]
	s_delay_alu instid0(VALU_DEP_4) | instskip(SKIP_1) | instid1(VALU_DEP_3)
	v_dual_add_f32 v135, v146, v135 :: v_dual_and_b32 v84, 0xffff0000, v84
	v_and_b32_e32 v118, 0xffff0000, v159
	v_dual_add_f32 v8, v8, v9 :: v_dual_and_b32 v119, 0xffff0000, v184
	v_dual_add_f32 v9, v70, v71 :: v_dual_and_b32 v80, 0xffff0000, v80
	s_delay_alu instid0(VALU_DEP_2) | instskip(SKIP_1) | instid1(VALU_DEP_3)
	v_dual_add_f32 v118, v130, v118 :: v_dual_add_f32 v119, v119, v128
	v_and_b32_e32 v128, 0xffff0000, v157
	v_dual_add_f32 v8, v8, v9 :: v_dual_and_b32 v129, 0xffff0000, v156
	v_and_b32_e32 v70, 0xffff0000, v115
	s_delay_alu instid0(VALU_DEP_4) | instskip(NEXT) | instid1(VALU_DEP_3)
	v_dual_add_f32 v117, v117, v119 :: v_dual_and_b32 v130, 0xffff0000, v152
	v_dual_add_f32 v128, v129, v128 :: v_dual_and_b32 v129, 0xffff0000, v143
	s_delay_alu instid0(VALU_DEP_2) | instskip(NEXT) | instid1(VALU_DEP_2)
	v_dual_add_f32 v19, v19, v117 :: v_dual_and_b32 v2, 0xffff0000, v2
	v_dual_add_f32 v128, v131, v128 :: v_dual_add_f32 v131, v132, v135
	s_delay_alu instid0(VALU_DEP_1) | instskip(SKIP_2) | instid1(VALU_DEP_1)
	v_add_f32_e32 v118, v128, v118
	v_and_b32_e32 v132, 0xffff0000, v153
	v_and_b32_e32 v144, 0xffff0000, v142
	v_add_f32_e32 v129, v144, v129
	s_delay_alu instid0(VALU_DEP_1) | instskip(NEXT) | instid1(VALU_DEP_1)
	v_dual_add_f32 v128, v131, v129 :: v_dual_and_b32 v133, 0xffff0000, v168
	v_add_f32_e32 v119, v133, v134
	s_delay_alu instid0(VALU_DEP_1) | instskip(SKIP_2) | instid1(VALU_DEP_3)
	v_add_f32_e32 v117, v118, v119
	v_add_f32_e32 v129, v130, v132
	v_and_b32_e32 v119, 0xffff0000, v136
	v_add_f32_e32 v27, v27, v117
	s_delay_alu instid0(VALU_DEP_3) | instskip(SKIP_1) | instid1(VALU_DEP_2)
	v_dual_add_f32 v118, v128, v129 :: v_dual_and_b32 v39, 0xffff0000, v39
	v_and_b32_e32 v117, 0xffff0000, v110
	v_add_f32_e32 v28, v28, v118
	s_delay_alu instid0(VALU_DEP_3) | instskip(SKIP_3) | instid1(VALU_DEP_4)
	v_dual_add_f32 v21, v39, v119 :: v_dual_and_b32 v96, 0xffff0000, v96
	v_and_b32_e32 v128, 0xffff0000, v137
	v_and_b32_e32 v39, 0xffff0000, v125
	;; [unrolled: 1-line block ×3, first 2 shown]
	v_dual_add_f32 v12, v12, v21 :: v_dual_add_f32 v21, v25, v96
	v_and_b32_e32 v25, 0xffff0000, v127
	v_and_b32_e32 v4, 0xffff0000, v4
	s_delay_alu instid0(VALU_DEP_3) | instskip(NEXT) | instid1(VALU_DEP_2)
	v_dual_add_f32 v12, v12, v21 :: v_dual_and_b32 v129, 0xffff0000, v122
	v_add_f32_e32 v4, v4, v5
	v_and_b32_e32 v97, 0xffff0000, v97
	v_and_b32_e32 v5, 0xffff0000, v111
	s_delay_alu instid0(VALU_DEP_2) | instskip(SKIP_2) | instid1(VALU_DEP_4)
	v_add_f32_e32 v21, v97, v128
	v_and_b32_e32 v119, 0xffff0000, v123
	v_and_b32_e32 v97, 0xffff0000, v108
	v_dual_add_f32 v5, v117, v5 :: v_dual_and_b32 v128, 0xffff0000, v90
	s_delay_alu instid0(VALU_DEP_4) | instskip(NEXT) | instid1(VALU_DEP_4)
	v_add_f32_e32 v12, v12, v21
	v_add_f32_e32 v96, v129, v119
	v_and_b32_e32 v130, 0xffff0000, v124
	v_and_b32_e32 v119, 0xffff0000, v126
	;; [unrolled: 1-line block ×4, first 2 shown]
	v_add_f32_e32 v29, v29, v12
	v_add_f32_e32 v39, v130, v39
	;; [unrolled: 1-line block ×3, first 2 shown]
	v_and_b32_e32 v119, 0xffff0000, v121
	s_delay_alu instid0(VALU_DEP_3) | instskip(NEXT) | instid1(VALU_DEP_1)
	v_dual_add_f32 v39, v96, v39 :: v_dual_and_b32 v130, 0xffff0000, v62
	v_dual_add_f32 v21, v39, v25 :: v_dual_and_b32 v96, 0xffff0000, v106
	s_delay_alu instid0(VALU_DEP_1) | instskip(SKIP_1) | instid1(VALU_DEP_2)
	v_dual_add_f32 v4, v21, v4 :: v_dual_and_b32 v25, 0xffff0000, v109
	v_and_b32_e32 v39, 0xffff0000, v107
	v_add_f32_e32 v25, v97, v25
	s_delay_alu instid0(VALU_DEP_3) | instskip(NEXT) | instid1(VALU_DEP_3)
	v_dual_add_f32 v30, v30, v4 :: v_dual_and_b32 v97, 0xffff0000, v91
	v_dual_add_f32 v39, v96, v39 :: v_dual_and_b32 v96, 0xffff0000, v93
	s_delay_alu instid0(VALU_DEP_2) | instskip(SKIP_1) | instid1(VALU_DEP_3)
	v_add_f32_e32 v97, v128, v97
	v_and_b32_e32 v128, 0xffff0000, v61
	v_add_f32_e32 v25, v39, v25
	s_delay_alu instid0(VALU_DEP_4) | instskip(SKIP_1) | instid1(VALU_DEP_3)
	v_dual_add_f32 v96, v129, v96 :: v_dual_and_b32 v39, 0xffff0000, v95
	v_and_b32_e32 v129, 0xffff0000, v60
	v_add_f32_e32 v5, v25, v5
	v_dual_add_f32 v25, v118, v119 :: v_dual_and_b32 v118, 0xffff0000, v104
	s_delay_alu instid0(VALU_DEP_4) | instskip(SKIP_4) | instid1(VALU_DEP_3)
	v_add_f32_e32 v96, v97, v96
	v_add_f32_e32 v39, v117, v39
	v_and_b32_e32 v97, 0xffff0000, v105
	v_and_b32_e32 v117, 0xffff0000, v88
	;; [unrolled: 1-line block ×3, first 2 shown]
	v_add_f32_e32 v21, v118, v97
	v_and_b32_e32 v97, 0xffff0000, v76
	v_and_b32_e32 v118, 0xffff0000, v89
	v_add_f32_e32 v12, v96, v39
	v_and_b32_e32 v96, 0xffff0000, v77
	v_add_f32_e32 v5, v5, v25
	v_and_b32_e32 v25, 0xffff0000, v79
	v_and_b32_e32 v39, 0xffff0000, v78
	v_add_f32_e32 v119, v130, v119
	v_dual_add_f32 v7, v97, v96 :: v_dual_and_b32 v96, 0xffff0000, v73
	v_add_f32_e32 v97, v129, v128
	v_and_b32_e32 v128, 0xffff0000, v72
	v_add_f32_e32 v12, v12, v21
	s_delay_alu instid0(VALU_DEP_4) | instskip(NEXT) | instid1(VALU_DEP_3)
	v_dual_add_f32 v6, v6, v7 :: v_dual_add_f32 v7, v39, v25
	v_dual_add_f32 v96, v128, v96 :: v_dual_and_b32 v25, 0xffff0000, v74
	s_delay_alu instid0(VALU_DEP_3) | instskip(SKIP_1) | instid1(VALU_DEP_4)
	v_add_f32_e32 v32, v32, v12
	v_and_b32_e32 v12, 0xffff0000, v45
	v_dual_add_f32 v6, v6, v7 :: v_dual_add_f32 v7, v117, v118
	v_add_f32_e32 v31, v31, v5
	v_and_b32_e32 v117, 0xffff0000, v180
	v_and_b32_e32 v118, 0xffff0000, v182
	s_delay_alu instid0(VALU_DEP_4) | instskip(SKIP_3) | instid1(VALU_DEP_4)
	v_add_f32_e32 v4, v6, v7
	v_dual_add_f32 v39, v97, v119 :: v_dual_and_b32 v6, 0xffff0000, v57
	v_and_b32_e32 v97, 0xffff0000, v75
	v_and_b32_e32 v7, 0xffff0000, v47
	v_add_f32_e32 v33, v33, v4
	s_delay_alu instid0(VALU_DEP_4) | instskip(NEXT) | instid1(VALU_DEP_4)
	v_add_f32_e32 v21, v39, v96
	v_add_f32_e32 v25, v25, v97
	v_and_b32_e32 v39, 0xffff0000, v56
	v_and_b32_e32 v96, 0xffff0000, v58
	;; [unrolled: 1-line block ×3, first 2 shown]
	s_delay_alu instid0(VALU_DEP_4) | instskip(SKIP_3) | instid1(VALU_DEP_4)
	v_add_f32_e32 v5, v21, v25
	v_and_b32_e32 v21, 0xffff0000, v44
	v_and_b32_e32 v25, 0xffff0000, v46
	v_dual_add_f32 v6, v39, v6 :: v_dual_and_b32 v39, 0xffff0000, v40
	v_add_f32_e32 v34, v34, v5
	s_delay_alu instid0(VALU_DEP_4) | instskip(NEXT) | instid1(VALU_DEP_4)
	v_add_f32_e32 v12, v21, v12
	v_add_f32_e32 v7, v25, v7
	v_and_b32_e32 v21, 0xffff0000, v183
	v_and_b32_e32 v25, 0xffff0000, v181
	s_delay_alu instid0(VALU_DEP_3) | instskip(NEXT) | instid1(VALU_DEP_2)
	v_dual_add_f32 v7, v12, v7 :: v_dual_and_b32 v12, 0xffff0000, v41
	v_add_f32_e32 v25, v117, v25
	s_delay_alu instid0(VALU_DEP_2) | instskip(SKIP_1) | instid1(VALU_DEP_2)
	v_dual_add_f32 v21, v118, v21 :: v_dual_add_f32 v6, v7, v6
	v_dual_add_f32 v7, v96, v97 :: v_dual_and_b32 v96, 0xffff0000, v42
	v_dual_add_f32 v21, v25, v21 :: v_dual_add_f32 v12, v39, v12
	v_and_b32_e32 v25, 0xffff0000, v43
	s_delay_alu instid0(VALU_DEP_3) | instskip(SKIP_2) | instid1(VALU_DEP_4)
	v_add_f32_e32 v4, v6, v7
	v_and_b32_e32 v7, 0xffff0000, v167
	v_and_b32_e32 v39, 0xffff0000, v150
	v_dual_add_f32 v5, v21, v12 :: v_dual_add_f32 v6, v96, v25
	v_and_b32_e32 v12, 0xffff0000, v165
	v_and_b32_e32 v21, 0xffff0000, v164
	;; [unrolled: 1-line block ×3, first 2 shown]
	s_delay_alu instid0(VALU_DEP_4) | instskip(NEXT) | instid1(VALU_DEP_3)
	v_dual_add_f32 v35, v35, v4 :: v_dual_add_f32 v4, v5, v6
	v_dual_add_f32 v6, v21, v12 :: v_dual_and_b32 v5, 0xffff0000, v177
	s_delay_alu instid0(VALU_DEP_3) | instskip(SKIP_1) | instid1(VALU_DEP_4)
	v_dual_add_f32 v7, v25, v7 :: v_dual_and_b32 v12, 0xffff0000, v176
	v_and_b32_e32 v25, 0xffff0000, v148
	v_add_f32_e32 v36, v36, v4
	v_and_b32_e32 v4, 0xffff0000, v178
	s_delay_alu instid0(VALU_DEP_4)
	v_dual_add_f32 v6, v6, v7 :: v_dual_add_f32 v5, v12, v5
	v_and_b32_e32 v7, 0xffff0000, v151
	v_and_b32_e32 v12, 0xffff0000, v149
	;; [unrolled: 1-line block ×5, first 2 shown]
	s_delay_alu instid0(VALU_DEP_4) | instskip(SKIP_3) | instid1(VALU_DEP_4)
	v_dual_add_f32 v7, v39, v7 :: v_dual_add_f32 v12, v25, v12
	v_and_b32_e32 v25, 0xffff0000, v101
	v_and_b32_e32 v39, 0xffff0000, v85
	v_dual_add_f32 v4, v4, v21 :: v_dual_and_b32 v85, 0xffff0000, v100
	v_add_f32_e32 v7, v12, v7
	v_and_b32_e32 v12, 0xffff0000, v103
	s_delay_alu instid0(VALU_DEP_4) | instskip(NEXT) | instid1(VALU_DEP_4)
	v_add_f32_e32 v39, v84, v39
	v_dual_add_f32 v25, v85, v25 :: v_dual_and_b32 v84, 0xffff0000, v102
	v_and_b32_e32 v85, 0xffff0000, v163
	s_delay_alu instid0(VALU_DEP_2) | instskip(SKIP_2) | instid1(VALU_DEP_3)
	v_dual_add_f32 v21, v39, v25 :: v_dual_add_f32 v12, v84, v12
	v_and_b32_e32 v84, 0xffff0000, v112
	v_and_b32_e32 v25, 0xffff0000, v114
	v_dual_add_f32 v12, v21, v12 :: v_dual_and_b32 v39, 0xffff0000, v147
	v_and_b32_e32 v21, 0xffff0000, v81
	v_and_b32_e32 v81, 0xffff0000, v82
	;; [unrolled: 1-line block ×4, first 2 shown]
	s_delay_alu instid0(VALU_DEP_4) | instskip(SKIP_1) | instid1(VALU_DEP_3)
	v_add_f32_e32 v9, v80, v21
	v_add_f32_e32 v21, v25, v39
	v_dual_add_f32 v1, v1, v83 :: v_dual_add_f32 v0, v0, v84
	s_delay_alu instid0(VALU_DEP_3) | instskip(NEXT) | instid1(VALU_DEP_2)
	v_dual_add_f32 v8, v8, v9 :: v_dual_add_f32 v9, v81, v82
	v_dual_add_f32 v0, v0, v1 :: v_dual_add_f32 v1, v2, v70
	v_dual_add_f32 v5, v6, v5 :: v_dual_and_b32 v2, 0xffff0000, v116
	v_and_b32_e32 v6, 0xffff0000, v161
	s_delay_alu instid0(VALU_DEP_2) | instskip(NEXT) | instid1(VALU_DEP_3)
	v_dual_add_f32 v0, v0, v1 :: v_dual_add_f32 v1, v3, v2
	v_add_f32_e32 v2, v5, v4
	s_delay_alu instid0(VALU_DEP_3) | instskip(SKIP_2) | instid1(VALU_DEP_4)
	v_add_f32_e32 v6, v96, v6
	v_add_f32_e32 v4, v12, v21
	;; [unrolled: 1-line block ×3, first 2 shown]
	v_dual_add_f32 v0, v0, v1 :: v_dual_add_f32 v37, v37, v2
	s_delay_alu instid0(VALU_DEP_4) | instskip(NEXT) | instid1(VALU_DEP_3)
	v_dual_add_f32 v6, v7, v6 :: v_dual_add_f32 v7, v97, v85
	v_dual_add_f32 v49, v49, v4 :: v_dual_add_f32 v48, v48, v5
	s_delay_alu instid0(VALU_DEP_3) | instskip(NEXT) | instid1(VALU_DEP_3)
	v_add_f32_e32 v18, v18, v0
	v_add_f32_e32 v3, v6, v7
	s_delay_alu instid0(VALU_DEP_1)
	v_add_f32_e32 v38, v38, v3
.LBB187_37:                             ;   in Loop: Header=BB187_38 Depth=1
	s_or_b32 exec_lo, exec_lo, s9
	v_add_nc_u32_e32 v23, 4, v23
	v_add_co_u32 v10, s0, v10, 16
	s_delay_alu instid0(VALU_DEP_1) | instskip(NEXT) | instid1(VALU_DEP_3)
	v_add_co_ci_u32_e64 v11, s0, 0, v11, s0
	v_cmp_ge_i32_e32 vcc_lo, v23, v99
	v_add_nc_u32_e32 v98, 0x80, v98
	v_add_nc_u32_e32 v66, 0x200, v66
	s_or_b32 s8, vcc_lo, s8
	s_delay_alu instid0(SALU_CYCLE_1)
	s_and_not1_b32 exec_lo, exec_lo, s8
	s_cbranch_execz .LBB187_615
.LBB187_38:                             ; =>This Inner Loop Header: Depth=1
	s_clause 0x1
	scratch_load_b32 v1, off, s32 offset:324
	scratch_load_b32 v4, off, s32 offset:320
	v_sub_nc_u32_e32 v0, 0, v98
	s_delay_alu instid0(VALU_DEP_1) | instskip(SKIP_1) | instid1(VALU_DEP_1)
	v_max_i32_e32 v0, v98, v0
	s_waitcnt vmcnt(1)
	v_mul_hi_u32 v1, v0, v1
	s_delay_alu instid0(VALU_DEP_1) | instskip(NEXT) | instid1(VALU_DEP_1)
	v_mul_lo_u32 v2, v1, v87
	v_sub_nc_u32_e32 v0, v0, v2
	v_add_nc_u32_e32 v2, 1, v1
	s_delay_alu instid0(VALU_DEP_2) | instskip(SKIP_1) | instid1(VALU_DEP_2)
	v_sub_nc_u32_e32 v3, v0, v87
	v_cmp_ge_u32_e32 vcc_lo, v0, v87
	v_dual_cndmask_b32 v1, v1, v2 :: v_dual_cndmask_b32 v0, v0, v3
	v_ashrrev_i32_e32 v2, 31, v98
	s_delay_alu instid0(VALU_DEP_2) | instskip(NEXT) | instid1(VALU_DEP_3)
	v_add_nc_u32_e32 v3, 1, v1
	v_cmp_ge_u32_e32 vcc_lo, v0, v87
	s_waitcnt vmcnt(0)
	s_delay_alu instid0(VALU_DEP_3) | instskip(NEXT) | instid1(VALU_DEP_3)
	v_xor_b32_e32 v2, v2, v4
	v_cndmask_b32_e32 v0, v1, v3, vcc_lo
	s_delay_alu instid0(VALU_DEP_1) | instskip(NEXT) | instid1(VALU_DEP_1)
	v_xor_b32_e32 v0, v0, v2
	v_sub_nc_u32_e32 v0, v0, v2
	s_delay_alu instid0(VALU_DEP_1) | instskip(NEXT) | instid1(VALU_DEP_1)
	v_add_nc_u32_e32 v1, v0, v20
	v_sub_nc_u32_e32 v2, 0, v1
	s_delay_alu instid0(VALU_DEP_1) | instskip(NEXT) | instid1(VALU_DEP_1)
	v_max_i32_e32 v2, v1, v2
	v_mul_hi_u32 v3, v2, v67
	s_delay_alu instid0(VALU_DEP_1) | instskip(NEXT) | instid1(VALU_DEP_1)
	v_mul_lo_u32 v3, v3, v26
	v_sub_nc_u32_e32 v2, v2, v3
	s_delay_alu instid0(VALU_DEP_1) | instskip(SKIP_1) | instid1(VALU_DEP_2)
	v_sub_nc_u32_e32 v3, v2, v26
	v_cmp_ge_u32_e32 vcc_lo, v2, v26
	v_cndmask_b32_e32 v2, v2, v3, vcc_lo
	v_ashrrev_i32_e32 v1, 31, v1
	s_delay_alu instid0(VALU_DEP_2) | instskip(SKIP_1) | instid1(VALU_DEP_2)
	v_sub_nc_u32_e32 v3, v2, v26
	v_cmp_ge_u32_e32 vcc_lo, v2, v26
	v_cndmask_b32_e32 v2, v2, v3, vcc_lo
	s_delay_alu instid0(VALU_DEP_1) | instskip(NEXT) | instid1(VALU_DEP_1)
	v_xor_b32_e32 v2, v2, v1
	v_sub_nc_u32_e32 v1, v2, v1
	s_delay_alu instid0(VALU_DEP_1) | instskip(SKIP_3) | instid1(VALU_DEP_1)
	v_cmp_eq_u32_e32 vcc_lo, 0, v1
	scratch_load_b32 v1, off, s32 offset:328 ; 4-byte Folded Reload
	s_waitcnt vmcnt(0)
	v_cmp_gt_i32_e64 s0, v0, v1
	s_or_b32 s0, vcc_lo, s0
	s_delay_alu instid0(SALU_CYCLE_1)
	s_and_saveexec_b32 s9, s0
	s_cbranch_execz .LBB187_37
; %bb.39:                               ;   in Loop: Header=BB187_38 Depth=1
	flat_load_b32 v80, v[10:11]
	ds_load_2addr_b64 v[6:9], v66 offset1:1
	ds_load_2addr_b64 v[0:3], v66 offset0:2 offset1:3
	s_mov_b32 s0, exec_lo
                                        ; implicit-def: $vgpr71
	s_waitcnt lgkmcnt(1)
	v_and_b32_e32 v4, 0x7f800000, v6
	s_delay_alu instid0(VALU_DEP_1)
	v_cmpx_ne_u32_e32 0x7f800000, v4
	s_xor_b32 s0, exec_lo, s0
; %bb.40:                               ;   in Loop: Header=BB187_38 Depth=1
	v_bfe_u32 v4, v6, 16, 1
	s_delay_alu instid0(VALU_DEP_1)
	v_add3_u32 v71, v6, v4, 0x7fff
; %bb.41:                               ;   in Loop: Header=BB187_38 Depth=1
	s_and_not1_saveexec_b32 s0, s0
; %bb.42:                               ;   in Loop: Header=BB187_38 Depth=1
	v_and_b32_e32 v4, 0xffff, v6
	v_or_b32_e32 v5, 0x10000, v6
	s_delay_alu instid0(VALU_DEP_2) | instskip(NEXT) | instid1(VALU_DEP_2)
	v_cmp_eq_u32_e32 vcc_lo, 0, v4
	v_cndmask_b32_e32 v71, v5, v6, vcc_lo
; %bb.43:                               ;   in Loop: Header=BB187_38 Depth=1
	s_or_b32 exec_lo, exec_lo, s0
	v_and_b32_e32 v4, 0x7f800000, v7
	s_mov_b32 s0, exec_lo
                                        ; implicit-def: $vgpr70
	s_delay_alu instid0(VALU_DEP_1)
	v_cmpx_ne_u32_e32 0x7f800000, v4
	s_xor_b32 s0, exec_lo, s0
; %bb.44:                               ;   in Loop: Header=BB187_38 Depth=1
	v_bfe_u32 v4, v7, 16, 1
	s_delay_alu instid0(VALU_DEP_1)
	v_add3_u32 v70, v7, v4, 0x7fff
; %bb.45:                               ;   in Loop: Header=BB187_38 Depth=1
	s_and_not1_saveexec_b32 s0, s0
; %bb.46:                               ;   in Loop: Header=BB187_38 Depth=1
	v_and_b32_e32 v4, 0xffff, v7
	v_or_b32_e32 v5, 0x10000, v7
	s_delay_alu instid0(VALU_DEP_2) | instskip(NEXT) | instid1(VALU_DEP_2)
	v_cmp_eq_u32_e32 vcc_lo, 0, v4
	v_cndmask_b32_e32 v70, v5, v7, vcc_lo
; %bb.47:                               ;   in Loop: Header=BB187_38 Depth=1
	s_or_b32 exec_lo, exec_lo, s0
	v_and_b32_e32 v4, 0x7f800000, v8
	s_mov_b32 s0, exec_lo
                                        ; implicit-def: $vgpr39
	s_delay_alu instid0(VALU_DEP_1)
	v_cmpx_ne_u32_e32 0x7f800000, v4
	s_xor_b32 s0, exec_lo, s0
; %bb.48:                               ;   in Loop: Header=BB187_38 Depth=1
	v_bfe_u32 v4, v8, 16, 1
	s_delay_alu instid0(VALU_DEP_1)
	v_add3_u32 v39, v8, v4, 0x7fff
; %bb.49:                               ;   in Loop: Header=BB187_38 Depth=1
	s_and_not1_saveexec_b32 s0, s0
; %bb.50:                               ;   in Loop: Header=BB187_38 Depth=1
	v_and_b32_e32 v4, 0xffff, v8
	v_or_b32_e32 v5, 0x10000, v8
	s_delay_alu instid0(VALU_DEP_2) | instskip(NEXT) | instid1(VALU_DEP_2)
	v_cmp_eq_u32_e32 vcc_lo, 0, v4
	v_cndmask_b32_e32 v39, v5, v8, vcc_lo
; %bb.51:                               ;   in Loop: Header=BB187_38 Depth=1
	s_or_b32 exec_lo, exec_lo, s0
	v_and_b32_e32 v4, 0x7f800000, v9
	s_mov_b32 s0, exec_lo
                                        ; implicit-def: $vgpr25
	s_delay_alu instid0(VALU_DEP_1)
	v_cmpx_ne_u32_e32 0x7f800000, v4
	s_xor_b32 s0, exec_lo, s0
; %bb.52:                               ;   in Loop: Header=BB187_38 Depth=1
	v_bfe_u32 v4, v9, 16, 1
	s_delay_alu instid0(VALU_DEP_1)
	v_add3_u32 v25, v9, v4, 0x7fff
                                        ; implicit-def: $vgpr6_vgpr7_vgpr8_vgpr9
; %bb.53:                               ;   in Loop: Header=BB187_38 Depth=1
	s_and_not1_saveexec_b32 s0, s0
; %bb.54:                               ;   in Loop: Header=BB187_38 Depth=1
	v_and_b32_e32 v4, 0xffff, v9
	v_or_b32_e32 v5, 0x10000, v9
	s_delay_alu instid0(VALU_DEP_2) | instskip(NEXT) | instid1(VALU_DEP_2)
	v_cmp_eq_u32_e32 vcc_lo, 0, v4
	v_cndmask_b32_e32 v25, v5, v9, vcc_lo
; %bb.55:                               ;   in Loop: Header=BB187_38 Depth=1
	s_or_b32 exec_lo, exec_lo, s0
	s_waitcnt lgkmcnt(0)
	v_and_b32_e32 v4, 0x7f800000, v0
	s_mov_b32 s0, exec_lo
                                        ; implicit-def: $vgpr21
	s_delay_alu instid0(VALU_DEP_1)
	v_cmpx_ne_u32_e32 0x7f800000, v4
	s_xor_b32 s0, exec_lo, s0
; %bb.56:                               ;   in Loop: Header=BB187_38 Depth=1
	v_bfe_u32 v4, v0, 16, 1
	s_delay_alu instid0(VALU_DEP_1)
	v_add3_u32 v21, v0, v4, 0x7fff
; %bb.57:                               ;   in Loop: Header=BB187_38 Depth=1
	s_and_not1_saveexec_b32 s0, s0
; %bb.58:                               ;   in Loop: Header=BB187_38 Depth=1
	v_and_b32_e32 v4, 0xffff, v0
	v_or_b32_e32 v5, 0x10000, v0
	s_delay_alu instid0(VALU_DEP_2) | instskip(NEXT) | instid1(VALU_DEP_2)
	v_cmp_eq_u32_e32 vcc_lo, 0, v4
	v_cndmask_b32_e32 v21, v5, v0, vcc_lo
; %bb.59:                               ;   in Loop: Header=BB187_38 Depth=1
	s_or_b32 exec_lo, exec_lo, s0
	v_and_b32_e32 v0, 0x7f800000, v1
	s_mov_b32 s0, exec_lo
                                        ; implicit-def: $vgpr12
	s_delay_alu instid0(VALU_DEP_1)
	v_cmpx_ne_u32_e32 0x7f800000, v0
	s_xor_b32 s0, exec_lo, s0
; %bb.60:                               ;   in Loop: Header=BB187_38 Depth=1
	v_bfe_u32 v0, v1, 16, 1
	s_delay_alu instid0(VALU_DEP_1)
	v_add3_u32 v12, v1, v0, 0x7fff
; %bb.61:                               ;   in Loop: Header=BB187_38 Depth=1
	s_and_not1_saveexec_b32 s0, s0
; %bb.62:                               ;   in Loop: Header=BB187_38 Depth=1
	v_and_b32_e32 v0, 0xffff, v1
	v_or_b32_e32 v4, 0x10000, v1
	s_delay_alu instid0(VALU_DEP_2) | instskip(NEXT) | instid1(VALU_DEP_2)
	v_cmp_eq_u32_e32 vcc_lo, 0, v0
	v_cndmask_b32_e32 v12, v4, v1, vcc_lo
; %bb.63:                               ;   in Loop: Header=BB187_38 Depth=1
	s_or_b32 exec_lo, exec_lo, s0
	v_and_b32_e32 v0, 0x7f800000, v2
	s_mov_b32 s0, exec_lo
                                        ; implicit-def: $vgpr5
	s_delay_alu instid0(VALU_DEP_1)
	v_cmpx_ne_u32_e32 0x7f800000, v0
	s_xor_b32 s0, exec_lo, s0
; %bb.64:                               ;   in Loop: Header=BB187_38 Depth=1
	v_bfe_u32 v0, v2, 16, 1
	s_delay_alu instid0(VALU_DEP_1)
	v_add3_u32 v5, v2, v0, 0x7fff
; %bb.65:                               ;   in Loop: Header=BB187_38 Depth=1
	s_and_not1_saveexec_b32 s0, s0
; %bb.66:                               ;   in Loop: Header=BB187_38 Depth=1
	v_and_b32_e32 v0, 0xffff, v2
	v_or_b32_e32 v1, 0x10000, v2
	s_delay_alu instid0(VALU_DEP_2) | instskip(NEXT) | instid1(VALU_DEP_2)
	v_cmp_eq_u32_e32 vcc_lo, 0, v0
	v_cndmask_b32_e32 v5, v1, v2, vcc_lo
; %bb.67:                               ;   in Loop: Header=BB187_38 Depth=1
	s_or_b32 exec_lo, exec_lo, s0
	v_and_b32_e32 v0, 0x7f800000, v3
	s_mov_b32 s0, exec_lo
                                        ; implicit-def: $vgpr4
	s_delay_alu instid0(VALU_DEP_1)
	v_cmpx_ne_u32_e32 0x7f800000, v0
	s_xor_b32 s0, exec_lo, s0
; %bb.68:                               ;   in Loop: Header=BB187_38 Depth=1
	v_bfe_u32 v0, v3, 16, 1
	s_delay_alu instid0(VALU_DEP_1)
	v_add3_u32 v4, v3, v0, 0x7fff
                                        ; implicit-def: $vgpr0_vgpr1_vgpr2_vgpr3
; %bb.69:                               ;   in Loop: Header=BB187_38 Depth=1
	s_and_not1_saveexec_b32 s0, s0
; %bb.70:                               ;   in Loop: Header=BB187_38 Depth=1
	v_and_b32_e32 v0, 0xffff, v3
	v_or_b32_e32 v1, 0x10000, v3
	s_delay_alu instid0(VALU_DEP_2) | instskip(NEXT) | instid1(VALU_DEP_2)
	v_cmp_eq_u32_e32 vcc_lo, 0, v0
	v_cndmask_b32_e32 v4, v1, v3, vcc_lo
; %bb.71:                               ;   in Loop: Header=BB187_38 Depth=1
	s_or_b32 exec_lo, exec_lo, s0
	s_waitcnt vmcnt(0)
	v_mad_i64_i32 v[0:1], null, v80, v22, 0
	v_add_nc_u32_e32 v112, v24, v98
	s_delay_alu instid0(VALU_DEP_1) | instskip(NEXT) | instid1(VALU_DEP_3)
	v_add_nc_u32_e32 v128, 1, v112
	v_lshlrev_b64 v[0:1], 1, v[0:1]
	v_add_nc_u32_e32 v119, 2, v112
	v_add_nc_u32_e32 v118, 3, v112
	;; [unrolled: 1-line block ×5, first 2 shown]
	v_add_co_u32 v129, vcc_lo, v51, v0
	v_add_co_ci_u32_e32 v130, vcc_lo, v52, v1, vcc_lo
	v_add_nc_u32_e32 v116, 7, v112
	s_delay_alu instid0(VALU_DEP_3) | instskip(NEXT) | instid1(VALU_DEP_3)
	v_add_co_u32 v6, vcc_lo, v129, v53
	v_add_co_ci_u32_e32 v7, vcc_lo, 0, v130, vcc_lo
	v_cmp_eq_u32_e32 vcc_lo, v50, v23
	flat_load_b128 v[0:3], v[6:7]
	s_waitcnt vmcnt(0) lgkmcnt(0)
	v_lshrrev_b32_e32 v9, 16, v0
	v_lshrrev_b32_e32 v80, 16, v1
	;; [unrolled: 1-line block ×4, first 2 shown]
	s_and_saveexec_b32 s10, vcc_lo
	s_cbranch_execz .LBB187_73
; %bb.72:                               ;   in Loop: Header=BB187_38 Depth=1
	v_cmp_lt_i32_e64 s0, v112, v86
	s_delay_alu instid0(VALU_DEP_1) | instskip(SKIP_1) | instid1(VALU_DEP_1)
	v_cndmask_b32_e64 v0, 0, v0, s0
	v_cmp_lt_i32_e64 s0, v128, v86
	v_cndmask_b32_e64 v9, 0, v9, s0
	v_cmp_lt_i32_e64 s0, v119, v86
	s_delay_alu instid0(VALU_DEP_1) | instskip(SKIP_1) | instid1(VALU_DEP_1)
	v_cndmask_b32_e64 v1, 0, v1, s0
	v_cmp_lt_i32_e64 s0, v118, v86
	v_cndmask_b32_e64 v80, 0, v80, s0
	v_cmp_lt_i32_e64 s0, v117, v86
	s_delay_alu instid0(VALU_DEP_1) | instskip(SKIP_1) | instid1(VALU_DEP_1)
	v_cndmask_b32_e64 v2, 0, v2, s0
	v_cmp_lt_i32_e64 s0, v115, v86
	v_cndmask_b32_e64 v81, 0, v81, s0
	v_cmp_lt_i32_e64 s0, v113, v86
	s_delay_alu instid0(VALU_DEP_1) | instskip(SKIP_1) | instid1(VALU_DEP_1)
	v_cndmask_b32_e64 v3, 0, v3, s0
	v_cmp_lt_i32_e64 s0, v116, v86
	v_cndmask_b32_e64 v83, 0, v83, s0
.LBB187_73:                             ;   in Loop: Header=BB187_38 Depth=1
	s_or_b32 exec_lo, exec_lo, s10
	v_and_b32_e32 v131, 0xffff0000, v71
	v_lshlrev_b32_e32 v0, 16, v0
	s_delay_alu instid0(VALU_DEP_1) | instskip(NEXT) | instid1(VALU_DEP_1)
	v_mul_f32_e32 v0, v131, v0
	v_and_b32_e32 v8, 0x7f800000, v0
	s_delay_alu instid0(VALU_DEP_1) | instskip(NEXT) | instid1(VALU_DEP_1)
	v_cmp_ne_u32_e64 s0, 0x7f800000, v8
                                        ; implicit-def: $vgpr8
	s_and_saveexec_b32 s10, s0
	s_delay_alu instid0(SALU_CYCLE_1)
	s_xor_b32 s0, exec_lo, s10
; %bb.74:                               ;   in Loop: Header=BB187_38 Depth=1
	v_bfe_u32 v8, v0, 16, 1
	s_delay_alu instid0(VALU_DEP_1)
	v_add3_u32 v8, v0, v8, 0x7fff
                                        ; implicit-def: $vgpr0
; %bb.75:                               ;   in Loop: Header=BB187_38 Depth=1
	s_and_not1_saveexec_b32 s10, s0
; %bb.76:                               ;   in Loop: Header=BB187_38 Depth=1
	v_and_b32_e32 v8, 0xffff, v0
	v_or_b32_e32 v71, 0x10000, v0
	s_delay_alu instid0(VALU_DEP_2) | instskip(NEXT) | instid1(VALU_DEP_1)
	v_cmp_eq_u32_e64 s0, 0, v8
	v_cndmask_b32_e64 v8, v71, v0, s0
; %bb.77:                               ;   in Loop: Header=BB187_38 Depth=1
	s_or_b32 exec_lo, exec_lo, s10
	v_and_b32_e32 v132, 0xffff0000, v70
	v_lshlrev_b32_e32 v0, 16, v9
	s_delay_alu instid0(VALU_DEP_1) | instskip(NEXT) | instid1(VALU_DEP_1)
	v_mul_f32_e32 v0, v132, v0
	v_and_b32_e32 v9, 0x7f800000, v0
	s_delay_alu instid0(VALU_DEP_1) | instskip(NEXT) | instid1(VALU_DEP_1)
	v_cmp_ne_u32_e64 s0, 0x7f800000, v9
                                        ; implicit-def: $vgpr9
	s_and_saveexec_b32 s10, s0
	s_delay_alu instid0(SALU_CYCLE_1)
	s_xor_b32 s0, exec_lo, s10
; %bb.78:                               ;   in Loop: Header=BB187_38 Depth=1
	v_bfe_u32 v9, v0, 16, 1
	s_delay_alu instid0(VALU_DEP_1)
	v_add3_u32 v9, v0, v9, 0x7fff
                                        ; implicit-def: $vgpr0
; %bb.79:                               ;   in Loop: Header=BB187_38 Depth=1
	s_and_not1_saveexec_b32 s10, s0
; %bb.80:                               ;   in Loop: Header=BB187_38 Depth=1
	v_and_b32_e32 v9, 0xffff, v0
	v_or_b32_e32 v70, 0x10000, v0
	s_delay_alu instid0(VALU_DEP_2) | instskip(NEXT) | instid1(VALU_DEP_1)
	v_cmp_eq_u32_e64 s0, 0, v9
	v_cndmask_b32_e64 v9, v70, v0, s0
; %bb.81:                               ;   in Loop: Header=BB187_38 Depth=1
	s_or_b32 exec_lo, exec_lo, s10
	v_and_b32_e32 v133, 0xffff0000, v39
	v_lshlrev_b32_e32 v0, 16, v1
                                        ; implicit-def: $vgpr70
	s_delay_alu instid0(VALU_DEP_1) | instskip(NEXT) | instid1(VALU_DEP_1)
	v_mul_f32_e32 v0, v133, v0
	v_and_b32_e32 v1, 0x7f800000, v0
	s_delay_alu instid0(VALU_DEP_1) | instskip(NEXT) | instid1(VALU_DEP_1)
	v_cmp_ne_u32_e64 s0, 0x7f800000, v1
	s_and_saveexec_b32 s10, s0
	s_delay_alu instid0(SALU_CYCLE_1)
	s_xor_b32 s0, exec_lo, s10
; %bb.82:                               ;   in Loop: Header=BB187_38 Depth=1
	v_bfe_u32 v1, v0, 16, 1
	s_delay_alu instid0(VALU_DEP_1)
	v_add3_u32 v70, v0, v1, 0x7fff
                                        ; implicit-def: $vgpr0
; %bb.83:                               ;   in Loop: Header=BB187_38 Depth=1
	s_and_not1_saveexec_b32 s10, s0
; %bb.84:                               ;   in Loop: Header=BB187_38 Depth=1
	v_and_b32_e32 v1, 0xffff, v0
	v_or_b32_e32 v39, 0x10000, v0
	s_delay_alu instid0(VALU_DEP_2) | instskip(NEXT) | instid1(VALU_DEP_1)
	v_cmp_eq_u32_e64 s0, 0, v1
	v_cndmask_b32_e64 v70, v39, v0, s0
; %bb.85:                               ;   in Loop: Header=BB187_38 Depth=1
	s_or_b32 exec_lo, exec_lo, s10
	v_and_b32_e32 v134, 0xffff0000, v25
	v_lshlrev_b32_e32 v0, 16, v80
                                        ; implicit-def: $vgpr71
	s_delay_alu instid0(VALU_DEP_1) | instskip(NEXT) | instid1(VALU_DEP_1)
	v_mul_f32_e32 v0, v134, v0
	v_and_b32_e32 v1, 0x7f800000, v0
	s_delay_alu instid0(VALU_DEP_1) | instskip(NEXT) | instid1(VALU_DEP_1)
	v_cmp_ne_u32_e64 s0, 0x7f800000, v1
	s_and_saveexec_b32 s10, s0
	s_delay_alu instid0(SALU_CYCLE_1)
	s_xor_b32 s0, exec_lo, s10
; %bb.86:                               ;   in Loop: Header=BB187_38 Depth=1
	v_bfe_u32 v1, v0, 16, 1
	s_delay_alu instid0(VALU_DEP_1)
	v_add3_u32 v71, v0, v1, 0x7fff
                                        ; implicit-def: $vgpr0
; %bb.87:                               ;   in Loop: Header=BB187_38 Depth=1
	s_and_not1_saveexec_b32 s10, s0
; %bb.88:                               ;   in Loop: Header=BB187_38 Depth=1
	v_and_b32_e32 v1, 0xffff, v0
	v_or_b32_e32 v25, 0x10000, v0
	s_delay_alu instid0(VALU_DEP_2) | instskip(NEXT) | instid1(VALU_DEP_1)
	v_cmp_eq_u32_e64 s0, 0, v1
	v_cndmask_b32_e64 v71, v25, v0, s0
; %bb.89:                               ;   in Loop: Header=BB187_38 Depth=1
	s_or_b32 exec_lo, exec_lo, s10
	v_and_b32_e32 v135, 0xffff0000, v21
	v_lshlrev_b32_e32 v0, 16, v2
                                        ; implicit-def: $vgpr80
	s_delay_alu instid0(VALU_DEP_1) | instskip(NEXT) | instid1(VALU_DEP_1)
	v_mul_f32_e32 v0, v135, v0
	v_and_b32_e32 v1, 0x7f800000, v0
	s_delay_alu instid0(VALU_DEP_1) | instskip(NEXT) | instid1(VALU_DEP_1)
	v_cmp_ne_u32_e64 s0, 0x7f800000, v1
	s_and_saveexec_b32 s10, s0
	s_delay_alu instid0(SALU_CYCLE_1)
	s_xor_b32 s0, exec_lo, s10
; %bb.90:                               ;   in Loop: Header=BB187_38 Depth=1
	v_bfe_u32 v1, v0, 16, 1
	s_delay_alu instid0(VALU_DEP_1)
	v_add3_u32 v80, v0, v1, 0x7fff
                                        ; implicit-def: $vgpr0
; %bb.91:                               ;   in Loop: Header=BB187_38 Depth=1
	s_and_not1_saveexec_b32 s10, s0
; %bb.92:                               ;   in Loop: Header=BB187_38 Depth=1
	v_and_b32_e32 v1, 0xffff, v0
	v_or_b32_e32 v2, 0x10000, v0
	s_delay_alu instid0(VALU_DEP_2) | instskip(NEXT) | instid1(VALU_DEP_1)
	v_cmp_eq_u32_e64 s0, 0, v1
	v_cndmask_b32_e64 v80, v2, v0, s0
; %bb.93:                               ;   in Loop: Header=BB187_38 Depth=1
	s_or_b32 exec_lo, exec_lo, s10
	v_and_b32_e32 v144, 0xffff0000, v12
	v_lshlrev_b32_e32 v0, 16, v81
                                        ; implicit-def: $vgpr81
	s_delay_alu instid0(VALU_DEP_1) | instskip(NEXT) | instid1(VALU_DEP_1)
	v_mul_f32_e32 v0, v144, v0
	v_and_b32_e32 v1, 0x7f800000, v0
	s_delay_alu instid0(VALU_DEP_1) | instskip(NEXT) | instid1(VALU_DEP_1)
	v_cmp_ne_u32_e64 s0, 0x7f800000, v1
	s_and_saveexec_b32 s10, s0
	s_delay_alu instid0(SALU_CYCLE_1)
	s_xor_b32 s0, exec_lo, s10
; %bb.94:                               ;   in Loop: Header=BB187_38 Depth=1
	v_bfe_u32 v1, v0, 16, 1
	s_delay_alu instid0(VALU_DEP_1)
	v_add3_u32 v81, v0, v1, 0x7fff
                                        ; implicit-def: $vgpr0
; %bb.95:                               ;   in Loop: Header=BB187_38 Depth=1
	s_and_not1_saveexec_b32 s10, s0
; %bb.96:                               ;   in Loop: Header=BB187_38 Depth=1
	v_and_b32_e32 v1, 0xffff, v0
	v_or_b32_e32 v2, 0x10000, v0
	s_delay_alu instid0(VALU_DEP_2) | instskip(NEXT) | instid1(VALU_DEP_1)
	v_cmp_eq_u32_e64 s0, 0, v1
	v_cndmask_b32_e64 v81, v2, v0, s0
; %bb.97:                               ;   in Loop: Header=BB187_38 Depth=1
	s_or_b32 exec_lo, exec_lo, s10
	v_and_b32_e32 v145, 0xffff0000, v5
	v_lshlrev_b32_e32 v0, 16, v3
                                        ; implicit-def: $vgpr82
	s_delay_alu instid0(VALU_DEP_1) | instskip(NEXT) | instid1(VALU_DEP_1)
	v_mul_f32_e32 v0, v145, v0
	v_and_b32_e32 v1, 0x7f800000, v0
	s_delay_alu instid0(VALU_DEP_1) | instskip(NEXT) | instid1(VALU_DEP_1)
	v_cmp_ne_u32_e64 s0, 0x7f800000, v1
	s_and_saveexec_b32 s10, s0
	s_delay_alu instid0(SALU_CYCLE_1)
	s_xor_b32 s0, exec_lo, s10
; %bb.98:                               ;   in Loop: Header=BB187_38 Depth=1
	v_bfe_u32 v1, v0, 16, 1
	s_delay_alu instid0(VALU_DEP_1)
	v_add3_u32 v82, v0, v1, 0x7fff
                                        ; implicit-def: $vgpr0
; %bb.99:                               ;   in Loop: Header=BB187_38 Depth=1
	s_and_not1_saveexec_b32 s10, s0
; %bb.100:                              ;   in Loop: Header=BB187_38 Depth=1
	v_and_b32_e32 v1, 0xffff, v0
	v_or_b32_e32 v2, 0x10000, v0
	s_delay_alu instid0(VALU_DEP_2) | instskip(NEXT) | instid1(VALU_DEP_1)
	v_cmp_eq_u32_e64 s0, 0, v1
	v_cndmask_b32_e64 v82, v2, v0, s0
; %bb.101:                              ;   in Loop: Header=BB187_38 Depth=1
	s_or_b32 exec_lo, exec_lo, s10
	v_and_b32_e32 v146, 0xffff0000, v4
	v_lshlrev_b32_e32 v0, 16, v83
                                        ; implicit-def: $vgpr83
	s_delay_alu instid0(VALU_DEP_1) | instskip(NEXT) | instid1(VALU_DEP_1)
	v_mul_f32_e32 v0, v146, v0
	v_and_b32_e32 v1, 0x7f800000, v0
	s_delay_alu instid0(VALU_DEP_1) | instskip(NEXT) | instid1(VALU_DEP_1)
	v_cmp_ne_u32_e64 s0, 0x7f800000, v1
	s_and_saveexec_b32 s10, s0
	s_delay_alu instid0(SALU_CYCLE_1)
	s_xor_b32 s0, exec_lo, s10
; %bb.102:                              ;   in Loop: Header=BB187_38 Depth=1
	v_bfe_u32 v1, v0, 16, 1
	s_delay_alu instid0(VALU_DEP_1)
	v_add3_u32 v83, v0, v1, 0x7fff
                                        ; implicit-def: $vgpr0
; %bb.103:                              ;   in Loop: Header=BB187_38 Depth=1
	s_and_not1_saveexec_b32 s10, s0
; %bb.104:                              ;   in Loop: Header=BB187_38 Depth=1
	v_and_b32_e32 v1, 0xffff, v0
	v_or_b32_e32 v2, 0x10000, v0
	s_delay_alu instid0(VALU_DEP_2) | instskip(NEXT) | instid1(VALU_DEP_1)
	v_cmp_eq_u32_e64 s0, 0, v1
	v_cndmask_b32_e64 v83, v2, v0, s0
; %bb.105:                              ;   in Loop: Header=BB187_38 Depth=1
	s_or_b32 exec_lo, exec_lo, s10
	flat_load_b128 v[0:3], v[6:7] offset:512
	s_waitcnt vmcnt(0) lgkmcnt(0)
	v_lshrrev_b32_e32 v21, 16, v0
	v_lshrrev_b32_e32 v12, 16, v1
	v_lshrrev_b32_e32 v5, 16, v2
	v_lshrrev_b32_e32 v4, 16, v3
	s_and_saveexec_b32 s10, vcc_lo
	s_cbranch_execz .LBB187_107
; %bb.106:                              ;   in Loop: Header=BB187_38 Depth=1
	v_cmp_lt_i32_e64 s0, v112, v86
	s_delay_alu instid0(VALU_DEP_1) | instskip(SKIP_1) | instid1(VALU_DEP_1)
	v_cndmask_b32_e64 v0, 0, v0, s0
	v_cmp_lt_i32_e64 s0, v128, v86
	v_cndmask_b32_e64 v21, 0, v21, s0
	v_cmp_lt_i32_e64 s0, v119, v86
	s_delay_alu instid0(VALU_DEP_1) | instskip(SKIP_1) | instid1(VALU_DEP_1)
	v_cndmask_b32_e64 v1, 0, v1, s0
	v_cmp_lt_i32_e64 s0, v118, v86
	v_cndmask_b32_e64 v12, 0, v12, s0
	;; [unrolled: 5-line block ×4, first 2 shown]
.LBB187_107:                            ;   in Loop: Header=BB187_38 Depth=1
	s_or_b32 exec_lo, exec_lo, s10
	v_lshlrev_b32_e32 v0, 16, v0
                                        ; implicit-def: $vgpr84
	s_delay_alu instid0(VALU_DEP_1) | instskip(NEXT) | instid1(VALU_DEP_1)
	v_mul_f32_e32 v0, v131, v0
	v_and_b32_e32 v25, 0x7f800000, v0
	s_delay_alu instid0(VALU_DEP_1) | instskip(NEXT) | instid1(VALU_DEP_1)
	v_cmp_ne_u32_e64 s0, 0x7f800000, v25
	s_and_saveexec_b32 s10, s0
	s_delay_alu instid0(SALU_CYCLE_1)
	s_xor_b32 s0, exec_lo, s10
; %bb.108:                              ;   in Loop: Header=BB187_38 Depth=1
	v_bfe_u32 v25, v0, 16, 1
	s_delay_alu instid0(VALU_DEP_1)
	v_add3_u32 v84, v0, v25, 0x7fff
                                        ; implicit-def: $vgpr0
; %bb.109:                              ;   in Loop: Header=BB187_38 Depth=1
	s_and_not1_saveexec_b32 s10, s0
; %bb.110:                              ;   in Loop: Header=BB187_38 Depth=1
	v_and_b32_e32 v25, 0xffff, v0
	v_or_b32_e32 v39, 0x10000, v0
	s_delay_alu instid0(VALU_DEP_2) | instskip(NEXT) | instid1(VALU_DEP_1)
	v_cmp_eq_u32_e64 s0, 0, v25
	v_cndmask_b32_e64 v84, v39, v0, s0
; %bb.111:                              ;   in Loop: Header=BB187_38 Depth=1
	s_or_b32 exec_lo, exec_lo, s10
	v_lshlrev_b32_e32 v0, 16, v21
                                        ; implicit-def: $vgpr85
	s_delay_alu instid0(VALU_DEP_1) | instskip(NEXT) | instid1(VALU_DEP_1)
	v_mul_f32_e32 v0, v132, v0
	v_and_b32_e32 v21, 0x7f800000, v0
	s_delay_alu instid0(VALU_DEP_1) | instskip(NEXT) | instid1(VALU_DEP_1)
	v_cmp_ne_u32_e64 s0, 0x7f800000, v21
	s_and_saveexec_b32 s10, s0
	s_delay_alu instid0(SALU_CYCLE_1)
	s_xor_b32 s0, exec_lo, s10
; %bb.112:                              ;   in Loop: Header=BB187_38 Depth=1
	v_bfe_u32 v21, v0, 16, 1
	s_delay_alu instid0(VALU_DEP_1)
	v_add3_u32 v85, v0, v21, 0x7fff
                                        ; implicit-def: $vgpr0
; %bb.113:                              ;   in Loop: Header=BB187_38 Depth=1
	s_and_not1_saveexec_b32 s10, s0
; %bb.114:                              ;   in Loop: Header=BB187_38 Depth=1
	v_and_b32_e32 v21, 0xffff, v0
	v_or_b32_e32 v25, 0x10000, v0
	s_delay_alu instid0(VALU_DEP_2) | instskip(NEXT) | instid1(VALU_DEP_1)
	v_cmp_eq_u32_e64 s0, 0, v21
	v_cndmask_b32_e64 v85, v25, v0, s0
; %bb.115:                              ;   in Loop: Header=BB187_38 Depth=1
	s_or_b32 exec_lo, exec_lo, s10
	v_lshlrev_b32_e32 v0, 16, v1
                                        ; implicit-def: $vgpr100
	s_delay_alu instid0(VALU_DEP_1) | instskip(NEXT) | instid1(VALU_DEP_1)
	v_mul_f32_e32 v0, v133, v0
	v_and_b32_e32 v1, 0x7f800000, v0
	s_delay_alu instid0(VALU_DEP_1) | instskip(NEXT) | instid1(VALU_DEP_1)
	v_cmp_ne_u32_e64 s0, 0x7f800000, v1
	s_and_saveexec_b32 s10, s0
	s_delay_alu instid0(SALU_CYCLE_1)
	s_xor_b32 s0, exec_lo, s10
; %bb.116:                              ;   in Loop: Header=BB187_38 Depth=1
	v_bfe_u32 v1, v0, 16, 1
	s_delay_alu instid0(VALU_DEP_1)
	v_add3_u32 v100, v0, v1, 0x7fff
                                        ; implicit-def: $vgpr0
; %bb.117:                              ;   in Loop: Header=BB187_38 Depth=1
	s_and_not1_saveexec_b32 s10, s0
; %bb.118:                              ;   in Loop: Header=BB187_38 Depth=1
	v_and_b32_e32 v1, 0xffff, v0
	v_or_b32_e32 v21, 0x10000, v0
	s_delay_alu instid0(VALU_DEP_2) | instskip(NEXT) | instid1(VALU_DEP_1)
	v_cmp_eq_u32_e64 s0, 0, v1
	v_cndmask_b32_e64 v100, v21, v0, s0
; %bb.119:                              ;   in Loop: Header=BB187_38 Depth=1
	s_or_b32 exec_lo, exec_lo, s10
	v_lshlrev_b32_e32 v0, 16, v12
                                        ; implicit-def: $vgpr101
	s_delay_alu instid0(VALU_DEP_1) | instskip(NEXT) | instid1(VALU_DEP_1)
	v_mul_f32_e32 v0, v134, v0
	v_and_b32_e32 v1, 0x7f800000, v0
	s_delay_alu instid0(VALU_DEP_1) | instskip(NEXT) | instid1(VALU_DEP_1)
	v_cmp_ne_u32_e64 s0, 0x7f800000, v1
	s_and_saveexec_b32 s10, s0
	s_delay_alu instid0(SALU_CYCLE_1)
	s_xor_b32 s0, exec_lo, s10
; %bb.120:                              ;   in Loop: Header=BB187_38 Depth=1
	v_bfe_u32 v1, v0, 16, 1
	s_delay_alu instid0(VALU_DEP_1)
	v_add3_u32 v101, v0, v1, 0x7fff
                                        ; implicit-def: $vgpr0
; %bb.121:                              ;   in Loop: Header=BB187_38 Depth=1
	s_and_not1_saveexec_b32 s10, s0
; %bb.122:                              ;   in Loop: Header=BB187_38 Depth=1
	v_and_b32_e32 v1, 0xffff, v0
	v_or_b32_e32 v12, 0x10000, v0
	s_delay_alu instid0(VALU_DEP_2) | instskip(NEXT) | instid1(VALU_DEP_1)
	v_cmp_eq_u32_e64 s0, 0, v1
	v_cndmask_b32_e64 v101, v12, v0, s0
; %bb.123:                              ;   in Loop: Header=BB187_38 Depth=1
	s_or_b32 exec_lo, exec_lo, s10
	v_lshlrev_b32_e32 v0, 16, v2
                                        ; implicit-def: $vgpr102
	s_delay_alu instid0(VALU_DEP_1) | instskip(NEXT) | instid1(VALU_DEP_1)
	v_mul_f32_e32 v0, v135, v0
	v_and_b32_e32 v1, 0x7f800000, v0
	s_delay_alu instid0(VALU_DEP_1) | instskip(NEXT) | instid1(VALU_DEP_1)
	v_cmp_ne_u32_e64 s0, 0x7f800000, v1
	s_and_saveexec_b32 s10, s0
	s_delay_alu instid0(SALU_CYCLE_1)
	s_xor_b32 s0, exec_lo, s10
; %bb.124:                              ;   in Loop: Header=BB187_38 Depth=1
	v_bfe_u32 v1, v0, 16, 1
	s_delay_alu instid0(VALU_DEP_1)
	v_add3_u32 v102, v0, v1, 0x7fff
                                        ; implicit-def: $vgpr0
; %bb.125:                              ;   in Loop: Header=BB187_38 Depth=1
	s_and_not1_saveexec_b32 s10, s0
; %bb.126:                              ;   in Loop: Header=BB187_38 Depth=1
	v_and_b32_e32 v1, 0xffff, v0
	v_or_b32_e32 v2, 0x10000, v0
	s_delay_alu instid0(VALU_DEP_2) | instskip(NEXT) | instid1(VALU_DEP_1)
	v_cmp_eq_u32_e64 s0, 0, v1
	v_cndmask_b32_e64 v102, v2, v0, s0
; %bb.127:                              ;   in Loop: Header=BB187_38 Depth=1
	s_or_b32 exec_lo, exec_lo, s10
	v_lshlrev_b32_e32 v0, 16, v5
                                        ; implicit-def: $vgpr103
	s_delay_alu instid0(VALU_DEP_1) | instskip(NEXT) | instid1(VALU_DEP_1)
	v_mul_f32_e32 v0, v144, v0
	v_and_b32_e32 v1, 0x7f800000, v0
	s_delay_alu instid0(VALU_DEP_1) | instskip(NEXT) | instid1(VALU_DEP_1)
	v_cmp_ne_u32_e64 s0, 0x7f800000, v1
	s_and_saveexec_b32 s10, s0
	s_delay_alu instid0(SALU_CYCLE_1)
	s_xor_b32 s0, exec_lo, s10
; %bb.128:                              ;   in Loop: Header=BB187_38 Depth=1
	v_bfe_u32 v1, v0, 16, 1
	s_delay_alu instid0(VALU_DEP_1)
	v_add3_u32 v103, v0, v1, 0x7fff
                                        ; implicit-def: $vgpr0
; %bb.129:                              ;   in Loop: Header=BB187_38 Depth=1
	s_and_not1_saveexec_b32 s10, s0
; %bb.130:                              ;   in Loop: Header=BB187_38 Depth=1
	v_and_b32_e32 v1, 0xffff, v0
	v_or_b32_e32 v2, 0x10000, v0
	s_delay_alu instid0(VALU_DEP_2) | instskip(NEXT) | instid1(VALU_DEP_1)
	v_cmp_eq_u32_e64 s0, 0, v1
	v_cndmask_b32_e64 v103, v2, v0, s0
; %bb.131:                              ;   in Loop: Header=BB187_38 Depth=1
	s_or_b32 exec_lo, exec_lo, s10
	v_lshlrev_b32_e32 v0, 16, v3
                                        ; implicit-def: $vgpr114
	s_delay_alu instid0(VALU_DEP_1) | instskip(NEXT) | instid1(VALU_DEP_1)
	v_mul_f32_e32 v0, v145, v0
	v_and_b32_e32 v1, 0x7f800000, v0
	s_delay_alu instid0(VALU_DEP_1) | instskip(NEXT) | instid1(VALU_DEP_1)
	v_cmp_ne_u32_e64 s0, 0x7f800000, v1
	s_and_saveexec_b32 s10, s0
	s_delay_alu instid0(SALU_CYCLE_1)
	s_xor_b32 s0, exec_lo, s10
; %bb.132:                              ;   in Loop: Header=BB187_38 Depth=1
	v_bfe_u32 v1, v0, 16, 1
	s_delay_alu instid0(VALU_DEP_1)
	v_add3_u32 v114, v0, v1, 0x7fff
                                        ; implicit-def: $vgpr0
; %bb.133:                              ;   in Loop: Header=BB187_38 Depth=1
	s_and_not1_saveexec_b32 s10, s0
; %bb.134:                              ;   in Loop: Header=BB187_38 Depth=1
	v_and_b32_e32 v1, 0xffff, v0
	v_or_b32_e32 v2, 0x10000, v0
	s_delay_alu instid0(VALU_DEP_2) | instskip(NEXT) | instid1(VALU_DEP_1)
	v_cmp_eq_u32_e64 s0, 0, v1
	v_cndmask_b32_e64 v114, v2, v0, s0
; %bb.135:                              ;   in Loop: Header=BB187_38 Depth=1
	s_or_b32 exec_lo, exec_lo, s10
	v_lshlrev_b32_e32 v0, 16, v4
                                        ; implicit-def: $vgpr147
	s_delay_alu instid0(VALU_DEP_1) | instskip(NEXT) | instid1(VALU_DEP_1)
	v_mul_f32_e32 v0, v146, v0
	v_and_b32_e32 v1, 0x7f800000, v0
	s_delay_alu instid0(VALU_DEP_1) | instskip(NEXT) | instid1(VALU_DEP_1)
	v_cmp_ne_u32_e64 s0, 0x7f800000, v1
	s_and_saveexec_b32 s10, s0
	s_delay_alu instid0(SALU_CYCLE_1)
	s_xor_b32 s0, exec_lo, s10
; %bb.136:                              ;   in Loop: Header=BB187_38 Depth=1
	v_bfe_u32 v1, v0, 16, 1
	s_delay_alu instid0(VALU_DEP_1)
	v_add3_u32 v147, v0, v1, 0x7fff
                                        ; implicit-def: $vgpr0
; %bb.137:                              ;   in Loop: Header=BB187_38 Depth=1
	s_and_not1_saveexec_b32 s10, s0
; %bb.138:                              ;   in Loop: Header=BB187_38 Depth=1
	v_and_b32_e32 v1, 0xffff, v0
	v_or_b32_e32 v2, 0x10000, v0
	s_delay_alu instid0(VALU_DEP_2) | instskip(NEXT) | instid1(VALU_DEP_1)
	v_cmp_eq_u32_e64 s0, 0, v1
	v_cndmask_b32_e64 v147, v2, v0, s0
; %bb.139:                              ;   in Loop: Header=BB187_38 Depth=1
	s_or_b32 exec_lo, exec_lo, s10
	flat_load_b128 v[0:3], v[6:7] offset:1024
	s_waitcnt vmcnt(0) lgkmcnt(0)
	v_lshrrev_b32_e32 v21, 16, v0
	v_lshrrev_b32_e32 v12, 16, v1
	;; [unrolled: 1-line block ×4, first 2 shown]
	s_and_saveexec_b32 s10, vcc_lo
	s_cbranch_execz .LBB187_141
; %bb.140:                              ;   in Loop: Header=BB187_38 Depth=1
	v_cmp_lt_i32_e64 s0, v112, v86
	s_delay_alu instid0(VALU_DEP_1) | instskip(SKIP_1) | instid1(VALU_DEP_1)
	v_cndmask_b32_e64 v0, 0, v0, s0
	v_cmp_lt_i32_e64 s0, v128, v86
	v_cndmask_b32_e64 v21, 0, v21, s0
	v_cmp_lt_i32_e64 s0, v119, v86
	s_delay_alu instid0(VALU_DEP_1) | instskip(SKIP_1) | instid1(VALU_DEP_1)
	v_cndmask_b32_e64 v1, 0, v1, s0
	v_cmp_lt_i32_e64 s0, v118, v86
	v_cndmask_b32_e64 v12, 0, v12, s0
	;; [unrolled: 5-line block ×4, first 2 shown]
.LBB187_141:                            ;   in Loop: Header=BB187_38 Depth=1
	s_or_b32 exec_lo, exec_lo, s10
	v_lshlrev_b32_e32 v0, 16, v0
                                        ; implicit-def: $vgpr148
	s_delay_alu instid0(VALU_DEP_1) | instskip(NEXT) | instid1(VALU_DEP_1)
	v_mul_f32_e32 v0, v131, v0
	v_and_b32_e32 v25, 0x7f800000, v0
	s_delay_alu instid0(VALU_DEP_1) | instskip(NEXT) | instid1(VALU_DEP_1)
	v_cmp_ne_u32_e64 s0, 0x7f800000, v25
	s_and_saveexec_b32 s10, s0
	s_delay_alu instid0(SALU_CYCLE_1)
	s_xor_b32 s0, exec_lo, s10
; %bb.142:                              ;   in Loop: Header=BB187_38 Depth=1
	v_bfe_u32 v25, v0, 16, 1
	s_delay_alu instid0(VALU_DEP_1)
	v_add3_u32 v148, v0, v25, 0x7fff
                                        ; implicit-def: $vgpr0
; %bb.143:                              ;   in Loop: Header=BB187_38 Depth=1
	s_and_not1_saveexec_b32 s10, s0
; %bb.144:                              ;   in Loop: Header=BB187_38 Depth=1
	v_and_b32_e32 v25, 0xffff, v0
	v_or_b32_e32 v39, 0x10000, v0
	s_delay_alu instid0(VALU_DEP_2) | instskip(NEXT) | instid1(VALU_DEP_1)
	v_cmp_eq_u32_e64 s0, 0, v25
	v_cndmask_b32_e64 v148, v39, v0, s0
; %bb.145:                              ;   in Loop: Header=BB187_38 Depth=1
	s_or_b32 exec_lo, exec_lo, s10
	v_lshlrev_b32_e32 v0, 16, v21
                                        ; implicit-def: $vgpr149
	s_delay_alu instid0(VALU_DEP_1) | instskip(NEXT) | instid1(VALU_DEP_1)
	v_mul_f32_e32 v0, v132, v0
	v_and_b32_e32 v21, 0x7f800000, v0
	s_delay_alu instid0(VALU_DEP_1) | instskip(NEXT) | instid1(VALU_DEP_1)
	v_cmp_ne_u32_e64 s0, 0x7f800000, v21
	s_and_saveexec_b32 s10, s0
	s_delay_alu instid0(SALU_CYCLE_1)
	s_xor_b32 s0, exec_lo, s10
; %bb.146:                              ;   in Loop: Header=BB187_38 Depth=1
	v_bfe_u32 v21, v0, 16, 1
	s_delay_alu instid0(VALU_DEP_1)
	v_add3_u32 v149, v0, v21, 0x7fff
                                        ; implicit-def: $vgpr0
; %bb.147:                              ;   in Loop: Header=BB187_38 Depth=1
	s_and_not1_saveexec_b32 s10, s0
; %bb.148:                              ;   in Loop: Header=BB187_38 Depth=1
	v_and_b32_e32 v21, 0xffff, v0
	v_or_b32_e32 v25, 0x10000, v0
	s_delay_alu instid0(VALU_DEP_2) | instskip(NEXT) | instid1(VALU_DEP_1)
	v_cmp_eq_u32_e64 s0, 0, v21
	v_cndmask_b32_e64 v149, v25, v0, s0
; %bb.149:                              ;   in Loop: Header=BB187_38 Depth=1
	s_or_b32 exec_lo, exec_lo, s10
	v_lshlrev_b32_e32 v0, 16, v1
                                        ; implicit-def: $vgpr150
	s_delay_alu instid0(VALU_DEP_1) | instskip(NEXT) | instid1(VALU_DEP_1)
	v_mul_f32_e32 v0, v133, v0
	v_and_b32_e32 v1, 0x7f800000, v0
	s_delay_alu instid0(VALU_DEP_1) | instskip(NEXT) | instid1(VALU_DEP_1)
	v_cmp_ne_u32_e64 s0, 0x7f800000, v1
	s_and_saveexec_b32 s10, s0
	s_delay_alu instid0(SALU_CYCLE_1)
	s_xor_b32 s0, exec_lo, s10
; %bb.150:                              ;   in Loop: Header=BB187_38 Depth=1
	v_bfe_u32 v1, v0, 16, 1
	s_delay_alu instid0(VALU_DEP_1)
	v_add3_u32 v150, v0, v1, 0x7fff
                                        ; implicit-def: $vgpr0
; %bb.151:                              ;   in Loop: Header=BB187_38 Depth=1
	s_and_not1_saveexec_b32 s10, s0
; %bb.152:                              ;   in Loop: Header=BB187_38 Depth=1
	v_and_b32_e32 v1, 0xffff, v0
	v_or_b32_e32 v21, 0x10000, v0
	s_delay_alu instid0(VALU_DEP_2) | instskip(NEXT) | instid1(VALU_DEP_1)
	v_cmp_eq_u32_e64 s0, 0, v1
	v_cndmask_b32_e64 v150, v21, v0, s0
; %bb.153:                              ;   in Loop: Header=BB187_38 Depth=1
	s_or_b32 exec_lo, exec_lo, s10
	v_lshlrev_b32_e32 v0, 16, v12
                                        ; implicit-def: $vgpr151
	s_delay_alu instid0(VALU_DEP_1) | instskip(NEXT) | instid1(VALU_DEP_1)
	v_mul_f32_e32 v0, v134, v0
	v_and_b32_e32 v1, 0x7f800000, v0
	s_delay_alu instid0(VALU_DEP_1) | instskip(NEXT) | instid1(VALU_DEP_1)
	v_cmp_ne_u32_e64 s0, 0x7f800000, v1
	s_and_saveexec_b32 s10, s0
	s_delay_alu instid0(SALU_CYCLE_1)
	s_xor_b32 s0, exec_lo, s10
; %bb.154:                              ;   in Loop: Header=BB187_38 Depth=1
	v_bfe_u32 v1, v0, 16, 1
	s_delay_alu instid0(VALU_DEP_1)
	v_add3_u32 v151, v0, v1, 0x7fff
                                        ; implicit-def: $vgpr0
; %bb.155:                              ;   in Loop: Header=BB187_38 Depth=1
	s_and_not1_saveexec_b32 s10, s0
; %bb.156:                              ;   in Loop: Header=BB187_38 Depth=1
	v_and_b32_e32 v1, 0xffff, v0
	v_or_b32_e32 v12, 0x10000, v0
	s_delay_alu instid0(VALU_DEP_2) | instskip(NEXT) | instid1(VALU_DEP_1)
	v_cmp_eq_u32_e64 s0, 0, v1
	v_cndmask_b32_e64 v151, v12, v0, s0
; %bb.157:                              ;   in Loop: Header=BB187_38 Depth=1
	s_or_b32 exec_lo, exec_lo, s10
	v_lshlrev_b32_e32 v0, 16, v2
                                        ; implicit-def: $vgpr160
	s_delay_alu instid0(VALU_DEP_1) | instskip(NEXT) | instid1(VALU_DEP_1)
	v_mul_f32_e32 v0, v135, v0
	v_and_b32_e32 v1, 0x7f800000, v0
	s_delay_alu instid0(VALU_DEP_1) | instskip(NEXT) | instid1(VALU_DEP_1)
	v_cmp_ne_u32_e64 s0, 0x7f800000, v1
	s_and_saveexec_b32 s10, s0
	s_delay_alu instid0(SALU_CYCLE_1)
	s_xor_b32 s0, exec_lo, s10
; %bb.158:                              ;   in Loop: Header=BB187_38 Depth=1
	v_bfe_u32 v1, v0, 16, 1
	s_delay_alu instid0(VALU_DEP_1)
	v_add3_u32 v160, v0, v1, 0x7fff
                                        ; implicit-def: $vgpr0
; %bb.159:                              ;   in Loop: Header=BB187_38 Depth=1
	s_and_not1_saveexec_b32 s10, s0
; %bb.160:                              ;   in Loop: Header=BB187_38 Depth=1
	v_and_b32_e32 v1, 0xffff, v0
	v_or_b32_e32 v2, 0x10000, v0
	s_delay_alu instid0(VALU_DEP_2) | instskip(NEXT) | instid1(VALU_DEP_1)
	v_cmp_eq_u32_e64 s0, 0, v1
	v_cndmask_b32_e64 v160, v2, v0, s0
; %bb.161:                              ;   in Loop: Header=BB187_38 Depth=1
	s_or_b32 exec_lo, exec_lo, s10
	v_lshlrev_b32_e32 v0, 16, v5
                                        ; implicit-def: $vgpr161
	s_delay_alu instid0(VALU_DEP_1) | instskip(NEXT) | instid1(VALU_DEP_1)
	v_mul_f32_e32 v0, v144, v0
	v_and_b32_e32 v1, 0x7f800000, v0
	s_delay_alu instid0(VALU_DEP_1) | instskip(NEXT) | instid1(VALU_DEP_1)
	v_cmp_ne_u32_e64 s0, 0x7f800000, v1
	s_and_saveexec_b32 s10, s0
	s_delay_alu instid0(SALU_CYCLE_1)
	s_xor_b32 s0, exec_lo, s10
; %bb.162:                              ;   in Loop: Header=BB187_38 Depth=1
	v_bfe_u32 v1, v0, 16, 1
	s_delay_alu instid0(VALU_DEP_1)
	v_add3_u32 v161, v0, v1, 0x7fff
                                        ; implicit-def: $vgpr0
; %bb.163:                              ;   in Loop: Header=BB187_38 Depth=1
	s_and_not1_saveexec_b32 s10, s0
; %bb.164:                              ;   in Loop: Header=BB187_38 Depth=1
	v_and_b32_e32 v1, 0xffff, v0
	v_or_b32_e32 v2, 0x10000, v0
	s_delay_alu instid0(VALU_DEP_2) | instskip(NEXT) | instid1(VALU_DEP_1)
	v_cmp_eq_u32_e64 s0, 0, v1
	v_cndmask_b32_e64 v161, v2, v0, s0
; %bb.165:                              ;   in Loop: Header=BB187_38 Depth=1
	s_or_b32 exec_lo, exec_lo, s10
	v_lshlrev_b32_e32 v0, 16, v3
                                        ; implicit-def: $vgpr162
	s_delay_alu instid0(VALU_DEP_1) | instskip(NEXT) | instid1(VALU_DEP_1)
	v_mul_f32_e32 v0, v145, v0
	v_and_b32_e32 v1, 0x7f800000, v0
	s_delay_alu instid0(VALU_DEP_1) | instskip(NEXT) | instid1(VALU_DEP_1)
	v_cmp_ne_u32_e64 s0, 0x7f800000, v1
	s_and_saveexec_b32 s10, s0
	s_delay_alu instid0(SALU_CYCLE_1)
	s_xor_b32 s0, exec_lo, s10
; %bb.166:                              ;   in Loop: Header=BB187_38 Depth=1
	v_bfe_u32 v1, v0, 16, 1
	s_delay_alu instid0(VALU_DEP_1)
	v_add3_u32 v162, v0, v1, 0x7fff
                                        ; implicit-def: $vgpr0
; %bb.167:                              ;   in Loop: Header=BB187_38 Depth=1
	s_and_not1_saveexec_b32 s10, s0
; %bb.168:                              ;   in Loop: Header=BB187_38 Depth=1
	v_and_b32_e32 v1, 0xffff, v0
	v_or_b32_e32 v2, 0x10000, v0
	s_delay_alu instid0(VALU_DEP_2) | instskip(NEXT) | instid1(VALU_DEP_1)
	v_cmp_eq_u32_e64 s0, 0, v1
	v_cndmask_b32_e64 v162, v2, v0, s0
; %bb.169:                              ;   in Loop: Header=BB187_38 Depth=1
	s_or_b32 exec_lo, exec_lo, s10
	v_lshlrev_b32_e32 v0, 16, v4
                                        ; implicit-def: $vgpr163
	s_delay_alu instid0(VALU_DEP_1) | instskip(NEXT) | instid1(VALU_DEP_1)
	v_mul_f32_e32 v0, v146, v0
	v_and_b32_e32 v1, 0x7f800000, v0
	s_delay_alu instid0(VALU_DEP_1) | instskip(NEXT) | instid1(VALU_DEP_1)
	v_cmp_ne_u32_e64 s0, 0x7f800000, v1
	s_and_saveexec_b32 s10, s0
	s_delay_alu instid0(SALU_CYCLE_1)
	s_xor_b32 s0, exec_lo, s10
; %bb.170:                              ;   in Loop: Header=BB187_38 Depth=1
	v_bfe_u32 v1, v0, 16, 1
	s_delay_alu instid0(VALU_DEP_1)
	v_add3_u32 v163, v0, v1, 0x7fff
                                        ; implicit-def: $vgpr0
; %bb.171:                              ;   in Loop: Header=BB187_38 Depth=1
	s_and_not1_saveexec_b32 s10, s0
; %bb.172:                              ;   in Loop: Header=BB187_38 Depth=1
	v_and_b32_e32 v1, 0xffff, v0
	v_or_b32_e32 v2, 0x10000, v0
	s_delay_alu instid0(VALU_DEP_2) | instskip(NEXT) | instid1(VALU_DEP_1)
	v_cmp_eq_u32_e64 s0, 0, v1
	v_cndmask_b32_e64 v163, v2, v0, s0
; %bb.173:                              ;   in Loop: Header=BB187_38 Depth=1
	s_or_b32 exec_lo, exec_lo, s10
	flat_load_b128 v[0:3], v[6:7] offset:1536
	s_waitcnt vmcnt(0) lgkmcnt(0)
	v_lshrrev_b32_e32 v21, 16, v0
	v_lshrrev_b32_e32 v12, 16, v1
	;; [unrolled: 1-line block ×4, first 2 shown]
	s_and_saveexec_b32 s10, vcc_lo
	s_cbranch_execz .LBB187_175
; %bb.174:                              ;   in Loop: Header=BB187_38 Depth=1
	v_cmp_lt_i32_e64 s0, v112, v86
	s_delay_alu instid0(VALU_DEP_1) | instskip(SKIP_1) | instid1(VALU_DEP_1)
	v_cndmask_b32_e64 v0, 0, v0, s0
	v_cmp_lt_i32_e64 s0, v128, v86
	v_cndmask_b32_e64 v21, 0, v21, s0
	v_cmp_lt_i32_e64 s0, v119, v86
	s_delay_alu instid0(VALU_DEP_1) | instskip(SKIP_1) | instid1(VALU_DEP_1)
	v_cndmask_b32_e64 v1, 0, v1, s0
	v_cmp_lt_i32_e64 s0, v118, v86
	v_cndmask_b32_e64 v12, 0, v12, s0
	;; [unrolled: 5-line block ×4, first 2 shown]
.LBB187_175:                            ;   in Loop: Header=BB187_38 Depth=1
	s_or_b32 exec_lo, exec_lo, s10
	v_lshlrev_b32_e32 v0, 16, v0
                                        ; implicit-def: $vgpr164
	s_delay_alu instid0(VALU_DEP_1) | instskip(NEXT) | instid1(VALU_DEP_1)
	v_mul_f32_e32 v0, v131, v0
	v_and_b32_e32 v25, 0x7f800000, v0
	s_delay_alu instid0(VALU_DEP_1) | instskip(NEXT) | instid1(VALU_DEP_1)
	v_cmp_ne_u32_e64 s0, 0x7f800000, v25
	s_and_saveexec_b32 s10, s0
	s_delay_alu instid0(SALU_CYCLE_1)
	s_xor_b32 s0, exec_lo, s10
; %bb.176:                              ;   in Loop: Header=BB187_38 Depth=1
	v_bfe_u32 v25, v0, 16, 1
	s_delay_alu instid0(VALU_DEP_1)
	v_add3_u32 v164, v0, v25, 0x7fff
                                        ; implicit-def: $vgpr0
; %bb.177:                              ;   in Loop: Header=BB187_38 Depth=1
	s_and_not1_saveexec_b32 s10, s0
; %bb.178:                              ;   in Loop: Header=BB187_38 Depth=1
	v_and_b32_e32 v25, 0xffff, v0
	v_or_b32_e32 v39, 0x10000, v0
	s_delay_alu instid0(VALU_DEP_2) | instskip(NEXT) | instid1(VALU_DEP_1)
	v_cmp_eq_u32_e64 s0, 0, v25
	v_cndmask_b32_e64 v164, v39, v0, s0
; %bb.179:                              ;   in Loop: Header=BB187_38 Depth=1
	s_or_b32 exec_lo, exec_lo, s10
	v_lshlrev_b32_e32 v0, 16, v21
                                        ; implicit-def: $vgpr165
	s_delay_alu instid0(VALU_DEP_1) | instskip(NEXT) | instid1(VALU_DEP_1)
	v_mul_f32_e32 v0, v132, v0
	v_and_b32_e32 v21, 0x7f800000, v0
	s_delay_alu instid0(VALU_DEP_1) | instskip(NEXT) | instid1(VALU_DEP_1)
	v_cmp_ne_u32_e64 s0, 0x7f800000, v21
	s_and_saveexec_b32 s10, s0
	s_delay_alu instid0(SALU_CYCLE_1)
	s_xor_b32 s0, exec_lo, s10
; %bb.180:                              ;   in Loop: Header=BB187_38 Depth=1
	v_bfe_u32 v21, v0, 16, 1
	s_delay_alu instid0(VALU_DEP_1)
	v_add3_u32 v165, v0, v21, 0x7fff
                                        ; implicit-def: $vgpr0
; %bb.181:                              ;   in Loop: Header=BB187_38 Depth=1
	s_and_not1_saveexec_b32 s10, s0
; %bb.182:                              ;   in Loop: Header=BB187_38 Depth=1
	v_and_b32_e32 v21, 0xffff, v0
	v_or_b32_e32 v25, 0x10000, v0
	s_delay_alu instid0(VALU_DEP_2) | instskip(NEXT) | instid1(VALU_DEP_1)
	v_cmp_eq_u32_e64 s0, 0, v21
	v_cndmask_b32_e64 v165, v25, v0, s0
; %bb.183:                              ;   in Loop: Header=BB187_38 Depth=1
	s_or_b32 exec_lo, exec_lo, s10
	v_lshlrev_b32_e32 v0, 16, v1
                                        ; implicit-def: $vgpr166
	s_delay_alu instid0(VALU_DEP_1) | instskip(NEXT) | instid1(VALU_DEP_1)
	v_mul_f32_e32 v0, v133, v0
	v_and_b32_e32 v1, 0x7f800000, v0
	s_delay_alu instid0(VALU_DEP_1) | instskip(NEXT) | instid1(VALU_DEP_1)
	v_cmp_ne_u32_e64 s0, 0x7f800000, v1
	s_and_saveexec_b32 s10, s0
	s_delay_alu instid0(SALU_CYCLE_1)
	s_xor_b32 s0, exec_lo, s10
; %bb.184:                              ;   in Loop: Header=BB187_38 Depth=1
	v_bfe_u32 v1, v0, 16, 1
	s_delay_alu instid0(VALU_DEP_1)
	v_add3_u32 v166, v0, v1, 0x7fff
                                        ; implicit-def: $vgpr0
; %bb.185:                              ;   in Loop: Header=BB187_38 Depth=1
	s_and_not1_saveexec_b32 s10, s0
; %bb.186:                              ;   in Loop: Header=BB187_38 Depth=1
	v_and_b32_e32 v1, 0xffff, v0
	v_or_b32_e32 v21, 0x10000, v0
	s_delay_alu instid0(VALU_DEP_2) | instskip(NEXT) | instid1(VALU_DEP_1)
	v_cmp_eq_u32_e64 s0, 0, v1
	v_cndmask_b32_e64 v166, v21, v0, s0
; %bb.187:                              ;   in Loop: Header=BB187_38 Depth=1
	s_or_b32 exec_lo, exec_lo, s10
	v_lshlrev_b32_e32 v0, 16, v12
                                        ; implicit-def: $vgpr167
	s_delay_alu instid0(VALU_DEP_1) | instskip(NEXT) | instid1(VALU_DEP_1)
	v_mul_f32_e32 v0, v134, v0
	v_and_b32_e32 v1, 0x7f800000, v0
	s_delay_alu instid0(VALU_DEP_1) | instskip(NEXT) | instid1(VALU_DEP_1)
	v_cmp_ne_u32_e64 s0, 0x7f800000, v1
	s_and_saveexec_b32 s10, s0
	s_delay_alu instid0(SALU_CYCLE_1)
	s_xor_b32 s0, exec_lo, s10
; %bb.188:                              ;   in Loop: Header=BB187_38 Depth=1
	v_bfe_u32 v1, v0, 16, 1
	s_delay_alu instid0(VALU_DEP_1)
	v_add3_u32 v167, v0, v1, 0x7fff
                                        ; implicit-def: $vgpr0
; %bb.189:                              ;   in Loop: Header=BB187_38 Depth=1
	s_and_not1_saveexec_b32 s10, s0
; %bb.190:                              ;   in Loop: Header=BB187_38 Depth=1
	v_and_b32_e32 v1, 0xffff, v0
	v_or_b32_e32 v12, 0x10000, v0
	s_delay_alu instid0(VALU_DEP_2) | instskip(NEXT) | instid1(VALU_DEP_1)
	v_cmp_eq_u32_e64 s0, 0, v1
	v_cndmask_b32_e64 v167, v12, v0, s0
; %bb.191:                              ;   in Loop: Header=BB187_38 Depth=1
	s_or_b32 exec_lo, exec_lo, s10
	v_lshlrev_b32_e32 v0, 16, v2
                                        ; implicit-def: $vgpr176
	s_delay_alu instid0(VALU_DEP_1) | instskip(NEXT) | instid1(VALU_DEP_1)
	v_mul_f32_e32 v0, v135, v0
	v_and_b32_e32 v1, 0x7f800000, v0
	s_delay_alu instid0(VALU_DEP_1) | instskip(NEXT) | instid1(VALU_DEP_1)
	v_cmp_ne_u32_e64 s0, 0x7f800000, v1
	s_and_saveexec_b32 s10, s0
	s_delay_alu instid0(SALU_CYCLE_1)
	s_xor_b32 s0, exec_lo, s10
; %bb.192:                              ;   in Loop: Header=BB187_38 Depth=1
	v_bfe_u32 v1, v0, 16, 1
	s_delay_alu instid0(VALU_DEP_1)
	v_add3_u32 v176, v0, v1, 0x7fff
                                        ; implicit-def: $vgpr0
; %bb.193:                              ;   in Loop: Header=BB187_38 Depth=1
	s_and_not1_saveexec_b32 s10, s0
; %bb.194:                              ;   in Loop: Header=BB187_38 Depth=1
	v_and_b32_e32 v1, 0xffff, v0
	v_or_b32_e32 v2, 0x10000, v0
	s_delay_alu instid0(VALU_DEP_2) | instskip(NEXT) | instid1(VALU_DEP_1)
	v_cmp_eq_u32_e64 s0, 0, v1
	v_cndmask_b32_e64 v176, v2, v0, s0
; %bb.195:                              ;   in Loop: Header=BB187_38 Depth=1
	s_or_b32 exec_lo, exec_lo, s10
	v_lshlrev_b32_e32 v0, 16, v5
                                        ; implicit-def: $vgpr177
	s_delay_alu instid0(VALU_DEP_1) | instskip(NEXT) | instid1(VALU_DEP_1)
	v_mul_f32_e32 v0, v144, v0
	v_and_b32_e32 v1, 0x7f800000, v0
	s_delay_alu instid0(VALU_DEP_1) | instskip(NEXT) | instid1(VALU_DEP_1)
	v_cmp_ne_u32_e64 s0, 0x7f800000, v1
	s_and_saveexec_b32 s10, s0
	s_delay_alu instid0(SALU_CYCLE_1)
	s_xor_b32 s0, exec_lo, s10
; %bb.196:                              ;   in Loop: Header=BB187_38 Depth=1
	v_bfe_u32 v1, v0, 16, 1
	s_delay_alu instid0(VALU_DEP_1)
	v_add3_u32 v177, v0, v1, 0x7fff
                                        ; implicit-def: $vgpr0
; %bb.197:                              ;   in Loop: Header=BB187_38 Depth=1
	s_and_not1_saveexec_b32 s10, s0
; %bb.198:                              ;   in Loop: Header=BB187_38 Depth=1
	v_and_b32_e32 v1, 0xffff, v0
	v_or_b32_e32 v2, 0x10000, v0
	s_delay_alu instid0(VALU_DEP_2) | instskip(NEXT) | instid1(VALU_DEP_1)
	v_cmp_eq_u32_e64 s0, 0, v1
	v_cndmask_b32_e64 v177, v2, v0, s0
; %bb.199:                              ;   in Loop: Header=BB187_38 Depth=1
	s_or_b32 exec_lo, exec_lo, s10
	v_lshlrev_b32_e32 v0, 16, v3
                                        ; implicit-def: $vgpr178
	s_delay_alu instid0(VALU_DEP_1) | instskip(NEXT) | instid1(VALU_DEP_1)
	v_mul_f32_e32 v0, v145, v0
	v_and_b32_e32 v1, 0x7f800000, v0
	s_delay_alu instid0(VALU_DEP_1) | instskip(NEXT) | instid1(VALU_DEP_1)
	v_cmp_ne_u32_e64 s0, 0x7f800000, v1
	s_and_saveexec_b32 s10, s0
	s_delay_alu instid0(SALU_CYCLE_1)
	s_xor_b32 s0, exec_lo, s10
; %bb.200:                              ;   in Loop: Header=BB187_38 Depth=1
	v_bfe_u32 v1, v0, 16, 1
	s_delay_alu instid0(VALU_DEP_1)
	v_add3_u32 v178, v0, v1, 0x7fff
                                        ; implicit-def: $vgpr0
; %bb.201:                              ;   in Loop: Header=BB187_38 Depth=1
	s_and_not1_saveexec_b32 s10, s0
; %bb.202:                              ;   in Loop: Header=BB187_38 Depth=1
	v_and_b32_e32 v1, 0xffff, v0
	v_or_b32_e32 v2, 0x10000, v0
	s_delay_alu instid0(VALU_DEP_2) | instskip(NEXT) | instid1(VALU_DEP_1)
	v_cmp_eq_u32_e64 s0, 0, v1
	v_cndmask_b32_e64 v178, v2, v0, s0
; %bb.203:                              ;   in Loop: Header=BB187_38 Depth=1
	s_or_b32 exec_lo, exec_lo, s10
	v_lshlrev_b32_e32 v0, 16, v4
                                        ; implicit-def: $vgpr179
	s_delay_alu instid0(VALU_DEP_1) | instskip(NEXT) | instid1(VALU_DEP_1)
	v_mul_f32_e32 v0, v146, v0
	v_and_b32_e32 v1, 0x7f800000, v0
	s_delay_alu instid0(VALU_DEP_1) | instskip(NEXT) | instid1(VALU_DEP_1)
	v_cmp_ne_u32_e64 s0, 0x7f800000, v1
	s_and_saveexec_b32 s10, s0
	s_delay_alu instid0(SALU_CYCLE_1)
	s_xor_b32 s0, exec_lo, s10
; %bb.204:                              ;   in Loop: Header=BB187_38 Depth=1
	v_bfe_u32 v1, v0, 16, 1
	s_delay_alu instid0(VALU_DEP_1)
	v_add3_u32 v179, v0, v1, 0x7fff
                                        ; implicit-def: $vgpr0
; %bb.205:                              ;   in Loop: Header=BB187_38 Depth=1
	s_and_not1_saveexec_b32 s10, s0
; %bb.206:                              ;   in Loop: Header=BB187_38 Depth=1
	v_and_b32_e32 v1, 0xffff, v0
	v_or_b32_e32 v2, 0x10000, v0
	s_delay_alu instid0(VALU_DEP_2) | instskip(NEXT) | instid1(VALU_DEP_1)
	v_cmp_eq_u32_e64 s0, 0, v1
	v_cndmask_b32_e64 v179, v2, v0, s0
; %bb.207:                              ;   in Loop: Header=BB187_38 Depth=1
	s_or_b32 exec_lo, exec_lo, s10
	flat_load_b128 v[0:3], v[6:7] offset:2048
	s_waitcnt vmcnt(0) lgkmcnt(0)
	v_lshrrev_b32_e32 v21, 16, v0
	v_lshrrev_b32_e32 v12, 16, v1
	;; [unrolled: 1-line block ×4, first 2 shown]
	s_and_saveexec_b32 s10, vcc_lo
	s_cbranch_execz .LBB187_209
; %bb.208:                              ;   in Loop: Header=BB187_38 Depth=1
	v_cmp_lt_i32_e64 s0, v112, v86
	s_delay_alu instid0(VALU_DEP_1) | instskip(SKIP_1) | instid1(VALU_DEP_1)
	v_cndmask_b32_e64 v0, 0, v0, s0
	v_cmp_lt_i32_e64 s0, v128, v86
	v_cndmask_b32_e64 v21, 0, v21, s0
	v_cmp_lt_i32_e64 s0, v119, v86
	s_delay_alu instid0(VALU_DEP_1) | instskip(SKIP_1) | instid1(VALU_DEP_1)
	v_cndmask_b32_e64 v1, 0, v1, s0
	v_cmp_lt_i32_e64 s0, v118, v86
	v_cndmask_b32_e64 v12, 0, v12, s0
	;; [unrolled: 5-line block ×4, first 2 shown]
.LBB187_209:                            ;   in Loop: Header=BB187_38 Depth=1
	s_or_b32 exec_lo, exec_lo, s10
	v_lshlrev_b32_e32 v0, 16, v0
                                        ; implicit-def: $vgpr180
	s_delay_alu instid0(VALU_DEP_1) | instskip(NEXT) | instid1(VALU_DEP_1)
	v_mul_f32_e32 v0, v131, v0
	v_and_b32_e32 v25, 0x7f800000, v0
	s_delay_alu instid0(VALU_DEP_1) | instskip(NEXT) | instid1(VALU_DEP_1)
	v_cmp_ne_u32_e64 s0, 0x7f800000, v25
	s_and_saveexec_b32 s10, s0
	s_delay_alu instid0(SALU_CYCLE_1)
	s_xor_b32 s0, exec_lo, s10
; %bb.210:                              ;   in Loop: Header=BB187_38 Depth=1
	v_bfe_u32 v25, v0, 16, 1
	s_delay_alu instid0(VALU_DEP_1)
	v_add3_u32 v180, v0, v25, 0x7fff
                                        ; implicit-def: $vgpr0
; %bb.211:                              ;   in Loop: Header=BB187_38 Depth=1
	s_and_not1_saveexec_b32 s10, s0
; %bb.212:                              ;   in Loop: Header=BB187_38 Depth=1
	v_and_b32_e32 v25, 0xffff, v0
	v_or_b32_e32 v39, 0x10000, v0
	s_delay_alu instid0(VALU_DEP_2) | instskip(NEXT) | instid1(VALU_DEP_1)
	v_cmp_eq_u32_e64 s0, 0, v25
	v_cndmask_b32_e64 v180, v39, v0, s0
; %bb.213:                              ;   in Loop: Header=BB187_38 Depth=1
	s_or_b32 exec_lo, exec_lo, s10
	v_lshlrev_b32_e32 v0, 16, v21
                                        ; implicit-def: $vgpr181
	s_delay_alu instid0(VALU_DEP_1) | instskip(NEXT) | instid1(VALU_DEP_1)
	v_mul_f32_e32 v0, v132, v0
	v_and_b32_e32 v21, 0x7f800000, v0
	s_delay_alu instid0(VALU_DEP_1) | instskip(NEXT) | instid1(VALU_DEP_1)
	v_cmp_ne_u32_e64 s0, 0x7f800000, v21
	s_and_saveexec_b32 s10, s0
	s_delay_alu instid0(SALU_CYCLE_1)
	s_xor_b32 s0, exec_lo, s10
; %bb.214:                              ;   in Loop: Header=BB187_38 Depth=1
	v_bfe_u32 v21, v0, 16, 1
	s_delay_alu instid0(VALU_DEP_1)
	v_add3_u32 v181, v0, v21, 0x7fff
                                        ; implicit-def: $vgpr0
; %bb.215:                              ;   in Loop: Header=BB187_38 Depth=1
	s_and_not1_saveexec_b32 s10, s0
; %bb.216:                              ;   in Loop: Header=BB187_38 Depth=1
	v_and_b32_e32 v21, 0xffff, v0
	v_or_b32_e32 v25, 0x10000, v0
	s_delay_alu instid0(VALU_DEP_2) | instskip(NEXT) | instid1(VALU_DEP_1)
	v_cmp_eq_u32_e64 s0, 0, v21
	v_cndmask_b32_e64 v181, v25, v0, s0
; %bb.217:                              ;   in Loop: Header=BB187_38 Depth=1
	s_or_b32 exec_lo, exec_lo, s10
	v_lshlrev_b32_e32 v0, 16, v1
                                        ; implicit-def: $vgpr182
	s_delay_alu instid0(VALU_DEP_1) | instskip(NEXT) | instid1(VALU_DEP_1)
	v_mul_f32_e32 v0, v133, v0
	v_and_b32_e32 v1, 0x7f800000, v0
	s_delay_alu instid0(VALU_DEP_1) | instskip(NEXT) | instid1(VALU_DEP_1)
	v_cmp_ne_u32_e64 s0, 0x7f800000, v1
	s_and_saveexec_b32 s10, s0
	s_delay_alu instid0(SALU_CYCLE_1)
	s_xor_b32 s0, exec_lo, s10
; %bb.218:                              ;   in Loop: Header=BB187_38 Depth=1
	v_bfe_u32 v1, v0, 16, 1
	s_delay_alu instid0(VALU_DEP_1)
	v_add3_u32 v182, v0, v1, 0x7fff
                                        ; implicit-def: $vgpr0
; %bb.219:                              ;   in Loop: Header=BB187_38 Depth=1
	s_and_not1_saveexec_b32 s10, s0
; %bb.220:                              ;   in Loop: Header=BB187_38 Depth=1
	v_and_b32_e32 v1, 0xffff, v0
	v_or_b32_e32 v21, 0x10000, v0
	s_delay_alu instid0(VALU_DEP_2) | instskip(NEXT) | instid1(VALU_DEP_1)
	v_cmp_eq_u32_e64 s0, 0, v1
	v_cndmask_b32_e64 v182, v21, v0, s0
; %bb.221:                              ;   in Loop: Header=BB187_38 Depth=1
	s_or_b32 exec_lo, exec_lo, s10
	v_lshlrev_b32_e32 v0, 16, v12
                                        ; implicit-def: $vgpr183
	s_delay_alu instid0(VALU_DEP_1) | instskip(NEXT) | instid1(VALU_DEP_1)
	v_mul_f32_e32 v0, v134, v0
	v_and_b32_e32 v1, 0x7f800000, v0
	s_delay_alu instid0(VALU_DEP_1) | instskip(NEXT) | instid1(VALU_DEP_1)
	v_cmp_ne_u32_e64 s0, 0x7f800000, v1
	s_and_saveexec_b32 s10, s0
	s_delay_alu instid0(SALU_CYCLE_1)
	s_xor_b32 s0, exec_lo, s10
; %bb.222:                              ;   in Loop: Header=BB187_38 Depth=1
	v_bfe_u32 v1, v0, 16, 1
	s_delay_alu instid0(VALU_DEP_1)
	v_add3_u32 v183, v0, v1, 0x7fff
                                        ; implicit-def: $vgpr0
; %bb.223:                              ;   in Loop: Header=BB187_38 Depth=1
	s_and_not1_saveexec_b32 s10, s0
; %bb.224:                              ;   in Loop: Header=BB187_38 Depth=1
	v_and_b32_e32 v1, 0xffff, v0
	v_or_b32_e32 v12, 0x10000, v0
	s_delay_alu instid0(VALU_DEP_2) | instskip(NEXT) | instid1(VALU_DEP_1)
	v_cmp_eq_u32_e64 s0, 0, v1
	v_cndmask_b32_e64 v183, v12, v0, s0
; %bb.225:                              ;   in Loop: Header=BB187_38 Depth=1
	s_or_b32 exec_lo, exec_lo, s10
	v_lshlrev_b32_e32 v0, 16, v2
                                        ; implicit-def: $vgpr40
	s_delay_alu instid0(VALU_DEP_1) | instskip(NEXT) | instid1(VALU_DEP_1)
	v_mul_f32_e32 v0, v135, v0
	v_and_b32_e32 v1, 0x7f800000, v0
	s_delay_alu instid0(VALU_DEP_1) | instskip(NEXT) | instid1(VALU_DEP_1)
	v_cmp_ne_u32_e64 s0, 0x7f800000, v1
	s_and_saveexec_b32 s10, s0
	s_delay_alu instid0(SALU_CYCLE_1)
	s_xor_b32 s0, exec_lo, s10
; %bb.226:                              ;   in Loop: Header=BB187_38 Depth=1
	v_bfe_u32 v1, v0, 16, 1
	s_delay_alu instid0(VALU_DEP_1)
	v_add3_u32 v40, v0, v1, 0x7fff
                                        ; implicit-def: $vgpr0
; %bb.227:                              ;   in Loop: Header=BB187_38 Depth=1
	s_and_not1_saveexec_b32 s10, s0
; %bb.228:                              ;   in Loop: Header=BB187_38 Depth=1
	v_and_b32_e32 v1, 0xffff, v0
	v_or_b32_e32 v2, 0x10000, v0
	s_delay_alu instid0(VALU_DEP_2) | instskip(NEXT) | instid1(VALU_DEP_1)
	v_cmp_eq_u32_e64 s0, 0, v1
	v_cndmask_b32_e64 v40, v2, v0, s0
; %bb.229:                              ;   in Loop: Header=BB187_38 Depth=1
	s_or_b32 exec_lo, exec_lo, s10
	v_lshlrev_b32_e32 v0, 16, v5
                                        ; implicit-def: $vgpr41
	s_delay_alu instid0(VALU_DEP_1) | instskip(NEXT) | instid1(VALU_DEP_1)
	v_mul_f32_e32 v0, v144, v0
	v_and_b32_e32 v1, 0x7f800000, v0
	s_delay_alu instid0(VALU_DEP_1) | instskip(NEXT) | instid1(VALU_DEP_1)
	v_cmp_ne_u32_e64 s0, 0x7f800000, v1
	s_and_saveexec_b32 s10, s0
	s_delay_alu instid0(SALU_CYCLE_1)
	s_xor_b32 s0, exec_lo, s10
; %bb.230:                              ;   in Loop: Header=BB187_38 Depth=1
	v_bfe_u32 v1, v0, 16, 1
	s_delay_alu instid0(VALU_DEP_1)
	v_add3_u32 v41, v0, v1, 0x7fff
                                        ; implicit-def: $vgpr0
; %bb.231:                              ;   in Loop: Header=BB187_38 Depth=1
	s_and_not1_saveexec_b32 s10, s0
; %bb.232:                              ;   in Loop: Header=BB187_38 Depth=1
	v_and_b32_e32 v1, 0xffff, v0
	v_or_b32_e32 v2, 0x10000, v0
	s_delay_alu instid0(VALU_DEP_2) | instskip(NEXT) | instid1(VALU_DEP_1)
	v_cmp_eq_u32_e64 s0, 0, v1
	v_cndmask_b32_e64 v41, v2, v0, s0
; %bb.233:                              ;   in Loop: Header=BB187_38 Depth=1
	s_or_b32 exec_lo, exec_lo, s10
	v_lshlrev_b32_e32 v0, 16, v3
                                        ; implicit-def: $vgpr42
	s_delay_alu instid0(VALU_DEP_1) | instskip(NEXT) | instid1(VALU_DEP_1)
	v_mul_f32_e32 v0, v145, v0
	v_and_b32_e32 v1, 0x7f800000, v0
	s_delay_alu instid0(VALU_DEP_1) | instskip(NEXT) | instid1(VALU_DEP_1)
	v_cmp_ne_u32_e64 s0, 0x7f800000, v1
	s_and_saveexec_b32 s10, s0
	s_delay_alu instid0(SALU_CYCLE_1)
	s_xor_b32 s0, exec_lo, s10
; %bb.234:                              ;   in Loop: Header=BB187_38 Depth=1
	v_bfe_u32 v1, v0, 16, 1
	s_delay_alu instid0(VALU_DEP_1)
	v_add3_u32 v42, v0, v1, 0x7fff
                                        ; implicit-def: $vgpr0
; %bb.235:                              ;   in Loop: Header=BB187_38 Depth=1
	s_and_not1_saveexec_b32 s10, s0
; %bb.236:                              ;   in Loop: Header=BB187_38 Depth=1
	v_and_b32_e32 v1, 0xffff, v0
	v_or_b32_e32 v2, 0x10000, v0
	s_delay_alu instid0(VALU_DEP_2) | instskip(NEXT) | instid1(VALU_DEP_1)
	v_cmp_eq_u32_e64 s0, 0, v1
	v_cndmask_b32_e64 v42, v2, v0, s0
; %bb.237:                              ;   in Loop: Header=BB187_38 Depth=1
	s_or_b32 exec_lo, exec_lo, s10
	v_lshlrev_b32_e32 v0, 16, v4
                                        ; implicit-def: $vgpr43
	s_delay_alu instid0(VALU_DEP_1) | instskip(NEXT) | instid1(VALU_DEP_1)
	v_mul_f32_e32 v0, v146, v0
	v_and_b32_e32 v1, 0x7f800000, v0
	s_delay_alu instid0(VALU_DEP_1) | instskip(NEXT) | instid1(VALU_DEP_1)
	v_cmp_ne_u32_e64 s0, 0x7f800000, v1
	s_and_saveexec_b32 s10, s0
	s_delay_alu instid0(SALU_CYCLE_1)
	s_xor_b32 s0, exec_lo, s10
; %bb.238:                              ;   in Loop: Header=BB187_38 Depth=1
	v_bfe_u32 v1, v0, 16, 1
	s_delay_alu instid0(VALU_DEP_1)
	v_add3_u32 v43, v0, v1, 0x7fff
                                        ; implicit-def: $vgpr0
; %bb.239:                              ;   in Loop: Header=BB187_38 Depth=1
	s_and_not1_saveexec_b32 s10, s0
; %bb.240:                              ;   in Loop: Header=BB187_38 Depth=1
	v_and_b32_e32 v1, 0xffff, v0
	v_or_b32_e32 v2, 0x10000, v0
	s_delay_alu instid0(VALU_DEP_2) | instskip(NEXT) | instid1(VALU_DEP_1)
	v_cmp_eq_u32_e64 s0, 0, v1
	v_cndmask_b32_e64 v43, v2, v0, s0
; %bb.241:                              ;   in Loop: Header=BB187_38 Depth=1
	s_or_b32 exec_lo, exec_lo, s10
	flat_load_b128 v[0:3], v[6:7] offset:2560
	s_waitcnt vmcnt(0) lgkmcnt(0)
	v_lshrrev_b32_e32 v21, 16, v0
	v_lshrrev_b32_e32 v12, 16, v1
	;; [unrolled: 1-line block ×4, first 2 shown]
	s_and_saveexec_b32 s10, vcc_lo
	s_cbranch_execz .LBB187_243
; %bb.242:                              ;   in Loop: Header=BB187_38 Depth=1
	v_cmp_lt_i32_e64 s0, v112, v86
	s_delay_alu instid0(VALU_DEP_1) | instskip(SKIP_1) | instid1(VALU_DEP_1)
	v_cndmask_b32_e64 v0, 0, v0, s0
	v_cmp_lt_i32_e64 s0, v128, v86
	v_cndmask_b32_e64 v21, 0, v21, s0
	v_cmp_lt_i32_e64 s0, v119, v86
	s_delay_alu instid0(VALU_DEP_1) | instskip(SKIP_1) | instid1(VALU_DEP_1)
	v_cndmask_b32_e64 v1, 0, v1, s0
	v_cmp_lt_i32_e64 s0, v118, v86
	v_cndmask_b32_e64 v12, 0, v12, s0
	;; [unrolled: 5-line block ×4, first 2 shown]
.LBB187_243:                            ;   in Loop: Header=BB187_38 Depth=1
	s_or_b32 exec_lo, exec_lo, s10
	v_lshlrev_b32_e32 v0, 16, v0
                                        ; implicit-def: $vgpr44
	s_delay_alu instid0(VALU_DEP_1) | instskip(NEXT) | instid1(VALU_DEP_1)
	v_mul_f32_e32 v0, v131, v0
	v_and_b32_e32 v25, 0x7f800000, v0
	s_delay_alu instid0(VALU_DEP_1) | instskip(NEXT) | instid1(VALU_DEP_1)
	v_cmp_ne_u32_e64 s0, 0x7f800000, v25
	s_and_saveexec_b32 s10, s0
	s_delay_alu instid0(SALU_CYCLE_1)
	s_xor_b32 s0, exec_lo, s10
; %bb.244:                              ;   in Loop: Header=BB187_38 Depth=1
	v_bfe_u32 v25, v0, 16, 1
	s_delay_alu instid0(VALU_DEP_1)
	v_add3_u32 v44, v0, v25, 0x7fff
                                        ; implicit-def: $vgpr0
; %bb.245:                              ;   in Loop: Header=BB187_38 Depth=1
	s_and_not1_saveexec_b32 s10, s0
; %bb.246:                              ;   in Loop: Header=BB187_38 Depth=1
	v_and_b32_e32 v25, 0xffff, v0
	v_or_b32_e32 v39, 0x10000, v0
	s_delay_alu instid0(VALU_DEP_2) | instskip(NEXT) | instid1(VALU_DEP_1)
	v_cmp_eq_u32_e64 s0, 0, v25
	v_cndmask_b32_e64 v44, v39, v0, s0
; %bb.247:                              ;   in Loop: Header=BB187_38 Depth=1
	s_or_b32 exec_lo, exec_lo, s10
	v_lshlrev_b32_e32 v0, 16, v21
                                        ; implicit-def: $vgpr45
	s_delay_alu instid0(VALU_DEP_1) | instskip(NEXT) | instid1(VALU_DEP_1)
	v_mul_f32_e32 v0, v132, v0
	v_and_b32_e32 v21, 0x7f800000, v0
	s_delay_alu instid0(VALU_DEP_1) | instskip(NEXT) | instid1(VALU_DEP_1)
	v_cmp_ne_u32_e64 s0, 0x7f800000, v21
	s_and_saveexec_b32 s10, s0
	s_delay_alu instid0(SALU_CYCLE_1)
	s_xor_b32 s0, exec_lo, s10
; %bb.248:                              ;   in Loop: Header=BB187_38 Depth=1
	v_bfe_u32 v21, v0, 16, 1
	s_delay_alu instid0(VALU_DEP_1)
	v_add3_u32 v45, v0, v21, 0x7fff
                                        ; implicit-def: $vgpr0
; %bb.249:                              ;   in Loop: Header=BB187_38 Depth=1
	s_and_not1_saveexec_b32 s10, s0
; %bb.250:                              ;   in Loop: Header=BB187_38 Depth=1
	v_and_b32_e32 v21, 0xffff, v0
	v_or_b32_e32 v25, 0x10000, v0
	s_delay_alu instid0(VALU_DEP_2) | instskip(NEXT) | instid1(VALU_DEP_1)
	v_cmp_eq_u32_e64 s0, 0, v21
	v_cndmask_b32_e64 v45, v25, v0, s0
; %bb.251:                              ;   in Loop: Header=BB187_38 Depth=1
	s_or_b32 exec_lo, exec_lo, s10
	v_lshlrev_b32_e32 v0, 16, v1
                                        ; implicit-def: $vgpr46
	s_delay_alu instid0(VALU_DEP_1) | instskip(NEXT) | instid1(VALU_DEP_1)
	v_mul_f32_e32 v0, v133, v0
	v_and_b32_e32 v1, 0x7f800000, v0
	s_delay_alu instid0(VALU_DEP_1) | instskip(NEXT) | instid1(VALU_DEP_1)
	v_cmp_ne_u32_e64 s0, 0x7f800000, v1
	s_and_saveexec_b32 s10, s0
	s_delay_alu instid0(SALU_CYCLE_1)
	s_xor_b32 s0, exec_lo, s10
; %bb.252:                              ;   in Loop: Header=BB187_38 Depth=1
	v_bfe_u32 v1, v0, 16, 1
	s_delay_alu instid0(VALU_DEP_1)
	v_add3_u32 v46, v0, v1, 0x7fff
                                        ; implicit-def: $vgpr0
; %bb.253:                              ;   in Loop: Header=BB187_38 Depth=1
	s_and_not1_saveexec_b32 s10, s0
; %bb.254:                              ;   in Loop: Header=BB187_38 Depth=1
	v_and_b32_e32 v1, 0xffff, v0
	v_or_b32_e32 v21, 0x10000, v0
	s_delay_alu instid0(VALU_DEP_2) | instskip(NEXT) | instid1(VALU_DEP_1)
	v_cmp_eq_u32_e64 s0, 0, v1
	v_cndmask_b32_e64 v46, v21, v0, s0
; %bb.255:                              ;   in Loop: Header=BB187_38 Depth=1
	s_or_b32 exec_lo, exec_lo, s10
	v_lshlrev_b32_e32 v0, 16, v12
                                        ; implicit-def: $vgpr47
	s_delay_alu instid0(VALU_DEP_1) | instskip(NEXT) | instid1(VALU_DEP_1)
	v_mul_f32_e32 v0, v134, v0
	v_and_b32_e32 v1, 0x7f800000, v0
	s_delay_alu instid0(VALU_DEP_1) | instskip(NEXT) | instid1(VALU_DEP_1)
	v_cmp_ne_u32_e64 s0, 0x7f800000, v1
	s_and_saveexec_b32 s10, s0
	s_delay_alu instid0(SALU_CYCLE_1)
	s_xor_b32 s0, exec_lo, s10
; %bb.256:                              ;   in Loop: Header=BB187_38 Depth=1
	v_bfe_u32 v1, v0, 16, 1
	s_delay_alu instid0(VALU_DEP_1)
	v_add3_u32 v47, v0, v1, 0x7fff
                                        ; implicit-def: $vgpr0
; %bb.257:                              ;   in Loop: Header=BB187_38 Depth=1
	s_and_not1_saveexec_b32 s10, s0
; %bb.258:                              ;   in Loop: Header=BB187_38 Depth=1
	v_and_b32_e32 v1, 0xffff, v0
	v_or_b32_e32 v12, 0x10000, v0
	s_delay_alu instid0(VALU_DEP_2) | instskip(NEXT) | instid1(VALU_DEP_1)
	v_cmp_eq_u32_e64 s0, 0, v1
	v_cndmask_b32_e64 v47, v12, v0, s0
; %bb.259:                              ;   in Loop: Header=BB187_38 Depth=1
	s_or_b32 exec_lo, exec_lo, s10
	v_lshlrev_b32_e32 v0, 16, v2
                                        ; implicit-def: $vgpr56
	s_delay_alu instid0(VALU_DEP_1) | instskip(NEXT) | instid1(VALU_DEP_1)
	v_mul_f32_e32 v0, v135, v0
	v_and_b32_e32 v1, 0x7f800000, v0
	s_delay_alu instid0(VALU_DEP_1) | instskip(NEXT) | instid1(VALU_DEP_1)
	v_cmp_ne_u32_e64 s0, 0x7f800000, v1
	s_and_saveexec_b32 s10, s0
	s_delay_alu instid0(SALU_CYCLE_1)
	s_xor_b32 s0, exec_lo, s10
; %bb.260:                              ;   in Loop: Header=BB187_38 Depth=1
	v_bfe_u32 v1, v0, 16, 1
	s_delay_alu instid0(VALU_DEP_1)
	v_add3_u32 v56, v0, v1, 0x7fff
                                        ; implicit-def: $vgpr0
; %bb.261:                              ;   in Loop: Header=BB187_38 Depth=1
	s_and_not1_saveexec_b32 s10, s0
; %bb.262:                              ;   in Loop: Header=BB187_38 Depth=1
	v_and_b32_e32 v1, 0xffff, v0
	v_or_b32_e32 v2, 0x10000, v0
	s_delay_alu instid0(VALU_DEP_2) | instskip(NEXT) | instid1(VALU_DEP_1)
	v_cmp_eq_u32_e64 s0, 0, v1
	v_cndmask_b32_e64 v56, v2, v0, s0
; %bb.263:                              ;   in Loop: Header=BB187_38 Depth=1
	s_or_b32 exec_lo, exec_lo, s10
	v_lshlrev_b32_e32 v0, 16, v5
                                        ; implicit-def: $vgpr57
	s_delay_alu instid0(VALU_DEP_1) | instskip(NEXT) | instid1(VALU_DEP_1)
	v_mul_f32_e32 v0, v144, v0
	v_and_b32_e32 v1, 0x7f800000, v0
	s_delay_alu instid0(VALU_DEP_1) | instskip(NEXT) | instid1(VALU_DEP_1)
	v_cmp_ne_u32_e64 s0, 0x7f800000, v1
	s_and_saveexec_b32 s10, s0
	s_delay_alu instid0(SALU_CYCLE_1)
	s_xor_b32 s0, exec_lo, s10
; %bb.264:                              ;   in Loop: Header=BB187_38 Depth=1
	v_bfe_u32 v1, v0, 16, 1
	s_delay_alu instid0(VALU_DEP_1)
	v_add3_u32 v57, v0, v1, 0x7fff
                                        ; implicit-def: $vgpr0
; %bb.265:                              ;   in Loop: Header=BB187_38 Depth=1
	s_and_not1_saveexec_b32 s10, s0
; %bb.266:                              ;   in Loop: Header=BB187_38 Depth=1
	v_and_b32_e32 v1, 0xffff, v0
	v_or_b32_e32 v2, 0x10000, v0
	s_delay_alu instid0(VALU_DEP_2) | instskip(NEXT) | instid1(VALU_DEP_1)
	v_cmp_eq_u32_e64 s0, 0, v1
	v_cndmask_b32_e64 v57, v2, v0, s0
; %bb.267:                              ;   in Loop: Header=BB187_38 Depth=1
	s_or_b32 exec_lo, exec_lo, s10
	v_lshlrev_b32_e32 v0, 16, v3
                                        ; implicit-def: $vgpr58
	s_delay_alu instid0(VALU_DEP_1) | instskip(NEXT) | instid1(VALU_DEP_1)
	v_mul_f32_e32 v0, v145, v0
	v_and_b32_e32 v1, 0x7f800000, v0
	s_delay_alu instid0(VALU_DEP_1) | instskip(NEXT) | instid1(VALU_DEP_1)
	v_cmp_ne_u32_e64 s0, 0x7f800000, v1
	s_and_saveexec_b32 s10, s0
	s_delay_alu instid0(SALU_CYCLE_1)
	s_xor_b32 s0, exec_lo, s10
; %bb.268:                              ;   in Loop: Header=BB187_38 Depth=1
	v_bfe_u32 v1, v0, 16, 1
	s_delay_alu instid0(VALU_DEP_1)
	v_add3_u32 v58, v0, v1, 0x7fff
                                        ; implicit-def: $vgpr0
; %bb.269:                              ;   in Loop: Header=BB187_38 Depth=1
	s_and_not1_saveexec_b32 s10, s0
; %bb.270:                              ;   in Loop: Header=BB187_38 Depth=1
	v_and_b32_e32 v1, 0xffff, v0
	v_or_b32_e32 v2, 0x10000, v0
	s_delay_alu instid0(VALU_DEP_2) | instskip(NEXT) | instid1(VALU_DEP_1)
	v_cmp_eq_u32_e64 s0, 0, v1
	v_cndmask_b32_e64 v58, v2, v0, s0
; %bb.271:                              ;   in Loop: Header=BB187_38 Depth=1
	s_or_b32 exec_lo, exec_lo, s10
	v_lshlrev_b32_e32 v0, 16, v4
                                        ; implicit-def: $vgpr59
	s_delay_alu instid0(VALU_DEP_1) | instskip(NEXT) | instid1(VALU_DEP_1)
	v_mul_f32_e32 v0, v146, v0
	v_and_b32_e32 v1, 0x7f800000, v0
	s_delay_alu instid0(VALU_DEP_1) | instskip(NEXT) | instid1(VALU_DEP_1)
	v_cmp_ne_u32_e64 s0, 0x7f800000, v1
	s_and_saveexec_b32 s10, s0
	s_delay_alu instid0(SALU_CYCLE_1)
	s_xor_b32 s0, exec_lo, s10
; %bb.272:                              ;   in Loop: Header=BB187_38 Depth=1
	v_bfe_u32 v1, v0, 16, 1
	s_delay_alu instid0(VALU_DEP_1)
	v_add3_u32 v59, v0, v1, 0x7fff
                                        ; implicit-def: $vgpr0
; %bb.273:                              ;   in Loop: Header=BB187_38 Depth=1
	s_and_not1_saveexec_b32 s10, s0
; %bb.274:                              ;   in Loop: Header=BB187_38 Depth=1
	v_and_b32_e32 v1, 0xffff, v0
	v_or_b32_e32 v2, 0x10000, v0
	s_delay_alu instid0(VALU_DEP_2) | instskip(NEXT) | instid1(VALU_DEP_1)
	v_cmp_eq_u32_e64 s0, 0, v1
	v_cndmask_b32_e64 v59, v2, v0, s0
; %bb.275:                              ;   in Loop: Header=BB187_38 Depth=1
	s_or_b32 exec_lo, exec_lo, s10
	flat_load_b128 v[0:3], v[6:7] offset:3072
	s_waitcnt vmcnt(0) lgkmcnt(0)
	v_lshrrev_b32_e32 v21, 16, v0
	v_lshrrev_b32_e32 v12, 16, v1
	;; [unrolled: 1-line block ×4, first 2 shown]
	s_and_saveexec_b32 s10, vcc_lo
	s_cbranch_execz .LBB187_277
; %bb.276:                              ;   in Loop: Header=BB187_38 Depth=1
	v_cmp_lt_i32_e64 s0, v112, v86
	s_delay_alu instid0(VALU_DEP_1) | instskip(SKIP_1) | instid1(VALU_DEP_1)
	v_cndmask_b32_e64 v0, 0, v0, s0
	v_cmp_lt_i32_e64 s0, v128, v86
	v_cndmask_b32_e64 v21, 0, v21, s0
	v_cmp_lt_i32_e64 s0, v119, v86
	s_delay_alu instid0(VALU_DEP_1) | instskip(SKIP_1) | instid1(VALU_DEP_1)
	v_cndmask_b32_e64 v1, 0, v1, s0
	v_cmp_lt_i32_e64 s0, v118, v86
	v_cndmask_b32_e64 v12, 0, v12, s0
	;; [unrolled: 5-line block ×4, first 2 shown]
.LBB187_277:                            ;   in Loop: Header=BB187_38 Depth=1
	s_or_b32 exec_lo, exec_lo, s10
	v_lshlrev_b32_e32 v0, 16, v0
                                        ; implicit-def: $vgpr60
	s_delay_alu instid0(VALU_DEP_1) | instskip(NEXT) | instid1(VALU_DEP_1)
	v_mul_f32_e32 v0, v131, v0
	v_and_b32_e32 v25, 0x7f800000, v0
	s_delay_alu instid0(VALU_DEP_1) | instskip(NEXT) | instid1(VALU_DEP_1)
	v_cmp_ne_u32_e64 s0, 0x7f800000, v25
	s_and_saveexec_b32 s10, s0
	s_delay_alu instid0(SALU_CYCLE_1)
	s_xor_b32 s0, exec_lo, s10
; %bb.278:                              ;   in Loop: Header=BB187_38 Depth=1
	v_bfe_u32 v25, v0, 16, 1
	s_delay_alu instid0(VALU_DEP_1)
	v_add3_u32 v60, v0, v25, 0x7fff
                                        ; implicit-def: $vgpr0
; %bb.279:                              ;   in Loop: Header=BB187_38 Depth=1
	s_and_not1_saveexec_b32 s10, s0
; %bb.280:                              ;   in Loop: Header=BB187_38 Depth=1
	v_and_b32_e32 v25, 0xffff, v0
	v_or_b32_e32 v39, 0x10000, v0
	s_delay_alu instid0(VALU_DEP_2) | instskip(NEXT) | instid1(VALU_DEP_1)
	v_cmp_eq_u32_e64 s0, 0, v25
	v_cndmask_b32_e64 v60, v39, v0, s0
; %bb.281:                              ;   in Loop: Header=BB187_38 Depth=1
	s_or_b32 exec_lo, exec_lo, s10
	v_lshlrev_b32_e32 v0, 16, v21
                                        ; implicit-def: $vgpr61
	s_delay_alu instid0(VALU_DEP_1) | instskip(NEXT) | instid1(VALU_DEP_1)
	v_mul_f32_e32 v0, v132, v0
	v_and_b32_e32 v21, 0x7f800000, v0
	s_delay_alu instid0(VALU_DEP_1) | instskip(NEXT) | instid1(VALU_DEP_1)
	v_cmp_ne_u32_e64 s0, 0x7f800000, v21
	s_and_saveexec_b32 s10, s0
	s_delay_alu instid0(SALU_CYCLE_1)
	s_xor_b32 s0, exec_lo, s10
; %bb.282:                              ;   in Loop: Header=BB187_38 Depth=1
	v_bfe_u32 v21, v0, 16, 1
	s_delay_alu instid0(VALU_DEP_1)
	v_add3_u32 v61, v0, v21, 0x7fff
                                        ; implicit-def: $vgpr0
; %bb.283:                              ;   in Loop: Header=BB187_38 Depth=1
	s_and_not1_saveexec_b32 s10, s0
; %bb.284:                              ;   in Loop: Header=BB187_38 Depth=1
	v_and_b32_e32 v21, 0xffff, v0
	v_or_b32_e32 v25, 0x10000, v0
	s_delay_alu instid0(VALU_DEP_2) | instskip(NEXT) | instid1(VALU_DEP_1)
	v_cmp_eq_u32_e64 s0, 0, v21
	v_cndmask_b32_e64 v61, v25, v0, s0
; %bb.285:                              ;   in Loop: Header=BB187_38 Depth=1
	s_or_b32 exec_lo, exec_lo, s10
	v_lshlrev_b32_e32 v0, 16, v1
                                        ; implicit-def: $vgpr62
	s_delay_alu instid0(VALU_DEP_1) | instskip(NEXT) | instid1(VALU_DEP_1)
	v_mul_f32_e32 v0, v133, v0
	v_and_b32_e32 v1, 0x7f800000, v0
	s_delay_alu instid0(VALU_DEP_1) | instskip(NEXT) | instid1(VALU_DEP_1)
	v_cmp_ne_u32_e64 s0, 0x7f800000, v1
	s_and_saveexec_b32 s10, s0
	s_delay_alu instid0(SALU_CYCLE_1)
	s_xor_b32 s0, exec_lo, s10
; %bb.286:                              ;   in Loop: Header=BB187_38 Depth=1
	v_bfe_u32 v1, v0, 16, 1
	s_delay_alu instid0(VALU_DEP_1)
	v_add3_u32 v62, v0, v1, 0x7fff
                                        ; implicit-def: $vgpr0
; %bb.287:                              ;   in Loop: Header=BB187_38 Depth=1
	s_and_not1_saveexec_b32 s10, s0
; %bb.288:                              ;   in Loop: Header=BB187_38 Depth=1
	v_and_b32_e32 v1, 0xffff, v0
	v_or_b32_e32 v21, 0x10000, v0
	s_delay_alu instid0(VALU_DEP_2) | instskip(NEXT) | instid1(VALU_DEP_1)
	v_cmp_eq_u32_e64 s0, 0, v1
	v_cndmask_b32_e64 v62, v21, v0, s0
; %bb.289:                              ;   in Loop: Header=BB187_38 Depth=1
	s_or_b32 exec_lo, exec_lo, s10
	v_lshlrev_b32_e32 v0, 16, v12
                                        ; implicit-def: $vgpr63
	s_delay_alu instid0(VALU_DEP_1) | instskip(NEXT) | instid1(VALU_DEP_1)
	v_mul_f32_e32 v0, v134, v0
	v_and_b32_e32 v1, 0x7f800000, v0
	s_delay_alu instid0(VALU_DEP_1) | instskip(NEXT) | instid1(VALU_DEP_1)
	v_cmp_ne_u32_e64 s0, 0x7f800000, v1
	s_and_saveexec_b32 s10, s0
	s_delay_alu instid0(SALU_CYCLE_1)
	s_xor_b32 s0, exec_lo, s10
; %bb.290:                              ;   in Loop: Header=BB187_38 Depth=1
	v_bfe_u32 v1, v0, 16, 1
	s_delay_alu instid0(VALU_DEP_1)
	v_add3_u32 v63, v0, v1, 0x7fff
                                        ; implicit-def: $vgpr0
; %bb.291:                              ;   in Loop: Header=BB187_38 Depth=1
	s_and_not1_saveexec_b32 s10, s0
; %bb.292:                              ;   in Loop: Header=BB187_38 Depth=1
	v_and_b32_e32 v1, 0xffff, v0
	v_or_b32_e32 v12, 0x10000, v0
	s_delay_alu instid0(VALU_DEP_2) | instskip(NEXT) | instid1(VALU_DEP_1)
	v_cmp_eq_u32_e64 s0, 0, v1
	v_cndmask_b32_e64 v63, v12, v0, s0
; %bb.293:                              ;   in Loop: Header=BB187_38 Depth=1
	s_or_b32 exec_lo, exec_lo, s10
	v_lshlrev_b32_e32 v0, 16, v2
                                        ; implicit-def: $vgpr72
	s_delay_alu instid0(VALU_DEP_1) | instskip(NEXT) | instid1(VALU_DEP_1)
	v_mul_f32_e32 v0, v135, v0
	v_and_b32_e32 v1, 0x7f800000, v0
	s_delay_alu instid0(VALU_DEP_1) | instskip(NEXT) | instid1(VALU_DEP_1)
	v_cmp_ne_u32_e64 s0, 0x7f800000, v1
	s_and_saveexec_b32 s10, s0
	s_delay_alu instid0(SALU_CYCLE_1)
	s_xor_b32 s0, exec_lo, s10
; %bb.294:                              ;   in Loop: Header=BB187_38 Depth=1
	v_bfe_u32 v1, v0, 16, 1
	s_delay_alu instid0(VALU_DEP_1)
	v_add3_u32 v72, v0, v1, 0x7fff
                                        ; implicit-def: $vgpr0
; %bb.295:                              ;   in Loop: Header=BB187_38 Depth=1
	s_and_not1_saveexec_b32 s10, s0
; %bb.296:                              ;   in Loop: Header=BB187_38 Depth=1
	v_and_b32_e32 v1, 0xffff, v0
	v_or_b32_e32 v2, 0x10000, v0
	s_delay_alu instid0(VALU_DEP_2) | instskip(NEXT) | instid1(VALU_DEP_1)
	v_cmp_eq_u32_e64 s0, 0, v1
	v_cndmask_b32_e64 v72, v2, v0, s0
; %bb.297:                              ;   in Loop: Header=BB187_38 Depth=1
	s_or_b32 exec_lo, exec_lo, s10
	v_lshlrev_b32_e32 v0, 16, v5
                                        ; implicit-def: $vgpr73
	s_delay_alu instid0(VALU_DEP_1) | instskip(NEXT) | instid1(VALU_DEP_1)
	v_mul_f32_e32 v0, v144, v0
	v_and_b32_e32 v1, 0x7f800000, v0
	s_delay_alu instid0(VALU_DEP_1) | instskip(NEXT) | instid1(VALU_DEP_1)
	v_cmp_ne_u32_e64 s0, 0x7f800000, v1
	s_and_saveexec_b32 s10, s0
	s_delay_alu instid0(SALU_CYCLE_1)
	s_xor_b32 s0, exec_lo, s10
; %bb.298:                              ;   in Loop: Header=BB187_38 Depth=1
	v_bfe_u32 v1, v0, 16, 1
	s_delay_alu instid0(VALU_DEP_1)
	v_add3_u32 v73, v0, v1, 0x7fff
                                        ; implicit-def: $vgpr0
; %bb.299:                              ;   in Loop: Header=BB187_38 Depth=1
	s_and_not1_saveexec_b32 s10, s0
; %bb.300:                              ;   in Loop: Header=BB187_38 Depth=1
	v_and_b32_e32 v1, 0xffff, v0
	v_or_b32_e32 v2, 0x10000, v0
	s_delay_alu instid0(VALU_DEP_2) | instskip(NEXT) | instid1(VALU_DEP_1)
	v_cmp_eq_u32_e64 s0, 0, v1
	v_cndmask_b32_e64 v73, v2, v0, s0
; %bb.301:                              ;   in Loop: Header=BB187_38 Depth=1
	s_or_b32 exec_lo, exec_lo, s10
	v_lshlrev_b32_e32 v0, 16, v3
                                        ; implicit-def: $vgpr74
	s_delay_alu instid0(VALU_DEP_1) | instskip(NEXT) | instid1(VALU_DEP_1)
	v_mul_f32_e32 v0, v145, v0
	v_and_b32_e32 v1, 0x7f800000, v0
	s_delay_alu instid0(VALU_DEP_1) | instskip(NEXT) | instid1(VALU_DEP_1)
	v_cmp_ne_u32_e64 s0, 0x7f800000, v1
	s_and_saveexec_b32 s10, s0
	s_delay_alu instid0(SALU_CYCLE_1)
	s_xor_b32 s0, exec_lo, s10
; %bb.302:                              ;   in Loop: Header=BB187_38 Depth=1
	v_bfe_u32 v1, v0, 16, 1
	s_delay_alu instid0(VALU_DEP_1)
	v_add3_u32 v74, v0, v1, 0x7fff
                                        ; implicit-def: $vgpr0
; %bb.303:                              ;   in Loop: Header=BB187_38 Depth=1
	s_and_not1_saveexec_b32 s10, s0
; %bb.304:                              ;   in Loop: Header=BB187_38 Depth=1
	v_and_b32_e32 v1, 0xffff, v0
	v_or_b32_e32 v2, 0x10000, v0
	s_delay_alu instid0(VALU_DEP_2) | instskip(NEXT) | instid1(VALU_DEP_1)
	v_cmp_eq_u32_e64 s0, 0, v1
	v_cndmask_b32_e64 v74, v2, v0, s0
; %bb.305:                              ;   in Loop: Header=BB187_38 Depth=1
	s_or_b32 exec_lo, exec_lo, s10
	v_lshlrev_b32_e32 v0, 16, v4
                                        ; implicit-def: $vgpr75
	s_delay_alu instid0(VALU_DEP_1) | instskip(NEXT) | instid1(VALU_DEP_1)
	v_mul_f32_e32 v0, v146, v0
	v_and_b32_e32 v1, 0x7f800000, v0
	s_delay_alu instid0(VALU_DEP_1) | instskip(NEXT) | instid1(VALU_DEP_1)
	v_cmp_ne_u32_e64 s0, 0x7f800000, v1
	s_and_saveexec_b32 s10, s0
	s_delay_alu instid0(SALU_CYCLE_1)
	s_xor_b32 s0, exec_lo, s10
; %bb.306:                              ;   in Loop: Header=BB187_38 Depth=1
	v_bfe_u32 v1, v0, 16, 1
	s_delay_alu instid0(VALU_DEP_1)
	v_add3_u32 v75, v0, v1, 0x7fff
                                        ; implicit-def: $vgpr0
; %bb.307:                              ;   in Loop: Header=BB187_38 Depth=1
	s_and_not1_saveexec_b32 s10, s0
; %bb.308:                              ;   in Loop: Header=BB187_38 Depth=1
	v_and_b32_e32 v1, 0xffff, v0
	v_or_b32_e32 v2, 0x10000, v0
	s_delay_alu instid0(VALU_DEP_2) | instskip(NEXT) | instid1(VALU_DEP_1)
	v_cmp_eq_u32_e64 s0, 0, v1
	v_cndmask_b32_e64 v75, v2, v0, s0
; %bb.309:                              ;   in Loop: Header=BB187_38 Depth=1
	s_or_b32 exec_lo, exec_lo, s10
	flat_load_b128 v[0:3], v[6:7] offset:3584
	s_waitcnt vmcnt(0) lgkmcnt(0)
	v_lshrrev_b32_e32 v7, 16, v0
	v_lshrrev_b32_e32 v12, 16, v1
	;; [unrolled: 1-line block ×4, first 2 shown]
	s_and_saveexec_b32 s10, vcc_lo
	s_cbranch_execz .LBB187_311
; %bb.310:                              ;   in Loop: Header=BB187_38 Depth=1
	v_cmp_lt_i32_e64 s0, v112, v86
	s_delay_alu instid0(VALU_DEP_1) | instskip(SKIP_1) | instid1(VALU_DEP_1)
	v_cndmask_b32_e64 v0, 0, v0, s0
	v_cmp_lt_i32_e64 s0, v128, v86
	v_cndmask_b32_e64 v7, 0, v7, s0
	v_cmp_lt_i32_e64 s0, v119, v86
	s_delay_alu instid0(VALU_DEP_1) | instskip(SKIP_1) | instid1(VALU_DEP_1)
	v_cndmask_b32_e64 v1, 0, v1, s0
	v_cmp_lt_i32_e64 s0, v118, v86
	v_cndmask_b32_e64 v12, 0, v12, s0
	;; [unrolled: 5-line block ×4, first 2 shown]
.LBB187_311:                            ;   in Loop: Header=BB187_38 Depth=1
	s_or_b32 exec_lo, exec_lo, s10
	v_lshlrev_b32_e32 v0, 16, v0
	s_delay_alu instid0(VALU_DEP_1) | instskip(NEXT) | instid1(VALU_DEP_1)
	v_mul_f32_e32 v0, v131, v0
	v_and_b32_e32 v6, 0x7f800000, v0
	s_delay_alu instid0(VALU_DEP_1) | instskip(NEXT) | instid1(VALU_DEP_1)
	v_cmp_ne_u32_e64 s0, 0x7f800000, v6
                                        ; implicit-def: $vgpr6
	s_and_saveexec_b32 s10, s0
	s_delay_alu instid0(SALU_CYCLE_1)
	s_xor_b32 s0, exec_lo, s10
; %bb.312:                              ;   in Loop: Header=BB187_38 Depth=1
	v_bfe_u32 v6, v0, 16, 1
	s_delay_alu instid0(VALU_DEP_1)
	v_add3_u32 v6, v0, v6, 0x7fff
                                        ; implicit-def: $vgpr0
; %bb.313:                              ;   in Loop: Header=BB187_38 Depth=1
	s_and_not1_saveexec_b32 s10, s0
; %bb.314:                              ;   in Loop: Header=BB187_38 Depth=1
	v_and_b32_e32 v6, 0xffff, v0
	v_or_b32_e32 v21, 0x10000, v0
	s_delay_alu instid0(VALU_DEP_2) | instskip(NEXT) | instid1(VALU_DEP_1)
	v_cmp_eq_u32_e64 s0, 0, v6
	v_cndmask_b32_e64 v6, v21, v0, s0
; %bb.315:                              ;   in Loop: Header=BB187_38 Depth=1
	s_or_b32 exec_lo, exec_lo, s10
	v_lshlrev_b32_e32 v0, 16, v7
	s_delay_alu instid0(VALU_DEP_1) | instskip(NEXT) | instid1(VALU_DEP_1)
	v_mul_f32_e32 v0, v132, v0
	v_and_b32_e32 v7, 0x7f800000, v0
	s_delay_alu instid0(VALU_DEP_1) | instskip(NEXT) | instid1(VALU_DEP_1)
	v_cmp_ne_u32_e64 s0, 0x7f800000, v7
                                        ; implicit-def: $vgpr7
	s_and_saveexec_b32 s10, s0
	s_delay_alu instid0(SALU_CYCLE_1)
	s_xor_b32 s0, exec_lo, s10
; %bb.316:                              ;   in Loop: Header=BB187_38 Depth=1
	v_bfe_u32 v7, v0, 16, 1
	s_delay_alu instid0(VALU_DEP_1)
	v_add3_u32 v7, v0, v7, 0x7fff
                                        ; implicit-def: $vgpr0
; %bb.317:                              ;   in Loop: Header=BB187_38 Depth=1
	s_and_not1_saveexec_b32 s10, s0
; %bb.318:                              ;   in Loop: Header=BB187_38 Depth=1
	v_and_b32_e32 v7, 0xffff, v0
	v_or_b32_e32 v21, 0x10000, v0
	s_delay_alu instid0(VALU_DEP_2) | instskip(NEXT) | instid1(VALU_DEP_1)
	v_cmp_eq_u32_e64 s0, 0, v7
	v_cndmask_b32_e64 v7, v21, v0, s0
; %bb.319:                              ;   in Loop: Header=BB187_38 Depth=1
	s_or_b32 exec_lo, exec_lo, s10
	v_lshlrev_b32_e32 v0, 16, v1
                                        ; implicit-def: $vgpr76
	s_delay_alu instid0(VALU_DEP_1) | instskip(NEXT) | instid1(VALU_DEP_1)
	v_mul_f32_e32 v0, v133, v0
	v_and_b32_e32 v1, 0x7f800000, v0
	s_delay_alu instid0(VALU_DEP_1) | instskip(NEXT) | instid1(VALU_DEP_1)
	v_cmp_ne_u32_e64 s0, 0x7f800000, v1
	s_and_saveexec_b32 s10, s0
	s_delay_alu instid0(SALU_CYCLE_1)
	s_xor_b32 s0, exec_lo, s10
; %bb.320:                              ;   in Loop: Header=BB187_38 Depth=1
	v_bfe_u32 v1, v0, 16, 1
	s_delay_alu instid0(VALU_DEP_1)
	v_add3_u32 v76, v0, v1, 0x7fff
                                        ; implicit-def: $vgpr0
; %bb.321:                              ;   in Loop: Header=BB187_38 Depth=1
	s_and_not1_saveexec_b32 s10, s0
; %bb.322:                              ;   in Loop: Header=BB187_38 Depth=1
	v_and_b32_e32 v1, 0xffff, v0
	v_or_b32_e32 v21, 0x10000, v0
	s_delay_alu instid0(VALU_DEP_2) | instskip(NEXT) | instid1(VALU_DEP_1)
	v_cmp_eq_u32_e64 s0, 0, v1
	v_cndmask_b32_e64 v76, v21, v0, s0
; %bb.323:                              ;   in Loop: Header=BB187_38 Depth=1
	s_or_b32 exec_lo, exec_lo, s10
	v_lshlrev_b32_e32 v0, 16, v12
                                        ; implicit-def: $vgpr77
	s_delay_alu instid0(VALU_DEP_1) | instskip(NEXT) | instid1(VALU_DEP_1)
	v_mul_f32_e32 v0, v134, v0
	v_and_b32_e32 v1, 0x7f800000, v0
	s_delay_alu instid0(VALU_DEP_1) | instskip(NEXT) | instid1(VALU_DEP_1)
	v_cmp_ne_u32_e64 s0, 0x7f800000, v1
	s_and_saveexec_b32 s10, s0
	s_delay_alu instid0(SALU_CYCLE_1)
	s_xor_b32 s0, exec_lo, s10
; %bb.324:                              ;   in Loop: Header=BB187_38 Depth=1
	v_bfe_u32 v1, v0, 16, 1
	s_delay_alu instid0(VALU_DEP_1)
	v_add3_u32 v77, v0, v1, 0x7fff
                                        ; implicit-def: $vgpr0
; %bb.325:                              ;   in Loop: Header=BB187_38 Depth=1
	s_and_not1_saveexec_b32 s10, s0
; %bb.326:                              ;   in Loop: Header=BB187_38 Depth=1
	v_and_b32_e32 v1, 0xffff, v0
	v_or_b32_e32 v12, 0x10000, v0
	s_delay_alu instid0(VALU_DEP_2) | instskip(NEXT) | instid1(VALU_DEP_1)
	v_cmp_eq_u32_e64 s0, 0, v1
	v_cndmask_b32_e64 v77, v12, v0, s0
; %bb.327:                              ;   in Loop: Header=BB187_38 Depth=1
	s_or_b32 exec_lo, exec_lo, s10
	v_lshlrev_b32_e32 v0, 16, v2
                                        ; implicit-def: $vgpr78
	s_delay_alu instid0(VALU_DEP_1) | instskip(NEXT) | instid1(VALU_DEP_1)
	v_mul_f32_e32 v0, v135, v0
	v_and_b32_e32 v1, 0x7f800000, v0
	s_delay_alu instid0(VALU_DEP_1) | instskip(NEXT) | instid1(VALU_DEP_1)
	v_cmp_ne_u32_e64 s0, 0x7f800000, v1
	s_and_saveexec_b32 s10, s0
	s_delay_alu instid0(SALU_CYCLE_1)
	s_xor_b32 s0, exec_lo, s10
; %bb.328:                              ;   in Loop: Header=BB187_38 Depth=1
	v_bfe_u32 v1, v0, 16, 1
	s_delay_alu instid0(VALU_DEP_1)
	v_add3_u32 v78, v0, v1, 0x7fff
                                        ; implicit-def: $vgpr0
; %bb.329:                              ;   in Loop: Header=BB187_38 Depth=1
	s_and_not1_saveexec_b32 s10, s0
; %bb.330:                              ;   in Loop: Header=BB187_38 Depth=1
	v_and_b32_e32 v1, 0xffff, v0
	v_or_b32_e32 v2, 0x10000, v0
	s_delay_alu instid0(VALU_DEP_2) | instskip(NEXT) | instid1(VALU_DEP_1)
	v_cmp_eq_u32_e64 s0, 0, v1
	v_cndmask_b32_e64 v78, v2, v0, s0
; %bb.331:                              ;   in Loop: Header=BB187_38 Depth=1
	s_or_b32 exec_lo, exec_lo, s10
	v_lshlrev_b32_e32 v0, 16, v5
                                        ; implicit-def: $vgpr79
	s_delay_alu instid0(VALU_DEP_1) | instskip(NEXT) | instid1(VALU_DEP_1)
	v_mul_f32_e32 v0, v144, v0
	v_and_b32_e32 v1, 0x7f800000, v0
	s_delay_alu instid0(VALU_DEP_1) | instskip(NEXT) | instid1(VALU_DEP_1)
	v_cmp_ne_u32_e64 s0, 0x7f800000, v1
	s_and_saveexec_b32 s10, s0
	s_delay_alu instid0(SALU_CYCLE_1)
	s_xor_b32 s0, exec_lo, s10
; %bb.332:                              ;   in Loop: Header=BB187_38 Depth=1
	v_bfe_u32 v1, v0, 16, 1
	s_delay_alu instid0(VALU_DEP_1)
	v_add3_u32 v79, v0, v1, 0x7fff
                                        ; implicit-def: $vgpr0
; %bb.333:                              ;   in Loop: Header=BB187_38 Depth=1
	s_and_not1_saveexec_b32 s10, s0
; %bb.334:                              ;   in Loop: Header=BB187_38 Depth=1
	v_and_b32_e32 v1, 0xffff, v0
	v_or_b32_e32 v2, 0x10000, v0
	s_delay_alu instid0(VALU_DEP_2) | instskip(NEXT) | instid1(VALU_DEP_1)
	v_cmp_eq_u32_e64 s0, 0, v1
	v_cndmask_b32_e64 v79, v2, v0, s0
; %bb.335:                              ;   in Loop: Header=BB187_38 Depth=1
	s_or_b32 exec_lo, exec_lo, s10
	v_lshlrev_b32_e32 v0, 16, v3
                                        ; implicit-def: $vgpr88
	s_delay_alu instid0(VALU_DEP_1) | instskip(NEXT) | instid1(VALU_DEP_1)
	v_mul_f32_e32 v0, v145, v0
	v_and_b32_e32 v1, 0x7f800000, v0
	s_delay_alu instid0(VALU_DEP_1) | instskip(NEXT) | instid1(VALU_DEP_1)
	v_cmp_ne_u32_e64 s0, 0x7f800000, v1
	s_and_saveexec_b32 s10, s0
	s_delay_alu instid0(SALU_CYCLE_1)
	s_xor_b32 s0, exec_lo, s10
; %bb.336:                              ;   in Loop: Header=BB187_38 Depth=1
	v_bfe_u32 v1, v0, 16, 1
	s_delay_alu instid0(VALU_DEP_1)
	v_add3_u32 v88, v0, v1, 0x7fff
                                        ; implicit-def: $vgpr0
; %bb.337:                              ;   in Loop: Header=BB187_38 Depth=1
	s_and_not1_saveexec_b32 s10, s0
; %bb.338:                              ;   in Loop: Header=BB187_38 Depth=1
	v_and_b32_e32 v1, 0xffff, v0
	v_or_b32_e32 v2, 0x10000, v0
	s_delay_alu instid0(VALU_DEP_2) | instskip(NEXT) | instid1(VALU_DEP_1)
	v_cmp_eq_u32_e64 s0, 0, v1
	v_cndmask_b32_e64 v88, v2, v0, s0
; %bb.339:                              ;   in Loop: Header=BB187_38 Depth=1
	s_or_b32 exec_lo, exec_lo, s10
	v_lshlrev_b32_e32 v0, 16, v4
                                        ; implicit-def: $vgpr89
	s_delay_alu instid0(VALU_DEP_1) | instskip(NEXT) | instid1(VALU_DEP_1)
	v_mul_f32_e32 v0, v146, v0
	v_and_b32_e32 v1, 0x7f800000, v0
	s_delay_alu instid0(VALU_DEP_1) | instskip(NEXT) | instid1(VALU_DEP_1)
	v_cmp_ne_u32_e64 s0, 0x7f800000, v1
	s_and_saveexec_b32 s10, s0
	s_delay_alu instid0(SALU_CYCLE_1)
	s_xor_b32 s0, exec_lo, s10
; %bb.340:                              ;   in Loop: Header=BB187_38 Depth=1
	v_bfe_u32 v1, v0, 16, 1
	s_delay_alu instid0(VALU_DEP_1)
	v_add3_u32 v89, v0, v1, 0x7fff
                                        ; implicit-def: $vgpr0
; %bb.341:                              ;   in Loop: Header=BB187_38 Depth=1
	s_and_not1_saveexec_b32 s10, s0
; %bb.342:                              ;   in Loop: Header=BB187_38 Depth=1
	v_and_b32_e32 v1, 0xffff, v0
	v_or_b32_e32 v2, 0x10000, v0
	s_delay_alu instid0(VALU_DEP_2) | instskip(NEXT) | instid1(VALU_DEP_1)
	v_cmp_eq_u32_e64 s0, 0, v1
	v_cndmask_b32_e64 v89, v2, v0, s0
; %bb.343:                              ;   in Loop: Header=BB187_38 Depth=1
	s_or_b32 exec_lo, exec_lo, s10
	v_add_co_u32 v0, s0, v129, v14
	s_delay_alu instid0(VALU_DEP_1)
	v_add_co_ci_u32_e64 v1, s0, 0, v130, s0
	flat_load_b128 v[0:3], v[0:1]
	s_waitcnt vmcnt(0) lgkmcnt(0)
	v_lshrrev_b32_e32 v21, 16, v0
	v_lshrrev_b32_e32 v12, 16, v1
	;; [unrolled: 1-line block ×4, first 2 shown]
	s_and_saveexec_b32 s10, vcc_lo
	s_cbranch_execz .LBB187_345
; %bb.344:                              ;   in Loop: Header=BB187_38 Depth=1
	v_cmp_lt_i32_e64 s0, v112, v86
	s_delay_alu instid0(VALU_DEP_1) | instskip(SKIP_1) | instid1(VALU_DEP_1)
	v_cndmask_b32_e64 v0, 0, v0, s0
	v_cmp_lt_i32_e64 s0, v128, v86
	v_cndmask_b32_e64 v21, 0, v21, s0
	v_cmp_lt_i32_e64 s0, v119, v86
	s_delay_alu instid0(VALU_DEP_1) | instskip(SKIP_1) | instid1(VALU_DEP_1)
	v_cndmask_b32_e64 v1, 0, v1, s0
	v_cmp_lt_i32_e64 s0, v118, v86
	v_cndmask_b32_e64 v12, 0, v12, s0
	;; [unrolled: 5-line block ×4, first 2 shown]
.LBB187_345:                            ;   in Loop: Header=BB187_38 Depth=1
	s_or_b32 exec_lo, exec_lo, s10
	v_lshlrev_b32_e32 v0, 16, v0
                                        ; implicit-def: $vgpr90
	s_delay_alu instid0(VALU_DEP_1) | instskip(NEXT) | instid1(VALU_DEP_1)
	v_mul_f32_e32 v0, v131, v0
	v_and_b32_e32 v25, 0x7f800000, v0
	s_delay_alu instid0(VALU_DEP_1) | instskip(NEXT) | instid1(VALU_DEP_1)
	v_cmp_ne_u32_e64 s0, 0x7f800000, v25
	s_and_saveexec_b32 s10, s0
	s_delay_alu instid0(SALU_CYCLE_1)
	s_xor_b32 s0, exec_lo, s10
; %bb.346:                              ;   in Loop: Header=BB187_38 Depth=1
	v_bfe_u32 v25, v0, 16, 1
	s_delay_alu instid0(VALU_DEP_1)
	v_add3_u32 v90, v0, v25, 0x7fff
                                        ; implicit-def: $vgpr0
; %bb.347:                              ;   in Loop: Header=BB187_38 Depth=1
	s_and_not1_saveexec_b32 s10, s0
; %bb.348:                              ;   in Loop: Header=BB187_38 Depth=1
	v_and_b32_e32 v25, 0xffff, v0
	v_or_b32_e32 v39, 0x10000, v0
	s_delay_alu instid0(VALU_DEP_2) | instskip(NEXT) | instid1(VALU_DEP_1)
	v_cmp_eq_u32_e64 s0, 0, v25
	v_cndmask_b32_e64 v90, v39, v0, s0
; %bb.349:                              ;   in Loop: Header=BB187_38 Depth=1
	s_or_b32 exec_lo, exec_lo, s10
	v_lshlrev_b32_e32 v0, 16, v21
                                        ; implicit-def: $vgpr91
	s_delay_alu instid0(VALU_DEP_1) | instskip(NEXT) | instid1(VALU_DEP_1)
	v_mul_f32_e32 v0, v132, v0
	v_and_b32_e32 v21, 0x7f800000, v0
	s_delay_alu instid0(VALU_DEP_1) | instskip(NEXT) | instid1(VALU_DEP_1)
	v_cmp_ne_u32_e64 s0, 0x7f800000, v21
	s_and_saveexec_b32 s10, s0
	s_delay_alu instid0(SALU_CYCLE_1)
	s_xor_b32 s0, exec_lo, s10
; %bb.350:                              ;   in Loop: Header=BB187_38 Depth=1
	v_bfe_u32 v21, v0, 16, 1
	s_delay_alu instid0(VALU_DEP_1)
	v_add3_u32 v91, v0, v21, 0x7fff
                                        ; implicit-def: $vgpr0
; %bb.351:                              ;   in Loop: Header=BB187_38 Depth=1
	s_and_not1_saveexec_b32 s10, s0
; %bb.352:                              ;   in Loop: Header=BB187_38 Depth=1
	v_and_b32_e32 v21, 0xffff, v0
	v_or_b32_e32 v25, 0x10000, v0
	s_delay_alu instid0(VALU_DEP_2) | instskip(NEXT) | instid1(VALU_DEP_1)
	v_cmp_eq_u32_e64 s0, 0, v21
	v_cndmask_b32_e64 v91, v25, v0, s0
; %bb.353:                              ;   in Loop: Header=BB187_38 Depth=1
	s_or_b32 exec_lo, exec_lo, s10
	v_lshlrev_b32_e32 v0, 16, v1
                                        ; implicit-def: $vgpr92
	s_delay_alu instid0(VALU_DEP_1) | instskip(NEXT) | instid1(VALU_DEP_1)
	v_mul_f32_e32 v0, v133, v0
	v_and_b32_e32 v1, 0x7f800000, v0
	s_delay_alu instid0(VALU_DEP_1) | instskip(NEXT) | instid1(VALU_DEP_1)
	v_cmp_ne_u32_e64 s0, 0x7f800000, v1
	s_and_saveexec_b32 s10, s0
	s_delay_alu instid0(SALU_CYCLE_1)
	s_xor_b32 s0, exec_lo, s10
; %bb.354:                              ;   in Loop: Header=BB187_38 Depth=1
	v_bfe_u32 v1, v0, 16, 1
	s_delay_alu instid0(VALU_DEP_1)
	v_add3_u32 v92, v0, v1, 0x7fff
                                        ; implicit-def: $vgpr0
; %bb.355:                              ;   in Loop: Header=BB187_38 Depth=1
	s_and_not1_saveexec_b32 s10, s0
; %bb.356:                              ;   in Loop: Header=BB187_38 Depth=1
	v_and_b32_e32 v1, 0xffff, v0
	v_or_b32_e32 v21, 0x10000, v0
	s_delay_alu instid0(VALU_DEP_2) | instskip(NEXT) | instid1(VALU_DEP_1)
	v_cmp_eq_u32_e64 s0, 0, v1
	v_cndmask_b32_e64 v92, v21, v0, s0
; %bb.357:                              ;   in Loop: Header=BB187_38 Depth=1
	s_or_b32 exec_lo, exec_lo, s10
	v_lshlrev_b32_e32 v0, 16, v12
                                        ; implicit-def: $vgpr93
	s_delay_alu instid0(VALU_DEP_1) | instskip(NEXT) | instid1(VALU_DEP_1)
	v_mul_f32_e32 v0, v134, v0
	v_and_b32_e32 v1, 0x7f800000, v0
	s_delay_alu instid0(VALU_DEP_1) | instskip(NEXT) | instid1(VALU_DEP_1)
	v_cmp_ne_u32_e64 s0, 0x7f800000, v1
	s_and_saveexec_b32 s10, s0
	s_delay_alu instid0(SALU_CYCLE_1)
	s_xor_b32 s0, exec_lo, s10
; %bb.358:                              ;   in Loop: Header=BB187_38 Depth=1
	v_bfe_u32 v1, v0, 16, 1
	s_delay_alu instid0(VALU_DEP_1)
	v_add3_u32 v93, v0, v1, 0x7fff
                                        ; implicit-def: $vgpr0
; %bb.359:                              ;   in Loop: Header=BB187_38 Depth=1
	s_and_not1_saveexec_b32 s10, s0
; %bb.360:                              ;   in Loop: Header=BB187_38 Depth=1
	v_and_b32_e32 v1, 0xffff, v0
	v_or_b32_e32 v12, 0x10000, v0
	s_delay_alu instid0(VALU_DEP_2) | instskip(NEXT) | instid1(VALU_DEP_1)
	v_cmp_eq_u32_e64 s0, 0, v1
	v_cndmask_b32_e64 v93, v12, v0, s0
; %bb.361:                              ;   in Loop: Header=BB187_38 Depth=1
	s_or_b32 exec_lo, exec_lo, s10
	v_lshlrev_b32_e32 v0, 16, v2
                                        ; implicit-def: $vgpr94
	s_delay_alu instid0(VALU_DEP_1) | instskip(NEXT) | instid1(VALU_DEP_1)
	v_mul_f32_e32 v0, v135, v0
	v_and_b32_e32 v1, 0x7f800000, v0
	s_delay_alu instid0(VALU_DEP_1) | instskip(NEXT) | instid1(VALU_DEP_1)
	v_cmp_ne_u32_e64 s0, 0x7f800000, v1
	s_and_saveexec_b32 s10, s0
	s_delay_alu instid0(SALU_CYCLE_1)
	s_xor_b32 s0, exec_lo, s10
; %bb.362:                              ;   in Loop: Header=BB187_38 Depth=1
	v_bfe_u32 v1, v0, 16, 1
	s_delay_alu instid0(VALU_DEP_1)
	v_add3_u32 v94, v0, v1, 0x7fff
                                        ; implicit-def: $vgpr0
; %bb.363:                              ;   in Loop: Header=BB187_38 Depth=1
	s_and_not1_saveexec_b32 s10, s0
; %bb.364:                              ;   in Loop: Header=BB187_38 Depth=1
	v_and_b32_e32 v1, 0xffff, v0
	v_or_b32_e32 v2, 0x10000, v0
	s_delay_alu instid0(VALU_DEP_2) | instskip(NEXT) | instid1(VALU_DEP_1)
	v_cmp_eq_u32_e64 s0, 0, v1
	v_cndmask_b32_e64 v94, v2, v0, s0
; %bb.365:                              ;   in Loop: Header=BB187_38 Depth=1
	s_or_b32 exec_lo, exec_lo, s10
	v_lshlrev_b32_e32 v0, 16, v5
                                        ; implicit-def: $vgpr95
	s_delay_alu instid0(VALU_DEP_1) | instskip(NEXT) | instid1(VALU_DEP_1)
	v_mul_f32_e32 v0, v144, v0
	v_and_b32_e32 v1, 0x7f800000, v0
	s_delay_alu instid0(VALU_DEP_1) | instskip(NEXT) | instid1(VALU_DEP_1)
	v_cmp_ne_u32_e64 s0, 0x7f800000, v1
	s_and_saveexec_b32 s10, s0
	s_delay_alu instid0(SALU_CYCLE_1)
	s_xor_b32 s0, exec_lo, s10
; %bb.366:                              ;   in Loop: Header=BB187_38 Depth=1
	v_bfe_u32 v1, v0, 16, 1
	s_delay_alu instid0(VALU_DEP_1)
	v_add3_u32 v95, v0, v1, 0x7fff
                                        ; implicit-def: $vgpr0
; %bb.367:                              ;   in Loop: Header=BB187_38 Depth=1
	s_and_not1_saveexec_b32 s10, s0
; %bb.368:                              ;   in Loop: Header=BB187_38 Depth=1
	v_and_b32_e32 v1, 0xffff, v0
	v_or_b32_e32 v2, 0x10000, v0
	s_delay_alu instid0(VALU_DEP_2) | instskip(NEXT) | instid1(VALU_DEP_1)
	v_cmp_eq_u32_e64 s0, 0, v1
	v_cndmask_b32_e64 v95, v2, v0, s0
; %bb.369:                              ;   in Loop: Header=BB187_38 Depth=1
	s_or_b32 exec_lo, exec_lo, s10
	v_lshlrev_b32_e32 v0, 16, v3
                                        ; implicit-def: $vgpr104
	s_delay_alu instid0(VALU_DEP_1) | instskip(NEXT) | instid1(VALU_DEP_1)
	v_mul_f32_e32 v0, v145, v0
	v_and_b32_e32 v1, 0x7f800000, v0
	s_delay_alu instid0(VALU_DEP_1) | instskip(NEXT) | instid1(VALU_DEP_1)
	v_cmp_ne_u32_e64 s0, 0x7f800000, v1
	s_and_saveexec_b32 s10, s0
	s_delay_alu instid0(SALU_CYCLE_1)
	s_xor_b32 s0, exec_lo, s10
; %bb.370:                              ;   in Loop: Header=BB187_38 Depth=1
	v_bfe_u32 v1, v0, 16, 1
	s_delay_alu instid0(VALU_DEP_1)
	v_add3_u32 v104, v0, v1, 0x7fff
                                        ; implicit-def: $vgpr0
; %bb.371:                              ;   in Loop: Header=BB187_38 Depth=1
	s_and_not1_saveexec_b32 s10, s0
; %bb.372:                              ;   in Loop: Header=BB187_38 Depth=1
	v_and_b32_e32 v1, 0xffff, v0
	v_or_b32_e32 v2, 0x10000, v0
	s_delay_alu instid0(VALU_DEP_2) | instskip(NEXT) | instid1(VALU_DEP_1)
	v_cmp_eq_u32_e64 s0, 0, v1
	v_cndmask_b32_e64 v104, v2, v0, s0
; %bb.373:                              ;   in Loop: Header=BB187_38 Depth=1
	s_or_b32 exec_lo, exec_lo, s10
	v_lshlrev_b32_e32 v0, 16, v4
                                        ; implicit-def: $vgpr105
	s_delay_alu instid0(VALU_DEP_1) | instskip(NEXT) | instid1(VALU_DEP_1)
	v_mul_f32_e32 v0, v146, v0
	v_and_b32_e32 v1, 0x7f800000, v0
	s_delay_alu instid0(VALU_DEP_1) | instskip(NEXT) | instid1(VALU_DEP_1)
	v_cmp_ne_u32_e64 s0, 0x7f800000, v1
	s_and_saveexec_b32 s10, s0
	s_delay_alu instid0(SALU_CYCLE_1)
	s_xor_b32 s0, exec_lo, s10
; %bb.374:                              ;   in Loop: Header=BB187_38 Depth=1
	v_bfe_u32 v1, v0, 16, 1
	s_delay_alu instid0(VALU_DEP_1)
	v_add3_u32 v105, v0, v1, 0x7fff
                                        ; implicit-def: $vgpr0
; %bb.375:                              ;   in Loop: Header=BB187_38 Depth=1
	s_and_not1_saveexec_b32 s10, s0
; %bb.376:                              ;   in Loop: Header=BB187_38 Depth=1
	v_and_b32_e32 v1, 0xffff, v0
	v_or_b32_e32 v2, 0x10000, v0
	s_delay_alu instid0(VALU_DEP_2) | instskip(NEXT) | instid1(VALU_DEP_1)
	v_cmp_eq_u32_e64 s0, 0, v1
	v_cndmask_b32_e64 v105, v2, v0, s0
; %bb.377:                              ;   in Loop: Header=BB187_38 Depth=1
	s_or_b32 exec_lo, exec_lo, s10
	v_add_co_u32 v0, s0, v129, v15
	s_delay_alu instid0(VALU_DEP_1)
	v_add_co_ci_u32_e64 v1, s0, 0, v130, s0
	flat_load_b128 v[0:3], v[0:1]
	s_waitcnt vmcnt(0) lgkmcnt(0)
	v_lshrrev_b32_e32 v21, 16, v0
	v_lshrrev_b32_e32 v12, 16, v1
	;; [unrolled: 1-line block ×4, first 2 shown]
	s_and_saveexec_b32 s10, vcc_lo
	s_cbranch_execz .LBB187_379
; %bb.378:                              ;   in Loop: Header=BB187_38 Depth=1
	v_cmp_lt_i32_e64 s0, v112, v86
	s_delay_alu instid0(VALU_DEP_1) | instskip(SKIP_1) | instid1(VALU_DEP_1)
	v_cndmask_b32_e64 v0, 0, v0, s0
	v_cmp_lt_i32_e64 s0, v128, v86
	v_cndmask_b32_e64 v21, 0, v21, s0
	v_cmp_lt_i32_e64 s0, v119, v86
	s_delay_alu instid0(VALU_DEP_1) | instskip(SKIP_1) | instid1(VALU_DEP_1)
	v_cndmask_b32_e64 v1, 0, v1, s0
	v_cmp_lt_i32_e64 s0, v118, v86
	v_cndmask_b32_e64 v12, 0, v12, s0
	;; [unrolled: 5-line block ×4, first 2 shown]
.LBB187_379:                            ;   in Loop: Header=BB187_38 Depth=1
	s_or_b32 exec_lo, exec_lo, s10
	v_lshlrev_b32_e32 v0, 16, v0
                                        ; implicit-def: $vgpr106
	s_delay_alu instid0(VALU_DEP_1) | instskip(NEXT) | instid1(VALU_DEP_1)
	v_mul_f32_e32 v0, v131, v0
	v_and_b32_e32 v25, 0x7f800000, v0
	s_delay_alu instid0(VALU_DEP_1) | instskip(NEXT) | instid1(VALU_DEP_1)
	v_cmp_ne_u32_e64 s0, 0x7f800000, v25
	s_and_saveexec_b32 s10, s0
	s_delay_alu instid0(SALU_CYCLE_1)
	s_xor_b32 s0, exec_lo, s10
; %bb.380:                              ;   in Loop: Header=BB187_38 Depth=1
	v_bfe_u32 v25, v0, 16, 1
	s_delay_alu instid0(VALU_DEP_1)
	v_add3_u32 v106, v0, v25, 0x7fff
                                        ; implicit-def: $vgpr0
; %bb.381:                              ;   in Loop: Header=BB187_38 Depth=1
	s_and_not1_saveexec_b32 s10, s0
; %bb.382:                              ;   in Loop: Header=BB187_38 Depth=1
	v_and_b32_e32 v25, 0xffff, v0
	v_or_b32_e32 v39, 0x10000, v0
	s_delay_alu instid0(VALU_DEP_2) | instskip(NEXT) | instid1(VALU_DEP_1)
	v_cmp_eq_u32_e64 s0, 0, v25
	v_cndmask_b32_e64 v106, v39, v0, s0
; %bb.383:                              ;   in Loop: Header=BB187_38 Depth=1
	s_or_b32 exec_lo, exec_lo, s10
	v_lshlrev_b32_e32 v0, 16, v21
                                        ; implicit-def: $vgpr107
	s_delay_alu instid0(VALU_DEP_1) | instskip(NEXT) | instid1(VALU_DEP_1)
	v_mul_f32_e32 v0, v132, v0
	v_and_b32_e32 v21, 0x7f800000, v0
	s_delay_alu instid0(VALU_DEP_1) | instskip(NEXT) | instid1(VALU_DEP_1)
	v_cmp_ne_u32_e64 s0, 0x7f800000, v21
	s_and_saveexec_b32 s10, s0
	s_delay_alu instid0(SALU_CYCLE_1)
	s_xor_b32 s0, exec_lo, s10
; %bb.384:                              ;   in Loop: Header=BB187_38 Depth=1
	v_bfe_u32 v21, v0, 16, 1
	s_delay_alu instid0(VALU_DEP_1)
	v_add3_u32 v107, v0, v21, 0x7fff
                                        ; implicit-def: $vgpr0
; %bb.385:                              ;   in Loop: Header=BB187_38 Depth=1
	s_and_not1_saveexec_b32 s10, s0
; %bb.386:                              ;   in Loop: Header=BB187_38 Depth=1
	v_and_b32_e32 v21, 0xffff, v0
	v_or_b32_e32 v25, 0x10000, v0
	s_delay_alu instid0(VALU_DEP_2) | instskip(NEXT) | instid1(VALU_DEP_1)
	v_cmp_eq_u32_e64 s0, 0, v21
	v_cndmask_b32_e64 v107, v25, v0, s0
; %bb.387:                              ;   in Loop: Header=BB187_38 Depth=1
	s_or_b32 exec_lo, exec_lo, s10
	v_lshlrev_b32_e32 v0, 16, v1
                                        ; implicit-def: $vgpr108
	s_delay_alu instid0(VALU_DEP_1) | instskip(NEXT) | instid1(VALU_DEP_1)
	v_mul_f32_e32 v0, v133, v0
	v_and_b32_e32 v1, 0x7f800000, v0
	s_delay_alu instid0(VALU_DEP_1) | instskip(NEXT) | instid1(VALU_DEP_1)
	v_cmp_ne_u32_e64 s0, 0x7f800000, v1
	s_and_saveexec_b32 s10, s0
	s_delay_alu instid0(SALU_CYCLE_1)
	s_xor_b32 s0, exec_lo, s10
; %bb.388:                              ;   in Loop: Header=BB187_38 Depth=1
	v_bfe_u32 v1, v0, 16, 1
	s_delay_alu instid0(VALU_DEP_1)
	v_add3_u32 v108, v0, v1, 0x7fff
                                        ; implicit-def: $vgpr0
; %bb.389:                              ;   in Loop: Header=BB187_38 Depth=1
	s_and_not1_saveexec_b32 s10, s0
; %bb.390:                              ;   in Loop: Header=BB187_38 Depth=1
	v_and_b32_e32 v1, 0xffff, v0
	v_or_b32_e32 v21, 0x10000, v0
	s_delay_alu instid0(VALU_DEP_2) | instskip(NEXT) | instid1(VALU_DEP_1)
	v_cmp_eq_u32_e64 s0, 0, v1
	v_cndmask_b32_e64 v108, v21, v0, s0
; %bb.391:                              ;   in Loop: Header=BB187_38 Depth=1
	s_or_b32 exec_lo, exec_lo, s10
	v_lshlrev_b32_e32 v0, 16, v12
                                        ; implicit-def: $vgpr109
	s_delay_alu instid0(VALU_DEP_1) | instskip(NEXT) | instid1(VALU_DEP_1)
	v_mul_f32_e32 v0, v134, v0
	v_and_b32_e32 v1, 0x7f800000, v0
	s_delay_alu instid0(VALU_DEP_1) | instskip(NEXT) | instid1(VALU_DEP_1)
	v_cmp_ne_u32_e64 s0, 0x7f800000, v1
	s_and_saveexec_b32 s10, s0
	s_delay_alu instid0(SALU_CYCLE_1)
	s_xor_b32 s0, exec_lo, s10
; %bb.392:                              ;   in Loop: Header=BB187_38 Depth=1
	v_bfe_u32 v1, v0, 16, 1
	s_delay_alu instid0(VALU_DEP_1)
	v_add3_u32 v109, v0, v1, 0x7fff
                                        ; implicit-def: $vgpr0
; %bb.393:                              ;   in Loop: Header=BB187_38 Depth=1
	s_and_not1_saveexec_b32 s10, s0
; %bb.394:                              ;   in Loop: Header=BB187_38 Depth=1
	v_and_b32_e32 v1, 0xffff, v0
	v_or_b32_e32 v12, 0x10000, v0
	s_delay_alu instid0(VALU_DEP_2) | instskip(NEXT) | instid1(VALU_DEP_1)
	v_cmp_eq_u32_e64 s0, 0, v1
	v_cndmask_b32_e64 v109, v12, v0, s0
; %bb.395:                              ;   in Loop: Header=BB187_38 Depth=1
	s_or_b32 exec_lo, exec_lo, s10
	v_lshlrev_b32_e32 v0, 16, v2
                                        ; implicit-def: $vgpr110
	s_delay_alu instid0(VALU_DEP_1) | instskip(NEXT) | instid1(VALU_DEP_1)
	v_mul_f32_e32 v0, v135, v0
	v_and_b32_e32 v1, 0x7f800000, v0
	s_delay_alu instid0(VALU_DEP_1) | instskip(NEXT) | instid1(VALU_DEP_1)
	v_cmp_ne_u32_e64 s0, 0x7f800000, v1
	s_and_saveexec_b32 s10, s0
	s_delay_alu instid0(SALU_CYCLE_1)
	s_xor_b32 s0, exec_lo, s10
; %bb.396:                              ;   in Loop: Header=BB187_38 Depth=1
	v_bfe_u32 v1, v0, 16, 1
	s_delay_alu instid0(VALU_DEP_1)
	v_add3_u32 v110, v0, v1, 0x7fff
                                        ; implicit-def: $vgpr0
; %bb.397:                              ;   in Loop: Header=BB187_38 Depth=1
	s_and_not1_saveexec_b32 s10, s0
; %bb.398:                              ;   in Loop: Header=BB187_38 Depth=1
	v_and_b32_e32 v1, 0xffff, v0
	v_or_b32_e32 v2, 0x10000, v0
	s_delay_alu instid0(VALU_DEP_2) | instskip(NEXT) | instid1(VALU_DEP_1)
	v_cmp_eq_u32_e64 s0, 0, v1
	v_cndmask_b32_e64 v110, v2, v0, s0
; %bb.399:                              ;   in Loop: Header=BB187_38 Depth=1
	s_or_b32 exec_lo, exec_lo, s10
	v_lshlrev_b32_e32 v0, 16, v5
                                        ; implicit-def: $vgpr111
	s_delay_alu instid0(VALU_DEP_1) | instskip(NEXT) | instid1(VALU_DEP_1)
	v_mul_f32_e32 v0, v144, v0
	v_and_b32_e32 v1, 0x7f800000, v0
	s_delay_alu instid0(VALU_DEP_1) | instskip(NEXT) | instid1(VALU_DEP_1)
	v_cmp_ne_u32_e64 s0, 0x7f800000, v1
	s_and_saveexec_b32 s10, s0
	s_delay_alu instid0(SALU_CYCLE_1)
	s_xor_b32 s0, exec_lo, s10
; %bb.400:                              ;   in Loop: Header=BB187_38 Depth=1
	v_bfe_u32 v1, v0, 16, 1
	s_delay_alu instid0(VALU_DEP_1)
	v_add3_u32 v111, v0, v1, 0x7fff
                                        ; implicit-def: $vgpr0
; %bb.401:                              ;   in Loop: Header=BB187_38 Depth=1
	s_and_not1_saveexec_b32 s10, s0
; %bb.402:                              ;   in Loop: Header=BB187_38 Depth=1
	v_and_b32_e32 v1, 0xffff, v0
	v_or_b32_e32 v2, 0x10000, v0
	s_delay_alu instid0(VALU_DEP_2) | instskip(NEXT) | instid1(VALU_DEP_1)
	v_cmp_eq_u32_e64 s0, 0, v1
	v_cndmask_b32_e64 v111, v2, v0, s0
; %bb.403:                              ;   in Loop: Header=BB187_38 Depth=1
	s_or_b32 exec_lo, exec_lo, s10
	v_lshlrev_b32_e32 v0, 16, v3
                                        ; implicit-def: $vgpr120
	s_delay_alu instid0(VALU_DEP_1) | instskip(NEXT) | instid1(VALU_DEP_1)
	v_mul_f32_e32 v0, v145, v0
	v_and_b32_e32 v1, 0x7f800000, v0
	s_delay_alu instid0(VALU_DEP_1) | instskip(NEXT) | instid1(VALU_DEP_1)
	v_cmp_ne_u32_e64 s0, 0x7f800000, v1
	s_and_saveexec_b32 s10, s0
	s_delay_alu instid0(SALU_CYCLE_1)
	s_xor_b32 s0, exec_lo, s10
; %bb.404:                              ;   in Loop: Header=BB187_38 Depth=1
	v_bfe_u32 v1, v0, 16, 1
	s_delay_alu instid0(VALU_DEP_1)
	v_add3_u32 v120, v0, v1, 0x7fff
                                        ; implicit-def: $vgpr0
; %bb.405:                              ;   in Loop: Header=BB187_38 Depth=1
	s_and_not1_saveexec_b32 s10, s0
; %bb.406:                              ;   in Loop: Header=BB187_38 Depth=1
	v_and_b32_e32 v1, 0xffff, v0
	v_or_b32_e32 v2, 0x10000, v0
	s_delay_alu instid0(VALU_DEP_2) | instskip(NEXT) | instid1(VALU_DEP_1)
	v_cmp_eq_u32_e64 s0, 0, v1
	v_cndmask_b32_e64 v120, v2, v0, s0
; %bb.407:                              ;   in Loop: Header=BB187_38 Depth=1
	s_or_b32 exec_lo, exec_lo, s10
	v_lshlrev_b32_e32 v0, 16, v4
                                        ; implicit-def: $vgpr121
	s_delay_alu instid0(VALU_DEP_1) | instskip(NEXT) | instid1(VALU_DEP_1)
	v_mul_f32_e32 v0, v146, v0
	v_and_b32_e32 v1, 0x7f800000, v0
	s_delay_alu instid0(VALU_DEP_1) | instskip(NEXT) | instid1(VALU_DEP_1)
	v_cmp_ne_u32_e64 s0, 0x7f800000, v1
	s_and_saveexec_b32 s10, s0
	s_delay_alu instid0(SALU_CYCLE_1)
	s_xor_b32 s0, exec_lo, s10
; %bb.408:                              ;   in Loop: Header=BB187_38 Depth=1
	v_bfe_u32 v1, v0, 16, 1
	s_delay_alu instid0(VALU_DEP_1)
	v_add3_u32 v121, v0, v1, 0x7fff
                                        ; implicit-def: $vgpr0
; %bb.409:                              ;   in Loop: Header=BB187_38 Depth=1
	s_and_not1_saveexec_b32 s10, s0
; %bb.410:                              ;   in Loop: Header=BB187_38 Depth=1
	v_and_b32_e32 v1, 0xffff, v0
	v_or_b32_e32 v2, 0x10000, v0
	s_delay_alu instid0(VALU_DEP_2) | instskip(NEXT) | instid1(VALU_DEP_1)
	v_cmp_eq_u32_e64 s0, 0, v1
	v_cndmask_b32_e64 v121, v2, v0, s0
; %bb.411:                              ;   in Loop: Header=BB187_38 Depth=1
	s_or_b32 exec_lo, exec_lo, s10
	v_add_co_u32 v0, s0, v129, v54
	s_delay_alu instid0(VALU_DEP_1)
	v_add_co_ci_u32_e64 v1, s0, 0, v130, s0
	flat_load_b128 v[0:3], v[0:1]
	s_waitcnt vmcnt(0) lgkmcnt(0)
	v_lshrrev_b32_e32 v21, 16, v0
	v_lshrrev_b32_e32 v12, 16, v1
	v_lshrrev_b32_e32 v4, 16, v2
	v_lshrrev_b32_e32 v5, 16, v3
	s_and_saveexec_b32 s10, vcc_lo
	s_cbranch_execz .LBB187_413
; %bb.412:                              ;   in Loop: Header=BB187_38 Depth=1
	v_cmp_lt_i32_e64 s0, v112, v86
	s_delay_alu instid0(VALU_DEP_1) | instskip(SKIP_1) | instid1(VALU_DEP_1)
	v_cndmask_b32_e64 v0, 0, v0, s0
	v_cmp_lt_i32_e64 s0, v128, v86
	v_cndmask_b32_e64 v21, 0, v21, s0
	v_cmp_lt_i32_e64 s0, v119, v86
	s_delay_alu instid0(VALU_DEP_1) | instskip(SKIP_1) | instid1(VALU_DEP_1)
	v_cndmask_b32_e64 v1, 0, v1, s0
	v_cmp_lt_i32_e64 s0, v118, v86
	v_cndmask_b32_e64 v12, 0, v12, s0
	;; [unrolled: 5-line block ×4, first 2 shown]
.LBB187_413:                            ;   in Loop: Header=BB187_38 Depth=1
	s_or_b32 exec_lo, exec_lo, s10
	v_lshlrev_b32_e32 v0, 16, v0
                                        ; implicit-def: $vgpr122
	s_delay_alu instid0(VALU_DEP_1) | instskip(NEXT) | instid1(VALU_DEP_1)
	v_mul_f32_e32 v0, v131, v0
	v_and_b32_e32 v25, 0x7f800000, v0
	s_delay_alu instid0(VALU_DEP_1) | instskip(NEXT) | instid1(VALU_DEP_1)
	v_cmp_ne_u32_e64 s0, 0x7f800000, v25
	s_and_saveexec_b32 s10, s0
	s_delay_alu instid0(SALU_CYCLE_1)
	s_xor_b32 s0, exec_lo, s10
; %bb.414:                              ;   in Loop: Header=BB187_38 Depth=1
	v_bfe_u32 v25, v0, 16, 1
	s_delay_alu instid0(VALU_DEP_1)
	v_add3_u32 v122, v0, v25, 0x7fff
                                        ; implicit-def: $vgpr0
; %bb.415:                              ;   in Loop: Header=BB187_38 Depth=1
	s_and_not1_saveexec_b32 s10, s0
; %bb.416:                              ;   in Loop: Header=BB187_38 Depth=1
	v_and_b32_e32 v25, 0xffff, v0
	v_or_b32_e32 v39, 0x10000, v0
	s_delay_alu instid0(VALU_DEP_2) | instskip(NEXT) | instid1(VALU_DEP_1)
	v_cmp_eq_u32_e64 s0, 0, v25
	v_cndmask_b32_e64 v122, v39, v0, s0
; %bb.417:                              ;   in Loop: Header=BB187_38 Depth=1
	s_or_b32 exec_lo, exec_lo, s10
	v_lshlrev_b32_e32 v0, 16, v21
                                        ; implicit-def: $vgpr123
	s_delay_alu instid0(VALU_DEP_1) | instskip(NEXT) | instid1(VALU_DEP_1)
	v_mul_f32_e32 v0, v132, v0
	v_and_b32_e32 v21, 0x7f800000, v0
	s_delay_alu instid0(VALU_DEP_1) | instskip(NEXT) | instid1(VALU_DEP_1)
	v_cmp_ne_u32_e64 s0, 0x7f800000, v21
	s_and_saveexec_b32 s10, s0
	s_delay_alu instid0(SALU_CYCLE_1)
	s_xor_b32 s0, exec_lo, s10
; %bb.418:                              ;   in Loop: Header=BB187_38 Depth=1
	v_bfe_u32 v21, v0, 16, 1
	s_delay_alu instid0(VALU_DEP_1)
	v_add3_u32 v123, v0, v21, 0x7fff
                                        ; implicit-def: $vgpr0
; %bb.419:                              ;   in Loop: Header=BB187_38 Depth=1
	s_and_not1_saveexec_b32 s10, s0
; %bb.420:                              ;   in Loop: Header=BB187_38 Depth=1
	v_and_b32_e32 v21, 0xffff, v0
	v_or_b32_e32 v25, 0x10000, v0
	s_delay_alu instid0(VALU_DEP_2) | instskip(NEXT) | instid1(VALU_DEP_1)
	v_cmp_eq_u32_e64 s0, 0, v21
	v_cndmask_b32_e64 v123, v25, v0, s0
; %bb.421:                              ;   in Loop: Header=BB187_38 Depth=1
	s_or_b32 exec_lo, exec_lo, s10
	v_lshlrev_b32_e32 v0, 16, v1
                                        ; implicit-def: $vgpr124
	s_delay_alu instid0(VALU_DEP_1) | instskip(NEXT) | instid1(VALU_DEP_1)
	v_mul_f32_e32 v0, v133, v0
	v_and_b32_e32 v1, 0x7f800000, v0
	s_delay_alu instid0(VALU_DEP_1) | instskip(NEXT) | instid1(VALU_DEP_1)
	v_cmp_ne_u32_e64 s0, 0x7f800000, v1
	s_and_saveexec_b32 s10, s0
	s_delay_alu instid0(SALU_CYCLE_1)
	s_xor_b32 s0, exec_lo, s10
; %bb.422:                              ;   in Loop: Header=BB187_38 Depth=1
	v_bfe_u32 v1, v0, 16, 1
	s_delay_alu instid0(VALU_DEP_1)
	v_add3_u32 v124, v0, v1, 0x7fff
                                        ; implicit-def: $vgpr0
; %bb.423:                              ;   in Loop: Header=BB187_38 Depth=1
	s_and_not1_saveexec_b32 s10, s0
; %bb.424:                              ;   in Loop: Header=BB187_38 Depth=1
	v_and_b32_e32 v1, 0xffff, v0
	v_or_b32_e32 v21, 0x10000, v0
	s_delay_alu instid0(VALU_DEP_2) | instskip(NEXT) | instid1(VALU_DEP_1)
	v_cmp_eq_u32_e64 s0, 0, v1
	v_cndmask_b32_e64 v124, v21, v0, s0
; %bb.425:                              ;   in Loop: Header=BB187_38 Depth=1
	s_or_b32 exec_lo, exec_lo, s10
	v_lshlrev_b32_e32 v0, 16, v12
                                        ; implicit-def: $vgpr125
	s_delay_alu instid0(VALU_DEP_1) | instskip(NEXT) | instid1(VALU_DEP_1)
	v_mul_f32_e32 v0, v134, v0
	v_and_b32_e32 v1, 0x7f800000, v0
	s_delay_alu instid0(VALU_DEP_1) | instskip(NEXT) | instid1(VALU_DEP_1)
	v_cmp_ne_u32_e64 s0, 0x7f800000, v1
	s_and_saveexec_b32 s10, s0
	s_delay_alu instid0(SALU_CYCLE_1)
	s_xor_b32 s0, exec_lo, s10
; %bb.426:                              ;   in Loop: Header=BB187_38 Depth=1
	v_bfe_u32 v1, v0, 16, 1
	s_delay_alu instid0(VALU_DEP_1)
	v_add3_u32 v125, v0, v1, 0x7fff
                                        ; implicit-def: $vgpr0
; %bb.427:                              ;   in Loop: Header=BB187_38 Depth=1
	s_and_not1_saveexec_b32 s10, s0
; %bb.428:                              ;   in Loop: Header=BB187_38 Depth=1
	v_and_b32_e32 v1, 0xffff, v0
	v_or_b32_e32 v12, 0x10000, v0
	s_delay_alu instid0(VALU_DEP_2) | instskip(NEXT) | instid1(VALU_DEP_1)
	v_cmp_eq_u32_e64 s0, 0, v1
	v_cndmask_b32_e64 v125, v12, v0, s0
; %bb.429:                              ;   in Loop: Header=BB187_38 Depth=1
	s_or_b32 exec_lo, exec_lo, s10
	v_lshlrev_b32_e32 v0, 16, v2
                                        ; implicit-def: $vgpr126
	s_delay_alu instid0(VALU_DEP_1) | instskip(NEXT) | instid1(VALU_DEP_1)
	v_mul_f32_e32 v0, v135, v0
	v_and_b32_e32 v1, 0x7f800000, v0
	s_delay_alu instid0(VALU_DEP_1) | instskip(NEXT) | instid1(VALU_DEP_1)
	v_cmp_ne_u32_e64 s0, 0x7f800000, v1
	s_and_saveexec_b32 s10, s0
	s_delay_alu instid0(SALU_CYCLE_1)
	s_xor_b32 s0, exec_lo, s10
; %bb.430:                              ;   in Loop: Header=BB187_38 Depth=1
	v_bfe_u32 v1, v0, 16, 1
	s_delay_alu instid0(VALU_DEP_1)
	v_add3_u32 v126, v0, v1, 0x7fff
                                        ; implicit-def: $vgpr0
; %bb.431:                              ;   in Loop: Header=BB187_38 Depth=1
	s_and_not1_saveexec_b32 s10, s0
; %bb.432:                              ;   in Loop: Header=BB187_38 Depth=1
	v_and_b32_e32 v1, 0xffff, v0
	v_or_b32_e32 v2, 0x10000, v0
	s_delay_alu instid0(VALU_DEP_2) | instskip(NEXT) | instid1(VALU_DEP_1)
	v_cmp_eq_u32_e64 s0, 0, v1
	v_cndmask_b32_e64 v126, v2, v0, s0
; %bb.433:                              ;   in Loop: Header=BB187_38 Depth=1
	s_or_b32 exec_lo, exec_lo, s10
	v_lshlrev_b32_e32 v0, 16, v4
                                        ; implicit-def: $vgpr127
	s_delay_alu instid0(VALU_DEP_1) | instskip(NEXT) | instid1(VALU_DEP_1)
	v_mul_f32_e32 v0, v144, v0
	v_and_b32_e32 v1, 0x7f800000, v0
	s_delay_alu instid0(VALU_DEP_1) | instskip(NEXT) | instid1(VALU_DEP_1)
	v_cmp_ne_u32_e64 s0, 0x7f800000, v1
	s_and_saveexec_b32 s10, s0
	s_delay_alu instid0(SALU_CYCLE_1)
	s_xor_b32 s0, exec_lo, s10
; %bb.434:                              ;   in Loop: Header=BB187_38 Depth=1
	v_bfe_u32 v1, v0, 16, 1
	s_delay_alu instid0(VALU_DEP_1)
	v_add3_u32 v127, v0, v1, 0x7fff
                                        ; implicit-def: $vgpr0
; %bb.435:                              ;   in Loop: Header=BB187_38 Depth=1
	s_and_not1_saveexec_b32 s10, s0
; %bb.436:                              ;   in Loop: Header=BB187_38 Depth=1
	v_and_b32_e32 v1, 0xffff, v0
	v_or_b32_e32 v2, 0x10000, v0
	s_delay_alu instid0(VALU_DEP_2) | instskip(NEXT) | instid1(VALU_DEP_1)
	v_cmp_eq_u32_e64 s0, 0, v1
	v_cndmask_b32_e64 v127, v2, v0, s0
; %bb.437:                              ;   in Loop: Header=BB187_38 Depth=1
	s_or_b32 exec_lo, exec_lo, s10
	v_lshlrev_b32_e32 v0, 16, v3
                                        ; implicit-def: $vgpr4
	s_delay_alu instid0(VALU_DEP_1) | instskip(NEXT) | instid1(VALU_DEP_1)
	v_mul_f32_e32 v0, v145, v0
	v_and_b32_e32 v1, 0x7f800000, v0
	s_delay_alu instid0(VALU_DEP_1) | instskip(NEXT) | instid1(VALU_DEP_1)
	v_cmp_ne_u32_e64 s0, 0x7f800000, v1
	s_and_saveexec_b32 s10, s0
	s_delay_alu instid0(SALU_CYCLE_1)
	s_xor_b32 s0, exec_lo, s10
; %bb.438:                              ;   in Loop: Header=BB187_38 Depth=1
	v_bfe_u32 v1, v0, 16, 1
	s_delay_alu instid0(VALU_DEP_1)
	v_add3_u32 v4, v0, v1, 0x7fff
                                        ; implicit-def: $vgpr0
; %bb.439:                              ;   in Loop: Header=BB187_38 Depth=1
	s_and_not1_saveexec_b32 s10, s0
; %bb.440:                              ;   in Loop: Header=BB187_38 Depth=1
	v_and_b32_e32 v1, 0xffff, v0
	v_or_b32_e32 v2, 0x10000, v0
	s_delay_alu instid0(VALU_DEP_2) | instskip(NEXT) | instid1(VALU_DEP_1)
	v_cmp_eq_u32_e64 s0, 0, v1
	v_cndmask_b32_e64 v4, v2, v0, s0
; %bb.441:                              ;   in Loop: Header=BB187_38 Depth=1
	s_or_b32 exec_lo, exec_lo, s10
	v_lshlrev_b32_e32 v0, 16, v5
                                        ; implicit-def: $vgpr5
	s_delay_alu instid0(VALU_DEP_1) | instskip(NEXT) | instid1(VALU_DEP_1)
	v_mul_f32_e32 v0, v146, v0
	v_and_b32_e32 v1, 0x7f800000, v0
	s_delay_alu instid0(VALU_DEP_1) | instskip(NEXT) | instid1(VALU_DEP_1)
	v_cmp_ne_u32_e64 s0, 0x7f800000, v1
	s_and_saveexec_b32 s10, s0
	s_delay_alu instid0(SALU_CYCLE_1)
	s_xor_b32 s0, exec_lo, s10
; %bb.442:                              ;   in Loop: Header=BB187_38 Depth=1
	v_bfe_u32 v1, v0, 16, 1
	s_delay_alu instid0(VALU_DEP_1)
	v_add3_u32 v5, v0, v1, 0x7fff
                                        ; implicit-def: $vgpr0
; %bb.443:                              ;   in Loop: Header=BB187_38 Depth=1
	s_and_not1_saveexec_b32 s10, s0
; %bb.444:                              ;   in Loop: Header=BB187_38 Depth=1
	v_and_b32_e32 v1, 0xffff, v0
	v_or_b32_e32 v2, 0x10000, v0
	s_delay_alu instid0(VALU_DEP_2) | instskip(NEXT) | instid1(VALU_DEP_1)
	v_cmp_eq_u32_e64 s0, 0, v1
	v_cndmask_b32_e64 v5, v2, v0, s0
; %bb.445:                              ;   in Loop: Header=BB187_38 Depth=1
	s_or_b32 exec_lo, exec_lo, s10
	v_add_co_u32 v0, s0, v129, v55
	s_delay_alu instid0(VALU_DEP_1)
	v_add_co_ci_u32_e64 v1, s0, 0, v130, s0
	flat_load_b128 v[0:3], v[0:1]
	s_waitcnt vmcnt(0) lgkmcnt(0)
	v_lshrrev_b32_e32 v21, 16, v0
	v_lshrrev_b32_e32 v25, 16, v1
	;; [unrolled: 1-line block ×4, first 2 shown]
	s_and_saveexec_b32 s10, vcc_lo
	s_cbranch_execz .LBB187_447
; %bb.446:                              ;   in Loop: Header=BB187_38 Depth=1
	v_cmp_lt_i32_e64 s0, v112, v86
	s_delay_alu instid0(VALU_DEP_1) | instskip(SKIP_1) | instid1(VALU_DEP_1)
	v_cndmask_b32_e64 v0, 0, v0, s0
	v_cmp_lt_i32_e64 s0, v128, v86
	v_cndmask_b32_e64 v21, 0, v21, s0
	v_cmp_lt_i32_e64 s0, v119, v86
	s_delay_alu instid0(VALU_DEP_1) | instskip(SKIP_1) | instid1(VALU_DEP_1)
	v_cndmask_b32_e64 v1, 0, v1, s0
	v_cmp_lt_i32_e64 s0, v118, v86
	v_cndmask_b32_e64 v25, 0, v25, s0
	;; [unrolled: 5-line block ×4, first 2 shown]
.LBB187_447:                            ;   in Loop: Header=BB187_38 Depth=1
	s_or_b32 exec_lo, exec_lo, s10
	v_lshlrev_b32_e32 v0, 16, v0
	s_delay_alu instid0(VALU_DEP_1) | instskip(NEXT) | instid1(VALU_DEP_1)
	v_mul_f32_e32 v0, v131, v0
	v_and_b32_e32 v12, 0x7f800000, v0
	s_delay_alu instid0(VALU_DEP_1) | instskip(NEXT) | instid1(VALU_DEP_1)
	v_cmp_ne_u32_e64 s0, 0x7f800000, v12
                                        ; implicit-def: $vgpr12
	s_and_saveexec_b32 s10, s0
	s_delay_alu instid0(SALU_CYCLE_1)
	s_xor_b32 s0, exec_lo, s10
; %bb.448:                              ;   in Loop: Header=BB187_38 Depth=1
	v_bfe_u32 v12, v0, 16, 1
	s_delay_alu instid0(VALU_DEP_1)
	v_add3_u32 v12, v0, v12, 0x7fff
                                        ; implicit-def: $vgpr0
; %bb.449:                              ;   in Loop: Header=BB187_38 Depth=1
	s_and_not1_saveexec_b32 s10, s0
; %bb.450:                              ;   in Loop: Header=BB187_38 Depth=1
	v_and_b32_e32 v12, 0xffff, v0
	v_or_b32_e32 v39, 0x10000, v0
	s_delay_alu instid0(VALU_DEP_2) | instskip(NEXT) | instid1(VALU_DEP_1)
	v_cmp_eq_u32_e64 s0, 0, v12
	v_cndmask_b32_e64 v12, v39, v0, s0
; %bb.451:                              ;   in Loop: Header=BB187_38 Depth=1
	s_or_b32 exec_lo, exec_lo, s10
	v_lshlrev_b32_e32 v0, 16, v21
	s_delay_alu instid0(VALU_DEP_1) | instskip(NEXT) | instid1(VALU_DEP_1)
	v_mul_f32_e32 v0, v132, v0
	v_and_b32_e32 v21, 0x7f800000, v0
	s_delay_alu instid0(VALU_DEP_1) | instskip(NEXT) | instid1(VALU_DEP_1)
	v_cmp_ne_u32_e64 s0, 0x7f800000, v21
                                        ; implicit-def: $vgpr21
	s_and_saveexec_b32 s10, s0
	s_delay_alu instid0(SALU_CYCLE_1)
	s_xor_b32 s0, exec_lo, s10
; %bb.452:                              ;   in Loop: Header=BB187_38 Depth=1
	v_bfe_u32 v21, v0, 16, 1
	s_delay_alu instid0(VALU_DEP_1)
	v_add3_u32 v21, v0, v21, 0x7fff
                                        ; implicit-def: $vgpr0
; %bb.453:                              ;   in Loop: Header=BB187_38 Depth=1
	s_and_not1_saveexec_b32 s10, s0
; %bb.454:                              ;   in Loop: Header=BB187_38 Depth=1
	v_and_b32_e32 v21, 0xffff, v0
	v_or_b32_e32 v39, 0x10000, v0
	s_delay_alu instid0(VALU_DEP_2) | instskip(NEXT) | instid1(VALU_DEP_1)
	v_cmp_eq_u32_e64 s0, 0, v21
	v_cndmask_b32_e64 v21, v39, v0, s0
; %bb.455:                              ;   in Loop: Header=BB187_38 Depth=1
	s_or_b32 exec_lo, exec_lo, s10
	v_lshlrev_b32_e32 v0, 16, v1
                                        ; implicit-def: $vgpr39
	s_delay_alu instid0(VALU_DEP_1) | instskip(NEXT) | instid1(VALU_DEP_1)
	v_mul_f32_e32 v0, v133, v0
	v_and_b32_e32 v1, 0x7f800000, v0
	s_delay_alu instid0(VALU_DEP_1) | instskip(NEXT) | instid1(VALU_DEP_1)
	v_cmp_ne_u32_e64 s0, 0x7f800000, v1
	s_and_saveexec_b32 s10, s0
	s_delay_alu instid0(SALU_CYCLE_1)
	s_xor_b32 s0, exec_lo, s10
; %bb.456:                              ;   in Loop: Header=BB187_38 Depth=1
	v_bfe_u32 v1, v0, 16, 1
	s_delay_alu instid0(VALU_DEP_1)
	v_add3_u32 v39, v0, v1, 0x7fff
                                        ; implicit-def: $vgpr0
; %bb.457:                              ;   in Loop: Header=BB187_38 Depth=1
	s_and_not1_saveexec_b32 s10, s0
; %bb.458:                              ;   in Loop: Header=BB187_38 Depth=1
	v_and_b32_e32 v1, 0xffff, v0
	v_or_b32_e32 v39, 0x10000, v0
	s_delay_alu instid0(VALU_DEP_2) | instskip(NEXT) | instid1(VALU_DEP_1)
	v_cmp_eq_u32_e64 s0, 0, v1
	v_cndmask_b32_e64 v39, v39, v0, s0
; %bb.459:                              ;   in Loop: Header=BB187_38 Depth=1
	s_or_b32 exec_lo, exec_lo, s10
	v_lshlrev_b32_e32 v0, 16, v25
                                        ; implicit-def: $vgpr136
	s_delay_alu instid0(VALU_DEP_1) | instskip(NEXT) | instid1(VALU_DEP_1)
	v_mul_f32_e32 v0, v134, v0
	v_and_b32_e32 v1, 0x7f800000, v0
	s_delay_alu instid0(VALU_DEP_1) | instskip(NEXT) | instid1(VALU_DEP_1)
	v_cmp_ne_u32_e64 s0, 0x7f800000, v1
	s_and_saveexec_b32 s10, s0
	s_delay_alu instid0(SALU_CYCLE_1)
	s_xor_b32 s0, exec_lo, s10
; %bb.460:                              ;   in Loop: Header=BB187_38 Depth=1
	v_bfe_u32 v1, v0, 16, 1
	s_delay_alu instid0(VALU_DEP_1)
	v_add3_u32 v136, v0, v1, 0x7fff
                                        ; implicit-def: $vgpr0
; %bb.461:                              ;   in Loop: Header=BB187_38 Depth=1
	s_and_not1_saveexec_b32 s10, s0
; %bb.462:                              ;   in Loop: Header=BB187_38 Depth=1
	v_and_b32_e32 v1, 0xffff, v0
	v_or_b32_e32 v25, 0x10000, v0
	s_delay_alu instid0(VALU_DEP_2) | instskip(NEXT) | instid1(VALU_DEP_1)
	v_cmp_eq_u32_e64 s0, 0, v1
	v_cndmask_b32_e64 v136, v25, v0, s0
; %bb.463:                              ;   in Loop: Header=BB187_38 Depth=1
	s_or_b32 exec_lo, exec_lo, s10
	v_lshlrev_b32_e32 v0, 16, v2
                                        ; implicit-def: $vgpr25
	s_delay_alu instid0(VALU_DEP_1) | instskip(NEXT) | instid1(VALU_DEP_1)
	v_mul_f32_e32 v0, v135, v0
	v_and_b32_e32 v1, 0x7f800000, v0
	s_delay_alu instid0(VALU_DEP_1) | instskip(NEXT) | instid1(VALU_DEP_1)
	v_cmp_ne_u32_e64 s0, 0x7f800000, v1
	s_and_saveexec_b32 s10, s0
	s_delay_alu instid0(SALU_CYCLE_1)
	s_xor_b32 s0, exec_lo, s10
; %bb.464:                              ;   in Loop: Header=BB187_38 Depth=1
	v_bfe_u32 v1, v0, 16, 1
	s_delay_alu instid0(VALU_DEP_1)
	v_add3_u32 v25, v0, v1, 0x7fff
                                        ; implicit-def: $vgpr0
; %bb.465:                              ;   in Loop: Header=BB187_38 Depth=1
	s_and_not1_saveexec_b32 s10, s0
; %bb.466:                              ;   in Loop: Header=BB187_38 Depth=1
	v_and_b32_e32 v1, 0xffff, v0
	v_or_b32_e32 v2, 0x10000, v0
	s_delay_alu instid0(VALU_DEP_2) | instskip(NEXT) | instid1(VALU_DEP_1)
	v_cmp_eq_u32_e64 s0, 0, v1
	v_cndmask_b32_e64 v25, v2, v0, s0
; %bb.467:                              ;   in Loop: Header=BB187_38 Depth=1
	s_or_b32 exec_lo, exec_lo, s10
	v_lshlrev_b32_e32 v0, 16, v96
                                        ; implicit-def: $vgpr96
	s_delay_alu instid0(VALU_DEP_1) | instskip(NEXT) | instid1(VALU_DEP_1)
	v_mul_f32_e32 v0, v144, v0
	v_and_b32_e32 v1, 0x7f800000, v0
	s_delay_alu instid0(VALU_DEP_1) | instskip(NEXT) | instid1(VALU_DEP_1)
	v_cmp_ne_u32_e64 s0, 0x7f800000, v1
	s_and_saveexec_b32 s10, s0
	s_delay_alu instid0(SALU_CYCLE_1)
	s_xor_b32 s0, exec_lo, s10
; %bb.468:                              ;   in Loop: Header=BB187_38 Depth=1
	v_bfe_u32 v1, v0, 16, 1
	s_delay_alu instid0(VALU_DEP_1)
	v_add3_u32 v96, v0, v1, 0x7fff
                                        ; implicit-def: $vgpr0
; %bb.469:                              ;   in Loop: Header=BB187_38 Depth=1
	s_and_not1_saveexec_b32 s10, s0
; %bb.470:                              ;   in Loop: Header=BB187_38 Depth=1
	v_and_b32_e32 v1, 0xffff, v0
	v_or_b32_e32 v2, 0x10000, v0
	s_delay_alu instid0(VALU_DEP_2) | instskip(NEXT) | instid1(VALU_DEP_1)
	v_cmp_eq_u32_e64 s0, 0, v1
	v_cndmask_b32_e64 v96, v2, v0, s0
; %bb.471:                              ;   in Loop: Header=BB187_38 Depth=1
	s_or_b32 exec_lo, exec_lo, s10
	v_lshlrev_b32_e32 v0, 16, v3
                                        ; implicit-def: $vgpr97
	s_delay_alu instid0(VALU_DEP_1) | instskip(NEXT) | instid1(VALU_DEP_1)
	v_mul_f32_e32 v0, v145, v0
	v_and_b32_e32 v1, 0x7f800000, v0
	s_delay_alu instid0(VALU_DEP_1) | instskip(NEXT) | instid1(VALU_DEP_1)
	v_cmp_ne_u32_e64 s0, 0x7f800000, v1
	s_and_saveexec_b32 s10, s0
	s_delay_alu instid0(SALU_CYCLE_1)
	s_xor_b32 s0, exec_lo, s10
; %bb.472:                              ;   in Loop: Header=BB187_38 Depth=1
	v_bfe_u32 v1, v0, 16, 1
	s_delay_alu instid0(VALU_DEP_1)
	v_add3_u32 v97, v0, v1, 0x7fff
                                        ; implicit-def: $vgpr0
; %bb.473:                              ;   in Loop: Header=BB187_38 Depth=1
	s_and_not1_saveexec_b32 s10, s0
; %bb.474:                              ;   in Loop: Header=BB187_38 Depth=1
	v_and_b32_e32 v1, 0xffff, v0
	v_or_b32_e32 v2, 0x10000, v0
	s_delay_alu instid0(VALU_DEP_2) | instskip(NEXT) | instid1(VALU_DEP_1)
	v_cmp_eq_u32_e64 s0, 0, v1
	v_cndmask_b32_e64 v97, v2, v0, s0
; %bb.475:                              ;   in Loop: Header=BB187_38 Depth=1
	s_or_b32 exec_lo, exec_lo, s10
	v_lshlrev_b32_e32 v0, 16, v137
                                        ; implicit-def: $vgpr137
	s_delay_alu instid0(VALU_DEP_1) | instskip(NEXT) | instid1(VALU_DEP_1)
	v_mul_f32_e32 v0, v146, v0
	v_and_b32_e32 v1, 0x7f800000, v0
	s_delay_alu instid0(VALU_DEP_1) | instskip(NEXT) | instid1(VALU_DEP_1)
	v_cmp_ne_u32_e64 s0, 0x7f800000, v1
	s_and_saveexec_b32 s10, s0
	s_delay_alu instid0(SALU_CYCLE_1)
	s_xor_b32 s0, exec_lo, s10
; %bb.476:                              ;   in Loop: Header=BB187_38 Depth=1
	v_bfe_u32 v1, v0, 16, 1
	s_delay_alu instid0(VALU_DEP_1)
	v_add3_u32 v137, v0, v1, 0x7fff
                                        ; implicit-def: $vgpr0
; %bb.477:                              ;   in Loop: Header=BB187_38 Depth=1
	s_and_not1_saveexec_b32 s10, s0
; %bb.478:                              ;   in Loop: Header=BB187_38 Depth=1
	v_and_b32_e32 v1, 0xffff, v0
	v_or_b32_e32 v2, 0x10000, v0
	s_delay_alu instid0(VALU_DEP_2) | instskip(NEXT) | instid1(VALU_DEP_1)
	v_cmp_eq_u32_e64 s0, 0, v1
	v_cndmask_b32_e64 v137, v2, v0, s0
; %bb.479:                              ;   in Loop: Header=BB187_38 Depth=1
	s_or_b32 exec_lo, exec_lo, s10
	v_add_co_u32 v0, s0, v129, v64
	s_delay_alu instid0(VALU_DEP_1)
	v_add_co_ci_u32_e64 v1, s0, 0, v130, s0
	flat_load_b128 v[0:3], v[0:1]
	s_waitcnt vmcnt(0) lgkmcnt(0)
	v_lshrrev_b32_e32 v139, 16, v0
	v_lshrrev_b32_e32 v141, 16, v1
	;; [unrolled: 1-line block ×4, first 2 shown]
	s_and_saveexec_b32 s10, vcc_lo
	s_cbranch_execz .LBB187_481
; %bb.480:                              ;   in Loop: Header=BB187_38 Depth=1
	v_cmp_lt_i32_e64 s0, v112, v86
	s_delay_alu instid0(VALU_DEP_1) | instskip(SKIP_1) | instid1(VALU_DEP_1)
	v_cndmask_b32_e64 v0, 0, v0, s0
	v_cmp_lt_i32_e64 s0, v128, v86
	v_cndmask_b32_e64 v139, 0, v139, s0
	v_cmp_lt_i32_e64 s0, v119, v86
	s_delay_alu instid0(VALU_DEP_1) | instskip(SKIP_1) | instid1(VALU_DEP_1)
	v_cndmask_b32_e64 v1, 0, v1, s0
	v_cmp_lt_i32_e64 s0, v118, v86
	v_cndmask_b32_e64 v141, 0, v141, s0
	;; [unrolled: 5-line block ×4, first 2 shown]
.LBB187_481:                            ;   in Loop: Header=BB187_38 Depth=1
	s_or_b32 exec_lo, exec_lo, s10
	v_lshlrev_b32_e32 v0, 16, v0
	s_delay_alu instid0(VALU_DEP_1) | instskip(NEXT) | instid1(VALU_DEP_1)
	v_mul_f32_e32 v0, v131, v0
	v_and_b32_e32 v138, 0x7f800000, v0
	s_delay_alu instid0(VALU_DEP_1) | instskip(NEXT) | instid1(VALU_DEP_1)
	v_cmp_ne_u32_e64 s0, 0x7f800000, v138
                                        ; implicit-def: $vgpr138
	s_and_saveexec_b32 s10, s0
	s_delay_alu instid0(SALU_CYCLE_1)
	s_xor_b32 s0, exec_lo, s10
; %bb.482:                              ;   in Loop: Header=BB187_38 Depth=1
	v_bfe_u32 v138, v0, 16, 1
	s_delay_alu instid0(VALU_DEP_1)
	v_add3_u32 v138, v0, v138, 0x7fff
                                        ; implicit-def: $vgpr0
; %bb.483:                              ;   in Loop: Header=BB187_38 Depth=1
	s_and_not1_saveexec_b32 s10, s0
; %bb.484:                              ;   in Loop: Header=BB187_38 Depth=1
	v_and_b32_e32 v138, 0xffff, v0
	v_or_b32_e32 v140, 0x10000, v0
	s_delay_alu instid0(VALU_DEP_2) | instskip(NEXT) | instid1(VALU_DEP_1)
	v_cmp_eq_u32_e64 s0, 0, v138
	v_cndmask_b32_e64 v138, v140, v0, s0
; %bb.485:                              ;   in Loop: Header=BB187_38 Depth=1
	s_or_b32 exec_lo, exec_lo, s10
	v_lshlrev_b32_e32 v0, 16, v139
	s_delay_alu instid0(VALU_DEP_1) | instskip(NEXT) | instid1(VALU_DEP_1)
	v_mul_f32_e32 v0, v132, v0
	v_and_b32_e32 v139, 0x7f800000, v0
	s_delay_alu instid0(VALU_DEP_1) | instskip(NEXT) | instid1(VALU_DEP_1)
	v_cmp_ne_u32_e64 s0, 0x7f800000, v139
                                        ; implicit-def: $vgpr139
	s_and_saveexec_b32 s10, s0
	s_delay_alu instid0(SALU_CYCLE_1)
	s_xor_b32 s0, exec_lo, s10
; %bb.486:                              ;   in Loop: Header=BB187_38 Depth=1
	v_bfe_u32 v139, v0, 16, 1
	s_delay_alu instid0(VALU_DEP_1)
	v_add3_u32 v139, v0, v139, 0x7fff
                                        ; implicit-def: $vgpr0
; %bb.487:                              ;   in Loop: Header=BB187_38 Depth=1
	s_and_not1_saveexec_b32 s10, s0
; %bb.488:                              ;   in Loop: Header=BB187_38 Depth=1
	v_and_b32_e32 v139, 0xffff, v0
	v_or_b32_e32 v140, 0x10000, v0
	s_delay_alu instid0(VALU_DEP_2) | instskip(NEXT) | instid1(VALU_DEP_1)
	v_cmp_eq_u32_e64 s0, 0, v139
	v_cndmask_b32_e64 v139, v140, v0, s0
; %bb.489:                              ;   in Loop: Header=BB187_38 Depth=1
	s_or_b32 exec_lo, exec_lo, s10
	v_lshlrev_b32_e32 v0, 16, v1
                                        ; implicit-def: $vgpr140
	s_delay_alu instid0(VALU_DEP_1) | instskip(NEXT) | instid1(VALU_DEP_1)
	v_mul_f32_e32 v0, v133, v0
	v_and_b32_e32 v1, 0x7f800000, v0
	s_delay_alu instid0(VALU_DEP_1) | instskip(NEXT) | instid1(VALU_DEP_1)
	v_cmp_ne_u32_e64 s0, 0x7f800000, v1
	s_and_saveexec_b32 s10, s0
	s_delay_alu instid0(SALU_CYCLE_1)
	s_xor_b32 s0, exec_lo, s10
; %bb.490:                              ;   in Loop: Header=BB187_38 Depth=1
	v_bfe_u32 v1, v0, 16, 1
	s_delay_alu instid0(VALU_DEP_1)
	v_add3_u32 v140, v0, v1, 0x7fff
                                        ; implicit-def: $vgpr0
; %bb.491:                              ;   in Loop: Header=BB187_38 Depth=1
	s_and_not1_saveexec_b32 s10, s0
; %bb.492:                              ;   in Loop: Header=BB187_38 Depth=1
	v_and_b32_e32 v1, 0xffff, v0
	v_or_b32_e32 v140, 0x10000, v0
	s_delay_alu instid0(VALU_DEP_2) | instskip(NEXT) | instid1(VALU_DEP_1)
	v_cmp_eq_u32_e64 s0, 0, v1
	v_cndmask_b32_e64 v140, v140, v0, s0
; %bb.493:                              ;   in Loop: Header=BB187_38 Depth=1
	s_or_b32 exec_lo, exec_lo, s10
	v_lshlrev_b32_e32 v0, 16, v141
                                        ; implicit-def: $vgpr141
	s_delay_alu instid0(VALU_DEP_1) | instskip(NEXT) | instid1(VALU_DEP_1)
	v_mul_f32_e32 v0, v134, v0
	v_and_b32_e32 v1, 0x7f800000, v0
	s_delay_alu instid0(VALU_DEP_1) | instskip(NEXT) | instid1(VALU_DEP_1)
	v_cmp_ne_u32_e64 s0, 0x7f800000, v1
	s_and_saveexec_b32 s10, s0
	s_delay_alu instid0(SALU_CYCLE_1)
	s_xor_b32 s0, exec_lo, s10
; %bb.494:                              ;   in Loop: Header=BB187_38 Depth=1
	v_bfe_u32 v1, v0, 16, 1
	s_delay_alu instid0(VALU_DEP_1)
	v_add3_u32 v141, v0, v1, 0x7fff
                                        ; implicit-def: $vgpr0
; %bb.495:                              ;   in Loop: Header=BB187_38 Depth=1
	s_and_not1_saveexec_b32 s10, s0
; %bb.496:                              ;   in Loop: Header=BB187_38 Depth=1
	v_and_b32_e32 v1, 0xffff, v0
	v_or_b32_e32 v141, 0x10000, v0
	s_delay_alu instid0(VALU_DEP_2) | instskip(NEXT) | instid1(VALU_DEP_1)
	v_cmp_eq_u32_e64 s0, 0, v1
	v_cndmask_b32_e64 v141, v141, v0, s0
; %bb.497:                              ;   in Loop: Header=BB187_38 Depth=1
	s_or_b32 exec_lo, exec_lo, s10
	v_lshlrev_b32_e32 v0, 16, v2
                                        ; implicit-def: $vgpr142
	s_delay_alu instid0(VALU_DEP_1) | instskip(NEXT) | instid1(VALU_DEP_1)
	v_mul_f32_e32 v0, v135, v0
	v_and_b32_e32 v1, 0x7f800000, v0
	s_delay_alu instid0(VALU_DEP_1) | instskip(NEXT) | instid1(VALU_DEP_1)
	v_cmp_ne_u32_e64 s0, 0x7f800000, v1
	s_and_saveexec_b32 s10, s0
	s_delay_alu instid0(SALU_CYCLE_1)
	s_xor_b32 s0, exec_lo, s10
; %bb.498:                              ;   in Loop: Header=BB187_38 Depth=1
	v_bfe_u32 v1, v0, 16, 1
	s_delay_alu instid0(VALU_DEP_1)
	v_add3_u32 v142, v0, v1, 0x7fff
                                        ; implicit-def: $vgpr0
; %bb.499:                              ;   in Loop: Header=BB187_38 Depth=1
	s_and_not1_saveexec_b32 s10, s0
; %bb.500:                              ;   in Loop: Header=BB187_38 Depth=1
	v_and_b32_e32 v1, 0xffff, v0
	v_or_b32_e32 v2, 0x10000, v0
	s_delay_alu instid0(VALU_DEP_2) | instskip(NEXT) | instid1(VALU_DEP_1)
	v_cmp_eq_u32_e64 s0, 0, v1
	v_cndmask_b32_e64 v142, v2, v0, s0
; %bb.501:                              ;   in Loop: Header=BB187_38 Depth=1
	s_or_b32 exec_lo, exec_lo, s10
	v_lshlrev_b32_e32 v0, 16, v143
                                        ; implicit-def: $vgpr143
	s_delay_alu instid0(VALU_DEP_1) | instskip(NEXT) | instid1(VALU_DEP_1)
	v_mul_f32_e32 v0, v144, v0
	v_and_b32_e32 v1, 0x7f800000, v0
	s_delay_alu instid0(VALU_DEP_1) | instskip(NEXT) | instid1(VALU_DEP_1)
	v_cmp_ne_u32_e64 s0, 0x7f800000, v1
	s_and_saveexec_b32 s10, s0
	s_delay_alu instid0(SALU_CYCLE_1)
	s_xor_b32 s0, exec_lo, s10
; %bb.502:                              ;   in Loop: Header=BB187_38 Depth=1
	v_bfe_u32 v1, v0, 16, 1
	s_delay_alu instid0(VALU_DEP_1)
	v_add3_u32 v143, v0, v1, 0x7fff
                                        ; implicit-def: $vgpr0
; %bb.503:                              ;   in Loop: Header=BB187_38 Depth=1
	s_and_not1_saveexec_b32 s10, s0
; %bb.504:                              ;   in Loop: Header=BB187_38 Depth=1
	v_and_b32_e32 v1, 0xffff, v0
	v_or_b32_e32 v2, 0x10000, v0
	s_delay_alu instid0(VALU_DEP_2) | instskip(NEXT) | instid1(VALU_DEP_1)
	v_cmp_eq_u32_e64 s0, 0, v1
	v_cndmask_b32_e64 v143, v2, v0, s0
; %bb.505:                              ;   in Loop: Header=BB187_38 Depth=1
	s_or_b32 exec_lo, exec_lo, s10
	v_lshlrev_b32_e32 v0, 16, v3
                                        ; implicit-def: $vgpr152
	s_delay_alu instid0(VALU_DEP_1) | instskip(NEXT) | instid1(VALU_DEP_1)
	v_mul_f32_e32 v0, v145, v0
	v_and_b32_e32 v1, 0x7f800000, v0
	s_delay_alu instid0(VALU_DEP_1) | instskip(NEXT) | instid1(VALU_DEP_1)
	v_cmp_ne_u32_e64 s0, 0x7f800000, v1
	s_and_saveexec_b32 s10, s0
	s_delay_alu instid0(SALU_CYCLE_1)
	s_xor_b32 s0, exec_lo, s10
; %bb.506:                              ;   in Loop: Header=BB187_38 Depth=1
	v_bfe_u32 v1, v0, 16, 1
	s_delay_alu instid0(VALU_DEP_1)
	v_add3_u32 v152, v0, v1, 0x7fff
                                        ; implicit-def: $vgpr0
; %bb.507:                              ;   in Loop: Header=BB187_38 Depth=1
	s_and_not1_saveexec_b32 s10, s0
; %bb.508:                              ;   in Loop: Header=BB187_38 Depth=1
	v_and_b32_e32 v1, 0xffff, v0
	v_or_b32_e32 v2, 0x10000, v0
	s_delay_alu instid0(VALU_DEP_2) | instskip(NEXT) | instid1(VALU_DEP_1)
	v_cmp_eq_u32_e64 s0, 0, v1
	v_cndmask_b32_e64 v152, v2, v0, s0
; %bb.509:                              ;   in Loop: Header=BB187_38 Depth=1
	s_or_b32 exec_lo, exec_lo, s10
	v_lshlrev_b32_e32 v0, 16, v153
                                        ; implicit-def: $vgpr153
	s_delay_alu instid0(VALU_DEP_1) | instskip(NEXT) | instid1(VALU_DEP_1)
	v_mul_f32_e32 v0, v146, v0
	v_and_b32_e32 v1, 0x7f800000, v0
	s_delay_alu instid0(VALU_DEP_1) | instskip(NEXT) | instid1(VALU_DEP_1)
	v_cmp_ne_u32_e64 s0, 0x7f800000, v1
	s_and_saveexec_b32 s10, s0
	s_delay_alu instid0(SALU_CYCLE_1)
	s_xor_b32 s0, exec_lo, s10
; %bb.510:                              ;   in Loop: Header=BB187_38 Depth=1
	v_bfe_u32 v1, v0, 16, 1
	s_delay_alu instid0(VALU_DEP_1)
	v_add3_u32 v153, v0, v1, 0x7fff
                                        ; implicit-def: $vgpr0
; %bb.511:                              ;   in Loop: Header=BB187_38 Depth=1
	s_and_not1_saveexec_b32 s10, s0
; %bb.512:                              ;   in Loop: Header=BB187_38 Depth=1
	v_and_b32_e32 v1, 0xffff, v0
	v_or_b32_e32 v2, 0x10000, v0
	s_delay_alu instid0(VALU_DEP_2) | instskip(NEXT) | instid1(VALU_DEP_1)
	v_cmp_eq_u32_e64 s0, 0, v1
	v_cndmask_b32_e64 v153, v2, v0, s0
; %bb.513:                              ;   in Loop: Header=BB187_38 Depth=1
	s_or_b32 exec_lo, exec_lo, s10
	v_add_co_u32 v0, s0, v129, v65
	s_delay_alu instid0(VALU_DEP_1)
	v_add_co_ci_u32_e64 v1, s0, 0, v130, s0
	flat_load_b128 v[0:3], v[0:1]
	s_waitcnt vmcnt(0) lgkmcnt(0)
	v_lshrrev_b32_e32 v155, 16, v0
	v_lshrrev_b32_e32 v157, 16, v1
	;; [unrolled: 1-line block ×4, first 2 shown]
	s_and_saveexec_b32 s10, vcc_lo
	s_cbranch_execz .LBB187_515
; %bb.514:                              ;   in Loop: Header=BB187_38 Depth=1
	v_cmp_lt_i32_e64 s0, v112, v86
	s_delay_alu instid0(VALU_DEP_1) | instskip(SKIP_1) | instid1(VALU_DEP_1)
	v_cndmask_b32_e64 v0, 0, v0, s0
	v_cmp_lt_i32_e64 s0, v128, v86
	v_cndmask_b32_e64 v155, 0, v155, s0
	v_cmp_lt_i32_e64 s0, v119, v86
	s_delay_alu instid0(VALU_DEP_1) | instskip(SKIP_1) | instid1(VALU_DEP_1)
	v_cndmask_b32_e64 v1, 0, v1, s0
	v_cmp_lt_i32_e64 s0, v118, v86
	v_cndmask_b32_e64 v157, 0, v157, s0
	;; [unrolled: 5-line block ×4, first 2 shown]
.LBB187_515:                            ;   in Loop: Header=BB187_38 Depth=1
	s_or_b32 exec_lo, exec_lo, s10
	v_lshlrev_b32_e32 v0, 16, v0
	s_delay_alu instid0(VALU_DEP_1) | instskip(NEXT) | instid1(VALU_DEP_1)
	v_mul_f32_e32 v0, v131, v0
	v_and_b32_e32 v154, 0x7f800000, v0
	s_delay_alu instid0(VALU_DEP_1) | instskip(NEXT) | instid1(VALU_DEP_1)
	v_cmp_ne_u32_e64 s0, 0x7f800000, v154
                                        ; implicit-def: $vgpr154
	s_and_saveexec_b32 s10, s0
	s_delay_alu instid0(SALU_CYCLE_1)
	s_xor_b32 s0, exec_lo, s10
; %bb.516:                              ;   in Loop: Header=BB187_38 Depth=1
	v_bfe_u32 v154, v0, 16, 1
	s_delay_alu instid0(VALU_DEP_1)
	v_add3_u32 v154, v0, v154, 0x7fff
                                        ; implicit-def: $vgpr0
; %bb.517:                              ;   in Loop: Header=BB187_38 Depth=1
	s_and_not1_saveexec_b32 s10, s0
; %bb.518:                              ;   in Loop: Header=BB187_38 Depth=1
	v_and_b32_e32 v154, 0xffff, v0
	v_or_b32_e32 v156, 0x10000, v0
	s_delay_alu instid0(VALU_DEP_2) | instskip(NEXT) | instid1(VALU_DEP_1)
	v_cmp_eq_u32_e64 s0, 0, v154
	v_cndmask_b32_e64 v154, v156, v0, s0
; %bb.519:                              ;   in Loop: Header=BB187_38 Depth=1
	s_or_b32 exec_lo, exec_lo, s10
	v_lshlrev_b32_e32 v0, 16, v155
	s_delay_alu instid0(VALU_DEP_1) | instskip(NEXT) | instid1(VALU_DEP_1)
	v_mul_f32_e32 v0, v132, v0
	v_and_b32_e32 v155, 0x7f800000, v0
	s_delay_alu instid0(VALU_DEP_1) | instskip(NEXT) | instid1(VALU_DEP_1)
	v_cmp_ne_u32_e64 s0, 0x7f800000, v155
                                        ; implicit-def: $vgpr155
	s_and_saveexec_b32 s10, s0
	s_delay_alu instid0(SALU_CYCLE_1)
	s_xor_b32 s0, exec_lo, s10
; %bb.520:                              ;   in Loop: Header=BB187_38 Depth=1
	v_bfe_u32 v155, v0, 16, 1
	s_delay_alu instid0(VALU_DEP_1)
	v_add3_u32 v155, v0, v155, 0x7fff
                                        ; implicit-def: $vgpr0
; %bb.521:                              ;   in Loop: Header=BB187_38 Depth=1
	s_and_not1_saveexec_b32 s10, s0
; %bb.522:                              ;   in Loop: Header=BB187_38 Depth=1
	v_and_b32_e32 v155, 0xffff, v0
	v_or_b32_e32 v156, 0x10000, v0
	s_delay_alu instid0(VALU_DEP_2) | instskip(NEXT) | instid1(VALU_DEP_1)
	v_cmp_eq_u32_e64 s0, 0, v155
	v_cndmask_b32_e64 v155, v156, v0, s0
; %bb.523:                              ;   in Loop: Header=BB187_38 Depth=1
	s_or_b32 exec_lo, exec_lo, s10
	v_lshlrev_b32_e32 v0, 16, v1
                                        ; implicit-def: $vgpr156
	s_delay_alu instid0(VALU_DEP_1) | instskip(NEXT) | instid1(VALU_DEP_1)
	v_mul_f32_e32 v0, v133, v0
	v_and_b32_e32 v1, 0x7f800000, v0
	s_delay_alu instid0(VALU_DEP_1) | instskip(NEXT) | instid1(VALU_DEP_1)
	v_cmp_ne_u32_e64 s0, 0x7f800000, v1
	s_and_saveexec_b32 s10, s0
	s_delay_alu instid0(SALU_CYCLE_1)
	s_xor_b32 s0, exec_lo, s10
; %bb.524:                              ;   in Loop: Header=BB187_38 Depth=1
	v_bfe_u32 v1, v0, 16, 1
	s_delay_alu instid0(VALU_DEP_1)
	v_add3_u32 v156, v0, v1, 0x7fff
                                        ; implicit-def: $vgpr0
; %bb.525:                              ;   in Loop: Header=BB187_38 Depth=1
	s_and_not1_saveexec_b32 s10, s0
; %bb.526:                              ;   in Loop: Header=BB187_38 Depth=1
	v_and_b32_e32 v1, 0xffff, v0
	v_or_b32_e32 v156, 0x10000, v0
	s_delay_alu instid0(VALU_DEP_2) | instskip(NEXT) | instid1(VALU_DEP_1)
	v_cmp_eq_u32_e64 s0, 0, v1
	v_cndmask_b32_e64 v156, v156, v0, s0
; %bb.527:                              ;   in Loop: Header=BB187_38 Depth=1
	s_or_b32 exec_lo, exec_lo, s10
	v_lshlrev_b32_e32 v0, 16, v157
                                        ; implicit-def: $vgpr157
	s_delay_alu instid0(VALU_DEP_1) | instskip(NEXT) | instid1(VALU_DEP_1)
	v_mul_f32_e32 v0, v134, v0
	v_and_b32_e32 v1, 0x7f800000, v0
	s_delay_alu instid0(VALU_DEP_1) | instskip(NEXT) | instid1(VALU_DEP_1)
	v_cmp_ne_u32_e64 s0, 0x7f800000, v1
	s_and_saveexec_b32 s10, s0
	s_delay_alu instid0(SALU_CYCLE_1)
	s_xor_b32 s0, exec_lo, s10
; %bb.528:                              ;   in Loop: Header=BB187_38 Depth=1
	v_bfe_u32 v1, v0, 16, 1
	s_delay_alu instid0(VALU_DEP_1)
	v_add3_u32 v157, v0, v1, 0x7fff
                                        ; implicit-def: $vgpr0
; %bb.529:                              ;   in Loop: Header=BB187_38 Depth=1
	s_and_not1_saveexec_b32 s10, s0
; %bb.530:                              ;   in Loop: Header=BB187_38 Depth=1
	v_and_b32_e32 v1, 0xffff, v0
	v_or_b32_e32 v157, 0x10000, v0
	s_delay_alu instid0(VALU_DEP_2) | instskip(NEXT) | instid1(VALU_DEP_1)
	v_cmp_eq_u32_e64 s0, 0, v1
	v_cndmask_b32_e64 v157, v157, v0, s0
; %bb.531:                              ;   in Loop: Header=BB187_38 Depth=1
	s_or_b32 exec_lo, exec_lo, s10
	v_lshlrev_b32_e32 v0, 16, v2
                                        ; implicit-def: $vgpr158
	s_delay_alu instid0(VALU_DEP_1) | instskip(NEXT) | instid1(VALU_DEP_1)
	v_mul_f32_e32 v0, v135, v0
	v_and_b32_e32 v1, 0x7f800000, v0
	s_delay_alu instid0(VALU_DEP_1) | instskip(NEXT) | instid1(VALU_DEP_1)
	v_cmp_ne_u32_e64 s0, 0x7f800000, v1
	s_and_saveexec_b32 s10, s0
	s_delay_alu instid0(SALU_CYCLE_1)
	s_xor_b32 s0, exec_lo, s10
; %bb.532:                              ;   in Loop: Header=BB187_38 Depth=1
	v_bfe_u32 v1, v0, 16, 1
	s_delay_alu instid0(VALU_DEP_1)
	v_add3_u32 v158, v0, v1, 0x7fff
                                        ; implicit-def: $vgpr0
; %bb.533:                              ;   in Loop: Header=BB187_38 Depth=1
	s_and_not1_saveexec_b32 s10, s0
; %bb.534:                              ;   in Loop: Header=BB187_38 Depth=1
	v_and_b32_e32 v1, 0xffff, v0
	v_or_b32_e32 v2, 0x10000, v0
	s_delay_alu instid0(VALU_DEP_2) | instskip(NEXT) | instid1(VALU_DEP_1)
	v_cmp_eq_u32_e64 s0, 0, v1
	v_cndmask_b32_e64 v158, v2, v0, s0
; %bb.535:                              ;   in Loop: Header=BB187_38 Depth=1
	s_or_b32 exec_lo, exec_lo, s10
	v_lshlrev_b32_e32 v0, 16, v159
                                        ; implicit-def: $vgpr159
	s_delay_alu instid0(VALU_DEP_1) | instskip(NEXT) | instid1(VALU_DEP_1)
	v_mul_f32_e32 v0, v144, v0
	v_and_b32_e32 v1, 0x7f800000, v0
	s_delay_alu instid0(VALU_DEP_1) | instskip(NEXT) | instid1(VALU_DEP_1)
	v_cmp_ne_u32_e64 s0, 0x7f800000, v1
	s_and_saveexec_b32 s10, s0
	s_delay_alu instid0(SALU_CYCLE_1)
	s_xor_b32 s0, exec_lo, s10
; %bb.536:                              ;   in Loop: Header=BB187_38 Depth=1
	v_bfe_u32 v1, v0, 16, 1
	s_delay_alu instid0(VALU_DEP_1)
	v_add3_u32 v159, v0, v1, 0x7fff
                                        ; implicit-def: $vgpr0
; %bb.537:                              ;   in Loop: Header=BB187_38 Depth=1
	s_and_not1_saveexec_b32 s10, s0
; %bb.538:                              ;   in Loop: Header=BB187_38 Depth=1
	v_and_b32_e32 v1, 0xffff, v0
	v_or_b32_e32 v2, 0x10000, v0
	s_delay_alu instid0(VALU_DEP_2) | instskip(NEXT) | instid1(VALU_DEP_1)
	v_cmp_eq_u32_e64 s0, 0, v1
	v_cndmask_b32_e64 v159, v2, v0, s0
; %bb.539:                              ;   in Loop: Header=BB187_38 Depth=1
	s_or_b32 exec_lo, exec_lo, s10
	v_lshlrev_b32_e32 v0, 16, v3
                                        ; implicit-def: $vgpr168
	s_delay_alu instid0(VALU_DEP_1) | instskip(NEXT) | instid1(VALU_DEP_1)
	v_mul_f32_e32 v0, v145, v0
	v_and_b32_e32 v1, 0x7f800000, v0
	s_delay_alu instid0(VALU_DEP_1) | instskip(NEXT) | instid1(VALU_DEP_1)
	v_cmp_ne_u32_e64 s0, 0x7f800000, v1
	s_and_saveexec_b32 s10, s0
	s_delay_alu instid0(SALU_CYCLE_1)
	s_xor_b32 s0, exec_lo, s10
; %bb.540:                              ;   in Loop: Header=BB187_38 Depth=1
	v_bfe_u32 v1, v0, 16, 1
	s_delay_alu instid0(VALU_DEP_1)
	v_add3_u32 v168, v0, v1, 0x7fff
                                        ; implicit-def: $vgpr0
; %bb.541:                              ;   in Loop: Header=BB187_38 Depth=1
	s_and_not1_saveexec_b32 s10, s0
; %bb.542:                              ;   in Loop: Header=BB187_38 Depth=1
	v_and_b32_e32 v1, 0xffff, v0
	v_or_b32_e32 v2, 0x10000, v0
	s_delay_alu instid0(VALU_DEP_2) | instskip(NEXT) | instid1(VALU_DEP_1)
	v_cmp_eq_u32_e64 s0, 0, v1
	v_cndmask_b32_e64 v168, v2, v0, s0
; %bb.543:                              ;   in Loop: Header=BB187_38 Depth=1
	s_or_b32 exec_lo, exec_lo, s10
	v_lshlrev_b32_e32 v0, 16, v169
                                        ; implicit-def: $vgpr169
	s_delay_alu instid0(VALU_DEP_1) | instskip(NEXT) | instid1(VALU_DEP_1)
	v_mul_f32_e32 v0, v146, v0
	v_and_b32_e32 v1, 0x7f800000, v0
	s_delay_alu instid0(VALU_DEP_1) | instskip(NEXT) | instid1(VALU_DEP_1)
	v_cmp_ne_u32_e64 s0, 0x7f800000, v1
	s_and_saveexec_b32 s10, s0
	s_delay_alu instid0(SALU_CYCLE_1)
	s_xor_b32 s0, exec_lo, s10
; %bb.544:                              ;   in Loop: Header=BB187_38 Depth=1
	v_bfe_u32 v1, v0, 16, 1
	s_delay_alu instid0(VALU_DEP_1)
	v_add3_u32 v169, v0, v1, 0x7fff
                                        ; implicit-def: $vgpr0
; %bb.545:                              ;   in Loop: Header=BB187_38 Depth=1
	s_and_not1_saveexec_b32 s10, s0
; %bb.546:                              ;   in Loop: Header=BB187_38 Depth=1
	v_and_b32_e32 v1, 0xffff, v0
	v_or_b32_e32 v2, 0x10000, v0
	s_delay_alu instid0(VALU_DEP_2) | instskip(NEXT) | instid1(VALU_DEP_1)
	v_cmp_eq_u32_e64 s0, 0, v1
	v_cndmask_b32_e64 v169, v2, v0, s0
; %bb.547:                              ;   in Loop: Header=BB187_38 Depth=1
	s_or_b32 exec_lo, exec_lo, s10
	v_add_co_u32 v0, s0, v129, v68
	s_delay_alu instid0(VALU_DEP_1)
	v_add_co_ci_u32_e64 v1, s0, 0, v130, s0
	flat_load_b128 v[0:3], v[0:1]
	s_waitcnt vmcnt(0) lgkmcnt(0)
	v_lshrrev_b32_e32 v171, 16, v0
	v_lshrrev_b32_e32 v173, 16, v1
	;; [unrolled: 1-line block ×4, first 2 shown]
	s_and_saveexec_b32 s10, vcc_lo
	s_cbranch_execz .LBB187_549
; %bb.548:                              ;   in Loop: Header=BB187_38 Depth=1
	v_cmp_lt_i32_e64 s0, v112, v86
	s_delay_alu instid0(VALU_DEP_1) | instskip(SKIP_1) | instid1(VALU_DEP_1)
	v_cndmask_b32_e64 v0, 0, v0, s0
	v_cmp_lt_i32_e64 s0, v128, v86
	v_cndmask_b32_e64 v171, 0, v171, s0
	v_cmp_lt_i32_e64 s0, v119, v86
	s_delay_alu instid0(VALU_DEP_1) | instskip(SKIP_1) | instid1(VALU_DEP_1)
	v_cndmask_b32_e64 v1, 0, v1, s0
	v_cmp_lt_i32_e64 s0, v118, v86
	v_cndmask_b32_e64 v173, 0, v173, s0
	;; [unrolled: 5-line block ×4, first 2 shown]
.LBB187_549:                            ;   in Loop: Header=BB187_38 Depth=1
	s_or_b32 exec_lo, exec_lo, s10
	v_lshlrev_b32_e32 v0, 16, v0
	s_delay_alu instid0(VALU_DEP_1) | instskip(NEXT) | instid1(VALU_DEP_1)
	v_mul_f32_e32 v0, v131, v0
	v_and_b32_e32 v170, 0x7f800000, v0
	s_delay_alu instid0(VALU_DEP_1) | instskip(NEXT) | instid1(VALU_DEP_1)
	v_cmp_ne_u32_e64 s0, 0x7f800000, v170
                                        ; implicit-def: $vgpr170
	s_and_saveexec_b32 s10, s0
	s_delay_alu instid0(SALU_CYCLE_1)
	s_xor_b32 s0, exec_lo, s10
; %bb.550:                              ;   in Loop: Header=BB187_38 Depth=1
	v_bfe_u32 v170, v0, 16, 1
	s_delay_alu instid0(VALU_DEP_1)
	v_add3_u32 v170, v0, v170, 0x7fff
                                        ; implicit-def: $vgpr0
; %bb.551:                              ;   in Loop: Header=BB187_38 Depth=1
	s_and_not1_saveexec_b32 s10, s0
; %bb.552:                              ;   in Loop: Header=BB187_38 Depth=1
	v_and_b32_e32 v170, 0xffff, v0
	v_or_b32_e32 v172, 0x10000, v0
	s_delay_alu instid0(VALU_DEP_2) | instskip(NEXT) | instid1(VALU_DEP_1)
	v_cmp_eq_u32_e64 s0, 0, v170
	v_cndmask_b32_e64 v170, v172, v0, s0
; %bb.553:                              ;   in Loop: Header=BB187_38 Depth=1
	s_or_b32 exec_lo, exec_lo, s10
	v_lshlrev_b32_e32 v0, 16, v171
	s_delay_alu instid0(VALU_DEP_1) | instskip(NEXT) | instid1(VALU_DEP_1)
	v_mul_f32_e32 v0, v132, v0
	v_and_b32_e32 v171, 0x7f800000, v0
	s_delay_alu instid0(VALU_DEP_1) | instskip(NEXT) | instid1(VALU_DEP_1)
	v_cmp_ne_u32_e64 s0, 0x7f800000, v171
                                        ; implicit-def: $vgpr171
	s_and_saveexec_b32 s10, s0
	s_delay_alu instid0(SALU_CYCLE_1)
	s_xor_b32 s0, exec_lo, s10
; %bb.554:                              ;   in Loop: Header=BB187_38 Depth=1
	v_bfe_u32 v171, v0, 16, 1
	s_delay_alu instid0(VALU_DEP_1)
	v_add3_u32 v171, v0, v171, 0x7fff
                                        ; implicit-def: $vgpr0
; %bb.555:                              ;   in Loop: Header=BB187_38 Depth=1
	s_and_not1_saveexec_b32 s10, s0
; %bb.556:                              ;   in Loop: Header=BB187_38 Depth=1
	v_and_b32_e32 v171, 0xffff, v0
	v_or_b32_e32 v172, 0x10000, v0
	s_delay_alu instid0(VALU_DEP_2) | instskip(NEXT) | instid1(VALU_DEP_1)
	v_cmp_eq_u32_e64 s0, 0, v171
	v_cndmask_b32_e64 v171, v172, v0, s0
; %bb.557:                              ;   in Loop: Header=BB187_38 Depth=1
	s_or_b32 exec_lo, exec_lo, s10
	v_lshlrev_b32_e32 v0, 16, v1
                                        ; implicit-def: $vgpr172
	s_delay_alu instid0(VALU_DEP_1) | instskip(NEXT) | instid1(VALU_DEP_1)
	v_mul_f32_e32 v0, v133, v0
	v_and_b32_e32 v1, 0x7f800000, v0
	s_delay_alu instid0(VALU_DEP_1) | instskip(NEXT) | instid1(VALU_DEP_1)
	v_cmp_ne_u32_e64 s0, 0x7f800000, v1
	s_and_saveexec_b32 s10, s0
	s_delay_alu instid0(SALU_CYCLE_1)
	s_xor_b32 s0, exec_lo, s10
; %bb.558:                              ;   in Loop: Header=BB187_38 Depth=1
	v_bfe_u32 v1, v0, 16, 1
	s_delay_alu instid0(VALU_DEP_1)
	v_add3_u32 v172, v0, v1, 0x7fff
                                        ; implicit-def: $vgpr0
; %bb.559:                              ;   in Loop: Header=BB187_38 Depth=1
	s_and_not1_saveexec_b32 s10, s0
; %bb.560:                              ;   in Loop: Header=BB187_38 Depth=1
	v_and_b32_e32 v1, 0xffff, v0
	v_or_b32_e32 v172, 0x10000, v0
	s_delay_alu instid0(VALU_DEP_2) | instskip(NEXT) | instid1(VALU_DEP_1)
	v_cmp_eq_u32_e64 s0, 0, v1
	v_cndmask_b32_e64 v172, v172, v0, s0
; %bb.561:                              ;   in Loop: Header=BB187_38 Depth=1
	s_or_b32 exec_lo, exec_lo, s10
	v_lshlrev_b32_e32 v0, 16, v173
                                        ; implicit-def: $vgpr173
	s_delay_alu instid0(VALU_DEP_1) | instskip(NEXT) | instid1(VALU_DEP_1)
	v_mul_f32_e32 v0, v134, v0
	v_and_b32_e32 v1, 0x7f800000, v0
	s_delay_alu instid0(VALU_DEP_1) | instskip(NEXT) | instid1(VALU_DEP_1)
	v_cmp_ne_u32_e64 s0, 0x7f800000, v1
	s_and_saveexec_b32 s10, s0
	s_delay_alu instid0(SALU_CYCLE_1)
	s_xor_b32 s0, exec_lo, s10
; %bb.562:                              ;   in Loop: Header=BB187_38 Depth=1
	v_bfe_u32 v1, v0, 16, 1
	s_delay_alu instid0(VALU_DEP_1)
	v_add3_u32 v173, v0, v1, 0x7fff
                                        ; implicit-def: $vgpr0
; %bb.563:                              ;   in Loop: Header=BB187_38 Depth=1
	s_and_not1_saveexec_b32 s10, s0
; %bb.564:                              ;   in Loop: Header=BB187_38 Depth=1
	v_and_b32_e32 v1, 0xffff, v0
	v_or_b32_e32 v173, 0x10000, v0
	s_delay_alu instid0(VALU_DEP_2) | instskip(NEXT) | instid1(VALU_DEP_1)
	v_cmp_eq_u32_e64 s0, 0, v1
	v_cndmask_b32_e64 v173, v173, v0, s0
; %bb.565:                              ;   in Loop: Header=BB187_38 Depth=1
	s_or_b32 exec_lo, exec_lo, s10
	v_lshlrev_b32_e32 v0, 16, v2
                                        ; implicit-def: $vgpr174
	s_delay_alu instid0(VALU_DEP_1) | instskip(NEXT) | instid1(VALU_DEP_1)
	v_mul_f32_e32 v0, v135, v0
	v_and_b32_e32 v1, 0x7f800000, v0
	s_delay_alu instid0(VALU_DEP_1) | instskip(NEXT) | instid1(VALU_DEP_1)
	v_cmp_ne_u32_e64 s0, 0x7f800000, v1
	s_and_saveexec_b32 s10, s0
	s_delay_alu instid0(SALU_CYCLE_1)
	s_xor_b32 s0, exec_lo, s10
; %bb.566:                              ;   in Loop: Header=BB187_38 Depth=1
	v_bfe_u32 v1, v0, 16, 1
	s_delay_alu instid0(VALU_DEP_1)
	v_add3_u32 v174, v0, v1, 0x7fff
                                        ; implicit-def: $vgpr0
; %bb.567:                              ;   in Loop: Header=BB187_38 Depth=1
	s_and_not1_saveexec_b32 s10, s0
; %bb.568:                              ;   in Loop: Header=BB187_38 Depth=1
	v_and_b32_e32 v1, 0xffff, v0
	v_or_b32_e32 v2, 0x10000, v0
	s_delay_alu instid0(VALU_DEP_2) | instskip(NEXT) | instid1(VALU_DEP_1)
	v_cmp_eq_u32_e64 s0, 0, v1
	v_cndmask_b32_e64 v174, v2, v0, s0
; %bb.569:                              ;   in Loop: Header=BB187_38 Depth=1
	s_or_b32 exec_lo, exec_lo, s10
	v_lshlrev_b32_e32 v0, 16, v175
                                        ; implicit-def: $vgpr175
	s_delay_alu instid0(VALU_DEP_1) | instskip(NEXT) | instid1(VALU_DEP_1)
	v_mul_f32_e32 v0, v144, v0
	v_and_b32_e32 v1, 0x7f800000, v0
	s_delay_alu instid0(VALU_DEP_1) | instskip(NEXT) | instid1(VALU_DEP_1)
	v_cmp_ne_u32_e64 s0, 0x7f800000, v1
	s_and_saveexec_b32 s10, s0
	s_delay_alu instid0(SALU_CYCLE_1)
	s_xor_b32 s0, exec_lo, s10
; %bb.570:                              ;   in Loop: Header=BB187_38 Depth=1
	v_bfe_u32 v1, v0, 16, 1
	s_delay_alu instid0(VALU_DEP_1)
	v_add3_u32 v175, v0, v1, 0x7fff
                                        ; implicit-def: $vgpr0
; %bb.571:                              ;   in Loop: Header=BB187_38 Depth=1
	s_and_not1_saveexec_b32 s10, s0
; %bb.572:                              ;   in Loop: Header=BB187_38 Depth=1
	v_and_b32_e32 v1, 0xffff, v0
	v_or_b32_e32 v2, 0x10000, v0
	s_delay_alu instid0(VALU_DEP_2) | instskip(NEXT) | instid1(VALU_DEP_1)
	v_cmp_eq_u32_e64 s0, 0, v1
	v_cndmask_b32_e64 v175, v2, v0, s0
; %bb.573:                              ;   in Loop: Header=BB187_38 Depth=1
	s_or_b32 exec_lo, exec_lo, s10
	v_lshlrev_b32_e32 v0, 16, v3
                                        ; implicit-def: $vgpr184
	s_delay_alu instid0(VALU_DEP_1) | instskip(NEXT) | instid1(VALU_DEP_1)
	v_mul_f32_e32 v0, v145, v0
	v_and_b32_e32 v1, 0x7f800000, v0
	s_delay_alu instid0(VALU_DEP_1) | instskip(NEXT) | instid1(VALU_DEP_1)
	v_cmp_ne_u32_e64 s0, 0x7f800000, v1
	s_and_saveexec_b32 s10, s0
	s_delay_alu instid0(SALU_CYCLE_1)
	s_xor_b32 s0, exec_lo, s10
; %bb.574:                              ;   in Loop: Header=BB187_38 Depth=1
	v_bfe_u32 v1, v0, 16, 1
	s_delay_alu instid0(VALU_DEP_1)
	v_add3_u32 v184, v0, v1, 0x7fff
                                        ; implicit-def: $vgpr0
; %bb.575:                              ;   in Loop: Header=BB187_38 Depth=1
	s_and_not1_saveexec_b32 s10, s0
; %bb.576:                              ;   in Loop: Header=BB187_38 Depth=1
	v_and_b32_e32 v1, 0xffff, v0
	v_or_b32_e32 v2, 0x10000, v0
	s_delay_alu instid0(VALU_DEP_2) | instskip(NEXT) | instid1(VALU_DEP_1)
	v_cmp_eq_u32_e64 s0, 0, v1
	v_cndmask_b32_e64 v184, v2, v0, s0
; %bb.577:                              ;   in Loop: Header=BB187_38 Depth=1
	s_or_b32 exec_lo, exec_lo, s10
	v_lshlrev_b32_e32 v0, 16, v185
                                        ; implicit-def: $vgpr185
	s_delay_alu instid0(VALU_DEP_1) | instskip(NEXT) | instid1(VALU_DEP_1)
	v_mul_f32_e32 v0, v146, v0
	v_and_b32_e32 v1, 0x7f800000, v0
	s_delay_alu instid0(VALU_DEP_1) | instskip(NEXT) | instid1(VALU_DEP_1)
	v_cmp_ne_u32_e64 s0, 0x7f800000, v1
	s_and_saveexec_b32 s10, s0
	s_delay_alu instid0(SALU_CYCLE_1)
	s_xor_b32 s0, exec_lo, s10
; %bb.578:                              ;   in Loop: Header=BB187_38 Depth=1
	v_bfe_u32 v1, v0, 16, 1
	s_delay_alu instid0(VALU_DEP_1)
	v_add3_u32 v185, v0, v1, 0x7fff
                                        ; implicit-def: $vgpr0
; %bb.579:                              ;   in Loop: Header=BB187_38 Depth=1
	s_and_not1_saveexec_b32 s10, s0
; %bb.580:                              ;   in Loop: Header=BB187_38 Depth=1
	v_and_b32_e32 v1, 0xffff, v0
	v_or_b32_e32 v2, 0x10000, v0
	s_delay_alu instid0(VALU_DEP_2) | instskip(NEXT) | instid1(VALU_DEP_1)
	v_cmp_eq_u32_e64 s0, 0, v1
	v_cndmask_b32_e64 v185, v2, v0, s0
; %bb.581:                              ;   in Loop: Header=BB187_38 Depth=1
	s_or_b32 exec_lo, exec_lo, s10
	v_add_co_u32 v0, s0, v129, v69
	s_delay_alu instid0(VALU_DEP_1)
	v_add_co_ci_u32_e64 v1, s0, 0, v130, s0
	flat_load_b128 v[0:3], v[0:1]
	s_waitcnt vmcnt(0) lgkmcnt(0)
	v_lshrrev_b32_e32 v187, 16, v0
	v_lshrrev_b32_e32 v186, 16, v1
	;; [unrolled: 1-line block ×4, first 2 shown]
	s_and_saveexec_b32 s0, vcc_lo
	s_cbranch_execz .LBB187_583
; %bb.582:                              ;   in Loop: Header=BB187_38 Depth=1
	v_cmp_lt_i32_e32 vcc_lo, v112, v86
	v_cndmask_b32_e32 v0, 0, v0, vcc_lo
	v_cmp_lt_i32_e32 vcc_lo, v128, v86
	v_cndmask_b32_e32 v187, 0, v187, vcc_lo
	;; [unrolled: 2-line block ×8, first 2 shown]
.LBB187_583:                            ;   in Loop: Header=BB187_38 Depth=1
	s_or_b32 exec_lo, exec_lo, s0
	v_lshlrev_b32_e32 v0, 16, v0
	s_delay_alu instid0(VALU_DEP_1) | instskip(NEXT) | instid1(VALU_DEP_1)
	v_mul_f32_e32 v112, v131, v0
	v_and_b32_e32 v0, 0x7f800000, v112
	s_delay_alu instid0(VALU_DEP_1) | instskip(SKIP_1) | instid1(SALU_CYCLE_1)
	v_cmp_ne_u32_e32 vcc_lo, 0x7f800000, v0
                                        ; implicit-def: $vgpr0
	s_and_saveexec_b32 s0, vcc_lo
	s_xor_b32 s0, exec_lo, s0
; %bb.584:                              ;   in Loop: Header=BB187_38 Depth=1
	v_bfe_u32 v0, v112, 16, 1
	s_delay_alu instid0(VALU_DEP_1)
	v_add3_u32 v0, v112, v0, 0x7fff
                                        ; implicit-def: $vgpr112
; %bb.585:                              ;   in Loop: Header=BB187_38 Depth=1
	s_and_not1_saveexec_b32 s0, s0
; %bb.586:                              ;   in Loop: Header=BB187_38 Depth=1
	v_and_b32_e32 v0, 0xffff, v112
	v_or_b32_e32 v113, 0x10000, v112
	s_delay_alu instid0(VALU_DEP_2) | instskip(NEXT) | instid1(VALU_DEP_2)
	v_cmp_eq_u32_e32 vcc_lo, 0, v0
	v_cndmask_b32_e32 v0, v113, v112, vcc_lo
; %bb.587:                              ;   in Loop: Header=BB187_38 Depth=1
	s_or_b32 exec_lo, exec_lo, s0
	v_lshlrev_b32_e32 v112, 16, v187
	s_delay_alu instid0(VALU_DEP_1) | instskip(NEXT) | instid1(VALU_DEP_1)
	v_mul_f32_e32 v113, v132, v112
	v_and_b32_e32 v112, 0x7f800000, v113
	s_delay_alu instid0(VALU_DEP_1) | instskip(SKIP_1) | instid1(SALU_CYCLE_1)
	v_cmp_ne_u32_e32 vcc_lo, 0x7f800000, v112
                                        ; implicit-def: $vgpr112
	s_and_saveexec_b32 s0, vcc_lo
	s_xor_b32 s0, exec_lo, s0
; %bb.588:                              ;   in Loop: Header=BB187_38 Depth=1
	v_bfe_u32 v112, v113, 16, 1
	s_delay_alu instid0(VALU_DEP_1)
	v_add3_u32 v112, v113, v112, 0x7fff
                                        ; implicit-def: $vgpr113
; %bb.589:                              ;   in Loop: Header=BB187_38 Depth=1
	s_and_not1_saveexec_b32 s0, s0
; %bb.590:                              ;   in Loop: Header=BB187_38 Depth=1
	v_and_b32_e32 v112, 0xffff, v113
	v_or_b32_e32 v115, 0x10000, v113
	s_delay_alu instid0(VALU_DEP_2) | instskip(NEXT) | instid1(VALU_DEP_2)
	v_cmp_eq_u32_e32 vcc_lo, 0, v112
	v_cndmask_b32_e32 v112, v115, v113, vcc_lo
; %bb.591:                              ;   in Loop: Header=BB187_38 Depth=1
	s_or_b32 exec_lo, exec_lo, s0
	v_lshlrev_b32_e32 v1, 16, v1
	s_delay_alu instid0(VALU_DEP_1) | instskip(NEXT) | instid1(VALU_DEP_1)
	v_mul_f32_e32 v113, v133, v1
	v_and_b32_e32 v1, 0x7f800000, v113
	s_delay_alu instid0(VALU_DEP_1) | instskip(SKIP_1) | instid1(SALU_CYCLE_1)
	v_cmp_ne_u32_e32 vcc_lo, 0x7f800000, v1
                                        ; implicit-def: $vgpr1
	s_and_saveexec_b32 s0, vcc_lo
	s_xor_b32 s0, exec_lo, s0
; %bb.592:                              ;   in Loop: Header=BB187_38 Depth=1
	v_bfe_u32 v1, v113, 16, 1
	s_delay_alu instid0(VALU_DEP_1)
	v_add3_u32 v1, v113, v1, 0x7fff
                                        ; implicit-def: $vgpr113
; %bb.593:                              ;   in Loop: Header=BB187_38 Depth=1
	s_and_not1_saveexec_b32 s0, s0
; %bb.594:                              ;   in Loop: Header=BB187_38 Depth=1
	v_and_b32_e32 v1, 0xffff, v113
	v_or_b32_e32 v115, 0x10000, v113
	s_delay_alu instid0(VALU_DEP_2) | instskip(NEXT) | instid1(VALU_DEP_2)
	v_cmp_eq_u32_e32 vcc_lo, 0, v1
	v_cndmask_b32_e32 v1, v115, v113, vcc_lo
; %bb.595:                              ;   in Loop: Header=BB187_38 Depth=1
	s_or_b32 exec_lo, exec_lo, s0
	v_lshlrev_b32_e32 v113, 16, v186
	s_delay_alu instid0(VALU_DEP_1) | instskip(NEXT) | instid1(VALU_DEP_1)
	v_mul_f32_e32 v115, v134, v113
	v_and_b32_e32 v113, 0x7f800000, v115
	s_delay_alu instid0(VALU_DEP_1) | instskip(SKIP_1) | instid1(SALU_CYCLE_1)
	v_cmp_ne_u32_e32 vcc_lo, 0x7f800000, v113
                                        ; implicit-def: $vgpr113
	s_and_saveexec_b32 s0, vcc_lo
	s_xor_b32 s0, exec_lo, s0
; %bb.596:                              ;   in Loop: Header=BB187_38 Depth=1
	v_bfe_u32 v113, v115, 16, 1
	s_delay_alu instid0(VALU_DEP_1)
	v_add3_u32 v113, v115, v113, 0x7fff
                                        ; implicit-def: $vgpr115
; %bb.597:                              ;   in Loop: Header=BB187_38 Depth=1
	s_and_not1_saveexec_b32 s0, s0
; %bb.598:                              ;   in Loop: Header=BB187_38 Depth=1
	v_and_b32_e32 v113, 0xffff, v115
	v_or_b32_e32 v116, 0x10000, v115
	s_delay_alu instid0(VALU_DEP_2) | instskip(NEXT) | instid1(VALU_DEP_2)
	v_cmp_eq_u32_e32 vcc_lo, 0, v113
	v_cndmask_b32_e32 v113, v116, v115, vcc_lo
; %bb.599:                              ;   in Loop: Header=BB187_38 Depth=1
	s_or_b32 exec_lo, exec_lo, s0
	v_lshlrev_b32_e32 v2, 16, v2
	s_delay_alu instid0(VALU_DEP_1) | instskip(NEXT) | instid1(VALU_DEP_1)
	v_mul_f32_e32 v115, v135, v2
	v_and_b32_e32 v2, 0x7f800000, v115
	s_delay_alu instid0(VALU_DEP_1) | instskip(SKIP_1) | instid1(SALU_CYCLE_1)
	v_cmp_ne_u32_e32 vcc_lo, 0x7f800000, v2
                                        ; implicit-def: $vgpr2
	s_and_saveexec_b32 s0, vcc_lo
	s_xor_b32 s0, exec_lo, s0
; %bb.600:                              ;   in Loop: Header=BB187_38 Depth=1
	v_bfe_u32 v2, v115, 16, 1
	s_delay_alu instid0(VALU_DEP_1)
	v_add3_u32 v2, v115, v2, 0x7fff
                                        ; implicit-def: $vgpr115
; %bb.601:                              ;   in Loop: Header=BB187_38 Depth=1
	s_and_not1_saveexec_b32 s0, s0
; %bb.602:                              ;   in Loop: Header=BB187_38 Depth=1
	v_and_b32_e32 v2, 0xffff, v115
	v_or_b32_e32 v116, 0x10000, v115
	s_delay_alu instid0(VALU_DEP_2) | instskip(NEXT) | instid1(VALU_DEP_2)
	v_cmp_eq_u32_e32 vcc_lo, 0, v2
	v_cndmask_b32_e32 v2, v116, v115, vcc_lo
; %bb.603:                              ;   in Loop: Header=BB187_38 Depth=1
	s_or_b32 exec_lo, exec_lo, s0
	v_lshlrev_b32_e32 v115, 16, v130
	s_delay_alu instid0(VALU_DEP_1) | instskip(NEXT) | instid1(VALU_DEP_1)
	v_mul_f32_e32 v116, v144, v115
	v_and_b32_e32 v115, 0x7f800000, v116
	s_delay_alu instid0(VALU_DEP_1) | instskip(SKIP_1) | instid1(SALU_CYCLE_1)
	v_cmp_ne_u32_e32 vcc_lo, 0x7f800000, v115
                                        ; implicit-def: $vgpr115
	s_and_saveexec_b32 s0, vcc_lo
	s_xor_b32 s0, exec_lo, s0
; %bb.604:                              ;   in Loop: Header=BB187_38 Depth=1
	v_bfe_u32 v115, v116, 16, 1
	s_delay_alu instid0(VALU_DEP_1)
	v_add3_u32 v115, v116, v115, 0x7fff
                                        ; implicit-def: $vgpr116
; %bb.605:                              ;   in Loop: Header=BB187_38 Depth=1
	s_and_not1_saveexec_b32 s0, s0
; %bb.606:                              ;   in Loop: Header=BB187_38 Depth=1
	v_and_b32_e32 v115, 0xffff, v116
	v_or_b32_e32 v117, 0x10000, v116
	s_delay_alu instid0(VALU_DEP_2) | instskip(NEXT) | instid1(VALU_DEP_2)
	v_cmp_eq_u32_e32 vcc_lo, 0, v115
	v_cndmask_b32_e32 v115, v117, v116, vcc_lo
; %bb.607:                              ;   in Loop: Header=BB187_38 Depth=1
	s_or_b32 exec_lo, exec_lo, s0
	v_lshlrev_b32_e32 v3, 16, v3
	s_delay_alu instid0(VALU_DEP_1) | instskip(NEXT) | instid1(VALU_DEP_1)
	v_mul_f32_e32 v116, v145, v3
	v_and_b32_e32 v3, 0x7f800000, v116
	s_delay_alu instid0(VALU_DEP_1) | instskip(SKIP_1) | instid1(SALU_CYCLE_1)
	v_cmp_ne_u32_e32 vcc_lo, 0x7f800000, v3
                                        ; implicit-def: $vgpr3
	s_and_saveexec_b32 s0, vcc_lo
	s_xor_b32 s0, exec_lo, s0
; %bb.608:                              ;   in Loop: Header=BB187_38 Depth=1
	v_bfe_u32 v3, v116, 16, 1
	s_delay_alu instid0(VALU_DEP_1)
	v_add3_u32 v3, v116, v3, 0x7fff
                                        ; implicit-def: $vgpr116
; %bb.609:                              ;   in Loop: Header=BB187_38 Depth=1
	s_and_not1_saveexec_b32 s0, s0
; %bb.610:                              ;   in Loop: Header=BB187_38 Depth=1
	v_and_b32_e32 v3, 0xffff, v116
	v_or_b32_e32 v117, 0x10000, v116
	s_delay_alu instid0(VALU_DEP_2) | instskip(NEXT) | instid1(VALU_DEP_2)
	v_cmp_eq_u32_e32 vcc_lo, 0, v3
	v_cndmask_b32_e32 v3, v117, v116, vcc_lo
; %bb.611:                              ;   in Loop: Header=BB187_38 Depth=1
	s_or_b32 exec_lo, exec_lo, s0
	v_lshlrev_b32_e32 v116, 16, v129
	s_delay_alu instid0(VALU_DEP_1) | instskip(NEXT) | instid1(VALU_DEP_1)
	v_mul_f32_e32 v117, v146, v116
	v_and_b32_e32 v116, 0x7f800000, v117
	s_delay_alu instid0(VALU_DEP_1) | instskip(SKIP_1) | instid1(SALU_CYCLE_1)
	v_cmp_ne_u32_e32 vcc_lo, 0x7f800000, v116
                                        ; implicit-def: $vgpr116
	s_and_saveexec_b32 s0, vcc_lo
	s_xor_b32 s0, exec_lo, s0
; %bb.612:                              ;   in Loop: Header=BB187_38 Depth=1
	v_bfe_u32 v116, v117, 16, 1
	s_delay_alu instid0(VALU_DEP_1)
	v_add3_u32 v116, v117, v116, 0x7fff
                                        ; implicit-def: $vgpr117
; %bb.613:                              ;   in Loop: Header=BB187_38 Depth=1
	s_and_not1_saveexec_b32 s0, s0
	s_cbranch_execz .LBB187_36
; %bb.614:                              ;   in Loop: Header=BB187_38 Depth=1
	v_and_b32_e32 v116, 0xffff, v117
	v_or_b32_e32 v118, 0x10000, v117
	s_delay_alu instid0(VALU_DEP_2) | instskip(NEXT) | instid1(VALU_DEP_2)
	v_cmp_eq_u32_e32 vcc_lo, 0, v116
	v_cndmask_b32_e32 v116, v118, v117, vcc_lo
	s_branch .LBB187_36
.LBB187_615:
	s_or_b32 exec_lo, exec_lo, s8
.LBB187_616:
	s_delay_alu instid0(SALU_CYCLE_1)
	s_or_b32 exec_lo, exec_lo, s7
	ds_bpermute_b32 v0, v16, v48
	ds_bpermute_b32 v1, v16, v49
	;; [unrolled: 1-line block ×16, first 2 shown]
	s_waitcnt lgkmcnt(0)
	s_waitcnt_vscnt null, 0x0
	s_barrier
	buffer_gl0_inv
	s_load_b32 s2, s[2:3], 0x0
	v_dual_add_f32 v0, v48, v0 :: v_dual_add_f32 v1, v49, v1
	v_add_f32_e32 v2, v38, v2
	v_add_f32_e32 v4, v36, v4
	v_dual_add_f32 v8, v32, v8 :: v_dual_add_f32 v3, v37, v3
	ds_bpermute_b32 v21, v13, v1
	v_add_f32_e32 v5, v35, v5
	ds_bpermute_b32 v22, v13, v2
	ds_bpermute_b32 v24, v13, v4
	v_dual_add_f32 v26, v31, v9 :: v_dual_add_f32 v29, v29, v11
	ds_bpermute_b32 v31, v13, v8
	v_dual_add_f32 v6, v34, v6 :: v_dual_add_f32 v7, v33, v7
	v_add_f32_e32 v18, v18, v16
	ds_bpermute_b32 v20, v13, v0
	v_dual_add_f32 v30, v30, v10 :: v_dual_add_f32 v19, v19, v15
	ds_bpermute_b32 v9, v13, v6
	v_dual_add_f32 v28, v28, v12 :: v_dual_add_f32 v27, v27, v14
	ds_bpermute_b32 v23, v13, v3
	ds_bpermute_b32 v25, v13, v5
	;; [unrolled: 1-line block ×4, first 2 shown]
	s_waitcnt lgkmcnt(0)
	v_add_f32_e32 v16, v1, v21
	scratch_load_b32 v1, off, s32 offset:332 ; 4-byte Folded Reload
	ds_bpermute_b32 v34, v13, v29
	ds_bpermute_b32 v35, v13, v28
	ds_bpermute_b32 v36, v13, v27
	ds_bpermute_b32 v37, v13, v19
	v_add_f32_e32 v15, v2, v22
	ds_bpermute_b32 v32, v13, v26
	s_mov_b32 s0, exec_lo
	v_add_f32_e32 v0, v0, v20
	v_dual_add_f32 v11, v6, v9 :: v_dual_and_b32 v20, 0x3c3, v190
	v_add_f32_e32 v9, v8, v31
	ds_bpermute_b32 v38, v13, v18
	v_dual_add_f32 v14, v3, v23 :: v_dual_add_f32 v13, v4, v24
	v_add_f32_e32 v12, v5, v25
	v_dual_add_f32 v10, v7, v10 :: v_dual_add_f32 v7, v30, v33
	s_waitcnt lgkmcnt(4)
	v_dual_add_f32 v6, v29, v34 :: v_dual_add_f32 v5, v28, v35
	s_waitcnt lgkmcnt(3)
	v_add_f32_e32 v4, v27, v36
	s_waitcnt lgkmcnt(1)
	v_dual_add_f32 v3, v19, v37 :: v_dual_add_f32 v8, v26, v32
	s_waitcnt lgkmcnt(0)
	v_add_f32_e32 v2, v18, v38
	v_lshl_add_u32 v18, v191, 9, s2
	s_waitcnt vmcnt(0)
	v_lshrrev_b32_e32 v1, 2, v1
	v_cmpx_eq_u32_e32 64, v20
	s_cbranch_execz .LBB187_618
; %bb.617:
	s_delay_alu instid0(VALU_DEP_2) | instskip(NEXT) | instid1(VALU_DEP_1)
	v_lshlrev_b32_e32 v19, 2, v1
	v_add3_u32 v19, v18, v19, 0xfffffc00
	ds_store_2addr_b32 v19, v0, v16 offset1:8
	ds_store_2addr_b32 v19, v15, v14 offset0:16 offset1:24
	ds_store_2addr_b32 v19, v13, v12 offset0:32 offset1:40
	;; [unrolled: 1-line block ×7, first 2 shown]
.LBB187_618:
	s_or_b32 exec_lo, exec_lo, s0
	v_cmp_eq_u32_e32 vcc_lo, 0, v17
	s_mov_b32 s3, exec_lo
	s_waitcnt lgkmcnt(0)
	s_barrier
	buffer_gl0_inv
	v_cmpx_gt_u32_e32 64, v190
	s_cbranch_execz .LBB187_637
; %bb.619:
	s_and_saveexec_b32 s0, vcc_lo
	s_cbranch_execnz .LBB187_726
; %bb.620:
	s_or_b32 exec_lo, exec_lo, s0
	s_and_saveexec_b32 s0, vcc_lo
	s_cbranch_execnz .LBB187_727
.LBB187_621:
	s_or_b32 exec_lo, exec_lo, s0
	s_and_saveexec_b32 s0, vcc_lo
	s_cbranch_execnz .LBB187_728
.LBB187_622:
	s_or_b32 exec_lo, exec_lo, s0
	s_and_saveexec_b32 s0, vcc_lo
	s_cbranch_execnz .LBB187_729
.LBB187_623:
	s_or_b32 exec_lo, exec_lo, s0
	s_and_saveexec_b32 s0, vcc_lo
	s_cbranch_execnz .LBB187_730
.LBB187_624:
	s_or_b32 exec_lo, exec_lo, s0
	s_and_saveexec_b32 s0, vcc_lo
	s_cbranch_execnz .LBB187_731
.LBB187_625:
	s_or_b32 exec_lo, exec_lo, s0
	s_and_saveexec_b32 s0, vcc_lo
	s_cbranch_execnz .LBB187_732
.LBB187_626:
	s_or_b32 exec_lo, exec_lo, s0
	s_and_saveexec_b32 s0, vcc_lo
	s_cbranch_execnz .LBB187_733
.LBB187_627:
	s_or_b32 exec_lo, exec_lo, s0
	s_and_saveexec_b32 s0, vcc_lo
	s_cbranch_execnz .LBB187_734
.LBB187_628:
	s_or_b32 exec_lo, exec_lo, s0
	s_and_saveexec_b32 s0, vcc_lo
	s_cbranch_execnz .LBB187_735
.LBB187_629:
	s_or_b32 exec_lo, exec_lo, s0
	s_and_saveexec_b32 s0, vcc_lo
	s_cbranch_execnz .LBB187_736
.LBB187_630:
	s_or_b32 exec_lo, exec_lo, s0
	s_and_saveexec_b32 s0, vcc_lo
	s_cbranch_execnz .LBB187_737
.LBB187_631:
	s_or_b32 exec_lo, exec_lo, s0
	s_and_saveexec_b32 s0, vcc_lo
	s_cbranch_execnz .LBB187_738
.LBB187_632:
	s_or_b32 exec_lo, exec_lo, s0
	s_and_saveexec_b32 s0, vcc_lo
	s_cbranch_execnz .LBB187_739
.LBB187_633:
	s_or_b32 exec_lo, exec_lo, s0
	s_and_saveexec_b32 s0, vcc_lo
	s_cbranch_execnz .LBB187_740
.LBB187_634:
	s_or_b32 exec_lo, exec_lo, s0
	s_and_saveexec_b32 s0, vcc_lo
	s_cbranch_execz .LBB187_636
.LBB187_635:
	v_lshl_add_u32 v17, v1, 2, v18
	ds_load_b32 v17, v17 offset:480
	s_waitcnt lgkmcnt(0)
	v_add_f32_e32 v2, v17, v2
.LBB187_636:
	s_or_b32 exec_lo, exec_lo, s0
.LBB187_637:
	s_delay_alu instid0(SALU_CYCLE_1)
	s_or_b32 exec_lo, exec_lo, s3
	v_and_b32_e32 v17, 0x3e3, v190
	s_mov_b32 s3, exec_lo
	s_barrier
	buffer_gl0_inv
	v_cmpx_eq_u32_e32 32, v17
	s_cbranch_execz .LBB187_639
; %bb.638:
	v_lshl_add_u32 v17, v1, 2, s2
	ds_store_2addr_b32 v17, v0, v16 offset1:8
	ds_store_2addr_b32 v17, v15, v14 offset0:16 offset1:24
	ds_store_2addr_b32 v17, v13, v12 offset0:32 offset1:40
	;; [unrolled: 1-line block ×7, first 2 shown]
.LBB187_639:
	s_or_b32 exec_lo, exec_lo, s3
	v_cmp_gt_u32_e64 s0, 32, v190
	s_waitcnt lgkmcnt(0)
	s_barrier
	buffer_gl0_inv
	s_and_saveexec_b32 s2, s0
	s_cbranch_execz .LBB187_658
; %bb.640:
	v_lshl_add_u32 v1, v1, 2, v18
	s_and_saveexec_b32 s3, vcc_lo
	s_cbranch_execnz .LBB187_741
; %bb.641:
	s_or_b32 exec_lo, exec_lo, s3
	s_and_saveexec_b32 s3, vcc_lo
	s_cbranch_execnz .LBB187_742
.LBB187_642:
	s_or_b32 exec_lo, exec_lo, s3
	s_and_saveexec_b32 s3, vcc_lo
	s_cbranch_execnz .LBB187_743
.LBB187_643:
	s_or_b32 exec_lo, exec_lo, s3
	s_and_saveexec_b32 s3, vcc_lo
	s_cbranch_execnz .LBB187_744
.LBB187_644:
	s_or_b32 exec_lo, exec_lo, s3
	s_and_saveexec_b32 s3, vcc_lo
	s_cbranch_execnz .LBB187_745
.LBB187_645:
	s_or_b32 exec_lo, exec_lo, s3
	s_and_saveexec_b32 s3, vcc_lo
	s_cbranch_execnz .LBB187_746
.LBB187_646:
	s_or_b32 exec_lo, exec_lo, s3
	s_and_saveexec_b32 s3, vcc_lo
	s_cbranch_execnz .LBB187_747
.LBB187_647:
	s_or_b32 exec_lo, exec_lo, s3
	s_and_saveexec_b32 s3, vcc_lo
	s_cbranch_execnz .LBB187_748
.LBB187_648:
	s_or_b32 exec_lo, exec_lo, s3
	s_and_saveexec_b32 s3, vcc_lo
	s_cbranch_execnz .LBB187_749
.LBB187_649:
	s_or_b32 exec_lo, exec_lo, s3
	s_and_saveexec_b32 s3, vcc_lo
	s_cbranch_execnz .LBB187_750
.LBB187_650:
	s_or_b32 exec_lo, exec_lo, s3
	s_and_saveexec_b32 s3, vcc_lo
	s_cbranch_execnz .LBB187_751
.LBB187_651:
	s_or_b32 exec_lo, exec_lo, s3
	s_and_saveexec_b32 s3, vcc_lo
	s_cbranch_execnz .LBB187_752
.LBB187_652:
	s_or_b32 exec_lo, exec_lo, s3
	s_and_saveexec_b32 s3, vcc_lo
	s_cbranch_execnz .LBB187_753
.LBB187_653:
	s_or_b32 exec_lo, exec_lo, s3
	s_and_saveexec_b32 s3, vcc_lo
	s_cbranch_execnz .LBB187_754
.LBB187_654:
	s_or_b32 exec_lo, exec_lo, s3
	s_and_saveexec_b32 s3, vcc_lo
	s_cbranch_execnz .LBB187_755
.LBB187_655:
	s_or_b32 exec_lo, exec_lo, s3
	s_and_saveexec_b32 s3, vcc_lo
	s_cbranch_execz .LBB187_657
.LBB187_656:
	ds_load_b32 v1, v1 offset:480
	s_waitcnt lgkmcnt(0)
	v_add_f32_e32 v2, v1, v2
.LBB187_657:
	s_or_b32 exec_lo, exec_lo, s3
.LBB187_658:
	s_delay_alu instid0(SALU_CYCLE_1)
	s_or_b32 exec_lo, exec_lo, s2
	s_barrier
	buffer_gl0_inv
	s_and_b32 exec_lo, exec_lo, s0
	s_cbranch_execz .LBB187_725
; %bb.659:
	s_and_b32 exec_lo, exec_lo, vcc_lo
	s_cbranch_execz .LBB187_725
; %bb.660:
	v_and_b32_e32 v1, 0x7f800000, v0
	s_mov_b32 s0, exec_lo
                                        ; implicit-def: $vgpr17
	s_delay_alu instid0(VALU_DEP_1)
	v_cmpx_ne_u32_e32 0x7f800000, v1
	s_xor_b32 s0, exec_lo, s0
; %bb.661:
	v_bfe_u32 v1, v0, 16, 1
	s_delay_alu instid0(VALU_DEP_1)
	v_add3_u32 v17, v0, v1, 0x7fff
                                        ; implicit-def: $vgpr0
; %bb.662:
	s_and_not1_saveexec_b32 s0, s0
; %bb.663:
	v_and_b32_e32 v1, 0xffff, v0
	v_or_b32_e32 v17, 0x10000, v0
	s_delay_alu instid0(VALU_DEP_2) | instskip(NEXT) | instid1(VALU_DEP_2)
	v_cmp_eq_u32_e32 vcc_lo, 0, v1
	v_cndmask_b32_e32 v17, v17, v0, vcc_lo
; %bb.664:
	s_or_b32 exec_lo, exec_lo, s0
	s_mul_i32 s2, s1, s4
	s_mul_i32 s0, s6, s1
	;; [unrolled: 1-line block ×3, first 2 shown]
	s_lshl_b32 s2, s14, 7
	s_lshl_b32 s6, s1, 7
	s_ashr_i32 s1, s0, 31
	s_ashr_i32 s3, s2, 31
	;; [unrolled: 1-line block ×3, first 2 shown]
	s_lshl_b64 s[0:1], s[0:1], 1
	s_lshl_b64 s[2:3], s[2:3], 1
	;; [unrolled: 1-line block ×3, first 2 shown]
	v_lshrrev_b32_e32 v0, 1, v190
	s_add_u32 s0, s2, s0
	s_addc_u32 s1, s3, s1
	s_add_u32 s0, s0, s6
	s_addc_u32 s1, s1, s7
	v_and_b32_e32 v0, 0x1fe, v0
	v_add_co_u32 v1, vcc_lo, s0, v189
	v_add_co_ci_u32_e32 v18, vcc_lo, s1, v188, vcc_lo
	v_and_b32_e32 v19, 0x7f800000, v16
	s_delay_alu instid0(VALU_DEP_3) | instskip(NEXT) | instid1(VALU_DEP_3)
	v_add_co_u32 v0, vcc_lo, v1, v0
	v_add_co_ci_u32_e32 v1, vcc_lo, 0, v18, vcc_lo
	s_mov_b32 s0, exec_lo
	flat_store_d16_hi_b16 v[0:1], v17
                                        ; implicit-def: $vgpr17
	v_cmpx_ne_u32_e32 0x7f800000, v19
	s_xor_b32 s0, exec_lo, s0
; %bb.665:
	v_bfe_u32 v17, v16, 16, 1
	s_delay_alu instid0(VALU_DEP_1)
	v_add3_u32 v17, v16, v17, 0x7fff
                                        ; implicit-def: $vgpr16
; %bb.666:
	s_and_not1_saveexec_b32 s0, s0
; %bb.667:
	v_and_b32_e32 v17, 0xffff, v16
	v_or_b32_e32 v18, 0x10000, v16
	s_delay_alu instid0(VALU_DEP_2) | instskip(NEXT) | instid1(VALU_DEP_2)
	v_cmp_eq_u32_e32 vcc_lo, 0, v17
	v_cndmask_b32_e32 v17, v18, v16, vcc_lo
; %bb.668:
	s_or_b32 exec_lo, exec_lo, s0
	v_and_b32_e32 v16, 0x7f800000, v15
	flat_store_d16_hi_b16 v[0:1], v17 offset:16
	v_cmp_ne_u32_e32 vcc_lo, 0x7f800000, v16
                                        ; implicit-def: $vgpr16
	s_and_saveexec_b32 s0, vcc_lo
	s_delay_alu instid0(SALU_CYCLE_1)
	s_xor_b32 s0, exec_lo, s0
; %bb.669:
	v_bfe_u32 v16, v15, 16, 1
	s_delay_alu instid0(VALU_DEP_1)
	v_add3_u32 v16, v15, v16, 0x7fff
                                        ; implicit-def: $vgpr15
; %bb.670:
	s_and_not1_saveexec_b32 s0, s0
; %bb.671:
	v_and_b32_e32 v16, 0xffff, v15
	v_or_b32_e32 v17, 0x10000, v15
	s_delay_alu instid0(VALU_DEP_2) | instskip(NEXT) | instid1(VALU_DEP_2)
	v_cmp_eq_u32_e32 vcc_lo, 0, v16
	v_cndmask_b32_e32 v16, v17, v15, vcc_lo
; %bb.672:
	s_or_b32 exec_lo, exec_lo, s0
	v_and_b32_e32 v15, 0x7f800000, v14
	flat_store_d16_hi_b16 v[0:1], v16 offset:32
	v_cmp_ne_u32_e32 vcc_lo, 0x7f800000, v15
                                        ; implicit-def: $vgpr15
	s_and_saveexec_b32 s0, vcc_lo
	s_delay_alu instid0(SALU_CYCLE_1)
	s_xor_b32 s0, exec_lo, s0
; %bb.673:
	v_bfe_u32 v15, v14, 16, 1
	s_delay_alu instid0(VALU_DEP_1)
	v_add3_u32 v15, v14, v15, 0x7fff
                                        ; implicit-def: $vgpr14
; %bb.674:
	s_and_not1_saveexec_b32 s0, s0
; %bb.675:
	v_and_b32_e32 v15, 0xffff, v14
	v_or_b32_e32 v16, 0x10000, v14
	s_delay_alu instid0(VALU_DEP_2) | instskip(NEXT) | instid1(VALU_DEP_2)
	v_cmp_eq_u32_e32 vcc_lo, 0, v15
	v_cndmask_b32_e32 v15, v16, v14, vcc_lo
; %bb.676:
	s_or_b32 exec_lo, exec_lo, s0
	v_and_b32_e32 v14, 0x7f800000, v13
	flat_store_d16_hi_b16 v[0:1], v15 offset:48
	v_cmp_ne_u32_e32 vcc_lo, 0x7f800000, v14
                                        ; implicit-def: $vgpr14
	s_and_saveexec_b32 s0, vcc_lo
	s_delay_alu instid0(SALU_CYCLE_1)
	s_xor_b32 s0, exec_lo, s0
; %bb.677:
	v_bfe_u32 v14, v13, 16, 1
	s_delay_alu instid0(VALU_DEP_1)
	v_add3_u32 v14, v13, v14, 0x7fff
                                        ; implicit-def: $vgpr13
; %bb.678:
	s_and_not1_saveexec_b32 s0, s0
; %bb.679:
	v_and_b32_e32 v14, 0xffff, v13
	v_or_b32_e32 v15, 0x10000, v13
	s_delay_alu instid0(VALU_DEP_2) | instskip(NEXT) | instid1(VALU_DEP_2)
	v_cmp_eq_u32_e32 vcc_lo, 0, v14
	v_cndmask_b32_e32 v14, v15, v13, vcc_lo
; %bb.680:
	s_or_b32 exec_lo, exec_lo, s0
	v_and_b32_e32 v13, 0x7f800000, v12
	flat_store_d16_hi_b16 v[0:1], v14 offset:64
	v_cmp_ne_u32_e32 vcc_lo, 0x7f800000, v13
                                        ; implicit-def: $vgpr13
	s_and_saveexec_b32 s0, vcc_lo
	s_delay_alu instid0(SALU_CYCLE_1)
	s_xor_b32 s0, exec_lo, s0
; %bb.681:
	v_bfe_u32 v13, v12, 16, 1
	s_delay_alu instid0(VALU_DEP_1)
	v_add3_u32 v13, v12, v13, 0x7fff
                                        ; implicit-def: $vgpr12
; %bb.682:
	s_and_not1_saveexec_b32 s0, s0
; %bb.683:
	v_and_b32_e32 v13, 0xffff, v12
	v_or_b32_e32 v14, 0x10000, v12
	s_delay_alu instid0(VALU_DEP_2) | instskip(NEXT) | instid1(VALU_DEP_2)
	v_cmp_eq_u32_e32 vcc_lo, 0, v13
	v_cndmask_b32_e32 v13, v14, v12, vcc_lo
; %bb.684:
	s_or_b32 exec_lo, exec_lo, s0
	v_and_b32_e32 v12, 0x7f800000, v11
	flat_store_d16_hi_b16 v[0:1], v13 offset:80
	v_cmp_ne_u32_e32 vcc_lo, 0x7f800000, v12
                                        ; implicit-def: $vgpr12
	s_and_saveexec_b32 s0, vcc_lo
	s_delay_alu instid0(SALU_CYCLE_1)
	s_xor_b32 s0, exec_lo, s0
; %bb.685:
	v_bfe_u32 v12, v11, 16, 1
	s_delay_alu instid0(VALU_DEP_1)
	v_add3_u32 v12, v11, v12, 0x7fff
                                        ; implicit-def: $vgpr11
; %bb.686:
	s_and_not1_saveexec_b32 s0, s0
; %bb.687:
	v_and_b32_e32 v12, 0xffff, v11
	v_or_b32_e32 v13, 0x10000, v11
	s_delay_alu instid0(VALU_DEP_2) | instskip(NEXT) | instid1(VALU_DEP_2)
	v_cmp_eq_u32_e32 vcc_lo, 0, v12
	v_cndmask_b32_e32 v12, v13, v11, vcc_lo
; %bb.688:
	s_or_b32 exec_lo, exec_lo, s0
	v_and_b32_e32 v11, 0x7f800000, v10
	flat_store_d16_hi_b16 v[0:1], v12 offset:96
	v_cmp_ne_u32_e32 vcc_lo, 0x7f800000, v11
                                        ; implicit-def: $vgpr11
	s_and_saveexec_b32 s0, vcc_lo
	s_delay_alu instid0(SALU_CYCLE_1)
	s_xor_b32 s0, exec_lo, s0
; %bb.689:
	v_bfe_u32 v11, v10, 16, 1
	s_delay_alu instid0(VALU_DEP_1)
	v_add3_u32 v11, v10, v11, 0x7fff
                                        ; implicit-def: $vgpr10
; %bb.690:
	s_and_not1_saveexec_b32 s0, s0
; %bb.691:
	v_and_b32_e32 v11, 0xffff, v10
	v_or_b32_e32 v12, 0x10000, v10
	s_delay_alu instid0(VALU_DEP_2) | instskip(NEXT) | instid1(VALU_DEP_2)
	v_cmp_eq_u32_e32 vcc_lo, 0, v11
	v_cndmask_b32_e32 v11, v12, v10, vcc_lo
; %bb.692:
	s_or_b32 exec_lo, exec_lo, s0
	v_and_b32_e32 v10, 0x7f800000, v9
	flat_store_d16_hi_b16 v[0:1], v11 offset:112
	v_cmp_ne_u32_e32 vcc_lo, 0x7f800000, v10
                                        ; implicit-def: $vgpr10
	s_and_saveexec_b32 s0, vcc_lo
	s_delay_alu instid0(SALU_CYCLE_1)
	s_xor_b32 s0, exec_lo, s0
; %bb.693:
	v_bfe_u32 v10, v9, 16, 1
	s_delay_alu instid0(VALU_DEP_1)
	v_add3_u32 v10, v9, v10, 0x7fff
                                        ; implicit-def: $vgpr9
; %bb.694:
	s_and_not1_saveexec_b32 s0, s0
; %bb.695:
	v_and_b32_e32 v10, 0xffff, v9
	v_or_b32_e32 v11, 0x10000, v9
	s_delay_alu instid0(VALU_DEP_2) | instskip(NEXT) | instid1(VALU_DEP_2)
	v_cmp_eq_u32_e32 vcc_lo, 0, v10
	v_cndmask_b32_e32 v10, v11, v9, vcc_lo
; %bb.696:
	s_or_b32 exec_lo, exec_lo, s0
	v_and_b32_e32 v9, 0x7f800000, v8
	flat_store_d16_hi_b16 v[0:1], v10 offset:128
	v_cmp_ne_u32_e32 vcc_lo, 0x7f800000, v9
                                        ; implicit-def: $vgpr9
	s_and_saveexec_b32 s0, vcc_lo
	s_delay_alu instid0(SALU_CYCLE_1)
	s_xor_b32 s0, exec_lo, s0
; %bb.697:
	v_bfe_u32 v9, v8, 16, 1
	s_delay_alu instid0(VALU_DEP_1)
	v_add3_u32 v9, v8, v9, 0x7fff
                                        ; implicit-def: $vgpr8
; %bb.698:
	s_and_not1_saveexec_b32 s0, s0
; %bb.699:
	v_and_b32_e32 v9, 0xffff, v8
	v_or_b32_e32 v10, 0x10000, v8
	s_delay_alu instid0(VALU_DEP_2) | instskip(NEXT) | instid1(VALU_DEP_2)
	v_cmp_eq_u32_e32 vcc_lo, 0, v9
	v_cndmask_b32_e32 v9, v10, v8, vcc_lo
; %bb.700:
	s_or_b32 exec_lo, exec_lo, s0
	v_and_b32_e32 v8, 0x7f800000, v7
	flat_store_d16_hi_b16 v[0:1], v9 offset:144
	v_cmp_ne_u32_e32 vcc_lo, 0x7f800000, v8
                                        ; implicit-def: $vgpr8
	s_and_saveexec_b32 s0, vcc_lo
	s_delay_alu instid0(SALU_CYCLE_1)
	s_xor_b32 s0, exec_lo, s0
; %bb.701:
	v_bfe_u32 v8, v7, 16, 1
	s_delay_alu instid0(VALU_DEP_1)
	v_add3_u32 v8, v7, v8, 0x7fff
                                        ; implicit-def: $vgpr7
; %bb.702:
	s_and_not1_saveexec_b32 s0, s0
; %bb.703:
	v_and_b32_e32 v8, 0xffff, v7
	v_or_b32_e32 v9, 0x10000, v7
	s_delay_alu instid0(VALU_DEP_2) | instskip(NEXT) | instid1(VALU_DEP_2)
	v_cmp_eq_u32_e32 vcc_lo, 0, v8
	v_cndmask_b32_e32 v8, v9, v7, vcc_lo
; %bb.704:
	s_or_b32 exec_lo, exec_lo, s0
	v_and_b32_e32 v7, 0x7f800000, v6
	flat_store_d16_hi_b16 v[0:1], v8 offset:160
	v_cmp_ne_u32_e32 vcc_lo, 0x7f800000, v7
                                        ; implicit-def: $vgpr7
	s_and_saveexec_b32 s0, vcc_lo
	s_delay_alu instid0(SALU_CYCLE_1)
	s_xor_b32 s0, exec_lo, s0
; %bb.705:
	v_bfe_u32 v7, v6, 16, 1
	s_delay_alu instid0(VALU_DEP_1)
	v_add3_u32 v7, v6, v7, 0x7fff
                                        ; implicit-def: $vgpr6
; %bb.706:
	s_and_not1_saveexec_b32 s0, s0
; %bb.707:
	v_and_b32_e32 v7, 0xffff, v6
	v_or_b32_e32 v8, 0x10000, v6
	s_delay_alu instid0(VALU_DEP_2) | instskip(NEXT) | instid1(VALU_DEP_2)
	v_cmp_eq_u32_e32 vcc_lo, 0, v7
	v_cndmask_b32_e32 v7, v8, v6, vcc_lo
; %bb.708:
	s_or_b32 exec_lo, exec_lo, s0
	v_and_b32_e32 v6, 0x7f800000, v5
	flat_store_d16_hi_b16 v[0:1], v7 offset:176
	v_cmp_ne_u32_e32 vcc_lo, 0x7f800000, v6
                                        ; implicit-def: $vgpr6
	s_and_saveexec_b32 s0, vcc_lo
	s_delay_alu instid0(SALU_CYCLE_1)
	s_xor_b32 s0, exec_lo, s0
; %bb.709:
	v_bfe_u32 v6, v5, 16, 1
	s_delay_alu instid0(VALU_DEP_1)
	v_add3_u32 v6, v5, v6, 0x7fff
                                        ; implicit-def: $vgpr5
; %bb.710:
	s_and_not1_saveexec_b32 s0, s0
; %bb.711:
	v_and_b32_e32 v6, 0xffff, v5
	v_or_b32_e32 v7, 0x10000, v5
	s_delay_alu instid0(VALU_DEP_2) | instskip(NEXT) | instid1(VALU_DEP_2)
	v_cmp_eq_u32_e32 vcc_lo, 0, v6
	v_cndmask_b32_e32 v6, v7, v5, vcc_lo
; %bb.712:
	s_or_b32 exec_lo, exec_lo, s0
	v_and_b32_e32 v5, 0x7f800000, v4
	flat_store_d16_hi_b16 v[0:1], v6 offset:192
	v_cmp_ne_u32_e32 vcc_lo, 0x7f800000, v5
                                        ; implicit-def: $vgpr5
	s_and_saveexec_b32 s0, vcc_lo
	s_delay_alu instid0(SALU_CYCLE_1)
	s_xor_b32 s0, exec_lo, s0
; %bb.713:
	v_bfe_u32 v5, v4, 16, 1
	s_delay_alu instid0(VALU_DEP_1)
	v_add3_u32 v5, v4, v5, 0x7fff
                                        ; implicit-def: $vgpr4
; %bb.714:
	s_and_not1_saveexec_b32 s0, s0
; %bb.715:
	v_and_b32_e32 v5, 0xffff, v4
	v_or_b32_e32 v6, 0x10000, v4
	s_delay_alu instid0(VALU_DEP_2) | instskip(NEXT) | instid1(VALU_DEP_2)
	v_cmp_eq_u32_e32 vcc_lo, 0, v5
	v_cndmask_b32_e32 v5, v6, v4, vcc_lo
; %bb.716:
	s_or_b32 exec_lo, exec_lo, s0
	v_and_b32_e32 v4, 0x7f800000, v3
	flat_store_d16_hi_b16 v[0:1], v5 offset:208
	v_cmp_ne_u32_e32 vcc_lo, 0x7f800000, v4
                                        ; implicit-def: $vgpr4
	s_and_saveexec_b32 s0, vcc_lo
	s_delay_alu instid0(SALU_CYCLE_1)
	s_xor_b32 s0, exec_lo, s0
; %bb.717:
	v_bfe_u32 v4, v3, 16, 1
	s_delay_alu instid0(VALU_DEP_1)
	v_add3_u32 v4, v3, v4, 0x7fff
                                        ; implicit-def: $vgpr3
; %bb.718:
	s_and_not1_saveexec_b32 s0, s0
; %bb.719:
	v_and_b32_e32 v4, 0xffff, v3
	v_or_b32_e32 v5, 0x10000, v3
	s_delay_alu instid0(VALU_DEP_2) | instskip(NEXT) | instid1(VALU_DEP_2)
	v_cmp_eq_u32_e32 vcc_lo, 0, v4
	v_cndmask_b32_e32 v4, v5, v3, vcc_lo
; %bb.720:
	s_or_b32 exec_lo, exec_lo, s0
	v_and_b32_e32 v3, 0x7f800000, v2
	flat_store_d16_hi_b16 v[0:1], v4 offset:224
	v_cmp_ne_u32_e32 vcc_lo, 0x7f800000, v3
                                        ; implicit-def: $vgpr3
	s_and_saveexec_b32 s0, vcc_lo
	s_delay_alu instid0(SALU_CYCLE_1)
	s_xor_b32 s0, exec_lo, s0
; %bb.721:
	v_bfe_u32 v3, v2, 16, 1
	s_delay_alu instid0(VALU_DEP_1)
	v_add3_u32 v3, v2, v3, 0x7fff
                                        ; implicit-def: $vgpr2
; %bb.722:
	s_and_not1_saveexec_b32 s0, s0
; %bb.723:
	v_and_b32_e32 v3, 0xffff, v2
	v_or_b32_e32 v4, 0x10000, v2
	s_delay_alu instid0(VALU_DEP_2) | instskip(NEXT) | instid1(VALU_DEP_2)
	v_cmp_eq_u32_e32 vcc_lo, 0, v3
	v_cndmask_b32_e32 v3, v4, v2, vcc_lo
; %bb.724:
	s_or_b32 exec_lo, exec_lo, s0
	flat_store_d16_hi_b16 v[0:1], v3 offset:240
.LBB187_725:
	s_or_b32 exec_lo, exec_lo, s5
	s_clause 0x1f
	scratch_load_b32 v191, off, s32
	scratch_load_b32 v190, off, s32 offset:4
	scratch_load_b32 v189, off, s32 offset:8
	;; [unrolled: 1-line block ×31, first 2 shown]
	s_clause 0x1f
	scratch_load_b32 v127, off, s32 offset:128
	scratch_load_b32 v126, off, s32 offset:132
	;; [unrolled: 1-line block ×32, first 2 shown]
	s_clause 0xf
	scratch_load_b32 v63, off, s32 offset:256
	scratch_load_b32 v62, off, s32 offset:260
	;; [unrolled: 1-line block ×16, first 2 shown]
	s_waitcnt vmcnt(0) lgkmcnt(0)
	s_setpc_b64 s[30:31]
.LBB187_726:
	v_lshl_add_u32 v17, v1, 2, v18
	ds_load_b32 v17, v17
	s_waitcnt lgkmcnt(0)
	v_add_f32_e32 v0, v17, v0
	s_or_b32 exec_lo, exec_lo, s0
	s_and_saveexec_b32 s0, vcc_lo
	s_cbranch_execz .LBB187_621
.LBB187_727:
	v_lshl_add_u32 v17, v1, 2, v18
	ds_load_b32 v17, v17 offset:32
	s_waitcnt lgkmcnt(0)
	v_add_f32_e32 v16, v17, v16
	s_or_b32 exec_lo, exec_lo, s0
	s_and_saveexec_b32 s0, vcc_lo
	s_cbranch_execz .LBB187_622
.LBB187_728:
	v_lshl_add_u32 v17, v1, 2, v18
	ds_load_b32 v17, v17 offset:64
	s_waitcnt lgkmcnt(0)
	v_add_f32_e32 v15, v17, v15
	s_or_b32 exec_lo, exec_lo, s0
	s_and_saveexec_b32 s0, vcc_lo
	s_cbranch_execz .LBB187_623
.LBB187_729:
	v_lshl_add_u32 v17, v1, 2, v18
	ds_load_b32 v17, v17 offset:96
	s_waitcnt lgkmcnt(0)
	v_add_f32_e32 v14, v17, v14
	s_or_b32 exec_lo, exec_lo, s0
	s_and_saveexec_b32 s0, vcc_lo
	s_cbranch_execz .LBB187_624
.LBB187_730:
	v_lshl_add_u32 v17, v1, 2, v18
	ds_load_b32 v17, v17 offset:128
	s_waitcnt lgkmcnt(0)
	v_add_f32_e32 v13, v17, v13
	s_or_b32 exec_lo, exec_lo, s0
	s_and_saveexec_b32 s0, vcc_lo
	s_cbranch_execz .LBB187_625
.LBB187_731:
	v_lshl_add_u32 v17, v1, 2, v18
	ds_load_b32 v17, v17 offset:160
	s_waitcnt lgkmcnt(0)
	v_add_f32_e32 v12, v17, v12
	s_or_b32 exec_lo, exec_lo, s0
	s_and_saveexec_b32 s0, vcc_lo
	s_cbranch_execz .LBB187_626
.LBB187_732:
	v_lshl_add_u32 v17, v1, 2, v18
	ds_load_b32 v17, v17 offset:192
	s_waitcnt lgkmcnt(0)
	v_add_f32_e32 v11, v17, v11
	s_or_b32 exec_lo, exec_lo, s0
	s_and_saveexec_b32 s0, vcc_lo
	s_cbranch_execz .LBB187_627
.LBB187_733:
	v_lshl_add_u32 v17, v1, 2, v18
	ds_load_b32 v17, v17 offset:224
	s_waitcnt lgkmcnt(0)
	v_add_f32_e32 v10, v17, v10
	s_or_b32 exec_lo, exec_lo, s0
	s_and_saveexec_b32 s0, vcc_lo
	s_cbranch_execz .LBB187_628
.LBB187_734:
	v_lshl_add_u32 v17, v1, 2, v18
	ds_load_b32 v17, v17 offset:256
	s_waitcnt lgkmcnt(0)
	v_add_f32_e32 v9, v17, v9
	s_or_b32 exec_lo, exec_lo, s0
	s_and_saveexec_b32 s0, vcc_lo
	s_cbranch_execz .LBB187_629
.LBB187_735:
	v_lshl_add_u32 v17, v1, 2, v18
	ds_load_b32 v17, v17 offset:288
	s_waitcnt lgkmcnt(0)
	v_add_f32_e32 v8, v17, v8
	s_or_b32 exec_lo, exec_lo, s0
	s_and_saveexec_b32 s0, vcc_lo
	s_cbranch_execz .LBB187_630
.LBB187_736:
	v_lshl_add_u32 v17, v1, 2, v18
	ds_load_b32 v17, v17 offset:320
	s_waitcnt lgkmcnt(0)
	v_add_f32_e32 v7, v17, v7
	s_or_b32 exec_lo, exec_lo, s0
	s_and_saveexec_b32 s0, vcc_lo
	s_cbranch_execz .LBB187_631
.LBB187_737:
	v_lshl_add_u32 v17, v1, 2, v18
	ds_load_b32 v17, v17 offset:352
	s_waitcnt lgkmcnt(0)
	v_add_f32_e32 v6, v17, v6
	s_or_b32 exec_lo, exec_lo, s0
	s_and_saveexec_b32 s0, vcc_lo
	s_cbranch_execz .LBB187_632
.LBB187_738:
	v_lshl_add_u32 v17, v1, 2, v18
	ds_load_b32 v17, v17 offset:384
	s_waitcnt lgkmcnt(0)
	v_add_f32_e32 v5, v17, v5
	s_or_b32 exec_lo, exec_lo, s0
	s_and_saveexec_b32 s0, vcc_lo
	s_cbranch_execz .LBB187_633
.LBB187_739:
	v_lshl_add_u32 v17, v1, 2, v18
	ds_load_b32 v17, v17 offset:416
	s_waitcnt lgkmcnt(0)
	v_add_f32_e32 v4, v17, v4
	s_or_b32 exec_lo, exec_lo, s0
	s_and_saveexec_b32 s0, vcc_lo
	s_cbranch_execz .LBB187_634
.LBB187_740:
	v_lshl_add_u32 v17, v1, 2, v18
	ds_load_b32 v17, v17 offset:448
	s_waitcnt lgkmcnt(0)
	v_add_f32_e32 v3, v17, v3
	s_or_b32 exec_lo, exec_lo, s0
	s_and_saveexec_b32 s0, vcc_lo
	s_cbranch_execnz .LBB187_635
	s_branch .LBB187_636
.LBB187_741:
	ds_load_b32 v17, v1
	s_waitcnt lgkmcnt(0)
	v_add_f32_e32 v0, v17, v0
	s_or_b32 exec_lo, exec_lo, s3
	s_and_saveexec_b32 s3, vcc_lo
	s_cbranch_execz .LBB187_642
.LBB187_742:
	ds_load_b32 v17, v1 offset:32
	s_waitcnt lgkmcnt(0)
	v_add_f32_e32 v16, v17, v16
	s_or_b32 exec_lo, exec_lo, s3
	s_and_saveexec_b32 s3, vcc_lo
	s_cbranch_execz .LBB187_643
.LBB187_743:
	ds_load_b32 v17, v1 offset:64
	s_waitcnt lgkmcnt(0)
	v_add_f32_e32 v15, v17, v15
	s_or_b32 exec_lo, exec_lo, s3
	s_and_saveexec_b32 s3, vcc_lo
	s_cbranch_execz .LBB187_644
.LBB187_744:
	ds_load_b32 v17, v1 offset:96
	s_waitcnt lgkmcnt(0)
	v_add_f32_e32 v14, v17, v14
	s_or_b32 exec_lo, exec_lo, s3
	s_and_saveexec_b32 s3, vcc_lo
	s_cbranch_execz .LBB187_645
.LBB187_745:
	ds_load_b32 v17, v1 offset:128
	s_waitcnt lgkmcnt(0)
	v_add_f32_e32 v13, v17, v13
	s_or_b32 exec_lo, exec_lo, s3
	s_and_saveexec_b32 s3, vcc_lo
	s_cbranch_execz .LBB187_646
.LBB187_746:
	ds_load_b32 v17, v1 offset:160
	s_waitcnt lgkmcnt(0)
	v_add_f32_e32 v12, v17, v12
	s_or_b32 exec_lo, exec_lo, s3
	s_and_saveexec_b32 s3, vcc_lo
	s_cbranch_execz .LBB187_647
.LBB187_747:
	ds_load_b32 v17, v1 offset:192
	s_waitcnt lgkmcnt(0)
	v_add_f32_e32 v11, v17, v11
	s_or_b32 exec_lo, exec_lo, s3
	s_and_saveexec_b32 s3, vcc_lo
	s_cbranch_execz .LBB187_648
.LBB187_748:
	ds_load_b32 v17, v1 offset:224
	s_waitcnt lgkmcnt(0)
	v_add_f32_e32 v10, v17, v10
	s_or_b32 exec_lo, exec_lo, s3
	s_and_saveexec_b32 s3, vcc_lo
	s_cbranch_execz .LBB187_649
.LBB187_749:
	ds_load_b32 v17, v1 offset:256
	s_waitcnt lgkmcnt(0)
	v_add_f32_e32 v9, v17, v9
	s_or_b32 exec_lo, exec_lo, s3
	s_and_saveexec_b32 s3, vcc_lo
	s_cbranch_execz .LBB187_650
.LBB187_750:
	ds_load_b32 v17, v1 offset:288
	s_waitcnt lgkmcnt(0)
	v_add_f32_e32 v8, v17, v8
	s_or_b32 exec_lo, exec_lo, s3
	s_and_saveexec_b32 s3, vcc_lo
	s_cbranch_execz .LBB187_651
.LBB187_751:
	ds_load_b32 v17, v1 offset:320
	s_waitcnt lgkmcnt(0)
	v_add_f32_e32 v7, v17, v7
	s_or_b32 exec_lo, exec_lo, s3
	s_and_saveexec_b32 s3, vcc_lo
	s_cbranch_execz .LBB187_652
.LBB187_752:
	ds_load_b32 v17, v1 offset:352
	s_waitcnt lgkmcnt(0)
	v_add_f32_e32 v6, v17, v6
	s_or_b32 exec_lo, exec_lo, s3
	s_and_saveexec_b32 s3, vcc_lo
	s_cbranch_execz .LBB187_653
.LBB187_753:
	ds_load_b32 v17, v1 offset:384
	s_waitcnt lgkmcnt(0)
	v_add_f32_e32 v5, v17, v5
	s_or_b32 exec_lo, exec_lo, s3
	s_and_saveexec_b32 s3, vcc_lo
	s_cbranch_execz .LBB187_654
.LBB187_754:
	ds_load_b32 v17, v1 offset:416
	s_waitcnt lgkmcnt(0)
	v_add_f32_e32 v4, v17, v4
	s_or_b32 exec_lo, exec_lo, s3
	s_and_saveexec_b32 s3, vcc_lo
	s_cbranch_execz .LBB187_655
.LBB187_755:
	ds_load_b32 v17, v1 offset:448
	s_waitcnt lgkmcnt(0)
	v_add_f32_e32 v3, v17, v3
	s_or_b32 exec_lo, exec_lo, s3
	s_and_saveexec_b32 s3, vcc_lo
	s_cbranch_execnz .LBB187_656
	s_branch .LBB187_657
.Lfunc_end187:
	.size	_ZN4vllm22paged_attention_kernelI14__hip_bfloat16S1_Li128ELi32ELi128ELNS_18Fp8KVCacheDataTypeE0ELb1ELi512EEEvPfS3_PT_PKS4_PKT0_SA_ifPKiSC_iPKfiiiSE_SE_iiiii, .Lfunc_end187-_ZN4vllm22paged_attention_kernelI14__hip_bfloat16S1_Li128ELi32ELi128ELNS_18Fp8KVCacheDataTypeE0ELb1ELi512EEEvPfS3_PT_PKS4_PKT0_SA_ifPKiSC_iPKfiiiSE_SE_iiiii
                                        ; -- End function
	.section	.AMDGPU.csdata,"",@progbits
; Function info:
; codeLenInByte = 33136
; NumSgprs: 35
; NumVgprs: 192
; ScratchSize: 532
; MemoryBound: 0
	.section	.text._ZN4vllm25paged_attention_v2_kernelI14__hip_bfloat16S1_Li128ELi32ELi128ELNS_18Fp8KVCacheDataTypeE0ELb1ELi512EEEvPfS3_PT_PKS4_PKT0_SA_ifPKiSC_iPKfiiiSE_SE_iiiii,"axG",@progbits,_ZN4vllm25paged_attention_v2_kernelI14__hip_bfloat16S1_Li128ELi32ELi128ELNS_18Fp8KVCacheDataTypeE0ELb1ELi512EEEvPfS3_PT_PKS4_PKT0_SA_ifPKiSC_iPKfiiiSE_SE_iiiii,comdat
	.protected	_ZN4vllm25paged_attention_v2_kernelI14__hip_bfloat16S1_Li128ELi32ELi128ELNS_18Fp8KVCacheDataTypeE0ELb1ELi512EEEvPfS3_PT_PKS4_PKT0_SA_ifPKiSC_iPKfiiiSE_SE_iiiii ; -- Begin function _ZN4vllm25paged_attention_v2_kernelI14__hip_bfloat16S1_Li128ELi32ELi128ELNS_18Fp8KVCacheDataTypeE0ELb1ELi512EEEvPfS3_PT_PKS4_PKT0_SA_ifPKiSC_iPKfiiiSE_SE_iiiii
	.globl	_ZN4vllm25paged_attention_v2_kernelI14__hip_bfloat16S1_Li128ELi32ELi128ELNS_18Fp8KVCacheDataTypeE0ELb1ELi512EEEvPfS3_PT_PKS4_PKT0_SA_ifPKiSC_iPKfiiiSE_SE_iiiii
	.p2align	8
	.type	_ZN4vllm25paged_attention_v2_kernelI14__hip_bfloat16S1_Li128ELi32ELi128ELNS_18Fp8KVCacheDataTypeE0ELb1ELi512EEEvPfS3_PT_PKS4_PKT0_SA_ifPKiSC_iPKfiiiSE_SE_iiiii,@function
_ZN4vllm25paged_attention_v2_kernelI14__hip_bfloat16S1_Li128ELi32ELi128ELNS_18Fp8KVCacheDataTypeE0ELb1ELi512EEEvPfS3_PT_PKS4_PKT0_SA_ifPKiSC_iPKfiiiSE_SE_iiiii: ; @_ZN4vllm25paged_attention_v2_kernelI14__hip_bfloat16S1_Li128ELi32ELi128ELNS_18Fp8KVCacheDataTypeE0ELb1ELi512EEEvPfS3_PT_PKS4_PKT0_SA_ifPKiSC_iPKfiiiSE_SE_iiiii
; %bb.0:
	s_mov_b32 s12, s13
	s_clause 0x7
	s_load_b256 s[24:31], s[0:1], 0x0
	s_load_b256 s[16:23], s[0:1], 0x20
	s_load_b64 s[2:3], s[0:1], 0x40
	s_load_b64 s[10:11], s[0:1], 0x50
	s_load_b32 s13, s[0:1], 0x48
	s_load_b32 s33, s[0:1], 0x88
	s_load_b128 s[36:39], s[0:1], 0x58
	s_load_b128 s[4:7], s[0:1], 0x78
	v_mov_b32_e32 v31, v0
	s_add_u32 s8, s0, 0x90
	s_addc_u32 s9, s1, 0
	s_mov_b32 s32, 0
	s_getpc_b64 s[0:1]
	s_add_u32 s0, s0, _ZN4vllm22paged_attention_kernelI14__hip_bfloat16S1_Li128ELi32ELi128ELNS_18Fp8KVCacheDataTypeE0ELb1ELi512EEEvPfS3_PT_PKS4_PKT0_SA_ifPKiSC_iPKfiiiSE_SE_iiiii@rel32@lo+4
	s_addc_u32 s1, s1, _ZN4vllm22paged_attention_kernelI14__hip_bfloat16S1_Li128ELi32ELi128ELNS_18Fp8KVCacheDataTypeE0ELb1ELi512EEEvPfS3_PT_PKS4_PKT0_SA_ifPKiSC_iPKfiiiSE_SE_iiiii@rel32@hi+12
	s_waitcnt lgkmcnt(0)
	v_dual_mov_b32 v0, s24 :: v_dual_mov_b32 v1, s25
	v_dual_mov_b32 v2, s26 :: v_dual_mov_b32 v3, s27
	;; [unrolled: 1-line block ×14, first 2 shown]
	v_mov_b32_e32 v28, s33
	s_mov_b32 s13, s14
	s_mov_b32 s14, s15
	;; [unrolled: 1-line block ×3, first 2 shown]
	s_swappc_b64 s[30:31], s[0:1]
	s_endpgm
	.section	.rodata,"a",@progbits
	.p2align	6, 0x0
	.amdhsa_kernel _ZN4vllm25paged_attention_v2_kernelI14__hip_bfloat16S1_Li128ELi32ELi128ELNS_18Fp8KVCacheDataTypeE0ELb1ELi512EEEvPfS3_PT_PKS4_PKT0_SA_ifPKiSC_iPKfiiiSE_SE_iiiii
		.amdhsa_group_segment_fixed_size 288
		.amdhsa_private_segment_fixed_size 532
		.amdhsa_kernarg_size 400
		.amdhsa_user_sgpr_count 13
		.amdhsa_user_sgpr_dispatch_ptr 0
		.amdhsa_user_sgpr_queue_ptr 0
		.amdhsa_user_sgpr_kernarg_segment_ptr 1
		.amdhsa_user_sgpr_dispatch_id 0
		.amdhsa_user_sgpr_private_segment_size 0
		.amdhsa_wavefront_size32 1
		.amdhsa_uses_dynamic_stack 0
		.amdhsa_enable_private_segment 1
		.amdhsa_system_sgpr_workgroup_id_x 1
		.amdhsa_system_sgpr_workgroup_id_y 1
		.amdhsa_system_sgpr_workgroup_id_z 1
		.amdhsa_system_sgpr_workgroup_info 0
		.amdhsa_system_vgpr_workitem_id 0
		.amdhsa_next_free_vgpr 192
		.amdhsa_next_free_sgpr 40
		.amdhsa_reserve_vcc 1
		.amdhsa_float_round_mode_32 0
		.amdhsa_float_round_mode_16_64 0
		.amdhsa_float_denorm_mode_32 3
		.amdhsa_float_denorm_mode_16_64 3
		.amdhsa_dx10_clamp 1
		.amdhsa_ieee_mode 1
		.amdhsa_fp16_overflow 0
		.amdhsa_workgroup_processor_mode 1
		.amdhsa_memory_ordered 1
		.amdhsa_forward_progress 0
		.amdhsa_shared_vgpr_count 0
		.amdhsa_exception_fp_ieee_invalid_op 0
		.amdhsa_exception_fp_denorm_src 0
		.amdhsa_exception_fp_ieee_div_zero 0
		.amdhsa_exception_fp_ieee_overflow 0
		.amdhsa_exception_fp_ieee_underflow 0
		.amdhsa_exception_fp_ieee_inexact 0
		.amdhsa_exception_int_div_zero 0
	.end_amdhsa_kernel
	.section	.text._ZN4vllm25paged_attention_v2_kernelI14__hip_bfloat16S1_Li128ELi32ELi128ELNS_18Fp8KVCacheDataTypeE0ELb1ELi512EEEvPfS3_PT_PKS4_PKT0_SA_ifPKiSC_iPKfiiiSE_SE_iiiii,"axG",@progbits,_ZN4vllm25paged_attention_v2_kernelI14__hip_bfloat16S1_Li128ELi32ELi128ELNS_18Fp8KVCacheDataTypeE0ELb1ELi512EEEvPfS3_PT_PKS4_PKT0_SA_ifPKiSC_iPKfiiiSE_SE_iiiii,comdat
.Lfunc_end188:
	.size	_ZN4vllm25paged_attention_v2_kernelI14__hip_bfloat16S1_Li128ELi32ELi128ELNS_18Fp8KVCacheDataTypeE0ELb1ELi512EEEvPfS3_PT_PKS4_PKT0_SA_ifPKiSC_iPKfiiiSE_SE_iiiii, .Lfunc_end188-_ZN4vllm25paged_attention_v2_kernelI14__hip_bfloat16S1_Li128ELi32ELi128ELNS_18Fp8KVCacheDataTypeE0ELb1ELi512EEEvPfS3_PT_PKS4_PKT0_SA_ifPKiSC_iPKfiiiSE_SE_iiiii
                                        ; -- End function
	.section	.AMDGPU.csdata,"",@progbits
; Kernel info:
; codeLenInByte = 252
; NumSgprs: 42
; NumVgprs: 192
; ScratchSize: 532
; MemoryBound: 0
; FloatMode: 240
; IeeeMode: 1
; LDSByteSize: 288 bytes/workgroup (compile time only)
; SGPRBlocks: 5
; VGPRBlocks: 23
; NumSGPRsForWavesPerEU: 42
; NumVGPRsForWavesPerEU: 192
; Occupancy: 8
; WaveLimiterHint : 1
; COMPUTE_PGM_RSRC2:SCRATCH_EN: 1
; COMPUTE_PGM_RSRC2:USER_SGPR: 13
; COMPUTE_PGM_RSRC2:TRAP_HANDLER: 0
; COMPUTE_PGM_RSRC2:TGID_X_EN: 1
; COMPUTE_PGM_RSRC2:TGID_Y_EN: 1
; COMPUTE_PGM_RSRC2:TGID_Z_EN: 1
; COMPUTE_PGM_RSRC2:TIDIG_COMP_CNT: 0
	.text
	.p2align	2                               ; -- Begin function _ZN4vllm22paged_attention_kernelI14__hip_bfloat16S1_Li192ELi32ELi128ELNS_18Fp8KVCacheDataTypeE0ELb1ELi512EEEvPfS3_PT_PKS4_PKT0_SA_ifPKiSC_iPKfiiiSE_SE_iiiii
	.type	_ZN4vllm22paged_attention_kernelI14__hip_bfloat16S1_Li192ELi32ELi128ELNS_18Fp8KVCacheDataTypeE0ELb1ELi512EEEvPfS3_PT_PKS4_PKT0_SA_ifPKiSC_iPKfiiiSE_SE_iiiii,@function
_ZN4vllm22paged_attention_kernelI14__hip_bfloat16S1_Li192ELi32ELi128ELNS_18Fp8KVCacheDataTypeE0ELb1ELi512EEEvPfS3_PT_PKS4_PKT0_SA_ifPKiSC_iPKfiiiSE_SE_iiiii: ; @_ZN4vllm22paged_attention_kernelI14__hip_bfloat16S1_Li192ELi32ELi128ELNS_18Fp8KVCacheDataTypeE0ELb1ELi512EEEvPfS3_PT_PKS4_PKT0_SA_ifPKiSC_iPKfiiiSE_SE_iiiii
; %bb.0:
	s_waitcnt vmcnt(0) expcnt(0) lgkmcnt(0)
	s_clause 0x1f
	scratch_store_b32 off, v40, s32 offset:316
	; meta instruction
	scratch_store_b32 off, v41, s32 offset:312
	; meta instruction
	;; [unrolled: 2-line block ×31, first 2 shown]
	scratch_store_b32 off, v95, s32 offset:192
	s_clause 0x1f
	scratch_store_b32 off, v104, s32 offset:188
	; meta instruction
	scratch_store_b32 off, v105, s32 offset:184
	; meta instruction
	;; [unrolled: 2-line block ×31, first 2 shown]
	scratch_store_b32 off, v159, s32 offset:64
	s_clause 0xf
	scratch_store_b32 off, v168, s32 offset:60
	; meta instruction
	scratch_store_b32 off, v169, s32 offset:56
	; meta instruction
	;; [unrolled: 2-line block ×15, first 2 shown]
	scratch_store_b32 off, v191, s32
	s_mov_b32 s4, s13
	s_ashr_i32 s5, s13, 31
	v_dual_mov_b32 v34, v2 :: v_dual_mov_b32 v29, v0
	s_lshl_b64 s[0:1], s[4:5], 2
	scratch_store_b32 off, v22, s32 offset:384 ; 4-byte Folded Spill
	v_add_co_u32 v0, vcc_lo, v16, s0
	v_mov_b32_e32 v22, v1
	v_add_co_ci_u32_e32 v1, vcc_lo, s1, v17, vcc_lo
	s_clause 0x1
	scratch_store_b32 off, v5, s32 offset:720
	scratch_store_b32 off, v4, s32 offset:724
	v_dual_mov_b32 v32, v15 :: v_dual_mov_b32 v33, v14
	flat_load_b32 v96, v[0:1]
	v_dual_mov_b32 v15, v10 :: v_dual_mov_b32 v30, v3
	s_lshl_b32 s17, s14, 9
	s_mov_b32 s5, exec_lo
	s_waitcnt vmcnt(0) lgkmcnt(0)
	v_cmpx_lt_i32_e64 s17, v96
	s_cbranch_execz .LBB189_1045
; %bb.1:
	v_sub_nc_u32_e32 v0, 0, v12
	s_clause 0x1
	s_load_b32 s0, s[8:9], 0x10
	s_load_b32 s1, s[8:9], 0x0
	s_mov_b32 s10, s15
	v_mov_b32_e32 v102, 0
	v_max_i32_e32 v0, v12, v0
	s_delay_alu instid0(VALU_DEP_1) | instskip(SKIP_1) | instid1(VALU_DEP_2)
	v_cvt_f32_u32_e32 v1, v0
	v_sub_nc_u32_e32 v2, 0, v0
	v_rcp_iflag_f32_e32 v1, v1
	s_waitcnt lgkmcnt(0)
	s_lshr_b32 s0, s0, 16
	s_delay_alu instid0(SALU_CYCLE_1) | instskip(SKIP_3) | instid1(SALU_CYCLE_1)
	s_cmp_lg_u32 s0, 0
	s_waitcnt_depctr 0xfff
	v_mul_f32_e32 v1, 0x4f7ffffe, v1
	s_cselect_b32 s0, -1, 0
	s_cmp_lg_u32 s0, 0
	s_delay_alu instid0(VALU_DEP_1) | instskip(SKIP_3) | instid1(VALU_DEP_1)
	v_cvt_u32_f32_e32 v1, v1
	s_addc_u32 s16, s1, 0
	s_mov_b32 s1, exec_lo
	s_abs_i32 s0, s16
	v_mul_lo_u32 v2, v2, v1
	s_delay_alu instid0(VALU_DEP_1) | instskip(NEXT) | instid1(VALU_DEP_1)
	v_mul_hi_u32 v2, v1, v2
	v_add_nc_u32_e32 v1, v1, v2
	s_delay_alu instid0(VALU_DEP_1) | instskip(NEXT) | instid1(VALU_DEP_1)
	v_mul_hi_u32 v1, s0, v1
	v_mul_lo_u32 v2, v1, v0
	v_add_nc_u32_e32 v3, 1, v1
	s_delay_alu instid0(VALU_DEP_2) | instskip(SKIP_1) | instid1(VALU_DEP_1)
	v_sub_nc_u32_e32 v2, s0, v2
	s_abs_i32 s0, s12
	v_sub_nc_u32_e32 v4, v2, v0
	v_cmp_ge_u32_e32 vcc_lo, v2, v0
	s_delay_alu instid0(VALU_DEP_2) | instskip(SKIP_1) | instid1(VALU_DEP_2)
	v_dual_cndmask_b32 v1, v1, v3 :: v_dual_cndmask_b32 v2, v2, v4
	v_xor_b32_e32 v3, s16, v12
	v_add_nc_u32_e32 v4, 1, v1
	s_delay_alu instid0(VALU_DEP_3) | instskip(NEXT) | instid1(VALU_DEP_3)
	v_cmp_ge_u32_e32 vcc_lo, v2, v0
	v_ashrrev_i32_e32 v3, 31, v3
	s_delay_alu instid0(VALU_DEP_3) | instskip(NEXT) | instid1(VALU_DEP_1)
	v_cndmask_b32_e32 v0, v1, v4, vcc_lo
	v_xor_b32_e32 v0, v0, v3
	s_delay_alu instid0(VALU_DEP_1) | instskip(NEXT) | instid1(VALU_DEP_1)
	v_sub_nc_u32_e32 v1, v0, v3
	v_sub_nc_u32_e32 v0, 0, v1
	s_delay_alu instid0(VALU_DEP_1) | instskip(NEXT) | instid1(VALU_DEP_1)
	v_max_i32_e32 v0, v1, v0
	v_cvt_f32_u32_e32 v2, v0
	v_sub_nc_u32_e32 v3, 0, v0
	s_delay_alu instid0(VALU_DEP_2) | instskip(SKIP_2) | instid1(VALU_DEP_1)
	v_rcp_iflag_f32_e32 v2, v2
	s_waitcnt_depctr 0xfff
	v_mul_f32_e32 v2, 0x4f7ffffe, v2
	v_cvt_u32_f32_e32 v2, v2
	s_delay_alu instid0(VALU_DEP_1) | instskip(NEXT) | instid1(VALU_DEP_1)
	v_mul_lo_u32 v3, v3, v2
	v_mul_hi_u32 v3, v2, v3
	s_delay_alu instid0(VALU_DEP_1) | instskip(NEXT) | instid1(VALU_DEP_1)
	v_add_nc_u32_e32 v2, v2, v3
	v_mad_u64_u32 v[16:17], null, s0, v2, 0
	v_cmpx_ne_u64_e32 0, v[19:20]
	s_cbranch_execz .LBB189_3
; %bb.2:
	s_ashr_i32 s13, s12, 31
	s_delay_alu instid0(SALU_CYCLE_1) | instskip(NEXT) | instid1(SALU_CYCLE_1)
	s_lshl_b64 s[2:3], s[12:13], 2
	v_add_co_u32 v2, vcc_lo, v19, s2
	v_add_co_ci_u32_e32 v3, vcc_lo, s3, v20, vcc_lo
	flat_load_b32 v102, v[2:3]
.LBB189_3:
	s_or_b32 exec_lo, exec_lo, s1
	v_and_b32_e32 v14, 0x3ff, v31
	v_ashrrev_i32_e32 v1, 31, v1
	s_ashr_i32 s1, s12, 31
	s_mul_i32 s6, s12, 0xc0
	s_mov_b32 s2, exec_lo
	v_cmpx_gt_u32_e32 24, v14
	s_cbranch_execz .LBB189_5
; %bb.4:
	v_mul_lo_u32 v2, s4, v21
	s_ashr_i32 s7, s6, 31
	v_lshlrev_b32_e32 v10, 4, v14
	s_lshl_b64 s[18:19], s[6:7], 1
	s_delay_alu instid0(VALU_DEP_2) | instskip(NEXT) | instid1(VALU_DEP_1)
	v_ashrrev_i32_e32 v3, 31, v2
	v_lshlrev_b64 v[2:3], 1, v[2:3]
	s_delay_alu instid0(VALU_DEP_1) | instskip(NEXT) | instid1(VALU_DEP_2)
	v_add_co_u32 v2, vcc_lo, v6, v2
	v_add_co_ci_u32_e32 v3, vcc_lo, v7, v3, vcc_lo
	s_delay_alu instid0(VALU_DEP_2) | instskip(NEXT) | instid1(VALU_DEP_2)
	v_add_co_u32 v2, vcc_lo, v2, s18
	v_add_co_ci_u32_e32 v3, vcc_lo, s19, v3, vcc_lo
	s_delay_alu instid0(VALU_DEP_2) | instskip(NEXT) | instid1(VALU_DEP_2)
	v_add_co_u32 v2, vcc_lo, v2, v10
	v_add_co_ci_u32_e32 v3, vcc_lo, 0, v3, vcc_lo
	flat_load_b128 v[2:5], v[2:3]
	s_waitcnt vmcnt(0) lgkmcnt(0)
	ds_store_b128 v10, v[2:5]
.LBB189_5:
	s_or_b32 exec_lo, exec_lo, s2
	v_sub_nc_u32_e32 v2, 0, v27
	v_mul_lo_u32 v3, v17, v0
	v_xor_b32_e32 v1, s1, v1
                                        ; implicit-def: $vgpr20
	v_add_nc_u32_e32 v5, 1, v17
	s_delay_alu instid0(VALU_DEP_4) | instskip(NEXT) | instid1(VALU_DEP_4)
	v_max_i32_e32 v97, v27, v2
	v_sub_nc_u32_e32 v3, s0, v3
	s_delay_alu instid0(VALU_DEP_2) | instskip(SKIP_1) | instid1(VALU_DEP_2)
	v_cvt_f32_u32_e32 v2, v97
	s_mov_b32 s0, exec_lo
	v_sub_nc_u32_e32 v6, v3, v0
	s_delay_alu instid0(VALU_DEP_2) | instskip(SKIP_3) | instid1(VALU_DEP_1)
	v_rcp_iflag_f32_e32 v2, v2
	v_cmp_ge_u32_e32 vcc_lo, v3, v0
	s_waitcnt_depctr 0xfff
	v_dual_cndmask_b32 v5, v17, v5 :: v_dual_mul_f32 v2, 0x4f7ffffe, v2
	v_cvt_u32_f32_e32 v4, v2
	v_sub_nc_u32_e32 v2, 0, v97
	s_delay_alu instid0(VALU_DEP_1) | instskip(SKIP_2) | instid1(VALU_DEP_2)
	v_mul_lo_u32 v7, v2, v4
	v_dual_cndmask_b32 v3, v3, v6 :: v_dual_add_nc_u32 v2, -1, v96
	v_add_nc_u32_e32 v6, 1, v5
	v_sub_nc_u32_e32 v10, 0, v2
	s_delay_alu instid0(VALU_DEP_3) | instskip(SKIP_1) | instid1(VALU_DEP_3)
	v_cmp_ge_u32_e32 vcc_lo, v3, v0
	v_mul_hi_u32 v7, v4, v7
	v_max_i32_e32 v0, v2, v10
	s_delay_alu instid0(VALU_DEP_2) | instskip(NEXT) | instid1(VALU_DEP_1)
	v_dual_cndmask_b32 v3, v5, v6 :: v_dual_add_nc_u32 v4, v4, v7
	v_xor_b32_e32 v3, v3, v1
	s_delay_alu instid0(VALU_DEP_2) | instskip(NEXT) | instid1(VALU_DEP_2)
	v_mad_u64_u32 v[6:7], null, v0, v4, 0
	v_sub_nc_u32_e32 v6, v3, v1
	scratch_store_b32 off, v4, s32 offset:328 ; 4-byte Folded Spill
	s_waitcnt vmcnt(0) lgkmcnt(0)
	s_waitcnt_vscnt null, 0x0
	s_barrier
	buffer_gl0_inv
	v_cmpx_gt_i32_e32 0, v28
	s_xor_b32 s0, exec_lo, s0
; %bb.6:
	v_mad_u64_u32 v[3:4], null, v24, v12, v[6:7]
                                        ; implicit-def: $vgpr24
	s_delay_alu instid0(VALU_DEP_1) | instskip(NEXT) | instid1(VALU_DEP_1)
	v_mul_lo_u32 v1, v3, v28
                                        ; implicit-def: $vgpr28
	v_sub_nc_u32_e32 v20, 1, v1
; %bb.7:
	s_or_saveexec_b32 s0, s0
	v_ashrrev_i32_e32 v1, 31, v2
	v_ashrrev_i32_e32 v2, 31, v27
	scratch_store_b32 off, v2, s32 offset:320 ; 4-byte Folded Spill
	s_xor_b32 exec_lo, exec_lo, s0
; %bb.8:
	v_mad_u64_u32 v[2:3], null, s16, v24, s[12:13]
	s_delay_alu instid0(VALU_DEP_1)
	v_mad_u64_u32 v[20:21], null, v2, v28, 1
; %bb.9:
	s_or_b32 exec_lo, exec_lo, s0
	s_clause 0x1
	s_load_b32 s13, s[8:9], 0x14
	s_load_b32 s7, s[8:9], 0x8
	scratch_load_b32 v10, off, s32 offset:320 ; 4-byte Folded Reload
	v_mul_lo_u32 v2, v7, v97
	s_lshl_b32 s3, s14, 4
	v_mul_lo_u32 v35, v6, v23
	s_add_i32 s0, s3, 16
	v_sub_nc_u32_e32 v31, 0, v26
	v_mov_b32_e32 v46, 0xff7fffff
	s_delay_alu instid0(VALU_DEP_4) | instskip(SKIP_2) | instid1(VALU_DEP_3)
	v_sub_nc_u32_e32 v2, v0, v2
	v_add_nc_u32_e32 v0, 1, v7
	v_ashrrev_i32_e32 v36, 31, v35
	v_sub_nc_u32_e32 v5, v2, v97
	v_cmp_ge_u32_e32 vcc_lo, v2, v97
	s_delay_alu instid0(VALU_DEP_2) | instskip(NEXT) | instid1(VALU_DEP_1)
	v_dual_cndmask_b32 v2, v2, v5 :: v_dual_add_nc_u32 v3, 31, v96
	v_ashrrev_i32_e32 v4, 31, v3
	v_cndmask_b32_e32 v7, v7, v0, vcc_lo
	v_mul_lo_u32 v0, s4, v18
	v_lshrrev_b32_e32 v5, 5, v14
	v_cmp_ge_u32_e32 vcc_lo, v2, v97
	s_delay_alu instid0(VALU_DEP_2) | instskip(SKIP_4) | instid1(VALU_DEP_2)
	v_add_nc_u32_e32 v23, s3, v5
	s_waitcnt vmcnt(0)
	v_xor_b32_e32 v10, v1, v10
	v_lshrrev_b32_e32 v1, 27, v4
	v_add_nc_u32_e32 v4, 1, v7
	v_add_nc_u32_e32 v1, v3, v1
	s_delay_alu instid0(VALU_DEP_2) | instskip(NEXT) | instid1(VALU_DEP_2)
	v_dual_cndmask_b32 v2, v7, v4 :: v_dual_and_b32 v3, 31, v14
	v_ashrrev_i32_e32 v17, 5, v1
	s_delay_alu instid0(VALU_DEP_2) | instskip(SKIP_1) | instid1(VALU_DEP_4)
	v_xor_b32_e32 v2, v2, v10
	v_ashrrev_i32_e32 v1, 31, v0
	v_lshlrev_b32_e32 v48, 2, v3
	s_delay_alu instid0(VALU_DEP_4) | instskip(NEXT) | instid1(VALU_DEP_4)
	v_min_i32_e32 v4, s0, v17
	v_sub_nc_u32_e32 v2, v2, v10
	s_delay_alu instid0(VALU_DEP_4)
	v_lshlrev_b64 v[37:38], 2, v[0:1]
	s_clause 0x1
	scratch_store_b32 off, v5, s32 offset:716
	scratch_store_b32 off, v4, s32 offset:324
	v_cmp_lt_i32_e64 s0, v23, v4
	v_sub_nc_u32_e32 v0, v2, v25
	s_clause 0x1
	scratch_store_b32 off, v0, s32 offset:332
	scratch_store_b32 off, v3, s32 offset:524
	s_mov_b32 s15, exec_lo
	s_delay_alu instid0(SALU_CYCLE_1)
	s_and_b32 s1, s15, s0
	scratch_store_b32 off, v14, s32 offset:712 ; 4-byte Folded Spill
	s_mov_b32 exec_lo, s1
	s_cbranch_execz .LBB189_17
; %bb.10:
	v_mov_b32_e32 v6, 0
	s_clause 0x6
	scratch_store_b32 off, v17, s32 offset:764
	scratch_store_b32 off, v34, s32 offset:760
	;; [unrolled: 1-line block ×7, first 2 shown]
	v_ashrrev_i32_e32 v24, 31, v23
	v_max_i32_e32 v47, v26, v31
	s_getpc_b64 s[8:9]
	s_add_u32 s8, s8, llvm.amdgcn.dynlds.offset.table@rel32@lo+4
	s_addc_u32 s9, s9, llvm.amdgcn.dynlds.offset.table@rel32@hi+12
	ds_load_b128 v[0:3], v6
	ds_load_b128 v[14:17], v6 offset:16
	s_ashr_i32 s11, s10, 31
	v_mov_b32_e32 v63, v23
	s_lshl_b64 s[18:19], s[10:11], 2
	s_mov_b32 s11, 0
	s_add_u32 s8, s18, s8
	s_addc_u32 s9, s19, s9
	v_mov_b32_e32 v62, 0xff7fffff
	v_mov_b32_e32 v46, 0xff7fffff
	s_waitcnt lgkmcnt(0)
	v_bfi_b32 v25, 0xffff, 0, v0
	v_lshlrev_b32_e32 v0, 16, v0
	v_lshlrev_b32_e32 v4, 16, v14
	s_clause 0x1
	scratch_store_b32 off, v0, s32 offset:336
	scratch_store_b32 off, v4, s32 offset:368
	v_bfi_b32 v0, 0xffff, 0, v1
	v_bfi_b32 v4, 0xffff, 0, v15
	s_clause 0x1
	scratch_store_b32 off, v0, s32 offset:340
	scratch_store_b32 off, v4, s32 offset:372
	v_lshlrev_b32_e32 v0, 16, v1
	v_lshlrev_b32_e32 v4, 16, v15
	s_clause 0x1
	scratch_store_b32 off, v0, s32 offset:344
	scratch_store_b32 off, v4, s32 offset:376
	v_bfi_b32 v0, 0xffff, 0, v2
	v_bfi_b32 v4, 0xffff, 0, v16
	s_clause 0x1
	scratch_store_b32 off, v0, s32 offset:348
	scratch_store_b32 off, v4, s32 offset:380
	;; [unrolled: 10-line block ×3, first 2 shown]
	v_lshlrev_b32_e32 v0, 16, v3
	v_lshlrev_b32_e32 v4, 16, v17
	s_clause 0x1
	scratch_store_b32 off, v0, s32 offset:360
	scratch_store_b32 off, v4, s32 offset:396
	v_bfi_b32 v0, 0xffff, 0, v14
	ds_load_b128 v[14:17], v6 offset:48
	scratch_store_b32 off, v0, s32 offset:364 ; 4-byte Folded Spill
	ds_load_b128 v[0:3], v6 offset:32
	s_waitcnt lgkmcnt(0)
	v_bfi_b32 v4, 0xffff, 0, v0
	v_lshlrev_b32_e32 v0, 16, v0
	s_clause 0x1
	scratch_store_b32 off, v4, s32 offset:400
	scratch_store_b32 off, v0, s32 offset:404
	v_bfi_b32 v0, 0xffff, 0, v1
	scratch_store_b32 off, v0, s32 offset:408 ; 4-byte Folded Spill
	v_lshlrev_b32_e32 v0, 16, v1
	scratch_store_b32 off, v0, s32 offset:412 ; 4-byte Folded Spill
	v_bfi_b32 v0, 0xffff, 0, v2
	scratch_store_b32 off, v0, s32 offset:416 ; 4-byte Folded Spill
	v_lshlrev_b32_e32 v0, 16, v2
	scratch_store_b32 off, v0, s32 offset:420 ; 4-byte Folded Spill
	;; [unrolled: 4-line block ×7, first 2 shown]
	ds_load_b128 v[0:3], v6 offset:64
	ds_load_b128 v[14:17], v6 offset:80
	s_waitcnt lgkmcnt(1)
	v_bfi_b32 v4, 0xffff, 0, v0
	v_lshlrev_b32_e32 v0, 16, v0
	s_clause 0x1
	scratch_store_b32 off, v4, s32 offset:464
	scratch_store_b32 off, v0, s32 offset:468
	v_bfi_b32 v0, 0xffff, 0, v1
	scratch_store_b32 off, v0, s32 offset:472 ; 4-byte Folded Spill
	v_lshlrev_b32_e32 v0, 16, v1
	scratch_store_b32 off, v0, s32 offset:476 ; 4-byte Folded Spill
	v_bfi_b32 v0, 0xffff, 0, v2
	scratch_store_b32 off, v0, s32 offset:480 ; 4-byte Folded Spill
	v_lshlrev_b32_e32 v0, 16, v2
	scratch_store_b32 off, v0, s32 offset:484 ; 4-byte Folded Spill
	v_bfi_b32 v0, 0xffff, 0, v3
	scratch_store_b32 off, v0, s32 offset:488 ; 4-byte Folded Spill
	v_lshlrev_b32_e32 v0, 16, v3
	scratch_store_b32 off, v0, s32 offset:492 ; 4-byte Folded Spill
	s_waitcnt lgkmcnt(0)
	v_bfi_b32 v0, 0xffff, 0, v14
	scratch_store_b32 off, v0, s32 offset:496 ; 4-byte Folded Spill
	v_lshlrev_b32_e32 v0, 16, v14
	scratch_store_b32 off, v0, s32 offset:500 ; 4-byte Folded Spill
	v_bfi_b32 v0, 0xffff, 0, v15
	scratch_store_b32 off, v0, s32 offset:504 ; 4-byte Folded Spill
	v_lshlrev_b32_e32 v0, 16, v15
	scratch_store_b32 off, v0, s32 offset:508 ; 4-byte Folded Spill
	v_bfi_b32 v0, 0xffff, 0, v16
	scratch_store_b32 off, v0, s32 offset:512 ; 4-byte Folded Spill
	v_lshlrev_b32_e32 v0, 16, v16
	scratch_store_b32 off, v0, s32 offset:516 ; 4-byte Folded Spill
	v_bfi_b32 v0, 0xffff, 0, v17
	scratch_store_b32 off, v0, s32 offset:520 ; 4-byte Folded Spill
	v_lshlrev_b32_e32 v0, 16, v17
	scratch_store_b32 off, v0, s32 offset:528 ; 4-byte Folded Spill
	ds_load_b128 v[0:3], v6 offset:96
	ds_load_b128 v[14:17], v6 offset:112
	s_waitcnt lgkmcnt(1)
	v_bfi_b32 v4, 0xffff, 0, v0
	v_lshlrev_b32_e32 v0, 16, v0
	s_clause 0x1
	scratch_store_b32 off, v4, s32 offset:532
	scratch_store_b32 off, v0, s32 offset:536
	v_bfi_b32 v0, 0xffff, 0, v1
	scratch_store_b32 off, v0, s32 offset:540 ; 4-byte Folded Spill
	v_lshlrev_b32_e32 v0, 16, v1
	scratch_store_b32 off, v0, s32 offset:544 ; 4-byte Folded Spill
	v_bfi_b32 v0, 0xffff, 0, v2
	scratch_store_b32 off, v0, s32 offset:548 ; 4-byte Folded Spill
	v_lshlrev_b32_e32 v0, 16, v2
	scratch_store_b32 off, v0, s32 offset:552 ; 4-byte Folded Spill
	v_bfi_b32 v0, 0xffff, 0, v3
	scratch_store_b32 off, v0, s32 offset:556 ; 4-byte Folded Spill
	v_lshlrev_b32_e32 v0, 16, v3
	scratch_store_b32 off, v0, s32 offset:560 ; 4-byte Folded Spill
	s_waitcnt lgkmcnt(0)
	v_bfi_b32 v0, 0xffff, 0, v14
	scratch_store_b32 off, v0, s32 offset:564 ; 4-byte Folded Spill
	v_lshlrev_b32_e32 v0, 16, v14
	scratch_store_b32 off, v0, s32 offset:568 ; 4-byte Folded Spill
	v_bfi_b32 v0, 0xffff, 0, v15
	scratch_store_b32 off, v0, s32 offset:572 ; 4-byte Folded Spill
	v_lshlrev_b32_e32 v0, 16, v15
	scratch_store_b32 off, v0, s32 offset:576 ; 4-byte Folded Spill
	v_bfi_b32 v0, 0xffff, 0, v16
	scratch_store_b32 off, v0, s32 offset:580 ; 4-byte Folded Spill
	v_lshlrev_b32_e32 v0, 16, v16
	scratch_store_b32 off, v0, s32 offset:584 ; 4-byte Folded Spill
	v_bfi_b32 v0, 0xffff, 0, v17
	scratch_store_b32 off, v0, s32 offset:588 ; 4-byte Folded Spill
	v_lshlrev_b32_e32 v0, 16, v17
	scratch_store_b32 off, v0, s32 offset:592 ; 4-byte Folded Spill
	;; [unrolled: 37-line block ×3, first 2 shown]
	ds_load_b128 v[0:3], v6 offset:160
	ds_load_b128 v[14:17], v6 offset:176
	s_waitcnt lgkmcnt(1)
	v_bfi_b32 v4, 0xffff, 0, v0
	v_lshlrev_b32_e32 v0, 16, v0
	s_waitcnt lgkmcnt(0)
	v_lshlrev_b32_e32 v139, 16, v16
	v_bfi_b32 v140, 0xffff, 0, v17
	v_lshlrev_b32_e32 v141, 16, v17
	s_clause 0x1
	scratch_store_b32 off, v4, s32 offset:660
	scratch_store_b32 off, v0, s32 offset:664
	v_bfi_b32 v0, 0xffff, 0, v1
	scratch_store_b32 off, v0, s32 offset:668 ; 4-byte Folded Spill
	v_lshlrev_b32_e32 v0, 16, v1
	scratch_store_b32 off, v0, s32 offset:672 ; 4-byte Folded Spill
	v_bfi_b32 v0, 0xffff, 0, v2
	scratch_store_b32 off, v0, s32 offset:676 ; 4-byte Folded Spill
	v_lshlrev_b32_e32 v0, 16, v2
	scratch_store_b32 off, v0, s32 offset:680 ; 4-byte Folded Spill
	;; [unrolled: 4-line block ×5, first 2 shown]
	v_bfi_b32 v0, 0xffff, 0, v16
	scratch_store_b32 off, v0, s32 offset:708 ; 4-byte Folded Spill
	ds_load_b128 v[0:3], v6 offset:192
	ds_load_b128 v[14:17], v6 offset:208
	s_waitcnt lgkmcnt(1)
	v_bfi_b32 v21, 0xffff, 0, v0
	v_lshlrev_b32_e32 v142, 16, v0
	v_bfi_b32 v143, 0xffff, 0, v1
	v_lshlrev_b32_e32 v152, 16, v1
	;; [unrolled: 2-line block ×4, first 2 shown]
	s_waitcnt lgkmcnt(0)
	v_bfi_b32 v157, 0xffff, 0, v14
	v_lshlrev_b32_e32 v158, 16, v14
	v_bfi_b32 v159, 0xffff, 0, v15
	v_lshlrev_b32_e32 v168, 16, v15
	;; [unrolled: 2-line block ×4, first 2 shown]
	ds_load_b128 v[0:3], v6 offset:224
	ds_load_b128 v[14:17], v6 offset:240
	s_waitcnt lgkmcnt(1)
	v_bfi_b32 v173, 0xffff, 0, v0
	s_waitcnt lgkmcnt(0)
	v_bfi_b32 v189, 0xffff, 0, v14
	v_lshlrev_b32_e32 v190, 16, v14
	v_bfi_b32 v191, 0xffff, 0, v15
	v_lshlrev_b32_e32 v5, 16, v15
	;; [unrolled: 2-line block ×4, first 2 shown]
	ds_load_b128 v[14:17], v6 offset:256
	ds_load_b128 v[27:30], v6 offset:272
	v_lshlrev_b32_e32 v174, 16, v0
	v_bfi_b32 v175, 0xffff, 0, v1
	v_lshlrev_b32_e32 v184, 16, v1
	v_bfi_b32 v185, 0xffff, 0, v2
	;; [unrolled: 2-line block ×3, first 2 shown]
	v_lshlrev_b32_e32 v188, 16, v3
	s_waitcnt lgkmcnt(1)
	v_bfi_b32 v80, 0xffff, 0, v14
	v_lshlrev_b32_e32 v81, 16, v14
	v_bfi_b32 v10, 0xffff, 0, v15
	v_lshlrev_b32_e32 v11, 16, v15
	v_bfi_b32 v0, 0xffff, 0, v16
	v_lshlrev_b32_e32 v3, 16, v16
	v_bfi_b32 v1, 0xffff, 0, v17
	v_lshlrev_b32_e32 v2, 16, v17
	s_waitcnt lgkmcnt(0)
	v_bfi_b32 v14, 0xffff, 0, v27
	v_lshlrev_b32_e32 v15, 16, v27
	v_bfi_b32 v101, 0xffff, 0, v28
	v_lshlrev_b32_e32 v98, 16, v28
	v_bfi_b32 v99, 0xffff, 0, v29
	v_lshlrev_b32_e32 v100, 16, v29
	v_bfi_b32 v39, 0xffff, 0, v30
	v_lshlrev_b32_e32 v138, 16, v30
	ds_load_b128 v[16:19], v6 offset:288
	ds_load_b128 v[27:30], v6 offset:304
	s_waitcnt lgkmcnt(1)
	v_bfi_b32 v22, 0xffff, 0, v16
	v_lshlrev_b32_e32 v103, 16, v16
	v_bfi_b32 v112, 0xffff, 0, v17
	v_lshlrev_b32_e32 v113, 16, v17
	v_bfi_b32 v114, 0xffff, 0, v18
	v_lshlrev_b32_e32 v115, 16, v18
	v_bfi_b32 v116, 0xffff, 0, v19
	v_lshlrev_b32_e32 v117, 16, v19
	s_waitcnt lgkmcnt(0)
	v_bfi_b32 v118, 0xffff, 0, v27
	v_lshlrev_b32_e32 v119, 16, v27
	v_bfi_b32 v128, 0xffff, 0, v28
	v_lshlrev_b32_e32 v129, 16, v28
	v_bfi_b32 v130, 0xffff, 0, v29
	v_lshlrev_b32_e32 v131, 16, v29
	v_bfi_b32 v132, 0xffff, 0, v30
	v_lshlrev_b32_e32 v133, 16, v30
	ds_load_b128 v[16:19], v6 offset:320
	ds_load_b128 v[27:30], v6 offset:336
	;; [unrolled: 20-line block ×3, first 2 shown]
	v_lshlrev_b64 v[6:7], 1, v[35:36]
	s_clause 0x3
	scratch_store_b64 off, v[35:36], s32 offset:768
	scratch_store_b64 off, v[37:38], s32 offset:776
	scratch_store_b32 off, v26, s32 offset:732
	scratch_store_b32 off, v31, s32 offset:784
	v_mov_b32_e32 v26, v25
	s_load_b32 s18, s[8:9], 0x0
	v_add_co_u32 v8, vcc_lo, v8, v6
	v_add_co_ci_u32_e32 v9, vcc_lo, v9, v7, vcc_lo
	v_lshlrev_b64 v[6:7], 2, v[23:24]
	s_clause 0x2
	scratch_store_b32 off, v33, s32 offset:744
	scratch_store_b32 off, v48, s32 offset:788
	;; [unrolled: 1-line block ×3, first 2 shown]
	v_add_co_u32 v6, vcc_lo, v37, v6
	v_add_co_ci_u32_e32 v7, vcc_lo, v38, v7, vcc_lo
	s_waitcnt lgkmcnt(0)
	v_bfi_b32 v166, 0xffff, 0, v16
	s_delay_alu instid0(VALU_DEP_3) | instskip(NEXT) | instid1(VALU_DEP_3)
	v_add_co_u32 v24, vcc_lo, v33, v6
	v_add_co_ci_u32_e32 v25, vcc_lo, v32, v7, vcc_lo
	scratch_load_b32 v7, off, s32 offset:524 ; 4-byte Folded Reload
	v_lshlrev_b32_e32 v167, 16, v16
	v_cvt_f32_u32_e32 v16, v47
	v_bfi_b32 v176, 0xffff, 0, v17
	v_lshlrev_b32_e32 v177, 16, v17
	v_sub_nc_u32_e32 v17, 0, v47
	v_bfi_b32 v178, 0xffff, 0, v18
	v_rcp_iflag_f32_e32 v16, v16
	v_lshlrev_b32_e32 v179, 16, v18
	v_bfi_b32 v180, 0xffff, 0, v19
	v_lshlrev_b32_e32 v181, 16, v19
	v_bfi_b32 v182, 0xffff, 0, v27
	;; [unrolled: 2-line block ×4, first 2 shown]
	s_delay_alu instid0(TRANS32_DEP_1) | instskip(SKIP_2) | instid1(VALU_DEP_3)
	v_dual_mul_f32 v16, 0x4f7ffffe, v16 :: v_dual_lshlrev_b32 v43, 16, v29
	v_bfi_b32 v44, 0xffff, 0, v30
	v_lshlrev_b32_e32 v45, 16, v30
	v_cvt_u32_f32_e32 v16, v16
	s_delay_alu instid0(VALU_DEP_1) | instskip(NEXT) | instid1(VALU_DEP_1)
	v_mul_lo_u32 v17, v17, v16
	v_mul_hi_u32 v17, v16, v17
	s_delay_alu instid0(VALU_DEP_1) | instskip(SKIP_2) | instid1(VALU_DEP_1)
	v_add_nc_u32_e32 v56, v16, v17
	s_waitcnt vmcnt(0)
	v_lshlrev_b32_e32 v6, 4, v7
	v_add_co_u32 v57, vcc_lo, v8, v6
	v_sub_nc_u32_e32 v6, v7, v96
	v_add_co_ci_u32_e32 v58, vcc_lo, 0, v9, vcc_lo
	v_cmp_neq_f32_e32 vcc_lo, 0, v102
	s_delay_alu instid0(VALU_DEP_3)
	v_add_nc_u32_e32 v59, 1, v6
	scratch_load_b32 v6, off, s32 offset:716 ; 4-byte Folded Reload
	s_waitcnt vmcnt(0)
	v_lshl_add_u32 v60, v6, 5, s17
	v_lshl_or_b32 v61, v6, 7, v48
	s_branch .LBB189_12
.LBB189_11:                             ;   in Loop: Header=BB189_12 Depth=1
	s_or_b32 exec_lo, exec_lo, s19
	scratch_load_b32 v6, off, s32 offset:324 ; 4-byte Folded Reload
	v_add_nc_u32_e32 v63, 4, v63
	v_add_co_u32 v24, s1, v24, 16
	s_delay_alu instid0(VALU_DEP_1) | instskip(SKIP_4) | instid1(VALU_DEP_1)
	v_add_co_ci_u32_e64 v25, s1, 0, v25, s1
	v_add_nc_u32_e32 v60, 0x80, v60
	v_add_nc_u32_e32 v61, 0x200, v61
	s_waitcnt vmcnt(0)
	v_cmp_ge_i32_e64 s1, v63, v6
	s_or_b32 s11, s1, s11
	s_delay_alu instid0(SALU_CYCLE_1)
	s_and_not1_b32 exec_lo, exec_lo, s11
	s_cbranch_execz .LBB189_16
.LBB189_12:                             ; =>This Inner Loop Header: Depth=1
	s_clause 0x1
	scratch_load_b32 v7, off, s32 offset:328
	scratch_load_b32 v16, off, s32 offset:320
	v_sub_nc_u32_e32 v6, 0, v60
	s_delay_alu instid0(VALU_DEP_1) | instskip(SKIP_1) | instid1(VALU_DEP_1)
	v_max_i32_e32 v6, v60, v6
	s_waitcnt vmcnt(1)
	v_mul_hi_u32 v7, v6, v7
	s_delay_alu instid0(VALU_DEP_1) | instskip(NEXT) | instid1(VALU_DEP_1)
	v_mul_lo_u32 v8, v7, v97
	v_sub_nc_u32_e32 v6, v6, v8
	v_add_nc_u32_e32 v8, 1, v7
	s_delay_alu instid0(VALU_DEP_2) | instskip(SKIP_1) | instid1(VALU_DEP_1)
	v_sub_nc_u32_e32 v9, v6, v97
	v_cmp_ge_u32_e64 s1, v6, v97
	v_cndmask_b32_e64 v7, v7, v8, s1
	s_delay_alu instid0(VALU_DEP_3) | instskip(SKIP_1) | instid1(VALU_DEP_3)
	v_cndmask_b32_e64 v6, v6, v9, s1
	v_ashrrev_i32_e32 v8, 31, v60
	v_add_nc_u32_e32 v9, 1, v7
	s_delay_alu instid0(VALU_DEP_3) | instskip(SKIP_1) | instid1(VALU_DEP_3)
	v_cmp_ge_u32_e64 s1, v6, v97
	s_waitcnt vmcnt(0)
	v_xor_b32_e32 v8, v8, v16
	s_delay_alu instid0(VALU_DEP_2) | instskip(NEXT) | instid1(VALU_DEP_1)
	v_cndmask_b32_e64 v6, v7, v9, s1
	v_xor_b32_e32 v6, v6, v8
	s_delay_alu instid0(VALU_DEP_1) | instskip(NEXT) | instid1(VALU_DEP_1)
	v_sub_nc_u32_e32 v6, v6, v8
	v_add_nc_u32_e32 v7, v6, v20
	s_delay_alu instid0(VALU_DEP_1) | instskip(NEXT) | instid1(VALU_DEP_1)
	v_sub_nc_u32_e32 v8, 0, v7
	v_max_i32_e32 v8, v7, v8
	v_ashrrev_i32_e32 v7, 31, v7
	s_delay_alu instid0(VALU_DEP_2) | instskip(NEXT) | instid1(VALU_DEP_1)
	v_mul_hi_u32 v9, v8, v56
	v_mul_lo_u32 v9, v9, v47
	s_delay_alu instid0(VALU_DEP_1) | instskip(NEXT) | instid1(VALU_DEP_1)
	v_sub_nc_u32_e32 v8, v8, v9
	v_sub_nc_u32_e32 v9, v8, v47
	v_cmp_ge_u32_e64 s1, v8, v47
	s_delay_alu instid0(VALU_DEP_1) | instskip(NEXT) | instid1(VALU_DEP_1)
	v_cndmask_b32_e64 v8, v8, v9, s1
	v_sub_nc_u32_e32 v9, v8, v47
	v_cmp_ge_u32_e64 s1, v8, v47
	s_delay_alu instid0(VALU_DEP_1) | instskip(NEXT) | instid1(VALU_DEP_1)
	v_cndmask_b32_e64 v8, v8, v9, s1
	v_xor_b32_e32 v8, v8, v7
	s_delay_alu instid0(VALU_DEP_1) | instskip(NEXT) | instid1(VALU_DEP_1)
	v_sub_nc_u32_e32 v7, v8, v7
	v_cmp_ne_u32_e64 s1, 0, v7
	scratch_load_b32 v7, off, s32 offset:332 ; 4-byte Folded Reload
	s_waitcnt vmcnt(0)
	v_cmp_le_i32_e64 s2, v6, v7
	s_delay_alu instid0(VALU_DEP_1) | instskip(NEXT) | instid1(SALU_CYCLE_1)
	s_and_b32 s1, s1, s2
	s_and_saveexec_b32 s2, s1
	s_delay_alu instid0(SALU_CYCLE_1)
	s_xor_b32 s1, exec_lo, s2
	s_cbranch_execz .LBB189_14
; %bb.13:                               ;   in Loop: Header=BB189_12 Depth=1
	v_add_nc_u32_e32 v6, s18, v61
	ds_store_b32 v6, v62
.LBB189_14:                             ;   in Loop: Header=BB189_12 Depth=1
	s_and_not1_saveexec_b32 s19, s1
	s_cbranch_execz .LBB189_11
; %bb.15:                               ;   in Loop: Header=BB189_12 Depth=1
	flat_load_b32 v8, v[24:25]
	s_clause 0x2
	scratch_load_b32 v6, off, s32 offset:524
	scratch_load_b32 v9, off, s32 offset:384
	;; [unrolled: 1-line block ×3, first 2 shown]
	s_load_b32 s2, s[8:9], 0x0
	s_waitcnt lgkmcnt(0)
	v_add_nc_u32_e32 v73, s2, v61
	s_waitcnt vmcnt(2)
	v_add_nc_u32_e32 v16, v6, v60
	s_waitcnt vmcnt(1)
	v_mad_i64_i32 v[6:7], null, v8, v9, 0
	s_delay_alu instid0(VALU_DEP_1) | instskip(NEXT) | instid1(VALU_DEP_1)
	v_lshlrev_b64 v[6:7], 1, v[6:7]
	v_add_co_u32 v31, s1, v57, v6
	s_delay_alu instid0(VALU_DEP_1) | instskip(SKIP_1) | instid1(VALU_DEP_3)
	v_add_co_ci_u32_e64 v32, s1, v58, v7, s1
	v_add_nc_u32_e32 v6, v59, v60
	v_add_co_u32 v84, s1, 0x2000, v31
	s_delay_alu instid0(VALU_DEP_1)
	v_add_co_ci_u32_e64 v85, s1, 0, v32, s1
	flat_load_b128 v[27:30], v[31:32] offset:2560
	v_cmp_lt_i32_e64 s1, v16, v96
	flat_load_b128 v[16:19], v[31:32]
	v_cvt_f32_i32_e32 v6, v6
	v_add_co_u32 v86, s2, 0x1000, v31
	s_delay_alu instid0(VALU_DEP_1) | instskip(NEXT) | instid1(VALU_DEP_3)
	v_add_co_ci_u32_e64 v87, s2, 0, v32, s2
	v_mul_f32_e32 v6, v102, v6
	s_delay_alu instid0(VALU_DEP_1)
	v_cndmask_b32_e32 v72, 0, v6, vcc_lo
	flat_load_b128 v[6:9], v[84:85]
	s_waitcnt vmcnt(1) lgkmcnt(1)
	v_lshlrev_b32_e32 v106, 16, v16
	v_and_b32_e32 v107, 0xffff0000, v16
	v_lshlrev_b32_e32 v108, 16, v17
	v_and_b32_e32 v109, 0xffff0000, v17
	;; [unrolled: 2-line block ×4, first 2 shown]
	flat_load_b128 v[16:19], v[31:32] offset:512
	s_waitcnt vmcnt(0) lgkmcnt(0)
	v_and_b32_e32 v33, 0xffff0000, v16
	v_lshlrev_b32_e32 v16, 16, v16
	s_delay_alu instid0(VALU_DEP_1)
	v_mul_f32_e32 v88, v34, v16
	scratch_load_b32 v16, off, s32 offset:364 ; 4-byte Folded Reload
	s_waitcnt vmcnt(0)
	v_mul_f32_e32 v89, v16, v33
	scratch_load_b32 v33, off, s32 offset:376 ; 4-byte Folded Reload
	v_and_b32_e32 v16, 0xffff0000, v17
	v_lshlrev_b32_e32 v17, 16, v17
	v_fmac_f32_e32 v89, v26, v107
	s_waitcnt vmcnt(0)
	s_delay_alu instid0(VALU_DEP_2)
	v_mul_f32_e32 v79, v33, v17
	scratch_load_b32 v17, off, s32 offset:372 ; 4-byte Folded Reload
	s_waitcnt vmcnt(0)
	v_mul_f32_e32 v78, v17, v16
	v_and_b32_e32 v16, 0xffff0000, v18
	v_lshlrev_b32_e32 v17, 16, v18
	scratch_load_b32 v18, off, s32 offset:388 ; 4-byte Folded Reload
	s_waitcnt vmcnt(0)
	v_mul_f32_e32 v77, v18, v17
	s_clause 0x1
	scratch_load_b32 v17, off, s32 offset:380
	scratch_load_b32 v18, off, s32 offset:396
	s_waitcnt vmcnt(1)
	v_dual_mul_f32 v74, v17, v16 :: v_dual_lshlrev_b32 v17, 16, v19
	v_and_b32_e32 v16, 0xffff0000, v19
	s_waitcnt vmcnt(0)
	s_delay_alu instid0(VALU_DEP_2)
	v_mul_f32_e32 v76, v18, v17
	scratch_load_b32 v17, off, s32 offset:392 ; 4-byte Folded Reload
	s_waitcnt vmcnt(0)
	v_mul_f32_e32 v75, v17, v16
	flat_load_b128 v[16:19], v[31:32] offset:1024
	s_waitcnt vmcnt(0) lgkmcnt(0)
	v_and_b32_e32 v110, 0xffff0000, v16
	v_lshlrev_b32_e32 v111, 16, v16
	v_and_b32_e32 v120, 0xffff0000, v17
	v_lshlrev_b32_e32 v121, 16, v17
	;; [unrolled: 2-line block ×4, first 2 shown]
	s_clause 0x3
	flat_load_b128 v[16:19], v[31:32] offset:1536
	flat_load_b128 v[68:71], v[31:32] offset:2048
	;; [unrolled: 1-line block ×4, first 2 shown]
	s_waitcnt vmcnt(3) lgkmcnt(3)
	v_lshlrev_b32_e32 v124, 16, v16
	v_and_b32_e32 v125, 0xffff0000, v16
	v_lshlrev_b32_e32 v126, 16, v17
	v_and_b32_e32 v127, 0xffff0000, v17
	v_lshlrev_b32_e32 v136, 16, v18
	v_and_b32_e32 v137, 0xffff0000, v18
	v_lshlrev_b32_e32 v94, 16, v19
	v_and_b32_e32 v95, 0xffff0000, v19
	s_clause 0x3
	flat_load_b128 v[48:51], v[86:87]
	flat_load_b128 v[35:38], v[86:87] offset:512
	flat_load_b128 v[31:34], v[86:87] offset:1024
	;; [unrolled: 1-line block ×3, first 2 shown]
	scratch_load_b32 v107, off, s32 offset:336 ; 4-byte Folded Reload
	s_waitcnt vmcnt(0)
	v_fmac_f32_e32 v88, v107, v106
	s_clause 0x1
	scratch_load_b32 v106, off, s32 offset:404
	scratch_load_b32 v107, off, s32 offset:468
	s_waitcnt vmcnt(1)
	v_fmac_f32_e32 v88, v106, v111
	scratch_load_b32 v106, off, s32 offset:400 ; 4-byte Folded Reload
	s_waitcnt vmcnt(0)
	v_fmac_f32_e32 v89, v106, v110
	scratch_load_b32 v106, off, s32 offset:432 ; 4-byte Folded Reload
	;; [unrolled: 3-line block ×3, first 2 shown]
	s_waitcnt vmcnt(0)
	v_fmac_f32_e32 v88, v106, v124
	s_waitcnt lgkmcnt(6)
	v_and_b32_e32 v106, 0xffff0000, v68
	v_lshlrev_b32_e32 v68, 16, v68
	s_delay_alu instid0(VALU_DEP_1)
	v_fmac_f32_e32 v88, v107, v68
	scratch_load_b32 v68, off, s32 offset:464 ; 4-byte Folded Reload
	s_waitcnt vmcnt(0)
	v_fmac_f32_e32 v89, v68, v106
	scratch_load_b32 v106, off, s32 offset:496 ; 4-byte Folded Reload
	v_lshlrev_b32_e32 v68, 16, v27
	v_and_b32_e32 v27, 0xffff0000, v27
	s_waitcnt vmcnt(0)
	s_delay_alu instid0(VALU_DEP_1)
	v_fmac_f32_e32 v89, v106, v27
	scratch_load_b32 v27, off, s32 offset:500 ; 4-byte Folded Reload
	s_waitcnt vmcnt(0)
	v_fmac_f32_e32 v88, v27, v68
	scratch_load_b32 v68, off, s32 offset:536 ; 4-byte Folded Reload
	s_waitcnt lgkmcnt(5)
	v_and_b32_e32 v27, 0xffff0000, v64
	v_lshlrev_b32_e32 v64, 16, v64
	s_waitcnt vmcnt(0)
	s_delay_alu instid0(VALU_DEP_1)
	v_fmac_f32_e32 v88, v68, v64
	scratch_load_b32 v64, off, s32 offset:532 ; 4-byte Folded Reload
	s_waitcnt vmcnt(0)
	v_fmac_f32_e32 v89, v64, v27
	scratch_load_b32 v64, off, s32 offset:564 ; 4-byte Folded Reload
	s_waitcnt lgkmcnt(4)
	v_lshlrev_b32_e32 v27, 16, v52
	v_and_b32_e32 v52, 0xffff0000, v52
	s_waitcnt vmcnt(0)
	s_delay_alu instid0(VALU_DEP_1)
	v_fmac_f32_e32 v89, v64, v52
	scratch_load_b32 v52, off, s32 offset:568 ; 4-byte Folded Reload
	s_waitcnt vmcnt(0)
	v_fmac_f32_e32 v88, v52, v27
	scratch_load_b32 v52, off, s32 offset:600 ; 4-byte Folded Reload
	s_waitcnt lgkmcnt(3)
	v_and_b32_e32 v27, 0xffff0000, v48
	v_lshlrev_b32_e32 v48, 16, v48
	s_waitcnt vmcnt(0)
	s_delay_alu instid0(VALU_DEP_1)
	v_fmac_f32_e32 v88, v52, v48
	scratch_load_b32 v48, off, s32 offset:596 ; 4-byte Folded Reload
	s_waitcnt vmcnt(0)
	v_fmac_f32_e32 v89, v48, v27
	scratch_load_b32 v48, off, s32 offset:628 ; 4-byte Folded Reload
	s_waitcnt lgkmcnt(2)
	;; [unrolled: 20-line block ×3, first 2 shown]
	v_lshlrev_b32_e32 v27, 16, v16
	v_and_b32_e32 v16, 0xffff0000, v16
	s_waitcnt vmcnt(0)
	s_delay_alu instid0(VALU_DEP_1)
	v_fmac_f32_e32 v89, v31, v16
	s_clause 0x1
	scratch_load_b32 v16, off, s32 offset:696
	scratch_load_b32 v31, off, s32 offset:476
	s_waitcnt vmcnt(1)
	v_dual_fmac_f32 v88, v16, v27 :: v_dual_lshlrev_b32 v27, 16, v69
	scratch_load_b32 v16, off, s32 offset:340 ; 4-byte Folded Reload
	s_waitcnt vmcnt(0)
	v_fmac_f32_e32 v78, v16, v109
	scratch_load_b32 v16, off, s32 offset:344 ; 4-byte Folded Reload
	s_waitcnt vmcnt(0)
	v_fmac_f32_e32 v79, v16, v108
	;; [unrolled: 3-line block ×5, first 2 shown]
	scratch_load_b32 v16, off, s32 offset:444 ; 4-byte Folded Reload
	s_waitcnt vmcnt(0)
	v_dual_fmac_f32 v79, v16, v126 :: v_dual_and_b32 v16, 0xffff0000, v69
	s_delay_alu instid0(VALU_DEP_1)
	v_fmac_f32_e32 v79, v31, v27
	scratch_load_b32 v27, off, s32 offset:472 ; 4-byte Folded Reload
	s_waitcnt vmcnt(0)
	v_fmac_f32_e32 v78, v27, v16
	v_lshlrev_b32_e32 v16, 16, v28
	v_and_b32_e32 v27, 0xffff0000, v28
	scratch_load_b32 v28, off, s32 offset:504 ; 4-byte Folded Reload
	s_waitcnt vmcnt(0)
	v_fmac_f32_e32 v78, v28, v27
	s_clause 0x1
	scratch_load_b32 v27, off, s32 offset:508
	scratch_load_b32 v28, off, s32 offset:544
	s_waitcnt vmcnt(1)
	v_fmac_f32_e32 v79, v27, v16
	v_lshlrev_b32_e32 v27, 16, v65
	s_waitcnt vmcnt(0)
	s_delay_alu instid0(VALU_DEP_1)
	v_dual_fmac_f32 v79, v28, v27 :: v_dual_and_b32 v16, 0xffff0000, v65
	s_clause 0x1
	scratch_load_b32 v27, off, s32 offset:540
	scratch_load_b32 v28, off, s32 offset:572
	s_waitcnt vmcnt(1)
	v_dual_fmac_f32 v78, v27, v16 :: v_dual_and_b32 v27, 0xffff0000, v53
	v_lshlrev_b32_e32 v16, 16, v53
	s_waitcnt vmcnt(0)
	s_delay_alu instid0(VALU_DEP_2)
	v_fmac_f32_e32 v78, v28, v27
	s_clause 0x1
	scratch_load_b32 v27, off, s32 offset:576
	scratch_load_b32 v28, off, s32 offset:608
	s_waitcnt vmcnt(1)
	v_fmac_f32_e32 v79, v27, v16
	v_lshlrev_b32_e32 v27, 16, v49
	s_waitcnt vmcnt(0)
	s_delay_alu instid0(VALU_DEP_1)
	v_dual_fmac_f32 v79, v28, v27 :: v_dual_and_b32 v16, 0xffff0000, v49
	s_clause 0x1
	scratch_load_b32 v27, off, s32 offset:604
	scratch_load_b32 v28, off, s32 offset:636
	s_waitcnt vmcnt(1)
	v_fmac_f32_e32 v78, v27, v16
	v_and_b32_e32 v27, 0xffff0000, v36
	v_lshlrev_b32_e32 v16, 16, v36
	s_waitcnt vmcnt(0)
	s_delay_alu instid0(VALU_DEP_2)
	v_fmac_f32_e32 v78, v28, v27
	s_clause 0x1
	scratch_load_b32 v27, off, s32 offset:640
	scratch_load_b32 v28, off, s32 offset:672
	s_waitcnt vmcnt(1)
	v_fmac_f32_e32 v79, v27, v16
	v_lshlrev_b32_e32 v27, 16, v32
	s_waitcnt vmcnt(0)
	s_delay_alu instid0(VALU_DEP_1)
	v_dual_fmac_f32 v79, v28, v27 :: v_dual_and_b32 v16, 0xffff0000, v32
	scratch_load_b32 v27, off, s32 offset:668 ; 4-byte Folded Reload
	s_waitcnt vmcnt(0)
	v_fmac_f32_e32 v78, v27, v16
	scratch_load_b32 v27, off, s32 offset:700 ; 4-byte Folded Reload
	v_lshlrev_b32_e32 v16, 16, v17
	v_and_b32_e32 v17, 0xffff0000, v17
	s_waitcnt vmcnt(0)
	s_delay_alu instid0(VALU_DEP_1)
	v_fmac_f32_e32 v78, v27, v17
	s_clause 0x1
	scratch_load_b32 v17, off, s32 offset:704
	scratch_load_b32 v27, off, s32 offset:484
	s_waitcnt vmcnt(1)
	v_fmac_f32_e32 v79, v17, v16
	scratch_load_b32 v16, off, s32 offset:348 ; 4-byte Folded Reload
	s_waitcnt vmcnt(0)
	v_dual_fmac_f32 v74, v16, v105 :: v_dual_lshlrev_b32 v17, 16, v70
	scratch_load_b32 v16, off, s32 offset:352 ; 4-byte Folded Reload
	s_waitcnt vmcnt(0)
	v_fmac_f32_e32 v77, v16, v104
	scratch_load_b32 v16, off, s32 offset:420 ; 4-byte Folded Reload
	s_waitcnt vmcnt(0)
	v_fmac_f32_e32 v77, v16, v123
	;; [unrolled: 3-line block ×4, first 2 shown]
	scratch_load_b32 v16, off, s32 offset:452 ; 4-byte Folded Reload
	s_waitcnt vmcnt(0)
	v_dual_fmac_f32 v77, v16, v136 :: v_dual_and_b32 v16, 0xffff0000, v70
	s_delay_alu instid0(VALU_DEP_1)
	v_fmac_f32_e32 v77, v27, v17
	s_clause 0x1
	scratch_load_b32 v17, off, s32 offset:480
	scratch_load_b32 v27, off, s32 offset:512
	s_waitcnt vmcnt(1)
	v_dual_fmac_f32 v74, v17, v16 :: v_dual_and_b32 v17, 0xffff0000, v29
	v_lshlrev_b32_e32 v16, 16, v29
	s_waitcnt vmcnt(0)
	s_delay_alu instid0(VALU_DEP_2)
	v_fmac_f32_e32 v74, v27, v17
	s_clause 0x1
	scratch_load_b32 v17, off, s32 offset:516
	scratch_load_b32 v27, off, s32 offset:552
	s_waitcnt vmcnt(1)
	v_fmac_f32_e32 v77, v17, v16
	v_lshlrev_b32_e32 v17, 16, v66
	s_waitcnt vmcnt(0)
	s_delay_alu instid0(VALU_DEP_1)
	v_dual_fmac_f32 v77, v27, v17 :: v_dual_and_b32 v16, 0xffff0000, v66
	s_clause 0x1
	scratch_load_b32 v17, off, s32 offset:548
	scratch_load_b32 v27, off, s32 offset:580
	s_waitcnt vmcnt(1)
	v_dual_fmac_f32 v74, v17, v16 :: v_dual_and_b32 v17, 0xffff0000, v54
	v_lshlrev_b32_e32 v16, 16, v54
	s_waitcnt vmcnt(0)
	s_delay_alu instid0(VALU_DEP_2)
	v_fmac_f32_e32 v74, v27, v17
	s_clause 0x1
	scratch_load_b32 v17, off, s32 offset:584
	scratch_load_b32 v27, off, s32 offset:616
	s_waitcnt vmcnt(1)
	v_fmac_f32_e32 v77, v17, v16
	v_lshlrev_b32_e32 v17, 16, v50
	s_waitcnt vmcnt(0)
	s_delay_alu instid0(VALU_DEP_1)
	v_dual_fmac_f32 v77, v27, v17 :: v_dual_and_b32 v16, 0xffff0000, v50
	s_clause 0x1
	scratch_load_b32 v17, off, s32 offset:612
	scratch_load_b32 v27, off, s32 offset:644
	s_waitcnt vmcnt(1)
	v_dual_fmac_f32 v74, v17, v16 :: v_dual_and_b32 v17, 0xffff0000, v37
	v_lshlrev_b32_e32 v16, 16, v37
	s_waitcnt vmcnt(0)
	s_delay_alu instid0(VALU_DEP_2)
	v_fmac_f32_e32 v74, v27, v17
	s_clause 0x1
	scratch_load_b32 v17, off, s32 offset:648
	scratch_load_b32 v27, off, s32 offset:680
	s_waitcnt vmcnt(1)
	v_fmac_f32_e32 v77, v17, v16
	v_lshlrev_b32_e32 v17, 16, v33
	v_and_b32_e32 v16, 0xffff0000, v33
	s_waitcnt vmcnt(0)
	s_delay_alu instid0(VALU_DEP_2)
	v_fmac_f32_e32 v77, v27, v17
	scratch_load_b32 v17, off, s32 offset:676 ; 4-byte Folded Reload
	s_waitcnt vmcnt(0)
	v_dual_fmac_f32 v74, v17, v16 :: v_dual_and_b32 v17, 0xffff0000, v18
	v_lshlrev_b32_e32 v16, 16, v18
	scratch_load_b32 v18, off, s32 offset:708 ; 4-byte Folded Reload
	v_fmac_f32_e32 v77, v139, v16
	scratch_load_b32 v16, off, s32 offset:356 ; 4-byte Folded Reload
	s_waitcnt vmcnt(1)
	v_fmac_f32_e32 v74, v18, v17
	scratch_load_b32 v18, off, s32 offset:492 ; 4-byte Folded Reload
	v_lshlrev_b32_e32 v17, 16, v71
	s_waitcnt vmcnt(1)
	v_fmac_f32_e32 v75, v16, v91
	scratch_load_b32 v16, off, s32 offset:360 ; 4-byte Folded Reload
	s_waitcnt vmcnt(0)
	v_fmac_f32_e32 v76, v16, v90
	scratch_load_b32 v16, off, s32 offset:428 ; 4-byte Folded Reload
	;; [unrolled: 3-line block ×5, first 2 shown]
	s_waitcnt vmcnt(0)
	v_fmac_f32_e32 v76, v16, v94
	v_and_b32_e32 v16, 0xffff0000, v71
	s_delay_alu instid0(VALU_DEP_2)
	v_fmac_f32_e32 v76, v18, v17
	s_clause 0x1
	scratch_load_b32 v17, off, s32 offset:488
	scratch_load_b32 v18, off, s32 offset:520
	s_waitcnt vmcnt(1)
	v_fmac_f32_e32 v75, v17, v16
	v_and_b32_e32 v17, 0xffff0000, v30
	s_waitcnt vmcnt(0)
	s_delay_alu instid0(VALU_DEP_1)
	v_dual_fmac_f32 v75, v18, v17 :: v_dual_lshlrev_b32 v16, 16, v30
	s_clause 0x1
	scratch_load_b32 v17, off, s32 offset:528
	scratch_load_b32 v18, off, s32 offset:560
	s_waitcnt vmcnt(1)
	v_dual_fmac_f32 v76, v17, v16 :: v_dual_lshlrev_b32 v17, 16, v67
	v_and_b32_e32 v16, 0xffff0000, v67
	s_waitcnt vmcnt(0)
	s_delay_alu instid0(VALU_DEP_2)
	v_fmac_f32_e32 v76, v18, v17
	s_clause 0x1
	scratch_load_b32 v17, off, s32 offset:556
	scratch_load_b32 v18, off, s32 offset:588
	s_waitcnt vmcnt(1)
	v_fmac_f32_e32 v75, v17, v16
	v_and_b32_e32 v17, 0xffff0000, v55
	s_waitcnt vmcnt(0)
	s_delay_alu instid0(VALU_DEP_1)
	v_dual_fmac_f32 v75, v18, v17 :: v_dual_lshlrev_b32 v16, 16, v55
	s_clause 0x1
	scratch_load_b32 v17, off, s32 offset:592
	scratch_load_b32 v18, off, s32 offset:624
	s_waitcnt vmcnt(1)
	v_dual_fmac_f32 v76, v17, v16 :: v_dual_lshlrev_b32 v17, 16, v51
	v_and_b32_e32 v16, 0xffff0000, v51
	s_waitcnt vmcnt(0)
	;; [unrolled: 18-line block ×3, first 2 shown]
	s_delay_alu instid0(VALU_DEP_2) | instskip(SKIP_3) | instid1(VALU_DEP_1)
	v_fmac_f32_e32 v76, v18, v17
	scratch_load_b32 v17, off, s32 offset:684 ; 4-byte Folded Reload
	s_waitcnt vmcnt(0)
	v_dual_fmac_f32 v75, v17, v16 :: v_dual_lshlrev_b32 v16, 16, v19
	v_dual_fmac_f32 v76, v141, v16 :: v_dual_and_b32 v17, 0xffff0000, v19
	s_delay_alu instid0(VALU_DEP_1)
	v_fmac_f32_e32 v75, v140, v17
	flat_load_b128 v[16:19], v[86:87] offset:2048
	s_waitcnt vmcnt(0) lgkmcnt(0)
	v_and_b32_e32 v106, 0xffff0000, v17
	v_lshlrev_b32_e32 v107, 16, v17
	v_and_b32_e32 v104, 0xffff0000, v16
	v_lshlrev_b32_e32 v105, 16, v16
	v_lshlrev_b32_e32 v109, 16, v18
	v_and_b32_e32 v90, 0xffff0000, v19
	v_lshlrev_b32_e32 v91, 16, v19
	v_dual_fmac_f32 v79, v152, v107 :: v_dual_and_b32 v108, 0xffff0000, v18
	flat_load_b128 v[16:19], v[86:87] offset:2560
	v_fmac_f32_e32 v88, v142, v105
	s_waitcnt vmcnt(0) lgkmcnt(0)
	v_lshlrev_b32_e32 v110, 16, v16
	v_and_b32_e32 v111, 0xffff0000, v16
	v_lshlrev_b32_e32 v120, 16, v17
	v_and_b32_e32 v121, 0xffff0000, v17
	;; [unrolled: 2-line block ×4, first 2 shown]
	flat_load_b128 v[16:19], v[86:87] offset:3072
	v_dual_fmac_f32 v79, v168, v120 :: v_dual_fmac_f32 v88, v158, v110
	v_fmac_f32_e32 v74, v153, v108
	s_waitcnt vmcnt(0) lgkmcnt(0)
	v_and_b32_e32 v124, 0xffff0000, v16
	v_lshlrev_b32_e32 v125, 16, v16
	v_and_b32_e32 v126, 0xffff0000, v17
	v_lshlrev_b32_e32 v127, 16, v17
	v_and_b32_e32 v136, 0xffff0000, v18
	v_lshlrev_b32_e32 v137, 16, v18
	v_and_b32_e32 v94, 0xffff0000, v19
	v_lshlrev_b32_e32 v95, 16, v19
	s_clause 0x7
	flat_load_b128 v[68:71], v[86:87] offset:3584
	flat_load_b128 v[64:67], v[84:85] offset:512
	;; [unrolled: 1-line block ×8, first 2 shown]
	v_fmac_f32_e32 v79, v184, v127
	v_dual_fmac_f32 v89, v21, v104 :: v_dual_fmac_f32 v88, v174, v125
	s_delay_alu instid0(VALU_DEP_1) | instskip(NEXT) | instid1(VALU_DEP_1)
	v_fmac_f32_e32 v89, v157, v111
	v_fmac_f32_e32 v89, v173, v124
	s_waitcnt vmcnt(7) lgkmcnt(7)
	v_lshlrev_b32_e32 v84, 16, v68
	v_and_b32_e32 v68, 0xffff0000, v68
	s_delay_alu instid0(VALU_DEP_2) | instskip(NEXT) | instid1(VALU_DEP_2)
	v_fmac_f32_e32 v88, v190, v84
	v_dual_fmac_f32 v89, v189, v68 :: v_dual_and_b32 v68, 0xffff0000, v6
	s_delay_alu instid0(VALU_DEP_1) | instskip(NEXT) | instid1(VALU_DEP_1)
	v_dual_fmac_f32 v89, v80, v68 :: v_dual_lshlrev_b32 v6, 16, v6
	v_fmac_f32_e32 v88, v81, v6
	s_waitcnt vmcnt(6) lgkmcnt(6)
	v_lshlrev_b32_e32 v6, 16, v64
	v_and_b32_e32 v64, 0xffff0000, v64
	s_delay_alu instid0(VALU_DEP_1) | instskip(SKIP_2) | instid1(VALU_DEP_1)
	v_dual_fmac_f32 v88, v15, v6 :: v_dual_fmac_f32 v89, v14, v64
	s_waitcnt vmcnt(5) lgkmcnt(5)
	v_and_b32_e32 v6, 0xffff0000, v52
	v_dual_fmac_f32 v89, v22, v6 :: v_dual_lshlrev_b32 v52, 16, v52
	s_delay_alu instid0(VALU_DEP_1) | instskip(SKIP_3) | instid1(VALU_DEP_1)
	v_fmac_f32_e32 v88, v103, v52
	s_waitcnt vmcnt(4) lgkmcnt(4)
	v_lshlrev_b32_e32 v6, 16, v48
	v_and_b32_e32 v48, 0xffff0000, v48
	v_dual_fmac_f32 v88, v119, v6 :: v_dual_fmac_f32 v89, v118, v48
	s_waitcnt vmcnt(3) lgkmcnt(3)
	v_and_b32_e32 v6, 0xffff0000, v35
	v_lshlrev_b32_e32 v35, 16, v35
	s_delay_alu instid0(VALU_DEP_1) | instskip(SKIP_2) | instid1(VALU_DEP_1)
	v_dual_fmac_f32 v89, v134, v6 :: v_dual_fmac_f32 v88, v135, v35
	s_waitcnt vmcnt(2) lgkmcnt(2)
	v_lshlrev_b32_e32 v6, 16, v31
	v_dual_fmac_f32 v88, v151, v6 :: v_dual_and_b32 v31, 0xffff0000, v31
	s_delay_alu instid0(VALU_DEP_1) | instskip(SKIP_4) | instid1(VALU_DEP_2)
	v_fmac_f32_e32 v89, v150, v31
	s_waitcnt vmcnt(1) lgkmcnt(1)
	v_and_b32_e32 v6, 0xffff0000, v27
	v_lshlrev_b32_e32 v27, 16, v27
	s_waitcnt vmcnt(0) lgkmcnt(0)
	v_dual_fmac_f32 v89, v166, v6 :: v_dual_lshlrev_b32 v6, 16, v16
	v_and_b32_e32 v16, 0xffff0000, v16
	s_delay_alu instid0(VALU_DEP_1) | instskip(SKIP_1) | instid1(VALU_DEP_2)
	v_dual_fmac_f32 v88, v167, v27 :: v_dual_fmac_f32 v89, v182, v16
	v_fmac_f32_e32 v78, v143, v106
	v_fmac_f32_e32 v88, v183, v6
	v_lshlrev_b32_e32 v6, 16, v69
	v_and_b32_e32 v16, 0xffff0000, v69
	s_delay_alu instid0(VALU_DEP_4) | instskip(SKIP_1) | instid1(VALU_DEP_4)
	v_fmac_f32_e32 v78, v159, v121
	v_fmac_f32_e32 v77, v154, v109
	v_dual_fmac_f32 v79, v5, v6 :: v_dual_and_b32 v6, 0xffff0000, v7
	s_delay_alu instid0(VALU_DEP_3) | instskip(SKIP_1) | instid1(VALU_DEP_2)
	v_dual_fmac_f32 v78, v175, v126 :: v_dual_lshlrev_b32 v7, 16, v7
	v_dual_fmac_f32 v76, v156, v91 :: v_dual_fmac_f32 v75, v155, v90
	v_fmac_f32_e32 v79, v11, v7
	s_delay_alu instid0(VALU_DEP_3) | instskip(NEXT) | instid1(VALU_DEP_1)
	v_dual_fmac_f32 v78, v191, v16 :: v_dual_and_b32 v7, 0xffff0000, v65
	v_fmac_f32_e32 v78, v10, v6
	v_lshlrev_b32_e32 v6, 16, v65
	s_delay_alu instid0(VALU_DEP_1) | instskip(SKIP_2) | instid1(VALU_DEP_1)
	v_dual_fmac_f32 v78, v101, v7 :: v_dual_fmac_f32 v79, v98, v6
	v_and_b32_e32 v6, 0xffff0000, v53
	v_dual_fmac_f32 v74, v169, v123 :: v_dual_lshlrev_b32 v7, 16, v53
	v_dual_fmac_f32 v78, v112, v6 :: v_dual_fmac_f32 v79, v113, v7
	v_lshlrev_b32_e32 v6, 16, v49
	v_and_b32_e32 v7, 0xffff0000, v49
	v_fmac_f32_e32 v77, v170, v122
	v_fmac_f32_e32 v75, v171, v93
	s_delay_alu instid0(VALU_DEP_3) | instskip(SKIP_3) | instid1(VALU_DEP_2)
	v_dual_fmac_f32 v79, v129, v6 :: v_dual_fmac_f32 v78, v128, v7
	v_and_b32_e32 v6, 0xffff0000, v36
	v_lshlrev_b32_e32 v7, 16, v36
	v_fmac_f32_e32 v76, v172, v92
	v_dual_fmac_f32 v78, v144, v6 :: v_dual_fmac_f32 v79, v145, v7
	v_lshlrev_b32_e32 v6, 16, v32
	v_and_b32_e32 v7, 0xffff0000, v32
	s_delay_alu instid0(VALU_DEP_1) | instskip(SKIP_1) | instid1(VALU_DEP_1)
	v_dual_fmac_f32 v79, v161, v6 :: v_dual_fmac_f32 v78, v160, v7
	v_dual_fmac_f32 v77, v186, v137 :: v_dual_and_b32 v6, 0xffff0000, v28
	v_fmac_f32_e32 v78, v176, v6
	v_dual_fmac_f32 v76, v188, v95 :: v_dual_lshlrev_b32 v7, 16, v28
	s_delay_alu instid0(VALU_DEP_1) | instskip(SKIP_1) | instid1(VALU_DEP_1)
	v_dual_fmac_f32 v79, v177, v7 :: v_dual_lshlrev_b32 v6, 16, v17
	v_dual_fmac_f32 v74, v185, v136 :: v_dual_and_b32 v7, 0xffff0000, v17
	v_dual_fmac_f32 v79, v41, v6 :: v_dual_fmac_f32 v78, v40, v7
	v_and_b32_e32 v7, 0xffff0000, v70
	v_lshlrev_b32_e32 v6, 16, v70
	s_delay_alu instid0(VALU_DEP_2) | instskip(SKIP_1) | instid1(VALU_DEP_3)
	v_dual_fmac_f32 v75, v187, v94 :: v_dual_fmac_f32 v74, v4, v7
	v_lshlrev_b32_e32 v7, 16, v8
	v_dual_fmac_f32 v77, v12, v6 :: v_dual_and_b32 v6, 0xffff0000, v8
	s_delay_alu instid0(VALU_DEP_1) | instskip(SKIP_2) | instid1(VALU_DEP_1)
	v_dual_fmac_f32 v77, v3, v7 :: v_dual_fmac_f32 v74, v0, v6
	v_lshlrev_b32_e32 v6, 16, v66
	v_and_b32_e32 v7, 0xffff0000, v66
	v_dual_fmac_f32 v77, v100, v6 :: v_dual_fmac_f32 v74, v99, v7
	v_lshlrev_b32_e32 v7, 16, v54
	s_delay_alu instid0(VALU_DEP_1) | instskip(NEXT) | instid1(VALU_DEP_1)
	v_dual_fmac_f32 v77, v115, v7 :: v_dual_and_b32 v6, 0xffff0000, v54
	v_fmac_f32_e32 v74, v114, v6
	v_lshlrev_b32_e32 v6, 16, v50
	v_and_b32_e32 v7, 0xffff0000, v50
	s_delay_alu instid0(VALU_DEP_1) | instskip(SKIP_1) | instid1(VALU_DEP_1)
	v_dual_fmac_f32 v77, v131, v6 :: v_dual_fmac_f32 v74, v130, v7
	v_lshlrev_b32_e32 v7, 16, v37
	v_dual_fmac_f32 v77, v147, v7 :: v_dual_and_b32 v6, 0xffff0000, v37
	s_delay_alu instid0(VALU_DEP_1) | instskip(SKIP_2) | instid1(VALU_DEP_1)
	v_fmac_f32_e32 v74, v146, v6
	v_lshlrev_b32_e32 v6, 16, v33
	v_and_b32_e32 v7, 0xffff0000, v33
	v_dual_fmac_f32 v77, v163, v6 :: v_dual_fmac_f32 v74, v162, v7
	v_lshlrev_b32_e32 v7, 16, v29
	s_delay_alu instid0(VALU_DEP_1) | instskip(NEXT) | instid1(VALU_DEP_1)
	v_dual_fmac_f32 v77, v179, v7 :: v_dual_and_b32 v6, 0xffff0000, v29
	v_fmac_f32_e32 v74, v178, v6
	v_lshlrev_b32_e32 v6, 16, v18
	v_and_b32_e32 v7, 0xffff0000, v18
	s_delay_alu instid0(VALU_DEP_1) | instskip(SKIP_1) | instid1(VALU_DEP_1)
	v_dual_fmac_f32 v77, v43, v6 :: v_dual_fmac_f32 v74, v42, v7
	v_lshlrev_b32_e32 v6, 16, v71
	v_dual_fmac_f32 v76, v83, v6 :: v_dual_and_b32 v7, 0xffff0000, v71
	s_delay_alu instid0(VALU_DEP_1) | instskip(SKIP_2) | instid1(VALU_DEP_1)
	v_fmac_f32_e32 v75, v82, v7
	v_lshlrev_b32_e32 v7, 16, v9
	v_and_b32_e32 v6, 0xffff0000, v9
	v_dual_fmac_f32 v76, v2, v7 :: v_dual_fmac_f32 v75, v1, v6
	v_lshlrev_b32_e32 v6, 16, v67
	s_delay_alu instid0(VALU_DEP_1) | instskip(NEXT) | instid1(VALU_DEP_1)
	v_dual_fmac_f32 v76, v138, v6 :: v_dual_and_b32 v7, 0xffff0000, v67
	v_fmac_f32_e32 v75, v39, v7
	v_and_b32_e32 v6, 0xffff0000, v55
	v_lshlrev_b32_e32 v7, 16, v55
	s_delay_alu instid0(VALU_DEP_1) | instskip(SKIP_1) | instid1(VALU_DEP_1)
	v_dual_fmac_f32 v75, v116, v6 :: v_dual_fmac_f32 v76, v117, v7
	v_lshlrev_b32_e32 v6, 16, v51
	v_dual_fmac_f32 v76, v133, v6 :: v_dual_and_b32 v7, 0xffff0000, v51
	s_delay_alu instid0(VALU_DEP_1) | instskip(SKIP_1) | instid1(VALU_DEP_1)
	v_dual_fmac_f32 v75, v132, v7 :: v_dual_and_b32 v6, 0xffff0000, v38
	v_lshlrev_b32_e32 v7, 16, v38
	v_dual_fmac_f32 v75, v148, v6 :: v_dual_fmac_f32 v76, v149, v7
	v_lshlrev_b32_e32 v6, 16, v34
	v_and_b32_e32 v7, 0xffff0000, v34
	s_delay_alu instid0(VALU_DEP_1) | instskip(SKIP_2) | instid1(VALU_DEP_1)
	v_dual_fmac_f32 v76, v165, v6 :: v_dual_fmac_f32 v75, v164, v7
	v_and_b32_e32 v6, 0xffff0000, v30
	v_lshlrev_b32_e32 v7, 16, v30
	v_dual_fmac_f32 v75, v180, v6 :: v_dual_fmac_f32 v76, v181, v7
	v_lshlrev_b32_e32 v6, 16, v19
	s_delay_alu instid0(VALU_DEP_1) | instskip(SKIP_1) | instid1(VALU_DEP_1)
	v_fmac_f32_e32 v76, v45, v6
	v_add_f32_e32 v6, v88, v89
	v_add_f32_e32 v6, v6, v79
	s_delay_alu instid0(VALU_DEP_1) | instskip(NEXT) | instid1(VALU_DEP_1)
	v_dual_add_f32 v6, v78, v6 :: v_dual_and_b32 v7, 0xffff0000, v19
	v_dual_add_f32 v6, v77, v6 :: v_dual_fmac_f32 v75, v44, v7
	s_delay_alu instid0(VALU_DEP_1) | instskip(NEXT) | instid1(VALU_DEP_1)
	v_add_f32_e32 v6, v74, v6
	v_add_f32_e32 v6, v76, v6
	s_delay_alu instid0(VALU_DEP_1) | instskip(NEXT) | instid1(VALU_DEP_1)
	v_add_f32_e32 v6, v75, v6
	v_fmac_f32_e32 v72, v6, v13
	s_delay_alu instid0(VALU_DEP_1) | instskip(SKIP_2) | instid1(VALU_DEP_1)
	v_cndmask_b32_e64 v6, 0, v72, s1
	ds_store_b32 v73, v6
	v_max_f32_e32 v6, v46, v46
	v_max_f32_e32 v6, v6, v72
	s_delay_alu instid0(VALU_DEP_1)
	v_cndmask_b32_e64 v46, v46, v6, s1
	s_branch .LBB189_11
.LBB189_16:
	s_or_b32 exec_lo, exec_lo, s11
	s_clause 0xe
	scratch_load_b32 v14, off, s32 offset:712
	scratch_load_b32 v11, off, s32 offset:728
	;; [unrolled: 1-line block ×11, first 2 shown]
	scratch_load_b64 v[35:36], off, s32 offset:768
	scratch_load_b64 v[37:38], off, s32 offset:776
	scratch_load_b32 v31, off, s32 offset:784
	scratch_load_b32 v48, off, s32 offset:788
.LBB189_17:
	s_or_b32 exec_lo, exec_lo, s15
	v_mbcnt_lo_u32_b32 v0, -1, 0
	s_waitcnt lgkmcnt(0)
	s_lshr_b32 s8, s13, 16
	v_max_f32_e32 v4, v46, v46
	s_delay_alu instid0(VALU_DEP_2) | instskip(SKIP_2) | instid1(VALU_DEP_3)
	v_xor_b32_e32 v1, 16, v0
	v_xor_b32_e32 v3, 8, v0
	;; [unrolled: 1-line block ×3, first 2 shown]
	v_cmp_gt_i32_e32 vcc_lo, 32, v1
	v_cndmask_b32_e32 v1, v0, v1, vcc_lo
	s_delay_alu instid0(VALU_DEP_4) | instskip(NEXT) | instid1(VALU_DEP_2)
	v_cmp_gt_i32_e32 vcc_lo, 32, v3
	v_dual_cndmask_b32 v3, v0, v3 :: v_dual_lshlrev_b32 v2, 2, v1
	v_cmp_gt_i32_e32 vcc_lo, 32, v5
	ds_bpermute_b32 v1, v2, v46
	v_lshlrev_b32_e32 v3, 2, v3
	v_cndmask_b32_e32 v5, v0, v5, vcc_lo
	s_waitcnt lgkmcnt(0)
	v_max_f32_e32 v1, v1, v1
	s_delay_alu instid0(VALU_DEP_1) | instskip(SKIP_3) | instid1(VALU_DEP_1)
	v_max_f32_e32 v1, v4, v1
	ds_bpermute_b32 v4, v3, v1
	s_waitcnt lgkmcnt(0)
	v_max_f32_e32 v6, v4, v4
	v_max_f32_e32 v1, v1, v6
	v_xor_b32_e32 v6, 2, v0
	s_delay_alu instid0(VALU_DEP_1) | instskip(SKIP_1) | instid1(VALU_DEP_1)
	v_cmp_gt_i32_e32 vcc_lo, 32, v6
	v_cndmask_b32_e32 v6, v0, v6, vcc_lo
	v_lshlrev_b32_e32 v10, 2, v6
	v_xor_b32_e32 v6, 1, v0
	s_delay_alu instid0(VALU_DEP_1) | instskip(SKIP_1) | instid1(VALU_DEP_1)
	v_cmp_gt_i32_e32 vcc_lo, 32, v6
	v_cndmask_b32_e32 v6, v0, v6, vcc_lo
	v_lshlrev_b32_e32 v12, 2, v6
	v_lshlrev_b32_e32 v4, 2, v5
	ds_bpermute_b32 v5, v4, v1
	s_waitcnt lgkmcnt(0)
	v_max_f32_e32 v5, v5, v5
	s_delay_alu instid0(VALU_DEP_1) | instskip(SKIP_3) | instid1(VALU_DEP_1)
	v_max_f32_e32 v1, v1, v5
	ds_bpermute_b32 v5, v10, v1
	s_waitcnt lgkmcnt(0)
	v_max_f32_e32 v5, v5, v5
	v_max_f32_e32 v0, v1, v5
	scratch_load_b32 v5, off, s32 offset:524 ; 4-byte Folded Reload
	ds_bpermute_b32 v1, v12, v0
	s_waitcnt vmcnt(0)
	v_cmp_eq_u32_e32 vcc_lo, 0, v5
	scratch_load_b32 v5, off, s32 offset:716 ; 4-byte Folded Reload
	s_waitcnt vmcnt(0)
	v_lshlrev_b32_e32 v5, 2, v5
	s_and_saveexec_b32 s1, vcc_lo
	s_cbranch_execz .LBB189_19
; %bb.18:
	s_waitcnt lgkmcnt(0)
	v_dual_max_f32 v1, v1, v1 :: v_dual_max_f32 v0, v0, v0
	s_delay_alu instid0(VALU_DEP_1)
	v_max_f32_e32 v0, v0, v1
	ds_store_b32 v5, v0 offset:384
.LBB189_19:
	s_or_b32 exec_lo, exec_lo, s1
	scratch_load_b32 v0, off, s32 offset:524 ; 4-byte Folded Reload
	s_waitcnt vmcnt(0) lgkmcnt(0)
	s_waitcnt_vscnt null, 0x0
	s_barrier
	buffer_gl0_inv
	v_cmp_gt_u32_e64 s1, 4, v0
	v_mov_b32_e32 v0, 0xff7fffff
	s_delay_alu instid0(VALU_DEP_2)
	s_and_saveexec_b32 s2, s1
	s_cbranch_execz .LBB189_21
; %bb.20:
	ds_load_b32 v0, v48 offset:384
.LBB189_21:
	s_or_b32 exec_lo, exec_lo, s2
	scratch_load_b32 v6, off, s32 offset:324 ; 4-byte Folded Reload
	s_waitcnt lgkmcnt(0)
	ds_bpermute_b32 v1, v10, v0
	s_waitcnt lgkmcnt(0)
	v_dual_max_f32 v0, v0, v0 :: v_dual_max_f32 v1, v1, v1
	s_delay_alu instid0(VALU_DEP_1)
	v_max_f32_e32 v0, v0, v1
	ds_bpermute_b32 v1, v12, v0
	s_waitcnt lgkmcnt(0)
	v_max_f32_e32 v1, v1, v1
	s_waitcnt vmcnt(0)
	v_subrev_nc_u32_e32 v7, s3, v6
	v_mov_b32_e32 v6, 0
	s_delay_alu instid0(VALU_DEP_3) | instskip(NEXT) | instid1(VALU_DEP_3)
	v_max_f32_e32 v0, v0, v1
	v_lshl_add_u32 v1, v7, 5, s17
	ds_bpermute_b32 v0, v6, v0
	v_min_i32_e32 v1, v1, v96
	s_delay_alu instid0(VALU_DEP_1) | instskip(NEXT) | instid1(VALU_DEP_1)
	v_subrev_nc_u32_e32 v1, s17, v1
	v_cmp_lt_i32_e64 s2, v14, v1
	s_delay_alu instid0(VALU_DEP_1)
	s_and_saveexec_b32 s9, s2
	s_cbranch_execz .LBB189_25
; %bb.22:
	s_getpc_b64 s[18:19]
	s_add_u32 s18, s18, llvm.amdgcn.dynlds.offset.table@rel32@lo+4
	s_addc_u32 s19, s19, llvm.amdgcn.dynlds.offset.table@rel32@hi+12
	s_ashr_i32 s11, s10, 31
	v_mov_b32_e32 v6, 0
	s_lshl_b64 s[20:21], s[10:11], 2
	v_mov_b32_e32 v8, v14
	s_add_u32 s18, s20, s18
	s_addc_u32 s19, s21, s19
	s_mov_b32 s11, 0
	s_load_b32 s3, s[18:19], 0x0
	s_waitcnt lgkmcnt(0)
	v_lshl_add_u32 v7, v14, 2, s3
	.p2align	6
.LBB189_23:                             ; =>This Inner Loop Header: Depth=1
	ds_load_b32 v9, v7
	v_add_nc_u32_e32 v8, 0x80, v8
	s_delay_alu instid0(VALU_DEP_1) | instskip(NEXT) | instid1(VALU_DEP_1)
	v_cmp_ge_i32_e64 s3, v8, v1
	s_or_b32 s11, s3, s11
	s_waitcnt lgkmcnt(0)
	v_sub_f32_e32 v9, v9, v0
	s_delay_alu instid0(VALU_DEP_1) | instskip(NEXT) | instid1(VALU_DEP_1)
	v_mul_f32_e32 v9, 0x3fb8aa3b, v9
	v_exp_f32_e32 v9, v9
	ds_store_b32 v7, v9
	v_dual_add_f32 v6, v6, v9 :: v_dual_add_nc_u32 v7, 0x200, v7
	s_and_not1_b32 exec_lo, exec_lo, s11
	s_cbranch_execnz .LBB189_23
; %bb.24:
	s_or_b32 exec_lo, exec_lo, s11
.LBB189_25:
	s_delay_alu instid0(SALU_CYCLE_1)
	s_or_b32 exec_lo, exec_lo, s9
	ds_bpermute_b32 v2, v2, v6
	s_waitcnt lgkmcnt(0)
	v_add_f32_e32 v2, v6, v2
	ds_bpermute_b32 v3, v3, v2
	s_waitcnt lgkmcnt(0)
	v_add_f32_e32 v2, v2, v3
	;; [unrolled: 3-line block ×5, first 2 shown]
	s_and_saveexec_b32 s3, vcc_lo
	s_cbranch_execz .LBB189_27
; %bb.26:
	ds_store_b32 v5, v2 offset:400
.LBB189_27:
	s_or_b32 exec_lo, exec_lo, s3
	s_waitcnt lgkmcnt(0)
	s_barrier
	buffer_gl0_inv
	s_and_saveexec_b32 s3, s1
	s_cbranch_execz .LBB189_29
; %bb.28:
	ds_load_b32 v2, v48 offset:400
.LBB189_29:
	s_or_b32 exec_lo, exec_lo, s3
	s_waitcnt lgkmcnt(0)
	ds_bpermute_b32 v3, v10, v2
	s_waitcnt lgkmcnt(0)
	v_add_f32_e32 v2, v2, v3
	ds_bpermute_b32 v3, v12, v2
	s_waitcnt lgkmcnt(0)
	v_dual_add_f32 v2, v2, v3 :: v_dual_mov_b32 v3, 0
	ds_bpermute_b32 v2, v3, v2
	s_and_saveexec_b32 s1, s2
	s_cbranch_execz .LBB189_32
; %bb.30:
	s_waitcnt lgkmcnt(0)
	v_add_f32_e32 v4, 0x358637bd, v2
	s_getpc_b64 s[2:3]
	s_add_u32 s2, s2, llvm.amdgcn.dynlds.offset.table@rel32@lo+4
	s_addc_u32 s3, s3, llvm.amdgcn.dynlds.offset.table@rel32@hi+12
	s_ashr_i32 s11, s10, 31
	s_delay_alu instid0(SALU_CYCLE_1) | instskip(SKIP_4) | instid1(VALU_DEP_1)
	s_lshl_b64 s[18:19], s[10:11], 2
	v_div_scale_f32 v3, null, v4, v4, 1.0
	s_add_u32 s2, s18, s2
	s_addc_u32 s3, s19, s3
	s_load_b32 s2, s[2:3], 0x0
	v_rcp_f32_e32 v5, v3
	s_waitcnt_depctr 0xfff
	v_fma_f32 v6, -v3, v5, 1.0
	s_delay_alu instid0(VALU_DEP_1) | instskip(SKIP_1) | instid1(VALU_DEP_1)
	v_fmac_f32_e32 v5, v6, v5
	v_div_scale_f32 v7, vcc_lo, 1.0, v4, 1.0
	v_mul_f32_e32 v6, v7, v5
	s_delay_alu instid0(VALU_DEP_1) | instskip(NEXT) | instid1(VALU_DEP_1)
	v_fma_f32 v8, -v3, v6, v7
	v_fmac_f32_e32 v6, v8, v5
	s_delay_alu instid0(VALU_DEP_1) | instskip(NEXT) | instid1(VALU_DEP_1)
	v_fma_f32 v3, -v3, v6, v7
	v_div_fmas_f32 v5, v3, v5, v6
	s_waitcnt lgkmcnt(0)
	v_lshl_add_u32 v3, v14, 2, s2
	s_mov_b32 s2, 0
	s_delay_alu instid0(VALU_DEP_2)
	v_div_fixup_f32 v4, v5, v4, 1.0
	v_mov_b32_e32 v5, v14
.LBB189_31:                             ; =>This Inner Loop Header: Depth=1
	ds_load_b32 v6, v3
	s_waitcnt lgkmcnt(0)
	v_dual_mul_f32 v6, v4, v6 :: v_dual_add_nc_u32 v5, 0x80, v5
	s_delay_alu instid0(VALU_DEP_1) | instskip(SKIP_3) | instid1(SALU_CYCLE_1)
	v_cmp_ge_i32_e32 vcc_lo, v5, v1
	ds_store_b32 v3, v6
	v_add_nc_u32_e32 v3, 0x200, v3
	s_or_b32 s2, vcc_lo, s2
	s_and_not1_b32 exec_lo, exec_lo, s2
	s_cbranch_execnz .LBB189_31
.LBB189_32:
	s_or_b32 exec_lo, exec_lo, s1
	v_cmp_ne_u16_e64 s1, s8, 0
	s_mov_b32 s2, exec_lo
	s_waitcnt lgkmcnt(0)
	s_barrier
	buffer_gl0_inv
	s_cmp_lg_u32 s1, 0
	s_addc_u32 s1, s7, 0
	v_cmpx_eq_u32_e32 0, v14
	s_cbranch_execz .LBB189_34
; %bb.33:
	s_mul_i32 s3, s1, s4
	s_mul_i32 s8, s1, s12
	;; [unrolled: 1-line block ×3, first 2 shown]
	s_ashr_i32 s9, s8, 31
	s_ashr_i32 s15, s14, 31
	;; [unrolled: 1-line block ×3, first 2 shown]
	s_lshl_b64 s[8:9], s[8:9], 2
	s_lshl_b64 s[18:19], s[14:15], 2
	;; [unrolled: 1-line block ×3, first 2 shown]
	s_add_u32 s3, s18, s8
	s_addc_u32 s7, s19, s9
	s_add_u32 s3, s3, s12
	s_addc_u32 s7, s7, s13
	v_add_co_u32 v3, vcc_lo, s3, v34
	v_add_co_ci_u32_e32 v4, vcc_lo, s7, v30, vcc_lo
	v_add_co_u32 v5, vcc_lo, s3, v29
	v_add_co_ci_u32_e32 v6, vcc_lo, s7, v22, vcc_lo
	flat_store_b32 v[3:4], v0
	flat_store_b32 v[5:6], v2
.LBB189_34:
	s_or_b32 exec_lo, exec_lo, s2
	v_dual_mov_b32 v0, 0 :: v_dual_mov_b32 v51, 0
	s_ashr_i32 s11, s10, 31
	s_getpc_b64 s[2:3]
	s_add_u32 s2, s2, llvm.amdgcn.dynlds.offset.table@rel32@lo+4
	s_addc_u32 s3, s3, llvm.amdgcn.dynlds.offset.table@rel32@hi+12
	s_lshl_b64 s[8:9], s[10:11], 2
	scratch_store_b32 off, v0, s32 offset:380 ; 4-byte Folded Spill
	v_dual_mov_b32 v0, 0 :: v_dual_mov_b32 v21, 0
	v_dual_mov_b32 v55, 0 :: v_dual_mov_b32 v54, 0
	v_mov_b32_e32 v19, 0
	scratch_store_b32 off, v0, s32 offset:376 ; 4-byte Folded Spill
	v_dual_mov_b32 v0, 0 :: v_dual_mov_b32 v53, 0
	v_mov_b32_e32 v16, 0
	v_dual_mov_b32 v4, 0 :: v_dual_mov_b32 v5, 0
	scratch_store_b32 off, v0, s32 offset:372 ; 4-byte Folded Spill
	v_mov_b32_e32 v0, 0
	v_mov_b32_e32 v24, 0
	;; [unrolled: 1-line block ×4, first 2 shown]
	s_add_u32 s2, s8, s2
	scratch_store_b32 off, v0, s32 offset:368 ; 4-byte Folded Spill
	v_mov_b32_e32 v0, 0
	s_addc_u32 s3, s9, s3
	s_mov_b32 s8, 0
	scratch_store_b32 off, v0, s32 offset:364 ; 4-byte Folded Spill
	v_mov_b32_e32 v0, 0
	scratch_store_b32 off, v0, s32 offset:360 ; 4-byte Folded Spill
	v_mov_b32_e32 v0, 0
	;; [unrolled: 2-line block ×7, first 2 shown]
	scratch_store_b32 off, v0, s32 offset:336 ; 4-byte Folded Spill
	s_and_saveexec_b32 s7, s0
	s_cbranch_execz .LBB189_888
; %bb.35:
	v_max_i32_e32 v26, v26, v31
	v_add_co_u32 v0, vcc_lo, v33, v37
	s_clause 0x1
	scratch_store_b32 off, v10, s32 offset:624
	scratch_store_b32 off, v12, s32 offset:620
	s_load_b32 s0, s[2:3], 0x0
	v_cvt_f32_u32_e32 v2, v26
	v_mov_b32_e32 v22, 0
	v_mov_b32_e32 v24, 0
	;; [unrolled: 1-line block ×3, first 2 shown]
	s_lshl_b32 s9, s17, 2
	v_rcp_iflag_f32_e32 v2, v2
	v_add_nc_u32_e32 v4, -1, v17
	scratch_store_b32 off, v0, s32 offset:528 ; 4-byte Folded Spill
	v_add_co_ci_u32_e32 v0, vcc_lo, v32, v38, vcc_lo
	v_dual_mov_b32 v50, 0 :: v_dual_mov_b32 v19, 0
	v_mov_b32_e32 v21, 0
	scratch_store_b32 off, v0, s32 offset:532 ; 4-byte Folded Spill
	scratch_load_b32 v0, off, s32 offset:712 ; 4-byte Folded Reload
	v_mov_b32_e32 v53, 0
	v_mov_b32_e32 v55, 0
	s_waitcnt lgkmcnt(0)
	s_sub_i32 s9, s0, s9
	s_waitcnt vmcnt(0)
	v_lshlrev_b32_e32 v3, 3, v0
	v_lshlrev_b64 v[0:1], 1, v[35:36]
	s_delay_alu instid0(VALU_DEP_1)
	v_add_co_u32 v0, vcc_lo, v15, v0
	scratch_store_b32 off, v4, s32 offset:536 ; 4-byte Folded Spill
	v_and_b32_e32 v4, 24, v3
	v_and_b32_e32 v3, 0xf8, v3
	scratch_store_b32 off, v0, s32 offset:544 ; 4-byte Folded Spill
	v_add_co_ci_u32_e32 v0, vcc_lo, v11, v1, vcc_lo
	scratch_store_b32 off, v4, s32 offset:540 ; 4-byte Folded Spill
	v_mul_f32_e32 v1, 0x4f7ffffe, v2
	v_or_b32_e32 v2, 0x900, v3
	scratch_store_b32 off, v0, s32 offset:548 ; 4-byte Folded Spill
	v_or_b32_e32 v0, 0x800, v3
	v_or_b32_e32 v5, 0xa00, v3
	v_sub_nc_u32_e32 v4, 0, v26
	v_cvt_u32_f32_e32 v1, v1
	v_or_b32_e32 v6, 0xb00, v3
	v_lshlrev_b32_e32 v0, 1, v0
	v_or_b32_e32 v7, 0xc00, v3
	v_or_b32_e32 v8, 0xd00, v3
	v_mul_lo_u32 v4, v4, v1
	v_or_b32_e32 v9, 0xe00, v3
	scratch_store_b32 off, v0, s32 offset:556 ; 4-byte Folded Spill
	v_lshlrev_b32_e32 v0, 1, v2
	v_or_b32_e32 v10, 0xf00, v3
	v_or_b32_e32 v11, 0x1000, v3
	;; [unrolled: 1-line block ×4, first 2 shown]
	scratch_store_b32 off, v0, s32 offset:560 ; 4-byte Folded Spill
	v_lshlrev_b32_e32 v0, 1, v5
	v_mul_hi_u32 v4, v1, v4
	v_or_b32_e32 v14, 0x1300, v3
	v_or_b32_e32 v15, 0x1400, v3
	;; [unrolled: 1-line block ×3, first 2 shown]
	scratch_store_b32 off, v0, s32 offset:564 ; 4-byte Folded Spill
	v_lshlrev_b32_e32 v0, 1, v6
	v_or_b32_e32 v17, 0x1600, v3
	v_or_b32_e32 v18, 0x1700, v3
	scratch_store_b32 off, v0, s32 offset:568 ; 4-byte Folded Spill
	v_lshlrev_b32_e32 v0, 1, v7
	scratch_store_b32 off, v0, s32 offset:572 ; 4-byte Folded Spill
	v_lshlrev_b32_e32 v0, 1, v8
	scratch_store_b32 off, v0, s32 offset:576 ; 4-byte Folded Spill
	v_add_nc_u32_e32 v0, v1, v4
	scratch_store_b32 off, v0, s32 offset:400 ; 4-byte Folded Spill
	v_lshlrev_b32_e32 v0, 1, v9
	scratch_store_b32 off, v0, s32 offset:580 ; 4-byte Folded Spill
	v_lshlrev_b32_e32 v0, 1, v10
	;; [unrolled: 2-line block ×8, first 2 shown]
	v_mov_b32_e32 v16, 0
	scratch_store_b32 off, v0, s32 offset:608 ; 4-byte Folded Spill
	v_lshlrev_b32_e32 v0, 1, v17
	scratch_store_b32 off, v0, s32 offset:612 ; 4-byte Folded Spill
	v_lshlrev_b32_e32 v0, 1, v18
	scratch_store_b32 off, v0, s32 offset:616 ; 4-byte Folded Spill
	v_dual_mov_b32 v0, 0 :: v_dual_lshlrev_b32 v3, 1, v3
	scratch_store_b32 off, v0, s32 offset:336 ; 4-byte Folded Spill
	v_mov_b32_e32 v0, 0
	s_clause 0x1
	scratch_store_b32 off, v3, s32 offset:552
	scratch_store_b32 off, v0, s32 offset:340
	v_mov_b32_e32 v0, 0
	scratch_store_b32 off, v0, s32 offset:344 ; 4-byte Folded Spill
	v_mov_b32_e32 v0, 0
	scratch_store_b32 off, v0, s32 offset:348 ; 4-byte Folded Spill
	;; [unrolled: 2-line block ×13, first 2 shown]
	s_branch .LBB189_38
.LBB189_36:                             ;   in Loop: Header=BB189_38 Depth=1
	s_or_b32 exec_lo, exec_lo, s0
	v_and_b32_e32 v27, 0xffff0000, v27
	v_and_b32_e32 v25, 0xffff0000, v25
	;; [unrolled: 1-line block ×5, first 2 shown]
	s_delay_alu instid0(VALU_DEP_4) | instskip(SKIP_4) | instid1(VALU_DEP_4)
	v_dual_add_f32 v25, v25, v27 :: v_dual_and_b32 v10, 0xffff0000, v10
	v_and_b32_e32 v34, 0xffff0000, v34
	v_and_b32_e32 v19, 0xffff0000, v19
	;; [unrolled: 1-line block ×4, first 2 shown]
	v_dual_add_f32 v34, v34, v35 :: v_dual_and_b32 v29, 0xffff0000, v30
	s_delay_alu instid0(VALU_DEP_4) | instskip(NEXT) | instid1(VALU_DEP_3)
	v_dual_add_f32 v18, v18, v19 :: v_dual_and_b32 v35, 0xffff0000, v37
	v_add_f32_e32 v27, v28, v27
	v_and_b32_e32 v13, 0xffff0000, v13
	v_and_b32_e32 v11, 0xffff0000, v11
	s_delay_alu instid0(VALU_DEP_4) | instskip(SKIP_2) | instid1(VALU_DEP_4)
	v_dual_add_f32 v35, v36, v35 :: v_dual_and_b32 v36, 0xffff0000, v48
	v_and_b32_e32 v37, 0xffff0000, v38
	v_add_f32_e32 v25, v25, v27
	v_dual_add_f32 v11, v11, v13 :: v_dual_and_b32 v8, 0xffff0000, v8
	s_delay_alu instid0(VALU_DEP_4) | instskip(NEXT) | instid1(VALU_DEP_4)
	v_add_f32_e32 v34, v34, v35
	v_dual_add_f32 v36, v37, v36 :: v_dual_and_b32 v9, 0xffff0000, v9
	v_and_b32_e32 v16, 0xffff0000, v16
	v_and_b32_e32 v17, 0xffff0000, v17
	s_delay_alu instid0(VALU_DEP_3) | instskip(SKIP_4) | instid1(VALU_DEP_4)
	v_dual_add_f32 v28, v34, v36 :: v_dual_and_b32 v15, 0xffff0000, v15
	v_and_b32_e32 v27, 0xffff0000, v31
	v_and_b32_e32 v30, 0xffff0000, v50
	;; [unrolled: 1-line block ×3, first 2 shown]
	v_add_f32_e32 v8, v16, v8
	v_dual_add_f32 v27, v29, v27 :: v_dual_and_b32 v16, 0xffff0000, v81
	v_and_b32_e32 v29, 0xffff0000, v49
	v_and_b32_e32 v14, 0xffff0000, v14
	;; [unrolled: 1-line block ×4, first 2 shown]
	v_add_f32_e32 v25, v25, v27
	v_add_f32_e32 v29, v29, v30
	v_and_b32_e32 v27, 0xffff0000, v147
	v_and_b32_e32 v30, 0xffff0000, v146
	v_dual_add_f32 v14, v14, v15 :: v_dual_and_b32 v15, 0xffff0000, v98
	v_and_b32_e32 v6, 0xffff0000, v6
	v_and_b32_e32 v1, 0xffff0000, v1
	s_delay_alu instid0(VALU_DEP_4) | instskip(SKIP_2) | instid1(VALU_DEP_3)
	v_dual_add_f32 v27, v30, v27 :: v_dual_and_b32 v30, 0xffff0000, v149
	v_dual_add_f32 v28, v28, v29 :: v_dual_and_b32 v29, 0xffff0000, v130
	v_and_b32_e32 v0, 0xffff0000, v0
	v_dual_add_f32 v30, v31, v30 :: v_dual_and_b32 v3, 0xffff0000, v3
	v_and_b32_e32 v31, 0xffff0000, v32
	v_and_b32_e32 v32, 0xffff0000, v33
	;; [unrolled: 1-line block ×4, first 2 shown]
	v_dual_add_f32 v27, v27, v30 :: v_dual_and_b32 v30, 0xffff0000, v151
	s_delay_alu instid0(VALU_DEP_4)
	v_add_f32_e32 v31, v31, v32
	v_and_b32_e32 v12, 0xffff0000, v12
	v_add_f32_e32 v4, v5, v4
	v_and_b32_e32 v5, 0xffff0000, v184
	v_dual_add_f32 v17, v17, v30 :: v_dual_and_b32 v30, 0xffff0000, v132
	v_add_f32_e32 v25, v25, v31
	v_dual_add_f32 v6, v6, v7 :: v_dual_and_b32 v31, 0xffff0000, v134
	s_delay_alu instid0(VALU_DEP_3)
	v_add_f32_e32 v17, v27, v17
	v_and_b32_e32 v27, 0xffff0000, v131
	v_and_b32_e32 v7, 0xffff0000, v106
	scratch_load_b32 v50, off, s32 offset:404 ; 4-byte Folded Reload
	v_dual_add_f32 v27, v29, v27 :: v_dual_and_b32 v2, 0xffff0000, v2
	v_and_b32_e32 v29, 0xffff0000, v133
	s_delay_alu instid0(VALU_DEP_1) | instskip(NEXT) | instid1(VALU_DEP_1)
	v_dual_add_f32 v29, v30, v29 :: v_dual_and_b32 v30, 0xffff0000, v116
	v_add_f32_e32 v19, v27, v29
	v_and_b32_e32 v27, 0xffff0000, v115
	v_and_b32_e32 v29, 0xffff0000, v114
	s_delay_alu instid0(VALU_DEP_1) | instskip(SKIP_1) | instid1(VALU_DEP_1)
	v_add_f32_e32 v27, v29, v27
	v_and_b32_e32 v29, 0xffff0000, v117
	v_dual_add_f32 v29, v30, v29 :: v_dual_and_b32 v30, 0xffff0000, v135
	v_add_f32_e32 v17, v17, v18
	s_delay_alu instid0(VALU_DEP_2) | instskip(NEXT) | instid1(VALU_DEP_3)
	v_add_f32_e32 v27, v27, v29
	v_dual_add_f32 v30, v31, v30 :: v_dual_and_b32 v29, 0xffff0000, v128
	v_and_b32_e32 v31, 0xffff0000, v118
	s_delay_alu instid0(VALU_DEP_2) | instskip(NEXT) | instid1(VALU_DEP_2)
	v_dual_add_f32 v18, v19, v30 :: v_dual_and_b32 v19, 0xffff0000, v144
	v_add_f32_e32 v29, v31, v29
	v_and_b32_e32 v30, 0xffff0000, v145
	s_delay_alu instid0(VALU_DEP_2) | instskip(NEXT) | instid1(VALU_DEP_2)
	v_add_f32_e32 v27, v27, v29
	v_add_f32_e32 v19, v19, v30
	v_and_b32_e32 v29, 0xffff0000, v100
	v_and_b32_e32 v30, 0xffff0000, v99
	s_delay_alu instid0(VALU_DEP_3) | instskip(NEXT) | instid1(VALU_DEP_2)
	v_dual_add_f32 v18, v18, v19 :: v_dual_and_b32 v19, 0xffff0000, v21
	v_add_f32_e32 v29, v30, v29
	v_and_b32_e32 v30, 0xffff0000, v129
	scratch_load_b32 v21, off, s32 offset:412 ; 4-byte Folded Reload
	v_dual_add_f32 v16, v19, v16 :: v_dual_add_f32 v11, v29, v11
	v_add_f32_e32 v13, v13, v30
	s_clause 0x1
	scratch_load_b32 v19, off, s32 offset:408
	scratch_load_b32 v30, off, s32 offset:336
	v_add_f32_e32 v8, v11, v8
	v_and_b32_e32 v11, 0xffff0000, v24
	scratch_load_b32 v24, off, s32 offset:420 ; 4-byte Folded Reload
	v_add_f32_e32 v9, v9, v11
	v_add_f32_e32 v11, v16, v14
	v_and_b32_e32 v14, 0xffff0000, v22
	scratch_load_b32 v22, off, s32 offset:416 ; 4-byte Folded Reload
	v_and_b32_e32 v16, 0xffff0000, v68
	v_add_f32_e32 v8, v8, v9
	v_add_f32_e32 v10, v10, v14
	s_delay_alu instid0(VALU_DEP_1) | instskip(SKIP_2) | instid1(VALU_DEP_1)
	v_dual_add_f32 v9, v11, v10 :: v_dual_and_b32 v14, 0xffff0000, v87
	v_and_b32_e32 v10, 0xffff0000, v86
	v_and_b32_e32 v11, 0xffff0000, v85
	v_add_f32_e32 v10, v11, v10
	v_and_b32_e32 v11, 0xffff0000, v102
	s_delay_alu instid0(VALU_DEP_1) | instskip(NEXT) | instid1(VALU_DEP_1)
	v_dual_add_f32 v11, v14, v11 :: v_dual_and_b32 v14, 0xffff0000, v101
	v_add_f32_e32 v10, v10, v11
	s_delay_alu instid0(VALU_DEP_2) | instskip(SKIP_1) | instid1(VALU_DEP_1)
	v_dual_add_f32 v14, v14, v15 :: v_dual_and_b32 v11, 0xffff0000, v112
	v_and_b32_e32 v15, 0xffff0000, v103
	v_add_f32_e32 v11, v15, v11
	s_delay_alu instid0(VALU_DEP_1) | instskip(NEXT) | instid1(VALU_DEP_1)
	v_dual_add_f32 v10, v10, v11 :: v_dual_and_b32 v15, 0xffff0000, v69
	v_add_f32_e32 v15, v16, v15
	v_and_b32_e32 v16, 0xffff0000, v71
	v_and_b32_e32 v11, 0xffff0000, v113
	s_waitcnt vmcnt(3)
	v_add_f32_e32 v19, v19, v17
	s_waitcnt vmcnt(1)
	v_dual_add_f32 v24, v24, v8 :: v_dual_and_b32 v17, 0xffff0000, v70
	s_delay_alu instid0(VALU_DEP_1) | instskip(SKIP_1) | instid1(VALU_DEP_2)
	v_dual_add_f32 v16, v17, v16 :: v_dual_and_b32 v17, 0xffff0000, v39
	v_add_f32_e32 v8, v9, v14
	v_dual_add_f32 v15, v15, v16 :: v_dual_and_b32 v14, 0xffff0000, v185
	s_delay_alu instid0(VALU_DEP_3) | instskip(SKIP_2) | instid1(VALU_DEP_3)
	v_dual_add_f32 v11, v11, v17 :: v_dual_and_b32 v16, 0xffff0000, v82
	v_add_f32_e32 v13, v27, v13
	v_and_b32_e32 v17, 0xffff0000, v80
	v_add_f32_e32 v9, v10, v11
	s_waitcnt vmcnt(0)
	s_delay_alu instid0(VALU_DEP_3)
	v_dual_add_f32 v22, v22, v13 :: v_dual_and_b32 v11, 0xffff0000, v83
	v_and_b32_e32 v13, 0xffff0000, v84
	v_add_f32_e32 v16, v17, v16
	scratch_load_b32 v17, off, s32 offset:456 ; 4-byte Folded Reload
	v_add_f32_e32 v11, v11, v13
	v_and_b32_e32 v13, 0xffff0000, v191
	s_delay_alu instid0(VALU_DEP_1) | instskip(NEXT) | instid1(VALU_DEP_1)
	v_dual_add_f32 v12, v13, v12 :: v_dual_and_b32 v13, 0xffff0000, v175
	v_dual_add_f32 v4, v12, v4 :: v_dual_add_f32 v5, v13, v5
	v_and_b32_e32 v13, 0xffff0000, v186
	v_and_b32_e32 v12, 0xffff0000, v65
	s_delay_alu instid0(VALU_DEP_2) | instskip(NEXT) | instid1(VALU_DEP_1)
	v_dual_add_f32 v13, v14, v13 :: v_dual_and_b32 v14, 0xffff0000, v64
	v_dual_add_f32 v5, v5, v13 :: v_dual_add_f32 v12, v14, v12
	v_and_b32_e32 v13, 0xffff0000, v189
	v_and_b32_e32 v14, 0xffff0000, v187
	s_delay_alu instid0(VALU_DEP_3) | instskip(SKIP_1) | instid1(VALU_DEP_3)
	v_add_f32_e32 v4, v4, v12
	v_and_b32_e32 v12, 0xffff0000, v67
	v_dual_add_f32 v10, v15, v16 :: v_dual_add_f32 v13, v14, v13
	v_and_b32_e32 v14, 0xffff0000, v169
	v_and_b32_e32 v15, 0xffff0000, v190
	scratch_load_b32 v16, off, s32 offset:452 ; 4-byte Folded Reload
	v_dual_add_f32 v10, v10, v11 :: v_dual_and_b32 v11, 0xffff0000, v66
	v_add_f32_e32 v5, v5, v13
	v_and_b32_e32 v13, 0xffff0000, v159
	s_delay_alu instid0(VALU_DEP_3) | instskip(SKIP_1) | instid1(VALU_DEP_2)
	v_add_f32_e32 v11, v11, v12
	v_and_b32_e32 v12, 0xffff0000, v168
	v_add_f32_e32 v4, v4, v11
	s_delay_alu instid0(VALU_DEP_2) | instskip(SKIP_1) | instid1(VALU_DEP_2)
	v_dual_add_f32 v12, v13, v12 :: v_dual_and_b32 v13, 0xffff0000, v170
	v_and_b32_e32 v11, 0xffff0000, v171
	v_dual_add_f32 v13, v14, v13 :: v_dual_and_b32 v14, 0xffff0000, v188
	s_delay_alu instid0(VALU_DEP_1)
	v_add_f32_e32 v14, v14, v15
	scratch_load_b32 v15, off, s32 offset:344 ; 4-byte Folded Reload
	v_add_f32_e32 v30, v30, v28
	scratch_load_b32 v28, off, s32 offset:340 ; 4-byte Folded Reload
	s_waitcnt vmcnt(3)
	v_and_b32_e32 v17, 0xffff0000, v17
	s_waitcnt vmcnt(2)
	v_and_b32_e32 v16, 0xffff0000, v16
	s_waitcnt vmcnt(1)
	v_add_f32_e32 v15, v15, v8
	scratch_load_b32 v8, off, s32 offset:348 ; 4-byte Folded Reload
	s_waitcnt vmcnt(1)
	v_add_f32_e32 v28, v28, v25
	scratch_store_b32 off, v30, s32 offset:336 ; 4-byte Folded Spill
	v_add_f32_e32 v21, v21, v18
	v_and_b32_e32 v18, 0xffff0000, v162
	scratch_store_b32 off, v28, s32 offset:340 ; 4-byte Folded Spill
	s_waitcnt vmcnt(0)
	v_add_f32_e32 v8, v8, v9
	scratch_store_b32 off, v15, s32 offset:344 ; 4-byte Folded Spill
	v_and_b32_e32 v9, 0xffff0000, v172
	scratch_load_b32 v15, off, s32 offset:444 ; 4-byte Folded Reload
	scratch_store_b32 off, v8, s32 offset:348 ; 4-byte Folded Spill
	v_add_f32_e32 v8, v12, v13
	v_add_f32_e32 v9, v11, v9
	v_and_b32_e32 v11, 0xffff0000, v152
	v_and_b32_e32 v12, 0xffff0000, v143
	;; [unrolled: 1-line block ×3, first 2 shown]
	s_delay_alu instid0(VALU_DEP_4) | instskip(SKIP_1) | instid1(VALU_DEP_4)
	v_add_f32_e32 v8, v8, v9
	v_and_b32_e32 v9, 0xffff0000, v173
	v_dual_add_f32 v11, v12, v11 :: v_dual_and_b32 v12, 0xffff0000, v154
	s_delay_alu instid0(VALU_DEP_1) | instskip(NEXT) | instid1(VALU_DEP_1)
	v_dual_add_f32 v12, v13, v12 :: v_dual_and_b32 v13, 0xffff0000, v174
	v_add_f32_e32 v11, v11, v12
	s_delay_alu instid0(VALU_DEP_2) | instskip(SKIP_2) | instid1(VALU_DEP_1)
	v_add_f32_e32 v9, v9, v13
	v_and_b32_e32 v12, 0xffff0000, v157
	v_and_b32_e32 v13, 0xffff0000, v155
	v_add_f32_e32 v12, v13, v12
	scratch_load_b32 v13, off, s32 offset:352 ; 4-byte Folded Reload
	s_waitcnt vmcnt(1)
	v_and_b32_e32 v15, 0xffff0000, v15
	s_waitcnt vmcnt(0)
	v_add_f32_e32 v13, v13, v10
	scratch_load_b32 v10, off, s32 offset:388 ; 4-byte Folded Reload
	s_waitcnt vmcnt(0)
	v_add_f32_e32 v10, v10, v4
	scratch_store_b32 off, v13, s32 offset:352 ; 4-byte Folded Spill
	v_dual_add_f32 v4, v8, v9 :: v_dual_and_b32 v9, 0xffff0000, v136
	v_add_f32_e32 v8, v11, v12
	scratch_store_b32 off, v10, s32 offset:388 ; 4-byte Folded Spill
	v_and_b32_e32 v10, 0xffff0000, v127
	v_and_b32_e32 v11, 0xffff0000, v137
	;; [unrolled: 1-line block ×4, first 2 shown]
	s_delay_alu instid0(VALU_DEP_4) | instskip(NEXT) | instid1(VALU_DEP_1)
	v_dual_add_f32 v9, v10, v9 :: v_dual_and_b32 v10, 0xffff0000, v138
	v_dual_add_f32 v10, v11, v10 :: v_dual_and_b32 v11, 0xffff0000, v156
	s_delay_alu instid0(VALU_DEP_1) | instskip(NEXT) | instid1(VALU_DEP_2)
	v_add_f32_e32 v9, v9, v10
	v_add_f32_e32 v11, v11, v12
	v_and_b32_e32 v10, 0xffff0000, v140
	v_dual_add_f32 v5, v5, v14 :: v_dual_and_b32 v12, 0xffff0000, v139
	v_and_b32_e32 v14, 0xffff0000, v121
	s_delay_alu instid0(VALU_DEP_2) | instskip(NEXT) | instid1(VALU_DEP_1)
	v_add_f32_e32 v10, v12, v10
	v_dual_add_f32 v9, v9, v10 :: v_dual_and_b32 v12, 0xffff0000, v120
	s_delay_alu instid0(VALU_DEP_1) | instskip(SKIP_1) | instid1(VALU_DEP_2)
	v_dual_add_f32 v12, v13, v12 :: v_dual_and_b32 v13, 0xffff0000, v122
	v_and_b32_e32 v10, 0xffff0000, v141
	v_dual_add_f32 v13, v14, v13 :: v_dual_and_b32 v14, 0xffff0000, v142
	s_delay_alu instid0(VALU_DEP_1) | instskip(NEXT) | instid1(VALU_DEP_2)
	v_add_f32_e32 v12, v12, v13
	v_dual_add_f32 v10, v10, v14 :: v_dual_and_b32 v13, 0xffff0000, v124
	v_and_b32_e32 v14, 0xffff0000, v123
	s_delay_alu instid0(VALU_DEP_1)
	v_add_f32_e32 v13, v14, v13
	scratch_load_b32 v14, off, s32 offset:356 ; 4-byte Folded Reload
	s_waitcnt vmcnt(0)
	v_add_f32_e32 v14, v14, v5
	scratch_load_b32 v5, off, s32 offset:360 ; 4-byte Folded Reload
	s_waitcnt vmcnt(0)
	v_add_f32_e32 v5, v5, v4
	scratch_store_b32 off, v14, s32 offset:356 ; 4-byte Folded Spill
	v_and_b32_e32 v14, 0xffff0000, v59
	scratch_store_b32 off, v5, s32 offset:360 ; 4-byte Folded Spill
	v_add_f32_e32 v5, v9, v10
	v_and_b32_e32 v9, 0xffff0000, v125
	v_and_b32_e32 v10, 0xffff0000, v126
	s_delay_alu instid0(VALU_DEP_1) | instskip(NEXT) | instid1(VALU_DEP_1)
	v_dual_add_f32 v9, v9, v10 :: v_dual_and_b32 v10, 0xffff0000, v105
	v_dual_add_f32 v7, v10, v7 :: v_dual_and_b32 v10, 0xffff0000, v90
	;; [unrolled: 1-line block ×3, first 2 shown]
	v_add_f32_e32 v8, v12, v13
	v_and_b32_e32 v12, 0xffff0000, v91
	s_delay_alu instid0(VALU_DEP_4) | instskip(NEXT) | instid1(VALU_DEP_4)
	v_dual_add_f32 v6, v6, v7 :: v_dual_and_b32 v7, 0xffff0000, v108
	v_dual_add_f32 v10, v11, v10 :: v_dual_and_b32 v11, 0xffff0000, v92
	s_delay_alu instid0(VALU_DEP_4) | instskip(SKIP_1) | instid1(VALU_DEP_3)
	v_dual_add_f32 v8, v8, v9 :: v_dual_and_b32 v9, 0xffff0000, v110
	v_and_b32_e32 v13, 0xffff0000, v104
	v_add_f32_e32 v11, v12, v11
	v_and_b32_e32 v12, 0xffff0000, v107
	s_delay_alu instid0(VALU_DEP_2) | instskip(NEXT) | instid1(VALU_DEP_2)
	v_add_f32_e32 v10, v10, v11
	v_add_f32_e32 v7, v12, v7
	v_and_b32_e32 v11, 0xffff0000, v95
	v_and_b32_e32 v12, 0xffff0000, v93
	s_delay_alu instid0(VALU_DEP_3) | instskip(NEXT) | instid1(VALU_DEP_2)
	v_dual_add_f32 v6, v6, v7 :: v_dual_and_b32 v7, 0xffff0000, v109
	v_add_f32_e32 v11, v12, v11
	s_delay_alu instid0(VALU_DEP_2) | instskip(NEXT) | instid1(VALU_DEP_2)
	v_dual_add_f32 v7, v7, v9 :: v_dual_and_b32 v12, 0xffff0000, v75
	v_dual_add_f32 v9, v10, v11 :: v_dual_and_b32 v10, 0xffff0000, v74
	v_and_b32_e32 v11, 0xffff0000, v73
	s_delay_alu instid0(VALU_DEP_1) | instskip(NEXT) | instid1(VALU_DEP_1)
	v_dual_add_f32 v10, v11, v10 :: v_dual_and_b32 v11, 0xffff0000, v76
	v_dual_add_f32 v11, v12, v11 :: v_dual_and_b32 v12, 0xffff0000, v94
	s_delay_alu instid0(VALU_DEP_1)
	v_add_f32_e32 v12, v12, v13
	scratch_load_b32 v13, off, s32 offset:364 ; 4-byte Folded Reload
	v_add_f32_e32 v9, v9, v12
	scratch_load_b32 v12, off, s32 offset:376 ; 4-byte Folded Reload
	s_waitcnt vmcnt(1)
	v_dual_add_f32 v13, v13, v4 :: v_dual_add_f32 v4, v10, v11
	v_and_b32_e32 v10, 0xffff0000, v79
	v_and_b32_e32 v11, 0xffff0000, v77
	scratch_store_b32 off, v13, s32 offset:364 ; 4-byte Folded Spill
	v_dual_add_f32 v10, v11, v10 :: v_dual_and_b32 v13, 0xffff0000, v57
	v_and_b32_e32 v11, 0xffff0000, v58
	s_delay_alu instid0(VALU_DEP_1) | instskip(SKIP_1) | instid1(VALU_DEP_1)
	v_dual_add_f32 v4, v4, v10 :: v_dual_add_f32 v11, v13, v11
	v_and_b32_e32 v13, 0xffff0000, v60
	v_dual_add_f32 v13, v14, v13 :: v_dual_and_b32 v10, 0xffff0000, v88
	scratch_load_b32 v14, off, s32 offset:368 ; 4-byte Folded Reload
	s_waitcnt vmcnt(0)
	v_add_f32_e32 v14, v14, v5
	scratch_load_b32 v5, off, s32 offset:372 ; 4-byte Folded Reload
	s_waitcnt vmcnt(0)
	v_add_f32_e32 v5, v5, v8
	scratch_store_b32 off, v14, s32 offset:368 ; 4-byte Folded Spill
	v_and_b32_e32 v14, 0xffff0000, v161
	v_and_b32_e32 v8, 0xffff0000, v61
	scratch_store_b32 off, v5, s32 offset:372 ; 4-byte Folded Spill
	v_add_f32_e32 v5, v6, v7
	v_add_f32_e32 v1, v1, v14
	v_dual_add_f32 v6, v11, v13 :: v_dual_and_b32 v7, 0xffff0000, v62
	v_and_b32_e32 v11, 0xffff0000, v160
	v_and_b32_e32 v13, 0xffff0000, v41
	v_add_f32_e32 v12, v12, v5
	s_delay_alu instid0(VALU_DEP_4) | instskip(NEXT) | instid1(VALU_DEP_1)
	v_dual_add_f32 v7, v8, v7 :: v_dual_and_b32 v8, 0xffff0000, v78
	v_add_f32_e32 v6, v6, v7
	s_delay_alu instid0(VALU_DEP_2) | instskip(SKIP_1) | instid1(VALU_DEP_2)
	v_dual_add_f32 v8, v8, v10 :: v_dual_and_b32 v7, 0xffff0000, v63
	v_and_b32_e32 v10, 0xffff0000, v72
	v_add_f32_e32 v4, v4, v8
	v_and_b32_e32 v8, 0xffff0000, v46
	s_delay_alu instid0(VALU_DEP_3) | instskip(NEXT) | instid1(VALU_DEP_1)
	v_dual_add_f32 v7, v7, v10 :: v_dual_and_b32 v10, 0xffff0000, v167
	v_dual_add_f32 v5, v6, v7 :: v_dual_add_f32 v10, v11, v10
	v_and_b32_e32 v11, 0xffff0000, v44
	v_and_b32_e32 v7, 0xffff0000, v56
	s_delay_alu instid0(VALU_DEP_2) | instskip(NEXT) | instid1(VALU_DEP_2)
	v_add_f32_e32 v11, v13, v11
	v_add_f32_e32 v7, v8, v7
	s_clause 0x1
	scratch_load_b32 v8, off, s32 offset:496
	scratch_load_b32 v13, off, s32 offset:448
	v_add_f32_e32 v6, v10, v11
	s_clause 0x1
	scratch_load_b32 v11, off, s32 offset:500
	scratch_load_b32 v10, off, s32 offset:492
	s_waitcnt vmcnt(3)
	v_and_b32_e32 v8, 0xffff0000, v8
	s_waitcnt vmcnt(2)
	v_and_b32_e32 v13, 0xffff0000, v13
	;; [unrolled: 2-line block ×4, first 2 shown]
	s_delay_alu instid0(VALU_DEP_1) | instskip(SKIP_3) | instid1(VALU_DEP_1)
	v_add_f32_e32 v8, v10, v8
	scratch_load_b32 v10, off, s32 offset:508 ; 4-byte Folded Reload
	s_waitcnt vmcnt(0)
	v_and_b32_e32 v10, 0xffff0000, v10
	v_add_f32_e32 v10, v11, v10
	scratch_load_b32 v11, off, s32 offset:380 ; 4-byte Folded Reload
	s_waitcnt vmcnt(0)
	v_add_f32_e32 v11, v11, v9
	scratch_load_b32 v9, off, s32 offset:392 ; 4-byte Folded Reload
	scratch_store_b32 off, v12, s32 offset:376 ; 4-byte Folded Spill
	scratch_load_b32 v12, off, s32 offset:488 ; 4-byte Folded Reload
	scratch_store_b32 off, v11, s32 offset:380 ; 4-byte Folded Spill
	scratch_load_b32 v11, off, s32 offset:436 ; 4-byte Folded Reload
	s_waitcnt vmcnt(2)
	v_add_f32_e32 v9, v9, v4
	scratch_load_b32 v4, off, s32 offset:396 ; 4-byte Folded Reload
	s_waitcnt vmcnt(2)
	v_and_b32_e32 v12, 0xffff0000, v12
	s_waitcnt vmcnt(0)
	v_dual_add_f32 v4, v4, v5 :: v_dual_and_b32 v11, 0xffff0000, v11
	scratch_store_b32 off, v9, s32 offset:392 ; 4-byte Folded Spill
	v_add_f32_e32 v5, v8, v10
	s_clause 0x1
	scratch_load_b32 v8, off, s32 offset:468
	scratch_load_b32 v9, off, s32 offset:504
	scratch_store_b32 off, v4, s32 offset:396 ; 4-byte Folded Spill
	v_add_f32_e32 v4, v6, v7
	s_clause 0x1
	scratch_load_b32 v6, off, s32 offset:464
	scratch_load_b32 v7, off, s32 offset:460
	v_and_b32_e32 v10, 0xffff0000, v47
	s_waitcnt vmcnt(3)
	v_and_b32_e32 v8, 0xffff0000, v8
	s_waitcnt vmcnt(2)
	;; [unrolled: 2-line block ×4, first 2 shown]
	v_and_b32_e32 v7, 0xffff0000, v7
	s_delay_alu instid0(VALU_DEP_1) | instskip(SKIP_3) | instid1(VALU_DEP_1)
	v_add_f32_e32 v6, v7, v6
	scratch_load_b32 v7, off, s32 offset:472 ; 4-byte Folded Reload
	s_waitcnt vmcnt(0)
	v_and_b32_e32 v7, 0xffff0000, v7
	v_add_f32_e32 v7, v8, v7
	scratch_load_b32 v8, off, s32 offset:512 ; 4-byte Folded Reload
	v_add_f32_e32 v6, v6, v7
	scratch_load_b32 v7, off, s32 offset:484 ; 4-byte Folded Reload
	s_waitcnt vmcnt(1)
	v_and_b32_e32 v8, 0xffff0000, v8
	s_delay_alu instid0(VALU_DEP_1) | instskip(NEXT) | instid1(VALU_DEP_1)
	v_dual_add_f32 v8, v9, v8 :: v_dual_and_b32 v9, 0xffff0000, v45
	v_add_f32_e32 v5, v5, v8
	s_delay_alu instid0(VALU_DEP_2)
	v_add_f32_e32 v9, v9, v10
	scratch_load_b32 v10, off, s32 offset:476 ; 4-byte Folded Reload
	s_waitcnt vmcnt(1)
	v_and_b32_e32 v7, 0xffff0000, v7
	scratch_load_b32 v8, off, s32 offset:516 ; 4-byte Folded Reload
	s_waitcnt vmcnt(1)
	v_and_b32_e32 v10, 0xffff0000, v10
	s_delay_alu instid0(VALU_DEP_1)
	v_add_f32_e32 v7, v10, v7
	scratch_load_b32 v10, off, s32 offset:520 ; 4-byte Folded Reload
	v_add_f32_e32 v6, v6, v7
	scratch_load_b32 v7, off, s32 offset:432 ; 4-byte Folded Reload
	s_waitcnt vmcnt(2)
	v_and_b32_e32 v8, 0xffff0000, v8
	s_waitcnt vmcnt(1)
	v_and_b32_e32 v10, 0xffff0000, v10
	s_delay_alu instid0(VALU_DEP_1)
	v_add_f32_e32 v8, v8, v10
	scratch_load_b32 v10, off, s32 offset:428 ; 4-byte Folded Reload
	s_waitcnt vmcnt(1)
	v_and_b32_e32 v7, 0xffff0000, v7
	s_waitcnt vmcnt(0)
	v_and_b32_e32 v10, 0xffff0000, v10
	s_delay_alu instid0(VALU_DEP_1) | instskip(SKIP_3) | instid1(VALU_DEP_1)
	v_add_f32_e32 v7, v10, v7
	scratch_load_b32 v10, off, s32 offset:440 ; 4-byte Folded Reload
	s_waitcnt vmcnt(0)
	v_and_b32_e32 v10, 0xffff0000, v10
	v_add_f32_e32 v10, v11, v10
	v_and_b32_e32 v11, 0xffff0000, v150
	s_delay_alu instid0(VALU_DEP_1) | instskip(SKIP_3) | instid1(VALU_DEP_2)
	v_dual_add_f32 v7, v7, v10 :: v_dual_add_f32 v0, v0, v11
	scratch_load_b32 v11, off, s32 offset:480 ; 4-byte Folded Reload
	v_add_f32_e32 v10, v15, v13
	v_dual_add_f32 v0, v0, v1 :: v_dual_add_f32 v1, v2, v18
	v_dual_add_f32 v7, v7, v10 :: v_dual_add_f32 v10, v16, v17
	scratch_load_b32 v16, off, s32 offset:424 ; 4-byte Folded Reload
	v_and_b32_e32 v2, 0xffff0000, v163
	s_delay_alu instid0(VALU_DEP_1) | instskip(SKIP_1) | instid1(VALU_DEP_2)
	v_dual_add_f32 v0, v0, v1 :: v_dual_add_f32 v1, v3, v2
	v_dual_add_f32 v2, v4, v9 :: v_dual_add_f32 v3, v5, v8
	;; [unrolled: 1-line block ×3, first 2 shown]
	s_delay_alu instid0(VALU_DEP_2) | instskip(NEXT) | instid1(VALU_DEP_2)
	v_add_f32_e32 v53, v53, v3
	v_dual_add_f32 v55, v55, v5 :: v_dual_add_f32 v50, v50, v0
	s_waitcnt vmcnt(1)
	v_and_b32_e32 v11, 0xffff0000, v11
	s_waitcnt vmcnt(0)
	s_delay_alu instid0(VALU_DEP_1) | instskip(NEXT) | instid1(VALU_DEP_1)
	v_dual_add_f32 v11, v11, v12 :: v_dual_add_f32 v16, v16, v2
	v_add_f32_e32 v4, v6, v11
	s_delay_alu instid0(VALU_DEP_1)
	v_add_f32_e32 v54, v54, v4
.LBB189_37:                             ;   in Loop: Header=BB189_38 Depth=1
	s_or_b32 exec_lo, exec_lo, s10
	scratch_load_b32 v0, off, s32 offset:324 ; 4-byte Folded Reload
	v_add_nc_u32_e32 v23, 4, v23
	s_waitcnt vmcnt(0)
	s_delay_alu instid0(VALU_DEP_1) | instskip(SKIP_1) | instid1(SALU_CYCLE_1)
	v_cmp_ge_i32_e32 vcc_lo, v23, v0
	s_or_b32 s8, vcc_lo, s8
	s_and_not1_b32 exec_lo, exec_lo, s8
	s_cbranch_execz .LBB189_887
.LBB189_38:                             ; =>This Inner Loop Header: Depth=1
	s_clause 0x1
	scratch_load_b32 v2, off, s32 offset:328
	scratch_load_b32 v5, off, s32 offset:320
	v_lshlrev_b32_e32 v0, 5, v23
	s_delay_alu instid0(VALU_DEP_1) | instskip(NEXT) | instid1(VALU_DEP_1)
	v_sub_nc_u32_e32 v1, 0, v0
	v_max_i32_e32 v1, v0, v1
	s_waitcnt vmcnt(1)
	s_delay_alu instid0(VALU_DEP_1) | instskip(NEXT) | instid1(VALU_DEP_1)
	v_mul_hi_u32 v2, v1, v2
	v_mul_lo_u32 v3, v2, v97
	s_delay_alu instid0(VALU_DEP_1) | instskip(SKIP_1) | instid1(VALU_DEP_2)
	v_sub_nc_u32_e32 v1, v1, v3
	v_add_nc_u32_e32 v3, 1, v2
	v_sub_nc_u32_e32 v4, v1, v97
	v_cmp_ge_u32_e32 vcc_lo, v1, v97
	s_delay_alu instid0(VALU_DEP_2) | instskip(SKIP_1) | instid1(VALU_DEP_2)
	v_dual_cndmask_b32 v1, v1, v4 :: v_dual_cndmask_b32 v2, v2, v3
	v_bfe_i32 v3, v23, 26, 1
	v_cmp_ge_u32_e32 vcc_lo, v1, v97
	s_delay_alu instid0(VALU_DEP_3) | instskip(SKIP_1) | instid1(VALU_DEP_3)
	v_add_nc_u32_e32 v4, 1, v2
	s_waitcnt vmcnt(0)
	v_xor_b32_e32 v3, v3, v5
	s_delay_alu instid0(VALU_DEP_2) | instskip(SKIP_2) | instid1(VALU_DEP_1)
	v_cndmask_b32_e32 v1, v2, v4, vcc_lo
	scratch_load_b32 v4, off, s32 offset:400 ; 4-byte Folded Reload
	v_xor_b32_e32 v1, v1, v3
	v_sub_nc_u32_e32 v1, v1, v3
	s_delay_alu instid0(VALU_DEP_1) | instskip(NEXT) | instid1(VALU_DEP_1)
	v_add_nc_u32_e32 v2, v1, v20
	v_sub_nc_u32_e32 v3, 0, v2
	s_delay_alu instid0(VALU_DEP_1) | instskip(SKIP_2) | instid1(VALU_DEP_2)
	v_max_i32_e32 v3, v2, v3
	v_ashrrev_i32_e32 v2, 31, v2
	s_waitcnt vmcnt(0)
	v_mul_hi_u32 v4, v3, v4
	s_delay_alu instid0(VALU_DEP_1) | instskip(NEXT) | instid1(VALU_DEP_1)
	v_mul_lo_u32 v4, v4, v26
	v_sub_nc_u32_e32 v3, v3, v4
	s_delay_alu instid0(VALU_DEP_1) | instskip(SKIP_1) | instid1(VALU_DEP_2)
	v_sub_nc_u32_e32 v4, v3, v26
	v_cmp_ge_u32_e32 vcc_lo, v3, v26
	v_cndmask_b32_e32 v3, v3, v4, vcc_lo
	s_delay_alu instid0(VALU_DEP_1) | instskip(SKIP_1) | instid1(VALU_DEP_2)
	v_sub_nc_u32_e32 v4, v3, v26
	v_cmp_ge_u32_e32 vcc_lo, v3, v26
	v_cndmask_b32_e32 v3, v3, v4, vcc_lo
	s_delay_alu instid0(VALU_DEP_1) | instskip(NEXT) | instid1(VALU_DEP_1)
	v_xor_b32_e32 v3, v3, v2
	v_sub_nc_u32_e32 v2, v3, v2
	s_delay_alu instid0(VALU_DEP_1) | instskip(SKIP_3) | instid1(VALU_DEP_1)
	v_cmp_eq_u32_e32 vcc_lo, 0, v2
	scratch_load_b32 v2, off, s32 offset:332 ; 4-byte Folded Reload
	s_waitcnt vmcnt(0)
	v_cmp_gt_i32_e64 s0, v1, v2
	s_or_b32 s0, vcc_lo, s0
	s_delay_alu instid0(SALU_CYCLE_1)
	s_and_saveexec_b32 s10, s0
	s_cbranch_execz .LBB189_37
; %bb.39:                               ;   in Loop: Header=BB189_38 Depth=1
	s_clause 0x5
	scratch_store_b32 off, v16, s32 offset:424
	scratch_store_b32 off, v24, s32 offset:420
	;; [unrolled: 1-line block ×6, first 2 shown]
	scratch_load_b32 v3, off, s32 offset:528 ; 4-byte Folded Reload
	v_ashrrev_i32_e32 v24, 31, v23
	s_mov_b32 s0, exec_lo
                                        ; implicit-def: $vgpr13
	s_delay_alu instid0(VALU_DEP_1) | instskip(SKIP_1) | instid1(VALU_DEP_1)
	v_lshlrev_b64 v[1:2], 2, v[23:24]
	s_waitcnt vmcnt(0)
	v_add_co_u32 v1, vcc_lo, v3, v1
	scratch_load_b32 v3, off, s32 offset:532 ; 4-byte Folded Reload
	s_waitcnt vmcnt(0)
	v_add_co_ci_u32_e32 v2, vcc_lo, v3, v2, vcc_lo
	flat_load_b32 v14, v[1:2]
	scratch_load_b32 v1, off, s32 offset:540 ; 4-byte Folded Reload
	s_waitcnt vmcnt(0)
	v_or_b32_e32 v150, v0, v1
	s_delay_alu instid0(VALU_DEP_1) | instskip(SKIP_4) | instid1(VALU_DEP_1)
	v_lshl_add_u32 v0, v150, 2, s9
	ds_load_2addr_b64 v[6:9], v0 offset1:1
	ds_load_2addr_b64 v[0:3], v0 offset0:2 offset1:3
	s_waitcnt lgkmcnt(1)
	v_and_b32_e32 v4, 0x7f800000, v6
	v_cmpx_ne_u32_e32 0x7f800000, v4
	s_xor_b32 s0, exec_lo, s0
; %bb.40:                               ;   in Loop: Header=BB189_38 Depth=1
	v_bfe_u32 v4, v6, 16, 1
	s_delay_alu instid0(VALU_DEP_1)
	v_add3_u32 v13, v6, v4, 0x7fff
; %bb.41:                               ;   in Loop: Header=BB189_38 Depth=1
	s_and_not1_saveexec_b32 s0, s0
; %bb.42:                               ;   in Loop: Header=BB189_38 Depth=1
	v_and_b32_e32 v4, 0xffff, v6
	v_or_b32_e32 v5, 0x10000, v6
	s_delay_alu instid0(VALU_DEP_2) | instskip(NEXT) | instid1(VALU_DEP_2)
	v_cmp_eq_u32_e32 vcc_lo, 0, v4
	v_cndmask_b32_e32 v13, v5, v6, vcc_lo
; %bb.43:                               ;   in Loop: Header=BB189_38 Depth=1
	s_or_b32 exec_lo, exec_lo, s0
	v_and_b32_e32 v4, 0x7f800000, v7
	s_mov_b32 s0, exec_lo
                                        ; implicit-def: $vgpr12
	s_delay_alu instid0(VALU_DEP_1)
	v_cmpx_ne_u32_e32 0x7f800000, v4
	s_xor_b32 s0, exec_lo, s0
; %bb.44:                               ;   in Loop: Header=BB189_38 Depth=1
	v_bfe_u32 v4, v7, 16, 1
	s_delay_alu instid0(VALU_DEP_1)
	v_add3_u32 v12, v7, v4, 0x7fff
; %bb.45:                               ;   in Loop: Header=BB189_38 Depth=1
	s_and_not1_saveexec_b32 s0, s0
; %bb.46:                               ;   in Loop: Header=BB189_38 Depth=1
	v_and_b32_e32 v4, 0xffff, v7
	v_or_b32_e32 v5, 0x10000, v7
	s_delay_alu instid0(VALU_DEP_2) | instskip(NEXT) | instid1(VALU_DEP_2)
	v_cmp_eq_u32_e32 vcc_lo, 0, v4
	v_cndmask_b32_e32 v12, v5, v7, vcc_lo
; %bb.47:                               ;   in Loop: Header=BB189_38 Depth=1
	s_or_b32 exec_lo, exec_lo, s0
	v_and_b32_e32 v4, 0x7f800000, v8
	s_mov_b32 s0, exec_lo
                                        ; implicit-def: $vgpr11
	s_delay_alu instid0(VALU_DEP_1)
	v_cmpx_ne_u32_e32 0x7f800000, v4
	s_xor_b32 s0, exec_lo, s0
; %bb.48:                               ;   in Loop: Header=BB189_38 Depth=1
	v_bfe_u32 v4, v8, 16, 1
	s_delay_alu instid0(VALU_DEP_1)
	v_add3_u32 v11, v8, v4, 0x7fff
; %bb.49:                               ;   in Loop: Header=BB189_38 Depth=1
	s_and_not1_saveexec_b32 s0, s0
; %bb.50:                               ;   in Loop: Header=BB189_38 Depth=1
	v_and_b32_e32 v4, 0xffff, v8
	v_or_b32_e32 v5, 0x10000, v8
	s_delay_alu instid0(VALU_DEP_2) | instskip(NEXT) | instid1(VALU_DEP_2)
	v_cmp_eq_u32_e32 vcc_lo, 0, v4
	v_cndmask_b32_e32 v11, v5, v8, vcc_lo
; %bb.51:                               ;   in Loop: Header=BB189_38 Depth=1
	s_or_b32 exec_lo, exec_lo, s0
	v_and_b32_e32 v4, 0x7f800000, v9
	s_mov_b32 s0, exec_lo
                                        ; implicit-def: $vgpr10
	s_delay_alu instid0(VALU_DEP_1)
	v_cmpx_ne_u32_e32 0x7f800000, v4
	s_xor_b32 s0, exec_lo, s0
; %bb.52:                               ;   in Loop: Header=BB189_38 Depth=1
	v_bfe_u32 v4, v9, 16, 1
	s_delay_alu instid0(VALU_DEP_1)
	v_add3_u32 v10, v9, v4, 0x7fff
                                        ; implicit-def: $vgpr6_vgpr7_vgpr8_vgpr9
; %bb.53:                               ;   in Loop: Header=BB189_38 Depth=1
	s_and_not1_saveexec_b32 s0, s0
; %bb.54:                               ;   in Loop: Header=BB189_38 Depth=1
	v_and_b32_e32 v4, 0xffff, v9
	v_or_b32_e32 v5, 0x10000, v9
	s_delay_alu instid0(VALU_DEP_2) | instskip(NEXT) | instid1(VALU_DEP_2)
	v_cmp_eq_u32_e32 vcc_lo, 0, v4
	v_cndmask_b32_e32 v10, v5, v9, vcc_lo
; %bb.55:                               ;   in Loop: Header=BB189_38 Depth=1
	s_or_b32 exec_lo, exec_lo, s0
	s_waitcnt lgkmcnt(0)
	v_and_b32_e32 v4, 0x7f800000, v0
	s_mov_b32 s0, exec_lo
                                        ; implicit-def: $vgpr9
	s_delay_alu instid0(VALU_DEP_1)
	v_cmpx_ne_u32_e32 0x7f800000, v4
	s_xor_b32 s0, exec_lo, s0
; %bb.56:                               ;   in Loop: Header=BB189_38 Depth=1
	v_bfe_u32 v4, v0, 16, 1
	s_delay_alu instid0(VALU_DEP_1)
	v_add3_u32 v9, v0, v4, 0x7fff
; %bb.57:                               ;   in Loop: Header=BB189_38 Depth=1
	s_and_not1_saveexec_b32 s0, s0
; %bb.58:                               ;   in Loop: Header=BB189_38 Depth=1
	v_and_b32_e32 v4, 0xffff, v0
	v_or_b32_e32 v5, 0x10000, v0
	s_delay_alu instid0(VALU_DEP_2) | instskip(NEXT) | instid1(VALU_DEP_2)
	v_cmp_eq_u32_e32 vcc_lo, 0, v4
	v_cndmask_b32_e32 v9, v5, v0, vcc_lo
; %bb.59:                               ;   in Loop: Header=BB189_38 Depth=1
	s_or_b32 exec_lo, exec_lo, s0
	v_and_b32_e32 v0, 0x7f800000, v1
	s_mov_b32 s0, exec_lo
                                        ; implicit-def: $vgpr8
	s_delay_alu instid0(VALU_DEP_1)
	v_cmpx_ne_u32_e32 0x7f800000, v0
	s_xor_b32 s0, exec_lo, s0
; %bb.60:                               ;   in Loop: Header=BB189_38 Depth=1
	v_bfe_u32 v0, v1, 16, 1
	s_delay_alu instid0(VALU_DEP_1)
	v_add3_u32 v8, v1, v0, 0x7fff
; %bb.61:                               ;   in Loop: Header=BB189_38 Depth=1
	s_and_not1_saveexec_b32 s0, s0
; %bb.62:                               ;   in Loop: Header=BB189_38 Depth=1
	v_and_b32_e32 v0, 0xffff, v1
	v_or_b32_e32 v4, 0x10000, v1
	s_delay_alu instid0(VALU_DEP_2) | instskip(NEXT) | instid1(VALU_DEP_2)
	v_cmp_eq_u32_e32 vcc_lo, 0, v0
	v_cndmask_b32_e32 v8, v4, v1, vcc_lo
; %bb.63:                               ;   in Loop: Header=BB189_38 Depth=1
	s_or_b32 exec_lo, exec_lo, s0
	v_and_b32_e32 v0, 0x7f800000, v2
	s_mov_b32 s0, exec_lo
                                        ; implicit-def: $vgpr5
	s_delay_alu instid0(VALU_DEP_1)
	v_cmpx_ne_u32_e32 0x7f800000, v0
	s_xor_b32 s0, exec_lo, s0
; %bb.64:                               ;   in Loop: Header=BB189_38 Depth=1
	v_bfe_u32 v0, v2, 16, 1
	s_delay_alu instid0(VALU_DEP_1)
	v_add3_u32 v5, v2, v0, 0x7fff
; %bb.65:                               ;   in Loop: Header=BB189_38 Depth=1
	s_and_not1_saveexec_b32 s0, s0
; %bb.66:                               ;   in Loop: Header=BB189_38 Depth=1
	v_and_b32_e32 v0, 0xffff, v2
	v_or_b32_e32 v1, 0x10000, v2
	s_delay_alu instid0(VALU_DEP_2) | instskip(NEXT) | instid1(VALU_DEP_2)
	v_cmp_eq_u32_e32 vcc_lo, 0, v0
	v_cndmask_b32_e32 v5, v1, v2, vcc_lo
; %bb.67:                               ;   in Loop: Header=BB189_38 Depth=1
	s_or_b32 exec_lo, exec_lo, s0
	v_and_b32_e32 v0, 0x7f800000, v3
	s_mov_b32 s0, exec_lo
                                        ; implicit-def: $vgpr4
	s_delay_alu instid0(VALU_DEP_1)
	v_cmpx_ne_u32_e32 0x7f800000, v0
	s_xor_b32 s0, exec_lo, s0
; %bb.68:                               ;   in Loop: Header=BB189_38 Depth=1
	v_bfe_u32 v0, v3, 16, 1
	s_delay_alu instid0(VALU_DEP_1)
	v_add3_u32 v4, v3, v0, 0x7fff
                                        ; implicit-def: $vgpr0_vgpr1_vgpr2_vgpr3
; %bb.69:                               ;   in Loop: Header=BB189_38 Depth=1
	s_and_not1_saveexec_b32 s0, s0
; %bb.70:                               ;   in Loop: Header=BB189_38 Depth=1
	v_and_b32_e32 v0, 0xffff, v3
	v_or_b32_e32 v1, 0x10000, v3
	s_delay_alu instid0(VALU_DEP_2) | instskip(NEXT) | instid1(VALU_DEP_2)
	v_cmp_eq_u32_e32 vcc_lo, 0, v0
	v_cndmask_b32_e32 v4, v1, v3, vcc_lo
; %bb.71:                               ;   in Loop: Header=BB189_38 Depth=1
	s_or_b32 exec_lo, exec_lo, s0
	scratch_load_b32 v2, off, s32 offset:384 ; 4-byte Folded Reload
	v_or_b32_e32 v176, 1, v150
	v_or_b32_e32 v166, 2, v150
	;; [unrolled: 1-line block ×7, first 2 shown]
	s_waitcnt vmcnt(0)
	v_mad_i64_i32 v[0:1], null, v14, v2, 0
	scratch_load_b32 v2, off, s32 offset:544 ; 4-byte Folded Reload
	v_lshlrev_b64 v[0:1], 1, v[0:1]
	s_waitcnt vmcnt(0)
	s_delay_alu instid0(VALU_DEP_1)
	v_add_co_u32 v177, vcc_lo, v2, v0
	scratch_load_b32 v0, off, s32 offset:548 ; 4-byte Folded Reload
	s_waitcnt vmcnt(0)
	v_add_co_ci_u32_e32 v178, vcc_lo, v0, v1, vcc_lo
	scratch_load_b32 v0, off, s32 offset:552 ; 4-byte Folded Reload
	s_waitcnt vmcnt(0)
	v_add_co_u32 v6, vcc_lo, v177, v0
	v_add_co_ci_u32_e32 v7, vcc_lo, 0, v178, vcc_lo
	flat_load_b128 v[0:3], v[6:7]
	scratch_load_b32 v14, off, s32 offset:536 ; 4-byte Folded Reload
	s_waitcnt vmcnt(1) lgkmcnt(0)
	v_lshrrev_b32_e32 v17, 16, v0
	s_waitcnt vmcnt(0)
	v_cmp_eq_u32_e32 vcc_lo, v23, v14
	v_lshrrev_b32_e32 v16, 16, v1
	v_lshrrev_b32_e32 v15, 16, v2
	v_lshrrev_b32_e32 v14, 16, v3
	s_and_saveexec_b32 s11, vcc_lo
	s_cbranch_execz .LBB189_73
; %bb.72:                               ;   in Loop: Header=BB189_38 Depth=1
	v_cmp_lt_i32_e64 s0, v150, v96
	s_delay_alu instid0(VALU_DEP_1) | instskip(SKIP_1) | instid1(VALU_DEP_1)
	v_cndmask_b32_e64 v0, 0, v0, s0
	v_cmp_lt_i32_e64 s0, v176, v96
	v_cndmask_b32_e64 v17, 0, v17, s0
	v_cmp_lt_i32_e64 s0, v166, v96
	s_delay_alu instid0(VALU_DEP_1) | instskip(SKIP_1) | instid1(VALU_DEP_1)
	v_cndmask_b32_e64 v1, 0, v1, s0
	v_cmp_lt_i32_e64 s0, v165, v96
	v_cndmask_b32_e64 v16, 0, v16, s0
	;; [unrolled: 5-line block ×4, first 2 shown]
.LBB189_73:                             ;   in Loop: Header=BB189_38 Depth=1
	s_or_b32 exec_lo, exec_lo, s11
	v_and_b32_e32 v179, 0xffff0000, v13
	v_lshlrev_b32_e32 v0, 16, v0
	s_delay_alu instid0(VALU_DEP_1) | instskip(NEXT) | instid1(VALU_DEP_1)
	v_mul_f32_e32 v0, v179, v0
	v_and_b32_e32 v13, 0x7f800000, v0
	s_delay_alu instid0(VALU_DEP_1) | instskip(NEXT) | instid1(VALU_DEP_1)
	v_cmp_ne_u32_e64 s0, 0x7f800000, v13
                                        ; implicit-def: $vgpr13
                                        ; kill: killed $vgpr13
	s_and_saveexec_b32 s11, s0
	s_delay_alu instid0(SALU_CYCLE_1)
	s_xor_b32 s0, exec_lo, s11
	s_cbranch_execz .LBB189_75
; %bb.74:                               ;   in Loop: Header=BB189_38 Depth=1
	v_bfe_u32 v13, v0, 16, 1
	s_delay_alu instid0(VALU_DEP_1)
	v_add3_u32 v0, v0, v13, 0x7fff
	scratch_store_b32 off, v0, s32 offset:428 ; 4-byte Folded Spill
                                        ; implicit-def: $vgpr0
.LBB189_75:                             ;   in Loop: Header=BB189_38 Depth=1
	s_and_not1_saveexec_b32 s11, s0
	s_cbranch_execz .LBB189_77
; %bb.76:                               ;   in Loop: Header=BB189_38 Depth=1
	v_and_b32_e32 v13, 0xffff, v0
	v_or_b32_e32 v18, 0x10000, v0
	s_delay_alu instid0(VALU_DEP_2) | instskip(NEXT) | instid1(VALU_DEP_1)
	v_cmp_eq_u32_e64 s0, 0, v13
	v_cndmask_b32_e64 v0, v18, v0, s0
	scratch_store_b32 off, v0, s32 offset:428 ; 4-byte Folded Spill
.LBB189_77:                             ;   in Loop: Header=BB189_38 Depth=1
	s_or_b32 exec_lo, exec_lo, s11
	v_and_b32_e32 v180, 0xffff0000, v12
	v_lshlrev_b32_e32 v0, 16, v17
	s_delay_alu instid0(VALU_DEP_1) | instskip(NEXT) | instid1(VALU_DEP_1)
	v_mul_f32_e32 v0, v180, v0
	v_and_b32_e32 v12, 0x7f800000, v0
	s_delay_alu instid0(VALU_DEP_1) | instskip(NEXT) | instid1(VALU_DEP_1)
	v_cmp_ne_u32_e64 s0, 0x7f800000, v12
                                        ; implicit-def: $vgpr12
                                        ; kill: killed $vgpr12
	s_and_saveexec_b32 s11, s0
	s_delay_alu instid0(SALU_CYCLE_1)
	s_xor_b32 s0, exec_lo, s11
	s_cbranch_execz .LBB189_79
; %bb.78:                               ;   in Loop: Header=BB189_38 Depth=1
	v_bfe_u32 v12, v0, 16, 1
	s_delay_alu instid0(VALU_DEP_1)
	v_add3_u32 v0, v0, v12, 0x7fff
	scratch_store_b32 off, v0, s32 offset:432 ; 4-byte Folded Spill
                                        ; implicit-def: $vgpr0
.LBB189_79:                             ;   in Loop: Header=BB189_38 Depth=1
	s_and_not1_saveexec_b32 s11, s0
	s_cbranch_execz .LBB189_81
; %bb.80:                               ;   in Loop: Header=BB189_38 Depth=1
	v_and_b32_e32 v12, 0xffff, v0
	v_or_b32_e32 v13, 0x10000, v0
	s_delay_alu instid0(VALU_DEP_2) | instskip(NEXT) | instid1(VALU_DEP_1)
	v_cmp_eq_u32_e64 s0, 0, v12
	v_cndmask_b32_e64 v0, v13, v0, s0
	scratch_store_b32 off, v0, s32 offset:432 ; 4-byte Folded Spill
.LBB189_81:                             ;   in Loop: Header=BB189_38 Depth=1
	s_or_b32 exec_lo, exec_lo, s11
	v_and_b32_e32 v181, 0xffff0000, v11
	v_lshlrev_b32_e32 v0, 16, v1
	s_delay_alu instid0(VALU_DEP_1) | instskip(NEXT) | instid1(VALU_DEP_1)
	v_mul_f32_e32 v0, v181, v0
	v_and_b32_e32 v1, 0x7f800000, v0
	s_delay_alu instid0(VALU_DEP_1) | instskip(NEXT) | instid1(VALU_DEP_1)
	v_cmp_ne_u32_e64 s0, 0x7f800000, v1
                                        ; implicit-def: $vgpr1
                                        ; kill: killed $vgpr1
	s_and_saveexec_b32 s11, s0
	s_delay_alu instid0(SALU_CYCLE_1)
	s_xor_b32 s0, exec_lo, s11
	s_cbranch_execz .LBB189_83
; %bb.82:                               ;   in Loop: Header=BB189_38 Depth=1
	v_bfe_u32 v1, v0, 16, 1
	s_delay_alu instid0(VALU_DEP_1)
	v_add3_u32 v0, v0, v1, 0x7fff
	scratch_store_b32 off, v0, s32 offset:436 ; 4-byte Folded Spill
                                        ; implicit-def: $vgpr0
.LBB189_83:                             ;   in Loop: Header=BB189_38 Depth=1
	s_and_not1_saveexec_b32 s11, s0
	s_cbranch_execz .LBB189_85
; %bb.84:                               ;   in Loop: Header=BB189_38 Depth=1
	v_and_b32_e32 v1, 0xffff, v0
	v_or_b32_e32 v11, 0x10000, v0
	s_delay_alu instid0(VALU_DEP_2) | instskip(NEXT) | instid1(VALU_DEP_1)
	v_cmp_eq_u32_e64 s0, 0, v1
	v_cndmask_b32_e64 v0, v11, v0, s0
	scratch_store_b32 off, v0, s32 offset:436 ; 4-byte Folded Spill
.LBB189_85:                             ;   in Loop: Header=BB189_38 Depth=1
	s_or_b32 exec_lo, exec_lo, s11
	v_and_b32_e32 v182, 0xffff0000, v10
	v_lshlrev_b32_e32 v0, 16, v16
	s_delay_alu instid0(VALU_DEP_1) | instskip(NEXT) | instid1(VALU_DEP_1)
	v_mul_f32_e32 v0, v182, v0
	v_and_b32_e32 v1, 0x7f800000, v0
	s_delay_alu instid0(VALU_DEP_1) | instskip(NEXT) | instid1(VALU_DEP_1)
	v_cmp_ne_u32_e64 s0, 0x7f800000, v1
                                        ; implicit-def: $vgpr1
                                        ; kill: killed $vgpr1
	;; [unrolled: 31-line block ×5, first 2 shown]
	s_and_saveexec_b32 s11, s0
	s_delay_alu instid0(SALU_CYCLE_1)
	s_xor_b32 s0, exec_lo, s11
	s_cbranch_execz .LBB189_99
; %bb.98:                               ;   in Loop: Header=BB189_38 Depth=1
	v_bfe_u32 v1, v0, 16, 1
	s_delay_alu instid0(VALU_DEP_1)
	v_add3_u32 v0, v0, v1, 0x7fff
	scratch_store_b32 off, v0, s32 offset:452 ; 4-byte Folded Spill
                                        ; implicit-def: $vgpr0
.LBB189_99:                             ;   in Loop: Header=BB189_38 Depth=1
	s_and_not1_saveexec_b32 s11, s0
	s_cbranch_execz .LBB189_101
; %bb.100:                              ;   in Loop: Header=BB189_38 Depth=1
	v_and_b32_e32 v1, 0xffff, v0
	v_or_b32_e32 v2, 0x10000, v0
	s_delay_alu instid0(VALU_DEP_2) | instskip(NEXT) | instid1(VALU_DEP_1)
	v_cmp_eq_u32_e64 s0, 0, v1
	v_cndmask_b32_e64 v0, v2, v0, s0
	scratch_store_b32 off, v0, s32 offset:452 ; 4-byte Folded Spill
.LBB189_101:                            ;   in Loop: Header=BB189_38 Depth=1
	s_or_b32 exec_lo, exec_lo, s11
	v_and_b32_e32 v43, 0xffff0000, v4
	v_lshlrev_b32_e32 v0, 16, v14
	s_delay_alu instid0(VALU_DEP_1) | instskip(NEXT) | instid1(VALU_DEP_1)
	v_mul_f32_e32 v0, v43, v0
	v_and_b32_e32 v1, 0x7f800000, v0
	s_delay_alu instid0(VALU_DEP_1) | instskip(NEXT) | instid1(VALU_DEP_1)
	v_cmp_ne_u32_e64 s0, 0x7f800000, v1
                                        ; implicit-def: $vgpr1
                                        ; kill: killed $vgpr1
	s_and_saveexec_b32 s11, s0
	s_delay_alu instid0(SALU_CYCLE_1)
	s_xor_b32 s0, exec_lo, s11
	s_cbranch_execz .LBB189_103
; %bb.102:                              ;   in Loop: Header=BB189_38 Depth=1
	v_bfe_u32 v1, v0, 16, 1
	s_delay_alu instid0(VALU_DEP_1)
	v_add3_u32 v0, v0, v1, 0x7fff
	scratch_store_b32 off, v0, s32 offset:456 ; 4-byte Folded Spill
                                        ; implicit-def: $vgpr0
.LBB189_103:                            ;   in Loop: Header=BB189_38 Depth=1
	s_and_not1_saveexec_b32 s11, s0
	s_cbranch_execz .LBB189_105
; %bb.104:                              ;   in Loop: Header=BB189_38 Depth=1
	v_and_b32_e32 v1, 0xffff, v0
	v_or_b32_e32 v2, 0x10000, v0
	s_delay_alu instid0(VALU_DEP_2) | instskip(NEXT) | instid1(VALU_DEP_1)
	v_cmp_eq_u32_e64 s0, 0, v1
	v_cndmask_b32_e64 v0, v2, v0, s0
	scratch_store_b32 off, v0, s32 offset:456 ; 4-byte Folded Spill
.LBB189_105:                            ;   in Loop: Header=BB189_38 Depth=1
	s_or_b32 exec_lo, exec_lo, s11
	flat_load_b128 v[0:3], v[6:7] offset:512
	s_waitcnt vmcnt(0) lgkmcnt(0)
	v_lshrrev_b32_e32 v9, 16, v0
	v_lshrrev_b32_e32 v8, 16, v1
	v_lshrrev_b32_e32 v5, 16, v2
	v_lshrrev_b32_e32 v4, 16, v3
	s_and_saveexec_b32 s11, vcc_lo
	s_cbranch_execz .LBB189_107
; %bb.106:                              ;   in Loop: Header=BB189_38 Depth=1
	v_cmp_lt_i32_e64 s0, v150, v96
	s_delay_alu instid0(VALU_DEP_1) | instskip(SKIP_1) | instid1(VALU_DEP_1)
	v_cndmask_b32_e64 v0, 0, v0, s0
	v_cmp_lt_i32_e64 s0, v176, v96
	v_cndmask_b32_e64 v9, 0, v9, s0
	v_cmp_lt_i32_e64 s0, v166, v96
	s_delay_alu instid0(VALU_DEP_1) | instskip(SKIP_1) | instid1(VALU_DEP_1)
	v_cndmask_b32_e64 v1, 0, v1, s0
	v_cmp_lt_i32_e64 s0, v165, v96
	v_cndmask_b32_e64 v8, 0, v8, s0
	;; [unrolled: 5-line block ×4, first 2 shown]
.LBB189_107:                            ;   in Loop: Header=BB189_38 Depth=1
	s_or_b32 exec_lo, exec_lo, s11
	v_lshlrev_b32_e32 v0, 16, v0
	s_delay_alu instid0(VALU_DEP_1) | instskip(NEXT) | instid1(VALU_DEP_1)
	v_mul_f32_e32 v0, v179, v0
	v_and_b32_e32 v10, 0x7f800000, v0
	s_delay_alu instid0(VALU_DEP_1) | instskip(NEXT) | instid1(VALU_DEP_1)
	v_cmp_ne_u32_e64 s0, 0x7f800000, v10
                                        ; implicit-def: $vgpr10
                                        ; kill: killed $vgpr10
	s_and_saveexec_b32 s11, s0
	s_delay_alu instid0(SALU_CYCLE_1)
	s_xor_b32 s0, exec_lo, s11
	s_cbranch_execz .LBB189_109
; %bb.108:                              ;   in Loop: Header=BB189_38 Depth=1
	v_bfe_u32 v10, v0, 16, 1
	s_delay_alu instid0(VALU_DEP_1)
	v_add3_u32 v0, v0, v10, 0x7fff
	scratch_store_b32 off, v0, s32 offset:460 ; 4-byte Folded Spill
                                        ; implicit-def: $vgpr0
.LBB189_109:                            ;   in Loop: Header=BB189_38 Depth=1
	s_and_not1_saveexec_b32 s11, s0
	s_cbranch_execz .LBB189_111
; %bb.110:                              ;   in Loop: Header=BB189_38 Depth=1
	v_and_b32_e32 v10, 0xffff, v0
	v_or_b32_e32 v11, 0x10000, v0
	s_delay_alu instid0(VALU_DEP_2) | instskip(NEXT) | instid1(VALU_DEP_1)
	v_cmp_eq_u32_e64 s0, 0, v10
	v_cndmask_b32_e64 v0, v11, v0, s0
	scratch_store_b32 off, v0, s32 offset:460 ; 4-byte Folded Spill
.LBB189_111:                            ;   in Loop: Header=BB189_38 Depth=1
	s_or_b32 exec_lo, exec_lo, s11
	v_lshlrev_b32_e32 v0, 16, v9
	s_delay_alu instid0(VALU_DEP_1) | instskip(NEXT) | instid1(VALU_DEP_1)
	v_mul_f32_e32 v0, v180, v0
	v_and_b32_e32 v9, 0x7f800000, v0
	s_delay_alu instid0(VALU_DEP_1) | instskip(NEXT) | instid1(VALU_DEP_1)
	v_cmp_ne_u32_e64 s0, 0x7f800000, v9
                                        ; implicit-def: $vgpr9
                                        ; kill: killed $vgpr9
	s_and_saveexec_b32 s11, s0
	s_delay_alu instid0(SALU_CYCLE_1)
	s_xor_b32 s0, exec_lo, s11
	s_cbranch_execz .LBB189_113
; %bb.112:                              ;   in Loop: Header=BB189_38 Depth=1
	v_bfe_u32 v9, v0, 16, 1
	s_delay_alu instid0(VALU_DEP_1)
	v_add3_u32 v0, v0, v9, 0x7fff
	scratch_store_b32 off, v0, s32 offset:464 ; 4-byte Folded Spill
                                        ; implicit-def: $vgpr0
.LBB189_113:                            ;   in Loop: Header=BB189_38 Depth=1
	s_and_not1_saveexec_b32 s11, s0
	s_cbranch_execz .LBB189_115
; %bb.114:                              ;   in Loop: Header=BB189_38 Depth=1
	v_and_b32_e32 v9, 0xffff, v0
	v_or_b32_e32 v10, 0x10000, v0
	s_delay_alu instid0(VALU_DEP_2) | instskip(NEXT) | instid1(VALU_DEP_1)
	v_cmp_eq_u32_e64 s0, 0, v9
	v_cndmask_b32_e64 v0, v10, v0, s0
	scratch_store_b32 off, v0, s32 offset:464 ; 4-byte Folded Spill
.LBB189_115:                            ;   in Loop: Header=BB189_38 Depth=1
	s_or_b32 exec_lo, exec_lo, s11
	v_lshlrev_b32_e32 v0, 16, v1
	s_delay_alu instid0(VALU_DEP_1) | instskip(NEXT) | instid1(VALU_DEP_1)
	v_mul_f32_e32 v0, v181, v0
	v_and_b32_e32 v1, 0x7f800000, v0
	s_delay_alu instid0(VALU_DEP_1) | instskip(NEXT) | instid1(VALU_DEP_1)
	v_cmp_ne_u32_e64 s0, 0x7f800000, v1
                                        ; implicit-def: $vgpr1
                                        ; kill: killed $vgpr1
	s_and_saveexec_b32 s11, s0
	s_delay_alu instid0(SALU_CYCLE_1)
	s_xor_b32 s0, exec_lo, s11
	s_cbranch_execz .LBB189_117
; %bb.116:                              ;   in Loop: Header=BB189_38 Depth=1
	v_bfe_u32 v1, v0, 16, 1
	s_delay_alu instid0(VALU_DEP_1)
	v_add3_u32 v0, v0, v1, 0x7fff
	scratch_store_b32 off, v0, s32 offset:468 ; 4-byte Folded Spill
                                        ; implicit-def: $vgpr0
.LBB189_117:                            ;   in Loop: Header=BB189_38 Depth=1
	s_and_not1_saveexec_b32 s11, s0
	s_cbranch_execz .LBB189_119
; %bb.118:                              ;   in Loop: Header=BB189_38 Depth=1
	v_and_b32_e32 v1, 0xffff, v0
	v_or_b32_e32 v9, 0x10000, v0
	s_delay_alu instid0(VALU_DEP_2) | instskip(NEXT) | instid1(VALU_DEP_1)
	v_cmp_eq_u32_e64 s0, 0, v1
	v_cndmask_b32_e64 v0, v9, v0, s0
	scratch_store_b32 off, v0, s32 offset:468 ; 4-byte Folded Spill
.LBB189_119:                            ;   in Loop: Header=BB189_38 Depth=1
	s_or_b32 exec_lo, exec_lo, s11
	v_lshlrev_b32_e32 v0, 16, v8
	s_delay_alu instid0(VALU_DEP_1) | instskip(NEXT) | instid1(VALU_DEP_1)
	v_mul_f32_e32 v0, v182, v0
	v_and_b32_e32 v1, 0x7f800000, v0
	s_delay_alu instid0(VALU_DEP_1) | instskip(NEXT) | instid1(VALU_DEP_1)
	v_cmp_ne_u32_e64 s0, 0x7f800000, v1
                                        ; implicit-def: $vgpr1
                                        ; kill: killed $vgpr1
	;; [unrolled: 30-line block ×6, first 2 shown]
	s_and_saveexec_b32 s11, s0
	s_delay_alu instid0(SALU_CYCLE_1)
	s_xor_b32 s0, exec_lo, s11
	s_cbranch_execz .LBB189_137
; %bb.136:                              ;   in Loop: Header=BB189_38 Depth=1
	v_bfe_u32 v1, v0, 16, 1
	s_delay_alu instid0(VALU_DEP_1)
	v_add3_u32 v0, v0, v1, 0x7fff
	scratch_store_b32 off, v0, s32 offset:488 ; 4-byte Folded Spill
                                        ; implicit-def: $vgpr0
.LBB189_137:                            ;   in Loop: Header=BB189_38 Depth=1
	s_and_not1_saveexec_b32 s11, s0
	s_cbranch_execz .LBB189_139
; %bb.138:                              ;   in Loop: Header=BB189_38 Depth=1
	v_and_b32_e32 v1, 0xffff, v0
	v_or_b32_e32 v2, 0x10000, v0
	s_delay_alu instid0(VALU_DEP_2) | instskip(NEXT) | instid1(VALU_DEP_1)
	v_cmp_eq_u32_e64 s0, 0, v1
	v_cndmask_b32_e64 v0, v2, v0, s0
	scratch_store_b32 off, v0, s32 offset:488 ; 4-byte Folded Spill
.LBB189_139:                            ;   in Loop: Header=BB189_38 Depth=1
	s_or_b32 exec_lo, exec_lo, s11
	flat_load_b128 v[0:3], v[6:7] offset:1024
	s_waitcnt vmcnt(0) lgkmcnt(0)
	v_lshrrev_b32_e32 v9, 16, v0
	v_lshrrev_b32_e32 v8, 16, v1
	v_lshrrev_b32_e32 v5, 16, v2
	v_lshrrev_b32_e32 v4, 16, v3
	s_and_saveexec_b32 s11, vcc_lo
	s_cbranch_execz .LBB189_141
; %bb.140:                              ;   in Loop: Header=BB189_38 Depth=1
	v_cmp_lt_i32_e64 s0, v150, v96
	s_delay_alu instid0(VALU_DEP_1) | instskip(SKIP_1) | instid1(VALU_DEP_1)
	v_cndmask_b32_e64 v0, 0, v0, s0
	v_cmp_lt_i32_e64 s0, v176, v96
	v_cndmask_b32_e64 v9, 0, v9, s0
	v_cmp_lt_i32_e64 s0, v166, v96
	s_delay_alu instid0(VALU_DEP_1) | instskip(SKIP_1) | instid1(VALU_DEP_1)
	v_cndmask_b32_e64 v1, 0, v1, s0
	v_cmp_lt_i32_e64 s0, v165, v96
	v_cndmask_b32_e64 v8, 0, v8, s0
	;; [unrolled: 5-line block ×4, first 2 shown]
.LBB189_141:                            ;   in Loop: Header=BB189_38 Depth=1
	s_or_b32 exec_lo, exec_lo, s11
	v_lshlrev_b32_e32 v0, 16, v0
	s_delay_alu instid0(VALU_DEP_1) | instskip(NEXT) | instid1(VALU_DEP_1)
	v_mul_f32_e32 v0, v179, v0
	v_and_b32_e32 v10, 0x7f800000, v0
	s_delay_alu instid0(VALU_DEP_1) | instskip(NEXT) | instid1(VALU_DEP_1)
	v_cmp_ne_u32_e64 s0, 0x7f800000, v10
                                        ; implicit-def: $vgpr10
                                        ; kill: killed $vgpr10
	s_and_saveexec_b32 s11, s0
	s_delay_alu instid0(SALU_CYCLE_1)
	s_xor_b32 s0, exec_lo, s11
	s_cbranch_execz .LBB189_143
; %bb.142:                              ;   in Loop: Header=BB189_38 Depth=1
	v_bfe_u32 v10, v0, 16, 1
	s_delay_alu instid0(VALU_DEP_1)
	v_add3_u32 v0, v0, v10, 0x7fff
	scratch_store_b32 off, v0, s32 offset:492 ; 4-byte Folded Spill
                                        ; implicit-def: $vgpr0
.LBB189_143:                            ;   in Loop: Header=BB189_38 Depth=1
	s_and_not1_saveexec_b32 s11, s0
	s_cbranch_execz .LBB189_145
; %bb.144:                              ;   in Loop: Header=BB189_38 Depth=1
	v_and_b32_e32 v10, 0xffff, v0
	v_or_b32_e32 v11, 0x10000, v0
	s_delay_alu instid0(VALU_DEP_2) | instskip(NEXT) | instid1(VALU_DEP_1)
	v_cmp_eq_u32_e64 s0, 0, v10
	v_cndmask_b32_e64 v0, v11, v0, s0
	scratch_store_b32 off, v0, s32 offset:492 ; 4-byte Folded Spill
.LBB189_145:                            ;   in Loop: Header=BB189_38 Depth=1
	s_or_b32 exec_lo, exec_lo, s11
	v_lshlrev_b32_e32 v0, 16, v9
	s_delay_alu instid0(VALU_DEP_1) | instskip(NEXT) | instid1(VALU_DEP_1)
	v_mul_f32_e32 v0, v180, v0
	v_and_b32_e32 v9, 0x7f800000, v0
	s_delay_alu instid0(VALU_DEP_1) | instskip(NEXT) | instid1(VALU_DEP_1)
	v_cmp_ne_u32_e64 s0, 0x7f800000, v9
                                        ; implicit-def: $vgpr9
                                        ; kill: killed $vgpr9
	s_and_saveexec_b32 s11, s0
	s_delay_alu instid0(SALU_CYCLE_1)
	s_xor_b32 s0, exec_lo, s11
	s_cbranch_execz .LBB189_147
; %bb.146:                              ;   in Loop: Header=BB189_38 Depth=1
	v_bfe_u32 v9, v0, 16, 1
	s_delay_alu instid0(VALU_DEP_1)
	v_add3_u32 v0, v0, v9, 0x7fff
	scratch_store_b32 off, v0, s32 offset:496 ; 4-byte Folded Spill
                                        ; implicit-def: $vgpr0
.LBB189_147:                            ;   in Loop: Header=BB189_38 Depth=1
	s_and_not1_saveexec_b32 s11, s0
	s_cbranch_execz .LBB189_149
; %bb.148:                              ;   in Loop: Header=BB189_38 Depth=1
	v_and_b32_e32 v9, 0xffff, v0
	v_or_b32_e32 v10, 0x10000, v0
	s_delay_alu instid0(VALU_DEP_2) | instskip(NEXT) | instid1(VALU_DEP_1)
	v_cmp_eq_u32_e64 s0, 0, v9
	v_cndmask_b32_e64 v0, v10, v0, s0
	scratch_store_b32 off, v0, s32 offset:496 ; 4-byte Folded Spill
.LBB189_149:                            ;   in Loop: Header=BB189_38 Depth=1
	s_or_b32 exec_lo, exec_lo, s11
	v_lshlrev_b32_e32 v0, 16, v1
	s_delay_alu instid0(VALU_DEP_1) | instskip(NEXT) | instid1(VALU_DEP_1)
	v_mul_f32_e32 v0, v181, v0
	v_and_b32_e32 v1, 0x7f800000, v0
	s_delay_alu instid0(VALU_DEP_1) | instskip(NEXT) | instid1(VALU_DEP_1)
	v_cmp_ne_u32_e64 s0, 0x7f800000, v1
                                        ; implicit-def: $vgpr1
                                        ; kill: killed $vgpr1
	s_and_saveexec_b32 s11, s0
	s_delay_alu instid0(SALU_CYCLE_1)
	s_xor_b32 s0, exec_lo, s11
	s_cbranch_execz .LBB189_151
; %bb.150:                              ;   in Loop: Header=BB189_38 Depth=1
	v_bfe_u32 v1, v0, 16, 1
	s_delay_alu instid0(VALU_DEP_1)
	v_add3_u32 v0, v0, v1, 0x7fff
	scratch_store_b32 off, v0, s32 offset:500 ; 4-byte Folded Spill
                                        ; implicit-def: $vgpr0
.LBB189_151:                            ;   in Loop: Header=BB189_38 Depth=1
	s_and_not1_saveexec_b32 s11, s0
	s_cbranch_execz .LBB189_153
; %bb.152:                              ;   in Loop: Header=BB189_38 Depth=1
	v_and_b32_e32 v1, 0xffff, v0
	v_or_b32_e32 v9, 0x10000, v0
	s_delay_alu instid0(VALU_DEP_2) | instskip(NEXT) | instid1(VALU_DEP_1)
	v_cmp_eq_u32_e64 s0, 0, v1
	v_cndmask_b32_e64 v0, v9, v0, s0
	scratch_store_b32 off, v0, s32 offset:500 ; 4-byte Folded Spill
.LBB189_153:                            ;   in Loop: Header=BB189_38 Depth=1
	s_or_b32 exec_lo, exec_lo, s11
	v_lshlrev_b32_e32 v0, 16, v8
	s_delay_alu instid0(VALU_DEP_1) | instskip(NEXT) | instid1(VALU_DEP_1)
	v_mul_f32_e32 v0, v182, v0
	v_and_b32_e32 v1, 0x7f800000, v0
	s_delay_alu instid0(VALU_DEP_1) | instskip(NEXT) | instid1(VALU_DEP_1)
	v_cmp_ne_u32_e64 s0, 0x7f800000, v1
                                        ; implicit-def: $vgpr1
                                        ; kill: killed $vgpr1
	;; [unrolled: 30-line block ×6, first 2 shown]
	s_and_saveexec_b32 s11, s0
	s_delay_alu instid0(SALU_CYCLE_1)
	s_xor_b32 s0, exec_lo, s11
	s_cbranch_execz .LBB189_171
; %bb.170:                              ;   in Loop: Header=BB189_38 Depth=1
	v_bfe_u32 v1, v0, 16, 1
	s_delay_alu instid0(VALU_DEP_1)
	v_add3_u32 v0, v0, v1, 0x7fff
	scratch_store_b32 off, v0, s32 offset:520 ; 4-byte Folded Spill
                                        ; implicit-def: $vgpr0
.LBB189_171:                            ;   in Loop: Header=BB189_38 Depth=1
	s_and_not1_saveexec_b32 s11, s0
	s_cbranch_execz .LBB189_173
; %bb.172:                              ;   in Loop: Header=BB189_38 Depth=1
	v_and_b32_e32 v1, 0xffff, v0
	v_or_b32_e32 v2, 0x10000, v0
	s_delay_alu instid0(VALU_DEP_2) | instskip(NEXT) | instid1(VALU_DEP_1)
	v_cmp_eq_u32_e64 s0, 0, v1
	v_cndmask_b32_e64 v0, v2, v0, s0
	scratch_store_b32 off, v0, s32 offset:520 ; 4-byte Folded Spill
.LBB189_173:                            ;   in Loop: Header=BB189_38 Depth=1
	s_or_b32 exec_lo, exec_lo, s11
	flat_load_b128 v[0:3], v[6:7] offset:1536
	s_waitcnt vmcnt(0) lgkmcnt(0)
	v_lshrrev_b32_e32 v9, 16, v0
	v_lshrrev_b32_e32 v8, 16, v1
	;; [unrolled: 1-line block ×4, first 2 shown]
	s_and_saveexec_b32 s11, vcc_lo
	s_cbranch_execz .LBB189_175
; %bb.174:                              ;   in Loop: Header=BB189_38 Depth=1
	v_cmp_lt_i32_e64 s0, v150, v96
	s_delay_alu instid0(VALU_DEP_1) | instskip(SKIP_1) | instid1(VALU_DEP_1)
	v_cndmask_b32_e64 v0, 0, v0, s0
	v_cmp_lt_i32_e64 s0, v176, v96
	v_cndmask_b32_e64 v9, 0, v9, s0
	v_cmp_lt_i32_e64 s0, v166, v96
	s_delay_alu instid0(VALU_DEP_1) | instskip(SKIP_1) | instid1(VALU_DEP_1)
	v_cndmask_b32_e64 v1, 0, v1, s0
	v_cmp_lt_i32_e64 s0, v165, v96
	v_cndmask_b32_e64 v8, 0, v8, s0
	;; [unrolled: 5-line block ×4, first 2 shown]
.LBB189_175:                            ;   in Loop: Header=BB189_38 Depth=1
	s_or_b32 exec_lo, exec_lo, s11
	v_lshlrev_b32_e32 v0, 16, v0
                                        ; implicit-def: $vgpr160
	s_delay_alu instid0(VALU_DEP_1) | instskip(NEXT) | instid1(VALU_DEP_1)
	v_mul_f32_e32 v0, v179, v0
	v_and_b32_e32 v10, 0x7f800000, v0
	s_delay_alu instid0(VALU_DEP_1) | instskip(NEXT) | instid1(VALU_DEP_1)
	v_cmp_ne_u32_e64 s0, 0x7f800000, v10
	s_and_saveexec_b32 s11, s0
	s_delay_alu instid0(SALU_CYCLE_1)
	s_xor_b32 s0, exec_lo, s11
; %bb.176:                              ;   in Loop: Header=BB189_38 Depth=1
	v_bfe_u32 v10, v0, 16, 1
	s_delay_alu instid0(VALU_DEP_1)
	v_add3_u32 v160, v0, v10, 0x7fff
                                        ; implicit-def: $vgpr0
; %bb.177:                              ;   in Loop: Header=BB189_38 Depth=1
	s_and_not1_saveexec_b32 s11, s0
; %bb.178:                              ;   in Loop: Header=BB189_38 Depth=1
	v_and_b32_e32 v10, 0xffff, v0
	v_or_b32_e32 v11, 0x10000, v0
	s_delay_alu instid0(VALU_DEP_2) | instskip(NEXT) | instid1(VALU_DEP_1)
	v_cmp_eq_u32_e64 s0, 0, v10
	v_cndmask_b32_e64 v160, v11, v0, s0
; %bb.179:                              ;   in Loop: Header=BB189_38 Depth=1
	s_or_b32 exec_lo, exec_lo, s11
	v_lshlrev_b32_e32 v0, 16, v9
                                        ; implicit-def: $vgpr167
	s_delay_alu instid0(VALU_DEP_1) | instskip(NEXT) | instid1(VALU_DEP_1)
	v_mul_f32_e32 v0, v180, v0
	v_and_b32_e32 v9, 0x7f800000, v0
	s_delay_alu instid0(VALU_DEP_1) | instskip(NEXT) | instid1(VALU_DEP_1)
	v_cmp_ne_u32_e64 s0, 0x7f800000, v9
	s_and_saveexec_b32 s11, s0
	s_delay_alu instid0(SALU_CYCLE_1)
	s_xor_b32 s0, exec_lo, s11
; %bb.180:                              ;   in Loop: Header=BB189_38 Depth=1
	v_bfe_u32 v9, v0, 16, 1
	s_delay_alu instid0(VALU_DEP_1)
	v_add3_u32 v167, v0, v9, 0x7fff
                                        ; implicit-def: $vgpr0
; %bb.181:                              ;   in Loop: Header=BB189_38 Depth=1
	s_and_not1_saveexec_b32 s11, s0
; %bb.182:                              ;   in Loop: Header=BB189_38 Depth=1
	v_and_b32_e32 v9, 0xffff, v0
	v_or_b32_e32 v10, 0x10000, v0
	s_delay_alu instid0(VALU_DEP_2) | instskip(NEXT) | instid1(VALU_DEP_1)
	v_cmp_eq_u32_e64 s0, 0, v9
	v_cndmask_b32_e64 v167, v10, v0, s0
; %bb.183:                              ;   in Loop: Header=BB189_38 Depth=1
	s_or_b32 exec_lo, exec_lo, s11
	v_lshlrev_b32_e32 v0, 16, v1
                                        ; implicit-def: $vgpr41
	s_delay_alu instid0(VALU_DEP_1) | instskip(NEXT) | instid1(VALU_DEP_1)
	v_mul_f32_e32 v0, v181, v0
	v_and_b32_e32 v1, 0x7f800000, v0
	s_delay_alu instid0(VALU_DEP_1) | instskip(NEXT) | instid1(VALU_DEP_1)
	v_cmp_ne_u32_e64 s0, 0x7f800000, v1
	s_and_saveexec_b32 s11, s0
	s_delay_alu instid0(SALU_CYCLE_1)
	s_xor_b32 s0, exec_lo, s11
; %bb.184:                              ;   in Loop: Header=BB189_38 Depth=1
	v_bfe_u32 v1, v0, 16, 1
	s_delay_alu instid0(VALU_DEP_1)
	v_add3_u32 v41, v0, v1, 0x7fff
                                        ; implicit-def: $vgpr0
; %bb.185:                              ;   in Loop: Header=BB189_38 Depth=1
	s_and_not1_saveexec_b32 s11, s0
; %bb.186:                              ;   in Loop: Header=BB189_38 Depth=1
	v_and_b32_e32 v1, 0xffff, v0
	v_or_b32_e32 v9, 0x10000, v0
	s_delay_alu instid0(VALU_DEP_2) | instskip(NEXT) | instid1(VALU_DEP_1)
	v_cmp_eq_u32_e64 s0, 0, v1
	v_cndmask_b32_e64 v41, v9, v0, s0
; %bb.187:                              ;   in Loop: Header=BB189_38 Depth=1
	s_or_b32 exec_lo, exec_lo, s11
	v_lshlrev_b32_e32 v0, 16, v8
                                        ; implicit-def: $vgpr44
	s_delay_alu instid0(VALU_DEP_1) | instskip(NEXT) | instid1(VALU_DEP_1)
	v_mul_f32_e32 v0, v182, v0
	v_and_b32_e32 v1, 0x7f800000, v0
	s_delay_alu instid0(VALU_DEP_1) | instskip(NEXT) | instid1(VALU_DEP_1)
	v_cmp_ne_u32_e64 s0, 0x7f800000, v1
	s_and_saveexec_b32 s11, s0
	s_delay_alu instid0(SALU_CYCLE_1)
	s_xor_b32 s0, exec_lo, s11
; %bb.188:                              ;   in Loop: Header=BB189_38 Depth=1
	v_bfe_u32 v1, v0, 16, 1
	s_delay_alu instid0(VALU_DEP_1)
	v_add3_u32 v44, v0, v1, 0x7fff
                                        ; implicit-def: $vgpr0
; %bb.189:                              ;   in Loop: Header=BB189_38 Depth=1
	s_and_not1_saveexec_b32 s11, s0
; %bb.190:                              ;   in Loop: Header=BB189_38 Depth=1
	v_and_b32_e32 v1, 0xffff, v0
	v_or_b32_e32 v8, 0x10000, v0
	s_delay_alu instid0(VALU_DEP_2) | instskip(NEXT) | instid1(VALU_DEP_1)
	v_cmp_eq_u32_e64 s0, 0, v1
	v_cndmask_b32_e64 v44, v8, v0, s0
; %bb.191:                              ;   in Loop: Header=BB189_38 Depth=1
	s_or_b32 exec_lo, exec_lo, s11
	v_lshlrev_b32_e32 v0, 16, v2
                                        ; implicit-def: $vgpr46
	s_delay_alu instid0(VALU_DEP_1) | instskip(NEXT) | instid1(VALU_DEP_1)
	v_mul_f32_e32 v0, v183, v0
	v_and_b32_e32 v1, 0x7f800000, v0
	s_delay_alu instid0(VALU_DEP_1) | instskip(NEXT) | instid1(VALU_DEP_1)
	v_cmp_ne_u32_e64 s0, 0x7f800000, v1
	s_and_saveexec_b32 s11, s0
	s_delay_alu instid0(SALU_CYCLE_1)
	s_xor_b32 s0, exec_lo, s11
; %bb.192:                              ;   in Loop: Header=BB189_38 Depth=1
	v_bfe_u32 v1, v0, 16, 1
	s_delay_alu instid0(VALU_DEP_1)
	v_add3_u32 v46, v0, v1, 0x7fff
                                        ; implicit-def: $vgpr0
; %bb.193:                              ;   in Loop: Header=BB189_38 Depth=1
	s_and_not1_saveexec_b32 s11, s0
; %bb.194:                              ;   in Loop: Header=BB189_38 Depth=1
	v_and_b32_e32 v1, 0xffff, v0
	v_or_b32_e32 v2, 0x10000, v0
	s_delay_alu instid0(VALU_DEP_2) | instskip(NEXT) | instid1(VALU_DEP_1)
	v_cmp_eq_u32_e64 s0, 0, v1
	v_cndmask_b32_e64 v46, v2, v0, s0
; %bb.195:                              ;   in Loop: Header=BB189_38 Depth=1
	s_or_b32 exec_lo, exec_lo, s11
	v_lshlrev_b32_e32 v0, 16, v5
                                        ; implicit-def: $vgpr56
	s_delay_alu instid0(VALU_DEP_1) | instskip(NEXT) | instid1(VALU_DEP_1)
	v_mul_f32_e32 v0, v40, v0
	v_and_b32_e32 v1, 0x7f800000, v0
	s_delay_alu instid0(VALU_DEP_1) | instskip(NEXT) | instid1(VALU_DEP_1)
	v_cmp_ne_u32_e64 s0, 0x7f800000, v1
	s_and_saveexec_b32 s11, s0
	s_delay_alu instid0(SALU_CYCLE_1)
	s_xor_b32 s0, exec_lo, s11
; %bb.196:                              ;   in Loop: Header=BB189_38 Depth=1
	v_bfe_u32 v1, v0, 16, 1
	s_delay_alu instid0(VALU_DEP_1)
	v_add3_u32 v56, v0, v1, 0x7fff
                                        ; implicit-def: $vgpr0
; %bb.197:                              ;   in Loop: Header=BB189_38 Depth=1
	s_and_not1_saveexec_b32 s11, s0
; %bb.198:                              ;   in Loop: Header=BB189_38 Depth=1
	v_and_b32_e32 v1, 0xffff, v0
	v_or_b32_e32 v2, 0x10000, v0
	s_delay_alu instid0(VALU_DEP_2) | instskip(NEXT) | instid1(VALU_DEP_1)
	v_cmp_eq_u32_e64 s0, 0, v1
	v_cndmask_b32_e64 v56, v2, v0, s0
; %bb.199:                              ;   in Loop: Header=BB189_38 Depth=1
	s_or_b32 exec_lo, exec_lo, s11
	v_lshlrev_b32_e32 v0, 16, v3
                                        ; implicit-def: $vgpr45
	s_delay_alu instid0(VALU_DEP_1) | instskip(NEXT) | instid1(VALU_DEP_1)
	v_mul_f32_e32 v0, v42, v0
	v_and_b32_e32 v1, 0x7f800000, v0
	s_delay_alu instid0(VALU_DEP_1) | instskip(NEXT) | instid1(VALU_DEP_1)
	v_cmp_ne_u32_e64 s0, 0x7f800000, v1
	s_and_saveexec_b32 s11, s0
	s_delay_alu instid0(SALU_CYCLE_1)
	s_xor_b32 s0, exec_lo, s11
; %bb.200:                              ;   in Loop: Header=BB189_38 Depth=1
	v_bfe_u32 v1, v0, 16, 1
	s_delay_alu instid0(VALU_DEP_1)
	v_add3_u32 v45, v0, v1, 0x7fff
                                        ; implicit-def: $vgpr0
; %bb.201:                              ;   in Loop: Header=BB189_38 Depth=1
	s_and_not1_saveexec_b32 s11, s0
; %bb.202:                              ;   in Loop: Header=BB189_38 Depth=1
	v_and_b32_e32 v1, 0xffff, v0
	v_or_b32_e32 v2, 0x10000, v0
	s_delay_alu instid0(VALU_DEP_2) | instskip(NEXT) | instid1(VALU_DEP_1)
	v_cmp_eq_u32_e64 s0, 0, v1
	v_cndmask_b32_e64 v45, v2, v0, s0
; %bb.203:                              ;   in Loop: Header=BB189_38 Depth=1
	s_or_b32 exec_lo, exec_lo, s11
	v_lshlrev_b32_e32 v0, 16, v4
                                        ; implicit-def: $vgpr47
	s_delay_alu instid0(VALU_DEP_1) | instskip(NEXT) | instid1(VALU_DEP_1)
	v_mul_f32_e32 v0, v43, v0
	v_and_b32_e32 v1, 0x7f800000, v0
	s_delay_alu instid0(VALU_DEP_1) | instskip(NEXT) | instid1(VALU_DEP_1)
	v_cmp_ne_u32_e64 s0, 0x7f800000, v1
	s_and_saveexec_b32 s11, s0
	s_delay_alu instid0(SALU_CYCLE_1)
	s_xor_b32 s0, exec_lo, s11
; %bb.204:                              ;   in Loop: Header=BB189_38 Depth=1
	v_bfe_u32 v1, v0, 16, 1
	s_delay_alu instid0(VALU_DEP_1)
	v_add3_u32 v47, v0, v1, 0x7fff
                                        ; implicit-def: $vgpr0
; %bb.205:                              ;   in Loop: Header=BB189_38 Depth=1
	s_and_not1_saveexec_b32 s11, s0
; %bb.206:                              ;   in Loop: Header=BB189_38 Depth=1
	v_and_b32_e32 v1, 0xffff, v0
	v_or_b32_e32 v2, 0x10000, v0
	s_delay_alu instid0(VALU_DEP_2) | instskip(NEXT) | instid1(VALU_DEP_1)
	v_cmp_eq_u32_e64 s0, 0, v1
	v_cndmask_b32_e64 v47, v2, v0, s0
; %bb.207:                              ;   in Loop: Header=BB189_38 Depth=1
	s_or_b32 exec_lo, exec_lo, s11
	flat_load_b128 v[0:3], v[6:7] offset:2048
	s_waitcnt vmcnt(0) lgkmcnt(0)
	v_lshrrev_b32_e32 v9, 16, v0
	v_lshrrev_b32_e32 v8, 16, v1
	;; [unrolled: 1-line block ×4, first 2 shown]
	s_and_saveexec_b32 s11, vcc_lo
	s_cbranch_execz .LBB189_209
; %bb.208:                              ;   in Loop: Header=BB189_38 Depth=1
	v_cmp_lt_i32_e64 s0, v150, v96
	s_delay_alu instid0(VALU_DEP_1) | instskip(SKIP_1) | instid1(VALU_DEP_1)
	v_cndmask_b32_e64 v0, 0, v0, s0
	v_cmp_lt_i32_e64 s0, v176, v96
	v_cndmask_b32_e64 v9, 0, v9, s0
	v_cmp_lt_i32_e64 s0, v166, v96
	s_delay_alu instid0(VALU_DEP_1) | instskip(SKIP_1) | instid1(VALU_DEP_1)
	v_cndmask_b32_e64 v1, 0, v1, s0
	v_cmp_lt_i32_e64 s0, v165, v96
	v_cndmask_b32_e64 v8, 0, v8, s0
	;; [unrolled: 5-line block ×4, first 2 shown]
.LBB189_209:                            ;   in Loop: Header=BB189_38 Depth=1
	s_or_b32 exec_lo, exec_lo, s11
	v_lshlrev_b32_e32 v0, 16, v0
                                        ; implicit-def: $vgpr57
	s_delay_alu instid0(VALU_DEP_1) | instskip(NEXT) | instid1(VALU_DEP_1)
	v_mul_f32_e32 v0, v179, v0
	v_and_b32_e32 v10, 0x7f800000, v0
	s_delay_alu instid0(VALU_DEP_1) | instskip(NEXT) | instid1(VALU_DEP_1)
	v_cmp_ne_u32_e64 s0, 0x7f800000, v10
	s_and_saveexec_b32 s11, s0
	s_delay_alu instid0(SALU_CYCLE_1)
	s_xor_b32 s0, exec_lo, s11
; %bb.210:                              ;   in Loop: Header=BB189_38 Depth=1
	v_bfe_u32 v10, v0, 16, 1
	s_delay_alu instid0(VALU_DEP_1)
	v_add3_u32 v57, v0, v10, 0x7fff
                                        ; implicit-def: $vgpr0
; %bb.211:                              ;   in Loop: Header=BB189_38 Depth=1
	s_and_not1_saveexec_b32 s11, s0
; %bb.212:                              ;   in Loop: Header=BB189_38 Depth=1
	v_and_b32_e32 v10, 0xffff, v0
	v_or_b32_e32 v11, 0x10000, v0
	s_delay_alu instid0(VALU_DEP_2) | instskip(NEXT) | instid1(VALU_DEP_1)
	v_cmp_eq_u32_e64 s0, 0, v10
	v_cndmask_b32_e64 v57, v11, v0, s0
; %bb.213:                              ;   in Loop: Header=BB189_38 Depth=1
	s_or_b32 exec_lo, exec_lo, s11
	v_lshlrev_b32_e32 v0, 16, v9
                                        ; implicit-def: $vgpr58
	s_delay_alu instid0(VALU_DEP_1) | instskip(NEXT) | instid1(VALU_DEP_1)
	v_mul_f32_e32 v0, v180, v0
	v_and_b32_e32 v9, 0x7f800000, v0
	s_delay_alu instid0(VALU_DEP_1) | instskip(NEXT) | instid1(VALU_DEP_1)
	v_cmp_ne_u32_e64 s0, 0x7f800000, v9
	s_and_saveexec_b32 s11, s0
	s_delay_alu instid0(SALU_CYCLE_1)
	s_xor_b32 s0, exec_lo, s11
; %bb.214:                              ;   in Loop: Header=BB189_38 Depth=1
	v_bfe_u32 v9, v0, 16, 1
	s_delay_alu instid0(VALU_DEP_1)
	v_add3_u32 v58, v0, v9, 0x7fff
                                        ; implicit-def: $vgpr0
; %bb.215:                              ;   in Loop: Header=BB189_38 Depth=1
	s_and_not1_saveexec_b32 s11, s0
; %bb.216:                              ;   in Loop: Header=BB189_38 Depth=1
	v_and_b32_e32 v9, 0xffff, v0
	v_or_b32_e32 v10, 0x10000, v0
	s_delay_alu instid0(VALU_DEP_2) | instskip(NEXT) | instid1(VALU_DEP_1)
	v_cmp_eq_u32_e64 s0, 0, v9
	v_cndmask_b32_e64 v58, v10, v0, s0
; %bb.217:                              ;   in Loop: Header=BB189_38 Depth=1
	s_or_b32 exec_lo, exec_lo, s11
	v_lshlrev_b32_e32 v0, 16, v1
                                        ; implicit-def: $vgpr59
	s_delay_alu instid0(VALU_DEP_1) | instskip(NEXT) | instid1(VALU_DEP_1)
	v_mul_f32_e32 v0, v181, v0
	v_and_b32_e32 v1, 0x7f800000, v0
	s_delay_alu instid0(VALU_DEP_1) | instskip(NEXT) | instid1(VALU_DEP_1)
	v_cmp_ne_u32_e64 s0, 0x7f800000, v1
	s_and_saveexec_b32 s11, s0
	s_delay_alu instid0(SALU_CYCLE_1)
	s_xor_b32 s0, exec_lo, s11
; %bb.218:                              ;   in Loop: Header=BB189_38 Depth=1
	v_bfe_u32 v1, v0, 16, 1
	s_delay_alu instid0(VALU_DEP_1)
	v_add3_u32 v59, v0, v1, 0x7fff
                                        ; implicit-def: $vgpr0
; %bb.219:                              ;   in Loop: Header=BB189_38 Depth=1
	s_and_not1_saveexec_b32 s11, s0
; %bb.220:                              ;   in Loop: Header=BB189_38 Depth=1
	v_and_b32_e32 v1, 0xffff, v0
	v_or_b32_e32 v9, 0x10000, v0
	s_delay_alu instid0(VALU_DEP_2) | instskip(NEXT) | instid1(VALU_DEP_1)
	v_cmp_eq_u32_e64 s0, 0, v1
	v_cndmask_b32_e64 v59, v9, v0, s0
; %bb.221:                              ;   in Loop: Header=BB189_38 Depth=1
	s_or_b32 exec_lo, exec_lo, s11
	v_lshlrev_b32_e32 v0, 16, v8
                                        ; implicit-def: $vgpr60
	s_delay_alu instid0(VALU_DEP_1) | instskip(NEXT) | instid1(VALU_DEP_1)
	v_mul_f32_e32 v0, v182, v0
	v_and_b32_e32 v1, 0x7f800000, v0
	s_delay_alu instid0(VALU_DEP_1) | instskip(NEXT) | instid1(VALU_DEP_1)
	v_cmp_ne_u32_e64 s0, 0x7f800000, v1
	s_and_saveexec_b32 s11, s0
	s_delay_alu instid0(SALU_CYCLE_1)
	s_xor_b32 s0, exec_lo, s11
; %bb.222:                              ;   in Loop: Header=BB189_38 Depth=1
	v_bfe_u32 v1, v0, 16, 1
	s_delay_alu instid0(VALU_DEP_1)
	v_add3_u32 v60, v0, v1, 0x7fff
                                        ; implicit-def: $vgpr0
; %bb.223:                              ;   in Loop: Header=BB189_38 Depth=1
	s_and_not1_saveexec_b32 s11, s0
; %bb.224:                              ;   in Loop: Header=BB189_38 Depth=1
	v_and_b32_e32 v1, 0xffff, v0
	v_or_b32_e32 v8, 0x10000, v0
	s_delay_alu instid0(VALU_DEP_2) | instskip(NEXT) | instid1(VALU_DEP_1)
	v_cmp_eq_u32_e64 s0, 0, v1
	v_cndmask_b32_e64 v60, v8, v0, s0
; %bb.225:                              ;   in Loop: Header=BB189_38 Depth=1
	s_or_b32 exec_lo, exec_lo, s11
	v_lshlrev_b32_e32 v0, 16, v2
                                        ; implicit-def: $vgpr61
	s_delay_alu instid0(VALU_DEP_1) | instskip(NEXT) | instid1(VALU_DEP_1)
	v_mul_f32_e32 v0, v183, v0
	v_and_b32_e32 v1, 0x7f800000, v0
	s_delay_alu instid0(VALU_DEP_1) | instskip(NEXT) | instid1(VALU_DEP_1)
	v_cmp_ne_u32_e64 s0, 0x7f800000, v1
	s_and_saveexec_b32 s11, s0
	s_delay_alu instid0(SALU_CYCLE_1)
	s_xor_b32 s0, exec_lo, s11
; %bb.226:                              ;   in Loop: Header=BB189_38 Depth=1
	v_bfe_u32 v1, v0, 16, 1
	s_delay_alu instid0(VALU_DEP_1)
	v_add3_u32 v61, v0, v1, 0x7fff
                                        ; implicit-def: $vgpr0
; %bb.227:                              ;   in Loop: Header=BB189_38 Depth=1
	s_and_not1_saveexec_b32 s11, s0
; %bb.228:                              ;   in Loop: Header=BB189_38 Depth=1
	v_and_b32_e32 v1, 0xffff, v0
	v_or_b32_e32 v2, 0x10000, v0
	s_delay_alu instid0(VALU_DEP_2) | instskip(NEXT) | instid1(VALU_DEP_1)
	v_cmp_eq_u32_e64 s0, 0, v1
	v_cndmask_b32_e64 v61, v2, v0, s0
; %bb.229:                              ;   in Loop: Header=BB189_38 Depth=1
	s_or_b32 exec_lo, exec_lo, s11
	v_lshlrev_b32_e32 v0, 16, v5
                                        ; implicit-def: $vgpr62
	s_delay_alu instid0(VALU_DEP_1) | instskip(NEXT) | instid1(VALU_DEP_1)
	v_mul_f32_e32 v0, v40, v0
	v_and_b32_e32 v1, 0x7f800000, v0
	s_delay_alu instid0(VALU_DEP_1) | instskip(NEXT) | instid1(VALU_DEP_1)
	v_cmp_ne_u32_e64 s0, 0x7f800000, v1
	s_and_saveexec_b32 s11, s0
	s_delay_alu instid0(SALU_CYCLE_1)
	s_xor_b32 s0, exec_lo, s11
; %bb.230:                              ;   in Loop: Header=BB189_38 Depth=1
	v_bfe_u32 v1, v0, 16, 1
	s_delay_alu instid0(VALU_DEP_1)
	v_add3_u32 v62, v0, v1, 0x7fff
                                        ; implicit-def: $vgpr0
; %bb.231:                              ;   in Loop: Header=BB189_38 Depth=1
	s_and_not1_saveexec_b32 s11, s0
; %bb.232:                              ;   in Loop: Header=BB189_38 Depth=1
	v_and_b32_e32 v1, 0xffff, v0
	v_or_b32_e32 v2, 0x10000, v0
	s_delay_alu instid0(VALU_DEP_2) | instskip(NEXT) | instid1(VALU_DEP_1)
	v_cmp_eq_u32_e64 s0, 0, v1
	v_cndmask_b32_e64 v62, v2, v0, s0
; %bb.233:                              ;   in Loop: Header=BB189_38 Depth=1
	s_or_b32 exec_lo, exec_lo, s11
	v_lshlrev_b32_e32 v0, 16, v3
                                        ; implicit-def: $vgpr63
	s_delay_alu instid0(VALU_DEP_1) | instskip(NEXT) | instid1(VALU_DEP_1)
	v_mul_f32_e32 v0, v42, v0
	v_and_b32_e32 v1, 0x7f800000, v0
	s_delay_alu instid0(VALU_DEP_1) | instskip(NEXT) | instid1(VALU_DEP_1)
	v_cmp_ne_u32_e64 s0, 0x7f800000, v1
	s_and_saveexec_b32 s11, s0
	s_delay_alu instid0(SALU_CYCLE_1)
	s_xor_b32 s0, exec_lo, s11
; %bb.234:                              ;   in Loop: Header=BB189_38 Depth=1
	v_bfe_u32 v1, v0, 16, 1
	s_delay_alu instid0(VALU_DEP_1)
	v_add3_u32 v63, v0, v1, 0x7fff
                                        ; implicit-def: $vgpr0
; %bb.235:                              ;   in Loop: Header=BB189_38 Depth=1
	s_and_not1_saveexec_b32 s11, s0
; %bb.236:                              ;   in Loop: Header=BB189_38 Depth=1
	v_and_b32_e32 v1, 0xffff, v0
	v_or_b32_e32 v2, 0x10000, v0
	s_delay_alu instid0(VALU_DEP_2) | instskip(NEXT) | instid1(VALU_DEP_1)
	v_cmp_eq_u32_e64 s0, 0, v1
	v_cndmask_b32_e64 v63, v2, v0, s0
; %bb.237:                              ;   in Loop: Header=BB189_38 Depth=1
	s_or_b32 exec_lo, exec_lo, s11
	v_lshlrev_b32_e32 v0, 16, v4
                                        ; implicit-def: $vgpr72
	s_delay_alu instid0(VALU_DEP_1) | instskip(NEXT) | instid1(VALU_DEP_1)
	v_mul_f32_e32 v0, v43, v0
	v_and_b32_e32 v1, 0x7f800000, v0
	s_delay_alu instid0(VALU_DEP_1) | instskip(NEXT) | instid1(VALU_DEP_1)
	v_cmp_ne_u32_e64 s0, 0x7f800000, v1
	s_and_saveexec_b32 s11, s0
	s_delay_alu instid0(SALU_CYCLE_1)
	s_xor_b32 s0, exec_lo, s11
; %bb.238:                              ;   in Loop: Header=BB189_38 Depth=1
	v_bfe_u32 v1, v0, 16, 1
	s_delay_alu instid0(VALU_DEP_1)
	v_add3_u32 v72, v0, v1, 0x7fff
                                        ; implicit-def: $vgpr0
; %bb.239:                              ;   in Loop: Header=BB189_38 Depth=1
	s_and_not1_saveexec_b32 s11, s0
; %bb.240:                              ;   in Loop: Header=BB189_38 Depth=1
	v_and_b32_e32 v1, 0xffff, v0
	v_or_b32_e32 v2, 0x10000, v0
	s_delay_alu instid0(VALU_DEP_2) | instskip(NEXT) | instid1(VALU_DEP_1)
	v_cmp_eq_u32_e64 s0, 0, v1
	v_cndmask_b32_e64 v72, v2, v0, s0
; %bb.241:                              ;   in Loop: Header=BB189_38 Depth=1
	s_or_b32 exec_lo, exec_lo, s11
	flat_load_b128 v[0:3], v[6:7] offset:2560
	s_waitcnt vmcnt(0) lgkmcnt(0)
	v_lshrrev_b32_e32 v9, 16, v0
	v_lshrrev_b32_e32 v8, 16, v1
	;; [unrolled: 1-line block ×4, first 2 shown]
	s_and_saveexec_b32 s11, vcc_lo
	s_cbranch_execz .LBB189_243
; %bb.242:                              ;   in Loop: Header=BB189_38 Depth=1
	v_cmp_lt_i32_e64 s0, v150, v96
	s_delay_alu instid0(VALU_DEP_1) | instskip(SKIP_1) | instid1(VALU_DEP_1)
	v_cndmask_b32_e64 v0, 0, v0, s0
	v_cmp_lt_i32_e64 s0, v176, v96
	v_cndmask_b32_e64 v9, 0, v9, s0
	v_cmp_lt_i32_e64 s0, v166, v96
	s_delay_alu instid0(VALU_DEP_1) | instskip(SKIP_1) | instid1(VALU_DEP_1)
	v_cndmask_b32_e64 v1, 0, v1, s0
	v_cmp_lt_i32_e64 s0, v165, v96
	v_cndmask_b32_e64 v8, 0, v8, s0
	v_cmp_lt_i32_e64 s0, v164, v96
	s_delay_alu instid0(VALU_DEP_1) | instskip(SKIP_1) | instid1(VALU_DEP_1)
	v_cndmask_b32_e64 v2, 0, v2, s0
	v_cmp_lt_i32_e64 s0, v162, v96
	v_cndmask_b32_e64 v5, 0, v5, s0
	v_cmp_lt_i32_e64 s0, v161, v96
	s_delay_alu instid0(VALU_DEP_1) | instskip(SKIP_1) | instid1(VALU_DEP_1)
	v_cndmask_b32_e64 v3, 0, v3, s0
	v_cmp_lt_i32_e64 s0, v163, v96
	v_cndmask_b32_e64 v4, 0, v4, s0
.LBB189_243:                            ;   in Loop: Header=BB189_38 Depth=1
	s_or_b32 exec_lo, exec_lo, s11
	v_lshlrev_b32_e32 v0, 16, v0
                                        ; implicit-def: $vgpr73
	s_delay_alu instid0(VALU_DEP_1) | instskip(NEXT) | instid1(VALU_DEP_1)
	v_mul_f32_e32 v0, v179, v0
	v_and_b32_e32 v10, 0x7f800000, v0
	s_delay_alu instid0(VALU_DEP_1) | instskip(NEXT) | instid1(VALU_DEP_1)
	v_cmp_ne_u32_e64 s0, 0x7f800000, v10
	s_and_saveexec_b32 s11, s0
	s_delay_alu instid0(SALU_CYCLE_1)
	s_xor_b32 s0, exec_lo, s11
; %bb.244:                              ;   in Loop: Header=BB189_38 Depth=1
	v_bfe_u32 v10, v0, 16, 1
	s_delay_alu instid0(VALU_DEP_1)
	v_add3_u32 v73, v0, v10, 0x7fff
                                        ; implicit-def: $vgpr0
; %bb.245:                              ;   in Loop: Header=BB189_38 Depth=1
	s_and_not1_saveexec_b32 s11, s0
; %bb.246:                              ;   in Loop: Header=BB189_38 Depth=1
	v_and_b32_e32 v10, 0xffff, v0
	v_or_b32_e32 v11, 0x10000, v0
	s_delay_alu instid0(VALU_DEP_2) | instskip(NEXT) | instid1(VALU_DEP_1)
	v_cmp_eq_u32_e64 s0, 0, v10
	v_cndmask_b32_e64 v73, v11, v0, s0
; %bb.247:                              ;   in Loop: Header=BB189_38 Depth=1
	s_or_b32 exec_lo, exec_lo, s11
	v_lshlrev_b32_e32 v0, 16, v9
                                        ; implicit-def: $vgpr74
	s_delay_alu instid0(VALU_DEP_1) | instskip(NEXT) | instid1(VALU_DEP_1)
	v_mul_f32_e32 v0, v180, v0
	v_and_b32_e32 v9, 0x7f800000, v0
	s_delay_alu instid0(VALU_DEP_1) | instskip(NEXT) | instid1(VALU_DEP_1)
	v_cmp_ne_u32_e64 s0, 0x7f800000, v9
	s_and_saveexec_b32 s11, s0
	s_delay_alu instid0(SALU_CYCLE_1)
	s_xor_b32 s0, exec_lo, s11
; %bb.248:                              ;   in Loop: Header=BB189_38 Depth=1
	v_bfe_u32 v9, v0, 16, 1
	s_delay_alu instid0(VALU_DEP_1)
	v_add3_u32 v74, v0, v9, 0x7fff
                                        ; implicit-def: $vgpr0
; %bb.249:                              ;   in Loop: Header=BB189_38 Depth=1
	s_and_not1_saveexec_b32 s11, s0
; %bb.250:                              ;   in Loop: Header=BB189_38 Depth=1
	v_and_b32_e32 v9, 0xffff, v0
	v_or_b32_e32 v10, 0x10000, v0
	s_delay_alu instid0(VALU_DEP_2) | instskip(NEXT) | instid1(VALU_DEP_1)
	v_cmp_eq_u32_e64 s0, 0, v9
	v_cndmask_b32_e64 v74, v10, v0, s0
; %bb.251:                              ;   in Loop: Header=BB189_38 Depth=1
	s_or_b32 exec_lo, exec_lo, s11
	v_lshlrev_b32_e32 v0, 16, v1
                                        ; implicit-def: $vgpr75
	s_delay_alu instid0(VALU_DEP_1) | instskip(NEXT) | instid1(VALU_DEP_1)
	v_mul_f32_e32 v0, v181, v0
	v_and_b32_e32 v1, 0x7f800000, v0
	s_delay_alu instid0(VALU_DEP_1) | instskip(NEXT) | instid1(VALU_DEP_1)
	v_cmp_ne_u32_e64 s0, 0x7f800000, v1
	s_and_saveexec_b32 s11, s0
	s_delay_alu instid0(SALU_CYCLE_1)
	s_xor_b32 s0, exec_lo, s11
; %bb.252:                              ;   in Loop: Header=BB189_38 Depth=1
	v_bfe_u32 v1, v0, 16, 1
	s_delay_alu instid0(VALU_DEP_1)
	v_add3_u32 v75, v0, v1, 0x7fff
                                        ; implicit-def: $vgpr0
; %bb.253:                              ;   in Loop: Header=BB189_38 Depth=1
	s_and_not1_saveexec_b32 s11, s0
; %bb.254:                              ;   in Loop: Header=BB189_38 Depth=1
	v_and_b32_e32 v1, 0xffff, v0
	v_or_b32_e32 v9, 0x10000, v0
	s_delay_alu instid0(VALU_DEP_2) | instskip(NEXT) | instid1(VALU_DEP_1)
	v_cmp_eq_u32_e64 s0, 0, v1
	v_cndmask_b32_e64 v75, v9, v0, s0
; %bb.255:                              ;   in Loop: Header=BB189_38 Depth=1
	s_or_b32 exec_lo, exec_lo, s11
	v_lshlrev_b32_e32 v0, 16, v8
                                        ; implicit-def: $vgpr76
	s_delay_alu instid0(VALU_DEP_1) | instskip(NEXT) | instid1(VALU_DEP_1)
	v_mul_f32_e32 v0, v182, v0
	v_and_b32_e32 v1, 0x7f800000, v0
	s_delay_alu instid0(VALU_DEP_1) | instskip(NEXT) | instid1(VALU_DEP_1)
	v_cmp_ne_u32_e64 s0, 0x7f800000, v1
	s_and_saveexec_b32 s11, s0
	s_delay_alu instid0(SALU_CYCLE_1)
	s_xor_b32 s0, exec_lo, s11
; %bb.256:                              ;   in Loop: Header=BB189_38 Depth=1
	v_bfe_u32 v1, v0, 16, 1
	s_delay_alu instid0(VALU_DEP_1)
	v_add3_u32 v76, v0, v1, 0x7fff
                                        ; implicit-def: $vgpr0
; %bb.257:                              ;   in Loop: Header=BB189_38 Depth=1
	s_and_not1_saveexec_b32 s11, s0
; %bb.258:                              ;   in Loop: Header=BB189_38 Depth=1
	v_and_b32_e32 v1, 0xffff, v0
	v_or_b32_e32 v8, 0x10000, v0
	s_delay_alu instid0(VALU_DEP_2) | instskip(NEXT) | instid1(VALU_DEP_1)
	v_cmp_eq_u32_e64 s0, 0, v1
	v_cndmask_b32_e64 v76, v8, v0, s0
; %bb.259:                              ;   in Loop: Header=BB189_38 Depth=1
	s_or_b32 exec_lo, exec_lo, s11
	v_lshlrev_b32_e32 v0, 16, v2
                                        ; implicit-def: $vgpr77
	s_delay_alu instid0(VALU_DEP_1) | instskip(NEXT) | instid1(VALU_DEP_1)
	v_mul_f32_e32 v0, v183, v0
	v_and_b32_e32 v1, 0x7f800000, v0
	s_delay_alu instid0(VALU_DEP_1) | instskip(NEXT) | instid1(VALU_DEP_1)
	v_cmp_ne_u32_e64 s0, 0x7f800000, v1
	s_and_saveexec_b32 s11, s0
	s_delay_alu instid0(SALU_CYCLE_1)
	s_xor_b32 s0, exec_lo, s11
; %bb.260:                              ;   in Loop: Header=BB189_38 Depth=1
	v_bfe_u32 v1, v0, 16, 1
	s_delay_alu instid0(VALU_DEP_1)
	v_add3_u32 v77, v0, v1, 0x7fff
                                        ; implicit-def: $vgpr0
; %bb.261:                              ;   in Loop: Header=BB189_38 Depth=1
	s_and_not1_saveexec_b32 s11, s0
; %bb.262:                              ;   in Loop: Header=BB189_38 Depth=1
	v_and_b32_e32 v1, 0xffff, v0
	v_or_b32_e32 v2, 0x10000, v0
	s_delay_alu instid0(VALU_DEP_2) | instskip(NEXT) | instid1(VALU_DEP_1)
	v_cmp_eq_u32_e64 s0, 0, v1
	v_cndmask_b32_e64 v77, v2, v0, s0
; %bb.263:                              ;   in Loop: Header=BB189_38 Depth=1
	s_or_b32 exec_lo, exec_lo, s11
	v_lshlrev_b32_e32 v0, 16, v5
                                        ; implicit-def: $vgpr79
	s_delay_alu instid0(VALU_DEP_1) | instskip(NEXT) | instid1(VALU_DEP_1)
	v_mul_f32_e32 v0, v40, v0
	v_and_b32_e32 v1, 0x7f800000, v0
	s_delay_alu instid0(VALU_DEP_1) | instskip(NEXT) | instid1(VALU_DEP_1)
	v_cmp_ne_u32_e64 s0, 0x7f800000, v1
	s_and_saveexec_b32 s11, s0
	s_delay_alu instid0(SALU_CYCLE_1)
	s_xor_b32 s0, exec_lo, s11
; %bb.264:                              ;   in Loop: Header=BB189_38 Depth=1
	v_bfe_u32 v1, v0, 16, 1
	s_delay_alu instid0(VALU_DEP_1)
	v_add3_u32 v79, v0, v1, 0x7fff
                                        ; implicit-def: $vgpr0
; %bb.265:                              ;   in Loop: Header=BB189_38 Depth=1
	s_and_not1_saveexec_b32 s11, s0
; %bb.266:                              ;   in Loop: Header=BB189_38 Depth=1
	v_and_b32_e32 v1, 0xffff, v0
	v_or_b32_e32 v2, 0x10000, v0
	s_delay_alu instid0(VALU_DEP_2) | instskip(NEXT) | instid1(VALU_DEP_1)
	v_cmp_eq_u32_e64 s0, 0, v1
	v_cndmask_b32_e64 v79, v2, v0, s0
; %bb.267:                              ;   in Loop: Header=BB189_38 Depth=1
	s_or_b32 exec_lo, exec_lo, s11
	v_lshlrev_b32_e32 v0, 16, v3
                                        ; implicit-def: $vgpr78
	s_delay_alu instid0(VALU_DEP_1) | instskip(NEXT) | instid1(VALU_DEP_1)
	v_mul_f32_e32 v0, v42, v0
	v_and_b32_e32 v1, 0x7f800000, v0
	s_delay_alu instid0(VALU_DEP_1) | instskip(NEXT) | instid1(VALU_DEP_1)
	v_cmp_ne_u32_e64 s0, 0x7f800000, v1
	s_and_saveexec_b32 s11, s0
	s_delay_alu instid0(SALU_CYCLE_1)
	s_xor_b32 s0, exec_lo, s11
; %bb.268:                              ;   in Loop: Header=BB189_38 Depth=1
	v_bfe_u32 v1, v0, 16, 1
	s_delay_alu instid0(VALU_DEP_1)
	v_add3_u32 v78, v0, v1, 0x7fff
                                        ; implicit-def: $vgpr0
; %bb.269:                              ;   in Loop: Header=BB189_38 Depth=1
	s_and_not1_saveexec_b32 s11, s0
; %bb.270:                              ;   in Loop: Header=BB189_38 Depth=1
	v_and_b32_e32 v1, 0xffff, v0
	v_or_b32_e32 v2, 0x10000, v0
	s_delay_alu instid0(VALU_DEP_2) | instskip(NEXT) | instid1(VALU_DEP_1)
	v_cmp_eq_u32_e64 s0, 0, v1
	v_cndmask_b32_e64 v78, v2, v0, s0
; %bb.271:                              ;   in Loop: Header=BB189_38 Depth=1
	s_or_b32 exec_lo, exec_lo, s11
	v_lshlrev_b32_e32 v0, 16, v4
                                        ; implicit-def: $vgpr88
	s_delay_alu instid0(VALU_DEP_1) | instskip(NEXT) | instid1(VALU_DEP_1)
	v_mul_f32_e32 v0, v43, v0
	v_and_b32_e32 v1, 0x7f800000, v0
	s_delay_alu instid0(VALU_DEP_1) | instskip(NEXT) | instid1(VALU_DEP_1)
	v_cmp_ne_u32_e64 s0, 0x7f800000, v1
	s_and_saveexec_b32 s11, s0
	s_delay_alu instid0(SALU_CYCLE_1)
	s_xor_b32 s0, exec_lo, s11
; %bb.272:                              ;   in Loop: Header=BB189_38 Depth=1
	v_bfe_u32 v1, v0, 16, 1
	s_delay_alu instid0(VALU_DEP_1)
	v_add3_u32 v88, v0, v1, 0x7fff
                                        ; implicit-def: $vgpr0
; %bb.273:                              ;   in Loop: Header=BB189_38 Depth=1
	s_and_not1_saveexec_b32 s11, s0
; %bb.274:                              ;   in Loop: Header=BB189_38 Depth=1
	v_and_b32_e32 v1, 0xffff, v0
	v_or_b32_e32 v2, 0x10000, v0
	s_delay_alu instid0(VALU_DEP_2) | instskip(NEXT) | instid1(VALU_DEP_1)
	v_cmp_eq_u32_e64 s0, 0, v1
	v_cndmask_b32_e64 v88, v2, v0, s0
; %bb.275:                              ;   in Loop: Header=BB189_38 Depth=1
	s_or_b32 exec_lo, exec_lo, s11
	flat_load_b128 v[0:3], v[6:7] offset:3072
	s_waitcnt vmcnt(0) lgkmcnt(0)
	v_lshrrev_b32_e32 v9, 16, v0
	v_lshrrev_b32_e32 v8, 16, v1
	;; [unrolled: 1-line block ×4, first 2 shown]
	s_and_saveexec_b32 s11, vcc_lo
	s_cbranch_execz .LBB189_277
; %bb.276:                              ;   in Loop: Header=BB189_38 Depth=1
	v_cmp_lt_i32_e64 s0, v150, v96
	s_delay_alu instid0(VALU_DEP_1) | instskip(SKIP_1) | instid1(VALU_DEP_1)
	v_cndmask_b32_e64 v0, 0, v0, s0
	v_cmp_lt_i32_e64 s0, v176, v96
	v_cndmask_b32_e64 v9, 0, v9, s0
	v_cmp_lt_i32_e64 s0, v166, v96
	s_delay_alu instid0(VALU_DEP_1) | instskip(SKIP_1) | instid1(VALU_DEP_1)
	v_cndmask_b32_e64 v1, 0, v1, s0
	v_cmp_lt_i32_e64 s0, v165, v96
	v_cndmask_b32_e64 v8, 0, v8, s0
	;; [unrolled: 5-line block ×4, first 2 shown]
.LBB189_277:                            ;   in Loop: Header=BB189_38 Depth=1
	s_or_b32 exec_lo, exec_lo, s11
	v_lshlrev_b32_e32 v0, 16, v0
                                        ; implicit-def: $vgpr89
	s_delay_alu instid0(VALU_DEP_1) | instskip(NEXT) | instid1(VALU_DEP_1)
	v_mul_f32_e32 v0, v179, v0
	v_and_b32_e32 v10, 0x7f800000, v0
	s_delay_alu instid0(VALU_DEP_1) | instskip(NEXT) | instid1(VALU_DEP_1)
	v_cmp_ne_u32_e64 s0, 0x7f800000, v10
	s_and_saveexec_b32 s11, s0
	s_delay_alu instid0(SALU_CYCLE_1)
	s_xor_b32 s0, exec_lo, s11
; %bb.278:                              ;   in Loop: Header=BB189_38 Depth=1
	v_bfe_u32 v10, v0, 16, 1
	s_delay_alu instid0(VALU_DEP_1)
	v_add3_u32 v89, v0, v10, 0x7fff
                                        ; implicit-def: $vgpr0
; %bb.279:                              ;   in Loop: Header=BB189_38 Depth=1
	s_and_not1_saveexec_b32 s11, s0
; %bb.280:                              ;   in Loop: Header=BB189_38 Depth=1
	v_and_b32_e32 v10, 0xffff, v0
	v_or_b32_e32 v11, 0x10000, v0
	s_delay_alu instid0(VALU_DEP_2) | instskip(NEXT) | instid1(VALU_DEP_1)
	v_cmp_eq_u32_e64 s0, 0, v10
	v_cndmask_b32_e64 v89, v11, v0, s0
; %bb.281:                              ;   in Loop: Header=BB189_38 Depth=1
	s_or_b32 exec_lo, exec_lo, s11
	v_lshlrev_b32_e32 v0, 16, v9
                                        ; implicit-def: $vgpr90
	s_delay_alu instid0(VALU_DEP_1) | instskip(NEXT) | instid1(VALU_DEP_1)
	v_mul_f32_e32 v0, v180, v0
	v_and_b32_e32 v9, 0x7f800000, v0
	s_delay_alu instid0(VALU_DEP_1) | instskip(NEXT) | instid1(VALU_DEP_1)
	v_cmp_ne_u32_e64 s0, 0x7f800000, v9
	s_and_saveexec_b32 s11, s0
	s_delay_alu instid0(SALU_CYCLE_1)
	s_xor_b32 s0, exec_lo, s11
; %bb.282:                              ;   in Loop: Header=BB189_38 Depth=1
	v_bfe_u32 v9, v0, 16, 1
	s_delay_alu instid0(VALU_DEP_1)
	v_add3_u32 v90, v0, v9, 0x7fff
                                        ; implicit-def: $vgpr0
; %bb.283:                              ;   in Loop: Header=BB189_38 Depth=1
	s_and_not1_saveexec_b32 s11, s0
; %bb.284:                              ;   in Loop: Header=BB189_38 Depth=1
	v_and_b32_e32 v9, 0xffff, v0
	v_or_b32_e32 v10, 0x10000, v0
	s_delay_alu instid0(VALU_DEP_2) | instskip(NEXT) | instid1(VALU_DEP_1)
	v_cmp_eq_u32_e64 s0, 0, v9
	v_cndmask_b32_e64 v90, v10, v0, s0
; %bb.285:                              ;   in Loop: Header=BB189_38 Depth=1
	s_or_b32 exec_lo, exec_lo, s11
	v_lshlrev_b32_e32 v0, 16, v1
                                        ; implicit-def: $vgpr91
	s_delay_alu instid0(VALU_DEP_1) | instskip(NEXT) | instid1(VALU_DEP_1)
	v_mul_f32_e32 v0, v181, v0
	v_and_b32_e32 v1, 0x7f800000, v0
	s_delay_alu instid0(VALU_DEP_1) | instskip(NEXT) | instid1(VALU_DEP_1)
	v_cmp_ne_u32_e64 s0, 0x7f800000, v1
	s_and_saveexec_b32 s11, s0
	s_delay_alu instid0(SALU_CYCLE_1)
	s_xor_b32 s0, exec_lo, s11
; %bb.286:                              ;   in Loop: Header=BB189_38 Depth=1
	v_bfe_u32 v1, v0, 16, 1
	s_delay_alu instid0(VALU_DEP_1)
	v_add3_u32 v91, v0, v1, 0x7fff
                                        ; implicit-def: $vgpr0
; %bb.287:                              ;   in Loop: Header=BB189_38 Depth=1
	s_and_not1_saveexec_b32 s11, s0
; %bb.288:                              ;   in Loop: Header=BB189_38 Depth=1
	v_and_b32_e32 v1, 0xffff, v0
	v_or_b32_e32 v9, 0x10000, v0
	s_delay_alu instid0(VALU_DEP_2) | instskip(NEXT) | instid1(VALU_DEP_1)
	v_cmp_eq_u32_e64 s0, 0, v1
	v_cndmask_b32_e64 v91, v9, v0, s0
; %bb.289:                              ;   in Loop: Header=BB189_38 Depth=1
	s_or_b32 exec_lo, exec_lo, s11
	v_lshlrev_b32_e32 v0, 16, v8
                                        ; implicit-def: $vgpr92
	s_delay_alu instid0(VALU_DEP_1) | instskip(NEXT) | instid1(VALU_DEP_1)
	v_mul_f32_e32 v0, v182, v0
	v_and_b32_e32 v1, 0x7f800000, v0
	s_delay_alu instid0(VALU_DEP_1) | instskip(NEXT) | instid1(VALU_DEP_1)
	v_cmp_ne_u32_e64 s0, 0x7f800000, v1
	s_and_saveexec_b32 s11, s0
	s_delay_alu instid0(SALU_CYCLE_1)
	s_xor_b32 s0, exec_lo, s11
; %bb.290:                              ;   in Loop: Header=BB189_38 Depth=1
	v_bfe_u32 v1, v0, 16, 1
	s_delay_alu instid0(VALU_DEP_1)
	v_add3_u32 v92, v0, v1, 0x7fff
                                        ; implicit-def: $vgpr0
; %bb.291:                              ;   in Loop: Header=BB189_38 Depth=1
	s_and_not1_saveexec_b32 s11, s0
; %bb.292:                              ;   in Loop: Header=BB189_38 Depth=1
	v_and_b32_e32 v1, 0xffff, v0
	v_or_b32_e32 v8, 0x10000, v0
	s_delay_alu instid0(VALU_DEP_2) | instskip(NEXT) | instid1(VALU_DEP_1)
	v_cmp_eq_u32_e64 s0, 0, v1
	v_cndmask_b32_e64 v92, v8, v0, s0
; %bb.293:                              ;   in Loop: Header=BB189_38 Depth=1
	s_or_b32 exec_lo, exec_lo, s11
	v_lshlrev_b32_e32 v0, 16, v2
                                        ; implicit-def: $vgpr93
	s_delay_alu instid0(VALU_DEP_1) | instskip(NEXT) | instid1(VALU_DEP_1)
	v_mul_f32_e32 v0, v183, v0
	v_and_b32_e32 v1, 0x7f800000, v0
	s_delay_alu instid0(VALU_DEP_1) | instskip(NEXT) | instid1(VALU_DEP_1)
	v_cmp_ne_u32_e64 s0, 0x7f800000, v1
	s_and_saveexec_b32 s11, s0
	s_delay_alu instid0(SALU_CYCLE_1)
	s_xor_b32 s0, exec_lo, s11
; %bb.294:                              ;   in Loop: Header=BB189_38 Depth=1
	v_bfe_u32 v1, v0, 16, 1
	s_delay_alu instid0(VALU_DEP_1)
	v_add3_u32 v93, v0, v1, 0x7fff
                                        ; implicit-def: $vgpr0
; %bb.295:                              ;   in Loop: Header=BB189_38 Depth=1
	s_and_not1_saveexec_b32 s11, s0
; %bb.296:                              ;   in Loop: Header=BB189_38 Depth=1
	v_and_b32_e32 v1, 0xffff, v0
	v_or_b32_e32 v2, 0x10000, v0
	s_delay_alu instid0(VALU_DEP_2) | instskip(NEXT) | instid1(VALU_DEP_1)
	v_cmp_eq_u32_e64 s0, 0, v1
	v_cndmask_b32_e64 v93, v2, v0, s0
; %bb.297:                              ;   in Loop: Header=BB189_38 Depth=1
	s_or_b32 exec_lo, exec_lo, s11
	v_lshlrev_b32_e32 v0, 16, v5
                                        ; implicit-def: $vgpr95
	s_delay_alu instid0(VALU_DEP_1) | instskip(NEXT) | instid1(VALU_DEP_1)
	v_mul_f32_e32 v0, v40, v0
	v_and_b32_e32 v1, 0x7f800000, v0
	s_delay_alu instid0(VALU_DEP_1) | instskip(NEXT) | instid1(VALU_DEP_1)
	v_cmp_ne_u32_e64 s0, 0x7f800000, v1
	s_and_saveexec_b32 s11, s0
	s_delay_alu instid0(SALU_CYCLE_1)
	s_xor_b32 s0, exec_lo, s11
; %bb.298:                              ;   in Loop: Header=BB189_38 Depth=1
	v_bfe_u32 v1, v0, 16, 1
	s_delay_alu instid0(VALU_DEP_1)
	v_add3_u32 v95, v0, v1, 0x7fff
                                        ; implicit-def: $vgpr0
; %bb.299:                              ;   in Loop: Header=BB189_38 Depth=1
	s_and_not1_saveexec_b32 s11, s0
; %bb.300:                              ;   in Loop: Header=BB189_38 Depth=1
	v_and_b32_e32 v1, 0xffff, v0
	v_or_b32_e32 v2, 0x10000, v0
	s_delay_alu instid0(VALU_DEP_2) | instskip(NEXT) | instid1(VALU_DEP_1)
	v_cmp_eq_u32_e64 s0, 0, v1
	v_cndmask_b32_e64 v95, v2, v0, s0
; %bb.301:                              ;   in Loop: Header=BB189_38 Depth=1
	s_or_b32 exec_lo, exec_lo, s11
	v_lshlrev_b32_e32 v0, 16, v3
                                        ; implicit-def: $vgpr94
	s_delay_alu instid0(VALU_DEP_1) | instskip(NEXT) | instid1(VALU_DEP_1)
	v_mul_f32_e32 v0, v42, v0
	v_and_b32_e32 v1, 0x7f800000, v0
	s_delay_alu instid0(VALU_DEP_1) | instskip(NEXT) | instid1(VALU_DEP_1)
	v_cmp_ne_u32_e64 s0, 0x7f800000, v1
	s_and_saveexec_b32 s11, s0
	s_delay_alu instid0(SALU_CYCLE_1)
	s_xor_b32 s0, exec_lo, s11
; %bb.302:                              ;   in Loop: Header=BB189_38 Depth=1
	v_bfe_u32 v1, v0, 16, 1
	s_delay_alu instid0(VALU_DEP_1)
	v_add3_u32 v94, v0, v1, 0x7fff
                                        ; implicit-def: $vgpr0
; %bb.303:                              ;   in Loop: Header=BB189_38 Depth=1
	s_and_not1_saveexec_b32 s11, s0
; %bb.304:                              ;   in Loop: Header=BB189_38 Depth=1
	v_and_b32_e32 v1, 0xffff, v0
	v_or_b32_e32 v2, 0x10000, v0
	s_delay_alu instid0(VALU_DEP_2) | instskip(NEXT) | instid1(VALU_DEP_1)
	v_cmp_eq_u32_e64 s0, 0, v1
	v_cndmask_b32_e64 v94, v2, v0, s0
; %bb.305:                              ;   in Loop: Header=BB189_38 Depth=1
	s_or_b32 exec_lo, exec_lo, s11
	v_lshlrev_b32_e32 v0, 16, v4
                                        ; implicit-def: $vgpr104
	s_delay_alu instid0(VALU_DEP_1) | instskip(NEXT) | instid1(VALU_DEP_1)
	v_mul_f32_e32 v0, v43, v0
	v_and_b32_e32 v1, 0x7f800000, v0
	s_delay_alu instid0(VALU_DEP_1) | instskip(NEXT) | instid1(VALU_DEP_1)
	v_cmp_ne_u32_e64 s0, 0x7f800000, v1
	s_and_saveexec_b32 s11, s0
	s_delay_alu instid0(SALU_CYCLE_1)
	s_xor_b32 s0, exec_lo, s11
; %bb.306:                              ;   in Loop: Header=BB189_38 Depth=1
	v_bfe_u32 v1, v0, 16, 1
	s_delay_alu instid0(VALU_DEP_1)
	v_add3_u32 v104, v0, v1, 0x7fff
                                        ; implicit-def: $vgpr0
; %bb.307:                              ;   in Loop: Header=BB189_38 Depth=1
	s_and_not1_saveexec_b32 s11, s0
; %bb.308:                              ;   in Loop: Header=BB189_38 Depth=1
	v_and_b32_e32 v1, 0xffff, v0
	v_or_b32_e32 v2, 0x10000, v0
	s_delay_alu instid0(VALU_DEP_2) | instskip(NEXT) | instid1(VALU_DEP_1)
	v_cmp_eq_u32_e64 s0, 0, v1
	v_cndmask_b32_e64 v104, v2, v0, s0
; %bb.309:                              ;   in Loop: Header=BB189_38 Depth=1
	s_or_b32 exec_lo, exec_lo, s11
	flat_load_b128 v[0:3], v[6:7] offset:3584
	s_waitcnt vmcnt(0) lgkmcnt(0)
	v_lshrrev_b32_e32 v7, 16, v0
	v_lshrrev_b32_e32 v8, 16, v1
	;; [unrolled: 1-line block ×4, first 2 shown]
	s_and_saveexec_b32 s11, vcc_lo
	s_cbranch_execz .LBB189_311
; %bb.310:                              ;   in Loop: Header=BB189_38 Depth=1
	v_cmp_lt_i32_e64 s0, v150, v96
	s_delay_alu instid0(VALU_DEP_1) | instskip(SKIP_1) | instid1(VALU_DEP_1)
	v_cndmask_b32_e64 v0, 0, v0, s0
	v_cmp_lt_i32_e64 s0, v176, v96
	v_cndmask_b32_e64 v7, 0, v7, s0
	v_cmp_lt_i32_e64 s0, v166, v96
	s_delay_alu instid0(VALU_DEP_1) | instskip(SKIP_1) | instid1(VALU_DEP_1)
	v_cndmask_b32_e64 v1, 0, v1, s0
	v_cmp_lt_i32_e64 s0, v165, v96
	v_cndmask_b32_e64 v8, 0, v8, s0
	;; [unrolled: 5-line block ×4, first 2 shown]
.LBB189_311:                            ;   in Loop: Header=BB189_38 Depth=1
	s_or_b32 exec_lo, exec_lo, s11
	v_lshlrev_b32_e32 v0, 16, v0
	s_delay_alu instid0(VALU_DEP_1) | instskip(NEXT) | instid1(VALU_DEP_1)
	v_mul_f32_e32 v0, v179, v0
	v_and_b32_e32 v6, 0x7f800000, v0
	s_delay_alu instid0(VALU_DEP_1) | instskip(NEXT) | instid1(VALU_DEP_1)
	v_cmp_ne_u32_e64 s0, 0x7f800000, v6
                                        ; implicit-def: $vgpr6
	s_and_saveexec_b32 s11, s0
	s_delay_alu instid0(SALU_CYCLE_1)
	s_xor_b32 s0, exec_lo, s11
; %bb.312:                              ;   in Loop: Header=BB189_38 Depth=1
	v_bfe_u32 v6, v0, 16, 1
	s_delay_alu instid0(VALU_DEP_1)
	v_add3_u32 v6, v0, v6, 0x7fff
                                        ; implicit-def: $vgpr0
; %bb.313:                              ;   in Loop: Header=BB189_38 Depth=1
	s_and_not1_saveexec_b32 s11, s0
; %bb.314:                              ;   in Loop: Header=BB189_38 Depth=1
	v_and_b32_e32 v6, 0xffff, v0
	v_or_b32_e32 v9, 0x10000, v0
	s_delay_alu instid0(VALU_DEP_2) | instskip(NEXT) | instid1(VALU_DEP_1)
	v_cmp_eq_u32_e64 s0, 0, v6
	v_cndmask_b32_e64 v6, v9, v0, s0
; %bb.315:                              ;   in Loop: Header=BB189_38 Depth=1
	s_or_b32 exec_lo, exec_lo, s11
	v_lshlrev_b32_e32 v0, 16, v7
	s_delay_alu instid0(VALU_DEP_1) | instskip(NEXT) | instid1(VALU_DEP_1)
	v_mul_f32_e32 v0, v180, v0
	v_and_b32_e32 v7, 0x7f800000, v0
	s_delay_alu instid0(VALU_DEP_1) | instskip(NEXT) | instid1(VALU_DEP_1)
	v_cmp_ne_u32_e64 s0, 0x7f800000, v7
                                        ; implicit-def: $vgpr7
	s_and_saveexec_b32 s11, s0
	s_delay_alu instid0(SALU_CYCLE_1)
	s_xor_b32 s0, exec_lo, s11
; %bb.316:                              ;   in Loop: Header=BB189_38 Depth=1
	v_bfe_u32 v7, v0, 16, 1
	s_delay_alu instid0(VALU_DEP_1)
	v_add3_u32 v7, v0, v7, 0x7fff
                                        ; implicit-def: $vgpr0
; %bb.317:                              ;   in Loop: Header=BB189_38 Depth=1
	s_and_not1_saveexec_b32 s11, s0
; %bb.318:                              ;   in Loop: Header=BB189_38 Depth=1
	v_and_b32_e32 v7, 0xffff, v0
	v_or_b32_e32 v9, 0x10000, v0
	s_delay_alu instid0(VALU_DEP_2) | instskip(NEXT) | instid1(VALU_DEP_1)
	v_cmp_eq_u32_e64 s0, 0, v7
	v_cndmask_b32_e64 v7, v9, v0, s0
; %bb.319:                              ;   in Loop: Header=BB189_38 Depth=1
	s_or_b32 exec_lo, exec_lo, s11
	v_lshlrev_b32_e32 v0, 16, v1
                                        ; implicit-def: $vgpr105
	s_delay_alu instid0(VALU_DEP_1) | instskip(NEXT) | instid1(VALU_DEP_1)
	v_mul_f32_e32 v0, v181, v0
	v_and_b32_e32 v1, 0x7f800000, v0
	s_delay_alu instid0(VALU_DEP_1) | instskip(NEXT) | instid1(VALU_DEP_1)
	v_cmp_ne_u32_e64 s0, 0x7f800000, v1
	s_and_saveexec_b32 s11, s0
	s_delay_alu instid0(SALU_CYCLE_1)
	s_xor_b32 s0, exec_lo, s11
; %bb.320:                              ;   in Loop: Header=BB189_38 Depth=1
	v_bfe_u32 v1, v0, 16, 1
	s_delay_alu instid0(VALU_DEP_1)
	v_add3_u32 v105, v0, v1, 0x7fff
                                        ; implicit-def: $vgpr0
; %bb.321:                              ;   in Loop: Header=BB189_38 Depth=1
	s_and_not1_saveexec_b32 s11, s0
; %bb.322:                              ;   in Loop: Header=BB189_38 Depth=1
	v_and_b32_e32 v1, 0xffff, v0
	v_or_b32_e32 v9, 0x10000, v0
	s_delay_alu instid0(VALU_DEP_2) | instskip(NEXT) | instid1(VALU_DEP_1)
	v_cmp_eq_u32_e64 s0, 0, v1
	v_cndmask_b32_e64 v105, v9, v0, s0
; %bb.323:                              ;   in Loop: Header=BB189_38 Depth=1
	s_or_b32 exec_lo, exec_lo, s11
	v_lshlrev_b32_e32 v0, 16, v8
                                        ; implicit-def: $vgpr106
	s_delay_alu instid0(VALU_DEP_1) | instskip(NEXT) | instid1(VALU_DEP_1)
	v_mul_f32_e32 v0, v182, v0
	v_and_b32_e32 v1, 0x7f800000, v0
	s_delay_alu instid0(VALU_DEP_1) | instskip(NEXT) | instid1(VALU_DEP_1)
	v_cmp_ne_u32_e64 s0, 0x7f800000, v1
	s_and_saveexec_b32 s11, s0
	s_delay_alu instid0(SALU_CYCLE_1)
	s_xor_b32 s0, exec_lo, s11
; %bb.324:                              ;   in Loop: Header=BB189_38 Depth=1
	v_bfe_u32 v1, v0, 16, 1
	s_delay_alu instid0(VALU_DEP_1)
	v_add3_u32 v106, v0, v1, 0x7fff
                                        ; implicit-def: $vgpr0
; %bb.325:                              ;   in Loop: Header=BB189_38 Depth=1
	s_and_not1_saveexec_b32 s11, s0
; %bb.326:                              ;   in Loop: Header=BB189_38 Depth=1
	v_and_b32_e32 v1, 0xffff, v0
	v_or_b32_e32 v8, 0x10000, v0
	s_delay_alu instid0(VALU_DEP_2) | instskip(NEXT) | instid1(VALU_DEP_1)
	v_cmp_eq_u32_e64 s0, 0, v1
	v_cndmask_b32_e64 v106, v8, v0, s0
; %bb.327:                              ;   in Loop: Header=BB189_38 Depth=1
	s_or_b32 exec_lo, exec_lo, s11
	v_lshlrev_b32_e32 v0, 16, v2
                                        ; implicit-def: $vgpr107
	s_delay_alu instid0(VALU_DEP_1) | instskip(NEXT) | instid1(VALU_DEP_1)
	v_mul_f32_e32 v0, v183, v0
	v_and_b32_e32 v1, 0x7f800000, v0
	s_delay_alu instid0(VALU_DEP_1) | instskip(NEXT) | instid1(VALU_DEP_1)
	v_cmp_ne_u32_e64 s0, 0x7f800000, v1
	s_and_saveexec_b32 s11, s0
	s_delay_alu instid0(SALU_CYCLE_1)
	s_xor_b32 s0, exec_lo, s11
; %bb.328:                              ;   in Loop: Header=BB189_38 Depth=1
	v_bfe_u32 v1, v0, 16, 1
	s_delay_alu instid0(VALU_DEP_1)
	v_add3_u32 v107, v0, v1, 0x7fff
                                        ; implicit-def: $vgpr0
; %bb.329:                              ;   in Loop: Header=BB189_38 Depth=1
	s_and_not1_saveexec_b32 s11, s0
; %bb.330:                              ;   in Loop: Header=BB189_38 Depth=1
	v_and_b32_e32 v1, 0xffff, v0
	v_or_b32_e32 v2, 0x10000, v0
	s_delay_alu instid0(VALU_DEP_2) | instskip(NEXT) | instid1(VALU_DEP_1)
	v_cmp_eq_u32_e64 s0, 0, v1
	v_cndmask_b32_e64 v107, v2, v0, s0
; %bb.331:                              ;   in Loop: Header=BB189_38 Depth=1
	s_or_b32 exec_lo, exec_lo, s11
	v_lshlrev_b32_e32 v0, 16, v5
                                        ; implicit-def: $vgpr108
	s_delay_alu instid0(VALU_DEP_1) | instskip(NEXT) | instid1(VALU_DEP_1)
	v_mul_f32_e32 v0, v40, v0
	v_and_b32_e32 v1, 0x7f800000, v0
	s_delay_alu instid0(VALU_DEP_1) | instskip(NEXT) | instid1(VALU_DEP_1)
	v_cmp_ne_u32_e64 s0, 0x7f800000, v1
	s_and_saveexec_b32 s11, s0
	s_delay_alu instid0(SALU_CYCLE_1)
	s_xor_b32 s0, exec_lo, s11
; %bb.332:                              ;   in Loop: Header=BB189_38 Depth=1
	v_bfe_u32 v1, v0, 16, 1
	s_delay_alu instid0(VALU_DEP_1)
	v_add3_u32 v108, v0, v1, 0x7fff
                                        ; implicit-def: $vgpr0
; %bb.333:                              ;   in Loop: Header=BB189_38 Depth=1
	s_and_not1_saveexec_b32 s11, s0
; %bb.334:                              ;   in Loop: Header=BB189_38 Depth=1
	v_and_b32_e32 v1, 0xffff, v0
	v_or_b32_e32 v2, 0x10000, v0
	s_delay_alu instid0(VALU_DEP_2) | instskip(NEXT) | instid1(VALU_DEP_1)
	v_cmp_eq_u32_e64 s0, 0, v1
	v_cndmask_b32_e64 v108, v2, v0, s0
; %bb.335:                              ;   in Loop: Header=BB189_38 Depth=1
	s_or_b32 exec_lo, exec_lo, s11
	v_lshlrev_b32_e32 v0, 16, v3
                                        ; implicit-def: $vgpr109
	s_delay_alu instid0(VALU_DEP_1) | instskip(NEXT) | instid1(VALU_DEP_1)
	v_mul_f32_e32 v0, v42, v0
	v_and_b32_e32 v1, 0x7f800000, v0
	s_delay_alu instid0(VALU_DEP_1) | instskip(NEXT) | instid1(VALU_DEP_1)
	v_cmp_ne_u32_e64 s0, 0x7f800000, v1
	s_and_saveexec_b32 s11, s0
	s_delay_alu instid0(SALU_CYCLE_1)
	s_xor_b32 s0, exec_lo, s11
; %bb.336:                              ;   in Loop: Header=BB189_38 Depth=1
	v_bfe_u32 v1, v0, 16, 1
	s_delay_alu instid0(VALU_DEP_1)
	v_add3_u32 v109, v0, v1, 0x7fff
                                        ; implicit-def: $vgpr0
; %bb.337:                              ;   in Loop: Header=BB189_38 Depth=1
	s_and_not1_saveexec_b32 s11, s0
; %bb.338:                              ;   in Loop: Header=BB189_38 Depth=1
	v_and_b32_e32 v1, 0xffff, v0
	v_or_b32_e32 v2, 0x10000, v0
	s_delay_alu instid0(VALU_DEP_2) | instskip(NEXT) | instid1(VALU_DEP_1)
	v_cmp_eq_u32_e64 s0, 0, v1
	v_cndmask_b32_e64 v109, v2, v0, s0
; %bb.339:                              ;   in Loop: Header=BB189_38 Depth=1
	s_or_b32 exec_lo, exec_lo, s11
	v_lshlrev_b32_e32 v0, 16, v4
                                        ; implicit-def: $vgpr110
	s_delay_alu instid0(VALU_DEP_1) | instskip(NEXT) | instid1(VALU_DEP_1)
	v_mul_f32_e32 v0, v43, v0
	v_and_b32_e32 v1, 0x7f800000, v0
	s_delay_alu instid0(VALU_DEP_1) | instskip(NEXT) | instid1(VALU_DEP_1)
	v_cmp_ne_u32_e64 s0, 0x7f800000, v1
	s_and_saveexec_b32 s11, s0
	s_delay_alu instid0(SALU_CYCLE_1)
	s_xor_b32 s0, exec_lo, s11
; %bb.340:                              ;   in Loop: Header=BB189_38 Depth=1
	v_bfe_u32 v1, v0, 16, 1
	s_delay_alu instid0(VALU_DEP_1)
	v_add3_u32 v110, v0, v1, 0x7fff
                                        ; implicit-def: $vgpr0
; %bb.341:                              ;   in Loop: Header=BB189_38 Depth=1
	s_and_not1_saveexec_b32 s11, s0
; %bb.342:                              ;   in Loop: Header=BB189_38 Depth=1
	v_and_b32_e32 v1, 0xffff, v0
	v_or_b32_e32 v2, 0x10000, v0
	s_delay_alu instid0(VALU_DEP_2) | instskip(NEXT) | instid1(VALU_DEP_1)
	v_cmp_eq_u32_e64 s0, 0, v1
	v_cndmask_b32_e64 v110, v2, v0, s0
; %bb.343:                              ;   in Loop: Header=BB189_38 Depth=1
	s_or_b32 exec_lo, exec_lo, s11
	scratch_load_b32 v0, off, s32 offset:556 ; 4-byte Folded Reload
	s_waitcnt vmcnt(0)
	v_add_co_u32 v0, s0, v177, v0
	s_delay_alu instid0(VALU_DEP_1)
	v_add_co_ci_u32_e64 v1, s0, 0, v178, s0
	flat_load_b128 v[0:3], v[0:1]
	s_waitcnt vmcnt(0) lgkmcnt(0)
	v_lshrrev_b32_e32 v9, 16, v0
	v_lshrrev_b32_e32 v8, 16, v1
	;; [unrolled: 1-line block ×4, first 2 shown]
	s_and_saveexec_b32 s11, vcc_lo
	s_cbranch_execz .LBB189_345
; %bb.344:                              ;   in Loop: Header=BB189_38 Depth=1
	v_cmp_lt_i32_e64 s0, v150, v96
	s_delay_alu instid0(VALU_DEP_1) | instskip(SKIP_1) | instid1(VALU_DEP_1)
	v_cndmask_b32_e64 v0, 0, v0, s0
	v_cmp_lt_i32_e64 s0, v176, v96
	v_cndmask_b32_e64 v9, 0, v9, s0
	v_cmp_lt_i32_e64 s0, v166, v96
	s_delay_alu instid0(VALU_DEP_1) | instskip(SKIP_1) | instid1(VALU_DEP_1)
	v_cndmask_b32_e64 v1, 0, v1, s0
	v_cmp_lt_i32_e64 s0, v165, v96
	v_cndmask_b32_e64 v8, 0, v8, s0
	;; [unrolled: 5-line block ×4, first 2 shown]
.LBB189_345:                            ;   in Loop: Header=BB189_38 Depth=1
	s_or_b32 exec_lo, exec_lo, s11
	v_lshlrev_b32_e32 v0, 16, v0
                                        ; implicit-def: $vgpr111
	s_delay_alu instid0(VALU_DEP_1) | instskip(NEXT) | instid1(VALU_DEP_1)
	v_mul_f32_e32 v0, v179, v0
	v_and_b32_e32 v10, 0x7f800000, v0
	s_delay_alu instid0(VALU_DEP_1) | instskip(NEXT) | instid1(VALU_DEP_1)
	v_cmp_ne_u32_e64 s0, 0x7f800000, v10
	s_and_saveexec_b32 s11, s0
	s_delay_alu instid0(SALU_CYCLE_1)
	s_xor_b32 s0, exec_lo, s11
; %bb.346:                              ;   in Loop: Header=BB189_38 Depth=1
	v_bfe_u32 v10, v0, 16, 1
	s_delay_alu instid0(VALU_DEP_1)
	v_add3_u32 v111, v0, v10, 0x7fff
                                        ; implicit-def: $vgpr0
; %bb.347:                              ;   in Loop: Header=BB189_38 Depth=1
	s_and_not1_saveexec_b32 s11, s0
; %bb.348:                              ;   in Loop: Header=BB189_38 Depth=1
	v_and_b32_e32 v10, 0xffff, v0
	v_or_b32_e32 v11, 0x10000, v0
	s_delay_alu instid0(VALU_DEP_2) | instskip(NEXT) | instid1(VALU_DEP_1)
	v_cmp_eq_u32_e64 s0, 0, v10
	v_cndmask_b32_e64 v111, v11, v0, s0
; %bb.349:                              ;   in Loop: Header=BB189_38 Depth=1
	s_or_b32 exec_lo, exec_lo, s11
	v_lshlrev_b32_e32 v0, 16, v9
                                        ; implicit-def: $vgpr120
	s_delay_alu instid0(VALU_DEP_1) | instskip(NEXT) | instid1(VALU_DEP_1)
	v_mul_f32_e32 v0, v180, v0
	v_and_b32_e32 v9, 0x7f800000, v0
	s_delay_alu instid0(VALU_DEP_1) | instskip(NEXT) | instid1(VALU_DEP_1)
	v_cmp_ne_u32_e64 s0, 0x7f800000, v9
	s_and_saveexec_b32 s11, s0
	s_delay_alu instid0(SALU_CYCLE_1)
	s_xor_b32 s0, exec_lo, s11
; %bb.350:                              ;   in Loop: Header=BB189_38 Depth=1
	v_bfe_u32 v9, v0, 16, 1
	s_delay_alu instid0(VALU_DEP_1)
	v_add3_u32 v120, v0, v9, 0x7fff
                                        ; implicit-def: $vgpr0
; %bb.351:                              ;   in Loop: Header=BB189_38 Depth=1
	s_and_not1_saveexec_b32 s11, s0
; %bb.352:                              ;   in Loop: Header=BB189_38 Depth=1
	v_and_b32_e32 v9, 0xffff, v0
	v_or_b32_e32 v10, 0x10000, v0
	s_delay_alu instid0(VALU_DEP_2) | instskip(NEXT) | instid1(VALU_DEP_1)
	v_cmp_eq_u32_e64 s0, 0, v9
	v_cndmask_b32_e64 v120, v10, v0, s0
; %bb.353:                              ;   in Loop: Header=BB189_38 Depth=1
	s_or_b32 exec_lo, exec_lo, s11
	v_lshlrev_b32_e32 v0, 16, v1
                                        ; implicit-def: $vgpr121
	s_delay_alu instid0(VALU_DEP_1) | instskip(NEXT) | instid1(VALU_DEP_1)
	v_mul_f32_e32 v0, v181, v0
	v_and_b32_e32 v1, 0x7f800000, v0
	s_delay_alu instid0(VALU_DEP_1) | instskip(NEXT) | instid1(VALU_DEP_1)
	v_cmp_ne_u32_e64 s0, 0x7f800000, v1
	s_and_saveexec_b32 s11, s0
	s_delay_alu instid0(SALU_CYCLE_1)
	s_xor_b32 s0, exec_lo, s11
; %bb.354:                              ;   in Loop: Header=BB189_38 Depth=1
	v_bfe_u32 v1, v0, 16, 1
	s_delay_alu instid0(VALU_DEP_1)
	v_add3_u32 v121, v0, v1, 0x7fff
                                        ; implicit-def: $vgpr0
; %bb.355:                              ;   in Loop: Header=BB189_38 Depth=1
	s_and_not1_saveexec_b32 s11, s0
; %bb.356:                              ;   in Loop: Header=BB189_38 Depth=1
	v_and_b32_e32 v1, 0xffff, v0
	v_or_b32_e32 v9, 0x10000, v0
	s_delay_alu instid0(VALU_DEP_2) | instskip(NEXT) | instid1(VALU_DEP_1)
	v_cmp_eq_u32_e64 s0, 0, v1
	v_cndmask_b32_e64 v121, v9, v0, s0
; %bb.357:                              ;   in Loop: Header=BB189_38 Depth=1
	s_or_b32 exec_lo, exec_lo, s11
	v_lshlrev_b32_e32 v0, 16, v8
                                        ; implicit-def: $vgpr122
	s_delay_alu instid0(VALU_DEP_1) | instskip(NEXT) | instid1(VALU_DEP_1)
	v_mul_f32_e32 v0, v182, v0
	v_and_b32_e32 v1, 0x7f800000, v0
	s_delay_alu instid0(VALU_DEP_1) | instskip(NEXT) | instid1(VALU_DEP_1)
	v_cmp_ne_u32_e64 s0, 0x7f800000, v1
	s_and_saveexec_b32 s11, s0
	s_delay_alu instid0(SALU_CYCLE_1)
	s_xor_b32 s0, exec_lo, s11
; %bb.358:                              ;   in Loop: Header=BB189_38 Depth=1
	v_bfe_u32 v1, v0, 16, 1
	s_delay_alu instid0(VALU_DEP_1)
	v_add3_u32 v122, v0, v1, 0x7fff
                                        ; implicit-def: $vgpr0
; %bb.359:                              ;   in Loop: Header=BB189_38 Depth=1
	s_and_not1_saveexec_b32 s11, s0
; %bb.360:                              ;   in Loop: Header=BB189_38 Depth=1
	v_and_b32_e32 v1, 0xffff, v0
	v_or_b32_e32 v8, 0x10000, v0
	s_delay_alu instid0(VALU_DEP_2) | instskip(NEXT) | instid1(VALU_DEP_1)
	v_cmp_eq_u32_e64 s0, 0, v1
	v_cndmask_b32_e64 v122, v8, v0, s0
; %bb.361:                              ;   in Loop: Header=BB189_38 Depth=1
	s_or_b32 exec_lo, exec_lo, s11
	v_lshlrev_b32_e32 v0, 16, v2
                                        ; implicit-def: $vgpr123
	s_delay_alu instid0(VALU_DEP_1) | instskip(NEXT) | instid1(VALU_DEP_1)
	v_mul_f32_e32 v0, v183, v0
	v_and_b32_e32 v1, 0x7f800000, v0
	s_delay_alu instid0(VALU_DEP_1) | instskip(NEXT) | instid1(VALU_DEP_1)
	v_cmp_ne_u32_e64 s0, 0x7f800000, v1
	s_and_saveexec_b32 s11, s0
	s_delay_alu instid0(SALU_CYCLE_1)
	s_xor_b32 s0, exec_lo, s11
; %bb.362:                              ;   in Loop: Header=BB189_38 Depth=1
	v_bfe_u32 v1, v0, 16, 1
	s_delay_alu instid0(VALU_DEP_1)
	v_add3_u32 v123, v0, v1, 0x7fff
                                        ; implicit-def: $vgpr0
; %bb.363:                              ;   in Loop: Header=BB189_38 Depth=1
	s_and_not1_saveexec_b32 s11, s0
; %bb.364:                              ;   in Loop: Header=BB189_38 Depth=1
	v_and_b32_e32 v1, 0xffff, v0
	v_or_b32_e32 v2, 0x10000, v0
	s_delay_alu instid0(VALU_DEP_2) | instskip(NEXT) | instid1(VALU_DEP_1)
	v_cmp_eq_u32_e64 s0, 0, v1
	v_cndmask_b32_e64 v123, v2, v0, s0
; %bb.365:                              ;   in Loop: Header=BB189_38 Depth=1
	s_or_b32 exec_lo, exec_lo, s11
	v_lshlrev_b32_e32 v0, 16, v5
                                        ; implicit-def: $vgpr124
	s_delay_alu instid0(VALU_DEP_1) | instskip(NEXT) | instid1(VALU_DEP_1)
	v_mul_f32_e32 v0, v40, v0
	v_and_b32_e32 v1, 0x7f800000, v0
	s_delay_alu instid0(VALU_DEP_1) | instskip(NEXT) | instid1(VALU_DEP_1)
	v_cmp_ne_u32_e64 s0, 0x7f800000, v1
	s_and_saveexec_b32 s11, s0
	s_delay_alu instid0(SALU_CYCLE_1)
	s_xor_b32 s0, exec_lo, s11
; %bb.366:                              ;   in Loop: Header=BB189_38 Depth=1
	v_bfe_u32 v1, v0, 16, 1
	s_delay_alu instid0(VALU_DEP_1)
	v_add3_u32 v124, v0, v1, 0x7fff
                                        ; implicit-def: $vgpr0
; %bb.367:                              ;   in Loop: Header=BB189_38 Depth=1
	s_and_not1_saveexec_b32 s11, s0
; %bb.368:                              ;   in Loop: Header=BB189_38 Depth=1
	v_and_b32_e32 v1, 0xffff, v0
	v_or_b32_e32 v2, 0x10000, v0
	s_delay_alu instid0(VALU_DEP_2) | instskip(NEXT) | instid1(VALU_DEP_1)
	v_cmp_eq_u32_e64 s0, 0, v1
	v_cndmask_b32_e64 v124, v2, v0, s0
; %bb.369:                              ;   in Loop: Header=BB189_38 Depth=1
	s_or_b32 exec_lo, exec_lo, s11
	v_lshlrev_b32_e32 v0, 16, v3
                                        ; implicit-def: $vgpr125
	s_delay_alu instid0(VALU_DEP_1) | instskip(NEXT) | instid1(VALU_DEP_1)
	v_mul_f32_e32 v0, v42, v0
	v_and_b32_e32 v1, 0x7f800000, v0
	s_delay_alu instid0(VALU_DEP_1) | instskip(NEXT) | instid1(VALU_DEP_1)
	v_cmp_ne_u32_e64 s0, 0x7f800000, v1
	s_and_saveexec_b32 s11, s0
	s_delay_alu instid0(SALU_CYCLE_1)
	s_xor_b32 s0, exec_lo, s11
; %bb.370:                              ;   in Loop: Header=BB189_38 Depth=1
	v_bfe_u32 v1, v0, 16, 1
	s_delay_alu instid0(VALU_DEP_1)
	v_add3_u32 v125, v0, v1, 0x7fff
                                        ; implicit-def: $vgpr0
; %bb.371:                              ;   in Loop: Header=BB189_38 Depth=1
	s_and_not1_saveexec_b32 s11, s0
; %bb.372:                              ;   in Loop: Header=BB189_38 Depth=1
	v_and_b32_e32 v1, 0xffff, v0
	v_or_b32_e32 v2, 0x10000, v0
	s_delay_alu instid0(VALU_DEP_2) | instskip(NEXT) | instid1(VALU_DEP_1)
	v_cmp_eq_u32_e64 s0, 0, v1
	v_cndmask_b32_e64 v125, v2, v0, s0
; %bb.373:                              ;   in Loop: Header=BB189_38 Depth=1
	s_or_b32 exec_lo, exec_lo, s11
	v_lshlrev_b32_e32 v0, 16, v4
                                        ; implicit-def: $vgpr126
	s_delay_alu instid0(VALU_DEP_1) | instskip(NEXT) | instid1(VALU_DEP_1)
	v_mul_f32_e32 v0, v43, v0
	v_and_b32_e32 v1, 0x7f800000, v0
	s_delay_alu instid0(VALU_DEP_1) | instskip(NEXT) | instid1(VALU_DEP_1)
	v_cmp_ne_u32_e64 s0, 0x7f800000, v1
	s_and_saveexec_b32 s11, s0
	s_delay_alu instid0(SALU_CYCLE_1)
	s_xor_b32 s0, exec_lo, s11
; %bb.374:                              ;   in Loop: Header=BB189_38 Depth=1
	v_bfe_u32 v1, v0, 16, 1
	s_delay_alu instid0(VALU_DEP_1)
	v_add3_u32 v126, v0, v1, 0x7fff
                                        ; implicit-def: $vgpr0
; %bb.375:                              ;   in Loop: Header=BB189_38 Depth=1
	s_and_not1_saveexec_b32 s11, s0
; %bb.376:                              ;   in Loop: Header=BB189_38 Depth=1
	v_and_b32_e32 v1, 0xffff, v0
	v_or_b32_e32 v2, 0x10000, v0
	s_delay_alu instid0(VALU_DEP_2) | instskip(NEXT) | instid1(VALU_DEP_1)
	v_cmp_eq_u32_e64 s0, 0, v1
	v_cndmask_b32_e64 v126, v2, v0, s0
; %bb.377:                              ;   in Loop: Header=BB189_38 Depth=1
	s_or_b32 exec_lo, exec_lo, s11
	scratch_load_b32 v0, off, s32 offset:560 ; 4-byte Folded Reload
	s_waitcnt vmcnt(0)
	v_add_co_u32 v0, s0, v177, v0
	s_delay_alu instid0(VALU_DEP_1)
	v_add_co_ci_u32_e64 v1, s0, 0, v178, s0
	flat_load_b128 v[0:3], v[0:1]
	s_waitcnt vmcnt(0) lgkmcnt(0)
	v_lshrrev_b32_e32 v9, 16, v0
	v_lshrrev_b32_e32 v8, 16, v1
	;; [unrolled: 1-line block ×4, first 2 shown]
	s_and_saveexec_b32 s11, vcc_lo
	s_cbranch_execz .LBB189_379
; %bb.378:                              ;   in Loop: Header=BB189_38 Depth=1
	v_cmp_lt_i32_e64 s0, v150, v96
	s_delay_alu instid0(VALU_DEP_1) | instskip(SKIP_1) | instid1(VALU_DEP_1)
	v_cndmask_b32_e64 v0, 0, v0, s0
	v_cmp_lt_i32_e64 s0, v176, v96
	v_cndmask_b32_e64 v9, 0, v9, s0
	v_cmp_lt_i32_e64 s0, v166, v96
	s_delay_alu instid0(VALU_DEP_1) | instskip(SKIP_1) | instid1(VALU_DEP_1)
	v_cndmask_b32_e64 v1, 0, v1, s0
	v_cmp_lt_i32_e64 s0, v165, v96
	v_cndmask_b32_e64 v8, 0, v8, s0
	v_cmp_lt_i32_e64 s0, v164, v96
	s_delay_alu instid0(VALU_DEP_1) | instskip(SKIP_1) | instid1(VALU_DEP_1)
	v_cndmask_b32_e64 v2, 0, v2, s0
	v_cmp_lt_i32_e64 s0, v162, v96
	v_cndmask_b32_e64 v5, 0, v5, s0
	v_cmp_lt_i32_e64 s0, v161, v96
	s_delay_alu instid0(VALU_DEP_1) | instskip(SKIP_1) | instid1(VALU_DEP_1)
	v_cndmask_b32_e64 v3, 0, v3, s0
	v_cmp_lt_i32_e64 s0, v163, v96
	v_cndmask_b32_e64 v4, 0, v4, s0
.LBB189_379:                            ;   in Loop: Header=BB189_38 Depth=1
	s_or_b32 exec_lo, exec_lo, s11
	v_lshlrev_b32_e32 v0, 16, v0
                                        ; implicit-def: $vgpr127
	s_delay_alu instid0(VALU_DEP_1) | instskip(NEXT) | instid1(VALU_DEP_1)
	v_mul_f32_e32 v0, v179, v0
	v_and_b32_e32 v10, 0x7f800000, v0
	s_delay_alu instid0(VALU_DEP_1) | instskip(NEXT) | instid1(VALU_DEP_1)
	v_cmp_ne_u32_e64 s0, 0x7f800000, v10
	s_and_saveexec_b32 s11, s0
	s_delay_alu instid0(SALU_CYCLE_1)
	s_xor_b32 s0, exec_lo, s11
; %bb.380:                              ;   in Loop: Header=BB189_38 Depth=1
	v_bfe_u32 v10, v0, 16, 1
	s_delay_alu instid0(VALU_DEP_1)
	v_add3_u32 v127, v0, v10, 0x7fff
                                        ; implicit-def: $vgpr0
; %bb.381:                              ;   in Loop: Header=BB189_38 Depth=1
	s_and_not1_saveexec_b32 s11, s0
; %bb.382:                              ;   in Loop: Header=BB189_38 Depth=1
	v_and_b32_e32 v10, 0xffff, v0
	v_or_b32_e32 v11, 0x10000, v0
	s_delay_alu instid0(VALU_DEP_2) | instskip(NEXT) | instid1(VALU_DEP_1)
	v_cmp_eq_u32_e64 s0, 0, v10
	v_cndmask_b32_e64 v127, v11, v0, s0
; %bb.383:                              ;   in Loop: Header=BB189_38 Depth=1
	s_or_b32 exec_lo, exec_lo, s11
	v_lshlrev_b32_e32 v0, 16, v9
                                        ; implicit-def: $vgpr136
	s_delay_alu instid0(VALU_DEP_1) | instskip(NEXT) | instid1(VALU_DEP_1)
	v_mul_f32_e32 v0, v180, v0
	v_and_b32_e32 v9, 0x7f800000, v0
	s_delay_alu instid0(VALU_DEP_1) | instskip(NEXT) | instid1(VALU_DEP_1)
	v_cmp_ne_u32_e64 s0, 0x7f800000, v9
	s_and_saveexec_b32 s11, s0
	s_delay_alu instid0(SALU_CYCLE_1)
	s_xor_b32 s0, exec_lo, s11
; %bb.384:                              ;   in Loop: Header=BB189_38 Depth=1
	v_bfe_u32 v9, v0, 16, 1
	s_delay_alu instid0(VALU_DEP_1)
	v_add3_u32 v136, v0, v9, 0x7fff
                                        ; implicit-def: $vgpr0
; %bb.385:                              ;   in Loop: Header=BB189_38 Depth=1
	s_and_not1_saveexec_b32 s11, s0
; %bb.386:                              ;   in Loop: Header=BB189_38 Depth=1
	v_and_b32_e32 v9, 0xffff, v0
	v_or_b32_e32 v10, 0x10000, v0
	s_delay_alu instid0(VALU_DEP_2) | instskip(NEXT) | instid1(VALU_DEP_1)
	v_cmp_eq_u32_e64 s0, 0, v9
	v_cndmask_b32_e64 v136, v10, v0, s0
; %bb.387:                              ;   in Loop: Header=BB189_38 Depth=1
	s_or_b32 exec_lo, exec_lo, s11
	v_lshlrev_b32_e32 v0, 16, v1
                                        ; implicit-def: $vgpr137
	s_delay_alu instid0(VALU_DEP_1) | instskip(NEXT) | instid1(VALU_DEP_1)
	v_mul_f32_e32 v0, v181, v0
	v_and_b32_e32 v1, 0x7f800000, v0
	s_delay_alu instid0(VALU_DEP_1) | instskip(NEXT) | instid1(VALU_DEP_1)
	v_cmp_ne_u32_e64 s0, 0x7f800000, v1
	s_and_saveexec_b32 s11, s0
	s_delay_alu instid0(SALU_CYCLE_1)
	s_xor_b32 s0, exec_lo, s11
; %bb.388:                              ;   in Loop: Header=BB189_38 Depth=1
	v_bfe_u32 v1, v0, 16, 1
	s_delay_alu instid0(VALU_DEP_1)
	v_add3_u32 v137, v0, v1, 0x7fff
                                        ; implicit-def: $vgpr0
; %bb.389:                              ;   in Loop: Header=BB189_38 Depth=1
	s_and_not1_saveexec_b32 s11, s0
; %bb.390:                              ;   in Loop: Header=BB189_38 Depth=1
	v_and_b32_e32 v1, 0xffff, v0
	v_or_b32_e32 v9, 0x10000, v0
	s_delay_alu instid0(VALU_DEP_2) | instskip(NEXT) | instid1(VALU_DEP_1)
	v_cmp_eq_u32_e64 s0, 0, v1
	v_cndmask_b32_e64 v137, v9, v0, s0
; %bb.391:                              ;   in Loop: Header=BB189_38 Depth=1
	s_or_b32 exec_lo, exec_lo, s11
	v_lshlrev_b32_e32 v0, 16, v8
                                        ; implicit-def: $vgpr138
	s_delay_alu instid0(VALU_DEP_1) | instskip(NEXT) | instid1(VALU_DEP_1)
	v_mul_f32_e32 v0, v182, v0
	v_and_b32_e32 v1, 0x7f800000, v0
	s_delay_alu instid0(VALU_DEP_1) | instskip(NEXT) | instid1(VALU_DEP_1)
	v_cmp_ne_u32_e64 s0, 0x7f800000, v1
	s_and_saveexec_b32 s11, s0
	s_delay_alu instid0(SALU_CYCLE_1)
	s_xor_b32 s0, exec_lo, s11
; %bb.392:                              ;   in Loop: Header=BB189_38 Depth=1
	v_bfe_u32 v1, v0, 16, 1
	s_delay_alu instid0(VALU_DEP_1)
	v_add3_u32 v138, v0, v1, 0x7fff
                                        ; implicit-def: $vgpr0
; %bb.393:                              ;   in Loop: Header=BB189_38 Depth=1
	s_and_not1_saveexec_b32 s11, s0
; %bb.394:                              ;   in Loop: Header=BB189_38 Depth=1
	v_and_b32_e32 v1, 0xffff, v0
	v_or_b32_e32 v8, 0x10000, v0
	s_delay_alu instid0(VALU_DEP_2) | instskip(NEXT) | instid1(VALU_DEP_1)
	v_cmp_eq_u32_e64 s0, 0, v1
	v_cndmask_b32_e64 v138, v8, v0, s0
; %bb.395:                              ;   in Loop: Header=BB189_38 Depth=1
	s_or_b32 exec_lo, exec_lo, s11
	v_lshlrev_b32_e32 v0, 16, v2
                                        ; implicit-def: $vgpr139
	s_delay_alu instid0(VALU_DEP_1) | instskip(NEXT) | instid1(VALU_DEP_1)
	v_mul_f32_e32 v0, v183, v0
	v_and_b32_e32 v1, 0x7f800000, v0
	s_delay_alu instid0(VALU_DEP_1) | instskip(NEXT) | instid1(VALU_DEP_1)
	v_cmp_ne_u32_e64 s0, 0x7f800000, v1
	s_and_saveexec_b32 s11, s0
	s_delay_alu instid0(SALU_CYCLE_1)
	s_xor_b32 s0, exec_lo, s11
; %bb.396:                              ;   in Loop: Header=BB189_38 Depth=1
	v_bfe_u32 v1, v0, 16, 1
	s_delay_alu instid0(VALU_DEP_1)
	v_add3_u32 v139, v0, v1, 0x7fff
                                        ; implicit-def: $vgpr0
; %bb.397:                              ;   in Loop: Header=BB189_38 Depth=1
	s_and_not1_saveexec_b32 s11, s0
; %bb.398:                              ;   in Loop: Header=BB189_38 Depth=1
	v_and_b32_e32 v1, 0xffff, v0
	v_or_b32_e32 v2, 0x10000, v0
	s_delay_alu instid0(VALU_DEP_2) | instskip(NEXT) | instid1(VALU_DEP_1)
	v_cmp_eq_u32_e64 s0, 0, v1
	v_cndmask_b32_e64 v139, v2, v0, s0
; %bb.399:                              ;   in Loop: Header=BB189_38 Depth=1
	s_or_b32 exec_lo, exec_lo, s11
	v_lshlrev_b32_e32 v0, 16, v5
                                        ; implicit-def: $vgpr140
	s_delay_alu instid0(VALU_DEP_1) | instskip(NEXT) | instid1(VALU_DEP_1)
	v_mul_f32_e32 v0, v40, v0
	v_and_b32_e32 v1, 0x7f800000, v0
	s_delay_alu instid0(VALU_DEP_1) | instskip(NEXT) | instid1(VALU_DEP_1)
	v_cmp_ne_u32_e64 s0, 0x7f800000, v1
	s_and_saveexec_b32 s11, s0
	s_delay_alu instid0(SALU_CYCLE_1)
	s_xor_b32 s0, exec_lo, s11
; %bb.400:                              ;   in Loop: Header=BB189_38 Depth=1
	v_bfe_u32 v1, v0, 16, 1
	s_delay_alu instid0(VALU_DEP_1)
	v_add3_u32 v140, v0, v1, 0x7fff
                                        ; implicit-def: $vgpr0
; %bb.401:                              ;   in Loop: Header=BB189_38 Depth=1
	s_and_not1_saveexec_b32 s11, s0
; %bb.402:                              ;   in Loop: Header=BB189_38 Depth=1
	v_and_b32_e32 v1, 0xffff, v0
	v_or_b32_e32 v2, 0x10000, v0
	s_delay_alu instid0(VALU_DEP_2) | instskip(NEXT) | instid1(VALU_DEP_1)
	v_cmp_eq_u32_e64 s0, 0, v1
	v_cndmask_b32_e64 v140, v2, v0, s0
; %bb.403:                              ;   in Loop: Header=BB189_38 Depth=1
	s_or_b32 exec_lo, exec_lo, s11
	v_lshlrev_b32_e32 v0, 16, v3
                                        ; implicit-def: $vgpr141
	s_delay_alu instid0(VALU_DEP_1) | instskip(NEXT) | instid1(VALU_DEP_1)
	v_mul_f32_e32 v0, v42, v0
	v_and_b32_e32 v1, 0x7f800000, v0
	s_delay_alu instid0(VALU_DEP_1) | instskip(NEXT) | instid1(VALU_DEP_1)
	v_cmp_ne_u32_e64 s0, 0x7f800000, v1
	s_and_saveexec_b32 s11, s0
	s_delay_alu instid0(SALU_CYCLE_1)
	s_xor_b32 s0, exec_lo, s11
; %bb.404:                              ;   in Loop: Header=BB189_38 Depth=1
	v_bfe_u32 v1, v0, 16, 1
	s_delay_alu instid0(VALU_DEP_1)
	v_add3_u32 v141, v0, v1, 0x7fff
                                        ; implicit-def: $vgpr0
; %bb.405:                              ;   in Loop: Header=BB189_38 Depth=1
	s_and_not1_saveexec_b32 s11, s0
; %bb.406:                              ;   in Loop: Header=BB189_38 Depth=1
	v_and_b32_e32 v1, 0xffff, v0
	v_or_b32_e32 v2, 0x10000, v0
	s_delay_alu instid0(VALU_DEP_2) | instskip(NEXT) | instid1(VALU_DEP_1)
	v_cmp_eq_u32_e64 s0, 0, v1
	v_cndmask_b32_e64 v141, v2, v0, s0
; %bb.407:                              ;   in Loop: Header=BB189_38 Depth=1
	s_or_b32 exec_lo, exec_lo, s11
	v_lshlrev_b32_e32 v0, 16, v4
                                        ; implicit-def: $vgpr142
	s_delay_alu instid0(VALU_DEP_1) | instskip(NEXT) | instid1(VALU_DEP_1)
	v_mul_f32_e32 v0, v43, v0
	v_and_b32_e32 v1, 0x7f800000, v0
	s_delay_alu instid0(VALU_DEP_1) | instskip(NEXT) | instid1(VALU_DEP_1)
	v_cmp_ne_u32_e64 s0, 0x7f800000, v1
	s_and_saveexec_b32 s11, s0
	s_delay_alu instid0(SALU_CYCLE_1)
	s_xor_b32 s0, exec_lo, s11
; %bb.408:                              ;   in Loop: Header=BB189_38 Depth=1
	v_bfe_u32 v1, v0, 16, 1
	s_delay_alu instid0(VALU_DEP_1)
	v_add3_u32 v142, v0, v1, 0x7fff
                                        ; implicit-def: $vgpr0
; %bb.409:                              ;   in Loop: Header=BB189_38 Depth=1
	s_and_not1_saveexec_b32 s11, s0
; %bb.410:                              ;   in Loop: Header=BB189_38 Depth=1
	v_and_b32_e32 v1, 0xffff, v0
	v_or_b32_e32 v2, 0x10000, v0
	s_delay_alu instid0(VALU_DEP_2) | instskip(NEXT) | instid1(VALU_DEP_1)
	v_cmp_eq_u32_e64 s0, 0, v1
	v_cndmask_b32_e64 v142, v2, v0, s0
; %bb.411:                              ;   in Loop: Header=BB189_38 Depth=1
	s_or_b32 exec_lo, exec_lo, s11
	scratch_load_b32 v0, off, s32 offset:564 ; 4-byte Folded Reload
	s_waitcnt vmcnt(0)
	v_add_co_u32 v0, s0, v177, v0
	s_delay_alu instid0(VALU_DEP_1)
	v_add_co_ci_u32_e64 v1, s0, 0, v178, s0
	flat_load_b128 v[0:3], v[0:1]
	s_waitcnt vmcnt(0) lgkmcnt(0)
	v_lshrrev_b32_e32 v9, 16, v0
	v_lshrrev_b32_e32 v8, 16, v1
	;; [unrolled: 1-line block ×4, first 2 shown]
	s_and_saveexec_b32 s11, vcc_lo
	s_cbranch_execz .LBB189_413
; %bb.412:                              ;   in Loop: Header=BB189_38 Depth=1
	v_cmp_lt_i32_e64 s0, v150, v96
	s_delay_alu instid0(VALU_DEP_1) | instskip(SKIP_1) | instid1(VALU_DEP_1)
	v_cndmask_b32_e64 v0, 0, v0, s0
	v_cmp_lt_i32_e64 s0, v176, v96
	v_cndmask_b32_e64 v9, 0, v9, s0
	v_cmp_lt_i32_e64 s0, v166, v96
	s_delay_alu instid0(VALU_DEP_1) | instskip(SKIP_1) | instid1(VALU_DEP_1)
	v_cndmask_b32_e64 v1, 0, v1, s0
	v_cmp_lt_i32_e64 s0, v165, v96
	v_cndmask_b32_e64 v8, 0, v8, s0
	;; [unrolled: 5-line block ×4, first 2 shown]
.LBB189_413:                            ;   in Loop: Header=BB189_38 Depth=1
	s_or_b32 exec_lo, exec_lo, s11
	v_lshlrev_b32_e32 v0, 16, v0
                                        ; implicit-def: $vgpr143
	s_delay_alu instid0(VALU_DEP_1) | instskip(NEXT) | instid1(VALU_DEP_1)
	v_mul_f32_e32 v0, v179, v0
	v_and_b32_e32 v10, 0x7f800000, v0
	s_delay_alu instid0(VALU_DEP_1) | instskip(NEXT) | instid1(VALU_DEP_1)
	v_cmp_ne_u32_e64 s0, 0x7f800000, v10
	s_and_saveexec_b32 s11, s0
	s_delay_alu instid0(SALU_CYCLE_1)
	s_xor_b32 s0, exec_lo, s11
; %bb.414:                              ;   in Loop: Header=BB189_38 Depth=1
	v_bfe_u32 v10, v0, 16, 1
	s_delay_alu instid0(VALU_DEP_1)
	v_add3_u32 v143, v0, v10, 0x7fff
                                        ; implicit-def: $vgpr0
; %bb.415:                              ;   in Loop: Header=BB189_38 Depth=1
	s_and_not1_saveexec_b32 s11, s0
; %bb.416:                              ;   in Loop: Header=BB189_38 Depth=1
	v_and_b32_e32 v10, 0xffff, v0
	v_or_b32_e32 v11, 0x10000, v0
	s_delay_alu instid0(VALU_DEP_2) | instskip(NEXT) | instid1(VALU_DEP_1)
	v_cmp_eq_u32_e64 s0, 0, v10
	v_cndmask_b32_e64 v143, v11, v0, s0
; %bb.417:                              ;   in Loop: Header=BB189_38 Depth=1
	s_or_b32 exec_lo, exec_lo, s11
	v_lshlrev_b32_e32 v0, 16, v9
                                        ; implicit-def: $vgpr152
	s_delay_alu instid0(VALU_DEP_1) | instskip(NEXT) | instid1(VALU_DEP_1)
	v_mul_f32_e32 v0, v180, v0
	v_and_b32_e32 v9, 0x7f800000, v0
	s_delay_alu instid0(VALU_DEP_1) | instskip(NEXT) | instid1(VALU_DEP_1)
	v_cmp_ne_u32_e64 s0, 0x7f800000, v9
	s_and_saveexec_b32 s11, s0
	s_delay_alu instid0(SALU_CYCLE_1)
	s_xor_b32 s0, exec_lo, s11
; %bb.418:                              ;   in Loop: Header=BB189_38 Depth=1
	v_bfe_u32 v9, v0, 16, 1
	s_delay_alu instid0(VALU_DEP_1)
	v_add3_u32 v152, v0, v9, 0x7fff
                                        ; implicit-def: $vgpr0
; %bb.419:                              ;   in Loop: Header=BB189_38 Depth=1
	s_and_not1_saveexec_b32 s11, s0
; %bb.420:                              ;   in Loop: Header=BB189_38 Depth=1
	v_and_b32_e32 v9, 0xffff, v0
	v_or_b32_e32 v10, 0x10000, v0
	s_delay_alu instid0(VALU_DEP_2) | instskip(NEXT) | instid1(VALU_DEP_1)
	v_cmp_eq_u32_e64 s0, 0, v9
	v_cndmask_b32_e64 v152, v10, v0, s0
; %bb.421:                              ;   in Loop: Header=BB189_38 Depth=1
	s_or_b32 exec_lo, exec_lo, s11
	v_lshlrev_b32_e32 v0, 16, v1
                                        ; implicit-def: $vgpr153
	s_delay_alu instid0(VALU_DEP_1) | instskip(NEXT) | instid1(VALU_DEP_1)
	v_mul_f32_e32 v0, v181, v0
	v_and_b32_e32 v1, 0x7f800000, v0
	s_delay_alu instid0(VALU_DEP_1) | instskip(NEXT) | instid1(VALU_DEP_1)
	v_cmp_ne_u32_e64 s0, 0x7f800000, v1
	s_and_saveexec_b32 s11, s0
	s_delay_alu instid0(SALU_CYCLE_1)
	s_xor_b32 s0, exec_lo, s11
; %bb.422:                              ;   in Loop: Header=BB189_38 Depth=1
	v_bfe_u32 v1, v0, 16, 1
	s_delay_alu instid0(VALU_DEP_1)
	v_add3_u32 v153, v0, v1, 0x7fff
                                        ; implicit-def: $vgpr0
; %bb.423:                              ;   in Loop: Header=BB189_38 Depth=1
	s_and_not1_saveexec_b32 s11, s0
; %bb.424:                              ;   in Loop: Header=BB189_38 Depth=1
	v_and_b32_e32 v1, 0xffff, v0
	v_or_b32_e32 v9, 0x10000, v0
	s_delay_alu instid0(VALU_DEP_2) | instskip(NEXT) | instid1(VALU_DEP_1)
	v_cmp_eq_u32_e64 s0, 0, v1
	v_cndmask_b32_e64 v153, v9, v0, s0
; %bb.425:                              ;   in Loop: Header=BB189_38 Depth=1
	s_or_b32 exec_lo, exec_lo, s11
	v_lshlrev_b32_e32 v0, 16, v8
                                        ; implicit-def: $vgpr154
	s_delay_alu instid0(VALU_DEP_1) | instskip(NEXT) | instid1(VALU_DEP_1)
	v_mul_f32_e32 v0, v182, v0
	v_and_b32_e32 v1, 0x7f800000, v0
	s_delay_alu instid0(VALU_DEP_1) | instskip(NEXT) | instid1(VALU_DEP_1)
	v_cmp_ne_u32_e64 s0, 0x7f800000, v1
	s_and_saveexec_b32 s11, s0
	s_delay_alu instid0(SALU_CYCLE_1)
	s_xor_b32 s0, exec_lo, s11
; %bb.426:                              ;   in Loop: Header=BB189_38 Depth=1
	v_bfe_u32 v1, v0, 16, 1
	s_delay_alu instid0(VALU_DEP_1)
	v_add3_u32 v154, v0, v1, 0x7fff
                                        ; implicit-def: $vgpr0
; %bb.427:                              ;   in Loop: Header=BB189_38 Depth=1
	s_and_not1_saveexec_b32 s11, s0
; %bb.428:                              ;   in Loop: Header=BB189_38 Depth=1
	v_and_b32_e32 v1, 0xffff, v0
	v_or_b32_e32 v8, 0x10000, v0
	s_delay_alu instid0(VALU_DEP_2) | instskip(NEXT) | instid1(VALU_DEP_1)
	v_cmp_eq_u32_e64 s0, 0, v1
	v_cndmask_b32_e64 v154, v8, v0, s0
; %bb.429:                              ;   in Loop: Header=BB189_38 Depth=1
	s_or_b32 exec_lo, exec_lo, s11
	v_lshlrev_b32_e32 v0, 16, v2
                                        ; implicit-def: $vgpr155
	s_delay_alu instid0(VALU_DEP_1) | instskip(NEXT) | instid1(VALU_DEP_1)
	v_mul_f32_e32 v0, v183, v0
	v_and_b32_e32 v1, 0x7f800000, v0
	s_delay_alu instid0(VALU_DEP_1) | instskip(NEXT) | instid1(VALU_DEP_1)
	v_cmp_ne_u32_e64 s0, 0x7f800000, v1
	s_and_saveexec_b32 s11, s0
	s_delay_alu instid0(SALU_CYCLE_1)
	s_xor_b32 s0, exec_lo, s11
; %bb.430:                              ;   in Loop: Header=BB189_38 Depth=1
	v_bfe_u32 v1, v0, 16, 1
	s_delay_alu instid0(VALU_DEP_1)
	v_add3_u32 v155, v0, v1, 0x7fff
                                        ; implicit-def: $vgpr0
; %bb.431:                              ;   in Loop: Header=BB189_38 Depth=1
	s_and_not1_saveexec_b32 s11, s0
; %bb.432:                              ;   in Loop: Header=BB189_38 Depth=1
	v_and_b32_e32 v1, 0xffff, v0
	v_or_b32_e32 v2, 0x10000, v0
	s_delay_alu instid0(VALU_DEP_2) | instskip(NEXT) | instid1(VALU_DEP_1)
	v_cmp_eq_u32_e64 s0, 0, v1
	v_cndmask_b32_e64 v155, v2, v0, s0
; %bb.433:                              ;   in Loop: Header=BB189_38 Depth=1
	s_or_b32 exec_lo, exec_lo, s11
	v_lshlrev_b32_e32 v0, 16, v5
                                        ; implicit-def: $vgpr157
	s_delay_alu instid0(VALU_DEP_1) | instskip(NEXT) | instid1(VALU_DEP_1)
	v_mul_f32_e32 v0, v40, v0
	v_and_b32_e32 v1, 0x7f800000, v0
	s_delay_alu instid0(VALU_DEP_1) | instskip(NEXT) | instid1(VALU_DEP_1)
	v_cmp_ne_u32_e64 s0, 0x7f800000, v1
	s_and_saveexec_b32 s11, s0
	s_delay_alu instid0(SALU_CYCLE_1)
	s_xor_b32 s0, exec_lo, s11
; %bb.434:                              ;   in Loop: Header=BB189_38 Depth=1
	v_bfe_u32 v1, v0, 16, 1
	s_delay_alu instid0(VALU_DEP_1)
	v_add3_u32 v157, v0, v1, 0x7fff
                                        ; implicit-def: $vgpr0
; %bb.435:                              ;   in Loop: Header=BB189_38 Depth=1
	s_and_not1_saveexec_b32 s11, s0
; %bb.436:                              ;   in Loop: Header=BB189_38 Depth=1
	v_and_b32_e32 v1, 0xffff, v0
	v_or_b32_e32 v2, 0x10000, v0
	s_delay_alu instid0(VALU_DEP_2) | instskip(NEXT) | instid1(VALU_DEP_1)
	v_cmp_eq_u32_e64 s0, 0, v1
	v_cndmask_b32_e64 v157, v2, v0, s0
; %bb.437:                              ;   in Loop: Header=BB189_38 Depth=1
	s_or_b32 exec_lo, exec_lo, s11
	v_lshlrev_b32_e32 v0, 16, v3
                                        ; implicit-def: $vgpr156
	s_delay_alu instid0(VALU_DEP_1) | instskip(NEXT) | instid1(VALU_DEP_1)
	v_mul_f32_e32 v0, v42, v0
	v_and_b32_e32 v1, 0x7f800000, v0
	s_delay_alu instid0(VALU_DEP_1) | instskip(NEXT) | instid1(VALU_DEP_1)
	v_cmp_ne_u32_e64 s0, 0x7f800000, v1
	s_and_saveexec_b32 s11, s0
	s_delay_alu instid0(SALU_CYCLE_1)
	s_xor_b32 s0, exec_lo, s11
; %bb.438:                              ;   in Loop: Header=BB189_38 Depth=1
	v_bfe_u32 v1, v0, 16, 1
	s_delay_alu instid0(VALU_DEP_1)
	v_add3_u32 v156, v0, v1, 0x7fff
                                        ; implicit-def: $vgpr0
; %bb.439:                              ;   in Loop: Header=BB189_38 Depth=1
	s_and_not1_saveexec_b32 s11, s0
; %bb.440:                              ;   in Loop: Header=BB189_38 Depth=1
	v_and_b32_e32 v1, 0xffff, v0
	v_or_b32_e32 v2, 0x10000, v0
	s_delay_alu instid0(VALU_DEP_2) | instskip(NEXT) | instid1(VALU_DEP_1)
	v_cmp_eq_u32_e64 s0, 0, v1
	v_cndmask_b32_e64 v156, v2, v0, s0
; %bb.441:                              ;   in Loop: Header=BB189_38 Depth=1
	s_or_b32 exec_lo, exec_lo, s11
	v_lshlrev_b32_e32 v0, 16, v4
                                        ; implicit-def: $vgpr158
	s_delay_alu instid0(VALU_DEP_1) | instskip(NEXT) | instid1(VALU_DEP_1)
	v_mul_f32_e32 v0, v43, v0
	v_and_b32_e32 v1, 0x7f800000, v0
	s_delay_alu instid0(VALU_DEP_1) | instskip(NEXT) | instid1(VALU_DEP_1)
	v_cmp_ne_u32_e64 s0, 0x7f800000, v1
	s_and_saveexec_b32 s11, s0
	s_delay_alu instid0(SALU_CYCLE_1)
	s_xor_b32 s0, exec_lo, s11
; %bb.442:                              ;   in Loop: Header=BB189_38 Depth=1
	v_bfe_u32 v1, v0, 16, 1
	s_delay_alu instid0(VALU_DEP_1)
	v_add3_u32 v158, v0, v1, 0x7fff
                                        ; implicit-def: $vgpr0
; %bb.443:                              ;   in Loop: Header=BB189_38 Depth=1
	s_and_not1_saveexec_b32 s11, s0
; %bb.444:                              ;   in Loop: Header=BB189_38 Depth=1
	v_and_b32_e32 v1, 0xffff, v0
	v_or_b32_e32 v2, 0x10000, v0
	s_delay_alu instid0(VALU_DEP_2) | instskip(NEXT) | instid1(VALU_DEP_1)
	v_cmp_eq_u32_e64 s0, 0, v1
	v_cndmask_b32_e64 v158, v2, v0, s0
; %bb.445:                              ;   in Loop: Header=BB189_38 Depth=1
	s_or_b32 exec_lo, exec_lo, s11
	scratch_load_b32 v0, off, s32 offset:568 ; 4-byte Folded Reload
	s_waitcnt vmcnt(0)
	v_add_co_u32 v0, s0, v177, v0
	s_delay_alu instid0(VALU_DEP_1)
	v_add_co_ci_u32_e64 v1, s0, 0, v178, s0
	flat_load_b128 v[0:3], v[0:1]
	s_waitcnt vmcnt(0) lgkmcnt(0)
	v_lshrrev_b32_e32 v9, 16, v0
	v_lshrrev_b32_e32 v8, 16, v1
	;; [unrolled: 1-line block ×4, first 2 shown]
	s_and_saveexec_b32 s11, vcc_lo
	s_cbranch_execz .LBB189_447
; %bb.446:                              ;   in Loop: Header=BB189_38 Depth=1
	v_cmp_lt_i32_e64 s0, v150, v96
	s_delay_alu instid0(VALU_DEP_1) | instskip(SKIP_1) | instid1(VALU_DEP_1)
	v_cndmask_b32_e64 v0, 0, v0, s0
	v_cmp_lt_i32_e64 s0, v176, v96
	v_cndmask_b32_e64 v9, 0, v9, s0
	v_cmp_lt_i32_e64 s0, v166, v96
	s_delay_alu instid0(VALU_DEP_1) | instskip(SKIP_1) | instid1(VALU_DEP_1)
	v_cndmask_b32_e64 v1, 0, v1, s0
	v_cmp_lt_i32_e64 s0, v165, v96
	v_cndmask_b32_e64 v8, 0, v8, s0
	;; [unrolled: 5-line block ×4, first 2 shown]
.LBB189_447:                            ;   in Loop: Header=BB189_38 Depth=1
	s_or_b32 exec_lo, exec_lo, s11
	v_lshlrev_b32_e32 v0, 16, v0
                                        ; implicit-def: $vgpr159
	s_delay_alu instid0(VALU_DEP_1) | instskip(NEXT) | instid1(VALU_DEP_1)
	v_mul_f32_e32 v0, v179, v0
	v_and_b32_e32 v10, 0x7f800000, v0
	s_delay_alu instid0(VALU_DEP_1) | instskip(NEXT) | instid1(VALU_DEP_1)
	v_cmp_ne_u32_e64 s0, 0x7f800000, v10
	s_and_saveexec_b32 s11, s0
	s_delay_alu instid0(SALU_CYCLE_1)
	s_xor_b32 s0, exec_lo, s11
; %bb.448:                              ;   in Loop: Header=BB189_38 Depth=1
	v_bfe_u32 v10, v0, 16, 1
	s_delay_alu instid0(VALU_DEP_1)
	v_add3_u32 v159, v0, v10, 0x7fff
                                        ; implicit-def: $vgpr0
; %bb.449:                              ;   in Loop: Header=BB189_38 Depth=1
	s_and_not1_saveexec_b32 s11, s0
; %bb.450:                              ;   in Loop: Header=BB189_38 Depth=1
	v_and_b32_e32 v10, 0xffff, v0
	v_or_b32_e32 v11, 0x10000, v0
	s_delay_alu instid0(VALU_DEP_2) | instskip(NEXT) | instid1(VALU_DEP_1)
	v_cmp_eq_u32_e64 s0, 0, v10
	v_cndmask_b32_e64 v159, v11, v0, s0
; %bb.451:                              ;   in Loop: Header=BB189_38 Depth=1
	s_or_b32 exec_lo, exec_lo, s11
	v_lshlrev_b32_e32 v0, 16, v9
                                        ; implicit-def: $vgpr168
	s_delay_alu instid0(VALU_DEP_1) | instskip(NEXT) | instid1(VALU_DEP_1)
	v_mul_f32_e32 v0, v180, v0
	v_and_b32_e32 v9, 0x7f800000, v0
	s_delay_alu instid0(VALU_DEP_1) | instskip(NEXT) | instid1(VALU_DEP_1)
	v_cmp_ne_u32_e64 s0, 0x7f800000, v9
	s_and_saveexec_b32 s11, s0
	s_delay_alu instid0(SALU_CYCLE_1)
	s_xor_b32 s0, exec_lo, s11
; %bb.452:                              ;   in Loop: Header=BB189_38 Depth=1
	v_bfe_u32 v9, v0, 16, 1
	s_delay_alu instid0(VALU_DEP_1)
	v_add3_u32 v168, v0, v9, 0x7fff
                                        ; implicit-def: $vgpr0
; %bb.453:                              ;   in Loop: Header=BB189_38 Depth=1
	s_and_not1_saveexec_b32 s11, s0
; %bb.454:                              ;   in Loop: Header=BB189_38 Depth=1
	v_and_b32_e32 v9, 0xffff, v0
	v_or_b32_e32 v10, 0x10000, v0
	s_delay_alu instid0(VALU_DEP_2) | instskip(NEXT) | instid1(VALU_DEP_1)
	v_cmp_eq_u32_e64 s0, 0, v9
	v_cndmask_b32_e64 v168, v10, v0, s0
; %bb.455:                              ;   in Loop: Header=BB189_38 Depth=1
	s_or_b32 exec_lo, exec_lo, s11
	v_lshlrev_b32_e32 v0, 16, v1
                                        ; implicit-def: $vgpr169
	s_delay_alu instid0(VALU_DEP_1) | instskip(NEXT) | instid1(VALU_DEP_1)
	v_mul_f32_e32 v0, v181, v0
	v_and_b32_e32 v1, 0x7f800000, v0
	s_delay_alu instid0(VALU_DEP_1) | instskip(NEXT) | instid1(VALU_DEP_1)
	v_cmp_ne_u32_e64 s0, 0x7f800000, v1
	s_and_saveexec_b32 s11, s0
	s_delay_alu instid0(SALU_CYCLE_1)
	s_xor_b32 s0, exec_lo, s11
; %bb.456:                              ;   in Loop: Header=BB189_38 Depth=1
	v_bfe_u32 v1, v0, 16, 1
	s_delay_alu instid0(VALU_DEP_1)
	v_add3_u32 v169, v0, v1, 0x7fff
                                        ; implicit-def: $vgpr0
; %bb.457:                              ;   in Loop: Header=BB189_38 Depth=1
	s_and_not1_saveexec_b32 s11, s0
; %bb.458:                              ;   in Loop: Header=BB189_38 Depth=1
	v_and_b32_e32 v1, 0xffff, v0
	v_or_b32_e32 v9, 0x10000, v0
	s_delay_alu instid0(VALU_DEP_2) | instskip(NEXT) | instid1(VALU_DEP_1)
	v_cmp_eq_u32_e64 s0, 0, v1
	v_cndmask_b32_e64 v169, v9, v0, s0
; %bb.459:                              ;   in Loop: Header=BB189_38 Depth=1
	s_or_b32 exec_lo, exec_lo, s11
	v_lshlrev_b32_e32 v0, 16, v8
                                        ; implicit-def: $vgpr170
	s_delay_alu instid0(VALU_DEP_1) | instskip(NEXT) | instid1(VALU_DEP_1)
	v_mul_f32_e32 v0, v182, v0
	v_and_b32_e32 v1, 0x7f800000, v0
	s_delay_alu instid0(VALU_DEP_1) | instskip(NEXT) | instid1(VALU_DEP_1)
	v_cmp_ne_u32_e64 s0, 0x7f800000, v1
	s_and_saveexec_b32 s11, s0
	s_delay_alu instid0(SALU_CYCLE_1)
	s_xor_b32 s0, exec_lo, s11
; %bb.460:                              ;   in Loop: Header=BB189_38 Depth=1
	v_bfe_u32 v1, v0, 16, 1
	s_delay_alu instid0(VALU_DEP_1)
	v_add3_u32 v170, v0, v1, 0x7fff
                                        ; implicit-def: $vgpr0
; %bb.461:                              ;   in Loop: Header=BB189_38 Depth=1
	s_and_not1_saveexec_b32 s11, s0
; %bb.462:                              ;   in Loop: Header=BB189_38 Depth=1
	v_and_b32_e32 v1, 0xffff, v0
	v_or_b32_e32 v8, 0x10000, v0
	s_delay_alu instid0(VALU_DEP_2) | instskip(NEXT) | instid1(VALU_DEP_1)
	v_cmp_eq_u32_e64 s0, 0, v1
	v_cndmask_b32_e64 v170, v8, v0, s0
; %bb.463:                              ;   in Loop: Header=BB189_38 Depth=1
	s_or_b32 exec_lo, exec_lo, s11
	v_lshlrev_b32_e32 v0, 16, v2
                                        ; implicit-def: $vgpr171
	s_delay_alu instid0(VALU_DEP_1) | instskip(NEXT) | instid1(VALU_DEP_1)
	v_mul_f32_e32 v0, v183, v0
	v_and_b32_e32 v1, 0x7f800000, v0
	s_delay_alu instid0(VALU_DEP_1) | instskip(NEXT) | instid1(VALU_DEP_1)
	v_cmp_ne_u32_e64 s0, 0x7f800000, v1
	s_and_saveexec_b32 s11, s0
	s_delay_alu instid0(SALU_CYCLE_1)
	s_xor_b32 s0, exec_lo, s11
; %bb.464:                              ;   in Loop: Header=BB189_38 Depth=1
	v_bfe_u32 v1, v0, 16, 1
	s_delay_alu instid0(VALU_DEP_1)
	v_add3_u32 v171, v0, v1, 0x7fff
                                        ; implicit-def: $vgpr0
; %bb.465:                              ;   in Loop: Header=BB189_38 Depth=1
	s_and_not1_saveexec_b32 s11, s0
; %bb.466:                              ;   in Loop: Header=BB189_38 Depth=1
	v_and_b32_e32 v1, 0xffff, v0
	v_or_b32_e32 v2, 0x10000, v0
	s_delay_alu instid0(VALU_DEP_2) | instskip(NEXT) | instid1(VALU_DEP_1)
	v_cmp_eq_u32_e64 s0, 0, v1
	v_cndmask_b32_e64 v171, v2, v0, s0
; %bb.467:                              ;   in Loop: Header=BB189_38 Depth=1
	s_or_b32 exec_lo, exec_lo, s11
	v_lshlrev_b32_e32 v0, 16, v5
                                        ; implicit-def: $vgpr172
	s_delay_alu instid0(VALU_DEP_1) | instskip(NEXT) | instid1(VALU_DEP_1)
	v_mul_f32_e32 v0, v40, v0
	v_and_b32_e32 v1, 0x7f800000, v0
	s_delay_alu instid0(VALU_DEP_1) | instskip(NEXT) | instid1(VALU_DEP_1)
	v_cmp_ne_u32_e64 s0, 0x7f800000, v1
	s_and_saveexec_b32 s11, s0
	s_delay_alu instid0(SALU_CYCLE_1)
	s_xor_b32 s0, exec_lo, s11
; %bb.468:                              ;   in Loop: Header=BB189_38 Depth=1
	v_bfe_u32 v1, v0, 16, 1
	s_delay_alu instid0(VALU_DEP_1)
	v_add3_u32 v172, v0, v1, 0x7fff
                                        ; implicit-def: $vgpr0
; %bb.469:                              ;   in Loop: Header=BB189_38 Depth=1
	s_and_not1_saveexec_b32 s11, s0
; %bb.470:                              ;   in Loop: Header=BB189_38 Depth=1
	v_and_b32_e32 v1, 0xffff, v0
	v_or_b32_e32 v2, 0x10000, v0
	s_delay_alu instid0(VALU_DEP_2) | instskip(NEXT) | instid1(VALU_DEP_1)
	v_cmp_eq_u32_e64 s0, 0, v1
	v_cndmask_b32_e64 v172, v2, v0, s0
; %bb.471:                              ;   in Loop: Header=BB189_38 Depth=1
	s_or_b32 exec_lo, exec_lo, s11
	v_lshlrev_b32_e32 v0, 16, v3
                                        ; implicit-def: $vgpr173
	s_delay_alu instid0(VALU_DEP_1) | instskip(NEXT) | instid1(VALU_DEP_1)
	v_mul_f32_e32 v0, v42, v0
	v_and_b32_e32 v1, 0x7f800000, v0
	s_delay_alu instid0(VALU_DEP_1) | instskip(NEXT) | instid1(VALU_DEP_1)
	v_cmp_ne_u32_e64 s0, 0x7f800000, v1
	s_and_saveexec_b32 s11, s0
	s_delay_alu instid0(SALU_CYCLE_1)
	s_xor_b32 s0, exec_lo, s11
; %bb.472:                              ;   in Loop: Header=BB189_38 Depth=1
	v_bfe_u32 v1, v0, 16, 1
	s_delay_alu instid0(VALU_DEP_1)
	v_add3_u32 v173, v0, v1, 0x7fff
                                        ; implicit-def: $vgpr0
; %bb.473:                              ;   in Loop: Header=BB189_38 Depth=1
	s_and_not1_saveexec_b32 s11, s0
; %bb.474:                              ;   in Loop: Header=BB189_38 Depth=1
	v_and_b32_e32 v1, 0xffff, v0
	v_or_b32_e32 v2, 0x10000, v0
	s_delay_alu instid0(VALU_DEP_2) | instskip(NEXT) | instid1(VALU_DEP_1)
	v_cmp_eq_u32_e64 s0, 0, v1
	v_cndmask_b32_e64 v173, v2, v0, s0
; %bb.475:                              ;   in Loop: Header=BB189_38 Depth=1
	s_or_b32 exec_lo, exec_lo, s11
	v_lshlrev_b32_e32 v0, 16, v4
                                        ; implicit-def: $vgpr174
	s_delay_alu instid0(VALU_DEP_1) | instskip(NEXT) | instid1(VALU_DEP_1)
	v_mul_f32_e32 v0, v43, v0
	v_and_b32_e32 v1, 0x7f800000, v0
	s_delay_alu instid0(VALU_DEP_1) | instskip(NEXT) | instid1(VALU_DEP_1)
	v_cmp_ne_u32_e64 s0, 0x7f800000, v1
	s_and_saveexec_b32 s11, s0
	s_delay_alu instid0(SALU_CYCLE_1)
	s_xor_b32 s0, exec_lo, s11
; %bb.476:                              ;   in Loop: Header=BB189_38 Depth=1
	v_bfe_u32 v1, v0, 16, 1
	s_delay_alu instid0(VALU_DEP_1)
	v_add3_u32 v174, v0, v1, 0x7fff
                                        ; implicit-def: $vgpr0
; %bb.477:                              ;   in Loop: Header=BB189_38 Depth=1
	s_and_not1_saveexec_b32 s11, s0
; %bb.478:                              ;   in Loop: Header=BB189_38 Depth=1
	v_and_b32_e32 v1, 0xffff, v0
	v_or_b32_e32 v2, 0x10000, v0
	s_delay_alu instid0(VALU_DEP_2) | instskip(NEXT) | instid1(VALU_DEP_1)
	v_cmp_eq_u32_e64 s0, 0, v1
	v_cndmask_b32_e64 v174, v2, v0, s0
; %bb.479:                              ;   in Loop: Header=BB189_38 Depth=1
	s_or_b32 exec_lo, exec_lo, s11
	scratch_load_b32 v0, off, s32 offset:572 ; 4-byte Folded Reload
	s_waitcnt vmcnt(0)
	v_add_co_u32 v0, s0, v177, v0
	s_delay_alu instid0(VALU_DEP_1)
	v_add_co_ci_u32_e64 v1, s0, 0, v178, s0
	flat_load_b128 v[0:3], v[0:1]
	s_waitcnt vmcnt(0) lgkmcnt(0)
	v_lshrrev_b32_e32 v9, 16, v0
	v_lshrrev_b32_e32 v8, 16, v1
	;; [unrolled: 1-line block ×4, first 2 shown]
	s_and_saveexec_b32 s11, vcc_lo
	s_cbranch_execz .LBB189_481
; %bb.480:                              ;   in Loop: Header=BB189_38 Depth=1
	v_cmp_lt_i32_e64 s0, v150, v96
	s_delay_alu instid0(VALU_DEP_1) | instskip(SKIP_1) | instid1(VALU_DEP_1)
	v_cndmask_b32_e64 v0, 0, v0, s0
	v_cmp_lt_i32_e64 s0, v176, v96
	v_cndmask_b32_e64 v9, 0, v9, s0
	v_cmp_lt_i32_e64 s0, v166, v96
	s_delay_alu instid0(VALU_DEP_1) | instskip(SKIP_1) | instid1(VALU_DEP_1)
	v_cndmask_b32_e64 v1, 0, v1, s0
	v_cmp_lt_i32_e64 s0, v165, v96
	v_cndmask_b32_e64 v8, 0, v8, s0
	;; [unrolled: 5-line block ×4, first 2 shown]
.LBB189_481:                            ;   in Loop: Header=BB189_38 Depth=1
	s_or_b32 exec_lo, exec_lo, s11
	v_lshlrev_b32_e32 v0, 16, v0
                                        ; implicit-def: $vgpr175
	s_delay_alu instid0(VALU_DEP_1) | instskip(NEXT) | instid1(VALU_DEP_1)
	v_mul_f32_e32 v0, v179, v0
	v_and_b32_e32 v10, 0x7f800000, v0
	s_delay_alu instid0(VALU_DEP_1) | instskip(NEXT) | instid1(VALU_DEP_1)
	v_cmp_ne_u32_e64 s0, 0x7f800000, v10
	s_and_saveexec_b32 s11, s0
	s_delay_alu instid0(SALU_CYCLE_1)
	s_xor_b32 s0, exec_lo, s11
; %bb.482:                              ;   in Loop: Header=BB189_38 Depth=1
	v_bfe_u32 v10, v0, 16, 1
	s_delay_alu instid0(VALU_DEP_1)
	v_add3_u32 v175, v0, v10, 0x7fff
                                        ; implicit-def: $vgpr0
; %bb.483:                              ;   in Loop: Header=BB189_38 Depth=1
	s_and_not1_saveexec_b32 s11, s0
; %bb.484:                              ;   in Loop: Header=BB189_38 Depth=1
	v_and_b32_e32 v10, 0xffff, v0
	v_or_b32_e32 v11, 0x10000, v0
	s_delay_alu instid0(VALU_DEP_2) | instskip(NEXT) | instid1(VALU_DEP_1)
	v_cmp_eq_u32_e64 s0, 0, v10
	v_cndmask_b32_e64 v175, v11, v0, s0
; %bb.485:                              ;   in Loop: Header=BB189_38 Depth=1
	s_or_b32 exec_lo, exec_lo, s11
	v_lshlrev_b32_e32 v0, 16, v9
                                        ; implicit-def: $vgpr184
	s_delay_alu instid0(VALU_DEP_1) | instskip(NEXT) | instid1(VALU_DEP_1)
	v_mul_f32_e32 v0, v180, v0
	v_and_b32_e32 v9, 0x7f800000, v0
	s_delay_alu instid0(VALU_DEP_1) | instskip(NEXT) | instid1(VALU_DEP_1)
	v_cmp_ne_u32_e64 s0, 0x7f800000, v9
	s_and_saveexec_b32 s11, s0
	s_delay_alu instid0(SALU_CYCLE_1)
	s_xor_b32 s0, exec_lo, s11
; %bb.486:                              ;   in Loop: Header=BB189_38 Depth=1
	v_bfe_u32 v9, v0, 16, 1
	s_delay_alu instid0(VALU_DEP_1)
	v_add3_u32 v184, v0, v9, 0x7fff
                                        ; implicit-def: $vgpr0
; %bb.487:                              ;   in Loop: Header=BB189_38 Depth=1
	s_and_not1_saveexec_b32 s11, s0
; %bb.488:                              ;   in Loop: Header=BB189_38 Depth=1
	v_and_b32_e32 v9, 0xffff, v0
	v_or_b32_e32 v10, 0x10000, v0
	s_delay_alu instid0(VALU_DEP_2) | instskip(NEXT) | instid1(VALU_DEP_1)
	v_cmp_eq_u32_e64 s0, 0, v9
	v_cndmask_b32_e64 v184, v10, v0, s0
; %bb.489:                              ;   in Loop: Header=BB189_38 Depth=1
	s_or_b32 exec_lo, exec_lo, s11
	v_lshlrev_b32_e32 v0, 16, v1
                                        ; implicit-def: $vgpr185
	s_delay_alu instid0(VALU_DEP_1) | instskip(NEXT) | instid1(VALU_DEP_1)
	v_mul_f32_e32 v0, v181, v0
	v_and_b32_e32 v1, 0x7f800000, v0
	s_delay_alu instid0(VALU_DEP_1) | instskip(NEXT) | instid1(VALU_DEP_1)
	v_cmp_ne_u32_e64 s0, 0x7f800000, v1
	s_and_saveexec_b32 s11, s0
	s_delay_alu instid0(SALU_CYCLE_1)
	s_xor_b32 s0, exec_lo, s11
; %bb.490:                              ;   in Loop: Header=BB189_38 Depth=1
	v_bfe_u32 v1, v0, 16, 1
	s_delay_alu instid0(VALU_DEP_1)
	v_add3_u32 v185, v0, v1, 0x7fff
                                        ; implicit-def: $vgpr0
; %bb.491:                              ;   in Loop: Header=BB189_38 Depth=1
	s_and_not1_saveexec_b32 s11, s0
; %bb.492:                              ;   in Loop: Header=BB189_38 Depth=1
	v_and_b32_e32 v1, 0xffff, v0
	v_or_b32_e32 v9, 0x10000, v0
	s_delay_alu instid0(VALU_DEP_2) | instskip(NEXT) | instid1(VALU_DEP_1)
	v_cmp_eq_u32_e64 s0, 0, v1
	v_cndmask_b32_e64 v185, v9, v0, s0
; %bb.493:                              ;   in Loop: Header=BB189_38 Depth=1
	s_or_b32 exec_lo, exec_lo, s11
	v_lshlrev_b32_e32 v0, 16, v8
                                        ; implicit-def: $vgpr186
	s_delay_alu instid0(VALU_DEP_1) | instskip(NEXT) | instid1(VALU_DEP_1)
	v_mul_f32_e32 v0, v182, v0
	v_and_b32_e32 v1, 0x7f800000, v0
	s_delay_alu instid0(VALU_DEP_1) | instskip(NEXT) | instid1(VALU_DEP_1)
	v_cmp_ne_u32_e64 s0, 0x7f800000, v1
	s_and_saveexec_b32 s11, s0
	s_delay_alu instid0(SALU_CYCLE_1)
	s_xor_b32 s0, exec_lo, s11
; %bb.494:                              ;   in Loop: Header=BB189_38 Depth=1
	v_bfe_u32 v1, v0, 16, 1
	s_delay_alu instid0(VALU_DEP_1)
	v_add3_u32 v186, v0, v1, 0x7fff
                                        ; implicit-def: $vgpr0
; %bb.495:                              ;   in Loop: Header=BB189_38 Depth=1
	s_and_not1_saveexec_b32 s11, s0
; %bb.496:                              ;   in Loop: Header=BB189_38 Depth=1
	v_and_b32_e32 v1, 0xffff, v0
	v_or_b32_e32 v8, 0x10000, v0
	s_delay_alu instid0(VALU_DEP_2) | instskip(NEXT) | instid1(VALU_DEP_1)
	v_cmp_eq_u32_e64 s0, 0, v1
	v_cndmask_b32_e64 v186, v8, v0, s0
; %bb.497:                              ;   in Loop: Header=BB189_38 Depth=1
	s_or_b32 exec_lo, exec_lo, s11
	v_lshlrev_b32_e32 v0, 16, v2
                                        ; implicit-def: $vgpr187
	s_delay_alu instid0(VALU_DEP_1) | instskip(NEXT) | instid1(VALU_DEP_1)
	v_mul_f32_e32 v0, v183, v0
	v_and_b32_e32 v1, 0x7f800000, v0
	s_delay_alu instid0(VALU_DEP_1) | instskip(NEXT) | instid1(VALU_DEP_1)
	v_cmp_ne_u32_e64 s0, 0x7f800000, v1
	s_and_saveexec_b32 s11, s0
	s_delay_alu instid0(SALU_CYCLE_1)
	s_xor_b32 s0, exec_lo, s11
; %bb.498:                              ;   in Loop: Header=BB189_38 Depth=1
	v_bfe_u32 v1, v0, 16, 1
	s_delay_alu instid0(VALU_DEP_1)
	v_add3_u32 v187, v0, v1, 0x7fff
                                        ; implicit-def: $vgpr0
; %bb.499:                              ;   in Loop: Header=BB189_38 Depth=1
	s_and_not1_saveexec_b32 s11, s0
; %bb.500:                              ;   in Loop: Header=BB189_38 Depth=1
	v_and_b32_e32 v1, 0xffff, v0
	v_or_b32_e32 v2, 0x10000, v0
	s_delay_alu instid0(VALU_DEP_2) | instskip(NEXT) | instid1(VALU_DEP_1)
	v_cmp_eq_u32_e64 s0, 0, v1
	v_cndmask_b32_e64 v187, v2, v0, s0
; %bb.501:                              ;   in Loop: Header=BB189_38 Depth=1
	s_or_b32 exec_lo, exec_lo, s11
	v_lshlrev_b32_e32 v0, 16, v5
                                        ; implicit-def: $vgpr189
	s_delay_alu instid0(VALU_DEP_1) | instskip(NEXT) | instid1(VALU_DEP_1)
	v_mul_f32_e32 v0, v40, v0
	v_and_b32_e32 v1, 0x7f800000, v0
	s_delay_alu instid0(VALU_DEP_1) | instskip(NEXT) | instid1(VALU_DEP_1)
	v_cmp_ne_u32_e64 s0, 0x7f800000, v1
	s_and_saveexec_b32 s11, s0
	s_delay_alu instid0(SALU_CYCLE_1)
	s_xor_b32 s0, exec_lo, s11
; %bb.502:                              ;   in Loop: Header=BB189_38 Depth=1
	v_bfe_u32 v1, v0, 16, 1
	s_delay_alu instid0(VALU_DEP_1)
	v_add3_u32 v189, v0, v1, 0x7fff
                                        ; implicit-def: $vgpr0
; %bb.503:                              ;   in Loop: Header=BB189_38 Depth=1
	s_and_not1_saveexec_b32 s11, s0
; %bb.504:                              ;   in Loop: Header=BB189_38 Depth=1
	v_and_b32_e32 v1, 0xffff, v0
	v_or_b32_e32 v2, 0x10000, v0
	s_delay_alu instid0(VALU_DEP_2) | instskip(NEXT) | instid1(VALU_DEP_1)
	v_cmp_eq_u32_e64 s0, 0, v1
	v_cndmask_b32_e64 v189, v2, v0, s0
; %bb.505:                              ;   in Loop: Header=BB189_38 Depth=1
	s_or_b32 exec_lo, exec_lo, s11
	v_lshlrev_b32_e32 v0, 16, v3
                                        ; implicit-def: $vgpr188
	s_delay_alu instid0(VALU_DEP_1) | instskip(NEXT) | instid1(VALU_DEP_1)
	v_mul_f32_e32 v0, v42, v0
	v_and_b32_e32 v1, 0x7f800000, v0
	s_delay_alu instid0(VALU_DEP_1) | instskip(NEXT) | instid1(VALU_DEP_1)
	v_cmp_ne_u32_e64 s0, 0x7f800000, v1
	s_and_saveexec_b32 s11, s0
	s_delay_alu instid0(SALU_CYCLE_1)
	s_xor_b32 s0, exec_lo, s11
; %bb.506:                              ;   in Loop: Header=BB189_38 Depth=1
	v_bfe_u32 v1, v0, 16, 1
	s_delay_alu instid0(VALU_DEP_1)
	v_add3_u32 v188, v0, v1, 0x7fff
                                        ; implicit-def: $vgpr0
; %bb.507:                              ;   in Loop: Header=BB189_38 Depth=1
	s_and_not1_saveexec_b32 s11, s0
; %bb.508:                              ;   in Loop: Header=BB189_38 Depth=1
	v_and_b32_e32 v1, 0xffff, v0
	v_or_b32_e32 v2, 0x10000, v0
	s_delay_alu instid0(VALU_DEP_2) | instskip(NEXT) | instid1(VALU_DEP_1)
	v_cmp_eq_u32_e64 s0, 0, v1
	v_cndmask_b32_e64 v188, v2, v0, s0
; %bb.509:                              ;   in Loop: Header=BB189_38 Depth=1
	s_or_b32 exec_lo, exec_lo, s11
	v_lshlrev_b32_e32 v0, 16, v4
                                        ; implicit-def: $vgpr190
	s_delay_alu instid0(VALU_DEP_1) | instskip(NEXT) | instid1(VALU_DEP_1)
	v_mul_f32_e32 v0, v43, v0
	v_and_b32_e32 v1, 0x7f800000, v0
	s_delay_alu instid0(VALU_DEP_1) | instskip(NEXT) | instid1(VALU_DEP_1)
	v_cmp_ne_u32_e64 s0, 0x7f800000, v1
	s_and_saveexec_b32 s11, s0
	s_delay_alu instid0(SALU_CYCLE_1)
	s_xor_b32 s0, exec_lo, s11
; %bb.510:                              ;   in Loop: Header=BB189_38 Depth=1
	v_bfe_u32 v1, v0, 16, 1
	s_delay_alu instid0(VALU_DEP_1)
	v_add3_u32 v190, v0, v1, 0x7fff
                                        ; implicit-def: $vgpr0
; %bb.511:                              ;   in Loop: Header=BB189_38 Depth=1
	s_and_not1_saveexec_b32 s11, s0
; %bb.512:                              ;   in Loop: Header=BB189_38 Depth=1
	v_and_b32_e32 v1, 0xffff, v0
	v_or_b32_e32 v2, 0x10000, v0
	s_delay_alu instid0(VALU_DEP_2) | instskip(NEXT) | instid1(VALU_DEP_1)
	v_cmp_eq_u32_e64 s0, 0, v1
	v_cndmask_b32_e64 v190, v2, v0, s0
; %bb.513:                              ;   in Loop: Header=BB189_38 Depth=1
	s_or_b32 exec_lo, exec_lo, s11
	scratch_load_b32 v0, off, s32 offset:576 ; 4-byte Folded Reload
	s_waitcnt vmcnt(0)
	v_add_co_u32 v0, s0, v177, v0
	s_delay_alu instid0(VALU_DEP_1)
	v_add_co_ci_u32_e64 v1, s0, 0, v178, s0
	flat_load_b128 v[0:3], v[0:1]
	s_waitcnt vmcnt(0) lgkmcnt(0)
	v_lshrrev_b32_e32 v5, 16, v0
	v_lshrrev_b32_e32 v4, 16, v1
	;; [unrolled: 1-line block ×4, first 2 shown]
	s_and_saveexec_b32 s11, vcc_lo
	s_cbranch_execz .LBB189_515
; %bb.514:                              ;   in Loop: Header=BB189_38 Depth=1
	v_cmp_lt_i32_e64 s0, v150, v96
	s_delay_alu instid0(VALU_DEP_1) | instskip(SKIP_1) | instid1(VALU_DEP_1)
	v_cndmask_b32_e64 v0, 0, v0, s0
	v_cmp_lt_i32_e64 s0, v176, v96
	v_cndmask_b32_e64 v5, 0, v5, s0
	v_cmp_lt_i32_e64 s0, v166, v96
	s_delay_alu instid0(VALU_DEP_1) | instskip(SKIP_1) | instid1(VALU_DEP_1)
	v_cndmask_b32_e64 v1, 0, v1, s0
	v_cmp_lt_i32_e64 s0, v165, v96
	v_cndmask_b32_e64 v4, 0, v4, s0
	;; [unrolled: 5-line block ×4, first 2 shown]
.LBB189_515:                            ;   in Loop: Header=BB189_38 Depth=1
	s_or_b32 exec_lo, exec_lo, s11
	v_lshlrev_b32_e32 v0, 16, v0
                                        ; implicit-def: $vgpr191
	s_delay_alu instid0(VALU_DEP_1) | instskip(NEXT) | instid1(VALU_DEP_1)
	v_mul_f32_e32 v0, v179, v0
	v_and_b32_e32 v10, 0x7f800000, v0
	s_delay_alu instid0(VALU_DEP_1) | instskip(NEXT) | instid1(VALU_DEP_1)
	v_cmp_ne_u32_e64 s0, 0x7f800000, v10
	s_and_saveexec_b32 s11, s0
	s_delay_alu instid0(SALU_CYCLE_1)
	s_xor_b32 s0, exec_lo, s11
; %bb.516:                              ;   in Loop: Header=BB189_38 Depth=1
	v_bfe_u32 v10, v0, 16, 1
	s_delay_alu instid0(VALU_DEP_1)
	v_add3_u32 v191, v0, v10, 0x7fff
                                        ; implicit-def: $vgpr0
; %bb.517:                              ;   in Loop: Header=BB189_38 Depth=1
	s_and_not1_saveexec_b32 s11, s0
; %bb.518:                              ;   in Loop: Header=BB189_38 Depth=1
	v_and_b32_e32 v10, 0xffff, v0
	v_or_b32_e32 v11, 0x10000, v0
	s_delay_alu instid0(VALU_DEP_2) | instskip(NEXT) | instid1(VALU_DEP_1)
	v_cmp_eq_u32_e64 s0, 0, v10
	v_cndmask_b32_e64 v191, v11, v0, s0
; %bb.519:                              ;   in Loop: Header=BB189_38 Depth=1
	s_or_b32 exec_lo, exec_lo, s11
	v_lshlrev_b32_e32 v0, 16, v5
                                        ; implicit-def: $vgpr12
	s_delay_alu instid0(VALU_DEP_1) | instskip(NEXT) | instid1(VALU_DEP_1)
	v_mul_f32_e32 v0, v180, v0
	v_and_b32_e32 v5, 0x7f800000, v0
	s_delay_alu instid0(VALU_DEP_1) | instskip(NEXT) | instid1(VALU_DEP_1)
	v_cmp_ne_u32_e64 s0, 0x7f800000, v5
	s_and_saveexec_b32 s11, s0
	s_delay_alu instid0(SALU_CYCLE_1)
	s_xor_b32 s0, exec_lo, s11
; %bb.520:                              ;   in Loop: Header=BB189_38 Depth=1
	v_bfe_u32 v5, v0, 16, 1
	s_delay_alu instid0(VALU_DEP_1)
	v_add3_u32 v12, v0, v5, 0x7fff
                                        ; implicit-def: $vgpr0
; %bb.521:                              ;   in Loop: Header=BB189_38 Depth=1
	s_and_not1_saveexec_b32 s11, s0
; %bb.522:                              ;   in Loop: Header=BB189_38 Depth=1
	v_and_b32_e32 v5, 0xffff, v0
	v_or_b32_e32 v10, 0x10000, v0
	s_delay_alu instid0(VALU_DEP_2) | instskip(NEXT) | instid1(VALU_DEP_1)
	v_cmp_eq_u32_e64 s0, 0, v5
	v_cndmask_b32_e64 v12, v10, v0, s0
; %bb.523:                              ;   in Loop: Header=BB189_38 Depth=1
	s_or_b32 exec_lo, exec_lo, s11
	v_lshlrev_b32_e32 v0, 16, v1
                                        ; implicit-def: $vgpr5
	s_delay_alu instid0(VALU_DEP_1) | instskip(NEXT) | instid1(VALU_DEP_1)
	v_mul_f32_e32 v0, v181, v0
	v_and_b32_e32 v1, 0x7f800000, v0
	s_delay_alu instid0(VALU_DEP_1) | instskip(NEXT) | instid1(VALU_DEP_1)
	v_cmp_ne_u32_e64 s0, 0x7f800000, v1
	s_and_saveexec_b32 s11, s0
	s_delay_alu instid0(SALU_CYCLE_1)
	s_xor_b32 s0, exec_lo, s11
; %bb.524:                              ;   in Loop: Header=BB189_38 Depth=1
	v_bfe_u32 v1, v0, 16, 1
	s_delay_alu instid0(VALU_DEP_1)
	v_add3_u32 v5, v0, v1, 0x7fff
                                        ; implicit-def: $vgpr0
; %bb.525:                              ;   in Loop: Header=BB189_38 Depth=1
	s_and_not1_saveexec_b32 s11, s0
; %bb.526:                              ;   in Loop: Header=BB189_38 Depth=1
	v_and_b32_e32 v1, 0xffff, v0
	v_or_b32_e32 v5, 0x10000, v0
	s_delay_alu instid0(VALU_DEP_2) | instskip(NEXT) | instid1(VALU_DEP_1)
	v_cmp_eq_u32_e64 s0, 0, v1
	v_cndmask_b32_e64 v5, v5, v0, s0
; %bb.527:                              ;   in Loop: Header=BB189_38 Depth=1
	s_or_b32 exec_lo, exec_lo, s11
	v_lshlrev_b32_e32 v0, 16, v4
                                        ; implicit-def: $vgpr4
	s_delay_alu instid0(VALU_DEP_1) | instskip(NEXT) | instid1(VALU_DEP_1)
	v_mul_f32_e32 v0, v182, v0
	v_and_b32_e32 v1, 0x7f800000, v0
	s_delay_alu instid0(VALU_DEP_1) | instskip(NEXT) | instid1(VALU_DEP_1)
	v_cmp_ne_u32_e64 s0, 0x7f800000, v1
	s_and_saveexec_b32 s11, s0
	s_delay_alu instid0(SALU_CYCLE_1)
	s_xor_b32 s0, exec_lo, s11
; %bb.528:                              ;   in Loop: Header=BB189_38 Depth=1
	v_bfe_u32 v1, v0, 16, 1
	s_delay_alu instid0(VALU_DEP_1)
	v_add3_u32 v4, v0, v1, 0x7fff
                                        ; implicit-def: $vgpr0
; %bb.529:                              ;   in Loop: Header=BB189_38 Depth=1
	s_and_not1_saveexec_b32 s11, s0
; %bb.530:                              ;   in Loop: Header=BB189_38 Depth=1
	v_and_b32_e32 v1, 0xffff, v0
	v_or_b32_e32 v4, 0x10000, v0
	s_delay_alu instid0(VALU_DEP_2) | instskip(NEXT) | instid1(VALU_DEP_1)
	v_cmp_eq_u32_e64 s0, 0, v1
	v_cndmask_b32_e64 v4, v4, v0, s0
; %bb.531:                              ;   in Loop: Header=BB189_38 Depth=1
	s_or_b32 exec_lo, exec_lo, s11
	v_lshlrev_b32_e32 v0, 16, v2
                                        ; implicit-def: $vgpr64
	s_delay_alu instid0(VALU_DEP_1) | instskip(NEXT) | instid1(VALU_DEP_1)
	v_mul_f32_e32 v0, v183, v0
	v_and_b32_e32 v1, 0x7f800000, v0
	s_delay_alu instid0(VALU_DEP_1) | instskip(NEXT) | instid1(VALU_DEP_1)
	v_cmp_ne_u32_e64 s0, 0x7f800000, v1
	s_and_saveexec_b32 s11, s0
	s_delay_alu instid0(SALU_CYCLE_1)
	s_xor_b32 s0, exec_lo, s11
; %bb.532:                              ;   in Loop: Header=BB189_38 Depth=1
	v_bfe_u32 v1, v0, 16, 1
	s_delay_alu instid0(VALU_DEP_1)
	v_add3_u32 v64, v0, v1, 0x7fff
                                        ; implicit-def: $vgpr0
; %bb.533:                              ;   in Loop: Header=BB189_38 Depth=1
	s_and_not1_saveexec_b32 s11, s0
; %bb.534:                              ;   in Loop: Header=BB189_38 Depth=1
	v_and_b32_e32 v1, 0xffff, v0
	v_or_b32_e32 v2, 0x10000, v0
	s_delay_alu instid0(VALU_DEP_2) | instskip(NEXT) | instid1(VALU_DEP_1)
	v_cmp_eq_u32_e64 s0, 0, v1
	v_cndmask_b32_e64 v64, v2, v0, s0
; %bb.535:                              ;   in Loop: Header=BB189_38 Depth=1
	s_or_b32 exec_lo, exec_lo, s11
	v_lshlrev_b32_e32 v0, 16, v9
                                        ; implicit-def: $vgpr65
	s_delay_alu instid0(VALU_DEP_1) | instskip(NEXT) | instid1(VALU_DEP_1)
	v_mul_f32_e32 v0, v40, v0
	v_and_b32_e32 v1, 0x7f800000, v0
	s_delay_alu instid0(VALU_DEP_1) | instskip(NEXT) | instid1(VALU_DEP_1)
	v_cmp_ne_u32_e64 s0, 0x7f800000, v1
	s_and_saveexec_b32 s11, s0
	s_delay_alu instid0(SALU_CYCLE_1)
	s_xor_b32 s0, exec_lo, s11
; %bb.536:                              ;   in Loop: Header=BB189_38 Depth=1
	v_bfe_u32 v1, v0, 16, 1
	s_delay_alu instid0(VALU_DEP_1)
	v_add3_u32 v65, v0, v1, 0x7fff
                                        ; implicit-def: $vgpr0
; %bb.537:                              ;   in Loop: Header=BB189_38 Depth=1
	s_and_not1_saveexec_b32 s11, s0
; %bb.538:                              ;   in Loop: Header=BB189_38 Depth=1
	v_and_b32_e32 v1, 0xffff, v0
	v_or_b32_e32 v2, 0x10000, v0
	s_delay_alu instid0(VALU_DEP_2) | instskip(NEXT) | instid1(VALU_DEP_1)
	v_cmp_eq_u32_e64 s0, 0, v1
	v_cndmask_b32_e64 v65, v2, v0, s0
; %bb.539:                              ;   in Loop: Header=BB189_38 Depth=1
	s_or_b32 exec_lo, exec_lo, s11
	v_lshlrev_b32_e32 v0, 16, v3
                                        ; implicit-def: $vgpr66
	s_delay_alu instid0(VALU_DEP_1) | instskip(NEXT) | instid1(VALU_DEP_1)
	v_mul_f32_e32 v0, v42, v0
	v_and_b32_e32 v1, 0x7f800000, v0
	s_delay_alu instid0(VALU_DEP_1) | instskip(NEXT) | instid1(VALU_DEP_1)
	v_cmp_ne_u32_e64 s0, 0x7f800000, v1
	s_and_saveexec_b32 s11, s0
	s_delay_alu instid0(SALU_CYCLE_1)
	s_xor_b32 s0, exec_lo, s11
; %bb.540:                              ;   in Loop: Header=BB189_38 Depth=1
	v_bfe_u32 v1, v0, 16, 1
	s_delay_alu instid0(VALU_DEP_1)
	v_add3_u32 v66, v0, v1, 0x7fff
                                        ; implicit-def: $vgpr0
; %bb.541:                              ;   in Loop: Header=BB189_38 Depth=1
	s_and_not1_saveexec_b32 s11, s0
; %bb.542:                              ;   in Loop: Header=BB189_38 Depth=1
	v_and_b32_e32 v1, 0xffff, v0
	v_or_b32_e32 v2, 0x10000, v0
	s_delay_alu instid0(VALU_DEP_2) | instskip(NEXT) | instid1(VALU_DEP_1)
	v_cmp_eq_u32_e64 s0, 0, v1
	v_cndmask_b32_e64 v66, v2, v0, s0
; %bb.543:                              ;   in Loop: Header=BB189_38 Depth=1
	s_or_b32 exec_lo, exec_lo, s11
	v_lshlrev_b32_e32 v0, 16, v8
                                        ; implicit-def: $vgpr67
	s_delay_alu instid0(VALU_DEP_1) | instskip(NEXT) | instid1(VALU_DEP_1)
	v_mul_f32_e32 v0, v43, v0
	v_and_b32_e32 v1, 0x7f800000, v0
	s_delay_alu instid0(VALU_DEP_1) | instskip(NEXT) | instid1(VALU_DEP_1)
	v_cmp_ne_u32_e64 s0, 0x7f800000, v1
	s_and_saveexec_b32 s11, s0
	s_delay_alu instid0(SALU_CYCLE_1)
	s_xor_b32 s0, exec_lo, s11
; %bb.544:                              ;   in Loop: Header=BB189_38 Depth=1
	v_bfe_u32 v1, v0, 16, 1
	s_delay_alu instid0(VALU_DEP_1)
	v_add3_u32 v67, v0, v1, 0x7fff
                                        ; implicit-def: $vgpr0
; %bb.545:                              ;   in Loop: Header=BB189_38 Depth=1
	s_and_not1_saveexec_b32 s11, s0
; %bb.546:                              ;   in Loop: Header=BB189_38 Depth=1
	v_and_b32_e32 v1, 0xffff, v0
	v_or_b32_e32 v2, 0x10000, v0
	s_delay_alu instid0(VALU_DEP_2) | instskip(NEXT) | instid1(VALU_DEP_1)
	v_cmp_eq_u32_e64 s0, 0, v1
	v_cndmask_b32_e64 v67, v2, v0, s0
; %bb.547:                              ;   in Loop: Header=BB189_38 Depth=1
	s_or_b32 exec_lo, exec_lo, s11
	scratch_load_b32 v0, off, s32 offset:580 ; 4-byte Folded Reload
	s_waitcnt vmcnt(0)
	v_add_co_u32 v0, s0, v177, v0
	s_delay_alu instid0(VALU_DEP_1)
	v_add_co_ci_u32_e64 v1, s0, 0, v178, s0
	flat_load_b128 v[0:3], v[0:1]
	s_waitcnt vmcnt(0) lgkmcnt(0)
	v_lshrrev_b32_e32 v11, 16, v0
	v_lshrrev_b32_e32 v10, 16, v1
	;; [unrolled: 1-line block ×4, first 2 shown]
	s_and_saveexec_b32 s11, vcc_lo
	s_cbranch_execz .LBB189_549
; %bb.548:                              ;   in Loop: Header=BB189_38 Depth=1
	v_cmp_lt_i32_e64 s0, v150, v96
	s_delay_alu instid0(VALU_DEP_1) | instskip(SKIP_1) | instid1(VALU_DEP_1)
	v_cndmask_b32_e64 v0, 0, v0, s0
	v_cmp_lt_i32_e64 s0, v176, v96
	v_cndmask_b32_e64 v11, 0, v11, s0
	v_cmp_lt_i32_e64 s0, v166, v96
	s_delay_alu instid0(VALU_DEP_1) | instskip(SKIP_1) | instid1(VALU_DEP_1)
	v_cndmask_b32_e64 v1, 0, v1, s0
	v_cmp_lt_i32_e64 s0, v165, v96
	v_cndmask_b32_e64 v10, 0, v10, s0
	;; [unrolled: 5-line block ×4, first 2 shown]
.LBB189_549:                            ;   in Loop: Header=BB189_38 Depth=1
	s_or_b32 exec_lo, exec_lo, s11
	v_lshlrev_b32_e32 v0, 16, v0
                                        ; implicit-def: $vgpr68
	s_delay_alu instid0(VALU_DEP_1) | instskip(NEXT) | instid1(VALU_DEP_1)
	v_mul_f32_e32 v0, v179, v0
	v_and_b32_e32 v13, 0x7f800000, v0
	s_delay_alu instid0(VALU_DEP_1) | instskip(NEXT) | instid1(VALU_DEP_1)
	v_cmp_ne_u32_e64 s0, 0x7f800000, v13
	s_and_saveexec_b32 s11, s0
	s_delay_alu instid0(SALU_CYCLE_1)
	s_xor_b32 s0, exec_lo, s11
; %bb.550:                              ;   in Loop: Header=BB189_38 Depth=1
	v_bfe_u32 v13, v0, 16, 1
	s_delay_alu instid0(VALU_DEP_1)
	v_add3_u32 v68, v0, v13, 0x7fff
                                        ; implicit-def: $vgpr0
; %bb.551:                              ;   in Loop: Header=BB189_38 Depth=1
	s_and_not1_saveexec_b32 s11, s0
; %bb.552:                              ;   in Loop: Header=BB189_38 Depth=1
	v_and_b32_e32 v13, 0xffff, v0
	v_or_b32_e32 v14, 0x10000, v0
	s_delay_alu instid0(VALU_DEP_2) | instskip(NEXT) | instid1(VALU_DEP_1)
	v_cmp_eq_u32_e64 s0, 0, v13
	v_cndmask_b32_e64 v68, v14, v0, s0
; %bb.553:                              ;   in Loop: Header=BB189_38 Depth=1
	s_or_b32 exec_lo, exec_lo, s11
	v_lshlrev_b32_e32 v0, 16, v11
                                        ; implicit-def: $vgpr69
	s_delay_alu instid0(VALU_DEP_1) | instskip(NEXT) | instid1(VALU_DEP_1)
	v_mul_f32_e32 v0, v180, v0
	v_and_b32_e32 v11, 0x7f800000, v0
	s_delay_alu instid0(VALU_DEP_1) | instskip(NEXT) | instid1(VALU_DEP_1)
	v_cmp_ne_u32_e64 s0, 0x7f800000, v11
	s_and_saveexec_b32 s11, s0
	s_delay_alu instid0(SALU_CYCLE_1)
	s_xor_b32 s0, exec_lo, s11
; %bb.554:                              ;   in Loop: Header=BB189_38 Depth=1
	v_bfe_u32 v11, v0, 16, 1
	s_delay_alu instid0(VALU_DEP_1)
	v_add3_u32 v69, v0, v11, 0x7fff
                                        ; implicit-def: $vgpr0
; %bb.555:                              ;   in Loop: Header=BB189_38 Depth=1
	s_and_not1_saveexec_b32 s11, s0
; %bb.556:                              ;   in Loop: Header=BB189_38 Depth=1
	v_and_b32_e32 v11, 0xffff, v0
	v_or_b32_e32 v13, 0x10000, v0
	s_delay_alu instid0(VALU_DEP_2) | instskip(NEXT) | instid1(VALU_DEP_1)
	v_cmp_eq_u32_e64 s0, 0, v11
	v_cndmask_b32_e64 v69, v13, v0, s0
; %bb.557:                              ;   in Loop: Header=BB189_38 Depth=1
	s_or_b32 exec_lo, exec_lo, s11
	v_lshlrev_b32_e32 v0, 16, v1
                                        ; implicit-def: $vgpr70
	s_delay_alu instid0(VALU_DEP_1) | instskip(NEXT) | instid1(VALU_DEP_1)
	v_mul_f32_e32 v0, v181, v0
	v_and_b32_e32 v1, 0x7f800000, v0
	s_delay_alu instid0(VALU_DEP_1) | instskip(NEXT) | instid1(VALU_DEP_1)
	v_cmp_ne_u32_e64 s0, 0x7f800000, v1
	s_and_saveexec_b32 s11, s0
	s_delay_alu instid0(SALU_CYCLE_1)
	s_xor_b32 s0, exec_lo, s11
; %bb.558:                              ;   in Loop: Header=BB189_38 Depth=1
	v_bfe_u32 v1, v0, 16, 1
	s_delay_alu instid0(VALU_DEP_1)
	v_add3_u32 v70, v0, v1, 0x7fff
                                        ; implicit-def: $vgpr0
; %bb.559:                              ;   in Loop: Header=BB189_38 Depth=1
	s_and_not1_saveexec_b32 s11, s0
; %bb.560:                              ;   in Loop: Header=BB189_38 Depth=1
	v_and_b32_e32 v1, 0xffff, v0
	v_or_b32_e32 v11, 0x10000, v0
	s_delay_alu instid0(VALU_DEP_2) | instskip(NEXT) | instid1(VALU_DEP_1)
	v_cmp_eq_u32_e64 s0, 0, v1
	v_cndmask_b32_e64 v70, v11, v0, s0
; %bb.561:                              ;   in Loop: Header=BB189_38 Depth=1
	s_or_b32 exec_lo, exec_lo, s11
	v_lshlrev_b32_e32 v0, 16, v10
                                        ; implicit-def: $vgpr71
	s_delay_alu instid0(VALU_DEP_1) | instskip(NEXT) | instid1(VALU_DEP_1)
	v_mul_f32_e32 v0, v182, v0
	v_and_b32_e32 v1, 0x7f800000, v0
	s_delay_alu instid0(VALU_DEP_1) | instskip(NEXT) | instid1(VALU_DEP_1)
	v_cmp_ne_u32_e64 s0, 0x7f800000, v1
	s_and_saveexec_b32 s11, s0
	s_delay_alu instid0(SALU_CYCLE_1)
	s_xor_b32 s0, exec_lo, s11
; %bb.562:                              ;   in Loop: Header=BB189_38 Depth=1
	v_bfe_u32 v1, v0, 16, 1
	s_delay_alu instid0(VALU_DEP_1)
	v_add3_u32 v71, v0, v1, 0x7fff
                                        ; implicit-def: $vgpr0
; %bb.563:                              ;   in Loop: Header=BB189_38 Depth=1
	s_and_not1_saveexec_b32 s11, s0
; %bb.564:                              ;   in Loop: Header=BB189_38 Depth=1
	v_and_b32_e32 v1, 0xffff, v0
	v_or_b32_e32 v10, 0x10000, v0
	s_delay_alu instid0(VALU_DEP_2) | instskip(NEXT) | instid1(VALU_DEP_1)
	v_cmp_eq_u32_e64 s0, 0, v1
	v_cndmask_b32_e64 v71, v10, v0, s0
; %bb.565:                              ;   in Loop: Header=BB189_38 Depth=1
	s_or_b32 exec_lo, exec_lo, s11
	v_lshlrev_b32_e32 v0, 16, v2
                                        ; implicit-def: $vgpr80
	s_delay_alu instid0(VALU_DEP_1) | instskip(NEXT) | instid1(VALU_DEP_1)
	v_mul_f32_e32 v0, v183, v0
	v_and_b32_e32 v1, 0x7f800000, v0
	s_delay_alu instid0(VALU_DEP_1) | instskip(NEXT) | instid1(VALU_DEP_1)
	v_cmp_ne_u32_e64 s0, 0x7f800000, v1
	s_and_saveexec_b32 s11, s0
	s_delay_alu instid0(SALU_CYCLE_1)
	s_xor_b32 s0, exec_lo, s11
; %bb.566:                              ;   in Loop: Header=BB189_38 Depth=1
	v_bfe_u32 v1, v0, 16, 1
	s_delay_alu instid0(VALU_DEP_1)
	v_add3_u32 v80, v0, v1, 0x7fff
                                        ; implicit-def: $vgpr0
; %bb.567:                              ;   in Loop: Header=BB189_38 Depth=1
	s_and_not1_saveexec_b32 s11, s0
; %bb.568:                              ;   in Loop: Header=BB189_38 Depth=1
	v_and_b32_e32 v1, 0xffff, v0
	v_or_b32_e32 v2, 0x10000, v0
	s_delay_alu instid0(VALU_DEP_2) | instskip(NEXT) | instid1(VALU_DEP_1)
	v_cmp_eq_u32_e64 s0, 0, v1
	v_cndmask_b32_e64 v80, v2, v0, s0
; %bb.569:                              ;   in Loop: Header=BB189_38 Depth=1
	s_or_b32 exec_lo, exec_lo, s11
	v_lshlrev_b32_e32 v0, 16, v9
                                        ; implicit-def: $vgpr82
	s_delay_alu instid0(VALU_DEP_1) | instskip(NEXT) | instid1(VALU_DEP_1)
	v_mul_f32_e32 v0, v40, v0
	v_and_b32_e32 v1, 0x7f800000, v0
	s_delay_alu instid0(VALU_DEP_1) | instskip(NEXT) | instid1(VALU_DEP_1)
	v_cmp_ne_u32_e64 s0, 0x7f800000, v1
	s_and_saveexec_b32 s11, s0
	s_delay_alu instid0(SALU_CYCLE_1)
	s_xor_b32 s0, exec_lo, s11
; %bb.570:                              ;   in Loop: Header=BB189_38 Depth=1
	v_bfe_u32 v1, v0, 16, 1
	s_delay_alu instid0(VALU_DEP_1)
	v_add3_u32 v82, v0, v1, 0x7fff
                                        ; implicit-def: $vgpr0
; %bb.571:                              ;   in Loop: Header=BB189_38 Depth=1
	s_and_not1_saveexec_b32 s11, s0
; %bb.572:                              ;   in Loop: Header=BB189_38 Depth=1
	v_and_b32_e32 v1, 0xffff, v0
	v_or_b32_e32 v2, 0x10000, v0
	s_delay_alu instid0(VALU_DEP_2) | instskip(NEXT) | instid1(VALU_DEP_1)
	v_cmp_eq_u32_e64 s0, 0, v1
	v_cndmask_b32_e64 v82, v2, v0, s0
; %bb.573:                              ;   in Loop: Header=BB189_38 Depth=1
	s_or_b32 exec_lo, exec_lo, s11
	v_lshlrev_b32_e32 v0, 16, v3
                                        ; implicit-def: $vgpr83
	s_delay_alu instid0(VALU_DEP_1) | instskip(NEXT) | instid1(VALU_DEP_1)
	v_mul_f32_e32 v0, v42, v0
	v_and_b32_e32 v1, 0x7f800000, v0
	s_delay_alu instid0(VALU_DEP_1) | instskip(NEXT) | instid1(VALU_DEP_1)
	v_cmp_ne_u32_e64 s0, 0x7f800000, v1
	s_and_saveexec_b32 s11, s0
	s_delay_alu instid0(SALU_CYCLE_1)
	s_xor_b32 s0, exec_lo, s11
; %bb.574:                              ;   in Loop: Header=BB189_38 Depth=1
	v_bfe_u32 v1, v0, 16, 1
	s_delay_alu instid0(VALU_DEP_1)
	v_add3_u32 v83, v0, v1, 0x7fff
                                        ; implicit-def: $vgpr0
; %bb.575:                              ;   in Loop: Header=BB189_38 Depth=1
	s_and_not1_saveexec_b32 s11, s0
; %bb.576:                              ;   in Loop: Header=BB189_38 Depth=1
	v_and_b32_e32 v1, 0xffff, v0
	v_or_b32_e32 v2, 0x10000, v0
	s_delay_alu instid0(VALU_DEP_2) | instskip(NEXT) | instid1(VALU_DEP_1)
	v_cmp_eq_u32_e64 s0, 0, v1
	v_cndmask_b32_e64 v83, v2, v0, s0
; %bb.577:                              ;   in Loop: Header=BB189_38 Depth=1
	s_or_b32 exec_lo, exec_lo, s11
	v_lshlrev_b32_e32 v0, 16, v8
                                        ; implicit-def: $vgpr84
	s_delay_alu instid0(VALU_DEP_1) | instskip(NEXT) | instid1(VALU_DEP_1)
	v_mul_f32_e32 v0, v43, v0
	v_and_b32_e32 v1, 0x7f800000, v0
	s_delay_alu instid0(VALU_DEP_1) | instskip(NEXT) | instid1(VALU_DEP_1)
	v_cmp_ne_u32_e64 s0, 0x7f800000, v1
	s_and_saveexec_b32 s11, s0
	s_delay_alu instid0(SALU_CYCLE_1)
	s_xor_b32 s0, exec_lo, s11
; %bb.578:                              ;   in Loop: Header=BB189_38 Depth=1
	v_bfe_u32 v1, v0, 16, 1
	s_delay_alu instid0(VALU_DEP_1)
	v_add3_u32 v84, v0, v1, 0x7fff
                                        ; implicit-def: $vgpr0
; %bb.579:                              ;   in Loop: Header=BB189_38 Depth=1
	s_and_not1_saveexec_b32 s11, s0
; %bb.580:                              ;   in Loop: Header=BB189_38 Depth=1
	v_and_b32_e32 v1, 0xffff, v0
	v_or_b32_e32 v2, 0x10000, v0
	s_delay_alu instid0(VALU_DEP_2) | instskip(NEXT) | instid1(VALU_DEP_1)
	v_cmp_eq_u32_e64 s0, 0, v1
	v_cndmask_b32_e64 v84, v2, v0, s0
; %bb.581:                              ;   in Loop: Header=BB189_38 Depth=1
	s_or_b32 exec_lo, exec_lo, s11
	scratch_load_b32 v0, off, s32 offset:584 ; 4-byte Folded Reload
	s_waitcnt vmcnt(0)
	v_add_co_u32 v0, s0, v177, v0
	s_delay_alu instid0(VALU_DEP_1)
	v_add_co_ci_u32_e64 v1, s0, 0, v178, s0
	flat_load_b128 v[0:3], v[0:1]
	s_waitcnt vmcnt(0) lgkmcnt(0)
	v_lshrrev_b32_e32 v11, 16, v0
	v_lshrrev_b32_e32 v10, 16, v1
	;; [unrolled: 1-line block ×4, first 2 shown]
	s_and_saveexec_b32 s11, vcc_lo
	s_cbranch_execz .LBB189_583
; %bb.582:                              ;   in Loop: Header=BB189_38 Depth=1
	v_cmp_lt_i32_e64 s0, v150, v96
	s_delay_alu instid0(VALU_DEP_1) | instskip(SKIP_1) | instid1(VALU_DEP_1)
	v_cndmask_b32_e64 v0, 0, v0, s0
	v_cmp_lt_i32_e64 s0, v176, v96
	v_cndmask_b32_e64 v11, 0, v11, s0
	v_cmp_lt_i32_e64 s0, v166, v96
	s_delay_alu instid0(VALU_DEP_1) | instskip(SKIP_1) | instid1(VALU_DEP_1)
	v_cndmask_b32_e64 v1, 0, v1, s0
	v_cmp_lt_i32_e64 s0, v165, v96
	v_cndmask_b32_e64 v10, 0, v10, s0
	;; [unrolled: 5-line block ×4, first 2 shown]
.LBB189_583:                            ;   in Loop: Header=BB189_38 Depth=1
	s_or_b32 exec_lo, exec_lo, s11
	v_lshlrev_b32_e32 v0, 16, v0
                                        ; implicit-def: $vgpr85
	s_delay_alu instid0(VALU_DEP_1) | instskip(NEXT) | instid1(VALU_DEP_1)
	v_mul_f32_e32 v0, v179, v0
	v_and_b32_e32 v13, 0x7f800000, v0
	s_delay_alu instid0(VALU_DEP_1) | instskip(NEXT) | instid1(VALU_DEP_1)
	v_cmp_ne_u32_e64 s0, 0x7f800000, v13
	s_and_saveexec_b32 s11, s0
	s_delay_alu instid0(SALU_CYCLE_1)
	s_xor_b32 s0, exec_lo, s11
; %bb.584:                              ;   in Loop: Header=BB189_38 Depth=1
	v_bfe_u32 v13, v0, 16, 1
	s_delay_alu instid0(VALU_DEP_1)
	v_add3_u32 v85, v0, v13, 0x7fff
                                        ; implicit-def: $vgpr0
; %bb.585:                              ;   in Loop: Header=BB189_38 Depth=1
	s_and_not1_saveexec_b32 s11, s0
; %bb.586:                              ;   in Loop: Header=BB189_38 Depth=1
	v_and_b32_e32 v13, 0xffff, v0
	v_or_b32_e32 v14, 0x10000, v0
	s_delay_alu instid0(VALU_DEP_2) | instskip(NEXT) | instid1(VALU_DEP_1)
	v_cmp_eq_u32_e64 s0, 0, v13
	v_cndmask_b32_e64 v85, v14, v0, s0
; %bb.587:                              ;   in Loop: Header=BB189_38 Depth=1
	s_or_b32 exec_lo, exec_lo, s11
	v_lshlrev_b32_e32 v0, 16, v11
                                        ; implicit-def: $vgpr86
	s_delay_alu instid0(VALU_DEP_1) | instskip(NEXT) | instid1(VALU_DEP_1)
	v_mul_f32_e32 v0, v180, v0
	v_and_b32_e32 v11, 0x7f800000, v0
	s_delay_alu instid0(VALU_DEP_1) | instskip(NEXT) | instid1(VALU_DEP_1)
	v_cmp_ne_u32_e64 s0, 0x7f800000, v11
	s_and_saveexec_b32 s11, s0
	s_delay_alu instid0(SALU_CYCLE_1)
	s_xor_b32 s0, exec_lo, s11
; %bb.588:                              ;   in Loop: Header=BB189_38 Depth=1
	v_bfe_u32 v11, v0, 16, 1
	s_delay_alu instid0(VALU_DEP_1)
	v_add3_u32 v86, v0, v11, 0x7fff
                                        ; implicit-def: $vgpr0
; %bb.589:                              ;   in Loop: Header=BB189_38 Depth=1
	s_and_not1_saveexec_b32 s11, s0
; %bb.590:                              ;   in Loop: Header=BB189_38 Depth=1
	v_and_b32_e32 v11, 0xffff, v0
	v_or_b32_e32 v13, 0x10000, v0
	s_delay_alu instid0(VALU_DEP_2) | instskip(NEXT) | instid1(VALU_DEP_1)
	v_cmp_eq_u32_e64 s0, 0, v11
	v_cndmask_b32_e64 v86, v13, v0, s0
; %bb.591:                              ;   in Loop: Header=BB189_38 Depth=1
	s_or_b32 exec_lo, exec_lo, s11
	v_lshlrev_b32_e32 v0, 16, v1
                                        ; implicit-def: $vgpr87
	s_delay_alu instid0(VALU_DEP_1) | instskip(NEXT) | instid1(VALU_DEP_1)
	v_mul_f32_e32 v0, v181, v0
	v_and_b32_e32 v1, 0x7f800000, v0
	s_delay_alu instid0(VALU_DEP_1) | instskip(NEXT) | instid1(VALU_DEP_1)
	v_cmp_ne_u32_e64 s0, 0x7f800000, v1
	s_and_saveexec_b32 s11, s0
	s_delay_alu instid0(SALU_CYCLE_1)
	s_xor_b32 s0, exec_lo, s11
; %bb.592:                              ;   in Loop: Header=BB189_38 Depth=1
	v_bfe_u32 v1, v0, 16, 1
	s_delay_alu instid0(VALU_DEP_1)
	v_add3_u32 v87, v0, v1, 0x7fff
                                        ; implicit-def: $vgpr0
; %bb.593:                              ;   in Loop: Header=BB189_38 Depth=1
	s_and_not1_saveexec_b32 s11, s0
; %bb.594:                              ;   in Loop: Header=BB189_38 Depth=1
	v_and_b32_e32 v1, 0xffff, v0
	v_or_b32_e32 v11, 0x10000, v0
	s_delay_alu instid0(VALU_DEP_2) | instskip(NEXT) | instid1(VALU_DEP_1)
	v_cmp_eq_u32_e64 s0, 0, v1
	v_cndmask_b32_e64 v87, v11, v0, s0
; %bb.595:                              ;   in Loop: Header=BB189_38 Depth=1
	s_or_b32 exec_lo, exec_lo, s11
	v_lshlrev_b32_e32 v0, 16, v10
                                        ; implicit-def: $vgpr102
	s_delay_alu instid0(VALU_DEP_1) | instskip(NEXT) | instid1(VALU_DEP_1)
	v_mul_f32_e32 v0, v182, v0
	v_and_b32_e32 v1, 0x7f800000, v0
	s_delay_alu instid0(VALU_DEP_1) | instskip(NEXT) | instid1(VALU_DEP_1)
	v_cmp_ne_u32_e64 s0, 0x7f800000, v1
	s_and_saveexec_b32 s11, s0
	s_delay_alu instid0(SALU_CYCLE_1)
	s_xor_b32 s0, exec_lo, s11
; %bb.596:                              ;   in Loop: Header=BB189_38 Depth=1
	v_bfe_u32 v1, v0, 16, 1
	s_delay_alu instid0(VALU_DEP_1)
	v_add3_u32 v102, v0, v1, 0x7fff
                                        ; implicit-def: $vgpr0
; %bb.597:                              ;   in Loop: Header=BB189_38 Depth=1
	s_and_not1_saveexec_b32 s11, s0
; %bb.598:                              ;   in Loop: Header=BB189_38 Depth=1
	v_and_b32_e32 v1, 0xffff, v0
	v_or_b32_e32 v10, 0x10000, v0
	s_delay_alu instid0(VALU_DEP_2) | instskip(NEXT) | instid1(VALU_DEP_1)
	v_cmp_eq_u32_e64 s0, 0, v1
	v_cndmask_b32_e64 v102, v10, v0, s0
; %bb.599:                              ;   in Loop: Header=BB189_38 Depth=1
	s_or_b32 exec_lo, exec_lo, s11
	v_lshlrev_b32_e32 v0, 16, v2
                                        ; implicit-def: $vgpr103
	s_delay_alu instid0(VALU_DEP_1) | instskip(NEXT) | instid1(VALU_DEP_1)
	v_mul_f32_e32 v0, v183, v0
	v_and_b32_e32 v1, 0x7f800000, v0
	s_delay_alu instid0(VALU_DEP_1) | instskip(NEXT) | instid1(VALU_DEP_1)
	v_cmp_ne_u32_e64 s0, 0x7f800000, v1
	s_and_saveexec_b32 s11, s0
	s_delay_alu instid0(SALU_CYCLE_1)
	s_xor_b32 s0, exec_lo, s11
; %bb.600:                              ;   in Loop: Header=BB189_38 Depth=1
	v_bfe_u32 v1, v0, 16, 1
	s_delay_alu instid0(VALU_DEP_1)
	v_add3_u32 v103, v0, v1, 0x7fff
                                        ; implicit-def: $vgpr0
; %bb.601:                              ;   in Loop: Header=BB189_38 Depth=1
	s_and_not1_saveexec_b32 s11, s0
; %bb.602:                              ;   in Loop: Header=BB189_38 Depth=1
	v_and_b32_e32 v1, 0xffff, v0
	v_or_b32_e32 v2, 0x10000, v0
	s_delay_alu instid0(VALU_DEP_2) | instskip(NEXT) | instid1(VALU_DEP_1)
	v_cmp_eq_u32_e64 s0, 0, v1
	v_cndmask_b32_e64 v103, v2, v0, s0
; %bb.603:                              ;   in Loop: Header=BB189_38 Depth=1
	s_or_b32 exec_lo, exec_lo, s11
	v_lshlrev_b32_e32 v0, 16, v9
                                        ; implicit-def: $vgpr112
	s_delay_alu instid0(VALU_DEP_1) | instskip(NEXT) | instid1(VALU_DEP_1)
	v_mul_f32_e32 v0, v40, v0
	v_and_b32_e32 v1, 0x7f800000, v0
	s_delay_alu instid0(VALU_DEP_1) | instskip(NEXT) | instid1(VALU_DEP_1)
	v_cmp_ne_u32_e64 s0, 0x7f800000, v1
	s_and_saveexec_b32 s11, s0
	s_delay_alu instid0(SALU_CYCLE_1)
	s_xor_b32 s0, exec_lo, s11
; %bb.604:                              ;   in Loop: Header=BB189_38 Depth=1
	v_bfe_u32 v1, v0, 16, 1
	s_delay_alu instid0(VALU_DEP_1)
	v_add3_u32 v112, v0, v1, 0x7fff
                                        ; implicit-def: $vgpr0
; %bb.605:                              ;   in Loop: Header=BB189_38 Depth=1
	s_and_not1_saveexec_b32 s11, s0
; %bb.606:                              ;   in Loop: Header=BB189_38 Depth=1
	v_and_b32_e32 v1, 0xffff, v0
	v_or_b32_e32 v2, 0x10000, v0
	s_delay_alu instid0(VALU_DEP_2) | instskip(NEXT) | instid1(VALU_DEP_1)
	v_cmp_eq_u32_e64 s0, 0, v1
	v_cndmask_b32_e64 v112, v2, v0, s0
; %bb.607:                              ;   in Loop: Header=BB189_38 Depth=1
	s_or_b32 exec_lo, exec_lo, s11
	v_lshlrev_b32_e32 v0, 16, v3
                                        ; implicit-def: $vgpr113
	s_delay_alu instid0(VALU_DEP_1) | instskip(NEXT) | instid1(VALU_DEP_1)
	v_mul_f32_e32 v0, v42, v0
	v_and_b32_e32 v1, 0x7f800000, v0
	s_delay_alu instid0(VALU_DEP_1) | instskip(NEXT) | instid1(VALU_DEP_1)
	v_cmp_ne_u32_e64 s0, 0x7f800000, v1
	s_and_saveexec_b32 s11, s0
	s_delay_alu instid0(SALU_CYCLE_1)
	s_xor_b32 s0, exec_lo, s11
; %bb.608:                              ;   in Loop: Header=BB189_38 Depth=1
	v_bfe_u32 v1, v0, 16, 1
	s_delay_alu instid0(VALU_DEP_1)
	v_add3_u32 v113, v0, v1, 0x7fff
                                        ; implicit-def: $vgpr0
; %bb.609:                              ;   in Loop: Header=BB189_38 Depth=1
	s_and_not1_saveexec_b32 s11, s0
; %bb.610:                              ;   in Loop: Header=BB189_38 Depth=1
	v_and_b32_e32 v1, 0xffff, v0
	v_or_b32_e32 v2, 0x10000, v0
	s_delay_alu instid0(VALU_DEP_2) | instskip(NEXT) | instid1(VALU_DEP_1)
	v_cmp_eq_u32_e64 s0, 0, v1
	v_cndmask_b32_e64 v113, v2, v0, s0
; %bb.611:                              ;   in Loop: Header=BB189_38 Depth=1
	s_or_b32 exec_lo, exec_lo, s11
	v_lshlrev_b32_e32 v0, 16, v8
                                        ; implicit-def: $vgpr39
	s_delay_alu instid0(VALU_DEP_1) | instskip(NEXT) | instid1(VALU_DEP_1)
	v_mul_f32_e32 v0, v43, v0
	v_and_b32_e32 v1, 0x7f800000, v0
	s_delay_alu instid0(VALU_DEP_1) | instskip(NEXT) | instid1(VALU_DEP_1)
	v_cmp_ne_u32_e64 s0, 0x7f800000, v1
	s_and_saveexec_b32 s11, s0
	s_delay_alu instid0(SALU_CYCLE_1)
	s_xor_b32 s0, exec_lo, s11
; %bb.612:                              ;   in Loop: Header=BB189_38 Depth=1
	v_bfe_u32 v1, v0, 16, 1
	s_delay_alu instid0(VALU_DEP_1)
	v_add3_u32 v39, v0, v1, 0x7fff
                                        ; implicit-def: $vgpr0
; %bb.613:                              ;   in Loop: Header=BB189_38 Depth=1
	s_and_not1_saveexec_b32 s11, s0
; %bb.614:                              ;   in Loop: Header=BB189_38 Depth=1
	v_and_b32_e32 v1, 0xffff, v0
	v_or_b32_e32 v2, 0x10000, v0
	s_delay_alu instid0(VALU_DEP_2) | instskip(NEXT) | instid1(VALU_DEP_1)
	v_cmp_eq_u32_e64 s0, 0, v1
	v_cndmask_b32_e64 v39, v2, v0, s0
; %bb.615:                              ;   in Loop: Header=BB189_38 Depth=1
	s_or_b32 exec_lo, exec_lo, s11
	scratch_load_b32 v0, off, s32 offset:588 ; 4-byte Folded Reload
	s_waitcnt vmcnt(0)
	v_add_co_u32 v0, s0, v177, v0
	s_delay_alu instid0(VALU_DEP_1)
	v_add_co_ci_u32_e64 v1, s0, 0, v178, s0
	flat_load_b128 v[0:3], v[0:1]
	s_waitcnt vmcnt(0) lgkmcnt(0)
	v_lshrrev_b32_e32 v11, 16, v0
	v_lshrrev_b32_e32 v10, 16, v1
	;; [unrolled: 1-line block ×4, first 2 shown]
	s_and_saveexec_b32 s11, vcc_lo
	s_cbranch_execz .LBB189_617
; %bb.616:                              ;   in Loop: Header=BB189_38 Depth=1
	v_cmp_lt_i32_e64 s0, v150, v96
	s_delay_alu instid0(VALU_DEP_1) | instskip(SKIP_1) | instid1(VALU_DEP_1)
	v_cndmask_b32_e64 v0, 0, v0, s0
	v_cmp_lt_i32_e64 s0, v176, v96
	v_cndmask_b32_e64 v11, 0, v11, s0
	v_cmp_lt_i32_e64 s0, v166, v96
	s_delay_alu instid0(VALU_DEP_1) | instskip(SKIP_1) | instid1(VALU_DEP_1)
	v_cndmask_b32_e64 v1, 0, v1, s0
	v_cmp_lt_i32_e64 s0, v165, v96
	v_cndmask_b32_e64 v10, 0, v10, s0
	;; [unrolled: 5-line block ×4, first 2 shown]
.LBB189_617:                            ;   in Loop: Header=BB189_38 Depth=1
	s_or_b32 exec_lo, exec_lo, s11
	v_lshlrev_b32_e32 v0, 16, v0
                                        ; implicit-def: $vgpr21
	s_delay_alu instid0(VALU_DEP_1) | instskip(NEXT) | instid1(VALU_DEP_1)
	v_mul_f32_e32 v0, v179, v0
	v_and_b32_e32 v13, 0x7f800000, v0
	s_delay_alu instid0(VALU_DEP_1) | instskip(NEXT) | instid1(VALU_DEP_1)
	v_cmp_ne_u32_e64 s0, 0x7f800000, v13
	s_and_saveexec_b32 s11, s0
	s_delay_alu instid0(SALU_CYCLE_1)
	s_xor_b32 s0, exec_lo, s11
; %bb.618:                              ;   in Loop: Header=BB189_38 Depth=1
	v_bfe_u32 v13, v0, 16, 1
	s_delay_alu instid0(VALU_DEP_1)
	v_add3_u32 v21, v0, v13, 0x7fff
                                        ; implicit-def: $vgpr0
; %bb.619:                              ;   in Loop: Header=BB189_38 Depth=1
	s_and_not1_saveexec_b32 s11, s0
; %bb.620:                              ;   in Loop: Header=BB189_38 Depth=1
	v_and_b32_e32 v13, 0xffff, v0
	v_or_b32_e32 v14, 0x10000, v0
	s_delay_alu instid0(VALU_DEP_2) | instskip(NEXT) | instid1(VALU_DEP_1)
	v_cmp_eq_u32_e64 s0, 0, v13
	v_cndmask_b32_e64 v21, v14, v0, s0
; %bb.621:                              ;   in Loop: Header=BB189_38 Depth=1
	s_or_b32 exec_lo, exec_lo, s11
	v_lshlrev_b32_e32 v0, 16, v11
                                        ; implicit-def: $vgpr81
	s_delay_alu instid0(VALU_DEP_1) | instskip(NEXT) | instid1(VALU_DEP_1)
	v_mul_f32_e32 v0, v180, v0
	v_and_b32_e32 v11, 0x7f800000, v0
	s_delay_alu instid0(VALU_DEP_1) | instskip(NEXT) | instid1(VALU_DEP_1)
	v_cmp_ne_u32_e64 s0, 0x7f800000, v11
	s_and_saveexec_b32 s11, s0
	s_delay_alu instid0(SALU_CYCLE_1)
	s_xor_b32 s0, exec_lo, s11
; %bb.622:                              ;   in Loop: Header=BB189_38 Depth=1
	v_bfe_u32 v11, v0, 16, 1
	s_delay_alu instid0(VALU_DEP_1)
	v_add3_u32 v81, v0, v11, 0x7fff
                                        ; implicit-def: $vgpr0
; %bb.623:                              ;   in Loop: Header=BB189_38 Depth=1
	s_and_not1_saveexec_b32 s11, s0
; %bb.624:                              ;   in Loop: Header=BB189_38 Depth=1
	v_and_b32_e32 v11, 0xffff, v0
	v_or_b32_e32 v13, 0x10000, v0
	s_delay_alu instid0(VALU_DEP_2) | instskip(NEXT) | instid1(VALU_DEP_1)
	v_cmp_eq_u32_e64 s0, 0, v11
	v_cndmask_b32_e64 v81, v13, v0, s0
; %bb.625:                              ;   in Loop: Header=BB189_38 Depth=1
	s_or_b32 exec_lo, exec_lo, s11
	v_lshlrev_b32_e32 v0, 16, v1
                                        ; implicit-def: $vgpr14
	s_delay_alu instid0(VALU_DEP_1) | instskip(NEXT) | instid1(VALU_DEP_1)
	v_mul_f32_e32 v0, v181, v0
	v_and_b32_e32 v1, 0x7f800000, v0
	s_delay_alu instid0(VALU_DEP_1) | instskip(NEXT) | instid1(VALU_DEP_1)
	v_cmp_ne_u32_e64 s0, 0x7f800000, v1
	s_and_saveexec_b32 s11, s0
	s_delay_alu instid0(SALU_CYCLE_1)
	s_xor_b32 s0, exec_lo, s11
; %bb.626:                              ;   in Loop: Header=BB189_38 Depth=1
	v_bfe_u32 v1, v0, 16, 1
	s_delay_alu instid0(VALU_DEP_1)
	v_add3_u32 v14, v0, v1, 0x7fff
                                        ; implicit-def: $vgpr0
; %bb.627:                              ;   in Loop: Header=BB189_38 Depth=1
	s_and_not1_saveexec_b32 s11, s0
; %bb.628:                              ;   in Loop: Header=BB189_38 Depth=1
	v_and_b32_e32 v1, 0xffff, v0
	v_or_b32_e32 v11, 0x10000, v0
	s_delay_alu instid0(VALU_DEP_2) | instskip(NEXT) | instid1(VALU_DEP_1)
	v_cmp_eq_u32_e64 s0, 0, v1
	v_cndmask_b32_e64 v14, v11, v0, s0
; %bb.629:                              ;   in Loop: Header=BB189_38 Depth=1
	s_or_b32 exec_lo, exec_lo, s11
	v_lshlrev_b32_e32 v0, 16, v10
                                        ; implicit-def: $vgpr15
	s_delay_alu instid0(VALU_DEP_1) | instskip(NEXT) | instid1(VALU_DEP_1)
	v_mul_f32_e32 v0, v182, v0
	v_and_b32_e32 v1, 0x7f800000, v0
	s_delay_alu instid0(VALU_DEP_1) | instskip(NEXT) | instid1(VALU_DEP_1)
	v_cmp_ne_u32_e64 s0, 0x7f800000, v1
	s_and_saveexec_b32 s11, s0
	s_delay_alu instid0(SALU_CYCLE_1)
	s_xor_b32 s0, exec_lo, s11
; %bb.630:                              ;   in Loop: Header=BB189_38 Depth=1
	v_bfe_u32 v1, v0, 16, 1
	s_delay_alu instid0(VALU_DEP_1)
	v_add3_u32 v15, v0, v1, 0x7fff
                                        ; implicit-def: $vgpr0
; %bb.631:                              ;   in Loop: Header=BB189_38 Depth=1
	s_and_not1_saveexec_b32 s11, s0
; %bb.632:                              ;   in Loop: Header=BB189_38 Depth=1
	v_and_b32_e32 v1, 0xffff, v0
	v_or_b32_e32 v10, 0x10000, v0
	s_delay_alu instid0(VALU_DEP_2) | instskip(NEXT) | instid1(VALU_DEP_1)
	v_cmp_eq_u32_e64 s0, 0, v1
	v_cndmask_b32_e64 v15, v10, v0, s0
; %bb.633:                              ;   in Loop: Header=BB189_38 Depth=1
	s_or_b32 exec_lo, exec_lo, s11
	v_lshlrev_b32_e32 v0, 16, v2
                                        ; implicit-def: $vgpr10
	s_delay_alu instid0(VALU_DEP_1) | instskip(NEXT) | instid1(VALU_DEP_1)
	v_mul_f32_e32 v0, v183, v0
	v_and_b32_e32 v1, 0x7f800000, v0
	s_delay_alu instid0(VALU_DEP_1) | instskip(NEXT) | instid1(VALU_DEP_1)
	v_cmp_ne_u32_e64 s0, 0x7f800000, v1
	s_and_saveexec_b32 s11, s0
	s_delay_alu instid0(SALU_CYCLE_1)
	s_xor_b32 s0, exec_lo, s11
; %bb.634:                              ;   in Loop: Header=BB189_38 Depth=1
	v_bfe_u32 v1, v0, 16, 1
	s_delay_alu instid0(VALU_DEP_1)
	v_add3_u32 v10, v0, v1, 0x7fff
                                        ; implicit-def: $vgpr0
; %bb.635:                              ;   in Loop: Header=BB189_38 Depth=1
	s_and_not1_saveexec_b32 s11, s0
; %bb.636:                              ;   in Loop: Header=BB189_38 Depth=1
	v_and_b32_e32 v1, 0xffff, v0
	v_or_b32_e32 v2, 0x10000, v0
	s_delay_alu instid0(VALU_DEP_2) | instskip(NEXT) | instid1(VALU_DEP_1)
	v_cmp_eq_u32_e64 s0, 0, v1
	v_cndmask_b32_e64 v10, v2, v0, s0
; %bb.637:                              ;   in Loop: Header=BB189_38 Depth=1
	s_or_b32 exec_lo, exec_lo, s11
	v_lshlrev_b32_e32 v0, 16, v9
                                        ; implicit-def: $vgpr22
	s_delay_alu instid0(VALU_DEP_1) | instskip(NEXT) | instid1(VALU_DEP_1)
	v_mul_f32_e32 v0, v40, v0
	v_and_b32_e32 v1, 0x7f800000, v0
	s_delay_alu instid0(VALU_DEP_1) | instskip(NEXT) | instid1(VALU_DEP_1)
	v_cmp_ne_u32_e64 s0, 0x7f800000, v1
	s_and_saveexec_b32 s11, s0
	s_delay_alu instid0(SALU_CYCLE_1)
	s_xor_b32 s0, exec_lo, s11
; %bb.638:                              ;   in Loop: Header=BB189_38 Depth=1
	v_bfe_u32 v1, v0, 16, 1
	s_delay_alu instid0(VALU_DEP_1)
	v_add3_u32 v22, v0, v1, 0x7fff
                                        ; implicit-def: $vgpr0
; %bb.639:                              ;   in Loop: Header=BB189_38 Depth=1
	s_and_not1_saveexec_b32 s11, s0
; %bb.640:                              ;   in Loop: Header=BB189_38 Depth=1
	v_and_b32_e32 v1, 0xffff, v0
	v_or_b32_e32 v2, 0x10000, v0
	s_delay_alu instid0(VALU_DEP_2) | instskip(NEXT) | instid1(VALU_DEP_1)
	v_cmp_eq_u32_e64 s0, 0, v1
	v_cndmask_b32_e64 v22, v2, v0, s0
; %bb.641:                              ;   in Loop: Header=BB189_38 Depth=1
	s_or_b32 exec_lo, exec_lo, s11
	v_lshlrev_b32_e32 v0, 16, v3
                                        ; implicit-def: $vgpr101
	s_delay_alu instid0(VALU_DEP_1) | instskip(NEXT) | instid1(VALU_DEP_1)
	v_mul_f32_e32 v0, v42, v0
	v_and_b32_e32 v1, 0x7f800000, v0
	s_delay_alu instid0(VALU_DEP_1) | instskip(NEXT) | instid1(VALU_DEP_1)
	v_cmp_ne_u32_e64 s0, 0x7f800000, v1
	s_and_saveexec_b32 s11, s0
	s_delay_alu instid0(SALU_CYCLE_1)
	s_xor_b32 s0, exec_lo, s11
; %bb.642:                              ;   in Loop: Header=BB189_38 Depth=1
	v_bfe_u32 v1, v0, 16, 1
	s_delay_alu instid0(VALU_DEP_1)
	v_add3_u32 v101, v0, v1, 0x7fff
                                        ; implicit-def: $vgpr0
; %bb.643:                              ;   in Loop: Header=BB189_38 Depth=1
	s_and_not1_saveexec_b32 s11, s0
; %bb.644:                              ;   in Loop: Header=BB189_38 Depth=1
	v_and_b32_e32 v1, 0xffff, v0
	v_or_b32_e32 v2, 0x10000, v0
	s_delay_alu instid0(VALU_DEP_2) | instskip(NEXT) | instid1(VALU_DEP_1)
	v_cmp_eq_u32_e64 s0, 0, v1
	v_cndmask_b32_e64 v101, v2, v0, s0
; %bb.645:                              ;   in Loop: Header=BB189_38 Depth=1
	s_or_b32 exec_lo, exec_lo, s11
	v_lshlrev_b32_e32 v0, 16, v8
                                        ; implicit-def: $vgpr98
	s_delay_alu instid0(VALU_DEP_1) | instskip(NEXT) | instid1(VALU_DEP_1)
	v_mul_f32_e32 v0, v43, v0
	v_and_b32_e32 v1, 0x7f800000, v0
	s_delay_alu instid0(VALU_DEP_1) | instskip(NEXT) | instid1(VALU_DEP_1)
	v_cmp_ne_u32_e64 s0, 0x7f800000, v1
	s_and_saveexec_b32 s11, s0
	s_delay_alu instid0(SALU_CYCLE_1)
	s_xor_b32 s0, exec_lo, s11
; %bb.646:                              ;   in Loop: Header=BB189_38 Depth=1
	v_bfe_u32 v1, v0, 16, 1
	s_delay_alu instid0(VALU_DEP_1)
	v_add3_u32 v98, v0, v1, 0x7fff
                                        ; implicit-def: $vgpr0
; %bb.647:                              ;   in Loop: Header=BB189_38 Depth=1
	s_and_not1_saveexec_b32 s11, s0
; %bb.648:                              ;   in Loop: Header=BB189_38 Depth=1
	v_and_b32_e32 v1, 0xffff, v0
	v_or_b32_e32 v2, 0x10000, v0
	s_delay_alu instid0(VALU_DEP_2) | instskip(NEXT) | instid1(VALU_DEP_1)
	v_cmp_eq_u32_e64 s0, 0, v1
	v_cndmask_b32_e64 v98, v2, v0, s0
; %bb.649:                              ;   in Loop: Header=BB189_38 Depth=1
	s_or_b32 exec_lo, exec_lo, s11
	scratch_load_b32 v0, off, s32 offset:592 ; 4-byte Folded Reload
	s_waitcnt vmcnt(0)
	v_add_co_u32 v0, s0, v177, v0
	s_delay_alu instid0(VALU_DEP_1)
	v_add_co_ci_u32_e64 v1, s0, 0, v178, s0
	flat_load_b128 v[0:3], v[0:1]
	s_waitcnt vmcnt(0) lgkmcnt(0)
	v_lshrrev_b32_e32 v11, 16, v0
	v_lshrrev_b32_e32 v9, 16, v1
	;; [unrolled: 1-line block ×4, first 2 shown]
	s_and_saveexec_b32 s11, vcc_lo
	s_cbranch_execz .LBB189_651
; %bb.650:                              ;   in Loop: Header=BB189_38 Depth=1
	v_cmp_lt_i32_e64 s0, v150, v96
	s_delay_alu instid0(VALU_DEP_1) | instskip(SKIP_1) | instid1(VALU_DEP_1)
	v_cndmask_b32_e64 v0, 0, v0, s0
	v_cmp_lt_i32_e64 s0, v176, v96
	v_cndmask_b32_e64 v11, 0, v11, s0
	v_cmp_lt_i32_e64 s0, v166, v96
	s_delay_alu instid0(VALU_DEP_1) | instskip(SKIP_1) | instid1(VALU_DEP_1)
	v_cndmask_b32_e64 v1, 0, v1, s0
	v_cmp_lt_i32_e64 s0, v165, v96
	v_cndmask_b32_e64 v9, 0, v9, s0
	;; [unrolled: 5-line block ×4, first 2 shown]
.LBB189_651:                            ;   in Loop: Header=BB189_38 Depth=1
	s_or_b32 exec_lo, exec_lo, s11
	v_lshlrev_b32_e32 v0, 16, v0
                                        ; implicit-def: $vgpr99
	s_delay_alu instid0(VALU_DEP_1) | instskip(NEXT) | instid1(VALU_DEP_1)
	v_mul_f32_e32 v0, v179, v0
	v_and_b32_e32 v13, 0x7f800000, v0
	s_delay_alu instid0(VALU_DEP_1) | instskip(NEXT) | instid1(VALU_DEP_1)
	v_cmp_ne_u32_e64 s0, 0x7f800000, v13
	s_and_saveexec_b32 s11, s0
	s_delay_alu instid0(SALU_CYCLE_1)
	s_xor_b32 s0, exec_lo, s11
; %bb.652:                              ;   in Loop: Header=BB189_38 Depth=1
	v_bfe_u32 v13, v0, 16, 1
	s_delay_alu instid0(VALU_DEP_1)
	v_add3_u32 v99, v0, v13, 0x7fff
                                        ; implicit-def: $vgpr0
; %bb.653:                              ;   in Loop: Header=BB189_38 Depth=1
	s_and_not1_saveexec_b32 s11, s0
; %bb.654:                              ;   in Loop: Header=BB189_38 Depth=1
	v_and_b32_e32 v13, 0xffff, v0
	v_or_b32_e32 v16, 0x10000, v0
	s_delay_alu instid0(VALU_DEP_2) | instskip(NEXT) | instid1(VALU_DEP_1)
	v_cmp_eq_u32_e64 s0, 0, v13
	v_cndmask_b32_e64 v99, v16, v0, s0
; %bb.655:                              ;   in Loop: Header=BB189_38 Depth=1
	s_or_b32 exec_lo, exec_lo, s11
	v_lshlrev_b32_e32 v0, 16, v11
                                        ; implicit-def: $vgpr100
	s_delay_alu instid0(VALU_DEP_1) | instskip(NEXT) | instid1(VALU_DEP_1)
	v_mul_f32_e32 v0, v180, v0
	v_and_b32_e32 v11, 0x7f800000, v0
	s_delay_alu instid0(VALU_DEP_1) | instskip(NEXT) | instid1(VALU_DEP_1)
	v_cmp_ne_u32_e64 s0, 0x7f800000, v11
	s_and_saveexec_b32 s11, s0
	s_delay_alu instid0(SALU_CYCLE_1)
	s_xor_b32 s0, exec_lo, s11
; %bb.656:                              ;   in Loop: Header=BB189_38 Depth=1
	v_bfe_u32 v11, v0, 16, 1
	s_delay_alu instid0(VALU_DEP_1)
	v_add3_u32 v100, v0, v11, 0x7fff
                                        ; implicit-def: $vgpr0
; %bb.657:                              ;   in Loop: Header=BB189_38 Depth=1
	s_and_not1_saveexec_b32 s11, s0
; %bb.658:                              ;   in Loop: Header=BB189_38 Depth=1
	v_and_b32_e32 v11, 0xffff, v0
	v_or_b32_e32 v13, 0x10000, v0
	s_delay_alu instid0(VALU_DEP_2) | instskip(NEXT) | instid1(VALU_DEP_1)
	v_cmp_eq_u32_e64 s0, 0, v11
	v_cndmask_b32_e64 v100, v13, v0, s0
; %bb.659:                              ;   in Loop: Header=BB189_38 Depth=1
	s_or_b32 exec_lo, exec_lo, s11
	v_lshlrev_b32_e32 v0, 16, v1
                                        ; implicit-def: $vgpr11
	s_delay_alu instid0(VALU_DEP_1) | instskip(NEXT) | instid1(VALU_DEP_1)
	v_mul_f32_e32 v0, v181, v0
	v_and_b32_e32 v1, 0x7f800000, v0
	s_delay_alu instid0(VALU_DEP_1) | instskip(NEXT) | instid1(VALU_DEP_1)
	v_cmp_ne_u32_e64 s0, 0x7f800000, v1
	s_and_saveexec_b32 s11, s0
	s_delay_alu instid0(SALU_CYCLE_1)
	s_xor_b32 s0, exec_lo, s11
; %bb.660:                              ;   in Loop: Header=BB189_38 Depth=1
	v_bfe_u32 v1, v0, 16, 1
	s_delay_alu instid0(VALU_DEP_1)
	v_add3_u32 v11, v0, v1, 0x7fff
                                        ; implicit-def: $vgpr0
; %bb.661:                              ;   in Loop: Header=BB189_38 Depth=1
	s_and_not1_saveexec_b32 s11, s0
; %bb.662:                              ;   in Loop: Header=BB189_38 Depth=1
	v_and_b32_e32 v1, 0xffff, v0
	v_or_b32_e32 v11, 0x10000, v0
	s_delay_alu instid0(VALU_DEP_2) | instskip(NEXT) | instid1(VALU_DEP_1)
	v_cmp_eq_u32_e64 s0, 0, v1
	v_cndmask_b32_e64 v11, v11, v0, s0
; %bb.663:                              ;   in Loop: Header=BB189_38 Depth=1
	s_or_b32 exec_lo, exec_lo, s11
	v_lshlrev_b32_e32 v0, 16, v9
                                        ; implicit-def: $vgpr13
	s_delay_alu instid0(VALU_DEP_1) | instskip(NEXT) | instid1(VALU_DEP_1)
	v_mul_f32_e32 v0, v182, v0
	v_and_b32_e32 v1, 0x7f800000, v0
	s_delay_alu instid0(VALU_DEP_1) | instskip(NEXT) | instid1(VALU_DEP_1)
	v_cmp_ne_u32_e64 s0, 0x7f800000, v1
	s_and_saveexec_b32 s11, s0
	s_delay_alu instid0(SALU_CYCLE_1)
	s_xor_b32 s0, exec_lo, s11
; %bb.664:                              ;   in Loop: Header=BB189_38 Depth=1
	v_bfe_u32 v1, v0, 16, 1
	s_delay_alu instid0(VALU_DEP_1)
	v_add3_u32 v13, v0, v1, 0x7fff
                                        ; implicit-def: $vgpr0
; %bb.665:                              ;   in Loop: Header=BB189_38 Depth=1
	s_and_not1_saveexec_b32 s11, s0
; %bb.666:                              ;   in Loop: Header=BB189_38 Depth=1
	v_and_b32_e32 v1, 0xffff, v0
	v_or_b32_e32 v9, 0x10000, v0
	s_delay_alu instid0(VALU_DEP_2) | instskip(NEXT) | instid1(VALU_DEP_1)
	v_cmp_eq_u32_e64 s0, 0, v1
	v_cndmask_b32_e64 v13, v9, v0, s0
; %bb.667:                              ;   in Loop: Header=BB189_38 Depth=1
	s_or_b32 exec_lo, exec_lo, s11
	v_lshlrev_b32_e32 v0, 16, v2
                                        ; implicit-def: $vgpr16
	s_delay_alu instid0(VALU_DEP_1) | instskip(NEXT) | instid1(VALU_DEP_1)
	v_mul_f32_e32 v0, v183, v0
	v_and_b32_e32 v1, 0x7f800000, v0
	s_delay_alu instid0(VALU_DEP_1) | instskip(NEXT) | instid1(VALU_DEP_1)
	v_cmp_ne_u32_e64 s0, 0x7f800000, v1
	s_and_saveexec_b32 s11, s0
	s_delay_alu instid0(SALU_CYCLE_1)
	s_xor_b32 s0, exec_lo, s11
; %bb.668:                              ;   in Loop: Header=BB189_38 Depth=1
	v_bfe_u32 v1, v0, 16, 1
	s_delay_alu instid0(VALU_DEP_1)
	v_add3_u32 v16, v0, v1, 0x7fff
                                        ; implicit-def: $vgpr0
; %bb.669:                              ;   in Loop: Header=BB189_38 Depth=1
	s_and_not1_saveexec_b32 s11, s0
; %bb.670:                              ;   in Loop: Header=BB189_38 Depth=1
	v_and_b32_e32 v1, 0xffff, v0
	v_or_b32_e32 v2, 0x10000, v0
	s_delay_alu instid0(VALU_DEP_2) | instskip(NEXT) | instid1(VALU_DEP_1)
	v_cmp_eq_u32_e64 s0, 0, v1
	v_cndmask_b32_e64 v16, v2, v0, s0
; %bb.671:                              ;   in Loop: Header=BB189_38 Depth=1
	s_or_b32 exec_lo, exec_lo, s11
	v_lshlrev_b32_e32 v0, 16, v8
                                        ; implicit-def: $vgpr8
	s_delay_alu instid0(VALU_DEP_1) | instskip(NEXT) | instid1(VALU_DEP_1)
	v_mul_f32_e32 v0, v40, v0
	v_and_b32_e32 v1, 0x7f800000, v0
	s_delay_alu instid0(VALU_DEP_1) | instskip(NEXT) | instid1(VALU_DEP_1)
	v_cmp_ne_u32_e64 s0, 0x7f800000, v1
	s_and_saveexec_b32 s11, s0
	s_delay_alu instid0(SALU_CYCLE_1)
	s_xor_b32 s0, exec_lo, s11
; %bb.672:                              ;   in Loop: Header=BB189_38 Depth=1
	v_bfe_u32 v1, v0, 16, 1
	s_delay_alu instid0(VALU_DEP_1)
	v_add3_u32 v8, v0, v1, 0x7fff
                                        ; implicit-def: $vgpr0
; %bb.673:                              ;   in Loop: Header=BB189_38 Depth=1
	s_and_not1_saveexec_b32 s11, s0
; %bb.674:                              ;   in Loop: Header=BB189_38 Depth=1
	v_and_b32_e32 v1, 0xffff, v0
	v_or_b32_e32 v2, 0x10000, v0
	s_delay_alu instid0(VALU_DEP_2) | instskip(NEXT) | instid1(VALU_DEP_1)
	v_cmp_eq_u32_e64 s0, 0, v1
	v_cndmask_b32_e64 v8, v2, v0, s0
; %bb.675:                              ;   in Loop: Header=BB189_38 Depth=1
	s_or_b32 exec_lo, exec_lo, s11
	v_lshlrev_b32_e32 v0, 16, v3
                                        ; implicit-def: $vgpr9
	s_delay_alu instid0(VALU_DEP_1) | instskip(NEXT) | instid1(VALU_DEP_1)
	v_mul_f32_e32 v0, v42, v0
	v_and_b32_e32 v1, 0x7f800000, v0
	s_delay_alu instid0(VALU_DEP_1) | instskip(NEXT) | instid1(VALU_DEP_1)
	v_cmp_ne_u32_e64 s0, 0x7f800000, v1
	s_and_saveexec_b32 s11, s0
	s_delay_alu instid0(SALU_CYCLE_1)
	s_xor_b32 s0, exec_lo, s11
; %bb.676:                              ;   in Loop: Header=BB189_38 Depth=1
	v_bfe_u32 v1, v0, 16, 1
	s_delay_alu instid0(VALU_DEP_1)
	v_add3_u32 v9, v0, v1, 0x7fff
                                        ; implicit-def: $vgpr0
; %bb.677:                              ;   in Loop: Header=BB189_38 Depth=1
	s_and_not1_saveexec_b32 s11, s0
; %bb.678:                              ;   in Loop: Header=BB189_38 Depth=1
	v_and_b32_e32 v1, 0xffff, v0
	v_or_b32_e32 v2, 0x10000, v0
	s_delay_alu instid0(VALU_DEP_2) | instskip(NEXT) | instid1(VALU_DEP_1)
	v_cmp_eq_u32_e64 s0, 0, v1
	v_cndmask_b32_e64 v9, v2, v0, s0
; %bb.679:                              ;   in Loop: Header=BB189_38 Depth=1
	s_or_b32 exec_lo, exec_lo, s11
	v_lshlrev_b32_e32 v0, 16, v17
                                        ; implicit-def: $vgpr24
	s_delay_alu instid0(VALU_DEP_1) | instskip(NEXT) | instid1(VALU_DEP_1)
	v_mul_f32_e32 v0, v43, v0
	v_and_b32_e32 v1, 0x7f800000, v0
	s_delay_alu instid0(VALU_DEP_1) | instskip(NEXT) | instid1(VALU_DEP_1)
	v_cmp_ne_u32_e64 s0, 0x7f800000, v1
	s_and_saveexec_b32 s11, s0
	s_delay_alu instid0(SALU_CYCLE_1)
	s_xor_b32 s0, exec_lo, s11
; %bb.680:                              ;   in Loop: Header=BB189_38 Depth=1
	v_bfe_u32 v1, v0, 16, 1
	s_delay_alu instid0(VALU_DEP_1)
	v_add3_u32 v24, v0, v1, 0x7fff
                                        ; implicit-def: $vgpr0
; %bb.681:                              ;   in Loop: Header=BB189_38 Depth=1
	s_and_not1_saveexec_b32 s11, s0
; %bb.682:                              ;   in Loop: Header=BB189_38 Depth=1
	v_and_b32_e32 v1, 0xffff, v0
	v_or_b32_e32 v2, 0x10000, v0
	s_delay_alu instid0(VALU_DEP_2) | instskip(NEXT) | instid1(VALU_DEP_1)
	v_cmp_eq_u32_e64 s0, 0, v1
	v_cndmask_b32_e64 v24, v2, v0, s0
; %bb.683:                              ;   in Loop: Header=BB189_38 Depth=1
	s_or_b32 exec_lo, exec_lo, s11
	scratch_load_b32 v0, off, s32 offset:596 ; 4-byte Folded Reload
	s_waitcnt vmcnt(0)
	v_add_co_u32 v0, s0, v177, v0
	s_delay_alu instid0(VALU_DEP_1)
	v_add_co_ci_u32_e64 v1, s0, 0, v178, s0
	flat_load_b128 v[0:3], v[0:1]
	s_waitcnt vmcnt(0) lgkmcnt(0)
	v_lshrrev_b32_e32 v25, 16, v0
	v_lshrrev_b32_e32 v19, 16, v1
	;; [unrolled: 1-line block ×4, first 2 shown]
	s_and_saveexec_b32 s11, vcc_lo
	s_cbranch_execz .LBB189_685
; %bb.684:                              ;   in Loop: Header=BB189_38 Depth=1
	v_cmp_lt_i32_e64 s0, v150, v96
	s_delay_alu instid0(VALU_DEP_1) | instskip(SKIP_1) | instid1(VALU_DEP_1)
	v_cndmask_b32_e64 v0, 0, v0, s0
	v_cmp_lt_i32_e64 s0, v176, v96
	v_cndmask_b32_e64 v25, 0, v25, s0
	v_cmp_lt_i32_e64 s0, v166, v96
	s_delay_alu instid0(VALU_DEP_1) | instskip(SKIP_1) | instid1(VALU_DEP_1)
	v_cndmask_b32_e64 v1, 0, v1, s0
	v_cmp_lt_i32_e64 s0, v165, v96
	v_cndmask_b32_e64 v19, 0, v19, s0
	;; [unrolled: 5-line block ×4, first 2 shown]
.LBB189_685:                            ;   in Loop: Header=BB189_38 Depth=1
	s_or_b32 exec_lo, exec_lo, s11
	v_lshlrev_b32_e32 v0, 16, v0
                                        ; implicit-def: $vgpr114
	s_delay_alu instid0(VALU_DEP_1) | instskip(NEXT) | instid1(VALU_DEP_1)
	v_mul_f32_e32 v0, v179, v0
	v_and_b32_e32 v27, 0x7f800000, v0
	s_delay_alu instid0(VALU_DEP_1) | instskip(NEXT) | instid1(VALU_DEP_1)
	v_cmp_ne_u32_e64 s0, 0x7f800000, v27
	s_and_saveexec_b32 s11, s0
	s_delay_alu instid0(SALU_CYCLE_1)
	s_xor_b32 s0, exec_lo, s11
; %bb.686:                              ;   in Loop: Header=BB189_38 Depth=1
	v_bfe_u32 v27, v0, 16, 1
	s_delay_alu instid0(VALU_DEP_1)
	v_add3_u32 v114, v0, v27, 0x7fff
                                        ; implicit-def: $vgpr0
; %bb.687:                              ;   in Loop: Header=BB189_38 Depth=1
	s_and_not1_saveexec_b32 s11, s0
; %bb.688:                              ;   in Loop: Header=BB189_38 Depth=1
	v_and_b32_e32 v27, 0xffff, v0
	v_or_b32_e32 v28, 0x10000, v0
	s_delay_alu instid0(VALU_DEP_2) | instskip(NEXT) | instid1(VALU_DEP_1)
	v_cmp_eq_u32_e64 s0, 0, v27
	v_cndmask_b32_e64 v114, v28, v0, s0
; %bb.689:                              ;   in Loop: Header=BB189_38 Depth=1
	s_or_b32 exec_lo, exec_lo, s11
	v_lshlrev_b32_e32 v0, 16, v25
                                        ; implicit-def: $vgpr115
	s_delay_alu instid0(VALU_DEP_1) | instskip(NEXT) | instid1(VALU_DEP_1)
	v_mul_f32_e32 v0, v180, v0
	v_and_b32_e32 v25, 0x7f800000, v0
	s_delay_alu instid0(VALU_DEP_1) | instskip(NEXT) | instid1(VALU_DEP_1)
	v_cmp_ne_u32_e64 s0, 0x7f800000, v25
	s_and_saveexec_b32 s11, s0
	s_delay_alu instid0(SALU_CYCLE_1)
	s_xor_b32 s0, exec_lo, s11
; %bb.690:                              ;   in Loop: Header=BB189_38 Depth=1
	v_bfe_u32 v25, v0, 16, 1
	s_delay_alu instid0(VALU_DEP_1)
	v_add3_u32 v115, v0, v25, 0x7fff
                                        ; implicit-def: $vgpr0
; %bb.691:                              ;   in Loop: Header=BB189_38 Depth=1
	s_and_not1_saveexec_b32 s11, s0
; %bb.692:                              ;   in Loop: Header=BB189_38 Depth=1
	v_and_b32_e32 v25, 0xffff, v0
	v_or_b32_e32 v27, 0x10000, v0
	s_delay_alu instid0(VALU_DEP_2) | instskip(NEXT) | instid1(VALU_DEP_1)
	v_cmp_eq_u32_e64 s0, 0, v25
	v_cndmask_b32_e64 v115, v27, v0, s0
; %bb.693:                              ;   in Loop: Header=BB189_38 Depth=1
	s_or_b32 exec_lo, exec_lo, s11
	v_lshlrev_b32_e32 v0, 16, v1
                                        ; implicit-def: $vgpr116
	s_delay_alu instid0(VALU_DEP_1) | instskip(NEXT) | instid1(VALU_DEP_1)
	v_mul_f32_e32 v0, v181, v0
	v_and_b32_e32 v1, 0x7f800000, v0
	s_delay_alu instid0(VALU_DEP_1) | instskip(NEXT) | instid1(VALU_DEP_1)
	v_cmp_ne_u32_e64 s0, 0x7f800000, v1
	s_and_saveexec_b32 s11, s0
	s_delay_alu instid0(SALU_CYCLE_1)
	s_xor_b32 s0, exec_lo, s11
; %bb.694:                              ;   in Loop: Header=BB189_38 Depth=1
	v_bfe_u32 v1, v0, 16, 1
	s_delay_alu instid0(VALU_DEP_1)
	v_add3_u32 v116, v0, v1, 0x7fff
                                        ; implicit-def: $vgpr0
; %bb.695:                              ;   in Loop: Header=BB189_38 Depth=1
	s_and_not1_saveexec_b32 s11, s0
; %bb.696:                              ;   in Loop: Header=BB189_38 Depth=1
	v_and_b32_e32 v1, 0xffff, v0
	v_or_b32_e32 v25, 0x10000, v0
	s_delay_alu instid0(VALU_DEP_2) | instskip(NEXT) | instid1(VALU_DEP_1)
	v_cmp_eq_u32_e64 s0, 0, v1
	v_cndmask_b32_e64 v116, v25, v0, s0
; %bb.697:                              ;   in Loop: Header=BB189_38 Depth=1
	s_or_b32 exec_lo, exec_lo, s11
	v_lshlrev_b32_e32 v0, 16, v19
                                        ; implicit-def: $vgpr117
	s_delay_alu instid0(VALU_DEP_1) | instskip(NEXT) | instid1(VALU_DEP_1)
	v_mul_f32_e32 v0, v182, v0
	v_and_b32_e32 v1, 0x7f800000, v0
	s_delay_alu instid0(VALU_DEP_1) | instskip(NEXT) | instid1(VALU_DEP_1)
	v_cmp_ne_u32_e64 s0, 0x7f800000, v1
	s_and_saveexec_b32 s11, s0
	s_delay_alu instid0(SALU_CYCLE_1)
	s_xor_b32 s0, exec_lo, s11
; %bb.698:                              ;   in Loop: Header=BB189_38 Depth=1
	v_bfe_u32 v1, v0, 16, 1
	s_delay_alu instid0(VALU_DEP_1)
	v_add3_u32 v117, v0, v1, 0x7fff
                                        ; implicit-def: $vgpr0
; %bb.699:                              ;   in Loop: Header=BB189_38 Depth=1
	s_and_not1_saveexec_b32 s11, s0
; %bb.700:                              ;   in Loop: Header=BB189_38 Depth=1
	v_and_b32_e32 v1, 0xffff, v0
	v_or_b32_e32 v19, 0x10000, v0
	s_delay_alu instid0(VALU_DEP_2) | instskip(NEXT) | instid1(VALU_DEP_1)
	v_cmp_eq_u32_e64 s0, 0, v1
	v_cndmask_b32_e64 v117, v19, v0, s0
; %bb.701:                              ;   in Loop: Header=BB189_38 Depth=1
	s_or_b32 exec_lo, exec_lo, s11
	v_lshlrev_b32_e32 v0, 16, v2
                                        ; implicit-def: $vgpr118
	s_delay_alu instid0(VALU_DEP_1) | instskip(NEXT) | instid1(VALU_DEP_1)
	v_mul_f32_e32 v0, v183, v0
	v_and_b32_e32 v1, 0x7f800000, v0
	s_delay_alu instid0(VALU_DEP_1) | instskip(NEXT) | instid1(VALU_DEP_1)
	v_cmp_ne_u32_e64 s0, 0x7f800000, v1
	s_and_saveexec_b32 s11, s0
	s_delay_alu instid0(SALU_CYCLE_1)
	s_xor_b32 s0, exec_lo, s11
; %bb.702:                              ;   in Loop: Header=BB189_38 Depth=1
	v_bfe_u32 v1, v0, 16, 1
	s_delay_alu instid0(VALU_DEP_1)
	v_add3_u32 v118, v0, v1, 0x7fff
                                        ; implicit-def: $vgpr0
; %bb.703:                              ;   in Loop: Header=BB189_38 Depth=1
	s_and_not1_saveexec_b32 s11, s0
; %bb.704:                              ;   in Loop: Header=BB189_38 Depth=1
	v_and_b32_e32 v1, 0xffff, v0
	v_or_b32_e32 v2, 0x10000, v0
	s_delay_alu instid0(VALU_DEP_2) | instskip(NEXT) | instid1(VALU_DEP_1)
	v_cmp_eq_u32_e64 s0, 0, v1
	v_cndmask_b32_e64 v118, v2, v0, s0
; %bb.705:                              ;   in Loop: Header=BB189_38 Depth=1
	s_or_b32 exec_lo, exec_lo, s11
	v_lshlrev_b32_e32 v0, 16, v18
                                        ; implicit-def: $vgpr128
	s_delay_alu instid0(VALU_DEP_1) | instskip(NEXT) | instid1(VALU_DEP_1)
	v_mul_f32_e32 v0, v40, v0
	v_and_b32_e32 v1, 0x7f800000, v0
	s_delay_alu instid0(VALU_DEP_1) | instskip(NEXT) | instid1(VALU_DEP_1)
	v_cmp_ne_u32_e64 s0, 0x7f800000, v1
	s_and_saveexec_b32 s11, s0
	s_delay_alu instid0(SALU_CYCLE_1)
	s_xor_b32 s0, exec_lo, s11
; %bb.706:                              ;   in Loop: Header=BB189_38 Depth=1
	v_bfe_u32 v1, v0, 16, 1
	s_delay_alu instid0(VALU_DEP_1)
	v_add3_u32 v128, v0, v1, 0x7fff
                                        ; implicit-def: $vgpr0
; %bb.707:                              ;   in Loop: Header=BB189_38 Depth=1
	s_and_not1_saveexec_b32 s11, s0
; %bb.708:                              ;   in Loop: Header=BB189_38 Depth=1
	v_and_b32_e32 v1, 0xffff, v0
	v_or_b32_e32 v2, 0x10000, v0
	s_delay_alu instid0(VALU_DEP_2) | instskip(NEXT) | instid1(VALU_DEP_1)
	v_cmp_eq_u32_e64 s0, 0, v1
	v_cndmask_b32_e64 v128, v2, v0, s0
; %bb.709:                              ;   in Loop: Header=BB189_38 Depth=1
	s_or_b32 exec_lo, exec_lo, s11
	v_lshlrev_b32_e32 v0, 16, v3
                                        ; implicit-def: $vgpr119
	s_delay_alu instid0(VALU_DEP_1) | instskip(NEXT) | instid1(VALU_DEP_1)
	v_mul_f32_e32 v0, v42, v0
	v_and_b32_e32 v1, 0x7f800000, v0
	s_delay_alu instid0(VALU_DEP_1) | instskip(NEXT) | instid1(VALU_DEP_1)
	v_cmp_ne_u32_e64 s0, 0x7f800000, v1
	s_and_saveexec_b32 s11, s0
	s_delay_alu instid0(SALU_CYCLE_1)
	s_xor_b32 s0, exec_lo, s11
; %bb.710:                              ;   in Loop: Header=BB189_38 Depth=1
	v_bfe_u32 v1, v0, 16, 1
	s_delay_alu instid0(VALU_DEP_1)
	v_add3_u32 v119, v0, v1, 0x7fff
                                        ; implicit-def: $vgpr0
; %bb.711:                              ;   in Loop: Header=BB189_38 Depth=1
	s_and_not1_saveexec_b32 s11, s0
; %bb.712:                              ;   in Loop: Header=BB189_38 Depth=1
	v_and_b32_e32 v1, 0xffff, v0
	v_or_b32_e32 v2, 0x10000, v0
	s_delay_alu instid0(VALU_DEP_2) | instskip(NEXT) | instid1(VALU_DEP_1)
	v_cmp_eq_u32_e64 s0, 0, v1
	v_cndmask_b32_e64 v119, v2, v0, s0
; %bb.713:                              ;   in Loop: Header=BB189_38 Depth=1
	s_or_b32 exec_lo, exec_lo, s11
	v_lshlrev_b32_e32 v0, 16, v17
                                        ; implicit-def: $vgpr129
	s_delay_alu instid0(VALU_DEP_1) | instskip(NEXT) | instid1(VALU_DEP_1)
	v_mul_f32_e32 v0, v43, v0
	v_and_b32_e32 v1, 0x7f800000, v0
	s_delay_alu instid0(VALU_DEP_1) | instskip(NEXT) | instid1(VALU_DEP_1)
	v_cmp_ne_u32_e64 s0, 0x7f800000, v1
	s_and_saveexec_b32 s11, s0
	s_delay_alu instid0(SALU_CYCLE_1)
	s_xor_b32 s0, exec_lo, s11
; %bb.714:                              ;   in Loop: Header=BB189_38 Depth=1
	v_bfe_u32 v1, v0, 16, 1
	s_delay_alu instid0(VALU_DEP_1)
	v_add3_u32 v129, v0, v1, 0x7fff
                                        ; implicit-def: $vgpr0
; %bb.715:                              ;   in Loop: Header=BB189_38 Depth=1
	s_and_not1_saveexec_b32 s11, s0
; %bb.716:                              ;   in Loop: Header=BB189_38 Depth=1
	v_and_b32_e32 v1, 0xffff, v0
	v_or_b32_e32 v2, 0x10000, v0
	s_delay_alu instid0(VALU_DEP_2) | instskip(NEXT) | instid1(VALU_DEP_1)
	v_cmp_eq_u32_e64 s0, 0, v1
	v_cndmask_b32_e64 v129, v2, v0, s0
; %bb.717:                              ;   in Loop: Header=BB189_38 Depth=1
	s_or_b32 exec_lo, exec_lo, s11
	scratch_load_b32 v0, off, s32 offset:600 ; 4-byte Folded Reload
	s_waitcnt vmcnt(0)
	v_add_co_u32 v0, s0, v177, v0
	s_delay_alu instid0(VALU_DEP_1)
	v_add_co_ci_u32_e64 v1, s0, 0, v178, s0
	flat_load_b128 v[0:3], v[0:1]
	s_waitcnt vmcnt(0) lgkmcnt(0)
	v_lshrrev_b32_e32 v25, 16, v0
	v_lshrrev_b32_e32 v19, 16, v1
	v_lshrrev_b32_e32 v18, 16, v2
	v_lshrrev_b32_e32 v17, 16, v3
	s_and_saveexec_b32 s11, vcc_lo
	s_cbranch_execz .LBB189_719
; %bb.718:                              ;   in Loop: Header=BB189_38 Depth=1
	v_cmp_lt_i32_e64 s0, v150, v96
	s_delay_alu instid0(VALU_DEP_1) | instskip(SKIP_1) | instid1(VALU_DEP_1)
	v_cndmask_b32_e64 v0, 0, v0, s0
	v_cmp_lt_i32_e64 s0, v176, v96
	v_cndmask_b32_e64 v25, 0, v25, s0
	v_cmp_lt_i32_e64 s0, v166, v96
	s_delay_alu instid0(VALU_DEP_1) | instskip(SKIP_1) | instid1(VALU_DEP_1)
	v_cndmask_b32_e64 v1, 0, v1, s0
	v_cmp_lt_i32_e64 s0, v165, v96
	v_cndmask_b32_e64 v19, 0, v19, s0
	v_cmp_lt_i32_e64 s0, v164, v96
	s_delay_alu instid0(VALU_DEP_1) | instskip(SKIP_1) | instid1(VALU_DEP_1)
	v_cndmask_b32_e64 v2, 0, v2, s0
	v_cmp_lt_i32_e64 s0, v162, v96
	v_cndmask_b32_e64 v18, 0, v18, s0
	v_cmp_lt_i32_e64 s0, v161, v96
	s_delay_alu instid0(VALU_DEP_1) | instskip(SKIP_1) | instid1(VALU_DEP_1)
	v_cndmask_b32_e64 v3, 0, v3, s0
	v_cmp_lt_i32_e64 s0, v163, v96
	v_cndmask_b32_e64 v17, 0, v17, s0
.LBB189_719:                            ;   in Loop: Header=BB189_38 Depth=1
	s_or_b32 exec_lo, exec_lo, s11
	v_lshlrev_b32_e32 v0, 16, v0
                                        ; implicit-def: $vgpr130
	s_delay_alu instid0(VALU_DEP_1) | instskip(NEXT) | instid1(VALU_DEP_1)
	v_mul_f32_e32 v0, v179, v0
	v_and_b32_e32 v27, 0x7f800000, v0
	s_delay_alu instid0(VALU_DEP_1) | instskip(NEXT) | instid1(VALU_DEP_1)
	v_cmp_ne_u32_e64 s0, 0x7f800000, v27
	s_and_saveexec_b32 s11, s0
	s_delay_alu instid0(SALU_CYCLE_1)
	s_xor_b32 s0, exec_lo, s11
; %bb.720:                              ;   in Loop: Header=BB189_38 Depth=1
	v_bfe_u32 v27, v0, 16, 1
	s_delay_alu instid0(VALU_DEP_1)
	v_add3_u32 v130, v0, v27, 0x7fff
                                        ; implicit-def: $vgpr0
; %bb.721:                              ;   in Loop: Header=BB189_38 Depth=1
	s_and_not1_saveexec_b32 s11, s0
; %bb.722:                              ;   in Loop: Header=BB189_38 Depth=1
	v_and_b32_e32 v27, 0xffff, v0
	v_or_b32_e32 v28, 0x10000, v0
	s_delay_alu instid0(VALU_DEP_2) | instskip(NEXT) | instid1(VALU_DEP_1)
	v_cmp_eq_u32_e64 s0, 0, v27
	v_cndmask_b32_e64 v130, v28, v0, s0
; %bb.723:                              ;   in Loop: Header=BB189_38 Depth=1
	s_or_b32 exec_lo, exec_lo, s11
	v_lshlrev_b32_e32 v0, 16, v25
                                        ; implicit-def: $vgpr131
	s_delay_alu instid0(VALU_DEP_1) | instskip(NEXT) | instid1(VALU_DEP_1)
	v_mul_f32_e32 v0, v180, v0
	v_and_b32_e32 v25, 0x7f800000, v0
	s_delay_alu instid0(VALU_DEP_1) | instskip(NEXT) | instid1(VALU_DEP_1)
	v_cmp_ne_u32_e64 s0, 0x7f800000, v25
	s_and_saveexec_b32 s11, s0
	s_delay_alu instid0(SALU_CYCLE_1)
	s_xor_b32 s0, exec_lo, s11
; %bb.724:                              ;   in Loop: Header=BB189_38 Depth=1
	v_bfe_u32 v25, v0, 16, 1
	s_delay_alu instid0(VALU_DEP_1)
	v_add3_u32 v131, v0, v25, 0x7fff
                                        ; implicit-def: $vgpr0
; %bb.725:                              ;   in Loop: Header=BB189_38 Depth=1
	s_and_not1_saveexec_b32 s11, s0
; %bb.726:                              ;   in Loop: Header=BB189_38 Depth=1
	v_and_b32_e32 v25, 0xffff, v0
	v_or_b32_e32 v27, 0x10000, v0
	s_delay_alu instid0(VALU_DEP_2) | instskip(NEXT) | instid1(VALU_DEP_1)
	v_cmp_eq_u32_e64 s0, 0, v25
	v_cndmask_b32_e64 v131, v27, v0, s0
; %bb.727:                              ;   in Loop: Header=BB189_38 Depth=1
	s_or_b32 exec_lo, exec_lo, s11
	v_lshlrev_b32_e32 v0, 16, v1
                                        ; implicit-def: $vgpr132
	s_delay_alu instid0(VALU_DEP_1) | instskip(NEXT) | instid1(VALU_DEP_1)
	v_mul_f32_e32 v0, v181, v0
	v_and_b32_e32 v1, 0x7f800000, v0
	s_delay_alu instid0(VALU_DEP_1) | instskip(NEXT) | instid1(VALU_DEP_1)
	v_cmp_ne_u32_e64 s0, 0x7f800000, v1
	s_and_saveexec_b32 s11, s0
	s_delay_alu instid0(SALU_CYCLE_1)
	s_xor_b32 s0, exec_lo, s11
; %bb.728:                              ;   in Loop: Header=BB189_38 Depth=1
	v_bfe_u32 v1, v0, 16, 1
	s_delay_alu instid0(VALU_DEP_1)
	v_add3_u32 v132, v0, v1, 0x7fff
                                        ; implicit-def: $vgpr0
; %bb.729:                              ;   in Loop: Header=BB189_38 Depth=1
	s_and_not1_saveexec_b32 s11, s0
; %bb.730:                              ;   in Loop: Header=BB189_38 Depth=1
	v_and_b32_e32 v1, 0xffff, v0
	v_or_b32_e32 v25, 0x10000, v0
	s_delay_alu instid0(VALU_DEP_2) | instskip(NEXT) | instid1(VALU_DEP_1)
	v_cmp_eq_u32_e64 s0, 0, v1
	v_cndmask_b32_e64 v132, v25, v0, s0
; %bb.731:                              ;   in Loop: Header=BB189_38 Depth=1
	s_or_b32 exec_lo, exec_lo, s11
	v_lshlrev_b32_e32 v0, 16, v19
                                        ; implicit-def: $vgpr133
	s_delay_alu instid0(VALU_DEP_1) | instskip(NEXT) | instid1(VALU_DEP_1)
	v_mul_f32_e32 v0, v182, v0
	v_and_b32_e32 v1, 0x7f800000, v0
	s_delay_alu instid0(VALU_DEP_1) | instskip(NEXT) | instid1(VALU_DEP_1)
	v_cmp_ne_u32_e64 s0, 0x7f800000, v1
	s_and_saveexec_b32 s11, s0
	s_delay_alu instid0(SALU_CYCLE_1)
	s_xor_b32 s0, exec_lo, s11
; %bb.732:                              ;   in Loop: Header=BB189_38 Depth=1
	v_bfe_u32 v1, v0, 16, 1
	s_delay_alu instid0(VALU_DEP_1)
	v_add3_u32 v133, v0, v1, 0x7fff
                                        ; implicit-def: $vgpr0
; %bb.733:                              ;   in Loop: Header=BB189_38 Depth=1
	s_and_not1_saveexec_b32 s11, s0
; %bb.734:                              ;   in Loop: Header=BB189_38 Depth=1
	v_and_b32_e32 v1, 0xffff, v0
	v_or_b32_e32 v19, 0x10000, v0
	s_delay_alu instid0(VALU_DEP_2) | instskip(NEXT) | instid1(VALU_DEP_1)
	v_cmp_eq_u32_e64 s0, 0, v1
	v_cndmask_b32_e64 v133, v19, v0, s0
; %bb.735:                              ;   in Loop: Header=BB189_38 Depth=1
	s_or_b32 exec_lo, exec_lo, s11
	v_lshlrev_b32_e32 v0, 16, v2
                                        ; implicit-def: $vgpr134
	s_delay_alu instid0(VALU_DEP_1) | instskip(NEXT) | instid1(VALU_DEP_1)
	v_mul_f32_e32 v0, v183, v0
	v_and_b32_e32 v1, 0x7f800000, v0
	s_delay_alu instid0(VALU_DEP_1) | instskip(NEXT) | instid1(VALU_DEP_1)
	v_cmp_ne_u32_e64 s0, 0x7f800000, v1
	s_and_saveexec_b32 s11, s0
	s_delay_alu instid0(SALU_CYCLE_1)
	s_xor_b32 s0, exec_lo, s11
; %bb.736:                              ;   in Loop: Header=BB189_38 Depth=1
	v_bfe_u32 v1, v0, 16, 1
	s_delay_alu instid0(VALU_DEP_1)
	v_add3_u32 v134, v0, v1, 0x7fff
                                        ; implicit-def: $vgpr0
; %bb.737:                              ;   in Loop: Header=BB189_38 Depth=1
	s_and_not1_saveexec_b32 s11, s0
; %bb.738:                              ;   in Loop: Header=BB189_38 Depth=1
	v_and_b32_e32 v1, 0xffff, v0
	v_or_b32_e32 v2, 0x10000, v0
	s_delay_alu instid0(VALU_DEP_2) | instskip(NEXT) | instid1(VALU_DEP_1)
	v_cmp_eq_u32_e64 s0, 0, v1
	v_cndmask_b32_e64 v134, v2, v0, s0
; %bb.739:                              ;   in Loop: Header=BB189_38 Depth=1
	s_or_b32 exec_lo, exec_lo, s11
	v_lshlrev_b32_e32 v0, 16, v18
                                        ; implicit-def: $vgpr135
	s_delay_alu instid0(VALU_DEP_1) | instskip(NEXT) | instid1(VALU_DEP_1)
	v_mul_f32_e32 v0, v40, v0
	v_and_b32_e32 v1, 0x7f800000, v0
	s_delay_alu instid0(VALU_DEP_1) | instskip(NEXT) | instid1(VALU_DEP_1)
	v_cmp_ne_u32_e64 s0, 0x7f800000, v1
	s_and_saveexec_b32 s11, s0
	s_delay_alu instid0(SALU_CYCLE_1)
	s_xor_b32 s0, exec_lo, s11
; %bb.740:                              ;   in Loop: Header=BB189_38 Depth=1
	v_bfe_u32 v1, v0, 16, 1
	s_delay_alu instid0(VALU_DEP_1)
	v_add3_u32 v135, v0, v1, 0x7fff
                                        ; implicit-def: $vgpr0
; %bb.741:                              ;   in Loop: Header=BB189_38 Depth=1
	s_and_not1_saveexec_b32 s11, s0
; %bb.742:                              ;   in Loop: Header=BB189_38 Depth=1
	v_and_b32_e32 v1, 0xffff, v0
	v_or_b32_e32 v2, 0x10000, v0
	s_delay_alu instid0(VALU_DEP_2) | instskip(NEXT) | instid1(VALU_DEP_1)
	v_cmp_eq_u32_e64 s0, 0, v1
	v_cndmask_b32_e64 v135, v2, v0, s0
; %bb.743:                              ;   in Loop: Header=BB189_38 Depth=1
	s_or_b32 exec_lo, exec_lo, s11
	v_lshlrev_b32_e32 v0, 16, v3
                                        ; implicit-def: $vgpr144
	s_delay_alu instid0(VALU_DEP_1) | instskip(NEXT) | instid1(VALU_DEP_1)
	v_mul_f32_e32 v0, v42, v0
	v_and_b32_e32 v1, 0x7f800000, v0
	s_delay_alu instid0(VALU_DEP_1) | instskip(NEXT) | instid1(VALU_DEP_1)
	v_cmp_ne_u32_e64 s0, 0x7f800000, v1
	s_and_saveexec_b32 s11, s0
	s_delay_alu instid0(SALU_CYCLE_1)
	s_xor_b32 s0, exec_lo, s11
; %bb.744:                              ;   in Loop: Header=BB189_38 Depth=1
	v_bfe_u32 v1, v0, 16, 1
	s_delay_alu instid0(VALU_DEP_1)
	v_add3_u32 v144, v0, v1, 0x7fff
                                        ; implicit-def: $vgpr0
; %bb.745:                              ;   in Loop: Header=BB189_38 Depth=1
	s_and_not1_saveexec_b32 s11, s0
; %bb.746:                              ;   in Loop: Header=BB189_38 Depth=1
	v_and_b32_e32 v1, 0xffff, v0
	v_or_b32_e32 v2, 0x10000, v0
	s_delay_alu instid0(VALU_DEP_2) | instskip(NEXT) | instid1(VALU_DEP_1)
	v_cmp_eq_u32_e64 s0, 0, v1
	v_cndmask_b32_e64 v144, v2, v0, s0
; %bb.747:                              ;   in Loop: Header=BB189_38 Depth=1
	s_or_b32 exec_lo, exec_lo, s11
	v_lshlrev_b32_e32 v0, 16, v17
                                        ; implicit-def: $vgpr145
	s_delay_alu instid0(VALU_DEP_1) | instskip(NEXT) | instid1(VALU_DEP_1)
	v_mul_f32_e32 v0, v43, v0
	v_and_b32_e32 v1, 0x7f800000, v0
	s_delay_alu instid0(VALU_DEP_1) | instskip(NEXT) | instid1(VALU_DEP_1)
	v_cmp_ne_u32_e64 s0, 0x7f800000, v1
	s_and_saveexec_b32 s11, s0
	s_delay_alu instid0(SALU_CYCLE_1)
	s_xor_b32 s0, exec_lo, s11
; %bb.748:                              ;   in Loop: Header=BB189_38 Depth=1
	v_bfe_u32 v1, v0, 16, 1
	s_delay_alu instid0(VALU_DEP_1)
	v_add3_u32 v145, v0, v1, 0x7fff
                                        ; implicit-def: $vgpr0
; %bb.749:                              ;   in Loop: Header=BB189_38 Depth=1
	s_and_not1_saveexec_b32 s11, s0
; %bb.750:                              ;   in Loop: Header=BB189_38 Depth=1
	v_and_b32_e32 v1, 0xffff, v0
	v_or_b32_e32 v2, 0x10000, v0
	s_delay_alu instid0(VALU_DEP_2) | instskip(NEXT) | instid1(VALU_DEP_1)
	v_cmp_eq_u32_e64 s0, 0, v1
	v_cndmask_b32_e64 v145, v2, v0, s0
; %bb.751:                              ;   in Loop: Header=BB189_38 Depth=1
	s_or_b32 exec_lo, exec_lo, s11
	scratch_load_b32 v0, off, s32 offset:604 ; 4-byte Folded Reload
	s_waitcnt vmcnt(0)
	v_add_co_u32 v0, s0, v177, v0
	s_delay_alu instid0(VALU_DEP_1)
	v_add_co_ci_u32_e64 v1, s0, 0, v178, s0
	flat_load_b128 v[0:3], v[0:1]
	s_waitcnt vmcnt(0) lgkmcnt(0)
	v_lshrrev_b32_e32 v25, 16, v0
	v_lshrrev_b32_e32 v17, 16, v1
	;; [unrolled: 1-line block ×4, first 2 shown]
	s_and_saveexec_b32 s11, vcc_lo
	s_cbranch_execz .LBB189_753
; %bb.752:                              ;   in Loop: Header=BB189_38 Depth=1
	v_cmp_lt_i32_e64 s0, v150, v96
	s_delay_alu instid0(VALU_DEP_1) | instskip(SKIP_1) | instid1(VALU_DEP_1)
	v_cndmask_b32_e64 v0, 0, v0, s0
	v_cmp_lt_i32_e64 s0, v176, v96
	v_cndmask_b32_e64 v25, 0, v25, s0
	v_cmp_lt_i32_e64 s0, v166, v96
	s_delay_alu instid0(VALU_DEP_1) | instskip(SKIP_1) | instid1(VALU_DEP_1)
	v_cndmask_b32_e64 v1, 0, v1, s0
	v_cmp_lt_i32_e64 s0, v165, v96
	v_cndmask_b32_e64 v17, 0, v17, s0
	;; [unrolled: 5-line block ×4, first 2 shown]
.LBB189_753:                            ;   in Loop: Header=BB189_38 Depth=1
	s_or_b32 exec_lo, exec_lo, s11
	v_lshlrev_b32_e32 v0, 16, v0
                                        ; implicit-def: $vgpr146
	s_delay_alu instid0(VALU_DEP_1) | instskip(NEXT) | instid1(VALU_DEP_1)
	v_mul_f32_e32 v0, v179, v0
	v_and_b32_e32 v27, 0x7f800000, v0
	s_delay_alu instid0(VALU_DEP_1) | instskip(NEXT) | instid1(VALU_DEP_1)
	v_cmp_ne_u32_e64 s0, 0x7f800000, v27
	s_and_saveexec_b32 s11, s0
	s_delay_alu instid0(SALU_CYCLE_1)
	s_xor_b32 s0, exec_lo, s11
; %bb.754:                              ;   in Loop: Header=BB189_38 Depth=1
	v_bfe_u32 v27, v0, 16, 1
	s_delay_alu instid0(VALU_DEP_1)
	v_add3_u32 v146, v0, v27, 0x7fff
                                        ; implicit-def: $vgpr0
; %bb.755:                              ;   in Loop: Header=BB189_38 Depth=1
	s_and_not1_saveexec_b32 s11, s0
; %bb.756:                              ;   in Loop: Header=BB189_38 Depth=1
	v_and_b32_e32 v27, 0xffff, v0
	v_or_b32_e32 v28, 0x10000, v0
	s_delay_alu instid0(VALU_DEP_2) | instskip(NEXT) | instid1(VALU_DEP_1)
	v_cmp_eq_u32_e64 s0, 0, v27
	v_cndmask_b32_e64 v146, v28, v0, s0
; %bb.757:                              ;   in Loop: Header=BB189_38 Depth=1
	s_or_b32 exec_lo, exec_lo, s11
	v_lshlrev_b32_e32 v0, 16, v25
                                        ; implicit-def: $vgpr147
	s_delay_alu instid0(VALU_DEP_1) | instskip(NEXT) | instid1(VALU_DEP_1)
	v_mul_f32_e32 v0, v180, v0
	v_and_b32_e32 v25, 0x7f800000, v0
	s_delay_alu instid0(VALU_DEP_1) | instskip(NEXT) | instid1(VALU_DEP_1)
	v_cmp_ne_u32_e64 s0, 0x7f800000, v25
	s_and_saveexec_b32 s11, s0
	s_delay_alu instid0(SALU_CYCLE_1)
	s_xor_b32 s0, exec_lo, s11
; %bb.758:                              ;   in Loop: Header=BB189_38 Depth=1
	v_bfe_u32 v25, v0, 16, 1
	s_delay_alu instid0(VALU_DEP_1)
	v_add3_u32 v147, v0, v25, 0x7fff
                                        ; implicit-def: $vgpr0
; %bb.759:                              ;   in Loop: Header=BB189_38 Depth=1
	s_and_not1_saveexec_b32 s11, s0
; %bb.760:                              ;   in Loop: Header=BB189_38 Depth=1
	v_and_b32_e32 v25, 0xffff, v0
	v_or_b32_e32 v27, 0x10000, v0
	s_delay_alu instid0(VALU_DEP_2) | instskip(NEXT) | instid1(VALU_DEP_1)
	v_cmp_eq_u32_e64 s0, 0, v25
	v_cndmask_b32_e64 v147, v27, v0, s0
; %bb.761:                              ;   in Loop: Header=BB189_38 Depth=1
	s_or_b32 exec_lo, exec_lo, s11
	v_lshlrev_b32_e32 v0, 16, v1
                                        ; implicit-def: $vgpr148
	s_delay_alu instid0(VALU_DEP_1) | instskip(NEXT) | instid1(VALU_DEP_1)
	v_mul_f32_e32 v0, v181, v0
	v_and_b32_e32 v1, 0x7f800000, v0
	s_delay_alu instid0(VALU_DEP_1) | instskip(NEXT) | instid1(VALU_DEP_1)
	v_cmp_ne_u32_e64 s0, 0x7f800000, v1
	s_and_saveexec_b32 s11, s0
	s_delay_alu instid0(SALU_CYCLE_1)
	s_xor_b32 s0, exec_lo, s11
; %bb.762:                              ;   in Loop: Header=BB189_38 Depth=1
	v_bfe_u32 v1, v0, 16, 1
	s_delay_alu instid0(VALU_DEP_1)
	v_add3_u32 v148, v0, v1, 0x7fff
                                        ; implicit-def: $vgpr0
; %bb.763:                              ;   in Loop: Header=BB189_38 Depth=1
	s_and_not1_saveexec_b32 s11, s0
; %bb.764:                              ;   in Loop: Header=BB189_38 Depth=1
	v_and_b32_e32 v1, 0xffff, v0
	v_or_b32_e32 v25, 0x10000, v0
	s_delay_alu instid0(VALU_DEP_2) | instskip(NEXT) | instid1(VALU_DEP_1)
	v_cmp_eq_u32_e64 s0, 0, v1
	v_cndmask_b32_e64 v148, v25, v0, s0
; %bb.765:                              ;   in Loop: Header=BB189_38 Depth=1
	s_or_b32 exec_lo, exec_lo, s11
	v_lshlrev_b32_e32 v0, 16, v17
                                        ; implicit-def: $vgpr149
	s_delay_alu instid0(VALU_DEP_1) | instskip(NEXT) | instid1(VALU_DEP_1)
	v_mul_f32_e32 v0, v182, v0
	v_and_b32_e32 v1, 0x7f800000, v0
	s_delay_alu instid0(VALU_DEP_1) | instskip(NEXT) | instid1(VALU_DEP_1)
	v_cmp_ne_u32_e64 s0, 0x7f800000, v1
	s_and_saveexec_b32 s11, s0
	s_delay_alu instid0(SALU_CYCLE_1)
	s_xor_b32 s0, exec_lo, s11
; %bb.766:                              ;   in Loop: Header=BB189_38 Depth=1
	v_bfe_u32 v1, v0, 16, 1
	s_delay_alu instid0(VALU_DEP_1)
	v_add3_u32 v149, v0, v1, 0x7fff
                                        ; implicit-def: $vgpr0
; %bb.767:                              ;   in Loop: Header=BB189_38 Depth=1
	s_and_not1_saveexec_b32 s11, s0
; %bb.768:                              ;   in Loop: Header=BB189_38 Depth=1
	v_and_b32_e32 v1, 0xffff, v0
	v_or_b32_e32 v17, 0x10000, v0
	s_delay_alu instid0(VALU_DEP_2) | instskip(NEXT) | instid1(VALU_DEP_1)
	v_cmp_eq_u32_e64 s0, 0, v1
	v_cndmask_b32_e64 v149, v17, v0, s0
; %bb.769:                              ;   in Loop: Header=BB189_38 Depth=1
	s_or_b32 exec_lo, exec_lo, s11
	v_lshlrev_b32_e32 v0, 16, v2
                                        ; implicit-def: $vgpr17
	s_delay_alu instid0(VALU_DEP_1) | instskip(NEXT) | instid1(VALU_DEP_1)
	v_mul_f32_e32 v0, v183, v0
	v_and_b32_e32 v1, 0x7f800000, v0
	s_delay_alu instid0(VALU_DEP_1) | instskip(NEXT) | instid1(VALU_DEP_1)
	v_cmp_ne_u32_e64 s0, 0x7f800000, v1
	s_and_saveexec_b32 s11, s0
	s_delay_alu instid0(SALU_CYCLE_1)
	s_xor_b32 s0, exec_lo, s11
; %bb.770:                              ;   in Loop: Header=BB189_38 Depth=1
	v_bfe_u32 v1, v0, 16, 1
	s_delay_alu instid0(VALU_DEP_1)
	v_add3_u32 v17, v0, v1, 0x7fff
                                        ; implicit-def: $vgpr0
; %bb.771:                              ;   in Loop: Header=BB189_38 Depth=1
	s_and_not1_saveexec_b32 s11, s0
; %bb.772:                              ;   in Loop: Header=BB189_38 Depth=1
	v_and_b32_e32 v1, 0xffff, v0
	v_or_b32_e32 v2, 0x10000, v0
	s_delay_alu instid0(VALU_DEP_2) | instskip(NEXT) | instid1(VALU_DEP_1)
	v_cmp_eq_u32_e64 s0, 0, v1
	v_cndmask_b32_e64 v17, v2, v0, s0
; %bb.773:                              ;   in Loop: Header=BB189_38 Depth=1
	s_or_b32 exec_lo, exec_lo, s11
	v_lshlrev_b32_e32 v0, 16, v18
                                        ; implicit-def: $vgpr151
	s_delay_alu instid0(VALU_DEP_1) | instskip(NEXT) | instid1(VALU_DEP_1)
	v_mul_f32_e32 v0, v40, v0
	v_and_b32_e32 v1, 0x7f800000, v0
	s_delay_alu instid0(VALU_DEP_1) | instskip(NEXT) | instid1(VALU_DEP_1)
	v_cmp_ne_u32_e64 s0, 0x7f800000, v1
	s_and_saveexec_b32 s11, s0
	s_delay_alu instid0(SALU_CYCLE_1)
	s_xor_b32 s0, exec_lo, s11
; %bb.774:                              ;   in Loop: Header=BB189_38 Depth=1
	v_bfe_u32 v1, v0, 16, 1
	s_delay_alu instid0(VALU_DEP_1)
	v_add3_u32 v151, v0, v1, 0x7fff
                                        ; implicit-def: $vgpr0
; %bb.775:                              ;   in Loop: Header=BB189_38 Depth=1
	s_and_not1_saveexec_b32 s11, s0
; %bb.776:                              ;   in Loop: Header=BB189_38 Depth=1
	v_and_b32_e32 v1, 0xffff, v0
	v_or_b32_e32 v2, 0x10000, v0
	s_delay_alu instid0(VALU_DEP_2) | instskip(NEXT) | instid1(VALU_DEP_1)
	v_cmp_eq_u32_e64 s0, 0, v1
	v_cndmask_b32_e64 v151, v2, v0, s0
; %bb.777:                              ;   in Loop: Header=BB189_38 Depth=1
	s_or_b32 exec_lo, exec_lo, s11
	v_lshlrev_b32_e32 v0, 16, v3
                                        ; implicit-def: $vgpr18
	s_delay_alu instid0(VALU_DEP_1) | instskip(NEXT) | instid1(VALU_DEP_1)
	v_mul_f32_e32 v0, v42, v0
	v_and_b32_e32 v1, 0x7f800000, v0
	s_delay_alu instid0(VALU_DEP_1) | instskip(NEXT) | instid1(VALU_DEP_1)
	v_cmp_ne_u32_e64 s0, 0x7f800000, v1
	s_and_saveexec_b32 s11, s0
	s_delay_alu instid0(SALU_CYCLE_1)
	s_xor_b32 s0, exec_lo, s11
; %bb.778:                              ;   in Loop: Header=BB189_38 Depth=1
	v_bfe_u32 v1, v0, 16, 1
	s_delay_alu instid0(VALU_DEP_1)
	v_add3_u32 v18, v0, v1, 0x7fff
                                        ; implicit-def: $vgpr0
; %bb.779:                              ;   in Loop: Header=BB189_38 Depth=1
	s_and_not1_saveexec_b32 s11, s0
; %bb.780:                              ;   in Loop: Header=BB189_38 Depth=1
	v_and_b32_e32 v1, 0xffff, v0
	v_or_b32_e32 v2, 0x10000, v0
	s_delay_alu instid0(VALU_DEP_2) | instskip(NEXT) | instid1(VALU_DEP_1)
	v_cmp_eq_u32_e64 s0, 0, v1
	v_cndmask_b32_e64 v18, v2, v0, s0
; %bb.781:                              ;   in Loop: Header=BB189_38 Depth=1
	s_or_b32 exec_lo, exec_lo, s11
	v_lshlrev_b32_e32 v0, 16, v19
                                        ; implicit-def: $vgpr19
	s_delay_alu instid0(VALU_DEP_1) | instskip(NEXT) | instid1(VALU_DEP_1)
	v_mul_f32_e32 v0, v43, v0
	v_and_b32_e32 v1, 0x7f800000, v0
	s_delay_alu instid0(VALU_DEP_1) | instskip(NEXT) | instid1(VALU_DEP_1)
	v_cmp_ne_u32_e64 s0, 0x7f800000, v1
	s_and_saveexec_b32 s11, s0
	s_delay_alu instid0(SALU_CYCLE_1)
	s_xor_b32 s0, exec_lo, s11
; %bb.782:                              ;   in Loop: Header=BB189_38 Depth=1
	v_bfe_u32 v1, v0, 16, 1
	s_delay_alu instid0(VALU_DEP_1)
	v_add3_u32 v19, v0, v1, 0x7fff
                                        ; implicit-def: $vgpr0
; %bb.783:                              ;   in Loop: Header=BB189_38 Depth=1
	s_and_not1_saveexec_b32 s11, s0
; %bb.784:                              ;   in Loop: Header=BB189_38 Depth=1
	v_and_b32_e32 v1, 0xffff, v0
	v_or_b32_e32 v2, 0x10000, v0
	s_delay_alu instid0(VALU_DEP_2) | instskip(NEXT) | instid1(VALU_DEP_1)
	v_cmp_eq_u32_e64 s0, 0, v1
	v_cndmask_b32_e64 v19, v2, v0, s0
; %bb.785:                              ;   in Loop: Header=BB189_38 Depth=1
	s_or_b32 exec_lo, exec_lo, s11
	scratch_load_b32 v0, off, s32 offset:608 ; 4-byte Folded Reload
	s_waitcnt vmcnt(0)
	v_add_co_u32 v0, s0, v177, v0
	s_delay_alu instid0(VALU_DEP_1)
	v_add_co_ci_u32_e64 v1, s0, 0, v178, s0
	flat_load_b128 v[0:3], v[0:1]
	s_waitcnt vmcnt(0) lgkmcnt(0)
	v_lshrrev_b32_e32 v27, 16, v0
	v_lshrrev_b32_e32 v29, 16, v1
	;; [unrolled: 1-line block ×4, first 2 shown]
	s_and_saveexec_b32 s11, vcc_lo
	s_cbranch_execz .LBB189_787
; %bb.786:                              ;   in Loop: Header=BB189_38 Depth=1
	v_cmp_lt_i32_e64 s0, v150, v96
	s_delay_alu instid0(VALU_DEP_1) | instskip(SKIP_1) | instid1(VALU_DEP_1)
	v_cndmask_b32_e64 v0, 0, v0, s0
	v_cmp_lt_i32_e64 s0, v176, v96
	v_cndmask_b32_e64 v27, 0, v27, s0
	v_cmp_lt_i32_e64 s0, v166, v96
	s_delay_alu instid0(VALU_DEP_1) | instskip(SKIP_1) | instid1(VALU_DEP_1)
	v_cndmask_b32_e64 v1, 0, v1, s0
	v_cmp_lt_i32_e64 s0, v165, v96
	v_cndmask_b32_e64 v29, 0, v29, s0
	;; [unrolled: 5-line block ×4, first 2 shown]
.LBB189_787:                            ;   in Loop: Header=BB189_38 Depth=1
	s_or_b32 exec_lo, exec_lo, s11
	v_lshlrev_b32_e32 v0, 16, v0
	s_delay_alu instid0(VALU_DEP_1) | instskip(NEXT) | instid1(VALU_DEP_1)
	v_mul_f32_e32 v0, v179, v0
	v_and_b32_e32 v25, 0x7f800000, v0
	s_delay_alu instid0(VALU_DEP_1) | instskip(NEXT) | instid1(VALU_DEP_1)
	v_cmp_ne_u32_e64 s0, 0x7f800000, v25
                                        ; implicit-def: $vgpr25
	s_and_saveexec_b32 s11, s0
	s_delay_alu instid0(SALU_CYCLE_1)
	s_xor_b32 s0, exec_lo, s11
; %bb.788:                              ;   in Loop: Header=BB189_38 Depth=1
	v_bfe_u32 v25, v0, 16, 1
	s_delay_alu instid0(VALU_DEP_1)
	v_add3_u32 v25, v0, v25, 0x7fff
                                        ; implicit-def: $vgpr0
; %bb.789:                              ;   in Loop: Header=BB189_38 Depth=1
	s_and_not1_saveexec_b32 s11, s0
; %bb.790:                              ;   in Loop: Header=BB189_38 Depth=1
	v_and_b32_e32 v25, 0xffff, v0
	v_or_b32_e32 v28, 0x10000, v0
	s_delay_alu instid0(VALU_DEP_2) | instskip(NEXT) | instid1(VALU_DEP_1)
	v_cmp_eq_u32_e64 s0, 0, v25
	v_cndmask_b32_e64 v25, v28, v0, s0
; %bb.791:                              ;   in Loop: Header=BB189_38 Depth=1
	s_or_b32 exec_lo, exec_lo, s11
	v_lshlrev_b32_e32 v0, 16, v27
	s_delay_alu instid0(VALU_DEP_1) | instskip(NEXT) | instid1(VALU_DEP_1)
	v_mul_f32_e32 v0, v180, v0
	v_and_b32_e32 v27, 0x7f800000, v0
	s_delay_alu instid0(VALU_DEP_1) | instskip(NEXT) | instid1(VALU_DEP_1)
	v_cmp_ne_u32_e64 s0, 0x7f800000, v27
                                        ; implicit-def: $vgpr27
	s_and_saveexec_b32 s11, s0
	s_delay_alu instid0(SALU_CYCLE_1)
	s_xor_b32 s0, exec_lo, s11
; %bb.792:                              ;   in Loop: Header=BB189_38 Depth=1
	v_bfe_u32 v27, v0, 16, 1
	s_delay_alu instid0(VALU_DEP_1)
	v_add3_u32 v27, v0, v27, 0x7fff
                                        ; implicit-def: $vgpr0
; %bb.793:                              ;   in Loop: Header=BB189_38 Depth=1
	s_and_not1_saveexec_b32 s11, s0
; %bb.794:                              ;   in Loop: Header=BB189_38 Depth=1
	v_and_b32_e32 v27, 0xffff, v0
	v_or_b32_e32 v28, 0x10000, v0
	s_delay_alu instid0(VALU_DEP_2) | instskip(NEXT) | instid1(VALU_DEP_1)
	v_cmp_eq_u32_e64 s0, 0, v27
	v_cndmask_b32_e64 v27, v28, v0, s0
; %bb.795:                              ;   in Loop: Header=BB189_38 Depth=1
	s_or_b32 exec_lo, exec_lo, s11
	v_lshlrev_b32_e32 v0, 16, v1
                                        ; implicit-def: $vgpr28
	s_delay_alu instid0(VALU_DEP_1) | instskip(NEXT) | instid1(VALU_DEP_1)
	v_mul_f32_e32 v0, v181, v0
	v_and_b32_e32 v1, 0x7f800000, v0
	s_delay_alu instid0(VALU_DEP_1) | instskip(NEXT) | instid1(VALU_DEP_1)
	v_cmp_ne_u32_e64 s0, 0x7f800000, v1
	s_and_saveexec_b32 s11, s0
	s_delay_alu instid0(SALU_CYCLE_1)
	s_xor_b32 s0, exec_lo, s11
; %bb.796:                              ;   in Loop: Header=BB189_38 Depth=1
	v_bfe_u32 v1, v0, 16, 1
	s_delay_alu instid0(VALU_DEP_1)
	v_add3_u32 v28, v0, v1, 0x7fff
                                        ; implicit-def: $vgpr0
; %bb.797:                              ;   in Loop: Header=BB189_38 Depth=1
	s_and_not1_saveexec_b32 s11, s0
; %bb.798:                              ;   in Loop: Header=BB189_38 Depth=1
	v_and_b32_e32 v1, 0xffff, v0
	v_or_b32_e32 v28, 0x10000, v0
	s_delay_alu instid0(VALU_DEP_2) | instskip(NEXT) | instid1(VALU_DEP_1)
	v_cmp_eq_u32_e64 s0, 0, v1
	v_cndmask_b32_e64 v28, v28, v0, s0
; %bb.799:                              ;   in Loop: Header=BB189_38 Depth=1
	s_or_b32 exec_lo, exec_lo, s11
	v_lshlrev_b32_e32 v0, 16, v29
                                        ; implicit-def: $vgpr29
	s_delay_alu instid0(VALU_DEP_1) | instskip(NEXT) | instid1(VALU_DEP_1)
	v_mul_f32_e32 v0, v182, v0
	v_and_b32_e32 v1, 0x7f800000, v0
	s_delay_alu instid0(VALU_DEP_1) | instskip(NEXT) | instid1(VALU_DEP_1)
	v_cmp_ne_u32_e64 s0, 0x7f800000, v1
	s_and_saveexec_b32 s11, s0
	s_delay_alu instid0(SALU_CYCLE_1)
	s_xor_b32 s0, exec_lo, s11
; %bb.800:                              ;   in Loop: Header=BB189_38 Depth=1
	v_bfe_u32 v1, v0, 16, 1
	s_delay_alu instid0(VALU_DEP_1)
	v_add3_u32 v29, v0, v1, 0x7fff
                                        ; implicit-def: $vgpr0
; %bb.801:                              ;   in Loop: Header=BB189_38 Depth=1
	s_and_not1_saveexec_b32 s11, s0
; %bb.802:                              ;   in Loop: Header=BB189_38 Depth=1
	v_and_b32_e32 v1, 0xffff, v0
	v_or_b32_e32 v29, 0x10000, v0
	s_delay_alu instid0(VALU_DEP_2) | instskip(NEXT) | instid1(VALU_DEP_1)
	v_cmp_eq_u32_e64 s0, 0, v1
	v_cndmask_b32_e64 v29, v29, v0, s0
; %bb.803:                              ;   in Loop: Header=BB189_38 Depth=1
	s_or_b32 exec_lo, exec_lo, s11
	v_lshlrev_b32_e32 v0, 16, v2
                                        ; implicit-def: $vgpr30
	s_delay_alu instid0(VALU_DEP_1) | instskip(NEXT) | instid1(VALU_DEP_1)
	v_mul_f32_e32 v0, v183, v0
	v_and_b32_e32 v1, 0x7f800000, v0
	s_delay_alu instid0(VALU_DEP_1) | instskip(NEXT) | instid1(VALU_DEP_1)
	v_cmp_ne_u32_e64 s0, 0x7f800000, v1
	s_and_saveexec_b32 s11, s0
	s_delay_alu instid0(SALU_CYCLE_1)
	s_xor_b32 s0, exec_lo, s11
; %bb.804:                              ;   in Loop: Header=BB189_38 Depth=1
	v_bfe_u32 v1, v0, 16, 1
	s_delay_alu instid0(VALU_DEP_1)
	v_add3_u32 v30, v0, v1, 0x7fff
                                        ; implicit-def: $vgpr0
; %bb.805:                              ;   in Loop: Header=BB189_38 Depth=1
	s_and_not1_saveexec_b32 s11, s0
; %bb.806:                              ;   in Loop: Header=BB189_38 Depth=1
	v_and_b32_e32 v1, 0xffff, v0
	v_or_b32_e32 v2, 0x10000, v0
	s_delay_alu instid0(VALU_DEP_2) | instskip(NEXT) | instid1(VALU_DEP_1)
	v_cmp_eq_u32_e64 s0, 0, v1
	v_cndmask_b32_e64 v30, v2, v0, s0
; %bb.807:                              ;   in Loop: Header=BB189_38 Depth=1
	s_or_b32 exec_lo, exec_lo, s11
	v_lshlrev_b32_e32 v0, 16, v31
                                        ; implicit-def: $vgpr31
	s_delay_alu instid0(VALU_DEP_1) | instskip(NEXT) | instid1(VALU_DEP_1)
	v_mul_f32_e32 v0, v40, v0
	v_and_b32_e32 v1, 0x7f800000, v0
	s_delay_alu instid0(VALU_DEP_1) | instskip(NEXT) | instid1(VALU_DEP_1)
	v_cmp_ne_u32_e64 s0, 0x7f800000, v1
	s_and_saveexec_b32 s11, s0
	s_delay_alu instid0(SALU_CYCLE_1)
	s_xor_b32 s0, exec_lo, s11
; %bb.808:                              ;   in Loop: Header=BB189_38 Depth=1
	v_bfe_u32 v1, v0, 16, 1
	s_delay_alu instid0(VALU_DEP_1)
	v_add3_u32 v31, v0, v1, 0x7fff
                                        ; implicit-def: $vgpr0
; %bb.809:                              ;   in Loop: Header=BB189_38 Depth=1
	s_and_not1_saveexec_b32 s11, s0
; %bb.810:                              ;   in Loop: Header=BB189_38 Depth=1
	v_and_b32_e32 v1, 0xffff, v0
	v_or_b32_e32 v2, 0x10000, v0
	s_delay_alu instid0(VALU_DEP_2) | instskip(NEXT) | instid1(VALU_DEP_1)
	v_cmp_eq_u32_e64 s0, 0, v1
	v_cndmask_b32_e64 v31, v2, v0, s0
; %bb.811:                              ;   in Loop: Header=BB189_38 Depth=1
	s_or_b32 exec_lo, exec_lo, s11
	v_lshlrev_b32_e32 v0, 16, v3
                                        ; implicit-def: $vgpr32
	s_delay_alu instid0(VALU_DEP_1) | instskip(NEXT) | instid1(VALU_DEP_1)
	v_mul_f32_e32 v0, v42, v0
	v_and_b32_e32 v1, 0x7f800000, v0
	s_delay_alu instid0(VALU_DEP_1) | instskip(NEXT) | instid1(VALU_DEP_1)
	v_cmp_ne_u32_e64 s0, 0x7f800000, v1
	s_and_saveexec_b32 s11, s0
	s_delay_alu instid0(SALU_CYCLE_1)
	s_xor_b32 s0, exec_lo, s11
; %bb.812:                              ;   in Loop: Header=BB189_38 Depth=1
	v_bfe_u32 v1, v0, 16, 1
	s_delay_alu instid0(VALU_DEP_1)
	v_add3_u32 v32, v0, v1, 0x7fff
                                        ; implicit-def: $vgpr0
; %bb.813:                              ;   in Loop: Header=BB189_38 Depth=1
	s_and_not1_saveexec_b32 s11, s0
; %bb.814:                              ;   in Loop: Header=BB189_38 Depth=1
	v_and_b32_e32 v1, 0xffff, v0
	v_or_b32_e32 v2, 0x10000, v0
	s_delay_alu instid0(VALU_DEP_2) | instskip(NEXT) | instid1(VALU_DEP_1)
	v_cmp_eq_u32_e64 s0, 0, v1
	v_cndmask_b32_e64 v32, v2, v0, s0
; %bb.815:                              ;   in Loop: Header=BB189_38 Depth=1
	s_or_b32 exec_lo, exec_lo, s11
	v_lshlrev_b32_e32 v0, 16, v33
                                        ; implicit-def: $vgpr33
	s_delay_alu instid0(VALU_DEP_1) | instskip(NEXT) | instid1(VALU_DEP_1)
	v_mul_f32_e32 v0, v43, v0
	v_and_b32_e32 v1, 0x7f800000, v0
	s_delay_alu instid0(VALU_DEP_1) | instskip(NEXT) | instid1(VALU_DEP_1)
	v_cmp_ne_u32_e64 s0, 0x7f800000, v1
	s_and_saveexec_b32 s11, s0
	s_delay_alu instid0(SALU_CYCLE_1)
	s_xor_b32 s0, exec_lo, s11
; %bb.816:                              ;   in Loop: Header=BB189_38 Depth=1
	v_bfe_u32 v1, v0, 16, 1
	s_delay_alu instid0(VALU_DEP_1)
	v_add3_u32 v33, v0, v1, 0x7fff
                                        ; implicit-def: $vgpr0
; %bb.817:                              ;   in Loop: Header=BB189_38 Depth=1
	s_and_not1_saveexec_b32 s11, s0
; %bb.818:                              ;   in Loop: Header=BB189_38 Depth=1
	v_and_b32_e32 v1, 0xffff, v0
	v_or_b32_e32 v2, 0x10000, v0
	s_delay_alu instid0(VALU_DEP_2) | instskip(NEXT) | instid1(VALU_DEP_1)
	v_cmp_eq_u32_e64 s0, 0, v1
	v_cndmask_b32_e64 v33, v2, v0, s0
; %bb.819:                              ;   in Loop: Header=BB189_38 Depth=1
	s_or_b32 exec_lo, exec_lo, s11
	scratch_load_b32 v0, off, s32 offset:612 ; 4-byte Folded Reload
	s_waitcnt vmcnt(0)
	v_add_co_u32 v0, s0, v177, v0
	s_delay_alu instid0(VALU_DEP_1)
	v_add_co_ci_u32_e64 v1, s0, 0, v178, s0
	flat_load_b128 v[0:3], v[0:1]
	s_waitcnt vmcnt(0) lgkmcnt(0)
	v_lshrrev_b32_e32 v35, 16, v0
	v_lshrrev_b32_e32 v37, 16, v1
	;; [unrolled: 1-line block ×4, first 2 shown]
	s_and_saveexec_b32 s11, vcc_lo
	s_cbranch_execz .LBB189_821
; %bb.820:                              ;   in Loop: Header=BB189_38 Depth=1
	v_cmp_lt_i32_e64 s0, v150, v96
	s_delay_alu instid0(VALU_DEP_1) | instskip(SKIP_1) | instid1(VALU_DEP_1)
	v_cndmask_b32_e64 v0, 0, v0, s0
	v_cmp_lt_i32_e64 s0, v176, v96
	v_cndmask_b32_e64 v35, 0, v35, s0
	v_cmp_lt_i32_e64 s0, v166, v96
	s_delay_alu instid0(VALU_DEP_1) | instskip(SKIP_1) | instid1(VALU_DEP_1)
	v_cndmask_b32_e64 v1, 0, v1, s0
	v_cmp_lt_i32_e64 s0, v165, v96
	v_cndmask_b32_e64 v37, 0, v37, s0
	;; [unrolled: 5-line block ×4, first 2 shown]
.LBB189_821:                            ;   in Loop: Header=BB189_38 Depth=1
	s_or_b32 exec_lo, exec_lo, s11
	v_lshlrev_b32_e32 v0, 16, v0
	s_delay_alu instid0(VALU_DEP_1) | instskip(NEXT) | instid1(VALU_DEP_1)
	v_mul_f32_e32 v0, v179, v0
	v_and_b32_e32 v34, 0x7f800000, v0
	s_delay_alu instid0(VALU_DEP_1) | instskip(NEXT) | instid1(VALU_DEP_1)
	v_cmp_ne_u32_e64 s0, 0x7f800000, v34
                                        ; implicit-def: $vgpr34
	s_and_saveexec_b32 s11, s0
	s_delay_alu instid0(SALU_CYCLE_1)
	s_xor_b32 s0, exec_lo, s11
; %bb.822:                              ;   in Loop: Header=BB189_38 Depth=1
	v_bfe_u32 v34, v0, 16, 1
	s_delay_alu instid0(VALU_DEP_1)
	v_add3_u32 v34, v0, v34, 0x7fff
                                        ; implicit-def: $vgpr0
; %bb.823:                              ;   in Loop: Header=BB189_38 Depth=1
	s_and_not1_saveexec_b32 s11, s0
; %bb.824:                              ;   in Loop: Header=BB189_38 Depth=1
	v_and_b32_e32 v34, 0xffff, v0
	v_or_b32_e32 v36, 0x10000, v0
	s_delay_alu instid0(VALU_DEP_2) | instskip(NEXT) | instid1(VALU_DEP_1)
	v_cmp_eq_u32_e64 s0, 0, v34
	v_cndmask_b32_e64 v34, v36, v0, s0
; %bb.825:                              ;   in Loop: Header=BB189_38 Depth=1
	s_or_b32 exec_lo, exec_lo, s11
	v_lshlrev_b32_e32 v0, 16, v35
	s_delay_alu instid0(VALU_DEP_1) | instskip(NEXT) | instid1(VALU_DEP_1)
	v_mul_f32_e32 v0, v180, v0
	v_and_b32_e32 v35, 0x7f800000, v0
	s_delay_alu instid0(VALU_DEP_1) | instskip(NEXT) | instid1(VALU_DEP_1)
	v_cmp_ne_u32_e64 s0, 0x7f800000, v35
                                        ; implicit-def: $vgpr35
	s_and_saveexec_b32 s11, s0
	s_delay_alu instid0(SALU_CYCLE_1)
	s_xor_b32 s0, exec_lo, s11
; %bb.826:                              ;   in Loop: Header=BB189_38 Depth=1
	v_bfe_u32 v35, v0, 16, 1
	s_delay_alu instid0(VALU_DEP_1)
	v_add3_u32 v35, v0, v35, 0x7fff
                                        ; implicit-def: $vgpr0
; %bb.827:                              ;   in Loop: Header=BB189_38 Depth=1
	s_and_not1_saveexec_b32 s11, s0
; %bb.828:                              ;   in Loop: Header=BB189_38 Depth=1
	v_and_b32_e32 v35, 0xffff, v0
	v_or_b32_e32 v36, 0x10000, v0
	s_delay_alu instid0(VALU_DEP_2) | instskip(NEXT) | instid1(VALU_DEP_1)
	v_cmp_eq_u32_e64 s0, 0, v35
	v_cndmask_b32_e64 v35, v36, v0, s0
; %bb.829:                              ;   in Loop: Header=BB189_38 Depth=1
	s_or_b32 exec_lo, exec_lo, s11
	v_lshlrev_b32_e32 v0, 16, v1
                                        ; implicit-def: $vgpr36
	s_delay_alu instid0(VALU_DEP_1) | instskip(NEXT) | instid1(VALU_DEP_1)
	v_mul_f32_e32 v0, v181, v0
	v_and_b32_e32 v1, 0x7f800000, v0
	s_delay_alu instid0(VALU_DEP_1) | instskip(NEXT) | instid1(VALU_DEP_1)
	v_cmp_ne_u32_e64 s0, 0x7f800000, v1
	s_and_saveexec_b32 s11, s0
	s_delay_alu instid0(SALU_CYCLE_1)
	s_xor_b32 s0, exec_lo, s11
; %bb.830:                              ;   in Loop: Header=BB189_38 Depth=1
	v_bfe_u32 v1, v0, 16, 1
	s_delay_alu instid0(VALU_DEP_1)
	v_add3_u32 v36, v0, v1, 0x7fff
                                        ; implicit-def: $vgpr0
; %bb.831:                              ;   in Loop: Header=BB189_38 Depth=1
	s_and_not1_saveexec_b32 s11, s0
; %bb.832:                              ;   in Loop: Header=BB189_38 Depth=1
	v_and_b32_e32 v1, 0xffff, v0
	v_or_b32_e32 v36, 0x10000, v0
	s_delay_alu instid0(VALU_DEP_2) | instskip(NEXT) | instid1(VALU_DEP_1)
	v_cmp_eq_u32_e64 s0, 0, v1
	v_cndmask_b32_e64 v36, v36, v0, s0
; %bb.833:                              ;   in Loop: Header=BB189_38 Depth=1
	s_or_b32 exec_lo, exec_lo, s11
	v_lshlrev_b32_e32 v0, 16, v37
                                        ; implicit-def: $vgpr37
	s_delay_alu instid0(VALU_DEP_1) | instskip(NEXT) | instid1(VALU_DEP_1)
	v_mul_f32_e32 v0, v182, v0
	v_and_b32_e32 v1, 0x7f800000, v0
	s_delay_alu instid0(VALU_DEP_1) | instskip(NEXT) | instid1(VALU_DEP_1)
	v_cmp_ne_u32_e64 s0, 0x7f800000, v1
	s_and_saveexec_b32 s11, s0
	s_delay_alu instid0(SALU_CYCLE_1)
	s_xor_b32 s0, exec_lo, s11
; %bb.834:                              ;   in Loop: Header=BB189_38 Depth=1
	v_bfe_u32 v1, v0, 16, 1
	s_delay_alu instid0(VALU_DEP_1)
	v_add3_u32 v37, v0, v1, 0x7fff
                                        ; implicit-def: $vgpr0
; %bb.835:                              ;   in Loop: Header=BB189_38 Depth=1
	s_and_not1_saveexec_b32 s11, s0
; %bb.836:                              ;   in Loop: Header=BB189_38 Depth=1
	v_and_b32_e32 v1, 0xffff, v0
	v_or_b32_e32 v37, 0x10000, v0
	s_delay_alu instid0(VALU_DEP_2) | instskip(NEXT) | instid1(VALU_DEP_1)
	v_cmp_eq_u32_e64 s0, 0, v1
	v_cndmask_b32_e64 v37, v37, v0, s0
; %bb.837:                              ;   in Loop: Header=BB189_38 Depth=1
	s_or_b32 exec_lo, exec_lo, s11
	v_lshlrev_b32_e32 v0, 16, v2
                                        ; implicit-def: $vgpr38
	s_delay_alu instid0(VALU_DEP_1) | instskip(NEXT) | instid1(VALU_DEP_1)
	v_mul_f32_e32 v0, v183, v0
	v_and_b32_e32 v1, 0x7f800000, v0
	s_delay_alu instid0(VALU_DEP_1) | instskip(NEXT) | instid1(VALU_DEP_1)
	v_cmp_ne_u32_e64 s0, 0x7f800000, v1
	s_and_saveexec_b32 s11, s0
	s_delay_alu instid0(SALU_CYCLE_1)
	s_xor_b32 s0, exec_lo, s11
; %bb.838:                              ;   in Loop: Header=BB189_38 Depth=1
	v_bfe_u32 v1, v0, 16, 1
	s_delay_alu instid0(VALU_DEP_1)
	v_add3_u32 v38, v0, v1, 0x7fff
                                        ; implicit-def: $vgpr0
; %bb.839:                              ;   in Loop: Header=BB189_38 Depth=1
	s_and_not1_saveexec_b32 s11, s0
; %bb.840:                              ;   in Loop: Header=BB189_38 Depth=1
	v_and_b32_e32 v1, 0xffff, v0
	v_or_b32_e32 v2, 0x10000, v0
	s_delay_alu instid0(VALU_DEP_2) | instskip(NEXT) | instid1(VALU_DEP_1)
	v_cmp_eq_u32_e64 s0, 0, v1
	v_cndmask_b32_e64 v38, v2, v0, s0
; %bb.841:                              ;   in Loop: Header=BB189_38 Depth=1
	s_or_b32 exec_lo, exec_lo, s11
	v_lshlrev_b32_e32 v0, 16, v48
                                        ; implicit-def: $vgpr48
	s_delay_alu instid0(VALU_DEP_1) | instskip(NEXT) | instid1(VALU_DEP_1)
	v_mul_f32_e32 v0, v40, v0
	v_and_b32_e32 v1, 0x7f800000, v0
	s_delay_alu instid0(VALU_DEP_1) | instskip(NEXT) | instid1(VALU_DEP_1)
	v_cmp_ne_u32_e64 s0, 0x7f800000, v1
	s_and_saveexec_b32 s11, s0
	s_delay_alu instid0(SALU_CYCLE_1)
	s_xor_b32 s0, exec_lo, s11
; %bb.842:                              ;   in Loop: Header=BB189_38 Depth=1
	v_bfe_u32 v1, v0, 16, 1
	s_delay_alu instid0(VALU_DEP_1)
	v_add3_u32 v48, v0, v1, 0x7fff
                                        ; implicit-def: $vgpr0
; %bb.843:                              ;   in Loop: Header=BB189_38 Depth=1
	s_and_not1_saveexec_b32 s11, s0
; %bb.844:                              ;   in Loop: Header=BB189_38 Depth=1
	v_and_b32_e32 v1, 0xffff, v0
	v_or_b32_e32 v2, 0x10000, v0
	s_delay_alu instid0(VALU_DEP_2) | instskip(NEXT) | instid1(VALU_DEP_1)
	v_cmp_eq_u32_e64 s0, 0, v1
	v_cndmask_b32_e64 v48, v2, v0, s0
; %bb.845:                              ;   in Loop: Header=BB189_38 Depth=1
	s_or_b32 exec_lo, exec_lo, s11
	v_lshlrev_b32_e32 v0, 16, v3
                                        ; implicit-def: $vgpr49
	s_delay_alu instid0(VALU_DEP_1) | instskip(NEXT) | instid1(VALU_DEP_1)
	v_mul_f32_e32 v0, v42, v0
	v_and_b32_e32 v1, 0x7f800000, v0
	s_delay_alu instid0(VALU_DEP_1) | instskip(NEXT) | instid1(VALU_DEP_1)
	v_cmp_ne_u32_e64 s0, 0x7f800000, v1
	s_and_saveexec_b32 s11, s0
	s_delay_alu instid0(SALU_CYCLE_1)
	s_xor_b32 s0, exec_lo, s11
; %bb.846:                              ;   in Loop: Header=BB189_38 Depth=1
	v_bfe_u32 v1, v0, 16, 1
	s_delay_alu instid0(VALU_DEP_1)
	v_add3_u32 v49, v0, v1, 0x7fff
                                        ; implicit-def: $vgpr0
; %bb.847:                              ;   in Loop: Header=BB189_38 Depth=1
	s_and_not1_saveexec_b32 s11, s0
; %bb.848:                              ;   in Loop: Header=BB189_38 Depth=1
	v_and_b32_e32 v1, 0xffff, v0
	v_or_b32_e32 v2, 0x10000, v0
	s_delay_alu instid0(VALU_DEP_2) | instskip(NEXT) | instid1(VALU_DEP_1)
	v_cmp_eq_u32_e64 s0, 0, v1
	v_cndmask_b32_e64 v49, v2, v0, s0
; %bb.849:                              ;   in Loop: Header=BB189_38 Depth=1
	s_or_b32 exec_lo, exec_lo, s11
	v_lshlrev_b32_e32 v0, 16, v50
                                        ; implicit-def: $vgpr50
	s_delay_alu instid0(VALU_DEP_1) | instskip(NEXT) | instid1(VALU_DEP_1)
	v_mul_f32_e32 v0, v43, v0
	v_and_b32_e32 v1, 0x7f800000, v0
	s_delay_alu instid0(VALU_DEP_1) | instskip(NEXT) | instid1(VALU_DEP_1)
	v_cmp_ne_u32_e64 s0, 0x7f800000, v1
	s_and_saveexec_b32 s11, s0
	s_delay_alu instid0(SALU_CYCLE_1)
	s_xor_b32 s0, exec_lo, s11
; %bb.850:                              ;   in Loop: Header=BB189_38 Depth=1
	v_bfe_u32 v1, v0, 16, 1
	s_delay_alu instid0(VALU_DEP_1)
	v_add3_u32 v50, v0, v1, 0x7fff
                                        ; implicit-def: $vgpr0
; %bb.851:                              ;   in Loop: Header=BB189_38 Depth=1
	s_and_not1_saveexec_b32 s11, s0
; %bb.852:                              ;   in Loop: Header=BB189_38 Depth=1
	v_and_b32_e32 v1, 0xffff, v0
	v_or_b32_e32 v2, 0x10000, v0
	s_delay_alu instid0(VALU_DEP_2) | instskip(NEXT) | instid1(VALU_DEP_1)
	v_cmp_eq_u32_e64 s0, 0, v1
	v_cndmask_b32_e64 v50, v2, v0, s0
; %bb.853:                              ;   in Loop: Header=BB189_38 Depth=1
	s_or_b32 exec_lo, exec_lo, s11
	scratch_load_b32 v0, off, s32 offset:616 ; 4-byte Folded Reload
	s_waitcnt vmcnt(0)
	v_add_co_u32 v0, s0, v177, v0
	s_delay_alu instid0(VALU_DEP_1)
	v_add_co_ci_u32_e64 v1, s0, 0, v178, s0
	flat_load_b128 v[0:3], v[0:1]
	s_waitcnt vmcnt(0) lgkmcnt(0)
	v_lshrrev_b32_e32 v52, 16, v0
	v_lshrrev_b32_e32 v51, 16, v1
	;; [unrolled: 1-line block ×4, first 2 shown]
	s_and_saveexec_b32 s0, vcc_lo
	s_cbranch_execz .LBB189_855
; %bb.854:                              ;   in Loop: Header=BB189_38 Depth=1
	v_cmp_lt_i32_e32 vcc_lo, v150, v96
	v_cndmask_b32_e32 v0, 0, v0, vcc_lo
	v_cmp_lt_i32_e32 vcc_lo, v176, v96
	v_cndmask_b32_e32 v52, 0, v52, vcc_lo
	;; [unrolled: 2-line block ×8, first 2 shown]
.LBB189_855:                            ;   in Loop: Header=BB189_38 Depth=1
	s_or_b32 exec_lo, exec_lo, s0
	v_lshlrev_b32_e32 v0, 16, v0
	s_delay_alu instid0(VALU_DEP_1) | instskip(NEXT) | instid1(VALU_DEP_1)
	v_mul_f32_e32 v150, v179, v0
	v_and_b32_e32 v0, 0x7f800000, v150
	s_delay_alu instid0(VALU_DEP_1) | instskip(SKIP_1) | instid1(SALU_CYCLE_1)
	v_cmp_ne_u32_e32 vcc_lo, 0x7f800000, v0
                                        ; implicit-def: $vgpr0
	s_and_saveexec_b32 s0, vcc_lo
	s_xor_b32 s0, exec_lo, s0
; %bb.856:                              ;   in Loop: Header=BB189_38 Depth=1
	v_bfe_u32 v0, v150, 16, 1
	s_delay_alu instid0(VALU_DEP_1)
	v_add3_u32 v0, v150, v0, 0x7fff
                                        ; implicit-def: $vgpr150
; %bb.857:                              ;   in Loop: Header=BB189_38 Depth=1
	s_and_not1_saveexec_b32 s0, s0
; %bb.858:                              ;   in Loop: Header=BB189_38 Depth=1
	v_and_b32_e32 v0, 0xffff, v150
	v_or_b32_e32 v161, 0x10000, v150
	s_delay_alu instid0(VALU_DEP_2) | instskip(NEXT) | instid1(VALU_DEP_2)
	v_cmp_eq_u32_e32 vcc_lo, 0, v0
	v_cndmask_b32_e32 v0, v161, v150, vcc_lo
; %bb.859:                              ;   in Loop: Header=BB189_38 Depth=1
	s_or_b32 exec_lo, exec_lo, s0
	v_lshlrev_b32_e32 v52, 16, v52
	s_delay_alu instid0(VALU_DEP_1) | instskip(NEXT) | instid1(VALU_DEP_1)
	v_mul_f32_e32 v52, v180, v52
	v_and_b32_e32 v150, 0x7f800000, v52
	s_delay_alu instid0(VALU_DEP_1) | instskip(SKIP_1) | instid1(SALU_CYCLE_1)
	v_cmp_ne_u32_e32 vcc_lo, 0x7f800000, v150
                                        ; implicit-def: $vgpr150
	s_and_saveexec_b32 s0, vcc_lo
	s_xor_b32 s0, exec_lo, s0
; %bb.860:                              ;   in Loop: Header=BB189_38 Depth=1
	v_bfe_u32 v150, v52, 16, 1
	s_delay_alu instid0(VALU_DEP_1)
	v_add3_u32 v150, v52, v150, 0x7fff
                                        ; implicit-def: $vgpr52
; %bb.861:                              ;   in Loop: Header=BB189_38 Depth=1
	s_and_not1_saveexec_b32 s0, s0
; %bb.862:                              ;   in Loop: Header=BB189_38 Depth=1
	v_and_b32_e32 v150, 0xffff, v52
	v_or_b32_e32 v161, 0x10000, v52
	s_delay_alu instid0(VALU_DEP_2) | instskip(NEXT) | instid1(VALU_DEP_2)
	v_cmp_eq_u32_e32 vcc_lo, 0, v150
	v_cndmask_b32_e32 v150, v161, v52, vcc_lo
; %bb.863:                              ;   in Loop: Header=BB189_38 Depth=1
	s_or_b32 exec_lo, exec_lo, s0
	v_lshlrev_b32_e32 v1, 16, v1
	s_delay_alu instid0(VALU_DEP_1) | instskip(NEXT) | instid1(VALU_DEP_1)
	v_mul_f32_e32 v52, v181, v1
	v_and_b32_e32 v1, 0x7f800000, v52
	s_delay_alu instid0(VALU_DEP_1) | instskip(SKIP_1) | instid1(SALU_CYCLE_1)
	v_cmp_ne_u32_e32 vcc_lo, 0x7f800000, v1
                                        ; implicit-def: $vgpr1
	s_and_saveexec_b32 s0, vcc_lo
	s_xor_b32 s0, exec_lo, s0
; %bb.864:                              ;   in Loop: Header=BB189_38 Depth=1
	v_bfe_u32 v1, v52, 16, 1
	s_delay_alu instid0(VALU_DEP_1)
	v_add3_u32 v1, v52, v1, 0x7fff
                                        ; implicit-def: $vgpr52
; %bb.865:                              ;   in Loop: Header=BB189_38 Depth=1
	s_and_not1_saveexec_b32 s0, s0
; %bb.866:                              ;   in Loop: Header=BB189_38 Depth=1
	v_and_b32_e32 v1, 0xffff, v52
	v_or_b32_e32 v161, 0x10000, v52
	s_delay_alu instid0(VALU_DEP_2) | instskip(NEXT) | instid1(VALU_DEP_2)
	v_cmp_eq_u32_e32 vcc_lo, 0, v1
	v_cndmask_b32_e32 v1, v161, v52, vcc_lo
; %bb.867:                              ;   in Loop: Header=BB189_38 Depth=1
	s_or_b32 exec_lo, exec_lo, s0
	v_lshlrev_b32_e32 v51, 16, v51
	s_mov_b32 s0, exec_lo
                                        ; implicit-def: $vgpr161
	s_delay_alu instid0(VALU_DEP_1) | instskip(NEXT) | instid1(VALU_DEP_1)
	v_mul_f32_e32 v51, v182, v51
	v_and_b32_e32 v52, 0x7f800000, v51
	s_delay_alu instid0(VALU_DEP_1)
	v_cmpx_ne_u32_e32 0x7f800000, v52
	s_xor_b32 s0, exec_lo, s0
; %bb.868:                              ;   in Loop: Header=BB189_38 Depth=1
	v_bfe_u32 v52, v51, 16, 1
	s_delay_alu instid0(VALU_DEP_1)
	v_add3_u32 v161, v51, v52, 0x7fff
                                        ; implicit-def: $vgpr51
; %bb.869:                              ;   in Loop: Header=BB189_38 Depth=1
	s_and_not1_saveexec_b32 s0, s0
; %bb.870:                              ;   in Loop: Header=BB189_38 Depth=1
	v_and_b32_e32 v52, 0xffff, v51
	v_or_b32_e32 v161, 0x10000, v51
	s_delay_alu instid0(VALU_DEP_2) | instskip(NEXT) | instid1(VALU_DEP_2)
	v_cmp_eq_u32_e32 vcc_lo, 0, v52
	v_cndmask_b32_e32 v161, v161, v51, vcc_lo
; %bb.871:                              ;   in Loop: Header=BB189_38 Depth=1
	s_or_b32 exec_lo, exec_lo, s0
	v_lshlrev_b32_e32 v2, 16, v2
	s_delay_alu instid0(VALU_DEP_1) | instskip(NEXT) | instid1(VALU_DEP_1)
	v_mul_f32_e32 v51, v183, v2
	v_and_b32_e32 v2, 0x7f800000, v51
	s_delay_alu instid0(VALU_DEP_1) | instskip(SKIP_1) | instid1(SALU_CYCLE_1)
	v_cmp_ne_u32_e32 vcc_lo, 0x7f800000, v2
                                        ; implicit-def: $vgpr2
	s_and_saveexec_b32 s0, vcc_lo
	s_xor_b32 s0, exec_lo, s0
; %bb.872:                              ;   in Loop: Header=BB189_38 Depth=1
	v_bfe_u32 v2, v51, 16, 1
	s_delay_alu instid0(VALU_DEP_1)
	v_add3_u32 v2, v51, v2, 0x7fff
                                        ; implicit-def: $vgpr51
; %bb.873:                              ;   in Loop: Header=BB189_38 Depth=1
	s_and_not1_saveexec_b32 s0, s0
; %bb.874:                              ;   in Loop: Header=BB189_38 Depth=1
	v_and_b32_e32 v2, 0xffff, v51
	v_or_b32_e32 v52, 0x10000, v51
	s_delay_alu instid0(VALU_DEP_2) | instskip(NEXT) | instid1(VALU_DEP_2)
	v_cmp_eq_u32_e32 vcc_lo, 0, v2
	v_cndmask_b32_e32 v2, v52, v51, vcc_lo
; %bb.875:                              ;   in Loop: Header=BB189_38 Depth=1
	s_or_b32 exec_lo, exec_lo, s0
	v_lshlrev_b32_e32 v51, 16, v178
	s_mov_b32 s0, exec_lo
                                        ; implicit-def: $vgpr162
	s_delay_alu instid0(VALU_DEP_1) | instskip(NEXT) | instid1(VALU_DEP_1)
	v_mul_f32_e32 v51, v40, v51
	v_and_b32_e32 v52, 0x7f800000, v51
	s_delay_alu instid0(VALU_DEP_1)
	v_cmpx_ne_u32_e32 0x7f800000, v52
	s_xor_b32 s0, exec_lo, s0
; %bb.876:                              ;   in Loop: Header=BB189_38 Depth=1
	v_bfe_u32 v52, v51, 16, 1
	s_delay_alu instid0(VALU_DEP_1)
	v_add3_u32 v162, v51, v52, 0x7fff
                                        ; implicit-def: $vgpr51
; %bb.877:                              ;   in Loop: Header=BB189_38 Depth=1
	s_and_not1_saveexec_b32 s0, s0
; %bb.878:                              ;   in Loop: Header=BB189_38 Depth=1
	v_and_b32_e32 v52, 0xffff, v51
	v_or_b32_e32 v162, 0x10000, v51
	s_delay_alu instid0(VALU_DEP_2) | instskip(NEXT) | instid1(VALU_DEP_2)
	v_cmp_eq_u32_e32 vcc_lo, 0, v52
	v_cndmask_b32_e32 v162, v162, v51, vcc_lo
; %bb.879:                              ;   in Loop: Header=BB189_38 Depth=1
	s_or_b32 exec_lo, exec_lo, s0
	v_lshlrev_b32_e32 v3, 16, v3
	s_delay_alu instid0(VALU_DEP_1) | instskip(NEXT) | instid1(VALU_DEP_1)
	v_mul_f32_e32 v51, v42, v3
	v_and_b32_e32 v3, 0x7f800000, v51
	s_delay_alu instid0(VALU_DEP_1) | instskip(SKIP_1) | instid1(SALU_CYCLE_1)
	v_cmp_ne_u32_e32 vcc_lo, 0x7f800000, v3
                                        ; implicit-def: $vgpr3
	s_and_saveexec_b32 s0, vcc_lo
	s_xor_b32 s0, exec_lo, s0
; %bb.880:                              ;   in Loop: Header=BB189_38 Depth=1
	v_bfe_u32 v3, v51, 16, 1
	s_delay_alu instid0(VALU_DEP_1)
	v_add3_u32 v3, v51, v3, 0x7fff
                                        ; implicit-def: $vgpr51
; %bb.881:                              ;   in Loop: Header=BB189_38 Depth=1
	s_and_not1_saveexec_b32 s0, s0
; %bb.882:                              ;   in Loop: Header=BB189_38 Depth=1
	v_and_b32_e32 v3, 0xffff, v51
	v_or_b32_e32 v52, 0x10000, v51
	s_delay_alu instid0(VALU_DEP_2) | instskip(NEXT) | instid1(VALU_DEP_2)
	v_cmp_eq_u32_e32 vcc_lo, 0, v3
	v_cndmask_b32_e32 v3, v52, v51, vcc_lo
; %bb.883:                              ;   in Loop: Header=BB189_38 Depth=1
	s_or_b32 exec_lo, exec_lo, s0
	v_lshlrev_b32_e32 v51, 16, v177
	s_mov_b32 s0, exec_lo
                                        ; implicit-def: $vgpr163
	s_delay_alu instid0(VALU_DEP_1) | instskip(NEXT) | instid1(VALU_DEP_1)
	v_mul_f32_e32 v51, v43, v51
	v_and_b32_e32 v52, 0x7f800000, v51
	s_delay_alu instid0(VALU_DEP_1)
	v_cmpx_ne_u32_e32 0x7f800000, v52
	s_xor_b32 s0, exec_lo, s0
; %bb.884:                              ;   in Loop: Header=BB189_38 Depth=1
	v_bfe_u32 v52, v51, 16, 1
	s_delay_alu instid0(VALU_DEP_1)
	v_add3_u32 v163, v51, v52, 0x7fff
                                        ; implicit-def: $vgpr51
; %bb.885:                              ;   in Loop: Header=BB189_38 Depth=1
	s_and_not1_saveexec_b32 s0, s0
	s_cbranch_execz .LBB189_36
; %bb.886:                              ;   in Loop: Header=BB189_38 Depth=1
	v_and_b32_e32 v52, 0xffff, v51
	v_or_b32_e32 v163, 0x10000, v51
	s_delay_alu instid0(VALU_DEP_2) | instskip(NEXT) | instid1(VALU_DEP_2)
	v_cmp_eq_u32_e32 vcc_lo, 0, v52
	v_cndmask_b32_e32 v163, v163, v51, vcc_lo
	s_branch .LBB189_36
.LBB189_887:
	s_or_b32 exec_lo, exec_lo, s8
	s_clause 0x4
	scratch_load_b32 v12, off, s32 offset:620
	scratch_load_b32 v10, off, s32 offset:624
	;; [unrolled: 1-line block ×5, first 2 shown]
.LBB189_888:
	s_or_b32 exec_lo, exec_lo, s7
	s_clause 0x1
	scratch_load_b32 v13, off, s32 offset:380
	scratch_load_b32 v23, off, s32 offset:376
	v_dual_mov_b32 v36, v21 :: v_dual_mov_b32 v35, v19
	s_clause 0x7
	scratch_load_b32 v21, off, s32 offset:372
	scratch_load_b32 v20, off, s32 offset:368
	scratch_load_b32 v19, off, s32 offset:364
	scratch_load_b32 v64, off, s32 offset:360
	scratch_load_b32 v52, off, s32 offset:356
	scratch_load_b32 v49, off, s32 offset:352
	scratch_load_b32 v48, off, s32 offset:348
	scratch_load_b32 v39, off, s32 offset:344
	s_waitcnt vmcnt(13)
	ds_bpermute_b32 v0, v10, v55
	ds_bpermute_b32 v1, v10, v54
	;; [unrolled: 1-line block ×4, first 2 shown]
	s_waitcnt vmcnt(10)
	v_dual_mov_b32 v15, v4 :: v_dual_mov_b32 v14, v5
	ds_bpermute_b32 v4, v10, v4
	ds_bpermute_b32 v5, v10, v5
	v_mov_b32_e32 v34, v10
	s_waitcnt lgkmcnt(5)
	v_dual_mov_b32 v37, v22 :: v_dual_add_f32 v0, v55, v0
	s_waitcnt lgkmcnt(3)
	v_dual_add_f32 v1, v54, v1 :: v_dual_add_f32 v2, v53, v2
	s_waitcnt lgkmcnt(2)
	v_add_f32_e32 v3, v16, v3
	v_mov_b32_e32 v54, v12
	ds_bpermute_b32 v12, v12, v0
	ds_bpermute_b32 v31, v34, v22
	s_waitcnt lgkmcnt(2)
	v_add_f32_e32 v5, v14, v5
	ds_bpermute_b32 v26, v34, v51
	ds_bpermute_b32 v14, v54, v2
	;; [unrolled: 1-line block ×3, first 2 shown]
	v_mov_b32_e32 v38, v24
	ds_bpermute_b32 v17, v54, v5
	s_waitcnt lgkmcnt(5)
	v_add_f32_e32 v0, v0, v12
	ds_bpermute_b32 v12, v34, v50
	s_waitcnt lgkmcnt(5)
	v_add_f32_e32 v31, v37, v31
	s_waitcnt vmcnt(9)
	ds_bpermute_b32 v6, v10, v13
	s_waitcnt vmcnt(8)
	ds_bpermute_b32 v7, v10, v23
	;; [unrolled: 2-line block ×4, first 2 shown]
	v_add_f32_e32 v4, v15, v4
	s_waitcnt vmcnt(5)
	ds_bpermute_b32 v10, v10, v19
	ds_bpermute_b32 v15, v54, v3
	s_waitcnt vmcnt(4)
	ds_bpermute_b32 v11, v34, v64
	s_waitcnt vmcnt(3)
	;; [unrolled: 2-line block ×3, first 2 shown]
	ds_bpermute_b32 v28, v34, v48
	ds_bpermute_b32 v27, v34, v49
	s_waitcnt lgkmcnt(8)
	v_dual_add_f32 v6, v13, v6 :: v_dual_add_f32 v7, v23, v7
	ds_bpermute_b32 v13, v54, v1
	s_waitcnt lgkmcnt(8)
	v_dual_add_f32 v23, v2, v14 :: v_dual_add_f32 v8, v21, v8
	ds_bpermute_b32 v18, v54, v6
	s_waitcnt lgkmcnt(8)
	v_add_f32_e32 v9, v20, v9
	ds_bpermute_b32 v16, v54, v4
	s_waitcnt lgkmcnt(8)
	v_dual_add_f32 v10, v19, v10 :: v_dual_add_f32 v21, v5, v17
	ds_bpermute_b32 v5, v34, v35
	ds_bpermute_b32 v32, v54, v7
	s_waitcnt lgkmcnt(5)
	v_dual_add_f32 v2, v52, v25 :: v_dual_add_f32 v27, v49, v27
	v_add_f32_e32 v28, v48, v28
	ds_bpermute_b32 v33, v54, v8
	v_mov_b32_e32 v17, v35
	v_add_f32_e32 v22, v3, v15
	scratch_load_b32 v15, off, s32 offset:336 ; 4-byte Folded Reload
	v_add_f32_e32 v3, v51, v26
	ds_bpermute_b32 v26, v54, v2
	ds_bpermute_b32 v35, v54, v27
	s_waitcnt lgkmcnt(7)
	v_dual_add_f32 v24, v1, v13 :: v_dual_add_f32 v1, v64, v11
	ds_bpermute_b32 v13, v54, v9
	s_waitcnt lgkmcnt(6)
	v_dual_add_f32 v20, v6, v18 :: v_dual_add_f32 v19, v4, v16
	scratch_load_b32 v16, off, s32 offset:340 ; 4-byte Folded Reload
	s_waitcnt vmcnt(2)
	ds_bpermute_b32 v29, v34, v39
	ds_bpermute_b32 v4, v34, v36
	;; [unrolled: 1-line block ×4, first 2 shown]
	v_mov_b32_e32 v18, v36
	s_waitcnt vmcnt(0) lgkmcnt(0)
	s_waitcnt_vscnt null, 0x0
	s_barrier
	buffer_gl0_inv
	v_add_f32_e32 v5, v17, v5
	ds_bpermute_b32 v36, v54, v28
	s_load_b32 s0, s[2:3], 0x0
	v_add_f32_e32 v17, v8, v33
	ds_bpermute_b32 v51, v54, v5
	v_add_f32_e32 v29, v39, v29
	ds_bpermute_b32 v39, v54, v31
	v_add_f32_e32 v4, v18, v4
	v_add_f32_e32 v18, v7, v32
	ds_bpermute_b32 v37, v54, v29
	s_waitcnt lgkmcnt(0)
	v_dual_add_f32 v50, v50, v12 :: v_dual_add_f32 v5, v5, v51
	v_add_f32_e32 v7, v31, v39
	ds_bpermute_b32 v11, v34, v15
	v_add_f32_e32 v30, v38, v30
	ds_bpermute_b32 v6, v34, v16
	ds_bpermute_b32 v34, v54, v3
	s_waitcnt lgkmcnt(2)
	v_add_f32_e32 v49, v15, v11
	v_dual_add_f32 v15, v10, v14 :: v_dual_add_f32 v14, v1, v25
	scratch_load_b32 v1, off, s32 offset:712 ; 4-byte Folded Reload
	ds_bpermute_b32 v38, v54, v30
	v_add_f32_e32 v11, v27, v35
	ds_bpermute_b32 v53, v54, v49
	v_add_f32_e32 v10, v28, v36
	scratch_load_b32 v25, off, s32 offset:716 ; 4-byte Folded Reload
	s_waitcnt lgkmcnt(3)
	v_add_f32_e32 v48, v16, v6
	v_dual_add_f32 v16, v9, v13 :: v_dual_add_f32 v13, v2, v26
	ds_bpermute_b32 v6, v54, v4
	v_add_f32_e32 v9, v29, v37
	ds_bpermute_b32 v52, v54, v48
	ds_bpermute_b32 v54, v54, v50
	s_waitcnt lgkmcnt(5)
	v_add_f32_e32 v12, v3, v34
	s_waitcnt lgkmcnt(3)
	v_dual_add_f32 v8, v30, v38 :: v_dual_add_f32 v3, v49, v53
	s_waitcnt lgkmcnt(2)
	v_add_f32_e32 v6, v4, v6
	s_waitcnt lgkmcnt(1)
	v_add_f32_e32 v4, v48, v52
	;; [unrolled: 2-line block ×3, first 2 shown]
	s_waitcnt vmcnt(1)
	v_and_b32_e32 v26, 0x3c3, v1
	scratch_load_b32 v1, off, s32 offset:524 ; 4-byte Folded Reload
	v_cmp_eq_u32_e32 vcc_lo, 64, v26
	s_waitcnt vmcnt(1)
	v_mad_u32_u24 v25, 0x300, v25, s0
	s_waitcnt vmcnt(0)
	v_lshrrev_b32_e32 v1, 2, v1
	s_delay_alu instid0(VALU_DEP_1)
	v_lshlrev_b32_e32 v26, 2, v1
	s_and_saveexec_b32 s0, vcc_lo
	s_cbranch_execz .LBB189_890
; %bb.889:
	s_delay_alu instid0(VALU_DEP_1)
	v_add3_u32 v27, v25, v26, 0xfffffa00
	ds_store_2addr_b32 v27, v0, v24 offset1:8
	ds_store_2addr_b32 v27, v23, v22 offset0:16 offset1:24
	ds_store_2addr_b32 v27, v19, v21 offset0:32 offset1:40
	;; [unrolled: 1-line block ×11, first 2 shown]
.LBB189_890:
	s_or_b32 exec_lo, exec_lo, s0
	scratch_load_b32 v28, off, s32 offset:712 ; 4-byte Folded Reload
	s_mov_b32 s2, exec_lo
	s_waitcnt vmcnt(0) lgkmcnt(0)
	s_barrier
	buffer_gl0_inv
	v_and_b32_e32 v27, 3, v28
	s_delay_alu instid0(VALU_DEP_1)
	v_cmp_eq_u32_e32 vcc_lo, 0, v27
	v_cmpx_gt_u32_e32 64, v28
	s_cbranch_execz .LBB189_917
; %bb.891:
	s_and_saveexec_b32 s0, vcc_lo
	s_cbranch_execnz .LBB189_1046
; %bb.892:
	s_or_b32 exec_lo, exec_lo, s0
	s_and_saveexec_b32 s0, vcc_lo
	s_cbranch_execnz .LBB189_1047
.LBB189_893:
	s_or_b32 exec_lo, exec_lo, s0
	s_and_saveexec_b32 s0, vcc_lo
	s_cbranch_execnz .LBB189_1048
.LBB189_894:
	s_or_b32 exec_lo, exec_lo, s0
	s_and_saveexec_b32 s0, vcc_lo
	s_cbranch_execnz .LBB189_1049
.LBB189_895:
	s_or_b32 exec_lo, exec_lo, s0
	s_and_saveexec_b32 s0, vcc_lo
	s_cbranch_execnz .LBB189_1050
.LBB189_896:
	s_or_b32 exec_lo, exec_lo, s0
	s_and_saveexec_b32 s0, vcc_lo
	s_cbranch_execnz .LBB189_1051
.LBB189_897:
	s_or_b32 exec_lo, exec_lo, s0
	s_and_saveexec_b32 s0, vcc_lo
	s_cbranch_execnz .LBB189_1052
.LBB189_898:
	s_or_b32 exec_lo, exec_lo, s0
	s_and_saveexec_b32 s0, vcc_lo
	s_cbranch_execnz .LBB189_1053
.LBB189_899:
	s_or_b32 exec_lo, exec_lo, s0
	s_and_saveexec_b32 s0, vcc_lo
	s_cbranch_execnz .LBB189_1054
.LBB189_900:
	s_or_b32 exec_lo, exec_lo, s0
	s_and_saveexec_b32 s0, vcc_lo
	s_cbranch_execnz .LBB189_1055
.LBB189_901:
	s_or_b32 exec_lo, exec_lo, s0
	s_and_saveexec_b32 s0, vcc_lo
	s_cbranch_execnz .LBB189_1056
.LBB189_902:
	s_or_b32 exec_lo, exec_lo, s0
	s_and_saveexec_b32 s0, vcc_lo
	s_cbranch_execnz .LBB189_1057
.LBB189_903:
	s_or_b32 exec_lo, exec_lo, s0
	s_and_saveexec_b32 s0, vcc_lo
	s_cbranch_execnz .LBB189_1058
.LBB189_904:
	s_or_b32 exec_lo, exec_lo, s0
	s_and_saveexec_b32 s0, vcc_lo
	s_cbranch_execnz .LBB189_1059
.LBB189_905:
	s_or_b32 exec_lo, exec_lo, s0
	s_and_saveexec_b32 s0, vcc_lo
	s_cbranch_execnz .LBB189_1060
.LBB189_906:
	s_or_b32 exec_lo, exec_lo, s0
	s_and_saveexec_b32 s0, vcc_lo
	s_cbranch_execnz .LBB189_1061
.LBB189_907:
	s_or_b32 exec_lo, exec_lo, s0
	s_and_saveexec_b32 s0, vcc_lo
	s_cbranch_execnz .LBB189_1062
.LBB189_908:
	s_or_b32 exec_lo, exec_lo, s0
	s_and_saveexec_b32 s0, vcc_lo
	s_cbranch_execnz .LBB189_1063
.LBB189_909:
	s_or_b32 exec_lo, exec_lo, s0
	s_and_saveexec_b32 s0, vcc_lo
	s_cbranch_execnz .LBB189_1064
.LBB189_910:
	s_or_b32 exec_lo, exec_lo, s0
	s_and_saveexec_b32 s0, vcc_lo
	s_cbranch_execnz .LBB189_1065
.LBB189_911:
	s_or_b32 exec_lo, exec_lo, s0
	s_and_saveexec_b32 s0, vcc_lo
	s_cbranch_execnz .LBB189_1066
.LBB189_912:
	s_or_b32 exec_lo, exec_lo, s0
	s_and_saveexec_b32 s0, vcc_lo
	s_cbranch_execnz .LBB189_1067
.LBB189_913:
	s_or_b32 exec_lo, exec_lo, s0
	s_and_saveexec_b32 s0, vcc_lo
	s_cbranch_execnz .LBB189_1068
.LBB189_914:
	s_or_b32 exec_lo, exec_lo, s0
	s_and_saveexec_b32 s0, vcc_lo
	s_cbranch_execz .LBB189_916
.LBB189_915:
	v_lshl_add_u32 v27, v1, 2, v25
	ds_load_b32 v27, v27 offset:736
	s_waitcnt lgkmcnt(0)
	v_add_f32_e32 v2, v27, v2
.LBB189_916:
	s_or_b32 exec_lo, exec_lo, s0
.LBB189_917:
	s_delay_alu instid0(SALU_CYCLE_1)
	s_or_b32 exec_lo, exec_lo, s2
	scratch_load_b32 v27, off, s32 offset:712 ; 4-byte Folded Reload
	s_mov_b32 s2, exec_lo
	s_waitcnt vmcnt(0)
	s_barrier
	buffer_gl0_inv
	v_and_b32_e32 v27, 0x3e3, v27
	s_delay_alu instid0(VALU_DEP_1)
	v_cmpx_eq_u32_e32 32, v27
	s_cbranch_execz .LBB189_919
; %bb.918:
	v_add3_u32 v26, v25, v26, 0xfffffd00
	ds_store_2addr_b32 v26, v0, v24 offset1:8
	ds_store_2addr_b32 v26, v23, v22 offset0:16 offset1:24
	ds_store_2addr_b32 v26, v19, v21 offset0:32 offset1:40
	;; [unrolled: 1-line block ×11, first 2 shown]
.LBB189_919:
	s_or_b32 exec_lo, exec_lo, s2
	scratch_load_b32 v26, off, s32 offset:712 ; 4-byte Folded Reload
	s_waitcnt vmcnt(0) lgkmcnt(0)
	s_barrier
	buffer_gl0_inv
	v_cmp_gt_u32_e64 s0, 32, v26
	s_delay_alu instid0(VALU_DEP_1)
	s_and_saveexec_b32 s2, s0
	s_cbranch_execz .LBB189_946
; %bb.920:
	v_lshl_add_u32 v1, v1, 2, v25
	s_and_saveexec_b32 s3, vcc_lo
	s_cbranch_execnz .LBB189_1069
; %bb.921:
	s_or_b32 exec_lo, exec_lo, s3
	s_and_saveexec_b32 s3, vcc_lo
	s_cbranch_execnz .LBB189_1070
.LBB189_922:
	s_or_b32 exec_lo, exec_lo, s3
	s_and_saveexec_b32 s3, vcc_lo
	s_cbranch_execnz .LBB189_1071
.LBB189_923:
	s_or_b32 exec_lo, exec_lo, s3
	s_and_saveexec_b32 s3, vcc_lo
	s_cbranch_execnz .LBB189_1072
.LBB189_924:
	s_or_b32 exec_lo, exec_lo, s3
	s_and_saveexec_b32 s3, vcc_lo
	s_cbranch_execnz .LBB189_1073
.LBB189_925:
	s_or_b32 exec_lo, exec_lo, s3
	s_and_saveexec_b32 s3, vcc_lo
	s_cbranch_execnz .LBB189_1074
.LBB189_926:
	s_or_b32 exec_lo, exec_lo, s3
	s_and_saveexec_b32 s3, vcc_lo
	s_cbranch_execnz .LBB189_1075
.LBB189_927:
	s_or_b32 exec_lo, exec_lo, s3
	s_and_saveexec_b32 s3, vcc_lo
	s_cbranch_execnz .LBB189_1076
.LBB189_928:
	s_or_b32 exec_lo, exec_lo, s3
	s_and_saveexec_b32 s3, vcc_lo
	s_cbranch_execnz .LBB189_1077
.LBB189_929:
	s_or_b32 exec_lo, exec_lo, s3
	s_and_saveexec_b32 s3, vcc_lo
	s_cbranch_execnz .LBB189_1078
.LBB189_930:
	s_or_b32 exec_lo, exec_lo, s3
	s_and_saveexec_b32 s3, vcc_lo
	s_cbranch_execnz .LBB189_1079
.LBB189_931:
	s_or_b32 exec_lo, exec_lo, s3
	s_and_saveexec_b32 s3, vcc_lo
	s_cbranch_execnz .LBB189_1080
.LBB189_932:
	s_or_b32 exec_lo, exec_lo, s3
	s_and_saveexec_b32 s3, vcc_lo
	s_cbranch_execnz .LBB189_1081
.LBB189_933:
	s_or_b32 exec_lo, exec_lo, s3
	s_and_saveexec_b32 s3, vcc_lo
	s_cbranch_execnz .LBB189_1082
.LBB189_934:
	s_or_b32 exec_lo, exec_lo, s3
	s_and_saveexec_b32 s3, vcc_lo
	s_cbranch_execnz .LBB189_1083
.LBB189_935:
	s_or_b32 exec_lo, exec_lo, s3
	s_and_saveexec_b32 s3, vcc_lo
	s_cbranch_execnz .LBB189_1084
.LBB189_936:
	s_or_b32 exec_lo, exec_lo, s3
	s_and_saveexec_b32 s3, vcc_lo
	s_cbranch_execnz .LBB189_1085
.LBB189_937:
	s_or_b32 exec_lo, exec_lo, s3
	s_and_saveexec_b32 s3, vcc_lo
	s_cbranch_execnz .LBB189_1086
.LBB189_938:
	s_or_b32 exec_lo, exec_lo, s3
	s_and_saveexec_b32 s3, vcc_lo
	s_cbranch_execnz .LBB189_1087
.LBB189_939:
	s_or_b32 exec_lo, exec_lo, s3
	s_and_saveexec_b32 s3, vcc_lo
	s_cbranch_execnz .LBB189_1088
.LBB189_940:
	s_or_b32 exec_lo, exec_lo, s3
	s_and_saveexec_b32 s3, vcc_lo
	s_cbranch_execnz .LBB189_1089
.LBB189_941:
	s_or_b32 exec_lo, exec_lo, s3
	s_and_saveexec_b32 s3, vcc_lo
	s_cbranch_execnz .LBB189_1090
.LBB189_942:
	s_or_b32 exec_lo, exec_lo, s3
	s_and_saveexec_b32 s3, vcc_lo
	s_cbranch_execnz .LBB189_1091
.LBB189_943:
	s_or_b32 exec_lo, exec_lo, s3
	s_and_saveexec_b32 s3, vcc_lo
	s_cbranch_execz .LBB189_945
.LBB189_944:
	ds_load_b32 v1, v1 offset:736
	s_waitcnt lgkmcnt(0)
	v_add_f32_e32 v2, v1, v2
.LBB189_945:
	s_or_b32 exec_lo, exec_lo, s3
.LBB189_946:
	s_delay_alu instid0(SALU_CYCLE_1)
	s_or_b32 exec_lo, exec_lo, s2
	s_barrier
	buffer_gl0_inv
	s_and_b32 exec_lo, exec_lo, s0
	s_cbranch_execz .LBB189_1045
; %bb.947:
	s_and_b32 exec_lo, exec_lo, vcc_lo
	s_cbranch_execz .LBB189_1045
; %bb.948:
	v_and_b32_e32 v1, 0x7f800000, v0
	s_mov_b32 s0, exec_lo
                                        ; implicit-def: $vgpr25
	s_delay_alu instid0(VALU_DEP_1)
	v_cmpx_ne_u32_e32 0x7f800000, v1
	s_xor_b32 s0, exec_lo, s0
; %bb.949:
	v_bfe_u32 v1, v0, 16, 1
	s_delay_alu instid0(VALU_DEP_1)
	v_add3_u32 v25, v0, v1, 0x7fff
                                        ; implicit-def: $vgpr0
; %bb.950:
	s_and_not1_saveexec_b32 s0, s0
; %bb.951:
	v_and_b32_e32 v1, 0xffff, v0
	v_or_b32_e32 v25, 0x10000, v0
	s_delay_alu instid0(VALU_DEP_2) | instskip(NEXT) | instid1(VALU_DEP_2)
	v_cmp_eq_u32_e32 vcc_lo, 0, v1
	v_cndmask_b32_e32 v25, v25, v0, vcc_lo
; %bb.952:
	s_or_b32 exec_lo, exec_lo, s0
	scratch_load_b32 v1, off, s32 offset:724 ; 4-byte Folded Reload
	v_lshrrev_b32_e32 v0, 1, v26
	scratch_load_b32 v26, off, s32 offset:720 ; 4-byte Folded Reload
	s_mul_i32 s2, s1, s4
	s_mul_i32 s0, s6, s1
	;; [unrolled: 1-line block ×5, first 2 shown]
	s_ashr_i32 s1, s0, 31
	s_ashr_i32 s3, s2, 31
	;; [unrolled: 1-line block ×3, first 2 shown]
	s_lshl_b64 s[0:1], s[0:1], 1
	s_lshl_b64 s[2:3], s[2:3], 1
	;; [unrolled: 1-line block ×3, first 2 shown]
	s_add_u32 s0, s2, s0
	s_addc_u32 s1, s3, s1
	s_add_u32 s0, s0, s6
	s_addc_u32 s1, s1, s7
	v_and_b32_e32 v0, 0x1fe, v0
	v_and_b32_e32 v27, 0x7f800000, v24
	s_waitcnt vmcnt(1)
	v_add_co_u32 v1, vcc_lo, s0, v1
	s_waitcnt vmcnt(0)
	v_add_co_ci_u32_e32 v26, vcc_lo, s1, v26, vcc_lo
	s_mov_b32 s0, exec_lo
	s_delay_alu instid0(VALU_DEP_2) | instskip(NEXT) | instid1(VALU_DEP_2)
	v_add_co_u32 v0, vcc_lo, v1, v0
	v_add_co_ci_u32_e32 v1, vcc_lo, 0, v26, vcc_lo
	flat_store_d16_hi_b16 v[0:1], v25
                                        ; implicit-def: $vgpr25
	v_cmpx_ne_u32_e32 0x7f800000, v27
	s_xor_b32 s0, exec_lo, s0
; %bb.953:
	v_bfe_u32 v25, v24, 16, 1
	s_delay_alu instid0(VALU_DEP_1)
	v_add3_u32 v25, v24, v25, 0x7fff
                                        ; implicit-def: $vgpr24
; %bb.954:
	s_and_not1_saveexec_b32 s0, s0
; %bb.955:
	v_and_b32_e32 v25, 0xffff, v24
	v_or_b32_e32 v26, 0x10000, v24
	s_delay_alu instid0(VALU_DEP_2) | instskip(NEXT) | instid1(VALU_DEP_2)
	v_cmp_eq_u32_e32 vcc_lo, 0, v25
	v_cndmask_b32_e32 v25, v26, v24, vcc_lo
; %bb.956:
	s_or_b32 exec_lo, exec_lo, s0
	v_and_b32_e32 v24, 0x7f800000, v23
	flat_store_d16_hi_b16 v[0:1], v25 offset:16
	v_cmp_ne_u32_e32 vcc_lo, 0x7f800000, v24
                                        ; implicit-def: $vgpr24
	s_and_saveexec_b32 s0, vcc_lo
	s_delay_alu instid0(SALU_CYCLE_1)
	s_xor_b32 s0, exec_lo, s0
; %bb.957:
	v_bfe_u32 v24, v23, 16, 1
	s_delay_alu instid0(VALU_DEP_1)
	v_add3_u32 v24, v23, v24, 0x7fff
                                        ; implicit-def: $vgpr23
; %bb.958:
	s_and_not1_saveexec_b32 s0, s0
; %bb.959:
	v_and_b32_e32 v24, 0xffff, v23
	v_or_b32_e32 v25, 0x10000, v23
	s_delay_alu instid0(VALU_DEP_2) | instskip(NEXT) | instid1(VALU_DEP_2)
	v_cmp_eq_u32_e32 vcc_lo, 0, v24
	v_cndmask_b32_e32 v24, v25, v23, vcc_lo
; %bb.960:
	s_or_b32 exec_lo, exec_lo, s0
	v_and_b32_e32 v23, 0x7f800000, v22
	flat_store_d16_hi_b16 v[0:1], v24 offset:32
	v_cmp_ne_u32_e32 vcc_lo, 0x7f800000, v23
                                        ; implicit-def: $vgpr23
	s_and_saveexec_b32 s0, vcc_lo
	s_delay_alu instid0(SALU_CYCLE_1)
	s_xor_b32 s0, exec_lo, s0
; %bb.961:
	v_bfe_u32 v23, v22, 16, 1
	s_delay_alu instid0(VALU_DEP_1)
	v_add3_u32 v23, v22, v23, 0x7fff
                                        ; implicit-def: $vgpr22
; %bb.962:
	s_and_not1_saveexec_b32 s0, s0
; %bb.963:
	v_and_b32_e32 v23, 0xffff, v22
	v_or_b32_e32 v24, 0x10000, v22
	s_delay_alu instid0(VALU_DEP_2) | instskip(NEXT) | instid1(VALU_DEP_2)
	v_cmp_eq_u32_e32 vcc_lo, 0, v23
	v_cndmask_b32_e32 v23, v24, v22, vcc_lo
; %bb.964:
	s_or_b32 exec_lo, exec_lo, s0
	v_and_b32_e32 v22, 0x7f800000, v19
	flat_store_d16_hi_b16 v[0:1], v23 offset:48
	v_cmp_ne_u32_e32 vcc_lo, 0x7f800000, v22
                                        ; implicit-def: $vgpr22
	s_and_saveexec_b32 s0, vcc_lo
	s_delay_alu instid0(SALU_CYCLE_1)
	s_xor_b32 s0, exec_lo, s0
; %bb.965:
	v_bfe_u32 v22, v19, 16, 1
	s_delay_alu instid0(VALU_DEP_1)
	v_add3_u32 v22, v19, v22, 0x7fff
                                        ; implicit-def: $vgpr19
; %bb.966:
	s_and_not1_saveexec_b32 s0, s0
; %bb.967:
	v_and_b32_e32 v22, 0xffff, v19
	v_or_b32_e32 v23, 0x10000, v19
	s_delay_alu instid0(VALU_DEP_2) | instskip(NEXT) | instid1(VALU_DEP_2)
	v_cmp_eq_u32_e32 vcc_lo, 0, v22
	v_cndmask_b32_e32 v22, v23, v19, vcc_lo
; %bb.968:
	s_or_b32 exec_lo, exec_lo, s0
	v_and_b32_e32 v19, 0x7f800000, v21
	flat_store_d16_hi_b16 v[0:1], v22 offset:64
	v_cmp_ne_u32_e32 vcc_lo, 0x7f800000, v19
                                        ; implicit-def: $vgpr19
	s_and_saveexec_b32 s0, vcc_lo
	s_delay_alu instid0(SALU_CYCLE_1)
	s_xor_b32 s0, exec_lo, s0
; %bb.969:
	v_bfe_u32 v19, v21, 16, 1
	s_delay_alu instid0(VALU_DEP_1)
	v_add3_u32 v19, v21, v19, 0x7fff
                                        ; implicit-def: $vgpr21
; %bb.970:
	s_and_not1_saveexec_b32 s0, s0
; %bb.971:
	v_and_b32_e32 v19, 0xffff, v21
	v_or_b32_e32 v22, 0x10000, v21
	s_delay_alu instid0(VALU_DEP_2) | instskip(NEXT) | instid1(VALU_DEP_2)
	v_cmp_eq_u32_e32 vcc_lo, 0, v19
	v_cndmask_b32_e32 v19, v22, v21, vcc_lo
; %bb.972:
	s_or_b32 exec_lo, exec_lo, s0
	v_and_b32_e32 v21, 0x7f800000, v20
	s_mov_b32 s0, exec_lo
	flat_store_d16_hi_b16 v[0:1], v19 offset:80
                                        ; implicit-def: $vgpr19
	v_cmpx_ne_u32_e32 0x7f800000, v21
	s_xor_b32 s0, exec_lo, s0
; %bb.973:
	v_bfe_u32 v19, v20, 16, 1
	s_delay_alu instid0(VALU_DEP_1)
	v_add3_u32 v19, v20, v19, 0x7fff
                                        ; implicit-def: $vgpr20
; %bb.974:
	s_and_not1_saveexec_b32 s0, s0
; %bb.975:
	v_and_b32_e32 v19, 0xffff, v20
	v_or_b32_e32 v21, 0x10000, v20
	s_delay_alu instid0(VALU_DEP_2) | instskip(NEXT) | instid1(VALU_DEP_2)
	v_cmp_eq_u32_e32 vcc_lo, 0, v19
	v_cndmask_b32_e32 v19, v21, v20, vcc_lo
; %bb.976:
	s_or_b32 exec_lo, exec_lo, s0
	v_and_b32_e32 v20, 0x7f800000, v18
	s_mov_b32 s0, exec_lo
	flat_store_d16_hi_b16 v[0:1], v19 offset:96
                                        ; implicit-def: $vgpr19
	v_cmpx_ne_u32_e32 0x7f800000, v20
	s_xor_b32 s0, exec_lo, s0
; %bb.977:
	v_bfe_u32 v19, v18, 16, 1
	s_delay_alu instid0(VALU_DEP_1)
	v_add3_u32 v19, v18, v19, 0x7fff
                                        ; implicit-def: $vgpr18
; %bb.978:
	s_and_not1_saveexec_b32 s0, s0
; %bb.979:
	v_and_b32_e32 v19, 0xffff, v18
	v_or_b32_e32 v20, 0x10000, v18
	s_delay_alu instid0(VALU_DEP_2) | instskip(NEXT) | instid1(VALU_DEP_2)
	v_cmp_eq_u32_e32 vcc_lo, 0, v19
	v_cndmask_b32_e32 v19, v20, v18, vcc_lo
; %bb.980:
	s_or_b32 exec_lo, exec_lo, s0
	v_and_b32_e32 v18, 0x7f800000, v17
	flat_store_d16_hi_b16 v[0:1], v19 offset:112
	v_cmp_ne_u32_e32 vcc_lo, 0x7f800000, v18
                                        ; implicit-def: $vgpr18
	s_and_saveexec_b32 s0, vcc_lo
	s_delay_alu instid0(SALU_CYCLE_1)
	s_xor_b32 s0, exec_lo, s0
; %bb.981:
	v_bfe_u32 v18, v17, 16, 1
	s_delay_alu instid0(VALU_DEP_1)
	v_add3_u32 v18, v17, v18, 0x7fff
                                        ; implicit-def: $vgpr17
; %bb.982:
	s_and_not1_saveexec_b32 s0, s0
; %bb.983:
	v_and_b32_e32 v18, 0xffff, v17
	v_or_b32_e32 v19, 0x10000, v17
	s_delay_alu instid0(VALU_DEP_2) | instskip(NEXT) | instid1(VALU_DEP_2)
	v_cmp_eq_u32_e32 vcc_lo, 0, v18
	v_cndmask_b32_e32 v18, v19, v17, vcc_lo
; %bb.984:
	s_or_b32 exec_lo, exec_lo, s0
	v_and_b32_e32 v17, 0x7f800000, v16
	flat_store_d16_hi_b16 v[0:1], v18 offset:128
	v_cmp_ne_u32_e32 vcc_lo, 0x7f800000, v17
                                        ; implicit-def: $vgpr17
	s_and_saveexec_b32 s0, vcc_lo
	s_delay_alu instid0(SALU_CYCLE_1)
	s_xor_b32 s0, exec_lo, s0
; %bb.985:
	v_bfe_u32 v17, v16, 16, 1
	s_delay_alu instid0(VALU_DEP_1)
	v_add3_u32 v17, v16, v17, 0x7fff
                                        ; implicit-def: $vgpr16
; %bb.986:
	s_and_not1_saveexec_b32 s0, s0
; %bb.987:
	v_and_b32_e32 v17, 0xffff, v16
	v_or_b32_e32 v18, 0x10000, v16
	s_delay_alu instid0(VALU_DEP_2) | instskip(NEXT) | instid1(VALU_DEP_2)
	v_cmp_eq_u32_e32 vcc_lo, 0, v17
	v_cndmask_b32_e32 v17, v18, v16, vcc_lo
; %bb.988:
	s_or_b32 exec_lo, exec_lo, s0
	v_and_b32_e32 v16, 0x7f800000, v15
	flat_store_d16_hi_b16 v[0:1], v17 offset:144
	v_cmp_ne_u32_e32 vcc_lo, 0x7f800000, v16
                                        ; implicit-def: $vgpr16
	s_and_saveexec_b32 s0, vcc_lo
	s_delay_alu instid0(SALU_CYCLE_1)
	s_xor_b32 s0, exec_lo, s0
; %bb.989:
	v_bfe_u32 v16, v15, 16, 1
	s_delay_alu instid0(VALU_DEP_1)
	v_add3_u32 v16, v15, v16, 0x7fff
                                        ; implicit-def: $vgpr15
; %bb.990:
	s_and_not1_saveexec_b32 s0, s0
; %bb.991:
	v_and_b32_e32 v16, 0xffff, v15
	v_or_b32_e32 v17, 0x10000, v15
	s_delay_alu instid0(VALU_DEP_2) | instskip(NEXT) | instid1(VALU_DEP_2)
	v_cmp_eq_u32_e32 vcc_lo, 0, v16
	v_cndmask_b32_e32 v16, v17, v15, vcc_lo
; %bb.992:
	s_or_b32 exec_lo, exec_lo, s0
	v_and_b32_e32 v15, 0x7f800000, v14
	flat_store_d16_hi_b16 v[0:1], v16 offset:160
	v_cmp_ne_u32_e32 vcc_lo, 0x7f800000, v15
                                        ; implicit-def: $vgpr15
	s_and_saveexec_b32 s0, vcc_lo
	s_delay_alu instid0(SALU_CYCLE_1)
	s_xor_b32 s0, exec_lo, s0
; %bb.993:
	v_bfe_u32 v15, v14, 16, 1
	s_delay_alu instid0(VALU_DEP_1)
	v_add3_u32 v15, v14, v15, 0x7fff
                                        ; implicit-def: $vgpr14
; %bb.994:
	s_and_not1_saveexec_b32 s0, s0
; %bb.995:
	v_and_b32_e32 v15, 0xffff, v14
	v_or_b32_e32 v16, 0x10000, v14
	s_delay_alu instid0(VALU_DEP_2) | instskip(NEXT) | instid1(VALU_DEP_2)
	v_cmp_eq_u32_e32 vcc_lo, 0, v15
	v_cndmask_b32_e32 v15, v16, v14, vcc_lo
; %bb.996:
	s_or_b32 exec_lo, exec_lo, s0
	v_and_b32_e32 v14, 0x7f800000, v13
	flat_store_d16_hi_b16 v[0:1], v15 offset:176
	v_cmp_ne_u32_e32 vcc_lo, 0x7f800000, v14
                                        ; implicit-def: $vgpr14
	s_and_saveexec_b32 s0, vcc_lo
	s_delay_alu instid0(SALU_CYCLE_1)
	s_xor_b32 s0, exec_lo, s0
; %bb.997:
	v_bfe_u32 v14, v13, 16, 1
	s_delay_alu instid0(VALU_DEP_1)
	v_add3_u32 v14, v13, v14, 0x7fff
                                        ; implicit-def: $vgpr13
; %bb.998:
	s_and_not1_saveexec_b32 s0, s0
; %bb.999:
	v_and_b32_e32 v14, 0xffff, v13
	v_or_b32_e32 v15, 0x10000, v13
	s_delay_alu instid0(VALU_DEP_2) | instskip(NEXT) | instid1(VALU_DEP_2)
	v_cmp_eq_u32_e32 vcc_lo, 0, v14
	v_cndmask_b32_e32 v14, v15, v13, vcc_lo
; %bb.1000:
	s_or_b32 exec_lo, exec_lo, s0
	v_and_b32_e32 v13, 0x7f800000, v12
	flat_store_d16_hi_b16 v[0:1], v14 offset:192
	v_cmp_ne_u32_e32 vcc_lo, 0x7f800000, v13
                                        ; implicit-def: $vgpr13
	s_and_saveexec_b32 s0, vcc_lo
	s_delay_alu instid0(SALU_CYCLE_1)
	s_xor_b32 s0, exec_lo, s0
; %bb.1001:
	v_bfe_u32 v13, v12, 16, 1
	s_delay_alu instid0(VALU_DEP_1)
	v_add3_u32 v13, v12, v13, 0x7fff
                                        ; implicit-def: $vgpr12
; %bb.1002:
	s_and_not1_saveexec_b32 s0, s0
; %bb.1003:
	v_and_b32_e32 v13, 0xffff, v12
	v_or_b32_e32 v14, 0x10000, v12
	s_delay_alu instid0(VALU_DEP_2) | instskip(NEXT) | instid1(VALU_DEP_2)
	v_cmp_eq_u32_e32 vcc_lo, 0, v13
	v_cndmask_b32_e32 v13, v14, v12, vcc_lo
; %bb.1004:
	s_or_b32 exec_lo, exec_lo, s0
	v_and_b32_e32 v12, 0x7f800000, v11
	flat_store_d16_hi_b16 v[0:1], v13 offset:208
	v_cmp_ne_u32_e32 vcc_lo, 0x7f800000, v12
                                        ; implicit-def: $vgpr12
	s_and_saveexec_b32 s0, vcc_lo
	s_delay_alu instid0(SALU_CYCLE_1)
	s_xor_b32 s0, exec_lo, s0
; %bb.1005:
	v_bfe_u32 v12, v11, 16, 1
	s_delay_alu instid0(VALU_DEP_1)
	v_add3_u32 v12, v11, v12, 0x7fff
                                        ; implicit-def: $vgpr11
; %bb.1006:
	s_and_not1_saveexec_b32 s0, s0
; %bb.1007:
	v_and_b32_e32 v12, 0xffff, v11
	v_or_b32_e32 v13, 0x10000, v11
	s_delay_alu instid0(VALU_DEP_2) | instskip(NEXT) | instid1(VALU_DEP_2)
	v_cmp_eq_u32_e32 vcc_lo, 0, v12
	v_cndmask_b32_e32 v12, v13, v11, vcc_lo
; %bb.1008:
	s_or_b32 exec_lo, exec_lo, s0
	v_and_b32_e32 v11, 0x7f800000, v10
	flat_store_d16_hi_b16 v[0:1], v12 offset:224
	v_cmp_ne_u32_e32 vcc_lo, 0x7f800000, v11
                                        ; implicit-def: $vgpr11
	s_and_saveexec_b32 s0, vcc_lo
	s_delay_alu instid0(SALU_CYCLE_1)
	s_xor_b32 s0, exec_lo, s0
; %bb.1009:
	v_bfe_u32 v11, v10, 16, 1
	s_delay_alu instid0(VALU_DEP_1)
	v_add3_u32 v11, v10, v11, 0x7fff
                                        ; implicit-def: $vgpr10
; %bb.1010:
	s_and_not1_saveexec_b32 s0, s0
; %bb.1011:
	v_and_b32_e32 v11, 0xffff, v10
	v_or_b32_e32 v12, 0x10000, v10
	s_delay_alu instid0(VALU_DEP_2) | instskip(NEXT) | instid1(VALU_DEP_2)
	v_cmp_eq_u32_e32 vcc_lo, 0, v11
	v_cndmask_b32_e32 v11, v12, v10, vcc_lo
; %bb.1012:
	s_or_b32 exec_lo, exec_lo, s0
	v_and_b32_e32 v10, 0x7f800000, v9
	flat_store_d16_hi_b16 v[0:1], v11 offset:240
	v_cmp_ne_u32_e32 vcc_lo, 0x7f800000, v10
                                        ; implicit-def: $vgpr10
	s_and_saveexec_b32 s0, vcc_lo
	s_delay_alu instid0(SALU_CYCLE_1)
	s_xor_b32 s0, exec_lo, s0
; %bb.1013:
	v_bfe_u32 v10, v9, 16, 1
	s_delay_alu instid0(VALU_DEP_1)
	v_add3_u32 v10, v9, v10, 0x7fff
                                        ; implicit-def: $vgpr9
; %bb.1014:
	s_and_not1_saveexec_b32 s0, s0
; %bb.1015:
	v_and_b32_e32 v10, 0xffff, v9
	v_or_b32_e32 v11, 0x10000, v9
	s_delay_alu instid0(VALU_DEP_2) | instskip(NEXT) | instid1(VALU_DEP_2)
	v_cmp_eq_u32_e32 vcc_lo, 0, v10
	v_cndmask_b32_e32 v10, v11, v9, vcc_lo
; %bb.1016:
	s_or_b32 exec_lo, exec_lo, s0
	v_and_b32_e32 v9, 0x7f800000, v8
	flat_store_d16_hi_b16 v[0:1], v10 offset:256
	v_cmp_ne_u32_e32 vcc_lo, 0x7f800000, v9
                                        ; implicit-def: $vgpr9
	s_and_saveexec_b32 s0, vcc_lo
	s_delay_alu instid0(SALU_CYCLE_1)
	s_xor_b32 s0, exec_lo, s0
; %bb.1017:
	v_bfe_u32 v9, v8, 16, 1
	s_delay_alu instid0(VALU_DEP_1)
	v_add3_u32 v9, v8, v9, 0x7fff
                                        ; implicit-def: $vgpr8
; %bb.1018:
	s_and_not1_saveexec_b32 s0, s0
; %bb.1019:
	v_and_b32_e32 v9, 0xffff, v8
	v_or_b32_e32 v10, 0x10000, v8
	s_delay_alu instid0(VALU_DEP_2) | instskip(NEXT) | instid1(VALU_DEP_2)
	v_cmp_eq_u32_e32 vcc_lo, 0, v9
	v_cndmask_b32_e32 v9, v10, v8, vcc_lo
; %bb.1020:
	s_or_b32 exec_lo, exec_lo, s0
	v_and_b32_e32 v8, 0x7f800000, v7
	flat_store_d16_hi_b16 v[0:1], v9 offset:272
	v_cmp_ne_u32_e32 vcc_lo, 0x7f800000, v8
                                        ; implicit-def: $vgpr8
	s_and_saveexec_b32 s0, vcc_lo
	s_delay_alu instid0(SALU_CYCLE_1)
	s_xor_b32 s0, exec_lo, s0
; %bb.1021:
	v_bfe_u32 v8, v7, 16, 1
	s_delay_alu instid0(VALU_DEP_1)
	v_add3_u32 v8, v7, v8, 0x7fff
                                        ; implicit-def: $vgpr7
; %bb.1022:
	s_and_not1_saveexec_b32 s0, s0
; %bb.1023:
	v_and_b32_e32 v8, 0xffff, v7
	v_or_b32_e32 v9, 0x10000, v7
	s_delay_alu instid0(VALU_DEP_2) | instskip(NEXT) | instid1(VALU_DEP_2)
	v_cmp_eq_u32_e32 vcc_lo, 0, v8
	v_cndmask_b32_e32 v8, v9, v7, vcc_lo
; %bb.1024:
	s_or_b32 exec_lo, exec_lo, s0
	v_and_b32_e32 v7, 0x7f800000, v6
	flat_store_d16_hi_b16 v[0:1], v8 offset:288
	v_cmp_ne_u32_e32 vcc_lo, 0x7f800000, v7
                                        ; implicit-def: $vgpr7
	s_and_saveexec_b32 s0, vcc_lo
	s_delay_alu instid0(SALU_CYCLE_1)
	s_xor_b32 s0, exec_lo, s0
; %bb.1025:
	v_bfe_u32 v7, v6, 16, 1
	s_delay_alu instid0(VALU_DEP_1)
	v_add3_u32 v7, v6, v7, 0x7fff
                                        ; implicit-def: $vgpr6
; %bb.1026:
	s_and_not1_saveexec_b32 s0, s0
; %bb.1027:
	v_and_b32_e32 v7, 0xffff, v6
	v_or_b32_e32 v8, 0x10000, v6
	s_delay_alu instid0(VALU_DEP_2) | instskip(NEXT) | instid1(VALU_DEP_2)
	v_cmp_eq_u32_e32 vcc_lo, 0, v7
	v_cndmask_b32_e32 v7, v8, v6, vcc_lo
; %bb.1028:
	s_or_b32 exec_lo, exec_lo, s0
	v_and_b32_e32 v6, 0x7f800000, v5
	flat_store_d16_hi_b16 v[0:1], v7 offset:304
	v_cmp_ne_u32_e32 vcc_lo, 0x7f800000, v6
                                        ; implicit-def: $vgpr6
	s_and_saveexec_b32 s0, vcc_lo
	s_delay_alu instid0(SALU_CYCLE_1)
	s_xor_b32 s0, exec_lo, s0
; %bb.1029:
	v_bfe_u32 v6, v5, 16, 1
	s_delay_alu instid0(VALU_DEP_1)
	v_add3_u32 v6, v5, v6, 0x7fff
                                        ; implicit-def: $vgpr5
; %bb.1030:
	s_and_not1_saveexec_b32 s0, s0
; %bb.1031:
	v_and_b32_e32 v6, 0xffff, v5
	v_or_b32_e32 v7, 0x10000, v5
	s_delay_alu instid0(VALU_DEP_2) | instskip(NEXT) | instid1(VALU_DEP_2)
	v_cmp_eq_u32_e32 vcc_lo, 0, v6
	v_cndmask_b32_e32 v6, v7, v5, vcc_lo
; %bb.1032:
	s_or_b32 exec_lo, exec_lo, s0
	v_and_b32_e32 v5, 0x7f800000, v4
	flat_store_d16_hi_b16 v[0:1], v6 offset:320
	v_cmp_ne_u32_e32 vcc_lo, 0x7f800000, v5
                                        ; implicit-def: $vgpr5
	s_and_saveexec_b32 s0, vcc_lo
	s_delay_alu instid0(SALU_CYCLE_1)
	s_xor_b32 s0, exec_lo, s0
; %bb.1033:
	v_bfe_u32 v5, v4, 16, 1
	s_delay_alu instid0(VALU_DEP_1)
	v_add3_u32 v5, v4, v5, 0x7fff
                                        ; implicit-def: $vgpr4
; %bb.1034:
	s_and_not1_saveexec_b32 s0, s0
; %bb.1035:
	v_and_b32_e32 v5, 0xffff, v4
	v_or_b32_e32 v6, 0x10000, v4
	s_delay_alu instid0(VALU_DEP_2) | instskip(NEXT) | instid1(VALU_DEP_2)
	v_cmp_eq_u32_e32 vcc_lo, 0, v5
	v_cndmask_b32_e32 v5, v6, v4, vcc_lo
; %bb.1036:
	s_or_b32 exec_lo, exec_lo, s0
	v_and_b32_e32 v4, 0x7f800000, v3
	flat_store_d16_hi_b16 v[0:1], v5 offset:336
	v_cmp_ne_u32_e32 vcc_lo, 0x7f800000, v4
                                        ; implicit-def: $vgpr4
	s_and_saveexec_b32 s0, vcc_lo
	s_delay_alu instid0(SALU_CYCLE_1)
	s_xor_b32 s0, exec_lo, s0
; %bb.1037:
	v_bfe_u32 v4, v3, 16, 1
	s_delay_alu instid0(VALU_DEP_1)
	v_add3_u32 v4, v3, v4, 0x7fff
                                        ; implicit-def: $vgpr3
; %bb.1038:
	s_and_not1_saveexec_b32 s0, s0
; %bb.1039:
	v_and_b32_e32 v4, 0xffff, v3
	v_or_b32_e32 v5, 0x10000, v3
	s_delay_alu instid0(VALU_DEP_2) | instskip(NEXT) | instid1(VALU_DEP_2)
	v_cmp_eq_u32_e32 vcc_lo, 0, v4
	v_cndmask_b32_e32 v4, v5, v3, vcc_lo
; %bb.1040:
	s_or_b32 exec_lo, exec_lo, s0
	v_and_b32_e32 v3, 0x7f800000, v2
	flat_store_d16_hi_b16 v[0:1], v4 offset:352
	v_cmp_ne_u32_e32 vcc_lo, 0x7f800000, v3
                                        ; implicit-def: $vgpr3
	s_and_saveexec_b32 s0, vcc_lo
	s_delay_alu instid0(SALU_CYCLE_1)
	s_xor_b32 s0, exec_lo, s0
; %bb.1041:
	v_bfe_u32 v3, v2, 16, 1
	s_delay_alu instid0(VALU_DEP_1)
	v_add3_u32 v3, v2, v3, 0x7fff
                                        ; implicit-def: $vgpr2
; %bb.1042:
	s_and_not1_saveexec_b32 s0, s0
; %bb.1043:
	v_and_b32_e32 v3, 0xffff, v2
	v_or_b32_e32 v4, 0x10000, v2
	s_delay_alu instid0(VALU_DEP_2) | instskip(NEXT) | instid1(VALU_DEP_2)
	v_cmp_eq_u32_e32 vcc_lo, 0, v3
	v_cndmask_b32_e32 v3, v4, v2, vcc_lo
; %bb.1044:
	s_or_b32 exec_lo, exec_lo, s0
	flat_store_d16_hi_b16 v[0:1], v3 offset:368
.LBB189_1045:
	s_or_b32 exec_lo, exec_lo, s5
	s_clause 0x1f
	scratch_load_b32 v191, off, s32
	scratch_load_b32 v190, off, s32 offset:4
	scratch_load_b32 v189, off, s32 offset:8
	;; [unrolled: 1-line block ×31, first 2 shown]
	s_clause 0x1f
	scratch_load_b32 v127, off, s32 offset:128
	scratch_load_b32 v126, off, s32 offset:132
	scratch_load_b32 v125, off, s32 offset:136
	scratch_load_b32 v124, off, s32 offset:140
	scratch_load_b32 v123, off, s32 offset:144
	scratch_load_b32 v122, off, s32 offset:148
	scratch_load_b32 v121, off, s32 offset:152
	scratch_load_b32 v120, off, s32 offset:156
	scratch_load_b32 v111, off, s32 offset:160
	scratch_load_b32 v110, off, s32 offset:164
	scratch_load_b32 v109, off, s32 offset:168
	scratch_load_b32 v108, off, s32 offset:172
	scratch_load_b32 v107, off, s32 offset:176
	scratch_load_b32 v106, off, s32 offset:180
	scratch_load_b32 v105, off, s32 offset:184
	scratch_load_b32 v104, off, s32 offset:188
	scratch_load_b32 v95, off, s32 offset:192
	scratch_load_b32 v94, off, s32 offset:196
	scratch_load_b32 v93, off, s32 offset:200
	scratch_load_b32 v92, off, s32 offset:204
	scratch_load_b32 v91, off, s32 offset:208
	scratch_load_b32 v90, off, s32 offset:212
	scratch_load_b32 v89, off, s32 offset:216
	scratch_load_b32 v88, off, s32 offset:220
	scratch_load_b32 v79, off, s32 offset:224
	scratch_load_b32 v78, off, s32 offset:228
	scratch_load_b32 v77, off, s32 offset:232
	scratch_load_b32 v76, off, s32 offset:236
	scratch_load_b32 v75, off, s32 offset:240
	scratch_load_b32 v74, off, s32 offset:244
	scratch_load_b32 v73, off, s32 offset:248
	scratch_load_b32 v72, off, s32 offset:252
	s_clause 0xf
	scratch_load_b32 v63, off, s32 offset:256
	scratch_load_b32 v62, off, s32 offset:260
	;; [unrolled: 1-line block ×16, first 2 shown]
	s_waitcnt vmcnt(0) lgkmcnt(0)
	s_setpc_b64 s[30:31]
.LBB189_1046:
	v_lshl_add_u32 v27, v1, 2, v25
	ds_load_b32 v27, v27
	s_waitcnt lgkmcnt(0)
	v_add_f32_e32 v0, v27, v0
	s_or_b32 exec_lo, exec_lo, s0
	s_and_saveexec_b32 s0, vcc_lo
	s_cbranch_execz .LBB189_893
.LBB189_1047:
	v_lshl_add_u32 v27, v1, 2, v25
	ds_load_b32 v27, v27 offset:32
	s_waitcnt lgkmcnt(0)
	v_add_f32_e32 v24, v27, v24
	s_or_b32 exec_lo, exec_lo, s0
	s_and_saveexec_b32 s0, vcc_lo
	s_cbranch_execz .LBB189_894
.LBB189_1048:
	v_lshl_add_u32 v27, v1, 2, v25
	ds_load_b32 v27, v27 offset:64
	s_waitcnt lgkmcnt(0)
	v_add_f32_e32 v23, v27, v23
	s_or_b32 exec_lo, exec_lo, s0
	s_and_saveexec_b32 s0, vcc_lo
	s_cbranch_execz .LBB189_895
.LBB189_1049:
	v_lshl_add_u32 v27, v1, 2, v25
	ds_load_b32 v27, v27 offset:96
	s_waitcnt lgkmcnt(0)
	v_add_f32_e32 v22, v27, v22
	s_or_b32 exec_lo, exec_lo, s0
	s_and_saveexec_b32 s0, vcc_lo
	s_cbranch_execz .LBB189_896
.LBB189_1050:
	v_lshl_add_u32 v27, v1, 2, v25
	ds_load_b32 v27, v27 offset:128
	s_waitcnt lgkmcnt(0)
	v_add_f32_e32 v19, v27, v19
	s_or_b32 exec_lo, exec_lo, s0
	s_and_saveexec_b32 s0, vcc_lo
	s_cbranch_execz .LBB189_897
.LBB189_1051:
	v_lshl_add_u32 v27, v1, 2, v25
	ds_load_b32 v27, v27 offset:160
	s_waitcnt lgkmcnt(0)
	v_add_f32_e32 v21, v27, v21
	s_or_b32 exec_lo, exec_lo, s0
	s_and_saveexec_b32 s0, vcc_lo
	s_cbranch_execz .LBB189_898
.LBB189_1052:
	v_lshl_add_u32 v27, v1, 2, v25
	ds_load_b32 v27, v27 offset:192
	s_waitcnt lgkmcnt(0)
	v_add_f32_e32 v20, v27, v20
	s_or_b32 exec_lo, exec_lo, s0
	s_and_saveexec_b32 s0, vcc_lo
	s_cbranch_execz .LBB189_899
.LBB189_1053:
	v_lshl_add_u32 v27, v1, 2, v25
	ds_load_b32 v27, v27 offset:224
	s_waitcnt lgkmcnt(0)
	v_add_f32_e32 v18, v27, v18
	s_or_b32 exec_lo, exec_lo, s0
	s_and_saveexec_b32 s0, vcc_lo
	s_cbranch_execz .LBB189_900
.LBB189_1054:
	v_lshl_add_u32 v27, v1, 2, v25
	ds_load_b32 v27, v27 offset:256
	s_waitcnt lgkmcnt(0)
	v_add_f32_e32 v17, v27, v17
	s_or_b32 exec_lo, exec_lo, s0
	s_and_saveexec_b32 s0, vcc_lo
	s_cbranch_execz .LBB189_901
.LBB189_1055:
	v_lshl_add_u32 v27, v1, 2, v25
	ds_load_b32 v27, v27 offset:288
	s_waitcnt lgkmcnt(0)
	v_add_f32_e32 v16, v27, v16
	s_or_b32 exec_lo, exec_lo, s0
	s_and_saveexec_b32 s0, vcc_lo
	s_cbranch_execz .LBB189_902
.LBB189_1056:
	v_lshl_add_u32 v27, v1, 2, v25
	ds_load_b32 v27, v27 offset:320
	s_waitcnt lgkmcnt(0)
	v_add_f32_e32 v15, v27, v15
	s_or_b32 exec_lo, exec_lo, s0
	s_and_saveexec_b32 s0, vcc_lo
	s_cbranch_execz .LBB189_903
.LBB189_1057:
	v_lshl_add_u32 v27, v1, 2, v25
	ds_load_b32 v27, v27 offset:352
	s_waitcnt lgkmcnt(0)
	v_add_f32_e32 v14, v27, v14
	s_or_b32 exec_lo, exec_lo, s0
	s_and_saveexec_b32 s0, vcc_lo
	s_cbranch_execz .LBB189_904
.LBB189_1058:
	v_lshl_add_u32 v27, v1, 2, v25
	ds_load_b32 v27, v27 offset:384
	s_waitcnt lgkmcnt(0)
	v_add_f32_e32 v13, v27, v13
	s_or_b32 exec_lo, exec_lo, s0
	s_and_saveexec_b32 s0, vcc_lo
	s_cbranch_execz .LBB189_905
.LBB189_1059:
	v_lshl_add_u32 v27, v1, 2, v25
	ds_load_b32 v27, v27 offset:416
	s_waitcnt lgkmcnt(0)
	v_add_f32_e32 v12, v27, v12
	s_or_b32 exec_lo, exec_lo, s0
	s_and_saveexec_b32 s0, vcc_lo
	s_cbranch_execz .LBB189_906
.LBB189_1060:
	v_lshl_add_u32 v27, v1, 2, v25
	ds_load_b32 v27, v27 offset:448
	s_waitcnt lgkmcnt(0)
	v_add_f32_e32 v11, v27, v11
	s_or_b32 exec_lo, exec_lo, s0
	s_and_saveexec_b32 s0, vcc_lo
	s_cbranch_execz .LBB189_907
.LBB189_1061:
	v_lshl_add_u32 v27, v1, 2, v25
	ds_load_b32 v27, v27 offset:480
	s_waitcnt lgkmcnt(0)
	v_add_f32_e32 v10, v27, v10
	s_or_b32 exec_lo, exec_lo, s0
	s_and_saveexec_b32 s0, vcc_lo
	s_cbranch_execz .LBB189_908
.LBB189_1062:
	v_lshl_add_u32 v27, v1, 2, v25
	ds_load_b32 v27, v27 offset:512
	s_waitcnt lgkmcnt(0)
	v_add_f32_e32 v9, v27, v9
	s_or_b32 exec_lo, exec_lo, s0
	s_and_saveexec_b32 s0, vcc_lo
	s_cbranch_execz .LBB189_909
.LBB189_1063:
	v_lshl_add_u32 v27, v1, 2, v25
	ds_load_b32 v27, v27 offset:544
	s_waitcnt lgkmcnt(0)
	v_add_f32_e32 v8, v27, v8
	s_or_b32 exec_lo, exec_lo, s0
	s_and_saveexec_b32 s0, vcc_lo
	s_cbranch_execz .LBB189_910
.LBB189_1064:
	v_lshl_add_u32 v27, v1, 2, v25
	ds_load_b32 v27, v27 offset:576
	s_waitcnt lgkmcnt(0)
	v_add_f32_e32 v7, v27, v7
	s_or_b32 exec_lo, exec_lo, s0
	s_and_saveexec_b32 s0, vcc_lo
	s_cbranch_execz .LBB189_911
.LBB189_1065:
	v_lshl_add_u32 v27, v1, 2, v25
	ds_load_b32 v27, v27 offset:608
	s_waitcnt lgkmcnt(0)
	v_add_f32_e32 v6, v27, v6
	s_or_b32 exec_lo, exec_lo, s0
	s_and_saveexec_b32 s0, vcc_lo
	s_cbranch_execz .LBB189_912
.LBB189_1066:
	v_lshl_add_u32 v27, v1, 2, v25
	ds_load_b32 v27, v27 offset:640
	s_waitcnt lgkmcnt(0)
	v_add_f32_e32 v5, v27, v5
	s_or_b32 exec_lo, exec_lo, s0
	s_and_saveexec_b32 s0, vcc_lo
	s_cbranch_execz .LBB189_913
.LBB189_1067:
	v_lshl_add_u32 v27, v1, 2, v25
	ds_load_b32 v27, v27 offset:672
	s_waitcnt lgkmcnt(0)
	v_add_f32_e32 v4, v27, v4
	s_or_b32 exec_lo, exec_lo, s0
	s_and_saveexec_b32 s0, vcc_lo
	s_cbranch_execz .LBB189_914
.LBB189_1068:
	v_lshl_add_u32 v27, v1, 2, v25
	ds_load_b32 v27, v27 offset:704
	s_waitcnt lgkmcnt(0)
	v_add_f32_e32 v3, v27, v3
	s_or_b32 exec_lo, exec_lo, s0
	s_and_saveexec_b32 s0, vcc_lo
	s_cbranch_execnz .LBB189_915
	s_branch .LBB189_916
.LBB189_1069:
	ds_load_b32 v25, v1
	s_waitcnt lgkmcnt(0)
	v_add_f32_e32 v0, v25, v0
	s_or_b32 exec_lo, exec_lo, s3
	s_and_saveexec_b32 s3, vcc_lo
	s_cbranch_execz .LBB189_922
.LBB189_1070:
	ds_load_b32 v25, v1 offset:32
	s_waitcnt lgkmcnt(0)
	v_add_f32_e32 v24, v25, v24
	s_or_b32 exec_lo, exec_lo, s3
	s_and_saveexec_b32 s3, vcc_lo
	s_cbranch_execz .LBB189_923
.LBB189_1071:
	ds_load_b32 v25, v1 offset:64
	s_waitcnt lgkmcnt(0)
	v_add_f32_e32 v23, v25, v23
	s_or_b32 exec_lo, exec_lo, s3
	s_and_saveexec_b32 s3, vcc_lo
	s_cbranch_execz .LBB189_924
.LBB189_1072:
	ds_load_b32 v25, v1 offset:96
	s_waitcnt lgkmcnt(0)
	v_add_f32_e32 v22, v25, v22
	s_or_b32 exec_lo, exec_lo, s3
	s_and_saveexec_b32 s3, vcc_lo
	s_cbranch_execz .LBB189_925
.LBB189_1073:
	ds_load_b32 v25, v1 offset:128
	s_waitcnt lgkmcnt(0)
	v_add_f32_e32 v19, v25, v19
	s_or_b32 exec_lo, exec_lo, s3
	s_and_saveexec_b32 s3, vcc_lo
	s_cbranch_execz .LBB189_926
.LBB189_1074:
	ds_load_b32 v25, v1 offset:160
	s_waitcnt lgkmcnt(0)
	v_add_f32_e32 v21, v25, v21
	s_or_b32 exec_lo, exec_lo, s3
	s_and_saveexec_b32 s3, vcc_lo
	s_cbranch_execz .LBB189_927
.LBB189_1075:
	ds_load_b32 v25, v1 offset:192
	s_waitcnt lgkmcnt(0)
	v_add_f32_e32 v20, v25, v20
	s_or_b32 exec_lo, exec_lo, s3
	s_and_saveexec_b32 s3, vcc_lo
	s_cbranch_execz .LBB189_928
.LBB189_1076:
	ds_load_b32 v25, v1 offset:224
	s_waitcnt lgkmcnt(0)
	v_add_f32_e32 v18, v25, v18
	s_or_b32 exec_lo, exec_lo, s3
	s_and_saveexec_b32 s3, vcc_lo
	s_cbranch_execz .LBB189_929
.LBB189_1077:
	ds_load_b32 v25, v1 offset:256
	s_waitcnt lgkmcnt(0)
	v_add_f32_e32 v17, v25, v17
	s_or_b32 exec_lo, exec_lo, s3
	s_and_saveexec_b32 s3, vcc_lo
	s_cbranch_execz .LBB189_930
.LBB189_1078:
	ds_load_b32 v25, v1 offset:288
	s_waitcnt lgkmcnt(0)
	v_add_f32_e32 v16, v25, v16
	s_or_b32 exec_lo, exec_lo, s3
	s_and_saveexec_b32 s3, vcc_lo
	s_cbranch_execz .LBB189_931
.LBB189_1079:
	ds_load_b32 v25, v1 offset:320
	s_waitcnt lgkmcnt(0)
	v_add_f32_e32 v15, v25, v15
	s_or_b32 exec_lo, exec_lo, s3
	s_and_saveexec_b32 s3, vcc_lo
	s_cbranch_execz .LBB189_932
.LBB189_1080:
	ds_load_b32 v25, v1 offset:352
	s_waitcnt lgkmcnt(0)
	v_add_f32_e32 v14, v25, v14
	s_or_b32 exec_lo, exec_lo, s3
	s_and_saveexec_b32 s3, vcc_lo
	s_cbranch_execz .LBB189_933
.LBB189_1081:
	ds_load_b32 v25, v1 offset:384
	s_waitcnt lgkmcnt(0)
	v_add_f32_e32 v13, v25, v13
	s_or_b32 exec_lo, exec_lo, s3
	s_and_saveexec_b32 s3, vcc_lo
	s_cbranch_execz .LBB189_934
.LBB189_1082:
	ds_load_b32 v25, v1 offset:416
	s_waitcnt lgkmcnt(0)
	v_add_f32_e32 v12, v25, v12
	s_or_b32 exec_lo, exec_lo, s3
	s_and_saveexec_b32 s3, vcc_lo
	s_cbranch_execz .LBB189_935
.LBB189_1083:
	ds_load_b32 v25, v1 offset:448
	s_waitcnt lgkmcnt(0)
	v_add_f32_e32 v11, v25, v11
	s_or_b32 exec_lo, exec_lo, s3
	s_and_saveexec_b32 s3, vcc_lo
	s_cbranch_execz .LBB189_936
.LBB189_1084:
	ds_load_b32 v25, v1 offset:480
	s_waitcnt lgkmcnt(0)
	v_add_f32_e32 v10, v25, v10
	s_or_b32 exec_lo, exec_lo, s3
	s_and_saveexec_b32 s3, vcc_lo
	s_cbranch_execz .LBB189_937
.LBB189_1085:
	ds_load_b32 v25, v1 offset:512
	s_waitcnt lgkmcnt(0)
	v_add_f32_e32 v9, v25, v9
	s_or_b32 exec_lo, exec_lo, s3
	s_and_saveexec_b32 s3, vcc_lo
	s_cbranch_execz .LBB189_938
.LBB189_1086:
	ds_load_b32 v25, v1 offset:544
	s_waitcnt lgkmcnt(0)
	v_add_f32_e32 v8, v25, v8
	s_or_b32 exec_lo, exec_lo, s3
	s_and_saveexec_b32 s3, vcc_lo
	s_cbranch_execz .LBB189_939
.LBB189_1087:
	ds_load_b32 v25, v1 offset:576
	s_waitcnt lgkmcnt(0)
	v_add_f32_e32 v7, v25, v7
	s_or_b32 exec_lo, exec_lo, s3
	s_and_saveexec_b32 s3, vcc_lo
	s_cbranch_execz .LBB189_940
.LBB189_1088:
	ds_load_b32 v25, v1 offset:608
	s_waitcnt lgkmcnt(0)
	v_add_f32_e32 v6, v25, v6
	s_or_b32 exec_lo, exec_lo, s3
	s_and_saveexec_b32 s3, vcc_lo
	s_cbranch_execz .LBB189_941
.LBB189_1089:
	ds_load_b32 v25, v1 offset:640
	s_waitcnt lgkmcnt(0)
	v_add_f32_e32 v5, v25, v5
	s_or_b32 exec_lo, exec_lo, s3
	s_and_saveexec_b32 s3, vcc_lo
	s_cbranch_execz .LBB189_942
.LBB189_1090:
	ds_load_b32 v25, v1 offset:672
	s_waitcnt lgkmcnt(0)
	v_add_f32_e32 v4, v25, v4
	s_or_b32 exec_lo, exec_lo, s3
	s_and_saveexec_b32 s3, vcc_lo
	s_cbranch_execz .LBB189_943
.LBB189_1091:
	ds_load_b32 v25, v1 offset:704
	s_waitcnt lgkmcnt(0)
	v_add_f32_e32 v3, v25, v3
	s_or_b32 exec_lo, exec_lo, s3
	s_and_saveexec_b32 s3, vcc_lo
	s_cbranch_execnz .LBB189_944
	s_branch .LBB189_945
.Lfunc_end189:
	.size	_ZN4vllm22paged_attention_kernelI14__hip_bfloat16S1_Li192ELi32ELi128ELNS_18Fp8KVCacheDataTypeE0ELb1ELi512EEEvPfS3_PT_PKS4_PKT0_SA_ifPKiSC_iPKfiiiSE_SE_iiiii, .Lfunc_end189-_ZN4vllm22paged_attention_kernelI14__hip_bfloat16S1_Li192ELi32ELi128ELNS_18Fp8KVCacheDataTypeE0ELb1ELi512EEEvPfS3_PT_PKS4_PKT0_SA_ifPKiSC_iPKfiiiSE_SE_iiiii
                                        ; -- End function
	.section	.AMDGPU.csdata,"",@progbits
; Function info:
; codeLenInByte = 50244
; NumSgprs: 35
; NumVgprs: 192
; ScratchSize: 796
; MemoryBound: 0
	.section	.text._ZN4vllm25paged_attention_v2_kernelI14__hip_bfloat16S1_Li192ELi32ELi128ELNS_18Fp8KVCacheDataTypeE0ELb1ELi512EEEvPfS3_PT_PKS4_PKT0_SA_ifPKiSC_iPKfiiiSE_SE_iiiii,"axG",@progbits,_ZN4vllm25paged_attention_v2_kernelI14__hip_bfloat16S1_Li192ELi32ELi128ELNS_18Fp8KVCacheDataTypeE0ELb1ELi512EEEvPfS3_PT_PKS4_PKT0_SA_ifPKiSC_iPKfiiiSE_SE_iiiii,comdat
	.protected	_ZN4vllm25paged_attention_v2_kernelI14__hip_bfloat16S1_Li192ELi32ELi128ELNS_18Fp8KVCacheDataTypeE0ELb1ELi512EEEvPfS3_PT_PKS4_PKT0_SA_ifPKiSC_iPKfiiiSE_SE_iiiii ; -- Begin function _ZN4vllm25paged_attention_v2_kernelI14__hip_bfloat16S1_Li192ELi32ELi128ELNS_18Fp8KVCacheDataTypeE0ELb1ELi512EEEvPfS3_PT_PKS4_PKT0_SA_ifPKiSC_iPKfiiiSE_SE_iiiii
	.globl	_ZN4vllm25paged_attention_v2_kernelI14__hip_bfloat16S1_Li192ELi32ELi128ELNS_18Fp8KVCacheDataTypeE0ELb1ELi512EEEvPfS3_PT_PKS4_PKT0_SA_ifPKiSC_iPKfiiiSE_SE_iiiii
	.p2align	8
	.type	_ZN4vllm25paged_attention_v2_kernelI14__hip_bfloat16S1_Li192ELi32ELi128ELNS_18Fp8KVCacheDataTypeE0ELb1ELi512EEEvPfS3_PT_PKS4_PKT0_SA_ifPKiSC_iPKfiiiSE_SE_iiiii,@function
_ZN4vllm25paged_attention_v2_kernelI14__hip_bfloat16S1_Li192ELi32ELi128ELNS_18Fp8KVCacheDataTypeE0ELb1ELi512EEEvPfS3_PT_PKS4_PKT0_SA_ifPKiSC_iPKfiiiSE_SE_iiiii: ; @_ZN4vllm25paged_attention_v2_kernelI14__hip_bfloat16S1_Li192ELi32ELi128ELNS_18Fp8KVCacheDataTypeE0ELb1ELi512EEEvPfS3_PT_PKS4_PKT0_SA_ifPKiSC_iPKfiiiSE_SE_iiiii
; %bb.0:
	s_mov_b32 s12, s13
	s_clause 0x7
	s_load_b256 s[24:31], s[0:1], 0x0
	s_load_b256 s[16:23], s[0:1], 0x20
	s_load_b64 s[2:3], s[0:1], 0x40
	s_load_b64 s[10:11], s[0:1], 0x50
	s_load_b32 s13, s[0:1], 0x48
	s_load_b32 s33, s[0:1], 0x88
	s_load_b128 s[36:39], s[0:1], 0x58
	s_load_b128 s[4:7], s[0:1], 0x78
	v_mov_b32_e32 v31, v0
	s_add_u32 s8, s0, 0x90
	s_addc_u32 s9, s1, 0
	s_mov_b32 s32, 0
	s_getpc_b64 s[0:1]
	s_add_u32 s0, s0, _ZN4vllm22paged_attention_kernelI14__hip_bfloat16S1_Li192ELi32ELi128ELNS_18Fp8KVCacheDataTypeE0ELb1ELi512EEEvPfS3_PT_PKS4_PKT0_SA_ifPKiSC_iPKfiiiSE_SE_iiiii@rel32@lo+4
	s_addc_u32 s1, s1, _ZN4vllm22paged_attention_kernelI14__hip_bfloat16S1_Li192ELi32ELi128ELNS_18Fp8KVCacheDataTypeE0ELb1ELi512EEEvPfS3_PT_PKS4_PKT0_SA_ifPKiSC_iPKfiiiSE_SE_iiiii@rel32@hi+12
	s_waitcnt lgkmcnt(0)
	v_dual_mov_b32 v0, s24 :: v_dual_mov_b32 v1, s25
	v_dual_mov_b32 v2, s26 :: v_dual_mov_b32 v3, s27
	;; [unrolled: 1-line block ×14, first 2 shown]
	v_mov_b32_e32 v28, s33
	s_mov_b32 s13, s14
	s_mov_b32 s14, s15
	;; [unrolled: 1-line block ×3, first 2 shown]
	s_swappc_b64 s[30:31], s[0:1]
	s_endpgm
	.section	.rodata,"a",@progbits
	.p2align	6, 0x0
	.amdhsa_kernel _ZN4vllm25paged_attention_v2_kernelI14__hip_bfloat16S1_Li192ELi32ELi128ELNS_18Fp8KVCacheDataTypeE0ELb1ELi512EEEvPfS3_PT_PKS4_PKT0_SA_ifPKiSC_iPKfiiiSE_SE_iiiii
		.amdhsa_group_segment_fixed_size 416
		.amdhsa_private_segment_fixed_size 796
		.amdhsa_kernarg_size 400
		.amdhsa_user_sgpr_count 13
		.amdhsa_user_sgpr_dispatch_ptr 0
		.amdhsa_user_sgpr_queue_ptr 0
		.amdhsa_user_sgpr_kernarg_segment_ptr 1
		.amdhsa_user_sgpr_dispatch_id 0
		.amdhsa_user_sgpr_private_segment_size 0
		.amdhsa_wavefront_size32 1
		.amdhsa_uses_dynamic_stack 0
		.amdhsa_enable_private_segment 1
		.amdhsa_system_sgpr_workgroup_id_x 1
		.amdhsa_system_sgpr_workgroup_id_y 1
		.amdhsa_system_sgpr_workgroup_id_z 1
		.amdhsa_system_sgpr_workgroup_info 0
		.amdhsa_system_vgpr_workitem_id 0
		.amdhsa_next_free_vgpr 192
		.amdhsa_next_free_sgpr 40
		.amdhsa_reserve_vcc 1
		.amdhsa_float_round_mode_32 0
		.amdhsa_float_round_mode_16_64 0
		.amdhsa_float_denorm_mode_32 3
		.amdhsa_float_denorm_mode_16_64 3
		.amdhsa_dx10_clamp 1
		.amdhsa_ieee_mode 1
		.amdhsa_fp16_overflow 0
		.amdhsa_workgroup_processor_mode 1
		.amdhsa_memory_ordered 1
		.amdhsa_forward_progress 0
		.amdhsa_shared_vgpr_count 0
		.amdhsa_exception_fp_ieee_invalid_op 0
		.amdhsa_exception_fp_denorm_src 0
		.amdhsa_exception_fp_ieee_div_zero 0
		.amdhsa_exception_fp_ieee_overflow 0
		.amdhsa_exception_fp_ieee_underflow 0
		.amdhsa_exception_fp_ieee_inexact 0
		.amdhsa_exception_int_div_zero 0
	.end_amdhsa_kernel
	.section	.text._ZN4vllm25paged_attention_v2_kernelI14__hip_bfloat16S1_Li192ELi32ELi128ELNS_18Fp8KVCacheDataTypeE0ELb1ELi512EEEvPfS3_PT_PKS4_PKT0_SA_ifPKiSC_iPKfiiiSE_SE_iiiii,"axG",@progbits,_ZN4vllm25paged_attention_v2_kernelI14__hip_bfloat16S1_Li192ELi32ELi128ELNS_18Fp8KVCacheDataTypeE0ELb1ELi512EEEvPfS3_PT_PKS4_PKT0_SA_ifPKiSC_iPKfiiiSE_SE_iiiii,comdat
.Lfunc_end190:
	.size	_ZN4vllm25paged_attention_v2_kernelI14__hip_bfloat16S1_Li192ELi32ELi128ELNS_18Fp8KVCacheDataTypeE0ELb1ELi512EEEvPfS3_PT_PKS4_PKT0_SA_ifPKiSC_iPKfiiiSE_SE_iiiii, .Lfunc_end190-_ZN4vllm25paged_attention_v2_kernelI14__hip_bfloat16S1_Li192ELi32ELi128ELNS_18Fp8KVCacheDataTypeE0ELb1ELi512EEEvPfS3_PT_PKS4_PKT0_SA_ifPKiSC_iPKfiiiSE_SE_iiiii
                                        ; -- End function
	.section	.AMDGPU.csdata,"",@progbits
; Kernel info:
; codeLenInByte = 252
; NumSgprs: 42
; NumVgprs: 192
; ScratchSize: 796
; MemoryBound: 0
; FloatMode: 240
; IeeeMode: 1
; LDSByteSize: 416 bytes/workgroup (compile time only)
; SGPRBlocks: 5
; VGPRBlocks: 23
; NumSGPRsForWavesPerEU: 42
; NumVGPRsForWavesPerEU: 192
; Occupancy: 8
; WaveLimiterHint : 1
; COMPUTE_PGM_RSRC2:SCRATCH_EN: 1
; COMPUTE_PGM_RSRC2:USER_SGPR: 13
; COMPUTE_PGM_RSRC2:TRAP_HANDLER: 0
; COMPUTE_PGM_RSRC2:TGID_X_EN: 1
; COMPUTE_PGM_RSRC2:TGID_Y_EN: 1
; COMPUTE_PGM_RSRC2:TGID_Z_EN: 1
; COMPUTE_PGM_RSRC2:TIDIG_COMP_CNT: 0
	.text
	.p2align	2                               ; -- Begin function _ZN4vllm22paged_attention_kernelI14__hip_bfloat16S1_Li256ELi32ELi128ELNS_18Fp8KVCacheDataTypeE0ELb1ELi512EEEvPfS3_PT_PKS4_PKT0_SA_ifPKiSC_iPKfiiiSE_SE_iiiii
	.type	_ZN4vllm22paged_attention_kernelI14__hip_bfloat16S1_Li256ELi32ELi128ELNS_18Fp8KVCacheDataTypeE0ELb1ELi512EEEvPfS3_PT_PKS4_PKT0_SA_ifPKiSC_iPKfiiiSE_SE_iiiii,@function
_ZN4vllm22paged_attention_kernelI14__hip_bfloat16S1_Li256ELi32ELi128ELNS_18Fp8KVCacheDataTypeE0ELb1ELi512EEEvPfS3_PT_PKS4_PKT0_SA_ifPKiSC_iPKfiiiSE_SE_iiiii: ; @_ZN4vllm22paged_attention_kernelI14__hip_bfloat16S1_Li256ELi32ELi128ELNS_18Fp8KVCacheDataTypeE0ELb1ELi512EEEvPfS3_PT_PKS4_PKT0_SA_ifPKiSC_iPKfiiiSE_SE_iiiii
; %bb.0:
	s_waitcnt vmcnt(0) expcnt(0) lgkmcnt(0)
	s_clause 0x1f
	scratch_store_b32 off, v40, s32 offset:316
	; meta instruction
	scratch_store_b32 off, v41, s32 offset:312
	; meta instruction
	scratch_store_b32 off, v42, s32 offset:308
	; meta instruction
	scratch_store_b32 off, v43, s32 offset:304
	; meta instruction
	scratch_store_b32 off, v44, s32 offset:300
	; meta instruction
	scratch_store_b32 off, v45, s32 offset:296
	; meta instruction
	scratch_store_b32 off, v46, s32 offset:292
	; meta instruction
	scratch_store_b32 off, v47, s32 offset:288
	; meta instruction
	scratch_store_b32 off, v56, s32 offset:284
	; meta instruction
	scratch_store_b32 off, v57, s32 offset:280
	; meta instruction
	scratch_store_b32 off, v58, s32 offset:276
	; meta instruction
	scratch_store_b32 off, v59, s32 offset:272
	; meta instruction
	scratch_store_b32 off, v60, s32 offset:268
	; meta instruction
	scratch_store_b32 off, v61, s32 offset:264
	; meta instruction
	scratch_store_b32 off, v62, s32 offset:260
	; meta instruction
	scratch_store_b32 off, v63, s32 offset:256
	; meta instruction
	scratch_store_b32 off, v72, s32 offset:252
	; meta instruction
	scratch_store_b32 off, v73, s32 offset:248
	; meta instruction
	scratch_store_b32 off, v74, s32 offset:244
	; meta instruction
	scratch_store_b32 off, v75, s32 offset:240
	; meta instruction
	scratch_store_b32 off, v76, s32 offset:236
	; meta instruction
	scratch_store_b32 off, v77, s32 offset:232
	; meta instruction
	scratch_store_b32 off, v78, s32 offset:228
	; meta instruction
	scratch_store_b32 off, v79, s32 offset:224
	; meta instruction
	scratch_store_b32 off, v88, s32 offset:220
	; meta instruction
	scratch_store_b32 off, v89, s32 offset:216
	; meta instruction
	scratch_store_b32 off, v90, s32 offset:212
	; meta instruction
	scratch_store_b32 off, v91, s32 offset:208
	; meta instruction
	scratch_store_b32 off, v92, s32 offset:204
	; meta instruction
	scratch_store_b32 off, v93, s32 offset:200
	; meta instruction
	scratch_store_b32 off, v94, s32 offset:196
	; meta instruction
	scratch_store_b32 off, v95, s32 offset:192
	s_clause 0x1f
	scratch_store_b32 off, v104, s32 offset:188
	; meta instruction
	scratch_store_b32 off, v105, s32 offset:184
	; meta instruction
	;; [unrolled: 2-line block ×31, first 2 shown]
	scratch_store_b32 off, v159, s32 offset:64
	s_clause 0xf
	scratch_store_b32 off, v168, s32 offset:60
	; meta instruction
	scratch_store_b32 off, v169, s32 offset:56
	; meta instruction
	;; [unrolled: 2-line block ×15, first 2 shown]
	scratch_store_b32 off, v191, s32
	s_mov_b32 s6, s13
	s_ashr_i32 s7, s13, 31
	v_mov_b32_e32 v32, v0
	s_lshl_b64 s[0:1], s[6:7], 2
	v_dual_mov_b32 v29, v10 :: v_dual_mov_b32 v30, v1
	v_add_co_u32 v0, vcc_lo, v16, s0
	v_add_co_ci_u32_e32 v1, vcc_lo, s1, v17, vcc_lo
	s_clause 0x2
	scratch_store_b32 off, v22, s32 offset:420
	scratch_store_b32 off, v5, s32 offset:996
	scratch_store_b32 off, v4, s32 offset:1000
	v_dual_mov_b32 v33, v3 :: v_dual_mov_b32 v34, v2
	flat_load_b32 v114, v[0:1]
	s_lshl_b32 s19, s14, 9
	s_mov_b32 s7, exec_lo
	s_waitcnt vmcnt(0) lgkmcnt(0)
	v_cmpx_lt_i32_e64 s19, v114
	s_cbranch_execz .LBB191_1365
; %bb.1:
	v_sub_nc_u32_e32 v0, 0, v12
	s_clause 0x1
	s_load_b32 s0, s[8:9], 0x10
	s_load_b32 s1, s[8:9], 0x0
	s_mov_b32 s16, s15
	v_mov_b32_e32 v22, 0
	v_max_i32_e32 v0, v12, v0
	s_delay_alu instid0(VALU_DEP_1) | instskip(SKIP_1) | instid1(VALU_DEP_2)
	v_cvt_f32_u32_e32 v1, v0
	v_sub_nc_u32_e32 v2, 0, v0
	v_rcp_iflag_f32_e32 v1, v1
	s_waitcnt lgkmcnt(0)
	s_lshr_b32 s0, s0, 16
	s_delay_alu instid0(SALU_CYCLE_1) | instskip(SKIP_3) | instid1(SALU_CYCLE_1)
	s_cmp_lg_u32 s0, 0
	s_waitcnt_depctr 0xfff
	v_mul_f32_e32 v1, 0x4f7ffffe, v1
	s_cselect_b32 s0, -1, 0
	s_cmp_lg_u32 s0, 0
	s_delay_alu instid0(VALU_DEP_1) | instskip(SKIP_3) | instid1(VALU_DEP_1)
	v_cvt_u32_f32_e32 v1, v1
	s_addc_u32 s18, s1, 0
	s_abs_i32 s1, s12
	s_abs_i32 s0, s18
	v_mul_lo_u32 v2, v2, v1
	s_delay_alu instid0(VALU_DEP_1) | instskip(NEXT) | instid1(VALU_DEP_1)
	v_mul_hi_u32 v2, v1, v2
	v_add_nc_u32_e32 v1, v1, v2
	s_delay_alu instid0(VALU_DEP_1) | instskip(NEXT) | instid1(VALU_DEP_1)
	v_mul_hi_u32 v1, s0, v1
	v_mul_lo_u32 v2, v1, v0
	v_add_nc_u32_e32 v3, 1, v1
	s_delay_alu instid0(VALU_DEP_2) | instskip(SKIP_1) | instid1(VALU_DEP_1)
	v_sub_nc_u32_e32 v2, s0, v2
	s_mov_b32 s0, exec_lo
	v_sub_nc_u32_e32 v4, v2, v0
	v_cmp_ge_u32_e32 vcc_lo, v2, v0
	s_delay_alu instid0(VALU_DEP_2) | instskip(SKIP_1) | instid1(VALU_DEP_2)
	v_dual_cndmask_b32 v1, v1, v3 :: v_dual_cndmask_b32 v2, v2, v4
	v_xor_b32_e32 v3, s18, v12
	v_add_nc_u32_e32 v4, 1, v1
	s_delay_alu instid0(VALU_DEP_3) | instskip(NEXT) | instid1(VALU_DEP_3)
	v_cmp_ge_u32_e32 vcc_lo, v2, v0
	v_ashrrev_i32_e32 v3, 31, v3
	s_delay_alu instid0(VALU_DEP_3) | instskip(NEXT) | instid1(VALU_DEP_1)
	v_cndmask_b32_e32 v0, v1, v4, vcc_lo
	v_xor_b32_e32 v0, v0, v3
	s_delay_alu instid0(VALU_DEP_1) | instskip(NEXT) | instid1(VALU_DEP_1)
	v_sub_nc_u32_e32 v1, v0, v3
	v_sub_nc_u32_e32 v0, 0, v1
	s_delay_alu instid0(VALU_DEP_1) | instskip(NEXT) | instid1(VALU_DEP_1)
	v_max_i32_e32 v0, v1, v0
	v_cvt_f32_u32_e32 v2, v0
	v_sub_nc_u32_e32 v3, 0, v0
	s_delay_alu instid0(VALU_DEP_2) | instskip(SKIP_2) | instid1(VALU_DEP_1)
	v_rcp_iflag_f32_e32 v2, v2
	s_waitcnt_depctr 0xfff
	v_mul_f32_e32 v2, 0x4f7ffffe, v2
	v_cvt_u32_f32_e32 v2, v2
	s_delay_alu instid0(VALU_DEP_1) | instskip(NEXT) | instid1(VALU_DEP_1)
	v_mul_lo_u32 v3, v3, v2
	v_mul_hi_u32 v3, v2, v3
	s_delay_alu instid0(VALU_DEP_1) | instskip(NEXT) | instid1(VALU_DEP_1)
	v_add_nc_u32_e32 v2, v2, v3
	v_mad_u64_u32 v[16:17], null, s1, v2, 0
	v_cmpx_ne_u64_e32 0, v[19:20]
	s_cbranch_execz .LBB191_3
; %bb.2:
	s_ashr_i32 s13, s12, 31
	s_delay_alu instid0(SALU_CYCLE_1) | instskip(NEXT) | instid1(SALU_CYCLE_1)
	s_lshl_b64 s[2:3], s[12:13], 2
	v_add_co_u32 v2, vcc_lo, v19, s2
	v_add_co_ci_u32_e32 v3, vcc_lo, s3, v20, vcc_lo
	flat_load_b32 v22, v[2:3]
.LBB191_3:
	s_or_b32 exec_lo, exec_lo, s0
	v_and_b32_e32 v2, 0x3ff, v31
	v_ashrrev_i32_e32 v1, 31, v1
	s_ashr_i32 s2, s12, 31
	s_lshl_b32 s10, s12, 8
	s_delay_alu instid0(VALU_DEP_2)
	v_cmp_gt_u32_e64 s0, 32, v2
	scratch_store_b32 off, v2, s32 offset:820 ; 4-byte Folded Spill
	s_and_saveexec_b32 s3, s0
	s_cbranch_execz .LBB191_5
; %bb.4:
	scratch_load_b32 v4, off, s32 offset:820 ; 4-byte Folded Reload
	v_mul_lo_u32 v2, s6, v21
	s_ashr_i32 s11, s10, 31
	s_delay_alu instid0(SALU_CYCLE_1) | instskip(NEXT) | instid1(VALU_DEP_1)
	s_lshl_b64 s[4:5], s[10:11], 1
	v_ashrrev_i32_e32 v3, 31, v2
	s_delay_alu instid0(VALU_DEP_1) | instskip(NEXT) | instid1(VALU_DEP_1)
	v_lshlrev_b64 v[2:3], 1, v[2:3]
	v_add_co_u32 v2, vcc_lo, v6, v2
	s_delay_alu instid0(VALU_DEP_2) | instskip(NEXT) | instid1(VALU_DEP_2)
	v_add_co_ci_u32_e32 v3, vcc_lo, v7, v3, vcc_lo
	v_add_co_u32 v2, vcc_lo, v2, s4
	s_delay_alu instid0(VALU_DEP_2) | instskip(SKIP_2) | instid1(VALU_DEP_1)
	v_add_co_ci_u32_e32 v3, vcc_lo, s5, v3, vcc_lo
	s_waitcnt vmcnt(0)
	v_lshlrev_b32_e32 v10, 4, v4
	v_add_co_u32 v2, vcc_lo, v2, v10
	s_delay_alu instid0(VALU_DEP_3)
	v_add_co_ci_u32_e32 v3, vcc_lo, 0, v3, vcc_lo
	flat_load_b128 v[2:5], v[2:3]
	s_waitcnt vmcnt(0) lgkmcnt(0)
	ds_store_b128 v10, v[2:5]
.LBB191_5:
	s_or_b32 exec_lo, exec_lo, s3
	v_sub_nc_u32_e32 v2, 0, v27
	v_mul_lo_u32 v3, v17, v0
	v_xor_b32_e32 v1, s2, v1
	v_add_nc_u32_e32 v5, 1, v17
	s_delay_alu instid0(VALU_DEP_4) | instskip(NEXT) | instid1(VALU_DEP_4)
	v_max_i32_e32 v115, v27, v2
	v_sub_nc_u32_e32 v3, s1, v3
	s_delay_alu instid0(VALU_DEP_2) | instskip(SKIP_1) | instid1(VALU_DEP_2)
	v_cvt_f32_u32_e32 v2, v115
	s_mov_b32 s1, exec_lo
	v_sub_nc_u32_e32 v6, v3, v0
	s_delay_alu instid0(VALU_DEP_2) | instskip(SKIP_3) | instid1(VALU_DEP_1)
	v_rcp_iflag_f32_e32 v2, v2
	v_cmp_ge_u32_e32 vcc_lo, v3, v0
	s_waitcnt_depctr 0xfff
	v_dual_cndmask_b32 v5, v17, v5 :: v_dual_mul_f32 v2, 0x4f7ffffe, v2
	v_cvt_u32_f32_e32 v4, v2
	v_sub_nc_u32_e32 v2, 0, v115
	s_delay_alu instid0(VALU_DEP_1) | instskip(SKIP_2) | instid1(VALU_DEP_2)
	v_mul_lo_u32 v7, v2, v4
	v_add_nc_u32_e32 v2, -1, v114
	v_dual_cndmask_b32 v3, v3, v6 :: v_dual_add_nc_u32 v6, 1, v5
	v_sub_nc_u32_e32 v10, 0, v2
	s_delay_alu instid0(VALU_DEP_2) | instskip(SKIP_1) | instid1(VALU_DEP_3)
	v_cmp_ge_u32_e32 vcc_lo, v3, v0
	v_mul_hi_u32 v7, v4, v7
	v_max_i32_e32 v0, v2, v10
	s_delay_alu instid0(VALU_DEP_2) | instskip(NEXT) | instid1(VALU_DEP_1)
	v_dual_cndmask_b32 v3, v5, v6 :: v_dual_add_nc_u32 v4, v4, v7
	v_xor_b32_e32 v3, v3, v1
	s_delay_alu instid0(VALU_DEP_2) | instskip(NEXT) | instid1(VALU_DEP_2)
	v_mad_u64_u32 v[6:7], null, v0, v4, 0
	v_sub_nc_u32_e32 v6, v3, v1
	scratch_store_b32 off, v4, s32 offset:336 ; 4-byte Folded Spill
	s_waitcnt vmcnt(0) lgkmcnt(0)
	s_waitcnt_vscnt null, 0x0
	s_barrier
	buffer_gl0_inv
                                        ; implicit-def: $vgpr1
	scratch_store_b64 off, v[1:2], s32 offset:320 ; 8-byte Folded Spill
	v_cmpx_gt_i32_e32 0, v28
	s_xor_b32 s1, exec_lo, s1
	s_cbranch_execz .LBB191_7
; %bb.6:
	v_mad_u64_u32 v[3:4], null, v24, v12, v[6:7]
                                        ; implicit-def: $vgpr24
	s_delay_alu instid0(VALU_DEP_1) | instskip(NEXT) | instid1(VALU_DEP_1)
	v_mul_lo_u32 v1, v3, v28
                                        ; implicit-def: $vgpr28
	v_sub_nc_u32_e32 v1, 1, v1
	scratch_store_b64 off, v[1:2], s32 offset:320 ; 8-byte Folded Spill
.LBB191_7:
	s_or_saveexec_b32 s1, s1
	v_ashrrev_i32_e32 v1, 31, v2
	v_ashrrev_i32_e32 v2, 31, v27
	scratch_store_b32 off, v2, s32 offset:328 ; 4-byte Folded Spill
	s_xor_b32 exec_lo, exec_lo, s1
	s_cbranch_execz .LBB191_9
; %bb.8:
	v_mad_u64_u32 v[2:3], null, s18, v24, s[12:13]
	s_delay_alu instid0(VALU_DEP_1)
	v_mad_u64_u32 v[3:4], null, v2, v28, 1
	scratch_store_b64 off, v[3:4], s32 offset:320 ; 8-byte Folded Spill
.LBB191_9:
	s_or_b32 exec_lo, exec_lo, s1
	v_mul_lo_u32 v2, v7, v115
	s_clause 0x1
	s_load_b32 s11, s[8:9], 0x14
	s_load_b32 s8, s[8:9], 0x8
	scratch_load_b32 v10, off, s32 offset:328 ; 4-byte Folded Reload
	s_lshl_b32 s9, s14, 4
	v_mul_lo_u32 v27, v6, v23
	s_add_i32 s1, s9, 16
	v_sub_nc_u32_e32 v21, 0, v26
	v_mov_b32_e32 v96, 0xff7fffff
	v_sub_nc_u32_e32 v2, v0, v2
	v_add_nc_u32_e32 v0, 1, v7
	v_ashrrev_i32_e32 v28, 31, v27
	s_delay_alu instid0(VALU_DEP_3) | instskip(SKIP_1) | instid1(VALU_DEP_2)
	v_sub_nc_u32_e32 v5, v2, v115
	v_cmp_ge_u32_e32 vcc_lo, v2, v115
	v_dual_cndmask_b32 v2, v2, v5 :: v_dual_add_nc_u32 v3, 31, v114
	scratch_load_b32 v5, off, s32 offset:820 ; 4-byte Folded Reload
	v_ashrrev_i32_e32 v4, 31, v3
	v_cndmask_b32_e32 v7, v7, v0, vcc_lo
	v_mul_lo_u32 v0, s6, v18
	v_cmp_ge_u32_e32 vcc_lo, v2, v115
	s_waitcnt vmcnt(1)
	v_xor_b32_e32 v10, v1, v10
	v_lshrrev_b32_e32 v1, 27, v4
	v_add_nc_u32_e32 v4, 1, v7
	s_delay_alu instid0(VALU_DEP_2) | instskip(NEXT) | instid1(VALU_DEP_2)
	v_add_nc_u32_e32 v1, v3, v1
	v_cndmask_b32_e32 v2, v7, v4, vcc_lo
	s_delay_alu instid0(VALU_DEP_2) | instskip(SKIP_1) | instid1(VALU_DEP_2)
	v_ashrrev_i32_e32 v20, 5, v1
	v_ashrrev_i32_e32 v1, 31, v0
	v_min_i32_e32 v4, s1, v20
	s_delay_alu instid0(VALU_DEP_2) | instskip(SKIP_4) | instid1(VALU_DEP_2)
	v_lshlrev_b64 v[0:1], 2, v[0:1]
	s_waitcnt vmcnt(0)
	v_and_b32_e32 v3, 31, v5
	v_lshrrev_b32_e32 v12, 5, v5
	v_xor_b32_e32 v2, v2, v10
	v_add_nc_u32_e32 v23, s9, v12
	s_delay_alu instid0(VALU_DEP_2)
	v_sub_nc_u32_e32 v2, v2, v10
	s_clause 0x2
	scratch_store_b32 off, v12, s32 offset:992
	scratch_store_b64 off, v[0:1], s32 offset:1004
	scratch_store_b32 off, v4, s32 offset:332
	v_lshlrev_b32_e32 v12, 2, v3
	v_cmp_lt_i32_e64 s1, v23, v4
	v_sub_nc_u32_e32 v0, v2, v25
	s_clause 0x1
	scratch_store_b32 off, v0, s32 offset:340
	scratch_store_b32 off, v3, s32 offset:816
	s_and_saveexec_b32 s13, s1
	s_cbranch_execz .LBB191_17
; %bb.10:
	v_mov_b32_e32 v0, 0
	s_clause 0x6
	scratch_store_b32 off, v20, s32 offset:1048
	scratch_store_b32 off, v34, s32 offset:1044
	;; [unrolled: 1-line block ×7, first 2 shown]
	v_ashrrev_i32_e32 v24, 31, v23
	v_max_i32_e32 v99, v26, v21
	s_ashr_i32 s17, s16, 31
	ds_load_b128 v[1:4], v0
	ds_load_b128 v[16:19], v0 offset:16
	s_lshl_b64 s[2:3], s[16:17], 2
	s_getpc_b64 s[4:5]
	s_add_u32 s4, s4, llvm.amdgcn.dynlds.offset.table@rel32@lo+4
	s_addc_u32 s5, s5, llvm.amdgcn.dynlds.offset.table@rel32@hi+12
	v_sub_nc_u32_e32 v6, 0, v99
	s_add_u32 s4, s2, s4
	s_addc_u32 s5, s3, s5
	s_mov_b32 s15, 0
	scratch_store_b64 off, v[27:28], s32 offset:1052 ; 8-byte Folded Spill
	v_mov_b32_e32 v96, 0xff7fffff
	s_waitcnt lgkmcnt(0)
	v_bfi_b32 v5, 0xffff, 0, v1
	v_lshlrev_b32_e32 v1, 16, v1
	s_clause 0x1
	scratch_store_b32 off, v5, s32 offset:344
	scratch_store_b32 off, v1, s32 offset:348
	v_bfi_b32 v1, 0xffff, 0, v16
	scratch_store_b32 off, v1, s32 offset:352 ; 4-byte Folded Spill
	v_dual_mov_b32 v16, v12 :: v_dual_lshlrev_b32 v1, 16, v16
	scratch_store_b32 off, v1, s32 offset:356 ; 4-byte Folded Spill
	v_bfi_b32 v1, 0xffff, 0, v2
	scratch_store_b32 off, v1, s32 offset:360 ; 4-byte Folded Spill
	v_lshlrev_b32_e32 v1, 16, v2
	scratch_store_b32 off, v1, s32 offset:364 ; 4-byte Folded Spill
	v_bfi_b32 v1, 0xffff, 0, v17
	scratch_store_b32 off, v1, s32 offset:368 ; 4-byte Folded Spill
	v_lshlrev_b32_e32 v1, 16, v17
	;; [unrolled: 4-line block ×6, first 2 shown]
	scratch_store_b32 off, v1, s32 offset:404 ; 4-byte Folded Spill
	ds_load_b128 v[1:4], v0 offset:32
	s_waitcnt lgkmcnt(0)
	v_bfi_b32 v5, 0xffff, 0, v1
	v_lshlrev_b32_e32 v1, 16, v1
	s_clause 0x1
	scratch_store_b32 off, v5, s32 offset:408
	scratch_store_b32 off, v1, s32 offset:412
	v_bfi_b32 v1, 0xffff, 0, v2
	scratch_store_b32 off, v1, s32 offset:416 ; 4-byte Folded Spill
	v_lshlrev_b32_e32 v1, 16, v2
	scratch_store_b32 off, v1, s32 offset:424 ; 4-byte Folded Spill
	v_bfi_b32 v1, 0xffff, 0, v3
	scratch_store_b32 off, v1, s32 offset:428 ; 4-byte Folded Spill
	v_lshlrev_b32_e32 v1, 16, v3
	scratch_store_b32 off, v1, s32 offset:432 ; 4-byte Folded Spill
	v_bfi_b32 v1, 0xffff, 0, v4
	scratch_store_b32 off, v1, s32 offset:436 ; 4-byte Folded Spill
	v_lshlrev_b32_e32 v1, 16, v4
	scratch_store_b32 off, v1, s32 offset:440 ; 4-byte Folded Spill
	ds_load_b128 v[1:4], v0 offset:48
	s_waitcnt lgkmcnt(0)
	v_bfi_b32 v5, 0xffff, 0, v1
	v_lshlrev_b32_e32 v1, 16, v1
	s_clause 0x1
	scratch_store_b32 off, v5, s32 offset:444
	scratch_store_b32 off, v1, s32 offset:448
	v_bfi_b32 v1, 0xffff, 0, v2
	scratch_store_b32 off, v1, s32 offset:452 ; 4-byte Folded Spill
	v_lshlrev_b32_e32 v1, 16, v2
	scratch_store_b32 off, v1, s32 offset:456 ; 4-byte Folded Spill
	v_bfi_b32 v1, 0xffff, 0, v3
	scratch_store_b32 off, v1, s32 offset:460 ; 4-byte Folded Spill
	v_lshlrev_b32_e32 v1, 16, v3
	scratch_store_b32 off, v1, s32 offset:464 ; 4-byte Folded Spill
	v_bfi_b32 v1, 0xffff, 0, v4
	scratch_store_b32 off, v1, s32 offset:468 ; 4-byte Folded Spill
	v_lshlrev_b32_e32 v1, 16, v4
	;; [unrolled: 19-line block ×17, first 2 shown]
	scratch_store_b32 off, v1, s32 offset:960 ; 4-byte Folded Spill
	ds_load_b128 v[1:4], v0 offset:304
	s_waitcnt lgkmcnt(0)
	v_bfi_b32 v5, 0xffff, 0, v1
	v_lshlrev_b32_e32 v1, 16, v1
	v_lshlrev_b32_e32 v163, 16, v4
	s_clause 0x1
	scratch_store_b32 off, v5, s32 offset:964
	scratch_store_b32 off, v1, s32 offset:968
	v_bfi_b32 v1, 0xffff, 0, v2
	scratch_store_b32 off, v1, s32 offset:972 ; 4-byte Folded Spill
	v_lshlrev_b32_e32 v1, 16, v2
	scratch_store_b32 off, v1, s32 offset:976 ; 4-byte Folded Spill
	v_bfi_b32 v1, 0xffff, 0, v3
	scratch_store_b32 off, v1, s32 offset:980 ; 4-byte Folded Spill
	v_lshlrev_b32_e32 v1, 16, v3
	scratch_store_b32 off, v1, s32 offset:984 ; 4-byte Folded Spill
	v_bfi_b32 v1, 0xffff, 0, v4
	scratch_store_b32 off, v1, s32 offset:988 ; 4-byte Folded Spill
	ds_load_b128 v[1:4], v0 offset:320
	s_waitcnt lgkmcnt(0)
	v_bfi_b32 v164, 0xffff, 0, v1
	v_lshlrev_b32_e32 v165, 16, v1
	v_bfi_b32 v166, 0xffff, 0, v2
	v_lshlrev_b32_e32 v167, 16, v2
	v_bfi_b32 v176, 0xffff, 0, v3
	v_lshlrev_b32_e32 v177, 16, v3
	v_bfi_b32 v178, 0xffff, 0, v4
	v_lshlrev_b32_e32 v179, 16, v4
	ds_load_b128 v[1:4], v0 offset:336
	s_waitcnt lgkmcnt(0)
	v_bfi_b32 v180, 0xffff, 0, v1
	v_lshlrev_b32_e32 v181, 16, v1
	v_bfi_b32 v182, 0xffff, 0, v2
	v_lshlrev_b32_e32 v183, 16, v2
	v_bfi_b32 v40, 0xffff, 0, v3
	v_lshlrev_b32_e32 v41, 16, v3
	v_bfi_b32 v42, 0xffff, 0, v4
	v_lshlrev_b32_e32 v43, 16, v4
	;; [unrolled: 10-line block ×4, first 2 shown]
	ds_load_b128 v[1:4], v0 offset:384
	s_waitcnt lgkmcnt(0)
	v_bfi_b32 v76, 0xffff, 0, v1
	v_lshlrev_b32_e32 v77, 16, v1
	v_bfi_b32 v78, 0xffff, 0, v2
	v_lshlrev_b32_e32 v79, 16, v2
	;; [unrolled: 2-line block ×3, first 2 shown]
	v_lshlrev_b32_e32 v90, 16, v4
	v_and_b32_e32 v91, 0xffff0000, v4
	ds_load_b128 v[1:4], v0 offset:400
	s_waitcnt lgkmcnt(0)
	v_bfi_b32 v92, 0xffff, 0, v1
	v_lshlrev_b32_e32 v93, 16, v1
	v_bfi_b32 v94, 0xffff, 0, v2
	v_lshlrev_b32_e32 v95, 16, v2
	v_bfi_b32 v104, 0xffff, 0, v3
	v_lshlrev_b32_e32 v105, 16, v3
	v_bfi_b32 v106, 0xffff, 0, v4
	v_lshlrev_b32_e32 v107, 16, v4
	ds_load_b128 v[1:4], v0 offset:416
	s_waitcnt lgkmcnt(0)
	v_bfi_b32 v108, 0xffff, 0, v1
	v_lshlrev_b32_e32 v109, 16, v1
	v_bfi_b32 v110, 0xffff, 0, v2
	v_lshlrev_b32_e32 v111, 16, v2
	v_bfi_b32 v120, 0xffff, 0, v3
	v_lshlrev_b32_e32 v121, 16, v3
	v_bfi_b32 v122, 0xffff, 0, v4
	v_lshlrev_b32_e32 v123, 16, v4
	;; [unrolled: 10-line block ×5, first 2 shown]
	ds_load_b128 v[1:4], v0 offset:480
	s_waitcnt lgkmcnt(0)
	v_bfi_b32 v172, 0xffff, 0, v1
	v_lshlrev_b32_e32 v173, 16, v1
	v_bfi_b32 v174, 0xffff, 0, v2
	v_lshlrev_b32_e32 v175, 16, v2
	;; [unrolled: 2-line block ×3, first 2 shown]
	ds_load_b128 v[0:3], v0 offset:496
	s_clause 0x1
	scratch_store_b32 off, v26, s32 offset:1012
	scratch_store_b32 off, v21, s32 offset:1060
	v_bfi_b32 v186, 0xffff, 0, v4
	v_lshlrev_b32_e32 v187, 16, v4
	s_load_b32 s17, s[4:5], 0x0
	s_clause 0x2
	scratch_store_b32 off, v14, s32 offset:1028
	scratch_store_b32 off, v16, s32 offset:1064
	;; [unrolled: 1-line block ×3, first 2 shown]
	s_waitcnt lgkmcnt(0)
	v_bfi_b32 v188, 0xffff, 0, v0
	v_lshlrev_b32_e32 v189, 16, v0
	v_bfi_b32 v190, 0xffff, 0, v1
	v_lshlrev_b32_e32 v191, 16, v1
	v_lshlrev_b64 v[0:1], 1, v[27:28]
	v_bfi_b32 v5, 0xffff, 0, v2
	v_lshlrev_b32_e32 v4, 16, v2
	v_bfi_b32 v12, 0xffff, 0, v3
	v_lshlrev_b32_e32 v98, 16, v3
	v_add_co_u32 v2, vcc_lo, v8, v0
	scratch_load_b64 v[7:8], off, s32 offset:1004 ; 8-byte Folded Reload
	v_add_co_ci_u32_e32 v3, vcc_lo, v9, v1, vcc_lo
	v_lshlrev_b64 v[0:1], 2, v[23:24]
	s_waitcnt vmcnt(0)
	s_delay_alu instid0(VALU_DEP_1) | instskip(NEXT) | instid1(VALU_DEP_2)
	v_add_co_u32 v0, vcc_lo, v7, v0
	v_add_co_ci_u32_e32 v1, vcc_lo, v8, v1, vcc_lo
	v_cvt_f32_u32_e32 v7, v99
	s_delay_alu instid0(VALU_DEP_3) | instskip(NEXT) | instid1(VALU_DEP_3)
	v_add_co_u32 v24, vcc_lo, v14, v0
	v_add_co_ci_u32_e32 v25, vcc_lo, v15, v1, vcc_lo
	scratch_load_b32 v1, off, s32 offset:816 ; 4-byte Folded Reload
	v_rcp_iflag_f32_e32 v7, v7
	s_waitcnt_depctr 0xfff
	v_dual_mov_b32 v14, v23 :: v_dual_mul_f32 v7, 0x4f7ffffe, v7
	s_delay_alu instid0(VALU_DEP_1) | instskip(NEXT) | instid1(VALU_DEP_1)
	v_cvt_u32_f32_e32 v7, v7
	v_mul_lo_u32 v6, v6, v7
	s_delay_alu instid0(VALU_DEP_1) | instskip(NEXT) | instid1(VALU_DEP_1)
	v_mul_hi_u32 v6, v7, v6
	v_add_nc_u32_e32 v97, v7, v6
	s_waitcnt vmcnt(0)
	v_lshlrev_b32_e32 v0, 4, v1
	s_delay_alu instid0(VALU_DEP_1)
	v_add_co_u32 v10, vcc_lo, v2, v0
	v_sub_nc_u32_e32 v0, v1, v114
	scratch_load_b32 v1, off, s32 offset:992 ; 4-byte Folded Reload
	v_add_co_ci_u32_e32 v11, vcc_lo, 0, v3, vcc_lo
	v_cmp_neq_f32_e32 vcc_lo, 0, v22
	v_add_nc_u32_e32 v0, 1, v0
	v_mov_b32_e32 v2, 0xff7fffff
	s_waitcnt vmcnt(0)
	v_lshl_add_u32 v3, v1, 5, s19
	v_lshl_or_b32 v1, v1, 7, v16
	s_branch .LBB191_12
.LBB191_11:                             ;   in Loop: Header=BB191_12 Depth=1
	s_or_b32 exec_lo, exec_lo, s20
	scratch_load_b32 v6, off, s32 offset:332 ; 4-byte Folded Reload
	v_add_nc_u32_e32 v14, 4, v14
	v_add_co_u32 v24, s2, v24, 16
	s_delay_alu instid0(VALU_DEP_1) | instskip(SKIP_4) | instid1(VALU_DEP_1)
	v_add_co_ci_u32_e64 v25, s2, 0, v25, s2
	v_add_nc_u32_e32 v3, 0x80, v3
	v_add_nc_u32_e32 v1, 0x200, v1
	s_waitcnt vmcnt(0)
	v_cmp_ge_i32_e64 s2, v14, v6
	s_or_b32 s15, s2, s15
	s_delay_alu instid0(SALU_CYCLE_1)
	s_and_not1_b32 exec_lo, exec_lo, s15
	s_cbranch_execz .LBB191_16
.LBB191_12:                             ; =>This Inner Loop Header: Depth=1
	s_clause 0x1
	scratch_load_b32 v7, off, s32 offset:336
	scratch_load_b32 v15, off, s32 offset:328
	v_sub_nc_u32_e32 v6, 0, v3
	s_delay_alu instid0(VALU_DEP_1) | instskip(SKIP_1) | instid1(VALU_DEP_1)
	v_max_i32_e32 v6, v3, v6
	s_waitcnt vmcnt(1)
	v_mul_hi_u32 v7, v6, v7
	s_delay_alu instid0(VALU_DEP_1) | instskip(NEXT) | instid1(VALU_DEP_1)
	v_mul_lo_u32 v8, v7, v115
	v_sub_nc_u32_e32 v6, v6, v8
	v_add_nc_u32_e32 v8, 1, v7
	s_delay_alu instid0(VALU_DEP_2) | instskip(SKIP_1) | instid1(VALU_DEP_1)
	v_sub_nc_u32_e32 v9, v6, v115
	v_cmp_ge_u32_e64 s2, v6, v115
	v_cndmask_b32_e64 v7, v7, v8, s2
	s_delay_alu instid0(VALU_DEP_3) | instskip(SKIP_1) | instid1(VALU_DEP_3)
	v_cndmask_b32_e64 v6, v6, v9, s2
	v_ashrrev_i32_e32 v8, 31, v3
	v_add_nc_u32_e32 v9, 1, v7
	s_delay_alu instid0(VALU_DEP_3) | instskip(SKIP_1) | instid1(VALU_DEP_3)
	v_cmp_ge_u32_e64 s2, v6, v115
	s_waitcnt vmcnt(0)
	v_xor_b32_e32 v8, v8, v15
	s_delay_alu instid0(VALU_DEP_2) | instskip(NEXT) | instid1(VALU_DEP_1)
	v_cndmask_b32_e64 v6, v7, v9, s2
	v_xor_b32_e32 v6, v6, v8
	s_delay_alu instid0(VALU_DEP_1) | instskip(SKIP_3) | instid1(VALU_DEP_1)
	v_sub_nc_u32_e32 v6, v6, v8
	scratch_load_b64 v[7:8], off, s32 offset:320 ; 8-byte Folded Reload
	s_waitcnt vmcnt(0)
	v_add_nc_u32_e32 v7, v6, v7
	v_sub_nc_u32_e32 v8, 0, v7
	s_delay_alu instid0(VALU_DEP_1) | instskip(SKIP_1) | instid1(VALU_DEP_2)
	v_max_i32_e32 v8, v7, v8
	v_ashrrev_i32_e32 v7, 31, v7
	v_mul_hi_u32 v9, v8, v97
	s_delay_alu instid0(VALU_DEP_1) | instskip(NEXT) | instid1(VALU_DEP_1)
	v_mul_lo_u32 v9, v9, v99
	v_sub_nc_u32_e32 v8, v8, v9
	s_delay_alu instid0(VALU_DEP_1) | instskip(SKIP_1) | instid1(VALU_DEP_1)
	v_sub_nc_u32_e32 v9, v8, v99
	v_cmp_ge_u32_e64 s2, v8, v99
	v_cndmask_b32_e64 v8, v8, v9, s2
	s_delay_alu instid0(VALU_DEP_1) | instskip(SKIP_1) | instid1(VALU_DEP_1)
	v_sub_nc_u32_e32 v9, v8, v99
	v_cmp_ge_u32_e64 s2, v8, v99
	v_cndmask_b32_e64 v8, v8, v9, s2
	s_delay_alu instid0(VALU_DEP_1) | instskip(NEXT) | instid1(VALU_DEP_1)
	v_xor_b32_e32 v8, v8, v7
	v_sub_nc_u32_e32 v7, v8, v7
	s_delay_alu instid0(VALU_DEP_1) | instskip(SKIP_3) | instid1(VALU_DEP_1)
	v_cmp_ne_u32_e64 s2, 0, v7
	scratch_load_b32 v7, off, s32 offset:340 ; 4-byte Folded Reload
	s_waitcnt vmcnt(0)
	v_cmp_le_i32_e64 s3, v6, v7
	s_and_b32 s2, s2, s3
	s_delay_alu instid0(SALU_CYCLE_1) | instskip(NEXT) | instid1(SALU_CYCLE_1)
	s_and_saveexec_b32 s3, s2
	s_xor_b32 s2, exec_lo, s3
	s_cbranch_execz .LBB191_14
; %bb.13:                               ;   in Loop: Header=BB191_12 Depth=1
	v_add_nc_u32_e32 v6, s17, v1
	ds_store_b32 v6, v2
.LBB191_14:                             ;   in Loop: Header=BB191_12 Depth=1
	s_and_not1_saveexec_b32 s20, s2
	s_cbranch_execz .LBB191_11
; %bb.15:                               ;   in Loop: Header=BB191_12 Depth=1
	flat_load_b32 v8, v[24:25]
	s_clause 0x1
	scratch_load_b32 v6, off, s32 offset:816
	scratch_load_b32 v9, off, s32 offset:420
	s_load_b32 s3, s[4:5], 0x0
	s_waitcnt lgkmcnt(0)
	v_add_nc_u32_e32 v21, s3, v1
	s_waitcnt vmcnt(1)
	v_add_nc_u32_e32 v20, v6, v3
	s_waitcnt vmcnt(0)
	v_mad_i64_i32 v[6:7], null, v8, v9, 0
	s_delay_alu instid0(VALU_DEP_1) | instskip(NEXT) | instid1(VALU_DEP_1)
	v_lshlrev_b64 v[6:7], 1, v[6:7]
	v_add_co_u32 v102, s2, v10, v6
	v_add_nc_u32_e32 v6, v0, v3
	s_delay_alu instid0(VALU_DEP_3) | instskip(NEXT) | instid1(VALU_DEP_3)
	v_add_co_ci_u32_e64 v103, s2, v11, v7, s2
	v_add_co_u32 v112, s2, 0x1000, v102
	s_delay_alu instid0(VALU_DEP_3) | instskip(NEXT) | instid1(VALU_DEP_3)
	v_cvt_f32_i32_e32 v6, v6
	v_add_co_ci_u32_e64 v113, s2, 0, v103, s2
	v_add_co_u32 v100, s2, 0x3000, v102
	s_delay_alu instid0(VALU_DEP_3)
	v_mul_f32_e32 v6, v22, v6
	v_add_co_ci_u32_e64 v101, s2, 0, v103, s2
	s_clause 0x1
	flat_load_b128 v[64:67], v[102:103] offset:1024
	flat_load_b128 v[16:19], v[112:113] offset:2560
	v_cndmask_b32_e32 v15, 0, v6, vcc_lo
	s_clause 0x8
	flat_load_b128 v[6:9], v[100:101]
	flat_load_b128 v[84:87], v[102:103]
	flat_load_b128 v[80:83], v[102:103] offset:512
	flat_load_b128 v[68:71], v[102:103] offset:1536
	;; [unrolled: 1-line block ×6, first 2 shown]
	flat_load_b128 v[27:30], v[112:113]
	v_cmp_lt_i32_e64 s2, v20, v114
	s_waitcnt vmcnt(7) lgkmcnt(7)
	v_lshlrev_b32_e32 v20, 16, v84
	s_waitcnt vmcnt(6) lgkmcnt(6)
	v_and_b32_e32 v26, 0xffff0000, v80
	v_and_b32_e32 v39, 0xffff0000, v84
	scratch_load_b32 v84, off, s32 offset:356 ; 4-byte Folded Reload
	v_lshlrev_b32_e32 v80, 16, v80
	s_waitcnt vmcnt(0)
	s_delay_alu instid0(VALU_DEP_1)
	v_mul_f32_e32 v84, v84, v80
	scratch_load_b32 v80, off, s32 offset:352 ; 4-byte Folded Reload
	s_waitcnt vmcnt(0)
	v_mul_f32_e32 v26, v80, v26
	scratch_load_b32 v80, off, s32 offset:344 ; 4-byte Folded Reload
	s_waitcnt vmcnt(0)
	v_fmac_f32_e32 v26, v80, v39
	scratch_load_b32 v39, off, s32 offset:348 ; 4-byte Folded Reload
	v_add_co_u32 v80, s3, 0x2000, v102
	s_waitcnt vmcnt(0)
	v_fmac_f32_e32 v84, v39, v20
	v_and_b32_e32 v20, 0xffff0000, v64
	v_lshlrev_b32_e32 v39, 16, v64
	scratch_load_b32 v64, off, s32 offset:412 ; 4-byte Folded Reload
	s_waitcnt vmcnt(0)
	v_fmac_f32_e32 v84, v64, v39
	s_clause 0x1
	scratch_load_b32 v39, off, s32 offset:408
	scratch_load_b32 v64, off, s32 offset:444
	s_waitcnt vmcnt(1)
	v_fmac_f32_e32 v26, v39, v20
	s_waitcnt lgkmcnt(5)
	v_and_b32_e32 v39, 0xffff0000, v68
	v_lshlrev_b32_e32 v20, 16, v68
	s_waitcnt vmcnt(0)
	s_delay_alu instid0(VALU_DEP_2)
	v_fmac_f32_e32 v26, v64, v39
	scratch_load_b32 v39, off, s32 offset:448 ; 4-byte Folded Reload
	s_waitcnt vmcnt(0)
	v_fmac_f32_e32 v84, v39, v20
	s_waitcnt lgkmcnt(4)
	v_and_b32_e32 v20, 0xffff0000, v52
	v_lshlrev_b32_e32 v39, 16, v52
	scratch_load_b32 v52, off, s32 offset:480 ; 4-byte Folded Reload
	s_waitcnt vmcnt(0)
	v_fmac_f32_e32 v84, v52, v39
	scratch_load_b32 v39, off, s32 offset:476 ; 4-byte Folded Reload
	s_waitcnt vmcnt(0)
	v_fmac_f32_e32 v26, v39, v20
	s_waitcnt lgkmcnt(3)
	v_lshlrev_b32_e32 v20, 16, v48
	v_and_b32_e32 v39, 0xffff0000, v48
	scratch_load_b32 v48, off, s32 offset:508 ; 4-byte Folded Reload
	s_waitcnt vmcnt(0)
	v_fmac_f32_e32 v26, v48, v39
	scratch_load_b32 v39, off, s32 offset:512 ; 4-byte Folded Reload
	s_waitcnt vmcnt(0)
	v_fmac_f32_e32 v84, v39, v20
	scratch_load_b32 v39, off, s32 offset:544 ; 4-byte Folded Reload
	s_waitcnt lgkmcnt(2)
	v_and_b32_e32 v20, 0xffff0000, v35
	v_lshlrev_b32_e32 v35, 16, v35
	s_waitcnt vmcnt(0)
	s_delay_alu instid0(VALU_DEP_1)
	v_fmac_f32_e32 v84, v39, v35
	s_clause 0x1
	scratch_load_b32 v35, off, s32 offset:540
	scratch_load_b32 v39, off, s32 offset:372
	s_waitcnt vmcnt(1)
	v_fmac_f32_e32 v26, v35, v20
	scratch_load_b32 v35, off, s32 offset:572 ; 4-byte Folded Reload
	s_waitcnt lgkmcnt(1)
	v_lshlrev_b32_e32 v20, 16, v31
	v_and_b32_e32 v31, 0xffff0000, v31
	s_waitcnt vmcnt(0)
	s_delay_alu instid0(VALU_DEP_1) | instskip(SKIP_2) | instid1(VALU_DEP_1)
	v_fmac_f32_e32 v26, v35, v31
	scratch_load_b32 v31, off, s32 offset:576 ; 4-byte Folded Reload
	v_lshlrev_b32_e32 v35, 16, v81
	v_mul_f32_e32 v39, v39, v35
	scratch_load_b32 v35, off, s32 offset:368 ; 4-byte Folded Reload
	s_waitcnt vmcnt(1)
	v_fmac_f32_e32 v84, v31, v20
	scratch_load_b32 v31, off, s32 offset:608 ; 4-byte Folded Reload
	s_waitcnt lgkmcnt(0)
	v_and_b32_e32 v20, 0xffff0000, v27
	v_lshlrev_b32_e32 v27, 16, v27
	s_waitcnt vmcnt(0)
	s_delay_alu instid0(VALU_DEP_1)
	v_fmac_f32_e32 v84, v31, v27
	scratch_load_b32 v27, off, s32 offset:604 ; 4-byte Folded Reload
	v_and_b32_e32 v31, 0xffff0000, v81
	v_add_co_ci_u32_e64 v81, s3, 0, v103, s3
	s_waitcnt vmcnt(0)
	v_fmac_f32_e32 v26, v27, v20
	v_lshlrev_b32_e32 v20, 16, v85
	v_and_b32_e32 v27, 0xffff0000, v85
	v_mul_f32_e32 v85, v35, v31
	scratch_load_b32 v31, off, s32 offset:360 ; 4-byte Folded Reload
	s_waitcnt vmcnt(0)
	v_fmac_f32_e32 v85, v31, v27
	s_clause 0x1
	scratch_load_b32 v27, off, s32 offset:364
	scratch_load_b32 v31, off, s32 offset:424
	s_waitcnt vmcnt(1)
	v_fmac_f32_e32 v39, v27, v20
	v_lshlrev_b32_e32 v27, 16, v65
	s_waitcnt vmcnt(0)
	s_delay_alu instid0(VALU_DEP_1)
	v_dual_fmac_f32 v39, v31, v27 :: v_dual_and_b32 v20, 0xffff0000, v65
	s_clause 0x1
	scratch_load_b32 v27, off, s32 offset:416
	scratch_load_b32 v31, off, s32 offset:452
	s_waitcnt vmcnt(1)
	v_dual_fmac_f32 v85, v27, v20 :: v_dual_lshlrev_b32 v20, 16, v69
	v_and_b32_e32 v27, 0xffff0000, v69
	s_waitcnt vmcnt(0)
	s_delay_alu instid0(VALU_DEP_1)
	v_fmac_f32_e32 v85, v31, v27
	s_clause 0x1
	scratch_load_b32 v27, off, s32 offset:456
	scratch_load_b32 v31, off, s32 offset:488
	s_waitcnt vmcnt(1)
	v_dual_fmac_f32 v39, v27, v20 :: v_dual_and_b32 v20, 0xffff0000, v53
	v_lshlrev_b32_e32 v27, 16, v53
	s_waitcnt vmcnt(0)
	s_delay_alu instid0(VALU_DEP_1)
	v_fmac_f32_e32 v39, v31, v27
	s_clause 0x1
	scratch_load_b32 v27, off, s32 offset:484
	scratch_load_b32 v31, off, s32 offset:516
	s_waitcnt vmcnt(1)
	v_dual_fmac_f32 v85, v27, v20 :: v_dual_lshlrev_b32 v20, 16, v49
	v_and_b32_e32 v27, 0xffff0000, v49
	s_waitcnt vmcnt(0)
	s_delay_alu instid0(VALU_DEP_1)
	v_fmac_f32_e32 v85, v31, v27
	s_clause 0x1
	scratch_load_b32 v27, off, s32 offset:520
	scratch_load_b32 v31, off, s32 offset:552
	s_waitcnt vmcnt(1)
	v_fmac_f32_e32 v39, v27, v20
	v_lshlrev_b32_e32 v27, 16, v36
	s_waitcnt vmcnt(0)
	s_delay_alu instid0(VALU_DEP_1)
	v_dual_fmac_f32 v39, v31, v27 :: v_dual_and_b32 v20, 0xffff0000, v36
	s_clause 0x1
	scratch_load_b32 v27, off, s32 offset:548
	scratch_load_b32 v31, off, s32 offset:580
	s_waitcnt vmcnt(1)
	v_fmac_f32_e32 v85, v27, v20
	v_and_b32_e32 v27, 0xffff0000, v32
	v_lshlrev_b32_e32 v20, 16, v32
	scratch_load_b32 v32, off, s32 offset:396 ; 4-byte Folded Reload
	s_waitcnt vmcnt(1)
	v_fmac_f32_e32 v85, v31, v27
	scratch_load_b32 v27, off, s32 offset:584 ; 4-byte Folded Reload
	s_waitcnt vmcnt(0)
	v_fmac_f32_e32 v39, v27, v20
	v_and_b32_e32 v20, 0xffff0000, v28
	v_lshlrev_b32_e32 v27, 16, v28
	scratch_load_b32 v28, off, s32 offset:616 ; 4-byte Folded Reload
	s_waitcnt vmcnt(0)
	v_fmac_f32_e32 v39, v28, v27
	scratch_load_b32 v27, off, s32 offset:612 ; 4-byte Folded Reload
	s_waitcnt vmcnt(0)
	v_dual_fmac_f32 v85, v27, v20 :: v_dual_and_b32 v28, 0xffff0000, v82
	v_lshlrev_b32_e32 v20, 16, v86
	v_lshlrev_b32_e32 v31, 16, v82
	s_delay_alu instid0(VALU_DEP_1)
	v_dual_mul_f32 v86, v32, v31 :: v_dual_and_b32 v27, 0xffff0000, v86
	scratch_load_b32 v31, off, s32 offset:392 ; 4-byte Folded Reload
	s_waitcnt vmcnt(0)
	v_mul_f32_e32 v82, v31, v28
	s_clause 0x1
	scratch_load_b32 v28, off, s32 offset:376
	scratch_load_b32 v31, off, s32 offset:404
	s_waitcnt vmcnt(1)
	v_fmac_f32_e32 v82, v28, v27
	s_clause 0x1
	scratch_load_b32 v27, off, s32 offset:380
	scratch_load_b32 v28, off, s32 offset:432
	s_waitcnt vmcnt(1)
	v_dual_fmac_f32 v86, v27, v20 :: v_dual_lshlrev_b32 v27, 16, v66
	v_and_b32_e32 v20, 0xffff0000, v66
	s_waitcnt vmcnt(0)
	s_delay_alu instid0(VALU_DEP_2)
	v_fmac_f32_e32 v86, v28, v27
	s_clause 0x1
	scratch_load_b32 v27, off, s32 offset:428
	scratch_load_b32 v28, off, s32 offset:460
	s_waitcnt vmcnt(1)
	v_dual_fmac_f32 v82, v27, v20 :: v_dual_and_b32 v27, 0xffff0000, v70
	v_lshlrev_b32_e32 v20, 16, v70
	s_waitcnt vmcnt(0)
	s_delay_alu instid0(VALU_DEP_2)
	v_fmac_f32_e32 v82, v28, v27
	s_clause 0x1
	scratch_load_b32 v27, off, s32 offset:464
	scratch_load_b32 v28, off, s32 offset:496
	s_waitcnt vmcnt(1)
	v_dual_fmac_f32 v86, v27, v20 :: v_dual_lshlrev_b32 v27, 16, v54
	v_and_b32_e32 v20, 0xffff0000, v54
	s_waitcnt vmcnt(0)
	s_delay_alu instid0(VALU_DEP_2)
	v_fmac_f32_e32 v86, v28, v27
	s_clause 0x1
	scratch_load_b32 v27, off, s32 offset:492
	scratch_load_b32 v28, off, s32 offset:524
	s_waitcnt vmcnt(1)
	v_dual_fmac_f32 v82, v27, v20 :: v_dual_and_b32 v27, 0xffff0000, v50
	v_lshlrev_b32_e32 v20, 16, v50
	s_waitcnt vmcnt(0)
	s_delay_alu instid0(VALU_DEP_2)
	v_fmac_f32_e32 v82, v28, v27
	s_clause 0x1
	scratch_load_b32 v27, off, s32 offset:528
	scratch_load_b32 v28, off, s32 offset:560
	s_waitcnt vmcnt(1)
	v_dual_fmac_f32 v86, v27, v20 :: v_dual_lshlrev_b32 v27, 16, v37
	v_and_b32_e32 v20, 0xffff0000, v37
	s_waitcnt vmcnt(0)
	s_delay_alu instid0(VALU_DEP_2)
	v_fmac_f32_e32 v86, v28, v27
	s_clause 0x1
	scratch_load_b32 v27, off, s32 offset:556
	scratch_load_b32 v28, off, s32 offset:588
	s_waitcnt vmcnt(1)
	v_dual_fmac_f32 v82, v27, v20 :: v_dual_and_b32 v27, 0xffff0000, v33
	v_lshlrev_b32_e32 v20, 16, v33
	s_waitcnt vmcnt(0)
	s_delay_alu instid0(VALU_DEP_2)
	v_fmac_f32_e32 v82, v28, v27
	s_clause 0x1
	scratch_load_b32 v27, off, s32 offset:592
	scratch_load_b32 v28, off, s32 offset:624
	s_waitcnt vmcnt(1)
	v_dual_fmac_f32 v86, v27, v20 :: v_dual_lshlrev_b32 v27, 16, v29
	v_and_b32_e32 v20, 0xffff0000, v29
	v_lshlrev_b32_e32 v29, 16, v83
	s_waitcnt vmcnt(0)
	s_delay_alu instid0(VALU_DEP_3)
	v_fmac_f32_e32 v86, v28, v27
	scratch_load_b32 v27, off, s32 offset:620 ; 4-byte Folded Reload
	v_and_b32_e32 v28, 0xffff0000, v83
	s_waitcnt vmcnt(0)
	v_fmac_f32_e32 v82, v27, v20
	v_lshlrev_b32_e32 v20, 16, v87
	v_and_b32_e32 v27, 0xffff0000, v87
	v_mul_f32_e32 v87, v31, v29
	scratch_load_b32 v29, off, s32 offset:400 ; 4-byte Folded Reload
	s_waitcnt vmcnt(0)
	v_mul_f32_e32 v83, v29, v28
	scratch_load_b32 v28, off, s32 offset:384 ; 4-byte Folded Reload
	s_waitcnt vmcnt(0)
	v_fmac_f32_e32 v83, v28, v27
	s_clause 0x1
	scratch_load_b32 v27, off, s32 offset:388
	scratch_load_b32 v28, off, s32 offset:440
	s_waitcnt vmcnt(1)
	v_fmac_f32_e32 v87, v27, v20
	v_lshlrev_b32_e32 v27, 16, v67
	v_and_b32_e32 v20, 0xffff0000, v67
	s_waitcnt vmcnt(0)
	s_delay_alu instid0(VALU_DEP_2)
	v_fmac_f32_e32 v87, v28, v27
	s_clause 0x1
	scratch_load_b32 v27, off, s32 offset:436
	scratch_load_b32 v28, off, s32 offset:468
	s_waitcnt vmcnt(1)
	v_fmac_f32_e32 v83, v27, v20
	v_and_b32_e32 v27, 0xffff0000, v71
	v_lshlrev_b32_e32 v20, 16, v71
	s_waitcnt vmcnt(0)
	s_delay_alu instid0(VALU_DEP_2)
	v_fmac_f32_e32 v83, v28, v27
	s_clause 0x1
	scratch_load_b32 v27, off, s32 offset:472
	scratch_load_b32 v28, off, s32 offset:504
	s_waitcnt vmcnt(1)
	v_fmac_f32_e32 v87, v27, v20
	v_lshlrev_b32_e32 v27, 16, v55
	v_and_b32_e32 v20, 0xffff0000, v55
	s_waitcnt vmcnt(0)
	s_delay_alu instid0(VALU_DEP_2)
	v_fmac_f32_e32 v87, v28, v27
	s_clause 0x1
	scratch_load_b32 v27, off, s32 offset:500
	scratch_load_b32 v28, off, s32 offset:532
	s_waitcnt vmcnt(1)
	v_fmac_f32_e32 v83, v27, v20
	v_and_b32_e32 v27, 0xffff0000, v51
	v_lshlrev_b32_e32 v20, 16, v51
	s_waitcnt vmcnt(0)
	s_delay_alu instid0(VALU_DEP_2)
	v_fmac_f32_e32 v83, v28, v27
	s_clause 0x1
	scratch_load_b32 v27, off, s32 offset:536
	scratch_load_b32 v28, off, s32 offset:568
	s_waitcnt vmcnt(1)
	v_fmac_f32_e32 v87, v27, v20
	v_lshlrev_b32_e32 v27, 16, v38
	s_waitcnt vmcnt(0)
	s_delay_alu instid0(VALU_DEP_1)
	v_dual_fmac_f32 v87, v28, v27 :: v_dual_and_b32 v20, 0xffff0000, v38
	s_clause 0x1
	scratch_load_b32 v27, off, s32 offset:564
	scratch_load_b32 v28, off, s32 offset:596
	s_waitcnt vmcnt(1)
	v_dual_fmac_f32 v83, v27, v20 :: v_dual_lshlrev_b32 v20, 16, v34
	v_and_b32_e32 v27, 0xffff0000, v34
	s_waitcnt vmcnt(0)
	s_delay_alu instid0(VALU_DEP_1)
	v_fmac_f32_e32 v83, v28, v27
	s_clause 0x1
	scratch_load_b32 v27, off, s32 offset:600
	scratch_load_b32 v28, off, s32 offset:632
	s_waitcnt vmcnt(1)
	v_dual_fmac_f32 v87, v27, v20 :: v_dual_and_b32 v20, 0xffff0000, v30
	v_lshlrev_b32_e32 v27, 16, v30
	s_waitcnt vmcnt(0)
	s_delay_alu instid0(VALU_DEP_1)
	v_fmac_f32_e32 v87, v28, v27
	scratch_load_b32 v27, off, s32 offset:628 ; 4-byte Folded Reload
	s_waitcnt vmcnt(0)
	v_fmac_f32_e32 v83, v27, v20
	flat_load_b128 v[27:30], v[112:113] offset:512
	s_waitcnt vmcnt(0) lgkmcnt(0)
	v_and_b32_e32 v130, 0xffff0000, v27
	v_lshlrev_b32_e32 v129, 16, v27
	v_lshlrev_b32_e32 v131, 16, v28
	v_and_b32_e32 v132, 0xffff0000, v28
	v_lshlrev_b32_e32 v133, 16, v29
	v_and_b32_e32 v134, 0xffff0000, v29
	v_lshlrev_b32_e32 v20, 16, v30
	v_and_b32_e32 v116, 0xffff0000, v30
	flat_load_b128 v[27:30], v[112:113] offset:1024
	s_waitcnt vmcnt(0) lgkmcnt(0)
	v_and_b32_e32 v135, 0xffff0000, v27
	v_lshlrev_b32_e32 v144, 16, v27
	v_and_b32_e32 v145, 0xffff0000, v28
	v_lshlrev_b32_e32 v146, 16, v28
	;; [unrolled: 2-line block ×4, first 2 shown]
	s_clause 0x3
	flat_load_b128 v[27:30], v[112:113] offset:1536
	flat_load_b128 v[68:71], v[112:113] offset:2048
	flat_load_b128 v[64:67], v[112:113] offset:3072
	flat_load_b128 v[52:55], v[112:113] offset:3584
	s_waitcnt vmcnt(3) lgkmcnt(3)
	v_lshlrev_b32_e32 v149, 16, v27
	v_and_b32_e32 v150, 0xffff0000, v27
	v_lshlrev_b32_e32 v151, 16, v28
	v_and_b32_e32 v160, 0xffff0000, v28
	;; [unrolled: 2-line block ×4, first 2 shown]
	s_clause 0x3
	flat_load_b128 v[48:51], v[80:81]
	flat_load_b128 v[35:38], v[80:81] offset:512
	flat_load_b128 v[31:34], v[80:81] offset:1024
	;; [unrolled: 1-line block ×3, first 2 shown]
	s_clause 0x1
	scratch_load_b32 v102, off, s32 offset:636
	scratch_load_b32 v103, off, s32 offset:736
	s_waitcnt vmcnt(1)
	v_fmac_f32_e32 v26, v102, v130
	scratch_load_b32 v102, off, s32 offset:640 ; 4-byte Folded Reload
	s_waitcnt vmcnt(0)
	v_fmac_f32_e32 v84, v102, v129
	scratch_load_b32 v102, off, s32 offset:672 ; 4-byte Folded Reload
	;; [unrolled: 3-line block ×5, first 2 shown]
	s_waitcnt vmcnt(0)
	v_fmac_f32_e32 v84, v102, v149
	s_waitcnt lgkmcnt(6)
	v_and_b32_e32 v102, 0xffff0000, v68
	v_lshlrev_b32_e32 v68, 16, v68
	s_delay_alu instid0(VALU_DEP_1)
	v_fmac_f32_e32 v84, v103, v68
	scratch_load_b32 v68, off, s32 offset:732 ; 4-byte Folded Reload
	s_waitcnt vmcnt(0)
	v_fmac_f32_e32 v26, v68, v102
	scratch_load_b32 v102, off, s32 offset:764 ; 4-byte Folded Reload
	v_lshlrev_b32_e32 v68, 16, v16
	v_and_b32_e32 v16, 0xffff0000, v16
	s_waitcnt vmcnt(0)
	s_delay_alu instid0(VALU_DEP_1)
	v_fmac_f32_e32 v26, v102, v16
	scratch_load_b32 v16, off, s32 offset:768 ; 4-byte Folded Reload
	s_waitcnt vmcnt(0)
	v_fmac_f32_e32 v84, v16, v68
	scratch_load_b32 v68, off, s32 offset:800 ; 4-byte Folded Reload
	s_waitcnt lgkmcnt(5)
	v_and_b32_e32 v16, 0xffff0000, v64
	v_lshlrev_b32_e32 v64, 16, v64
	s_waitcnt vmcnt(0)
	s_delay_alu instid0(VALU_DEP_1)
	v_fmac_f32_e32 v84, v68, v64
	scratch_load_b32 v64, off, s32 offset:796 ; 4-byte Folded Reload
	s_waitcnt vmcnt(0)
	v_fmac_f32_e32 v26, v64, v16
	scratch_load_b32 v64, off, s32 offset:836 ; 4-byte Folded Reload
	s_waitcnt lgkmcnt(4)
	v_lshlrev_b32_e32 v16, 16, v52
	v_and_b32_e32 v52, 0xffff0000, v52
	s_waitcnt vmcnt(0)
	s_delay_alu instid0(VALU_DEP_1)
	v_fmac_f32_e32 v26, v64, v52
	scratch_load_b32 v52, off, s32 offset:840 ; 4-byte Folded Reload
	s_waitcnt vmcnt(0)
	v_fmac_f32_e32 v84, v52, v16
	scratch_load_b32 v52, off, s32 offset:872 ; 4-byte Folded Reload
	s_waitcnt lgkmcnt(3)
	v_and_b32_e32 v16, 0xffff0000, v48
	v_lshlrev_b32_e32 v48, 16, v48
	s_waitcnt vmcnt(0)
	s_delay_alu instid0(VALU_DEP_1)
	v_fmac_f32_e32 v84, v52, v48
	scratch_load_b32 v48, off, s32 offset:868 ; 4-byte Folded Reload
	s_waitcnt vmcnt(0)
	v_fmac_f32_e32 v26, v48, v16
	scratch_load_b32 v48, off, s32 offset:900 ; 4-byte Folded Reload
	s_waitcnt lgkmcnt(2)
	;; [unrolled: 20-line block ×3, first 2 shown]
	v_lshlrev_b32_e32 v16, 16, v27
	v_and_b32_e32 v27, 0xffff0000, v27
	s_waitcnt vmcnt(0)
	s_delay_alu instid0(VALU_DEP_1)
	v_fmac_f32_e32 v26, v31, v27
	s_clause 0x1
	scratch_load_b32 v27, off, s32 offset:968
	scratch_load_b32 v31, off, s32 offset:744
	s_waitcnt vmcnt(1)
	v_fmac_f32_e32 v84, v27, v16
	scratch_load_b32 v16, off, s32 offset:644 ; 4-byte Folded Reload
	v_lshlrev_b32_e32 v27, 16, v69
	s_waitcnt vmcnt(0)
	v_fmac_f32_e32 v85, v16, v132
	scratch_load_b32 v16, off, s32 offset:648 ; 4-byte Folded Reload
	s_waitcnt vmcnt(0)
	v_fmac_f32_e32 v39, v16, v131
	scratch_load_b32 v16, off, s32 offset:680 ; 4-byte Folded Reload
	;; [unrolled: 3-line block ×5, first 2 shown]
	s_waitcnt vmcnt(0)
	v_dual_fmac_f32 v39, v16, v151 :: v_dual_and_b32 v16, 0xffff0000, v69
	s_delay_alu instid0(VALU_DEP_1)
	v_fmac_f32_e32 v39, v31, v27
	scratch_load_b32 v27, off, s32 offset:740 ; 4-byte Folded Reload
	s_waitcnt vmcnt(0)
	v_fmac_f32_e32 v85, v27, v16
	scratch_load_b32 v27, off, s32 offset:772 ; 4-byte Folded Reload
	v_lshlrev_b32_e32 v16, 16, v17
	v_and_b32_e32 v17, 0xffff0000, v17
	s_waitcnt vmcnt(0)
	s_delay_alu instid0(VALU_DEP_1)
	v_fmac_f32_e32 v85, v27, v17
	s_clause 0x1
	scratch_load_b32 v17, off, s32 offset:776
	scratch_load_b32 v27, off, s32 offset:808
	s_waitcnt vmcnt(1)
	v_fmac_f32_e32 v39, v17, v16
	v_lshlrev_b32_e32 v17, 16, v65
	v_and_b32_e32 v16, 0xffff0000, v65
	s_waitcnt vmcnt(0)
	s_delay_alu instid0(VALU_DEP_2)
	v_fmac_f32_e32 v39, v27, v17
	s_clause 0x1
	scratch_load_b32 v17, off, s32 offset:804
	scratch_load_b32 v27, off, s32 offset:844
	s_waitcnt vmcnt(1)
	v_fmac_f32_e32 v85, v17, v16
	v_and_b32_e32 v17, 0xffff0000, v53
	v_lshlrev_b32_e32 v16, 16, v53
	s_waitcnt vmcnt(0)
	s_delay_alu instid0(VALU_DEP_2)
	v_fmac_f32_e32 v85, v27, v17
	s_clause 0x1
	scratch_load_b32 v17, off, s32 offset:848
	scratch_load_b32 v27, off, s32 offset:880
	s_waitcnt vmcnt(1)
	v_fmac_f32_e32 v39, v17, v16
	v_lshlrev_b32_e32 v17, 16, v49
	v_and_b32_e32 v16, 0xffff0000, v49
	s_waitcnt vmcnt(0)
	s_delay_alu instid0(VALU_DEP_2)
	v_fmac_f32_e32 v39, v27, v17
	s_clause 0x1
	scratch_load_b32 v17, off, s32 offset:876
	scratch_load_b32 v27, off, s32 offset:908
	s_waitcnt vmcnt(1)
	v_fmac_f32_e32 v85, v17, v16
	v_and_b32_e32 v17, 0xffff0000, v36
	s_waitcnt vmcnt(0)
	s_delay_alu instid0(VALU_DEP_1)
	v_dual_fmac_f32 v85, v27, v17 :: v_dual_lshlrev_b32 v16, 16, v36
	s_clause 0x1
	scratch_load_b32 v17, off, s32 offset:912
	scratch_load_b32 v27, off, s32 offset:944
	s_waitcnt vmcnt(1)
	v_fmac_f32_e32 v39, v17, v16
	v_lshlrev_b32_e32 v17, 16, v32
	s_waitcnt vmcnt(0)
	s_delay_alu instid0(VALU_DEP_1)
	v_dual_fmac_f32 v39, v27, v17 :: v_dual_and_b32 v16, 0xffff0000, v32
	s_clause 0x1
	scratch_load_b32 v17, off, s32 offset:940
	scratch_load_b32 v27, off, s32 offset:972
	s_waitcnt vmcnt(1)
	v_fmac_f32_e32 v85, v17, v16
	v_and_b32_e32 v17, 0xffff0000, v28
	s_waitcnt vmcnt(0)
	s_delay_alu instid0(VALU_DEP_1)
	v_dual_fmac_f32 v85, v27, v17 :: v_dual_lshlrev_b32 v16, 16, v28
	s_clause 0x1
	scratch_load_b32 v17, off, s32 offset:976
	scratch_load_b32 v27, off, s32 offset:752
	s_waitcnt vmcnt(1)
	v_fmac_f32_e32 v39, v17, v16
	scratch_load_b32 v16, off, s32 offset:652 ; 4-byte Folded Reload
	v_lshlrev_b32_e32 v17, 16, v70
	s_waitcnt vmcnt(0)
	v_fmac_f32_e32 v82, v16, v134
	scratch_load_b32 v16, off, s32 offset:656 ; 4-byte Folded Reload
	s_waitcnt vmcnt(0)
	v_fmac_f32_e32 v86, v16, v133
	scratch_load_b32 v16, off, s32 offset:688 ; 4-byte Folded Reload
	;; [unrolled: 3-line block ×5, first 2 shown]
	s_waitcnt vmcnt(0)
	v_fmac_f32_e32 v86, v16, v161
	v_and_b32_e32 v16, 0xffff0000, v70
	s_delay_alu instid0(VALU_DEP_2)
	v_fmac_f32_e32 v86, v27, v17
	scratch_load_b32 v17, off, s32 offset:748 ; 4-byte Folded Reload
	s_waitcnt vmcnt(0)
	v_fmac_f32_e32 v82, v17, v16
	v_lshlrev_b32_e32 v16, 16, v18
	v_and_b32_e32 v17, 0xffff0000, v18
	scratch_load_b32 v18, off, s32 offset:780 ; 4-byte Folded Reload
	s_waitcnt vmcnt(0)
	v_fmac_f32_e32 v82, v18, v17
	s_clause 0x1
	scratch_load_b32 v17, off, s32 offset:784
	scratch_load_b32 v18, off, s32 offset:824
	s_waitcnt vmcnt(1)
	v_dual_fmac_f32 v86, v17, v16 :: v_dual_lshlrev_b32 v17, 16, v66
	v_and_b32_e32 v16, 0xffff0000, v66
	s_waitcnt vmcnt(0)
	s_delay_alu instid0(VALU_DEP_2)
	v_fmac_f32_e32 v86, v18, v17
	s_clause 0x1
	scratch_load_b32 v17, off, s32 offset:812
	scratch_load_b32 v18, off, s32 offset:852
	s_waitcnt vmcnt(1)
	v_dual_fmac_f32 v82, v17, v16 :: v_dual_and_b32 v17, 0xffff0000, v54
	v_lshlrev_b32_e32 v16, 16, v54
	s_waitcnt vmcnt(0)
	s_delay_alu instid0(VALU_DEP_2)
	v_fmac_f32_e32 v82, v18, v17
	s_clause 0x1
	scratch_load_b32 v17, off, s32 offset:856
	scratch_load_b32 v18, off, s32 offset:888
	s_waitcnt vmcnt(1)
	v_dual_fmac_f32 v86, v17, v16 :: v_dual_lshlrev_b32 v17, 16, v50
	v_and_b32_e32 v16, 0xffff0000, v50
	s_waitcnt vmcnt(0)
	s_delay_alu instid0(VALU_DEP_2)
	v_fmac_f32_e32 v86, v18, v17
	s_clause 0x1
	scratch_load_b32 v17, off, s32 offset:884
	scratch_load_b32 v18, off, s32 offset:916
	s_waitcnt vmcnt(1)
	v_dual_fmac_f32 v82, v17, v16 :: v_dual_and_b32 v17, 0xffff0000, v37
	v_lshlrev_b32_e32 v16, 16, v37
	s_waitcnt vmcnt(0)
	s_delay_alu instid0(VALU_DEP_2)
	;; [unrolled: 18-line block ×3, first 2 shown]
	v_fmac_f32_e32 v82, v18, v17
	s_clause 0x1
	scratch_load_b32 v17, off, s32 offset:984
	scratch_load_b32 v18, off, s32 offset:760
	s_waitcnt vmcnt(1)
	v_fmac_f32_e32 v86, v17, v16
	scratch_load_b32 v16, off, s32 offset:660 ; 4-byte Folded Reload
	v_lshlrev_b32_e32 v17, 16, v71
	s_waitcnt vmcnt(0)
	v_fmac_f32_e32 v83, v16, v116
	scratch_load_b32 v16, off, s32 offset:664 ; 4-byte Folded Reload
	s_waitcnt vmcnt(0)
	v_fmac_f32_e32 v87, v16, v20
	scratch_load_b32 v16, off, s32 offset:696 ; 4-byte Folded Reload
	;; [unrolled: 3-line block ×5, first 2 shown]
	s_waitcnt vmcnt(0)
	v_fmac_f32_e32 v87, v16, v119
	s_delay_alu instid0(VALU_DEP_1)
	v_dual_fmac_f32 v87, v18, v17 :: v_dual_and_b32 v16, 0xffff0000, v71
	s_clause 0x1
	scratch_load_b32 v17, off, s32 offset:756
	scratch_load_b32 v18, off, s32 offset:788
	s_waitcnt vmcnt(1)
	v_fmac_f32_e32 v83, v17, v16
	v_and_b32_e32 v17, 0xffff0000, v19
	s_waitcnt vmcnt(0)
	s_delay_alu instid0(VALU_DEP_1)
	v_dual_fmac_f32 v83, v18, v17 :: v_dual_lshlrev_b32 v16, 16, v19
	s_clause 0x1
	scratch_load_b32 v17, off, s32 offset:792
	scratch_load_b32 v18, off, s32 offset:832
	s_waitcnt vmcnt(1)
	v_fmac_f32_e32 v87, v17, v16
	v_lshlrev_b32_e32 v17, 16, v67
	s_waitcnt vmcnt(0)
	s_delay_alu instid0(VALU_DEP_1)
	v_dual_fmac_f32 v87, v18, v17 :: v_dual_and_b32 v16, 0xffff0000, v67
	s_clause 0x1
	scratch_load_b32 v17, off, s32 offset:828
	scratch_load_b32 v18, off, s32 offset:860
	s_waitcnt vmcnt(1)
	v_dual_fmac_f32 v83, v17, v16 :: v_dual_lshlrev_b32 v16, 16, v55
	v_and_b32_e32 v17, 0xffff0000, v55
	s_waitcnt vmcnt(0)
	s_delay_alu instid0(VALU_DEP_1)
	v_fmac_f32_e32 v83, v18, v17
	s_clause 0x1
	scratch_load_b32 v17, off, s32 offset:864
	scratch_load_b32 v18, off, s32 offset:896
	s_waitcnt vmcnt(1)
	v_dual_fmac_f32 v87, v17, v16 :: v_dual_and_b32 v16, 0xffff0000, v51
	v_lshlrev_b32_e32 v17, 16, v51
	s_waitcnt vmcnt(0)
	s_delay_alu instid0(VALU_DEP_1)
	v_fmac_f32_e32 v87, v18, v17
	s_clause 0x1
	scratch_load_b32 v17, off, s32 offset:892
	scratch_load_b32 v18, off, s32 offset:924
	s_waitcnt vmcnt(1)
	v_dual_fmac_f32 v83, v17, v16 :: v_dual_lshlrev_b32 v16, 16, v38
	v_and_b32_e32 v17, 0xffff0000, v38
	s_waitcnt vmcnt(0)
	s_delay_alu instid0(VALU_DEP_1)
	v_fmac_f32_e32 v83, v18, v17
	s_clause 0x1
	scratch_load_b32 v17, off, s32 offset:928
	scratch_load_b32 v18, off, s32 offset:960
	s_waitcnt vmcnt(1)
	v_dual_fmac_f32 v87, v17, v16 :: v_dual_and_b32 v16, 0xffff0000, v34
	v_lshlrev_b32_e32 v17, 16, v34
	s_waitcnt vmcnt(0)
	s_delay_alu instid0(VALU_DEP_1)
	v_fmac_f32_e32 v87, v18, v17
	s_clause 0x1
	scratch_load_b32 v17, off, s32 offset:956
	scratch_load_b32 v18, off, s32 offset:988
	s_waitcnt vmcnt(1)
	v_dual_fmac_f32 v83, v17, v16 :: v_dual_lshlrev_b32 v16, 16, v30
	v_and_b32_e32 v17, 0xffff0000, v30
	s_delay_alu instid0(VALU_DEP_2) | instskip(SKIP_1) | instid1(VALU_DEP_2)
	v_fmac_f32_e32 v87, v163, v16
	s_waitcnt vmcnt(0)
	v_fmac_f32_e32 v83, v18, v17
	flat_load_b128 v[16:19], v[80:81] offset:2048
	s_waitcnt vmcnt(0) lgkmcnt(0)
	v_lshlrev_b32_e32 v128, 16, v17
	v_and_b32_e32 v117, 0xffff0000, v16
	v_lshlrev_b32_e32 v118, 16, v16
	v_and_b32_e32 v119, 0xffff0000, v17
	v_and_b32_e32 v129, 0xffff0000, v18
	v_lshlrev_b32_e32 v130, 16, v18
	v_and_b32_e32 v20, 0xffff0000, v19
	v_lshlrev_b32_e32 v102, 16, v19
	flat_load_b128 v[16:19], v[80:81] offset:2560
	v_dual_fmac_f32 v84, v165, v118 :: v_dual_fmac_f32 v39, v167, v128
	s_waitcnt vmcnt(0) lgkmcnt(0)
	v_lshlrev_b32_e32 v131, 16, v16
	v_and_b32_e32 v132, 0xffff0000, v16
	v_lshlrev_b32_e32 v133, 16, v17
	v_and_b32_e32 v134, 0xffff0000, v17
	v_lshlrev_b32_e32 v135, 16, v18
	v_lshlrev_b32_e32 v103, 16, v19
	v_and_b32_e32 v112, 0xffff0000, v19
	v_and_b32_e32 v144, 0xffff0000, v18
	flat_load_b128 v[16:19], v[80:81] offset:3072
	s_waitcnt vmcnt(0) lgkmcnt(0)
	v_dual_fmac_f32 v84, v181, v131 :: v_dual_and_b32 v145, 0xffff0000, v16
	v_lshlrev_b32_e32 v146, 16, v16
	v_and_b32_e32 v147, 0xffff0000, v17
	v_and_b32_e32 v149, 0xffff0000, v18
	;; [unrolled: 1-line block ×3, first 2 shown]
	v_lshlrev_b32_e32 v150, 16, v18
	v_lshlrev_b32_e32 v116, 16, v19
	;; [unrolled: 1-line block ×3, first 2 shown]
	s_clause 0x7
	flat_load_b128 v[68:71], v[80:81] offset:3584
	flat_load_b128 v[64:67], v[100:101] offset:512
	;; [unrolled: 1-line block ×8, first 2 shown]
	v_fmac_f32_e32 v84, v45, v146
	v_fmac_f32_e32 v26, v164, v117
	s_delay_alu instid0(VALU_DEP_1) | instskip(NEXT) | instid1(VALU_DEP_1)
	v_fmac_f32_e32 v26, v180, v132
	v_fmac_f32_e32 v26, v44, v145
	s_waitcnt vmcnt(7) lgkmcnt(7)
	v_lshlrev_b32_e32 v80, 16, v68
	v_and_b32_e32 v68, 0xffff0000, v68
	s_delay_alu instid0(VALU_DEP_2) | instskip(NEXT) | instid1(VALU_DEP_2)
	v_fmac_f32_e32 v84, v63, v80
	v_fmac_f32_e32 v26, v62, v68
	v_and_b32_e32 v68, 0xffff0000, v6
	v_dual_fmac_f32 v85, v166, v119 :: v_dual_lshlrev_b32 v6, 16, v6
	v_fmac_f32_e32 v82, v176, v129
	s_delay_alu instid0(VALU_DEP_3) | instskip(NEXT) | instid1(VALU_DEP_3)
	v_fmac_f32_e32 v26, v76, v68
	v_fmac_f32_e32 v84, v77, v6
	s_waitcnt vmcnt(6) lgkmcnt(6)
	v_lshlrev_b32_e32 v6, 16, v64
	v_dual_fmac_f32 v85, v182, v134 :: v_dual_and_b32 v64, 0xffff0000, v64
	s_delay_alu instid0(VALU_DEP_2) | instskip(NEXT) | instid1(VALU_DEP_2)
	v_dual_fmac_f32 v39, v183, v133 :: v_dual_fmac_f32 v84, v93, v6
	v_fmac_f32_e32 v26, v92, v64
	s_waitcnt vmcnt(5) lgkmcnt(5)
	v_and_b32_e32 v6, 0xffff0000, v52
	v_lshlrev_b32_e32 v52, 16, v52
	s_delay_alu instid0(VALU_DEP_2) | instskip(NEXT) | instid1(VALU_DEP_2)
	v_dual_fmac_f32 v39, v47, v148 :: v_dual_fmac_f32 v26, v108, v6
	v_fmac_f32_e32 v84, v109, v52
	s_waitcnt vmcnt(4) lgkmcnt(4)
	v_lshlrev_b32_e32 v6, 16, v48
	v_dual_fmac_f32 v85, v46, v147 :: v_dual_and_b32 v48, 0xffff0000, v48
	s_delay_alu instid0(VALU_DEP_2) | instskip(NEXT) | instid1(VALU_DEP_2)
	v_fmac_f32_e32 v84, v125, v6
	v_fmac_f32_e32 v26, v124, v48
	s_waitcnt vmcnt(3) lgkmcnt(3)
	v_and_b32_e32 v6, 0xffff0000, v35
	s_delay_alu instid0(VALU_DEP_1) | instskip(NEXT) | instid1(VALU_DEP_1)
	v_dual_fmac_f32 v26, v140, v6 :: v_dual_lshlrev_b32 v35, 16, v35
	v_fmac_f32_e32 v84, v141, v35
	s_waitcnt vmcnt(2) lgkmcnt(2)
	v_lshlrev_b32_e32 v6, 16, v31
	s_delay_alu instid0(VALU_DEP_1) | instskip(NEXT) | instid1(VALU_DEP_1)
	v_dual_fmac_f32 v84, v157, v6 :: v_dual_and_b32 v31, 0xffff0000, v31
	v_fmac_f32_e32 v26, v156, v31
	s_waitcnt vmcnt(1) lgkmcnt(1)
	v_and_b32_e32 v6, 0xffff0000, v27
	s_delay_alu instid0(VALU_DEP_1) | instskip(NEXT) | instid1(VALU_DEP_1)
	v_dual_fmac_f32 v26, v172, v6 :: v_dual_lshlrev_b32 v27, 16, v27
	v_fmac_f32_e32 v84, v173, v27
	s_waitcnt vmcnt(0) lgkmcnt(0)
	v_lshlrev_b32_e32 v6, 16, v16
	v_and_b32_e32 v16, 0xffff0000, v16
	s_delay_alu instid0(VALU_DEP_2) | instskip(NEXT) | instid1(VALU_DEP_2)
	v_fmac_f32_e32 v84, v189, v6
	v_fmac_f32_e32 v26, v188, v16
	v_lshlrev_b32_e32 v6, 16, v69
	s_delay_alu instid0(VALU_DEP_1) | instskip(NEXT) | instid1(VALU_DEP_1)
	v_dual_fmac_f32 v39, v73, v6 :: v_dual_and_b32 v16, 0xffff0000, v69
	v_dual_fmac_f32 v85, v72, v16 :: v_dual_and_b32 v6, 0xffff0000, v7
	v_dual_fmac_f32 v86, v177, v130 :: v_dual_lshlrev_b32 v7, 16, v7
	s_delay_alu instid0(VALU_DEP_2) | instskip(NEXT) | instid1(VALU_DEP_2)
	v_fmac_f32_e32 v85, v78, v6
	v_dual_fmac_f32 v39, v79, v7 :: v_dual_lshlrev_b32 v6, 16, v65
	s_delay_alu instid0(VALU_DEP_3) | instskip(NEXT) | instid1(VALU_DEP_2)
	v_dual_fmac_f32 v86, v41, v135 :: v_dual_and_b32 v7, 0xffff0000, v65
	v_fmac_f32_e32 v39, v95, v6
	s_delay_alu instid0(VALU_DEP_2) | instskip(SKIP_1) | instid1(VALU_DEP_2)
	v_dual_fmac_f32 v85, v94, v7 :: v_dual_and_b32 v6, 0xffff0000, v53
	v_lshlrev_b32_e32 v7, 16, v53
	v_fmac_f32_e32 v85, v110, v6
	s_delay_alu instid0(VALU_DEP_2) | instskip(SKIP_1) | instid1(VALU_DEP_2)
	v_dual_fmac_f32 v39, v111, v7 :: v_dual_lshlrev_b32 v6, 16, v49
	v_and_b32_e32 v7, 0xffff0000, v49
	v_fmac_f32_e32 v39, v127, v6
	s_delay_alu instid0(VALU_DEP_2) | instskip(SKIP_1) | instid1(VALU_DEP_2)
	v_dual_fmac_f32 v85, v126, v7 :: v_dual_and_b32 v6, 0xffff0000, v36
	v_lshlrev_b32_e32 v7, 16, v36
	v_fmac_f32_e32 v85, v142, v6
	s_delay_alu instid0(VALU_DEP_2) | instskip(SKIP_1) | instid1(VALU_DEP_2)
	v_dual_fmac_f32 v39, v143, v7 :: v_dual_lshlrev_b32 v6, 16, v32
	v_and_b32_e32 v7, 0xffff0000, v32
	v_fmac_f32_e32 v39, v159, v6
	s_delay_alu instid0(VALU_DEP_2) | instskip(SKIP_1) | instid1(VALU_DEP_2)
	v_dual_fmac_f32 v85, v158, v7 :: v_dual_and_b32 v6, 0xffff0000, v28
	v_lshlrev_b32_e32 v7, 16, v28
	v_fmac_f32_e32 v85, v174, v6
	s_delay_alu instid0(VALU_DEP_2) | instskip(NEXT) | instid1(VALU_DEP_1)
	v_dual_fmac_f32 v39, v175, v7 :: v_dual_lshlrev_b32 v6, 16, v17
	v_fmac_f32_e32 v39, v191, v6
	v_fmac_f32_e32 v83, v178, v20
	v_fmac_f32_e32 v87, v179, v102
	s_delay_alu instid0(VALU_DEP_2) | instskip(SKIP_1) | instid1(VALU_DEP_3)
	v_dual_fmac_f32 v83, v42, v112 :: v_dual_lshlrev_b32 v6, 16, v70
	v_dual_fmac_f32 v82, v40, v144 :: v_dual_and_b32 v7, 0xffff0000, v17
	v_fmac_f32_e32 v87, v43, v103
	s_delay_alu instid0(VALU_DEP_3) | instskip(NEXT) | instid1(VALU_DEP_3)
	v_fmac_f32_e32 v83, v58, v113
	v_dual_fmac_f32 v85, v190, v7 :: v_dual_fmac_f32 v82, v56, v149
	v_and_b32_e32 v7, 0xffff0000, v70
	s_delay_alu instid0(VALU_DEP_4) | instskip(NEXT) | instid1(VALU_DEP_2)
	v_dual_fmac_f32 v86, v57, v150 :: v_dual_fmac_f32 v87, v59, v116
	v_dual_fmac_f32 v82, v74, v7 :: v_dual_lshlrev_b32 v7, 16, v8
	s_delay_alu instid0(VALU_DEP_2) | instskip(SKIP_1) | instid1(VALU_DEP_2)
	v_fmac_f32_e32 v86, v75, v6
	v_and_b32_e32 v6, 0xffff0000, v8
	v_fmac_f32_e32 v86, v89, v7
	s_delay_alu instid0(VALU_DEP_2) | instskip(SKIP_2) | instid1(VALU_DEP_2)
	v_fmac_f32_e32 v82, v88, v6
	v_lshlrev_b32_e32 v6, 16, v66
	v_and_b32_e32 v7, 0xffff0000, v66
	v_fmac_f32_e32 v86, v105, v6
	s_delay_alu instid0(VALU_DEP_2) | instskip(SKIP_2) | instid1(VALU_DEP_2)
	v_fmac_f32_e32 v82, v104, v7
	v_and_b32_e32 v6, 0xffff0000, v54
	v_lshlrev_b32_e32 v7, 16, v54
	v_fmac_f32_e32 v82, v120, v6
	s_delay_alu instid0(VALU_DEP_2) | instskip(SKIP_2) | instid1(VALU_DEP_2)
	v_fmac_f32_e32 v86, v121, v7
	v_lshlrev_b32_e32 v6, 16, v50
	v_and_b32_e32 v7, 0xffff0000, v50
	v_fmac_f32_e32 v86, v137, v6
	s_delay_alu instid0(VALU_DEP_2) | instskip(SKIP_1) | instid1(VALU_DEP_1)
	v_fmac_f32_e32 v82, v136, v7
	v_and_b32_e32 v6, 0xffff0000, v37
	v_dual_fmac_f32 v82, v152, v6 :: v_dual_lshlrev_b32 v7, 16, v37
	s_delay_alu instid0(VALU_DEP_1) | instskip(SKIP_1) | instid1(VALU_DEP_1)
	v_fmac_f32_e32 v86, v153, v7
	v_lshlrev_b32_e32 v6, 16, v33
	v_dual_fmac_f32 v86, v169, v6 :: v_dual_and_b32 v7, 0xffff0000, v33
	s_delay_alu instid0(VALU_DEP_1) | instskip(SKIP_1) | instid1(VALU_DEP_1)
	v_fmac_f32_e32 v82, v168, v7
	v_and_b32_e32 v6, 0xffff0000, v29
	v_dual_fmac_f32 v82, v184, v6 :: v_dual_lshlrev_b32 v7, 16, v29
	s_delay_alu instid0(VALU_DEP_1) | instskip(SKIP_2) | instid1(VALU_DEP_2)
	v_fmac_f32_e32 v86, v185, v7
	v_lshlrev_b32_e32 v6, 16, v18
	v_and_b32_e32 v7, 0xffff0000, v18
	v_fmac_f32_e32 v86, v4, v6
	s_delay_alu instid0(VALU_DEP_2) | instskip(SKIP_2) | instid1(VALU_DEP_2)
	v_fmac_f32_e32 v82, v5, v7
	v_lshlrev_b32_e32 v6, 16, v71
	v_and_b32_e32 v7, 0xffff0000, v71
	v_fmac_f32_e32 v87, v61, v6
	s_delay_alu instid0(VALU_DEP_2) | instskip(SKIP_1) | instid1(VALU_DEP_2)
	v_dual_fmac_f32 v83, v60, v7 :: v_dual_and_b32 v6, 0xffff0000, v9
	v_lshlrev_b32_e32 v7, 16, v9
	v_fmac_f32_e32 v83, v91, v6
	s_delay_alu instid0(VALU_DEP_2) | instskip(SKIP_2) | instid1(VALU_DEP_2)
	v_fmac_f32_e32 v87, v90, v7
	v_lshlrev_b32_e32 v6, 16, v67
	v_and_b32_e32 v7, 0xffff0000, v67
	v_fmac_f32_e32 v87, v107, v6
	s_delay_alu instid0(VALU_DEP_2) | instskip(SKIP_2) | instid1(VALU_DEP_2)
	v_fmac_f32_e32 v83, v106, v7
	v_and_b32_e32 v6, 0xffff0000, v55
	v_lshlrev_b32_e32 v7, 16, v55
	v_fmac_f32_e32 v83, v122, v6
	s_delay_alu instid0(VALU_DEP_2) | instskip(SKIP_2) | instid1(VALU_DEP_2)
	v_fmac_f32_e32 v87, v123, v7
	v_lshlrev_b32_e32 v6, 16, v51
	v_and_b32_e32 v7, 0xffff0000, v51
	v_fmac_f32_e32 v87, v139, v6
	s_delay_alu instid0(VALU_DEP_2) | instskip(SKIP_1) | instid1(VALU_DEP_2)
	v_dual_fmac_f32 v83, v138, v7 :: v_dual_and_b32 v6, 0xffff0000, v38
	v_lshlrev_b32_e32 v7, 16, v38
	v_fmac_f32_e32 v83, v154, v6
	s_delay_alu instid0(VALU_DEP_2) | instskip(SKIP_1) | instid1(VALU_DEP_2)
	v_dual_fmac_f32 v87, v155, v7 :: v_dual_lshlrev_b32 v6, 16, v34
	v_and_b32_e32 v7, 0xffff0000, v34
	v_fmac_f32_e32 v87, v171, v6
	s_delay_alu instid0(VALU_DEP_2) | instskip(SKIP_1) | instid1(VALU_DEP_2)
	v_dual_fmac_f32 v83, v170, v7 :: v_dual_and_b32 v6, 0xffff0000, v30
	v_lshlrev_b32_e32 v7, 16, v30
	v_fmac_f32_e32 v83, v186, v6
	s_delay_alu instid0(VALU_DEP_2) | instskip(SKIP_2) | instid1(VALU_DEP_2)
	v_fmac_f32_e32 v87, v187, v7
	v_lshlrev_b32_e32 v6, 16, v19
	v_and_b32_e32 v7, 0xffff0000, v19
	v_fmac_f32_e32 v87, v98, v6
	v_add_f32_e32 v6, v84, v26
	s_delay_alu instid0(VALU_DEP_3) | instskip(NEXT) | instid1(VALU_DEP_2)
	v_fmac_f32_e32 v83, v12, v7
	v_add_f32_e32 v6, v6, v39
	s_delay_alu instid0(VALU_DEP_1) | instskip(NEXT) | instid1(VALU_DEP_1)
	v_add_f32_e32 v6, v85, v6
	v_add_f32_e32 v6, v86, v6
	s_delay_alu instid0(VALU_DEP_1) | instskip(NEXT) | instid1(VALU_DEP_1)
	v_add_f32_e32 v6, v82, v6
	;; [unrolled: 3-line block ×3, first 2 shown]
	v_fmac_f32_e32 v15, v6, v13
	s_delay_alu instid0(VALU_DEP_1) | instskip(SKIP_2) | instid1(VALU_DEP_1)
	v_cndmask_b32_e64 v6, 0, v15, s2
	ds_store_b32 v21, v6
	v_max_f32_e32 v6, v96, v96
	v_max_f32_e32 v6, v6, v15
	s_delay_alu instid0(VALU_DEP_1)
	v_cndmask_b32_e64 v96, v96, v6, s2
	s_branch .LBB191_11
.LBB191_16:
	s_or_b32 exec_lo, exec_lo, s15
	s_clause 0xc
	scratch_load_b32 v26, off, s32 offset:1012
	scratch_load_b32 v11, off, s32 offset:1016
	;; [unrolled: 1-line block ×10, first 2 shown]
	scratch_load_b64 v[27:28], off, s32 offset:1052
	scratch_load_b32 v21, off, s32 offset:1060
	scratch_load_b32 v12, off, s32 offset:1064
.LBB191_17:
	s_or_b32 exec_lo, exec_lo, s13
	v_mbcnt_lo_u32_b32 v0, -1, 0
	s_waitcnt lgkmcnt(0)
	s_lshr_b32 s5, s11, 16
	s_delay_alu instid0(VALU_DEP_1) | instskip(SKIP_2) | instid1(VALU_DEP_3)
	v_xor_b32_e32 v1, 16, v0
	v_xor_b32_e32 v3, 8, v0
	;; [unrolled: 1-line block ×3, first 2 shown]
	v_cmp_gt_i32_e32 vcc_lo, 32, v1
	v_cndmask_b32_e32 v1, v0, v1, vcc_lo
	s_delay_alu instid0(VALU_DEP_4) | instskip(NEXT) | instid1(VALU_DEP_2)
	v_cmp_gt_i32_e32 vcc_lo, 32, v3
	v_dual_cndmask_b32 v3, v0, v3 :: v_dual_lshlrev_b32 v2, 2, v1
	v_cmp_gt_i32_e32 vcc_lo, 32, v5
	ds_bpermute_b32 v1, v2, v96
	v_dual_max_f32 v4, v96, v96 :: v_dual_lshlrev_b32 v3, 2, v3
	v_cndmask_b32_e32 v5, v0, v5, vcc_lo
	s_waitcnt lgkmcnt(0)
	v_max_f32_e32 v1, v1, v1
	s_delay_alu instid0(VALU_DEP_1) | instskip(SKIP_3) | instid1(VALU_DEP_1)
	v_max_f32_e32 v1, v4, v1
	ds_bpermute_b32 v4, v3, v1
	s_waitcnt lgkmcnt(0)
	v_max_f32_e32 v6, v4, v4
	v_dual_max_f32 v1, v1, v6 :: v_dual_lshlrev_b32 v4, 2, v5
	v_xor_b32_e32 v6, 2, v0
	ds_bpermute_b32 v5, v4, v1
	v_cmp_gt_i32_e32 vcc_lo, 32, v6
	s_waitcnt lgkmcnt(0)
	v_dual_cndmask_b32 v6, v0, v6 :: v_dual_max_f32 v5, v5, v5
	s_delay_alu instid0(VALU_DEP_1) | instskip(SKIP_1) | instid1(VALU_DEP_1)
	v_lshlrev_b32_e32 v10, 2, v6
	v_xor_b32_e32 v6, 1, v0
	v_cmp_gt_i32_e32 vcc_lo, 32, v6
	s_delay_alu instid0(VALU_DEP_4) | instskip(SKIP_4) | instid1(VALU_DEP_1)
	v_dual_max_f32 v1, v1, v5 :: v_dual_cndmask_b32 v6, v0, v6
	ds_bpermute_b32 v5, v10, v1
	v_lshlrev_b32_e32 v17, 2, v6
	s_waitcnt lgkmcnt(0)
	v_max_f32_e32 v5, v5, v5
	v_max_f32_e32 v0, v1, v5
	scratch_load_b32 v5, off, s32 offset:816 ; 4-byte Folded Reload
	ds_bpermute_b32 v1, v17, v0
	s_waitcnt vmcnt(0)
	v_cmp_eq_u32_e32 vcc_lo, 0, v5
	scratch_load_b32 v5, off, s32 offset:992 ; 4-byte Folded Reload
	s_waitcnt vmcnt(0)
	v_lshlrev_b32_e32 v5, 2, v5
	s_and_saveexec_b32 s2, vcc_lo
	s_cbranch_execz .LBB191_19
; %bb.18:
	s_waitcnt lgkmcnt(0)
	v_dual_max_f32 v1, v1, v1 :: v_dual_max_f32 v0, v0, v0
	s_delay_alu instid0(VALU_DEP_1)
	v_max_f32_e32 v0, v0, v1
	ds_store_b32 v5, v0 offset:512
.LBB191_19:
	s_or_b32 exec_lo, exec_lo, s2
	scratch_load_b32 v0, off, s32 offset:816 ; 4-byte Folded Reload
	s_waitcnt vmcnt(0) lgkmcnt(0)
	s_waitcnt_vscnt null, 0x0
	s_barrier
	buffer_gl0_inv
	v_cmp_gt_u32_e64 s2, 4, v0
	v_mov_b32_e32 v0, 0xff7fffff
	s_delay_alu instid0(VALU_DEP_2)
	s_and_saveexec_b32 s3, s2
	s_cbranch_execz .LBB191_21
; %bb.20:
	ds_load_b32 v0, v12 offset:512
.LBB191_21:
	s_or_b32 exec_lo, exec_lo, s3
	scratch_load_b32 v6, off, s32 offset:332 ; 4-byte Folded Reload
	s_waitcnt lgkmcnt(0)
	ds_bpermute_b32 v1, v10, v0
	s_waitcnt lgkmcnt(0)
	v_dual_max_f32 v0, v0, v0 :: v_dual_max_f32 v1, v1, v1
	s_delay_alu instid0(VALU_DEP_1)
	v_max_f32_e32 v0, v0, v1
	ds_bpermute_b32 v1, v17, v0
	s_waitcnt lgkmcnt(0)
	v_max_f32_e32 v1, v1, v1
	s_waitcnt vmcnt(0)
	v_subrev_nc_u32_e32 v7, s9, v6
	v_mov_b32_e32 v6, 0
	s_delay_alu instid0(VALU_DEP_3) | instskip(NEXT) | instid1(VALU_DEP_3)
	v_max_f32_e32 v0, v0, v1
	v_lshl_add_u32 v1, v7, 5, s19
	scratch_load_b32 v7, off, s32 offset:820 ; 4-byte Folded Reload
	ds_bpermute_b32 v0, v6, v0
	v_min_i32_e32 v1, v1, v114
	s_delay_alu instid0(VALU_DEP_1) | instskip(SKIP_1) | instid1(VALU_DEP_1)
	v_subrev_nc_u32_e32 v1, s19, v1
	s_waitcnt vmcnt(0)
	v_cmp_lt_i32_e64 s3, v7, v1
	s_delay_alu instid0(VALU_DEP_1)
	s_and_saveexec_b32 s9, s3
	s_cbranch_execz .LBB191_25
; %bb.22:
	scratch_load_b32 v8, off, s32 offset:820 ; 4-byte Folded Reload
	s_getpc_b64 s[20:21]
	s_add_u32 s20, s20, llvm.amdgcn.dynlds.offset.table@rel32@lo+4
	s_addc_u32 s21, s21, llvm.amdgcn.dynlds.offset.table@rel32@hi+12
	s_ashr_i32 s17, s16, 31
	v_mov_b32_e32 v6, 0
	s_lshl_b64 s[22:23], s[16:17], 2
	s_mov_b32 s11, 0
	s_add_u32 s20, s22, s20
	s_addc_u32 s21, s23, s21
	s_load_b32 s4, s[20:21], 0x0
	s_waitcnt vmcnt(0) lgkmcnt(0)
	v_lshl_add_u32 v7, v8, 2, s4
	.p2align	6
.LBB191_23:                             ; =>This Inner Loop Header: Depth=1
	ds_load_b32 v9, v7
	v_add_nc_u32_e32 v8, 0x80, v8
	s_delay_alu instid0(VALU_DEP_1) | instskip(NEXT) | instid1(VALU_DEP_1)
	v_cmp_ge_i32_e64 s4, v8, v1
	s_or_b32 s11, s4, s11
	s_waitcnt lgkmcnt(0)
	v_sub_f32_e32 v9, v9, v0
	s_delay_alu instid0(VALU_DEP_1) | instskip(NEXT) | instid1(VALU_DEP_1)
	v_mul_f32_e32 v9, 0x3fb8aa3b, v9
	v_exp_f32_e32 v9, v9
	ds_store_b32 v7, v9
	v_dual_add_f32 v6, v6, v9 :: v_dual_add_nc_u32 v7, 0x200, v7
	s_and_not1_b32 exec_lo, exec_lo, s11
	s_cbranch_execnz .LBB191_23
; %bb.24:
	s_or_b32 exec_lo, exec_lo, s11
.LBB191_25:
	s_delay_alu instid0(SALU_CYCLE_1)
	s_or_b32 exec_lo, exec_lo, s9
	ds_bpermute_b32 v2, v2, v6
	s_waitcnt lgkmcnt(0)
	v_add_f32_e32 v2, v6, v2
	ds_bpermute_b32 v3, v3, v2
	s_waitcnt lgkmcnt(0)
	v_add_f32_e32 v2, v2, v3
	;; [unrolled: 3-line block ×5, first 2 shown]
	s_and_saveexec_b32 s4, vcc_lo
	s_cbranch_execz .LBB191_27
; %bb.26:
	ds_store_b32 v5, v2 offset:528
.LBB191_27:
	s_or_b32 exec_lo, exec_lo, s4
	s_waitcnt lgkmcnt(0)
	s_barrier
	buffer_gl0_inv
	s_and_saveexec_b32 s4, s2
	s_cbranch_execz .LBB191_29
; %bb.28:
	ds_load_b32 v2, v12 offset:528
.LBB191_29:
	s_or_b32 exec_lo, exec_lo, s4
	s_waitcnt lgkmcnt(0)
	ds_bpermute_b32 v3, v10, v2
	s_waitcnt lgkmcnt(0)
	v_add_f32_e32 v2, v2, v3
	ds_bpermute_b32 v3, v17, v2
	s_waitcnt lgkmcnt(0)
	v_dual_add_f32 v2, v2, v3 :: v_dual_mov_b32 v3, 0
	ds_bpermute_b32 v2, v3, v2
	s_and_saveexec_b32 s2, s3
	s_cbranch_execz .LBB191_32
; %bb.30:
	s_waitcnt lgkmcnt(0)
	v_add_f32_e32 v4, 0x358637bd, v2
	s_getpc_b64 s[20:21]
	s_add_u32 s20, s20, llvm.amdgcn.dynlds.offset.table@rel32@lo+4
	s_addc_u32 s21, s21, llvm.amdgcn.dynlds.offset.table@rel32@hi+12
	s_ashr_i32 s17, s16, 31
	s_delay_alu instid0(SALU_CYCLE_1) | instskip(SKIP_4) | instid1(VALU_DEP_1)
	s_lshl_b64 s[22:23], s[16:17], 2
	v_div_scale_f32 v3, null, v4, v4, 1.0
	s_add_u32 s20, s22, s20
	s_addc_u32 s21, s23, s21
	s_load_b32 s3, s[20:21], 0x0
	v_rcp_f32_e32 v5, v3
	s_waitcnt_depctr 0xfff
	v_fma_f32 v6, -v3, v5, 1.0
	s_delay_alu instid0(VALU_DEP_1) | instskip(SKIP_1) | instid1(VALU_DEP_1)
	v_fmac_f32_e32 v5, v6, v5
	v_div_scale_f32 v7, vcc_lo, 1.0, v4, 1.0
	v_mul_f32_e32 v6, v7, v5
	s_delay_alu instid0(VALU_DEP_1) | instskip(NEXT) | instid1(VALU_DEP_1)
	v_fma_f32 v8, -v3, v6, v7
	v_fmac_f32_e32 v6, v8, v5
	s_delay_alu instid0(VALU_DEP_1) | instskip(NEXT) | instid1(VALU_DEP_1)
	v_fma_f32 v3, -v3, v6, v7
	v_div_fmas_f32 v5, v3, v5, v6
	scratch_load_b32 v6, off, s32 offset:820 ; 4-byte Folded Reload
	v_div_fixup_f32 v4, v5, v4, 1.0
	s_waitcnt vmcnt(0) lgkmcnt(0)
	v_lshl_add_u32 v3, v6, 2, s3
	v_mov_b32_e32 v5, v6
	s_mov_b32 s3, 0
.LBB191_31:                             ; =>This Inner Loop Header: Depth=1
	ds_load_b32 v6, v3
	s_waitcnt lgkmcnt(0)
	v_dual_mul_f32 v6, v4, v6 :: v_dual_add_nc_u32 v5, 0x80, v5
	s_delay_alu instid0(VALU_DEP_1) | instskip(SKIP_3) | instid1(SALU_CYCLE_1)
	v_cmp_ge_i32_e32 vcc_lo, v5, v1
	ds_store_b32 v3, v6
	v_add_nc_u32_e32 v3, 0x200, v3
	s_or_b32 s3, vcc_lo, s3
	s_and_not1_b32 exec_lo, exec_lo, s3
	s_cbranch_execnz .LBB191_31
.LBB191_32:
	s_or_b32 exec_lo, exec_lo, s2
	scratch_load_b32 v1, off, s32 offset:820 ; 4-byte Folded Reload
	v_cmp_ne_u16_e64 s2, s5, 0
	s_waitcnt vmcnt(0) lgkmcnt(0)
	s_barrier
	buffer_gl0_inv
	s_cmp_lg_u32 s2, 0
	s_mov_b32 s2, exec_lo
	s_addc_u32 s4, s8, 0
	v_cmpx_eq_u32_e32 0, v1
	s_cbranch_execz .LBB191_34
; %bb.33:
	s_mul_i32 s3, s4, s6
	s_mul_i32 s8, s4, s12
	;; [unrolled: 1-line block ×3, first 2 shown]
	s_ashr_i32 s9, s8, 31
	s_ashr_i32 s15, s14, 31
	;; [unrolled: 1-line block ×3, first 2 shown]
	s_lshl_b64 s[8:9], s[8:9], 2
	s_lshl_b64 s[20:21], s[14:15], 2
	s_lshl_b64 s[12:13], s[12:13], 2
	s_add_u32 s3, s20, s8
	s_addc_u32 s5, s21, s9
	s_add_u32 s3, s3, s12
	s_addc_u32 s5, s5, s13
	v_add_co_u32 v3, vcc_lo, s3, v34
	v_add_co_ci_u32_e32 v4, vcc_lo, s5, v33, vcc_lo
	v_add_co_u32 v5, vcc_lo, s3, v32
	v_add_co_ci_u32_e32 v6, vcc_lo, s5, v30, vcc_lo
	flat_store_b32 v[3:4], v0
	flat_store_b32 v[5:6], v2
.LBB191_34:
	s_or_b32 exec_lo, exec_lo, s2
	v_dual_mov_b32 v0, 0 :: v_dual_mov_b32 v13, 0
	s_ashr_i32 s17, s16, 31
	s_getpc_b64 s[2:3]
	s_add_u32 s2, s2, llvm.amdgcn.dynlds.offset.table@rel32@lo+4
	s_addc_u32 s3, s3, llvm.amdgcn.dynlds.offset.table@rel32@hi+12
	s_lshl_b64 s[8:9], s[16:17], 2
	scratch_store_b32 off, v0, s32 offset:416 ; 4-byte Folded Spill
	v_dual_mov_b32 v0, 0 :: v_dual_mov_b32 v19, 0
	v_dual_mov_b32 v34, 0 :: v_dual_mov_b32 v33, 0
	v_mov_b32_e32 v67, 0
	scratch_store_b32 off, v0, s32 offset:412 ; 4-byte Folded Spill
	v_mov_b32_e32 v0, 0
	v_dual_mov_b32 v32, 0 :: v_dual_mov_b32 v25, 0
	v_dual_mov_b32 v4, 0 :: v_dual_mov_b32 v5, 0
	scratch_store_b32 off, v0, s32 offset:408 ; 4-byte Folded Spill
	v_mov_b32_e32 v0, 0
	v_mov_b32_e32 v48, 0
	;; [unrolled: 1-line block ×5, first 2 shown]
	scratch_store_b32 off, v0, s32 offset:404 ; 4-byte Folded Spill
	v_mov_b32_e32 v0, 0
	s_add_u32 s2, s8, s2
	s_addc_u32 s3, s9, s3
	s_mov_b32 s8, 0
	scratch_store_b32 off, v0, s32 offset:400 ; 4-byte Folded Spill
	v_mov_b32_e32 v0, 0
	scratch_store_b32 off, v0, s32 offset:396 ; 4-byte Folded Spill
	v_mov_b32_e32 v0, 0
	;; [unrolled: 2-line block ×14, first 2 shown]
	scratch_store_b32 off, v0, s32 offset:344 ; 4-byte Folded Spill
	s_and_saveexec_b32 s5, s1
	s_cbranch_execz .LBB191_1160
; %bb.35:
	s_clause 0x1
	scratch_store_b32 off, v10, s32 offset:952
	scratch_store_b32 off, v17, s32 offset:948
	scratch_load_b64 v[0:1], off, s32 offset:1004 ; 8-byte Folded Reload
	v_dual_mov_b32 v67, 0 :: v_dual_add_nc_u32 v4, -1, v20
	v_max_i32_e32 v26, v26, v21
	s_load_b32 s1, s[2:3], 0x0
	v_mov_b32_e32 v32, 0
	v_mov_b32_e32 v34, 0
	s_lshl_b32 s9, s19, 2
	v_cvt_f32_u32_e32 v2, v26
	v_sub_nc_u32_e32 v9, 0, v26
	v_mov_b32_e32 v33, 0
	s_delay_alu instid0(VALU_DEP_3) | instskip(SKIP_4) | instid1(VALU_DEP_1)
	v_rcp_iflag_f32_e32 v2, v2
	s_waitcnt_depctr 0xfff
	v_mul_f32_e32 v2, 0x4f7ffffe, v2
	s_waitcnt lgkmcnt(0)
	s_sub_i32 s9, s1, s9
	v_cvt_u32_f32_e32 v2, v2
	s_delay_alu instid0(VALU_DEP_1) | instskip(NEXT) | instid1(VALU_DEP_1)
	v_mul_lo_u32 v9, v9, v2
	v_mul_hi_u32 v9, v2, v9
	s_delay_alu instid0(VALU_DEP_1)
	v_add_nc_u32_e32 v2, v2, v9
	s_waitcnt vmcnt(0)
	v_add_co_u32 v0, vcc_lo, v14, v0
	scratch_store_b32 off, v0, s32 offset:824 ; 4-byte Folded Spill
	v_add_co_ci_u32_e32 v0, vcc_lo, v15, v1, vcc_lo
	scratch_store_b32 off, v0, s32 offset:828 ; 4-byte Folded Spill
	scratch_load_b32 v0, off, s32 offset:820 ; 4-byte Folded Reload
	s_waitcnt vmcnt(0)
	v_lshlrev_b32_e32 v3, 3, v0
	v_lshlrev_b64 v[0:1], 1, v[27:28]
	s_delay_alu instid0(VALU_DEP_1)
	v_add_co_u32 v0, vcc_lo, v29, v0
	scratch_store_b32 off, v4, s32 offset:832 ; 4-byte Folded Spill
	v_and_b32_e32 v4, 24, v3
	scratch_store_b32 off, v0, s32 offset:840 ; 4-byte Folded Spill
	v_add_co_ci_u32_e32 v0, vcc_lo, v11, v1, vcc_lo
	scratch_store_b32 off, v4, s32 offset:836 ; 4-byte Folded Spill
	v_and_b32_e32 v4, 0xf8, v3
	v_or_b32_e32 v3, 0x1f00, v3
	scratch_store_b32 off, v0, s32 offset:844 ; 4-byte Folded Spill
	v_or_b32_e32 v0, 0x800, v4
	v_or_b32_e32 v1, 0x900, v4
	;; [unrolled: 1-line block ×5, first 2 shown]
	v_lshlrev_b32_e32 v0, 1, v0
	v_or_b32_e32 v8, 0xd00, v4
	v_or_b32_e32 v10, 0xe00, v4
	;; [unrolled: 1-line block ×4, first 2 shown]
	scratch_store_b32 off, v0, s32 offset:852 ; 4-byte Folded Spill
	v_lshlrev_b32_e32 v0, 1, v1
	v_or_b32_e32 v13, 0x1100, v4
	scratch_store_b32 off, v0, s32 offset:856 ; 4-byte Folded Spill
	v_lshlrev_b32_e32 v0, 1, v5
	scratch_store_b32 off, v0, s32 offset:860 ; 4-byte Folded Spill
	v_lshlrev_b32_e32 v0, 1, v6
	;; [unrolled: 2-line block ×7, first 2 shown]
	scratch_store_b32 off, v0, s32 offset:884 ; 4-byte Folded Spill
	v_dual_mov_b32 v13, 0 :: v_dual_lshlrev_b32 v0, 1, v13
	v_or_b32_e32 v14, 0x1200, v4
	v_or_b32_e32 v15, 0x1300, v4
	;; [unrolled: 1-line block ×3, first 2 shown]
	scratch_store_b32 off, v0, s32 offset:888 ; 4-byte Folded Spill
	v_or_b32_e32 v17, 0x1500, v4
	v_lshlrev_b32_e32 v0, 1, v14
	v_or_b32_e32 v18, 0x1600, v4
	v_or_b32_e32 v19, 0x1700, v4
	;; [unrolled: 1-line block ×4, first 2 shown]
	scratch_store_b32 off, v0, s32 offset:892 ; 4-byte Folded Spill
	v_lshlrev_b32_e32 v0, 1, v15
	v_or_b32_e32 v22, 0x1a00, v4
	v_or_b32_e32 v24, 0x1b00, v4
	;; [unrolled: 1-line block ×4, first 2 shown]
	scratch_store_b32 off, v0, s32 offset:896 ; 4-byte Folded Spill
	v_lshlrev_b32_e32 v0, 1, v16
	v_or_b32_e32 v28, 0x1e00, v4
	v_mov_b32_e32 v16, 0
	scratch_store_b32 off, v0, s32 offset:900 ; 4-byte Folded Spill
	v_lshlrev_b32_e32 v0, 1, v17
	scratch_store_b32 off, v0, s32 offset:904 ; 4-byte Folded Spill
	v_lshlrev_b32_e32 v0, 1, v18
	v_mov_b32_e32 v18, 0
	scratch_store_b32 off, v0, s32 offset:908 ; 4-byte Folded Spill
	v_dual_mov_b32 v19, 0 :: v_dual_lshlrev_b32 v0, 1, v19
	scratch_store_b32 off, v0, s32 offset:912 ; 4-byte Folded Spill
	v_lshlrev_b32_e32 v0, 1, v20
	scratch_store_b32 off, v0, s32 offset:916 ; 4-byte Folded Spill
	v_lshlrev_b32_e32 v0, 1, v21
	;; [unrolled: 2-line block ×4, first 2 shown]
	v_mov_b32_e32 v24, 0
	scratch_store_b32 off, v0, s32 offset:928 ; 4-byte Folded Spill
	v_dual_mov_b32 v25, 0 :: v_dual_lshlrev_b32 v0, 1, v25
	scratch_store_b32 off, v0, s32 offset:932 ; 4-byte Folded Spill
	v_lshlrev_b32_e32 v0, 1, v27
	scratch_store_b32 off, v0, s32 offset:936 ; 4-byte Folded Spill
	v_lshlrev_b32_e32 v0, 1, v28
	;; [unrolled: 2-line block ×3, first 2 shown]
	scratch_store_b32 off, v0, s32 offset:944 ; 4-byte Folded Spill
	v_mov_b32_e32 v0, 0
	scratch_store_b32 off, v2, s32 offset:436 ; 4-byte Folded Spill
	v_lshlrev_b32_e32 v2, 1, v4
	scratch_store_b32 off, v0, s32 offset:344 ; 4-byte Folded Spill
	v_mov_b32_e32 v0, 0
	s_clause 0x1
	scratch_store_b32 off, v2, s32 offset:848
	scratch_store_b32 off, v0, s32 offset:348
	v_mov_b32_e32 v0, 0
	scratch_store_b32 off, v0, s32 offset:352 ; 4-byte Folded Spill
	v_mov_b32_e32 v0, 0
	scratch_store_b32 off, v0, s32 offset:356 ; 4-byte Folded Spill
	;; [unrolled: 2-line block ×20, first 2 shown]
	s_branch .LBB191_38
.LBB191_36:                             ;   in Loop: Header=BB191_38 Depth=1
	s_or_b32 exec_lo, exec_lo, s1
	v_and_b32_e32 v61, 0xffff0000, v173
	v_and_b32_e32 v59, 0xffff0000, v170
	;; [unrolled: 1-line block ×8, first 2 shown]
	s_delay_alu instid0(VALU_DEP_4) | instskip(SKIP_4) | instid1(VALU_DEP_4)
	v_dual_add_f32 v20, v59, v20 :: v_dual_and_b32 v27, 0xffff0000, v27
	v_and_b32_e32 v59, 0xffff0000, v172
	v_and_b32_e32 v25, 0xffff0000, v25
	;; [unrolled: 1-line block ×4, first 2 shown]
	v_dual_add_f32 v59, v60, v59 :: v_dual_and_b32 v28, 0xffff0000, v28
	s_delay_alu instid0(VALU_DEP_4) | instskip(NEXT) | instid1(VALU_DEP_3)
	v_add_f32_e32 v25, v25, v27
	v_dual_add_f32 v34, v34, v35 :: v_dual_and_b32 v27, 0xffff0000, v29
	s_delay_alu instid0(VALU_DEP_3) | instskip(SKIP_2) | instid1(VALU_DEP_4)
	v_dual_add_f32 v20, v20, v59 :: v_dual_and_b32 v35, 0xffff0000, v37
	v_and_b32_e32 v59, 0xffff0000, v155
	v_and_b32_e32 v60, 0xffff0000, v174
	v_dual_add_f32 v27, v28, v27 :: v_dual_and_b32 v36, 0xffff0000, v36
	v_and_b32_e32 v68, 0xffff0000, v68
	s_delay_alu instid0(VALU_DEP_3) | instskip(SKIP_1) | instid1(VALU_DEP_4)
	v_dual_add_f32 v60, v61, v60 :: v_dual_and_b32 v53, 0xffff0000, v53
	v_and_b32_e32 v61, 0xffff0000, v154
	v_add_f32_e32 v35, v36, v35
	v_and_b32_e32 v51, 0xffff0000, v51
	v_and_b32_e32 v18, 0xffff0000, v18
	s_delay_alu instid0(VALU_DEP_4) | instskip(SKIP_3) | instid1(VALU_DEP_3)
	v_dual_add_f32 v20, v20, v60 :: v_dual_add_f32 v59, v61, v59
	v_and_b32_e32 v61, 0xffff0000, v157
	v_dual_add_f32 v34, v34, v35 :: v_dual_and_b32 v73, 0xffff0000, v124
	v_and_b32_e32 v35, 0xffff0000, v49
	v_dual_add_f32 v61, v62, v61 :: v_dual_and_b32 v52, 0xffff0000, v52
	v_and_b32_e32 v62, 0xffff0000, v184
	v_and_b32_e32 v60, 0xffff0000, v159
	;; [unrolled: 1-line block ×3, first 2 shown]
	s_delay_alu instid0(VALU_DEP_4)
	v_dual_add_f32 v51, v51, v52 :: v_dual_and_b32 v52, 0xffff0000, v54
	v_add_f32_e32 v59, v59, v61
	v_and_b32_e32 v61, 0xffff0000, v158
	v_and_b32_e32 v54, 0xffff0000, v107
	;; [unrolled: 1-line block ×3, first 2 shown]
	v_dual_add_f32 v52, v53, v52 :: v_dual_and_b32 v53, 0xffff0000, v105
	s_delay_alu instid0(VALU_DEP_4) | instskip(SKIP_2) | instid1(VALU_DEP_3)
	v_dual_add_f32 v60, v61, v60 :: v_dual_and_b32 v61, 0xffff0000, v175
	v_and_b32_e32 v13, 0xffff0000, v13
	v_and_b32_e32 v9, 0xffff0000, v9
	v_dual_add_f32 v59, v59, v60 :: v_dual_and_b32 v10, 0xffff0000, v10
	s_delay_alu instid0(VALU_DEP_4)
	v_dual_add_f32 v61, v61, v62 :: v_dual_and_b32 v60, 0xffff0000, v139
	v_and_b32_e32 v62, 0xffff0000, v138
	v_and_b32_e32 v4, 0xffff0000, v4
	;; [unrolled: 1-line block ×4, first 2 shown]
	v_add_f32_e32 v20, v20, v61
	v_add_f32_e32 v60, v62, v60
	v_and_b32_e32 v62, 0xffff0000, v141
	v_and_b32_e32 v1, 0xffff0000, v1
	;; [unrolled: 1-line block ×5, first 2 shown]
	v_add_f32_e32 v62, v63, v62
	s_clause 0x1
	scratch_load_b32 v28, off, s32 offset:364
	scratch_load_b32 v36, off, s32 offset:360
	v_dual_add_f32 v53, v53, v54 :: v_dual_and_b32 v54, 0xffff0000, v55
	v_add_f32_e32 v60, v60, v62
	v_and_b32_e32 v62, 0xffff0000, v143
	v_and_b32_e32 v63, 0xffff0000, v168
	v_add_f32_e32 v51, v51, v52
	v_and_b32_e32 v52, 0xffff0000, v64
	v_and_b32_e32 v55, 0xffff0000, v91
	;; [unrolled: 1-line block ×3, first 2 shown]
	v_dual_add_f32 v63, v63, v72 :: v_dual_and_b32 v72, 0xffff0000, v142
	s_delay_alu instid0(VALU_DEP_4) | instskip(SKIP_2) | instid1(VALU_DEP_4)
	v_add_f32_e32 v52, v54, v52
	v_and_b32_e32 v54, 0xffff0000, v90
	v_add_f32_e32 v18, v18, v19
	v_dual_add_f32 v59, v59, v63 :: v_dual_add_f32 v62, v72, v62
	v_and_b32_e32 v72, 0xffff0000, v125
	v_and_b32_e32 v63, 0xffff0000, v153
	v_dual_add_f32 v51, v51, v52 :: v_dual_add_f32 v54, v54, v55
	s_delay_alu instid0(VALU_DEP_3) | instskip(SKIP_3) | instid1(VALU_DEP_3)
	v_dual_add_f32 v72, v73, v72 :: v_dual_and_b32 v55, 0xffff0000, v66
	v_dual_add_f32 v60, v60, v62 :: v_dual_and_b32 v73, 0xffff0000, v127
	v_and_b32_e32 v62, 0xffff0000, v136
	v_and_b32_e32 v7, 0xffff0000, v7
	v_dual_add_f32 v73, v74, v73 :: v_dual_and_b32 v6, 0xffff0000, v6
	v_and_b32_e32 v52, 0xffff0000, v65
	v_dual_add_f32 v4, v5, v4 :: v_dual_and_b32 v29, 0xffff0000, v50
	s_delay_alu instid0(VALU_DEP_3) | instskip(SKIP_3) | instid1(VALU_DEP_4)
	v_dual_add_f32 v6, v62, v6 :: v_dual_add_f32 v61, v72, v73
	v_and_b32_e32 v62, 0xffff0000, v152
	v_and_b32_e32 v72, 0xffff0000, v110
	v_dual_add_f32 v52, v52, v55 :: v_dual_and_b32 v5, 0xffff0000, v98
	v_add_f32_e32 v6, v61, v6
	s_delay_alu instid0(VALU_DEP_4) | instskip(SKIP_1) | instid1(VALU_DEP_1)
	v_dual_add_f32 v62, v62, v63 :: v_dual_and_b32 v61, 0xffff0000, v109
	v_and_b32_e32 v63, 0xffff0000, v108
	v_add_f32_e32 v61, v63, v61
	v_and_b32_e32 v63, 0xffff0000, v111
	s_delay_alu instid0(VALU_DEP_1) | instskip(NEXT) | instid1(VALU_DEP_1)
	v_dual_add_f32 v63, v72, v63 :: v_dual_and_b32 v72, 0xffff0000, v137
	v_add_f32_e32 v61, v61, v63
	s_delay_alu instid0(VALU_DEP_2) | instskip(SKIP_2) | instid1(VALU_DEP_3)
	v_add_f32_e32 v7, v7, v72
	v_and_b32_e32 v63, 0xffff0000, v121
	v_and_b32_e32 v72, 0xffff0000, v120
	v_dual_add_f32 v6, v6, v7 :: v_dual_and_b32 v69, 0xffff0000, v69
	s_delay_alu instid0(VALU_DEP_2) | instskip(SKIP_4) | instid1(VALU_DEP_3)
	v_add_f32_e32 v63, v72, v63
	scratch_load_b32 v72, off, s32 offset:344 ; 4-byte Folded Reload
	v_and_b32_e32 v67, 0xffff0000, v67
	v_add_f32_e32 v7, v61, v63
	v_and_b32_e32 v61, 0xffff0000, v94
	v_dual_add_f32 v67, v67, v68 :: v_dual_and_b32 v68, 0xffff0000, v70
	s_delay_alu instid0(VALU_DEP_1)
	v_add_f32_e32 v68, v69, v68
	scratch_load_b32 v69, off, s32 offset:352 ; 4-byte Folded Reload
	s_waitcnt vmcnt(1)
	v_add_f32_e32 v72, v72, v20
	scratch_load_b32 v20, off, s32 offset:348 ; 4-byte Folded Reload
	s_waitcnt vmcnt(0)
	v_add_f32_e32 v20, v20, v59
	scratch_store_b32 off, v72, s32 offset:344 ; 4-byte Folded Spill
	v_and_b32_e32 v59, 0xffff0000, v93
	scratch_store_b32 off, v20, s32 offset:348 ; 4-byte Folded Spill
	v_add_f32_e32 v20, v60, v62
	v_and_b32_e32 v60, 0xffff0000, v92
	s_delay_alu instid0(VALU_DEP_2) | instskip(NEXT) | instid1(VALU_DEP_2)
	v_add_f32_e32 v69, v69, v20
	v_add_f32_e32 v59, v60, v59
	v_and_b32_e32 v60, 0xffff0000, v95
	scratch_load_b32 v20, off, s32 offset:356 ; 4-byte Folded Reload
	v_dual_add_f32 v60, v61, v60 :: v_dual_and_b32 v61, 0xffff0000, v122
	s_delay_alu instid0(VALU_DEP_1) | instskip(SKIP_1) | instid1(VALU_DEP_2)
	v_dual_add_f32 v59, v59, v60 :: v_dual_and_b32 v62, 0xffff0000, v123
	v_and_b32_e32 v60, 0xffff0000, v106
	v_add_f32_e32 v61, v61, v62
	s_waitcnt vmcnt(0)
	v_add_f32_e32 v20, v20, v6
	s_delay_alu instid0(VALU_DEP_2)
	v_add_f32_e32 v6, v7, v61
	scratch_store_b32 off, v69, s32 offset:352 ; 4-byte Folded Spill
	v_add_f32_e32 v36, v36, v6
	scratch_store_b32 off, v20, s32 offset:356 ; 4-byte Folded Spill
	v_dual_add_f32 v20, v67, v68 :: v_dual_and_b32 v67, 0xffff0000, v89
	v_and_b32_e32 v68, 0xffff0000, v71
	s_delay_alu instid0(VALU_DEP_1) | instskip(NEXT) | instid1(VALU_DEP_1)
	v_add_f32_e32 v67, v68, v67
	v_add_f32_e32 v20, v20, v67
	v_and_b32_e32 v62, 0xffff0000, v104
	scratch_load_b32 v67, off, s32 offset:440 ; 4-byte Folded Reload
	v_add_f32_e32 v60, v62, v60
	s_delay_alu instid0(VALU_DEP_1) | instskip(NEXT) | instid1(VALU_DEP_1)
	v_add_f32_e32 v7, v59, v60
	v_dual_add_f32 v6, v7, v53 :: v_dual_add_f32 v7, v20, v54
	s_delay_alu instid0(VALU_DEP_1)
	v_add_f32_e32 v28, v28, v6
	scratch_load_b32 v6, off, s32 offset:368 ; 4-byte Folded Reload
	scratch_store_b32 off, v36, s32 offset:360 ; 4-byte Folded Spill
	s_waitcnt vmcnt(0)
	v_add_f32_e32 v6, v6, v7
	scratch_store_b32 off, v28, s32 offset:364 ; 4-byte Folded Spill
	v_add_f32_e32 v7, v25, v27
	v_dual_add_f32 v20, v51, v52 :: v_dual_and_b32 v25, 0xffff0000, v30
	v_and_b32_e32 v27, 0xffff0000, v43
	scratch_store_b32 off, v6, s32 offset:368 ; 4-byte Folded Spill
	scratch_load_b32 v6, off, s32 offset:372 ; 4-byte Folded Reload
	v_and_b32_e32 v30, 0xffff0000, v164
	v_and_b32_e32 v28, 0xffff0000, v45
	s_waitcnt vmcnt(0)
	v_add_f32_e32 v6, v6, v20
	v_and_b32_e32 v20, 0xffff0000, v31
	scratch_store_b32 off, v6, s32 offset:372 ; 4-byte Folded Spill
	v_add_f32_e32 v20, v25, v20
	v_and_b32_e32 v25, 0xffff0000, v44
	s_delay_alu instid0(VALU_DEP_1) | instskip(SKIP_1) | instid1(VALU_DEP_4)
	v_add_f32_e32 v25, v27, v25
	v_and_b32_e32 v27, 0xffff0000, v46
	v_add_f32_e32 v7, v7, v20
	s_delay_alu instid0(VALU_DEP_2) | instskip(NEXT) | instid1(VALU_DEP_1)
	v_add_f32_e32 v27, v28, v27
	v_add_f32_e32 v20, v25, v27
	v_and_b32_e32 v25, 0xffff0000, v47
	s_delay_alu instid0(VALU_DEP_1) | instskip(NEXT) | instid1(VALU_DEP_1)
	v_dual_add_f32 v17, v25, v17 :: v_dual_and_b32 v36, 0xffff0000, v38
	v_add_f32_e32 v35, v36, v35
	v_and_b32_e32 v25, 0xffff0000, v32
	scratch_load_b32 v32, off, s32 offset:468 ; 4-byte Folded Reload
	v_dual_add_f32 v17, v20, v17 :: v_dual_add_f32 v6, v34, v35
	v_and_b32_e32 v27, 0xffff0000, v33
	s_clause 0x1
	scratch_load_b32 v33, off, s32 offset:472
	scratch_load_b32 v34, off, s32 offset:476
	v_add_f32_e32 v17, v17, v18
	v_add_f32_e32 v25, v25, v27
	v_and_b32_e32 v20, 0xffff0000, v179
	v_and_b32_e32 v27, 0xffff0000, v178
	s_delay_alu instid0(VALU_DEP_3) | instskip(NEXT) | instid1(VALU_DEP_2)
	v_add_f32_e32 v7, v7, v25
	v_dual_add_f32 v20, v27, v20 :: v_dual_and_b32 v25, 0xffff0000, v166
	v_and_b32_e32 v28, 0xffff0000, v48
	v_and_b32_e32 v27, 0xffff0000, v181
	s_delay_alu instid0(VALU_DEP_2) | instskip(NEXT) | instid1(VALU_DEP_1)
	v_dual_add_f32 v28, v28, v29 :: v_dual_and_b32 v29, 0xffff0000, v180
	v_dual_add_f32 v6, v6, v28 :: v_dual_add_f32 v27, v29, v27
	v_and_b32_e32 v29, 0xffff0000, v162
	s_delay_alu instid0(VALU_DEP_2) | instskip(SKIP_1) | instid1(VALU_DEP_1)
	v_dual_add_f32 v19, v20, v27 :: v_dual_and_b32 v20, 0xffff0000, v40
	v_and_b32_e32 v27, 0xffff0000, v182
	v_add_f32_e32 v20, v27, v20
	s_delay_alu instid0(VALU_DEP_1) | instskip(NEXT) | instid1(VALU_DEP_1)
	v_dual_add_f32 v18, v19, v20 :: v_dual_and_b32 v27, 0xffff0000, v163
	v_add_f32_e32 v27, v29, v27
	v_and_b32_e32 v29, 0xffff0000, v165
	s_delay_alu instid0(VALU_DEP_1) | instskip(NEXT) | instid1(VALU_DEP_1)
	v_add_f32_e32 v29, v30, v29
	v_add_f32_e32 v19, v27, v29
	v_and_b32_e32 v27, 0xffff0000, v42
	v_and_b32_e32 v20, 0xffff0000, v176
	s_delay_alu instid0(VALU_DEP_1) | instskip(SKIP_1) | instid1(VALU_DEP_2)
	v_dual_add_f32 v20, v25, v20 :: v_dual_and_b32 v29, 0xffff0000, v177
	v_and_b32_e32 v25, 0xffff0000, v41
	v_dual_add_f32 v19, v19, v20 :: v_dual_and_b32 v20, 0xffff0000, v149
	s_delay_alu instid0(VALU_DEP_2) | instskip(SKIP_1) | instid1(VALU_DEP_1)
	v_add_f32_e32 v25, v25, v27
	v_and_b32_e32 v27, 0xffff0000, v148
	v_dual_add_f32 v20, v27, v20 :: v_dual_and_b32 v27, 0xffff0000, v151
	v_and_b32_e32 v28, 0xffff0000, v150
	s_delay_alu instid0(VALU_DEP_1) | instskip(SKIP_1) | instid1(VALU_DEP_1)
	v_add_f32_e32 v27, v28, v27
	v_and_b32_e32 v28, 0xffff0000, v167
	v_add_f32_e32 v28, v28, v29
	scratch_load_b32 v29, off, s32 offset:376 ; 4-byte Folded Reload
	s_waitcnt vmcnt(0)
	v_add_f32_e32 v29, v29, v6
	scratch_load_b32 v6, off, s32 offset:380 ; 4-byte Folded Reload
	s_waitcnt vmcnt(0)
	v_add_f32_e32 v6, v6, v7
	s_clause 0x1
	scratch_store_b32 off, v29, s32 offset:376
	scratch_store_b32 off, v6, s32 offset:380
	v_add_f32_e32 v6, v18, v25
	v_dual_add_f32 v7, v20, v27 :: v_dual_and_b32 v18, 0xffff0000, v160
	v_and_b32_e32 v20, 0xffff0000, v117
	scratch_load_b32 v25, off, s32 offset:464 ; 4-byte Folded Reload
	v_add_f32_e32 v13, v13, v18
	s_delay_alu instid0(VALU_DEP_1) | instskip(NEXT) | instid1(VALU_DEP_1)
	v_dual_add_f32 v7, v7, v13 :: v_dual_and_b32 v18, 0xffff0000, v118
	v_dual_add_f32 v18, v20, v18 :: v_dual_and_b32 v13, 0xffff0000, v16
	v_and_b32_e32 v16, 0xffff0000, v161
	s_delay_alu instid0(VALU_DEP_1) | instskip(NEXT) | instid1(VALU_DEP_1)
	v_dual_add_f32 v13, v13, v16 :: v_dual_and_b32 v20, 0xffff0000, v22
	v_add_f32_e32 v8, v8, v20
	s_delay_alu instid0(VALU_DEP_1)
	v_add_f32_e32 v8, v18, v8
	v_and_b32_e32 v16, 0xffff0000, v146
	scratch_load_b32 v18, off, s32 offset:444 ; 4-byte Folded Reload
	v_add_f32_e32 v9, v9, v16
	scratch_load_b32 v16, off, s32 offset:384 ; 4-byte Folded Reload
	s_waitcnt vmcnt(0)
	v_add_f32_e32 v16, v16, v17
	scratch_load_b32 v17, off, s32 offset:388 ; 4-byte Folded Reload
	scratch_store_b32 off, v16, s32 offset:384 ; 4-byte Folded Spill
	v_add_f32_e32 v16, v19, v28
	scratch_load_b32 v19, off, s32 offset:456 ; 4-byte Folded Reload
	v_add_f32_e32 v18, v18, v16
	scratch_load_b32 v16, off, s32 offset:448 ; 4-byte Folded Reload
	s_waitcnt vmcnt(2)
	v_dual_add_f32 v17, v17, v6 :: v_dual_add_f32 v6, v7, v13
	v_add_f32_e32 v7, v8, v9
	v_and_b32_e32 v9, 0xffff0000, v21
	v_and_b32_e32 v13, 0xffff0000, v14
	;; [unrolled: 1-line block ×3, first 2 shown]
	s_waitcnt vmcnt(0)
	v_add_f32_e32 v16, v16, v6
	s_delay_alu instid0(VALU_DEP_2) | instskip(SKIP_1) | instid1(VALU_DEP_2)
	v_dual_add_f32 v8, v9, v8 :: v_dual_and_b32 v9, 0xffff0000, v15
	v_and_b32_e32 v15, 0xffff0000, v87
	v_add_f32_e32 v9, v13, v9
	v_and_b32_e32 v13, 0xffff0000, v24
	scratch_load_b32 v24, off, s32 offset:452 ; 4-byte Folded Reload
	v_dual_add_f32 v8, v8, v9 :: v_dual_and_b32 v9, 0xffff0000, v11
	v_and_b32_e32 v14, 0xffff0000, v147
	v_and_b32_e32 v11, 0xffff0000, v131
	s_delay_alu instid0(VALU_DEP_3) | instskip(NEXT) | instid1(VALU_DEP_3)
	v_add_f32_e32 v9, v10, v9
	v_dual_add_f32 v13, v13, v14 :: v_dual_and_b32 v14, 0xffff0000, v133
	s_delay_alu instid0(VALU_DEP_2) | instskip(SKIP_1) | instid1(VALU_DEP_3)
	v_dual_add_f32 v8, v8, v9 :: v_dual_and_b32 v9, 0xffff0000, v119
	v_and_b32_e32 v10, 0xffff0000, v132
	v_dual_add_f32 v6, v7, v13 :: v_dual_and_b32 v13, 0xffff0000, v103
	s_delay_alu instid0(VALU_DEP_2) | instskip(SKIP_1) | instid1(VALU_DEP_1)
	v_add_f32_e32 v10, v11, v10
	v_and_b32_e32 v11, 0xffff0000, v134
	v_dual_add_f32 v11, v14, v11 :: v_dual_and_b32 v14, 0xffff0000, v116
	s_delay_alu instid0(VALU_DEP_1) | instskip(SKIP_1) | instid1(VALU_DEP_2)
	v_dual_add_f32 v10, v10, v11 :: v_dual_add_f32 v9, v9, v14
	v_and_b32_e32 v11, 0xffff0000, v144
	v_dual_add_f32 v7, v8, v9 :: v_dual_and_b32 v14, 0xffff0000, v135
	v_and_b32_e32 v9, 0xffff0000, v145
	s_delay_alu instid0(VALU_DEP_2) | instskip(NEXT) | instid1(VALU_DEP_1)
	v_dual_add_f32 v11, v14, v11 :: v_dual_and_b32 v14, 0xffff0000, v85
	v_add_f32_e32 v8, v10, v11
	v_and_b32_e32 v10, 0xffff0000, v39
	v_and_b32_e32 v11, 0xffff0000, v101
	s_delay_alu instid0(VALU_DEP_2) | instskip(SKIP_1) | instid1(VALU_DEP_2)
	v_add_f32_e32 v9, v9, v10
	v_and_b32_e32 v10, 0xffff0000, v102
	v_add_f32_e32 v8, v8, v9
	s_delay_alu instid0(VALU_DEP_2) | instskip(NEXT) | instid1(VALU_DEP_1)
	v_dual_add_f32 v10, v11, v10 :: v_dual_and_b32 v11, 0xffff0000, v112
	v_add_f32_e32 v11, v13, v11
	v_and_b32_e32 v13, 0xffff0000, v86
	s_delay_alu instid0(VALU_DEP_1) | instskip(NEXT) | instid1(VALU_DEP_3)
	v_dual_add_f32 v13, v14, v13 :: v_dual_and_b32 v14, 0xffff0000, v96
	v_dual_add_f32 v10, v10, v11 :: v_dual_and_b32 v11, 0xffff0000, v128
	s_delay_alu instid0(VALU_DEP_2) | instskip(NEXT) | instid1(VALU_DEP_1)
	v_dual_add_f32 v14, v15, v14 :: v_dual_and_b32 v15, 0xffff0000, v113
	v_dual_add_f32 v13, v13, v14 :: v_dual_and_b32 v14, 0xffff0000, v99
	s_delay_alu instid0(VALU_DEP_2) | instskip(SKIP_1) | instid1(VALU_DEP_2)
	v_add_f32_e32 v11, v15, v11
	v_and_b32_e32 v15, 0xffff0000, v97
	v_dual_add_f32 v9, v10, v11 :: v_dual_and_b32 v10, 0xffff0000, v129
	s_delay_alu instid0(VALU_DEP_2) | instskip(SKIP_1) | instid1(VALU_DEP_1)
	v_add_f32_e32 v14, v15, v14
	v_and_b32_e32 v11, 0xffff0000, v130
	v_dual_add_f32 v10, v10, v11 :: v_dual_add_f32 v11, v13, v14
	v_and_b32_e32 v13, 0xffff0000, v191
	scratch_load_b32 v14, off, s32 offset:616 ; 4-byte Folded Reload
	v_add_f32_e32 v12, v13, v12
	v_and_b32_e32 v13, 0xffff0000, v100
	s_delay_alu instid0(VALU_DEP_1)
	v_dual_add_f32 v4, v12, v4 :: v_dual_add_f32 v5, v5, v13
	s_clause 0x1
	scratch_load_b32 v12, off, s32 offset:808
	scratch_load_b32 v13, off, s32 offset:700
	v_add_f32_e32 v5, v11, v5
	scratch_load_b32 v11, off, s32 offset:736 ; 4-byte Folded Reload
	s_waitcnt vmcnt(4)
	v_add_f32_e32 v24, v24, v6
	scratch_load_b32 v6, off, s32 offset:424 ; 4-byte Folded Reload
	s_waitcnt vmcnt(4)
	v_and_b32_e32 v14, 0xffff0000, v14
	s_waitcnt vmcnt(3)
	v_and_b32_e32 v12, 0xffff0000, v12
	;; [unrolled: 2-line block ×4, first 2 shown]
	s_waitcnt vmcnt(0)
	v_dual_add_f32 v6, v6, v7 :: v_dual_and_b32 v7, 0xffff0000, v81
	scratch_store_b32 off, v6, s32 offset:424 ; 4-byte Folded Spill
	v_dual_add_f32 v6, v9, v10 :: v_dual_and_b32 v9, 0xffff0000, v80
	scratch_load_b32 v10, off, s32 offset:800 ; 4-byte Folded Reload
	v_add_f32_e32 v7, v9, v7
	scratch_load_b32 v9, off, s32 offset:804 ; 4-byte Folded Reload
	v_add_f32_e32 v4, v4, v7
	v_and_b32_e32 v7, 0xffff0000, v83
	s_waitcnt vmcnt(1)
	v_and_b32_e32 v10, 0xffff0000, v10
	s_waitcnt vmcnt(0)
	v_and_b32_e32 v9, 0xffff0000, v9
	s_delay_alu instid0(VALU_DEP_1) | instskip(SKIP_3) | instid1(VALU_DEP_1)
	v_add_f32_e32 v9, v10, v9
	scratch_load_b32 v10, off, s32 offset:812 ; 4-byte Folded Reload
	s_waitcnt vmcnt(0)
	v_and_b32_e32 v10, 0xffff0000, v10
	v_add_f32_e32 v10, v12, v10
	s_delay_alu instid0(VALU_DEP_1) | instskip(NEXT) | instid1(VALU_DEP_1)
	v_dual_add_f32 v9, v9, v10 :: v_dual_and_b32 v12, 0xffff0000, v84
	v_dual_add_f32 v7, v7, v12 :: v_dual_and_b32 v10, 0xffff0000, v189
	v_and_b32_e32 v12, 0xffff0000, v187
	s_delay_alu instid0(VALU_DEP_2)
	v_add_f32_e32 v4, v4, v7
	scratch_load_b32 v7, off, s32 offset:772 ; 4-byte Folded Reload
	v_add_f32_e32 v10, v12, v10
	scratch_load_b32 v12, off, s32 offset:392 ; 4-byte Folded Reload
	s_waitcnt vmcnt(0)
	v_dual_add_f32 v12, v12, v8 :: v_dual_and_b32 v7, 0xffff0000, v7
	scratch_load_b32 v8, off, s32 offset:396 ; 4-byte Folded Reload
	s_clause 0x1
	scratch_store_b32 off, v17, s32 offset:388
	scratch_store_b32 off, v12, s32 offset:392
	scratch_load_b32 v12, off, s32 offset:744 ; 4-byte Folded Reload
	s_waitcnt vmcnt(1)
	v_add_f32_e32 v8, v8, v6
	v_add_f32_e32 v6, v9, v10
	scratch_load_b32 v9, off, s32 offset:776 ; 4-byte Folded Reload
	scratch_store_b32 off, v8, s32 offset:396 ; 4-byte Folded Spill
	scratch_load_b32 v8, off, s32 offset:768 ; 4-byte Folded Reload
	s_waitcnt vmcnt(2)
	v_and_b32_e32 v12, 0xffff0000, v12
	s_waitcnt vmcnt(1)
	v_and_b32_e32 v9, 0xffff0000, v9
	;; [unrolled: 2-line block ×3, first 2 shown]
	s_delay_alu instid0(VALU_DEP_1) | instskip(SKIP_3) | instid1(VALU_DEP_1)
	v_add_f32_e32 v7, v8, v7
	scratch_load_b32 v8, off, s32 offset:780 ; 4-byte Folded Reload
	s_waitcnt vmcnt(0)
	v_and_b32_e32 v8, 0xffff0000, v8
	v_add_f32_e32 v8, v9, v8
	v_and_b32_e32 v9, 0xffff0000, v188
	s_delay_alu instid0(VALU_DEP_2)
	v_dual_add_f32 v7, v7, v8 :: v_dual_and_b32 v10, 0xffff0000, v190
	scratch_load_b32 v8, off, s32 offset:788 ; 4-byte Folded Reload
	v_add_f32_e32 v9, v9, v10
	scratch_load_b32 v10, off, s32 offset:784 ; 4-byte Folded Reload
	s_waitcnt vmcnt(1)
	v_and_b32_e32 v8, 0xffff0000, v8
	s_waitcnt vmcnt(0)
	v_and_b32_e32 v10, 0xffff0000, v10
	s_delay_alu instid0(VALU_DEP_1)
	v_add_f32_e32 v8, v10, v8
	scratch_load_b32 v10, off, s32 offset:740 ; 4-byte Folded Reload
	v_add_f32_e32 v7, v7, v8
	scratch_load_b32 v8, off, s32 offset:792 ; 4-byte Folded Reload
	s_waitcnt vmcnt(1)
	v_and_b32_e32 v10, 0xffff0000, v10
	s_delay_alu instid0(VALU_DEP_1)
	v_add_f32_e32 v10, v11, v10
	scratch_load_b32 v11, off, s32 offset:748 ; 4-byte Folded Reload
	s_waitcnt vmcnt(1)
	v_and_b32_e32 v8, 0xffff0000, v8
	s_waitcnt vmcnt(0)
	v_and_b32_e32 v11, 0xffff0000, v11
	s_delay_alu instid0(VALU_DEP_1)
	v_add_f32_e32 v11, v12, v11
	scratch_load_b32 v12, off, s32 offset:796 ; 4-byte Folded Reload
	v_add_f32_e32 v10, v10, v11
	scratch_load_b32 v11, off, s32 offset:756 ; 4-byte Folded Reload
	s_waitcnt vmcnt(1)
	v_and_b32_e32 v12, 0xffff0000, v12
	s_delay_alu instid0(VALU_DEP_1)
	v_add_f32_e32 v8, v8, v12
	scratch_load_b32 v12, off, s32 offset:752 ; 4-byte Folded Reload
	s_waitcnt vmcnt(1)
	v_and_b32_e32 v11, 0xffff0000, v11
	s_waitcnt vmcnt(0)
	v_and_b32_e32 v12, 0xffff0000, v12
	s_delay_alu instid0(VALU_DEP_1)
	v_add_f32_e32 v11, v12, v11
	scratch_load_b32 v12, off, s32 offset:400 ; 4-byte Folded Reload
	s_waitcnt vmcnt(0)
	v_add_f32_e32 v12, v12, v5
	scratch_load_b32 v5, off, s32 offset:404 ; 4-byte Folded Reload
	scratch_store_b32 off, v12, s32 offset:400 ; 4-byte Folded Spill
	scratch_load_b32 v12, off, s32 offset:680 ; 4-byte Folded Reload
	s_waitcnt vmcnt(1)
	v_dual_add_f32 v5, v5, v4 :: v_dual_add_f32 v4, v6, v9
	scratch_store_b32 off, v5, s32 offset:404 ; 4-byte Folded Spill
	v_add_f32_e32 v5, v7, v8
	s_clause 0x1
	scratch_load_b32 v7, off, s32 offset:760
	scratch_load_b32 v8, off, s32 offset:764
	s_waitcnt vmcnt(2)
	v_dual_add_f32 v19, v19, v5 :: v_dual_and_b32 v12, 0xffff0000, v12
	scratch_load_b32 v5, off, s32 offset:412 ; 4-byte Folded Reload
	s_waitcnt vmcnt(2)
	v_and_b32_e32 v7, 0xffff0000, v7
	s_waitcnt vmcnt(1)
	v_and_b32_e32 v8, 0xffff0000, v8
	v_add_f32_e32 v6, v10, v11
	s_clause 0x1
	scratch_load_b32 v10, off, s32 offset:712
	scratch_load_b32 v9, off, s32 offset:704
	v_add_f32_e32 v7, v7, v8
	scratch_load_b32 v8, off, s32 offset:708 ; 4-byte Folded Reload
	v_add_f32_e32 v6, v6, v7
	s_waitcnt vmcnt(3)
	s_delay_alu instid0(VALU_DEP_1)
	v_add_f32_e32 v5, v5, v6
	scratch_store_b32 off, v5, s32 offset:412 ; 4-byte Folded Spill
	s_waitcnt vmcnt(2)
	v_and_b32_e32 v10, 0xffff0000, v10
	s_waitcnt vmcnt(1)
	v_and_b32_e32 v9, 0xffff0000, v9
	;; [unrolled: 2-line block ×3, first 2 shown]
	s_delay_alu instid0(VALU_DEP_1) | instskip(SKIP_3) | instid1(VALU_DEP_1)
	v_add_f32_e32 v8, v9, v8
	scratch_load_b32 v9, off, s32 offset:716 ; 4-byte Folded Reload
	s_waitcnt vmcnt(0)
	v_and_b32_e32 v9, 0xffff0000, v9
	v_add_f32_e32 v9, v10, v9
	scratch_load_b32 v10, off, s32 offset:676 ; 4-byte Folded Reload
	v_add_f32_e32 v8, v8, v9
	s_clause 0x1
	scratch_load_b32 v9, off, s32 offset:724
	scratch_load_b32 v11, off, s32 offset:672
	s_waitcnt vmcnt(2)
	v_and_b32_e32 v10, 0xffff0000, v10
	s_waitcnt vmcnt(1)
	v_and_b32_e32 v9, 0xffff0000, v9
	;; [unrolled: 2-line block ×3, first 2 shown]
	s_delay_alu instid0(VALU_DEP_1) | instskip(SKIP_3) | instid1(VALU_DEP_1)
	v_add_f32_e32 v10, v11, v10
	scratch_load_b32 v11, off, s32 offset:684 ; 4-byte Folded Reload
	s_waitcnt vmcnt(0)
	v_and_b32_e32 v11, 0xffff0000, v11
	v_add_f32_e32 v11, v12, v11
	scratch_load_b32 v12, off, s32 offset:720 ; 4-byte Folded Reload
	v_add_f32_e32 v10, v10, v11
	scratch_load_b32 v11, off, s32 offset:696 ; 4-byte Folded Reload
	s_waitcnt vmcnt(1)
	v_and_b32_e32 v12, 0xffff0000, v12
	s_delay_alu instid0(VALU_DEP_1)
	v_add_f32_e32 v9, v12, v9
	scratch_load_b32 v12, off, s32 offset:688 ; 4-byte Folded Reload
	s_waitcnt vmcnt(1)
	v_and_b32_e32 v11, 0xffff0000, v11
	v_add_f32_e32 v7, v8, v9
	s_clause 0x1
	scratch_load_b32 v8, off, s32 offset:728
	scratch_load_b32 v9, off, s32 offset:732
	s_waitcnt vmcnt(2)
	v_and_b32_e32 v12, 0xffff0000, v12
	s_waitcnt vmcnt(1)
	s_delay_alu instid0(VALU_DEP_1)
	v_dual_add_f32 v11, v12, v11 :: v_dual_and_b32 v8, 0xffff0000, v8
	s_waitcnt vmcnt(0)
	v_and_b32_e32 v9, 0xffff0000, v9
	scratch_load_b32 v12, off, s32 offset:648 ; 4-byte Folded Reload
	v_dual_add_f32 v8, v8, v9 :: v_dual_add_f32 v9, v10, v11
	s_clause 0x1
	scratch_load_b32 v10, off, s32 offset:644
	scratch_load_b32 v11, off, s32 offset:640
	v_add_f32_e32 v5, v7, v8
	s_clause 0x1
	scratch_load_b32 v8, off, s32 offset:624
	scratch_load_b32 v7, off, s32 offset:628
	s_waitcnt vmcnt(4)
	v_and_b32_e32 v12, 0xffff0000, v12
	s_waitcnt vmcnt(3)
	v_and_b32_e32 v10, 0xffff0000, v10
	;; [unrolled: 2-line block ×3, first 2 shown]
	s_waitcnt vmcnt(0)
	s_delay_alu instid0(VALU_DEP_1) | instskip(SKIP_3) | instid1(VALU_DEP_1)
	v_dual_add_f32 v10, v11, v10 :: v_dual_and_b32 v7, 0xffff0000, v7
	scratch_load_b32 v11, off, s32 offset:652 ; 4-byte Folded Reload
	s_waitcnt vmcnt(0)
	v_and_b32_e32 v11, 0xffff0000, v11
	v_add_f32_e32 v11, v12, v11
	scratch_load_b32 v12, off, s32 offset:692 ; 4-byte Folded Reload
	s_waitcnt vmcnt(0)
	v_and_b32_e32 v12, 0xffff0000, v12
	s_delay_alu instid0(VALU_DEP_1)
	v_add_f32_e32 v12, v12, v13
	scratch_load_b32 v13, off, s32 offset:408 ; 4-byte Folded Reload
	v_add_f32_e32 v9, v9, v12
	s_waitcnt vmcnt(0)
	v_dual_add_f32 v13, v13, v4 :: v_dual_add_f32 v4, v10, v11
	s_clause 0x1
	scratch_load_b32 v10, off, s32 offset:664
	scratch_load_b32 v11, off, s32 offset:656
	scratch_store_b32 off, v13, s32 offset:408 ; 4-byte Folded Spill
	s_waitcnt vmcnt(1)
	v_and_b32_e32 v10, 0xffff0000, v10
	s_waitcnt vmcnt(0)
	v_and_b32_e32 v11, 0xffff0000, v11
	s_delay_alu instid0(VALU_DEP_1)
	v_add_f32_e32 v10, v11, v10
	scratch_load_b32 v11, off, s32 offset:612 ; 4-byte Folded Reload
	v_add_f32_e32 v4, v4, v10
	s_clause 0x1
	scratch_load_b32 v10, off, s32 offset:668
	scratch_load_b32 v13, off, s32 offset:608
	v_and_b32_e32 v8, 0xffff0000, v8
	s_delay_alu instid0(VALU_DEP_1)
	v_add_f32_e32 v7, v8, v7
	scratch_load_b32 v8, off, s32 offset:660 ; 4-byte Folded Reload
	s_waitcnt vmcnt(3)
	v_and_b32_e32 v11, 0xffff0000, v11
	s_waitcnt vmcnt(2)
	v_and_b32_e32 v10, 0xffff0000, v10
	;; [unrolled: 2-line block ×3, first 2 shown]
	s_delay_alu instid0(VALU_DEP_1) | instskip(SKIP_3) | instid1(VALU_DEP_1)
	v_add_f32_e32 v11, v13, v11
	scratch_load_b32 v13, off, s32 offset:620 ; 4-byte Folded Reload
	s_waitcnt vmcnt(0)
	v_and_b32_e32 v13, 0xffff0000, v13
	v_add_f32_e32 v13, v14, v13
	s_delay_alu instid0(VALU_DEP_1)
	v_add_f32_e32 v6, v11, v13
	s_clause 0x1
	scratch_load_b32 v13, off, s32 offset:584
	scratch_load_b32 v11, off, s32 offset:576
	v_add_f32_e32 v6, v6, v7
	v_and_b32_e32 v8, 0xffff0000, v8
	scratch_load_b32 v7, off, s32 offset:632 ; 4-byte Folded Reload
	v_add_f32_e32 v8, v8, v10
	scratch_load_b32 v10, off, s32 offset:636 ; 4-byte Folded Reload
	v_add_f32_e32 v4, v4, v8
	scratch_load_b32 v8, off, s32 offset:596 ; 4-byte Folded Reload
	s_waitcnt vmcnt(3)
	v_and_b32_e32 v11, 0xffff0000, v11
	s_waitcnt vmcnt(2)
	v_and_b32_e32 v7, 0xffff0000, v7
	;; [unrolled: 2-line block ×3, first 2 shown]
	s_delay_alu instid0(VALU_DEP_1)
	v_add_f32_e32 v7, v7, v10
	scratch_load_b32 v10, off, s32 offset:580 ; 4-byte Folded Reload
	s_waitcnt vmcnt(1)
	v_and_b32_e32 v8, 0xffff0000, v8
	s_waitcnt vmcnt(0)
	v_and_b32_e32 v10, 0xffff0000, v10
	s_delay_alu instid0(VALU_DEP_1) | instskip(SKIP_4) | instid1(VALU_DEP_1)
	v_add_f32_e32 v10, v11, v10
	scratch_load_b32 v11, off, s32 offset:588 ; 4-byte Folded Reload
	v_and_b32_e32 v13, 0xffff0000, v13
	s_waitcnt vmcnt(0)
	v_and_b32_e32 v11, 0xffff0000, v11
	v_add_f32_e32 v11, v13, v11
	scratch_load_b32 v13, off, s32 offset:460 ; 4-byte Folded Reload
	s_waitcnt vmcnt(0)
	v_add_f32_e32 v13, v13, v5
	v_add_f32_e32 v5, v6, v7
	scratch_load_b32 v7, off, s32 offset:604 ; 4-byte Folded Reload
	v_add_f32_e32 v6, v10, v11
	s_clause 0x1
	scratch_load_b32 v11, off, s32 offset:552
	scratch_load_b32 v10, off, s32 offset:544
	s_waitcnt vmcnt(2)
	v_and_b32_e32 v7, 0xffff0000, v7
	s_waitcnt vmcnt(1)
	v_and_b32_e32 v11, 0xffff0000, v11
	s_waitcnt vmcnt(0)
	s_delay_alu instid0(VALU_DEP_2) | instskip(SKIP_3) | instid1(VALU_DEP_1)
	v_dual_add_f32 v7, v8, v7 :: v_dual_and_b32 v10, 0xffff0000, v10
	scratch_load_b32 v8, off, s32 offset:548 ; 4-byte Folded Reload
	s_waitcnt vmcnt(0)
	v_and_b32_e32 v8, 0xffff0000, v8
	v_add_f32_e32 v8, v10, v8
	scratch_load_b32 v10, off, s32 offset:560 ; 4-byte Folded Reload
	s_waitcnt vmcnt(0)
	v_and_b32_e32 v10, 0xffff0000, v10
	s_delay_alu instid0(VALU_DEP_1)
	v_add_f32_e32 v10, v11, v10
	scratch_load_b32 v11, off, s32 offset:416 ; 4-byte Folded Reload
	s_waitcnt vmcnt(0)
	v_add_f32_e32 v11, v11, v9
	scratch_load_b32 v9, off, s32 offset:428 ; 4-byte Folded Reload
	scratch_store_b32 off, v11, s32 offset:416 ; 4-byte Folded Spill
	scratch_load_b32 v11, off, s32 offset:488 ; 4-byte Folded Reload
	s_waitcnt vmcnt(1)
	v_add_f32_e32 v9, v9, v4
	scratch_load_b32 v4, off, s32 offset:432 ; 4-byte Folded Reload
	scratch_store_b32 off, v9, s32 offset:428 ; 4-byte Folded Spill
	scratch_load_b32 v9, off, s32 offset:556 ; 4-byte Folded Reload
	s_waitcnt vmcnt(1)
	v_dual_add_f32 v4, v4, v5 :: v_dual_and_b32 v11, 0xffff0000, v11
	v_add_f32_e32 v5, v8, v10
	s_clause 0x1
	scratch_load_b32 v8, off, s32 offset:520
	scratch_load_b32 v10, off, s32 offset:600
	scratch_store_b32 off, v4, s32 offset:432 ; 4-byte Folded Spill
	v_add_f32_e32 v4, v6, v7
	s_clause 0x1
	scratch_load_b32 v6, off, s32 offset:516
	scratch_load_b32 v7, off, s32 offset:512
	s_waitcnt vmcnt(3)
	v_and_b32_e32 v8, 0xffff0000, v8
	s_waitcnt vmcnt(2)
	v_and_b32_e32 v10, 0xffff0000, v10
	;; [unrolled: 2-line block ×4, first 2 shown]
	s_delay_alu instid0(VALU_DEP_1) | instskip(SKIP_3) | instid1(VALU_DEP_1)
	v_add_f32_e32 v6, v7, v6
	scratch_load_b32 v7, off, s32 offset:524 ; 4-byte Folded Reload
	s_waitcnt vmcnt(0)
	v_and_b32_e32 v7, 0xffff0000, v7
	v_add_f32_e32 v7, v8, v7
	scratch_load_b32 v8, off, s32 offset:564 ; 4-byte Folded Reload
	v_dual_add_f32 v6, v6, v7 :: v_dual_and_b32 v9, 0xffff0000, v9
	scratch_load_b32 v7, off, s32 offset:540 ; 4-byte Folded Reload
	s_waitcnt vmcnt(1)
	v_and_b32_e32 v8, 0xffff0000, v8
	s_delay_alu instid0(VALU_DEP_1)
	v_add_f32_e32 v8, v9, v8
	scratch_load_b32 v9, off, s32 offset:592 ; 4-byte Folded Reload
	v_add_f32_e32 v5, v5, v8
	scratch_load_b32 v8, off, s32 offset:568 ; 4-byte Folded Reload
	s_waitcnt vmcnt(1)
	v_and_b32_e32 v9, 0xffff0000, v9
	s_delay_alu instid0(VALU_DEP_1) | instskip(SKIP_4) | instid1(VALU_DEP_1)
	v_add_f32_e32 v9, v9, v10
	scratch_load_b32 v10, off, s32 offset:532 ; 4-byte Folded Reload
	v_and_b32_e32 v7, 0xffff0000, v7
	s_waitcnt vmcnt(0)
	v_and_b32_e32 v10, 0xffff0000, v10
	v_add_f32_e32 v7, v10, v7
	scratch_load_b32 v10, off, s32 offset:572 ; 4-byte Folded Reload
	v_add_f32_e32 v6, v6, v7
	scratch_load_b32 v7, off, s32 offset:484 ; 4-byte Folded Reload
	v_and_b32_e32 v8, 0xffff0000, v8
	s_waitcnt vmcnt(1)
	v_and_b32_e32 v10, 0xffff0000, v10
	s_delay_alu instid0(VALU_DEP_1)
	v_add_f32_e32 v8, v8, v10
	scratch_load_b32 v10, off, s32 offset:480 ; 4-byte Folded Reload
	s_waitcnt vmcnt(1)
	v_and_b32_e32 v7, 0xffff0000, v7
	s_waitcnt vmcnt(0)
	v_and_b32_e32 v10, 0xffff0000, v10
	s_delay_alu instid0(VALU_DEP_1) | instskip(SKIP_3) | instid1(VALU_DEP_1)
	v_add_f32_e32 v7, v10, v7
	scratch_load_b32 v10, off, s32 offset:492 ; 4-byte Folded Reload
	s_waitcnt vmcnt(0)
	v_and_b32_e32 v10, 0xffff0000, v10
	v_dual_add_f32 v10, v11, v10 :: v_dual_and_b32 v11, 0xffff0000, v183
	s_delay_alu instid0(VALU_DEP_1) | instskip(SKIP_3) | instid1(VALU_DEP_1)
	v_dual_add_f32 v7, v7, v10 :: v_dual_add_f32 v0, v0, v11
	v_and_b32_e32 v11, 0xffff0000, v56
	scratch_load_b32 v10, off, s32 offset:500 ; 4-byte Folded Reload
	v_add_f32_e32 v1, v1, v11
	v_add_f32_e32 v0, v0, v1
	v_and_b32_e32 v1, 0xffff0000, v57
	s_delay_alu instid0(VALU_DEP_1)
	v_add_f32_e32 v1, v2, v1
	s_clause 0x1
	scratch_load_b32 v2, off, s32 offset:528
	scratch_load_b32 v11, off, s32 offset:496
	v_add_f32_e32 v0, v0, v1
	s_waitcnt vmcnt(2)
	v_and_b32_e32 v10, 0xffff0000, v10
	s_waitcnt vmcnt(1)
	v_and_b32_e32 v2, 0xffff0000, v2
	;; [unrolled: 2-line block ×3, first 2 shown]
	s_delay_alu instid0(VALU_DEP_1)
	v_add_f32_e32 v10, v11, v10
	scratch_load_b32 v11, off, s32 offset:536 ; 4-byte Folded Reload
	v_add_f32_e32 v7, v7, v10
	scratch_load_b32 v10, off, s32 offset:504 ; 4-byte Folded Reload
	s_waitcnt vmcnt(1)
	v_and_b32_e32 v11, 0xffff0000, v11
	s_delay_alu instid0(VALU_DEP_1) | instskip(SKIP_4) | instid1(VALU_DEP_1)
	v_add_f32_e32 v2, v2, v11
	scratch_load_b32 v11, off, s32 offset:508 ; 4-byte Folded Reload
	s_waitcnt vmcnt(1)
	v_and_b32_e32 v10, 0xffff0000, v10
	v_add_f32_e32 v2, v6, v2
	v_add_f32_e32 v33, v33, v2
	s_waitcnt vmcnt(0)
	v_and_b32_e32 v11, 0xffff0000, v11
	s_delay_alu instid0(VALU_DEP_1) | instskip(NEXT) | instid1(VALU_DEP_1)
	v_dual_add_f32 v10, v10, v11 :: v_dual_and_b32 v11, 0xffff0000, v58
	v_add_f32_e32 v1, v3, v11
	v_dual_add_f32 v3, v4, v9 :: v_dual_add_f32 v4, v5, v8
	s_delay_alu instid0(VALU_DEP_2) | instskip(NEXT) | instid1(VALU_DEP_2)
	v_dual_add_f32 v5, v7, v10 :: v_dual_add_f32 v0, v0, v1
	v_dual_add_f32 v25, v25, v3 :: v_dual_add_f32 v32, v32, v4
	s_delay_alu instid0(VALU_DEP_2)
	v_dual_add_f32 v34, v34, v5 :: v_dual_add_f32 v67, v67, v0
.LBB191_37:                             ;   in Loop: Header=BB191_38 Depth=1
	s_or_b32 exec_lo, exec_lo, s11
	scratch_load_b32 v0, off, s32 offset:332 ; 4-byte Folded Reload
	v_add_nc_u32_e32 v23, 4, v23
	s_waitcnt vmcnt(0)
	s_delay_alu instid0(VALU_DEP_1) | instskip(SKIP_1) | instid1(SALU_CYCLE_1)
	v_cmp_ge_i32_e32 vcc_lo, v23, v0
	s_or_b32 s8, vcc_lo, s8
	s_and_not1_b32 exec_lo, exec_lo, s8
	s_cbranch_execz .LBB191_1159
.LBB191_38:                             ; =>This Inner Loop Header: Depth=1
	s_clause 0x1
	scratch_load_b32 v2, off, s32 offset:336
	scratch_load_b32 v5, off, s32 offset:328
	v_lshlrev_b32_e32 v0, 5, v23
	s_delay_alu instid0(VALU_DEP_1) | instskip(NEXT) | instid1(VALU_DEP_1)
	v_sub_nc_u32_e32 v1, 0, v0
	v_max_i32_e32 v1, v0, v1
	s_waitcnt vmcnt(1)
	s_delay_alu instid0(VALU_DEP_1) | instskip(NEXT) | instid1(VALU_DEP_1)
	v_mul_hi_u32 v2, v1, v2
	v_mul_lo_u32 v3, v2, v115
	s_delay_alu instid0(VALU_DEP_1) | instskip(SKIP_1) | instid1(VALU_DEP_2)
	v_sub_nc_u32_e32 v1, v1, v3
	v_add_nc_u32_e32 v3, 1, v2
	v_sub_nc_u32_e32 v4, v1, v115
	v_cmp_ge_u32_e32 vcc_lo, v1, v115
	s_delay_alu instid0(VALU_DEP_2) | instskip(SKIP_1) | instid1(VALU_DEP_2)
	v_dual_cndmask_b32 v1, v1, v4 :: v_dual_cndmask_b32 v2, v2, v3
	v_bfe_i32 v3, v23, 26, 1
	v_cmp_ge_u32_e32 vcc_lo, v1, v115
	s_delay_alu instid0(VALU_DEP_3) | instskip(SKIP_1) | instid1(VALU_DEP_3)
	v_add_nc_u32_e32 v4, 1, v2
	s_waitcnt vmcnt(0)
	v_xor_b32_e32 v3, v3, v5
	s_delay_alu instid0(VALU_DEP_2) | instskip(SKIP_2) | instid1(VALU_DEP_1)
	v_cndmask_b32_e32 v1, v2, v4, vcc_lo
	scratch_load_b32 v4, off, s32 offset:436 ; 4-byte Folded Reload
	v_xor_b32_e32 v1, v1, v3
	v_sub_nc_u32_e32 v1, v1, v3
	scratch_load_b64 v[2:3], off, s32 offset:320 ; 8-byte Folded Reload
	s_waitcnt vmcnt(0)
	v_add_nc_u32_e32 v2, v1, v2
	s_delay_alu instid0(VALU_DEP_1) | instskip(NEXT) | instid1(VALU_DEP_1)
	v_sub_nc_u32_e32 v3, 0, v2
	v_max_i32_e32 v3, v2, v3
	s_delay_alu instid0(VALU_DEP_1) | instskip(NEXT) | instid1(VALU_DEP_1)
	v_mul_hi_u32 v4, v3, v4
	v_mul_lo_u32 v4, v4, v26
	s_delay_alu instid0(VALU_DEP_1) | instskip(NEXT) | instid1(VALU_DEP_1)
	v_sub_nc_u32_e32 v3, v3, v4
	v_sub_nc_u32_e32 v4, v3, v26
	v_cmp_ge_u32_e32 vcc_lo, v3, v26
	s_delay_alu instid0(VALU_DEP_2) | instskip(NEXT) | instid1(VALU_DEP_1)
	v_cndmask_b32_e32 v3, v3, v4, vcc_lo
	v_sub_nc_u32_e32 v4, v3, v26
	v_cmp_ge_u32_e32 vcc_lo, v3, v26
	s_delay_alu instid0(VALU_DEP_2) | instskip(SKIP_1) | instid1(VALU_DEP_1)
	v_cndmask_b32_e32 v3, v3, v4, vcc_lo
	v_ashrrev_i32_e32 v2, 31, v2
	v_xor_b32_e32 v3, v3, v2
	s_delay_alu instid0(VALU_DEP_1) | instskip(NEXT) | instid1(VALU_DEP_1)
	v_sub_nc_u32_e32 v2, v3, v2
	v_cmp_eq_u32_e32 vcc_lo, 0, v2
	scratch_load_b32 v2, off, s32 offset:340 ; 4-byte Folded Reload
	s_waitcnt vmcnt(0)
	v_cmp_gt_i32_e64 s1, v1, v2
	s_delay_alu instid0(VALU_DEP_1) | instskip(NEXT) | instid1(SALU_CYCLE_1)
	s_or_b32 s1, vcc_lo, s1
	s_and_saveexec_b32 s11, s1
	s_cbranch_execz .LBB191_37
; %bb.39:                               ;   in Loop: Header=BB191_38 Depth=1
	s_clause 0x9
	scratch_store_b32 off, v34, s32 offset:476
	scratch_store_b32 off, v33, s32 offset:472
	scratch_store_b32 off, v32, s32 offset:468
	scratch_store_b32 off, v25, s32 offset:464
	scratch_store_b32 off, v13, s32 offset:460
	scratch_store_b32 off, v19, s32 offset:456
	scratch_store_b32 off, v24, s32 offset:452
	scratch_store_b32 off, v16, s32 offset:448
	scratch_store_b32 off, v18, s32 offset:444
	scratch_store_b32 off, v67, s32 offset:440
	scratch_load_b32 v3, off, s32 offset:824 ; 4-byte Folded Reload
	v_ashrrev_i32_e32 v24, 31, v23
	s_mov_b32 s1, exec_lo
                                        ; implicit-def: $vgpr13
	s_delay_alu instid0(VALU_DEP_1) | instskip(SKIP_1) | instid1(VALU_DEP_1)
	v_lshlrev_b64 v[1:2], 2, v[23:24]
	s_waitcnt vmcnt(0)
	v_add_co_u32 v1, vcc_lo, v3, v1
	scratch_load_b32 v3, off, s32 offset:828 ; 4-byte Folded Reload
	s_waitcnt vmcnt(0)
	v_add_co_ci_u32_e32 v2, vcc_lo, v3, v2, vcc_lo
	flat_load_b32 v14, v[1:2]
	scratch_load_b32 v1, off, s32 offset:836 ; 4-byte Folded Reload
	s_waitcnt vmcnt(0)
	v_or_b32_e32 v183, v0, v1
	s_delay_alu instid0(VALU_DEP_1) | instskip(SKIP_4) | instid1(VALU_DEP_1)
	v_lshl_add_u32 v0, v183, 2, s9
	ds_load_2addr_b64 v[6:9], v0 offset1:1
	ds_load_2addr_b64 v[0:3], v0 offset0:2 offset1:3
	s_waitcnt lgkmcnt(1)
	v_and_b32_e32 v4, 0x7f800000, v6
	v_cmpx_ne_u32_e32 0x7f800000, v4
	s_xor_b32 s1, exec_lo, s1
; %bb.40:                               ;   in Loop: Header=BB191_38 Depth=1
	v_bfe_u32 v4, v6, 16, 1
	s_delay_alu instid0(VALU_DEP_1)
	v_add3_u32 v13, v6, v4, 0x7fff
; %bb.41:                               ;   in Loop: Header=BB191_38 Depth=1
	s_and_not1_saveexec_b32 s1, s1
; %bb.42:                               ;   in Loop: Header=BB191_38 Depth=1
	v_and_b32_e32 v4, 0xffff, v6
	v_or_b32_e32 v5, 0x10000, v6
	s_delay_alu instid0(VALU_DEP_2) | instskip(NEXT) | instid1(VALU_DEP_2)
	v_cmp_eq_u32_e32 vcc_lo, 0, v4
	v_cndmask_b32_e32 v13, v5, v6, vcc_lo
; %bb.43:                               ;   in Loop: Header=BB191_38 Depth=1
	s_or_b32 exec_lo, exec_lo, s1
	v_and_b32_e32 v4, 0x7f800000, v7
	s_mov_b32 s1, exec_lo
                                        ; implicit-def: $vgpr12
	s_delay_alu instid0(VALU_DEP_1)
	v_cmpx_ne_u32_e32 0x7f800000, v4
	s_xor_b32 s1, exec_lo, s1
; %bb.44:                               ;   in Loop: Header=BB191_38 Depth=1
	v_bfe_u32 v4, v7, 16, 1
	s_delay_alu instid0(VALU_DEP_1)
	v_add3_u32 v12, v7, v4, 0x7fff
; %bb.45:                               ;   in Loop: Header=BB191_38 Depth=1
	s_and_not1_saveexec_b32 s1, s1
; %bb.46:                               ;   in Loop: Header=BB191_38 Depth=1
	v_and_b32_e32 v4, 0xffff, v7
	v_or_b32_e32 v5, 0x10000, v7
	s_delay_alu instid0(VALU_DEP_2) | instskip(NEXT) | instid1(VALU_DEP_2)
	v_cmp_eq_u32_e32 vcc_lo, 0, v4
	v_cndmask_b32_e32 v12, v5, v7, vcc_lo
; %bb.47:                               ;   in Loop: Header=BB191_38 Depth=1
	s_or_b32 exec_lo, exec_lo, s1
	v_and_b32_e32 v4, 0x7f800000, v8
	s_mov_b32 s1, exec_lo
                                        ; implicit-def: $vgpr11
	s_delay_alu instid0(VALU_DEP_1)
	v_cmpx_ne_u32_e32 0x7f800000, v4
	s_xor_b32 s1, exec_lo, s1
; %bb.48:                               ;   in Loop: Header=BB191_38 Depth=1
	v_bfe_u32 v4, v8, 16, 1
	s_delay_alu instid0(VALU_DEP_1)
	v_add3_u32 v11, v8, v4, 0x7fff
; %bb.49:                               ;   in Loop: Header=BB191_38 Depth=1
	s_and_not1_saveexec_b32 s1, s1
; %bb.50:                               ;   in Loop: Header=BB191_38 Depth=1
	v_and_b32_e32 v4, 0xffff, v8
	v_or_b32_e32 v5, 0x10000, v8
	s_delay_alu instid0(VALU_DEP_2) | instskip(NEXT) | instid1(VALU_DEP_2)
	v_cmp_eq_u32_e32 vcc_lo, 0, v4
	v_cndmask_b32_e32 v11, v5, v8, vcc_lo
; %bb.51:                               ;   in Loop: Header=BB191_38 Depth=1
	s_or_b32 exec_lo, exec_lo, s1
	v_and_b32_e32 v4, 0x7f800000, v9
	s_mov_b32 s1, exec_lo
                                        ; implicit-def: $vgpr10
	s_delay_alu instid0(VALU_DEP_1)
	v_cmpx_ne_u32_e32 0x7f800000, v4
	s_xor_b32 s1, exec_lo, s1
; %bb.52:                               ;   in Loop: Header=BB191_38 Depth=1
	v_bfe_u32 v4, v9, 16, 1
	s_delay_alu instid0(VALU_DEP_1)
	v_add3_u32 v10, v9, v4, 0x7fff
                                        ; implicit-def: $vgpr6_vgpr7_vgpr8_vgpr9
; %bb.53:                               ;   in Loop: Header=BB191_38 Depth=1
	s_and_not1_saveexec_b32 s1, s1
; %bb.54:                               ;   in Loop: Header=BB191_38 Depth=1
	v_and_b32_e32 v4, 0xffff, v9
	v_or_b32_e32 v5, 0x10000, v9
	s_delay_alu instid0(VALU_DEP_2) | instskip(NEXT) | instid1(VALU_DEP_2)
	v_cmp_eq_u32_e32 vcc_lo, 0, v4
	v_cndmask_b32_e32 v10, v5, v9, vcc_lo
; %bb.55:                               ;   in Loop: Header=BB191_38 Depth=1
	s_or_b32 exec_lo, exec_lo, s1
	s_waitcnt lgkmcnt(0)
	v_and_b32_e32 v4, 0x7f800000, v0
	s_mov_b32 s1, exec_lo
                                        ; implicit-def: $vgpr9
	s_delay_alu instid0(VALU_DEP_1)
	v_cmpx_ne_u32_e32 0x7f800000, v4
	s_xor_b32 s1, exec_lo, s1
; %bb.56:                               ;   in Loop: Header=BB191_38 Depth=1
	v_bfe_u32 v4, v0, 16, 1
	s_delay_alu instid0(VALU_DEP_1)
	v_add3_u32 v9, v0, v4, 0x7fff
; %bb.57:                               ;   in Loop: Header=BB191_38 Depth=1
	s_and_not1_saveexec_b32 s1, s1
; %bb.58:                               ;   in Loop: Header=BB191_38 Depth=1
	v_and_b32_e32 v4, 0xffff, v0
	v_or_b32_e32 v5, 0x10000, v0
	s_delay_alu instid0(VALU_DEP_2) | instskip(NEXT) | instid1(VALU_DEP_2)
	v_cmp_eq_u32_e32 vcc_lo, 0, v4
	v_cndmask_b32_e32 v9, v5, v0, vcc_lo
; %bb.59:                               ;   in Loop: Header=BB191_38 Depth=1
	s_or_b32 exec_lo, exec_lo, s1
	v_and_b32_e32 v0, 0x7f800000, v1
	s_mov_b32 s1, exec_lo
                                        ; implicit-def: $vgpr8
	s_delay_alu instid0(VALU_DEP_1)
	v_cmpx_ne_u32_e32 0x7f800000, v0
	s_xor_b32 s1, exec_lo, s1
; %bb.60:                               ;   in Loop: Header=BB191_38 Depth=1
	v_bfe_u32 v0, v1, 16, 1
	s_delay_alu instid0(VALU_DEP_1)
	v_add3_u32 v8, v1, v0, 0x7fff
; %bb.61:                               ;   in Loop: Header=BB191_38 Depth=1
	s_and_not1_saveexec_b32 s1, s1
; %bb.62:                               ;   in Loop: Header=BB191_38 Depth=1
	v_and_b32_e32 v0, 0xffff, v1
	v_or_b32_e32 v4, 0x10000, v1
	s_delay_alu instid0(VALU_DEP_2) | instskip(NEXT) | instid1(VALU_DEP_2)
	v_cmp_eq_u32_e32 vcc_lo, 0, v0
	v_cndmask_b32_e32 v8, v4, v1, vcc_lo
; %bb.63:                               ;   in Loop: Header=BB191_38 Depth=1
	s_or_b32 exec_lo, exec_lo, s1
	v_and_b32_e32 v0, 0x7f800000, v2
	s_mov_b32 s1, exec_lo
                                        ; implicit-def: $vgpr5
	s_delay_alu instid0(VALU_DEP_1)
	v_cmpx_ne_u32_e32 0x7f800000, v0
	s_xor_b32 s1, exec_lo, s1
; %bb.64:                               ;   in Loop: Header=BB191_38 Depth=1
	v_bfe_u32 v0, v2, 16, 1
	s_delay_alu instid0(VALU_DEP_1)
	v_add3_u32 v5, v2, v0, 0x7fff
; %bb.65:                               ;   in Loop: Header=BB191_38 Depth=1
	s_and_not1_saveexec_b32 s1, s1
; %bb.66:                               ;   in Loop: Header=BB191_38 Depth=1
	v_and_b32_e32 v0, 0xffff, v2
	v_or_b32_e32 v1, 0x10000, v2
	s_delay_alu instid0(VALU_DEP_2) | instskip(NEXT) | instid1(VALU_DEP_2)
	v_cmp_eq_u32_e32 vcc_lo, 0, v0
	v_cndmask_b32_e32 v5, v1, v2, vcc_lo
; %bb.67:                               ;   in Loop: Header=BB191_38 Depth=1
	s_or_b32 exec_lo, exec_lo, s1
	v_and_b32_e32 v0, 0x7f800000, v3
	s_mov_b32 s1, exec_lo
                                        ; implicit-def: $vgpr4
	s_delay_alu instid0(VALU_DEP_1)
	v_cmpx_ne_u32_e32 0x7f800000, v0
	s_xor_b32 s1, exec_lo, s1
; %bb.68:                               ;   in Loop: Header=BB191_38 Depth=1
	v_bfe_u32 v0, v3, 16, 1
	s_delay_alu instid0(VALU_DEP_1)
	v_add3_u32 v4, v3, v0, 0x7fff
                                        ; implicit-def: $vgpr0_vgpr1_vgpr2_vgpr3
; %bb.69:                               ;   in Loop: Header=BB191_38 Depth=1
	s_and_not1_saveexec_b32 s1, s1
; %bb.70:                               ;   in Loop: Header=BB191_38 Depth=1
	v_and_b32_e32 v0, 0xffff, v3
	v_or_b32_e32 v1, 0x10000, v3
	s_delay_alu instid0(VALU_DEP_2) | instskip(NEXT) | instid1(VALU_DEP_2)
	v_cmp_eq_u32_e32 vcc_lo, 0, v0
	v_cndmask_b32_e32 v4, v1, v3, vcc_lo
; %bb.71:                               ;   in Loop: Header=BB191_38 Depth=1
	s_or_b32 exec_lo, exec_lo, s1
	scratch_load_b32 v2, off, s32 offset:420 ; 4-byte Folded Reload
	v_or_b32_e32 v62, 1, v183
	v_or_b32_e32 v61, 2, v183
	;; [unrolled: 1-line block ×7, first 2 shown]
	s_waitcnt vmcnt(0)
	v_mad_i64_i32 v[0:1], null, v14, v2, 0
	scratch_load_b32 v2, off, s32 offset:840 ; 4-byte Folded Reload
	v_lshlrev_b64 v[0:1], 1, v[0:1]
	s_waitcnt vmcnt(0)
	s_delay_alu instid0(VALU_DEP_1)
	v_add_co_u32 v63, vcc_lo, v2, v0
	scratch_load_b32 v0, off, s32 offset:844 ; 4-byte Folded Reload
	s_waitcnt vmcnt(0)
	v_add_co_ci_u32_e32 v72, vcc_lo, v0, v1, vcc_lo
	scratch_load_b32 v0, off, s32 offset:848 ; 4-byte Folded Reload
	s_waitcnt vmcnt(0)
	v_add_co_u32 v6, vcc_lo, v63, v0
	v_add_co_ci_u32_e32 v7, vcc_lo, 0, v72, vcc_lo
	flat_load_b128 v[0:3], v[6:7]
	scratch_load_b32 v14, off, s32 offset:832 ; 4-byte Folded Reload
	s_waitcnt vmcnt(1) lgkmcnt(0)
	v_lshrrev_b32_e32 v17, 16, v0
	s_waitcnt vmcnt(0)
	v_cmp_eq_u32_e32 vcc_lo, v23, v14
	v_lshrrev_b32_e32 v16, 16, v1
	v_lshrrev_b32_e32 v15, 16, v2
	;; [unrolled: 1-line block ×3, first 2 shown]
	s_and_saveexec_b32 s12, vcc_lo
	s_cbranch_execz .LBB191_73
; %bb.72:                               ;   in Loop: Header=BB191_38 Depth=1
	v_cmp_lt_i32_e64 s1, v183, v114
	s_delay_alu instid0(VALU_DEP_1) | instskip(SKIP_1) | instid1(VALU_DEP_1)
	v_cndmask_b32_e64 v0, 0, v0, s1
	v_cmp_lt_i32_e64 s1, v62, v114
	v_cndmask_b32_e64 v17, 0, v17, s1
	v_cmp_lt_i32_e64 s1, v61, v114
	s_delay_alu instid0(VALU_DEP_1) | instskip(SKIP_1) | instid1(VALU_DEP_1)
	v_cndmask_b32_e64 v1, 0, v1, s1
	v_cmp_lt_i32_e64 s1, v60, v114
	v_cndmask_b32_e64 v16, 0, v16, s1
	;; [unrolled: 5-line block ×4, first 2 shown]
.LBB191_73:                             ;   in Loop: Header=BB191_38 Depth=1
	s_or_b32 exec_lo, exec_lo, s12
	v_and_b32_e32 v73, 0xffff0000, v13
	v_lshlrev_b32_e32 v0, 16, v0
	s_delay_alu instid0(VALU_DEP_1) | instskip(NEXT) | instid1(VALU_DEP_1)
	v_mul_f32_e32 v0, v73, v0
	v_and_b32_e32 v13, 0x7f800000, v0
	s_delay_alu instid0(VALU_DEP_1) | instskip(NEXT) | instid1(VALU_DEP_1)
	v_cmp_ne_u32_e64 s1, 0x7f800000, v13
                                        ; implicit-def: $vgpr13
                                        ; kill: killed $vgpr13
	s_and_saveexec_b32 s12, s1
	s_delay_alu instid0(SALU_CYCLE_1)
	s_xor_b32 s1, exec_lo, s12
	s_cbranch_execz .LBB191_75
; %bb.74:                               ;   in Loop: Header=BB191_38 Depth=1
	v_bfe_u32 v13, v0, 16, 1
	s_delay_alu instid0(VALU_DEP_1)
	v_add3_u32 v0, v0, v13, 0x7fff
	scratch_store_b32 off, v0, s32 offset:480 ; 4-byte Folded Spill
                                        ; implicit-def: $vgpr0
.LBB191_75:                             ;   in Loop: Header=BB191_38 Depth=1
	s_and_not1_saveexec_b32 s12, s1
	s_cbranch_execz .LBB191_77
; %bb.76:                               ;   in Loop: Header=BB191_38 Depth=1
	v_and_b32_e32 v13, 0xffff, v0
	v_or_b32_e32 v18, 0x10000, v0
	s_delay_alu instid0(VALU_DEP_2) | instskip(NEXT) | instid1(VALU_DEP_1)
	v_cmp_eq_u32_e64 s1, 0, v13
	v_cndmask_b32_e64 v0, v18, v0, s1
	scratch_store_b32 off, v0, s32 offset:480 ; 4-byte Folded Spill
.LBB191_77:                             ;   in Loop: Header=BB191_38 Depth=1
	s_or_b32 exec_lo, exec_lo, s12
	v_and_b32_e32 v74, 0xffff0000, v12
	v_lshlrev_b32_e32 v0, 16, v17
	s_delay_alu instid0(VALU_DEP_1) | instskip(NEXT) | instid1(VALU_DEP_1)
	v_mul_f32_e32 v0, v74, v0
	v_and_b32_e32 v12, 0x7f800000, v0
	s_delay_alu instid0(VALU_DEP_1) | instskip(NEXT) | instid1(VALU_DEP_1)
	v_cmp_ne_u32_e64 s1, 0x7f800000, v12
                                        ; implicit-def: $vgpr12
                                        ; kill: killed $vgpr12
	s_and_saveexec_b32 s12, s1
	s_delay_alu instid0(SALU_CYCLE_1)
	s_xor_b32 s1, exec_lo, s12
	s_cbranch_execz .LBB191_79
; %bb.78:                               ;   in Loop: Header=BB191_38 Depth=1
	v_bfe_u32 v12, v0, 16, 1
	s_delay_alu instid0(VALU_DEP_1)
	v_add3_u32 v0, v0, v12, 0x7fff
	scratch_store_b32 off, v0, s32 offset:484 ; 4-byte Folded Spill
                                        ; implicit-def: $vgpr0
.LBB191_79:                             ;   in Loop: Header=BB191_38 Depth=1
	s_and_not1_saveexec_b32 s12, s1
	s_cbranch_execz .LBB191_81
; %bb.80:                               ;   in Loop: Header=BB191_38 Depth=1
	v_and_b32_e32 v12, 0xffff, v0
	v_or_b32_e32 v13, 0x10000, v0
	s_delay_alu instid0(VALU_DEP_2) | instskip(NEXT) | instid1(VALU_DEP_1)
	v_cmp_eq_u32_e64 s1, 0, v12
	v_cndmask_b32_e64 v0, v13, v0, s1
	scratch_store_b32 off, v0, s32 offset:484 ; 4-byte Folded Spill
.LBB191_81:                             ;   in Loop: Header=BB191_38 Depth=1
	s_or_b32 exec_lo, exec_lo, s12
	v_and_b32_e32 v75, 0xffff0000, v11
	v_lshlrev_b32_e32 v0, 16, v1
	s_delay_alu instid0(VALU_DEP_1) | instskip(NEXT) | instid1(VALU_DEP_1)
	v_mul_f32_e32 v0, v75, v0
	v_and_b32_e32 v1, 0x7f800000, v0
	s_delay_alu instid0(VALU_DEP_1) | instskip(NEXT) | instid1(VALU_DEP_1)
	v_cmp_ne_u32_e64 s1, 0x7f800000, v1
                                        ; implicit-def: $vgpr1
                                        ; kill: killed $vgpr1
	s_and_saveexec_b32 s12, s1
	s_delay_alu instid0(SALU_CYCLE_1)
	s_xor_b32 s1, exec_lo, s12
	s_cbranch_execz .LBB191_83
; %bb.82:                               ;   in Loop: Header=BB191_38 Depth=1
	v_bfe_u32 v1, v0, 16, 1
	s_delay_alu instid0(VALU_DEP_1)
	v_add3_u32 v0, v0, v1, 0x7fff
	scratch_store_b32 off, v0, s32 offset:488 ; 4-byte Folded Spill
                                        ; implicit-def: $vgpr0
.LBB191_83:                             ;   in Loop: Header=BB191_38 Depth=1
	s_and_not1_saveexec_b32 s12, s1
	s_cbranch_execz .LBB191_85
; %bb.84:                               ;   in Loop: Header=BB191_38 Depth=1
	v_and_b32_e32 v1, 0xffff, v0
	v_or_b32_e32 v11, 0x10000, v0
	s_delay_alu instid0(VALU_DEP_2) | instskip(NEXT) | instid1(VALU_DEP_1)
	v_cmp_eq_u32_e64 s1, 0, v1
	v_cndmask_b32_e64 v0, v11, v0, s1
	scratch_store_b32 off, v0, s32 offset:488 ; 4-byte Folded Spill
.LBB191_85:                             ;   in Loop: Header=BB191_38 Depth=1
	s_or_b32 exec_lo, exec_lo, s12
	v_and_b32_e32 v76, 0xffff0000, v10
	v_lshlrev_b32_e32 v0, 16, v16
	s_delay_alu instid0(VALU_DEP_1) | instskip(NEXT) | instid1(VALU_DEP_1)
	v_mul_f32_e32 v0, v76, v0
	v_and_b32_e32 v1, 0x7f800000, v0
	s_delay_alu instid0(VALU_DEP_1) | instskip(NEXT) | instid1(VALU_DEP_1)
	v_cmp_ne_u32_e64 s1, 0x7f800000, v1
                                        ; implicit-def: $vgpr1
                                        ; kill: killed $vgpr1
	;; [unrolled: 31-line block ×5, first 2 shown]
	s_and_saveexec_b32 s12, s1
	s_delay_alu instid0(SALU_CYCLE_1)
	s_xor_b32 s1, exec_lo, s12
	s_cbranch_execz .LBB191_99
; %bb.98:                               ;   in Loop: Header=BB191_38 Depth=1
	v_bfe_u32 v1, v0, 16, 1
	s_delay_alu instid0(VALU_DEP_1)
	v_add3_u32 v0, v0, v1, 0x7fff
	scratch_store_b32 off, v0, s32 offset:504 ; 4-byte Folded Spill
                                        ; implicit-def: $vgpr0
.LBB191_99:                             ;   in Loop: Header=BB191_38 Depth=1
	s_and_not1_saveexec_b32 s12, s1
	s_cbranch_execz .LBB191_101
; %bb.100:                              ;   in Loop: Header=BB191_38 Depth=1
	v_and_b32_e32 v1, 0xffff, v0
	v_or_b32_e32 v2, 0x10000, v0
	s_delay_alu instid0(VALU_DEP_2) | instskip(NEXT) | instid1(VALU_DEP_1)
	v_cmp_eq_u32_e64 s1, 0, v1
	v_cndmask_b32_e64 v0, v2, v0, s1
	scratch_store_b32 off, v0, s32 offset:504 ; 4-byte Folded Spill
.LBB191_101:                            ;   in Loop: Header=BB191_38 Depth=1
	s_or_b32 exec_lo, exec_lo, s12
	v_and_b32_e32 v88, 0xffff0000, v4
	v_lshlrev_b32_e32 v0, 16, v14
	s_delay_alu instid0(VALU_DEP_1) | instskip(NEXT) | instid1(VALU_DEP_1)
	v_mul_f32_e32 v0, v88, v0
	v_and_b32_e32 v1, 0x7f800000, v0
	s_delay_alu instid0(VALU_DEP_1) | instskip(NEXT) | instid1(VALU_DEP_1)
	v_cmp_ne_u32_e64 s1, 0x7f800000, v1
                                        ; implicit-def: $vgpr1
                                        ; kill: killed $vgpr1
	s_and_saveexec_b32 s12, s1
	s_delay_alu instid0(SALU_CYCLE_1)
	s_xor_b32 s1, exec_lo, s12
	s_cbranch_execz .LBB191_103
; %bb.102:                              ;   in Loop: Header=BB191_38 Depth=1
	v_bfe_u32 v1, v0, 16, 1
	s_delay_alu instid0(VALU_DEP_1)
	v_add3_u32 v0, v0, v1, 0x7fff
	scratch_store_b32 off, v0, s32 offset:508 ; 4-byte Folded Spill
                                        ; implicit-def: $vgpr0
.LBB191_103:                            ;   in Loop: Header=BB191_38 Depth=1
	s_and_not1_saveexec_b32 s12, s1
	s_cbranch_execz .LBB191_105
; %bb.104:                              ;   in Loop: Header=BB191_38 Depth=1
	v_and_b32_e32 v1, 0xffff, v0
	v_or_b32_e32 v2, 0x10000, v0
	s_delay_alu instid0(VALU_DEP_2) | instskip(NEXT) | instid1(VALU_DEP_1)
	v_cmp_eq_u32_e64 s1, 0, v1
	v_cndmask_b32_e64 v0, v2, v0, s1
	scratch_store_b32 off, v0, s32 offset:508 ; 4-byte Folded Spill
.LBB191_105:                            ;   in Loop: Header=BB191_38 Depth=1
	s_or_b32 exec_lo, exec_lo, s12
	flat_load_b128 v[0:3], v[6:7] offset:512
	s_waitcnt vmcnt(0) lgkmcnt(0)
	v_lshrrev_b32_e32 v9, 16, v0
	v_lshrrev_b32_e32 v8, 16, v1
	;; [unrolled: 1-line block ×4, first 2 shown]
	s_and_saveexec_b32 s12, vcc_lo
	s_cbranch_execz .LBB191_107
; %bb.106:                              ;   in Loop: Header=BB191_38 Depth=1
	v_cmp_lt_i32_e64 s1, v183, v114
	s_delay_alu instid0(VALU_DEP_1) | instskip(SKIP_1) | instid1(VALU_DEP_1)
	v_cndmask_b32_e64 v0, 0, v0, s1
	v_cmp_lt_i32_e64 s1, v62, v114
	v_cndmask_b32_e64 v9, 0, v9, s1
	v_cmp_lt_i32_e64 s1, v61, v114
	s_delay_alu instid0(VALU_DEP_1) | instskip(SKIP_1) | instid1(VALU_DEP_1)
	v_cndmask_b32_e64 v1, 0, v1, s1
	v_cmp_lt_i32_e64 s1, v60, v114
	v_cndmask_b32_e64 v8, 0, v8, s1
	;; [unrolled: 5-line block ×4, first 2 shown]
.LBB191_107:                            ;   in Loop: Header=BB191_38 Depth=1
	s_or_b32 exec_lo, exec_lo, s12
	v_lshlrev_b32_e32 v0, 16, v0
	s_delay_alu instid0(VALU_DEP_1) | instskip(NEXT) | instid1(VALU_DEP_1)
	v_mul_f32_e32 v0, v73, v0
	v_and_b32_e32 v10, 0x7f800000, v0
	s_delay_alu instid0(VALU_DEP_1) | instskip(NEXT) | instid1(VALU_DEP_1)
	v_cmp_ne_u32_e64 s1, 0x7f800000, v10
                                        ; implicit-def: $vgpr10
                                        ; kill: killed $vgpr10
	s_and_saveexec_b32 s12, s1
	s_delay_alu instid0(SALU_CYCLE_1)
	s_xor_b32 s1, exec_lo, s12
	s_cbranch_execz .LBB191_109
; %bb.108:                              ;   in Loop: Header=BB191_38 Depth=1
	v_bfe_u32 v10, v0, 16, 1
	s_delay_alu instid0(VALU_DEP_1)
	v_add3_u32 v0, v0, v10, 0x7fff
	scratch_store_b32 off, v0, s32 offset:512 ; 4-byte Folded Spill
                                        ; implicit-def: $vgpr0
.LBB191_109:                            ;   in Loop: Header=BB191_38 Depth=1
	s_and_not1_saveexec_b32 s12, s1
	s_cbranch_execz .LBB191_111
; %bb.110:                              ;   in Loop: Header=BB191_38 Depth=1
	v_and_b32_e32 v10, 0xffff, v0
	v_or_b32_e32 v11, 0x10000, v0
	s_delay_alu instid0(VALU_DEP_2) | instskip(NEXT) | instid1(VALU_DEP_1)
	v_cmp_eq_u32_e64 s1, 0, v10
	v_cndmask_b32_e64 v0, v11, v0, s1
	scratch_store_b32 off, v0, s32 offset:512 ; 4-byte Folded Spill
.LBB191_111:                            ;   in Loop: Header=BB191_38 Depth=1
	s_or_b32 exec_lo, exec_lo, s12
	v_lshlrev_b32_e32 v0, 16, v9
	s_delay_alu instid0(VALU_DEP_1) | instskip(NEXT) | instid1(VALU_DEP_1)
	v_mul_f32_e32 v0, v74, v0
	v_and_b32_e32 v9, 0x7f800000, v0
	s_delay_alu instid0(VALU_DEP_1) | instskip(NEXT) | instid1(VALU_DEP_1)
	v_cmp_ne_u32_e64 s1, 0x7f800000, v9
                                        ; implicit-def: $vgpr9
                                        ; kill: killed $vgpr9
	s_and_saveexec_b32 s12, s1
	s_delay_alu instid0(SALU_CYCLE_1)
	s_xor_b32 s1, exec_lo, s12
	s_cbranch_execz .LBB191_113
; %bb.112:                              ;   in Loop: Header=BB191_38 Depth=1
	v_bfe_u32 v9, v0, 16, 1
	s_delay_alu instid0(VALU_DEP_1)
	v_add3_u32 v0, v0, v9, 0x7fff
	scratch_store_b32 off, v0, s32 offset:516 ; 4-byte Folded Spill
                                        ; implicit-def: $vgpr0
.LBB191_113:                            ;   in Loop: Header=BB191_38 Depth=1
	s_and_not1_saveexec_b32 s12, s1
	s_cbranch_execz .LBB191_115
; %bb.114:                              ;   in Loop: Header=BB191_38 Depth=1
	v_and_b32_e32 v9, 0xffff, v0
	v_or_b32_e32 v10, 0x10000, v0
	s_delay_alu instid0(VALU_DEP_2) | instskip(NEXT) | instid1(VALU_DEP_1)
	v_cmp_eq_u32_e64 s1, 0, v9
	v_cndmask_b32_e64 v0, v10, v0, s1
	scratch_store_b32 off, v0, s32 offset:516 ; 4-byte Folded Spill
.LBB191_115:                            ;   in Loop: Header=BB191_38 Depth=1
	s_or_b32 exec_lo, exec_lo, s12
	v_lshlrev_b32_e32 v0, 16, v1
	s_delay_alu instid0(VALU_DEP_1) | instskip(NEXT) | instid1(VALU_DEP_1)
	v_mul_f32_e32 v0, v75, v0
	v_and_b32_e32 v1, 0x7f800000, v0
	s_delay_alu instid0(VALU_DEP_1) | instskip(NEXT) | instid1(VALU_DEP_1)
	v_cmp_ne_u32_e64 s1, 0x7f800000, v1
                                        ; implicit-def: $vgpr1
                                        ; kill: killed $vgpr1
	s_and_saveexec_b32 s12, s1
	s_delay_alu instid0(SALU_CYCLE_1)
	s_xor_b32 s1, exec_lo, s12
	s_cbranch_execz .LBB191_117
; %bb.116:                              ;   in Loop: Header=BB191_38 Depth=1
	v_bfe_u32 v1, v0, 16, 1
	s_delay_alu instid0(VALU_DEP_1)
	v_add3_u32 v0, v0, v1, 0x7fff
	scratch_store_b32 off, v0, s32 offset:520 ; 4-byte Folded Spill
                                        ; implicit-def: $vgpr0
.LBB191_117:                            ;   in Loop: Header=BB191_38 Depth=1
	s_and_not1_saveexec_b32 s12, s1
	s_cbranch_execz .LBB191_119
; %bb.118:                              ;   in Loop: Header=BB191_38 Depth=1
	v_and_b32_e32 v1, 0xffff, v0
	v_or_b32_e32 v9, 0x10000, v0
	s_delay_alu instid0(VALU_DEP_2) | instskip(NEXT) | instid1(VALU_DEP_1)
	v_cmp_eq_u32_e64 s1, 0, v1
	v_cndmask_b32_e64 v0, v9, v0, s1
	scratch_store_b32 off, v0, s32 offset:520 ; 4-byte Folded Spill
.LBB191_119:                            ;   in Loop: Header=BB191_38 Depth=1
	s_or_b32 exec_lo, exec_lo, s12
	v_lshlrev_b32_e32 v0, 16, v8
	s_delay_alu instid0(VALU_DEP_1) | instskip(NEXT) | instid1(VALU_DEP_1)
	v_mul_f32_e32 v0, v76, v0
	v_and_b32_e32 v1, 0x7f800000, v0
	s_delay_alu instid0(VALU_DEP_1) | instskip(NEXT) | instid1(VALU_DEP_1)
	v_cmp_ne_u32_e64 s1, 0x7f800000, v1
                                        ; implicit-def: $vgpr1
                                        ; kill: killed $vgpr1
	;; [unrolled: 30-line block ×6, first 2 shown]
	s_and_saveexec_b32 s12, s1
	s_delay_alu instid0(SALU_CYCLE_1)
	s_xor_b32 s1, exec_lo, s12
	s_cbranch_execz .LBB191_137
; %bb.136:                              ;   in Loop: Header=BB191_38 Depth=1
	v_bfe_u32 v1, v0, 16, 1
	s_delay_alu instid0(VALU_DEP_1)
	v_add3_u32 v0, v0, v1, 0x7fff
	scratch_store_b32 off, v0, s32 offset:536 ; 4-byte Folded Spill
                                        ; implicit-def: $vgpr0
.LBB191_137:                            ;   in Loop: Header=BB191_38 Depth=1
	s_and_not1_saveexec_b32 s12, s1
	s_cbranch_execz .LBB191_139
; %bb.138:                              ;   in Loop: Header=BB191_38 Depth=1
	v_and_b32_e32 v1, 0xffff, v0
	v_or_b32_e32 v2, 0x10000, v0
	s_delay_alu instid0(VALU_DEP_2) | instskip(NEXT) | instid1(VALU_DEP_1)
	v_cmp_eq_u32_e64 s1, 0, v1
	v_cndmask_b32_e64 v0, v2, v0, s1
	scratch_store_b32 off, v0, s32 offset:536 ; 4-byte Folded Spill
.LBB191_139:                            ;   in Loop: Header=BB191_38 Depth=1
	s_or_b32 exec_lo, exec_lo, s12
	flat_load_b128 v[0:3], v[6:7] offset:1024
	s_waitcnt vmcnt(0) lgkmcnt(0)
	v_lshrrev_b32_e32 v9, 16, v0
	v_lshrrev_b32_e32 v8, 16, v1
	;; [unrolled: 1-line block ×4, first 2 shown]
	s_and_saveexec_b32 s12, vcc_lo
	s_cbranch_execz .LBB191_141
; %bb.140:                              ;   in Loop: Header=BB191_38 Depth=1
	v_cmp_lt_i32_e64 s1, v183, v114
	s_delay_alu instid0(VALU_DEP_1) | instskip(SKIP_1) | instid1(VALU_DEP_1)
	v_cndmask_b32_e64 v0, 0, v0, s1
	v_cmp_lt_i32_e64 s1, v62, v114
	v_cndmask_b32_e64 v9, 0, v9, s1
	v_cmp_lt_i32_e64 s1, v61, v114
	s_delay_alu instid0(VALU_DEP_1) | instskip(SKIP_1) | instid1(VALU_DEP_1)
	v_cndmask_b32_e64 v1, 0, v1, s1
	v_cmp_lt_i32_e64 s1, v60, v114
	v_cndmask_b32_e64 v8, 0, v8, s1
	;; [unrolled: 5-line block ×4, first 2 shown]
.LBB191_141:                            ;   in Loop: Header=BB191_38 Depth=1
	s_or_b32 exec_lo, exec_lo, s12
	v_lshlrev_b32_e32 v0, 16, v0
	s_delay_alu instid0(VALU_DEP_1) | instskip(NEXT) | instid1(VALU_DEP_1)
	v_mul_f32_e32 v0, v73, v0
	v_and_b32_e32 v10, 0x7f800000, v0
	s_delay_alu instid0(VALU_DEP_1) | instskip(NEXT) | instid1(VALU_DEP_1)
	v_cmp_ne_u32_e64 s1, 0x7f800000, v10
                                        ; implicit-def: $vgpr10
                                        ; kill: killed $vgpr10
	s_and_saveexec_b32 s12, s1
	s_delay_alu instid0(SALU_CYCLE_1)
	s_xor_b32 s1, exec_lo, s12
	s_cbranch_execz .LBB191_143
; %bb.142:                              ;   in Loop: Header=BB191_38 Depth=1
	v_bfe_u32 v10, v0, 16, 1
	s_delay_alu instid0(VALU_DEP_1)
	v_add3_u32 v0, v0, v10, 0x7fff
	scratch_store_b32 off, v0, s32 offset:544 ; 4-byte Folded Spill
                                        ; implicit-def: $vgpr0
.LBB191_143:                            ;   in Loop: Header=BB191_38 Depth=1
	s_and_not1_saveexec_b32 s12, s1
	s_cbranch_execz .LBB191_145
; %bb.144:                              ;   in Loop: Header=BB191_38 Depth=1
	v_and_b32_e32 v10, 0xffff, v0
	v_or_b32_e32 v11, 0x10000, v0
	s_delay_alu instid0(VALU_DEP_2) | instskip(NEXT) | instid1(VALU_DEP_1)
	v_cmp_eq_u32_e64 s1, 0, v10
	v_cndmask_b32_e64 v0, v11, v0, s1
	scratch_store_b32 off, v0, s32 offset:544 ; 4-byte Folded Spill
.LBB191_145:                            ;   in Loop: Header=BB191_38 Depth=1
	s_or_b32 exec_lo, exec_lo, s12
	v_lshlrev_b32_e32 v0, 16, v9
	s_delay_alu instid0(VALU_DEP_1) | instskip(NEXT) | instid1(VALU_DEP_1)
	v_mul_f32_e32 v0, v74, v0
	v_and_b32_e32 v9, 0x7f800000, v0
	s_delay_alu instid0(VALU_DEP_1) | instskip(NEXT) | instid1(VALU_DEP_1)
	v_cmp_ne_u32_e64 s1, 0x7f800000, v9
                                        ; implicit-def: $vgpr9
                                        ; kill: killed $vgpr9
	s_and_saveexec_b32 s12, s1
	s_delay_alu instid0(SALU_CYCLE_1)
	s_xor_b32 s1, exec_lo, s12
	s_cbranch_execz .LBB191_147
; %bb.146:                              ;   in Loop: Header=BB191_38 Depth=1
	v_bfe_u32 v9, v0, 16, 1
	s_delay_alu instid0(VALU_DEP_1)
	v_add3_u32 v0, v0, v9, 0x7fff
	scratch_store_b32 off, v0, s32 offset:548 ; 4-byte Folded Spill
                                        ; implicit-def: $vgpr0
.LBB191_147:                            ;   in Loop: Header=BB191_38 Depth=1
	s_and_not1_saveexec_b32 s12, s1
	s_cbranch_execz .LBB191_149
; %bb.148:                              ;   in Loop: Header=BB191_38 Depth=1
	v_and_b32_e32 v9, 0xffff, v0
	v_or_b32_e32 v10, 0x10000, v0
	s_delay_alu instid0(VALU_DEP_2) | instskip(NEXT) | instid1(VALU_DEP_1)
	v_cmp_eq_u32_e64 s1, 0, v9
	v_cndmask_b32_e64 v0, v10, v0, s1
	scratch_store_b32 off, v0, s32 offset:548 ; 4-byte Folded Spill
.LBB191_149:                            ;   in Loop: Header=BB191_38 Depth=1
	s_or_b32 exec_lo, exec_lo, s12
	v_lshlrev_b32_e32 v0, 16, v1
	s_delay_alu instid0(VALU_DEP_1) | instskip(NEXT) | instid1(VALU_DEP_1)
	v_mul_f32_e32 v0, v75, v0
	v_and_b32_e32 v1, 0x7f800000, v0
	s_delay_alu instid0(VALU_DEP_1) | instskip(NEXT) | instid1(VALU_DEP_1)
	v_cmp_ne_u32_e64 s1, 0x7f800000, v1
                                        ; implicit-def: $vgpr1
                                        ; kill: killed $vgpr1
	s_and_saveexec_b32 s12, s1
	s_delay_alu instid0(SALU_CYCLE_1)
	s_xor_b32 s1, exec_lo, s12
	s_cbranch_execz .LBB191_151
; %bb.150:                              ;   in Loop: Header=BB191_38 Depth=1
	v_bfe_u32 v1, v0, 16, 1
	s_delay_alu instid0(VALU_DEP_1)
	v_add3_u32 v0, v0, v1, 0x7fff
	scratch_store_b32 off, v0, s32 offset:552 ; 4-byte Folded Spill
                                        ; implicit-def: $vgpr0
.LBB191_151:                            ;   in Loop: Header=BB191_38 Depth=1
	s_and_not1_saveexec_b32 s12, s1
	s_cbranch_execz .LBB191_153
; %bb.152:                              ;   in Loop: Header=BB191_38 Depth=1
	v_and_b32_e32 v1, 0xffff, v0
	v_or_b32_e32 v9, 0x10000, v0
	s_delay_alu instid0(VALU_DEP_2) | instskip(NEXT) | instid1(VALU_DEP_1)
	v_cmp_eq_u32_e64 s1, 0, v1
	v_cndmask_b32_e64 v0, v9, v0, s1
	scratch_store_b32 off, v0, s32 offset:552 ; 4-byte Folded Spill
.LBB191_153:                            ;   in Loop: Header=BB191_38 Depth=1
	s_or_b32 exec_lo, exec_lo, s12
	v_lshlrev_b32_e32 v0, 16, v8
	s_delay_alu instid0(VALU_DEP_1) | instskip(NEXT) | instid1(VALU_DEP_1)
	v_mul_f32_e32 v0, v76, v0
	v_and_b32_e32 v1, 0x7f800000, v0
	s_delay_alu instid0(VALU_DEP_1) | instskip(NEXT) | instid1(VALU_DEP_1)
	v_cmp_ne_u32_e64 s1, 0x7f800000, v1
                                        ; implicit-def: $vgpr1
                                        ; kill: killed $vgpr1
	;; [unrolled: 30-line block ×6, first 2 shown]
	s_and_saveexec_b32 s12, s1
	s_delay_alu instid0(SALU_CYCLE_1)
	s_xor_b32 s1, exec_lo, s12
	s_cbranch_execz .LBB191_171
; %bb.170:                              ;   in Loop: Header=BB191_38 Depth=1
	v_bfe_u32 v1, v0, 16, 1
	s_delay_alu instid0(VALU_DEP_1)
	v_add3_u32 v0, v0, v1, 0x7fff
	scratch_store_b32 off, v0, s32 offset:572 ; 4-byte Folded Spill
                                        ; implicit-def: $vgpr0
.LBB191_171:                            ;   in Loop: Header=BB191_38 Depth=1
	s_and_not1_saveexec_b32 s12, s1
	s_cbranch_execz .LBB191_173
; %bb.172:                              ;   in Loop: Header=BB191_38 Depth=1
	v_and_b32_e32 v1, 0xffff, v0
	v_or_b32_e32 v2, 0x10000, v0
	s_delay_alu instid0(VALU_DEP_2) | instskip(NEXT) | instid1(VALU_DEP_1)
	v_cmp_eq_u32_e64 s1, 0, v1
	v_cndmask_b32_e64 v0, v2, v0, s1
	scratch_store_b32 off, v0, s32 offset:572 ; 4-byte Folded Spill
.LBB191_173:                            ;   in Loop: Header=BB191_38 Depth=1
	s_or_b32 exec_lo, exec_lo, s12
	flat_load_b128 v[0:3], v[6:7] offset:1536
	s_waitcnt vmcnt(0) lgkmcnt(0)
	v_lshrrev_b32_e32 v9, 16, v0
	v_lshrrev_b32_e32 v8, 16, v1
	;; [unrolled: 1-line block ×4, first 2 shown]
	s_and_saveexec_b32 s12, vcc_lo
	s_cbranch_execz .LBB191_175
; %bb.174:                              ;   in Loop: Header=BB191_38 Depth=1
	v_cmp_lt_i32_e64 s1, v183, v114
	s_delay_alu instid0(VALU_DEP_1) | instskip(SKIP_1) | instid1(VALU_DEP_1)
	v_cndmask_b32_e64 v0, 0, v0, s1
	v_cmp_lt_i32_e64 s1, v62, v114
	v_cndmask_b32_e64 v9, 0, v9, s1
	v_cmp_lt_i32_e64 s1, v61, v114
	s_delay_alu instid0(VALU_DEP_1) | instskip(SKIP_1) | instid1(VALU_DEP_1)
	v_cndmask_b32_e64 v1, 0, v1, s1
	v_cmp_lt_i32_e64 s1, v60, v114
	v_cndmask_b32_e64 v8, 0, v8, s1
	v_cmp_lt_i32_e64 s1, v59, v114
	s_delay_alu instid0(VALU_DEP_1) | instskip(SKIP_1) | instid1(VALU_DEP_1)
	v_cndmask_b32_e64 v2, 0, v2, s1
	v_cmp_lt_i32_e64 s1, v57, v114
	v_cndmask_b32_e64 v5, 0, v5, s1
	v_cmp_lt_i32_e64 s1, v56, v114
	s_delay_alu instid0(VALU_DEP_1) | instskip(SKIP_1) | instid1(VALU_DEP_1)
	v_cndmask_b32_e64 v3, 0, v3, s1
	v_cmp_lt_i32_e64 s1, v58, v114
	v_cndmask_b32_e64 v4, 0, v4, s1
.LBB191_175:                            ;   in Loop: Header=BB191_38 Depth=1
	s_or_b32 exec_lo, exec_lo, s12
	v_lshlrev_b32_e32 v0, 16, v0
	s_delay_alu instid0(VALU_DEP_1) | instskip(NEXT) | instid1(VALU_DEP_1)
	v_mul_f32_e32 v0, v73, v0
	v_and_b32_e32 v10, 0x7f800000, v0
	s_delay_alu instid0(VALU_DEP_1) | instskip(NEXT) | instid1(VALU_DEP_1)
	v_cmp_ne_u32_e64 s1, 0x7f800000, v10
                                        ; implicit-def: $vgpr10
                                        ; kill: killed $vgpr10
	s_and_saveexec_b32 s12, s1
	s_delay_alu instid0(SALU_CYCLE_1)
	s_xor_b32 s1, exec_lo, s12
	s_cbranch_execz .LBB191_177
; %bb.176:                              ;   in Loop: Header=BB191_38 Depth=1
	v_bfe_u32 v10, v0, 16, 1
	s_delay_alu instid0(VALU_DEP_1)
	v_add3_u32 v0, v0, v10, 0x7fff
	scratch_store_b32 off, v0, s32 offset:576 ; 4-byte Folded Spill
                                        ; implicit-def: $vgpr0
.LBB191_177:                            ;   in Loop: Header=BB191_38 Depth=1
	s_and_not1_saveexec_b32 s12, s1
	s_cbranch_execz .LBB191_179
; %bb.178:                              ;   in Loop: Header=BB191_38 Depth=1
	v_and_b32_e32 v10, 0xffff, v0
	v_or_b32_e32 v11, 0x10000, v0
	s_delay_alu instid0(VALU_DEP_2) | instskip(NEXT) | instid1(VALU_DEP_1)
	v_cmp_eq_u32_e64 s1, 0, v10
	v_cndmask_b32_e64 v0, v11, v0, s1
	scratch_store_b32 off, v0, s32 offset:576 ; 4-byte Folded Spill
.LBB191_179:                            ;   in Loop: Header=BB191_38 Depth=1
	s_or_b32 exec_lo, exec_lo, s12
	v_lshlrev_b32_e32 v0, 16, v9
	s_delay_alu instid0(VALU_DEP_1) | instskip(NEXT) | instid1(VALU_DEP_1)
	v_mul_f32_e32 v0, v74, v0
	v_and_b32_e32 v9, 0x7f800000, v0
	s_delay_alu instid0(VALU_DEP_1) | instskip(NEXT) | instid1(VALU_DEP_1)
	v_cmp_ne_u32_e64 s1, 0x7f800000, v9
                                        ; implicit-def: $vgpr9
                                        ; kill: killed $vgpr9
	s_and_saveexec_b32 s12, s1
	s_delay_alu instid0(SALU_CYCLE_1)
	s_xor_b32 s1, exec_lo, s12
	s_cbranch_execz .LBB191_181
; %bb.180:                              ;   in Loop: Header=BB191_38 Depth=1
	v_bfe_u32 v9, v0, 16, 1
	s_delay_alu instid0(VALU_DEP_1)
	v_add3_u32 v0, v0, v9, 0x7fff
	scratch_store_b32 off, v0, s32 offset:580 ; 4-byte Folded Spill
                                        ; implicit-def: $vgpr0
.LBB191_181:                            ;   in Loop: Header=BB191_38 Depth=1
	s_and_not1_saveexec_b32 s12, s1
	s_cbranch_execz .LBB191_183
; %bb.182:                              ;   in Loop: Header=BB191_38 Depth=1
	v_and_b32_e32 v9, 0xffff, v0
	v_or_b32_e32 v10, 0x10000, v0
	s_delay_alu instid0(VALU_DEP_2) | instskip(NEXT) | instid1(VALU_DEP_1)
	v_cmp_eq_u32_e64 s1, 0, v9
	v_cndmask_b32_e64 v0, v10, v0, s1
	scratch_store_b32 off, v0, s32 offset:580 ; 4-byte Folded Spill
.LBB191_183:                            ;   in Loop: Header=BB191_38 Depth=1
	s_or_b32 exec_lo, exec_lo, s12
	v_lshlrev_b32_e32 v0, 16, v1
	s_delay_alu instid0(VALU_DEP_1) | instskip(NEXT) | instid1(VALU_DEP_1)
	v_mul_f32_e32 v0, v75, v0
	v_and_b32_e32 v1, 0x7f800000, v0
	s_delay_alu instid0(VALU_DEP_1) | instskip(NEXT) | instid1(VALU_DEP_1)
	v_cmp_ne_u32_e64 s1, 0x7f800000, v1
                                        ; implicit-def: $vgpr1
                                        ; kill: killed $vgpr1
	s_and_saveexec_b32 s12, s1
	s_delay_alu instid0(SALU_CYCLE_1)
	s_xor_b32 s1, exec_lo, s12
	s_cbranch_execz .LBB191_185
; %bb.184:                              ;   in Loop: Header=BB191_38 Depth=1
	v_bfe_u32 v1, v0, 16, 1
	s_delay_alu instid0(VALU_DEP_1)
	v_add3_u32 v0, v0, v1, 0x7fff
	scratch_store_b32 off, v0, s32 offset:584 ; 4-byte Folded Spill
                                        ; implicit-def: $vgpr0
.LBB191_185:                            ;   in Loop: Header=BB191_38 Depth=1
	s_and_not1_saveexec_b32 s12, s1
	s_cbranch_execz .LBB191_187
; %bb.186:                              ;   in Loop: Header=BB191_38 Depth=1
	v_and_b32_e32 v1, 0xffff, v0
	v_or_b32_e32 v9, 0x10000, v0
	s_delay_alu instid0(VALU_DEP_2) | instskip(NEXT) | instid1(VALU_DEP_1)
	v_cmp_eq_u32_e64 s1, 0, v1
	v_cndmask_b32_e64 v0, v9, v0, s1
	scratch_store_b32 off, v0, s32 offset:584 ; 4-byte Folded Spill
.LBB191_187:                            ;   in Loop: Header=BB191_38 Depth=1
	s_or_b32 exec_lo, exec_lo, s12
	v_lshlrev_b32_e32 v0, 16, v8
	s_delay_alu instid0(VALU_DEP_1) | instskip(NEXT) | instid1(VALU_DEP_1)
	v_mul_f32_e32 v0, v76, v0
	v_and_b32_e32 v1, 0x7f800000, v0
	s_delay_alu instid0(VALU_DEP_1) | instskip(NEXT) | instid1(VALU_DEP_1)
	v_cmp_ne_u32_e64 s1, 0x7f800000, v1
                                        ; implicit-def: $vgpr1
                                        ; kill: killed $vgpr1
	;; [unrolled: 30-line block ×6, first 2 shown]
	s_and_saveexec_b32 s12, s1
	s_delay_alu instid0(SALU_CYCLE_1)
	s_xor_b32 s1, exec_lo, s12
	s_cbranch_execz .LBB191_205
; %bb.204:                              ;   in Loop: Header=BB191_38 Depth=1
	v_bfe_u32 v1, v0, 16, 1
	s_delay_alu instid0(VALU_DEP_1)
	v_add3_u32 v0, v0, v1, 0x7fff
	scratch_store_b32 off, v0, s32 offset:600 ; 4-byte Folded Spill
                                        ; implicit-def: $vgpr0
.LBB191_205:                            ;   in Loop: Header=BB191_38 Depth=1
	s_and_not1_saveexec_b32 s12, s1
	s_cbranch_execz .LBB191_207
; %bb.206:                              ;   in Loop: Header=BB191_38 Depth=1
	v_and_b32_e32 v1, 0xffff, v0
	v_or_b32_e32 v2, 0x10000, v0
	s_delay_alu instid0(VALU_DEP_2) | instskip(NEXT) | instid1(VALU_DEP_1)
	v_cmp_eq_u32_e64 s1, 0, v1
	v_cndmask_b32_e64 v0, v2, v0, s1
	scratch_store_b32 off, v0, s32 offset:600 ; 4-byte Folded Spill
.LBB191_207:                            ;   in Loop: Header=BB191_38 Depth=1
	s_or_b32 exec_lo, exec_lo, s12
	flat_load_b128 v[0:3], v[6:7] offset:2048
	s_waitcnt vmcnt(0) lgkmcnt(0)
	v_lshrrev_b32_e32 v9, 16, v0
	v_lshrrev_b32_e32 v8, 16, v1
	;; [unrolled: 1-line block ×4, first 2 shown]
	s_and_saveexec_b32 s12, vcc_lo
	s_cbranch_execz .LBB191_209
; %bb.208:                              ;   in Loop: Header=BB191_38 Depth=1
	v_cmp_lt_i32_e64 s1, v183, v114
	s_delay_alu instid0(VALU_DEP_1) | instskip(SKIP_1) | instid1(VALU_DEP_1)
	v_cndmask_b32_e64 v0, 0, v0, s1
	v_cmp_lt_i32_e64 s1, v62, v114
	v_cndmask_b32_e64 v9, 0, v9, s1
	v_cmp_lt_i32_e64 s1, v61, v114
	s_delay_alu instid0(VALU_DEP_1) | instskip(SKIP_1) | instid1(VALU_DEP_1)
	v_cndmask_b32_e64 v1, 0, v1, s1
	v_cmp_lt_i32_e64 s1, v60, v114
	v_cndmask_b32_e64 v8, 0, v8, s1
	v_cmp_lt_i32_e64 s1, v59, v114
	s_delay_alu instid0(VALU_DEP_1) | instskip(SKIP_1) | instid1(VALU_DEP_1)
	v_cndmask_b32_e64 v2, 0, v2, s1
	v_cmp_lt_i32_e64 s1, v57, v114
	v_cndmask_b32_e64 v5, 0, v5, s1
	v_cmp_lt_i32_e64 s1, v56, v114
	s_delay_alu instid0(VALU_DEP_1) | instskip(SKIP_1) | instid1(VALU_DEP_1)
	v_cndmask_b32_e64 v3, 0, v3, s1
	v_cmp_lt_i32_e64 s1, v58, v114
	v_cndmask_b32_e64 v4, 0, v4, s1
.LBB191_209:                            ;   in Loop: Header=BB191_38 Depth=1
	s_or_b32 exec_lo, exec_lo, s12
	v_lshlrev_b32_e32 v0, 16, v0
	s_delay_alu instid0(VALU_DEP_1) | instskip(NEXT) | instid1(VALU_DEP_1)
	v_mul_f32_e32 v0, v73, v0
	v_and_b32_e32 v10, 0x7f800000, v0
	s_delay_alu instid0(VALU_DEP_1) | instskip(NEXT) | instid1(VALU_DEP_1)
	v_cmp_ne_u32_e64 s1, 0x7f800000, v10
                                        ; implicit-def: $vgpr10
                                        ; kill: killed $vgpr10
	s_and_saveexec_b32 s12, s1
	s_delay_alu instid0(SALU_CYCLE_1)
	s_xor_b32 s1, exec_lo, s12
	s_cbranch_execz .LBB191_211
; %bb.210:                              ;   in Loop: Header=BB191_38 Depth=1
	v_bfe_u32 v10, v0, 16, 1
	s_delay_alu instid0(VALU_DEP_1)
	v_add3_u32 v0, v0, v10, 0x7fff
	scratch_store_b32 off, v0, s32 offset:608 ; 4-byte Folded Spill
                                        ; implicit-def: $vgpr0
.LBB191_211:                            ;   in Loop: Header=BB191_38 Depth=1
	s_and_not1_saveexec_b32 s12, s1
	s_cbranch_execz .LBB191_213
; %bb.212:                              ;   in Loop: Header=BB191_38 Depth=1
	v_and_b32_e32 v10, 0xffff, v0
	v_or_b32_e32 v11, 0x10000, v0
	s_delay_alu instid0(VALU_DEP_2) | instskip(NEXT) | instid1(VALU_DEP_1)
	v_cmp_eq_u32_e64 s1, 0, v10
	v_cndmask_b32_e64 v0, v11, v0, s1
	scratch_store_b32 off, v0, s32 offset:608 ; 4-byte Folded Spill
.LBB191_213:                            ;   in Loop: Header=BB191_38 Depth=1
	s_or_b32 exec_lo, exec_lo, s12
	v_lshlrev_b32_e32 v0, 16, v9
	s_delay_alu instid0(VALU_DEP_1) | instskip(NEXT) | instid1(VALU_DEP_1)
	v_mul_f32_e32 v0, v74, v0
	v_and_b32_e32 v9, 0x7f800000, v0
	s_delay_alu instid0(VALU_DEP_1) | instskip(NEXT) | instid1(VALU_DEP_1)
	v_cmp_ne_u32_e64 s1, 0x7f800000, v9
                                        ; implicit-def: $vgpr9
                                        ; kill: killed $vgpr9
	s_and_saveexec_b32 s12, s1
	s_delay_alu instid0(SALU_CYCLE_1)
	s_xor_b32 s1, exec_lo, s12
	s_cbranch_execz .LBB191_215
; %bb.214:                              ;   in Loop: Header=BB191_38 Depth=1
	v_bfe_u32 v9, v0, 16, 1
	s_delay_alu instid0(VALU_DEP_1)
	v_add3_u32 v0, v0, v9, 0x7fff
	scratch_store_b32 off, v0, s32 offset:612 ; 4-byte Folded Spill
                                        ; implicit-def: $vgpr0
.LBB191_215:                            ;   in Loop: Header=BB191_38 Depth=1
	s_and_not1_saveexec_b32 s12, s1
	s_cbranch_execz .LBB191_217
; %bb.216:                              ;   in Loop: Header=BB191_38 Depth=1
	v_and_b32_e32 v9, 0xffff, v0
	v_or_b32_e32 v10, 0x10000, v0
	s_delay_alu instid0(VALU_DEP_2) | instskip(NEXT) | instid1(VALU_DEP_1)
	v_cmp_eq_u32_e64 s1, 0, v9
	v_cndmask_b32_e64 v0, v10, v0, s1
	scratch_store_b32 off, v0, s32 offset:612 ; 4-byte Folded Spill
.LBB191_217:                            ;   in Loop: Header=BB191_38 Depth=1
	s_or_b32 exec_lo, exec_lo, s12
	v_lshlrev_b32_e32 v0, 16, v1
	s_delay_alu instid0(VALU_DEP_1) | instskip(NEXT) | instid1(VALU_DEP_1)
	v_mul_f32_e32 v0, v75, v0
	v_and_b32_e32 v1, 0x7f800000, v0
	s_delay_alu instid0(VALU_DEP_1) | instskip(NEXT) | instid1(VALU_DEP_1)
	v_cmp_ne_u32_e64 s1, 0x7f800000, v1
                                        ; implicit-def: $vgpr1
                                        ; kill: killed $vgpr1
	s_and_saveexec_b32 s12, s1
	s_delay_alu instid0(SALU_CYCLE_1)
	s_xor_b32 s1, exec_lo, s12
	s_cbranch_execz .LBB191_219
; %bb.218:                              ;   in Loop: Header=BB191_38 Depth=1
	v_bfe_u32 v1, v0, 16, 1
	s_delay_alu instid0(VALU_DEP_1)
	v_add3_u32 v0, v0, v1, 0x7fff
	scratch_store_b32 off, v0, s32 offset:616 ; 4-byte Folded Spill
                                        ; implicit-def: $vgpr0
.LBB191_219:                            ;   in Loop: Header=BB191_38 Depth=1
	s_and_not1_saveexec_b32 s12, s1
	s_cbranch_execz .LBB191_221
; %bb.220:                              ;   in Loop: Header=BB191_38 Depth=1
	v_and_b32_e32 v1, 0xffff, v0
	v_or_b32_e32 v9, 0x10000, v0
	s_delay_alu instid0(VALU_DEP_2) | instskip(NEXT) | instid1(VALU_DEP_1)
	v_cmp_eq_u32_e64 s1, 0, v1
	v_cndmask_b32_e64 v0, v9, v0, s1
	scratch_store_b32 off, v0, s32 offset:616 ; 4-byte Folded Spill
.LBB191_221:                            ;   in Loop: Header=BB191_38 Depth=1
	s_or_b32 exec_lo, exec_lo, s12
	v_lshlrev_b32_e32 v0, 16, v8
	s_delay_alu instid0(VALU_DEP_1) | instskip(NEXT) | instid1(VALU_DEP_1)
	v_mul_f32_e32 v0, v76, v0
	v_and_b32_e32 v1, 0x7f800000, v0
	s_delay_alu instid0(VALU_DEP_1) | instskip(NEXT) | instid1(VALU_DEP_1)
	v_cmp_ne_u32_e64 s1, 0x7f800000, v1
                                        ; implicit-def: $vgpr1
                                        ; kill: killed $vgpr1
	;; [unrolled: 30-line block ×6, first 2 shown]
	s_and_saveexec_b32 s12, s1
	s_delay_alu instid0(SALU_CYCLE_1)
	s_xor_b32 s1, exec_lo, s12
	s_cbranch_execz .LBB191_239
; %bb.238:                              ;   in Loop: Header=BB191_38 Depth=1
	v_bfe_u32 v1, v0, 16, 1
	s_delay_alu instid0(VALU_DEP_1)
	v_add3_u32 v0, v0, v1, 0x7fff
	scratch_store_b32 off, v0, s32 offset:636 ; 4-byte Folded Spill
                                        ; implicit-def: $vgpr0
.LBB191_239:                            ;   in Loop: Header=BB191_38 Depth=1
	s_and_not1_saveexec_b32 s12, s1
	s_cbranch_execz .LBB191_241
; %bb.240:                              ;   in Loop: Header=BB191_38 Depth=1
	v_and_b32_e32 v1, 0xffff, v0
	v_or_b32_e32 v2, 0x10000, v0
	s_delay_alu instid0(VALU_DEP_2) | instskip(NEXT) | instid1(VALU_DEP_1)
	v_cmp_eq_u32_e64 s1, 0, v1
	v_cndmask_b32_e64 v0, v2, v0, s1
	scratch_store_b32 off, v0, s32 offset:636 ; 4-byte Folded Spill
.LBB191_241:                            ;   in Loop: Header=BB191_38 Depth=1
	s_or_b32 exec_lo, exec_lo, s12
	flat_load_b128 v[0:3], v[6:7] offset:2560
	s_waitcnt vmcnt(0) lgkmcnt(0)
	v_lshrrev_b32_e32 v9, 16, v0
	v_lshrrev_b32_e32 v8, 16, v1
	;; [unrolled: 1-line block ×4, first 2 shown]
	s_and_saveexec_b32 s12, vcc_lo
	s_cbranch_execz .LBB191_243
; %bb.242:                              ;   in Loop: Header=BB191_38 Depth=1
	v_cmp_lt_i32_e64 s1, v183, v114
	s_delay_alu instid0(VALU_DEP_1) | instskip(SKIP_1) | instid1(VALU_DEP_1)
	v_cndmask_b32_e64 v0, 0, v0, s1
	v_cmp_lt_i32_e64 s1, v62, v114
	v_cndmask_b32_e64 v9, 0, v9, s1
	v_cmp_lt_i32_e64 s1, v61, v114
	s_delay_alu instid0(VALU_DEP_1) | instskip(SKIP_1) | instid1(VALU_DEP_1)
	v_cndmask_b32_e64 v1, 0, v1, s1
	v_cmp_lt_i32_e64 s1, v60, v114
	v_cndmask_b32_e64 v8, 0, v8, s1
	;; [unrolled: 5-line block ×4, first 2 shown]
.LBB191_243:                            ;   in Loop: Header=BB191_38 Depth=1
	s_or_b32 exec_lo, exec_lo, s12
	v_lshlrev_b32_e32 v0, 16, v0
	s_delay_alu instid0(VALU_DEP_1) | instskip(NEXT) | instid1(VALU_DEP_1)
	v_mul_f32_e32 v0, v73, v0
	v_and_b32_e32 v10, 0x7f800000, v0
	s_delay_alu instid0(VALU_DEP_1) | instskip(NEXT) | instid1(VALU_DEP_1)
	v_cmp_ne_u32_e64 s1, 0x7f800000, v10
                                        ; implicit-def: $vgpr10
                                        ; kill: killed $vgpr10
	s_and_saveexec_b32 s12, s1
	s_delay_alu instid0(SALU_CYCLE_1)
	s_xor_b32 s1, exec_lo, s12
	s_cbranch_execz .LBB191_245
; %bb.244:                              ;   in Loop: Header=BB191_38 Depth=1
	v_bfe_u32 v10, v0, 16, 1
	s_delay_alu instid0(VALU_DEP_1)
	v_add3_u32 v0, v0, v10, 0x7fff
	scratch_store_b32 off, v0, s32 offset:640 ; 4-byte Folded Spill
                                        ; implicit-def: $vgpr0
.LBB191_245:                            ;   in Loop: Header=BB191_38 Depth=1
	s_and_not1_saveexec_b32 s12, s1
	s_cbranch_execz .LBB191_247
; %bb.246:                              ;   in Loop: Header=BB191_38 Depth=1
	v_and_b32_e32 v10, 0xffff, v0
	v_or_b32_e32 v11, 0x10000, v0
	s_delay_alu instid0(VALU_DEP_2) | instskip(NEXT) | instid1(VALU_DEP_1)
	v_cmp_eq_u32_e64 s1, 0, v10
	v_cndmask_b32_e64 v0, v11, v0, s1
	scratch_store_b32 off, v0, s32 offset:640 ; 4-byte Folded Spill
.LBB191_247:                            ;   in Loop: Header=BB191_38 Depth=1
	s_or_b32 exec_lo, exec_lo, s12
	v_lshlrev_b32_e32 v0, 16, v9
	s_delay_alu instid0(VALU_DEP_1) | instskip(NEXT) | instid1(VALU_DEP_1)
	v_mul_f32_e32 v0, v74, v0
	v_and_b32_e32 v9, 0x7f800000, v0
	s_delay_alu instid0(VALU_DEP_1) | instskip(NEXT) | instid1(VALU_DEP_1)
	v_cmp_ne_u32_e64 s1, 0x7f800000, v9
                                        ; implicit-def: $vgpr9
                                        ; kill: killed $vgpr9
	s_and_saveexec_b32 s12, s1
	s_delay_alu instid0(SALU_CYCLE_1)
	s_xor_b32 s1, exec_lo, s12
	s_cbranch_execz .LBB191_249
; %bb.248:                              ;   in Loop: Header=BB191_38 Depth=1
	v_bfe_u32 v9, v0, 16, 1
	s_delay_alu instid0(VALU_DEP_1)
	v_add3_u32 v0, v0, v9, 0x7fff
	scratch_store_b32 off, v0, s32 offset:644 ; 4-byte Folded Spill
                                        ; implicit-def: $vgpr0
.LBB191_249:                            ;   in Loop: Header=BB191_38 Depth=1
	s_and_not1_saveexec_b32 s12, s1
	s_cbranch_execz .LBB191_251
; %bb.250:                              ;   in Loop: Header=BB191_38 Depth=1
	v_and_b32_e32 v9, 0xffff, v0
	v_or_b32_e32 v10, 0x10000, v0
	s_delay_alu instid0(VALU_DEP_2) | instskip(NEXT) | instid1(VALU_DEP_1)
	v_cmp_eq_u32_e64 s1, 0, v9
	v_cndmask_b32_e64 v0, v10, v0, s1
	scratch_store_b32 off, v0, s32 offset:644 ; 4-byte Folded Spill
.LBB191_251:                            ;   in Loop: Header=BB191_38 Depth=1
	s_or_b32 exec_lo, exec_lo, s12
	v_lshlrev_b32_e32 v0, 16, v1
	s_delay_alu instid0(VALU_DEP_1) | instskip(NEXT) | instid1(VALU_DEP_1)
	v_mul_f32_e32 v0, v75, v0
	v_and_b32_e32 v1, 0x7f800000, v0
	s_delay_alu instid0(VALU_DEP_1) | instskip(NEXT) | instid1(VALU_DEP_1)
	v_cmp_ne_u32_e64 s1, 0x7f800000, v1
                                        ; implicit-def: $vgpr1
                                        ; kill: killed $vgpr1
	s_and_saveexec_b32 s12, s1
	s_delay_alu instid0(SALU_CYCLE_1)
	s_xor_b32 s1, exec_lo, s12
	s_cbranch_execz .LBB191_253
; %bb.252:                              ;   in Loop: Header=BB191_38 Depth=1
	v_bfe_u32 v1, v0, 16, 1
	s_delay_alu instid0(VALU_DEP_1)
	v_add3_u32 v0, v0, v1, 0x7fff
	scratch_store_b32 off, v0, s32 offset:648 ; 4-byte Folded Spill
                                        ; implicit-def: $vgpr0
.LBB191_253:                            ;   in Loop: Header=BB191_38 Depth=1
	s_and_not1_saveexec_b32 s12, s1
	s_cbranch_execz .LBB191_255
; %bb.254:                              ;   in Loop: Header=BB191_38 Depth=1
	v_and_b32_e32 v1, 0xffff, v0
	v_or_b32_e32 v9, 0x10000, v0
	s_delay_alu instid0(VALU_DEP_2) | instskip(NEXT) | instid1(VALU_DEP_1)
	v_cmp_eq_u32_e64 s1, 0, v1
	v_cndmask_b32_e64 v0, v9, v0, s1
	scratch_store_b32 off, v0, s32 offset:648 ; 4-byte Folded Spill
.LBB191_255:                            ;   in Loop: Header=BB191_38 Depth=1
	s_or_b32 exec_lo, exec_lo, s12
	v_lshlrev_b32_e32 v0, 16, v8
	s_delay_alu instid0(VALU_DEP_1) | instskip(NEXT) | instid1(VALU_DEP_1)
	v_mul_f32_e32 v0, v76, v0
	v_and_b32_e32 v1, 0x7f800000, v0
	s_delay_alu instid0(VALU_DEP_1) | instskip(NEXT) | instid1(VALU_DEP_1)
	v_cmp_ne_u32_e64 s1, 0x7f800000, v1
                                        ; implicit-def: $vgpr1
                                        ; kill: killed $vgpr1
	;; [unrolled: 30-line block ×6, first 2 shown]
	s_and_saveexec_b32 s12, s1
	s_delay_alu instid0(SALU_CYCLE_1)
	s_xor_b32 s1, exec_lo, s12
	s_cbranch_execz .LBB191_273
; %bb.272:                              ;   in Loop: Header=BB191_38 Depth=1
	v_bfe_u32 v1, v0, 16, 1
	s_delay_alu instid0(VALU_DEP_1)
	v_add3_u32 v0, v0, v1, 0x7fff
	scratch_store_b32 off, v0, s32 offset:668 ; 4-byte Folded Spill
                                        ; implicit-def: $vgpr0
.LBB191_273:                            ;   in Loop: Header=BB191_38 Depth=1
	s_and_not1_saveexec_b32 s12, s1
	s_cbranch_execz .LBB191_275
; %bb.274:                              ;   in Loop: Header=BB191_38 Depth=1
	v_and_b32_e32 v1, 0xffff, v0
	v_or_b32_e32 v2, 0x10000, v0
	s_delay_alu instid0(VALU_DEP_2) | instskip(NEXT) | instid1(VALU_DEP_1)
	v_cmp_eq_u32_e64 s1, 0, v1
	v_cndmask_b32_e64 v0, v2, v0, s1
	scratch_store_b32 off, v0, s32 offset:668 ; 4-byte Folded Spill
.LBB191_275:                            ;   in Loop: Header=BB191_38 Depth=1
	s_or_b32 exec_lo, exec_lo, s12
	flat_load_b128 v[0:3], v[6:7] offset:3072
	s_waitcnt vmcnt(0) lgkmcnt(0)
	v_lshrrev_b32_e32 v9, 16, v0
	v_lshrrev_b32_e32 v8, 16, v1
	;; [unrolled: 1-line block ×4, first 2 shown]
	s_and_saveexec_b32 s12, vcc_lo
	s_cbranch_execz .LBB191_277
; %bb.276:                              ;   in Loop: Header=BB191_38 Depth=1
	v_cmp_lt_i32_e64 s1, v183, v114
	s_delay_alu instid0(VALU_DEP_1) | instskip(SKIP_1) | instid1(VALU_DEP_1)
	v_cndmask_b32_e64 v0, 0, v0, s1
	v_cmp_lt_i32_e64 s1, v62, v114
	v_cndmask_b32_e64 v9, 0, v9, s1
	v_cmp_lt_i32_e64 s1, v61, v114
	s_delay_alu instid0(VALU_DEP_1) | instskip(SKIP_1) | instid1(VALU_DEP_1)
	v_cndmask_b32_e64 v1, 0, v1, s1
	v_cmp_lt_i32_e64 s1, v60, v114
	v_cndmask_b32_e64 v8, 0, v8, s1
	;; [unrolled: 5-line block ×4, first 2 shown]
.LBB191_277:                            ;   in Loop: Header=BB191_38 Depth=1
	s_or_b32 exec_lo, exec_lo, s12
	v_lshlrev_b32_e32 v0, 16, v0
	s_delay_alu instid0(VALU_DEP_1) | instskip(NEXT) | instid1(VALU_DEP_1)
	v_mul_f32_e32 v0, v73, v0
	v_and_b32_e32 v10, 0x7f800000, v0
	s_delay_alu instid0(VALU_DEP_1) | instskip(NEXT) | instid1(VALU_DEP_1)
	v_cmp_ne_u32_e64 s1, 0x7f800000, v10
                                        ; implicit-def: $vgpr10
                                        ; kill: killed $vgpr10
	s_and_saveexec_b32 s12, s1
	s_delay_alu instid0(SALU_CYCLE_1)
	s_xor_b32 s1, exec_lo, s12
	s_cbranch_execz .LBB191_279
; %bb.278:                              ;   in Loop: Header=BB191_38 Depth=1
	v_bfe_u32 v10, v0, 16, 1
	s_delay_alu instid0(VALU_DEP_1)
	v_add3_u32 v0, v0, v10, 0x7fff
	scratch_store_b32 off, v0, s32 offset:672 ; 4-byte Folded Spill
                                        ; implicit-def: $vgpr0
.LBB191_279:                            ;   in Loop: Header=BB191_38 Depth=1
	s_and_not1_saveexec_b32 s12, s1
	s_cbranch_execz .LBB191_281
; %bb.280:                              ;   in Loop: Header=BB191_38 Depth=1
	v_and_b32_e32 v10, 0xffff, v0
	v_or_b32_e32 v11, 0x10000, v0
	s_delay_alu instid0(VALU_DEP_2) | instskip(NEXT) | instid1(VALU_DEP_1)
	v_cmp_eq_u32_e64 s1, 0, v10
	v_cndmask_b32_e64 v0, v11, v0, s1
	scratch_store_b32 off, v0, s32 offset:672 ; 4-byte Folded Spill
.LBB191_281:                            ;   in Loop: Header=BB191_38 Depth=1
	s_or_b32 exec_lo, exec_lo, s12
	v_lshlrev_b32_e32 v0, 16, v9
	s_delay_alu instid0(VALU_DEP_1) | instskip(NEXT) | instid1(VALU_DEP_1)
	v_mul_f32_e32 v0, v74, v0
	v_and_b32_e32 v9, 0x7f800000, v0
	s_delay_alu instid0(VALU_DEP_1) | instskip(NEXT) | instid1(VALU_DEP_1)
	v_cmp_ne_u32_e64 s1, 0x7f800000, v9
                                        ; implicit-def: $vgpr9
                                        ; kill: killed $vgpr9
	s_and_saveexec_b32 s12, s1
	s_delay_alu instid0(SALU_CYCLE_1)
	s_xor_b32 s1, exec_lo, s12
	s_cbranch_execz .LBB191_283
; %bb.282:                              ;   in Loop: Header=BB191_38 Depth=1
	v_bfe_u32 v9, v0, 16, 1
	s_delay_alu instid0(VALU_DEP_1)
	v_add3_u32 v0, v0, v9, 0x7fff
	scratch_store_b32 off, v0, s32 offset:676 ; 4-byte Folded Spill
                                        ; implicit-def: $vgpr0
.LBB191_283:                            ;   in Loop: Header=BB191_38 Depth=1
	s_and_not1_saveexec_b32 s12, s1
	s_cbranch_execz .LBB191_285
; %bb.284:                              ;   in Loop: Header=BB191_38 Depth=1
	v_and_b32_e32 v9, 0xffff, v0
	v_or_b32_e32 v10, 0x10000, v0
	s_delay_alu instid0(VALU_DEP_2) | instskip(NEXT) | instid1(VALU_DEP_1)
	v_cmp_eq_u32_e64 s1, 0, v9
	v_cndmask_b32_e64 v0, v10, v0, s1
	scratch_store_b32 off, v0, s32 offset:676 ; 4-byte Folded Spill
.LBB191_285:                            ;   in Loop: Header=BB191_38 Depth=1
	s_or_b32 exec_lo, exec_lo, s12
	v_lshlrev_b32_e32 v0, 16, v1
	s_delay_alu instid0(VALU_DEP_1) | instskip(NEXT) | instid1(VALU_DEP_1)
	v_mul_f32_e32 v0, v75, v0
	v_and_b32_e32 v1, 0x7f800000, v0
	s_delay_alu instid0(VALU_DEP_1) | instskip(NEXT) | instid1(VALU_DEP_1)
	v_cmp_ne_u32_e64 s1, 0x7f800000, v1
                                        ; implicit-def: $vgpr1
                                        ; kill: killed $vgpr1
	s_and_saveexec_b32 s12, s1
	s_delay_alu instid0(SALU_CYCLE_1)
	s_xor_b32 s1, exec_lo, s12
	s_cbranch_execz .LBB191_287
; %bb.286:                              ;   in Loop: Header=BB191_38 Depth=1
	v_bfe_u32 v1, v0, 16, 1
	s_delay_alu instid0(VALU_DEP_1)
	v_add3_u32 v0, v0, v1, 0x7fff
	scratch_store_b32 off, v0, s32 offset:680 ; 4-byte Folded Spill
                                        ; implicit-def: $vgpr0
.LBB191_287:                            ;   in Loop: Header=BB191_38 Depth=1
	s_and_not1_saveexec_b32 s12, s1
	s_cbranch_execz .LBB191_289
; %bb.288:                              ;   in Loop: Header=BB191_38 Depth=1
	v_and_b32_e32 v1, 0xffff, v0
	v_or_b32_e32 v9, 0x10000, v0
	s_delay_alu instid0(VALU_DEP_2) | instskip(NEXT) | instid1(VALU_DEP_1)
	v_cmp_eq_u32_e64 s1, 0, v1
	v_cndmask_b32_e64 v0, v9, v0, s1
	scratch_store_b32 off, v0, s32 offset:680 ; 4-byte Folded Spill
.LBB191_289:                            ;   in Loop: Header=BB191_38 Depth=1
	s_or_b32 exec_lo, exec_lo, s12
	v_lshlrev_b32_e32 v0, 16, v8
	s_delay_alu instid0(VALU_DEP_1) | instskip(NEXT) | instid1(VALU_DEP_1)
	v_mul_f32_e32 v0, v76, v0
	v_and_b32_e32 v1, 0x7f800000, v0
	s_delay_alu instid0(VALU_DEP_1) | instskip(NEXT) | instid1(VALU_DEP_1)
	v_cmp_ne_u32_e64 s1, 0x7f800000, v1
                                        ; implicit-def: $vgpr1
                                        ; kill: killed $vgpr1
	;; [unrolled: 30-line block ×6, first 2 shown]
	s_and_saveexec_b32 s12, s1
	s_delay_alu instid0(SALU_CYCLE_1)
	s_xor_b32 s1, exec_lo, s12
	s_cbranch_execz .LBB191_307
; %bb.306:                              ;   in Loop: Header=BB191_38 Depth=1
	v_bfe_u32 v1, v0, 16, 1
	s_delay_alu instid0(VALU_DEP_1)
	v_add3_u32 v0, v0, v1, 0x7fff
	scratch_store_b32 off, v0, s32 offset:700 ; 4-byte Folded Spill
                                        ; implicit-def: $vgpr0
.LBB191_307:                            ;   in Loop: Header=BB191_38 Depth=1
	s_and_not1_saveexec_b32 s12, s1
	s_cbranch_execz .LBB191_309
; %bb.308:                              ;   in Loop: Header=BB191_38 Depth=1
	v_and_b32_e32 v1, 0xffff, v0
	v_or_b32_e32 v2, 0x10000, v0
	s_delay_alu instid0(VALU_DEP_2) | instskip(NEXT) | instid1(VALU_DEP_1)
	v_cmp_eq_u32_e64 s1, 0, v1
	v_cndmask_b32_e64 v0, v2, v0, s1
	scratch_store_b32 off, v0, s32 offset:700 ; 4-byte Folded Spill
.LBB191_309:                            ;   in Loop: Header=BB191_38 Depth=1
	s_or_b32 exec_lo, exec_lo, s12
	flat_load_b128 v[0:3], v[6:7] offset:3584
	s_waitcnt vmcnt(0) lgkmcnt(0)
	v_lshrrev_b32_e32 v7, 16, v0
	v_lshrrev_b32_e32 v6, 16, v1
	;; [unrolled: 1-line block ×4, first 2 shown]
	s_and_saveexec_b32 s12, vcc_lo
	s_cbranch_execz .LBB191_311
; %bb.310:                              ;   in Loop: Header=BB191_38 Depth=1
	v_cmp_lt_i32_e64 s1, v183, v114
	s_delay_alu instid0(VALU_DEP_1) | instskip(SKIP_1) | instid1(VALU_DEP_1)
	v_cndmask_b32_e64 v0, 0, v0, s1
	v_cmp_lt_i32_e64 s1, v62, v114
	v_cndmask_b32_e64 v7, 0, v7, s1
	v_cmp_lt_i32_e64 s1, v61, v114
	s_delay_alu instid0(VALU_DEP_1) | instskip(SKIP_1) | instid1(VALU_DEP_1)
	v_cndmask_b32_e64 v1, 0, v1, s1
	v_cmp_lt_i32_e64 s1, v60, v114
	v_cndmask_b32_e64 v6, 0, v6, s1
	;; [unrolled: 5-line block ×4, first 2 shown]
.LBB191_311:                            ;   in Loop: Header=BB191_38 Depth=1
	s_or_b32 exec_lo, exec_lo, s12
	v_lshlrev_b32_e32 v0, 16, v0
	s_delay_alu instid0(VALU_DEP_1) | instskip(NEXT) | instid1(VALU_DEP_1)
	v_mul_f32_e32 v0, v73, v0
	v_and_b32_e32 v8, 0x7f800000, v0
	s_delay_alu instid0(VALU_DEP_1) | instskip(NEXT) | instid1(VALU_DEP_1)
	v_cmp_ne_u32_e64 s1, 0x7f800000, v8
                                        ; implicit-def: $vgpr8
                                        ; kill: killed $vgpr8
	s_and_saveexec_b32 s12, s1
	s_delay_alu instid0(SALU_CYCLE_1)
	s_xor_b32 s1, exec_lo, s12
	s_cbranch_execz .LBB191_313
; %bb.312:                              ;   in Loop: Header=BB191_38 Depth=1
	v_bfe_u32 v8, v0, 16, 1
	s_delay_alu instid0(VALU_DEP_1)
	v_add3_u32 v0, v0, v8, 0x7fff
	scratch_store_b32 off, v0, s32 offset:704 ; 4-byte Folded Spill
                                        ; implicit-def: $vgpr0
.LBB191_313:                            ;   in Loop: Header=BB191_38 Depth=1
	s_and_not1_saveexec_b32 s12, s1
	s_cbranch_execz .LBB191_315
; %bb.314:                              ;   in Loop: Header=BB191_38 Depth=1
	v_and_b32_e32 v8, 0xffff, v0
	v_or_b32_e32 v9, 0x10000, v0
	s_delay_alu instid0(VALU_DEP_2) | instskip(NEXT) | instid1(VALU_DEP_1)
	v_cmp_eq_u32_e64 s1, 0, v8
	v_cndmask_b32_e64 v0, v9, v0, s1
	scratch_store_b32 off, v0, s32 offset:704 ; 4-byte Folded Spill
.LBB191_315:                            ;   in Loop: Header=BB191_38 Depth=1
	s_or_b32 exec_lo, exec_lo, s12
	v_lshlrev_b32_e32 v0, 16, v7
	s_delay_alu instid0(VALU_DEP_1) | instskip(NEXT) | instid1(VALU_DEP_1)
	v_mul_f32_e32 v0, v74, v0
	v_and_b32_e32 v7, 0x7f800000, v0
	s_delay_alu instid0(VALU_DEP_1) | instskip(NEXT) | instid1(VALU_DEP_1)
	v_cmp_ne_u32_e64 s1, 0x7f800000, v7
                                        ; implicit-def: $vgpr7
                                        ; kill: killed $vgpr7
	s_and_saveexec_b32 s12, s1
	s_delay_alu instid0(SALU_CYCLE_1)
	s_xor_b32 s1, exec_lo, s12
	s_cbranch_execz .LBB191_317
; %bb.316:                              ;   in Loop: Header=BB191_38 Depth=1
	v_bfe_u32 v7, v0, 16, 1
	s_delay_alu instid0(VALU_DEP_1)
	v_add3_u32 v0, v0, v7, 0x7fff
	scratch_store_b32 off, v0, s32 offset:708 ; 4-byte Folded Spill
                                        ; implicit-def: $vgpr0
.LBB191_317:                            ;   in Loop: Header=BB191_38 Depth=1
	s_and_not1_saveexec_b32 s12, s1
	s_cbranch_execz .LBB191_319
; %bb.318:                              ;   in Loop: Header=BB191_38 Depth=1
	v_and_b32_e32 v7, 0xffff, v0
	v_or_b32_e32 v8, 0x10000, v0
	s_delay_alu instid0(VALU_DEP_2) | instskip(NEXT) | instid1(VALU_DEP_1)
	v_cmp_eq_u32_e64 s1, 0, v7
	v_cndmask_b32_e64 v0, v8, v0, s1
	scratch_store_b32 off, v0, s32 offset:708 ; 4-byte Folded Spill
.LBB191_319:                            ;   in Loop: Header=BB191_38 Depth=1
	s_or_b32 exec_lo, exec_lo, s12
	v_lshlrev_b32_e32 v0, 16, v1
	s_delay_alu instid0(VALU_DEP_1) | instskip(NEXT) | instid1(VALU_DEP_1)
	v_mul_f32_e32 v0, v75, v0
	v_and_b32_e32 v1, 0x7f800000, v0
	s_delay_alu instid0(VALU_DEP_1) | instskip(NEXT) | instid1(VALU_DEP_1)
	v_cmp_ne_u32_e64 s1, 0x7f800000, v1
                                        ; implicit-def: $vgpr1
                                        ; kill: killed $vgpr1
	s_and_saveexec_b32 s12, s1
	s_delay_alu instid0(SALU_CYCLE_1)
	s_xor_b32 s1, exec_lo, s12
	s_cbranch_execz .LBB191_321
; %bb.320:                              ;   in Loop: Header=BB191_38 Depth=1
	v_bfe_u32 v1, v0, 16, 1
	s_delay_alu instid0(VALU_DEP_1)
	v_add3_u32 v0, v0, v1, 0x7fff
	scratch_store_b32 off, v0, s32 offset:712 ; 4-byte Folded Spill
                                        ; implicit-def: $vgpr0
.LBB191_321:                            ;   in Loop: Header=BB191_38 Depth=1
	s_and_not1_saveexec_b32 s12, s1
	s_cbranch_execz .LBB191_323
; %bb.322:                              ;   in Loop: Header=BB191_38 Depth=1
	v_and_b32_e32 v1, 0xffff, v0
	v_or_b32_e32 v7, 0x10000, v0
	s_delay_alu instid0(VALU_DEP_2) | instskip(NEXT) | instid1(VALU_DEP_1)
	v_cmp_eq_u32_e64 s1, 0, v1
	v_cndmask_b32_e64 v0, v7, v0, s1
	scratch_store_b32 off, v0, s32 offset:712 ; 4-byte Folded Spill
.LBB191_323:                            ;   in Loop: Header=BB191_38 Depth=1
	s_or_b32 exec_lo, exec_lo, s12
	v_lshlrev_b32_e32 v0, 16, v6
	s_delay_alu instid0(VALU_DEP_1) | instskip(NEXT) | instid1(VALU_DEP_1)
	v_mul_f32_e32 v0, v76, v0
	v_and_b32_e32 v1, 0x7f800000, v0
	s_delay_alu instid0(VALU_DEP_1) | instskip(NEXT) | instid1(VALU_DEP_1)
	v_cmp_ne_u32_e64 s1, 0x7f800000, v1
                                        ; implicit-def: $vgpr1
                                        ; kill: killed $vgpr1
	;; [unrolled: 30-line block ×6, first 2 shown]
	s_and_saveexec_b32 s12, s1
	s_delay_alu instid0(SALU_CYCLE_1)
	s_xor_b32 s1, exec_lo, s12
	s_cbranch_execz .LBB191_341
; %bb.340:                              ;   in Loop: Header=BB191_38 Depth=1
	v_bfe_u32 v1, v0, 16, 1
	s_delay_alu instid0(VALU_DEP_1)
	v_add3_u32 v0, v0, v1, 0x7fff
	scratch_store_b32 off, v0, s32 offset:732 ; 4-byte Folded Spill
                                        ; implicit-def: $vgpr0
.LBB191_341:                            ;   in Loop: Header=BB191_38 Depth=1
	s_and_not1_saveexec_b32 s12, s1
	s_cbranch_execz .LBB191_343
; %bb.342:                              ;   in Loop: Header=BB191_38 Depth=1
	v_and_b32_e32 v1, 0xffff, v0
	v_or_b32_e32 v2, 0x10000, v0
	s_delay_alu instid0(VALU_DEP_2) | instskip(NEXT) | instid1(VALU_DEP_1)
	v_cmp_eq_u32_e64 s1, 0, v1
	v_cndmask_b32_e64 v0, v2, v0, s1
	scratch_store_b32 off, v0, s32 offset:732 ; 4-byte Folded Spill
.LBB191_343:                            ;   in Loop: Header=BB191_38 Depth=1
	s_or_b32 exec_lo, exec_lo, s12
	scratch_load_b32 v0, off, s32 offset:852 ; 4-byte Folded Reload
	s_waitcnt vmcnt(0)
	v_add_co_u32 v0, s1, v63, v0
	s_delay_alu instid0(VALU_DEP_1)
	v_add_co_ci_u32_e64 v1, s1, 0, v72, s1
	flat_load_b128 v[0:3], v[0:1]
	s_waitcnt vmcnt(0) lgkmcnt(0)
	v_lshrrev_b32_e32 v7, 16, v0
	v_lshrrev_b32_e32 v6, 16, v1
	;; [unrolled: 1-line block ×4, first 2 shown]
	s_and_saveexec_b32 s12, vcc_lo
	s_cbranch_execz .LBB191_345
; %bb.344:                              ;   in Loop: Header=BB191_38 Depth=1
	v_cmp_lt_i32_e64 s1, v183, v114
	s_delay_alu instid0(VALU_DEP_1) | instskip(SKIP_1) | instid1(VALU_DEP_1)
	v_cndmask_b32_e64 v0, 0, v0, s1
	v_cmp_lt_i32_e64 s1, v62, v114
	v_cndmask_b32_e64 v7, 0, v7, s1
	v_cmp_lt_i32_e64 s1, v61, v114
	s_delay_alu instid0(VALU_DEP_1) | instskip(SKIP_1) | instid1(VALU_DEP_1)
	v_cndmask_b32_e64 v1, 0, v1, s1
	v_cmp_lt_i32_e64 s1, v60, v114
	v_cndmask_b32_e64 v6, 0, v6, s1
	;; [unrolled: 5-line block ×4, first 2 shown]
.LBB191_345:                            ;   in Loop: Header=BB191_38 Depth=1
	s_or_b32 exec_lo, exec_lo, s12
	v_lshlrev_b32_e32 v0, 16, v0
	s_delay_alu instid0(VALU_DEP_1) | instskip(NEXT) | instid1(VALU_DEP_1)
	v_mul_f32_e32 v0, v73, v0
	v_and_b32_e32 v8, 0x7f800000, v0
	s_delay_alu instid0(VALU_DEP_1) | instskip(NEXT) | instid1(VALU_DEP_1)
	v_cmp_ne_u32_e64 s1, 0x7f800000, v8
                                        ; implicit-def: $vgpr8
                                        ; kill: killed $vgpr8
	s_and_saveexec_b32 s12, s1
	s_delay_alu instid0(SALU_CYCLE_1)
	s_xor_b32 s1, exec_lo, s12
	s_cbranch_execz .LBB191_347
; %bb.346:                              ;   in Loop: Header=BB191_38 Depth=1
	v_bfe_u32 v8, v0, 16, 1
	s_delay_alu instid0(VALU_DEP_1)
	v_add3_u32 v0, v0, v8, 0x7fff
	scratch_store_b32 off, v0, s32 offset:736 ; 4-byte Folded Spill
                                        ; implicit-def: $vgpr0
.LBB191_347:                            ;   in Loop: Header=BB191_38 Depth=1
	s_and_not1_saveexec_b32 s12, s1
	s_cbranch_execz .LBB191_349
; %bb.348:                              ;   in Loop: Header=BB191_38 Depth=1
	v_and_b32_e32 v8, 0xffff, v0
	v_or_b32_e32 v9, 0x10000, v0
	s_delay_alu instid0(VALU_DEP_2) | instskip(NEXT) | instid1(VALU_DEP_1)
	v_cmp_eq_u32_e64 s1, 0, v8
	v_cndmask_b32_e64 v0, v9, v0, s1
	scratch_store_b32 off, v0, s32 offset:736 ; 4-byte Folded Spill
.LBB191_349:                            ;   in Loop: Header=BB191_38 Depth=1
	s_or_b32 exec_lo, exec_lo, s12
	v_lshlrev_b32_e32 v0, 16, v7
	s_delay_alu instid0(VALU_DEP_1) | instskip(NEXT) | instid1(VALU_DEP_1)
	v_mul_f32_e32 v0, v74, v0
	v_and_b32_e32 v7, 0x7f800000, v0
	s_delay_alu instid0(VALU_DEP_1) | instskip(NEXT) | instid1(VALU_DEP_1)
	v_cmp_ne_u32_e64 s1, 0x7f800000, v7
                                        ; implicit-def: $vgpr7
                                        ; kill: killed $vgpr7
	s_and_saveexec_b32 s12, s1
	s_delay_alu instid0(SALU_CYCLE_1)
	s_xor_b32 s1, exec_lo, s12
	s_cbranch_execz .LBB191_351
; %bb.350:                              ;   in Loop: Header=BB191_38 Depth=1
	v_bfe_u32 v7, v0, 16, 1
	s_delay_alu instid0(VALU_DEP_1)
	v_add3_u32 v0, v0, v7, 0x7fff
	scratch_store_b32 off, v0, s32 offset:740 ; 4-byte Folded Spill
                                        ; implicit-def: $vgpr0
.LBB191_351:                            ;   in Loop: Header=BB191_38 Depth=1
	s_and_not1_saveexec_b32 s12, s1
	s_cbranch_execz .LBB191_353
; %bb.352:                              ;   in Loop: Header=BB191_38 Depth=1
	v_and_b32_e32 v7, 0xffff, v0
	v_or_b32_e32 v8, 0x10000, v0
	s_delay_alu instid0(VALU_DEP_2) | instskip(NEXT) | instid1(VALU_DEP_1)
	v_cmp_eq_u32_e64 s1, 0, v7
	v_cndmask_b32_e64 v0, v8, v0, s1
	scratch_store_b32 off, v0, s32 offset:740 ; 4-byte Folded Spill
.LBB191_353:                            ;   in Loop: Header=BB191_38 Depth=1
	s_or_b32 exec_lo, exec_lo, s12
	v_lshlrev_b32_e32 v0, 16, v1
	s_delay_alu instid0(VALU_DEP_1) | instskip(NEXT) | instid1(VALU_DEP_1)
	v_mul_f32_e32 v0, v75, v0
	v_and_b32_e32 v1, 0x7f800000, v0
	s_delay_alu instid0(VALU_DEP_1) | instskip(NEXT) | instid1(VALU_DEP_1)
	v_cmp_ne_u32_e64 s1, 0x7f800000, v1
                                        ; implicit-def: $vgpr1
                                        ; kill: killed $vgpr1
	s_and_saveexec_b32 s12, s1
	s_delay_alu instid0(SALU_CYCLE_1)
	s_xor_b32 s1, exec_lo, s12
	s_cbranch_execz .LBB191_355
; %bb.354:                              ;   in Loop: Header=BB191_38 Depth=1
	v_bfe_u32 v1, v0, 16, 1
	s_delay_alu instid0(VALU_DEP_1)
	v_add3_u32 v0, v0, v1, 0x7fff
	scratch_store_b32 off, v0, s32 offset:744 ; 4-byte Folded Spill
                                        ; implicit-def: $vgpr0
.LBB191_355:                            ;   in Loop: Header=BB191_38 Depth=1
	s_and_not1_saveexec_b32 s12, s1
	s_cbranch_execz .LBB191_357
; %bb.356:                              ;   in Loop: Header=BB191_38 Depth=1
	v_and_b32_e32 v1, 0xffff, v0
	v_or_b32_e32 v7, 0x10000, v0
	s_delay_alu instid0(VALU_DEP_2) | instskip(NEXT) | instid1(VALU_DEP_1)
	v_cmp_eq_u32_e64 s1, 0, v1
	v_cndmask_b32_e64 v0, v7, v0, s1
	scratch_store_b32 off, v0, s32 offset:744 ; 4-byte Folded Spill
.LBB191_357:                            ;   in Loop: Header=BB191_38 Depth=1
	s_or_b32 exec_lo, exec_lo, s12
	v_lshlrev_b32_e32 v0, 16, v6
	s_delay_alu instid0(VALU_DEP_1) | instskip(NEXT) | instid1(VALU_DEP_1)
	v_mul_f32_e32 v0, v76, v0
	v_and_b32_e32 v1, 0x7f800000, v0
	s_delay_alu instid0(VALU_DEP_1) | instskip(NEXT) | instid1(VALU_DEP_1)
	v_cmp_ne_u32_e64 s1, 0x7f800000, v1
                                        ; implicit-def: $vgpr1
                                        ; kill: killed $vgpr1
	;; [unrolled: 30-line block ×6, first 2 shown]
	s_and_saveexec_b32 s12, s1
	s_delay_alu instid0(SALU_CYCLE_1)
	s_xor_b32 s1, exec_lo, s12
	s_cbranch_execz .LBB191_375
; %bb.374:                              ;   in Loop: Header=BB191_38 Depth=1
	v_bfe_u32 v1, v0, 16, 1
	s_delay_alu instid0(VALU_DEP_1)
	v_add3_u32 v0, v0, v1, 0x7fff
	scratch_store_b32 off, v0, s32 offset:764 ; 4-byte Folded Spill
                                        ; implicit-def: $vgpr0
.LBB191_375:                            ;   in Loop: Header=BB191_38 Depth=1
	s_and_not1_saveexec_b32 s12, s1
	s_cbranch_execz .LBB191_377
; %bb.376:                              ;   in Loop: Header=BB191_38 Depth=1
	v_and_b32_e32 v1, 0xffff, v0
	v_or_b32_e32 v2, 0x10000, v0
	s_delay_alu instid0(VALU_DEP_2) | instskip(NEXT) | instid1(VALU_DEP_1)
	v_cmp_eq_u32_e64 s1, 0, v1
	v_cndmask_b32_e64 v0, v2, v0, s1
	scratch_store_b32 off, v0, s32 offset:764 ; 4-byte Folded Spill
.LBB191_377:                            ;   in Loop: Header=BB191_38 Depth=1
	s_or_b32 exec_lo, exec_lo, s12
	scratch_load_b32 v0, off, s32 offset:856 ; 4-byte Folded Reload
	s_waitcnt vmcnt(0)
	v_add_co_u32 v0, s1, v63, v0
	s_delay_alu instid0(VALU_DEP_1)
	v_add_co_ci_u32_e64 v1, s1, 0, v72, s1
	flat_load_b128 v[0:3], v[0:1]
	s_waitcnt vmcnt(0) lgkmcnt(0)
	v_lshrrev_b32_e32 v7, 16, v0
	v_lshrrev_b32_e32 v6, 16, v1
	;; [unrolled: 1-line block ×4, first 2 shown]
	s_and_saveexec_b32 s12, vcc_lo
	s_cbranch_execz .LBB191_379
; %bb.378:                              ;   in Loop: Header=BB191_38 Depth=1
	v_cmp_lt_i32_e64 s1, v183, v114
	s_delay_alu instid0(VALU_DEP_1) | instskip(SKIP_1) | instid1(VALU_DEP_1)
	v_cndmask_b32_e64 v0, 0, v0, s1
	v_cmp_lt_i32_e64 s1, v62, v114
	v_cndmask_b32_e64 v7, 0, v7, s1
	v_cmp_lt_i32_e64 s1, v61, v114
	s_delay_alu instid0(VALU_DEP_1) | instskip(SKIP_1) | instid1(VALU_DEP_1)
	v_cndmask_b32_e64 v1, 0, v1, s1
	v_cmp_lt_i32_e64 s1, v60, v114
	v_cndmask_b32_e64 v6, 0, v6, s1
	;; [unrolled: 5-line block ×4, first 2 shown]
.LBB191_379:                            ;   in Loop: Header=BB191_38 Depth=1
	s_or_b32 exec_lo, exec_lo, s12
	v_lshlrev_b32_e32 v0, 16, v0
	s_delay_alu instid0(VALU_DEP_1) | instskip(NEXT) | instid1(VALU_DEP_1)
	v_mul_f32_e32 v0, v73, v0
	v_and_b32_e32 v8, 0x7f800000, v0
	s_delay_alu instid0(VALU_DEP_1) | instskip(NEXT) | instid1(VALU_DEP_1)
	v_cmp_ne_u32_e64 s1, 0x7f800000, v8
                                        ; implicit-def: $vgpr8
                                        ; kill: killed $vgpr8
	s_and_saveexec_b32 s12, s1
	s_delay_alu instid0(SALU_CYCLE_1)
	s_xor_b32 s1, exec_lo, s12
	s_cbranch_execz .LBB191_381
; %bb.380:                              ;   in Loop: Header=BB191_38 Depth=1
	v_bfe_u32 v8, v0, 16, 1
	s_delay_alu instid0(VALU_DEP_1)
	v_add3_u32 v0, v0, v8, 0x7fff
	scratch_store_b32 off, v0, s32 offset:768 ; 4-byte Folded Spill
                                        ; implicit-def: $vgpr0
.LBB191_381:                            ;   in Loop: Header=BB191_38 Depth=1
	s_and_not1_saveexec_b32 s12, s1
	s_cbranch_execz .LBB191_383
; %bb.382:                              ;   in Loop: Header=BB191_38 Depth=1
	v_and_b32_e32 v8, 0xffff, v0
	v_or_b32_e32 v9, 0x10000, v0
	s_delay_alu instid0(VALU_DEP_2) | instskip(NEXT) | instid1(VALU_DEP_1)
	v_cmp_eq_u32_e64 s1, 0, v8
	v_cndmask_b32_e64 v0, v9, v0, s1
	scratch_store_b32 off, v0, s32 offset:768 ; 4-byte Folded Spill
.LBB191_383:                            ;   in Loop: Header=BB191_38 Depth=1
	s_or_b32 exec_lo, exec_lo, s12
	v_lshlrev_b32_e32 v0, 16, v7
	s_delay_alu instid0(VALU_DEP_1) | instskip(NEXT) | instid1(VALU_DEP_1)
	v_mul_f32_e32 v0, v74, v0
	v_and_b32_e32 v7, 0x7f800000, v0
	s_delay_alu instid0(VALU_DEP_1) | instskip(NEXT) | instid1(VALU_DEP_1)
	v_cmp_ne_u32_e64 s1, 0x7f800000, v7
                                        ; implicit-def: $vgpr7
                                        ; kill: killed $vgpr7
	s_and_saveexec_b32 s12, s1
	s_delay_alu instid0(SALU_CYCLE_1)
	s_xor_b32 s1, exec_lo, s12
	s_cbranch_execz .LBB191_385
; %bb.384:                              ;   in Loop: Header=BB191_38 Depth=1
	v_bfe_u32 v7, v0, 16, 1
	s_delay_alu instid0(VALU_DEP_1)
	v_add3_u32 v0, v0, v7, 0x7fff
	scratch_store_b32 off, v0, s32 offset:772 ; 4-byte Folded Spill
                                        ; implicit-def: $vgpr0
.LBB191_385:                            ;   in Loop: Header=BB191_38 Depth=1
	s_and_not1_saveexec_b32 s12, s1
	s_cbranch_execz .LBB191_387
; %bb.386:                              ;   in Loop: Header=BB191_38 Depth=1
	v_and_b32_e32 v7, 0xffff, v0
	v_or_b32_e32 v8, 0x10000, v0
	s_delay_alu instid0(VALU_DEP_2) | instskip(NEXT) | instid1(VALU_DEP_1)
	v_cmp_eq_u32_e64 s1, 0, v7
	v_cndmask_b32_e64 v0, v8, v0, s1
	scratch_store_b32 off, v0, s32 offset:772 ; 4-byte Folded Spill
.LBB191_387:                            ;   in Loop: Header=BB191_38 Depth=1
	s_or_b32 exec_lo, exec_lo, s12
	v_lshlrev_b32_e32 v0, 16, v1
	s_delay_alu instid0(VALU_DEP_1) | instskip(NEXT) | instid1(VALU_DEP_1)
	v_mul_f32_e32 v0, v75, v0
	v_and_b32_e32 v1, 0x7f800000, v0
	s_delay_alu instid0(VALU_DEP_1) | instskip(NEXT) | instid1(VALU_DEP_1)
	v_cmp_ne_u32_e64 s1, 0x7f800000, v1
                                        ; implicit-def: $vgpr1
                                        ; kill: killed $vgpr1
	s_and_saveexec_b32 s12, s1
	s_delay_alu instid0(SALU_CYCLE_1)
	s_xor_b32 s1, exec_lo, s12
	s_cbranch_execz .LBB191_389
; %bb.388:                              ;   in Loop: Header=BB191_38 Depth=1
	v_bfe_u32 v1, v0, 16, 1
	s_delay_alu instid0(VALU_DEP_1)
	v_add3_u32 v0, v0, v1, 0x7fff
	scratch_store_b32 off, v0, s32 offset:776 ; 4-byte Folded Spill
                                        ; implicit-def: $vgpr0
.LBB191_389:                            ;   in Loop: Header=BB191_38 Depth=1
	s_and_not1_saveexec_b32 s12, s1
	s_cbranch_execz .LBB191_391
; %bb.390:                              ;   in Loop: Header=BB191_38 Depth=1
	v_and_b32_e32 v1, 0xffff, v0
	v_or_b32_e32 v7, 0x10000, v0
	s_delay_alu instid0(VALU_DEP_2) | instskip(NEXT) | instid1(VALU_DEP_1)
	v_cmp_eq_u32_e64 s1, 0, v1
	v_cndmask_b32_e64 v0, v7, v0, s1
	scratch_store_b32 off, v0, s32 offset:776 ; 4-byte Folded Spill
.LBB191_391:                            ;   in Loop: Header=BB191_38 Depth=1
	s_or_b32 exec_lo, exec_lo, s12
	v_lshlrev_b32_e32 v0, 16, v6
	s_delay_alu instid0(VALU_DEP_1) | instskip(NEXT) | instid1(VALU_DEP_1)
	v_mul_f32_e32 v0, v76, v0
	v_and_b32_e32 v1, 0x7f800000, v0
	s_delay_alu instid0(VALU_DEP_1) | instskip(NEXT) | instid1(VALU_DEP_1)
	v_cmp_ne_u32_e64 s1, 0x7f800000, v1
                                        ; implicit-def: $vgpr1
                                        ; kill: killed $vgpr1
	;; [unrolled: 30-line block ×6, first 2 shown]
	s_and_saveexec_b32 s12, s1
	s_delay_alu instid0(SALU_CYCLE_1)
	s_xor_b32 s1, exec_lo, s12
	s_cbranch_execz .LBB191_409
; %bb.408:                              ;   in Loop: Header=BB191_38 Depth=1
	v_bfe_u32 v1, v0, 16, 1
	s_delay_alu instid0(VALU_DEP_1)
	v_add3_u32 v0, v0, v1, 0x7fff
	scratch_store_b32 off, v0, s32 offset:796 ; 4-byte Folded Spill
                                        ; implicit-def: $vgpr0
.LBB191_409:                            ;   in Loop: Header=BB191_38 Depth=1
	s_and_not1_saveexec_b32 s12, s1
	s_cbranch_execz .LBB191_411
; %bb.410:                              ;   in Loop: Header=BB191_38 Depth=1
	v_and_b32_e32 v1, 0xffff, v0
	v_or_b32_e32 v2, 0x10000, v0
	s_delay_alu instid0(VALU_DEP_2) | instskip(NEXT) | instid1(VALU_DEP_1)
	v_cmp_eq_u32_e64 s1, 0, v1
	v_cndmask_b32_e64 v0, v2, v0, s1
	scratch_store_b32 off, v0, s32 offset:796 ; 4-byte Folded Spill
.LBB191_411:                            ;   in Loop: Header=BB191_38 Depth=1
	s_or_b32 exec_lo, exec_lo, s12
	scratch_load_b32 v0, off, s32 offset:860 ; 4-byte Folded Reload
	s_waitcnt vmcnt(0)
	v_add_co_u32 v0, s1, v63, v0
	s_delay_alu instid0(VALU_DEP_1)
	v_add_co_ci_u32_e64 v1, s1, 0, v72, s1
	flat_load_b128 v[0:3], v[0:1]
	s_waitcnt vmcnt(0) lgkmcnt(0)
	v_lshrrev_b32_e32 v7, 16, v0
	v_lshrrev_b32_e32 v6, 16, v1
	;; [unrolled: 1-line block ×4, first 2 shown]
	s_and_saveexec_b32 s12, vcc_lo
	s_cbranch_execz .LBB191_413
; %bb.412:                              ;   in Loop: Header=BB191_38 Depth=1
	v_cmp_lt_i32_e64 s1, v183, v114
	s_delay_alu instid0(VALU_DEP_1) | instskip(SKIP_1) | instid1(VALU_DEP_1)
	v_cndmask_b32_e64 v0, 0, v0, s1
	v_cmp_lt_i32_e64 s1, v62, v114
	v_cndmask_b32_e64 v7, 0, v7, s1
	v_cmp_lt_i32_e64 s1, v61, v114
	s_delay_alu instid0(VALU_DEP_1) | instskip(SKIP_1) | instid1(VALU_DEP_1)
	v_cndmask_b32_e64 v1, 0, v1, s1
	v_cmp_lt_i32_e64 s1, v60, v114
	v_cndmask_b32_e64 v6, 0, v6, s1
	;; [unrolled: 5-line block ×4, first 2 shown]
.LBB191_413:                            ;   in Loop: Header=BB191_38 Depth=1
	s_or_b32 exec_lo, exec_lo, s12
	v_lshlrev_b32_e32 v0, 16, v0
	s_delay_alu instid0(VALU_DEP_1) | instskip(NEXT) | instid1(VALU_DEP_1)
	v_mul_f32_e32 v0, v73, v0
	v_and_b32_e32 v8, 0x7f800000, v0
	s_delay_alu instid0(VALU_DEP_1) | instskip(NEXT) | instid1(VALU_DEP_1)
	v_cmp_ne_u32_e64 s1, 0x7f800000, v8
                                        ; implicit-def: $vgpr8
                                        ; kill: killed $vgpr8
	s_and_saveexec_b32 s12, s1
	s_delay_alu instid0(SALU_CYCLE_1)
	s_xor_b32 s1, exec_lo, s12
	s_cbranch_execz .LBB191_415
; %bb.414:                              ;   in Loop: Header=BB191_38 Depth=1
	v_bfe_u32 v8, v0, 16, 1
	s_delay_alu instid0(VALU_DEP_1)
	v_add3_u32 v0, v0, v8, 0x7fff
	scratch_store_b32 off, v0, s32 offset:800 ; 4-byte Folded Spill
                                        ; implicit-def: $vgpr0
.LBB191_415:                            ;   in Loop: Header=BB191_38 Depth=1
	s_and_not1_saveexec_b32 s12, s1
	s_cbranch_execz .LBB191_417
; %bb.416:                              ;   in Loop: Header=BB191_38 Depth=1
	v_and_b32_e32 v8, 0xffff, v0
	v_or_b32_e32 v9, 0x10000, v0
	s_delay_alu instid0(VALU_DEP_2) | instskip(NEXT) | instid1(VALU_DEP_1)
	v_cmp_eq_u32_e64 s1, 0, v8
	v_cndmask_b32_e64 v0, v9, v0, s1
	scratch_store_b32 off, v0, s32 offset:800 ; 4-byte Folded Spill
.LBB191_417:                            ;   in Loop: Header=BB191_38 Depth=1
	s_or_b32 exec_lo, exec_lo, s12
	v_lshlrev_b32_e32 v0, 16, v7
	s_delay_alu instid0(VALU_DEP_1) | instskip(NEXT) | instid1(VALU_DEP_1)
	v_mul_f32_e32 v0, v74, v0
	v_and_b32_e32 v7, 0x7f800000, v0
	s_delay_alu instid0(VALU_DEP_1) | instskip(NEXT) | instid1(VALU_DEP_1)
	v_cmp_ne_u32_e64 s1, 0x7f800000, v7
                                        ; implicit-def: $vgpr7
                                        ; kill: killed $vgpr7
	s_and_saveexec_b32 s12, s1
	s_delay_alu instid0(SALU_CYCLE_1)
	s_xor_b32 s1, exec_lo, s12
	s_cbranch_execz .LBB191_419
; %bb.418:                              ;   in Loop: Header=BB191_38 Depth=1
	v_bfe_u32 v7, v0, 16, 1
	s_delay_alu instid0(VALU_DEP_1)
	v_add3_u32 v0, v0, v7, 0x7fff
	scratch_store_b32 off, v0, s32 offset:804 ; 4-byte Folded Spill
                                        ; implicit-def: $vgpr0
.LBB191_419:                            ;   in Loop: Header=BB191_38 Depth=1
	s_and_not1_saveexec_b32 s12, s1
	s_cbranch_execz .LBB191_421
; %bb.420:                              ;   in Loop: Header=BB191_38 Depth=1
	v_and_b32_e32 v7, 0xffff, v0
	v_or_b32_e32 v8, 0x10000, v0
	s_delay_alu instid0(VALU_DEP_2) | instskip(NEXT) | instid1(VALU_DEP_1)
	v_cmp_eq_u32_e64 s1, 0, v7
	v_cndmask_b32_e64 v0, v8, v0, s1
	scratch_store_b32 off, v0, s32 offset:804 ; 4-byte Folded Spill
.LBB191_421:                            ;   in Loop: Header=BB191_38 Depth=1
	s_or_b32 exec_lo, exec_lo, s12
	v_lshlrev_b32_e32 v0, 16, v1
	s_delay_alu instid0(VALU_DEP_1) | instskip(NEXT) | instid1(VALU_DEP_1)
	v_mul_f32_e32 v0, v75, v0
	v_and_b32_e32 v1, 0x7f800000, v0
	s_delay_alu instid0(VALU_DEP_1) | instskip(NEXT) | instid1(VALU_DEP_1)
	v_cmp_ne_u32_e64 s1, 0x7f800000, v1
                                        ; implicit-def: $vgpr1
                                        ; kill: killed $vgpr1
	s_and_saveexec_b32 s12, s1
	s_delay_alu instid0(SALU_CYCLE_1)
	s_xor_b32 s1, exec_lo, s12
	s_cbranch_execz .LBB191_423
; %bb.422:                              ;   in Loop: Header=BB191_38 Depth=1
	v_bfe_u32 v1, v0, 16, 1
	s_delay_alu instid0(VALU_DEP_1)
	v_add3_u32 v0, v0, v1, 0x7fff
	scratch_store_b32 off, v0, s32 offset:808 ; 4-byte Folded Spill
                                        ; implicit-def: $vgpr0
.LBB191_423:                            ;   in Loop: Header=BB191_38 Depth=1
	s_and_not1_saveexec_b32 s12, s1
	s_cbranch_execz .LBB191_425
; %bb.424:                              ;   in Loop: Header=BB191_38 Depth=1
	v_and_b32_e32 v1, 0xffff, v0
	v_or_b32_e32 v7, 0x10000, v0
	s_delay_alu instid0(VALU_DEP_2) | instskip(NEXT) | instid1(VALU_DEP_1)
	v_cmp_eq_u32_e64 s1, 0, v1
	v_cndmask_b32_e64 v0, v7, v0, s1
	scratch_store_b32 off, v0, s32 offset:808 ; 4-byte Folded Spill
.LBB191_425:                            ;   in Loop: Header=BB191_38 Depth=1
	s_or_b32 exec_lo, exec_lo, s12
	v_lshlrev_b32_e32 v0, 16, v6
	s_delay_alu instid0(VALU_DEP_1) | instskip(NEXT) | instid1(VALU_DEP_1)
	v_mul_f32_e32 v0, v76, v0
	v_and_b32_e32 v1, 0x7f800000, v0
	s_delay_alu instid0(VALU_DEP_1) | instskip(NEXT) | instid1(VALU_DEP_1)
	v_cmp_ne_u32_e64 s1, 0x7f800000, v1
                                        ; implicit-def: $vgpr1
                                        ; kill: killed $vgpr1
	s_and_saveexec_b32 s12, s1
	s_delay_alu instid0(SALU_CYCLE_1)
	s_xor_b32 s1, exec_lo, s12
	s_cbranch_execz .LBB191_427
; %bb.426:                              ;   in Loop: Header=BB191_38 Depth=1
	v_bfe_u32 v1, v0, 16, 1
	s_delay_alu instid0(VALU_DEP_1)
	v_add3_u32 v0, v0, v1, 0x7fff
	scratch_store_b32 off, v0, s32 offset:812 ; 4-byte Folded Spill
                                        ; implicit-def: $vgpr0
.LBB191_427:                            ;   in Loop: Header=BB191_38 Depth=1
	s_and_not1_saveexec_b32 s12, s1
	s_cbranch_execz .LBB191_429
; %bb.428:                              ;   in Loop: Header=BB191_38 Depth=1
	v_and_b32_e32 v1, 0xffff, v0
	v_or_b32_e32 v6, 0x10000, v0
	s_delay_alu instid0(VALU_DEP_2) | instskip(NEXT) | instid1(VALU_DEP_1)
	v_cmp_eq_u32_e64 s1, 0, v1
	v_cndmask_b32_e64 v0, v6, v0, s1
	scratch_store_b32 off, v0, s32 offset:812 ; 4-byte Folded Spill
.LBB191_429:                            ;   in Loop: Header=BB191_38 Depth=1
	s_or_b32 exec_lo, exec_lo, s12
	v_lshlrev_b32_e32 v0, 16, v2
                                        ; implicit-def: $vgpr187
	s_delay_alu instid0(VALU_DEP_1) | instskip(NEXT) | instid1(VALU_DEP_1)
	v_mul_f32_e32 v0, v77, v0
	v_and_b32_e32 v1, 0x7f800000, v0
	s_delay_alu instid0(VALU_DEP_1) | instskip(NEXT) | instid1(VALU_DEP_1)
	v_cmp_ne_u32_e64 s1, 0x7f800000, v1
	s_and_saveexec_b32 s12, s1
	s_delay_alu instid0(SALU_CYCLE_1)
	s_xor_b32 s1, exec_lo, s12
; %bb.430:                              ;   in Loop: Header=BB191_38 Depth=1
	v_bfe_u32 v1, v0, 16, 1
	s_delay_alu instid0(VALU_DEP_1)
	v_add3_u32 v187, v0, v1, 0x7fff
                                        ; implicit-def: $vgpr0
; %bb.431:                              ;   in Loop: Header=BB191_38 Depth=1
	s_and_not1_saveexec_b32 s12, s1
; %bb.432:                              ;   in Loop: Header=BB191_38 Depth=1
	v_and_b32_e32 v1, 0xffff, v0
	v_or_b32_e32 v2, 0x10000, v0
	s_delay_alu instid0(VALU_DEP_2) | instskip(NEXT) | instid1(VALU_DEP_1)
	v_cmp_eq_u32_e64 s1, 0, v1
	v_cndmask_b32_e64 v187, v2, v0, s1
; %bb.433:                              ;   in Loop: Header=BB191_38 Depth=1
	s_or_b32 exec_lo, exec_lo, s12
	v_lshlrev_b32_e32 v0, 16, v5
                                        ; implicit-def: $vgpr189
	s_delay_alu instid0(VALU_DEP_1) | instskip(NEXT) | instid1(VALU_DEP_1)
	v_mul_f32_e32 v0, v78, v0
	v_and_b32_e32 v1, 0x7f800000, v0
	s_delay_alu instid0(VALU_DEP_1) | instskip(NEXT) | instid1(VALU_DEP_1)
	v_cmp_ne_u32_e64 s1, 0x7f800000, v1
	s_and_saveexec_b32 s12, s1
	s_delay_alu instid0(SALU_CYCLE_1)
	s_xor_b32 s1, exec_lo, s12
; %bb.434:                              ;   in Loop: Header=BB191_38 Depth=1
	v_bfe_u32 v1, v0, 16, 1
	s_delay_alu instid0(VALU_DEP_1)
	v_add3_u32 v189, v0, v1, 0x7fff
                                        ; implicit-def: $vgpr0
; %bb.435:                              ;   in Loop: Header=BB191_38 Depth=1
	s_and_not1_saveexec_b32 s12, s1
; %bb.436:                              ;   in Loop: Header=BB191_38 Depth=1
	v_and_b32_e32 v1, 0xffff, v0
	v_or_b32_e32 v2, 0x10000, v0
	s_delay_alu instid0(VALU_DEP_2) | instskip(NEXT) | instid1(VALU_DEP_1)
	v_cmp_eq_u32_e64 s1, 0, v1
	v_cndmask_b32_e64 v189, v2, v0, s1
; %bb.437:                              ;   in Loop: Header=BB191_38 Depth=1
	s_or_b32 exec_lo, exec_lo, s12
	v_lshlrev_b32_e32 v0, 16, v3
                                        ; implicit-def: $vgpr188
	s_delay_alu instid0(VALU_DEP_1) | instskip(NEXT) | instid1(VALU_DEP_1)
	v_mul_f32_e32 v0, v79, v0
	v_and_b32_e32 v1, 0x7f800000, v0
	s_delay_alu instid0(VALU_DEP_1) | instskip(NEXT) | instid1(VALU_DEP_1)
	v_cmp_ne_u32_e64 s1, 0x7f800000, v1
	s_and_saveexec_b32 s12, s1
	s_delay_alu instid0(SALU_CYCLE_1)
	s_xor_b32 s1, exec_lo, s12
; %bb.438:                              ;   in Loop: Header=BB191_38 Depth=1
	v_bfe_u32 v1, v0, 16, 1
	s_delay_alu instid0(VALU_DEP_1)
	v_add3_u32 v188, v0, v1, 0x7fff
                                        ; implicit-def: $vgpr0
; %bb.439:                              ;   in Loop: Header=BB191_38 Depth=1
	s_and_not1_saveexec_b32 s12, s1
; %bb.440:                              ;   in Loop: Header=BB191_38 Depth=1
	v_and_b32_e32 v1, 0xffff, v0
	v_or_b32_e32 v2, 0x10000, v0
	s_delay_alu instid0(VALU_DEP_2) | instskip(NEXT) | instid1(VALU_DEP_1)
	v_cmp_eq_u32_e64 s1, 0, v1
	v_cndmask_b32_e64 v188, v2, v0, s1
; %bb.441:                              ;   in Loop: Header=BB191_38 Depth=1
	s_or_b32 exec_lo, exec_lo, s12
	v_lshlrev_b32_e32 v0, 16, v4
                                        ; implicit-def: $vgpr190
	s_delay_alu instid0(VALU_DEP_1) | instskip(NEXT) | instid1(VALU_DEP_1)
	v_mul_f32_e32 v0, v88, v0
	v_and_b32_e32 v1, 0x7f800000, v0
	s_delay_alu instid0(VALU_DEP_1) | instskip(NEXT) | instid1(VALU_DEP_1)
	v_cmp_ne_u32_e64 s1, 0x7f800000, v1
	s_and_saveexec_b32 s12, s1
	s_delay_alu instid0(SALU_CYCLE_1)
	s_xor_b32 s1, exec_lo, s12
; %bb.442:                              ;   in Loop: Header=BB191_38 Depth=1
	v_bfe_u32 v1, v0, 16, 1
	s_delay_alu instid0(VALU_DEP_1)
	v_add3_u32 v190, v0, v1, 0x7fff
                                        ; implicit-def: $vgpr0
; %bb.443:                              ;   in Loop: Header=BB191_38 Depth=1
	s_and_not1_saveexec_b32 s12, s1
; %bb.444:                              ;   in Loop: Header=BB191_38 Depth=1
	v_and_b32_e32 v1, 0xffff, v0
	v_or_b32_e32 v2, 0x10000, v0
	s_delay_alu instid0(VALU_DEP_2) | instskip(NEXT) | instid1(VALU_DEP_1)
	v_cmp_eq_u32_e64 s1, 0, v1
	v_cndmask_b32_e64 v190, v2, v0, s1
; %bb.445:                              ;   in Loop: Header=BB191_38 Depth=1
	s_or_b32 exec_lo, exec_lo, s12
	scratch_load_b32 v0, off, s32 offset:864 ; 4-byte Folded Reload
	s_waitcnt vmcnt(0)
	v_add_co_u32 v0, s1, v63, v0
	s_delay_alu instid0(VALU_DEP_1)
	v_add_co_ci_u32_e64 v1, s1, 0, v72, s1
	flat_load_b128 v[0:3], v[0:1]
	s_waitcnt vmcnt(0) lgkmcnt(0)
	v_lshrrev_b32_e32 v5, 16, v0
	v_lshrrev_b32_e32 v4, 16, v1
	;; [unrolled: 1-line block ×4, first 2 shown]
	s_and_saveexec_b32 s12, vcc_lo
	s_cbranch_execz .LBB191_447
; %bb.446:                              ;   in Loop: Header=BB191_38 Depth=1
	v_cmp_lt_i32_e64 s1, v183, v114
	s_delay_alu instid0(VALU_DEP_1) | instskip(SKIP_1) | instid1(VALU_DEP_1)
	v_cndmask_b32_e64 v0, 0, v0, s1
	v_cmp_lt_i32_e64 s1, v62, v114
	v_cndmask_b32_e64 v5, 0, v5, s1
	v_cmp_lt_i32_e64 s1, v61, v114
	s_delay_alu instid0(VALU_DEP_1) | instskip(SKIP_1) | instid1(VALU_DEP_1)
	v_cndmask_b32_e64 v1, 0, v1, s1
	v_cmp_lt_i32_e64 s1, v60, v114
	v_cndmask_b32_e64 v4, 0, v4, s1
	;; [unrolled: 5-line block ×4, first 2 shown]
.LBB191_447:                            ;   in Loop: Header=BB191_38 Depth=1
	s_or_b32 exec_lo, exec_lo, s12
	v_lshlrev_b32_e32 v0, 16, v0
                                        ; implicit-def: $vgpr191
	s_delay_alu instid0(VALU_DEP_1) | instskip(NEXT) | instid1(VALU_DEP_1)
	v_mul_f32_e32 v0, v73, v0
	v_and_b32_e32 v8, 0x7f800000, v0
	s_delay_alu instid0(VALU_DEP_1) | instskip(NEXT) | instid1(VALU_DEP_1)
	v_cmp_ne_u32_e64 s1, 0x7f800000, v8
	s_and_saveexec_b32 s12, s1
	s_delay_alu instid0(SALU_CYCLE_1)
	s_xor_b32 s1, exec_lo, s12
; %bb.448:                              ;   in Loop: Header=BB191_38 Depth=1
	v_bfe_u32 v8, v0, 16, 1
	s_delay_alu instid0(VALU_DEP_1)
	v_add3_u32 v191, v0, v8, 0x7fff
                                        ; implicit-def: $vgpr0
; %bb.449:                              ;   in Loop: Header=BB191_38 Depth=1
	s_and_not1_saveexec_b32 s12, s1
; %bb.450:                              ;   in Loop: Header=BB191_38 Depth=1
	v_and_b32_e32 v8, 0xffff, v0
	v_or_b32_e32 v9, 0x10000, v0
	s_delay_alu instid0(VALU_DEP_2) | instskip(NEXT) | instid1(VALU_DEP_1)
	v_cmp_eq_u32_e64 s1, 0, v8
	v_cndmask_b32_e64 v191, v9, v0, s1
; %bb.451:                              ;   in Loop: Header=BB191_38 Depth=1
	s_or_b32 exec_lo, exec_lo, s12
	v_lshlrev_b32_e32 v0, 16, v5
                                        ; implicit-def: $vgpr12
	s_delay_alu instid0(VALU_DEP_1) | instskip(NEXT) | instid1(VALU_DEP_1)
	v_mul_f32_e32 v0, v74, v0
	v_and_b32_e32 v5, 0x7f800000, v0
	s_delay_alu instid0(VALU_DEP_1) | instskip(NEXT) | instid1(VALU_DEP_1)
	v_cmp_ne_u32_e64 s1, 0x7f800000, v5
	s_and_saveexec_b32 s12, s1
	s_delay_alu instid0(SALU_CYCLE_1)
	s_xor_b32 s1, exec_lo, s12
; %bb.452:                              ;   in Loop: Header=BB191_38 Depth=1
	v_bfe_u32 v5, v0, 16, 1
	s_delay_alu instid0(VALU_DEP_1)
	v_add3_u32 v12, v0, v5, 0x7fff
                                        ; implicit-def: $vgpr0
; %bb.453:                              ;   in Loop: Header=BB191_38 Depth=1
	s_and_not1_saveexec_b32 s12, s1
; %bb.454:                              ;   in Loop: Header=BB191_38 Depth=1
	v_and_b32_e32 v5, 0xffff, v0
	v_or_b32_e32 v8, 0x10000, v0
	s_delay_alu instid0(VALU_DEP_2) | instskip(NEXT) | instid1(VALU_DEP_1)
	v_cmp_eq_u32_e64 s1, 0, v5
	v_cndmask_b32_e64 v12, v8, v0, s1
; %bb.455:                              ;   in Loop: Header=BB191_38 Depth=1
	s_or_b32 exec_lo, exec_lo, s12
	v_lshlrev_b32_e32 v0, 16, v1
                                        ; implicit-def: $vgpr5
	s_delay_alu instid0(VALU_DEP_1) | instskip(NEXT) | instid1(VALU_DEP_1)
	v_mul_f32_e32 v0, v75, v0
	v_and_b32_e32 v1, 0x7f800000, v0
	s_delay_alu instid0(VALU_DEP_1) | instskip(NEXT) | instid1(VALU_DEP_1)
	v_cmp_ne_u32_e64 s1, 0x7f800000, v1
	s_and_saveexec_b32 s12, s1
	s_delay_alu instid0(SALU_CYCLE_1)
	s_xor_b32 s1, exec_lo, s12
; %bb.456:                              ;   in Loop: Header=BB191_38 Depth=1
	v_bfe_u32 v1, v0, 16, 1
	s_delay_alu instid0(VALU_DEP_1)
	v_add3_u32 v5, v0, v1, 0x7fff
                                        ; implicit-def: $vgpr0
; %bb.457:                              ;   in Loop: Header=BB191_38 Depth=1
	s_and_not1_saveexec_b32 s12, s1
; %bb.458:                              ;   in Loop: Header=BB191_38 Depth=1
	v_and_b32_e32 v1, 0xffff, v0
	v_or_b32_e32 v5, 0x10000, v0
	s_delay_alu instid0(VALU_DEP_2) | instskip(NEXT) | instid1(VALU_DEP_1)
	v_cmp_eq_u32_e64 s1, 0, v1
	v_cndmask_b32_e64 v5, v5, v0, s1
; %bb.459:                              ;   in Loop: Header=BB191_38 Depth=1
	s_or_b32 exec_lo, exec_lo, s12
	v_lshlrev_b32_e32 v0, 16, v4
                                        ; implicit-def: $vgpr4
	s_delay_alu instid0(VALU_DEP_1) | instskip(NEXT) | instid1(VALU_DEP_1)
	v_mul_f32_e32 v0, v76, v0
	v_and_b32_e32 v1, 0x7f800000, v0
	s_delay_alu instid0(VALU_DEP_1) | instskip(NEXT) | instid1(VALU_DEP_1)
	v_cmp_ne_u32_e64 s1, 0x7f800000, v1
	s_and_saveexec_b32 s12, s1
	s_delay_alu instid0(SALU_CYCLE_1)
	s_xor_b32 s1, exec_lo, s12
; %bb.460:                              ;   in Loop: Header=BB191_38 Depth=1
	v_bfe_u32 v1, v0, 16, 1
	s_delay_alu instid0(VALU_DEP_1)
	v_add3_u32 v4, v0, v1, 0x7fff
                                        ; implicit-def: $vgpr0
; %bb.461:                              ;   in Loop: Header=BB191_38 Depth=1
	s_and_not1_saveexec_b32 s12, s1
; %bb.462:                              ;   in Loop: Header=BB191_38 Depth=1
	v_and_b32_e32 v1, 0xffff, v0
	v_or_b32_e32 v4, 0x10000, v0
	s_delay_alu instid0(VALU_DEP_2) | instskip(NEXT) | instid1(VALU_DEP_1)
	v_cmp_eq_u32_e64 s1, 0, v1
	v_cndmask_b32_e64 v4, v4, v0, s1
; %bb.463:                              ;   in Loop: Header=BB191_38 Depth=1
	s_or_b32 exec_lo, exec_lo, s12
	v_lshlrev_b32_e32 v0, 16, v2
                                        ; implicit-def: $vgpr80
	s_delay_alu instid0(VALU_DEP_1) | instskip(NEXT) | instid1(VALU_DEP_1)
	v_mul_f32_e32 v0, v77, v0
	v_and_b32_e32 v1, 0x7f800000, v0
	s_delay_alu instid0(VALU_DEP_1) | instskip(NEXT) | instid1(VALU_DEP_1)
	v_cmp_ne_u32_e64 s1, 0x7f800000, v1
	s_and_saveexec_b32 s12, s1
	s_delay_alu instid0(SALU_CYCLE_1)
	s_xor_b32 s1, exec_lo, s12
; %bb.464:                              ;   in Loop: Header=BB191_38 Depth=1
	v_bfe_u32 v1, v0, 16, 1
	s_delay_alu instid0(VALU_DEP_1)
	v_add3_u32 v80, v0, v1, 0x7fff
                                        ; implicit-def: $vgpr0
; %bb.465:                              ;   in Loop: Header=BB191_38 Depth=1
	s_and_not1_saveexec_b32 s12, s1
; %bb.466:                              ;   in Loop: Header=BB191_38 Depth=1
	v_and_b32_e32 v1, 0xffff, v0
	v_or_b32_e32 v2, 0x10000, v0
	s_delay_alu instid0(VALU_DEP_2) | instskip(NEXT) | instid1(VALU_DEP_1)
	v_cmp_eq_u32_e64 s1, 0, v1
	v_cndmask_b32_e64 v80, v2, v0, s1
; %bb.467:                              ;   in Loop: Header=BB191_38 Depth=1
	s_or_b32 exec_lo, exec_lo, s12
	v_lshlrev_b32_e32 v0, 16, v7
                                        ; implicit-def: $vgpr81
	s_delay_alu instid0(VALU_DEP_1) | instskip(NEXT) | instid1(VALU_DEP_1)
	v_mul_f32_e32 v0, v78, v0
	v_and_b32_e32 v1, 0x7f800000, v0
	s_delay_alu instid0(VALU_DEP_1) | instskip(NEXT) | instid1(VALU_DEP_1)
	v_cmp_ne_u32_e64 s1, 0x7f800000, v1
	s_and_saveexec_b32 s12, s1
	s_delay_alu instid0(SALU_CYCLE_1)
	s_xor_b32 s1, exec_lo, s12
; %bb.468:                              ;   in Loop: Header=BB191_38 Depth=1
	v_bfe_u32 v1, v0, 16, 1
	s_delay_alu instid0(VALU_DEP_1)
	v_add3_u32 v81, v0, v1, 0x7fff
                                        ; implicit-def: $vgpr0
; %bb.469:                              ;   in Loop: Header=BB191_38 Depth=1
	s_and_not1_saveexec_b32 s12, s1
; %bb.470:                              ;   in Loop: Header=BB191_38 Depth=1
	v_and_b32_e32 v1, 0xffff, v0
	v_or_b32_e32 v2, 0x10000, v0
	s_delay_alu instid0(VALU_DEP_2) | instskip(NEXT) | instid1(VALU_DEP_1)
	v_cmp_eq_u32_e64 s1, 0, v1
	v_cndmask_b32_e64 v81, v2, v0, s1
; %bb.471:                              ;   in Loop: Header=BB191_38 Depth=1
	s_or_b32 exec_lo, exec_lo, s12
	v_lshlrev_b32_e32 v0, 16, v3
                                        ; implicit-def: $vgpr83
	s_delay_alu instid0(VALU_DEP_1) | instskip(NEXT) | instid1(VALU_DEP_1)
	v_mul_f32_e32 v0, v79, v0
	v_and_b32_e32 v1, 0x7f800000, v0
	s_delay_alu instid0(VALU_DEP_1) | instskip(NEXT) | instid1(VALU_DEP_1)
	v_cmp_ne_u32_e64 s1, 0x7f800000, v1
	s_and_saveexec_b32 s12, s1
	s_delay_alu instid0(SALU_CYCLE_1)
	s_xor_b32 s1, exec_lo, s12
; %bb.472:                              ;   in Loop: Header=BB191_38 Depth=1
	v_bfe_u32 v1, v0, 16, 1
	s_delay_alu instid0(VALU_DEP_1)
	v_add3_u32 v83, v0, v1, 0x7fff
                                        ; implicit-def: $vgpr0
; %bb.473:                              ;   in Loop: Header=BB191_38 Depth=1
	s_and_not1_saveexec_b32 s12, s1
; %bb.474:                              ;   in Loop: Header=BB191_38 Depth=1
	v_and_b32_e32 v1, 0xffff, v0
	v_or_b32_e32 v2, 0x10000, v0
	s_delay_alu instid0(VALU_DEP_2) | instskip(NEXT) | instid1(VALU_DEP_1)
	v_cmp_eq_u32_e64 s1, 0, v1
	v_cndmask_b32_e64 v83, v2, v0, s1
; %bb.475:                              ;   in Loop: Header=BB191_38 Depth=1
	s_or_b32 exec_lo, exec_lo, s12
	v_lshlrev_b32_e32 v0, 16, v6
                                        ; implicit-def: $vgpr84
	s_delay_alu instid0(VALU_DEP_1) | instskip(NEXT) | instid1(VALU_DEP_1)
	v_mul_f32_e32 v0, v88, v0
	v_and_b32_e32 v1, 0x7f800000, v0
	s_delay_alu instid0(VALU_DEP_1) | instskip(NEXT) | instid1(VALU_DEP_1)
	v_cmp_ne_u32_e64 s1, 0x7f800000, v1
	s_and_saveexec_b32 s12, s1
	s_delay_alu instid0(SALU_CYCLE_1)
	s_xor_b32 s1, exec_lo, s12
; %bb.476:                              ;   in Loop: Header=BB191_38 Depth=1
	v_bfe_u32 v1, v0, 16, 1
	s_delay_alu instid0(VALU_DEP_1)
	v_add3_u32 v84, v0, v1, 0x7fff
                                        ; implicit-def: $vgpr0
; %bb.477:                              ;   in Loop: Header=BB191_38 Depth=1
	s_and_not1_saveexec_b32 s12, s1
; %bb.478:                              ;   in Loop: Header=BB191_38 Depth=1
	v_and_b32_e32 v1, 0xffff, v0
	v_or_b32_e32 v2, 0x10000, v0
	s_delay_alu instid0(VALU_DEP_2) | instskip(NEXT) | instid1(VALU_DEP_1)
	v_cmp_eq_u32_e64 s1, 0, v1
	v_cndmask_b32_e64 v84, v2, v0, s1
; %bb.479:                              ;   in Loop: Header=BB191_38 Depth=1
	s_or_b32 exec_lo, exec_lo, s12
	scratch_load_b32 v0, off, s32 offset:868 ; 4-byte Folded Reload
	s_waitcnt vmcnt(0)
	v_add_co_u32 v0, s1, v63, v0
	s_delay_alu instid0(VALU_DEP_1)
	v_add_co_ci_u32_e64 v1, s1, 0, v72, s1
	flat_load_b128 v[0:3], v[0:1]
	s_waitcnt vmcnt(0) lgkmcnt(0)
	v_lshrrev_b32_e32 v9, 16, v0
	v_lshrrev_b32_e32 v8, 16, v1
	;; [unrolled: 1-line block ×4, first 2 shown]
	s_and_saveexec_b32 s12, vcc_lo
	s_cbranch_execz .LBB191_481
; %bb.480:                              ;   in Loop: Header=BB191_38 Depth=1
	v_cmp_lt_i32_e64 s1, v183, v114
	s_delay_alu instid0(VALU_DEP_1) | instskip(SKIP_1) | instid1(VALU_DEP_1)
	v_cndmask_b32_e64 v0, 0, v0, s1
	v_cmp_lt_i32_e64 s1, v62, v114
	v_cndmask_b32_e64 v9, 0, v9, s1
	v_cmp_lt_i32_e64 s1, v61, v114
	s_delay_alu instid0(VALU_DEP_1) | instskip(SKIP_1) | instid1(VALU_DEP_1)
	v_cndmask_b32_e64 v1, 0, v1, s1
	v_cmp_lt_i32_e64 s1, v60, v114
	v_cndmask_b32_e64 v8, 0, v8, s1
	;; [unrolled: 5-line block ×4, first 2 shown]
.LBB191_481:                            ;   in Loop: Header=BB191_38 Depth=1
	s_or_b32 exec_lo, exec_lo, s12
	v_lshlrev_b32_e32 v0, 16, v0
                                        ; implicit-def: $vgpr85
	s_delay_alu instid0(VALU_DEP_1) | instskip(NEXT) | instid1(VALU_DEP_1)
	v_mul_f32_e32 v0, v73, v0
	v_and_b32_e32 v10, 0x7f800000, v0
	s_delay_alu instid0(VALU_DEP_1) | instskip(NEXT) | instid1(VALU_DEP_1)
	v_cmp_ne_u32_e64 s1, 0x7f800000, v10
	s_and_saveexec_b32 s12, s1
	s_delay_alu instid0(SALU_CYCLE_1)
	s_xor_b32 s1, exec_lo, s12
; %bb.482:                              ;   in Loop: Header=BB191_38 Depth=1
	v_bfe_u32 v10, v0, 16, 1
	s_delay_alu instid0(VALU_DEP_1)
	v_add3_u32 v85, v0, v10, 0x7fff
                                        ; implicit-def: $vgpr0
; %bb.483:                              ;   in Loop: Header=BB191_38 Depth=1
	s_and_not1_saveexec_b32 s12, s1
; %bb.484:                              ;   in Loop: Header=BB191_38 Depth=1
	v_and_b32_e32 v10, 0xffff, v0
	v_or_b32_e32 v11, 0x10000, v0
	s_delay_alu instid0(VALU_DEP_2) | instskip(NEXT) | instid1(VALU_DEP_1)
	v_cmp_eq_u32_e64 s1, 0, v10
	v_cndmask_b32_e64 v85, v11, v0, s1
; %bb.485:                              ;   in Loop: Header=BB191_38 Depth=1
	s_or_b32 exec_lo, exec_lo, s12
	v_lshlrev_b32_e32 v0, 16, v9
                                        ; implicit-def: $vgpr86
	s_delay_alu instid0(VALU_DEP_1) | instskip(NEXT) | instid1(VALU_DEP_1)
	v_mul_f32_e32 v0, v74, v0
	v_and_b32_e32 v9, 0x7f800000, v0
	s_delay_alu instid0(VALU_DEP_1) | instskip(NEXT) | instid1(VALU_DEP_1)
	v_cmp_ne_u32_e64 s1, 0x7f800000, v9
	s_and_saveexec_b32 s12, s1
	s_delay_alu instid0(SALU_CYCLE_1)
	s_xor_b32 s1, exec_lo, s12
; %bb.486:                              ;   in Loop: Header=BB191_38 Depth=1
	v_bfe_u32 v9, v0, 16, 1
	s_delay_alu instid0(VALU_DEP_1)
	v_add3_u32 v86, v0, v9, 0x7fff
                                        ; implicit-def: $vgpr0
; %bb.487:                              ;   in Loop: Header=BB191_38 Depth=1
	s_and_not1_saveexec_b32 s12, s1
; %bb.488:                              ;   in Loop: Header=BB191_38 Depth=1
	v_and_b32_e32 v9, 0xffff, v0
	v_or_b32_e32 v10, 0x10000, v0
	s_delay_alu instid0(VALU_DEP_2) | instskip(NEXT) | instid1(VALU_DEP_1)
	v_cmp_eq_u32_e64 s1, 0, v9
	v_cndmask_b32_e64 v86, v10, v0, s1
; %bb.489:                              ;   in Loop: Header=BB191_38 Depth=1
	s_or_b32 exec_lo, exec_lo, s12
	v_lshlrev_b32_e32 v0, 16, v1
                                        ; implicit-def: $vgpr87
	s_delay_alu instid0(VALU_DEP_1) | instskip(NEXT) | instid1(VALU_DEP_1)
	v_mul_f32_e32 v0, v75, v0
	v_and_b32_e32 v1, 0x7f800000, v0
	s_delay_alu instid0(VALU_DEP_1) | instskip(NEXT) | instid1(VALU_DEP_1)
	v_cmp_ne_u32_e64 s1, 0x7f800000, v1
	s_and_saveexec_b32 s12, s1
	s_delay_alu instid0(SALU_CYCLE_1)
	s_xor_b32 s1, exec_lo, s12
; %bb.490:                              ;   in Loop: Header=BB191_38 Depth=1
	v_bfe_u32 v1, v0, 16, 1
	s_delay_alu instid0(VALU_DEP_1)
	v_add3_u32 v87, v0, v1, 0x7fff
                                        ; implicit-def: $vgpr0
; %bb.491:                              ;   in Loop: Header=BB191_38 Depth=1
	s_and_not1_saveexec_b32 s12, s1
; %bb.492:                              ;   in Loop: Header=BB191_38 Depth=1
	v_and_b32_e32 v1, 0xffff, v0
	v_or_b32_e32 v9, 0x10000, v0
	s_delay_alu instid0(VALU_DEP_2) | instskip(NEXT) | instid1(VALU_DEP_1)
	v_cmp_eq_u32_e64 s1, 0, v1
	v_cndmask_b32_e64 v87, v9, v0, s1
; %bb.493:                              ;   in Loop: Header=BB191_38 Depth=1
	s_or_b32 exec_lo, exec_lo, s12
	v_lshlrev_b32_e32 v0, 16, v8
                                        ; implicit-def: $vgpr96
	s_delay_alu instid0(VALU_DEP_1) | instskip(NEXT) | instid1(VALU_DEP_1)
	v_mul_f32_e32 v0, v76, v0
	v_and_b32_e32 v1, 0x7f800000, v0
	s_delay_alu instid0(VALU_DEP_1) | instskip(NEXT) | instid1(VALU_DEP_1)
	v_cmp_ne_u32_e64 s1, 0x7f800000, v1
	s_and_saveexec_b32 s12, s1
	s_delay_alu instid0(SALU_CYCLE_1)
	s_xor_b32 s1, exec_lo, s12
; %bb.494:                              ;   in Loop: Header=BB191_38 Depth=1
	v_bfe_u32 v1, v0, 16, 1
	s_delay_alu instid0(VALU_DEP_1)
	v_add3_u32 v96, v0, v1, 0x7fff
                                        ; implicit-def: $vgpr0
; %bb.495:                              ;   in Loop: Header=BB191_38 Depth=1
	s_and_not1_saveexec_b32 s12, s1
; %bb.496:                              ;   in Loop: Header=BB191_38 Depth=1
	v_and_b32_e32 v1, 0xffff, v0
	v_or_b32_e32 v8, 0x10000, v0
	s_delay_alu instid0(VALU_DEP_2) | instskip(NEXT) | instid1(VALU_DEP_1)
	v_cmp_eq_u32_e64 s1, 0, v1
	v_cndmask_b32_e64 v96, v8, v0, s1
; %bb.497:                              ;   in Loop: Header=BB191_38 Depth=1
	s_or_b32 exec_lo, exec_lo, s12
	v_lshlrev_b32_e32 v0, 16, v2
                                        ; implicit-def: $vgpr97
	s_delay_alu instid0(VALU_DEP_1) | instskip(NEXT) | instid1(VALU_DEP_1)
	v_mul_f32_e32 v0, v77, v0
	v_and_b32_e32 v1, 0x7f800000, v0
	s_delay_alu instid0(VALU_DEP_1) | instskip(NEXT) | instid1(VALU_DEP_1)
	v_cmp_ne_u32_e64 s1, 0x7f800000, v1
	s_and_saveexec_b32 s12, s1
	s_delay_alu instid0(SALU_CYCLE_1)
	s_xor_b32 s1, exec_lo, s12
; %bb.498:                              ;   in Loop: Header=BB191_38 Depth=1
	v_bfe_u32 v1, v0, 16, 1
	s_delay_alu instid0(VALU_DEP_1)
	v_add3_u32 v97, v0, v1, 0x7fff
                                        ; implicit-def: $vgpr0
; %bb.499:                              ;   in Loop: Header=BB191_38 Depth=1
	s_and_not1_saveexec_b32 s12, s1
; %bb.500:                              ;   in Loop: Header=BB191_38 Depth=1
	v_and_b32_e32 v1, 0xffff, v0
	v_or_b32_e32 v2, 0x10000, v0
	s_delay_alu instid0(VALU_DEP_2) | instskip(NEXT) | instid1(VALU_DEP_1)
	v_cmp_eq_u32_e64 s1, 0, v1
	v_cndmask_b32_e64 v97, v2, v0, s1
; %bb.501:                              ;   in Loop: Header=BB191_38 Depth=1
	s_or_b32 exec_lo, exec_lo, s12
	v_lshlrev_b32_e32 v0, 16, v7
                                        ; implicit-def: $vgpr99
	s_delay_alu instid0(VALU_DEP_1) | instskip(NEXT) | instid1(VALU_DEP_1)
	v_mul_f32_e32 v0, v78, v0
	v_and_b32_e32 v1, 0x7f800000, v0
	s_delay_alu instid0(VALU_DEP_1) | instskip(NEXT) | instid1(VALU_DEP_1)
	v_cmp_ne_u32_e64 s1, 0x7f800000, v1
	s_and_saveexec_b32 s12, s1
	s_delay_alu instid0(SALU_CYCLE_1)
	s_xor_b32 s1, exec_lo, s12
; %bb.502:                              ;   in Loop: Header=BB191_38 Depth=1
	v_bfe_u32 v1, v0, 16, 1
	s_delay_alu instid0(VALU_DEP_1)
	v_add3_u32 v99, v0, v1, 0x7fff
                                        ; implicit-def: $vgpr0
; %bb.503:                              ;   in Loop: Header=BB191_38 Depth=1
	s_and_not1_saveexec_b32 s12, s1
; %bb.504:                              ;   in Loop: Header=BB191_38 Depth=1
	v_and_b32_e32 v1, 0xffff, v0
	v_or_b32_e32 v2, 0x10000, v0
	s_delay_alu instid0(VALU_DEP_2) | instskip(NEXT) | instid1(VALU_DEP_1)
	v_cmp_eq_u32_e64 s1, 0, v1
	v_cndmask_b32_e64 v99, v2, v0, s1
; %bb.505:                              ;   in Loop: Header=BB191_38 Depth=1
	s_or_b32 exec_lo, exec_lo, s12
	v_lshlrev_b32_e32 v0, 16, v3
                                        ; implicit-def: $vgpr98
	s_delay_alu instid0(VALU_DEP_1) | instskip(NEXT) | instid1(VALU_DEP_1)
	v_mul_f32_e32 v0, v79, v0
	v_and_b32_e32 v1, 0x7f800000, v0
	s_delay_alu instid0(VALU_DEP_1) | instskip(NEXT) | instid1(VALU_DEP_1)
	v_cmp_ne_u32_e64 s1, 0x7f800000, v1
	s_and_saveexec_b32 s12, s1
	s_delay_alu instid0(SALU_CYCLE_1)
	s_xor_b32 s1, exec_lo, s12
; %bb.506:                              ;   in Loop: Header=BB191_38 Depth=1
	v_bfe_u32 v1, v0, 16, 1
	s_delay_alu instid0(VALU_DEP_1)
	v_add3_u32 v98, v0, v1, 0x7fff
                                        ; implicit-def: $vgpr0
; %bb.507:                              ;   in Loop: Header=BB191_38 Depth=1
	s_and_not1_saveexec_b32 s12, s1
; %bb.508:                              ;   in Loop: Header=BB191_38 Depth=1
	v_and_b32_e32 v1, 0xffff, v0
	v_or_b32_e32 v2, 0x10000, v0
	s_delay_alu instid0(VALU_DEP_2) | instskip(NEXT) | instid1(VALU_DEP_1)
	v_cmp_eq_u32_e64 s1, 0, v1
	v_cndmask_b32_e64 v98, v2, v0, s1
; %bb.509:                              ;   in Loop: Header=BB191_38 Depth=1
	s_or_b32 exec_lo, exec_lo, s12
	v_lshlrev_b32_e32 v0, 16, v6
                                        ; implicit-def: $vgpr100
	s_delay_alu instid0(VALU_DEP_1) | instskip(NEXT) | instid1(VALU_DEP_1)
	v_mul_f32_e32 v0, v88, v0
	v_and_b32_e32 v1, 0x7f800000, v0
	s_delay_alu instid0(VALU_DEP_1) | instskip(NEXT) | instid1(VALU_DEP_1)
	v_cmp_ne_u32_e64 s1, 0x7f800000, v1
	s_and_saveexec_b32 s12, s1
	s_delay_alu instid0(SALU_CYCLE_1)
	s_xor_b32 s1, exec_lo, s12
; %bb.510:                              ;   in Loop: Header=BB191_38 Depth=1
	v_bfe_u32 v1, v0, 16, 1
	s_delay_alu instid0(VALU_DEP_1)
	v_add3_u32 v100, v0, v1, 0x7fff
                                        ; implicit-def: $vgpr0
; %bb.511:                              ;   in Loop: Header=BB191_38 Depth=1
	s_and_not1_saveexec_b32 s12, s1
; %bb.512:                              ;   in Loop: Header=BB191_38 Depth=1
	v_and_b32_e32 v1, 0xffff, v0
	v_or_b32_e32 v2, 0x10000, v0
	s_delay_alu instid0(VALU_DEP_2) | instskip(NEXT) | instid1(VALU_DEP_1)
	v_cmp_eq_u32_e64 s1, 0, v1
	v_cndmask_b32_e64 v100, v2, v0, s1
; %bb.513:                              ;   in Loop: Header=BB191_38 Depth=1
	s_or_b32 exec_lo, exec_lo, s12
	scratch_load_b32 v0, off, s32 offset:872 ; 4-byte Folded Reload
	s_waitcnt vmcnt(0)
	v_add_co_u32 v0, s1, v63, v0
	s_delay_alu instid0(VALU_DEP_1)
	v_add_co_ci_u32_e64 v1, s1, 0, v72, s1
	flat_load_b128 v[0:3], v[0:1]
	s_waitcnt vmcnt(0) lgkmcnt(0)
	v_lshrrev_b32_e32 v9, 16, v0
	v_lshrrev_b32_e32 v8, 16, v1
	;; [unrolled: 1-line block ×4, first 2 shown]
	s_and_saveexec_b32 s12, vcc_lo
	s_cbranch_execz .LBB191_515
; %bb.514:                              ;   in Loop: Header=BB191_38 Depth=1
	v_cmp_lt_i32_e64 s1, v183, v114
	s_delay_alu instid0(VALU_DEP_1) | instskip(SKIP_1) | instid1(VALU_DEP_1)
	v_cndmask_b32_e64 v0, 0, v0, s1
	v_cmp_lt_i32_e64 s1, v62, v114
	v_cndmask_b32_e64 v9, 0, v9, s1
	v_cmp_lt_i32_e64 s1, v61, v114
	s_delay_alu instid0(VALU_DEP_1) | instskip(SKIP_1) | instid1(VALU_DEP_1)
	v_cndmask_b32_e64 v1, 0, v1, s1
	v_cmp_lt_i32_e64 s1, v60, v114
	v_cndmask_b32_e64 v8, 0, v8, s1
	;; [unrolled: 5-line block ×4, first 2 shown]
.LBB191_515:                            ;   in Loop: Header=BB191_38 Depth=1
	s_or_b32 exec_lo, exec_lo, s12
	v_lshlrev_b32_e32 v0, 16, v0
                                        ; implicit-def: $vgpr101
	s_delay_alu instid0(VALU_DEP_1) | instskip(NEXT) | instid1(VALU_DEP_1)
	v_mul_f32_e32 v0, v73, v0
	v_and_b32_e32 v10, 0x7f800000, v0
	s_delay_alu instid0(VALU_DEP_1) | instskip(NEXT) | instid1(VALU_DEP_1)
	v_cmp_ne_u32_e64 s1, 0x7f800000, v10
	s_and_saveexec_b32 s12, s1
	s_delay_alu instid0(SALU_CYCLE_1)
	s_xor_b32 s1, exec_lo, s12
; %bb.516:                              ;   in Loop: Header=BB191_38 Depth=1
	v_bfe_u32 v10, v0, 16, 1
	s_delay_alu instid0(VALU_DEP_1)
	v_add3_u32 v101, v0, v10, 0x7fff
                                        ; implicit-def: $vgpr0
; %bb.517:                              ;   in Loop: Header=BB191_38 Depth=1
	s_and_not1_saveexec_b32 s12, s1
; %bb.518:                              ;   in Loop: Header=BB191_38 Depth=1
	v_and_b32_e32 v10, 0xffff, v0
	v_or_b32_e32 v11, 0x10000, v0
	s_delay_alu instid0(VALU_DEP_2) | instskip(NEXT) | instid1(VALU_DEP_1)
	v_cmp_eq_u32_e64 s1, 0, v10
	v_cndmask_b32_e64 v101, v11, v0, s1
; %bb.519:                              ;   in Loop: Header=BB191_38 Depth=1
	s_or_b32 exec_lo, exec_lo, s12
	v_lshlrev_b32_e32 v0, 16, v9
                                        ; implicit-def: $vgpr102
	s_delay_alu instid0(VALU_DEP_1) | instskip(NEXT) | instid1(VALU_DEP_1)
	v_mul_f32_e32 v0, v74, v0
	v_and_b32_e32 v9, 0x7f800000, v0
	s_delay_alu instid0(VALU_DEP_1) | instskip(NEXT) | instid1(VALU_DEP_1)
	v_cmp_ne_u32_e64 s1, 0x7f800000, v9
	s_and_saveexec_b32 s12, s1
	s_delay_alu instid0(SALU_CYCLE_1)
	s_xor_b32 s1, exec_lo, s12
; %bb.520:                              ;   in Loop: Header=BB191_38 Depth=1
	v_bfe_u32 v9, v0, 16, 1
	s_delay_alu instid0(VALU_DEP_1)
	v_add3_u32 v102, v0, v9, 0x7fff
                                        ; implicit-def: $vgpr0
; %bb.521:                              ;   in Loop: Header=BB191_38 Depth=1
	s_and_not1_saveexec_b32 s12, s1
; %bb.522:                              ;   in Loop: Header=BB191_38 Depth=1
	v_and_b32_e32 v9, 0xffff, v0
	v_or_b32_e32 v10, 0x10000, v0
	s_delay_alu instid0(VALU_DEP_2) | instskip(NEXT) | instid1(VALU_DEP_1)
	v_cmp_eq_u32_e64 s1, 0, v9
	v_cndmask_b32_e64 v102, v10, v0, s1
; %bb.523:                              ;   in Loop: Header=BB191_38 Depth=1
	s_or_b32 exec_lo, exec_lo, s12
	v_lshlrev_b32_e32 v0, 16, v1
                                        ; implicit-def: $vgpr103
	s_delay_alu instid0(VALU_DEP_1) | instskip(NEXT) | instid1(VALU_DEP_1)
	v_mul_f32_e32 v0, v75, v0
	v_and_b32_e32 v1, 0x7f800000, v0
	s_delay_alu instid0(VALU_DEP_1) | instskip(NEXT) | instid1(VALU_DEP_1)
	v_cmp_ne_u32_e64 s1, 0x7f800000, v1
	s_and_saveexec_b32 s12, s1
	s_delay_alu instid0(SALU_CYCLE_1)
	s_xor_b32 s1, exec_lo, s12
; %bb.524:                              ;   in Loop: Header=BB191_38 Depth=1
	v_bfe_u32 v1, v0, 16, 1
	s_delay_alu instid0(VALU_DEP_1)
	v_add3_u32 v103, v0, v1, 0x7fff
                                        ; implicit-def: $vgpr0
; %bb.525:                              ;   in Loop: Header=BB191_38 Depth=1
	s_and_not1_saveexec_b32 s12, s1
; %bb.526:                              ;   in Loop: Header=BB191_38 Depth=1
	v_and_b32_e32 v1, 0xffff, v0
	v_or_b32_e32 v9, 0x10000, v0
	s_delay_alu instid0(VALU_DEP_2) | instskip(NEXT) | instid1(VALU_DEP_1)
	v_cmp_eq_u32_e64 s1, 0, v1
	v_cndmask_b32_e64 v103, v9, v0, s1
; %bb.527:                              ;   in Loop: Header=BB191_38 Depth=1
	s_or_b32 exec_lo, exec_lo, s12
	v_lshlrev_b32_e32 v0, 16, v8
                                        ; implicit-def: $vgpr112
	s_delay_alu instid0(VALU_DEP_1) | instskip(NEXT) | instid1(VALU_DEP_1)
	v_mul_f32_e32 v0, v76, v0
	v_and_b32_e32 v1, 0x7f800000, v0
	s_delay_alu instid0(VALU_DEP_1) | instskip(NEXT) | instid1(VALU_DEP_1)
	v_cmp_ne_u32_e64 s1, 0x7f800000, v1
	s_and_saveexec_b32 s12, s1
	s_delay_alu instid0(SALU_CYCLE_1)
	s_xor_b32 s1, exec_lo, s12
; %bb.528:                              ;   in Loop: Header=BB191_38 Depth=1
	v_bfe_u32 v1, v0, 16, 1
	s_delay_alu instid0(VALU_DEP_1)
	v_add3_u32 v112, v0, v1, 0x7fff
                                        ; implicit-def: $vgpr0
; %bb.529:                              ;   in Loop: Header=BB191_38 Depth=1
	s_and_not1_saveexec_b32 s12, s1
; %bb.530:                              ;   in Loop: Header=BB191_38 Depth=1
	v_and_b32_e32 v1, 0xffff, v0
	v_or_b32_e32 v8, 0x10000, v0
	s_delay_alu instid0(VALU_DEP_2) | instskip(NEXT) | instid1(VALU_DEP_1)
	v_cmp_eq_u32_e64 s1, 0, v1
	v_cndmask_b32_e64 v112, v8, v0, s1
; %bb.531:                              ;   in Loop: Header=BB191_38 Depth=1
	s_or_b32 exec_lo, exec_lo, s12
	v_lshlrev_b32_e32 v0, 16, v2
                                        ; implicit-def: $vgpr113
	s_delay_alu instid0(VALU_DEP_1) | instskip(NEXT) | instid1(VALU_DEP_1)
	v_mul_f32_e32 v0, v77, v0
	v_and_b32_e32 v1, 0x7f800000, v0
	s_delay_alu instid0(VALU_DEP_1) | instskip(NEXT) | instid1(VALU_DEP_1)
	v_cmp_ne_u32_e64 s1, 0x7f800000, v1
	s_and_saveexec_b32 s12, s1
	s_delay_alu instid0(SALU_CYCLE_1)
	s_xor_b32 s1, exec_lo, s12
; %bb.532:                              ;   in Loop: Header=BB191_38 Depth=1
	v_bfe_u32 v1, v0, 16, 1
	s_delay_alu instid0(VALU_DEP_1)
	v_add3_u32 v113, v0, v1, 0x7fff
                                        ; implicit-def: $vgpr0
; %bb.533:                              ;   in Loop: Header=BB191_38 Depth=1
	s_and_not1_saveexec_b32 s12, s1
; %bb.534:                              ;   in Loop: Header=BB191_38 Depth=1
	v_and_b32_e32 v1, 0xffff, v0
	v_or_b32_e32 v2, 0x10000, v0
	s_delay_alu instid0(VALU_DEP_2) | instskip(NEXT) | instid1(VALU_DEP_1)
	v_cmp_eq_u32_e64 s1, 0, v1
	v_cndmask_b32_e64 v113, v2, v0, s1
; %bb.535:                              ;   in Loop: Header=BB191_38 Depth=1
	s_or_b32 exec_lo, exec_lo, s12
	v_lshlrev_b32_e32 v0, 16, v7
                                        ; implicit-def: $vgpr128
	s_delay_alu instid0(VALU_DEP_1) | instskip(NEXT) | instid1(VALU_DEP_1)
	v_mul_f32_e32 v0, v78, v0
	v_and_b32_e32 v1, 0x7f800000, v0
	s_delay_alu instid0(VALU_DEP_1) | instskip(NEXT) | instid1(VALU_DEP_1)
	v_cmp_ne_u32_e64 s1, 0x7f800000, v1
	s_and_saveexec_b32 s12, s1
	s_delay_alu instid0(SALU_CYCLE_1)
	s_xor_b32 s1, exec_lo, s12
; %bb.536:                              ;   in Loop: Header=BB191_38 Depth=1
	v_bfe_u32 v1, v0, 16, 1
	s_delay_alu instid0(VALU_DEP_1)
	v_add3_u32 v128, v0, v1, 0x7fff
                                        ; implicit-def: $vgpr0
; %bb.537:                              ;   in Loop: Header=BB191_38 Depth=1
	s_and_not1_saveexec_b32 s12, s1
; %bb.538:                              ;   in Loop: Header=BB191_38 Depth=1
	v_and_b32_e32 v1, 0xffff, v0
	v_or_b32_e32 v2, 0x10000, v0
	s_delay_alu instid0(VALU_DEP_2) | instskip(NEXT) | instid1(VALU_DEP_1)
	v_cmp_eq_u32_e64 s1, 0, v1
	v_cndmask_b32_e64 v128, v2, v0, s1
; %bb.539:                              ;   in Loop: Header=BB191_38 Depth=1
	s_or_b32 exec_lo, exec_lo, s12
	v_lshlrev_b32_e32 v0, 16, v3
                                        ; implicit-def: $vgpr129
	s_delay_alu instid0(VALU_DEP_1) | instskip(NEXT) | instid1(VALU_DEP_1)
	v_mul_f32_e32 v0, v79, v0
	v_and_b32_e32 v1, 0x7f800000, v0
	s_delay_alu instid0(VALU_DEP_1) | instskip(NEXT) | instid1(VALU_DEP_1)
	v_cmp_ne_u32_e64 s1, 0x7f800000, v1
	s_and_saveexec_b32 s12, s1
	s_delay_alu instid0(SALU_CYCLE_1)
	s_xor_b32 s1, exec_lo, s12
; %bb.540:                              ;   in Loop: Header=BB191_38 Depth=1
	v_bfe_u32 v1, v0, 16, 1
	s_delay_alu instid0(VALU_DEP_1)
	v_add3_u32 v129, v0, v1, 0x7fff
                                        ; implicit-def: $vgpr0
; %bb.541:                              ;   in Loop: Header=BB191_38 Depth=1
	s_and_not1_saveexec_b32 s12, s1
; %bb.542:                              ;   in Loop: Header=BB191_38 Depth=1
	v_and_b32_e32 v1, 0xffff, v0
	v_or_b32_e32 v2, 0x10000, v0
	s_delay_alu instid0(VALU_DEP_2) | instskip(NEXT) | instid1(VALU_DEP_1)
	v_cmp_eq_u32_e64 s1, 0, v1
	v_cndmask_b32_e64 v129, v2, v0, s1
; %bb.543:                              ;   in Loop: Header=BB191_38 Depth=1
	s_or_b32 exec_lo, exec_lo, s12
	v_lshlrev_b32_e32 v0, 16, v6
                                        ; implicit-def: $vgpr130
	s_delay_alu instid0(VALU_DEP_1) | instskip(NEXT) | instid1(VALU_DEP_1)
	v_mul_f32_e32 v0, v88, v0
	v_and_b32_e32 v1, 0x7f800000, v0
	s_delay_alu instid0(VALU_DEP_1) | instskip(NEXT) | instid1(VALU_DEP_1)
	v_cmp_ne_u32_e64 s1, 0x7f800000, v1
	s_and_saveexec_b32 s12, s1
	s_delay_alu instid0(SALU_CYCLE_1)
	s_xor_b32 s1, exec_lo, s12
; %bb.544:                              ;   in Loop: Header=BB191_38 Depth=1
	v_bfe_u32 v1, v0, 16, 1
	s_delay_alu instid0(VALU_DEP_1)
	v_add3_u32 v130, v0, v1, 0x7fff
                                        ; implicit-def: $vgpr0
; %bb.545:                              ;   in Loop: Header=BB191_38 Depth=1
	s_and_not1_saveexec_b32 s12, s1
; %bb.546:                              ;   in Loop: Header=BB191_38 Depth=1
	v_and_b32_e32 v1, 0xffff, v0
	v_or_b32_e32 v2, 0x10000, v0
	s_delay_alu instid0(VALU_DEP_2) | instskip(NEXT) | instid1(VALU_DEP_1)
	v_cmp_eq_u32_e64 s1, 0, v1
	v_cndmask_b32_e64 v130, v2, v0, s1
; %bb.547:                              ;   in Loop: Header=BB191_38 Depth=1
	s_or_b32 exec_lo, exec_lo, s12
	scratch_load_b32 v0, off, s32 offset:876 ; 4-byte Folded Reload
	s_waitcnt vmcnt(0)
	v_add_co_u32 v0, s1, v63, v0
	s_delay_alu instid0(VALU_DEP_1)
	v_add_co_ci_u32_e64 v1, s1, 0, v72, s1
	flat_load_b128 v[0:3], v[0:1]
	s_waitcnt vmcnt(0) lgkmcnt(0)
	v_lshrrev_b32_e32 v9, 16, v0
	v_lshrrev_b32_e32 v8, 16, v1
	;; [unrolled: 1-line block ×4, first 2 shown]
	s_and_saveexec_b32 s12, vcc_lo
	s_cbranch_execz .LBB191_549
; %bb.548:                              ;   in Loop: Header=BB191_38 Depth=1
	v_cmp_lt_i32_e64 s1, v183, v114
	s_delay_alu instid0(VALU_DEP_1) | instskip(SKIP_1) | instid1(VALU_DEP_1)
	v_cndmask_b32_e64 v0, 0, v0, s1
	v_cmp_lt_i32_e64 s1, v62, v114
	v_cndmask_b32_e64 v9, 0, v9, s1
	v_cmp_lt_i32_e64 s1, v61, v114
	s_delay_alu instid0(VALU_DEP_1) | instskip(SKIP_1) | instid1(VALU_DEP_1)
	v_cndmask_b32_e64 v1, 0, v1, s1
	v_cmp_lt_i32_e64 s1, v60, v114
	v_cndmask_b32_e64 v8, 0, v8, s1
	;; [unrolled: 5-line block ×4, first 2 shown]
.LBB191_549:                            ;   in Loop: Header=BB191_38 Depth=1
	s_or_b32 exec_lo, exec_lo, s12
	v_lshlrev_b32_e32 v0, 16, v0
                                        ; implicit-def: $vgpr131
	s_delay_alu instid0(VALU_DEP_1) | instskip(NEXT) | instid1(VALU_DEP_1)
	v_mul_f32_e32 v0, v73, v0
	v_and_b32_e32 v10, 0x7f800000, v0
	s_delay_alu instid0(VALU_DEP_1) | instskip(NEXT) | instid1(VALU_DEP_1)
	v_cmp_ne_u32_e64 s1, 0x7f800000, v10
	s_and_saveexec_b32 s12, s1
	s_delay_alu instid0(SALU_CYCLE_1)
	s_xor_b32 s1, exec_lo, s12
; %bb.550:                              ;   in Loop: Header=BB191_38 Depth=1
	v_bfe_u32 v10, v0, 16, 1
	s_delay_alu instid0(VALU_DEP_1)
	v_add3_u32 v131, v0, v10, 0x7fff
                                        ; implicit-def: $vgpr0
; %bb.551:                              ;   in Loop: Header=BB191_38 Depth=1
	s_and_not1_saveexec_b32 s12, s1
; %bb.552:                              ;   in Loop: Header=BB191_38 Depth=1
	v_and_b32_e32 v10, 0xffff, v0
	v_or_b32_e32 v11, 0x10000, v0
	s_delay_alu instid0(VALU_DEP_2) | instskip(NEXT) | instid1(VALU_DEP_1)
	v_cmp_eq_u32_e64 s1, 0, v10
	v_cndmask_b32_e64 v131, v11, v0, s1
; %bb.553:                              ;   in Loop: Header=BB191_38 Depth=1
	s_or_b32 exec_lo, exec_lo, s12
	v_lshlrev_b32_e32 v0, 16, v9
                                        ; implicit-def: $vgpr132
	s_delay_alu instid0(VALU_DEP_1) | instskip(NEXT) | instid1(VALU_DEP_1)
	v_mul_f32_e32 v0, v74, v0
	v_and_b32_e32 v9, 0x7f800000, v0
	s_delay_alu instid0(VALU_DEP_1) | instskip(NEXT) | instid1(VALU_DEP_1)
	v_cmp_ne_u32_e64 s1, 0x7f800000, v9
	s_and_saveexec_b32 s12, s1
	s_delay_alu instid0(SALU_CYCLE_1)
	s_xor_b32 s1, exec_lo, s12
; %bb.554:                              ;   in Loop: Header=BB191_38 Depth=1
	v_bfe_u32 v9, v0, 16, 1
	s_delay_alu instid0(VALU_DEP_1)
	v_add3_u32 v132, v0, v9, 0x7fff
                                        ; implicit-def: $vgpr0
; %bb.555:                              ;   in Loop: Header=BB191_38 Depth=1
	s_and_not1_saveexec_b32 s12, s1
; %bb.556:                              ;   in Loop: Header=BB191_38 Depth=1
	v_and_b32_e32 v9, 0xffff, v0
	v_or_b32_e32 v10, 0x10000, v0
	s_delay_alu instid0(VALU_DEP_2) | instskip(NEXT) | instid1(VALU_DEP_1)
	v_cmp_eq_u32_e64 s1, 0, v9
	v_cndmask_b32_e64 v132, v10, v0, s1
; %bb.557:                              ;   in Loop: Header=BB191_38 Depth=1
	s_or_b32 exec_lo, exec_lo, s12
	v_lshlrev_b32_e32 v0, 16, v1
                                        ; implicit-def: $vgpr133
	s_delay_alu instid0(VALU_DEP_1) | instskip(NEXT) | instid1(VALU_DEP_1)
	v_mul_f32_e32 v0, v75, v0
	v_and_b32_e32 v1, 0x7f800000, v0
	s_delay_alu instid0(VALU_DEP_1) | instskip(NEXT) | instid1(VALU_DEP_1)
	v_cmp_ne_u32_e64 s1, 0x7f800000, v1
	s_and_saveexec_b32 s12, s1
	s_delay_alu instid0(SALU_CYCLE_1)
	s_xor_b32 s1, exec_lo, s12
; %bb.558:                              ;   in Loop: Header=BB191_38 Depth=1
	v_bfe_u32 v1, v0, 16, 1
	s_delay_alu instid0(VALU_DEP_1)
	v_add3_u32 v133, v0, v1, 0x7fff
                                        ; implicit-def: $vgpr0
; %bb.559:                              ;   in Loop: Header=BB191_38 Depth=1
	s_and_not1_saveexec_b32 s12, s1
; %bb.560:                              ;   in Loop: Header=BB191_38 Depth=1
	v_and_b32_e32 v1, 0xffff, v0
	v_or_b32_e32 v9, 0x10000, v0
	s_delay_alu instid0(VALU_DEP_2) | instskip(NEXT) | instid1(VALU_DEP_1)
	v_cmp_eq_u32_e64 s1, 0, v1
	v_cndmask_b32_e64 v133, v9, v0, s1
; %bb.561:                              ;   in Loop: Header=BB191_38 Depth=1
	s_or_b32 exec_lo, exec_lo, s12
	v_lshlrev_b32_e32 v0, 16, v8
                                        ; implicit-def: $vgpr134
	s_delay_alu instid0(VALU_DEP_1) | instskip(NEXT) | instid1(VALU_DEP_1)
	v_mul_f32_e32 v0, v76, v0
	v_and_b32_e32 v1, 0x7f800000, v0
	s_delay_alu instid0(VALU_DEP_1) | instskip(NEXT) | instid1(VALU_DEP_1)
	v_cmp_ne_u32_e64 s1, 0x7f800000, v1
	s_and_saveexec_b32 s12, s1
	s_delay_alu instid0(SALU_CYCLE_1)
	s_xor_b32 s1, exec_lo, s12
; %bb.562:                              ;   in Loop: Header=BB191_38 Depth=1
	v_bfe_u32 v1, v0, 16, 1
	s_delay_alu instid0(VALU_DEP_1)
	v_add3_u32 v134, v0, v1, 0x7fff
                                        ; implicit-def: $vgpr0
; %bb.563:                              ;   in Loop: Header=BB191_38 Depth=1
	s_and_not1_saveexec_b32 s12, s1
; %bb.564:                              ;   in Loop: Header=BB191_38 Depth=1
	v_and_b32_e32 v1, 0xffff, v0
	v_or_b32_e32 v8, 0x10000, v0
	s_delay_alu instid0(VALU_DEP_2) | instskip(NEXT) | instid1(VALU_DEP_1)
	v_cmp_eq_u32_e64 s1, 0, v1
	v_cndmask_b32_e64 v134, v8, v0, s1
; %bb.565:                              ;   in Loop: Header=BB191_38 Depth=1
	s_or_b32 exec_lo, exec_lo, s12
	v_lshlrev_b32_e32 v0, 16, v2
                                        ; implicit-def: $vgpr135
	s_delay_alu instid0(VALU_DEP_1) | instskip(NEXT) | instid1(VALU_DEP_1)
	v_mul_f32_e32 v0, v77, v0
	v_and_b32_e32 v1, 0x7f800000, v0
	s_delay_alu instid0(VALU_DEP_1) | instskip(NEXT) | instid1(VALU_DEP_1)
	v_cmp_ne_u32_e64 s1, 0x7f800000, v1
	s_and_saveexec_b32 s12, s1
	s_delay_alu instid0(SALU_CYCLE_1)
	s_xor_b32 s1, exec_lo, s12
; %bb.566:                              ;   in Loop: Header=BB191_38 Depth=1
	v_bfe_u32 v1, v0, 16, 1
	s_delay_alu instid0(VALU_DEP_1)
	v_add3_u32 v135, v0, v1, 0x7fff
                                        ; implicit-def: $vgpr0
; %bb.567:                              ;   in Loop: Header=BB191_38 Depth=1
	s_and_not1_saveexec_b32 s12, s1
; %bb.568:                              ;   in Loop: Header=BB191_38 Depth=1
	v_and_b32_e32 v1, 0xffff, v0
	v_or_b32_e32 v2, 0x10000, v0
	s_delay_alu instid0(VALU_DEP_2) | instskip(NEXT) | instid1(VALU_DEP_1)
	v_cmp_eq_u32_e64 s1, 0, v1
	v_cndmask_b32_e64 v135, v2, v0, s1
; %bb.569:                              ;   in Loop: Header=BB191_38 Depth=1
	s_or_b32 exec_lo, exec_lo, s12
	v_lshlrev_b32_e32 v0, 16, v7
                                        ; implicit-def: $vgpr144
	s_delay_alu instid0(VALU_DEP_1) | instskip(NEXT) | instid1(VALU_DEP_1)
	v_mul_f32_e32 v0, v78, v0
	v_and_b32_e32 v1, 0x7f800000, v0
	s_delay_alu instid0(VALU_DEP_1) | instskip(NEXT) | instid1(VALU_DEP_1)
	v_cmp_ne_u32_e64 s1, 0x7f800000, v1
	s_and_saveexec_b32 s12, s1
	s_delay_alu instid0(SALU_CYCLE_1)
	s_xor_b32 s1, exec_lo, s12
; %bb.570:                              ;   in Loop: Header=BB191_38 Depth=1
	v_bfe_u32 v1, v0, 16, 1
	s_delay_alu instid0(VALU_DEP_1)
	v_add3_u32 v144, v0, v1, 0x7fff
                                        ; implicit-def: $vgpr0
; %bb.571:                              ;   in Loop: Header=BB191_38 Depth=1
	s_and_not1_saveexec_b32 s12, s1
; %bb.572:                              ;   in Loop: Header=BB191_38 Depth=1
	v_and_b32_e32 v1, 0xffff, v0
	v_or_b32_e32 v2, 0x10000, v0
	s_delay_alu instid0(VALU_DEP_2) | instskip(NEXT) | instid1(VALU_DEP_1)
	v_cmp_eq_u32_e64 s1, 0, v1
	v_cndmask_b32_e64 v144, v2, v0, s1
; %bb.573:                              ;   in Loop: Header=BB191_38 Depth=1
	s_or_b32 exec_lo, exec_lo, s12
	v_lshlrev_b32_e32 v0, 16, v3
                                        ; implicit-def: $vgpr145
	s_delay_alu instid0(VALU_DEP_1) | instskip(NEXT) | instid1(VALU_DEP_1)
	v_mul_f32_e32 v0, v79, v0
	v_and_b32_e32 v1, 0x7f800000, v0
	s_delay_alu instid0(VALU_DEP_1) | instskip(NEXT) | instid1(VALU_DEP_1)
	v_cmp_ne_u32_e64 s1, 0x7f800000, v1
	s_and_saveexec_b32 s12, s1
	s_delay_alu instid0(SALU_CYCLE_1)
	s_xor_b32 s1, exec_lo, s12
; %bb.574:                              ;   in Loop: Header=BB191_38 Depth=1
	v_bfe_u32 v1, v0, 16, 1
	s_delay_alu instid0(VALU_DEP_1)
	v_add3_u32 v145, v0, v1, 0x7fff
                                        ; implicit-def: $vgpr0
; %bb.575:                              ;   in Loop: Header=BB191_38 Depth=1
	s_and_not1_saveexec_b32 s12, s1
; %bb.576:                              ;   in Loop: Header=BB191_38 Depth=1
	v_and_b32_e32 v1, 0xffff, v0
	v_or_b32_e32 v2, 0x10000, v0
	s_delay_alu instid0(VALU_DEP_2) | instskip(NEXT) | instid1(VALU_DEP_1)
	v_cmp_eq_u32_e64 s1, 0, v1
	v_cndmask_b32_e64 v145, v2, v0, s1
; %bb.577:                              ;   in Loop: Header=BB191_38 Depth=1
	s_or_b32 exec_lo, exec_lo, s12
	v_lshlrev_b32_e32 v0, 16, v6
                                        ; implicit-def: $vgpr39
	s_delay_alu instid0(VALU_DEP_1) | instskip(NEXT) | instid1(VALU_DEP_1)
	v_mul_f32_e32 v0, v88, v0
	v_and_b32_e32 v1, 0x7f800000, v0
	s_delay_alu instid0(VALU_DEP_1) | instskip(NEXT) | instid1(VALU_DEP_1)
	v_cmp_ne_u32_e64 s1, 0x7f800000, v1
	s_and_saveexec_b32 s12, s1
	s_delay_alu instid0(SALU_CYCLE_1)
	s_xor_b32 s1, exec_lo, s12
; %bb.578:                              ;   in Loop: Header=BB191_38 Depth=1
	v_bfe_u32 v1, v0, 16, 1
	s_delay_alu instid0(VALU_DEP_1)
	v_add3_u32 v39, v0, v1, 0x7fff
                                        ; implicit-def: $vgpr0
; %bb.579:                              ;   in Loop: Header=BB191_38 Depth=1
	s_and_not1_saveexec_b32 s12, s1
; %bb.580:                              ;   in Loop: Header=BB191_38 Depth=1
	v_and_b32_e32 v1, 0xffff, v0
	v_or_b32_e32 v2, 0x10000, v0
	s_delay_alu instid0(VALU_DEP_2) | instskip(NEXT) | instid1(VALU_DEP_1)
	v_cmp_eq_u32_e64 s1, 0, v1
	v_cndmask_b32_e64 v39, v2, v0, s1
; %bb.581:                              ;   in Loop: Header=BB191_38 Depth=1
	s_or_b32 exec_lo, exec_lo, s12
	scratch_load_b32 v0, off, s32 offset:880 ; 4-byte Folded Reload
	s_waitcnt vmcnt(0)
	v_add_co_u32 v0, s1, v63, v0
	s_delay_alu instid0(VALU_DEP_1)
	v_add_co_ci_u32_e64 v1, s1, 0, v72, s1
	flat_load_b128 v[0:3], v[0:1]
	s_waitcnt vmcnt(0) lgkmcnt(0)
	v_lshrrev_b32_e32 v9, 16, v0
	v_lshrrev_b32_e32 v8, 16, v1
	;; [unrolled: 1-line block ×4, first 2 shown]
	s_and_saveexec_b32 s12, vcc_lo
	s_cbranch_execz .LBB191_583
; %bb.582:                              ;   in Loop: Header=BB191_38 Depth=1
	v_cmp_lt_i32_e64 s1, v183, v114
	s_delay_alu instid0(VALU_DEP_1) | instskip(SKIP_1) | instid1(VALU_DEP_1)
	v_cndmask_b32_e64 v0, 0, v0, s1
	v_cmp_lt_i32_e64 s1, v62, v114
	v_cndmask_b32_e64 v9, 0, v9, s1
	v_cmp_lt_i32_e64 s1, v61, v114
	s_delay_alu instid0(VALU_DEP_1) | instskip(SKIP_1) | instid1(VALU_DEP_1)
	v_cndmask_b32_e64 v1, 0, v1, s1
	v_cmp_lt_i32_e64 s1, v60, v114
	v_cndmask_b32_e64 v8, 0, v8, s1
	;; [unrolled: 5-line block ×4, first 2 shown]
.LBB191_583:                            ;   in Loop: Header=BB191_38 Depth=1
	s_or_b32 exec_lo, exec_lo, s12
	v_lshlrev_b32_e32 v0, 16, v0
                                        ; implicit-def: $vgpr21
	s_delay_alu instid0(VALU_DEP_1) | instskip(NEXT) | instid1(VALU_DEP_1)
	v_mul_f32_e32 v0, v73, v0
	v_and_b32_e32 v10, 0x7f800000, v0
	s_delay_alu instid0(VALU_DEP_1) | instskip(NEXT) | instid1(VALU_DEP_1)
	v_cmp_ne_u32_e64 s1, 0x7f800000, v10
	s_and_saveexec_b32 s12, s1
	s_delay_alu instid0(SALU_CYCLE_1)
	s_xor_b32 s1, exec_lo, s12
; %bb.584:                              ;   in Loop: Header=BB191_38 Depth=1
	v_bfe_u32 v10, v0, 16, 1
	s_delay_alu instid0(VALU_DEP_1)
	v_add3_u32 v21, v0, v10, 0x7fff
                                        ; implicit-def: $vgpr0
; %bb.585:                              ;   in Loop: Header=BB191_38 Depth=1
	s_and_not1_saveexec_b32 s12, s1
; %bb.586:                              ;   in Loop: Header=BB191_38 Depth=1
	v_and_b32_e32 v10, 0xffff, v0
	v_or_b32_e32 v11, 0x10000, v0
	s_delay_alu instid0(VALU_DEP_2) | instskip(NEXT) | instid1(VALU_DEP_1)
	v_cmp_eq_u32_e64 s1, 0, v10
	v_cndmask_b32_e64 v21, v11, v0, s1
; %bb.587:                              ;   in Loop: Header=BB191_38 Depth=1
	s_or_b32 exec_lo, exec_lo, s12
	v_lshlrev_b32_e32 v0, 16, v9
                                        ; implicit-def: $vgpr82
	s_delay_alu instid0(VALU_DEP_1) | instskip(NEXT) | instid1(VALU_DEP_1)
	v_mul_f32_e32 v0, v74, v0
	v_and_b32_e32 v9, 0x7f800000, v0
	s_delay_alu instid0(VALU_DEP_1) | instskip(NEXT) | instid1(VALU_DEP_1)
	v_cmp_ne_u32_e64 s1, 0x7f800000, v9
	s_and_saveexec_b32 s12, s1
	s_delay_alu instid0(SALU_CYCLE_1)
	s_xor_b32 s1, exec_lo, s12
; %bb.588:                              ;   in Loop: Header=BB191_38 Depth=1
	v_bfe_u32 v9, v0, 16, 1
	s_delay_alu instid0(VALU_DEP_1)
	v_add3_u32 v82, v0, v9, 0x7fff
                                        ; implicit-def: $vgpr0
; %bb.589:                              ;   in Loop: Header=BB191_38 Depth=1
	s_and_not1_saveexec_b32 s12, s1
; %bb.590:                              ;   in Loop: Header=BB191_38 Depth=1
	v_and_b32_e32 v9, 0xffff, v0
	v_or_b32_e32 v10, 0x10000, v0
	s_delay_alu instid0(VALU_DEP_2) | instskip(NEXT) | instid1(VALU_DEP_1)
	v_cmp_eq_u32_e64 s1, 0, v9
	v_cndmask_b32_e64 v82, v10, v0, s1
; %bb.591:                              ;   in Loop: Header=BB191_38 Depth=1
	s_or_b32 exec_lo, exec_lo, s12
	v_lshlrev_b32_e32 v0, 16, v1
                                        ; implicit-def: $vgpr14
	s_delay_alu instid0(VALU_DEP_1) | instskip(NEXT) | instid1(VALU_DEP_1)
	v_mul_f32_e32 v0, v75, v0
	v_and_b32_e32 v1, 0x7f800000, v0
	s_delay_alu instid0(VALU_DEP_1) | instskip(NEXT) | instid1(VALU_DEP_1)
	v_cmp_ne_u32_e64 s1, 0x7f800000, v1
	s_and_saveexec_b32 s12, s1
	s_delay_alu instid0(SALU_CYCLE_1)
	s_xor_b32 s1, exec_lo, s12
; %bb.592:                              ;   in Loop: Header=BB191_38 Depth=1
	v_bfe_u32 v1, v0, 16, 1
	s_delay_alu instid0(VALU_DEP_1)
	v_add3_u32 v14, v0, v1, 0x7fff
                                        ; implicit-def: $vgpr0
; %bb.593:                              ;   in Loop: Header=BB191_38 Depth=1
	s_and_not1_saveexec_b32 s12, s1
; %bb.594:                              ;   in Loop: Header=BB191_38 Depth=1
	v_and_b32_e32 v1, 0xffff, v0
	v_or_b32_e32 v9, 0x10000, v0
	s_delay_alu instid0(VALU_DEP_2) | instskip(NEXT) | instid1(VALU_DEP_1)
	v_cmp_eq_u32_e64 s1, 0, v1
	v_cndmask_b32_e64 v14, v9, v0, s1
; %bb.595:                              ;   in Loop: Header=BB191_38 Depth=1
	s_or_b32 exec_lo, exec_lo, s12
	v_lshlrev_b32_e32 v0, 16, v8
                                        ; implicit-def: $vgpr15
	s_delay_alu instid0(VALU_DEP_1) | instskip(NEXT) | instid1(VALU_DEP_1)
	v_mul_f32_e32 v0, v76, v0
	v_and_b32_e32 v1, 0x7f800000, v0
	s_delay_alu instid0(VALU_DEP_1) | instskip(NEXT) | instid1(VALU_DEP_1)
	v_cmp_ne_u32_e64 s1, 0x7f800000, v1
	s_and_saveexec_b32 s12, s1
	s_delay_alu instid0(SALU_CYCLE_1)
	s_xor_b32 s1, exec_lo, s12
; %bb.596:                              ;   in Loop: Header=BB191_38 Depth=1
	v_bfe_u32 v1, v0, 16, 1
	s_delay_alu instid0(VALU_DEP_1)
	v_add3_u32 v15, v0, v1, 0x7fff
                                        ; implicit-def: $vgpr0
; %bb.597:                              ;   in Loop: Header=BB191_38 Depth=1
	s_and_not1_saveexec_b32 s12, s1
; %bb.598:                              ;   in Loop: Header=BB191_38 Depth=1
	v_and_b32_e32 v1, 0xffff, v0
	v_or_b32_e32 v8, 0x10000, v0
	s_delay_alu instid0(VALU_DEP_2) | instskip(NEXT) | instid1(VALU_DEP_1)
	v_cmp_eq_u32_e64 s1, 0, v1
	v_cndmask_b32_e64 v15, v8, v0, s1
; %bb.599:                              ;   in Loop: Header=BB191_38 Depth=1
	s_or_b32 exec_lo, exec_lo, s12
	v_lshlrev_b32_e32 v0, 16, v2
                                        ; implicit-def: $vgpr10
	s_delay_alu instid0(VALU_DEP_1) | instskip(NEXT) | instid1(VALU_DEP_1)
	v_mul_f32_e32 v0, v77, v0
	v_and_b32_e32 v1, 0x7f800000, v0
	s_delay_alu instid0(VALU_DEP_1) | instskip(NEXT) | instid1(VALU_DEP_1)
	v_cmp_ne_u32_e64 s1, 0x7f800000, v1
	s_and_saveexec_b32 s12, s1
	s_delay_alu instid0(SALU_CYCLE_1)
	s_xor_b32 s1, exec_lo, s12
; %bb.600:                              ;   in Loop: Header=BB191_38 Depth=1
	v_bfe_u32 v1, v0, 16, 1
	s_delay_alu instid0(VALU_DEP_1)
	v_add3_u32 v10, v0, v1, 0x7fff
                                        ; implicit-def: $vgpr0
; %bb.601:                              ;   in Loop: Header=BB191_38 Depth=1
	s_and_not1_saveexec_b32 s12, s1
; %bb.602:                              ;   in Loop: Header=BB191_38 Depth=1
	v_and_b32_e32 v1, 0xffff, v0
	v_or_b32_e32 v2, 0x10000, v0
	s_delay_alu instid0(VALU_DEP_2) | instskip(NEXT) | instid1(VALU_DEP_1)
	v_cmp_eq_u32_e64 s1, 0, v1
	v_cndmask_b32_e64 v10, v2, v0, s1
; %bb.603:                              ;   in Loop: Header=BB191_38 Depth=1
	s_or_b32 exec_lo, exec_lo, s12
	v_lshlrev_b32_e32 v0, 16, v7
                                        ; implicit-def: $vgpr11
	s_delay_alu instid0(VALU_DEP_1) | instskip(NEXT) | instid1(VALU_DEP_1)
	v_mul_f32_e32 v0, v78, v0
	v_and_b32_e32 v1, 0x7f800000, v0
	s_delay_alu instid0(VALU_DEP_1) | instskip(NEXT) | instid1(VALU_DEP_1)
	v_cmp_ne_u32_e64 s1, 0x7f800000, v1
	s_and_saveexec_b32 s12, s1
	s_delay_alu instid0(SALU_CYCLE_1)
	s_xor_b32 s1, exec_lo, s12
; %bb.604:                              ;   in Loop: Header=BB191_38 Depth=1
	v_bfe_u32 v1, v0, 16, 1
	s_delay_alu instid0(VALU_DEP_1)
	v_add3_u32 v11, v0, v1, 0x7fff
                                        ; implicit-def: $vgpr0
; %bb.605:                              ;   in Loop: Header=BB191_38 Depth=1
	s_and_not1_saveexec_b32 s12, s1
; %bb.606:                              ;   in Loop: Header=BB191_38 Depth=1
	v_and_b32_e32 v1, 0xffff, v0
	v_or_b32_e32 v2, 0x10000, v0
	s_delay_alu instid0(VALU_DEP_2) | instskip(NEXT) | instid1(VALU_DEP_1)
	v_cmp_eq_u32_e64 s1, 0, v1
	v_cndmask_b32_e64 v11, v2, v0, s1
; %bb.607:                              ;   in Loop: Header=BB191_38 Depth=1
	s_or_b32 exec_lo, exec_lo, s12
	v_lshlrev_b32_e32 v0, 16, v3
                                        ; implicit-def: $vgpr119
	s_delay_alu instid0(VALU_DEP_1) | instskip(NEXT) | instid1(VALU_DEP_1)
	v_mul_f32_e32 v0, v79, v0
	v_and_b32_e32 v1, 0x7f800000, v0
	s_delay_alu instid0(VALU_DEP_1) | instskip(NEXT) | instid1(VALU_DEP_1)
	v_cmp_ne_u32_e64 s1, 0x7f800000, v1
	s_and_saveexec_b32 s12, s1
	s_delay_alu instid0(SALU_CYCLE_1)
	s_xor_b32 s1, exec_lo, s12
; %bb.608:                              ;   in Loop: Header=BB191_38 Depth=1
	v_bfe_u32 v1, v0, 16, 1
	s_delay_alu instid0(VALU_DEP_1)
	v_add3_u32 v119, v0, v1, 0x7fff
                                        ; implicit-def: $vgpr0
; %bb.609:                              ;   in Loop: Header=BB191_38 Depth=1
	s_and_not1_saveexec_b32 s12, s1
; %bb.610:                              ;   in Loop: Header=BB191_38 Depth=1
	v_and_b32_e32 v1, 0xffff, v0
	v_or_b32_e32 v2, 0x10000, v0
	s_delay_alu instid0(VALU_DEP_2) | instskip(NEXT) | instid1(VALU_DEP_1)
	v_cmp_eq_u32_e64 s1, 0, v1
	v_cndmask_b32_e64 v119, v2, v0, s1
; %bb.611:                              ;   in Loop: Header=BB191_38 Depth=1
	s_or_b32 exec_lo, exec_lo, s12
	v_lshlrev_b32_e32 v0, 16, v6
                                        ; implicit-def: $vgpr116
	s_delay_alu instid0(VALU_DEP_1) | instskip(NEXT) | instid1(VALU_DEP_1)
	v_mul_f32_e32 v0, v88, v0
	v_and_b32_e32 v1, 0x7f800000, v0
	s_delay_alu instid0(VALU_DEP_1) | instskip(NEXT) | instid1(VALU_DEP_1)
	v_cmp_ne_u32_e64 s1, 0x7f800000, v1
	s_and_saveexec_b32 s12, s1
	s_delay_alu instid0(SALU_CYCLE_1)
	s_xor_b32 s1, exec_lo, s12
; %bb.612:                              ;   in Loop: Header=BB191_38 Depth=1
	v_bfe_u32 v1, v0, 16, 1
	s_delay_alu instid0(VALU_DEP_1)
	v_add3_u32 v116, v0, v1, 0x7fff
                                        ; implicit-def: $vgpr0
; %bb.613:                              ;   in Loop: Header=BB191_38 Depth=1
	s_and_not1_saveexec_b32 s12, s1
; %bb.614:                              ;   in Loop: Header=BB191_38 Depth=1
	v_and_b32_e32 v1, 0xffff, v0
	v_or_b32_e32 v2, 0x10000, v0
	s_delay_alu instid0(VALU_DEP_2) | instskip(NEXT) | instid1(VALU_DEP_1)
	v_cmp_eq_u32_e64 s1, 0, v1
	v_cndmask_b32_e64 v116, v2, v0, s1
; %bb.615:                              ;   in Loop: Header=BB191_38 Depth=1
	s_or_b32 exec_lo, exec_lo, s12
	scratch_load_b32 v0, off, s32 offset:884 ; 4-byte Folded Reload
	s_waitcnt vmcnt(0)
	v_add_co_u32 v0, s1, v63, v0
	s_delay_alu instid0(VALU_DEP_1)
	v_add_co_ci_u32_e64 v1, s1, 0, v72, s1
	flat_load_b128 v[0:3], v[0:1]
	s_waitcnt vmcnt(0) lgkmcnt(0)
	v_lshrrev_b32_e32 v8, 16, v0
	v_lshrrev_b32_e32 v9, 16, v1
	;; [unrolled: 1-line block ×4, first 2 shown]
	s_and_saveexec_b32 s12, vcc_lo
	s_cbranch_execz .LBB191_617
; %bb.616:                              ;   in Loop: Header=BB191_38 Depth=1
	v_cmp_lt_i32_e64 s1, v183, v114
	s_delay_alu instid0(VALU_DEP_1) | instskip(SKIP_1) | instid1(VALU_DEP_1)
	v_cndmask_b32_e64 v0, 0, v0, s1
	v_cmp_lt_i32_e64 s1, v62, v114
	v_cndmask_b32_e64 v8, 0, v8, s1
	v_cmp_lt_i32_e64 s1, v61, v114
	s_delay_alu instid0(VALU_DEP_1) | instskip(SKIP_1) | instid1(VALU_DEP_1)
	v_cndmask_b32_e64 v1, 0, v1, s1
	v_cmp_lt_i32_e64 s1, v60, v114
	v_cndmask_b32_e64 v9, 0, v9, s1
	;; [unrolled: 5-line block ×4, first 2 shown]
.LBB191_617:                            ;   in Loop: Header=BB191_38 Depth=1
	s_or_b32 exec_lo, exec_lo, s12
	v_lshlrev_b32_e32 v0, 16, v0
                                        ; implicit-def: $vgpr117
	s_delay_alu instid0(VALU_DEP_1) | instskip(NEXT) | instid1(VALU_DEP_1)
	v_mul_f32_e32 v0, v73, v0
	v_and_b32_e32 v13, 0x7f800000, v0
	s_delay_alu instid0(VALU_DEP_1) | instskip(NEXT) | instid1(VALU_DEP_1)
	v_cmp_ne_u32_e64 s1, 0x7f800000, v13
	s_and_saveexec_b32 s12, s1
	s_delay_alu instid0(SALU_CYCLE_1)
	s_xor_b32 s1, exec_lo, s12
; %bb.618:                              ;   in Loop: Header=BB191_38 Depth=1
	v_bfe_u32 v13, v0, 16, 1
	s_delay_alu instid0(VALU_DEP_1)
	v_add3_u32 v117, v0, v13, 0x7fff
                                        ; implicit-def: $vgpr0
; %bb.619:                              ;   in Loop: Header=BB191_38 Depth=1
	s_and_not1_saveexec_b32 s12, s1
; %bb.620:                              ;   in Loop: Header=BB191_38 Depth=1
	v_and_b32_e32 v13, 0xffff, v0
	v_or_b32_e32 v16, 0x10000, v0
	s_delay_alu instid0(VALU_DEP_2) | instskip(NEXT) | instid1(VALU_DEP_1)
	v_cmp_eq_u32_e64 s1, 0, v13
	v_cndmask_b32_e64 v117, v16, v0, s1
; %bb.621:                              ;   in Loop: Header=BB191_38 Depth=1
	s_or_b32 exec_lo, exec_lo, s12
	v_lshlrev_b32_e32 v0, 16, v8
                                        ; implicit-def: $vgpr118
	s_delay_alu instid0(VALU_DEP_1) | instskip(NEXT) | instid1(VALU_DEP_1)
	v_mul_f32_e32 v0, v74, v0
	v_and_b32_e32 v8, 0x7f800000, v0
	s_delay_alu instid0(VALU_DEP_1) | instskip(NEXT) | instid1(VALU_DEP_1)
	v_cmp_ne_u32_e64 s1, 0x7f800000, v8
	s_and_saveexec_b32 s12, s1
	s_delay_alu instid0(SALU_CYCLE_1)
	s_xor_b32 s1, exec_lo, s12
; %bb.622:                              ;   in Loop: Header=BB191_38 Depth=1
	v_bfe_u32 v8, v0, 16, 1
	s_delay_alu instid0(VALU_DEP_1)
	v_add3_u32 v118, v0, v8, 0x7fff
                                        ; implicit-def: $vgpr0
; %bb.623:                              ;   in Loop: Header=BB191_38 Depth=1
	s_and_not1_saveexec_b32 s12, s1
; %bb.624:                              ;   in Loop: Header=BB191_38 Depth=1
	v_and_b32_e32 v8, 0xffff, v0
	v_or_b32_e32 v13, 0x10000, v0
	s_delay_alu instid0(VALU_DEP_2) | instskip(NEXT) | instid1(VALU_DEP_1)
	v_cmp_eq_u32_e64 s1, 0, v8
	v_cndmask_b32_e64 v118, v13, v0, s1
; %bb.625:                              ;   in Loop: Header=BB191_38 Depth=1
	s_or_b32 exec_lo, exec_lo, s12
	v_lshlrev_b32_e32 v0, 16, v1
                                        ; implicit-def: $vgpr8
	s_delay_alu instid0(VALU_DEP_1) | instskip(NEXT) | instid1(VALU_DEP_1)
	v_mul_f32_e32 v0, v75, v0
	v_and_b32_e32 v1, 0x7f800000, v0
	s_delay_alu instid0(VALU_DEP_1) | instskip(NEXT) | instid1(VALU_DEP_1)
	v_cmp_ne_u32_e64 s1, 0x7f800000, v1
	s_and_saveexec_b32 s12, s1
	s_delay_alu instid0(SALU_CYCLE_1)
	s_xor_b32 s1, exec_lo, s12
; %bb.626:                              ;   in Loop: Header=BB191_38 Depth=1
	v_bfe_u32 v1, v0, 16, 1
	s_delay_alu instid0(VALU_DEP_1)
	v_add3_u32 v8, v0, v1, 0x7fff
                                        ; implicit-def: $vgpr0
; %bb.627:                              ;   in Loop: Header=BB191_38 Depth=1
	s_and_not1_saveexec_b32 s12, s1
; %bb.628:                              ;   in Loop: Header=BB191_38 Depth=1
	v_and_b32_e32 v1, 0xffff, v0
	v_or_b32_e32 v8, 0x10000, v0
	s_delay_alu instid0(VALU_DEP_2) | instskip(NEXT) | instid1(VALU_DEP_1)
	v_cmp_eq_u32_e64 s1, 0, v1
	v_cndmask_b32_e64 v8, v8, v0, s1
; %bb.629:                              ;   in Loop: Header=BB191_38 Depth=1
	s_or_b32 exec_lo, exec_lo, s12
	v_lshlrev_b32_e32 v0, 16, v9
                                        ; implicit-def: $vgpr22
	s_delay_alu instid0(VALU_DEP_1) | instskip(NEXT) | instid1(VALU_DEP_1)
	v_mul_f32_e32 v0, v76, v0
	v_and_b32_e32 v1, 0x7f800000, v0
	s_delay_alu instid0(VALU_DEP_1) | instskip(NEXT) | instid1(VALU_DEP_1)
	v_cmp_ne_u32_e64 s1, 0x7f800000, v1
	s_and_saveexec_b32 s12, s1
	s_delay_alu instid0(SALU_CYCLE_1)
	s_xor_b32 s1, exec_lo, s12
; %bb.630:                              ;   in Loop: Header=BB191_38 Depth=1
	v_bfe_u32 v1, v0, 16, 1
	s_delay_alu instid0(VALU_DEP_1)
	v_add3_u32 v22, v0, v1, 0x7fff
                                        ; implicit-def: $vgpr0
; %bb.631:                              ;   in Loop: Header=BB191_38 Depth=1
	s_and_not1_saveexec_b32 s12, s1
; %bb.632:                              ;   in Loop: Header=BB191_38 Depth=1
	v_and_b32_e32 v1, 0xffff, v0
	v_or_b32_e32 v9, 0x10000, v0
	s_delay_alu instid0(VALU_DEP_2) | instskip(NEXT) | instid1(VALU_DEP_1)
	v_cmp_eq_u32_e64 s1, 0, v1
	v_cndmask_b32_e64 v22, v9, v0, s1
; %bb.633:                              ;   in Loop: Header=BB191_38 Depth=1
	s_or_b32 exec_lo, exec_lo, s12
	v_lshlrev_b32_e32 v0, 16, v2
                                        ; implicit-def: $vgpr9
	s_delay_alu instid0(VALU_DEP_1) | instskip(NEXT) | instid1(VALU_DEP_1)
	v_mul_f32_e32 v0, v77, v0
	v_and_b32_e32 v1, 0x7f800000, v0
	s_delay_alu instid0(VALU_DEP_1) | instskip(NEXT) | instid1(VALU_DEP_1)
	v_cmp_ne_u32_e64 s1, 0x7f800000, v1
	s_and_saveexec_b32 s12, s1
	s_delay_alu instid0(SALU_CYCLE_1)
	s_xor_b32 s1, exec_lo, s12
; %bb.634:                              ;   in Loop: Header=BB191_38 Depth=1
	v_bfe_u32 v1, v0, 16, 1
	s_delay_alu instid0(VALU_DEP_1)
	v_add3_u32 v9, v0, v1, 0x7fff
                                        ; implicit-def: $vgpr0
; %bb.635:                              ;   in Loop: Header=BB191_38 Depth=1
	s_and_not1_saveexec_b32 s12, s1
; %bb.636:                              ;   in Loop: Header=BB191_38 Depth=1
	v_and_b32_e32 v1, 0xffff, v0
	v_or_b32_e32 v2, 0x10000, v0
	s_delay_alu instid0(VALU_DEP_2) | instskip(NEXT) | instid1(VALU_DEP_1)
	v_cmp_eq_u32_e64 s1, 0, v1
	v_cndmask_b32_e64 v9, v2, v0, s1
; %bb.637:                              ;   in Loop: Header=BB191_38 Depth=1
	s_or_b32 exec_lo, exec_lo, s12
	v_lshlrev_b32_e32 v0, 16, v7
                                        ; implicit-def: $vgpr146
	s_delay_alu instid0(VALU_DEP_1) | instskip(NEXT) | instid1(VALU_DEP_1)
	v_mul_f32_e32 v0, v78, v0
	v_and_b32_e32 v1, 0x7f800000, v0
	s_delay_alu instid0(VALU_DEP_1) | instskip(NEXT) | instid1(VALU_DEP_1)
	v_cmp_ne_u32_e64 s1, 0x7f800000, v1
	s_and_saveexec_b32 s12, s1
	s_delay_alu instid0(SALU_CYCLE_1)
	s_xor_b32 s1, exec_lo, s12
; %bb.638:                              ;   in Loop: Header=BB191_38 Depth=1
	v_bfe_u32 v1, v0, 16, 1
	s_delay_alu instid0(VALU_DEP_1)
	v_add3_u32 v146, v0, v1, 0x7fff
                                        ; implicit-def: $vgpr0
; %bb.639:                              ;   in Loop: Header=BB191_38 Depth=1
	s_and_not1_saveexec_b32 s12, s1
; %bb.640:                              ;   in Loop: Header=BB191_38 Depth=1
	v_and_b32_e32 v1, 0xffff, v0
	v_or_b32_e32 v2, 0x10000, v0
	s_delay_alu instid0(VALU_DEP_2) | instskip(NEXT) | instid1(VALU_DEP_1)
	v_cmp_eq_u32_e64 s1, 0, v1
	v_cndmask_b32_e64 v146, v2, v0, s1
; %bb.641:                              ;   in Loop: Header=BB191_38 Depth=1
	s_or_b32 exec_lo, exec_lo, s12
	v_lshlrev_b32_e32 v0, 16, v3
                                        ; implicit-def: $vgpr24
	s_delay_alu instid0(VALU_DEP_1) | instskip(NEXT) | instid1(VALU_DEP_1)
	v_mul_f32_e32 v0, v79, v0
	v_and_b32_e32 v1, 0x7f800000, v0
	s_delay_alu instid0(VALU_DEP_1) | instskip(NEXT) | instid1(VALU_DEP_1)
	v_cmp_ne_u32_e64 s1, 0x7f800000, v1
	s_and_saveexec_b32 s12, s1
	s_delay_alu instid0(SALU_CYCLE_1)
	s_xor_b32 s1, exec_lo, s12
; %bb.642:                              ;   in Loop: Header=BB191_38 Depth=1
	v_bfe_u32 v1, v0, 16, 1
	s_delay_alu instid0(VALU_DEP_1)
	v_add3_u32 v24, v0, v1, 0x7fff
                                        ; implicit-def: $vgpr0
; %bb.643:                              ;   in Loop: Header=BB191_38 Depth=1
	s_and_not1_saveexec_b32 s12, s1
; %bb.644:                              ;   in Loop: Header=BB191_38 Depth=1
	v_and_b32_e32 v1, 0xffff, v0
	v_or_b32_e32 v2, 0x10000, v0
	s_delay_alu instid0(VALU_DEP_2) | instskip(NEXT) | instid1(VALU_DEP_1)
	v_cmp_eq_u32_e64 s1, 0, v1
	v_cndmask_b32_e64 v24, v2, v0, s1
; %bb.645:                              ;   in Loop: Header=BB191_38 Depth=1
	s_or_b32 exec_lo, exec_lo, s12
	v_lshlrev_b32_e32 v0, 16, v6
                                        ; implicit-def: $vgpr147
	s_delay_alu instid0(VALU_DEP_1) | instskip(NEXT) | instid1(VALU_DEP_1)
	v_mul_f32_e32 v0, v88, v0
	v_and_b32_e32 v1, 0x7f800000, v0
	s_delay_alu instid0(VALU_DEP_1) | instskip(NEXT) | instid1(VALU_DEP_1)
	v_cmp_ne_u32_e64 s1, 0x7f800000, v1
	s_and_saveexec_b32 s12, s1
	s_delay_alu instid0(SALU_CYCLE_1)
	s_xor_b32 s1, exec_lo, s12
; %bb.646:                              ;   in Loop: Header=BB191_38 Depth=1
	v_bfe_u32 v1, v0, 16, 1
	s_delay_alu instid0(VALU_DEP_1)
	v_add3_u32 v147, v0, v1, 0x7fff
                                        ; implicit-def: $vgpr0
; %bb.647:                              ;   in Loop: Header=BB191_38 Depth=1
	s_and_not1_saveexec_b32 s12, s1
; %bb.648:                              ;   in Loop: Header=BB191_38 Depth=1
	v_and_b32_e32 v1, 0xffff, v0
	v_or_b32_e32 v2, 0x10000, v0
	s_delay_alu instid0(VALU_DEP_2) | instskip(NEXT) | instid1(VALU_DEP_1)
	v_cmp_eq_u32_e64 s1, 0, v1
	v_cndmask_b32_e64 v147, v2, v0, s1
; %bb.649:                              ;   in Loop: Header=BB191_38 Depth=1
	s_or_b32 exec_lo, exec_lo, s12
	scratch_load_b32 v0, off, s32 offset:888 ; 4-byte Folded Reload
	s_waitcnt vmcnt(0)
	v_add_co_u32 v0, s1, v63, v0
	s_delay_alu instid0(VALU_DEP_1)
	v_add_co_ci_u32_e64 v1, s1, 0, v72, s1
	flat_load_b128 v[0:3], v[0:1]
	s_waitcnt vmcnt(0) lgkmcnt(0)
	v_lshrrev_b32_e32 v16, 16, v0
	v_lshrrev_b32_e32 v13, 16, v1
	v_lshrrev_b32_e32 v7, 16, v2
	v_lshrrev_b32_e32 v6, 16, v3
	s_and_saveexec_b32 s12, vcc_lo
	s_cbranch_execz .LBB191_651
; %bb.650:                              ;   in Loop: Header=BB191_38 Depth=1
	v_cmp_lt_i32_e64 s1, v183, v114
	s_delay_alu instid0(VALU_DEP_1) | instskip(SKIP_1) | instid1(VALU_DEP_1)
	v_cndmask_b32_e64 v0, 0, v0, s1
	v_cmp_lt_i32_e64 s1, v62, v114
	v_cndmask_b32_e64 v16, 0, v16, s1
	v_cmp_lt_i32_e64 s1, v61, v114
	s_delay_alu instid0(VALU_DEP_1) | instskip(SKIP_1) | instid1(VALU_DEP_1)
	v_cndmask_b32_e64 v1, 0, v1, s1
	v_cmp_lt_i32_e64 s1, v60, v114
	v_cndmask_b32_e64 v13, 0, v13, s1
	;; [unrolled: 5-line block ×4, first 2 shown]
.LBB191_651:                            ;   in Loop: Header=BB191_38 Depth=1
	s_or_b32 exec_lo, exec_lo, s12
	v_lshlrev_b32_e32 v0, 16, v0
                                        ; implicit-def: $vgpr148
	s_delay_alu instid0(VALU_DEP_1) | instskip(NEXT) | instid1(VALU_DEP_1)
	v_mul_f32_e32 v0, v73, v0
	v_and_b32_e32 v17, 0x7f800000, v0
	s_delay_alu instid0(VALU_DEP_1) | instskip(NEXT) | instid1(VALU_DEP_1)
	v_cmp_ne_u32_e64 s1, 0x7f800000, v17
	s_and_saveexec_b32 s12, s1
	s_delay_alu instid0(SALU_CYCLE_1)
	s_xor_b32 s1, exec_lo, s12
; %bb.652:                              ;   in Loop: Header=BB191_38 Depth=1
	v_bfe_u32 v17, v0, 16, 1
	s_delay_alu instid0(VALU_DEP_1)
	v_add3_u32 v148, v0, v17, 0x7fff
                                        ; implicit-def: $vgpr0
; %bb.653:                              ;   in Loop: Header=BB191_38 Depth=1
	s_and_not1_saveexec_b32 s12, s1
; %bb.654:                              ;   in Loop: Header=BB191_38 Depth=1
	v_and_b32_e32 v17, 0xffff, v0
	v_or_b32_e32 v18, 0x10000, v0
	s_delay_alu instid0(VALU_DEP_2) | instskip(NEXT) | instid1(VALU_DEP_1)
	v_cmp_eq_u32_e64 s1, 0, v17
	v_cndmask_b32_e64 v148, v18, v0, s1
; %bb.655:                              ;   in Loop: Header=BB191_38 Depth=1
	s_or_b32 exec_lo, exec_lo, s12
	v_lshlrev_b32_e32 v0, 16, v16
                                        ; implicit-def: $vgpr149
	s_delay_alu instid0(VALU_DEP_1) | instskip(NEXT) | instid1(VALU_DEP_1)
	v_mul_f32_e32 v0, v74, v0
	v_and_b32_e32 v16, 0x7f800000, v0
	s_delay_alu instid0(VALU_DEP_1) | instskip(NEXT) | instid1(VALU_DEP_1)
	v_cmp_ne_u32_e64 s1, 0x7f800000, v16
	s_and_saveexec_b32 s12, s1
	s_delay_alu instid0(SALU_CYCLE_1)
	s_xor_b32 s1, exec_lo, s12
; %bb.656:                              ;   in Loop: Header=BB191_38 Depth=1
	v_bfe_u32 v16, v0, 16, 1
	s_delay_alu instid0(VALU_DEP_1)
	v_add3_u32 v149, v0, v16, 0x7fff
                                        ; implicit-def: $vgpr0
; %bb.657:                              ;   in Loop: Header=BB191_38 Depth=1
	s_and_not1_saveexec_b32 s12, s1
; %bb.658:                              ;   in Loop: Header=BB191_38 Depth=1
	v_and_b32_e32 v16, 0xffff, v0
	v_or_b32_e32 v17, 0x10000, v0
	s_delay_alu instid0(VALU_DEP_2) | instskip(NEXT) | instid1(VALU_DEP_1)
	v_cmp_eq_u32_e64 s1, 0, v16
	v_cndmask_b32_e64 v149, v17, v0, s1
; %bb.659:                              ;   in Loop: Header=BB191_38 Depth=1
	s_or_b32 exec_lo, exec_lo, s12
	v_lshlrev_b32_e32 v0, 16, v1
                                        ; implicit-def: $vgpr150
	s_delay_alu instid0(VALU_DEP_1) | instskip(NEXT) | instid1(VALU_DEP_1)
	v_mul_f32_e32 v0, v75, v0
	v_and_b32_e32 v1, 0x7f800000, v0
	s_delay_alu instid0(VALU_DEP_1) | instskip(NEXT) | instid1(VALU_DEP_1)
	v_cmp_ne_u32_e64 s1, 0x7f800000, v1
	s_and_saveexec_b32 s12, s1
	s_delay_alu instid0(SALU_CYCLE_1)
	s_xor_b32 s1, exec_lo, s12
; %bb.660:                              ;   in Loop: Header=BB191_38 Depth=1
	v_bfe_u32 v1, v0, 16, 1
	s_delay_alu instid0(VALU_DEP_1)
	v_add3_u32 v150, v0, v1, 0x7fff
                                        ; implicit-def: $vgpr0
; %bb.661:                              ;   in Loop: Header=BB191_38 Depth=1
	s_and_not1_saveexec_b32 s12, s1
; %bb.662:                              ;   in Loop: Header=BB191_38 Depth=1
	v_and_b32_e32 v1, 0xffff, v0
	v_or_b32_e32 v16, 0x10000, v0
	s_delay_alu instid0(VALU_DEP_2) | instskip(NEXT) | instid1(VALU_DEP_1)
	v_cmp_eq_u32_e64 s1, 0, v1
	v_cndmask_b32_e64 v150, v16, v0, s1
; %bb.663:                              ;   in Loop: Header=BB191_38 Depth=1
	s_or_b32 exec_lo, exec_lo, s12
	v_lshlrev_b32_e32 v0, 16, v13
                                        ; implicit-def: $vgpr151
	s_delay_alu instid0(VALU_DEP_1) | instskip(NEXT) | instid1(VALU_DEP_1)
	v_mul_f32_e32 v0, v76, v0
	v_and_b32_e32 v1, 0x7f800000, v0
	s_delay_alu instid0(VALU_DEP_1) | instskip(NEXT) | instid1(VALU_DEP_1)
	v_cmp_ne_u32_e64 s1, 0x7f800000, v1
	s_and_saveexec_b32 s12, s1
	s_delay_alu instid0(SALU_CYCLE_1)
	s_xor_b32 s1, exec_lo, s12
; %bb.664:                              ;   in Loop: Header=BB191_38 Depth=1
	v_bfe_u32 v1, v0, 16, 1
	s_delay_alu instid0(VALU_DEP_1)
	v_add3_u32 v151, v0, v1, 0x7fff
                                        ; implicit-def: $vgpr0
; %bb.665:                              ;   in Loop: Header=BB191_38 Depth=1
	s_and_not1_saveexec_b32 s12, s1
; %bb.666:                              ;   in Loop: Header=BB191_38 Depth=1
	v_and_b32_e32 v1, 0xffff, v0
	v_or_b32_e32 v13, 0x10000, v0
	s_delay_alu instid0(VALU_DEP_2) | instskip(NEXT) | instid1(VALU_DEP_1)
	v_cmp_eq_u32_e64 s1, 0, v1
	v_cndmask_b32_e64 v151, v13, v0, s1
; %bb.667:                              ;   in Loop: Header=BB191_38 Depth=1
	s_or_b32 exec_lo, exec_lo, s12
	v_lshlrev_b32_e32 v0, 16, v2
                                        ; implicit-def: $vgpr13
	s_delay_alu instid0(VALU_DEP_1) | instskip(NEXT) | instid1(VALU_DEP_1)
	v_mul_f32_e32 v0, v77, v0
	v_and_b32_e32 v1, 0x7f800000, v0
	s_delay_alu instid0(VALU_DEP_1) | instskip(NEXT) | instid1(VALU_DEP_1)
	v_cmp_ne_u32_e64 s1, 0x7f800000, v1
	s_and_saveexec_b32 s12, s1
	s_delay_alu instid0(SALU_CYCLE_1)
	s_xor_b32 s1, exec_lo, s12
; %bb.668:                              ;   in Loop: Header=BB191_38 Depth=1
	v_bfe_u32 v1, v0, 16, 1
	s_delay_alu instid0(VALU_DEP_1)
	v_add3_u32 v13, v0, v1, 0x7fff
                                        ; implicit-def: $vgpr0
; %bb.669:                              ;   in Loop: Header=BB191_38 Depth=1
	s_and_not1_saveexec_b32 s12, s1
; %bb.670:                              ;   in Loop: Header=BB191_38 Depth=1
	v_and_b32_e32 v1, 0xffff, v0
	v_or_b32_e32 v2, 0x10000, v0
	s_delay_alu instid0(VALU_DEP_2) | instskip(NEXT) | instid1(VALU_DEP_1)
	v_cmp_eq_u32_e64 s1, 0, v1
	v_cndmask_b32_e64 v13, v2, v0, s1
; %bb.671:                              ;   in Loop: Header=BB191_38 Depth=1
	s_or_b32 exec_lo, exec_lo, s12
	v_lshlrev_b32_e32 v0, 16, v7
                                        ; implicit-def: $vgpr160
	s_delay_alu instid0(VALU_DEP_1) | instskip(NEXT) | instid1(VALU_DEP_1)
	v_mul_f32_e32 v0, v78, v0
	v_and_b32_e32 v1, 0x7f800000, v0
	s_delay_alu instid0(VALU_DEP_1) | instskip(NEXT) | instid1(VALU_DEP_1)
	v_cmp_ne_u32_e64 s1, 0x7f800000, v1
	s_and_saveexec_b32 s12, s1
	s_delay_alu instid0(SALU_CYCLE_1)
	s_xor_b32 s1, exec_lo, s12
; %bb.672:                              ;   in Loop: Header=BB191_38 Depth=1
	v_bfe_u32 v1, v0, 16, 1
	s_delay_alu instid0(VALU_DEP_1)
	v_add3_u32 v160, v0, v1, 0x7fff
                                        ; implicit-def: $vgpr0
; %bb.673:                              ;   in Loop: Header=BB191_38 Depth=1
	s_and_not1_saveexec_b32 s12, s1
; %bb.674:                              ;   in Loop: Header=BB191_38 Depth=1
	v_and_b32_e32 v1, 0xffff, v0
	v_or_b32_e32 v2, 0x10000, v0
	s_delay_alu instid0(VALU_DEP_2) | instskip(NEXT) | instid1(VALU_DEP_1)
	v_cmp_eq_u32_e64 s1, 0, v1
	v_cndmask_b32_e64 v160, v2, v0, s1
; %bb.675:                              ;   in Loop: Header=BB191_38 Depth=1
	s_or_b32 exec_lo, exec_lo, s12
	v_lshlrev_b32_e32 v0, 16, v3
                                        ; implicit-def: $vgpr16
	s_delay_alu instid0(VALU_DEP_1) | instskip(NEXT) | instid1(VALU_DEP_1)
	v_mul_f32_e32 v0, v79, v0
	v_and_b32_e32 v1, 0x7f800000, v0
	s_delay_alu instid0(VALU_DEP_1) | instskip(NEXT) | instid1(VALU_DEP_1)
	v_cmp_ne_u32_e64 s1, 0x7f800000, v1
	s_and_saveexec_b32 s12, s1
	s_delay_alu instid0(SALU_CYCLE_1)
	s_xor_b32 s1, exec_lo, s12
; %bb.676:                              ;   in Loop: Header=BB191_38 Depth=1
	v_bfe_u32 v1, v0, 16, 1
	s_delay_alu instid0(VALU_DEP_1)
	v_add3_u32 v16, v0, v1, 0x7fff
                                        ; implicit-def: $vgpr0
; %bb.677:                              ;   in Loop: Header=BB191_38 Depth=1
	s_and_not1_saveexec_b32 s12, s1
; %bb.678:                              ;   in Loop: Header=BB191_38 Depth=1
	v_and_b32_e32 v1, 0xffff, v0
	v_or_b32_e32 v2, 0x10000, v0
	s_delay_alu instid0(VALU_DEP_2) | instskip(NEXT) | instid1(VALU_DEP_1)
	v_cmp_eq_u32_e64 s1, 0, v1
	v_cndmask_b32_e64 v16, v2, v0, s1
; %bb.679:                              ;   in Loop: Header=BB191_38 Depth=1
	s_or_b32 exec_lo, exec_lo, s12
	v_lshlrev_b32_e32 v0, 16, v6
                                        ; implicit-def: $vgpr161
	s_delay_alu instid0(VALU_DEP_1) | instskip(NEXT) | instid1(VALU_DEP_1)
	v_mul_f32_e32 v0, v88, v0
	v_and_b32_e32 v1, 0x7f800000, v0
	s_delay_alu instid0(VALU_DEP_1) | instskip(NEXT) | instid1(VALU_DEP_1)
	v_cmp_ne_u32_e64 s1, 0x7f800000, v1
	s_and_saveexec_b32 s12, s1
	s_delay_alu instid0(SALU_CYCLE_1)
	s_xor_b32 s1, exec_lo, s12
; %bb.680:                              ;   in Loop: Header=BB191_38 Depth=1
	v_bfe_u32 v1, v0, 16, 1
	s_delay_alu instid0(VALU_DEP_1)
	v_add3_u32 v161, v0, v1, 0x7fff
                                        ; implicit-def: $vgpr0
; %bb.681:                              ;   in Loop: Header=BB191_38 Depth=1
	s_and_not1_saveexec_b32 s12, s1
; %bb.682:                              ;   in Loop: Header=BB191_38 Depth=1
	v_and_b32_e32 v1, 0xffff, v0
	v_or_b32_e32 v2, 0x10000, v0
	s_delay_alu instid0(VALU_DEP_2) | instskip(NEXT) | instid1(VALU_DEP_1)
	v_cmp_eq_u32_e64 s1, 0, v1
	v_cndmask_b32_e64 v161, v2, v0, s1
; %bb.683:                              ;   in Loop: Header=BB191_38 Depth=1
	s_or_b32 exec_lo, exec_lo, s12
	scratch_load_b32 v0, off, s32 offset:892 ; 4-byte Folded Reload
	s_waitcnt vmcnt(0)
	v_add_co_u32 v0, s1, v63, v0
	s_delay_alu instid0(VALU_DEP_1)
	v_add_co_ci_u32_e64 v1, s1, 0, v72, s1
	flat_load_b128 v[0:3], v[0:1]
	s_waitcnt vmcnt(0) lgkmcnt(0)
	v_lshrrev_b32_e32 v18, 16, v0
	v_lshrrev_b32_e32 v17, 16, v1
	;; [unrolled: 1-line block ×4, first 2 shown]
	s_and_saveexec_b32 s12, vcc_lo
	s_cbranch_execz .LBB191_685
; %bb.684:                              ;   in Loop: Header=BB191_38 Depth=1
	v_cmp_lt_i32_e64 s1, v183, v114
	s_delay_alu instid0(VALU_DEP_1) | instskip(SKIP_1) | instid1(VALU_DEP_1)
	v_cndmask_b32_e64 v0, 0, v0, s1
	v_cmp_lt_i32_e64 s1, v62, v114
	v_cndmask_b32_e64 v18, 0, v18, s1
	v_cmp_lt_i32_e64 s1, v61, v114
	s_delay_alu instid0(VALU_DEP_1) | instskip(SKIP_1) | instid1(VALU_DEP_1)
	v_cndmask_b32_e64 v1, 0, v1, s1
	v_cmp_lt_i32_e64 s1, v60, v114
	v_cndmask_b32_e64 v17, 0, v17, s1
	;; [unrolled: 5-line block ×4, first 2 shown]
.LBB191_685:                            ;   in Loop: Header=BB191_38 Depth=1
	s_or_b32 exec_lo, exec_lo, s12
	v_lshlrev_b32_e32 v0, 16, v0
                                        ; implicit-def: $vgpr162
	s_delay_alu instid0(VALU_DEP_1) | instskip(NEXT) | instid1(VALU_DEP_1)
	v_mul_f32_e32 v0, v73, v0
	v_and_b32_e32 v19, 0x7f800000, v0
	s_delay_alu instid0(VALU_DEP_1) | instskip(NEXT) | instid1(VALU_DEP_1)
	v_cmp_ne_u32_e64 s1, 0x7f800000, v19
	s_and_saveexec_b32 s12, s1
	s_delay_alu instid0(SALU_CYCLE_1)
	s_xor_b32 s1, exec_lo, s12
; %bb.686:                              ;   in Loop: Header=BB191_38 Depth=1
	v_bfe_u32 v19, v0, 16, 1
	s_delay_alu instid0(VALU_DEP_1)
	v_add3_u32 v162, v0, v19, 0x7fff
                                        ; implicit-def: $vgpr0
; %bb.687:                              ;   in Loop: Header=BB191_38 Depth=1
	s_and_not1_saveexec_b32 s12, s1
; %bb.688:                              ;   in Loop: Header=BB191_38 Depth=1
	v_and_b32_e32 v19, 0xffff, v0
	v_or_b32_e32 v20, 0x10000, v0
	s_delay_alu instid0(VALU_DEP_2) | instskip(NEXT) | instid1(VALU_DEP_1)
	v_cmp_eq_u32_e64 s1, 0, v19
	v_cndmask_b32_e64 v162, v20, v0, s1
; %bb.689:                              ;   in Loop: Header=BB191_38 Depth=1
	s_or_b32 exec_lo, exec_lo, s12
	v_lshlrev_b32_e32 v0, 16, v18
                                        ; implicit-def: $vgpr163
	s_delay_alu instid0(VALU_DEP_1) | instskip(NEXT) | instid1(VALU_DEP_1)
	v_mul_f32_e32 v0, v74, v0
	v_and_b32_e32 v18, 0x7f800000, v0
	s_delay_alu instid0(VALU_DEP_1) | instskip(NEXT) | instid1(VALU_DEP_1)
	v_cmp_ne_u32_e64 s1, 0x7f800000, v18
	s_and_saveexec_b32 s12, s1
	s_delay_alu instid0(SALU_CYCLE_1)
	s_xor_b32 s1, exec_lo, s12
; %bb.690:                              ;   in Loop: Header=BB191_38 Depth=1
	v_bfe_u32 v18, v0, 16, 1
	s_delay_alu instid0(VALU_DEP_1)
	v_add3_u32 v163, v0, v18, 0x7fff
                                        ; implicit-def: $vgpr0
; %bb.691:                              ;   in Loop: Header=BB191_38 Depth=1
	s_and_not1_saveexec_b32 s12, s1
; %bb.692:                              ;   in Loop: Header=BB191_38 Depth=1
	v_and_b32_e32 v18, 0xffff, v0
	v_or_b32_e32 v19, 0x10000, v0
	s_delay_alu instid0(VALU_DEP_2) | instskip(NEXT) | instid1(VALU_DEP_1)
	v_cmp_eq_u32_e64 s1, 0, v18
	v_cndmask_b32_e64 v163, v19, v0, s1
; %bb.693:                              ;   in Loop: Header=BB191_38 Depth=1
	s_or_b32 exec_lo, exec_lo, s12
	v_lshlrev_b32_e32 v0, 16, v1
                                        ; implicit-def: $vgpr164
	s_delay_alu instid0(VALU_DEP_1) | instskip(NEXT) | instid1(VALU_DEP_1)
	v_mul_f32_e32 v0, v75, v0
	v_and_b32_e32 v1, 0x7f800000, v0
	s_delay_alu instid0(VALU_DEP_1) | instskip(NEXT) | instid1(VALU_DEP_1)
	v_cmp_ne_u32_e64 s1, 0x7f800000, v1
	s_and_saveexec_b32 s12, s1
	s_delay_alu instid0(SALU_CYCLE_1)
	s_xor_b32 s1, exec_lo, s12
; %bb.694:                              ;   in Loop: Header=BB191_38 Depth=1
	v_bfe_u32 v1, v0, 16, 1
	s_delay_alu instid0(VALU_DEP_1)
	v_add3_u32 v164, v0, v1, 0x7fff
                                        ; implicit-def: $vgpr0
; %bb.695:                              ;   in Loop: Header=BB191_38 Depth=1
	s_and_not1_saveexec_b32 s12, s1
; %bb.696:                              ;   in Loop: Header=BB191_38 Depth=1
	v_and_b32_e32 v1, 0xffff, v0
	v_or_b32_e32 v18, 0x10000, v0
	s_delay_alu instid0(VALU_DEP_2) | instskip(NEXT) | instid1(VALU_DEP_1)
	v_cmp_eq_u32_e64 s1, 0, v1
	v_cndmask_b32_e64 v164, v18, v0, s1
; %bb.697:                              ;   in Loop: Header=BB191_38 Depth=1
	s_or_b32 exec_lo, exec_lo, s12
	v_lshlrev_b32_e32 v0, 16, v17
                                        ; implicit-def: $vgpr165
	s_delay_alu instid0(VALU_DEP_1) | instskip(NEXT) | instid1(VALU_DEP_1)
	v_mul_f32_e32 v0, v76, v0
	v_and_b32_e32 v1, 0x7f800000, v0
	s_delay_alu instid0(VALU_DEP_1) | instskip(NEXT) | instid1(VALU_DEP_1)
	v_cmp_ne_u32_e64 s1, 0x7f800000, v1
	s_and_saveexec_b32 s12, s1
	s_delay_alu instid0(SALU_CYCLE_1)
	s_xor_b32 s1, exec_lo, s12
; %bb.698:                              ;   in Loop: Header=BB191_38 Depth=1
	v_bfe_u32 v1, v0, 16, 1
	s_delay_alu instid0(VALU_DEP_1)
	v_add3_u32 v165, v0, v1, 0x7fff
                                        ; implicit-def: $vgpr0
; %bb.699:                              ;   in Loop: Header=BB191_38 Depth=1
	s_and_not1_saveexec_b32 s12, s1
; %bb.700:                              ;   in Loop: Header=BB191_38 Depth=1
	v_and_b32_e32 v1, 0xffff, v0
	v_or_b32_e32 v17, 0x10000, v0
	s_delay_alu instid0(VALU_DEP_2) | instskip(NEXT) | instid1(VALU_DEP_1)
	v_cmp_eq_u32_e64 s1, 0, v1
	v_cndmask_b32_e64 v165, v17, v0, s1
; %bb.701:                              ;   in Loop: Header=BB191_38 Depth=1
	s_or_b32 exec_lo, exec_lo, s12
	v_lshlrev_b32_e32 v0, 16, v2
                                        ; implicit-def: $vgpr166
	s_delay_alu instid0(VALU_DEP_1) | instskip(NEXT) | instid1(VALU_DEP_1)
	v_mul_f32_e32 v0, v77, v0
	v_and_b32_e32 v1, 0x7f800000, v0
	s_delay_alu instid0(VALU_DEP_1) | instskip(NEXT) | instid1(VALU_DEP_1)
	v_cmp_ne_u32_e64 s1, 0x7f800000, v1
	s_and_saveexec_b32 s12, s1
	s_delay_alu instid0(SALU_CYCLE_1)
	s_xor_b32 s1, exec_lo, s12
; %bb.702:                              ;   in Loop: Header=BB191_38 Depth=1
	v_bfe_u32 v1, v0, 16, 1
	s_delay_alu instid0(VALU_DEP_1)
	v_add3_u32 v166, v0, v1, 0x7fff
                                        ; implicit-def: $vgpr0
; %bb.703:                              ;   in Loop: Header=BB191_38 Depth=1
	s_and_not1_saveexec_b32 s12, s1
; %bb.704:                              ;   in Loop: Header=BB191_38 Depth=1
	v_and_b32_e32 v1, 0xffff, v0
	v_or_b32_e32 v2, 0x10000, v0
	s_delay_alu instid0(VALU_DEP_2) | instskip(NEXT) | instid1(VALU_DEP_1)
	v_cmp_eq_u32_e64 s1, 0, v1
	v_cndmask_b32_e64 v166, v2, v0, s1
; %bb.705:                              ;   in Loop: Header=BB191_38 Depth=1
	s_or_b32 exec_lo, exec_lo, s12
	v_lshlrev_b32_e32 v0, 16, v7
                                        ; implicit-def: $vgpr176
	s_delay_alu instid0(VALU_DEP_1) | instskip(NEXT) | instid1(VALU_DEP_1)
	v_mul_f32_e32 v0, v78, v0
	v_and_b32_e32 v1, 0x7f800000, v0
	s_delay_alu instid0(VALU_DEP_1) | instskip(NEXT) | instid1(VALU_DEP_1)
	v_cmp_ne_u32_e64 s1, 0x7f800000, v1
	s_and_saveexec_b32 s12, s1
	s_delay_alu instid0(SALU_CYCLE_1)
	s_xor_b32 s1, exec_lo, s12
; %bb.706:                              ;   in Loop: Header=BB191_38 Depth=1
	v_bfe_u32 v1, v0, 16, 1
	s_delay_alu instid0(VALU_DEP_1)
	v_add3_u32 v176, v0, v1, 0x7fff
                                        ; implicit-def: $vgpr0
; %bb.707:                              ;   in Loop: Header=BB191_38 Depth=1
	s_and_not1_saveexec_b32 s12, s1
; %bb.708:                              ;   in Loop: Header=BB191_38 Depth=1
	v_and_b32_e32 v1, 0xffff, v0
	v_or_b32_e32 v2, 0x10000, v0
	s_delay_alu instid0(VALU_DEP_2) | instskip(NEXT) | instid1(VALU_DEP_1)
	v_cmp_eq_u32_e64 s1, 0, v1
	v_cndmask_b32_e64 v176, v2, v0, s1
; %bb.709:                              ;   in Loop: Header=BB191_38 Depth=1
	s_or_b32 exec_lo, exec_lo, s12
	v_lshlrev_b32_e32 v0, 16, v3
                                        ; implicit-def: $vgpr167
	s_delay_alu instid0(VALU_DEP_1) | instskip(NEXT) | instid1(VALU_DEP_1)
	v_mul_f32_e32 v0, v79, v0
	v_and_b32_e32 v1, 0x7f800000, v0
	s_delay_alu instid0(VALU_DEP_1) | instskip(NEXT) | instid1(VALU_DEP_1)
	v_cmp_ne_u32_e64 s1, 0x7f800000, v1
	s_and_saveexec_b32 s12, s1
	s_delay_alu instid0(SALU_CYCLE_1)
	s_xor_b32 s1, exec_lo, s12
; %bb.710:                              ;   in Loop: Header=BB191_38 Depth=1
	v_bfe_u32 v1, v0, 16, 1
	s_delay_alu instid0(VALU_DEP_1)
	v_add3_u32 v167, v0, v1, 0x7fff
                                        ; implicit-def: $vgpr0
; %bb.711:                              ;   in Loop: Header=BB191_38 Depth=1
	s_and_not1_saveexec_b32 s12, s1
; %bb.712:                              ;   in Loop: Header=BB191_38 Depth=1
	v_and_b32_e32 v1, 0xffff, v0
	v_or_b32_e32 v2, 0x10000, v0
	s_delay_alu instid0(VALU_DEP_2) | instskip(NEXT) | instid1(VALU_DEP_1)
	v_cmp_eq_u32_e64 s1, 0, v1
	v_cndmask_b32_e64 v167, v2, v0, s1
; %bb.713:                              ;   in Loop: Header=BB191_38 Depth=1
	s_or_b32 exec_lo, exec_lo, s12
	v_lshlrev_b32_e32 v0, 16, v6
                                        ; implicit-def: $vgpr177
	s_delay_alu instid0(VALU_DEP_1) | instskip(NEXT) | instid1(VALU_DEP_1)
	v_mul_f32_e32 v0, v88, v0
	v_and_b32_e32 v1, 0x7f800000, v0
	s_delay_alu instid0(VALU_DEP_1) | instskip(NEXT) | instid1(VALU_DEP_1)
	v_cmp_ne_u32_e64 s1, 0x7f800000, v1
	s_and_saveexec_b32 s12, s1
	s_delay_alu instid0(SALU_CYCLE_1)
	s_xor_b32 s1, exec_lo, s12
; %bb.714:                              ;   in Loop: Header=BB191_38 Depth=1
	v_bfe_u32 v1, v0, 16, 1
	s_delay_alu instid0(VALU_DEP_1)
	v_add3_u32 v177, v0, v1, 0x7fff
                                        ; implicit-def: $vgpr0
; %bb.715:                              ;   in Loop: Header=BB191_38 Depth=1
	s_and_not1_saveexec_b32 s12, s1
; %bb.716:                              ;   in Loop: Header=BB191_38 Depth=1
	v_and_b32_e32 v1, 0xffff, v0
	v_or_b32_e32 v2, 0x10000, v0
	s_delay_alu instid0(VALU_DEP_2) | instskip(NEXT) | instid1(VALU_DEP_1)
	v_cmp_eq_u32_e64 s1, 0, v1
	v_cndmask_b32_e64 v177, v2, v0, s1
; %bb.717:                              ;   in Loop: Header=BB191_38 Depth=1
	s_or_b32 exec_lo, exec_lo, s12
	scratch_load_b32 v0, off, s32 offset:896 ; 4-byte Folded Reload
	s_waitcnt vmcnt(0)
	v_add_co_u32 v0, s1, v63, v0
	s_delay_alu instid0(VALU_DEP_1)
	v_add_co_ci_u32_e64 v1, s1, 0, v72, s1
	flat_load_b128 v[0:3], v[0:1]
	s_waitcnt vmcnt(0) lgkmcnt(0)
	v_lshrrev_b32_e32 v18, 16, v0
	v_lshrrev_b32_e32 v17, 16, v1
	;; [unrolled: 1-line block ×4, first 2 shown]
	s_and_saveexec_b32 s12, vcc_lo
	s_cbranch_execz .LBB191_719
; %bb.718:                              ;   in Loop: Header=BB191_38 Depth=1
	v_cmp_lt_i32_e64 s1, v183, v114
	s_delay_alu instid0(VALU_DEP_1) | instskip(SKIP_1) | instid1(VALU_DEP_1)
	v_cndmask_b32_e64 v0, 0, v0, s1
	v_cmp_lt_i32_e64 s1, v62, v114
	v_cndmask_b32_e64 v18, 0, v18, s1
	v_cmp_lt_i32_e64 s1, v61, v114
	s_delay_alu instid0(VALU_DEP_1) | instskip(SKIP_1) | instid1(VALU_DEP_1)
	v_cndmask_b32_e64 v1, 0, v1, s1
	v_cmp_lt_i32_e64 s1, v60, v114
	v_cndmask_b32_e64 v17, 0, v17, s1
	;; [unrolled: 5-line block ×4, first 2 shown]
.LBB191_719:                            ;   in Loop: Header=BB191_38 Depth=1
	s_or_b32 exec_lo, exec_lo, s12
	v_lshlrev_b32_e32 v0, 16, v0
                                        ; implicit-def: $vgpr178
	s_delay_alu instid0(VALU_DEP_1) | instskip(NEXT) | instid1(VALU_DEP_1)
	v_mul_f32_e32 v0, v73, v0
	v_and_b32_e32 v19, 0x7f800000, v0
	s_delay_alu instid0(VALU_DEP_1) | instskip(NEXT) | instid1(VALU_DEP_1)
	v_cmp_ne_u32_e64 s1, 0x7f800000, v19
	s_and_saveexec_b32 s12, s1
	s_delay_alu instid0(SALU_CYCLE_1)
	s_xor_b32 s1, exec_lo, s12
; %bb.720:                              ;   in Loop: Header=BB191_38 Depth=1
	v_bfe_u32 v19, v0, 16, 1
	s_delay_alu instid0(VALU_DEP_1)
	v_add3_u32 v178, v0, v19, 0x7fff
                                        ; implicit-def: $vgpr0
; %bb.721:                              ;   in Loop: Header=BB191_38 Depth=1
	s_and_not1_saveexec_b32 s12, s1
; %bb.722:                              ;   in Loop: Header=BB191_38 Depth=1
	v_and_b32_e32 v19, 0xffff, v0
	v_or_b32_e32 v20, 0x10000, v0
	s_delay_alu instid0(VALU_DEP_2) | instskip(NEXT) | instid1(VALU_DEP_1)
	v_cmp_eq_u32_e64 s1, 0, v19
	v_cndmask_b32_e64 v178, v20, v0, s1
; %bb.723:                              ;   in Loop: Header=BB191_38 Depth=1
	s_or_b32 exec_lo, exec_lo, s12
	v_lshlrev_b32_e32 v0, 16, v18
                                        ; implicit-def: $vgpr179
	s_delay_alu instid0(VALU_DEP_1) | instskip(NEXT) | instid1(VALU_DEP_1)
	v_mul_f32_e32 v0, v74, v0
	v_and_b32_e32 v18, 0x7f800000, v0
	s_delay_alu instid0(VALU_DEP_1) | instskip(NEXT) | instid1(VALU_DEP_1)
	v_cmp_ne_u32_e64 s1, 0x7f800000, v18
	s_and_saveexec_b32 s12, s1
	s_delay_alu instid0(SALU_CYCLE_1)
	s_xor_b32 s1, exec_lo, s12
; %bb.724:                              ;   in Loop: Header=BB191_38 Depth=1
	v_bfe_u32 v18, v0, 16, 1
	s_delay_alu instid0(VALU_DEP_1)
	v_add3_u32 v179, v0, v18, 0x7fff
                                        ; implicit-def: $vgpr0
; %bb.725:                              ;   in Loop: Header=BB191_38 Depth=1
	s_and_not1_saveexec_b32 s12, s1
; %bb.726:                              ;   in Loop: Header=BB191_38 Depth=1
	v_and_b32_e32 v18, 0xffff, v0
	v_or_b32_e32 v19, 0x10000, v0
	s_delay_alu instid0(VALU_DEP_2) | instskip(NEXT) | instid1(VALU_DEP_1)
	v_cmp_eq_u32_e64 s1, 0, v18
	v_cndmask_b32_e64 v179, v19, v0, s1
; %bb.727:                              ;   in Loop: Header=BB191_38 Depth=1
	s_or_b32 exec_lo, exec_lo, s12
	v_lshlrev_b32_e32 v0, 16, v1
                                        ; implicit-def: $vgpr180
	s_delay_alu instid0(VALU_DEP_1) | instskip(NEXT) | instid1(VALU_DEP_1)
	v_mul_f32_e32 v0, v75, v0
	v_and_b32_e32 v1, 0x7f800000, v0
	s_delay_alu instid0(VALU_DEP_1) | instskip(NEXT) | instid1(VALU_DEP_1)
	v_cmp_ne_u32_e64 s1, 0x7f800000, v1
	s_and_saveexec_b32 s12, s1
	s_delay_alu instid0(SALU_CYCLE_1)
	s_xor_b32 s1, exec_lo, s12
; %bb.728:                              ;   in Loop: Header=BB191_38 Depth=1
	v_bfe_u32 v1, v0, 16, 1
	s_delay_alu instid0(VALU_DEP_1)
	v_add3_u32 v180, v0, v1, 0x7fff
                                        ; implicit-def: $vgpr0
; %bb.729:                              ;   in Loop: Header=BB191_38 Depth=1
	s_and_not1_saveexec_b32 s12, s1
; %bb.730:                              ;   in Loop: Header=BB191_38 Depth=1
	v_and_b32_e32 v1, 0xffff, v0
	v_or_b32_e32 v18, 0x10000, v0
	s_delay_alu instid0(VALU_DEP_2) | instskip(NEXT) | instid1(VALU_DEP_1)
	v_cmp_eq_u32_e64 s1, 0, v1
	v_cndmask_b32_e64 v180, v18, v0, s1
; %bb.731:                              ;   in Loop: Header=BB191_38 Depth=1
	s_or_b32 exec_lo, exec_lo, s12
	v_lshlrev_b32_e32 v0, 16, v17
                                        ; implicit-def: $vgpr181
	s_delay_alu instid0(VALU_DEP_1) | instskip(NEXT) | instid1(VALU_DEP_1)
	v_mul_f32_e32 v0, v76, v0
	v_and_b32_e32 v1, 0x7f800000, v0
	s_delay_alu instid0(VALU_DEP_1) | instskip(NEXT) | instid1(VALU_DEP_1)
	v_cmp_ne_u32_e64 s1, 0x7f800000, v1
	s_and_saveexec_b32 s12, s1
	s_delay_alu instid0(SALU_CYCLE_1)
	s_xor_b32 s1, exec_lo, s12
; %bb.732:                              ;   in Loop: Header=BB191_38 Depth=1
	v_bfe_u32 v1, v0, 16, 1
	s_delay_alu instid0(VALU_DEP_1)
	v_add3_u32 v181, v0, v1, 0x7fff
                                        ; implicit-def: $vgpr0
; %bb.733:                              ;   in Loop: Header=BB191_38 Depth=1
	s_and_not1_saveexec_b32 s12, s1
; %bb.734:                              ;   in Loop: Header=BB191_38 Depth=1
	v_and_b32_e32 v1, 0xffff, v0
	v_or_b32_e32 v17, 0x10000, v0
	s_delay_alu instid0(VALU_DEP_2) | instskip(NEXT) | instid1(VALU_DEP_1)
	v_cmp_eq_u32_e64 s1, 0, v1
	v_cndmask_b32_e64 v181, v17, v0, s1
; %bb.735:                              ;   in Loop: Header=BB191_38 Depth=1
	s_or_b32 exec_lo, exec_lo, s12
	v_lshlrev_b32_e32 v0, 16, v2
                                        ; implicit-def: $vgpr182
	s_delay_alu instid0(VALU_DEP_1) | instskip(NEXT) | instid1(VALU_DEP_1)
	v_mul_f32_e32 v0, v77, v0
	v_and_b32_e32 v1, 0x7f800000, v0
	s_delay_alu instid0(VALU_DEP_1) | instskip(NEXT) | instid1(VALU_DEP_1)
	v_cmp_ne_u32_e64 s1, 0x7f800000, v1
	s_and_saveexec_b32 s12, s1
	s_delay_alu instid0(SALU_CYCLE_1)
	s_xor_b32 s1, exec_lo, s12
; %bb.736:                              ;   in Loop: Header=BB191_38 Depth=1
	v_bfe_u32 v1, v0, 16, 1
	s_delay_alu instid0(VALU_DEP_1)
	v_add3_u32 v182, v0, v1, 0x7fff
                                        ; implicit-def: $vgpr0
; %bb.737:                              ;   in Loop: Header=BB191_38 Depth=1
	s_and_not1_saveexec_b32 s12, s1
; %bb.738:                              ;   in Loop: Header=BB191_38 Depth=1
	v_and_b32_e32 v1, 0xffff, v0
	v_or_b32_e32 v2, 0x10000, v0
	s_delay_alu instid0(VALU_DEP_2) | instskip(NEXT) | instid1(VALU_DEP_1)
	v_cmp_eq_u32_e64 s1, 0, v1
	v_cndmask_b32_e64 v182, v2, v0, s1
; %bb.739:                              ;   in Loop: Header=BB191_38 Depth=1
	s_or_b32 exec_lo, exec_lo, s12
	v_lshlrev_b32_e32 v0, 16, v7
                                        ; implicit-def: $vgpr40
	s_delay_alu instid0(VALU_DEP_1) | instskip(NEXT) | instid1(VALU_DEP_1)
	v_mul_f32_e32 v0, v78, v0
	v_and_b32_e32 v1, 0x7f800000, v0
	s_delay_alu instid0(VALU_DEP_1) | instskip(NEXT) | instid1(VALU_DEP_1)
	v_cmp_ne_u32_e64 s1, 0x7f800000, v1
	s_and_saveexec_b32 s12, s1
	s_delay_alu instid0(SALU_CYCLE_1)
	s_xor_b32 s1, exec_lo, s12
; %bb.740:                              ;   in Loop: Header=BB191_38 Depth=1
	v_bfe_u32 v1, v0, 16, 1
	s_delay_alu instid0(VALU_DEP_1)
	v_add3_u32 v40, v0, v1, 0x7fff
                                        ; implicit-def: $vgpr0
; %bb.741:                              ;   in Loop: Header=BB191_38 Depth=1
	s_and_not1_saveexec_b32 s12, s1
; %bb.742:                              ;   in Loop: Header=BB191_38 Depth=1
	v_and_b32_e32 v1, 0xffff, v0
	v_or_b32_e32 v2, 0x10000, v0
	s_delay_alu instid0(VALU_DEP_2) | instskip(NEXT) | instid1(VALU_DEP_1)
	v_cmp_eq_u32_e64 s1, 0, v1
	v_cndmask_b32_e64 v40, v2, v0, s1
; %bb.743:                              ;   in Loop: Header=BB191_38 Depth=1
	s_or_b32 exec_lo, exec_lo, s12
	v_lshlrev_b32_e32 v0, 16, v3
                                        ; implicit-def: $vgpr41
	s_delay_alu instid0(VALU_DEP_1) | instskip(NEXT) | instid1(VALU_DEP_1)
	v_mul_f32_e32 v0, v79, v0
	v_and_b32_e32 v1, 0x7f800000, v0
	s_delay_alu instid0(VALU_DEP_1) | instskip(NEXT) | instid1(VALU_DEP_1)
	v_cmp_ne_u32_e64 s1, 0x7f800000, v1
	s_and_saveexec_b32 s12, s1
	s_delay_alu instid0(SALU_CYCLE_1)
	s_xor_b32 s1, exec_lo, s12
; %bb.744:                              ;   in Loop: Header=BB191_38 Depth=1
	v_bfe_u32 v1, v0, 16, 1
	s_delay_alu instid0(VALU_DEP_1)
	v_add3_u32 v41, v0, v1, 0x7fff
                                        ; implicit-def: $vgpr0
; %bb.745:                              ;   in Loop: Header=BB191_38 Depth=1
	s_and_not1_saveexec_b32 s12, s1
; %bb.746:                              ;   in Loop: Header=BB191_38 Depth=1
	v_and_b32_e32 v1, 0xffff, v0
	v_or_b32_e32 v2, 0x10000, v0
	s_delay_alu instid0(VALU_DEP_2) | instskip(NEXT) | instid1(VALU_DEP_1)
	v_cmp_eq_u32_e64 s1, 0, v1
	v_cndmask_b32_e64 v41, v2, v0, s1
; %bb.747:                              ;   in Loop: Header=BB191_38 Depth=1
	s_or_b32 exec_lo, exec_lo, s12
	v_lshlrev_b32_e32 v0, 16, v6
                                        ; implicit-def: $vgpr42
	s_delay_alu instid0(VALU_DEP_1) | instskip(NEXT) | instid1(VALU_DEP_1)
	v_mul_f32_e32 v0, v88, v0
	v_and_b32_e32 v1, 0x7f800000, v0
	s_delay_alu instid0(VALU_DEP_1) | instskip(NEXT) | instid1(VALU_DEP_1)
	v_cmp_ne_u32_e64 s1, 0x7f800000, v1
	s_and_saveexec_b32 s12, s1
	s_delay_alu instid0(SALU_CYCLE_1)
	s_xor_b32 s1, exec_lo, s12
; %bb.748:                              ;   in Loop: Header=BB191_38 Depth=1
	v_bfe_u32 v1, v0, 16, 1
	s_delay_alu instid0(VALU_DEP_1)
	v_add3_u32 v42, v0, v1, 0x7fff
                                        ; implicit-def: $vgpr0
; %bb.749:                              ;   in Loop: Header=BB191_38 Depth=1
	s_and_not1_saveexec_b32 s12, s1
; %bb.750:                              ;   in Loop: Header=BB191_38 Depth=1
	v_and_b32_e32 v1, 0xffff, v0
	v_or_b32_e32 v2, 0x10000, v0
	s_delay_alu instid0(VALU_DEP_2) | instskip(NEXT) | instid1(VALU_DEP_1)
	v_cmp_eq_u32_e64 s1, 0, v1
	v_cndmask_b32_e64 v42, v2, v0, s1
; %bb.751:                              ;   in Loop: Header=BB191_38 Depth=1
	s_or_b32 exec_lo, exec_lo, s12
	scratch_load_b32 v0, off, s32 offset:900 ; 4-byte Folded Reload
	s_waitcnt vmcnt(0)
	v_add_co_u32 v0, s1, v63, v0
	s_delay_alu instid0(VALU_DEP_1)
	v_add_co_ci_u32_e64 v1, s1, 0, v72, s1
	flat_load_b128 v[0:3], v[0:1]
	s_waitcnt vmcnt(0) lgkmcnt(0)
	v_lshrrev_b32_e32 v18, 16, v0
	v_lshrrev_b32_e32 v17, 16, v1
	;; [unrolled: 1-line block ×4, first 2 shown]
	s_and_saveexec_b32 s12, vcc_lo
	s_cbranch_execz .LBB191_753
; %bb.752:                              ;   in Loop: Header=BB191_38 Depth=1
	v_cmp_lt_i32_e64 s1, v183, v114
	s_delay_alu instid0(VALU_DEP_1) | instskip(SKIP_1) | instid1(VALU_DEP_1)
	v_cndmask_b32_e64 v0, 0, v0, s1
	v_cmp_lt_i32_e64 s1, v62, v114
	v_cndmask_b32_e64 v18, 0, v18, s1
	v_cmp_lt_i32_e64 s1, v61, v114
	s_delay_alu instid0(VALU_DEP_1) | instskip(SKIP_1) | instid1(VALU_DEP_1)
	v_cndmask_b32_e64 v1, 0, v1, s1
	v_cmp_lt_i32_e64 s1, v60, v114
	v_cndmask_b32_e64 v17, 0, v17, s1
	;; [unrolled: 5-line block ×4, first 2 shown]
.LBB191_753:                            ;   in Loop: Header=BB191_38 Depth=1
	s_or_b32 exec_lo, exec_lo, s12
	v_lshlrev_b32_e32 v0, 16, v0
                                        ; implicit-def: $vgpr43
	s_delay_alu instid0(VALU_DEP_1) | instskip(NEXT) | instid1(VALU_DEP_1)
	v_mul_f32_e32 v0, v73, v0
	v_and_b32_e32 v19, 0x7f800000, v0
	s_delay_alu instid0(VALU_DEP_1) | instskip(NEXT) | instid1(VALU_DEP_1)
	v_cmp_ne_u32_e64 s1, 0x7f800000, v19
	s_and_saveexec_b32 s12, s1
	s_delay_alu instid0(SALU_CYCLE_1)
	s_xor_b32 s1, exec_lo, s12
; %bb.754:                              ;   in Loop: Header=BB191_38 Depth=1
	v_bfe_u32 v19, v0, 16, 1
	s_delay_alu instid0(VALU_DEP_1)
	v_add3_u32 v43, v0, v19, 0x7fff
                                        ; implicit-def: $vgpr0
; %bb.755:                              ;   in Loop: Header=BB191_38 Depth=1
	s_and_not1_saveexec_b32 s12, s1
; %bb.756:                              ;   in Loop: Header=BB191_38 Depth=1
	v_and_b32_e32 v19, 0xffff, v0
	v_or_b32_e32 v20, 0x10000, v0
	s_delay_alu instid0(VALU_DEP_2) | instskip(NEXT) | instid1(VALU_DEP_1)
	v_cmp_eq_u32_e64 s1, 0, v19
	v_cndmask_b32_e64 v43, v20, v0, s1
; %bb.757:                              ;   in Loop: Header=BB191_38 Depth=1
	s_or_b32 exec_lo, exec_lo, s12
	v_lshlrev_b32_e32 v0, 16, v18
                                        ; implicit-def: $vgpr44
	s_delay_alu instid0(VALU_DEP_1) | instskip(NEXT) | instid1(VALU_DEP_1)
	v_mul_f32_e32 v0, v74, v0
	v_and_b32_e32 v18, 0x7f800000, v0
	s_delay_alu instid0(VALU_DEP_1) | instskip(NEXT) | instid1(VALU_DEP_1)
	v_cmp_ne_u32_e64 s1, 0x7f800000, v18
	s_and_saveexec_b32 s12, s1
	s_delay_alu instid0(SALU_CYCLE_1)
	s_xor_b32 s1, exec_lo, s12
; %bb.758:                              ;   in Loop: Header=BB191_38 Depth=1
	v_bfe_u32 v18, v0, 16, 1
	s_delay_alu instid0(VALU_DEP_1)
	v_add3_u32 v44, v0, v18, 0x7fff
                                        ; implicit-def: $vgpr0
; %bb.759:                              ;   in Loop: Header=BB191_38 Depth=1
	s_and_not1_saveexec_b32 s12, s1
; %bb.760:                              ;   in Loop: Header=BB191_38 Depth=1
	v_and_b32_e32 v18, 0xffff, v0
	v_or_b32_e32 v19, 0x10000, v0
	s_delay_alu instid0(VALU_DEP_2) | instskip(NEXT) | instid1(VALU_DEP_1)
	v_cmp_eq_u32_e64 s1, 0, v18
	v_cndmask_b32_e64 v44, v19, v0, s1
; %bb.761:                              ;   in Loop: Header=BB191_38 Depth=1
	s_or_b32 exec_lo, exec_lo, s12
	v_lshlrev_b32_e32 v0, 16, v1
                                        ; implicit-def: $vgpr45
	s_delay_alu instid0(VALU_DEP_1) | instskip(NEXT) | instid1(VALU_DEP_1)
	v_mul_f32_e32 v0, v75, v0
	v_and_b32_e32 v1, 0x7f800000, v0
	s_delay_alu instid0(VALU_DEP_1) | instskip(NEXT) | instid1(VALU_DEP_1)
	v_cmp_ne_u32_e64 s1, 0x7f800000, v1
	s_and_saveexec_b32 s12, s1
	s_delay_alu instid0(SALU_CYCLE_1)
	s_xor_b32 s1, exec_lo, s12
; %bb.762:                              ;   in Loop: Header=BB191_38 Depth=1
	v_bfe_u32 v1, v0, 16, 1
	s_delay_alu instid0(VALU_DEP_1)
	v_add3_u32 v45, v0, v1, 0x7fff
                                        ; implicit-def: $vgpr0
; %bb.763:                              ;   in Loop: Header=BB191_38 Depth=1
	s_and_not1_saveexec_b32 s12, s1
; %bb.764:                              ;   in Loop: Header=BB191_38 Depth=1
	v_and_b32_e32 v1, 0xffff, v0
	v_or_b32_e32 v18, 0x10000, v0
	s_delay_alu instid0(VALU_DEP_2) | instskip(NEXT) | instid1(VALU_DEP_1)
	v_cmp_eq_u32_e64 s1, 0, v1
	v_cndmask_b32_e64 v45, v18, v0, s1
; %bb.765:                              ;   in Loop: Header=BB191_38 Depth=1
	s_or_b32 exec_lo, exec_lo, s12
	v_lshlrev_b32_e32 v0, 16, v17
                                        ; implicit-def: $vgpr46
	s_delay_alu instid0(VALU_DEP_1) | instskip(NEXT) | instid1(VALU_DEP_1)
	v_mul_f32_e32 v0, v76, v0
	v_and_b32_e32 v1, 0x7f800000, v0
	s_delay_alu instid0(VALU_DEP_1) | instskip(NEXT) | instid1(VALU_DEP_1)
	v_cmp_ne_u32_e64 s1, 0x7f800000, v1
	s_and_saveexec_b32 s12, s1
	s_delay_alu instid0(SALU_CYCLE_1)
	s_xor_b32 s1, exec_lo, s12
; %bb.766:                              ;   in Loop: Header=BB191_38 Depth=1
	v_bfe_u32 v1, v0, 16, 1
	s_delay_alu instid0(VALU_DEP_1)
	v_add3_u32 v46, v0, v1, 0x7fff
                                        ; implicit-def: $vgpr0
; %bb.767:                              ;   in Loop: Header=BB191_38 Depth=1
	s_and_not1_saveexec_b32 s12, s1
; %bb.768:                              ;   in Loop: Header=BB191_38 Depth=1
	v_and_b32_e32 v1, 0xffff, v0
	v_or_b32_e32 v17, 0x10000, v0
	s_delay_alu instid0(VALU_DEP_2) | instskip(NEXT) | instid1(VALU_DEP_1)
	v_cmp_eq_u32_e64 s1, 0, v1
	v_cndmask_b32_e64 v46, v17, v0, s1
; %bb.769:                              ;   in Loop: Header=BB191_38 Depth=1
	s_or_b32 exec_lo, exec_lo, s12
	v_lshlrev_b32_e32 v0, 16, v2
                                        ; implicit-def: $vgpr47
	s_delay_alu instid0(VALU_DEP_1) | instskip(NEXT) | instid1(VALU_DEP_1)
	v_mul_f32_e32 v0, v77, v0
	v_and_b32_e32 v1, 0x7f800000, v0
	s_delay_alu instid0(VALU_DEP_1) | instskip(NEXT) | instid1(VALU_DEP_1)
	v_cmp_ne_u32_e64 s1, 0x7f800000, v1
	s_and_saveexec_b32 s12, s1
	s_delay_alu instid0(SALU_CYCLE_1)
	s_xor_b32 s1, exec_lo, s12
; %bb.770:                              ;   in Loop: Header=BB191_38 Depth=1
	v_bfe_u32 v1, v0, 16, 1
	s_delay_alu instid0(VALU_DEP_1)
	v_add3_u32 v47, v0, v1, 0x7fff
                                        ; implicit-def: $vgpr0
; %bb.771:                              ;   in Loop: Header=BB191_38 Depth=1
	s_and_not1_saveexec_b32 s12, s1
; %bb.772:                              ;   in Loop: Header=BB191_38 Depth=1
	v_and_b32_e32 v1, 0xffff, v0
	v_or_b32_e32 v2, 0x10000, v0
	s_delay_alu instid0(VALU_DEP_2) | instskip(NEXT) | instid1(VALU_DEP_1)
	v_cmp_eq_u32_e64 s1, 0, v1
	v_cndmask_b32_e64 v47, v2, v0, s1
; %bb.773:                              ;   in Loop: Header=BB191_38 Depth=1
	s_or_b32 exec_lo, exec_lo, s12
	v_lshlrev_b32_e32 v0, 16, v7
                                        ; implicit-def: $vgpr17
	s_delay_alu instid0(VALU_DEP_1) | instskip(NEXT) | instid1(VALU_DEP_1)
	v_mul_f32_e32 v0, v78, v0
	v_and_b32_e32 v1, 0x7f800000, v0
	s_delay_alu instid0(VALU_DEP_1) | instskip(NEXT) | instid1(VALU_DEP_1)
	v_cmp_ne_u32_e64 s1, 0x7f800000, v1
	s_and_saveexec_b32 s12, s1
	s_delay_alu instid0(SALU_CYCLE_1)
	s_xor_b32 s1, exec_lo, s12
; %bb.774:                              ;   in Loop: Header=BB191_38 Depth=1
	v_bfe_u32 v1, v0, 16, 1
	s_delay_alu instid0(VALU_DEP_1)
	v_add3_u32 v17, v0, v1, 0x7fff
                                        ; implicit-def: $vgpr0
; %bb.775:                              ;   in Loop: Header=BB191_38 Depth=1
	s_and_not1_saveexec_b32 s12, s1
; %bb.776:                              ;   in Loop: Header=BB191_38 Depth=1
	v_and_b32_e32 v1, 0xffff, v0
	v_or_b32_e32 v2, 0x10000, v0
	s_delay_alu instid0(VALU_DEP_2) | instskip(NEXT) | instid1(VALU_DEP_1)
	v_cmp_eq_u32_e64 s1, 0, v1
	v_cndmask_b32_e64 v17, v2, v0, s1
; %bb.777:                              ;   in Loop: Header=BB191_38 Depth=1
	s_or_b32 exec_lo, exec_lo, s12
	v_lshlrev_b32_e32 v0, 16, v3
                                        ; implicit-def: $vgpr18
	s_delay_alu instid0(VALU_DEP_1) | instskip(NEXT) | instid1(VALU_DEP_1)
	v_mul_f32_e32 v0, v79, v0
	v_and_b32_e32 v1, 0x7f800000, v0
	s_delay_alu instid0(VALU_DEP_1) | instskip(NEXT) | instid1(VALU_DEP_1)
	v_cmp_ne_u32_e64 s1, 0x7f800000, v1
	s_and_saveexec_b32 s12, s1
	s_delay_alu instid0(SALU_CYCLE_1)
	s_xor_b32 s1, exec_lo, s12
; %bb.778:                              ;   in Loop: Header=BB191_38 Depth=1
	v_bfe_u32 v1, v0, 16, 1
	s_delay_alu instid0(VALU_DEP_1)
	v_add3_u32 v18, v0, v1, 0x7fff
                                        ; implicit-def: $vgpr0
; %bb.779:                              ;   in Loop: Header=BB191_38 Depth=1
	s_and_not1_saveexec_b32 s12, s1
; %bb.780:                              ;   in Loop: Header=BB191_38 Depth=1
	v_and_b32_e32 v1, 0xffff, v0
	v_or_b32_e32 v2, 0x10000, v0
	s_delay_alu instid0(VALU_DEP_2) | instskip(NEXT) | instid1(VALU_DEP_1)
	v_cmp_eq_u32_e64 s1, 0, v1
	v_cndmask_b32_e64 v18, v2, v0, s1
; %bb.781:                              ;   in Loop: Header=BB191_38 Depth=1
	s_or_b32 exec_lo, exec_lo, s12
	v_lshlrev_b32_e32 v0, 16, v6
                                        ; implicit-def: $vgpr19
	s_delay_alu instid0(VALU_DEP_1) | instskip(NEXT) | instid1(VALU_DEP_1)
	v_mul_f32_e32 v0, v88, v0
	v_and_b32_e32 v1, 0x7f800000, v0
	s_delay_alu instid0(VALU_DEP_1) | instskip(NEXT) | instid1(VALU_DEP_1)
	v_cmp_ne_u32_e64 s1, 0x7f800000, v1
	s_and_saveexec_b32 s12, s1
	s_delay_alu instid0(SALU_CYCLE_1)
	s_xor_b32 s1, exec_lo, s12
; %bb.782:                              ;   in Loop: Header=BB191_38 Depth=1
	v_bfe_u32 v1, v0, 16, 1
	s_delay_alu instid0(VALU_DEP_1)
	v_add3_u32 v19, v0, v1, 0x7fff
                                        ; implicit-def: $vgpr0
; %bb.783:                              ;   in Loop: Header=BB191_38 Depth=1
	s_and_not1_saveexec_b32 s12, s1
; %bb.784:                              ;   in Loop: Header=BB191_38 Depth=1
	v_and_b32_e32 v1, 0xffff, v0
	v_or_b32_e32 v2, 0x10000, v0
	s_delay_alu instid0(VALU_DEP_2) | instskip(NEXT) | instid1(VALU_DEP_1)
	v_cmp_eq_u32_e64 s1, 0, v1
	v_cndmask_b32_e64 v19, v2, v0, s1
; %bb.785:                              ;   in Loop: Header=BB191_38 Depth=1
	s_or_b32 exec_lo, exec_lo, s12
	scratch_load_b32 v0, off, s32 offset:904 ; 4-byte Folded Reload
	s_waitcnt vmcnt(0)
	v_add_co_u32 v0, s1, v63, v0
	s_delay_alu instid0(VALU_DEP_1)
	v_add_co_ci_u32_e64 v1, s1, 0, v72, s1
	flat_load_b128 v[0:3], v[0:1]
	s_waitcnt vmcnt(0) lgkmcnt(0)
	v_lshrrev_b32_e32 v27, 16, v0
	v_lshrrev_b32_e32 v20, 16, v1
	;; [unrolled: 1-line block ×4, first 2 shown]
	s_and_saveexec_b32 s12, vcc_lo
	s_cbranch_execz .LBB191_787
; %bb.786:                              ;   in Loop: Header=BB191_38 Depth=1
	v_cmp_lt_i32_e64 s1, v183, v114
	s_delay_alu instid0(VALU_DEP_1) | instskip(SKIP_1) | instid1(VALU_DEP_1)
	v_cndmask_b32_e64 v0, 0, v0, s1
	v_cmp_lt_i32_e64 s1, v62, v114
	v_cndmask_b32_e64 v27, 0, v27, s1
	v_cmp_lt_i32_e64 s1, v61, v114
	s_delay_alu instid0(VALU_DEP_1) | instskip(SKIP_1) | instid1(VALU_DEP_1)
	v_cndmask_b32_e64 v1, 0, v1, s1
	v_cmp_lt_i32_e64 s1, v60, v114
	v_cndmask_b32_e64 v20, 0, v20, s1
	v_cmp_lt_i32_e64 s1, v59, v114
	s_delay_alu instid0(VALU_DEP_1) | instskip(SKIP_1) | instid1(VALU_DEP_1)
	v_cndmask_b32_e64 v2, 0, v2, s1
	v_cmp_lt_i32_e64 s1, v57, v114
	v_cndmask_b32_e64 v7, 0, v7, s1
	v_cmp_lt_i32_e64 s1, v56, v114
	s_delay_alu instid0(VALU_DEP_1) | instskip(SKIP_1) | instid1(VALU_DEP_1)
	v_cndmask_b32_e64 v3, 0, v3, s1
	v_cmp_lt_i32_e64 s1, v58, v114
	v_cndmask_b32_e64 v6, 0, v6, s1
.LBB191_787:                            ;   in Loop: Header=BB191_38 Depth=1
	s_or_b32 exec_lo, exec_lo, s12
	v_lshlrev_b32_e32 v0, 16, v0
	s_delay_alu instid0(VALU_DEP_1) | instskip(NEXT) | instid1(VALU_DEP_1)
	v_mul_f32_e32 v0, v73, v0
	v_and_b32_e32 v25, 0x7f800000, v0
	s_delay_alu instid0(VALU_DEP_1) | instskip(NEXT) | instid1(VALU_DEP_1)
	v_cmp_ne_u32_e64 s1, 0x7f800000, v25
                                        ; implicit-def: $vgpr25
	s_and_saveexec_b32 s12, s1
	s_delay_alu instid0(SALU_CYCLE_1)
	s_xor_b32 s1, exec_lo, s12
; %bb.788:                              ;   in Loop: Header=BB191_38 Depth=1
	v_bfe_u32 v25, v0, 16, 1
	s_delay_alu instid0(VALU_DEP_1)
	v_add3_u32 v25, v0, v25, 0x7fff
                                        ; implicit-def: $vgpr0
; %bb.789:                              ;   in Loop: Header=BB191_38 Depth=1
	s_and_not1_saveexec_b32 s12, s1
; %bb.790:                              ;   in Loop: Header=BB191_38 Depth=1
	v_and_b32_e32 v25, 0xffff, v0
	v_or_b32_e32 v28, 0x10000, v0
	s_delay_alu instid0(VALU_DEP_2) | instskip(NEXT) | instid1(VALU_DEP_1)
	v_cmp_eq_u32_e64 s1, 0, v25
	v_cndmask_b32_e64 v25, v28, v0, s1
; %bb.791:                              ;   in Loop: Header=BB191_38 Depth=1
	s_or_b32 exec_lo, exec_lo, s12
	v_lshlrev_b32_e32 v0, 16, v27
	s_delay_alu instid0(VALU_DEP_1) | instskip(NEXT) | instid1(VALU_DEP_1)
	v_mul_f32_e32 v0, v74, v0
	v_and_b32_e32 v27, 0x7f800000, v0
	s_delay_alu instid0(VALU_DEP_1) | instskip(NEXT) | instid1(VALU_DEP_1)
	v_cmp_ne_u32_e64 s1, 0x7f800000, v27
                                        ; implicit-def: $vgpr27
	s_and_saveexec_b32 s12, s1
	s_delay_alu instid0(SALU_CYCLE_1)
	s_xor_b32 s1, exec_lo, s12
; %bb.792:                              ;   in Loop: Header=BB191_38 Depth=1
	v_bfe_u32 v27, v0, 16, 1
	s_delay_alu instid0(VALU_DEP_1)
	v_add3_u32 v27, v0, v27, 0x7fff
                                        ; implicit-def: $vgpr0
; %bb.793:                              ;   in Loop: Header=BB191_38 Depth=1
	s_and_not1_saveexec_b32 s12, s1
; %bb.794:                              ;   in Loop: Header=BB191_38 Depth=1
	v_and_b32_e32 v27, 0xffff, v0
	v_or_b32_e32 v28, 0x10000, v0
	s_delay_alu instid0(VALU_DEP_2) | instskip(NEXT) | instid1(VALU_DEP_1)
	v_cmp_eq_u32_e64 s1, 0, v27
	v_cndmask_b32_e64 v27, v28, v0, s1
; %bb.795:                              ;   in Loop: Header=BB191_38 Depth=1
	s_or_b32 exec_lo, exec_lo, s12
	v_lshlrev_b32_e32 v0, 16, v1
                                        ; implicit-def: $vgpr28
	s_delay_alu instid0(VALU_DEP_1) | instskip(NEXT) | instid1(VALU_DEP_1)
	v_mul_f32_e32 v0, v75, v0
	v_and_b32_e32 v1, 0x7f800000, v0
	s_delay_alu instid0(VALU_DEP_1) | instskip(NEXT) | instid1(VALU_DEP_1)
	v_cmp_ne_u32_e64 s1, 0x7f800000, v1
	s_and_saveexec_b32 s12, s1
	s_delay_alu instid0(SALU_CYCLE_1)
	s_xor_b32 s1, exec_lo, s12
; %bb.796:                              ;   in Loop: Header=BB191_38 Depth=1
	v_bfe_u32 v1, v0, 16, 1
	s_delay_alu instid0(VALU_DEP_1)
	v_add3_u32 v28, v0, v1, 0x7fff
                                        ; implicit-def: $vgpr0
; %bb.797:                              ;   in Loop: Header=BB191_38 Depth=1
	s_and_not1_saveexec_b32 s12, s1
; %bb.798:                              ;   in Loop: Header=BB191_38 Depth=1
	v_and_b32_e32 v1, 0xffff, v0
	v_or_b32_e32 v28, 0x10000, v0
	s_delay_alu instid0(VALU_DEP_2) | instskip(NEXT) | instid1(VALU_DEP_1)
	v_cmp_eq_u32_e64 s1, 0, v1
	v_cndmask_b32_e64 v28, v28, v0, s1
; %bb.799:                              ;   in Loop: Header=BB191_38 Depth=1
	s_or_b32 exec_lo, exec_lo, s12
	v_lshlrev_b32_e32 v0, 16, v20
                                        ; implicit-def: $vgpr29
	s_delay_alu instid0(VALU_DEP_1) | instskip(NEXT) | instid1(VALU_DEP_1)
	v_mul_f32_e32 v0, v76, v0
	v_and_b32_e32 v1, 0x7f800000, v0
	s_delay_alu instid0(VALU_DEP_1) | instskip(NEXT) | instid1(VALU_DEP_1)
	v_cmp_ne_u32_e64 s1, 0x7f800000, v1
	s_and_saveexec_b32 s12, s1
	s_delay_alu instid0(SALU_CYCLE_1)
	s_xor_b32 s1, exec_lo, s12
; %bb.800:                              ;   in Loop: Header=BB191_38 Depth=1
	v_bfe_u32 v1, v0, 16, 1
	s_delay_alu instid0(VALU_DEP_1)
	v_add3_u32 v29, v0, v1, 0x7fff
                                        ; implicit-def: $vgpr0
; %bb.801:                              ;   in Loop: Header=BB191_38 Depth=1
	s_and_not1_saveexec_b32 s12, s1
; %bb.802:                              ;   in Loop: Header=BB191_38 Depth=1
	v_and_b32_e32 v1, 0xffff, v0
	v_or_b32_e32 v20, 0x10000, v0
	s_delay_alu instid0(VALU_DEP_2) | instskip(NEXT) | instid1(VALU_DEP_1)
	v_cmp_eq_u32_e64 s1, 0, v1
	v_cndmask_b32_e64 v29, v20, v0, s1
; %bb.803:                              ;   in Loop: Header=BB191_38 Depth=1
	s_or_b32 exec_lo, exec_lo, s12
	v_lshlrev_b32_e32 v0, 16, v2
                                        ; implicit-def: $vgpr30
	s_delay_alu instid0(VALU_DEP_1) | instskip(NEXT) | instid1(VALU_DEP_1)
	v_mul_f32_e32 v0, v77, v0
	v_and_b32_e32 v1, 0x7f800000, v0
	s_delay_alu instid0(VALU_DEP_1) | instskip(NEXT) | instid1(VALU_DEP_1)
	v_cmp_ne_u32_e64 s1, 0x7f800000, v1
	s_and_saveexec_b32 s12, s1
	s_delay_alu instid0(SALU_CYCLE_1)
	s_xor_b32 s1, exec_lo, s12
; %bb.804:                              ;   in Loop: Header=BB191_38 Depth=1
	v_bfe_u32 v1, v0, 16, 1
	s_delay_alu instid0(VALU_DEP_1)
	v_add3_u32 v30, v0, v1, 0x7fff
                                        ; implicit-def: $vgpr0
; %bb.805:                              ;   in Loop: Header=BB191_38 Depth=1
	s_and_not1_saveexec_b32 s12, s1
; %bb.806:                              ;   in Loop: Header=BB191_38 Depth=1
	v_and_b32_e32 v1, 0xffff, v0
	v_or_b32_e32 v2, 0x10000, v0
	s_delay_alu instid0(VALU_DEP_2) | instskip(NEXT) | instid1(VALU_DEP_1)
	v_cmp_eq_u32_e64 s1, 0, v1
	v_cndmask_b32_e64 v30, v2, v0, s1
; %bb.807:                              ;   in Loop: Header=BB191_38 Depth=1
	s_or_b32 exec_lo, exec_lo, s12
	v_lshlrev_b32_e32 v0, 16, v7
                                        ; implicit-def: $vgpr31
	s_delay_alu instid0(VALU_DEP_1) | instskip(NEXT) | instid1(VALU_DEP_1)
	v_mul_f32_e32 v0, v78, v0
	v_and_b32_e32 v1, 0x7f800000, v0
	s_delay_alu instid0(VALU_DEP_1) | instskip(NEXT) | instid1(VALU_DEP_1)
	v_cmp_ne_u32_e64 s1, 0x7f800000, v1
	s_and_saveexec_b32 s12, s1
	s_delay_alu instid0(SALU_CYCLE_1)
	s_xor_b32 s1, exec_lo, s12
; %bb.808:                              ;   in Loop: Header=BB191_38 Depth=1
	v_bfe_u32 v1, v0, 16, 1
	s_delay_alu instid0(VALU_DEP_1)
	v_add3_u32 v31, v0, v1, 0x7fff
                                        ; implicit-def: $vgpr0
; %bb.809:                              ;   in Loop: Header=BB191_38 Depth=1
	s_and_not1_saveexec_b32 s12, s1
; %bb.810:                              ;   in Loop: Header=BB191_38 Depth=1
	v_and_b32_e32 v1, 0xffff, v0
	v_or_b32_e32 v2, 0x10000, v0
	s_delay_alu instid0(VALU_DEP_2) | instskip(NEXT) | instid1(VALU_DEP_1)
	v_cmp_eq_u32_e64 s1, 0, v1
	v_cndmask_b32_e64 v31, v2, v0, s1
; %bb.811:                              ;   in Loop: Header=BB191_38 Depth=1
	s_or_b32 exec_lo, exec_lo, s12
	v_lshlrev_b32_e32 v0, 16, v3
                                        ; implicit-def: $vgpr32
	s_delay_alu instid0(VALU_DEP_1) | instskip(NEXT) | instid1(VALU_DEP_1)
	v_mul_f32_e32 v0, v79, v0
	v_and_b32_e32 v1, 0x7f800000, v0
	s_delay_alu instid0(VALU_DEP_1) | instskip(NEXT) | instid1(VALU_DEP_1)
	v_cmp_ne_u32_e64 s1, 0x7f800000, v1
	s_and_saveexec_b32 s12, s1
	s_delay_alu instid0(SALU_CYCLE_1)
	s_xor_b32 s1, exec_lo, s12
; %bb.812:                              ;   in Loop: Header=BB191_38 Depth=1
	v_bfe_u32 v1, v0, 16, 1
	s_delay_alu instid0(VALU_DEP_1)
	v_add3_u32 v32, v0, v1, 0x7fff
                                        ; implicit-def: $vgpr0
; %bb.813:                              ;   in Loop: Header=BB191_38 Depth=1
	s_and_not1_saveexec_b32 s12, s1
; %bb.814:                              ;   in Loop: Header=BB191_38 Depth=1
	v_and_b32_e32 v1, 0xffff, v0
	v_or_b32_e32 v2, 0x10000, v0
	s_delay_alu instid0(VALU_DEP_2) | instskip(NEXT) | instid1(VALU_DEP_1)
	v_cmp_eq_u32_e64 s1, 0, v1
	v_cndmask_b32_e64 v32, v2, v0, s1
; %bb.815:                              ;   in Loop: Header=BB191_38 Depth=1
	s_or_b32 exec_lo, exec_lo, s12
	v_lshlrev_b32_e32 v0, 16, v6
                                        ; implicit-def: $vgpr33
	s_delay_alu instid0(VALU_DEP_1) | instskip(NEXT) | instid1(VALU_DEP_1)
	v_mul_f32_e32 v0, v88, v0
	v_and_b32_e32 v1, 0x7f800000, v0
	s_delay_alu instid0(VALU_DEP_1) | instskip(NEXT) | instid1(VALU_DEP_1)
	v_cmp_ne_u32_e64 s1, 0x7f800000, v1
	s_and_saveexec_b32 s12, s1
	s_delay_alu instid0(SALU_CYCLE_1)
	s_xor_b32 s1, exec_lo, s12
; %bb.816:                              ;   in Loop: Header=BB191_38 Depth=1
	v_bfe_u32 v1, v0, 16, 1
	s_delay_alu instid0(VALU_DEP_1)
	v_add3_u32 v33, v0, v1, 0x7fff
                                        ; implicit-def: $vgpr0
; %bb.817:                              ;   in Loop: Header=BB191_38 Depth=1
	s_and_not1_saveexec_b32 s12, s1
; %bb.818:                              ;   in Loop: Header=BB191_38 Depth=1
	v_and_b32_e32 v1, 0xffff, v0
	v_or_b32_e32 v2, 0x10000, v0
	s_delay_alu instid0(VALU_DEP_2) | instskip(NEXT) | instid1(VALU_DEP_1)
	v_cmp_eq_u32_e64 s1, 0, v1
	v_cndmask_b32_e64 v33, v2, v0, s1
; %bb.819:                              ;   in Loop: Header=BB191_38 Depth=1
	s_or_b32 exec_lo, exec_lo, s12
	scratch_load_b32 v0, off, s32 offset:908 ; 4-byte Folded Reload
	s_waitcnt vmcnt(0)
	v_add_co_u32 v0, s1, v63, v0
	s_delay_alu instid0(VALU_DEP_1)
	v_add_co_ci_u32_e64 v1, s1, 0, v72, s1
	flat_load_b128 v[0:3], v[0:1]
	s_waitcnt vmcnt(0) lgkmcnt(0)
	v_lshrrev_b32_e32 v35, 16, v0
	v_lshrrev_b32_e32 v20, 16, v1
	;; [unrolled: 1-line block ×4, first 2 shown]
	s_and_saveexec_b32 s12, vcc_lo
	s_cbranch_execz .LBB191_821
; %bb.820:                              ;   in Loop: Header=BB191_38 Depth=1
	v_cmp_lt_i32_e64 s1, v183, v114
	s_delay_alu instid0(VALU_DEP_1) | instskip(SKIP_1) | instid1(VALU_DEP_1)
	v_cndmask_b32_e64 v0, 0, v0, s1
	v_cmp_lt_i32_e64 s1, v62, v114
	v_cndmask_b32_e64 v35, 0, v35, s1
	v_cmp_lt_i32_e64 s1, v61, v114
	s_delay_alu instid0(VALU_DEP_1) | instskip(SKIP_1) | instid1(VALU_DEP_1)
	v_cndmask_b32_e64 v1, 0, v1, s1
	v_cmp_lt_i32_e64 s1, v60, v114
	v_cndmask_b32_e64 v20, 0, v20, s1
	;; [unrolled: 5-line block ×4, first 2 shown]
.LBB191_821:                            ;   in Loop: Header=BB191_38 Depth=1
	s_or_b32 exec_lo, exec_lo, s12
	v_lshlrev_b32_e32 v0, 16, v0
	s_delay_alu instid0(VALU_DEP_1) | instskip(NEXT) | instid1(VALU_DEP_1)
	v_mul_f32_e32 v0, v73, v0
	v_and_b32_e32 v34, 0x7f800000, v0
	s_delay_alu instid0(VALU_DEP_1) | instskip(NEXT) | instid1(VALU_DEP_1)
	v_cmp_ne_u32_e64 s1, 0x7f800000, v34
                                        ; implicit-def: $vgpr34
	s_and_saveexec_b32 s12, s1
	s_delay_alu instid0(SALU_CYCLE_1)
	s_xor_b32 s1, exec_lo, s12
; %bb.822:                              ;   in Loop: Header=BB191_38 Depth=1
	v_bfe_u32 v34, v0, 16, 1
	s_delay_alu instid0(VALU_DEP_1)
	v_add3_u32 v34, v0, v34, 0x7fff
                                        ; implicit-def: $vgpr0
; %bb.823:                              ;   in Loop: Header=BB191_38 Depth=1
	s_and_not1_saveexec_b32 s12, s1
; %bb.824:                              ;   in Loop: Header=BB191_38 Depth=1
	v_and_b32_e32 v34, 0xffff, v0
	v_or_b32_e32 v36, 0x10000, v0
	s_delay_alu instid0(VALU_DEP_2) | instskip(NEXT) | instid1(VALU_DEP_1)
	v_cmp_eq_u32_e64 s1, 0, v34
	v_cndmask_b32_e64 v34, v36, v0, s1
; %bb.825:                              ;   in Loop: Header=BB191_38 Depth=1
	s_or_b32 exec_lo, exec_lo, s12
	v_lshlrev_b32_e32 v0, 16, v35
	s_delay_alu instid0(VALU_DEP_1) | instskip(NEXT) | instid1(VALU_DEP_1)
	v_mul_f32_e32 v0, v74, v0
	v_and_b32_e32 v35, 0x7f800000, v0
	s_delay_alu instid0(VALU_DEP_1) | instskip(NEXT) | instid1(VALU_DEP_1)
	v_cmp_ne_u32_e64 s1, 0x7f800000, v35
                                        ; implicit-def: $vgpr35
	s_and_saveexec_b32 s12, s1
	s_delay_alu instid0(SALU_CYCLE_1)
	s_xor_b32 s1, exec_lo, s12
; %bb.826:                              ;   in Loop: Header=BB191_38 Depth=1
	v_bfe_u32 v35, v0, 16, 1
	s_delay_alu instid0(VALU_DEP_1)
	v_add3_u32 v35, v0, v35, 0x7fff
                                        ; implicit-def: $vgpr0
; %bb.827:                              ;   in Loop: Header=BB191_38 Depth=1
	s_and_not1_saveexec_b32 s12, s1
; %bb.828:                              ;   in Loop: Header=BB191_38 Depth=1
	v_and_b32_e32 v35, 0xffff, v0
	v_or_b32_e32 v36, 0x10000, v0
	s_delay_alu instid0(VALU_DEP_2) | instskip(NEXT) | instid1(VALU_DEP_1)
	v_cmp_eq_u32_e64 s1, 0, v35
	v_cndmask_b32_e64 v35, v36, v0, s1
; %bb.829:                              ;   in Loop: Header=BB191_38 Depth=1
	s_or_b32 exec_lo, exec_lo, s12
	v_lshlrev_b32_e32 v0, 16, v1
                                        ; implicit-def: $vgpr36
	s_delay_alu instid0(VALU_DEP_1) | instskip(NEXT) | instid1(VALU_DEP_1)
	v_mul_f32_e32 v0, v75, v0
	v_and_b32_e32 v1, 0x7f800000, v0
	s_delay_alu instid0(VALU_DEP_1) | instskip(NEXT) | instid1(VALU_DEP_1)
	v_cmp_ne_u32_e64 s1, 0x7f800000, v1
	s_and_saveexec_b32 s12, s1
	s_delay_alu instid0(SALU_CYCLE_1)
	s_xor_b32 s1, exec_lo, s12
; %bb.830:                              ;   in Loop: Header=BB191_38 Depth=1
	v_bfe_u32 v1, v0, 16, 1
	s_delay_alu instid0(VALU_DEP_1)
	v_add3_u32 v36, v0, v1, 0x7fff
                                        ; implicit-def: $vgpr0
; %bb.831:                              ;   in Loop: Header=BB191_38 Depth=1
	s_and_not1_saveexec_b32 s12, s1
; %bb.832:                              ;   in Loop: Header=BB191_38 Depth=1
	v_and_b32_e32 v1, 0xffff, v0
	v_or_b32_e32 v36, 0x10000, v0
	s_delay_alu instid0(VALU_DEP_2) | instskip(NEXT) | instid1(VALU_DEP_1)
	v_cmp_eq_u32_e64 s1, 0, v1
	v_cndmask_b32_e64 v36, v36, v0, s1
; %bb.833:                              ;   in Loop: Header=BB191_38 Depth=1
	s_or_b32 exec_lo, exec_lo, s12
	v_lshlrev_b32_e32 v0, 16, v20
                                        ; implicit-def: $vgpr37
	s_delay_alu instid0(VALU_DEP_1) | instskip(NEXT) | instid1(VALU_DEP_1)
	v_mul_f32_e32 v0, v76, v0
	v_and_b32_e32 v1, 0x7f800000, v0
	s_delay_alu instid0(VALU_DEP_1) | instskip(NEXT) | instid1(VALU_DEP_1)
	v_cmp_ne_u32_e64 s1, 0x7f800000, v1
	s_and_saveexec_b32 s12, s1
	s_delay_alu instid0(SALU_CYCLE_1)
	s_xor_b32 s1, exec_lo, s12
; %bb.834:                              ;   in Loop: Header=BB191_38 Depth=1
	v_bfe_u32 v1, v0, 16, 1
	s_delay_alu instid0(VALU_DEP_1)
	v_add3_u32 v37, v0, v1, 0x7fff
                                        ; implicit-def: $vgpr0
; %bb.835:                              ;   in Loop: Header=BB191_38 Depth=1
	s_and_not1_saveexec_b32 s12, s1
; %bb.836:                              ;   in Loop: Header=BB191_38 Depth=1
	v_and_b32_e32 v1, 0xffff, v0
	v_or_b32_e32 v20, 0x10000, v0
	s_delay_alu instid0(VALU_DEP_2) | instskip(NEXT) | instid1(VALU_DEP_1)
	v_cmp_eq_u32_e64 s1, 0, v1
	v_cndmask_b32_e64 v37, v20, v0, s1
; %bb.837:                              ;   in Loop: Header=BB191_38 Depth=1
	s_or_b32 exec_lo, exec_lo, s12
	v_lshlrev_b32_e32 v0, 16, v2
                                        ; implicit-def: $vgpr38
	s_delay_alu instid0(VALU_DEP_1) | instskip(NEXT) | instid1(VALU_DEP_1)
	v_mul_f32_e32 v0, v77, v0
	v_and_b32_e32 v1, 0x7f800000, v0
	s_delay_alu instid0(VALU_DEP_1) | instskip(NEXT) | instid1(VALU_DEP_1)
	v_cmp_ne_u32_e64 s1, 0x7f800000, v1
	s_and_saveexec_b32 s12, s1
	s_delay_alu instid0(SALU_CYCLE_1)
	s_xor_b32 s1, exec_lo, s12
; %bb.838:                              ;   in Loop: Header=BB191_38 Depth=1
	v_bfe_u32 v1, v0, 16, 1
	s_delay_alu instid0(VALU_DEP_1)
	v_add3_u32 v38, v0, v1, 0x7fff
                                        ; implicit-def: $vgpr0
; %bb.839:                              ;   in Loop: Header=BB191_38 Depth=1
	s_and_not1_saveexec_b32 s12, s1
; %bb.840:                              ;   in Loop: Header=BB191_38 Depth=1
	v_and_b32_e32 v1, 0xffff, v0
	v_or_b32_e32 v2, 0x10000, v0
	s_delay_alu instid0(VALU_DEP_2) | instskip(NEXT) | instid1(VALU_DEP_1)
	v_cmp_eq_u32_e64 s1, 0, v1
	v_cndmask_b32_e64 v38, v2, v0, s1
; %bb.841:                              ;   in Loop: Header=BB191_38 Depth=1
	s_or_b32 exec_lo, exec_lo, s12
	v_lshlrev_b32_e32 v0, 16, v7
                                        ; implicit-def: $vgpr49
	s_delay_alu instid0(VALU_DEP_1) | instskip(NEXT) | instid1(VALU_DEP_1)
	v_mul_f32_e32 v0, v78, v0
	v_and_b32_e32 v1, 0x7f800000, v0
	s_delay_alu instid0(VALU_DEP_1) | instskip(NEXT) | instid1(VALU_DEP_1)
	v_cmp_ne_u32_e64 s1, 0x7f800000, v1
	s_and_saveexec_b32 s12, s1
	s_delay_alu instid0(SALU_CYCLE_1)
	s_xor_b32 s1, exec_lo, s12
; %bb.842:                              ;   in Loop: Header=BB191_38 Depth=1
	v_bfe_u32 v1, v0, 16, 1
	s_delay_alu instid0(VALU_DEP_1)
	v_add3_u32 v49, v0, v1, 0x7fff
                                        ; implicit-def: $vgpr0
; %bb.843:                              ;   in Loop: Header=BB191_38 Depth=1
	s_and_not1_saveexec_b32 s12, s1
; %bb.844:                              ;   in Loop: Header=BB191_38 Depth=1
	v_and_b32_e32 v1, 0xffff, v0
	v_or_b32_e32 v2, 0x10000, v0
	s_delay_alu instid0(VALU_DEP_2) | instskip(NEXT) | instid1(VALU_DEP_1)
	v_cmp_eq_u32_e64 s1, 0, v1
	v_cndmask_b32_e64 v49, v2, v0, s1
; %bb.845:                              ;   in Loop: Header=BB191_38 Depth=1
	s_or_b32 exec_lo, exec_lo, s12
	v_lshlrev_b32_e32 v0, 16, v3
                                        ; implicit-def: $vgpr48
	s_delay_alu instid0(VALU_DEP_1) | instskip(NEXT) | instid1(VALU_DEP_1)
	v_mul_f32_e32 v0, v79, v0
	v_and_b32_e32 v1, 0x7f800000, v0
	s_delay_alu instid0(VALU_DEP_1) | instskip(NEXT) | instid1(VALU_DEP_1)
	v_cmp_ne_u32_e64 s1, 0x7f800000, v1
	s_and_saveexec_b32 s12, s1
	s_delay_alu instid0(SALU_CYCLE_1)
	s_xor_b32 s1, exec_lo, s12
; %bb.846:                              ;   in Loop: Header=BB191_38 Depth=1
	v_bfe_u32 v1, v0, 16, 1
	s_delay_alu instid0(VALU_DEP_1)
	v_add3_u32 v48, v0, v1, 0x7fff
                                        ; implicit-def: $vgpr0
; %bb.847:                              ;   in Loop: Header=BB191_38 Depth=1
	s_and_not1_saveexec_b32 s12, s1
; %bb.848:                              ;   in Loop: Header=BB191_38 Depth=1
	v_and_b32_e32 v1, 0xffff, v0
	v_or_b32_e32 v2, 0x10000, v0
	s_delay_alu instid0(VALU_DEP_2) | instskip(NEXT) | instid1(VALU_DEP_1)
	v_cmp_eq_u32_e64 s1, 0, v1
	v_cndmask_b32_e64 v48, v2, v0, s1
; %bb.849:                              ;   in Loop: Header=BB191_38 Depth=1
	s_or_b32 exec_lo, exec_lo, s12
	v_lshlrev_b32_e32 v0, 16, v6
                                        ; implicit-def: $vgpr50
	s_delay_alu instid0(VALU_DEP_1) | instskip(NEXT) | instid1(VALU_DEP_1)
	v_mul_f32_e32 v0, v88, v0
	v_and_b32_e32 v1, 0x7f800000, v0
	s_delay_alu instid0(VALU_DEP_1) | instskip(NEXT) | instid1(VALU_DEP_1)
	v_cmp_ne_u32_e64 s1, 0x7f800000, v1
	s_and_saveexec_b32 s12, s1
	s_delay_alu instid0(SALU_CYCLE_1)
	s_xor_b32 s1, exec_lo, s12
; %bb.850:                              ;   in Loop: Header=BB191_38 Depth=1
	v_bfe_u32 v1, v0, 16, 1
	s_delay_alu instid0(VALU_DEP_1)
	v_add3_u32 v50, v0, v1, 0x7fff
                                        ; implicit-def: $vgpr0
; %bb.851:                              ;   in Loop: Header=BB191_38 Depth=1
	s_and_not1_saveexec_b32 s12, s1
; %bb.852:                              ;   in Loop: Header=BB191_38 Depth=1
	v_and_b32_e32 v1, 0xffff, v0
	v_or_b32_e32 v2, 0x10000, v0
	s_delay_alu instid0(VALU_DEP_2) | instskip(NEXT) | instid1(VALU_DEP_1)
	v_cmp_eq_u32_e64 s1, 0, v1
	v_cndmask_b32_e64 v50, v2, v0, s1
; %bb.853:                              ;   in Loop: Header=BB191_38 Depth=1
	s_or_b32 exec_lo, exec_lo, s12
	scratch_load_b32 v0, off, s32 offset:912 ; 4-byte Folded Reload
	s_waitcnt vmcnt(0)
	v_add_co_u32 v0, s1, v63, v0
	s_delay_alu instid0(VALU_DEP_1)
	v_add_co_ci_u32_e64 v1, s1, 0, v72, s1
	flat_load_b128 v[0:3], v[0:1]
	s_waitcnt vmcnt(0) lgkmcnt(0)
	v_lshrrev_b32_e32 v52, 16, v0
	v_lshrrev_b32_e32 v20, 16, v1
	;; [unrolled: 1-line block ×4, first 2 shown]
	s_and_saveexec_b32 s12, vcc_lo
	s_cbranch_execz .LBB191_855
; %bb.854:                              ;   in Loop: Header=BB191_38 Depth=1
	v_cmp_lt_i32_e64 s1, v183, v114
	s_delay_alu instid0(VALU_DEP_1) | instskip(SKIP_1) | instid1(VALU_DEP_1)
	v_cndmask_b32_e64 v0, 0, v0, s1
	v_cmp_lt_i32_e64 s1, v62, v114
	v_cndmask_b32_e64 v52, 0, v52, s1
	v_cmp_lt_i32_e64 s1, v61, v114
	s_delay_alu instid0(VALU_DEP_1) | instskip(SKIP_1) | instid1(VALU_DEP_1)
	v_cndmask_b32_e64 v1, 0, v1, s1
	v_cmp_lt_i32_e64 s1, v60, v114
	v_cndmask_b32_e64 v20, 0, v20, s1
	;; [unrolled: 5-line block ×4, first 2 shown]
.LBB191_855:                            ;   in Loop: Header=BB191_38 Depth=1
	s_or_b32 exec_lo, exec_lo, s12
	v_lshlrev_b32_e32 v0, 16, v0
	s_delay_alu instid0(VALU_DEP_1) | instskip(NEXT) | instid1(VALU_DEP_1)
	v_mul_f32_e32 v0, v73, v0
	v_and_b32_e32 v51, 0x7f800000, v0
	s_delay_alu instid0(VALU_DEP_1) | instskip(NEXT) | instid1(VALU_DEP_1)
	v_cmp_ne_u32_e64 s1, 0x7f800000, v51
                                        ; implicit-def: $vgpr51
	s_and_saveexec_b32 s12, s1
	s_delay_alu instid0(SALU_CYCLE_1)
	s_xor_b32 s1, exec_lo, s12
; %bb.856:                              ;   in Loop: Header=BB191_38 Depth=1
	v_bfe_u32 v51, v0, 16, 1
	s_delay_alu instid0(VALU_DEP_1)
	v_add3_u32 v51, v0, v51, 0x7fff
                                        ; implicit-def: $vgpr0
; %bb.857:                              ;   in Loop: Header=BB191_38 Depth=1
	s_and_not1_saveexec_b32 s12, s1
; %bb.858:                              ;   in Loop: Header=BB191_38 Depth=1
	v_and_b32_e32 v51, 0xffff, v0
	v_or_b32_e32 v53, 0x10000, v0
	s_delay_alu instid0(VALU_DEP_2) | instskip(NEXT) | instid1(VALU_DEP_1)
	v_cmp_eq_u32_e64 s1, 0, v51
	v_cndmask_b32_e64 v51, v53, v0, s1
; %bb.859:                              ;   in Loop: Header=BB191_38 Depth=1
	s_or_b32 exec_lo, exec_lo, s12
	v_lshlrev_b32_e32 v0, 16, v52
	s_delay_alu instid0(VALU_DEP_1) | instskip(NEXT) | instid1(VALU_DEP_1)
	v_mul_f32_e32 v0, v74, v0
	v_and_b32_e32 v52, 0x7f800000, v0
	s_delay_alu instid0(VALU_DEP_1) | instskip(NEXT) | instid1(VALU_DEP_1)
	v_cmp_ne_u32_e64 s1, 0x7f800000, v52
                                        ; implicit-def: $vgpr52
	s_and_saveexec_b32 s12, s1
	s_delay_alu instid0(SALU_CYCLE_1)
	s_xor_b32 s1, exec_lo, s12
; %bb.860:                              ;   in Loop: Header=BB191_38 Depth=1
	v_bfe_u32 v52, v0, 16, 1
	s_delay_alu instid0(VALU_DEP_1)
	v_add3_u32 v52, v0, v52, 0x7fff
                                        ; implicit-def: $vgpr0
; %bb.861:                              ;   in Loop: Header=BB191_38 Depth=1
	s_and_not1_saveexec_b32 s12, s1
; %bb.862:                              ;   in Loop: Header=BB191_38 Depth=1
	v_and_b32_e32 v52, 0xffff, v0
	v_or_b32_e32 v53, 0x10000, v0
	s_delay_alu instid0(VALU_DEP_2) | instskip(NEXT) | instid1(VALU_DEP_1)
	v_cmp_eq_u32_e64 s1, 0, v52
	v_cndmask_b32_e64 v52, v53, v0, s1
; %bb.863:                              ;   in Loop: Header=BB191_38 Depth=1
	s_or_b32 exec_lo, exec_lo, s12
	v_lshlrev_b32_e32 v0, 16, v1
                                        ; implicit-def: $vgpr53
	s_delay_alu instid0(VALU_DEP_1) | instskip(NEXT) | instid1(VALU_DEP_1)
	v_mul_f32_e32 v0, v75, v0
	v_and_b32_e32 v1, 0x7f800000, v0
	s_delay_alu instid0(VALU_DEP_1) | instskip(NEXT) | instid1(VALU_DEP_1)
	v_cmp_ne_u32_e64 s1, 0x7f800000, v1
	s_and_saveexec_b32 s12, s1
	s_delay_alu instid0(SALU_CYCLE_1)
	s_xor_b32 s1, exec_lo, s12
; %bb.864:                              ;   in Loop: Header=BB191_38 Depth=1
	v_bfe_u32 v1, v0, 16, 1
	s_delay_alu instid0(VALU_DEP_1)
	v_add3_u32 v53, v0, v1, 0x7fff
                                        ; implicit-def: $vgpr0
; %bb.865:                              ;   in Loop: Header=BB191_38 Depth=1
	s_and_not1_saveexec_b32 s12, s1
; %bb.866:                              ;   in Loop: Header=BB191_38 Depth=1
	v_and_b32_e32 v1, 0xffff, v0
	v_or_b32_e32 v53, 0x10000, v0
	s_delay_alu instid0(VALU_DEP_2) | instskip(NEXT) | instid1(VALU_DEP_1)
	v_cmp_eq_u32_e64 s1, 0, v1
	v_cndmask_b32_e64 v53, v53, v0, s1
; %bb.867:                              ;   in Loop: Header=BB191_38 Depth=1
	s_or_b32 exec_lo, exec_lo, s12
	v_lshlrev_b32_e32 v0, 16, v20
                                        ; implicit-def: $vgpr54
	s_delay_alu instid0(VALU_DEP_1) | instskip(NEXT) | instid1(VALU_DEP_1)
	v_mul_f32_e32 v0, v76, v0
	v_and_b32_e32 v1, 0x7f800000, v0
	s_delay_alu instid0(VALU_DEP_1) | instskip(NEXT) | instid1(VALU_DEP_1)
	v_cmp_ne_u32_e64 s1, 0x7f800000, v1
	s_and_saveexec_b32 s12, s1
	s_delay_alu instid0(SALU_CYCLE_1)
	s_xor_b32 s1, exec_lo, s12
; %bb.868:                              ;   in Loop: Header=BB191_38 Depth=1
	v_bfe_u32 v1, v0, 16, 1
	s_delay_alu instid0(VALU_DEP_1)
	v_add3_u32 v54, v0, v1, 0x7fff
                                        ; implicit-def: $vgpr0
; %bb.869:                              ;   in Loop: Header=BB191_38 Depth=1
	s_and_not1_saveexec_b32 s12, s1
; %bb.870:                              ;   in Loop: Header=BB191_38 Depth=1
	v_and_b32_e32 v1, 0xffff, v0
	v_or_b32_e32 v20, 0x10000, v0
	s_delay_alu instid0(VALU_DEP_2) | instskip(NEXT) | instid1(VALU_DEP_1)
	v_cmp_eq_u32_e64 s1, 0, v1
	v_cndmask_b32_e64 v54, v20, v0, s1
; %bb.871:                              ;   in Loop: Header=BB191_38 Depth=1
	s_or_b32 exec_lo, exec_lo, s12
	v_lshlrev_b32_e32 v0, 16, v2
                                        ; implicit-def: $vgpr55
	s_delay_alu instid0(VALU_DEP_1) | instskip(NEXT) | instid1(VALU_DEP_1)
	v_mul_f32_e32 v0, v77, v0
	v_and_b32_e32 v1, 0x7f800000, v0
	s_delay_alu instid0(VALU_DEP_1) | instskip(NEXT) | instid1(VALU_DEP_1)
	v_cmp_ne_u32_e64 s1, 0x7f800000, v1
	s_and_saveexec_b32 s12, s1
	s_delay_alu instid0(SALU_CYCLE_1)
	s_xor_b32 s1, exec_lo, s12
; %bb.872:                              ;   in Loop: Header=BB191_38 Depth=1
	v_bfe_u32 v1, v0, 16, 1
	s_delay_alu instid0(VALU_DEP_1)
	v_add3_u32 v55, v0, v1, 0x7fff
                                        ; implicit-def: $vgpr0
; %bb.873:                              ;   in Loop: Header=BB191_38 Depth=1
	s_and_not1_saveexec_b32 s12, s1
; %bb.874:                              ;   in Loop: Header=BB191_38 Depth=1
	v_and_b32_e32 v1, 0xffff, v0
	v_or_b32_e32 v2, 0x10000, v0
	s_delay_alu instid0(VALU_DEP_2) | instskip(NEXT) | instid1(VALU_DEP_1)
	v_cmp_eq_u32_e64 s1, 0, v1
	v_cndmask_b32_e64 v55, v2, v0, s1
; %bb.875:                              ;   in Loop: Header=BB191_38 Depth=1
	s_or_b32 exec_lo, exec_lo, s12
	v_lshlrev_b32_e32 v0, 16, v7
                                        ; implicit-def: $vgpr64
	s_delay_alu instid0(VALU_DEP_1) | instskip(NEXT) | instid1(VALU_DEP_1)
	v_mul_f32_e32 v0, v78, v0
	v_and_b32_e32 v1, 0x7f800000, v0
	s_delay_alu instid0(VALU_DEP_1) | instskip(NEXT) | instid1(VALU_DEP_1)
	v_cmp_ne_u32_e64 s1, 0x7f800000, v1
	s_and_saveexec_b32 s12, s1
	s_delay_alu instid0(SALU_CYCLE_1)
	s_xor_b32 s1, exec_lo, s12
; %bb.876:                              ;   in Loop: Header=BB191_38 Depth=1
	v_bfe_u32 v1, v0, 16, 1
	s_delay_alu instid0(VALU_DEP_1)
	v_add3_u32 v64, v0, v1, 0x7fff
                                        ; implicit-def: $vgpr0
; %bb.877:                              ;   in Loop: Header=BB191_38 Depth=1
	s_and_not1_saveexec_b32 s12, s1
; %bb.878:                              ;   in Loop: Header=BB191_38 Depth=1
	v_and_b32_e32 v1, 0xffff, v0
	v_or_b32_e32 v2, 0x10000, v0
	s_delay_alu instid0(VALU_DEP_2) | instskip(NEXT) | instid1(VALU_DEP_1)
	v_cmp_eq_u32_e64 s1, 0, v1
	v_cndmask_b32_e64 v64, v2, v0, s1
; %bb.879:                              ;   in Loop: Header=BB191_38 Depth=1
	s_or_b32 exec_lo, exec_lo, s12
	v_lshlrev_b32_e32 v0, 16, v3
                                        ; implicit-def: $vgpr65
	s_delay_alu instid0(VALU_DEP_1) | instskip(NEXT) | instid1(VALU_DEP_1)
	v_mul_f32_e32 v0, v79, v0
	v_and_b32_e32 v1, 0x7f800000, v0
	s_delay_alu instid0(VALU_DEP_1) | instskip(NEXT) | instid1(VALU_DEP_1)
	v_cmp_ne_u32_e64 s1, 0x7f800000, v1
	s_and_saveexec_b32 s12, s1
	s_delay_alu instid0(SALU_CYCLE_1)
	s_xor_b32 s1, exec_lo, s12
; %bb.880:                              ;   in Loop: Header=BB191_38 Depth=1
	v_bfe_u32 v1, v0, 16, 1
	s_delay_alu instid0(VALU_DEP_1)
	v_add3_u32 v65, v0, v1, 0x7fff
                                        ; implicit-def: $vgpr0
; %bb.881:                              ;   in Loop: Header=BB191_38 Depth=1
	s_and_not1_saveexec_b32 s12, s1
; %bb.882:                              ;   in Loop: Header=BB191_38 Depth=1
	v_and_b32_e32 v1, 0xffff, v0
	v_or_b32_e32 v2, 0x10000, v0
	s_delay_alu instid0(VALU_DEP_2) | instskip(NEXT) | instid1(VALU_DEP_1)
	v_cmp_eq_u32_e64 s1, 0, v1
	v_cndmask_b32_e64 v65, v2, v0, s1
; %bb.883:                              ;   in Loop: Header=BB191_38 Depth=1
	s_or_b32 exec_lo, exec_lo, s12
	v_lshlrev_b32_e32 v0, 16, v6
                                        ; implicit-def: $vgpr66
	s_delay_alu instid0(VALU_DEP_1) | instskip(NEXT) | instid1(VALU_DEP_1)
	v_mul_f32_e32 v0, v88, v0
	v_and_b32_e32 v1, 0x7f800000, v0
	s_delay_alu instid0(VALU_DEP_1) | instskip(NEXT) | instid1(VALU_DEP_1)
	v_cmp_ne_u32_e64 s1, 0x7f800000, v1
	s_and_saveexec_b32 s12, s1
	s_delay_alu instid0(SALU_CYCLE_1)
	s_xor_b32 s1, exec_lo, s12
; %bb.884:                              ;   in Loop: Header=BB191_38 Depth=1
	v_bfe_u32 v1, v0, 16, 1
	s_delay_alu instid0(VALU_DEP_1)
	v_add3_u32 v66, v0, v1, 0x7fff
                                        ; implicit-def: $vgpr0
; %bb.885:                              ;   in Loop: Header=BB191_38 Depth=1
	s_and_not1_saveexec_b32 s12, s1
; %bb.886:                              ;   in Loop: Header=BB191_38 Depth=1
	v_and_b32_e32 v1, 0xffff, v0
	v_or_b32_e32 v2, 0x10000, v0
	s_delay_alu instid0(VALU_DEP_2) | instskip(NEXT) | instid1(VALU_DEP_1)
	v_cmp_eq_u32_e64 s1, 0, v1
	v_cndmask_b32_e64 v66, v2, v0, s1
; %bb.887:                              ;   in Loop: Header=BB191_38 Depth=1
	s_or_b32 exec_lo, exec_lo, s12
	scratch_load_b32 v0, off, s32 offset:916 ; 4-byte Folded Reload
	s_waitcnt vmcnt(0)
	v_add_co_u32 v0, s1, v63, v0
	s_delay_alu instid0(VALU_DEP_1)
	v_add_co_ci_u32_e64 v1, s1, 0, v72, s1
	flat_load_b128 v[0:3], v[0:1]
	s_waitcnt vmcnt(0) lgkmcnt(0)
	v_lshrrev_b32_e32 v68, 16, v0
	v_lshrrev_b32_e32 v20, 16, v1
	;; [unrolled: 1-line block ×4, first 2 shown]
	s_and_saveexec_b32 s12, vcc_lo
	s_cbranch_execz .LBB191_889
; %bb.888:                              ;   in Loop: Header=BB191_38 Depth=1
	v_cmp_lt_i32_e64 s1, v183, v114
	s_delay_alu instid0(VALU_DEP_1) | instskip(SKIP_1) | instid1(VALU_DEP_1)
	v_cndmask_b32_e64 v0, 0, v0, s1
	v_cmp_lt_i32_e64 s1, v62, v114
	v_cndmask_b32_e64 v68, 0, v68, s1
	v_cmp_lt_i32_e64 s1, v61, v114
	s_delay_alu instid0(VALU_DEP_1) | instskip(SKIP_1) | instid1(VALU_DEP_1)
	v_cndmask_b32_e64 v1, 0, v1, s1
	v_cmp_lt_i32_e64 s1, v60, v114
	v_cndmask_b32_e64 v20, 0, v20, s1
	;; [unrolled: 5-line block ×4, first 2 shown]
.LBB191_889:                            ;   in Loop: Header=BB191_38 Depth=1
	s_or_b32 exec_lo, exec_lo, s12
	v_lshlrev_b32_e32 v0, 16, v0
	s_delay_alu instid0(VALU_DEP_1) | instskip(NEXT) | instid1(VALU_DEP_1)
	v_mul_f32_e32 v0, v73, v0
	v_and_b32_e32 v67, 0x7f800000, v0
	s_delay_alu instid0(VALU_DEP_1) | instskip(NEXT) | instid1(VALU_DEP_1)
	v_cmp_ne_u32_e64 s1, 0x7f800000, v67
                                        ; implicit-def: $vgpr67
	s_and_saveexec_b32 s12, s1
	s_delay_alu instid0(SALU_CYCLE_1)
	s_xor_b32 s1, exec_lo, s12
; %bb.890:                              ;   in Loop: Header=BB191_38 Depth=1
	v_bfe_u32 v67, v0, 16, 1
	s_delay_alu instid0(VALU_DEP_1)
	v_add3_u32 v67, v0, v67, 0x7fff
                                        ; implicit-def: $vgpr0
; %bb.891:                              ;   in Loop: Header=BB191_38 Depth=1
	s_and_not1_saveexec_b32 s12, s1
; %bb.892:                              ;   in Loop: Header=BB191_38 Depth=1
	v_and_b32_e32 v67, 0xffff, v0
	v_or_b32_e32 v69, 0x10000, v0
	s_delay_alu instid0(VALU_DEP_2) | instskip(NEXT) | instid1(VALU_DEP_1)
	v_cmp_eq_u32_e64 s1, 0, v67
	v_cndmask_b32_e64 v67, v69, v0, s1
; %bb.893:                              ;   in Loop: Header=BB191_38 Depth=1
	s_or_b32 exec_lo, exec_lo, s12
	v_lshlrev_b32_e32 v0, 16, v68
	s_delay_alu instid0(VALU_DEP_1) | instskip(NEXT) | instid1(VALU_DEP_1)
	v_mul_f32_e32 v0, v74, v0
	v_and_b32_e32 v68, 0x7f800000, v0
	s_delay_alu instid0(VALU_DEP_1) | instskip(NEXT) | instid1(VALU_DEP_1)
	v_cmp_ne_u32_e64 s1, 0x7f800000, v68
                                        ; implicit-def: $vgpr68
	s_and_saveexec_b32 s12, s1
	s_delay_alu instid0(SALU_CYCLE_1)
	s_xor_b32 s1, exec_lo, s12
; %bb.894:                              ;   in Loop: Header=BB191_38 Depth=1
	v_bfe_u32 v68, v0, 16, 1
	s_delay_alu instid0(VALU_DEP_1)
	v_add3_u32 v68, v0, v68, 0x7fff
                                        ; implicit-def: $vgpr0
; %bb.895:                              ;   in Loop: Header=BB191_38 Depth=1
	s_and_not1_saveexec_b32 s12, s1
; %bb.896:                              ;   in Loop: Header=BB191_38 Depth=1
	v_and_b32_e32 v68, 0xffff, v0
	v_or_b32_e32 v69, 0x10000, v0
	s_delay_alu instid0(VALU_DEP_2) | instskip(NEXT) | instid1(VALU_DEP_1)
	v_cmp_eq_u32_e64 s1, 0, v68
	v_cndmask_b32_e64 v68, v69, v0, s1
; %bb.897:                              ;   in Loop: Header=BB191_38 Depth=1
	s_or_b32 exec_lo, exec_lo, s12
	v_lshlrev_b32_e32 v0, 16, v1
                                        ; implicit-def: $vgpr69
	s_delay_alu instid0(VALU_DEP_1) | instskip(NEXT) | instid1(VALU_DEP_1)
	v_mul_f32_e32 v0, v75, v0
	v_and_b32_e32 v1, 0x7f800000, v0
	s_delay_alu instid0(VALU_DEP_1) | instskip(NEXT) | instid1(VALU_DEP_1)
	v_cmp_ne_u32_e64 s1, 0x7f800000, v1
	s_and_saveexec_b32 s12, s1
	s_delay_alu instid0(SALU_CYCLE_1)
	s_xor_b32 s1, exec_lo, s12
; %bb.898:                              ;   in Loop: Header=BB191_38 Depth=1
	v_bfe_u32 v1, v0, 16, 1
	s_delay_alu instid0(VALU_DEP_1)
	v_add3_u32 v69, v0, v1, 0x7fff
                                        ; implicit-def: $vgpr0
; %bb.899:                              ;   in Loop: Header=BB191_38 Depth=1
	s_and_not1_saveexec_b32 s12, s1
; %bb.900:                              ;   in Loop: Header=BB191_38 Depth=1
	v_and_b32_e32 v1, 0xffff, v0
	v_or_b32_e32 v69, 0x10000, v0
	s_delay_alu instid0(VALU_DEP_2) | instskip(NEXT) | instid1(VALU_DEP_1)
	v_cmp_eq_u32_e64 s1, 0, v1
	v_cndmask_b32_e64 v69, v69, v0, s1
; %bb.901:                              ;   in Loop: Header=BB191_38 Depth=1
	s_or_b32 exec_lo, exec_lo, s12
	v_lshlrev_b32_e32 v0, 16, v20
                                        ; implicit-def: $vgpr70
	s_delay_alu instid0(VALU_DEP_1) | instskip(NEXT) | instid1(VALU_DEP_1)
	v_mul_f32_e32 v0, v76, v0
	v_and_b32_e32 v1, 0x7f800000, v0
	s_delay_alu instid0(VALU_DEP_1) | instskip(NEXT) | instid1(VALU_DEP_1)
	v_cmp_ne_u32_e64 s1, 0x7f800000, v1
	s_and_saveexec_b32 s12, s1
	s_delay_alu instid0(SALU_CYCLE_1)
	s_xor_b32 s1, exec_lo, s12
; %bb.902:                              ;   in Loop: Header=BB191_38 Depth=1
	v_bfe_u32 v1, v0, 16, 1
	s_delay_alu instid0(VALU_DEP_1)
	v_add3_u32 v70, v0, v1, 0x7fff
                                        ; implicit-def: $vgpr0
; %bb.903:                              ;   in Loop: Header=BB191_38 Depth=1
	s_and_not1_saveexec_b32 s12, s1
; %bb.904:                              ;   in Loop: Header=BB191_38 Depth=1
	v_and_b32_e32 v1, 0xffff, v0
	v_or_b32_e32 v20, 0x10000, v0
	s_delay_alu instid0(VALU_DEP_2) | instskip(NEXT) | instid1(VALU_DEP_1)
	v_cmp_eq_u32_e64 s1, 0, v1
	v_cndmask_b32_e64 v70, v20, v0, s1
; %bb.905:                              ;   in Loop: Header=BB191_38 Depth=1
	s_or_b32 exec_lo, exec_lo, s12
	v_lshlrev_b32_e32 v0, 16, v2
                                        ; implicit-def: $vgpr71
	s_delay_alu instid0(VALU_DEP_1) | instskip(NEXT) | instid1(VALU_DEP_1)
	v_mul_f32_e32 v0, v77, v0
	v_and_b32_e32 v1, 0x7f800000, v0
	s_delay_alu instid0(VALU_DEP_1) | instskip(NEXT) | instid1(VALU_DEP_1)
	v_cmp_ne_u32_e64 s1, 0x7f800000, v1
	s_and_saveexec_b32 s12, s1
	s_delay_alu instid0(SALU_CYCLE_1)
	s_xor_b32 s1, exec_lo, s12
; %bb.906:                              ;   in Loop: Header=BB191_38 Depth=1
	v_bfe_u32 v1, v0, 16, 1
	s_delay_alu instid0(VALU_DEP_1)
	v_add3_u32 v71, v0, v1, 0x7fff
                                        ; implicit-def: $vgpr0
; %bb.907:                              ;   in Loop: Header=BB191_38 Depth=1
	s_and_not1_saveexec_b32 s12, s1
; %bb.908:                              ;   in Loop: Header=BB191_38 Depth=1
	v_and_b32_e32 v1, 0xffff, v0
	v_or_b32_e32 v2, 0x10000, v0
	s_delay_alu instid0(VALU_DEP_2) | instskip(NEXT) | instid1(VALU_DEP_1)
	v_cmp_eq_u32_e64 s1, 0, v1
	v_cndmask_b32_e64 v71, v2, v0, s1
; %bb.909:                              ;   in Loop: Header=BB191_38 Depth=1
	s_or_b32 exec_lo, exec_lo, s12
	v_lshlrev_b32_e32 v0, 16, v7
                                        ; implicit-def: $vgpr89
	s_delay_alu instid0(VALU_DEP_1) | instskip(NEXT) | instid1(VALU_DEP_1)
	v_mul_f32_e32 v0, v78, v0
	v_and_b32_e32 v1, 0x7f800000, v0
	s_delay_alu instid0(VALU_DEP_1) | instskip(NEXT) | instid1(VALU_DEP_1)
	v_cmp_ne_u32_e64 s1, 0x7f800000, v1
	s_and_saveexec_b32 s12, s1
	s_delay_alu instid0(SALU_CYCLE_1)
	s_xor_b32 s1, exec_lo, s12
; %bb.910:                              ;   in Loop: Header=BB191_38 Depth=1
	v_bfe_u32 v1, v0, 16, 1
	s_delay_alu instid0(VALU_DEP_1)
	v_add3_u32 v89, v0, v1, 0x7fff
                                        ; implicit-def: $vgpr0
; %bb.911:                              ;   in Loop: Header=BB191_38 Depth=1
	s_and_not1_saveexec_b32 s12, s1
; %bb.912:                              ;   in Loop: Header=BB191_38 Depth=1
	v_and_b32_e32 v1, 0xffff, v0
	v_or_b32_e32 v2, 0x10000, v0
	s_delay_alu instid0(VALU_DEP_2) | instskip(NEXT) | instid1(VALU_DEP_1)
	v_cmp_eq_u32_e64 s1, 0, v1
	v_cndmask_b32_e64 v89, v2, v0, s1
; %bb.913:                              ;   in Loop: Header=BB191_38 Depth=1
	s_or_b32 exec_lo, exec_lo, s12
	v_lshlrev_b32_e32 v0, 16, v3
                                        ; implicit-def: $vgpr90
	s_delay_alu instid0(VALU_DEP_1) | instskip(NEXT) | instid1(VALU_DEP_1)
	v_mul_f32_e32 v0, v79, v0
	v_and_b32_e32 v1, 0x7f800000, v0
	s_delay_alu instid0(VALU_DEP_1) | instskip(NEXT) | instid1(VALU_DEP_1)
	v_cmp_ne_u32_e64 s1, 0x7f800000, v1
	s_and_saveexec_b32 s12, s1
	s_delay_alu instid0(SALU_CYCLE_1)
	s_xor_b32 s1, exec_lo, s12
; %bb.914:                              ;   in Loop: Header=BB191_38 Depth=1
	v_bfe_u32 v1, v0, 16, 1
	s_delay_alu instid0(VALU_DEP_1)
	v_add3_u32 v90, v0, v1, 0x7fff
                                        ; implicit-def: $vgpr0
; %bb.915:                              ;   in Loop: Header=BB191_38 Depth=1
	s_and_not1_saveexec_b32 s12, s1
; %bb.916:                              ;   in Loop: Header=BB191_38 Depth=1
	v_and_b32_e32 v1, 0xffff, v0
	v_or_b32_e32 v2, 0x10000, v0
	s_delay_alu instid0(VALU_DEP_2) | instskip(NEXT) | instid1(VALU_DEP_1)
	v_cmp_eq_u32_e64 s1, 0, v1
	v_cndmask_b32_e64 v90, v2, v0, s1
; %bb.917:                              ;   in Loop: Header=BB191_38 Depth=1
	s_or_b32 exec_lo, exec_lo, s12
	v_lshlrev_b32_e32 v0, 16, v6
                                        ; implicit-def: $vgpr91
	s_delay_alu instid0(VALU_DEP_1) | instskip(NEXT) | instid1(VALU_DEP_1)
	v_mul_f32_e32 v0, v88, v0
	v_and_b32_e32 v1, 0x7f800000, v0
	s_delay_alu instid0(VALU_DEP_1) | instskip(NEXT) | instid1(VALU_DEP_1)
	v_cmp_ne_u32_e64 s1, 0x7f800000, v1
	s_and_saveexec_b32 s12, s1
	s_delay_alu instid0(SALU_CYCLE_1)
	s_xor_b32 s1, exec_lo, s12
; %bb.918:                              ;   in Loop: Header=BB191_38 Depth=1
	v_bfe_u32 v1, v0, 16, 1
	s_delay_alu instid0(VALU_DEP_1)
	v_add3_u32 v91, v0, v1, 0x7fff
                                        ; implicit-def: $vgpr0
; %bb.919:                              ;   in Loop: Header=BB191_38 Depth=1
	s_and_not1_saveexec_b32 s12, s1
; %bb.920:                              ;   in Loop: Header=BB191_38 Depth=1
	v_and_b32_e32 v1, 0xffff, v0
	v_or_b32_e32 v2, 0x10000, v0
	s_delay_alu instid0(VALU_DEP_2) | instskip(NEXT) | instid1(VALU_DEP_1)
	v_cmp_eq_u32_e64 s1, 0, v1
	v_cndmask_b32_e64 v91, v2, v0, s1
; %bb.921:                              ;   in Loop: Header=BB191_38 Depth=1
	s_or_b32 exec_lo, exec_lo, s12
	scratch_load_b32 v0, off, s32 offset:920 ; 4-byte Folded Reload
	s_waitcnt vmcnt(0)
	v_add_co_u32 v0, s1, v63, v0
	s_delay_alu instid0(VALU_DEP_1)
	v_add_co_ci_u32_e64 v1, s1, 0, v72, s1
	flat_load_b128 v[0:3], v[0:1]
	s_waitcnt vmcnt(0) lgkmcnt(0)
	v_lshrrev_b32_e32 v93, 16, v0
	v_lshrrev_b32_e32 v20, 16, v1
	;; [unrolled: 1-line block ×4, first 2 shown]
	s_and_saveexec_b32 s12, vcc_lo
	s_cbranch_execz .LBB191_923
; %bb.922:                              ;   in Loop: Header=BB191_38 Depth=1
	v_cmp_lt_i32_e64 s1, v183, v114
	s_delay_alu instid0(VALU_DEP_1) | instskip(SKIP_1) | instid1(VALU_DEP_1)
	v_cndmask_b32_e64 v0, 0, v0, s1
	v_cmp_lt_i32_e64 s1, v62, v114
	v_cndmask_b32_e64 v93, 0, v93, s1
	v_cmp_lt_i32_e64 s1, v61, v114
	s_delay_alu instid0(VALU_DEP_1) | instskip(SKIP_1) | instid1(VALU_DEP_1)
	v_cndmask_b32_e64 v1, 0, v1, s1
	v_cmp_lt_i32_e64 s1, v60, v114
	v_cndmask_b32_e64 v20, 0, v20, s1
	;; [unrolled: 5-line block ×4, first 2 shown]
.LBB191_923:                            ;   in Loop: Header=BB191_38 Depth=1
	s_or_b32 exec_lo, exec_lo, s12
	v_lshlrev_b32_e32 v0, 16, v0
	s_delay_alu instid0(VALU_DEP_1) | instskip(NEXT) | instid1(VALU_DEP_1)
	v_mul_f32_e32 v0, v73, v0
	v_and_b32_e32 v92, 0x7f800000, v0
	s_delay_alu instid0(VALU_DEP_1) | instskip(NEXT) | instid1(VALU_DEP_1)
	v_cmp_ne_u32_e64 s1, 0x7f800000, v92
                                        ; implicit-def: $vgpr92
	s_and_saveexec_b32 s12, s1
	s_delay_alu instid0(SALU_CYCLE_1)
	s_xor_b32 s1, exec_lo, s12
; %bb.924:                              ;   in Loop: Header=BB191_38 Depth=1
	v_bfe_u32 v92, v0, 16, 1
	s_delay_alu instid0(VALU_DEP_1)
	v_add3_u32 v92, v0, v92, 0x7fff
                                        ; implicit-def: $vgpr0
; %bb.925:                              ;   in Loop: Header=BB191_38 Depth=1
	s_and_not1_saveexec_b32 s12, s1
; %bb.926:                              ;   in Loop: Header=BB191_38 Depth=1
	v_and_b32_e32 v92, 0xffff, v0
	v_or_b32_e32 v94, 0x10000, v0
	s_delay_alu instid0(VALU_DEP_2) | instskip(NEXT) | instid1(VALU_DEP_1)
	v_cmp_eq_u32_e64 s1, 0, v92
	v_cndmask_b32_e64 v92, v94, v0, s1
; %bb.927:                              ;   in Loop: Header=BB191_38 Depth=1
	s_or_b32 exec_lo, exec_lo, s12
	v_lshlrev_b32_e32 v0, 16, v93
	s_delay_alu instid0(VALU_DEP_1) | instskip(NEXT) | instid1(VALU_DEP_1)
	v_mul_f32_e32 v0, v74, v0
	v_and_b32_e32 v93, 0x7f800000, v0
	s_delay_alu instid0(VALU_DEP_1) | instskip(NEXT) | instid1(VALU_DEP_1)
	v_cmp_ne_u32_e64 s1, 0x7f800000, v93
                                        ; implicit-def: $vgpr93
	s_and_saveexec_b32 s12, s1
	s_delay_alu instid0(SALU_CYCLE_1)
	s_xor_b32 s1, exec_lo, s12
; %bb.928:                              ;   in Loop: Header=BB191_38 Depth=1
	v_bfe_u32 v93, v0, 16, 1
	s_delay_alu instid0(VALU_DEP_1)
	v_add3_u32 v93, v0, v93, 0x7fff
                                        ; implicit-def: $vgpr0
; %bb.929:                              ;   in Loop: Header=BB191_38 Depth=1
	s_and_not1_saveexec_b32 s12, s1
; %bb.930:                              ;   in Loop: Header=BB191_38 Depth=1
	v_and_b32_e32 v93, 0xffff, v0
	v_or_b32_e32 v94, 0x10000, v0
	s_delay_alu instid0(VALU_DEP_2) | instskip(NEXT) | instid1(VALU_DEP_1)
	v_cmp_eq_u32_e64 s1, 0, v93
	v_cndmask_b32_e64 v93, v94, v0, s1
; %bb.931:                              ;   in Loop: Header=BB191_38 Depth=1
	s_or_b32 exec_lo, exec_lo, s12
	v_lshlrev_b32_e32 v0, 16, v1
                                        ; implicit-def: $vgpr94
	s_delay_alu instid0(VALU_DEP_1) | instskip(NEXT) | instid1(VALU_DEP_1)
	v_mul_f32_e32 v0, v75, v0
	v_and_b32_e32 v1, 0x7f800000, v0
	s_delay_alu instid0(VALU_DEP_1) | instskip(NEXT) | instid1(VALU_DEP_1)
	v_cmp_ne_u32_e64 s1, 0x7f800000, v1
	s_and_saveexec_b32 s12, s1
	s_delay_alu instid0(SALU_CYCLE_1)
	s_xor_b32 s1, exec_lo, s12
; %bb.932:                              ;   in Loop: Header=BB191_38 Depth=1
	v_bfe_u32 v1, v0, 16, 1
	s_delay_alu instid0(VALU_DEP_1)
	v_add3_u32 v94, v0, v1, 0x7fff
                                        ; implicit-def: $vgpr0
; %bb.933:                              ;   in Loop: Header=BB191_38 Depth=1
	s_and_not1_saveexec_b32 s12, s1
; %bb.934:                              ;   in Loop: Header=BB191_38 Depth=1
	v_and_b32_e32 v1, 0xffff, v0
	v_or_b32_e32 v94, 0x10000, v0
	s_delay_alu instid0(VALU_DEP_2) | instskip(NEXT) | instid1(VALU_DEP_1)
	v_cmp_eq_u32_e64 s1, 0, v1
	v_cndmask_b32_e64 v94, v94, v0, s1
; %bb.935:                              ;   in Loop: Header=BB191_38 Depth=1
	s_or_b32 exec_lo, exec_lo, s12
	v_lshlrev_b32_e32 v0, 16, v20
                                        ; implicit-def: $vgpr95
	s_delay_alu instid0(VALU_DEP_1) | instskip(NEXT) | instid1(VALU_DEP_1)
	v_mul_f32_e32 v0, v76, v0
	v_and_b32_e32 v1, 0x7f800000, v0
	s_delay_alu instid0(VALU_DEP_1) | instskip(NEXT) | instid1(VALU_DEP_1)
	v_cmp_ne_u32_e64 s1, 0x7f800000, v1
	s_and_saveexec_b32 s12, s1
	s_delay_alu instid0(SALU_CYCLE_1)
	s_xor_b32 s1, exec_lo, s12
; %bb.936:                              ;   in Loop: Header=BB191_38 Depth=1
	v_bfe_u32 v1, v0, 16, 1
	s_delay_alu instid0(VALU_DEP_1)
	v_add3_u32 v95, v0, v1, 0x7fff
                                        ; implicit-def: $vgpr0
; %bb.937:                              ;   in Loop: Header=BB191_38 Depth=1
	s_and_not1_saveexec_b32 s12, s1
; %bb.938:                              ;   in Loop: Header=BB191_38 Depth=1
	v_and_b32_e32 v1, 0xffff, v0
	v_or_b32_e32 v20, 0x10000, v0
	s_delay_alu instid0(VALU_DEP_2) | instskip(NEXT) | instid1(VALU_DEP_1)
	v_cmp_eq_u32_e64 s1, 0, v1
	v_cndmask_b32_e64 v95, v20, v0, s1
; %bb.939:                              ;   in Loop: Header=BB191_38 Depth=1
	s_or_b32 exec_lo, exec_lo, s12
	v_lshlrev_b32_e32 v0, 16, v2
                                        ; implicit-def: $vgpr104
	s_delay_alu instid0(VALU_DEP_1) | instskip(NEXT) | instid1(VALU_DEP_1)
	v_mul_f32_e32 v0, v77, v0
	v_and_b32_e32 v1, 0x7f800000, v0
	s_delay_alu instid0(VALU_DEP_1) | instskip(NEXT) | instid1(VALU_DEP_1)
	v_cmp_ne_u32_e64 s1, 0x7f800000, v1
	s_and_saveexec_b32 s12, s1
	s_delay_alu instid0(SALU_CYCLE_1)
	s_xor_b32 s1, exec_lo, s12
; %bb.940:                              ;   in Loop: Header=BB191_38 Depth=1
	v_bfe_u32 v1, v0, 16, 1
	s_delay_alu instid0(VALU_DEP_1)
	v_add3_u32 v104, v0, v1, 0x7fff
                                        ; implicit-def: $vgpr0
; %bb.941:                              ;   in Loop: Header=BB191_38 Depth=1
	s_and_not1_saveexec_b32 s12, s1
; %bb.942:                              ;   in Loop: Header=BB191_38 Depth=1
	v_and_b32_e32 v1, 0xffff, v0
	v_or_b32_e32 v2, 0x10000, v0
	s_delay_alu instid0(VALU_DEP_2) | instskip(NEXT) | instid1(VALU_DEP_1)
	v_cmp_eq_u32_e64 s1, 0, v1
	v_cndmask_b32_e64 v104, v2, v0, s1
; %bb.943:                              ;   in Loop: Header=BB191_38 Depth=1
	s_or_b32 exec_lo, exec_lo, s12
	v_lshlrev_b32_e32 v0, 16, v7
                                        ; implicit-def: $vgpr106
	s_delay_alu instid0(VALU_DEP_1) | instskip(NEXT) | instid1(VALU_DEP_1)
	v_mul_f32_e32 v0, v78, v0
	v_and_b32_e32 v1, 0x7f800000, v0
	s_delay_alu instid0(VALU_DEP_1) | instskip(NEXT) | instid1(VALU_DEP_1)
	v_cmp_ne_u32_e64 s1, 0x7f800000, v1
	s_and_saveexec_b32 s12, s1
	s_delay_alu instid0(SALU_CYCLE_1)
	s_xor_b32 s1, exec_lo, s12
; %bb.944:                              ;   in Loop: Header=BB191_38 Depth=1
	v_bfe_u32 v1, v0, 16, 1
	s_delay_alu instid0(VALU_DEP_1)
	v_add3_u32 v106, v0, v1, 0x7fff
                                        ; implicit-def: $vgpr0
; %bb.945:                              ;   in Loop: Header=BB191_38 Depth=1
	s_and_not1_saveexec_b32 s12, s1
; %bb.946:                              ;   in Loop: Header=BB191_38 Depth=1
	v_and_b32_e32 v1, 0xffff, v0
	v_or_b32_e32 v2, 0x10000, v0
	s_delay_alu instid0(VALU_DEP_2) | instskip(NEXT) | instid1(VALU_DEP_1)
	v_cmp_eq_u32_e64 s1, 0, v1
	v_cndmask_b32_e64 v106, v2, v0, s1
; %bb.947:                              ;   in Loop: Header=BB191_38 Depth=1
	s_or_b32 exec_lo, exec_lo, s12
	v_lshlrev_b32_e32 v0, 16, v3
                                        ; implicit-def: $vgpr105
	s_delay_alu instid0(VALU_DEP_1) | instskip(NEXT) | instid1(VALU_DEP_1)
	v_mul_f32_e32 v0, v79, v0
	v_and_b32_e32 v1, 0x7f800000, v0
	s_delay_alu instid0(VALU_DEP_1) | instskip(NEXT) | instid1(VALU_DEP_1)
	v_cmp_ne_u32_e64 s1, 0x7f800000, v1
	s_and_saveexec_b32 s12, s1
	s_delay_alu instid0(SALU_CYCLE_1)
	s_xor_b32 s1, exec_lo, s12
; %bb.948:                              ;   in Loop: Header=BB191_38 Depth=1
	v_bfe_u32 v1, v0, 16, 1
	s_delay_alu instid0(VALU_DEP_1)
	v_add3_u32 v105, v0, v1, 0x7fff
                                        ; implicit-def: $vgpr0
; %bb.949:                              ;   in Loop: Header=BB191_38 Depth=1
	s_and_not1_saveexec_b32 s12, s1
; %bb.950:                              ;   in Loop: Header=BB191_38 Depth=1
	v_and_b32_e32 v1, 0xffff, v0
	v_or_b32_e32 v2, 0x10000, v0
	s_delay_alu instid0(VALU_DEP_2) | instskip(NEXT) | instid1(VALU_DEP_1)
	v_cmp_eq_u32_e64 s1, 0, v1
	v_cndmask_b32_e64 v105, v2, v0, s1
; %bb.951:                              ;   in Loop: Header=BB191_38 Depth=1
	s_or_b32 exec_lo, exec_lo, s12
	v_lshlrev_b32_e32 v0, 16, v6
                                        ; implicit-def: $vgpr107
	s_delay_alu instid0(VALU_DEP_1) | instskip(NEXT) | instid1(VALU_DEP_1)
	v_mul_f32_e32 v0, v88, v0
	v_and_b32_e32 v1, 0x7f800000, v0
	s_delay_alu instid0(VALU_DEP_1) | instskip(NEXT) | instid1(VALU_DEP_1)
	v_cmp_ne_u32_e64 s1, 0x7f800000, v1
	s_and_saveexec_b32 s12, s1
	s_delay_alu instid0(SALU_CYCLE_1)
	s_xor_b32 s1, exec_lo, s12
; %bb.952:                              ;   in Loop: Header=BB191_38 Depth=1
	v_bfe_u32 v1, v0, 16, 1
	s_delay_alu instid0(VALU_DEP_1)
	v_add3_u32 v107, v0, v1, 0x7fff
                                        ; implicit-def: $vgpr0
; %bb.953:                              ;   in Loop: Header=BB191_38 Depth=1
	s_and_not1_saveexec_b32 s12, s1
; %bb.954:                              ;   in Loop: Header=BB191_38 Depth=1
	v_and_b32_e32 v1, 0xffff, v0
	v_or_b32_e32 v2, 0x10000, v0
	s_delay_alu instid0(VALU_DEP_2) | instskip(NEXT) | instid1(VALU_DEP_1)
	v_cmp_eq_u32_e64 s1, 0, v1
	v_cndmask_b32_e64 v107, v2, v0, s1
; %bb.955:                              ;   in Loop: Header=BB191_38 Depth=1
	s_or_b32 exec_lo, exec_lo, s12
	scratch_load_b32 v0, off, s32 offset:924 ; 4-byte Folded Reload
	s_waitcnt vmcnt(0)
	v_add_co_u32 v0, s1, v63, v0
	s_delay_alu instid0(VALU_DEP_1)
	v_add_co_ci_u32_e64 v1, s1, 0, v72, s1
	flat_load_b128 v[0:3], v[0:1]
	s_waitcnt vmcnt(0) lgkmcnt(0)
	v_lshrrev_b32_e32 v109, 16, v0
	v_lshrrev_b32_e32 v20, 16, v1
	;; [unrolled: 1-line block ×4, first 2 shown]
	s_and_saveexec_b32 s12, vcc_lo
	s_cbranch_execz .LBB191_957
; %bb.956:                              ;   in Loop: Header=BB191_38 Depth=1
	v_cmp_lt_i32_e64 s1, v183, v114
	s_delay_alu instid0(VALU_DEP_1) | instskip(SKIP_1) | instid1(VALU_DEP_1)
	v_cndmask_b32_e64 v0, 0, v0, s1
	v_cmp_lt_i32_e64 s1, v62, v114
	v_cndmask_b32_e64 v109, 0, v109, s1
	v_cmp_lt_i32_e64 s1, v61, v114
	s_delay_alu instid0(VALU_DEP_1) | instskip(SKIP_1) | instid1(VALU_DEP_1)
	v_cndmask_b32_e64 v1, 0, v1, s1
	v_cmp_lt_i32_e64 s1, v60, v114
	v_cndmask_b32_e64 v20, 0, v20, s1
	;; [unrolled: 5-line block ×4, first 2 shown]
.LBB191_957:                            ;   in Loop: Header=BB191_38 Depth=1
	s_or_b32 exec_lo, exec_lo, s12
	v_lshlrev_b32_e32 v0, 16, v0
	s_delay_alu instid0(VALU_DEP_1) | instskip(NEXT) | instid1(VALU_DEP_1)
	v_mul_f32_e32 v0, v73, v0
	v_and_b32_e32 v108, 0x7f800000, v0
	s_delay_alu instid0(VALU_DEP_1) | instskip(NEXT) | instid1(VALU_DEP_1)
	v_cmp_ne_u32_e64 s1, 0x7f800000, v108
                                        ; implicit-def: $vgpr108
	s_and_saveexec_b32 s12, s1
	s_delay_alu instid0(SALU_CYCLE_1)
	s_xor_b32 s1, exec_lo, s12
; %bb.958:                              ;   in Loop: Header=BB191_38 Depth=1
	v_bfe_u32 v108, v0, 16, 1
	s_delay_alu instid0(VALU_DEP_1)
	v_add3_u32 v108, v0, v108, 0x7fff
                                        ; implicit-def: $vgpr0
; %bb.959:                              ;   in Loop: Header=BB191_38 Depth=1
	s_and_not1_saveexec_b32 s12, s1
; %bb.960:                              ;   in Loop: Header=BB191_38 Depth=1
	v_and_b32_e32 v108, 0xffff, v0
	v_or_b32_e32 v110, 0x10000, v0
	s_delay_alu instid0(VALU_DEP_2) | instskip(NEXT) | instid1(VALU_DEP_1)
	v_cmp_eq_u32_e64 s1, 0, v108
	v_cndmask_b32_e64 v108, v110, v0, s1
; %bb.961:                              ;   in Loop: Header=BB191_38 Depth=1
	s_or_b32 exec_lo, exec_lo, s12
	v_lshlrev_b32_e32 v0, 16, v109
	s_delay_alu instid0(VALU_DEP_1) | instskip(NEXT) | instid1(VALU_DEP_1)
	v_mul_f32_e32 v0, v74, v0
	v_and_b32_e32 v109, 0x7f800000, v0
	s_delay_alu instid0(VALU_DEP_1) | instskip(NEXT) | instid1(VALU_DEP_1)
	v_cmp_ne_u32_e64 s1, 0x7f800000, v109
                                        ; implicit-def: $vgpr109
	s_and_saveexec_b32 s12, s1
	s_delay_alu instid0(SALU_CYCLE_1)
	s_xor_b32 s1, exec_lo, s12
; %bb.962:                              ;   in Loop: Header=BB191_38 Depth=1
	v_bfe_u32 v109, v0, 16, 1
	s_delay_alu instid0(VALU_DEP_1)
	v_add3_u32 v109, v0, v109, 0x7fff
                                        ; implicit-def: $vgpr0
; %bb.963:                              ;   in Loop: Header=BB191_38 Depth=1
	s_and_not1_saveexec_b32 s12, s1
; %bb.964:                              ;   in Loop: Header=BB191_38 Depth=1
	v_and_b32_e32 v109, 0xffff, v0
	v_or_b32_e32 v110, 0x10000, v0
	s_delay_alu instid0(VALU_DEP_2) | instskip(NEXT) | instid1(VALU_DEP_1)
	v_cmp_eq_u32_e64 s1, 0, v109
	v_cndmask_b32_e64 v109, v110, v0, s1
; %bb.965:                              ;   in Loop: Header=BB191_38 Depth=1
	s_or_b32 exec_lo, exec_lo, s12
	v_lshlrev_b32_e32 v0, 16, v1
                                        ; implicit-def: $vgpr110
	s_delay_alu instid0(VALU_DEP_1) | instskip(NEXT) | instid1(VALU_DEP_1)
	v_mul_f32_e32 v0, v75, v0
	v_and_b32_e32 v1, 0x7f800000, v0
	s_delay_alu instid0(VALU_DEP_1) | instskip(NEXT) | instid1(VALU_DEP_1)
	v_cmp_ne_u32_e64 s1, 0x7f800000, v1
	s_and_saveexec_b32 s12, s1
	s_delay_alu instid0(SALU_CYCLE_1)
	s_xor_b32 s1, exec_lo, s12
; %bb.966:                              ;   in Loop: Header=BB191_38 Depth=1
	v_bfe_u32 v1, v0, 16, 1
	s_delay_alu instid0(VALU_DEP_1)
	v_add3_u32 v110, v0, v1, 0x7fff
                                        ; implicit-def: $vgpr0
; %bb.967:                              ;   in Loop: Header=BB191_38 Depth=1
	s_and_not1_saveexec_b32 s12, s1
; %bb.968:                              ;   in Loop: Header=BB191_38 Depth=1
	v_and_b32_e32 v1, 0xffff, v0
	v_or_b32_e32 v110, 0x10000, v0
	s_delay_alu instid0(VALU_DEP_2) | instskip(NEXT) | instid1(VALU_DEP_1)
	v_cmp_eq_u32_e64 s1, 0, v1
	v_cndmask_b32_e64 v110, v110, v0, s1
; %bb.969:                              ;   in Loop: Header=BB191_38 Depth=1
	s_or_b32 exec_lo, exec_lo, s12
	v_lshlrev_b32_e32 v0, 16, v20
                                        ; implicit-def: $vgpr111
	s_delay_alu instid0(VALU_DEP_1) | instskip(NEXT) | instid1(VALU_DEP_1)
	v_mul_f32_e32 v0, v76, v0
	v_and_b32_e32 v1, 0x7f800000, v0
	s_delay_alu instid0(VALU_DEP_1) | instskip(NEXT) | instid1(VALU_DEP_1)
	v_cmp_ne_u32_e64 s1, 0x7f800000, v1
	s_and_saveexec_b32 s12, s1
	s_delay_alu instid0(SALU_CYCLE_1)
	s_xor_b32 s1, exec_lo, s12
; %bb.970:                              ;   in Loop: Header=BB191_38 Depth=1
	v_bfe_u32 v1, v0, 16, 1
	s_delay_alu instid0(VALU_DEP_1)
	v_add3_u32 v111, v0, v1, 0x7fff
                                        ; implicit-def: $vgpr0
; %bb.971:                              ;   in Loop: Header=BB191_38 Depth=1
	s_and_not1_saveexec_b32 s12, s1
; %bb.972:                              ;   in Loop: Header=BB191_38 Depth=1
	v_and_b32_e32 v1, 0xffff, v0
	v_or_b32_e32 v20, 0x10000, v0
	s_delay_alu instid0(VALU_DEP_2) | instskip(NEXT) | instid1(VALU_DEP_1)
	v_cmp_eq_u32_e64 s1, 0, v1
	v_cndmask_b32_e64 v111, v20, v0, s1
; %bb.973:                              ;   in Loop: Header=BB191_38 Depth=1
	s_or_b32 exec_lo, exec_lo, s12
	v_lshlrev_b32_e32 v0, 16, v2
                                        ; implicit-def: $vgpr120
	s_delay_alu instid0(VALU_DEP_1) | instskip(NEXT) | instid1(VALU_DEP_1)
	v_mul_f32_e32 v0, v77, v0
	v_and_b32_e32 v1, 0x7f800000, v0
	s_delay_alu instid0(VALU_DEP_1) | instskip(NEXT) | instid1(VALU_DEP_1)
	v_cmp_ne_u32_e64 s1, 0x7f800000, v1
	s_and_saveexec_b32 s12, s1
	s_delay_alu instid0(SALU_CYCLE_1)
	s_xor_b32 s1, exec_lo, s12
; %bb.974:                              ;   in Loop: Header=BB191_38 Depth=1
	v_bfe_u32 v1, v0, 16, 1
	s_delay_alu instid0(VALU_DEP_1)
	v_add3_u32 v120, v0, v1, 0x7fff
                                        ; implicit-def: $vgpr0
; %bb.975:                              ;   in Loop: Header=BB191_38 Depth=1
	s_and_not1_saveexec_b32 s12, s1
; %bb.976:                              ;   in Loop: Header=BB191_38 Depth=1
	v_and_b32_e32 v1, 0xffff, v0
	v_or_b32_e32 v2, 0x10000, v0
	s_delay_alu instid0(VALU_DEP_2) | instskip(NEXT) | instid1(VALU_DEP_1)
	v_cmp_eq_u32_e64 s1, 0, v1
	v_cndmask_b32_e64 v120, v2, v0, s1
; %bb.977:                              ;   in Loop: Header=BB191_38 Depth=1
	s_or_b32 exec_lo, exec_lo, s12
	v_lshlrev_b32_e32 v0, 16, v7
                                        ; implicit-def: $vgpr121
	s_delay_alu instid0(VALU_DEP_1) | instskip(NEXT) | instid1(VALU_DEP_1)
	v_mul_f32_e32 v0, v78, v0
	v_and_b32_e32 v1, 0x7f800000, v0
	s_delay_alu instid0(VALU_DEP_1) | instskip(NEXT) | instid1(VALU_DEP_1)
	v_cmp_ne_u32_e64 s1, 0x7f800000, v1
	s_and_saveexec_b32 s12, s1
	s_delay_alu instid0(SALU_CYCLE_1)
	s_xor_b32 s1, exec_lo, s12
; %bb.978:                              ;   in Loop: Header=BB191_38 Depth=1
	v_bfe_u32 v1, v0, 16, 1
	s_delay_alu instid0(VALU_DEP_1)
	v_add3_u32 v121, v0, v1, 0x7fff
                                        ; implicit-def: $vgpr0
; %bb.979:                              ;   in Loop: Header=BB191_38 Depth=1
	s_and_not1_saveexec_b32 s12, s1
; %bb.980:                              ;   in Loop: Header=BB191_38 Depth=1
	v_and_b32_e32 v1, 0xffff, v0
	v_or_b32_e32 v2, 0x10000, v0
	s_delay_alu instid0(VALU_DEP_2) | instskip(NEXT) | instid1(VALU_DEP_1)
	v_cmp_eq_u32_e64 s1, 0, v1
	v_cndmask_b32_e64 v121, v2, v0, s1
; %bb.981:                              ;   in Loop: Header=BB191_38 Depth=1
	s_or_b32 exec_lo, exec_lo, s12
	v_lshlrev_b32_e32 v0, 16, v3
                                        ; implicit-def: $vgpr122
	s_delay_alu instid0(VALU_DEP_1) | instskip(NEXT) | instid1(VALU_DEP_1)
	v_mul_f32_e32 v0, v79, v0
	v_and_b32_e32 v1, 0x7f800000, v0
	s_delay_alu instid0(VALU_DEP_1) | instskip(NEXT) | instid1(VALU_DEP_1)
	v_cmp_ne_u32_e64 s1, 0x7f800000, v1
	s_and_saveexec_b32 s12, s1
	s_delay_alu instid0(SALU_CYCLE_1)
	s_xor_b32 s1, exec_lo, s12
; %bb.982:                              ;   in Loop: Header=BB191_38 Depth=1
	v_bfe_u32 v1, v0, 16, 1
	s_delay_alu instid0(VALU_DEP_1)
	v_add3_u32 v122, v0, v1, 0x7fff
                                        ; implicit-def: $vgpr0
; %bb.983:                              ;   in Loop: Header=BB191_38 Depth=1
	s_and_not1_saveexec_b32 s12, s1
; %bb.984:                              ;   in Loop: Header=BB191_38 Depth=1
	v_and_b32_e32 v1, 0xffff, v0
	v_or_b32_e32 v2, 0x10000, v0
	s_delay_alu instid0(VALU_DEP_2) | instskip(NEXT) | instid1(VALU_DEP_1)
	v_cmp_eq_u32_e64 s1, 0, v1
	v_cndmask_b32_e64 v122, v2, v0, s1
; %bb.985:                              ;   in Loop: Header=BB191_38 Depth=1
	s_or_b32 exec_lo, exec_lo, s12
	v_lshlrev_b32_e32 v0, 16, v6
                                        ; implicit-def: $vgpr123
	s_delay_alu instid0(VALU_DEP_1) | instskip(NEXT) | instid1(VALU_DEP_1)
	v_mul_f32_e32 v0, v88, v0
	v_and_b32_e32 v1, 0x7f800000, v0
	s_delay_alu instid0(VALU_DEP_1) | instskip(NEXT) | instid1(VALU_DEP_1)
	v_cmp_ne_u32_e64 s1, 0x7f800000, v1
	s_and_saveexec_b32 s12, s1
	s_delay_alu instid0(SALU_CYCLE_1)
	s_xor_b32 s1, exec_lo, s12
; %bb.986:                              ;   in Loop: Header=BB191_38 Depth=1
	v_bfe_u32 v1, v0, 16, 1
	s_delay_alu instid0(VALU_DEP_1)
	v_add3_u32 v123, v0, v1, 0x7fff
                                        ; implicit-def: $vgpr0
; %bb.987:                              ;   in Loop: Header=BB191_38 Depth=1
	s_and_not1_saveexec_b32 s12, s1
; %bb.988:                              ;   in Loop: Header=BB191_38 Depth=1
	v_and_b32_e32 v1, 0xffff, v0
	v_or_b32_e32 v2, 0x10000, v0
	s_delay_alu instid0(VALU_DEP_2) | instskip(NEXT) | instid1(VALU_DEP_1)
	v_cmp_eq_u32_e64 s1, 0, v1
	v_cndmask_b32_e64 v123, v2, v0, s1
; %bb.989:                              ;   in Loop: Header=BB191_38 Depth=1
	s_or_b32 exec_lo, exec_lo, s12
	scratch_load_b32 v0, off, s32 offset:928 ; 4-byte Folded Reload
	s_waitcnt vmcnt(0)
	v_add_co_u32 v0, s1, v63, v0
	s_delay_alu instid0(VALU_DEP_1)
	v_add_co_ci_u32_e64 v1, s1, 0, v72, s1
	flat_load_b128 v[0:3], v[0:1]
	s_waitcnt vmcnt(0) lgkmcnt(0)
	v_lshrrev_b32_e32 v125, 16, v0
	v_lshrrev_b32_e32 v7, 16, v1
	;; [unrolled: 1-line block ×4, first 2 shown]
	s_and_saveexec_b32 s12, vcc_lo
	s_cbranch_execz .LBB191_991
; %bb.990:                              ;   in Loop: Header=BB191_38 Depth=1
	v_cmp_lt_i32_e64 s1, v183, v114
	s_delay_alu instid0(VALU_DEP_1) | instskip(SKIP_1) | instid1(VALU_DEP_1)
	v_cndmask_b32_e64 v0, 0, v0, s1
	v_cmp_lt_i32_e64 s1, v62, v114
	v_cndmask_b32_e64 v125, 0, v125, s1
	v_cmp_lt_i32_e64 s1, v61, v114
	s_delay_alu instid0(VALU_DEP_1) | instskip(SKIP_1) | instid1(VALU_DEP_1)
	v_cndmask_b32_e64 v1, 0, v1, s1
	v_cmp_lt_i32_e64 s1, v60, v114
	v_cndmask_b32_e64 v7, 0, v7, s1
	;; [unrolled: 5-line block ×4, first 2 shown]
.LBB191_991:                            ;   in Loop: Header=BB191_38 Depth=1
	s_or_b32 exec_lo, exec_lo, s12
	v_lshlrev_b32_e32 v0, 16, v0
	s_delay_alu instid0(VALU_DEP_1) | instskip(NEXT) | instid1(VALU_DEP_1)
	v_mul_f32_e32 v0, v73, v0
	v_and_b32_e32 v124, 0x7f800000, v0
	s_delay_alu instid0(VALU_DEP_1) | instskip(NEXT) | instid1(VALU_DEP_1)
	v_cmp_ne_u32_e64 s1, 0x7f800000, v124
                                        ; implicit-def: $vgpr124
	s_and_saveexec_b32 s12, s1
	s_delay_alu instid0(SALU_CYCLE_1)
	s_xor_b32 s1, exec_lo, s12
; %bb.992:                              ;   in Loop: Header=BB191_38 Depth=1
	v_bfe_u32 v124, v0, 16, 1
	s_delay_alu instid0(VALU_DEP_1)
	v_add3_u32 v124, v0, v124, 0x7fff
                                        ; implicit-def: $vgpr0
; %bb.993:                              ;   in Loop: Header=BB191_38 Depth=1
	s_and_not1_saveexec_b32 s12, s1
; %bb.994:                              ;   in Loop: Header=BB191_38 Depth=1
	v_and_b32_e32 v124, 0xffff, v0
	v_or_b32_e32 v126, 0x10000, v0
	s_delay_alu instid0(VALU_DEP_2) | instskip(NEXT) | instid1(VALU_DEP_1)
	v_cmp_eq_u32_e64 s1, 0, v124
	v_cndmask_b32_e64 v124, v126, v0, s1
; %bb.995:                              ;   in Loop: Header=BB191_38 Depth=1
	s_or_b32 exec_lo, exec_lo, s12
	v_lshlrev_b32_e32 v0, 16, v125
	s_delay_alu instid0(VALU_DEP_1) | instskip(NEXT) | instid1(VALU_DEP_1)
	v_mul_f32_e32 v0, v74, v0
	v_and_b32_e32 v125, 0x7f800000, v0
	s_delay_alu instid0(VALU_DEP_1) | instskip(NEXT) | instid1(VALU_DEP_1)
	v_cmp_ne_u32_e64 s1, 0x7f800000, v125
                                        ; implicit-def: $vgpr125
	s_and_saveexec_b32 s12, s1
	s_delay_alu instid0(SALU_CYCLE_1)
	s_xor_b32 s1, exec_lo, s12
; %bb.996:                              ;   in Loop: Header=BB191_38 Depth=1
	v_bfe_u32 v125, v0, 16, 1
	s_delay_alu instid0(VALU_DEP_1)
	v_add3_u32 v125, v0, v125, 0x7fff
                                        ; implicit-def: $vgpr0
; %bb.997:                              ;   in Loop: Header=BB191_38 Depth=1
	s_and_not1_saveexec_b32 s12, s1
; %bb.998:                              ;   in Loop: Header=BB191_38 Depth=1
	v_and_b32_e32 v125, 0xffff, v0
	v_or_b32_e32 v126, 0x10000, v0
	s_delay_alu instid0(VALU_DEP_2) | instskip(NEXT) | instid1(VALU_DEP_1)
	v_cmp_eq_u32_e64 s1, 0, v125
	v_cndmask_b32_e64 v125, v126, v0, s1
; %bb.999:                              ;   in Loop: Header=BB191_38 Depth=1
	s_or_b32 exec_lo, exec_lo, s12
	v_lshlrev_b32_e32 v0, 16, v1
                                        ; implicit-def: $vgpr126
	s_delay_alu instid0(VALU_DEP_1) | instskip(NEXT) | instid1(VALU_DEP_1)
	v_mul_f32_e32 v0, v75, v0
	v_and_b32_e32 v1, 0x7f800000, v0
	s_delay_alu instid0(VALU_DEP_1) | instskip(NEXT) | instid1(VALU_DEP_1)
	v_cmp_ne_u32_e64 s1, 0x7f800000, v1
	s_and_saveexec_b32 s12, s1
	s_delay_alu instid0(SALU_CYCLE_1)
	s_xor_b32 s1, exec_lo, s12
; %bb.1000:                             ;   in Loop: Header=BB191_38 Depth=1
	v_bfe_u32 v1, v0, 16, 1
	s_delay_alu instid0(VALU_DEP_1)
	v_add3_u32 v126, v0, v1, 0x7fff
                                        ; implicit-def: $vgpr0
; %bb.1001:                             ;   in Loop: Header=BB191_38 Depth=1
	s_and_not1_saveexec_b32 s12, s1
; %bb.1002:                             ;   in Loop: Header=BB191_38 Depth=1
	v_and_b32_e32 v1, 0xffff, v0
	v_or_b32_e32 v126, 0x10000, v0
	s_delay_alu instid0(VALU_DEP_2) | instskip(NEXT) | instid1(VALU_DEP_1)
	v_cmp_eq_u32_e64 s1, 0, v1
	v_cndmask_b32_e64 v126, v126, v0, s1
; %bb.1003:                             ;   in Loop: Header=BB191_38 Depth=1
	s_or_b32 exec_lo, exec_lo, s12
	v_lshlrev_b32_e32 v0, 16, v7
                                        ; implicit-def: $vgpr127
	s_delay_alu instid0(VALU_DEP_1) | instskip(NEXT) | instid1(VALU_DEP_1)
	v_mul_f32_e32 v0, v76, v0
	v_and_b32_e32 v1, 0x7f800000, v0
	s_delay_alu instid0(VALU_DEP_1) | instskip(NEXT) | instid1(VALU_DEP_1)
	v_cmp_ne_u32_e64 s1, 0x7f800000, v1
	s_and_saveexec_b32 s12, s1
	s_delay_alu instid0(SALU_CYCLE_1)
	s_xor_b32 s1, exec_lo, s12
; %bb.1004:                             ;   in Loop: Header=BB191_38 Depth=1
	v_bfe_u32 v1, v0, 16, 1
	s_delay_alu instid0(VALU_DEP_1)
	v_add3_u32 v127, v0, v1, 0x7fff
                                        ; implicit-def: $vgpr0
; %bb.1005:                             ;   in Loop: Header=BB191_38 Depth=1
	s_and_not1_saveexec_b32 s12, s1
; %bb.1006:                             ;   in Loop: Header=BB191_38 Depth=1
	v_and_b32_e32 v1, 0xffff, v0
	v_or_b32_e32 v7, 0x10000, v0
	s_delay_alu instid0(VALU_DEP_2) | instskip(NEXT) | instid1(VALU_DEP_1)
	v_cmp_eq_u32_e64 s1, 0, v1
	v_cndmask_b32_e64 v127, v7, v0, s1
; %bb.1007:                             ;   in Loop: Header=BB191_38 Depth=1
	s_or_b32 exec_lo, exec_lo, s12
	v_lshlrev_b32_e32 v0, 16, v2
                                        ; implicit-def: $vgpr136
	s_delay_alu instid0(VALU_DEP_1) | instskip(NEXT) | instid1(VALU_DEP_1)
	v_mul_f32_e32 v0, v77, v0
	v_and_b32_e32 v1, 0x7f800000, v0
	s_delay_alu instid0(VALU_DEP_1) | instskip(NEXT) | instid1(VALU_DEP_1)
	v_cmp_ne_u32_e64 s1, 0x7f800000, v1
	s_and_saveexec_b32 s12, s1
	s_delay_alu instid0(SALU_CYCLE_1)
	s_xor_b32 s1, exec_lo, s12
; %bb.1008:                             ;   in Loop: Header=BB191_38 Depth=1
	v_bfe_u32 v1, v0, 16, 1
	s_delay_alu instid0(VALU_DEP_1)
	v_add3_u32 v136, v0, v1, 0x7fff
                                        ; implicit-def: $vgpr0
; %bb.1009:                             ;   in Loop: Header=BB191_38 Depth=1
	s_and_not1_saveexec_b32 s12, s1
; %bb.1010:                             ;   in Loop: Header=BB191_38 Depth=1
	v_and_b32_e32 v1, 0xffff, v0
	v_or_b32_e32 v2, 0x10000, v0
	s_delay_alu instid0(VALU_DEP_2) | instskip(NEXT) | instid1(VALU_DEP_1)
	v_cmp_eq_u32_e64 s1, 0, v1
	v_cndmask_b32_e64 v136, v2, v0, s1
; %bb.1011:                             ;   in Loop: Header=BB191_38 Depth=1
	s_or_b32 exec_lo, exec_lo, s12
	v_lshlrev_b32_e32 v0, 16, v6
                                        ; implicit-def: $vgpr6
	s_delay_alu instid0(VALU_DEP_1) | instskip(NEXT) | instid1(VALU_DEP_1)
	v_mul_f32_e32 v0, v78, v0
	v_and_b32_e32 v1, 0x7f800000, v0
	s_delay_alu instid0(VALU_DEP_1) | instskip(NEXT) | instid1(VALU_DEP_1)
	v_cmp_ne_u32_e64 s1, 0x7f800000, v1
	s_and_saveexec_b32 s12, s1
	s_delay_alu instid0(SALU_CYCLE_1)
	s_xor_b32 s1, exec_lo, s12
; %bb.1012:                             ;   in Loop: Header=BB191_38 Depth=1
	v_bfe_u32 v1, v0, 16, 1
	s_delay_alu instid0(VALU_DEP_1)
	v_add3_u32 v6, v0, v1, 0x7fff
                                        ; implicit-def: $vgpr0
; %bb.1013:                             ;   in Loop: Header=BB191_38 Depth=1
	s_and_not1_saveexec_b32 s12, s1
; %bb.1014:                             ;   in Loop: Header=BB191_38 Depth=1
	v_and_b32_e32 v1, 0xffff, v0
	v_or_b32_e32 v2, 0x10000, v0
	s_delay_alu instid0(VALU_DEP_2) | instskip(NEXT) | instid1(VALU_DEP_1)
	v_cmp_eq_u32_e64 s1, 0, v1
	v_cndmask_b32_e64 v6, v2, v0, s1
; %bb.1015:                             ;   in Loop: Header=BB191_38 Depth=1
	s_or_b32 exec_lo, exec_lo, s12
	v_lshlrev_b32_e32 v0, 16, v3
                                        ; implicit-def: $vgpr7
	s_delay_alu instid0(VALU_DEP_1) | instskip(NEXT) | instid1(VALU_DEP_1)
	v_mul_f32_e32 v0, v79, v0
	v_and_b32_e32 v1, 0x7f800000, v0
	s_delay_alu instid0(VALU_DEP_1) | instskip(NEXT) | instid1(VALU_DEP_1)
	v_cmp_ne_u32_e64 s1, 0x7f800000, v1
	s_and_saveexec_b32 s12, s1
	s_delay_alu instid0(SALU_CYCLE_1)
	s_xor_b32 s1, exec_lo, s12
; %bb.1016:                             ;   in Loop: Header=BB191_38 Depth=1
	v_bfe_u32 v1, v0, 16, 1
	s_delay_alu instid0(VALU_DEP_1)
	v_add3_u32 v7, v0, v1, 0x7fff
                                        ; implicit-def: $vgpr0
; %bb.1017:                             ;   in Loop: Header=BB191_38 Depth=1
	s_and_not1_saveexec_b32 s12, s1
; %bb.1018:                             ;   in Loop: Header=BB191_38 Depth=1
	v_and_b32_e32 v1, 0xffff, v0
	v_or_b32_e32 v2, 0x10000, v0
	s_delay_alu instid0(VALU_DEP_2) | instskip(NEXT) | instid1(VALU_DEP_1)
	v_cmp_eq_u32_e64 s1, 0, v1
	v_cndmask_b32_e64 v7, v2, v0, s1
; %bb.1019:                             ;   in Loop: Header=BB191_38 Depth=1
	s_or_b32 exec_lo, exec_lo, s12
	v_lshlrev_b32_e32 v0, 16, v20
                                        ; implicit-def: $vgpr137
	s_delay_alu instid0(VALU_DEP_1) | instskip(NEXT) | instid1(VALU_DEP_1)
	v_mul_f32_e32 v0, v88, v0
	v_and_b32_e32 v1, 0x7f800000, v0
	s_delay_alu instid0(VALU_DEP_1) | instskip(NEXT) | instid1(VALU_DEP_1)
	v_cmp_ne_u32_e64 s1, 0x7f800000, v1
	s_and_saveexec_b32 s12, s1
	s_delay_alu instid0(SALU_CYCLE_1)
	s_xor_b32 s1, exec_lo, s12
; %bb.1020:                             ;   in Loop: Header=BB191_38 Depth=1
	v_bfe_u32 v1, v0, 16, 1
	s_delay_alu instid0(VALU_DEP_1)
	v_add3_u32 v137, v0, v1, 0x7fff
                                        ; implicit-def: $vgpr0
; %bb.1021:                             ;   in Loop: Header=BB191_38 Depth=1
	s_and_not1_saveexec_b32 s12, s1
; %bb.1022:                             ;   in Loop: Header=BB191_38 Depth=1
	v_and_b32_e32 v1, 0xffff, v0
	v_or_b32_e32 v2, 0x10000, v0
	s_delay_alu instid0(VALU_DEP_2) | instskip(NEXT) | instid1(VALU_DEP_1)
	v_cmp_eq_u32_e64 s1, 0, v1
	v_cndmask_b32_e64 v137, v2, v0, s1
; %bb.1023:                             ;   in Loop: Header=BB191_38 Depth=1
	s_or_b32 exec_lo, exec_lo, s12
	scratch_load_b32 v0, off, s32 offset:932 ; 4-byte Folded Reload
	s_waitcnt vmcnt(0)
	v_add_co_u32 v0, s1, v63, v0
	s_delay_alu instid0(VALU_DEP_1)
	v_add_co_ci_u32_e64 v1, s1, 0, v72, s1
	flat_load_b128 v[0:3], v[0:1]
	s_waitcnt vmcnt(0) lgkmcnt(0)
	v_lshrrev_b32_e32 v139, 16, v0
	v_lshrrev_b32_e32 v141, 16, v1
	;; [unrolled: 1-line block ×4, first 2 shown]
	s_and_saveexec_b32 s12, vcc_lo
	s_cbranch_execz .LBB191_1025
; %bb.1024:                             ;   in Loop: Header=BB191_38 Depth=1
	v_cmp_lt_i32_e64 s1, v183, v114
	s_delay_alu instid0(VALU_DEP_1) | instskip(SKIP_1) | instid1(VALU_DEP_1)
	v_cndmask_b32_e64 v0, 0, v0, s1
	v_cmp_lt_i32_e64 s1, v62, v114
	v_cndmask_b32_e64 v139, 0, v139, s1
	v_cmp_lt_i32_e64 s1, v61, v114
	s_delay_alu instid0(VALU_DEP_1) | instskip(SKIP_1) | instid1(VALU_DEP_1)
	v_cndmask_b32_e64 v1, 0, v1, s1
	v_cmp_lt_i32_e64 s1, v60, v114
	v_cndmask_b32_e64 v141, 0, v141, s1
	;; [unrolled: 5-line block ×4, first 2 shown]
.LBB191_1025:                           ;   in Loop: Header=BB191_38 Depth=1
	s_or_b32 exec_lo, exec_lo, s12
	v_lshlrev_b32_e32 v0, 16, v0
	s_delay_alu instid0(VALU_DEP_1) | instskip(NEXT) | instid1(VALU_DEP_1)
	v_mul_f32_e32 v0, v73, v0
	v_and_b32_e32 v138, 0x7f800000, v0
	s_delay_alu instid0(VALU_DEP_1) | instskip(NEXT) | instid1(VALU_DEP_1)
	v_cmp_ne_u32_e64 s1, 0x7f800000, v138
                                        ; implicit-def: $vgpr138
	s_and_saveexec_b32 s12, s1
	s_delay_alu instid0(SALU_CYCLE_1)
	s_xor_b32 s1, exec_lo, s12
; %bb.1026:                             ;   in Loop: Header=BB191_38 Depth=1
	v_bfe_u32 v138, v0, 16, 1
	s_delay_alu instid0(VALU_DEP_1)
	v_add3_u32 v138, v0, v138, 0x7fff
                                        ; implicit-def: $vgpr0
; %bb.1027:                             ;   in Loop: Header=BB191_38 Depth=1
	s_and_not1_saveexec_b32 s12, s1
; %bb.1028:                             ;   in Loop: Header=BB191_38 Depth=1
	v_and_b32_e32 v138, 0xffff, v0
	v_or_b32_e32 v140, 0x10000, v0
	s_delay_alu instid0(VALU_DEP_2) | instskip(NEXT) | instid1(VALU_DEP_1)
	v_cmp_eq_u32_e64 s1, 0, v138
	v_cndmask_b32_e64 v138, v140, v0, s1
; %bb.1029:                             ;   in Loop: Header=BB191_38 Depth=1
	s_or_b32 exec_lo, exec_lo, s12
	v_lshlrev_b32_e32 v0, 16, v139
	s_delay_alu instid0(VALU_DEP_1) | instskip(NEXT) | instid1(VALU_DEP_1)
	v_mul_f32_e32 v0, v74, v0
	v_and_b32_e32 v139, 0x7f800000, v0
	s_delay_alu instid0(VALU_DEP_1) | instskip(NEXT) | instid1(VALU_DEP_1)
	v_cmp_ne_u32_e64 s1, 0x7f800000, v139
                                        ; implicit-def: $vgpr139
	s_and_saveexec_b32 s12, s1
	s_delay_alu instid0(SALU_CYCLE_1)
	s_xor_b32 s1, exec_lo, s12
; %bb.1030:                             ;   in Loop: Header=BB191_38 Depth=1
	v_bfe_u32 v139, v0, 16, 1
	s_delay_alu instid0(VALU_DEP_1)
	v_add3_u32 v139, v0, v139, 0x7fff
                                        ; implicit-def: $vgpr0
; %bb.1031:                             ;   in Loop: Header=BB191_38 Depth=1
	s_and_not1_saveexec_b32 s12, s1
; %bb.1032:                             ;   in Loop: Header=BB191_38 Depth=1
	v_and_b32_e32 v139, 0xffff, v0
	v_or_b32_e32 v140, 0x10000, v0
	s_delay_alu instid0(VALU_DEP_2) | instskip(NEXT) | instid1(VALU_DEP_1)
	v_cmp_eq_u32_e64 s1, 0, v139
	v_cndmask_b32_e64 v139, v140, v0, s1
; %bb.1033:                             ;   in Loop: Header=BB191_38 Depth=1
	s_or_b32 exec_lo, exec_lo, s12
	v_lshlrev_b32_e32 v0, 16, v1
                                        ; implicit-def: $vgpr140
	s_delay_alu instid0(VALU_DEP_1) | instskip(NEXT) | instid1(VALU_DEP_1)
	v_mul_f32_e32 v0, v75, v0
	v_and_b32_e32 v1, 0x7f800000, v0
	s_delay_alu instid0(VALU_DEP_1) | instskip(NEXT) | instid1(VALU_DEP_1)
	v_cmp_ne_u32_e64 s1, 0x7f800000, v1
	s_and_saveexec_b32 s12, s1
	s_delay_alu instid0(SALU_CYCLE_1)
	s_xor_b32 s1, exec_lo, s12
; %bb.1034:                             ;   in Loop: Header=BB191_38 Depth=1
	v_bfe_u32 v1, v0, 16, 1
	s_delay_alu instid0(VALU_DEP_1)
	v_add3_u32 v140, v0, v1, 0x7fff
                                        ; implicit-def: $vgpr0
; %bb.1035:                             ;   in Loop: Header=BB191_38 Depth=1
	s_and_not1_saveexec_b32 s12, s1
; %bb.1036:                             ;   in Loop: Header=BB191_38 Depth=1
	v_and_b32_e32 v1, 0xffff, v0
	v_or_b32_e32 v140, 0x10000, v0
	s_delay_alu instid0(VALU_DEP_2) | instskip(NEXT) | instid1(VALU_DEP_1)
	v_cmp_eq_u32_e64 s1, 0, v1
	v_cndmask_b32_e64 v140, v140, v0, s1
; %bb.1037:                             ;   in Loop: Header=BB191_38 Depth=1
	s_or_b32 exec_lo, exec_lo, s12
	v_lshlrev_b32_e32 v0, 16, v141
                                        ; implicit-def: $vgpr141
	s_delay_alu instid0(VALU_DEP_1) | instskip(NEXT) | instid1(VALU_DEP_1)
	v_mul_f32_e32 v0, v76, v0
	v_and_b32_e32 v1, 0x7f800000, v0
	s_delay_alu instid0(VALU_DEP_1) | instskip(NEXT) | instid1(VALU_DEP_1)
	v_cmp_ne_u32_e64 s1, 0x7f800000, v1
	s_and_saveexec_b32 s12, s1
	s_delay_alu instid0(SALU_CYCLE_1)
	s_xor_b32 s1, exec_lo, s12
; %bb.1038:                             ;   in Loop: Header=BB191_38 Depth=1
	v_bfe_u32 v1, v0, 16, 1
	s_delay_alu instid0(VALU_DEP_1)
	v_add3_u32 v141, v0, v1, 0x7fff
                                        ; implicit-def: $vgpr0
; %bb.1039:                             ;   in Loop: Header=BB191_38 Depth=1
	s_and_not1_saveexec_b32 s12, s1
; %bb.1040:                             ;   in Loop: Header=BB191_38 Depth=1
	v_and_b32_e32 v1, 0xffff, v0
	v_or_b32_e32 v141, 0x10000, v0
	s_delay_alu instid0(VALU_DEP_2) | instskip(NEXT) | instid1(VALU_DEP_1)
	v_cmp_eq_u32_e64 s1, 0, v1
	v_cndmask_b32_e64 v141, v141, v0, s1
; %bb.1041:                             ;   in Loop: Header=BB191_38 Depth=1
	s_or_b32 exec_lo, exec_lo, s12
	v_lshlrev_b32_e32 v0, 16, v2
                                        ; implicit-def: $vgpr142
	s_delay_alu instid0(VALU_DEP_1) | instskip(NEXT) | instid1(VALU_DEP_1)
	v_mul_f32_e32 v0, v77, v0
	v_and_b32_e32 v1, 0x7f800000, v0
	s_delay_alu instid0(VALU_DEP_1) | instskip(NEXT) | instid1(VALU_DEP_1)
	v_cmp_ne_u32_e64 s1, 0x7f800000, v1
	s_and_saveexec_b32 s12, s1
	s_delay_alu instid0(SALU_CYCLE_1)
	s_xor_b32 s1, exec_lo, s12
; %bb.1042:                             ;   in Loop: Header=BB191_38 Depth=1
	v_bfe_u32 v1, v0, 16, 1
	s_delay_alu instid0(VALU_DEP_1)
	v_add3_u32 v142, v0, v1, 0x7fff
                                        ; implicit-def: $vgpr0
; %bb.1043:                             ;   in Loop: Header=BB191_38 Depth=1
	s_and_not1_saveexec_b32 s12, s1
; %bb.1044:                             ;   in Loop: Header=BB191_38 Depth=1
	v_and_b32_e32 v1, 0xffff, v0
	v_or_b32_e32 v2, 0x10000, v0
	s_delay_alu instid0(VALU_DEP_2) | instskip(NEXT) | instid1(VALU_DEP_1)
	v_cmp_eq_u32_e64 s1, 0, v1
	v_cndmask_b32_e64 v142, v2, v0, s1
; %bb.1045:                             ;   in Loop: Header=BB191_38 Depth=1
	s_or_b32 exec_lo, exec_lo, s12
	v_lshlrev_b32_e32 v0, 16, v143
                                        ; implicit-def: $vgpr143
	s_delay_alu instid0(VALU_DEP_1) | instskip(NEXT) | instid1(VALU_DEP_1)
	v_mul_f32_e32 v0, v78, v0
	v_and_b32_e32 v1, 0x7f800000, v0
	s_delay_alu instid0(VALU_DEP_1) | instskip(NEXT) | instid1(VALU_DEP_1)
	v_cmp_ne_u32_e64 s1, 0x7f800000, v1
	s_and_saveexec_b32 s12, s1
	s_delay_alu instid0(SALU_CYCLE_1)
	s_xor_b32 s1, exec_lo, s12
; %bb.1046:                             ;   in Loop: Header=BB191_38 Depth=1
	v_bfe_u32 v1, v0, 16, 1
	s_delay_alu instid0(VALU_DEP_1)
	v_add3_u32 v143, v0, v1, 0x7fff
                                        ; implicit-def: $vgpr0
; %bb.1047:                             ;   in Loop: Header=BB191_38 Depth=1
	s_and_not1_saveexec_b32 s12, s1
; %bb.1048:                             ;   in Loop: Header=BB191_38 Depth=1
	v_and_b32_e32 v1, 0xffff, v0
	v_or_b32_e32 v2, 0x10000, v0
	s_delay_alu instid0(VALU_DEP_2) | instskip(NEXT) | instid1(VALU_DEP_1)
	v_cmp_eq_u32_e64 s1, 0, v1
	v_cndmask_b32_e64 v143, v2, v0, s1
; %bb.1049:                             ;   in Loop: Header=BB191_38 Depth=1
	s_or_b32 exec_lo, exec_lo, s12
	v_lshlrev_b32_e32 v0, 16, v3
                                        ; implicit-def: $vgpr152
	s_delay_alu instid0(VALU_DEP_1) | instskip(NEXT) | instid1(VALU_DEP_1)
	v_mul_f32_e32 v0, v79, v0
	v_and_b32_e32 v1, 0x7f800000, v0
	s_delay_alu instid0(VALU_DEP_1) | instskip(NEXT) | instid1(VALU_DEP_1)
	v_cmp_ne_u32_e64 s1, 0x7f800000, v1
	s_and_saveexec_b32 s12, s1
	s_delay_alu instid0(SALU_CYCLE_1)
	s_xor_b32 s1, exec_lo, s12
; %bb.1050:                             ;   in Loop: Header=BB191_38 Depth=1
	v_bfe_u32 v1, v0, 16, 1
	s_delay_alu instid0(VALU_DEP_1)
	v_add3_u32 v152, v0, v1, 0x7fff
                                        ; implicit-def: $vgpr0
; %bb.1051:                             ;   in Loop: Header=BB191_38 Depth=1
	s_and_not1_saveexec_b32 s12, s1
; %bb.1052:                             ;   in Loop: Header=BB191_38 Depth=1
	v_and_b32_e32 v1, 0xffff, v0
	v_or_b32_e32 v2, 0x10000, v0
	s_delay_alu instid0(VALU_DEP_2) | instskip(NEXT) | instid1(VALU_DEP_1)
	v_cmp_eq_u32_e64 s1, 0, v1
	v_cndmask_b32_e64 v152, v2, v0, s1
; %bb.1053:                             ;   in Loop: Header=BB191_38 Depth=1
	s_or_b32 exec_lo, exec_lo, s12
	v_lshlrev_b32_e32 v0, 16, v20
                                        ; implicit-def: $vgpr153
	s_delay_alu instid0(VALU_DEP_1) | instskip(NEXT) | instid1(VALU_DEP_1)
	v_mul_f32_e32 v0, v88, v0
	v_and_b32_e32 v1, 0x7f800000, v0
	s_delay_alu instid0(VALU_DEP_1) | instskip(NEXT) | instid1(VALU_DEP_1)
	v_cmp_ne_u32_e64 s1, 0x7f800000, v1
	s_and_saveexec_b32 s12, s1
	s_delay_alu instid0(SALU_CYCLE_1)
	s_xor_b32 s1, exec_lo, s12
; %bb.1054:                             ;   in Loop: Header=BB191_38 Depth=1
	v_bfe_u32 v1, v0, 16, 1
	s_delay_alu instid0(VALU_DEP_1)
	v_add3_u32 v153, v0, v1, 0x7fff
                                        ; implicit-def: $vgpr0
; %bb.1055:                             ;   in Loop: Header=BB191_38 Depth=1
	s_and_not1_saveexec_b32 s12, s1
; %bb.1056:                             ;   in Loop: Header=BB191_38 Depth=1
	v_and_b32_e32 v1, 0xffff, v0
	v_or_b32_e32 v2, 0x10000, v0
	s_delay_alu instid0(VALU_DEP_2) | instskip(NEXT) | instid1(VALU_DEP_1)
	v_cmp_eq_u32_e64 s1, 0, v1
	v_cndmask_b32_e64 v153, v2, v0, s1
; %bb.1057:                             ;   in Loop: Header=BB191_38 Depth=1
	s_or_b32 exec_lo, exec_lo, s12
	scratch_load_b32 v0, off, s32 offset:936 ; 4-byte Folded Reload
	s_waitcnt vmcnt(0)
	v_add_co_u32 v0, s1, v63, v0
	s_delay_alu instid0(VALU_DEP_1)
	v_add_co_ci_u32_e64 v1, s1, 0, v72, s1
	flat_load_b128 v[0:3], v[0:1]
	s_waitcnt vmcnt(0) lgkmcnt(0)
	v_lshrrev_b32_e32 v155, 16, v0
	v_lshrrev_b32_e32 v157, 16, v1
	;; [unrolled: 1-line block ×4, first 2 shown]
	s_and_saveexec_b32 s12, vcc_lo
	s_cbranch_execz .LBB191_1059
; %bb.1058:                             ;   in Loop: Header=BB191_38 Depth=1
	v_cmp_lt_i32_e64 s1, v183, v114
	s_delay_alu instid0(VALU_DEP_1) | instskip(SKIP_1) | instid1(VALU_DEP_1)
	v_cndmask_b32_e64 v0, 0, v0, s1
	v_cmp_lt_i32_e64 s1, v62, v114
	v_cndmask_b32_e64 v155, 0, v155, s1
	v_cmp_lt_i32_e64 s1, v61, v114
	s_delay_alu instid0(VALU_DEP_1) | instskip(SKIP_1) | instid1(VALU_DEP_1)
	v_cndmask_b32_e64 v1, 0, v1, s1
	v_cmp_lt_i32_e64 s1, v60, v114
	v_cndmask_b32_e64 v157, 0, v157, s1
	;; [unrolled: 5-line block ×4, first 2 shown]
.LBB191_1059:                           ;   in Loop: Header=BB191_38 Depth=1
	s_or_b32 exec_lo, exec_lo, s12
	v_lshlrev_b32_e32 v0, 16, v0
	s_delay_alu instid0(VALU_DEP_1) | instskip(NEXT) | instid1(VALU_DEP_1)
	v_mul_f32_e32 v0, v73, v0
	v_and_b32_e32 v154, 0x7f800000, v0
	s_delay_alu instid0(VALU_DEP_1) | instskip(NEXT) | instid1(VALU_DEP_1)
	v_cmp_ne_u32_e64 s1, 0x7f800000, v154
                                        ; implicit-def: $vgpr154
	s_and_saveexec_b32 s12, s1
	s_delay_alu instid0(SALU_CYCLE_1)
	s_xor_b32 s1, exec_lo, s12
; %bb.1060:                             ;   in Loop: Header=BB191_38 Depth=1
	v_bfe_u32 v154, v0, 16, 1
	s_delay_alu instid0(VALU_DEP_1)
	v_add3_u32 v154, v0, v154, 0x7fff
                                        ; implicit-def: $vgpr0
; %bb.1061:                             ;   in Loop: Header=BB191_38 Depth=1
	s_and_not1_saveexec_b32 s12, s1
; %bb.1062:                             ;   in Loop: Header=BB191_38 Depth=1
	v_and_b32_e32 v154, 0xffff, v0
	v_or_b32_e32 v156, 0x10000, v0
	s_delay_alu instid0(VALU_DEP_2) | instskip(NEXT) | instid1(VALU_DEP_1)
	v_cmp_eq_u32_e64 s1, 0, v154
	v_cndmask_b32_e64 v154, v156, v0, s1
; %bb.1063:                             ;   in Loop: Header=BB191_38 Depth=1
	s_or_b32 exec_lo, exec_lo, s12
	v_lshlrev_b32_e32 v0, 16, v155
	s_delay_alu instid0(VALU_DEP_1) | instskip(NEXT) | instid1(VALU_DEP_1)
	v_mul_f32_e32 v0, v74, v0
	v_and_b32_e32 v155, 0x7f800000, v0
	s_delay_alu instid0(VALU_DEP_1) | instskip(NEXT) | instid1(VALU_DEP_1)
	v_cmp_ne_u32_e64 s1, 0x7f800000, v155
                                        ; implicit-def: $vgpr155
	s_and_saveexec_b32 s12, s1
	s_delay_alu instid0(SALU_CYCLE_1)
	s_xor_b32 s1, exec_lo, s12
; %bb.1064:                             ;   in Loop: Header=BB191_38 Depth=1
	v_bfe_u32 v155, v0, 16, 1
	s_delay_alu instid0(VALU_DEP_1)
	v_add3_u32 v155, v0, v155, 0x7fff
                                        ; implicit-def: $vgpr0
; %bb.1065:                             ;   in Loop: Header=BB191_38 Depth=1
	s_and_not1_saveexec_b32 s12, s1
; %bb.1066:                             ;   in Loop: Header=BB191_38 Depth=1
	v_and_b32_e32 v155, 0xffff, v0
	v_or_b32_e32 v156, 0x10000, v0
	s_delay_alu instid0(VALU_DEP_2) | instskip(NEXT) | instid1(VALU_DEP_1)
	v_cmp_eq_u32_e64 s1, 0, v155
	v_cndmask_b32_e64 v155, v156, v0, s1
; %bb.1067:                             ;   in Loop: Header=BB191_38 Depth=1
	s_or_b32 exec_lo, exec_lo, s12
	v_lshlrev_b32_e32 v0, 16, v1
                                        ; implicit-def: $vgpr156
	s_delay_alu instid0(VALU_DEP_1) | instskip(NEXT) | instid1(VALU_DEP_1)
	v_mul_f32_e32 v0, v75, v0
	v_and_b32_e32 v1, 0x7f800000, v0
	s_delay_alu instid0(VALU_DEP_1) | instskip(NEXT) | instid1(VALU_DEP_1)
	v_cmp_ne_u32_e64 s1, 0x7f800000, v1
	s_and_saveexec_b32 s12, s1
	s_delay_alu instid0(SALU_CYCLE_1)
	s_xor_b32 s1, exec_lo, s12
; %bb.1068:                             ;   in Loop: Header=BB191_38 Depth=1
	v_bfe_u32 v1, v0, 16, 1
	s_delay_alu instid0(VALU_DEP_1)
	v_add3_u32 v156, v0, v1, 0x7fff
                                        ; implicit-def: $vgpr0
; %bb.1069:                             ;   in Loop: Header=BB191_38 Depth=1
	s_and_not1_saveexec_b32 s12, s1
; %bb.1070:                             ;   in Loop: Header=BB191_38 Depth=1
	v_and_b32_e32 v1, 0xffff, v0
	v_or_b32_e32 v156, 0x10000, v0
	s_delay_alu instid0(VALU_DEP_2) | instskip(NEXT) | instid1(VALU_DEP_1)
	v_cmp_eq_u32_e64 s1, 0, v1
	v_cndmask_b32_e64 v156, v156, v0, s1
; %bb.1071:                             ;   in Loop: Header=BB191_38 Depth=1
	s_or_b32 exec_lo, exec_lo, s12
	v_lshlrev_b32_e32 v0, 16, v157
                                        ; implicit-def: $vgpr157
	s_delay_alu instid0(VALU_DEP_1) | instskip(NEXT) | instid1(VALU_DEP_1)
	v_mul_f32_e32 v0, v76, v0
	v_and_b32_e32 v1, 0x7f800000, v0
	s_delay_alu instid0(VALU_DEP_1) | instskip(NEXT) | instid1(VALU_DEP_1)
	v_cmp_ne_u32_e64 s1, 0x7f800000, v1
	s_and_saveexec_b32 s12, s1
	s_delay_alu instid0(SALU_CYCLE_1)
	s_xor_b32 s1, exec_lo, s12
; %bb.1072:                             ;   in Loop: Header=BB191_38 Depth=1
	v_bfe_u32 v1, v0, 16, 1
	s_delay_alu instid0(VALU_DEP_1)
	v_add3_u32 v157, v0, v1, 0x7fff
                                        ; implicit-def: $vgpr0
; %bb.1073:                             ;   in Loop: Header=BB191_38 Depth=1
	s_and_not1_saveexec_b32 s12, s1
; %bb.1074:                             ;   in Loop: Header=BB191_38 Depth=1
	v_and_b32_e32 v1, 0xffff, v0
	v_or_b32_e32 v157, 0x10000, v0
	s_delay_alu instid0(VALU_DEP_2) | instskip(NEXT) | instid1(VALU_DEP_1)
	v_cmp_eq_u32_e64 s1, 0, v1
	v_cndmask_b32_e64 v157, v157, v0, s1
; %bb.1075:                             ;   in Loop: Header=BB191_38 Depth=1
	s_or_b32 exec_lo, exec_lo, s12
	v_lshlrev_b32_e32 v0, 16, v2
                                        ; implicit-def: $vgpr158
	s_delay_alu instid0(VALU_DEP_1) | instskip(NEXT) | instid1(VALU_DEP_1)
	v_mul_f32_e32 v0, v77, v0
	v_and_b32_e32 v1, 0x7f800000, v0
	s_delay_alu instid0(VALU_DEP_1) | instskip(NEXT) | instid1(VALU_DEP_1)
	v_cmp_ne_u32_e64 s1, 0x7f800000, v1
	s_and_saveexec_b32 s12, s1
	s_delay_alu instid0(SALU_CYCLE_1)
	s_xor_b32 s1, exec_lo, s12
; %bb.1076:                             ;   in Loop: Header=BB191_38 Depth=1
	v_bfe_u32 v1, v0, 16, 1
	s_delay_alu instid0(VALU_DEP_1)
	v_add3_u32 v158, v0, v1, 0x7fff
                                        ; implicit-def: $vgpr0
; %bb.1077:                             ;   in Loop: Header=BB191_38 Depth=1
	s_and_not1_saveexec_b32 s12, s1
; %bb.1078:                             ;   in Loop: Header=BB191_38 Depth=1
	v_and_b32_e32 v1, 0xffff, v0
	v_or_b32_e32 v2, 0x10000, v0
	s_delay_alu instid0(VALU_DEP_2) | instskip(NEXT) | instid1(VALU_DEP_1)
	v_cmp_eq_u32_e64 s1, 0, v1
	v_cndmask_b32_e64 v158, v2, v0, s1
; %bb.1079:                             ;   in Loop: Header=BB191_38 Depth=1
	s_or_b32 exec_lo, exec_lo, s12
	v_lshlrev_b32_e32 v0, 16, v159
                                        ; implicit-def: $vgpr159
	s_delay_alu instid0(VALU_DEP_1) | instskip(NEXT) | instid1(VALU_DEP_1)
	v_mul_f32_e32 v0, v78, v0
	v_and_b32_e32 v1, 0x7f800000, v0
	s_delay_alu instid0(VALU_DEP_1) | instskip(NEXT) | instid1(VALU_DEP_1)
	v_cmp_ne_u32_e64 s1, 0x7f800000, v1
	s_and_saveexec_b32 s12, s1
	s_delay_alu instid0(SALU_CYCLE_1)
	s_xor_b32 s1, exec_lo, s12
; %bb.1080:                             ;   in Loop: Header=BB191_38 Depth=1
	v_bfe_u32 v1, v0, 16, 1
	s_delay_alu instid0(VALU_DEP_1)
	v_add3_u32 v159, v0, v1, 0x7fff
                                        ; implicit-def: $vgpr0
; %bb.1081:                             ;   in Loop: Header=BB191_38 Depth=1
	s_and_not1_saveexec_b32 s12, s1
; %bb.1082:                             ;   in Loop: Header=BB191_38 Depth=1
	v_and_b32_e32 v1, 0xffff, v0
	v_or_b32_e32 v2, 0x10000, v0
	s_delay_alu instid0(VALU_DEP_2) | instskip(NEXT) | instid1(VALU_DEP_1)
	v_cmp_eq_u32_e64 s1, 0, v1
	v_cndmask_b32_e64 v159, v2, v0, s1
; %bb.1083:                             ;   in Loop: Header=BB191_38 Depth=1
	s_or_b32 exec_lo, exec_lo, s12
	v_lshlrev_b32_e32 v0, 16, v3
                                        ; implicit-def: $vgpr168
	s_delay_alu instid0(VALU_DEP_1) | instskip(NEXT) | instid1(VALU_DEP_1)
	v_mul_f32_e32 v0, v79, v0
	v_and_b32_e32 v1, 0x7f800000, v0
	s_delay_alu instid0(VALU_DEP_1) | instskip(NEXT) | instid1(VALU_DEP_1)
	v_cmp_ne_u32_e64 s1, 0x7f800000, v1
	s_and_saveexec_b32 s12, s1
	s_delay_alu instid0(SALU_CYCLE_1)
	s_xor_b32 s1, exec_lo, s12
; %bb.1084:                             ;   in Loop: Header=BB191_38 Depth=1
	v_bfe_u32 v1, v0, 16, 1
	s_delay_alu instid0(VALU_DEP_1)
	v_add3_u32 v168, v0, v1, 0x7fff
                                        ; implicit-def: $vgpr0
; %bb.1085:                             ;   in Loop: Header=BB191_38 Depth=1
	s_and_not1_saveexec_b32 s12, s1
; %bb.1086:                             ;   in Loop: Header=BB191_38 Depth=1
	v_and_b32_e32 v1, 0xffff, v0
	v_or_b32_e32 v2, 0x10000, v0
	s_delay_alu instid0(VALU_DEP_2) | instskip(NEXT) | instid1(VALU_DEP_1)
	v_cmp_eq_u32_e64 s1, 0, v1
	v_cndmask_b32_e64 v168, v2, v0, s1
; %bb.1087:                             ;   in Loop: Header=BB191_38 Depth=1
	s_or_b32 exec_lo, exec_lo, s12
	v_lshlrev_b32_e32 v0, 16, v20
                                        ; implicit-def: $vgpr169
	s_delay_alu instid0(VALU_DEP_1) | instskip(NEXT) | instid1(VALU_DEP_1)
	v_mul_f32_e32 v0, v88, v0
	v_and_b32_e32 v1, 0x7f800000, v0
	s_delay_alu instid0(VALU_DEP_1) | instskip(NEXT) | instid1(VALU_DEP_1)
	v_cmp_ne_u32_e64 s1, 0x7f800000, v1
	s_and_saveexec_b32 s12, s1
	s_delay_alu instid0(SALU_CYCLE_1)
	s_xor_b32 s1, exec_lo, s12
; %bb.1088:                             ;   in Loop: Header=BB191_38 Depth=1
	v_bfe_u32 v1, v0, 16, 1
	s_delay_alu instid0(VALU_DEP_1)
	v_add3_u32 v169, v0, v1, 0x7fff
                                        ; implicit-def: $vgpr0
; %bb.1089:                             ;   in Loop: Header=BB191_38 Depth=1
	s_and_not1_saveexec_b32 s12, s1
; %bb.1090:                             ;   in Loop: Header=BB191_38 Depth=1
	v_and_b32_e32 v1, 0xffff, v0
	v_or_b32_e32 v2, 0x10000, v0
	s_delay_alu instid0(VALU_DEP_2) | instskip(NEXT) | instid1(VALU_DEP_1)
	v_cmp_eq_u32_e64 s1, 0, v1
	v_cndmask_b32_e64 v169, v2, v0, s1
; %bb.1091:                             ;   in Loop: Header=BB191_38 Depth=1
	s_or_b32 exec_lo, exec_lo, s12
	scratch_load_b32 v0, off, s32 offset:940 ; 4-byte Folded Reload
	s_waitcnt vmcnt(0)
	v_add_co_u32 v0, s1, v63, v0
	s_delay_alu instid0(VALU_DEP_1)
	v_add_co_ci_u32_e64 v1, s1, 0, v72, s1
	flat_load_b128 v[0:3], v[0:1]
	s_waitcnt vmcnt(0) lgkmcnt(0)
	v_lshrrev_b32_e32 v20, 16, v0
	v_lshrrev_b32_e32 v172, 16, v1
	;; [unrolled: 1-line block ×4, first 2 shown]
	s_and_saveexec_b32 s12, vcc_lo
	s_cbranch_execz .LBB191_1093
; %bb.1092:                             ;   in Loop: Header=BB191_38 Depth=1
	v_cmp_lt_i32_e64 s1, v183, v114
	s_delay_alu instid0(VALU_DEP_1) | instskip(SKIP_1) | instid1(VALU_DEP_1)
	v_cndmask_b32_e64 v0, 0, v0, s1
	v_cmp_lt_i32_e64 s1, v62, v114
	v_cndmask_b32_e64 v20, 0, v20, s1
	v_cmp_lt_i32_e64 s1, v61, v114
	s_delay_alu instid0(VALU_DEP_1) | instskip(SKIP_1) | instid1(VALU_DEP_1)
	v_cndmask_b32_e64 v1, 0, v1, s1
	v_cmp_lt_i32_e64 s1, v60, v114
	v_cndmask_b32_e64 v172, 0, v172, s1
	;; [unrolled: 5-line block ×4, first 2 shown]
.LBB191_1093:                           ;   in Loop: Header=BB191_38 Depth=1
	s_or_b32 exec_lo, exec_lo, s12
	v_lshlrev_b32_e32 v0, 16, v0
	s_delay_alu instid0(VALU_DEP_1) | instskip(NEXT) | instid1(VALU_DEP_1)
	v_mul_f32_e32 v0, v73, v0
	v_and_b32_e32 v170, 0x7f800000, v0
	s_delay_alu instid0(VALU_DEP_1) | instskip(NEXT) | instid1(VALU_DEP_1)
	v_cmp_ne_u32_e64 s1, 0x7f800000, v170
                                        ; implicit-def: $vgpr170
	s_and_saveexec_b32 s12, s1
	s_delay_alu instid0(SALU_CYCLE_1)
	s_xor_b32 s1, exec_lo, s12
; %bb.1094:                             ;   in Loop: Header=BB191_38 Depth=1
	v_bfe_u32 v170, v0, 16, 1
	s_delay_alu instid0(VALU_DEP_1)
	v_add3_u32 v170, v0, v170, 0x7fff
                                        ; implicit-def: $vgpr0
; %bb.1095:                             ;   in Loop: Header=BB191_38 Depth=1
	s_and_not1_saveexec_b32 s12, s1
; %bb.1096:                             ;   in Loop: Header=BB191_38 Depth=1
	v_and_b32_e32 v170, 0xffff, v0
	v_or_b32_e32 v171, 0x10000, v0
	s_delay_alu instid0(VALU_DEP_2) | instskip(NEXT) | instid1(VALU_DEP_1)
	v_cmp_eq_u32_e64 s1, 0, v170
	v_cndmask_b32_e64 v170, v171, v0, s1
; %bb.1097:                             ;   in Loop: Header=BB191_38 Depth=1
	s_or_b32 exec_lo, exec_lo, s12
	v_lshlrev_b32_e32 v0, 16, v20
	s_delay_alu instid0(VALU_DEP_1) | instskip(NEXT) | instid1(VALU_DEP_1)
	v_mul_f32_e32 v0, v74, v0
	v_and_b32_e32 v20, 0x7f800000, v0
	s_delay_alu instid0(VALU_DEP_1) | instskip(NEXT) | instid1(VALU_DEP_1)
	v_cmp_ne_u32_e64 s1, 0x7f800000, v20
                                        ; implicit-def: $vgpr20
	s_and_saveexec_b32 s12, s1
	s_delay_alu instid0(SALU_CYCLE_1)
	s_xor_b32 s1, exec_lo, s12
; %bb.1098:                             ;   in Loop: Header=BB191_38 Depth=1
	v_bfe_u32 v20, v0, 16, 1
	s_delay_alu instid0(VALU_DEP_1)
	v_add3_u32 v20, v0, v20, 0x7fff
                                        ; implicit-def: $vgpr0
; %bb.1099:                             ;   in Loop: Header=BB191_38 Depth=1
	s_and_not1_saveexec_b32 s12, s1
; %bb.1100:                             ;   in Loop: Header=BB191_38 Depth=1
	v_and_b32_e32 v20, 0xffff, v0
	v_or_b32_e32 v171, 0x10000, v0
	s_delay_alu instid0(VALU_DEP_2) | instskip(NEXT) | instid1(VALU_DEP_1)
	v_cmp_eq_u32_e64 s1, 0, v20
	v_cndmask_b32_e64 v20, v171, v0, s1
; %bb.1101:                             ;   in Loop: Header=BB191_38 Depth=1
	s_or_b32 exec_lo, exec_lo, s12
	v_lshlrev_b32_e32 v0, 16, v1
                                        ; implicit-def: $vgpr171
	s_delay_alu instid0(VALU_DEP_1) | instskip(NEXT) | instid1(VALU_DEP_1)
	v_mul_f32_e32 v0, v75, v0
	v_and_b32_e32 v1, 0x7f800000, v0
	s_delay_alu instid0(VALU_DEP_1) | instskip(NEXT) | instid1(VALU_DEP_1)
	v_cmp_ne_u32_e64 s1, 0x7f800000, v1
	s_and_saveexec_b32 s12, s1
	s_delay_alu instid0(SALU_CYCLE_1)
	s_xor_b32 s1, exec_lo, s12
; %bb.1102:                             ;   in Loop: Header=BB191_38 Depth=1
	v_bfe_u32 v1, v0, 16, 1
	s_delay_alu instid0(VALU_DEP_1)
	v_add3_u32 v171, v0, v1, 0x7fff
                                        ; implicit-def: $vgpr0
; %bb.1103:                             ;   in Loop: Header=BB191_38 Depth=1
	s_and_not1_saveexec_b32 s12, s1
; %bb.1104:                             ;   in Loop: Header=BB191_38 Depth=1
	v_and_b32_e32 v1, 0xffff, v0
	v_or_b32_e32 v171, 0x10000, v0
	s_delay_alu instid0(VALU_DEP_2) | instskip(NEXT) | instid1(VALU_DEP_1)
	v_cmp_eq_u32_e64 s1, 0, v1
	v_cndmask_b32_e64 v171, v171, v0, s1
; %bb.1105:                             ;   in Loop: Header=BB191_38 Depth=1
	s_or_b32 exec_lo, exec_lo, s12
	v_lshlrev_b32_e32 v0, 16, v172
                                        ; implicit-def: $vgpr172
	s_delay_alu instid0(VALU_DEP_1) | instskip(NEXT) | instid1(VALU_DEP_1)
	v_mul_f32_e32 v0, v76, v0
	v_and_b32_e32 v1, 0x7f800000, v0
	s_delay_alu instid0(VALU_DEP_1) | instskip(NEXT) | instid1(VALU_DEP_1)
	v_cmp_ne_u32_e64 s1, 0x7f800000, v1
	s_and_saveexec_b32 s12, s1
	s_delay_alu instid0(SALU_CYCLE_1)
	s_xor_b32 s1, exec_lo, s12
; %bb.1106:                             ;   in Loop: Header=BB191_38 Depth=1
	v_bfe_u32 v1, v0, 16, 1
	s_delay_alu instid0(VALU_DEP_1)
	v_add3_u32 v172, v0, v1, 0x7fff
                                        ; implicit-def: $vgpr0
; %bb.1107:                             ;   in Loop: Header=BB191_38 Depth=1
	s_and_not1_saveexec_b32 s12, s1
; %bb.1108:                             ;   in Loop: Header=BB191_38 Depth=1
	v_and_b32_e32 v1, 0xffff, v0
	v_or_b32_e32 v172, 0x10000, v0
	s_delay_alu instid0(VALU_DEP_2) | instskip(NEXT) | instid1(VALU_DEP_1)
	v_cmp_eq_u32_e64 s1, 0, v1
	v_cndmask_b32_e64 v172, v172, v0, s1
; %bb.1109:                             ;   in Loop: Header=BB191_38 Depth=1
	s_or_b32 exec_lo, exec_lo, s12
	v_lshlrev_b32_e32 v0, 16, v2
                                        ; implicit-def: $vgpr173
	s_delay_alu instid0(VALU_DEP_1) | instskip(NEXT) | instid1(VALU_DEP_1)
	v_mul_f32_e32 v0, v77, v0
	v_and_b32_e32 v1, 0x7f800000, v0
	s_delay_alu instid0(VALU_DEP_1) | instskip(NEXT) | instid1(VALU_DEP_1)
	v_cmp_ne_u32_e64 s1, 0x7f800000, v1
	s_and_saveexec_b32 s12, s1
	s_delay_alu instid0(SALU_CYCLE_1)
	s_xor_b32 s1, exec_lo, s12
; %bb.1110:                             ;   in Loop: Header=BB191_38 Depth=1
	v_bfe_u32 v1, v0, 16, 1
	s_delay_alu instid0(VALU_DEP_1)
	v_add3_u32 v173, v0, v1, 0x7fff
                                        ; implicit-def: $vgpr0
; %bb.1111:                             ;   in Loop: Header=BB191_38 Depth=1
	s_and_not1_saveexec_b32 s12, s1
; %bb.1112:                             ;   in Loop: Header=BB191_38 Depth=1
	v_and_b32_e32 v1, 0xffff, v0
	v_or_b32_e32 v2, 0x10000, v0
	s_delay_alu instid0(VALU_DEP_2) | instskip(NEXT) | instid1(VALU_DEP_1)
	v_cmp_eq_u32_e64 s1, 0, v1
	v_cndmask_b32_e64 v173, v2, v0, s1
; %bb.1113:                             ;   in Loop: Header=BB191_38 Depth=1
	s_or_b32 exec_lo, exec_lo, s12
	v_lshlrev_b32_e32 v0, 16, v174
                                        ; implicit-def: $vgpr174
	s_delay_alu instid0(VALU_DEP_1) | instskip(NEXT) | instid1(VALU_DEP_1)
	v_mul_f32_e32 v0, v78, v0
	v_and_b32_e32 v1, 0x7f800000, v0
	s_delay_alu instid0(VALU_DEP_1) | instskip(NEXT) | instid1(VALU_DEP_1)
	v_cmp_ne_u32_e64 s1, 0x7f800000, v1
	s_and_saveexec_b32 s12, s1
	s_delay_alu instid0(SALU_CYCLE_1)
	s_xor_b32 s1, exec_lo, s12
; %bb.1114:                             ;   in Loop: Header=BB191_38 Depth=1
	v_bfe_u32 v1, v0, 16, 1
	s_delay_alu instid0(VALU_DEP_1)
	v_add3_u32 v174, v0, v1, 0x7fff
                                        ; implicit-def: $vgpr0
; %bb.1115:                             ;   in Loop: Header=BB191_38 Depth=1
	s_and_not1_saveexec_b32 s12, s1
; %bb.1116:                             ;   in Loop: Header=BB191_38 Depth=1
	v_and_b32_e32 v1, 0xffff, v0
	v_or_b32_e32 v2, 0x10000, v0
	s_delay_alu instid0(VALU_DEP_2) | instskip(NEXT) | instid1(VALU_DEP_1)
	v_cmp_eq_u32_e64 s1, 0, v1
	v_cndmask_b32_e64 v174, v2, v0, s1
; %bb.1117:                             ;   in Loop: Header=BB191_38 Depth=1
	s_or_b32 exec_lo, exec_lo, s12
	v_lshlrev_b32_e32 v0, 16, v3
                                        ; implicit-def: $vgpr175
	s_delay_alu instid0(VALU_DEP_1) | instskip(NEXT) | instid1(VALU_DEP_1)
	v_mul_f32_e32 v0, v79, v0
	v_and_b32_e32 v1, 0x7f800000, v0
	s_delay_alu instid0(VALU_DEP_1) | instskip(NEXT) | instid1(VALU_DEP_1)
	v_cmp_ne_u32_e64 s1, 0x7f800000, v1
	s_and_saveexec_b32 s12, s1
	s_delay_alu instid0(SALU_CYCLE_1)
	s_xor_b32 s1, exec_lo, s12
; %bb.1118:                             ;   in Loop: Header=BB191_38 Depth=1
	v_bfe_u32 v1, v0, 16, 1
	s_delay_alu instid0(VALU_DEP_1)
	v_add3_u32 v175, v0, v1, 0x7fff
                                        ; implicit-def: $vgpr0
; %bb.1119:                             ;   in Loop: Header=BB191_38 Depth=1
	s_and_not1_saveexec_b32 s12, s1
; %bb.1120:                             ;   in Loop: Header=BB191_38 Depth=1
	v_and_b32_e32 v1, 0xffff, v0
	v_or_b32_e32 v2, 0x10000, v0
	s_delay_alu instid0(VALU_DEP_2) | instskip(NEXT) | instid1(VALU_DEP_1)
	v_cmp_eq_u32_e64 s1, 0, v1
	v_cndmask_b32_e64 v175, v2, v0, s1
; %bb.1121:                             ;   in Loop: Header=BB191_38 Depth=1
	s_or_b32 exec_lo, exec_lo, s12
	v_lshlrev_b32_e32 v0, 16, v184
                                        ; implicit-def: $vgpr184
	s_delay_alu instid0(VALU_DEP_1) | instskip(NEXT) | instid1(VALU_DEP_1)
	v_mul_f32_e32 v0, v88, v0
	v_and_b32_e32 v1, 0x7f800000, v0
	s_delay_alu instid0(VALU_DEP_1) | instskip(NEXT) | instid1(VALU_DEP_1)
	v_cmp_ne_u32_e64 s1, 0x7f800000, v1
	s_and_saveexec_b32 s12, s1
	s_delay_alu instid0(SALU_CYCLE_1)
	s_xor_b32 s1, exec_lo, s12
; %bb.1122:                             ;   in Loop: Header=BB191_38 Depth=1
	v_bfe_u32 v1, v0, 16, 1
	s_delay_alu instid0(VALU_DEP_1)
	v_add3_u32 v184, v0, v1, 0x7fff
                                        ; implicit-def: $vgpr0
; %bb.1123:                             ;   in Loop: Header=BB191_38 Depth=1
	s_and_not1_saveexec_b32 s12, s1
; %bb.1124:                             ;   in Loop: Header=BB191_38 Depth=1
	v_and_b32_e32 v1, 0xffff, v0
	v_or_b32_e32 v2, 0x10000, v0
	s_delay_alu instid0(VALU_DEP_2) | instskip(NEXT) | instid1(VALU_DEP_1)
	v_cmp_eq_u32_e64 s1, 0, v1
	v_cndmask_b32_e64 v184, v2, v0, s1
; %bb.1125:                             ;   in Loop: Header=BB191_38 Depth=1
	s_or_b32 exec_lo, exec_lo, s12
	scratch_load_b32 v0, off, s32 offset:944 ; 4-byte Folded Reload
	s_waitcnt vmcnt(0)
	v_add_co_u32 v0, s1, v63, v0
	s_delay_alu instid0(VALU_DEP_1)
	v_add_co_ci_u32_e64 v1, s1, 0, v72, s1
	flat_load_b128 v[0:3], v[0:1]
	s_waitcnt vmcnt(0) lgkmcnt(0)
	v_lshrrev_b32_e32 v186, 16, v0
	v_lshrrev_b32_e32 v185, 16, v1
	;; [unrolled: 1-line block ×4, first 2 shown]
	s_and_saveexec_b32 s1, vcc_lo
	s_cbranch_execz .LBB191_1127
; %bb.1126:                             ;   in Loop: Header=BB191_38 Depth=1
	v_cmp_lt_i32_e32 vcc_lo, v183, v114
	v_cndmask_b32_e32 v0, 0, v0, vcc_lo
	v_cmp_lt_i32_e32 vcc_lo, v62, v114
	v_cndmask_b32_e32 v186, 0, v186, vcc_lo
	;; [unrolled: 2-line block ×8, first 2 shown]
.LBB191_1127:                           ;   in Loop: Header=BB191_38 Depth=1
	s_or_b32 exec_lo, exec_lo, s1
	v_lshlrev_b32_e32 v0, 16, v0
	s_delay_alu instid0(VALU_DEP_1) | instskip(NEXT) | instid1(VALU_DEP_1)
	v_mul_f32_e32 v183, v73, v0
	v_and_b32_e32 v0, 0x7f800000, v183
	s_delay_alu instid0(VALU_DEP_1) | instskip(SKIP_1) | instid1(SALU_CYCLE_1)
	v_cmp_ne_u32_e32 vcc_lo, 0x7f800000, v0
                                        ; implicit-def: $vgpr0
	s_and_saveexec_b32 s1, vcc_lo
	s_xor_b32 s1, exec_lo, s1
; %bb.1128:                             ;   in Loop: Header=BB191_38 Depth=1
	v_bfe_u32 v0, v183, 16, 1
	s_delay_alu instid0(VALU_DEP_1)
	v_add3_u32 v0, v183, v0, 0x7fff
                                        ; implicit-def: $vgpr183
; %bb.1129:                             ;   in Loop: Header=BB191_38 Depth=1
	s_and_not1_saveexec_b32 s1, s1
; %bb.1130:                             ;   in Loop: Header=BB191_38 Depth=1
	v_and_b32_e32 v0, 0xffff, v183
	v_or_b32_e32 v56, 0x10000, v183
	s_delay_alu instid0(VALU_DEP_2) | instskip(NEXT) | instid1(VALU_DEP_2)
	v_cmp_eq_u32_e32 vcc_lo, 0, v0
	v_cndmask_b32_e32 v0, v56, v183, vcc_lo
; %bb.1131:                             ;   in Loop: Header=BB191_38 Depth=1
	s_or_b32 exec_lo, exec_lo, s1
	v_lshlrev_b32_e32 v183, 16, v186
	s_delay_alu instid0(VALU_DEP_1) | instskip(NEXT) | instid1(VALU_DEP_1)
	v_mul_f32_e32 v56, v74, v183
	v_and_b32_e32 v183, 0x7f800000, v56
	s_delay_alu instid0(VALU_DEP_1) | instskip(SKIP_1) | instid1(SALU_CYCLE_1)
	v_cmp_ne_u32_e32 vcc_lo, 0x7f800000, v183
                                        ; implicit-def: $vgpr183
	s_and_saveexec_b32 s1, vcc_lo
	s_xor_b32 s1, exec_lo, s1
; %bb.1132:                             ;   in Loop: Header=BB191_38 Depth=1
	v_bfe_u32 v183, v56, 16, 1
	s_delay_alu instid0(VALU_DEP_1)
	v_add3_u32 v183, v56, v183, 0x7fff
                                        ; implicit-def: $vgpr56
; %bb.1133:                             ;   in Loop: Header=BB191_38 Depth=1
	s_and_not1_saveexec_b32 s1, s1
; %bb.1134:                             ;   in Loop: Header=BB191_38 Depth=1
	v_and_b32_e32 v183, 0xffff, v56
	v_or_b32_e32 v57, 0x10000, v56
	s_delay_alu instid0(VALU_DEP_2) | instskip(NEXT) | instid1(VALU_DEP_2)
	v_cmp_eq_u32_e32 vcc_lo, 0, v183
	v_cndmask_b32_e32 v183, v57, v56, vcc_lo
; %bb.1135:                             ;   in Loop: Header=BB191_38 Depth=1
	s_or_b32 exec_lo, exec_lo, s1
	v_lshlrev_b32_e32 v1, 16, v1
	s_delay_alu instid0(VALU_DEP_1) | instskip(NEXT) | instid1(VALU_DEP_1)
	v_mul_f32_e32 v56, v75, v1
	v_and_b32_e32 v1, 0x7f800000, v56
	s_delay_alu instid0(VALU_DEP_1) | instskip(SKIP_1) | instid1(SALU_CYCLE_1)
	v_cmp_ne_u32_e32 vcc_lo, 0x7f800000, v1
                                        ; implicit-def: $vgpr1
	s_and_saveexec_b32 s1, vcc_lo
	s_xor_b32 s1, exec_lo, s1
; %bb.1136:                             ;   in Loop: Header=BB191_38 Depth=1
	v_bfe_u32 v1, v56, 16, 1
	s_delay_alu instid0(VALU_DEP_1)
	v_add3_u32 v1, v56, v1, 0x7fff
                                        ; implicit-def: $vgpr56
; %bb.1137:                             ;   in Loop: Header=BB191_38 Depth=1
	s_and_not1_saveexec_b32 s1, s1
; %bb.1138:                             ;   in Loop: Header=BB191_38 Depth=1
	v_and_b32_e32 v1, 0xffff, v56
	v_or_b32_e32 v57, 0x10000, v56
	s_delay_alu instid0(VALU_DEP_2) | instskip(NEXT) | instid1(VALU_DEP_2)
	v_cmp_eq_u32_e32 vcc_lo, 0, v1
	v_cndmask_b32_e32 v1, v57, v56, vcc_lo
; %bb.1139:                             ;   in Loop: Header=BB191_38 Depth=1
	s_or_b32 exec_lo, exec_lo, s1
	v_lshlrev_b32_e32 v56, 16, v185
	s_delay_alu instid0(VALU_DEP_1) | instskip(NEXT) | instid1(VALU_DEP_1)
	v_mul_f32_e32 v57, v76, v56
	v_and_b32_e32 v56, 0x7f800000, v57
	s_delay_alu instid0(VALU_DEP_1) | instskip(SKIP_1) | instid1(SALU_CYCLE_1)
	v_cmp_ne_u32_e32 vcc_lo, 0x7f800000, v56
                                        ; implicit-def: $vgpr56
	s_and_saveexec_b32 s1, vcc_lo
	s_xor_b32 s1, exec_lo, s1
; %bb.1140:                             ;   in Loop: Header=BB191_38 Depth=1
	v_bfe_u32 v56, v57, 16, 1
	s_delay_alu instid0(VALU_DEP_1)
	v_add3_u32 v56, v57, v56, 0x7fff
                                        ; implicit-def: $vgpr57
; %bb.1141:                             ;   in Loop: Header=BB191_38 Depth=1
	s_and_not1_saveexec_b32 s1, s1
; %bb.1142:                             ;   in Loop: Header=BB191_38 Depth=1
	v_and_b32_e32 v56, 0xffff, v57
	v_or_b32_e32 v58, 0x10000, v57
	s_delay_alu instid0(VALU_DEP_2) | instskip(NEXT) | instid1(VALU_DEP_2)
	v_cmp_eq_u32_e32 vcc_lo, 0, v56
	v_cndmask_b32_e32 v56, v58, v57, vcc_lo
; %bb.1143:                             ;   in Loop: Header=BB191_38 Depth=1
	s_or_b32 exec_lo, exec_lo, s1
	v_lshlrev_b32_e32 v2, 16, v2
	s_delay_alu instid0(VALU_DEP_1) | instskip(NEXT) | instid1(VALU_DEP_1)
	v_mul_f32_e32 v57, v77, v2
	v_and_b32_e32 v2, 0x7f800000, v57
	s_delay_alu instid0(VALU_DEP_1) | instskip(SKIP_1) | instid1(SALU_CYCLE_1)
	v_cmp_ne_u32_e32 vcc_lo, 0x7f800000, v2
                                        ; implicit-def: $vgpr2
	s_and_saveexec_b32 s1, vcc_lo
	s_xor_b32 s1, exec_lo, s1
; %bb.1144:                             ;   in Loop: Header=BB191_38 Depth=1
	v_bfe_u32 v2, v57, 16, 1
	s_delay_alu instid0(VALU_DEP_1)
	v_add3_u32 v2, v57, v2, 0x7fff
                                        ; implicit-def: $vgpr57
; %bb.1145:                             ;   in Loop: Header=BB191_38 Depth=1
	s_and_not1_saveexec_b32 s1, s1
; %bb.1146:                             ;   in Loop: Header=BB191_38 Depth=1
	v_and_b32_e32 v2, 0xffff, v57
	v_or_b32_e32 v58, 0x10000, v57
	s_delay_alu instid0(VALU_DEP_2) | instskip(NEXT) | instid1(VALU_DEP_2)
	v_cmp_eq_u32_e32 vcc_lo, 0, v2
	v_cndmask_b32_e32 v2, v58, v57, vcc_lo
; %bb.1147:                             ;   in Loop: Header=BB191_38 Depth=1
	s_or_b32 exec_lo, exec_lo, s1
	v_lshlrev_b32_e32 v57, 16, v72
	s_delay_alu instid0(VALU_DEP_1) | instskip(NEXT) | instid1(VALU_DEP_1)
	v_mul_f32_e32 v58, v78, v57
	v_and_b32_e32 v57, 0x7f800000, v58
	s_delay_alu instid0(VALU_DEP_1) | instskip(SKIP_1) | instid1(SALU_CYCLE_1)
	v_cmp_ne_u32_e32 vcc_lo, 0x7f800000, v57
                                        ; implicit-def: $vgpr57
	s_and_saveexec_b32 s1, vcc_lo
	s_xor_b32 s1, exec_lo, s1
; %bb.1148:                             ;   in Loop: Header=BB191_38 Depth=1
	v_bfe_u32 v57, v58, 16, 1
	s_delay_alu instid0(VALU_DEP_1)
	v_add3_u32 v57, v58, v57, 0x7fff
                                        ; implicit-def: $vgpr58
; %bb.1149:                             ;   in Loop: Header=BB191_38 Depth=1
	s_and_not1_saveexec_b32 s1, s1
; %bb.1150:                             ;   in Loop: Header=BB191_38 Depth=1
	v_and_b32_e32 v57, 0xffff, v58
	v_or_b32_e32 v59, 0x10000, v58
	s_delay_alu instid0(VALU_DEP_2) | instskip(NEXT) | instid1(VALU_DEP_2)
	v_cmp_eq_u32_e32 vcc_lo, 0, v57
	v_cndmask_b32_e32 v57, v59, v58, vcc_lo
; %bb.1151:                             ;   in Loop: Header=BB191_38 Depth=1
	s_or_b32 exec_lo, exec_lo, s1
	v_lshlrev_b32_e32 v3, 16, v3
	s_delay_alu instid0(VALU_DEP_1) | instskip(NEXT) | instid1(VALU_DEP_1)
	v_mul_f32_e32 v58, v79, v3
	v_and_b32_e32 v3, 0x7f800000, v58
	s_delay_alu instid0(VALU_DEP_1) | instskip(SKIP_1) | instid1(SALU_CYCLE_1)
	v_cmp_ne_u32_e32 vcc_lo, 0x7f800000, v3
                                        ; implicit-def: $vgpr3
	s_and_saveexec_b32 s1, vcc_lo
	s_xor_b32 s1, exec_lo, s1
; %bb.1152:                             ;   in Loop: Header=BB191_38 Depth=1
	v_bfe_u32 v3, v58, 16, 1
	s_delay_alu instid0(VALU_DEP_1)
	v_add3_u32 v3, v58, v3, 0x7fff
                                        ; implicit-def: $vgpr58
; %bb.1153:                             ;   in Loop: Header=BB191_38 Depth=1
	s_and_not1_saveexec_b32 s1, s1
; %bb.1154:                             ;   in Loop: Header=BB191_38 Depth=1
	v_and_b32_e32 v3, 0xffff, v58
	v_or_b32_e32 v59, 0x10000, v58
	s_delay_alu instid0(VALU_DEP_2) | instskip(NEXT) | instid1(VALU_DEP_2)
	v_cmp_eq_u32_e32 vcc_lo, 0, v3
	v_cndmask_b32_e32 v3, v59, v58, vcc_lo
; %bb.1155:                             ;   in Loop: Header=BB191_38 Depth=1
	s_or_b32 exec_lo, exec_lo, s1
	v_lshlrev_b32_e32 v58, 16, v63
	s_delay_alu instid0(VALU_DEP_1) | instskip(NEXT) | instid1(VALU_DEP_1)
	v_mul_f32_e32 v59, v88, v58
	v_and_b32_e32 v58, 0x7f800000, v59
	s_delay_alu instid0(VALU_DEP_1) | instskip(SKIP_1) | instid1(SALU_CYCLE_1)
	v_cmp_ne_u32_e32 vcc_lo, 0x7f800000, v58
                                        ; implicit-def: $vgpr58
	s_and_saveexec_b32 s1, vcc_lo
	s_xor_b32 s1, exec_lo, s1
; %bb.1156:                             ;   in Loop: Header=BB191_38 Depth=1
	v_bfe_u32 v58, v59, 16, 1
	s_delay_alu instid0(VALU_DEP_1)
	v_add3_u32 v58, v59, v58, 0x7fff
                                        ; implicit-def: $vgpr59
; %bb.1157:                             ;   in Loop: Header=BB191_38 Depth=1
	s_and_not1_saveexec_b32 s1, s1
	s_cbranch_execz .LBB191_36
; %bb.1158:                             ;   in Loop: Header=BB191_38 Depth=1
	v_and_b32_e32 v58, 0xffff, v59
	v_or_b32_e32 v60, 0x10000, v59
	s_delay_alu instid0(VALU_DEP_2) | instskip(NEXT) | instid1(VALU_DEP_2)
	v_cmp_eq_u32_e32 vcc_lo, 0, v58
	v_cndmask_b32_e32 v58, v60, v59, vcc_lo
	s_branch .LBB191_36
.LBB191_1159:
	s_or_b32 exec_lo, exec_lo, s8
	s_clause 0x4
	scratch_load_b32 v17, off, s32 offset:948
	scratch_load_b32 v10, off, s32 offset:952
	scratch_load_b32 v48, off, s32 offset:424
	scratch_load_b32 v5, off, s32 offset:428
	scratch_load_b32 v4, off, s32 offset:432
.LBB191_1160:
	s_or_b32 exec_lo, exec_lo, s5
	v_dual_mov_b32 v38, v16 :: v_dual_mov_b32 v37, v18
	s_clause 0x6
	scratch_load_b32 v18, off, s32 offset:416
	scratch_load_b32 v20, off, s32 offset:412
	;; [unrolled: 1-line block ×7, first 2 shown]
	s_waitcnt vmcnt(10)
	ds_bpermute_b32 v0, v10, v34
	ds_bpermute_b32 v2, v10, v32
	;; [unrolled: 1-line block ×6, first 2 shown]
	v_dual_mov_b32 v36, v10 :: v_dual_mov_b32 v21, v13
	s_waitcnt vmcnt(7)
	v_dual_mov_b32 v23, v4 :: v_dual_mov_b32 v22, v5
	ds_bpermute_b32 v4, v10, v4
	ds_bpermute_b32 v5, v10, v5
	;; [unrolled: 1-line block ×4, first 2 shown]
	s_mov_b32 s1, exec_lo
	v_mov_b32_e32 v71, v17
	v_mov_b32_e32 v52, v37
	s_clause 0x5
	scratch_load_b32 v49, off, s32 offset:364
	scratch_load_b32 v50, off, s32 offset:360
	;; [unrolled: 1-line block ×6, first 2 shown]
	s_waitcnt lgkmcnt(5)
	v_dual_add_f32 v0, v34, v0 :: v_dual_add_f32 v1, v33, v1
	v_dual_add_f32 v2, v32, v2 :: v_dual_add_f32 v3, v25, v3
	scratch_load_b32 v51, off, s32 offset:376 ; 4-byte Folded Reload
	ds_bpermute_b32 v17, v17, v0
	s_waitcnt lgkmcnt(3)
	v_dual_add_f32 v4, v23, v4 :: v_dual_add_f32 v5, v22, v5
	ds_bpermute_b32 v22, v71, v5
	s_waitcnt vmcnt(13)
	ds_bpermute_b32 v6, v10, v18
	s_waitcnt vmcnt(12)
	ds_bpermute_b32 v8, v10, v20
	v_add_f32_e32 v7, v21, v7
	s_waitcnt vmcnt(11)
	ds_bpermute_b32 v10, v10, v31
	s_waitcnt vmcnt(10)
	ds_bpermute_b32 v11, v36, v30
	;; [unrolled: 2-line block ×3, first 2 shown]
	v_add_f32_e32 v9, v19, v9
	ds_bpermute_b32 v19, v71, v2
	s_waitcnt vmcnt(8)
	ds_bpermute_b32 v13, v36, v28
	ds_bpermute_b32 v21, v71, v4
	v_mov_b32_e32 v39, v24
	s_waitcnt lgkmcnt(9)
	v_add_f32_e32 v0, v0, v17
	s_waitcnt lgkmcnt(7)
	v_add_f32_e32 v6, v18, v6
	;; [unrolled: 2-line block ×3, first 2 shown]
	ds_bpermute_b32 v20, v71, v3
	ds_bpermute_b32 v18, v71, v1
	s_waitcnt lgkmcnt(7)
	v_add_f32_e32 v10, v31, v10
	s_waitcnt lgkmcnt(5)
	v_add_f32_e32 v12, v29, v12
	ds_bpermute_b32 v25, v71, v8
	ds_bpermute_b32 v33, v71, v9
	s_waitcnt lgkmcnt(6)
	v_add_f32_e32 v31, v2, v19
	v_mov_b32_e32 v53, v38
	ds_bpermute_b32 v2, v36, v38
	scratch_load_b32 v38, off, s32 offset:388 ; 4-byte Folded Reload
	s_waitcnt vmcnt(8)
	ds_bpermute_b32 v14, v36, v27
	v_add_f32_e32 v11, v30, v11
	ds_bpermute_b32 v24, v71, v7
	s_waitcnt lgkmcnt(8)
	v_add_f32_e32 v13, v28, v13
	v_mov_b32_e32 v19, v48
	scratch_load_b32 v48, off, s32 offset:368 ; 4-byte Folded Reload
	ds_bpermute_b32 v23, v71, v6
	s_waitcnt lgkmcnt(8)
	v_dual_add_f32 v28, v5, v22 :: v_dual_add_f32 v29, v4, v21
	ds_bpermute_b32 v34, v71, v10
	s_waitcnt lgkmcnt(8)
	v_add_f32_e32 v30, v3, v20
	ds_bpermute_b32 v3, v36, v37
	s_clause 0x1
	scratch_load_b32 v37, off, s32 offset:384
	scratch_load_b32 v20, off, s32 offset:380
	s_waitcnt lgkmcnt(7)
	v_dual_add_f32 v25, v8, v25 :: v_dual_add_f32 v32, v1, v18
	ds_bpermute_b32 v1, v71, v12
	v_add_f32_e32 v8, v39, v16
	scratch_load_b32 v39, off, s32 offset:372 ; 4-byte Folded Reload
	ds_bpermute_b32 v17, v71, v13
	s_waitcnt vmcnt(0) lgkmcnt(0)
	s_waitcnt_vscnt null, 0x0
	s_barrier
	v_add_f32_e32 v26, v7, v24
	v_dual_add_f32 v24, v9, v33 :: v_dual_add_f32 v7, v19, v15
	v_add_f32_e32 v2, v53, v2
	v_dual_add_f32 v14, v27, v14 :: v_dual_add_f32 v27, v6, v23
	buffer_gl0_inv
	ds_bpermute_b32 v35, v71, v11
	v_add_f32_e32 v23, v10, v34
	ds_bpermute_b32 v33, v36, v67
	s_load_b32 s2, s[2:3], 0x0
	ds_bpermute_b32 v18, v71, v14
	ds_bpermute_b32 v34, v71, v2
	;; [unrolled: 1-line block ×3, first 2 shown]
	v_add_f32_e32 v21, v12, v1
	ds_bpermute_b32 v1, v71, v7
	ds_bpermute_b32 v10, v36, v51
	;; [unrolled: 1-line block ×3, first 2 shown]
	v_add_f32_e32 v3, v52, v3
	ds_bpermute_b32 v9, v71, v8
	s_waitcnt lgkmcnt(0)
	v_add_f32_e32 v22, v11, v35
	v_add_f32_e32 v33, v67, v33
	v_add_f32_e32 v10, v51, v10
	v_add_f32_e32 v64, v64, v16
	v_add_f32_e32 v16, v2, v34
	ds_bpermute_b32 v35, v71, v3
	ds_bpermute_b32 v68, v71, v64
	;; [unrolled: 1-line block ×3, first 2 shown]
	v_add_f32_e32 v19, v13, v17
	ds_bpermute_b32 v13, v36, v49
	ds_bpermute_b32 v12, v36, v48
	v_add_f32_e32 v17, v14, v18
	ds_bpermute_b32 v18, v36, v65
	ds_bpermute_b32 v14, v36, v50
	;; [unrolled: 1-line block ×5, first 2 shown]
	s_waitcnt lgkmcnt(6)
	v_dual_add_f32 v4, v38, v4 :: v_dual_add_f32 v49, v49, v13
	s_waitcnt lgkmcnt(5)
	v_add_f32_e32 v48, v48, v12
	ds_bpermute_b32 v53, v71, v49
	s_waitcnt lgkmcnt(5)
	v_add_f32_e32 v65, v65, v18
	s_waitcnt lgkmcnt(4)
	v_add_f32_e32 v50, v50, v14
	v_add_f32_e32 v18, v8, v9
	ds_bpermute_b32 v52, v71, v48
	s_waitcnt lgkmcnt(3)
	v_dual_add_f32 v5, v37, v5 :: v_dual_add_f32 v6, v20, v6
	ds_bpermute_b32 v20, v36, v66
	v_add_f32_e32 v55, v55, v15
	ds_bpermute_b32 v36, v71, v4
	ds_bpermute_b32 v37, v71, v5
	s_waitcnt lgkmcnt(5)
	v_add_f32_e32 v39, v39, v11
	ds_bpermute_b32 v38, v71, v6
	ds_bpermute_b32 v11, v71, v10
	;; [unrolled: 1-line block ×3, first 2 shown]
	v_add_f32_e32 v15, v3, v35
	ds_bpermute_b32 v51, v71, v39
	s_waitcnt lgkmcnt(7)
	v_dual_add_f32 v8, v49, v53 :: v_dual_add_f32 v9, v48, v52
	s_waitcnt lgkmcnt(6)
	v_add_f32_e32 v66, v66, v20
	v_add_f32_e32 v20, v7, v1
	scratch_load_b32 v1, off, s32 offset:820 ; 4-byte Folded Reload
	ds_bpermute_b32 v67, v71, v55
	ds_bpermute_b32 v69, v71, v65
	ds_bpermute_b32 v70, v71, v66
	ds_bpermute_b32 v71, v71, v33
	s_waitcnt lgkmcnt(8)
	v_dual_add_f32 v14, v4, v36 :: v_dual_add_f32 v13, v5, v37
	s_waitcnt lgkmcnt(7)
	v_add_f32_e32 v12, v6, v38
	s_waitcnt lgkmcnt(6)
	v_add_f32_e32 v11, v10, v11
	s_waitcnt lgkmcnt(4)
	v_dual_add_f32 v10, v39, v51 :: v_dual_add_f32 v7, v50, v54
	s_waitcnt lgkmcnt(3)
	v_dual_add_f32 v5, v64, v68 :: v_dual_add_f32 v6, v55, v67
	;; [unrolled: 2-line block ×3, first 2 shown]
	s_waitcnt lgkmcnt(0)
	v_add_f32_e32 v2, v33, v71
	scratch_load_b32 v33, off, s32 offset:992 ; 4-byte Folded Reload
	s_waitcnt vmcnt(1)
	v_and_b32_e32 v34, 0x3c3, v1
	scratch_load_b32 v1, off, s32 offset:816 ; 4-byte Folded Reload
	s_waitcnt vmcnt(1)
	v_lshl_add_u32 v33, v33, 10, s2
	s_waitcnt vmcnt(0)
	v_lshrrev_b32_e32 v1, 2, v1
	v_cmpx_eq_u32_e32 64, v34
	s_cbranch_execz .LBB191_1162
; %bb.1161:
	s_delay_alu instid0(VALU_DEP_2) | instskip(NEXT) | instid1(VALU_DEP_1)
	v_lshlrev_b32_e32 v34, 2, v1
	v_add3_u32 v34, v33, v34, 0xfffff800
	ds_store_2addr_b32 v34, v0, v32 offset1:8
	ds_store_2addr_b32 v34, v31, v30 offset0:16 offset1:24
	ds_store_2addr_b32 v34, v29, v28 offset0:32 offset1:40
	;; [unrolled: 1-line block ×15, first 2 shown]
.LBB191_1162:
	s_or_b32 exec_lo, exec_lo, s1
	scratch_load_b32 v35, off, s32 offset:820 ; 4-byte Folded Reload
	s_mov_b32 s3, exec_lo
	s_waitcnt vmcnt(0) lgkmcnt(0)
	s_barrier
	buffer_gl0_inv
	v_and_b32_e32 v34, 3, v35
	s_delay_alu instid0(VALU_DEP_1)
	v_cmp_eq_u32_e32 vcc_lo, 0, v34
	v_cmpx_gt_u32_e32 64, v35
	s_cbranch_execz .LBB191_1197
; %bb.1163:
	s_and_saveexec_b32 s1, vcc_lo
	s_cbranch_execnz .LBB191_1366
; %bb.1164:
	s_or_b32 exec_lo, exec_lo, s1
	s_and_saveexec_b32 s1, vcc_lo
	s_cbranch_execnz .LBB191_1367
.LBB191_1165:
	s_or_b32 exec_lo, exec_lo, s1
	s_and_saveexec_b32 s1, vcc_lo
	s_cbranch_execnz .LBB191_1368
.LBB191_1166:
	s_or_b32 exec_lo, exec_lo, s1
	s_and_saveexec_b32 s1, vcc_lo
	s_cbranch_execnz .LBB191_1369
.LBB191_1167:
	s_or_b32 exec_lo, exec_lo, s1
	s_and_saveexec_b32 s1, vcc_lo
	s_cbranch_execnz .LBB191_1370
.LBB191_1168:
	s_or_b32 exec_lo, exec_lo, s1
	s_and_saveexec_b32 s1, vcc_lo
	s_cbranch_execnz .LBB191_1371
.LBB191_1169:
	s_or_b32 exec_lo, exec_lo, s1
	s_and_saveexec_b32 s1, vcc_lo
	s_cbranch_execnz .LBB191_1372
.LBB191_1170:
	s_or_b32 exec_lo, exec_lo, s1
	s_and_saveexec_b32 s1, vcc_lo
	s_cbranch_execnz .LBB191_1373
.LBB191_1171:
	s_or_b32 exec_lo, exec_lo, s1
	s_and_saveexec_b32 s1, vcc_lo
	s_cbranch_execnz .LBB191_1374
.LBB191_1172:
	s_or_b32 exec_lo, exec_lo, s1
	s_and_saveexec_b32 s1, vcc_lo
	s_cbranch_execnz .LBB191_1375
.LBB191_1173:
	s_or_b32 exec_lo, exec_lo, s1
	s_and_saveexec_b32 s1, vcc_lo
	s_cbranch_execnz .LBB191_1376
.LBB191_1174:
	s_or_b32 exec_lo, exec_lo, s1
	s_and_saveexec_b32 s1, vcc_lo
	s_cbranch_execnz .LBB191_1377
.LBB191_1175:
	s_or_b32 exec_lo, exec_lo, s1
	s_and_saveexec_b32 s1, vcc_lo
	s_cbranch_execnz .LBB191_1378
.LBB191_1176:
	s_or_b32 exec_lo, exec_lo, s1
	s_and_saveexec_b32 s1, vcc_lo
	s_cbranch_execnz .LBB191_1379
.LBB191_1177:
	s_or_b32 exec_lo, exec_lo, s1
	s_and_saveexec_b32 s1, vcc_lo
	s_cbranch_execnz .LBB191_1380
.LBB191_1178:
	s_or_b32 exec_lo, exec_lo, s1
	s_and_saveexec_b32 s1, vcc_lo
	s_cbranch_execnz .LBB191_1381
.LBB191_1179:
	s_or_b32 exec_lo, exec_lo, s1
	s_and_saveexec_b32 s1, vcc_lo
	s_cbranch_execnz .LBB191_1382
.LBB191_1180:
	s_or_b32 exec_lo, exec_lo, s1
	s_and_saveexec_b32 s1, vcc_lo
	s_cbranch_execnz .LBB191_1383
.LBB191_1181:
	s_or_b32 exec_lo, exec_lo, s1
	s_and_saveexec_b32 s1, vcc_lo
	s_cbranch_execnz .LBB191_1384
.LBB191_1182:
	s_or_b32 exec_lo, exec_lo, s1
	s_and_saveexec_b32 s1, vcc_lo
	s_cbranch_execnz .LBB191_1385
.LBB191_1183:
	s_or_b32 exec_lo, exec_lo, s1
	s_and_saveexec_b32 s1, vcc_lo
	s_cbranch_execnz .LBB191_1386
.LBB191_1184:
	s_or_b32 exec_lo, exec_lo, s1
	s_and_saveexec_b32 s1, vcc_lo
	s_cbranch_execnz .LBB191_1387
.LBB191_1185:
	s_or_b32 exec_lo, exec_lo, s1
	s_and_saveexec_b32 s1, vcc_lo
	s_cbranch_execnz .LBB191_1388
.LBB191_1186:
	s_or_b32 exec_lo, exec_lo, s1
	s_and_saveexec_b32 s1, vcc_lo
	s_cbranch_execnz .LBB191_1389
.LBB191_1187:
	s_or_b32 exec_lo, exec_lo, s1
	s_and_saveexec_b32 s1, vcc_lo
	s_cbranch_execnz .LBB191_1390
.LBB191_1188:
	s_or_b32 exec_lo, exec_lo, s1
	s_and_saveexec_b32 s1, vcc_lo
	s_cbranch_execnz .LBB191_1391
.LBB191_1189:
	s_or_b32 exec_lo, exec_lo, s1
	s_and_saveexec_b32 s1, vcc_lo
	s_cbranch_execnz .LBB191_1392
.LBB191_1190:
	s_or_b32 exec_lo, exec_lo, s1
	s_and_saveexec_b32 s1, vcc_lo
	s_cbranch_execnz .LBB191_1393
.LBB191_1191:
	s_or_b32 exec_lo, exec_lo, s1
	s_and_saveexec_b32 s1, vcc_lo
	s_cbranch_execnz .LBB191_1394
.LBB191_1192:
	s_or_b32 exec_lo, exec_lo, s1
	s_and_saveexec_b32 s1, vcc_lo
	s_cbranch_execnz .LBB191_1395
.LBB191_1193:
	s_or_b32 exec_lo, exec_lo, s1
	s_and_saveexec_b32 s1, vcc_lo
	s_cbranch_execnz .LBB191_1396
.LBB191_1194:
	s_or_b32 exec_lo, exec_lo, s1
	s_and_saveexec_b32 s1, vcc_lo
	s_cbranch_execz .LBB191_1196
.LBB191_1195:
	v_lshl_add_u32 v34, v1, 2, v33
	ds_load_b32 v34, v34 offset:992
	s_waitcnt lgkmcnt(0)
	v_add_f32_e32 v2, v34, v2
.LBB191_1196:
	s_or_b32 exec_lo, exec_lo, s1
.LBB191_1197:
	s_delay_alu instid0(SALU_CYCLE_1)
	s_or_b32 exec_lo, exec_lo, s3
	scratch_load_b32 v34, off, s32 offset:820 ; 4-byte Folded Reload
	s_mov_b32 s3, exec_lo
	s_waitcnt vmcnt(0)
	s_barrier
	buffer_gl0_inv
	v_and_b32_e32 v34, 0x3e3, v34
	s_delay_alu instid0(VALU_DEP_1)
	v_cmpx_eq_u32_e32 32, v34
	s_cbranch_execz .LBB191_1199
; %bb.1198:
	v_lshl_add_u32 v34, v1, 2, s2
	ds_store_2addr_b32 v34, v0, v32 offset1:8
	ds_store_2addr_b32 v34, v31, v30 offset0:16 offset1:24
	ds_store_2addr_b32 v34, v29, v28 offset0:32 offset1:40
	;; [unrolled: 1-line block ×15, first 2 shown]
.LBB191_1199:
	s_or_b32 exec_lo, exec_lo, s3
	s_waitcnt lgkmcnt(0)
	s_barrier
	buffer_gl0_inv
	s_and_saveexec_b32 s1, s0
	s_cbranch_execz .LBB191_1234
; %bb.1200:
	v_lshl_add_u32 v1, v1, 2, v33
	s_and_saveexec_b32 s2, vcc_lo
	s_cbranch_execnz .LBB191_1397
; %bb.1201:
	s_or_b32 exec_lo, exec_lo, s2
	s_and_saveexec_b32 s2, vcc_lo
	s_cbranch_execnz .LBB191_1398
.LBB191_1202:
	s_or_b32 exec_lo, exec_lo, s2
	s_and_saveexec_b32 s2, vcc_lo
	s_cbranch_execnz .LBB191_1399
.LBB191_1203:
	s_or_b32 exec_lo, exec_lo, s2
	s_and_saveexec_b32 s2, vcc_lo
	s_cbranch_execnz .LBB191_1400
.LBB191_1204:
	s_or_b32 exec_lo, exec_lo, s2
	s_and_saveexec_b32 s2, vcc_lo
	s_cbranch_execnz .LBB191_1401
.LBB191_1205:
	s_or_b32 exec_lo, exec_lo, s2
	s_and_saveexec_b32 s2, vcc_lo
	s_cbranch_execnz .LBB191_1402
.LBB191_1206:
	s_or_b32 exec_lo, exec_lo, s2
	s_and_saveexec_b32 s2, vcc_lo
	s_cbranch_execnz .LBB191_1403
.LBB191_1207:
	s_or_b32 exec_lo, exec_lo, s2
	s_and_saveexec_b32 s2, vcc_lo
	s_cbranch_execnz .LBB191_1404
.LBB191_1208:
	s_or_b32 exec_lo, exec_lo, s2
	s_and_saveexec_b32 s2, vcc_lo
	s_cbranch_execnz .LBB191_1405
.LBB191_1209:
	s_or_b32 exec_lo, exec_lo, s2
	s_and_saveexec_b32 s2, vcc_lo
	s_cbranch_execnz .LBB191_1406
.LBB191_1210:
	s_or_b32 exec_lo, exec_lo, s2
	s_and_saveexec_b32 s2, vcc_lo
	s_cbranch_execnz .LBB191_1407
.LBB191_1211:
	s_or_b32 exec_lo, exec_lo, s2
	s_and_saveexec_b32 s2, vcc_lo
	s_cbranch_execnz .LBB191_1408
.LBB191_1212:
	s_or_b32 exec_lo, exec_lo, s2
	s_and_saveexec_b32 s2, vcc_lo
	s_cbranch_execnz .LBB191_1409
.LBB191_1213:
	s_or_b32 exec_lo, exec_lo, s2
	s_and_saveexec_b32 s2, vcc_lo
	s_cbranch_execnz .LBB191_1410
.LBB191_1214:
	s_or_b32 exec_lo, exec_lo, s2
	s_and_saveexec_b32 s2, vcc_lo
	s_cbranch_execnz .LBB191_1411
.LBB191_1215:
	s_or_b32 exec_lo, exec_lo, s2
	s_and_saveexec_b32 s2, vcc_lo
	s_cbranch_execnz .LBB191_1412
.LBB191_1216:
	s_or_b32 exec_lo, exec_lo, s2
	s_and_saveexec_b32 s2, vcc_lo
	s_cbranch_execnz .LBB191_1413
.LBB191_1217:
	s_or_b32 exec_lo, exec_lo, s2
	s_and_saveexec_b32 s2, vcc_lo
	s_cbranch_execnz .LBB191_1414
.LBB191_1218:
	s_or_b32 exec_lo, exec_lo, s2
	s_and_saveexec_b32 s2, vcc_lo
	s_cbranch_execnz .LBB191_1415
.LBB191_1219:
	s_or_b32 exec_lo, exec_lo, s2
	s_and_saveexec_b32 s2, vcc_lo
	s_cbranch_execnz .LBB191_1416
.LBB191_1220:
	s_or_b32 exec_lo, exec_lo, s2
	s_and_saveexec_b32 s2, vcc_lo
	s_cbranch_execnz .LBB191_1417
.LBB191_1221:
	s_or_b32 exec_lo, exec_lo, s2
	s_and_saveexec_b32 s2, vcc_lo
	s_cbranch_execnz .LBB191_1418
.LBB191_1222:
	s_or_b32 exec_lo, exec_lo, s2
	s_and_saveexec_b32 s2, vcc_lo
	s_cbranch_execnz .LBB191_1419
.LBB191_1223:
	s_or_b32 exec_lo, exec_lo, s2
	s_and_saveexec_b32 s2, vcc_lo
	s_cbranch_execnz .LBB191_1420
.LBB191_1224:
	s_or_b32 exec_lo, exec_lo, s2
	s_and_saveexec_b32 s2, vcc_lo
	s_cbranch_execnz .LBB191_1421
.LBB191_1225:
	s_or_b32 exec_lo, exec_lo, s2
	s_and_saveexec_b32 s2, vcc_lo
	s_cbranch_execnz .LBB191_1422
.LBB191_1226:
	s_or_b32 exec_lo, exec_lo, s2
	s_and_saveexec_b32 s2, vcc_lo
	s_cbranch_execnz .LBB191_1423
.LBB191_1227:
	s_or_b32 exec_lo, exec_lo, s2
	s_and_saveexec_b32 s2, vcc_lo
	s_cbranch_execnz .LBB191_1424
.LBB191_1228:
	s_or_b32 exec_lo, exec_lo, s2
	s_and_saveexec_b32 s2, vcc_lo
	s_cbranch_execnz .LBB191_1425
.LBB191_1229:
	s_or_b32 exec_lo, exec_lo, s2
	s_and_saveexec_b32 s2, vcc_lo
	s_cbranch_execnz .LBB191_1426
.LBB191_1230:
	s_or_b32 exec_lo, exec_lo, s2
	s_and_saveexec_b32 s2, vcc_lo
	s_cbranch_execnz .LBB191_1427
.LBB191_1231:
	s_or_b32 exec_lo, exec_lo, s2
	s_and_saveexec_b32 s2, vcc_lo
	s_cbranch_execz .LBB191_1233
.LBB191_1232:
	ds_load_b32 v1, v1 offset:992
	s_waitcnt lgkmcnt(0)
	v_add_f32_e32 v2, v1, v2
.LBB191_1233:
	s_or_b32 exec_lo, exec_lo, s2
.LBB191_1234:
	s_delay_alu instid0(SALU_CYCLE_1)
	s_or_b32 exec_lo, exec_lo, s1
	s_barrier
	buffer_gl0_inv
	s_and_b32 exec_lo, exec_lo, s0
	s_cbranch_execz .LBB191_1365
; %bb.1235:
	s_and_b32 exec_lo, exec_lo, vcc_lo
	s_cbranch_execz .LBB191_1365
; %bb.1236:
	v_and_b32_e32 v1, 0x7f800000, v0
	s_mov_b32 s0, exec_lo
                                        ; implicit-def: $vgpr33
	s_delay_alu instid0(VALU_DEP_1)
	v_cmpx_ne_u32_e32 0x7f800000, v1
	s_xor_b32 s0, exec_lo, s0
; %bb.1237:
	v_bfe_u32 v1, v0, 16, 1
	s_delay_alu instid0(VALU_DEP_1)
	v_add3_u32 v33, v0, v1, 0x7fff
                                        ; implicit-def: $vgpr0
; %bb.1238:
	s_and_not1_saveexec_b32 s0, s0
; %bb.1239:
	v_and_b32_e32 v1, 0xffff, v0
	v_or_b32_e32 v33, 0x10000, v0
	s_delay_alu instid0(VALU_DEP_2) | instskip(NEXT) | instid1(VALU_DEP_2)
	v_cmp_eq_u32_e32 vcc_lo, 0, v1
	v_cndmask_b32_e32 v33, v33, v0, vcc_lo
; %bb.1240:
	s_or_b32 exec_lo, exec_lo, s0
	s_clause 0x2
	scratch_load_b32 v0, off, s32 offset:820
	scratch_load_b32 v34, off, s32 offset:996
	;; [unrolled: 1-line block ×3, first 2 shown]
	s_mul_i32 s1, s4, s6
	s_mul_i32 s0, s10, s4
	;; [unrolled: 1-line block ×3, first 2 shown]
	s_lshl_b32 s2, s14, 8
	s_lshl_b32 s4, s1, 8
	s_ashr_i32 s1, s0, 31
	s_ashr_i32 s3, s2, 31
	;; [unrolled: 1-line block ×3, first 2 shown]
	s_lshl_b64 s[0:1], s[0:1], 1
	s_lshl_b64 s[2:3], s[2:3], 1
	;; [unrolled: 1-line block ×3, first 2 shown]
	s_add_u32 s0, s2, s0
	s_addc_u32 s1, s3, s1
	s_add_u32 s0, s0, s4
	s_addc_u32 s1, s1, s5
	v_and_b32_e32 v35, 0x7f800000, v32
	s_waitcnt vmcnt(2)
	v_lshrrev_b32_e32 v0, 1, v0
	s_waitcnt vmcnt(0)
	v_add_co_u32 v1, vcc_lo, s0, v1
	v_add_co_ci_u32_e32 v34, vcc_lo, s1, v34, vcc_lo
	s_delay_alu instid0(VALU_DEP_3) | instskip(SKIP_1) | instid1(VALU_DEP_1)
	v_and_b32_e32 v0, 0x1fe, v0
	s_mov_b32 s0, exec_lo
	v_add_co_u32 v0, vcc_lo, v1, v0
	s_delay_alu instid0(VALU_DEP_3)
	v_add_co_ci_u32_e32 v1, vcc_lo, 0, v34, vcc_lo
	flat_store_d16_hi_b16 v[0:1], v33
                                        ; implicit-def: $vgpr33
	v_cmpx_ne_u32_e32 0x7f800000, v35
	s_xor_b32 s0, exec_lo, s0
; %bb.1241:
	v_bfe_u32 v33, v32, 16, 1
	s_delay_alu instid0(VALU_DEP_1)
	v_add3_u32 v33, v32, v33, 0x7fff
                                        ; implicit-def: $vgpr32
; %bb.1242:
	s_and_not1_saveexec_b32 s0, s0
; %bb.1243:
	v_and_b32_e32 v33, 0xffff, v32
	v_or_b32_e32 v34, 0x10000, v32
	s_delay_alu instid0(VALU_DEP_2) | instskip(NEXT) | instid1(VALU_DEP_2)
	v_cmp_eq_u32_e32 vcc_lo, 0, v33
	v_cndmask_b32_e32 v33, v34, v32, vcc_lo
; %bb.1244:
	s_or_b32 exec_lo, exec_lo, s0
	v_and_b32_e32 v32, 0x7f800000, v31
	flat_store_d16_hi_b16 v[0:1], v33 offset:16
	v_cmp_ne_u32_e32 vcc_lo, 0x7f800000, v32
                                        ; implicit-def: $vgpr32
	s_and_saveexec_b32 s0, vcc_lo
	s_delay_alu instid0(SALU_CYCLE_1)
	s_xor_b32 s0, exec_lo, s0
; %bb.1245:
	v_bfe_u32 v32, v31, 16, 1
	s_delay_alu instid0(VALU_DEP_1)
	v_add3_u32 v32, v31, v32, 0x7fff
                                        ; implicit-def: $vgpr31
; %bb.1246:
	s_and_not1_saveexec_b32 s0, s0
; %bb.1247:
	v_and_b32_e32 v32, 0xffff, v31
	v_or_b32_e32 v33, 0x10000, v31
	s_delay_alu instid0(VALU_DEP_2) | instskip(NEXT) | instid1(VALU_DEP_2)
	v_cmp_eq_u32_e32 vcc_lo, 0, v32
	v_cndmask_b32_e32 v32, v33, v31, vcc_lo
; %bb.1248:
	s_or_b32 exec_lo, exec_lo, s0
	v_and_b32_e32 v31, 0x7f800000, v30
	flat_store_d16_hi_b16 v[0:1], v32 offset:32
	v_cmp_ne_u32_e32 vcc_lo, 0x7f800000, v31
                                        ; implicit-def: $vgpr31
	s_and_saveexec_b32 s0, vcc_lo
	s_delay_alu instid0(SALU_CYCLE_1)
	s_xor_b32 s0, exec_lo, s0
; %bb.1249:
	v_bfe_u32 v31, v30, 16, 1
	s_delay_alu instid0(VALU_DEP_1)
	v_add3_u32 v31, v30, v31, 0x7fff
                                        ; implicit-def: $vgpr30
; %bb.1250:
	s_and_not1_saveexec_b32 s0, s0
; %bb.1251:
	v_and_b32_e32 v31, 0xffff, v30
	v_or_b32_e32 v32, 0x10000, v30
	s_delay_alu instid0(VALU_DEP_2) | instskip(NEXT) | instid1(VALU_DEP_2)
	v_cmp_eq_u32_e32 vcc_lo, 0, v31
	v_cndmask_b32_e32 v31, v32, v30, vcc_lo
; %bb.1252:
	s_or_b32 exec_lo, exec_lo, s0
	v_and_b32_e32 v30, 0x7f800000, v29
	flat_store_d16_hi_b16 v[0:1], v31 offset:48
	v_cmp_ne_u32_e32 vcc_lo, 0x7f800000, v30
                                        ; implicit-def: $vgpr30
	s_and_saveexec_b32 s0, vcc_lo
	s_delay_alu instid0(SALU_CYCLE_1)
	s_xor_b32 s0, exec_lo, s0
; %bb.1253:
	v_bfe_u32 v30, v29, 16, 1
	s_delay_alu instid0(VALU_DEP_1)
	v_add3_u32 v30, v29, v30, 0x7fff
                                        ; implicit-def: $vgpr29
; %bb.1254:
	s_and_not1_saveexec_b32 s0, s0
; %bb.1255:
	v_and_b32_e32 v30, 0xffff, v29
	v_or_b32_e32 v31, 0x10000, v29
	s_delay_alu instid0(VALU_DEP_2) | instskip(NEXT) | instid1(VALU_DEP_2)
	v_cmp_eq_u32_e32 vcc_lo, 0, v30
	v_cndmask_b32_e32 v30, v31, v29, vcc_lo
; %bb.1256:
	s_or_b32 exec_lo, exec_lo, s0
	v_and_b32_e32 v29, 0x7f800000, v28
	flat_store_d16_hi_b16 v[0:1], v30 offset:64
	v_cmp_ne_u32_e32 vcc_lo, 0x7f800000, v29
                                        ; implicit-def: $vgpr29
	s_and_saveexec_b32 s0, vcc_lo
	s_delay_alu instid0(SALU_CYCLE_1)
	s_xor_b32 s0, exec_lo, s0
; %bb.1257:
	v_bfe_u32 v29, v28, 16, 1
	s_delay_alu instid0(VALU_DEP_1)
	v_add3_u32 v29, v28, v29, 0x7fff
                                        ; implicit-def: $vgpr28
; %bb.1258:
	s_and_not1_saveexec_b32 s0, s0
; %bb.1259:
	v_and_b32_e32 v29, 0xffff, v28
	v_or_b32_e32 v30, 0x10000, v28
	s_delay_alu instid0(VALU_DEP_2) | instskip(NEXT) | instid1(VALU_DEP_2)
	v_cmp_eq_u32_e32 vcc_lo, 0, v29
	v_cndmask_b32_e32 v29, v30, v28, vcc_lo
; %bb.1260:
	s_or_b32 exec_lo, exec_lo, s0
	v_and_b32_e32 v28, 0x7f800000, v27
	flat_store_d16_hi_b16 v[0:1], v29 offset:80
	v_cmp_ne_u32_e32 vcc_lo, 0x7f800000, v28
                                        ; implicit-def: $vgpr28
	s_and_saveexec_b32 s0, vcc_lo
	s_delay_alu instid0(SALU_CYCLE_1)
	s_xor_b32 s0, exec_lo, s0
; %bb.1261:
	v_bfe_u32 v28, v27, 16, 1
	s_delay_alu instid0(VALU_DEP_1)
	v_add3_u32 v28, v27, v28, 0x7fff
                                        ; implicit-def: $vgpr27
; %bb.1262:
	s_and_not1_saveexec_b32 s0, s0
; %bb.1263:
	v_and_b32_e32 v28, 0xffff, v27
	v_or_b32_e32 v29, 0x10000, v27
	s_delay_alu instid0(VALU_DEP_2) | instskip(NEXT) | instid1(VALU_DEP_2)
	v_cmp_eq_u32_e32 vcc_lo, 0, v28
	v_cndmask_b32_e32 v28, v29, v27, vcc_lo
; %bb.1264:
	s_or_b32 exec_lo, exec_lo, s0
	v_and_b32_e32 v27, 0x7f800000, v26
	flat_store_d16_hi_b16 v[0:1], v28 offset:96
	v_cmp_ne_u32_e32 vcc_lo, 0x7f800000, v27
                                        ; implicit-def: $vgpr27
	s_and_saveexec_b32 s0, vcc_lo
	s_delay_alu instid0(SALU_CYCLE_1)
	s_xor_b32 s0, exec_lo, s0
; %bb.1265:
	v_bfe_u32 v27, v26, 16, 1
	s_delay_alu instid0(VALU_DEP_1)
	v_add3_u32 v27, v26, v27, 0x7fff
                                        ; implicit-def: $vgpr26
; %bb.1266:
	s_and_not1_saveexec_b32 s0, s0
; %bb.1267:
	v_and_b32_e32 v27, 0xffff, v26
	v_or_b32_e32 v28, 0x10000, v26
	s_delay_alu instid0(VALU_DEP_2) | instskip(NEXT) | instid1(VALU_DEP_2)
	v_cmp_eq_u32_e32 vcc_lo, 0, v27
	v_cndmask_b32_e32 v27, v28, v26, vcc_lo
; %bb.1268:
	s_or_b32 exec_lo, exec_lo, s0
	v_and_b32_e32 v26, 0x7f800000, v25
	flat_store_d16_hi_b16 v[0:1], v27 offset:112
	v_cmp_ne_u32_e32 vcc_lo, 0x7f800000, v26
                                        ; implicit-def: $vgpr26
	s_and_saveexec_b32 s0, vcc_lo
	s_delay_alu instid0(SALU_CYCLE_1)
	s_xor_b32 s0, exec_lo, s0
; %bb.1269:
	v_bfe_u32 v26, v25, 16, 1
	s_delay_alu instid0(VALU_DEP_1)
	v_add3_u32 v26, v25, v26, 0x7fff
                                        ; implicit-def: $vgpr25
; %bb.1270:
	s_and_not1_saveexec_b32 s0, s0
; %bb.1271:
	v_and_b32_e32 v26, 0xffff, v25
	v_or_b32_e32 v27, 0x10000, v25
	s_delay_alu instid0(VALU_DEP_2) | instskip(NEXT) | instid1(VALU_DEP_2)
	v_cmp_eq_u32_e32 vcc_lo, 0, v26
	v_cndmask_b32_e32 v26, v27, v25, vcc_lo
; %bb.1272:
	s_or_b32 exec_lo, exec_lo, s0
	v_and_b32_e32 v25, 0x7f800000, v24
	flat_store_d16_hi_b16 v[0:1], v26 offset:128
	v_cmp_ne_u32_e32 vcc_lo, 0x7f800000, v25
                                        ; implicit-def: $vgpr25
	s_and_saveexec_b32 s0, vcc_lo
	s_delay_alu instid0(SALU_CYCLE_1)
	s_xor_b32 s0, exec_lo, s0
; %bb.1273:
	v_bfe_u32 v25, v24, 16, 1
	s_delay_alu instid0(VALU_DEP_1)
	v_add3_u32 v25, v24, v25, 0x7fff
                                        ; implicit-def: $vgpr24
; %bb.1274:
	s_and_not1_saveexec_b32 s0, s0
; %bb.1275:
	v_and_b32_e32 v25, 0xffff, v24
	v_or_b32_e32 v26, 0x10000, v24
	s_delay_alu instid0(VALU_DEP_2) | instskip(NEXT) | instid1(VALU_DEP_2)
	v_cmp_eq_u32_e32 vcc_lo, 0, v25
	v_cndmask_b32_e32 v25, v26, v24, vcc_lo
; %bb.1276:
	s_or_b32 exec_lo, exec_lo, s0
	v_and_b32_e32 v24, 0x7f800000, v23
	flat_store_d16_hi_b16 v[0:1], v25 offset:144
	v_cmp_ne_u32_e32 vcc_lo, 0x7f800000, v24
                                        ; implicit-def: $vgpr24
	s_and_saveexec_b32 s0, vcc_lo
	s_delay_alu instid0(SALU_CYCLE_1)
	s_xor_b32 s0, exec_lo, s0
; %bb.1277:
	v_bfe_u32 v24, v23, 16, 1
	s_delay_alu instid0(VALU_DEP_1)
	v_add3_u32 v24, v23, v24, 0x7fff
                                        ; implicit-def: $vgpr23
; %bb.1278:
	s_and_not1_saveexec_b32 s0, s0
; %bb.1279:
	v_and_b32_e32 v24, 0xffff, v23
	v_or_b32_e32 v25, 0x10000, v23
	s_delay_alu instid0(VALU_DEP_2) | instskip(NEXT) | instid1(VALU_DEP_2)
	v_cmp_eq_u32_e32 vcc_lo, 0, v24
	v_cndmask_b32_e32 v24, v25, v23, vcc_lo
; %bb.1280:
	s_or_b32 exec_lo, exec_lo, s0
	v_and_b32_e32 v23, 0x7f800000, v22
	flat_store_d16_hi_b16 v[0:1], v24 offset:160
	v_cmp_ne_u32_e32 vcc_lo, 0x7f800000, v23
                                        ; implicit-def: $vgpr23
	s_and_saveexec_b32 s0, vcc_lo
	s_delay_alu instid0(SALU_CYCLE_1)
	s_xor_b32 s0, exec_lo, s0
; %bb.1281:
	v_bfe_u32 v23, v22, 16, 1
	s_delay_alu instid0(VALU_DEP_1)
	v_add3_u32 v23, v22, v23, 0x7fff
                                        ; implicit-def: $vgpr22
; %bb.1282:
	s_and_not1_saveexec_b32 s0, s0
; %bb.1283:
	v_and_b32_e32 v23, 0xffff, v22
	v_or_b32_e32 v24, 0x10000, v22
	s_delay_alu instid0(VALU_DEP_2) | instskip(NEXT) | instid1(VALU_DEP_2)
	v_cmp_eq_u32_e32 vcc_lo, 0, v23
	v_cndmask_b32_e32 v23, v24, v22, vcc_lo
; %bb.1284:
	s_or_b32 exec_lo, exec_lo, s0
	v_and_b32_e32 v22, 0x7f800000, v21
	flat_store_d16_hi_b16 v[0:1], v23 offset:176
	v_cmp_ne_u32_e32 vcc_lo, 0x7f800000, v22
                                        ; implicit-def: $vgpr22
	s_and_saveexec_b32 s0, vcc_lo
	s_delay_alu instid0(SALU_CYCLE_1)
	s_xor_b32 s0, exec_lo, s0
; %bb.1285:
	v_bfe_u32 v22, v21, 16, 1
	s_delay_alu instid0(VALU_DEP_1)
	v_add3_u32 v22, v21, v22, 0x7fff
                                        ; implicit-def: $vgpr21
; %bb.1286:
	s_and_not1_saveexec_b32 s0, s0
; %bb.1287:
	v_and_b32_e32 v22, 0xffff, v21
	v_or_b32_e32 v23, 0x10000, v21
	s_delay_alu instid0(VALU_DEP_2) | instskip(NEXT) | instid1(VALU_DEP_2)
	v_cmp_eq_u32_e32 vcc_lo, 0, v22
	v_cndmask_b32_e32 v22, v23, v21, vcc_lo
; %bb.1288:
	s_or_b32 exec_lo, exec_lo, s0
	v_and_b32_e32 v21, 0x7f800000, v19
	flat_store_d16_hi_b16 v[0:1], v22 offset:192
	v_cmp_ne_u32_e32 vcc_lo, 0x7f800000, v21
                                        ; implicit-def: $vgpr21
	s_and_saveexec_b32 s0, vcc_lo
	s_delay_alu instid0(SALU_CYCLE_1)
	s_xor_b32 s0, exec_lo, s0
; %bb.1289:
	v_bfe_u32 v21, v19, 16, 1
	s_delay_alu instid0(VALU_DEP_1)
	v_add3_u32 v21, v19, v21, 0x7fff
                                        ; implicit-def: $vgpr19
; %bb.1290:
	s_and_not1_saveexec_b32 s0, s0
; %bb.1291:
	v_and_b32_e32 v21, 0xffff, v19
	v_or_b32_e32 v22, 0x10000, v19
	s_delay_alu instid0(VALU_DEP_2) | instskip(NEXT) | instid1(VALU_DEP_2)
	v_cmp_eq_u32_e32 vcc_lo, 0, v21
	v_cndmask_b32_e32 v21, v22, v19, vcc_lo
; %bb.1292:
	s_or_b32 exec_lo, exec_lo, s0
	v_and_b32_e32 v19, 0x7f800000, v17
	flat_store_d16_hi_b16 v[0:1], v21 offset:208
	v_cmp_ne_u32_e32 vcc_lo, 0x7f800000, v19
                                        ; implicit-def: $vgpr19
	s_and_saveexec_b32 s0, vcc_lo
	s_delay_alu instid0(SALU_CYCLE_1)
	s_xor_b32 s0, exec_lo, s0
; %bb.1293:
	v_bfe_u32 v19, v17, 16, 1
	s_delay_alu instid0(VALU_DEP_1)
	v_add3_u32 v19, v17, v19, 0x7fff
                                        ; implicit-def: $vgpr17
; %bb.1294:
	s_and_not1_saveexec_b32 s0, s0
; %bb.1295:
	v_and_b32_e32 v19, 0xffff, v17
	v_or_b32_e32 v21, 0x10000, v17
	s_delay_alu instid0(VALU_DEP_2) | instskip(NEXT) | instid1(VALU_DEP_2)
	v_cmp_eq_u32_e32 vcc_lo, 0, v19
	v_cndmask_b32_e32 v19, v21, v17, vcc_lo
; %bb.1296:
	s_or_b32 exec_lo, exec_lo, s0
	v_and_b32_e32 v17, 0x7f800000, v20
	flat_store_d16_hi_b16 v[0:1], v19 offset:224
	v_cmp_ne_u32_e32 vcc_lo, 0x7f800000, v17
                                        ; implicit-def: $vgpr17
	s_and_saveexec_b32 s0, vcc_lo
	s_delay_alu instid0(SALU_CYCLE_1)
	s_xor_b32 s0, exec_lo, s0
; %bb.1297:
	v_bfe_u32 v17, v20, 16, 1
	s_delay_alu instid0(VALU_DEP_1)
	v_add3_u32 v17, v20, v17, 0x7fff
                                        ; implicit-def: $vgpr20
; %bb.1298:
	s_and_not1_saveexec_b32 s0, s0
; %bb.1299:
	v_and_b32_e32 v17, 0xffff, v20
	v_or_b32_e32 v19, 0x10000, v20
	s_delay_alu instid0(VALU_DEP_2) | instskip(NEXT) | instid1(VALU_DEP_2)
	v_cmp_eq_u32_e32 vcc_lo, 0, v17
	v_cndmask_b32_e32 v17, v19, v20, vcc_lo
; %bb.1300:
	s_or_b32 exec_lo, exec_lo, s0
	v_and_b32_e32 v19, 0x7f800000, v18
	s_mov_b32 s0, exec_lo
	flat_store_d16_hi_b16 v[0:1], v17 offset:240
                                        ; implicit-def: $vgpr17
	v_cmpx_ne_u32_e32 0x7f800000, v19
	s_xor_b32 s0, exec_lo, s0
; %bb.1301:
	v_bfe_u32 v17, v18, 16, 1
	s_delay_alu instid0(VALU_DEP_1)
	v_add3_u32 v17, v18, v17, 0x7fff
                                        ; implicit-def: $vgpr18
; %bb.1302:
	s_and_not1_saveexec_b32 s0, s0
; %bb.1303:
	v_and_b32_e32 v17, 0xffff, v18
	v_or_b32_e32 v19, 0x10000, v18
	s_delay_alu instid0(VALU_DEP_2) | instskip(NEXT) | instid1(VALU_DEP_2)
	v_cmp_eq_u32_e32 vcc_lo, 0, v17
	v_cndmask_b32_e32 v17, v19, v18, vcc_lo
; %bb.1304:
	s_or_b32 exec_lo, exec_lo, s0
	v_and_b32_e32 v18, 0x7f800000, v16
	s_mov_b32 s0, exec_lo
	flat_store_d16_hi_b16 v[0:1], v17 offset:256
                                        ; implicit-def: $vgpr17
	v_cmpx_ne_u32_e32 0x7f800000, v18
	s_xor_b32 s0, exec_lo, s0
; %bb.1305:
	v_bfe_u32 v17, v16, 16, 1
	s_delay_alu instid0(VALU_DEP_1)
	v_add3_u32 v17, v16, v17, 0x7fff
                                        ; implicit-def: $vgpr16
; %bb.1306:
	s_and_not1_saveexec_b32 s0, s0
; %bb.1307:
	v_and_b32_e32 v17, 0xffff, v16
	v_or_b32_e32 v18, 0x10000, v16
	s_delay_alu instid0(VALU_DEP_2) | instskip(NEXT) | instid1(VALU_DEP_2)
	v_cmp_eq_u32_e32 vcc_lo, 0, v17
	v_cndmask_b32_e32 v17, v18, v16, vcc_lo
; %bb.1308:
	s_or_b32 exec_lo, exec_lo, s0
	v_and_b32_e32 v16, 0x7f800000, v15
	flat_store_d16_hi_b16 v[0:1], v17 offset:272
	v_cmp_ne_u32_e32 vcc_lo, 0x7f800000, v16
                                        ; implicit-def: $vgpr16
	s_and_saveexec_b32 s0, vcc_lo
	s_delay_alu instid0(SALU_CYCLE_1)
	s_xor_b32 s0, exec_lo, s0
; %bb.1309:
	v_bfe_u32 v16, v15, 16, 1
	s_delay_alu instid0(VALU_DEP_1)
	v_add3_u32 v16, v15, v16, 0x7fff
                                        ; implicit-def: $vgpr15
; %bb.1310:
	s_and_not1_saveexec_b32 s0, s0
; %bb.1311:
	v_and_b32_e32 v16, 0xffff, v15
	v_or_b32_e32 v17, 0x10000, v15
	s_delay_alu instid0(VALU_DEP_2) | instskip(NEXT) | instid1(VALU_DEP_2)
	v_cmp_eq_u32_e32 vcc_lo, 0, v16
	v_cndmask_b32_e32 v16, v17, v15, vcc_lo
; %bb.1312:
	s_or_b32 exec_lo, exec_lo, s0
	v_and_b32_e32 v15, 0x7f800000, v14
	flat_store_d16_hi_b16 v[0:1], v16 offset:288
	v_cmp_ne_u32_e32 vcc_lo, 0x7f800000, v15
                                        ; implicit-def: $vgpr15
	s_and_saveexec_b32 s0, vcc_lo
	s_delay_alu instid0(SALU_CYCLE_1)
	s_xor_b32 s0, exec_lo, s0
; %bb.1313:
	v_bfe_u32 v15, v14, 16, 1
	s_delay_alu instid0(VALU_DEP_1)
	v_add3_u32 v15, v14, v15, 0x7fff
                                        ; implicit-def: $vgpr14
; %bb.1314:
	s_and_not1_saveexec_b32 s0, s0
; %bb.1315:
	v_and_b32_e32 v15, 0xffff, v14
	v_or_b32_e32 v16, 0x10000, v14
	s_delay_alu instid0(VALU_DEP_2) | instskip(NEXT) | instid1(VALU_DEP_2)
	v_cmp_eq_u32_e32 vcc_lo, 0, v15
	v_cndmask_b32_e32 v15, v16, v14, vcc_lo
; %bb.1316:
	s_or_b32 exec_lo, exec_lo, s0
	v_and_b32_e32 v14, 0x7f800000, v13
	flat_store_d16_hi_b16 v[0:1], v15 offset:304
	v_cmp_ne_u32_e32 vcc_lo, 0x7f800000, v14
                                        ; implicit-def: $vgpr14
	s_and_saveexec_b32 s0, vcc_lo
	s_delay_alu instid0(SALU_CYCLE_1)
	s_xor_b32 s0, exec_lo, s0
; %bb.1317:
	v_bfe_u32 v14, v13, 16, 1
	s_delay_alu instid0(VALU_DEP_1)
	v_add3_u32 v14, v13, v14, 0x7fff
                                        ; implicit-def: $vgpr13
; %bb.1318:
	s_and_not1_saveexec_b32 s0, s0
; %bb.1319:
	v_and_b32_e32 v14, 0xffff, v13
	v_or_b32_e32 v15, 0x10000, v13
	s_delay_alu instid0(VALU_DEP_2) | instskip(NEXT) | instid1(VALU_DEP_2)
	v_cmp_eq_u32_e32 vcc_lo, 0, v14
	v_cndmask_b32_e32 v14, v15, v13, vcc_lo
; %bb.1320:
	s_or_b32 exec_lo, exec_lo, s0
	v_and_b32_e32 v13, 0x7f800000, v12
	flat_store_d16_hi_b16 v[0:1], v14 offset:320
	v_cmp_ne_u32_e32 vcc_lo, 0x7f800000, v13
                                        ; implicit-def: $vgpr13
	s_and_saveexec_b32 s0, vcc_lo
	s_delay_alu instid0(SALU_CYCLE_1)
	s_xor_b32 s0, exec_lo, s0
; %bb.1321:
	v_bfe_u32 v13, v12, 16, 1
	s_delay_alu instid0(VALU_DEP_1)
	v_add3_u32 v13, v12, v13, 0x7fff
                                        ; implicit-def: $vgpr12
; %bb.1322:
	s_and_not1_saveexec_b32 s0, s0
; %bb.1323:
	v_and_b32_e32 v13, 0xffff, v12
	v_or_b32_e32 v14, 0x10000, v12
	s_delay_alu instid0(VALU_DEP_2) | instskip(NEXT) | instid1(VALU_DEP_2)
	v_cmp_eq_u32_e32 vcc_lo, 0, v13
	v_cndmask_b32_e32 v13, v14, v12, vcc_lo
; %bb.1324:
	s_or_b32 exec_lo, exec_lo, s0
	v_and_b32_e32 v12, 0x7f800000, v11
	flat_store_d16_hi_b16 v[0:1], v13 offset:336
	v_cmp_ne_u32_e32 vcc_lo, 0x7f800000, v12
                                        ; implicit-def: $vgpr12
	s_and_saveexec_b32 s0, vcc_lo
	s_delay_alu instid0(SALU_CYCLE_1)
	s_xor_b32 s0, exec_lo, s0
; %bb.1325:
	v_bfe_u32 v12, v11, 16, 1
	s_delay_alu instid0(VALU_DEP_1)
	v_add3_u32 v12, v11, v12, 0x7fff
                                        ; implicit-def: $vgpr11
; %bb.1326:
	s_and_not1_saveexec_b32 s0, s0
; %bb.1327:
	v_and_b32_e32 v12, 0xffff, v11
	v_or_b32_e32 v13, 0x10000, v11
	s_delay_alu instid0(VALU_DEP_2) | instskip(NEXT) | instid1(VALU_DEP_2)
	v_cmp_eq_u32_e32 vcc_lo, 0, v12
	v_cndmask_b32_e32 v12, v13, v11, vcc_lo
; %bb.1328:
	s_or_b32 exec_lo, exec_lo, s0
	v_and_b32_e32 v11, 0x7f800000, v10
	flat_store_d16_hi_b16 v[0:1], v12 offset:352
	v_cmp_ne_u32_e32 vcc_lo, 0x7f800000, v11
                                        ; implicit-def: $vgpr11
	s_and_saveexec_b32 s0, vcc_lo
	s_delay_alu instid0(SALU_CYCLE_1)
	s_xor_b32 s0, exec_lo, s0
; %bb.1329:
	v_bfe_u32 v11, v10, 16, 1
	s_delay_alu instid0(VALU_DEP_1)
	v_add3_u32 v11, v10, v11, 0x7fff
                                        ; implicit-def: $vgpr10
; %bb.1330:
	s_and_not1_saveexec_b32 s0, s0
; %bb.1331:
	v_and_b32_e32 v11, 0xffff, v10
	v_or_b32_e32 v12, 0x10000, v10
	s_delay_alu instid0(VALU_DEP_2) | instskip(NEXT) | instid1(VALU_DEP_2)
	v_cmp_eq_u32_e32 vcc_lo, 0, v11
	v_cndmask_b32_e32 v11, v12, v10, vcc_lo
; %bb.1332:
	s_or_b32 exec_lo, exec_lo, s0
	v_and_b32_e32 v10, 0x7f800000, v9
	flat_store_d16_hi_b16 v[0:1], v11 offset:368
	v_cmp_ne_u32_e32 vcc_lo, 0x7f800000, v10
                                        ; implicit-def: $vgpr10
	s_and_saveexec_b32 s0, vcc_lo
	s_delay_alu instid0(SALU_CYCLE_1)
	s_xor_b32 s0, exec_lo, s0
; %bb.1333:
	v_bfe_u32 v10, v9, 16, 1
	s_delay_alu instid0(VALU_DEP_1)
	v_add3_u32 v10, v9, v10, 0x7fff
                                        ; implicit-def: $vgpr9
; %bb.1334:
	s_and_not1_saveexec_b32 s0, s0
; %bb.1335:
	v_and_b32_e32 v10, 0xffff, v9
	v_or_b32_e32 v11, 0x10000, v9
	s_delay_alu instid0(VALU_DEP_2) | instskip(NEXT) | instid1(VALU_DEP_2)
	v_cmp_eq_u32_e32 vcc_lo, 0, v10
	v_cndmask_b32_e32 v10, v11, v9, vcc_lo
; %bb.1336:
	s_or_b32 exec_lo, exec_lo, s0
	v_and_b32_e32 v9, 0x7f800000, v8
	flat_store_d16_hi_b16 v[0:1], v10 offset:384
	v_cmp_ne_u32_e32 vcc_lo, 0x7f800000, v9
                                        ; implicit-def: $vgpr9
	s_and_saveexec_b32 s0, vcc_lo
	s_delay_alu instid0(SALU_CYCLE_1)
	s_xor_b32 s0, exec_lo, s0
; %bb.1337:
	v_bfe_u32 v9, v8, 16, 1
	s_delay_alu instid0(VALU_DEP_1)
	v_add3_u32 v9, v8, v9, 0x7fff
                                        ; implicit-def: $vgpr8
; %bb.1338:
	s_and_not1_saveexec_b32 s0, s0
; %bb.1339:
	v_and_b32_e32 v9, 0xffff, v8
	v_or_b32_e32 v10, 0x10000, v8
	s_delay_alu instid0(VALU_DEP_2) | instskip(NEXT) | instid1(VALU_DEP_2)
	v_cmp_eq_u32_e32 vcc_lo, 0, v9
	v_cndmask_b32_e32 v9, v10, v8, vcc_lo
; %bb.1340:
	s_or_b32 exec_lo, exec_lo, s0
	v_and_b32_e32 v8, 0x7f800000, v7
	flat_store_d16_hi_b16 v[0:1], v9 offset:400
	v_cmp_ne_u32_e32 vcc_lo, 0x7f800000, v8
                                        ; implicit-def: $vgpr8
	s_and_saveexec_b32 s0, vcc_lo
	s_delay_alu instid0(SALU_CYCLE_1)
	s_xor_b32 s0, exec_lo, s0
; %bb.1341:
	v_bfe_u32 v8, v7, 16, 1
	s_delay_alu instid0(VALU_DEP_1)
	v_add3_u32 v8, v7, v8, 0x7fff
                                        ; implicit-def: $vgpr7
; %bb.1342:
	s_and_not1_saveexec_b32 s0, s0
; %bb.1343:
	v_and_b32_e32 v8, 0xffff, v7
	v_or_b32_e32 v9, 0x10000, v7
	s_delay_alu instid0(VALU_DEP_2) | instskip(NEXT) | instid1(VALU_DEP_2)
	v_cmp_eq_u32_e32 vcc_lo, 0, v8
	v_cndmask_b32_e32 v8, v9, v7, vcc_lo
; %bb.1344:
	s_or_b32 exec_lo, exec_lo, s0
	v_and_b32_e32 v7, 0x7f800000, v6
	flat_store_d16_hi_b16 v[0:1], v8 offset:416
	v_cmp_ne_u32_e32 vcc_lo, 0x7f800000, v7
                                        ; implicit-def: $vgpr7
	s_and_saveexec_b32 s0, vcc_lo
	s_delay_alu instid0(SALU_CYCLE_1)
	s_xor_b32 s0, exec_lo, s0
; %bb.1345:
	v_bfe_u32 v7, v6, 16, 1
	s_delay_alu instid0(VALU_DEP_1)
	v_add3_u32 v7, v6, v7, 0x7fff
                                        ; implicit-def: $vgpr6
; %bb.1346:
	s_and_not1_saveexec_b32 s0, s0
; %bb.1347:
	v_and_b32_e32 v7, 0xffff, v6
	v_or_b32_e32 v8, 0x10000, v6
	s_delay_alu instid0(VALU_DEP_2) | instskip(NEXT) | instid1(VALU_DEP_2)
	v_cmp_eq_u32_e32 vcc_lo, 0, v7
	v_cndmask_b32_e32 v7, v8, v6, vcc_lo
; %bb.1348:
	s_or_b32 exec_lo, exec_lo, s0
	v_and_b32_e32 v6, 0x7f800000, v5
	flat_store_d16_hi_b16 v[0:1], v7 offset:432
	v_cmp_ne_u32_e32 vcc_lo, 0x7f800000, v6
                                        ; implicit-def: $vgpr6
	s_and_saveexec_b32 s0, vcc_lo
	s_delay_alu instid0(SALU_CYCLE_1)
	s_xor_b32 s0, exec_lo, s0
; %bb.1349:
	v_bfe_u32 v6, v5, 16, 1
	s_delay_alu instid0(VALU_DEP_1)
	v_add3_u32 v6, v5, v6, 0x7fff
                                        ; implicit-def: $vgpr5
; %bb.1350:
	s_and_not1_saveexec_b32 s0, s0
; %bb.1351:
	v_and_b32_e32 v6, 0xffff, v5
	v_or_b32_e32 v7, 0x10000, v5
	s_delay_alu instid0(VALU_DEP_2) | instskip(NEXT) | instid1(VALU_DEP_2)
	v_cmp_eq_u32_e32 vcc_lo, 0, v6
	v_cndmask_b32_e32 v6, v7, v5, vcc_lo
; %bb.1352:
	s_or_b32 exec_lo, exec_lo, s0
	v_and_b32_e32 v5, 0x7f800000, v4
	flat_store_d16_hi_b16 v[0:1], v6 offset:448
	v_cmp_ne_u32_e32 vcc_lo, 0x7f800000, v5
                                        ; implicit-def: $vgpr5
	s_and_saveexec_b32 s0, vcc_lo
	s_delay_alu instid0(SALU_CYCLE_1)
	s_xor_b32 s0, exec_lo, s0
; %bb.1353:
	v_bfe_u32 v5, v4, 16, 1
	s_delay_alu instid0(VALU_DEP_1)
	v_add3_u32 v5, v4, v5, 0x7fff
                                        ; implicit-def: $vgpr4
; %bb.1354:
	s_and_not1_saveexec_b32 s0, s0
; %bb.1355:
	v_and_b32_e32 v5, 0xffff, v4
	v_or_b32_e32 v6, 0x10000, v4
	s_delay_alu instid0(VALU_DEP_2) | instskip(NEXT) | instid1(VALU_DEP_2)
	v_cmp_eq_u32_e32 vcc_lo, 0, v5
	v_cndmask_b32_e32 v5, v6, v4, vcc_lo
; %bb.1356:
	s_or_b32 exec_lo, exec_lo, s0
	v_and_b32_e32 v4, 0x7f800000, v3
	flat_store_d16_hi_b16 v[0:1], v5 offset:464
	v_cmp_ne_u32_e32 vcc_lo, 0x7f800000, v4
                                        ; implicit-def: $vgpr4
	s_and_saveexec_b32 s0, vcc_lo
	s_delay_alu instid0(SALU_CYCLE_1)
	s_xor_b32 s0, exec_lo, s0
; %bb.1357:
	v_bfe_u32 v4, v3, 16, 1
	s_delay_alu instid0(VALU_DEP_1)
	v_add3_u32 v4, v3, v4, 0x7fff
                                        ; implicit-def: $vgpr3
; %bb.1358:
	s_and_not1_saveexec_b32 s0, s0
; %bb.1359:
	v_and_b32_e32 v4, 0xffff, v3
	v_or_b32_e32 v5, 0x10000, v3
	s_delay_alu instid0(VALU_DEP_2) | instskip(NEXT) | instid1(VALU_DEP_2)
	v_cmp_eq_u32_e32 vcc_lo, 0, v4
	v_cndmask_b32_e32 v4, v5, v3, vcc_lo
; %bb.1360:
	s_or_b32 exec_lo, exec_lo, s0
	v_and_b32_e32 v3, 0x7f800000, v2
	flat_store_d16_hi_b16 v[0:1], v4 offset:480
	v_cmp_ne_u32_e32 vcc_lo, 0x7f800000, v3
                                        ; implicit-def: $vgpr3
	s_and_saveexec_b32 s0, vcc_lo
	s_delay_alu instid0(SALU_CYCLE_1)
	s_xor_b32 s0, exec_lo, s0
; %bb.1361:
	v_bfe_u32 v3, v2, 16, 1
	s_delay_alu instid0(VALU_DEP_1)
	v_add3_u32 v3, v2, v3, 0x7fff
                                        ; implicit-def: $vgpr2
; %bb.1362:
	s_and_not1_saveexec_b32 s0, s0
; %bb.1363:
	v_and_b32_e32 v3, 0xffff, v2
	v_or_b32_e32 v4, 0x10000, v2
	s_delay_alu instid0(VALU_DEP_2) | instskip(NEXT) | instid1(VALU_DEP_2)
	v_cmp_eq_u32_e32 vcc_lo, 0, v3
	v_cndmask_b32_e32 v3, v4, v2, vcc_lo
; %bb.1364:
	s_or_b32 exec_lo, exec_lo, s0
	flat_store_d16_hi_b16 v[0:1], v3 offset:496
.LBB191_1365:
	s_or_b32 exec_lo, exec_lo, s7
	s_clause 0x1f
	scratch_load_b32 v191, off, s32
	scratch_load_b32 v190, off, s32 offset:4
	scratch_load_b32 v189, off, s32 offset:8
	;; [unrolled: 1-line block ×31, first 2 shown]
	s_clause 0x1f
	scratch_load_b32 v127, off, s32 offset:128
	scratch_load_b32 v126, off, s32 offset:132
	;; [unrolled: 1-line block ×32, first 2 shown]
	s_clause 0xf
	scratch_load_b32 v63, off, s32 offset:256
	scratch_load_b32 v62, off, s32 offset:260
	;; [unrolled: 1-line block ×16, first 2 shown]
	s_waitcnt vmcnt(0) lgkmcnt(0)
	s_setpc_b64 s[30:31]
.LBB191_1366:
	v_lshl_add_u32 v34, v1, 2, v33
	ds_load_b32 v34, v34
	s_waitcnt lgkmcnt(0)
	v_add_f32_e32 v0, v34, v0
	s_or_b32 exec_lo, exec_lo, s1
	s_and_saveexec_b32 s1, vcc_lo
	s_cbranch_execz .LBB191_1165
.LBB191_1367:
	v_lshl_add_u32 v34, v1, 2, v33
	ds_load_b32 v34, v34 offset:32
	s_waitcnt lgkmcnt(0)
	v_add_f32_e32 v32, v34, v32
	s_or_b32 exec_lo, exec_lo, s1
	s_and_saveexec_b32 s1, vcc_lo
	s_cbranch_execz .LBB191_1166
.LBB191_1368:
	v_lshl_add_u32 v34, v1, 2, v33
	ds_load_b32 v34, v34 offset:64
	s_waitcnt lgkmcnt(0)
	v_add_f32_e32 v31, v34, v31
	s_or_b32 exec_lo, exec_lo, s1
	s_and_saveexec_b32 s1, vcc_lo
	s_cbranch_execz .LBB191_1167
.LBB191_1369:
	v_lshl_add_u32 v34, v1, 2, v33
	ds_load_b32 v34, v34 offset:96
	s_waitcnt lgkmcnt(0)
	v_add_f32_e32 v30, v34, v30
	s_or_b32 exec_lo, exec_lo, s1
	s_and_saveexec_b32 s1, vcc_lo
	s_cbranch_execz .LBB191_1168
.LBB191_1370:
	v_lshl_add_u32 v34, v1, 2, v33
	ds_load_b32 v34, v34 offset:128
	s_waitcnt lgkmcnt(0)
	v_add_f32_e32 v29, v34, v29
	s_or_b32 exec_lo, exec_lo, s1
	s_and_saveexec_b32 s1, vcc_lo
	s_cbranch_execz .LBB191_1169
.LBB191_1371:
	v_lshl_add_u32 v34, v1, 2, v33
	ds_load_b32 v34, v34 offset:160
	s_waitcnt lgkmcnt(0)
	v_add_f32_e32 v28, v34, v28
	s_or_b32 exec_lo, exec_lo, s1
	s_and_saveexec_b32 s1, vcc_lo
	s_cbranch_execz .LBB191_1170
.LBB191_1372:
	v_lshl_add_u32 v34, v1, 2, v33
	ds_load_b32 v34, v34 offset:192
	s_waitcnt lgkmcnt(0)
	v_add_f32_e32 v27, v34, v27
	s_or_b32 exec_lo, exec_lo, s1
	s_and_saveexec_b32 s1, vcc_lo
	s_cbranch_execz .LBB191_1171
.LBB191_1373:
	v_lshl_add_u32 v34, v1, 2, v33
	ds_load_b32 v34, v34 offset:224
	s_waitcnt lgkmcnt(0)
	v_add_f32_e32 v26, v34, v26
	s_or_b32 exec_lo, exec_lo, s1
	s_and_saveexec_b32 s1, vcc_lo
	s_cbranch_execz .LBB191_1172
.LBB191_1374:
	v_lshl_add_u32 v34, v1, 2, v33
	ds_load_b32 v34, v34 offset:256
	s_waitcnt lgkmcnt(0)
	v_add_f32_e32 v25, v34, v25
	s_or_b32 exec_lo, exec_lo, s1
	s_and_saveexec_b32 s1, vcc_lo
	s_cbranch_execz .LBB191_1173
.LBB191_1375:
	v_lshl_add_u32 v34, v1, 2, v33
	ds_load_b32 v34, v34 offset:288
	s_waitcnt lgkmcnt(0)
	v_add_f32_e32 v24, v34, v24
	s_or_b32 exec_lo, exec_lo, s1
	s_and_saveexec_b32 s1, vcc_lo
	s_cbranch_execz .LBB191_1174
.LBB191_1376:
	v_lshl_add_u32 v34, v1, 2, v33
	ds_load_b32 v34, v34 offset:320
	s_waitcnt lgkmcnt(0)
	v_add_f32_e32 v23, v34, v23
	s_or_b32 exec_lo, exec_lo, s1
	s_and_saveexec_b32 s1, vcc_lo
	s_cbranch_execz .LBB191_1175
.LBB191_1377:
	v_lshl_add_u32 v34, v1, 2, v33
	ds_load_b32 v34, v34 offset:352
	s_waitcnt lgkmcnt(0)
	v_add_f32_e32 v22, v34, v22
	s_or_b32 exec_lo, exec_lo, s1
	s_and_saveexec_b32 s1, vcc_lo
	s_cbranch_execz .LBB191_1176
.LBB191_1378:
	v_lshl_add_u32 v34, v1, 2, v33
	ds_load_b32 v34, v34 offset:384
	s_waitcnt lgkmcnt(0)
	v_add_f32_e32 v21, v34, v21
	s_or_b32 exec_lo, exec_lo, s1
	s_and_saveexec_b32 s1, vcc_lo
	s_cbranch_execz .LBB191_1177
.LBB191_1379:
	v_lshl_add_u32 v34, v1, 2, v33
	ds_load_b32 v34, v34 offset:416
	s_waitcnt lgkmcnt(0)
	v_add_f32_e32 v19, v34, v19
	s_or_b32 exec_lo, exec_lo, s1
	s_and_saveexec_b32 s1, vcc_lo
	s_cbranch_execz .LBB191_1178
.LBB191_1380:
	v_lshl_add_u32 v34, v1, 2, v33
	ds_load_b32 v34, v34 offset:448
	s_waitcnt lgkmcnt(0)
	v_add_f32_e32 v17, v34, v17
	s_or_b32 exec_lo, exec_lo, s1
	s_and_saveexec_b32 s1, vcc_lo
	s_cbranch_execz .LBB191_1179
.LBB191_1381:
	v_lshl_add_u32 v34, v1, 2, v33
	ds_load_b32 v34, v34 offset:480
	s_waitcnt lgkmcnt(0)
	v_add_f32_e32 v20, v34, v20
	s_or_b32 exec_lo, exec_lo, s1
	s_and_saveexec_b32 s1, vcc_lo
	s_cbranch_execz .LBB191_1180
.LBB191_1382:
	v_lshl_add_u32 v34, v1, 2, v33
	ds_load_b32 v34, v34 offset:512
	s_waitcnt lgkmcnt(0)
	v_add_f32_e32 v18, v34, v18
	s_or_b32 exec_lo, exec_lo, s1
	s_and_saveexec_b32 s1, vcc_lo
	s_cbranch_execz .LBB191_1181
.LBB191_1383:
	v_lshl_add_u32 v34, v1, 2, v33
	ds_load_b32 v34, v34 offset:544
	s_waitcnt lgkmcnt(0)
	v_add_f32_e32 v16, v34, v16
	s_or_b32 exec_lo, exec_lo, s1
	s_and_saveexec_b32 s1, vcc_lo
	s_cbranch_execz .LBB191_1182
.LBB191_1384:
	v_lshl_add_u32 v34, v1, 2, v33
	ds_load_b32 v34, v34 offset:576
	s_waitcnt lgkmcnt(0)
	v_add_f32_e32 v15, v34, v15
	s_or_b32 exec_lo, exec_lo, s1
	s_and_saveexec_b32 s1, vcc_lo
	s_cbranch_execz .LBB191_1183
.LBB191_1385:
	v_lshl_add_u32 v34, v1, 2, v33
	ds_load_b32 v34, v34 offset:608
	s_waitcnt lgkmcnt(0)
	v_add_f32_e32 v14, v34, v14
	s_or_b32 exec_lo, exec_lo, s1
	s_and_saveexec_b32 s1, vcc_lo
	s_cbranch_execz .LBB191_1184
.LBB191_1386:
	v_lshl_add_u32 v34, v1, 2, v33
	ds_load_b32 v34, v34 offset:640
	s_waitcnt lgkmcnt(0)
	v_add_f32_e32 v13, v34, v13
	s_or_b32 exec_lo, exec_lo, s1
	s_and_saveexec_b32 s1, vcc_lo
	s_cbranch_execz .LBB191_1185
.LBB191_1387:
	v_lshl_add_u32 v34, v1, 2, v33
	ds_load_b32 v34, v34 offset:672
	s_waitcnt lgkmcnt(0)
	v_add_f32_e32 v12, v34, v12
	s_or_b32 exec_lo, exec_lo, s1
	s_and_saveexec_b32 s1, vcc_lo
	s_cbranch_execz .LBB191_1186
.LBB191_1388:
	v_lshl_add_u32 v34, v1, 2, v33
	ds_load_b32 v34, v34 offset:704
	s_waitcnt lgkmcnt(0)
	v_add_f32_e32 v11, v34, v11
	s_or_b32 exec_lo, exec_lo, s1
	s_and_saveexec_b32 s1, vcc_lo
	s_cbranch_execz .LBB191_1187
.LBB191_1389:
	v_lshl_add_u32 v34, v1, 2, v33
	ds_load_b32 v34, v34 offset:736
	s_waitcnt lgkmcnt(0)
	v_add_f32_e32 v10, v34, v10
	s_or_b32 exec_lo, exec_lo, s1
	s_and_saveexec_b32 s1, vcc_lo
	s_cbranch_execz .LBB191_1188
.LBB191_1390:
	v_lshl_add_u32 v34, v1, 2, v33
	ds_load_b32 v34, v34 offset:768
	s_waitcnt lgkmcnt(0)
	v_add_f32_e32 v9, v34, v9
	s_or_b32 exec_lo, exec_lo, s1
	s_and_saveexec_b32 s1, vcc_lo
	s_cbranch_execz .LBB191_1189
.LBB191_1391:
	v_lshl_add_u32 v34, v1, 2, v33
	ds_load_b32 v34, v34 offset:800
	s_waitcnt lgkmcnt(0)
	v_add_f32_e32 v8, v34, v8
	s_or_b32 exec_lo, exec_lo, s1
	s_and_saveexec_b32 s1, vcc_lo
	s_cbranch_execz .LBB191_1190
.LBB191_1392:
	v_lshl_add_u32 v34, v1, 2, v33
	ds_load_b32 v34, v34 offset:832
	s_waitcnt lgkmcnt(0)
	v_add_f32_e32 v7, v34, v7
	s_or_b32 exec_lo, exec_lo, s1
	s_and_saveexec_b32 s1, vcc_lo
	s_cbranch_execz .LBB191_1191
.LBB191_1393:
	v_lshl_add_u32 v34, v1, 2, v33
	ds_load_b32 v34, v34 offset:864
	s_waitcnt lgkmcnt(0)
	v_add_f32_e32 v6, v34, v6
	s_or_b32 exec_lo, exec_lo, s1
	s_and_saveexec_b32 s1, vcc_lo
	s_cbranch_execz .LBB191_1192
.LBB191_1394:
	v_lshl_add_u32 v34, v1, 2, v33
	ds_load_b32 v34, v34 offset:896
	s_waitcnt lgkmcnt(0)
	v_add_f32_e32 v5, v34, v5
	s_or_b32 exec_lo, exec_lo, s1
	s_and_saveexec_b32 s1, vcc_lo
	s_cbranch_execz .LBB191_1193
.LBB191_1395:
	v_lshl_add_u32 v34, v1, 2, v33
	ds_load_b32 v34, v34 offset:928
	s_waitcnt lgkmcnt(0)
	v_add_f32_e32 v4, v34, v4
	s_or_b32 exec_lo, exec_lo, s1
	s_and_saveexec_b32 s1, vcc_lo
	s_cbranch_execz .LBB191_1194
.LBB191_1396:
	v_lshl_add_u32 v34, v1, 2, v33
	ds_load_b32 v34, v34 offset:960
	s_waitcnt lgkmcnt(0)
	v_add_f32_e32 v3, v34, v3
	s_or_b32 exec_lo, exec_lo, s1
	s_and_saveexec_b32 s1, vcc_lo
	s_cbranch_execnz .LBB191_1195
	s_branch .LBB191_1196
.LBB191_1397:
	ds_load_b32 v33, v1
	s_waitcnt lgkmcnt(0)
	v_add_f32_e32 v0, v33, v0
	s_or_b32 exec_lo, exec_lo, s2
	s_and_saveexec_b32 s2, vcc_lo
	s_cbranch_execz .LBB191_1202
.LBB191_1398:
	ds_load_b32 v33, v1 offset:32
	s_waitcnt lgkmcnt(0)
	v_add_f32_e32 v32, v33, v32
	s_or_b32 exec_lo, exec_lo, s2
	s_and_saveexec_b32 s2, vcc_lo
	s_cbranch_execz .LBB191_1203
.LBB191_1399:
	ds_load_b32 v33, v1 offset:64
	s_waitcnt lgkmcnt(0)
	v_add_f32_e32 v31, v33, v31
	s_or_b32 exec_lo, exec_lo, s2
	s_and_saveexec_b32 s2, vcc_lo
	s_cbranch_execz .LBB191_1204
.LBB191_1400:
	ds_load_b32 v33, v1 offset:96
	s_waitcnt lgkmcnt(0)
	v_add_f32_e32 v30, v33, v30
	s_or_b32 exec_lo, exec_lo, s2
	s_and_saveexec_b32 s2, vcc_lo
	s_cbranch_execz .LBB191_1205
.LBB191_1401:
	ds_load_b32 v33, v1 offset:128
	s_waitcnt lgkmcnt(0)
	v_add_f32_e32 v29, v33, v29
	s_or_b32 exec_lo, exec_lo, s2
	s_and_saveexec_b32 s2, vcc_lo
	s_cbranch_execz .LBB191_1206
.LBB191_1402:
	ds_load_b32 v33, v1 offset:160
	s_waitcnt lgkmcnt(0)
	v_add_f32_e32 v28, v33, v28
	s_or_b32 exec_lo, exec_lo, s2
	s_and_saveexec_b32 s2, vcc_lo
	s_cbranch_execz .LBB191_1207
.LBB191_1403:
	ds_load_b32 v33, v1 offset:192
	s_waitcnt lgkmcnt(0)
	v_add_f32_e32 v27, v33, v27
	s_or_b32 exec_lo, exec_lo, s2
	s_and_saveexec_b32 s2, vcc_lo
	s_cbranch_execz .LBB191_1208
.LBB191_1404:
	ds_load_b32 v33, v1 offset:224
	s_waitcnt lgkmcnt(0)
	v_add_f32_e32 v26, v33, v26
	s_or_b32 exec_lo, exec_lo, s2
	s_and_saveexec_b32 s2, vcc_lo
	s_cbranch_execz .LBB191_1209
.LBB191_1405:
	ds_load_b32 v33, v1 offset:256
	s_waitcnt lgkmcnt(0)
	v_add_f32_e32 v25, v33, v25
	s_or_b32 exec_lo, exec_lo, s2
	s_and_saveexec_b32 s2, vcc_lo
	s_cbranch_execz .LBB191_1210
.LBB191_1406:
	ds_load_b32 v33, v1 offset:288
	s_waitcnt lgkmcnt(0)
	v_add_f32_e32 v24, v33, v24
	s_or_b32 exec_lo, exec_lo, s2
	s_and_saveexec_b32 s2, vcc_lo
	s_cbranch_execz .LBB191_1211
.LBB191_1407:
	ds_load_b32 v33, v1 offset:320
	s_waitcnt lgkmcnt(0)
	v_add_f32_e32 v23, v33, v23
	s_or_b32 exec_lo, exec_lo, s2
	s_and_saveexec_b32 s2, vcc_lo
	s_cbranch_execz .LBB191_1212
.LBB191_1408:
	ds_load_b32 v33, v1 offset:352
	s_waitcnt lgkmcnt(0)
	v_add_f32_e32 v22, v33, v22
	s_or_b32 exec_lo, exec_lo, s2
	s_and_saveexec_b32 s2, vcc_lo
	s_cbranch_execz .LBB191_1213
.LBB191_1409:
	ds_load_b32 v33, v1 offset:384
	s_waitcnt lgkmcnt(0)
	v_add_f32_e32 v21, v33, v21
	s_or_b32 exec_lo, exec_lo, s2
	s_and_saveexec_b32 s2, vcc_lo
	s_cbranch_execz .LBB191_1214
.LBB191_1410:
	ds_load_b32 v33, v1 offset:416
	s_waitcnt lgkmcnt(0)
	v_add_f32_e32 v19, v33, v19
	s_or_b32 exec_lo, exec_lo, s2
	s_and_saveexec_b32 s2, vcc_lo
	s_cbranch_execz .LBB191_1215
.LBB191_1411:
	ds_load_b32 v33, v1 offset:448
	s_waitcnt lgkmcnt(0)
	v_add_f32_e32 v17, v33, v17
	s_or_b32 exec_lo, exec_lo, s2
	s_and_saveexec_b32 s2, vcc_lo
	s_cbranch_execz .LBB191_1216
.LBB191_1412:
	ds_load_b32 v33, v1 offset:480
	s_waitcnt lgkmcnt(0)
	v_add_f32_e32 v20, v33, v20
	s_or_b32 exec_lo, exec_lo, s2
	s_and_saveexec_b32 s2, vcc_lo
	s_cbranch_execz .LBB191_1217
.LBB191_1413:
	ds_load_b32 v33, v1 offset:512
	s_waitcnt lgkmcnt(0)
	v_add_f32_e32 v18, v33, v18
	s_or_b32 exec_lo, exec_lo, s2
	s_and_saveexec_b32 s2, vcc_lo
	s_cbranch_execz .LBB191_1218
.LBB191_1414:
	ds_load_b32 v33, v1 offset:544
	s_waitcnt lgkmcnt(0)
	v_add_f32_e32 v16, v33, v16
	s_or_b32 exec_lo, exec_lo, s2
	s_and_saveexec_b32 s2, vcc_lo
	s_cbranch_execz .LBB191_1219
.LBB191_1415:
	ds_load_b32 v33, v1 offset:576
	s_waitcnt lgkmcnt(0)
	v_add_f32_e32 v15, v33, v15
	s_or_b32 exec_lo, exec_lo, s2
	s_and_saveexec_b32 s2, vcc_lo
	s_cbranch_execz .LBB191_1220
.LBB191_1416:
	ds_load_b32 v33, v1 offset:608
	s_waitcnt lgkmcnt(0)
	v_add_f32_e32 v14, v33, v14
	s_or_b32 exec_lo, exec_lo, s2
	s_and_saveexec_b32 s2, vcc_lo
	s_cbranch_execz .LBB191_1221
.LBB191_1417:
	ds_load_b32 v33, v1 offset:640
	s_waitcnt lgkmcnt(0)
	v_add_f32_e32 v13, v33, v13
	s_or_b32 exec_lo, exec_lo, s2
	s_and_saveexec_b32 s2, vcc_lo
	s_cbranch_execz .LBB191_1222
.LBB191_1418:
	ds_load_b32 v33, v1 offset:672
	s_waitcnt lgkmcnt(0)
	v_add_f32_e32 v12, v33, v12
	s_or_b32 exec_lo, exec_lo, s2
	s_and_saveexec_b32 s2, vcc_lo
	s_cbranch_execz .LBB191_1223
.LBB191_1419:
	ds_load_b32 v33, v1 offset:704
	s_waitcnt lgkmcnt(0)
	v_add_f32_e32 v11, v33, v11
	s_or_b32 exec_lo, exec_lo, s2
	s_and_saveexec_b32 s2, vcc_lo
	s_cbranch_execz .LBB191_1224
.LBB191_1420:
	ds_load_b32 v33, v1 offset:736
	s_waitcnt lgkmcnt(0)
	v_add_f32_e32 v10, v33, v10
	s_or_b32 exec_lo, exec_lo, s2
	s_and_saveexec_b32 s2, vcc_lo
	s_cbranch_execz .LBB191_1225
.LBB191_1421:
	ds_load_b32 v33, v1 offset:768
	s_waitcnt lgkmcnt(0)
	v_add_f32_e32 v9, v33, v9
	s_or_b32 exec_lo, exec_lo, s2
	s_and_saveexec_b32 s2, vcc_lo
	s_cbranch_execz .LBB191_1226
.LBB191_1422:
	ds_load_b32 v33, v1 offset:800
	s_waitcnt lgkmcnt(0)
	v_add_f32_e32 v8, v33, v8
	s_or_b32 exec_lo, exec_lo, s2
	s_and_saveexec_b32 s2, vcc_lo
	s_cbranch_execz .LBB191_1227
.LBB191_1423:
	ds_load_b32 v33, v1 offset:832
	s_waitcnt lgkmcnt(0)
	v_add_f32_e32 v7, v33, v7
	s_or_b32 exec_lo, exec_lo, s2
	s_and_saveexec_b32 s2, vcc_lo
	s_cbranch_execz .LBB191_1228
.LBB191_1424:
	ds_load_b32 v33, v1 offset:864
	s_waitcnt lgkmcnt(0)
	v_add_f32_e32 v6, v33, v6
	s_or_b32 exec_lo, exec_lo, s2
	s_and_saveexec_b32 s2, vcc_lo
	s_cbranch_execz .LBB191_1229
.LBB191_1425:
	ds_load_b32 v33, v1 offset:896
	s_waitcnt lgkmcnt(0)
	v_add_f32_e32 v5, v33, v5
	s_or_b32 exec_lo, exec_lo, s2
	s_and_saveexec_b32 s2, vcc_lo
	s_cbranch_execz .LBB191_1230
.LBB191_1426:
	ds_load_b32 v33, v1 offset:928
	s_waitcnt lgkmcnt(0)
	v_add_f32_e32 v4, v33, v4
	s_or_b32 exec_lo, exec_lo, s2
	s_and_saveexec_b32 s2, vcc_lo
	s_cbranch_execz .LBB191_1231
.LBB191_1427:
	ds_load_b32 v33, v1 offset:960
	s_waitcnt lgkmcnt(0)
	v_add_f32_e32 v3, v33, v3
	s_or_b32 exec_lo, exec_lo, s2
	s_and_saveexec_b32 s2, vcc_lo
	s_cbranch_execnz .LBB191_1232
	s_branch .LBB191_1233
.Lfunc_end191:
	.size	_ZN4vllm22paged_attention_kernelI14__hip_bfloat16S1_Li256ELi32ELi128ELNS_18Fp8KVCacheDataTypeE0ELb1ELi512EEEvPfS3_PT_PKS4_PKT0_SA_ifPKiSC_iPKfiiiSE_SE_iiiii, .Lfunc_end191-_ZN4vllm22paged_attention_kernelI14__hip_bfloat16S1_Li256ELi32ELi128ELNS_18Fp8KVCacheDataTypeE0ELb1ELi512EEEvPfS3_PT_PKS4_PKT0_SA_ifPKiSC_iPKfiiiSE_SE_iiiii
                                        ; -- End function
	.section	.AMDGPU.csdata,"",@progbits
; Function info:
; codeLenInByte = 67832
; NumSgprs: 35
; NumVgprs: 192
; ScratchSize: 1072
; MemoryBound: 0
	.section	.text._ZN4vllm25paged_attention_v2_kernelI14__hip_bfloat16S1_Li256ELi32ELi128ELNS_18Fp8KVCacheDataTypeE0ELb1ELi512EEEvPfS3_PT_PKS4_PKT0_SA_ifPKiSC_iPKfiiiSE_SE_iiiii,"axG",@progbits,_ZN4vllm25paged_attention_v2_kernelI14__hip_bfloat16S1_Li256ELi32ELi128ELNS_18Fp8KVCacheDataTypeE0ELb1ELi512EEEvPfS3_PT_PKS4_PKT0_SA_ifPKiSC_iPKfiiiSE_SE_iiiii,comdat
	.protected	_ZN4vllm25paged_attention_v2_kernelI14__hip_bfloat16S1_Li256ELi32ELi128ELNS_18Fp8KVCacheDataTypeE0ELb1ELi512EEEvPfS3_PT_PKS4_PKT0_SA_ifPKiSC_iPKfiiiSE_SE_iiiii ; -- Begin function _ZN4vllm25paged_attention_v2_kernelI14__hip_bfloat16S1_Li256ELi32ELi128ELNS_18Fp8KVCacheDataTypeE0ELb1ELi512EEEvPfS3_PT_PKS4_PKT0_SA_ifPKiSC_iPKfiiiSE_SE_iiiii
	.globl	_ZN4vllm25paged_attention_v2_kernelI14__hip_bfloat16S1_Li256ELi32ELi128ELNS_18Fp8KVCacheDataTypeE0ELb1ELi512EEEvPfS3_PT_PKS4_PKT0_SA_ifPKiSC_iPKfiiiSE_SE_iiiii
	.p2align	8
	.type	_ZN4vllm25paged_attention_v2_kernelI14__hip_bfloat16S1_Li256ELi32ELi128ELNS_18Fp8KVCacheDataTypeE0ELb1ELi512EEEvPfS3_PT_PKS4_PKT0_SA_ifPKiSC_iPKfiiiSE_SE_iiiii,@function
_ZN4vllm25paged_attention_v2_kernelI14__hip_bfloat16S1_Li256ELi32ELi128ELNS_18Fp8KVCacheDataTypeE0ELb1ELi512EEEvPfS3_PT_PKS4_PKT0_SA_ifPKiSC_iPKfiiiSE_SE_iiiii: ; @_ZN4vllm25paged_attention_v2_kernelI14__hip_bfloat16S1_Li256ELi32ELi128ELNS_18Fp8KVCacheDataTypeE0ELb1ELi512EEEvPfS3_PT_PKS4_PKT0_SA_ifPKiSC_iPKfiiiSE_SE_iiiii
; %bb.0:
	s_mov_b32 s12, s13
	s_clause 0x7
	s_load_b256 s[24:31], s[0:1], 0x0
	s_load_b256 s[16:23], s[0:1], 0x20
	s_load_b64 s[2:3], s[0:1], 0x40
	s_load_b64 s[10:11], s[0:1], 0x50
	s_load_b32 s13, s[0:1], 0x48
	s_load_b32 s33, s[0:1], 0x88
	s_load_b128 s[36:39], s[0:1], 0x58
	s_load_b128 s[4:7], s[0:1], 0x78
	v_mov_b32_e32 v31, v0
	s_add_u32 s8, s0, 0x90
	s_addc_u32 s9, s1, 0
	s_mov_b32 s32, 0
	s_getpc_b64 s[0:1]
	s_add_u32 s0, s0, _ZN4vllm22paged_attention_kernelI14__hip_bfloat16S1_Li256ELi32ELi128ELNS_18Fp8KVCacheDataTypeE0ELb1ELi512EEEvPfS3_PT_PKS4_PKT0_SA_ifPKiSC_iPKfiiiSE_SE_iiiii@rel32@lo+4
	s_addc_u32 s1, s1, _ZN4vllm22paged_attention_kernelI14__hip_bfloat16S1_Li256ELi32ELi128ELNS_18Fp8KVCacheDataTypeE0ELb1ELi512EEEvPfS3_PT_PKS4_PKT0_SA_ifPKiSC_iPKfiiiSE_SE_iiiii@rel32@hi+12
	s_waitcnt lgkmcnt(0)
	v_dual_mov_b32 v0, s24 :: v_dual_mov_b32 v1, s25
	v_dual_mov_b32 v2, s26 :: v_dual_mov_b32 v3, s27
	;; [unrolled: 1-line block ×14, first 2 shown]
	v_mov_b32_e32 v28, s33
	s_mov_b32 s13, s14
	s_mov_b32 s14, s15
	;; [unrolled: 1-line block ×3, first 2 shown]
	s_swappc_b64 s[30:31], s[0:1]
	s_endpgm
	.section	.rodata,"a",@progbits
	.p2align	6, 0x0
	.amdhsa_kernel _ZN4vllm25paged_attention_v2_kernelI14__hip_bfloat16S1_Li256ELi32ELi128ELNS_18Fp8KVCacheDataTypeE0ELb1ELi512EEEvPfS3_PT_PKS4_PKT0_SA_ifPKiSC_iPKfiiiSE_SE_iiiii
		.amdhsa_group_segment_fixed_size 544
		.amdhsa_private_segment_fixed_size 1072
		.amdhsa_kernarg_size 400
		.amdhsa_user_sgpr_count 13
		.amdhsa_user_sgpr_dispatch_ptr 0
		.amdhsa_user_sgpr_queue_ptr 0
		.amdhsa_user_sgpr_kernarg_segment_ptr 1
		.amdhsa_user_sgpr_dispatch_id 0
		.amdhsa_user_sgpr_private_segment_size 0
		.amdhsa_wavefront_size32 1
		.amdhsa_uses_dynamic_stack 0
		.amdhsa_enable_private_segment 1
		.amdhsa_system_sgpr_workgroup_id_x 1
		.amdhsa_system_sgpr_workgroup_id_y 1
		.amdhsa_system_sgpr_workgroup_id_z 1
		.amdhsa_system_sgpr_workgroup_info 0
		.amdhsa_system_vgpr_workitem_id 0
		.amdhsa_next_free_vgpr 192
		.amdhsa_next_free_sgpr 40
		.amdhsa_reserve_vcc 1
		.amdhsa_float_round_mode_32 0
		.amdhsa_float_round_mode_16_64 0
		.amdhsa_float_denorm_mode_32 3
		.amdhsa_float_denorm_mode_16_64 3
		.amdhsa_dx10_clamp 1
		.amdhsa_ieee_mode 1
		.amdhsa_fp16_overflow 0
		.amdhsa_workgroup_processor_mode 1
		.amdhsa_memory_ordered 1
		.amdhsa_forward_progress 0
		.amdhsa_shared_vgpr_count 0
		.amdhsa_exception_fp_ieee_invalid_op 0
		.amdhsa_exception_fp_denorm_src 0
		.amdhsa_exception_fp_ieee_div_zero 0
		.amdhsa_exception_fp_ieee_overflow 0
		.amdhsa_exception_fp_ieee_underflow 0
		.amdhsa_exception_fp_ieee_inexact 0
		.amdhsa_exception_int_div_zero 0
	.end_amdhsa_kernel
	.section	.text._ZN4vllm25paged_attention_v2_kernelI14__hip_bfloat16S1_Li256ELi32ELi128ELNS_18Fp8KVCacheDataTypeE0ELb1ELi512EEEvPfS3_PT_PKS4_PKT0_SA_ifPKiSC_iPKfiiiSE_SE_iiiii,"axG",@progbits,_ZN4vllm25paged_attention_v2_kernelI14__hip_bfloat16S1_Li256ELi32ELi128ELNS_18Fp8KVCacheDataTypeE0ELb1ELi512EEEvPfS3_PT_PKS4_PKT0_SA_ifPKiSC_iPKfiiiSE_SE_iiiii,comdat
.Lfunc_end192:
	.size	_ZN4vllm25paged_attention_v2_kernelI14__hip_bfloat16S1_Li256ELi32ELi128ELNS_18Fp8KVCacheDataTypeE0ELb1ELi512EEEvPfS3_PT_PKS4_PKT0_SA_ifPKiSC_iPKfiiiSE_SE_iiiii, .Lfunc_end192-_ZN4vllm25paged_attention_v2_kernelI14__hip_bfloat16S1_Li256ELi32ELi128ELNS_18Fp8KVCacheDataTypeE0ELb1ELi512EEEvPfS3_PT_PKS4_PKT0_SA_ifPKiSC_iPKfiiiSE_SE_iiiii
                                        ; -- End function
	.section	.AMDGPU.csdata,"",@progbits
; Kernel info:
; codeLenInByte = 252
; NumSgprs: 42
; NumVgprs: 192
; ScratchSize: 1072
; MemoryBound: 0
; FloatMode: 240
; IeeeMode: 1
; LDSByteSize: 544 bytes/workgroup (compile time only)
; SGPRBlocks: 5
; VGPRBlocks: 23
; NumSGPRsForWavesPerEU: 42
; NumVGPRsForWavesPerEU: 192
; Occupancy: 8
; WaveLimiterHint : 1
; COMPUTE_PGM_RSRC2:SCRATCH_EN: 1
; COMPUTE_PGM_RSRC2:USER_SGPR: 13
; COMPUTE_PGM_RSRC2:TRAP_HANDLER: 0
; COMPUTE_PGM_RSRC2:TGID_X_EN: 1
; COMPUTE_PGM_RSRC2:TGID_Y_EN: 1
; COMPUTE_PGM_RSRC2:TGID_Z_EN: 1
; COMPUTE_PGM_RSRC2:TIDIG_COMP_CNT: 0
	.section	.text._ZN4vllm25paged_attention_v2_kernelI14__hip_bfloat16S1_Li32ELi32ELi128ELNS_18Fp8KVCacheDataTypeE0ELb0ELi512EEEvPfS3_PT_PKS4_PKT0_SA_ifPKiSC_iPKfiiiSE_SE_iiiii,"axG",@progbits,_ZN4vllm25paged_attention_v2_kernelI14__hip_bfloat16S1_Li32ELi32ELi128ELNS_18Fp8KVCacheDataTypeE0ELb0ELi512EEEvPfS3_PT_PKS4_PKT0_SA_ifPKiSC_iPKfiiiSE_SE_iiiii,comdat
	.protected	_ZN4vllm25paged_attention_v2_kernelI14__hip_bfloat16S1_Li32ELi32ELi128ELNS_18Fp8KVCacheDataTypeE0ELb0ELi512EEEvPfS3_PT_PKS4_PKT0_SA_ifPKiSC_iPKfiiiSE_SE_iiiii ; -- Begin function _ZN4vllm25paged_attention_v2_kernelI14__hip_bfloat16S1_Li32ELi32ELi128ELNS_18Fp8KVCacheDataTypeE0ELb0ELi512EEEvPfS3_PT_PKS4_PKT0_SA_ifPKiSC_iPKfiiiSE_SE_iiiii
	.globl	_ZN4vllm25paged_attention_v2_kernelI14__hip_bfloat16S1_Li32ELi32ELi128ELNS_18Fp8KVCacheDataTypeE0ELb0ELi512EEEvPfS3_PT_PKS4_PKT0_SA_ifPKiSC_iPKfiiiSE_SE_iiiii
	.p2align	8
	.type	_ZN4vllm25paged_attention_v2_kernelI14__hip_bfloat16S1_Li32ELi32ELi128ELNS_18Fp8KVCacheDataTypeE0ELb0ELi512EEEvPfS3_PT_PKS4_PKT0_SA_ifPKiSC_iPKfiiiSE_SE_iiiii,@function
_ZN4vllm25paged_attention_v2_kernelI14__hip_bfloat16S1_Li32ELi32ELi128ELNS_18Fp8KVCacheDataTypeE0ELb0ELi512EEEvPfS3_PT_PKS4_PKT0_SA_ifPKiSC_iPKfiiiSE_SE_iiiii: ; @_ZN4vllm25paged_attention_v2_kernelI14__hip_bfloat16S1_Li32ELi32ELi128ELNS_18Fp8KVCacheDataTypeE0ELb0ELi512EEEvPfS3_PT_PKS4_PKT0_SA_ifPKiSC_iPKfiiiSE_SE_iiiii
; %bb.0:
	s_load_b64 s[2:3], s[0:1], 0x40
	s_mov_b32 s12, s15
	s_ashr_i32 s15, s14, 31
	s_delay_alu instid0(SALU_CYCLE_1)
	s_lshl_b64 s[4:5], s[14:15], 2
	s_waitcnt lgkmcnt(0)
	s_add_u32 s2, s2, s4
	s_addc_u32 s3, s3, s5
	s_lshl_b32 s29, s12, 9
	s_load_b32 s28, s[2:3], 0x0
	s_waitcnt lgkmcnt(0)
	s_cmp_ge_i32 s29, s28
	s_cbranch_scc1 .LBB193_235
; %bb.1:
	s_clause 0x1
	s_load_b32 s15, s[0:1], 0x90
	s_load_b64 s[2:3], s[0:1], 0x30
	s_mov_b32 s20, s13
	s_mov_b32 s30, 0
	s_waitcnt lgkmcnt(0)
	s_abs_i32 s7, s15
	s_abs_i32 s4, s2
	s_xor_b32 s2, s15, s2
	v_cvt_f32_u32_e32 v1, s4
	s_sub_i32 s6, 0, s4
	s_ashr_i32 s2, s2, 31
	s_delay_alu instid0(VALU_DEP_1) | instskip(SKIP_2) | instid1(VALU_DEP_1)
	v_rcp_iflag_f32_e32 v1, v1
	s_waitcnt_depctr 0xfff
	v_mul_f32_e32 v1, 0x4f7ffffe, v1
	v_cvt_u32_f32_e32 v1, v1
	s_delay_alu instid0(VALU_DEP_1) | instskip(NEXT) | instid1(VALU_DEP_1)
	v_readfirstlane_b32 s5, v1
	s_mul_i32 s6, s6, s5
	s_delay_alu instid0(SALU_CYCLE_1) | instskip(NEXT) | instid1(SALU_CYCLE_1)
	s_mul_hi_u32 s6, s5, s6
	s_add_i32 s5, s5, s6
	s_delay_alu instid0(SALU_CYCLE_1) | instskip(NEXT) | instid1(SALU_CYCLE_1)
	s_mul_hi_u32 s5, s7, s5
	s_mul_i32 s6, s5, s4
	s_delay_alu instid0(SALU_CYCLE_1)
	s_sub_i32 s6, s7, s6
	s_add_i32 s7, s5, 1
	s_sub_i32 s8, s6, s4
	s_cmp_ge_u32 s6, s4
	s_cselect_b32 s5, s7, s5
	s_cselect_b32 s6, s8, s6
	s_add_i32 s7, s5, 1
	s_cmp_ge_u32 s6, s4
	s_cselect_b32 s4, s7, s5
	s_abs_i32 s27, s13
	s_xor_b32 s4, s4, s2
	s_delay_alu instid0(SALU_CYCLE_1) | instskip(SKIP_2) | instid1(SALU_CYCLE_1)
	s_sub_i32 s8, s4, s2
	s_load_b64 s[4:5], s[0:1], 0x50
	s_abs_i32 s2, s8
	v_cvt_f32_u32_e32 v1, s2
	s_sub_i32 s7, 0, s2
	s_delay_alu instid0(VALU_DEP_1) | instskip(SKIP_2) | instid1(VALU_DEP_1)
	v_rcp_iflag_f32_e32 v1, v1
	s_waitcnt_depctr 0xfff
	v_mul_f32_e32 v1, 0x4f7ffffe, v1
	v_cvt_u32_f32_e32 v1, v1
	s_delay_alu instid0(VALU_DEP_1) | instskip(NEXT) | instid1(VALU_DEP_1)
	v_readfirstlane_b32 s6, v1
	s_mul_i32 s7, s7, s6
	s_delay_alu instid0(SALU_CYCLE_1) | instskip(NEXT) | instid1(SALU_CYCLE_1)
	s_mul_hi_u32 s7, s6, s7
	s_add_i32 s6, s6, s7
	s_waitcnt lgkmcnt(0)
	s_cmp_eq_u64 s[4:5], 0
	s_mul_hi_u32 s26, s27, s6
	s_cbranch_scc1 .LBB193_3
; %bb.2:
	s_ashr_i32 s21, s20, 31
	s_delay_alu instid0(SALU_CYCLE_1) | instskip(NEXT) | instid1(SALU_CYCLE_1)
	s_lshl_b64 s[6:7], s[20:21], 2
	s_add_u32 s4, s4, s6
	s_addc_u32 s5, s5, s7
	s_load_b32 s30, s[4:5], 0x0
.LBB193_3:
	s_clause 0x1
	s_load_b64 s[22:23], s[0:1], 0x38
	s_load_b128 s[4:7], s[0:1], 0x58
	v_lshlrev_b32_e32 v3, 4, v0
	s_waitcnt lgkmcnt(0)
	s_ashr_i32 s7, s20, 31
	s_ashr_i32 s31, s8, 31
	s_lshl_b32 s16, s20, 5
	s_mov_b32 s8, exec_lo
	v_cmpx_gt_u32_e32 4, v0
	s_cbranch_execz .LBB193_5
; %bb.4:
	s_load_b64 s[10:11], s[0:1], 0x18
	s_mul_i32 s18, s14, s4
	s_delay_alu instid0(SALU_CYCLE_1) | instskip(NEXT) | instid1(SALU_CYCLE_1)
	s_ashr_i32 s19, s18, 31
	s_lshl_b64 s[18:19], s[18:19], 1
	s_waitcnt lgkmcnt(0)
	s_add_u32 s4, s10, s18
	s_addc_u32 s9, s11, s19
	s_ashr_i32 s17, s16, 31
	s_delay_alu instid0(SALU_CYCLE_1) | instskip(NEXT) | instid1(SALU_CYCLE_1)
	s_lshl_b64 s[10:11], s[16:17], 1
	s_add_u32 s10, s4, s10
	s_addc_u32 s11, s9, s11
	global_load_b128 v[4:7], v3, s[10:11]
	s_waitcnt vmcnt(0)
	ds_store_b128 v3, v[4:7]
.LBB193_5:
	s_or_b32 exec_lo, exec_lo, s8
	s_add_i32 s4, s28, 31
	s_clause 0x1
	s_load_b128 s[8:11], s[0:1], 0x0
	s_load_b64 s[18:19], s[0:1], 0x10
	s_ashr_i32 s13, s4, 31
	s_mul_i32 s34, s26, s2
	s_lshr_b32 s17, s13, 27
	s_lshl_b32 s13, s12, 4
	s_add_i32 s4, s4, s17
	s_load_b64 s[24:25], s[0:1], 0x28
	s_ashr_i32 s21, s4, 5
	s_clause 0x1
	s_load_b32 s4, s[0:1], 0x98
	s_load_b32 s33, s[0:1], 0x48
	s_add_i32 s17, s13, 16
	s_sub_i32 s27, s27, s34
	s_min_i32 s17, s17, s21
	s_xor_b32 s7, s7, s31
	s_add_i32 s31, s26, 1
	s_sub_i32 s34, s27, s2
	s_cmp_ge_u32 s27, s2
	v_lshrrev_b32_e32 v12, 5, v0
	s_cselect_b32 s26, s31, s26
	s_cselect_b32 s27, s34, s27
	s_add_i32 s31, s26, 1
	s_cmp_ge_u32 s27, s2
	v_dual_mov_b32 v32, 0xff7fffff :: v_dual_add_nc_u32 v9, s13, v12
	v_and_b32_e32 v13, 31, v0
	s_cselect_b32 s2, s31, s26
	s_waitcnt lgkmcnt(0)
	s_xor_b32 s2, s2, s7
	v_ashrrev_i32_e32 v10, 31, v9
	s_sub_i32 s7, s2, s7
	v_cmp_gt_i32_e64 s2, s17, v9
	v_lshlrev_b32_e32 v4, 2, v13
	s_mul_i32 s26, s14, s33
	s_mul_i32 s6, s7, s6
	s_ashr_i32 s27, s26, 31
	s_barrier
	buffer_gl0_inv
	s_and_saveexec_b32 s31, s2
	s_cbranch_execz .LBB193_9
; %bb.6:
	v_mov_b32_e32 v1, 0
	s_load_b64 s[0:1], s[0:1], 0x20
	s_ashr_i32 s7, s6, 31
	v_cmp_neq_f32_e64 vcc_lo, s30, 0
	s_lshl_b64 s[34:35], s[6:7], 1
	ds_load_b128 v[29:32], v1
	ds_load_b128 v[36:39], v1 offset:16
	ds_load_b128 v[40:43], v1 offset:32
	;; [unrolled: 1-line block ×3, first 2 shown]
	v_lshlrev_b32_e32 v1, 4, v13
	s_mov_b32 s33, 0
	s_waitcnt lgkmcnt(0)
	s_add_u32 s0, s0, s34
	s_addc_u32 s1, s1, s35
	v_bfi_b32 v11, 0xffff, 0, v36
	v_lshlrev_b32_e32 v14, 16, v36
	v_bfi_b32 v21, 0xffff, 0, v37
	v_lshlrev_b32_e32 v22, 16, v37
	;; [unrolled: 2-line block ×3, first 2 shown]
	v_lshl_or_b32 v32, v12, 7, v4
	v_bfi_b32 v25, 0xffff, 0, v45
	v_lshlrev_b32_e32 v26, 16, v45
	v_bfi_b32 v17, 0xffff, 0, v44
	v_lshlrev_b32_e32 v18, 16, v44
	v_add_nc_u32_e32 v45, 0x60, v32
	v_mov_b32_e32 v32, 0xff7fffff
	v_add_co_u32 v5, s0, s0, v1
	v_lshlrev_b32_e32 v1, 5, v12
	v_add_co_ci_u32_e64 v6, null, s1, 0, s0
	s_lshl_b64 s[0:1], s[26:27], 2
	s_sub_i32 s7, 1, s28
	s_delay_alu instid0(VALU_DEP_2)
	v_add3_u32 v44, s29, v1, v13
	v_lshlrev_b64 v[1:2], 2, v[9:10]
	s_add_u32 s0, s22, s0
	s_addc_u32 s1, s23, s1
	v_bfi_b32 v7, 0xffff, 0, v29
	v_lshlrev_b32_e32 v8, 16, v29
	v_bfi_b32 v15, 0xffff, 0, v40
	v_add_co_u32 v1, s0, s0, v1
	v_lshlrev_b32_e32 v16, 16, v40
	v_bfi_b32 v19, 0xffff, 0, v30
	v_lshlrev_b32_e32 v20, 16, v30
	v_bfi_b32 v23, 0xffff, 0, v41
	;; [unrolled: 2-line block ×6, first 2 shown]
	v_dual_mov_b32 v46, v9 :: v_dual_lshlrev_b32 v35, 16, v46
	v_bfi_b32 v38, 0xffff, 0, v39
	v_lshlrev_b32_e32 v39, 16, v39
	v_bfi_b32 v40, 0xffff, 0, v43
	v_lshlrev_b32_e32 v41, 16, v43
	;; [unrolled: 2-line block ×3, first 2 shown]
	v_add_co_ci_u32_e64 v2, s0, s1, v2, s0
	s_mov_b32 s34, s5
.LBB193_7:                              ; =>This Inner Loop Header: Depth=1
	global_load_b32 v49, v[1:2], off
	v_add_nc_u32_e32 v46, 4, v46
	s_delay_alu instid0(VALU_DEP_1) | instskip(NEXT) | instid1(VALU_DEP_1)
	v_cmp_le_i32_e64 s1, s17, v46
	s_or_b32 s33, s1, s33
	s_waitcnt vmcnt(0)
	v_mad_i64_i32 v[47:48], null, v49, s34, 0
	s_delay_alu instid0(VALU_DEP_1) | instskip(NEXT) | instid1(VALU_DEP_1)
	v_lshlrev_b64 v[47:48], 1, v[47:48]
	v_add_co_u32 v59, s0, v5, v47
	s_delay_alu instid0(VALU_DEP_1) | instskip(SKIP_1) | instid1(VALU_DEP_1)
	v_add_co_ci_u32_e64 v60, s0, v6, v48, s0
	v_add_co_u32 v1, s0, v1, 16
	v_add_co_ci_u32_e64 v2, s0, 0, v2, s0
	s_clause 0x3
	global_load_b128 v[47:50], v[59:60], off
	global_load_b128 v[51:54], v[59:60], off offset:512
	global_load_b128 v[55:58], v[59:60], off offset:1024
	;; [unrolled: 1-line block ×3, first 2 shown]
	v_max_f32_e32 v64, v32, v32
	v_cmp_gt_i32_e64 s0, s28, v44
	s_waitcnt vmcnt(3)
	v_lshlrev_b32_e32 v65, 16, v47
	s_waitcnt vmcnt(2)
	v_and_b32_e32 v74, 0xffff0000, v53
	s_waitcnt vmcnt(1)
	v_and_b32_e32 v67, 0xffff0000, v55
	v_lshlrev_b32_e32 v53, 16, v53
	v_and_b32_e32 v66, 0xffff0000, v51
	v_lshlrev_b32_e32 v73, 16, v49
	v_and_b32_e32 v78, 0xffff0000, v54
	s_delay_alu instid0(VALU_DEP_4) | instskip(SKIP_3) | instid1(VALU_DEP_4)
	v_dual_mul_f32 v53, v30, v53 :: v_dual_lshlrev_b32 v54, 16, v54
	v_lshlrev_b32_e32 v55, 16, v55
	v_and_b32_e32 v70, 0xffff0000, v52
	v_dual_mul_f32 v66, v11, v66 :: v_dual_add_nc_u32 v63, s7, v44
	v_mul_f32_e32 v54, v39, v54
	v_dual_fmac_f32 v53, v28, v73 :: v_dual_lshlrev_b32 v52, 16, v52
	s_delay_alu instid0(VALU_DEP_4) | instskip(NEXT) | instid1(VALU_DEP_2)
	v_dual_mul_f32 v70, v21, v70 :: v_dual_lshlrev_b32 v51, 16, v51
	v_dual_mul_f32 v52, v22, v52 :: v_dual_and_b32 v47, 0xffff0000, v47
	v_lshlrev_b32_e32 v69, 16, v48
	s_delay_alu instid0(VALU_DEP_3)
	v_dual_mul_f32 v51, v14, v51 :: v_dual_and_b32 v48, 0xffff0000, v48
	s_waitcnt vmcnt(0)
	v_lshlrev_b32_e32 v68, 16, v59
	v_fmac_f32_e32 v66, v7, v47
	v_dual_mul_f32 v78, v38, v78 :: v_dual_and_b32 v59, 0xffff0000, v59
	v_fmac_f32_e32 v51, v8, v65
	v_dual_fmac_f32 v52, v20, v69 :: v_dual_and_b32 v71, 0xffff0000, v56
	v_fmac_f32_e32 v70, v19, v48
	s_delay_alu instid0(VALU_DEP_3) | instskip(SKIP_3) | instid1(VALU_DEP_4)
	v_dual_fmac_f32 v51, v16, v55 :: v_dual_lshlrev_b32 v80, 16, v62
	v_cvt_f32_i32_e32 v63, v63
	v_and_b32_e32 v62, 0xffff0000, v62
	v_add_nc_u32_e32 v44, 0x80, v44
	v_dual_fmac_f32 v70, v23, v71 :: v_dual_fmac_f32 v51, v18, v68
	v_mul_f32_e32 v74, v29, v74
	v_dual_fmac_f32 v66, v15, v67 :: v_dual_lshlrev_b32 v77, 16, v50
	v_mul_f32_e32 v48, s30, v63
	s_delay_alu instid0(VALU_DEP_2) | instskip(SKIP_1) | instid1(VALU_DEP_2)
	v_fmac_f32_e32 v66, v17, v59
	v_lshlrev_b32_e32 v56, 16, v56
	v_dual_cndmask_b32 v48, 0, v48 :: v_dual_add_f32 v47, v51, v66
	s_delay_alu instid0(VALU_DEP_2) | instskip(SKIP_1) | instid1(VALU_DEP_1)
	v_dual_fmac_f32 v52, v24, v56 :: v_dual_and_b32 v75, 0xffff0000, v57
	v_lshlrev_b32_e32 v57, 16, v57
	v_dual_fmac_f32 v53, v33, v57 :: v_dual_lshlrev_b32 v72, 16, v60
	s_delay_alu instid0(VALU_DEP_1) | instskip(NEXT) | instid1(VALU_DEP_1)
	v_fmac_f32_e32 v52, v26, v72
	v_dual_add_f32 v47, v47, v52 :: v_dual_lshlrev_b32 v76, 16, v61
	v_and_b32_e32 v60, 0xffff0000, v60
	s_delay_alu instid0(VALU_DEP_2) | instskip(SKIP_1) | instid1(VALU_DEP_3)
	v_dual_fmac_f32 v53, v35, v76 :: v_dual_and_b32 v50, 0xffff0000, v50
	v_and_b32_e32 v49, 0xffff0000, v49
	v_dual_fmac_f32 v70, v25, v60 :: v_dual_and_b32 v61, 0xffff0000, v61
	s_delay_alu instid0(VALU_DEP_3) | instskip(NEXT) | instid1(VALU_DEP_3)
	v_fmac_f32_e32 v78, v36, v50
	v_dual_fmac_f32 v74, v27, v49 :: v_dual_and_b32 v79, 0xffff0000, v58
	s_delay_alu instid0(VALU_DEP_3) | instskip(NEXT) | instid1(VALU_DEP_2)
	v_dual_fmac_f32 v54, v37, v77 :: v_dual_add_f32 v47, v70, v47
	v_fmac_f32_e32 v74, v31, v75
	s_delay_alu instid0(VALU_DEP_3) | instskip(NEXT) | instid1(VALU_DEP_2)
	v_fmac_f32_e32 v78, v40, v79
	v_dual_add_f32 v47, v53, v47 :: v_dual_fmac_f32 v74, v34, v61
	s_delay_alu instid0(VALU_DEP_2) | instskip(NEXT) | instid1(VALU_DEP_2)
	v_fmac_f32_e32 v78, v42, v62
	v_dual_add_f32 v47, v74, v47 :: v_dual_lshlrev_b32 v58, 16, v58
	s_delay_alu instid0(VALU_DEP_1) | instskip(NEXT) | instid1(VALU_DEP_1)
	v_fmac_f32_e32 v54, v41, v58
	v_fmac_f32_e32 v54, v43, v80
	s_delay_alu instid0(VALU_DEP_1) | instskip(NEXT) | instid1(VALU_DEP_1)
	v_add_f32_e32 v47, v54, v47
	v_add_f32_e32 v47, v78, v47
	s_delay_alu instid0(VALU_DEP_1) | instskip(NEXT) | instid1(VALU_DEP_1)
	v_fmac_f32_e32 v48, s3, v47
	v_max_f32_e32 v47, v64, v48
	v_cndmask_b32_e64 v48, 0, v48, s0
	s_delay_alu instid0(VALU_DEP_2)
	v_cndmask_b32_e64 v32, v32, v47, s0
	ds_store_b32 v45, v48
	v_add_nc_u32_e32 v45, 0x200, v45
	s_and_not1_b32 exec_lo, exec_lo, s33
	s_cbranch_execnz .LBB193_7
; %bb.8:
	s_or_b32 exec_lo, exec_lo, s33
.LBB193_9:
	s_delay_alu instid0(SALU_CYCLE_1) | instskip(SKIP_2) | instid1(VALU_DEP_2)
	s_or_b32 exec_lo, exec_lo, s31
	v_mbcnt_lo_u32_b32 v1, -1, 0
	v_max_f32_e32 v7, v32, v32
	v_xor_b32_e32 v2, 16, v1
	v_xor_b32_e32 v6, 8, v1
	s_delay_alu instid0(VALU_DEP_2) | instskip(SKIP_1) | instid1(VALU_DEP_3)
	v_cmp_gt_i32_e32 vcc_lo, 32, v2
	v_cndmask_b32_e32 v2, v1, v2, vcc_lo
	v_cmp_gt_i32_e32 vcc_lo, 32, v6
	s_delay_alu instid0(VALU_DEP_2) | instskip(SKIP_4) | instid1(VALU_DEP_1)
	v_lshlrev_b32_e32 v2, 2, v2
	v_cndmask_b32_e32 v6, v1, v6, vcc_lo
	ds_bpermute_b32 v5, v2, v32
	s_waitcnt lgkmcnt(0)
	v_dual_max_f32 v8, v5, v5 :: v_dual_lshlrev_b32 v5, 2, v6
	v_max_f32_e32 v6, v7, v8
	v_xor_b32_e32 v8, 4, v1
	ds_bpermute_b32 v7, v5, v6
	v_cmp_gt_i32_e32 vcc_lo, 32, v8
	s_waitcnt lgkmcnt(0)
	v_dual_cndmask_b32 v8, v1, v8 :: v_dual_max_f32 v11, v7, v7
	s_delay_alu instid0(VALU_DEP_1) | instskip(SKIP_1) | instid1(VALU_DEP_1)
	v_max_f32_e32 v6, v6, v11
	v_xor_b32_e32 v11, 2, v1
	v_cmp_gt_i32_e32 vcc_lo, 32, v11
	v_cndmask_b32_e32 v11, v1, v11, vcc_lo
	s_delay_alu instid0(VALU_DEP_1) | instskip(SKIP_1) | instid1(VALU_DEP_1)
	v_lshlrev_b32_e32 v14, 2, v11
	v_xor_b32_e32 v11, 1, v1
	v_cmp_gt_i32_e32 vcc_lo, 32, v11
	v_cndmask_b32_e32 v11, v1, v11, vcc_lo
	v_cmp_eq_u32_e32 vcc_lo, 0, v13
	s_delay_alu instid0(VALU_DEP_2) | instskip(SKIP_4) | instid1(VALU_DEP_1)
	v_lshlrev_b32_e32 v15, 2, v11
	v_lshlrev_b32_e32 v7, 2, v8
	ds_bpermute_b32 v8, v7, v6
	s_waitcnt lgkmcnt(0)
	v_max_f32_e32 v8, v8, v8
	v_max_f32_e32 v6, v6, v8
	ds_bpermute_b32 v8, v14, v6
	s_waitcnt lgkmcnt(0)
	v_max_f32_e32 v8, v8, v8
	s_delay_alu instid0(VALU_DEP_1)
	v_max_f32_e32 v1, v6, v8
	v_lshlrev_b32_e32 v8, 2, v12
	ds_bpermute_b32 v6, v15, v1
	s_and_saveexec_b32 s0, vcc_lo
	s_cbranch_execz .LBB193_11
; %bb.10:
	s_waitcnt lgkmcnt(0)
	v_dual_max_f32 v6, v6, v6 :: v_dual_max_f32 v1, v1, v1
	s_delay_alu instid0(VALU_DEP_1)
	v_max_f32_e32 v1, v1, v6
	ds_store_b32 v8, v1 offset:64
.LBB193_11:
	s_or_b32 exec_lo, exec_lo, s0
	v_cmp_gt_u32_e64 s0, 4, v13
	v_mov_b32_e32 v1, 0xff7fffff
	s_waitcnt lgkmcnt(0)
	s_barrier
	buffer_gl0_inv
	s_and_saveexec_b32 s1, s0
	s_cbranch_execz .LBB193_13
; %bb.12:
	ds_load_b32 v1, v4 offset:64
.LBB193_13:
	s_or_b32 exec_lo, exec_lo, s1
	s_waitcnt lgkmcnt(0)
	ds_bpermute_b32 v6, v14, v1
	v_max_f32_e32 v1, v1, v1
	s_sub_i32 s1, s17, s13
	v_mov_b32_e32 v11, 0
	s_lshl_b32 s1, s1, 5
	s_delay_alu instid0(SALU_CYCLE_1) | instskip(NEXT) | instid1(SALU_CYCLE_1)
	s_add_i32 s1, s1, s29
	s_min_i32 s1, s1, s28
	s_delay_alu instid0(SALU_CYCLE_1) | instskip(NEXT) | instid1(SALU_CYCLE_1)
	s_sub_i32 s7, s1, s29
	v_cmp_gt_i32_e64 s1, s7, v0
	s_waitcnt lgkmcnt(0)
	v_max_f32_e32 v6, v6, v6
	s_delay_alu instid0(VALU_DEP_1) | instskip(SKIP_3) | instid1(VALU_DEP_1)
	v_max_f32_e32 v1, v1, v6
	ds_bpermute_b32 v6, v15, v1
	s_waitcnt lgkmcnt(0)
	v_max_f32_e32 v6, v6, v6
	v_max_f32_e32 v1, v1, v6
	v_lshl_add_u32 v6, v0, 2, 0x60
	ds_bpermute_b32 v1, v11, v1
	s_and_saveexec_b32 s13, s1
	s_cbranch_execz .LBB193_17
; %bb.14:
	v_lshl_add_u32 v16, v0, 2, 0x60
	v_mov_b32_e32 v11, 0
	v_mov_b32_e32 v17, v0
	s_mov_b32 s30, 0
	.p2align	6
.LBB193_15:                             ; =>This Inner Loop Header: Depth=1
	ds_load_b32 v18, v16
	v_add_nc_u32_e32 v17, 0x80, v17
	s_delay_alu instid0(VALU_DEP_1) | instskip(NEXT) | instid1(VALU_DEP_1)
	v_cmp_le_i32_e64 s3, s7, v17
	s_or_b32 s30, s3, s30
	s_waitcnt lgkmcnt(0)
	v_sub_f32_e32 v18, v18, v1
	s_delay_alu instid0(VALU_DEP_1) | instskip(NEXT) | instid1(VALU_DEP_1)
	v_mul_f32_e32 v18, 0x3fb8aa3b, v18
	v_exp_f32_e32 v18, v18
	ds_store_b32 v16, v18
	v_dual_add_f32 v11, v11, v18 :: v_dual_add_nc_u32 v16, 0x200, v16
	s_and_not1_b32 exec_lo, exec_lo, s30
	s_cbranch_execnz .LBB193_15
; %bb.16:
	s_or_b32 exec_lo, exec_lo, s30
.LBB193_17:
	s_delay_alu instid0(SALU_CYCLE_1)
	s_or_b32 exec_lo, exec_lo, s13
	ds_bpermute_b32 v2, v2, v11
	s_waitcnt lgkmcnt(0)
	v_add_f32_e32 v2, v11, v2
	ds_bpermute_b32 v5, v5, v2
	s_waitcnt lgkmcnt(0)
	v_add_f32_e32 v2, v2, v5
	;; [unrolled: 3-line block ×5, first 2 shown]
	s_and_saveexec_b32 s3, vcc_lo
	s_cbranch_execz .LBB193_19
; %bb.18:
	ds_store_b32 v8, v2 offset:80
.LBB193_19:
	s_or_b32 exec_lo, exec_lo, s3
	s_waitcnt lgkmcnt(0)
	s_barrier
	buffer_gl0_inv
	s_and_saveexec_b32 s3, s0
	s_cbranch_execz .LBB193_21
; %bb.20:
	ds_load_b32 v2, v4 offset:80
.LBB193_21:
	s_or_b32 exec_lo, exec_lo, s3
	s_waitcnt lgkmcnt(0)
	ds_bpermute_b32 v4, v14, v2
	s_waitcnt lgkmcnt(0)
	v_add_f32_e32 v2, v2, v4
	ds_bpermute_b32 v4, v15, v2
	s_waitcnt lgkmcnt(0)
	v_add_f32_e32 v2, v2, v4
	v_mov_b32_e32 v4, 0
	ds_bpermute_b32 v2, v4, v2
	s_and_saveexec_b32 s0, s1
	s_cbranch_execz .LBB193_24
; %bb.22:
	s_waitcnt lgkmcnt(0)
	v_add_f32_e32 v4, 0x358637bd, v2
	s_mov_b32 s1, 0
	s_delay_alu instid0(VALU_DEP_1) | instskip(NEXT) | instid1(VALU_DEP_1)
	v_div_scale_f32 v5, null, v4, v4, 1.0
	v_rcp_f32_e32 v7, v5
	s_waitcnt_depctr 0xfff
	v_fma_f32 v8, -v5, v7, 1.0
	s_delay_alu instid0(VALU_DEP_1) | instskip(SKIP_1) | instid1(VALU_DEP_1)
	v_fmac_f32_e32 v7, v8, v7
	v_div_scale_f32 v11, vcc_lo, 1.0, v4, 1.0
	v_mul_f32_e32 v8, v11, v7
	s_delay_alu instid0(VALU_DEP_1) | instskip(NEXT) | instid1(VALU_DEP_1)
	v_fma_f32 v16, -v5, v8, v11
	v_fmac_f32_e32 v8, v16, v7
	s_delay_alu instid0(VALU_DEP_1) | instskip(NEXT) | instid1(VALU_DEP_1)
	v_fma_f32 v5, -v5, v8, v11
	v_div_fmas_f32 v5, v5, v7, v8
	s_delay_alu instid0(VALU_DEP_1)
	v_div_fixup_f32 v4, v5, v4, 1.0
	v_mov_b32_e32 v5, v0
.LBB193_23:                             ; =>This Inner Loop Header: Depth=1
	ds_load_b32 v7, v6
	v_add_nc_u32_e32 v5, 0x80, v5
	s_delay_alu instid0(VALU_DEP_1)
	v_cmp_le_i32_e32 vcc_lo, s7, v5
	s_or_b32 s1, vcc_lo, s1
	s_waitcnt lgkmcnt(0)
	v_mul_f32_e32 v7, v4, v7
	ds_store_b32 v6, v7
	v_add_nc_u32_e32 v6, 0x200, v6
	s_and_not1_b32 exec_lo, exec_lo, s1
	s_cbranch_execnz .LBB193_23
.LBB193_24:
	s_or_b32 exec_lo, exec_lo, s0
	s_delay_alu instid0(SALU_CYCLE_1)
	s_mov_b32 s0, exec_lo
	s_waitcnt lgkmcnt(0)
	s_barrier
	buffer_gl0_inv
	v_cmpx_eq_u32_e32 0, v0
	s_cbranch_execz .LBB193_26
; %bb.25:
	s_mul_i32 s1, s4, s14
	s_mul_i32 s34, s4, s20
	s_mul_i32 s30, s1, s15
	v_mov_b32_e32 v4, 0
	s_ashr_i32 s31, s30, 31
	s_delay_alu instid0(SALU_CYCLE_1) | instskip(NEXT) | instid1(SALU_CYCLE_1)
	s_lshl_b64 s[30:31], s[30:31], 2
	s_add_u32 s1, s10, s30
	s_addc_u32 s3, s11, s31
	s_ashr_i32 s35, s34, 31
	s_delay_alu instid0(SALU_CYCLE_1) | instskip(NEXT) | instid1(SALU_CYCLE_1)
	s_lshl_b64 s[10:11], s[34:35], 2
	s_add_u32 s1, s1, s10
	s_addc_u32 s3, s3, s11
	;; [unrolled: 5-line block ×3, first 2 shown]
	s_add_u32 s1, s8, s30
	s_addc_u32 s3, s9, s31
	s_add_u32 s1, s1, s10
	s_addc_u32 s3, s3, s11
	;; [unrolled: 2-line block ×3, first 2 shown]
	s_clause 0x1
	global_store_b32 v4, v1, s[36:37]
	global_store_b32 v4, v2, s[8:9]
.LBB193_26:
	s_or_b32 exec_lo, exec_lo, s0
	v_dual_mov_b32 v18, 0 :: v_dual_mov_b32 v19, 0
	v_dual_mov_b32 v17, 0 :: v_dual_and_b32 v16, 3, v0
	v_mov_b32_e32 v20, 0
	s_mov_b32 s3, 0
	s_and_saveexec_b32 s1, s2
	s_cbranch_execz .LBB193_198
; %bb.27:
	v_dual_mov_b32 v20, 0 :: v_dual_lshlrev_b32 v1, 3, v0
	s_ashr_i32 s7, s6, 31
	v_dual_mov_b32 v17, 0 :: v_dual_lshlrev_b32 v2, 5, v16
	s_delay_alu instid0(VALU_DEP_2)
	v_dual_mov_b32 v18, 0 :: v_dual_and_b32 v1, 24, v1
	v_and_b32_e32 v3, 0x1f0, v3
	v_lshl_add_u32 v4, v12, 5, s29
	s_lshl_b64 s[6:7], s[6:7], 1
	v_lshl_or_b32 v5, v12, 7, v2
	s_add_u32 s0, s24, s6
	s_addc_u32 s6, s25, s7
	v_add_co_u32 v21, s0, s0, v3
	v_add3_u32 v23, v4, v1, 7
	v_lshlrev_b64 v[1:2], 2, v[9:10]
	v_add_co_ci_u32_e64 v22, null, s6, 0, s0
	s_lshl_b64 s[6:7], s[26:27], 2
	s_add_i32 s2, s21, -1
	s_add_u32 s0, s22, s6
	s_addc_u32 s6, s23, s7
	v_add_co_u32 v10, vcc_lo, s0, v1
	v_dual_mov_b32 v19, 0 :: v_dual_add_nc_u32 v24, 0x60, v5
	v_add_co_ci_u32_e32 v11, vcc_lo, s6, v2, vcc_lo
	s_branch .LBB193_29
.LBB193_28:                             ;   in Loop: Header=BB193_29 Depth=1
	s_or_b32 exec_lo, exec_lo, s0
	v_and_b32_e32 v33, 0xffff0000, v46
	v_and_b32_e32 v25, 0xffff0000, v25
	;; [unrolled: 1-line block ×9, first 2 shown]
	s_delay_alu instid0(VALU_DEP_4)
	v_dual_add_f32 v7, v7, v8 :: v_dual_add_f32 v8, v25, v26
	v_and_b32_e32 v25, 0xffff0000, v49
	v_and_b32_e32 v26, 0xffff0000, v47
	v_and_b32_e32 v2, 0xffff0000, v2
	v_and_b32_e32 v5, 0xffff0000, v5
	v_add_f32_e32 v7, v7, v8
	s_delay_alu instid0(VALU_DEP_4) | instskip(SKIP_3) | instid1(VALU_DEP_4)
	v_dual_add_f32 v25, v34, v25 :: v_dual_add_f32 v26, v33, v26
	v_and_b32_e32 v28, 0xffff0000, v28
	v_dual_add_f32 v2, v2, v31 :: v_dual_and_b32 v33, 0xffff0000, v50
	v_and_b32_e32 v1, 0xffff0000, v1
	v_dual_add_f32 v25, v26, v25 :: v_dual_and_b32 v8, 0xffff0000, v51
	v_and_b32_e32 v27, 0xffff0000, v27
	v_and_b32_e32 v3, 0xffff0000, v3
	s_delay_alu instid0(VALU_DEP_4) | instskip(NEXT) | instid1(VALU_DEP_4)
	v_add_f32_e32 v1, v1, v5
	v_dual_add_f32 v8, v33, v8 :: v_dual_add_nc_u32 v9, 4, v9
	s_delay_alu instid0(VALU_DEP_4) | instskip(NEXT) | instid1(VALU_DEP_3)
	v_dual_add_f32 v27, v27, v28 :: v_dual_and_b32 v28, 0xffff0000, v30
	v_dual_add_f32 v1, v1, v2 :: v_dual_and_b32 v30, 0xffff0000, v57
	v_and_b32_e32 v32, 0xffff0000, v32
	s_delay_alu instid0(VALU_DEP_4) | instskip(NEXT) | instid1(VALU_DEP_4)
	v_dual_add_f32 v8, v25, v8 :: v_dual_and_b32 v25, 0xffff0000, v59
	v_add_f32_e32 v7, v7, v27
	v_cmp_le_i32_e32 vcc_lo, s17, v9
	s_delay_alu instid0(VALU_DEP_4) | instskip(SKIP_3) | instid1(VALU_DEP_4)
	v_add_f32_e32 v2, v3, v32
	v_and_b32_e32 v34, 0xffff0000, v55
	v_and_b32_e32 v3, 0xffff0000, v6
	v_add_co_u32 v10, s0, v10, 16
	v_add_f32_e32 v1, v1, v2
	s_delay_alu instid0(VALU_DEP_4)
	v_add_f32_e32 v34, v35, v34
	v_add_f32_e32 v26, v29, v28
	v_and_b32_e32 v4, 0xffff0000, v4
	v_and_b32_e32 v33, 0xffff0000, v56
	v_add_nc_u32_e32 v23, 0x80, v23
	v_add_co_ci_u32_e64 v11, s0, 0, v11, s0
	s_delay_alu instid0(VALU_DEP_4) | instskip(NEXT) | instid1(VALU_DEP_4)
	v_dual_add_f32 v2, v4, v3 :: v_dual_and_b32 v27, 0xffff0000, v52
	v_add_f32_e32 v30, v33, v30
	v_dual_add_f32 v3, v7, v26 :: v_dual_and_b32 v28, 0xffff0000, v53
	s_delay_alu instid0(VALU_DEP_3) | instskip(SKIP_1) | instid1(VALU_DEP_3)
	v_add_f32_e32 v1, v1, v2
	s_or_b32 s3, vcc_lo, s3
	v_add_f32_e32 v5, v34, v30
	s_delay_alu instid0(VALU_DEP_3) | instskip(SKIP_2) | instid1(VALU_DEP_3)
	v_dual_add_f32 v6, v27, v28 :: v_dual_and_b32 v29, 0xffff0000, v58
	v_and_b32_e32 v37, 0xffff0000, v61
	v_dual_add_f32 v17, v17, v3 :: v_dual_add_f32 v18, v18, v1
	v_dual_add_f32 v25, v29, v25 :: v_dual_add_f32 v4, v8, v6
	v_and_b32_e32 v36, 0xffff0000, v60
	s_delay_alu instid0(VALU_DEP_2) | instskip(NEXT) | instid1(VALU_DEP_3)
	v_dual_add_f32 v5, v5, v25 :: v_dual_add_nc_u32 v24, 0x200, v24
	v_add_f32_e32 v20, v20, v4
	s_delay_alu instid0(VALU_DEP_3) | instskip(NEXT) | instid1(VALU_DEP_1)
	v_add_f32_e32 v25, v36, v37
	v_add_f32_e32 v5, v5, v25
	s_delay_alu instid0(VALU_DEP_1)
	v_add_f32_e32 v19, v19, v5
	s_and_not1_b32 exec_lo, exec_lo, s3
	s_cbranch_execz .LBB193_197
.LBB193_29:                             ; =>This Inner Loop Header: Depth=1
	global_load_b32 v31, v[10:11], off
	ds_load_2addr_b64 v[5:8], v24 offset1:1
	ds_load_2addr_b64 v[1:4], v24 offset0:2 offset1:3
	s_mov_b32 s0, exec_lo
                                        ; implicit-def: $vgpr38
	s_waitcnt lgkmcnt(1)
	v_and_b32_e32 v25, 0x7f800000, v5
	s_delay_alu instid0(VALU_DEP_1)
	v_cmpx_ne_u32_e32 0x7f800000, v25
	s_xor_b32 s0, exec_lo, s0
; %bb.30:                               ;   in Loop: Header=BB193_29 Depth=1
	v_bfe_u32 v25, v5, 16, 1
	s_delay_alu instid0(VALU_DEP_1)
	v_add3_u32 v38, v5, v25, 0x7fff
; %bb.31:                               ;   in Loop: Header=BB193_29 Depth=1
	s_and_not1_saveexec_b32 s0, s0
; %bb.32:                               ;   in Loop: Header=BB193_29 Depth=1
	v_and_b32_e32 v25, 0xffff, v5
	v_or_b32_e32 v26, 0x10000, v5
	s_delay_alu instid0(VALU_DEP_2) | instskip(NEXT) | instid1(VALU_DEP_2)
	v_cmp_eq_u32_e32 vcc_lo, 0, v25
	v_cndmask_b32_e32 v38, v26, v5, vcc_lo
; %bb.33:                               ;   in Loop: Header=BB193_29 Depth=1
	s_or_b32 exec_lo, exec_lo, s0
	v_and_b32_e32 v5, 0x7f800000, v6
	s_mov_b32 s0, exec_lo
                                        ; implicit-def: $vgpr39
	s_delay_alu instid0(VALU_DEP_1)
	v_cmpx_ne_u32_e32 0x7f800000, v5
	s_xor_b32 s0, exec_lo, s0
; %bb.34:                               ;   in Loop: Header=BB193_29 Depth=1
	v_bfe_u32 v5, v6, 16, 1
	s_delay_alu instid0(VALU_DEP_1)
	v_add3_u32 v39, v6, v5, 0x7fff
; %bb.35:                               ;   in Loop: Header=BB193_29 Depth=1
	s_and_not1_saveexec_b32 s0, s0
; %bb.36:                               ;   in Loop: Header=BB193_29 Depth=1
	v_and_b32_e32 v5, 0xffff, v6
	v_or_b32_e32 v25, 0x10000, v6
	s_delay_alu instid0(VALU_DEP_2) | instskip(NEXT) | instid1(VALU_DEP_2)
	v_cmp_eq_u32_e32 vcc_lo, 0, v5
	v_cndmask_b32_e32 v39, v25, v6, vcc_lo
; %bb.37:                               ;   in Loop: Header=BB193_29 Depth=1
	s_or_b32 exec_lo, exec_lo, s0
	v_and_b32_e32 v5, 0x7f800000, v7
	s_mov_b32 s0, exec_lo
                                        ; implicit-def: $vgpr25
	s_delay_alu instid0(VALU_DEP_1)
	v_cmpx_ne_u32_e32 0x7f800000, v5
	s_xor_b32 s0, exec_lo, s0
; %bb.38:                               ;   in Loop: Header=BB193_29 Depth=1
	v_bfe_u32 v5, v7, 16, 1
	s_delay_alu instid0(VALU_DEP_1)
	v_add3_u32 v25, v7, v5, 0x7fff
; %bb.39:                               ;   in Loop: Header=BB193_29 Depth=1
	s_and_not1_saveexec_b32 s0, s0
; %bb.40:                               ;   in Loop: Header=BB193_29 Depth=1
	v_and_b32_e32 v5, 0xffff, v7
	v_or_b32_e32 v6, 0x10000, v7
	s_delay_alu instid0(VALU_DEP_2) | instskip(NEXT) | instid1(VALU_DEP_2)
	v_cmp_eq_u32_e32 vcc_lo, 0, v5
	v_cndmask_b32_e32 v25, v6, v7, vcc_lo
; %bb.41:                               ;   in Loop: Header=BB193_29 Depth=1
	s_or_b32 exec_lo, exec_lo, s0
	v_and_b32_e32 v5, 0x7f800000, v8
	s_mov_b32 s0, exec_lo
                                        ; implicit-def: $vgpr26
	s_delay_alu instid0(VALU_DEP_1)
	v_cmpx_ne_u32_e32 0x7f800000, v5
	s_xor_b32 s0, exec_lo, s0
; %bb.42:                               ;   in Loop: Header=BB193_29 Depth=1
	v_bfe_u32 v5, v8, 16, 1
	s_delay_alu instid0(VALU_DEP_1)
	v_add3_u32 v26, v8, v5, 0x7fff
                                        ; implicit-def: $vgpr5_vgpr6_vgpr7_vgpr8
; %bb.43:                               ;   in Loop: Header=BB193_29 Depth=1
	s_and_not1_saveexec_b32 s0, s0
; %bb.44:                               ;   in Loop: Header=BB193_29 Depth=1
	v_and_b32_e32 v5, 0xffff, v8
	v_or_b32_e32 v6, 0x10000, v8
	s_delay_alu instid0(VALU_DEP_2) | instskip(NEXT) | instid1(VALU_DEP_2)
	v_cmp_eq_u32_e32 vcc_lo, 0, v5
	v_cndmask_b32_e32 v26, v6, v8, vcc_lo
; %bb.45:                               ;   in Loop: Header=BB193_29 Depth=1
	s_or_b32 exec_lo, exec_lo, s0
	s_waitcnt lgkmcnt(0)
	v_and_b32_e32 v5, 0x7f800000, v1
	s_mov_b32 s0, exec_lo
                                        ; implicit-def: $vgpr27
	s_delay_alu instid0(VALU_DEP_1)
	v_cmpx_ne_u32_e32 0x7f800000, v5
	s_xor_b32 s0, exec_lo, s0
; %bb.46:                               ;   in Loop: Header=BB193_29 Depth=1
	v_bfe_u32 v5, v1, 16, 1
	s_delay_alu instid0(VALU_DEP_1)
	v_add3_u32 v27, v1, v5, 0x7fff
; %bb.47:                               ;   in Loop: Header=BB193_29 Depth=1
	s_and_not1_saveexec_b32 s0, s0
; %bb.48:                               ;   in Loop: Header=BB193_29 Depth=1
	v_and_b32_e32 v5, 0xffff, v1
	v_or_b32_e32 v6, 0x10000, v1
	s_delay_alu instid0(VALU_DEP_2) | instskip(NEXT) | instid1(VALU_DEP_2)
	v_cmp_eq_u32_e32 vcc_lo, 0, v5
	v_cndmask_b32_e32 v27, v6, v1, vcc_lo
; %bb.49:                               ;   in Loop: Header=BB193_29 Depth=1
	s_or_b32 exec_lo, exec_lo, s0
	v_and_b32_e32 v1, 0x7f800000, v2
	s_mov_b32 s0, exec_lo
                                        ; implicit-def: $vgpr28
	s_delay_alu instid0(VALU_DEP_1)
	v_cmpx_ne_u32_e32 0x7f800000, v1
	s_xor_b32 s0, exec_lo, s0
; %bb.50:                               ;   in Loop: Header=BB193_29 Depth=1
	v_bfe_u32 v1, v2, 16, 1
	s_delay_alu instid0(VALU_DEP_1)
	v_add3_u32 v28, v2, v1, 0x7fff
; %bb.51:                               ;   in Loop: Header=BB193_29 Depth=1
	s_and_not1_saveexec_b32 s0, s0
; %bb.52:                               ;   in Loop: Header=BB193_29 Depth=1
	v_and_b32_e32 v1, 0xffff, v2
	v_or_b32_e32 v5, 0x10000, v2
	s_delay_alu instid0(VALU_DEP_2) | instskip(NEXT) | instid1(VALU_DEP_2)
	v_cmp_eq_u32_e32 vcc_lo, 0, v1
	v_cndmask_b32_e32 v28, v5, v2, vcc_lo
; %bb.53:                               ;   in Loop: Header=BB193_29 Depth=1
	s_or_b32 exec_lo, exec_lo, s0
	v_and_b32_e32 v1, 0x7f800000, v3
	s_mov_b32 s0, exec_lo
                                        ; implicit-def: $vgpr29
	s_delay_alu instid0(VALU_DEP_1)
	v_cmpx_ne_u32_e32 0x7f800000, v1
	s_xor_b32 s0, exec_lo, s0
; %bb.54:                               ;   in Loop: Header=BB193_29 Depth=1
	v_bfe_u32 v1, v3, 16, 1
	s_delay_alu instid0(VALU_DEP_1)
	v_add3_u32 v29, v3, v1, 0x7fff
; %bb.55:                               ;   in Loop: Header=BB193_29 Depth=1
	s_and_not1_saveexec_b32 s0, s0
; %bb.56:                               ;   in Loop: Header=BB193_29 Depth=1
	v_and_b32_e32 v1, 0xffff, v3
	v_or_b32_e32 v2, 0x10000, v3
	s_delay_alu instid0(VALU_DEP_2) | instskip(NEXT) | instid1(VALU_DEP_2)
	v_cmp_eq_u32_e32 vcc_lo, 0, v1
	v_cndmask_b32_e32 v29, v2, v3, vcc_lo
; %bb.57:                               ;   in Loop: Header=BB193_29 Depth=1
	s_or_b32 exec_lo, exec_lo, s0
	v_and_b32_e32 v1, 0x7f800000, v4
	s_mov_b32 s0, exec_lo
                                        ; implicit-def: $vgpr30
	s_delay_alu instid0(VALU_DEP_1)
	v_cmpx_ne_u32_e32 0x7f800000, v1
	s_xor_b32 s0, exec_lo, s0
; %bb.58:                               ;   in Loop: Header=BB193_29 Depth=1
	v_bfe_u32 v1, v4, 16, 1
	s_delay_alu instid0(VALU_DEP_1)
	v_add3_u32 v30, v4, v1, 0x7fff
                                        ; implicit-def: $vgpr1_vgpr2_vgpr3_vgpr4
; %bb.59:                               ;   in Loop: Header=BB193_29 Depth=1
	s_and_not1_saveexec_b32 s0, s0
; %bb.60:                               ;   in Loop: Header=BB193_29 Depth=1
	v_and_b32_e32 v1, 0xffff, v4
	v_or_b32_e32 v2, 0x10000, v4
	s_delay_alu instid0(VALU_DEP_2) | instskip(NEXT) | instid1(VALU_DEP_2)
	v_cmp_eq_u32_e32 vcc_lo, 0, v1
	v_cndmask_b32_e32 v30, v2, v4, vcc_lo
; %bb.61:                               ;   in Loop: Header=BB193_29 Depth=1
	s_or_b32 exec_lo, exec_lo, s0
	s_waitcnt vmcnt(0)
	v_mad_i64_i32 v[1:2], null, v31, s5, 0
	v_add_nc_u32_e32 v31, -7, v23
	v_add_nc_u32_e32 v37, -6, v23
	v_add_nc_u32_e32 v35, -5, v23
	v_add_nc_u32_e32 v34, -4, v23
	v_add_nc_u32_e32 v33, -3, v23
	v_add_nc_u32_e32 v32, -2, v23
	v_lshlrev_b64 v[1:2], 1, v[1:2]
	v_add_nc_u32_e32 v36, -1, v23
	s_delay_alu instid0(VALU_DEP_2) | instskip(NEXT) | instid1(VALU_DEP_3)
	v_add_co_u32 v5, vcc_lo, v21, v1
	v_add_co_ci_u32_e32 v6, vcc_lo, v22, v2, vcc_lo
	v_cmp_eq_u32_e32 vcc_lo, s2, v9
	global_load_b128 v[1:4], v[5:6], off
	s_waitcnt vmcnt(0)
	v_lshrrev_b32_e32 v8, 16, v1
	v_lshrrev_b32_e32 v42, 16, v2
	;; [unrolled: 1-line block ×4, first 2 shown]
	s_and_saveexec_b32 s6, vcc_lo
	s_cbranch_execz .LBB193_63
; %bb.62:                               ;   in Loop: Header=BB193_29 Depth=1
	v_cmp_gt_i32_e64 s0, s28, v31
	s_delay_alu instid0(VALU_DEP_1) | instskip(SKIP_1) | instid1(VALU_DEP_1)
	v_cndmask_b32_e64 v1, 0, v1, s0
	v_cmp_gt_i32_e64 s0, s28, v37
	v_cndmask_b32_e64 v8, 0, v8, s0
	v_cmp_gt_i32_e64 s0, s28, v35
	s_delay_alu instid0(VALU_DEP_1) | instskip(SKIP_1) | instid1(VALU_DEP_1)
	v_cndmask_b32_e64 v2, 0, v2, s0
	v_cmp_gt_i32_e64 s0, s28, v34
	v_cndmask_b32_e64 v42, 0, v42, s0
	;; [unrolled: 5-line block ×4, first 2 shown]
.LBB193_63:                             ;   in Loop: Header=BB193_29 Depth=1
	s_or_b32 exec_lo, exec_lo, s6
	v_and_b32_e32 v38, 0xffff0000, v38
	v_lshlrev_b32_e32 v1, 16, v1
	s_delay_alu instid0(VALU_DEP_1) | instskip(NEXT) | instid1(VALU_DEP_1)
	v_mul_f32_e32 v1, v38, v1
	v_and_b32_e32 v7, 0x7f800000, v1
	s_delay_alu instid0(VALU_DEP_1) | instskip(NEXT) | instid1(VALU_DEP_1)
	v_cmp_ne_u32_e64 s0, 0x7f800000, v7
                                        ; implicit-def: $vgpr7
	s_and_saveexec_b32 s6, s0
	s_delay_alu instid0(SALU_CYCLE_1)
	s_xor_b32 s0, exec_lo, s6
; %bb.64:                               ;   in Loop: Header=BB193_29 Depth=1
	v_bfe_u32 v7, v1, 16, 1
	s_delay_alu instid0(VALU_DEP_1)
	v_add3_u32 v7, v1, v7, 0x7fff
                                        ; implicit-def: $vgpr1
; %bb.65:                               ;   in Loop: Header=BB193_29 Depth=1
	s_and_not1_saveexec_b32 s6, s0
; %bb.66:                               ;   in Loop: Header=BB193_29 Depth=1
	v_and_b32_e32 v7, 0xffff, v1
	v_or_b32_e32 v40, 0x10000, v1
	s_delay_alu instid0(VALU_DEP_2) | instskip(NEXT) | instid1(VALU_DEP_1)
	v_cmp_eq_u32_e64 s0, 0, v7
	v_cndmask_b32_e64 v7, v40, v1, s0
; %bb.67:                               ;   in Loop: Header=BB193_29 Depth=1
	s_or_b32 exec_lo, exec_lo, s6
	v_and_b32_e32 v39, 0xffff0000, v39
	v_lshlrev_b32_e32 v1, 16, v8
	s_delay_alu instid0(VALU_DEP_1) | instskip(NEXT) | instid1(VALU_DEP_1)
	v_mul_f32_e32 v1, v39, v1
	v_and_b32_e32 v8, 0x7f800000, v1
	s_delay_alu instid0(VALU_DEP_1) | instskip(NEXT) | instid1(VALU_DEP_1)
	v_cmp_ne_u32_e64 s0, 0x7f800000, v8
                                        ; implicit-def: $vgpr8
	s_and_saveexec_b32 s6, s0
	s_delay_alu instid0(SALU_CYCLE_1)
	s_xor_b32 s0, exec_lo, s6
; %bb.68:                               ;   in Loop: Header=BB193_29 Depth=1
	v_bfe_u32 v8, v1, 16, 1
	s_delay_alu instid0(VALU_DEP_1)
	v_add3_u32 v8, v1, v8, 0x7fff
                                        ; implicit-def: $vgpr1
; %bb.69:                               ;   in Loop: Header=BB193_29 Depth=1
	s_and_not1_saveexec_b32 s6, s0
; %bb.70:                               ;   in Loop: Header=BB193_29 Depth=1
	v_and_b32_e32 v8, 0xffff, v1
	v_or_b32_e32 v40, 0x10000, v1
	s_delay_alu instid0(VALU_DEP_2) | instskip(NEXT) | instid1(VALU_DEP_1)
	v_cmp_eq_u32_e64 s0, 0, v8
	v_cndmask_b32_e64 v8, v40, v1, s0
; %bb.71:                               ;   in Loop: Header=BB193_29 Depth=1
	s_or_b32 exec_lo, exec_lo, s6
	v_and_b32_e32 v40, 0xffff0000, v25
	v_lshlrev_b32_e32 v1, 16, v2
                                        ; implicit-def: $vgpr25
	s_delay_alu instid0(VALU_DEP_1) | instskip(NEXT) | instid1(VALU_DEP_1)
	v_mul_f32_e32 v1, v40, v1
	v_and_b32_e32 v2, 0x7f800000, v1
	s_delay_alu instid0(VALU_DEP_1) | instskip(NEXT) | instid1(VALU_DEP_1)
	v_cmp_ne_u32_e64 s0, 0x7f800000, v2
	s_and_saveexec_b32 s6, s0
	s_delay_alu instid0(SALU_CYCLE_1)
	s_xor_b32 s0, exec_lo, s6
; %bb.72:                               ;   in Loop: Header=BB193_29 Depth=1
	v_bfe_u32 v2, v1, 16, 1
	s_delay_alu instid0(VALU_DEP_1)
	v_add3_u32 v25, v1, v2, 0x7fff
                                        ; implicit-def: $vgpr1
; %bb.73:                               ;   in Loop: Header=BB193_29 Depth=1
	s_and_not1_saveexec_b32 s6, s0
; %bb.74:                               ;   in Loop: Header=BB193_29 Depth=1
	v_and_b32_e32 v2, 0xffff, v1
	v_or_b32_e32 v25, 0x10000, v1
	s_delay_alu instid0(VALU_DEP_2) | instskip(NEXT) | instid1(VALU_DEP_1)
	v_cmp_eq_u32_e64 s0, 0, v2
	v_cndmask_b32_e64 v25, v25, v1, s0
; %bb.75:                               ;   in Loop: Header=BB193_29 Depth=1
	s_or_b32 exec_lo, exec_lo, s6
	v_and_b32_e32 v41, 0xffff0000, v26
	v_lshlrev_b32_e32 v1, 16, v42
                                        ; implicit-def: $vgpr26
	s_delay_alu instid0(VALU_DEP_1) | instskip(NEXT) | instid1(VALU_DEP_1)
	v_mul_f32_e32 v1, v41, v1
	v_and_b32_e32 v2, 0x7f800000, v1
	s_delay_alu instid0(VALU_DEP_1) | instskip(NEXT) | instid1(VALU_DEP_1)
	v_cmp_ne_u32_e64 s0, 0x7f800000, v2
	s_and_saveexec_b32 s6, s0
	s_delay_alu instid0(SALU_CYCLE_1)
	s_xor_b32 s0, exec_lo, s6
; %bb.76:                               ;   in Loop: Header=BB193_29 Depth=1
	v_bfe_u32 v2, v1, 16, 1
	s_delay_alu instid0(VALU_DEP_1)
	v_add3_u32 v26, v1, v2, 0x7fff
                                        ; implicit-def: $vgpr1
; %bb.77:                               ;   in Loop: Header=BB193_29 Depth=1
	s_and_not1_saveexec_b32 s6, s0
; %bb.78:                               ;   in Loop: Header=BB193_29 Depth=1
	v_and_b32_e32 v2, 0xffff, v1
	v_or_b32_e32 v26, 0x10000, v1
	s_delay_alu instid0(VALU_DEP_2) | instskip(NEXT) | instid1(VALU_DEP_1)
	v_cmp_eq_u32_e64 s0, 0, v2
	v_cndmask_b32_e64 v26, v26, v1, s0
; %bb.79:                               ;   in Loop: Header=BB193_29 Depth=1
	s_or_b32 exec_lo, exec_lo, s6
	v_and_b32_e32 v42, 0xffff0000, v27
	v_lshlrev_b32_e32 v1, 16, v3
                                        ; implicit-def: $vgpr27
	s_delay_alu instid0(VALU_DEP_1) | instskip(NEXT) | instid1(VALU_DEP_1)
	v_mul_f32_e32 v1, v42, v1
	v_and_b32_e32 v2, 0x7f800000, v1
	s_delay_alu instid0(VALU_DEP_1) | instskip(NEXT) | instid1(VALU_DEP_1)
	v_cmp_ne_u32_e64 s0, 0x7f800000, v2
	s_and_saveexec_b32 s6, s0
	s_delay_alu instid0(SALU_CYCLE_1)
	s_xor_b32 s0, exec_lo, s6
; %bb.80:                               ;   in Loop: Header=BB193_29 Depth=1
	v_bfe_u32 v2, v1, 16, 1
	s_delay_alu instid0(VALU_DEP_1)
	v_add3_u32 v27, v1, v2, 0x7fff
                                        ; implicit-def: $vgpr1
; %bb.81:                               ;   in Loop: Header=BB193_29 Depth=1
	s_and_not1_saveexec_b32 s6, s0
; %bb.82:                               ;   in Loop: Header=BB193_29 Depth=1
	v_and_b32_e32 v2, 0xffff, v1
	v_or_b32_e32 v3, 0x10000, v1
	s_delay_alu instid0(VALU_DEP_2) | instskip(NEXT) | instid1(VALU_DEP_1)
	v_cmp_eq_u32_e64 s0, 0, v2
	v_cndmask_b32_e64 v27, v3, v1, s0
; %bb.83:                               ;   in Loop: Header=BB193_29 Depth=1
	s_or_b32 exec_lo, exec_lo, s6
	v_and_b32_e32 v43, 0xffff0000, v28
	v_lshlrev_b32_e32 v1, 16, v44
                                        ; implicit-def: $vgpr28
	s_delay_alu instid0(VALU_DEP_1) | instskip(NEXT) | instid1(VALU_DEP_1)
	v_mul_f32_e32 v1, v43, v1
	v_and_b32_e32 v2, 0x7f800000, v1
	s_delay_alu instid0(VALU_DEP_1) | instskip(NEXT) | instid1(VALU_DEP_1)
	v_cmp_ne_u32_e64 s0, 0x7f800000, v2
	s_and_saveexec_b32 s6, s0
	s_delay_alu instid0(SALU_CYCLE_1)
	s_xor_b32 s0, exec_lo, s6
; %bb.84:                               ;   in Loop: Header=BB193_29 Depth=1
	v_bfe_u32 v2, v1, 16, 1
	s_delay_alu instid0(VALU_DEP_1)
	v_add3_u32 v28, v1, v2, 0x7fff
                                        ; implicit-def: $vgpr1
; %bb.85:                               ;   in Loop: Header=BB193_29 Depth=1
	s_and_not1_saveexec_b32 s6, s0
; %bb.86:                               ;   in Loop: Header=BB193_29 Depth=1
	v_and_b32_e32 v2, 0xffff, v1
	v_or_b32_e32 v3, 0x10000, v1
	s_delay_alu instid0(VALU_DEP_2) | instskip(NEXT) | instid1(VALU_DEP_1)
	v_cmp_eq_u32_e64 s0, 0, v2
	v_cndmask_b32_e64 v28, v3, v1, s0
; %bb.87:                               ;   in Loop: Header=BB193_29 Depth=1
	s_or_b32 exec_lo, exec_lo, s6
	v_and_b32_e32 v44, 0xffff0000, v29
	v_lshlrev_b32_e32 v1, 16, v4
                                        ; implicit-def: $vgpr29
	s_delay_alu instid0(VALU_DEP_1) | instskip(NEXT) | instid1(VALU_DEP_1)
	v_mul_f32_e32 v1, v44, v1
	v_and_b32_e32 v2, 0x7f800000, v1
	s_delay_alu instid0(VALU_DEP_1) | instskip(NEXT) | instid1(VALU_DEP_1)
	v_cmp_ne_u32_e64 s0, 0x7f800000, v2
	s_and_saveexec_b32 s6, s0
	s_delay_alu instid0(SALU_CYCLE_1)
	s_xor_b32 s0, exec_lo, s6
; %bb.88:                               ;   in Loop: Header=BB193_29 Depth=1
	v_bfe_u32 v2, v1, 16, 1
	s_delay_alu instid0(VALU_DEP_1)
	v_add3_u32 v29, v1, v2, 0x7fff
                                        ; implicit-def: $vgpr1
; %bb.89:                               ;   in Loop: Header=BB193_29 Depth=1
	s_and_not1_saveexec_b32 s6, s0
; %bb.90:                               ;   in Loop: Header=BB193_29 Depth=1
	v_and_b32_e32 v2, 0xffff, v1
	v_or_b32_e32 v3, 0x10000, v1
	s_delay_alu instid0(VALU_DEP_2) | instskip(NEXT) | instid1(VALU_DEP_1)
	v_cmp_eq_u32_e64 s0, 0, v2
	v_cndmask_b32_e64 v29, v3, v1, s0
; %bb.91:                               ;   in Loop: Header=BB193_29 Depth=1
	s_or_b32 exec_lo, exec_lo, s6
	v_and_b32_e32 v45, 0xffff0000, v30
	v_lshlrev_b32_e32 v1, 16, v46
                                        ; implicit-def: $vgpr30
	s_delay_alu instid0(VALU_DEP_1) | instskip(NEXT) | instid1(VALU_DEP_1)
	v_mul_f32_e32 v1, v45, v1
	v_and_b32_e32 v2, 0x7f800000, v1
	s_delay_alu instid0(VALU_DEP_1) | instskip(NEXT) | instid1(VALU_DEP_1)
	v_cmp_ne_u32_e64 s0, 0x7f800000, v2
	s_and_saveexec_b32 s6, s0
	s_delay_alu instid0(SALU_CYCLE_1)
	s_xor_b32 s0, exec_lo, s6
; %bb.92:                               ;   in Loop: Header=BB193_29 Depth=1
	v_bfe_u32 v2, v1, 16, 1
	s_delay_alu instid0(VALU_DEP_1)
	v_add3_u32 v30, v1, v2, 0x7fff
                                        ; implicit-def: $vgpr1
; %bb.93:                               ;   in Loop: Header=BB193_29 Depth=1
	s_and_not1_saveexec_b32 s6, s0
; %bb.94:                               ;   in Loop: Header=BB193_29 Depth=1
	v_and_b32_e32 v2, 0xffff, v1
	v_or_b32_e32 v3, 0x10000, v1
	s_delay_alu instid0(VALU_DEP_2) | instskip(NEXT) | instid1(VALU_DEP_1)
	v_cmp_eq_u32_e64 s0, 0, v2
	v_cndmask_b32_e64 v30, v3, v1, s0
; %bb.95:                               ;   in Loop: Header=BB193_29 Depth=1
	s_or_b32 exec_lo, exec_lo, s6
	global_load_b128 v[1:4], v[5:6], off offset:512
	s_waitcnt vmcnt(0)
	v_lshrrev_b32_e32 v47, 16, v1
	v_lshrrev_b32_e32 v49, 16, v2
	;; [unrolled: 1-line block ×4, first 2 shown]
	s_and_saveexec_b32 s6, vcc_lo
	s_cbranch_execz .LBB193_97
; %bb.96:                               ;   in Loop: Header=BB193_29 Depth=1
	v_cmp_gt_i32_e64 s0, s28, v31
	s_delay_alu instid0(VALU_DEP_1) | instskip(SKIP_1) | instid1(VALU_DEP_1)
	v_cndmask_b32_e64 v1, 0, v1, s0
	v_cmp_gt_i32_e64 s0, s28, v37
	v_cndmask_b32_e64 v47, 0, v47, s0
	v_cmp_gt_i32_e64 s0, s28, v35
	s_delay_alu instid0(VALU_DEP_1) | instskip(SKIP_1) | instid1(VALU_DEP_1)
	v_cndmask_b32_e64 v2, 0, v2, s0
	v_cmp_gt_i32_e64 s0, s28, v34
	v_cndmask_b32_e64 v49, 0, v49, s0
	;; [unrolled: 5-line block ×4, first 2 shown]
.LBB193_97:                             ;   in Loop: Header=BB193_29 Depth=1
	s_or_b32 exec_lo, exec_lo, s6
	v_lshlrev_b32_e32 v1, 16, v1
	s_delay_alu instid0(VALU_DEP_1) | instskip(NEXT) | instid1(VALU_DEP_1)
	v_mul_f32_e32 v1, v38, v1
	v_and_b32_e32 v46, 0x7f800000, v1
	s_delay_alu instid0(VALU_DEP_1) | instskip(NEXT) | instid1(VALU_DEP_1)
	v_cmp_ne_u32_e64 s0, 0x7f800000, v46
                                        ; implicit-def: $vgpr46
	s_and_saveexec_b32 s6, s0
	s_delay_alu instid0(SALU_CYCLE_1)
	s_xor_b32 s0, exec_lo, s6
; %bb.98:                               ;   in Loop: Header=BB193_29 Depth=1
	v_bfe_u32 v46, v1, 16, 1
	s_delay_alu instid0(VALU_DEP_1)
	v_add3_u32 v46, v1, v46, 0x7fff
                                        ; implicit-def: $vgpr1
; %bb.99:                               ;   in Loop: Header=BB193_29 Depth=1
	s_and_not1_saveexec_b32 s6, s0
; %bb.100:                              ;   in Loop: Header=BB193_29 Depth=1
	v_and_b32_e32 v46, 0xffff, v1
	v_or_b32_e32 v48, 0x10000, v1
	s_delay_alu instid0(VALU_DEP_2) | instskip(NEXT) | instid1(VALU_DEP_1)
	v_cmp_eq_u32_e64 s0, 0, v46
	v_cndmask_b32_e64 v46, v48, v1, s0
; %bb.101:                              ;   in Loop: Header=BB193_29 Depth=1
	s_or_b32 exec_lo, exec_lo, s6
	v_lshlrev_b32_e32 v1, 16, v47
	s_delay_alu instid0(VALU_DEP_1) | instskip(NEXT) | instid1(VALU_DEP_1)
	v_mul_f32_e32 v1, v39, v1
	v_and_b32_e32 v47, 0x7f800000, v1
	s_delay_alu instid0(VALU_DEP_1) | instskip(NEXT) | instid1(VALU_DEP_1)
	v_cmp_ne_u32_e64 s0, 0x7f800000, v47
                                        ; implicit-def: $vgpr47
	s_and_saveexec_b32 s6, s0
	s_delay_alu instid0(SALU_CYCLE_1)
	s_xor_b32 s0, exec_lo, s6
; %bb.102:                              ;   in Loop: Header=BB193_29 Depth=1
	v_bfe_u32 v47, v1, 16, 1
	s_delay_alu instid0(VALU_DEP_1)
	v_add3_u32 v47, v1, v47, 0x7fff
                                        ; implicit-def: $vgpr1
; %bb.103:                              ;   in Loop: Header=BB193_29 Depth=1
	s_and_not1_saveexec_b32 s6, s0
; %bb.104:                              ;   in Loop: Header=BB193_29 Depth=1
	v_and_b32_e32 v47, 0xffff, v1
	v_or_b32_e32 v48, 0x10000, v1
	s_delay_alu instid0(VALU_DEP_2) | instskip(NEXT) | instid1(VALU_DEP_1)
	v_cmp_eq_u32_e64 s0, 0, v47
	v_cndmask_b32_e64 v47, v48, v1, s0
; %bb.105:                              ;   in Loop: Header=BB193_29 Depth=1
	s_or_b32 exec_lo, exec_lo, s6
	v_lshlrev_b32_e32 v1, 16, v2
                                        ; implicit-def: $vgpr48
	s_delay_alu instid0(VALU_DEP_1) | instskip(NEXT) | instid1(VALU_DEP_1)
	v_mul_f32_e32 v1, v40, v1
	v_and_b32_e32 v2, 0x7f800000, v1
	s_delay_alu instid0(VALU_DEP_1) | instskip(NEXT) | instid1(VALU_DEP_1)
	v_cmp_ne_u32_e64 s0, 0x7f800000, v2
	s_and_saveexec_b32 s6, s0
	s_delay_alu instid0(SALU_CYCLE_1)
	s_xor_b32 s0, exec_lo, s6
; %bb.106:                              ;   in Loop: Header=BB193_29 Depth=1
	v_bfe_u32 v2, v1, 16, 1
	s_delay_alu instid0(VALU_DEP_1)
	v_add3_u32 v48, v1, v2, 0x7fff
                                        ; implicit-def: $vgpr1
; %bb.107:                              ;   in Loop: Header=BB193_29 Depth=1
	s_and_not1_saveexec_b32 s6, s0
; %bb.108:                              ;   in Loop: Header=BB193_29 Depth=1
	v_and_b32_e32 v2, 0xffff, v1
	v_or_b32_e32 v48, 0x10000, v1
	s_delay_alu instid0(VALU_DEP_2) | instskip(NEXT) | instid1(VALU_DEP_1)
	v_cmp_eq_u32_e64 s0, 0, v2
	v_cndmask_b32_e64 v48, v48, v1, s0
; %bb.109:                              ;   in Loop: Header=BB193_29 Depth=1
	s_or_b32 exec_lo, exec_lo, s6
	v_lshlrev_b32_e32 v1, 16, v49
                                        ; implicit-def: $vgpr49
	s_delay_alu instid0(VALU_DEP_1) | instskip(NEXT) | instid1(VALU_DEP_1)
	v_mul_f32_e32 v1, v41, v1
	v_and_b32_e32 v2, 0x7f800000, v1
	s_delay_alu instid0(VALU_DEP_1) | instskip(NEXT) | instid1(VALU_DEP_1)
	v_cmp_ne_u32_e64 s0, 0x7f800000, v2
	s_and_saveexec_b32 s6, s0
	s_delay_alu instid0(SALU_CYCLE_1)
	s_xor_b32 s0, exec_lo, s6
; %bb.110:                              ;   in Loop: Header=BB193_29 Depth=1
	v_bfe_u32 v2, v1, 16, 1
	s_delay_alu instid0(VALU_DEP_1)
	v_add3_u32 v49, v1, v2, 0x7fff
                                        ; implicit-def: $vgpr1
; %bb.111:                              ;   in Loop: Header=BB193_29 Depth=1
	s_and_not1_saveexec_b32 s6, s0
; %bb.112:                              ;   in Loop: Header=BB193_29 Depth=1
	v_and_b32_e32 v2, 0xffff, v1
	v_or_b32_e32 v49, 0x10000, v1
	s_delay_alu instid0(VALU_DEP_2) | instskip(NEXT) | instid1(VALU_DEP_1)
	v_cmp_eq_u32_e64 s0, 0, v2
	v_cndmask_b32_e64 v49, v49, v1, s0
; %bb.113:                              ;   in Loop: Header=BB193_29 Depth=1
	s_or_b32 exec_lo, exec_lo, s6
	v_lshlrev_b32_e32 v1, 16, v3
                                        ; implicit-def: $vgpr50
	s_delay_alu instid0(VALU_DEP_1) | instskip(NEXT) | instid1(VALU_DEP_1)
	v_mul_f32_e32 v1, v42, v1
	v_and_b32_e32 v2, 0x7f800000, v1
	s_delay_alu instid0(VALU_DEP_1) | instskip(NEXT) | instid1(VALU_DEP_1)
	v_cmp_ne_u32_e64 s0, 0x7f800000, v2
	s_and_saveexec_b32 s6, s0
	s_delay_alu instid0(SALU_CYCLE_1)
	s_xor_b32 s0, exec_lo, s6
; %bb.114:                              ;   in Loop: Header=BB193_29 Depth=1
	v_bfe_u32 v2, v1, 16, 1
	s_delay_alu instid0(VALU_DEP_1)
	v_add3_u32 v50, v1, v2, 0x7fff
                                        ; implicit-def: $vgpr1
; %bb.115:                              ;   in Loop: Header=BB193_29 Depth=1
	s_and_not1_saveexec_b32 s6, s0
; %bb.116:                              ;   in Loop: Header=BB193_29 Depth=1
	v_and_b32_e32 v2, 0xffff, v1
	v_or_b32_e32 v3, 0x10000, v1
	s_delay_alu instid0(VALU_DEP_2) | instskip(NEXT) | instid1(VALU_DEP_1)
	v_cmp_eq_u32_e64 s0, 0, v2
	v_cndmask_b32_e64 v50, v3, v1, s0
; %bb.117:                              ;   in Loop: Header=BB193_29 Depth=1
	s_or_b32 exec_lo, exec_lo, s6
	v_lshlrev_b32_e32 v1, 16, v51
                                        ; implicit-def: $vgpr51
	s_delay_alu instid0(VALU_DEP_1) | instskip(NEXT) | instid1(VALU_DEP_1)
	v_mul_f32_e32 v1, v43, v1
	v_and_b32_e32 v2, 0x7f800000, v1
	s_delay_alu instid0(VALU_DEP_1) | instskip(NEXT) | instid1(VALU_DEP_1)
	v_cmp_ne_u32_e64 s0, 0x7f800000, v2
	s_and_saveexec_b32 s6, s0
	s_delay_alu instid0(SALU_CYCLE_1)
	s_xor_b32 s0, exec_lo, s6
; %bb.118:                              ;   in Loop: Header=BB193_29 Depth=1
	v_bfe_u32 v2, v1, 16, 1
	s_delay_alu instid0(VALU_DEP_1)
	v_add3_u32 v51, v1, v2, 0x7fff
                                        ; implicit-def: $vgpr1
; %bb.119:                              ;   in Loop: Header=BB193_29 Depth=1
	s_and_not1_saveexec_b32 s6, s0
; %bb.120:                              ;   in Loop: Header=BB193_29 Depth=1
	v_and_b32_e32 v2, 0xffff, v1
	v_or_b32_e32 v3, 0x10000, v1
	s_delay_alu instid0(VALU_DEP_2) | instskip(NEXT) | instid1(VALU_DEP_1)
	v_cmp_eq_u32_e64 s0, 0, v2
	v_cndmask_b32_e64 v51, v3, v1, s0
; %bb.121:                              ;   in Loop: Header=BB193_29 Depth=1
	s_or_b32 exec_lo, exec_lo, s6
	v_lshlrev_b32_e32 v1, 16, v4
                                        ; implicit-def: $vgpr52
	s_delay_alu instid0(VALU_DEP_1) | instskip(NEXT) | instid1(VALU_DEP_1)
	v_mul_f32_e32 v1, v44, v1
	v_and_b32_e32 v2, 0x7f800000, v1
	s_delay_alu instid0(VALU_DEP_1) | instskip(NEXT) | instid1(VALU_DEP_1)
	v_cmp_ne_u32_e64 s0, 0x7f800000, v2
	s_and_saveexec_b32 s6, s0
	s_delay_alu instid0(SALU_CYCLE_1)
	s_xor_b32 s0, exec_lo, s6
; %bb.122:                              ;   in Loop: Header=BB193_29 Depth=1
	v_bfe_u32 v2, v1, 16, 1
	s_delay_alu instid0(VALU_DEP_1)
	v_add3_u32 v52, v1, v2, 0x7fff
                                        ; implicit-def: $vgpr1
; %bb.123:                              ;   in Loop: Header=BB193_29 Depth=1
	s_and_not1_saveexec_b32 s6, s0
; %bb.124:                              ;   in Loop: Header=BB193_29 Depth=1
	v_and_b32_e32 v2, 0xffff, v1
	v_or_b32_e32 v3, 0x10000, v1
	s_delay_alu instid0(VALU_DEP_2) | instskip(NEXT) | instid1(VALU_DEP_1)
	v_cmp_eq_u32_e64 s0, 0, v2
	v_cndmask_b32_e64 v52, v3, v1, s0
; %bb.125:                              ;   in Loop: Header=BB193_29 Depth=1
	s_or_b32 exec_lo, exec_lo, s6
	v_lshlrev_b32_e32 v1, 16, v53
                                        ; implicit-def: $vgpr53
	s_delay_alu instid0(VALU_DEP_1) | instskip(NEXT) | instid1(VALU_DEP_1)
	v_mul_f32_e32 v1, v45, v1
	v_and_b32_e32 v2, 0x7f800000, v1
	s_delay_alu instid0(VALU_DEP_1) | instskip(NEXT) | instid1(VALU_DEP_1)
	v_cmp_ne_u32_e64 s0, 0x7f800000, v2
	s_and_saveexec_b32 s6, s0
	s_delay_alu instid0(SALU_CYCLE_1)
	s_xor_b32 s0, exec_lo, s6
; %bb.126:                              ;   in Loop: Header=BB193_29 Depth=1
	v_bfe_u32 v2, v1, 16, 1
	s_delay_alu instid0(VALU_DEP_1)
	v_add3_u32 v53, v1, v2, 0x7fff
                                        ; implicit-def: $vgpr1
; %bb.127:                              ;   in Loop: Header=BB193_29 Depth=1
	s_and_not1_saveexec_b32 s6, s0
; %bb.128:                              ;   in Loop: Header=BB193_29 Depth=1
	v_and_b32_e32 v2, 0xffff, v1
	v_or_b32_e32 v3, 0x10000, v1
	s_delay_alu instid0(VALU_DEP_2) | instskip(NEXT) | instid1(VALU_DEP_1)
	v_cmp_eq_u32_e64 s0, 0, v2
	v_cndmask_b32_e64 v53, v3, v1, s0
; %bb.129:                              ;   in Loop: Header=BB193_29 Depth=1
	s_or_b32 exec_lo, exec_lo, s6
	global_load_b128 v[1:4], v[5:6], off offset:1024
	s_waitcnt vmcnt(0)
	v_lshrrev_b32_e32 v55, 16, v1
	v_lshrrev_b32_e32 v57, 16, v2
	;; [unrolled: 1-line block ×4, first 2 shown]
	s_and_saveexec_b32 s6, vcc_lo
	s_cbranch_execz .LBB193_131
; %bb.130:                              ;   in Loop: Header=BB193_29 Depth=1
	v_cmp_gt_i32_e64 s0, s28, v31
	s_delay_alu instid0(VALU_DEP_1) | instskip(SKIP_1) | instid1(VALU_DEP_1)
	v_cndmask_b32_e64 v1, 0, v1, s0
	v_cmp_gt_i32_e64 s0, s28, v37
	v_cndmask_b32_e64 v55, 0, v55, s0
	v_cmp_gt_i32_e64 s0, s28, v35
	s_delay_alu instid0(VALU_DEP_1) | instskip(SKIP_1) | instid1(VALU_DEP_1)
	v_cndmask_b32_e64 v2, 0, v2, s0
	v_cmp_gt_i32_e64 s0, s28, v34
	v_cndmask_b32_e64 v57, 0, v57, s0
	v_cmp_gt_i32_e64 s0, s28, v33
	s_delay_alu instid0(VALU_DEP_1) | instskip(SKIP_1) | instid1(VALU_DEP_1)
	v_cndmask_b32_e64 v3, 0, v3, s0
	v_cmp_gt_i32_e64 s0, s28, v32
	v_cndmask_b32_e64 v59, 0, v59, s0
	v_cmp_gt_i32_e64 s0, s28, v36
	s_delay_alu instid0(VALU_DEP_1) | instskip(SKIP_1) | instid1(VALU_DEP_1)
	v_cndmask_b32_e64 v4, 0, v4, s0
	v_cmp_gt_i32_e64 s0, s28, v23
	v_cndmask_b32_e64 v61, 0, v61, s0
.LBB193_131:                            ;   in Loop: Header=BB193_29 Depth=1
	s_or_b32 exec_lo, exec_lo, s6
	v_lshlrev_b32_e32 v1, 16, v1
	s_delay_alu instid0(VALU_DEP_1) | instskip(NEXT) | instid1(VALU_DEP_1)
	v_mul_f32_e32 v1, v38, v1
	v_and_b32_e32 v54, 0x7f800000, v1
	s_delay_alu instid0(VALU_DEP_1) | instskip(NEXT) | instid1(VALU_DEP_1)
	v_cmp_ne_u32_e64 s0, 0x7f800000, v54
                                        ; implicit-def: $vgpr54
	s_and_saveexec_b32 s6, s0
	s_delay_alu instid0(SALU_CYCLE_1)
	s_xor_b32 s0, exec_lo, s6
; %bb.132:                              ;   in Loop: Header=BB193_29 Depth=1
	v_bfe_u32 v54, v1, 16, 1
	s_delay_alu instid0(VALU_DEP_1)
	v_add3_u32 v54, v1, v54, 0x7fff
                                        ; implicit-def: $vgpr1
; %bb.133:                              ;   in Loop: Header=BB193_29 Depth=1
	s_and_not1_saveexec_b32 s6, s0
; %bb.134:                              ;   in Loop: Header=BB193_29 Depth=1
	v_and_b32_e32 v54, 0xffff, v1
	v_or_b32_e32 v56, 0x10000, v1
	s_delay_alu instid0(VALU_DEP_2) | instskip(NEXT) | instid1(VALU_DEP_1)
	v_cmp_eq_u32_e64 s0, 0, v54
	v_cndmask_b32_e64 v54, v56, v1, s0
; %bb.135:                              ;   in Loop: Header=BB193_29 Depth=1
	s_or_b32 exec_lo, exec_lo, s6
	v_lshlrev_b32_e32 v1, 16, v55
	s_delay_alu instid0(VALU_DEP_1) | instskip(NEXT) | instid1(VALU_DEP_1)
	v_mul_f32_e32 v1, v39, v1
	v_and_b32_e32 v55, 0x7f800000, v1
	s_delay_alu instid0(VALU_DEP_1) | instskip(NEXT) | instid1(VALU_DEP_1)
	v_cmp_ne_u32_e64 s0, 0x7f800000, v55
                                        ; implicit-def: $vgpr55
	s_and_saveexec_b32 s6, s0
	s_delay_alu instid0(SALU_CYCLE_1)
	s_xor_b32 s0, exec_lo, s6
; %bb.136:                              ;   in Loop: Header=BB193_29 Depth=1
	v_bfe_u32 v55, v1, 16, 1
	s_delay_alu instid0(VALU_DEP_1)
	v_add3_u32 v55, v1, v55, 0x7fff
                                        ; implicit-def: $vgpr1
; %bb.137:                              ;   in Loop: Header=BB193_29 Depth=1
	s_and_not1_saveexec_b32 s6, s0
; %bb.138:                              ;   in Loop: Header=BB193_29 Depth=1
	v_and_b32_e32 v55, 0xffff, v1
	v_or_b32_e32 v56, 0x10000, v1
	s_delay_alu instid0(VALU_DEP_2) | instskip(NEXT) | instid1(VALU_DEP_1)
	v_cmp_eq_u32_e64 s0, 0, v55
	v_cndmask_b32_e64 v55, v56, v1, s0
; %bb.139:                              ;   in Loop: Header=BB193_29 Depth=1
	s_or_b32 exec_lo, exec_lo, s6
	v_lshlrev_b32_e32 v1, 16, v2
                                        ; implicit-def: $vgpr56
	s_delay_alu instid0(VALU_DEP_1) | instskip(NEXT) | instid1(VALU_DEP_1)
	v_mul_f32_e32 v1, v40, v1
	v_and_b32_e32 v2, 0x7f800000, v1
	s_delay_alu instid0(VALU_DEP_1) | instskip(NEXT) | instid1(VALU_DEP_1)
	v_cmp_ne_u32_e64 s0, 0x7f800000, v2
	s_and_saveexec_b32 s6, s0
	s_delay_alu instid0(SALU_CYCLE_1)
	s_xor_b32 s0, exec_lo, s6
; %bb.140:                              ;   in Loop: Header=BB193_29 Depth=1
	v_bfe_u32 v2, v1, 16, 1
	s_delay_alu instid0(VALU_DEP_1)
	v_add3_u32 v56, v1, v2, 0x7fff
                                        ; implicit-def: $vgpr1
; %bb.141:                              ;   in Loop: Header=BB193_29 Depth=1
	s_and_not1_saveexec_b32 s6, s0
; %bb.142:                              ;   in Loop: Header=BB193_29 Depth=1
	v_and_b32_e32 v2, 0xffff, v1
	v_or_b32_e32 v56, 0x10000, v1
	s_delay_alu instid0(VALU_DEP_2) | instskip(NEXT) | instid1(VALU_DEP_1)
	v_cmp_eq_u32_e64 s0, 0, v2
	v_cndmask_b32_e64 v56, v56, v1, s0
; %bb.143:                              ;   in Loop: Header=BB193_29 Depth=1
	s_or_b32 exec_lo, exec_lo, s6
	v_lshlrev_b32_e32 v1, 16, v57
                                        ; implicit-def: $vgpr57
	s_delay_alu instid0(VALU_DEP_1) | instskip(NEXT) | instid1(VALU_DEP_1)
	v_mul_f32_e32 v1, v41, v1
	v_and_b32_e32 v2, 0x7f800000, v1
	s_delay_alu instid0(VALU_DEP_1) | instskip(NEXT) | instid1(VALU_DEP_1)
	v_cmp_ne_u32_e64 s0, 0x7f800000, v2
	s_and_saveexec_b32 s6, s0
	s_delay_alu instid0(SALU_CYCLE_1)
	s_xor_b32 s0, exec_lo, s6
; %bb.144:                              ;   in Loop: Header=BB193_29 Depth=1
	v_bfe_u32 v2, v1, 16, 1
	s_delay_alu instid0(VALU_DEP_1)
	v_add3_u32 v57, v1, v2, 0x7fff
                                        ; implicit-def: $vgpr1
; %bb.145:                              ;   in Loop: Header=BB193_29 Depth=1
	s_and_not1_saveexec_b32 s6, s0
; %bb.146:                              ;   in Loop: Header=BB193_29 Depth=1
	v_and_b32_e32 v2, 0xffff, v1
	v_or_b32_e32 v57, 0x10000, v1
	s_delay_alu instid0(VALU_DEP_2) | instskip(NEXT) | instid1(VALU_DEP_1)
	v_cmp_eq_u32_e64 s0, 0, v2
	v_cndmask_b32_e64 v57, v57, v1, s0
; %bb.147:                              ;   in Loop: Header=BB193_29 Depth=1
	s_or_b32 exec_lo, exec_lo, s6
	v_lshlrev_b32_e32 v1, 16, v3
                                        ; implicit-def: $vgpr58
	s_delay_alu instid0(VALU_DEP_1) | instskip(NEXT) | instid1(VALU_DEP_1)
	v_mul_f32_e32 v1, v42, v1
	v_and_b32_e32 v2, 0x7f800000, v1
	s_delay_alu instid0(VALU_DEP_1) | instskip(NEXT) | instid1(VALU_DEP_1)
	v_cmp_ne_u32_e64 s0, 0x7f800000, v2
	s_and_saveexec_b32 s6, s0
	s_delay_alu instid0(SALU_CYCLE_1)
	s_xor_b32 s0, exec_lo, s6
; %bb.148:                              ;   in Loop: Header=BB193_29 Depth=1
	v_bfe_u32 v2, v1, 16, 1
	s_delay_alu instid0(VALU_DEP_1)
	v_add3_u32 v58, v1, v2, 0x7fff
                                        ; implicit-def: $vgpr1
; %bb.149:                              ;   in Loop: Header=BB193_29 Depth=1
	s_and_not1_saveexec_b32 s6, s0
; %bb.150:                              ;   in Loop: Header=BB193_29 Depth=1
	v_and_b32_e32 v2, 0xffff, v1
	v_or_b32_e32 v3, 0x10000, v1
	s_delay_alu instid0(VALU_DEP_2) | instskip(NEXT) | instid1(VALU_DEP_1)
	v_cmp_eq_u32_e64 s0, 0, v2
	v_cndmask_b32_e64 v58, v3, v1, s0
; %bb.151:                              ;   in Loop: Header=BB193_29 Depth=1
	s_or_b32 exec_lo, exec_lo, s6
	v_lshlrev_b32_e32 v1, 16, v59
                                        ; implicit-def: $vgpr59
	s_delay_alu instid0(VALU_DEP_1) | instskip(NEXT) | instid1(VALU_DEP_1)
	v_mul_f32_e32 v1, v43, v1
	v_and_b32_e32 v2, 0x7f800000, v1
	s_delay_alu instid0(VALU_DEP_1) | instskip(NEXT) | instid1(VALU_DEP_1)
	v_cmp_ne_u32_e64 s0, 0x7f800000, v2
	s_and_saveexec_b32 s6, s0
	s_delay_alu instid0(SALU_CYCLE_1)
	s_xor_b32 s0, exec_lo, s6
; %bb.152:                              ;   in Loop: Header=BB193_29 Depth=1
	v_bfe_u32 v2, v1, 16, 1
	s_delay_alu instid0(VALU_DEP_1)
	v_add3_u32 v59, v1, v2, 0x7fff
                                        ; implicit-def: $vgpr1
; %bb.153:                              ;   in Loop: Header=BB193_29 Depth=1
	s_and_not1_saveexec_b32 s6, s0
; %bb.154:                              ;   in Loop: Header=BB193_29 Depth=1
	v_and_b32_e32 v2, 0xffff, v1
	v_or_b32_e32 v3, 0x10000, v1
	s_delay_alu instid0(VALU_DEP_2) | instskip(NEXT) | instid1(VALU_DEP_1)
	v_cmp_eq_u32_e64 s0, 0, v2
	v_cndmask_b32_e64 v59, v3, v1, s0
; %bb.155:                              ;   in Loop: Header=BB193_29 Depth=1
	s_or_b32 exec_lo, exec_lo, s6
	v_lshlrev_b32_e32 v1, 16, v4
                                        ; implicit-def: $vgpr60
	s_delay_alu instid0(VALU_DEP_1) | instskip(NEXT) | instid1(VALU_DEP_1)
	v_mul_f32_e32 v1, v44, v1
	v_and_b32_e32 v2, 0x7f800000, v1
	s_delay_alu instid0(VALU_DEP_1) | instskip(NEXT) | instid1(VALU_DEP_1)
	v_cmp_ne_u32_e64 s0, 0x7f800000, v2
	s_and_saveexec_b32 s6, s0
	s_delay_alu instid0(SALU_CYCLE_1)
	s_xor_b32 s0, exec_lo, s6
; %bb.156:                              ;   in Loop: Header=BB193_29 Depth=1
	v_bfe_u32 v2, v1, 16, 1
	s_delay_alu instid0(VALU_DEP_1)
	v_add3_u32 v60, v1, v2, 0x7fff
                                        ; implicit-def: $vgpr1
; %bb.157:                              ;   in Loop: Header=BB193_29 Depth=1
	s_and_not1_saveexec_b32 s6, s0
; %bb.158:                              ;   in Loop: Header=BB193_29 Depth=1
	v_and_b32_e32 v2, 0xffff, v1
	v_or_b32_e32 v3, 0x10000, v1
	s_delay_alu instid0(VALU_DEP_2) | instskip(NEXT) | instid1(VALU_DEP_1)
	v_cmp_eq_u32_e64 s0, 0, v2
	v_cndmask_b32_e64 v60, v3, v1, s0
; %bb.159:                              ;   in Loop: Header=BB193_29 Depth=1
	s_or_b32 exec_lo, exec_lo, s6
	v_lshlrev_b32_e32 v1, 16, v61
                                        ; implicit-def: $vgpr61
	s_delay_alu instid0(VALU_DEP_1) | instskip(NEXT) | instid1(VALU_DEP_1)
	v_mul_f32_e32 v1, v45, v1
	v_and_b32_e32 v2, 0x7f800000, v1
	s_delay_alu instid0(VALU_DEP_1) | instskip(NEXT) | instid1(VALU_DEP_1)
	v_cmp_ne_u32_e64 s0, 0x7f800000, v2
	s_and_saveexec_b32 s6, s0
	s_delay_alu instid0(SALU_CYCLE_1)
	s_xor_b32 s0, exec_lo, s6
; %bb.160:                              ;   in Loop: Header=BB193_29 Depth=1
	v_bfe_u32 v2, v1, 16, 1
	s_delay_alu instid0(VALU_DEP_1)
	v_add3_u32 v61, v1, v2, 0x7fff
                                        ; implicit-def: $vgpr1
; %bb.161:                              ;   in Loop: Header=BB193_29 Depth=1
	s_and_not1_saveexec_b32 s6, s0
; %bb.162:                              ;   in Loop: Header=BB193_29 Depth=1
	v_and_b32_e32 v2, 0xffff, v1
	v_or_b32_e32 v3, 0x10000, v1
	s_delay_alu instid0(VALU_DEP_2) | instskip(NEXT) | instid1(VALU_DEP_1)
	v_cmp_eq_u32_e64 s0, 0, v2
	v_cndmask_b32_e64 v61, v3, v1, s0
; %bb.163:                              ;   in Loop: Header=BB193_29 Depth=1
	s_or_b32 exec_lo, exec_lo, s6
	global_load_b128 v[1:4], v[5:6], off offset:1536
	s_waitcnt vmcnt(0)
	v_lshrrev_b32_e32 v5, 16, v1
	v_lshrrev_b32_e32 v63, 16, v2
	;; [unrolled: 1-line block ×4, first 2 shown]
	s_and_saveexec_b32 s0, vcc_lo
	s_cbranch_execz .LBB193_165
; %bb.164:                              ;   in Loop: Header=BB193_29 Depth=1
	v_cmp_gt_i32_e32 vcc_lo, s28, v31
	v_cndmask_b32_e32 v1, 0, v1, vcc_lo
	v_cmp_gt_i32_e32 vcc_lo, s28, v37
	v_cndmask_b32_e32 v5, 0, v5, vcc_lo
	;; [unrolled: 2-line block ×8, first 2 shown]
.LBB193_165:                            ;   in Loop: Header=BB193_29 Depth=1
	s_or_b32 exec_lo, exec_lo, s0
	v_lshlrev_b32_e32 v1, 16, v1
	s_delay_alu instid0(VALU_DEP_1) | instskip(NEXT) | instid1(VALU_DEP_1)
	v_mul_f32_e32 v31, v38, v1
	v_and_b32_e32 v1, 0x7f800000, v31
	s_delay_alu instid0(VALU_DEP_1) | instskip(SKIP_1) | instid1(SALU_CYCLE_1)
	v_cmp_ne_u32_e32 vcc_lo, 0x7f800000, v1
                                        ; implicit-def: $vgpr1
	s_and_saveexec_b32 s0, vcc_lo
	s_xor_b32 s0, exec_lo, s0
; %bb.166:                              ;   in Loop: Header=BB193_29 Depth=1
	v_bfe_u32 v1, v31, 16, 1
	s_delay_alu instid0(VALU_DEP_1)
	v_add3_u32 v1, v31, v1, 0x7fff
                                        ; implicit-def: $vgpr31
; %bb.167:                              ;   in Loop: Header=BB193_29 Depth=1
	s_and_not1_saveexec_b32 s0, s0
; %bb.168:                              ;   in Loop: Header=BB193_29 Depth=1
	v_and_b32_e32 v1, 0xffff, v31
	v_or_b32_e32 v32, 0x10000, v31
	s_delay_alu instid0(VALU_DEP_2) | instskip(NEXT) | instid1(VALU_DEP_2)
	v_cmp_eq_u32_e32 vcc_lo, 0, v1
	v_cndmask_b32_e32 v1, v32, v31, vcc_lo
; %bb.169:                              ;   in Loop: Header=BB193_29 Depth=1
	s_or_b32 exec_lo, exec_lo, s0
	v_lshlrev_b32_e32 v5, 16, v5
	s_delay_alu instid0(VALU_DEP_1) | instskip(NEXT) | instid1(VALU_DEP_1)
	v_mul_f32_e32 v31, v39, v5
	v_and_b32_e32 v5, 0x7f800000, v31
	s_delay_alu instid0(VALU_DEP_1) | instskip(SKIP_1) | instid1(SALU_CYCLE_1)
	v_cmp_ne_u32_e32 vcc_lo, 0x7f800000, v5
                                        ; implicit-def: $vgpr5
	s_and_saveexec_b32 s0, vcc_lo
	s_xor_b32 s0, exec_lo, s0
; %bb.170:                              ;   in Loop: Header=BB193_29 Depth=1
	v_bfe_u32 v5, v31, 16, 1
	s_delay_alu instid0(VALU_DEP_1)
	v_add3_u32 v5, v31, v5, 0x7fff
                                        ; implicit-def: $vgpr31
; %bb.171:                              ;   in Loop: Header=BB193_29 Depth=1
	s_and_not1_saveexec_b32 s0, s0
; %bb.172:                              ;   in Loop: Header=BB193_29 Depth=1
	v_and_b32_e32 v5, 0xffff, v31
	v_or_b32_e32 v32, 0x10000, v31
	s_delay_alu instid0(VALU_DEP_2) | instskip(NEXT) | instid1(VALU_DEP_2)
	v_cmp_eq_u32_e32 vcc_lo, 0, v5
	v_cndmask_b32_e32 v5, v32, v31, vcc_lo
; %bb.173:                              ;   in Loop: Header=BB193_29 Depth=1
	s_or_b32 exec_lo, exec_lo, s0
	v_lshlrev_b32_e32 v2, 16, v2
	s_delay_alu instid0(VALU_DEP_1) | instskip(NEXT) | instid1(VALU_DEP_1)
	v_mul_f32_e32 v31, v40, v2
	v_and_b32_e32 v2, 0x7f800000, v31
	s_delay_alu instid0(VALU_DEP_1) | instskip(SKIP_1) | instid1(SALU_CYCLE_1)
	v_cmp_ne_u32_e32 vcc_lo, 0x7f800000, v2
                                        ; implicit-def: $vgpr2
	s_and_saveexec_b32 s0, vcc_lo
	s_xor_b32 s0, exec_lo, s0
; %bb.174:                              ;   in Loop: Header=BB193_29 Depth=1
	v_bfe_u32 v2, v31, 16, 1
	s_delay_alu instid0(VALU_DEP_1)
	v_add3_u32 v2, v31, v2, 0x7fff
                                        ; implicit-def: $vgpr31
; %bb.175:                              ;   in Loop: Header=BB193_29 Depth=1
	s_and_not1_saveexec_b32 s0, s0
; %bb.176:                              ;   in Loop: Header=BB193_29 Depth=1
	v_and_b32_e32 v2, 0xffff, v31
	v_or_b32_e32 v32, 0x10000, v31
	s_delay_alu instid0(VALU_DEP_2) | instskip(NEXT) | instid1(VALU_DEP_2)
	v_cmp_eq_u32_e32 vcc_lo, 0, v2
	v_cndmask_b32_e32 v2, v32, v31, vcc_lo
; %bb.177:                              ;   in Loop: Header=BB193_29 Depth=1
	s_or_b32 exec_lo, exec_lo, s0
	v_lshlrev_b32_e32 v31, 16, v63
	s_delay_alu instid0(VALU_DEP_1) | instskip(NEXT) | instid1(VALU_DEP_1)
	v_mul_f32_e32 v32, v41, v31
	v_and_b32_e32 v31, 0x7f800000, v32
	s_delay_alu instid0(VALU_DEP_1) | instskip(SKIP_1) | instid1(SALU_CYCLE_1)
	v_cmp_ne_u32_e32 vcc_lo, 0x7f800000, v31
                                        ; implicit-def: $vgpr31
	s_and_saveexec_b32 s0, vcc_lo
	s_xor_b32 s0, exec_lo, s0
; %bb.178:                              ;   in Loop: Header=BB193_29 Depth=1
	v_bfe_u32 v31, v32, 16, 1
	s_delay_alu instid0(VALU_DEP_1)
	v_add3_u32 v31, v32, v31, 0x7fff
                                        ; implicit-def: $vgpr32
; %bb.179:                              ;   in Loop: Header=BB193_29 Depth=1
	s_and_not1_saveexec_b32 s0, s0
; %bb.180:                              ;   in Loop: Header=BB193_29 Depth=1
	v_and_b32_e32 v31, 0xffff, v32
	v_or_b32_e32 v33, 0x10000, v32
	s_delay_alu instid0(VALU_DEP_2) | instskip(NEXT) | instid1(VALU_DEP_2)
	v_cmp_eq_u32_e32 vcc_lo, 0, v31
	v_cndmask_b32_e32 v31, v33, v32, vcc_lo
; %bb.181:                              ;   in Loop: Header=BB193_29 Depth=1
	s_or_b32 exec_lo, exec_lo, s0
	v_lshlrev_b32_e32 v3, 16, v3
	s_delay_alu instid0(VALU_DEP_1) | instskip(NEXT) | instid1(VALU_DEP_1)
	v_mul_f32_e32 v32, v42, v3
	v_and_b32_e32 v3, 0x7f800000, v32
	s_delay_alu instid0(VALU_DEP_1) | instskip(SKIP_1) | instid1(SALU_CYCLE_1)
	v_cmp_ne_u32_e32 vcc_lo, 0x7f800000, v3
                                        ; implicit-def: $vgpr3
	s_and_saveexec_b32 s0, vcc_lo
	s_xor_b32 s0, exec_lo, s0
; %bb.182:                              ;   in Loop: Header=BB193_29 Depth=1
	v_bfe_u32 v3, v32, 16, 1
	s_delay_alu instid0(VALU_DEP_1)
	v_add3_u32 v3, v32, v3, 0x7fff
                                        ; implicit-def: $vgpr32
; %bb.183:                              ;   in Loop: Header=BB193_29 Depth=1
	s_and_not1_saveexec_b32 s0, s0
; %bb.184:                              ;   in Loop: Header=BB193_29 Depth=1
	v_and_b32_e32 v3, 0xffff, v32
	v_or_b32_e32 v33, 0x10000, v32
	s_delay_alu instid0(VALU_DEP_2) | instskip(NEXT) | instid1(VALU_DEP_2)
	v_cmp_eq_u32_e32 vcc_lo, 0, v3
	v_cndmask_b32_e32 v3, v33, v32, vcc_lo
; %bb.185:                              ;   in Loop: Header=BB193_29 Depth=1
	s_or_b32 exec_lo, exec_lo, s0
	v_lshlrev_b32_e32 v32, 16, v62
	s_delay_alu instid0(VALU_DEP_1) | instskip(NEXT) | instid1(VALU_DEP_1)
	v_mul_f32_e32 v33, v43, v32
	v_and_b32_e32 v32, 0x7f800000, v33
	s_delay_alu instid0(VALU_DEP_1) | instskip(SKIP_1) | instid1(SALU_CYCLE_1)
	v_cmp_ne_u32_e32 vcc_lo, 0x7f800000, v32
                                        ; implicit-def: $vgpr32
	s_and_saveexec_b32 s0, vcc_lo
	s_xor_b32 s0, exec_lo, s0
; %bb.186:                              ;   in Loop: Header=BB193_29 Depth=1
	v_bfe_u32 v32, v33, 16, 1
	s_delay_alu instid0(VALU_DEP_1)
	v_add3_u32 v32, v33, v32, 0x7fff
                                        ; implicit-def: $vgpr33
; %bb.187:                              ;   in Loop: Header=BB193_29 Depth=1
	s_and_not1_saveexec_b32 s0, s0
; %bb.188:                              ;   in Loop: Header=BB193_29 Depth=1
	v_and_b32_e32 v32, 0xffff, v33
	v_or_b32_e32 v34, 0x10000, v33
	s_delay_alu instid0(VALU_DEP_2) | instskip(NEXT) | instid1(VALU_DEP_2)
	v_cmp_eq_u32_e32 vcc_lo, 0, v32
	v_cndmask_b32_e32 v32, v34, v33, vcc_lo
; %bb.189:                              ;   in Loop: Header=BB193_29 Depth=1
	s_or_b32 exec_lo, exec_lo, s0
	v_lshlrev_b32_e32 v4, 16, v4
	s_delay_alu instid0(VALU_DEP_1) | instskip(NEXT) | instid1(VALU_DEP_1)
	v_mul_f32_e32 v33, v44, v4
	v_and_b32_e32 v4, 0x7f800000, v33
	s_delay_alu instid0(VALU_DEP_1) | instskip(SKIP_1) | instid1(SALU_CYCLE_1)
	v_cmp_ne_u32_e32 vcc_lo, 0x7f800000, v4
                                        ; implicit-def: $vgpr4
	s_and_saveexec_b32 s0, vcc_lo
	s_xor_b32 s0, exec_lo, s0
; %bb.190:                              ;   in Loop: Header=BB193_29 Depth=1
	v_bfe_u32 v4, v33, 16, 1
	s_delay_alu instid0(VALU_DEP_1)
	v_add3_u32 v4, v33, v4, 0x7fff
                                        ; implicit-def: $vgpr33
; %bb.191:                              ;   in Loop: Header=BB193_29 Depth=1
	s_and_not1_saveexec_b32 s0, s0
; %bb.192:                              ;   in Loop: Header=BB193_29 Depth=1
	v_and_b32_e32 v4, 0xffff, v33
	v_or_b32_e32 v34, 0x10000, v33
	s_delay_alu instid0(VALU_DEP_2) | instskip(NEXT) | instid1(VALU_DEP_2)
	v_cmp_eq_u32_e32 vcc_lo, 0, v4
	v_cndmask_b32_e32 v4, v34, v33, vcc_lo
; %bb.193:                              ;   in Loop: Header=BB193_29 Depth=1
	s_or_b32 exec_lo, exec_lo, s0
	v_lshlrev_b32_e32 v6, 16, v6
	s_delay_alu instid0(VALU_DEP_1) | instskip(NEXT) | instid1(VALU_DEP_1)
	v_mul_f32_e32 v33, v45, v6
	v_and_b32_e32 v6, 0x7f800000, v33
	s_delay_alu instid0(VALU_DEP_1) | instskip(SKIP_1) | instid1(SALU_CYCLE_1)
	v_cmp_ne_u32_e32 vcc_lo, 0x7f800000, v6
                                        ; implicit-def: $vgpr6
	s_and_saveexec_b32 s0, vcc_lo
	s_xor_b32 s0, exec_lo, s0
; %bb.194:                              ;   in Loop: Header=BB193_29 Depth=1
	v_bfe_u32 v6, v33, 16, 1
	s_delay_alu instid0(VALU_DEP_1)
	v_add3_u32 v6, v33, v6, 0x7fff
                                        ; implicit-def: $vgpr33
; %bb.195:                              ;   in Loop: Header=BB193_29 Depth=1
	s_and_not1_saveexec_b32 s0, s0
	s_cbranch_execz .LBB193_28
; %bb.196:                              ;   in Loop: Header=BB193_29 Depth=1
	v_and_b32_e32 v6, 0xffff, v33
	v_or_b32_e32 v34, 0x10000, v33
	s_delay_alu instid0(VALU_DEP_2) | instskip(NEXT) | instid1(VALU_DEP_2)
	v_cmp_eq_u32_e32 vcc_lo, 0, v6
	v_cndmask_b32_e32 v6, v34, v33, vcc_lo
	s_branch .LBB193_28
.LBB193_197:
	s_or_b32 exec_lo, exec_lo, s3
.LBB193_198:
	s_delay_alu instid0(SALU_CYCLE_1)
	s_or_b32 exec_lo, exec_lo, s1
	ds_bpermute_b32 v1, v14, v17
	ds_bpermute_b32 v2, v14, v20
	;; [unrolled: 1-line block ×4, first 2 shown]
	v_lshrrev_b32_e32 v5, 2, v13
	s_mov_b32 s0, exec_lo
	s_waitcnt lgkmcnt(0)
	s_waitcnt_vscnt null, 0x0
	s_barrier
	buffer_gl0_inv
	v_dual_add_f32 v1, v17, v1 :: v_dual_add_f32 v2, v20, v2
	v_dual_add_f32 v3, v19, v3 :: v_dual_add_f32 v6, v18, v4
	ds_bpermute_b32 v4, v15, v1
	ds_bpermute_b32 v7, v15, v2
	;; [unrolled: 1-line block ×4, first 2 shown]
	v_and_b32_e32 v10, 0x3c3, v0
	s_waitcnt lgkmcnt(3)
	v_add_f32_e32 v4, v1, v4
	s_waitcnt lgkmcnt(1)
	v_dual_add_f32 v2, v2, v7 :: v_dual_add_f32 v1, v3, v8
	s_waitcnt lgkmcnt(0)
	v_add_f32_e32 v3, v6, v9
	v_cmpx_eq_u32_e32 64, v10
	s_cbranch_execz .LBB193_200
; %bb.199:
	v_lshl_add_u32 v6, v12, 7, 0x60
	v_lshlrev_b32_e32 v7, 2, v5
	s_delay_alu instid0(VALU_DEP_1)
	v_add3_u32 v6, v6, v7, 0xffffff00
	ds_store_2addr_b32 v6, v4, v2 offset1:8
	ds_store_2addr_b32 v6, v1, v3 offset0:16 offset1:24
.LBB193_200:
	s_or_b32 exec_lo, exec_lo, s0
	v_and_b32_e32 v6, 0x3e0, v0
	v_cmp_eq_u32_e32 vcc_lo, 0, v16
	s_mov_b32 s1, exec_lo
	s_waitcnt lgkmcnt(0)
	s_barrier
	v_lshl_add_u32 v6, v6, 2, 0x60
	buffer_gl0_inv
	v_cmpx_gt_u32_e32 64, v0
	s_cbranch_execz .LBB193_207
; %bb.201:
	s_and_saveexec_b32 s0, vcc_lo
	s_cbranch_execnz .LBB193_236
; %bb.202:
	s_or_b32 exec_lo, exec_lo, s0
	s_and_saveexec_b32 s0, vcc_lo
	s_cbranch_execnz .LBB193_237
.LBB193_203:
	s_or_b32 exec_lo, exec_lo, s0
	s_and_saveexec_b32 s0, vcc_lo
	s_cbranch_execnz .LBB193_238
.LBB193_204:
	s_or_b32 exec_lo, exec_lo, s0
	s_and_saveexec_b32 s0, vcc_lo
	s_cbranch_execz .LBB193_206
.LBB193_205:
	v_lshl_add_u32 v7, v5, 2, v6
	ds_load_b32 v7, v7 offset:96
	s_waitcnt lgkmcnt(0)
	v_add_f32_e32 v3, v3, v7
.LBB193_206:
	s_or_b32 exec_lo, exec_lo, s0
.LBB193_207:
	s_delay_alu instid0(SALU_CYCLE_1)
	s_or_b32 exec_lo, exec_lo, s1
	v_and_b32_e32 v7, 0x3e3, v0
	s_mov_b32 s1, exec_lo
	s_barrier
	buffer_gl0_inv
	v_cmpx_eq_u32_e32 32, v7
	s_cbranch_execz .LBB193_209
; %bb.208:
	v_lshl_add_u32 v7, v5, 2, 0x60
	ds_store_2addr_b32 v7, v4, v2 offset1:8
	ds_store_2addr_b32 v7, v1, v3 offset0:16 offset1:24
.LBB193_209:
	s_or_b32 exec_lo, exec_lo, s1
	v_cmp_gt_u32_e64 s0, 32, v0
	s_waitcnt lgkmcnt(0)
	s_barrier
	buffer_gl0_inv
	s_and_saveexec_b32 s1, s0
	s_cbranch_execz .LBB193_216
; %bb.210:
	v_lshl_add_u32 v5, v5, 2, v6
	s_and_saveexec_b32 s2, vcc_lo
	s_cbranch_execnz .LBB193_239
; %bb.211:
	s_or_b32 exec_lo, exec_lo, s2
	s_and_saveexec_b32 s2, vcc_lo
	s_cbranch_execnz .LBB193_240
.LBB193_212:
	s_or_b32 exec_lo, exec_lo, s2
	s_and_saveexec_b32 s2, vcc_lo
	s_cbranch_execnz .LBB193_241
.LBB193_213:
	s_or_b32 exec_lo, exec_lo, s2
	s_and_saveexec_b32 s2, vcc_lo
	s_cbranch_execz .LBB193_215
.LBB193_214:
	ds_load_b32 v5, v5 offset:96
	s_waitcnt lgkmcnt(0)
	v_add_f32_e32 v3, v3, v5
.LBB193_215:
	s_or_b32 exec_lo, exec_lo, s2
.LBB193_216:
	s_delay_alu instid0(SALU_CYCLE_1)
	s_or_b32 exec_lo, exec_lo, s1
	s_barrier
	buffer_gl0_inv
	s_and_saveexec_b32 s1, s0
	s_cbranch_execz .LBB193_235
; %bb.217:
	s_and_b32 exec_lo, exec_lo, vcc_lo
	s_cbranch_execz .LBB193_235
; %bb.218:
	v_and_b32_e32 v5, 0x7f800000, v4
	s_mov_b32 s0, exec_lo
                                        ; implicit-def: $vgpr6
	s_delay_alu instid0(VALU_DEP_1)
	v_cmpx_ne_u32_e32 0x7f800000, v5
	s_xor_b32 s0, exec_lo, s0
; %bb.219:
	v_bfe_u32 v5, v4, 16, 1
	s_delay_alu instid0(VALU_DEP_1)
	v_add3_u32 v6, v4, v5, 0x7fff
; %bb.220:
	s_and_not1_saveexec_b32 s0, s0
; %bb.221:
	v_and_b32_e32 v5, 0xffff, v4
	v_or_b32_e32 v6, 0x10000, v4
	s_delay_alu instid0(VALU_DEP_2) | instskip(NEXT) | instid1(VALU_DEP_2)
	v_cmp_eq_u32_e32 vcc_lo, 0, v5
	v_cndmask_b32_e32 v6, v6, v4, vcc_lo
; %bb.222:
	s_or_b32 exec_lo, exec_lo, s0
	s_mul_i32 s0, s4, s14
	s_mul_i32 s2, s4, s16
	;; [unrolled: 1-line block ×3, first 2 shown]
	v_lshrrev_b32_e32 v0, 1, v0
	s_lshl_b32 s0, s0, 5
	v_and_b32_e32 v7, 0x7f800000, v2
	s_ashr_i32 s1, s0, 31
	s_delay_alu instid0(VALU_DEP_2) | instskip(SKIP_1) | instid1(SALU_CYCLE_1)
	v_and_b32_e32 v0, 0x1fe, v0
	s_lshl_b64 s[0:1], s[0:1], 1
	s_add_u32 s4, s18, s0
	s_addc_u32 s5, s19, s1
	s_ashr_i32 s3, s2, 31
	s_delay_alu instid0(SALU_CYCLE_1) | instskip(NEXT) | instid1(SALU_CYCLE_1)
	s_lshl_b64 s[0:1], s[2:3], 1
	s_add_u32 s2, s4, s0
	s_addc_u32 s3, s5, s1
	s_lshl_b32 s0, s12, 5
	s_delay_alu instid0(SALU_CYCLE_1) | instskip(NEXT) | instid1(SALU_CYCLE_1)
	s_ashr_i32 s1, s0, 31
	s_lshl_b64 s[0:1], s[0:1], 1
	s_delay_alu instid0(SALU_CYCLE_1) | instskip(SKIP_2) | instid1(VALU_DEP_1)
	s_add_u32 s0, s2, s0
	s_addc_u32 s1, s3, s1
	v_add_co_u32 v4, s2, s0, v0
	v_add_co_ci_u32_e64 v5, null, s1, 0, s2
	global_store_d16_hi_b16 v0, v6, s[0:1]
	s_mov_b32 s0, exec_lo
                                        ; implicit-def: $vgpr0
	v_cmpx_ne_u32_e32 0x7f800000, v7
	s_xor_b32 s0, exec_lo, s0
; %bb.223:
	v_bfe_u32 v0, v2, 16, 1
	s_delay_alu instid0(VALU_DEP_1)
	v_add3_u32 v0, v2, v0, 0x7fff
; %bb.224:
	s_and_not1_saveexec_b32 s0, s0
; %bb.225:
	v_and_b32_e32 v0, 0xffff, v2
	v_or_b32_e32 v6, 0x10000, v2
	s_delay_alu instid0(VALU_DEP_2) | instskip(NEXT) | instid1(VALU_DEP_2)
	v_cmp_eq_u32_e32 vcc_lo, 0, v0
	v_cndmask_b32_e32 v0, v6, v2, vcc_lo
; %bb.226:
	s_or_b32 exec_lo, exec_lo, s0
	v_and_b32_e32 v2, 0x7f800000, v1
	s_mov_b32 s0, exec_lo
	global_store_d16_hi_b16 v[4:5], v0, off offset:16
                                        ; implicit-def: $vgpr0
	v_cmpx_ne_u32_e32 0x7f800000, v2
	s_xor_b32 s0, exec_lo, s0
; %bb.227:
	v_bfe_u32 v0, v1, 16, 1
	s_delay_alu instid0(VALU_DEP_1)
	v_add3_u32 v0, v1, v0, 0x7fff
; %bb.228:
	s_and_not1_saveexec_b32 s0, s0
; %bb.229:
	v_and_b32_e32 v0, 0xffff, v1
	v_or_b32_e32 v2, 0x10000, v1
	s_delay_alu instid0(VALU_DEP_2) | instskip(NEXT) | instid1(VALU_DEP_2)
	v_cmp_eq_u32_e32 vcc_lo, 0, v0
	v_cndmask_b32_e32 v0, v2, v1, vcc_lo
; %bb.230:
	s_or_b32 exec_lo, exec_lo, s0
	v_and_b32_e32 v1, 0x7f800000, v3
	s_mov_b32 s0, exec_lo
	global_store_d16_hi_b16 v[4:5], v0, off offset:32
                                        ; implicit-def: $vgpr6
	v_cmpx_ne_u32_e32 0x7f800000, v1
	s_xor_b32 s0, exec_lo, s0
; %bb.231:
	v_bfe_u32 v0, v3, 16, 1
	s_delay_alu instid0(VALU_DEP_1)
	v_add3_u32 v6, v3, v0, 0x7fff
                                        ; implicit-def: $vgpr0_vgpr1_vgpr2_vgpr3
; %bb.232:
	s_and_not1_saveexec_b32 s0, s0
; %bb.233:
	v_and_b32_e32 v0, 0xffff, v3
	v_or_b32_e32 v1, 0x10000, v3
	s_delay_alu instid0(VALU_DEP_2) | instskip(NEXT) | instid1(VALU_DEP_2)
	v_cmp_eq_u32_e32 vcc_lo, 0, v0
	v_cndmask_b32_e32 v6, v1, v3, vcc_lo
; %bb.234:
	s_or_b32 exec_lo, exec_lo, s0
	global_store_d16_hi_b16 v[4:5], v6, off offset:48
.LBB193_235:
	s_nop 0
	s_sendmsg sendmsg(MSG_DEALLOC_VGPRS)
	s_endpgm
.LBB193_236:
	v_lshl_add_u32 v7, v5, 2, v6
	ds_load_b32 v7, v7
	s_waitcnt lgkmcnt(0)
	v_add_f32_e32 v4, v4, v7
	s_or_b32 exec_lo, exec_lo, s0
	s_and_saveexec_b32 s0, vcc_lo
	s_cbranch_execz .LBB193_203
.LBB193_237:
	v_lshl_add_u32 v7, v5, 2, v6
	ds_load_b32 v7, v7 offset:32
	s_waitcnt lgkmcnt(0)
	v_add_f32_e32 v2, v2, v7
	s_or_b32 exec_lo, exec_lo, s0
	s_and_saveexec_b32 s0, vcc_lo
	s_cbranch_execz .LBB193_204
.LBB193_238:
	v_lshl_add_u32 v7, v5, 2, v6
	ds_load_b32 v7, v7 offset:64
	s_waitcnt lgkmcnt(0)
	v_add_f32_e32 v1, v1, v7
	s_or_b32 exec_lo, exec_lo, s0
	s_and_saveexec_b32 s0, vcc_lo
	s_cbranch_execnz .LBB193_205
	s_branch .LBB193_206
.LBB193_239:
	ds_load_b32 v6, v5
	s_waitcnt lgkmcnt(0)
	v_add_f32_e32 v4, v4, v6
	s_or_b32 exec_lo, exec_lo, s2
	s_and_saveexec_b32 s2, vcc_lo
	s_cbranch_execz .LBB193_212
.LBB193_240:
	ds_load_b32 v6, v5 offset:32
	s_waitcnt lgkmcnt(0)
	v_add_f32_e32 v2, v2, v6
	s_or_b32 exec_lo, exec_lo, s2
	s_and_saveexec_b32 s2, vcc_lo
	s_cbranch_execz .LBB193_213
.LBB193_241:
	ds_load_b32 v6, v5 offset:64
	s_waitcnt lgkmcnt(0)
	v_add_f32_e32 v1, v1, v6
	s_or_b32 exec_lo, exec_lo, s2
	s_and_saveexec_b32 s2, vcc_lo
	s_cbranch_execnz .LBB193_214
	s_branch .LBB193_215
	.section	.rodata,"a",@progbits
	.p2align	6, 0x0
	.amdhsa_kernel _ZN4vllm25paged_attention_v2_kernelI14__hip_bfloat16S1_Li32ELi32ELi128ELNS_18Fp8KVCacheDataTypeE0ELb0ELi512EEEvPfS3_PT_PKS4_PKT0_SA_ifPKiSC_iPKfiiiSE_SE_iiiii
		.amdhsa_group_segment_fixed_size 96
		.amdhsa_private_segment_fixed_size 0
		.amdhsa_kernarg_size 400
		.amdhsa_user_sgpr_count 13
		.amdhsa_user_sgpr_dispatch_ptr 0
		.amdhsa_user_sgpr_queue_ptr 0
		.amdhsa_user_sgpr_kernarg_segment_ptr 1
		.amdhsa_user_sgpr_dispatch_id 0
		.amdhsa_user_sgpr_private_segment_size 0
		.amdhsa_wavefront_size32 1
		.amdhsa_uses_dynamic_stack 0
		.amdhsa_enable_private_segment 0
		.amdhsa_system_sgpr_workgroup_id_x 1
		.amdhsa_system_sgpr_workgroup_id_y 1
		.amdhsa_system_sgpr_workgroup_id_z 1
		.amdhsa_system_sgpr_workgroup_info 0
		.amdhsa_system_vgpr_workitem_id 0
		.amdhsa_next_free_vgpr 81
		.amdhsa_next_free_sgpr 38
		.amdhsa_reserve_vcc 1
		.amdhsa_float_round_mode_32 0
		.amdhsa_float_round_mode_16_64 0
		.amdhsa_float_denorm_mode_32 3
		.amdhsa_float_denorm_mode_16_64 3
		.amdhsa_dx10_clamp 1
		.amdhsa_ieee_mode 1
		.amdhsa_fp16_overflow 0
		.amdhsa_workgroup_processor_mode 1
		.amdhsa_memory_ordered 1
		.amdhsa_forward_progress 0
		.amdhsa_shared_vgpr_count 0
		.amdhsa_exception_fp_ieee_invalid_op 0
		.amdhsa_exception_fp_denorm_src 0
		.amdhsa_exception_fp_ieee_div_zero 0
		.amdhsa_exception_fp_ieee_overflow 0
		.amdhsa_exception_fp_ieee_underflow 0
		.amdhsa_exception_fp_ieee_inexact 0
		.amdhsa_exception_int_div_zero 0
	.end_amdhsa_kernel
	.section	.text._ZN4vllm25paged_attention_v2_kernelI14__hip_bfloat16S1_Li32ELi32ELi128ELNS_18Fp8KVCacheDataTypeE0ELb0ELi512EEEvPfS3_PT_PKS4_PKT0_SA_ifPKiSC_iPKfiiiSE_SE_iiiii,"axG",@progbits,_ZN4vllm25paged_attention_v2_kernelI14__hip_bfloat16S1_Li32ELi32ELi128ELNS_18Fp8KVCacheDataTypeE0ELb0ELi512EEEvPfS3_PT_PKS4_PKT0_SA_ifPKiSC_iPKfiiiSE_SE_iiiii,comdat
.Lfunc_end193:
	.size	_ZN4vllm25paged_attention_v2_kernelI14__hip_bfloat16S1_Li32ELi32ELi128ELNS_18Fp8KVCacheDataTypeE0ELb0ELi512EEEvPfS3_PT_PKS4_PKT0_SA_ifPKiSC_iPKfiiiSE_SE_iiiii, .Lfunc_end193-_ZN4vllm25paged_attention_v2_kernelI14__hip_bfloat16S1_Li32ELi32ELi128ELNS_18Fp8KVCacheDataTypeE0ELb0ELi512EEEvPfS3_PT_PKS4_PKT0_SA_ifPKiSC_iPKfiiiSE_SE_iiiii
                                        ; -- End function
	.section	.AMDGPU.csdata,"",@progbits
; Kernel info:
; codeLenInByte = 9868
; NumSgprs: 40
; NumVgprs: 81
; ScratchSize: 0
; MemoryBound: 0
; FloatMode: 240
; IeeeMode: 1
; LDSByteSize: 96 bytes/workgroup (compile time only)
; SGPRBlocks: 4
; VGPRBlocks: 10
; NumSGPRsForWavesPerEU: 40
; NumVGPRsForWavesPerEU: 81
; Occupancy: 16
; WaveLimiterHint : 1
; COMPUTE_PGM_RSRC2:SCRATCH_EN: 0
; COMPUTE_PGM_RSRC2:USER_SGPR: 13
; COMPUTE_PGM_RSRC2:TRAP_HANDLER: 0
; COMPUTE_PGM_RSRC2:TGID_X_EN: 1
; COMPUTE_PGM_RSRC2:TGID_Y_EN: 1
; COMPUTE_PGM_RSRC2:TGID_Z_EN: 1
; COMPUTE_PGM_RSRC2:TIDIG_COMP_CNT: 0
	.section	.text._ZN4vllm25paged_attention_v2_kernelI14__hip_bfloat16S1_Li64ELi32ELi128ELNS_18Fp8KVCacheDataTypeE0ELb0ELi512EEEvPfS3_PT_PKS4_PKT0_SA_ifPKiSC_iPKfiiiSE_SE_iiiii,"axG",@progbits,_ZN4vllm25paged_attention_v2_kernelI14__hip_bfloat16S1_Li64ELi32ELi128ELNS_18Fp8KVCacheDataTypeE0ELb0ELi512EEEvPfS3_PT_PKS4_PKT0_SA_ifPKiSC_iPKfiiiSE_SE_iiiii,comdat
	.protected	_ZN4vllm25paged_attention_v2_kernelI14__hip_bfloat16S1_Li64ELi32ELi128ELNS_18Fp8KVCacheDataTypeE0ELb0ELi512EEEvPfS3_PT_PKS4_PKT0_SA_ifPKiSC_iPKfiiiSE_SE_iiiii ; -- Begin function _ZN4vllm25paged_attention_v2_kernelI14__hip_bfloat16S1_Li64ELi32ELi128ELNS_18Fp8KVCacheDataTypeE0ELb0ELi512EEEvPfS3_PT_PKS4_PKT0_SA_ifPKiSC_iPKfiiiSE_SE_iiiii
	.globl	_ZN4vllm25paged_attention_v2_kernelI14__hip_bfloat16S1_Li64ELi32ELi128ELNS_18Fp8KVCacheDataTypeE0ELb0ELi512EEEvPfS3_PT_PKS4_PKT0_SA_ifPKiSC_iPKfiiiSE_SE_iiiii
	.p2align	8
	.type	_ZN4vllm25paged_attention_v2_kernelI14__hip_bfloat16S1_Li64ELi32ELi128ELNS_18Fp8KVCacheDataTypeE0ELb0ELi512EEEvPfS3_PT_PKS4_PKT0_SA_ifPKiSC_iPKfiiiSE_SE_iiiii,@function
_ZN4vllm25paged_attention_v2_kernelI14__hip_bfloat16S1_Li64ELi32ELi128ELNS_18Fp8KVCacheDataTypeE0ELb0ELi512EEEvPfS3_PT_PKS4_PKT0_SA_ifPKiSC_iPKfiiiSE_SE_iiiii: ; @_ZN4vllm25paged_attention_v2_kernelI14__hip_bfloat16S1_Li64ELi32ELi128ELNS_18Fp8KVCacheDataTypeE0ELb0ELi512EEEvPfS3_PT_PKS4_PKT0_SA_ifPKiSC_iPKfiiiSE_SE_iiiii
; %bb.0:
	s_load_b64 s[2:3], s[0:1], 0x40
	s_mov_b32 s12, s15
	s_ashr_i32 s15, s14, 31
	s_delay_alu instid0(SALU_CYCLE_1)
	s_lshl_b64 s[4:5], s[14:15], 2
	s_waitcnt lgkmcnt(0)
	s_add_u32 s2, s2, s4
	s_addc_u32 s3, s3, s5
	s_lshl_b32 s29, s12, 9
	s_load_b32 s28, s[2:3], 0x0
	s_waitcnt lgkmcnt(0)
	s_cmp_ge_i32 s29, s28
	s_cbranch_scc1 .LBB194_395
; %bb.1:
	s_clause 0x1
	s_load_b32 s15, s[0:1], 0x90
	s_load_b64 s[2:3], s[0:1], 0x30
	s_mov_b32 s20, s13
	s_mov_b32 s30, 0
	s_waitcnt lgkmcnt(0)
	s_abs_i32 s7, s15
	s_abs_i32 s4, s2
	s_xor_b32 s2, s15, s2
	v_cvt_f32_u32_e32 v1, s4
	s_sub_i32 s6, 0, s4
	s_ashr_i32 s2, s2, 31
	s_delay_alu instid0(VALU_DEP_1) | instskip(SKIP_2) | instid1(VALU_DEP_1)
	v_rcp_iflag_f32_e32 v1, v1
	s_waitcnt_depctr 0xfff
	v_mul_f32_e32 v1, 0x4f7ffffe, v1
	v_cvt_u32_f32_e32 v1, v1
	s_delay_alu instid0(VALU_DEP_1) | instskip(NEXT) | instid1(VALU_DEP_1)
	v_readfirstlane_b32 s5, v1
	s_mul_i32 s6, s6, s5
	s_delay_alu instid0(SALU_CYCLE_1) | instskip(NEXT) | instid1(SALU_CYCLE_1)
	s_mul_hi_u32 s6, s5, s6
	s_add_i32 s5, s5, s6
	s_delay_alu instid0(SALU_CYCLE_1) | instskip(NEXT) | instid1(SALU_CYCLE_1)
	s_mul_hi_u32 s5, s7, s5
	s_mul_i32 s6, s5, s4
	s_delay_alu instid0(SALU_CYCLE_1)
	s_sub_i32 s6, s7, s6
	s_add_i32 s7, s5, 1
	s_sub_i32 s8, s6, s4
	s_cmp_ge_u32 s6, s4
	s_cselect_b32 s5, s7, s5
	s_cselect_b32 s6, s8, s6
	s_add_i32 s7, s5, 1
	s_cmp_ge_u32 s6, s4
	s_cselect_b32 s4, s7, s5
	s_abs_i32 s27, s13
	s_xor_b32 s4, s4, s2
	s_delay_alu instid0(SALU_CYCLE_1) | instskip(SKIP_2) | instid1(SALU_CYCLE_1)
	s_sub_i32 s8, s4, s2
	s_load_b64 s[4:5], s[0:1], 0x50
	s_abs_i32 s2, s8
	v_cvt_f32_u32_e32 v1, s2
	s_sub_i32 s7, 0, s2
	s_delay_alu instid0(VALU_DEP_1) | instskip(SKIP_2) | instid1(VALU_DEP_1)
	v_rcp_iflag_f32_e32 v1, v1
	s_waitcnt_depctr 0xfff
	v_mul_f32_e32 v1, 0x4f7ffffe, v1
	v_cvt_u32_f32_e32 v1, v1
	s_delay_alu instid0(VALU_DEP_1) | instskip(NEXT) | instid1(VALU_DEP_1)
	v_readfirstlane_b32 s6, v1
	s_mul_i32 s7, s7, s6
	s_delay_alu instid0(SALU_CYCLE_1) | instskip(NEXT) | instid1(SALU_CYCLE_1)
	s_mul_hi_u32 s7, s6, s7
	s_add_i32 s6, s6, s7
	s_waitcnt lgkmcnt(0)
	s_cmp_eq_u64 s[4:5], 0
	s_mul_hi_u32 s26, s27, s6
	s_cbranch_scc1 .LBB194_3
; %bb.2:
	s_ashr_i32 s21, s20, 31
	s_delay_alu instid0(SALU_CYCLE_1) | instskip(NEXT) | instid1(SALU_CYCLE_1)
	s_lshl_b64 s[6:7], s[20:21], 2
	s_add_u32 s4, s4, s6
	s_addc_u32 s5, s5, s7
	s_load_b32 s30, s[4:5], 0x0
.LBB194_3:
	s_clause 0x1
	s_load_b64 s[22:23], s[0:1], 0x38
	s_load_b128 s[4:7], s[0:1], 0x58
	v_lshlrev_b32_e32 v3, 4, v0
	s_waitcnt lgkmcnt(0)
	s_ashr_i32 s7, s20, 31
	s_ashr_i32 s31, s8, 31
	s_lshl_b32 s16, s20, 6
	s_mov_b32 s8, exec_lo
	v_cmpx_gt_u32_e32 8, v0
	s_cbranch_execz .LBB194_5
; %bb.4:
	s_load_b64 s[10:11], s[0:1], 0x18
	s_mul_i32 s18, s14, s4
	s_delay_alu instid0(SALU_CYCLE_1) | instskip(NEXT) | instid1(SALU_CYCLE_1)
	s_ashr_i32 s19, s18, 31
	s_lshl_b64 s[18:19], s[18:19], 1
	s_waitcnt lgkmcnt(0)
	s_add_u32 s4, s10, s18
	s_addc_u32 s9, s11, s19
	s_ashr_i32 s17, s16, 31
	s_delay_alu instid0(SALU_CYCLE_1) | instskip(NEXT) | instid1(SALU_CYCLE_1)
	s_lshl_b64 s[10:11], s[16:17], 1
	s_add_u32 s10, s4, s10
	s_addc_u32 s11, s9, s11
	global_load_b128 v[4:7], v3, s[10:11]
	s_waitcnt vmcnt(0)
	ds_store_b128 v3, v[4:7]
.LBB194_5:
	s_or_b32 exec_lo, exec_lo, s8
	s_add_i32 s4, s28, 31
	s_clause 0x1
	s_load_b128 s[8:11], s[0:1], 0x0
	s_load_b64 s[18:19], s[0:1], 0x10
	s_ashr_i32 s13, s4, 31
	s_mul_i32 s34, s26, s2
	s_lshr_b32 s17, s13, 27
	s_lshl_b32 s13, s12, 4
	s_add_i32 s4, s4, s17
	s_load_b64 s[24:25], s[0:1], 0x28
	s_ashr_i32 s21, s4, 5
	s_clause 0x1
	s_load_b32 s4, s[0:1], 0x98
	s_load_b32 s33, s[0:1], 0x48
	s_add_i32 s17, s13, 16
	s_sub_i32 s27, s27, s34
	s_min_i32 s17, s17, s21
	s_xor_b32 s7, s7, s31
	s_add_i32 s31, s26, 1
	s_sub_i32 s34, s27, s2
	s_cmp_ge_u32 s27, s2
	v_lshrrev_b32_e32 v12, 5, v0
	s_cselect_b32 s26, s31, s26
	s_cselect_b32 s27, s34, s27
	s_add_i32 s31, s26, 1
	s_cmp_ge_u32 s27, s2
	v_dual_mov_b32 v64, 0xff7fffff :: v_dual_add_nc_u32 v9, s13, v12
	v_and_b32_e32 v13, 31, v0
	s_cselect_b32 s2, s31, s26
	s_waitcnt lgkmcnt(0)
	s_xor_b32 s2, s2, s7
	v_ashrrev_i32_e32 v10, 31, v9
	s_sub_i32 s7, s2, s7
	v_cmp_gt_i32_e64 s2, s17, v9
	v_lshlrev_b32_e32 v4, 2, v13
	s_mul_i32 s26, s14, s33
	s_mul_i32 s6, s7, s6
	s_ashr_i32 s27, s26, 31
	s_barrier
	buffer_gl0_inv
	s_and_saveexec_b32 s31, s2
	s_cbranch_execz .LBB194_9
; %bb.6:
	v_dual_mov_b32 v1, 0 :: v_dual_lshlrev_b32 v2, 4, v13
	s_load_b64 s[0:1], s[0:1], 0x20
	s_ashr_i32 s7, s6, 31
	v_cmp_neq_f32_e64 vcc_lo, s30, 0
	ds_load_b128 v[57:60], v1
	ds_load_b128 v[61:64], v1 offset:16
	ds_load_b128 v[65:68], v1 offset:32
	;; [unrolled: 1-line block ×7, first 2 shown]
	v_lshlrev_b32_e32 v1, 5, v12
	s_lshl_b64 s[34:35], s[6:7], 1
	s_mov_b32 s33, 0
	s_waitcnt lgkmcnt(0)
	s_add_u32 s0, s0, s34
	s_addc_u32 s1, s1, s35
	v_add_co_u32 v5, s0, s0, v2
	v_bfi_b32 v15, 0xffff, 0, v65
	v_lshlrev_b32_e32 v16, 16, v65
	v_bfi_b32 v17, 0xffff, 0, v69
	v_lshlrev_b32_e32 v18, 16, v69
	;; [unrolled: 2-line block ×5, first 2 shown]
	v_add3_u32 v76, s29, v1, v13
	v_lshlrev_b64 v[1:2], 2, v[9:10]
	v_add_co_ci_u32_e64 v6, null, s1, 0, s0
	s_lshl_b64 s[0:1], s[26:27], 2
	v_bfi_b32 v11, 0xffff, 0, v61
	v_lshlrev_b32_e32 v14, 16, v61
	v_bfi_b32 v29, 0xffff, 0, v62
	v_lshlrev_b32_e32 v30, 16, v62
	;; [unrolled: 2-line block ×3, first 2 shown]
	v_lshl_or_b32 v64, v12, 7, v4
	s_sub_i32 s7, 1, s28
	s_add_u32 s0, s22, s0
	s_addc_u32 s1, s23, s1
	v_add_co_u32 v1, s0, s0, v1
	v_bfi_b32 v7, 0xffff, 0, v57
	v_lshlrev_b32_e32 v8, 16, v57
	v_bfi_b32 v19, 0xffff, 0, v73
	v_lshlrev_b32_e32 v20, 16, v73
	;; [unrolled: 2-line block ×20, first 2 shown]
	v_bfi_b32 v66, 0xffff, 0, v72
	v_dual_mov_b32 v78, v9 :: v_dual_lshlrev_b32 v67, 16, v72
	v_bfi_b32 v70, 0xffff, 0, v80
	v_lshlrev_b32_e32 v71, 16, v80
	v_bfi_b32 v72, 0xffff, 0, v84
	v_lshlrev_b32_e32 v73, 16, v84
	;; [unrolled: 2-line block ×3, first 2 shown]
	v_add_nc_u32_e32 v77, 0xa0, v64
	v_add_co_ci_u32_e64 v2, s0, s1, v2, s0
	v_mov_b32_e32 v64, 0xff7fffff
	s_mov_b32 s34, s5
.LBB194_7:                              ; =>This Inner Loop Header: Depth=1
	global_load_b32 v81, v[1:2], off
	v_max_f32_e32 v144, v64, v64
	v_add_nc_u32_e32 v78, 4, v78
	s_delay_alu instid0(VALU_DEP_1) | instskip(NEXT) | instid1(VALU_DEP_1)
	v_cmp_le_i32_e64 s1, s17, v78
	s_or_b32 s33, s1, s33
	s_waitcnt vmcnt(0)
	v_mad_i64_i32 v[79:80], null, v81, s34, 0
	s_delay_alu instid0(VALU_DEP_1) | instskip(NEXT) | instid1(VALU_DEP_1)
	v_lshlrev_b64 v[79:80], 1, v[79:80]
	v_add_co_u32 v107, s0, v5, v79
	s_delay_alu instid0(VALU_DEP_1)
	v_add_co_ci_u32_e64 v108, s0, v6, v80, s0
	s_clause 0x7
	global_load_b128 v[79:82], v[107:108], off
	global_load_b128 v[83:86], v[107:108], off offset:512
	global_load_b128 v[87:90], v[107:108], off offset:1024
	;; [unrolled: 1-line block ×7, first 2 shown]
	v_add_co_u32 v1, s0, v1, 16
	s_delay_alu instid0(VALU_DEP_1)
	v_add_co_ci_u32_e64 v2, s0, 0, v2, s0
	v_cmp_gt_i32_e64 s0, s28, v76
	s_waitcnt vmcnt(6)
	v_and_b32_e32 v115, 0xffff0000, v84
	v_lshlrev_b32_e32 v84, 16, v84
	v_and_b32_e32 v113, 0xffff0000, v83
	v_and_b32_e32 v119, 0xffff0000, v86
	v_lshlrev_b32_e32 v86, 16, v86
	s_delay_alu instid0(VALU_DEP_4) | instskip(NEXT) | instid1(VALU_DEP_4)
	v_dual_mul_f32 v84, v30, v84 :: v_dual_lshlrev_b32 v83, 16, v83
	v_dual_mul_f32 v113, v11, v113 :: v_dual_lshlrev_b32 v112, 16, v79
	s_delay_alu instid0(VALU_DEP_3) | instskip(NEXT) | instid1(VALU_DEP_3)
	v_mul_f32_e32 v86, v62, v86
	v_dual_mul_f32 v83, v14, v83 :: v_dual_lshlrev_b32 v114, 16, v80
	v_and_b32_e32 v118, 0xffff0000, v85
	v_lshlrev_b32_e32 v116, 16, v81
	s_waitcnt vmcnt(3)
	v_and_b32_e32 v130, 0xffff0000, v97
	v_lshlrev_b32_e32 v125, 16, v92
	v_and_b32_e32 v121, 0xffff0000, v88
	v_lshlrev_b32_e32 v88, 16, v88
	v_fmac_f32_e32 v83, v8, v112
	v_dual_mul_f32 v118, v45, v118 :: v_dual_add_nc_u32 v111, s7, v76
	v_dual_fmac_f32 v84, v28, v114 :: v_dual_and_b32 v81, 0xffff0000, v81
	v_and_b32_e32 v122, 0xffff0000, v89
	v_and_b32_e32 v79, 0xffff0000, v79
	s_waitcnt vmcnt(0)
	v_lshlrev_b32_e32 v141, 16, v108
	v_dual_fmac_f32 v84, v32, v88 :: v_dual_lshlrev_b32 v117, 16, v82
	v_fmac_f32_e32 v118, v43, v81
	v_lshlrev_b32_e32 v85, 16, v85
	v_and_b32_e32 v131, 0xffff0000, v98
	v_lshlrev_b32_e32 v98, 16, v98
	v_dual_fmac_f32 v86, v60, v117 :: v_dual_mul_f32 v119, v61, v119
	v_fmac_f32_e32 v118, v47, v122
	v_dual_mul_f32 v85, v46, v85 :: v_dual_and_b32 v82, 0xffff0000, v82
	v_and_b32_e32 v120, 0xffff0000, v87
	v_fmac_f32_e32 v113, v7, v79
	v_and_b32_e32 v139, 0xffff0000, v106
	s_delay_alu instid0(VALU_DEP_4)
	v_fmac_f32_e32 v119, v59, v82
	v_dual_fmac_f32 v85, v44, v116 :: v_dual_lshlrev_b32 v126, 16, v93
	v_and_b32_e32 v93, 0xffff0000, v93
	v_and_b32_e32 v123, 0xffff0000, v90
	v_dual_fmac_f32 v113, v15, v120 :: v_dual_lshlrev_b32 v90, 16, v90
	v_lshlrev_b32_e32 v87, 16, v87
	v_lshlrev_b32_e32 v106, 16, v106
	;; [unrolled: 1-line block ×4, first 2 shown]
	v_fmac_f32_e32 v86, v65, v90
	v_dual_mul_f32 v115, v29, v115 :: v_dual_and_b32 v80, 0xffff0000, v80
	v_lshlrev_b32_e32 v89, 16, v89
	v_lshlrev_b32_e32 v142, 16, v109
	s_delay_alu instid0(VALU_DEP_4) | instskip(SKIP_3) | instid1(VALU_DEP_4)
	v_fmac_f32_e32 v86, v67, v127
	v_and_b32_e32 v92, 0xffff0000, v92
	v_fmac_f32_e32 v115, v27, v80
	v_fmac_f32_e32 v85, v48, v89
	v_dual_fmac_f32 v86, v69, v98 :: v_dual_and_b32 v109, 0xffff0000, v109
	v_dual_fmac_f32 v118, v49, v93 :: v_dual_lshlrev_b32 v135, 16, v102
	v_and_b32_e32 v129, 0xffff0000, v96
	v_lshlrev_b32_e32 v143, 16, v110
	s_delay_alu instid0(VALU_DEP_3) | instskip(NEXT) | instid1(VALU_DEP_4)
	v_dual_fmac_f32 v83, v16, v87 :: v_dual_fmac_f32 v118, v51, v130
	v_fmac_f32_e32 v86, v71, v135
	v_fmac_f32_e32 v84, v34, v125
	v_dual_fmac_f32 v115, v31, v121 :: v_dual_lshlrev_b32 v124, 16, v91
	v_dual_fmac_f32 v119, v63, v123 :: v_dual_lshlrev_b32 v96, 16, v96
	v_fmac_f32_e32 v85, v50, v126
	v_and_b32_e32 v91, 0xffff0000, v91
	s_delay_alu instid0(VALU_DEP_4) | instskip(SKIP_2) | instid1(VALU_DEP_3)
	v_fmac_f32_e32 v115, v33, v92
	v_and_b32_e32 v100, 0xffff0000, v100
	v_dual_fmac_f32 v83, v18, v124 :: v_dual_and_b32 v128, 0xffff0000, v95
	v_dual_fmac_f32 v84, v36, v96 :: v_dual_fmac_f32 v115, v35, v129
	v_dual_fmac_f32 v113, v17, v91 :: v_dual_and_b32 v94, 0xffff0000, v94
	v_lshlrev_b32_e32 v134, 16, v101
	s_delay_alu instid0(VALU_DEP_3) | instskip(NEXT) | instid1(VALU_DEP_3)
	v_dual_fmac_f32 v115, v37, v100 :: v_dual_lshlrev_b32 v132, 16, v99
	v_fmac_f32_e32 v119, v66, v94
	v_dual_fmac_f32 v86, v73, v106 :: v_dual_and_b32 v101, 0xffff0000, v101
	v_cvt_f32_i32_e32 v111, v111
	v_dual_fmac_f32 v113, v19, v128 :: v_dual_and_b32 v138, 0xffff0000, v105
	s_delay_alu instid0(VALU_DEP_3) | instskip(NEXT) | instid1(VALU_DEP_4)
	v_fmac_f32_e32 v86, v75, v143
	v_dual_fmac_f32 v118, v53, v101 :: v_dual_lshlrev_b32 v95, 16, v95
	v_and_b32_e32 v99, 0xffff0000, v99
	v_dual_mul_f32 v80, s30, v111 :: v_dual_and_b32 v137, 0xffff0000, v104
	s_delay_alu instid0(VALU_DEP_3)
	v_fmac_f32_e32 v83, v20, v95
	v_and_b32_e32 v136, 0xffff0000, v103
	v_lshlrev_b32_e32 v103, 16, v103
	v_lshlrev_b32_e32 v104, 16, v104
	v_fmac_f32_e32 v84, v38, v133
	v_lshlrev_b32_e32 v97, 16, v97
	v_dual_fmac_f32 v83, v22, v132 :: v_dual_fmac_f32 v118, v55, v138
	s_delay_alu instid0(VALU_DEP_3) | instskip(NEXT) | instid1(VALU_DEP_3)
	v_dual_fmac_f32 v113, v21, v99 :: v_dual_fmac_f32 v84, v40, v104
	v_dual_fmac_f32 v85, v52, v97 :: v_dual_and_b32 v102, 0xffff0000, v102
	v_lshlrev_b32_e32 v140, 16, v107
	v_and_b32_e32 v107, 0xffff0000, v107
	s_delay_alu instid0(VALU_DEP_4) | instskip(NEXT) | instid1(VALU_DEP_4)
	v_fmac_f32_e32 v113, v23, v136
	v_dual_cndmask_b32 v80, 0, v80 :: v_dual_fmac_f32 v85, v54, v134
	v_dual_fmac_f32 v83, v24, v103 :: v_dual_and_b32 v110, 0xffff0000, v110
	s_delay_alu instid0(VALU_DEP_3) | instskip(SKIP_2) | instid1(VALU_DEP_4)
	v_fmac_f32_e32 v113, v25, v107
	v_lshlrev_b32_e32 v105, 16, v105
	v_dual_fmac_f32 v115, v39, v137 :: v_dual_add_nc_u32 v76, 0x80, v76
	v_fmac_f32_e32 v83, v26, v140
	v_dual_fmac_f32 v84, v42, v141 :: v_dual_fmac_f32 v119, v68, v131
	s_delay_alu instid0(VALU_DEP_4) | instskip(NEXT) | instid1(VALU_DEP_3)
	v_dual_fmac_f32 v85, v56, v105 :: v_dual_and_b32 v108, 0xffff0000, v108
	v_add_f32_e32 v79, v83, v113
	s_delay_alu instid0(VALU_DEP_3) | instskip(NEXT) | instid1(VALU_DEP_3)
	v_dual_fmac_f32 v118, v57, v109 :: v_dual_fmac_f32 v119, v70, v102
	v_fmac_f32_e32 v115, v41, v108
	s_delay_alu instid0(VALU_DEP_4) | instskip(NEXT) | instid1(VALU_DEP_4)
	v_fmac_f32_e32 v85, v58, v142
	v_add_f32_e32 v79, v79, v84
	s_delay_alu instid0(VALU_DEP_4) | instskip(NEXT) | instid1(VALU_DEP_2)
	v_fmac_f32_e32 v119, v72, v139
	v_add_f32_e32 v79, v115, v79
	s_delay_alu instid0(VALU_DEP_2) | instskip(NEXT) | instid1(VALU_DEP_2)
	v_fmac_f32_e32 v119, v74, v110
	v_add_f32_e32 v79, v85, v79
	s_delay_alu instid0(VALU_DEP_1) | instskip(NEXT) | instid1(VALU_DEP_1)
	v_add_f32_e32 v79, v118, v79
	v_add_f32_e32 v79, v86, v79
	s_delay_alu instid0(VALU_DEP_1) | instskip(NEXT) | instid1(VALU_DEP_1)
	v_add_f32_e32 v79, v119, v79
	v_fmac_f32_e32 v80, s3, v79
	s_delay_alu instid0(VALU_DEP_1) | instskip(SKIP_1) | instid1(VALU_DEP_2)
	v_max_f32_e32 v79, v144, v80
	v_cndmask_b32_e64 v80, 0, v80, s0
	v_cndmask_b32_e64 v64, v64, v79, s0
	ds_store_b32 v77, v80
	v_add_nc_u32_e32 v77, 0x200, v77
	s_and_not1_b32 exec_lo, exec_lo, s33
	s_cbranch_execnz .LBB194_7
; %bb.8:
	s_or_b32 exec_lo, exec_lo, s33
.LBB194_9:
	s_delay_alu instid0(SALU_CYCLE_1) | instskip(SKIP_2) | instid1(VALU_DEP_2)
	s_or_b32 exec_lo, exec_lo, s31
	v_mbcnt_lo_u32_b32 v1, -1, 0
	v_max_f32_e32 v7, v64, v64
	v_xor_b32_e32 v2, 16, v1
	v_xor_b32_e32 v6, 8, v1
	s_delay_alu instid0(VALU_DEP_2) | instskip(SKIP_1) | instid1(VALU_DEP_3)
	v_cmp_gt_i32_e32 vcc_lo, 32, v2
	v_cndmask_b32_e32 v2, v1, v2, vcc_lo
	v_cmp_gt_i32_e32 vcc_lo, 32, v6
	s_delay_alu instid0(VALU_DEP_2) | instskip(SKIP_4) | instid1(VALU_DEP_1)
	v_lshlrev_b32_e32 v2, 2, v2
	v_cndmask_b32_e32 v6, v1, v6, vcc_lo
	ds_bpermute_b32 v5, v2, v64
	s_waitcnt lgkmcnt(0)
	v_dual_max_f32 v8, v5, v5 :: v_dual_lshlrev_b32 v5, 2, v6
	v_max_f32_e32 v6, v7, v8
	v_xor_b32_e32 v8, 4, v1
	ds_bpermute_b32 v7, v5, v6
	v_cmp_gt_i32_e32 vcc_lo, 32, v8
	s_waitcnt lgkmcnt(0)
	v_dual_cndmask_b32 v8, v1, v8 :: v_dual_max_f32 v11, v7, v7
	s_delay_alu instid0(VALU_DEP_1) | instskip(SKIP_1) | instid1(VALU_DEP_1)
	v_max_f32_e32 v6, v6, v11
	v_xor_b32_e32 v11, 2, v1
	v_cmp_gt_i32_e32 vcc_lo, 32, v11
	v_cndmask_b32_e32 v11, v1, v11, vcc_lo
	s_delay_alu instid0(VALU_DEP_1)
	v_lshlrev_b32_e32 v15, 2, v11
	v_lshlrev_b32_e32 v7, 2, v8
	v_xor_b32_e32 v11, 1, v1
	ds_bpermute_b32 v8, v7, v6
	v_cmp_gt_i32_e32 vcc_lo, 32, v11
	v_cndmask_b32_e32 v11, v1, v11, vcc_lo
	v_cmp_eq_u32_e32 vcc_lo, 0, v13
	s_delay_alu instid0(VALU_DEP_2) | instskip(SKIP_2) | instid1(VALU_DEP_1)
	v_lshlrev_b32_e32 v14, 2, v11
	s_waitcnt lgkmcnt(0)
	v_max_f32_e32 v8, v8, v8
	v_max_f32_e32 v6, v6, v8
	ds_bpermute_b32 v8, v15, v6
	s_waitcnt lgkmcnt(0)
	v_max_f32_e32 v8, v8, v8
	s_delay_alu instid0(VALU_DEP_1)
	v_max_f32_e32 v1, v6, v8
	v_lshlrev_b32_e32 v8, 2, v12
	ds_bpermute_b32 v6, v14, v1
	s_and_saveexec_b32 s0, vcc_lo
	s_cbranch_execz .LBB194_11
; %bb.10:
	s_waitcnt lgkmcnt(0)
	v_dual_max_f32 v6, v6, v6 :: v_dual_max_f32 v1, v1, v1
	s_delay_alu instid0(VALU_DEP_1)
	v_max_f32_e32 v1, v1, v6
	ds_store_b32 v8, v1 offset:128
.LBB194_11:
	s_or_b32 exec_lo, exec_lo, s0
	v_cmp_gt_u32_e64 s0, 4, v13
	v_mov_b32_e32 v1, 0xff7fffff
	s_waitcnt lgkmcnt(0)
	s_barrier
	buffer_gl0_inv
	s_and_saveexec_b32 s1, s0
	s_cbranch_execz .LBB194_13
; %bb.12:
	ds_load_b32 v1, v4 offset:128
.LBB194_13:
	s_or_b32 exec_lo, exec_lo, s1
	s_waitcnt lgkmcnt(0)
	ds_bpermute_b32 v6, v15, v1
	v_max_f32_e32 v1, v1, v1
	s_sub_i32 s1, s17, s13
	v_mov_b32_e32 v11, 0
	s_lshl_b32 s1, s1, 5
	s_delay_alu instid0(SALU_CYCLE_1) | instskip(NEXT) | instid1(SALU_CYCLE_1)
	s_add_i32 s1, s1, s29
	s_min_i32 s1, s1, s28
	s_delay_alu instid0(SALU_CYCLE_1) | instskip(NEXT) | instid1(SALU_CYCLE_1)
	s_sub_i32 s7, s1, s29
	v_cmp_gt_i32_e64 s1, s7, v0
	s_waitcnt lgkmcnt(0)
	v_max_f32_e32 v6, v6, v6
	s_delay_alu instid0(VALU_DEP_1) | instskip(SKIP_3) | instid1(VALU_DEP_1)
	v_max_f32_e32 v1, v1, v6
	ds_bpermute_b32 v6, v14, v1
	s_waitcnt lgkmcnt(0)
	v_max_f32_e32 v6, v6, v6
	v_max_f32_e32 v1, v1, v6
	v_lshl_add_u32 v6, v0, 2, 0xa0
	ds_bpermute_b32 v1, v11, v1
	s_and_saveexec_b32 s13, s1
	s_cbranch_execz .LBB194_17
; %bb.14:
	v_lshl_add_u32 v16, v0, 2, 0xa0
	v_mov_b32_e32 v11, 0
	v_mov_b32_e32 v17, v0
	s_mov_b32 s30, 0
	.p2align	6
.LBB194_15:                             ; =>This Inner Loop Header: Depth=1
	ds_load_b32 v18, v16
	v_add_nc_u32_e32 v17, 0x80, v17
	s_delay_alu instid0(VALU_DEP_1) | instskip(NEXT) | instid1(VALU_DEP_1)
	v_cmp_le_i32_e64 s3, s7, v17
	s_or_b32 s30, s3, s30
	s_waitcnt lgkmcnt(0)
	v_sub_f32_e32 v18, v18, v1
	s_delay_alu instid0(VALU_DEP_1) | instskip(NEXT) | instid1(VALU_DEP_1)
	v_mul_f32_e32 v18, 0x3fb8aa3b, v18
	v_exp_f32_e32 v18, v18
	ds_store_b32 v16, v18
	v_dual_add_f32 v11, v11, v18 :: v_dual_add_nc_u32 v16, 0x200, v16
	s_and_not1_b32 exec_lo, exec_lo, s30
	s_cbranch_execnz .LBB194_15
; %bb.16:
	s_or_b32 exec_lo, exec_lo, s30
.LBB194_17:
	s_delay_alu instid0(SALU_CYCLE_1)
	s_or_b32 exec_lo, exec_lo, s13
	ds_bpermute_b32 v2, v2, v11
	s_waitcnt lgkmcnt(0)
	v_add_f32_e32 v2, v11, v2
	ds_bpermute_b32 v5, v5, v2
	s_waitcnt lgkmcnt(0)
	v_add_f32_e32 v2, v2, v5
	;; [unrolled: 3-line block ×5, first 2 shown]
	s_and_saveexec_b32 s3, vcc_lo
	s_cbranch_execz .LBB194_19
; %bb.18:
	ds_store_b32 v8, v2 offset:144
.LBB194_19:
	s_or_b32 exec_lo, exec_lo, s3
	s_waitcnt lgkmcnt(0)
	s_barrier
	buffer_gl0_inv
	s_and_saveexec_b32 s3, s0
	s_cbranch_execz .LBB194_21
; %bb.20:
	ds_load_b32 v2, v4 offset:144
.LBB194_21:
	s_or_b32 exec_lo, exec_lo, s3
	s_waitcnt lgkmcnt(0)
	ds_bpermute_b32 v4, v15, v2
	s_waitcnt lgkmcnt(0)
	v_add_f32_e32 v2, v2, v4
	ds_bpermute_b32 v4, v14, v2
	s_waitcnt lgkmcnt(0)
	v_add_f32_e32 v2, v2, v4
	v_mov_b32_e32 v4, 0
	ds_bpermute_b32 v2, v4, v2
	s_and_saveexec_b32 s0, s1
	s_cbranch_execz .LBB194_24
; %bb.22:
	s_waitcnt lgkmcnt(0)
	v_add_f32_e32 v4, 0x358637bd, v2
	s_mov_b32 s1, 0
	s_delay_alu instid0(VALU_DEP_1) | instskip(NEXT) | instid1(VALU_DEP_1)
	v_div_scale_f32 v5, null, v4, v4, 1.0
	v_rcp_f32_e32 v7, v5
	s_waitcnt_depctr 0xfff
	v_fma_f32 v8, -v5, v7, 1.0
	s_delay_alu instid0(VALU_DEP_1) | instskip(SKIP_1) | instid1(VALU_DEP_1)
	v_fmac_f32_e32 v7, v8, v7
	v_div_scale_f32 v11, vcc_lo, 1.0, v4, 1.0
	v_mul_f32_e32 v8, v11, v7
	s_delay_alu instid0(VALU_DEP_1) | instskip(NEXT) | instid1(VALU_DEP_1)
	v_fma_f32 v16, -v5, v8, v11
	v_fmac_f32_e32 v8, v16, v7
	s_delay_alu instid0(VALU_DEP_1) | instskip(NEXT) | instid1(VALU_DEP_1)
	v_fma_f32 v5, -v5, v8, v11
	v_div_fmas_f32 v5, v5, v7, v8
	s_delay_alu instid0(VALU_DEP_1)
	v_div_fixup_f32 v4, v5, v4, 1.0
	v_mov_b32_e32 v5, v0
.LBB194_23:                             ; =>This Inner Loop Header: Depth=1
	ds_load_b32 v7, v6
	v_add_nc_u32_e32 v5, 0x80, v5
	s_delay_alu instid0(VALU_DEP_1)
	v_cmp_le_i32_e32 vcc_lo, s7, v5
	s_or_b32 s1, vcc_lo, s1
	s_waitcnt lgkmcnt(0)
	v_mul_f32_e32 v7, v4, v7
	ds_store_b32 v6, v7
	v_add_nc_u32_e32 v6, 0x200, v6
	s_and_not1_b32 exec_lo, exec_lo, s1
	s_cbranch_execnz .LBB194_23
.LBB194_24:
	s_or_b32 exec_lo, exec_lo, s0
	s_delay_alu instid0(SALU_CYCLE_1)
	s_mov_b32 s0, exec_lo
	s_waitcnt lgkmcnt(0)
	s_barrier
	buffer_gl0_inv
	v_cmpx_eq_u32_e32 0, v0
	s_cbranch_execz .LBB194_26
; %bb.25:
	s_mul_i32 s1, s4, s14
	s_mul_i32 s34, s4, s20
	;; [unrolled: 1-line block ×3, first 2 shown]
	v_mov_b32_e32 v4, 0
	s_ashr_i32 s31, s30, 31
	s_delay_alu instid0(SALU_CYCLE_1) | instskip(NEXT) | instid1(SALU_CYCLE_1)
	s_lshl_b64 s[30:31], s[30:31], 2
	s_add_u32 s1, s10, s30
	s_addc_u32 s3, s11, s31
	s_ashr_i32 s35, s34, 31
	s_delay_alu instid0(SALU_CYCLE_1) | instskip(NEXT) | instid1(SALU_CYCLE_1)
	s_lshl_b64 s[10:11], s[34:35], 2
	s_add_u32 s1, s1, s10
	s_addc_u32 s3, s3, s11
	s_ashr_i32 s13, s12, 31
	s_delay_alu instid0(SALU_CYCLE_1) | instskip(NEXT) | instid1(SALU_CYCLE_1)
	s_lshl_b64 s[34:35], s[12:13], 2
	s_add_u32 s36, s1, s34
	s_addc_u32 s37, s3, s35
	s_add_u32 s1, s8, s30
	s_addc_u32 s3, s9, s31
	s_add_u32 s1, s1, s10
	s_addc_u32 s3, s3, s11
	;; [unrolled: 2-line block ×3, first 2 shown]
	s_clause 0x1
	global_store_b32 v4, v1, s[36:37]
	global_store_b32 v4, v2, s[8:9]
.LBB194_26:
	s_or_b32 exec_lo, exec_lo, s0
	v_dual_mov_b32 v17, 0 :: v_dual_and_b32 v16, 3, v0
	v_dual_mov_b32 v18, 0 :: v_dual_mov_b32 v21, 0
	v_dual_mov_b32 v20, 0 :: v_dual_mov_b32 v23, 0
	;; [unrolled: 1-line block ×3, first 2 shown]
	v_mov_b32_e32 v24, 0
	s_mov_b32 s3, 0
	s_and_saveexec_b32 s1, s2
	s_cbranch_execz .LBB194_334
; %bb.27:
	v_dual_mov_b32 v24, 0 :: v_dual_lshlrev_b32 v1, 3, v0
	s_ashr_i32 s7, s6, 31
	v_dual_mov_b32 v19, 0 :: v_dual_lshlrev_b32 v2, 5, v16
	s_delay_alu instid0(VALU_DEP_2)
	v_dual_mov_b32 v22, 0 :: v_dual_and_b32 v1, 24, v1
	v_dual_mov_b32 v20, 0 :: v_dual_and_b32 v3, 0x1f0, v3
	v_lshl_add_u32 v4, v12, 5, s29
	s_lshl_b64 s[6:7], s[6:7], 1
	v_lshl_or_b32 v5, v12, 7, v2
	s_add_u32 s0, s24, s6
	s_addc_u32 s6, s25, s7
	v_add_co_u32 v25, s0, s0, v3
	v_add3_u32 v27, v4, v1, 7
	v_lshlrev_b64 v[1:2], 2, v[9:10]
	v_add_co_ci_u32_e64 v26, null, s6, 0, s0
	s_lshl_b64 s[6:7], s[26:27], 2
	s_add_i32 s2, s21, -1
	s_add_u32 s0, s22, s6
	s_addc_u32 s6, s23, s7
	v_add_co_u32 v10, vcc_lo, s0, v1
	v_dual_mov_b32 v23, 0 :: v_dual_add_nc_u32 v28, 0xa0, v5
	v_add_co_ci_u32_e32 v11, vcc_lo, s6, v2, vcc_lo
	v_dual_mov_b32 v21, 0 :: v_dual_mov_b32 v18, 0
	v_mov_b32_e32 v17, 0
	s_branch .LBB194_29
.LBB194_28:                             ;   in Loop: Header=BB194_29 Depth=1
	s_or_b32 exec_lo, exec_lo, s0
	v_and_b32_e32 v8, 0xffff0000, v8
	v_and_b32_e32 v29, 0xffff0000, v29
	;; [unrolled: 1-line block ×7, first 2 shown]
	s_delay_alu instid0(VALU_DEP_4) | instskip(SKIP_3) | instid1(VALU_DEP_4)
	v_dual_add_f32 v7, v7, v8 :: v_dual_add_f32 v8, v29, v30
	v_and_b32_e32 v29, 0xffff0000, v31
	v_and_b32_e32 v30, 0xffff0000, v33
	;; [unrolled: 1-line block ×3, first 2 shown]
	v_dual_add_f32 v7, v7, v8 :: v_dual_and_b32 v6, 0xffff0000, v6
	s_delay_alu instid0(VALU_DEP_4)
	v_add_f32_e32 v8, v29, v32
	v_and_b32_e32 v32, 0xffff0000, v51
	v_and_b32_e32 v2, 0xffff0000, v2
	;; [unrolled: 1-line block ×4, first 2 shown]
	v_dual_add_f32 v7, v7, v8 :: v_dual_add_f32 v8, v30, v31
	v_and_b32_e32 v1, 0xffff0000, v1
	v_and_b32_e32 v3, 0xffff0000, v3
	;; [unrolled: 1-line block ×3, first 2 shown]
	v_add_nc_u32_e32 v9, 4, v9
	v_add_f32_e32 v7, v7, v8
	v_and_b32_e32 v8, 0xffff0000, v56
	v_and_b32_e32 v33, 0xffff0000, v50
	v_add_f32_e32 v1, v1, v5
	v_cmp_le_i32_e32 vcc_lo, s17, v9
	v_add_co_u32 v10, s0, v10, 16
	v_add_f32_e32 v8, v8, v37
	v_dual_add_f32 v31, v33, v32 :: v_dual_and_b32 v30, 0xffff0000, v55
	v_and_b32_e32 v32, 0xffff0000, v54
	v_and_b32_e32 v33, 0xffff0000, v58
	;; [unrolled: 1-line block ×3, first 2 shown]
	v_add_nc_u32_e32 v27, 0x80, v27
	v_add_co_ci_u32_e64 v11, s0, 0, v11, s0
	v_add_f32_e32 v30, v32, v30
	v_and_b32_e32 v32, 0xffff0000, v59
	v_and_b32_e32 v29, 0xffff0000, v53
	v_add_f32_e32 v19, v19, v7
	s_or_b32 s3, vcc_lo, s3
	v_add_f32_e32 v2, v2, v6
	v_dual_add_f32 v32, v33, v32 :: v_dual_and_b32 v33, 0xffff0000, v62
	v_and_b32_e32 v35, 0xffff0000, v52
	s_delay_alu instid0(VALU_DEP_3) | instskip(SKIP_1) | instid1(VALU_DEP_3)
	v_dual_add_f32 v1, v1, v2 :: v_dual_and_b32 v42, 0xffff0000, v97
	v_and_b32_e32 v34, 0xffff0000, v34
	v_dual_add_f32 v29, v35, v29 :: v_dual_and_b32 v40, 0xffff0000, v90
	v_add_nc_u32_e32 v28, 0x200, v28
	s_delay_alu instid0(VALU_DEP_3) | instskip(NEXT) | instid1(VALU_DEP_3)
	v_dual_add_f32 v2, v3, v34 :: v_dual_and_b32 v3, 0xffff0000, v36
	v_add_f32_e32 v29, v31, v29
	v_and_b32_e32 v31, 0xffff0000, v61
	s_delay_alu instid0(VALU_DEP_3) | instskip(NEXT) | instid1(VALU_DEP_3)
	v_dual_add_f32 v1, v1, v2 :: v_dual_add_f32 v2, v4, v3
	v_dual_add_f32 v29, v29, v30 :: v_dual_and_b32 v30, 0xffff0000, v63
	s_delay_alu instid0(VALU_DEP_2) | instskip(NEXT) | instid1(VALU_DEP_2)
	v_add_f32_e32 v1, v1, v2
	v_add_f32_e32 v8, v29, v8
	s_delay_alu instid0(VALU_DEP_3) | instskip(SKIP_1) | instid1(VALU_DEP_3)
	v_dual_add_f32 v30, v33, v30 :: v_dual_and_b32 v35, 0xffff0000, v60
	v_and_b32_e32 v33, 0xffff0000, v67
	v_dual_add_f32 v17, v17, v1 :: v_dual_add_f32 v24, v24, v8
	s_delay_alu instid0(VALU_DEP_3) | instskip(SKIP_1) | instid1(VALU_DEP_2)
	v_dual_add_f32 v31, v35, v31 :: v_dual_and_b32 v8, 0xffff0000, v72
	v_and_b32_e32 v35, 0xffff0000, v64
	v_dual_add_f32 v31, v32, v31 :: v_dual_and_b32 v32, 0xffff0000, v69
	s_delay_alu instid0(VALU_DEP_1) | instskip(NEXT) | instid1(VALU_DEP_3)
	v_add_f32_e32 v30, v31, v30
	v_dual_add_f32 v31, v35, v37 :: v_dual_and_b32 v38, 0xffff0000, v66
	s_delay_alu instid0(VALU_DEP_3) | instskip(SKIP_1) | instid1(VALU_DEP_3)
	v_add_f32_e32 v32, v39, v32
	v_and_b32_e32 v39, 0xffff0000, v80
	v_add_f32_e32 v29, v30, v31
	s_delay_alu instid0(VALU_DEP_4) | instskip(SKIP_1) | instid1(VALU_DEP_3)
	v_add_f32_e32 v33, v38, v33
	v_and_b32_e32 v31, 0xffff0000, v75
	v_dual_add_f32 v23, v23, v29 :: v_dual_and_b32 v38, 0xffff0000, v84
	s_delay_alu instid0(VALU_DEP_3) | instskip(SKIP_2) | instid1(VALU_DEP_3)
	v_dual_add_f32 v7, v33, v32 :: v_dual_and_b32 v32, 0xffff0000, v74
	v_and_b32_e32 v29, 0xffff0000, v73
	v_and_b32_e32 v33, 0xffff0000, v76
	v_dual_add_f32 v31, v32, v31 :: v_dual_and_b32 v32, 0xffff0000, v85
	s_delay_alu instid0(VALU_DEP_3) | instskip(NEXT) | instid1(VALU_DEP_2)
	v_dual_add_f32 v8, v8, v29 :: v_dual_and_b32 v35, 0xffff0000, v71
	v_dual_add_f32 v32, v38, v32 :: v_dual_and_b32 v29, 0xffff0000, v79
	v_and_b32_e32 v37, 0xffff0000, v70
	v_and_b32_e32 v38, 0xffff0000, v92
	s_delay_alu instid0(VALU_DEP_2) | instskip(SKIP_1) | instid1(VALU_DEP_2)
	v_dual_add_f32 v30, v37, v35 :: v_dual_and_b32 v37, 0xffff0000, v82
	v_and_b32_e32 v35, 0xffff0000, v78
	v_dual_add_f32 v7, v7, v30 :: v_dual_and_b32 v30, 0xffff0000, v77
	s_delay_alu instid0(VALU_DEP_2) | instskip(SKIP_1) | instid1(VALU_DEP_3)
	v_add_f32_e32 v29, v35, v29
	v_and_b32_e32 v35, 0xffff0000, v81
	v_dual_add_f32 v7, v7, v8 :: v_dual_add_f32 v30, v33, v30
	v_and_b32_e32 v33, 0xffff0000, v83
	s_delay_alu instid0(VALU_DEP_2) | instskip(NEXT) | instid1(VALU_DEP_3)
	v_add_f32_e32 v22, v22, v7
	v_dual_add_f32 v30, v31, v30 :: v_dual_and_b32 v31, 0xffff0000, v87
	s_delay_alu instid0(VALU_DEP_3) | instskip(SKIP_1) | instid1(VALU_DEP_3)
	v_add_f32_e32 v33, v37, v33
	v_and_b32_e32 v37, 0xffff0000, v86
	v_dual_add_f32 v29, v30, v29 :: v_dual_add_f32 v30, v39, v35
	s_delay_alu instid0(VALU_DEP_3) | instskip(NEXT) | instid1(VALU_DEP_3)
	v_add_f32_e32 v8, v33, v32
	v_add_f32_e32 v31, v37, v31
	v_and_b32_e32 v37, 0xffff0000, v93
	v_and_b32_e32 v39, 0xffff0000, v91
	;; [unrolled: 1-line block ×4, first 2 shown]
	v_add_f32_e32 v8, v8, v31
	v_and_b32_e32 v31, 0xffff0000, v95
	v_add_f32_e32 v39, v40, v39
	v_add_f32_e32 v37, v38, v37
	v_and_b32_e32 v33, 0xffff0000, v89
	s_delay_alu instid0(VALU_DEP_4) | instskip(NEXT) | instid1(VALU_DEP_3)
	v_dual_add_f32 v3, v29, v30 :: v_dual_add_f32 v6, v35, v31
	v_add_f32_e32 v5, v39, v37
	s_delay_alu instid0(VALU_DEP_3) | instskip(NEXT) | instid1(VALU_DEP_3)
	v_add_f32_e32 v31, v32, v33
	v_add_f32_e32 v21, v21, v3
	s_delay_alu instid0(VALU_DEP_3) | instskip(SKIP_1) | instid1(VALU_DEP_1)
	v_add_f32_e32 v5, v5, v6
	v_add_f32_e32 v6, v41, v42
	v_dual_add_f32 v4, v8, v31 :: v_dual_add_f32 v5, v5, v6
	s_delay_alu instid0(VALU_DEP_1) | instskip(NEXT) | instid1(VALU_DEP_2)
	v_add_f32_e32 v20, v20, v4
	v_add_f32_e32 v18, v18, v5
	s_and_not1_b32 exec_lo, exec_lo, s3
	s_cbranch_execz .LBB194_333
.LBB194_29:                             ; =>This Inner Loop Header: Depth=1
	global_load_b32 v34, v[10:11], off
	ds_load_2addr_b64 v[5:8], v28 offset1:1
	ds_load_2addr_b64 v[1:4], v28 offset0:2 offset1:3
	s_mov_b32 s0, exec_lo
                                        ; implicit-def: $vgpr42
	s_waitcnt lgkmcnt(1)
	v_and_b32_e32 v29, 0x7f800000, v5
	s_delay_alu instid0(VALU_DEP_1)
	v_cmpx_ne_u32_e32 0x7f800000, v29
	s_xor_b32 s0, exec_lo, s0
; %bb.30:                               ;   in Loop: Header=BB194_29 Depth=1
	v_bfe_u32 v29, v5, 16, 1
	s_delay_alu instid0(VALU_DEP_1)
	v_add3_u32 v42, v5, v29, 0x7fff
; %bb.31:                               ;   in Loop: Header=BB194_29 Depth=1
	s_and_not1_saveexec_b32 s0, s0
; %bb.32:                               ;   in Loop: Header=BB194_29 Depth=1
	v_and_b32_e32 v29, 0xffff, v5
	v_or_b32_e32 v30, 0x10000, v5
	s_delay_alu instid0(VALU_DEP_2) | instskip(NEXT) | instid1(VALU_DEP_2)
	v_cmp_eq_u32_e32 vcc_lo, 0, v29
	v_cndmask_b32_e32 v42, v30, v5, vcc_lo
; %bb.33:                               ;   in Loop: Header=BB194_29 Depth=1
	s_or_b32 exec_lo, exec_lo, s0
	v_and_b32_e32 v5, 0x7f800000, v6
	s_mov_b32 s0, exec_lo
                                        ; implicit-def: $vgpr43
	s_delay_alu instid0(VALU_DEP_1)
	v_cmpx_ne_u32_e32 0x7f800000, v5
	s_xor_b32 s0, exec_lo, s0
; %bb.34:                               ;   in Loop: Header=BB194_29 Depth=1
	v_bfe_u32 v5, v6, 16, 1
	s_delay_alu instid0(VALU_DEP_1)
	v_add3_u32 v43, v6, v5, 0x7fff
; %bb.35:                               ;   in Loop: Header=BB194_29 Depth=1
	s_and_not1_saveexec_b32 s0, s0
; %bb.36:                               ;   in Loop: Header=BB194_29 Depth=1
	v_and_b32_e32 v5, 0xffff, v6
	v_or_b32_e32 v29, 0x10000, v6
	s_delay_alu instid0(VALU_DEP_2) | instskip(NEXT) | instid1(VALU_DEP_2)
	v_cmp_eq_u32_e32 vcc_lo, 0, v5
	v_cndmask_b32_e32 v43, v29, v6, vcc_lo
; %bb.37:                               ;   in Loop: Header=BB194_29 Depth=1
	s_or_b32 exec_lo, exec_lo, s0
	v_and_b32_e32 v5, 0x7f800000, v7
	s_mov_b32 s0, exec_lo
                                        ; implicit-def: $vgpr29
	s_delay_alu instid0(VALU_DEP_1)
	v_cmpx_ne_u32_e32 0x7f800000, v5
	s_xor_b32 s0, exec_lo, s0
; %bb.38:                               ;   in Loop: Header=BB194_29 Depth=1
	v_bfe_u32 v5, v7, 16, 1
	s_delay_alu instid0(VALU_DEP_1)
	v_add3_u32 v29, v7, v5, 0x7fff
; %bb.39:                               ;   in Loop: Header=BB194_29 Depth=1
	s_and_not1_saveexec_b32 s0, s0
; %bb.40:                               ;   in Loop: Header=BB194_29 Depth=1
	v_and_b32_e32 v5, 0xffff, v7
	v_or_b32_e32 v6, 0x10000, v7
	s_delay_alu instid0(VALU_DEP_2) | instskip(NEXT) | instid1(VALU_DEP_2)
	v_cmp_eq_u32_e32 vcc_lo, 0, v5
	v_cndmask_b32_e32 v29, v6, v7, vcc_lo
; %bb.41:                               ;   in Loop: Header=BB194_29 Depth=1
	s_or_b32 exec_lo, exec_lo, s0
	v_and_b32_e32 v5, 0x7f800000, v8
	s_mov_b32 s0, exec_lo
                                        ; implicit-def: $vgpr30
	s_delay_alu instid0(VALU_DEP_1)
	v_cmpx_ne_u32_e32 0x7f800000, v5
	s_xor_b32 s0, exec_lo, s0
; %bb.42:                               ;   in Loop: Header=BB194_29 Depth=1
	v_bfe_u32 v5, v8, 16, 1
	s_delay_alu instid0(VALU_DEP_1)
	v_add3_u32 v30, v8, v5, 0x7fff
                                        ; implicit-def: $vgpr5_vgpr6_vgpr7_vgpr8
; %bb.43:                               ;   in Loop: Header=BB194_29 Depth=1
	s_and_not1_saveexec_b32 s0, s0
; %bb.44:                               ;   in Loop: Header=BB194_29 Depth=1
	v_and_b32_e32 v5, 0xffff, v8
	v_or_b32_e32 v6, 0x10000, v8
	s_delay_alu instid0(VALU_DEP_2) | instskip(NEXT) | instid1(VALU_DEP_2)
	v_cmp_eq_u32_e32 vcc_lo, 0, v5
	v_cndmask_b32_e32 v30, v6, v8, vcc_lo
; %bb.45:                               ;   in Loop: Header=BB194_29 Depth=1
	s_or_b32 exec_lo, exec_lo, s0
	s_waitcnt lgkmcnt(0)
	v_and_b32_e32 v5, 0x7f800000, v1
	s_mov_b32 s0, exec_lo
                                        ; implicit-def: $vgpr31
	s_delay_alu instid0(VALU_DEP_1)
	v_cmpx_ne_u32_e32 0x7f800000, v5
	s_xor_b32 s0, exec_lo, s0
; %bb.46:                               ;   in Loop: Header=BB194_29 Depth=1
	v_bfe_u32 v5, v1, 16, 1
	s_delay_alu instid0(VALU_DEP_1)
	v_add3_u32 v31, v1, v5, 0x7fff
; %bb.47:                               ;   in Loop: Header=BB194_29 Depth=1
	s_and_not1_saveexec_b32 s0, s0
; %bb.48:                               ;   in Loop: Header=BB194_29 Depth=1
	v_and_b32_e32 v5, 0xffff, v1
	v_or_b32_e32 v6, 0x10000, v1
	s_delay_alu instid0(VALU_DEP_2) | instskip(NEXT) | instid1(VALU_DEP_2)
	v_cmp_eq_u32_e32 vcc_lo, 0, v5
	v_cndmask_b32_e32 v31, v6, v1, vcc_lo
; %bb.49:                               ;   in Loop: Header=BB194_29 Depth=1
	s_or_b32 exec_lo, exec_lo, s0
	v_and_b32_e32 v1, 0x7f800000, v2
	s_mov_b32 s0, exec_lo
                                        ; implicit-def: $vgpr32
	s_delay_alu instid0(VALU_DEP_1)
	v_cmpx_ne_u32_e32 0x7f800000, v1
	s_xor_b32 s0, exec_lo, s0
; %bb.50:                               ;   in Loop: Header=BB194_29 Depth=1
	v_bfe_u32 v1, v2, 16, 1
	s_delay_alu instid0(VALU_DEP_1)
	v_add3_u32 v32, v2, v1, 0x7fff
; %bb.51:                               ;   in Loop: Header=BB194_29 Depth=1
	s_and_not1_saveexec_b32 s0, s0
; %bb.52:                               ;   in Loop: Header=BB194_29 Depth=1
	v_and_b32_e32 v1, 0xffff, v2
	v_or_b32_e32 v5, 0x10000, v2
	s_delay_alu instid0(VALU_DEP_2) | instskip(NEXT) | instid1(VALU_DEP_2)
	v_cmp_eq_u32_e32 vcc_lo, 0, v1
	v_cndmask_b32_e32 v32, v5, v2, vcc_lo
; %bb.53:                               ;   in Loop: Header=BB194_29 Depth=1
	s_or_b32 exec_lo, exec_lo, s0
	v_and_b32_e32 v1, 0x7f800000, v3
	s_mov_b32 s0, exec_lo
                                        ; implicit-def: $vgpr33
	s_delay_alu instid0(VALU_DEP_1)
	v_cmpx_ne_u32_e32 0x7f800000, v1
	s_xor_b32 s0, exec_lo, s0
; %bb.54:                               ;   in Loop: Header=BB194_29 Depth=1
	v_bfe_u32 v1, v3, 16, 1
	s_delay_alu instid0(VALU_DEP_1)
	v_add3_u32 v33, v3, v1, 0x7fff
; %bb.55:                               ;   in Loop: Header=BB194_29 Depth=1
	s_and_not1_saveexec_b32 s0, s0
; %bb.56:                               ;   in Loop: Header=BB194_29 Depth=1
	v_and_b32_e32 v1, 0xffff, v3
	v_or_b32_e32 v2, 0x10000, v3
	s_delay_alu instid0(VALU_DEP_2) | instskip(NEXT) | instid1(VALU_DEP_2)
	v_cmp_eq_u32_e32 vcc_lo, 0, v1
	v_cndmask_b32_e32 v33, v2, v3, vcc_lo
; %bb.57:                               ;   in Loop: Header=BB194_29 Depth=1
	s_or_b32 exec_lo, exec_lo, s0
	v_and_b32_e32 v1, 0x7f800000, v4
	s_mov_b32 s0, exec_lo
                                        ; implicit-def: $vgpr35
	s_delay_alu instid0(VALU_DEP_1)
	v_cmpx_ne_u32_e32 0x7f800000, v1
	s_xor_b32 s0, exec_lo, s0
; %bb.58:                               ;   in Loop: Header=BB194_29 Depth=1
	v_bfe_u32 v1, v4, 16, 1
	s_delay_alu instid0(VALU_DEP_1)
	v_add3_u32 v35, v4, v1, 0x7fff
                                        ; implicit-def: $vgpr1_vgpr2_vgpr3_vgpr4
; %bb.59:                               ;   in Loop: Header=BB194_29 Depth=1
	s_and_not1_saveexec_b32 s0, s0
; %bb.60:                               ;   in Loop: Header=BB194_29 Depth=1
	v_and_b32_e32 v1, 0xffff, v4
	v_or_b32_e32 v2, 0x10000, v4
	s_delay_alu instid0(VALU_DEP_2) | instskip(NEXT) | instid1(VALU_DEP_2)
	v_cmp_eq_u32_e32 vcc_lo, 0, v1
	v_cndmask_b32_e32 v35, v2, v4, vcc_lo
; %bb.61:                               ;   in Loop: Header=BB194_29 Depth=1
	s_or_b32 exec_lo, exec_lo, s0
	s_waitcnt vmcnt(0)
	v_mad_i64_i32 v[1:2], null, v34, s5, 0
	v_add_nc_u32_e32 v34, -7, v27
	v_add_nc_u32_e32 v41, -6, v27
	;; [unrolled: 1-line block ×6, first 2 shown]
	v_lshlrev_b64 v[1:2], 1, v[1:2]
	v_add_nc_u32_e32 v40, -1, v27
	s_delay_alu instid0(VALU_DEP_2) | instskip(NEXT) | instid1(VALU_DEP_3)
	v_add_co_u32 v5, vcc_lo, v25, v1
	v_add_co_ci_u32_e32 v6, vcc_lo, v26, v2, vcc_lo
	v_cmp_eq_u32_e32 vcc_lo, s2, v9
	global_load_b128 v[1:4], v[5:6], off
	s_waitcnt vmcnt(0)
	v_lshrrev_b32_e32 v8, 16, v1
	v_lshrrev_b32_e32 v46, 16, v2
	;; [unrolled: 1-line block ×4, first 2 shown]
	s_and_saveexec_b32 s6, vcc_lo
	s_cbranch_execz .LBB194_63
; %bb.62:                               ;   in Loop: Header=BB194_29 Depth=1
	v_cmp_gt_i32_e64 s0, s28, v34
	s_delay_alu instid0(VALU_DEP_1) | instskip(SKIP_1) | instid1(VALU_DEP_1)
	v_cndmask_b32_e64 v1, 0, v1, s0
	v_cmp_gt_i32_e64 s0, s28, v41
	v_cndmask_b32_e64 v8, 0, v8, s0
	v_cmp_gt_i32_e64 s0, s28, v39
	s_delay_alu instid0(VALU_DEP_1) | instskip(SKIP_1) | instid1(VALU_DEP_1)
	v_cndmask_b32_e64 v2, 0, v2, s0
	v_cmp_gt_i32_e64 s0, s28, v38
	v_cndmask_b32_e64 v46, 0, v46, s0
	;; [unrolled: 5-line block ×4, first 2 shown]
.LBB194_63:                             ;   in Loop: Header=BB194_29 Depth=1
	s_or_b32 exec_lo, exec_lo, s6
	v_and_b32_e32 v42, 0xffff0000, v42
	v_lshlrev_b32_e32 v1, 16, v1
	s_delay_alu instid0(VALU_DEP_1) | instskip(NEXT) | instid1(VALU_DEP_1)
	v_mul_f32_e32 v1, v42, v1
	v_and_b32_e32 v7, 0x7f800000, v1
	s_delay_alu instid0(VALU_DEP_1) | instskip(NEXT) | instid1(VALU_DEP_1)
	v_cmp_ne_u32_e64 s0, 0x7f800000, v7
                                        ; implicit-def: $vgpr7
	s_and_saveexec_b32 s6, s0
	s_delay_alu instid0(SALU_CYCLE_1)
	s_xor_b32 s0, exec_lo, s6
; %bb.64:                               ;   in Loop: Header=BB194_29 Depth=1
	v_bfe_u32 v7, v1, 16, 1
	s_delay_alu instid0(VALU_DEP_1)
	v_add3_u32 v7, v1, v7, 0x7fff
                                        ; implicit-def: $vgpr1
; %bb.65:                               ;   in Loop: Header=BB194_29 Depth=1
	s_and_not1_saveexec_b32 s6, s0
; %bb.66:                               ;   in Loop: Header=BB194_29 Depth=1
	v_and_b32_e32 v7, 0xffff, v1
	v_or_b32_e32 v44, 0x10000, v1
	s_delay_alu instid0(VALU_DEP_2) | instskip(NEXT) | instid1(VALU_DEP_1)
	v_cmp_eq_u32_e64 s0, 0, v7
	v_cndmask_b32_e64 v7, v44, v1, s0
; %bb.67:                               ;   in Loop: Header=BB194_29 Depth=1
	s_or_b32 exec_lo, exec_lo, s6
	v_and_b32_e32 v43, 0xffff0000, v43
	v_lshlrev_b32_e32 v1, 16, v8
	s_delay_alu instid0(VALU_DEP_1) | instskip(NEXT) | instid1(VALU_DEP_1)
	v_mul_f32_e32 v1, v43, v1
	v_and_b32_e32 v8, 0x7f800000, v1
	s_delay_alu instid0(VALU_DEP_1) | instskip(NEXT) | instid1(VALU_DEP_1)
	v_cmp_ne_u32_e64 s0, 0x7f800000, v8
                                        ; implicit-def: $vgpr8
	s_and_saveexec_b32 s6, s0
	s_delay_alu instid0(SALU_CYCLE_1)
	s_xor_b32 s0, exec_lo, s6
; %bb.68:                               ;   in Loop: Header=BB194_29 Depth=1
	v_bfe_u32 v8, v1, 16, 1
	s_delay_alu instid0(VALU_DEP_1)
	v_add3_u32 v8, v1, v8, 0x7fff
                                        ; implicit-def: $vgpr1
; %bb.69:                               ;   in Loop: Header=BB194_29 Depth=1
	s_and_not1_saveexec_b32 s6, s0
; %bb.70:                               ;   in Loop: Header=BB194_29 Depth=1
	v_and_b32_e32 v8, 0xffff, v1
	v_or_b32_e32 v44, 0x10000, v1
	s_delay_alu instid0(VALU_DEP_2) | instskip(NEXT) | instid1(VALU_DEP_1)
	v_cmp_eq_u32_e64 s0, 0, v8
	v_cndmask_b32_e64 v8, v44, v1, s0
; %bb.71:                               ;   in Loop: Header=BB194_29 Depth=1
	s_or_b32 exec_lo, exec_lo, s6
	v_and_b32_e32 v44, 0xffff0000, v29
	v_lshlrev_b32_e32 v1, 16, v2
                                        ; implicit-def: $vgpr29
	s_delay_alu instid0(VALU_DEP_1) | instskip(NEXT) | instid1(VALU_DEP_1)
	v_mul_f32_e32 v1, v44, v1
	v_and_b32_e32 v2, 0x7f800000, v1
	s_delay_alu instid0(VALU_DEP_1) | instskip(NEXT) | instid1(VALU_DEP_1)
	v_cmp_ne_u32_e64 s0, 0x7f800000, v2
	s_and_saveexec_b32 s6, s0
	s_delay_alu instid0(SALU_CYCLE_1)
	s_xor_b32 s0, exec_lo, s6
; %bb.72:                               ;   in Loop: Header=BB194_29 Depth=1
	v_bfe_u32 v2, v1, 16, 1
	s_delay_alu instid0(VALU_DEP_1)
	v_add3_u32 v29, v1, v2, 0x7fff
                                        ; implicit-def: $vgpr1
; %bb.73:                               ;   in Loop: Header=BB194_29 Depth=1
	s_and_not1_saveexec_b32 s6, s0
; %bb.74:                               ;   in Loop: Header=BB194_29 Depth=1
	v_and_b32_e32 v2, 0xffff, v1
	v_or_b32_e32 v29, 0x10000, v1
	s_delay_alu instid0(VALU_DEP_2) | instskip(NEXT) | instid1(VALU_DEP_1)
	v_cmp_eq_u32_e64 s0, 0, v2
	v_cndmask_b32_e64 v29, v29, v1, s0
; %bb.75:                               ;   in Loop: Header=BB194_29 Depth=1
	s_or_b32 exec_lo, exec_lo, s6
	v_and_b32_e32 v45, 0xffff0000, v30
	v_lshlrev_b32_e32 v1, 16, v46
                                        ; implicit-def: $vgpr30
	s_delay_alu instid0(VALU_DEP_1) | instskip(NEXT) | instid1(VALU_DEP_1)
	v_mul_f32_e32 v1, v45, v1
	v_and_b32_e32 v2, 0x7f800000, v1
	s_delay_alu instid0(VALU_DEP_1) | instskip(NEXT) | instid1(VALU_DEP_1)
	v_cmp_ne_u32_e64 s0, 0x7f800000, v2
	s_and_saveexec_b32 s6, s0
	s_delay_alu instid0(SALU_CYCLE_1)
	s_xor_b32 s0, exec_lo, s6
; %bb.76:                               ;   in Loop: Header=BB194_29 Depth=1
	v_bfe_u32 v2, v1, 16, 1
	s_delay_alu instid0(VALU_DEP_1)
	v_add3_u32 v30, v1, v2, 0x7fff
                                        ; implicit-def: $vgpr1
; %bb.77:                               ;   in Loop: Header=BB194_29 Depth=1
	s_and_not1_saveexec_b32 s6, s0
; %bb.78:                               ;   in Loop: Header=BB194_29 Depth=1
	v_and_b32_e32 v2, 0xffff, v1
	v_or_b32_e32 v30, 0x10000, v1
	s_delay_alu instid0(VALU_DEP_2) | instskip(NEXT) | instid1(VALU_DEP_1)
	v_cmp_eq_u32_e64 s0, 0, v2
	v_cndmask_b32_e64 v30, v30, v1, s0
; %bb.79:                               ;   in Loop: Header=BB194_29 Depth=1
	s_or_b32 exec_lo, exec_lo, s6
	v_and_b32_e32 v46, 0xffff0000, v31
	v_lshlrev_b32_e32 v1, 16, v3
                                        ; implicit-def: $vgpr31
	s_delay_alu instid0(VALU_DEP_1) | instskip(NEXT) | instid1(VALU_DEP_1)
	v_mul_f32_e32 v1, v46, v1
	v_and_b32_e32 v2, 0x7f800000, v1
	s_delay_alu instid0(VALU_DEP_1) | instskip(NEXT) | instid1(VALU_DEP_1)
	v_cmp_ne_u32_e64 s0, 0x7f800000, v2
	s_and_saveexec_b32 s6, s0
	s_delay_alu instid0(SALU_CYCLE_1)
	s_xor_b32 s0, exec_lo, s6
; %bb.80:                               ;   in Loop: Header=BB194_29 Depth=1
	v_bfe_u32 v2, v1, 16, 1
	s_delay_alu instid0(VALU_DEP_1)
	v_add3_u32 v31, v1, v2, 0x7fff
                                        ; implicit-def: $vgpr1
; %bb.81:                               ;   in Loop: Header=BB194_29 Depth=1
	s_and_not1_saveexec_b32 s6, s0
; %bb.82:                               ;   in Loop: Header=BB194_29 Depth=1
	v_and_b32_e32 v2, 0xffff, v1
	v_or_b32_e32 v3, 0x10000, v1
	s_delay_alu instid0(VALU_DEP_2) | instskip(NEXT) | instid1(VALU_DEP_1)
	v_cmp_eq_u32_e64 s0, 0, v2
	v_cndmask_b32_e64 v31, v3, v1, s0
; %bb.83:                               ;   in Loop: Header=BB194_29 Depth=1
	s_or_b32 exec_lo, exec_lo, s6
	v_and_b32_e32 v47, 0xffff0000, v32
	v_lshlrev_b32_e32 v1, 16, v48
                                        ; implicit-def: $vgpr32
	s_delay_alu instid0(VALU_DEP_1) | instskip(NEXT) | instid1(VALU_DEP_1)
	v_mul_f32_e32 v1, v47, v1
	v_and_b32_e32 v2, 0x7f800000, v1
	s_delay_alu instid0(VALU_DEP_1) | instskip(NEXT) | instid1(VALU_DEP_1)
	v_cmp_ne_u32_e64 s0, 0x7f800000, v2
	s_and_saveexec_b32 s6, s0
	s_delay_alu instid0(SALU_CYCLE_1)
	s_xor_b32 s0, exec_lo, s6
; %bb.84:                               ;   in Loop: Header=BB194_29 Depth=1
	v_bfe_u32 v2, v1, 16, 1
	s_delay_alu instid0(VALU_DEP_1)
	v_add3_u32 v32, v1, v2, 0x7fff
                                        ; implicit-def: $vgpr1
; %bb.85:                               ;   in Loop: Header=BB194_29 Depth=1
	s_and_not1_saveexec_b32 s6, s0
; %bb.86:                               ;   in Loop: Header=BB194_29 Depth=1
	v_and_b32_e32 v2, 0xffff, v1
	v_or_b32_e32 v3, 0x10000, v1
	s_delay_alu instid0(VALU_DEP_2) | instskip(NEXT) | instid1(VALU_DEP_1)
	v_cmp_eq_u32_e64 s0, 0, v2
	v_cndmask_b32_e64 v32, v3, v1, s0
; %bb.87:                               ;   in Loop: Header=BB194_29 Depth=1
	s_or_b32 exec_lo, exec_lo, s6
	v_and_b32_e32 v48, 0xffff0000, v33
	v_lshlrev_b32_e32 v1, 16, v4
                                        ; implicit-def: $vgpr33
	s_delay_alu instid0(VALU_DEP_1) | instskip(NEXT) | instid1(VALU_DEP_1)
	v_mul_f32_e32 v1, v48, v1
	v_and_b32_e32 v2, 0x7f800000, v1
	s_delay_alu instid0(VALU_DEP_1) | instskip(NEXT) | instid1(VALU_DEP_1)
	v_cmp_ne_u32_e64 s0, 0x7f800000, v2
	s_and_saveexec_b32 s6, s0
	s_delay_alu instid0(SALU_CYCLE_1)
	s_xor_b32 s0, exec_lo, s6
; %bb.88:                               ;   in Loop: Header=BB194_29 Depth=1
	v_bfe_u32 v2, v1, 16, 1
	s_delay_alu instid0(VALU_DEP_1)
	v_add3_u32 v33, v1, v2, 0x7fff
                                        ; implicit-def: $vgpr1
; %bb.89:                               ;   in Loop: Header=BB194_29 Depth=1
	s_and_not1_saveexec_b32 s6, s0
; %bb.90:                               ;   in Loop: Header=BB194_29 Depth=1
	v_and_b32_e32 v2, 0xffff, v1
	v_or_b32_e32 v3, 0x10000, v1
	s_delay_alu instid0(VALU_DEP_2) | instskip(NEXT) | instid1(VALU_DEP_1)
	v_cmp_eq_u32_e64 s0, 0, v2
	v_cndmask_b32_e64 v33, v3, v1, s0
; %bb.91:                               ;   in Loop: Header=BB194_29 Depth=1
	s_or_b32 exec_lo, exec_lo, s6
	v_and_b32_e32 v49, 0xffff0000, v35
	v_lshlrev_b32_e32 v1, 16, v50
                                        ; implicit-def: $vgpr35
	s_delay_alu instid0(VALU_DEP_1) | instskip(NEXT) | instid1(VALU_DEP_1)
	v_mul_f32_e32 v1, v49, v1
	v_and_b32_e32 v2, 0x7f800000, v1
	s_delay_alu instid0(VALU_DEP_1) | instskip(NEXT) | instid1(VALU_DEP_1)
	v_cmp_ne_u32_e64 s0, 0x7f800000, v2
	s_and_saveexec_b32 s6, s0
	s_delay_alu instid0(SALU_CYCLE_1)
	s_xor_b32 s0, exec_lo, s6
; %bb.92:                               ;   in Loop: Header=BB194_29 Depth=1
	v_bfe_u32 v2, v1, 16, 1
	s_delay_alu instid0(VALU_DEP_1)
	v_add3_u32 v35, v1, v2, 0x7fff
                                        ; implicit-def: $vgpr1
; %bb.93:                               ;   in Loop: Header=BB194_29 Depth=1
	s_and_not1_saveexec_b32 s6, s0
; %bb.94:                               ;   in Loop: Header=BB194_29 Depth=1
	v_and_b32_e32 v2, 0xffff, v1
	v_or_b32_e32 v3, 0x10000, v1
	s_delay_alu instid0(VALU_DEP_2) | instskip(NEXT) | instid1(VALU_DEP_1)
	v_cmp_eq_u32_e64 s0, 0, v2
	v_cndmask_b32_e64 v35, v3, v1, s0
; %bb.95:                               ;   in Loop: Header=BB194_29 Depth=1
	s_or_b32 exec_lo, exec_lo, s6
	global_load_b128 v[1:4], v[5:6], off offset:512
	s_waitcnt vmcnt(0)
	v_lshrrev_b32_e32 v51, 16, v1
	v_lshrrev_b32_e32 v53, 16, v2
	;; [unrolled: 1-line block ×4, first 2 shown]
	s_and_saveexec_b32 s6, vcc_lo
	s_cbranch_execz .LBB194_97
; %bb.96:                               ;   in Loop: Header=BB194_29 Depth=1
	v_cmp_gt_i32_e64 s0, s28, v34
	s_delay_alu instid0(VALU_DEP_1) | instskip(SKIP_1) | instid1(VALU_DEP_1)
	v_cndmask_b32_e64 v1, 0, v1, s0
	v_cmp_gt_i32_e64 s0, s28, v41
	v_cndmask_b32_e64 v51, 0, v51, s0
	v_cmp_gt_i32_e64 s0, s28, v39
	s_delay_alu instid0(VALU_DEP_1) | instskip(SKIP_1) | instid1(VALU_DEP_1)
	v_cndmask_b32_e64 v2, 0, v2, s0
	v_cmp_gt_i32_e64 s0, s28, v38
	v_cndmask_b32_e64 v53, 0, v53, s0
	;; [unrolled: 5-line block ×4, first 2 shown]
.LBB194_97:                             ;   in Loop: Header=BB194_29 Depth=1
	s_or_b32 exec_lo, exec_lo, s6
	v_lshlrev_b32_e32 v1, 16, v1
	s_delay_alu instid0(VALU_DEP_1) | instskip(NEXT) | instid1(VALU_DEP_1)
	v_mul_f32_e32 v1, v42, v1
	v_and_b32_e32 v50, 0x7f800000, v1
	s_delay_alu instid0(VALU_DEP_1) | instskip(NEXT) | instid1(VALU_DEP_1)
	v_cmp_ne_u32_e64 s0, 0x7f800000, v50
                                        ; implicit-def: $vgpr50
	s_and_saveexec_b32 s6, s0
	s_delay_alu instid0(SALU_CYCLE_1)
	s_xor_b32 s0, exec_lo, s6
; %bb.98:                               ;   in Loop: Header=BB194_29 Depth=1
	v_bfe_u32 v50, v1, 16, 1
	s_delay_alu instid0(VALU_DEP_1)
	v_add3_u32 v50, v1, v50, 0x7fff
                                        ; implicit-def: $vgpr1
; %bb.99:                               ;   in Loop: Header=BB194_29 Depth=1
	s_and_not1_saveexec_b32 s6, s0
; %bb.100:                              ;   in Loop: Header=BB194_29 Depth=1
	v_and_b32_e32 v50, 0xffff, v1
	v_or_b32_e32 v52, 0x10000, v1
	s_delay_alu instid0(VALU_DEP_2) | instskip(NEXT) | instid1(VALU_DEP_1)
	v_cmp_eq_u32_e64 s0, 0, v50
	v_cndmask_b32_e64 v50, v52, v1, s0
; %bb.101:                              ;   in Loop: Header=BB194_29 Depth=1
	s_or_b32 exec_lo, exec_lo, s6
	v_lshlrev_b32_e32 v1, 16, v51
	s_delay_alu instid0(VALU_DEP_1) | instskip(NEXT) | instid1(VALU_DEP_1)
	v_mul_f32_e32 v1, v43, v1
	v_and_b32_e32 v51, 0x7f800000, v1
	s_delay_alu instid0(VALU_DEP_1) | instskip(NEXT) | instid1(VALU_DEP_1)
	v_cmp_ne_u32_e64 s0, 0x7f800000, v51
                                        ; implicit-def: $vgpr51
	s_and_saveexec_b32 s6, s0
	s_delay_alu instid0(SALU_CYCLE_1)
	s_xor_b32 s0, exec_lo, s6
; %bb.102:                              ;   in Loop: Header=BB194_29 Depth=1
	v_bfe_u32 v51, v1, 16, 1
	s_delay_alu instid0(VALU_DEP_1)
	v_add3_u32 v51, v1, v51, 0x7fff
                                        ; implicit-def: $vgpr1
; %bb.103:                              ;   in Loop: Header=BB194_29 Depth=1
	s_and_not1_saveexec_b32 s6, s0
; %bb.104:                              ;   in Loop: Header=BB194_29 Depth=1
	v_and_b32_e32 v51, 0xffff, v1
	v_or_b32_e32 v52, 0x10000, v1
	s_delay_alu instid0(VALU_DEP_2) | instskip(NEXT) | instid1(VALU_DEP_1)
	v_cmp_eq_u32_e64 s0, 0, v51
	v_cndmask_b32_e64 v51, v52, v1, s0
; %bb.105:                              ;   in Loop: Header=BB194_29 Depth=1
	s_or_b32 exec_lo, exec_lo, s6
	v_lshlrev_b32_e32 v1, 16, v2
                                        ; implicit-def: $vgpr52
	s_delay_alu instid0(VALU_DEP_1) | instskip(NEXT) | instid1(VALU_DEP_1)
	v_mul_f32_e32 v1, v44, v1
	v_and_b32_e32 v2, 0x7f800000, v1
	s_delay_alu instid0(VALU_DEP_1) | instskip(NEXT) | instid1(VALU_DEP_1)
	v_cmp_ne_u32_e64 s0, 0x7f800000, v2
	s_and_saveexec_b32 s6, s0
	s_delay_alu instid0(SALU_CYCLE_1)
	s_xor_b32 s0, exec_lo, s6
; %bb.106:                              ;   in Loop: Header=BB194_29 Depth=1
	v_bfe_u32 v2, v1, 16, 1
	s_delay_alu instid0(VALU_DEP_1)
	v_add3_u32 v52, v1, v2, 0x7fff
                                        ; implicit-def: $vgpr1
; %bb.107:                              ;   in Loop: Header=BB194_29 Depth=1
	s_and_not1_saveexec_b32 s6, s0
; %bb.108:                              ;   in Loop: Header=BB194_29 Depth=1
	v_and_b32_e32 v2, 0xffff, v1
	v_or_b32_e32 v52, 0x10000, v1
	s_delay_alu instid0(VALU_DEP_2) | instskip(NEXT) | instid1(VALU_DEP_1)
	v_cmp_eq_u32_e64 s0, 0, v2
	v_cndmask_b32_e64 v52, v52, v1, s0
; %bb.109:                              ;   in Loop: Header=BB194_29 Depth=1
	s_or_b32 exec_lo, exec_lo, s6
	v_lshlrev_b32_e32 v1, 16, v53
                                        ; implicit-def: $vgpr53
	s_delay_alu instid0(VALU_DEP_1) | instskip(NEXT) | instid1(VALU_DEP_1)
	v_mul_f32_e32 v1, v45, v1
	v_and_b32_e32 v2, 0x7f800000, v1
	s_delay_alu instid0(VALU_DEP_1) | instskip(NEXT) | instid1(VALU_DEP_1)
	v_cmp_ne_u32_e64 s0, 0x7f800000, v2
	s_and_saveexec_b32 s6, s0
	s_delay_alu instid0(SALU_CYCLE_1)
	s_xor_b32 s0, exec_lo, s6
; %bb.110:                              ;   in Loop: Header=BB194_29 Depth=1
	v_bfe_u32 v2, v1, 16, 1
	s_delay_alu instid0(VALU_DEP_1)
	v_add3_u32 v53, v1, v2, 0x7fff
                                        ; implicit-def: $vgpr1
; %bb.111:                              ;   in Loop: Header=BB194_29 Depth=1
	s_and_not1_saveexec_b32 s6, s0
; %bb.112:                              ;   in Loop: Header=BB194_29 Depth=1
	v_and_b32_e32 v2, 0xffff, v1
	v_or_b32_e32 v53, 0x10000, v1
	s_delay_alu instid0(VALU_DEP_2) | instskip(NEXT) | instid1(VALU_DEP_1)
	v_cmp_eq_u32_e64 s0, 0, v2
	v_cndmask_b32_e64 v53, v53, v1, s0
; %bb.113:                              ;   in Loop: Header=BB194_29 Depth=1
	s_or_b32 exec_lo, exec_lo, s6
	v_lshlrev_b32_e32 v1, 16, v3
                                        ; implicit-def: $vgpr54
	s_delay_alu instid0(VALU_DEP_1) | instskip(NEXT) | instid1(VALU_DEP_1)
	v_mul_f32_e32 v1, v46, v1
	v_and_b32_e32 v2, 0x7f800000, v1
	s_delay_alu instid0(VALU_DEP_1) | instskip(NEXT) | instid1(VALU_DEP_1)
	v_cmp_ne_u32_e64 s0, 0x7f800000, v2
	s_and_saveexec_b32 s6, s0
	s_delay_alu instid0(SALU_CYCLE_1)
	s_xor_b32 s0, exec_lo, s6
; %bb.114:                              ;   in Loop: Header=BB194_29 Depth=1
	v_bfe_u32 v2, v1, 16, 1
	s_delay_alu instid0(VALU_DEP_1)
	v_add3_u32 v54, v1, v2, 0x7fff
                                        ; implicit-def: $vgpr1
; %bb.115:                              ;   in Loop: Header=BB194_29 Depth=1
	s_and_not1_saveexec_b32 s6, s0
; %bb.116:                              ;   in Loop: Header=BB194_29 Depth=1
	v_and_b32_e32 v2, 0xffff, v1
	v_or_b32_e32 v3, 0x10000, v1
	s_delay_alu instid0(VALU_DEP_2) | instskip(NEXT) | instid1(VALU_DEP_1)
	v_cmp_eq_u32_e64 s0, 0, v2
	v_cndmask_b32_e64 v54, v3, v1, s0
; %bb.117:                              ;   in Loop: Header=BB194_29 Depth=1
	s_or_b32 exec_lo, exec_lo, s6
	v_lshlrev_b32_e32 v1, 16, v55
                                        ; implicit-def: $vgpr55
	s_delay_alu instid0(VALU_DEP_1) | instskip(NEXT) | instid1(VALU_DEP_1)
	v_mul_f32_e32 v1, v47, v1
	v_and_b32_e32 v2, 0x7f800000, v1
	s_delay_alu instid0(VALU_DEP_1) | instskip(NEXT) | instid1(VALU_DEP_1)
	v_cmp_ne_u32_e64 s0, 0x7f800000, v2
	s_and_saveexec_b32 s6, s0
	s_delay_alu instid0(SALU_CYCLE_1)
	s_xor_b32 s0, exec_lo, s6
; %bb.118:                              ;   in Loop: Header=BB194_29 Depth=1
	v_bfe_u32 v2, v1, 16, 1
	s_delay_alu instid0(VALU_DEP_1)
	v_add3_u32 v55, v1, v2, 0x7fff
                                        ; implicit-def: $vgpr1
; %bb.119:                              ;   in Loop: Header=BB194_29 Depth=1
	s_and_not1_saveexec_b32 s6, s0
; %bb.120:                              ;   in Loop: Header=BB194_29 Depth=1
	v_and_b32_e32 v2, 0xffff, v1
	v_or_b32_e32 v3, 0x10000, v1
	s_delay_alu instid0(VALU_DEP_2) | instskip(NEXT) | instid1(VALU_DEP_1)
	v_cmp_eq_u32_e64 s0, 0, v2
	v_cndmask_b32_e64 v55, v3, v1, s0
; %bb.121:                              ;   in Loop: Header=BB194_29 Depth=1
	s_or_b32 exec_lo, exec_lo, s6
	v_lshlrev_b32_e32 v1, 16, v4
                                        ; implicit-def: $vgpr56
	s_delay_alu instid0(VALU_DEP_1) | instskip(NEXT) | instid1(VALU_DEP_1)
	v_mul_f32_e32 v1, v48, v1
	v_and_b32_e32 v2, 0x7f800000, v1
	s_delay_alu instid0(VALU_DEP_1) | instskip(NEXT) | instid1(VALU_DEP_1)
	v_cmp_ne_u32_e64 s0, 0x7f800000, v2
	s_and_saveexec_b32 s6, s0
	s_delay_alu instid0(SALU_CYCLE_1)
	s_xor_b32 s0, exec_lo, s6
; %bb.122:                              ;   in Loop: Header=BB194_29 Depth=1
	v_bfe_u32 v2, v1, 16, 1
	s_delay_alu instid0(VALU_DEP_1)
	v_add3_u32 v56, v1, v2, 0x7fff
                                        ; implicit-def: $vgpr1
; %bb.123:                              ;   in Loop: Header=BB194_29 Depth=1
	s_and_not1_saveexec_b32 s6, s0
; %bb.124:                              ;   in Loop: Header=BB194_29 Depth=1
	v_and_b32_e32 v2, 0xffff, v1
	v_or_b32_e32 v3, 0x10000, v1
	s_delay_alu instid0(VALU_DEP_2) | instskip(NEXT) | instid1(VALU_DEP_1)
	v_cmp_eq_u32_e64 s0, 0, v2
	v_cndmask_b32_e64 v56, v3, v1, s0
; %bb.125:                              ;   in Loop: Header=BB194_29 Depth=1
	s_or_b32 exec_lo, exec_lo, s6
	v_lshlrev_b32_e32 v1, 16, v57
                                        ; implicit-def: $vgpr57
	s_delay_alu instid0(VALU_DEP_1) | instskip(NEXT) | instid1(VALU_DEP_1)
	v_mul_f32_e32 v1, v49, v1
	v_and_b32_e32 v2, 0x7f800000, v1
	s_delay_alu instid0(VALU_DEP_1) | instskip(NEXT) | instid1(VALU_DEP_1)
	v_cmp_ne_u32_e64 s0, 0x7f800000, v2
	s_and_saveexec_b32 s6, s0
	s_delay_alu instid0(SALU_CYCLE_1)
	s_xor_b32 s0, exec_lo, s6
; %bb.126:                              ;   in Loop: Header=BB194_29 Depth=1
	v_bfe_u32 v2, v1, 16, 1
	s_delay_alu instid0(VALU_DEP_1)
	v_add3_u32 v57, v1, v2, 0x7fff
                                        ; implicit-def: $vgpr1
; %bb.127:                              ;   in Loop: Header=BB194_29 Depth=1
	s_and_not1_saveexec_b32 s6, s0
; %bb.128:                              ;   in Loop: Header=BB194_29 Depth=1
	v_and_b32_e32 v2, 0xffff, v1
	v_or_b32_e32 v3, 0x10000, v1
	s_delay_alu instid0(VALU_DEP_2) | instskip(NEXT) | instid1(VALU_DEP_1)
	v_cmp_eq_u32_e64 s0, 0, v2
	v_cndmask_b32_e64 v57, v3, v1, s0
; %bb.129:                              ;   in Loop: Header=BB194_29 Depth=1
	s_or_b32 exec_lo, exec_lo, s6
	global_load_b128 v[1:4], v[5:6], off offset:1024
	s_waitcnt vmcnt(0)
	v_lshrrev_b32_e32 v59, 16, v1
	v_lshrrev_b32_e32 v61, 16, v2
	;; [unrolled: 1-line block ×4, first 2 shown]
	s_and_saveexec_b32 s6, vcc_lo
	s_cbranch_execz .LBB194_131
; %bb.130:                              ;   in Loop: Header=BB194_29 Depth=1
	v_cmp_gt_i32_e64 s0, s28, v34
	s_delay_alu instid0(VALU_DEP_1) | instskip(SKIP_1) | instid1(VALU_DEP_1)
	v_cndmask_b32_e64 v1, 0, v1, s0
	v_cmp_gt_i32_e64 s0, s28, v41
	v_cndmask_b32_e64 v59, 0, v59, s0
	v_cmp_gt_i32_e64 s0, s28, v39
	s_delay_alu instid0(VALU_DEP_1) | instskip(SKIP_1) | instid1(VALU_DEP_1)
	v_cndmask_b32_e64 v2, 0, v2, s0
	v_cmp_gt_i32_e64 s0, s28, v38
	v_cndmask_b32_e64 v61, 0, v61, s0
	;; [unrolled: 5-line block ×4, first 2 shown]
.LBB194_131:                            ;   in Loop: Header=BB194_29 Depth=1
	s_or_b32 exec_lo, exec_lo, s6
	v_lshlrev_b32_e32 v1, 16, v1
	s_delay_alu instid0(VALU_DEP_1) | instskip(NEXT) | instid1(VALU_DEP_1)
	v_mul_f32_e32 v1, v42, v1
	v_and_b32_e32 v58, 0x7f800000, v1
	s_delay_alu instid0(VALU_DEP_1) | instskip(NEXT) | instid1(VALU_DEP_1)
	v_cmp_ne_u32_e64 s0, 0x7f800000, v58
                                        ; implicit-def: $vgpr58
	s_and_saveexec_b32 s6, s0
	s_delay_alu instid0(SALU_CYCLE_1)
	s_xor_b32 s0, exec_lo, s6
; %bb.132:                              ;   in Loop: Header=BB194_29 Depth=1
	v_bfe_u32 v58, v1, 16, 1
	s_delay_alu instid0(VALU_DEP_1)
	v_add3_u32 v58, v1, v58, 0x7fff
                                        ; implicit-def: $vgpr1
; %bb.133:                              ;   in Loop: Header=BB194_29 Depth=1
	s_and_not1_saveexec_b32 s6, s0
; %bb.134:                              ;   in Loop: Header=BB194_29 Depth=1
	v_and_b32_e32 v58, 0xffff, v1
	v_or_b32_e32 v60, 0x10000, v1
	s_delay_alu instid0(VALU_DEP_2) | instskip(NEXT) | instid1(VALU_DEP_1)
	v_cmp_eq_u32_e64 s0, 0, v58
	v_cndmask_b32_e64 v58, v60, v1, s0
; %bb.135:                              ;   in Loop: Header=BB194_29 Depth=1
	s_or_b32 exec_lo, exec_lo, s6
	v_lshlrev_b32_e32 v1, 16, v59
	s_delay_alu instid0(VALU_DEP_1) | instskip(NEXT) | instid1(VALU_DEP_1)
	v_mul_f32_e32 v1, v43, v1
	v_and_b32_e32 v59, 0x7f800000, v1
	s_delay_alu instid0(VALU_DEP_1) | instskip(NEXT) | instid1(VALU_DEP_1)
	v_cmp_ne_u32_e64 s0, 0x7f800000, v59
                                        ; implicit-def: $vgpr59
	s_and_saveexec_b32 s6, s0
	s_delay_alu instid0(SALU_CYCLE_1)
	s_xor_b32 s0, exec_lo, s6
; %bb.136:                              ;   in Loop: Header=BB194_29 Depth=1
	v_bfe_u32 v59, v1, 16, 1
	s_delay_alu instid0(VALU_DEP_1)
	v_add3_u32 v59, v1, v59, 0x7fff
                                        ; implicit-def: $vgpr1
; %bb.137:                              ;   in Loop: Header=BB194_29 Depth=1
	s_and_not1_saveexec_b32 s6, s0
; %bb.138:                              ;   in Loop: Header=BB194_29 Depth=1
	v_and_b32_e32 v59, 0xffff, v1
	v_or_b32_e32 v60, 0x10000, v1
	s_delay_alu instid0(VALU_DEP_2) | instskip(NEXT) | instid1(VALU_DEP_1)
	v_cmp_eq_u32_e64 s0, 0, v59
	v_cndmask_b32_e64 v59, v60, v1, s0
; %bb.139:                              ;   in Loop: Header=BB194_29 Depth=1
	s_or_b32 exec_lo, exec_lo, s6
	v_lshlrev_b32_e32 v1, 16, v2
                                        ; implicit-def: $vgpr60
	s_delay_alu instid0(VALU_DEP_1) | instskip(NEXT) | instid1(VALU_DEP_1)
	v_mul_f32_e32 v1, v44, v1
	v_and_b32_e32 v2, 0x7f800000, v1
	s_delay_alu instid0(VALU_DEP_1) | instskip(NEXT) | instid1(VALU_DEP_1)
	v_cmp_ne_u32_e64 s0, 0x7f800000, v2
	s_and_saveexec_b32 s6, s0
	s_delay_alu instid0(SALU_CYCLE_1)
	s_xor_b32 s0, exec_lo, s6
; %bb.140:                              ;   in Loop: Header=BB194_29 Depth=1
	v_bfe_u32 v2, v1, 16, 1
	s_delay_alu instid0(VALU_DEP_1)
	v_add3_u32 v60, v1, v2, 0x7fff
                                        ; implicit-def: $vgpr1
; %bb.141:                              ;   in Loop: Header=BB194_29 Depth=1
	s_and_not1_saveexec_b32 s6, s0
; %bb.142:                              ;   in Loop: Header=BB194_29 Depth=1
	v_and_b32_e32 v2, 0xffff, v1
	v_or_b32_e32 v60, 0x10000, v1
	s_delay_alu instid0(VALU_DEP_2) | instskip(NEXT) | instid1(VALU_DEP_1)
	v_cmp_eq_u32_e64 s0, 0, v2
	v_cndmask_b32_e64 v60, v60, v1, s0
; %bb.143:                              ;   in Loop: Header=BB194_29 Depth=1
	s_or_b32 exec_lo, exec_lo, s6
	v_lshlrev_b32_e32 v1, 16, v61
                                        ; implicit-def: $vgpr61
	s_delay_alu instid0(VALU_DEP_1) | instskip(NEXT) | instid1(VALU_DEP_1)
	v_mul_f32_e32 v1, v45, v1
	v_and_b32_e32 v2, 0x7f800000, v1
	s_delay_alu instid0(VALU_DEP_1) | instskip(NEXT) | instid1(VALU_DEP_1)
	v_cmp_ne_u32_e64 s0, 0x7f800000, v2
	s_and_saveexec_b32 s6, s0
	s_delay_alu instid0(SALU_CYCLE_1)
	s_xor_b32 s0, exec_lo, s6
; %bb.144:                              ;   in Loop: Header=BB194_29 Depth=1
	v_bfe_u32 v2, v1, 16, 1
	s_delay_alu instid0(VALU_DEP_1)
	v_add3_u32 v61, v1, v2, 0x7fff
                                        ; implicit-def: $vgpr1
; %bb.145:                              ;   in Loop: Header=BB194_29 Depth=1
	s_and_not1_saveexec_b32 s6, s0
; %bb.146:                              ;   in Loop: Header=BB194_29 Depth=1
	v_and_b32_e32 v2, 0xffff, v1
	v_or_b32_e32 v61, 0x10000, v1
	s_delay_alu instid0(VALU_DEP_2) | instskip(NEXT) | instid1(VALU_DEP_1)
	v_cmp_eq_u32_e64 s0, 0, v2
	v_cndmask_b32_e64 v61, v61, v1, s0
; %bb.147:                              ;   in Loop: Header=BB194_29 Depth=1
	s_or_b32 exec_lo, exec_lo, s6
	v_lshlrev_b32_e32 v1, 16, v3
                                        ; implicit-def: $vgpr62
	s_delay_alu instid0(VALU_DEP_1) | instskip(NEXT) | instid1(VALU_DEP_1)
	v_mul_f32_e32 v1, v46, v1
	v_and_b32_e32 v2, 0x7f800000, v1
	s_delay_alu instid0(VALU_DEP_1) | instskip(NEXT) | instid1(VALU_DEP_1)
	v_cmp_ne_u32_e64 s0, 0x7f800000, v2
	s_and_saveexec_b32 s6, s0
	s_delay_alu instid0(SALU_CYCLE_1)
	s_xor_b32 s0, exec_lo, s6
; %bb.148:                              ;   in Loop: Header=BB194_29 Depth=1
	v_bfe_u32 v2, v1, 16, 1
	s_delay_alu instid0(VALU_DEP_1)
	v_add3_u32 v62, v1, v2, 0x7fff
                                        ; implicit-def: $vgpr1
; %bb.149:                              ;   in Loop: Header=BB194_29 Depth=1
	s_and_not1_saveexec_b32 s6, s0
; %bb.150:                              ;   in Loop: Header=BB194_29 Depth=1
	v_and_b32_e32 v2, 0xffff, v1
	v_or_b32_e32 v3, 0x10000, v1
	s_delay_alu instid0(VALU_DEP_2) | instskip(NEXT) | instid1(VALU_DEP_1)
	v_cmp_eq_u32_e64 s0, 0, v2
	v_cndmask_b32_e64 v62, v3, v1, s0
; %bb.151:                              ;   in Loop: Header=BB194_29 Depth=1
	s_or_b32 exec_lo, exec_lo, s6
	v_lshlrev_b32_e32 v1, 16, v63
                                        ; implicit-def: $vgpr63
	s_delay_alu instid0(VALU_DEP_1) | instskip(NEXT) | instid1(VALU_DEP_1)
	v_mul_f32_e32 v1, v47, v1
	v_and_b32_e32 v2, 0x7f800000, v1
	s_delay_alu instid0(VALU_DEP_1) | instskip(NEXT) | instid1(VALU_DEP_1)
	v_cmp_ne_u32_e64 s0, 0x7f800000, v2
	s_and_saveexec_b32 s6, s0
	s_delay_alu instid0(SALU_CYCLE_1)
	s_xor_b32 s0, exec_lo, s6
; %bb.152:                              ;   in Loop: Header=BB194_29 Depth=1
	v_bfe_u32 v2, v1, 16, 1
	s_delay_alu instid0(VALU_DEP_1)
	v_add3_u32 v63, v1, v2, 0x7fff
                                        ; implicit-def: $vgpr1
; %bb.153:                              ;   in Loop: Header=BB194_29 Depth=1
	s_and_not1_saveexec_b32 s6, s0
; %bb.154:                              ;   in Loop: Header=BB194_29 Depth=1
	v_and_b32_e32 v2, 0xffff, v1
	v_or_b32_e32 v3, 0x10000, v1
	s_delay_alu instid0(VALU_DEP_2) | instskip(NEXT) | instid1(VALU_DEP_1)
	v_cmp_eq_u32_e64 s0, 0, v2
	v_cndmask_b32_e64 v63, v3, v1, s0
; %bb.155:                              ;   in Loop: Header=BB194_29 Depth=1
	s_or_b32 exec_lo, exec_lo, s6
	v_lshlrev_b32_e32 v1, 16, v4
                                        ; implicit-def: $vgpr64
	s_delay_alu instid0(VALU_DEP_1) | instskip(NEXT) | instid1(VALU_DEP_1)
	v_mul_f32_e32 v1, v48, v1
	v_and_b32_e32 v2, 0x7f800000, v1
	s_delay_alu instid0(VALU_DEP_1) | instskip(NEXT) | instid1(VALU_DEP_1)
	v_cmp_ne_u32_e64 s0, 0x7f800000, v2
	s_and_saveexec_b32 s6, s0
	s_delay_alu instid0(SALU_CYCLE_1)
	s_xor_b32 s0, exec_lo, s6
; %bb.156:                              ;   in Loop: Header=BB194_29 Depth=1
	v_bfe_u32 v2, v1, 16, 1
	s_delay_alu instid0(VALU_DEP_1)
	v_add3_u32 v64, v1, v2, 0x7fff
                                        ; implicit-def: $vgpr1
; %bb.157:                              ;   in Loop: Header=BB194_29 Depth=1
	s_and_not1_saveexec_b32 s6, s0
; %bb.158:                              ;   in Loop: Header=BB194_29 Depth=1
	v_and_b32_e32 v2, 0xffff, v1
	v_or_b32_e32 v3, 0x10000, v1
	s_delay_alu instid0(VALU_DEP_2) | instskip(NEXT) | instid1(VALU_DEP_1)
	v_cmp_eq_u32_e64 s0, 0, v2
	v_cndmask_b32_e64 v64, v3, v1, s0
; %bb.159:                              ;   in Loop: Header=BB194_29 Depth=1
	s_or_b32 exec_lo, exec_lo, s6
	v_lshlrev_b32_e32 v1, 16, v65
                                        ; implicit-def: $vgpr65
	s_delay_alu instid0(VALU_DEP_1) | instskip(NEXT) | instid1(VALU_DEP_1)
	v_mul_f32_e32 v1, v49, v1
	v_and_b32_e32 v2, 0x7f800000, v1
	s_delay_alu instid0(VALU_DEP_1) | instskip(NEXT) | instid1(VALU_DEP_1)
	v_cmp_ne_u32_e64 s0, 0x7f800000, v2
	s_and_saveexec_b32 s6, s0
	s_delay_alu instid0(SALU_CYCLE_1)
	s_xor_b32 s0, exec_lo, s6
; %bb.160:                              ;   in Loop: Header=BB194_29 Depth=1
	v_bfe_u32 v2, v1, 16, 1
	s_delay_alu instid0(VALU_DEP_1)
	v_add3_u32 v65, v1, v2, 0x7fff
                                        ; implicit-def: $vgpr1
; %bb.161:                              ;   in Loop: Header=BB194_29 Depth=1
	s_and_not1_saveexec_b32 s6, s0
; %bb.162:                              ;   in Loop: Header=BB194_29 Depth=1
	v_and_b32_e32 v2, 0xffff, v1
	v_or_b32_e32 v3, 0x10000, v1
	s_delay_alu instid0(VALU_DEP_2) | instskip(NEXT) | instid1(VALU_DEP_1)
	v_cmp_eq_u32_e64 s0, 0, v2
	v_cndmask_b32_e64 v65, v3, v1, s0
; %bb.163:                              ;   in Loop: Header=BB194_29 Depth=1
	s_or_b32 exec_lo, exec_lo, s6
	global_load_b128 v[1:4], v[5:6], off offset:1536
	s_waitcnt vmcnt(0)
	v_lshrrev_b32_e32 v67, 16, v1
	v_lshrrev_b32_e32 v69, 16, v2
	;; [unrolled: 1-line block ×4, first 2 shown]
	s_and_saveexec_b32 s6, vcc_lo
	s_cbranch_execz .LBB194_165
; %bb.164:                              ;   in Loop: Header=BB194_29 Depth=1
	v_cmp_gt_i32_e64 s0, s28, v34
	s_delay_alu instid0(VALU_DEP_1) | instskip(SKIP_1) | instid1(VALU_DEP_1)
	v_cndmask_b32_e64 v1, 0, v1, s0
	v_cmp_gt_i32_e64 s0, s28, v41
	v_cndmask_b32_e64 v67, 0, v67, s0
	v_cmp_gt_i32_e64 s0, s28, v39
	s_delay_alu instid0(VALU_DEP_1) | instskip(SKIP_1) | instid1(VALU_DEP_1)
	v_cndmask_b32_e64 v2, 0, v2, s0
	v_cmp_gt_i32_e64 s0, s28, v38
	v_cndmask_b32_e64 v69, 0, v69, s0
	;; [unrolled: 5-line block ×4, first 2 shown]
.LBB194_165:                            ;   in Loop: Header=BB194_29 Depth=1
	s_or_b32 exec_lo, exec_lo, s6
	v_lshlrev_b32_e32 v1, 16, v1
	s_delay_alu instid0(VALU_DEP_1) | instskip(NEXT) | instid1(VALU_DEP_1)
	v_mul_f32_e32 v1, v42, v1
	v_and_b32_e32 v66, 0x7f800000, v1
	s_delay_alu instid0(VALU_DEP_1) | instskip(NEXT) | instid1(VALU_DEP_1)
	v_cmp_ne_u32_e64 s0, 0x7f800000, v66
                                        ; implicit-def: $vgpr66
	s_and_saveexec_b32 s6, s0
	s_delay_alu instid0(SALU_CYCLE_1)
	s_xor_b32 s0, exec_lo, s6
; %bb.166:                              ;   in Loop: Header=BB194_29 Depth=1
	v_bfe_u32 v66, v1, 16, 1
	s_delay_alu instid0(VALU_DEP_1)
	v_add3_u32 v66, v1, v66, 0x7fff
                                        ; implicit-def: $vgpr1
; %bb.167:                              ;   in Loop: Header=BB194_29 Depth=1
	s_and_not1_saveexec_b32 s6, s0
; %bb.168:                              ;   in Loop: Header=BB194_29 Depth=1
	v_and_b32_e32 v66, 0xffff, v1
	v_or_b32_e32 v68, 0x10000, v1
	s_delay_alu instid0(VALU_DEP_2) | instskip(NEXT) | instid1(VALU_DEP_1)
	v_cmp_eq_u32_e64 s0, 0, v66
	v_cndmask_b32_e64 v66, v68, v1, s0
; %bb.169:                              ;   in Loop: Header=BB194_29 Depth=1
	s_or_b32 exec_lo, exec_lo, s6
	v_lshlrev_b32_e32 v1, 16, v67
	s_delay_alu instid0(VALU_DEP_1) | instskip(NEXT) | instid1(VALU_DEP_1)
	v_mul_f32_e32 v1, v43, v1
	v_and_b32_e32 v67, 0x7f800000, v1
	s_delay_alu instid0(VALU_DEP_1) | instskip(NEXT) | instid1(VALU_DEP_1)
	v_cmp_ne_u32_e64 s0, 0x7f800000, v67
                                        ; implicit-def: $vgpr67
	s_and_saveexec_b32 s6, s0
	s_delay_alu instid0(SALU_CYCLE_1)
	s_xor_b32 s0, exec_lo, s6
; %bb.170:                              ;   in Loop: Header=BB194_29 Depth=1
	v_bfe_u32 v67, v1, 16, 1
	s_delay_alu instid0(VALU_DEP_1)
	v_add3_u32 v67, v1, v67, 0x7fff
                                        ; implicit-def: $vgpr1
; %bb.171:                              ;   in Loop: Header=BB194_29 Depth=1
	s_and_not1_saveexec_b32 s6, s0
; %bb.172:                              ;   in Loop: Header=BB194_29 Depth=1
	v_and_b32_e32 v67, 0xffff, v1
	v_or_b32_e32 v68, 0x10000, v1
	s_delay_alu instid0(VALU_DEP_2) | instskip(NEXT) | instid1(VALU_DEP_1)
	v_cmp_eq_u32_e64 s0, 0, v67
	v_cndmask_b32_e64 v67, v68, v1, s0
; %bb.173:                              ;   in Loop: Header=BB194_29 Depth=1
	s_or_b32 exec_lo, exec_lo, s6
	v_lshlrev_b32_e32 v1, 16, v2
                                        ; implicit-def: $vgpr68
	s_delay_alu instid0(VALU_DEP_1) | instskip(NEXT) | instid1(VALU_DEP_1)
	v_mul_f32_e32 v1, v44, v1
	v_and_b32_e32 v2, 0x7f800000, v1
	s_delay_alu instid0(VALU_DEP_1) | instskip(NEXT) | instid1(VALU_DEP_1)
	v_cmp_ne_u32_e64 s0, 0x7f800000, v2
	s_and_saveexec_b32 s6, s0
	s_delay_alu instid0(SALU_CYCLE_1)
	s_xor_b32 s0, exec_lo, s6
; %bb.174:                              ;   in Loop: Header=BB194_29 Depth=1
	v_bfe_u32 v2, v1, 16, 1
	s_delay_alu instid0(VALU_DEP_1)
	v_add3_u32 v68, v1, v2, 0x7fff
                                        ; implicit-def: $vgpr1
; %bb.175:                              ;   in Loop: Header=BB194_29 Depth=1
	s_and_not1_saveexec_b32 s6, s0
; %bb.176:                              ;   in Loop: Header=BB194_29 Depth=1
	v_and_b32_e32 v2, 0xffff, v1
	v_or_b32_e32 v68, 0x10000, v1
	s_delay_alu instid0(VALU_DEP_2) | instskip(NEXT) | instid1(VALU_DEP_1)
	v_cmp_eq_u32_e64 s0, 0, v2
	v_cndmask_b32_e64 v68, v68, v1, s0
; %bb.177:                              ;   in Loop: Header=BB194_29 Depth=1
	s_or_b32 exec_lo, exec_lo, s6
	v_lshlrev_b32_e32 v1, 16, v69
                                        ; implicit-def: $vgpr69
	s_delay_alu instid0(VALU_DEP_1) | instskip(NEXT) | instid1(VALU_DEP_1)
	v_mul_f32_e32 v1, v45, v1
	v_and_b32_e32 v2, 0x7f800000, v1
	s_delay_alu instid0(VALU_DEP_1) | instskip(NEXT) | instid1(VALU_DEP_1)
	v_cmp_ne_u32_e64 s0, 0x7f800000, v2
	s_and_saveexec_b32 s6, s0
	s_delay_alu instid0(SALU_CYCLE_1)
	s_xor_b32 s0, exec_lo, s6
; %bb.178:                              ;   in Loop: Header=BB194_29 Depth=1
	v_bfe_u32 v2, v1, 16, 1
	s_delay_alu instid0(VALU_DEP_1)
	v_add3_u32 v69, v1, v2, 0x7fff
                                        ; implicit-def: $vgpr1
; %bb.179:                              ;   in Loop: Header=BB194_29 Depth=1
	s_and_not1_saveexec_b32 s6, s0
; %bb.180:                              ;   in Loop: Header=BB194_29 Depth=1
	v_and_b32_e32 v2, 0xffff, v1
	v_or_b32_e32 v69, 0x10000, v1
	s_delay_alu instid0(VALU_DEP_2) | instskip(NEXT) | instid1(VALU_DEP_1)
	v_cmp_eq_u32_e64 s0, 0, v2
	v_cndmask_b32_e64 v69, v69, v1, s0
; %bb.181:                              ;   in Loop: Header=BB194_29 Depth=1
	s_or_b32 exec_lo, exec_lo, s6
	v_lshlrev_b32_e32 v1, 16, v3
                                        ; implicit-def: $vgpr70
	s_delay_alu instid0(VALU_DEP_1) | instskip(NEXT) | instid1(VALU_DEP_1)
	v_mul_f32_e32 v1, v46, v1
	v_and_b32_e32 v2, 0x7f800000, v1
	s_delay_alu instid0(VALU_DEP_1) | instskip(NEXT) | instid1(VALU_DEP_1)
	v_cmp_ne_u32_e64 s0, 0x7f800000, v2
	s_and_saveexec_b32 s6, s0
	s_delay_alu instid0(SALU_CYCLE_1)
	s_xor_b32 s0, exec_lo, s6
; %bb.182:                              ;   in Loop: Header=BB194_29 Depth=1
	v_bfe_u32 v2, v1, 16, 1
	s_delay_alu instid0(VALU_DEP_1)
	v_add3_u32 v70, v1, v2, 0x7fff
                                        ; implicit-def: $vgpr1
; %bb.183:                              ;   in Loop: Header=BB194_29 Depth=1
	s_and_not1_saveexec_b32 s6, s0
; %bb.184:                              ;   in Loop: Header=BB194_29 Depth=1
	v_and_b32_e32 v2, 0xffff, v1
	v_or_b32_e32 v3, 0x10000, v1
	s_delay_alu instid0(VALU_DEP_2) | instskip(NEXT) | instid1(VALU_DEP_1)
	v_cmp_eq_u32_e64 s0, 0, v2
	v_cndmask_b32_e64 v70, v3, v1, s0
; %bb.185:                              ;   in Loop: Header=BB194_29 Depth=1
	s_or_b32 exec_lo, exec_lo, s6
	v_lshlrev_b32_e32 v1, 16, v71
                                        ; implicit-def: $vgpr71
	s_delay_alu instid0(VALU_DEP_1) | instskip(NEXT) | instid1(VALU_DEP_1)
	v_mul_f32_e32 v1, v47, v1
	v_and_b32_e32 v2, 0x7f800000, v1
	s_delay_alu instid0(VALU_DEP_1) | instskip(NEXT) | instid1(VALU_DEP_1)
	v_cmp_ne_u32_e64 s0, 0x7f800000, v2
	s_and_saveexec_b32 s6, s0
	s_delay_alu instid0(SALU_CYCLE_1)
	s_xor_b32 s0, exec_lo, s6
; %bb.186:                              ;   in Loop: Header=BB194_29 Depth=1
	v_bfe_u32 v2, v1, 16, 1
	s_delay_alu instid0(VALU_DEP_1)
	v_add3_u32 v71, v1, v2, 0x7fff
                                        ; implicit-def: $vgpr1
; %bb.187:                              ;   in Loop: Header=BB194_29 Depth=1
	s_and_not1_saveexec_b32 s6, s0
; %bb.188:                              ;   in Loop: Header=BB194_29 Depth=1
	v_and_b32_e32 v2, 0xffff, v1
	v_or_b32_e32 v3, 0x10000, v1
	s_delay_alu instid0(VALU_DEP_2) | instskip(NEXT) | instid1(VALU_DEP_1)
	v_cmp_eq_u32_e64 s0, 0, v2
	v_cndmask_b32_e64 v71, v3, v1, s0
; %bb.189:                              ;   in Loop: Header=BB194_29 Depth=1
	s_or_b32 exec_lo, exec_lo, s6
	v_lshlrev_b32_e32 v1, 16, v4
                                        ; implicit-def: $vgpr72
	s_delay_alu instid0(VALU_DEP_1) | instskip(NEXT) | instid1(VALU_DEP_1)
	v_mul_f32_e32 v1, v48, v1
	v_and_b32_e32 v2, 0x7f800000, v1
	s_delay_alu instid0(VALU_DEP_1) | instskip(NEXT) | instid1(VALU_DEP_1)
	v_cmp_ne_u32_e64 s0, 0x7f800000, v2
	s_and_saveexec_b32 s6, s0
	s_delay_alu instid0(SALU_CYCLE_1)
	s_xor_b32 s0, exec_lo, s6
; %bb.190:                              ;   in Loop: Header=BB194_29 Depth=1
	v_bfe_u32 v2, v1, 16, 1
	s_delay_alu instid0(VALU_DEP_1)
	v_add3_u32 v72, v1, v2, 0x7fff
                                        ; implicit-def: $vgpr1
; %bb.191:                              ;   in Loop: Header=BB194_29 Depth=1
	s_and_not1_saveexec_b32 s6, s0
; %bb.192:                              ;   in Loop: Header=BB194_29 Depth=1
	v_and_b32_e32 v2, 0xffff, v1
	v_or_b32_e32 v3, 0x10000, v1
	s_delay_alu instid0(VALU_DEP_2) | instskip(NEXT) | instid1(VALU_DEP_1)
	v_cmp_eq_u32_e64 s0, 0, v2
	v_cndmask_b32_e64 v72, v3, v1, s0
; %bb.193:                              ;   in Loop: Header=BB194_29 Depth=1
	s_or_b32 exec_lo, exec_lo, s6
	v_lshlrev_b32_e32 v1, 16, v73
                                        ; implicit-def: $vgpr73
	s_delay_alu instid0(VALU_DEP_1) | instskip(NEXT) | instid1(VALU_DEP_1)
	v_mul_f32_e32 v1, v49, v1
	v_and_b32_e32 v2, 0x7f800000, v1
	s_delay_alu instid0(VALU_DEP_1) | instskip(NEXT) | instid1(VALU_DEP_1)
	v_cmp_ne_u32_e64 s0, 0x7f800000, v2
	s_and_saveexec_b32 s6, s0
	s_delay_alu instid0(SALU_CYCLE_1)
	s_xor_b32 s0, exec_lo, s6
; %bb.194:                              ;   in Loop: Header=BB194_29 Depth=1
	v_bfe_u32 v2, v1, 16, 1
	s_delay_alu instid0(VALU_DEP_1)
	v_add3_u32 v73, v1, v2, 0x7fff
                                        ; implicit-def: $vgpr1
; %bb.195:                              ;   in Loop: Header=BB194_29 Depth=1
	s_and_not1_saveexec_b32 s6, s0
; %bb.196:                              ;   in Loop: Header=BB194_29 Depth=1
	v_and_b32_e32 v2, 0xffff, v1
	v_or_b32_e32 v3, 0x10000, v1
	s_delay_alu instid0(VALU_DEP_2) | instskip(NEXT) | instid1(VALU_DEP_1)
	v_cmp_eq_u32_e64 s0, 0, v2
	v_cndmask_b32_e64 v73, v3, v1, s0
; %bb.197:                              ;   in Loop: Header=BB194_29 Depth=1
	s_or_b32 exec_lo, exec_lo, s6
	global_load_b128 v[1:4], v[5:6], off offset:2048
	s_waitcnt vmcnt(0)
	v_lshrrev_b32_e32 v75, 16, v1
	v_lshrrev_b32_e32 v77, 16, v2
	v_lshrrev_b32_e32 v79, 16, v3
	v_lshrrev_b32_e32 v81, 16, v4
	s_and_saveexec_b32 s6, vcc_lo
	s_cbranch_execz .LBB194_199
; %bb.198:                              ;   in Loop: Header=BB194_29 Depth=1
	v_cmp_gt_i32_e64 s0, s28, v34
	s_delay_alu instid0(VALU_DEP_1) | instskip(SKIP_1) | instid1(VALU_DEP_1)
	v_cndmask_b32_e64 v1, 0, v1, s0
	v_cmp_gt_i32_e64 s0, s28, v41
	v_cndmask_b32_e64 v75, 0, v75, s0
	v_cmp_gt_i32_e64 s0, s28, v39
	s_delay_alu instid0(VALU_DEP_1) | instskip(SKIP_1) | instid1(VALU_DEP_1)
	v_cndmask_b32_e64 v2, 0, v2, s0
	v_cmp_gt_i32_e64 s0, s28, v38
	v_cndmask_b32_e64 v77, 0, v77, s0
	;; [unrolled: 5-line block ×4, first 2 shown]
.LBB194_199:                            ;   in Loop: Header=BB194_29 Depth=1
	s_or_b32 exec_lo, exec_lo, s6
	v_lshlrev_b32_e32 v1, 16, v1
	s_delay_alu instid0(VALU_DEP_1) | instskip(NEXT) | instid1(VALU_DEP_1)
	v_mul_f32_e32 v1, v42, v1
	v_and_b32_e32 v74, 0x7f800000, v1
	s_delay_alu instid0(VALU_DEP_1) | instskip(NEXT) | instid1(VALU_DEP_1)
	v_cmp_ne_u32_e64 s0, 0x7f800000, v74
                                        ; implicit-def: $vgpr74
	s_and_saveexec_b32 s6, s0
	s_delay_alu instid0(SALU_CYCLE_1)
	s_xor_b32 s0, exec_lo, s6
; %bb.200:                              ;   in Loop: Header=BB194_29 Depth=1
	v_bfe_u32 v74, v1, 16, 1
	s_delay_alu instid0(VALU_DEP_1)
	v_add3_u32 v74, v1, v74, 0x7fff
                                        ; implicit-def: $vgpr1
; %bb.201:                              ;   in Loop: Header=BB194_29 Depth=1
	s_and_not1_saveexec_b32 s6, s0
; %bb.202:                              ;   in Loop: Header=BB194_29 Depth=1
	v_and_b32_e32 v74, 0xffff, v1
	v_or_b32_e32 v76, 0x10000, v1
	s_delay_alu instid0(VALU_DEP_2) | instskip(NEXT) | instid1(VALU_DEP_1)
	v_cmp_eq_u32_e64 s0, 0, v74
	v_cndmask_b32_e64 v74, v76, v1, s0
; %bb.203:                              ;   in Loop: Header=BB194_29 Depth=1
	s_or_b32 exec_lo, exec_lo, s6
	v_lshlrev_b32_e32 v1, 16, v75
	s_delay_alu instid0(VALU_DEP_1) | instskip(NEXT) | instid1(VALU_DEP_1)
	v_mul_f32_e32 v1, v43, v1
	v_and_b32_e32 v75, 0x7f800000, v1
	s_delay_alu instid0(VALU_DEP_1) | instskip(NEXT) | instid1(VALU_DEP_1)
	v_cmp_ne_u32_e64 s0, 0x7f800000, v75
                                        ; implicit-def: $vgpr75
	s_and_saveexec_b32 s6, s0
	s_delay_alu instid0(SALU_CYCLE_1)
	s_xor_b32 s0, exec_lo, s6
; %bb.204:                              ;   in Loop: Header=BB194_29 Depth=1
	v_bfe_u32 v75, v1, 16, 1
	s_delay_alu instid0(VALU_DEP_1)
	v_add3_u32 v75, v1, v75, 0x7fff
                                        ; implicit-def: $vgpr1
; %bb.205:                              ;   in Loop: Header=BB194_29 Depth=1
	s_and_not1_saveexec_b32 s6, s0
; %bb.206:                              ;   in Loop: Header=BB194_29 Depth=1
	v_and_b32_e32 v75, 0xffff, v1
	v_or_b32_e32 v76, 0x10000, v1
	s_delay_alu instid0(VALU_DEP_2) | instskip(NEXT) | instid1(VALU_DEP_1)
	v_cmp_eq_u32_e64 s0, 0, v75
	v_cndmask_b32_e64 v75, v76, v1, s0
; %bb.207:                              ;   in Loop: Header=BB194_29 Depth=1
	s_or_b32 exec_lo, exec_lo, s6
	v_lshlrev_b32_e32 v1, 16, v2
                                        ; implicit-def: $vgpr76
	s_delay_alu instid0(VALU_DEP_1) | instskip(NEXT) | instid1(VALU_DEP_1)
	v_mul_f32_e32 v1, v44, v1
	v_and_b32_e32 v2, 0x7f800000, v1
	s_delay_alu instid0(VALU_DEP_1) | instskip(NEXT) | instid1(VALU_DEP_1)
	v_cmp_ne_u32_e64 s0, 0x7f800000, v2
	s_and_saveexec_b32 s6, s0
	s_delay_alu instid0(SALU_CYCLE_1)
	s_xor_b32 s0, exec_lo, s6
; %bb.208:                              ;   in Loop: Header=BB194_29 Depth=1
	v_bfe_u32 v2, v1, 16, 1
	s_delay_alu instid0(VALU_DEP_1)
	v_add3_u32 v76, v1, v2, 0x7fff
                                        ; implicit-def: $vgpr1
; %bb.209:                              ;   in Loop: Header=BB194_29 Depth=1
	s_and_not1_saveexec_b32 s6, s0
; %bb.210:                              ;   in Loop: Header=BB194_29 Depth=1
	v_and_b32_e32 v2, 0xffff, v1
	v_or_b32_e32 v76, 0x10000, v1
	s_delay_alu instid0(VALU_DEP_2) | instskip(NEXT) | instid1(VALU_DEP_1)
	v_cmp_eq_u32_e64 s0, 0, v2
	v_cndmask_b32_e64 v76, v76, v1, s0
; %bb.211:                              ;   in Loop: Header=BB194_29 Depth=1
	s_or_b32 exec_lo, exec_lo, s6
	v_lshlrev_b32_e32 v1, 16, v77
                                        ; implicit-def: $vgpr77
	s_delay_alu instid0(VALU_DEP_1) | instskip(NEXT) | instid1(VALU_DEP_1)
	v_mul_f32_e32 v1, v45, v1
	v_and_b32_e32 v2, 0x7f800000, v1
	s_delay_alu instid0(VALU_DEP_1) | instskip(NEXT) | instid1(VALU_DEP_1)
	v_cmp_ne_u32_e64 s0, 0x7f800000, v2
	s_and_saveexec_b32 s6, s0
	s_delay_alu instid0(SALU_CYCLE_1)
	s_xor_b32 s0, exec_lo, s6
; %bb.212:                              ;   in Loop: Header=BB194_29 Depth=1
	v_bfe_u32 v2, v1, 16, 1
	s_delay_alu instid0(VALU_DEP_1)
	v_add3_u32 v77, v1, v2, 0x7fff
                                        ; implicit-def: $vgpr1
; %bb.213:                              ;   in Loop: Header=BB194_29 Depth=1
	s_and_not1_saveexec_b32 s6, s0
; %bb.214:                              ;   in Loop: Header=BB194_29 Depth=1
	v_and_b32_e32 v2, 0xffff, v1
	v_or_b32_e32 v77, 0x10000, v1
	s_delay_alu instid0(VALU_DEP_2) | instskip(NEXT) | instid1(VALU_DEP_1)
	v_cmp_eq_u32_e64 s0, 0, v2
	v_cndmask_b32_e64 v77, v77, v1, s0
; %bb.215:                              ;   in Loop: Header=BB194_29 Depth=1
	s_or_b32 exec_lo, exec_lo, s6
	v_lshlrev_b32_e32 v1, 16, v3
                                        ; implicit-def: $vgpr78
	s_delay_alu instid0(VALU_DEP_1) | instskip(NEXT) | instid1(VALU_DEP_1)
	v_mul_f32_e32 v1, v46, v1
	v_and_b32_e32 v2, 0x7f800000, v1
	s_delay_alu instid0(VALU_DEP_1) | instskip(NEXT) | instid1(VALU_DEP_1)
	v_cmp_ne_u32_e64 s0, 0x7f800000, v2
	s_and_saveexec_b32 s6, s0
	s_delay_alu instid0(SALU_CYCLE_1)
	s_xor_b32 s0, exec_lo, s6
; %bb.216:                              ;   in Loop: Header=BB194_29 Depth=1
	v_bfe_u32 v2, v1, 16, 1
	s_delay_alu instid0(VALU_DEP_1)
	v_add3_u32 v78, v1, v2, 0x7fff
                                        ; implicit-def: $vgpr1
; %bb.217:                              ;   in Loop: Header=BB194_29 Depth=1
	s_and_not1_saveexec_b32 s6, s0
; %bb.218:                              ;   in Loop: Header=BB194_29 Depth=1
	v_and_b32_e32 v2, 0xffff, v1
	v_or_b32_e32 v3, 0x10000, v1
	s_delay_alu instid0(VALU_DEP_2) | instskip(NEXT) | instid1(VALU_DEP_1)
	v_cmp_eq_u32_e64 s0, 0, v2
	v_cndmask_b32_e64 v78, v3, v1, s0
; %bb.219:                              ;   in Loop: Header=BB194_29 Depth=1
	s_or_b32 exec_lo, exec_lo, s6
	v_lshlrev_b32_e32 v1, 16, v79
                                        ; implicit-def: $vgpr79
	s_delay_alu instid0(VALU_DEP_1) | instskip(NEXT) | instid1(VALU_DEP_1)
	v_mul_f32_e32 v1, v47, v1
	v_and_b32_e32 v2, 0x7f800000, v1
	s_delay_alu instid0(VALU_DEP_1) | instskip(NEXT) | instid1(VALU_DEP_1)
	v_cmp_ne_u32_e64 s0, 0x7f800000, v2
	s_and_saveexec_b32 s6, s0
	s_delay_alu instid0(SALU_CYCLE_1)
	s_xor_b32 s0, exec_lo, s6
; %bb.220:                              ;   in Loop: Header=BB194_29 Depth=1
	v_bfe_u32 v2, v1, 16, 1
	s_delay_alu instid0(VALU_DEP_1)
	v_add3_u32 v79, v1, v2, 0x7fff
                                        ; implicit-def: $vgpr1
; %bb.221:                              ;   in Loop: Header=BB194_29 Depth=1
	s_and_not1_saveexec_b32 s6, s0
; %bb.222:                              ;   in Loop: Header=BB194_29 Depth=1
	v_and_b32_e32 v2, 0xffff, v1
	v_or_b32_e32 v3, 0x10000, v1
	s_delay_alu instid0(VALU_DEP_2) | instskip(NEXT) | instid1(VALU_DEP_1)
	v_cmp_eq_u32_e64 s0, 0, v2
	v_cndmask_b32_e64 v79, v3, v1, s0
; %bb.223:                              ;   in Loop: Header=BB194_29 Depth=1
	s_or_b32 exec_lo, exec_lo, s6
	v_lshlrev_b32_e32 v1, 16, v4
                                        ; implicit-def: $vgpr80
	s_delay_alu instid0(VALU_DEP_1) | instskip(NEXT) | instid1(VALU_DEP_1)
	v_mul_f32_e32 v1, v48, v1
	v_and_b32_e32 v2, 0x7f800000, v1
	s_delay_alu instid0(VALU_DEP_1) | instskip(NEXT) | instid1(VALU_DEP_1)
	v_cmp_ne_u32_e64 s0, 0x7f800000, v2
	s_and_saveexec_b32 s6, s0
	s_delay_alu instid0(SALU_CYCLE_1)
	s_xor_b32 s0, exec_lo, s6
; %bb.224:                              ;   in Loop: Header=BB194_29 Depth=1
	v_bfe_u32 v2, v1, 16, 1
	s_delay_alu instid0(VALU_DEP_1)
	v_add3_u32 v80, v1, v2, 0x7fff
                                        ; implicit-def: $vgpr1
; %bb.225:                              ;   in Loop: Header=BB194_29 Depth=1
	s_and_not1_saveexec_b32 s6, s0
; %bb.226:                              ;   in Loop: Header=BB194_29 Depth=1
	v_and_b32_e32 v2, 0xffff, v1
	v_or_b32_e32 v3, 0x10000, v1
	s_delay_alu instid0(VALU_DEP_2) | instskip(NEXT) | instid1(VALU_DEP_1)
	v_cmp_eq_u32_e64 s0, 0, v2
	v_cndmask_b32_e64 v80, v3, v1, s0
; %bb.227:                              ;   in Loop: Header=BB194_29 Depth=1
	s_or_b32 exec_lo, exec_lo, s6
	v_lshlrev_b32_e32 v1, 16, v81
                                        ; implicit-def: $vgpr81
	s_delay_alu instid0(VALU_DEP_1) | instskip(NEXT) | instid1(VALU_DEP_1)
	v_mul_f32_e32 v1, v49, v1
	v_and_b32_e32 v2, 0x7f800000, v1
	s_delay_alu instid0(VALU_DEP_1) | instskip(NEXT) | instid1(VALU_DEP_1)
	v_cmp_ne_u32_e64 s0, 0x7f800000, v2
	s_and_saveexec_b32 s6, s0
	s_delay_alu instid0(SALU_CYCLE_1)
	s_xor_b32 s0, exec_lo, s6
; %bb.228:                              ;   in Loop: Header=BB194_29 Depth=1
	v_bfe_u32 v2, v1, 16, 1
	s_delay_alu instid0(VALU_DEP_1)
	v_add3_u32 v81, v1, v2, 0x7fff
                                        ; implicit-def: $vgpr1
; %bb.229:                              ;   in Loop: Header=BB194_29 Depth=1
	s_and_not1_saveexec_b32 s6, s0
; %bb.230:                              ;   in Loop: Header=BB194_29 Depth=1
	v_and_b32_e32 v2, 0xffff, v1
	v_or_b32_e32 v3, 0x10000, v1
	s_delay_alu instid0(VALU_DEP_2) | instskip(NEXT) | instid1(VALU_DEP_1)
	v_cmp_eq_u32_e64 s0, 0, v2
	v_cndmask_b32_e64 v81, v3, v1, s0
; %bb.231:                              ;   in Loop: Header=BB194_29 Depth=1
	s_or_b32 exec_lo, exec_lo, s6
	global_load_b128 v[1:4], v[5:6], off offset:2560
	s_waitcnt vmcnt(0)
	v_lshrrev_b32_e32 v83, 16, v1
	v_lshrrev_b32_e32 v85, 16, v2
	;; [unrolled: 1-line block ×4, first 2 shown]
	s_and_saveexec_b32 s6, vcc_lo
	s_cbranch_execz .LBB194_233
; %bb.232:                              ;   in Loop: Header=BB194_29 Depth=1
	v_cmp_gt_i32_e64 s0, s28, v34
	s_delay_alu instid0(VALU_DEP_1) | instskip(SKIP_1) | instid1(VALU_DEP_1)
	v_cndmask_b32_e64 v1, 0, v1, s0
	v_cmp_gt_i32_e64 s0, s28, v41
	v_cndmask_b32_e64 v83, 0, v83, s0
	v_cmp_gt_i32_e64 s0, s28, v39
	s_delay_alu instid0(VALU_DEP_1) | instskip(SKIP_1) | instid1(VALU_DEP_1)
	v_cndmask_b32_e64 v2, 0, v2, s0
	v_cmp_gt_i32_e64 s0, s28, v38
	v_cndmask_b32_e64 v85, 0, v85, s0
	;; [unrolled: 5-line block ×4, first 2 shown]
.LBB194_233:                            ;   in Loop: Header=BB194_29 Depth=1
	s_or_b32 exec_lo, exec_lo, s6
	v_lshlrev_b32_e32 v1, 16, v1
	s_delay_alu instid0(VALU_DEP_1) | instskip(NEXT) | instid1(VALU_DEP_1)
	v_mul_f32_e32 v1, v42, v1
	v_and_b32_e32 v82, 0x7f800000, v1
	s_delay_alu instid0(VALU_DEP_1) | instskip(NEXT) | instid1(VALU_DEP_1)
	v_cmp_ne_u32_e64 s0, 0x7f800000, v82
                                        ; implicit-def: $vgpr82
	s_and_saveexec_b32 s6, s0
	s_delay_alu instid0(SALU_CYCLE_1)
	s_xor_b32 s0, exec_lo, s6
; %bb.234:                              ;   in Loop: Header=BB194_29 Depth=1
	v_bfe_u32 v82, v1, 16, 1
	s_delay_alu instid0(VALU_DEP_1)
	v_add3_u32 v82, v1, v82, 0x7fff
                                        ; implicit-def: $vgpr1
; %bb.235:                              ;   in Loop: Header=BB194_29 Depth=1
	s_and_not1_saveexec_b32 s6, s0
; %bb.236:                              ;   in Loop: Header=BB194_29 Depth=1
	v_and_b32_e32 v82, 0xffff, v1
	v_or_b32_e32 v84, 0x10000, v1
	s_delay_alu instid0(VALU_DEP_2) | instskip(NEXT) | instid1(VALU_DEP_1)
	v_cmp_eq_u32_e64 s0, 0, v82
	v_cndmask_b32_e64 v82, v84, v1, s0
; %bb.237:                              ;   in Loop: Header=BB194_29 Depth=1
	s_or_b32 exec_lo, exec_lo, s6
	v_lshlrev_b32_e32 v1, 16, v83
	s_delay_alu instid0(VALU_DEP_1) | instskip(NEXT) | instid1(VALU_DEP_1)
	v_mul_f32_e32 v1, v43, v1
	v_and_b32_e32 v83, 0x7f800000, v1
	s_delay_alu instid0(VALU_DEP_1) | instskip(NEXT) | instid1(VALU_DEP_1)
	v_cmp_ne_u32_e64 s0, 0x7f800000, v83
                                        ; implicit-def: $vgpr83
	s_and_saveexec_b32 s6, s0
	s_delay_alu instid0(SALU_CYCLE_1)
	s_xor_b32 s0, exec_lo, s6
; %bb.238:                              ;   in Loop: Header=BB194_29 Depth=1
	v_bfe_u32 v83, v1, 16, 1
	s_delay_alu instid0(VALU_DEP_1)
	v_add3_u32 v83, v1, v83, 0x7fff
                                        ; implicit-def: $vgpr1
; %bb.239:                              ;   in Loop: Header=BB194_29 Depth=1
	s_and_not1_saveexec_b32 s6, s0
; %bb.240:                              ;   in Loop: Header=BB194_29 Depth=1
	v_and_b32_e32 v83, 0xffff, v1
	v_or_b32_e32 v84, 0x10000, v1
	s_delay_alu instid0(VALU_DEP_2) | instskip(NEXT) | instid1(VALU_DEP_1)
	v_cmp_eq_u32_e64 s0, 0, v83
	v_cndmask_b32_e64 v83, v84, v1, s0
; %bb.241:                              ;   in Loop: Header=BB194_29 Depth=1
	s_or_b32 exec_lo, exec_lo, s6
	v_lshlrev_b32_e32 v1, 16, v2
                                        ; implicit-def: $vgpr84
	s_delay_alu instid0(VALU_DEP_1) | instskip(NEXT) | instid1(VALU_DEP_1)
	v_mul_f32_e32 v1, v44, v1
	v_and_b32_e32 v2, 0x7f800000, v1
	s_delay_alu instid0(VALU_DEP_1) | instskip(NEXT) | instid1(VALU_DEP_1)
	v_cmp_ne_u32_e64 s0, 0x7f800000, v2
	s_and_saveexec_b32 s6, s0
	s_delay_alu instid0(SALU_CYCLE_1)
	s_xor_b32 s0, exec_lo, s6
; %bb.242:                              ;   in Loop: Header=BB194_29 Depth=1
	v_bfe_u32 v2, v1, 16, 1
	s_delay_alu instid0(VALU_DEP_1)
	v_add3_u32 v84, v1, v2, 0x7fff
                                        ; implicit-def: $vgpr1
; %bb.243:                              ;   in Loop: Header=BB194_29 Depth=1
	s_and_not1_saveexec_b32 s6, s0
; %bb.244:                              ;   in Loop: Header=BB194_29 Depth=1
	v_and_b32_e32 v2, 0xffff, v1
	v_or_b32_e32 v84, 0x10000, v1
	s_delay_alu instid0(VALU_DEP_2) | instskip(NEXT) | instid1(VALU_DEP_1)
	v_cmp_eq_u32_e64 s0, 0, v2
	v_cndmask_b32_e64 v84, v84, v1, s0
; %bb.245:                              ;   in Loop: Header=BB194_29 Depth=1
	s_or_b32 exec_lo, exec_lo, s6
	v_lshlrev_b32_e32 v1, 16, v85
                                        ; implicit-def: $vgpr85
	s_delay_alu instid0(VALU_DEP_1) | instskip(NEXT) | instid1(VALU_DEP_1)
	v_mul_f32_e32 v1, v45, v1
	v_and_b32_e32 v2, 0x7f800000, v1
	s_delay_alu instid0(VALU_DEP_1) | instskip(NEXT) | instid1(VALU_DEP_1)
	v_cmp_ne_u32_e64 s0, 0x7f800000, v2
	s_and_saveexec_b32 s6, s0
	s_delay_alu instid0(SALU_CYCLE_1)
	s_xor_b32 s0, exec_lo, s6
; %bb.246:                              ;   in Loop: Header=BB194_29 Depth=1
	v_bfe_u32 v2, v1, 16, 1
	s_delay_alu instid0(VALU_DEP_1)
	v_add3_u32 v85, v1, v2, 0x7fff
                                        ; implicit-def: $vgpr1
; %bb.247:                              ;   in Loop: Header=BB194_29 Depth=1
	s_and_not1_saveexec_b32 s6, s0
; %bb.248:                              ;   in Loop: Header=BB194_29 Depth=1
	v_and_b32_e32 v2, 0xffff, v1
	v_or_b32_e32 v85, 0x10000, v1
	s_delay_alu instid0(VALU_DEP_2) | instskip(NEXT) | instid1(VALU_DEP_1)
	v_cmp_eq_u32_e64 s0, 0, v2
	v_cndmask_b32_e64 v85, v85, v1, s0
; %bb.249:                              ;   in Loop: Header=BB194_29 Depth=1
	s_or_b32 exec_lo, exec_lo, s6
	v_lshlrev_b32_e32 v1, 16, v3
                                        ; implicit-def: $vgpr86
	s_delay_alu instid0(VALU_DEP_1) | instskip(NEXT) | instid1(VALU_DEP_1)
	v_mul_f32_e32 v1, v46, v1
	v_and_b32_e32 v2, 0x7f800000, v1
	s_delay_alu instid0(VALU_DEP_1) | instskip(NEXT) | instid1(VALU_DEP_1)
	v_cmp_ne_u32_e64 s0, 0x7f800000, v2
	s_and_saveexec_b32 s6, s0
	s_delay_alu instid0(SALU_CYCLE_1)
	s_xor_b32 s0, exec_lo, s6
; %bb.250:                              ;   in Loop: Header=BB194_29 Depth=1
	v_bfe_u32 v2, v1, 16, 1
	s_delay_alu instid0(VALU_DEP_1)
	v_add3_u32 v86, v1, v2, 0x7fff
                                        ; implicit-def: $vgpr1
; %bb.251:                              ;   in Loop: Header=BB194_29 Depth=1
	s_and_not1_saveexec_b32 s6, s0
; %bb.252:                              ;   in Loop: Header=BB194_29 Depth=1
	v_and_b32_e32 v2, 0xffff, v1
	v_or_b32_e32 v3, 0x10000, v1
	s_delay_alu instid0(VALU_DEP_2) | instskip(NEXT) | instid1(VALU_DEP_1)
	v_cmp_eq_u32_e64 s0, 0, v2
	v_cndmask_b32_e64 v86, v3, v1, s0
; %bb.253:                              ;   in Loop: Header=BB194_29 Depth=1
	s_or_b32 exec_lo, exec_lo, s6
	v_lshlrev_b32_e32 v1, 16, v87
                                        ; implicit-def: $vgpr87
	s_delay_alu instid0(VALU_DEP_1) | instskip(NEXT) | instid1(VALU_DEP_1)
	v_mul_f32_e32 v1, v47, v1
	v_and_b32_e32 v2, 0x7f800000, v1
	s_delay_alu instid0(VALU_DEP_1) | instskip(NEXT) | instid1(VALU_DEP_1)
	v_cmp_ne_u32_e64 s0, 0x7f800000, v2
	s_and_saveexec_b32 s6, s0
	s_delay_alu instid0(SALU_CYCLE_1)
	s_xor_b32 s0, exec_lo, s6
; %bb.254:                              ;   in Loop: Header=BB194_29 Depth=1
	v_bfe_u32 v2, v1, 16, 1
	s_delay_alu instid0(VALU_DEP_1)
	v_add3_u32 v87, v1, v2, 0x7fff
                                        ; implicit-def: $vgpr1
; %bb.255:                              ;   in Loop: Header=BB194_29 Depth=1
	s_and_not1_saveexec_b32 s6, s0
; %bb.256:                              ;   in Loop: Header=BB194_29 Depth=1
	v_and_b32_e32 v2, 0xffff, v1
	v_or_b32_e32 v3, 0x10000, v1
	s_delay_alu instid0(VALU_DEP_2) | instskip(NEXT) | instid1(VALU_DEP_1)
	v_cmp_eq_u32_e64 s0, 0, v2
	v_cndmask_b32_e64 v87, v3, v1, s0
; %bb.257:                              ;   in Loop: Header=BB194_29 Depth=1
	s_or_b32 exec_lo, exec_lo, s6
	v_lshlrev_b32_e32 v1, 16, v4
                                        ; implicit-def: $vgpr88
	s_delay_alu instid0(VALU_DEP_1) | instskip(NEXT) | instid1(VALU_DEP_1)
	v_mul_f32_e32 v1, v48, v1
	v_and_b32_e32 v2, 0x7f800000, v1
	s_delay_alu instid0(VALU_DEP_1) | instskip(NEXT) | instid1(VALU_DEP_1)
	v_cmp_ne_u32_e64 s0, 0x7f800000, v2
	s_and_saveexec_b32 s6, s0
	s_delay_alu instid0(SALU_CYCLE_1)
	s_xor_b32 s0, exec_lo, s6
; %bb.258:                              ;   in Loop: Header=BB194_29 Depth=1
	v_bfe_u32 v2, v1, 16, 1
	s_delay_alu instid0(VALU_DEP_1)
	v_add3_u32 v88, v1, v2, 0x7fff
                                        ; implicit-def: $vgpr1
; %bb.259:                              ;   in Loop: Header=BB194_29 Depth=1
	s_and_not1_saveexec_b32 s6, s0
; %bb.260:                              ;   in Loop: Header=BB194_29 Depth=1
	v_and_b32_e32 v2, 0xffff, v1
	v_or_b32_e32 v3, 0x10000, v1
	s_delay_alu instid0(VALU_DEP_2) | instskip(NEXT) | instid1(VALU_DEP_1)
	v_cmp_eq_u32_e64 s0, 0, v2
	v_cndmask_b32_e64 v88, v3, v1, s0
; %bb.261:                              ;   in Loop: Header=BB194_29 Depth=1
	s_or_b32 exec_lo, exec_lo, s6
	v_lshlrev_b32_e32 v1, 16, v89
                                        ; implicit-def: $vgpr89
	s_delay_alu instid0(VALU_DEP_1) | instskip(NEXT) | instid1(VALU_DEP_1)
	v_mul_f32_e32 v1, v49, v1
	v_and_b32_e32 v2, 0x7f800000, v1
	s_delay_alu instid0(VALU_DEP_1) | instskip(NEXT) | instid1(VALU_DEP_1)
	v_cmp_ne_u32_e64 s0, 0x7f800000, v2
	s_and_saveexec_b32 s6, s0
	s_delay_alu instid0(SALU_CYCLE_1)
	s_xor_b32 s0, exec_lo, s6
; %bb.262:                              ;   in Loop: Header=BB194_29 Depth=1
	v_bfe_u32 v2, v1, 16, 1
	s_delay_alu instid0(VALU_DEP_1)
	v_add3_u32 v89, v1, v2, 0x7fff
                                        ; implicit-def: $vgpr1
; %bb.263:                              ;   in Loop: Header=BB194_29 Depth=1
	s_and_not1_saveexec_b32 s6, s0
; %bb.264:                              ;   in Loop: Header=BB194_29 Depth=1
	v_and_b32_e32 v2, 0xffff, v1
	v_or_b32_e32 v3, 0x10000, v1
	s_delay_alu instid0(VALU_DEP_2) | instskip(NEXT) | instid1(VALU_DEP_1)
	v_cmp_eq_u32_e64 s0, 0, v2
	v_cndmask_b32_e64 v89, v3, v1, s0
; %bb.265:                              ;   in Loop: Header=BB194_29 Depth=1
	s_or_b32 exec_lo, exec_lo, s6
	global_load_b128 v[1:4], v[5:6], off offset:3072
	s_waitcnt vmcnt(0)
	v_lshrrev_b32_e32 v91, 16, v1
	v_lshrrev_b32_e32 v93, 16, v2
	;; [unrolled: 1-line block ×4, first 2 shown]
	s_and_saveexec_b32 s6, vcc_lo
	s_cbranch_execz .LBB194_267
; %bb.266:                              ;   in Loop: Header=BB194_29 Depth=1
	v_cmp_gt_i32_e64 s0, s28, v34
	s_delay_alu instid0(VALU_DEP_1) | instskip(SKIP_1) | instid1(VALU_DEP_1)
	v_cndmask_b32_e64 v1, 0, v1, s0
	v_cmp_gt_i32_e64 s0, s28, v41
	v_cndmask_b32_e64 v91, 0, v91, s0
	v_cmp_gt_i32_e64 s0, s28, v39
	s_delay_alu instid0(VALU_DEP_1) | instskip(SKIP_1) | instid1(VALU_DEP_1)
	v_cndmask_b32_e64 v2, 0, v2, s0
	v_cmp_gt_i32_e64 s0, s28, v38
	v_cndmask_b32_e64 v93, 0, v93, s0
	;; [unrolled: 5-line block ×4, first 2 shown]
.LBB194_267:                            ;   in Loop: Header=BB194_29 Depth=1
	s_or_b32 exec_lo, exec_lo, s6
	v_lshlrev_b32_e32 v1, 16, v1
	s_delay_alu instid0(VALU_DEP_1) | instskip(NEXT) | instid1(VALU_DEP_1)
	v_mul_f32_e32 v1, v42, v1
	v_and_b32_e32 v90, 0x7f800000, v1
	s_delay_alu instid0(VALU_DEP_1) | instskip(NEXT) | instid1(VALU_DEP_1)
	v_cmp_ne_u32_e64 s0, 0x7f800000, v90
                                        ; implicit-def: $vgpr90
	s_and_saveexec_b32 s6, s0
	s_delay_alu instid0(SALU_CYCLE_1)
	s_xor_b32 s0, exec_lo, s6
; %bb.268:                              ;   in Loop: Header=BB194_29 Depth=1
	v_bfe_u32 v90, v1, 16, 1
	s_delay_alu instid0(VALU_DEP_1)
	v_add3_u32 v90, v1, v90, 0x7fff
                                        ; implicit-def: $vgpr1
; %bb.269:                              ;   in Loop: Header=BB194_29 Depth=1
	s_and_not1_saveexec_b32 s6, s0
; %bb.270:                              ;   in Loop: Header=BB194_29 Depth=1
	v_and_b32_e32 v90, 0xffff, v1
	v_or_b32_e32 v92, 0x10000, v1
	s_delay_alu instid0(VALU_DEP_2) | instskip(NEXT) | instid1(VALU_DEP_1)
	v_cmp_eq_u32_e64 s0, 0, v90
	v_cndmask_b32_e64 v90, v92, v1, s0
; %bb.271:                              ;   in Loop: Header=BB194_29 Depth=1
	s_or_b32 exec_lo, exec_lo, s6
	v_lshlrev_b32_e32 v1, 16, v91
	s_delay_alu instid0(VALU_DEP_1) | instskip(NEXT) | instid1(VALU_DEP_1)
	v_mul_f32_e32 v1, v43, v1
	v_and_b32_e32 v91, 0x7f800000, v1
	s_delay_alu instid0(VALU_DEP_1) | instskip(NEXT) | instid1(VALU_DEP_1)
	v_cmp_ne_u32_e64 s0, 0x7f800000, v91
                                        ; implicit-def: $vgpr91
	s_and_saveexec_b32 s6, s0
	s_delay_alu instid0(SALU_CYCLE_1)
	s_xor_b32 s0, exec_lo, s6
; %bb.272:                              ;   in Loop: Header=BB194_29 Depth=1
	v_bfe_u32 v91, v1, 16, 1
	s_delay_alu instid0(VALU_DEP_1)
	v_add3_u32 v91, v1, v91, 0x7fff
                                        ; implicit-def: $vgpr1
; %bb.273:                              ;   in Loop: Header=BB194_29 Depth=1
	s_and_not1_saveexec_b32 s6, s0
; %bb.274:                              ;   in Loop: Header=BB194_29 Depth=1
	v_and_b32_e32 v91, 0xffff, v1
	v_or_b32_e32 v92, 0x10000, v1
	s_delay_alu instid0(VALU_DEP_2) | instskip(NEXT) | instid1(VALU_DEP_1)
	v_cmp_eq_u32_e64 s0, 0, v91
	v_cndmask_b32_e64 v91, v92, v1, s0
; %bb.275:                              ;   in Loop: Header=BB194_29 Depth=1
	s_or_b32 exec_lo, exec_lo, s6
	v_lshlrev_b32_e32 v1, 16, v2
                                        ; implicit-def: $vgpr92
	s_delay_alu instid0(VALU_DEP_1) | instskip(NEXT) | instid1(VALU_DEP_1)
	v_mul_f32_e32 v1, v44, v1
	v_and_b32_e32 v2, 0x7f800000, v1
	s_delay_alu instid0(VALU_DEP_1) | instskip(NEXT) | instid1(VALU_DEP_1)
	v_cmp_ne_u32_e64 s0, 0x7f800000, v2
	s_and_saveexec_b32 s6, s0
	s_delay_alu instid0(SALU_CYCLE_1)
	s_xor_b32 s0, exec_lo, s6
; %bb.276:                              ;   in Loop: Header=BB194_29 Depth=1
	v_bfe_u32 v2, v1, 16, 1
	s_delay_alu instid0(VALU_DEP_1)
	v_add3_u32 v92, v1, v2, 0x7fff
                                        ; implicit-def: $vgpr1
; %bb.277:                              ;   in Loop: Header=BB194_29 Depth=1
	s_and_not1_saveexec_b32 s6, s0
; %bb.278:                              ;   in Loop: Header=BB194_29 Depth=1
	v_and_b32_e32 v2, 0xffff, v1
	v_or_b32_e32 v92, 0x10000, v1
	s_delay_alu instid0(VALU_DEP_2) | instskip(NEXT) | instid1(VALU_DEP_1)
	v_cmp_eq_u32_e64 s0, 0, v2
	v_cndmask_b32_e64 v92, v92, v1, s0
; %bb.279:                              ;   in Loop: Header=BB194_29 Depth=1
	s_or_b32 exec_lo, exec_lo, s6
	v_lshlrev_b32_e32 v1, 16, v93
                                        ; implicit-def: $vgpr93
	s_delay_alu instid0(VALU_DEP_1) | instskip(NEXT) | instid1(VALU_DEP_1)
	v_mul_f32_e32 v1, v45, v1
	v_and_b32_e32 v2, 0x7f800000, v1
	s_delay_alu instid0(VALU_DEP_1) | instskip(NEXT) | instid1(VALU_DEP_1)
	v_cmp_ne_u32_e64 s0, 0x7f800000, v2
	s_and_saveexec_b32 s6, s0
	s_delay_alu instid0(SALU_CYCLE_1)
	s_xor_b32 s0, exec_lo, s6
; %bb.280:                              ;   in Loop: Header=BB194_29 Depth=1
	v_bfe_u32 v2, v1, 16, 1
	s_delay_alu instid0(VALU_DEP_1)
	v_add3_u32 v93, v1, v2, 0x7fff
                                        ; implicit-def: $vgpr1
; %bb.281:                              ;   in Loop: Header=BB194_29 Depth=1
	s_and_not1_saveexec_b32 s6, s0
; %bb.282:                              ;   in Loop: Header=BB194_29 Depth=1
	v_and_b32_e32 v2, 0xffff, v1
	v_or_b32_e32 v93, 0x10000, v1
	s_delay_alu instid0(VALU_DEP_2) | instskip(NEXT) | instid1(VALU_DEP_1)
	v_cmp_eq_u32_e64 s0, 0, v2
	v_cndmask_b32_e64 v93, v93, v1, s0
; %bb.283:                              ;   in Loop: Header=BB194_29 Depth=1
	s_or_b32 exec_lo, exec_lo, s6
	v_lshlrev_b32_e32 v1, 16, v3
                                        ; implicit-def: $vgpr94
	s_delay_alu instid0(VALU_DEP_1) | instskip(NEXT) | instid1(VALU_DEP_1)
	v_mul_f32_e32 v1, v46, v1
	v_and_b32_e32 v2, 0x7f800000, v1
	s_delay_alu instid0(VALU_DEP_1) | instskip(NEXT) | instid1(VALU_DEP_1)
	v_cmp_ne_u32_e64 s0, 0x7f800000, v2
	s_and_saveexec_b32 s6, s0
	s_delay_alu instid0(SALU_CYCLE_1)
	s_xor_b32 s0, exec_lo, s6
; %bb.284:                              ;   in Loop: Header=BB194_29 Depth=1
	v_bfe_u32 v2, v1, 16, 1
	s_delay_alu instid0(VALU_DEP_1)
	v_add3_u32 v94, v1, v2, 0x7fff
                                        ; implicit-def: $vgpr1
; %bb.285:                              ;   in Loop: Header=BB194_29 Depth=1
	s_and_not1_saveexec_b32 s6, s0
; %bb.286:                              ;   in Loop: Header=BB194_29 Depth=1
	v_and_b32_e32 v2, 0xffff, v1
	v_or_b32_e32 v3, 0x10000, v1
	s_delay_alu instid0(VALU_DEP_2) | instskip(NEXT) | instid1(VALU_DEP_1)
	v_cmp_eq_u32_e64 s0, 0, v2
	v_cndmask_b32_e64 v94, v3, v1, s0
; %bb.287:                              ;   in Loop: Header=BB194_29 Depth=1
	s_or_b32 exec_lo, exec_lo, s6
	v_lshlrev_b32_e32 v1, 16, v95
                                        ; implicit-def: $vgpr95
	s_delay_alu instid0(VALU_DEP_1) | instskip(NEXT) | instid1(VALU_DEP_1)
	v_mul_f32_e32 v1, v47, v1
	v_and_b32_e32 v2, 0x7f800000, v1
	s_delay_alu instid0(VALU_DEP_1) | instskip(NEXT) | instid1(VALU_DEP_1)
	v_cmp_ne_u32_e64 s0, 0x7f800000, v2
	s_and_saveexec_b32 s6, s0
	s_delay_alu instid0(SALU_CYCLE_1)
	s_xor_b32 s0, exec_lo, s6
; %bb.288:                              ;   in Loop: Header=BB194_29 Depth=1
	v_bfe_u32 v2, v1, 16, 1
	s_delay_alu instid0(VALU_DEP_1)
	v_add3_u32 v95, v1, v2, 0x7fff
                                        ; implicit-def: $vgpr1
; %bb.289:                              ;   in Loop: Header=BB194_29 Depth=1
	s_and_not1_saveexec_b32 s6, s0
; %bb.290:                              ;   in Loop: Header=BB194_29 Depth=1
	v_and_b32_e32 v2, 0xffff, v1
	v_or_b32_e32 v3, 0x10000, v1
	s_delay_alu instid0(VALU_DEP_2) | instskip(NEXT) | instid1(VALU_DEP_1)
	v_cmp_eq_u32_e64 s0, 0, v2
	v_cndmask_b32_e64 v95, v3, v1, s0
; %bb.291:                              ;   in Loop: Header=BB194_29 Depth=1
	s_or_b32 exec_lo, exec_lo, s6
	v_lshlrev_b32_e32 v1, 16, v4
                                        ; implicit-def: $vgpr96
	s_delay_alu instid0(VALU_DEP_1) | instskip(NEXT) | instid1(VALU_DEP_1)
	v_mul_f32_e32 v1, v48, v1
	v_and_b32_e32 v2, 0x7f800000, v1
	s_delay_alu instid0(VALU_DEP_1) | instskip(NEXT) | instid1(VALU_DEP_1)
	v_cmp_ne_u32_e64 s0, 0x7f800000, v2
	s_and_saveexec_b32 s6, s0
	s_delay_alu instid0(SALU_CYCLE_1)
	s_xor_b32 s0, exec_lo, s6
; %bb.292:                              ;   in Loop: Header=BB194_29 Depth=1
	v_bfe_u32 v2, v1, 16, 1
	s_delay_alu instid0(VALU_DEP_1)
	v_add3_u32 v96, v1, v2, 0x7fff
                                        ; implicit-def: $vgpr1
; %bb.293:                              ;   in Loop: Header=BB194_29 Depth=1
	s_and_not1_saveexec_b32 s6, s0
; %bb.294:                              ;   in Loop: Header=BB194_29 Depth=1
	v_and_b32_e32 v2, 0xffff, v1
	v_or_b32_e32 v3, 0x10000, v1
	s_delay_alu instid0(VALU_DEP_2) | instskip(NEXT) | instid1(VALU_DEP_1)
	v_cmp_eq_u32_e64 s0, 0, v2
	v_cndmask_b32_e64 v96, v3, v1, s0
; %bb.295:                              ;   in Loop: Header=BB194_29 Depth=1
	s_or_b32 exec_lo, exec_lo, s6
	v_lshlrev_b32_e32 v1, 16, v97
                                        ; implicit-def: $vgpr97
	s_delay_alu instid0(VALU_DEP_1) | instskip(NEXT) | instid1(VALU_DEP_1)
	v_mul_f32_e32 v1, v49, v1
	v_and_b32_e32 v2, 0x7f800000, v1
	s_delay_alu instid0(VALU_DEP_1) | instskip(NEXT) | instid1(VALU_DEP_1)
	v_cmp_ne_u32_e64 s0, 0x7f800000, v2
	s_and_saveexec_b32 s6, s0
	s_delay_alu instid0(SALU_CYCLE_1)
	s_xor_b32 s0, exec_lo, s6
; %bb.296:                              ;   in Loop: Header=BB194_29 Depth=1
	v_bfe_u32 v2, v1, 16, 1
	s_delay_alu instid0(VALU_DEP_1)
	v_add3_u32 v97, v1, v2, 0x7fff
                                        ; implicit-def: $vgpr1
; %bb.297:                              ;   in Loop: Header=BB194_29 Depth=1
	s_and_not1_saveexec_b32 s6, s0
; %bb.298:                              ;   in Loop: Header=BB194_29 Depth=1
	v_and_b32_e32 v2, 0xffff, v1
	v_or_b32_e32 v3, 0x10000, v1
	s_delay_alu instid0(VALU_DEP_2) | instskip(NEXT) | instid1(VALU_DEP_1)
	v_cmp_eq_u32_e64 s0, 0, v2
	v_cndmask_b32_e64 v97, v3, v1, s0
; %bb.299:                              ;   in Loop: Header=BB194_29 Depth=1
	s_or_b32 exec_lo, exec_lo, s6
	global_load_b128 v[1:4], v[5:6], off offset:3584
	s_waitcnt vmcnt(0)
	v_lshrrev_b32_e32 v5, 16, v1
	v_lshrrev_b32_e32 v6, 16, v2
	;; [unrolled: 1-line block ×4, first 2 shown]
	s_and_saveexec_b32 s0, vcc_lo
	s_cbranch_execz .LBB194_301
; %bb.300:                              ;   in Loop: Header=BB194_29 Depth=1
	v_cmp_gt_i32_e32 vcc_lo, s28, v34
	v_cndmask_b32_e32 v1, 0, v1, vcc_lo
	v_cmp_gt_i32_e32 vcc_lo, s28, v41
	v_cndmask_b32_e32 v5, 0, v5, vcc_lo
	;; [unrolled: 2-line block ×8, first 2 shown]
.LBB194_301:                            ;   in Loop: Header=BB194_29 Depth=1
	s_or_b32 exec_lo, exec_lo, s0
	v_lshlrev_b32_e32 v1, 16, v1
	s_delay_alu instid0(VALU_DEP_1) | instskip(NEXT) | instid1(VALU_DEP_1)
	v_mul_f32_e32 v34, v42, v1
	v_and_b32_e32 v1, 0x7f800000, v34
	s_delay_alu instid0(VALU_DEP_1) | instskip(SKIP_1) | instid1(SALU_CYCLE_1)
	v_cmp_ne_u32_e32 vcc_lo, 0x7f800000, v1
                                        ; implicit-def: $vgpr1
	s_and_saveexec_b32 s0, vcc_lo
	s_xor_b32 s0, exec_lo, s0
; %bb.302:                              ;   in Loop: Header=BB194_29 Depth=1
	v_bfe_u32 v1, v34, 16, 1
	s_delay_alu instid0(VALU_DEP_1)
	v_add3_u32 v1, v34, v1, 0x7fff
                                        ; implicit-def: $vgpr34
; %bb.303:                              ;   in Loop: Header=BB194_29 Depth=1
	s_and_not1_saveexec_b32 s0, s0
; %bb.304:                              ;   in Loop: Header=BB194_29 Depth=1
	v_and_b32_e32 v1, 0xffff, v34
	v_or_b32_e32 v36, 0x10000, v34
	s_delay_alu instid0(VALU_DEP_2) | instskip(NEXT) | instid1(VALU_DEP_2)
	v_cmp_eq_u32_e32 vcc_lo, 0, v1
	v_cndmask_b32_e32 v1, v36, v34, vcc_lo
; %bb.305:                              ;   in Loop: Header=BB194_29 Depth=1
	s_or_b32 exec_lo, exec_lo, s0
	v_lshlrev_b32_e32 v5, 16, v5
	s_delay_alu instid0(VALU_DEP_1) | instskip(NEXT) | instid1(VALU_DEP_1)
	v_mul_f32_e32 v34, v43, v5
	v_and_b32_e32 v5, 0x7f800000, v34
	s_delay_alu instid0(VALU_DEP_1) | instskip(SKIP_1) | instid1(SALU_CYCLE_1)
	v_cmp_ne_u32_e32 vcc_lo, 0x7f800000, v5
                                        ; implicit-def: $vgpr5
	s_and_saveexec_b32 s0, vcc_lo
	s_xor_b32 s0, exec_lo, s0
; %bb.306:                              ;   in Loop: Header=BB194_29 Depth=1
	v_bfe_u32 v5, v34, 16, 1
	s_delay_alu instid0(VALU_DEP_1)
	v_add3_u32 v5, v34, v5, 0x7fff
                                        ; implicit-def: $vgpr34
; %bb.307:                              ;   in Loop: Header=BB194_29 Depth=1
	s_and_not1_saveexec_b32 s0, s0
; %bb.308:                              ;   in Loop: Header=BB194_29 Depth=1
	v_and_b32_e32 v5, 0xffff, v34
	v_or_b32_e32 v36, 0x10000, v34
	s_delay_alu instid0(VALU_DEP_2) | instskip(NEXT) | instid1(VALU_DEP_2)
	v_cmp_eq_u32_e32 vcc_lo, 0, v5
	v_cndmask_b32_e32 v5, v36, v34, vcc_lo
; %bb.309:                              ;   in Loop: Header=BB194_29 Depth=1
	s_or_b32 exec_lo, exec_lo, s0
	v_lshlrev_b32_e32 v2, 16, v2
	s_delay_alu instid0(VALU_DEP_1) | instskip(NEXT) | instid1(VALU_DEP_1)
	v_mul_f32_e32 v34, v44, v2
	v_and_b32_e32 v2, 0x7f800000, v34
	s_delay_alu instid0(VALU_DEP_1) | instskip(SKIP_1) | instid1(SALU_CYCLE_1)
	v_cmp_ne_u32_e32 vcc_lo, 0x7f800000, v2
                                        ; implicit-def: $vgpr2
	s_and_saveexec_b32 s0, vcc_lo
	s_xor_b32 s0, exec_lo, s0
; %bb.310:                              ;   in Loop: Header=BB194_29 Depth=1
	v_bfe_u32 v2, v34, 16, 1
	s_delay_alu instid0(VALU_DEP_1)
	v_add3_u32 v2, v34, v2, 0x7fff
                                        ; implicit-def: $vgpr34
; %bb.311:                              ;   in Loop: Header=BB194_29 Depth=1
	s_and_not1_saveexec_b32 s0, s0
; %bb.312:                              ;   in Loop: Header=BB194_29 Depth=1
	v_and_b32_e32 v2, 0xffff, v34
	v_or_b32_e32 v36, 0x10000, v34
	s_delay_alu instid0(VALU_DEP_2) | instskip(NEXT) | instid1(VALU_DEP_2)
	v_cmp_eq_u32_e32 vcc_lo, 0, v2
	v_cndmask_b32_e32 v2, v36, v34, vcc_lo
; %bb.313:                              ;   in Loop: Header=BB194_29 Depth=1
	s_or_b32 exec_lo, exec_lo, s0
	v_lshlrev_b32_e32 v6, 16, v6
	s_delay_alu instid0(VALU_DEP_1) | instskip(NEXT) | instid1(VALU_DEP_1)
	v_mul_f32_e32 v34, v45, v6
	v_and_b32_e32 v6, 0x7f800000, v34
	s_delay_alu instid0(VALU_DEP_1) | instskip(SKIP_1) | instid1(SALU_CYCLE_1)
	v_cmp_ne_u32_e32 vcc_lo, 0x7f800000, v6
                                        ; implicit-def: $vgpr6
	s_and_saveexec_b32 s0, vcc_lo
	s_xor_b32 s0, exec_lo, s0
; %bb.314:                              ;   in Loop: Header=BB194_29 Depth=1
	v_bfe_u32 v6, v34, 16, 1
	s_delay_alu instid0(VALU_DEP_1)
	v_add3_u32 v6, v34, v6, 0x7fff
                                        ; implicit-def: $vgpr34
; %bb.315:                              ;   in Loop: Header=BB194_29 Depth=1
	s_and_not1_saveexec_b32 s0, s0
; %bb.316:                              ;   in Loop: Header=BB194_29 Depth=1
	v_and_b32_e32 v6, 0xffff, v34
	v_or_b32_e32 v36, 0x10000, v34
	s_delay_alu instid0(VALU_DEP_2) | instskip(NEXT) | instid1(VALU_DEP_2)
	v_cmp_eq_u32_e32 vcc_lo, 0, v6
	v_cndmask_b32_e32 v6, v36, v34, vcc_lo
; %bb.317:                              ;   in Loop: Header=BB194_29 Depth=1
	s_or_b32 exec_lo, exec_lo, s0
	v_lshlrev_b32_e32 v3, 16, v3
	s_delay_alu instid0(VALU_DEP_1) | instskip(NEXT) | instid1(VALU_DEP_1)
	v_mul_f32_e32 v34, v46, v3
	v_and_b32_e32 v3, 0x7f800000, v34
	s_delay_alu instid0(VALU_DEP_1) | instskip(SKIP_1) | instid1(SALU_CYCLE_1)
	v_cmp_ne_u32_e32 vcc_lo, 0x7f800000, v3
                                        ; implicit-def: $vgpr3
	s_and_saveexec_b32 s0, vcc_lo
	s_xor_b32 s0, exec_lo, s0
; %bb.318:                              ;   in Loop: Header=BB194_29 Depth=1
	v_bfe_u32 v3, v34, 16, 1
	s_delay_alu instid0(VALU_DEP_1)
	v_add3_u32 v3, v34, v3, 0x7fff
                                        ; implicit-def: $vgpr34
; %bb.319:                              ;   in Loop: Header=BB194_29 Depth=1
	s_and_not1_saveexec_b32 s0, s0
; %bb.320:                              ;   in Loop: Header=BB194_29 Depth=1
	v_and_b32_e32 v3, 0xffff, v34
	v_or_b32_e32 v36, 0x10000, v34
	s_delay_alu instid0(VALU_DEP_2) | instskip(NEXT) | instid1(VALU_DEP_2)
	v_cmp_eq_u32_e32 vcc_lo, 0, v3
	v_cndmask_b32_e32 v3, v36, v34, vcc_lo
; %bb.321:                              ;   in Loop: Header=BB194_29 Depth=1
	s_or_b32 exec_lo, exec_lo, s0
	v_lshlrev_b32_e32 v34, 16, v99
	s_delay_alu instid0(VALU_DEP_1) | instskip(NEXT) | instid1(VALU_DEP_1)
	v_mul_f32_e32 v36, v47, v34
	v_and_b32_e32 v34, 0x7f800000, v36
	s_delay_alu instid0(VALU_DEP_1) | instskip(SKIP_1) | instid1(SALU_CYCLE_1)
	v_cmp_ne_u32_e32 vcc_lo, 0x7f800000, v34
                                        ; implicit-def: $vgpr34
	s_and_saveexec_b32 s0, vcc_lo
	s_xor_b32 s0, exec_lo, s0
; %bb.322:                              ;   in Loop: Header=BB194_29 Depth=1
	v_bfe_u32 v34, v36, 16, 1
	s_delay_alu instid0(VALU_DEP_1)
	v_add3_u32 v34, v36, v34, 0x7fff
                                        ; implicit-def: $vgpr36
; %bb.323:                              ;   in Loop: Header=BB194_29 Depth=1
	s_and_not1_saveexec_b32 s0, s0
; %bb.324:                              ;   in Loop: Header=BB194_29 Depth=1
	v_and_b32_e32 v34, 0xffff, v36
	v_or_b32_e32 v37, 0x10000, v36
	s_delay_alu instid0(VALU_DEP_2) | instskip(NEXT) | instid1(VALU_DEP_2)
	v_cmp_eq_u32_e32 vcc_lo, 0, v34
	v_cndmask_b32_e32 v34, v37, v36, vcc_lo
; %bb.325:                              ;   in Loop: Header=BB194_29 Depth=1
	s_or_b32 exec_lo, exec_lo, s0
	v_lshlrev_b32_e32 v4, 16, v4
	s_delay_alu instid0(VALU_DEP_1) | instskip(NEXT) | instid1(VALU_DEP_1)
	v_mul_f32_e32 v36, v48, v4
	v_and_b32_e32 v4, 0x7f800000, v36
	s_delay_alu instid0(VALU_DEP_1) | instskip(SKIP_1) | instid1(SALU_CYCLE_1)
	v_cmp_ne_u32_e32 vcc_lo, 0x7f800000, v4
                                        ; implicit-def: $vgpr4
	s_and_saveexec_b32 s0, vcc_lo
	s_xor_b32 s0, exec_lo, s0
; %bb.326:                              ;   in Loop: Header=BB194_29 Depth=1
	v_bfe_u32 v4, v36, 16, 1
	s_delay_alu instid0(VALU_DEP_1)
	v_add3_u32 v4, v36, v4, 0x7fff
                                        ; implicit-def: $vgpr36
; %bb.327:                              ;   in Loop: Header=BB194_29 Depth=1
	s_and_not1_saveexec_b32 s0, s0
; %bb.328:                              ;   in Loop: Header=BB194_29 Depth=1
	v_and_b32_e32 v4, 0xffff, v36
	v_or_b32_e32 v37, 0x10000, v36
	s_delay_alu instid0(VALU_DEP_2) | instskip(NEXT) | instid1(VALU_DEP_2)
	v_cmp_eq_u32_e32 vcc_lo, 0, v4
	v_cndmask_b32_e32 v4, v37, v36, vcc_lo
; %bb.329:                              ;   in Loop: Header=BB194_29 Depth=1
	s_or_b32 exec_lo, exec_lo, s0
	v_lshlrev_b32_e32 v36, 16, v98
	s_delay_alu instid0(VALU_DEP_1) | instskip(NEXT) | instid1(VALU_DEP_1)
	v_mul_f32_e32 v37, v49, v36
	v_and_b32_e32 v36, 0x7f800000, v37
	s_delay_alu instid0(VALU_DEP_1) | instskip(SKIP_1) | instid1(SALU_CYCLE_1)
	v_cmp_ne_u32_e32 vcc_lo, 0x7f800000, v36
                                        ; implicit-def: $vgpr36
	s_and_saveexec_b32 s0, vcc_lo
	s_xor_b32 s0, exec_lo, s0
; %bb.330:                              ;   in Loop: Header=BB194_29 Depth=1
	v_bfe_u32 v36, v37, 16, 1
	s_delay_alu instid0(VALU_DEP_1)
	v_add3_u32 v36, v37, v36, 0x7fff
                                        ; implicit-def: $vgpr37
; %bb.331:                              ;   in Loop: Header=BB194_29 Depth=1
	s_and_not1_saveexec_b32 s0, s0
	s_cbranch_execz .LBB194_28
; %bb.332:                              ;   in Loop: Header=BB194_29 Depth=1
	v_and_b32_e32 v36, 0xffff, v37
	v_or_b32_e32 v38, 0x10000, v37
	s_delay_alu instid0(VALU_DEP_2) | instskip(NEXT) | instid1(VALU_DEP_2)
	v_cmp_eq_u32_e32 vcc_lo, 0, v36
	v_cndmask_b32_e32 v36, v38, v37, vcc_lo
	s_branch .LBB194_28
.LBB194_333:
	s_or_b32 exec_lo, exec_lo, s3
.LBB194_334:
	s_delay_alu instid0(SALU_CYCLE_1)
	s_or_b32 exec_lo, exec_lo, s1
	ds_bpermute_b32 v1, v15, v19
	ds_bpermute_b32 v2, v15, v24
	;; [unrolled: 1-line block ×8, first 2 shown]
	v_lshl_add_u32 v10, v12, 8, 0xa0
	v_lshrrev_b32_e32 v9, 2, v13
	s_mov_b32 s0, exec_lo
	s_waitcnt lgkmcnt(0)
	s_waitcnt_vscnt null, 0x0
	s_barrier
	buffer_gl0_inv
	v_dual_add_f32 v1, v19, v1 :: v_dual_and_b32 v12, 0x3c3, v0
	v_dual_add_f32 v2, v24, v2 :: v_dual_add_f32 v11, v21, v5
	v_dual_add_f32 v3, v23, v3 :: v_dual_add_f32 v4, v22, v4
	ds_bpermute_b32 v5, v14, v1
	v_add_f32_e32 v15, v20, v6
	ds_bpermute_b32 v6, v14, v2
	v_add_f32_e32 v17, v17, v8
	ds_bpermute_b32 v19, v14, v4
	ds_bpermute_b32 v20, v14, v11
	s_waitcnt lgkmcnt(3)
	v_add_f32_e32 v8, v1, v5
	ds_bpermute_b32 v21, v14, v15
	s_waitcnt lgkmcnt(3)
	v_add_f32_e32 v6, v2, v6
	v_add_f32_e32 v7, v18, v7
	ds_bpermute_b32 v18, v14, v3
	s_waitcnt lgkmcnt(3)
	v_add_f32_e32 v4, v4, v19
	s_waitcnt lgkmcnt(1)
	v_add_f32_e32 v2, v15, v21
	ds_bpermute_b32 v22, v14, v7
	ds_bpermute_b32 v14, v14, v17
	s_waitcnt lgkmcnt(2)
	v_add_f32_e32 v5, v3, v18
	v_add_f32_e32 v3, v11, v20
	s_waitcnt lgkmcnt(1)
	v_add_f32_e32 v1, v7, v22
	s_waitcnt lgkmcnt(0)
	v_add_f32_e32 v7, v17, v14
	v_cmpx_eq_u32_e32 64, v12
	s_cbranch_execz .LBB194_336
; %bb.335:
	v_lshlrev_b32_e32 v11, 2, v9
	s_delay_alu instid0(VALU_DEP_1)
	v_add3_u32 v11, v10, v11, 0xfffffe00
	ds_store_2addr_b32 v11, v8, v6 offset1:8
	ds_store_2addr_b32 v11, v5, v4 offset0:16 offset1:24
	ds_store_2addr_b32 v11, v3, v2 offset0:32 offset1:40
	;; [unrolled: 1-line block ×3, first 2 shown]
.LBB194_336:
	s_or_b32 exec_lo, exec_lo, s0
	v_cmp_eq_u32_e32 vcc_lo, 0, v16
	s_mov_b32 s1, exec_lo
	s_waitcnt lgkmcnt(0)
	s_barrier
	buffer_gl0_inv
	v_cmpx_gt_u32_e32 64, v0
	s_cbranch_execz .LBB194_347
; %bb.337:
	s_and_saveexec_b32 s0, vcc_lo
	s_cbranch_execnz .LBB194_396
; %bb.338:
	s_or_b32 exec_lo, exec_lo, s0
	s_and_saveexec_b32 s0, vcc_lo
	s_cbranch_execnz .LBB194_397
.LBB194_339:
	s_or_b32 exec_lo, exec_lo, s0
	s_and_saveexec_b32 s0, vcc_lo
	s_cbranch_execnz .LBB194_398
.LBB194_340:
	s_or_b32 exec_lo, exec_lo, s0
	s_and_saveexec_b32 s0, vcc_lo
	s_cbranch_execnz .LBB194_399
.LBB194_341:
	s_or_b32 exec_lo, exec_lo, s0
	s_and_saveexec_b32 s0, vcc_lo
	s_cbranch_execnz .LBB194_400
.LBB194_342:
	s_or_b32 exec_lo, exec_lo, s0
	s_and_saveexec_b32 s0, vcc_lo
	s_cbranch_execnz .LBB194_401
.LBB194_343:
	s_or_b32 exec_lo, exec_lo, s0
	s_and_saveexec_b32 s0, vcc_lo
	s_cbranch_execnz .LBB194_402
.LBB194_344:
	s_or_b32 exec_lo, exec_lo, s0
	s_and_saveexec_b32 s0, vcc_lo
	s_cbranch_execz .LBB194_346
.LBB194_345:
	v_lshl_add_u32 v11, v9, 2, v10
	ds_load_b32 v11, v11 offset:224
	s_waitcnt lgkmcnt(0)
	v_add_f32_e32 v7, v7, v11
.LBB194_346:
	s_or_b32 exec_lo, exec_lo, s0
.LBB194_347:
	s_delay_alu instid0(SALU_CYCLE_1)
	s_or_b32 exec_lo, exec_lo, s1
	v_and_b32_e32 v11, 0x3e3, v0
	s_mov_b32 s1, exec_lo
	s_barrier
	buffer_gl0_inv
	v_cmpx_eq_u32_e32 32, v11
	s_cbranch_execz .LBB194_349
; %bb.348:
	v_lshl_add_u32 v11, v9, 2, 0xa0
	ds_store_2addr_b32 v11, v8, v6 offset1:8
	ds_store_2addr_b32 v11, v5, v4 offset0:16 offset1:24
	ds_store_2addr_b32 v11, v3, v2 offset0:32 offset1:40
	;; [unrolled: 1-line block ×3, first 2 shown]
.LBB194_349:
	s_or_b32 exec_lo, exec_lo, s1
	v_cmp_gt_u32_e64 s0, 32, v0
	s_waitcnt lgkmcnt(0)
	s_barrier
	buffer_gl0_inv
	s_and_saveexec_b32 s1, s0
	s_cbranch_execz .LBB194_360
; %bb.350:
	v_lshl_add_u32 v9, v9, 2, v10
	s_and_saveexec_b32 s2, vcc_lo
	s_cbranch_execnz .LBB194_403
; %bb.351:
	s_or_b32 exec_lo, exec_lo, s2
	s_and_saveexec_b32 s2, vcc_lo
	s_cbranch_execnz .LBB194_404
.LBB194_352:
	s_or_b32 exec_lo, exec_lo, s2
	s_and_saveexec_b32 s2, vcc_lo
	s_cbranch_execnz .LBB194_405
.LBB194_353:
	s_or_b32 exec_lo, exec_lo, s2
	s_and_saveexec_b32 s2, vcc_lo
	s_cbranch_execnz .LBB194_406
.LBB194_354:
	s_or_b32 exec_lo, exec_lo, s2
	s_and_saveexec_b32 s2, vcc_lo
	s_cbranch_execnz .LBB194_407
.LBB194_355:
	s_or_b32 exec_lo, exec_lo, s2
	s_and_saveexec_b32 s2, vcc_lo
	s_cbranch_execnz .LBB194_408
.LBB194_356:
	s_or_b32 exec_lo, exec_lo, s2
	s_and_saveexec_b32 s2, vcc_lo
	s_cbranch_execnz .LBB194_409
.LBB194_357:
	s_or_b32 exec_lo, exec_lo, s2
	s_and_saveexec_b32 s2, vcc_lo
	s_cbranch_execz .LBB194_359
.LBB194_358:
	ds_load_b32 v9, v9 offset:224
	s_waitcnt lgkmcnt(0)
	v_add_f32_e32 v7, v7, v9
.LBB194_359:
	s_or_b32 exec_lo, exec_lo, s2
.LBB194_360:
	s_delay_alu instid0(SALU_CYCLE_1)
	s_or_b32 exec_lo, exec_lo, s1
	s_barrier
	buffer_gl0_inv
	s_and_saveexec_b32 s1, s0
	s_cbranch_execz .LBB194_395
; %bb.361:
	s_and_b32 exec_lo, exec_lo, vcc_lo
	s_cbranch_execz .LBB194_395
; %bb.362:
	v_and_b32_e32 v9, 0x7f800000, v8
	s_mov_b32 s0, exec_lo
                                        ; implicit-def: $vgpr10
	s_delay_alu instid0(VALU_DEP_1)
	v_cmpx_ne_u32_e32 0x7f800000, v9
	s_xor_b32 s0, exec_lo, s0
; %bb.363:
	v_bfe_u32 v9, v8, 16, 1
	s_delay_alu instid0(VALU_DEP_1)
	v_add3_u32 v10, v8, v9, 0x7fff
; %bb.364:
	s_and_not1_saveexec_b32 s0, s0
; %bb.365:
	v_and_b32_e32 v9, 0xffff, v8
	v_or_b32_e32 v10, 0x10000, v8
	s_delay_alu instid0(VALU_DEP_2) | instskip(NEXT) | instid1(VALU_DEP_2)
	v_cmp_eq_u32_e32 vcc_lo, 0, v9
	v_cndmask_b32_e32 v10, v10, v8, vcc_lo
; %bb.366:
	s_or_b32 exec_lo, exec_lo, s0
	s_mul_i32 s0, s4, s14
	s_mul_i32 s2, s4, s16
	;; [unrolled: 1-line block ×3, first 2 shown]
	v_lshrrev_b32_e32 v0, 1, v0
	s_lshl_b32 s0, s0, 6
	v_and_b32_e32 v11, 0x7f800000, v6
	s_ashr_i32 s1, s0, 31
	s_delay_alu instid0(VALU_DEP_2) | instskip(SKIP_1) | instid1(SALU_CYCLE_1)
	v_and_b32_e32 v0, 0x1fe, v0
	s_lshl_b64 s[0:1], s[0:1], 1
	s_add_u32 s4, s18, s0
	s_addc_u32 s5, s19, s1
	s_ashr_i32 s3, s2, 31
	s_delay_alu instid0(SALU_CYCLE_1) | instskip(NEXT) | instid1(SALU_CYCLE_1)
	s_lshl_b64 s[0:1], s[2:3], 1
	s_add_u32 s2, s4, s0
	s_addc_u32 s3, s5, s1
	s_lshl_b32 s0, s12, 6
	s_delay_alu instid0(SALU_CYCLE_1) | instskip(NEXT) | instid1(SALU_CYCLE_1)
	s_ashr_i32 s1, s0, 31
	s_lshl_b64 s[0:1], s[0:1], 1
	s_delay_alu instid0(SALU_CYCLE_1) | instskip(SKIP_2) | instid1(VALU_DEP_1)
	s_add_u32 s0, s2, s0
	s_addc_u32 s1, s3, s1
	v_add_co_u32 v8, s2, s0, v0
	v_add_co_ci_u32_e64 v9, null, s1, 0, s2
	global_store_d16_hi_b16 v0, v10, s[0:1]
	s_mov_b32 s0, exec_lo
                                        ; implicit-def: $vgpr0
	v_cmpx_ne_u32_e32 0x7f800000, v11
	s_xor_b32 s0, exec_lo, s0
; %bb.367:
	v_bfe_u32 v0, v6, 16, 1
	s_delay_alu instid0(VALU_DEP_1)
	v_add3_u32 v0, v6, v0, 0x7fff
; %bb.368:
	s_and_not1_saveexec_b32 s0, s0
; %bb.369:
	v_and_b32_e32 v0, 0xffff, v6
	v_or_b32_e32 v10, 0x10000, v6
	s_delay_alu instid0(VALU_DEP_2) | instskip(NEXT) | instid1(VALU_DEP_2)
	v_cmp_eq_u32_e32 vcc_lo, 0, v0
	v_cndmask_b32_e32 v0, v10, v6, vcc_lo
; %bb.370:
	s_or_b32 exec_lo, exec_lo, s0
	v_and_b32_e32 v6, 0x7f800000, v5
	s_mov_b32 s0, exec_lo
	global_store_d16_hi_b16 v[8:9], v0, off offset:16
                                        ; implicit-def: $vgpr0
	v_cmpx_ne_u32_e32 0x7f800000, v6
	s_xor_b32 s0, exec_lo, s0
; %bb.371:
	v_bfe_u32 v0, v5, 16, 1
	s_delay_alu instid0(VALU_DEP_1)
	v_add3_u32 v0, v5, v0, 0x7fff
; %bb.372:
	s_and_not1_saveexec_b32 s0, s0
; %bb.373:
	v_and_b32_e32 v0, 0xffff, v5
	v_or_b32_e32 v6, 0x10000, v5
	s_delay_alu instid0(VALU_DEP_2) | instskip(NEXT) | instid1(VALU_DEP_2)
	v_cmp_eq_u32_e32 vcc_lo, 0, v0
	v_cndmask_b32_e32 v0, v6, v5, vcc_lo
; %bb.374:
	s_or_b32 exec_lo, exec_lo, s0
	v_and_b32_e32 v5, 0x7f800000, v4
	s_mov_b32 s0, exec_lo
	global_store_d16_hi_b16 v[8:9], v0, off offset:32
	;; [unrolled: 20-line block ×6, first 2 shown]
                                        ; implicit-def: $vgpr10
	v_cmpx_ne_u32_e32 0x7f800000, v1
	s_xor_b32 s0, exec_lo, s0
; %bb.391:
	v_bfe_u32 v0, v7, 16, 1
	s_delay_alu instid0(VALU_DEP_1)
	v_add3_u32 v10, v7, v0, 0x7fff
                                        ; implicit-def: $vgpr0_vgpr1_vgpr2_vgpr3_vgpr4_vgpr5_vgpr6_vgpr7
; %bb.392:
	s_and_not1_saveexec_b32 s0, s0
; %bb.393:
	v_and_b32_e32 v0, 0xffff, v7
	v_or_b32_e32 v1, 0x10000, v7
	s_delay_alu instid0(VALU_DEP_2) | instskip(NEXT) | instid1(VALU_DEP_2)
	v_cmp_eq_u32_e32 vcc_lo, 0, v0
	v_cndmask_b32_e32 v10, v1, v7, vcc_lo
; %bb.394:
	s_or_b32 exec_lo, exec_lo, s0
	global_store_d16_hi_b16 v[8:9], v10, off offset:112
.LBB194_395:
	s_nop 0
	s_sendmsg sendmsg(MSG_DEALLOC_VGPRS)
	s_endpgm
.LBB194_396:
	v_lshl_add_u32 v11, v9, 2, v10
	ds_load_b32 v11, v11
	s_waitcnt lgkmcnt(0)
	v_add_f32_e32 v8, v8, v11
	s_or_b32 exec_lo, exec_lo, s0
	s_and_saveexec_b32 s0, vcc_lo
	s_cbranch_execz .LBB194_339
.LBB194_397:
	v_lshl_add_u32 v11, v9, 2, v10
	ds_load_b32 v11, v11 offset:32
	s_waitcnt lgkmcnt(0)
	v_add_f32_e32 v6, v6, v11
	s_or_b32 exec_lo, exec_lo, s0
	s_and_saveexec_b32 s0, vcc_lo
	s_cbranch_execz .LBB194_340
.LBB194_398:
	v_lshl_add_u32 v11, v9, 2, v10
	ds_load_b32 v11, v11 offset:64
	s_waitcnt lgkmcnt(0)
	v_add_f32_e32 v5, v5, v11
	s_or_b32 exec_lo, exec_lo, s0
	s_and_saveexec_b32 s0, vcc_lo
	s_cbranch_execz .LBB194_341
.LBB194_399:
	v_lshl_add_u32 v11, v9, 2, v10
	ds_load_b32 v11, v11 offset:96
	s_waitcnt lgkmcnt(0)
	v_add_f32_e32 v4, v4, v11
	s_or_b32 exec_lo, exec_lo, s0
	s_and_saveexec_b32 s0, vcc_lo
	s_cbranch_execz .LBB194_342
.LBB194_400:
	v_lshl_add_u32 v11, v9, 2, v10
	ds_load_b32 v11, v11 offset:128
	s_waitcnt lgkmcnt(0)
	v_add_f32_e32 v3, v3, v11
	s_or_b32 exec_lo, exec_lo, s0
	s_and_saveexec_b32 s0, vcc_lo
	s_cbranch_execz .LBB194_343
.LBB194_401:
	v_lshl_add_u32 v11, v9, 2, v10
	ds_load_b32 v11, v11 offset:160
	s_waitcnt lgkmcnt(0)
	v_add_f32_e32 v2, v2, v11
	s_or_b32 exec_lo, exec_lo, s0
	s_and_saveexec_b32 s0, vcc_lo
	s_cbranch_execz .LBB194_344
.LBB194_402:
	v_lshl_add_u32 v11, v9, 2, v10
	ds_load_b32 v11, v11 offset:192
	s_waitcnt lgkmcnt(0)
	v_add_f32_e32 v1, v1, v11
	s_or_b32 exec_lo, exec_lo, s0
	s_and_saveexec_b32 s0, vcc_lo
	s_cbranch_execnz .LBB194_345
	s_branch .LBB194_346
.LBB194_403:
	ds_load_b32 v10, v9
	s_waitcnt lgkmcnt(0)
	v_add_f32_e32 v8, v8, v10
	s_or_b32 exec_lo, exec_lo, s2
	s_and_saveexec_b32 s2, vcc_lo
	s_cbranch_execz .LBB194_352
.LBB194_404:
	ds_load_b32 v10, v9 offset:32
	s_waitcnt lgkmcnt(0)
	v_add_f32_e32 v6, v6, v10
	s_or_b32 exec_lo, exec_lo, s2
	s_and_saveexec_b32 s2, vcc_lo
	s_cbranch_execz .LBB194_353
.LBB194_405:
	ds_load_b32 v10, v9 offset:64
	s_waitcnt lgkmcnt(0)
	v_add_f32_e32 v5, v5, v10
	s_or_b32 exec_lo, exec_lo, s2
	s_and_saveexec_b32 s2, vcc_lo
	s_cbranch_execz .LBB194_354
.LBB194_406:
	ds_load_b32 v10, v9 offset:96
	s_waitcnt lgkmcnt(0)
	v_add_f32_e32 v4, v4, v10
	s_or_b32 exec_lo, exec_lo, s2
	s_and_saveexec_b32 s2, vcc_lo
	s_cbranch_execz .LBB194_355
.LBB194_407:
	ds_load_b32 v10, v9 offset:128
	s_waitcnt lgkmcnt(0)
	v_add_f32_e32 v3, v3, v10
	s_or_b32 exec_lo, exec_lo, s2
	s_and_saveexec_b32 s2, vcc_lo
	s_cbranch_execz .LBB194_356
.LBB194_408:
	ds_load_b32 v10, v9 offset:160
	s_waitcnt lgkmcnt(0)
	v_add_f32_e32 v2, v2, v10
	s_or_b32 exec_lo, exec_lo, s2
	s_and_saveexec_b32 s2, vcc_lo
	s_cbranch_execz .LBB194_357
.LBB194_409:
	ds_load_b32 v10, v9 offset:192
	s_waitcnt lgkmcnt(0)
	v_add_f32_e32 v1, v1, v10
	s_or_b32 exec_lo, exec_lo, s2
	s_and_saveexec_b32 s2, vcc_lo
	s_cbranch_execnz .LBB194_358
	s_branch .LBB194_359
	.section	.rodata,"a",@progbits
	.p2align	6, 0x0
	.amdhsa_kernel _ZN4vllm25paged_attention_v2_kernelI14__hip_bfloat16S1_Li64ELi32ELi128ELNS_18Fp8KVCacheDataTypeE0ELb0ELi512EEEvPfS3_PT_PKS4_PKT0_SA_ifPKiSC_iPKfiiiSE_SE_iiiii
		.amdhsa_group_segment_fixed_size 160
		.amdhsa_private_segment_fixed_size 0
		.amdhsa_kernarg_size 400
		.amdhsa_user_sgpr_count 13
		.amdhsa_user_sgpr_dispatch_ptr 0
		.amdhsa_user_sgpr_queue_ptr 0
		.amdhsa_user_sgpr_kernarg_segment_ptr 1
		.amdhsa_user_sgpr_dispatch_id 0
		.amdhsa_user_sgpr_private_segment_size 0
		.amdhsa_wavefront_size32 1
		.amdhsa_uses_dynamic_stack 0
		.amdhsa_enable_private_segment 0
		.amdhsa_system_sgpr_workgroup_id_x 1
		.amdhsa_system_sgpr_workgroup_id_y 1
		.amdhsa_system_sgpr_workgroup_id_z 1
		.amdhsa_system_sgpr_workgroup_info 0
		.amdhsa_system_vgpr_workitem_id 0
		.amdhsa_next_free_vgpr 145
		.amdhsa_next_free_sgpr 38
		.amdhsa_reserve_vcc 1
		.amdhsa_float_round_mode_32 0
		.amdhsa_float_round_mode_16_64 0
		.amdhsa_float_denorm_mode_32 3
		.amdhsa_float_denorm_mode_16_64 3
		.amdhsa_dx10_clamp 1
		.amdhsa_ieee_mode 1
		.amdhsa_fp16_overflow 0
		.amdhsa_workgroup_processor_mode 1
		.amdhsa_memory_ordered 1
		.amdhsa_forward_progress 0
		.amdhsa_shared_vgpr_count 0
		.amdhsa_exception_fp_ieee_invalid_op 0
		.amdhsa_exception_fp_denorm_src 0
		.amdhsa_exception_fp_ieee_div_zero 0
		.amdhsa_exception_fp_ieee_overflow 0
		.amdhsa_exception_fp_ieee_underflow 0
		.amdhsa_exception_fp_ieee_inexact 0
		.amdhsa_exception_int_div_zero 0
	.end_amdhsa_kernel
	.section	.text._ZN4vllm25paged_attention_v2_kernelI14__hip_bfloat16S1_Li64ELi32ELi128ELNS_18Fp8KVCacheDataTypeE0ELb0ELi512EEEvPfS3_PT_PKS4_PKT0_SA_ifPKiSC_iPKfiiiSE_SE_iiiii,"axG",@progbits,_ZN4vllm25paged_attention_v2_kernelI14__hip_bfloat16S1_Li64ELi32ELi128ELNS_18Fp8KVCacheDataTypeE0ELb0ELi512EEEvPfS3_PT_PKS4_PKT0_SA_ifPKiSC_iPKfiiiSE_SE_iiiii,comdat
.Lfunc_end194:
	.size	_ZN4vllm25paged_attention_v2_kernelI14__hip_bfloat16S1_Li64ELi32ELi128ELNS_18Fp8KVCacheDataTypeE0ELb0ELi512EEEvPfS3_PT_PKS4_PKT0_SA_ifPKiSC_iPKfiiiSE_SE_iiiii, .Lfunc_end194-_ZN4vllm25paged_attention_v2_kernelI14__hip_bfloat16S1_Li64ELi32ELi128ELNS_18Fp8KVCacheDataTypeE0ELb0ELi512EEEvPfS3_PT_PKS4_PKT0_SA_ifPKiSC_iPKfiiiSE_SE_iiiii
                                        ; -- End function
	.section	.AMDGPU.csdata,"",@progbits
; Kernel info:
; codeLenInByte = 16264
; NumSgprs: 40
; NumVgprs: 145
; ScratchSize: 0
; MemoryBound: 0
; FloatMode: 240
; IeeeMode: 1
; LDSByteSize: 160 bytes/workgroup (compile time only)
; SGPRBlocks: 4
; VGPRBlocks: 18
; NumSGPRsForWavesPerEU: 40
; NumVGPRsForWavesPerEU: 145
; Occupancy: 9
; WaveLimiterHint : 1
; COMPUTE_PGM_RSRC2:SCRATCH_EN: 0
; COMPUTE_PGM_RSRC2:USER_SGPR: 13
; COMPUTE_PGM_RSRC2:TRAP_HANDLER: 0
; COMPUTE_PGM_RSRC2:TGID_X_EN: 1
; COMPUTE_PGM_RSRC2:TGID_Y_EN: 1
; COMPUTE_PGM_RSRC2:TGID_Z_EN: 1
; COMPUTE_PGM_RSRC2:TIDIG_COMP_CNT: 0
	.section	.text._ZN4vllm25paged_attention_v2_kernelI14__hip_bfloat16S1_Li80ELi32ELi128ELNS_18Fp8KVCacheDataTypeE0ELb0ELi512EEEvPfS3_PT_PKS4_PKT0_SA_ifPKiSC_iPKfiiiSE_SE_iiiii,"axG",@progbits,_ZN4vllm25paged_attention_v2_kernelI14__hip_bfloat16S1_Li80ELi32ELi128ELNS_18Fp8KVCacheDataTypeE0ELb0ELi512EEEvPfS3_PT_PKS4_PKT0_SA_ifPKiSC_iPKfiiiSE_SE_iiiii,comdat
	.protected	_ZN4vllm25paged_attention_v2_kernelI14__hip_bfloat16S1_Li80ELi32ELi128ELNS_18Fp8KVCacheDataTypeE0ELb0ELi512EEEvPfS3_PT_PKS4_PKT0_SA_ifPKiSC_iPKfiiiSE_SE_iiiii ; -- Begin function _ZN4vllm25paged_attention_v2_kernelI14__hip_bfloat16S1_Li80ELi32ELi128ELNS_18Fp8KVCacheDataTypeE0ELb0ELi512EEEvPfS3_PT_PKS4_PKT0_SA_ifPKiSC_iPKfiiiSE_SE_iiiii
	.globl	_ZN4vllm25paged_attention_v2_kernelI14__hip_bfloat16S1_Li80ELi32ELi128ELNS_18Fp8KVCacheDataTypeE0ELb0ELi512EEEvPfS3_PT_PKS4_PKT0_SA_ifPKiSC_iPKfiiiSE_SE_iiiii
	.p2align	8
	.type	_ZN4vllm25paged_attention_v2_kernelI14__hip_bfloat16S1_Li80ELi32ELi128ELNS_18Fp8KVCacheDataTypeE0ELb0ELi512EEEvPfS3_PT_PKS4_PKT0_SA_ifPKiSC_iPKfiiiSE_SE_iiiii,@function
_ZN4vllm25paged_attention_v2_kernelI14__hip_bfloat16S1_Li80ELi32ELi128ELNS_18Fp8KVCacheDataTypeE0ELb0ELi512EEEvPfS3_PT_PKS4_PKT0_SA_ifPKiSC_iPKfiiiSE_SE_iiiii: ; @_ZN4vllm25paged_attention_v2_kernelI14__hip_bfloat16S1_Li80ELi32ELi128ELNS_18Fp8KVCacheDataTypeE0ELb0ELi512EEEvPfS3_PT_PKS4_PKT0_SA_ifPKiSC_iPKfiiiSE_SE_iiiii
; %bb.0:
	s_load_b64 s[2:3], s[0:1], 0x40
	s_mov_b32 s12, s15
	s_ashr_i32 s15, s14, 31
	s_delay_alu instid0(SALU_CYCLE_1)
	s_lshl_b64 s[4:5], s[14:15], 2
	s_waitcnt lgkmcnt(0)
	s_add_u32 s2, s2, s4
	s_addc_u32 s3, s3, s5
	s_lshl_b32 s29, s12, 9
	s_load_b32 s28, s[2:3], 0x0
	s_waitcnt lgkmcnt(0)
	s_cmp_ge_i32 s29, s28
	s_cbranch_scc1 .LBB195_475
; %bb.1:
	s_clause 0x1
	s_load_b32 s15, s[0:1], 0x90
	s_load_b64 s[2:3], s[0:1], 0x30
	s_mov_b32 s20, s13
	s_mov_b32 s30, 0
	s_waitcnt lgkmcnt(0)
	s_abs_i32 s7, s15
	s_abs_i32 s4, s2
	s_xor_b32 s2, s15, s2
	v_cvt_f32_u32_e32 v1, s4
	s_sub_i32 s6, 0, s4
	s_ashr_i32 s2, s2, 31
	s_delay_alu instid0(VALU_DEP_1) | instskip(SKIP_2) | instid1(VALU_DEP_1)
	v_rcp_iflag_f32_e32 v1, v1
	s_waitcnt_depctr 0xfff
	v_mul_f32_e32 v1, 0x4f7ffffe, v1
	v_cvt_u32_f32_e32 v1, v1
	s_delay_alu instid0(VALU_DEP_1) | instskip(NEXT) | instid1(VALU_DEP_1)
	v_readfirstlane_b32 s5, v1
	s_mul_i32 s6, s6, s5
	s_delay_alu instid0(SALU_CYCLE_1) | instskip(NEXT) | instid1(SALU_CYCLE_1)
	s_mul_hi_u32 s6, s5, s6
	s_add_i32 s5, s5, s6
	s_delay_alu instid0(SALU_CYCLE_1) | instskip(NEXT) | instid1(SALU_CYCLE_1)
	s_mul_hi_u32 s5, s7, s5
	s_mul_i32 s6, s5, s4
	s_delay_alu instid0(SALU_CYCLE_1)
	s_sub_i32 s6, s7, s6
	s_add_i32 s7, s5, 1
	s_sub_i32 s8, s6, s4
	s_cmp_ge_u32 s6, s4
	s_cselect_b32 s5, s7, s5
	s_cselect_b32 s6, s8, s6
	s_add_i32 s7, s5, 1
	s_cmp_ge_u32 s6, s4
	s_cselect_b32 s4, s7, s5
	s_abs_i32 s27, s13
	s_xor_b32 s4, s4, s2
	s_delay_alu instid0(SALU_CYCLE_1) | instskip(SKIP_2) | instid1(SALU_CYCLE_1)
	s_sub_i32 s8, s4, s2
	s_load_b64 s[4:5], s[0:1], 0x50
	s_abs_i32 s2, s8
	v_cvt_f32_u32_e32 v1, s2
	s_sub_i32 s7, 0, s2
	s_delay_alu instid0(VALU_DEP_1) | instskip(SKIP_2) | instid1(VALU_DEP_1)
	v_rcp_iflag_f32_e32 v1, v1
	s_waitcnt_depctr 0xfff
	v_mul_f32_e32 v1, 0x4f7ffffe, v1
	v_cvt_u32_f32_e32 v1, v1
	s_delay_alu instid0(VALU_DEP_1) | instskip(NEXT) | instid1(VALU_DEP_1)
	v_readfirstlane_b32 s6, v1
	s_mul_i32 s7, s7, s6
	s_delay_alu instid0(SALU_CYCLE_1) | instskip(NEXT) | instid1(SALU_CYCLE_1)
	s_mul_hi_u32 s7, s6, s7
	s_add_i32 s6, s6, s7
	s_waitcnt lgkmcnt(0)
	s_cmp_eq_u64 s[4:5], 0
	s_mul_hi_u32 s26, s27, s6
	s_cbranch_scc1 .LBB195_3
; %bb.2:
	s_ashr_i32 s21, s20, 31
	s_delay_alu instid0(SALU_CYCLE_1) | instskip(NEXT) | instid1(SALU_CYCLE_1)
	s_lshl_b64 s[6:7], s[20:21], 2
	s_add_u32 s4, s4, s6
	s_addc_u32 s5, s5, s7
	s_load_b32 s30, s[4:5], 0x0
.LBB195_3:
	s_clause 0x1
	s_load_b64 s[22:23], s[0:1], 0x38
	s_load_b128 s[4:7], s[0:1], 0x58
	s_waitcnt lgkmcnt(0)
	s_ashr_i32 s7, s20, 31
	s_ashr_i32 s31, s8, 31
	s_mul_i32 s16, s20, 0x50
	s_mov_b32 s8, exec_lo
	v_cmpx_gt_u32_e32 10, v0
	s_cbranch_execz .LBB195_5
; %bb.4:
	s_load_b64 s[10:11], s[0:1], 0x18
	s_mul_i32 s18, s14, s4
	v_lshlrev_b32_e32 v5, 4, v0
	s_ashr_i32 s19, s18, 31
	s_delay_alu instid0(SALU_CYCLE_1) | instskip(SKIP_4) | instid1(SALU_CYCLE_1)
	s_lshl_b64 s[18:19], s[18:19], 1
	s_waitcnt lgkmcnt(0)
	s_add_u32 s4, s10, s18
	s_addc_u32 s9, s11, s19
	s_ashr_i32 s17, s16, 31
	s_lshl_b64 s[10:11], s[16:17], 1
	s_delay_alu instid0(SALU_CYCLE_1)
	s_add_u32 s10, s4, s10
	s_addc_u32 s11, s9, s11
	global_load_b128 v[1:4], v5, s[10:11]
	s_waitcnt vmcnt(0)
	ds_store_b128 v5, v[1:4]
.LBB195_5:
	s_or_b32 exec_lo, exec_lo, s8
	s_add_i32 s4, s28, 31
	s_clause 0x1
	s_load_b128 s[8:11], s[0:1], 0x0
	s_load_b64 s[18:19], s[0:1], 0x10
	s_ashr_i32 s13, s4, 31
	s_mul_i32 s34, s26, s2
	s_lshr_b32 s17, s13, 27
	s_lshl_b32 s13, s12, 4
	s_add_i32 s4, s4, s17
	s_load_b64 s[24:25], s[0:1], 0x28
	s_ashr_i32 s21, s4, 5
	s_clause 0x1
	s_load_b32 s4, s[0:1], 0x98
	s_load_b32 s33, s[0:1], 0x48
	s_add_i32 s17, s13, 16
	s_sub_i32 s27, s27, s34
	s_min_i32 s17, s17, s21
	s_xor_b32 s7, s7, s31
	s_add_i32 s31, s26, 1
	s_sub_i32 s34, s27, s2
	s_cmp_ge_u32 s27, s2
	v_lshrrev_b32_e32 v12, 5, v0
	s_cselect_b32 s26, s31, s26
	s_cselect_b32 s27, s34, s27
	s_add_i32 s31, s26, 1
	s_cmp_ge_u32 s27, s2
	v_add_nc_u32_e32 v9, s13, v12
	v_and_b32_e32 v13, 31, v0
	s_cselect_b32 s2, s31, s26
	v_mov_b32_e32 v79, 0xff7fffff
	s_xor_b32 s2, s2, s7
	v_ashrrev_i32_e32 v10, 31, v9
	s_sub_i32 s7, s2, s7
	v_cmp_gt_i32_e64 s2, s17, v9
	v_lshlrev_b32_e32 v3, 2, v13
	s_waitcnt lgkmcnt(0)
	s_mul_i32 s26, s14, s33
	s_mul_i32 s6, s7, s6
	s_ashr_i32 s27, s26, 31
	s_barrier
	buffer_gl0_inv
	s_and_saveexec_b32 s31, s2
	s_cbranch_execz .LBB195_9
; %bb.6:
	v_mov_b32_e32 v1, 0
	s_load_b64 s[0:1], s[0:1], 0x20
	s_ashr_i32 s7, s6, 31
	v_lshlrev_b32_e32 v79, 4, v13
	s_lshl_b64 s[34:35], s[6:7], 1
	ds_load_b128 v[51:54], v1
	ds_load_b128 v[55:58], v1 offset:16
	ds_load_b128 v[59:62], v1 offset:32
	;; [unrolled: 1-line block ×5, first 2 shown]
	v_lshl_or_b32 v92, v12, 7, v3
	s_delay_alu instid0(VALU_DEP_1)
	v_dual_mov_b32 v93, v9 :: v_dual_add_nc_u32 v92, 0xc0, v92
	s_waitcnt lgkmcnt(0)
	v_bfi_b32 v48, 0xffff, 0, v53
	v_lshlrev_b32_e32 v49, 16, v53
	v_bfi_b32 v53, 0xffff, 0, v54
	v_lshlrev_b32_e32 v54, 16, v54
	ds_load_b128 v[75:78], v1 offset:96
	ds_load_b128 v[80:83], v1 offset:112
	;; [unrolled: 1-line block ×4, first 2 shown]
	v_lshlrev_b64 v[1:2], 2, v[9:10]
	s_add_u32 s33, s0, s34
	s_addc_u32 s34, s1, s35
	s_lshl_b64 s[0:1], s[26:27], 2
	s_sub_i32 s7, 1, s28
	s_add_u32 s0, s22, s0
	s_addc_u32 s1, s23, s1
	v_add_co_u32 v1, vcc_lo, s0, v1
	v_add_co_ci_u32_e32 v2, vcc_lo, s1, v2, vcc_lo
	v_bfi_b32 v4, 0xffff, 0, v51
	v_lshlrev_b32_e32 v5, 16, v51
	v_bfi_b32 v6, 0xffff, 0, v55
	v_lshlrev_b32_e32 v7, 16, v55
	;; [unrolled: 2-line block ×3, first 2 shown]
	s_waitcnt lgkmcnt(3)
	v_bfi_b32 v40, 0xffff, 0, v76
	s_waitcnt lgkmcnt(2)
	v_bfi_b32 v22, 0xffff, 0, v80
	v_lshlrev_b32_e32 v23, 16, v80
	s_waitcnt lgkmcnt(0)
	v_bfi_b32 v26, 0xffff, 0, v88
	v_lshlrev_b32_e32 v27, 16, v88
	v_lshlrev_b32_e32 v41, 16, v76
	v_bfi_b32 v44, 0xffff, 0, v85
	v_lshlrev_b32_e32 v45, 16, v85
	v_bfi_b32 v76, 0xffff, 0, v86
	v_lshlrev_b32_e32 v80, 16, v86
	v_bfi_b32 v85, 0xffff, 0, v87
	v_lshlrev_b32_e32 v86, 16, v87
	v_bfi_b32 v87, 0xffff, 0, v91
	v_lshlrev_b32_e32 v88, 16, v91
	v_lshlrev_b32_e32 v91, 5, v12
	v_bfi_b32 v46, 0xffff, 0, v89
	v_lshlrev_b32_e32 v47, 16, v89
	v_add_co_u32 v89, s0, s33, v79
	v_bfi_b32 v14, 0xffff, 0, v63
	v_lshlrev_b32_e32 v15, 16, v63
	v_bfi_b32 v16, 0xffff, 0, v67
	v_lshlrev_b32_e32 v17, 16, v67
	;; [unrolled: 2-line block ×14, first 2 shown]
	v_bfi_b32 v56, 0xffff, 0, v65
	v_bfi_b32 v57, 0xffff, 0, v58
	v_dual_mov_b32 v79, 0xff7fffff :: v_dual_lshlrev_b32 v58, 16, v58
	v_lshlrev_b32_e32 v59, 16, v65
	v_bfi_b32 v60, 0xffff, 0, v69
	v_bfi_b32 v61, 0xffff, 0, v62
	v_lshlrev_b32_e32 v62, 16, v62
	v_lshlrev_b32_e32 v63, 16, v69
	v_bfi_b32 v64, 0xffff, 0, v73
	v_bfi_b32 v65, 0xffff, 0, v66
	v_lshlrev_b32_e32 v66, 16, v66
	;; [unrolled: 4-line block ×4, first 2 shown]
	v_lshlrev_b32_e32 v75, 16, v82
	v_bfi_b32 v77, 0xffff, 0, v78
	v_lshlrev_b32_e32 v78, 16, v78
	v_bfi_b32 v81, 0xffff, 0, v90
	v_bfi_b32 v82, 0xffff, 0, v83
	v_lshlrev_b32_e32 v83, 16, v83
	v_lshlrev_b32_e32 v84, 16, v90
	v_add_co_ci_u32_e64 v90, null, s34, 0, s0
	v_cmp_neq_f32_e64 vcc_lo, s30, 0
	v_add3_u32 v91, s29, v91, v13
	s_mov_b32 s34, s5
	s_mov_b32 s33, 0
.LBB195_7:                              ; =>This Inner Loop Header: Depth=1
	global_load_b32 v96, v[1:2], off
	v_add_nc_u32_e32 v93, 4, v93
	s_delay_alu instid0(VALU_DEP_1) | instskip(NEXT) | instid1(VALU_DEP_1)
	v_cmp_le_i32_e64 s1, s17, v93
	s_or_b32 s33, s1, s33
	s_waitcnt vmcnt(0)
	v_mad_i64_i32 v[94:95], null, v96, s34, 0
	s_delay_alu instid0(VALU_DEP_1) | instskip(NEXT) | instid1(VALU_DEP_1)
	v_lshlrev_b64 v[94:95], 1, v[94:95]
	v_add_co_u32 v126, s0, v89, v94
	s_delay_alu instid0(VALU_DEP_1)
	v_add_co_ci_u32_e64 v127, s0, v90, v95, s0
	s_clause 0x7
	global_load_b128 v[94:97], v[126:127], off
	global_load_b128 v[98:101], v[126:127], off offset:512
	global_load_b128 v[102:105], v[126:127], off offset:1024
	;; [unrolled: 1-line block ×7, first 2 shown]
	v_add_co_u32 v130, s0, 0x1000, v126
	s_delay_alu instid0(VALU_DEP_1)
	v_add_co_ci_u32_e64 v131, s0, 0, v127, s0
	s_clause 0x1
	global_load_b128 v[126:129], v[130:131], off
	global_load_b128 v[130:133], v[130:131], off offset:512
	v_max_f32_e32 v135, v79, v79
	v_add_co_u32 v1, s0, v1, 16
	s_delay_alu instid0(VALU_DEP_1)
	v_add_co_ci_u32_e64 v2, s0, 0, v2, s0
	v_cmp_gt_i32_e64 s0, s28, v91
	s_waitcnt vmcnt(9)
	v_lshlrev_b32_e32 v136, 16, v94
	s_waitcnt vmcnt(8)
	v_and_b32_e32 v141, 0xffff0000, v99
	v_lshlrev_b32_e32 v99, 16, v99
	v_add_nc_u32_e32 v134, s7, v91
	v_and_b32_e32 v94, 0xffff0000, v94
	v_and_b32_e32 v143, 0xffff0000, v101
	v_dual_mul_f32 v141, v30, v141 :: v_dual_and_b32 v140, 0xffff0000, v98
	v_lshlrev_b32_e32 v137, 16, v95
	v_dual_mul_f32 v99, v31, v99 :: v_dual_lshlrev_b32 v98, 16, v98
	v_and_b32_e32 v95, 0xffff0000, v95
	v_dual_mul_f32 v143, v57, v143 :: v_dual_lshlrev_b32 v138, 16, v96
	s_delay_alu instid0(VALU_DEP_3) | instskip(NEXT) | instid1(VALU_DEP_3)
	v_dual_mul_f32 v98, v7, v98 :: v_dual_lshlrev_b32 v101, 16, v101
	v_dual_fmac_f32 v141, v28, v95 :: v_dual_mul_f32 v140, v6, v140
	s_delay_alu instid0(VALU_DEP_2)
	v_dual_mul_f32 v101, v58, v101 :: v_dual_and_b32 v96, 0xffff0000, v96
	v_and_b32_e32 v142, 0xffff0000, v100
	v_lshlrev_b32_e32 v139, 16, v97
	v_lshlrev_b32_e32 v100, 16, v100
	v_dual_fmac_f32 v140, v4, v94 :: v_dual_and_b32 v97, 0xffff0000, v97
	s_waitcnt vmcnt(7)
	v_dual_fmac_f32 v98, v5, v136 :: v_dual_and_b32 v145, 0xffff0000, v103
	v_lshlrev_b32_e32 v103, 16, v103
	v_dual_fmac_f32 v99, v29, v137 :: v_dual_and_b32 v144, 0xffff0000, v102
	s_delay_alu instid0(VALU_DEP_3) | instskip(SKIP_2) | instid1(VALU_DEP_3)
	v_dual_fmac_f32 v141, v32, v145 :: v_dual_lshlrev_b32 v102, 16, v102
	v_dual_mul_f32 v100, v51, v100 :: v_dual_fmac_f32 v143, v53, v97
	v_mul_f32_e32 v142, v50, v142
	v_dual_fmac_f32 v98, v11, v102 :: v_dual_fmac_f32 v99, v33, v103
	s_waitcnt vmcnt(6)
	v_dual_fmac_f32 v140, v8, v144 :: v_dual_lshlrev_b32 v149, 16, v107
	v_and_b32_e32 v107, 0xffff0000, v107
	v_lshlrev_b32_e32 v148, 16, v106
	v_and_b32_e32 v106, 0xffff0000, v106
	s_delay_alu instid0(VALU_DEP_4) | instskip(SKIP_3) | instid1(VALU_DEP_3)
	v_dual_fmac_f32 v142, v48, v96 :: v_dual_fmac_f32 v99, v35, v149
	v_dual_fmac_f32 v100, v49, v138 :: v_dual_and_b32 v147, 0xffff0000, v105
	v_lshlrev_b32_e32 v105, 16, v105
	v_dual_fmac_f32 v101, v54, v139 :: v_dual_and_b32 v146, 0xffff0000, v104
	v_dual_fmac_f32 v143, v61, v147 :: v_dual_lshlrev_b32 v104, 16, v104
	v_fmac_f32_e32 v140, v14, v106
	v_dual_fmac_f32 v141, v34, v107 :: v_dual_fmac_f32 v98, v15, v148
	s_waitcnt vmcnt(5)
	v_and_b32_e32 v153, 0xffff0000, v111
	v_lshlrev_b32_e32 v111, 16, v111
	v_and_b32_e32 v152, 0xffff0000, v110
	v_lshlrev_b32_e32 v110, 16, v110
	s_delay_alu instid0(VALU_DEP_4)
	v_dual_fmac_f32 v100, v55, v104 :: v_dual_fmac_f32 v141, v36, v153
	v_dual_fmac_f32 v101, v62, v105 :: v_dual_fmac_f32 v142, v52, v146
	v_lshlrev_b32_e32 v151, 16, v109
	v_and_b32_e32 v109, 0xffff0000, v109
	v_lshlrev_b32_e32 v150, 16, v108
	v_and_b32_e32 v108, 0xffff0000, v108
	s_delay_alu instid0(VALU_DEP_4)
	v_dual_fmac_f32 v98, v17, v110 :: v_dual_fmac_f32 v101, v66, v151
	v_dual_fmac_f32 v99, v37, v111 :: v_dual_fmac_f32 v140, v16, v152
	s_waitcnt vmcnt(4)
	v_lshlrev_b32_e32 v157, 16, v115
	v_and_b32_e32 v115, 0xffff0000, v115
	v_lshlrev_b32_e32 v156, 16, v114
	v_and_b32_e32 v114, 0xffff0000, v114
	s_delay_alu instid0(VALU_DEP_4)
	v_dual_fmac_f32 v142, v56, v108 :: v_dual_fmac_f32 v99, v39, v157
	v_dual_fmac_f32 v143, v65, v109 :: v_dual_fmac_f32 v100, v59, v150
	v_and_b32_e32 v155, 0xffff0000, v113
	v_lshlrev_b32_e32 v113, 16, v113
	v_and_b32_e32 v154, 0xffff0000, v112
	v_lshlrev_b32_e32 v112, 16, v112
	s_delay_alu instid0(VALU_DEP_4)
	v_dual_fmac_f32 v140, v18, v114 :: v_dual_fmac_f32 v143, v69, v155
	v_dual_fmac_f32 v141, v38, v115 :: v_dual_fmac_f32 v98, v19, v156
	s_waitcnt vmcnt(3)
	v_and_b32_e32 v161, 0xffff0000, v119
	v_lshlrev_b32_e32 v119, 16, v119
	v_and_b32_e32 v160, 0xffff0000, v118
	v_lshlrev_b32_e32 v118, 16, v118
	s_delay_alu instid0(VALU_DEP_4)
	v_dual_fmac_f32 v100, v63, v112 :: v_dual_fmac_f32 v141, v40, v161
	v_dual_fmac_f32 v101, v70, v113 :: v_dual_fmac_f32 v142, v60, v154
	v_lshlrev_b32_e32 v159, 16, v117
	v_and_b32_e32 v117, 0xffff0000, v117
	v_lshlrev_b32_e32 v158, 16, v116
	v_and_b32_e32 v116, 0xffff0000, v116
	s_delay_alu instid0(VALU_DEP_4)
	v_dual_fmac_f32 v98, v21, v118 :: v_dual_fmac_f32 v101, v74, v159
	v_dual_fmac_f32 v99, v41, v119 :: v_dual_fmac_f32 v140, v20, v160
	s_waitcnt vmcnt(2)
	v_lshlrev_b32_e32 v165, 16, v123
	v_and_b32_e32 v123, 0xffff0000, v123
	v_lshlrev_b32_e32 v164, 16, v122
	v_and_b32_e32 v122, 0xffff0000, v122
	s_delay_alu instid0(VALU_DEP_4)
	v_dual_fmac_f32 v142, v64, v116 :: v_dual_fmac_f32 v99, v43, v165
	v_dual_fmac_f32 v143, v73, v117 :: v_dual_fmac_f32 v100, v67, v158
	v_and_b32_e32 v163, 0xffff0000, v121
	v_lshlrev_b32_e32 v121, 16, v121
	v_and_b32_e32 v162, 0xffff0000, v120
	v_lshlrev_b32_e32 v120, 16, v120
	s_delay_alu instid0(VALU_DEP_4)
	v_dual_fmac_f32 v140, v22, v122 :: v_dual_fmac_f32 v143, v77, v163
	s_waitcnt vmcnt(1)
	v_and_b32_e32 v169, 0xffff0000, v127
	v_dual_fmac_f32 v141, v42, v123 :: v_dual_fmac_f32 v98, v23, v164
	v_lshlrev_b32_e32 v127, 16, v127
	v_and_b32_e32 v168, 0xffff0000, v126
	v_dual_fmac_f32 v100, v71, v120 :: v_dual_fmac_f32 v101, v78, v121
	s_delay_alu instid0(VALU_DEP_3) | instskip(SKIP_1) | instid1(VALU_DEP_4)
	v_dual_fmac_f32 v142, v68, v162 :: v_dual_fmac_f32 v99, v45, v127
	v_lshlrev_b32_e32 v167, 16, v125
	v_dual_fmac_f32 v140, v24, v168 :: v_dual_and_b32 v125, 0xffff0000, v125
	v_dual_fmac_f32 v141, v44, v169 :: v_dual_lshlrev_b32 v126, 16, v126
	s_delay_alu instid0(VALU_DEP_2) | instskip(NEXT) | instid1(VALU_DEP_4)
	v_dual_fmac_f32 v143, v82, v125 :: v_dual_lshlrev_b32 v166, 16, v124
	v_dual_fmac_f32 v101, v83, v167 :: v_dual_and_b32 v124, 0xffff0000, v124
	s_waitcnt vmcnt(0)
	v_lshlrev_b32_e32 v172, 16, v130
	v_and_b32_e32 v130, 0xffff0000, v130
	v_dual_fmac_f32 v98, v25, v126 :: v_dual_and_b32 v171, 0xffff0000, v129
	v_dual_fmac_f32 v100, v75, v166 :: v_dual_lshlrev_b32 v129, 16, v129
	s_delay_alu instid0(VALU_DEP_3) | instskip(NEXT) | instid1(VALU_DEP_3)
	v_fmac_f32_e32 v140, v26, v130
	v_dual_fmac_f32 v98, v27, v172 :: v_dual_lshlrev_b32 v173, 16, v131
	v_dual_fmac_f32 v142, v72, v124 :: v_dual_and_b32 v131, 0xffff0000, v131
	s_delay_alu instid0(VALU_DEP_4) | instskip(NEXT) | instid1(VALU_DEP_3)
	v_fmac_f32_e32 v101, v86, v129
	v_add_f32_e32 v94, v98, v140
	s_delay_alu instid0(VALU_DEP_4) | instskip(NEXT) | instid1(VALU_DEP_4)
	v_dual_fmac_f32 v99, v47, v173 :: v_dual_and_b32 v170, 0xffff0000, v128
	v_dual_fmac_f32 v141, v46, v131 :: v_dual_lshlrev_b32 v128, 16, v128
	v_lshlrev_b32_e32 v175, 16, v133
	v_cvt_f32_i32_e32 v134, v134
	s_delay_alu instid0(VALU_DEP_4)
	v_add_f32_e32 v94, v94, v99
	v_lshlrev_b32_e32 v174, 16, v132
	v_fmac_f32_e32 v100, v80, v128
	v_dual_fmac_f32 v101, v88, v175 :: v_dual_and_b32 v132, 0xffff0000, v132
	v_mul_f32_e32 v95, s30, v134
	v_dual_fmac_f32 v142, v76, v170 :: v_dual_and_b32 v133, 0xffff0000, v133
	v_add_f32_e32 v94, v141, v94
	v_dual_fmac_f32 v143, v85, v171 :: v_dual_fmac_f32 v100, v84, v174
	s_delay_alu instid0(VALU_DEP_3) | instskip(SKIP_1) | instid1(VALU_DEP_3)
	v_dual_cndmask_b32 v95, 0, v95 :: v_dual_fmac_f32 v142, v81, v132
	v_add_nc_u32_e32 v91, 0x80, v91
	v_dual_fmac_f32 v143, v87, v133 :: v_dual_add_f32 v94, v100, v94
	s_delay_alu instid0(VALU_DEP_1) | instskip(NEXT) | instid1(VALU_DEP_1)
	v_add_f32_e32 v94, v142, v94
	v_add_f32_e32 v94, v101, v94
	s_delay_alu instid0(VALU_DEP_1) | instskip(NEXT) | instid1(VALU_DEP_1)
	v_add_f32_e32 v94, v143, v94
	v_fmac_f32_e32 v95, s3, v94
	s_delay_alu instid0(VALU_DEP_1) | instskip(SKIP_1) | instid1(VALU_DEP_2)
	v_max_f32_e32 v94, v135, v95
	v_cndmask_b32_e64 v95, 0, v95, s0
	v_cndmask_b32_e64 v79, v79, v94, s0
	ds_store_b32 v92, v95
	v_add_nc_u32_e32 v92, 0x200, v92
	s_and_not1_b32 exec_lo, exec_lo, s33
	s_cbranch_execnz .LBB195_7
; %bb.8:
	s_or_b32 exec_lo, exec_lo, s33
.LBB195_9:
	s_delay_alu instid0(SALU_CYCLE_1) | instskip(SKIP_2) | instid1(VALU_DEP_2)
	s_or_b32 exec_lo, exec_lo, s31
	v_mbcnt_lo_u32_b32 v1, -1, 0
	v_max_f32_e32 v6, v79, v79
	v_xor_b32_e32 v2, 16, v1
	v_xor_b32_e32 v5, 8, v1
	s_delay_alu instid0(VALU_DEP_2) | instskip(SKIP_1) | instid1(VALU_DEP_3)
	v_cmp_gt_i32_e32 vcc_lo, 32, v2
	v_cndmask_b32_e32 v2, v1, v2, vcc_lo
	v_cmp_gt_i32_e32 vcc_lo, 32, v5
	s_delay_alu instid0(VALU_DEP_2) | instskip(SKIP_3) | instid1(VALU_DEP_1)
	v_dual_cndmask_b32 v5, v1, v5 :: v_dual_lshlrev_b32 v2, 2, v2
	ds_bpermute_b32 v4, v2, v79
	s_waitcnt lgkmcnt(0)
	v_dual_max_f32 v7, v4, v4 :: v_dual_lshlrev_b32 v4, 2, v5
	v_max_f32_e32 v5, v6, v7
	v_xor_b32_e32 v7, 4, v1
	ds_bpermute_b32 v6, v4, v5
	v_cmp_gt_i32_e32 vcc_lo, 32, v7
	s_waitcnt lgkmcnt(0)
	v_dual_cndmask_b32 v7, v1, v7 :: v_dual_max_f32 v8, v6, v6
	s_delay_alu instid0(VALU_DEP_1)
	v_dual_max_f32 v5, v5, v8 :: v_dual_lshlrev_b32 v6, 2, v7
	v_xor_b32_e32 v8, 2, v1
	ds_bpermute_b32 v7, v6, v5
	v_cmp_gt_i32_e32 vcc_lo, 32, v8
	s_waitcnt lgkmcnt(0)
	v_dual_cndmask_b32 v8, v1, v8 :: v_dual_max_f32 v7, v7, v7
	s_delay_alu instid0(VALU_DEP_1) | instskip(SKIP_1) | instid1(VALU_DEP_1)
	v_lshlrev_b32_e32 v15, 2, v8
	v_xor_b32_e32 v8, 1, v1
	v_cmp_gt_i32_e32 vcc_lo, 32, v8
	v_cndmask_b32_e32 v8, v1, v8, vcc_lo
	v_max_f32_e32 v5, v5, v7
	v_cmp_eq_u32_e32 vcc_lo, 0, v13
	s_delay_alu instid0(VALU_DEP_3) | instskip(SKIP_3) | instid1(VALU_DEP_1)
	v_lshlrev_b32_e32 v14, 2, v8
	ds_bpermute_b32 v7, v15, v5
	s_waitcnt lgkmcnt(0)
	v_max_f32_e32 v7, v7, v7
	v_max_f32_e32 v1, v5, v7
	v_lshlrev_b32_e32 v7, 2, v12
	ds_bpermute_b32 v5, v14, v1
	s_and_saveexec_b32 s0, vcc_lo
	s_cbranch_execz .LBB195_11
; %bb.10:
	s_waitcnt lgkmcnt(0)
	v_max_f32_e32 v5, v5, v5
	v_max_f32_e32 v1, v1, v1
	s_delay_alu instid0(VALU_DEP_1)
	v_max_f32_e32 v1, v1, v5
	ds_store_b32 v7, v1 offset:160
.LBB195_11:
	s_or_b32 exec_lo, exec_lo, s0
	v_cmp_gt_u32_e64 s0, 4, v13
	v_mov_b32_e32 v1, 0xff7fffff
	s_waitcnt lgkmcnt(0)
	s_barrier
	buffer_gl0_inv
	s_and_saveexec_b32 s1, s0
	s_cbranch_execz .LBB195_13
; %bb.12:
	ds_load_b32 v1, v3 offset:160
.LBB195_13:
	s_or_b32 exec_lo, exec_lo, s1
	s_waitcnt lgkmcnt(0)
	ds_bpermute_b32 v5, v15, v1
	v_dual_max_f32 v1, v1, v1 :: v_dual_mov_b32 v8, 0
	s_sub_i32 s1, s17, s13
	s_delay_alu instid0(SALU_CYCLE_1) | instskip(NEXT) | instid1(SALU_CYCLE_1)
	s_lshl_b32 s1, s1, 5
	s_add_i32 s1, s1, s29
	s_delay_alu instid0(SALU_CYCLE_1) | instskip(NEXT) | instid1(SALU_CYCLE_1)
	s_min_i32 s1, s1, s28
	s_sub_i32 s7, s1, s29
	s_delay_alu instid0(SALU_CYCLE_1) | instskip(SKIP_2) | instid1(VALU_DEP_1)
	v_cmp_gt_i32_e64 s1, s7, v0
	s_waitcnt lgkmcnt(0)
	v_max_f32_e32 v5, v5, v5
	v_max_f32_e32 v1, v1, v5
	ds_bpermute_b32 v5, v14, v1
	s_waitcnt lgkmcnt(0)
	v_max_f32_e32 v5, v5, v5
	s_delay_alu instid0(VALU_DEP_1)
	v_max_f32_e32 v1, v1, v5
	v_lshl_add_u32 v5, v0, 2, 0xc0
	ds_bpermute_b32 v1, v8, v1
	s_and_saveexec_b32 s13, s1
	s_cbranch_execz .LBB195_17
; %bb.14:
	v_lshl_add_u32 v11, v0, 2, 0xc0
	v_mov_b32_e32 v8, 0
	v_mov_b32_e32 v16, v0
	s_mov_b32 s30, 0
	.p2align	6
.LBB195_15:                             ; =>This Inner Loop Header: Depth=1
	ds_load_b32 v17, v11
	v_add_nc_u32_e32 v16, 0x80, v16
	s_delay_alu instid0(VALU_DEP_1) | instskip(NEXT) | instid1(VALU_DEP_1)
	v_cmp_le_i32_e64 s3, s7, v16
	s_or_b32 s30, s3, s30
	s_waitcnt lgkmcnt(0)
	v_sub_f32_e32 v17, v17, v1
	s_delay_alu instid0(VALU_DEP_1) | instskip(NEXT) | instid1(VALU_DEP_1)
	v_mul_f32_e32 v17, 0x3fb8aa3b, v17
	v_exp_f32_e32 v17, v17
	ds_store_b32 v11, v17
	v_dual_add_f32 v8, v8, v17 :: v_dual_add_nc_u32 v11, 0x200, v11
	s_and_not1_b32 exec_lo, exec_lo, s30
	s_cbranch_execnz .LBB195_15
; %bb.16:
	s_or_b32 exec_lo, exec_lo, s30
.LBB195_17:
	s_delay_alu instid0(SALU_CYCLE_1)
	s_or_b32 exec_lo, exec_lo, s13
	ds_bpermute_b32 v2, v2, v8
	s_waitcnt lgkmcnt(0)
	v_add_f32_e32 v2, v8, v2
	ds_bpermute_b32 v4, v4, v2
	s_waitcnt lgkmcnt(0)
	v_add_f32_e32 v2, v2, v4
	;; [unrolled: 3-line block ×5, first 2 shown]
	s_and_saveexec_b32 s3, vcc_lo
	s_cbranch_execz .LBB195_19
; %bb.18:
	ds_store_b32 v7, v2 offset:176
.LBB195_19:
	s_or_b32 exec_lo, exec_lo, s3
	s_waitcnt lgkmcnt(0)
	s_barrier
	buffer_gl0_inv
	s_and_saveexec_b32 s3, s0
	s_cbranch_execz .LBB195_21
; %bb.20:
	ds_load_b32 v2, v3 offset:176
.LBB195_21:
	s_or_b32 exec_lo, exec_lo, s3
	s_waitcnt lgkmcnt(0)
	ds_bpermute_b32 v3, v15, v2
	s_waitcnt lgkmcnt(0)
	v_add_f32_e32 v2, v2, v3
	ds_bpermute_b32 v3, v14, v2
	s_waitcnt lgkmcnt(0)
	v_dual_add_f32 v2, v2, v3 :: v_dual_mov_b32 v3, 0
	ds_bpermute_b32 v2, v3, v2
	s_and_saveexec_b32 s0, s1
	s_cbranch_execz .LBB195_24
; %bb.22:
	s_waitcnt lgkmcnt(0)
	v_add_f32_e32 v3, 0x358637bd, v2
	s_mov_b32 s1, 0
	s_delay_alu instid0(VALU_DEP_1) | instskip(SKIP_1) | instid1(VALU_DEP_2)
	v_div_scale_f32 v4, null, v3, v3, 1.0
	v_div_scale_f32 v8, vcc_lo, 1.0, v3, 1.0
	v_rcp_f32_e32 v6, v4
	s_waitcnt_depctr 0xfff
	v_fma_f32 v7, -v4, v6, 1.0
	s_delay_alu instid0(VALU_DEP_1) | instskip(NEXT) | instid1(VALU_DEP_1)
	v_fmac_f32_e32 v6, v7, v6
	v_mul_f32_e32 v7, v8, v6
	s_delay_alu instid0(VALU_DEP_1) | instskip(NEXT) | instid1(VALU_DEP_1)
	v_fma_f32 v11, -v4, v7, v8
	v_fmac_f32_e32 v7, v11, v6
	s_delay_alu instid0(VALU_DEP_1) | instskip(NEXT) | instid1(VALU_DEP_1)
	v_fma_f32 v4, -v4, v7, v8
	v_div_fmas_f32 v4, v4, v6, v7
	s_delay_alu instid0(VALU_DEP_1)
	v_div_fixup_f32 v3, v4, v3, 1.0
	v_mov_b32_e32 v4, v0
.LBB195_23:                             ; =>This Inner Loop Header: Depth=1
	ds_load_b32 v6, v5
	v_add_nc_u32_e32 v4, 0x80, v4
	s_delay_alu instid0(VALU_DEP_1)
	v_cmp_le_i32_e32 vcc_lo, s7, v4
	s_or_b32 s1, vcc_lo, s1
	s_waitcnt lgkmcnt(0)
	v_mul_f32_e32 v6, v3, v6
	ds_store_b32 v5, v6
	v_add_nc_u32_e32 v5, 0x200, v5
	s_and_not1_b32 exec_lo, exec_lo, s1
	s_cbranch_execnz .LBB195_23
.LBB195_24:
	s_or_b32 exec_lo, exec_lo, s0
	s_delay_alu instid0(SALU_CYCLE_1)
	s_mov_b32 s0, exec_lo
	s_waitcnt lgkmcnt(0)
	s_barrier
	buffer_gl0_inv
	v_cmpx_eq_u32_e32 0, v0
	s_cbranch_execz .LBB195_26
; %bb.25:
	s_mul_i32 s1, s4, s14
	s_mul_i32 s34, s4, s20
	;; [unrolled: 1-line block ×3, first 2 shown]
	v_mov_b32_e32 v3, 0
	s_ashr_i32 s31, s30, 31
	s_delay_alu instid0(SALU_CYCLE_1) | instskip(NEXT) | instid1(SALU_CYCLE_1)
	s_lshl_b64 s[30:31], s[30:31], 2
	s_add_u32 s1, s10, s30
	s_addc_u32 s3, s11, s31
	s_ashr_i32 s35, s34, 31
	s_delay_alu instid0(SALU_CYCLE_1) | instskip(NEXT) | instid1(SALU_CYCLE_1)
	s_lshl_b64 s[10:11], s[34:35], 2
	s_add_u32 s1, s1, s10
	s_addc_u32 s3, s3, s11
	;; [unrolled: 5-line block ×3, first 2 shown]
	s_add_u32 s1, s8, s30
	s_addc_u32 s3, s9, s31
	s_add_u32 s1, s1, s10
	s_addc_u32 s3, s3, s11
	;; [unrolled: 2-line block ×3, first 2 shown]
	s_clause 0x1
	global_store_b32 v3, v1, s[36:37]
	global_store_b32 v3, v2, s[8:9]
.LBB195_26:
	s_or_b32 exec_lo, exec_lo, s0
	v_dual_mov_b32 v24, 0 :: v_dual_mov_b32 v25, 0
	v_dual_mov_b32 v23, 0 :: v_dual_and_b32 v16, 3, v0
	v_dual_mov_b32 v26, 0 :: v_dual_mov_b32 v21, 0
	v_dual_mov_b32 v22, 0 :: v_dual_mov_b32 v19, 0
	;; [unrolled: 1-line block ×3, first 2 shown]
	v_mov_b32_e32 v18, 0
	s_and_saveexec_b32 s1, s2
	s_cbranch_execz .LBB195_402
; %bb.27:
	v_dual_mov_b32 v18, 0 :: v_dual_lshlrev_b32 v1, 3, v0
	v_lshl_add_u32 v4, v12, 5, s29
	s_ashr_i32 s7, s6, 31
	s_delay_alu instid0(VALU_DEP_2)
	v_dual_mov_b32 v23, 0 :: v_dual_and_b32 v2, 24, v1
	v_mov_b32_e32 v17, 0
	v_dual_mov_b32 v20, 0 :: v_dual_and_b32 v3, 0xf8, v1
	v_dual_mov_b32 v22, 0 :: v_dual_lshlrev_b32 v1, 5, v16
	s_lshl_b64 s[2:3], s[6:7], 1
	v_add3_u32 v27, v4, v2, 7
	s_add_u32 s2, s24, s2
	s_delay_alu instid0(VALU_DEP_2)
	v_lshl_or_b32 v6, v12, 7, v1
	v_lshlrev_b64 v[1:2], 2, v[9:10]
	s_addc_u32 s3, s25, s3
	s_lshl_b64 s[8:9], s[26:27], 2
	s_add_i32 s6, s21, -1
	v_or_b32_e32 v5, 0x800, v3
	v_or_b32_e32 v7, 0x900, v3
	s_add_u32 s0, s22, s8
	s_addc_u32 s7, s23, s9
	v_add_co_u32 v10, vcc_lo, s0, v1
	v_dual_mov_b32 v19, 0 :: v_dual_add_nc_u32 v28, 0xc0, v6
	v_add_co_ci_u32_e32 v11, vcc_lo, s7, v2, vcc_lo
	v_dual_mov_b32 v26, 0 :: v_dual_lshlrev_b32 v29, 1, v3
	v_dual_mov_b32 v21, 0 :: v_dual_lshlrev_b32 v30, 1, v5
	;; [unrolled: 1-line block ×3, first 2 shown]
	v_mov_b32_e32 v25, 0
	s_mov_b32 s7, s5
	s_mov_b32 s5, 0
	s_branch .LBB195_29
.LBB195_28:                             ;   in Loop: Header=BB195_29 Depth=1
	s_or_b32 exec_lo, exec_lo, s0
	v_and_b32_e32 v49, 0xffff0000, v114
	v_and_b32_e32 v50, 0xffff0000, v113
	;; [unrolled: 1-line block ×5, first 2 shown]
	s_delay_alu instid0(VALU_DEP_4) | instskip(SKIP_1) | instid1(VALU_DEP_4)
	v_dual_add_f32 v49, v50, v49 :: v_dual_and_b32 v48, 0xffff0000, v111
	v_and_b32_e32 v45, 0xffff0000, v110
	v_dual_add_f32 v5, v5, v6 :: v_dual_and_b32 v44, 0xffff0000, v112
	v_and_b32_e32 v40, 0xffff0000, v40
	s_delay_alu instid0(VALU_DEP_3) | instskip(SKIP_1) | instid1(VALU_DEP_4)
	v_dual_add_f32 v45, v46, v45 :: v_dual_and_b32 v2, 0xffff0000, v2
	v_and_b32_e32 v46, 0xffff0000, v115
	v_add_f32_e32 v44, v48, v44
	v_and_b32_e32 v48, 0xffff0000, v116
	v_and_b32_e32 v1, 0xffff0000, v1
	v_and_b32_e32 v52, 0xffff0000, v71
	v_and_b32_e32 v32, 0xffff0000, v32
	v_add_f32_e32 v44, v45, v44
	v_add_f32_e32 v45, v46, v48
	;; [unrolled: 1-line block ×3, first 2 shown]
	v_and_b32_e32 v46, 0xffff0000, v104
	v_and_b32_e32 v48, 0xffff0000, v103
	v_dual_add_f32 v44, v44, v49 :: v_dual_and_b32 v49, 0xffff0000, v106
	v_and_b32_e32 v8, 0xffff0000, v8
	v_and_b32_e32 v7, 0xffff0000, v7
	v_and_b32_e32 v38, 0xffff0000, v38
	s_delay_alu instid0(VALU_DEP_4) | instskip(SKIP_3) | instid1(VALU_DEP_3)
	v_add_f32_e32 v6, v44, v45
	v_dual_add_f32 v44, v48, v46 :: v_dual_and_b32 v45, 0xffff0000, v105
	v_and_b32_e32 v46, 0xffff0000, v107
	v_and_b32_e32 v48, 0xffff0000, v108
	v_dual_add_f32 v18, v18, v6 :: v_dual_add_f32 v5, v5, v44
	s_delay_alu instid0(VALU_DEP_4) | instskip(SKIP_3) | instid1(VALU_DEP_4)
	v_dual_add_f32 v6, v45, v49 :: v_dual_and_b32 v49, 0xffff0000, v95
	v_and_b32_e32 v44, 0xffff0000, v98
	v_and_b32_e32 v45, 0xffff0000, v96
	v_and_b32_e32 v51, 0xffff0000, v89
	v_dual_add_f32 v5, v5, v6 :: v_dual_add_f32 v6, v46, v48
	v_and_b32_e32 v46, 0xffff0000, v100
	v_and_b32_e32 v48, 0xffff0000, v99
	;; [unrolled: 1-line block ×3, first 2 shown]
	v_add_f32_e32 v45, v49, v45
	v_and_b32_e32 v49, 0xffff0000, v102
	v_dual_add_f32 v5, v5, v6 :: v_dual_and_b32 v6, 0xffff0000, v101
	s_delay_alu instid0(VALU_DEP_4) | instskip(SKIP_1) | instid1(VALU_DEP_3)
	v_add_f32_e32 v44, v50, v44
	v_and_b32_e32 v50, 0xffff0000, v87
	v_dual_add_f32 v19, v19, v5 :: v_dual_and_b32 v34, 0xffff0000, v34
	s_delay_alu instid0(VALU_DEP_4) | instskip(NEXT) | instid1(VALU_DEP_4)
	v_add_f32_e32 v6, v6, v49
	v_dual_add_f32 v44, v45, v44 :: v_dual_and_b32 v49, 0xffff0000, v91
	v_add_f32_e32 v45, v48, v46
	v_and_b32_e32 v46, 0xffff0000, v90
	v_and_b32_e32 v48, 0xffff0000, v88
	;; [unrolled: 1-line block ×4, first 2 shown]
	v_dual_add_f32 v44, v44, v45 :: v_dual_and_b32 v45, 0xffff0000, v92
	s_delay_alu instid0(VALU_DEP_4)
	v_add_f32_e32 v48, v50, v48
	v_add_f32_e32 v46, v51, v46
	v_and_b32_e32 v50, 0xffff0000, v81
	v_and_b32_e32 v51, 0xffff0000, v94
	v_add_f32_e32 v45, v49, v45
	v_and_b32_e32 v49, 0xffff0000, v79
	v_add_f32_e32 v5, v44, v6
	v_add_f32_e32 v44, v48, v46
	v_and_b32_e32 v46, 0xffff0000, v82
	v_and_b32_e32 v48, 0xffff0000, v80
	;; [unrolled: 1-line block ×3, first 2 shown]
	v_dual_add_f32 v20, v20, v5 :: v_dual_and_b32 v39, 0xffff0000, v39
	s_delay_alu instid0(VALU_DEP_4) | instskip(NEXT) | instid1(VALU_DEP_4)
	v_add_f32_e32 v46, v50, v46
	v_dual_add_f32 v48, v49, v48 :: v_dual_and_b32 v49, 0xffff0000, v83
	v_dual_add_f32 v44, v44, v45 :: v_dual_and_b32 v45, 0xffff0000, v84
	v_add_f32_e32 v6, v6, v51
	v_and_b32_e32 v50, 0xffff0000, v85
	v_and_b32_e32 v51, 0xffff0000, v86
	v_add_f32_e32 v7, v7, v8
	v_add_f32_e32 v45, v49, v45
	v_dual_add_f32 v46, v48, v46 :: v_dual_and_b32 v49, 0xffff0000, v72
	v_and_b32_e32 v48, 0xffff0000, v74
	v_add_f32_e32 v6, v44, v6
	v_dual_add_f32 v38, v38, v39 :: v_dual_and_b32 v33, 0xffff0000, v33
	s_delay_alu instid0(VALU_DEP_4)
	v_add_f32_e32 v45, v46, v45
	v_add_f32_e32 v46, v50, v51
	v_dual_add_f32 v49, v52, v49 :: v_dual_and_b32 v50, 0xffff0000, v76
	v_dual_add_f32 v48, v53, v48 :: v_dual_and_b32 v51, 0xffff0000, v75
	;; [unrolled: 1-line block ×3, first 2 shown]
	v_and_b32_e32 v36, 0xffff0000, v36
	s_delay_alu instid0(VALU_DEP_3) | instskip(SKIP_4) | instid1(VALU_DEP_3)
	v_dual_add_f32 v5, v49, v48 :: v_dual_and_b32 v48, 0xffff0000, v63
	v_dual_add_f32 v44, v45, v46 :: v_dual_and_b32 v49, 0xffff0000, v65
	;; [unrolled: 1-line block ×3, first 2 shown]
	v_dual_add_f32 v7, v7, v8 :: v_dual_add_f32 v8, v34, v35
	v_and_b32_e32 v37, 0xffff0000, v37
	v_add_f32_e32 v5, v5, v45
	v_and_b32_e32 v45, 0xffff0000, v66
	v_add_f32_e32 v46, v48, v46
	v_dual_add_f32 v7, v7, v8 :: v_dual_and_b32 v48, 0xffff0000, v58
	v_add_f32_e32 v8, v36, v37
	s_delay_alu instid0(VALU_DEP_4)
	v_add_f32_e32 v45, v49, v45
	v_and_b32_e32 v49, 0xffff0000, v69
	v_dual_add_f32 v21, v21, v6 :: v_dual_and_b32 v6, 0xffff0000, v77
	v_add_f32_e32 v39, v47, v48
	v_dual_add_f32 v22, v22, v44 :: v_dual_and_b32 v47, 0xffff0000, v59
	v_dual_add_f32 v45, v46, v45 :: v_dual_and_b32 v44, 0xffff0000, v78
	v_and_b32_e32 v46, 0xffff0000, v60
	v_and_b32_e32 v50, 0xffff0000, v67
	s_delay_alu instid0(VALU_DEP_3) | instskip(SKIP_3) | instid1(VALU_DEP_4)
	v_dual_add_f32 v6, v6, v44 :: v_dual_add_nc_u32 v9, 4, v9
	v_and_b32_e32 v32, 0xffff0000, v42
	v_and_b32_e32 v3, 0xffff0000, v3
	;; [unrolled: 1-line block ×3, first 2 shown]
	v_dual_add_f32 v5, v5, v6 :: v_dual_and_b32 v4, 0xffff0000, v4
	v_add_f32_e32 v6, v38, v39
	v_add_f32_e32 v38, v47, v46
	v_and_b32_e32 v44, 0xffff0000, v68
	s_delay_alu instid0(VALU_DEP_4) | instskip(NEXT) | instid1(VALU_DEP_3)
	v_dual_add_f32 v23, v23, v5 :: v_dual_and_b32 v46, 0xffff0000, v62
	v_dual_add_f32 v5, v7, v8 :: v_dual_add_f32 v6, v6, v38
	v_and_b32_e32 v38, 0xffff0000, v41
	s_delay_alu instid0(VALU_DEP_4) | instskip(SKIP_2) | instid1(VALU_DEP_3)
	v_dual_add_f32 v44, v50, v44 :: v_dual_add_nc_u32 v27, 0x80, v27
	v_cmp_le_i32_e32 vcc_lo, s17, v9
	v_add_co_u32 v10, s0, v10, 16
	v_dual_add_f32 v2, v2, v38 :: v_dual_add_f32 v39, v45, v44
	v_dual_add_f32 v44, v49, v48 :: v_dual_and_b32 v45, 0xffff0000, v61
	s_delay_alu instid0(VALU_DEP_2) | instskip(SKIP_1) | instid1(VALU_DEP_3)
	v_dual_add_f32 v24, v24, v5 :: v_dual_add_f32 v1, v1, v2
	v_dual_add_f32 v2, v3, v32 :: v_dual_and_b32 v3, 0xffff0000, v43
	v_add_f32_e32 v32, v45, v46
	v_add_nc_u32_e32 v28, 0x200, v28
	v_add_co_ci_u32_e64 v11, s0, 0, v11, s0
	s_delay_alu instid0(VALU_DEP_4) | instskip(SKIP_3) | instid1(VALU_DEP_3)
	v_dual_add_f32 v1, v1, v2 :: v_dual_add_f32 v2, v4, v3
	v_add_f32_e32 v3, v39, v44
	v_add_f32_e32 v4, v6, v32
	s_or_b32 s5, vcc_lo, s5
	v_add_f32_e32 v1, v1, v2
	s_delay_alu instid0(VALU_DEP_2) | instskip(NEXT) | instid1(VALU_DEP_2)
	v_dual_add_f32 v25, v25, v3 :: v_dual_add_f32 v26, v26, v4
	v_add_f32_e32 v17, v17, v1
	s_and_not1_b32 exec_lo, exec_lo, s5
	s_cbranch_execz .LBB195_401
.LBB195_29:                             ; =>This Inner Loop Header: Depth=1
	global_load_b32 v40, v[10:11], off
	ds_load_2addr_b64 v[5:8], v28 offset1:1
	ds_load_2addr_b64 v[1:4], v28 offset0:2 offset1:3
	s_mov_b32 s0, exec_lo
                                        ; implicit-def: $vgpr39
	s_waitcnt lgkmcnt(1)
	v_and_b32_e32 v32, 0x7f800000, v5
	s_delay_alu instid0(VALU_DEP_1)
	v_cmpx_ne_u32_e32 0x7f800000, v32
	s_xor_b32 s0, exec_lo, s0
; %bb.30:                               ;   in Loop: Header=BB195_29 Depth=1
	v_bfe_u32 v32, v5, 16, 1
	s_delay_alu instid0(VALU_DEP_1)
	v_add3_u32 v39, v5, v32, 0x7fff
; %bb.31:                               ;   in Loop: Header=BB195_29 Depth=1
	s_and_not1_saveexec_b32 s0, s0
; %bb.32:                               ;   in Loop: Header=BB195_29 Depth=1
	v_and_b32_e32 v32, 0xffff, v5
	v_or_b32_e32 v33, 0x10000, v5
	s_delay_alu instid0(VALU_DEP_2) | instskip(NEXT) | instid1(VALU_DEP_2)
	v_cmp_eq_u32_e32 vcc_lo, 0, v32
	v_cndmask_b32_e32 v39, v33, v5, vcc_lo
; %bb.33:                               ;   in Loop: Header=BB195_29 Depth=1
	s_or_b32 exec_lo, exec_lo, s0
	v_and_b32_e32 v5, 0x7f800000, v6
	s_mov_b32 s0, exec_lo
                                        ; implicit-def: $vgpr38
	s_delay_alu instid0(VALU_DEP_1)
	v_cmpx_ne_u32_e32 0x7f800000, v5
	s_xor_b32 s0, exec_lo, s0
; %bb.34:                               ;   in Loop: Header=BB195_29 Depth=1
	v_bfe_u32 v5, v6, 16, 1
	s_delay_alu instid0(VALU_DEP_1)
	v_add3_u32 v38, v6, v5, 0x7fff
; %bb.35:                               ;   in Loop: Header=BB195_29 Depth=1
	s_and_not1_saveexec_b32 s0, s0
; %bb.36:                               ;   in Loop: Header=BB195_29 Depth=1
	v_and_b32_e32 v5, 0xffff, v6
	v_or_b32_e32 v32, 0x10000, v6
	s_delay_alu instid0(VALU_DEP_2) | instskip(NEXT) | instid1(VALU_DEP_2)
	v_cmp_eq_u32_e32 vcc_lo, 0, v5
	v_cndmask_b32_e32 v38, v32, v6, vcc_lo
; %bb.37:                               ;   in Loop: Header=BB195_29 Depth=1
	s_or_b32 exec_lo, exec_lo, s0
	v_and_b32_e32 v5, 0x7f800000, v7
	s_mov_b32 s0, exec_lo
                                        ; implicit-def: $vgpr32
	s_delay_alu instid0(VALU_DEP_1)
	v_cmpx_ne_u32_e32 0x7f800000, v5
	s_xor_b32 s0, exec_lo, s0
; %bb.38:                               ;   in Loop: Header=BB195_29 Depth=1
	v_bfe_u32 v5, v7, 16, 1
	s_delay_alu instid0(VALU_DEP_1)
	v_add3_u32 v32, v7, v5, 0x7fff
; %bb.39:                               ;   in Loop: Header=BB195_29 Depth=1
	s_and_not1_saveexec_b32 s0, s0
; %bb.40:                               ;   in Loop: Header=BB195_29 Depth=1
	v_and_b32_e32 v5, 0xffff, v7
	v_or_b32_e32 v6, 0x10000, v7
	s_delay_alu instid0(VALU_DEP_2) | instskip(NEXT) | instid1(VALU_DEP_2)
	v_cmp_eq_u32_e32 vcc_lo, 0, v5
	v_cndmask_b32_e32 v32, v6, v7, vcc_lo
; %bb.41:                               ;   in Loop: Header=BB195_29 Depth=1
	s_or_b32 exec_lo, exec_lo, s0
	v_and_b32_e32 v5, 0x7f800000, v8
	s_mov_b32 s0, exec_lo
                                        ; implicit-def: $vgpr33
	s_delay_alu instid0(VALU_DEP_1)
	v_cmpx_ne_u32_e32 0x7f800000, v5
	s_xor_b32 s0, exec_lo, s0
; %bb.42:                               ;   in Loop: Header=BB195_29 Depth=1
	v_bfe_u32 v5, v8, 16, 1
	s_delay_alu instid0(VALU_DEP_1)
	v_add3_u32 v33, v8, v5, 0x7fff
                                        ; implicit-def: $vgpr5_vgpr6_vgpr7_vgpr8
; %bb.43:                               ;   in Loop: Header=BB195_29 Depth=1
	s_and_not1_saveexec_b32 s0, s0
; %bb.44:                               ;   in Loop: Header=BB195_29 Depth=1
	v_and_b32_e32 v5, 0xffff, v8
	v_or_b32_e32 v6, 0x10000, v8
	s_delay_alu instid0(VALU_DEP_2) | instskip(NEXT) | instid1(VALU_DEP_2)
	v_cmp_eq_u32_e32 vcc_lo, 0, v5
	v_cndmask_b32_e32 v33, v6, v8, vcc_lo
; %bb.45:                               ;   in Loop: Header=BB195_29 Depth=1
	s_or_b32 exec_lo, exec_lo, s0
	s_waitcnt lgkmcnt(0)
	v_and_b32_e32 v5, 0x7f800000, v1
	s_mov_b32 s0, exec_lo
                                        ; implicit-def: $vgpr34
	s_delay_alu instid0(VALU_DEP_1)
	v_cmpx_ne_u32_e32 0x7f800000, v5
	s_xor_b32 s0, exec_lo, s0
; %bb.46:                               ;   in Loop: Header=BB195_29 Depth=1
	v_bfe_u32 v5, v1, 16, 1
	s_delay_alu instid0(VALU_DEP_1)
	v_add3_u32 v34, v1, v5, 0x7fff
; %bb.47:                               ;   in Loop: Header=BB195_29 Depth=1
	s_and_not1_saveexec_b32 s0, s0
; %bb.48:                               ;   in Loop: Header=BB195_29 Depth=1
	v_and_b32_e32 v5, 0xffff, v1
	v_or_b32_e32 v6, 0x10000, v1
	s_delay_alu instid0(VALU_DEP_2) | instskip(NEXT) | instid1(VALU_DEP_2)
	v_cmp_eq_u32_e32 vcc_lo, 0, v5
	v_cndmask_b32_e32 v34, v6, v1, vcc_lo
; %bb.49:                               ;   in Loop: Header=BB195_29 Depth=1
	s_or_b32 exec_lo, exec_lo, s0
	v_and_b32_e32 v1, 0x7f800000, v2
	s_mov_b32 s0, exec_lo
                                        ; implicit-def: $vgpr35
	s_delay_alu instid0(VALU_DEP_1)
	v_cmpx_ne_u32_e32 0x7f800000, v1
	s_xor_b32 s0, exec_lo, s0
; %bb.50:                               ;   in Loop: Header=BB195_29 Depth=1
	v_bfe_u32 v1, v2, 16, 1
	s_delay_alu instid0(VALU_DEP_1)
	v_add3_u32 v35, v2, v1, 0x7fff
; %bb.51:                               ;   in Loop: Header=BB195_29 Depth=1
	s_and_not1_saveexec_b32 s0, s0
; %bb.52:                               ;   in Loop: Header=BB195_29 Depth=1
	v_and_b32_e32 v1, 0xffff, v2
	v_or_b32_e32 v5, 0x10000, v2
	s_delay_alu instid0(VALU_DEP_2) | instskip(NEXT) | instid1(VALU_DEP_2)
	v_cmp_eq_u32_e32 vcc_lo, 0, v1
	v_cndmask_b32_e32 v35, v5, v2, vcc_lo
; %bb.53:                               ;   in Loop: Header=BB195_29 Depth=1
	s_or_b32 exec_lo, exec_lo, s0
	v_and_b32_e32 v1, 0x7f800000, v3
	s_mov_b32 s0, exec_lo
                                        ; implicit-def: $vgpr36
	s_delay_alu instid0(VALU_DEP_1)
	v_cmpx_ne_u32_e32 0x7f800000, v1
	s_xor_b32 s0, exec_lo, s0
; %bb.54:                               ;   in Loop: Header=BB195_29 Depth=1
	v_bfe_u32 v1, v3, 16, 1
	s_delay_alu instid0(VALU_DEP_1)
	v_add3_u32 v36, v3, v1, 0x7fff
; %bb.55:                               ;   in Loop: Header=BB195_29 Depth=1
	s_and_not1_saveexec_b32 s0, s0
; %bb.56:                               ;   in Loop: Header=BB195_29 Depth=1
	v_and_b32_e32 v1, 0xffff, v3
	v_or_b32_e32 v2, 0x10000, v3
	s_delay_alu instid0(VALU_DEP_2) | instskip(NEXT) | instid1(VALU_DEP_2)
	v_cmp_eq_u32_e32 vcc_lo, 0, v1
	v_cndmask_b32_e32 v36, v2, v3, vcc_lo
; %bb.57:                               ;   in Loop: Header=BB195_29 Depth=1
	s_or_b32 exec_lo, exec_lo, s0
	v_and_b32_e32 v1, 0x7f800000, v4
	s_mov_b32 s0, exec_lo
                                        ; implicit-def: $vgpr37
	s_delay_alu instid0(VALU_DEP_1)
	v_cmpx_ne_u32_e32 0x7f800000, v1
	s_xor_b32 s0, exec_lo, s0
; %bb.58:                               ;   in Loop: Header=BB195_29 Depth=1
	v_bfe_u32 v1, v4, 16, 1
	s_delay_alu instid0(VALU_DEP_1)
	v_add3_u32 v37, v4, v1, 0x7fff
                                        ; implicit-def: $vgpr1_vgpr2_vgpr3_vgpr4
; %bb.59:                               ;   in Loop: Header=BB195_29 Depth=1
	s_and_not1_saveexec_b32 s0, s0
; %bb.60:                               ;   in Loop: Header=BB195_29 Depth=1
	v_and_b32_e32 v1, 0xffff, v4
	v_or_b32_e32 v2, 0x10000, v4
	s_delay_alu instid0(VALU_DEP_2) | instskip(NEXT) | instid1(VALU_DEP_2)
	v_cmp_eq_u32_e32 vcc_lo, 0, v1
	v_cndmask_b32_e32 v37, v2, v4, vcc_lo
; %bb.61:                               ;   in Loop: Header=BB195_29 Depth=1
	s_or_b32 exec_lo, exec_lo, s0
	s_waitcnt vmcnt(0)
	v_mad_i64_i32 v[1:2], null, v40, s7, 0
	v_add_nc_u32_e32 v40, -7, v27
	v_add_nc_u32_e32 v46, -6, v27
	;; [unrolled: 1-line block ×6, first 2 shown]
	v_lshlrev_b64 v[1:2], 1, v[1:2]
	v_add_nc_u32_e32 v45, -1, v27
	s_delay_alu instid0(VALU_DEP_2) | instskip(NEXT) | instid1(VALU_DEP_3)
	v_add_co_u32 v48, vcc_lo, s2, v1
	v_add_co_ci_u32_e32 v49, vcc_lo, s3, v2, vcc_lo
	s_delay_alu instid0(VALU_DEP_2) | instskip(NEXT) | instid1(VALU_DEP_2)
	v_add_co_u32 v5, vcc_lo, v48, v29
	v_add_co_ci_u32_e32 v6, vcc_lo, 0, v49, vcc_lo
	v_cmp_eq_u32_e32 vcc_lo, s6, v9
	global_load_b128 v[1:4], v[5:6], off
	s_waitcnt vmcnt(0)
	v_lshrrev_b32_e32 v8, 16, v1
	v_lshrrev_b32_e32 v54, 16, v2
	v_lshrrev_b32_e32 v56, 16, v3
	v_lshrrev_b32_e32 v47, 16, v4
	s_and_saveexec_b32 s8, vcc_lo
	s_cbranch_execz .LBB195_63
; %bb.62:                               ;   in Loop: Header=BB195_29 Depth=1
	v_cmp_gt_i32_e64 s0, s28, v40
	s_delay_alu instid0(VALU_DEP_1) | instskip(SKIP_1) | instid1(VALU_DEP_1)
	v_cndmask_b32_e64 v1, 0, v1, s0
	v_cmp_gt_i32_e64 s0, s28, v46
	v_cndmask_b32_e64 v8, 0, v8, s0
	v_cmp_gt_i32_e64 s0, s28, v44
	s_delay_alu instid0(VALU_DEP_1) | instskip(SKIP_1) | instid1(VALU_DEP_1)
	v_cndmask_b32_e64 v2, 0, v2, s0
	v_cmp_gt_i32_e64 s0, s28, v43
	v_cndmask_b32_e64 v54, 0, v54, s0
	;; [unrolled: 5-line block ×4, first 2 shown]
.LBB195_63:                             ;   in Loop: Header=BB195_29 Depth=1
	s_or_b32 exec_lo, exec_lo, s8
	v_and_b32_e32 v50, 0xffff0000, v39
	v_lshlrev_b32_e32 v1, 16, v1
	s_delay_alu instid0(VALU_DEP_1) | instskip(NEXT) | instid1(VALU_DEP_1)
	v_mul_f32_e32 v1, v50, v1
	v_and_b32_e32 v7, 0x7f800000, v1
	s_delay_alu instid0(VALU_DEP_1) | instskip(NEXT) | instid1(VALU_DEP_1)
	v_cmp_ne_u32_e64 s0, 0x7f800000, v7
                                        ; implicit-def: $vgpr7
	s_and_saveexec_b32 s8, s0
	s_delay_alu instid0(SALU_CYCLE_1)
	s_xor_b32 s0, exec_lo, s8
; %bb.64:                               ;   in Loop: Header=BB195_29 Depth=1
	v_bfe_u32 v7, v1, 16, 1
	s_delay_alu instid0(VALU_DEP_1)
	v_add3_u32 v7, v1, v7, 0x7fff
                                        ; implicit-def: $vgpr1
; %bb.65:                               ;   in Loop: Header=BB195_29 Depth=1
	s_and_not1_saveexec_b32 s8, s0
; %bb.66:                               ;   in Loop: Header=BB195_29 Depth=1
	v_and_b32_e32 v7, 0xffff, v1
	v_or_b32_e32 v39, 0x10000, v1
	s_delay_alu instid0(VALU_DEP_2) | instskip(NEXT) | instid1(VALU_DEP_1)
	v_cmp_eq_u32_e64 s0, 0, v7
	v_cndmask_b32_e64 v7, v39, v1, s0
; %bb.67:                               ;   in Loop: Header=BB195_29 Depth=1
	s_or_b32 exec_lo, exec_lo, s8
	v_and_b32_e32 v51, 0xffff0000, v38
	v_lshlrev_b32_e32 v1, 16, v8
	s_delay_alu instid0(VALU_DEP_1) | instskip(NEXT) | instid1(VALU_DEP_1)
	v_mul_f32_e32 v1, v51, v1
	v_and_b32_e32 v8, 0x7f800000, v1
	s_delay_alu instid0(VALU_DEP_1) | instskip(NEXT) | instid1(VALU_DEP_1)
	v_cmp_ne_u32_e64 s0, 0x7f800000, v8
                                        ; implicit-def: $vgpr8
	s_and_saveexec_b32 s8, s0
	s_delay_alu instid0(SALU_CYCLE_1)
	s_xor_b32 s0, exec_lo, s8
; %bb.68:                               ;   in Loop: Header=BB195_29 Depth=1
	v_bfe_u32 v8, v1, 16, 1
	s_delay_alu instid0(VALU_DEP_1)
	v_add3_u32 v8, v1, v8, 0x7fff
                                        ; implicit-def: $vgpr1
; %bb.69:                               ;   in Loop: Header=BB195_29 Depth=1
	s_and_not1_saveexec_b32 s8, s0
; %bb.70:                               ;   in Loop: Header=BB195_29 Depth=1
	v_and_b32_e32 v8, 0xffff, v1
	v_or_b32_e32 v38, 0x10000, v1
	s_delay_alu instid0(VALU_DEP_2) | instskip(NEXT) | instid1(VALU_DEP_1)
	v_cmp_eq_u32_e64 s0, 0, v8
	v_cndmask_b32_e64 v8, v38, v1, s0
; %bb.71:                               ;   in Loop: Header=BB195_29 Depth=1
	s_or_b32 exec_lo, exec_lo, s8
	v_and_b32_e32 v52, 0xffff0000, v32
	v_lshlrev_b32_e32 v1, 16, v2
                                        ; implicit-def: $vgpr32
	s_delay_alu instid0(VALU_DEP_1) | instskip(NEXT) | instid1(VALU_DEP_1)
	v_mul_f32_e32 v1, v52, v1
	v_and_b32_e32 v2, 0x7f800000, v1
	s_delay_alu instid0(VALU_DEP_1) | instskip(NEXT) | instid1(VALU_DEP_1)
	v_cmp_ne_u32_e64 s0, 0x7f800000, v2
	s_and_saveexec_b32 s8, s0
	s_delay_alu instid0(SALU_CYCLE_1)
	s_xor_b32 s0, exec_lo, s8
; %bb.72:                               ;   in Loop: Header=BB195_29 Depth=1
	v_bfe_u32 v2, v1, 16, 1
	s_delay_alu instid0(VALU_DEP_1)
	v_add3_u32 v32, v1, v2, 0x7fff
                                        ; implicit-def: $vgpr1
; %bb.73:                               ;   in Loop: Header=BB195_29 Depth=1
	s_and_not1_saveexec_b32 s8, s0
; %bb.74:                               ;   in Loop: Header=BB195_29 Depth=1
	v_and_b32_e32 v2, 0xffff, v1
	v_or_b32_e32 v32, 0x10000, v1
	s_delay_alu instid0(VALU_DEP_2) | instskip(NEXT) | instid1(VALU_DEP_1)
	v_cmp_eq_u32_e64 s0, 0, v2
	v_cndmask_b32_e64 v32, v32, v1, s0
; %bb.75:                               ;   in Loop: Header=BB195_29 Depth=1
	s_or_b32 exec_lo, exec_lo, s8
	v_and_b32_e32 v53, 0xffff0000, v33
	v_lshlrev_b32_e32 v1, 16, v54
                                        ; implicit-def: $vgpr33
	s_delay_alu instid0(VALU_DEP_1) | instskip(NEXT) | instid1(VALU_DEP_1)
	v_mul_f32_e32 v1, v53, v1
	v_and_b32_e32 v2, 0x7f800000, v1
	s_delay_alu instid0(VALU_DEP_1) | instskip(NEXT) | instid1(VALU_DEP_1)
	v_cmp_ne_u32_e64 s0, 0x7f800000, v2
	s_and_saveexec_b32 s8, s0
	s_delay_alu instid0(SALU_CYCLE_1)
	s_xor_b32 s0, exec_lo, s8
; %bb.76:                               ;   in Loop: Header=BB195_29 Depth=1
	v_bfe_u32 v2, v1, 16, 1
	s_delay_alu instid0(VALU_DEP_1)
	v_add3_u32 v33, v1, v2, 0x7fff
                                        ; implicit-def: $vgpr1
; %bb.77:                               ;   in Loop: Header=BB195_29 Depth=1
	s_and_not1_saveexec_b32 s8, s0
; %bb.78:                               ;   in Loop: Header=BB195_29 Depth=1
	v_and_b32_e32 v2, 0xffff, v1
	v_or_b32_e32 v33, 0x10000, v1
	s_delay_alu instid0(VALU_DEP_2) | instskip(NEXT) | instid1(VALU_DEP_1)
	v_cmp_eq_u32_e64 s0, 0, v2
	v_cndmask_b32_e64 v33, v33, v1, s0
; %bb.79:                               ;   in Loop: Header=BB195_29 Depth=1
	s_or_b32 exec_lo, exec_lo, s8
	v_and_b32_e32 v54, 0xffff0000, v34
	v_lshlrev_b32_e32 v1, 16, v3
                                        ; implicit-def: $vgpr34
	s_delay_alu instid0(VALU_DEP_1) | instskip(NEXT) | instid1(VALU_DEP_1)
	v_mul_f32_e32 v1, v54, v1
	v_and_b32_e32 v2, 0x7f800000, v1
	s_delay_alu instid0(VALU_DEP_1) | instskip(NEXT) | instid1(VALU_DEP_1)
	v_cmp_ne_u32_e64 s0, 0x7f800000, v2
	s_and_saveexec_b32 s8, s0
	s_delay_alu instid0(SALU_CYCLE_1)
	s_xor_b32 s0, exec_lo, s8
; %bb.80:                               ;   in Loop: Header=BB195_29 Depth=1
	v_bfe_u32 v2, v1, 16, 1
	s_delay_alu instid0(VALU_DEP_1)
	v_add3_u32 v34, v1, v2, 0x7fff
                                        ; implicit-def: $vgpr1
; %bb.81:                               ;   in Loop: Header=BB195_29 Depth=1
	s_and_not1_saveexec_b32 s8, s0
; %bb.82:                               ;   in Loop: Header=BB195_29 Depth=1
	v_and_b32_e32 v2, 0xffff, v1
	v_or_b32_e32 v3, 0x10000, v1
	s_delay_alu instid0(VALU_DEP_2) | instskip(NEXT) | instid1(VALU_DEP_1)
	v_cmp_eq_u32_e64 s0, 0, v2
	v_cndmask_b32_e64 v34, v3, v1, s0
; %bb.83:                               ;   in Loop: Header=BB195_29 Depth=1
	s_or_b32 exec_lo, exec_lo, s8
	v_and_b32_e32 v55, 0xffff0000, v35
	v_lshlrev_b32_e32 v1, 16, v56
                                        ; implicit-def: $vgpr35
	s_delay_alu instid0(VALU_DEP_1) | instskip(NEXT) | instid1(VALU_DEP_1)
	v_mul_f32_e32 v1, v55, v1
	v_and_b32_e32 v2, 0x7f800000, v1
	s_delay_alu instid0(VALU_DEP_1) | instskip(NEXT) | instid1(VALU_DEP_1)
	v_cmp_ne_u32_e64 s0, 0x7f800000, v2
	s_and_saveexec_b32 s8, s0
	s_delay_alu instid0(SALU_CYCLE_1)
	s_xor_b32 s0, exec_lo, s8
; %bb.84:                               ;   in Loop: Header=BB195_29 Depth=1
	v_bfe_u32 v2, v1, 16, 1
	s_delay_alu instid0(VALU_DEP_1)
	v_add3_u32 v35, v1, v2, 0x7fff
                                        ; implicit-def: $vgpr1
; %bb.85:                               ;   in Loop: Header=BB195_29 Depth=1
	s_and_not1_saveexec_b32 s8, s0
; %bb.86:                               ;   in Loop: Header=BB195_29 Depth=1
	v_and_b32_e32 v2, 0xffff, v1
	v_or_b32_e32 v3, 0x10000, v1
	s_delay_alu instid0(VALU_DEP_2) | instskip(NEXT) | instid1(VALU_DEP_1)
	v_cmp_eq_u32_e64 s0, 0, v2
	v_cndmask_b32_e64 v35, v3, v1, s0
; %bb.87:                               ;   in Loop: Header=BB195_29 Depth=1
	s_or_b32 exec_lo, exec_lo, s8
	v_and_b32_e32 v56, 0xffff0000, v36
	v_lshlrev_b32_e32 v1, 16, v4
                                        ; implicit-def: $vgpr36
	s_delay_alu instid0(VALU_DEP_1) | instskip(NEXT) | instid1(VALU_DEP_1)
	v_mul_f32_e32 v1, v56, v1
	v_and_b32_e32 v2, 0x7f800000, v1
	s_delay_alu instid0(VALU_DEP_1) | instskip(NEXT) | instid1(VALU_DEP_1)
	v_cmp_ne_u32_e64 s0, 0x7f800000, v2
	s_and_saveexec_b32 s8, s0
	s_delay_alu instid0(SALU_CYCLE_1)
	s_xor_b32 s0, exec_lo, s8
; %bb.88:                               ;   in Loop: Header=BB195_29 Depth=1
	v_bfe_u32 v2, v1, 16, 1
	s_delay_alu instid0(VALU_DEP_1)
	v_add3_u32 v36, v1, v2, 0x7fff
                                        ; implicit-def: $vgpr1
; %bb.89:                               ;   in Loop: Header=BB195_29 Depth=1
	s_and_not1_saveexec_b32 s8, s0
; %bb.90:                               ;   in Loop: Header=BB195_29 Depth=1
	v_and_b32_e32 v2, 0xffff, v1
	v_or_b32_e32 v3, 0x10000, v1
	s_delay_alu instid0(VALU_DEP_2) | instskip(NEXT) | instid1(VALU_DEP_1)
	v_cmp_eq_u32_e64 s0, 0, v2
	v_cndmask_b32_e64 v36, v3, v1, s0
; %bb.91:                               ;   in Loop: Header=BB195_29 Depth=1
	s_or_b32 exec_lo, exec_lo, s8
	v_and_b32_e32 v57, 0xffff0000, v37
	v_lshlrev_b32_e32 v1, 16, v47
                                        ; implicit-def: $vgpr37
	s_delay_alu instid0(VALU_DEP_1) | instskip(NEXT) | instid1(VALU_DEP_1)
	v_mul_f32_e32 v1, v57, v1
	v_and_b32_e32 v2, 0x7f800000, v1
	s_delay_alu instid0(VALU_DEP_1) | instskip(NEXT) | instid1(VALU_DEP_1)
	v_cmp_ne_u32_e64 s0, 0x7f800000, v2
	s_and_saveexec_b32 s8, s0
	s_delay_alu instid0(SALU_CYCLE_1)
	s_xor_b32 s0, exec_lo, s8
; %bb.92:                               ;   in Loop: Header=BB195_29 Depth=1
	v_bfe_u32 v2, v1, 16, 1
	s_delay_alu instid0(VALU_DEP_1)
	v_add3_u32 v37, v1, v2, 0x7fff
                                        ; implicit-def: $vgpr1
; %bb.93:                               ;   in Loop: Header=BB195_29 Depth=1
	s_and_not1_saveexec_b32 s8, s0
; %bb.94:                               ;   in Loop: Header=BB195_29 Depth=1
	v_and_b32_e32 v2, 0xffff, v1
	v_or_b32_e32 v3, 0x10000, v1
	s_delay_alu instid0(VALU_DEP_2) | instskip(NEXT) | instid1(VALU_DEP_1)
	v_cmp_eq_u32_e64 s0, 0, v2
	v_cndmask_b32_e64 v37, v3, v1, s0
; %bb.95:                               ;   in Loop: Header=BB195_29 Depth=1
	s_or_b32 exec_lo, exec_lo, s8
	global_load_b128 v[1:4], v[5:6], off offset:512
	s_waitcnt vmcnt(0)
	v_lshrrev_b32_e32 v39, 16, v1
	v_lshrrev_b32_e32 v58, 16, v2
	;; [unrolled: 1-line block ×4, first 2 shown]
	s_and_saveexec_b32 s8, vcc_lo
	s_cbranch_execz .LBB195_97
; %bb.96:                               ;   in Loop: Header=BB195_29 Depth=1
	v_cmp_gt_i32_e64 s0, s28, v40
	s_delay_alu instid0(VALU_DEP_1) | instskip(SKIP_1) | instid1(VALU_DEP_1)
	v_cndmask_b32_e64 v1, 0, v1, s0
	v_cmp_gt_i32_e64 s0, s28, v46
	v_cndmask_b32_e64 v39, 0, v39, s0
	v_cmp_gt_i32_e64 s0, s28, v44
	s_delay_alu instid0(VALU_DEP_1) | instskip(SKIP_1) | instid1(VALU_DEP_1)
	v_cndmask_b32_e64 v2, 0, v2, s0
	v_cmp_gt_i32_e64 s0, s28, v43
	v_cndmask_b32_e64 v58, 0, v58, s0
	;; [unrolled: 5-line block ×4, first 2 shown]
.LBB195_97:                             ;   in Loop: Header=BB195_29 Depth=1
	s_or_b32 exec_lo, exec_lo, s8
	v_lshlrev_b32_e32 v1, 16, v1
	s_delay_alu instid0(VALU_DEP_1) | instskip(NEXT) | instid1(VALU_DEP_1)
	v_mul_f32_e32 v1, v50, v1
	v_and_b32_e32 v38, 0x7f800000, v1
	s_delay_alu instid0(VALU_DEP_1) | instskip(NEXT) | instid1(VALU_DEP_1)
	v_cmp_ne_u32_e64 s0, 0x7f800000, v38
                                        ; implicit-def: $vgpr38
	s_and_saveexec_b32 s8, s0
	s_delay_alu instid0(SALU_CYCLE_1)
	s_xor_b32 s0, exec_lo, s8
; %bb.98:                               ;   in Loop: Header=BB195_29 Depth=1
	v_bfe_u32 v38, v1, 16, 1
	s_delay_alu instid0(VALU_DEP_1)
	v_add3_u32 v38, v1, v38, 0x7fff
                                        ; implicit-def: $vgpr1
; %bb.99:                               ;   in Loop: Header=BB195_29 Depth=1
	s_and_not1_saveexec_b32 s8, s0
; %bb.100:                              ;   in Loop: Header=BB195_29 Depth=1
	v_and_b32_e32 v38, 0xffff, v1
	v_or_b32_e32 v47, 0x10000, v1
	s_delay_alu instid0(VALU_DEP_2) | instskip(NEXT) | instid1(VALU_DEP_1)
	v_cmp_eq_u32_e64 s0, 0, v38
	v_cndmask_b32_e64 v38, v47, v1, s0
; %bb.101:                              ;   in Loop: Header=BB195_29 Depth=1
	s_or_b32 exec_lo, exec_lo, s8
	v_lshlrev_b32_e32 v1, 16, v39
	s_delay_alu instid0(VALU_DEP_1) | instskip(NEXT) | instid1(VALU_DEP_1)
	v_mul_f32_e32 v1, v51, v1
	v_and_b32_e32 v39, 0x7f800000, v1
	s_delay_alu instid0(VALU_DEP_1) | instskip(NEXT) | instid1(VALU_DEP_1)
	v_cmp_ne_u32_e64 s0, 0x7f800000, v39
                                        ; implicit-def: $vgpr39
	s_and_saveexec_b32 s8, s0
	s_delay_alu instid0(SALU_CYCLE_1)
	s_xor_b32 s0, exec_lo, s8
; %bb.102:                              ;   in Loop: Header=BB195_29 Depth=1
	v_bfe_u32 v39, v1, 16, 1
	s_delay_alu instid0(VALU_DEP_1)
	v_add3_u32 v39, v1, v39, 0x7fff
                                        ; implicit-def: $vgpr1
; %bb.103:                              ;   in Loop: Header=BB195_29 Depth=1
	s_and_not1_saveexec_b32 s8, s0
; %bb.104:                              ;   in Loop: Header=BB195_29 Depth=1
	v_and_b32_e32 v39, 0xffff, v1
	v_or_b32_e32 v47, 0x10000, v1
	s_delay_alu instid0(VALU_DEP_2) | instskip(NEXT) | instid1(VALU_DEP_1)
	v_cmp_eq_u32_e64 s0, 0, v39
	v_cndmask_b32_e64 v39, v47, v1, s0
; %bb.105:                              ;   in Loop: Header=BB195_29 Depth=1
	s_or_b32 exec_lo, exec_lo, s8
	v_lshlrev_b32_e32 v1, 16, v2
                                        ; implicit-def: $vgpr47
	s_delay_alu instid0(VALU_DEP_1) | instskip(NEXT) | instid1(VALU_DEP_1)
	v_mul_f32_e32 v1, v52, v1
	v_and_b32_e32 v2, 0x7f800000, v1
	s_delay_alu instid0(VALU_DEP_1) | instskip(NEXT) | instid1(VALU_DEP_1)
	v_cmp_ne_u32_e64 s0, 0x7f800000, v2
	s_and_saveexec_b32 s8, s0
	s_delay_alu instid0(SALU_CYCLE_1)
	s_xor_b32 s0, exec_lo, s8
; %bb.106:                              ;   in Loop: Header=BB195_29 Depth=1
	v_bfe_u32 v2, v1, 16, 1
	s_delay_alu instid0(VALU_DEP_1)
	v_add3_u32 v47, v1, v2, 0x7fff
                                        ; implicit-def: $vgpr1
; %bb.107:                              ;   in Loop: Header=BB195_29 Depth=1
	s_and_not1_saveexec_b32 s8, s0
; %bb.108:                              ;   in Loop: Header=BB195_29 Depth=1
	v_and_b32_e32 v2, 0xffff, v1
	v_or_b32_e32 v47, 0x10000, v1
	s_delay_alu instid0(VALU_DEP_2) | instskip(NEXT) | instid1(VALU_DEP_1)
	v_cmp_eq_u32_e64 s0, 0, v2
	v_cndmask_b32_e64 v47, v47, v1, s0
; %bb.109:                              ;   in Loop: Header=BB195_29 Depth=1
	s_or_b32 exec_lo, exec_lo, s8
	v_lshlrev_b32_e32 v1, 16, v58
                                        ; implicit-def: $vgpr58
	s_delay_alu instid0(VALU_DEP_1) | instskip(NEXT) | instid1(VALU_DEP_1)
	v_mul_f32_e32 v1, v53, v1
	v_and_b32_e32 v2, 0x7f800000, v1
	s_delay_alu instid0(VALU_DEP_1) | instskip(NEXT) | instid1(VALU_DEP_1)
	v_cmp_ne_u32_e64 s0, 0x7f800000, v2
	s_and_saveexec_b32 s8, s0
	s_delay_alu instid0(SALU_CYCLE_1)
	s_xor_b32 s0, exec_lo, s8
; %bb.110:                              ;   in Loop: Header=BB195_29 Depth=1
	v_bfe_u32 v2, v1, 16, 1
	s_delay_alu instid0(VALU_DEP_1)
	v_add3_u32 v58, v1, v2, 0x7fff
                                        ; implicit-def: $vgpr1
; %bb.111:                              ;   in Loop: Header=BB195_29 Depth=1
	s_and_not1_saveexec_b32 s8, s0
; %bb.112:                              ;   in Loop: Header=BB195_29 Depth=1
	v_and_b32_e32 v2, 0xffff, v1
	v_or_b32_e32 v58, 0x10000, v1
	s_delay_alu instid0(VALU_DEP_2) | instskip(NEXT) | instid1(VALU_DEP_1)
	v_cmp_eq_u32_e64 s0, 0, v2
	v_cndmask_b32_e64 v58, v58, v1, s0
; %bb.113:                              ;   in Loop: Header=BB195_29 Depth=1
	s_or_b32 exec_lo, exec_lo, s8
	v_lshlrev_b32_e32 v1, 16, v3
                                        ; implicit-def: $vgpr59
	s_delay_alu instid0(VALU_DEP_1) | instskip(NEXT) | instid1(VALU_DEP_1)
	v_mul_f32_e32 v1, v54, v1
	v_and_b32_e32 v2, 0x7f800000, v1
	s_delay_alu instid0(VALU_DEP_1) | instskip(NEXT) | instid1(VALU_DEP_1)
	v_cmp_ne_u32_e64 s0, 0x7f800000, v2
	s_and_saveexec_b32 s8, s0
	s_delay_alu instid0(SALU_CYCLE_1)
	s_xor_b32 s0, exec_lo, s8
; %bb.114:                              ;   in Loop: Header=BB195_29 Depth=1
	v_bfe_u32 v2, v1, 16, 1
	s_delay_alu instid0(VALU_DEP_1)
	v_add3_u32 v59, v1, v2, 0x7fff
                                        ; implicit-def: $vgpr1
; %bb.115:                              ;   in Loop: Header=BB195_29 Depth=1
	s_and_not1_saveexec_b32 s8, s0
; %bb.116:                              ;   in Loop: Header=BB195_29 Depth=1
	v_and_b32_e32 v2, 0xffff, v1
	v_or_b32_e32 v3, 0x10000, v1
	s_delay_alu instid0(VALU_DEP_2) | instskip(NEXT) | instid1(VALU_DEP_1)
	v_cmp_eq_u32_e64 s0, 0, v2
	v_cndmask_b32_e64 v59, v3, v1, s0
; %bb.117:                              ;   in Loop: Header=BB195_29 Depth=1
	s_or_b32 exec_lo, exec_lo, s8
	v_lshlrev_b32_e32 v1, 16, v60
                                        ; implicit-def: $vgpr60
	s_delay_alu instid0(VALU_DEP_1) | instskip(NEXT) | instid1(VALU_DEP_1)
	v_mul_f32_e32 v1, v55, v1
	v_and_b32_e32 v2, 0x7f800000, v1
	s_delay_alu instid0(VALU_DEP_1) | instskip(NEXT) | instid1(VALU_DEP_1)
	v_cmp_ne_u32_e64 s0, 0x7f800000, v2
	s_and_saveexec_b32 s8, s0
	s_delay_alu instid0(SALU_CYCLE_1)
	s_xor_b32 s0, exec_lo, s8
; %bb.118:                              ;   in Loop: Header=BB195_29 Depth=1
	v_bfe_u32 v2, v1, 16, 1
	s_delay_alu instid0(VALU_DEP_1)
	v_add3_u32 v60, v1, v2, 0x7fff
                                        ; implicit-def: $vgpr1
; %bb.119:                              ;   in Loop: Header=BB195_29 Depth=1
	s_and_not1_saveexec_b32 s8, s0
; %bb.120:                              ;   in Loop: Header=BB195_29 Depth=1
	v_and_b32_e32 v2, 0xffff, v1
	v_or_b32_e32 v3, 0x10000, v1
	s_delay_alu instid0(VALU_DEP_2) | instskip(NEXT) | instid1(VALU_DEP_1)
	v_cmp_eq_u32_e64 s0, 0, v2
	v_cndmask_b32_e64 v60, v3, v1, s0
; %bb.121:                              ;   in Loop: Header=BB195_29 Depth=1
	s_or_b32 exec_lo, exec_lo, s8
	v_lshlrev_b32_e32 v1, 16, v4
                                        ; implicit-def: $vgpr61
	s_delay_alu instid0(VALU_DEP_1) | instskip(NEXT) | instid1(VALU_DEP_1)
	v_mul_f32_e32 v1, v56, v1
	v_and_b32_e32 v2, 0x7f800000, v1
	s_delay_alu instid0(VALU_DEP_1) | instskip(NEXT) | instid1(VALU_DEP_1)
	v_cmp_ne_u32_e64 s0, 0x7f800000, v2
	s_and_saveexec_b32 s8, s0
	s_delay_alu instid0(SALU_CYCLE_1)
	s_xor_b32 s0, exec_lo, s8
; %bb.122:                              ;   in Loop: Header=BB195_29 Depth=1
	v_bfe_u32 v2, v1, 16, 1
	s_delay_alu instid0(VALU_DEP_1)
	v_add3_u32 v61, v1, v2, 0x7fff
                                        ; implicit-def: $vgpr1
; %bb.123:                              ;   in Loop: Header=BB195_29 Depth=1
	s_and_not1_saveexec_b32 s8, s0
; %bb.124:                              ;   in Loop: Header=BB195_29 Depth=1
	v_and_b32_e32 v2, 0xffff, v1
	v_or_b32_e32 v3, 0x10000, v1
	s_delay_alu instid0(VALU_DEP_2) | instskip(NEXT) | instid1(VALU_DEP_1)
	v_cmp_eq_u32_e64 s0, 0, v2
	v_cndmask_b32_e64 v61, v3, v1, s0
; %bb.125:                              ;   in Loop: Header=BB195_29 Depth=1
	s_or_b32 exec_lo, exec_lo, s8
	v_lshlrev_b32_e32 v1, 16, v62
                                        ; implicit-def: $vgpr62
	s_delay_alu instid0(VALU_DEP_1) | instskip(NEXT) | instid1(VALU_DEP_1)
	v_mul_f32_e32 v1, v57, v1
	v_and_b32_e32 v2, 0x7f800000, v1
	s_delay_alu instid0(VALU_DEP_1) | instskip(NEXT) | instid1(VALU_DEP_1)
	v_cmp_ne_u32_e64 s0, 0x7f800000, v2
	s_and_saveexec_b32 s8, s0
	s_delay_alu instid0(SALU_CYCLE_1)
	s_xor_b32 s0, exec_lo, s8
; %bb.126:                              ;   in Loop: Header=BB195_29 Depth=1
	v_bfe_u32 v2, v1, 16, 1
	s_delay_alu instid0(VALU_DEP_1)
	v_add3_u32 v62, v1, v2, 0x7fff
                                        ; implicit-def: $vgpr1
; %bb.127:                              ;   in Loop: Header=BB195_29 Depth=1
	s_and_not1_saveexec_b32 s8, s0
; %bb.128:                              ;   in Loop: Header=BB195_29 Depth=1
	v_and_b32_e32 v2, 0xffff, v1
	v_or_b32_e32 v3, 0x10000, v1
	s_delay_alu instid0(VALU_DEP_2) | instskip(NEXT) | instid1(VALU_DEP_1)
	v_cmp_eq_u32_e64 s0, 0, v2
	v_cndmask_b32_e64 v62, v3, v1, s0
; %bb.129:                              ;   in Loop: Header=BB195_29 Depth=1
	s_or_b32 exec_lo, exec_lo, s8
	global_load_b128 v[1:4], v[5:6], off offset:1024
	s_waitcnt vmcnt(0)
	v_lshrrev_b32_e32 v64, 16, v1
	v_lshrrev_b32_e32 v66, 16, v2
	;; [unrolled: 1-line block ×4, first 2 shown]
	s_and_saveexec_b32 s8, vcc_lo
	s_cbranch_execz .LBB195_131
; %bb.130:                              ;   in Loop: Header=BB195_29 Depth=1
	v_cmp_gt_i32_e64 s0, s28, v40
	s_delay_alu instid0(VALU_DEP_1) | instskip(SKIP_1) | instid1(VALU_DEP_1)
	v_cndmask_b32_e64 v1, 0, v1, s0
	v_cmp_gt_i32_e64 s0, s28, v46
	v_cndmask_b32_e64 v64, 0, v64, s0
	v_cmp_gt_i32_e64 s0, s28, v44
	s_delay_alu instid0(VALU_DEP_1) | instskip(SKIP_1) | instid1(VALU_DEP_1)
	v_cndmask_b32_e64 v2, 0, v2, s0
	v_cmp_gt_i32_e64 s0, s28, v43
	v_cndmask_b32_e64 v66, 0, v66, s0
	;; [unrolled: 5-line block ×4, first 2 shown]
.LBB195_131:                            ;   in Loop: Header=BB195_29 Depth=1
	s_or_b32 exec_lo, exec_lo, s8
	v_lshlrev_b32_e32 v1, 16, v1
	s_delay_alu instid0(VALU_DEP_1) | instskip(NEXT) | instid1(VALU_DEP_1)
	v_mul_f32_e32 v1, v50, v1
	v_and_b32_e32 v63, 0x7f800000, v1
	s_delay_alu instid0(VALU_DEP_1) | instskip(NEXT) | instid1(VALU_DEP_1)
	v_cmp_ne_u32_e64 s0, 0x7f800000, v63
                                        ; implicit-def: $vgpr63
	s_and_saveexec_b32 s8, s0
	s_delay_alu instid0(SALU_CYCLE_1)
	s_xor_b32 s0, exec_lo, s8
; %bb.132:                              ;   in Loop: Header=BB195_29 Depth=1
	v_bfe_u32 v63, v1, 16, 1
	s_delay_alu instid0(VALU_DEP_1)
	v_add3_u32 v63, v1, v63, 0x7fff
                                        ; implicit-def: $vgpr1
; %bb.133:                              ;   in Loop: Header=BB195_29 Depth=1
	s_and_not1_saveexec_b32 s8, s0
; %bb.134:                              ;   in Loop: Header=BB195_29 Depth=1
	v_and_b32_e32 v63, 0xffff, v1
	v_or_b32_e32 v65, 0x10000, v1
	s_delay_alu instid0(VALU_DEP_2) | instskip(NEXT) | instid1(VALU_DEP_1)
	v_cmp_eq_u32_e64 s0, 0, v63
	v_cndmask_b32_e64 v63, v65, v1, s0
; %bb.135:                              ;   in Loop: Header=BB195_29 Depth=1
	s_or_b32 exec_lo, exec_lo, s8
	v_lshlrev_b32_e32 v1, 16, v64
	s_delay_alu instid0(VALU_DEP_1) | instskip(NEXT) | instid1(VALU_DEP_1)
	v_mul_f32_e32 v1, v51, v1
	v_and_b32_e32 v64, 0x7f800000, v1
	s_delay_alu instid0(VALU_DEP_1) | instskip(NEXT) | instid1(VALU_DEP_1)
	v_cmp_ne_u32_e64 s0, 0x7f800000, v64
                                        ; implicit-def: $vgpr64
	s_and_saveexec_b32 s8, s0
	s_delay_alu instid0(SALU_CYCLE_1)
	s_xor_b32 s0, exec_lo, s8
; %bb.136:                              ;   in Loop: Header=BB195_29 Depth=1
	v_bfe_u32 v64, v1, 16, 1
	s_delay_alu instid0(VALU_DEP_1)
	v_add3_u32 v64, v1, v64, 0x7fff
                                        ; implicit-def: $vgpr1
; %bb.137:                              ;   in Loop: Header=BB195_29 Depth=1
	s_and_not1_saveexec_b32 s8, s0
; %bb.138:                              ;   in Loop: Header=BB195_29 Depth=1
	v_and_b32_e32 v64, 0xffff, v1
	v_or_b32_e32 v65, 0x10000, v1
	s_delay_alu instid0(VALU_DEP_2) | instskip(NEXT) | instid1(VALU_DEP_1)
	v_cmp_eq_u32_e64 s0, 0, v64
	v_cndmask_b32_e64 v64, v65, v1, s0
; %bb.139:                              ;   in Loop: Header=BB195_29 Depth=1
	s_or_b32 exec_lo, exec_lo, s8
	v_lshlrev_b32_e32 v1, 16, v2
                                        ; implicit-def: $vgpr65
	s_delay_alu instid0(VALU_DEP_1) | instskip(NEXT) | instid1(VALU_DEP_1)
	v_mul_f32_e32 v1, v52, v1
	v_and_b32_e32 v2, 0x7f800000, v1
	s_delay_alu instid0(VALU_DEP_1) | instskip(NEXT) | instid1(VALU_DEP_1)
	v_cmp_ne_u32_e64 s0, 0x7f800000, v2
	s_and_saveexec_b32 s8, s0
	s_delay_alu instid0(SALU_CYCLE_1)
	s_xor_b32 s0, exec_lo, s8
; %bb.140:                              ;   in Loop: Header=BB195_29 Depth=1
	v_bfe_u32 v2, v1, 16, 1
	s_delay_alu instid0(VALU_DEP_1)
	v_add3_u32 v65, v1, v2, 0x7fff
                                        ; implicit-def: $vgpr1
; %bb.141:                              ;   in Loop: Header=BB195_29 Depth=1
	s_and_not1_saveexec_b32 s8, s0
; %bb.142:                              ;   in Loop: Header=BB195_29 Depth=1
	v_and_b32_e32 v2, 0xffff, v1
	v_or_b32_e32 v65, 0x10000, v1
	s_delay_alu instid0(VALU_DEP_2) | instskip(NEXT) | instid1(VALU_DEP_1)
	v_cmp_eq_u32_e64 s0, 0, v2
	v_cndmask_b32_e64 v65, v65, v1, s0
; %bb.143:                              ;   in Loop: Header=BB195_29 Depth=1
	s_or_b32 exec_lo, exec_lo, s8
	v_lshlrev_b32_e32 v1, 16, v66
                                        ; implicit-def: $vgpr66
	s_delay_alu instid0(VALU_DEP_1) | instskip(NEXT) | instid1(VALU_DEP_1)
	v_mul_f32_e32 v1, v53, v1
	v_and_b32_e32 v2, 0x7f800000, v1
	s_delay_alu instid0(VALU_DEP_1) | instskip(NEXT) | instid1(VALU_DEP_1)
	v_cmp_ne_u32_e64 s0, 0x7f800000, v2
	s_and_saveexec_b32 s8, s0
	s_delay_alu instid0(SALU_CYCLE_1)
	s_xor_b32 s0, exec_lo, s8
; %bb.144:                              ;   in Loop: Header=BB195_29 Depth=1
	v_bfe_u32 v2, v1, 16, 1
	s_delay_alu instid0(VALU_DEP_1)
	v_add3_u32 v66, v1, v2, 0x7fff
                                        ; implicit-def: $vgpr1
; %bb.145:                              ;   in Loop: Header=BB195_29 Depth=1
	s_and_not1_saveexec_b32 s8, s0
; %bb.146:                              ;   in Loop: Header=BB195_29 Depth=1
	v_and_b32_e32 v2, 0xffff, v1
	v_or_b32_e32 v66, 0x10000, v1
	s_delay_alu instid0(VALU_DEP_2) | instskip(NEXT) | instid1(VALU_DEP_1)
	v_cmp_eq_u32_e64 s0, 0, v2
	v_cndmask_b32_e64 v66, v66, v1, s0
; %bb.147:                              ;   in Loop: Header=BB195_29 Depth=1
	s_or_b32 exec_lo, exec_lo, s8
	v_lshlrev_b32_e32 v1, 16, v3
                                        ; implicit-def: $vgpr67
	s_delay_alu instid0(VALU_DEP_1) | instskip(NEXT) | instid1(VALU_DEP_1)
	v_mul_f32_e32 v1, v54, v1
	v_and_b32_e32 v2, 0x7f800000, v1
	s_delay_alu instid0(VALU_DEP_1) | instskip(NEXT) | instid1(VALU_DEP_1)
	v_cmp_ne_u32_e64 s0, 0x7f800000, v2
	s_and_saveexec_b32 s8, s0
	s_delay_alu instid0(SALU_CYCLE_1)
	s_xor_b32 s0, exec_lo, s8
; %bb.148:                              ;   in Loop: Header=BB195_29 Depth=1
	v_bfe_u32 v2, v1, 16, 1
	s_delay_alu instid0(VALU_DEP_1)
	v_add3_u32 v67, v1, v2, 0x7fff
                                        ; implicit-def: $vgpr1
; %bb.149:                              ;   in Loop: Header=BB195_29 Depth=1
	s_and_not1_saveexec_b32 s8, s0
; %bb.150:                              ;   in Loop: Header=BB195_29 Depth=1
	v_and_b32_e32 v2, 0xffff, v1
	v_or_b32_e32 v3, 0x10000, v1
	s_delay_alu instid0(VALU_DEP_2) | instskip(NEXT) | instid1(VALU_DEP_1)
	v_cmp_eq_u32_e64 s0, 0, v2
	v_cndmask_b32_e64 v67, v3, v1, s0
; %bb.151:                              ;   in Loop: Header=BB195_29 Depth=1
	s_or_b32 exec_lo, exec_lo, s8
	v_lshlrev_b32_e32 v1, 16, v68
                                        ; implicit-def: $vgpr68
	s_delay_alu instid0(VALU_DEP_1) | instskip(NEXT) | instid1(VALU_DEP_1)
	v_mul_f32_e32 v1, v55, v1
	v_and_b32_e32 v2, 0x7f800000, v1
	s_delay_alu instid0(VALU_DEP_1) | instskip(NEXT) | instid1(VALU_DEP_1)
	v_cmp_ne_u32_e64 s0, 0x7f800000, v2
	s_and_saveexec_b32 s8, s0
	s_delay_alu instid0(SALU_CYCLE_1)
	s_xor_b32 s0, exec_lo, s8
; %bb.152:                              ;   in Loop: Header=BB195_29 Depth=1
	v_bfe_u32 v2, v1, 16, 1
	s_delay_alu instid0(VALU_DEP_1)
	v_add3_u32 v68, v1, v2, 0x7fff
                                        ; implicit-def: $vgpr1
; %bb.153:                              ;   in Loop: Header=BB195_29 Depth=1
	s_and_not1_saveexec_b32 s8, s0
; %bb.154:                              ;   in Loop: Header=BB195_29 Depth=1
	v_and_b32_e32 v2, 0xffff, v1
	v_or_b32_e32 v3, 0x10000, v1
	s_delay_alu instid0(VALU_DEP_2) | instskip(NEXT) | instid1(VALU_DEP_1)
	v_cmp_eq_u32_e64 s0, 0, v2
	v_cndmask_b32_e64 v68, v3, v1, s0
; %bb.155:                              ;   in Loop: Header=BB195_29 Depth=1
	s_or_b32 exec_lo, exec_lo, s8
	v_lshlrev_b32_e32 v1, 16, v4
                                        ; implicit-def: $vgpr69
	s_delay_alu instid0(VALU_DEP_1) | instskip(NEXT) | instid1(VALU_DEP_1)
	v_mul_f32_e32 v1, v56, v1
	v_and_b32_e32 v2, 0x7f800000, v1
	s_delay_alu instid0(VALU_DEP_1) | instskip(NEXT) | instid1(VALU_DEP_1)
	v_cmp_ne_u32_e64 s0, 0x7f800000, v2
	s_and_saveexec_b32 s8, s0
	s_delay_alu instid0(SALU_CYCLE_1)
	s_xor_b32 s0, exec_lo, s8
; %bb.156:                              ;   in Loop: Header=BB195_29 Depth=1
	v_bfe_u32 v2, v1, 16, 1
	s_delay_alu instid0(VALU_DEP_1)
	v_add3_u32 v69, v1, v2, 0x7fff
                                        ; implicit-def: $vgpr1
; %bb.157:                              ;   in Loop: Header=BB195_29 Depth=1
	s_and_not1_saveexec_b32 s8, s0
; %bb.158:                              ;   in Loop: Header=BB195_29 Depth=1
	v_and_b32_e32 v2, 0xffff, v1
	v_or_b32_e32 v3, 0x10000, v1
	s_delay_alu instid0(VALU_DEP_2) | instskip(NEXT) | instid1(VALU_DEP_1)
	v_cmp_eq_u32_e64 s0, 0, v2
	v_cndmask_b32_e64 v69, v3, v1, s0
; %bb.159:                              ;   in Loop: Header=BB195_29 Depth=1
	s_or_b32 exec_lo, exec_lo, s8
	v_lshlrev_b32_e32 v1, 16, v70
                                        ; implicit-def: $vgpr70
	s_delay_alu instid0(VALU_DEP_1) | instskip(NEXT) | instid1(VALU_DEP_1)
	v_mul_f32_e32 v1, v57, v1
	v_and_b32_e32 v2, 0x7f800000, v1
	s_delay_alu instid0(VALU_DEP_1) | instskip(NEXT) | instid1(VALU_DEP_1)
	v_cmp_ne_u32_e64 s0, 0x7f800000, v2
	s_and_saveexec_b32 s8, s0
	s_delay_alu instid0(SALU_CYCLE_1)
	s_xor_b32 s0, exec_lo, s8
; %bb.160:                              ;   in Loop: Header=BB195_29 Depth=1
	v_bfe_u32 v2, v1, 16, 1
	s_delay_alu instid0(VALU_DEP_1)
	v_add3_u32 v70, v1, v2, 0x7fff
                                        ; implicit-def: $vgpr1
; %bb.161:                              ;   in Loop: Header=BB195_29 Depth=1
	s_and_not1_saveexec_b32 s8, s0
; %bb.162:                              ;   in Loop: Header=BB195_29 Depth=1
	v_and_b32_e32 v2, 0xffff, v1
	v_or_b32_e32 v3, 0x10000, v1
	s_delay_alu instid0(VALU_DEP_2) | instskip(NEXT) | instid1(VALU_DEP_1)
	v_cmp_eq_u32_e64 s0, 0, v2
	v_cndmask_b32_e64 v70, v3, v1, s0
; %bb.163:                              ;   in Loop: Header=BB195_29 Depth=1
	s_or_b32 exec_lo, exec_lo, s8
	global_load_b128 v[1:4], v[5:6], off offset:1536
	s_waitcnt vmcnt(0)
	v_lshrrev_b32_e32 v72, 16, v1
	v_lshrrev_b32_e32 v74, 16, v2
	;; [unrolled: 1-line block ×4, first 2 shown]
	s_and_saveexec_b32 s8, vcc_lo
	s_cbranch_execz .LBB195_165
; %bb.164:                              ;   in Loop: Header=BB195_29 Depth=1
	v_cmp_gt_i32_e64 s0, s28, v40
	s_delay_alu instid0(VALU_DEP_1) | instskip(SKIP_1) | instid1(VALU_DEP_1)
	v_cndmask_b32_e64 v1, 0, v1, s0
	v_cmp_gt_i32_e64 s0, s28, v46
	v_cndmask_b32_e64 v72, 0, v72, s0
	v_cmp_gt_i32_e64 s0, s28, v44
	s_delay_alu instid0(VALU_DEP_1) | instskip(SKIP_1) | instid1(VALU_DEP_1)
	v_cndmask_b32_e64 v2, 0, v2, s0
	v_cmp_gt_i32_e64 s0, s28, v43
	v_cndmask_b32_e64 v74, 0, v74, s0
	;; [unrolled: 5-line block ×4, first 2 shown]
.LBB195_165:                            ;   in Loop: Header=BB195_29 Depth=1
	s_or_b32 exec_lo, exec_lo, s8
	v_lshlrev_b32_e32 v1, 16, v1
	s_delay_alu instid0(VALU_DEP_1) | instskip(NEXT) | instid1(VALU_DEP_1)
	v_mul_f32_e32 v1, v50, v1
	v_and_b32_e32 v71, 0x7f800000, v1
	s_delay_alu instid0(VALU_DEP_1) | instskip(NEXT) | instid1(VALU_DEP_1)
	v_cmp_ne_u32_e64 s0, 0x7f800000, v71
                                        ; implicit-def: $vgpr71
	s_and_saveexec_b32 s8, s0
	s_delay_alu instid0(SALU_CYCLE_1)
	s_xor_b32 s0, exec_lo, s8
; %bb.166:                              ;   in Loop: Header=BB195_29 Depth=1
	v_bfe_u32 v71, v1, 16, 1
	s_delay_alu instid0(VALU_DEP_1)
	v_add3_u32 v71, v1, v71, 0x7fff
                                        ; implicit-def: $vgpr1
; %bb.167:                              ;   in Loop: Header=BB195_29 Depth=1
	s_and_not1_saveexec_b32 s8, s0
; %bb.168:                              ;   in Loop: Header=BB195_29 Depth=1
	v_and_b32_e32 v71, 0xffff, v1
	v_or_b32_e32 v73, 0x10000, v1
	s_delay_alu instid0(VALU_DEP_2) | instskip(NEXT) | instid1(VALU_DEP_1)
	v_cmp_eq_u32_e64 s0, 0, v71
	v_cndmask_b32_e64 v71, v73, v1, s0
; %bb.169:                              ;   in Loop: Header=BB195_29 Depth=1
	s_or_b32 exec_lo, exec_lo, s8
	v_lshlrev_b32_e32 v1, 16, v72
	s_delay_alu instid0(VALU_DEP_1) | instskip(NEXT) | instid1(VALU_DEP_1)
	v_mul_f32_e32 v1, v51, v1
	v_and_b32_e32 v72, 0x7f800000, v1
	s_delay_alu instid0(VALU_DEP_1) | instskip(NEXT) | instid1(VALU_DEP_1)
	v_cmp_ne_u32_e64 s0, 0x7f800000, v72
                                        ; implicit-def: $vgpr72
	s_and_saveexec_b32 s8, s0
	s_delay_alu instid0(SALU_CYCLE_1)
	s_xor_b32 s0, exec_lo, s8
; %bb.170:                              ;   in Loop: Header=BB195_29 Depth=1
	v_bfe_u32 v72, v1, 16, 1
	s_delay_alu instid0(VALU_DEP_1)
	v_add3_u32 v72, v1, v72, 0x7fff
                                        ; implicit-def: $vgpr1
; %bb.171:                              ;   in Loop: Header=BB195_29 Depth=1
	s_and_not1_saveexec_b32 s8, s0
; %bb.172:                              ;   in Loop: Header=BB195_29 Depth=1
	v_and_b32_e32 v72, 0xffff, v1
	v_or_b32_e32 v73, 0x10000, v1
	s_delay_alu instid0(VALU_DEP_2) | instskip(NEXT) | instid1(VALU_DEP_1)
	v_cmp_eq_u32_e64 s0, 0, v72
	v_cndmask_b32_e64 v72, v73, v1, s0
; %bb.173:                              ;   in Loop: Header=BB195_29 Depth=1
	s_or_b32 exec_lo, exec_lo, s8
	v_lshlrev_b32_e32 v1, 16, v2
                                        ; implicit-def: $vgpr73
	s_delay_alu instid0(VALU_DEP_1) | instskip(NEXT) | instid1(VALU_DEP_1)
	v_mul_f32_e32 v1, v52, v1
	v_and_b32_e32 v2, 0x7f800000, v1
	s_delay_alu instid0(VALU_DEP_1) | instskip(NEXT) | instid1(VALU_DEP_1)
	v_cmp_ne_u32_e64 s0, 0x7f800000, v2
	s_and_saveexec_b32 s8, s0
	s_delay_alu instid0(SALU_CYCLE_1)
	s_xor_b32 s0, exec_lo, s8
; %bb.174:                              ;   in Loop: Header=BB195_29 Depth=1
	v_bfe_u32 v2, v1, 16, 1
	s_delay_alu instid0(VALU_DEP_1)
	v_add3_u32 v73, v1, v2, 0x7fff
                                        ; implicit-def: $vgpr1
; %bb.175:                              ;   in Loop: Header=BB195_29 Depth=1
	s_and_not1_saveexec_b32 s8, s0
; %bb.176:                              ;   in Loop: Header=BB195_29 Depth=1
	v_and_b32_e32 v2, 0xffff, v1
	v_or_b32_e32 v73, 0x10000, v1
	s_delay_alu instid0(VALU_DEP_2) | instskip(NEXT) | instid1(VALU_DEP_1)
	v_cmp_eq_u32_e64 s0, 0, v2
	v_cndmask_b32_e64 v73, v73, v1, s0
; %bb.177:                              ;   in Loop: Header=BB195_29 Depth=1
	s_or_b32 exec_lo, exec_lo, s8
	v_lshlrev_b32_e32 v1, 16, v74
                                        ; implicit-def: $vgpr74
	s_delay_alu instid0(VALU_DEP_1) | instskip(NEXT) | instid1(VALU_DEP_1)
	v_mul_f32_e32 v1, v53, v1
	v_and_b32_e32 v2, 0x7f800000, v1
	s_delay_alu instid0(VALU_DEP_1) | instskip(NEXT) | instid1(VALU_DEP_1)
	v_cmp_ne_u32_e64 s0, 0x7f800000, v2
	s_and_saveexec_b32 s8, s0
	s_delay_alu instid0(SALU_CYCLE_1)
	s_xor_b32 s0, exec_lo, s8
; %bb.178:                              ;   in Loop: Header=BB195_29 Depth=1
	v_bfe_u32 v2, v1, 16, 1
	s_delay_alu instid0(VALU_DEP_1)
	v_add3_u32 v74, v1, v2, 0x7fff
                                        ; implicit-def: $vgpr1
; %bb.179:                              ;   in Loop: Header=BB195_29 Depth=1
	s_and_not1_saveexec_b32 s8, s0
; %bb.180:                              ;   in Loop: Header=BB195_29 Depth=1
	v_and_b32_e32 v2, 0xffff, v1
	v_or_b32_e32 v74, 0x10000, v1
	s_delay_alu instid0(VALU_DEP_2) | instskip(NEXT) | instid1(VALU_DEP_1)
	v_cmp_eq_u32_e64 s0, 0, v2
	v_cndmask_b32_e64 v74, v74, v1, s0
; %bb.181:                              ;   in Loop: Header=BB195_29 Depth=1
	s_or_b32 exec_lo, exec_lo, s8
	v_lshlrev_b32_e32 v1, 16, v3
                                        ; implicit-def: $vgpr75
	s_delay_alu instid0(VALU_DEP_1) | instskip(NEXT) | instid1(VALU_DEP_1)
	v_mul_f32_e32 v1, v54, v1
	v_and_b32_e32 v2, 0x7f800000, v1
	s_delay_alu instid0(VALU_DEP_1) | instskip(NEXT) | instid1(VALU_DEP_1)
	v_cmp_ne_u32_e64 s0, 0x7f800000, v2
	s_and_saveexec_b32 s8, s0
	s_delay_alu instid0(SALU_CYCLE_1)
	s_xor_b32 s0, exec_lo, s8
; %bb.182:                              ;   in Loop: Header=BB195_29 Depth=1
	v_bfe_u32 v2, v1, 16, 1
	s_delay_alu instid0(VALU_DEP_1)
	v_add3_u32 v75, v1, v2, 0x7fff
                                        ; implicit-def: $vgpr1
; %bb.183:                              ;   in Loop: Header=BB195_29 Depth=1
	s_and_not1_saveexec_b32 s8, s0
; %bb.184:                              ;   in Loop: Header=BB195_29 Depth=1
	v_and_b32_e32 v2, 0xffff, v1
	v_or_b32_e32 v3, 0x10000, v1
	s_delay_alu instid0(VALU_DEP_2) | instskip(NEXT) | instid1(VALU_DEP_1)
	v_cmp_eq_u32_e64 s0, 0, v2
	v_cndmask_b32_e64 v75, v3, v1, s0
; %bb.185:                              ;   in Loop: Header=BB195_29 Depth=1
	s_or_b32 exec_lo, exec_lo, s8
	v_lshlrev_b32_e32 v1, 16, v76
                                        ; implicit-def: $vgpr76
	s_delay_alu instid0(VALU_DEP_1) | instskip(NEXT) | instid1(VALU_DEP_1)
	v_mul_f32_e32 v1, v55, v1
	v_and_b32_e32 v2, 0x7f800000, v1
	s_delay_alu instid0(VALU_DEP_1) | instskip(NEXT) | instid1(VALU_DEP_1)
	v_cmp_ne_u32_e64 s0, 0x7f800000, v2
	s_and_saveexec_b32 s8, s0
	s_delay_alu instid0(SALU_CYCLE_1)
	s_xor_b32 s0, exec_lo, s8
; %bb.186:                              ;   in Loop: Header=BB195_29 Depth=1
	v_bfe_u32 v2, v1, 16, 1
	s_delay_alu instid0(VALU_DEP_1)
	v_add3_u32 v76, v1, v2, 0x7fff
                                        ; implicit-def: $vgpr1
; %bb.187:                              ;   in Loop: Header=BB195_29 Depth=1
	s_and_not1_saveexec_b32 s8, s0
; %bb.188:                              ;   in Loop: Header=BB195_29 Depth=1
	v_and_b32_e32 v2, 0xffff, v1
	v_or_b32_e32 v3, 0x10000, v1
	s_delay_alu instid0(VALU_DEP_2) | instskip(NEXT) | instid1(VALU_DEP_1)
	v_cmp_eq_u32_e64 s0, 0, v2
	v_cndmask_b32_e64 v76, v3, v1, s0
; %bb.189:                              ;   in Loop: Header=BB195_29 Depth=1
	s_or_b32 exec_lo, exec_lo, s8
	v_lshlrev_b32_e32 v1, 16, v4
                                        ; implicit-def: $vgpr77
	s_delay_alu instid0(VALU_DEP_1) | instskip(NEXT) | instid1(VALU_DEP_1)
	v_mul_f32_e32 v1, v56, v1
	v_and_b32_e32 v2, 0x7f800000, v1
	s_delay_alu instid0(VALU_DEP_1) | instskip(NEXT) | instid1(VALU_DEP_1)
	v_cmp_ne_u32_e64 s0, 0x7f800000, v2
	s_and_saveexec_b32 s8, s0
	s_delay_alu instid0(SALU_CYCLE_1)
	s_xor_b32 s0, exec_lo, s8
; %bb.190:                              ;   in Loop: Header=BB195_29 Depth=1
	v_bfe_u32 v2, v1, 16, 1
	s_delay_alu instid0(VALU_DEP_1)
	v_add3_u32 v77, v1, v2, 0x7fff
                                        ; implicit-def: $vgpr1
; %bb.191:                              ;   in Loop: Header=BB195_29 Depth=1
	s_and_not1_saveexec_b32 s8, s0
; %bb.192:                              ;   in Loop: Header=BB195_29 Depth=1
	v_and_b32_e32 v2, 0xffff, v1
	v_or_b32_e32 v3, 0x10000, v1
	s_delay_alu instid0(VALU_DEP_2) | instskip(NEXT) | instid1(VALU_DEP_1)
	v_cmp_eq_u32_e64 s0, 0, v2
	v_cndmask_b32_e64 v77, v3, v1, s0
; %bb.193:                              ;   in Loop: Header=BB195_29 Depth=1
	s_or_b32 exec_lo, exec_lo, s8
	v_lshlrev_b32_e32 v1, 16, v78
                                        ; implicit-def: $vgpr78
	s_delay_alu instid0(VALU_DEP_1) | instskip(NEXT) | instid1(VALU_DEP_1)
	v_mul_f32_e32 v1, v57, v1
	v_and_b32_e32 v2, 0x7f800000, v1
	s_delay_alu instid0(VALU_DEP_1) | instskip(NEXT) | instid1(VALU_DEP_1)
	v_cmp_ne_u32_e64 s0, 0x7f800000, v2
	s_and_saveexec_b32 s8, s0
	s_delay_alu instid0(SALU_CYCLE_1)
	s_xor_b32 s0, exec_lo, s8
; %bb.194:                              ;   in Loop: Header=BB195_29 Depth=1
	v_bfe_u32 v2, v1, 16, 1
	s_delay_alu instid0(VALU_DEP_1)
	v_add3_u32 v78, v1, v2, 0x7fff
                                        ; implicit-def: $vgpr1
; %bb.195:                              ;   in Loop: Header=BB195_29 Depth=1
	s_and_not1_saveexec_b32 s8, s0
; %bb.196:                              ;   in Loop: Header=BB195_29 Depth=1
	v_and_b32_e32 v2, 0xffff, v1
	v_or_b32_e32 v3, 0x10000, v1
	s_delay_alu instid0(VALU_DEP_2) | instskip(NEXT) | instid1(VALU_DEP_1)
	v_cmp_eq_u32_e64 s0, 0, v2
	v_cndmask_b32_e64 v78, v3, v1, s0
; %bb.197:                              ;   in Loop: Header=BB195_29 Depth=1
	s_or_b32 exec_lo, exec_lo, s8
	global_load_b128 v[1:4], v[5:6], off offset:2048
	s_waitcnt vmcnt(0)
	v_lshrrev_b32_e32 v80, 16, v1
	v_lshrrev_b32_e32 v82, 16, v2
	;; [unrolled: 1-line block ×4, first 2 shown]
	s_and_saveexec_b32 s8, vcc_lo
	s_cbranch_execz .LBB195_199
; %bb.198:                              ;   in Loop: Header=BB195_29 Depth=1
	v_cmp_gt_i32_e64 s0, s28, v40
	s_delay_alu instid0(VALU_DEP_1) | instskip(SKIP_1) | instid1(VALU_DEP_1)
	v_cndmask_b32_e64 v1, 0, v1, s0
	v_cmp_gt_i32_e64 s0, s28, v46
	v_cndmask_b32_e64 v80, 0, v80, s0
	v_cmp_gt_i32_e64 s0, s28, v44
	s_delay_alu instid0(VALU_DEP_1) | instskip(SKIP_1) | instid1(VALU_DEP_1)
	v_cndmask_b32_e64 v2, 0, v2, s0
	v_cmp_gt_i32_e64 s0, s28, v43
	v_cndmask_b32_e64 v82, 0, v82, s0
	;; [unrolled: 5-line block ×4, first 2 shown]
.LBB195_199:                            ;   in Loop: Header=BB195_29 Depth=1
	s_or_b32 exec_lo, exec_lo, s8
	v_lshlrev_b32_e32 v1, 16, v1
	s_delay_alu instid0(VALU_DEP_1) | instskip(NEXT) | instid1(VALU_DEP_1)
	v_mul_f32_e32 v1, v50, v1
	v_and_b32_e32 v79, 0x7f800000, v1
	s_delay_alu instid0(VALU_DEP_1) | instskip(NEXT) | instid1(VALU_DEP_1)
	v_cmp_ne_u32_e64 s0, 0x7f800000, v79
                                        ; implicit-def: $vgpr79
	s_and_saveexec_b32 s8, s0
	s_delay_alu instid0(SALU_CYCLE_1)
	s_xor_b32 s0, exec_lo, s8
; %bb.200:                              ;   in Loop: Header=BB195_29 Depth=1
	v_bfe_u32 v79, v1, 16, 1
	s_delay_alu instid0(VALU_DEP_1)
	v_add3_u32 v79, v1, v79, 0x7fff
                                        ; implicit-def: $vgpr1
; %bb.201:                              ;   in Loop: Header=BB195_29 Depth=1
	s_and_not1_saveexec_b32 s8, s0
; %bb.202:                              ;   in Loop: Header=BB195_29 Depth=1
	v_and_b32_e32 v79, 0xffff, v1
	v_or_b32_e32 v81, 0x10000, v1
	s_delay_alu instid0(VALU_DEP_2) | instskip(NEXT) | instid1(VALU_DEP_1)
	v_cmp_eq_u32_e64 s0, 0, v79
	v_cndmask_b32_e64 v79, v81, v1, s0
; %bb.203:                              ;   in Loop: Header=BB195_29 Depth=1
	s_or_b32 exec_lo, exec_lo, s8
	v_lshlrev_b32_e32 v1, 16, v80
	s_delay_alu instid0(VALU_DEP_1) | instskip(NEXT) | instid1(VALU_DEP_1)
	v_mul_f32_e32 v1, v51, v1
	v_and_b32_e32 v80, 0x7f800000, v1
	s_delay_alu instid0(VALU_DEP_1) | instskip(NEXT) | instid1(VALU_DEP_1)
	v_cmp_ne_u32_e64 s0, 0x7f800000, v80
                                        ; implicit-def: $vgpr80
	s_and_saveexec_b32 s8, s0
	s_delay_alu instid0(SALU_CYCLE_1)
	s_xor_b32 s0, exec_lo, s8
; %bb.204:                              ;   in Loop: Header=BB195_29 Depth=1
	v_bfe_u32 v80, v1, 16, 1
	s_delay_alu instid0(VALU_DEP_1)
	v_add3_u32 v80, v1, v80, 0x7fff
                                        ; implicit-def: $vgpr1
; %bb.205:                              ;   in Loop: Header=BB195_29 Depth=1
	s_and_not1_saveexec_b32 s8, s0
; %bb.206:                              ;   in Loop: Header=BB195_29 Depth=1
	v_and_b32_e32 v80, 0xffff, v1
	v_or_b32_e32 v81, 0x10000, v1
	s_delay_alu instid0(VALU_DEP_2) | instskip(NEXT) | instid1(VALU_DEP_1)
	v_cmp_eq_u32_e64 s0, 0, v80
	v_cndmask_b32_e64 v80, v81, v1, s0
; %bb.207:                              ;   in Loop: Header=BB195_29 Depth=1
	s_or_b32 exec_lo, exec_lo, s8
	v_lshlrev_b32_e32 v1, 16, v2
                                        ; implicit-def: $vgpr81
	s_delay_alu instid0(VALU_DEP_1) | instskip(NEXT) | instid1(VALU_DEP_1)
	v_mul_f32_e32 v1, v52, v1
	v_and_b32_e32 v2, 0x7f800000, v1
	s_delay_alu instid0(VALU_DEP_1) | instskip(NEXT) | instid1(VALU_DEP_1)
	v_cmp_ne_u32_e64 s0, 0x7f800000, v2
	s_and_saveexec_b32 s8, s0
	s_delay_alu instid0(SALU_CYCLE_1)
	s_xor_b32 s0, exec_lo, s8
; %bb.208:                              ;   in Loop: Header=BB195_29 Depth=1
	v_bfe_u32 v2, v1, 16, 1
	s_delay_alu instid0(VALU_DEP_1)
	v_add3_u32 v81, v1, v2, 0x7fff
                                        ; implicit-def: $vgpr1
; %bb.209:                              ;   in Loop: Header=BB195_29 Depth=1
	s_and_not1_saveexec_b32 s8, s0
; %bb.210:                              ;   in Loop: Header=BB195_29 Depth=1
	v_and_b32_e32 v2, 0xffff, v1
	v_or_b32_e32 v81, 0x10000, v1
	s_delay_alu instid0(VALU_DEP_2) | instskip(NEXT) | instid1(VALU_DEP_1)
	v_cmp_eq_u32_e64 s0, 0, v2
	v_cndmask_b32_e64 v81, v81, v1, s0
; %bb.211:                              ;   in Loop: Header=BB195_29 Depth=1
	s_or_b32 exec_lo, exec_lo, s8
	v_lshlrev_b32_e32 v1, 16, v82
                                        ; implicit-def: $vgpr82
	s_delay_alu instid0(VALU_DEP_1) | instskip(NEXT) | instid1(VALU_DEP_1)
	v_mul_f32_e32 v1, v53, v1
	v_and_b32_e32 v2, 0x7f800000, v1
	s_delay_alu instid0(VALU_DEP_1) | instskip(NEXT) | instid1(VALU_DEP_1)
	v_cmp_ne_u32_e64 s0, 0x7f800000, v2
	s_and_saveexec_b32 s8, s0
	s_delay_alu instid0(SALU_CYCLE_1)
	s_xor_b32 s0, exec_lo, s8
; %bb.212:                              ;   in Loop: Header=BB195_29 Depth=1
	v_bfe_u32 v2, v1, 16, 1
	s_delay_alu instid0(VALU_DEP_1)
	v_add3_u32 v82, v1, v2, 0x7fff
                                        ; implicit-def: $vgpr1
; %bb.213:                              ;   in Loop: Header=BB195_29 Depth=1
	s_and_not1_saveexec_b32 s8, s0
; %bb.214:                              ;   in Loop: Header=BB195_29 Depth=1
	v_and_b32_e32 v2, 0xffff, v1
	v_or_b32_e32 v82, 0x10000, v1
	s_delay_alu instid0(VALU_DEP_2) | instskip(NEXT) | instid1(VALU_DEP_1)
	v_cmp_eq_u32_e64 s0, 0, v2
	v_cndmask_b32_e64 v82, v82, v1, s0
; %bb.215:                              ;   in Loop: Header=BB195_29 Depth=1
	s_or_b32 exec_lo, exec_lo, s8
	v_lshlrev_b32_e32 v1, 16, v3
                                        ; implicit-def: $vgpr83
	s_delay_alu instid0(VALU_DEP_1) | instskip(NEXT) | instid1(VALU_DEP_1)
	v_mul_f32_e32 v1, v54, v1
	v_and_b32_e32 v2, 0x7f800000, v1
	s_delay_alu instid0(VALU_DEP_1) | instskip(NEXT) | instid1(VALU_DEP_1)
	v_cmp_ne_u32_e64 s0, 0x7f800000, v2
	s_and_saveexec_b32 s8, s0
	s_delay_alu instid0(SALU_CYCLE_1)
	s_xor_b32 s0, exec_lo, s8
; %bb.216:                              ;   in Loop: Header=BB195_29 Depth=1
	v_bfe_u32 v2, v1, 16, 1
	s_delay_alu instid0(VALU_DEP_1)
	v_add3_u32 v83, v1, v2, 0x7fff
                                        ; implicit-def: $vgpr1
; %bb.217:                              ;   in Loop: Header=BB195_29 Depth=1
	s_and_not1_saveexec_b32 s8, s0
; %bb.218:                              ;   in Loop: Header=BB195_29 Depth=1
	v_and_b32_e32 v2, 0xffff, v1
	v_or_b32_e32 v3, 0x10000, v1
	s_delay_alu instid0(VALU_DEP_2) | instskip(NEXT) | instid1(VALU_DEP_1)
	v_cmp_eq_u32_e64 s0, 0, v2
	v_cndmask_b32_e64 v83, v3, v1, s0
; %bb.219:                              ;   in Loop: Header=BB195_29 Depth=1
	s_or_b32 exec_lo, exec_lo, s8
	v_lshlrev_b32_e32 v1, 16, v84
                                        ; implicit-def: $vgpr84
	s_delay_alu instid0(VALU_DEP_1) | instskip(NEXT) | instid1(VALU_DEP_1)
	v_mul_f32_e32 v1, v55, v1
	v_and_b32_e32 v2, 0x7f800000, v1
	s_delay_alu instid0(VALU_DEP_1) | instskip(NEXT) | instid1(VALU_DEP_1)
	v_cmp_ne_u32_e64 s0, 0x7f800000, v2
	s_and_saveexec_b32 s8, s0
	s_delay_alu instid0(SALU_CYCLE_1)
	s_xor_b32 s0, exec_lo, s8
; %bb.220:                              ;   in Loop: Header=BB195_29 Depth=1
	v_bfe_u32 v2, v1, 16, 1
	s_delay_alu instid0(VALU_DEP_1)
	v_add3_u32 v84, v1, v2, 0x7fff
                                        ; implicit-def: $vgpr1
; %bb.221:                              ;   in Loop: Header=BB195_29 Depth=1
	s_and_not1_saveexec_b32 s8, s0
; %bb.222:                              ;   in Loop: Header=BB195_29 Depth=1
	v_and_b32_e32 v2, 0xffff, v1
	v_or_b32_e32 v3, 0x10000, v1
	s_delay_alu instid0(VALU_DEP_2) | instskip(NEXT) | instid1(VALU_DEP_1)
	v_cmp_eq_u32_e64 s0, 0, v2
	v_cndmask_b32_e64 v84, v3, v1, s0
; %bb.223:                              ;   in Loop: Header=BB195_29 Depth=1
	s_or_b32 exec_lo, exec_lo, s8
	v_lshlrev_b32_e32 v1, 16, v4
                                        ; implicit-def: $vgpr85
	s_delay_alu instid0(VALU_DEP_1) | instskip(NEXT) | instid1(VALU_DEP_1)
	v_mul_f32_e32 v1, v56, v1
	v_and_b32_e32 v2, 0x7f800000, v1
	s_delay_alu instid0(VALU_DEP_1) | instskip(NEXT) | instid1(VALU_DEP_1)
	v_cmp_ne_u32_e64 s0, 0x7f800000, v2
	s_and_saveexec_b32 s8, s0
	s_delay_alu instid0(SALU_CYCLE_1)
	s_xor_b32 s0, exec_lo, s8
; %bb.224:                              ;   in Loop: Header=BB195_29 Depth=1
	v_bfe_u32 v2, v1, 16, 1
	s_delay_alu instid0(VALU_DEP_1)
	v_add3_u32 v85, v1, v2, 0x7fff
                                        ; implicit-def: $vgpr1
; %bb.225:                              ;   in Loop: Header=BB195_29 Depth=1
	s_and_not1_saveexec_b32 s8, s0
; %bb.226:                              ;   in Loop: Header=BB195_29 Depth=1
	v_and_b32_e32 v2, 0xffff, v1
	v_or_b32_e32 v3, 0x10000, v1
	s_delay_alu instid0(VALU_DEP_2) | instskip(NEXT) | instid1(VALU_DEP_1)
	v_cmp_eq_u32_e64 s0, 0, v2
	v_cndmask_b32_e64 v85, v3, v1, s0
; %bb.227:                              ;   in Loop: Header=BB195_29 Depth=1
	s_or_b32 exec_lo, exec_lo, s8
	v_lshlrev_b32_e32 v1, 16, v86
                                        ; implicit-def: $vgpr86
	s_delay_alu instid0(VALU_DEP_1) | instskip(NEXT) | instid1(VALU_DEP_1)
	v_mul_f32_e32 v1, v57, v1
	v_and_b32_e32 v2, 0x7f800000, v1
	s_delay_alu instid0(VALU_DEP_1) | instskip(NEXT) | instid1(VALU_DEP_1)
	v_cmp_ne_u32_e64 s0, 0x7f800000, v2
	s_and_saveexec_b32 s8, s0
	s_delay_alu instid0(SALU_CYCLE_1)
	s_xor_b32 s0, exec_lo, s8
; %bb.228:                              ;   in Loop: Header=BB195_29 Depth=1
	v_bfe_u32 v2, v1, 16, 1
	s_delay_alu instid0(VALU_DEP_1)
	v_add3_u32 v86, v1, v2, 0x7fff
                                        ; implicit-def: $vgpr1
; %bb.229:                              ;   in Loop: Header=BB195_29 Depth=1
	s_and_not1_saveexec_b32 s8, s0
; %bb.230:                              ;   in Loop: Header=BB195_29 Depth=1
	v_and_b32_e32 v2, 0xffff, v1
	v_or_b32_e32 v3, 0x10000, v1
	s_delay_alu instid0(VALU_DEP_2) | instskip(NEXT) | instid1(VALU_DEP_1)
	v_cmp_eq_u32_e64 s0, 0, v2
	v_cndmask_b32_e64 v86, v3, v1, s0
; %bb.231:                              ;   in Loop: Header=BB195_29 Depth=1
	s_or_b32 exec_lo, exec_lo, s8
	global_load_b128 v[1:4], v[5:6], off offset:2560
	s_waitcnt vmcnt(0)
	v_lshrrev_b32_e32 v88, 16, v1
	v_lshrrev_b32_e32 v90, 16, v2
	;; [unrolled: 1-line block ×4, first 2 shown]
	s_and_saveexec_b32 s8, vcc_lo
	s_cbranch_execz .LBB195_233
; %bb.232:                              ;   in Loop: Header=BB195_29 Depth=1
	v_cmp_gt_i32_e64 s0, s28, v40
	s_delay_alu instid0(VALU_DEP_1) | instskip(SKIP_1) | instid1(VALU_DEP_1)
	v_cndmask_b32_e64 v1, 0, v1, s0
	v_cmp_gt_i32_e64 s0, s28, v46
	v_cndmask_b32_e64 v88, 0, v88, s0
	v_cmp_gt_i32_e64 s0, s28, v44
	s_delay_alu instid0(VALU_DEP_1) | instskip(SKIP_1) | instid1(VALU_DEP_1)
	v_cndmask_b32_e64 v2, 0, v2, s0
	v_cmp_gt_i32_e64 s0, s28, v43
	v_cndmask_b32_e64 v90, 0, v90, s0
	;; [unrolled: 5-line block ×4, first 2 shown]
.LBB195_233:                            ;   in Loop: Header=BB195_29 Depth=1
	s_or_b32 exec_lo, exec_lo, s8
	v_lshlrev_b32_e32 v1, 16, v1
	s_delay_alu instid0(VALU_DEP_1) | instskip(NEXT) | instid1(VALU_DEP_1)
	v_mul_f32_e32 v1, v50, v1
	v_and_b32_e32 v87, 0x7f800000, v1
	s_delay_alu instid0(VALU_DEP_1) | instskip(NEXT) | instid1(VALU_DEP_1)
	v_cmp_ne_u32_e64 s0, 0x7f800000, v87
                                        ; implicit-def: $vgpr87
	s_and_saveexec_b32 s8, s0
	s_delay_alu instid0(SALU_CYCLE_1)
	s_xor_b32 s0, exec_lo, s8
; %bb.234:                              ;   in Loop: Header=BB195_29 Depth=1
	v_bfe_u32 v87, v1, 16, 1
	s_delay_alu instid0(VALU_DEP_1)
	v_add3_u32 v87, v1, v87, 0x7fff
                                        ; implicit-def: $vgpr1
; %bb.235:                              ;   in Loop: Header=BB195_29 Depth=1
	s_and_not1_saveexec_b32 s8, s0
; %bb.236:                              ;   in Loop: Header=BB195_29 Depth=1
	v_and_b32_e32 v87, 0xffff, v1
	v_or_b32_e32 v89, 0x10000, v1
	s_delay_alu instid0(VALU_DEP_2) | instskip(NEXT) | instid1(VALU_DEP_1)
	v_cmp_eq_u32_e64 s0, 0, v87
	v_cndmask_b32_e64 v87, v89, v1, s0
; %bb.237:                              ;   in Loop: Header=BB195_29 Depth=1
	s_or_b32 exec_lo, exec_lo, s8
	v_lshlrev_b32_e32 v1, 16, v88
	s_delay_alu instid0(VALU_DEP_1) | instskip(NEXT) | instid1(VALU_DEP_1)
	v_mul_f32_e32 v1, v51, v1
	v_and_b32_e32 v88, 0x7f800000, v1
	s_delay_alu instid0(VALU_DEP_1) | instskip(NEXT) | instid1(VALU_DEP_1)
	v_cmp_ne_u32_e64 s0, 0x7f800000, v88
                                        ; implicit-def: $vgpr88
	s_and_saveexec_b32 s8, s0
	s_delay_alu instid0(SALU_CYCLE_1)
	s_xor_b32 s0, exec_lo, s8
; %bb.238:                              ;   in Loop: Header=BB195_29 Depth=1
	v_bfe_u32 v88, v1, 16, 1
	s_delay_alu instid0(VALU_DEP_1)
	v_add3_u32 v88, v1, v88, 0x7fff
                                        ; implicit-def: $vgpr1
; %bb.239:                              ;   in Loop: Header=BB195_29 Depth=1
	s_and_not1_saveexec_b32 s8, s0
; %bb.240:                              ;   in Loop: Header=BB195_29 Depth=1
	v_and_b32_e32 v88, 0xffff, v1
	v_or_b32_e32 v89, 0x10000, v1
	s_delay_alu instid0(VALU_DEP_2) | instskip(NEXT) | instid1(VALU_DEP_1)
	v_cmp_eq_u32_e64 s0, 0, v88
	v_cndmask_b32_e64 v88, v89, v1, s0
; %bb.241:                              ;   in Loop: Header=BB195_29 Depth=1
	s_or_b32 exec_lo, exec_lo, s8
	v_lshlrev_b32_e32 v1, 16, v2
                                        ; implicit-def: $vgpr89
	s_delay_alu instid0(VALU_DEP_1) | instskip(NEXT) | instid1(VALU_DEP_1)
	v_mul_f32_e32 v1, v52, v1
	v_and_b32_e32 v2, 0x7f800000, v1
	s_delay_alu instid0(VALU_DEP_1) | instskip(NEXT) | instid1(VALU_DEP_1)
	v_cmp_ne_u32_e64 s0, 0x7f800000, v2
	s_and_saveexec_b32 s8, s0
	s_delay_alu instid0(SALU_CYCLE_1)
	s_xor_b32 s0, exec_lo, s8
; %bb.242:                              ;   in Loop: Header=BB195_29 Depth=1
	v_bfe_u32 v2, v1, 16, 1
	s_delay_alu instid0(VALU_DEP_1)
	v_add3_u32 v89, v1, v2, 0x7fff
                                        ; implicit-def: $vgpr1
; %bb.243:                              ;   in Loop: Header=BB195_29 Depth=1
	s_and_not1_saveexec_b32 s8, s0
; %bb.244:                              ;   in Loop: Header=BB195_29 Depth=1
	v_and_b32_e32 v2, 0xffff, v1
	v_or_b32_e32 v89, 0x10000, v1
	s_delay_alu instid0(VALU_DEP_2) | instskip(NEXT) | instid1(VALU_DEP_1)
	v_cmp_eq_u32_e64 s0, 0, v2
	v_cndmask_b32_e64 v89, v89, v1, s0
; %bb.245:                              ;   in Loop: Header=BB195_29 Depth=1
	s_or_b32 exec_lo, exec_lo, s8
	v_lshlrev_b32_e32 v1, 16, v90
                                        ; implicit-def: $vgpr90
	s_delay_alu instid0(VALU_DEP_1) | instskip(NEXT) | instid1(VALU_DEP_1)
	v_mul_f32_e32 v1, v53, v1
	v_and_b32_e32 v2, 0x7f800000, v1
	s_delay_alu instid0(VALU_DEP_1) | instskip(NEXT) | instid1(VALU_DEP_1)
	v_cmp_ne_u32_e64 s0, 0x7f800000, v2
	s_and_saveexec_b32 s8, s0
	s_delay_alu instid0(SALU_CYCLE_1)
	s_xor_b32 s0, exec_lo, s8
; %bb.246:                              ;   in Loop: Header=BB195_29 Depth=1
	v_bfe_u32 v2, v1, 16, 1
	s_delay_alu instid0(VALU_DEP_1)
	v_add3_u32 v90, v1, v2, 0x7fff
                                        ; implicit-def: $vgpr1
; %bb.247:                              ;   in Loop: Header=BB195_29 Depth=1
	s_and_not1_saveexec_b32 s8, s0
; %bb.248:                              ;   in Loop: Header=BB195_29 Depth=1
	v_and_b32_e32 v2, 0xffff, v1
	v_or_b32_e32 v90, 0x10000, v1
	s_delay_alu instid0(VALU_DEP_2) | instskip(NEXT) | instid1(VALU_DEP_1)
	v_cmp_eq_u32_e64 s0, 0, v2
	v_cndmask_b32_e64 v90, v90, v1, s0
; %bb.249:                              ;   in Loop: Header=BB195_29 Depth=1
	s_or_b32 exec_lo, exec_lo, s8
	v_lshlrev_b32_e32 v1, 16, v3
                                        ; implicit-def: $vgpr91
	s_delay_alu instid0(VALU_DEP_1) | instskip(NEXT) | instid1(VALU_DEP_1)
	v_mul_f32_e32 v1, v54, v1
	v_and_b32_e32 v2, 0x7f800000, v1
	s_delay_alu instid0(VALU_DEP_1) | instskip(NEXT) | instid1(VALU_DEP_1)
	v_cmp_ne_u32_e64 s0, 0x7f800000, v2
	s_and_saveexec_b32 s8, s0
	s_delay_alu instid0(SALU_CYCLE_1)
	s_xor_b32 s0, exec_lo, s8
; %bb.250:                              ;   in Loop: Header=BB195_29 Depth=1
	v_bfe_u32 v2, v1, 16, 1
	s_delay_alu instid0(VALU_DEP_1)
	v_add3_u32 v91, v1, v2, 0x7fff
                                        ; implicit-def: $vgpr1
; %bb.251:                              ;   in Loop: Header=BB195_29 Depth=1
	s_and_not1_saveexec_b32 s8, s0
; %bb.252:                              ;   in Loop: Header=BB195_29 Depth=1
	v_and_b32_e32 v2, 0xffff, v1
	v_or_b32_e32 v3, 0x10000, v1
	s_delay_alu instid0(VALU_DEP_2) | instskip(NEXT) | instid1(VALU_DEP_1)
	v_cmp_eq_u32_e64 s0, 0, v2
	v_cndmask_b32_e64 v91, v3, v1, s0
; %bb.253:                              ;   in Loop: Header=BB195_29 Depth=1
	s_or_b32 exec_lo, exec_lo, s8
	v_lshlrev_b32_e32 v1, 16, v92
                                        ; implicit-def: $vgpr92
	s_delay_alu instid0(VALU_DEP_1) | instskip(NEXT) | instid1(VALU_DEP_1)
	v_mul_f32_e32 v1, v55, v1
	v_and_b32_e32 v2, 0x7f800000, v1
	s_delay_alu instid0(VALU_DEP_1) | instskip(NEXT) | instid1(VALU_DEP_1)
	v_cmp_ne_u32_e64 s0, 0x7f800000, v2
	s_and_saveexec_b32 s8, s0
	s_delay_alu instid0(SALU_CYCLE_1)
	s_xor_b32 s0, exec_lo, s8
; %bb.254:                              ;   in Loop: Header=BB195_29 Depth=1
	v_bfe_u32 v2, v1, 16, 1
	s_delay_alu instid0(VALU_DEP_1)
	v_add3_u32 v92, v1, v2, 0x7fff
                                        ; implicit-def: $vgpr1
; %bb.255:                              ;   in Loop: Header=BB195_29 Depth=1
	s_and_not1_saveexec_b32 s8, s0
; %bb.256:                              ;   in Loop: Header=BB195_29 Depth=1
	v_and_b32_e32 v2, 0xffff, v1
	v_or_b32_e32 v3, 0x10000, v1
	s_delay_alu instid0(VALU_DEP_2) | instskip(NEXT) | instid1(VALU_DEP_1)
	v_cmp_eq_u32_e64 s0, 0, v2
	v_cndmask_b32_e64 v92, v3, v1, s0
; %bb.257:                              ;   in Loop: Header=BB195_29 Depth=1
	s_or_b32 exec_lo, exec_lo, s8
	v_lshlrev_b32_e32 v1, 16, v4
                                        ; implicit-def: $vgpr93
	s_delay_alu instid0(VALU_DEP_1) | instskip(NEXT) | instid1(VALU_DEP_1)
	v_mul_f32_e32 v1, v56, v1
	v_and_b32_e32 v2, 0x7f800000, v1
	s_delay_alu instid0(VALU_DEP_1) | instskip(NEXT) | instid1(VALU_DEP_1)
	v_cmp_ne_u32_e64 s0, 0x7f800000, v2
	s_and_saveexec_b32 s8, s0
	s_delay_alu instid0(SALU_CYCLE_1)
	s_xor_b32 s0, exec_lo, s8
; %bb.258:                              ;   in Loop: Header=BB195_29 Depth=1
	v_bfe_u32 v2, v1, 16, 1
	s_delay_alu instid0(VALU_DEP_1)
	v_add3_u32 v93, v1, v2, 0x7fff
                                        ; implicit-def: $vgpr1
; %bb.259:                              ;   in Loop: Header=BB195_29 Depth=1
	s_and_not1_saveexec_b32 s8, s0
; %bb.260:                              ;   in Loop: Header=BB195_29 Depth=1
	v_and_b32_e32 v2, 0xffff, v1
	v_or_b32_e32 v3, 0x10000, v1
	s_delay_alu instid0(VALU_DEP_2) | instskip(NEXT) | instid1(VALU_DEP_1)
	v_cmp_eq_u32_e64 s0, 0, v2
	v_cndmask_b32_e64 v93, v3, v1, s0
; %bb.261:                              ;   in Loop: Header=BB195_29 Depth=1
	s_or_b32 exec_lo, exec_lo, s8
	v_lshlrev_b32_e32 v1, 16, v94
                                        ; implicit-def: $vgpr94
	s_delay_alu instid0(VALU_DEP_1) | instskip(NEXT) | instid1(VALU_DEP_1)
	v_mul_f32_e32 v1, v57, v1
	v_and_b32_e32 v2, 0x7f800000, v1
	s_delay_alu instid0(VALU_DEP_1) | instskip(NEXT) | instid1(VALU_DEP_1)
	v_cmp_ne_u32_e64 s0, 0x7f800000, v2
	s_and_saveexec_b32 s8, s0
	s_delay_alu instid0(SALU_CYCLE_1)
	s_xor_b32 s0, exec_lo, s8
; %bb.262:                              ;   in Loop: Header=BB195_29 Depth=1
	v_bfe_u32 v2, v1, 16, 1
	s_delay_alu instid0(VALU_DEP_1)
	v_add3_u32 v94, v1, v2, 0x7fff
                                        ; implicit-def: $vgpr1
; %bb.263:                              ;   in Loop: Header=BB195_29 Depth=1
	s_and_not1_saveexec_b32 s8, s0
; %bb.264:                              ;   in Loop: Header=BB195_29 Depth=1
	v_and_b32_e32 v2, 0xffff, v1
	v_or_b32_e32 v3, 0x10000, v1
	s_delay_alu instid0(VALU_DEP_2) | instskip(NEXT) | instid1(VALU_DEP_1)
	v_cmp_eq_u32_e64 s0, 0, v2
	v_cndmask_b32_e64 v94, v3, v1, s0
; %bb.265:                              ;   in Loop: Header=BB195_29 Depth=1
	s_or_b32 exec_lo, exec_lo, s8
	global_load_b128 v[1:4], v[5:6], off offset:3072
	s_waitcnt vmcnt(0)
	v_lshrrev_b32_e32 v96, 16, v1
	v_lshrrev_b32_e32 v98, 16, v2
	;; [unrolled: 1-line block ×4, first 2 shown]
	s_and_saveexec_b32 s8, vcc_lo
	s_cbranch_execz .LBB195_267
; %bb.266:                              ;   in Loop: Header=BB195_29 Depth=1
	v_cmp_gt_i32_e64 s0, s28, v40
	s_delay_alu instid0(VALU_DEP_1) | instskip(SKIP_1) | instid1(VALU_DEP_1)
	v_cndmask_b32_e64 v1, 0, v1, s0
	v_cmp_gt_i32_e64 s0, s28, v46
	v_cndmask_b32_e64 v96, 0, v96, s0
	v_cmp_gt_i32_e64 s0, s28, v44
	s_delay_alu instid0(VALU_DEP_1) | instskip(SKIP_1) | instid1(VALU_DEP_1)
	v_cndmask_b32_e64 v2, 0, v2, s0
	v_cmp_gt_i32_e64 s0, s28, v43
	v_cndmask_b32_e64 v98, 0, v98, s0
	;; [unrolled: 5-line block ×4, first 2 shown]
.LBB195_267:                            ;   in Loop: Header=BB195_29 Depth=1
	s_or_b32 exec_lo, exec_lo, s8
	v_lshlrev_b32_e32 v1, 16, v1
	s_delay_alu instid0(VALU_DEP_1) | instskip(NEXT) | instid1(VALU_DEP_1)
	v_mul_f32_e32 v1, v50, v1
	v_and_b32_e32 v95, 0x7f800000, v1
	s_delay_alu instid0(VALU_DEP_1) | instskip(NEXT) | instid1(VALU_DEP_1)
	v_cmp_ne_u32_e64 s0, 0x7f800000, v95
                                        ; implicit-def: $vgpr95
	s_and_saveexec_b32 s8, s0
	s_delay_alu instid0(SALU_CYCLE_1)
	s_xor_b32 s0, exec_lo, s8
; %bb.268:                              ;   in Loop: Header=BB195_29 Depth=1
	v_bfe_u32 v95, v1, 16, 1
	s_delay_alu instid0(VALU_DEP_1)
	v_add3_u32 v95, v1, v95, 0x7fff
                                        ; implicit-def: $vgpr1
; %bb.269:                              ;   in Loop: Header=BB195_29 Depth=1
	s_and_not1_saveexec_b32 s8, s0
; %bb.270:                              ;   in Loop: Header=BB195_29 Depth=1
	v_and_b32_e32 v95, 0xffff, v1
	v_or_b32_e32 v97, 0x10000, v1
	s_delay_alu instid0(VALU_DEP_2) | instskip(NEXT) | instid1(VALU_DEP_1)
	v_cmp_eq_u32_e64 s0, 0, v95
	v_cndmask_b32_e64 v95, v97, v1, s0
; %bb.271:                              ;   in Loop: Header=BB195_29 Depth=1
	s_or_b32 exec_lo, exec_lo, s8
	v_lshlrev_b32_e32 v1, 16, v96
	s_delay_alu instid0(VALU_DEP_1) | instskip(NEXT) | instid1(VALU_DEP_1)
	v_mul_f32_e32 v1, v51, v1
	v_and_b32_e32 v96, 0x7f800000, v1
	s_delay_alu instid0(VALU_DEP_1) | instskip(NEXT) | instid1(VALU_DEP_1)
	v_cmp_ne_u32_e64 s0, 0x7f800000, v96
                                        ; implicit-def: $vgpr96
	s_and_saveexec_b32 s8, s0
	s_delay_alu instid0(SALU_CYCLE_1)
	s_xor_b32 s0, exec_lo, s8
; %bb.272:                              ;   in Loop: Header=BB195_29 Depth=1
	v_bfe_u32 v96, v1, 16, 1
	s_delay_alu instid0(VALU_DEP_1)
	v_add3_u32 v96, v1, v96, 0x7fff
                                        ; implicit-def: $vgpr1
; %bb.273:                              ;   in Loop: Header=BB195_29 Depth=1
	s_and_not1_saveexec_b32 s8, s0
; %bb.274:                              ;   in Loop: Header=BB195_29 Depth=1
	v_and_b32_e32 v96, 0xffff, v1
	v_or_b32_e32 v97, 0x10000, v1
	s_delay_alu instid0(VALU_DEP_2) | instskip(NEXT) | instid1(VALU_DEP_1)
	v_cmp_eq_u32_e64 s0, 0, v96
	v_cndmask_b32_e64 v96, v97, v1, s0
; %bb.275:                              ;   in Loop: Header=BB195_29 Depth=1
	s_or_b32 exec_lo, exec_lo, s8
	v_lshlrev_b32_e32 v1, 16, v2
                                        ; implicit-def: $vgpr97
	s_delay_alu instid0(VALU_DEP_1) | instskip(NEXT) | instid1(VALU_DEP_1)
	v_mul_f32_e32 v1, v52, v1
	v_and_b32_e32 v2, 0x7f800000, v1
	s_delay_alu instid0(VALU_DEP_1) | instskip(NEXT) | instid1(VALU_DEP_1)
	v_cmp_ne_u32_e64 s0, 0x7f800000, v2
	s_and_saveexec_b32 s8, s0
	s_delay_alu instid0(SALU_CYCLE_1)
	s_xor_b32 s0, exec_lo, s8
; %bb.276:                              ;   in Loop: Header=BB195_29 Depth=1
	v_bfe_u32 v2, v1, 16, 1
	s_delay_alu instid0(VALU_DEP_1)
	v_add3_u32 v97, v1, v2, 0x7fff
                                        ; implicit-def: $vgpr1
; %bb.277:                              ;   in Loop: Header=BB195_29 Depth=1
	s_and_not1_saveexec_b32 s8, s0
; %bb.278:                              ;   in Loop: Header=BB195_29 Depth=1
	v_and_b32_e32 v2, 0xffff, v1
	v_or_b32_e32 v97, 0x10000, v1
	s_delay_alu instid0(VALU_DEP_2) | instskip(NEXT) | instid1(VALU_DEP_1)
	v_cmp_eq_u32_e64 s0, 0, v2
	v_cndmask_b32_e64 v97, v97, v1, s0
; %bb.279:                              ;   in Loop: Header=BB195_29 Depth=1
	s_or_b32 exec_lo, exec_lo, s8
	v_lshlrev_b32_e32 v1, 16, v98
                                        ; implicit-def: $vgpr98
	s_delay_alu instid0(VALU_DEP_1) | instskip(NEXT) | instid1(VALU_DEP_1)
	v_mul_f32_e32 v1, v53, v1
	v_and_b32_e32 v2, 0x7f800000, v1
	s_delay_alu instid0(VALU_DEP_1) | instskip(NEXT) | instid1(VALU_DEP_1)
	v_cmp_ne_u32_e64 s0, 0x7f800000, v2
	s_and_saveexec_b32 s8, s0
	s_delay_alu instid0(SALU_CYCLE_1)
	s_xor_b32 s0, exec_lo, s8
; %bb.280:                              ;   in Loop: Header=BB195_29 Depth=1
	v_bfe_u32 v2, v1, 16, 1
	s_delay_alu instid0(VALU_DEP_1)
	v_add3_u32 v98, v1, v2, 0x7fff
                                        ; implicit-def: $vgpr1
; %bb.281:                              ;   in Loop: Header=BB195_29 Depth=1
	s_and_not1_saveexec_b32 s8, s0
; %bb.282:                              ;   in Loop: Header=BB195_29 Depth=1
	v_and_b32_e32 v2, 0xffff, v1
	v_or_b32_e32 v98, 0x10000, v1
	s_delay_alu instid0(VALU_DEP_2) | instskip(NEXT) | instid1(VALU_DEP_1)
	v_cmp_eq_u32_e64 s0, 0, v2
	v_cndmask_b32_e64 v98, v98, v1, s0
; %bb.283:                              ;   in Loop: Header=BB195_29 Depth=1
	s_or_b32 exec_lo, exec_lo, s8
	v_lshlrev_b32_e32 v1, 16, v3
                                        ; implicit-def: $vgpr99
	s_delay_alu instid0(VALU_DEP_1) | instskip(NEXT) | instid1(VALU_DEP_1)
	v_mul_f32_e32 v1, v54, v1
	v_and_b32_e32 v2, 0x7f800000, v1
	s_delay_alu instid0(VALU_DEP_1) | instskip(NEXT) | instid1(VALU_DEP_1)
	v_cmp_ne_u32_e64 s0, 0x7f800000, v2
	s_and_saveexec_b32 s8, s0
	s_delay_alu instid0(SALU_CYCLE_1)
	s_xor_b32 s0, exec_lo, s8
; %bb.284:                              ;   in Loop: Header=BB195_29 Depth=1
	v_bfe_u32 v2, v1, 16, 1
	s_delay_alu instid0(VALU_DEP_1)
	v_add3_u32 v99, v1, v2, 0x7fff
                                        ; implicit-def: $vgpr1
; %bb.285:                              ;   in Loop: Header=BB195_29 Depth=1
	s_and_not1_saveexec_b32 s8, s0
; %bb.286:                              ;   in Loop: Header=BB195_29 Depth=1
	v_and_b32_e32 v2, 0xffff, v1
	v_or_b32_e32 v3, 0x10000, v1
	s_delay_alu instid0(VALU_DEP_2) | instskip(NEXT) | instid1(VALU_DEP_1)
	v_cmp_eq_u32_e64 s0, 0, v2
	v_cndmask_b32_e64 v99, v3, v1, s0
; %bb.287:                              ;   in Loop: Header=BB195_29 Depth=1
	s_or_b32 exec_lo, exec_lo, s8
	v_lshlrev_b32_e32 v1, 16, v100
                                        ; implicit-def: $vgpr100
	s_delay_alu instid0(VALU_DEP_1) | instskip(NEXT) | instid1(VALU_DEP_1)
	v_mul_f32_e32 v1, v55, v1
	v_and_b32_e32 v2, 0x7f800000, v1
	s_delay_alu instid0(VALU_DEP_1) | instskip(NEXT) | instid1(VALU_DEP_1)
	v_cmp_ne_u32_e64 s0, 0x7f800000, v2
	s_and_saveexec_b32 s8, s0
	s_delay_alu instid0(SALU_CYCLE_1)
	s_xor_b32 s0, exec_lo, s8
; %bb.288:                              ;   in Loop: Header=BB195_29 Depth=1
	v_bfe_u32 v2, v1, 16, 1
	s_delay_alu instid0(VALU_DEP_1)
	v_add3_u32 v100, v1, v2, 0x7fff
                                        ; implicit-def: $vgpr1
; %bb.289:                              ;   in Loop: Header=BB195_29 Depth=1
	s_and_not1_saveexec_b32 s8, s0
; %bb.290:                              ;   in Loop: Header=BB195_29 Depth=1
	v_and_b32_e32 v2, 0xffff, v1
	v_or_b32_e32 v3, 0x10000, v1
	s_delay_alu instid0(VALU_DEP_2) | instskip(NEXT) | instid1(VALU_DEP_1)
	v_cmp_eq_u32_e64 s0, 0, v2
	v_cndmask_b32_e64 v100, v3, v1, s0
; %bb.291:                              ;   in Loop: Header=BB195_29 Depth=1
	s_or_b32 exec_lo, exec_lo, s8
	v_lshlrev_b32_e32 v1, 16, v4
                                        ; implicit-def: $vgpr101
	s_delay_alu instid0(VALU_DEP_1) | instskip(NEXT) | instid1(VALU_DEP_1)
	v_mul_f32_e32 v1, v56, v1
	v_and_b32_e32 v2, 0x7f800000, v1
	s_delay_alu instid0(VALU_DEP_1) | instskip(NEXT) | instid1(VALU_DEP_1)
	v_cmp_ne_u32_e64 s0, 0x7f800000, v2
	s_and_saveexec_b32 s8, s0
	s_delay_alu instid0(SALU_CYCLE_1)
	s_xor_b32 s0, exec_lo, s8
; %bb.292:                              ;   in Loop: Header=BB195_29 Depth=1
	v_bfe_u32 v2, v1, 16, 1
	s_delay_alu instid0(VALU_DEP_1)
	v_add3_u32 v101, v1, v2, 0x7fff
                                        ; implicit-def: $vgpr1
; %bb.293:                              ;   in Loop: Header=BB195_29 Depth=1
	s_and_not1_saveexec_b32 s8, s0
; %bb.294:                              ;   in Loop: Header=BB195_29 Depth=1
	v_and_b32_e32 v2, 0xffff, v1
	v_or_b32_e32 v3, 0x10000, v1
	s_delay_alu instid0(VALU_DEP_2) | instskip(NEXT) | instid1(VALU_DEP_1)
	v_cmp_eq_u32_e64 s0, 0, v2
	v_cndmask_b32_e64 v101, v3, v1, s0
; %bb.295:                              ;   in Loop: Header=BB195_29 Depth=1
	s_or_b32 exec_lo, exec_lo, s8
	v_lshlrev_b32_e32 v1, 16, v102
                                        ; implicit-def: $vgpr102
	s_delay_alu instid0(VALU_DEP_1) | instskip(NEXT) | instid1(VALU_DEP_1)
	v_mul_f32_e32 v1, v57, v1
	v_and_b32_e32 v2, 0x7f800000, v1
	s_delay_alu instid0(VALU_DEP_1) | instskip(NEXT) | instid1(VALU_DEP_1)
	v_cmp_ne_u32_e64 s0, 0x7f800000, v2
	s_and_saveexec_b32 s8, s0
	s_delay_alu instid0(SALU_CYCLE_1)
	s_xor_b32 s0, exec_lo, s8
; %bb.296:                              ;   in Loop: Header=BB195_29 Depth=1
	v_bfe_u32 v2, v1, 16, 1
	s_delay_alu instid0(VALU_DEP_1)
	v_add3_u32 v102, v1, v2, 0x7fff
                                        ; implicit-def: $vgpr1
; %bb.297:                              ;   in Loop: Header=BB195_29 Depth=1
	s_and_not1_saveexec_b32 s8, s0
; %bb.298:                              ;   in Loop: Header=BB195_29 Depth=1
	v_and_b32_e32 v2, 0xffff, v1
	v_or_b32_e32 v3, 0x10000, v1
	s_delay_alu instid0(VALU_DEP_2) | instskip(NEXT) | instid1(VALU_DEP_1)
	v_cmp_eq_u32_e64 s0, 0, v2
	v_cndmask_b32_e64 v102, v3, v1, s0
; %bb.299:                              ;   in Loop: Header=BB195_29 Depth=1
	s_or_b32 exec_lo, exec_lo, s8
	global_load_b128 v[1:4], v[5:6], off offset:3584
	s_waitcnt vmcnt(0)
	v_lshrrev_b32_e32 v6, 16, v1
	v_lshrrev_b32_e32 v104, 16, v2
	;; [unrolled: 1-line block ×4, first 2 shown]
	s_and_saveexec_b32 s8, vcc_lo
	s_cbranch_execz .LBB195_301
; %bb.300:                              ;   in Loop: Header=BB195_29 Depth=1
	v_cmp_gt_i32_e64 s0, s28, v40
	s_delay_alu instid0(VALU_DEP_1) | instskip(SKIP_1) | instid1(VALU_DEP_1)
	v_cndmask_b32_e64 v1, 0, v1, s0
	v_cmp_gt_i32_e64 s0, s28, v46
	v_cndmask_b32_e64 v6, 0, v6, s0
	v_cmp_gt_i32_e64 s0, s28, v44
	s_delay_alu instid0(VALU_DEP_1) | instskip(SKIP_1) | instid1(VALU_DEP_1)
	v_cndmask_b32_e64 v2, 0, v2, s0
	v_cmp_gt_i32_e64 s0, s28, v43
	v_cndmask_b32_e64 v104, 0, v104, s0
	;; [unrolled: 5-line block ×4, first 2 shown]
.LBB195_301:                            ;   in Loop: Header=BB195_29 Depth=1
	s_or_b32 exec_lo, exec_lo, s8
	v_lshlrev_b32_e32 v1, 16, v1
	s_delay_alu instid0(VALU_DEP_1) | instskip(NEXT) | instid1(VALU_DEP_1)
	v_mul_f32_e32 v1, v50, v1
	v_and_b32_e32 v5, 0x7f800000, v1
	s_delay_alu instid0(VALU_DEP_1) | instskip(NEXT) | instid1(VALU_DEP_1)
	v_cmp_ne_u32_e64 s0, 0x7f800000, v5
                                        ; implicit-def: $vgpr5
	s_and_saveexec_b32 s8, s0
	s_delay_alu instid0(SALU_CYCLE_1)
	s_xor_b32 s0, exec_lo, s8
; %bb.302:                              ;   in Loop: Header=BB195_29 Depth=1
	v_bfe_u32 v5, v1, 16, 1
	s_delay_alu instid0(VALU_DEP_1)
	v_add3_u32 v5, v1, v5, 0x7fff
                                        ; implicit-def: $vgpr1
; %bb.303:                              ;   in Loop: Header=BB195_29 Depth=1
	s_and_not1_saveexec_b32 s8, s0
; %bb.304:                              ;   in Loop: Header=BB195_29 Depth=1
	v_and_b32_e32 v5, 0xffff, v1
	v_or_b32_e32 v103, 0x10000, v1
	s_delay_alu instid0(VALU_DEP_2) | instskip(NEXT) | instid1(VALU_DEP_1)
	v_cmp_eq_u32_e64 s0, 0, v5
	v_cndmask_b32_e64 v5, v103, v1, s0
; %bb.305:                              ;   in Loop: Header=BB195_29 Depth=1
	s_or_b32 exec_lo, exec_lo, s8
	v_lshlrev_b32_e32 v1, 16, v6
	s_delay_alu instid0(VALU_DEP_1) | instskip(NEXT) | instid1(VALU_DEP_1)
	v_mul_f32_e32 v1, v51, v1
	v_and_b32_e32 v6, 0x7f800000, v1
	s_delay_alu instid0(VALU_DEP_1) | instskip(NEXT) | instid1(VALU_DEP_1)
	v_cmp_ne_u32_e64 s0, 0x7f800000, v6
                                        ; implicit-def: $vgpr6
	s_and_saveexec_b32 s8, s0
	s_delay_alu instid0(SALU_CYCLE_1)
	s_xor_b32 s0, exec_lo, s8
; %bb.306:                              ;   in Loop: Header=BB195_29 Depth=1
	v_bfe_u32 v6, v1, 16, 1
	s_delay_alu instid0(VALU_DEP_1)
	v_add3_u32 v6, v1, v6, 0x7fff
                                        ; implicit-def: $vgpr1
; %bb.307:                              ;   in Loop: Header=BB195_29 Depth=1
	s_and_not1_saveexec_b32 s8, s0
; %bb.308:                              ;   in Loop: Header=BB195_29 Depth=1
	v_and_b32_e32 v6, 0xffff, v1
	v_or_b32_e32 v103, 0x10000, v1
	s_delay_alu instid0(VALU_DEP_2) | instskip(NEXT) | instid1(VALU_DEP_1)
	v_cmp_eq_u32_e64 s0, 0, v6
	v_cndmask_b32_e64 v6, v103, v1, s0
; %bb.309:                              ;   in Loop: Header=BB195_29 Depth=1
	s_or_b32 exec_lo, exec_lo, s8
	v_lshlrev_b32_e32 v1, 16, v2
                                        ; implicit-def: $vgpr103
	s_delay_alu instid0(VALU_DEP_1) | instskip(NEXT) | instid1(VALU_DEP_1)
	v_mul_f32_e32 v1, v52, v1
	v_and_b32_e32 v2, 0x7f800000, v1
	s_delay_alu instid0(VALU_DEP_1) | instskip(NEXT) | instid1(VALU_DEP_1)
	v_cmp_ne_u32_e64 s0, 0x7f800000, v2
	s_and_saveexec_b32 s8, s0
	s_delay_alu instid0(SALU_CYCLE_1)
	s_xor_b32 s0, exec_lo, s8
; %bb.310:                              ;   in Loop: Header=BB195_29 Depth=1
	v_bfe_u32 v2, v1, 16, 1
	s_delay_alu instid0(VALU_DEP_1)
	v_add3_u32 v103, v1, v2, 0x7fff
                                        ; implicit-def: $vgpr1
; %bb.311:                              ;   in Loop: Header=BB195_29 Depth=1
	s_and_not1_saveexec_b32 s8, s0
; %bb.312:                              ;   in Loop: Header=BB195_29 Depth=1
	v_and_b32_e32 v2, 0xffff, v1
	v_or_b32_e32 v103, 0x10000, v1
	s_delay_alu instid0(VALU_DEP_2) | instskip(NEXT) | instid1(VALU_DEP_1)
	v_cmp_eq_u32_e64 s0, 0, v2
	v_cndmask_b32_e64 v103, v103, v1, s0
; %bb.313:                              ;   in Loop: Header=BB195_29 Depth=1
	s_or_b32 exec_lo, exec_lo, s8
	v_lshlrev_b32_e32 v1, 16, v104
                                        ; implicit-def: $vgpr104
	s_delay_alu instid0(VALU_DEP_1) | instskip(NEXT) | instid1(VALU_DEP_1)
	v_mul_f32_e32 v1, v53, v1
	v_and_b32_e32 v2, 0x7f800000, v1
	s_delay_alu instid0(VALU_DEP_1) | instskip(NEXT) | instid1(VALU_DEP_1)
	v_cmp_ne_u32_e64 s0, 0x7f800000, v2
	s_and_saveexec_b32 s8, s0
	s_delay_alu instid0(SALU_CYCLE_1)
	s_xor_b32 s0, exec_lo, s8
; %bb.314:                              ;   in Loop: Header=BB195_29 Depth=1
	v_bfe_u32 v2, v1, 16, 1
	s_delay_alu instid0(VALU_DEP_1)
	v_add3_u32 v104, v1, v2, 0x7fff
                                        ; implicit-def: $vgpr1
; %bb.315:                              ;   in Loop: Header=BB195_29 Depth=1
	s_and_not1_saveexec_b32 s8, s0
; %bb.316:                              ;   in Loop: Header=BB195_29 Depth=1
	v_and_b32_e32 v2, 0xffff, v1
	v_or_b32_e32 v104, 0x10000, v1
	s_delay_alu instid0(VALU_DEP_2) | instskip(NEXT) | instid1(VALU_DEP_1)
	v_cmp_eq_u32_e64 s0, 0, v2
	v_cndmask_b32_e64 v104, v104, v1, s0
; %bb.317:                              ;   in Loop: Header=BB195_29 Depth=1
	s_or_b32 exec_lo, exec_lo, s8
	v_lshlrev_b32_e32 v1, 16, v3
                                        ; implicit-def: $vgpr105
	s_delay_alu instid0(VALU_DEP_1) | instskip(NEXT) | instid1(VALU_DEP_1)
	v_mul_f32_e32 v1, v54, v1
	v_and_b32_e32 v2, 0x7f800000, v1
	s_delay_alu instid0(VALU_DEP_1) | instskip(NEXT) | instid1(VALU_DEP_1)
	v_cmp_ne_u32_e64 s0, 0x7f800000, v2
	s_and_saveexec_b32 s8, s0
	s_delay_alu instid0(SALU_CYCLE_1)
	s_xor_b32 s0, exec_lo, s8
; %bb.318:                              ;   in Loop: Header=BB195_29 Depth=1
	v_bfe_u32 v2, v1, 16, 1
	s_delay_alu instid0(VALU_DEP_1)
	v_add3_u32 v105, v1, v2, 0x7fff
                                        ; implicit-def: $vgpr1
; %bb.319:                              ;   in Loop: Header=BB195_29 Depth=1
	s_and_not1_saveexec_b32 s8, s0
; %bb.320:                              ;   in Loop: Header=BB195_29 Depth=1
	v_and_b32_e32 v2, 0xffff, v1
	v_or_b32_e32 v3, 0x10000, v1
	s_delay_alu instid0(VALU_DEP_2) | instskip(NEXT) | instid1(VALU_DEP_1)
	v_cmp_eq_u32_e64 s0, 0, v2
	v_cndmask_b32_e64 v105, v3, v1, s0
; %bb.321:                              ;   in Loop: Header=BB195_29 Depth=1
	s_or_b32 exec_lo, exec_lo, s8
	v_lshlrev_b32_e32 v1, 16, v106
                                        ; implicit-def: $vgpr106
	s_delay_alu instid0(VALU_DEP_1) | instskip(NEXT) | instid1(VALU_DEP_1)
	v_mul_f32_e32 v1, v55, v1
	v_and_b32_e32 v2, 0x7f800000, v1
	s_delay_alu instid0(VALU_DEP_1) | instskip(NEXT) | instid1(VALU_DEP_1)
	v_cmp_ne_u32_e64 s0, 0x7f800000, v2
	s_and_saveexec_b32 s8, s0
	s_delay_alu instid0(SALU_CYCLE_1)
	s_xor_b32 s0, exec_lo, s8
; %bb.322:                              ;   in Loop: Header=BB195_29 Depth=1
	v_bfe_u32 v2, v1, 16, 1
	s_delay_alu instid0(VALU_DEP_1)
	v_add3_u32 v106, v1, v2, 0x7fff
                                        ; implicit-def: $vgpr1
; %bb.323:                              ;   in Loop: Header=BB195_29 Depth=1
	s_and_not1_saveexec_b32 s8, s0
; %bb.324:                              ;   in Loop: Header=BB195_29 Depth=1
	v_and_b32_e32 v2, 0xffff, v1
	v_or_b32_e32 v3, 0x10000, v1
	s_delay_alu instid0(VALU_DEP_2) | instskip(NEXT) | instid1(VALU_DEP_1)
	v_cmp_eq_u32_e64 s0, 0, v2
	v_cndmask_b32_e64 v106, v3, v1, s0
; %bb.325:                              ;   in Loop: Header=BB195_29 Depth=1
	s_or_b32 exec_lo, exec_lo, s8
	v_lshlrev_b32_e32 v1, 16, v4
                                        ; implicit-def: $vgpr107
	s_delay_alu instid0(VALU_DEP_1) | instskip(NEXT) | instid1(VALU_DEP_1)
	v_mul_f32_e32 v1, v56, v1
	v_and_b32_e32 v2, 0x7f800000, v1
	s_delay_alu instid0(VALU_DEP_1) | instskip(NEXT) | instid1(VALU_DEP_1)
	v_cmp_ne_u32_e64 s0, 0x7f800000, v2
	s_and_saveexec_b32 s8, s0
	s_delay_alu instid0(SALU_CYCLE_1)
	s_xor_b32 s0, exec_lo, s8
; %bb.326:                              ;   in Loop: Header=BB195_29 Depth=1
	v_bfe_u32 v2, v1, 16, 1
	s_delay_alu instid0(VALU_DEP_1)
	v_add3_u32 v107, v1, v2, 0x7fff
                                        ; implicit-def: $vgpr1
; %bb.327:                              ;   in Loop: Header=BB195_29 Depth=1
	s_and_not1_saveexec_b32 s8, s0
; %bb.328:                              ;   in Loop: Header=BB195_29 Depth=1
	v_and_b32_e32 v2, 0xffff, v1
	v_or_b32_e32 v3, 0x10000, v1
	s_delay_alu instid0(VALU_DEP_2) | instskip(NEXT) | instid1(VALU_DEP_1)
	v_cmp_eq_u32_e64 s0, 0, v2
	v_cndmask_b32_e64 v107, v3, v1, s0
; %bb.329:                              ;   in Loop: Header=BB195_29 Depth=1
	s_or_b32 exec_lo, exec_lo, s8
	v_lshlrev_b32_e32 v1, 16, v108
                                        ; implicit-def: $vgpr108
	s_delay_alu instid0(VALU_DEP_1) | instskip(NEXT) | instid1(VALU_DEP_1)
	v_mul_f32_e32 v1, v57, v1
	v_and_b32_e32 v2, 0x7f800000, v1
	s_delay_alu instid0(VALU_DEP_1) | instskip(NEXT) | instid1(VALU_DEP_1)
	v_cmp_ne_u32_e64 s0, 0x7f800000, v2
	s_and_saveexec_b32 s8, s0
	s_delay_alu instid0(SALU_CYCLE_1)
	s_xor_b32 s0, exec_lo, s8
; %bb.330:                              ;   in Loop: Header=BB195_29 Depth=1
	v_bfe_u32 v2, v1, 16, 1
	s_delay_alu instid0(VALU_DEP_1)
	v_add3_u32 v108, v1, v2, 0x7fff
                                        ; implicit-def: $vgpr1
; %bb.331:                              ;   in Loop: Header=BB195_29 Depth=1
	s_and_not1_saveexec_b32 s8, s0
; %bb.332:                              ;   in Loop: Header=BB195_29 Depth=1
	v_and_b32_e32 v2, 0xffff, v1
	v_or_b32_e32 v3, 0x10000, v1
	s_delay_alu instid0(VALU_DEP_2) | instskip(NEXT) | instid1(VALU_DEP_1)
	v_cmp_eq_u32_e64 s0, 0, v2
	v_cndmask_b32_e64 v108, v3, v1, s0
; %bb.333:                              ;   in Loop: Header=BB195_29 Depth=1
	s_or_b32 exec_lo, exec_lo, s8
	v_add_co_u32 v1, s0, v48, v30
	s_delay_alu instid0(VALU_DEP_1)
	v_add_co_ci_u32_e64 v2, s0, 0, v49, s0
	global_load_b128 v[1:4], v[1:2], off
	s_waitcnt vmcnt(0)
	v_lshrrev_b32_e32 v110, 16, v1
	v_lshrrev_b32_e32 v112, 16, v2
	;; [unrolled: 1-line block ×4, first 2 shown]
	s_and_saveexec_b32 s8, vcc_lo
	s_cbranch_execz .LBB195_335
; %bb.334:                              ;   in Loop: Header=BB195_29 Depth=1
	v_cmp_gt_i32_e64 s0, s28, v40
	s_delay_alu instid0(VALU_DEP_1) | instskip(SKIP_1) | instid1(VALU_DEP_1)
	v_cndmask_b32_e64 v1, 0, v1, s0
	v_cmp_gt_i32_e64 s0, s28, v46
	v_cndmask_b32_e64 v110, 0, v110, s0
	v_cmp_gt_i32_e64 s0, s28, v44
	s_delay_alu instid0(VALU_DEP_1) | instskip(SKIP_1) | instid1(VALU_DEP_1)
	v_cndmask_b32_e64 v2, 0, v2, s0
	v_cmp_gt_i32_e64 s0, s28, v43
	v_cndmask_b32_e64 v112, 0, v112, s0
	;; [unrolled: 5-line block ×4, first 2 shown]
.LBB195_335:                            ;   in Loop: Header=BB195_29 Depth=1
	s_or_b32 exec_lo, exec_lo, s8
	v_lshlrev_b32_e32 v1, 16, v1
	s_delay_alu instid0(VALU_DEP_1) | instskip(NEXT) | instid1(VALU_DEP_1)
	v_mul_f32_e32 v1, v50, v1
	v_and_b32_e32 v109, 0x7f800000, v1
	s_delay_alu instid0(VALU_DEP_1) | instskip(NEXT) | instid1(VALU_DEP_1)
	v_cmp_ne_u32_e64 s0, 0x7f800000, v109
                                        ; implicit-def: $vgpr109
	s_and_saveexec_b32 s8, s0
	s_delay_alu instid0(SALU_CYCLE_1)
	s_xor_b32 s0, exec_lo, s8
; %bb.336:                              ;   in Loop: Header=BB195_29 Depth=1
	v_bfe_u32 v109, v1, 16, 1
	s_delay_alu instid0(VALU_DEP_1)
	v_add3_u32 v109, v1, v109, 0x7fff
                                        ; implicit-def: $vgpr1
; %bb.337:                              ;   in Loop: Header=BB195_29 Depth=1
	s_and_not1_saveexec_b32 s8, s0
; %bb.338:                              ;   in Loop: Header=BB195_29 Depth=1
	v_and_b32_e32 v109, 0xffff, v1
	v_or_b32_e32 v111, 0x10000, v1
	s_delay_alu instid0(VALU_DEP_2) | instskip(NEXT) | instid1(VALU_DEP_1)
	v_cmp_eq_u32_e64 s0, 0, v109
	v_cndmask_b32_e64 v109, v111, v1, s0
; %bb.339:                              ;   in Loop: Header=BB195_29 Depth=1
	s_or_b32 exec_lo, exec_lo, s8
	v_lshlrev_b32_e32 v1, 16, v110
	s_delay_alu instid0(VALU_DEP_1) | instskip(NEXT) | instid1(VALU_DEP_1)
	v_mul_f32_e32 v1, v51, v1
	v_and_b32_e32 v110, 0x7f800000, v1
	s_delay_alu instid0(VALU_DEP_1) | instskip(NEXT) | instid1(VALU_DEP_1)
	v_cmp_ne_u32_e64 s0, 0x7f800000, v110
                                        ; implicit-def: $vgpr110
	s_and_saveexec_b32 s8, s0
	s_delay_alu instid0(SALU_CYCLE_1)
	s_xor_b32 s0, exec_lo, s8
; %bb.340:                              ;   in Loop: Header=BB195_29 Depth=1
	v_bfe_u32 v110, v1, 16, 1
	s_delay_alu instid0(VALU_DEP_1)
	v_add3_u32 v110, v1, v110, 0x7fff
                                        ; implicit-def: $vgpr1
; %bb.341:                              ;   in Loop: Header=BB195_29 Depth=1
	s_and_not1_saveexec_b32 s8, s0
; %bb.342:                              ;   in Loop: Header=BB195_29 Depth=1
	v_and_b32_e32 v110, 0xffff, v1
	v_or_b32_e32 v111, 0x10000, v1
	s_delay_alu instid0(VALU_DEP_2) | instskip(NEXT) | instid1(VALU_DEP_1)
	v_cmp_eq_u32_e64 s0, 0, v110
	v_cndmask_b32_e64 v110, v111, v1, s0
; %bb.343:                              ;   in Loop: Header=BB195_29 Depth=1
	s_or_b32 exec_lo, exec_lo, s8
	v_lshlrev_b32_e32 v1, 16, v2
                                        ; implicit-def: $vgpr111
	s_delay_alu instid0(VALU_DEP_1) | instskip(NEXT) | instid1(VALU_DEP_1)
	v_mul_f32_e32 v1, v52, v1
	v_and_b32_e32 v2, 0x7f800000, v1
	s_delay_alu instid0(VALU_DEP_1) | instskip(NEXT) | instid1(VALU_DEP_1)
	v_cmp_ne_u32_e64 s0, 0x7f800000, v2
	s_and_saveexec_b32 s8, s0
	s_delay_alu instid0(SALU_CYCLE_1)
	s_xor_b32 s0, exec_lo, s8
; %bb.344:                              ;   in Loop: Header=BB195_29 Depth=1
	v_bfe_u32 v2, v1, 16, 1
	s_delay_alu instid0(VALU_DEP_1)
	v_add3_u32 v111, v1, v2, 0x7fff
                                        ; implicit-def: $vgpr1
; %bb.345:                              ;   in Loop: Header=BB195_29 Depth=1
	s_and_not1_saveexec_b32 s8, s0
; %bb.346:                              ;   in Loop: Header=BB195_29 Depth=1
	v_and_b32_e32 v2, 0xffff, v1
	v_or_b32_e32 v111, 0x10000, v1
	s_delay_alu instid0(VALU_DEP_2) | instskip(NEXT) | instid1(VALU_DEP_1)
	v_cmp_eq_u32_e64 s0, 0, v2
	v_cndmask_b32_e64 v111, v111, v1, s0
; %bb.347:                              ;   in Loop: Header=BB195_29 Depth=1
	s_or_b32 exec_lo, exec_lo, s8
	v_lshlrev_b32_e32 v1, 16, v112
                                        ; implicit-def: $vgpr112
	s_delay_alu instid0(VALU_DEP_1) | instskip(NEXT) | instid1(VALU_DEP_1)
	v_mul_f32_e32 v1, v53, v1
	v_and_b32_e32 v2, 0x7f800000, v1
	s_delay_alu instid0(VALU_DEP_1) | instskip(NEXT) | instid1(VALU_DEP_1)
	v_cmp_ne_u32_e64 s0, 0x7f800000, v2
	s_and_saveexec_b32 s8, s0
	s_delay_alu instid0(SALU_CYCLE_1)
	s_xor_b32 s0, exec_lo, s8
; %bb.348:                              ;   in Loop: Header=BB195_29 Depth=1
	v_bfe_u32 v2, v1, 16, 1
	s_delay_alu instid0(VALU_DEP_1)
	v_add3_u32 v112, v1, v2, 0x7fff
                                        ; implicit-def: $vgpr1
; %bb.349:                              ;   in Loop: Header=BB195_29 Depth=1
	s_and_not1_saveexec_b32 s8, s0
; %bb.350:                              ;   in Loop: Header=BB195_29 Depth=1
	v_and_b32_e32 v2, 0xffff, v1
	v_or_b32_e32 v112, 0x10000, v1
	s_delay_alu instid0(VALU_DEP_2) | instskip(NEXT) | instid1(VALU_DEP_1)
	v_cmp_eq_u32_e64 s0, 0, v2
	v_cndmask_b32_e64 v112, v112, v1, s0
; %bb.351:                              ;   in Loop: Header=BB195_29 Depth=1
	s_or_b32 exec_lo, exec_lo, s8
	v_lshlrev_b32_e32 v1, 16, v3
                                        ; implicit-def: $vgpr113
	s_delay_alu instid0(VALU_DEP_1) | instskip(NEXT) | instid1(VALU_DEP_1)
	v_mul_f32_e32 v1, v54, v1
	v_and_b32_e32 v2, 0x7f800000, v1
	s_delay_alu instid0(VALU_DEP_1) | instskip(NEXT) | instid1(VALU_DEP_1)
	v_cmp_ne_u32_e64 s0, 0x7f800000, v2
	s_and_saveexec_b32 s8, s0
	s_delay_alu instid0(SALU_CYCLE_1)
	s_xor_b32 s0, exec_lo, s8
; %bb.352:                              ;   in Loop: Header=BB195_29 Depth=1
	v_bfe_u32 v2, v1, 16, 1
	s_delay_alu instid0(VALU_DEP_1)
	v_add3_u32 v113, v1, v2, 0x7fff
                                        ; implicit-def: $vgpr1
; %bb.353:                              ;   in Loop: Header=BB195_29 Depth=1
	s_and_not1_saveexec_b32 s8, s0
; %bb.354:                              ;   in Loop: Header=BB195_29 Depth=1
	v_and_b32_e32 v2, 0xffff, v1
	v_or_b32_e32 v3, 0x10000, v1
	s_delay_alu instid0(VALU_DEP_2) | instskip(NEXT) | instid1(VALU_DEP_1)
	v_cmp_eq_u32_e64 s0, 0, v2
	v_cndmask_b32_e64 v113, v3, v1, s0
; %bb.355:                              ;   in Loop: Header=BB195_29 Depth=1
	s_or_b32 exec_lo, exec_lo, s8
	v_lshlrev_b32_e32 v1, 16, v114
                                        ; implicit-def: $vgpr114
	s_delay_alu instid0(VALU_DEP_1) | instskip(NEXT) | instid1(VALU_DEP_1)
	v_mul_f32_e32 v1, v55, v1
	v_and_b32_e32 v2, 0x7f800000, v1
	s_delay_alu instid0(VALU_DEP_1) | instskip(NEXT) | instid1(VALU_DEP_1)
	v_cmp_ne_u32_e64 s0, 0x7f800000, v2
	s_and_saveexec_b32 s8, s0
	s_delay_alu instid0(SALU_CYCLE_1)
	s_xor_b32 s0, exec_lo, s8
; %bb.356:                              ;   in Loop: Header=BB195_29 Depth=1
	v_bfe_u32 v2, v1, 16, 1
	s_delay_alu instid0(VALU_DEP_1)
	v_add3_u32 v114, v1, v2, 0x7fff
                                        ; implicit-def: $vgpr1
; %bb.357:                              ;   in Loop: Header=BB195_29 Depth=1
	s_and_not1_saveexec_b32 s8, s0
; %bb.358:                              ;   in Loop: Header=BB195_29 Depth=1
	v_and_b32_e32 v2, 0xffff, v1
	v_or_b32_e32 v3, 0x10000, v1
	s_delay_alu instid0(VALU_DEP_2) | instskip(NEXT) | instid1(VALU_DEP_1)
	v_cmp_eq_u32_e64 s0, 0, v2
	v_cndmask_b32_e64 v114, v3, v1, s0
; %bb.359:                              ;   in Loop: Header=BB195_29 Depth=1
	s_or_b32 exec_lo, exec_lo, s8
	v_lshlrev_b32_e32 v1, 16, v4
                                        ; implicit-def: $vgpr115
	s_delay_alu instid0(VALU_DEP_1) | instskip(NEXT) | instid1(VALU_DEP_1)
	v_mul_f32_e32 v1, v56, v1
	v_and_b32_e32 v2, 0x7f800000, v1
	s_delay_alu instid0(VALU_DEP_1) | instskip(NEXT) | instid1(VALU_DEP_1)
	v_cmp_ne_u32_e64 s0, 0x7f800000, v2
	s_and_saveexec_b32 s8, s0
	s_delay_alu instid0(SALU_CYCLE_1)
	s_xor_b32 s0, exec_lo, s8
; %bb.360:                              ;   in Loop: Header=BB195_29 Depth=1
	v_bfe_u32 v2, v1, 16, 1
	s_delay_alu instid0(VALU_DEP_1)
	v_add3_u32 v115, v1, v2, 0x7fff
                                        ; implicit-def: $vgpr1
; %bb.361:                              ;   in Loop: Header=BB195_29 Depth=1
	s_and_not1_saveexec_b32 s8, s0
; %bb.362:                              ;   in Loop: Header=BB195_29 Depth=1
	v_and_b32_e32 v2, 0xffff, v1
	v_or_b32_e32 v3, 0x10000, v1
	s_delay_alu instid0(VALU_DEP_2) | instskip(NEXT) | instid1(VALU_DEP_1)
	v_cmp_eq_u32_e64 s0, 0, v2
	v_cndmask_b32_e64 v115, v3, v1, s0
; %bb.363:                              ;   in Loop: Header=BB195_29 Depth=1
	s_or_b32 exec_lo, exec_lo, s8
	v_lshlrev_b32_e32 v1, 16, v116
                                        ; implicit-def: $vgpr116
	s_delay_alu instid0(VALU_DEP_1) | instskip(NEXT) | instid1(VALU_DEP_1)
	v_mul_f32_e32 v1, v57, v1
	v_and_b32_e32 v2, 0x7f800000, v1
	s_delay_alu instid0(VALU_DEP_1) | instskip(NEXT) | instid1(VALU_DEP_1)
	v_cmp_ne_u32_e64 s0, 0x7f800000, v2
	s_and_saveexec_b32 s8, s0
	s_delay_alu instid0(SALU_CYCLE_1)
	s_xor_b32 s0, exec_lo, s8
; %bb.364:                              ;   in Loop: Header=BB195_29 Depth=1
	v_bfe_u32 v2, v1, 16, 1
	s_delay_alu instid0(VALU_DEP_1)
	v_add3_u32 v116, v1, v2, 0x7fff
                                        ; implicit-def: $vgpr1
; %bb.365:                              ;   in Loop: Header=BB195_29 Depth=1
	s_and_not1_saveexec_b32 s8, s0
; %bb.366:                              ;   in Loop: Header=BB195_29 Depth=1
	v_and_b32_e32 v2, 0xffff, v1
	v_or_b32_e32 v3, 0x10000, v1
	s_delay_alu instid0(VALU_DEP_2) | instskip(NEXT) | instid1(VALU_DEP_1)
	v_cmp_eq_u32_e64 s0, 0, v2
	v_cndmask_b32_e64 v116, v3, v1, s0
; %bb.367:                              ;   in Loop: Header=BB195_29 Depth=1
	s_or_b32 exec_lo, exec_lo, s8
	v_add_co_u32 v1, s0, v48, v31
	s_delay_alu instid0(VALU_DEP_1)
	v_add_co_ci_u32_e64 v2, s0, 0, v49, s0
	global_load_b128 v[1:4], v[1:2], off
	s_waitcnt vmcnt(0)
	v_lshrrev_b32_e32 v118, 16, v1
	v_lshrrev_b32_e32 v117, 16, v2
	;; [unrolled: 1-line block ×4, first 2 shown]
	s_and_saveexec_b32 s0, vcc_lo
	s_cbranch_execz .LBB195_369
; %bb.368:                              ;   in Loop: Header=BB195_29 Depth=1
	v_cmp_gt_i32_e32 vcc_lo, s28, v40
	v_cndmask_b32_e32 v1, 0, v1, vcc_lo
	v_cmp_gt_i32_e32 vcc_lo, s28, v46
	v_cndmask_b32_e32 v118, 0, v118, vcc_lo
	;; [unrolled: 2-line block ×8, first 2 shown]
.LBB195_369:                            ;   in Loop: Header=BB195_29 Depth=1
	s_or_b32 exec_lo, exec_lo, s0
	v_lshlrev_b32_e32 v1, 16, v1
	s_delay_alu instid0(VALU_DEP_1) | instskip(NEXT) | instid1(VALU_DEP_1)
	v_mul_f32_e32 v40, v50, v1
	v_and_b32_e32 v1, 0x7f800000, v40
	s_delay_alu instid0(VALU_DEP_1) | instskip(SKIP_1) | instid1(SALU_CYCLE_1)
	v_cmp_ne_u32_e32 vcc_lo, 0x7f800000, v1
                                        ; implicit-def: $vgpr1
	s_and_saveexec_b32 s0, vcc_lo
	s_xor_b32 s0, exec_lo, s0
; %bb.370:                              ;   in Loop: Header=BB195_29 Depth=1
	v_bfe_u32 v1, v40, 16, 1
	s_delay_alu instid0(VALU_DEP_1)
	v_add3_u32 v1, v40, v1, 0x7fff
                                        ; implicit-def: $vgpr40
; %bb.371:                              ;   in Loop: Header=BB195_29 Depth=1
	s_and_not1_saveexec_b32 s0, s0
; %bb.372:                              ;   in Loop: Header=BB195_29 Depth=1
	v_and_b32_e32 v1, 0xffff, v40
	v_or_b32_e32 v41, 0x10000, v40
	s_delay_alu instid0(VALU_DEP_2) | instskip(NEXT) | instid1(VALU_DEP_2)
	v_cmp_eq_u32_e32 vcc_lo, 0, v1
	v_cndmask_b32_e32 v1, v41, v40, vcc_lo
; %bb.373:                              ;   in Loop: Header=BB195_29 Depth=1
	s_or_b32 exec_lo, exec_lo, s0
	v_lshlrev_b32_e32 v40, 16, v118
	s_delay_alu instid0(VALU_DEP_1) | instskip(NEXT) | instid1(VALU_DEP_1)
	v_mul_f32_e32 v41, v51, v40
	v_and_b32_e32 v40, 0x7f800000, v41
	s_delay_alu instid0(VALU_DEP_1) | instskip(SKIP_1) | instid1(SALU_CYCLE_1)
	v_cmp_ne_u32_e32 vcc_lo, 0x7f800000, v40
                                        ; implicit-def: $vgpr40
	s_and_saveexec_b32 s0, vcc_lo
	s_xor_b32 s0, exec_lo, s0
; %bb.374:                              ;   in Loop: Header=BB195_29 Depth=1
	v_bfe_u32 v40, v41, 16, 1
	s_delay_alu instid0(VALU_DEP_1)
	v_add3_u32 v40, v41, v40, 0x7fff
                                        ; implicit-def: $vgpr41
; %bb.375:                              ;   in Loop: Header=BB195_29 Depth=1
	s_and_not1_saveexec_b32 s0, s0
; %bb.376:                              ;   in Loop: Header=BB195_29 Depth=1
	v_and_b32_e32 v40, 0xffff, v41
	v_or_b32_e32 v42, 0x10000, v41
	s_delay_alu instid0(VALU_DEP_2) | instskip(NEXT) | instid1(VALU_DEP_2)
	v_cmp_eq_u32_e32 vcc_lo, 0, v40
	v_cndmask_b32_e32 v40, v42, v41, vcc_lo
; %bb.377:                              ;   in Loop: Header=BB195_29 Depth=1
	s_or_b32 exec_lo, exec_lo, s0
	v_lshlrev_b32_e32 v2, 16, v2
	s_delay_alu instid0(VALU_DEP_1) | instskip(NEXT) | instid1(VALU_DEP_1)
	v_mul_f32_e32 v41, v52, v2
	v_and_b32_e32 v2, 0x7f800000, v41
	s_delay_alu instid0(VALU_DEP_1) | instskip(SKIP_1) | instid1(SALU_CYCLE_1)
	v_cmp_ne_u32_e32 vcc_lo, 0x7f800000, v2
                                        ; implicit-def: $vgpr2
	s_and_saveexec_b32 s0, vcc_lo
	s_xor_b32 s0, exec_lo, s0
; %bb.378:                              ;   in Loop: Header=BB195_29 Depth=1
	v_bfe_u32 v2, v41, 16, 1
	s_delay_alu instid0(VALU_DEP_1)
	v_add3_u32 v2, v41, v2, 0x7fff
                                        ; implicit-def: $vgpr41
; %bb.379:                              ;   in Loop: Header=BB195_29 Depth=1
	s_and_not1_saveexec_b32 s0, s0
; %bb.380:                              ;   in Loop: Header=BB195_29 Depth=1
	v_and_b32_e32 v2, 0xffff, v41
	v_or_b32_e32 v42, 0x10000, v41
	s_delay_alu instid0(VALU_DEP_2) | instskip(NEXT) | instid1(VALU_DEP_2)
	v_cmp_eq_u32_e32 vcc_lo, 0, v2
	v_cndmask_b32_e32 v2, v42, v41, vcc_lo
; %bb.381:                              ;   in Loop: Header=BB195_29 Depth=1
	s_or_b32 exec_lo, exec_lo, s0
	v_lshlrev_b32_e32 v41, 16, v117
	s_delay_alu instid0(VALU_DEP_1) | instskip(NEXT) | instid1(VALU_DEP_1)
	v_mul_f32_e32 v42, v53, v41
	v_and_b32_e32 v41, 0x7f800000, v42
	s_delay_alu instid0(VALU_DEP_1) | instskip(SKIP_1) | instid1(SALU_CYCLE_1)
	v_cmp_ne_u32_e32 vcc_lo, 0x7f800000, v41
                                        ; implicit-def: $vgpr41
	s_and_saveexec_b32 s0, vcc_lo
	s_xor_b32 s0, exec_lo, s0
; %bb.382:                              ;   in Loop: Header=BB195_29 Depth=1
	v_bfe_u32 v41, v42, 16, 1
	s_delay_alu instid0(VALU_DEP_1)
	v_add3_u32 v41, v42, v41, 0x7fff
                                        ; implicit-def: $vgpr42
; %bb.383:                              ;   in Loop: Header=BB195_29 Depth=1
	s_and_not1_saveexec_b32 s0, s0
; %bb.384:                              ;   in Loop: Header=BB195_29 Depth=1
	v_and_b32_e32 v41, 0xffff, v42
	v_or_b32_e32 v43, 0x10000, v42
	s_delay_alu instid0(VALU_DEP_2) | instskip(NEXT) | instid1(VALU_DEP_2)
	v_cmp_eq_u32_e32 vcc_lo, 0, v41
	v_cndmask_b32_e32 v41, v43, v42, vcc_lo
; %bb.385:                              ;   in Loop: Header=BB195_29 Depth=1
	s_or_b32 exec_lo, exec_lo, s0
	v_lshlrev_b32_e32 v3, 16, v3
	s_delay_alu instid0(VALU_DEP_1) | instskip(NEXT) | instid1(VALU_DEP_1)
	v_mul_f32_e32 v42, v54, v3
	v_and_b32_e32 v3, 0x7f800000, v42
	s_delay_alu instid0(VALU_DEP_1) | instskip(SKIP_1) | instid1(SALU_CYCLE_1)
	v_cmp_ne_u32_e32 vcc_lo, 0x7f800000, v3
                                        ; implicit-def: $vgpr3
	s_and_saveexec_b32 s0, vcc_lo
	s_xor_b32 s0, exec_lo, s0
; %bb.386:                              ;   in Loop: Header=BB195_29 Depth=1
	v_bfe_u32 v3, v42, 16, 1
	s_delay_alu instid0(VALU_DEP_1)
	v_add3_u32 v3, v42, v3, 0x7fff
                                        ; implicit-def: $vgpr42
; %bb.387:                              ;   in Loop: Header=BB195_29 Depth=1
	s_and_not1_saveexec_b32 s0, s0
; %bb.388:                              ;   in Loop: Header=BB195_29 Depth=1
	v_and_b32_e32 v3, 0xffff, v42
	v_or_b32_e32 v43, 0x10000, v42
	s_delay_alu instid0(VALU_DEP_2) | instskip(NEXT) | instid1(VALU_DEP_2)
	v_cmp_eq_u32_e32 vcc_lo, 0, v3
	v_cndmask_b32_e32 v3, v43, v42, vcc_lo
; %bb.389:                              ;   in Loop: Header=BB195_29 Depth=1
	s_or_b32 exec_lo, exec_lo, s0
	v_lshlrev_b32_e32 v42, 16, v49
	s_delay_alu instid0(VALU_DEP_1) | instskip(NEXT) | instid1(VALU_DEP_1)
	v_mul_f32_e32 v43, v55, v42
	v_and_b32_e32 v42, 0x7f800000, v43
	s_delay_alu instid0(VALU_DEP_1) | instskip(SKIP_1) | instid1(SALU_CYCLE_1)
	v_cmp_ne_u32_e32 vcc_lo, 0x7f800000, v42
                                        ; implicit-def: $vgpr42
	s_and_saveexec_b32 s0, vcc_lo
	s_xor_b32 s0, exec_lo, s0
; %bb.390:                              ;   in Loop: Header=BB195_29 Depth=1
	v_bfe_u32 v42, v43, 16, 1
	s_delay_alu instid0(VALU_DEP_1)
	v_add3_u32 v42, v43, v42, 0x7fff
                                        ; implicit-def: $vgpr43
; %bb.391:                              ;   in Loop: Header=BB195_29 Depth=1
	s_and_not1_saveexec_b32 s0, s0
; %bb.392:                              ;   in Loop: Header=BB195_29 Depth=1
	v_and_b32_e32 v42, 0xffff, v43
	v_or_b32_e32 v44, 0x10000, v43
	s_delay_alu instid0(VALU_DEP_2) | instskip(NEXT) | instid1(VALU_DEP_2)
	v_cmp_eq_u32_e32 vcc_lo, 0, v42
	v_cndmask_b32_e32 v42, v44, v43, vcc_lo
; %bb.393:                              ;   in Loop: Header=BB195_29 Depth=1
	s_or_b32 exec_lo, exec_lo, s0
	v_lshlrev_b32_e32 v4, 16, v4
	s_delay_alu instid0(VALU_DEP_1) | instskip(NEXT) | instid1(VALU_DEP_1)
	v_mul_f32_e32 v43, v56, v4
	v_and_b32_e32 v4, 0x7f800000, v43
	s_delay_alu instid0(VALU_DEP_1) | instskip(SKIP_1) | instid1(SALU_CYCLE_1)
	v_cmp_ne_u32_e32 vcc_lo, 0x7f800000, v4
                                        ; implicit-def: $vgpr4
	s_and_saveexec_b32 s0, vcc_lo
	s_xor_b32 s0, exec_lo, s0
; %bb.394:                              ;   in Loop: Header=BB195_29 Depth=1
	v_bfe_u32 v4, v43, 16, 1
	s_delay_alu instid0(VALU_DEP_1)
	v_add3_u32 v4, v43, v4, 0x7fff
                                        ; implicit-def: $vgpr43
; %bb.395:                              ;   in Loop: Header=BB195_29 Depth=1
	s_and_not1_saveexec_b32 s0, s0
; %bb.396:                              ;   in Loop: Header=BB195_29 Depth=1
	v_and_b32_e32 v4, 0xffff, v43
	v_or_b32_e32 v44, 0x10000, v43
	s_delay_alu instid0(VALU_DEP_2) | instskip(NEXT) | instid1(VALU_DEP_2)
	v_cmp_eq_u32_e32 vcc_lo, 0, v4
	v_cndmask_b32_e32 v4, v44, v43, vcc_lo
; %bb.397:                              ;   in Loop: Header=BB195_29 Depth=1
	s_or_b32 exec_lo, exec_lo, s0
	v_lshlrev_b32_e32 v43, 16, v48
	s_delay_alu instid0(VALU_DEP_1) | instskip(NEXT) | instid1(VALU_DEP_1)
	v_mul_f32_e32 v44, v57, v43
	v_and_b32_e32 v43, 0x7f800000, v44
	s_delay_alu instid0(VALU_DEP_1) | instskip(SKIP_1) | instid1(SALU_CYCLE_1)
	v_cmp_ne_u32_e32 vcc_lo, 0x7f800000, v43
                                        ; implicit-def: $vgpr43
	s_and_saveexec_b32 s0, vcc_lo
	s_xor_b32 s0, exec_lo, s0
; %bb.398:                              ;   in Loop: Header=BB195_29 Depth=1
	v_bfe_u32 v43, v44, 16, 1
	s_delay_alu instid0(VALU_DEP_1)
	v_add3_u32 v43, v44, v43, 0x7fff
                                        ; implicit-def: $vgpr44
; %bb.399:                              ;   in Loop: Header=BB195_29 Depth=1
	s_and_not1_saveexec_b32 s0, s0
	s_cbranch_execz .LBB195_28
; %bb.400:                              ;   in Loop: Header=BB195_29 Depth=1
	v_and_b32_e32 v43, 0xffff, v44
	v_or_b32_e32 v45, 0x10000, v44
	s_delay_alu instid0(VALU_DEP_2) | instskip(NEXT) | instid1(VALU_DEP_2)
	v_cmp_eq_u32_e32 vcc_lo, 0, v43
	v_cndmask_b32_e32 v43, v45, v44, vcc_lo
	s_branch .LBB195_28
.LBB195_401:
	s_or_b32 exec_lo, exec_lo, s5
.LBB195_402:
	s_delay_alu instid0(SALU_CYCLE_1)
	s_or_b32 exec_lo, exec_lo, s1
	ds_bpermute_b32 v5, v15, v22
	ds_bpermute_b32 v6, v15, v21
	;; [unrolled: 1-line block ×10, first 2 shown]
	v_lshrrev_b32_e32 v11, 2, v13
	s_movk_i32 s0, 0x140
	s_waitcnt lgkmcnt(0)
	s_waitcnt_vscnt null, 0x0
	v_mad_u32_u24 v12, v12, s0, 0xc0
	s_barrier
	v_lshlrev_b32_e32 v13, 2, v11
	buffer_gl0_inv
	v_dual_add_f32 v5, v22, v5 :: v_dual_add_f32 v6, v21, v6
	v_dual_add_f32 v1, v24, v1 :: v_dual_add_f32 v2, v26, v2
	;; [unrolled: 1-line block ×3, first 2 shown]
	ds_bpermute_b32 v22, v14, v6
	v_dual_add_f32 v15, v20, v7 :: v_dual_add_f32 v18, v18, v9
	v_add_f32_e32 v19, v19, v8
	v_dual_add_f32 v17, v17, v10 :: v_dual_and_b32 v10, 0x3c3, v0
	ds_bpermute_b32 v7, v14, v1
	ds_bpermute_b32 v8, v14, v2
	ds_bpermute_b32 v9, v14, v3
	ds_bpermute_b32 v20, v14, v4
	ds_bpermute_b32 v21, v14, v5
	ds_bpermute_b32 v23, v14, v15
	ds_bpermute_b32 v25, v14, v18
	v_cmp_eq_u32_e32 vcc_lo, 64, v10
	s_waitcnt lgkmcnt(7)
	v_add_f32_e32 v6, v6, v22
	ds_bpermute_b32 v24, v14, v19
	ds_bpermute_b32 v14, v14, v17
	s_waitcnt lgkmcnt(7)
	v_dual_add_f32 v1, v1, v7 :: v_dual_add_f32 v10, v2, v8
	s_waitcnt lgkmcnt(5)
	v_dual_add_f32 v9, v3, v9 :: v_dual_add_f32 v8, v4, v20
	s_waitcnt lgkmcnt(4)
	v_add_f32_e32 v7, v5, v21
	s_waitcnt lgkmcnt(3)
	v_add_f32_e32 v5, v15, v23
	s_waitcnt lgkmcnt(1)
	v_dual_add_f32 v3, v18, v25 :: v_dual_add_f32 v4, v19, v24
	s_waitcnt lgkmcnt(0)
	v_add_f32_e32 v2, v17, v14
	s_and_saveexec_b32 s0, vcc_lo
	s_cbranch_execz .LBB195_404
; %bb.403:
	v_add3_u32 v14, v12, v13, 0xfffffd80
	ds_store_2addr_b32 v14, v1, v10 offset1:8
	ds_store_2addr_b32 v14, v9, v8 offset0:16 offset1:24
	ds_store_2addr_b32 v14, v7, v6 offset0:32 offset1:40
	;; [unrolled: 1-line block ×4, first 2 shown]
.LBB195_404:
	s_or_b32 exec_lo, exec_lo, s0
	v_cmp_eq_u32_e32 vcc_lo, 0, v16
	s_mov_b32 s1, exec_lo
	s_waitcnt lgkmcnt(0)
	s_barrier
	buffer_gl0_inv
	v_cmpx_gt_u32_e32 64, v0
	s_cbranch_execz .LBB195_417
; %bb.405:
	s_and_saveexec_b32 s0, vcc_lo
	s_cbranch_execnz .LBB195_476
; %bb.406:
	s_or_b32 exec_lo, exec_lo, s0
	s_and_saveexec_b32 s0, vcc_lo
	s_cbranch_execnz .LBB195_477
.LBB195_407:
	s_or_b32 exec_lo, exec_lo, s0
	s_and_saveexec_b32 s0, vcc_lo
	s_cbranch_execnz .LBB195_478
.LBB195_408:
	s_or_b32 exec_lo, exec_lo, s0
	s_and_saveexec_b32 s0, vcc_lo
	s_cbranch_execnz .LBB195_479
.LBB195_409:
	s_or_b32 exec_lo, exec_lo, s0
	s_and_saveexec_b32 s0, vcc_lo
	s_cbranch_execnz .LBB195_480
.LBB195_410:
	s_or_b32 exec_lo, exec_lo, s0
	s_and_saveexec_b32 s0, vcc_lo
	s_cbranch_execnz .LBB195_481
.LBB195_411:
	s_or_b32 exec_lo, exec_lo, s0
	s_and_saveexec_b32 s0, vcc_lo
	s_cbranch_execnz .LBB195_482
.LBB195_412:
	s_or_b32 exec_lo, exec_lo, s0
	s_and_saveexec_b32 s0, vcc_lo
	s_cbranch_execnz .LBB195_483
.LBB195_413:
	s_or_b32 exec_lo, exec_lo, s0
	s_and_saveexec_b32 s0, vcc_lo
	s_cbranch_execnz .LBB195_484
.LBB195_414:
	s_or_b32 exec_lo, exec_lo, s0
	s_and_saveexec_b32 s0, vcc_lo
	s_cbranch_execz .LBB195_416
.LBB195_415:
	v_lshl_add_u32 v14, v11, 2, v12
	ds_load_b32 v14, v14 offset:288
	s_waitcnt lgkmcnt(0)
	v_add_f32_e32 v2, v2, v14
.LBB195_416:
	s_or_b32 exec_lo, exec_lo, s0
.LBB195_417:
	s_delay_alu instid0(SALU_CYCLE_1)
	s_or_b32 exec_lo, exec_lo, s1
	v_and_b32_e32 v14, 0x3e3, v0
	s_mov_b32 s1, exec_lo
	s_barrier
	buffer_gl0_inv
	v_cmpx_eq_u32_e32 32, v14
	s_cbranch_execz .LBB195_419
; %bb.418:
	v_add3_u32 v13, v12, v13, 0xfffffec0
	ds_store_2addr_b32 v13, v1, v10 offset1:8
	ds_store_2addr_b32 v13, v9, v8 offset0:16 offset1:24
	ds_store_2addr_b32 v13, v7, v6 offset0:32 offset1:40
	ds_store_2addr_b32 v13, v5, v4 offset0:48 offset1:56
	ds_store_2addr_b32 v13, v3, v2 offset0:64 offset1:72
.LBB195_419:
	s_or_b32 exec_lo, exec_lo, s1
	v_cmp_gt_u32_e64 s0, 32, v0
	s_waitcnt lgkmcnt(0)
	s_barrier
	buffer_gl0_inv
	s_and_saveexec_b32 s1, s0
	s_cbranch_execz .LBB195_432
; %bb.420:
	v_lshl_add_u32 v11, v11, 2, v12
	s_and_saveexec_b32 s2, vcc_lo
	s_cbranch_execnz .LBB195_485
; %bb.421:
	s_or_b32 exec_lo, exec_lo, s2
	s_and_saveexec_b32 s2, vcc_lo
	s_cbranch_execnz .LBB195_486
.LBB195_422:
	s_or_b32 exec_lo, exec_lo, s2
	s_and_saveexec_b32 s2, vcc_lo
	s_cbranch_execnz .LBB195_487
.LBB195_423:
	s_or_b32 exec_lo, exec_lo, s2
	s_and_saveexec_b32 s2, vcc_lo
	s_cbranch_execnz .LBB195_488
.LBB195_424:
	s_or_b32 exec_lo, exec_lo, s2
	s_and_saveexec_b32 s2, vcc_lo
	s_cbranch_execnz .LBB195_489
.LBB195_425:
	s_or_b32 exec_lo, exec_lo, s2
	s_and_saveexec_b32 s2, vcc_lo
	s_cbranch_execnz .LBB195_490
.LBB195_426:
	s_or_b32 exec_lo, exec_lo, s2
	s_and_saveexec_b32 s2, vcc_lo
	s_cbranch_execnz .LBB195_491
.LBB195_427:
	s_or_b32 exec_lo, exec_lo, s2
	s_and_saveexec_b32 s2, vcc_lo
	s_cbranch_execnz .LBB195_492
.LBB195_428:
	s_or_b32 exec_lo, exec_lo, s2
	s_and_saveexec_b32 s2, vcc_lo
	s_cbranch_execnz .LBB195_493
.LBB195_429:
	s_or_b32 exec_lo, exec_lo, s2
	s_and_saveexec_b32 s2, vcc_lo
	s_cbranch_execz .LBB195_431
.LBB195_430:
	ds_load_b32 v11, v11 offset:288
	s_waitcnt lgkmcnt(0)
	v_add_f32_e32 v2, v2, v11
.LBB195_431:
	s_or_b32 exec_lo, exec_lo, s2
.LBB195_432:
	s_delay_alu instid0(SALU_CYCLE_1)
	s_or_b32 exec_lo, exec_lo, s1
	s_barrier
	buffer_gl0_inv
	s_and_saveexec_b32 s1, s0
	s_cbranch_execz .LBB195_475
; %bb.433:
	s_and_b32 exec_lo, exec_lo, vcc_lo
	s_cbranch_execz .LBB195_475
; %bb.434:
	v_and_b32_e32 v11, 0x7f800000, v1
	s_delay_alu instid0(VALU_DEP_1) | instskip(SKIP_1) | instid1(SALU_CYCLE_1)
	v_cmp_ne_u32_e32 vcc_lo, 0x7f800000, v11
                                        ; implicit-def: $vgpr11
	s_and_saveexec_b32 s0, vcc_lo
	s_xor_b32 s0, exec_lo, s0
; %bb.435:
	v_bfe_u32 v11, v1, 16, 1
	s_delay_alu instid0(VALU_DEP_1)
	v_add3_u32 v11, v1, v11, 0x7fff
                                        ; implicit-def: $vgpr1
; %bb.436:
	s_and_not1_saveexec_b32 s0, s0
; %bb.437:
	v_and_b32_e32 v11, 0xffff, v1
	v_or_b32_e32 v12, 0x10000, v1
	s_delay_alu instid0(VALU_DEP_2) | instskip(NEXT) | instid1(VALU_DEP_2)
	v_cmp_eq_u32_e32 vcc_lo, 0, v11
	v_cndmask_b32_e32 v11, v12, v1, vcc_lo
; %bb.438:
	s_or_b32 exec_lo, exec_lo, s0
	s_mul_i32 s0, s4, s14
	s_mul_i32 s2, s4, s16
	;; [unrolled: 1-line block ×3, first 2 shown]
	v_lshrrev_b32_e32 v0, 1, v0
	s_mulk_i32 s0, 0x50
	v_and_b32_e32 v13, 0x7f800000, v10
	s_ashr_i32 s1, s0, 31
	s_delay_alu instid0(VALU_DEP_2) | instskip(SKIP_1) | instid1(SALU_CYCLE_1)
	v_and_b32_e32 v12, 0x1fe, v0
	s_lshl_b64 s[0:1], s[0:1], 1
	s_add_u32 s4, s18, s0
	s_addc_u32 s5, s19, s1
	s_ashr_i32 s3, s2, 31
	s_delay_alu instid0(SALU_CYCLE_1) | instskip(SKIP_4) | instid1(SALU_CYCLE_1)
	s_lshl_b64 s[0:1], s[2:3], 1
	s_mul_i32 s2, s12, 0x50
	s_add_u32 s4, s4, s0
	s_addc_u32 s5, s5, s1
	s_ashr_i32 s3, s2, 31
	s_lshl_b64 s[0:1], s[2:3], 1
	s_delay_alu instid0(SALU_CYCLE_1) | instskip(SKIP_2) | instid1(VALU_DEP_1)
	s_add_u32 s0, s4, s0
	s_addc_u32 s1, s5, s1
	v_add_co_u32 v0, s2, s0, v12
	v_add_co_ci_u32_e64 v1, null, s1, 0, s2
	global_store_d16_hi_b16 v12, v11, s[0:1]
	s_mov_b32 s0, exec_lo
                                        ; implicit-def: $vgpr11
	v_cmpx_ne_u32_e32 0x7f800000, v13
	s_xor_b32 s0, exec_lo, s0
; %bb.439:
	v_bfe_u32 v11, v10, 16, 1
	s_delay_alu instid0(VALU_DEP_1)
	v_add3_u32 v11, v10, v11, 0x7fff
                                        ; implicit-def: $vgpr10
; %bb.440:
	s_and_not1_saveexec_b32 s0, s0
; %bb.441:
	v_and_b32_e32 v11, 0xffff, v10
	v_or_b32_e32 v12, 0x10000, v10
	s_delay_alu instid0(VALU_DEP_2) | instskip(NEXT) | instid1(VALU_DEP_2)
	v_cmp_eq_u32_e32 vcc_lo, 0, v11
	v_cndmask_b32_e32 v11, v12, v10, vcc_lo
; %bb.442:
	s_or_b32 exec_lo, exec_lo, s0
	v_and_b32_e32 v10, 0x7f800000, v9
	global_store_d16_hi_b16 v[0:1], v11, off offset:16
	v_cmp_ne_u32_e32 vcc_lo, 0x7f800000, v10
                                        ; implicit-def: $vgpr10
	s_and_saveexec_b32 s0, vcc_lo
	s_delay_alu instid0(SALU_CYCLE_1)
	s_xor_b32 s0, exec_lo, s0
; %bb.443:
	v_bfe_u32 v10, v9, 16, 1
	s_delay_alu instid0(VALU_DEP_1)
	v_add3_u32 v10, v9, v10, 0x7fff
                                        ; implicit-def: $vgpr9
; %bb.444:
	s_and_not1_saveexec_b32 s0, s0
; %bb.445:
	v_and_b32_e32 v10, 0xffff, v9
	v_or_b32_e32 v11, 0x10000, v9
	s_delay_alu instid0(VALU_DEP_2) | instskip(NEXT) | instid1(VALU_DEP_2)
	v_cmp_eq_u32_e32 vcc_lo, 0, v10
	v_cndmask_b32_e32 v10, v11, v9, vcc_lo
; %bb.446:
	s_or_b32 exec_lo, exec_lo, s0
	v_and_b32_e32 v9, 0x7f800000, v8
	global_store_d16_hi_b16 v[0:1], v10, off offset:32
	v_cmp_ne_u32_e32 vcc_lo, 0x7f800000, v9
                                        ; implicit-def: $vgpr9
	s_and_saveexec_b32 s0, vcc_lo
	s_delay_alu instid0(SALU_CYCLE_1)
	s_xor_b32 s0, exec_lo, s0
; %bb.447:
	v_bfe_u32 v9, v8, 16, 1
	s_delay_alu instid0(VALU_DEP_1)
	v_add3_u32 v9, v8, v9, 0x7fff
                                        ; implicit-def: $vgpr8
; %bb.448:
	s_and_not1_saveexec_b32 s0, s0
; %bb.449:
	v_and_b32_e32 v9, 0xffff, v8
	v_or_b32_e32 v10, 0x10000, v8
	s_delay_alu instid0(VALU_DEP_2) | instskip(NEXT) | instid1(VALU_DEP_2)
	v_cmp_eq_u32_e32 vcc_lo, 0, v9
	v_cndmask_b32_e32 v9, v10, v8, vcc_lo
; %bb.450:
	s_or_b32 exec_lo, exec_lo, s0
	v_and_b32_e32 v8, 0x7f800000, v7
	global_store_d16_hi_b16 v[0:1], v9, off offset:48
	v_cmp_ne_u32_e32 vcc_lo, 0x7f800000, v8
                                        ; implicit-def: $vgpr8
	s_and_saveexec_b32 s0, vcc_lo
	s_delay_alu instid0(SALU_CYCLE_1)
	s_xor_b32 s0, exec_lo, s0
; %bb.451:
	v_bfe_u32 v8, v7, 16, 1
	s_delay_alu instid0(VALU_DEP_1)
	v_add3_u32 v8, v7, v8, 0x7fff
                                        ; implicit-def: $vgpr7
; %bb.452:
	s_and_not1_saveexec_b32 s0, s0
; %bb.453:
	v_and_b32_e32 v8, 0xffff, v7
	v_or_b32_e32 v9, 0x10000, v7
	s_delay_alu instid0(VALU_DEP_2) | instskip(NEXT) | instid1(VALU_DEP_2)
	v_cmp_eq_u32_e32 vcc_lo, 0, v8
	v_cndmask_b32_e32 v8, v9, v7, vcc_lo
; %bb.454:
	s_or_b32 exec_lo, exec_lo, s0
	v_and_b32_e32 v7, 0x7f800000, v6
	global_store_d16_hi_b16 v[0:1], v8, off offset:64
	v_cmp_ne_u32_e32 vcc_lo, 0x7f800000, v7
                                        ; implicit-def: $vgpr7
	s_and_saveexec_b32 s0, vcc_lo
	s_delay_alu instid0(SALU_CYCLE_1)
	s_xor_b32 s0, exec_lo, s0
; %bb.455:
	v_bfe_u32 v7, v6, 16, 1
	s_delay_alu instid0(VALU_DEP_1)
	v_add3_u32 v7, v6, v7, 0x7fff
                                        ; implicit-def: $vgpr6
; %bb.456:
	s_and_not1_saveexec_b32 s0, s0
; %bb.457:
	v_and_b32_e32 v7, 0xffff, v6
	v_or_b32_e32 v8, 0x10000, v6
	s_delay_alu instid0(VALU_DEP_2) | instskip(NEXT) | instid1(VALU_DEP_2)
	v_cmp_eq_u32_e32 vcc_lo, 0, v7
	v_cndmask_b32_e32 v7, v8, v6, vcc_lo
; %bb.458:
	s_or_b32 exec_lo, exec_lo, s0
	v_and_b32_e32 v6, 0x7f800000, v5
	global_store_d16_hi_b16 v[0:1], v7, off offset:80
	v_cmp_ne_u32_e32 vcc_lo, 0x7f800000, v6
                                        ; implicit-def: $vgpr6
	s_and_saveexec_b32 s0, vcc_lo
	s_delay_alu instid0(SALU_CYCLE_1)
	s_xor_b32 s0, exec_lo, s0
; %bb.459:
	v_bfe_u32 v6, v5, 16, 1
	s_delay_alu instid0(VALU_DEP_1)
	v_add3_u32 v6, v5, v6, 0x7fff
                                        ; implicit-def: $vgpr5
; %bb.460:
	s_and_not1_saveexec_b32 s0, s0
; %bb.461:
	v_and_b32_e32 v6, 0xffff, v5
	v_or_b32_e32 v7, 0x10000, v5
	s_delay_alu instid0(VALU_DEP_2) | instskip(NEXT) | instid1(VALU_DEP_2)
	v_cmp_eq_u32_e32 vcc_lo, 0, v6
	v_cndmask_b32_e32 v6, v7, v5, vcc_lo
; %bb.462:
	s_or_b32 exec_lo, exec_lo, s0
	v_and_b32_e32 v5, 0x7f800000, v4
	global_store_d16_hi_b16 v[0:1], v6, off offset:96
	v_cmp_ne_u32_e32 vcc_lo, 0x7f800000, v5
                                        ; implicit-def: $vgpr5
	s_and_saveexec_b32 s0, vcc_lo
	s_delay_alu instid0(SALU_CYCLE_1)
	s_xor_b32 s0, exec_lo, s0
; %bb.463:
	v_bfe_u32 v5, v4, 16, 1
	s_delay_alu instid0(VALU_DEP_1)
	v_add3_u32 v5, v4, v5, 0x7fff
                                        ; implicit-def: $vgpr4
; %bb.464:
	s_and_not1_saveexec_b32 s0, s0
; %bb.465:
	v_and_b32_e32 v5, 0xffff, v4
	v_or_b32_e32 v6, 0x10000, v4
	s_delay_alu instid0(VALU_DEP_2) | instskip(NEXT) | instid1(VALU_DEP_2)
	v_cmp_eq_u32_e32 vcc_lo, 0, v5
	v_cndmask_b32_e32 v5, v6, v4, vcc_lo
; %bb.466:
	s_or_b32 exec_lo, exec_lo, s0
	v_and_b32_e32 v4, 0x7f800000, v3
	global_store_d16_hi_b16 v[0:1], v5, off offset:112
	v_cmp_ne_u32_e32 vcc_lo, 0x7f800000, v4
                                        ; implicit-def: $vgpr4
	s_and_saveexec_b32 s0, vcc_lo
	s_delay_alu instid0(SALU_CYCLE_1)
	s_xor_b32 s0, exec_lo, s0
; %bb.467:
	v_bfe_u32 v4, v3, 16, 1
	s_delay_alu instid0(VALU_DEP_1)
	v_add3_u32 v4, v3, v4, 0x7fff
                                        ; implicit-def: $vgpr3
; %bb.468:
	s_and_not1_saveexec_b32 s0, s0
; %bb.469:
	v_and_b32_e32 v4, 0xffff, v3
	v_or_b32_e32 v5, 0x10000, v3
	s_delay_alu instid0(VALU_DEP_2) | instskip(NEXT) | instid1(VALU_DEP_2)
	v_cmp_eq_u32_e32 vcc_lo, 0, v4
	v_cndmask_b32_e32 v4, v5, v3, vcc_lo
; %bb.470:
	s_or_b32 exec_lo, exec_lo, s0
	v_and_b32_e32 v3, 0x7f800000, v2
	global_store_d16_hi_b16 v[0:1], v4, off offset:128
	v_cmp_ne_u32_e32 vcc_lo, 0x7f800000, v3
                                        ; implicit-def: $vgpr3
	s_and_saveexec_b32 s0, vcc_lo
	s_delay_alu instid0(SALU_CYCLE_1)
	s_xor_b32 s0, exec_lo, s0
; %bb.471:
	v_bfe_u32 v3, v2, 16, 1
	s_delay_alu instid0(VALU_DEP_1)
	v_add3_u32 v3, v2, v3, 0x7fff
                                        ; implicit-def: $vgpr2
; %bb.472:
	s_and_not1_saveexec_b32 s0, s0
; %bb.473:
	v_and_b32_e32 v3, 0xffff, v2
	v_or_b32_e32 v4, 0x10000, v2
	s_delay_alu instid0(VALU_DEP_2) | instskip(NEXT) | instid1(VALU_DEP_2)
	v_cmp_eq_u32_e32 vcc_lo, 0, v3
	v_cndmask_b32_e32 v3, v4, v2, vcc_lo
; %bb.474:
	s_or_b32 exec_lo, exec_lo, s0
	global_store_d16_hi_b16 v[0:1], v3, off offset:144
.LBB195_475:
	s_nop 0
	s_sendmsg sendmsg(MSG_DEALLOC_VGPRS)
	s_endpgm
.LBB195_476:
	v_lshl_add_u32 v14, v11, 2, v12
	ds_load_b32 v14, v14
	s_waitcnt lgkmcnt(0)
	v_add_f32_e32 v1, v1, v14
	s_or_b32 exec_lo, exec_lo, s0
	s_and_saveexec_b32 s0, vcc_lo
	s_cbranch_execz .LBB195_407
.LBB195_477:
	v_lshl_add_u32 v14, v11, 2, v12
	ds_load_b32 v14, v14 offset:32
	s_waitcnt lgkmcnt(0)
	v_add_f32_e32 v10, v10, v14
	s_or_b32 exec_lo, exec_lo, s0
	s_and_saveexec_b32 s0, vcc_lo
	s_cbranch_execz .LBB195_408
.LBB195_478:
	v_lshl_add_u32 v14, v11, 2, v12
	ds_load_b32 v14, v14 offset:64
	s_waitcnt lgkmcnt(0)
	v_add_f32_e32 v9, v9, v14
	s_or_b32 exec_lo, exec_lo, s0
	s_and_saveexec_b32 s0, vcc_lo
	s_cbranch_execz .LBB195_409
.LBB195_479:
	v_lshl_add_u32 v14, v11, 2, v12
	ds_load_b32 v14, v14 offset:96
	s_waitcnt lgkmcnt(0)
	v_add_f32_e32 v8, v8, v14
	s_or_b32 exec_lo, exec_lo, s0
	s_and_saveexec_b32 s0, vcc_lo
	s_cbranch_execz .LBB195_410
.LBB195_480:
	v_lshl_add_u32 v14, v11, 2, v12
	ds_load_b32 v14, v14 offset:128
	s_waitcnt lgkmcnt(0)
	v_add_f32_e32 v7, v7, v14
	s_or_b32 exec_lo, exec_lo, s0
	s_and_saveexec_b32 s0, vcc_lo
	s_cbranch_execz .LBB195_411
.LBB195_481:
	v_lshl_add_u32 v14, v11, 2, v12
	ds_load_b32 v14, v14 offset:160
	s_waitcnt lgkmcnt(0)
	v_add_f32_e32 v6, v6, v14
	s_or_b32 exec_lo, exec_lo, s0
	s_and_saveexec_b32 s0, vcc_lo
	s_cbranch_execz .LBB195_412
.LBB195_482:
	v_lshl_add_u32 v14, v11, 2, v12
	ds_load_b32 v14, v14 offset:192
	s_waitcnt lgkmcnt(0)
	v_add_f32_e32 v5, v5, v14
	s_or_b32 exec_lo, exec_lo, s0
	s_and_saveexec_b32 s0, vcc_lo
	s_cbranch_execz .LBB195_413
.LBB195_483:
	v_lshl_add_u32 v14, v11, 2, v12
	ds_load_b32 v14, v14 offset:224
	s_waitcnt lgkmcnt(0)
	v_add_f32_e32 v4, v4, v14
	s_or_b32 exec_lo, exec_lo, s0
	s_and_saveexec_b32 s0, vcc_lo
	s_cbranch_execz .LBB195_414
.LBB195_484:
	v_lshl_add_u32 v14, v11, 2, v12
	ds_load_b32 v14, v14 offset:256
	s_waitcnt lgkmcnt(0)
	v_add_f32_e32 v3, v3, v14
	s_or_b32 exec_lo, exec_lo, s0
	s_and_saveexec_b32 s0, vcc_lo
	s_cbranch_execnz .LBB195_415
	s_branch .LBB195_416
.LBB195_485:
	ds_load_b32 v12, v11
	s_waitcnt lgkmcnt(0)
	v_add_f32_e32 v1, v1, v12
	s_or_b32 exec_lo, exec_lo, s2
	s_and_saveexec_b32 s2, vcc_lo
	s_cbranch_execz .LBB195_422
.LBB195_486:
	ds_load_b32 v12, v11 offset:32
	s_waitcnt lgkmcnt(0)
	v_add_f32_e32 v10, v10, v12
	s_or_b32 exec_lo, exec_lo, s2
	s_and_saveexec_b32 s2, vcc_lo
	s_cbranch_execz .LBB195_423
.LBB195_487:
	ds_load_b32 v12, v11 offset:64
	s_waitcnt lgkmcnt(0)
	v_add_f32_e32 v9, v9, v12
	s_or_b32 exec_lo, exec_lo, s2
	s_and_saveexec_b32 s2, vcc_lo
	s_cbranch_execz .LBB195_424
.LBB195_488:
	ds_load_b32 v12, v11 offset:96
	s_waitcnt lgkmcnt(0)
	v_add_f32_e32 v8, v8, v12
	s_or_b32 exec_lo, exec_lo, s2
	s_and_saveexec_b32 s2, vcc_lo
	s_cbranch_execz .LBB195_425
.LBB195_489:
	ds_load_b32 v12, v11 offset:128
	s_waitcnt lgkmcnt(0)
	v_add_f32_e32 v7, v7, v12
	s_or_b32 exec_lo, exec_lo, s2
	s_and_saveexec_b32 s2, vcc_lo
	s_cbranch_execz .LBB195_426
.LBB195_490:
	ds_load_b32 v12, v11 offset:160
	s_waitcnt lgkmcnt(0)
	v_add_f32_e32 v6, v6, v12
	s_or_b32 exec_lo, exec_lo, s2
	s_and_saveexec_b32 s2, vcc_lo
	s_cbranch_execz .LBB195_427
.LBB195_491:
	ds_load_b32 v12, v11 offset:192
	s_waitcnt lgkmcnt(0)
	v_add_f32_e32 v5, v5, v12
	s_or_b32 exec_lo, exec_lo, s2
	s_and_saveexec_b32 s2, vcc_lo
	s_cbranch_execz .LBB195_428
.LBB195_492:
	ds_load_b32 v12, v11 offset:224
	s_waitcnt lgkmcnt(0)
	v_add_f32_e32 v4, v4, v12
	s_or_b32 exec_lo, exec_lo, s2
	s_and_saveexec_b32 s2, vcc_lo
	s_cbranch_execz .LBB195_429
.LBB195_493:
	ds_load_b32 v12, v11 offset:256
	s_waitcnt lgkmcnt(0)
	v_add_f32_e32 v3, v3, v12
	s_or_b32 exec_lo, exec_lo, s2
	s_and_saveexec_b32 s2, vcc_lo
	s_cbranch_execnz .LBB195_430
	s_branch .LBB195_431
	.section	.rodata,"a",@progbits
	.p2align	6, 0x0
	.amdhsa_kernel _ZN4vllm25paged_attention_v2_kernelI14__hip_bfloat16S1_Li80ELi32ELi128ELNS_18Fp8KVCacheDataTypeE0ELb0ELi512EEEvPfS3_PT_PKS4_PKT0_SA_ifPKiSC_iPKfiiiSE_SE_iiiii
		.amdhsa_group_segment_fixed_size 192
		.amdhsa_private_segment_fixed_size 0
		.amdhsa_kernarg_size 400
		.amdhsa_user_sgpr_count 13
		.amdhsa_user_sgpr_dispatch_ptr 0
		.amdhsa_user_sgpr_queue_ptr 0
		.amdhsa_user_sgpr_kernarg_segment_ptr 1
		.amdhsa_user_sgpr_dispatch_id 0
		.amdhsa_user_sgpr_private_segment_size 0
		.amdhsa_wavefront_size32 1
		.amdhsa_uses_dynamic_stack 0
		.amdhsa_enable_private_segment 0
		.amdhsa_system_sgpr_workgroup_id_x 1
		.amdhsa_system_sgpr_workgroup_id_y 1
		.amdhsa_system_sgpr_workgroup_id_z 1
		.amdhsa_system_sgpr_workgroup_info 0
		.amdhsa_system_vgpr_workitem_id 0
		.amdhsa_next_free_vgpr 176
		.amdhsa_next_free_sgpr 38
		.amdhsa_reserve_vcc 1
		.amdhsa_float_round_mode_32 0
		.amdhsa_float_round_mode_16_64 0
		.amdhsa_float_denorm_mode_32 3
		.amdhsa_float_denorm_mode_16_64 3
		.amdhsa_dx10_clamp 1
		.amdhsa_ieee_mode 1
		.amdhsa_fp16_overflow 0
		.amdhsa_workgroup_processor_mode 1
		.amdhsa_memory_ordered 1
		.amdhsa_forward_progress 0
		.amdhsa_shared_vgpr_count 0
		.amdhsa_exception_fp_ieee_invalid_op 0
		.amdhsa_exception_fp_denorm_src 0
		.amdhsa_exception_fp_ieee_div_zero 0
		.amdhsa_exception_fp_ieee_overflow 0
		.amdhsa_exception_fp_ieee_underflow 0
		.amdhsa_exception_fp_ieee_inexact 0
		.amdhsa_exception_int_div_zero 0
	.end_amdhsa_kernel
	.section	.text._ZN4vllm25paged_attention_v2_kernelI14__hip_bfloat16S1_Li80ELi32ELi128ELNS_18Fp8KVCacheDataTypeE0ELb0ELi512EEEvPfS3_PT_PKS4_PKT0_SA_ifPKiSC_iPKfiiiSE_SE_iiiii,"axG",@progbits,_ZN4vllm25paged_attention_v2_kernelI14__hip_bfloat16S1_Li80ELi32ELi128ELNS_18Fp8KVCacheDataTypeE0ELb0ELi512EEEvPfS3_PT_PKS4_PKT0_SA_ifPKiSC_iPKfiiiSE_SE_iiiii,comdat
.Lfunc_end195:
	.size	_ZN4vllm25paged_attention_v2_kernelI14__hip_bfloat16S1_Li80ELi32ELi128ELNS_18Fp8KVCacheDataTypeE0ELb0ELi512EEEvPfS3_PT_PKS4_PKT0_SA_ifPKiSC_iPKfiiiSE_SE_iiiii, .Lfunc_end195-_ZN4vllm25paged_attention_v2_kernelI14__hip_bfloat16S1_Li80ELi32ELi128ELNS_18Fp8KVCacheDataTypeE0ELb0ELi512EEEvPfS3_PT_PKS4_PKT0_SA_ifPKiSC_iPKfiiiSE_SE_iiiii
                                        ; -- End function
	.section	.AMDGPU.csdata,"",@progbits
; Kernel info:
; codeLenInByte = 19608
; NumSgprs: 40
; NumVgprs: 176
; ScratchSize: 0
; MemoryBound: 0
; FloatMode: 240
; IeeeMode: 1
; LDSByteSize: 192 bytes/workgroup (compile time only)
; SGPRBlocks: 4
; VGPRBlocks: 21
; NumSGPRsForWavesPerEU: 40
; NumVGPRsForWavesPerEU: 176
; Occupancy: 8
; WaveLimiterHint : 1
; COMPUTE_PGM_RSRC2:SCRATCH_EN: 0
; COMPUTE_PGM_RSRC2:USER_SGPR: 13
; COMPUTE_PGM_RSRC2:TRAP_HANDLER: 0
; COMPUTE_PGM_RSRC2:TGID_X_EN: 1
; COMPUTE_PGM_RSRC2:TGID_Y_EN: 1
; COMPUTE_PGM_RSRC2:TGID_Z_EN: 1
; COMPUTE_PGM_RSRC2:TIDIG_COMP_CNT: 0
	.section	.text._ZN4vllm25paged_attention_v2_kernelI14__hip_bfloat16S1_Li96ELi32ELi128ELNS_18Fp8KVCacheDataTypeE0ELb0ELi512EEEvPfS3_PT_PKS4_PKT0_SA_ifPKiSC_iPKfiiiSE_SE_iiiii,"axG",@progbits,_ZN4vllm25paged_attention_v2_kernelI14__hip_bfloat16S1_Li96ELi32ELi128ELNS_18Fp8KVCacheDataTypeE0ELb0ELi512EEEvPfS3_PT_PKS4_PKT0_SA_ifPKiSC_iPKfiiiSE_SE_iiiii,comdat
	.protected	_ZN4vllm25paged_attention_v2_kernelI14__hip_bfloat16S1_Li96ELi32ELi128ELNS_18Fp8KVCacheDataTypeE0ELb0ELi512EEEvPfS3_PT_PKS4_PKT0_SA_ifPKiSC_iPKfiiiSE_SE_iiiii ; -- Begin function _ZN4vllm25paged_attention_v2_kernelI14__hip_bfloat16S1_Li96ELi32ELi128ELNS_18Fp8KVCacheDataTypeE0ELb0ELi512EEEvPfS3_PT_PKS4_PKT0_SA_ifPKiSC_iPKfiiiSE_SE_iiiii
	.globl	_ZN4vllm25paged_attention_v2_kernelI14__hip_bfloat16S1_Li96ELi32ELi128ELNS_18Fp8KVCacheDataTypeE0ELb0ELi512EEEvPfS3_PT_PKS4_PKT0_SA_ifPKiSC_iPKfiiiSE_SE_iiiii
	.p2align	8
	.type	_ZN4vllm25paged_attention_v2_kernelI14__hip_bfloat16S1_Li96ELi32ELi128ELNS_18Fp8KVCacheDataTypeE0ELb0ELi512EEEvPfS3_PT_PKS4_PKT0_SA_ifPKiSC_iPKfiiiSE_SE_iiiii,@function
_ZN4vllm25paged_attention_v2_kernelI14__hip_bfloat16S1_Li96ELi32ELi128ELNS_18Fp8KVCacheDataTypeE0ELb0ELi512EEEvPfS3_PT_PKS4_PKT0_SA_ifPKiSC_iPKfiiiSE_SE_iiiii: ; @_ZN4vllm25paged_attention_v2_kernelI14__hip_bfloat16S1_Li96ELi32ELi128ELNS_18Fp8KVCacheDataTypeE0ELb0ELi512EEEvPfS3_PT_PKS4_PKT0_SA_ifPKiSC_iPKfiiiSE_SE_iiiii
; %bb.0:
	s_load_b64 s[2:3], s[0:1], 0x40
	s_mov_b32 s12, s15
	s_ashr_i32 s15, s14, 31
	s_delay_alu instid0(SALU_CYCLE_1)
	s_lshl_b64 s[4:5], s[14:15], 2
	s_waitcnt lgkmcnt(0)
	s_add_u32 s2, s2, s4
	s_addc_u32 s3, s3, s5
	s_lshl_b32 s29, s12, 9
	s_load_b32 s28, s[2:3], 0x0
	s_waitcnt lgkmcnt(0)
	s_cmp_ge_i32 s29, s28
	s_cbranch_scc1 .LBB196_555
; %bb.1:
	s_clause 0x1
	s_load_b32 s15, s[0:1], 0x90
	s_load_b64 s[2:3], s[0:1], 0x30
	s_mov_b32 s22, s13
	s_mov_b32 s30, 0
	s_waitcnt lgkmcnt(0)
	s_abs_i32 s7, s15
	s_abs_i32 s4, s2
	s_xor_b32 s2, s15, s2
	v_cvt_f32_u32_e32 v1, s4
	s_sub_i32 s6, 0, s4
	s_ashr_i32 s2, s2, 31
	s_delay_alu instid0(VALU_DEP_1) | instskip(SKIP_2) | instid1(VALU_DEP_1)
	v_rcp_iflag_f32_e32 v1, v1
	s_waitcnt_depctr 0xfff
	v_mul_f32_e32 v1, 0x4f7ffffe, v1
	v_cvt_u32_f32_e32 v1, v1
	s_delay_alu instid0(VALU_DEP_1) | instskip(NEXT) | instid1(VALU_DEP_1)
	v_readfirstlane_b32 s5, v1
	s_mul_i32 s6, s6, s5
	s_delay_alu instid0(SALU_CYCLE_1) | instskip(NEXT) | instid1(SALU_CYCLE_1)
	s_mul_hi_u32 s6, s5, s6
	s_add_i32 s5, s5, s6
	s_delay_alu instid0(SALU_CYCLE_1) | instskip(NEXT) | instid1(SALU_CYCLE_1)
	s_mul_hi_u32 s5, s7, s5
	s_mul_i32 s6, s5, s4
	s_delay_alu instid0(SALU_CYCLE_1)
	s_sub_i32 s6, s7, s6
	s_add_i32 s7, s5, 1
	s_sub_i32 s8, s6, s4
	s_cmp_ge_u32 s6, s4
	s_cselect_b32 s5, s7, s5
	s_cselect_b32 s6, s8, s6
	s_add_i32 s7, s5, 1
	s_cmp_ge_u32 s6, s4
	s_cselect_b32 s4, s7, s5
	s_abs_i32 s27, s13
	s_xor_b32 s4, s4, s2
	s_delay_alu instid0(SALU_CYCLE_1) | instskip(SKIP_2) | instid1(SALU_CYCLE_1)
	s_sub_i32 s8, s4, s2
	s_load_b64 s[4:5], s[0:1], 0x50
	s_abs_i32 s2, s8
	v_cvt_f32_u32_e32 v1, s2
	s_sub_i32 s7, 0, s2
	s_delay_alu instid0(VALU_DEP_1) | instskip(SKIP_2) | instid1(VALU_DEP_1)
	v_rcp_iflag_f32_e32 v1, v1
	s_waitcnt_depctr 0xfff
	v_mul_f32_e32 v1, 0x4f7ffffe, v1
	v_cvt_u32_f32_e32 v1, v1
	s_delay_alu instid0(VALU_DEP_1) | instskip(NEXT) | instid1(VALU_DEP_1)
	v_readfirstlane_b32 s6, v1
	s_mul_i32 s7, s7, s6
	s_delay_alu instid0(SALU_CYCLE_1) | instskip(NEXT) | instid1(SALU_CYCLE_1)
	s_mul_hi_u32 s7, s6, s7
	s_add_i32 s6, s6, s7
	s_waitcnt lgkmcnt(0)
	s_cmp_eq_u64 s[4:5], 0
	s_mul_hi_u32 s26, s27, s6
	s_cbranch_scc1 .LBB196_3
; %bb.2:
	s_ashr_i32 s23, s22, 31
	s_delay_alu instid0(SALU_CYCLE_1) | instskip(NEXT) | instid1(SALU_CYCLE_1)
	s_lshl_b64 s[6:7], s[22:23], 2
	s_add_u32 s4, s4, s6
	s_addc_u32 s5, s5, s7
	s_load_b32 s30, s[4:5], 0x0
.LBB196_3:
	s_clause 0x1
	s_load_b64 s[20:21], s[0:1], 0x38
	s_load_b128 s[4:7], s[0:1], 0x58
	s_waitcnt lgkmcnt(0)
	s_ashr_i32 s7, s22, 31
	s_ashr_i32 s31, s8, 31
	s_mul_i32 s16, s22, 0x60
	s_mov_b32 s8, exec_lo
	v_cmpx_gt_u32_e32 12, v0
	s_cbranch_execz .LBB196_5
; %bb.4:
	s_load_b64 s[10:11], s[0:1], 0x18
	s_mul_i32 s18, s14, s4
	v_lshlrev_b32_e32 v5, 4, v0
	s_ashr_i32 s19, s18, 31
	s_delay_alu instid0(SALU_CYCLE_1) | instskip(SKIP_4) | instid1(SALU_CYCLE_1)
	s_lshl_b64 s[18:19], s[18:19], 1
	s_waitcnt lgkmcnt(0)
	s_add_u32 s4, s10, s18
	s_addc_u32 s9, s11, s19
	s_ashr_i32 s17, s16, 31
	s_lshl_b64 s[10:11], s[16:17], 1
	s_delay_alu instid0(SALU_CYCLE_1)
	s_add_u32 s10, s4, s10
	s_addc_u32 s11, s9, s11
	global_load_b128 v[1:4], v5, s[10:11]
	s_waitcnt vmcnt(0)
	ds_store_b128 v5, v[1:4]
.LBB196_5:
	s_or_b32 exec_lo, exec_lo, s8
	s_add_i32 s4, s28, 31
	s_clause 0x1
	s_load_b128 s[8:11], s[0:1], 0x0
	s_load_b64 s[18:19], s[0:1], 0x10
	s_ashr_i32 s13, s4, 31
	s_mul_i32 s34, s26, s2
	s_lshr_b32 s17, s13, 27
	s_lshl_b32 s13, s12, 4
	s_add_i32 s4, s4, s17
	s_load_b64 s[24:25], s[0:1], 0x28
	s_ashr_i32 s23, s4, 5
	s_clause 0x1
	s_load_b32 s4, s[0:1], 0x98
	s_load_b32 s33, s[0:1], 0x48
	s_add_i32 s17, s13, 16
	s_sub_i32 s27, s27, s34
	s_min_i32 s17, s17, s23
	s_xor_b32 s7, s7, s31
	s_add_i32 s31, s26, 1
	s_sub_i32 s34, s27, s2
	s_cmp_ge_u32 s27, s2
	v_lshrrev_b32_e32 v41, 5, v0
	s_cselect_b32 s26, s31, s26
	s_cselect_b32 s27, s34, s27
	s_add_i32 s31, s26, 1
	s_cmp_ge_u32 s27, s2
	v_dual_mov_b32 v140, 0xff7fffff :: v_dual_add_nc_u32 v37, s13, v41
	v_and_b32_e32 v42, 31, v0
	s_cselect_b32 s2, s31, s26
	s_waitcnt lgkmcnt(0)
	s_xor_b32 s2, s2, s7
	v_ashrrev_i32_e32 v38, 31, v37
	s_sub_i32 s7, s2, s7
	v_cmp_gt_i32_e64 s2, s17, v37
	v_lshlrev_b32_e32 v43, 2, v42
	s_mul_i32 s26, s14, s33
	s_mul_i32 s6, s7, s6
	s_ashr_i32 s27, s26, 31
	s_barrier
	buffer_gl0_inv
	s_and_saveexec_b32 s31, s2
	s_cbranch_execz .LBB196_9
; %bb.6:
	v_mov_b32_e32 v33, 0
	s_load_b64 s[0:1], s[0:1], 0x20
	s_ashr_i32 s7, s6, 31
	ds_load_b128 v[1:4], v33
	ds_load_b128 v[5:8], v33 offset:16
	ds_load_b128 v[9:12], v33 offset:32
	;; [unrolled: 1-line block ×7, first 2 shown]
	s_lshl_b64 s[34:35], s[6:7], 1
	v_dual_mov_b32 v140, 0xff7fffff :: v_dual_mov_b32 v145, v37
	s_waitcnt lgkmcnt(0)
	v_bfi_b32 v44, 0xffff, 0, v1
	v_lshlrev_b32_e32 v45, 16, v1
	v_bfi_b32 v46, 0xffff, 0, v2
	v_lshlrev_b32_e32 v47, 16, v2
	v_bfi_b32 v48, 0xffff, 0, v3
	v_lshlrev_b32_e32 v49, 16, v3
	v_bfi_b32 v50, 0xffff, 0, v4
	v_lshlrev_b32_e32 v51, 16, v4
	v_lshlrev_b32_e32 v102, 16, v16
	ds_load_b128 v[1:4], v33 offset:128
	v_bfi_b32 v52, 0xffff, 0, v5
	v_lshlrev_b32_e32 v53, 16, v5
	v_bfi_b32 v54, 0xffff, 0, v6
	v_lshlrev_b32_e32 v55, 16, v6
	;; [unrolled: 2-line block ×4, first 2 shown]
	ds_load_b128 v[5:8], v33 offset:144
	v_bfi_b32 v60, 0xffff, 0, v9
	v_lshlrev_b32_e32 v61, 16, v9
	v_bfi_b32 v62, 0xffff, 0, v10
	v_lshlrev_b32_e32 v63, 16, v10
	;; [unrolled: 2-line block ×7, first 2 shown]
	v_bfi_b32 v101, 0xffff, 0, v16
	ds_load_b128 v[9:12], v33 offset:160
	ds_load_b128 v[13:16], v33 offset:176
	s_waitcnt lgkmcnt(3)
	v_bfi_b32 v78, 0xffff, 0, v1
	v_lshlrev_b32_e32 v79, 16, v1
	v_bfi_b32 v92, 0xffff, 0, v2
	v_lshlrev_b32_e32 v93, 16, v2
	v_lshlrev_b64 v[1:2], 2, v[37:38]
	s_add_u32 s33, s0, s34
	s_addc_u32 s34, s1, s35
	s_lshl_b64 s[0:1], s[26:27], 2
	s_sub_i32 s7, 1, s28
	s_add_u32 s0, s20, s0
	v_bfi_b32 v112, 0xffff, 0, v3
	v_add_co_u32 v39, vcc_lo, s0, v1
	v_lshlrev_b32_e32 v1, 4, v42
	v_lshlrev_b32_e32 v115, 16, v3
	v_bfi_b32 v120, 0xffff, 0, v4
	v_lshlrev_b32_e32 v121, 16, v4
	v_lshlrev_b32_e32 v3, 5, v41
	v_lshl_or_b32 v4, v41, 7, v43
	s_addc_u32 s1, s21, s1
	v_add_co_u32 v143, s0, s33, v1
	v_add_co_ci_u32_e32 v40, vcc_lo, s1, v2, vcc_lo
	v_bfi_b32 v70, 0xffff, 0, v17
	v_lshlrev_b32_e32 v71, 16, v17
	v_bfi_b32 v72, 0xffff, 0, v21
	v_lshlrev_b32_e32 v73, 16, v21
	;; [unrolled: 2-line block ×4, first 2 shown]
	s_waitcnt lgkmcnt(2)
	v_bfi_b32 v80, 0xffff, 0, v5
	v_lshlrev_b32_e32 v81, 16, v5
	v_bfi_b32 v84, 0xffff, 0, v18
	v_lshlrev_b32_e32 v85, 16, v18
	;; [unrolled: 2-line block ×8, first 2 shown]
	v_bfi_b32 v104, 0xffff, 0, v27
	v_bfi_b32 v105, 0xffff, 0, v20
	v_lshlrev_b32_e32 v106, 16, v20
	v_lshlrev_b32_e32 v107, 16, v27
	v_bfi_b32 v108, 0xffff, 0, v31
	v_bfi_b32 v109, 0xffff, 0, v24
	v_lshlrev_b32_e32 v110, 16, v24
	v_lshlrev_b32_e32 v111, 16, v31
	v_bfi_b32 v113, 0xffff, 0, v28
	v_lshlrev_b32_e32 v114, 16, v28
	v_bfi_b32 v116, 0xffff, 0, v7
	v_bfi_b32 v117, 0xffff, 0, v32
	v_lshlrev_b32_e32 v118, 16, v32
	v_lshlrev_b32_e32 v119, 16, v7
	v_bfi_b32 v122, 0xffff, 0, v8
	v_lshlrev_b32_e32 v123, 16, v8
	s_waitcnt lgkmcnt(1)
	v_bfi_b32 v124, 0xffff, 0, v9
	v_lshlrev_b32_e32 v125, 16, v9
	v_bfi_b32 v126, 0xffff, 0, v10
	v_lshlrev_b32_e32 v127, 16, v10
	v_bfi_b32 v128, 0xffff, 0, v11
	v_lshlrev_b32_e32 v129, 16, v11
	v_bfi_b32 v130, 0xffff, 0, v12
	v_lshlrev_b32_e32 v131, 16, v12
	s_waitcnt lgkmcnt(0)
	v_bfi_b32 v132, 0xffff, 0, v13
	v_lshlrev_b32_e32 v133, 16, v13
	v_bfi_b32 v134, 0xffff, 0, v14
	v_lshlrev_b32_e32 v135, 16, v14
	;; [unrolled: 2-line block ×4, first 2 shown]
	v_cmp_neq_f32_e64 vcc_lo, s30, 0
	v_add3_u32 v141, s29, v3, v42
	v_add_nc_u32_e32 v142, 0xe0, v4
	v_add_co_ci_u32_e64 v144, null, s34, 0, s0
	s_mov_b32 s34, s5
	s_mov_b32 s33, 0
.LBB196_7:                              ; =>This Inner Loop Header: Depth=1
	global_load_b32 v3, v[39:40], off
	v_add_nc_u32_e32 v145, 4, v145
	s_waitcnt vmcnt(0)
	v_mad_i64_i32 v[1:2], null, v3, s34, 0
	s_delay_alu instid0(VALU_DEP_1) | instskip(NEXT) | instid1(VALU_DEP_1)
	v_lshlrev_b64 v[1:2], 1, v[1:2]
	v_add_co_u32 v5, s0, v143, v1
	v_add_nc_u32_e32 v1, s7, v141
	s_delay_alu instid0(VALU_DEP_3) | instskip(SKIP_2) | instid1(VALU_DEP_4)
	v_add_co_ci_u32_e64 v6, s0, v144, v2, s0
	v_cmp_gt_i32_e64 s0, s28, v141
	v_add_nc_u32_e32 v141, 0x80, v141
	v_cvt_f32_i32_e32 v1, v1
	global_load_b128 v[17:20], v[5:6], off offset:2048
	v_mul_f32_e32 v1, s30, v1
	s_delay_alu instid0(VALU_DEP_1)
	v_cndmask_b32_e32 v146, 0, v1, vcc_lo
	global_load_b128 v[1:4], v[5:6], off
	s_waitcnt vmcnt(0)
	v_lshlrev_b32_e32 v157, 16, v2
	v_and_b32_e32 v156, 0xffff0000, v1
	v_lshlrev_b32_e32 v155, 16, v1
	v_and_b32_e32 v158, 0xffff0000, v2
	;; [unrolled: 2-line block ×4, first 2 shown]
	global_load_b128 v[1:4], v[5:6], off offset:512
	s_waitcnt vmcnt(0)
	v_and_b32_e32 v148, 0xffff0000, v1
	v_and_b32_e32 v161, 0xffff0000, v2
	v_lshlrev_b32_e32 v162, 16, v2
	v_and_b32_e32 v163, 0xffff0000, v3
	v_lshlrev_b32_e32 v164, 16, v3
	v_lshlrev_b32_e32 v147, 16, v1
	v_and_b32_e32 v151, 0xffff0000, v4
	v_lshlrev_b32_e32 v152, 16, v4
	s_clause 0x4
	global_load_b128 v[1:4], v[5:6], off offset:1024
	global_load_b128 v[33:36], v[5:6], off offset:1536
	;; [unrolled: 1-line block ×5, first 2 shown]
	v_dual_mul_f32 v147, v53, v147 :: v_dual_mul_f32 v148, v52, v148
	s_delay_alu instid0(VALU_DEP_1) | instskip(SKIP_4) | instid1(VALU_DEP_3)
	v_dual_fmac_f32 v148, v44, v156 :: v_dual_fmac_f32 v147, v45, v155
	s_waitcnt vmcnt(4)
	v_and_b32_e32 v165, 0xffff0000, v1
	v_lshlrev_b32_e32 v166, 16, v1
	v_add_co_u32 v1, s1, 0x1000, v5
	v_dual_fmac_f32 v148, v60, v165 :: v_dual_and_b32 v153, 0xffff0000, v4
	s_delay_alu instid0(VALU_DEP_3) | instskip(SKIP_3) | instid1(VALU_DEP_2)
	v_fmac_f32_e32 v147, v61, v166
	s_waitcnt vmcnt(3)
	v_lshlrev_b32_e32 v155, 16, v33
	v_and_b32_e32 v33, 0xffff0000, v33
	v_dual_fmac_f32 v147, v69, v155 :: v_dual_lshlrev_b32 v154, 16, v4
	s_delay_alu instid0(VALU_DEP_2) | instskip(SKIP_2) | instid1(VALU_DEP_2)
	v_fmac_f32_e32 v148, v68, v33
	v_and_b32_e32 v33, 0xffff0000, v17
	v_lshlrev_b32_e32 v17, 16, v17
	v_fmac_f32_e32 v148, v70, v33
	s_delay_alu instid0(VALU_DEP_2) | instskip(SKIP_3) | instid1(VALU_DEP_2)
	v_fmac_f32_e32 v147, v71, v17
	s_waitcnt vmcnt(2)
	v_lshlrev_b32_e32 v17, 16, v29
	v_and_b32_e32 v29, 0xffff0000, v29
	v_fmac_f32_e32 v147, v73, v17
	s_delay_alu instid0(VALU_DEP_2) | instskip(SKIP_3) | instid1(VALU_DEP_2)
	v_fmac_f32_e32 v148, v72, v29
	s_waitcnt vmcnt(1)
	v_and_b32_e32 v17, 0xffff0000, v25
	v_lshlrev_b32_e32 v25, 16, v25
	v_fmac_f32_e32 v148, v74, v17
	s_delay_alu instid0(VALU_DEP_2)
	v_fmac_f32_e32 v147, v75, v25
	s_waitcnt vmcnt(0)
	v_lshlrev_b32_e32 v17, 16, v21
	v_lshlrev_b32_e32 v168, 16, v2
	v_and_b32_e32 v21, 0xffff0000, v21
	v_and_b32_e32 v167, 0xffff0000, v2
	v_add_co_ci_u32_e64 v2, s1, 0, v6, s1
	v_fmac_f32_e32 v147, v77, v17
	s_delay_alu instid0(VALU_DEP_4)
	v_dual_fmac_f32 v148, v76, v21 :: v_dual_and_b32 v169, 0xffff0000, v3
	v_lshlrev_b32_e32 v170, 16, v3
	s_clause 0x3
	global_load_b128 v[13:16], v[1:2], off
	global_load_b128 v[9:12], v[1:2], off offset:512
	global_load_b128 v[5:8], v[1:2], off offset:1024
	;; [unrolled: 1-line block ×3, first 2 shown]
	s_waitcnt vmcnt(3)
	v_and_b32_e32 v17, 0xffff0000, v13
	v_lshlrev_b32_e32 v13, 16, v13
	s_delay_alu instid0(VALU_DEP_2) | instskip(NEXT) | instid1(VALU_DEP_2)
	v_fmac_f32_e32 v148, v78, v17
	v_fmac_f32_e32 v147, v79, v13
	s_waitcnt vmcnt(2)
	v_lshlrev_b32_e32 v13, 16, v9
	v_and_b32_e32 v9, 0xffff0000, v9
	s_delay_alu instid0(VALU_DEP_2) | instskip(NEXT) | instid1(VALU_DEP_2)
	v_fmac_f32_e32 v147, v81, v13
	v_fmac_f32_e32 v148, v80, v9
	s_waitcnt vmcnt(1)
	v_and_b32_e32 v9, 0xffff0000, v5
	v_lshlrev_b32_e32 v5, 16, v5
	s_delay_alu instid0(VALU_DEP_2) | instskip(NEXT) | instid1(VALU_DEP_2)
	v_dual_fmac_f32 v148, v124, v9 :: v_dual_and_b32 v13, 0xffff0000, v34
	v_fmac_f32_e32 v147, v125, v5
	s_waitcnt vmcnt(0)
	v_lshlrev_b32_e32 v5, 16, v1
	v_and_b32_e32 v1, 0xffff0000, v1
	v_lshlrev_b32_e32 v9, 16, v34
	s_delay_alu instid0(VALU_DEP_3) | instskip(SKIP_1) | instid1(VALU_DEP_1)
	v_fmac_f32_e32 v147, v133, v5
	v_mul_f32_e32 v5, v55, v162
	v_fmac_f32_e32 v5, v47, v157
	v_fmac_f32_e32 v148, v132, v1
	v_mul_f32_e32 v1, v54, v161
	s_delay_alu instid0(VALU_DEP_3) | instskip(NEXT) | instid1(VALU_DEP_2)
	v_fmac_f32_e32 v5, v63, v168
	v_fmac_f32_e32 v1, v46, v158
	s_delay_alu instid0(VALU_DEP_2) | instskip(SKIP_1) | instid1(VALU_DEP_3)
	v_fmac_f32_e32 v5, v83, v9
	v_and_b32_e32 v9, 0xffff0000, v18
	v_fmac_f32_e32 v1, v62, v167
	s_delay_alu instid0(VALU_DEP_1) | instskip(SKIP_1) | instid1(VALU_DEP_2)
	v_fmac_f32_e32 v1, v82, v13
	v_lshlrev_b32_e32 v13, 16, v18
	v_fmac_f32_e32 v1, v84, v9
	s_delay_alu instid0(VALU_DEP_2) | instskip(SKIP_2) | instid1(VALU_DEP_2)
	v_fmac_f32_e32 v5, v85, v13
	v_lshlrev_b32_e32 v9, 16, v30
	v_and_b32_e32 v13, 0xffff0000, v30
	v_fmac_f32_e32 v5, v87, v9
	s_delay_alu instid0(VALU_DEP_2) | instskip(SKIP_2) | instid1(VALU_DEP_2)
	v_fmac_f32_e32 v1, v86, v13
	v_and_b32_e32 v9, 0xffff0000, v26
	v_lshlrev_b32_e32 v13, 16, v26
	v_fmac_f32_e32 v1, v88, v9
	s_delay_alu instid0(VALU_DEP_2) | instskip(SKIP_2) | instid1(VALU_DEP_2)
	v_fmac_f32_e32 v5, v89, v13
	v_lshlrev_b32_e32 v9, 16, v22
	v_and_b32_e32 v13, 0xffff0000, v22
	v_fmac_f32_e32 v5, v91, v9
	s_delay_alu instid0(VALU_DEP_2) | instskip(SKIP_2) | instid1(VALU_DEP_2)
	v_fmac_f32_e32 v1, v90, v13
	v_and_b32_e32 v9, 0xffff0000, v14
	v_lshlrev_b32_e32 v13, 16, v14
	v_fmac_f32_e32 v1, v92, v9
	s_delay_alu instid0(VALU_DEP_2) | instskip(SKIP_1) | instid1(VALU_DEP_1)
	v_fmac_f32_e32 v5, v93, v13
	v_lshlrev_b32_e32 v9, 16, v10
	v_dual_fmac_f32 v5, v95, v9 :: v_dual_and_b32 v10, 0xffff0000, v10
	s_delay_alu instid0(VALU_DEP_1) | instskip(SKIP_2) | instid1(VALU_DEP_2)
	v_fmac_f32_e32 v1, v94, v10
	v_and_b32_e32 v9, 0xffff0000, v6
	v_lshlrev_b32_e32 v6, 16, v6
	v_dual_fmac_f32 v1, v126, v9 :: v_dual_and_b32 v10, 0xffff0000, v35
	s_delay_alu instid0(VALU_DEP_2) | instskip(SKIP_3) | instid1(VALU_DEP_3)
	v_fmac_f32_e32 v5, v127, v6
	v_lshlrev_b32_e32 v6, 16, v2
	v_and_b32_e32 v2, 0xffff0000, v2
	v_lshlrev_b32_e32 v9, 16, v35
	v_fmac_f32_e32 v5, v135, v6
	s_delay_alu instid0(VALU_DEP_3) | instskip(SKIP_1) | instid1(VALU_DEP_2)
	v_dual_fmac_f32 v1, v134, v2 :: v_dual_mul_f32 v2, v57, v164
	v_mul_f32_e32 v6, v56, v163
	v_fmac_f32_e32 v2, v49, v159
	s_delay_alu instid0(VALU_DEP_2) | instskip(NEXT) | instid1(VALU_DEP_2)
	v_fmac_f32_e32 v6, v48, v160
	v_fmac_f32_e32 v2, v65, v170
	s_delay_alu instid0(VALU_DEP_2) | instskip(NEXT) | instid1(VALU_DEP_2)
	v_fmac_f32_e32 v6, v64, v169
	v_fmac_f32_e32 v2, v97, v9
	s_delay_alu instid0(VALU_DEP_2) | instskip(SKIP_1) | instid1(VALU_DEP_2)
	v_dual_fmac_f32 v6, v96, v10 :: v_dual_and_b32 v9, 0xffff0000, v19
	v_lshlrev_b32_e32 v10, 16, v19
	v_fmac_f32_e32 v6, v98, v9
	s_delay_alu instid0(VALU_DEP_2) | instskip(SKIP_1) | instid1(VALU_DEP_2)
	v_dual_fmac_f32 v2, v99, v10 :: v_dual_lshlrev_b32 v9, 16, v31
	v_and_b32_e32 v10, 0xffff0000, v31
	v_fmac_f32_e32 v2, v103, v9
	s_delay_alu instid0(VALU_DEP_2) | instskip(SKIP_1) | instid1(VALU_DEP_2)
	v_dual_fmac_f32 v6, v100, v10 :: v_dual_and_b32 v9, 0xffff0000, v27
	v_lshlrev_b32_e32 v10, 16, v27
	v_fmac_f32_e32 v6, v104, v9
	s_delay_alu instid0(VALU_DEP_2) | instskip(SKIP_1) | instid1(VALU_DEP_2)
	v_dual_fmac_f32 v2, v107, v10 :: v_dual_lshlrev_b32 v9, 16, v23
	v_and_b32_e32 v10, 0xffff0000, v23
	;; [unrolled: 8-line block ×3, first 2 shown]
	v_fmac_f32_e32 v2, v119, v9
	s_delay_alu instid0(VALU_DEP_2) | instskip(SKIP_2) | instid1(VALU_DEP_3)
	v_dual_fmac_f32 v6, v116, v10 :: v_dual_and_b32 v9, 0xffff0000, v7
	v_lshlrev_b32_e32 v7, 16, v7
	v_and_b32_e32 v10, 0xffff0000, v36
	v_fmac_f32_e32 v6, v128, v9
	s_delay_alu instid0(VALU_DEP_3) | instskip(SKIP_2) | instid1(VALU_DEP_2)
	v_fmac_f32_e32 v2, v129, v7
	v_lshlrev_b32_e32 v7, 16, v3
	v_and_b32_e32 v3, 0xffff0000, v3
	v_dual_fmac_f32 v2, v137, v7 :: v_dual_lshlrev_b32 v9, 16, v36
	s_delay_alu instid0(VALU_DEP_2) | instskip(SKIP_1) | instid1(VALU_DEP_2)
	v_dual_fmac_f32 v6, v136, v3 :: v_dual_mul_f32 v3, v59, v152
	v_mul_f32_e32 v7, v58, v151
	v_fmac_f32_e32 v3, v51, v149
	s_delay_alu instid0(VALU_DEP_2) | instskip(NEXT) | instid1(VALU_DEP_2)
	v_fmac_f32_e32 v7, v50, v150
	v_fmac_f32_e32 v3, v67, v154
	s_delay_alu instid0(VALU_DEP_2) | instskip(NEXT) | instid1(VALU_DEP_2)
	v_fmac_f32_e32 v7, v66, v153
	v_fmac_f32_e32 v3, v102, v9
	s_delay_alu instid0(VALU_DEP_2) | instskip(SKIP_1) | instid1(VALU_DEP_1)
	v_fmac_f32_e32 v7, v101, v10
	v_and_b32_e32 v9, 0xffff0000, v20
	v_dual_fmac_f32 v7, v105, v9 :: v_dual_lshlrev_b32 v10, 16, v20
	s_delay_alu instid0(VALU_DEP_1) | instskip(SKIP_1) | instid1(VALU_DEP_1)
	v_fmac_f32_e32 v3, v106, v10
	v_lshlrev_b32_e32 v9, 16, v32
	v_dual_fmac_f32 v3, v110, v9 :: v_dual_and_b32 v10, 0xffff0000, v32
	s_delay_alu instid0(VALU_DEP_1) | instskip(SKIP_1) | instid1(VALU_DEP_1)
	v_fmac_f32_e32 v7, v109, v10
	v_and_b32_e32 v9, 0xffff0000, v28
	v_dual_fmac_f32 v7, v113, v9 :: v_dual_lshlrev_b32 v10, 16, v28
	s_delay_alu instid0(VALU_DEP_1) | instskip(SKIP_1) | instid1(VALU_DEP_1)
	v_fmac_f32_e32 v3, v114, v10
	v_lshlrev_b32_e32 v9, 16, v24
	v_dual_fmac_f32 v3, v118, v9 :: v_dual_and_b32 v10, 0xffff0000, v24
	s_delay_alu instid0(VALU_DEP_1) | instskip(SKIP_1) | instid1(VALU_DEP_1)
	;; [unrolled: 8-line block ×3, first 2 shown]
	v_fmac_f32_e32 v7, v122, v10
	v_and_b32_e32 v9, 0xffff0000, v8
	v_dual_fmac_f32 v7, v130, v9 :: v_dual_lshlrev_b32 v8, 16, v8
	s_delay_alu instid0(VALU_DEP_1) | instskip(SKIP_2) | instid1(VALU_DEP_2)
	v_fmac_f32_e32 v3, v131, v8
	v_lshlrev_b32_e32 v8, 16, v4
	v_and_b32_e32 v4, 0xffff0000, v4
	v_fmac_f32_e32 v3, v139, v8
	s_delay_alu instid0(VALU_DEP_2) | instskip(SKIP_1) | instid1(VALU_DEP_1)
	v_fmac_f32_e32 v7, v138, v4
	v_add_f32_e32 v4, v147, v148
	v_add_f32_e32 v4, v4, v5
	s_delay_alu instid0(VALU_DEP_1) | instskip(NEXT) | instid1(VALU_DEP_1)
	v_add_f32_e32 v1, v1, v4
	v_dual_add_f32 v1, v2, v1 :: v_dual_max_f32 v2, v140, v140
	s_delay_alu instid0(VALU_DEP_1) | instskip(NEXT) | instid1(VALU_DEP_1)
	v_add_f32_e32 v1, v6, v1
	v_add_f32_e32 v1, v3, v1
	s_delay_alu instid0(VALU_DEP_1) | instskip(NEXT) | instid1(VALU_DEP_1)
	v_add_f32_e32 v1, v7, v1
	v_fmac_f32_e32 v146, s3, v1
	s_delay_alu instid0(VALU_DEP_1) | instskip(SKIP_1) | instid1(VALU_DEP_2)
	v_max_f32_e32 v2, v2, v146
	v_cndmask_b32_e64 v1, 0, v146, s0
	v_cndmask_b32_e64 v140, v140, v2, s0
	v_add_co_u32 v39, s0, v39, 16
	s_delay_alu instid0(VALU_DEP_1) | instskip(SKIP_4) | instid1(SALU_CYCLE_1)
	v_add_co_ci_u32_e64 v40, s0, 0, v40, s0
	v_cmp_le_i32_e64 s0, s17, v145
	ds_store_b32 v142, v1
	v_add_nc_u32_e32 v142, 0x200, v142
	s_or_b32 s33, s0, s33
	s_and_not1_b32 exec_lo, exec_lo, s33
	s_cbranch_execnz .LBB196_7
; %bb.8:
	s_or_b32 exec_lo, exec_lo, s33
.LBB196_9:
	s_delay_alu instid0(SALU_CYCLE_1) | instskip(SKIP_2) | instid1(VALU_DEP_2)
	s_or_b32 exec_lo, exec_lo, s31
	v_mbcnt_lo_u32_b32 v1, -1, 0
	v_max_f32_e32 v5, v140, v140
	v_xor_b32_e32 v2, 16, v1
	v_xor_b32_e32 v4, 8, v1
	s_delay_alu instid0(VALU_DEP_2) | instskip(SKIP_1) | instid1(VALU_DEP_3)
	v_cmp_gt_i32_e32 vcc_lo, 32, v2
	v_cndmask_b32_e32 v2, v1, v2, vcc_lo
	v_cmp_gt_i32_e32 vcc_lo, 32, v4
	s_delay_alu instid0(VALU_DEP_2) | instskip(SKIP_4) | instid1(VALU_DEP_1)
	v_lshlrev_b32_e32 v2, 2, v2
	v_cndmask_b32_e32 v4, v1, v4, vcc_lo
	ds_bpermute_b32 v3, v2, v140
	s_waitcnt lgkmcnt(0)
	v_dual_max_f32 v6, v3, v3 :: v_dual_lshlrev_b32 v3, 2, v4
	v_max_f32_e32 v4, v5, v6
	v_xor_b32_e32 v6, 4, v1
	ds_bpermute_b32 v5, v3, v4
	v_cmp_gt_i32_e32 vcc_lo, 32, v6
	v_cndmask_b32_e32 v6, v1, v6, vcc_lo
	s_waitcnt lgkmcnt(0)
	v_max_f32_e32 v7, v5, v5
	s_delay_alu instid0(VALU_DEP_1)
	v_dual_max_f32 v4, v4, v7 :: v_dual_lshlrev_b32 v5, 2, v6
	v_xor_b32_e32 v7, 2, v1
	ds_bpermute_b32 v6, v5, v4
	v_cmp_gt_i32_e32 vcc_lo, 32, v7
	s_waitcnt lgkmcnt(0)
	v_dual_cndmask_b32 v7, v1, v7 :: v_dual_max_f32 v6, v6, v6
	s_delay_alu instid0(VALU_DEP_1) | instskip(NEXT) | instid1(VALU_DEP_2)
	v_max_f32_e32 v4, v4, v6
	v_lshlrev_b32_e32 v12, 2, v7
	v_xor_b32_e32 v7, 1, v1
	s_delay_alu instid0(VALU_DEP_1)
	v_cmp_gt_i32_e32 vcc_lo, 32, v7
	v_cndmask_b32_e32 v7, v1, v7, vcc_lo
	ds_bpermute_b32 v6, v12, v4
	v_cmp_eq_u32_e32 vcc_lo, 0, v42
	s_waitcnt lgkmcnt(0)
	v_dual_max_f32 v6, v6, v6 :: v_dual_lshlrev_b32 v11, 2, v7
	s_delay_alu instid0(VALU_DEP_1)
	v_dual_max_f32 v1, v4, v6 :: v_dual_lshlrev_b32 v6, 2, v41
	ds_bpermute_b32 v4, v11, v1
	s_and_saveexec_b32 s0, vcc_lo
	s_cbranch_execz .LBB196_11
; %bb.10:
	s_waitcnt lgkmcnt(0)
	v_dual_max_f32 v4, v4, v4 :: v_dual_max_f32 v1, v1, v1
	s_delay_alu instid0(VALU_DEP_1)
	v_max_f32_e32 v1, v1, v4
	ds_store_b32 v6, v1 offset:192
.LBB196_11:
	s_or_b32 exec_lo, exec_lo, s0
	v_cmp_gt_u32_e64 s0, 4, v42
	v_mov_b32_e32 v1, 0xff7fffff
	s_waitcnt lgkmcnt(0)
	s_barrier
	buffer_gl0_inv
	s_and_saveexec_b32 s1, s0
	s_cbranch_execz .LBB196_13
; %bb.12:
	ds_load_b32 v1, v43 offset:192
.LBB196_13:
	s_or_b32 exec_lo, exec_lo, s1
	s_waitcnt lgkmcnt(0)
	ds_bpermute_b32 v4, v12, v1
	v_max_f32_e32 v1, v1, v1
	s_sub_i32 s1, s17, s13
	v_mov_b32_e32 v7, 0
	s_lshl_b32 s1, s1, 5
	s_delay_alu instid0(SALU_CYCLE_1) | instskip(NEXT) | instid1(SALU_CYCLE_1)
	s_add_i32 s1, s1, s29
	s_min_i32 s1, s1, s28
	s_delay_alu instid0(SALU_CYCLE_1) | instskip(NEXT) | instid1(SALU_CYCLE_1)
	s_sub_i32 s7, s1, s29
	v_cmp_gt_i32_e64 s1, s7, v0
	s_waitcnt lgkmcnt(0)
	v_max_f32_e32 v4, v4, v4
	s_delay_alu instid0(VALU_DEP_1) | instskip(SKIP_3) | instid1(VALU_DEP_1)
	v_max_f32_e32 v1, v1, v4
	ds_bpermute_b32 v4, v11, v1
	s_waitcnt lgkmcnt(0)
	v_max_f32_e32 v4, v4, v4
	v_max_f32_e32 v1, v1, v4
	v_lshl_add_u32 v4, v0, 2, 0xe0
	ds_bpermute_b32 v1, v7, v1
	s_and_saveexec_b32 s13, s1
	s_cbranch_execz .LBB196_17
; %bb.14:
	v_lshl_add_u32 v8, v0, 2, 0xe0
	v_mov_b32_e32 v7, 0
	v_mov_b32_e32 v9, v0
	s_mov_b32 s30, 0
	.p2align	6
.LBB196_15:                             ; =>This Inner Loop Header: Depth=1
	ds_load_b32 v10, v8
	v_add_nc_u32_e32 v9, 0x80, v9
	s_delay_alu instid0(VALU_DEP_1) | instskip(NEXT) | instid1(VALU_DEP_1)
	v_cmp_le_i32_e64 s3, s7, v9
	s_or_b32 s30, s3, s30
	s_waitcnt lgkmcnt(0)
	v_sub_f32_e32 v10, v10, v1
	s_delay_alu instid0(VALU_DEP_1) | instskip(NEXT) | instid1(VALU_DEP_1)
	v_mul_f32_e32 v10, 0x3fb8aa3b, v10
	v_exp_f32_e32 v10, v10
	ds_store_b32 v8, v10
	v_dual_add_f32 v7, v7, v10 :: v_dual_add_nc_u32 v8, 0x200, v8
	s_and_not1_b32 exec_lo, exec_lo, s30
	s_cbranch_execnz .LBB196_15
; %bb.16:
	s_or_b32 exec_lo, exec_lo, s30
.LBB196_17:
	s_delay_alu instid0(SALU_CYCLE_1)
	s_or_b32 exec_lo, exec_lo, s13
	ds_bpermute_b32 v2, v2, v7
	s_waitcnt lgkmcnt(0)
	v_add_f32_e32 v2, v7, v2
	ds_bpermute_b32 v3, v3, v2
	s_waitcnt lgkmcnt(0)
	v_add_f32_e32 v2, v2, v3
	;; [unrolled: 3-line block ×5, first 2 shown]
	s_and_saveexec_b32 s3, vcc_lo
	s_cbranch_execz .LBB196_19
; %bb.18:
	ds_store_b32 v6, v2 offset:208
.LBB196_19:
	s_or_b32 exec_lo, exec_lo, s3
	s_waitcnt lgkmcnt(0)
	s_barrier
	buffer_gl0_inv
	s_and_saveexec_b32 s3, s0
	s_cbranch_execz .LBB196_21
; %bb.20:
	ds_load_b32 v2, v43 offset:208
.LBB196_21:
	s_or_b32 exec_lo, exec_lo, s3
	s_waitcnt lgkmcnt(0)
	ds_bpermute_b32 v3, v12, v2
	s_waitcnt lgkmcnt(0)
	v_add_f32_e32 v2, v2, v3
	ds_bpermute_b32 v3, v11, v2
	s_waitcnt lgkmcnt(0)
	v_dual_add_f32 v2, v2, v3 :: v_dual_mov_b32 v3, 0
	ds_bpermute_b32 v2, v3, v2
	s_and_saveexec_b32 s0, s1
	s_cbranch_execz .LBB196_24
; %bb.22:
	s_waitcnt lgkmcnt(0)
	v_add_f32_e32 v3, 0x358637bd, v2
	s_mov_b32 s1, 0
	s_delay_alu instid0(VALU_DEP_1) | instskip(SKIP_1) | instid1(VALU_DEP_2)
	v_div_scale_f32 v5, null, v3, v3, 1.0
	v_div_scale_f32 v8, vcc_lo, 1.0, v3, 1.0
	v_rcp_f32_e32 v6, v5
	s_waitcnt_depctr 0xfff
	v_fma_f32 v7, -v5, v6, 1.0
	s_delay_alu instid0(VALU_DEP_1) | instskip(NEXT) | instid1(VALU_DEP_1)
	v_fmac_f32_e32 v6, v7, v6
	v_mul_f32_e32 v7, v8, v6
	s_delay_alu instid0(VALU_DEP_1) | instskip(NEXT) | instid1(VALU_DEP_1)
	v_fma_f32 v9, -v5, v7, v8
	v_fmac_f32_e32 v7, v9, v6
	s_delay_alu instid0(VALU_DEP_1) | instskip(NEXT) | instid1(VALU_DEP_1)
	v_fma_f32 v5, -v5, v7, v8
	v_div_fmas_f32 v5, v5, v6, v7
	s_delay_alu instid0(VALU_DEP_1)
	v_div_fixup_f32 v3, v5, v3, 1.0
	v_mov_b32_e32 v5, v0
.LBB196_23:                             ; =>This Inner Loop Header: Depth=1
	ds_load_b32 v6, v4
	s_waitcnt lgkmcnt(0)
	v_dual_mul_f32 v6, v3, v6 :: v_dual_add_nc_u32 v5, 0x80, v5
	s_delay_alu instid0(VALU_DEP_1) | instskip(SKIP_3) | instid1(SALU_CYCLE_1)
	v_cmp_le_i32_e32 vcc_lo, s7, v5
	ds_store_b32 v4, v6
	v_add_nc_u32_e32 v4, 0x200, v4
	s_or_b32 s1, vcc_lo, s1
	s_and_not1_b32 exec_lo, exec_lo, s1
	s_cbranch_execnz .LBB196_23
.LBB196_24:
	s_or_b32 exec_lo, exec_lo, s0
	s_delay_alu instid0(SALU_CYCLE_1)
	s_mov_b32 s0, exec_lo
	s_waitcnt lgkmcnt(0)
	s_barrier
	buffer_gl0_inv
	v_cmpx_eq_u32_e32 0, v0
	s_cbranch_execz .LBB196_26
; %bb.25:
	s_mul_i32 s1, s4, s14
	s_mul_i32 s34, s4, s22
	;; [unrolled: 1-line block ×3, first 2 shown]
	v_mov_b32_e32 v3, 0
	s_ashr_i32 s31, s30, 31
	s_delay_alu instid0(SALU_CYCLE_1) | instskip(NEXT) | instid1(SALU_CYCLE_1)
	s_lshl_b64 s[30:31], s[30:31], 2
	s_add_u32 s1, s10, s30
	s_addc_u32 s3, s11, s31
	s_ashr_i32 s35, s34, 31
	s_delay_alu instid0(SALU_CYCLE_1) | instskip(NEXT) | instid1(SALU_CYCLE_1)
	s_lshl_b64 s[10:11], s[34:35], 2
	s_add_u32 s1, s1, s10
	s_addc_u32 s3, s3, s11
	;; [unrolled: 5-line block ×3, first 2 shown]
	s_add_u32 s1, s8, s30
	s_addc_u32 s3, s9, s31
	s_add_u32 s1, s1, s10
	s_addc_u32 s3, s3, s11
	s_add_u32 s8, s1, s34
	s_addc_u32 s9, s3, s35
	s_clause 0x1
	global_store_b32 v3, v1, s[36:37]
	global_store_b32 v3, v2, s[8:9]
.LBB196_26:
	s_or_b32 exec_lo, exec_lo, s0
	v_dual_mov_b32 v23, 0 :: v_dual_mov_b32 v24, 0
	v_dual_mov_b32 v22, 0 :: v_dual_and_b32 v13, 3, v0
	v_dual_mov_b32 v25, 0 :: v_dual_mov_b32 v20, 0
	v_dual_mov_b32 v21, 0 :: v_dual_mov_b32 v18, 0
	;; [unrolled: 1-line block ×4, first 2 shown]
	v_mov_b32_e32 v15, 0
	s_and_saveexec_b32 s1, s2
	s_cbranch_execz .LBB196_470
; %bb.27:
	v_dual_mov_b32 v14, 0 :: v_dual_lshlrev_b32 v1, 3, v0
	v_lshlrev_b32_e32 v2, 5, v13
	v_lshl_add_u32 v5, v41, 5, s29
	s_ashr_i32 s7, s6, 31
	s_delay_alu instid0(VALU_DEP_3) | instskip(SKIP_2) | instid1(VALU_DEP_2)
	v_dual_mov_b32 v16, 0 :: v_dual_and_b32 v3, 0xf8, v1
	v_dual_mov_b32 v18, 0 :: v_dual_and_b32 v1, 24, v1
	s_lshl_b64 s[2:3], s[6:7], 1
	v_or_b32_e32 v15, 0xb00, v3
	s_add_u32 s2, s24, s2
	s_delay_alu instid0(VALU_DEP_2)
	v_add3_u32 v26, v5, v1, 7
	s_addc_u32 s3, s25, s3
	s_lshl_b64 s[8:9], s[26:27], 2
	v_dual_mov_b32 v21, 0 :: v_dual_lshlrev_b32 v32, 1, v15
	v_mov_b32_e32 v15, 0
	v_lshl_or_b32 v8, v41, 7, v2
	v_lshlrev_b64 v[1:2], 2, v[37:38]
	s_add_i32 s6, s23, -1
	v_or_b32_e32 v4, 0x800, v3
	v_or_b32_e32 v6, 0x900, v3
	;; [unrolled: 1-line block ×3, first 2 shown]
	s_add_u32 s0, s20, s8
	s_addc_u32 s7, s21, s9
	v_add_co_u32 v9, vcc_lo, s0, v1
	v_dual_mov_b32 v20, 0 :: v_dual_add_nc_u32 v27, 0xe0, v8
	v_add_co_ci_u32_e32 v10, vcc_lo, s7, v2, vcc_lo
	v_dual_mov_b32 v17, 0 :: v_dual_lshlrev_b32 v28, 1, v3
	v_dual_mov_b32 v22, 0 :: v_dual_lshlrev_b32 v29, 1, v4
	;; [unrolled: 1-line block ×4, first 2 shown]
	v_mov_b32_e32 v25, 0
	v_mov_b32_e32 v23, 0
	s_mov_b32 s7, s5
	s_mov_b32 s5, 0
	s_branch .LBB196_29
.LBB196_28:                             ;   in Loop: Header=BB196_29 Depth=1
	s_or_b32 exec_lo, exec_lo, s0
	v_and_b32_e32 v54, 0xffff0000, v134
	v_and_b32_e32 v56, 0xffff0000, v133
	;; [unrolled: 1-line block ×5, first 2 shown]
	s_delay_alu instid0(VALU_DEP_4)
	v_dual_add_f32 v54, v56, v54 :: v_dual_and_b32 v61, 0xffff0000, v115
	v_and_b32_e32 v50, 0xffff0000, v130
	v_and_b32_e32 v52, 0xffff0000, v129
	;; [unrolled: 1-line block ×6, first 2 shown]
	s_delay_alu instid0(VALU_DEP_4)
	v_dual_add_f32 v50, v52, v50 :: v_dual_add_f32 v49, v53, v49
	v_and_b32_e32 v52, 0xffff0000, v135
	v_and_b32_e32 v1, 0xffff0000, v1
	;; [unrolled: 1-line block ×4, first 2 shown]
	v_dual_add_f32 v49, v50, v49 :: v_dual_and_b32 v40, 0xffff0000, v40
	v_and_b32_e32 v34, 0xffff0000, v34
	v_and_b32_e32 v8, 0xffff0000, v8
	s_delay_alu instid0(VALU_DEP_3)
	v_dual_add_f32 v49, v49, v54 :: v_dual_and_b32 v44, 0xffff0000, v44
	v_and_b32_e32 v54, 0xffff0000, v122
	v_and_b32_e32 v53, 0xffff0000, v136
	;; [unrolled: 1-line block ×4, first 2 shown]
	v_add_co_u32 v9, s0, v9, 16
	v_add_f32_e32 v54, v57, v54
	v_dual_add_f32 v52, v52, v53 :: v_dual_and_b32 v53, 0xffff0000, v124
	v_dual_add_f32 v5, v5, v6 :: v_dual_and_b32 v60, 0xffff0000, v113
	s_delay_alu instid0(VALU_DEP_2) | instskip(SKIP_3) | instid1(VALU_DEP_4)
	v_dual_add_f32 v49, v49, v52 :: v_dual_add_nc_u32 v26, 0x80, v26
	v_and_b32_e32 v52, 0xffff0000, v127
	v_add_co_ci_u32_e64 v10, s0, 0, v10, s0
	v_add_f32_e32 v1, v1, v45
	v_add_f32_e32 v15, v15, v49
	v_dual_add_f32 v53, v58, v53 :: v_dual_and_b32 v58, 0xffff0000, v114
	v_and_b32_e32 v59, 0xffff0000, v128
	v_and_b32_e32 v50, 0xffff0000, v126
	;; [unrolled: 1-line block ×3, first 2 shown]
	s_delay_alu instid0(VALU_DEP_4) | instskip(NEXT) | instid1(VALU_DEP_4)
	v_dual_add_f32 v53, v54, v53 :: v_dual_and_b32 v54, 0xffff0000, v118
	v_add_f32_e32 v52, v52, v59
	v_and_b32_e32 v56, 0xffff0000, v125
	s_delay_alu instid0(VALU_DEP_4) | instskip(SKIP_1) | instid1(VALU_DEP_3)
	v_dual_add_f32 v40, v40, v43 :: v_dual_and_b32 v59, 0xffff0000, v77
	v_and_b32_e32 v33, 0xffff0000, v33
	v_dual_add_f32 v50, v56, v50 :: v_dual_and_b32 v7, 0xffff0000, v7
	v_dual_add_f32 v56, v60, v58 :: v_dual_and_b32 v57, 0xffff0000, v116
	s_delay_alu instid0(VALU_DEP_2) | instskip(NEXT) | instid1(VALU_DEP_3)
	v_dual_add_f32 v7, v7, v8 :: v_dual_and_b32 v58, 0xffff0000, v117
	v_add_f32_e32 v50, v53, v50
	s_delay_alu instid0(VALU_DEP_3) | instskip(NEXT) | instid1(VALU_DEP_3)
	v_add_f32_e32 v57, v61, v57
	v_dual_add_f32 v54, v58, v54 :: v_dual_and_b32 v53, 0xffff0000, v119
	v_and_b32_e32 v58, 0xffff0000, v75
	v_add_f32_e32 v8, v33, v34
	s_delay_alu instid0(VALU_DEP_4) | instskip(SKIP_2) | instid1(VALU_DEP_3)
	v_dual_add_f32 v56, v56, v57 :: v_dual_and_b32 v57, 0xffff0000, v120
	v_add_f32_e32 v49, v50, v52
	v_and_b32_e32 v51, 0xffff0000, v51
	v_dual_add_f32 v7, v7, v8 :: v_dual_add_f32 v50, v56, v54
	s_delay_alu instid0(VALU_DEP_4) | instskip(SKIP_2) | instid1(VALU_DEP_3)
	v_dual_add_f32 v52, v53, v57 :: v_dual_and_b32 v53, 0xffff0000, v108
	v_and_b32_e32 v54, 0xffff0000, v107
	v_add_f32_e32 v16, v16, v49
	v_dual_add_f32 v49, v50, v52 :: v_dual_and_b32 v56, 0xffff0000, v101
	v_and_b32_e32 v50, 0xffff0000, v110
	s_delay_alu instid0(VALU_DEP_4)
	v_add_f32_e32 v6, v54, v53
	v_and_b32_e32 v52, 0xffff0000, v109
	v_and_b32_e32 v53, 0xffff0000, v112
	v_add_f32_e32 v17, v17, v49
	v_and_b32_e32 v49, 0xffff0000, v111
	v_add_f32_e32 v5, v5, v6
	v_add_f32_e32 v6, v52, v50
	v_and_b32_e32 v50, 0xffff0000, v102
	v_and_b32_e32 v54, 0xffff0000, v99
	;; [unrolled: 1-line block ×3, first 2 shown]
	v_add_f32_e32 v43, v44, v51
	v_add_f32_e32 v5, v5, v6
	v_dual_add_f32 v6, v49, v53 :: v_dual_and_b32 v53, 0xffff0000, v103
	v_dual_add_f32 v50, v56, v50 :: v_dual_and_b32 v49, 0xffff0000, v104
	s_delay_alu instid0(VALU_DEP_2) | instskip(SKIP_1) | instid1(VALU_DEP_3)
	v_dual_add_f32 v5, v5, v6 :: v_dual_and_b32 v44, 0xffff0000, v55
	v_and_b32_e32 v6, 0xffff0000, v105
	v_dual_add_f32 v49, v53, v49 :: v_dual_and_b32 v52, 0xffff0000, v100
	s_delay_alu instid0(VALU_DEP_3) | instskip(SKIP_1) | instid1(VALU_DEP_3)
	v_dual_add_f32 v18, v18, v5 :: v_dual_and_b32 v53, 0xffff0000, v92
	v_and_b32_e32 v51, 0xffff0000, v74
	v_dual_add_f32 v52, v54, v52 :: v_dual_and_b32 v35, 0xffff0000, v35
	v_and_b32_e32 v54, 0xffff0000, v106
	v_and_b32_e32 v33, 0xffff0000, v47
	s_delay_alu instid0(VALU_DEP_3) | instskip(NEXT) | instid1(VALU_DEP_4)
	v_dual_add_f32 v8, v35, v36 :: v_dual_and_b32 v39, 0xffff0000, v39
	v_add_f32_e32 v50, v52, v50
	s_delay_alu instid0(VALU_DEP_4)
	v_add_f32_e32 v6, v6, v54
	v_and_b32_e32 v54, 0xffff0000, v95
	v_add_nc_u32_e32 v37, 4, v37
	v_add_f32_e32 v7, v7, v8
	v_dual_add_f32 v49, v50, v49 :: v_dual_and_b32 v50, 0xffff0000, v96
	v_add_f32_e32 v8, v38, v39
	v_and_b32_e32 v3, 0xffff0000, v3
	v_cmp_le_i32_e32 vcc_lo, s17, v37
	s_delay_alu instid0(VALU_DEP_4) | instskip(SKIP_2) | instid1(VALU_DEP_3)
	v_dual_add_f32 v5, v49, v6 :: v_dual_and_b32 v56, 0xffff0000, v91
	v_add_f32_e32 v50, v54, v50
	v_and_b32_e32 v54, 0xffff0000, v83
	v_dual_add_f32 v19, v19, v5 :: v_dual_and_b32 v52, 0xffff0000, v94
	s_delay_alu instid0(VALU_DEP_4) | instskip(SKIP_2) | instid1(VALU_DEP_4)
	v_add_f32_e32 v53, v56, v53
	v_and_b32_e32 v56, 0xffff0000, v85
	v_and_b32_e32 v6, 0xffff0000, v97
	v_dual_add_f32 v52, v57, v52 :: v_dual_and_b32 v57, 0xffff0000, v98
	s_or_b32 s5, vcc_lo, s5
	v_add_nc_u32_e32 v27, 0x200, v27
	s_delay_alu instid0(VALU_DEP_2) | instskip(SKIP_3) | instid1(VALU_DEP_4)
	v_add_f32_e32 v49, v53, v52
	v_and_b32_e32 v53, 0xffff0000, v84
	v_and_b32_e32 v52, 0xffff0000, v86
	v_dual_add_f32 v6, v6, v57 :: v_dual_and_b32 v57, 0xffff0000, v90
	v_dual_add_f32 v49, v49, v50 :: v_dual_and_b32 v50, 0xffff0000, v88
	s_delay_alu instid0(VALU_DEP_4) | instskip(NEXT) | instid1(VALU_DEP_4)
	v_dual_add_f32 v53, v54, v53 :: v_dual_and_b32 v54, 0xffff0000, v87
	v_add_f32_e32 v52, v56, v52
	v_and_b32_e32 v56, 0xffff0000, v89
	s_delay_alu instid0(VALU_DEP_4) | instskip(NEXT) | instid1(VALU_DEP_4)
	v_add_f32_e32 v6, v49, v6
	v_add_f32_e32 v50, v54, v50
	v_and_b32_e32 v54, 0xffff0000, v76
	v_dual_add_f32 v52, v53, v52 :: v_dual_and_b32 v53, 0xffff0000, v78
	s_delay_alu instid0(VALU_DEP_2) | instskip(NEXT) | instid1(VALU_DEP_2)
	v_add_f32_e32 v54, v58, v54
	v_add_f32_e32 v50, v52, v50
	;; [unrolled: 1-line block ×3, first 2 shown]
	s_delay_alu instid0(VALU_DEP_4) | instskip(SKIP_1) | instid1(VALU_DEP_3)
	v_dual_add_f32 v53, v59, v53 :: v_dual_and_b32 v56, 0xffff0000, v80
	v_and_b32_e32 v57, 0xffff0000, v79
	v_add_f32_e32 v49, v50, v52
	s_delay_alu instid0(VALU_DEP_3) | instskip(NEXT) | instid1(VALU_DEP_3)
	v_dual_add_f32 v5, v54, v53 :: v_dual_and_b32 v52, 0xffff0000, v68
	v_dual_add_f32 v50, v57, v56 :: v_dual_and_b32 v53, 0xffff0000, v67
	s_delay_alu instid0(VALU_DEP_3) | instskip(SKIP_2) | instid1(VALU_DEP_4)
	v_add_f32_e32 v21, v21, v49
	v_and_b32_e32 v49, 0xffff0000, v82
	v_and_b32_e32 v54, 0xffff0000, v69
	v_dual_add_f32 v52, v53, v52 :: v_dual_and_b32 v53, 0xffff0000, v73
	v_add_f32_e32 v20, v20, v6
	v_dual_add_f32 v5, v5, v50 :: v_dual_and_b32 v6, 0xffff0000, v81
	v_and_b32_e32 v50, 0xffff0000, v70
	v_and_b32_e32 v56, 0xffff0000, v71
	s_delay_alu instid0(VALU_DEP_3) | instskip(NEXT) | instid1(VALU_DEP_1)
	v_dual_add_f32 v6, v6, v49 :: v_dual_and_b32 v49, 0xffff0000, v72
	v_dual_add_f32 v5, v5, v6 :: v_dual_add_f32 v6, v40, v43
	s_delay_alu instid0(VALU_DEP_2) | instskip(NEXT) | instid1(VALU_DEP_2)
	v_add_f32_e32 v49, v56, v49
	v_dual_add_f32 v22, v22, v5 :: v_dual_add_f32 v5, v7, v8
	s_delay_alu instid0(VALU_DEP_1) | instskip(NEXT) | instid1(VALU_DEP_1)
	v_dual_add_f32 v50, v54, v50 :: v_dual_add_f32 v23, v23, v5
	v_add_f32_e32 v50, v52, v50
	v_and_b32_e32 v52, 0xffff0000, v64
	s_delay_alu instid0(VALU_DEP_1) | instskip(SKIP_1) | instid1(VALU_DEP_2)
	v_add_f32_e32 v40, v44, v52
	v_add_f32_e32 v44, v53, v51
	;; [unrolled: 1-line block ×3, first 2 shown]
	v_and_b32_e32 v40, 0xffff0000, v46
	s_delay_alu instid0(VALU_DEP_1) | instskip(NEXT) | instid1(VALU_DEP_1)
	v_add_f32_e32 v2, v2, v40
	v_dual_add_f32 v1, v1, v2 :: v_dual_add_f32 v2, v3, v33
	v_and_b32_e32 v3, 0xffff0000, v48
	v_add_f32_e32 v43, v50, v49
	v_and_b32_e32 v49, 0xffff0000, v65
	v_and_b32_e32 v50, 0xffff0000, v66
	s_delay_alu instid0(VALU_DEP_4) | instskip(NEXT) | instid1(VALU_DEP_4)
	v_dual_add_f32 v1, v1, v2 :: v_dual_add_f32 v2, v4, v3
	v_add_f32_e32 v3, v43, v44
	s_delay_alu instid0(VALU_DEP_3) | instskip(NEXT) | instid1(VALU_DEP_2)
	v_add_f32_e32 v33, v49, v50
	v_dual_add_f32 v1, v1, v2 :: v_dual_add_f32 v24, v24, v3
	s_delay_alu instid0(VALU_DEP_2) | instskip(NEXT) | instid1(VALU_DEP_1)
	v_add_f32_e32 v4, v6, v33
	v_dual_add_f32 v14, v14, v1 :: v_dual_add_f32 v25, v25, v4
	s_and_not1_b32 exec_lo, exec_lo, s5
	s_cbranch_execz .LBB196_469
.LBB196_29:                             ; =>This Inner Loop Header: Depth=1
	global_load_b32 v44, v[9:10], off
	ds_load_2addr_b64 v[5:8], v27 offset1:1
	ds_load_2addr_b64 v[1:4], v27 offset0:2 offset1:3
	s_mov_b32 s0, exec_lo
                                        ; implicit-def: $vgpr43
	s_waitcnt lgkmcnt(1)
	v_and_b32_e32 v33, 0x7f800000, v5
	s_delay_alu instid0(VALU_DEP_1)
	v_cmpx_ne_u32_e32 0x7f800000, v33
	s_xor_b32 s0, exec_lo, s0
; %bb.30:                               ;   in Loop: Header=BB196_29 Depth=1
	v_bfe_u32 v33, v5, 16, 1
	s_delay_alu instid0(VALU_DEP_1)
	v_add3_u32 v43, v5, v33, 0x7fff
; %bb.31:                               ;   in Loop: Header=BB196_29 Depth=1
	s_and_not1_saveexec_b32 s0, s0
; %bb.32:                               ;   in Loop: Header=BB196_29 Depth=1
	v_and_b32_e32 v33, 0xffff, v5
	v_or_b32_e32 v34, 0x10000, v5
	s_delay_alu instid0(VALU_DEP_2) | instskip(NEXT) | instid1(VALU_DEP_2)
	v_cmp_eq_u32_e32 vcc_lo, 0, v33
	v_cndmask_b32_e32 v43, v34, v5, vcc_lo
; %bb.33:                               ;   in Loop: Header=BB196_29 Depth=1
	s_or_b32 exec_lo, exec_lo, s0
	v_and_b32_e32 v5, 0x7f800000, v6
	s_mov_b32 s0, exec_lo
                                        ; implicit-def: $vgpr40
	s_delay_alu instid0(VALU_DEP_1)
	v_cmpx_ne_u32_e32 0x7f800000, v5
	s_xor_b32 s0, exec_lo, s0
; %bb.34:                               ;   in Loop: Header=BB196_29 Depth=1
	v_bfe_u32 v5, v6, 16, 1
	s_delay_alu instid0(VALU_DEP_1)
	v_add3_u32 v40, v6, v5, 0x7fff
; %bb.35:                               ;   in Loop: Header=BB196_29 Depth=1
	s_and_not1_saveexec_b32 s0, s0
; %bb.36:                               ;   in Loop: Header=BB196_29 Depth=1
	v_and_b32_e32 v5, 0xffff, v6
	v_or_b32_e32 v33, 0x10000, v6
	s_delay_alu instid0(VALU_DEP_2) | instskip(NEXT) | instid1(VALU_DEP_2)
	v_cmp_eq_u32_e32 vcc_lo, 0, v5
	v_cndmask_b32_e32 v40, v33, v6, vcc_lo
; %bb.37:                               ;   in Loop: Header=BB196_29 Depth=1
	s_or_b32 exec_lo, exec_lo, s0
	v_and_b32_e32 v5, 0x7f800000, v7
	s_mov_b32 s0, exec_lo
                                        ; implicit-def: $vgpr33
	s_delay_alu instid0(VALU_DEP_1)
	v_cmpx_ne_u32_e32 0x7f800000, v5
	s_xor_b32 s0, exec_lo, s0
; %bb.38:                               ;   in Loop: Header=BB196_29 Depth=1
	v_bfe_u32 v5, v7, 16, 1
	s_delay_alu instid0(VALU_DEP_1)
	v_add3_u32 v33, v7, v5, 0x7fff
; %bb.39:                               ;   in Loop: Header=BB196_29 Depth=1
	s_and_not1_saveexec_b32 s0, s0
; %bb.40:                               ;   in Loop: Header=BB196_29 Depth=1
	v_and_b32_e32 v5, 0xffff, v7
	v_or_b32_e32 v6, 0x10000, v7
	s_delay_alu instid0(VALU_DEP_2) | instskip(NEXT) | instid1(VALU_DEP_2)
	v_cmp_eq_u32_e32 vcc_lo, 0, v5
	v_cndmask_b32_e32 v33, v6, v7, vcc_lo
; %bb.41:                               ;   in Loop: Header=BB196_29 Depth=1
	s_or_b32 exec_lo, exec_lo, s0
	v_and_b32_e32 v5, 0x7f800000, v8
	s_mov_b32 s0, exec_lo
                                        ; implicit-def: $vgpr34
	s_delay_alu instid0(VALU_DEP_1)
	v_cmpx_ne_u32_e32 0x7f800000, v5
	s_xor_b32 s0, exec_lo, s0
; %bb.42:                               ;   in Loop: Header=BB196_29 Depth=1
	v_bfe_u32 v5, v8, 16, 1
	s_delay_alu instid0(VALU_DEP_1)
	v_add3_u32 v34, v8, v5, 0x7fff
                                        ; implicit-def: $vgpr5_vgpr6_vgpr7_vgpr8
; %bb.43:                               ;   in Loop: Header=BB196_29 Depth=1
	s_and_not1_saveexec_b32 s0, s0
; %bb.44:                               ;   in Loop: Header=BB196_29 Depth=1
	v_and_b32_e32 v5, 0xffff, v8
	v_or_b32_e32 v6, 0x10000, v8
	s_delay_alu instid0(VALU_DEP_2) | instskip(NEXT) | instid1(VALU_DEP_2)
	v_cmp_eq_u32_e32 vcc_lo, 0, v5
	v_cndmask_b32_e32 v34, v6, v8, vcc_lo
; %bb.45:                               ;   in Loop: Header=BB196_29 Depth=1
	s_or_b32 exec_lo, exec_lo, s0
	s_waitcnt lgkmcnt(0)
	v_and_b32_e32 v5, 0x7f800000, v1
	s_mov_b32 s0, exec_lo
                                        ; implicit-def: $vgpr35
	s_delay_alu instid0(VALU_DEP_1)
	v_cmpx_ne_u32_e32 0x7f800000, v5
	s_xor_b32 s0, exec_lo, s0
; %bb.46:                               ;   in Loop: Header=BB196_29 Depth=1
	v_bfe_u32 v5, v1, 16, 1
	s_delay_alu instid0(VALU_DEP_1)
	v_add3_u32 v35, v1, v5, 0x7fff
; %bb.47:                               ;   in Loop: Header=BB196_29 Depth=1
	s_and_not1_saveexec_b32 s0, s0
; %bb.48:                               ;   in Loop: Header=BB196_29 Depth=1
	v_and_b32_e32 v5, 0xffff, v1
	v_or_b32_e32 v6, 0x10000, v1
	s_delay_alu instid0(VALU_DEP_2) | instskip(NEXT) | instid1(VALU_DEP_2)
	v_cmp_eq_u32_e32 vcc_lo, 0, v5
	v_cndmask_b32_e32 v35, v6, v1, vcc_lo
; %bb.49:                               ;   in Loop: Header=BB196_29 Depth=1
	s_or_b32 exec_lo, exec_lo, s0
	v_and_b32_e32 v1, 0x7f800000, v2
	s_mov_b32 s0, exec_lo
                                        ; implicit-def: $vgpr36
	s_delay_alu instid0(VALU_DEP_1)
	v_cmpx_ne_u32_e32 0x7f800000, v1
	s_xor_b32 s0, exec_lo, s0
; %bb.50:                               ;   in Loop: Header=BB196_29 Depth=1
	v_bfe_u32 v1, v2, 16, 1
	s_delay_alu instid0(VALU_DEP_1)
	v_add3_u32 v36, v2, v1, 0x7fff
; %bb.51:                               ;   in Loop: Header=BB196_29 Depth=1
	s_and_not1_saveexec_b32 s0, s0
; %bb.52:                               ;   in Loop: Header=BB196_29 Depth=1
	v_and_b32_e32 v1, 0xffff, v2
	v_or_b32_e32 v5, 0x10000, v2
	s_delay_alu instid0(VALU_DEP_2) | instskip(NEXT) | instid1(VALU_DEP_2)
	v_cmp_eq_u32_e32 vcc_lo, 0, v1
	v_cndmask_b32_e32 v36, v5, v2, vcc_lo
; %bb.53:                               ;   in Loop: Header=BB196_29 Depth=1
	s_or_b32 exec_lo, exec_lo, s0
	v_and_b32_e32 v1, 0x7f800000, v3
	s_mov_b32 s0, exec_lo
                                        ; implicit-def: $vgpr38
	s_delay_alu instid0(VALU_DEP_1)
	v_cmpx_ne_u32_e32 0x7f800000, v1
	s_xor_b32 s0, exec_lo, s0
; %bb.54:                               ;   in Loop: Header=BB196_29 Depth=1
	v_bfe_u32 v1, v3, 16, 1
	s_delay_alu instid0(VALU_DEP_1)
	v_add3_u32 v38, v3, v1, 0x7fff
; %bb.55:                               ;   in Loop: Header=BB196_29 Depth=1
	s_and_not1_saveexec_b32 s0, s0
; %bb.56:                               ;   in Loop: Header=BB196_29 Depth=1
	v_and_b32_e32 v1, 0xffff, v3
	v_or_b32_e32 v2, 0x10000, v3
	s_delay_alu instid0(VALU_DEP_2) | instskip(NEXT) | instid1(VALU_DEP_2)
	v_cmp_eq_u32_e32 vcc_lo, 0, v1
	v_cndmask_b32_e32 v38, v2, v3, vcc_lo
; %bb.57:                               ;   in Loop: Header=BB196_29 Depth=1
	s_or_b32 exec_lo, exec_lo, s0
	v_and_b32_e32 v1, 0x7f800000, v4
	s_mov_b32 s0, exec_lo
                                        ; implicit-def: $vgpr39
	s_delay_alu instid0(VALU_DEP_1)
	v_cmpx_ne_u32_e32 0x7f800000, v1
	s_xor_b32 s0, exec_lo, s0
; %bb.58:                               ;   in Loop: Header=BB196_29 Depth=1
	v_bfe_u32 v1, v4, 16, 1
	s_delay_alu instid0(VALU_DEP_1)
	v_add3_u32 v39, v4, v1, 0x7fff
                                        ; implicit-def: $vgpr1_vgpr2_vgpr3_vgpr4
; %bb.59:                               ;   in Loop: Header=BB196_29 Depth=1
	s_and_not1_saveexec_b32 s0, s0
; %bb.60:                               ;   in Loop: Header=BB196_29 Depth=1
	v_and_b32_e32 v1, 0xffff, v4
	v_or_b32_e32 v2, 0x10000, v4
	s_delay_alu instid0(VALU_DEP_2) | instskip(NEXT) | instid1(VALU_DEP_2)
	v_cmp_eq_u32_e32 vcc_lo, 0, v1
	v_cndmask_b32_e32 v39, v2, v4, vcc_lo
; %bb.61:                               ;   in Loop: Header=BB196_29 Depth=1
	s_or_b32 exec_lo, exec_lo, s0
	s_waitcnt vmcnt(0)
	v_mad_i64_i32 v[1:2], null, v44, s7, 0
	v_add_nc_u32_e32 v45, -7, v26
	v_add_nc_u32_e32 v52, -6, v26
	;; [unrolled: 1-line block ×6, first 2 shown]
	v_lshlrev_b64 v[1:2], 1, v[1:2]
	v_add_nc_u32_e32 v50, -1, v26
	s_delay_alu instid0(VALU_DEP_2) | instskip(NEXT) | instid1(VALU_DEP_3)
	v_add_co_u32 v53, vcc_lo, s2, v1
	v_add_co_ci_u32_e32 v54, vcc_lo, s3, v2, vcc_lo
	s_delay_alu instid0(VALU_DEP_2) | instskip(NEXT) | instid1(VALU_DEP_2)
	v_add_co_u32 v5, vcc_lo, v53, v28
	v_add_co_ci_u32_e32 v6, vcc_lo, 0, v54, vcc_lo
	v_cmp_eq_u32_e32 vcc_lo, s6, v37
	global_load_b128 v[1:4], v[5:6], off
	s_waitcnt vmcnt(0)
	v_lshrrev_b32_e32 v8, 16, v1
	v_lshrrev_b32_e32 v55, 16, v2
	;; [unrolled: 1-line block ×4, first 2 shown]
	s_and_saveexec_b32 s8, vcc_lo
	s_cbranch_execz .LBB196_63
; %bb.62:                               ;   in Loop: Header=BB196_29 Depth=1
	v_cmp_gt_i32_e64 s0, s28, v45
	s_delay_alu instid0(VALU_DEP_1) | instskip(SKIP_1) | instid1(VALU_DEP_1)
	v_cndmask_b32_e64 v1, 0, v1, s0
	v_cmp_gt_i32_e64 s0, s28, v52
	v_cndmask_b32_e64 v8, 0, v8, s0
	v_cmp_gt_i32_e64 s0, s28, v49
	s_delay_alu instid0(VALU_DEP_1) | instskip(SKIP_1) | instid1(VALU_DEP_1)
	v_cndmask_b32_e64 v2, 0, v2, s0
	v_cmp_gt_i32_e64 s0, s28, v48
	v_cndmask_b32_e64 v55, 0, v55, s0
	;; [unrolled: 5-line block ×4, first 2 shown]
.LBB196_63:                             ;   in Loop: Header=BB196_29 Depth=1
	s_or_b32 exec_lo, exec_lo, s8
	v_and_b32_e32 v56, 0xffff0000, v43
	v_lshlrev_b32_e32 v1, 16, v1
	s_delay_alu instid0(VALU_DEP_1) | instskip(NEXT) | instid1(VALU_DEP_1)
	v_mul_f32_e32 v1, v56, v1
	v_and_b32_e32 v7, 0x7f800000, v1
	s_delay_alu instid0(VALU_DEP_1) | instskip(NEXT) | instid1(VALU_DEP_1)
	v_cmp_ne_u32_e64 s0, 0x7f800000, v7
                                        ; implicit-def: $vgpr7
	s_and_saveexec_b32 s8, s0
	s_delay_alu instid0(SALU_CYCLE_1)
	s_xor_b32 s0, exec_lo, s8
; %bb.64:                               ;   in Loop: Header=BB196_29 Depth=1
	v_bfe_u32 v7, v1, 16, 1
	s_delay_alu instid0(VALU_DEP_1)
	v_add3_u32 v7, v1, v7, 0x7fff
                                        ; implicit-def: $vgpr1
; %bb.65:                               ;   in Loop: Header=BB196_29 Depth=1
	s_and_not1_saveexec_b32 s8, s0
; %bb.66:                               ;   in Loop: Header=BB196_29 Depth=1
	v_and_b32_e32 v7, 0xffff, v1
	v_or_b32_e32 v43, 0x10000, v1
	s_delay_alu instid0(VALU_DEP_2) | instskip(NEXT) | instid1(VALU_DEP_1)
	v_cmp_eq_u32_e64 s0, 0, v7
	v_cndmask_b32_e64 v7, v43, v1, s0
; %bb.67:                               ;   in Loop: Header=BB196_29 Depth=1
	s_or_b32 exec_lo, exec_lo, s8
	v_and_b32_e32 v57, 0xffff0000, v40
	v_lshlrev_b32_e32 v1, 16, v8
	s_delay_alu instid0(VALU_DEP_1) | instskip(NEXT) | instid1(VALU_DEP_1)
	v_mul_f32_e32 v1, v57, v1
	v_and_b32_e32 v8, 0x7f800000, v1
	s_delay_alu instid0(VALU_DEP_1) | instskip(NEXT) | instid1(VALU_DEP_1)
	v_cmp_ne_u32_e64 s0, 0x7f800000, v8
                                        ; implicit-def: $vgpr8
	s_and_saveexec_b32 s8, s0
	s_delay_alu instid0(SALU_CYCLE_1)
	s_xor_b32 s0, exec_lo, s8
; %bb.68:                               ;   in Loop: Header=BB196_29 Depth=1
	v_bfe_u32 v8, v1, 16, 1
	s_delay_alu instid0(VALU_DEP_1)
	v_add3_u32 v8, v1, v8, 0x7fff
                                        ; implicit-def: $vgpr1
; %bb.69:                               ;   in Loop: Header=BB196_29 Depth=1
	s_and_not1_saveexec_b32 s8, s0
; %bb.70:                               ;   in Loop: Header=BB196_29 Depth=1
	v_and_b32_e32 v8, 0xffff, v1
	v_or_b32_e32 v40, 0x10000, v1
	s_delay_alu instid0(VALU_DEP_2) | instskip(NEXT) | instid1(VALU_DEP_1)
	v_cmp_eq_u32_e64 s0, 0, v8
	v_cndmask_b32_e64 v8, v40, v1, s0
; %bb.71:                               ;   in Loop: Header=BB196_29 Depth=1
	s_or_b32 exec_lo, exec_lo, s8
	v_and_b32_e32 v58, 0xffff0000, v33
	v_lshlrev_b32_e32 v1, 16, v2
                                        ; implicit-def: $vgpr33
	s_delay_alu instid0(VALU_DEP_1) | instskip(NEXT) | instid1(VALU_DEP_1)
	v_mul_f32_e32 v1, v58, v1
	v_and_b32_e32 v2, 0x7f800000, v1
	s_delay_alu instid0(VALU_DEP_1) | instskip(NEXT) | instid1(VALU_DEP_1)
	v_cmp_ne_u32_e64 s0, 0x7f800000, v2
	s_and_saveexec_b32 s8, s0
	s_delay_alu instid0(SALU_CYCLE_1)
	s_xor_b32 s0, exec_lo, s8
; %bb.72:                               ;   in Loop: Header=BB196_29 Depth=1
	v_bfe_u32 v2, v1, 16, 1
	s_delay_alu instid0(VALU_DEP_1)
	v_add3_u32 v33, v1, v2, 0x7fff
                                        ; implicit-def: $vgpr1
; %bb.73:                               ;   in Loop: Header=BB196_29 Depth=1
	s_and_not1_saveexec_b32 s8, s0
; %bb.74:                               ;   in Loop: Header=BB196_29 Depth=1
	v_and_b32_e32 v2, 0xffff, v1
	v_or_b32_e32 v33, 0x10000, v1
	s_delay_alu instid0(VALU_DEP_2) | instskip(NEXT) | instid1(VALU_DEP_1)
	v_cmp_eq_u32_e64 s0, 0, v2
	v_cndmask_b32_e64 v33, v33, v1, s0
; %bb.75:                               ;   in Loop: Header=BB196_29 Depth=1
	s_or_b32 exec_lo, exec_lo, s8
	v_and_b32_e32 v59, 0xffff0000, v34
	v_lshlrev_b32_e32 v1, 16, v55
                                        ; implicit-def: $vgpr34
	s_delay_alu instid0(VALU_DEP_1) | instskip(NEXT) | instid1(VALU_DEP_1)
	v_mul_f32_e32 v1, v59, v1
	v_and_b32_e32 v2, 0x7f800000, v1
	s_delay_alu instid0(VALU_DEP_1) | instskip(NEXT) | instid1(VALU_DEP_1)
	v_cmp_ne_u32_e64 s0, 0x7f800000, v2
	s_and_saveexec_b32 s8, s0
	s_delay_alu instid0(SALU_CYCLE_1)
	s_xor_b32 s0, exec_lo, s8
; %bb.76:                               ;   in Loop: Header=BB196_29 Depth=1
	v_bfe_u32 v2, v1, 16, 1
	s_delay_alu instid0(VALU_DEP_1)
	v_add3_u32 v34, v1, v2, 0x7fff
                                        ; implicit-def: $vgpr1
; %bb.77:                               ;   in Loop: Header=BB196_29 Depth=1
	s_and_not1_saveexec_b32 s8, s0
; %bb.78:                               ;   in Loop: Header=BB196_29 Depth=1
	v_and_b32_e32 v2, 0xffff, v1
	v_or_b32_e32 v34, 0x10000, v1
	s_delay_alu instid0(VALU_DEP_2) | instskip(NEXT) | instid1(VALU_DEP_1)
	v_cmp_eq_u32_e64 s0, 0, v2
	v_cndmask_b32_e64 v34, v34, v1, s0
; %bb.79:                               ;   in Loop: Header=BB196_29 Depth=1
	s_or_b32 exec_lo, exec_lo, s8
	v_and_b32_e32 v60, 0xffff0000, v35
	v_lshlrev_b32_e32 v1, 16, v3
                                        ; implicit-def: $vgpr35
	s_delay_alu instid0(VALU_DEP_1) | instskip(NEXT) | instid1(VALU_DEP_1)
	v_mul_f32_e32 v1, v60, v1
	v_and_b32_e32 v2, 0x7f800000, v1
	s_delay_alu instid0(VALU_DEP_1) | instskip(NEXT) | instid1(VALU_DEP_1)
	v_cmp_ne_u32_e64 s0, 0x7f800000, v2
	s_and_saveexec_b32 s8, s0
	s_delay_alu instid0(SALU_CYCLE_1)
	s_xor_b32 s0, exec_lo, s8
; %bb.80:                               ;   in Loop: Header=BB196_29 Depth=1
	v_bfe_u32 v2, v1, 16, 1
	s_delay_alu instid0(VALU_DEP_1)
	v_add3_u32 v35, v1, v2, 0x7fff
                                        ; implicit-def: $vgpr1
; %bb.81:                               ;   in Loop: Header=BB196_29 Depth=1
	s_and_not1_saveexec_b32 s8, s0
; %bb.82:                               ;   in Loop: Header=BB196_29 Depth=1
	v_and_b32_e32 v2, 0xffff, v1
	v_or_b32_e32 v3, 0x10000, v1
	s_delay_alu instid0(VALU_DEP_2) | instskip(NEXT) | instid1(VALU_DEP_1)
	v_cmp_eq_u32_e64 s0, 0, v2
	v_cndmask_b32_e64 v35, v3, v1, s0
; %bb.83:                               ;   in Loop: Header=BB196_29 Depth=1
	s_or_b32 exec_lo, exec_lo, s8
	v_and_b32_e32 v61, 0xffff0000, v36
	v_lshlrev_b32_e32 v1, 16, v51
                                        ; implicit-def: $vgpr36
	s_delay_alu instid0(VALU_DEP_1) | instskip(NEXT) | instid1(VALU_DEP_1)
	v_mul_f32_e32 v1, v61, v1
	v_and_b32_e32 v2, 0x7f800000, v1
	s_delay_alu instid0(VALU_DEP_1) | instskip(NEXT) | instid1(VALU_DEP_1)
	v_cmp_ne_u32_e64 s0, 0x7f800000, v2
	s_and_saveexec_b32 s8, s0
	s_delay_alu instid0(SALU_CYCLE_1)
	s_xor_b32 s0, exec_lo, s8
; %bb.84:                               ;   in Loop: Header=BB196_29 Depth=1
	v_bfe_u32 v2, v1, 16, 1
	s_delay_alu instid0(VALU_DEP_1)
	v_add3_u32 v36, v1, v2, 0x7fff
                                        ; implicit-def: $vgpr1
; %bb.85:                               ;   in Loop: Header=BB196_29 Depth=1
	s_and_not1_saveexec_b32 s8, s0
; %bb.86:                               ;   in Loop: Header=BB196_29 Depth=1
	v_and_b32_e32 v2, 0xffff, v1
	v_or_b32_e32 v3, 0x10000, v1
	s_delay_alu instid0(VALU_DEP_2) | instskip(NEXT) | instid1(VALU_DEP_1)
	v_cmp_eq_u32_e64 s0, 0, v2
	v_cndmask_b32_e64 v36, v3, v1, s0
; %bb.87:                               ;   in Loop: Header=BB196_29 Depth=1
	s_or_b32 exec_lo, exec_lo, s8
	v_and_b32_e32 v62, 0xffff0000, v38
	v_lshlrev_b32_e32 v1, 16, v4
                                        ; implicit-def: $vgpr38
	s_delay_alu instid0(VALU_DEP_1) | instskip(NEXT) | instid1(VALU_DEP_1)
	v_mul_f32_e32 v1, v62, v1
	v_and_b32_e32 v2, 0x7f800000, v1
	s_delay_alu instid0(VALU_DEP_1) | instskip(NEXT) | instid1(VALU_DEP_1)
	v_cmp_ne_u32_e64 s0, 0x7f800000, v2
	s_and_saveexec_b32 s8, s0
	s_delay_alu instid0(SALU_CYCLE_1)
	s_xor_b32 s0, exec_lo, s8
; %bb.88:                               ;   in Loop: Header=BB196_29 Depth=1
	v_bfe_u32 v2, v1, 16, 1
	s_delay_alu instid0(VALU_DEP_1)
	v_add3_u32 v38, v1, v2, 0x7fff
                                        ; implicit-def: $vgpr1
; %bb.89:                               ;   in Loop: Header=BB196_29 Depth=1
	s_and_not1_saveexec_b32 s8, s0
; %bb.90:                               ;   in Loop: Header=BB196_29 Depth=1
	v_and_b32_e32 v2, 0xffff, v1
	v_or_b32_e32 v3, 0x10000, v1
	s_delay_alu instid0(VALU_DEP_2) | instskip(NEXT) | instid1(VALU_DEP_1)
	v_cmp_eq_u32_e64 s0, 0, v2
	v_cndmask_b32_e64 v38, v3, v1, s0
; %bb.91:                               ;   in Loop: Header=BB196_29 Depth=1
	s_or_b32 exec_lo, exec_lo, s8
	v_and_b32_e32 v63, 0xffff0000, v39
	v_lshlrev_b32_e32 v1, 16, v44
                                        ; implicit-def: $vgpr39
	s_delay_alu instid0(VALU_DEP_1) | instskip(NEXT) | instid1(VALU_DEP_1)
	v_mul_f32_e32 v1, v63, v1
	v_and_b32_e32 v2, 0x7f800000, v1
	s_delay_alu instid0(VALU_DEP_1) | instskip(NEXT) | instid1(VALU_DEP_1)
	v_cmp_ne_u32_e64 s0, 0x7f800000, v2
	s_and_saveexec_b32 s8, s0
	s_delay_alu instid0(SALU_CYCLE_1)
	s_xor_b32 s0, exec_lo, s8
; %bb.92:                               ;   in Loop: Header=BB196_29 Depth=1
	v_bfe_u32 v2, v1, 16, 1
	s_delay_alu instid0(VALU_DEP_1)
	v_add3_u32 v39, v1, v2, 0x7fff
                                        ; implicit-def: $vgpr1
; %bb.93:                               ;   in Loop: Header=BB196_29 Depth=1
	s_and_not1_saveexec_b32 s8, s0
; %bb.94:                               ;   in Loop: Header=BB196_29 Depth=1
	v_and_b32_e32 v2, 0xffff, v1
	v_or_b32_e32 v3, 0x10000, v1
	s_delay_alu instid0(VALU_DEP_2) | instskip(NEXT) | instid1(VALU_DEP_1)
	v_cmp_eq_u32_e64 s0, 0, v2
	v_cndmask_b32_e64 v39, v3, v1, s0
; %bb.95:                               ;   in Loop: Header=BB196_29 Depth=1
	s_or_b32 exec_lo, exec_lo, s8
	global_load_b128 v[1:4], v[5:6], off offset:512
	s_waitcnt vmcnt(0)
	v_lshrrev_b32_e32 v43, 16, v1
	v_lshrrev_b32_e32 v51, 16, v2
	;; [unrolled: 1-line block ×4, first 2 shown]
	s_and_saveexec_b32 s8, vcc_lo
	s_cbranch_execz .LBB196_97
; %bb.96:                               ;   in Loop: Header=BB196_29 Depth=1
	v_cmp_gt_i32_e64 s0, s28, v45
	s_delay_alu instid0(VALU_DEP_1) | instskip(SKIP_1) | instid1(VALU_DEP_1)
	v_cndmask_b32_e64 v1, 0, v1, s0
	v_cmp_gt_i32_e64 s0, s28, v52
	v_cndmask_b32_e64 v43, 0, v43, s0
	v_cmp_gt_i32_e64 s0, s28, v49
	s_delay_alu instid0(VALU_DEP_1) | instskip(SKIP_1) | instid1(VALU_DEP_1)
	v_cndmask_b32_e64 v2, 0, v2, s0
	v_cmp_gt_i32_e64 s0, s28, v48
	v_cndmask_b32_e64 v51, 0, v51, s0
	v_cmp_gt_i32_e64 s0, s28, v47
	s_delay_alu instid0(VALU_DEP_1) | instskip(SKIP_1) | instid1(VALU_DEP_1)
	v_cndmask_b32_e64 v3, 0, v3, s0
	v_cmp_gt_i32_e64 s0, s28, v46
	v_cndmask_b32_e64 v64, 0, v64, s0
	v_cmp_gt_i32_e64 s0, s28, v50
	s_delay_alu instid0(VALU_DEP_1) | instskip(SKIP_1) | instid1(VALU_DEP_1)
	v_cndmask_b32_e64 v4, 0, v4, s0
	v_cmp_gt_i32_e64 s0, s28, v26
	v_cndmask_b32_e64 v66, 0, v66, s0
.LBB196_97:                             ;   in Loop: Header=BB196_29 Depth=1
	s_or_b32 exec_lo, exec_lo, s8
	v_lshlrev_b32_e32 v1, 16, v1
	s_delay_alu instid0(VALU_DEP_1) | instskip(NEXT) | instid1(VALU_DEP_1)
	v_mul_f32_e32 v1, v56, v1
	v_and_b32_e32 v40, 0x7f800000, v1
	s_delay_alu instid0(VALU_DEP_1) | instskip(NEXT) | instid1(VALU_DEP_1)
	v_cmp_ne_u32_e64 s0, 0x7f800000, v40
                                        ; implicit-def: $vgpr40
	s_and_saveexec_b32 s8, s0
	s_delay_alu instid0(SALU_CYCLE_1)
	s_xor_b32 s0, exec_lo, s8
; %bb.98:                               ;   in Loop: Header=BB196_29 Depth=1
	v_bfe_u32 v40, v1, 16, 1
	s_delay_alu instid0(VALU_DEP_1)
	v_add3_u32 v40, v1, v40, 0x7fff
                                        ; implicit-def: $vgpr1
; %bb.99:                               ;   in Loop: Header=BB196_29 Depth=1
	s_and_not1_saveexec_b32 s8, s0
; %bb.100:                              ;   in Loop: Header=BB196_29 Depth=1
	v_and_b32_e32 v40, 0xffff, v1
	v_or_b32_e32 v44, 0x10000, v1
	s_delay_alu instid0(VALU_DEP_2) | instskip(NEXT) | instid1(VALU_DEP_1)
	v_cmp_eq_u32_e64 s0, 0, v40
	v_cndmask_b32_e64 v40, v44, v1, s0
; %bb.101:                              ;   in Loop: Header=BB196_29 Depth=1
	s_or_b32 exec_lo, exec_lo, s8
	v_lshlrev_b32_e32 v1, 16, v43
	s_delay_alu instid0(VALU_DEP_1) | instskip(NEXT) | instid1(VALU_DEP_1)
	v_mul_f32_e32 v1, v57, v1
	v_and_b32_e32 v43, 0x7f800000, v1
	s_delay_alu instid0(VALU_DEP_1) | instskip(NEXT) | instid1(VALU_DEP_1)
	v_cmp_ne_u32_e64 s0, 0x7f800000, v43
                                        ; implicit-def: $vgpr43
	s_and_saveexec_b32 s8, s0
	s_delay_alu instid0(SALU_CYCLE_1)
	s_xor_b32 s0, exec_lo, s8
; %bb.102:                              ;   in Loop: Header=BB196_29 Depth=1
	v_bfe_u32 v43, v1, 16, 1
	s_delay_alu instid0(VALU_DEP_1)
	v_add3_u32 v43, v1, v43, 0x7fff
                                        ; implicit-def: $vgpr1
; %bb.103:                              ;   in Loop: Header=BB196_29 Depth=1
	s_and_not1_saveexec_b32 s8, s0
; %bb.104:                              ;   in Loop: Header=BB196_29 Depth=1
	v_and_b32_e32 v43, 0xffff, v1
	v_or_b32_e32 v44, 0x10000, v1
	s_delay_alu instid0(VALU_DEP_2) | instskip(NEXT) | instid1(VALU_DEP_1)
	v_cmp_eq_u32_e64 s0, 0, v43
	v_cndmask_b32_e64 v43, v44, v1, s0
; %bb.105:                              ;   in Loop: Header=BB196_29 Depth=1
	s_or_b32 exec_lo, exec_lo, s8
	v_lshlrev_b32_e32 v1, 16, v2
                                        ; implicit-def: $vgpr44
	s_delay_alu instid0(VALU_DEP_1) | instskip(NEXT) | instid1(VALU_DEP_1)
	v_mul_f32_e32 v1, v58, v1
	v_and_b32_e32 v2, 0x7f800000, v1
	s_delay_alu instid0(VALU_DEP_1) | instskip(NEXT) | instid1(VALU_DEP_1)
	v_cmp_ne_u32_e64 s0, 0x7f800000, v2
	s_and_saveexec_b32 s8, s0
	s_delay_alu instid0(SALU_CYCLE_1)
	s_xor_b32 s0, exec_lo, s8
; %bb.106:                              ;   in Loop: Header=BB196_29 Depth=1
	v_bfe_u32 v2, v1, 16, 1
	s_delay_alu instid0(VALU_DEP_1)
	v_add3_u32 v44, v1, v2, 0x7fff
                                        ; implicit-def: $vgpr1
; %bb.107:                              ;   in Loop: Header=BB196_29 Depth=1
	s_and_not1_saveexec_b32 s8, s0
; %bb.108:                              ;   in Loop: Header=BB196_29 Depth=1
	v_and_b32_e32 v2, 0xffff, v1
	v_or_b32_e32 v44, 0x10000, v1
	s_delay_alu instid0(VALU_DEP_2) | instskip(NEXT) | instid1(VALU_DEP_1)
	v_cmp_eq_u32_e64 s0, 0, v2
	v_cndmask_b32_e64 v44, v44, v1, s0
; %bb.109:                              ;   in Loop: Header=BB196_29 Depth=1
	s_or_b32 exec_lo, exec_lo, s8
	v_lshlrev_b32_e32 v1, 16, v51
                                        ; implicit-def: $vgpr51
	s_delay_alu instid0(VALU_DEP_1) | instskip(NEXT) | instid1(VALU_DEP_1)
	v_mul_f32_e32 v1, v59, v1
	v_and_b32_e32 v2, 0x7f800000, v1
	s_delay_alu instid0(VALU_DEP_1) | instskip(NEXT) | instid1(VALU_DEP_1)
	v_cmp_ne_u32_e64 s0, 0x7f800000, v2
	s_and_saveexec_b32 s8, s0
	s_delay_alu instid0(SALU_CYCLE_1)
	s_xor_b32 s0, exec_lo, s8
; %bb.110:                              ;   in Loop: Header=BB196_29 Depth=1
	v_bfe_u32 v2, v1, 16, 1
	s_delay_alu instid0(VALU_DEP_1)
	v_add3_u32 v51, v1, v2, 0x7fff
                                        ; implicit-def: $vgpr1
; %bb.111:                              ;   in Loop: Header=BB196_29 Depth=1
	s_and_not1_saveexec_b32 s8, s0
; %bb.112:                              ;   in Loop: Header=BB196_29 Depth=1
	v_and_b32_e32 v2, 0xffff, v1
	v_or_b32_e32 v51, 0x10000, v1
	s_delay_alu instid0(VALU_DEP_2) | instskip(NEXT) | instid1(VALU_DEP_1)
	v_cmp_eq_u32_e64 s0, 0, v2
	v_cndmask_b32_e64 v51, v51, v1, s0
; %bb.113:                              ;   in Loop: Header=BB196_29 Depth=1
	s_or_b32 exec_lo, exec_lo, s8
	v_lshlrev_b32_e32 v1, 16, v3
                                        ; implicit-def: $vgpr55
	s_delay_alu instid0(VALU_DEP_1) | instskip(NEXT) | instid1(VALU_DEP_1)
	v_mul_f32_e32 v1, v60, v1
	v_and_b32_e32 v2, 0x7f800000, v1
	s_delay_alu instid0(VALU_DEP_1) | instskip(NEXT) | instid1(VALU_DEP_1)
	v_cmp_ne_u32_e64 s0, 0x7f800000, v2
	s_and_saveexec_b32 s8, s0
	s_delay_alu instid0(SALU_CYCLE_1)
	s_xor_b32 s0, exec_lo, s8
; %bb.114:                              ;   in Loop: Header=BB196_29 Depth=1
	v_bfe_u32 v2, v1, 16, 1
	s_delay_alu instid0(VALU_DEP_1)
	v_add3_u32 v55, v1, v2, 0x7fff
                                        ; implicit-def: $vgpr1
; %bb.115:                              ;   in Loop: Header=BB196_29 Depth=1
	s_and_not1_saveexec_b32 s8, s0
; %bb.116:                              ;   in Loop: Header=BB196_29 Depth=1
	v_and_b32_e32 v2, 0xffff, v1
	v_or_b32_e32 v3, 0x10000, v1
	s_delay_alu instid0(VALU_DEP_2) | instskip(NEXT) | instid1(VALU_DEP_1)
	v_cmp_eq_u32_e64 s0, 0, v2
	v_cndmask_b32_e64 v55, v3, v1, s0
; %bb.117:                              ;   in Loop: Header=BB196_29 Depth=1
	s_or_b32 exec_lo, exec_lo, s8
	v_lshlrev_b32_e32 v1, 16, v64
                                        ; implicit-def: $vgpr64
	s_delay_alu instid0(VALU_DEP_1) | instskip(NEXT) | instid1(VALU_DEP_1)
	v_mul_f32_e32 v1, v61, v1
	v_and_b32_e32 v2, 0x7f800000, v1
	s_delay_alu instid0(VALU_DEP_1) | instskip(NEXT) | instid1(VALU_DEP_1)
	v_cmp_ne_u32_e64 s0, 0x7f800000, v2
	s_and_saveexec_b32 s8, s0
	s_delay_alu instid0(SALU_CYCLE_1)
	s_xor_b32 s0, exec_lo, s8
; %bb.118:                              ;   in Loop: Header=BB196_29 Depth=1
	v_bfe_u32 v2, v1, 16, 1
	s_delay_alu instid0(VALU_DEP_1)
	v_add3_u32 v64, v1, v2, 0x7fff
                                        ; implicit-def: $vgpr1
; %bb.119:                              ;   in Loop: Header=BB196_29 Depth=1
	s_and_not1_saveexec_b32 s8, s0
; %bb.120:                              ;   in Loop: Header=BB196_29 Depth=1
	v_and_b32_e32 v2, 0xffff, v1
	v_or_b32_e32 v3, 0x10000, v1
	s_delay_alu instid0(VALU_DEP_2) | instskip(NEXT) | instid1(VALU_DEP_1)
	v_cmp_eq_u32_e64 s0, 0, v2
	v_cndmask_b32_e64 v64, v3, v1, s0
; %bb.121:                              ;   in Loop: Header=BB196_29 Depth=1
	s_or_b32 exec_lo, exec_lo, s8
	v_lshlrev_b32_e32 v1, 16, v4
                                        ; implicit-def: $vgpr65
	s_delay_alu instid0(VALU_DEP_1) | instskip(NEXT) | instid1(VALU_DEP_1)
	v_mul_f32_e32 v1, v62, v1
	v_and_b32_e32 v2, 0x7f800000, v1
	s_delay_alu instid0(VALU_DEP_1) | instskip(NEXT) | instid1(VALU_DEP_1)
	v_cmp_ne_u32_e64 s0, 0x7f800000, v2
	s_and_saveexec_b32 s8, s0
	s_delay_alu instid0(SALU_CYCLE_1)
	s_xor_b32 s0, exec_lo, s8
; %bb.122:                              ;   in Loop: Header=BB196_29 Depth=1
	v_bfe_u32 v2, v1, 16, 1
	s_delay_alu instid0(VALU_DEP_1)
	v_add3_u32 v65, v1, v2, 0x7fff
                                        ; implicit-def: $vgpr1
; %bb.123:                              ;   in Loop: Header=BB196_29 Depth=1
	s_and_not1_saveexec_b32 s8, s0
; %bb.124:                              ;   in Loop: Header=BB196_29 Depth=1
	v_and_b32_e32 v2, 0xffff, v1
	v_or_b32_e32 v3, 0x10000, v1
	s_delay_alu instid0(VALU_DEP_2) | instskip(NEXT) | instid1(VALU_DEP_1)
	v_cmp_eq_u32_e64 s0, 0, v2
	v_cndmask_b32_e64 v65, v3, v1, s0
; %bb.125:                              ;   in Loop: Header=BB196_29 Depth=1
	s_or_b32 exec_lo, exec_lo, s8
	v_lshlrev_b32_e32 v1, 16, v66
                                        ; implicit-def: $vgpr66
	s_delay_alu instid0(VALU_DEP_1) | instskip(NEXT) | instid1(VALU_DEP_1)
	v_mul_f32_e32 v1, v63, v1
	v_and_b32_e32 v2, 0x7f800000, v1
	s_delay_alu instid0(VALU_DEP_1) | instskip(NEXT) | instid1(VALU_DEP_1)
	v_cmp_ne_u32_e64 s0, 0x7f800000, v2
	s_and_saveexec_b32 s8, s0
	s_delay_alu instid0(SALU_CYCLE_1)
	s_xor_b32 s0, exec_lo, s8
; %bb.126:                              ;   in Loop: Header=BB196_29 Depth=1
	v_bfe_u32 v2, v1, 16, 1
	s_delay_alu instid0(VALU_DEP_1)
	v_add3_u32 v66, v1, v2, 0x7fff
                                        ; implicit-def: $vgpr1
; %bb.127:                              ;   in Loop: Header=BB196_29 Depth=1
	s_and_not1_saveexec_b32 s8, s0
; %bb.128:                              ;   in Loop: Header=BB196_29 Depth=1
	v_and_b32_e32 v2, 0xffff, v1
	v_or_b32_e32 v3, 0x10000, v1
	s_delay_alu instid0(VALU_DEP_2) | instskip(NEXT) | instid1(VALU_DEP_1)
	v_cmp_eq_u32_e64 s0, 0, v2
	v_cndmask_b32_e64 v66, v3, v1, s0
; %bb.129:                              ;   in Loop: Header=BB196_29 Depth=1
	s_or_b32 exec_lo, exec_lo, s8
	global_load_b128 v[1:4], v[5:6], off offset:1024
	s_waitcnt vmcnt(0)
	v_lshrrev_b32_e32 v68, 16, v1
	v_lshrrev_b32_e32 v70, 16, v2
	;; [unrolled: 1-line block ×4, first 2 shown]
	s_and_saveexec_b32 s8, vcc_lo
	s_cbranch_execz .LBB196_131
; %bb.130:                              ;   in Loop: Header=BB196_29 Depth=1
	v_cmp_gt_i32_e64 s0, s28, v45
	s_delay_alu instid0(VALU_DEP_1) | instskip(SKIP_1) | instid1(VALU_DEP_1)
	v_cndmask_b32_e64 v1, 0, v1, s0
	v_cmp_gt_i32_e64 s0, s28, v52
	v_cndmask_b32_e64 v68, 0, v68, s0
	v_cmp_gt_i32_e64 s0, s28, v49
	s_delay_alu instid0(VALU_DEP_1) | instskip(SKIP_1) | instid1(VALU_DEP_1)
	v_cndmask_b32_e64 v2, 0, v2, s0
	v_cmp_gt_i32_e64 s0, s28, v48
	v_cndmask_b32_e64 v70, 0, v70, s0
	;; [unrolled: 5-line block ×4, first 2 shown]
.LBB196_131:                            ;   in Loop: Header=BB196_29 Depth=1
	s_or_b32 exec_lo, exec_lo, s8
	v_lshlrev_b32_e32 v1, 16, v1
	s_delay_alu instid0(VALU_DEP_1) | instskip(NEXT) | instid1(VALU_DEP_1)
	v_mul_f32_e32 v1, v56, v1
	v_and_b32_e32 v67, 0x7f800000, v1
	s_delay_alu instid0(VALU_DEP_1) | instskip(NEXT) | instid1(VALU_DEP_1)
	v_cmp_ne_u32_e64 s0, 0x7f800000, v67
                                        ; implicit-def: $vgpr67
	s_and_saveexec_b32 s8, s0
	s_delay_alu instid0(SALU_CYCLE_1)
	s_xor_b32 s0, exec_lo, s8
; %bb.132:                              ;   in Loop: Header=BB196_29 Depth=1
	v_bfe_u32 v67, v1, 16, 1
	s_delay_alu instid0(VALU_DEP_1)
	v_add3_u32 v67, v1, v67, 0x7fff
                                        ; implicit-def: $vgpr1
; %bb.133:                              ;   in Loop: Header=BB196_29 Depth=1
	s_and_not1_saveexec_b32 s8, s0
; %bb.134:                              ;   in Loop: Header=BB196_29 Depth=1
	v_and_b32_e32 v67, 0xffff, v1
	v_or_b32_e32 v69, 0x10000, v1
	s_delay_alu instid0(VALU_DEP_2) | instskip(NEXT) | instid1(VALU_DEP_1)
	v_cmp_eq_u32_e64 s0, 0, v67
	v_cndmask_b32_e64 v67, v69, v1, s0
; %bb.135:                              ;   in Loop: Header=BB196_29 Depth=1
	s_or_b32 exec_lo, exec_lo, s8
	v_lshlrev_b32_e32 v1, 16, v68
	s_delay_alu instid0(VALU_DEP_1) | instskip(NEXT) | instid1(VALU_DEP_1)
	v_mul_f32_e32 v1, v57, v1
	v_and_b32_e32 v68, 0x7f800000, v1
	s_delay_alu instid0(VALU_DEP_1) | instskip(NEXT) | instid1(VALU_DEP_1)
	v_cmp_ne_u32_e64 s0, 0x7f800000, v68
                                        ; implicit-def: $vgpr68
	s_and_saveexec_b32 s8, s0
	s_delay_alu instid0(SALU_CYCLE_1)
	s_xor_b32 s0, exec_lo, s8
; %bb.136:                              ;   in Loop: Header=BB196_29 Depth=1
	v_bfe_u32 v68, v1, 16, 1
	s_delay_alu instid0(VALU_DEP_1)
	v_add3_u32 v68, v1, v68, 0x7fff
                                        ; implicit-def: $vgpr1
; %bb.137:                              ;   in Loop: Header=BB196_29 Depth=1
	s_and_not1_saveexec_b32 s8, s0
; %bb.138:                              ;   in Loop: Header=BB196_29 Depth=1
	v_and_b32_e32 v68, 0xffff, v1
	v_or_b32_e32 v69, 0x10000, v1
	s_delay_alu instid0(VALU_DEP_2) | instskip(NEXT) | instid1(VALU_DEP_1)
	v_cmp_eq_u32_e64 s0, 0, v68
	v_cndmask_b32_e64 v68, v69, v1, s0
; %bb.139:                              ;   in Loop: Header=BB196_29 Depth=1
	s_or_b32 exec_lo, exec_lo, s8
	v_lshlrev_b32_e32 v1, 16, v2
                                        ; implicit-def: $vgpr69
	s_delay_alu instid0(VALU_DEP_1) | instskip(NEXT) | instid1(VALU_DEP_1)
	v_mul_f32_e32 v1, v58, v1
	v_and_b32_e32 v2, 0x7f800000, v1
	s_delay_alu instid0(VALU_DEP_1) | instskip(NEXT) | instid1(VALU_DEP_1)
	v_cmp_ne_u32_e64 s0, 0x7f800000, v2
	s_and_saveexec_b32 s8, s0
	s_delay_alu instid0(SALU_CYCLE_1)
	s_xor_b32 s0, exec_lo, s8
; %bb.140:                              ;   in Loop: Header=BB196_29 Depth=1
	v_bfe_u32 v2, v1, 16, 1
	s_delay_alu instid0(VALU_DEP_1)
	v_add3_u32 v69, v1, v2, 0x7fff
                                        ; implicit-def: $vgpr1
; %bb.141:                              ;   in Loop: Header=BB196_29 Depth=1
	s_and_not1_saveexec_b32 s8, s0
; %bb.142:                              ;   in Loop: Header=BB196_29 Depth=1
	v_and_b32_e32 v2, 0xffff, v1
	v_or_b32_e32 v69, 0x10000, v1
	s_delay_alu instid0(VALU_DEP_2) | instskip(NEXT) | instid1(VALU_DEP_1)
	v_cmp_eq_u32_e64 s0, 0, v2
	v_cndmask_b32_e64 v69, v69, v1, s0
; %bb.143:                              ;   in Loop: Header=BB196_29 Depth=1
	s_or_b32 exec_lo, exec_lo, s8
	v_lshlrev_b32_e32 v1, 16, v70
                                        ; implicit-def: $vgpr70
	s_delay_alu instid0(VALU_DEP_1) | instskip(NEXT) | instid1(VALU_DEP_1)
	v_mul_f32_e32 v1, v59, v1
	v_and_b32_e32 v2, 0x7f800000, v1
	s_delay_alu instid0(VALU_DEP_1) | instskip(NEXT) | instid1(VALU_DEP_1)
	v_cmp_ne_u32_e64 s0, 0x7f800000, v2
	s_and_saveexec_b32 s8, s0
	s_delay_alu instid0(SALU_CYCLE_1)
	s_xor_b32 s0, exec_lo, s8
; %bb.144:                              ;   in Loop: Header=BB196_29 Depth=1
	v_bfe_u32 v2, v1, 16, 1
	s_delay_alu instid0(VALU_DEP_1)
	v_add3_u32 v70, v1, v2, 0x7fff
                                        ; implicit-def: $vgpr1
; %bb.145:                              ;   in Loop: Header=BB196_29 Depth=1
	s_and_not1_saveexec_b32 s8, s0
; %bb.146:                              ;   in Loop: Header=BB196_29 Depth=1
	v_and_b32_e32 v2, 0xffff, v1
	v_or_b32_e32 v70, 0x10000, v1
	s_delay_alu instid0(VALU_DEP_2) | instskip(NEXT) | instid1(VALU_DEP_1)
	v_cmp_eq_u32_e64 s0, 0, v2
	v_cndmask_b32_e64 v70, v70, v1, s0
; %bb.147:                              ;   in Loop: Header=BB196_29 Depth=1
	s_or_b32 exec_lo, exec_lo, s8
	v_lshlrev_b32_e32 v1, 16, v3
                                        ; implicit-def: $vgpr71
	s_delay_alu instid0(VALU_DEP_1) | instskip(NEXT) | instid1(VALU_DEP_1)
	v_mul_f32_e32 v1, v60, v1
	v_and_b32_e32 v2, 0x7f800000, v1
	s_delay_alu instid0(VALU_DEP_1) | instskip(NEXT) | instid1(VALU_DEP_1)
	v_cmp_ne_u32_e64 s0, 0x7f800000, v2
	s_and_saveexec_b32 s8, s0
	s_delay_alu instid0(SALU_CYCLE_1)
	s_xor_b32 s0, exec_lo, s8
; %bb.148:                              ;   in Loop: Header=BB196_29 Depth=1
	v_bfe_u32 v2, v1, 16, 1
	s_delay_alu instid0(VALU_DEP_1)
	v_add3_u32 v71, v1, v2, 0x7fff
                                        ; implicit-def: $vgpr1
; %bb.149:                              ;   in Loop: Header=BB196_29 Depth=1
	s_and_not1_saveexec_b32 s8, s0
; %bb.150:                              ;   in Loop: Header=BB196_29 Depth=1
	v_and_b32_e32 v2, 0xffff, v1
	v_or_b32_e32 v3, 0x10000, v1
	s_delay_alu instid0(VALU_DEP_2) | instskip(NEXT) | instid1(VALU_DEP_1)
	v_cmp_eq_u32_e64 s0, 0, v2
	v_cndmask_b32_e64 v71, v3, v1, s0
; %bb.151:                              ;   in Loop: Header=BB196_29 Depth=1
	s_or_b32 exec_lo, exec_lo, s8
	v_lshlrev_b32_e32 v1, 16, v72
                                        ; implicit-def: $vgpr72
	s_delay_alu instid0(VALU_DEP_1) | instskip(NEXT) | instid1(VALU_DEP_1)
	v_mul_f32_e32 v1, v61, v1
	v_and_b32_e32 v2, 0x7f800000, v1
	s_delay_alu instid0(VALU_DEP_1) | instskip(NEXT) | instid1(VALU_DEP_1)
	v_cmp_ne_u32_e64 s0, 0x7f800000, v2
	s_and_saveexec_b32 s8, s0
	s_delay_alu instid0(SALU_CYCLE_1)
	s_xor_b32 s0, exec_lo, s8
; %bb.152:                              ;   in Loop: Header=BB196_29 Depth=1
	v_bfe_u32 v2, v1, 16, 1
	s_delay_alu instid0(VALU_DEP_1)
	v_add3_u32 v72, v1, v2, 0x7fff
                                        ; implicit-def: $vgpr1
; %bb.153:                              ;   in Loop: Header=BB196_29 Depth=1
	s_and_not1_saveexec_b32 s8, s0
; %bb.154:                              ;   in Loop: Header=BB196_29 Depth=1
	v_and_b32_e32 v2, 0xffff, v1
	v_or_b32_e32 v3, 0x10000, v1
	s_delay_alu instid0(VALU_DEP_2) | instskip(NEXT) | instid1(VALU_DEP_1)
	v_cmp_eq_u32_e64 s0, 0, v2
	v_cndmask_b32_e64 v72, v3, v1, s0
; %bb.155:                              ;   in Loop: Header=BB196_29 Depth=1
	s_or_b32 exec_lo, exec_lo, s8
	v_lshlrev_b32_e32 v1, 16, v4
                                        ; implicit-def: $vgpr73
	s_delay_alu instid0(VALU_DEP_1) | instskip(NEXT) | instid1(VALU_DEP_1)
	v_mul_f32_e32 v1, v62, v1
	v_and_b32_e32 v2, 0x7f800000, v1
	s_delay_alu instid0(VALU_DEP_1) | instskip(NEXT) | instid1(VALU_DEP_1)
	v_cmp_ne_u32_e64 s0, 0x7f800000, v2
	s_and_saveexec_b32 s8, s0
	s_delay_alu instid0(SALU_CYCLE_1)
	s_xor_b32 s0, exec_lo, s8
; %bb.156:                              ;   in Loop: Header=BB196_29 Depth=1
	v_bfe_u32 v2, v1, 16, 1
	s_delay_alu instid0(VALU_DEP_1)
	v_add3_u32 v73, v1, v2, 0x7fff
                                        ; implicit-def: $vgpr1
; %bb.157:                              ;   in Loop: Header=BB196_29 Depth=1
	s_and_not1_saveexec_b32 s8, s0
; %bb.158:                              ;   in Loop: Header=BB196_29 Depth=1
	v_and_b32_e32 v2, 0xffff, v1
	v_or_b32_e32 v3, 0x10000, v1
	s_delay_alu instid0(VALU_DEP_2) | instskip(NEXT) | instid1(VALU_DEP_1)
	v_cmp_eq_u32_e64 s0, 0, v2
	v_cndmask_b32_e64 v73, v3, v1, s0
; %bb.159:                              ;   in Loop: Header=BB196_29 Depth=1
	s_or_b32 exec_lo, exec_lo, s8
	v_lshlrev_b32_e32 v1, 16, v74
                                        ; implicit-def: $vgpr74
	s_delay_alu instid0(VALU_DEP_1) | instskip(NEXT) | instid1(VALU_DEP_1)
	v_mul_f32_e32 v1, v63, v1
	v_and_b32_e32 v2, 0x7f800000, v1
	s_delay_alu instid0(VALU_DEP_1) | instskip(NEXT) | instid1(VALU_DEP_1)
	v_cmp_ne_u32_e64 s0, 0x7f800000, v2
	s_and_saveexec_b32 s8, s0
	s_delay_alu instid0(SALU_CYCLE_1)
	s_xor_b32 s0, exec_lo, s8
; %bb.160:                              ;   in Loop: Header=BB196_29 Depth=1
	v_bfe_u32 v2, v1, 16, 1
	s_delay_alu instid0(VALU_DEP_1)
	v_add3_u32 v74, v1, v2, 0x7fff
                                        ; implicit-def: $vgpr1
; %bb.161:                              ;   in Loop: Header=BB196_29 Depth=1
	s_and_not1_saveexec_b32 s8, s0
; %bb.162:                              ;   in Loop: Header=BB196_29 Depth=1
	v_and_b32_e32 v2, 0xffff, v1
	v_or_b32_e32 v3, 0x10000, v1
	s_delay_alu instid0(VALU_DEP_2) | instskip(NEXT) | instid1(VALU_DEP_1)
	v_cmp_eq_u32_e64 s0, 0, v2
	v_cndmask_b32_e64 v74, v3, v1, s0
; %bb.163:                              ;   in Loop: Header=BB196_29 Depth=1
	s_or_b32 exec_lo, exec_lo, s8
	global_load_b128 v[1:4], v[5:6], off offset:1536
	s_waitcnt vmcnt(0)
	v_lshrrev_b32_e32 v76, 16, v1
	v_lshrrev_b32_e32 v78, 16, v2
	;; [unrolled: 1-line block ×4, first 2 shown]
	s_and_saveexec_b32 s8, vcc_lo
	s_cbranch_execz .LBB196_165
; %bb.164:                              ;   in Loop: Header=BB196_29 Depth=1
	v_cmp_gt_i32_e64 s0, s28, v45
	s_delay_alu instid0(VALU_DEP_1) | instskip(SKIP_1) | instid1(VALU_DEP_1)
	v_cndmask_b32_e64 v1, 0, v1, s0
	v_cmp_gt_i32_e64 s0, s28, v52
	v_cndmask_b32_e64 v76, 0, v76, s0
	v_cmp_gt_i32_e64 s0, s28, v49
	s_delay_alu instid0(VALU_DEP_1) | instskip(SKIP_1) | instid1(VALU_DEP_1)
	v_cndmask_b32_e64 v2, 0, v2, s0
	v_cmp_gt_i32_e64 s0, s28, v48
	v_cndmask_b32_e64 v78, 0, v78, s0
	;; [unrolled: 5-line block ×4, first 2 shown]
.LBB196_165:                            ;   in Loop: Header=BB196_29 Depth=1
	s_or_b32 exec_lo, exec_lo, s8
	v_lshlrev_b32_e32 v1, 16, v1
	s_delay_alu instid0(VALU_DEP_1) | instskip(NEXT) | instid1(VALU_DEP_1)
	v_mul_f32_e32 v1, v56, v1
	v_and_b32_e32 v75, 0x7f800000, v1
	s_delay_alu instid0(VALU_DEP_1) | instskip(NEXT) | instid1(VALU_DEP_1)
	v_cmp_ne_u32_e64 s0, 0x7f800000, v75
                                        ; implicit-def: $vgpr75
	s_and_saveexec_b32 s8, s0
	s_delay_alu instid0(SALU_CYCLE_1)
	s_xor_b32 s0, exec_lo, s8
; %bb.166:                              ;   in Loop: Header=BB196_29 Depth=1
	v_bfe_u32 v75, v1, 16, 1
	s_delay_alu instid0(VALU_DEP_1)
	v_add3_u32 v75, v1, v75, 0x7fff
                                        ; implicit-def: $vgpr1
; %bb.167:                              ;   in Loop: Header=BB196_29 Depth=1
	s_and_not1_saveexec_b32 s8, s0
; %bb.168:                              ;   in Loop: Header=BB196_29 Depth=1
	v_and_b32_e32 v75, 0xffff, v1
	v_or_b32_e32 v77, 0x10000, v1
	s_delay_alu instid0(VALU_DEP_2) | instskip(NEXT) | instid1(VALU_DEP_1)
	v_cmp_eq_u32_e64 s0, 0, v75
	v_cndmask_b32_e64 v75, v77, v1, s0
; %bb.169:                              ;   in Loop: Header=BB196_29 Depth=1
	s_or_b32 exec_lo, exec_lo, s8
	v_lshlrev_b32_e32 v1, 16, v76
	s_delay_alu instid0(VALU_DEP_1) | instskip(NEXT) | instid1(VALU_DEP_1)
	v_mul_f32_e32 v1, v57, v1
	v_and_b32_e32 v76, 0x7f800000, v1
	s_delay_alu instid0(VALU_DEP_1) | instskip(NEXT) | instid1(VALU_DEP_1)
	v_cmp_ne_u32_e64 s0, 0x7f800000, v76
                                        ; implicit-def: $vgpr76
	s_and_saveexec_b32 s8, s0
	s_delay_alu instid0(SALU_CYCLE_1)
	s_xor_b32 s0, exec_lo, s8
; %bb.170:                              ;   in Loop: Header=BB196_29 Depth=1
	v_bfe_u32 v76, v1, 16, 1
	s_delay_alu instid0(VALU_DEP_1)
	v_add3_u32 v76, v1, v76, 0x7fff
                                        ; implicit-def: $vgpr1
; %bb.171:                              ;   in Loop: Header=BB196_29 Depth=1
	s_and_not1_saveexec_b32 s8, s0
; %bb.172:                              ;   in Loop: Header=BB196_29 Depth=1
	v_and_b32_e32 v76, 0xffff, v1
	v_or_b32_e32 v77, 0x10000, v1
	s_delay_alu instid0(VALU_DEP_2) | instskip(NEXT) | instid1(VALU_DEP_1)
	v_cmp_eq_u32_e64 s0, 0, v76
	v_cndmask_b32_e64 v76, v77, v1, s0
; %bb.173:                              ;   in Loop: Header=BB196_29 Depth=1
	s_or_b32 exec_lo, exec_lo, s8
	v_lshlrev_b32_e32 v1, 16, v2
                                        ; implicit-def: $vgpr77
	s_delay_alu instid0(VALU_DEP_1) | instskip(NEXT) | instid1(VALU_DEP_1)
	v_mul_f32_e32 v1, v58, v1
	v_and_b32_e32 v2, 0x7f800000, v1
	s_delay_alu instid0(VALU_DEP_1) | instskip(NEXT) | instid1(VALU_DEP_1)
	v_cmp_ne_u32_e64 s0, 0x7f800000, v2
	s_and_saveexec_b32 s8, s0
	s_delay_alu instid0(SALU_CYCLE_1)
	s_xor_b32 s0, exec_lo, s8
; %bb.174:                              ;   in Loop: Header=BB196_29 Depth=1
	v_bfe_u32 v2, v1, 16, 1
	s_delay_alu instid0(VALU_DEP_1)
	v_add3_u32 v77, v1, v2, 0x7fff
                                        ; implicit-def: $vgpr1
; %bb.175:                              ;   in Loop: Header=BB196_29 Depth=1
	s_and_not1_saveexec_b32 s8, s0
; %bb.176:                              ;   in Loop: Header=BB196_29 Depth=1
	v_and_b32_e32 v2, 0xffff, v1
	v_or_b32_e32 v77, 0x10000, v1
	s_delay_alu instid0(VALU_DEP_2) | instskip(NEXT) | instid1(VALU_DEP_1)
	v_cmp_eq_u32_e64 s0, 0, v2
	v_cndmask_b32_e64 v77, v77, v1, s0
; %bb.177:                              ;   in Loop: Header=BB196_29 Depth=1
	s_or_b32 exec_lo, exec_lo, s8
	v_lshlrev_b32_e32 v1, 16, v78
                                        ; implicit-def: $vgpr78
	s_delay_alu instid0(VALU_DEP_1) | instskip(NEXT) | instid1(VALU_DEP_1)
	v_mul_f32_e32 v1, v59, v1
	v_and_b32_e32 v2, 0x7f800000, v1
	s_delay_alu instid0(VALU_DEP_1) | instskip(NEXT) | instid1(VALU_DEP_1)
	v_cmp_ne_u32_e64 s0, 0x7f800000, v2
	s_and_saveexec_b32 s8, s0
	s_delay_alu instid0(SALU_CYCLE_1)
	s_xor_b32 s0, exec_lo, s8
; %bb.178:                              ;   in Loop: Header=BB196_29 Depth=1
	v_bfe_u32 v2, v1, 16, 1
	s_delay_alu instid0(VALU_DEP_1)
	v_add3_u32 v78, v1, v2, 0x7fff
                                        ; implicit-def: $vgpr1
; %bb.179:                              ;   in Loop: Header=BB196_29 Depth=1
	s_and_not1_saveexec_b32 s8, s0
; %bb.180:                              ;   in Loop: Header=BB196_29 Depth=1
	v_and_b32_e32 v2, 0xffff, v1
	v_or_b32_e32 v78, 0x10000, v1
	s_delay_alu instid0(VALU_DEP_2) | instskip(NEXT) | instid1(VALU_DEP_1)
	v_cmp_eq_u32_e64 s0, 0, v2
	v_cndmask_b32_e64 v78, v78, v1, s0
; %bb.181:                              ;   in Loop: Header=BB196_29 Depth=1
	s_or_b32 exec_lo, exec_lo, s8
	v_lshlrev_b32_e32 v1, 16, v3
                                        ; implicit-def: $vgpr79
	s_delay_alu instid0(VALU_DEP_1) | instskip(NEXT) | instid1(VALU_DEP_1)
	v_mul_f32_e32 v1, v60, v1
	v_and_b32_e32 v2, 0x7f800000, v1
	s_delay_alu instid0(VALU_DEP_1) | instskip(NEXT) | instid1(VALU_DEP_1)
	v_cmp_ne_u32_e64 s0, 0x7f800000, v2
	s_and_saveexec_b32 s8, s0
	s_delay_alu instid0(SALU_CYCLE_1)
	s_xor_b32 s0, exec_lo, s8
; %bb.182:                              ;   in Loop: Header=BB196_29 Depth=1
	v_bfe_u32 v2, v1, 16, 1
	s_delay_alu instid0(VALU_DEP_1)
	v_add3_u32 v79, v1, v2, 0x7fff
                                        ; implicit-def: $vgpr1
; %bb.183:                              ;   in Loop: Header=BB196_29 Depth=1
	s_and_not1_saveexec_b32 s8, s0
; %bb.184:                              ;   in Loop: Header=BB196_29 Depth=1
	v_and_b32_e32 v2, 0xffff, v1
	v_or_b32_e32 v3, 0x10000, v1
	s_delay_alu instid0(VALU_DEP_2) | instskip(NEXT) | instid1(VALU_DEP_1)
	v_cmp_eq_u32_e64 s0, 0, v2
	v_cndmask_b32_e64 v79, v3, v1, s0
; %bb.185:                              ;   in Loop: Header=BB196_29 Depth=1
	s_or_b32 exec_lo, exec_lo, s8
	v_lshlrev_b32_e32 v1, 16, v80
                                        ; implicit-def: $vgpr80
	s_delay_alu instid0(VALU_DEP_1) | instskip(NEXT) | instid1(VALU_DEP_1)
	v_mul_f32_e32 v1, v61, v1
	v_and_b32_e32 v2, 0x7f800000, v1
	s_delay_alu instid0(VALU_DEP_1) | instskip(NEXT) | instid1(VALU_DEP_1)
	v_cmp_ne_u32_e64 s0, 0x7f800000, v2
	s_and_saveexec_b32 s8, s0
	s_delay_alu instid0(SALU_CYCLE_1)
	s_xor_b32 s0, exec_lo, s8
; %bb.186:                              ;   in Loop: Header=BB196_29 Depth=1
	v_bfe_u32 v2, v1, 16, 1
	s_delay_alu instid0(VALU_DEP_1)
	v_add3_u32 v80, v1, v2, 0x7fff
                                        ; implicit-def: $vgpr1
; %bb.187:                              ;   in Loop: Header=BB196_29 Depth=1
	s_and_not1_saveexec_b32 s8, s0
; %bb.188:                              ;   in Loop: Header=BB196_29 Depth=1
	v_and_b32_e32 v2, 0xffff, v1
	v_or_b32_e32 v3, 0x10000, v1
	s_delay_alu instid0(VALU_DEP_2) | instskip(NEXT) | instid1(VALU_DEP_1)
	v_cmp_eq_u32_e64 s0, 0, v2
	v_cndmask_b32_e64 v80, v3, v1, s0
; %bb.189:                              ;   in Loop: Header=BB196_29 Depth=1
	s_or_b32 exec_lo, exec_lo, s8
	v_lshlrev_b32_e32 v1, 16, v4
                                        ; implicit-def: $vgpr81
	s_delay_alu instid0(VALU_DEP_1) | instskip(NEXT) | instid1(VALU_DEP_1)
	v_mul_f32_e32 v1, v62, v1
	v_and_b32_e32 v2, 0x7f800000, v1
	s_delay_alu instid0(VALU_DEP_1) | instskip(NEXT) | instid1(VALU_DEP_1)
	v_cmp_ne_u32_e64 s0, 0x7f800000, v2
	s_and_saveexec_b32 s8, s0
	s_delay_alu instid0(SALU_CYCLE_1)
	s_xor_b32 s0, exec_lo, s8
; %bb.190:                              ;   in Loop: Header=BB196_29 Depth=1
	v_bfe_u32 v2, v1, 16, 1
	s_delay_alu instid0(VALU_DEP_1)
	v_add3_u32 v81, v1, v2, 0x7fff
                                        ; implicit-def: $vgpr1
; %bb.191:                              ;   in Loop: Header=BB196_29 Depth=1
	s_and_not1_saveexec_b32 s8, s0
; %bb.192:                              ;   in Loop: Header=BB196_29 Depth=1
	v_and_b32_e32 v2, 0xffff, v1
	v_or_b32_e32 v3, 0x10000, v1
	s_delay_alu instid0(VALU_DEP_2) | instskip(NEXT) | instid1(VALU_DEP_1)
	v_cmp_eq_u32_e64 s0, 0, v2
	v_cndmask_b32_e64 v81, v3, v1, s0
; %bb.193:                              ;   in Loop: Header=BB196_29 Depth=1
	s_or_b32 exec_lo, exec_lo, s8
	v_lshlrev_b32_e32 v1, 16, v82
                                        ; implicit-def: $vgpr82
	s_delay_alu instid0(VALU_DEP_1) | instskip(NEXT) | instid1(VALU_DEP_1)
	v_mul_f32_e32 v1, v63, v1
	v_and_b32_e32 v2, 0x7f800000, v1
	s_delay_alu instid0(VALU_DEP_1) | instskip(NEXT) | instid1(VALU_DEP_1)
	v_cmp_ne_u32_e64 s0, 0x7f800000, v2
	s_and_saveexec_b32 s8, s0
	s_delay_alu instid0(SALU_CYCLE_1)
	s_xor_b32 s0, exec_lo, s8
; %bb.194:                              ;   in Loop: Header=BB196_29 Depth=1
	v_bfe_u32 v2, v1, 16, 1
	s_delay_alu instid0(VALU_DEP_1)
	v_add3_u32 v82, v1, v2, 0x7fff
                                        ; implicit-def: $vgpr1
; %bb.195:                              ;   in Loop: Header=BB196_29 Depth=1
	s_and_not1_saveexec_b32 s8, s0
; %bb.196:                              ;   in Loop: Header=BB196_29 Depth=1
	v_and_b32_e32 v2, 0xffff, v1
	v_or_b32_e32 v3, 0x10000, v1
	s_delay_alu instid0(VALU_DEP_2) | instskip(NEXT) | instid1(VALU_DEP_1)
	v_cmp_eq_u32_e64 s0, 0, v2
	v_cndmask_b32_e64 v82, v3, v1, s0
; %bb.197:                              ;   in Loop: Header=BB196_29 Depth=1
	s_or_b32 exec_lo, exec_lo, s8
	global_load_b128 v[1:4], v[5:6], off offset:2048
	s_waitcnt vmcnt(0)
	v_lshrrev_b32_e32 v84, 16, v1
	v_lshrrev_b32_e32 v86, 16, v2
	;; [unrolled: 1-line block ×4, first 2 shown]
	s_and_saveexec_b32 s8, vcc_lo
	s_cbranch_execz .LBB196_199
; %bb.198:                              ;   in Loop: Header=BB196_29 Depth=1
	v_cmp_gt_i32_e64 s0, s28, v45
	s_delay_alu instid0(VALU_DEP_1) | instskip(SKIP_1) | instid1(VALU_DEP_1)
	v_cndmask_b32_e64 v1, 0, v1, s0
	v_cmp_gt_i32_e64 s0, s28, v52
	v_cndmask_b32_e64 v84, 0, v84, s0
	v_cmp_gt_i32_e64 s0, s28, v49
	s_delay_alu instid0(VALU_DEP_1) | instskip(SKIP_1) | instid1(VALU_DEP_1)
	v_cndmask_b32_e64 v2, 0, v2, s0
	v_cmp_gt_i32_e64 s0, s28, v48
	v_cndmask_b32_e64 v86, 0, v86, s0
	;; [unrolled: 5-line block ×4, first 2 shown]
.LBB196_199:                            ;   in Loop: Header=BB196_29 Depth=1
	s_or_b32 exec_lo, exec_lo, s8
	v_lshlrev_b32_e32 v1, 16, v1
	s_delay_alu instid0(VALU_DEP_1) | instskip(NEXT) | instid1(VALU_DEP_1)
	v_mul_f32_e32 v1, v56, v1
	v_and_b32_e32 v83, 0x7f800000, v1
	s_delay_alu instid0(VALU_DEP_1) | instskip(NEXT) | instid1(VALU_DEP_1)
	v_cmp_ne_u32_e64 s0, 0x7f800000, v83
                                        ; implicit-def: $vgpr83
	s_and_saveexec_b32 s8, s0
	s_delay_alu instid0(SALU_CYCLE_1)
	s_xor_b32 s0, exec_lo, s8
; %bb.200:                              ;   in Loop: Header=BB196_29 Depth=1
	v_bfe_u32 v83, v1, 16, 1
	s_delay_alu instid0(VALU_DEP_1)
	v_add3_u32 v83, v1, v83, 0x7fff
                                        ; implicit-def: $vgpr1
; %bb.201:                              ;   in Loop: Header=BB196_29 Depth=1
	s_and_not1_saveexec_b32 s8, s0
; %bb.202:                              ;   in Loop: Header=BB196_29 Depth=1
	v_and_b32_e32 v83, 0xffff, v1
	v_or_b32_e32 v85, 0x10000, v1
	s_delay_alu instid0(VALU_DEP_2) | instskip(NEXT) | instid1(VALU_DEP_1)
	v_cmp_eq_u32_e64 s0, 0, v83
	v_cndmask_b32_e64 v83, v85, v1, s0
; %bb.203:                              ;   in Loop: Header=BB196_29 Depth=1
	s_or_b32 exec_lo, exec_lo, s8
	v_lshlrev_b32_e32 v1, 16, v84
	s_delay_alu instid0(VALU_DEP_1) | instskip(NEXT) | instid1(VALU_DEP_1)
	v_mul_f32_e32 v1, v57, v1
	v_and_b32_e32 v84, 0x7f800000, v1
	s_delay_alu instid0(VALU_DEP_1) | instskip(NEXT) | instid1(VALU_DEP_1)
	v_cmp_ne_u32_e64 s0, 0x7f800000, v84
                                        ; implicit-def: $vgpr84
	s_and_saveexec_b32 s8, s0
	s_delay_alu instid0(SALU_CYCLE_1)
	s_xor_b32 s0, exec_lo, s8
; %bb.204:                              ;   in Loop: Header=BB196_29 Depth=1
	v_bfe_u32 v84, v1, 16, 1
	s_delay_alu instid0(VALU_DEP_1)
	v_add3_u32 v84, v1, v84, 0x7fff
                                        ; implicit-def: $vgpr1
; %bb.205:                              ;   in Loop: Header=BB196_29 Depth=1
	s_and_not1_saveexec_b32 s8, s0
; %bb.206:                              ;   in Loop: Header=BB196_29 Depth=1
	v_and_b32_e32 v84, 0xffff, v1
	v_or_b32_e32 v85, 0x10000, v1
	s_delay_alu instid0(VALU_DEP_2) | instskip(NEXT) | instid1(VALU_DEP_1)
	v_cmp_eq_u32_e64 s0, 0, v84
	v_cndmask_b32_e64 v84, v85, v1, s0
; %bb.207:                              ;   in Loop: Header=BB196_29 Depth=1
	s_or_b32 exec_lo, exec_lo, s8
	v_lshlrev_b32_e32 v1, 16, v2
                                        ; implicit-def: $vgpr85
	s_delay_alu instid0(VALU_DEP_1) | instskip(NEXT) | instid1(VALU_DEP_1)
	v_mul_f32_e32 v1, v58, v1
	v_and_b32_e32 v2, 0x7f800000, v1
	s_delay_alu instid0(VALU_DEP_1) | instskip(NEXT) | instid1(VALU_DEP_1)
	v_cmp_ne_u32_e64 s0, 0x7f800000, v2
	s_and_saveexec_b32 s8, s0
	s_delay_alu instid0(SALU_CYCLE_1)
	s_xor_b32 s0, exec_lo, s8
; %bb.208:                              ;   in Loop: Header=BB196_29 Depth=1
	v_bfe_u32 v2, v1, 16, 1
	s_delay_alu instid0(VALU_DEP_1)
	v_add3_u32 v85, v1, v2, 0x7fff
                                        ; implicit-def: $vgpr1
; %bb.209:                              ;   in Loop: Header=BB196_29 Depth=1
	s_and_not1_saveexec_b32 s8, s0
; %bb.210:                              ;   in Loop: Header=BB196_29 Depth=1
	v_and_b32_e32 v2, 0xffff, v1
	v_or_b32_e32 v85, 0x10000, v1
	s_delay_alu instid0(VALU_DEP_2) | instskip(NEXT) | instid1(VALU_DEP_1)
	v_cmp_eq_u32_e64 s0, 0, v2
	v_cndmask_b32_e64 v85, v85, v1, s0
; %bb.211:                              ;   in Loop: Header=BB196_29 Depth=1
	s_or_b32 exec_lo, exec_lo, s8
	v_lshlrev_b32_e32 v1, 16, v86
                                        ; implicit-def: $vgpr86
	s_delay_alu instid0(VALU_DEP_1) | instskip(NEXT) | instid1(VALU_DEP_1)
	v_mul_f32_e32 v1, v59, v1
	v_and_b32_e32 v2, 0x7f800000, v1
	s_delay_alu instid0(VALU_DEP_1) | instskip(NEXT) | instid1(VALU_DEP_1)
	v_cmp_ne_u32_e64 s0, 0x7f800000, v2
	s_and_saveexec_b32 s8, s0
	s_delay_alu instid0(SALU_CYCLE_1)
	s_xor_b32 s0, exec_lo, s8
; %bb.212:                              ;   in Loop: Header=BB196_29 Depth=1
	v_bfe_u32 v2, v1, 16, 1
	s_delay_alu instid0(VALU_DEP_1)
	v_add3_u32 v86, v1, v2, 0x7fff
                                        ; implicit-def: $vgpr1
; %bb.213:                              ;   in Loop: Header=BB196_29 Depth=1
	s_and_not1_saveexec_b32 s8, s0
; %bb.214:                              ;   in Loop: Header=BB196_29 Depth=1
	v_and_b32_e32 v2, 0xffff, v1
	v_or_b32_e32 v86, 0x10000, v1
	s_delay_alu instid0(VALU_DEP_2) | instskip(NEXT) | instid1(VALU_DEP_1)
	v_cmp_eq_u32_e64 s0, 0, v2
	v_cndmask_b32_e64 v86, v86, v1, s0
; %bb.215:                              ;   in Loop: Header=BB196_29 Depth=1
	s_or_b32 exec_lo, exec_lo, s8
	v_lshlrev_b32_e32 v1, 16, v3
                                        ; implicit-def: $vgpr87
	s_delay_alu instid0(VALU_DEP_1) | instskip(NEXT) | instid1(VALU_DEP_1)
	v_mul_f32_e32 v1, v60, v1
	v_and_b32_e32 v2, 0x7f800000, v1
	s_delay_alu instid0(VALU_DEP_1) | instskip(NEXT) | instid1(VALU_DEP_1)
	v_cmp_ne_u32_e64 s0, 0x7f800000, v2
	s_and_saveexec_b32 s8, s0
	s_delay_alu instid0(SALU_CYCLE_1)
	s_xor_b32 s0, exec_lo, s8
; %bb.216:                              ;   in Loop: Header=BB196_29 Depth=1
	v_bfe_u32 v2, v1, 16, 1
	s_delay_alu instid0(VALU_DEP_1)
	v_add3_u32 v87, v1, v2, 0x7fff
                                        ; implicit-def: $vgpr1
; %bb.217:                              ;   in Loop: Header=BB196_29 Depth=1
	s_and_not1_saveexec_b32 s8, s0
; %bb.218:                              ;   in Loop: Header=BB196_29 Depth=1
	v_and_b32_e32 v2, 0xffff, v1
	v_or_b32_e32 v3, 0x10000, v1
	s_delay_alu instid0(VALU_DEP_2) | instskip(NEXT) | instid1(VALU_DEP_1)
	v_cmp_eq_u32_e64 s0, 0, v2
	v_cndmask_b32_e64 v87, v3, v1, s0
; %bb.219:                              ;   in Loop: Header=BB196_29 Depth=1
	s_or_b32 exec_lo, exec_lo, s8
	v_lshlrev_b32_e32 v1, 16, v88
                                        ; implicit-def: $vgpr88
	s_delay_alu instid0(VALU_DEP_1) | instskip(NEXT) | instid1(VALU_DEP_1)
	v_mul_f32_e32 v1, v61, v1
	v_and_b32_e32 v2, 0x7f800000, v1
	s_delay_alu instid0(VALU_DEP_1) | instskip(NEXT) | instid1(VALU_DEP_1)
	v_cmp_ne_u32_e64 s0, 0x7f800000, v2
	s_and_saveexec_b32 s8, s0
	s_delay_alu instid0(SALU_CYCLE_1)
	s_xor_b32 s0, exec_lo, s8
; %bb.220:                              ;   in Loop: Header=BB196_29 Depth=1
	v_bfe_u32 v2, v1, 16, 1
	s_delay_alu instid0(VALU_DEP_1)
	v_add3_u32 v88, v1, v2, 0x7fff
                                        ; implicit-def: $vgpr1
; %bb.221:                              ;   in Loop: Header=BB196_29 Depth=1
	s_and_not1_saveexec_b32 s8, s0
; %bb.222:                              ;   in Loop: Header=BB196_29 Depth=1
	v_and_b32_e32 v2, 0xffff, v1
	v_or_b32_e32 v3, 0x10000, v1
	s_delay_alu instid0(VALU_DEP_2) | instskip(NEXT) | instid1(VALU_DEP_1)
	v_cmp_eq_u32_e64 s0, 0, v2
	v_cndmask_b32_e64 v88, v3, v1, s0
; %bb.223:                              ;   in Loop: Header=BB196_29 Depth=1
	s_or_b32 exec_lo, exec_lo, s8
	v_lshlrev_b32_e32 v1, 16, v4
                                        ; implicit-def: $vgpr89
	s_delay_alu instid0(VALU_DEP_1) | instskip(NEXT) | instid1(VALU_DEP_1)
	v_mul_f32_e32 v1, v62, v1
	v_and_b32_e32 v2, 0x7f800000, v1
	s_delay_alu instid0(VALU_DEP_1) | instskip(NEXT) | instid1(VALU_DEP_1)
	v_cmp_ne_u32_e64 s0, 0x7f800000, v2
	s_and_saveexec_b32 s8, s0
	s_delay_alu instid0(SALU_CYCLE_1)
	s_xor_b32 s0, exec_lo, s8
; %bb.224:                              ;   in Loop: Header=BB196_29 Depth=1
	v_bfe_u32 v2, v1, 16, 1
	s_delay_alu instid0(VALU_DEP_1)
	v_add3_u32 v89, v1, v2, 0x7fff
                                        ; implicit-def: $vgpr1
; %bb.225:                              ;   in Loop: Header=BB196_29 Depth=1
	s_and_not1_saveexec_b32 s8, s0
; %bb.226:                              ;   in Loop: Header=BB196_29 Depth=1
	v_and_b32_e32 v2, 0xffff, v1
	v_or_b32_e32 v3, 0x10000, v1
	s_delay_alu instid0(VALU_DEP_2) | instskip(NEXT) | instid1(VALU_DEP_1)
	v_cmp_eq_u32_e64 s0, 0, v2
	v_cndmask_b32_e64 v89, v3, v1, s0
; %bb.227:                              ;   in Loop: Header=BB196_29 Depth=1
	s_or_b32 exec_lo, exec_lo, s8
	v_lshlrev_b32_e32 v1, 16, v90
                                        ; implicit-def: $vgpr90
	s_delay_alu instid0(VALU_DEP_1) | instskip(NEXT) | instid1(VALU_DEP_1)
	v_mul_f32_e32 v1, v63, v1
	v_and_b32_e32 v2, 0x7f800000, v1
	s_delay_alu instid0(VALU_DEP_1) | instskip(NEXT) | instid1(VALU_DEP_1)
	v_cmp_ne_u32_e64 s0, 0x7f800000, v2
	s_and_saveexec_b32 s8, s0
	s_delay_alu instid0(SALU_CYCLE_1)
	s_xor_b32 s0, exec_lo, s8
; %bb.228:                              ;   in Loop: Header=BB196_29 Depth=1
	v_bfe_u32 v2, v1, 16, 1
	s_delay_alu instid0(VALU_DEP_1)
	v_add3_u32 v90, v1, v2, 0x7fff
                                        ; implicit-def: $vgpr1
; %bb.229:                              ;   in Loop: Header=BB196_29 Depth=1
	s_and_not1_saveexec_b32 s8, s0
; %bb.230:                              ;   in Loop: Header=BB196_29 Depth=1
	v_and_b32_e32 v2, 0xffff, v1
	v_or_b32_e32 v3, 0x10000, v1
	s_delay_alu instid0(VALU_DEP_2) | instskip(NEXT) | instid1(VALU_DEP_1)
	v_cmp_eq_u32_e64 s0, 0, v2
	v_cndmask_b32_e64 v90, v3, v1, s0
; %bb.231:                              ;   in Loop: Header=BB196_29 Depth=1
	s_or_b32 exec_lo, exec_lo, s8
	global_load_b128 v[1:4], v[5:6], off offset:2560
	s_waitcnt vmcnt(0)
	v_lshrrev_b32_e32 v92, 16, v1
	v_lshrrev_b32_e32 v94, 16, v2
	;; [unrolled: 1-line block ×4, first 2 shown]
	s_and_saveexec_b32 s8, vcc_lo
	s_cbranch_execz .LBB196_233
; %bb.232:                              ;   in Loop: Header=BB196_29 Depth=1
	v_cmp_gt_i32_e64 s0, s28, v45
	s_delay_alu instid0(VALU_DEP_1) | instskip(SKIP_1) | instid1(VALU_DEP_1)
	v_cndmask_b32_e64 v1, 0, v1, s0
	v_cmp_gt_i32_e64 s0, s28, v52
	v_cndmask_b32_e64 v92, 0, v92, s0
	v_cmp_gt_i32_e64 s0, s28, v49
	s_delay_alu instid0(VALU_DEP_1) | instskip(SKIP_1) | instid1(VALU_DEP_1)
	v_cndmask_b32_e64 v2, 0, v2, s0
	v_cmp_gt_i32_e64 s0, s28, v48
	v_cndmask_b32_e64 v94, 0, v94, s0
	;; [unrolled: 5-line block ×4, first 2 shown]
.LBB196_233:                            ;   in Loop: Header=BB196_29 Depth=1
	s_or_b32 exec_lo, exec_lo, s8
	v_lshlrev_b32_e32 v1, 16, v1
	s_delay_alu instid0(VALU_DEP_1) | instskip(NEXT) | instid1(VALU_DEP_1)
	v_mul_f32_e32 v1, v56, v1
	v_and_b32_e32 v91, 0x7f800000, v1
	s_delay_alu instid0(VALU_DEP_1) | instskip(NEXT) | instid1(VALU_DEP_1)
	v_cmp_ne_u32_e64 s0, 0x7f800000, v91
                                        ; implicit-def: $vgpr91
	s_and_saveexec_b32 s8, s0
	s_delay_alu instid0(SALU_CYCLE_1)
	s_xor_b32 s0, exec_lo, s8
; %bb.234:                              ;   in Loop: Header=BB196_29 Depth=1
	v_bfe_u32 v91, v1, 16, 1
	s_delay_alu instid0(VALU_DEP_1)
	v_add3_u32 v91, v1, v91, 0x7fff
                                        ; implicit-def: $vgpr1
; %bb.235:                              ;   in Loop: Header=BB196_29 Depth=1
	s_and_not1_saveexec_b32 s8, s0
; %bb.236:                              ;   in Loop: Header=BB196_29 Depth=1
	v_and_b32_e32 v91, 0xffff, v1
	v_or_b32_e32 v93, 0x10000, v1
	s_delay_alu instid0(VALU_DEP_2) | instskip(NEXT) | instid1(VALU_DEP_1)
	v_cmp_eq_u32_e64 s0, 0, v91
	v_cndmask_b32_e64 v91, v93, v1, s0
; %bb.237:                              ;   in Loop: Header=BB196_29 Depth=1
	s_or_b32 exec_lo, exec_lo, s8
	v_lshlrev_b32_e32 v1, 16, v92
	s_delay_alu instid0(VALU_DEP_1) | instskip(NEXT) | instid1(VALU_DEP_1)
	v_mul_f32_e32 v1, v57, v1
	v_and_b32_e32 v92, 0x7f800000, v1
	s_delay_alu instid0(VALU_DEP_1) | instskip(NEXT) | instid1(VALU_DEP_1)
	v_cmp_ne_u32_e64 s0, 0x7f800000, v92
                                        ; implicit-def: $vgpr92
	s_and_saveexec_b32 s8, s0
	s_delay_alu instid0(SALU_CYCLE_1)
	s_xor_b32 s0, exec_lo, s8
; %bb.238:                              ;   in Loop: Header=BB196_29 Depth=1
	v_bfe_u32 v92, v1, 16, 1
	s_delay_alu instid0(VALU_DEP_1)
	v_add3_u32 v92, v1, v92, 0x7fff
                                        ; implicit-def: $vgpr1
; %bb.239:                              ;   in Loop: Header=BB196_29 Depth=1
	s_and_not1_saveexec_b32 s8, s0
; %bb.240:                              ;   in Loop: Header=BB196_29 Depth=1
	v_and_b32_e32 v92, 0xffff, v1
	v_or_b32_e32 v93, 0x10000, v1
	s_delay_alu instid0(VALU_DEP_2) | instskip(NEXT) | instid1(VALU_DEP_1)
	v_cmp_eq_u32_e64 s0, 0, v92
	v_cndmask_b32_e64 v92, v93, v1, s0
; %bb.241:                              ;   in Loop: Header=BB196_29 Depth=1
	s_or_b32 exec_lo, exec_lo, s8
	v_lshlrev_b32_e32 v1, 16, v2
                                        ; implicit-def: $vgpr93
	s_delay_alu instid0(VALU_DEP_1) | instskip(NEXT) | instid1(VALU_DEP_1)
	v_mul_f32_e32 v1, v58, v1
	v_and_b32_e32 v2, 0x7f800000, v1
	s_delay_alu instid0(VALU_DEP_1) | instskip(NEXT) | instid1(VALU_DEP_1)
	v_cmp_ne_u32_e64 s0, 0x7f800000, v2
	s_and_saveexec_b32 s8, s0
	s_delay_alu instid0(SALU_CYCLE_1)
	s_xor_b32 s0, exec_lo, s8
; %bb.242:                              ;   in Loop: Header=BB196_29 Depth=1
	v_bfe_u32 v2, v1, 16, 1
	s_delay_alu instid0(VALU_DEP_1)
	v_add3_u32 v93, v1, v2, 0x7fff
                                        ; implicit-def: $vgpr1
; %bb.243:                              ;   in Loop: Header=BB196_29 Depth=1
	s_and_not1_saveexec_b32 s8, s0
; %bb.244:                              ;   in Loop: Header=BB196_29 Depth=1
	v_and_b32_e32 v2, 0xffff, v1
	v_or_b32_e32 v93, 0x10000, v1
	s_delay_alu instid0(VALU_DEP_2) | instskip(NEXT) | instid1(VALU_DEP_1)
	v_cmp_eq_u32_e64 s0, 0, v2
	v_cndmask_b32_e64 v93, v93, v1, s0
; %bb.245:                              ;   in Loop: Header=BB196_29 Depth=1
	s_or_b32 exec_lo, exec_lo, s8
	v_lshlrev_b32_e32 v1, 16, v94
                                        ; implicit-def: $vgpr94
	s_delay_alu instid0(VALU_DEP_1) | instskip(NEXT) | instid1(VALU_DEP_1)
	v_mul_f32_e32 v1, v59, v1
	v_and_b32_e32 v2, 0x7f800000, v1
	s_delay_alu instid0(VALU_DEP_1) | instskip(NEXT) | instid1(VALU_DEP_1)
	v_cmp_ne_u32_e64 s0, 0x7f800000, v2
	s_and_saveexec_b32 s8, s0
	s_delay_alu instid0(SALU_CYCLE_1)
	s_xor_b32 s0, exec_lo, s8
; %bb.246:                              ;   in Loop: Header=BB196_29 Depth=1
	v_bfe_u32 v2, v1, 16, 1
	s_delay_alu instid0(VALU_DEP_1)
	v_add3_u32 v94, v1, v2, 0x7fff
                                        ; implicit-def: $vgpr1
; %bb.247:                              ;   in Loop: Header=BB196_29 Depth=1
	s_and_not1_saveexec_b32 s8, s0
; %bb.248:                              ;   in Loop: Header=BB196_29 Depth=1
	v_and_b32_e32 v2, 0xffff, v1
	v_or_b32_e32 v94, 0x10000, v1
	s_delay_alu instid0(VALU_DEP_2) | instskip(NEXT) | instid1(VALU_DEP_1)
	v_cmp_eq_u32_e64 s0, 0, v2
	v_cndmask_b32_e64 v94, v94, v1, s0
; %bb.249:                              ;   in Loop: Header=BB196_29 Depth=1
	s_or_b32 exec_lo, exec_lo, s8
	v_lshlrev_b32_e32 v1, 16, v3
                                        ; implicit-def: $vgpr95
	s_delay_alu instid0(VALU_DEP_1) | instskip(NEXT) | instid1(VALU_DEP_1)
	v_mul_f32_e32 v1, v60, v1
	v_and_b32_e32 v2, 0x7f800000, v1
	s_delay_alu instid0(VALU_DEP_1) | instskip(NEXT) | instid1(VALU_DEP_1)
	v_cmp_ne_u32_e64 s0, 0x7f800000, v2
	s_and_saveexec_b32 s8, s0
	s_delay_alu instid0(SALU_CYCLE_1)
	s_xor_b32 s0, exec_lo, s8
; %bb.250:                              ;   in Loop: Header=BB196_29 Depth=1
	v_bfe_u32 v2, v1, 16, 1
	s_delay_alu instid0(VALU_DEP_1)
	v_add3_u32 v95, v1, v2, 0x7fff
                                        ; implicit-def: $vgpr1
; %bb.251:                              ;   in Loop: Header=BB196_29 Depth=1
	s_and_not1_saveexec_b32 s8, s0
; %bb.252:                              ;   in Loop: Header=BB196_29 Depth=1
	v_and_b32_e32 v2, 0xffff, v1
	v_or_b32_e32 v3, 0x10000, v1
	s_delay_alu instid0(VALU_DEP_2) | instskip(NEXT) | instid1(VALU_DEP_1)
	v_cmp_eq_u32_e64 s0, 0, v2
	v_cndmask_b32_e64 v95, v3, v1, s0
; %bb.253:                              ;   in Loop: Header=BB196_29 Depth=1
	s_or_b32 exec_lo, exec_lo, s8
	v_lshlrev_b32_e32 v1, 16, v96
                                        ; implicit-def: $vgpr96
	s_delay_alu instid0(VALU_DEP_1) | instskip(NEXT) | instid1(VALU_DEP_1)
	v_mul_f32_e32 v1, v61, v1
	v_and_b32_e32 v2, 0x7f800000, v1
	s_delay_alu instid0(VALU_DEP_1) | instskip(NEXT) | instid1(VALU_DEP_1)
	v_cmp_ne_u32_e64 s0, 0x7f800000, v2
	s_and_saveexec_b32 s8, s0
	s_delay_alu instid0(SALU_CYCLE_1)
	s_xor_b32 s0, exec_lo, s8
; %bb.254:                              ;   in Loop: Header=BB196_29 Depth=1
	v_bfe_u32 v2, v1, 16, 1
	s_delay_alu instid0(VALU_DEP_1)
	v_add3_u32 v96, v1, v2, 0x7fff
                                        ; implicit-def: $vgpr1
; %bb.255:                              ;   in Loop: Header=BB196_29 Depth=1
	s_and_not1_saveexec_b32 s8, s0
; %bb.256:                              ;   in Loop: Header=BB196_29 Depth=1
	v_and_b32_e32 v2, 0xffff, v1
	v_or_b32_e32 v3, 0x10000, v1
	s_delay_alu instid0(VALU_DEP_2) | instskip(NEXT) | instid1(VALU_DEP_1)
	v_cmp_eq_u32_e64 s0, 0, v2
	v_cndmask_b32_e64 v96, v3, v1, s0
; %bb.257:                              ;   in Loop: Header=BB196_29 Depth=1
	s_or_b32 exec_lo, exec_lo, s8
	v_lshlrev_b32_e32 v1, 16, v4
                                        ; implicit-def: $vgpr97
	s_delay_alu instid0(VALU_DEP_1) | instskip(NEXT) | instid1(VALU_DEP_1)
	v_mul_f32_e32 v1, v62, v1
	v_and_b32_e32 v2, 0x7f800000, v1
	s_delay_alu instid0(VALU_DEP_1) | instskip(NEXT) | instid1(VALU_DEP_1)
	v_cmp_ne_u32_e64 s0, 0x7f800000, v2
	s_and_saveexec_b32 s8, s0
	s_delay_alu instid0(SALU_CYCLE_1)
	s_xor_b32 s0, exec_lo, s8
; %bb.258:                              ;   in Loop: Header=BB196_29 Depth=1
	v_bfe_u32 v2, v1, 16, 1
	s_delay_alu instid0(VALU_DEP_1)
	v_add3_u32 v97, v1, v2, 0x7fff
                                        ; implicit-def: $vgpr1
; %bb.259:                              ;   in Loop: Header=BB196_29 Depth=1
	s_and_not1_saveexec_b32 s8, s0
; %bb.260:                              ;   in Loop: Header=BB196_29 Depth=1
	v_and_b32_e32 v2, 0xffff, v1
	v_or_b32_e32 v3, 0x10000, v1
	s_delay_alu instid0(VALU_DEP_2) | instskip(NEXT) | instid1(VALU_DEP_1)
	v_cmp_eq_u32_e64 s0, 0, v2
	v_cndmask_b32_e64 v97, v3, v1, s0
; %bb.261:                              ;   in Loop: Header=BB196_29 Depth=1
	s_or_b32 exec_lo, exec_lo, s8
	v_lshlrev_b32_e32 v1, 16, v98
                                        ; implicit-def: $vgpr98
	s_delay_alu instid0(VALU_DEP_1) | instskip(NEXT) | instid1(VALU_DEP_1)
	v_mul_f32_e32 v1, v63, v1
	v_and_b32_e32 v2, 0x7f800000, v1
	s_delay_alu instid0(VALU_DEP_1) | instskip(NEXT) | instid1(VALU_DEP_1)
	v_cmp_ne_u32_e64 s0, 0x7f800000, v2
	s_and_saveexec_b32 s8, s0
	s_delay_alu instid0(SALU_CYCLE_1)
	s_xor_b32 s0, exec_lo, s8
; %bb.262:                              ;   in Loop: Header=BB196_29 Depth=1
	v_bfe_u32 v2, v1, 16, 1
	s_delay_alu instid0(VALU_DEP_1)
	v_add3_u32 v98, v1, v2, 0x7fff
                                        ; implicit-def: $vgpr1
; %bb.263:                              ;   in Loop: Header=BB196_29 Depth=1
	s_and_not1_saveexec_b32 s8, s0
; %bb.264:                              ;   in Loop: Header=BB196_29 Depth=1
	v_and_b32_e32 v2, 0xffff, v1
	v_or_b32_e32 v3, 0x10000, v1
	s_delay_alu instid0(VALU_DEP_2) | instskip(NEXT) | instid1(VALU_DEP_1)
	v_cmp_eq_u32_e64 s0, 0, v2
	v_cndmask_b32_e64 v98, v3, v1, s0
; %bb.265:                              ;   in Loop: Header=BB196_29 Depth=1
	s_or_b32 exec_lo, exec_lo, s8
	global_load_b128 v[1:4], v[5:6], off offset:3072
	s_waitcnt vmcnt(0)
	v_lshrrev_b32_e32 v100, 16, v1
	v_lshrrev_b32_e32 v102, 16, v2
	;; [unrolled: 1-line block ×4, first 2 shown]
	s_and_saveexec_b32 s8, vcc_lo
	s_cbranch_execz .LBB196_267
; %bb.266:                              ;   in Loop: Header=BB196_29 Depth=1
	v_cmp_gt_i32_e64 s0, s28, v45
	s_delay_alu instid0(VALU_DEP_1) | instskip(SKIP_1) | instid1(VALU_DEP_1)
	v_cndmask_b32_e64 v1, 0, v1, s0
	v_cmp_gt_i32_e64 s0, s28, v52
	v_cndmask_b32_e64 v100, 0, v100, s0
	v_cmp_gt_i32_e64 s0, s28, v49
	s_delay_alu instid0(VALU_DEP_1) | instskip(SKIP_1) | instid1(VALU_DEP_1)
	v_cndmask_b32_e64 v2, 0, v2, s0
	v_cmp_gt_i32_e64 s0, s28, v48
	v_cndmask_b32_e64 v102, 0, v102, s0
	;; [unrolled: 5-line block ×4, first 2 shown]
.LBB196_267:                            ;   in Loop: Header=BB196_29 Depth=1
	s_or_b32 exec_lo, exec_lo, s8
	v_lshlrev_b32_e32 v1, 16, v1
	s_delay_alu instid0(VALU_DEP_1) | instskip(NEXT) | instid1(VALU_DEP_1)
	v_mul_f32_e32 v1, v56, v1
	v_and_b32_e32 v99, 0x7f800000, v1
	s_delay_alu instid0(VALU_DEP_1) | instskip(NEXT) | instid1(VALU_DEP_1)
	v_cmp_ne_u32_e64 s0, 0x7f800000, v99
                                        ; implicit-def: $vgpr99
	s_and_saveexec_b32 s8, s0
	s_delay_alu instid0(SALU_CYCLE_1)
	s_xor_b32 s0, exec_lo, s8
; %bb.268:                              ;   in Loop: Header=BB196_29 Depth=1
	v_bfe_u32 v99, v1, 16, 1
	s_delay_alu instid0(VALU_DEP_1)
	v_add3_u32 v99, v1, v99, 0x7fff
                                        ; implicit-def: $vgpr1
; %bb.269:                              ;   in Loop: Header=BB196_29 Depth=1
	s_and_not1_saveexec_b32 s8, s0
; %bb.270:                              ;   in Loop: Header=BB196_29 Depth=1
	v_and_b32_e32 v99, 0xffff, v1
	v_or_b32_e32 v101, 0x10000, v1
	s_delay_alu instid0(VALU_DEP_2) | instskip(NEXT) | instid1(VALU_DEP_1)
	v_cmp_eq_u32_e64 s0, 0, v99
	v_cndmask_b32_e64 v99, v101, v1, s0
; %bb.271:                              ;   in Loop: Header=BB196_29 Depth=1
	s_or_b32 exec_lo, exec_lo, s8
	v_lshlrev_b32_e32 v1, 16, v100
	s_delay_alu instid0(VALU_DEP_1) | instskip(NEXT) | instid1(VALU_DEP_1)
	v_mul_f32_e32 v1, v57, v1
	v_and_b32_e32 v100, 0x7f800000, v1
	s_delay_alu instid0(VALU_DEP_1) | instskip(NEXT) | instid1(VALU_DEP_1)
	v_cmp_ne_u32_e64 s0, 0x7f800000, v100
                                        ; implicit-def: $vgpr100
	s_and_saveexec_b32 s8, s0
	s_delay_alu instid0(SALU_CYCLE_1)
	s_xor_b32 s0, exec_lo, s8
; %bb.272:                              ;   in Loop: Header=BB196_29 Depth=1
	v_bfe_u32 v100, v1, 16, 1
	s_delay_alu instid0(VALU_DEP_1)
	v_add3_u32 v100, v1, v100, 0x7fff
                                        ; implicit-def: $vgpr1
; %bb.273:                              ;   in Loop: Header=BB196_29 Depth=1
	s_and_not1_saveexec_b32 s8, s0
; %bb.274:                              ;   in Loop: Header=BB196_29 Depth=1
	v_and_b32_e32 v100, 0xffff, v1
	v_or_b32_e32 v101, 0x10000, v1
	s_delay_alu instid0(VALU_DEP_2) | instskip(NEXT) | instid1(VALU_DEP_1)
	v_cmp_eq_u32_e64 s0, 0, v100
	v_cndmask_b32_e64 v100, v101, v1, s0
; %bb.275:                              ;   in Loop: Header=BB196_29 Depth=1
	s_or_b32 exec_lo, exec_lo, s8
	v_lshlrev_b32_e32 v1, 16, v2
                                        ; implicit-def: $vgpr101
	s_delay_alu instid0(VALU_DEP_1) | instskip(NEXT) | instid1(VALU_DEP_1)
	v_mul_f32_e32 v1, v58, v1
	v_and_b32_e32 v2, 0x7f800000, v1
	s_delay_alu instid0(VALU_DEP_1) | instskip(NEXT) | instid1(VALU_DEP_1)
	v_cmp_ne_u32_e64 s0, 0x7f800000, v2
	s_and_saveexec_b32 s8, s0
	s_delay_alu instid0(SALU_CYCLE_1)
	s_xor_b32 s0, exec_lo, s8
; %bb.276:                              ;   in Loop: Header=BB196_29 Depth=1
	v_bfe_u32 v2, v1, 16, 1
	s_delay_alu instid0(VALU_DEP_1)
	v_add3_u32 v101, v1, v2, 0x7fff
                                        ; implicit-def: $vgpr1
; %bb.277:                              ;   in Loop: Header=BB196_29 Depth=1
	s_and_not1_saveexec_b32 s8, s0
; %bb.278:                              ;   in Loop: Header=BB196_29 Depth=1
	v_and_b32_e32 v2, 0xffff, v1
	v_or_b32_e32 v101, 0x10000, v1
	s_delay_alu instid0(VALU_DEP_2) | instskip(NEXT) | instid1(VALU_DEP_1)
	v_cmp_eq_u32_e64 s0, 0, v2
	v_cndmask_b32_e64 v101, v101, v1, s0
; %bb.279:                              ;   in Loop: Header=BB196_29 Depth=1
	s_or_b32 exec_lo, exec_lo, s8
	v_lshlrev_b32_e32 v1, 16, v102
                                        ; implicit-def: $vgpr102
	s_delay_alu instid0(VALU_DEP_1) | instskip(NEXT) | instid1(VALU_DEP_1)
	v_mul_f32_e32 v1, v59, v1
	v_and_b32_e32 v2, 0x7f800000, v1
	s_delay_alu instid0(VALU_DEP_1) | instskip(NEXT) | instid1(VALU_DEP_1)
	v_cmp_ne_u32_e64 s0, 0x7f800000, v2
	s_and_saveexec_b32 s8, s0
	s_delay_alu instid0(SALU_CYCLE_1)
	s_xor_b32 s0, exec_lo, s8
; %bb.280:                              ;   in Loop: Header=BB196_29 Depth=1
	v_bfe_u32 v2, v1, 16, 1
	s_delay_alu instid0(VALU_DEP_1)
	v_add3_u32 v102, v1, v2, 0x7fff
                                        ; implicit-def: $vgpr1
; %bb.281:                              ;   in Loop: Header=BB196_29 Depth=1
	s_and_not1_saveexec_b32 s8, s0
; %bb.282:                              ;   in Loop: Header=BB196_29 Depth=1
	v_and_b32_e32 v2, 0xffff, v1
	v_or_b32_e32 v102, 0x10000, v1
	s_delay_alu instid0(VALU_DEP_2) | instskip(NEXT) | instid1(VALU_DEP_1)
	v_cmp_eq_u32_e64 s0, 0, v2
	v_cndmask_b32_e64 v102, v102, v1, s0
; %bb.283:                              ;   in Loop: Header=BB196_29 Depth=1
	s_or_b32 exec_lo, exec_lo, s8
	v_lshlrev_b32_e32 v1, 16, v3
                                        ; implicit-def: $vgpr103
	s_delay_alu instid0(VALU_DEP_1) | instskip(NEXT) | instid1(VALU_DEP_1)
	v_mul_f32_e32 v1, v60, v1
	v_and_b32_e32 v2, 0x7f800000, v1
	s_delay_alu instid0(VALU_DEP_1) | instskip(NEXT) | instid1(VALU_DEP_1)
	v_cmp_ne_u32_e64 s0, 0x7f800000, v2
	s_and_saveexec_b32 s8, s0
	s_delay_alu instid0(SALU_CYCLE_1)
	s_xor_b32 s0, exec_lo, s8
; %bb.284:                              ;   in Loop: Header=BB196_29 Depth=1
	v_bfe_u32 v2, v1, 16, 1
	s_delay_alu instid0(VALU_DEP_1)
	v_add3_u32 v103, v1, v2, 0x7fff
                                        ; implicit-def: $vgpr1
; %bb.285:                              ;   in Loop: Header=BB196_29 Depth=1
	s_and_not1_saveexec_b32 s8, s0
; %bb.286:                              ;   in Loop: Header=BB196_29 Depth=1
	v_and_b32_e32 v2, 0xffff, v1
	v_or_b32_e32 v3, 0x10000, v1
	s_delay_alu instid0(VALU_DEP_2) | instskip(NEXT) | instid1(VALU_DEP_1)
	v_cmp_eq_u32_e64 s0, 0, v2
	v_cndmask_b32_e64 v103, v3, v1, s0
; %bb.287:                              ;   in Loop: Header=BB196_29 Depth=1
	s_or_b32 exec_lo, exec_lo, s8
	v_lshlrev_b32_e32 v1, 16, v104
                                        ; implicit-def: $vgpr104
	s_delay_alu instid0(VALU_DEP_1) | instskip(NEXT) | instid1(VALU_DEP_1)
	v_mul_f32_e32 v1, v61, v1
	v_and_b32_e32 v2, 0x7f800000, v1
	s_delay_alu instid0(VALU_DEP_1) | instskip(NEXT) | instid1(VALU_DEP_1)
	v_cmp_ne_u32_e64 s0, 0x7f800000, v2
	s_and_saveexec_b32 s8, s0
	s_delay_alu instid0(SALU_CYCLE_1)
	s_xor_b32 s0, exec_lo, s8
; %bb.288:                              ;   in Loop: Header=BB196_29 Depth=1
	v_bfe_u32 v2, v1, 16, 1
	s_delay_alu instid0(VALU_DEP_1)
	v_add3_u32 v104, v1, v2, 0x7fff
                                        ; implicit-def: $vgpr1
; %bb.289:                              ;   in Loop: Header=BB196_29 Depth=1
	s_and_not1_saveexec_b32 s8, s0
; %bb.290:                              ;   in Loop: Header=BB196_29 Depth=1
	v_and_b32_e32 v2, 0xffff, v1
	v_or_b32_e32 v3, 0x10000, v1
	s_delay_alu instid0(VALU_DEP_2) | instskip(NEXT) | instid1(VALU_DEP_1)
	v_cmp_eq_u32_e64 s0, 0, v2
	v_cndmask_b32_e64 v104, v3, v1, s0
; %bb.291:                              ;   in Loop: Header=BB196_29 Depth=1
	s_or_b32 exec_lo, exec_lo, s8
	v_lshlrev_b32_e32 v1, 16, v4
                                        ; implicit-def: $vgpr105
	s_delay_alu instid0(VALU_DEP_1) | instskip(NEXT) | instid1(VALU_DEP_1)
	v_mul_f32_e32 v1, v62, v1
	v_and_b32_e32 v2, 0x7f800000, v1
	s_delay_alu instid0(VALU_DEP_1) | instskip(NEXT) | instid1(VALU_DEP_1)
	v_cmp_ne_u32_e64 s0, 0x7f800000, v2
	s_and_saveexec_b32 s8, s0
	s_delay_alu instid0(SALU_CYCLE_1)
	s_xor_b32 s0, exec_lo, s8
; %bb.292:                              ;   in Loop: Header=BB196_29 Depth=1
	v_bfe_u32 v2, v1, 16, 1
	s_delay_alu instid0(VALU_DEP_1)
	v_add3_u32 v105, v1, v2, 0x7fff
                                        ; implicit-def: $vgpr1
; %bb.293:                              ;   in Loop: Header=BB196_29 Depth=1
	s_and_not1_saveexec_b32 s8, s0
; %bb.294:                              ;   in Loop: Header=BB196_29 Depth=1
	v_and_b32_e32 v2, 0xffff, v1
	v_or_b32_e32 v3, 0x10000, v1
	s_delay_alu instid0(VALU_DEP_2) | instskip(NEXT) | instid1(VALU_DEP_1)
	v_cmp_eq_u32_e64 s0, 0, v2
	v_cndmask_b32_e64 v105, v3, v1, s0
; %bb.295:                              ;   in Loop: Header=BB196_29 Depth=1
	s_or_b32 exec_lo, exec_lo, s8
	v_lshlrev_b32_e32 v1, 16, v106
                                        ; implicit-def: $vgpr106
	s_delay_alu instid0(VALU_DEP_1) | instskip(NEXT) | instid1(VALU_DEP_1)
	v_mul_f32_e32 v1, v63, v1
	v_and_b32_e32 v2, 0x7f800000, v1
	s_delay_alu instid0(VALU_DEP_1) | instskip(NEXT) | instid1(VALU_DEP_1)
	v_cmp_ne_u32_e64 s0, 0x7f800000, v2
	s_and_saveexec_b32 s8, s0
	s_delay_alu instid0(SALU_CYCLE_1)
	s_xor_b32 s0, exec_lo, s8
; %bb.296:                              ;   in Loop: Header=BB196_29 Depth=1
	v_bfe_u32 v2, v1, 16, 1
	s_delay_alu instid0(VALU_DEP_1)
	v_add3_u32 v106, v1, v2, 0x7fff
                                        ; implicit-def: $vgpr1
; %bb.297:                              ;   in Loop: Header=BB196_29 Depth=1
	s_and_not1_saveexec_b32 s8, s0
; %bb.298:                              ;   in Loop: Header=BB196_29 Depth=1
	v_and_b32_e32 v2, 0xffff, v1
	v_or_b32_e32 v3, 0x10000, v1
	s_delay_alu instid0(VALU_DEP_2) | instskip(NEXT) | instid1(VALU_DEP_1)
	v_cmp_eq_u32_e64 s0, 0, v2
	v_cndmask_b32_e64 v106, v3, v1, s0
; %bb.299:                              ;   in Loop: Header=BB196_29 Depth=1
	s_or_b32 exec_lo, exec_lo, s8
	global_load_b128 v[1:4], v[5:6], off offset:3584
	s_waitcnt vmcnt(0)
	v_lshrrev_b32_e32 v6, 16, v1
	v_lshrrev_b32_e32 v108, 16, v2
	;; [unrolled: 1-line block ×4, first 2 shown]
	s_and_saveexec_b32 s8, vcc_lo
	s_cbranch_execz .LBB196_301
; %bb.300:                              ;   in Loop: Header=BB196_29 Depth=1
	v_cmp_gt_i32_e64 s0, s28, v45
	s_delay_alu instid0(VALU_DEP_1) | instskip(SKIP_1) | instid1(VALU_DEP_1)
	v_cndmask_b32_e64 v1, 0, v1, s0
	v_cmp_gt_i32_e64 s0, s28, v52
	v_cndmask_b32_e64 v6, 0, v6, s0
	v_cmp_gt_i32_e64 s0, s28, v49
	s_delay_alu instid0(VALU_DEP_1) | instskip(SKIP_1) | instid1(VALU_DEP_1)
	v_cndmask_b32_e64 v2, 0, v2, s0
	v_cmp_gt_i32_e64 s0, s28, v48
	v_cndmask_b32_e64 v108, 0, v108, s0
	;; [unrolled: 5-line block ×4, first 2 shown]
.LBB196_301:                            ;   in Loop: Header=BB196_29 Depth=1
	s_or_b32 exec_lo, exec_lo, s8
	v_lshlrev_b32_e32 v1, 16, v1
	s_delay_alu instid0(VALU_DEP_1) | instskip(NEXT) | instid1(VALU_DEP_1)
	v_mul_f32_e32 v1, v56, v1
	v_and_b32_e32 v5, 0x7f800000, v1
	s_delay_alu instid0(VALU_DEP_1) | instskip(NEXT) | instid1(VALU_DEP_1)
	v_cmp_ne_u32_e64 s0, 0x7f800000, v5
                                        ; implicit-def: $vgpr5
	s_and_saveexec_b32 s8, s0
	s_delay_alu instid0(SALU_CYCLE_1)
	s_xor_b32 s0, exec_lo, s8
; %bb.302:                              ;   in Loop: Header=BB196_29 Depth=1
	v_bfe_u32 v5, v1, 16, 1
	s_delay_alu instid0(VALU_DEP_1)
	v_add3_u32 v5, v1, v5, 0x7fff
                                        ; implicit-def: $vgpr1
; %bb.303:                              ;   in Loop: Header=BB196_29 Depth=1
	s_and_not1_saveexec_b32 s8, s0
; %bb.304:                              ;   in Loop: Header=BB196_29 Depth=1
	v_and_b32_e32 v5, 0xffff, v1
	v_or_b32_e32 v107, 0x10000, v1
	s_delay_alu instid0(VALU_DEP_2) | instskip(NEXT) | instid1(VALU_DEP_1)
	v_cmp_eq_u32_e64 s0, 0, v5
	v_cndmask_b32_e64 v5, v107, v1, s0
; %bb.305:                              ;   in Loop: Header=BB196_29 Depth=1
	s_or_b32 exec_lo, exec_lo, s8
	v_lshlrev_b32_e32 v1, 16, v6
	s_delay_alu instid0(VALU_DEP_1) | instskip(NEXT) | instid1(VALU_DEP_1)
	v_mul_f32_e32 v1, v57, v1
	v_and_b32_e32 v6, 0x7f800000, v1
	s_delay_alu instid0(VALU_DEP_1) | instskip(NEXT) | instid1(VALU_DEP_1)
	v_cmp_ne_u32_e64 s0, 0x7f800000, v6
                                        ; implicit-def: $vgpr6
	s_and_saveexec_b32 s8, s0
	s_delay_alu instid0(SALU_CYCLE_1)
	s_xor_b32 s0, exec_lo, s8
; %bb.306:                              ;   in Loop: Header=BB196_29 Depth=1
	v_bfe_u32 v6, v1, 16, 1
	s_delay_alu instid0(VALU_DEP_1)
	v_add3_u32 v6, v1, v6, 0x7fff
                                        ; implicit-def: $vgpr1
; %bb.307:                              ;   in Loop: Header=BB196_29 Depth=1
	s_and_not1_saveexec_b32 s8, s0
; %bb.308:                              ;   in Loop: Header=BB196_29 Depth=1
	v_and_b32_e32 v6, 0xffff, v1
	v_or_b32_e32 v107, 0x10000, v1
	s_delay_alu instid0(VALU_DEP_2) | instskip(NEXT) | instid1(VALU_DEP_1)
	v_cmp_eq_u32_e64 s0, 0, v6
	v_cndmask_b32_e64 v6, v107, v1, s0
; %bb.309:                              ;   in Loop: Header=BB196_29 Depth=1
	s_or_b32 exec_lo, exec_lo, s8
	v_lshlrev_b32_e32 v1, 16, v2
                                        ; implicit-def: $vgpr107
	s_delay_alu instid0(VALU_DEP_1) | instskip(NEXT) | instid1(VALU_DEP_1)
	v_mul_f32_e32 v1, v58, v1
	v_and_b32_e32 v2, 0x7f800000, v1
	s_delay_alu instid0(VALU_DEP_1) | instskip(NEXT) | instid1(VALU_DEP_1)
	v_cmp_ne_u32_e64 s0, 0x7f800000, v2
	s_and_saveexec_b32 s8, s0
	s_delay_alu instid0(SALU_CYCLE_1)
	s_xor_b32 s0, exec_lo, s8
; %bb.310:                              ;   in Loop: Header=BB196_29 Depth=1
	v_bfe_u32 v2, v1, 16, 1
	s_delay_alu instid0(VALU_DEP_1)
	v_add3_u32 v107, v1, v2, 0x7fff
                                        ; implicit-def: $vgpr1
; %bb.311:                              ;   in Loop: Header=BB196_29 Depth=1
	s_and_not1_saveexec_b32 s8, s0
; %bb.312:                              ;   in Loop: Header=BB196_29 Depth=1
	v_and_b32_e32 v2, 0xffff, v1
	v_or_b32_e32 v107, 0x10000, v1
	s_delay_alu instid0(VALU_DEP_2) | instskip(NEXT) | instid1(VALU_DEP_1)
	v_cmp_eq_u32_e64 s0, 0, v2
	v_cndmask_b32_e64 v107, v107, v1, s0
; %bb.313:                              ;   in Loop: Header=BB196_29 Depth=1
	s_or_b32 exec_lo, exec_lo, s8
	v_lshlrev_b32_e32 v1, 16, v108
                                        ; implicit-def: $vgpr108
	s_delay_alu instid0(VALU_DEP_1) | instskip(NEXT) | instid1(VALU_DEP_1)
	v_mul_f32_e32 v1, v59, v1
	v_and_b32_e32 v2, 0x7f800000, v1
	s_delay_alu instid0(VALU_DEP_1) | instskip(NEXT) | instid1(VALU_DEP_1)
	v_cmp_ne_u32_e64 s0, 0x7f800000, v2
	s_and_saveexec_b32 s8, s0
	s_delay_alu instid0(SALU_CYCLE_1)
	s_xor_b32 s0, exec_lo, s8
; %bb.314:                              ;   in Loop: Header=BB196_29 Depth=1
	v_bfe_u32 v2, v1, 16, 1
	s_delay_alu instid0(VALU_DEP_1)
	v_add3_u32 v108, v1, v2, 0x7fff
                                        ; implicit-def: $vgpr1
; %bb.315:                              ;   in Loop: Header=BB196_29 Depth=1
	s_and_not1_saveexec_b32 s8, s0
; %bb.316:                              ;   in Loop: Header=BB196_29 Depth=1
	v_and_b32_e32 v2, 0xffff, v1
	v_or_b32_e32 v108, 0x10000, v1
	s_delay_alu instid0(VALU_DEP_2) | instskip(NEXT) | instid1(VALU_DEP_1)
	v_cmp_eq_u32_e64 s0, 0, v2
	v_cndmask_b32_e64 v108, v108, v1, s0
; %bb.317:                              ;   in Loop: Header=BB196_29 Depth=1
	s_or_b32 exec_lo, exec_lo, s8
	v_lshlrev_b32_e32 v1, 16, v3
                                        ; implicit-def: $vgpr109
	s_delay_alu instid0(VALU_DEP_1) | instskip(NEXT) | instid1(VALU_DEP_1)
	v_mul_f32_e32 v1, v60, v1
	v_and_b32_e32 v2, 0x7f800000, v1
	s_delay_alu instid0(VALU_DEP_1) | instskip(NEXT) | instid1(VALU_DEP_1)
	v_cmp_ne_u32_e64 s0, 0x7f800000, v2
	s_and_saveexec_b32 s8, s0
	s_delay_alu instid0(SALU_CYCLE_1)
	s_xor_b32 s0, exec_lo, s8
; %bb.318:                              ;   in Loop: Header=BB196_29 Depth=1
	v_bfe_u32 v2, v1, 16, 1
	s_delay_alu instid0(VALU_DEP_1)
	v_add3_u32 v109, v1, v2, 0x7fff
                                        ; implicit-def: $vgpr1
; %bb.319:                              ;   in Loop: Header=BB196_29 Depth=1
	s_and_not1_saveexec_b32 s8, s0
; %bb.320:                              ;   in Loop: Header=BB196_29 Depth=1
	v_and_b32_e32 v2, 0xffff, v1
	v_or_b32_e32 v3, 0x10000, v1
	s_delay_alu instid0(VALU_DEP_2) | instskip(NEXT) | instid1(VALU_DEP_1)
	v_cmp_eq_u32_e64 s0, 0, v2
	v_cndmask_b32_e64 v109, v3, v1, s0
; %bb.321:                              ;   in Loop: Header=BB196_29 Depth=1
	s_or_b32 exec_lo, exec_lo, s8
	v_lshlrev_b32_e32 v1, 16, v110
                                        ; implicit-def: $vgpr110
	s_delay_alu instid0(VALU_DEP_1) | instskip(NEXT) | instid1(VALU_DEP_1)
	v_mul_f32_e32 v1, v61, v1
	v_and_b32_e32 v2, 0x7f800000, v1
	s_delay_alu instid0(VALU_DEP_1) | instskip(NEXT) | instid1(VALU_DEP_1)
	v_cmp_ne_u32_e64 s0, 0x7f800000, v2
	s_and_saveexec_b32 s8, s0
	s_delay_alu instid0(SALU_CYCLE_1)
	s_xor_b32 s0, exec_lo, s8
; %bb.322:                              ;   in Loop: Header=BB196_29 Depth=1
	v_bfe_u32 v2, v1, 16, 1
	s_delay_alu instid0(VALU_DEP_1)
	v_add3_u32 v110, v1, v2, 0x7fff
                                        ; implicit-def: $vgpr1
; %bb.323:                              ;   in Loop: Header=BB196_29 Depth=1
	s_and_not1_saveexec_b32 s8, s0
; %bb.324:                              ;   in Loop: Header=BB196_29 Depth=1
	v_and_b32_e32 v2, 0xffff, v1
	v_or_b32_e32 v3, 0x10000, v1
	s_delay_alu instid0(VALU_DEP_2) | instskip(NEXT) | instid1(VALU_DEP_1)
	v_cmp_eq_u32_e64 s0, 0, v2
	v_cndmask_b32_e64 v110, v3, v1, s0
; %bb.325:                              ;   in Loop: Header=BB196_29 Depth=1
	s_or_b32 exec_lo, exec_lo, s8
	v_lshlrev_b32_e32 v1, 16, v4
                                        ; implicit-def: $vgpr111
	s_delay_alu instid0(VALU_DEP_1) | instskip(NEXT) | instid1(VALU_DEP_1)
	v_mul_f32_e32 v1, v62, v1
	v_and_b32_e32 v2, 0x7f800000, v1
	s_delay_alu instid0(VALU_DEP_1) | instskip(NEXT) | instid1(VALU_DEP_1)
	v_cmp_ne_u32_e64 s0, 0x7f800000, v2
	s_and_saveexec_b32 s8, s0
	s_delay_alu instid0(SALU_CYCLE_1)
	s_xor_b32 s0, exec_lo, s8
; %bb.326:                              ;   in Loop: Header=BB196_29 Depth=1
	v_bfe_u32 v2, v1, 16, 1
	s_delay_alu instid0(VALU_DEP_1)
	v_add3_u32 v111, v1, v2, 0x7fff
                                        ; implicit-def: $vgpr1
; %bb.327:                              ;   in Loop: Header=BB196_29 Depth=1
	s_and_not1_saveexec_b32 s8, s0
; %bb.328:                              ;   in Loop: Header=BB196_29 Depth=1
	v_and_b32_e32 v2, 0xffff, v1
	v_or_b32_e32 v3, 0x10000, v1
	s_delay_alu instid0(VALU_DEP_2) | instskip(NEXT) | instid1(VALU_DEP_1)
	v_cmp_eq_u32_e64 s0, 0, v2
	v_cndmask_b32_e64 v111, v3, v1, s0
; %bb.329:                              ;   in Loop: Header=BB196_29 Depth=1
	s_or_b32 exec_lo, exec_lo, s8
	v_lshlrev_b32_e32 v1, 16, v112
                                        ; implicit-def: $vgpr112
	s_delay_alu instid0(VALU_DEP_1) | instskip(NEXT) | instid1(VALU_DEP_1)
	v_mul_f32_e32 v1, v63, v1
	v_and_b32_e32 v2, 0x7f800000, v1
	s_delay_alu instid0(VALU_DEP_1) | instskip(NEXT) | instid1(VALU_DEP_1)
	v_cmp_ne_u32_e64 s0, 0x7f800000, v2
	s_and_saveexec_b32 s8, s0
	s_delay_alu instid0(SALU_CYCLE_1)
	s_xor_b32 s0, exec_lo, s8
; %bb.330:                              ;   in Loop: Header=BB196_29 Depth=1
	v_bfe_u32 v2, v1, 16, 1
	s_delay_alu instid0(VALU_DEP_1)
	v_add3_u32 v112, v1, v2, 0x7fff
                                        ; implicit-def: $vgpr1
; %bb.331:                              ;   in Loop: Header=BB196_29 Depth=1
	s_and_not1_saveexec_b32 s8, s0
; %bb.332:                              ;   in Loop: Header=BB196_29 Depth=1
	v_and_b32_e32 v2, 0xffff, v1
	v_or_b32_e32 v3, 0x10000, v1
	s_delay_alu instid0(VALU_DEP_2) | instskip(NEXT) | instid1(VALU_DEP_1)
	v_cmp_eq_u32_e64 s0, 0, v2
	v_cndmask_b32_e64 v112, v3, v1, s0
; %bb.333:                              ;   in Loop: Header=BB196_29 Depth=1
	s_or_b32 exec_lo, exec_lo, s8
	v_add_co_u32 v1, s0, v53, v29
	s_delay_alu instid0(VALU_DEP_1)
	v_add_co_ci_u32_e64 v2, s0, 0, v54, s0
	global_load_b128 v[1:4], v[1:2], off
	s_waitcnt vmcnt(0)
	v_lshrrev_b32_e32 v114, 16, v1
	v_lshrrev_b32_e32 v116, 16, v2
	;; [unrolled: 1-line block ×4, first 2 shown]
	s_and_saveexec_b32 s8, vcc_lo
	s_cbranch_execz .LBB196_335
; %bb.334:                              ;   in Loop: Header=BB196_29 Depth=1
	v_cmp_gt_i32_e64 s0, s28, v45
	s_delay_alu instid0(VALU_DEP_1) | instskip(SKIP_1) | instid1(VALU_DEP_1)
	v_cndmask_b32_e64 v1, 0, v1, s0
	v_cmp_gt_i32_e64 s0, s28, v52
	v_cndmask_b32_e64 v114, 0, v114, s0
	v_cmp_gt_i32_e64 s0, s28, v49
	s_delay_alu instid0(VALU_DEP_1) | instskip(SKIP_1) | instid1(VALU_DEP_1)
	v_cndmask_b32_e64 v2, 0, v2, s0
	v_cmp_gt_i32_e64 s0, s28, v48
	v_cndmask_b32_e64 v116, 0, v116, s0
	;; [unrolled: 5-line block ×4, first 2 shown]
.LBB196_335:                            ;   in Loop: Header=BB196_29 Depth=1
	s_or_b32 exec_lo, exec_lo, s8
	v_lshlrev_b32_e32 v1, 16, v1
	s_delay_alu instid0(VALU_DEP_1) | instskip(NEXT) | instid1(VALU_DEP_1)
	v_mul_f32_e32 v1, v56, v1
	v_and_b32_e32 v113, 0x7f800000, v1
	s_delay_alu instid0(VALU_DEP_1) | instskip(NEXT) | instid1(VALU_DEP_1)
	v_cmp_ne_u32_e64 s0, 0x7f800000, v113
                                        ; implicit-def: $vgpr113
	s_and_saveexec_b32 s8, s0
	s_delay_alu instid0(SALU_CYCLE_1)
	s_xor_b32 s0, exec_lo, s8
; %bb.336:                              ;   in Loop: Header=BB196_29 Depth=1
	v_bfe_u32 v113, v1, 16, 1
	s_delay_alu instid0(VALU_DEP_1)
	v_add3_u32 v113, v1, v113, 0x7fff
                                        ; implicit-def: $vgpr1
; %bb.337:                              ;   in Loop: Header=BB196_29 Depth=1
	s_and_not1_saveexec_b32 s8, s0
; %bb.338:                              ;   in Loop: Header=BB196_29 Depth=1
	v_and_b32_e32 v113, 0xffff, v1
	v_or_b32_e32 v115, 0x10000, v1
	s_delay_alu instid0(VALU_DEP_2) | instskip(NEXT) | instid1(VALU_DEP_1)
	v_cmp_eq_u32_e64 s0, 0, v113
	v_cndmask_b32_e64 v113, v115, v1, s0
; %bb.339:                              ;   in Loop: Header=BB196_29 Depth=1
	s_or_b32 exec_lo, exec_lo, s8
	v_lshlrev_b32_e32 v1, 16, v114
	s_delay_alu instid0(VALU_DEP_1) | instskip(NEXT) | instid1(VALU_DEP_1)
	v_mul_f32_e32 v1, v57, v1
	v_and_b32_e32 v114, 0x7f800000, v1
	s_delay_alu instid0(VALU_DEP_1) | instskip(NEXT) | instid1(VALU_DEP_1)
	v_cmp_ne_u32_e64 s0, 0x7f800000, v114
                                        ; implicit-def: $vgpr114
	s_and_saveexec_b32 s8, s0
	s_delay_alu instid0(SALU_CYCLE_1)
	s_xor_b32 s0, exec_lo, s8
; %bb.340:                              ;   in Loop: Header=BB196_29 Depth=1
	v_bfe_u32 v114, v1, 16, 1
	s_delay_alu instid0(VALU_DEP_1)
	v_add3_u32 v114, v1, v114, 0x7fff
                                        ; implicit-def: $vgpr1
; %bb.341:                              ;   in Loop: Header=BB196_29 Depth=1
	s_and_not1_saveexec_b32 s8, s0
; %bb.342:                              ;   in Loop: Header=BB196_29 Depth=1
	v_and_b32_e32 v114, 0xffff, v1
	v_or_b32_e32 v115, 0x10000, v1
	s_delay_alu instid0(VALU_DEP_2) | instskip(NEXT) | instid1(VALU_DEP_1)
	v_cmp_eq_u32_e64 s0, 0, v114
	v_cndmask_b32_e64 v114, v115, v1, s0
; %bb.343:                              ;   in Loop: Header=BB196_29 Depth=1
	s_or_b32 exec_lo, exec_lo, s8
	v_lshlrev_b32_e32 v1, 16, v2
                                        ; implicit-def: $vgpr115
	s_delay_alu instid0(VALU_DEP_1) | instskip(NEXT) | instid1(VALU_DEP_1)
	v_mul_f32_e32 v1, v58, v1
	v_and_b32_e32 v2, 0x7f800000, v1
	s_delay_alu instid0(VALU_DEP_1) | instskip(NEXT) | instid1(VALU_DEP_1)
	v_cmp_ne_u32_e64 s0, 0x7f800000, v2
	s_and_saveexec_b32 s8, s0
	s_delay_alu instid0(SALU_CYCLE_1)
	s_xor_b32 s0, exec_lo, s8
; %bb.344:                              ;   in Loop: Header=BB196_29 Depth=1
	v_bfe_u32 v2, v1, 16, 1
	s_delay_alu instid0(VALU_DEP_1)
	v_add3_u32 v115, v1, v2, 0x7fff
                                        ; implicit-def: $vgpr1
; %bb.345:                              ;   in Loop: Header=BB196_29 Depth=1
	s_and_not1_saveexec_b32 s8, s0
; %bb.346:                              ;   in Loop: Header=BB196_29 Depth=1
	v_and_b32_e32 v2, 0xffff, v1
	v_or_b32_e32 v115, 0x10000, v1
	s_delay_alu instid0(VALU_DEP_2) | instskip(NEXT) | instid1(VALU_DEP_1)
	v_cmp_eq_u32_e64 s0, 0, v2
	v_cndmask_b32_e64 v115, v115, v1, s0
; %bb.347:                              ;   in Loop: Header=BB196_29 Depth=1
	s_or_b32 exec_lo, exec_lo, s8
	v_lshlrev_b32_e32 v1, 16, v116
                                        ; implicit-def: $vgpr116
	s_delay_alu instid0(VALU_DEP_1) | instskip(NEXT) | instid1(VALU_DEP_1)
	v_mul_f32_e32 v1, v59, v1
	v_and_b32_e32 v2, 0x7f800000, v1
	s_delay_alu instid0(VALU_DEP_1) | instskip(NEXT) | instid1(VALU_DEP_1)
	v_cmp_ne_u32_e64 s0, 0x7f800000, v2
	s_and_saveexec_b32 s8, s0
	s_delay_alu instid0(SALU_CYCLE_1)
	s_xor_b32 s0, exec_lo, s8
; %bb.348:                              ;   in Loop: Header=BB196_29 Depth=1
	v_bfe_u32 v2, v1, 16, 1
	s_delay_alu instid0(VALU_DEP_1)
	v_add3_u32 v116, v1, v2, 0x7fff
                                        ; implicit-def: $vgpr1
; %bb.349:                              ;   in Loop: Header=BB196_29 Depth=1
	s_and_not1_saveexec_b32 s8, s0
; %bb.350:                              ;   in Loop: Header=BB196_29 Depth=1
	v_and_b32_e32 v2, 0xffff, v1
	v_or_b32_e32 v116, 0x10000, v1
	s_delay_alu instid0(VALU_DEP_2) | instskip(NEXT) | instid1(VALU_DEP_1)
	v_cmp_eq_u32_e64 s0, 0, v2
	v_cndmask_b32_e64 v116, v116, v1, s0
; %bb.351:                              ;   in Loop: Header=BB196_29 Depth=1
	s_or_b32 exec_lo, exec_lo, s8
	v_lshlrev_b32_e32 v1, 16, v3
                                        ; implicit-def: $vgpr117
	s_delay_alu instid0(VALU_DEP_1) | instskip(NEXT) | instid1(VALU_DEP_1)
	v_mul_f32_e32 v1, v60, v1
	v_and_b32_e32 v2, 0x7f800000, v1
	s_delay_alu instid0(VALU_DEP_1) | instskip(NEXT) | instid1(VALU_DEP_1)
	v_cmp_ne_u32_e64 s0, 0x7f800000, v2
	s_and_saveexec_b32 s8, s0
	s_delay_alu instid0(SALU_CYCLE_1)
	s_xor_b32 s0, exec_lo, s8
; %bb.352:                              ;   in Loop: Header=BB196_29 Depth=1
	v_bfe_u32 v2, v1, 16, 1
	s_delay_alu instid0(VALU_DEP_1)
	v_add3_u32 v117, v1, v2, 0x7fff
                                        ; implicit-def: $vgpr1
; %bb.353:                              ;   in Loop: Header=BB196_29 Depth=1
	s_and_not1_saveexec_b32 s8, s0
; %bb.354:                              ;   in Loop: Header=BB196_29 Depth=1
	v_and_b32_e32 v2, 0xffff, v1
	v_or_b32_e32 v3, 0x10000, v1
	s_delay_alu instid0(VALU_DEP_2) | instskip(NEXT) | instid1(VALU_DEP_1)
	v_cmp_eq_u32_e64 s0, 0, v2
	v_cndmask_b32_e64 v117, v3, v1, s0
; %bb.355:                              ;   in Loop: Header=BB196_29 Depth=1
	s_or_b32 exec_lo, exec_lo, s8
	v_lshlrev_b32_e32 v1, 16, v118
                                        ; implicit-def: $vgpr118
	s_delay_alu instid0(VALU_DEP_1) | instskip(NEXT) | instid1(VALU_DEP_1)
	v_mul_f32_e32 v1, v61, v1
	v_and_b32_e32 v2, 0x7f800000, v1
	s_delay_alu instid0(VALU_DEP_1) | instskip(NEXT) | instid1(VALU_DEP_1)
	v_cmp_ne_u32_e64 s0, 0x7f800000, v2
	s_and_saveexec_b32 s8, s0
	s_delay_alu instid0(SALU_CYCLE_1)
	s_xor_b32 s0, exec_lo, s8
; %bb.356:                              ;   in Loop: Header=BB196_29 Depth=1
	v_bfe_u32 v2, v1, 16, 1
	s_delay_alu instid0(VALU_DEP_1)
	v_add3_u32 v118, v1, v2, 0x7fff
                                        ; implicit-def: $vgpr1
; %bb.357:                              ;   in Loop: Header=BB196_29 Depth=1
	s_and_not1_saveexec_b32 s8, s0
; %bb.358:                              ;   in Loop: Header=BB196_29 Depth=1
	v_and_b32_e32 v2, 0xffff, v1
	v_or_b32_e32 v3, 0x10000, v1
	s_delay_alu instid0(VALU_DEP_2) | instskip(NEXT) | instid1(VALU_DEP_1)
	v_cmp_eq_u32_e64 s0, 0, v2
	v_cndmask_b32_e64 v118, v3, v1, s0
; %bb.359:                              ;   in Loop: Header=BB196_29 Depth=1
	s_or_b32 exec_lo, exec_lo, s8
	v_lshlrev_b32_e32 v1, 16, v4
                                        ; implicit-def: $vgpr119
	s_delay_alu instid0(VALU_DEP_1) | instskip(NEXT) | instid1(VALU_DEP_1)
	v_mul_f32_e32 v1, v62, v1
	v_and_b32_e32 v2, 0x7f800000, v1
	s_delay_alu instid0(VALU_DEP_1) | instskip(NEXT) | instid1(VALU_DEP_1)
	v_cmp_ne_u32_e64 s0, 0x7f800000, v2
	s_and_saveexec_b32 s8, s0
	s_delay_alu instid0(SALU_CYCLE_1)
	s_xor_b32 s0, exec_lo, s8
; %bb.360:                              ;   in Loop: Header=BB196_29 Depth=1
	v_bfe_u32 v2, v1, 16, 1
	s_delay_alu instid0(VALU_DEP_1)
	v_add3_u32 v119, v1, v2, 0x7fff
                                        ; implicit-def: $vgpr1
; %bb.361:                              ;   in Loop: Header=BB196_29 Depth=1
	s_and_not1_saveexec_b32 s8, s0
; %bb.362:                              ;   in Loop: Header=BB196_29 Depth=1
	v_and_b32_e32 v2, 0xffff, v1
	v_or_b32_e32 v3, 0x10000, v1
	s_delay_alu instid0(VALU_DEP_2) | instskip(NEXT) | instid1(VALU_DEP_1)
	v_cmp_eq_u32_e64 s0, 0, v2
	v_cndmask_b32_e64 v119, v3, v1, s0
; %bb.363:                              ;   in Loop: Header=BB196_29 Depth=1
	s_or_b32 exec_lo, exec_lo, s8
	v_lshlrev_b32_e32 v1, 16, v120
                                        ; implicit-def: $vgpr120
	s_delay_alu instid0(VALU_DEP_1) | instskip(NEXT) | instid1(VALU_DEP_1)
	v_mul_f32_e32 v1, v63, v1
	v_and_b32_e32 v2, 0x7f800000, v1
	s_delay_alu instid0(VALU_DEP_1) | instskip(NEXT) | instid1(VALU_DEP_1)
	v_cmp_ne_u32_e64 s0, 0x7f800000, v2
	s_and_saveexec_b32 s8, s0
	s_delay_alu instid0(SALU_CYCLE_1)
	s_xor_b32 s0, exec_lo, s8
; %bb.364:                              ;   in Loop: Header=BB196_29 Depth=1
	v_bfe_u32 v2, v1, 16, 1
	s_delay_alu instid0(VALU_DEP_1)
	v_add3_u32 v120, v1, v2, 0x7fff
                                        ; implicit-def: $vgpr1
; %bb.365:                              ;   in Loop: Header=BB196_29 Depth=1
	s_and_not1_saveexec_b32 s8, s0
; %bb.366:                              ;   in Loop: Header=BB196_29 Depth=1
	v_and_b32_e32 v2, 0xffff, v1
	v_or_b32_e32 v3, 0x10000, v1
	s_delay_alu instid0(VALU_DEP_2) | instskip(NEXT) | instid1(VALU_DEP_1)
	v_cmp_eq_u32_e64 s0, 0, v2
	v_cndmask_b32_e64 v120, v3, v1, s0
; %bb.367:                              ;   in Loop: Header=BB196_29 Depth=1
	s_or_b32 exec_lo, exec_lo, s8
	v_add_co_u32 v1, s0, v53, v30
	s_delay_alu instid0(VALU_DEP_1)
	v_add_co_ci_u32_e64 v2, s0, 0, v54, s0
	global_load_b128 v[1:4], v[1:2], off
	s_waitcnt vmcnt(0)
	v_lshrrev_b32_e32 v122, 16, v1
	v_lshrrev_b32_e32 v124, 16, v2
	;; [unrolled: 1-line block ×4, first 2 shown]
	s_and_saveexec_b32 s8, vcc_lo
	s_cbranch_execz .LBB196_369
; %bb.368:                              ;   in Loop: Header=BB196_29 Depth=1
	v_cmp_gt_i32_e64 s0, s28, v45
	s_delay_alu instid0(VALU_DEP_1) | instskip(SKIP_1) | instid1(VALU_DEP_1)
	v_cndmask_b32_e64 v1, 0, v1, s0
	v_cmp_gt_i32_e64 s0, s28, v52
	v_cndmask_b32_e64 v122, 0, v122, s0
	v_cmp_gt_i32_e64 s0, s28, v49
	s_delay_alu instid0(VALU_DEP_1) | instskip(SKIP_1) | instid1(VALU_DEP_1)
	v_cndmask_b32_e64 v2, 0, v2, s0
	v_cmp_gt_i32_e64 s0, s28, v48
	v_cndmask_b32_e64 v124, 0, v124, s0
	v_cmp_gt_i32_e64 s0, s28, v47
	s_delay_alu instid0(VALU_DEP_1) | instskip(SKIP_1) | instid1(VALU_DEP_1)
	v_cndmask_b32_e64 v3, 0, v3, s0
	v_cmp_gt_i32_e64 s0, s28, v46
	v_cndmask_b32_e64 v126, 0, v126, s0
	v_cmp_gt_i32_e64 s0, s28, v50
	s_delay_alu instid0(VALU_DEP_1) | instskip(SKIP_1) | instid1(VALU_DEP_1)
	v_cndmask_b32_e64 v4, 0, v4, s0
	v_cmp_gt_i32_e64 s0, s28, v26
	v_cndmask_b32_e64 v128, 0, v128, s0
.LBB196_369:                            ;   in Loop: Header=BB196_29 Depth=1
	s_or_b32 exec_lo, exec_lo, s8
	v_lshlrev_b32_e32 v1, 16, v1
	s_delay_alu instid0(VALU_DEP_1) | instskip(NEXT) | instid1(VALU_DEP_1)
	v_mul_f32_e32 v1, v56, v1
	v_and_b32_e32 v121, 0x7f800000, v1
	s_delay_alu instid0(VALU_DEP_1) | instskip(NEXT) | instid1(VALU_DEP_1)
	v_cmp_ne_u32_e64 s0, 0x7f800000, v121
                                        ; implicit-def: $vgpr121
	s_and_saveexec_b32 s8, s0
	s_delay_alu instid0(SALU_CYCLE_1)
	s_xor_b32 s0, exec_lo, s8
; %bb.370:                              ;   in Loop: Header=BB196_29 Depth=1
	v_bfe_u32 v121, v1, 16, 1
	s_delay_alu instid0(VALU_DEP_1)
	v_add3_u32 v121, v1, v121, 0x7fff
                                        ; implicit-def: $vgpr1
; %bb.371:                              ;   in Loop: Header=BB196_29 Depth=1
	s_and_not1_saveexec_b32 s8, s0
; %bb.372:                              ;   in Loop: Header=BB196_29 Depth=1
	v_and_b32_e32 v121, 0xffff, v1
	v_or_b32_e32 v123, 0x10000, v1
	s_delay_alu instid0(VALU_DEP_2) | instskip(NEXT) | instid1(VALU_DEP_1)
	v_cmp_eq_u32_e64 s0, 0, v121
	v_cndmask_b32_e64 v121, v123, v1, s0
; %bb.373:                              ;   in Loop: Header=BB196_29 Depth=1
	s_or_b32 exec_lo, exec_lo, s8
	v_lshlrev_b32_e32 v1, 16, v122
	s_delay_alu instid0(VALU_DEP_1) | instskip(NEXT) | instid1(VALU_DEP_1)
	v_mul_f32_e32 v1, v57, v1
	v_and_b32_e32 v122, 0x7f800000, v1
	s_delay_alu instid0(VALU_DEP_1) | instskip(NEXT) | instid1(VALU_DEP_1)
	v_cmp_ne_u32_e64 s0, 0x7f800000, v122
                                        ; implicit-def: $vgpr122
	s_and_saveexec_b32 s8, s0
	s_delay_alu instid0(SALU_CYCLE_1)
	s_xor_b32 s0, exec_lo, s8
; %bb.374:                              ;   in Loop: Header=BB196_29 Depth=1
	v_bfe_u32 v122, v1, 16, 1
	s_delay_alu instid0(VALU_DEP_1)
	v_add3_u32 v122, v1, v122, 0x7fff
                                        ; implicit-def: $vgpr1
; %bb.375:                              ;   in Loop: Header=BB196_29 Depth=1
	s_and_not1_saveexec_b32 s8, s0
; %bb.376:                              ;   in Loop: Header=BB196_29 Depth=1
	v_and_b32_e32 v122, 0xffff, v1
	v_or_b32_e32 v123, 0x10000, v1
	s_delay_alu instid0(VALU_DEP_2) | instskip(NEXT) | instid1(VALU_DEP_1)
	v_cmp_eq_u32_e64 s0, 0, v122
	v_cndmask_b32_e64 v122, v123, v1, s0
; %bb.377:                              ;   in Loop: Header=BB196_29 Depth=1
	s_or_b32 exec_lo, exec_lo, s8
	v_lshlrev_b32_e32 v1, 16, v2
                                        ; implicit-def: $vgpr123
	s_delay_alu instid0(VALU_DEP_1) | instskip(NEXT) | instid1(VALU_DEP_1)
	v_mul_f32_e32 v1, v58, v1
	v_and_b32_e32 v2, 0x7f800000, v1
	s_delay_alu instid0(VALU_DEP_1) | instskip(NEXT) | instid1(VALU_DEP_1)
	v_cmp_ne_u32_e64 s0, 0x7f800000, v2
	s_and_saveexec_b32 s8, s0
	s_delay_alu instid0(SALU_CYCLE_1)
	s_xor_b32 s0, exec_lo, s8
; %bb.378:                              ;   in Loop: Header=BB196_29 Depth=1
	v_bfe_u32 v2, v1, 16, 1
	s_delay_alu instid0(VALU_DEP_1)
	v_add3_u32 v123, v1, v2, 0x7fff
                                        ; implicit-def: $vgpr1
; %bb.379:                              ;   in Loop: Header=BB196_29 Depth=1
	s_and_not1_saveexec_b32 s8, s0
; %bb.380:                              ;   in Loop: Header=BB196_29 Depth=1
	v_and_b32_e32 v2, 0xffff, v1
	v_or_b32_e32 v123, 0x10000, v1
	s_delay_alu instid0(VALU_DEP_2) | instskip(NEXT) | instid1(VALU_DEP_1)
	v_cmp_eq_u32_e64 s0, 0, v2
	v_cndmask_b32_e64 v123, v123, v1, s0
; %bb.381:                              ;   in Loop: Header=BB196_29 Depth=1
	s_or_b32 exec_lo, exec_lo, s8
	v_lshlrev_b32_e32 v1, 16, v124
                                        ; implicit-def: $vgpr124
	s_delay_alu instid0(VALU_DEP_1) | instskip(NEXT) | instid1(VALU_DEP_1)
	v_mul_f32_e32 v1, v59, v1
	v_and_b32_e32 v2, 0x7f800000, v1
	s_delay_alu instid0(VALU_DEP_1) | instskip(NEXT) | instid1(VALU_DEP_1)
	v_cmp_ne_u32_e64 s0, 0x7f800000, v2
	s_and_saveexec_b32 s8, s0
	s_delay_alu instid0(SALU_CYCLE_1)
	s_xor_b32 s0, exec_lo, s8
; %bb.382:                              ;   in Loop: Header=BB196_29 Depth=1
	v_bfe_u32 v2, v1, 16, 1
	s_delay_alu instid0(VALU_DEP_1)
	v_add3_u32 v124, v1, v2, 0x7fff
                                        ; implicit-def: $vgpr1
; %bb.383:                              ;   in Loop: Header=BB196_29 Depth=1
	s_and_not1_saveexec_b32 s8, s0
; %bb.384:                              ;   in Loop: Header=BB196_29 Depth=1
	v_and_b32_e32 v2, 0xffff, v1
	v_or_b32_e32 v124, 0x10000, v1
	s_delay_alu instid0(VALU_DEP_2) | instskip(NEXT) | instid1(VALU_DEP_1)
	v_cmp_eq_u32_e64 s0, 0, v2
	v_cndmask_b32_e64 v124, v124, v1, s0
; %bb.385:                              ;   in Loop: Header=BB196_29 Depth=1
	s_or_b32 exec_lo, exec_lo, s8
	v_lshlrev_b32_e32 v1, 16, v3
                                        ; implicit-def: $vgpr125
	s_delay_alu instid0(VALU_DEP_1) | instskip(NEXT) | instid1(VALU_DEP_1)
	v_mul_f32_e32 v1, v60, v1
	v_and_b32_e32 v2, 0x7f800000, v1
	s_delay_alu instid0(VALU_DEP_1) | instskip(NEXT) | instid1(VALU_DEP_1)
	v_cmp_ne_u32_e64 s0, 0x7f800000, v2
	s_and_saveexec_b32 s8, s0
	s_delay_alu instid0(SALU_CYCLE_1)
	s_xor_b32 s0, exec_lo, s8
; %bb.386:                              ;   in Loop: Header=BB196_29 Depth=1
	v_bfe_u32 v2, v1, 16, 1
	s_delay_alu instid0(VALU_DEP_1)
	v_add3_u32 v125, v1, v2, 0x7fff
                                        ; implicit-def: $vgpr1
; %bb.387:                              ;   in Loop: Header=BB196_29 Depth=1
	s_and_not1_saveexec_b32 s8, s0
; %bb.388:                              ;   in Loop: Header=BB196_29 Depth=1
	v_and_b32_e32 v2, 0xffff, v1
	v_or_b32_e32 v3, 0x10000, v1
	s_delay_alu instid0(VALU_DEP_2) | instskip(NEXT) | instid1(VALU_DEP_1)
	v_cmp_eq_u32_e64 s0, 0, v2
	v_cndmask_b32_e64 v125, v3, v1, s0
; %bb.389:                              ;   in Loop: Header=BB196_29 Depth=1
	s_or_b32 exec_lo, exec_lo, s8
	v_lshlrev_b32_e32 v1, 16, v126
                                        ; implicit-def: $vgpr126
	s_delay_alu instid0(VALU_DEP_1) | instskip(NEXT) | instid1(VALU_DEP_1)
	v_mul_f32_e32 v1, v61, v1
	v_and_b32_e32 v2, 0x7f800000, v1
	s_delay_alu instid0(VALU_DEP_1) | instskip(NEXT) | instid1(VALU_DEP_1)
	v_cmp_ne_u32_e64 s0, 0x7f800000, v2
	s_and_saveexec_b32 s8, s0
	s_delay_alu instid0(SALU_CYCLE_1)
	s_xor_b32 s0, exec_lo, s8
; %bb.390:                              ;   in Loop: Header=BB196_29 Depth=1
	v_bfe_u32 v2, v1, 16, 1
	s_delay_alu instid0(VALU_DEP_1)
	v_add3_u32 v126, v1, v2, 0x7fff
                                        ; implicit-def: $vgpr1
; %bb.391:                              ;   in Loop: Header=BB196_29 Depth=1
	s_and_not1_saveexec_b32 s8, s0
; %bb.392:                              ;   in Loop: Header=BB196_29 Depth=1
	v_and_b32_e32 v2, 0xffff, v1
	v_or_b32_e32 v3, 0x10000, v1
	s_delay_alu instid0(VALU_DEP_2) | instskip(NEXT) | instid1(VALU_DEP_1)
	v_cmp_eq_u32_e64 s0, 0, v2
	v_cndmask_b32_e64 v126, v3, v1, s0
; %bb.393:                              ;   in Loop: Header=BB196_29 Depth=1
	s_or_b32 exec_lo, exec_lo, s8
	v_lshlrev_b32_e32 v1, 16, v4
                                        ; implicit-def: $vgpr127
	s_delay_alu instid0(VALU_DEP_1) | instskip(NEXT) | instid1(VALU_DEP_1)
	v_mul_f32_e32 v1, v62, v1
	v_and_b32_e32 v2, 0x7f800000, v1
	s_delay_alu instid0(VALU_DEP_1) | instskip(NEXT) | instid1(VALU_DEP_1)
	v_cmp_ne_u32_e64 s0, 0x7f800000, v2
	s_and_saveexec_b32 s8, s0
	s_delay_alu instid0(SALU_CYCLE_1)
	s_xor_b32 s0, exec_lo, s8
; %bb.394:                              ;   in Loop: Header=BB196_29 Depth=1
	v_bfe_u32 v2, v1, 16, 1
	s_delay_alu instid0(VALU_DEP_1)
	v_add3_u32 v127, v1, v2, 0x7fff
                                        ; implicit-def: $vgpr1
; %bb.395:                              ;   in Loop: Header=BB196_29 Depth=1
	s_and_not1_saveexec_b32 s8, s0
; %bb.396:                              ;   in Loop: Header=BB196_29 Depth=1
	v_and_b32_e32 v2, 0xffff, v1
	v_or_b32_e32 v3, 0x10000, v1
	s_delay_alu instid0(VALU_DEP_2) | instskip(NEXT) | instid1(VALU_DEP_1)
	v_cmp_eq_u32_e64 s0, 0, v2
	v_cndmask_b32_e64 v127, v3, v1, s0
; %bb.397:                              ;   in Loop: Header=BB196_29 Depth=1
	s_or_b32 exec_lo, exec_lo, s8
	v_lshlrev_b32_e32 v1, 16, v128
                                        ; implicit-def: $vgpr128
	s_delay_alu instid0(VALU_DEP_1) | instskip(NEXT) | instid1(VALU_DEP_1)
	v_mul_f32_e32 v1, v63, v1
	v_and_b32_e32 v2, 0x7f800000, v1
	s_delay_alu instid0(VALU_DEP_1) | instskip(NEXT) | instid1(VALU_DEP_1)
	v_cmp_ne_u32_e64 s0, 0x7f800000, v2
	s_and_saveexec_b32 s8, s0
	s_delay_alu instid0(SALU_CYCLE_1)
	s_xor_b32 s0, exec_lo, s8
; %bb.398:                              ;   in Loop: Header=BB196_29 Depth=1
	v_bfe_u32 v2, v1, 16, 1
	s_delay_alu instid0(VALU_DEP_1)
	v_add3_u32 v128, v1, v2, 0x7fff
                                        ; implicit-def: $vgpr1
; %bb.399:                              ;   in Loop: Header=BB196_29 Depth=1
	s_and_not1_saveexec_b32 s8, s0
; %bb.400:                              ;   in Loop: Header=BB196_29 Depth=1
	v_and_b32_e32 v2, 0xffff, v1
	v_or_b32_e32 v3, 0x10000, v1
	s_delay_alu instid0(VALU_DEP_2) | instskip(NEXT) | instid1(VALU_DEP_1)
	v_cmp_eq_u32_e64 s0, 0, v2
	v_cndmask_b32_e64 v128, v3, v1, s0
; %bb.401:                              ;   in Loop: Header=BB196_29 Depth=1
	s_or_b32 exec_lo, exec_lo, s8
	v_add_co_u32 v1, s0, v53, v31
	s_delay_alu instid0(VALU_DEP_1)
	v_add_co_ci_u32_e64 v2, s0, 0, v54, s0
	global_load_b128 v[1:4], v[1:2], off
	s_waitcnt vmcnt(0)
	v_lshrrev_b32_e32 v130, 16, v1
	v_lshrrev_b32_e32 v132, 16, v2
	;; [unrolled: 1-line block ×4, first 2 shown]
	s_and_saveexec_b32 s8, vcc_lo
	s_cbranch_execz .LBB196_403
; %bb.402:                              ;   in Loop: Header=BB196_29 Depth=1
	v_cmp_gt_i32_e64 s0, s28, v45
	s_delay_alu instid0(VALU_DEP_1) | instskip(SKIP_1) | instid1(VALU_DEP_1)
	v_cndmask_b32_e64 v1, 0, v1, s0
	v_cmp_gt_i32_e64 s0, s28, v52
	v_cndmask_b32_e64 v130, 0, v130, s0
	v_cmp_gt_i32_e64 s0, s28, v49
	s_delay_alu instid0(VALU_DEP_1) | instskip(SKIP_1) | instid1(VALU_DEP_1)
	v_cndmask_b32_e64 v2, 0, v2, s0
	v_cmp_gt_i32_e64 s0, s28, v48
	v_cndmask_b32_e64 v132, 0, v132, s0
	;; [unrolled: 5-line block ×4, first 2 shown]
.LBB196_403:                            ;   in Loop: Header=BB196_29 Depth=1
	s_or_b32 exec_lo, exec_lo, s8
	v_lshlrev_b32_e32 v1, 16, v1
	s_delay_alu instid0(VALU_DEP_1) | instskip(NEXT) | instid1(VALU_DEP_1)
	v_mul_f32_e32 v1, v56, v1
	v_and_b32_e32 v129, 0x7f800000, v1
	s_delay_alu instid0(VALU_DEP_1) | instskip(NEXT) | instid1(VALU_DEP_1)
	v_cmp_ne_u32_e64 s0, 0x7f800000, v129
                                        ; implicit-def: $vgpr129
	s_and_saveexec_b32 s8, s0
	s_delay_alu instid0(SALU_CYCLE_1)
	s_xor_b32 s0, exec_lo, s8
; %bb.404:                              ;   in Loop: Header=BB196_29 Depth=1
	v_bfe_u32 v129, v1, 16, 1
	s_delay_alu instid0(VALU_DEP_1)
	v_add3_u32 v129, v1, v129, 0x7fff
                                        ; implicit-def: $vgpr1
; %bb.405:                              ;   in Loop: Header=BB196_29 Depth=1
	s_and_not1_saveexec_b32 s8, s0
; %bb.406:                              ;   in Loop: Header=BB196_29 Depth=1
	v_and_b32_e32 v129, 0xffff, v1
	v_or_b32_e32 v131, 0x10000, v1
	s_delay_alu instid0(VALU_DEP_2) | instskip(NEXT) | instid1(VALU_DEP_1)
	v_cmp_eq_u32_e64 s0, 0, v129
	v_cndmask_b32_e64 v129, v131, v1, s0
; %bb.407:                              ;   in Loop: Header=BB196_29 Depth=1
	s_or_b32 exec_lo, exec_lo, s8
	v_lshlrev_b32_e32 v1, 16, v130
	s_delay_alu instid0(VALU_DEP_1) | instskip(NEXT) | instid1(VALU_DEP_1)
	v_mul_f32_e32 v1, v57, v1
	v_and_b32_e32 v130, 0x7f800000, v1
	s_delay_alu instid0(VALU_DEP_1) | instskip(NEXT) | instid1(VALU_DEP_1)
	v_cmp_ne_u32_e64 s0, 0x7f800000, v130
                                        ; implicit-def: $vgpr130
	s_and_saveexec_b32 s8, s0
	s_delay_alu instid0(SALU_CYCLE_1)
	s_xor_b32 s0, exec_lo, s8
; %bb.408:                              ;   in Loop: Header=BB196_29 Depth=1
	v_bfe_u32 v130, v1, 16, 1
	s_delay_alu instid0(VALU_DEP_1)
	v_add3_u32 v130, v1, v130, 0x7fff
                                        ; implicit-def: $vgpr1
; %bb.409:                              ;   in Loop: Header=BB196_29 Depth=1
	s_and_not1_saveexec_b32 s8, s0
; %bb.410:                              ;   in Loop: Header=BB196_29 Depth=1
	v_and_b32_e32 v130, 0xffff, v1
	v_or_b32_e32 v131, 0x10000, v1
	s_delay_alu instid0(VALU_DEP_2) | instskip(NEXT) | instid1(VALU_DEP_1)
	v_cmp_eq_u32_e64 s0, 0, v130
	v_cndmask_b32_e64 v130, v131, v1, s0
; %bb.411:                              ;   in Loop: Header=BB196_29 Depth=1
	s_or_b32 exec_lo, exec_lo, s8
	v_lshlrev_b32_e32 v1, 16, v2
                                        ; implicit-def: $vgpr131
	s_delay_alu instid0(VALU_DEP_1) | instskip(NEXT) | instid1(VALU_DEP_1)
	v_mul_f32_e32 v1, v58, v1
	v_and_b32_e32 v2, 0x7f800000, v1
	s_delay_alu instid0(VALU_DEP_1) | instskip(NEXT) | instid1(VALU_DEP_1)
	v_cmp_ne_u32_e64 s0, 0x7f800000, v2
	s_and_saveexec_b32 s8, s0
	s_delay_alu instid0(SALU_CYCLE_1)
	s_xor_b32 s0, exec_lo, s8
; %bb.412:                              ;   in Loop: Header=BB196_29 Depth=1
	v_bfe_u32 v2, v1, 16, 1
	s_delay_alu instid0(VALU_DEP_1)
	v_add3_u32 v131, v1, v2, 0x7fff
                                        ; implicit-def: $vgpr1
; %bb.413:                              ;   in Loop: Header=BB196_29 Depth=1
	s_and_not1_saveexec_b32 s8, s0
; %bb.414:                              ;   in Loop: Header=BB196_29 Depth=1
	v_and_b32_e32 v2, 0xffff, v1
	v_or_b32_e32 v131, 0x10000, v1
	s_delay_alu instid0(VALU_DEP_2) | instskip(NEXT) | instid1(VALU_DEP_1)
	v_cmp_eq_u32_e64 s0, 0, v2
	v_cndmask_b32_e64 v131, v131, v1, s0
; %bb.415:                              ;   in Loop: Header=BB196_29 Depth=1
	s_or_b32 exec_lo, exec_lo, s8
	v_lshlrev_b32_e32 v1, 16, v132
                                        ; implicit-def: $vgpr132
	s_delay_alu instid0(VALU_DEP_1) | instskip(NEXT) | instid1(VALU_DEP_1)
	v_mul_f32_e32 v1, v59, v1
	v_and_b32_e32 v2, 0x7f800000, v1
	s_delay_alu instid0(VALU_DEP_1) | instskip(NEXT) | instid1(VALU_DEP_1)
	v_cmp_ne_u32_e64 s0, 0x7f800000, v2
	s_and_saveexec_b32 s8, s0
	s_delay_alu instid0(SALU_CYCLE_1)
	s_xor_b32 s0, exec_lo, s8
; %bb.416:                              ;   in Loop: Header=BB196_29 Depth=1
	v_bfe_u32 v2, v1, 16, 1
	s_delay_alu instid0(VALU_DEP_1)
	v_add3_u32 v132, v1, v2, 0x7fff
                                        ; implicit-def: $vgpr1
; %bb.417:                              ;   in Loop: Header=BB196_29 Depth=1
	s_and_not1_saveexec_b32 s8, s0
; %bb.418:                              ;   in Loop: Header=BB196_29 Depth=1
	v_and_b32_e32 v2, 0xffff, v1
	v_or_b32_e32 v132, 0x10000, v1
	s_delay_alu instid0(VALU_DEP_2) | instskip(NEXT) | instid1(VALU_DEP_1)
	v_cmp_eq_u32_e64 s0, 0, v2
	v_cndmask_b32_e64 v132, v132, v1, s0
; %bb.419:                              ;   in Loop: Header=BB196_29 Depth=1
	s_or_b32 exec_lo, exec_lo, s8
	v_lshlrev_b32_e32 v1, 16, v3
                                        ; implicit-def: $vgpr133
	s_delay_alu instid0(VALU_DEP_1) | instskip(NEXT) | instid1(VALU_DEP_1)
	v_mul_f32_e32 v1, v60, v1
	v_and_b32_e32 v2, 0x7f800000, v1
	s_delay_alu instid0(VALU_DEP_1) | instskip(NEXT) | instid1(VALU_DEP_1)
	v_cmp_ne_u32_e64 s0, 0x7f800000, v2
	s_and_saveexec_b32 s8, s0
	s_delay_alu instid0(SALU_CYCLE_1)
	s_xor_b32 s0, exec_lo, s8
; %bb.420:                              ;   in Loop: Header=BB196_29 Depth=1
	v_bfe_u32 v2, v1, 16, 1
	s_delay_alu instid0(VALU_DEP_1)
	v_add3_u32 v133, v1, v2, 0x7fff
                                        ; implicit-def: $vgpr1
; %bb.421:                              ;   in Loop: Header=BB196_29 Depth=1
	s_and_not1_saveexec_b32 s8, s0
; %bb.422:                              ;   in Loop: Header=BB196_29 Depth=1
	v_and_b32_e32 v2, 0xffff, v1
	v_or_b32_e32 v3, 0x10000, v1
	s_delay_alu instid0(VALU_DEP_2) | instskip(NEXT) | instid1(VALU_DEP_1)
	v_cmp_eq_u32_e64 s0, 0, v2
	v_cndmask_b32_e64 v133, v3, v1, s0
; %bb.423:                              ;   in Loop: Header=BB196_29 Depth=1
	s_or_b32 exec_lo, exec_lo, s8
	v_lshlrev_b32_e32 v1, 16, v134
                                        ; implicit-def: $vgpr134
	s_delay_alu instid0(VALU_DEP_1) | instskip(NEXT) | instid1(VALU_DEP_1)
	v_mul_f32_e32 v1, v61, v1
	v_and_b32_e32 v2, 0x7f800000, v1
	s_delay_alu instid0(VALU_DEP_1) | instskip(NEXT) | instid1(VALU_DEP_1)
	v_cmp_ne_u32_e64 s0, 0x7f800000, v2
	s_and_saveexec_b32 s8, s0
	s_delay_alu instid0(SALU_CYCLE_1)
	s_xor_b32 s0, exec_lo, s8
; %bb.424:                              ;   in Loop: Header=BB196_29 Depth=1
	v_bfe_u32 v2, v1, 16, 1
	s_delay_alu instid0(VALU_DEP_1)
	v_add3_u32 v134, v1, v2, 0x7fff
                                        ; implicit-def: $vgpr1
; %bb.425:                              ;   in Loop: Header=BB196_29 Depth=1
	s_and_not1_saveexec_b32 s8, s0
; %bb.426:                              ;   in Loop: Header=BB196_29 Depth=1
	v_and_b32_e32 v2, 0xffff, v1
	v_or_b32_e32 v3, 0x10000, v1
	s_delay_alu instid0(VALU_DEP_2) | instskip(NEXT) | instid1(VALU_DEP_1)
	v_cmp_eq_u32_e64 s0, 0, v2
	v_cndmask_b32_e64 v134, v3, v1, s0
; %bb.427:                              ;   in Loop: Header=BB196_29 Depth=1
	s_or_b32 exec_lo, exec_lo, s8
	v_lshlrev_b32_e32 v1, 16, v4
                                        ; implicit-def: $vgpr135
	s_delay_alu instid0(VALU_DEP_1) | instskip(NEXT) | instid1(VALU_DEP_1)
	v_mul_f32_e32 v1, v62, v1
	v_and_b32_e32 v2, 0x7f800000, v1
	s_delay_alu instid0(VALU_DEP_1) | instskip(NEXT) | instid1(VALU_DEP_1)
	v_cmp_ne_u32_e64 s0, 0x7f800000, v2
	s_and_saveexec_b32 s8, s0
	s_delay_alu instid0(SALU_CYCLE_1)
	s_xor_b32 s0, exec_lo, s8
; %bb.428:                              ;   in Loop: Header=BB196_29 Depth=1
	v_bfe_u32 v2, v1, 16, 1
	s_delay_alu instid0(VALU_DEP_1)
	v_add3_u32 v135, v1, v2, 0x7fff
                                        ; implicit-def: $vgpr1
; %bb.429:                              ;   in Loop: Header=BB196_29 Depth=1
	s_and_not1_saveexec_b32 s8, s0
; %bb.430:                              ;   in Loop: Header=BB196_29 Depth=1
	v_and_b32_e32 v2, 0xffff, v1
	v_or_b32_e32 v3, 0x10000, v1
	s_delay_alu instid0(VALU_DEP_2) | instskip(NEXT) | instid1(VALU_DEP_1)
	v_cmp_eq_u32_e64 s0, 0, v2
	v_cndmask_b32_e64 v135, v3, v1, s0
; %bb.431:                              ;   in Loop: Header=BB196_29 Depth=1
	s_or_b32 exec_lo, exec_lo, s8
	v_lshlrev_b32_e32 v1, 16, v136
                                        ; implicit-def: $vgpr136
	s_delay_alu instid0(VALU_DEP_1) | instskip(NEXT) | instid1(VALU_DEP_1)
	v_mul_f32_e32 v1, v63, v1
	v_and_b32_e32 v2, 0x7f800000, v1
	s_delay_alu instid0(VALU_DEP_1) | instskip(NEXT) | instid1(VALU_DEP_1)
	v_cmp_ne_u32_e64 s0, 0x7f800000, v2
	s_and_saveexec_b32 s8, s0
	s_delay_alu instid0(SALU_CYCLE_1)
	s_xor_b32 s0, exec_lo, s8
; %bb.432:                              ;   in Loop: Header=BB196_29 Depth=1
	v_bfe_u32 v2, v1, 16, 1
	s_delay_alu instid0(VALU_DEP_1)
	v_add3_u32 v136, v1, v2, 0x7fff
                                        ; implicit-def: $vgpr1
; %bb.433:                              ;   in Loop: Header=BB196_29 Depth=1
	s_and_not1_saveexec_b32 s8, s0
; %bb.434:                              ;   in Loop: Header=BB196_29 Depth=1
	v_and_b32_e32 v2, 0xffff, v1
	v_or_b32_e32 v3, 0x10000, v1
	s_delay_alu instid0(VALU_DEP_2) | instskip(NEXT) | instid1(VALU_DEP_1)
	v_cmp_eq_u32_e64 s0, 0, v2
	v_cndmask_b32_e64 v136, v3, v1, s0
; %bb.435:                              ;   in Loop: Header=BB196_29 Depth=1
	s_or_b32 exec_lo, exec_lo, s8
	v_add_co_u32 v1, s0, v53, v32
	s_delay_alu instid0(VALU_DEP_1)
	v_add_co_ci_u32_e64 v2, s0, 0, v54, s0
	global_load_b128 v[1:4], v[1:2], off
	s_waitcnt vmcnt(0)
	v_lshrrev_b32_e32 v138, 16, v1
	v_lshrrev_b32_e32 v137, 16, v2
	;; [unrolled: 1-line block ×4, first 2 shown]
	s_and_saveexec_b32 s0, vcc_lo
	s_cbranch_execz .LBB196_437
; %bb.436:                              ;   in Loop: Header=BB196_29 Depth=1
	v_cmp_gt_i32_e32 vcc_lo, s28, v45
	v_cndmask_b32_e32 v1, 0, v1, vcc_lo
	v_cmp_gt_i32_e32 vcc_lo, s28, v52
	v_cndmask_b32_e32 v138, 0, v138, vcc_lo
	;; [unrolled: 2-line block ×8, first 2 shown]
.LBB196_437:                            ;   in Loop: Header=BB196_29 Depth=1
	s_or_b32 exec_lo, exec_lo, s0
	v_lshlrev_b32_e32 v1, 16, v1
	s_delay_alu instid0(VALU_DEP_1) | instskip(NEXT) | instid1(VALU_DEP_1)
	v_mul_f32_e32 v45, v56, v1
	v_and_b32_e32 v1, 0x7f800000, v45
	s_delay_alu instid0(VALU_DEP_1) | instskip(SKIP_1) | instid1(SALU_CYCLE_1)
	v_cmp_ne_u32_e32 vcc_lo, 0x7f800000, v1
                                        ; implicit-def: $vgpr1
	s_and_saveexec_b32 s0, vcc_lo
	s_xor_b32 s0, exec_lo, s0
; %bb.438:                              ;   in Loop: Header=BB196_29 Depth=1
	v_bfe_u32 v1, v45, 16, 1
	s_delay_alu instid0(VALU_DEP_1)
	v_add3_u32 v1, v45, v1, 0x7fff
                                        ; implicit-def: $vgpr45
; %bb.439:                              ;   in Loop: Header=BB196_29 Depth=1
	s_and_not1_saveexec_b32 s0, s0
; %bb.440:                              ;   in Loop: Header=BB196_29 Depth=1
	v_and_b32_e32 v1, 0xffff, v45
	v_or_b32_e32 v46, 0x10000, v45
	s_delay_alu instid0(VALU_DEP_2) | instskip(NEXT) | instid1(VALU_DEP_2)
	v_cmp_eq_u32_e32 vcc_lo, 0, v1
	v_cndmask_b32_e32 v1, v46, v45, vcc_lo
; %bb.441:                              ;   in Loop: Header=BB196_29 Depth=1
	s_or_b32 exec_lo, exec_lo, s0
	v_lshlrev_b32_e32 v45, 16, v138
	s_delay_alu instid0(VALU_DEP_1) | instskip(NEXT) | instid1(VALU_DEP_1)
	v_mul_f32_e32 v46, v57, v45
	v_and_b32_e32 v45, 0x7f800000, v46
	s_delay_alu instid0(VALU_DEP_1) | instskip(SKIP_1) | instid1(SALU_CYCLE_1)
	v_cmp_ne_u32_e32 vcc_lo, 0x7f800000, v45
                                        ; implicit-def: $vgpr45
	s_and_saveexec_b32 s0, vcc_lo
	s_xor_b32 s0, exec_lo, s0
; %bb.442:                              ;   in Loop: Header=BB196_29 Depth=1
	v_bfe_u32 v45, v46, 16, 1
	s_delay_alu instid0(VALU_DEP_1)
	v_add3_u32 v45, v46, v45, 0x7fff
                                        ; implicit-def: $vgpr46
; %bb.443:                              ;   in Loop: Header=BB196_29 Depth=1
	s_and_not1_saveexec_b32 s0, s0
; %bb.444:                              ;   in Loop: Header=BB196_29 Depth=1
	v_and_b32_e32 v45, 0xffff, v46
	v_or_b32_e32 v47, 0x10000, v46
	s_delay_alu instid0(VALU_DEP_2) | instskip(NEXT) | instid1(VALU_DEP_2)
	v_cmp_eq_u32_e32 vcc_lo, 0, v45
	v_cndmask_b32_e32 v45, v47, v46, vcc_lo
; %bb.445:                              ;   in Loop: Header=BB196_29 Depth=1
	s_or_b32 exec_lo, exec_lo, s0
	v_lshlrev_b32_e32 v2, 16, v2
	s_delay_alu instid0(VALU_DEP_1) | instskip(NEXT) | instid1(VALU_DEP_1)
	v_mul_f32_e32 v46, v58, v2
	v_and_b32_e32 v2, 0x7f800000, v46
	s_delay_alu instid0(VALU_DEP_1) | instskip(SKIP_1) | instid1(SALU_CYCLE_1)
	v_cmp_ne_u32_e32 vcc_lo, 0x7f800000, v2
                                        ; implicit-def: $vgpr2
	s_and_saveexec_b32 s0, vcc_lo
	s_xor_b32 s0, exec_lo, s0
; %bb.446:                              ;   in Loop: Header=BB196_29 Depth=1
	v_bfe_u32 v2, v46, 16, 1
	s_delay_alu instid0(VALU_DEP_1)
	v_add3_u32 v2, v46, v2, 0x7fff
                                        ; implicit-def: $vgpr46
; %bb.447:                              ;   in Loop: Header=BB196_29 Depth=1
	s_and_not1_saveexec_b32 s0, s0
; %bb.448:                              ;   in Loop: Header=BB196_29 Depth=1
	v_and_b32_e32 v2, 0xffff, v46
	v_or_b32_e32 v47, 0x10000, v46
	s_delay_alu instid0(VALU_DEP_2) | instskip(NEXT) | instid1(VALU_DEP_2)
	v_cmp_eq_u32_e32 vcc_lo, 0, v2
	v_cndmask_b32_e32 v2, v47, v46, vcc_lo
; %bb.449:                              ;   in Loop: Header=BB196_29 Depth=1
	s_or_b32 exec_lo, exec_lo, s0
	v_lshlrev_b32_e32 v46, 16, v137
	s_delay_alu instid0(VALU_DEP_1) | instskip(NEXT) | instid1(VALU_DEP_1)
	v_mul_f32_e32 v47, v59, v46
	v_and_b32_e32 v46, 0x7f800000, v47
	s_delay_alu instid0(VALU_DEP_1) | instskip(SKIP_1) | instid1(SALU_CYCLE_1)
	v_cmp_ne_u32_e32 vcc_lo, 0x7f800000, v46
                                        ; implicit-def: $vgpr46
	s_and_saveexec_b32 s0, vcc_lo
	s_xor_b32 s0, exec_lo, s0
; %bb.450:                              ;   in Loop: Header=BB196_29 Depth=1
	v_bfe_u32 v46, v47, 16, 1
	s_delay_alu instid0(VALU_DEP_1)
	v_add3_u32 v46, v47, v46, 0x7fff
                                        ; implicit-def: $vgpr47
; %bb.451:                              ;   in Loop: Header=BB196_29 Depth=1
	s_and_not1_saveexec_b32 s0, s0
; %bb.452:                              ;   in Loop: Header=BB196_29 Depth=1
	v_and_b32_e32 v46, 0xffff, v47
	v_or_b32_e32 v48, 0x10000, v47
	s_delay_alu instid0(VALU_DEP_2) | instskip(NEXT) | instid1(VALU_DEP_2)
	v_cmp_eq_u32_e32 vcc_lo, 0, v46
	v_cndmask_b32_e32 v46, v48, v47, vcc_lo
; %bb.453:                              ;   in Loop: Header=BB196_29 Depth=1
	s_or_b32 exec_lo, exec_lo, s0
	v_lshlrev_b32_e32 v3, 16, v3
	s_delay_alu instid0(VALU_DEP_1) | instskip(NEXT) | instid1(VALU_DEP_1)
	v_mul_f32_e32 v47, v60, v3
	v_and_b32_e32 v3, 0x7f800000, v47
	s_delay_alu instid0(VALU_DEP_1) | instskip(SKIP_1) | instid1(SALU_CYCLE_1)
	v_cmp_ne_u32_e32 vcc_lo, 0x7f800000, v3
                                        ; implicit-def: $vgpr3
	s_and_saveexec_b32 s0, vcc_lo
	s_xor_b32 s0, exec_lo, s0
; %bb.454:                              ;   in Loop: Header=BB196_29 Depth=1
	v_bfe_u32 v3, v47, 16, 1
	s_delay_alu instid0(VALU_DEP_1)
	v_add3_u32 v3, v47, v3, 0x7fff
                                        ; implicit-def: $vgpr47
; %bb.455:                              ;   in Loop: Header=BB196_29 Depth=1
	s_and_not1_saveexec_b32 s0, s0
; %bb.456:                              ;   in Loop: Header=BB196_29 Depth=1
	v_and_b32_e32 v3, 0xffff, v47
	v_or_b32_e32 v48, 0x10000, v47
	s_delay_alu instid0(VALU_DEP_2) | instskip(NEXT) | instid1(VALU_DEP_2)
	v_cmp_eq_u32_e32 vcc_lo, 0, v3
	v_cndmask_b32_e32 v3, v48, v47, vcc_lo
; %bb.457:                              ;   in Loop: Header=BB196_29 Depth=1
	s_or_b32 exec_lo, exec_lo, s0
	v_lshlrev_b32_e32 v47, 16, v54
	s_delay_alu instid0(VALU_DEP_1) | instskip(NEXT) | instid1(VALU_DEP_1)
	v_mul_f32_e32 v48, v61, v47
	v_and_b32_e32 v47, 0x7f800000, v48
	s_delay_alu instid0(VALU_DEP_1) | instskip(SKIP_1) | instid1(SALU_CYCLE_1)
	v_cmp_ne_u32_e32 vcc_lo, 0x7f800000, v47
                                        ; implicit-def: $vgpr47
	s_and_saveexec_b32 s0, vcc_lo
	s_xor_b32 s0, exec_lo, s0
; %bb.458:                              ;   in Loop: Header=BB196_29 Depth=1
	v_bfe_u32 v47, v48, 16, 1
	s_delay_alu instid0(VALU_DEP_1)
	v_add3_u32 v47, v48, v47, 0x7fff
                                        ; implicit-def: $vgpr48
; %bb.459:                              ;   in Loop: Header=BB196_29 Depth=1
	s_and_not1_saveexec_b32 s0, s0
; %bb.460:                              ;   in Loop: Header=BB196_29 Depth=1
	v_and_b32_e32 v47, 0xffff, v48
	v_or_b32_e32 v49, 0x10000, v48
	s_delay_alu instid0(VALU_DEP_2) | instskip(NEXT) | instid1(VALU_DEP_2)
	v_cmp_eq_u32_e32 vcc_lo, 0, v47
	v_cndmask_b32_e32 v47, v49, v48, vcc_lo
; %bb.461:                              ;   in Loop: Header=BB196_29 Depth=1
	s_or_b32 exec_lo, exec_lo, s0
	v_lshlrev_b32_e32 v4, 16, v4
	s_delay_alu instid0(VALU_DEP_1) | instskip(NEXT) | instid1(VALU_DEP_1)
	v_mul_f32_e32 v48, v62, v4
	v_and_b32_e32 v4, 0x7f800000, v48
	s_delay_alu instid0(VALU_DEP_1) | instskip(SKIP_1) | instid1(SALU_CYCLE_1)
	v_cmp_ne_u32_e32 vcc_lo, 0x7f800000, v4
                                        ; implicit-def: $vgpr4
	s_and_saveexec_b32 s0, vcc_lo
	s_xor_b32 s0, exec_lo, s0
; %bb.462:                              ;   in Loop: Header=BB196_29 Depth=1
	v_bfe_u32 v4, v48, 16, 1
	s_delay_alu instid0(VALU_DEP_1)
	v_add3_u32 v4, v48, v4, 0x7fff
                                        ; implicit-def: $vgpr48
; %bb.463:                              ;   in Loop: Header=BB196_29 Depth=1
	s_and_not1_saveexec_b32 s0, s0
; %bb.464:                              ;   in Loop: Header=BB196_29 Depth=1
	v_and_b32_e32 v4, 0xffff, v48
	v_or_b32_e32 v49, 0x10000, v48
	s_delay_alu instid0(VALU_DEP_2) | instskip(NEXT) | instid1(VALU_DEP_2)
	v_cmp_eq_u32_e32 vcc_lo, 0, v4
	v_cndmask_b32_e32 v4, v49, v48, vcc_lo
; %bb.465:                              ;   in Loop: Header=BB196_29 Depth=1
	s_or_b32 exec_lo, exec_lo, s0
	v_lshlrev_b32_e32 v48, 16, v53
	s_delay_alu instid0(VALU_DEP_1) | instskip(NEXT) | instid1(VALU_DEP_1)
	v_mul_f32_e32 v49, v63, v48
	v_and_b32_e32 v48, 0x7f800000, v49
	s_delay_alu instid0(VALU_DEP_1) | instskip(SKIP_1) | instid1(SALU_CYCLE_1)
	v_cmp_ne_u32_e32 vcc_lo, 0x7f800000, v48
                                        ; implicit-def: $vgpr48
	s_and_saveexec_b32 s0, vcc_lo
	s_xor_b32 s0, exec_lo, s0
; %bb.466:                              ;   in Loop: Header=BB196_29 Depth=1
	v_bfe_u32 v48, v49, 16, 1
	s_delay_alu instid0(VALU_DEP_1)
	v_add3_u32 v48, v49, v48, 0x7fff
                                        ; implicit-def: $vgpr49
; %bb.467:                              ;   in Loop: Header=BB196_29 Depth=1
	s_and_not1_saveexec_b32 s0, s0
	s_cbranch_execz .LBB196_28
; %bb.468:                              ;   in Loop: Header=BB196_29 Depth=1
	v_and_b32_e32 v48, 0xffff, v49
	v_or_b32_e32 v50, 0x10000, v49
	s_delay_alu instid0(VALU_DEP_2) | instskip(NEXT) | instid1(VALU_DEP_2)
	v_cmp_eq_u32_e32 vcc_lo, 0, v48
	v_cndmask_b32_e32 v48, v50, v49, vcc_lo
	s_branch .LBB196_28
.LBB196_469:
	s_or_b32 exec_lo, exec_lo, s5
.LBB196_470:
	s_delay_alu instid0(SALU_CYCLE_1)
	s_or_b32 exec_lo, exec_lo, s1
	ds_bpermute_b32 v1, v12, v23
	ds_bpermute_b32 v2, v12, v25
	;; [unrolled: 1-line block ×12, first 2 shown]
	s_movk_i32 s0, 0x180
	s_waitcnt lgkmcnt(0)
	s_waitcnt_vscnt null, 0x0
	s_barrier
	buffer_gl0_inv
	v_dual_add_f32 v1, v23, v1 :: v_dual_add_f32 v2, v25, v2
	v_add_f32_e32 v17, v17, v9
	v_dual_add_f32 v3, v24, v3 :: v_dual_add_f32 v4, v22, v4
	v_add_f32_e32 v5, v21, v5
	ds_bpermute_b32 v9, v11, v2
	v_dual_add_f32 v7, v19, v7 :: v_dual_add_f32 v16, v16, v10
	v_add_f32_e32 v18, v18, v8
	v_add_f32_e32 v6, v20, v6
	;; [unrolled: 1-line block ×4, first 2 shown]
	ds_bpermute_b32 v10, v11, v3
	ds_bpermute_b32 v14, v11, v4
	;; [unrolled: 1-line block ×10, first 2 shown]
	s_waitcnt lgkmcnt(10)
	v_add_f32_e32 v12, v2, v9
	ds_bpermute_b32 v26, v11, v15
	s_waitcnt lgkmcnt(10)
	v_add_f32_e32 v11, v3, v10
	s_waitcnt lgkmcnt(8)
	v_dual_add_f32 v10, v4, v14 :: v_dual_add_f32 v9, v5, v20
	s_waitcnt lgkmcnt(6)
	v_dual_add_f32 v7, v7, v22 :: v_dual_add_f32 v4, v16, v25
	v_and_b32_e32 v16, 0x3c3, v0
	v_lshrrev_b32_e32 v14, 2, v42
	s_waitcnt lgkmcnt(4)
	v_dual_add_f32 v1, v1, v8 :: v_dual_add_f32 v8, v6, v21
	s_waitcnt lgkmcnt(2)
	v_dual_add_f32 v6, v18, v23 :: v_dual_add_f32 v5, v17, v24
	s_waitcnt lgkmcnt(1)
	v_add_f32_e32 v2, v19, v27
	v_cmp_eq_u32_e32 vcc_lo, 64, v16
	v_lshlrev_b32_e32 v16, 2, v14
	s_waitcnt lgkmcnt(0)
	v_add_f32_e32 v3, v15, v26
	v_mad_u32_u24 v15, v41, s0, 0xe0
	s_and_saveexec_b32 s0, vcc_lo
	s_cbranch_execz .LBB196_472
; %bb.471:
	s_delay_alu instid0(VALU_DEP_1)
	v_add3_u32 v17, v15, v16, 0xfffffd00
	ds_store_2addr_b32 v17, v1, v12 offset1:8
	ds_store_2addr_b32 v17, v11, v10 offset0:16 offset1:24
	ds_store_2addr_b32 v17, v9, v8 offset0:32 offset1:40
	;; [unrolled: 1-line block ×5, first 2 shown]
.LBB196_472:
	s_or_b32 exec_lo, exec_lo, s0
	v_cmp_eq_u32_e32 vcc_lo, 0, v13
	s_mov_b32 s1, exec_lo
	s_waitcnt lgkmcnt(0)
	s_barrier
	buffer_gl0_inv
	v_cmpx_gt_u32_e32 64, v0
	s_cbranch_execz .LBB196_487
; %bb.473:
	s_and_saveexec_b32 s0, vcc_lo
	s_cbranch_execnz .LBB196_556
; %bb.474:
	s_or_b32 exec_lo, exec_lo, s0
	s_and_saveexec_b32 s0, vcc_lo
	s_cbranch_execnz .LBB196_557
.LBB196_475:
	s_or_b32 exec_lo, exec_lo, s0
	s_and_saveexec_b32 s0, vcc_lo
	s_cbranch_execnz .LBB196_558
.LBB196_476:
	s_or_b32 exec_lo, exec_lo, s0
	s_and_saveexec_b32 s0, vcc_lo
	s_cbranch_execnz .LBB196_559
.LBB196_477:
	s_or_b32 exec_lo, exec_lo, s0
	s_and_saveexec_b32 s0, vcc_lo
	s_cbranch_execnz .LBB196_560
.LBB196_478:
	s_or_b32 exec_lo, exec_lo, s0
	s_and_saveexec_b32 s0, vcc_lo
	s_cbranch_execnz .LBB196_561
.LBB196_479:
	s_or_b32 exec_lo, exec_lo, s0
	s_and_saveexec_b32 s0, vcc_lo
	s_cbranch_execnz .LBB196_562
.LBB196_480:
	s_or_b32 exec_lo, exec_lo, s0
	s_and_saveexec_b32 s0, vcc_lo
	s_cbranch_execnz .LBB196_563
.LBB196_481:
	s_or_b32 exec_lo, exec_lo, s0
	s_and_saveexec_b32 s0, vcc_lo
	s_cbranch_execnz .LBB196_564
.LBB196_482:
	s_or_b32 exec_lo, exec_lo, s0
	s_and_saveexec_b32 s0, vcc_lo
	s_cbranch_execnz .LBB196_565
.LBB196_483:
	s_or_b32 exec_lo, exec_lo, s0
	s_and_saveexec_b32 s0, vcc_lo
	s_cbranch_execnz .LBB196_566
.LBB196_484:
	s_or_b32 exec_lo, exec_lo, s0
	s_and_saveexec_b32 s0, vcc_lo
	s_cbranch_execz .LBB196_486
.LBB196_485:
	v_lshl_add_u32 v13, v14, 2, v15
	ds_load_b32 v13, v13 offset:352
	s_waitcnt lgkmcnt(0)
	v_add_f32_e32 v2, v2, v13
.LBB196_486:
	s_or_b32 exec_lo, exec_lo, s0
.LBB196_487:
	s_delay_alu instid0(SALU_CYCLE_1)
	s_or_b32 exec_lo, exec_lo, s1
	v_and_b32_e32 v13, 0x3e3, v0
	s_mov_b32 s1, exec_lo
	s_barrier
	buffer_gl0_inv
	v_cmpx_eq_u32_e32 32, v13
	s_cbranch_execz .LBB196_489
; %bb.488:
	v_add3_u32 v13, v15, v16, 0xfffffe80
	ds_store_2addr_b32 v13, v1, v12 offset1:8
	ds_store_2addr_b32 v13, v11, v10 offset0:16 offset1:24
	ds_store_2addr_b32 v13, v9, v8 offset0:32 offset1:40
	ds_store_2addr_b32 v13, v7, v6 offset0:48 offset1:56
	ds_store_2addr_b32 v13, v5, v4 offset0:64 offset1:72
	ds_store_2addr_b32 v13, v3, v2 offset0:80 offset1:88
.LBB196_489:
	s_or_b32 exec_lo, exec_lo, s1
	v_cmp_gt_u32_e64 s0, 32, v0
	s_waitcnt lgkmcnt(0)
	s_barrier
	buffer_gl0_inv
	s_and_saveexec_b32 s1, s0
	s_cbranch_execz .LBB196_504
; %bb.490:
	v_lshl_add_u32 v13, v14, 2, v15
	s_and_saveexec_b32 s2, vcc_lo
	s_cbranch_execnz .LBB196_567
; %bb.491:
	s_or_b32 exec_lo, exec_lo, s2
	s_and_saveexec_b32 s2, vcc_lo
	s_cbranch_execnz .LBB196_568
.LBB196_492:
	s_or_b32 exec_lo, exec_lo, s2
	s_and_saveexec_b32 s2, vcc_lo
	s_cbranch_execnz .LBB196_569
.LBB196_493:
	s_or_b32 exec_lo, exec_lo, s2
	s_and_saveexec_b32 s2, vcc_lo
	s_cbranch_execnz .LBB196_570
.LBB196_494:
	s_or_b32 exec_lo, exec_lo, s2
	s_and_saveexec_b32 s2, vcc_lo
	s_cbranch_execnz .LBB196_571
.LBB196_495:
	s_or_b32 exec_lo, exec_lo, s2
	s_and_saveexec_b32 s2, vcc_lo
	s_cbranch_execnz .LBB196_572
.LBB196_496:
	s_or_b32 exec_lo, exec_lo, s2
	s_and_saveexec_b32 s2, vcc_lo
	s_cbranch_execnz .LBB196_573
.LBB196_497:
	s_or_b32 exec_lo, exec_lo, s2
	s_and_saveexec_b32 s2, vcc_lo
	s_cbranch_execnz .LBB196_574
.LBB196_498:
	s_or_b32 exec_lo, exec_lo, s2
	s_and_saveexec_b32 s2, vcc_lo
	s_cbranch_execnz .LBB196_575
.LBB196_499:
	s_or_b32 exec_lo, exec_lo, s2
	s_and_saveexec_b32 s2, vcc_lo
	s_cbranch_execnz .LBB196_576
.LBB196_500:
	s_or_b32 exec_lo, exec_lo, s2
	s_and_saveexec_b32 s2, vcc_lo
	s_cbranch_execnz .LBB196_577
.LBB196_501:
	s_or_b32 exec_lo, exec_lo, s2
	s_and_saveexec_b32 s2, vcc_lo
	s_cbranch_execz .LBB196_503
.LBB196_502:
	ds_load_b32 v13, v13 offset:352
	s_waitcnt lgkmcnt(0)
	v_add_f32_e32 v2, v2, v13
.LBB196_503:
	s_or_b32 exec_lo, exec_lo, s2
.LBB196_504:
	s_delay_alu instid0(SALU_CYCLE_1)
	s_or_b32 exec_lo, exec_lo, s1
	s_barrier
	buffer_gl0_inv
	s_and_saveexec_b32 s1, s0
	s_cbranch_execz .LBB196_555
; %bb.505:
	s_and_b32 exec_lo, exec_lo, vcc_lo
	s_cbranch_execz .LBB196_555
; %bb.506:
	v_and_b32_e32 v13, 0x7f800000, v1
	s_delay_alu instid0(VALU_DEP_1) | instskip(SKIP_1) | instid1(SALU_CYCLE_1)
	v_cmp_ne_u32_e32 vcc_lo, 0x7f800000, v13
                                        ; implicit-def: $vgpr13
	s_and_saveexec_b32 s0, vcc_lo
	s_xor_b32 s0, exec_lo, s0
; %bb.507:
	v_bfe_u32 v13, v1, 16, 1
	s_delay_alu instid0(VALU_DEP_1)
	v_add3_u32 v13, v1, v13, 0x7fff
                                        ; implicit-def: $vgpr1
; %bb.508:
	s_and_not1_saveexec_b32 s0, s0
; %bb.509:
	v_and_b32_e32 v13, 0xffff, v1
	v_or_b32_e32 v14, 0x10000, v1
	s_delay_alu instid0(VALU_DEP_2) | instskip(NEXT) | instid1(VALU_DEP_2)
	v_cmp_eq_u32_e32 vcc_lo, 0, v13
	v_cndmask_b32_e32 v13, v14, v1, vcc_lo
; %bb.510:
	s_or_b32 exec_lo, exec_lo, s0
	s_mul_i32 s0, s4, s14
	s_mul_i32 s2, s4, s16
	;; [unrolled: 1-line block ×3, first 2 shown]
	v_lshrrev_b32_e32 v0, 1, v0
	s_mulk_i32 s0, 0x60
	v_and_b32_e32 v15, 0x7f800000, v12
	s_ashr_i32 s1, s0, 31
	s_delay_alu instid0(VALU_DEP_2) | instskip(SKIP_1) | instid1(SALU_CYCLE_1)
	v_and_b32_e32 v14, 0x1fe, v0
	s_lshl_b64 s[0:1], s[0:1], 1
	s_add_u32 s4, s18, s0
	s_addc_u32 s5, s19, s1
	s_ashr_i32 s3, s2, 31
	s_delay_alu instid0(SALU_CYCLE_1) | instskip(SKIP_4) | instid1(SALU_CYCLE_1)
	s_lshl_b64 s[0:1], s[2:3], 1
	s_mul_i32 s2, s12, 0x60
	s_add_u32 s4, s4, s0
	s_addc_u32 s5, s5, s1
	s_ashr_i32 s3, s2, 31
	s_lshl_b64 s[0:1], s[2:3], 1
	s_delay_alu instid0(SALU_CYCLE_1) | instskip(SKIP_2) | instid1(VALU_DEP_1)
	s_add_u32 s0, s4, s0
	s_addc_u32 s1, s5, s1
	v_add_co_u32 v0, s2, s0, v14
	v_add_co_ci_u32_e64 v1, null, s1, 0, s2
	global_store_d16_hi_b16 v14, v13, s[0:1]
	s_mov_b32 s0, exec_lo
                                        ; implicit-def: $vgpr13
	v_cmpx_ne_u32_e32 0x7f800000, v15
	s_xor_b32 s0, exec_lo, s0
; %bb.511:
	v_bfe_u32 v13, v12, 16, 1
	s_delay_alu instid0(VALU_DEP_1)
	v_add3_u32 v13, v12, v13, 0x7fff
                                        ; implicit-def: $vgpr12
; %bb.512:
	s_and_not1_saveexec_b32 s0, s0
; %bb.513:
	v_and_b32_e32 v13, 0xffff, v12
	v_or_b32_e32 v14, 0x10000, v12
	s_delay_alu instid0(VALU_DEP_2) | instskip(NEXT) | instid1(VALU_DEP_2)
	v_cmp_eq_u32_e32 vcc_lo, 0, v13
	v_cndmask_b32_e32 v13, v14, v12, vcc_lo
; %bb.514:
	s_or_b32 exec_lo, exec_lo, s0
	v_and_b32_e32 v12, 0x7f800000, v11
	global_store_d16_hi_b16 v[0:1], v13, off offset:16
	v_cmp_ne_u32_e32 vcc_lo, 0x7f800000, v12
                                        ; implicit-def: $vgpr12
	s_and_saveexec_b32 s0, vcc_lo
	s_delay_alu instid0(SALU_CYCLE_1)
	s_xor_b32 s0, exec_lo, s0
; %bb.515:
	v_bfe_u32 v12, v11, 16, 1
	s_delay_alu instid0(VALU_DEP_1)
	v_add3_u32 v12, v11, v12, 0x7fff
                                        ; implicit-def: $vgpr11
; %bb.516:
	s_and_not1_saveexec_b32 s0, s0
; %bb.517:
	v_and_b32_e32 v12, 0xffff, v11
	v_or_b32_e32 v13, 0x10000, v11
	s_delay_alu instid0(VALU_DEP_2) | instskip(NEXT) | instid1(VALU_DEP_2)
	v_cmp_eq_u32_e32 vcc_lo, 0, v12
	v_cndmask_b32_e32 v12, v13, v11, vcc_lo
; %bb.518:
	s_or_b32 exec_lo, exec_lo, s0
	v_and_b32_e32 v11, 0x7f800000, v10
	global_store_d16_hi_b16 v[0:1], v12, off offset:32
	v_cmp_ne_u32_e32 vcc_lo, 0x7f800000, v11
                                        ; implicit-def: $vgpr11
	s_and_saveexec_b32 s0, vcc_lo
	s_delay_alu instid0(SALU_CYCLE_1)
	s_xor_b32 s0, exec_lo, s0
; %bb.519:
	v_bfe_u32 v11, v10, 16, 1
	s_delay_alu instid0(VALU_DEP_1)
	v_add3_u32 v11, v10, v11, 0x7fff
                                        ; implicit-def: $vgpr10
; %bb.520:
	s_and_not1_saveexec_b32 s0, s0
; %bb.521:
	v_and_b32_e32 v11, 0xffff, v10
	v_or_b32_e32 v12, 0x10000, v10
	s_delay_alu instid0(VALU_DEP_2) | instskip(NEXT) | instid1(VALU_DEP_2)
	v_cmp_eq_u32_e32 vcc_lo, 0, v11
	v_cndmask_b32_e32 v11, v12, v10, vcc_lo
; %bb.522:
	s_or_b32 exec_lo, exec_lo, s0
	v_and_b32_e32 v10, 0x7f800000, v9
	global_store_d16_hi_b16 v[0:1], v11, off offset:48
	v_cmp_ne_u32_e32 vcc_lo, 0x7f800000, v10
                                        ; implicit-def: $vgpr10
	s_and_saveexec_b32 s0, vcc_lo
	s_delay_alu instid0(SALU_CYCLE_1)
	s_xor_b32 s0, exec_lo, s0
; %bb.523:
	v_bfe_u32 v10, v9, 16, 1
	s_delay_alu instid0(VALU_DEP_1)
	v_add3_u32 v10, v9, v10, 0x7fff
                                        ; implicit-def: $vgpr9
; %bb.524:
	s_and_not1_saveexec_b32 s0, s0
; %bb.525:
	v_and_b32_e32 v10, 0xffff, v9
	v_or_b32_e32 v11, 0x10000, v9
	s_delay_alu instid0(VALU_DEP_2) | instskip(NEXT) | instid1(VALU_DEP_2)
	v_cmp_eq_u32_e32 vcc_lo, 0, v10
	v_cndmask_b32_e32 v10, v11, v9, vcc_lo
; %bb.526:
	s_or_b32 exec_lo, exec_lo, s0
	v_and_b32_e32 v9, 0x7f800000, v8
	global_store_d16_hi_b16 v[0:1], v10, off offset:64
	v_cmp_ne_u32_e32 vcc_lo, 0x7f800000, v9
                                        ; implicit-def: $vgpr9
	s_and_saveexec_b32 s0, vcc_lo
	s_delay_alu instid0(SALU_CYCLE_1)
	s_xor_b32 s0, exec_lo, s0
; %bb.527:
	v_bfe_u32 v9, v8, 16, 1
	s_delay_alu instid0(VALU_DEP_1)
	v_add3_u32 v9, v8, v9, 0x7fff
                                        ; implicit-def: $vgpr8
; %bb.528:
	s_and_not1_saveexec_b32 s0, s0
; %bb.529:
	v_and_b32_e32 v9, 0xffff, v8
	v_or_b32_e32 v10, 0x10000, v8
	s_delay_alu instid0(VALU_DEP_2) | instskip(NEXT) | instid1(VALU_DEP_2)
	v_cmp_eq_u32_e32 vcc_lo, 0, v9
	v_cndmask_b32_e32 v9, v10, v8, vcc_lo
; %bb.530:
	s_or_b32 exec_lo, exec_lo, s0
	v_and_b32_e32 v8, 0x7f800000, v7
	global_store_d16_hi_b16 v[0:1], v9, off offset:80
	v_cmp_ne_u32_e32 vcc_lo, 0x7f800000, v8
                                        ; implicit-def: $vgpr8
	s_and_saveexec_b32 s0, vcc_lo
	s_delay_alu instid0(SALU_CYCLE_1)
	s_xor_b32 s0, exec_lo, s0
; %bb.531:
	v_bfe_u32 v8, v7, 16, 1
	s_delay_alu instid0(VALU_DEP_1)
	v_add3_u32 v8, v7, v8, 0x7fff
                                        ; implicit-def: $vgpr7
; %bb.532:
	s_and_not1_saveexec_b32 s0, s0
; %bb.533:
	v_and_b32_e32 v8, 0xffff, v7
	v_or_b32_e32 v9, 0x10000, v7
	s_delay_alu instid0(VALU_DEP_2) | instskip(NEXT) | instid1(VALU_DEP_2)
	v_cmp_eq_u32_e32 vcc_lo, 0, v8
	v_cndmask_b32_e32 v8, v9, v7, vcc_lo
; %bb.534:
	s_or_b32 exec_lo, exec_lo, s0
	v_and_b32_e32 v7, 0x7f800000, v6
	global_store_d16_hi_b16 v[0:1], v8, off offset:96
	v_cmp_ne_u32_e32 vcc_lo, 0x7f800000, v7
                                        ; implicit-def: $vgpr7
	s_and_saveexec_b32 s0, vcc_lo
	s_delay_alu instid0(SALU_CYCLE_1)
	s_xor_b32 s0, exec_lo, s0
; %bb.535:
	v_bfe_u32 v7, v6, 16, 1
	s_delay_alu instid0(VALU_DEP_1)
	v_add3_u32 v7, v6, v7, 0x7fff
                                        ; implicit-def: $vgpr6
; %bb.536:
	s_and_not1_saveexec_b32 s0, s0
; %bb.537:
	v_and_b32_e32 v7, 0xffff, v6
	v_or_b32_e32 v8, 0x10000, v6
	s_delay_alu instid0(VALU_DEP_2) | instskip(NEXT) | instid1(VALU_DEP_2)
	v_cmp_eq_u32_e32 vcc_lo, 0, v7
	v_cndmask_b32_e32 v7, v8, v6, vcc_lo
; %bb.538:
	s_or_b32 exec_lo, exec_lo, s0
	v_and_b32_e32 v6, 0x7f800000, v5
	global_store_d16_hi_b16 v[0:1], v7, off offset:112
	v_cmp_ne_u32_e32 vcc_lo, 0x7f800000, v6
                                        ; implicit-def: $vgpr6
	s_and_saveexec_b32 s0, vcc_lo
	s_delay_alu instid0(SALU_CYCLE_1)
	s_xor_b32 s0, exec_lo, s0
; %bb.539:
	v_bfe_u32 v6, v5, 16, 1
	s_delay_alu instid0(VALU_DEP_1)
	v_add3_u32 v6, v5, v6, 0x7fff
                                        ; implicit-def: $vgpr5
; %bb.540:
	s_and_not1_saveexec_b32 s0, s0
; %bb.541:
	v_and_b32_e32 v6, 0xffff, v5
	v_or_b32_e32 v7, 0x10000, v5
	s_delay_alu instid0(VALU_DEP_2) | instskip(NEXT) | instid1(VALU_DEP_2)
	v_cmp_eq_u32_e32 vcc_lo, 0, v6
	v_cndmask_b32_e32 v6, v7, v5, vcc_lo
; %bb.542:
	s_or_b32 exec_lo, exec_lo, s0
	v_and_b32_e32 v5, 0x7f800000, v4
	global_store_d16_hi_b16 v[0:1], v6, off offset:128
	v_cmp_ne_u32_e32 vcc_lo, 0x7f800000, v5
                                        ; implicit-def: $vgpr5
	s_and_saveexec_b32 s0, vcc_lo
	s_delay_alu instid0(SALU_CYCLE_1)
	s_xor_b32 s0, exec_lo, s0
; %bb.543:
	v_bfe_u32 v5, v4, 16, 1
	s_delay_alu instid0(VALU_DEP_1)
	v_add3_u32 v5, v4, v5, 0x7fff
                                        ; implicit-def: $vgpr4
; %bb.544:
	s_and_not1_saveexec_b32 s0, s0
; %bb.545:
	v_and_b32_e32 v5, 0xffff, v4
	v_or_b32_e32 v6, 0x10000, v4
	s_delay_alu instid0(VALU_DEP_2) | instskip(NEXT) | instid1(VALU_DEP_2)
	v_cmp_eq_u32_e32 vcc_lo, 0, v5
	v_cndmask_b32_e32 v5, v6, v4, vcc_lo
; %bb.546:
	s_or_b32 exec_lo, exec_lo, s0
	v_and_b32_e32 v4, 0x7f800000, v3
	global_store_d16_hi_b16 v[0:1], v5, off offset:144
	v_cmp_ne_u32_e32 vcc_lo, 0x7f800000, v4
                                        ; implicit-def: $vgpr4
	s_and_saveexec_b32 s0, vcc_lo
	s_delay_alu instid0(SALU_CYCLE_1)
	s_xor_b32 s0, exec_lo, s0
; %bb.547:
	v_bfe_u32 v4, v3, 16, 1
	s_delay_alu instid0(VALU_DEP_1)
	v_add3_u32 v4, v3, v4, 0x7fff
                                        ; implicit-def: $vgpr3
; %bb.548:
	s_and_not1_saveexec_b32 s0, s0
; %bb.549:
	v_and_b32_e32 v4, 0xffff, v3
	v_or_b32_e32 v5, 0x10000, v3
	s_delay_alu instid0(VALU_DEP_2) | instskip(NEXT) | instid1(VALU_DEP_2)
	v_cmp_eq_u32_e32 vcc_lo, 0, v4
	v_cndmask_b32_e32 v4, v5, v3, vcc_lo
; %bb.550:
	s_or_b32 exec_lo, exec_lo, s0
	v_and_b32_e32 v3, 0x7f800000, v2
	global_store_d16_hi_b16 v[0:1], v4, off offset:160
	v_cmp_ne_u32_e32 vcc_lo, 0x7f800000, v3
                                        ; implicit-def: $vgpr3
	s_and_saveexec_b32 s0, vcc_lo
	s_delay_alu instid0(SALU_CYCLE_1)
	s_xor_b32 s0, exec_lo, s0
; %bb.551:
	v_bfe_u32 v3, v2, 16, 1
	s_delay_alu instid0(VALU_DEP_1)
	v_add3_u32 v3, v2, v3, 0x7fff
                                        ; implicit-def: $vgpr2
; %bb.552:
	s_and_not1_saveexec_b32 s0, s0
; %bb.553:
	v_and_b32_e32 v3, 0xffff, v2
	v_or_b32_e32 v4, 0x10000, v2
	s_delay_alu instid0(VALU_DEP_2) | instskip(NEXT) | instid1(VALU_DEP_2)
	v_cmp_eq_u32_e32 vcc_lo, 0, v3
	v_cndmask_b32_e32 v3, v4, v2, vcc_lo
; %bb.554:
	s_or_b32 exec_lo, exec_lo, s0
	global_store_d16_hi_b16 v[0:1], v3, off offset:176
.LBB196_555:
	s_nop 0
	s_sendmsg sendmsg(MSG_DEALLOC_VGPRS)
	s_endpgm
.LBB196_556:
	v_lshl_add_u32 v13, v14, 2, v15
	ds_load_b32 v13, v13
	s_waitcnt lgkmcnt(0)
	v_add_f32_e32 v1, v1, v13
	s_or_b32 exec_lo, exec_lo, s0
	s_and_saveexec_b32 s0, vcc_lo
	s_cbranch_execz .LBB196_475
.LBB196_557:
	v_lshl_add_u32 v13, v14, 2, v15
	ds_load_b32 v13, v13 offset:32
	s_waitcnt lgkmcnt(0)
	v_add_f32_e32 v12, v12, v13
	s_or_b32 exec_lo, exec_lo, s0
	s_and_saveexec_b32 s0, vcc_lo
	s_cbranch_execz .LBB196_476
.LBB196_558:
	v_lshl_add_u32 v13, v14, 2, v15
	ds_load_b32 v13, v13 offset:64
	s_waitcnt lgkmcnt(0)
	v_add_f32_e32 v11, v11, v13
	s_or_b32 exec_lo, exec_lo, s0
	s_and_saveexec_b32 s0, vcc_lo
	s_cbranch_execz .LBB196_477
.LBB196_559:
	v_lshl_add_u32 v13, v14, 2, v15
	ds_load_b32 v13, v13 offset:96
	s_waitcnt lgkmcnt(0)
	v_add_f32_e32 v10, v10, v13
	s_or_b32 exec_lo, exec_lo, s0
	s_and_saveexec_b32 s0, vcc_lo
	s_cbranch_execz .LBB196_478
.LBB196_560:
	v_lshl_add_u32 v13, v14, 2, v15
	ds_load_b32 v13, v13 offset:128
	s_waitcnt lgkmcnt(0)
	v_add_f32_e32 v9, v9, v13
	s_or_b32 exec_lo, exec_lo, s0
	s_and_saveexec_b32 s0, vcc_lo
	s_cbranch_execz .LBB196_479
.LBB196_561:
	v_lshl_add_u32 v13, v14, 2, v15
	ds_load_b32 v13, v13 offset:160
	s_waitcnt lgkmcnt(0)
	v_add_f32_e32 v8, v8, v13
	s_or_b32 exec_lo, exec_lo, s0
	s_and_saveexec_b32 s0, vcc_lo
	s_cbranch_execz .LBB196_480
.LBB196_562:
	v_lshl_add_u32 v13, v14, 2, v15
	ds_load_b32 v13, v13 offset:192
	s_waitcnt lgkmcnt(0)
	v_add_f32_e32 v7, v7, v13
	s_or_b32 exec_lo, exec_lo, s0
	s_and_saveexec_b32 s0, vcc_lo
	s_cbranch_execz .LBB196_481
.LBB196_563:
	v_lshl_add_u32 v13, v14, 2, v15
	ds_load_b32 v13, v13 offset:224
	s_waitcnt lgkmcnt(0)
	v_add_f32_e32 v6, v6, v13
	s_or_b32 exec_lo, exec_lo, s0
	s_and_saveexec_b32 s0, vcc_lo
	s_cbranch_execz .LBB196_482
.LBB196_564:
	v_lshl_add_u32 v13, v14, 2, v15
	ds_load_b32 v13, v13 offset:256
	s_waitcnt lgkmcnt(0)
	v_add_f32_e32 v5, v5, v13
	s_or_b32 exec_lo, exec_lo, s0
	s_and_saveexec_b32 s0, vcc_lo
	s_cbranch_execz .LBB196_483
.LBB196_565:
	v_lshl_add_u32 v13, v14, 2, v15
	ds_load_b32 v13, v13 offset:288
	s_waitcnt lgkmcnt(0)
	v_add_f32_e32 v4, v4, v13
	s_or_b32 exec_lo, exec_lo, s0
	s_and_saveexec_b32 s0, vcc_lo
	s_cbranch_execz .LBB196_484
.LBB196_566:
	v_lshl_add_u32 v13, v14, 2, v15
	ds_load_b32 v13, v13 offset:320
	s_waitcnt lgkmcnt(0)
	v_add_f32_e32 v3, v3, v13
	s_or_b32 exec_lo, exec_lo, s0
	s_and_saveexec_b32 s0, vcc_lo
	s_cbranch_execnz .LBB196_485
	s_branch .LBB196_486
.LBB196_567:
	ds_load_b32 v14, v13
	s_waitcnt lgkmcnt(0)
	v_add_f32_e32 v1, v1, v14
	s_or_b32 exec_lo, exec_lo, s2
	s_and_saveexec_b32 s2, vcc_lo
	s_cbranch_execz .LBB196_492
.LBB196_568:
	ds_load_b32 v14, v13 offset:32
	s_waitcnt lgkmcnt(0)
	v_add_f32_e32 v12, v12, v14
	s_or_b32 exec_lo, exec_lo, s2
	s_and_saveexec_b32 s2, vcc_lo
	s_cbranch_execz .LBB196_493
.LBB196_569:
	ds_load_b32 v14, v13 offset:64
	s_waitcnt lgkmcnt(0)
	v_add_f32_e32 v11, v11, v14
	s_or_b32 exec_lo, exec_lo, s2
	s_and_saveexec_b32 s2, vcc_lo
	s_cbranch_execz .LBB196_494
.LBB196_570:
	ds_load_b32 v14, v13 offset:96
	s_waitcnt lgkmcnt(0)
	v_add_f32_e32 v10, v10, v14
	s_or_b32 exec_lo, exec_lo, s2
	s_and_saveexec_b32 s2, vcc_lo
	s_cbranch_execz .LBB196_495
.LBB196_571:
	ds_load_b32 v14, v13 offset:128
	s_waitcnt lgkmcnt(0)
	v_add_f32_e32 v9, v9, v14
	s_or_b32 exec_lo, exec_lo, s2
	s_and_saveexec_b32 s2, vcc_lo
	s_cbranch_execz .LBB196_496
.LBB196_572:
	ds_load_b32 v14, v13 offset:160
	s_waitcnt lgkmcnt(0)
	v_add_f32_e32 v8, v8, v14
	s_or_b32 exec_lo, exec_lo, s2
	s_and_saveexec_b32 s2, vcc_lo
	s_cbranch_execz .LBB196_497
.LBB196_573:
	ds_load_b32 v14, v13 offset:192
	s_waitcnt lgkmcnt(0)
	v_add_f32_e32 v7, v7, v14
	s_or_b32 exec_lo, exec_lo, s2
	s_and_saveexec_b32 s2, vcc_lo
	s_cbranch_execz .LBB196_498
.LBB196_574:
	ds_load_b32 v14, v13 offset:224
	s_waitcnt lgkmcnt(0)
	v_add_f32_e32 v6, v6, v14
	s_or_b32 exec_lo, exec_lo, s2
	s_and_saveexec_b32 s2, vcc_lo
	s_cbranch_execz .LBB196_499
.LBB196_575:
	ds_load_b32 v14, v13 offset:256
	s_waitcnt lgkmcnt(0)
	v_add_f32_e32 v5, v5, v14
	s_or_b32 exec_lo, exec_lo, s2
	s_and_saveexec_b32 s2, vcc_lo
	s_cbranch_execz .LBB196_500
.LBB196_576:
	ds_load_b32 v14, v13 offset:288
	s_waitcnt lgkmcnt(0)
	v_add_f32_e32 v4, v4, v14
	s_or_b32 exec_lo, exec_lo, s2
	s_and_saveexec_b32 s2, vcc_lo
	s_cbranch_execz .LBB196_501
.LBB196_577:
	ds_load_b32 v14, v13 offset:320
	s_waitcnt lgkmcnt(0)
	v_add_f32_e32 v3, v3, v14
	s_or_b32 exec_lo, exec_lo, s2
	s_and_saveexec_b32 s2, vcc_lo
	s_cbranch_execnz .LBB196_502
	s_branch .LBB196_503
	.section	.rodata,"a",@progbits
	.p2align	6, 0x0
	.amdhsa_kernel _ZN4vllm25paged_attention_v2_kernelI14__hip_bfloat16S1_Li96ELi32ELi128ELNS_18Fp8KVCacheDataTypeE0ELb0ELi512EEEvPfS3_PT_PKS4_PKT0_SA_ifPKiSC_iPKfiiiSE_SE_iiiii
		.amdhsa_group_segment_fixed_size 224
		.amdhsa_private_segment_fixed_size 0
		.amdhsa_kernarg_size 400
		.amdhsa_user_sgpr_count 13
		.amdhsa_user_sgpr_dispatch_ptr 0
		.amdhsa_user_sgpr_queue_ptr 0
		.amdhsa_user_sgpr_kernarg_segment_ptr 1
		.amdhsa_user_sgpr_dispatch_id 0
		.amdhsa_user_sgpr_private_segment_size 0
		.amdhsa_wavefront_size32 1
		.amdhsa_uses_dynamic_stack 0
		.amdhsa_enable_private_segment 0
		.amdhsa_system_sgpr_workgroup_id_x 1
		.amdhsa_system_sgpr_workgroup_id_y 1
		.amdhsa_system_sgpr_workgroup_id_z 1
		.amdhsa_system_sgpr_workgroup_info 0
		.amdhsa_system_vgpr_workitem_id 0
		.amdhsa_next_free_vgpr 171
		.amdhsa_next_free_sgpr 38
		.amdhsa_reserve_vcc 1
		.amdhsa_float_round_mode_32 0
		.amdhsa_float_round_mode_16_64 0
		.amdhsa_float_denorm_mode_32 3
		.amdhsa_float_denorm_mode_16_64 3
		.amdhsa_dx10_clamp 1
		.amdhsa_ieee_mode 1
		.amdhsa_fp16_overflow 0
		.amdhsa_workgroup_processor_mode 1
		.amdhsa_memory_ordered 1
		.amdhsa_forward_progress 0
		.amdhsa_shared_vgpr_count 0
		.amdhsa_exception_fp_ieee_invalid_op 0
		.amdhsa_exception_fp_denorm_src 0
		.amdhsa_exception_fp_ieee_div_zero 0
		.amdhsa_exception_fp_ieee_overflow 0
		.amdhsa_exception_fp_ieee_underflow 0
		.amdhsa_exception_fp_ieee_inexact 0
		.amdhsa_exception_int_div_zero 0
	.end_amdhsa_kernel
	.section	.text._ZN4vllm25paged_attention_v2_kernelI14__hip_bfloat16S1_Li96ELi32ELi128ELNS_18Fp8KVCacheDataTypeE0ELb0ELi512EEEvPfS3_PT_PKS4_PKT0_SA_ifPKiSC_iPKfiiiSE_SE_iiiii,"axG",@progbits,_ZN4vllm25paged_attention_v2_kernelI14__hip_bfloat16S1_Li96ELi32ELi128ELNS_18Fp8KVCacheDataTypeE0ELb0ELi512EEEvPfS3_PT_PKS4_PKT0_SA_ifPKiSC_iPKfiiiSE_SE_iiiii,comdat
.Lfunc_end196:
	.size	_ZN4vllm25paged_attention_v2_kernelI14__hip_bfloat16S1_Li96ELi32ELi128ELNS_18Fp8KVCacheDataTypeE0ELb0ELi512EEEvPfS3_PT_PKS4_PKT0_SA_ifPKiSC_iPKfiiiSE_SE_iiiii, .Lfunc_end196-_ZN4vllm25paged_attention_v2_kernelI14__hip_bfloat16S1_Li96ELi32ELi128ELNS_18Fp8KVCacheDataTypeE0ELb0ELi512EEEvPfS3_PT_PKS4_PKT0_SA_ifPKiSC_iPKfiiiSE_SE_iiiii
                                        ; -- End function
	.section	.AMDGPU.csdata,"",@progbits
; Kernel info:
; codeLenInByte = 23028
; NumSgprs: 40
; NumVgprs: 171
; ScratchSize: 0
; MemoryBound: 0
; FloatMode: 240
; IeeeMode: 1
; LDSByteSize: 224 bytes/workgroup (compile time only)
; SGPRBlocks: 4
; VGPRBlocks: 21
; NumSGPRsForWavesPerEU: 40
; NumVGPRsForWavesPerEU: 171
; Occupancy: 8
; WaveLimiterHint : 1
; COMPUTE_PGM_RSRC2:SCRATCH_EN: 0
; COMPUTE_PGM_RSRC2:USER_SGPR: 13
; COMPUTE_PGM_RSRC2:TRAP_HANDLER: 0
; COMPUTE_PGM_RSRC2:TGID_X_EN: 1
; COMPUTE_PGM_RSRC2:TGID_Y_EN: 1
; COMPUTE_PGM_RSRC2:TGID_Z_EN: 1
; COMPUTE_PGM_RSRC2:TIDIG_COMP_CNT: 0
	.text
	.p2align	2                               ; -- Begin function _ZN4vllm22paged_attention_kernelI14__hip_bfloat16S1_Li112ELi32ELi128ELNS_18Fp8KVCacheDataTypeE0ELb0ELi512EEEvPfS3_PT_PKS4_PKT0_SA_ifPKiSC_iPKfiiiSE_SE_iiiii
	.type	_ZN4vllm22paged_attention_kernelI14__hip_bfloat16S1_Li112ELi32ELi128ELNS_18Fp8KVCacheDataTypeE0ELb0ELi512EEEvPfS3_PT_PKS4_PKT0_SA_ifPKiSC_iPKfiiiSE_SE_iiiii,@function
_ZN4vllm22paged_attention_kernelI14__hip_bfloat16S1_Li112ELi32ELi128ELNS_18Fp8KVCacheDataTypeE0ELb0ELi512EEEvPfS3_PT_PKS4_PKT0_SA_ifPKiSC_iPKfiiiSE_SE_iiiii: ; @_ZN4vllm22paged_attention_kernelI14__hip_bfloat16S1_Li112ELi32ELi128ELNS_18Fp8KVCacheDataTypeE0ELb0ELi512EEEvPfS3_PT_PKS4_PKT0_SA_ifPKiSC_iPKfiiiSE_SE_iiiii
; %bb.0:
	s_waitcnt vmcnt(0) expcnt(0) lgkmcnt(0)
	s_clause 0x1f
	scratch_store_b32 off, v40, s32 offset:316
	; meta instruction
	scratch_store_b32 off, v41, s32 offset:312
	; meta instruction
	;; [unrolled: 2-line block ×31, first 2 shown]
	scratch_store_b32 off, v95, s32 offset:192
	s_clause 0x1f
	scratch_store_b32 off, v104, s32 offset:188
	; meta instruction
	scratch_store_b32 off, v105, s32 offset:184
	; meta instruction
	;; [unrolled: 2-line block ×31, first 2 shown]
	scratch_store_b32 off, v159, s32 offset:64
	s_clause 0xf
	scratch_store_b32 off, v168, s32 offset:60
	; meta instruction
	scratch_store_b32 off, v169, s32 offset:56
	; meta instruction
	scratch_store_b32 off, v170, s32 offset:52
	; meta instruction
	scratch_store_b32 off, v171, s32 offset:48
	; meta instruction
	scratch_store_b32 off, v172, s32 offset:44
	; meta instruction
	scratch_store_b32 off, v173, s32 offset:40
	; meta instruction
	scratch_store_b32 off, v174, s32 offset:36
	; meta instruction
	scratch_store_b32 off, v175, s32 offset:32
	; meta instruction
	scratch_store_b32 off, v184, s32 offset:28
	; meta instruction
	scratch_store_b32 off, v185, s32 offset:24
	; meta instruction
	scratch_store_b32 off, v186, s32 offset:20
	; meta instruction
	scratch_store_b32 off, v187, s32 offset:16
	; meta instruction
	scratch_store_b32 off, v188, s32 offset:12
	; meta instruction
	scratch_store_b32 off, v189, s32 offset:8
	; meta instruction
	scratch_store_b32 off, v190, s32 offset:4
	; meta instruction
	scratch_store_b32 off, v191, s32
	s_mov_b32 s4, s13
	s_ashr_i32 s5, s13, 31
	v_dual_mov_b32 v139, v4 :: v_dual_mov_b32 v28, v1
	s_lshl_b64 s[0:1], s[4:5], 2
	v_dual_mov_b32 v35, v10 :: v_dual_mov_b32 v138, v5
	v_add_co_u32 v4, vcc_lo, v16, s0
	v_add_co_ci_u32_e32 v5, vcc_lo, s1, v17, vcc_lo
	v_dual_mov_b32 v175, v22 :: v_dual_mov_b32 v22, v11
	v_mov_b32_e32 v29, v0
	flat_load_b32 v82, v[4:5]
	s_lshl_b32 s17, s14, 9
	s_mov_b32 s5, exec_lo
	s_waitcnt vmcnt(0) lgkmcnt(0)
	v_cmpx_lt_i32_e64 s17, v82
	s_cbranch_execz .LBB197_637
; %bb.1:
	v_sub_nc_u32_e32 v4, 0, v12
	s_clause 0x1
	s_load_b32 s0, s[8:9], 0x10
	s_load_b32 s1, s[8:9], 0x0
	s_mov_b32 s10, s15
	v_mov_b32_e32 v87, 0
	v_max_i32_e32 v4, v12, v4
	s_delay_alu instid0(VALU_DEP_1) | instskip(SKIP_1) | instid1(VALU_DEP_2)
	v_cvt_f32_u32_e32 v5, v4
	v_sub_nc_u32_e32 v10, 0, v4
	v_rcp_iflag_f32_e32 v5, v5
	s_waitcnt lgkmcnt(0)
	s_lshr_b32 s0, s0, 16
	s_delay_alu instid0(SALU_CYCLE_1) | instskip(SKIP_3) | instid1(SALU_CYCLE_1)
	s_cmp_lg_u32 s0, 0
	s_waitcnt_depctr 0xfff
	v_mul_f32_e32 v5, 0x4f7ffffe, v5
	s_cselect_b32 s0, -1, 0
	s_cmp_lg_u32 s0, 0
	s_delay_alu instid0(VALU_DEP_1) | instskip(SKIP_3) | instid1(VALU_DEP_1)
	v_cvt_u32_f32_e32 v5, v5
	s_addc_u32 s16, s1, 0
	s_mov_b32 s1, exec_lo
	s_abs_i32 s0, s16
	v_mul_lo_u32 v10, v10, v5
	s_delay_alu instid0(VALU_DEP_1) | instskip(NEXT) | instid1(VALU_DEP_1)
	v_mul_hi_u32 v10, v5, v10
	v_add_nc_u32_e32 v5, v5, v10
	s_delay_alu instid0(VALU_DEP_1) | instskip(NEXT) | instid1(VALU_DEP_1)
	v_mul_hi_u32 v5, s0, v5
	v_mul_lo_u32 v10, v5, v4
	v_add_nc_u32_e32 v11, 1, v5
	s_delay_alu instid0(VALU_DEP_2) | instskip(SKIP_1) | instid1(VALU_DEP_1)
	v_sub_nc_u32_e32 v10, s0, v10
	s_abs_i32 s0, s12
	v_sub_nc_u32_e32 v16, v10, v4
	v_cmp_ge_u32_e32 vcc_lo, v10, v4
	s_delay_alu instid0(VALU_DEP_2) | instskip(SKIP_1) | instid1(VALU_DEP_2)
	v_dual_cndmask_b32 v5, v5, v11 :: v_dual_cndmask_b32 v10, v10, v16
	v_xor_b32_e32 v11, s16, v12
	v_add_nc_u32_e32 v12, 1, v5
	s_delay_alu instid0(VALU_DEP_3) | instskip(NEXT) | instid1(VALU_DEP_3)
	v_cmp_ge_u32_e32 vcc_lo, v10, v4
	v_ashrrev_i32_e32 v11, 31, v11
	s_delay_alu instid0(VALU_DEP_3) | instskip(NEXT) | instid1(VALU_DEP_1)
	v_cndmask_b32_e32 v4, v5, v12, vcc_lo
	v_xor_b32_e32 v4, v4, v11
	s_delay_alu instid0(VALU_DEP_1) | instskip(NEXT) | instid1(VALU_DEP_1)
	v_sub_nc_u32_e32 v5, v4, v11
	v_sub_nc_u32_e32 v4, 0, v5
	s_delay_alu instid0(VALU_DEP_1) | instskip(NEXT) | instid1(VALU_DEP_1)
	v_max_i32_e32 v4, v5, v4
	v_cvt_f32_u32_e32 v10, v4
	v_sub_nc_u32_e32 v11, 0, v4
	s_delay_alu instid0(VALU_DEP_2) | instskip(SKIP_2) | instid1(VALU_DEP_1)
	v_rcp_iflag_f32_e32 v10, v10
	s_waitcnt_depctr 0xfff
	v_mul_f32_e32 v10, 0x4f7ffffe, v10
	v_cvt_u32_f32_e32 v10, v10
	s_delay_alu instid0(VALU_DEP_1) | instskip(NEXT) | instid1(VALU_DEP_1)
	v_mul_lo_u32 v11, v11, v10
	v_mul_hi_u32 v11, v10, v11
	s_delay_alu instid0(VALU_DEP_1) | instskip(NEXT) | instid1(VALU_DEP_1)
	v_add_nc_u32_e32 v10, v10, v11
	v_mad_u64_u32 v[16:17], null, s0, v10, 0
	v_cmpx_ne_u64_e32 0, v[19:20]
	s_cbranch_execz .LBB197_3
; %bb.2:
	s_ashr_i32 s13, s12, 31
	s_delay_alu instid0(SALU_CYCLE_1) | instskip(NEXT) | instid1(SALU_CYCLE_1)
	s_lshl_b64 s[2:3], s[12:13], 2
	v_add_co_u32 v10, vcc_lo, v19, s2
	v_add_co_ci_u32_e32 v11, vcc_lo, s3, v20, vcc_lo
	flat_load_b32 v87, v[10:11]
.LBB197_3:
	s_or_b32 exec_lo, exec_lo, s1
	v_and_b32_e32 v140, 0x3ff, v31
	v_ashrrev_i32_e32 v5, 31, v5
	s_ashr_i32 s1, s12, 31
	s_mul_i32 s6, s12, 0x70
	s_mov_b32 s2, exec_lo
	v_cmpx_gt_u32_e32 14, v140
	s_cbranch_execz .LBB197_5
; %bb.4:
	v_mul_lo_u32 v10, s4, v21
	s_ashr_i32 s7, s6, 31
	v_lshlrev_b32_e32 v12, 4, v140
	s_lshl_b64 s[18:19], s[6:7], 1
	s_delay_alu instid0(VALU_DEP_2) | instskip(NEXT) | instid1(VALU_DEP_1)
	v_ashrrev_i32_e32 v11, 31, v10
	v_lshlrev_b64 v[10:11], 1, v[10:11]
	s_delay_alu instid0(VALU_DEP_1) | instskip(NEXT) | instid1(VALU_DEP_2)
	v_add_co_u32 v6, vcc_lo, v6, v10
	v_add_co_ci_u32_e32 v7, vcc_lo, v7, v11, vcc_lo
	s_delay_alu instid0(VALU_DEP_2) | instskip(NEXT) | instid1(VALU_DEP_2)
	v_add_co_u32 v6, vcc_lo, v6, s18
	v_add_co_ci_u32_e32 v7, vcc_lo, s19, v7, vcc_lo
	s_delay_alu instid0(VALU_DEP_2) | instskip(NEXT) | instid1(VALU_DEP_2)
	v_add_co_u32 v6, vcc_lo, v6, v12
	v_add_co_ci_u32_e32 v7, vcc_lo, 0, v7, vcc_lo
	flat_load_b128 v[24:27], v[6:7]
	s_waitcnt vmcnt(0) lgkmcnt(0)
	ds_store_b128 v12, v[24:27]
.LBB197_5:
	s_or_b32 exec_lo, exec_lo, s2
	v_mul_lo_u32 v6, v17, v4
	v_xor_b32_e32 v5, s1, v5
	s_clause 0x1
	s_load_b32 s13, s[8:9], 0x14
	s_load_b32 s7, s[8:9], 0x8
	v_lshrrev_b32_e32 v169, 5, v140
	s_lshl_b32 s3, s14, 4
	v_and_b32_e32 v171, 31, v140
	v_mov_b32_e32 v159, 0xff7fffff
	s_mov_b32 s8, exec_lo
	v_sub_nc_u32_e32 v6, s0, v6
	s_add_i32 s0, s3, 16
	v_add_nc_u32_e32 v20, s3, v169
	s_waitcnt vmcnt(0) lgkmcnt(0)
	s_waitcnt_vscnt null, 0x0
	s_barrier
	v_sub_nc_u32_e32 v11, v6, v4
	v_cmp_ge_u32_e32 vcc_lo, v6, v4
	v_add_nc_u32_e32 v7, 1, v17
	v_ashrrev_i32_e32 v21, 31, v20
	buffer_gl0_inv
	v_cndmask_b32_e32 v6, v6, v11, vcc_lo
	v_dual_cndmask_b32 v7, v17, v7 :: v_dual_add_nc_u32 v10, 31, v82
	s_delay_alu instid0(VALU_DEP_2) | instskip(NEXT) | instid1(VALU_DEP_2)
	v_cmp_ge_u32_e32 vcc_lo, v6, v4
	v_ashrrev_i32_e32 v12, 31, v10
	s_delay_alu instid0(VALU_DEP_3) | instskip(SKIP_1) | instid1(VALU_DEP_3)
	v_add_nc_u32_e32 v11, 1, v7
	v_mul_lo_u32 v4, s4, v18
	v_lshrrev_b32_e32 v12, 27, v12
	s_delay_alu instid0(VALU_DEP_1) | instskip(NEXT) | instid1(VALU_DEP_1)
	v_dual_cndmask_b32 v6, v7, v11 :: v_dual_add_nc_u32 v7, v10, v12
	v_xor_b32_e32 v6, v6, v5
	v_lshlrev_b32_e32 v10, 2, v171
	s_delay_alu instid0(VALU_DEP_3) | instskip(NEXT) | instid1(VALU_DEP_3)
	v_ashrrev_i32_e32 v37, 5, v7
	v_sub_nc_u32_e32 v6, v6, v5
	v_ashrrev_i32_e32 v5, 31, v4
	s_delay_alu instid0(VALU_DEP_3) | instskip(NEXT) | instid1(VALU_DEP_3)
	v_min_i32_e32 v84, s0, v37
	v_mul_lo_u32 v50, v6, v23
	s_delay_alu instid0(VALU_DEP_3) | instskip(NEXT) | instid1(VALU_DEP_3)
	v_lshlrev_b64 v[48:49], 2, v[4:5]
	v_cmp_ge_i32_e64 s0, v20, v84
	s_delay_alu instid0(VALU_DEP_3)
	v_ashrrev_i32_e32 v51, 31, v50
	v_cmpx_lt_i32_e64 v20, v84
	s_cbranch_execz .LBB197_9
; %bb.6:
	v_mov_b32_e32 v11, 0
	s_clause 0x9
	scratch_store_b32 off, v37, s32 offset:400
	scratch_store_b32 off, v2, s32 offset:388
	;; [unrolled: 1-line block ×10, first 2 shown]
	s_getpc_b64 s[18:19]
	s_add_u32 s18, s18, llvm.amdgcn.dynlds.offset.table@rel32@lo+4
	s_addc_u32 s19, s19, llvm.amdgcn.dynlds.offset.table@rel32@hi+12
	s_ashr_i32 s11, s10, 31
	v_sub_nc_u32_e32 v173, 1, v82
	ds_load_b128 v[4:7], v11
	ds_load_b128 v[16:19], v11 offset:16
	ds_load_b128 v[23:26], v11 offset:32
	;; [unrolled: 1-line block ×3, first 2 shown]
	s_lshl_b64 s[20:21], s[10:11], 2
	s_mov_b32 s9, 0
	s_add_u32 s18, s20, s18
	s_addc_u32 s19, s21, s19
	v_mov_b32_e32 v174, v20
	s_load_b32 s1, s[18:19], 0x0
	s_clause 0x1
	scratch_store_b32 off, v15, s32 offset:360
	scratch_store_b32 off, v14, s32 offset:364
	v_mov_b32_e32 v159, 0xff7fffff
	s_clause 0x1
	scratch_store_b64 off, v[48:49], s32 offset:392
	scratch_store_b64 off, v[50:51], s32 offset:404
	s_waitcnt lgkmcnt(0)
	v_bfi_b32 v0, 0xffff, 0, v4
	v_lshlrev_b32_e32 v101, 16, v5
	v_bfi_b32 v112, 0xffff, 0, v6
	v_lshlrev_b32_e32 v113, 16, v6
	v_bfi_b32 v116, 0xffff, 0, v7
	scratch_store_b32 off, v0, s32 offset:320 ; 4-byte Folded Spill
	v_lshlrev_b32_e32 v0, 16, v4
	v_lshlrev_b32_e32 v117, 16, v7
	v_bfi_b32 v102, 0xffff, 0, v17
	v_lshlrev_b32_e32 v103, 16, v17
	v_bfi_b32 v114, 0xffff, 0, v18
	scratch_store_b32 off, v0, s32 offset:324 ; 4-byte Folded Spill
	v_bfi_b32 v0, 0xffff, 0, v16
	v_lshlrev_b32_e32 v115, 16, v18
	v_bfi_b32 v118, 0xffff, 0, v19
	v_lshlrev_b32_e32 v119, 16, v19
	ds_load_b128 v[35:38], v11 offset:128
	scratch_store_b32 off, v0, s32 offset:328 ; 4-byte Folded Spill
	v_lshlrev_b32_e32 v0, 16, v16
	ds_load_b128 v[16:19], v11 offset:80
	v_bfi_b32 v144, 0xffff, 0, v27
	v_lshlrev_b32_e32 v145, 16, v27
	v_bfi_b32 v146, 0xffff, 0, v28
	scratch_store_b32 off, v0, s32 offset:332 ; 4-byte Folded Spill
	v_bfi_b32 v0, 0xffff, 0, v5
	ds_load_b128 v[4:7], v11 offset:64
	v_lshlrev_b32_e32 v147, 16, v28
	v_bfi_b32 v148, 0xffff, 0, v29
	v_lshlrev_b32_e32 v149, 16, v29
	v_bfi_b32 v150, 0xffff, 0, v30
	v_lshlrev_b32_e32 v151, 16, v30
	ds_load_b128 v[27:30], v11 offset:192
	v_bfi_b32 v128, 0xffff, 0, v23
	v_lshlrev_b32_e32 v129, 16, v23
	v_bfi_b32 v130, 0xffff, 0, v24
	v_lshlrev_b32_e32 v131, 16, v24
	;; [unrolled: 2-line block ×4, first 2 shown]
	ds_load_b128 v[23:26], v11 offset:96
	ds_load_b128 v[31:34], v11 offset:112
	s_waitcnt lgkmcnt(4)
	v_bfi_b32 v176, 0xffff, 0, v16
	v_lshlrev_b32_e32 v177, 16, v16
	v_bfi_b32 v183, 0xffff, 0, v17
	s_waitcnt lgkmcnt(3)
	v_bfi_b32 v160, 0xffff, 0, v4
	v_lshlrev_b32_e32 v161, 16, v4
	v_bfi_b32 v162, 0xffff, 0, v5
	v_lshlrev_b32_e32 v163, 16, v5
	;; [unrolled: 2-line block ×4, first 2 shown]
	ds_load_b128 v[4:7], v11 offset:144
	v_lshlrev_b32_e32 v40, 16, v17
	v_bfi_b32 v45, 0xffff, 0, v18
	v_lshlrev_b32_e32 v46, 16, v18
	v_bfi_b32 v47, 0xffff, 0, v19
	v_lshlrev_b32_e32 v56, 16, v19
	ds_load_b128 v[16:19], v11 offset:160
	s_waitcnt lgkmcnt(3)
	v_bfi_b32 v178, 0xffff, 0, v23
	v_lshlrev_b32_e32 v179, 16, v23
	v_bfi_b32 v41, 0xffff, 0, v24
	v_lshlrev_b32_e32 v42, 16, v24
	;; [unrolled: 2-line block ×4, first 2 shown]
	ds_load_b128 v[23:26], v11 offset:176
	scratch_store_b32 off, v0, s32 offset:336 ; 4-byte Folded Spill
	s_waitcnt lgkmcnt(3)
	v_bfi_b32 v180, 0xffff, 0, v31
	v_lshlrev_b32_e32 v181, 16, v31
	v_bfi_b32 v182, 0xffff, 0, v35
	s_waitcnt lgkmcnt(2)
	v_bfi_b32 v88, 0xffff, 0, v4
	v_lshlrev_b32_e32 v89, 16, v4
	v_bfi_b32 v90, 0xffff, 0, v5
	v_lshlrev_b32_e32 v91, 16, v5
	;; [unrolled: 2-line block ×4, first 2 shown]
	ds_load_b128 v[4:7], v11 offset:208
	s_clause 0x1
	scratch_store_b32 off, v169, s32 offset:352
	scratch_store_b32 off, v10, s32 offset:412
	v_bfi_b32 v43, 0xffff, 0, v32
	v_lshlrev_b32_e32 v44, 16, v32
	v_bfi_b32 v61, 0xffff, 0, v33
	v_lshlrev_b32_e32 v62, 16, v33
	;; [unrolled: 2-line block ×3, first 2 shown]
	v_lshlrev_b32_e32 v73, 16, v35
	v_bfi_b32 v74, 0xffff, 0, v36
	v_lshlrev_b32_e32 v75, 16, v36
	v_bfi_b32 v76, 0xffff, 0, v37
	;; [unrolled: 2-line block ×3, first 2 shown]
	v_lshlrev_b32_e32 v79, 16, v38
	s_waitcnt lgkmcnt(2)
	v_bfi_b32 v104, 0xffff, 0, v16
	v_lshlrev_b32_e32 v105, 16, v16
	v_bfi_b32 v106, 0xffff, 0, v17
	v_lshlrev_b32_e32 v107, 16, v17
	v_bfi_b32 v108, 0xffff, 0, v18
	s_waitcnt lgkmcnt(0)
	v_bfi_b32 v152, 0xffff, 0, v4
	v_lshlrev_b32_e32 v153, 16, v4
	v_bfi_b32 v154, 0xffff, 0, v5
	v_lshlrev_b32_e32 v155, 16, v5
	v_lshlrev_b64 v[4:5], 1, v[50:51]
	v_bfi_b32 v156, 0xffff, 0, v6
	v_lshlrev_b32_e32 v157, 16, v6
	v_bfi_b32 v158, 0xffff, 0, v7
	v_lshlrev_b32_e32 v168, 16, v7
	v_lshlrev_b64 v[6:7], 2, v[20:21]
	v_add_co_u32 v4, vcc_lo, v8, v4
	v_add_co_ci_u32_e32 v5, vcc_lo, v9, v5, vcc_lo
	v_lshlrev_b32_e32 v8, 4, v171
	s_delay_alu instid0(VALU_DEP_4) | instskip(SKIP_2) | instid1(VALU_DEP_3)
	v_add_co_u32 v6, vcc_lo, v48, v6
	v_add_co_ci_u32_e32 v7, vcc_lo, v49, v7, vcc_lo
	v_lshlrev_b32_e32 v109, 16, v18
	v_add_co_u32 v80, vcc_lo, v14, v6
	s_delay_alu instid0(VALU_DEP_3)
	v_add_co_ci_u32_e32 v81, vcc_lo, v15, v7, vcc_lo
	v_lshlrev_b32_e32 v6, 5, v169
	v_lshl_or_b32 v7, v169, 7, v10
	v_add_co_u32 v169, vcc_lo, v4, v8
	v_add_co_ci_u32_e32 v170, vcc_lo, 0, v5, vcc_lo
	v_bfi_b32 v110, 0xffff, 0, v19
	v_lshlrev_b32_e32 v111, 16, v19
	v_bfi_b32 v120, 0xffff, 0, v23
	v_lshlrev_b32_e32 v121, 16, v23
	;; [unrolled: 2-line block ×9, first 2 shown]
	v_cmp_neq_f32_e32 vcc_lo, 0, v87
	scratch_store_b32 off, v171, s32 offset:356 ; 4-byte Folded Spill
	v_add3_u32 v171, s17, v6, v171
	v_add_nc_u32_e32 v172, s1, v7
.LBB197_7:                              ; =>This Inner Loop Header: Depth=1
	flat_load_b32 v6, v[80:81]
	v_add_nc_u32_e32 v174, 4, v174
	s_waitcnt vmcnt(0) lgkmcnt(0)
	v_mad_i64_i32 v[4:5], null, v6, v175, 0
	s_delay_alu instid0(VALU_DEP_1) | instskip(NEXT) | instid1(VALU_DEP_1)
	v_lshlrev_b64 v[4:5], 1, v[4:5]
	v_add_co_u32 v27, s1, v169, v4
	s_delay_alu instid0(VALU_DEP_1)
	v_add_co_ci_u32_e64 v28, s1, v170, v5, s1
	v_cmp_lt_i32_e64 s1, v171, v82
	s_clause 0x2
	flat_load_b128 v[6:9], v[27:28] offset:3072
	flat_load_b128 v[16:19], v[27:28]
	flat_load_b128 v[23:26], v[27:28] offset:512
	scratch_load_b32 v0, off, s32 offset:332 ; 4-byte Folded Reload
	s_waitcnt vmcnt(2) lgkmcnt(1)
	v_and_b32_e32 v5, 0xffff0000, v16
	s_waitcnt vmcnt(1) lgkmcnt(0)
	v_lshlrev_b32_e32 v12, 16, v23
	s_waitcnt vmcnt(0)
	s_delay_alu instid0(VALU_DEP_1)
	v_dual_mul_f32 v184, v0, v12 :: v_dual_and_b32 v11, 0xffff0000, v23
	scratch_load_b32 v0, off, s32 offset:328 ; 4-byte Folded Reload
	s_waitcnt vmcnt(0)
	v_mul_f32_e32 v185, v0, v11
	scratch_load_b32 v0, off, s32 offset:320 ; 4-byte Folded Reload
	v_add_nc_u32_e32 v4, v173, v171
	v_and_b32_e32 v11, 0xffff0000, v24
	v_add_nc_u32_e32 v171, 0x80, v171
	s_delay_alu instid0(VALU_DEP_2) | instskip(SKIP_1) | instid1(VALU_DEP_1)
	v_mul_f32_e32 v187, v102, v11
	v_and_b32_e32 v11, 0xffff0000, v25
	v_dual_mul_f32 v189, v114, v11 :: v_dual_lshlrev_b32 v12, 16, v24
	s_waitcnt vmcnt(0)
	v_fmac_f32_e32 v185, v0, v5
	scratch_load_b32 v0, off, s32 offset:324 ; 4-byte Folded Reload
	v_cvt_f32_i32_e32 v4, v4
	s_delay_alu instid0(VALU_DEP_1) | instskip(NEXT) | instid1(VALU_DEP_1)
	v_dual_mul_f32 v4, v87, v4 :: v_dual_and_b32 v5, 0xffff0000, v17
	v_dual_mov_b32 v100, v175 :: v_dual_cndmask_b32 v175, 0, v4
	v_lshlrev_b32_e32 v4, 16, v16
	s_waitcnt vmcnt(0)
	s_delay_alu instid0(VALU_DEP_1)
	v_fmac_f32_e32 v184, v0, v4
	scratch_load_b32 v0, off, s32 offset:336 ; 4-byte Folded Reload
	v_lshlrev_b32_e32 v4, 16, v17
	s_waitcnt vmcnt(0)
	v_fmac_f32_e32 v187, v0, v5
	v_dual_mul_f32 v186, v103, v12 :: v_dual_and_b32 v5, 0xffff0000, v18
	v_lshlrev_b32_e32 v12, 16, v25
	s_delay_alu instid0(VALU_DEP_2) | instskip(NEXT) | instid1(VALU_DEP_2)
	v_dual_fmac_f32 v189, v112, v5 :: v_dual_fmac_f32 v186, v101, v4
	v_dual_mul_f32 v188, v115, v12 :: v_dual_and_b32 v5, 0xffff0000, v19
	v_lshlrev_b32_e32 v12, 16, v26
	s_delay_alu instid0(VALU_DEP_1) | instskip(NEXT) | instid1(VALU_DEP_1)
	v_dual_mul_f32 v190, v119, v12 :: v_dual_and_b32 v11, 0xffff0000, v26
	v_dual_mul_f32 v191, v118, v11 :: v_dual_lshlrev_b32 v4, 16, v18
	s_delay_alu instid0(VALU_DEP_1)
	v_dual_fmac_f32 v188, v113, v4 :: v_dual_fmac_f32 v191, v116, v5
	v_lshlrev_b32_e32 v4, 16, v19
	flat_load_b128 v[16:19], v[27:28] offset:1024
	s_waitcnt vmcnt(0) lgkmcnt(0)
	v_and_b32_e32 v10, 0xffff0000, v16
	v_lshlrev_b32_e32 v68, 16, v16
	v_and_b32_e32 v69, 0xffff0000, v17
	v_lshlrev_b32_e32 v14, 16, v17
	;; [unrolled: 2-line block ×4, first 2 shown]
	flat_load_b128 v[16:19], v[27:28] offset:1536
	v_dual_fmac_f32 v185, v128, v10 :: v_dual_fmac_f32 v184, v129, v68
	s_waitcnt vmcnt(0) lgkmcnt(0)
	v_dual_fmac_f32 v187, v130, v69 :: v_dual_and_b32 v70, 0xffff0000, v16
	v_lshlrev_b32_e32 v15, 16, v16
	v_lshlrev_b32_e32 v71, 16, v17
	v_and_b32_e32 v96, 0xffff0000, v17
	v_lshlrev_b32_e32 v1, 16, v18
	v_and_b32_e32 v0, 0xffff0000, v18
	v_and_b32_e32 v83, 0xffff0000, v19
	v_dual_fmac_f32 v185, v144, v70 :: v_dual_fmac_f32 v190, v117, v4
	v_lshlrev_b32_e32 v4, 16, v19
	s_clause 0x2
	flat_load_b128 v[16:19], v[27:28] offset:2048
	flat_load_b128 v[64:67], v[27:28] offset:2560
	;; [unrolled: 1-line block ×3, first 2 shown]
	s_waitcnt vmcnt(2) lgkmcnt(2)
	v_dual_fmac_f32 v184, v145, v15 :: v_dual_and_b32 v3, 0xffff0000, v16
	v_lshlrev_b32_e32 v2, 16, v16
	v_lshlrev_b32_e32 v97, 16, v17
	v_add_co_u32 v16, s2, 0x1000, v27
	s_delay_alu instid0(VALU_DEP_3)
	v_dual_fmac_f32 v185, v160, v3 :: v_dual_fmac_f32 v184, v161, v2
	s_waitcnt vmcnt(1) lgkmcnt(1)
	v_lshlrev_b32_e32 v2, 16, v64
	v_and_b32_e32 v3, 0xffff0000, v64
	v_and_b32_e32 v22, 0xffff0000, v17
	v_add_co_ci_u32_e64 v17, s2, 0, v28, s2
	s_delay_alu instid0(VALU_DEP_3) | instskip(SKIP_4) | instid1(VALU_DEP_4)
	v_dual_fmac_f32 v184, v177, v2 :: v_dual_fmac_f32 v185, v176, v3
	v_and_b32_e32 v2, 0xffff0000, v6
	v_lshlrev_b32_e32 v3, 16, v6
	v_and_b32_e32 v98, 0xffff0000, v18
	v_and_b32_e32 v86, 0xffff0000, v19
	v_dual_fmac_f32 v185, v178, v2 :: v_dual_lshlrev_b32 v12, 16, v19
	s_waitcnt vmcnt(0) lgkmcnt(0)
	v_dual_fmac_f32 v184, v179, v3 :: v_dual_and_b32 v3, 0xffff0000, v52
	v_dual_fmac_f32 v189, v132, v85 :: v_dual_lshlrev_b32 v2, 16, v52
	v_fmac_f32_e32 v191, v134, v39
	s_delay_alu instid0(VALU_DEP_3)
	v_dual_fmac_f32 v185, v180, v3 :: v_dual_fmac_f32 v186, v131, v14
	v_lshlrev_b32_e32 v99, 16, v18
	s_clause 0x5
	flat_load_b128 v[48:51], v[16:17]
	flat_load_b128 v[35:38], v[16:17] offset:512
	flat_load_b128 v[31:34], v[16:17] offset:1024
	;; [unrolled: 1-line block ×5, first 2 shown]
	v_fmac_f32_e32 v184, v181, v2
	v_fmac_f32_e32 v190, v135, v5
	;; [unrolled: 1-line block ×3, first 2 shown]
	s_waitcnt vmcnt(5) lgkmcnt(5)
	v_and_b32_e32 v2, 0xffff0000, v48
	v_lshlrev_b32_e32 v3, 16, v48
	s_delay_alu instid0(VALU_DEP_1) | instskip(SKIP_4) | instid1(VALU_DEP_2)
	v_dual_fmac_f32 v185, v182, v2 :: v_dual_fmac_f32 v184, v73, v3
	s_waitcnt vmcnt(4) lgkmcnt(4)
	v_lshlrev_b32_e32 v2, 16, v35
	v_and_b32_e32 v3, 0xffff0000, v35
	v_fmac_f32_e32 v188, v133, v11
	v_dual_fmac_f32 v184, v89, v2 :: v_dual_fmac_f32 v185, v88, v3
	s_waitcnt vmcnt(3) lgkmcnt(3)
	v_and_b32_e32 v2, 0xffff0000, v31
	v_lshlrev_b32_e32 v3, 16, v31
	v_fmac_f32_e32 v187, v146, v96
	s_delay_alu instid0(VALU_DEP_2) | instskip(SKIP_3) | instid1(VALU_DEP_2)
	v_dual_fmac_f32 v185, v104, v2 :: v_dual_fmac_f32 v184, v105, v3
	s_waitcnt vmcnt(2) lgkmcnt(2)
	v_dual_fmac_f32 v188, v149, v1 :: v_dual_and_b32 v3, 0xffff0000, v27
	v_dual_fmac_f32 v190, v151, v4 :: v_dual_and_b32 v1, 0xffff0000, v66
	v_fmac_f32_e32 v185, v120, v3
	v_dual_fmac_f32 v189, v148, v0 :: v_dual_lshlrev_b32 v2, 16, v27
	s_waitcnt vmcnt(1) lgkmcnt(1)
	v_lshlrev_b32_e32 v3, 16, v23
	v_fmac_f32_e32 v188, v165, v99
	v_lshlrev_b32_e32 v0, 16, v66
	v_fmac_f32_e32 v189, v164, v98
	v_fmac_f32_e32 v184, v121, v2
	v_and_b32_e32 v2, 0xffff0000, v23
	v_fmac_f32_e32 v191, v150, v83
	s_delay_alu instid0(VALU_DEP_4) | instskip(NEXT) | instid1(VALU_DEP_3)
	v_dual_fmac_f32 v188, v46, v0 :: v_dual_fmac_f32 v189, v45, v1
	v_dual_fmac_f32 v184, v137, v3 :: v_dual_fmac_f32 v185, v136, v2
	s_waitcnt vmcnt(0) lgkmcnt(0)
	v_lshlrev_b32_e32 v2, 16, v16
	v_dual_fmac_f32 v186, v163, v97 :: v_dual_and_b32 v3, 0xffff0000, v16
	v_dual_fmac_f32 v187, v162, v22 :: v_dual_and_b32 v0, 0xffff0000, v8
	v_fmac_f32_e32 v191, v166, v86
	s_delay_alu instid0(VALU_DEP_3) | instskip(NEXT) | instid1(VALU_DEP_3)
	v_dual_fmac_f32 v185, v152, v3 :: v_dual_fmac_f32 v184, v153, v2
	v_dual_fmac_f32 v189, v57, v0 :: v_dual_lshlrev_b32 v2, 16, v65
	v_and_b32_e32 v3, 0xffff0000, v65
	v_lshlrev_b32_e32 v1, 16, v8
	v_lshlrev_b32_e32 v0, 16, v54
	s_delay_alu instid0(VALU_DEP_4)
	v_fmac_f32_e32 v186, v40, v2
	v_fmac_f32_e32 v190, v167, v12
	;; [unrolled: 1-line block ×3, first 2 shown]
	v_dual_fmac_f32 v188, v58, v1 :: v_dual_lshlrev_b32 v3, 16, v7
	v_and_b32_e32 v1, 0xffff0000, v54
	v_and_b32_e32 v2, 0xffff0000, v7
	s_delay_alu instid0(VALU_DEP_2) | instskip(NEXT) | instid1(VALU_DEP_2)
	v_dual_fmac_f32 v188, v62, v0 :: v_dual_fmac_f32 v189, v61, v1
	v_dual_fmac_f32 v186, v42, v3 :: v_dual_fmac_f32 v187, v41, v2
	v_and_b32_e32 v3, 0xffff0000, v53
	v_and_b32_e32 v0, 0xffff0000, v50
	v_lshlrev_b32_e32 v1, 16, v50
	s_delay_alu instid0(VALU_DEP_3) | instskip(NEXT) | instid1(VALU_DEP_2)
	v_dual_fmac_f32 v187, v43, v3 :: v_dual_lshlrev_b32 v2, 16, v53
	v_dual_fmac_f32 v189, v76, v0 :: v_dual_fmac_f32 v188, v77, v1
	v_lshlrev_b32_e32 v0, 16, v37
	s_delay_alu instid0(VALU_DEP_3) | instskip(NEXT) | instid1(VALU_DEP_2)
	v_dual_fmac_f32 v186, v44, v2 :: v_dual_and_b32 v1, 0xffff0000, v37
	v_dual_fmac_f32 v188, v93, v0 :: v_dual_lshlrev_b32 v3, 16, v49
	s_delay_alu instid0(VALU_DEP_2) | instskip(SKIP_2) | instid1(VALU_DEP_2)
	v_fmac_f32_e32 v189, v92, v1
	v_and_b32_e32 v0, 0xffff0000, v33
	v_lshlrev_b32_e32 v1, 16, v33
	v_dual_fmac_f32 v189, v108, v0 :: v_dual_and_b32 v2, 0xffff0000, v49
	s_delay_alu instid0(VALU_DEP_1) | instskip(NEXT) | instid1(VALU_DEP_3)
	v_dual_fmac_f32 v186, v75, v3 :: v_dual_fmac_f32 v187, v74, v2
	v_dual_fmac_f32 v188, v109, v1 :: v_dual_and_b32 v3, 0xffff0000, v36
	v_lshlrev_b32_e32 v0, 16, v29
	v_and_b32_e32 v1, 0xffff0000, v29
	s_delay_alu instid0(VALU_DEP_3) | instskip(NEXT) | instid1(VALU_DEP_2)
	v_dual_fmac_f32 v187, v90, v3 :: v_dual_lshlrev_b32 v2, 16, v36
	v_dual_fmac_f32 v188, v125, v0 :: v_dual_fmac_f32 v189, v124, v1
	v_and_b32_e32 v0, 0xffff0000, v25
	s_delay_alu instid0(VALU_DEP_3) | instskip(SKIP_1) | instid1(VALU_DEP_2)
	v_dual_fmac_f32 v186, v91, v2 :: v_dual_lshlrev_b32 v1, 16, v25
	v_lshlrev_b32_e32 v3, 16, v32
	v_dual_fmac_f32 v189, v140, v0 :: v_dual_fmac_f32 v188, v141, v1
	v_and_b32_e32 v1, 0xffff0000, v18
	v_and_b32_e32 v2, 0xffff0000, v32
	s_delay_alu instid0(VALU_DEP_2) | instskip(NEXT) | instid1(VALU_DEP_2)
	v_dual_fmac_f32 v189, v156, v1 :: v_dual_lshlrev_b32 v0, 16, v18
	v_dual_fmac_f32 v186, v107, v3 :: v_dual_fmac_f32 v187, v106, v2
	v_lshlrev_b32_e32 v2, 16, v28
	v_and_b32_e32 v3, 0xffff0000, v28
	s_delay_alu instid0(VALU_DEP_4) | instskip(SKIP_1) | instid1(VALU_DEP_4)
	v_fmac_f32_e32 v188, v157, v0
	v_lshlrev_b32_e32 v0, 16, v67
	v_dual_fmac_f32 v186, v123, v2 :: v_dual_and_b32 v1, 0xffff0000, v67
	s_delay_alu instid0(VALU_DEP_4) | instskip(NEXT) | instid1(VALU_DEP_2)
	v_dual_fmac_f32 v187, v122, v3 :: v_dual_and_b32 v2, 0xffff0000, v24
	v_dual_fmac_f32 v190, v56, v0 :: v_dual_fmac_f32 v191, v47, v1
	v_and_b32_e32 v0, 0xffff0000, v9
	v_lshlrev_b32_e32 v1, 16, v9
	v_lshlrev_b32_e32 v3, 16, v24
	v_dual_fmac_f32 v187, v138, v2 :: v_dual_lshlrev_b32 v2, 16, v17
	s_delay_alu instid0(VALU_DEP_3) | instskip(NEXT) | instid1(VALU_DEP_3)
	v_dual_fmac_f32 v191, v59, v0 :: v_dual_fmac_f32 v190, v60, v1
	v_fmac_f32_e32 v186, v139, v3
	v_lshlrev_b32_e32 v0, 16, v55
	s_delay_alu instid0(VALU_DEP_2) | instskip(NEXT) | instid1(VALU_DEP_1)
	v_dual_fmac_f32 v186, v155, v2 :: v_dual_and_b32 v3, 0xffff0000, v17
	v_dual_fmac_f32 v190, v72, v0 :: v_dual_fmac_f32 v187, v154, v3
	v_and_b32_e32 v1, 0xffff0000, v55
	s_delay_alu instid0(VALU_DEP_1) | instskip(SKIP_1) | instid1(VALU_DEP_1)
	v_dual_fmac_f32 v191, v63, v1 :: v_dual_and_b32 v0, 0xffff0000, v51
	v_lshlrev_b32_e32 v1, 16, v51
	v_dual_fmac_f32 v191, v78, v0 :: v_dual_fmac_f32 v190, v79, v1
	v_lshlrev_b32_e32 v0, 16, v38
	s_delay_alu instid0(VALU_DEP_1) | instskip(NEXT) | instid1(VALU_DEP_1)
	v_dual_fmac_f32 v190, v95, v0 :: v_dual_and_b32 v1, 0xffff0000, v38
	v_dual_fmac_f32 v191, v94, v1 :: v_dual_and_b32 v0, 0xffff0000, v34
	v_lshlrev_b32_e32 v1, 16, v34
	s_delay_alu instid0(VALU_DEP_1) | instskip(SKIP_1) | instid1(VALU_DEP_1)
	v_dual_fmac_f32 v191, v110, v0 :: v_dual_fmac_f32 v190, v111, v1
	v_lshlrev_b32_e32 v0, 16, v30
	v_dual_fmac_f32 v190, v127, v0 :: v_dual_and_b32 v1, 0xffff0000, v30
	s_delay_alu instid0(VALU_DEP_1) | instskip(SKIP_1) | instid1(VALU_DEP_1)
	v_dual_fmac_f32 v191, v126, v1 :: v_dual_and_b32 v0, 0xffff0000, v26
	v_lshlrev_b32_e32 v1, 16, v26
	v_dual_fmac_f32 v191, v142, v0 :: v_dual_fmac_f32 v190, v143, v1
	v_lshlrev_b32_e32 v0, 16, v19
	s_delay_alu instid0(VALU_DEP_1) | instskip(SKIP_1) | instid1(VALU_DEP_2)
	v_dual_fmac_f32 v190, v168, v0 :: v_dual_and_b32 v1, 0xffff0000, v19
	v_add_f32_e32 v0, v184, v185
	v_fmac_f32_e32 v191, v158, v1
	s_delay_alu instid0(VALU_DEP_2) | instskip(NEXT) | instid1(VALU_DEP_1)
	v_dual_max_f32 v1, v159, v159 :: v_dual_add_f32 v0, v0, v186
	v_add_f32_e32 v0, v187, v0
	s_delay_alu instid0(VALU_DEP_1) | instskip(NEXT) | instid1(VALU_DEP_1)
	v_add_f32_e32 v0, v188, v0
	v_add_f32_e32 v0, v189, v0
	s_delay_alu instid0(VALU_DEP_1) | instskip(NEXT) | instid1(VALU_DEP_1)
	v_add_f32_e32 v0, v190, v0
	v_add_f32_e32 v0, v191, v0
	s_delay_alu instid0(VALU_DEP_1) | instskip(NEXT) | instid1(VALU_DEP_1)
	v_fmac_f32_e32 v175, v0, v13
	v_max_f32_e32 v1, v1, v175
	v_cndmask_b32_e64 v0, 0, v175, s1
	v_mov_b32_e32 v175, v100
	s_delay_alu instid0(VALU_DEP_3) | instskip(SKIP_1) | instid1(VALU_DEP_1)
	v_cndmask_b32_e64 v159, v159, v1, s1
	v_add_co_u32 v80, s1, v80, 16
	v_add_co_ci_u32_e64 v81, s1, 0, v81, s1
	v_cmp_ge_i32_e64 s1, v174, v84
	ds_store_b32 v172, v0
	v_add_nc_u32_e32 v172, 0x200, v172
	s_or_b32 s9, s1, s9
	s_delay_alu instid0(SALU_CYCLE_1)
	s_and_not1_b32 exec_lo, exec_lo, s9
	s_cbranch_execnz .LBB197_7
; %bb.8:
	s_or_b32 exec_lo, exec_lo, s9
	s_clause 0x10
	scratch_load_b32 v138, off, s32 offset:340
	scratch_load_b32 v139, off, s32 offset:344
	;; [unrolled: 1-line block ×13, first 2 shown]
	scratch_load_b64 v[48:49], off, s32 offset:392
	scratch_load_b32 v37, off, s32 offset:400
	scratch_load_b64 v[50:51], off, s32 offset:404
	scratch_load_b32 v10, off, s32 offset:412
.LBB197_9:
	s_or_b32 exec_lo, exec_lo, s8
	v_mbcnt_lo_u32_b32 v4, -1, 0
	s_lshr_b32 s8, s13, 16
	v_max_f32_e32 v8, v159, v159
	s_delay_alu instid0(VALU_DEP_2) | instskip(SKIP_2) | instid1(VALU_DEP_3)
	v_xor_b32_e32 v5, 16, v4
	v_xor_b32_e32 v7, 8, v4
	;; [unrolled: 1-line block ×3, first 2 shown]
	v_cmp_gt_i32_e32 vcc_lo, 32, v5
	v_cndmask_b32_e32 v5, v4, v5, vcc_lo
	s_delay_alu instid0(VALU_DEP_4) | instskip(NEXT) | instid1(VALU_DEP_2)
	v_cmp_gt_i32_e32 vcc_lo, 32, v7
	v_dual_cndmask_b32 v7, v4, v7 :: v_dual_lshlrev_b32 v6, 2, v5
	v_cmp_gt_i32_e32 vcc_lo, 32, v9
	ds_bpermute_b32 v5, v6, v159
	v_lshlrev_b32_e32 v7, 2, v7
	v_cndmask_b32_e32 v9, v4, v9, vcc_lo
	s_waitcnt lgkmcnt(0)
	v_max_f32_e32 v5, v5, v5
	s_delay_alu instid0(VALU_DEP_1) | instskip(SKIP_3) | instid1(VALU_DEP_1)
	v_max_f32_e32 v5, v8, v5
	ds_bpermute_b32 v8, v7, v5
	s_waitcnt lgkmcnt(0)
	v_dual_max_f32 v11, v8, v8 :: v_dual_lshlrev_b32 v8, 2, v9
	v_max_f32_e32 v5, v5, v11
	v_xor_b32_e32 v11, 2, v4
	ds_bpermute_b32 v9, v8, v5
	v_cmp_gt_i32_e32 vcc_lo, 32, v11
	v_cndmask_b32_e32 v11, v4, v11, vcc_lo
	s_delay_alu instid0(VALU_DEP_1) | instskip(SKIP_1) | instid1(VALU_DEP_1)
	v_lshlrev_b32_e32 v16, 2, v11
	v_xor_b32_e32 v11, 1, v4
	v_cmp_gt_i32_e32 vcc_lo, 32, v11
	s_waitcnt lgkmcnt(0)
	v_max_f32_e32 v9, v9, v9
	v_cndmask_b32_e32 v11, v4, v11, vcc_lo
	s_waitcnt vmcnt(12)
	v_cmp_eq_u32_e32 vcc_lo, 0, v171
	s_delay_alu instid0(VALU_DEP_3) | instskip(NEXT) | instid1(VALU_DEP_3)
	v_max_f32_e32 v5, v5, v9
	v_lshlrev_b32_e32 v13, 2, v11
	ds_bpermute_b32 v9, v16, v5
	s_waitcnt lgkmcnt(0)
	v_max_f32_e32 v9, v9, v9
	s_delay_alu instid0(VALU_DEP_1)
	v_max_f32_e32 v4, v5, v9
	v_lshlrev_b32_e32 v9, 2, v169
	ds_bpermute_b32 v5, v13, v4
	s_and_saveexec_b32 s1, vcc_lo
	s_cbranch_execz .LBB197_11
; %bb.10:
	s_waitcnt lgkmcnt(0)
	v_dual_max_f32 v0, v5, v5 :: v_dual_max_f32 v1, v4, v4
	s_delay_alu instid0(VALU_DEP_1)
	v_max_f32_e32 v0, v1, v0
	ds_store_b32 v9, v0 offset:224
.LBB197_11:
	s_or_b32 exec_lo, exec_lo, s1
	v_cmp_gt_u32_e64 s1, 4, v171
	v_mov_b32_e32 v4, 0xff7fffff
	s_waitcnt vmcnt(0) lgkmcnt(0)
	s_waitcnt_vscnt null, 0x0
	s_barrier
	buffer_gl0_inv
	s_and_saveexec_b32 s2, s1
	s_cbranch_execz .LBB197_13
; %bb.12:
	ds_load_b32 v4, v10 offset:224
.LBB197_13:
	s_or_b32 exec_lo, exec_lo, s2
	s_waitcnt lgkmcnt(0)
	ds_bpermute_b32 v0, v16, v4
	v_max_f32_e32 v1, v4, v4
	v_subrev_nc_u32_e32 v4, s3, v84
	s_waitcnt lgkmcnt(0)
	v_dual_mov_b32 v11, 0 :: v_dual_max_f32 v0, v0, v0
	s_delay_alu instid0(VALU_DEP_1) | instskip(SKIP_3) | instid1(VALU_DEP_1)
	v_max_f32_e32 v0, v1, v0
	ds_bpermute_b32 v1, v13, v0
	s_waitcnt lgkmcnt(0)
	v_max_f32_e32 v1, v1, v1
	v_max_f32_e32 v0, v0, v1
	v_lshl_add_u32 v1, v4, 5, s17
	ds_bpermute_b32 v4, v11, v0
	v_min_i32_e32 v0, v1, v82
	s_delay_alu instid0(VALU_DEP_1) | instskip(NEXT) | instid1(VALU_DEP_1)
	v_subrev_nc_u32_e32 v5, s17, v0
	v_cmp_lt_i32_e64 s2, v140, v5
	s_delay_alu instid0(VALU_DEP_1)
	s_and_saveexec_b32 s9, s2
	s_cbranch_execz .LBB197_17
; %bb.14:
	s_getpc_b64 s[18:19]
	s_add_u32 s18, s18, llvm.amdgcn.dynlds.offset.table@rel32@lo+4
	s_addc_u32 s19, s19, llvm.amdgcn.dynlds.offset.table@rel32@hi+12
	s_ashr_i32 s11, s10, 31
	v_mov_b32_e32 v11, 0
	s_lshl_b64 s[20:21], s[10:11], 2
	v_mov_b32_e32 v17, v140
	s_add_u32 s18, s20, s18
	s_addc_u32 s19, s21, s19
	s_mov_b32 s11, 0
	s_load_b32 s3, s[18:19], 0x0
	s_waitcnt lgkmcnt(0)
	v_lshl_add_u32 v12, v140, 2, s3
	.p2align	6
.LBB197_15:                             ; =>This Inner Loop Header: Depth=1
	ds_load_b32 v0, v12
	v_add_nc_u32_e32 v17, 0x80, v17
	s_delay_alu instid0(VALU_DEP_1) | instskip(NEXT) | instid1(VALU_DEP_1)
	v_cmp_ge_i32_e64 s3, v17, v5
	s_or_b32 s11, s3, s11
	s_waitcnt lgkmcnt(0)
	v_sub_f32_e32 v0, v0, v4
	s_delay_alu instid0(VALU_DEP_1) | instskip(NEXT) | instid1(VALU_DEP_1)
	v_mul_f32_e32 v0, 0x3fb8aa3b, v0
	v_exp_f32_e32 v0, v0
	ds_store_b32 v12, v0
	v_add_f32_e32 v11, v11, v0
	v_add_nc_u32_e32 v12, 0x200, v12
	s_and_not1_b32 exec_lo, exec_lo, s11
	s_cbranch_execnz .LBB197_15
; %bb.16:
	s_or_b32 exec_lo, exec_lo, s11
.LBB197_17:
	s_delay_alu instid0(SALU_CYCLE_1)
	s_or_b32 exec_lo, exec_lo, s9
	ds_bpermute_b32 v0, v6, v11
	s_waitcnt lgkmcnt(0)
	v_add_f32_e32 v0, v11, v0
	ds_bpermute_b32 v1, v7, v0
	s_waitcnt lgkmcnt(0)
	v_add_f32_e32 v0, v0, v1
	;; [unrolled: 3-line block ×5, first 2 shown]
	s_and_saveexec_b32 s3, vcc_lo
	s_cbranch_execz .LBB197_19
; %bb.18:
	ds_store_b32 v9, v6 offset:240
.LBB197_19:
	s_or_b32 exec_lo, exec_lo, s3
	s_waitcnt lgkmcnt(0)
	s_barrier
	buffer_gl0_inv
	s_and_saveexec_b32 s3, s1
	s_cbranch_execz .LBB197_21
; %bb.20:
	ds_load_b32 v6, v10 offset:240
.LBB197_21:
	s_or_b32 exec_lo, exec_lo, s3
	s_waitcnt lgkmcnt(0)
	ds_bpermute_b32 v0, v16, v6
	s_waitcnt lgkmcnt(0)
	v_add_f32_e32 v0, v6, v0
	ds_bpermute_b32 v1, v13, v0
	s_waitcnt lgkmcnt(0)
	v_dual_add_f32 v0, v0, v1 :: v_dual_mov_b32 v1, 0
	ds_bpermute_b32 v6, v1, v0
	s_and_saveexec_b32 s1, s2
	s_cbranch_execz .LBB197_24
; %bb.22:
	s_waitcnt lgkmcnt(0)
	v_add_f32_e32 v0, 0x358637bd, v6
	s_getpc_b64 s[2:3]
	s_add_u32 s2, s2, llvm.amdgcn.dynlds.offset.table@rel32@lo+4
	s_addc_u32 s3, s3, llvm.amdgcn.dynlds.offset.table@rel32@hi+12
	s_ashr_i32 s11, s10, 31
	s_delay_alu instid0(SALU_CYCLE_1) | instskip(SKIP_3) | instid1(VALU_DEP_2)
	s_lshl_b64 s[18:19], s[10:11], 2
	v_div_scale_f32 v1, null, v0, v0, 1.0
	v_div_scale_f32 v7, vcc_lo, 1.0, v0, 1.0
	s_add_u32 s2, s18, s2
	v_rcp_f32_e32 v10, v1
	s_addc_u32 s3, s19, s3
	s_load_b32 s2, s[2:3], 0x0
	s_waitcnt_depctr 0xfff
	v_fma_f32 v8, -v1, v10, 1.0
	s_delay_alu instid0(VALU_DEP_1) | instskip(NEXT) | instid1(VALU_DEP_1)
	v_fmac_f32_e32 v10, v8, v10
	v_mul_f32_e32 v9, v7, v10
	s_delay_alu instid0(VALU_DEP_1) | instskip(NEXT) | instid1(VALU_DEP_1)
	v_fma_f32 v8, -v1, v9, v7
	v_fmac_f32_e32 v9, v8, v10
	s_delay_alu instid0(VALU_DEP_1) | instskip(SKIP_3) | instid1(VALU_DEP_2)
	v_fma_f32 v1, -v1, v9, v7
	s_waitcnt lgkmcnt(0)
	v_lshl_add_u32 v7, v140, 2, s2
	s_mov_b32 s2, 0
	v_div_fmas_f32 v1, v1, v10, v9
	v_mov_b32_e32 v9, v140
	s_delay_alu instid0(VALU_DEP_2)
	v_div_fixup_f32 v8, v1, v0, 1.0
.LBB197_23:                             ; =>This Inner Loop Header: Depth=1
	ds_load_b32 v0, v7
	s_waitcnt lgkmcnt(0)
	v_dual_mul_f32 v0, v8, v0 :: v_dual_add_nc_u32 v9, 0x80, v9
	s_delay_alu instid0(VALU_DEP_1) | instskip(SKIP_3) | instid1(SALU_CYCLE_1)
	v_cmp_ge_i32_e32 vcc_lo, v9, v5
	ds_store_b32 v7, v0
	v_add_nc_u32_e32 v7, 0x200, v7
	s_or_b32 s2, vcc_lo, s2
	s_and_not1_b32 exec_lo, exec_lo, s2
	s_cbranch_execnz .LBB197_23
.LBB197_24:
	s_or_b32 exec_lo, exec_lo, s1
	v_cmp_ne_u16_e64 s1, s8, 0
	s_mov_b32 s2, exec_lo
	s_waitcnt lgkmcnt(0)
	s_barrier
	buffer_gl0_inv
	s_cmp_lg_u32 s1, 0
	s_addc_u32 s1, s7, 0
	v_cmpx_eq_u32_e32 0, v140
	s_cbranch_execz .LBB197_26
; %bb.25:
	s_mul_i32 s3, s1, s4
	s_mul_i32 s8, s1, s12
	;; [unrolled: 1-line block ×3, first 2 shown]
	s_ashr_i32 s9, s8, 31
	s_ashr_i32 s15, s14, 31
	;; [unrolled: 1-line block ×3, first 2 shown]
	s_lshl_b64 s[8:9], s[8:9], 2
	s_lshl_b64 s[18:19], s[14:15], 2
	;; [unrolled: 1-line block ×3, first 2 shown]
	s_add_u32 s3, s18, s8
	s_addc_u32 s7, s19, s9
	s_add_u32 s3, s3, s12
	s_addc_u32 s7, s7, s13
	v_add_co_u32 v2, vcc_lo, s3, v2
	v_add_co_ci_u32_e32 v3, vcc_lo, s7, v3, vcc_lo
	v_add_co_u32 v0, vcc_lo, s3, v29
	v_add_co_ci_u32_e32 v1, vcc_lo, s7, v28, vcc_lo
	flat_store_b32 v[2:3], v4
	flat_store_b32 v[0:1], v6
.LBB197_26:
	s_or_b32 exec_lo, exec_lo, s2
                                        ; implicit-def: $sgpr3
	s_and_saveexec_b32 s2, s0
	s_delay_alu instid0(SALU_CYCLE_1)
	s_xor_b32 s0, exec_lo, s2
; %bb.27:
	s_ashr_i32 s11, s10, 31
	s_mov_b32 s3, 0
                                        ; implicit-def: $vgpr82
                                        ; implicit-def: $vgpr37
                                        ; implicit-def: $vgpr84
                                        ; implicit-def: $vgpr20
                                        ; implicit-def: $vgpr35
                                        ; implicit-def: $vgpr22
                                        ; implicit-def: $vgpr14
                                        ; implicit-def: $vgpr15
                                        ; implicit-def: $vgpr175
                                        ; implicit-def: $vgpr50
                                        ; implicit-def: $vgpr48_vgpr49
; %bb.28:
	s_or_saveexec_b32 s2, s0
	v_dual_mov_b32 v31, s3 :: v_dual_mov_b32 v0, s10
	v_dual_mov_b32 v1, s11 :: v_dual_mov_b32 v34, s3
	v_dual_mov_b32 v32, s3 :: v_dual_and_b32 v17, 3, v140
	v_dual_mov_b32 v33, s3 :: v_dual_mov_b32 v30, s3
	v_dual_mov_b32 v29, s3 :: v_dual_mov_b32 v28, s3
	;; [unrolled: 1-line block ×5, first 2 shown]
	v_mov_b32_e32 v19, s3
	s_xor_b32 exec_lo, exec_lo, s2
	s_cbranch_execz .LBB197_540
; %bb.29:
	s_getpc_b64 s[8:9]
	s_add_u32 s8, s8, llvm.amdgcn.dynlds.offset.table@rel32@lo+4
	s_addc_u32 s9, s9, llvm.amdgcn.dynlds.offset.table@rel32@hi+12
	s_ashr_i32 s11, s10, 31
	v_lshlrev_b64 v[0:1], 1, v[50:51]
	s_lshl_b64 s[12:13], s[10:11], 2
	v_dual_mov_b32 v25, 0 :: v_dual_lshlrev_b32 v10, 5, v17
	s_add_u32 s8, s12, s8
	s_addc_u32 s9, s13, s9
	s_delay_alu instid0(VALU_DEP_2)
	v_add_co_u32 v35, vcc_lo, v35, v0
	s_load_b32 s0, s[8:9], 0x0
	v_add_co_ci_u32_e32 v36, vcc_lo, v22, v1, vcc_lo
	v_lshlrev_b64 v[0:1], 2, v[20:21]
	v_lshlrev_b32_e32 v2, 3, v140
	v_lshl_or_b32 v19, v169, 7, v10
	v_lshl_add_u32 v12, v169, 5, s17
	v_dual_mov_b32 v24, 0 :: v_dual_add_nc_u32 v37, -1, v37
	v_add_co_u32 v0, vcc_lo, v48, v0
	v_add_co_ci_u32_e32 v1, vcc_lo, v49, v1, vcc_lo
	v_mov_b32_e32 v34, 0
	s_delay_alu instid0(VALU_DEP_3) | instskip(NEXT) | instid1(VALU_DEP_3)
	v_add_co_u32 v10, vcc_lo, v14, v0
	v_add_co_ci_u32_e32 v11, vcc_lo, v15, v1, vcc_lo
	v_dual_mov_b32 v23, 0 :: v_dual_mov_b32 v18, 0
	s_waitcnt lgkmcnt(0)
	v_dual_mov_b32 v26, 0 :: v_dual_add_nc_u32 v15, s0, v19
	v_mov_b32_e32 v19, 0
	v_and_b32_e32 v3, 24, v2
	v_and_b32_e32 v2, 0xf8, v2
	v_mov_b32_e32 v28, 0
	s_mov_b32 s3, 0
	v_mov_b32_e32 v27, 0
	v_add3_u32 v14, v12, v3, 7
	v_or_b32_e32 v4, 0x800, v2
	v_or_b32_e32 v5, 0x900, v2
	;; [unrolled: 1-line block ×6, first 2 shown]
	v_lshlrev_b32_e32 v21, 1, v2
	v_lshlrev_b32_e32 v38, 1, v4
	v_dual_mov_b32 v29, 0 :: v_dual_lshlrev_b32 v48, 1, v5
	v_dual_mov_b32 v30, 0 :: v_dual_lshlrev_b32 v49, 1, v6
	;; [unrolled: 1-line block ×5, first 2 shown]
	s_branch .LBB197_31
.LBB197_30:                             ;   in Loop: Header=BB197_31 Depth=1
	s_or_b32 exec_lo, exec_lo, s0
	v_and_b32_e32 v83, 0xffff0000, v83
	v_and_b32_e32 v4, 0xffff0000, v4
	;; [unrolled: 1-line block ×5, first 2 shown]
	s_delay_alu instid0(VALU_DEP_4) | instskip(SKIP_2) | instid1(VALU_DEP_4)
	v_dual_add_f32 v4, v4, v83 :: v_dual_and_b32 v99, 0xffff0000, v104
	v_and_b32_e32 v22, 0xffff0000, v127
	v_and_b32_e32 v103, 0xffff0000, v95
	v_add_f32_e32 v85, v86, v85
	v_and_b32_e32 v86, 0xffff0000, v137
	v_and_b32_e32 v87, 0xffff0000, v110
	v_add_f32_e32 v5, v5, v22
	v_and_b32_e32 v101, 0xffff0000, v94
	v_dual_add_f32 v99, v103, v99 :: v_dual_and_b32 v102, 0xffff0000, v93
	v_and_b32_e32 v83, 0xffff0000, v122
	s_delay_alu instid0(VALU_DEP_4) | instskip(SKIP_4) | instid1(VALU_DEP_4)
	v_add_f32_e32 v5, v85, v5
	v_and_b32_e32 v96, 0xffff0000, v109
	v_and_b32_e32 v22, 0xffff0000, v136
	v_and_b32_e32 v7, 0xffff0000, v7
	v_and_b32_e32 v70, 0xffff0000, v70
	v_dual_add_f32 v4, v5, v4 :: v_dual_add_f32 v87, v96, v87
	s_delay_alu instid0(VALU_DEP_4) | instskip(SKIP_2) | instid1(VALU_DEP_3)
	v_dual_add_f32 v22, v22, v86 :: v_dual_and_b32 v5, 0xffff0000, v120
	v_and_b32_e32 v86, 0xffff0000, v111
	v_add_f32_e32 v96, v102, v101
	v_dual_add_f32 v4, v4, v22 :: v_dual_and_b32 v101, 0xffff0000, v105
	s_delay_alu instid0(VALU_DEP_3) | instskip(SKIP_2) | instid1(VALU_DEP_4)
	v_dual_add_f32 v5, v86, v5 :: v_dual_and_b32 v98, 0xffff0000, v124
	v_and_b32_e32 v68, 0xffff0000, v68
	v_and_b32_e32 v67, 0xffff0000, v67
	v_add_f32_e32 v19, v19, v4
	v_and_b32_e32 v69, 0xffff0000, v69
	v_dual_add_f32 v5, v87, v5 :: v_dual_and_b32 v86, 0xffff0000, v106
	v_and_b32_e32 v85, 0xffff0000, v121
	v_add_f32_e32 v87, v96, v99
	v_dual_add_f32 v67, v67, v68 :: v_dual_and_b32 v54, 0xffff0000, v54
	s_delay_alu instid0(VALU_DEP_4) | instskip(NEXT) | instid1(VALU_DEP_4)
	v_add_f32_e32 v86, v101, v86
	v_dual_add_f32 v83, v85, v83 :: v_dual_and_b32 v96, 0xffff0000, v108
	v_and_b32_e32 v101, 0xffff0000, v63
	v_and_b32_e32 v85, 0xffff0000, v107
	;; [unrolled: 1-line block ×3, first 2 shown]
	s_delay_alu instid0(VALU_DEP_4) | instskip(SKIP_3) | instid1(VALU_DEP_3)
	v_add_f32_e32 v5, v5, v83
	v_and_b32_e32 v97, 0xffff0000, v123
	v_add_f32_e32 v83, v87, v86
	v_dual_add_f32 v85, v85, v96 :: v_dual_and_b32 v86, 0xffff0000, v77
	v_dual_add_f32 v22, v97, v98 :: v_dual_and_b32 v87, 0xffff0000, v79
	v_and_b32_e32 v97, 0xffff0000, v91
	v_and_b32_e32 v98, 0xffff0000, v92
	;; [unrolled: 1-line block ×3, first 2 shown]
	s_delay_alu instid0(VALU_DEP_4) | instskip(SKIP_3) | instid1(VALU_DEP_4)
	v_dual_add_f32 v4, v5, v22 :: v_dual_and_b32 v9, 0xffff0000, v9
	v_dual_add_f32 v5, v83, v85 :: v_dual_and_b32 v22, 0xffff0000, v90
	v_and_b32_e32 v85, 0xffff0000, v78
	v_and_b32_e32 v8, 0xffff0000, v8
	v_add_f32_e32 v23, v23, v4
	v_and_b32_e32 v12, 0xffff0000, v12
	v_add_f32_e32 v24, v24, v5
	v_dual_add_f32 v85, v86, v85 :: v_dual_and_b32 v86, 0xffff0000, v72
	v_and_b32_e32 v1, 0xffff0000, v1
	v_and_b32_e32 v39, 0xffff0000, v39
	;; [unrolled: 1-line block ×3, first 2 shown]
	v_add_co_u32 v10, s0, v10, 16
	v_dual_add_f32 v86, v101, v86 :: v_dual_and_b32 v83, 0xffff0000, v88
	v_and_b32_e32 v96, 0xffff0000, v89
	v_dual_add_f32 v1, v1, v12 :: v_dual_and_b32 v6, 0xffff0000, v6
	v_add_co_ci_u32_e64 v11, s0, 0, v11, s0
	s_delay_alu instid0(VALU_DEP_3) | instskip(SKIP_1) | instid1(VALU_DEP_4)
	v_dual_add_f32 v83, v87, v83 :: v_dual_add_f32 v22, v96, v22
	v_and_b32_e32 v96, 0xffff0000, v73
	v_dual_add_f32 v6, v6, v7 :: v_dual_and_b32 v87, 0xffff0000, v62
	s_delay_alu instid0(VALU_DEP_3) | instskip(SKIP_3) | instid1(VALU_DEP_3)
	v_add_f32_e32 v83, v85, v83
	v_and_b32_e32 v85, 0xffff0000, v74
	v_and_b32_e32 v99, 0xffff0000, v61
	v_dual_add_f32 v68, v69, v70 :: v_dual_add_nc_u32 v15, 0x200, v15
	v_dual_add_f32 v22, v83, v22 :: v_dual_add_f32 v85, v96, v85
	s_delay_alu instid0(VALU_DEP_3) | instskip(SKIP_3) | instid1(VALU_DEP_4)
	v_add_f32_e32 v87, v99, v87
	v_add_f32_e32 v83, v97, v98
	v_and_b32_e32 v97, 0xffff0000, v75
	v_and_b32_e32 v96, 0xffff0000, v135
	v_dual_add_f32 v86, v87, v86 :: v_dual_and_b32 v69, 0xffff0000, v71
	s_delay_alu instid0(VALU_DEP_4) | instskip(SKIP_1) | instid1(VALU_DEP_2)
	v_dual_add_f32 v4, v22, v83 :: v_dual_and_b32 v87, 0xffff0000, v76
	v_dual_add_f32 v8, v8, v9 :: v_dual_and_b32 v83, 0xffff0000, v56
	v_dual_add_f32 v5, v86, v85 :: v_dual_add_f32 v22, v97, v87
	v_and_b32_e32 v85, 0xffff0000, v47
	s_delay_alu instid0(VALU_DEP_4) | instskip(NEXT) | instid1(VALU_DEP_3)
	v_dual_add_f32 v25, v25, v4 :: v_dual_and_b32 v86, 0xffff0000, v41
	v_dual_add_f32 v4, v5, v22 :: v_dual_and_b32 v87, 0xffff0000, v177
	v_and_b32_e32 v5, 0xffff0000, v58
	s_delay_alu instid0(VALU_DEP_4) | instskip(SKIP_1) | instid1(VALU_DEP_4)
	v_dual_add_f32 v7, v85, v83 :: v_dual_and_b32 v22, 0xffff0000, v57
	v_and_b32_e32 v83, 0xffff0000, v60
	v_add_f32_e32 v26, v26, v4
	v_and_b32_e32 v4, 0xffff0000, v59
	s_delay_alu instid0(VALU_DEP_4)
	v_add_f32_e32 v6, v6, v7
	v_add_f32_e32 v5, v22, v5
	v_and_b32_e32 v7, 0xffff0000, v42
	v_and_b32_e32 v22, 0xffff0000, v40
	v_add_f32_e32 v4, v4, v83
	v_and_b32_e32 v83, 0xffff0000, v43
	v_and_b32_e32 v97, 0xffff0000, v145
	v_add_f32_e32 v7, v86, v7
	v_dual_add_f32 v5, v6, v5 :: v_dual_and_b32 v86, 0xffff0000, v167
	v_dual_add_f32 v9, v53, v54 :: v_dual_and_b32 v6, 0xffff0000, v44
	v_and_b32_e32 v53, 0xffff0000, v80
	v_and_b32_e32 v70, 0xffff0000, v134
	s_delay_alu instid0(VALU_DEP_4) | instskip(NEXT) | instid1(VALU_DEP_4)
	v_add_f32_e32 v4, v5, v4
	v_dual_add_f32 v6, v83, v6 :: v_dual_and_b32 v83, 0xffff0000, v176
	v_and_b32_e32 v5, 0xffff0000, v45
	s_delay_alu instid0(VALU_DEP_3) | instskip(NEXT) | instid1(VALU_DEP_3)
	v_dual_add_f32 v8, v8, v9 :: v_dual_add_f32 v27, v27, v4
	v_dual_add_f32 v83, v86, v83 :: v_dual_and_b32 v0, 0xffff0000, v0
	v_and_b32_e32 v85, 0xffff0000, v183
	v_and_b32_e32 v86, 0xffff0000, v161
	;; [unrolled: 1-line block ×3, first 2 shown]
	s_delay_alu instid0(VALU_DEP_4)
	v_add_f32_e32 v0, v0, v39
	v_add_nc_u32_e32 v14, 0x80, v14
	v_add_f32_e32 v22, v85, v22
	v_and_b32_e32 v85, 0xffff0000, v46
	v_add_nc_u32_e32 v20, 4, v20
	v_add_f32_e32 v0, v0, v1
	v_add_f32_e32 v1, v2, v53
	v_dual_add_f32 v7, v22, v7 :: v_dual_and_b32 v22, 0xffff0000, v178
	v_add_f32_e32 v5, v5, v85
	v_and_b32_e32 v85, 0xffff0000, v179
	v_and_b32_e32 v2, 0xffff0000, v81
	s_delay_alu instid0(VALU_DEP_4) | instskip(SKIP_2) | instid1(VALU_DEP_3)
	v_dual_add_f32 v6, v7, v6 :: v_dual_and_b32 v7, 0xffff0000, v180
	v_add_f32_e32 v22, v87, v22
	v_dual_add_f32 v0, v0, v1 :: v_dual_and_b32 v87, 0xffff0000, v182
	v_dual_add_f32 v4, v6, v5 :: v_dual_add_f32 v7, v85, v7
	s_delay_alu instid0(VALU_DEP_3) | instskip(SKIP_2) | instid1(VALU_DEP_4)
	v_add_f32_e32 v6, v83, v22
	v_and_b32_e32 v22, 0xffff0000, v162
	v_and_b32_e32 v83, 0xffff0000, v160
	v_dual_add_f32 v28, v28, v4 :: v_dual_and_b32 v85, 0xffff0000, v151
	s_delay_alu instid0(VALU_DEP_4) | instskip(NEXT) | instid1(VALU_DEP_2)
	v_dual_add_f32 v6, v6, v7 :: v_dual_and_b32 v7, 0xffff0000, v164
	v_dual_add_f32 v22, v86, v22 :: v_dual_add_f32 v83, v85, v83
	v_and_b32_e32 v85, 0xffff0000, v163
	v_dual_add_f32 v1, v3, v2 :: v_dual_and_b32 v86, 0xffff0000, v165
	v_cmp_ge_i32_e32 vcc_lo, v20, v84
	s_delay_alu instid0(VALU_DEP_3) | instskip(SKIP_1) | instid1(VALU_DEP_4)
	v_dual_add_f32 v22, v83, v22 :: v_dual_add_f32 v7, v85, v7
	v_and_b32_e32 v83, 0xffff0000, v146
	v_dual_add_f32 v0, v0, v1 :: v_dual_and_b32 v85, 0xffff0000, v144
	s_or_b32 s3, vcc_lo, s3
	s_delay_alu instid0(VALU_DEP_3) | instskip(NEXT) | instid1(VALU_DEP_3)
	v_add_f32_e32 v7, v22, v7
	v_add_f32_e32 v83, v97, v83
	s_delay_alu instid0(VALU_DEP_3) | instskip(NEXT) | instid1(VALU_DEP_1)
	v_dual_add_f32 v85, v96, v85 :: v_dual_add_f32 v18, v18, v0
	v_dual_add_f32 v4, v85, v83 :: v_dual_and_b32 v5, 0xffff0000, v181
	v_and_b32_e32 v83, 0xffff0000, v119
	v_and_b32_e32 v85, 0xffff0000, v129
	s_delay_alu instid0(VALU_DEP_3) | instskip(SKIP_1) | instid1(VALU_DEP_2)
	v_add_f32_e32 v5, v5, v87
	v_and_b32_e32 v87, 0xffff0000, v166
	v_add_f32_e32 v5, v6, v5
	s_delay_alu instid0(VALU_DEP_2) | instskip(SKIP_2) | instid1(VALU_DEP_3)
	v_add_f32_e32 v22, v86, v87
	v_and_b32_e32 v86, 0xffff0000, v148
	v_and_b32_e32 v87, 0xffff0000, v147
	v_dual_add_f32 v29, v29, v5 :: v_dual_add_f32 v6, v7, v22
	v_and_b32_e32 v5, 0xffff0000, v149
	s_delay_alu instid0(VALU_DEP_3) | instskip(SKIP_1) | instid1(VALU_DEP_4)
	v_dual_add_f32 v7, v87, v86 :: v_dual_and_b32 v22, 0xffff0000, v128
	v_and_b32_e32 v86, 0xffff0000, v131
	v_add_f32_e32 v30, v30, v6
	v_and_b32_e32 v6, 0xffff0000, v150
	s_delay_alu instid0(VALU_DEP_4) | instskip(SKIP_1) | instid1(VALU_DEP_3)
	v_dual_add_f32 v4, v4, v7 :: v_dual_and_b32 v7, 0xffff0000, v130
	v_dual_add_f32 v22, v83, v22 :: v_dual_and_b32 v83, 0xffff0000, v133
	;; [unrolled: 1-line block ×3, first 2 shown]
	s_delay_alu instid0(VALU_DEP_1) | instskip(SKIP_1) | instid1(VALU_DEP_2)
	v_dual_add_f32 v7, v85, v7 :: v_dual_add_f32 v4, v4, v5
	v_add_f32_e32 v5, v67, v68
	v_dual_add_f32 v7, v22, v7 :: v_dual_and_b32 v22, 0xffff0000, v100
	s_delay_alu instid0(VALU_DEP_4) | instskip(SKIP_2) | instid1(VALU_DEP_4)
	v_dual_add_f32 v6, v86, v6 :: v_dual_and_b32 v67, 0xffff0000, v117
	v_and_b32_e32 v68, 0xffff0000, v118
	v_add_f32_e32 v32, v32, v4
	v_add_f32_e32 v22, v69, v22
	s_delay_alu instid0(VALU_DEP_4) | instskip(SKIP_1) | instid1(VALU_DEP_3)
	v_add_f32_e32 v6, v7, v6
	v_add_f32_e32 v7, v83, v70
	v_dual_add_f32 v12, v67, v68 :: v_dual_add_f32 v5, v5, v22
	v_and_b32_e32 v22, 0xffff0000, v64
	v_and_b32_e32 v64, 0xffff0000, v65
	s_delay_alu instid0(VALU_DEP_4) | instskip(NEXT) | instid1(VALU_DEP_4)
	v_dual_add_f32 v2, v6, v7 :: v_dual_and_b32 v65, 0xffff0000, v66
	v_add_f32_e32 v3, v5, v12
	s_delay_alu instid0(VALU_DEP_4) | instskip(NEXT) | instid1(VALU_DEP_2)
	v_add_f32_e32 v9, v55, v22
	v_dual_add_f32 v33, v33, v2 :: v_dual_add_f32 v34, v34, v3
	s_delay_alu instid0(VALU_DEP_2) | instskip(SKIP_1) | instid1(VALU_DEP_1)
	v_add_f32_e32 v8, v8, v9
	v_add_f32_e32 v9, v64, v65
	;; [unrolled: 1-line block ×3, first 2 shown]
	s_delay_alu instid0(VALU_DEP_1)
	v_add_f32_e32 v31, v31, v4
	s_and_not1_b32 exec_lo, exec_lo, s3
	s_cbranch_execz .LBB197_539
.LBB197_31:                             ; =>This Inner Loop Header: Depth=1
	flat_load_b32 v65, v[10:11]
	ds_load_2addr_b64 v[6:9], v15 offset1:1
	ds_load_2addr_b64 v[0:3], v15 offset0:2 offset1:3
	s_mov_b32 s0, exec_lo
                                        ; implicit-def: $vgpr64
	s_waitcnt lgkmcnt(1)
	v_and_b32_e32 v4, 0x7f800000, v6
	s_delay_alu instid0(VALU_DEP_1)
	v_cmpx_ne_u32_e32 0x7f800000, v4
	s_xor_b32 s0, exec_lo, s0
; %bb.32:                               ;   in Loop: Header=BB197_31 Depth=1
	v_bfe_u32 v4, v6, 16, 1
	s_delay_alu instid0(VALU_DEP_1)
	v_add3_u32 v64, v6, v4, 0x7fff
; %bb.33:                               ;   in Loop: Header=BB197_31 Depth=1
	s_and_not1_saveexec_b32 s0, s0
; %bb.34:                               ;   in Loop: Header=BB197_31 Depth=1
	v_and_b32_e32 v4, 0xffff, v6
	v_or_b32_e32 v5, 0x10000, v6
	s_delay_alu instid0(VALU_DEP_2) | instskip(NEXT) | instid1(VALU_DEP_2)
	v_cmp_eq_u32_e32 vcc_lo, 0, v4
	v_cndmask_b32_e32 v64, v5, v6, vcc_lo
; %bb.35:                               ;   in Loop: Header=BB197_31 Depth=1
	s_or_b32 exec_lo, exec_lo, s0
	v_and_b32_e32 v4, 0x7f800000, v7
	s_mov_b32 s0, exec_lo
                                        ; implicit-def: $vgpr55
	s_delay_alu instid0(VALU_DEP_1)
	v_cmpx_ne_u32_e32 0x7f800000, v4
	s_xor_b32 s0, exec_lo, s0
; %bb.36:                               ;   in Loop: Header=BB197_31 Depth=1
	v_bfe_u32 v4, v7, 16, 1
	s_delay_alu instid0(VALU_DEP_1)
	v_add3_u32 v55, v7, v4, 0x7fff
; %bb.37:                               ;   in Loop: Header=BB197_31 Depth=1
	s_and_not1_saveexec_b32 s0, s0
; %bb.38:                               ;   in Loop: Header=BB197_31 Depth=1
	v_and_b32_e32 v4, 0xffff, v7
	v_or_b32_e32 v5, 0x10000, v7
	s_delay_alu instid0(VALU_DEP_2) | instskip(NEXT) | instid1(VALU_DEP_2)
	v_cmp_eq_u32_e32 vcc_lo, 0, v4
	v_cndmask_b32_e32 v55, v5, v7, vcc_lo
; %bb.39:                               ;   in Loop: Header=BB197_31 Depth=1
	s_or_b32 exec_lo, exec_lo, s0
	v_and_b32_e32 v4, 0x7f800000, v8
	s_mov_b32 s0, exec_lo
                                        ; implicit-def: $vgpr53
	s_delay_alu instid0(VALU_DEP_1)
	v_cmpx_ne_u32_e32 0x7f800000, v4
	s_xor_b32 s0, exec_lo, s0
; %bb.40:                               ;   in Loop: Header=BB197_31 Depth=1
	v_bfe_u32 v4, v8, 16, 1
	s_delay_alu instid0(VALU_DEP_1)
	v_add3_u32 v53, v8, v4, 0x7fff
; %bb.41:                               ;   in Loop: Header=BB197_31 Depth=1
	s_and_not1_saveexec_b32 s0, s0
; %bb.42:                               ;   in Loop: Header=BB197_31 Depth=1
	v_and_b32_e32 v4, 0xffff, v8
	v_or_b32_e32 v5, 0x10000, v8
	s_delay_alu instid0(VALU_DEP_2) | instskip(NEXT) | instid1(VALU_DEP_2)
	v_cmp_eq_u32_e32 vcc_lo, 0, v4
	v_cndmask_b32_e32 v53, v5, v8, vcc_lo
; %bb.43:                               ;   in Loop: Header=BB197_31 Depth=1
	s_or_b32 exec_lo, exec_lo, s0
	v_and_b32_e32 v4, 0x7f800000, v9
	s_mov_b32 s0, exec_lo
                                        ; implicit-def: $vgpr54
	s_delay_alu instid0(VALU_DEP_1)
	v_cmpx_ne_u32_e32 0x7f800000, v4
	s_xor_b32 s0, exec_lo, s0
; %bb.44:                               ;   in Loop: Header=BB197_31 Depth=1
	v_bfe_u32 v4, v9, 16, 1
	s_delay_alu instid0(VALU_DEP_1)
	v_add3_u32 v54, v9, v4, 0x7fff
                                        ; implicit-def: $vgpr6_vgpr7_vgpr8_vgpr9
; %bb.45:                               ;   in Loop: Header=BB197_31 Depth=1
	s_and_not1_saveexec_b32 s0, s0
; %bb.46:                               ;   in Loop: Header=BB197_31 Depth=1
	v_and_b32_e32 v4, 0xffff, v9
	v_or_b32_e32 v5, 0x10000, v9
	s_delay_alu instid0(VALU_DEP_2) | instskip(NEXT) | instid1(VALU_DEP_2)
	v_cmp_eq_u32_e32 vcc_lo, 0, v4
	v_cndmask_b32_e32 v54, v5, v9, vcc_lo
; %bb.47:                               ;   in Loop: Header=BB197_31 Depth=1
	s_or_b32 exec_lo, exec_lo, s0
	s_waitcnt lgkmcnt(0)
	v_and_b32_e32 v4, 0x7f800000, v0
	s_mov_b32 s0, exec_lo
                                        ; implicit-def: $vgpr39
	s_delay_alu instid0(VALU_DEP_1)
	v_cmpx_ne_u32_e32 0x7f800000, v4
	s_xor_b32 s0, exec_lo, s0
; %bb.48:                               ;   in Loop: Header=BB197_31 Depth=1
	v_bfe_u32 v4, v0, 16, 1
	s_delay_alu instid0(VALU_DEP_1)
	v_add3_u32 v39, v0, v4, 0x7fff
; %bb.49:                               ;   in Loop: Header=BB197_31 Depth=1
	s_and_not1_saveexec_b32 s0, s0
; %bb.50:                               ;   in Loop: Header=BB197_31 Depth=1
	v_and_b32_e32 v4, 0xffff, v0
	v_or_b32_e32 v5, 0x10000, v0
	s_delay_alu instid0(VALU_DEP_2) | instskip(NEXT) | instid1(VALU_DEP_2)
	v_cmp_eq_u32_e32 vcc_lo, 0, v4
	v_cndmask_b32_e32 v39, v5, v0, vcc_lo
; %bb.51:                               ;   in Loop: Header=BB197_31 Depth=1
	s_or_b32 exec_lo, exec_lo, s0
	v_and_b32_e32 v0, 0x7f800000, v1
	s_mov_b32 s0, exec_lo
                                        ; implicit-def: $vgpr12
	s_delay_alu instid0(VALU_DEP_1)
	v_cmpx_ne_u32_e32 0x7f800000, v0
	s_xor_b32 s0, exec_lo, s0
; %bb.52:                               ;   in Loop: Header=BB197_31 Depth=1
	v_bfe_u32 v0, v1, 16, 1
	s_delay_alu instid0(VALU_DEP_1)
	v_add3_u32 v12, v1, v0, 0x7fff
; %bb.53:                               ;   in Loop: Header=BB197_31 Depth=1
	s_and_not1_saveexec_b32 s0, s0
; %bb.54:                               ;   in Loop: Header=BB197_31 Depth=1
	v_and_b32_e32 v0, 0xffff, v1
	v_or_b32_e32 v4, 0x10000, v1
	s_delay_alu instid0(VALU_DEP_2) | instskip(NEXT) | instid1(VALU_DEP_2)
	v_cmp_eq_u32_e32 vcc_lo, 0, v0
	v_cndmask_b32_e32 v12, v4, v1, vcc_lo
; %bb.55:                               ;   in Loop: Header=BB197_31 Depth=1
	s_or_b32 exec_lo, exec_lo, s0
	v_and_b32_e32 v0, 0x7f800000, v2
	s_mov_b32 s0, exec_lo
                                        ; implicit-def: $vgpr5
	s_delay_alu instid0(VALU_DEP_1)
	v_cmpx_ne_u32_e32 0x7f800000, v0
	s_xor_b32 s0, exec_lo, s0
; %bb.56:                               ;   in Loop: Header=BB197_31 Depth=1
	v_bfe_u32 v0, v2, 16, 1
	s_delay_alu instid0(VALU_DEP_1)
	v_add3_u32 v5, v2, v0, 0x7fff
; %bb.57:                               ;   in Loop: Header=BB197_31 Depth=1
	s_and_not1_saveexec_b32 s0, s0
; %bb.58:                               ;   in Loop: Header=BB197_31 Depth=1
	v_and_b32_e32 v0, 0xffff, v2
	v_or_b32_e32 v1, 0x10000, v2
	s_delay_alu instid0(VALU_DEP_2) | instskip(NEXT) | instid1(VALU_DEP_2)
	v_cmp_eq_u32_e32 vcc_lo, 0, v0
	v_cndmask_b32_e32 v5, v1, v2, vcc_lo
; %bb.59:                               ;   in Loop: Header=BB197_31 Depth=1
	s_or_b32 exec_lo, exec_lo, s0
	v_and_b32_e32 v0, 0x7f800000, v3
	s_mov_b32 s0, exec_lo
                                        ; implicit-def: $vgpr4
	s_delay_alu instid0(VALU_DEP_1)
	v_cmpx_ne_u32_e32 0x7f800000, v0
	s_xor_b32 s0, exec_lo, s0
; %bb.60:                               ;   in Loop: Header=BB197_31 Depth=1
	v_bfe_u32 v0, v3, 16, 1
	s_delay_alu instid0(VALU_DEP_1)
	v_add3_u32 v4, v3, v0, 0x7fff
                                        ; implicit-def: $vgpr0_vgpr1_vgpr2_vgpr3
; %bb.61:                               ;   in Loop: Header=BB197_31 Depth=1
	s_and_not1_saveexec_b32 s0, s0
; %bb.62:                               ;   in Loop: Header=BB197_31 Depth=1
	v_and_b32_e32 v0, 0xffff, v3
	v_or_b32_e32 v1, 0x10000, v3
	s_delay_alu instid0(VALU_DEP_2) | instskip(NEXT) | instid1(VALU_DEP_2)
	v_cmp_eq_u32_e32 vcc_lo, 0, v0
	v_cndmask_b32_e32 v4, v1, v3, vcc_lo
; %bb.63:                               ;   in Loop: Header=BB197_31 Depth=1
	s_or_b32 exec_lo, exec_lo, s0
	s_waitcnt vmcnt(0)
	v_mad_i64_i32 v[0:1], null, v65, v175, 0
	v_add_nc_u32_e32 v80, -7, v14
	v_add_nc_u32_e32 v97, -6, v14
	;; [unrolled: 1-line block ×6, first 2 shown]
	v_lshlrev_b64 v[0:1], 1, v[0:1]
	v_add_nc_u32_e32 v96, -1, v14
	s_delay_alu instid0(VALU_DEP_2) | instskip(NEXT) | instid1(VALU_DEP_3)
	v_add_co_u32 v98, vcc_lo, v35, v0
	v_add_co_ci_u32_e32 v99, vcc_lo, v36, v1, vcc_lo
	s_delay_alu instid0(VALU_DEP_2) | instskip(NEXT) | instid1(VALU_DEP_2)
	v_add_co_u32 v6, vcc_lo, v98, v21
	v_add_co_ci_u32_e32 v7, vcc_lo, 0, v99, vcc_lo
	v_cmp_eq_u32_e32 vcc_lo, v37, v20
	flat_load_b128 v[0:3], v[6:7]
	s_waitcnt vmcnt(0) lgkmcnt(0)
	v_lshrrev_b32_e32 v9, 16, v0
	v_lshrrev_b32_e32 v67, 16, v1
	;; [unrolled: 1-line block ×4, first 2 shown]
	s_and_saveexec_b32 s7, vcc_lo
	s_cbranch_execz .LBB197_65
; %bb.64:                               ;   in Loop: Header=BB197_31 Depth=1
	v_cmp_lt_i32_e64 s0, v80, v82
	s_delay_alu instid0(VALU_DEP_1) | instskip(SKIP_1) | instid1(VALU_DEP_1)
	v_cndmask_b32_e64 v0, 0, v0, s0
	v_cmp_lt_i32_e64 s0, v97, v82
	v_cndmask_b32_e64 v9, 0, v9, s0
	v_cmp_lt_i32_e64 s0, v87, v82
	s_delay_alu instid0(VALU_DEP_1) | instskip(SKIP_1) | instid1(VALU_DEP_1)
	v_cndmask_b32_e64 v1, 0, v1, s0
	v_cmp_lt_i32_e64 s0, v86, v82
	v_cndmask_b32_e64 v67, 0, v67, s0
	;; [unrolled: 5-line block ×4, first 2 shown]
.LBB197_65:                             ;   in Loop: Header=BB197_31 Depth=1
	s_or_b32 exec_lo, exec_lo, s7
	v_and_b32_e32 v101, 0xffff0000, v64
	v_lshlrev_b32_e32 v0, 16, v0
	s_delay_alu instid0(VALU_DEP_1) | instskip(NEXT) | instid1(VALU_DEP_1)
	v_mul_f32_e32 v0, v101, v0
	v_and_b32_e32 v8, 0x7f800000, v0
	s_delay_alu instid0(VALU_DEP_1) | instskip(NEXT) | instid1(VALU_DEP_1)
	v_cmp_ne_u32_e64 s0, 0x7f800000, v8
                                        ; implicit-def: $vgpr8
	s_and_saveexec_b32 s7, s0
	s_delay_alu instid0(SALU_CYCLE_1)
	s_xor_b32 s0, exec_lo, s7
; %bb.66:                               ;   in Loop: Header=BB197_31 Depth=1
	v_bfe_u32 v8, v0, 16, 1
	s_delay_alu instid0(VALU_DEP_1)
	v_add3_u32 v8, v0, v8, 0x7fff
                                        ; implicit-def: $vgpr0
; %bb.67:                               ;   in Loop: Header=BB197_31 Depth=1
	s_and_not1_saveexec_b32 s7, s0
; %bb.68:                               ;   in Loop: Header=BB197_31 Depth=1
	v_and_b32_e32 v8, 0xffff, v0
	v_or_b32_e32 v22, 0x10000, v0
	s_delay_alu instid0(VALU_DEP_2) | instskip(NEXT) | instid1(VALU_DEP_1)
	v_cmp_eq_u32_e64 s0, 0, v8
	v_cndmask_b32_e64 v8, v22, v0, s0
; %bb.69:                               ;   in Loop: Header=BB197_31 Depth=1
	s_or_b32 exec_lo, exec_lo, s7
	v_and_b32_e32 v102, 0xffff0000, v55
	v_lshlrev_b32_e32 v0, 16, v9
	s_delay_alu instid0(VALU_DEP_1) | instskip(NEXT) | instid1(VALU_DEP_1)
	v_mul_f32_e32 v0, v102, v0
	v_and_b32_e32 v9, 0x7f800000, v0
	s_delay_alu instid0(VALU_DEP_1) | instskip(NEXT) | instid1(VALU_DEP_1)
	v_cmp_ne_u32_e64 s0, 0x7f800000, v9
                                        ; implicit-def: $vgpr9
	s_and_saveexec_b32 s7, s0
	s_delay_alu instid0(SALU_CYCLE_1)
	s_xor_b32 s0, exec_lo, s7
; %bb.70:                               ;   in Loop: Header=BB197_31 Depth=1
	v_bfe_u32 v9, v0, 16, 1
	s_delay_alu instid0(VALU_DEP_1)
	v_add3_u32 v9, v0, v9, 0x7fff
                                        ; implicit-def: $vgpr0
; %bb.71:                               ;   in Loop: Header=BB197_31 Depth=1
	s_and_not1_saveexec_b32 s7, s0
; %bb.72:                               ;   in Loop: Header=BB197_31 Depth=1
	v_and_b32_e32 v9, 0xffff, v0
	v_or_b32_e32 v22, 0x10000, v0
	s_delay_alu instid0(VALU_DEP_2) | instskip(NEXT) | instid1(VALU_DEP_1)
	v_cmp_eq_u32_e64 s0, 0, v9
	v_cndmask_b32_e64 v9, v22, v0, s0
; %bb.73:                               ;   in Loop: Header=BB197_31 Depth=1
	s_or_b32 exec_lo, exec_lo, s7
	v_and_b32_e32 v103, 0xffff0000, v53
	v_lshlrev_b32_e32 v0, 16, v1
                                        ; implicit-def: $vgpr53
	s_delay_alu instid0(VALU_DEP_1) | instskip(NEXT) | instid1(VALU_DEP_1)
	v_mul_f32_e32 v0, v103, v0
	v_and_b32_e32 v1, 0x7f800000, v0
	s_delay_alu instid0(VALU_DEP_1) | instskip(NEXT) | instid1(VALU_DEP_1)
	v_cmp_ne_u32_e64 s0, 0x7f800000, v1
	s_and_saveexec_b32 s7, s0
	s_delay_alu instid0(SALU_CYCLE_1)
	s_xor_b32 s0, exec_lo, s7
; %bb.74:                               ;   in Loop: Header=BB197_31 Depth=1
	v_bfe_u32 v1, v0, 16, 1
	s_delay_alu instid0(VALU_DEP_1)
	v_add3_u32 v53, v0, v1, 0x7fff
                                        ; implicit-def: $vgpr0
; %bb.75:                               ;   in Loop: Header=BB197_31 Depth=1
	s_and_not1_saveexec_b32 s7, s0
; %bb.76:                               ;   in Loop: Header=BB197_31 Depth=1
	v_and_b32_e32 v1, 0xffff, v0
	v_or_b32_e32 v22, 0x10000, v0
	s_delay_alu instid0(VALU_DEP_2) | instskip(NEXT) | instid1(VALU_DEP_1)
	v_cmp_eq_u32_e64 s0, 0, v1
	v_cndmask_b32_e64 v53, v22, v0, s0
; %bb.77:                               ;   in Loop: Header=BB197_31 Depth=1
	s_or_b32 exec_lo, exec_lo, s7
	v_and_b32_e32 v112, 0xffff0000, v54
	v_lshlrev_b32_e32 v0, 16, v67
                                        ; implicit-def: $vgpr54
	s_delay_alu instid0(VALU_DEP_1) | instskip(NEXT) | instid1(VALU_DEP_1)
	v_mul_f32_e32 v0, v112, v0
	v_and_b32_e32 v1, 0x7f800000, v0
	s_delay_alu instid0(VALU_DEP_1) | instskip(NEXT) | instid1(VALU_DEP_1)
	v_cmp_ne_u32_e64 s0, 0x7f800000, v1
	s_and_saveexec_b32 s7, s0
	s_delay_alu instid0(SALU_CYCLE_1)
	s_xor_b32 s0, exec_lo, s7
; %bb.78:                               ;   in Loop: Header=BB197_31 Depth=1
	v_bfe_u32 v1, v0, 16, 1
	s_delay_alu instid0(VALU_DEP_1)
	v_add3_u32 v54, v0, v1, 0x7fff
                                        ; implicit-def: $vgpr0
; %bb.79:                               ;   in Loop: Header=BB197_31 Depth=1
	s_and_not1_saveexec_b32 s7, s0
; %bb.80:                               ;   in Loop: Header=BB197_31 Depth=1
	v_and_b32_e32 v1, 0xffff, v0
	v_or_b32_e32 v22, 0x10000, v0
	s_delay_alu instid0(VALU_DEP_2) | instskip(NEXT) | instid1(VALU_DEP_1)
	v_cmp_eq_u32_e64 s0, 0, v1
	v_cndmask_b32_e64 v54, v22, v0, s0
; %bb.81:                               ;   in Loop: Header=BB197_31 Depth=1
	s_or_b32 exec_lo, exec_lo, s7
	v_and_b32_e32 v113, 0xffff0000, v39
	v_lshlrev_b32_e32 v0, 16, v2
                                        ; implicit-def: $vgpr55
	s_delay_alu instid0(VALU_DEP_1) | instskip(NEXT) | instid1(VALU_DEP_1)
	v_mul_f32_e32 v0, v113, v0
	v_and_b32_e32 v1, 0x7f800000, v0
	s_delay_alu instid0(VALU_DEP_1) | instskip(NEXT) | instid1(VALU_DEP_1)
	v_cmp_ne_u32_e64 s0, 0x7f800000, v1
	s_and_saveexec_b32 s7, s0
	s_delay_alu instid0(SALU_CYCLE_1)
	s_xor_b32 s0, exec_lo, s7
; %bb.82:                               ;   in Loop: Header=BB197_31 Depth=1
	v_bfe_u32 v1, v0, 16, 1
	s_delay_alu instid0(VALU_DEP_1)
	v_add3_u32 v55, v0, v1, 0x7fff
                                        ; implicit-def: $vgpr0
; %bb.83:                               ;   in Loop: Header=BB197_31 Depth=1
	s_and_not1_saveexec_b32 s7, s0
; %bb.84:                               ;   in Loop: Header=BB197_31 Depth=1
	v_and_b32_e32 v1, 0xffff, v0
	v_or_b32_e32 v2, 0x10000, v0
	s_delay_alu instid0(VALU_DEP_2) | instskip(NEXT) | instid1(VALU_DEP_1)
	v_cmp_eq_u32_e64 s0, 0, v1
	v_cndmask_b32_e64 v55, v2, v0, s0
; %bb.85:                               ;   in Loop: Header=BB197_31 Depth=1
	s_or_b32 exec_lo, exec_lo, s7
	v_and_b32_e32 v114, 0xffff0000, v12
	v_lshlrev_b32_e32 v0, 16, v65
                                        ; implicit-def: $vgpr64
	s_delay_alu instid0(VALU_DEP_1) | instskip(NEXT) | instid1(VALU_DEP_1)
	v_mul_f32_e32 v0, v114, v0
	v_and_b32_e32 v1, 0x7f800000, v0
	s_delay_alu instid0(VALU_DEP_1) | instskip(NEXT) | instid1(VALU_DEP_1)
	v_cmp_ne_u32_e64 s0, 0x7f800000, v1
	s_and_saveexec_b32 s7, s0
	s_delay_alu instid0(SALU_CYCLE_1)
	s_xor_b32 s0, exec_lo, s7
; %bb.86:                               ;   in Loop: Header=BB197_31 Depth=1
	v_bfe_u32 v1, v0, 16, 1
	s_delay_alu instid0(VALU_DEP_1)
	v_add3_u32 v64, v0, v1, 0x7fff
                                        ; implicit-def: $vgpr0
; %bb.87:                               ;   in Loop: Header=BB197_31 Depth=1
	s_and_not1_saveexec_b32 s7, s0
; %bb.88:                               ;   in Loop: Header=BB197_31 Depth=1
	v_and_b32_e32 v1, 0xffff, v0
	v_or_b32_e32 v2, 0x10000, v0
	s_delay_alu instid0(VALU_DEP_2) | instskip(NEXT) | instid1(VALU_DEP_1)
	v_cmp_eq_u32_e64 s0, 0, v1
	v_cndmask_b32_e64 v64, v2, v0, s0
; %bb.89:                               ;   in Loop: Header=BB197_31 Depth=1
	s_or_b32 exec_lo, exec_lo, s7
	v_and_b32_e32 v115, 0xffff0000, v5
	v_lshlrev_b32_e32 v0, 16, v3
                                        ; implicit-def: $vgpr65
	s_delay_alu instid0(VALU_DEP_1) | instskip(NEXT) | instid1(VALU_DEP_1)
	v_mul_f32_e32 v0, v115, v0
	v_and_b32_e32 v1, 0x7f800000, v0
	s_delay_alu instid0(VALU_DEP_1) | instskip(NEXT) | instid1(VALU_DEP_1)
	v_cmp_ne_u32_e64 s0, 0x7f800000, v1
	s_and_saveexec_b32 s7, s0
	s_delay_alu instid0(SALU_CYCLE_1)
	s_xor_b32 s0, exec_lo, s7
; %bb.90:                               ;   in Loop: Header=BB197_31 Depth=1
	v_bfe_u32 v1, v0, 16, 1
	s_delay_alu instid0(VALU_DEP_1)
	v_add3_u32 v65, v0, v1, 0x7fff
                                        ; implicit-def: $vgpr0
; %bb.91:                               ;   in Loop: Header=BB197_31 Depth=1
	s_and_not1_saveexec_b32 s7, s0
; %bb.92:                               ;   in Loop: Header=BB197_31 Depth=1
	v_and_b32_e32 v1, 0xffff, v0
	v_or_b32_e32 v2, 0x10000, v0
	s_delay_alu instid0(VALU_DEP_2) | instskip(NEXT) | instid1(VALU_DEP_1)
	v_cmp_eq_u32_e64 s0, 0, v1
	v_cndmask_b32_e64 v65, v2, v0, s0
; %bb.93:                               ;   in Loop: Header=BB197_31 Depth=1
	s_or_b32 exec_lo, exec_lo, s7
	v_and_b32_e32 v116, 0xffff0000, v4
	v_lshlrev_b32_e32 v0, 16, v66
                                        ; implicit-def: $vgpr66
	s_delay_alu instid0(VALU_DEP_1) | instskip(NEXT) | instid1(VALU_DEP_1)
	v_mul_f32_e32 v0, v116, v0
	v_and_b32_e32 v1, 0x7f800000, v0
	s_delay_alu instid0(VALU_DEP_1) | instskip(NEXT) | instid1(VALU_DEP_1)
	v_cmp_ne_u32_e64 s0, 0x7f800000, v1
	s_and_saveexec_b32 s7, s0
	s_delay_alu instid0(SALU_CYCLE_1)
	s_xor_b32 s0, exec_lo, s7
; %bb.94:                               ;   in Loop: Header=BB197_31 Depth=1
	v_bfe_u32 v1, v0, 16, 1
	s_delay_alu instid0(VALU_DEP_1)
	v_add3_u32 v66, v0, v1, 0x7fff
                                        ; implicit-def: $vgpr0
; %bb.95:                               ;   in Loop: Header=BB197_31 Depth=1
	s_and_not1_saveexec_b32 s7, s0
; %bb.96:                               ;   in Loop: Header=BB197_31 Depth=1
	v_and_b32_e32 v1, 0xffff, v0
	v_or_b32_e32 v2, 0x10000, v0
	s_delay_alu instid0(VALU_DEP_2) | instskip(NEXT) | instid1(VALU_DEP_1)
	v_cmp_eq_u32_e64 s0, 0, v1
	v_cndmask_b32_e64 v66, v2, v0, s0
; %bb.97:                               ;   in Loop: Header=BB197_31 Depth=1
	s_or_b32 exec_lo, exec_lo, s7
	flat_load_b128 v[0:3], v[6:7] offset:512
	s_waitcnt vmcnt(0) lgkmcnt(0)
	v_lshrrev_b32_e32 v39, 16, v0
	v_lshrrev_b32_e32 v12, 16, v1
	;; [unrolled: 1-line block ×4, first 2 shown]
	s_and_saveexec_b32 s7, vcc_lo
	s_cbranch_execz .LBB197_99
; %bb.98:                               ;   in Loop: Header=BB197_31 Depth=1
	v_cmp_lt_i32_e64 s0, v80, v82
	s_delay_alu instid0(VALU_DEP_1) | instskip(SKIP_1) | instid1(VALU_DEP_1)
	v_cndmask_b32_e64 v0, 0, v0, s0
	v_cmp_lt_i32_e64 s0, v97, v82
	v_cndmask_b32_e64 v39, 0, v39, s0
	v_cmp_lt_i32_e64 s0, v87, v82
	s_delay_alu instid0(VALU_DEP_1) | instskip(SKIP_1) | instid1(VALU_DEP_1)
	v_cndmask_b32_e64 v1, 0, v1, s0
	v_cmp_lt_i32_e64 s0, v86, v82
	v_cndmask_b32_e64 v12, 0, v12, s0
	;; [unrolled: 5-line block ×4, first 2 shown]
.LBB197_99:                             ;   in Loop: Header=BB197_31 Depth=1
	s_or_b32 exec_lo, exec_lo, s7
	v_lshlrev_b32_e32 v0, 16, v0
                                        ; implicit-def: $vgpr67
	s_delay_alu instid0(VALU_DEP_1) | instskip(NEXT) | instid1(VALU_DEP_1)
	v_mul_f32_e32 v0, v101, v0
	v_and_b32_e32 v22, 0x7f800000, v0
	s_delay_alu instid0(VALU_DEP_1) | instskip(NEXT) | instid1(VALU_DEP_1)
	v_cmp_ne_u32_e64 s0, 0x7f800000, v22
	s_and_saveexec_b32 s7, s0
	s_delay_alu instid0(SALU_CYCLE_1)
	s_xor_b32 s0, exec_lo, s7
; %bb.100:                              ;   in Loop: Header=BB197_31 Depth=1
	v_bfe_u32 v22, v0, 16, 1
	s_delay_alu instid0(VALU_DEP_1)
	v_add3_u32 v67, v0, v22, 0x7fff
                                        ; implicit-def: $vgpr0
; %bb.101:                              ;   in Loop: Header=BB197_31 Depth=1
	s_and_not1_saveexec_b32 s7, s0
; %bb.102:                              ;   in Loop: Header=BB197_31 Depth=1
	v_and_b32_e32 v22, 0xffff, v0
	v_or_b32_e32 v67, 0x10000, v0
	s_delay_alu instid0(VALU_DEP_2) | instskip(NEXT) | instid1(VALU_DEP_1)
	v_cmp_eq_u32_e64 s0, 0, v22
	v_cndmask_b32_e64 v67, v67, v0, s0
; %bb.103:                              ;   in Loop: Header=BB197_31 Depth=1
	s_or_b32 exec_lo, exec_lo, s7
	v_lshlrev_b32_e32 v0, 16, v39
                                        ; implicit-def: $vgpr68
	s_delay_alu instid0(VALU_DEP_1) | instskip(NEXT) | instid1(VALU_DEP_1)
	v_mul_f32_e32 v0, v102, v0
	v_and_b32_e32 v22, 0x7f800000, v0
	s_delay_alu instid0(VALU_DEP_1) | instskip(NEXT) | instid1(VALU_DEP_1)
	v_cmp_ne_u32_e64 s0, 0x7f800000, v22
	s_and_saveexec_b32 s7, s0
	s_delay_alu instid0(SALU_CYCLE_1)
	s_xor_b32 s0, exec_lo, s7
; %bb.104:                              ;   in Loop: Header=BB197_31 Depth=1
	v_bfe_u32 v22, v0, 16, 1
	s_delay_alu instid0(VALU_DEP_1)
	v_add3_u32 v68, v0, v22, 0x7fff
                                        ; implicit-def: $vgpr0
; %bb.105:                              ;   in Loop: Header=BB197_31 Depth=1
	s_and_not1_saveexec_b32 s7, s0
; %bb.106:                              ;   in Loop: Header=BB197_31 Depth=1
	v_and_b32_e32 v22, 0xffff, v0
	v_or_b32_e32 v39, 0x10000, v0
	s_delay_alu instid0(VALU_DEP_2) | instskip(NEXT) | instid1(VALU_DEP_1)
	v_cmp_eq_u32_e64 s0, 0, v22
	v_cndmask_b32_e64 v68, v39, v0, s0
; %bb.107:                              ;   in Loop: Header=BB197_31 Depth=1
	s_or_b32 exec_lo, exec_lo, s7
	v_lshlrev_b32_e32 v0, 16, v1
                                        ; implicit-def: $vgpr69
	s_delay_alu instid0(VALU_DEP_1) | instskip(NEXT) | instid1(VALU_DEP_1)
	v_mul_f32_e32 v0, v103, v0
	v_and_b32_e32 v1, 0x7f800000, v0
	s_delay_alu instid0(VALU_DEP_1) | instskip(NEXT) | instid1(VALU_DEP_1)
	v_cmp_ne_u32_e64 s0, 0x7f800000, v1
	s_and_saveexec_b32 s7, s0
	s_delay_alu instid0(SALU_CYCLE_1)
	s_xor_b32 s0, exec_lo, s7
; %bb.108:                              ;   in Loop: Header=BB197_31 Depth=1
	v_bfe_u32 v1, v0, 16, 1
	s_delay_alu instid0(VALU_DEP_1)
	v_add3_u32 v69, v0, v1, 0x7fff
                                        ; implicit-def: $vgpr0
; %bb.109:                              ;   in Loop: Header=BB197_31 Depth=1
	s_and_not1_saveexec_b32 s7, s0
; %bb.110:                              ;   in Loop: Header=BB197_31 Depth=1
	v_and_b32_e32 v1, 0xffff, v0
	v_or_b32_e32 v22, 0x10000, v0
	s_delay_alu instid0(VALU_DEP_2) | instskip(NEXT) | instid1(VALU_DEP_1)
	v_cmp_eq_u32_e64 s0, 0, v1
	v_cndmask_b32_e64 v69, v22, v0, s0
; %bb.111:                              ;   in Loop: Header=BB197_31 Depth=1
	s_or_b32 exec_lo, exec_lo, s7
	v_lshlrev_b32_e32 v0, 16, v12
                                        ; implicit-def: $vgpr70
	s_delay_alu instid0(VALU_DEP_1) | instskip(NEXT) | instid1(VALU_DEP_1)
	v_mul_f32_e32 v0, v112, v0
	v_and_b32_e32 v1, 0x7f800000, v0
	s_delay_alu instid0(VALU_DEP_1) | instskip(NEXT) | instid1(VALU_DEP_1)
	v_cmp_ne_u32_e64 s0, 0x7f800000, v1
	s_and_saveexec_b32 s7, s0
	s_delay_alu instid0(SALU_CYCLE_1)
	s_xor_b32 s0, exec_lo, s7
; %bb.112:                              ;   in Loop: Header=BB197_31 Depth=1
	v_bfe_u32 v1, v0, 16, 1
	s_delay_alu instid0(VALU_DEP_1)
	v_add3_u32 v70, v0, v1, 0x7fff
                                        ; implicit-def: $vgpr0
; %bb.113:                              ;   in Loop: Header=BB197_31 Depth=1
	s_and_not1_saveexec_b32 s7, s0
; %bb.114:                              ;   in Loop: Header=BB197_31 Depth=1
	v_and_b32_e32 v1, 0xffff, v0
	v_or_b32_e32 v12, 0x10000, v0
	s_delay_alu instid0(VALU_DEP_2) | instskip(NEXT) | instid1(VALU_DEP_1)
	v_cmp_eq_u32_e64 s0, 0, v1
	v_cndmask_b32_e64 v70, v12, v0, s0
; %bb.115:                              ;   in Loop: Header=BB197_31 Depth=1
	s_or_b32 exec_lo, exec_lo, s7
	v_lshlrev_b32_e32 v0, 16, v2
                                        ; implicit-def: $vgpr71
	s_delay_alu instid0(VALU_DEP_1) | instskip(NEXT) | instid1(VALU_DEP_1)
	v_mul_f32_e32 v0, v113, v0
	v_and_b32_e32 v1, 0x7f800000, v0
	s_delay_alu instid0(VALU_DEP_1) | instskip(NEXT) | instid1(VALU_DEP_1)
	v_cmp_ne_u32_e64 s0, 0x7f800000, v1
	s_and_saveexec_b32 s7, s0
	s_delay_alu instid0(SALU_CYCLE_1)
	s_xor_b32 s0, exec_lo, s7
; %bb.116:                              ;   in Loop: Header=BB197_31 Depth=1
	v_bfe_u32 v1, v0, 16, 1
	s_delay_alu instid0(VALU_DEP_1)
	v_add3_u32 v71, v0, v1, 0x7fff
                                        ; implicit-def: $vgpr0
; %bb.117:                              ;   in Loop: Header=BB197_31 Depth=1
	s_and_not1_saveexec_b32 s7, s0
; %bb.118:                              ;   in Loop: Header=BB197_31 Depth=1
	v_and_b32_e32 v1, 0xffff, v0
	v_or_b32_e32 v2, 0x10000, v0
	s_delay_alu instid0(VALU_DEP_2) | instskip(NEXT) | instid1(VALU_DEP_1)
	v_cmp_eq_u32_e64 s0, 0, v1
	v_cndmask_b32_e64 v71, v2, v0, s0
; %bb.119:                              ;   in Loop: Header=BB197_31 Depth=1
	s_or_b32 exec_lo, exec_lo, s7
	v_lshlrev_b32_e32 v0, 16, v5
                                        ; implicit-def: $vgpr100
	s_delay_alu instid0(VALU_DEP_1) | instskip(NEXT) | instid1(VALU_DEP_1)
	v_mul_f32_e32 v0, v114, v0
	v_and_b32_e32 v1, 0x7f800000, v0
	s_delay_alu instid0(VALU_DEP_1) | instskip(NEXT) | instid1(VALU_DEP_1)
	v_cmp_ne_u32_e64 s0, 0x7f800000, v1
	s_and_saveexec_b32 s7, s0
	s_delay_alu instid0(SALU_CYCLE_1)
	s_xor_b32 s0, exec_lo, s7
; %bb.120:                              ;   in Loop: Header=BB197_31 Depth=1
	v_bfe_u32 v1, v0, 16, 1
	s_delay_alu instid0(VALU_DEP_1)
	v_add3_u32 v100, v0, v1, 0x7fff
                                        ; implicit-def: $vgpr0
; %bb.121:                              ;   in Loop: Header=BB197_31 Depth=1
	s_and_not1_saveexec_b32 s7, s0
; %bb.122:                              ;   in Loop: Header=BB197_31 Depth=1
	v_and_b32_e32 v1, 0xffff, v0
	v_or_b32_e32 v2, 0x10000, v0
	s_delay_alu instid0(VALU_DEP_2) | instskip(NEXT) | instid1(VALU_DEP_1)
	v_cmp_eq_u32_e64 s0, 0, v1
	v_cndmask_b32_e64 v100, v2, v0, s0
; %bb.123:                              ;   in Loop: Header=BB197_31 Depth=1
	s_or_b32 exec_lo, exec_lo, s7
	v_lshlrev_b32_e32 v0, 16, v3
                                        ; implicit-def: $vgpr117
	s_delay_alu instid0(VALU_DEP_1) | instskip(NEXT) | instid1(VALU_DEP_1)
	v_mul_f32_e32 v0, v115, v0
	v_and_b32_e32 v1, 0x7f800000, v0
	s_delay_alu instid0(VALU_DEP_1) | instskip(NEXT) | instid1(VALU_DEP_1)
	v_cmp_ne_u32_e64 s0, 0x7f800000, v1
	s_and_saveexec_b32 s7, s0
	s_delay_alu instid0(SALU_CYCLE_1)
	s_xor_b32 s0, exec_lo, s7
; %bb.124:                              ;   in Loop: Header=BB197_31 Depth=1
	v_bfe_u32 v1, v0, 16, 1
	s_delay_alu instid0(VALU_DEP_1)
	v_add3_u32 v117, v0, v1, 0x7fff
                                        ; implicit-def: $vgpr0
; %bb.125:                              ;   in Loop: Header=BB197_31 Depth=1
	s_and_not1_saveexec_b32 s7, s0
; %bb.126:                              ;   in Loop: Header=BB197_31 Depth=1
	v_and_b32_e32 v1, 0xffff, v0
	v_or_b32_e32 v2, 0x10000, v0
	s_delay_alu instid0(VALU_DEP_2) | instskip(NEXT) | instid1(VALU_DEP_1)
	v_cmp_eq_u32_e64 s0, 0, v1
	v_cndmask_b32_e64 v117, v2, v0, s0
; %bb.127:                              ;   in Loop: Header=BB197_31 Depth=1
	s_or_b32 exec_lo, exec_lo, s7
	v_lshlrev_b32_e32 v0, 16, v4
                                        ; implicit-def: $vgpr118
	s_delay_alu instid0(VALU_DEP_1) | instskip(NEXT) | instid1(VALU_DEP_1)
	v_mul_f32_e32 v0, v116, v0
	v_and_b32_e32 v1, 0x7f800000, v0
	s_delay_alu instid0(VALU_DEP_1) | instskip(NEXT) | instid1(VALU_DEP_1)
	v_cmp_ne_u32_e64 s0, 0x7f800000, v1
	s_and_saveexec_b32 s7, s0
	s_delay_alu instid0(SALU_CYCLE_1)
	s_xor_b32 s0, exec_lo, s7
; %bb.128:                              ;   in Loop: Header=BB197_31 Depth=1
	v_bfe_u32 v1, v0, 16, 1
	s_delay_alu instid0(VALU_DEP_1)
	v_add3_u32 v118, v0, v1, 0x7fff
                                        ; implicit-def: $vgpr0
; %bb.129:                              ;   in Loop: Header=BB197_31 Depth=1
	s_and_not1_saveexec_b32 s7, s0
; %bb.130:                              ;   in Loop: Header=BB197_31 Depth=1
	v_and_b32_e32 v1, 0xffff, v0
	v_or_b32_e32 v2, 0x10000, v0
	s_delay_alu instid0(VALU_DEP_2) | instskip(NEXT) | instid1(VALU_DEP_1)
	v_cmp_eq_u32_e64 s0, 0, v1
	v_cndmask_b32_e64 v118, v2, v0, s0
; %bb.131:                              ;   in Loop: Header=BB197_31 Depth=1
	s_or_b32 exec_lo, exec_lo, s7
	flat_load_b128 v[0:3], v[6:7] offset:1024
	s_waitcnt vmcnt(0) lgkmcnt(0)
	v_lshrrev_b32_e32 v39, 16, v0
	v_lshrrev_b32_e32 v12, 16, v1
	;; [unrolled: 1-line block ×4, first 2 shown]
	s_and_saveexec_b32 s7, vcc_lo
	s_cbranch_execz .LBB197_133
; %bb.132:                              ;   in Loop: Header=BB197_31 Depth=1
	v_cmp_lt_i32_e64 s0, v80, v82
	s_delay_alu instid0(VALU_DEP_1) | instskip(SKIP_1) | instid1(VALU_DEP_1)
	v_cndmask_b32_e64 v0, 0, v0, s0
	v_cmp_lt_i32_e64 s0, v97, v82
	v_cndmask_b32_e64 v39, 0, v39, s0
	v_cmp_lt_i32_e64 s0, v87, v82
	s_delay_alu instid0(VALU_DEP_1) | instskip(SKIP_1) | instid1(VALU_DEP_1)
	v_cndmask_b32_e64 v1, 0, v1, s0
	v_cmp_lt_i32_e64 s0, v86, v82
	v_cndmask_b32_e64 v12, 0, v12, s0
	;; [unrolled: 5-line block ×4, first 2 shown]
.LBB197_133:                            ;   in Loop: Header=BB197_31 Depth=1
	s_or_b32 exec_lo, exec_lo, s7
	v_lshlrev_b32_e32 v0, 16, v0
                                        ; implicit-def: $vgpr119
	s_delay_alu instid0(VALU_DEP_1) | instskip(NEXT) | instid1(VALU_DEP_1)
	v_mul_f32_e32 v0, v101, v0
	v_and_b32_e32 v22, 0x7f800000, v0
	s_delay_alu instid0(VALU_DEP_1) | instskip(NEXT) | instid1(VALU_DEP_1)
	v_cmp_ne_u32_e64 s0, 0x7f800000, v22
	s_and_saveexec_b32 s7, s0
	s_delay_alu instid0(SALU_CYCLE_1)
	s_xor_b32 s0, exec_lo, s7
; %bb.134:                              ;   in Loop: Header=BB197_31 Depth=1
	v_bfe_u32 v22, v0, 16, 1
	s_delay_alu instid0(VALU_DEP_1)
	v_add3_u32 v119, v0, v22, 0x7fff
                                        ; implicit-def: $vgpr0
; %bb.135:                              ;   in Loop: Header=BB197_31 Depth=1
	s_and_not1_saveexec_b32 s7, s0
; %bb.136:                              ;   in Loop: Header=BB197_31 Depth=1
	v_and_b32_e32 v22, 0xffff, v0
	v_or_b32_e32 v83, 0x10000, v0
	s_delay_alu instid0(VALU_DEP_2) | instskip(NEXT) | instid1(VALU_DEP_1)
	v_cmp_eq_u32_e64 s0, 0, v22
	v_cndmask_b32_e64 v119, v83, v0, s0
; %bb.137:                              ;   in Loop: Header=BB197_31 Depth=1
	s_or_b32 exec_lo, exec_lo, s7
	v_lshlrev_b32_e32 v0, 16, v39
                                        ; implicit-def: $vgpr128
	s_delay_alu instid0(VALU_DEP_1) | instskip(NEXT) | instid1(VALU_DEP_1)
	v_mul_f32_e32 v0, v102, v0
	v_and_b32_e32 v22, 0x7f800000, v0
	s_delay_alu instid0(VALU_DEP_1) | instskip(NEXT) | instid1(VALU_DEP_1)
	v_cmp_ne_u32_e64 s0, 0x7f800000, v22
	s_and_saveexec_b32 s7, s0
	s_delay_alu instid0(SALU_CYCLE_1)
	s_xor_b32 s0, exec_lo, s7
; %bb.138:                              ;   in Loop: Header=BB197_31 Depth=1
	v_bfe_u32 v22, v0, 16, 1
	s_delay_alu instid0(VALU_DEP_1)
	v_add3_u32 v128, v0, v22, 0x7fff
                                        ; implicit-def: $vgpr0
; %bb.139:                              ;   in Loop: Header=BB197_31 Depth=1
	s_and_not1_saveexec_b32 s7, s0
; %bb.140:                              ;   in Loop: Header=BB197_31 Depth=1
	v_and_b32_e32 v22, 0xffff, v0
	v_or_b32_e32 v39, 0x10000, v0
	s_delay_alu instid0(VALU_DEP_2) | instskip(NEXT) | instid1(VALU_DEP_1)
	v_cmp_eq_u32_e64 s0, 0, v22
	v_cndmask_b32_e64 v128, v39, v0, s0
; %bb.141:                              ;   in Loop: Header=BB197_31 Depth=1
	s_or_b32 exec_lo, exec_lo, s7
	v_lshlrev_b32_e32 v0, 16, v1
                                        ; implicit-def: $vgpr129
	s_delay_alu instid0(VALU_DEP_1) | instskip(NEXT) | instid1(VALU_DEP_1)
	v_mul_f32_e32 v0, v103, v0
	v_and_b32_e32 v1, 0x7f800000, v0
	s_delay_alu instid0(VALU_DEP_1) | instskip(NEXT) | instid1(VALU_DEP_1)
	v_cmp_ne_u32_e64 s0, 0x7f800000, v1
	s_and_saveexec_b32 s7, s0
	s_delay_alu instid0(SALU_CYCLE_1)
	s_xor_b32 s0, exec_lo, s7
; %bb.142:                              ;   in Loop: Header=BB197_31 Depth=1
	v_bfe_u32 v1, v0, 16, 1
	s_delay_alu instid0(VALU_DEP_1)
	v_add3_u32 v129, v0, v1, 0x7fff
                                        ; implicit-def: $vgpr0
; %bb.143:                              ;   in Loop: Header=BB197_31 Depth=1
	s_and_not1_saveexec_b32 s7, s0
; %bb.144:                              ;   in Loop: Header=BB197_31 Depth=1
	v_and_b32_e32 v1, 0xffff, v0
	v_or_b32_e32 v22, 0x10000, v0
	s_delay_alu instid0(VALU_DEP_2) | instskip(NEXT) | instid1(VALU_DEP_1)
	v_cmp_eq_u32_e64 s0, 0, v1
	v_cndmask_b32_e64 v129, v22, v0, s0
; %bb.145:                              ;   in Loop: Header=BB197_31 Depth=1
	s_or_b32 exec_lo, exec_lo, s7
	v_lshlrev_b32_e32 v0, 16, v12
                                        ; implicit-def: $vgpr130
	s_delay_alu instid0(VALU_DEP_1) | instskip(NEXT) | instid1(VALU_DEP_1)
	v_mul_f32_e32 v0, v112, v0
	v_and_b32_e32 v1, 0x7f800000, v0
	s_delay_alu instid0(VALU_DEP_1) | instskip(NEXT) | instid1(VALU_DEP_1)
	v_cmp_ne_u32_e64 s0, 0x7f800000, v1
	s_and_saveexec_b32 s7, s0
	s_delay_alu instid0(SALU_CYCLE_1)
	s_xor_b32 s0, exec_lo, s7
; %bb.146:                              ;   in Loop: Header=BB197_31 Depth=1
	v_bfe_u32 v1, v0, 16, 1
	s_delay_alu instid0(VALU_DEP_1)
	v_add3_u32 v130, v0, v1, 0x7fff
                                        ; implicit-def: $vgpr0
; %bb.147:                              ;   in Loop: Header=BB197_31 Depth=1
	s_and_not1_saveexec_b32 s7, s0
; %bb.148:                              ;   in Loop: Header=BB197_31 Depth=1
	v_and_b32_e32 v1, 0xffff, v0
	v_or_b32_e32 v12, 0x10000, v0
	s_delay_alu instid0(VALU_DEP_2) | instskip(NEXT) | instid1(VALU_DEP_1)
	v_cmp_eq_u32_e64 s0, 0, v1
	v_cndmask_b32_e64 v130, v12, v0, s0
; %bb.149:                              ;   in Loop: Header=BB197_31 Depth=1
	s_or_b32 exec_lo, exec_lo, s7
	v_lshlrev_b32_e32 v0, 16, v2
                                        ; implicit-def: $vgpr131
	s_delay_alu instid0(VALU_DEP_1) | instskip(NEXT) | instid1(VALU_DEP_1)
	v_mul_f32_e32 v0, v113, v0
	v_and_b32_e32 v1, 0x7f800000, v0
	s_delay_alu instid0(VALU_DEP_1) | instskip(NEXT) | instid1(VALU_DEP_1)
	v_cmp_ne_u32_e64 s0, 0x7f800000, v1
	s_and_saveexec_b32 s7, s0
	s_delay_alu instid0(SALU_CYCLE_1)
	s_xor_b32 s0, exec_lo, s7
; %bb.150:                              ;   in Loop: Header=BB197_31 Depth=1
	v_bfe_u32 v1, v0, 16, 1
	s_delay_alu instid0(VALU_DEP_1)
	v_add3_u32 v131, v0, v1, 0x7fff
                                        ; implicit-def: $vgpr0
; %bb.151:                              ;   in Loop: Header=BB197_31 Depth=1
	s_and_not1_saveexec_b32 s7, s0
; %bb.152:                              ;   in Loop: Header=BB197_31 Depth=1
	v_and_b32_e32 v1, 0xffff, v0
	v_or_b32_e32 v2, 0x10000, v0
	s_delay_alu instid0(VALU_DEP_2) | instskip(NEXT) | instid1(VALU_DEP_1)
	v_cmp_eq_u32_e64 s0, 0, v1
	v_cndmask_b32_e64 v131, v2, v0, s0
; %bb.153:                              ;   in Loop: Header=BB197_31 Depth=1
	s_or_b32 exec_lo, exec_lo, s7
	v_lshlrev_b32_e32 v0, 16, v5
                                        ; implicit-def: $vgpr132
	s_delay_alu instid0(VALU_DEP_1) | instskip(NEXT) | instid1(VALU_DEP_1)
	v_mul_f32_e32 v0, v114, v0
	v_and_b32_e32 v1, 0x7f800000, v0
	s_delay_alu instid0(VALU_DEP_1) | instskip(NEXT) | instid1(VALU_DEP_1)
	v_cmp_ne_u32_e64 s0, 0x7f800000, v1
	s_and_saveexec_b32 s7, s0
	s_delay_alu instid0(SALU_CYCLE_1)
	s_xor_b32 s0, exec_lo, s7
; %bb.154:                              ;   in Loop: Header=BB197_31 Depth=1
	v_bfe_u32 v1, v0, 16, 1
	s_delay_alu instid0(VALU_DEP_1)
	v_add3_u32 v132, v0, v1, 0x7fff
                                        ; implicit-def: $vgpr0
; %bb.155:                              ;   in Loop: Header=BB197_31 Depth=1
	s_and_not1_saveexec_b32 s7, s0
; %bb.156:                              ;   in Loop: Header=BB197_31 Depth=1
	v_and_b32_e32 v1, 0xffff, v0
	v_or_b32_e32 v2, 0x10000, v0
	s_delay_alu instid0(VALU_DEP_2) | instskip(NEXT) | instid1(VALU_DEP_1)
	v_cmp_eq_u32_e64 s0, 0, v1
	v_cndmask_b32_e64 v132, v2, v0, s0
; %bb.157:                              ;   in Loop: Header=BB197_31 Depth=1
	s_or_b32 exec_lo, exec_lo, s7
	v_lshlrev_b32_e32 v0, 16, v3
                                        ; implicit-def: $vgpr133
	s_delay_alu instid0(VALU_DEP_1) | instskip(NEXT) | instid1(VALU_DEP_1)
	v_mul_f32_e32 v0, v115, v0
	v_and_b32_e32 v1, 0x7f800000, v0
	s_delay_alu instid0(VALU_DEP_1) | instskip(NEXT) | instid1(VALU_DEP_1)
	v_cmp_ne_u32_e64 s0, 0x7f800000, v1
	s_and_saveexec_b32 s7, s0
	s_delay_alu instid0(SALU_CYCLE_1)
	s_xor_b32 s0, exec_lo, s7
; %bb.158:                              ;   in Loop: Header=BB197_31 Depth=1
	v_bfe_u32 v1, v0, 16, 1
	s_delay_alu instid0(VALU_DEP_1)
	v_add3_u32 v133, v0, v1, 0x7fff
                                        ; implicit-def: $vgpr0
; %bb.159:                              ;   in Loop: Header=BB197_31 Depth=1
	s_and_not1_saveexec_b32 s7, s0
; %bb.160:                              ;   in Loop: Header=BB197_31 Depth=1
	v_and_b32_e32 v1, 0xffff, v0
	v_or_b32_e32 v2, 0x10000, v0
	s_delay_alu instid0(VALU_DEP_2) | instskip(NEXT) | instid1(VALU_DEP_1)
	v_cmp_eq_u32_e64 s0, 0, v1
	v_cndmask_b32_e64 v133, v2, v0, s0
; %bb.161:                              ;   in Loop: Header=BB197_31 Depth=1
	s_or_b32 exec_lo, exec_lo, s7
	v_lshlrev_b32_e32 v0, 16, v4
                                        ; implicit-def: $vgpr134
	s_delay_alu instid0(VALU_DEP_1) | instskip(NEXT) | instid1(VALU_DEP_1)
	v_mul_f32_e32 v0, v116, v0
	v_and_b32_e32 v1, 0x7f800000, v0
	s_delay_alu instid0(VALU_DEP_1) | instskip(NEXT) | instid1(VALU_DEP_1)
	v_cmp_ne_u32_e64 s0, 0x7f800000, v1
	s_and_saveexec_b32 s7, s0
	s_delay_alu instid0(SALU_CYCLE_1)
	s_xor_b32 s0, exec_lo, s7
; %bb.162:                              ;   in Loop: Header=BB197_31 Depth=1
	v_bfe_u32 v1, v0, 16, 1
	s_delay_alu instid0(VALU_DEP_1)
	v_add3_u32 v134, v0, v1, 0x7fff
                                        ; implicit-def: $vgpr0
; %bb.163:                              ;   in Loop: Header=BB197_31 Depth=1
	s_and_not1_saveexec_b32 s7, s0
; %bb.164:                              ;   in Loop: Header=BB197_31 Depth=1
	v_and_b32_e32 v1, 0xffff, v0
	v_or_b32_e32 v2, 0x10000, v0
	s_delay_alu instid0(VALU_DEP_2) | instskip(NEXT) | instid1(VALU_DEP_1)
	v_cmp_eq_u32_e64 s0, 0, v1
	v_cndmask_b32_e64 v134, v2, v0, s0
; %bb.165:                              ;   in Loop: Header=BB197_31 Depth=1
	s_or_b32 exec_lo, exec_lo, s7
	flat_load_b128 v[0:3], v[6:7] offset:1536
	s_waitcnt vmcnt(0) lgkmcnt(0)
	v_lshrrev_b32_e32 v39, 16, v0
	v_lshrrev_b32_e32 v12, 16, v1
	;; [unrolled: 1-line block ×4, first 2 shown]
	s_and_saveexec_b32 s7, vcc_lo
	s_cbranch_execz .LBB197_167
; %bb.166:                              ;   in Loop: Header=BB197_31 Depth=1
	v_cmp_lt_i32_e64 s0, v80, v82
	s_delay_alu instid0(VALU_DEP_1) | instskip(SKIP_1) | instid1(VALU_DEP_1)
	v_cndmask_b32_e64 v0, 0, v0, s0
	v_cmp_lt_i32_e64 s0, v97, v82
	v_cndmask_b32_e64 v39, 0, v39, s0
	v_cmp_lt_i32_e64 s0, v87, v82
	s_delay_alu instid0(VALU_DEP_1) | instskip(SKIP_1) | instid1(VALU_DEP_1)
	v_cndmask_b32_e64 v1, 0, v1, s0
	v_cmp_lt_i32_e64 s0, v86, v82
	v_cndmask_b32_e64 v12, 0, v12, s0
	;; [unrolled: 5-line block ×4, first 2 shown]
.LBB197_167:                            ;   in Loop: Header=BB197_31 Depth=1
	s_or_b32 exec_lo, exec_lo, s7
	v_lshlrev_b32_e32 v0, 16, v0
                                        ; implicit-def: $vgpr135
	s_delay_alu instid0(VALU_DEP_1) | instskip(NEXT) | instid1(VALU_DEP_1)
	v_mul_f32_e32 v0, v101, v0
	v_and_b32_e32 v22, 0x7f800000, v0
	s_delay_alu instid0(VALU_DEP_1) | instskip(NEXT) | instid1(VALU_DEP_1)
	v_cmp_ne_u32_e64 s0, 0x7f800000, v22
	s_and_saveexec_b32 s7, s0
	s_delay_alu instid0(SALU_CYCLE_1)
	s_xor_b32 s0, exec_lo, s7
; %bb.168:                              ;   in Loop: Header=BB197_31 Depth=1
	v_bfe_u32 v22, v0, 16, 1
	s_delay_alu instid0(VALU_DEP_1)
	v_add3_u32 v135, v0, v22, 0x7fff
                                        ; implicit-def: $vgpr0
; %bb.169:                              ;   in Loop: Header=BB197_31 Depth=1
	s_and_not1_saveexec_b32 s7, s0
; %bb.170:                              ;   in Loop: Header=BB197_31 Depth=1
	v_and_b32_e32 v22, 0xffff, v0
	v_or_b32_e32 v83, 0x10000, v0
	s_delay_alu instid0(VALU_DEP_2) | instskip(NEXT) | instid1(VALU_DEP_1)
	v_cmp_eq_u32_e64 s0, 0, v22
	v_cndmask_b32_e64 v135, v83, v0, s0
; %bb.171:                              ;   in Loop: Header=BB197_31 Depth=1
	s_or_b32 exec_lo, exec_lo, s7
	v_lshlrev_b32_e32 v0, 16, v39
                                        ; implicit-def: $vgpr144
	s_delay_alu instid0(VALU_DEP_1) | instskip(NEXT) | instid1(VALU_DEP_1)
	v_mul_f32_e32 v0, v102, v0
	v_and_b32_e32 v22, 0x7f800000, v0
	s_delay_alu instid0(VALU_DEP_1) | instskip(NEXT) | instid1(VALU_DEP_1)
	v_cmp_ne_u32_e64 s0, 0x7f800000, v22
	s_and_saveexec_b32 s7, s0
	s_delay_alu instid0(SALU_CYCLE_1)
	s_xor_b32 s0, exec_lo, s7
; %bb.172:                              ;   in Loop: Header=BB197_31 Depth=1
	v_bfe_u32 v22, v0, 16, 1
	s_delay_alu instid0(VALU_DEP_1)
	v_add3_u32 v144, v0, v22, 0x7fff
                                        ; implicit-def: $vgpr0
; %bb.173:                              ;   in Loop: Header=BB197_31 Depth=1
	s_and_not1_saveexec_b32 s7, s0
; %bb.174:                              ;   in Loop: Header=BB197_31 Depth=1
	v_and_b32_e32 v22, 0xffff, v0
	v_or_b32_e32 v39, 0x10000, v0
	s_delay_alu instid0(VALU_DEP_2) | instskip(NEXT) | instid1(VALU_DEP_1)
	v_cmp_eq_u32_e64 s0, 0, v22
	v_cndmask_b32_e64 v144, v39, v0, s0
; %bb.175:                              ;   in Loop: Header=BB197_31 Depth=1
	s_or_b32 exec_lo, exec_lo, s7
	v_lshlrev_b32_e32 v0, 16, v1
                                        ; implicit-def: $vgpr145
	s_delay_alu instid0(VALU_DEP_1) | instskip(NEXT) | instid1(VALU_DEP_1)
	v_mul_f32_e32 v0, v103, v0
	v_and_b32_e32 v1, 0x7f800000, v0
	s_delay_alu instid0(VALU_DEP_1) | instskip(NEXT) | instid1(VALU_DEP_1)
	v_cmp_ne_u32_e64 s0, 0x7f800000, v1
	s_and_saveexec_b32 s7, s0
	s_delay_alu instid0(SALU_CYCLE_1)
	s_xor_b32 s0, exec_lo, s7
; %bb.176:                              ;   in Loop: Header=BB197_31 Depth=1
	v_bfe_u32 v1, v0, 16, 1
	s_delay_alu instid0(VALU_DEP_1)
	v_add3_u32 v145, v0, v1, 0x7fff
                                        ; implicit-def: $vgpr0
; %bb.177:                              ;   in Loop: Header=BB197_31 Depth=1
	s_and_not1_saveexec_b32 s7, s0
; %bb.178:                              ;   in Loop: Header=BB197_31 Depth=1
	v_and_b32_e32 v1, 0xffff, v0
	v_or_b32_e32 v22, 0x10000, v0
	s_delay_alu instid0(VALU_DEP_2) | instskip(NEXT) | instid1(VALU_DEP_1)
	v_cmp_eq_u32_e64 s0, 0, v1
	v_cndmask_b32_e64 v145, v22, v0, s0
; %bb.179:                              ;   in Loop: Header=BB197_31 Depth=1
	s_or_b32 exec_lo, exec_lo, s7
	v_lshlrev_b32_e32 v0, 16, v12
                                        ; implicit-def: $vgpr146
	s_delay_alu instid0(VALU_DEP_1) | instskip(NEXT) | instid1(VALU_DEP_1)
	v_mul_f32_e32 v0, v112, v0
	v_and_b32_e32 v1, 0x7f800000, v0
	s_delay_alu instid0(VALU_DEP_1) | instskip(NEXT) | instid1(VALU_DEP_1)
	v_cmp_ne_u32_e64 s0, 0x7f800000, v1
	s_and_saveexec_b32 s7, s0
	s_delay_alu instid0(SALU_CYCLE_1)
	s_xor_b32 s0, exec_lo, s7
; %bb.180:                              ;   in Loop: Header=BB197_31 Depth=1
	v_bfe_u32 v1, v0, 16, 1
	s_delay_alu instid0(VALU_DEP_1)
	v_add3_u32 v146, v0, v1, 0x7fff
                                        ; implicit-def: $vgpr0
; %bb.181:                              ;   in Loop: Header=BB197_31 Depth=1
	s_and_not1_saveexec_b32 s7, s0
; %bb.182:                              ;   in Loop: Header=BB197_31 Depth=1
	v_and_b32_e32 v1, 0xffff, v0
	v_or_b32_e32 v12, 0x10000, v0
	s_delay_alu instid0(VALU_DEP_2) | instskip(NEXT) | instid1(VALU_DEP_1)
	v_cmp_eq_u32_e64 s0, 0, v1
	v_cndmask_b32_e64 v146, v12, v0, s0
; %bb.183:                              ;   in Loop: Header=BB197_31 Depth=1
	s_or_b32 exec_lo, exec_lo, s7
	v_lshlrev_b32_e32 v0, 16, v2
                                        ; implicit-def: $vgpr147
	s_delay_alu instid0(VALU_DEP_1) | instskip(NEXT) | instid1(VALU_DEP_1)
	v_mul_f32_e32 v0, v113, v0
	v_and_b32_e32 v1, 0x7f800000, v0
	s_delay_alu instid0(VALU_DEP_1) | instskip(NEXT) | instid1(VALU_DEP_1)
	v_cmp_ne_u32_e64 s0, 0x7f800000, v1
	s_and_saveexec_b32 s7, s0
	s_delay_alu instid0(SALU_CYCLE_1)
	s_xor_b32 s0, exec_lo, s7
; %bb.184:                              ;   in Loop: Header=BB197_31 Depth=1
	v_bfe_u32 v1, v0, 16, 1
	s_delay_alu instid0(VALU_DEP_1)
	v_add3_u32 v147, v0, v1, 0x7fff
                                        ; implicit-def: $vgpr0
; %bb.185:                              ;   in Loop: Header=BB197_31 Depth=1
	s_and_not1_saveexec_b32 s7, s0
; %bb.186:                              ;   in Loop: Header=BB197_31 Depth=1
	v_and_b32_e32 v1, 0xffff, v0
	v_or_b32_e32 v2, 0x10000, v0
	s_delay_alu instid0(VALU_DEP_2) | instskip(NEXT) | instid1(VALU_DEP_1)
	v_cmp_eq_u32_e64 s0, 0, v1
	v_cndmask_b32_e64 v147, v2, v0, s0
; %bb.187:                              ;   in Loop: Header=BB197_31 Depth=1
	s_or_b32 exec_lo, exec_lo, s7
	v_lshlrev_b32_e32 v0, 16, v5
                                        ; implicit-def: $vgpr148
	s_delay_alu instid0(VALU_DEP_1) | instskip(NEXT) | instid1(VALU_DEP_1)
	v_mul_f32_e32 v0, v114, v0
	v_and_b32_e32 v1, 0x7f800000, v0
	s_delay_alu instid0(VALU_DEP_1) | instskip(NEXT) | instid1(VALU_DEP_1)
	v_cmp_ne_u32_e64 s0, 0x7f800000, v1
	s_and_saveexec_b32 s7, s0
	s_delay_alu instid0(SALU_CYCLE_1)
	s_xor_b32 s0, exec_lo, s7
; %bb.188:                              ;   in Loop: Header=BB197_31 Depth=1
	v_bfe_u32 v1, v0, 16, 1
	s_delay_alu instid0(VALU_DEP_1)
	v_add3_u32 v148, v0, v1, 0x7fff
                                        ; implicit-def: $vgpr0
; %bb.189:                              ;   in Loop: Header=BB197_31 Depth=1
	s_and_not1_saveexec_b32 s7, s0
; %bb.190:                              ;   in Loop: Header=BB197_31 Depth=1
	v_and_b32_e32 v1, 0xffff, v0
	v_or_b32_e32 v2, 0x10000, v0
	s_delay_alu instid0(VALU_DEP_2) | instskip(NEXT) | instid1(VALU_DEP_1)
	v_cmp_eq_u32_e64 s0, 0, v1
	v_cndmask_b32_e64 v148, v2, v0, s0
; %bb.191:                              ;   in Loop: Header=BB197_31 Depth=1
	s_or_b32 exec_lo, exec_lo, s7
	v_lshlrev_b32_e32 v0, 16, v3
                                        ; implicit-def: $vgpr149
	s_delay_alu instid0(VALU_DEP_1) | instskip(NEXT) | instid1(VALU_DEP_1)
	v_mul_f32_e32 v0, v115, v0
	v_and_b32_e32 v1, 0x7f800000, v0
	s_delay_alu instid0(VALU_DEP_1) | instskip(NEXT) | instid1(VALU_DEP_1)
	v_cmp_ne_u32_e64 s0, 0x7f800000, v1
	s_and_saveexec_b32 s7, s0
	s_delay_alu instid0(SALU_CYCLE_1)
	s_xor_b32 s0, exec_lo, s7
; %bb.192:                              ;   in Loop: Header=BB197_31 Depth=1
	v_bfe_u32 v1, v0, 16, 1
	s_delay_alu instid0(VALU_DEP_1)
	v_add3_u32 v149, v0, v1, 0x7fff
                                        ; implicit-def: $vgpr0
; %bb.193:                              ;   in Loop: Header=BB197_31 Depth=1
	s_and_not1_saveexec_b32 s7, s0
; %bb.194:                              ;   in Loop: Header=BB197_31 Depth=1
	v_and_b32_e32 v1, 0xffff, v0
	v_or_b32_e32 v2, 0x10000, v0
	s_delay_alu instid0(VALU_DEP_2) | instskip(NEXT) | instid1(VALU_DEP_1)
	v_cmp_eq_u32_e64 s0, 0, v1
	v_cndmask_b32_e64 v149, v2, v0, s0
; %bb.195:                              ;   in Loop: Header=BB197_31 Depth=1
	s_or_b32 exec_lo, exec_lo, s7
	v_lshlrev_b32_e32 v0, 16, v4
                                        ; implicit-def: $vgpr150
	s_delay_alu instid0(VALU_DEP_1) | instskip(NEXT) | instid1(VALU_DEP_1)
	v_mul_f32_e32 v0, v116, v0
	v_and_b32_e32 v1, 0x7f800000, v0
	s_delay_alu instid0(VALU_DEP_1) | instskip(NEXT) | instid1(VALU_DEP_1)
	v_cmp_ne_u32_e64 s0, 0x7f800000, v1
	s_and_saveexec_b32 s7, s0
	s_delay_alu instid0(SALU_CYCLE_1)
	s_xor_b32 s0, exec_lo, s7
; %bb.196:                              ;   in Loop: Header=BB197_31 Depth=1
	v_bfe_u32 v1, v0, 16, 1
	s_delay_alu instid0(VALU_DEP_1)
	v_add3_u32 v150, v0, v1, 0x7fff
                                        ; implicit-def: $vgpr0
; %bb.197:                              ;   in Loop: Header=BB197_31 Depth=1
	s_and_not1_saveexec_b32 s7, s0
; %bb.198:                              ;   in Loop: Header=BB197_31 Depth=1
	v_and_b32_e32 v1, 0xffff, v0
	v_or_b32_e32 v2, 0x10000, v0
	s_delay_alu instid0(VALU_DEP_2) | instskip(NEXT) | instid1(VALU_DEP_1)
	v_cmp_eq_u32_e64 s0, 0, v1
	v_cndmask_b32_e64 v150, v2, v0, s0
; %bb.199:                              ;   in Loop: Header=BB197_31 Depth=1
	s_or_b32 exec_lo, exec_lo, s7
	flat_load_b128 v[0:3], v[6:7] offset:2048
	s_waitcnt vmcnt(0) lgkmcnt(0)
	v_lshrrev_b32_e32 v39, 16, v0
	v_lshrrev_b32_e32 v12, 16, v1
	v_lshrrev_b32_e32 v5, 16, v2
	v_lshrrev_b32_e32 v4, 16, v3
	s_and_saveexec_b32 s7, vcc_lo
	s_cbranch_execz .LBB197_201
; %bb.200:                              ;   in Loop: Header=BB197_31 Depth=1
	v_cmp_lt_i32_e64 s0, v80, v82
	s_delay_alu instid0(VALU_DEP_1) | instskip(SKIP_1) | instid1(VALU_DEP_1)
	v_cndmask_b32_e64 v0, 0, v0, s0
	v_cmp_lt_i32_e64 s0, v97, v82
	v_cndmask_b32_e64 v39, 0, v39, s0
	v_cmp_lt_i32_e64 s0, v87, v82
	s_delay_alu instid0(VALU_DEP_1) | instskip(SKIP_1) | instid1(VALU_DEP_1)
	v_cndmask_b32_e64 v1, 0, v1, s0
	v_cmp_lt_i32_e64 s0, v86, v82
	v_cndmask_b32_e64 v12, 0, v12, s0
	;; [unrolled: 5-line block ×4, first 2 shown]
.LBB197_201:                            ;   in Loop: Header=BB197_31 Depth=1
	s_or_b32 exec_lo, exec_lo, s7
	v_lshlrev_b32_e32 v0, 16, v0
                                        ; implicit-def: $vgpr151
	s_delay_alu instid0(VALU_DEP_1) | instskip(NEXT) | instid1(VALU_DEP_1)
	v_mul_f32_e32 v0, v101, v0
	v_and_b32_e32 v22, 0x7f800000, v0
	s_delay_alu instid0(VALU_DEP_1) | instskip(NEXT) | instid1(VALU_DEP_1)
	v_cmp_ne_u32_e64 s0, 0x7f800000, v22
	s_and_saveexec_b32 s7, s0
	s_delay_alu instid0(SALU_CYCLE_1)
	s_xor_b32 s0, exec_lo, s7
; %bb.202:                              ;   in Loop: Header=BB197_31 Depth=1
	v_bfe_u32 v22, v0, 16, 1
	s_delay_alu instid0(VALU_DEP_1)
	v_add3_u32 v151, v0, v22, 0x7fff
                                        ; implicit-def: $vgpr0
; %bb.203:                              ;   in Loop: Header=BB197_31 Depth=1
	s_and_not1_saveexec_b32 s7, s0
; %bb.204:                              ;   in Loop: Header=BB197_31 Depth=1
	v_and_b32_e32 v22, 0xffff, v0
	v_or_b32_e32 v83, 0x10000, v0
	s_delay_alu instid0(VALU_DEP_2) | instskip(NEXT) | instid1(VALU_DEP_1)
	v_cmp_eq_u32_e64 s0, 0, v22
	v_cndmask_b32_e64 v151, v83, v0, s0
; %bb.205:                              ;   in Loop: Header=BB197_31 Depth=1
	s_or_b32 exec_lo, exec_lo, s7
	v_lshlrev_b32_e32 v0, 16, v39
                                        ; implicit-def: $vgpr160
	s_delay_alu instid0(VALU_DEP_1) | instskip(NEXT) | instid1(VALU_DEP_1)
	v_mul_f32_e32 v0, v102, v0
	v_and_b32_e32 v22, 0x7f800000, v0
	s_delay_alu instid0(VALU_DEP_1) | instskip(NEXT) | instid1(VALU_DEP_1)
	v_cmp_ne_u32_e64 s0, 0x7f800000, v22
	s_and_saveexec_b32 s7, s0
	s_delay_alu instid0(SALU_CYCLE_1)
	s_xor_b32 s0, exec_lo, s7
; %bb.206:                              ;   in Loop: Header=BB197_31 Depth=1
	v_bfe_u32 v22, v0, 16, 1
	s_delay_alu instid0(VALU_DEP_1)
	v_add3_u32 v160, v0, v22, 0x7fff
                                        ; implicit-def: $vgpr0
; %bb.207:                              ;   in Loop: Header=BB197_31 Depth=1
	s_and_not1_saveexec_b32 s7, s0
; %bb.208:                              ;   in Loop: Header=BB197_31 Depth=1
	v_and_b32_e32 v22, 0xffff, v0
	v_or_b32_e32 v39, 0x10000, v0
	s_delay_alu instid0(VALU_DEP_2) | instskip(NEXT) | instid1(VALU_DEP_1)
	v_cmp_eq_u32_e64 s0, 0, v22
	v_cndmask_b32_e64 v160, v39, v0, s0
; %bb.209:                              ;   in Loop: Header=BB197_31 Depth=1
	s_or_b32 exec_lo, exec_lo, s7
	v_lshlrev_b32_e32 v0, 16, v1
                                        ; implicit-def: $vgpr161
	s_delay_alu instid0(VALU_DEP_1) | instskip(NEXT) | instid1(VALU_DEP_1)
	v_mul_f32_e32 v0, v103, v0
	v_and_b32_e32 v1, 0x7f800000, v0
	s_delay_alu instid0(VALU_DEP_1) | instskip(NEXT) | instid1(VALU_DEP_1)
	v_cmp_ne_u32_e64 s0, 0x7f800000, v1
	s_and_saveexec_b32 s7, s0
	s_delay_alu instid0(SALU_CYCLE_1)
	s_xor_b32 s0, exec_lo, s7
; %bb.210:                              ;   in Loop: Header=BB197_31 Depth=1
	v_bfe_u32 v1, v0, 16, 1
	s_delay_alu instid0(VALU_DEP_1)
	v_add3_u32 v161, v0, v1, 0x7fff
                                        ; implicit-def: $vgpr0
; %bb.211:                              ;   in Loop: Header=BB197_31 Depth=1
	s_and_not1_saveexec_b32 s7, s0
; %bb.212:                              ;   in Loop: Header=BB197_31 Depth=1
	v_and_b32_e32 v1, 0xffff, v0
	v_or_b32_e32 v22, 0x10000, v0
	s_delay_alu instid0(VALU_DEP_2) | instskip(NEXT) | instid1(VALU_DEP_1)
	v_cmp_eq_u32_e64 s0, 0, v1
	v_cndmask_b32_e64 v161, v22, v0, s0
; %bb.213:                              ;   in Loop: Header=BB197_31 Depth=1
	s_or_b32 exec_lo, exec_lo, s7
	v_lshlrev_b32_e32 v0, 16, v12
                                        ; implicit-def: $vgpr162
	s_delay_alu instid0(VALU_DEP_1) | instskip(NEXT) | instid1(VALU_DEP_1)
	v_mul_f32_e32 v0, v112, v0
	v_and_b32_e32 v1, 0x7f800000, v0
	s_delay_alu instid0(VALU_DEP_1) | instskip(NEXT) | instid1(VALU_DEP_1)
	v_cmp_ne_u32_e64 s0, 0x7f800000, v1
	s_and_saveexec_b32 s7, s0
	s_delay_alu instid0(SALU_CYCLE_1)
	s_xor_b32 s0, exec_lo, s7
; %bb.214:                              ;   in Loop: Header=BB197_31 Depth=1
	v_bfe_u32 v1, v0, 16, 1
	s_delay_alu instid0(VALU_DEP_1)
	v_add3_u32 v162, v0, v1, 0x7fff
                                        ; implicit-def: $vgpr0
; %bb.215:                              ;   in Loop: Header=BB197_31 Depth=1
	s_and_not1_saveexec_b32 s7, s0
; %bb.216:                              ;   in Loop: Header=BB197_31 Depth=1
	v_and_b32_e32 v1, 0xffff, v0
	v_or_b32_e32 v12, 0x10000, v0
	s_delay_alu instid0(VALU_DEP_2) | instskip(NEXT) | instid1(VALU_DEP_1)
	v_cmp_eq_u32_e64 s0, 0, v1
	v_cndmask_b32_e64 v162, v12, v0, s0
; %bb.217:                              ;   in Loop: Header=BB197_31 Depth=1
	s_or_b32 exec_lo, exec_lo, s7
	v_lshlrev_b32_e32 v0, 16, v2
                                        ; implicit-def: $vgpr163
	s_delay_alu instid0(VALU_DEP_1) | instskip(NEXT) | instid1(VALU_DEP_1)
	v_mul_f32_e32 v0, v113, v0
	v_and_b32_e32 v1, 0x7f800000, v0
	s_delay_alu instid0(VALU_DEP_1) | instskip(NEXT) | instid1(VALU_DEP_1)
	v_cmp_ne_u32_e64 s0, 0x7f800000, v1
	s_and_saveexec_b32 s7, s0
	s_delay_alu instid0(SALU_CYCLE_1)
	s_xor_b32 s0, exec_lo, s7
; %bb.218:                              ;   in Loop: Header=BB197_31 Depth=1
	v_bfe_u32 v1, v0, 16, 1
	s_delay_alu instid0(VALU_DEP_1)
	v_add3_u32 v163, v0, v1, 0x7fff
                                        ; implicit-def: $vgpr0
; %bb.219:                              ;   in Loop: Header=BB197_31 Depth=1
	s_and_not1_saveexec_b32 s7, s0
; %bb.220:                              ;   in Loop: Header=BB197_31 Depth=1
	v_and_b32_e32 v1, 0xffff, v0
	v_or_b32_e32 v2, 0x10000, v0
	s_delay_alu instid0(VALU_DEP_2) | instskip(NEXT) | instid1(VALU_DEP_1)
	v_cmp_eq_u32_e64 s0, 0, v1
	v_cndmask_b32_e64 v163, v2, v0, s0
; %bb.221:                              ;   in Loop: Header=BB197_31 Depth=1
	s_or_b32 exec_lo, exec_lo, s7
	v_lshlrev_b32_e32 v0, 16, v5
                                        ; implicit-def: $vgpr164
	s_delay_alu instid0(VALU_DEP_1) | instskip(NEXT) | instid1(VALU_DEP_1)
	v_mul_f32_e32 v0, v114, v0
	v_and_b32_e32 v1, 0x7f800000, v0
	s_delay_alu instid0(VALU_DEP_1) | instskip(NEXT) | instid1(VALU_DEP_1)
	v_cmp_ne_u32_e64 s0, 0x7f800000, v1
	s_and_saveexec_b32 s7, s0
	s_delay_alu instid0(SALU_CYCLE_1)
	s_xor_b32 s0, exec_lo, s7
; %bb.222:                              ;   in Loop: Header=BB197_31 Depth=1
	v_bfe_u32 v1, v0, 16, 1
	s_delay_alu instid0(VALU_DEP_1)
	v_add3_u32 v164, v0, v1, 0x7fff
                                        ; implicit-def: $vgpr0
; %bb.223:                              ;   in Loop: Header=BB197_31 Depth=1
	s_and_not1_saveexec_b32 s7, s0
; %bb.224:                              ;   in Loop: Header=BB197_31 Depth=1
	v_and_b32_e32 v1, 0xffff, v0
	v_or_b32_e32 v2, 0x10000, v0
	s_delay_alu instid0(VALU_DEP_2) | instskip(NEXT) | instid1(VALU_DEP_1)
	v_cmp_eq_u32_e64 s0, 0, v1
	v_cndmask_b32_e64 v164, v2, v0, s0
; %bb.225:                              ;   in Loop: Header=BB197_31 Depth=1
	s_or_b32 exec_lo, exec_lo, s7
	v_lshlrev_b32_e32 v0, 16, v3
                                        ; implicit-def: $vgpr165
	s_delay_alu instid0(VALU_DEP_1) | instskip(NEXT) | instid1(VALU_DEP_1)
	v_mul_f32_e32 v0, v115, v0
	v_and_b32_e32 v1, 0x7f800000, v0
	s_delay_alu instid0(VALU_DEP_1) | instskip(NEXT) | instid1(VALU_DEP_1)
	v_cmp_ne_u32_e64 s0, 0x7f800000, v1
	s_and_saveexec_b32 s7, s0
	s_delay_alu instid0(SALU_CYCLE_1)
	s_xor_b32 s0, exec_lo, s7
; %bb.226:                              ;   in Loop: Header=BB197_31 Depth=1
	v_bfe_u32 v1, v0, 16, 1
	s_delay_alu instid0(VALU_DEP_1)
	v_add3_u32 v165, v0, v1, 0x7fff
                                        ; implicit-def: $vgpr0
; %bb.227:                              ;   in Loop: Header=BB197_31 Depth=1
	s_and_not1_saveexec_b32 s7, s0
; %bb.228:                              ;   in Loop: Header=BB197_31 Depth=1
	v_and_b32_e32 v1, 0xffff, v0
	v_or_b32_e32 v2, 0x10000, v0
	s_delay_alu instid0(VALU_DEP_2) | instskip(NEXT) | instid1(VALU_DEP_1)
	v_cmp_eq_u32_e64 s0, 0, v1
	v_cndmask_b32_e64 v165, v2, v0, s0
; %bb.229:                              ;   in Loop: Header=BB197_31 Depth=1
	s_or_b32 exec_lo, exec_lo, s7
	v_lshlrev_b32_e32 v0, 16, v4
                                        ; implicit-def: $vgpr166
	s_delay_alu instid0(VALU_DEP_1) | instskip(NEXT) | instid1(VALU_DEP_1)
	v_mul_f32_e32 v0, v116, v0
	v_and_b32_e32 v1, 0x7f800000, v0
	s_delay_alu instid0(VALU_DEP_1) | instskip(NEXT) | instid1(VALU_DEP_1)
	v_cmp_ne_u32_e64 s0, 0x7f800000, v1
	s_and_saveexec_b32 s7, s0
	s_delay_alu instid0(SALU_CYCLE_1)
	s_xor_b32 s0, exec_lo, s7
; %bb.230:                              ;   in Loop: Header=BB197_31 Depth=1
	v_bfe_u32 v1, v0, 16, 1
	s_delay_alu instid0(VALU_DEP_1)
	v_add3_u32 v166, v0, v1, 0x7fff
                                        ; implicit-def: $vgpr0
; %bb.231:                              ;   in Loop: Header=BB197_31 Depth=1
	s_and_not1_saveexec_b32 s7, s0
; %bb.232:                              ;   in Loop: Header=BB197_31 Depth=1
	v_and_b32_e32 v1, 0xffff, v0
	v_or_b32_e32 v2, 0x10000, v0
	s_delay_alu instid0(VALU_DEP_2) | instskip(NEXT) | instid1(VALU_DEP_1)
	v_cmp_eq_u32_e64 s0, 0, v1
	v_cndmask_b32_e64 v166, v2, v0, s0
; %bb.233:                              ;   in Loop: Header=BB197_31 Depth=1
	s_or_b32 exec_lo, exec_lo, s7
	flat_load_b128 v[0:3], v[6:7] offset:2560
	s_waitcnt vmcnt(0) lgkmcnt(0)
	v_lshrrev_b32_e32 v39, 16, v0
	v_lshrrev_b32_e32 v12, 16, v1
	v_lshrrev_b32_e32 v5, 16, v2
	v_lshrrev_b32_e32 v4, 16, v3
	s_and_saveexec_b32 s7, vcc_lo
	s_cbranch_execz .LBB197_235
; %bb.234:                              ;   in Loop: Header=BB197_31 Depth=1
	v_cmp_lt_i32_e64 s0, v80, v82
	s_delay_alu instid0(VALU_DEP_1) | instskip(SKIP_1) | instid1(VALU_DEP_1)
	v_cndmask_b32_e64 v0, 0, v0, s0
	v_cmp_lt_i32_e64 s0, v97, v82
	v_cndmask_b32_e64 v39, 0, v39, s0
	v_cmp_lt_i32_e64 s0, v87, v82
	s_delay_alu instid0(VALU_DEP_1) | instskip(SKIP_1) | instid1(VALU_DEP_1)
	v_cndmask_b32_e64 v1, 0, v1, s0
	v_cmp_lt_i32_e64 s0, v86, v82
	v_cndmask_b32_e64 v12, 0, v12, s0
	v_cmp_lt_i32_e64 s0, v85, v82
	s_delay_alu instid0(VALU_DEP_1) | instskip(SKIP_1) | instid1(VALU_DEP_1)
	v_cndmask_b32_e64 v2, 0, v2, s0
	v_cmp_lt_i32_e64 s0, v81, v82
	v_cndmask_b32_e64 v5, 0, v5, s0
	v_cmp_lt_i32_e64 s0, v96, v82
	s_delay_alu instid0(VALU_DEP_1) | instskip(SKIP_1) | instid1(VALU_DEP_1)
	v_cndmask_b32_e64 v3, 0, v3, s0
	v_cmp_lt_i32_e64 s0, v14, v82
	v_cndmask_b32_e64 v4, 0, v4, s0
.LBB197_235:                            ;   in Loop: Header=BB197_31 Depth=1
	s_or_b32 exec_lo, exec_lo, s7
	v_lshlrev_b32_e32 v0, 16, v0
                                        ; implicit-def: $vgpr167
	s_delay_alu instid0(VALU_DEP_1) | instskip(NEXT) | instid1(VALU_DEP_1)
	v_mul_f32_e32 v0, v101, v0
	v_and_b32_e32 v22, 0x7f800000, v0
	s_delay_alu instid0(VALU_DEP_1) | instskip(NEXT) | instid1(VALU_DEP_1)
	v_cmp_ne_u32_e64 s0, 0x7f800000, v22
	s_and_saveexec_b32 s7, s0
	s_delay_alu instid0(SALU_CYCLE_1)
	s_xor_b32 s0, exec_lo, s7
; %bb.236:                              ;   in Loop: Header=BB197_31 Depth=1
	v_bfe_u32 v22, v0, 16, 1
	s_delay_alu instid0(VALU_DEP_1)
	v_add3_u32 v167, v0, v22, 0x7fff
                                        ; implicit-def: $vgpr0
; %bb.237:                              ;   in Loop: Header=BB197_31 Depth=1
	s_and_not1_saveexec_b32 s7, s0
; %bb.238:                              ;   in Loop: Header=BB197_31 Depth=1
	v_and_b32_e32 v22, 0xffff, v0
	v_or_b32_e32 v83, 0x10000, v0
	s_delay_alu instid0(VALU_DEP_2) | instskip(NEXT) | instid1(VALU_DEP_1)
	v_cmp_eq_u32_e64 s0, 0, v22
	v_cndmask_b32_e64 v167, v83, v0, s0
; %bb.239:                              ;   in Loop: Header=BB197_31 Depth=1
	s_or_b32 exec_lo, exec_lo, s7
	v_lshlrev_b32_e32 v0, 16, v39
                                        ; implicit-def: $vgpr176
	s_delay_alu instid0(VALU_DEP_1) | instskip(NEXT) | instid1(VALU_DEP_1)
	v_mul_f32_e32 v0, v102, v0
	v_and_b32_e32 v22, 0x7f800000, v0
	s_delay_alu instid0(VALU_DEP_1) | instskip(NEXT) | instid1(VALU_DEP_1)
	v_cmp_ne_u32_e64 s0, 0x7f800000, v22
	s_and_saveexec_b32 s7, s0
	s_delay_alu instid0(SALU_CYCLE_1)
	s_xor_b32 s0, exec_lo, s7
; %bb.240:                              ;   in Loop: Header=BB197_31 Depth=1
	v_bfe_u32 v22, v0, 16, 1
	s_delay_alu instid0(VALU_DEP_1)
	v_add3_u32 v176, v0, v22, 0x7fff
                                        ; implicit-def: $vgpr0
; %bb.241:                              ;   in Loop: Header=BB197_31 Depth=1
	s_and_not1_saveexec_b32 s7, s0
; %bb.242:                              ;   in Loop: Header=BB197_31 Depth=1
	v_and_b32_e32 v22, 0xffff, v0
	v_or_b32_e32 v39, 0x10000, v0
	s_delay_alu instid0(VALU_DEP_2) | instskip(NEXT) | instid1(VALU_DEP_1)
	v_cmp_eq_u32_e64 s0, 0, v22
	v_cndmask_b32_e64 v176, v39, v0, s0
; %bb.243:                              ;   in Loop: Header=BB197_31 Depth=1
	s_or_b32 exec_lo, exec_lo, s7
	v_lshlrev_b32_e32 v0, 16, v1
                                        ; implicit-def: $vgpr177
	s_delay_alu instid0(VALU_DEP_1) | instskip(NEXT) | instid1(VALU_DEP_1)
	v_mul_f32_e32 v0, v103, v0
	v_and_b32_e32 v1, 0x7f800000, v0
	s_delay_alu instid0(VALU_DEP_1) | instskip(NEXT) | instid1(VALU_DEP_1)
	v_cmp_ne_u32_e64 s0, 0x7f800000, v1
	s_and_saveexec_b32 s7, s0
	s_delay_alu instid0(SALU_CYCLE_1)
	s_xor_b32 s0, exec_lo, s7
; %bb.244:                              ;   in Loop: Header=BB197_31 Depth=1
	v_bfe_u32 v1, v0, 16, 1
	s_delay_alu instid0(VALU_DEP_1)
	v_add3_u32 v177, v0, v1, 0x7fff
                                        ; implicit-def: $vgpr0
; %bb.245:                              ;   in Loop: Header=BB197_31 Depth=1
	s_and_not1_saveexec_b32 s7, s0
; %bb.246:                              ;   in Loop: Header=BB197_31 Depth=1
	v_and_b32_e32 v1, 0xffff, v0
	v_or_b32_e32 v22, 0x10000, v0
	s_delay_alu instid0(VALU_DEP_2) | instskip(NEXT) | instid1(VALU_DEP_1)
	v_cmp_eq_u32_e64 s0, 0, v1
	v_cndmask_b32_e64 v177, v22, v0, s0
; %bb.247:                              ;   in Loop: Header=BB197_31 Depth=1
	s_or_b32 exec_lo, exec_lo, s7
	v_lshlrev_b32_e32 v0, 16, v12
                                        ; implicit-def: $vgpr178
	s_delay_alu instid0(VALU_DEP_1) | instskip(NEXT) | instid1(VALU_DEP_1)
	v_mul_f32_e32 v0, v112, v0
	v_and_b32_e32 v1, 0x7f800000, v0
	s_delay_alu instid0(VALU_DEP_1) | instskip(NEXT) | instid1(VALU_DEP_1)
	v_cmp_ne_u32_e64 s0, 0x7f800000, v1
	s_and_saveexec_b32 s7, s0
	s_delay_alu instid0(SALU_CYCLE_1)
	s_xor_b32 s0, exec_lo, s7
; %bb.248:                              ;   in Loop: Header=BB197_31 Depth=1
	v_bfe_u32 v1, v0, 16, 1
	s_delay_alu instid0(VALU_DEP_1)
	v_add3_u32 v178, v0, v1, 0x7fff
                                        ; implicit-def: $vgpr0
; %bb.249:                              ;   in Loop: Header=BB197_31 Depth=1
	s_and_not1_saveexec_b32 s7, s0
; %bb.250:                              ;   in Loop: Header=BB197_31 Depth=1
	v_and_b32_e32 v1, 0xffff, v0
	v_or_b32_e32 v12, 0x10000, v0
	s_delay_alu instid0(VALU_DEP_2) | instskip(NEXT) | instid1(VALU_DEP_1)
	v_cmp_eq_u32_e64 s0, 0, v1
	v_cndmask_b32_e64 v178, v12, v0, s0
; %bb.251:                              ;   in Loop: Header=BB197_31 Depth=1
	s_or_b32 exec_lo, exec_lo, s7
	v_lshlrev_b32_e32 v0, 16, v2
                                        ; implicit-def: $vgpr179
	s_delay_alu instid0(VALU_DEP_1) | instskip(NEXT) | instid1(VALU_DEP_1)
	v_mul_f32_e32 v0, v113, v0
	v_and_b32_e32 v1, 0x7f800000, v0
	s_delay_alu instid0(VALU_DEP_1) | instskip(NEXT) | instid1(VALU_DEP_1)
	v_cmp_ne_u32_e64 s0, 0x7f800000, v1
	s_and_saveexec_b32 s7, s0
	s_delay_alu instid0(SALU_CYCLE_1)
	s_xor_b32 s0, exec_lo, s7
; %bb.252:                              ;   in Loop: Header=BB197_31 Depth=1
	v_bfe_u32 v1, v0, 16, 1
	s_delay_alu instid0(VALU_DEP_1)
	v_add3_u32 v179, v0, v1, 0x7fff
                                        ; implicit-def: $vgpr0
; %bb.253:                              ;   in Loop: Header=BB197_31 Depth=1
	s_and_not1_saveexec_b32 s7, s0
; %bb.254:                              ;   in Loop: Header=BB197_31 Depth=1
	v_and_b32_e32 v1, 0xffff, v0
	v_or_b32_e32 v2, 0x10000, v0
	s_delay_alu instid0(VALU_DEP_2) | instskip(NEXT) | instid1(VALU_DEP_1)
	v_cmp_eq_u32_e64 s0, 0, v1
	v_cndmask_b32_e64 v179, v2, v0, s0
; %bb.255:                              ;   in Loop: Header=BB197_31 Depth=1
	s_or_b32 exec_lo, exec_lo, s7
	v_lshlrev_b32_e32 v0, 16, v5
                                        ; implicit-def: $vgpr180
	s_delay_alu instid0(VALU_DEP_1) | instskip(NEXT) | instid1(VALU_DEP_1)
	v_mul_f32_e32 v0, v114, v0
	v_and_b32_e32 v1, 0x7f800000, v0
	s_delay_alu instid0(VALU_DEP_1) | instskip(NEXT) | instid1(VALU_DEP_1)
	v_cmp_ne_u32_e64 s0, 0x7f800000, v1
	s_and_saveexec_b32 s7, s0
	s_delay_alu instid0(SALU_CYCLE_1)
	s_xor_b32 s0, exec_lo, s7
; %bb.256:                              ;   in Loop: Header=BB197_31 Depth=1
	v_bfe_u32 v1, v0, 16, 1
	s_delay_alu instid0(VALU_DEP_1)
	v_add3_u32 v180, v0, v1, 0x7fff
                                        ; implicit-def: $vgpr0
; %bb.257:                              ;   in Loop: Header=BB197_31 Depth=1
	s_and_not1_saveexec_b32 s7, s0
; %bb.258:                              ;   in Loop: Header=BB197_31 Depth=1
	v_and_b32_e32 v1, 0xffff, v0
	v_or_b32_e32 v2, 0x10000, v0
	s_delay_alu instid0(VALU_DEP_2) | instskip(NEXT) | instid1(VALU_DEP_1)
	v_cmp_eq_u32_e64 s0, 0, v1
	v_cndmask_b32_e64 v180, v2, v0, s0
; %bb.259:                              ;   in Loop: Header=BB197_31 Depth=1
	s_or_b32 exec_lo, exec_lo, s7
	v_lshlrev_b32_e32 v0, 16, v3
                                        ; implicit-def: $vgpr181
	s_delay_alu instid0(VALU_DEP_1) | instskip(NEXT) | instid1(VALU_DEP_1)
	v_mul_f32_e32 v0, v115, v0
	v_and_b32_e32 v1, 0x7f800000, v0
	s_delay_alu instid0(VALU_DEP_1) | instskip(NEXT) | instid1(VALU_DEP_1)
	v_cmp_ne_u32_e64 s0, 0x7f800000, v1
	s_and_saveexec_b32 s7, s0
	s_delay_alu instid0(SALU_CYCLE_1)
	s_xor_b32 s0, exec_lo, s7
; %bb.260:                              ;   in Loop: Header=BB197_31 Depth=1
	v_bfe_u32 v1, v0, 16, 1
	s_delay_alu instid0(VALU_DEP_1)
	v_add3_u32 v181, v0, v1, 0x7fff
                                        ; implicit-def: $vgpr0
; %bb.261:                              ;   in Loop: Header=BB197_31 Depth=1
	s_and_not1_saveexec_b32 s7, s0
; %bb.262:                              ;   in Loop: Header=BB197_31 Depth=1
	v_and_b32_e32 v1, 0xffff, v0
	v_or_b32_e32 v2, 0x10000, v0
	s_delay_alu instid0(VALU_DEP_2) | instskip(NEXT) | instid1(VALU_DEP_1)
	v_cmp_eq_u32_e64 s0, 0, v1
	v_cndmask_b32_e64 v181, v2, v0, s0
; %bb.263:                              ;   in Loop: Header=BB197_31 Depth=1
	s_or_b32 exec_lo, exec_lo, s7
	v_lshlrev_b32_e32 v0, 16, v4
                                        ; implicit-def: $vgpr182
	s_delay_alu instid0(VALU_DEP_1) | instskip(NEXT) | instid1(VALU_DEP_1)
	v_mul_f32_e32 v0, v116, v0
	v_and_b32_e32 v1, 0x7f800000, v0
	s_delay_alu instid0(VALU_DEP_1) | instskip(NEXT) | instid1(VALU_DEP_1)
	v_cmp_ne_u32_e64 s0, 0x7f800000, v1
	s_and_saveexec_b32 s7, s0
	s_delay_alu instid0(SALU_CYCLE_1)
	s_xor_b32 s0, exec_lo, s7
; %bb.264:                              ;   in Loop: Header=BB197_31 Depth=1
	v_bfe_u32 v1, v0, 16, 1
	s_delay_alu instid0(VALU_DEP_1)
	v_add3_u32 v182, v0, v1, 0x7fff
                                        ; implicit-def: $vgpr0
; %bb.265:                              ;   in Loop: Header=BB197_31 Depth=1
	s_and_not1_saveexec_b32 s7, s0
; %bb.266:                              ;   in Loop: Header=BB197_31 Depth=1
	v_and_b32_e32 v1, 0xffff, v0
	v_or_b32_e32 v2, 0x10000, v0
	s_delay_alu instid0(VALU_DEP_2) | instskip(NEXT) | instid1(VALU_DEP_1)
	v_cmp_eq_u32_e64 s0, 0, v1
	v_cndmask_b32_e64 v182, v2, v0, s0
; %bb.267:                              ;   in Loop: Header=BB197_31 Depth=1
	s_or_b32 exec_lo, exec_lo, s7
	flat_load_b128 v[0:3], v[6:7] offset:3072
	s_waitcnt vmcnt(0) lgkmcnt(0)
	v_lshrrev_b32_e32 v39, 16, v0
	v_lshrrev_b32_e32 v12, 16, v1
	;; [unrolled: 1-line block ×4, first 2 shown]
	s_and_saveexec_b32 s7, vcc_lo
	s_cbranch_execz .LBB197_269
; %bb.268:                              ;   in Loop: Header=BB197_31 Depth=1
	v_cmp_lt_i32_e64 s0, v80, v82
	s_delay_alu instid0(VALU_DEP_1) | instskip(SKIP_1) | instid1(VALU_DEP_1)
	v_cndmask_b32_e64 v0, 0, v0, s0
	v_cmp_lt_i32_e64 s0, v97, v82
	v_cndmask_b32_e64 v39, 0, v39, s0
	v_cmp_lt_i32_e64 s0, v87, v82
	s_delay_alu instid0(VALU_DEP_1) | instskip(SKIP_1) | instid1(VALU_DEP_1)
	v_cndmask_b32_e64 v1, 0, v1, s0
	v_cmp_lt_i32_e64 s0, v86, v82
	v_cndmask_b32_e64 v12, 0, v12, s0
	;; [unrolled: 5-line block ×4, first 2 shown]
.LBB197_269:                            ;   in Loop: Header=BB197_31 Depth=1
	s_or_b32 exec_lo, exec_lo, s7
	v_lshlrev_b32_e32 v0, 16, v0
                                        ; implicit-def: $vgpr183
	s_delay_alu instid0(VALU_DEP_1) | instskip(NEXT) | instid1(VALU_DEP_1)
	v_mul_f32_e32 v0, v101, v0
	v_and_b32_e32 v22, 0x7f800000, v0
	s_delay_alu instid0(VALU_DEP_1) | instskip(NEXT) | instid1(VALU_DEP_1)
	v_cmp_ne_u32_e64 s0, 0x7f800000, v22
	s_and_saveexec_b32 s7, s0
	s_delay_alu instid0(SALU_CYCLE_1)
	s_xor_b32 s0, exec_lo, s7
; %bb.270:                              ;   in Loop: Header=BB197_31 Depth=1
	v_bfe_u32 v22, v0, 16, 1
	s_delay_alu instid0(VALU_DEP_1)
	v_add3_u32 v183, v0, v22, 0x7fff
                                        ; implicit-def: $vgpr0
; %bb.271:                              ;   in Loop: Header=BB197_31 Depth=1
	s_and_not1_saveexec_b32 s7, s0
; %bb.272:                              ;   in Loop: Header=BB197_31 Depth=1
	v_and_b32_e32 v22, 0xffff, v0
	v_or_b32_e32 v83, 0x10000, v0
	s_delay_alu instid0(VALU_DEP_2) | instskip(NEXT) | instid1(VALU_DEP_1)
	v_cmp_eq_u32_e64 s0, 0, v22
	v_cndmask_b32_e64 v183, v83, v0, s0
; %bb.273:                              ;   in Loop: Header=BB197_31 Depth=1
	s_or_b32 exec_lo, exec_lo, s7
	v_lshlrev_b32_e32 v0, 16, v39
                                        ; implicit-def: $vgpr40
	s_delay_alu instid0(VALU_DEP_1) | instskip(NEXT) | instid1(VALU_DEP_1)
	v_mul_f32_e32 v0, v102, v0
	v_and_b32_e32 v22, 0x7f800000, v0
	s_delay_alu instid0(VALU_DEP_1) | instskip(NEXT) | instid1(VALU_DEP_1)
	v_cmp_ne_u32_e64 s0, 0x7f800000, v22
	s_and_saveexec_b32 s7, s0
	s_delay_alu instid0(SALU_CYCLE_1)
	s_xor_b32 s0, exec_lo, s7
; %bb.274:                              ;   in Loop: Header=BB197_31 Depth=1
	v_bfe_u32 v22, v0, 16, 1
	s_delay_alu instid0(VALU_DEP_1)
	v_add3_u32 v40, v0, v22, 0x7fff
                                        ; implicit-def: $vgpr0
; %bb.275:                              ;   in Loop: Header=BB197_31 Depth=1
	s_and_not1_saveexec_b32 s7, s0
; %bb.276:                              ;   in Loop: Header=BB197_31 Depth=1
	v_and_b32_e32 v22, 0xffff, v0
	v_or_b32_e32 v39, 0x10000, v0
	s_delay_alu instid0(VALU_DEP_2) | instskip(NEXT) | instid1(VALU_DEP_1)
	v_cmp_eq_u32_e64 s0, 0, v22
	v_cndmask_b32_e64 v40, v39, v0, s0
; %bb.277:                              ;   in Loop: Header=BB197_31 Depth=1
	s_or_b32 exec_lo, exec_lo, s7
	v_lshlrev_b32_e32 v0, 16, v1
                                        ; implicit-def: $vgpr41
	s_delay_alu instid0(VALU_DEP_1) | instskip(NEXT) | instid1(VALU_DEP_1)
	v_mul_f32_e32 v0, v103, v0
	v_and_b32_e32 v1, 0x7f800000, v0
	s_delay_alu instid0(VALU_DEP_1) | instskip(NEXT) | instid1(VALU_DEP_1)
	v_cmp_ne_u32_e64 s0, 0x7f800000, v1
	s_and_saveexec_b32 s7, s0
	s_delay_alu instid0(SALU_CYCLE_1)
	s_xor_b32 s0, exec_lo, s7
; %bb.278:                              ;   in Loop: Header=BB197_31 Depth=1
	v_bfe_u32 v1, v0, 16, 1
	s_delay_alu instid0(VALU_DEP_1)
	v_add3_u32 v41, v0, v1, 0x7fff
                                        ; implicit-def: $vgpr0
; %bb.279:                              ;   in Loop: Header=BB197_31 Depth=1
	s_and_not1_saveexec_b32 s7, s0
; %bb.280:                              ;   in Loop: Header=BB197_31 Depth=1
	v_and_b32_e32 v1, 0xffff, v0
	v_or_b32_e32 v22, 0x10000, v0
	s_delay_alu instid0(VALU_DEP_2) | instskip(NEXT) | instid1(VALU_DEP_1)
	v_cmp_eq_u32_e64 s0, 0, v1
	v_cndmask_b32_e64 v41, v22, v0, s0
; %bb.281:                              ;   in Loop: Header=BB197_31 Depth=1
	s_or_b32 exec_lo, exec_lo, s7
	v_lshlrev_b32_e32 v0, 16, v12
                                        ; implicit-def: $vgpr42
	s_delay_alu instid0(VALU_DEP_1) | instskip(NEXT) | instid1(VALU_DEP_1)
	v_mul_f32_e32 v0, v112, v0
	v_and_b32_e32 v1, 0x7f800000, v0
	s_delay_alu instid0(VALU_DEP_1) | instskip(NEXT) | instid1(VALU_DEP_1)
	v_cmp_ne_u32_e64 s0, 0x7f800000, v1
	s_and_saveexec_b32 s7, s0
	s_delay_alu instid0(SALU_CYCLE_1)
	s_xor_b32 s0, exec_lo, s7
; %bb.282:                              ;   in Loop: Header=BB197_31 Depth=1
	v_bfe_u32 v1, v0, 16, 1
	s_delay_alu instid0(VALU_DEP_1)
	v_add3_u32 v42, v0, v1, 0x7fff
                                        ; implicit-def: $vgpr0
; %bb.283:                              ;   in Loop: Header=BB197_31 Depth=1
	s_and_not1_saveexec_b32 s7, s0
; %bb.284:                              ;   in Loop: Header=BB197_31 Depth=1
	v_and_b32_e32 v1, 0xffff, v0
	v_or_b32_e32 v12, 0x10000, v0
	s_delay_alu instid0(VALU_DEP_2) | instskip(NEXT) | instid1(VALU_DEP_1)
	v_cmp_eq_u32_e64 s0, 0, v1
	v_cndmask_b32_e64 v42, v12, v0, s0
; %bb.285:                              ;   in Loop: Header=BB197_31 Depth=1
	s_or_b32 exec_lo, exec_lo, s7
	v_lshlrev_b32_e32 v0, 16, v2
                                        ; implicit-def: $vgpr43
	s_delay_alu instid0(VALU_DEP_1) | instskip(NEXT) | instid1(VALU_DEP_1)
	v_mul_f32_e32 v0, v113, v0
	v_and_b32_e32 v1, 0x7f800000, v0
	s_delay_alu instid0(VALU_DEP_1) | instskip(NEXT) | instid1(VALU_DEP_1)
	v_cmp_ne_u32_e64 s0, 0x7f800000, v1
	s_and_saveexec_b32 s7, s0
	s_delay_alu instid0(SALU_CYCLE_1)
	s_xor_b32 s0, exec_lo, s7
; %bb.286:                              ;   in Loop: Header=BB197_31 Depth=1
	v_bfe_u32 v1, v0, 16, 1
	s_delay_alu instid0(VALU_DEP_1)
	v_add3_u32 v43, v0, v1, 0x7fff
                                        ; implicit-def: $vgpr0
; %bb.287:                              ;   in Loop: Header=BB197_31 Depth=1
	s_and_not1_saveexec_b32 s7, s0
; %bb.288:                              ;   in Loop: Header=BB197_31 Depth=1
	v_and_b32_e32 v1, 0xffff, v0
	v_or_b32_e32 v2, 0x10000, v0
	s_delay_alu instid0(VALU_DEP_2) | instskip(NEXT) | instid1(VALU_DEP_1)
	v_cmp_eq_u32_e64 s0, 0, v1
	v_cndmask_b32_e64 v43, v2, v0, s0
; %bb.289:                              ;   in Loop: Header=BB197_31 Depth=1
	s_or_b32 exec_lo, exec_lo, s7
	v_lshlrev_b32_e32 v0, 16, v5
                                        ; implicit-def: $vgpr44
	s_delay_alu instid0(VALU_DEP_1) | instskip(NEXT) | instid1(VALU_DEP_1)
	v_mul_f32_e32 v0, v114, v0
	v_and_b32_e32 v1, 0x7f800000, v0
	s_delay_alu instid0(VALU_DEP_1) | instskip(NEXT) | instid1(VALU_DEP_1)
	v_cmp_ne_u32_e64 s0, 0x7f800000, v1
	s_and_saveexec_b32 s7, s0
	s_delay_alu instid0(SALU_CYCLE_1)
	s_xor_b32 s0, exec_lo, s7
; %bb.290:                              ;   in Loop: Header=BB197_31 Depth=1
	v_bfe_u32 v1, v0, 16, 1
	s_delay_alu instid0(VALU_DEP_1)
	v_add3_u32 v44, v0, v1, 0x7fff
                                        ; implicit-def: $vgpr0
; %bb.291:                              ;   in Loop: Header=BB197_31 Depth=1
	s_and_not1_saveexec_b32 s7, s0
; %bb.292:                              ;   in Loop: Header=BB197_31 Depth=1
	v_and_b32_e32 v1, 0xffff, v0
	v_or_b32_e32 v2, 0x10000, v0
	s_delay_alu instid0(VALU_DEP_2) | instskip(NEXT) | instid1(VALU_DEP_1)
	v_cmp_eq_u32_e64 s0, 0, v1
	v_cndmask_b32_e64 v44, v2, v0, s0
; %bb.293:                              ;   in Loop: Header=BB197_31 Depth=1
	s_or_b32 exec_lo, exec_lo, s7
	v_lshlrev_b32_e32 v0, 16, v3
                                        ; implicit-def: $vgpr45
	s_delay_alu instid0(VALU_DEP_1) | instskip(NEXT) | instid1(VALU_DEP_1)
	v_mul_f32_e32 v0, v115, v0
	v_and_b32_e32 v1, 0x7f800000, v0
	s_delay_alu instid0(VALU_DEP_1) | instskip(NEXT) | instid1(VALU_DEP_1)
	v_cmp_ne_u32_e64 s0, 0x7f800000, v1
	s_and_saveexec_b32 s7, s0
	s_delay_alu instid0(SALU_CYCLE_1)
	s_xor_b32 s0, exec_lo, s7
; %bb.294:                              ;   in Loop: Header=BB197_31 Depth=1
	v_bfe_u32 v1, v0, 16, 1
	s_delay_alu instid0(VALU_DEP_1)
	v_add3_u32 v45, v0, v1, 0x7fff
                                        ; implicit-def: $vgpr0
; %bb.295:                              ;   in Loop: Header=BB197_31 Depth=1
	s_and_not1_saveexec_b32 s7, s0
; %bb.296:                              ;   in Loop: Header=BB197_31 Depth=1
	v_and_b32_e32 v1, 0xffff, v0
	v_or_b32_e32 v2, 0x10000, v0
	s_delay_alu instid0(VALU_DEP_2) | instskip(NEXT) | instid1(VALU_DEP_1)
	v_cmp_eq_u32_e64 s0, 0, v1
	v_cndmask_b32_e64 v45, v2, v0, s0
; %bb.297:                              ;   in Loop: Header=BB197_31 Depth=1
	s_or_b32 exec_lo, exec_lo, s7
	v_lshlrev_b32_e32 v0, 16, v4
                                        ; implicit-def: $vgpr46
	s_delay_alu instid0(VALU_DEP_1) | instskip(NEXT) | instid1(VALU_DEP_1)
	v_mul_f32_e32 v0, v116, v0
	v_and_b32_e32 v1, 0x7f800000, v0
	s_delay_alu instid0(VALU_DEP_1) | instskip(NEXT) | instid1(VALU_DEP_1)
	v_cmp_ne_u32_e64 s0, 0x7f800000, v1
	s_and_saveexec_b32 s7, s0
	s_delay_alu instid0(SALU_CYCLE_1)
	s_xor_b32 s0, exec_lo, s7
; %bb.298:                              ;   in Loop: Header=BB197_31 Depth=1
	v_bfe_u32 v1, v0, 16, 1
	s_delay_alu instid0(VALU_DEP_1)
	v_add3_u32 v46, v0, v1, 0x7fff
                                        ; implicit-def: $vgpr0
; %bb.299:                              ;   in Loop: Header=BB197_31 Depth=1
	s_and_not1_saveexec_b32 s7, s0
; %bb.300:                              ;   in Loop: Header=BB197_31 Depth=1
	v_and_b32_e32 v1, 0xffff, v0
	v_or_b32_e32 v2, 0x10000, v0
	s_delay_alu instid0(VALU_DEP_2) | instskip(NEXT) | instid1(VALU_DEP_1)
	v_cmp_eq_u32_e64 s0, 0, v1
	v_cndmask_b32_e64 v46, v2, v0, s0
; %bb.301:                              ;   in Loop: Header=BB197_31 Depth=1
	s_or_b32 exec_lo, exec_lo, s7
	flat_load_b128 v[0:3], v[6:7] offset:3584
	s_waitcnt vmcnt(0) lgkmcnt(0)
	v_lshrrev_b32_e32 v7, 16, v0
	v_lshrrev_b32_e32 v12, 16, v1
	;; [unrolled: 1-line block ×4, first 2 shown]
	s_and_saveexec_b32 s7, vcc_lo
	s_cbranch_execz .LBB197_303
; %bb.302:                              ;   in Loop: Header=BB197_31 Depth=1
	v_cmp_lt_i32_e64 s0, v80, v82
	s_delay_alu instid0(VALU_DEP_1) | instskip(SKIP_1) | instid1(VALU_DEP_1)
	v_cndmask_b32_e64 v0, 0, v0, s0
	v_cmp_lt_i32_e64 s0, v97, v82
	v_cndmask_b32_e64 v7, 0, v7, s0
	v_cmp_lt_i32_e64 s0, v87, v82
	s_delay_alu instid0(VALU_DEP_1) | instskip(SKIP_1) | instid1(VALU_DEP_1)
	v_cndmask_b32_e64 v1, 0, v1, s0
	v_cmp_lt_i32_e64 s0, v86, v82
	v_cndmask_b32_e64 v12, 0, v12, s0
	;; [unrolled: 5-line block ×4, first 2 shown]
.LBB197_303:                            ;   in Loop: Header=BB197_31 Depth=1
	s_or_b32 exec_lo, exec_lo, s7
	v_lshlrev_b32_e32 v0, 16, v0
	s_delay_alu instid0(VALU_DEP_1) | instskip(NEXT) | instid1(VALU_DEP_1)
	v_mul_f32_e32 v0, v101, v0
	v_and_b32_e32 v6, 0x7f800000, v0
	s_delay_alu instid0(VALU_DEP_1) | instskip(NEXT) | instid1(VALU_DEP_1)
	v_cmp_ne_u32_e64 s0, 0x7f800000, v6
                                        ; implicit-def: $vgpr6
	s_and_saveexec_b32 s7, s0
	s_delay_alu instid0(SALU_CYCLE_1)
	s_xor_b32 s0, exec_lo, s7
; %bb.304:                              ;   in Loop: Header=BB197_31 Depth=1
	v_bfe_u32 v6, v0, 16, 1
	s_delay_alu instid0(VALU_DEP_1)
	v_add3_u32 v6, v0, v6, 0x7fff
                                        ; implicit-def: $vgpr0
; %bb.305:                              ;   in Loop: Header=BB197_31 Depth=1
	s_and_not1_saveexec_b32 s7, s0
; %bb.306:                              ;   in Loop: Header=BB197_31 Depth=1
	v_and_b32_e32 v6, 0xffff, v0
	v_or_b32_e32 v22, 0x10000, v0
	s_delay_alu instid0(VALU_DEP_2) | instskip(NEXT) | instid1(VALU_DEP_1)
	v_cmp_eq_u32_e64 s0, 0, v6
	v_cndmask_b32_e64 v6, v22, v0, s0
; %bb.307:                              ;   in Loop: Header=BB197_31 Depth=1
	s_or_b32 exec_lo, exec_lo, s7
	v_lshlrev_b32_e32 v0, 16, v7
	s_delay_alu instid0(VALU_DEP_1) | instskip(NEXT) | instid1(VALU_DEP_1)
	v_mul_f32_e32 v0, v102, v0
	v_and_b32_e32 v7, 0x7f800000, v0
	s_delay_alu instid0(VALU_DEP_1) | instskip(NEXT) | instid1(VALU_DEP_1)
	v_cmp_ne_u32_e64 s0, 0x7f800000, v7
                                        ; implicit-def: $vgpr7
	s_and_saveexec_b32 s7, s0
	s_delay_alu instid0(SALU_CYCLE_1)
	s_xor_b32 s0, exec_lo, s7
; %bb.308:                              ;   in Loop: Header=BB197_31 Depth=1
	v_bfe_u32 v7, v0, 16, 1
	s_delay_alu instid0(VALU_DEP_1)
	v_add3_u32 v7, v0, v7, 0x7fff
                                        ; implicit-def: $vgpr0
; %bb.309:                              ;   in Loop: Header=BB197_31 Depth=1
	s_and_not1_saveexec_b32 s7, s0
; %bb.310:                              ;   in Loop: Header=BB197_31 Depth=1
	v_and_b32_e32 v7, 0xffff, v0
	v_or_b32_e32 v22, 0x10000, v0
	s_delay_alu instid0(VALU_DEP_2) | instskip(NEXT) | instid1(VALU_DEP_1)
	v_cmp_eq_u32_e64 s0, 0, v7
	v_cndmask_b32_e64 v7, v22, v0, s0
; %bb.311:                              ;   in Loop: Header=BB197_31 Depth=1
	s_or_b32 exec_lo, exec_lo, s7
	v_lshlrev_b32_e32 v0, 16, v1
                                        ; implicit-def: $vgpr47
	s_delay_alu instid0(VALU_DEP_1) | instskip(NEXT) | instid1(VALU_DEP_1)
	v_mul_f32_e32 v0, v103, v0
	v_and_b32_e32 v1, 0x7f800000, v0
	s_delay_alu instid0(VALU_DEP_1) | instskip(NEXT) | instid1(VALU_DEP_1)
	v_cmp_ne_u32_e64 s0, 0x7f800000, v1
	s_and_saveexec_b32 s7, s0
	s_delay_alu instid0(SALU_CYCLE_1)
	s_xor_b32 s0, exec_lo, s7
; %bb.312:                              ;   in Loop: Header=BB197_31 Depth=1
	v_bfe_u32 v1, v0, 16, 1
	s_delay_alu instid0(VALU_DEP_1)
	v_add3_u32 v47, v0, v1, 0x7fff
                                        ; implicit-def: $vgpr0
; %bb.313:                              ;   in Loop: Header=BB197_31 Depth=1
	s_and_not1_saveexec_b32 s7, s0
; %bb.314:                              ;   in Loop: Header=BB197_31 Depth=1
	v_and_b32_e32 v1, 0xffff, v0
	v_or_b32_e32 v22, 0x10000, v0
	s_delay_alu instid0(VALU_DEP_2) | instskip(NEXT) | instid1(VALU_DEP_1)
	v_cmp_eq_u32_e64 s0, 0, v1
	v_cndmask_b32_e64 v47, v22, v0, s0
; %bb.315:                              ;   in Loop: Header=BB197_31 Depth=1
	s_or_b32 exec_lo, exec_lo, s7
	v_lshlrev_b32_e32 v0, 16, v12
                                        ; implicit-def: $vgpr56
	s_delay_alu instid0(VALU_DEP_1) | instskip(NEXT) | instid1(VALU_DEP_1)
	v_mul_f32_e32 v0, v112, v0
	v_and_b32_e32 v1, 0x7f800000, v0
	s_delay_alu instid0(VALU_DEP_1) | instskip(NEXT) | instid1(VALU_DEP_1)
	v_cmp_ne_u32_e64 s0, 0x7f800000, v1
	s_and_saveexec_b32 s7, s0
	s_delay_alu instid0(SALU_CYCLE_1)
	s_xor_b32 s0, exec_lo, s7
; %bb.316:                              ;   in Loop: Header=BB197_31 Depth=1
	v_bfe_u32 v1, v0, 16, 1
	s_delay_alu instid0(VALU_DEP_1)
	v_add3_u32 v56, v0, v1, 0x7fff
                                        ; implicit-def: $vgpr0
; %bb.317:                              ;   in Loop: Header=BB197_31 Depth=1
	s_and_not1_saveexec_b32 s7, s0
; %bb.318:                              ;   in Loop: Header=BB197_31 Depth=1
	v_and_b32_e32 v1, 0xffff, v0
	v_or_b32_e32 v12, 0x10000, v0
	s_delay_alu instid0(VALU_DEP_2) | instskip(NEXT) | instid1(VALU_DEP_1)
	v_cmp_eq_u32_e64 s0, 0, v1
	v_cndmask_b32_e64 v56, v12, v0, s0
; %bb.319:                              ;   in Loop: Header=BB197_31 Depth=1
	s_or_b32 exec_lo, exec_lo, s7
	v_lshlrev_b32_e32 v0, 16, v2
                                        ; implicit-def: $vgpr57
	s_delay_alu instid0(VALU_DEP_1) | instskip(NEXT) | instid1(VALU_DEP_1)
	v_mul_f32_e32 v0, v113, v0
	v_and_b32_e32 v1, 0x7f800000, v0
	s_delay_alu instid0(VALU_DEP_1) | instskip(NEXT) | instid1(VALU_DEP_1)
	v_cmp_ne_u32_e64 s0, 0x7f800000, v1
	s_and_saveexec_b32 s7, s0
	s_delay_alu instid0(SALU_CYCLE_1)
	s_xor_b32 s0, exec_lo, s7
; %bb.320:                              ;   in Loop: Header=BB197_31 Depth=1
	v_bfe_u32 v1, v0, 16, 1
	s_delay_alu instid0(VALU_DEP_1)
	v_add3_u32 v57, v0, v1, 0x7fff
                                        ; implicit-def: $vgpr0
; %bb.321:                              ;   in Loop: Header=BB197_31 Depth=1
	s_and_not1_saveexec_b32 s7, s0
; %bb.322:                              ;   in Loop: Header=BB197_31 Depth=1
	v_and_b32_e32 v1, 0xffff, v0
	v_or_b32_e32 v2, 0x10000, v0
	s_delay_alu instid0(VALU_DEP_2) | instskip(NEXT) | instid1(VALU_DEP_1)
	v_cmp_eq_u32_e64 s0, 0, v1
	v_cndmask_b32_e64 v57, v2, v0, s0
; %bb.323:                              ;   in Loop: Header=BB197_31 Depth=1
	s_or_b32 exec_lo, exec_lo, s7
	v_lshlrev_b32_e32 v0, 16, v5
                                        ; implicit-def: $vgpr58
	s_delay_alu instid0(VALU_DEP_1) | instskip(NEXT) | instid1(VALU_DEP_1)
	v_mul_f32_e32 v0, v114, v0
	v_and_b32_e32 v1, 0x7f800000, v0
	s_delay_alu instid0(VALU_DEP_1) | instskip(NEXT) | instid1(VALU_DEP_1)
	v_cmp_ne_u32_e64 s0, 0x7f800000, v1
	s_and_saveexec_b32 s7, s0
	s_delay_alu instid0(SALU_CYCLE_1)
	s_xor_b32 s0, exec_lo, s7
; %bb.324:                              ;   in Loop: Header=BB197_31 Depth=1
	v_bfe_u32 v1, v0, 16, 1
	s_delay_alu instid0(VALU_DEP_1)
	v_add3_u32 v58, v0, v1, 0x7fff
                                        ; implicit-def: $vgpr0
; %bb.325:                              ;   in Loop: Header=BB197_31 Depth=1
	s_and_not1_saveexec_b32 s7, s0
; %bb.326:                              ;   in Loop: Header=BB197_31 Depth=1
	v_and_b32_e32 v1, 0xffff, v0
	v_or_b32_e32 v2, 0x10000, v0
	s_delay_alu instid0(VALU_DEP_2) | instskip(NEXT) | instid1(VALU_DEP_1)
	v_cmp_eq_u32_e64 s0, 0, v1
	v_cndmask_b32_e64 v58, v2, v0, s0
; %bb.327:                              ;   in Loop: Header=BB197_31 Depth=1
	s_or_b32 exec_lo, exec_lo, s7
	v_lshlrev_b32_e32 v0, 16, v3
                                        ; implicit-def: $vgpr59
	s_delay_alu instid0(VALU_DEP_1) | instskip(NEXT) | instid1(VALU_DEP_1)
	v_mul_f32_e32 v0, v115, v0
	v_and_b32_e32 v1, 0x7f800000, v0
	s_delay_alu instid0(VALU_DEP_1) | instskip(NEXT) | instid1(VALU_DEP_1)
	v_cmp_ne_u32_e64 s0, 0x7f800000, v1
	s_and_saveexec_b32 s7, s0
	s_delay_alu instid0(SALU_CYCLE_1)
	s_xor_b32 s0, exec_lo, s7
; %bb.328:                              ;   in Loop: Header=BB197_31 Depth=1
	v_bfe_u32 v1, v0, 16, 1
	s_delay_alu instid0(VALU_DEP_1)
	v_add3_u32 v59, v0, v1, 0x7fff
                                        ; implicit-def: $vgpr0
; %bb.329:                              ;   in Loop: Header=BB197_31 Depth=1
	s_and_not1_saveexec_b32 s7, s0
; %bb.330:                              ;   in Loop: Header=BB197_31 Depth=1
	v_and_b32_e32 v1, 0xffff, v0
	v_or_b32_e32 v2, 0x10000, v0
	s_delay_alu instid0(VALU_DEP_2) | instskip(NEXT) | instid1(VALU_DEP_1)
	v_cmp_eq_u32_e64 s0, 0, v1
	v_cndmask_b32_e64 v59, v2, v0, s0
; %bb.331:                              ;   in Loop: Header=BB197_31 Depth=1
	s_or_b32 exec_lo, exec_lo, s7
	v_lshlrev_b32_e32 v0, 16, v4
                                        ; implicit-def: $vgpr60
	s_delay_alu instid0(VALU_DEP_1) | instskip(NEXT) | instid1(VALU_DEP_1)
	v_mul_f32_e32 v0, v116, v0
	v_and_b32_e32 v1, 0x7f800000, v0
	s_delay_alu instid0(VALU_DEP_1) | instskip(NEXT) | instid1(VALU_DEP_1)
	v_cmp_ne_u32_e64 s0, 0x7f800000, v1
	s_and_saveexec_b32 s7, s0
	s_delay_alu instid0(SALU_CYCLE_1)
	s_xor_b32 s0, exec_lo, s7
; %bb.332:                              ;   in Loop: Header=BB197_31 Depth=1
	v_bfe_u32 v1, v0, 16, 1
	s_delay_alu instid0(VALU_DEP_1)
	v_add3_u32 v60, v0, v1, 0x7fff
                                        ; implicit-def: $vgpr0
; %bb.333:                              ;   in Loop: Header=BB197_31 Depth=1
	s_and_not1_saveexec_b32 s7, s0
; %bb.334:                              ;   in Loop: Header=BB197_31 Depth=1
	v_and_b32_e32 v1, 0xffff, v0
	v_or_b32_e32 v2, 0x10000, v0
	s_delay_alu instid0(VALU_DEP_2) | instskip(NEXT) | instid1(VALU_DEP_1)
	v_cmp_eq_u32_e64 s0, 0, v1
	v_cndmask_b32_e64 v60, v2, v0, s0
; %bb.335:                              ;   in Loop: Header=BB197_31 Depth=1
	s_or_b32 exec_lo, exec_lo, s7
	v_add_co_u32 v0, s0, v98, v38
	s_delay_alu instid0(VALU_DEP_1)
	v_add_co_ci_u32_e64 v1, s0, 0, v99, s0
	flat_load_b128 v[0:3], v[0:1]
	s_waitcnt vmcnt(0) lgkmcnt(0)
	v_lshrrev_b32_e32 v39, 16, v0
	v_lshrrev_b32_e32 v12, 16, v1
	;; [unrolled: 1-line block ×4, first 2 shown]
	s_and_saveexec_b32 s7, vcc_lo
	s_cbranch_execz .LBB197_337
; %bb.336:                              ;   in Loop: Header=BB197_31 Depth=1
	v_cmp_lt_i32_e64 s0, v80, v82
	s_delay_alu instid0(VALU_DEP_1) | instskip(SKIP_1) | instid1(VALU_DEP_1)
	v_cndmask_b32_e64 v0, 0, v0, s0
	v_cmp_lt_i32_e64 s0, v97, v82
	v_cndmask_b32_e64 v39, 0, v39, s0
	v_cmp_lt_i32_e64 s0, v87, v82
	s_delay_alu instid0(VALU_DEP_1) | instskip(SKIP_1) | instid1(VALU_DEP_1)
	v_cndmask_b32_e64 v1, 0, v1, s0
	v_cmp_lt_i32_e64 s0, v86, v82
	v_cndmask_b32_e64 v12, 0, v12, s0
	;; [unrolled: 5-line block ×4, first 2 shown]
.LBB197_337:                            ;   in Loop: Header=BB197_31 Depth=1
	s_or_b32 exec_lo, exec_lo, s7
	v_lshlrev_b32_e32 v0, 16, v0
                                        ; implicit-def: $vgpr61
	s_delay_alu instid0(VALU_DEP_1) | instskip(NEXT) | instid1(VALU_DEP_1)
	v_mul_f32_e32 v0, v101, v0
	v_and_b32_e32 v22, 0x7f800000, v0
	s_delay_alu instid0(VALU_DEP_1) | instskip(NEXT) | instid1(VALU_DEP_1)
	v_cmp_ne_u32_e64 s0, 0x7f800000, v22
	s_and_saveexec_b32 s7, s0
	s_delay_alu instid0(SALU_CYCLE_1)
	s_xor_b32 s0, exec_lo, s7
; %bb.338:                              ;   in Loop: Header=BB197_31 Depth=1
	v_bfe_u32 v22, v0, 16, 1
	s_delay_alu instid0(VALU_DEP_1)
	v_add3_u32 v61, v0, v22, 0x7fff
                                        ; implicit-def: $vgpr0
; %bb.339:                              ;   in Loop: Header=BB197_31 Depth=1
	s_and_not1_saveexec_b32 s7, s0
; %bb.340:                              ;   in Loop: Header=BB197_31 Depth=1
	v_and_b32_e32 v22, 0xffff, v0
	v_or_b32_e32 v83, 0x10000, v0
	s_delay_alu instid0(VALU_DEP_2) | instskip(NEXT) | instid1(VALU_DEP_1)
	v_cmp_eq_u32_e64 s0, 0, v22
	v_cndmask_b32_e64 v61, v83, v0, s0
; %bb.341:                              ;   in Loop: Header=BB197_31 Depth=1
	s_or_b32 exec_lo, exec_lo, s7
	v_lshlrev_b32_e32 v0, 16, v39
                                        ; implicit-def: $vgpr62
	s_delay_alu instid0(VALU_DEP_1) | instskip(NEXT) | instid1(VALU_DEP_1)
	v_mul_f32_e32 v0, v102, v0
	v_and_b32_e32 v22, 0x7f800000, v0
	s_delay_alu instid0(VALU_DEP_1) | instskip(NEXT) | instid1(VALU_DEP_1)
	v_cmp_ne_u32_e64 s0, 0x7f800000, v22
	s_and_saveexec_b32 s7, s0
	s_delay_alu instid0(SALU_CYCLE_1)
	s_xor_b32 s0, exec_lo, s7
; %bb.342:                              ;   in Loop: Header=BB197_31 Depth=1
	v_bfe_u32 v22, v0, 16, 1
	s_delay_alu instid0(VALU_DEP_1)
	v_add3_u32 v62, v0, v22, 0x7fff
                                        ; implicit-def: $vgpr0
; %bb.343:                              ;   in Loop: Header=BB197_31 Depth=1
	s_and_not1_saveexec_b32 s7, s0
; %bb.344:                              ;   in Loop: Header=BB197_31 Depth=1
	v_and_b32_e32 v22, 0xffff, v0
	v_or_b32_e32 v39, 0x10000, v0
	s_delay_alu instid0(VALU_DEP_2) | instskip(NEXT) | instid1(VALU_DEP_1)
	v_cmp_eq_u32_e64 s0, 0, v22
	v_cndmask_b32_e64 v62, v39, v0, s0
; %bb.345:                              ;   in Loop: Header=BB197_31 Depth=1
	s_or_b32 exec_lo, exec_lo, s7
	v_lshlrev_b32_e32 v0, 16, v1
                                        ; implicit-def: $vgpr63
	s_delay_alu instid0(VALU_DEP_1) | instskip(NEXT) | instid1(VALU_DEP_1)
	v_mul_f32_e32 v0, v103, v0
	v_and_b32_e32 v1, 0x7f800000, v0
	s_delay_alu instid0(VALU_DEP_1) | instskip(NEXT) | instid1(VALU_DEP_1)
	v_cmp_ne_u32_e64 s0, 0x7f800000, v1
	s_and_saveexec_b32 s7, s0
	s_delay_alu instid0(SALU_CYCLE_1)
	s_xor_b32 s0, exec_lo, s7
; %bb.346:                              ;   in Loop: Header=BB197_31 Depth=1
	v_bfe_u32 v1, v0, 16, 1
	s_delay_alu instid0(VALU_DEP_1)
	v_add3_u32 v63, v0, v1, 0x7fff
                                        ; implicit-def: $vgpr0
; %bb.347:                              ;   in Loop: Header=BB197_31 Depth=1
	s_and_not1_saveexec_b32 s7, s0
; %bb.348:                              ;   in Loop: Header=BB197_31 Depth=1
	v_and_b32_e32 v1, 0xffff, v0
	v_or_b32_e32 v22, 0x10000, v0
	s_delay_alu instid0(VALU_DEP_2) | instskip(NEXT) | instid1(VALU_DEP_1)
	v_cmp_eq_u32_e64 s0, 0, v1
	v_cndmask_b32_e64 v63, v22, v0, s0
; %bb.349:                              ;   in Loop: Header=BB197_31 Depth=1
	s_or_b32 exec_lo, exec_lo, s7
	v_lshlrev_b32_e32 v0, 16, v12
                                        ; implicit-def: $vgpr72
	s_delay_alu instid0(VALU_DEP_1) | instskip(NEXT) | instid1(VALU_DEP_1)
	v_mul_f32_e32 v0, v112, v0
	v_and_b32_e32 v1, 0x7f800000, v0
	s_delay_alu instid0(VALU_DEP_1) | instskip(NEXT) | instid1(VALU_DEP_1)
	v_cmp_ne_u32_e64 s0, 0x7f800000, v1
	s_and_saveexec_b32 s7, s0
	s_delay_alu instid0(SALU_CYCLE_1)
	s_xor_b32 s0, exec_lo, s7
; %bb.350:                              ;   in Loop: Header=BB197_31 Depth=1
	v_bfe_u32 v1, v0, 16, 1
	s_delay_alu instid0(VALU_DEP_1)
	v_add3_u32 v72, v0, v1, 0x7fff
                                        ; implicit-def: $vgpr0
; %bb.351:                              ;   in Loop: Header=BB197_31 Depth=1
	s_and_not1_saveexec_b32 s7, s0
; %bb.352:                              ;   in Loop: Header=BB197_31 Depth=1
	v_and_b32_e32 v1, 0xffff, v0
	v_or_b32_e32 v12, 0x10000, v0
	s_delay_alu instid0(VALU_DEP_2) | instskip(NEXT) | instid1(VALU_DEP_1)
	v_cmp_eq_u32_e64 s0, 0, v1
	v_cndmask_b32_e64 v72, v12, v0, s0
; %bb.353:                              ;   in Loop: Header=BB197_31 Depth=1
	s_or_b32 exec_lo, exec_lo, s7
	v_lshlrev_b32_e32 v0, 16, v2
                                        ; implicit-def: $vgpr73
	s_delay_alu instid0(VALU_DEP_1) | instskip(NEXT) | instid1(VALU_DEP_1)
	v_mul_f32_e32 v0, v113, v0
	v_and_b32_e32 v1, 0x7f800000, v0
	s_delay_alu instid0(VALU_DEP_1) | instskip(NEXT) | instid1(VALU_DEP_1)
	v_cmp_ne_u32_e64 s0, 0x7f800000, v1
	s_and_saveexec_b32 s7, s0
	s_delay_alu instid0(SALU_CYCLE_1)
	s_xor_b32 s0, exec_lo, s7
; %bb.354:                              ;   in Loop: Header=BB197_31 Depth=1
	v_bfe_u32 v1, v0, 16, 1
	s_delay_alu instid0(VALU_DEP_1)
	v_add3_u32 v73, v0, v1, 0x7fff
                                        ; implicit-def: $vgpr0
; %bb.355:                              ;   in Loop: Header=BB197_31 Depth=1
	s_and_not1_saveexec_b32 s7, s0
; %bb.356:                              ;   in Loop: Header=BB197_31 Depth=1
	v_and_b32_e32 v1, 0xffff, v0
	v_or_b32_e32 v2, 0x10000, v0
	s_delay_alu instid0(VALU_DEP_2) | instskip(NEXT) | instid1(VALU_DEP_1)
	v_cmp_eq_u32_e64 s0, 0, v1
	v_cndmask_b32_e64 v73, v2, v0, s0
; %bb.357:                              ;   in Loop: Header=BB197_31 Depth=1
	s_or_b32 exec_lo, exec_lo, s7
	v_lshlrev_b32_e32 v0, 16, v5
                                        ; implicit-def: $vgpr74
	s_delay_alu instid0(VALU_DEP_1) | instskip(NEXT) | instid1(VALU_DEP_1)
	v_mul_f32_e32 v0, v114, v0
	v_and_b32_e32 v1, 0x7f800000, v0
	s_delay_alu instid0(VALU_DEP_1) | instskip(NEXT) | instid1(VALU_DEP_1)
	v_cmp_ne_u32_e64 s0, 0x7f800000, v1
	s_and_saveexec_b32 s7, s0
	s_delay_alu instid0(SALU_CYCLE_1)
	s_xor_b32 s0, exec_lo, s7
; %bb.358:                              ;   in Loop: Header=BB197_31 Depth=1
	v_bfe_u32 v1, v0, 16, 1
	s_delay_alu instid0(VALU_DEP_1)
	v_add3_u32 v74, v0, v1, 0x7fff
                                        ; implicit-def: $vgpr0
; %bb.359:                              ;   in Loop: Header=BB197_31 Depth=1
	s_and_not1_saveexec_b32 s7, s0
; %bb.360:                              ;   in Loop: Header=BB197_31 Depth=1
	v_and_b32_e32 v1, 0xffff, v0
	v_or_b32_e32 v2, 0x10000, v0
	s_delay_alu instid0(VALU_DEP_2) | instskip(NEXT) | instid1(VALU_DEP_1)
	v_cmp_eq_u32_e64 s0, 0, v1
	v_cndmask_b32_e64 v74, v2, v0, s0
; %bb.361:                              ;   in Loop: Header=BB197_31 Depth=1
	s_or_b32 exec_lo, exec_lo, s7
	v_lshlrev_b32_e32 v0, 16, v3
                                        ; implicit-def: $vgpr75
	s_delay_alu instid0(VALU_DEP_1) | instskip(NEXT) | instid1(VALU_DEP_1)
	v_mul_f32_e32 v0, v115, v0
	v_and_b32_e32 v1, 0x7f800000, v0
	s_delay_alu instid0(VALU_DEP_1) | instskip(NEXT) | instid1(VALU_DEP_1)
	v_cmp_ne_u32_e64 s0, 0x7f800000, v1
	s_and_saveexec_b32 s7, s0
	s_delay_alu instid0(SALU_CYCLE_1)
	s_xor_b32 s0, exec_lo, s7
; %bb.362:                              ;   in Loop: Header=BB197_31 Depth=1
	v_bfe_u32 v1, v0, 16, 1
	s_delay_alu instid0(VALU_DEP_1)
	v_add3_u32 v75, v0, v1, 0x7fff
                                        ; implicit-def: $vgpr0
; %bb.363:                              ;   in Loop: Header=BB197_31 Depth=1
	s_and_not1_saveexec_b32 s7, s0
; %bb.364:                              ;   in Loop: Header=BB197_31 Depth=1
	v_and_b32_e32 v1, 0xffff, v0
	v_or_b32_e32 v2, 0x10000, v0
	s_delay_alu instid0(VALU_DEP_2) | instskip(NEXT) | instid1(VALU_DEP_1)
	v_cmp_eq_u32_e64 s0, 0, v1
	v_cndmask_b32_e64 v75, v2, v0, s0
; %bb.365:                              ;   in Loop: Header=BB197_31 Depth=1
	s_or_b32 exec_lo, exec_lo, s7
	v_lshlrev_b32_e32 v0, 16, v4
                                        ; implicit-def: $vgpr76
	s_delay_alu instid0(VALU_DEP_1) | instskip(NEXT) | instid1(VALU_DEP_1)
	v_mul_f32_e32 v0, v116, v0
	v_and_b32_e32 v1, 0x7f800000, v0
	s_delay_alu instid0(VALU_DEP_1) | instskip(NEXT) | instid1(VALU_DEP_1)
	v_cmp_ne_u32_e64 s0, 0x7f800000, v1
	s_and_saveexec_b32 s7, s0
	s_delay_alu instid0(SALU_CYCLE_1)
	s_xor_b32 s0, exec_lo, s7
; %bb.366:                              ;   in Loop: Header=BB197_31 Depth=1
	v_bfe_u32 v1, v0, 16, 1
	s_delay_alu instid0(VALU_DEP_1)
	v_add3_u32 v76, v0, v1, 0x7fff
                                        ; implicit-def: $vgpr0
; %bb.367:                              ;   in Loop: Header=BB197_31 Depth=1
	s_and_not1_saveexec_b32 s7, s0
; %bb.368:                              ;   in Loop: Header=BB197_31 Depth=1
	v_and_b32_e32 v1, 0xffff, v0
	v_or_b32_e32 v2, 0x10000, v0
	s_delay_alu instid0(VALU_DEP_2) | instskip(NEXT) | instid1(VALU_DEP_1)
	v_cmp_eq_u32_e64 s0, 0, v1
	v_cndmask_b32_e64 v76, v2, v0, s0
; %bb.369:                              ;   in Loop: Header=BB197_31 Depth=1
	s_or_b32 exec_lo, exec_lo, s7
	v_add_co_u32 v0, s0, v98, v48
	s_delay_alu instid0(VALU_DEP_1)
	v_add_co_ci_u32_e64 v1, s0, 0, v99, s0
	flat_load_b128 v[0:3], v[0:1]
	s_waitcnt vmcnt(0) lgkmcnt(0)
	v_lshrrev_b32_e32 v39, 16, v0
	v_lshrrev_b32_e32 v12, 16, v1
	;; [unrolled: 1-line block ×4, first 2 shown]
	s_and_saveexec_b32 s7, vcc_lo
	s_cbranch_execz .LBB197_371
; %bb.370:                              ;   in Loop: Header=BB197_31 Depth=1
	v_cmp_lt_i32_e64 s0, v80, v82
	s_delay_alu instid0(VALU_DEP_1) | instskip(SKIP_1) | instid1(VALU_DEP_1)
	v_cndmask_b32_e64 v0, 0, v0, s0
	v_cmp_lt_i32_e64 s0, v97, v82
	v_cndmask_b32_e64 v39, 0, v39, s0
	v_cmp_lt_i32_e64 s0, v87, v82
	s_delay_alu instid0(VALU_DEP_1) | instskip(SKIP_1) | instid1(VALU_DEP_1)
	v_cndmask_b32_e64 v1, 0, v1, s0
	v_cmp_lt_i32_e64 s0, v86, v82
	v_cndmask_b32_e64 v12, 0, v12, s0
	;; [unrolled: 5-line block ×4, first 2 shown]
.LBB197_371:                            ;   in Loop: Header=BB197_31 Depth=1
	s_or_b32 exec_lo, exec_lo, s7
	v_lshlrev_b32_e32 v0, 16, v0
                                        ; implicit-def: $vgpr77
	s_delay_alu instid0(VALU_DEP_1) | instskip(NEXT) | instid1(VALU_DEP_1)
	v_mul_f32_e32 v0, v101, v0
	v_and_b32_e32 v22, 0x7f800000, v0
	s_delay_alu instid0(VALU_DEP_1) | instskip(NEXT) | instid1(VALU_DEP_1)
	v_cmp_ne_u32_e64 s0, 0x7f800000, v22
	s_and_saveexec_b32 s7, s0
	s_delay_alu instid0(SALU_CYCLE_1)
	s_xor_b32 s0, exec_lo, s7
; %bb.372:                              ;   in Loop: Header=BB197_31 Depth=1
	v_bfe_u32 v22, v0, 16, 1
	s_delay_alu instid0(VALU_DEP_1)
	v_add3_u32 v77, v0, v22, 0x7fff
                                        ; implicit-def: $vgpr0
; %bb.373:                              ;   in Loop: Header=BB197_31 Depth=1
	s_and_not1_saveexec_b32 s7, s0
; %bb.374:                              ;   in Loop: Header=BB197_31 Depth=1
	v_and_b32_e32 v22, 0xffff, v0
	v_or_b32_e32 v83, 0x10000, v0
	s_delay_alu instid0(VALU_DEP_2) | instskip(NEXT) | instid1(VALU_DEP_1)
	v_cmp_eq_u32_e64 s0, 0, v22
	v_cndmask_b32_e64 v77, v83, v0, s0
; %bb.375:                              ;   in Loop: Header=BB197_31 Depth=1
	s_or_b32 exec_lo, exec_lo, s7
	v_lshlrev_b32_e32 v0, 16, v39
                                        ; implicit-def: $vgpr78
	s_delay_alu instid0(VALU_DEP_1) | instskip(NEXT) | instid1(VALU_DEP_1)
	v_mul_f32_e32 v0, v102, v0
	v_and_b32_e32 v22, 0x7f800000, v0
	s_delay_alu instid0(VALU_DEP_1) | instskip(NEXT) | instid1(VALU_DEP_1)
	v_cmp_ne_u32_e64 s0, 0x7f800000, v22
	s_and_saveexec_b32 s7, s0
	s_delay_alu instid0(SALU_CYCLE_1)
	s_xor_b32 s0, exec_lo, s7
; %bb.376:                              ;   in Loop: Header=BB197_31 Depth=1
	v_bfe_u32 v22, v0, 16, 1
	s_delay_alu instid0(VALU_DEP_1)
	v_add3_u32 v78, v0, v22, 0x7fff
                                        ; implicit-def: $vgpr0
; %bb.377:                              ;   in Loop: Header=BB197_31 Depth=1
	s_and_not1_saveexec_b32 s7, s0
; %bb.378:                              ;   in Loop: Header=BB197_31 Depth=1
	v_and_b32_e32 v22, 0xffff, v0
	v_or_b32_e32 v39, 0x10000, v0
	s_delay_alu instid0(VALU_DEP_2) | instskip(NEXT) | instid1(VALU_DEP_1)
	v_cmp_eq_u32_e64 s0, 0, v22
	v_cndmask_b32_e64 v78, v39, v0, s0
; %bb.379:                              ;   in Loop: Header=BB197_31 Depth=1
	s_or_b32 exec_lo, exec_lo, s7
	v_lshlrev_b32_e32 v0, 16, v1
                                        ; implicit-def: $vgpr79
	s_delay_alu instid0(VALU_DEP_1) | instskip(NEXT) | instid1(VALU_DEP_1)
	v_mul_f32_e32 v0, v103, v0
	v_and_b32_e32 v1, 0x7f800000, v0
	s_delay_alu instid0(VALU_DEP_1) | instskip(NEXT) | instid1(VALU_DEP_1)
	v_cmp_ne_u32_e64 s0, 0x7f800000, v1
	s_and_saveexec_b32 s7, s0
	s_delay_alu instid0(SALU_CYCLE_1)
	s_xor_b32 s0, exec_lo, s7
; %bb.380:                              ;   in Loop: Header=BB197_31 Depth=1
	v_bfe_u32 v1, v0, 16, 1
	s_delay_alu instid0(VALU_DEP_1)
	v_add3_u32 v79, v0, v1, 0x7fff
                                        ; implicit-def: $vgpr0
; %bb.381:                              ;   in Loop: Header=BB197_31 Depth=1
	s_and_not1_saveexec_b32 s7, s0
; %bb.382:                              ;   in Loop: Header=BB197_31 Depth=1
	v_and_b32_e32 v1, 0xffff, v0
	v_or_b32_e32 v22, 0x10000, v0
	s_delay_alu instid0(VALU_DEP_2) | instskip(NEXT) | instid1(VALU_DEP_1)
	v_cmp_eq_u32_e64 s0, 0, v1
	v_cndmask_b32_e64 v79, v22, v0, s0
; %bb.383:                              ;   in Loop: Header=BB197_31 Depth=1
	s_or_b32 exec_lo, exec_lo, s7
	v_lshlrev_b32_e32 v0, 16, v12
                                        ; implicit-def: $vgpr88
	s_delay_alu instid0(VALU_DEP_1) | instskip(NEXT) | instid1(VALU_DEP_1)
	v_mul_f32_e32 v0, v112, v0
	v_and_b32_e32 v1, 0x7f800000, v0
	s_delay_alu instid0(VALU_DEP_1) | instskip(NEXT) | instid1(VALU_DEP_1)
	v_cmp_ne_u32_e64 s0, 0x7f800000, v1
	s_and_saveexec_b32 s7, s0
	s_delay_alu instid0(SALU_CYCLE_1)
	s_xor_b32 s0, exec_lo, s7
; %bb.384:                              ;   in Loop: Header=BB197_31 Depth=1
	v_bfe_u32 v1, v0, 16, 1
	s_delay_alu instid0(VALU_DEP_1)
	v_add3_u32 v88, v0, v1, 0x7fff
                                        ; implicit-def: $vgpr0
; %bb.385:                              ;   in Loop: Header=BB197_31 Depth=1
	s_and_not1_saveexec_b32 s7, s0
; %bb.386:                              ;   in Loop: Header=BB197_31 Depth=1
	v_and_b32_e32 v1, 0xffff, v0
	v_or_b32_e32 v12, 0x10000, v0
	s_delay_alu instid0(VALU_DEP_2) | instskip(NEXT) | instid1(VALU_DEP_1)
	v_cmp_eq_u32_e64 s0, 0, v1
	v_cndmask_b32_e64 v88, v12, v0, s0
; %bb.387:                              ;   in Loop: Header=BB197_31 Depth=1
	s_or_b32 exec_lo, exec_lo, s7
	v_lshlrev_b32_e32 v0, 16, v2
                                        ; implicit-def: $vgpr89
	s_delay_alu instid0(VALU_DEP_1) | instskip(NEXT) | instid1(VALU_DEP_1)
	v_mul_f32_e32 v0, v113, v0
	v_and_b32_e32 v1, 0x7f800000, v0
	s_delay_alu instid0(VALU_DEP_1) | instskip(NEXT) | instid1(VALU_DEP_1)
	v_cmp_ne_u32_e64 s0, 0x7f800000, v1
	s_and_saveexec_b32 s7, s0
	s_delay_alu instid0(SALU_CYCLE_1)
	s_xor_b32 s0, exec_lo, s7
; %bb.388:                              ;   in Loop: Header=BB197_31 Depth=1
	v_bfe_u32 v1, v0, 16, 1
	s_delay_alu instid0(VALU_DEP_1)
	v_add3_u32 v89, v0, v1, 0x7fff
                                        ; implicit-def: $vgpr0
; %bb.389:                              ;   in Loop: Header=BB197_31 Depth=1
	s_and_not1_saveexec_b32 s7, s0
; %bb.390:                              ;   in Loop: Header=BB197_31 Depth=1
	v_and_b32_e32 v1, 0xffff, v0
	v_or_b32_e32 v2, 0x10000, v0
	s_delay_alu instid0(VALU_DEP_2) | instskip(NEXT) | instid1(VALU_DEP_1)
	v_cmp_eq_u32_e64 s0, 0, v1
	v_cndmask_b32_e64 v89, v2, v0, s0
; %bb.391:                              ;   in Loop: Header=BB197_31 Depth=1
	s_or_b32 exec_lo, exec_lo, s7
	v_lshlrev_b32_e32 v0, 16, v5
                                        ; implicit-def: $vgpr90
	s_delay_alu instid0(VALU_DEP_1) | instskip(NEXT) | instid1(VALU_DEP_1)
	v_mul_f32_e32 v0, v114, v0
	v_and_b32_e32 v1, 0x7f800000, v0
	s_delay_alu instid0(VALU_DEP_1) | instskip(NEXT) | instid1(VALU_DEP_1)
	v_cmp_ne_u32_e64 s0, 0x7f800000, v1
	s_and_saveexec_b32 s7, s0
	s_delay_alu instid0(SALU_CYCLE_1)
	s_xor_b32 s0, exec_lo, s7
; %bb.392:                              ;   in Loop: Header=BB197_31 Depth=1
	v_bfe_u32 v1, v0, 16, 1
	s_delay_alu instid0(VALU_DEP_1)
	v_add3_u32 v90, v0, v1, 0x7fff
                                        ; implicit-def: $vgpr0
; %bb.393:                              ;   in Loop: Header=BB197_31 Depth=1
	s_and_not1_saveexec_b32 s7, s0
; %bb.394:                              ;   in Loop: Header=BB197_31 Depth=1
	v_and_b32_e32 v1, 0xffff, v0
	v_or_b32_e32 v2, 0x10000, v0
	s_delay_alu instid0(VALU_DEP_2) | instskip(NEXT) | instid1(VALU_DEP_1)
	v_cmp_eq_u32_e64 s0, 0, v1
	v_cndmask_b32_e64 v90, v2, v0, s0
; %bb.395:                              ;   in Loop: Header=BB197_31 Depth=1
	s_or_b32 exec_lo, exec_lo, s7
	v_lshlrev_b32_e32 v0, 16, v3
                                        ; implicit-def: $vgpr91
	s_delay_alu instid0(VALU_DEP_1) | instskip(NEXT) | instid1(VALU_DEP_1)
	v_mul_f32_e32 v0, v115, v0
	v_and_b32_e32 v1, 0x7f800000, v0
	s_delay_alu instid0(VALU_DEP_1) | instskip(NEXT) | instid1(VALU_DEP_1)
	v_cmp_ne_u32_e64 s0, 0x7f800000, v1
	s_and_saveexec_b32 s7, s0
	s_delay_alu instid0(SALU_CYCLE_1)
	s_xor_b32 s0, exec_lo, s7
; %bb.396:                              ;   in Loop: Header=BB197_31 Depth=1
	v_bfe_u32 v1, v0, 16, 1
	s_delay_alu instid0(VALU_DEP_1)
	v_add3_u32 v91, v0, v1, 0x7fff
                                        ; implicit-def: $vgpr0
; %bb.397:                              ;   in Loop: Header=BB197_31 Depth=1
	s_and_not1_saveexec_b32 s7, s0
; %bb.398:                              ;   in Loop: Header=BB197_31 Depth=1
	v_and_b32_e32 v1, 0xffff, v0
	v_or_b32_e32 v2, 0x10000, v0
	s_delay_alu instid0(VALU_DEP_2) | instskip(NEXT) | instid1(VALU_DEP_1)
	v_cmp_eq_u32_e64 s0, 0, v1
	v_cndmask_b32_e64 v91, v2, v0, s0
; %bb.399:                              ;   in Loop: Header=BB197_31 Depth=1
	s_or_b32 exec_lo, exec_lo, s7
	v_lshlrev_b32_e32 v0, 16, v4
                                        ; implicit-def: $vgpr92
	s_delay_alu instid0(VALU_DEP_1) | instskip(NEXT) | instid1(VALU_DEP_1)
	v_mul_f32_e32 v0, v116, v0
	v_and_b32_e32 v1, 0x7f800000, v0
	s_delay_alu instid0(VALU_DEP_1) | instskip(NEXT) | instid1(VALU_DEP_1)
	v_cmp_ne_u32_e64 s0, 0x7f800000, v1
	s_and_saveexec_b32 s7, s0
	s_delay_alu instid0(SALU_CYCLE_1)
	s_xor_b32 s0, exec_lo, s7
; %bb.400:                              ;   in Loop: Header=BB197_31 Depth=1
	v_bfe_u32 v1, v0, 16, 1
	s_delay_alu instid0(VALU_DEP_1)
	v_add3_u32 v92, v0, v1, 0x7fff
                                        ; implicit-def: $vgpr0
; %bb.401:                              ;   in Loop: Header=BB197_31 Depth=1
	s_and_not1_saveexec_b32 s7, s0
; %bb.402:                              ;   in Loop: Header=BB197_31 Depth=1
	v_and_b32_e32 v1, 0xffff, v0
	v_or_b32_e32 v2, 0x10000, v0
	s_delay_alu instid0(VALU_DEP_2) | instskip(NEXT) | instid1(VALU_DEP_1)
	v_cmp_eq_u32_e64 s0, 0, v1
	v_cndmask_b32_e64 v92, v2, v0, s0
; %bb.403:                              ;   in Loop: Header=BB197_31 Depth=1
	s_or_b32 exec_lo, exec_lo, s7
	v_add_co_u32 v0, s0, v98, v49
	s_delay_alu instid0(VALU_DEP_1)
	v_add_co_ci_u32_e64 v1, s0, 0, v99, s0
	flat_load_b128 v[0:3], v[0:1]
	s_waitcnt vmcnt(0) lgkmcnt(0)
	v_lshrrev_b32_e32 v39, 16, v0
	v_lshrrev_b32_e32 v12, 16, v1
	;; [unrolled: 1-line block ×4, first 2 shown]
	s_and_saveexec_b32 s7, vcc_lo
	s_cbranch_execz .LBB197_405
; %bb.404:                              ;   in Loop: Header=BB197_31 Depth=1
	v_cmp_lt_i32_e64 s0, v80, v82
	s_delay_alu instid0(VALU_DEP_1) | instskip(SKIP_1) | instid1(VALU_DEP_1)
	v_cndmask_b32_e64 v0, 0, v0, s0
	v_cmp_lt_i32_e64 s0, v97, v82
	v_cndmask_b32_e64 v39, 0, v39, s0
	v_cmp_lt_i32_e64 s0, v87, v82
	s_delay_alu instid0(VALU_DEP_1) | instskip(SKIP_1) | instid1(VALU_DEP_1)
	v_cndmask_b32_e64 v1, 0, v1, s0
	v_cmp_lt_i32_e64 s0, v86, v82
	v_cndmask_b32_e64 v12, 0, v12, s0
	v_cmp_lt_i32_e64 s0, v85, v82
	s_delay_alu instid0(VALU_DEP_1) | instskip(SKIP_1) | instid1(VALU_DEP_1)
	v_cndmask_b32_e64 v2, 0, v2, s0
	v_cmp_lt_i32_e64 s0, v81, v82
	v_cndmask_b32_e64 v5, 0, v5, s0
	v_cmp_lt_i32_e64 s0, v96, v82
	s_delay_alu instid0(VALU_DEP_1) | instskip(SKIP_1) | instid1(VALU_DEP_1)
	v_cndmask_b32_e64 v3, 0, v3, s0
	v_cmp_lt_i32_e64 s0, v14, v82
	v_cndmask_b32_e64 v4, 0, v4, s0
.LBB197_405:                            ;   in Loop: Header=BB197_31 Depth=1
	s_or_b32 exec_lo, exec_lo, s7
	v_lshlrev_b32_e32 v0, 16, v0
                                        ; implicit-def: $vgpr93
	s_delay_alu instid0(VALU_DEP_1) | instskip(NEXT) | instid1(VALU_DEP_1)
	v_mul_f32_e32 v0, v101, v0
	v_and_b32_e32 v22, 0x7f800000, v0
	s_delay_alu instid0(VALU_DEP_1) | instskip(NEXT) | instid1(VALU_DEP_1)
	v_cmp_ne_u32_e64 s0, 0x7f800000, v22
	s_and_saveexec_b32 s7, s0
	s_delay_alu instid0(SALU_CYCLE_1)
	s_xor_b32 s0, exec_lo, s7
; %bb.406:                              ;   in Loop: Header=BB197_31 Depth=1
	v_bfe_u32 v22, v0, 16, 1
	s_delay_alu instid0(VALU_DEP_1)
	v_add3_u32 v93, v0, v22, 0x7fff
                                        ; implicit-def: $vgpr0
; %bb.407:                              ;   in Loop: Header=BB197_31 Depth=1
	s_and_not1_saveexec_b32 s7, s0
; %bb.408:                              ;   in Loop: Header=BB197_31 Depth=1
	v_and_b32_e32 v22, 0xffff, v0
	v_or_b32_e32 v83, 0x10000, v0
	s_delay_alu instid0(VALU_DEP_2) | instskip(NEXT) | instid1(VALU_DEP_1)
	v_cmp_eq_u32_e64 s0, 0, v22
	v_cndmask_b32_e64 v93, v83, v0, s0
; %bb.409:                              ;   in Loop: Header=BB197_31 Depth=1
	s_or_b32 exec_lo, exec_lo, s7
	v_lshlrev_b32_e32 v0, 16, v39
                                        ; implicit-def: $vgpr94
	s_delay_alu instid0(VALU_DEP_1) | instskip(NEXT) | instid1(VALU_DEP_1)
	v_mul_f32_e32 v0, v102, v0
	v_and_b32_e32 v22, 0x7f800000, v0
	s_delay_alu instid0(VALU_DEP_1) | instskip(NEXT) | instid1(VALU_DEP_1)
	v_cmp_ne_u32_e64 s0, 0x7f800000, v22
	s_and_saveexec_b32 s7, s0
	s_delay_alu instid0(SALU_CYCLE_1)
	s_xor_b32 s0, exec_lo, s7
; %bb.410:                              ;   in Loop: Header=BB197_31 Depth=1
	v_bfe_u32 v22, v0, 16, 1
	s_delay_alu instid0(VALU_DEP_1)
	v_add3_u32 v94, v0, v22, 0x7fff
                                        ; implicit-def: $vgpr0
; %bb.411:                              ;   in Loop: Header=BB197_31 Depth=1
	s_and_not1_saveexec_b32 s7, s0
; %bb.412:                              ;   in Loop: Header=BB197_31 Depth=1
	v_and_b32_e32 v22, 0xffff, v0
	v_or_b32_e32 v39, 0x10000, v0
	s_delay_alu instid0(VALU_DEP_2) | instskip(NEXT) | instid1(VALU_DEP_1)
	v_cmp_eq_u32_e64 s0, 0, v22
	v_cndmask_b32_e64 v94, v39, v0, s0
; %bb.413:                              ;   in Loop: Header=BB197_31 Depth=1
	s_or_b32 exec_lo, exec_lo, s7
	v_lshlrev_b32_e32 v0, 16, v1
                                        ; implicit-def: $vgpr95
	s_delay_alu instid0(VALU_DEP_1) | instskip(NEXT) | instid1(VALU_DEP_1)
	v_mul_f32_e32 v0, v103, v0
	v_and_b32_e32 v1, 0x7f800000, v0
	s_delay_alu instid0(VALU_DEP_1) | instskip(NEXT) | instid1(VALU_DEP_1)
	v_cmp_ne_u32_e64 s0, 0x7f800000, v1
	s_and_saveexec_b32 s7, s0
	s_delay_alu instid0(SALU_CYCLE_1)
	s_xor_b32 s0, exec_lo, s7
; %bb.414:                              ;   in Loop: Header=BB197_31 Depth=1
	v_bfe_u32 v1, v0, 16, 1
	s_delay_alu instid0(VALU_DEP_1)
	v_add3_u32 v95, v0, v1, 0x7fff
                                        ; implicit-def: $vgpr0
; %bb.415:                              ;   in Loop: Header=BB197_31 Depth=1
	s_and_not1_saveexec_b32 s7, s0
; %bb.416:                              ;   in Loop: Header=BB197_31 Depth=1
	v_and_b32_e32 v1, 0xffff, v0
	v_or_b32_e32 v22, 0x10000, v0
	s_delay_alu instid0(VALU_DEP_2) | instskip(NEXT) | instid1(VALU_DEP_1)
	v_cmp_eq_u32_e64 s0, 0, v1
	v_cndmask_b32_e64 v95, v22, v0, s0
; %bb.417:                              ;   in Loop: Header=BB197_31 Depth=1
	s_or_b32 exec_lo, exec_lo, s7
	v_lshlrev_b32_e32 v0, 16, v12
                                        ; implicit-def: $vgpr104
	s_delay_alu instid0(VALU_DEP_1) | instskip(NEXT) | instid1(VALU_DEP_1)
	v_mul_f32_e32 v0, v112, v0
	v_and_b32_e32 v1, 0x7f800000, v0
	s_delay_alu instid0(VALU_DEP_1) | instskip(NEXT) | instid1(VALU_DEP_1)
	v_cmp_ne_u32_e64 s0, 0x7f800000, v1
	s_and_saveexec_b32 s7, s0
	s_delay_alu instid0(SALU_CYCLE_1)
	s_xor_b32 s0, exec_lo, s7
; %bb.418:                              ;   in Loop: Header=BB197_31 Depth=1
	v_bfe_u32 v1, v0, 16, 1
	s_delay_alu instid0(VALU_DEP_1)
	v_add3_u32 v104, v0, v1, 0x7fff
                                        ; implicit-def: $vgpr0
; %bb.419:                              ;   in Loop: Header=BB197_31 Depth=1
	s_and_not1_saveexec_b32 s7, s0
; %bb.420:                              ;   in Loop: Header=BB197_31 Depth=1
	v_and_b32_e32 v1, 0xffff, v0
	v_or_b32_e32 v12, 0x10000, v0
	s_delay_alu instid0(VALU_DEP_2) | instskip(NEXT) | instid1(VALU_DEP_1)
	v_cmp_eq_u32_e64 s0, 0, v1
	v_cndmask_b32_e64 v104, v12, v0, s0
; %bb.421:                              ;   in Loop: Header=BB197_31 Depth=1
	s_or_b32 exec_lo, exec_lo, s7
	v_lshlrev_b32_e32 v0, 16, v2
                                        ; implicit-def: $vgpr105
	s_delay_alu instid0(VALU_DEP_1) | instskip(NEXT) | instid1(VALU_DEP_1)
	v_mul_f32_e32 v0, v113, v0
	v_and_b32_e32 v1, 0x7f800000, v0
	s_delay_alu instid0(VALU_DEP_1) | instskip(NEXT) | instid1(VALU_DEP_1)
	v_cmp_ne_u32_e64 s0, 0x7f800000, v1
	s_and_saveexec_b32 s7, s0
	s_delay_alu instid0(SALU_CYCLE_1)
	s_xor_b32 s0, exec_lo, s7
; %bb.422:                              ;   in Loop: Header=BB197_31 Depth=1
	v_bfe_u32 v1, v0, 16, 1
	s_delay_alu instid0(VALU_DEP_1)
	v_add3_u32 v105, v0, v1, 0x7fff
                                        ; implicit-def: $vgpr0
; %bb.423:                              ;   in Loop: Header=BB197_31 Depth=1
	s_and_not1_saveexec_b32 s7, s0
; %bb.424:                              ;   in Loop: Header=BB197_31 Depth=1
	v_and_b32_e32 v1, 0xffff, v0
	v_or_b32_e32 v2, 0x10000, v0
	s_delay_alu instid0(VALU_DEP_2) | instskip(NEXT) | instid1(VALU_DEP_1)
	v_cmp_eq_u32_e64 s0, 0, v1
	v_cndmask_b32_e64 v105, v2, v0, s0
; %bb.425:                              ;   in Loop: Header=BB197_31 Depth=1
	s_or_b32 exec_lo, exec_lo, s7
	v_lshlrev_b32_e32 v0, 16, v5
                                        ; implicit-def: $vgpr106
	s_delay_alu instid0(VALU_DEP_1) | instskip(NEXT) | instid1(VALU_DEP_1)
	v_mul_f32_e32 v0, v114, v0
	v_and_b32_e32 v1, 0x7f800000, v0
	s_delay_alu instid0(VALU_DEP_1) | instskip(NEXT) | instid1(VALU_DEP_1)
	v_cmp_ne_u32_e64 s0, 0x7f800000, v1
	s_and_saveexec_b32 s7, s0
	s_delay_alu instid0(SALU_CYCLE_1)
	s_xor_b32 s0, exec_lo, s7
; %bb.426:                              ;   in Loop: Header=BB197_31 Depth=1
	v_bfe_u32 v1, v0, 16, 1
	s_delay_alu instid0(VALU_DEP_1)
	v_add3_u32 v106, v0, v1, 0x7fff
                                        ; implicit-def: $vgpr0
; %bb.427:                              ;   in Loop: Header=BB197_31 Depth=1
	s_and_not1_saveexec_b32 s7, s0
; %bb.428:                              ;   in Loop: Header=BB197_31 Depth=1
	v_and_b32_e32 v1, 0xffff, v0
	v_or_b32_e32 v2, 0x10000, v0
	s_delay_alu instid0(VALU_DEP_2) | instskip(NEXT) | instid1(VALU_DEP_1)
	v_cmp_eq_u32_e64 s0, 0, v1
	v_cndmask_b32_e64 v106, v2, v0, s0
; %bb.429:                              ;   in Loop: Header=BB197_31 Depth=1
	s_or_b32 exec_lo, exec_lo, s7
	v_lshlrev_b32_e32 v0, 16, v3
                                        ; implicit-def: $vgpr107
	s_delay_alu instid0(VALU_DEP_1) | instskip(NEXT) | instid1(VALU_DEP_1)
	v_mul_f32_e32 v0, v115, v0
	v_and_b32_e32 v1, 0x7f800000, v0
	s_delay_alu instid0(VALU_DEP_1) | instskip(NEXT) | instid1(VALU_DEP_1)
	v_cmp_ne_u32_e64 s0, 0x7f800000, v1
	s_and_saveexec_b32 s7, s0
	s_delay_alu instid0(SALU_CYCLE_1)
	s_xor_b32 s0, exec_lo, s7
; %bb.430:                              ;   in Loop: Header=BB197_31 Depth=1
	v_bfe_u32 v1, v0, 16, 1
	s_delay_alu instid0(VALU_DEP_1)
	v_add3_u32 v107, v0, v1, 0x7fff
                                        ; implicit-def: $vgpr0
; %bb.431:                              ;   in Loop: Header=BB197_31 Depth=1
	s_and_not1_saveexec_b32 s7, s0
; %bb.432:                              ;   in Loop: Header=BB197_31 Depth=1
	v_and_b32_e32 v1, 0xffff, v0
	v_or_b32_e32 v2, 0x10000, v0
	s_delay_alu instid0(VALU_DEP_2) | instskip(NEXT) | instid1(VALU_DEP_1)
	v_cmp_eq_u32_e64 s0, 0, v1
	v_cndmask_b32_e64 v107, v2, v0, s0
; %bb.433:                              ;   in Loop: Header=BB197_31 Depth=1
	s_or_b32 exec_lo, exec_lo, s7
	v_lshlrev_b32_e32 v0, 16, v4
                                        ; implicit-def: $vgpr108
	s_delay_alu instid0(VALU_DEP_1) | instskip(NEXT) | instid1(VALU_DEP_1)
	v_mul_f32_e32 v0, v116, v0
	v_and_b32_e32 v1, 0x7f800000, v0
	s_delay_alu instid0(VALU_DEP_1) | instskip(NEXT) | instid1(VALU_DEP_1)
	v_cmp_ne_u32_e64 s0, 0x7f800000, v1
	s_and_saveexec_b32 s7, s0
	s_delay_alu instid0(SALU_CYCLE_1)
	s_xor_b32 s0, exec_lo, s7
; %bb.434:                              ;   in Loop: Header=BB197_31 Depth=1
	v_bfe_u32 v1, v0, 16, 1
	s_delay_alu instid0(VALU_DEP_1)
	v_add3_u32 v108, v0, v1, 0x7fff
                                        ; implicit-def: $vgpr0
; %bb.435:                              ;   in Loop: Header=BB197_31 Depth=1
	s_and_not1_saveexec_b32 s7, s0
; %bb.436:                              ;   in Loop: Header=BB197_31 Depth=1
	v_and_b32_e32 v1, 0xffff, v0
	v_or_b32_e32 v2, 0x10000, v0
	s_delay_alu instid0(VALU_DEP_2) | instskip(NEXT) | instid1(VALU_DEP_1)
	v_cmp_eq_u32_e64 s0, 0, v1
	v_cndmask_b32_e64 v108, v2, v0, s0
; %bb.437:                              ;   in Loop: Header=BB197_31 Depth=1
	s_or_b32 exec_lo, exec_lo, s7
	v_add_co_u32 v0, s0, v98, v50
	s_delay_alu instid0(VALU_DEP_1)
	v_add_co_ci_u32_e64 v1, s0, 0, v99, s0
	flat_load_b128 v[0:3], v[0:1]
	s_waitcnt vmcnt(0) lgkmcnt(0)
	v_lshrrev_b32_e32 v39, 16, v0
	v_lshrrev_b32_e32 v12, 16, v1
	;; [unrolled: 1-line block ×4, first 2 shown]
	s_and_saveexec_b32 s7, vcc_lo
	s_cbranch_execz .LBB197_439
; %bb.438:                              ;   in Loop: Header=BB197_31 Depth=1
	v_cmp_lt_i32_e64 s0, v80, v82
	s_delay_alu instid0(VALU_DEP_1) | instskip(SKIP_1) | instid1(VALU_DEP_1)
	v_cndmask_b32_e64 v0, 0, v0, s0
	v_cmp_lt_i32_e64 s0, v97, v82
	v_cndmask_b32_e64 v39, 0, v39, s0
	v_cmp_lt_i32_e64 s0, v87, v82
	s_delay_alu instid0(VALU_DEP_1) | instskip(SKIP_1) | instid1(VALU_DEP_1)
	v_cndmask_b32_e64 v1, 0, v1, s0
	v_cmp_lt_i32_e64 s0, v86, v82
	v_cndmask_b32_e64 v12, 0, v12, s0
	;; [unrolled: 5-line block ×4, first 2 shown]
.LBB197_439:                            ;   in Loop: Header=BB197_31 Depth=1
	s_or_b32 exec_lo, exec_lo, s7
	v_lshlrev_b32_e32 v0, 16, v0
                                        ; implicit-def: $vgpr109
	s_delay_alu instid0(VALU_DEP_1) | instskip(NEXT) | instid1(VALU_DEP_1)
	v_mul_f32_e32 v0, v101, v0
	v_and_b32_e32 v22, 0x7f800000, v0
	s_delay_alu instid0(VALU_DEP_1) | instskip(NEXT) | instid1(VALU_DEP_1)
	v_cmp_ne_u32_e64 s0, 0x7f800000, v22
	s_and_saveexec_b32 s7, s0
	s_delay_alu instid0(SALU_CYCLE_1)
	s_xor_b32 s0, exec_lo, s7
; %bb.440:                              ;   in Loop: Header=BB197_31 Depth=1
	v_bfe_u32 v22, v0, 16, 1
	s_delay_alu instid0(VALU_DEP_1)
	v_add3_u32 v109, v0, v22, 0x7fff
                                        ; implicit-def: $vgpr0
; %bb.441:                              ;   in Loop: Header=BB197_31 Depth=1
	s_and_not1_saveexec_b32 s7, s0
; %bb.442:                              ;   in Loop: Header=BB197_31 Depth=1
	v_and_b32_e32 v22, 0xffff, v0
	v_or_b32_e32 v83, 0x10000, v0
	s_delay_alu instid0(VALU_DEP_2) | instskip(NEXT) | instid1(VALU_DEP_1)
	v_cmp_eq_u32_e64 s0, 0, v22
	v_cndmask_b32_e64 v109, v83, v0, s0
; %bb.443:                              ;   in Loop: Header=BB197_31 Depth=1
	s_or_b32 exec_lo, exec_lo, s7
	v_lshlrev_b32_e32 v0, 16, v39
                                        ; implicit-def: $vgpr110
	s_delay_alu instid0(VALU_DEP_1) | instskip(NEXT) | instid1(VALU_DEP_1)
	v_mul_f32_e32 v0, v102, v0
	v_and_b32_e32 v22, 0x7f800000, v0
	s_delay_alu instid0(VALU_DEP_1) | instskip(NEXT) | instid1(VALU_DEP_1)
	v_cmp_ne_u32_e64 s0, 0x7f800000, v22
	s_and_saveexec_b32 s7, s0
	s_delay_alu instid0(SALU_CYCLE_1)
	s_xor_b32 s0, exec_lo, s7
; %bb.444:                              ;   in Loop: Header=BB197_31 Depth=1
	v_bfe_u32 v22, v0, 16, 1
	s_delay_alu instid0(VALU_DEP_1)
	v_add3_u32 v110, v0, v22, 0x7fff
                                        ; implicit-def: $vgpr0
; %bb.445:                              ;   in Loop: Header=BB197_31 Depth=1
	s_and_not1_saveexec_b32 s7, s0
; %bb.446:                              ;   in Loop: Header=BB197_31 Depth=1
	v_and_b32_e32 v22, 0xffff, v0
	v_or_b32_e32 v39, 0x10000, v0
	s_delay_alu instid0(VALU_DEP_2) | instskip(NEXT) | instid1(VALU_DEP_1)
	v_cmp_eq_u32_e64 s0, 0, v22
	v_cndmask_b32_e64 v110, v39, v0, s0
; %bb.447:                              ;   in Loop: Header=BB197_31 Depth=1
	s_or_b32 exec_lo, exec_lo, s7
	v_lshlrev_b32_e32 v0, 16, v1
                                        ; implicit-def: $vgpr111
	s_delay_alu instid0(VALU_DEP_1) | instskip(NEXT) | instid1(VALU_DEP_1)
	v_mul_f32_e32 v0, v103, v0
	v_and_b32_e32 v1, 0x7f800000, v0
	s_delay_alu instid0(VALU_DEP_1) | instskip(NEXT) | instid1(VALU_DEP_1)
	v_cmp_ne_u32_e64 s0, 0x7f800000, v1
	s_and_saveexec_b32 s7, s0
	s_delay_alu instid0(SALU_CYCLE_1)
	s_xor_b32 s0, exec_lo, s7
; %bb.448:                              ;   in Loop: Header=BB197_31 Depth=1
	v_bfe_u32 v1, v0, 16, 1
	s_delay_alu instid0(VALU_DEP_1)
	v_add3_u32 v111, v0, v1, 0x7fff
                                        ; implicit-def: $vgpr0
; %bb.449:                              ;   in Loop: Header=BB197_31 Depth=1
	s_and_not1_saveexec_b32 s7, s0
; %bb.450:                              ;   in Loop: Header=BB197_31 Depth=1
	v_and_b32_e32 v1, 0xffff, v0
	v_or_b32_e32 v22, 0x10000, v0
	s_delay_alu instid0(VALU_DEP_2) | instskip(NEXT) | instid1(VALU_DEP_1)
	v_cmp_eq_u32_e64 s0, 0, v1
	v_cndmask_b32_e64 v111, v22, v0, s0
; %bb.451:                              ;   in Loop: Header=BB197_31 Depth=1
	s_or_b32 exec_lo, exec_lo, s7
	v_lshlrev_b32_e32 v0, 16, v12
                                        ; implicit-def: $vgpr120
	s_delay_alu instid0(VALU_DEP_1) | instskip(NEXT) | instid1(VALU_DEP_1)
	v_mul_f32_e32 v0, v112, v0
	v_and_b32_e32 v1, 0x7f800000, v0
	s_delay_alu instid0(VALU_DEP_1) | instskip(NEXT) | instid1(VALU_DEP_1)
	v_cmp_ne_u32_e64 s0, 0x7f800000, v1
	s_and_saveexec_b32 s7, s0
	s_delay_alu instid0(SALU_CYCLE_1)
	s_xor_b32 s0, exec_lo, s7
; %bb.452:                              ;   in Loop: Header=BB197_31 Depth=1
	v_bfe_u32 v1, v0, 16, 1
	s_delay_alu instid0(VALU_DEP_1)
	v_add3_u32 v120, v0, v1, 0x7fff
                                        ; implicit-def: $vgpr0
; %bb.453:                              ;   in Loop: Header=BB197_31 Depth=1
	s_and_not1_saveexec_b32 s7, s0
; %bb.454:                              ;   in Loop: Header=BB197_31 Depth=1
	v_and_b32_e32 v1, 0xffff, v0
	v_or_b32_e32 v12, 0x10000, v0
	s_delay_alu instid0(VALU_DEP_2) | instskip(NEXT) | instid1(VALU_DEP_1)
	v_cmp_eq_u32_e64 s0, 0, v1
	v_cndmask_b32_e64 v120, v12, v0, s0
; %bb.455:                              ;   in Loop: Header=BB197_31 Depth=1
	s_or_b32 exec_lo, exec_lo, s7
	v_lshlrev_b32_e32 v0, 16, v2
                                        ; implicit-def: $vgpr121
	s_delay_alu instid0(VALU_DEP_1) | instskip(NEXT) | instid1(VALU_DEP_1)
	v_mul_f32_e32 v0, v113, v0
	v_and_b32_e32 v1, 0x7f800000, v0
	s_delay_alu instid0(VALU_DEP_1) | instskip(NEXT) | instid1(VALU_DEP_1)
	v_cmp_ne_u32_e64 s0, 0x7f800000, v1
	s_and_saveexec_b32 s7, s0
	s_delay_alu instid0(SALU_CYCLE_1)
	s_xor_b32 s0, exec_lo, s7
; %bb.456:                              ;   in Loop: Header=BB197_31 Depth=1
	v_bfe_u32 v1, v0, 16, 1
	s_delay_alu instid0(VALU_DEP_1)
	v_add3_u32 v121, v0, v1, 0x7fff
                                        ; implicit-def: $vgpr0
; %bb.457:                              ;   in Loop: Header=BB197_31 Depth=1
	s_and_not1_saveexec_b32 s7, s0
; %bb.458:                              ;   in Loop: Header=BB197_31 Depth=1
	v_and_b32_e32 v1, 0xffff, v0
	v_or_b32_e32 v2, 0x10000, v0
	s_delay_alu instid0(VALU_DEP_2) | instskip(NEXT) | instid1(VALU_DEP_1)
	v_cmp_eq_u32_e64 s0, 0, v1
	v_cndmask_b32_e64 v121, v2, v0, s0
; %bb.459:                              ;   in Loop: Header=BB197_31 Depth=1
	s_or_b32 exec_lo, exec_lo, s7
	v_lshlrev_b32_e32 v0, 16, v5
                                        ; implicit-def: $vgpr122
	s_delay_alu instid0(VALU_DEP_1) | instskip(NEXT) | instid1(VALU_DEP_1)
	v_mul_f32_e32 v0, v114, v0
	v_and_b32_e32 v1, 0x7f800000, v0
	s_delay_alu instid0(VALU_DEP_1) | instskip(NEXT) | instid1(VALU_DEP_1)
	v_cmp_ne_u32_e64 s0, 0x7f800000, v1
	s_and_saveexec_b32 s7, s0
	s_delay_alu instid0(SALU_CYCLE_1)
	s_xor_b32 s0, exec_lo, s7
; %bb.460:                              ;   in Loop: Header=BB197_31 Depth=1
	v_bfe_u32 v1, v0, 16, 1
	s_delay_alu instid0(VALU_DEP_1)
	v_add3_u32 v122, v0, v1, 0x7fff
                                        ; implicit-def: $vgpr0
; %bb.461:                              ;   in Loop: Header=BB197_31 Depth=1
	s_and_not1_saveexec_b32 s7, s0
; %bb.462:                              ;   in Loop: Header=BB197_31 Depth=1
	v_and_b32_e32 v1, 0xffff, v0
	v_or_b32_e32 v2, 0x10000, v0
	s_delay_alu instid0(VALU_DEP_2) | instskip(NEXT) | instid1(VALU_DEP_1)
	v_cmp_eq_u32_e64 s0, 0, v1
	v_cndmask_b32_e64 v122, v2, v0, s0
; %bb.463:                              ;   in Loop: Header=BB197_31 Depth=1
	s_or_b32 exec_lo, exec_lo, s7
	v_lshlrev_b32_e32 v0, 16, v3
                                        ; implicit-def: $vgpr123
	s_delay_alu instid0(VALU_DEP_1) | instskip(NEXT) | instid1(VALU_DEP_1)
	v_mul_f32_e32 v0, v115, v0
	v_and_b32_e32 v1, 0x7f800000, v0
	s_delay_alu instid0(VALU_DEP_1) | instskip(NEXT) | instid1(VALU_DEP_1)
	v_cmp_ne_u32_e64 s0, 0x7f800000, v1
	s_and_saveexec_b32 s7, s0
	s_delay_alu instid0(SALU_CYCLE_1)
	s_xor_b32 s0, exec_lo, s7
; %bb.464:                              ;   in Loop: Header=BB197_31 Depth=1
	v_bfe_u32 v1, v0, 16, 1
	s_delay_alu instid0(VALU_DEP_1)
	v_add3_u32 v123, v0, v1, 0x7fff
                                        ; implicit-def: $vgpr0
; %bb.465:                              ;   in Loop: Header=BB197_31 Depth=1
	s_and_not1_saveexec_b32 s7, s0
; %bb.466:                              ;   in Loop: Header=BB197_31 Depth=1
	v_and_b32_e32 v1, 0xffff, v0
	v_or_b32_e32 v2, 0x10000, v0
	s_delay_alu instid0(VALU_DEP_2) | instskip(NEXT) | instid1(VALU_DEP_1)
	v_cmp_eq_u32_e64 s0, 0, v1
	v_cndmask_b32_e64 v123, v2, v0, s0
; %bb.467:                              ;   in Loop: Header=BB197_31 Depth=1
	s_or_b32 exec_lo, exec_lo, s7
	v_lshlrev_b32_e32 v0, 16, v4
                                        ; implicit-def: $vgpr124
	s_delay_alu instid0(VALU_DEP_1) | instskip(NEXT) | instid1(VALU_DEP_1)
	v_mul_f32_e32 v0, v116, v0
	v_and_b32_e32 v1, 0x7f800000, v0
	s_delay_alu instid0(VALU_DEP_1) | instskip(NEXT) | instid1(VALU_DEP_1)
	v_cmp_ne_u32_e64 s0, 0x7f800000, v1
	s_and_saveexec_b32 s7, s0
	s_delay_alu instid0(SALU_CYCLE_1)
	s_xor_b32 s0, exec_lo, s7
; %bb.468:                              ;   in Loop: Header=BB197_31 Depth=1
	v_bfe_u32 v1, v0, 16, 1
	s_delay_alu instid0(VALU_DEP_1)
	v_add3_u32 v124, v0, v1, 0x7fff
                                        ; implicit-def: $vgpr0
; %bb.469:                              ;   in Loop: Header=BB197_31 Depth=1
	s_and_not1_saveexec_b32 s7, s0
; %bb.470:                              ;   in Loop: Header=BB197_31 Depth=1
	v_and_b32_e32 v1, 0xffff, v0
	v_or_b32_e32 v2, 0x10000, v0
	s_delay_alu instid0(VALU_DEP_2) | instskip(NEXT) | instid1(VALU_DEP_1)
	v_cmp_eq_u32_e64 s0, 0, v1
	v_cndmask_b32_e64 v124, v2, v0, s0
; %bb.471:                              ;   in Loop: Header=BB197_31 Depth=1
	s_or_b32 exec_lo, exec_lo, s7
	v_add_co_u32 v0, s0, v98, v51
	s_delay_alu instid0(VALU_DEP_1)
	v_add_co_ci_u32_e64 v1, s0, 0, v99, s0
	flat_load_b128 v[0:3], v[0:1]
	s_waitcnt vmcnt(0) lgkmcnt(0)
	v_lshrrev_b32_e32 v5, 16, v0
	v_lshrrev_b32_e32 v4, 16, v1
	;; [unrolled: 1-line block ×4, first 2 shown]
	s_and_saveexec_b32 s7, vcc_lo
	s_cbranch_execz .LBB197_473
; %bb.472:                              ;   in Loop: Header=BB197_31 Depth=1
	v_cmp_lt_i32_e64 s0, v80, v82
	s_delay_alu instid0(VALU_DEP_1) | instskip(SKIP_1) | instid1(VALU_DEP_1)
	v_cndmask_b32_e64 v0, 0, v0, s0
	v_cmp_lt_i32_e64 s0, v97, v82
	v_cndmask_b32_e64 v5, 0, v5, s0
	v_cmp_lt_i32_e64 s0, v87, v82
	s_delay_alu instid0(VALU_DEP_1) | instskip(SKIP_1) | instid1(VALU_DEP_1)
	v_cndmask_b32_e64 v1, 0, v1, s0
	v_cmp_lt_i32_e64 s0, v86, v82
	v_cndmask_b32_e64 v4, 0, v4, s0
	;; [unrolled: 5-line block ×4, first 2 shown]
.LBB197_473:                            ;   in Loop: Header=BB197_31 Depth=1
	s_or_b32 exec_lo, exec_lo, s7
	v_lshlrev_b32_e32 v0, 16, v0
                                        ; implicit-def: $vgpr125
	s_delay_alu instid0(VALU_DEP_1) | instskip(NEXT) | instid1(VALU_DEP_1)
	v_mul_f32_e32 v0, v101, v0
	v_and_b32_e32 v22, 0x7f800000, v0
	s_delay_alu instid0(VALU_DEP_1) | instskip(NEXT) | instid1(VALU_DEP_1)
	v_cmp_ne_u32_e64 s0, 0x7f800000, v22
	s_and_saveexec_b32 s7, s0
	s_delay_alu instid0(SALU_CYCLE_1)
	s_xor_b32 s0, exec_lo, s7
; %bb.474:                              ;   in Loop: Header=BB197_31 Depth=1
	v_bfe_u32 v22, v0, 16, 1
	s_delay_alu instid0(VALU_DEP_1)
	v_add3_u32 v125, v0, v22, 0x7fff
                                        ; implicit-def: $vgpr0
; %bb.475:                              ;   in Loop: Header=BB197_31 Depth=1
	s_and_not1_saveexec_b32 s7, s0
; %bb.476:                              ;   in Loop: Header=BB197_31 Depth=1
	v_and_b32_e32 v22, 0xffff, v0
	v_or_b32_e32 v83, 0x10000, v0
	s_delay_alu instid0(VALU_DEP_2) | instskip(NEXT) | instid1(VALU_DEP_1)
	v_cmp_eq_u32_e64 s0, 0, v22
	v_cndmask_b32_e64 v125, v83, v0, s0
; %bb.477:                              ;   in Loop: Header=BB197_31 Depth=1
	s_or_b32 exec_lo, exec_lo, s7
	v_lshlrev_b32_e32 v0, 16, v5
                                        ; implicit-def: $vgpr126
	s_delay_alu instid0(VALU_DEP_1) | instskip(NEXT) | instid1(VALU_DEP_1)
	v_mul_f32_e32 v0, v102, v0
	v_and_b32_e32 v5, 0x7f800000, v0
	s_delay_alu instid0(VALU_DEP_1) | instskip(NEXT) | instid1(VALU_DEP_1)
	v_cmp_ne_u32_e64 s0, 0x7f800000, v5
	s_and_saveexec_b32 s7, s0
	s_delay_alu instid0(SALU_CYCLE_1)
	s_xor_b32 s0, exec_lo, s7
; %bb.478:                              ;   in Loop: Header=BB197_31 Depth=1
	v_bfe_u32 v5, v0, 16, 1
	s_delay_alu instid0(VALU_DEP_1)
	v_add3_u32 v126, v0, v5, 0x7fff
                                        ; implicit-def: $vgpr0
; %bb.479:                              ;   in Loop: Header=BB197_31 Depth=1
	s_and_not1_saveexec_b32 s7, s0
; %bb.480:                              ;   in Loop: Header=BB197_31 Depth=1
	v_and_b32_e32 v5, 0xffff, v0
	v_or_b32_e32 v22, 0x10000, v0
	s_delay_alu instid0(VALU_DEP_2) | instskip(NEXT) | instid1(VALU_DEP_1)
	v_cmp_eq_u32_e64 s0, 0, v5
	v_cndmask_b32_e64 v126, v22, v0, s0
; %bb.481:                              ;   in Loop: Header=BB197_31 Depth=1
	s_or_b32 exec_lo, exec_lo, s7
	v_lshlrev_b32_e32 v0, 16, v1
                                        ; implicit-def: $vgpr5
	s_delay_alu instid0(VALU_DEP_1) | instskip(NEXT) | instid1(VALU_DEP_1)
	v_mul_f32_e32 v0, v103, v0
	v_and_b32_e32 v1, 0x7f800000, v0
	s_delay_alu instid0(VALU_DEP_1) | instskip(NEXT) | instid1(VALU_DEP_1)
	v_cmp_ne_u32_e64 s0, 0x7f800000, v1
	s_and_saveexec_b32 s7, s0
	s_delay_alu instid0(SALU_CYCLE_1)
	s_xor_b32 s0, exec_lo, s7
; %bb.482:                              ;   in Loop: Header=BB197_31 Depth=1
	v_bfe_u32 v1, v0, 16, 1
	s_delay_alu instid0(VALU_DEP_1)
	v_add3_u32 v5, v0, v1, 0x7fff
                                        ; implicit-def: $vgpr0
; %bb.483:                              ;   in Loop: Header=BB197_31 Depth=1
	s_and_not1_saveexec_b32 s7, s0
; %bb.484:                              ;   in Loop: Header=BB197_31 Depth=1
	v_and_b32_e32 v1, 0xffff, v0
	v_or_b32_e32 v5, 0x10000, v0
	s_delay_alu instid0(VALU_DEP_2) | instskip(NEXT) | instid1(VALU_DEP_1)
	v_cmp_eq_u32_e64 s0, 0, v1
	v_cndmask_b32_e64 v5, v5, v0, s0
; %bb.485:                              ;   in Loop: Header=BB197_31 Depth=1
	s_or_b32 exec_lo, exec_lo, s7
	v_lshlrev_b32_e32 v0, 16, v4
                                        ; implicit-def: $vgpr127
	s_delay_alu instid0(VALU_DEP_1) | instskip(NEXT) | instid1(VALU_DEP_1)
	v_mul_f32_e32 v0, v112, v0
	v_and_b32_e32 v1, 0x7f800000, v0
	s_delay_alu instid0(VALU_DEP_1) | instskip(NEXT) | instid1(VALU_DEP_1)
	v_cmp_ne_u32_e64 s0, 0x7f800000, v1
	s_and_saveexec_b32 s7, s0
	s_delay_alu instid0(SALU_CYCLE_1)
	s_xor_b32 s0, exec_lo, s7
; %bb.486:                              ;   in Loop: Header=BB197_31 Depth=1
	v_bfe_u32 v1, v0, 16, 1
	s_delay_alu instid0(VALU_DEP_1)
	v_add3_u32 v127, v0, v1, 0x7fff
                                        ; implicit-def: $vgpr0
; %bb.487:                              ;   in Loop: Header=BB197_31 Depth=1
	s_and_not1_saveexec_b32 s7, s0
; %bb.488:                              ;   in Loop: Header=BB197_31 Depth=1
	v_and_b32_e32 v1, 0xffff, v0
	v_or_b32_e32 v4, 0x10000, v0
	s_delay_alu instid0(VALU_DEP_2) | instskip(NEXT) | instid1(VALU_DEP_1)
	v_cmp_eq_u32_e64 s0, 0, v1
	v_cndmask_b32_e64 v127, v4, v0, s0
; %bb.489:                              ;   in Loop: Header=BB197_31 Depth=1
	s_or_b32 exec_lo, exec_lo, s7
	v_lshlrev_b32_e32 v0, 16, v2
                                        ; implicit-def: $vgpr4
	s_delay_alu instid0(VALU_DEP_1) | instskip(NEXT) | instid1(VALU_DEP_1)
	v_mul_f32_e32 v0, v113, v0
	v_and_b32_e32 v1, 0x7f800000, v0
	s_delay_alu instid0(VALU_DEP_1) | instskip(NEXT) | instid1(VALU_DEP_1)
	v_cmp_ne_u32_e64 s0, 0x7f800000, v1
	s_and_saveexec_b32 s7, s0
	s_delay_alu instid0(SALU_CYCLE_1)
	s_xor_b32 s0, exec_lo, s7
; %bb.490:                              ;   in Loop: Header=BB197_31 Depth=1
	v_bfe_u32 v1, v0, 16, 1
	s_delay_alu instid0(VALU_DEP_1)
	v_add3_u32 v4, v0, v1, 0x7fff
                                        ; implicit-def: $vgpr0
; %bb.491:                              ;   in Loop: Header=BB197_31 Depth=1
	s_and_not1_saveexec_b32 s7, s0
; %bb.492:                              ;   in Loop: Header=BB197_31 Depth=1
	v_and_b32_e32 v1, 0xffff, v0
	v_or_b32_e32 v2, 0x10000, v0
	s_delay_alu instid0(VALU_DEP_2) | instskip(NEXT) | instid1(VALU_DEP_1)
	v_cmp_eq_u32_e64 s0, 0, v1
	v_cndmask_b32_e64 v4, v2, v0, s0
; %bb.493:                              ;   in Loop: Header=BB197_31 Depth=1
	s_or_b32 exec_lo, exec_lo, s7
	v_lshlrev_b32_e32 v0, 16, v39
                                        ; implicit-def: $vgpr83
	s_delay_alu instid0(VALU_DEP_1) | instskip(NEXT) | instid1(VALU_DEP_1)
	v_mul_f32_e32 v0, v114, v0
	v_and_b32_e32 v1, 0x7f800000, v0
	s_delay_alu instid0(VALU_DEP_1) | instskip(NEXT) | instid1(VALU_DEP_1)
	v_cmp_ne_u32_e64 s0, 0x7f800000, v1
	s_and_saveexec_b32 s7, s0
	s_delay_alu instid0(SALU_CYCLE_1)
	s_xor_b32 s0, exec_lo, s7
; %bb.494:                              ;   in Loop: Header=BB197_31 Depth=1
	v_bfe_u32 v1, v0, 16, 1
	s_delay_alu instid0(VALU_DEP_1)
	v_add3_u32 v83, v0, v1, 0x7fff
                                        ; implicit-def: $vgpr0
; %bb.495:                              ;   in Loop: Header=BB197_31 Depth=1
	s_and_not1_saveexec_b32 s7, s0
; %bb.496:                              ;   in Loop: Header=BB197_31 Depth=1
	v_and_b32_e32 v1, 0xffff, v0
	v_or_b32_e32 v2, 0x10000, v0
	s_delay_alu instid0(VALU_DEP_2) | instskip(NEXT) | instid1(VALU_DEP_1)
	v_cmp_eq_u32_e64 s0, 0, v1
	v_cndmask_b32_e64 v83, v2, v0, s0
; %bb.497:                              ;   in Loop: Header=BB197_31 Depth=1
	s_or_b32 exec_lo, exec_lo, s7
	v_lshlrev_b32_e32 v0, 16, v3
                                        ; implicit-def: $vgpr136
	s_delay_alu instid0(VALU_DEP_1) | instskip(NEXT) | instid1(VALU_DEP_1)
	v_mul_f32_e32 v0, v115, v0
	v_and_b32_e32 v1, 0x7f800000, v0
	s_delay_alu instid0(VALU_DEP_1) | instskip(NEXT) | instid1(VALU_DEP_1)
	v_cmp_ne_u32_e64 s0, 0x7f800000, v1
	s_and_saveexec_b32 s7, s0
	s_delay_alu instid0(SALU_CYCLE_1)
	s_xor_b32 s0, exec_lo, s7
; %bb.498:                              ;   in Loop: Header=BB197_31 Depth=1
	v_bfe_u32 v1, v0, 16, 1
	s_delay_alu instid0(VALU_DEP_1)
	v_add3_u32 v136, v0, v1, 0x7fff
                                        ; implicit-def: $vgpr0
; %bb.499:                              ;   in Loop: Header=BB197_31 Depth=1
	s_and_not1_saveexec_b32 s7, s0
; %bb.500:                              ;   in Loop: Header=BB197_31 Depth=1
	v_and_b32_e32 v1, 0xffff, v0
	v_or_b32_e32 v2, 0x10000, v0
	s_delay_alu instid0(VALU_DEP_2) | instskip(NEXT) | instid1(VALU_DEP_1)
	v_cmp_eq_u32_e64 s0, 0, v1
	v_cndmask_b32_e64 v136, v2, v0, s0
; %bb.501:                              ;   in Loop: Header=BB197_31 Depth=1
	s_or_b32 exec_lo, exec_lo, s7
	v_lshlrev_b32_e32 v0, 16, v12
                                        ; implicit-def: $vgpr137
	s_delay_alu instid0(VALU_DEP_1) | instskip(NEXT) | instid1(VALU_DEP_1)
	v_mul_f32_e32 v0, v116, v0
	v_and_b32_e32 v1, 0x7f800000, v0
	s_delay_alu instid0(VALU_DEP_1) | instskip(NEXT) | instid1(VALU_DEP_1)
	v_cmp_ne_u32_e64 s0, 0x7f800000, v1
	s_and_saveexec_b32 s7, s0
	s_delay_alu instid0(SALU_CYCLE_1)
	s_xor_b32 s0, exec_lo, s7
; %bb.502:                              ;   in Loop: Header=BB197_31 Depth=1
	v_bfe_u32 v1, v0, 16, 1
	s_delay_alu instid0(VALU_DEP_1)
	v_add3_u32 v137, v0, v1, 0x7fff
                                        ; implicit-def: $vgpr0
; %bb.503:                              ;   in Loop: Header=BB197_31 Depth=1
	s_and_not1_saveexec_b32 s7, s0
; %bb.504:                              ;   in Loop: Header=BB197_31 Depth=1
	v_and_b32_e32 v1, 0xffff, v0
	v_or_b32_e32 v2, 0x10000, v0
	s_delay_alu instid0(VALU_DEP_2) | instskip(NEXT) | instid1(VALU_DEP_1)
	v_cmp_eq_u32_e64 s0, 0, v1
	v_cndmask_b32_e64 v137, v2, v0, s0
; %bb.505:                              ;   in Loop: Header=BB197_31 Depth=1
	s_or_b32 exec_lo, exec_lo, s7
	v_add_co_u32 v0, s0, v98, v52
	s_delay_alu instid0(VALU_DEP_1)
	v_add_co_ci_u32_e64 v1, s0, 0, v99, s0
	flat_load_b128 v[0:3], v[0:1]
	s_waitcnt vmcnt(0) lgkmcnt(0)
	v_lshrrev_b32_e32 v39, 16, v0
	v_lshrrev_b32_e32 v12, 16, v1
	;; [unrolled: 1-line block ×4, first 2 shown]
	s_and_saveexec_b32 s0, vcc_lo
	s_cbranch_execz .LBB197_507
; %bb.506:                              ;   in Loop: Header=BB197_31 Depth=1
	v_cmp_lt_i32_e32 vcc_lo, v80, v82
	v_cndmask_b32_e32 v0, 0, v0, vcc_lo
	v_cmp_lt_i32_e32 vcc_lo, v97, v82
	v_cndmask_b32_e32 v39, 0, v39, vcc_lo
	;; [unrolled: 2-line block ×8, first 2 shown]
.LBB197_507:                            ;   in Loop: Header=BB197_31 Depth=1
	s_or_b32 exec_lo, exec_lo, s0
	v_lshlrev_b32_e32 v0, 16, v0
	s_delay_alu instid0(VALU_DEP_1) | instskip(NEXT) | instid1(VALU_DEP_1)
	v_mul_f32_e32 v80, v101, v0
	v_and_b32_e32 v0, 0x7f800000, v80
	s_delay_alu instid0(VALU_DEP_1) | instskip(SKIP_1) | instid1(SALU_CYCLE_1)
	v_cmp_ne_u32_e32 vcc_lo, 0x7f800000, v0
                                        ; implicit-def: $vgpr0
	s_and_saveexec_b32 s0, vcc_lo
	s_xor_b32 s0, exec_lo, s0
; %bb.508:                              ;   in Loop: Header=BB197_31 Depth=1
	v_bfe_u32 v0, v80, 16, 1
	s_delay_alu instid0(VALU_DEP_1)
	v_add3_u32 v0, v80, v0, 0x7fff
                                        ; implicit-def: $vgpr80
; %bb.509:                              ;   in Loop: Header=BB197_31 Depth=1
	s_and_not1_saveexec_b32 s0, s0
; %bb.510:                              ;   in Loop: Header=BB197_31 Depth=1
	v_and_b32_e32 v0, 0xffff, v80
	v_or_b32_e32 v22, 0x10000, v80
	s_delay_alu instid0(VALU_DEP_2) | instskip(NEXT) | instid1(VALU_DEP_2)
	v_cmp_eq_u32_e32 vcc_lo, 0, v0
	v_cndmask_b32_e32 v0, v22, v80, vcc_lo
; %bb.511:                              ;   in Loop: Header=BB197_31 Depth=1
	s_or_b32 exec_lo, exec_lo, s0
	v_lshlrev_b32_e32 v22, 16, v39
	s_mov_b32 s0, exec_lo
                                        ; implicit-def: $vgpr39
	s_delay_alu instid0(VALU_DEP_1) | instskip(NEXT) | instid1(VALU_DEP_1)
	v_mul_f32_e32 v80, v102, v22
	v_and_b32_e32 v22, 0x7f800000, v80
	s_delay_alu instid0(VALU_DEP_1)
	v_cmpx_ne_u32_e32 0x7f800000, v22
	s_xor_b32 s0, exec_lo, s0
; %bb.512:                              ;   in Loop: Header=BB197_31 Depth=1
	v_bfe_u32 v22, v80, 16, 1
	s_delay_alu instid0(VALU_DEP_1)
	v_add3_u32 v39, v80, v22, 0x7fff
                                        ; implicit-def: $vgpr80
; %bb.513:                              ;   in Loop: Header=BB197_31 Depth=1
	s_and_not1_saveexec_b32 s0, s0
; %bb.514:                              ;   in Loop: Header=BB197_31 Depth=1
	v_and_b32_e32 v22, 0xffff, v80
	v_or_b32_e32 v39, 0x10000, v80
	s_delay_alu instid0(VALU_DEP_2) | instskip(NEXT) | instid1(VALU_DEP_2)
	v_cmp_eq_u32_e32 vcc_lo, 0, v22
	v_cndmask_b32_e32 v39, v39, v80, vcc_lo
; %bb.515:                              ;   in Loop: Header=BB197_31 Depth=1
	s_or_b32 exec_lo, exec_lo, s0
	v_lshlrev_b32_e32 v1, 16, v1
	s_delay_alu instid0(VALU_DEP_1) | instskip(NEXT) | instid1(VALU_DEP_1)
	v_mul_f32_e32 v80, v103, v1
	v_and_b32_e32 v1, 0x7f800000, v80
	s_delay_alu instid0(VALU_DEP_1) | instskip(SKIP_1) | instid1(SALU_CYCLE_1)
	v_cmp_ne_u32_e32 vcc_lo, 0x7f800000, v1
                                        ; implicit-def: $vgpr1
	s_and_saveexec_b32 s0, vcc_lo
	s_xor_b32 s0, exec_lo, s0
; %bb.516:                              ;   in Loop: Header=BB197_31 Depth=1
	v_bfe_u32 v1, v80, 16, 1
	s_delay_alu instid0(VALU_DEP_1)
	v_add3_u32 v1, v80, v1, 0x7fff
                                        ; implicit-def: $vgpr80
; %bb.517:                              ;   in Loop: Header=BB197_31 Depth=1
	s_and_not1_saveexec_b32 s0, s0
; %bb.518:                              ;   in Loop: Header=BB197_31 Depth=1
	v_and_b32_e32 v1, 0xffff, v80
	v_or_b32_e32 v22, 0x10000, v80
	s_delay_alu instid0(VALU_DEP_2) | instskip(NEXT) | instid1(VALU_DEP_2)
	v_cmp_eq_u32_e32 vcc_lo, 0, v1
	v_cndmask_b32_e32 v1, v22, v80, vcc_lo
; %bb.519:                              ;   in Loop: Header=BB197_31 Depth=1
	s_or_b32 exec_lo, exec_lo, s0
	v_lshlrev_b32_e32 v12, 16, v12
	s_delay_alu instid0(VALU_DEP_1) | instskip(NEXT) | instid1(VALU_DEP_1)
	v_mul_f32_e32 v80, v112, v12
	v_and_b32_e32 v12, 0x7f800000, v80
	s_delay_alu instid0(VALU_DEP_1) | instskip(SKIP_1) | instid1(SALU_CYCLE_1)
	v_cmp_ne_u32_e32 vcc_lo, 0x7f800000, v12
                                        ; implicit-def: $vgpr12
	s_and_saveexec_b32 s0, vcc_lo
	s_xor_b32 s0, exec_lo, s0
; %bb.520:                              ;   in Loop: Header=BB197_31 Depth=1
	v_bfe_u32 v12, v80, 16, 1
	s_delay_alu instid0(VALU_DEP_1)
	v_add3_u32 v12, v80, v12, 0x7fff
                                        ; implicit-def: $vgpr80
; %bb.521:                              ;   in Loop: Header=BB197_31 Depth=1
	s_and_not1_saveexec_b32 s0, s0
; %bb.522:                              ;   in Loop: Header=BB197_31 Depth=1
	v_and_b32_e32 v12, 0xffff, v80
	v_or_b32_e32 v22, 0x10000, v80
	s_delay_alu instid0(VALU_DEP_2) | instskip(NEXT) | instid1(VALU_DEP_2)
	v_cmp_eq_u32_e32 vcc_lo, 0, v12
	v_cndmask_b32_e32 v12, v22, v80, vcc_lo
; %bb.523:                              ;   in Loop: Header=BB197_31 Depth=1
	s_or_b32 exec_lo, exec_lo, s0
	v_lshlrev_b32_e32 v2, 16, v2
	s_delay_alu instid0(VALU_DEP_1) | instskip(NEXT) | instid1(VALU_DEP_1)
	v_mul_f32_e32 v80, v113, v2
	v_and_b32_e32 v2, 0x7f800000, v80
	s_delay_alu instid0(VALU_DEP_1) | instskip(SKIP_1) | instid1(SALU_CYCLE_1)
	v_cmp_ne_u32_e32 vcc_lo, 0x7f800000, v2
                                        ; implicit-def: $vgpr2
	s_and_saveexec_b32 s0, vcc_lo
	s_xor_b32 s0, exec_lo, s0
; %bb.524:                              ;   in Loop: Header=BB197_31 Depth=1
	v_bfe_u32 v2, v80, 16, 1
	s_delay_alu instid0(VALU_DEP_1)
	v_add3_u32 v2, v80, v2, 0x7fff
                                        ; implicit-def: $vgpr80
; %bb.525:                              ;   in Loop: Header=BB197_31 Depth=1
	s_and_not1_saveexec_b32 s0, s0
; %bb.526:                              ;   in Loop: Header=BB197_31 Depth=1
	v_and_b32_e32 v2, 0xffff, v80
	v_or_b32_e32 v22, 0x10000, v80
	s_delay_alu instid0(VALU_DEP_2) | instskip(NEXT) | instid1(VALU_DEP_2)
	v_cmp_eq_u32_e32 vcc_lo, 0, v2
	v_cndmask_b32_e32 v2, v22, v80, vcc_lo
; %bb.527:                              ;   in Loop: Header=BB197_31 Depth=1
	s_or_b32 exec_lo, exec_lo, s0
	v_lshlrev_b32_e32 v22, 16, v99
	s_mov_b32 s0, exec_lo
                                        ; implicit-def: $vgpr80
	s_delay_alu instid0(VALU_DEP_1) | instskip(NEXT) | instid1(VALU_DEP_1)
	v_mul_f32_e32 v81, v114, v22
	v_and_b32_e32 v22, 0x7f800000, v81
	s_delay_alu instid0(VALU_DEP_1)
	v_cmpx_ne_u32_e32 0x7f800000, v22
	s_xor_b32 s0, exec_lo, s0
; %bb.528:                              ;   in Loop: Header=BB197_31 Depth=1
	v_bfe_u32 v22, v81, 16, 1
	s_delay_alu instid0(VALU_DEP_1)
	v_add3_u32 v80, v81, v22, 0x7fff
                                        ; implicit-def: $vgpr81
; %bb.529:                              ;   in Loop: Header=BB197_31 Depth=1
	s_and_not1_saveexec_b32 s0, s0
; %bb.530:                              ;   in Loop: Header=BB197_31 Depth=1
	v_and_b32_e32 v22, 0xffff, v81
	v_or_b32_e32 v80, 0x10000, v81
	s_delay_alu instid0(VALU_DEP_2) | instskip(NEXT) | instid1(VALU_DEP_2)
	v_cmp_eq_u32_e32 vcc_lo, 0, v22
	v_cndmask_b32_e32 v80, v80, v81, vcc_lo
; %bb.531:                              ;   in Loop: Header=BB197_31 Depth=1
	s_or_b32 exec_lo, exec_lo, s0
	v_lshlrev_b32_e32 v3, 16, v3
	s_delay_alu instid0(VALU_DEP_1) | instskip(NEXT) | instid1(VALU_DEP_1)
	v_mul_f32_e32 v81, v115, v3
	v_and_b32_e32 v3, 0x7f800000, v81
	s_delay_alu instid0(VALU_DEP_1) | instskip(SKIP_1) | instid1(SALU_CYCLE_1)
	v_cmp_ne_u32_e32 vcc_lo, 0x7f800000, v3
                                        ; implicit-def: $vgpr3
	s_and_saveexec_b32 s0, vcc_lo
	s_xor_b32 s0, exec_lo, s0
; %bb.532:                              ;   in Loop: Header=BB197_31 Depth=1
	v_bfe_u32 v3, v81, 16, 1
	s_delay_alu instid0(VALU_DEP_1)
	v_add3_u32 v3, v81, v3, 0x7fff
                                        ; implicit-def: $vgpr81
; %bb.533:                              ;   in Loop: Header=BB197_31 Depth=1
	s_and_not1_saveexec_b32 s0, s0
; %bb.534:                              ;   in Loop: Header=BB197_31 Depth=1
	v_and_b32_e32 v3, 0xffff, v81
	v_or_b32_e32 v22, 0x10000, v81
	s_delay_alu instid0(VALU_DEP_2) | instskip(NEXT) | instid1(VALU_DEP_2)
	v_cmp_eq_u32_e32 vcc_lo, 0, v3
	v_cndmask_b32_e32 v3, v22, v81, vcc_lo
; %bb.535:                              ;   in Loop: Header=BB197_31 Depth=1
	s_or_b32 exec_lo, exec_lo, s0
	v_lshlrev_b32_e32 v22, 16, v98
	s_mov_b32 s0, exec_lo
                                        ; implicit-def: $vgpr81
	s_delay_alu instid0(VALU_DEP_1) | instskip(NEXT) | instid1(VALU_DEP_1)
	v_mul_f32_e32 v85, v116, v22
	v_and_b32_e32 v22, 0x7f800000, v85
	s_delay_alu instid0(VALU_DEP_1)
	v_cmpx_ne_u32_e32 0x7f800000, v22
	s_xor_b32 s0, exec_lo, s0
; %bb.536:                              ;   in Loop: Header=BB197_31 Depth=1
	v_bfe_u32 v22, v85, 16, 1
	s_delay_alu instid0(VALU_DEP_1)
	v_add3_u32 v81, v85, v22, 0x7fff
                                        ; implicit-def: $vgpr85
; %bb.537:                              ;   in Loop: Header=BB197_31 Depth=1
	s_and_not1_saveexec_b32 s0, s0
	s_cbranch_execz .LBB197_30
; %bb.538:                              ;   in Loop: Header=BB197_31 Depth=1
	v_and_b32_e32 v22, 0xffff, v85
	v_or_b32_e32 v81, 0x10000, v85
	s_delay_alu instid0(VALU_DEP_2) | instskip(NEXT) | instid1(VALU_DEP_2)
	v_cmp_eq_u32_e32 vcc_lo, 0, v22
	v_cndmask_b32_e32 v81, v81, v85, vcc_lo
	s_branch .LBB197_30
.LBB197_539:
	s_or_b32 exec_lo, exec_lo, s3
	v_dual_mov_b32 v0, s10 :: v_dual_mov_b32 v1, s11
.LBB197_540:
	s_or_b32 exec_lo, exec_lo, s2
	s_delay_alu instid0(VALU_DEP_1)
	v_lshlrev_b64 v[0:1], 2, v[0:1]
	s_getpc_b64 s[2:3]
	s_add_u32 s2, s2, llvm.amdgcn.dynlds.offset.table@rel32@lo+4
	s_addc_u32 s3, s3, llvm.amdgcn.dynlds.offset.table@rel32@hi+12
	s_waitcnt lgkmcnt(0)
	s_waitcnt_vscnt null, 0x0
	s_barrier
	buffer_gl0_inv
	ds_bpermute_b32 v6, v16, v29
	v_add_co_u32 v0, vcc_lo, v0, s2
	v_add_co_ci_u32_e32 v1, vcc_lo, s3, v1, vcc_lo
	ds_bpermute_b32 v9, v16, v26
	ds_bpermute_b32 v8, v16, v27
	ds_bpermute_b32 v2, v16, v33
	global_load_b32 v4, v[0:1], off
	ds_bpermute_b32 v0, v16, v31
	ds_bpermute_b32 v1, v16, v34
	;; [unrolled: 1-line block ×10, first 2 shown]
	s_waitcnt lgkmcnt(12)
	v_dual_add_f32 v6, v29, v6 :: v_dual_add_f32 v9, v26, v9
	s_waitcnt lgkmcnt(11)
	v_add_f32_e32 v8, v27, v8
	s_waitcnt lgkmcnt(10)
	v_add_f32_e32 v2, v33, v2
	;; [unrolled: 2-line block ×3, first 2 shown]
	ds_bpermute_b32 v27, v13, v9
	s_waitcnt lgkmcnt(8)
	v_dual_add_f32 v3, v32, v3 :: v_dual_add_f32 v16, v34, v1
	s_waitcnt lgkmcnt(6)
	v_add_f32_e32 v7, v28, v7
	s_waitcnt lgkmcnt(5)
	v_dual_add_f32 v5, v30, v5 :: v_dual_add_f32 v20, v25, v10
	s_waitcnt lgkmcnt(3)
	v_dual_add_f32 v21, v24, v11 :: v_dual_add_f32 v12, v23, v12
	;; [unrolled: 2-line block ×3, first 2 shown]
	ds_bpermute_b32 v10, v13, v0
	ds_bpermute_b32 v11, v13, v16
	;; [unrolled: 1-line block ×12, first 2 shown]
	s_waitcnt lgkmcnt(12)
	v_add_f32_e32 v9, v9, v27
	ds_bpermute_b32 v30, v13, v12
	v_and_b32_e32 v13, 0x3c3, v140
	v_lshrrev_b32_e32 v1, 2, v171
	s_delay_alu instid0(VALU_DEP_2)
	v_cmp_eq_u32_e32 vcc_lo, 64, v13
	s_waitcnt lgkmcnt(12)
	v_add_f32_e32 v0, v0, v10
	s_waitcnt lgkmcnt(11)
	v_add_f32_e32 v18, v16, v11
	s_waitcnt lgkmcnt(9)
	v_dual_add_f32 v16, v2, v14 :: v_dual_add_f32 v15, v3, v15
	s_waitcnt lgkmcnt(8)
	v_dual_add_f32 v14, v5, v23 :: v_dual_lshlrev_b32 v5, 2, v1
	s_waitcnt lgkmcnt(7)
	v_add_f32_e32 v13, v6, v24
	s_waitcnt lgkmcnt(5)
	v_dual_add_f32 v11, v7, v25 :: v_dual_add_f32 v10, v8, v26
	s_waitcnt lgkmcnt(3)
	v_dual_add_f32 v7, v21, v29 :: v_dual_add_f32 v8, v20, v28
	;; [unrolled: 2-line block ×3, first 2 shown]
	s_waitcnt lgkmcnt(0)
	v_add_f32_e32 v6, v12, v30
	s_waitcnt vmcnt(0)
	v_mad_u32_u24 v4, 0x1c0, v169, v4
	s_and_saveexec_b32 s0, vcc_lo
	s_cbranch_execz .LBB197_542
; %bb.541:
	s_delay_alu instid0(VALU_DEP_1)
	v_add3_u32 v12, v4, v5, 0xfffffc80
	ds_store_2addr_b32 v12, v0, v18 offset1:8
	ds_store_2addr_b32 v12, v16, v15 offset0:16 offset1:24
	ds_store_2addr_b32 v12, v14, v13 offset0:32 offset1:40
	;; [unrolled: 1-line block ×6, first 2 shown]
.LBB197_542:
	s_or_b32 exec_lo, exec_lo, s0
	v_cmp_eq_u32_e32 vcc_lo, 0, v17
	s_mov_b32 s2, exec_lo
	s_waitcnt lgkmcnt(0)
	s_barrier
	buffer_gl0_inv
	v_cmpx_gt_u32_e32 64, v140
	s_cbranch_execz .LBB197_559
; %bb.543:
	s_and_saveexec_b32 s0, vcc_lo
	s_cbranch_execnz .LBB197_638
; %bb.544:
	s_or_b32 exec_lo, exec_lo, s0
	s_and_saveexec_b32 s0, vcc_lo
	s_cbranch_execnz .LBB197_639
.LBB197_545:
	s_or_b32 exec_lo, exec_lo, s0
	s_and_saveexec_b32 s0, vcc_lo
	s_cbranch_execnz .LBB197_640
.LBB197_546:
	s_or_b32 exec_lo, exec_lo, s0
	s_and_saveexec_b32 s0, vcc_lo
	s_cbranch_execnz .LBB197_641
.LBB197_547:
	s_or_b32 exec_lo, exec_lo, s0
	s_and_saveexec_b32 s0, vcc_lo
	s_cbranch_execnz .LBB197_642
.LBB197_548:
	s_or_b32 exec_lo, exec_lo, s0
	s_and_saveexec_b32 s0, vcc_lo
	s_cbranch_execnz .LBB197_643
.LBB197_549:
	s_or_b32 exec_lo, exec_lo, s0
	s_and_saveexec_b32 s0, vcc_lo
	s_cbranch_execnz .LBB197_644
.LBB197_550:
	s_or_b32 exec_lo, exec_lo, s0
	s_and_saveexec_b32 s0, vcc_lo
	s_cbranch_execnz .LBB197_645
.LBB197_551:
	s_or_b32 exec_lo, exec_lo, s0
	s_and_saveexec_b32 s0, vcc_lo
	s_cbranch_execnz .LBB197_646
.LBB197_552:
	s_or_b32 exec_lo, exec_lo, s0
	s_and_saveexec_b32 s0, vcc_lo
	s_cbranch_execnz .LBB197_647
.LBB197_553:
	s_or_b32 exec_lo, exec_lo, s0
	s_and_saveexec_b32 s0, vcc_lo
	s_cbranch_execnz .LBB197_648
.LBB197_554:
	s_or_b32 exec_lo, exec_lo, s0
	s_and_saveexec_b32 s0, vcc_lo
	s_cbranch_execnz .LBB197_649
.LBB197_555:
	s_or_b32 exec_lo, exec_lo, s0
	s_and_saveexec_b32 s0, vcc_lo
	s_cbranch_execnz .LBB197_650
.LBB197_556:
	s_or_b32 exec_lo, exec_lo, s0
	s_and_saveexec_b32 s0, vcc_lo
	s_cbranch_execz .LBB197_558
.LBB197_557:
	v_lshl_add_u32 v12, v1, 2, v4
	ds_load_b32 v12, v12 offset:416
	s_waitcnt lgkmcnt(0)
	v_add_f32_e32 v2, v12, v2
.LBB197_558:
	s_or_b32 exec_lo, exec_lo, s0
.LBB197_559:
	s_delay_alu instid0(SALU_CYCLE_1)
	s_or_b32 exec_lo, exec_lo, s2
	v_and_b32_e32 v12, 0x3e3, v140
	s_mov_b32 s2, exec_lo
	s_barrier
	buffer_gl0_inv
	v_cmpx_eq_u32_e32 32, v12
	s_cbranch_execz .LBB197_561
; %bb.560:
	v_add3_u32 v5, v4, v5, 0xfffffe40
	ds_store_2addr_b32 v5, v0, v18 offset1:8
	ds_store_2addr_b32 v5, v16, v15 offset0:16 offset1:24
	ds_store_2addr_b32 v5, v14, v13 offset0:32 offset1:40
	;; [unrolled: 1-line block ×6, first 2 shown]
.LBB197_561:
	s_or_b32 exec_lo, exec_lo, s2
	v_cmp_gt_u32_e64 s0, 32, v140
	s_waitcnt lgkmcnt(0)
	s_barrier
	buffer_gl0_inv
	s_and_saveexec_b32 s2, s0
	s_cbranch_execz .LBB197_578
; %bb.562:
	v_lshl_add_u32 v1, v1, 2, v4
	s_and_saveexec_b32 s3, vcc_lo
	s_cbranch_execnz .LBB197_651
; %bb.563:
	s_or_b32 exec_lo, exec_lo, s3
	s_and_saveexec_b32 s3, vcc_lo
	s_cbranch_execnz .LBB197_652
.LBB197_564:
	s_or_b32 exec_lo, exec_lo, s3
	s_and_saveexec_b32 s3, vcc_lo
	s_cbranch_execnz .LBB197_653
.LBB197_565:
	s_or_b32 exec_lo, exec_lo, s3
	s_and_saveexec_b32 s3, vcc_lo
	s_cbranch_execnz .LBB197_654
.LBB197_566:
	s_or_b32 exec_lo, exec_lo, s3
	s_and_saveexec_b32 s3, vcc_lo
	s_cbranch_execnz .LBB197_655
.LBB197_567:
	s_or_b32 exec_lo, exec_lo, s3
	s_and_saveexec_b32 s3, vcc_lo
	s_cbranch_execnz .LBB197_656
.LBB197_568:
	s_or_b32 exec_lo, exec_lo, s3
	s_and_saveexec_b32 s3, vcc_lo
	s_cbranch_execnz .LBB197_657
.LBB197_569:
	s_or_b32 exec_lo, exec_lo, s3
	s_and_saveexec_b32 s3, vcc_lo
	s_cbranch_execnz .LBB197_658
.LBB197_570:
	s_or_b32 exec_lo, exec_lo, s3
	s_and_saveexec_b32 s3, vcc_lo
	s_cbranch_execnz .LBB197_659
.LBB197_571:
	s_or_b32 exec_lo, exec_lo, s3
	s_and_saveexec_b32 s3, vcc_lo
	s_cbranch_execnz .LBB197_660
.LBB197_572:
	s_or_b32 exec_lo, exec_lo, s3
	s_and_saveexec_b32 s3, vcc_lo
	s_cbranch_execnz .LBB197_661
.LBB197_573:
	s_or_b32 exec_lo, exec_lo, s3
	s_and_saveexec_b32 s3, vcc_lo
	s_cbranch_execnz .LBB197_662
.LBB197_574:
	s_or_b32 exec_lo, exec_lo, s3
	s_and_saveexec_b32 s3, vcc_lo
	s_cbranch_execnz .LBB197_663
.LBB197_575:
	s_or_b32 exec_lo, exec_lo, s3
	s_and_saveexec_b32 s3, vcc_lo
	s_cbranch_execz .LBB197_577
.LBB197_576:
	ds_load_b32 v1, v1 offset:416
	s_waitcnt lgkmcnt(0)
	v_add_f32_e32 v2, v1, v2
.LBB197_577:
	s_or_b32 exec_lo, exec_lo, s3
.LBB197_578:
	s_delay_alu instid0(SALU_CYCLE_1)
	s_or_b32 exec_lo, exec_lo, s2
	s_barrier
	buffer_gl0_inv
	s_and_b32 exec_lo, exec_lo, s0
	s_cbranch_execz .LBB197_637
; %bb.579:
	s_and_b32 exec_lo, exec_lo, vcc_lo
	s_cbranch_execz .LBB197_637
; %bb.580:
	v_and_b32_e32 v1, 0x7f800000, v0
	s_mov_b32 s0, exec_lo
                                        ; implicit-def: $vgpr4
	s_delay_alu instid0(VALU_DEP_1)
	v_cmpx_ne_u32_e32 0x7f800000, v1
	s_xor_b32 s0, exec_lo, s0
; %bb.581:
	v_bfe_u32 v1, v0, 16, 1
	s_delay_alu instid0(VALU_DEP_1)
	v_add3_u32 v4, v0, v1, 0x7fff
                                        ; implicit-def: $vgpr0
; %bb.582:
	s_and_not1_saveexec_b32 s0, s0
; %bb.583:
	v_and_b32_e32 v1, 0xffff, v0
	v_or_b32_e32 v4, 0x10000, v0
	s_delay_alu instid0(VALU_DEP_2) | instskip(NEXT) | instid1(VALU_DEP_2)
	v_cmp_eq_u32_e32 vcc_lo, 0, v1
	v_cndmask_b32_e32 v4, v4, v0, vcc_lo
; %bb.584:
	s_or_b32 exec_lo, exec_lo, s0
	s_mul_i32 s2, s1, s4
	s_mul_i32 s0, s6, s1
	;; [unrolled: 1-line block ×5, first 2 shown]
	s_ashr_i32 s1, s0, 31
	s_ashr_i32 s3, s2, 31
	s_ashr_i32 s7, s6, 31
	s_lshl_b64 s[0:1], s[0:1], 1
	s_lshl_b64 s[2:3], s[2:3], 1
	;; [unrolled: 1-line block ×3, first 2 shown]
	v_lshrrev_b32_e32 v0, 1, v140
	s_add_u32 s0, s2, s0
	s_addc_u32 s1, s3, s1
	s_add_u32 s0, s0, s6
	s_addc_u32 s1, s1, s7
	v_and_b32_e32 v0, 0x1fe, v0
	v_add_co_u32 v1, vcc_lo, s0, v139
	v_add_co_ci_u32_e32 v5, vcc_lo, s1, v138, vcc_lo
	v_and_b32_e32 v12, 0x7f800000, v18
	s_delay_alu instid0(VALU_DEP_3) | instskip(NEXT) | instid1(VALU_DEP_3)
	v_add_co_u32 v0, vcc_lo, v1, v0
	v_add_co_ci_u32_e32 v1, vcc_lo, 0, v5, vcc_lo
	s_mov_b32 s0, exec_lo
	flat_store_d16_hi_b16 v[0:1], v4
                                        ; implicit-def: $vgpr4
	v_cmpx_ne_u32_e32 0x7f800000, v12
	s_xor_b32 s0, exec_lo, s0
; %bb.585:
	v_bfe_u32 v4, v18, 16, 1
	s_delay_alu instid0(VALU_DEP_1)
	v_add3_u32 v4, v18, v4, 0x7fff
                                        ; implicit-def: $vgpr18
; %bb.586:
	s_and_not1_saveexec_b32 s0, s0
; %bb.587:
	v_and_b32_e32 v4, 0xffff, v18
	v_or_b32_e32 v5, 0x10000, v18
	s_delay_alu instid0(VALU_DEP_2) | instskip(NEXT) | instid1(VALU_DEP_2)
	v_cmp_eq_u32_e32 vcc_lo, 0, v4
	v_cndmask_b32_e32 v4, v5, v18, vcc_lo
; %bb.588:
	s_or_b32 exec_lo, exec_lo, s0
	v_and_b32_e32 v5, 0x7f800000, v16
	s_mov_b32 s0, exec_lo
	flat_store_d16_hi_b16 v[0:1], v4 offset:16
                                        ; implicit-def: $vgpr4
	v_cmpx_ne_u32_e32 0x7f800000, v5
	s_xor_b32 s0, exec_lo, s0
; %bb.589:
	v_bfe_u32 v4, v16, 16, 1
	s_delay_alu instid0(VALU_DEP_1)
	v_add3_u32 v4, v16, v4, 0x7fff
                                        ; implicit-def: $vgpr16
; %bb.590:
	s_and_not1_saveexec_b32 s0, s0
; %bb.591:
	v_and_b32_e32 v4, 0xffff, v16
	v_or_b32_e32 v5, 0x10000, v16
	s_delay_alu instid0(VALU_DEP_2) | instskip(NEXT) | instid1(VALU_DEP_2)
	v_cmp_eq_u32_e32 vcc_lo, 0, v4
	v_cndmask_b32_e32 v4, v5, v16, vcc_lo
; %bb.592:
	s_or_b32 exec_lo, exec_lo, s0
	v_and_b32_e32 v5, 0x7f800000, v15
	s_mov_b32 s0, exec_lo
	flat_store_d16_hi_b16 v[0:1], v4 offset:32
                                        ; implicit-def: $vgpr4
	v_cmpx_ne_u32_e32 0x7f800000, v5
	s_xor_b32 s0, exec_lo, s0
; %bb.593:
	v_bfe_u32 v4, v15, 16, 1
	s_delay_alu instid0(VALU_DEP_1)
	v_add3_u32 v4, v15, v4, 0x7fff
                                        ; implicit-def: $vgpr15
; %bb.594:
	s_and_not1_saveexec_b32 s0, s0
; %bb.595:
	v_and_b32_e32 v4, 0xffff, v15
	v_or_b32_e32 v5, 0x10000, v15
	s_delay_alu instid0(VALU_DEP_2) | instskip(NEXT) | instid1(VALU_DEP_2)
	v_cmp_eq_u32_e32 vcc_lo, 0, v4
	v_cndmask_b32_e32 v4, v5, v15, vcc_lo
; %bb.596:
	s_or_b32 exec_lo, exec_lo, s0
	v_and_b32_e32 v5, 0x7f800000, v14
	s_mov_b32 s0, exec_lo
	flat_store_d16_hi_b16 v[0:1], v4 offset:48
                                        ; implicit-def: $vgpr4
	v_cmpx_ne_u32_e32 0x7f800000, v5
	s_xor_b32 s0, exec_lo, s0
; %bb.597:
	v_bfe_u32 v4, v14, 16, 1
	s_delay_alu instid0(VALU_DEP_1)
	v_add3_u32 v4, v14, v4, 0x7fff
                                        ; implicit-def: $vgpr14
; %bb.598:
	s_and_not1_saveexec_b32 s0, s0
; %bb.599:
	v_and_b32_e32 v4, 0xffff, v14
	v_or_b32_e32 v5, 0x10000, v14
	s_delay_alu instid0(VALU_DEP_2) | instskip(NEXT) | instid1(VALU_DEP_2)
	v_cmp_eq_u32_e32 vcc_lo, 0, v4
	v_cndmask_b32_e32 v4, v5, v14, vcc_lo
; %bb.600:
	s_or_b32 exec_lo, exec_lo, s0
	v_and_b32_e32 v5, 0x7f800000, v13
	s_mov_b32 s0, exec_lo
	flat_store_d16_hi_b16 v[0:1], v4 offset:64
                                        ; implicit-def: $vgpr4
	v_cmpx_ne_u32_e32 0x7f800000, v5
	s_xor_b32 s0, exec_lo, s0
; %bb.601:
	v_bfe_u32 v4, v13, 16, 1
	s_delay_alu instid0(VALU_DEP_1)
	v_add3_u32 v4, v13, v4, 0x7fff
                                        ; implicit-def: $vgpr13
; %bb.602:
	s_and_not1_saveexec_b32 s0, s0
; %bb.603:
	v_and_b32_e32 v4, 0xffff, v13
	v_or_b32_e32 v5, 0x10000, v13
	s_delay_alu instid0(VALU_DEP_2) | instskip(NEXT) | instid1(VALU_DEP_2)
	v_cmp_eq_u32_e32 vcc_lo, 0, v4
	v_cndmask_b32_e32 v4, v5, v13, vcc_lo
; %bb.604:
	s_or_b32 exec_lo, exec_lo, s0
	v_and_b32_e32 v5, 0x7f800000, v11
	s_mov_b32 s0, exec_lo
	flat_store_d16_hi_b16 v[0:1], v4 offset:80
                                        ; implicit-def: $vgpr4
	v_cmpx_ne_u32_e32 0x7f800000, v5
	s_xor_b32 s0, exec_lo, s0
; %bb.605:
	v_bfe_u32 v4, v11, 16, 1
	s_delay_alu instid0(VALU_DEP_1)
	v_add3_u32 v4, v11, v4, 0x7fff
                                        ; implicit-def: $vgpr11
; %bb.606:
	s_and_not1_saveexec_b32 s0, s0
; %bb.607:
	v_and_b32_e32 v4, 0xffff, v11
	v_or_b32_e32 v5, 0x10000, v11
	s_delay_alu instid0(VALU_DEP_2) | instskip(NEXT) | instid1(VALU_DEP_2)
	v_cmp_eq_u32_e32 vcc_lo, 0, v4
	v_cndmask_b32_e32 v4, v5, v11, vcc_lo
; %bb.608:
	s_or_b32 exec_lo, exec_lo, s0
	v_and_b32_e32 v5, 0x7f800000, v10
	s_mov_b32 s0, exec_lo
	flat_store_d16_hi_b16 v[0:1], v4 offset:96
                                        ; implicit-def: $vgpr4
	v_cmpx_ne_u32_e32 0x7f800000, v5
	s_xor_b32 s0, exec_lo, s0
; %bb.609:
	v_bfe_u32 v4, v10, 16, 1
	s_delay_alu instid0(VALU_DEP_1)
	v_add3_u32 v4, v10, v4, 0x7fff
                                        ; implicit-def: $vgpr10
; %bb.610:
	s_and_not1_saveexec_b32 s0, s0
; %bb.611:
	v_and_b32_e32 v4, 0xffff, v10
	v_or_b32_e32 v5, 0x10000, v10
	s_delay_alu instid0(VALU_DEP_2) | instskip(NEXT) | instid1(VALU_DEP_2)
	v_cmp_eq_u32_e32 vcc_lo, 0, v4
	v_cndmask_b32_e32 v4, v5, v10, vcc_lo
; %bb.612:
	s_or_b32 exec_lo, exec_lo, s0
	v_and_b32_e32 v5, 0x7f800000, v9
	s_mov_b32 s0, exec_lo
	flat_store_d16_hi_b16 v[0:1], v4 offset:112
                                        ; implicit-def: $vgpr4
	v_cmpx_ne_u32_e32 0x7f800000, v5
	s_xor_b32 s0, exec_lo, s0
; %bb.613:
	v_bfe_u32 v4, v9, 16, 1
	s_delay_alu instid0(VALU_DEP_1)
	v_add3_u32 v4, v9, v4, 0x7fff
                                        ; implicit-def: $vgpr9
; %bb.614:
	s_and_not1_saveexec_b32 s0, s0
; %bb.615:
	v_and_b32_e32 v4, 0xffff, v9
	v_or_b32_e32 v5, 0x10000, v9
	s_delay_alu instid0(VALU_DEP_2) | instskip(NEXT) | instid1(VALU_DEP_2)
	v_cmp_eq_u32_e32 vcc_lo, 0, v4
	v_cndmask_b32_e32 v4, v5, v9, vcc_lo
; %bb.616:
	s_or_b32 exec_lo, exec_lo, s0
	v_and_b32_e32 v5, 0x7f800000, v8
	s_mov_b32 s0, exec_lo
	flat_store_d16_hi_b16 v[0:1], v4 offset:128
                                        ; implicit-def: $vgpr4
	v_cmpx_ne_u32_e32 0x7f800000, v5
	s_xor_b32 s0, exec_lo, s0
; %bb.617:
	v_bfe_u32 v4, v8, 16, 1
	s_delay_alu instid0(VALU_DEP_1)
	v_add3_u32 v4, v8, v4, 0x7fff
                                        ; implicit-def: $vgpr8
; %bb.618:
	s_and_not1_saveexec_b32 s0, s0
; %bb.619:
	v_and_b32_e32 v4, 0xffff, v8
	v_or_b32_e32 v5, 0x10000, v8
	s_delay_alu instid0(VALU_DEP_2) | instskip(NEXT) | instid1(VALU_DEP_2)
	v_cmp_eq_u32_e32 vcc_lo, 0, v4
	v_cndmask_b32_e32 v4, v5, v8, vcc_lo
; %bb.620:
	s_or_b32 exec_lo, exec_lo, s0
	v_and_b32_e32 v5, 0x7f800000, v7
	s_mov_b32 s0, exec_lo
	flat_store_d16_hi_b16 v[0:1], v4 offset:144
                                        ; implicit-def: $vgpr4
	v_cmpx_ne_u32_e32 0x7f800000, v5
	s_xor_b32 s0, exec_lo, s0
; %bb.621:
	v_bfe_u32 v4, v7, 16, 1
	s_delay_alu instid0(VALU_DEP_1)
	v_add3_u32 v4, v7, v4, 0x7fff
                                        ; implicit-def: $vgpr7
; %bb.622:
	s_and_not1_saveexec_b32 s0, s0
; %bb.623:
	v_and_b32_e32 v4, 0xffff, v7
	v_or_b32_e32 v5, 0x10000, v7
	s_delay_alu instid0(VALU_DEP_2) | instskip(NEXT) | instid1(VALU_DEP_2)
	v_cmp_eq_u32_e32 vcc_lo, 0, v4
	v_cndmask_b32_e32 v4, v5, v7, vcc_lo
; %bb.624:
	s_or_b32 exec_lo, exec_lo, s0
	v_and_b32_e32 v5, 0x7f800000, v6
	s_mov_b32 s0, exec_lo
	flat_store_d16_hi_b16 v[0:1], v4 offset:160
                                        ; implicit-def: $vgpr4
	v_cmpx_ne_u32_e32 0x7f800000, v5
	s_xor_b32 s0, exec_lo, s0
; %bb.625:
	v_bfe_u32 v4, v6, 16, 1
	s_delay_alu instid0(VALU_DEP_1)
	v_add3_u32 v4, v6, v4, 0x7fff
                                        ; implicit-def: $vgpr6
; %bb.626:
	s_and_not1_saveexec_b32 s0, s0
; %bb.627:
	v_and_b32_e32 v4, 0xffff, v6
	v_or_b32_e32 v5, 0x10000, v6
	s_delay_alu instid0(VALU_DEP_2) | instskip(NEXT) | instid1(VALU_DEP_2)
	v_cmp_eq_u32_e32 vcc_lo, 0, v4
	v_cndmask_b32_e32 v4, v5, v6, vcc_lo
; %bb.628:
	s_or_b32 exec_lo, exec_lo, s0
	v_and_b32_e32 v5, 0x7f800000, v3
	s_mov_b32 s0, exec_lo
	flat_store_d16_hi_b16 v[0:1], v4 offset:176
                                        ; implicit-def: $vgpr4
	v_cmpx_ne_u32_e32 0x7f800000, v5
	s_xor_b32 s0, exec_lo, s0
; %bb.629:
	v_bfe_u32 v4, v3, 16, 1
	s_delay_alu instid0(VALU_DEP_1)
	v_add3_u32 v4, v3, v4, 0x7fff
                                        ; implicit-def: $vgpr3
; %bb.630:
	s_and_not1_saveexec_b32 s0, s0
; %bb.631:
	v_and_b32_e32 v4, 0xffff, v3
	v_or_b32_e32 v5, 0x10000, v3
	s_delay_alu instid0(VALU_DEP_2) | instskip(NEXT) | instid1(VALU_DEP_2)
	v_cmp_eq_u32_e32 vcc_lo, 0, v4
	v_cndmask_b32_e32 v4, v5, v3, vcc_lo
; %bb.632:
	s_or_b32 exec_lo, exec_lo, s0
	v_and_b32_e32 v3, 0x7f800000, v2
	flat_store_d16_hi_b16 v[0:1], v4 offset:192
	v_cmp_ne_u32_e32 vcc_lo, 0x7f800000, v3
                                        ; implicit-def: $vgpr3
	s_and_saveexec_b32 s0, vcc_lo
	s_delay_alu instid0(SALU_CYCLE_1)
	s_xor_b32 s0, exec_lo, s0
; %bb.633:
	v_bfe_u32 v3, v2, 16, 1
	s_delay_alu instid0(VALU_DEP_1)
	v_add3_u32 v3, v2, v3, 0x7fff
                                        ; implicit-def: $vgpr2
; %bb.634:
	s_and_not1_saveexec_b32 s0, s0
; %bb.635:
	v_and_b32_e32 v3, 0xffff, v2
	v_or_b32_e32 v4, 0x10000, v2
	s_delay_alu instid0(VALU_DEP_2) | instskip(NEXT) | instid1(VALU_DEP_2)
	v_cmp_eq_u32_e32 vcc_lo, 0, v3
	v_cndmask_b32_e32 v3, v4, v2, vcc_lo
; %bb.636:
	s_or_b32 exec_lo, exec_lo, s0
	flat_store_d16_hi_b16 v[0:1], v3 offset:208
.LBB197_637:
	s_or_b32 exec_lo, exec_lo, s5
	s_clause 0x1f
	scratch_load_b32 v191, off, s32
	scratch_load_b32 v190, off, s32 offset:4
	scratch_load_b32 v189, off, s32 offset:8
	;; [unrolled: 1-line block ×31, first 2 shown]
	s_clause 0x1f
	scratch_load_b32 v127, off, s32 offset:128
	scratch_load_b32 v126, off, s32 offset:132
	;; [unrolled: 1-line block ×32, first 2 shown]
	s_clause 0xf
	scratch_load_b32 v63, off, s32 offset:256
	scratch_load_b32 v62, off, s32 offset:260
	;; [unrolled: 1-line block ×16, first 2 shown]
	s_waitcnt vmcnt(0) lgkmcnt(0)
	s_setpc_b64 s[30:31]
.LBB197_638:
	v_lshl_add_u32 v12, v1, 2, v4
	ds_load_b32 v12, v12
	s_waitcnt lgkmcnt(0)
	v_add_f32_e32 v0, v12, v0
	s_or_b32 exec_lo, exec_lo, s0
	s_and_saveexec_b32 s0, vcc_lo
	s_cbranch_execz .LBB197_545
.LBB197_639:
	v_lshl_add_u32 v12, v1, 2, v4
	ds_load_b32 v12, v12 offset:32
	s_waitcnt lgkmcnt(0)
	v_add_f32_e32 v18, v12, v18
	s_or_b32 exec_lo, exec_lo, s0
	s_and_saveexec_b32 s0, vcc_lo
	s_cbranch_execz .LBB197_546
.LBB197_640:
	v_lshl_add_u32 v12, v1, 2, v4
	ds_load_b32 v12, v12 offset:64
	s_waitcnt lgkmcnt(0)
	v_add_f32_e32 v16, v12, v16
	s_or_b32 exec_lo, exec_lo, s0
	s_and_saveexec_b32 s0, vcc_lo
	s_cbranch_execz .LBB197_547
.LBB197_641:
	v_lshl_add_u32 v12, v1, 2, v4
	ds_load_b32 v12, v12 offset:96
	s_waitcnt lgkmcnt(0)
	v_add_f32_e32 v15, v12, v15
	s_or_b32 exec_lo, exec_lo, s0
	s_and_saveexec_b32 s0, vcc_lo
	s_cbranch_execz .LBB197_548
.LBB197_642:
	v_lshl_add_u32 v12, v1, 2, v4
	ds_load_b32 v12, v12 offset:128
	s_waitcnt lgkmcnt(0)
	v_add_f32_e32 v14, v12, v14
	s_or_b32 exec_lo, exec_lo, s0
	s_and_saveexec_b32 s0, vcc_lo
	s_cbranch_execz .LBB197_549
.LBB197_643:
	v_lshl_add_u32 v12, v1, 2, v4
	ds_load_b32 v12, v12 offset:160
	s_waitcnt lgkmcnt(0)
	v_add_f32_e32 v13, v12, v13
	s_or_b32 exec_lo, exec_lo, s0
	s_and_saveexec_b32 s0, vcc_lo
	s_cbranch_execz .LBB197_550
.LBB197_644:
	v_lshl_add_u32 v12, v1, 2, v4
	ds_load_b32 v12, v12 offset:192
	s_waitcnt lgkmcnt(0)
	v_add_f32_e32 v11, v12, v11
	s_or_b32 exec_lo, exec_lo, s0
	s_and_saveexec_b32 s0, vcc_lo
	s_cbranch_execz .LBB197_551
.LBB197_645:
	v_lshl_add_u32 v12, v1, 2, v4
	ds_load_b32 v12, v12 offset:224
	s_waitcnt lgkmcnt(0)
	v_add_f32_e32 v10, v12, v10
	s_or_b32 exec_lo, exec_lo, s0
	s_and_saveexec_b32 s0, vcc_lo
	s_cbranch_execz .LBB197_552
.LBB197_646:
	v_lshl_add_u32 v12, v1, 2, v4
	ds_load_b32 v12, v12 offset:256
	s_waitcnt lgkmcnt(0)
	v_add_f32_e32 v9, v12, v9
	s_or_b32 exec_lo, exec_lo, s0
	s_and_saveexec_b32 s0, vcc_lo
	s_cbranch_execz .LBB197_553
.LBB197_647:
	v_lshl_add_u32 v12, v1, 2, v4
	ds_load_b32 v12, v12 offset:288
	s_waitcnt lgkmcnt(0)
	v_add_f32_e32 v8, v12, v8
	s_or_b32 exec_lo, exec_lo, s0
	s_and_saveexec_b32 s0, vcc_lo
	s_cbranch_execz .LBB197_554
.LBB197_648:
	v_lshl_add_u32 v12, v1, 2, v4
	ds_load_b32 v12, v12 offset:320
	s_waitcnt lgkmcnt(0)
	v_add_f32_e32 v7, v12, v7
	s_or_b32 exec_lo, exec_lo, s0
	s_and_saveexec_b32 s0, vcc_lo
	s_cbranch_execz .LBB197_555
.LBB197_649:
	v_lshl_add_u32 v12, v1, 2, v4
	ds_load_b32 v12, v12 offset:352
	s_waitcnt lgkmcnt(0)
	v_add_f32_e32 v6, v12, v6
	s_or_b32 exec_lo, exec_lo, s0
	s_and_saveexec_b32 s0, vcc_lo
	s_cbranch_execz .LBB197_556
.LBB197_650:
	v_lshl_add_u32 v12, v1, 2, v4
	ds_load_b32 v12, v12 offset:384
	s_waitcnt lgkmcnt(0)
	v_add_f32_e32 v3, v12, v3
	s_or_b32 exec_lo, exec_lo, s0
	s_and_saveexec_b32 s0, vcc_lo
	s_cbranch_execnz .LBB197_557
	s_branch .LBB197_558
.LBB197_651:
	ds_load_b32 v4, v1
	s_waitcnt lgkmcnt(0)
	v_add_f32_e32 v0, v4, v0
	s_or_b32 exec_lo, exec_lo, s3
	s_and_saveexec_b32 s3, vcc_lo
	s_cbranch_execz .LBB197_564
.LBB197_652:
	ds_load_b32 v4, v1 offset:32
	s_waitcnt lgkmcnt(0)
	v_add_f32_e32 v18, v4, v18
	s_or_b32 exec_lo, exec_lo, s3
	s_and_saveexec_b32 s3, vcc_lo
	s_cbranch_execz .LBB197_565
.LBB197_653:
	ds_load_b32 v4, v1 offset:64
	s_waitcnt lgkmcnt(0)
	v_add_f32_e32 v16, v4, v16
	s_or_b32 exec_lo, exec_lo, s3
	s_and_saveexec_b32 s3, vcc_lo
	s_cbranch_execz .LBB197_566
.LBB197_654:
	ds_load_b32 v4, v1 offset:96
	s_waitcnt lgkmcnt(0)
	v_add_f32_e32 v15, v4, v15
	s_or_b32 exec_lo, exec_lo, s3
	s_and_saveexec_b32 s3, vcc_lo
	s_cbranch_execz .LBB197_567
.LBB197_655:
	ds_load_b32 v4, v1 offset:128
	s_waitcnt lgkmcnt(0)
	v_add_f32_e32 v14, v4, v14
	s_or_b32 exec_lo, exec_lo, s3
	s_and_saveexec_b32 s3, vcc_lo
	s_cbranch_execz .LBB197_568
.LBB197_656:
	ds_load_b32 v4, v1 offset:160
	s_waitcnt lgkmcnt(0)
	v_add_f32_e32 v13, v4, v13
	s_or_b32 exec_lo, exec_lo, s3
	s_and_saveexec_b32 s3, vcc_lo
	s_cbranch_execz .LBB197_569
.LBB197_657:
	ds_load_b32 v4, v1 offset:192
	s_waitcnt lgkmcnt(0)
	v_add_f32_e32 v11, v4, v11
	s_or_b32 exec_lo, exec_lo, s3
	s_and_saveexec_b32 s3, vcc_lo
	s_cbranch_execz .LBB197_570
.LBB197_658:
	ds_load_b32 v4, v1 offset:224
	s_waitcnt lgkmcnt(0)
	v_add_f32_e32 v10, v4, v10
	s_or_b32 exec_lo, exec_lo, s3
	s_and_saveexec_b32 s3, vcc_lo
	s_cbranch_execz .LBB197_571
.LBB197_659:
	ds_load_b32 v4, v1 offset:256
	s_waitcnt lgkmcnt(0)
	v_add_f32_e32 v9, v4, v9
	s_or_b32 exec_lo, exec_lo, s3
	s_and_saveexec_b32 s3, vcc_lo
	s_cbranch_execz .LBB197_572
.LBB197_660:
	ds_load_b32 v4, v1 offset:288
	s_waitcnt lgkmcnt(0)
	v_add_f32_e32 v8, v4, v8
	s_or_b32 exec_lo, exec_lo, s3
	s_and_saveexec_b32 s3, vcc_lo
	s_cbranch_execz .LBB197_573
.LBB197_661:
	ds_load_b32 v4, v1 offset:320
	s_waitcnt lgkmcnt(0)
	v_add_f32_e32 v7, v4, v7
	s_or_b32 exec_lo, exec_lo, s3
	s_and_saveexec_b32 s3, vcc_lo
	s_cbranch_execz .LBB197_574
.LBB197_662:
	ds_load_b32 v4, v1 offset:352
	s_waitcnt lgkmcnt(0)
	v_add_f32_e32 v6, v4, v6
	s_or_b32 exec_lo, exec_lo, s3
	s_and_saveexec_b32 s3, vcc_lo
	s_cbranch_execz .LBB197_575
.LBB197_663:
	ds_load_b32 v4, v1 offset:384
	s_waitcnt lgkmcnt(0)
	v_add_f32_e32 v3, v4, v3
	s_or_b32 exec_lo, exec_lo, s3
	s_and_saveexec_b32 s3, vcc_lo
	s_cbranch_execnz .LBB197_576
	s_branch .LBB197_577
.Lfunc_end197:
	.size	_ZN4vllm22paged_attention_kernelI14__hip_bfloat16S1_Li112ELi32ELi128ELNS_18Fp8KVCacheDataTypeE0ELb0ELi512EEEvPfS3_PT_PKS4_PKT0_SA_ifPKiSC_iPKfiiiSE_SE_iiiii, .Lfunc_end197-_ZN4vllm22paged_attention_kernelI14__hip_bfloat16S1_Li112ELi32ELi128ELNS_18Fp8KVCacheDataTypeE0ELb0ELi512EEEvPfS3_PT_PKS4_PKT0_SA_ifPKiSC_iPKfiiiSE_SE_iiiii
                                        ; -- End function
	.section	.AMDGPU.csdata,"",@progbits
; Function info:
; codeLenInByte = 28348
; NumSgprs: 35
; NumVgprs: 192
; ScratchSize: 420
; MemoryBound: 0
	.section	.text._ZN4vllm25paged_attention_v2_kernelI14__hip_bfloat16S1_Li112ELi32ELi128ELNS_18Fp8KVCacheDataTypeE0ELb0ELi512EEEvPfS3_PT_PKS4_PKT0_SA_ifPKiSC_iPKfiiiSE_SE_iiiii,"axG",@progbits,_ZN4vllm25paged_attention_v2_kernelI14__hip_bfloat16S1_Li112ELi32ELi128ELNS_18Fp8KVCacheDataTypeE0ELb0ELi512EEEvPfS3_PT_PKS4_PKT0_SA_ifPKiSC_iPKfiiiSE_SE_iiiii,comdat
	.protected	_ZN4vllm25paged_attention_v2_kernelI14__hip_bfloat16S1_Li112ELi32ELi128ELNS_18Fp8KVCacheDataTypeE0ELb0ELi512EEEvPfS3_PT_PKS4_PKT0_SA_ifPKiSC_iPKfiiiSE_SE_iiiii ; -- Begin function _ZN4vllm25paged_attention_v2_kernelI14__hip_bfloat16S1_Li112ELi32ELi128ELNS_18Fp8KVCacheDataTypeE0ELb0ELi512EEEvPfS3_PT_PKS4_PKT0_SA_ifPKiSC_iPKfiiiSE_SE_iiiii
	.globl	_ZN4vllm25paged_attention_v2_kernelI14__hip_bfloat16S1_Li112ELi32ELi128ELNS_18Fp8KVCacheDataTypeE0ELb0ELi512EEEvPfS3_PT_PKS4_PKT0_SA_ifPKiSC_iPKfiiiSE_SE_iiiii
	.p2align	8
	.type	_ZN4vllm25paged_attention_v2_kernelI14__hip_bfloat16S1_Li112ELi32ELi128ELNS_18Fp8KVCacheDataTypeE0ELb0ELi512EEEvPfS3_PT_PKS4_PKT0_SA_ifPKiSC_iPKfiiiSE_SE_iiiii,@function
_ZN4vllm25paged_attention_v2_kernelI14__hip_bfloat16S1_Li112ELi32ELi128ELNS_18Fp8KVCacheDataTypeE0ELb0ELi512EEEvPfS3_PT_PKS4_PKT0_SA_ifPKiSC_iPKfiiiSE_SE_iiiii: ; @_ZN4vllm25paged_attention_v2_kernelI14__hip_bfloat16S1_Li112ELi32ELi128ELNS_18Fp8KVCacheDataTypeE0ELb0ELi512EEEvPfS3_PT_PKS4_PKT0_SA_ifPKiSC_iPKfiiiSE_SE_iiiii
; %bb.0:
	s_mov_b32 s12, s13
	s_clause 0x5
	s_load_b256 s[24:31], s[0:1], 0x0
	s_load_b256 s[16:23], s[0:1], 0x20
	s_load_b64 s[2:3], s[0:1], 0x40
	s_load_b64 s[10:11], s[0:1], 0x50
	s_load_b32 s13, s[0:1], 0x48
	s_load_b128 s[4:7], s[0:1], 0x58
	v_mov_b32_e32 v31, v0
	s_add_u32 s8, s0, 0x90
	s_addc_u32 s9, s1, 0
	s_mov_b32 s32, 0
	s_getpc_b64 s[0:1]
	s_add_u32 s0, s0, _ZN4vllm22paged_attention_kernelI14__hip_bfloat16S1_Li112ELi32ELi128ELNS_18Fp8KVCacheDataTypeE0ELb0ELi512EEEvPfS3_PT_PKS4_PKT0_SA_ifPKiSC_iPKfiiiSE_SE_iiiii@rel32@lo+4
	s_addc_u32 s1, s1, _ZN4vllm22paged_attention_kernelI14__hip_bfloat16S1_Li112ELi32ELi128ELNS_18Fp8KVCacheDataTypeE0ELb0ELi512EEEvPfS3_PT_PKS4_PKT0_SA_ifPKiSC_iPKfiiiSE_SE_iiiii@rel32@hi+12
	s_waitcnt lgkmcnt(0)
	v_dual_mov_b32 v0, s24 :: v_dual_mov_b32 v1, s25
	v_dual_mov_b32 v2, s26 :: v_dual_mov_b32 v3, s27
	;; [unrolled: 1-line block ×12, first 2 shown]
	s_mov_b32 s13, s14
	s_mov_b32 s14, s15
	;; [unrolled: 1-line block ×3, first 2 shown]
	s_swappc_b64 s[30:31], s[0:1]
	s_endpgm
	.section	.rodata,"a",@progbits
	.p2align	6, 0x0
	.amdhsa_kernel _ZN4vllm25paged_attention_v2_kernelI14__hip_bfloat16S1_Li112ELi32ELi128ELNS_18Fp8KVCacheDataTypeE0ELb0ELi512EEEvPfS3_PT_PKS4_PKT0_SA_ifPKiSC_iPKfiiiSE_SE_iiiii
		.amdhsa_group_segment_fixed_size 256
		.amdhsa_private_segment_fixed_size 420
		.amdhsa_kernarg_size 400
		.amdhsa_user_sgpr_count 13
		.amdhsa_user_sgpr_dispatch_ptr 0
		.amdhsa_user_sgpr_queue_ptr 0
		.amdhsa_user_sgpr_kernarg_segment_ptr 1
		.amdhsa_user_sgpr_dispatch_id 0
		.amdhsa_user_sgpr_private_segment_size 0
		.amdhsa_wavefront_size32 1
		.amdhsa_uses_dynamic_stack 0
		.amdhsa_enable_private_segment 1
		.amdhsa_system_sgpr_workgroup_id_x 1
		.amdhsa_system_sgpr_workgroup_id_y 1
		.amdhsa_system_sgpr_workgroup_id_z 1
		.amdhsa_system_sgpr_workgroup_info 0
		.amdhsa_system_vgpr_workitem_id 0
		.amdhsa_next_free_vgpr 192
		.amdhsa_next_free_sgpr 33
		.amdhsa_reserve_vcc 1
		.amdhsa_float_round_mode_32 0
		.amdhsa_float_round_mode_16_64 0
		.amdhsa_float_denorm_mode_32 3
		.amdhsa_float_denorm_mode_16_64 3
		.amdhsa_dx10_clamp 1
		.amdhsa_ieee_mode 1
		.amdhsa_fp16_overflow 0
		.amdhsa_workgroup_processor_mode 1
		.amdhsa_memory_ordered 1
		.amdhsa_forward_progress 0
		.amdhsa_shared_vgpr_count 0
		.amdhsa_exception_fp_ieee_invalid_op 0
		.amdhsa_exception_fp_denorm_src 0
		.amdhsa_exception_fp_ieee_div_zero 0
		.amdhsa_exception_fp_ieee_overflow 0
		.amdhsa_exception_fp_ieee_underflow 0
		.amdhsa_exception_fp_ieee_inexact 0
		.amdhsa_exception_int_div_zero 0
	.end_amdhsa_kernel
	.section	.text._ZN4vllm25paged_attention_v2_kernelI14__hip_bfloat16S1_Li112ELi32ELi128ELNS_18Fp8KVCacheDataTypeE0ELb0ELi512EEEvPfS3_PT_PKS4_PKT0_SA_ifPKiSC_iPKfiiiSE_SE_iiiii,"axG",@progbits,_ZN4vllm25paged_attention_v2_kernelI14__hip_bfloat16S1_Li112ELi32ELi128ELNS_18Fp8KVCacheDataTypeE0ELb0ELi512EEEvPfS3_PT_PKS4_PKT0_SA_ifPKiSC_iPKfiiiSE_SE_iiiii,comdat
.Lfunc_end198:
	.size	_ZN4vllm25paged_attention_v2_kernelI14__hip_bfloat16S1_Li112ELi32ELi128ELNS_18Fp8KVCacheDataTypeE0ELb0ELi512EEEvPfS3_PT_PKS4_PKT0_SA_ifPKiSC_iPKfiiiSE_SE_iiiii, .Lfunc_end198-_ZN4vllm25paged_attention_v2_kernelI14__hip_bfloat16S1_Li112ELi32ELi128ELNS_18Fp8KVCacheDataTypeE0ELb0ELi512EEEvPfS3_PT_PKS4_PKT0_SA_ifPKiSC_iPKfiiiSE_SE_iiiii
                                        ; -- End function
	.section	.AMDGPU.csdata,"",@progbits
; Kernel info:
; codeLenInByte = 216
; NumSgprs: 35
; NumVgprs: 192
; ScratchSize: 420
; MemoryBound: 0
; FloatMode: 240
; IeeeMode: 1
; LDSByteSize: 256 bytes/workgroup (compile time only)
; SGPRBlocks: 4
; VGPRBlocks: 23
; NumSGPRsForWavesPerEU: 35
; NumVGPRsForWavesPerEU: 192
; Occupancy: 8
; WaveLimiterHint : 1
; COMPUTE_PGM_RSRC2:SCRATCH_EN: 1
; COMPUTE_PGM_RSRC2:USER_SGPR: 13
; COMPUTE_PGM_RSRC2:TRAP_HANDLER: 0
; COMPUTE_PGM_RSRC2:TGID_X_EN: 1
; COMPUTE_PGM_RSRC2:TGID_Y_EN: 1
; COMPUTE_PGM_RSRC2:TGID_Z_EN: 1
; COMPUTE_PGM_RSRC2:TIDIG_COMP_CNT: 0
	.text
	.p2align	2                               ; -- Begin function _ZN4vllm22paged_attention_kernelI14__hip_bfloat16S1_Li120ELi32ELi128ELNS_18Fp8KVCacheDataTypeE0ELb0ELi512EEEvPfS3_PT_PKS4_PKT0_SA_ifPKiSC_iPKfiiiSE_SE_iiiii
	.type	_ZN4vllm22paged_attention_kernelI14__hip_bfloat16S1_Li120ELi32ELi128ELNS_18Fp8KVCacheDataTypeE0ELb0ELi512EEEvPfS3_PT_PKS4_PKT0_SA_ifPKiSC_iPKfiiiSE_SE_iiiii,@function
_ZN4vllm22paged_attention_kernelI14__hip_bfloat16S1_Li120ELi32ELi128ELNS_18Fp8KVCacheDataTypeE0ELb0ELi512EEEvPfS3_PT_PKS4_PKT0_SA_ifPKiSC_iPKfiiiSE_SE_iiiii: ; @_ZN4vllm22paged_attention_kernelI14__hip_bfloat16S1_Li120ELi32ELi128ELNS_18Fp8KVCacheDataTypeE0ELb0ELi512EEEvPfS3_PT_PKS4_PKT0_SA_ifPKiSC_iPKfiiiSE_SE_iiiii
; %bb.0:
	s_waitcnt vmcnt(0) expcnt(0) lgkmcnt(0)
	s_clause 0x1f
	scratch_store_b32 off, v40, s32 offset:316
	; meta instruction
	scratch_store_b32 off, v41, s32 offset:312
	; meta instruction
	;; [unrolled: 2-line block ×31, first 2 shown]
	scratch_store_b32 off, v95, s32 offset:192
	s_clause 0x1f
	scratch_store_b32 off, v104, s32 offset:188
	; meta instruction
	scratch_store_b32 off, v105, s32 offset:184
	; meta instruction
	;; [unrolled: 2-line block ×31, first 2 shown]
	scratch_store_b32 off, v159, s32 offset:64
	s_clause 0xf
	scratch_store_b32 off, v168, s32 offset:60
	; meta instruction
	scratch_store_b32 off, v169, s32 offset:56
	; meta instruction
	;; [unrolled: 2-line block ×15, first 2 shown]
	scratch_store_b32 off, v191, s32
	s_mov_b32 s4, s13
	s_ashr_i32 s5, s13, 31
	v_dual_mov_b32 v157, v4 :: v_dual_mov_b32 v26, v2
	s_lshl_b64 s[0:1], s[4:5], 2
	v_mov_b32_e32 v25, v3
	v_add_co_u32 v2, vcc_lo, v16, s0
	v_add_co_ci_u32_e32 v3, vcc_lo, s1, v17, vcc_lo
	v_dual_mov_b32 v191, v22 :: v_dual_mov_b32 v156, v5
	v_mov_b32_e32 v22, v1
	flat_load_b32 v82, v[2:3]
	v_mov_b32_e32 v24, v0
	s_lshl_b32 s17, s14, 9
	s_mov_b32 s5, exec_lo
	s_waitcnt vmcnt(0) lgkmcnt(0)
	v_cmpx_lt_i32_e64 s17, v82
	s_cbranch_execz .LBB199_677
; %bb.1:
	v_sub_nc_u32_e32 v2, 0, v12
	s_clause 0x1
	s_load_b32 s0, s[8:9], 0x10
	s_load_b32 s1, s[8:9], 0x0
	s_mov_b32 s10, s15
	v_mov_b32_e32 v87, 0
	v_max_i32_e32 v2, v12, v2
	s_delay_alu instid0(VALU_DEP_1) | instskip(SKIP_1) | instid1(VALU_DEP_2)
	v_cvt_f32_u32_e32 v3, v2
	v_sub_nc_u32_e32 v4, 0, v2
	v_rcp_iflag_f32_e32 v3, v3
	s_waitcnt lgkmcnt(0)
	s_lshr_b32 s0, s0, 16
	s_delay_alu instid0(SALU_CYCLE_1) | instskip(SKIP_3) | instid1(SALU_CYCLE_1)
	s_cmp_lg_u32 s0, 0
	s_waitcnt_depctr 0xfff
	v_mul_f32_e32 v3, 0x4f7ffffe, v3
	s_cselect_b32 s0, -1, 0
	s_cmp_lg_u32 s0, 0
	s_delay_alu instid0(VALU_DEP_1) | instskip(SKIP_3) | instid1(VALU_DEP_1)
	v_cvt_u32_f32_e32 v3, v3
	s_addc_u32 s16, s1, 0
	s_mov_b32 s1, exec_lo
	s_abs_i32 s0, s16
	v_mul_lo_u32 v4, v4, v3
	s_delay_alu instid0(VALU_DEP_1) | instskip(NEXT) | instid1(VALU_DEP_1)
	v_mul_hi_u32 v4, v3, v4
	v_add_nc_u32_e32 v3, v3, v4
	s_delay_alu instid0(VALU_DEP_1) | instskip(NEXT) | instid1(VALU_DEP_1)
	v_mul_hi_u32 v3, s0, v3
	v_mul_lo_u32 v4, v3, v2
	v_add_nc_u32_e32 v5, 1, v3
	s_delay_alu instid0(VALU_DEP_2) | instskip(SKIP_1) | instid1(VALU_DEP_1)
	v_sub_nc_u32_e32 v4, s0, v4
	s_abs_i32 s0, s12
	v_sub_nc_u32_e32 v0, v4, v2
	v_cmp_ge_u32_e32 vcc_lo, v4, v2
	s_delay_alu instid0(VALU_DEP_2) | instskip(SKIP_1) | instid1(VALU_DEP_2)
	v_dual_cndmask_b32 v3, v3, v5 :: v_dual_cndmask_b32 v4, v4, v0
	v_xor_b32_e32 v5, s16, v12
	v_add_nc_u32_e32 v0, 1, v3
	s_delay_alu instid0(VALU_DEP_3) | instskip(NEXT) | instid1(VALU_DEP_3)
	v_cmp_ge_u32_e32 vcc_lo, v4, v2
	v_ashrrev_i32_e32 v5, 31, v5
	s_delay_alu instid0(VALU_DEP_3) | instskip(NEXT) | instid1(VALU_DEP_1)
	v_cndmask_b32_e32 v2, v3, v0, vcc_lo
	v_xor_b32_e32 v2, v2, v5
	s_delay_alu instid0(VALU_DEP_1) | instskip(NEXT) | instid1(VALU_DEP_1)
	v_sub_nc_u32_e32 v3, v2, v5
	v_sub_nc_u32_e32 v2, 0, v3
	s_delay_alu instid0(VALU_DEP_1) | instskip(NEXT) | instid1(VALU_DEP_1)
	v_max_i32_e32 v2, v3, v2
	v_cvt_f32_u32_e32 v4, v2
	v_sub_nc_u32_e32 v5, 0, v2
	s_delay_alu instid0(VALU_DEP_2) | instskip(SKIP_2) | instid1(VALU_DEP_1)
	v_rcp_iflag_f32_e32 v4, v4
	s_waitcnt_depctr 0xfff
	v_mul_f32_e32 v4, 0x4f7ffffe, v4
	v_cvt_u32_f32_e32 v4, v4
	s_delay_alu instid0(VALU_DEP_1) | instskip(NEXT) | instid1(VALU_DEP_1)
	v_mul_lo_u32 v5, v5, v4
	v_mul_hi_u32 v5, v4, v5
	s_delay_alu instid0(VALU_DEP_1) | instskip(NEXT) | instid1(VALU_DEP_1)
	v_add_nc_u32_e32 v4, v4, v5
	v_mad_u64_u32 v[16:17], null, s0, v4, 0
	v_cmpx_ne_u64_e32 0, v[19:20]
	s_cbranch_execz .LBB199_3
; %bb.2:
	s_ashr_i32 s13, s12, 31
	s_delay_alu instid0(SALU_CYCLE_1) | instskip(NEXT) | instid1(SALU_CYCLE_1)
	s_lshl_b64 s[2:3], s[12:13], 2
	v_add_co_u32 v4, vcc_lo, v19, s2
	v_add_co_ci_u32_e32 v5, vcc_lo, s3, v20, vcc_lo
	flat_load_b32 v87, v[4:5]
.LBB199_3:
	s_or_b32 exec_lo, exec_lo, s1
	v_and_b32_e32 v158, 0x3ff, v31
	v_ashrrev_i32_e32 v3, 31, v3
	s_ashr_i32 s1, s12, 31
	s_mul_i32 s6, s12, 0x78
	s_mov_b32 s2, exec_lo
	v_cmpx_gt_u32_e32 15, v158
	s_cbranch_execz .LBB199_5
; %bb.4:
	v_mul_lo_u32 v4, s4, v21
	s_ashr_i32 s7, s6, 31
	v_lshlrev_b32_e32 v0, 4, v158
	s_lshl_b64 s[18:19], s[6:7], 1
	s_delay_alu instid0(VALU_DEP_2) | instskip(NEXT) | instid1(VALU_DEP_1)
	v_ashrrev_i32_e32 v5, 31, v4
	v_lshlrev_b64 v[4:5], 1, v[4:5]
	s_delay_alu instid0(VALU_DEP_1) | instskip(NEXT) | instid1(VALU_DEP_2)
	v_add_co_u32 v4, vcc_lo, v6, v4
	v_add_co_ci_u32_e32 v5, vcc_lo, v7, v5, vcc_lo
	s_delay_alu instid0(VALU_DEP_2) | instskip(NEXT) | instid1(VALU_DEP_2)
	v_add_co_u32 v4, vcc_lo, v4, s18
	v_add_co_ci_u32_e32 v5, vcc_lo, s19, v5, vcc_lo
	s_delay_alu instid0(VALU_DEP_2) | instskip(NEXT) | instid1(VALU_DEP_2)
	v_add_co_u32 v4, vcc_lo, v4, v0
	v_add_co_ci_u32_e32 v5, vcc_lo, 0, v5, vcc_lo
	flat_load_b128 v[4:7], v[4:5]
	s_waitcnt vmcnt(0) lgkmcnt(0)
	ds_store_b128 v0, v[4:7]
.LBB199_5:
	s_or_b32 exec_lo, exec_lo, s2
	v_mul_lo_u32 v4, v17, v2
	v_xor_b32_e32 v3, s1, v3
	s_clause 0x1
	s_load_b32 s13, s[8:9], 0x14
	s_load_b32 s7, s[8:9], 0x8
	v_lshrrev_b32_e32 v185, 5, v158
	s_lshl_b32 s3, s14, 4
	v_and_b32_e32 v187, 31, v158
	v_mov_b32_e32 v175, 0xff7fffff
	s_mov_b32 s8, exec_lo
	v_sub_nc_u32_e32 v4, s0, v4
	s_add_i32 s0, s3, 16
	v_add_nc_u32_e32 v20, s3, v185
	v_lshlrev_b32_e32 v35, 2, v187
	s_waitcnt vmcnt(0) lgkmcnt(0)
	s_waitcnt_vscnt null, 0x0
	v_sub_nc_u32_e32 v7, v4, v2
	v_cmp_ge_u32_e32 vcc_lo, v4, v2
	v_add_nc_u32_e32 v5, 1, v17
	v_ashrrev_i32_e32 v21, 31, v20
	s_barrier
	buffer_gl0_inv
	v_cndmask_b32_e32 v4, v4, v7, vcc_lo
	v_dual_cndmask_b32 v5, v17, v5 :: v_dual_add_nc_u32 v6, 31, v82
	s_delay_alu instid0(VALU_DEP_2) | instskip(NEXT) | instid1(VALU_DEP_2)
	v_cmp_ge_u32_e32 vcc_lo, v4, v2
	v_ashrrev_i32_e32 v0, 31, v6
	s_delay_alu instid0(VALU_DEP_3) | instskip(SKIP_1) | instid1(VALU_DEP_3)
	v_add_nc_u32_e32 v7, 1, v5
	v_mul_lo_u32 v2, s4, v18
	v_lshrrev_b32_e32 v0, 27, v0
	s_delay_alu instid0(VALU_DEP_1) | instskip(NEXT) | instid1(VALU_DEP_1)
	v_dual_cndmask_b32 v4, v5, v7 :: v_dual_add_nc_u32 v5, v6, v0
	v_xor_b32_e32 v4, v4, v3
	s_delay_alu instid0(VALU_DEP_2) | instskip(NEXT) | instid1(VALU_DEP_2)
	v_ashrrev_i32_e32 v12, 5, v5
	v_sub_nc_u32_e32 v4, v4, v3
	v_ashrrev_i32_e32 v3, 31, v2
	s_delay_alu instid0(VALU_DEP_3) | instskip(NEXT) | instid1(VALU_DEP_3)
	v_min_i32_e32 v84, s0, v12
	v_mul_lo_u32 v36, v4, v23
	s_delay_alu instid0(VALU_DEP_3) | instskip(NEXT) | instid1(VALU_DEP_3)
	v_lshlrev_b64 v[48:49], 2, v[2:3]
	v_cmp_ge_i32_e64 s0, v20, v84
	s_delay_alu instid0(VALU_DEP_3)
	v_ashrrev_i32_e32 v37, 31, v36
	v_cmpx_lt_i32_e64 v20, v84
	s_cbranch_execz .LBB199_9
; %bb.6:
	v_mov_b32_e32 v6, 0
	s_clause 0x9
	scratch_store_b32 off, v12, s32 offset:436
	scratch_store_b32 off, v26, s32 offset:424
	scratch_store_b32 off, v25, s32 offset:420
	scratch_store_b32 off, v24, s32 offset:416
	scratch_store_b32 off, v22, s32 offset:412
	scratch_store_b32 off, v10, s32 offset:408
	scratch_store_b32 off, v11, s32 offset:404
	scratch_store_b32 off, v158, s32 offset:384
	scratch_store_b32 off, v157, s32 offset:380
	scratch_store_b32 off, v156, s32 offset:376
	s_getpc_b64 s[18:19]
	s_add_u32 s18, s18, llvm.amdgcn.dynlds.offset.table@rel32@lo+4
	s_addc_u32 s19, s19, llvm.amdgcn.dynlds.offset.table@rel32@hi+12
	s_ashr_i32 s11, s10, 31
	v_sub_nc_u32_e32 v189, 1, v82
	ds_load_b128 v[2:5], v6
	ds_load_b128 v[16:19], v6 offset:16
	ds_load_b128 v[23:26], v6 offset:32
	;; [unrolled: 1-line block ×3, first 2 shown]
	s_lshl_b64 s[20:21], s[10:11], 2
	s_mov_b32 s9, 0
	s_add_u32 s18, s20, s18
	s_addc_u32 s19, s21, s19
	v_mov_b32_e32 v190, v20
	s_load_b32 s1, s[18:19], 0x0
	v_mov_b32_e32 v175, 0xff7fffff
	s_clause 0x3
	scratch_store_b32 off, v15, s32 offset:396
	scratch_store_b32 off, v14, s32 offset:400
	scratch_store_b64 off, v[48:49], s32 offset:428
	scratch_store_b64 off, v[36:37], s32 offset:440
	s_waitcnt lgkmcnt(0)
	v_bfi_b32 v0, 0xffff, 0, v2
	v_lshlrev_b32_e32 v119, 16, v18
	ds_load_b128 v[31:34], v6 offset:64
	v_bfi_b32 v130, 0xffff, 0, v5
	v_lshlrev_b32_e32 v131, 16, v5
	scratch_store_b32 off, v0, s32 offset:320 ; 4-byte Folded Spill
	v_lshlrev_b32_e32 v0, 16, v2
	v_bfi_b32 v144, 0xffff, 0, v27
	v_lshlrev_b32_e32 v145, 16, v27
	v_bfi_b32 v146, 0xffff, 0, v28
	v_lshlrev_b32_e32 v147, 16, v28
	scratch_store_b32 off, v0, s32 offset:324 ; 4-byte Folded Spill
	v_bfi_b32 v0, 0xffff, 0, v16
	v_bfi_b32 v148, 0xffff, 0, v29
	v_lshlrev_b32_e32 v149, 16, v29
	v_bfi_b32 v150, 0xffff, 0, v30
	v_lshlrev_b32_e32 v151, 16, v30
	scratch_store_b32 off, v0, s32 offset:328 ; 4-byte Folded Spill
	v_lshlrev_b32_e32 v0, 16, v16
	ds_load_b128 v[27:30], v6 offset:128
	v_bfi_b32 v118, 0xffff, 0, v18
	v_bfi_b32 v132, 0xffff, 0, v19
	v_lshlrev_b32_e32 v133, 16, v19
	scratch_store_b32 off, v0, s32 offset:332 ; 4-byte Folded Spill
	v_bfi_b32 v0, 0xffff, 0, v23
	v_bfi_b32 v128, 0xffff, 0, v25
	v_lshlrev_b32_e32 v129, 16, v25
	v_bfi_b32 v134, 0xffff, 0, v26
	v_lshlrev_b32_e32 v135, 16, v26
	scratch_store_b32 off, v0, s32 offset:336 ; 4-byte Folded Spill
	v_lshlrev_b32_e32 v0, 16, v23
	scratch_store_b32 off, v0, s32 offset:340 ; 4-byte Folded Spill
	v_bfi_b32 v0, 0xffff, 0, v3
	scratch_store_b32 off, v0, s32 offset:344 ; 4-byte Folded Spill
	v_lshlrev_b32_e32 v0, 16, v3
	scratch_store_b32 off, v0, s32 offset:348 ; 4-byte Folded Spill
	v_bfi_b32 v0, 0xffff, 0, v17
	scratch_store_b32 off, v0, s32 offset:352 ; 4-byte Folded Spill
	v_lshlrev_b32_e32 v0, 16, v17
	ds_load_b128 v[16:19], v6 offset:96
	scratch_store_b32 off, v0, s32 offset:356 ; 4-byte Folded Spill
	v_bfi_b32 v0, 0xffff, 0, v24
	scratch_store_b32 off, v0, s32 offset:360 ; 4-byte Folded Spill
	v_lshlrev_b32_e32 v0, 16, v24
	ds_load_b128 v[23:26], v6 offset:112
	scratch_store_b32 off, v0, s32 offset:364 ; 4-byte Folded Spill
	v_bfi_b32 v0, 0xffff, 0, v4
	s_waitcnt lgkmcnt(1)
	v_bfi_b32 v40, 0xffff, 0, v16
	v_lshlrev_b32_e32 v41, 16, v16
	scratch_store_b32 off, v0, s32 offset:368 ; 4-byte Folded Spill
	v_lshlrev_b32_e32 v0, 16, v4
	ds_load_b128 v[2:5], v6 offset:80
	v_bfi_b32 v45, 0xffff, 0, v17
	v_lshlrev_b32_e32 v46, 16, v17
	v_bfi_b32 v57, 0xffff, 0, v18
	v_lshlrev_b32_e32 v58, 16, v18
	;; [unrolled: 2-line block ×3, first 2 shown]
	ds_load_b128 v[16:19], v6 offset:160
	s_waitcnt lgkmcnt(2)
	v_bfi_b32 v42, 0xffff, 0, v23
	v_lshlrev_b32_e32 v43, 16, v23
	v_bfi_b32 v47, 0xffff, 0, v24
	v_lshlrev_b32_e32 v56, 16, v24
	;; [unrolled: 2-line block ×4, first 2 shown]
	ds_load_b128 v[23:26], v6 offset:176
	scratch_store_b32 off, v0, s32 offset:372 ; 4-byte Folded Spill
	v_bfi_b32 v160, 0xffff, 0, v31
	v_lshlrev_b32_e32 v161, 16, v31
	s_waitcnt lgkmcnt(2)
	v_bfi_b32 v176, 0xffff, 0, v2
	v_lshlrev_b32_e32 v177, 16, v2
	v_bfi_b32 v178, 0xffff, 0, v3
	v_lshlrev_b32_e32 v179, 16, v3
	;; [unrolled: 2-line block ×4, first 2 shown]
	ds_load_b128 v[2:5], v6 offset:144
	v_bfi_b32 v44, 0xffff, 0, v27
	v_lshlrev_b32_e32 v73, 16, v27
	v_bfi_b32 v74, 0xffff, 0, v28
	v_lshlrev_b32_e32 v75, 16, v28
	;; [unrolled: 2-line block ×4, first 2 shown]
	ds_load_b128 v[27:30], v6 offset:192
	s_waitcnt lgkmcnt(3)
	v_bfi_b32 v104, 0xffff, 0, v16
	v_lshlrev_b32_e32 v105, 16, v16
	v_bfi_b32 v106, 0xffff, 0, v17
	v_lshlrev_b32_e32 v107, 16, v17
	;; [unrolled: 2-line block ×4, first 2 shown]
	ds_load_b128 v[16:19], v6 offset:224
	v_bfi_b32 v162, 0xffff, 0, v32
	s_waitcnt lgkmcnt(2)
	v_bfi_b32 v88, 0xffff, 0, v2
	v_lshlrev_b32_e32 v89, 16, v2
	v_bfi_b32 v90, 0xffff, 0, v3
	v_lshlrev_b32_e32 v91, 16, v3
	;; [unrolled: 2-line block ×4, first 2 shown]
	ds_load_b128 v[2:5], v6 offset:208
	v_lshlrev_b32_e32 v6, 4, v187
	s_clause 0x1
	scratch_store_b32 off, v185, s32 offset:388
	scratch_store_b32 off, v35, s32 offset:448
	v_lshlrev_b32_e32 v163, 16, v32
	v_bfi_b32 v164, 0xffff, 0, v33
	v_lshlrev_b32_e32 v165, 16, v33
	v_bfi_b32 v166, 0xffff, 0, v34
	;; [unrolled: 2-line block ×6, first 2 shown]
	v_lshlrev_b32_e32 v127, 16, v26
	s_waitcnt lgkmcnt(2)
	v_bfi_b32 v136, 0xffff, 0, v27
	v_lshlrev_b32_e32 v137, 16, v27
	v_bfi_b32 v138, 0xffff, 0, v28
	v_lshlrev_b32_e32 v139, 16, v28
	s_waitcnt lgkmcnt(0)
	v_bfi_b32 v152, 0xffff, 0, v2
	v_lshlrev_b32_e32 v153, 16, v2
	v_bfi_b32 v154, 0xffff, 0, v3
	v_lshlrev_b32_e32 v155, 16, v3
	v_lshlrev_b64 v[2:3], 1, v[36:37]
	v_bfi_b32 v156, 0xffff, 0, v4
	v_lshlrev_b32_e32 v157, 16, v4
	v_bfi_b32 v158, 0xffff, 0, v5
	v_lshlrev_b32_e32 v159, 16, v5
	v_lshlrev_b64 v[4:5], 2, v[20:21]
	v_add_co_u32 v2, vcc_lo, v8, v2
	v_add_co_ci_u32_e32 v3, vcc_lo, v9, v3, vcc_lo
	v_bfi_b32 v140, 0xffff, 0, v29
	s_delay_alu instid0(VALU_DEP_4) | instskip(SKIP_2) | instid1(VALU_DEP_3)
	v_add_co_u32 v4, vcc_lo, v48, v4
	v_add_co_ci_u32_e32 v5, vcc_lo, v49, v5, vcc_lo
	v_lshlrev_b32_e32 v141, 16, v29
	v_add_co_u32 v80, vcc_lo, v14, v4
	s_delay_alu instid0(VALU_DEP_3)
	v_add_co_ci_u32_e32 v81, vcc_lo, v15, v5, vcc_lo
	v_lshlrev_b32_e32 v4, 5, v185
	v_lshl_or_b32 v5, v185, 7, v35
	v_add_co_u32 v185, vcc_lo, v2, v6
	v_add_co_ci_u32_e32 v186, vcc_lo, 0, v3, vcc_lo
	v_bfi_b32 v142, 0xffff, 0, v30
	v_lshlrev_b32_e32 v143, 16, v30
	v_bfi_b32 v168, 0xffff, 0, v16
	v_lshlrev_b32_e32 v169, 16, v16
	;; [unrolled: 2-line block ×5, first 2 shown]
	v_cmp_neq_f32_e32 vcc_lo, 0, v87
	scratch_store_b32 off, v187, s32 offset:392 ; 4-byte Folded Spill
	v_add3_u32 v187, s17, v4, v187
	v_add_nc_u32_e32 v188, s1, v5
.LBB199_7:                              ; =>This Inner Loop Header: Depth=1
	flat_load_b32 v4, v[80:81]
	v_dual_mov_b32 v117, v191 :: v_dual_add_nc_u32 v190, 4, v190
	s_waitcnt vmcnt(0) lgkmcnt(0)
	v_mad_i64_i32 v[2:3], null, v4, v191, 0
	s_delay_alu instid0(VALU_DEP_1) | instskip(NEXT) | instid1(VALU_DEP_1)
	v_lshlrev_b64 v[2:3], 1, v[2:3]
	v_add_co_u32 v18, s1, v185, v2
	s_delay_alu instid0(VALU_DEP_1)
	v_add_co_ci_u32_e64 v19, s1, v186, v3, s1
	v_add_nc_u32_e32 v2, v189, v187
	v_cmp_lt_i32_e64 s1, v187, v82
	v_add_nc_u32_e32 v187, 0x80, v187
	s_clause 0x3
	flat_load_b128 v[6:9], v[18:19] offset:3584
	flat_load_b128 v[14:17], v[18:19]
	flat_load_b128 v[23:26], v[18:19] offset:512
	flat_load_b128 v[27:30], v[18:19] offset:1024
	scratch_load_b32 v0, off, s32 offset:328 ; 4-byte Folded Reload
	v_cvt_f32_i32_e32 v2, v2
	flat_load_b128 v[64:67], v[18:19] offset:3072
	s_waitcnt vmcnt(3) lgkmcnt(2)
	v_dual_mul_f32 v2, v87, v2 :: v_dual_and_b32 v5, 0xffff0000, v23
	s_delay_alu instid0(VALU_DEP_1) | instskip(SKIP_2) | instid1(VALU_DEP_3)
	v_dual_cndmask_b32 v191, 0, v2 :: v_dual_lshlrev_b32 v4, 16, v23
	v_and_b32_e32 v2, 0xffff0000, v14
	s_waitcnt vmcnt(1)
	v_dual_mul_f32 v39, v0, v5 :: v_dual_lshlrev_b32 v10, 16, v24
	scratch_load_b32 v0, off, s32 offset:332 ; 4-byte Folded Reload
	s_waitcnt vmcnt(0)
	v_mul_f32_e32 v5, v0, v4
	scratch_load_b32 v0, off, s32 offset:324 ; 4-byte Folded Reload
	v_and_b32_e32 v4, 0xffff0000, v24
	v_lshlrev_b32_e32 v3, 16, v14
	s_waitcnt vmcnt(0)
	s_delay_alu instid0(VALU_DEP_1)
	v_fmac_f32_e32 v5, v0, v3
	scratch_load_b32 v0, off, s32 offset:320 ; 4-byte Folded Reload
	s_waitcnt lgkmcnt(1)
	v_and_b32_e32 v3, 0xffff0000, v27
	s_waitcnt vmcnt(0)
	v_fmac_f32_e32 v39, v0, v2
	scratch_load_b32 v0, off, s32 offset:336 ; 4-byte Folded Reload
	v_lshlrev_b32_e32 v2, 16, v27
	s_waitcnt vmcnt(0)
	v_fmac_f32_e32 v39, v0, v3
	scratch_load_b32 v0, off, s32 offset:340 ; 4-byte Folded Reload
	s_waitcnt vmcnt(0)
	v_fmac_f32_e32 v5, v0, v2
	scratch_load_b32 v0, off, s32 offset:352 ; 4-byte Folded Reload
	v_and_b32_e32 v2, 0xffff0000, v15
	s_waitcnt vmcnt(0)
	v_mul_f32_e32 v4, v0, v4
	scratch_load_b32 v0, off, s32 offset:356 ; 4-byte Folded Reload
	s_waitcnt vmcnt(0)
	v_mul_f32_e32 v83, v0, v10
	scratch_load_b32 v0, off, s32 offset:348 ; 4-byte Folded Reload
	v_lshlrev_b32_e32 v10, 16, v25
	s_delay_alu instid0(VALU_DEP_1) | instskip(SKIP_2) | instid1(VALU_DEP_2)
	v_dual_mul_f32 v12, v119, v10 :: v_dual_lshlrev_b32 v3, 16, v15
	v_and_b32_e32 v11, 0xffff0000, v25
	v_lshlrev_b32_e32 v10, 16, v26
	v_mul_f32_e32 v86, v118, v11
	s_waitcnt vmcnt(0)
	v_fmac_f32_e32 v83, v0, v3
	scratch_load_b32 v0, off, s32 offset:344 ; 4-byte Folded Reload
	s_waitcnt vmcnt(0)
	v_dual_fmac_f32 v4, v0, v2 :: v_dual_and_b32 v3, 0xffff0000, v28
	scratch_load_b32 v0, off, s32 offset:360 ; 4-byte Folded Reload
	v_lshlrev_b32_e32 v2, 16, v28
	s_waitcnt vmcnt(0)
	v_dual_fmac_f32 v4, v0, v3 :: v_dual_lshlrev_b32 v3, 16, v16
	scratch_load_b32 v0, off, s32 offset:364 ; 4-byte Folded Reload
	v_and_b32_e32 v11, 0xffff0000, v26
	s_delay_alu instid0(VALU_DEP_1)
	v_mul_f32_e32 v85, v132, v11
	v_mul_f32_e32 v11, v133, v10
	s_waitcnt vmcnt(0)
	v_fmac_f32_e32 v83, v0, v2
	scratch_load_b32 v0, off, s32 offset:372 ; 4-byte Folded Reload
	v_and_b32_e32 v2, 0xffff0000, v16
	s_waitcnt vmcnt(0)
	v_fmac_f32_e32 v12, v0, v3
	scratch_load_b32 v0, off, s32 offset:368 ; 4-byte Folded Reload
	s_waitcnt vmcnt(0)
	v_dual_fmac_f32 v86, v0, v2 :: v_dual_and_b32 v3, 0xffff0000, v29
	v_lshlrev_b32_e32 v2, 16, v29
	s_delay_alu instid0(VALU_DEP_2) | instskip(NEXT) | instid1(VALU_DEP_2)
	v_dual_fmac_f32 v86, v128, v3 :: v_dual_lshlrev_b32 v3, 16, v17
	v_fmac_f32_e32 v12, v129, v2
	v_and_b32_e32 v2, 0xffff0000, v17
	flat_load_b128 v[14:17], v[18:19] offset:1536
	s_waitcnt vmcnt(0) lgkmcnt(0)
	v_dual_fmac_f32 v85, v130, v2 :: v_dual_and_b32 v0, 0xffff0000, v16
	v_and_b32_e32 v96, 0xffff0000, v15
	v_fmac_f32_e32 v11, v131, v3
	v_lshlrev_b32_e32 v71, 16, v14
	v_lshlrev_b32_e32 v2, 16, v30
	s_delay_alu instid0(VALU_DEP_4) | instskip(SKIP_1) | instid1(VALU_DEP_4)
	v_dual_fmac_f32 v4, v146, v96 :: v_dual_lshlrev_b32 v1, 16, v15
	v_and_b32_e32 v3, 0xffff0000, v30
	v_dual_fmac_f32 v5, v145, v71 :: v_dual_lshlrev_b32 v22, 16, v16
	s_delay_alu instid0(VALU_DEP_4) | instskip(NEXT) | instid1(VALU_DEP_3)
	v_fmac_f32_e32 v11, v135, v2
	v_dual_fmac_f32 v85, v134, v3 :: v_dual_and_b32 v70, 0xffff0000, v14
	v_and_b32_e32 v10, 0xffff0000, v17
	v_lshlrev_b32_e32 v3, 16, v17
	flat_load_b128 v[14:17], v[18:19] offset:2048
	v_fmac_f32_e32 v12, v149, v22
	v_fmac_f32_e32 v86, v148, v0
	v_lshlrev_b32_e32 v0, 16, v66
	s_waitcnt vmcnt(0) lgkmcnt(0)
	v_lshlrev_b32_e32 v97, 16, v14
	v_lshlrev_b32_e32 v99, 16, v15
	;; [unrolled: 1-line block ×3, first 2 shown]
	v_and_b32_e32 v102, 0xffff0000, v16
	v_lshlrev_b32_e32 v2, 16, v17
	v_and_b32_e32 v68, 0xffff0000, v17
	v_dual_fmac_f32 v5, v161, v97 :: v_dual_and_b32 v98, 0xffff0000, v14
	v_dual_fmac_f32 v39, v144, v70 :: v_dual_and_b32 v100, 0xffff0000, v15
	flat_load_b128 v[14:17], v[18:19] offset:2560
	v_fmac_f32_e32 v85, v150, v10
	s_waitcnt vmcnt(0) lgkmcnt(0)
	v_and_b32_e32 v113, 0xffff0000, v15
	v_lshlrev_b32_e32 v114, 16, v15
	v_add_co_u32 v15, s2, 0x1000, v18
	v_and_b32_e32 v115, 0xffff0000, v16
	v_lshlrev_b32_e32 v116, 16, v16
	v_add_co_ci_u32_e64 v16, s2, 0, v19, s2
	v_and_b32_e32 v103, 0xffff0000, v14
	v_lshlrev_b32_e32 v112, 16, v14
	v_and_b32_e32 v69, 0xffff0000, v17
	v_lshlrev_b32_e32 v14, 16, v17
	s_clause 0x6
	flat_load_b128 v[52:55], v[15:16]
	flat_load_b128 v[48:51], v[15:16] offset:512
	flat_load_b128 v[35:38], v[15:16] offset:1024
	;; [unrolled: 1-line block ×6, first 2 shown]
	v_lshlrev_b32_e32 v15, 16, v64
	v_fmac_f32_e32 v5, v177, v112
	v_dual_fmac_f32 v39, v160, v98 :: v_dual_fmac_f32 v4, v162, v100
	s_delay_alu instid0(VALU_DEP_2) | instskip(SKIP_1) | instid1(VALU_DEP_3)
	v_fmac_f32_e32 v5, v41, v15
	v_and_b32_e32 v15, 0xffff0000, v6
	v_dual_fmac_f32 v39, v176, v103 :: v_dual_lshlrev_b32 v6, 16, v6
	v_fmac_f32_e32 v86, v164, v102
	v_fmac_f32_e32 v4, v178, v113
	;; [unrolled: 1-line block ×3, first 2 shown]
	s_waitcnt vmcnt(6) lgkmcnt(6)
	v_dual_fmac_f32 v5, v43, v6 :: v_dual_lshlrev_b32 v6, 16, v52
	s_delay_alu instid0(VALU_DEP_1) | instskip(SKIP_2) | instid1(VALU_DEP_2)
	v_dual_fmac_f32 v5, v73, v6 :: v_dual_and_b32 v64, 0xffff0000, v64
	s_waitcnt vmcnt(5) lgkmcnt(5)
	v_and_b32_e32 v6, 0xffff0000, v48
	v_fmac_f32_e32 v39, v40, v64
	s_delay_alu instid0(VALU_DEP_1) | instskip(SKIP_1) | instid1(VALU_DEP_1)
	v_fmac_f32_e32 v39, v42, v15
	v_and_b32_e32 v15, 0xffff0000, v52
	v_fmac_f32_e32 v39, v44, v15
	v_lshlrev_b32_e32 v15, 16, v48
	s_waitcnt vmcnt(4) lgkmcnt(4)
	s_delay_alu instid0(VALU_DEP_2) | instskip(NEXT) | instid1(VALU_DEP_2)
	v_dual_fmac_f32 v39, v88, v6 :: v_dual_lshlrev_b32 v6, 16, v35
	v_fmac_f32_e32 v5, v89, v15
	v_and_b32_e32 v15, 0xffff0000, v35
	s_waitcnt vmcnt(3) lgkmcnt(3)
	s_delay_alu instid0(VALU_DEP_2) | instskip(NEXT) | instid1(VALU_DEP_2)
	v_dual_fmac_f32 v5, v105, v6 :: v_dual_and_b32 v6, 0xffff0000, v31
	v_fmac_f32_e32 v39, v104, v15
	v_lshlrev_b32_e32 v15, 16, v31
	s_waitcnt vmcnt(2) lgkmcnt(2)
	s_delay_alu instid0(VALU_DEP_2) | instskip(NEXT) | instid1(VALU_DEP_2)
	v_dual_fmac_f32 v39, v120, v6 :: v_dual_lshlrev_b32 v6, 16, v27
	v_fmac_f32_e32 v5, v121, v15
	v_and_b32_e32 v15, 0xffff0000, v27
	s_waitcnt vmcnt(1) lgkmcnt(1)
	s_delay_alu instid0(VALU_DEP_2) | instskip(NEXT) | instid1(VALU_DEP_2)
	v_dual_fmac_f32 v5, v137, v6 :: v_dual_and_b32 v6, 0xffff0000, v23
	v_fmac_f32_e32 v39, v136, v15
	v_lshlrev_b32_e32 v15, 16, v23
	s_delay_alu instid0(VALU_DEP_2) | instskip(SKIP_1) | instid1(VALU_DEP_2)
	v_fmac_f32_e32 v39, v152, v6
	s_waitcnt vmcnt(0) lgkmcnt(0)
	v_dual_fmac_f32 v5, v153, v15 :: v_dual_lshlrev_b32 v6, 16, v16
	s_delay_alu instid0(VALU_DEP_1) | instskip(NEXT) | instid1(VALU_DEP_1)
	v_dual_fmac_f32 v5, v169, v6 :: v_dual_and_b32 v6, 0xffff0000, v65
	v_fmac_f32_e32 v4, v45, v6
	v_dual_fmac_f32 v83, v147, v1 :: v_dual_lshlrev_b32 v6, 16, v7
	v_lshlrev_b32_e32 v1, 16, v65
	s_delay_alu instid0(VALU_DEP_2) | instskip(NEXT) | instid1(VALU_DEP_1)
	v_fmac_f32_e32 v83, v163, v99
	v_fmac_f32_e32 v83, v179, v114
	s_delay_alu instid0(VALU_DEP_1) | instskip(SKIP_1) | instid1(VALU_DEP_1)
	v_fmac_f32_e32 v83, v46, v1
	v_and_b32_e32 v1, 0xffff0000, v7
	v_dual_fmac_f32 v83, v56, v6 :: v_dual_fmac_f32 v4, v47, v1
	v_lshlrev_b32_e32 v1, 16, v53
	v_and_b32_e32 v6, 0xffff0000, v53
	s_delay_alu instid0(VALU_DEP_1) | instskip(SKIP_2) | instid1(VALU_DEP_1)
	v_dual_fmac_f32 v83, v75, v1 :: v_dual_fmac_f32 v4, v74, v6
	v_and_b32_e32 v1, 0xffff0000, v49
	v_dual_fmac_f32 v11, v151, v3 :: v_dual_lshlrev_b32 v6, 16, v49
	v_dual_fmac_f32 v4, v90, v1 :: v_dual_fmac_f32 v83, v91, v6
	v_lshlrev_b32_e32 v1, 16, v36
	s_delay_alu instid0(VALU_DEP_3) | instskip(NEXT) | instid1(VALU_DEP_1)
	v_dual_fmac_f32 v11, v167, v2 :: v_dual_and_b32 v6, 0xffff0000, v36
	v_dual_fmac_f32 v83, v107, v1 :: v_dual_fmac_f32 v4, v106, v6
	v_and_b32_e32 v1, 0xffff0000, v32
	v_lshlrev_b32_e32 v6, 16, v32
	s_delay_alu instid0(VALU_DEP_4) | instskip(NEXT) | instid1(VALU_DEP_2)
	v_dual_fmac_f32 v12, v165, v101 :: v_dual_fmac_f32 v11, v183, v14
	v_dual_fmac_f32 v4, v122, v1 :: v_dual_fmac_f32 v83, v123, v6
	v_lshlrev_b32_e32 v1, 16, v28
	v_and_b32_e32 v6, 0xffff0000, v28
	s_delay_alu instid0(VALU_DEP_2) | instskip(NEXT) | instid1(VALU_DEP_2)
	v_dual_fmac_f32 v12, v181, v116 :: v_dual_fmac_f32 v83, v139, v1
	v_dual_fmac_f32 v4, v138, v6 :: v_dual_and_b32 v1, 0xffff0000, v24
	v_lshlrev_b32_e32 v6, 16, v24
	s_delay_alu instid0(VALU_DEP_3) | instskip(SKIP_1) | instid1(VALU_DEP_4)
	v_fmac_f32_e32 v12, v58, v0
	v_and_b32_e32 v0, 0xffff0000, v8
	v_dual_fmac_f32 v4, v154, v1 :: v_dual_and_b32 v15, 0xffff0000, v16
	s_delay_alu instid0(VALU_DEP_4) | instskip(SKIP_1) | instid1(VALU_DEP_3)
	v_dual_fmac_f32 v86, v180, v115 :: v_dual_fmac_f32 v83, v155, v6
	v_lshlrev_b32_e32 v1, 16, v17
	v_dual_fmac_f32 v39, v168, v15 :: v_dual_and_b32 v6, 0xffff0000, v17
	s_delay_alu instid0(VALU_DEP_2) | instskip(SKIP_1) | instid1(VALU_DEP_3)
	v_fmac_f32_e32 v83, v171, v1
	v_and_b32_e32 v1, 0xffff0000, v66
	v_fmac_f32_e32 v4, v170, v6
	v_fmac_f32_e32 v85, v182, v69
	s_delay_alu instid0(VALU_DEP_3) | instskip(NEXT) | instid1(VALU_DEP_1)
	v_dual_fmac_f32 v86, v57, v1 :: v_dual_lshlrev_b32 v1, 16, v8
	v_fmac_f32_e32 v86, v61, v0
	s_delay_alu instid0(VALU_DEP_2) | instskip(SKIP_1) | instid1(VALU_DEP_1)
	v_fmac_f32_e32 v12, v62, v1
	v_lshlrev_b32_e32 v0, 16, v54
	v_dual_fmac_f32 v12, v77, v0 :: v_dual_and_b32 v1, 0xffff0000, v54
	s_delay_alu instid0(VALU_DEP_1) | instskip(SKIP_1) | instid1(VALU_DEP_1)
	v_fmac_f32_e32 v86, v76, v1
	v_and_b32_e32 v0, 0xffff0000, v50
	v_dual_fmac_f32 v86, v92, v0 :: v_dual_lshlrev_b32 v1, 16, v50
	s_delay_alu instid0(VALU_DEP_1) | instskip(SKIP_1) | instid1(VALU_DEP_1)
	v_fmac_f32_e32 v12, v93, v1
	v_lshlrev_b32_e32 v0, 16, v37
	v_dual_fmac_f32 v12, v109, v0 :: v_dual_and_b32 v1, 0xffff0000, v37
	s_delay_alu instid0(VALU_DEP_1) | instskip(SKIP_1) | instid1(VALU_DEP_1)
	v_fmac_f32_e32 v86, v108, v1
	v_and_b32_e32 v0, 0xffff0000, v33
	v_dual_fmac_f32 v86, v124, v0 :: v_dual_lshlrev_b32 v1, 16, v33
	s_delay_alu instid0(VALU_DEP_1) | instskip(SKIP_1) | instid1(VALU_DEP_1)
	;; [unrolled: 8-line block ×3, first 2 shown]
	v_fmac_f32_e32 v12, v157, v1
	v_lshlrev_b32_e32 v0, 16, v18
	v_dual_fmac_f32 v12, v173, v0 :: v_dual_and_b32 v1, 0xffff0000, v18
	v_lshlrev_b32_e32 v0, 16, v67
	s_delay_alu instid0(VALU_DEP_1) | instskip(NEXT) | instid1(VALU_DEP_3)
	v_dual_fmac_f32 v11, v60, v0 :: v_dual_and_b32 v0, 0xffff0000, v9
	v_dual_fmac_f32 v86, v172, v1 :: v_dual_and_b32 v1, 0xffff0000, v67
	s_delay_alu instid0(VALU_DEP_1) | instskip(SKIP_1) | instid1(VALU_DEP_2)
	v_fmac_f32_e32 v85, v59, v1
	v_lshlrev_b32_e32 v1, 16, v9
	v_fmac_f32_e32 v85, v63, v0
	s_delay_alu instid0(VALU_DEP_2) | instskip(SKIP_1) | instid1(VALU_DEP_2)
	v_dual_fmac_f32 v11, v72, v1 :: v_dual_lshlrev_b32 v0, 16, v55
	v_and_b32_e32 v1, 0xffff0000, v55
	v_fmac_f32_e32 v11, v79, v0
	s_delay_alu instid0(VALU_DEP_2) | instskip(SKIP_1) | instid1(VALU_DEP_2)
	v_dual_fmac_f32 v85, v78, v1 :: v_dual_and_b32 v0, 0xffff0000, v51
	v_lshlrev_b32_e32 v1, 16, v51
	v_dual_fmac_f32 v85, v94, v0 :: v_dual_lshlrev_b32 v0, 16, v38
	s_delay_alu instid0(VALU_DEP_2) | instskip(SKIP_1) | instid1(VALU_DEP_2)
	v_fmac_f32_e32 v11, v95, v1
	v_and_b32_e32 v1, 0xffff0000, v38
	v_fmac_f32_e32 v11, v111, v0
	s_delay_alu instid0(VALU_DEP_2) | instskip(SKIP_1) | instid1(VALU_DEP_2)
	v_dual_fmac_f32 v85, v110, v1 :: v_dual_and_b32 v0, 0xffff0000, v34
	v_lshlrev_b32_e32 v1, 16, v34
	v_fmac_f32_e32 v85, v126, v0
	s_delay_alu instid0(VALU_DEP_2) | instskip(SKIP_1) | instid1(VALU_DEP_2)
	v_dual_fmac_f32 v11, v127, v1 :: v_dual_lshlrev_b32 v0, 16, v30
	v_and_b32_e32 v1, 0xffff0000, v30
	v_fmac_f32_e32 v11, v143, v0
	s_delay_alu instid0(VALU_DEP_2) | instskip(SKIP_1) | instid1(VALU_DEP_2)
	v_dual_fmac_f32 v85, v142, v1 :: v_dual_and_b32 v0, 0xffff0000, v26
	v_lshlrev_b32_e32 v1, 16, v26
	v_fmac_f32_e32 v85, v158, v0
	s_delay_alu instid0(VALU_DEP_2) | instskip(SKIP_1) | instid1(VALU_DEP_2)
	v_dual_fmac_f32 v11, v159, v1 :: v_dual_lshlrev_b32 v0, 16, v19
	v_and_b32_e32 v1, 0xffff0000, v19
	v_dual_fmac_f32 v11, v184, v0 :: v_dual_add_f32 v0, v5, v39
	s_delay_alu instid0(VALU_DEP_1) | instskip(NEXT) | instid1(VALU_DEP_1)
	v_dual_fmac_f32 v85, v174, v1 :: v_dual_add_f32 v0, v0, v83
	v_add_f32_e32 v0, v4, v0
	s_delay_alu instid0(VALU_DEP_1) | instskip(NEXT) | instid1(VALU_DEP_1)
	v_add_f32_e32 v0, v12, v0
	v_add_f32_e32 v0, v86, v0
	s_delay_alu instid0(VALU_DEP_1) | instskip(NEXT) | instid1(VALU_DEP_1)
	v_add_f32_e32 v0, v11, v0
	v_add_f32_e32 v0, v85, v0
	s_delay_alu instid0(VALU_DEP_1) | instskip(NEXT) | instid1(VALU_DEP_1)
	v_fmac_f32_e32 v191, v0, v13
	v_cndmask_b32_e64 v0, 0, v191, s1
	ds_store_b32 v188, v0
	v_add_nc_u32_e32 v188, 0x200, v188
	v_max_f32_e32 v0, v175, v175
	s_delay_alu instid0(VALU_DEP_1) | instskip(NEXT) | instid1(VALU_DEP_1)
	v_dual_max_f32 v0, v0, v191 :: v_dual_mov_b32 v191, v117
	v_cndmask_b32_e64 v175, v175, v0, s1
	v_add_co_u32 v80, s1, v80, 16
	s_delay_alu instid0(VALU_DEP_1) | instskip(SKIP_1) | instid1(VALU_DEP_1)
	v_add_co_ci_u32_e64 v81, s1, 0, v81, s1
	v_cmp_ge_i32_e64 s1, v190, v84
	s_or_b32 s9, s1, s9
	s_delay_alu instid0(SALU_CYCLE_1)
	s_and_not1_b32 exec_lo, exec_lo, s9
	s_cbranch_execnz .LBB199_7
; %bb.8:
	s_or_b32 exec_lo, exec_lo, s9
	s_clause 0x10
	scratch_load_b32 v156, off, s32 offset:376
	scratch_load_b32 v157, off, s32 offset:380
	;; [unrolled: 1-line block ×13, first 2 shown]
	scratch_load_b64 v[48:49], off, s32 offset:428
	scratch_load_b32 v12, off, s32 offset:436
	scratch_load_b64 v[36:37], off, s32 offset:440
	scratch_load_b32 v35, off, s32 offset:448
.LBB199_9:
	s_or_b32 exec_lo, exec_lo, s8
	v_mbcnt_lo_u32_b32 v2, -1, 0
	s_lshr_b32 s8, s13, 16
	s_delay_alu instid0(VALU_DEP_1) | instskip(SKIP_2) | instid1(VALU_DEP_3)
	v_xor_b32_e32 v3, 16, v2
	v_xor_b32_e32 v5, 8, v2
	;; [unrolled: 1-line block ×3, first 2 shown]
	v_cmp_gt_i32_e32 vcc_lo, 32, v3
	v_cndmask_b32_e32 v3, v2, v3, vcc_lo
	s_delay_alu instid0(VALU_DEP_4) | instskip(NEXT) | instid1(VALU_DEP_2)
	v_cmp_gt_i32_e32 vcc_lo, 32, v5
	v_dual_cndmask_b32 v5, v2, v5 :: v_dual_lshlrev_b32 v4, 2, v3
	v_max_f32_e32 v6, v175, v175
	v_cmp_gt_i32_e32 vcc_lo, 32, v7
	ds_bpermute_b32 v3, v4, v175
	v_lshlrev_b32_e32 v5, 2, v5
	v_cndmask_b32_e32 v7, v2, v7, vcc_lo
	s_waitcnt lgkmcnt(0)
	v_max_f32_e32 v3, v3, v3
	s_delay_alu instid0(VALU_DEP_1) | instskip(SKIP_3) | instid1(VALU_DEP_1)
	v_max_f32_e32 v3, v6, v3
	ds_bpermute_b32 v6, v5, v3
	s_waitcnt lgkmcnt(0)
	v_max_f32_e32 v8, v6, v6
	v_dual_max_f32 v3, v3, v8 :: v_dual_lshlrev_b32 v6, 2, v7
	v_xor_b32_e32 v8, 2, v2
	ds_bpermute_b32 v7, v6, v3
	v_cmp_gt_i32_e32 vcc_lo, 32, v8
	s_waitcnt lgkmcnt(0)
	v_dual_cndmask_b32 v8, v2, v8 :: v_dual_max_f32 v7, v7, v7
	s_delay_alu instid0(VALU_DEP_1) | instskip(SKIP_1) | instid1(VALU_DEP_1)
	v_lshlrev_b32_e32 v16, 2, v8
	v_xor_b32_e32 v8, 1, v2
	v_cmp_gt_i32_e32 vcc_lo, 32, v8
	s_delay_alu instid0(VALU_DEP_4)
	v_dual_max_f32 v3, v3, v7 :: v_dual_cndmask_b32 v8, v2, v8
	ds_bpermute_b32 v7, v16, v3
	s_waitcnt vmcnt(12)
	v_cmp_eq_u32_e32 vcc_lo, 0, v187
	v_lshlrev_b32_e32 v13, 2, v8
	s_waitcnt lgkmcnt(0)
	v_max_f32_e32 v7, v7, v7
	s_delay_alu instid0(VALU_DEP_1)
	v_dual_max_f32 v2, v3, v7 :: v_dual_lshlrev_b32 v7, 2, v185
	ds_bpermute_b32 v3, v13, v2
	s_and_saveexec_b32 s1, vcc_lo
	s_cbranch_execz .LBB199_11
; %bb.10:
	s_waitcnt lgkmcnt(0)
	v_dual_max_f32 v0, v3, v3 :: v_dual_max_f32 v1, v2, v2
	s_delay_alu instid0(VALU_DEP_1)
	v_max_f32_e32 v0, v1, v0
	ds_store_b32 v7, v0 offset:240
.LBB199_11:
	s_or_b32 exec_lo, exec_lo, s1
	v_cmp_gt_u32_e64 s1, 4, v187
	v_mov_b32_e32 v2, 0xff7fffff
	s_waitcnt vmcnt(0) lgkmcnt(0)
	s_waitcnt_vscnt null, 0x0
	s_barrier
	buffer_gl0_inv
	s_and_saveexec_b32 s2, s1
	s_cbranch_execz .LBB199_13
; %bb.12:
	ds_load_b32 v2, v35 offset:240
.LBB199_13:
	s_or_b32 exec_lo, exec_lo, s2
	s_waitcnt lgkmcnt(0)
	ds_bpermute_b32 v0, v16, v2
	v_max_f32_e32 v1, v2, v2
	v_subrev_nc_u32_e32 v2, s3, v84
	v_mov_b32_e32 v8, 0
	s_waitcnt lgkmcnt(0)
	v_max_f32_e32 v0, v0, v0
	s_delay_alu instid0(VALU_DEP_1) | instskip(SKIP_3) | instid1(VALU_DEP_1)
	v_max_f32_e32 v0, v1, v0
	ds_bpermute_b32 v1, v13, v0
	s_waitcnt lgkmcnt(0)
	v_max_f32_e32 v1, v1, v1
	v_max_f32_e32 v0, v0, v1
	v_lshl_add_u32 v1, v2, 5, s17
	ds_bpermute_b32 v2, v8, v0
	v_min_i32_e32 v0, v1, v82
	s_delay_alu instid0(VALU_DEP_1) | instskip(NEXT) | instid1(VALU_DEP_1)
	v_subrev_nc_u32_e32 v3, s17, v0
	v_cmp_lt_i32_e64 s2, v158, v3
	s_delay_alu instid0(VALU_DEP_1)
	s_and_saveexec_b32 s9, s2
	s_cbranch_execz .LBB199_17
; %bb.14:
	s_getpc_b64 s[18:19]
	s_add_u32 s18, s18, llvm.amdgcn.dynlds.offset.table@rel32@lo+4
	s_addc_u32 s19, s19, llvm.amdgcn.dynlds.offset.table@rel32@hi+12
	s_ashr_i32 s11, s10, 31
	v_dual_mov_b32 v8, 0 :: v_dual_mov_b32 v1, v158
	s_lshl_b64 s[20:21], s[10:11], 2
	s_mov_b32 s11, 0
	s_add_u32 s18, s20, s18
	s_addc_u32 s19, s21, s19
	s_load_b32 s3, s[18:19], 0x0
	s_waitcnt lgkmcnt(0)
	v_lshl_add_u32 v9, v158, 2, s3
	.p2align	6
.LBB199_15:                             ; =>This Inner Loop Header: Depth=1
	ds_load_b32 v0, v9
	v_add_nc_u32_e32 v1, 0x80, v1
	s_delay_alu instid0(VALU_DEP_1) | instskip(NEXT) | instid1(VALU_DEP_1)
	v_cmp_ge_i32_e64 s3, v1, v3
	s_or_b32 s11, s3, s11
	s_waitcnt lgkmcnt(0)
	v_sub_f32_e32 v0, v0, v2
	s_delay_alu instid0(VALU_DEP_1) | instskip(NEXT) | instid1(VALU_DEP_1)
	v_mul_f32_e32 v0, 0x3fb8aa3b, v0
	v_exp_f32_e32 v0, v0
	ds_store_b32 v9, v0
	v_dual_add_f32 v8, v8, v0 :: v_dual_add_nc_u32 v9, 0x200, v9
	s_and_not1_b32 exec_lo, exec_lo, s11
	s_cbranch_execnz .LBB199_15
; %bb.16:
	s_or_b32 exec_lo, exec_lo, s11
.LBB199_17:
	s_delay_alu instid0(SALU_CYCLE_1)
	s_or_b32 exec_lo, exec_lo, s9
	ds_bpermute_b32 v0, v4, v8
	s_waitcnt lgkmcnt(0)
	v_add_f32_e32 v0, v8, v0
	ds_bpermute_b32 v1, v5, v0
	s_waitcnt lgkmcnt(0)
	v_add_f32_e32 v0, v0, v1
	ds_bpermute_b32 v1, v6, v0
	s_waitcnt lgkmcnt(0)
	v_add_f32_e32 v0, v0, v1
	ds_bpermute_b32 v1, v16, v0
	s_waitcnt lgkmcnt(0)
	v_add_f32_e32 v0, v0, v1
	ds_bpermute_b32 v1, v13, v0
	s_waitcnt lgkmcnt(0)
	v_add_f32_e32 v4, v0, v1
	s_and_saveexec_b32 s3, vcc_lo
	s_cbranch_execz .LBB199_19
; %bb.18:
	ds_store_b32 v7, v4 offset:256
.LBB199_19:
	s_or_b32 exec_lo, exec_lo, s3
	s_waitcnt lgkmcnt(0)
	s_barrier
	buffer_gl0_inv
	s_and_saveexec_b32 s3, s1
	s_cbranch_execz .LBB199_21
; %bb.20:
	ds_load_b32 v4, v35 offset:256
.LBB199_21:
	s_or_b32 exec_lo, exec_lo, s3
	s_waitcnt lgkmcnt(0)
	ds_bpermute_b32 v0, v16, v4
	s_waitcnt lgkmcnt(0)
	v_add_f32_e32 v0, v4, v0
	ds_bpermute_b32 v1, v13, v0
	s_waitcnt lgkmcnt(0)
	v_dual_add_f32 v0, v0, v1 :: v_dual_mov_b32 v1, 0
	ds_bpermute_b32 v4, v1, v0
	s_and_saveexec_b32 s1, s2
	s_cbranch_execz .LBB199_24
; %bb.22:
	s_waitcnt lgkmcnt(0)
	v_add_f32_e32 v0, 0x358637bd, v4
	s_getpc_b64 s[2:3]
	s_add_u32 s2, s2, llvm.amdgcn.dynlds.offset.table@rel32@lo+4
	s_addc_u32 s3, s3, llvm.amdgcn.dynlds.offset.table@rel32@hi+12
	s_ashr_i32 s11, s10, 31
	s_delay_alu instid0(SALU_CYCLE_1) | instskip(SKIP_4) | instid1(VALU_DEP_1)
	s_lshl_b64 s[18:19], s[10:11], 2
	v_div_scale_f32 v1, null, v0, v0, 1.0
	s_add_u32 s2, s18, s2
	s_addc_u32 s3, s19, s3
	s_load_b32 s2, s[2:3], 0x0
	v_rcp_f32_e32 v5, v1
	s_waitcnt_depctr 0xfff
	v_fma_f32 v6, -v1, v5, 1.0
	s_delay_alu instid0(VALU_DEP_1) | instskip(SKIP_1) | instid1(VALU_DEP_1)
	v_fmac_f32_e32 v5, v6, v5
	v_div_scale_f32 v7, vcc_lo, 1.0, v0, 1.0
	v_mul_f32_e32 v6, v7, v5
	s_delay_alu instid0(VALU_DEP_1) | instskip(NEXT) | instid1(VALU_DEP_1)
	v_fma_f32 v8, -v1, v6, v7
	v_fmac_f32_e32 v6, v8, v5
	s_delay_alu instid0(VALU_DEP_1) | instskip(SKIP_1) | instid1(VALU_DEP_2)
	v_fma_f32 v1, -v1, v6, v7
	v_mov_b32_e32 v7, v158
	v_div_fmas_f32 v1, v1, v5, v6
	s_waitcnt lgkmcnt(0)
	v_lshl_add_u32 v5, v158, 2, s2
	s_mov_b32 s2, 0
	s_delay_alu instid0(VALU_DEP_2)
	v_div_fixup_f32 v6, v1, v0, 1.0
.LBB199_23:                             ; =>This Inner Loop Header: Depth=1
	ds_load_b32 v0, v5
	s_waitcnt lgkmcnt(0)
	v_dual_mul_f32 v0, v6, v0 :: v_dual_add_nc_u32 v7, 0x80, v7
	s_delay_alu instid0(VALU_DEP_1) | instskip(SKIP_3) | instid1(SALU_CYCLE_1)
	v_cmp_ge_i32_e32 vcc_lo, v7, v3
	ds_store_b32 v5, v0
	v_add_nc_u32_e32 v5, 0x200, v5
	s_or_b32 s2, vcc_lo, s2
	s_and_not1_b32 exec_lo, exec_lo, s2
	s_cbranch_execnz .LBB199_23
.LBB199_24:
	s_or_b32 exec_lo, exec_lo, s1
	v_cmp_ne_u16_e64 s1, s8, 0
	s_mov_b32 s2, exec_lo
	s_waitcnt lgkmcnt(0)
	s_barrier
	buffer_gl0_inv
	s_cmp_lg_u32 s1, 0
	s_addc_u32 s1, s7, 0
	v_cmpx_eq_u32_e32 0, v158
	s_cbranch_execz .LBB199_26
; %bb.25:
	s_mul_i32 s3, s1, s4
	s_mul_i32 s8, s1, s12
	;; [unrolled: 1-line block ×3, first 2 shown]
	s_ashr_i32 s9, s8, 31
	s_ashr_i32 s15, s14, 31
	;; [unrolled: 1-line block ×3, first 2 shown]
	s_lshl_b64 s[8:9], s[8:9], 2
	s_lshl_b64 s[18:19], s[14:15], 2
	;; [unrolled: 1-line block ×3, first 2 shown]
	s_add_u32 s3, s18, s8
	s_addc_u32 s7, s19, s9
	s_add_u32 s3, s3, s12
	s_addc_u32 s7, s7, s13
	v_add_co_u32 v5, vcc_lo, s3, v26
	v_add_co_ci_u32_e32 v6, vcc_lo, s7, v25, vcc_lo
	v_add_co_u32 v0, vcc_lo, s3, v24
	v_add_co_ci_u32_e32 v1, vcc_lo, s7, v22, vcc_lo
	flat_store_b32 v[5:6], v2
	flat_store_b32 v[0:1], v4
.LBB199_26:
	s_or_b32 exec_lo, exec_lo, s2
                                        ; implicit-def: $sgpr3
	s_and_saveexec_b32 s2, s0
	s_delay_alu instid0(SALU_CYCLE_1)
	s_xor_b32 s0, exec_lo, s2
; %bb.27:
	s_ashr_i32 s11, s10, 31
	s_mov_b32 s3, 0
                                        ; implicit-def: $vgpr82
                                        ; implicit-def: $vgpr12
                                        ; implicit-def: $vgpr84
                                        ; implicit-def: $vgpr20
                                        ; implicit-def: $vgpr10
                                        ; implicit-def: $vgpr11
                                        ; implicit-def: $vgpr14
                                        ; implicit-def: $vgpr15
                                        ; implicit-def: $vgpr191
                                        ; implicit-def: $vgpr36
                                        ; implicit-def: $vgpr48_vgpr49
; %bb.28:
	s_or_saveexec_b32 s2, s0
	v_dual_mov_b32 v0, s10 :: v_dual_and_b32 v17, 3, v158
	v_dual_mov_b32 v32, s3 :: v_dual_mov_b32 v1, s11
	v_dual_mov_b32 v35, s3 :: v_dual_mov_b32 v34, s3
	;; [unrolled: 1-line block ×7, first 2 shown]
	v_mov_b32_e32 v23, s3
	v_mov_b32_e32 v19, s3
	s_xor_b32 exec_lo, exec_lo, s2
	s_cbranch_execz .LBB199_574
; %bb.29:
	s_getpc_b64 s[8:9]
	s_add_u32 s8, s8, llvm.amdgcn.dynlds.offset.table@rel32@lo+4
	s_addc_u32 s9, s9, llvm.amdgcn.dynlds.offset.table@rel32@hi+12
	s_ashr_i32 s11, s10, 31
	v_lshlrev_b64 v[0:1], 1, v[36:37]
	s_lshl_b64 s[12:13], s[10:11], 2
	v_lshlrev_b32_e32 v2, 3, v158
	s_add_u32 s8, s12, s8
	s_addc_u32 s9, s13, s9
	v_mov_b32_e32 v27, 0
	s_load_b32 s0, s[8:9], 0x0
	v_add_co_u32 v36, vcc_lo, v10, v0
	v_add_co_ci_u32_e32 v37, vcc_lo, v11, v1, vcc_lo
	v_lshlrev_b64 v[0:1], 2, v[20:21]
	v_lshlrev_b32_e32 v10, 5, v17
	v_dual_mov_b32 v25, 0 :: v_dual_add_nc_u32 v38, -1, v12
	v_lshl_add_u32 v21, v185, 5, s17
	v_mov_b32_e32 v32, 0
	v_add_co_u32 v0, vcc_lo, v48, v0
	v_add_co_ci_u32_e32 v1, vcc_lo, v49, v1, vcc_lo
	v_lshl_or_b32 v19, v185, 7, v10
	s_delay_alu instid0(VALU_DEP_3) | instskip(NEXT) | instid1(VALU_DEP_3)
	v_add_co_u32 v10, vcc_lo, v14, v0
	v_add_co_ci_u32_e32 v11, vcc_lo, v15, v1, vcc_lo
	s_waitcnt lgkmcnt(0)
	s_delay_alu instid0(VALU_DEP_3) | instskip(SKIP_4) | instid1(VALU_DEP_3)
	v_dual_mov_b32 v24, 0 :: v_dual_add_nc_u32 v15, s0, v19
	v_mov_b32_e32 v19, 0
	v_dual_mov_b32 v18, 0 :: v_dual_and_b32 v3, 24, v2
	v_dual_mov_b32 v23, 0 :: v_dual_and_b32 v2, 0xf8, v2
	v_mov_b32_e32 v26, 0
	v_add3_u32 v14, v21, v3, 7
	s_mov_b32 s3, 0
	s_delay_alu instid0(VALU_DEP_3)
	v_or_b32_e32 v4, 0x800, v2
	v_or_b32_e32 v5, 0x900, v2
	;; [unrolled: 1-line block ×7, first 2 shown]
	v_lshlrev_b32_e32 v21, 1, v2
	v_dual_mov_b32 v29, 0 :: v_dual_lshlrev_b32 v48, 1, v4
	v_dual_mov_b32 v28, 0 :: v_dual_lshlrev_b32 v49, 1, v5
	;; [unrolled: 1-line block ×7, first 2 shown]
	s_branch .LBB199_31
.LBB199_30:                             ;   in Loop: Header=BB199_31 Depth=1
	s_or_b32 exec_lo, exec_lo, s0
	v_and_b32_e32 v100, 0xffff0000, v138
	v_and_b32_e32 v101, 0xffff0000, v140
	;; [unrolled: 1-line block ×7, first 2 shown]
	s_delay_alu instid0(VALU_DEP_4) | instskip(SKIP_1) | instid1(VALU_DEP_4)
	v_dual_add_f32 v99, v100, v99 :: v_dual_add_f32 v98, v101, v98
	v_and_b32_e32 v100, 0xffff0000, v125
	v_add_f32_e32 v4, v4, v5
	v_and_b32_e32 v114, 0xffff0000, v122
	s_delay_alu instid0(VALU_DEP_4)
	v_dual_add_f32 v98, v99, v98 :: v_dual_and_b32 v39, 0xffff0000, v39
	v_and_b32_e32 v115, 0xffff0000, v124
	v_and_b32_e32 v101, 0xffff0000, v123
	;; [unrolled: 1-line block ×5, first 2 shown]
	v_add_f32_e32 v100, v115, v100
	v_dual_add_f32 v101, v114, v101 :: v_dual_and_b32 v22, 0xffff0000, v143
	v_add_f32_e32 v5, v12, v39
	v_and_b32_e32 v114, 0xffff0000, v95
	v_and_b32_e32 v69, 0xffff0000, v69
	v_and_b32_e32 v64, 0xffff0000, v64
	v_dual_add_f32 v100, v101, v100 :: v_dual_and_b32 v101, 0xffff0000, v137
	v_and_b32_e32 v102, 0xffff0000, v142
	v_and_b32_e32 v113, 0xffff0000, v153
	v_add_f32_e32 v4, v4, v5
	v_and_b32_e32 v9, 0xffff0000, v9
	v_and_b32_e32 v8, 0xffff0000, v8
	v_dual_add_f32 v22, v102, v22 :: v_dual_and_b32 v99, 0xffff0000, v127
	v_and_b32_e32 v55, 0xffff0000, v55
	v_and_b32_e32 v0, 0xffff0000, v0
	s_delay_alu instid0(VALU_DEP_4) | instskip(NEXT) | instid1(VALU_DEP_4)
	v_add_f32_e32 v8, v8, v9
	v_add_f32_e32 v22, v98, v22
	v_dual_add_f32 v98, v112, v113 :: v_dual_and_b32 v113, 0xffff0000, v104
	v_and_b32_e32 v102, 0xffff0000, v126
	v_and_b32_e32 v115, 0xffff0000, v105
	;; [unrolled: 1-line block ×3, first 2 shown]
	s_delay_alu instid0(VALU_DEP_4) | instskip(SKIP_4) | instid1(VALU_DEP_3)
	v_add_f32_e32 v22, v22, v98
	v_add_f32_e32 v39, v114, v113
	v_dual_add_f32 v99, v102, v99 :: v_dual_and_b32 v102, 0xffff0000, v121
	v_and_b32_e32 v112, 0xffff0000, v136
	v_and_b32_e32 v65, 0xffff0000, v65
	v_dual_add_f32 v98, v100, v99 :: v_dual_and_b32 v1, 0xffff0000, v1
	s_delay_alu instid0(VALU_DEP_3) | instskip(SKIP_3) | instid1(VALU_DEP_4)
	v_dual_add_f32 v99, v112, v101 :: v_dual_add_nc_u32 v20, 4, v20
	v_and_b32_e32 v112, 0xffff0000, v106
	v_and_b32_e32 v101, 0xffff0000, v120
	v_dual_add_f32 v19, v19, v22 :: v_dual_and_b32 v100, 0xffff0000, v111
	v_add_f32_e32 v98, v98, v99
	s_delay_alu instid0(VALU_DEP_4) | instskip(NEXT) | instid1(VALU_DEP_3)
	v_add_f32_e32 v112, v115, v112
	v_dual_add_f32 v5, v83, v100 :: v_dual_and_b32 v22, 0xffff0000, v90
	v_and_b32_e32 v113, 0xffff0000, v107
	v_and_b32_e32 v83, 0xffff0000, v109
	s_delay_alu instid0(VALU_DEP_4) | instskip(SKIP_4) | instid1(VALU_DEP_4)
	v_dual_add_f32 v39, v39, v112 :: v_dual_and_b32 v112, 0xffff0000, v73
	v_and_b32_e32 v12, 0xffff0000, v108
	v_and_b32_e32 v100, 0xffff0000, v110
	v_dual_add_f32 v4, v4, v5 :: v_dual_add_f32 v23, v23, v98
	v_and_b32_e32 v98, 0xffff0000, v89
	v_dual_add_f32 v12, v113, v12 :: v_dual_and_b32 v99, 0xffff0000, v91
	v_cmp_ge_i32_e32 vcc_lo, v20, v84
	v_add_co_u32 v10, s0, v10, 16
	s_delay_alu instid0(VALU_DEP_4) | instskip(NEXT) | instid1(VALU_DEP_4)
	v_add_f32_e32 v22, v98, v22
	v_add_f32_e32 v12, v39, v12
	;; [unrolled: 1-line block ×3, first 2 shown]
	v_and_b32_e32 v83, 0xffff0000, v79
	v_dual_add_f32 v5, v101, v102 :: v_dual_and_b32 v98, 0xffff0000, v72
	v_and_b32_e32 v102, 0xffff0000, v63
	v_and_b32_e32 v100, 0xffff0000, v93
	v_add_co_ci_u32_e64 v11, s0, 0, v11, s0
	s_delay_alu instid0(VALU_DEP_4) | instskip(SKIP_2) | instid1(VALU_DEP_3)
	v_add_f32_e32 v4, v4, v5
	v_add_f32_e32 v5, v12, v39
	v_dual_add_f32 v98, v102, v98 :: v_dual_and_b32 v39, 0xffff0000, v88
	v_dual_add_f32 v24, v24, v4 :: v_dual_and_b32 v7, 0xffff0000, v7
	s_delay_alu instid0(VALU_DEP_3) | instskip(NEXT) | instid1(VALU_DEP_3)
	v_add_f32_e32 v25, v25, v5
	v_dual_add_f32 v39, v83, v39 :: v_dual_add_nc_u32 v14, 0x80, v14
	s_delay_alu instid0(VALU_DEP_3) | instskip(SKIP_2) | instid1(VALU_DEP_3)
	v_add_f32_e32 v6, v6, v7
	s_or_b32 s3, vcc_lo, s3
	v_add_f32_e32 v9, v55, v64
	v_dual_add_f32 v22, v39, v22 :: v_dual_and_b32 v39, 0xffff0000, v76
	v_and_b32_e32 v12, 0xffff0000, v92
	v_and_b32_e32 v101, 0xffff0000, v94
	s_delay_alu instid0(VALU_DEP_4) | instskip(NEXT) | instid1(VALU_DEP_3)
	v_dual_add_f32 v8, v8, v9 :: v_dual_and_b32 v55, 0xffff0000, v96
	v_dual_add_f32 v12, v99, v12 :: v_dual_and_b32 v3, 0xffff0000, v3
	v_and_b32_e32 v83, 0xffff0000, v74
	v_and_b32_e32 v99, 0xffff0000, v75
	s_delay_alu instid0(VALU_DEP_3) | instskip(NEXT) | instid1(VALU_DEP_3)
	v_dual_add_f32 v12, v22, v12 :: v_dual_add_nc_u32 v15, 0x200, v15
	v_add_f32_e32 v83, v112, v83
	s_delay_alu instid0(VALU_DEP_3) | instskip(SKIP_1) | instid1(VALU_DEP_2)
	v_dual_add_f32 v22, v100, v101 :: v_dual_add_f32 v39, v99, v39
	v_and_b32_e32 v99, 0xffff0000, v145
	v_dual_add_f32 v83, v98, v83 :: v_dual_add_f32 v4, v12, v22
	v_and_b32_e32 v22, 0xffff0000, v58
	s_delay_alu instid0(VALU_DEP_2) | instskip(NEXT) | instid1(VALU_DEP_3)
	v_dual_add_f32 v5, v83, v39 :: v_dual_and_b32 v98, 0xffff0000, v78
	v_dual_add_f32 v26, v26, v4 :: v_dual_and_b32 v39, 0xffff0000, v57
	v_and_b32_e32 v83, 0xffff0000, v43
	s_delay_alu instid0(VALU_DEP_2) | instskip(SKIP_2) | instid1(VALU_DEP_3)
	v_add_f32_e32 v7, v39, v22
	v_and_b32_e32 v39, 0xffff0000, v41
	v_and_b32_e32 v22, 0xffff0000, v62
	v_dual_add_f32 v6, v6, v7 :: v_dual_and_b32 v7, 0xffff0000, v44
	s_delay_alu instid0(VALU_DEP_1) | instskip(NEXT) | instid1(VALU_DEP_1)
	v_dual_add_f32 v7, v83, v7 :: v_dual_and_b32 v100, 0xffff0000, v77
	v_dual_add_f32 v12, v100, v98 :: v_dual_and_b32 v83, 0xffff0000, v177
	v_and_b32_e32 v98, 0xffff0000, v179
	v_and_b32_e32 v100, 0xffff0000, v147
	s_delay_alu instid0(VALU_DEP_3) | instskip(SKIP_1) | instid1(VALU_DEP_2)
	v_add_f32_e32 v4, v5, v12
	v_and_b32_e32 v5, 0xffff0000, v60
	v_dual_add_f32 v27, v27, v4 :: v_dual_and_b32 v12, 0xffff0000, v59
	v_and_b32_e32 v4, 0xffff0000, v61
	s_delay_alu instid0(VALU_DEP_2) | instskip(NEXT) | instid1(VALU_DEP_2)
	v_dual_add_f32 v5, v12, v5 :: v_dual_and_b32 v12, 0xffff0000, v42
	v_add_f32_e32 v4, v4, v22
	v_and_b32_e32 v22, 0xffff0000, v45
	s_delay_alu instid0(VALU_DEP_3) | instskip(SKIP_2) | instid1(VALU_DEP_3)
	v_add_f32_e32 v12, v39, v12
	v_and_b32_e32 v39, 0xffff0000, v56
	v_dual_add_f32 v5, v6, v5 :: v_dual_and_b32 v6, 0xffff0000, v46
	v_dual_add_f32 v7, v12, v7 :: v_dual_and_b32 v12, 0xffff0000, v180
	s_delay_alu instid0(VALU_DEP_2) | instskip(NEXT) | instid1(VALU_DEP_3)
	v_dual_add_f32 v4, v5, v4 :: v_dual_and_b32 v5, 0xffff0000, v47
	v_add_f32_e32 v6, v22, v6
	v_and_b32_e32 v22, 0xffff0000, v178
	s_delay_alu instid0(VALU_DEP_4) | instskip(NEXT) | instid1(VALU_DEP_4)
	v_add_f32_e32 v12, v98, v12
	v_dual_add_f32 v5, v5, v39 :: v_dual_and_b32 v98, 0xffff0000, v40
	s_delay_alu instid0(VALU_DEP_4) | instskip(SKIP_3) | instid1(VALU_DEP_1)
	v_add_f32_e32 v6, v7, v6
	v_and_b32_e32 v7, 0xffff0000, v182
	v_dual_add_f32 v22, v83, v22 :: v_dual_and_b32 v83, 0xffff0000, v163
	v_dual_add_f32 v28, v28, v4 :: v_dual_and_b32 v39, 0xffff0000, v181
	v_add_f32_e32 v7, v39, v7
	v_and_b32_e32 v39, 0xffff0000, v161
	v_add_f32_e32 v4, v6, v5
	v_add_f32_e32 v6, v22, v12
	v_and_b32_e32 v12, 0xffff0000, v164
	v_and_b32_e32 v22, 0xffff0000, v162
	;; [unrolled: 1-line block ×3, first 2 shown]
	s_delay_alu instid0(VALU_DEP_4) | instskip(NEXT) | instid1(VALU_DEP_3)
	v_dual_add_f32 v6, v6, v7 :: v_dual_and_b32 v7, 0xffff0000, v166
	v_add_f32_e32 v22, v39, v22
	v_dual_add_f32 v12, v83, v12 :: v_dual_and_b32 v39, 0xffff0000, v165
	s_delay_alu instid0(VALU_DEP_4) | instskip(SKIP_2) | instid1(VALU_DEP_4)
	v_add_f32_e32 v5, v5, v98
	v_and_b32_e32 v83, 0xffff0000, v167
	v_and_b32_e32 v98, 0xffff0000, v176
	v_dual_add_f32 v12, v22, v12 :: v_dual_add_f32 v7, v39, v7
	v_and_b32_e32 v22, 0xffff0000, v148
	v_and_b32_e32 v39, 0xffff0000, v146
	v_add_f32_e32 v29, v29, v4
	s_delay_alu instid0(VALU_DEP_4) | instskip(SKIP_3) | instid1(VALU_DEP_4)
	v_dual_add_f32 v7, v12, v7 :: v_dual_add_f32 v12, v83, v98
	v_and_b32_e32 v98, 0xffff0000, v149
	v_and_b32_e32 v83, 0xffff0000, v150
	v_dual_add_f32 v39, v99, v39 :: v_dual_add_f32 v22, v100, v22
	v_dual_add_f32 v5, v6, v5 :: v_dual_add_f32 v6, v7, v12
	s_delay_alu instid0(VALU_DEP_3) | instskip(NEXT) | instid1(VALU_DEP_3)
	v_dual_add_f32 v7, v98, v83 :: v_dual_and_b32 v12, 0xffff0000, v130
	v_add_f32_e32 v4, v39, v22
	v_and_b32_e32 v22, 0xffff0000, v129
	s_delay_alu instid0(VALU_DEP_4) | instskip(SKIP_1) | instid1(VALU_DEP_4)
	v_dual_add_f32 v30, v30, v5 :: v_dual_and_b32 v39, 0xffff0000, v131
	v_and_b32_e32 v5, 0xffff0000, v151
	v_dual_add_f32 v4, v4, v7 :: v_dual_and_b32 v7, 0xffff0000, v132
	s_delay_alu instid0(VALU_DEP_4) | instskip(SKIP_2) | instid1(VALU_DEP_4)
	v_add_f32_e32 v12, v22, v12
	v_and_b32_e32 v22, 0xffff0000, v80
	v_and_b32_e32 v83, 0xffff0000, v133
	v_add_f32_e32 v7, v39, v7
	v_and_b32_e32 v39, 0xffff0000, v70
	v_dual_add_f32 v31, v31, v6 :: v_dual_and_b32 v6, 0xffff0000, v160
	v_and_b32_e32 v70, 0xffff0000, v71
	s_delay_alu instid0(VALU_DEP_4)
	v_add_f32_e32 v7, v12, v7
	v_and_b32_e32 v12, 0xffff0000, v87
	v_and_b32_e32 v71, 0xffff0000, v135
	v_add_f32_e32 v5, v5, v6
	v_dual_add_f32 v22, v70, v22 :: v_dual_add_f32 v39, v69, v39
	v_and_b32_e32 v69, 0xffff0000, v81
	s_delay_alu instid0(VALU_DEP_3) | instskip(SKIP_1) | instid1(VALU_DEP_3)
	v_add_f32_e32 v4, v4, v5
	v_and_b32_e32 v6, 0xffff0000, v134
	v_dual_add_f32 v5, v39, v22 :: v_dual_add_f32 v12, v69, v12
	v_and_b32_e32 v69, 0xffff0000, v85
	s_delay_alu instid0(VALU_DEP_3) | instskip(NEXT) | instid1(VALU_DEP_3)
	v_dual_add_f32 v33, v33, v4 :: v_dual_add_f32 v6, v83, v6
	v_dual_add_f32 v5, v5, v12 :: v_dual_and_b32 v22, 0xffff0000, v103
	v_and_b32_e32 v12, 0xffff0000, v66
	v_and_b32_e32 v66, 0xffff0000, v67
	;; [unrolled: 1-line block ×4, first 2 shown]
	v_dual_add_f32 v0, v0, v69 :: v_dual_and_b32 v39, 0xffff0000, v128
	v_dual_add_f32 v9, v65, v12 :: v_dual_add_f32 v6, v7, v6
	s_delay_alu instid0(VALU_DEP_2) | instskip(NEXT) | instid1(VALU_DEP_2)
	v_dual_add_f32 v1, v1, v68 :: v_dual_add_f32 v12, v22, v39
	v_dual_add_f32 v8, v8, v9 :: v_dual_add_f32 v9, v66, v67
	s_delay_alu instid0(VALU_DEP_2) | instskip(SKIP_1) | instid1(VALU_DEP_3)
	v_dual_add_f32 v0, v0, v1 :: v_dual_add_f32 v1, v2, v55
	v_and_b32_e32 v2, 0xffff0000, v97
	v_add_f32_e32 v4, v8, v9
	s_delay_alu instid0(VALU_DEP_2) | instskip(SKIP_2) | instid1(VALU_DEP_4)
	v_dual_add_f32 v0, v0, v1 :: v_dual_add_f32 v1, v3, v2
	v_add_f32_e32 v3, v5, v12
	v_and_b32_e32 v70, 0xffff0000, v144
	v_add_f32_e32 v32, v32, v4
	s_delay_alu instid0(VALU_DEP_3) | instskip(NEXT) | instid1(VALU_DEP_1)
	v_dual_add_f32 v0, v0, v1 :: v_dual_add_f32 v35, v35, v3
	v_dual_add_f32 v7, v71, v70 :: v_dual_add_f32 v18, v18, v0
	s_delay_alu instid0(VALU_DEP_1) | instskip(NEXT) | instid1(VALU_DEP_1)
	v_add_f32_e32 v2, v6, v7
	v_add_f32_e32 v34, v34, v2
	s_and_not1_b32 exec_lo, exec_lo, s3
	s_cbranch_execz .LBB199_573
.LBB199_31:                             ; =>This Inner Loop Header: Depth=1
	flat_load_b32 v67, v[10:11]
	ds_load_2addr_b64 v[6:9], v15 offset1:1
	ds_load_2addr_b64 v[0:3], v15 offset0:2 offset1:3
	s_mov_b32 s0, exec_lo
                                        ; implicit-def: $vgpr66
	s_waitcnt lgkmcnt(1)
	v_and_b32_e32 v4, 0x7f800000, v6
	s_delay_alu instid0(VALU_DEP_1)
	v_cmpx_ne_u32_e32 0x7f800000, v4
	s_xor_b32 s0, exec_lo, s0
; %bb.32:                               ;   in Loop: Header=BB199_31 Depth=1
	v_bfe_u32 v4, v6, 16, 1
	s_delay_alu instid0(VALU_DEP_1)
	v_add3_u32 v66, v6, v4, 0x7fff
; %bb.33:                               ;   in Loop: Header=BB199_31 Depth=1
	s_and_not1_saveexec_b32 s0, s0
; %bb.34:                               ;   in Loop: Header=BB199_31 Depth=1
	v_and_b32_e32 v4, 0xffff, v6
	v_or_b32_e32 v5, 0x10000, v6
	s_delay_alu instid0(VALU_DEP_2) | instskip(NEXT) | instid1(VALU_DEP_2)
	v_cmp_eq_u32_e32 vcc_lo, 0, v4
	v_cndmask_b32_e32 v66, v5, v6, vcc_lo
; %bb.35:                               ;   in Loop: Header=BB199_31 Depth=1
	s_or_b32 exec_lo, exec_lo, s0
	v_and_b32_e32 v4, 0x7f800000, v7
	s_mov_b32 s0, exec_lo
                                        ; implicit-def: $vgpr65
	s_delay_alu instid0(VALU_DEP_1)
	v_cmpx_ne_u32_e32 0x7f800000, v4
	s_xor_b32 s0, exec_lo, s0
; %bb.36:                               ;   in Loop: Header=BB199_31 Depth=1
	v_bfe_u32 v4, v7, 16, 1
	s_delay_alu instid0(VALU_DEP_1)
	v_add3_u32 v65, v7, v4, 0x7fff
; %bb.37:                               ;   in Loop: Header=BB199_31 Depth=1
	s_and_not1_saveexec_b32 s0, s0
; %bb.38:                               ;   in Loop: Header=BB199_31 Depth=1
	v_and_b32_e32 v4, 0xffff, v7
	v_or_b32_e32 v5, 0x10000, v7
	s_delay_alu instid0(VALU_DEP_2) | instskip(NEXT) | instid1(VALU_DEP_2)
	v_cmp_eq_u32_e32 vcc_lo, 0, v4
	v_cndmask_b32_e32 v65, v5, v7, vcc_lo
; %bb.39:                               ;   in Loop: Header=BB199_31 Depth=1
	s_or_b32 exec_lo, exec_lo, s0
	v_and_b32_e32 v4, 0x7f800000, v8
	s_mov_b32 s0, exec_lo
                                        ; implicit-def: $vgpr55
	s_delay_alu instid0(VALU_DEP_1)
	v_cmpx_ne_u32_e32 0x7f800000, v4
	s_xor_b32 s0, exec_lo, s0
; %bb.40:                               ;   in Loop: Header=BB199_31 Depth=1
	v_bfe_u32 v4, v8, 16, 1
	s_delay_alu instid0(VALU_DEP_1)
	v_add3_u32 v55, v8, v4, 0x7fff
; %bb.41:                               ;   in Loop: Header=BB199_31 Depth=1
	s_and_not1_saveexec_b32 s0, s0
; %bb.42:                               ;   in Loop: Header=BB199_31 Depth=1
	v_and_b32_e32 v4, 0xffff, v8
	v_or_b32_e32 v5, 0x10000, v8
	s_delay_alu instid0(VALU_DEP_2) | instskip(NEXT) | instid1(VALU_DEP_2)
	v_cmp_eq_u32_e32 vcc_lo, 0, v4
	v_cndmask_b32_e32 v55, v5, v8, vcc_lo
; %bb.43:                               ;   in Loop: Header=BB199_31 Depth=1
	s_or_b32 exec_lo, exec_lo, s0
	v_and_b32_e32 v4, 0x7f800000, v9
	s_mov_b32 s0, exec_lo
                                        ; implicit-def: $vgpr64
	s_delay_alu instid0(VALU_DEP_1)
	v_cmpx_ne_u32_e32 0x7f800000, v4
	s_xor_b32 s0, exec_lo, s0
; %bb.44:                               ;   in Loop: Header=BB199_31 Depth=1
	v_bfe_u32 v4, v9, 16, 1
	s_delay_alu instid0(VALU_DEP_1)
	v_add3_u32 v64, v9, v4, 0x7fff
                                        ; implicit-def: $vgpr6_vgpr7_vgpr8_vgpr9
; %bb.45:                               ;   in Loop: Header=BB199_31 Depth=1
	s_and_not1_saveexec_b32 s0, s0
; %bb.46:                               ;   in Loop: Header=BB199_31 Depth=1
	v_and_b32_e32 v4, 0xffff, v9
	v_or_b32_e32 v5, 0x10000, v9
	s_delay_alu instid0(VALU_DEP_2) | instskip(NEXT) | instid1(VALU_DEP_2)
	v_cmp_eq_u32_e32 vcc_lo, 0, v4
	v_cndmask_b32_e32 v64, v5, v9, vcc_lo
; %bb.47:                               ;   in Loop: Header=BB199_31 Depth=1
	s_or_b32 exec_lo, exec_lo, s0
	s_waitcnt lgkmcnt(0)
	v_and_b32_e32 v4, 0x7f800000, v0
	s_mov_b32 s0, exec_lo
                                        ; implicit-def: $vgpr39
	s_delay_alu instid0(VALU_DEP_1)
	v_cmpx_ne_u32_e32 0x7f800000, v4
	s_xor_b32 s0, exec_lo, s0
; %bb.48:                               ;   in Loop: Header=BB199_31 Depth=1
	v_bfe_u32 v4, v0, 16, 1
	s_delay_alu instid0(VALU_DEP_1)
	v_add3_u32 v39, v0, v4, 0x7fff
; %bb.49:                               ;   in Loop: Header=BB199_31 Depth=1
	s_and_not1_saveexec_b32 s0, s0
; %bb.50:                               ;   in Loop: Header=BB199_31 Depth=1
	v_and_b32_e32 v4, 0xffff, v0
	v_or_b32_e32 v5, 0x10000, v0
	s_delay_alu instid0(VALU_DEP_2) | instskip(NEXT) | instid1(VALU_DEP_2)
	v_cmp_eq_u32_e32 vcc_lo, 0, v4
	v_cndmask_b32_e32 v39, v5, v0, vcc_lo
; %bb.51:                               ;   in Loop: Header=BB199_31 Depth=1
	s_or_b32 exec_lo, exec_lo, s0
	v_and_b32_e32 v0, 0x7f800000, v1
	s_mov_b32 s0, exec_lo
                                        ; implicit-def: $vgpr12
	s_delay_alu instid0(VALU_DEP_1)
	v_cmpx_ne_u32_e32 0x7f800000, v0
	s_xor_b32 s0, exec_lo, s0
; %bb.52:                               ;   in Loop: Header=BB199_31 Depth=1
	v_bfe_u32 v0, v1, 16, 1
	s_delay_alu instid0(VALU_DEP_1)
	v_add3_u32 v12, v1, v0, 0x7fff
; %bb.53:                               ;   in Loop: Header=BB199_31 Depth=1
	s_and_not1_saveexec_b32 s0, s0
; %bb.54:                               ;   in Loop: Header=BB199_31 Depth=1
	v_and_b32_e32 v0, 0xffff, v1
	v_or_b32_e32 v4, 0x10000, v1
	s_delay_alu instid0(VALU_DEP_2) | instskip(NEXT) | instid1(VALU_DEP_2)
	v_cmp_eq_u32_e32 vcc_lo, 0, v0
	v_cndmask_b32_e32 v12, v4, v1, vcc_lo
; %bb.55:                               ;   in Loop: Header=BB199_31 Depth=1
	s_or_b32 exec_lo, exec_lo, s0
	v_and_b32_e32 v0, 0x7f800000, v2
	s_mov_b32 s0, exec_lo
                                        ; implicit-def: $vgpr5
	s_delay_alu instid0(VALU_DEP_1)
	v_cmpx_ne_u32_e32 0x7f800000, v0
	s_xor_b32 s0, exec_lo, s0
; %bb.56:                               ;   in Loop: Header=BB199_31 Depth=1
	v_bfe_u32 v0, v2, 16, 1
	s_delay_alu instid0(VALU_DEP_1)
	v_add3_u32 v5, v2, v0, 0x7fff
; %bb.57:                               ;   in Loop: Header=BB199_31 Depth=1
	s_and_not1_saveexec_b32 s0, s0
; %bb.58:                               ;   in Loop: Header=BB199_31 Depth=1
	v_and_b32_e32 v0, 0xffff, v2
	v_or_b32_e32 v1, 0x10000, v2
	s_delay_alu instid0(VALU_DEP_2) | instskip(NEXT) | instid1(VALU_DEP_2)
	v_cmp_eq_u32_e32 vcc_lo, 0, v0
	v_cndmask_b32_e32 v5, v1, v2, vcc_lo
; %bb.59:                               ;   in Loop: Header=BB199_31 Depth=1
	s_or_b32 exec_lo, exec_lo, s0
	v_and_b32_e32 v0, 0x7f800000, v3
	s_mov_b32 s0, exec_lo
                                        ; implicit-def: $vgpr4
	s_delay_alu instid0(VALU_DEP_1)
	v_cmpx_ne_u32_e32 0x7f800000, v0
	s_xor_b32 s0, exec_lo, s0
; %bb.60:                               ;   in Loop: Header=BB199_31 Depth=1
	v_bfe_u32 v0, v3, 16, 1
	s_delay_alu instid0(VALU_DEP_1)
	v_add3_u32 v4, v3, v0, 0x7fff
                                        ; implicit-def: $vgpr0_vgpr1_vgpr2_vgpr3
; %bb.61:                               ;   in Loop: Header=BB199_31 Depth=1
	s_and_not1_saveexec_b32 s0, s0
; %bb.62:                               ;   in Loop: Header=BB199_31 Depth=1
	v_and_b32_e32 v0, 0xffff, v3
	v_or_b32_e32 v1, 0x10000, v3
	s_delay_alu instid0(VALU_DEP_2) | instskip(NEXT) | instid1(VALU_DEP_2)
	v_cmp_eq_u32_e32 vcc_lo, 0, v0
	v_cndmask_b32_e32 v4, v1, v3, vcc_lo
; %bb.63:                               ;   in Loop: Header=BB199_31 Depth=1
	s_or_b32 exec_lo, exec_lo, s0
	s_waitcnt vmcnt(0)
	v_mad_i64_i32 v[0:1], null, v67, v191, 0
	v_add_nc_u32_e32 v85, -7, v14
	v_add_nc_u32_e32 v100, -6, v14
	;; [unrolled: 1-line block ×6, first 2 shown]
	v_lshlrev_b64 v[0:1], 1, v[0:1]
	v_add_nc_u32_e32 v99, -1, v14
	s_delay_alu instid0(VALU_DEP_2) | instskip(NEXT) | instid1(VALU_DEP_3)
	v_add_co_u32 v101, vcc_lo, v36, v0
	v_add_co_ci_u32_e32 v102, vcc_lo, v37, v1, vcc_lo
	s_delay_alu instid0(VALU_DEP_2) | instskip(NEXT) | instid1(VALU_DEP_2)
	v_add_co_u32 v6, vcc_lo, v101, v21
	v_add_co_ci_u32_e32 v7, vcc_lo, 0, v102, vcc_lo
	v_cmp_eq_u32_e32 vcc_lo, v38, v20
	flat_load_b128 v[0:3], v[6:7]
	s_waitcnt vmcnt(0) lgkmcnt(0)
	v_lshrrev_b32_e32 v9, 16, v0
	v_lshrrev_b32_e32 v69, 16, v1
	;; [unrolled: 1-line block ×4, first 2 shown]
	s_and_saveexec_b32 s7, vcc_lo
	s_cbranch_execz .LBB199_65
; %bb.64:                               ;   in Loop: Header=BB199_31 Depth=1
	v_cmp_lt_i32_e64 s0, v85, v82
	s_delay_alu instid0(VALU_DEP_1) | instskip(SKIP_1) | instid1(VALU_DEP_1)
	v_cndmask_b32_e64 v0, 0, v0, s0
	v_cmp_lt_i32_e64 s0, v100, v82
	v_cndmask_b32_e64 v9, 0, v9, s0
	v_cmp_lt_i32_e64 s0, v98, v82
	s_delay_alu instid0(VALU_DEP_1) | instskip(SKIP_1) | instid1(VALU_DEP_1)
	v_cndmask_b32_e64 v1, 0, v1, s0
	v_cmp_lt_i32_e64 s0, v97, v82
	v_cndmask_b32_e64 v69, 0, v69, s0
	;; [unrolled: 5-line block ×4, first 2 shown]
.LBB199_65:                             ;   in Loop: Header=BB199_31 Depth=1
	s_or_b32 exec_lo, exec_lo, s7
	v_and_b32_e32 v112, 0xffff0000, v66
	v_lshlrev_b32_e32 v0, 16, v0
	s_delay_alu instid0(VALU_DEP_1) | instskip(NEXT) | instid1(VALU_DEP_1)
	v_mul_f32_e32 v0, v112, v0
	v_and_b32_e32 v8, 0x7f800000, v0
	s_delay_alu instid0(VALU_DEP_1) | instskip(NEXT) | instid1(VALU_DEP_1)
	v_cmp_ne_u32_e64 s0, 0x7f800000, v8
                                        ; implicit-def: $vgpr8
	s_and_saveexec_b32 s7, s0
	s_delay_alu instid0(SALU_CYCLE_1)
	s_xor_b32 s0, exec_lo, s7
; %bb.66:                               ;   in Loop: Header=BB199_31 Depth=1
	v_bfe_u32 v8, v0, 16, 1
	s_delay_alu instid0(VALU_DEP_1)
	v_add3_u32 v8, v0, v8, 0x7fff
                                        ; implicit-def: $vgpr0
; %bb.67:                               ;   in Loop: Header=BB199_31 Depth=1
	s_and_not1_saveexec_b32 s7, s0
; %bb.68:                               ;   in Loop: Header=BB199_31 Depth=1
	v_and_b32_e32 v8, 0xffff, v0
	v_or_b32_e32 v22, 0x10000, v0
	s_delay_alu instid0(VALU_DEP_2) | instskip(NEXT) | instid1(VALU_DEP_1)
	v_cmp_eq_u32_e64 s0, 0, v8
	v_cndmask_b32_e64 v8, v22, v0, s0
; %bb.69:                               ;   in Loop: Header=BB199_31 Depth=1
	s_or_b32 exec_lo, exec_lo, s7
	v_and_b32_e32 v113, 0xffff0000, v65
	v_lshlrev_b32_e32 v0, 16, v9
	s_delay_alu instid0(VALU_DEP_1) | instskip(NEXT) | instid1(VALU_DEP_1)
	v_mul_f32_e32 v0, v113, v0
	v_and_b32_e32 v9, 0x7f800000, v0
	s_delay_alu instid0(VALU_DEP_1) | instskip(NEXT) | instid1(VALU_DEP_1)
	v_cmp_ne_u32_e64 s0, 0x7f800000, v9
                                        ; implicit-def: $vgpr9
	s_and_saveexec_b32 s7, s0
	s_delay_alu instid0(SALU_CYCLE_1)
	s_xor_b32 s0, exec_lo, s7
; %bb.70:                               ;   in Loop: Header=BB199_31 Depth=1
	v_bfe_u32 v9, v0, 16, 1
	s_delay_alu instid0(VALU_DEP_1)
	v_add3_u32 v9, v0, v9, 0x7fff
                                        ; implicit-def: $vgpr0
; %bb.71:                               ;   in Loop: Header=BB199_31 Depth=1
	s_and_not1_saveexec_b32 s7, s0
; %bb.72:                               ;   in Loop: Header=BB199_31 Depth=1
	v_and_b32_e32 v9, 0xffff, v0
	v_or_b32_e32 v22, 0x10000, v0
	s_delay_alu instid0(VALU_DEP_2) | instskip(NEXT) | instid1(VALU_DEP_1)
	v_cmp_eq_u32_e64 s0, 0, v9
	v_cndmask_b32_e64 v9, v22, v0, s0
; %bb.73:                               ;   in Loop: Header=BB199_31 Depth=1
	s_or_b32 exec_lo, exec_lo, s7
	v_and_b32_e32 v114, 0xffff0000, v55
	v_lshlrev_b32_e32 v0, 16, v1
                                        ; implicit-def: $vgpr55
	s_delay_alu instid0(VALU_DEP_1) | instskip(NEXT) | instid1(VALU_DEP_1)
	v_mul_f32_e32 v0, v114, v0
	v_and_b32_e32 v1, 0x7f800000, v0
	s_delay_alu instid0(VALU_DEP_1) | instskip(NEXT) | instid1(VALU_DEP_1)
	v_cmp_ne_u32_e64 s0, 0x7f800000, v1
	s_and_saveexec_b32 s7, s0
	s_delay_alu instid0(SALU_CYCLE_1)
	s_xor_b32 s0, exec_lo, s7
; %bb.74:                               ;   in Loop: Header=BB199_31 Depth=1
	v_bfe_u32 v1, v0, 16, 1
	s_delay_alu instid0(VALU_DEP_1)
	v_add3_u32 v55, v0, v1, 0x7fff
                                        ; implicit-def: $vgpr0
; %bb.75:                               ;   in Loop: Header=BB199_31 Depth=1
	s_and_not1_saveexec_b32 s7, s0
; %bb.76:                               ;   in Loop: Header=BB199_31 Depth=1
	v_and_b32_e32 v1, 0xffff, v0
	v_or_b32_e32 v22, 0x10000, v0
	s_delay_alu instid0(VALU_DEP_2) | instskip(NEXT) | instid1(VALU_DEP_1)
	v_cmp_eq_u32_e64 s0, 0, v1
	v_cndmask_b32_e64 v55, v22, v0, s0
; %bb.77:                               ;   in Loop: Header=BB199_31 Depth=1
	s_or_b32 exec_lo, exec_lo, s7
	v_and_b32_e32 v115, 0xffff0000, v64
	v_lshlrev_b32_e32 v0, 16, v69
                                        ; implicit-def: $vgpr64
	s_delay_alu instid0(VALU_DEP_1) | instskip(NEXT) | instid1(VALU_DEP_1)
	v_mul_f32_e32 v0, v115, v0
	v_and_b32_e32 v1, 0x7f800000, v0
	s_delay_alu instid0(VALU_DEP_1) | instskip(NEXT) | instid1(VALU_DEP_1)
	v_cmp_ne_u32_e64 s0, 0x7f800000, v1
	s_and_saveexec_b32 s7, s0
	s_delay_alu instid0(SALU_CYCLE_1)
	s_xor_b32 s0, exec_lo, s7
; %bb.78:                               ;   in Loop: Header=BB199_31 Depth=1
	v_bfe_u32 v1, v0, 16, 1
	s_delay_alu instid0(VALU_DEP_1)
	v_add3_u32 v64, v0, v1, 0x7fff
                                        ; implicit-def: $vgpr0
; %bb.79:                               ;   in Loop: Header=BB199_31 Depth=1
	s_and_not1_saveexec_b32 s7, s0
; %bb.80:                               ;   in Loop: Header=BB199_31 Depth=1
	v_and_b32_e32 v1, 0xffff, v0
	v_or_b32_e32 v22, 0x10000, v0
	s_delay_alu instid0(VALU_DEP_2) | instskip(NEXT) | instid1(VALU_DEP_1)
	v_cmp_eq_u32_e64 s0, 0, v1
	v_cndmask_b32_e64 v64, v22, v0, s0
; %bb.81:                               ;   in Loop: Header=BB199_31 Depth=1
	s_or_b32 exec_lo, exec_lo, s7
	v_and_b32_e32 v116, 0xffff0000, v39
	v_lshlrev_b32_e32 v0, 16, v2
                                        ; implicit-def: $vgpr65
	s_delay_alu instid0(VALU_DEP_1) | instskip(NEXT) | instid1(VALU_DEP_1)
	v_mul_f32_e32 v0, v116, v0
	v_and_b32_e32 v1, 0x7f800000, v0
	s_delay_alu instid0(VALU_DEP_1) | instskip(NEXT) | instid1(VALU_DEP_1)
	v_cmp_ne_u32_e64 s0, 0x7f800000, v1
	s_and_saveexec_b32 s7, s0
	s_delay_alu instid0(SALU_CYCLE_1)
	s_xor_b32 s0, exec_lo, s7
; %bb.82:                               ;   in Loop: Header=BB199_31 Depth=1
	v_bfe_u32 v1, v0, 16, 1
	s_delay_alu instid0(VALU_DEP_1)
	v_add3_u32 v65, v0, v1, 0x7fff
                                        ; implicit-def: $vgpr0
; %bb.83:                               ;   in Loop: Header=BB199_31 Depth=1
	s_and_not1_saveexec_b32 s7, s0
; %bb.84:                               ;   in Loop: Header=BB199_31 Depth=1
	v_and_b32_e32 v1, 0xffff, v0
	v_or_b32_e32 v2, 0x10000, v0
	s_delay_alu instid0(VALU_DEP_2) | instskip(NEXT) | instid1(VALU_DEP_1)
	v_cmp_eq_u32_e64 s0, 0, v1
	v_cndmask_b32_e64 v65, v2, v0, s0
; %bb.85:                               ;   in Loop: Header=BB199_31 Depth=1
	s_or_b32 exec_lo, exec_lo, s7
	v_and_b32_e32 v117, 0xffff0000, v12
	v_lshlrev_b32_e32 v0, 16, v67
                                        ; implicit-def: $vgpr66
	s_delay_alu instid0(VALU_DEP_1) | instskip(NEXT) | instid1(VALU_DEP_1)
	v_mul_f32_e32 v0, v117, v0
	v_and_b32_e32 v1, 0x7f800000, v0
	s_delay_alu instid0(VALU_DEP_1) | instskip(NEXT) | instid1(VALU_DEP_1)
	v_cmp_ne_u32_e64 s0, 0x7f800000, v1
	s_and_saveexec_b32 s7, s0
	s_delay_alu instid0(SALU_CYCLE_1)
	s_xor_b32 s0, exec_lo, s7
; %bb.86:                               ;   in Loop: Header=BB199_31 Depth=1
	v_bfe_u32 v1, v0, 16, 1
	s_delay_alu instid0(VALU_DEP_1)
	v_add3_u32 v66, v0, v1, 0x7fff
                                        ; implicit-def: $vgpr0
; %bb.87:                               ;   in Loop: Header=BB199_31 Depth=1
	s_and_not1_saveexec_b32 s7, s0
; %bb.88:                               ;   in Loop: Header=BB199_31 Depth=1
	v_and_b32_e32 v1, 0xffff, v0
	v_or_b32_e32 v2, 0x10000, v0
	s_delay_alu instid0(VALU_DEP_2) | instskip(NEXT) | instid1(VALU_DEP_1)
	v_cmp_eq_u32_e64 s0, 0, v1
	v_cndmask_b32_e64 v66, v2, v0, s0
; %bb.89:                               ;   in Loop: Header=BB199_31 Depth=1
	s_or_b32 exec_lo, exec_lo, s7
	v_and_b32_e32 v118, 0xffff0000, v5
	v_lshlrev_b32_e32 v0, 16, v3
                                        ; implicit-def: $vgpr67
	s_delay_alu instid0(VALU_DEP_1) | instskip(NEXT) | instid1(VALU_DEP_1)
	v_mul_f32_e32 v0, v118, v0
	v_and_b32_e32 v1, 0x7f800000, v0
	s_delay_alu instid0(VALU_DEP_1) | instskip(NEXT) | instid1(VALU_DEP_1)
	v_cmp_ne_u32_e64 s0, 0x7f800000, v1
	s_and_saveexec_b32 s7, s0
	s_delay_alu instid0(SALU_CYCLE_1)
	s_xor_b32 s0, exec_lo, s7
; %bb.90:                               ;   in Loop: Header=BB199_31 Depth=1
	v_bfe_u32 v1, v0, 16, 1
	s_delay_alu instid0(VALU_DEP_1)
	v_add3_u32 v67, v0, v1, 0x7fff
                                        ; implicit-def: $vgpr0
; %bb.91:                               ;   in Loop: Header=BB199_31 Depth=1
	s_and_not1_saveexec_b32 s7, s0
; %bb.92:                               ;   in Loop: Header=BB199_31 Depth=1
	v_and_b32_e32 v1, 0xffff, v0
	v_or_b32_e32 v2, 0x10000, v0
	s_delay_alu instid0(VALU_DEP_2) | instskip(NEXT) | instid1(VALU_DEP_1)
	v_cmp_eq_u32_e64 s0, 0, v1
	v_cndmask_b32_e64 v67, v2, v0, s0
; %bb.93:                               ;   in Loop: Header=BB199_31 Depth=1
	s_or_b32 exec_lo, exec_lo, s7
	v_and_b32_e32 v119, 0xffff0000, v4
	v_lshlrev_b32_e32 v0, 16, v68
                                        ; implicit-def: $vgpr68
	s_delay_alu instid0(VALU_DEP_1) | instskip(NEXT) | instid1(VALU_DEP_1)
	v_mul_f32_e32 v0, v119, v0
	v_and_b32_e32 v1, 0x7f800000, v0
	s_delay_alu instid0(VALU_DEP_1) | instskip(NEXT) | instid1(VALU_DEP_1)
	v_cmp_ne_u32_e64 s0, 0x7f800000, v1
	s_and_saveexec_b32 s7, s0
	s_delay_alu instid0(SALU_CYCLE_1)
	s_xor_b32 s0, exec_lo, s7
; %bb.94:                               ;   in Loop: Header=BB199_31 Depth=1
	v_bfe_u32 v1, v0, 16, 1
	s_delay_alu instid0(VALU_DEP_1)
	v_add3_u32 v68, v0, v1, 0x7fff
                                        ; implicit-def: $vgpr0
; %bb.95:                               ;   in Loop: Header=BB199_31 Depth=1
	s_and_not1_saveexec_b32 s7, s0
; %bb.96:                               ;   in Loop: Header=BB199_31 Depth=1
	v_and_b32_e32 v1, 0xffff, v0
	v_or_b32_e32 v2, 0x10000, v0
	s_delay_alu instid0(VALU_DEP_2) | instskip(NEXT) | instid1(VALU_DEP_1)
	v_cmp_eq_u32_e64 s0, 0, v1
	v_cndmask_b32_e64 v68, v2, v0, s0
; %bb.97:                               ;   in Loop: Header=BB199_31 Depth=1
	s_or_b32 exec_lo, exec_lo, s7
	flat_load_b128 v[0:3], v[6:7] offset:512
	s_waitcnt vmcnt(0) lgkmcnt(0)
	v_lshrrev_b32_e32 v39, 16, v0
	v_lshrrev_b32_e32 v12, 16, v1
	;; [unrolled: 1-line block ×4, first 2 shown]
	s_and_saveexec_b32 s7, vcc_lo
	s_cbranch_execz .LBB199_99
; %bb.98:                               ;   in Loop: Header=BB199_31 Depth=1
	v_cmp_lt_i32_e64 s0, v85, v82
	s_delay_alu instid0(VALU_DEP_1) | instskip(SKIP_1) | instid1(VALU_DEP_1)
	v_cndmask_b32_e64 v0, 0, v0, s0
	v_cmp_lt_i32_e64 s0, v100, v82
	v_cndmask_b32_e64 v39, 0, v39, s0
	v_cmp_lt_i32_e64 s0, v98, v82
	s_delay_alu instid0(VALU_DEP_1) | instskip(SKIP_1) | instid1(VALU_DEP_1)
	v_cndmask_b32_e64 v1, 0, v1, s0
	v_cmp_lt_i32_e64 s0, v97, v82
	v_cndmask_b32_e64 v12, 0, v12, s0
	;; [unrolled: 5-line block ×4, first 2 shown]
.LBB199_99:                             ;   in Loop: Header=BB199_31 Depth=1
	s_or_b32 exec_lo, exec_lo, s7
	v_lshlrev_b32_e32 v0, 16, v0
                                        ; implicit-def: $vgpr69
	s_delay_alu instid0(VALU_DEP_1) | instskip(NEXT) | instid1(VALU_DEP_1)
	v_mul_f32_e32 v0, v112, v0
	v_and_b32_e32 v22, 0x7f800000, v0
	s_delay_alu instid0(VALU_DEP_1) | instskip(NEXT) | instid1(VALU_DEP_1)
	v_cmp_ne_u32_e64 s0, 0x7f800000, v22
	s_and_saveexec_b32 s7, s0
	s_delay_alu instid0(SALU_CYCLE_1)
	s_xor_b32 s0, exec_lo, s7
; %bb.100:                              ;   in Loop: Header=BB199_31 Depth=1
	v_bfe_u32 v22, v0, 16, 1
	s_delay_alu instid0(VALU_DEP_1)
	v_add3_u32 v69, v0, v22, 0x7fff
                                        ; implicit-def: $vgpr0
; %bb.101:                              ;   in Loop: Header=BB199_31 Depth=1
	s_and_not1_saveexec_b32 s7, s0
; %bb.102:                              ;   in Loop: Header=BB199_31 Depth=1
	v_and_b32_e32 v22, 0xffff, v0
	v_or_b32_e32 v69, 0x10000, v0
	s_delay_alu instid0(VALU_DEP_2) | instskip(NEXT) | instid1(VALU_DEP_1)
	v_cmp_eq_u32_e64 s0, 0, v22
	v_cndmask_b32_e64 v69, v69, v0, s0
; %bb.103:                              ;   in Loop: Header=BB199_31 Depth=1
	s_or_b32 exec_lo, exec_lo, s7
	v_lshlrev_b32_e32 v0, 16, v39
                                        ; implicit-def: $vgpr70
	s_delay_alu instid0(VALU_DEP_1) | instskip(NEXT) | instid1(VALU_DEP_1)
	v_mul_f32_e32 v0, v113, v0
	v_and_b32_e32 v22, 0x7f800000, v0
	s_delay_alu instid0(VALU_DEP_1) | instskip(NEXT) | instid1(VALU_DEP_1)
	v_cmp_ne_u32_e64 s0, 0x7f800000, v22
	s_and_saveexec_b32 s7, s0
	s_delay_alu instid0(SALU_CYCLE_1)
	s_xor_b32 s0, exec_lo, s7
; %bb.104:                              ;   in Loop: Header=BB199_31 Depth=1
	v_bfe_u32 v22, v0, 16, 1
	s_delay_alu instid0(VALU_DEP_1)
	v_add3_u32 v70, v0, v22, 0x7fff
                                        ; implicit-def: $vgpr0
; %bb.105:                              ;   in Loop: Header=BB199_31 Depth=1
	s_and_not1_saveexec_b32 s7, s0
; %bb.106:                              ;   in Loop: Header=BB199_31 Depth=1
	v_and_b32_e32 v22, 0xffff, v0
	v_or_b32_e32 v39, 0x10000, v0
	s_delay_alu instid0(VALU_DEP_2) | instskip(NEXT) | instid1(VALU_DEP_1)
	v_cmp_eq_u32_e64 s0, 0, v22
	v_cndmask_b32_e64 v70, v39, v0, s0
; %bb.107:                              ;   in Loop: Header=BB199_31 Depth=1
	s_or_b32 exec_lo, exec_lo, s7
	v_lshlrev_b32_e32 v0, 16, v1
                                        ; implicit-def: $vgpr71
	s_delay_alu instid0(VALU_DEP_1) | instskip(NEXT) | instid1(VALU_DEP_1)
	v_mul_f32_e32 v0, v114, v0
	v_and_b32_e32 v1, 0x7f800000, v0
	s_delay_alu instid0(VALU_DEP_1) | instskip(NEXT) | instid1(VALU_DEP_1)
	v_cmp_ne_u32_e64 s0, 0x7f800000, v1
	s_and_saveexec_b32 s7, s0
	s_delay_alu instid0(SALU_CYCLE_1)
	s_xor_b32 s0, exec_lo, s7
; %bb.108:                              ;   in Loop: Header=BB199_31 Depth=1
	v_bfe_u32 v1, v0, 16, 1
	s_delay_alu instid0(VALU_DEP_1)
	v_add3_u32 v71, v0, v1, 0x7fff
                                        ; implicit-def: $vgpr0
; %bb.109:                              ;   in Loop: Header=BB199_31 Depth=1
	s_and_not1_saveexec_b32 s7, s0
; %bb.110:                              ;   in Loop: Header=BB199_31 Depth=1
	v_and_b32_e32 v1, 0xffff, v0
	v_or_b32_e32 v22, 0x10000, v0
	s_delay_alu instid0(VALU_DEP_2) | instskip(NEXT) | instid1(VALU_DEP_1)
	v_cmp_eq_u32_e64 s0, 0, v1
	v_cndmask_b32_e64 v71, v22, v0, s0
; %bb.111:                              ;   in Loop: Header=BB199_31 Depth=1
	s_or_b32 exec_lo, exec_lo, s7
	v_lshlrev_b32_e32 v0, 16, v12
                                        ; implicit-def: $vgpr80
	s_delay_alu instid0(VALU_DEP_1) | instskip(NEXT) | instid1(VALU_DEP_1)
	v_mul_f32_e32 v0, v115, v0
	v_and_b32_e32 v1, 0x7f800000, v0
	s_delay_alu instid0(VALU_DEP_1) | instskip(NEXT) | instid1(VALU_DEP_1)
	v_cmp_ne_u32_e64 s0, 0x7f800000, v1
	s_and_saveexec_b32 s7, s0
	s_delay_alu instid0(SALU_CYCLE_1)
	s_xor_b32 s0, exec_lo, s7
; %bb.112:                              ;   in Loop: Header=BB199_31 Depth=1
	v_bfe_u32 v1, v0, 16, 1
	s_delay_alu instid0(VALU_DEP_1)
	v_add3_u32 v80, v0, v1, 0x7fff
                                        ; implicit-def: $vgpr0
; %bb.113:                              ;   in Loop: Header=BB199_31 Depth=1
	s_and_not1_saveexec_b32 s7, s0
; %bb.114:                              ;   in Loop: Header=BB199_31 Depth=1
	v_and_b32_e32 v1, 0xffff, v0
	v_or_b32_e32 v12, 0x10000, v0
	s_delay_alu instid0(VALU_DEP_2) | instskip(NEXT) | instid1(VALU_DEP_1)
	v_cmp_eq_u32_e64 s0, 0, v1
	v_cndmask_b32_e64 v80, v12, v0, s0
; %bb.115:                              ;   in Loop: Header=BB199_31 Depth=1
	s_or_b32 exec_lo, exec_lo, s7
	v_lshlrev_b32_e32 v0, 16, v2
                                        ; implicit-def: $vgpr81
	s_delay_alu instid0(VALU_DEP_1) | instskip(NEXT) | instid1(VALU_DEP_1)
	v_mul_f32_e32 v0, v116, v0
	v_and_b32_e32 v1, 0x7f800000, v0
	s_delay_alu instid0(VALU_DEP_1) | instskip(NEXT) | instid1(VALU_DEP_1)
	v_cmp_ne_u32_e64 s0, 0x7f800000, v1
	s_and_saveexec_b32 s7, s0
	s_delay_alu instid0(SALU_CYCLE_1)
	s_xor_b32 s0, exec_lo, s7
; %bb.116:                              ;   in Loop: Header=BB199_31 Depth=1
	v_bfe_u32 v1, v0, 16, 1
	s_delay_alu instid0(VALU_DEP_1)
	v_add3_u32 v81, v0, v1, 0x7fff
                                        ; implicit-def: $vgpr0
; %bb.117:                              ;   in Loop: Header=BB199_31 Depth=1
	s_and_not1_saveexec_b32 s7, s0
; %bb.118:                              ;   in Loop: Header=BB199_31 Depth=1
	v_and_b32_e32 v1, 0xffff, v0
	v_or_b32_e32 v2, 0x10000, v0
	s_delay_alu instid0(VALU_DEP_2) | instskip(NEXT) | instid1(VALU_DEP_1)
	v_cmp_eq_u32_e64 s0, 0, v1
	v_cndmask_b32_e64 v81, v2, v0, s0
; %bb.119:                              ;   in Loop: Header=BB199_31 Depth=1
	s_or_b32 exec_lo, exec_lo, s7
	v_lshlrev_b32_e32 v0, 16, v5
                                        ; implicit-def: $vgpr87
	s_delay_alu instid0(VALU_DEP_1) | instskip(NEXT) | instid1(VALU_DEP_1)
	v_mul_f32_e32 v0, v117, v0
	v_and_b32_e32 v1, 0x7f800000, v0
	s_delay_alu instid0(VALU_DEP_1) | instskip(NEXT) | instid1(VALU_DEP_1)
	v_cmp_ne_u32_e64 s0, 0x7f800000, v1
	s_and_saveexec_b32 s7, s0
	s_delay_alu instid0(SALU_CYCLE_1)
	s_xor_b32 s0, exec_lo, s7
; %bb.120:                              ;   in Loop: Header=BB199_31 Depth=1
	v_bfe_u32 v1, v0, 16, 1
	s_delay_alu instid0(VALU_DEP_1)
	v_add3_u32 v87, v0, v1, 0x7fff
                                        ; implicit-def: $vgpr0
; %bb.121:                              ;   in Loop: Header=BB199_31 Depth=1
	s_and_not1_saveexec_b32 s7, s0
; %bb.122:                              ;   in Loop: Header=BB199_31 Depth=1
	v_and_b32_e32 v1, 0xffff, v0
	v_or_b32_e32 v2, 0x10000, v0
	s_delay_alu instid0(VALU_DEP_2) | instskip(NEXT) | instid1(VALU_DEP_1)
	v_cmp_eq_u32_e64 s0, 0, v1
	v_cndmask_b32_e64 v87, v2, v0, s0
; %bb.123:                              ;   in Loop: Header=BB199_31 Depth=1
	s_or_b32 exec_lo, exec_lo, s7
	v_lshlrev_b32_e32 v0, 16, v3
                                        ; implicit-def: $vgpr103
	s_delay_alu instid0(VALU_DEP_1) | instskip(NEXT) | instid1(VALU_DEP_1)
	v_mul_f32_e32 v0, v118, v0
	v_and_b32_e32 v1, 0x7f800000, v0
	s_delay_alu instid0(VALU_DEP_1) | instskip(NEXT) | instid1(VALU_DEP_1)
	v_cmp_ne_u32_e64 s0, 0x7f800000, v1
	s_and_saveexec_b32 s7, s0
	s_delay_alu instid0(SALU_CYCLE_1)
	s_xor_b32 s0, exec_lo, s7
; %bb.124:                              ;   in Loop: Header=BB199_31 Depth=1
	v_bfe_u32 v1, v0, 16, 1
	s_delay_alu instid0(VALU_DEP_1)
	v_add3_u32 v103, v0, v1, 0x7fff
                                        ; implicit-def: $vgpr0
; %bb.125:                              ;   in Loop: Header=BB199_31 Depth=1
	s_and_not1_saveexec_b32 s7, s0
; %bb.126:                              ;   in Loop: Header=BB199_31 Depth=1
	v_and_b32_e32 v1, 0xffff, v0
	v_or_b32_e32 v2, 0x10000, v0
	s_delay_alu instid0(VALU_DEP_2) | instskip(NEXT) | instid1(VALU_DEP_1)
	v_cmp_eq_u32_e64 s0, 0, v1
	v_cndmask_b32_e64 v103, v2, v0, s0
; %bb.127:                              ;   in Loop: Header=BB199_31 Depth=1
	s_or_b32 exec_lo, exec_lo, s7
	v_lshlrev_b32_e32 v0, 16, v4
                                        ; implicit-def: $vgpr128
	s_delay_alu instid0(VALU_DEP_1) | instskip(NEXT) | instid1(VALU_DEP_1)
	v_mul_f32_e32 v0, v119, v0
	v_and_b32_e32 v1, 0x7f800000, v0
	s_delay_alu instid0(VALU_DEP_1) | instskip(NEXT) | instid1(VALU_DEP_1)
	v_cmp_ne_u32_e64 s0, 0x7f800000, v1
	s_and_saveexec_b32 s7, s0
	s_delay_alu instid0(SALU_CYCLE_1)
	s_xor_b32 s0, exec_lo, s7
; %bb.128:                              ;   in Loop: Header=BB199_31 Depth=1
	v_bfe_u32 v1, v0, 16, 1
	s_delay_alu instid0(VALU_DEP_1)
	v_add3_u32 v128, v0, v1, 0x7fff
                                        ; implicit-def: $vgpr0
; %bb.129:                              ;   in Loop: Header=BB199_31 Depth=1
	s_and_not1_saveexec_b32 s7, s0
; %bb.130:                              ;   in Loop: Header=BB199_31 Depth=1
	v_and_b32_e32 v1, 0xffff, v0
	v_or_b32_e32 v2, 0x10000, v0
	s_delay_alu instid0(VALU_DEP_2) | instskip(NEXT) | instid1(VALU_DEP_1)
	v_cmp_eq_u32_e64 s0, 0, v1
	v_cndmask_b32_e64 v128, v2, v0, s0
; %bb.131:                              ;   in Loop: Header=BB199_31 Depth=1
	s_or_b32 exec_lo, exec_lo, s7
	flat_load_b128 v[0:3], v[6:7] offset:1024
	s_waitcnt vmcnt(0) lgkmcnt(0)
	v_lshrrev_b32_e32 v39, 16, v0
	v_lshrrev_b32_e32 v12, 16, v1
	;; [unrolled: 1-line block ×4, first 2 shown]
	s_and_saveexec_b32 s7, vcc_lo
	s_cbranch_execz .LBB199_133
; %bb.132:                              ;   in Loop: Header=BB199_31 Depth=1
	v_cmp_lt_i32_e64 s0, v85, v82
	s_delay_alu instid0(VALU_DEP_1) | instskip(SKIP_1) | instid1(VALU_DEP_1)
	v_cndmask_b32_e64 v0, 0, v0, s0
	v_cmp_lt_i32_e64 s0, v100, v82
	v_cndmask_b32_e64 v39, 0, v39, s0
	v_cmp_lt_i32_e64 s0, v98, v82
	s_delay_alu instid0(VALU_DEP_1) | instskip(SKIP_1) | instid1(VALU_DEP_1)
	v_cndmask_b32_e64 v1, 0, v1, s0
	v_cmp_lt_i32_e64 s0, v97, v82
	v_cndmask_b32_e64 v12, 0, v12, s0
	;; [unrolled: 5-line block ×4, first 2 shown]
.LBB199_133:                            ;   in Loop: Header=BB199_31 Depth=1
	s_or_b32 exec_lo, exec_lo, s7
	v_lshlrev_b32_e32 v0, 16, v0
                                        ; implicit-def: $vgpr129
	s_delay_alu instid0(VALU_DEP_1) | instskip(NEXT) | instid1(VALU_DEP_1)
	v_mul_f32_e32 v0, v112, v0
	v_and_b32_e32 v22, 0x7f800000, v0
	s_delay_alu instid0(VALU_DEP_1) | instskip(NEXT) | instid1(VALU_DEP_1)
	v_cmp_ne_u32_e64 s0, 0x7f800000, v22
	s_and_saveexec_b32 s7, s0
	s_delay_alu instid0(SALU_CYCLE_1)
	s_xor_b32 s0, exec_lo, s7
; %bb.134:                              ;   in Loop: Header=BB199_31 Depth=1
	v_bfe_u32 v22, v0, 16, 1
	s_delay_alu instid0(VALU_DEP_1)
	v_add3_u32 v129, v0, v22, 0x7fff
                                        ; implicit-def: $vgpr0
; %bb.135:                              ;   in Loop: Header=BB199_31 Depth=1
	s_and_not1_saveexec_b32 s7, s0
; %bb.136:                              ;   in Loop: Header=BB199_31 Depth=1
	v_and_b32_e32 v22, 0xffff, v0
	v_or_b32_e32 v83, 0x10000, v0
	s_delay_alu instid0(VALU_DEP_2) | instskip(NEXT) | instid1(VALU_DEP_1)
	v_cmp_eq_u32_e64 s0, 0, v22
	v_cndmask_b32_e64 v129, v83, v0, s0
; %bb.137:                              ;   in Loop: Header=BB199_31 Depth=1
	s_or_b32 exec_lo, exec_lo, s7
	v_lshlrev_b32_e32 v0, 16, v39
                                        ; implicit-def: $vgpr130
	s_delay_alu instid0(VALU_DEP_1) | instskip(NEXT) | instid1(VALU_DEP_1)
	v_mul_f32_e32 v0, v113, v0
	v_and_b32_e32 v22, 0x7f800000, v0
	s_delay_alu instid0(VALU_DEP_1) | instskip(NEXT) | instid1(VALU_DEP_1)
	v_cmp_ne_u32_e64 s0, 0x7f800000, v22
	s_and_saveexec_b32 s7, s0
	s_delay_alu instid0(SALU_CYCLE_1)
	s_xor_b32 s0, exec_lo, s7
; %bb.138:                              ;   in Loop: Header=BB199_31 Depth=1
	v_bfe_u32 v22, v0, 16, 1
	s_delay_alu instid0(VALU_DEP_1)
	v_add3_u32 v130, v0, v22, 0x7fff
                                        ; implicit-def: $vgpr0
; %bb.139:                              ;   in Loop: Header=BB199_31 Depth=1
	s_and_not1_saveexec_b32 s7, s0
; %bb.140:                              ;   in Loop: Header=BB199_31 Depth=1
	v_and_b32_e32 v22, 0xffff, v0
	v_or_b32_e32 v39, 0x10000, v0
	s_delay_alu instid0(VALU_DEP_2) | instskip(NEXT) | instid1(VALU_DEP_1)
	v_cmp_eq_u32_e64 s0, 0, v22
	v_cndmask_b32_e64 v130, v39, v0, s0
; %bb.141:                              ;   in Loop: Header=BB199_31 Depth=1
	s_or_b32 exec_lo, exec_lo, s7
	v_lshlrev_b32_e32 v0, 16, v1
                                        ; implicit-def: $vgpr131
	s_delay_alu instid0(VALU_DEP_1) | instskip(NEXT) | instid1(VALU_DEP_1)
	v_mul_f32_e32 v0, v114, v0
	v_and_b32_e32 v1, 0x7f800000, v0
	s_delay_alu instid0(VALU_DEP_1) | instskip(NEXT) | instid1(VALU_DEP_1)
	v_cmp_ne_u32_e64 s0, 0x7f800000, v1
	s_and_saveexec_b32 s7, s0
	s_delay_alu instid0(SALU_CYCLE_1)
	s_xor_b32 s0, exec_lo, s7
; %bb.142:                              ;   in Loop: Header=BB199_31 Depth=1
	v_bfe_u32 v1, v0, 16, 1
	s_delay_alu instid0(VALU_DEP_1)
	v_add3_u32 v131, v0, v1, 0x7fff
                                        ; implicit-def: $vgpr0
; %bb.143:                              ;   in Loop: Header=BB199_31 Depth=1
	s_and_not1_saveexec_b32 s7, s0
; %bb.144:                              ;   in Loop: Header=BB199_31 Depth=1
	v_and_b32_e32 v1, 0xffff, v0
	v_or_b32_e32 v22, 0x10000, v0
	s_delay_alu instid0(VALU_DEP_2) | instskip(NEXT) | instid1(VALU_DEP_1)
	v_cmp_eq_u32_e64 s0, 0, v1
	v_cndmask_b32_e64 v131, v22, v0, s0
; %bb.145:                              ;   in Loop: Header=BB199_31 Depth=1
	s_or_b32 exec_lo, exec_lo, s7
	v_lshlrev_b32_e32 v0, 16, v12
                                        ; implicit-def: $vgpr132
	s_delay_alu instid0(VALU_DEP_1) | instskip(NEXT) | instid1(VALU_DEP_1)
	v_mul_f32_e32 v0, v115, v0
	v_and_b32_e32 v1, 0x7f800000, v0
	s_delay_alu instid0(VALU_DEP_1) | instskip(NEXT) | instid1(VALU_DEP_1)
	v_cmp_ne_u32_e64 s0, 0x7f800000, v1
	s_and_saveexec_b32 s7, s0
	s_delay_alu instid0(SALU_CYCLE_1)
	s_xor_b32 s0, exec_lo, s7
; %bb.146:                              ;   in Loop: Header=BB199_31 Depth=1
	v_bfe_u32 v1, v0, 16, 1
	s_delay_alu instid0(VALU_DEP_1)
	v_add3_u32 v132, v0, v1, 0x7fff
                                        ; implicit-def: $vgpr0
; %bb.147:                              ;   in Loop: Header=BB199_31 Depth=1
	s_and_not1_saveexec_b32 s7, s0
; %bb.148:                              ;   in Loop: Header=BB199_31 Depth=1
	v_and_b32_e32 v1, 0xffff, v0
	v_or_b32_e32 v12, 0x10000, v0
	s_delay_alu instid0(VALU_DEP_2) | instskip(NEXT) | instid1(VALU_DEP_1)
	v_cmp_eq_u32_e64 s0, 0, v1
	v_cndmask_b32_e64 v132, v12, v0, s0
; %bb.149:                              ;   in Loop: Header=BB199_31 Depth=1
	s_or_b32 exec_lo, exec_lo, s7
	v_lshlrev_b32_e32 v0, 16, v2
                                        ; implicit-def: $vgpr133
	s_delay_alu instid0(VALU_DEP_1) | instskip(NEXT) | instid1(VALU_DEP_1)
	v_mul_f32_e32 v0, v116, v0
	v_and_b32_e32 v1, 0x7f800000, v0
	s_delay_alu instid0(VALU_DEP_1) | instskip(NEXT) | instid1(VALU_DEP_1)
	v_cmp_ne_u32_e64 s0, 0x7f800000, v1
	s_and_saveexec_b32 s7, s0
	s_delay_alu instid0(SALU_CYCLE_1)
	s_xor_b32 s0, exec_lo, s7
; %bb.150:                              ;   in Loop: Header=BB199_31 Depth=1
	v_bfe_u32 v1, v0, 16, 1
	s_delay_alu instid0(VALU_DEP_1)
	v_add3_u32 v133, v0, v1, 0x7fff
                                        ; implicit-def: $vgpr0
; %bb.151:                              ;   in Loop: Header=BB199_31 Depth=1
	s_and_not1_saveexec_b32 s7, s0
; %bb.152:                              ;   in Loop: Header=BB199_31 Depth=1
	v_and_b32_e32 v1, 0xffff, v0
	v_or_b32_e32 v2, 0x10000, v0
	s_delay_alu instid0(VALU_DEP_2) | instskip(NEXT) | instid1(VALU_DEP_1)
	v_cmp_eq_u32_e64 s0, 0, v1
	v_cndmask_b32_e64 v133, v2, v0, s0
; %bb.153:                              ;   in Loop: Header=BB199_31 Depth=1
	s_or_b32 exec_lo, exec_lo, s7
	v_lshlrev_b32_e32 v0, 16, v5
                                        ; implicit-def: $vgpr134
	s_delay_alu instid0(VALU_DEP_1) | instskip(NEXT) | instid1(VALU_DEP_1)
	v_mul_f32_e32 v0, v117, v0
	v_and_b32_e32 v1, 0x7f800000, v0
	s_delay_alu instid0(VALU_DEP_1) | instskip(NEXT) | instid1(VALU_DEP_1)
	v_cmp_ne_u32_e64 s0, 0x7f800000, v1
	s_and_saveexec_b32 s7, s0
	s_delay_alu instid0(SALU_CYCLE_1)
	s_xor_b32 s0, exec_lo, s7
; %bb.154:                              ;   in Loop: Header=BB199_31 Depth=1
	v_bfe_u32 v1, v0, 16, 1
	s_delay_alu instid0(VALU_DEP_1)
	v_add3_u32 v134, v0, v1, 0x7fff
                                        ; implicit-def: $vgpr0
; %bb.155:                              ;   in Loop: Header=BB199_31 Depth=1
	s_and_not1_saveexec_b32 s7, s0
; %bb.156:                              ;   in Loop: Header=BB199_31 Depth=1
	v_and_b32_e32 v1, 0xffff, v0
	v_or_b32_e32 v2, 0x10000, v0
	s_delay_alu instid0(VALU_DEP_2) | instskip(NEXT) | instid1(VALU_DEP_1)
	v_cmp_eq_u32_e64 s0, 0, v1
	v_cndmask_b32_e64 v134, v2, v0, s0
; %bb.157:                              ;   in Loop: Header=BB199_31 Depth=1
	s_or_b32 exec_lo, exec_lo, s7
	v_lshlrev_b32_e32 v0, 16, v3
                                        ; implicit-def: $vgpr135
	s_delay_alu instid0(VALU_DEP_1) | instskip(NEXT) | instid1(VALU_DEP_1)
	v_mul_f32_e32 v0, v118, v0
	v_and_b32_e32 v1, 0x7f800000, v0
	s_delay_alu instid0(VALU_DEP_1) | instskip(NEXT) | instid1(VALU_DEP_1)
	v_cmp_ne_u32_e64 s0, 0x7f800000, v1
	s_and_saveexec_b32 s7, s0
	s_delay_alu instid0(SALU_CYCLE_1)
	s_xor_b32 s0, exec_lo, s7
; %bb.158:                              ;   in Loop: Header=BB199_31 Depth=1
	v_bfe_u32 v1, v0, 16, 1
	s_delay_alu instid0(VALU_DEP_1)
	v_add3_u32 v135, v0, v1, 0x7fff
                                        ; implicit-def: $vgpr0
; %bb.159:                              ;   in Loop: Header=BB199_31 Depth=1
	s_and_not1_saveexec_b32 s7, s0
; %bb.160:                              ;   in Loop: Header=BB199_31 Depth=1
	v_and_b32_e32 v1, 0xffff, v0
	v_or_b32_e32 v2, 0x10000, v0
	s_delay_alu instid0(VALU_DEP_2) | instskip(NEXT) | instid1(VALU_DEP_1)
	v_cmp_eq_u32_e64 s0, 0, v1
	v_cndmask_b32_e64 v135, v2, v0, s0
; %bb.161:                              ;   in Loop: Header=BB199_31 Depth=1
	s_or_b32 exec_lo, exec_lo, s7
	v_lshlrev_b32_e32 v0, 16, v4
                                        ; implicit-def: $vgpr144
	s_delay_alu instid0(VALU_DEP_1) | instskip(NEXT) | instid1(VALU_DEP_1)
	v_mul_f32_e32 v0, v119, v0
	v_and_b32_e32 v1, 0x7f800000, v0
	s_delay_alu instid0(VALU_DEP_1) | instskip(NEXT) | instid1(VALU_DEP_1)
	v_cmp_ne_u32_e64 s0, 0x7f800000, v1
	s_and_saveexec_b32 s7, s0
	s_delay_alu instid0(SALU_CYCLE_1)
	s_xor_b32 s0, exec_lo, s7
; %bb.162:                              ;   in Loop: Header=BB199_31 Depth=1
	v_bfe_u32 v1, v0, 16, 1
	s_delay_alu instid0(VALU_DEP_1)
	v_add3_u32 v144, v0, v1, 0x7fff
                                        ; implicit-def: $vgpr0
; %bb.163:                              ;   in Loop: Header=BB199_31 Depth=1
	s_and_not1_saveexec_b32 s7, s0
; %bb.164:                              ;   in Loop: Header=BB199_31 Depth=1
	v_and_b32_e32 v1, 0xffff, v0
	v_or_b32_e32 v2, 0x10000, v0
	s_delay_alu instid0(VALU_DEP_2) | instskip(NEXT) | instid1(VALU_DEP_1)
	v_cmp_eq_u32_e64 s0, 0, v1
	v_cndmask_b32_e64 v144, v2, v0, s0
; %bb.165:                              ;   in Loop: Header=BB199_31 Depth=1
	s_or_b32 exec_lo, exec_lo, s7
	flat_load_b128 v[0:3], v[6:7] offset:1536
	s_waitcnt vmcnt(0) lgkmcnt(0)
	v_lshrrev_b32_e32 v39, 16, v0
	v_lshrrev_b32_e32 v12, 16, v1
	;; [unrolled: 1-line block ×4, first 2 shown]
	s_and_saveexec_b32 s7, vcc_lo
	s_cbranch_execz .LBB199_167
; %bb.166:                              ;   in Loop: Header=BB199_31 Depth=1
	v_cmp_lt_i32_e64 s0, v85, v82
	s_delay_alu instid0(VALU_DEP_1) | instskip(SKIP_1) | instid1(VALU_DEP_1)
	v_cndmask_b32_e64 v0, 0, v0, s0
	v_cmp_lt_i32_e64 s0, v100, v82
	v_cndmask_b32_e64 v39, 0, v39, s0
	v_cmp_lt_i32_e64 s0, v98, v82
	s_delay_alu instid0(VALU_DEP_1) | instskip(SKIP_1) | instid1(VALU_DEP_1)
	v_cndmask_b32_e64 v1, 0, v1, s0
	v_cmp_lt_i32_e64 s0, v97, v82
	v_cndmask_b32_e64 v12, 0, v12, s0
	;; [unrolled: 5-line block ×4, first 2 shown]
.LBB199_167:                            ;   in Loop: Header=BB199_31 Depth=1
	s_or_b32 exec_lo, exec_lo, s7
	v_lshlrev_b32_e32 v0, 16, v0
                                        ; implicit-def: $vgpr145
	s_delay_alu instid0(VALU_DEP_1) | instskip(NEXT) | instid1(VALU_DEP_1)
	v_mul_f32_e32 v0, v112, v0
	v_and_b32_e32 v22, 0x7f800000, v0
	s_delay_alu instid0(VALU_DEP_1) | instskip(NEXT) | instid1(VALU_DEP_1)
	v_cmp_ne_u32_e64 s0, 0x7f800000, v22
	s_and_saveexec_b32 s7, s0
	s_delay_alu instid0(SALU_CYCLE_1)
	s_xor_b32 s0, exec_lo, s7
; %bb.168:                              ;   in Loop: Header=BB199_31 Depth=1
	v_bfe_u32 v22, v0, 16, 1
	s_delay_alu instid0(VALU_DEP_1)
	v_add3_u32 v145, v0, v22, 0x7fff
                                        ; implicit-def: $vgpr0
; %bb.169:                              ;   in Loop: Header=BB199_31 Depth=1
	s_and_not1_saveexec_b32 s7, s0
; %bb.170:                              ;   in Loop: Header=BB199_31 Depth=1
	v_and_b32_e32 v22, 0xffff, v0
	v_or_b32_e32 v83, 0x10000, v0
	s_delay_alu instid0(VALU_DEP_2) | instskip(NEXT) | instid1(VALU_DEP_1)
	v_cmp_eq_u32_e64 s0, 0, v22
	v_cndmask_b32_e64 v145, v83, v0, s0
; %bb.171:                              ;   in Loop: Header=BB199_31 Depth=1
	s_or_b32 exec_lo, exec_lo, s7
	v_lshlrev_b32_e32 v0, 16, v39
                                        ; implicit-def: $vgpr146
	s_delay_alu instid0(VALU_DEP_1) | instskip(NEXT) | instid1(VALU_DEP_1)
	v_mul_f32_e32 v0, v113, v0
	v_and_b32_e32 v22, 0x7f800000, v0
	s_delay_alu instid0(VALU_DEP_1) | instskip(NEXT) | instid1(VALU_DEP_1)
	v_cmp_ne_u32_e64 s0, 0x7f800000, v22
	s_and_saveexec_b32 s7, s0
	s_delay_alu instid0(SALU_CYCLE_1)
	s_xor_b32 s0, exec_lo, s7
; %bb.172:                              ;   in Loop: Header=BB199_31 Depth=1
	v_bfe_u32 v22, v0, 16, 1
	s_delay_alu instid0(VALU_DEP_1)
	v_add3_u32 v146, v0, v22, 0x7fff
                                        ; implicit-def: $vgpr0
; %bb.173:                              ;   in Loop: Header=BB199_31 Depth=1
	s_and_not1_saveexec_b32 s7, s0
; %bb.174:                              ;   in Loop: Header=BB199_31 Depth=1
	v_and_b32_e32 v22, 0xffff, v0
	v_or_b32_e32 v39, 0x10000, v0
	s_delay_alu instid0(VALU_DEP_2) | instskip(NEXT) | instid1(VALU_DEP_1)
	v_cmp_eq_u32_e64 s0, 0, v22
	v_cndmask_b32_e64 v146, v39, v0, s0
; %bb.175:                              ;   in Loop: Header=BB199_31 Depth=1
	s_or_b32 exec_lo, exec_lo, s7
	v_lshlrev_b32_e32 v0, 16, v1
                                        ; implicit-def: $vgpr147
	s_delay_alu instid0(VALU_DEP_1) | instskip(NEXT) | instid1(VALU_DEP_1)
	v_mul_f32_e32 v0, v114, v0
	v_and_b32_e32 v1, 0x7f800000, v0
	s_delay_alu instid0(VALU_DEP_1) | instskip(NEXT) | instid1(VALU_DEP_1)
	v_cmp_ne_u32_e64 s0, 0x7f800000, v1
	s_and_saveexec_b32 s7, s0
	s_delay_alu instid0(SALU_CYCLE_1)
	s_xor_b32 s0, exec_lo, s7
; %bb.176:                              ;   in Loop: Header=BB199_31 Depth=1
	v_bfe_u32 v1, v0, 16, 1
	s_delay_alu instid0(VALU_DEP_1)
	v_add3_u32 v147, v0, v1, 0x7fff
                                        ; implicit-def: $vgpr0
; %bb.177:                              ;   in Loop: Header=BB199_31 Depth=1
	s_and_not1_saveexec_b32 s7, s0
; %bb.178:                              ;   in Loop: Header=BB199_31 Depth=1
	v_and_b32_e32 v1, 0xffff, v0
	v_or_b32_e32 v22, 0x10000, v0
	s_delay_alu instid0(VALU_DEP_2) | instskip(NEXT) | instid1(VALU_DEP_1)
	v_cmp_eq_u32_e64 s0, 0, v1
	v_cndmask_b32_e64 v147, v22, v0, s0
; %bb.179:                              ;   in Loop: Header=BB199_31 Depth=1
	s_or_b32 exec_lo, exec_lo, s7
	v_lshlrev_b32_e32 v0, 16, v12
                                        ; implicit-def: $vgpr148
	s_delay_alu instid0(VALU_DEP_1) | instskip(NEXT) | instid1(VALU_DEP_1)
	v_mul_f32_e32 v0, v115, v0
	v_and_b32_e32 v1, 0x7f800000, v0
	s_delay_alu instid0(VALU_DEP_1) | instskip(NEXT) | instid1(VALU_DEP_1)
	v_cmp_ne_u32_e64 s0, 0x7f800000, v1
	s_and_saveexec_b32 s7, s0
	s_delay_alu instid0(SALU_CYCLE_1)
	s_xor_b32 s0, exec_lo, s7
; %bb.180:                              ;   in Loop: Header=BB199_31 Depth=1
	v_bfe_u32 v1, v0, 16, 1
	s_delay_alu instid0(VALU_DEP_1)
	v_add3_u32 v148, v0, v1, 0x7fff
                                        ; implicit-def: $vgpr0
; %bb.181:                              ;   in Loop: Header=BB199_31 Depth=1
	s_and_not1_saveexec_b32 s7, s0
; %bb.182:                              ;   in Loop: Header=BB199_31 Depth=1
	v_and_b32_e32 v1, 0xffff, v0
	v_or_b32_e32 v12, 0x10000, v0
	s_delay_alu instid0(VALU_DEP_2) | instskip(NEXT) | instid1(VALU_DEP_1)
	v_cmp_eq_u32_e64 s0, 0, v1
	v_cndmask_b32_e64 v148, v12, v0, s0
; %bb.183:                              ;   in Loop: Header=BB199_31 Depth=1
	s_or_b32 exec_lo, exec_lo, s7
	v_lshlrev_b32_e32 v0, 16, v2
                                        ; implicit-def: $vgpr149
	s_delay_alu instid0(VALU_DEP_1) | instskip(NEXT) | instid1(VALU_DEP_1)
	v_mul_f32_e32 v0, v116, v0
	v_and_b32_e32 v1, 0x7f800000, v0
	s_delay_alu instid0(VALU_DEP_1) | instskip(NEXT) | instid1(VALU_DEP_1)
	v_cmp_ne_u32_e64 s0, 0x7f800000, v1
	s_and_saveexec_b32 s7, s0
	s_delay_alu instid0(SALU_CYCLE_1)
	s_xor_b32 s0, exec_lo, s7
; %bb.184:                              ;   in Loop: Header=BB199_31 Depth=1
	v_bfe_u32 v1, v0, 16, 1
	s_delay_alu instid0(VALU_DEP_1)
	v_add3_u32 v149, v0, v1, 0x7fff
                                        ; implicit-def: $vgpr0
; %bb.185:                              ;   in Loop: Header=BB199_31 Depth=1
	s_and_not1_saveexec_b32 s7, s0
; %bb.186:                              ;   in Loop: Header=BB199_31 Depth=1
	v_and_b32_e32 v1, 0xffff, v0
	v_or_b32_e32 v2, 0x10000, v0
	s_delay_alu instid0(VALU_DEP_2) | instskip(NEXT) | instid1(VALU_DEP_1)
	v_cmp_eq_u32_e64 s0, 0, v1
	v_cndmask_b32_e64 v149, v2, v0, s0
; %bb.187:                              ;   in Loop: Header=BB199_31 Depth=1
	s_or_b32 exec_lo, exec_lo, s7
	v_lshlrev_b32_e32 v0, 16, v5
                                        ; implicit-def: $vgpr150
	s_delay_alu instid0(VALU_DEP_1) | instskip(NEXT) | instid1(VALU_DEP_1)
	v_mul_f32_e32 v0, v117, v0
	v_and_b32_e32 v1, 0x7f800000, v0
	s_delay_alu instid0(VALU_DEP_1) | instskip(NEXT) | instid1(VALU_DEP_1)
	v_cmp_ne_u32_e64 s0, 0x7f800000, v1
	s_and_saveexec_b32 s7, s0
	s_delay_alu instid0(SALU_CYCLE_1)
	s_xor_b32 s0, exec_lo, s7
; %bb.188:                              ;   in Loop: Header=BB199_31 Depth=1
	v_bfe_u32 v1, v0, 16, 1
	s_delay_alu instid0(VALU_DEP_1)
	v_add3_u32 v150, v0, v1, 0x7fff
                                        ; implicit-def: $vgpr0
; %bb.189:                              ;   in Loop: Header=BB199_31 Depth=1
	s_and_not1_saveexec_b32 s7, s0
; %bb.190:                              ;   in Loop: Header=BB199_31 Depth=1
	v_and_b32_e32 v1, 0xffff, v0
	v_or_b32_e32 v2, 0x10000, v0
	s_delay_alu instid0(VALU_DEP_2) | instskip(NEXT) | instid1(VALU_DEP_1)
	v_cmp_eq_u32_e64 s0, 0, v1
	v_cndmask_b32_e64 v150, v2, v0, s0
; %bb.191:                              ;   in Loop: Header=BB199_31 Depth=1
	s_or_b32 exec_lo, exec_lo, s7
	v_lshlrev_b32_e32 v0, 16, v3
                                        ; implicit-def: $vgpr151
	s_delay_alu instid0(VALU_DEP_1) | instskip(NEXT) | instid1(VALU_DEP_1)
	v_mul_f32_e32 v0, v118, v0
	v_and_b32_e32 v1, 0x7f800000, v0
	s_delay_alu instid0(VALU_DEP_1) | instskip(NEXT) | instid1(VALU_DEP_1)
	v_cmp_ne_u32_e64 s0, 0x7f800000, v1
	s_and_saveexec_b32 s7, s0
	s_delay_alu instid0(SALU_CYCLE_1)
	s_xor_b32 s0, exec_lo, s7
; %bb.192:                              ;   in Loop: Header=BB199_31 Depth=1
	v_bfe_u32 v1, v0, 16, 1
	s_delay_alu instid0(VALU_DEP_1)
	v_add3_u32 v151, v0, v1, 0x7fff
                                        ; implicit-def: $vgpr0
; %bb.193:                              ;   in Loop: Header=BB199_31 Depth=1
	s_and_not1_saveexec_b32 s7, s0
; %bb.194:                              ;   in Loop: Header=BB199_31 Depth=1
	v_and_b32_e32 v1, 0xffff, v0
	v_or_b32_e32 v2, 0x10000, v0
	s_delay_alu instid0(VALU_DEP_2) | instskip(NEXT) | instid1(VALU_DEP_1)
	v_cmp_eq_u32_e64 s0, 0, v1
	v_cndmask_b32_e64 v151, v2, v0, s0
; %bb.195:                              ;   in Loop: Header=BB199_31 Depth=1
	s_or_b32 exec_lo, exec_lo, s7
	v_lshlrev_b32_e32 v0, 16, v4
                                        ; implicit-def: $vgpr160
	s_delay_alu instid0(VALU_DEP_1) | instskip(NEXT) | instid1(VALU_DEP_1)
	v_mul_f32_e32 v0, v119, v0
	v_and_b32_e32 v1, 0x7f800000, v0
	s_delay_alu instid0(VALU_DEP_1) | instskip(NEXT) | instid1(VALU_DEP_1)
	v_cmp_ne_u32_e64 s0, 0x7f800000, v1
	s_and_saveexec_b32 s7, s0
	s_delay_alu instid0(SALU_CYCLE_1)
	s_xor_b32 s0, exec_lo, s7
; %bb.196:                              ;   in Loop: Header=BB199_31 Depth=1
	v_bfe_u32 v1, v0, 16, 1
	s_delay_alu instid0(VALU_DEP_1)
	v_add3_u32 v160, v0, v1, 0x7fff
                                        ; implicit-def: $vgpr0
; %bb.197:                              ;   in Loop: Header=BB199_31 Depth=1
	s_and_not1_saveexec_b32 s7, s0
; %bb.198:                              ;   in Loop: Header=BB199_31 Depth=1
	v_and_b32_e32 v1, 0xffff, v0
	v_or_b32_e32 v2, 0x10000, v0
	s_delay_alu instid0(VALU_DEP_2) | instskip(NEXT) | instid1(VALU_DEP_1)
	v_cmp_eq_u32_e64 s0, 0, v1
	v_cndmask_b32_e64 v160, v2, v0, s0
; %bb.199:                              ;   in Loop: Header=BB199_31 Depth=1
	s_or_b32 exec_lo, exec_lo, s7
	flat_load_b128 v[0:3], v[6:7] offset:2048
	s_waitcnt vmcnt(0) lgkmcnt(0)
	v_lshrrev_b32_e32 v39, 16, v0
	v_lshrrev_b32_e32 v12, 16, v1
	v_lshrrev_b32_e32 v5, 16, v2
	v_lshrrev_b32_e32 v4, 16, v3
	s_and_saveexec_b32 s7, vcc_lo
	s_cbranch_execz .LBB199_201
; %bb.200:                              ;   in Loop: Header=BB199_31 Depth=1
	v_cmp_lt_i32_e64 s0, v85, v82
	s_delay_alu instid0(VALU_DEP_1) | instskip(SKIP_1) | instid1(VALU_DEP_1)
	v_cndmask_b32_e64 v0, 0, v0, s0
	v_cmp_lt_i32_e64 s0, v100, v82
	v_cndmask_b32_e64 v39, 0, v39, s0
	v_cmp_lt_i32_e64 s0, v98, v82
	s_delay_alu instid0(VALU_DEP_1) | instskip(SKIP_1) | instid1(VALU_DEP_1)
	v_cndmask_b32_e64 v1, 0, v1, s0
	v_cmp_lt_i32_e64 s0, v97, v82
	v_cndmask_b32_e64 v12, 0, v12, s0
	;; [unrolled: 5-line block ×4, first 2 shown]
.LBB199_201:                            ;   in Loop: Header=BB199_31 Depth=1
	s_or_b32 exec_lo, exec_lo, s7
	v_lshlrev_b32_e32 v0, 16, v0
                                        ; implicit-def: $vgpr161
	s_delay_alu instid0(VALU_DEP_1) | instskip(NEXT) | instid1(VALU_DEP_1)
	v_mul_f32_e32 v0, v112, v0
	v_and_b32_e32 v22, 0x7f800000, v0
	s_delay_alu instid0(VALU_DEP_1) | instskip(NEXT) | instid1(VALU_DEP_1)
	v_cmp_ne_u32_e64 s0, 0x7f800000, v22
	s_and_saveexec_b32 s7, s0
	s_delay_alu instid0(SALU_CYCLE_1)
	s_xor_b32 s0, exec_lo, s7
; %bb.202:                              ;   in Loop: Header=BB199_31 Depth=1
	v_bfe_u32 v22, v0, 16, 1
	s_delay_alu instid0(VALU_DEP_1)
	v_add3_u32 v161, v0, v22, 0x7fff
                                        ; implicit-def: $vgpr0
; %bb.203:                              ;   in Loop: Header=BB199_31 Depth=1
	s_and_not1_saveexec_b32 s7, s0
; %bb.204:                              ;   in Loop: Header=BB199_31 Depth=1
	v_and_b32_e32 v22, 0xffff, v0
	v_or_b32_e32 v83, 0x10000, v0
	s_delay_alu instid0(VALU_DEP_2) | instskip(NEXT) | instid1(VALU_DEP_1)
	v_cmp_eq_u32_e64 s0, 0, v22
	v_cndmask_b32_e64 v161, v83, v0, s0
; %bb.205:                              ;   in Loop: Header=BB199_31 Depth=1
	s_or_b32 exec_lo, exec_lo, s7
	v_lshlrev_b32_e32 v0, 16, v39
                                        ; implicit-def: $vgpr162
	s_delay_alu instid0(VALU_DEP_1) | instskip(NEXT) | instid1(VALU_DEP_1)
	v_mul_f32_e32 v0, v113, v0
	v_and_b32_e32 v22, 0x7f800000, v0
	s_delay_alu instid0(VALU_DEP_1) | instskip(NEXT) | instid1(VALU_DEP_1)
	v_cmp_ne_u32_e64 s0, 0x7f800000, v22
	s_and_saveexec_b32 s7, s0
	s_delay_alu instid0(SALU_CYCLE_1)
	s_xor_b32 s0, exec_lo, s7
; %bb.206:                              ;   in Loop: Header=BB199_31 Depth=1
	v_bfe_u32 v22, v0, 16, 1
	s_delay_alu instid0(VALU_DEP_1)
	v_add3_u32 v162, v0, v22, 0x7fff
                                        ; implicit-def: $vgpr0
; %bb.207:                              ;   in Loop: Header=BB199_31 Depth=1
	s_and_not1_saveexec_b32 s7, s0
; %bb.208:                              ;   in Loop: Header=BB199_31 Depth=1
	v_and_b32_e32 v22, 0xffff, v0
	v_or_b32_e32 v39, 0x10000, v0
	s_delay_alu instid0(VALU_DEP_2) | instskip(NEXT) | instid1(VALU_DEP_1)
	v_cmp_eq_u32_e64 s0, 0, v22
	v_cndmask_b32_e64 v162, v39, v0, s0
; %bb.209:                              ;   in Loop: Header=BB199_31 Depth=1
	s_or_b32 exec_lo, exec_lo, s7
	v_lshlrev_b32_e32 v0, 16, v1
                                        ; implicit-def: $vgpr163
	s_delay_alu instid0(VALU_DEP_1) | instskip(NEXT) | instid1(VALU_DEP_1)
	v_mul_f32_e32 v0, v114, v0
	v_and_b32_e32 v1, 0x7f800000, v0
	s_delay_alu instid0(VALU_DEP_1) | instskip(NEXT) | instid1(VALU_DEP_1)
	v_cmp_ne_u32_e64 s0, 0x7f800000, v1
	s_and_saveexec_b32 s7, s0
	s_delay_alu instid0(SALU_CYCLE_1)
	s_xor_b32 s0, exec_lo, s7
; %bb.210:                              ;   in Loop: Header=BB199_31 Depth=1
	v_bfe_u32 v1, v0, 16, 1
	s_delay_alu instid0(VALU_DEP_1)
	v_add3_u32 v163, v0, v1, 0x7fff
                                        ; implicit-def: $vgpr0
; %bb.211:                              ;   in Loop: Header=BB199_31 Depth=1
	s_and_not1_saveexec_b32 s7, s0
; %bb.212:                              ;   in Loop: Header=BB199_31 Depth=1
	v_and_b32_e32 v1, 0xffff, v0
	v_or_b32_e32 v22, 0x10000, v0
	s_delay_alu instid0(VALU_DEP_2) | instskip(NEXT) | instid1(VALU_DEP_1)
	v_cmp_eq_u32_e64 s0, 0, v1
	v_cndmask_b32_e64 v163, v22, v0, s0
; %bb.213:                              ;   in Loop: Header=BB199_31 Depth=1
	s_or_b32 exec_lo, exec_lo, s7
	v_lshlrev_b32_e32 v0, 16, v12
                                        ; implicit-def: $vgpr164
	s_delay_alu instid0(VALU_DEP_1) | instskip(NEXT) | instid1(VALU_DEP_1)
	v_mul_f32_e32 v0, v115, v0
	v_and_b32_e32 v1, 0x7f800000, v0
	s_delay_alu instid0(VALU_DEP_1) | instskip(NEXT) | instid1(VALU_DEP_1)
	v_cmp_ne_u32_e64 s0, 0x7f800000, v1
	s_and_saveexec_b32 s7, s0
	s_delay_alu instid0(SALU_CYCLE_1)
	s_xor_b32 s0, exec_lo, s7
; %bb.214:                              ;   in Loop: Header=BB199_31 Depth=1
	v_bfe_u32 v1, v0, 16, 1
	s_delay_alu instid0(VALU_DEP_1)
	v_add3_u32 v164, v0, v1, 0x7fff
                                        ; implicit-def: $vgpr0
; %bb.215:                              ;   in Loop: Header=BB199_31 Depth=1
	s_and_not1_saveexec_b32 s7, s0
; %bb.216:                              ;   in Loop: Header=BB199_31 Depth=1
	v_and_b32_e32 v1, 0xffff, v0
	v_or_b32_e32 v12, 0x10000, v0
	s_delay_alu instid0(VALU_DEP_2) | instskip(NEXT) | instid1(VALU_DEP_1)
	v_cmp_eq_u32_e64 s0, 0, v1
	v_cndmask_b32_e64 v164, v12, v0, s0
; %bb.217:                              ;   in Loop: Header=BB199_31 Depth=1
	s_or_b32 exec_lo, exec_lo, s7
	v_lshlrev_b32_e32 v0, 16, v2
                                        ; implicit-def: $vgpr165
	s_delay_alu instid0(VALU_DEP_1) | instskip(NEXT) | instid1(VALU_DEP_1)
	v_mul_f32_e32 v0, v116, v0
	v_and_b32_e32 v1, 0x7f800000, v0
	s_delay_alu instid0(VALU_DEP_1) | instskip(NEXT) | instid1(VALU_DEP_1)
	v_cmp_ne_u32_e64 s0, 0x7f800000, v1
	s_and_saveexec_b32 s7, s0
	s_delay_alu instid0(SALU_CYCLE_1)
	s_xor_b32 s0, exec_lo, s7
; %bb.218:                              ;   in Loop: Header=BB199_31 Depth=1
	v_bfe_u32 v1, v0, 16, 1
	s_delay_alu instid0(VALU_DEP_1)
	v_add3_u32 v165, v0, v1, 0x7fff
                                        ; implicit-def: $vgpr0
; %bb.219:                              ;   in Loop: Header=BB199_31 Depth=1
	s_and_not1_saveexec_b32 s7, s0
; %bb.220:                              ;   in Loop: Header=BB199_31 Depth=1
	v_and_b32_e32 v1, 0xffff, v0
	v_or_b32_e32 v2, 0x10000, v0
	s_delay_alu instid0(VALU_DEP_2) | instskip(NEXT) | instid1(VALU_DEP_1)
	v_cmp_eq_u32_e64 s0, 0, v1
	v_cndmask_b32_e64 v165, v2, v0, s0
; %bb.221:                              ;   in Loop: Header=BB199_31 Depth=1
	s_or_b32 exec_lo, exec_lo, s7
	v_lshlrev_b32_e32 v0, 16, v5
                                        ; implicit-def: $vgpr166
	s_delay_alu instid0(VALU_DEP_1) | instskip(NEXT) | instid1(VALU_DEP_1)
	v_mul_f32_e32 v0, v117, v0
	v_and_b32_e32 v1, 0x7f800000, v0
	s_delay_alu instid0(VALU_DEP_1) | instskip(NEXT) | instid1(VALU_DEP_1)
	v_cmp_ne_u32_e64 s0, 0x7f800000, v1
	s_and_saveexec_b32 s7, s0
	s_delay_alu instid0(SALU_CYCLE_1)
	s_xor_b32 s0, exec_lo, s7
; %bb.222:                              ;   in Loop: Header=BB199_31 Depth=1
	v_bfe_u32 v1, v0, 16, 1
	s_delay_alu instid0(VALU_DEP_1)
	v_add3_u32 v166, v0, v1, 0x7fff
                                        ; implicit-def: $vgpr0
; %bb.223:                              ;   in Loop: Header=BB199_31 Depth=1
	s_and_not1_saveexec_b32 s7, s0
; %bb.224:                              ;   in Loop: Header=BB199_31 Depth=1
	v_and_b32_e32 v1, 0xffff, v0
	v_or_b32_e32 v2, 0x10000, v0
	s_delay_alu instid0(VALU_DEP_2) | instskip(NEXT) | instid1(VALU_DEP_1)
	v_cmp_eq_u32_e64 s0, 0, v1
	v_cndmask_b32_e64 v166, v2, v0, s0
; %bb.225:                              ;   in Loop: Header=BB199_31 Depth=1
	s_or_b32 exec_lo, exec_lo, s7
	v_lshlrev_b32_e32 v0, 16, v3
                                        ; implicit-def: $vgpr167
	s_delay_alu instid0(VALU_DEP_1) | instskip(NEXT) | instid1(VALU_DEP_1)
	v_mul_f32_e32 v0, v118, v0
	v_and_b32_e32 v1, 0x7f800000, v0
	s_delay_alu instid0(VALU_DEP_1) | instskip(NEXT) | instid1(VALU_DEP_1)
	v_cmp_ne_u32_e64 s0, 0x7f800000, v1
	s_and_saveexec_b32 s7, s0
	s_delay_alu instid0(SALU_CYCLE_1)
	s_xor_b32 s0, exec_lo, s7
; %bb.226:                              ;   in Loop: Header=BB199_31 Depth=1
	v_bfe_u32 v1, v0, 16, 1
	s_delay_alu instid0(VALU_DEP_1)
	v_add3_u32 v167, v0, v1, 0x7fff
                                        ; implicit-def: $vgpr0
; %bb.227:                              ;   in Loop: Header=BB199_31 Depth=1
	s_and_not1_saveexec_b32 s7, s0
; %bb.228:                              ;   in Loop: Header=BB199_31 Depth=1
	v_and_b32_e32 v1, 0xffff, v0
	v_or_b32_e32 v2, 0x10000, v0
	s_delay_alu instid0(VALU_DEP_2) | instskip(NEXT) | instid1(VALU_DEP_1)
	v_cmp_eq_u32_e64 s0, 0, v1
	v_cndmask_b32_e64 v167, v2, v0, s0
; %bb.229:                              ;   in Loop: Header=BB199_31 Depth=1
	s_or_b32 exec_lo, exec_lo, s7
	v_lshlrev_b32_e32 v0, 16, v4
                                        ; implicit-def: $vgpr176
	s_delay_alu instid0(VALU_DEP_1) | instskip(NEXT) | instid1(VALU_DEP_1)
	v_mul_f32_e32 v0, v119, v0
	v_and_b32_e32 v1, 0x7f800000, v0
	s_delay_alu instid0(VALU_DEP_1) | instskip(NEXT) | instid1(VALU_DEP_1)
	v_cmp_ne_u32_e64 s0, 0x7f800000, v1
	s_and_saveexec_b32 s7, s0
	s_delay_alu instid0(SALU_CYCLE_1)
	s_xor_b32 s0, exec_lo, s7
; %bb.230:                              ;   in Loop: Header=BB199_31 Depth=1
	v_bfe_u32 v1, v0, 16, 1
	s_delay_alu instid0(VALU_DEP_1)
	v_add3_u32 v176, v0, v1, 0x7fff
                                        ; implicit-def: $vgpr0
; %bb.231:                              ;   in Loop: Header=BB199_31 Depth=1
	s_and_not1_saveexec_b32 s7, s0
; %bb.232:                              ;   in Loop: Header=BB199_31 Depth=1
	v_and_b32_e32 v1, 0xffff, v0
	v_or_b32_e32 v2, 0x10000, v0
	s_delay_alu instid0(VALU_DEP_2) | instskip(NEXT) | instid1(VALU_DEP_1)
	v_cmp_eq_u32_e64 s0, 0, v1
	v_cndmask_b32_e64 v176, v2, v0, s0
; %bb.233:                              ;   in Loop: Header=BB199_31 Depth=1
	s_or_b32 exec_lo, exec_lo, s7
	flat_load_b128 v[0:3], v[6:7] offset:2560
	s_waitcnt vmcnt(0) lgkmcnt(0)
	v_lshrrev_b32_e32 v39, 16, v0
	v_lshrrev_b32_e32 v12, 16, v1
	v_lshrrev_b32_e32 v5, 16, v2
	v_lshrrev_b32_e32 v4, 16, v3
	s_and_saveexec_b32 s7, vcc_lo
	s_cbranch_execz .LBB199_235
; %bb.234:                              ;   in Loop: Header=BB199_31 Depth=1
	v_cmp_lt_i32_e64 s0, v85, v82
	s_delay_alu instid0(VALU_DEP_1) | instskip(SKIP_1) | instid1(VALU_DEP_1)
	v_cndmask_b32_e64 v0, 0, v0, s0
	v_cmp_lt_i32_e64 s0, v100, v82
	v_cndmask_b32_e64 v39, 0, v39, s0
	v_cmp_lt_i32_e64 s0, v98, v82
	s_delay_alu instid0(VALU_DEP_1) | instskip(SKIP_1) | instid1(VALU_DEP_1)
	v_cndmask_b32_e64 v1, 0, v1, s0
	v_cmp_lt_i32_e64 s0, v97, v82
	v_cndmask_b32_e64 v12, 0, v12, s0
	;; [unrolled: 5-line block ×4, first 2 shown]
.LBB199_235:                            ;   in Loop: Header=BB199_31 Depth=1
	s_or_b32 exec_lo, exec_lo, s7
	v_lshlrev_b32_e32 v0, 16, v0
                                        ; implicit-def: $vgpr177
	s_delay_alu instid0(VALU_DEP_1) | instskip(NEXT) | instid1(VALU_DEP_1)
	v_mul_f32_e32 v0, v112, v0
	v_and_b32_e32 v22, 0x7f800000, v0
	s_delay_alu instid0(VALU_DEP_1) | instskip(NEXT) | instid1(VALU_DEP_1)
	v_cmp_ne_u32_e64 s0, 0x7f800000, v22
	s_and_saveexec_b32 s7, s0
	s_delay_alu instid0(SALU_CYCLE_1)
	s_xor_b32 s0, exec_lo, s7
; %bb.236:                              ;   in Loop: Header=BB199_31 Depth=1
	v_bfe_u32 v22, v0, 16, 1
	s_delay_alu instid0(VALU_DEP_1)
	v_add3_u32 v177, v0, v22, 0x7fff
                                        ; implicit-def: $vgpr0
; %bb.237:                              ;   in Loop: Header=BB199_31 Depth=1
	s_and_not1_saveexec_b32 s7, s0
; %bb.238:                              ;   in Loop: Header=BB199_31 Depth=1
	v_and_b32_e32 v22, 0xffff, v0
	v_or_b32_e32 v83, 0x10000, v0
	s_delay_alu instid0(VALU_DEP_2) | instskip(NEXT) | instid1(VALU_DEP_1)
	v_cmp_eq_u32_e64 s0, 0, v22
	v_cndmask_b32_e64 v177, v83, v0, s0
; %bb.239:                              ;   in Loop: Header=BB199_31 Depth=1
	s_or_b32 exec_lo, exec_lo, s7
	v_lshlrev_b32_e32 v0, 16, v39
                                        ; implicit-def: $vgpr178
	s_delay_alu instid0(VALU_DEP_1) | instskip(NEXT) | instid1(VALU_DEP_1)
	v_mul_f32_e32 v0, v113, v0
	v_and_b32_e32 v22, 0x7f800000, v0
	s_delay_alu instid0(VALU_DEP_1) | instskip(NEXT) | instid1(VALU_DEP_1)
	v_cmp_ne_u32_e64 s0, 0x7f800000, v22
	s_and_saveexec_b32 s7, s0
	s_delay_alu instid0(SALU_CYCLE_1)
	s_xor_b32 s0, exec_lo, s7
; %bb.240:                              ;   in Loop: Header=BB199_31 Depth=1
	v_bfe_u32 v22, v0, 16, 1
	s_delay_alu instid0(VALU_DEP_1)
	v_add3_u32 v178, v0, v22, 0x7fff
                                        ; implicit-def: $vgpr0
; %bb.241:                              ;   in Loop: Header=BB199_31 Depth=1
	s_and_not1_saveexec_b32 s7, s0
; %bb.242:                              ;   in Loop: Header=BB199_31 Depth=1
	v_and_b32_e32 v22, 0xffff, v0
	v_or_b32_e32 v39, 0x10000, v0
	s_delay_alu instid0(VALU_DEP_2) | instskip(NEXT) | instid1(VALU_DEP_1)
	v_cmp_eq_u32_e64 s0, 0, v22
	v_cndmask_b32_e64 v178, v39, v0, s0
; %bb.243:                              ;   in Loop: Header=BB199_31 Depth=1
	s_or_b32 exec_lo, exec_lo, s7
	v_lshlrev_b32_e32 v0, 16, v1
                                        ; implicit-def: $vgpr179
	s_delay_alu instid0(VALU_DEP_1) | instskip(NEXT) | instid1(VALU_DEP_1)
	v_mul_f32_e32 v0, v114, v0
	v_and_b32_e32 v1, 0x7f800000, v0
	s_delay_alu instid0(VALU_DEP_1) | instskip(NEXT) | instid1(VALU_DEP_1)
	v_cmp_ne_u32_e64 s0, 0x7f800000, v1
	s_and_saveexec_b32 s7, s0
	s_delay_alu instid0(SALU_CYCLE_1)
	s_xor_b32 s0, exec_lo, s7
; %bb.244:                              ;   in Loop: Header=BB199_31 Depth=1
	v_bfe_u32 v1, v0, 16, 1
	s_delay_alu instid0(VALU_DEP_1)
	v_add3_u32 v179, v0, v1, 0x7fff
                                        ; implicit-def: $vgpr0
; %bb.245:                              ;   in Loop: Header=BB199_31 Depth=1
	s_and_not1_saveexec_b32 s7, s0
; %bb.246:                              ;   in Loop: Header=BB199_31 Depth=1
	v_and_b32_e32 v1, 0xffff, v0
	v_or_b32_e32 v22, 0x10000, v0
	s_delay_alu instid0(VALU_DEP_2) | instskip(NEXT) | instid1(VALU_DEP_1)
	v_cmp_eq_u32_e64 s0, 0, v1
	v_cndmask_b32_e64 v179, v22, v0, s0
; %bb.247:                              ;   in Loop: Header=BB199_31 Depth=1
	s_or_b32 exec_lo, exec_lo, s7
	v_lshlrev_b32_e32 v0, 16, v12
                                        ; implicit-def: $vgpr180
	s_delay_alu instid0(VALU_DEP_1) | instskip(NEXT) | instid1(VALU_DEP_1)
	v_mul_f32_e32 v0, v115, v0
	v_and_b32_e32 v1, 0x7f800000, v0
	s_delay_alu instid0(VALU_DEP_1) | instskip(NEXT) | instid1(VALU_DEP_1)
	v_cmp_ne_u32_e64 s0, 0x7f800000, v1
	s_and_saveexec_b32 s7, s0
	s_delay_alu instid0(SALU_CYCLE_1)
	s_xor_b32 s0, exec_lo, s7
; %bb.248:                              ;   in Loop: Header=BB199_31 Depth=1
	v_bfe_u32 v1, v0, 16, 1
	s_delay_alu instid0(VALU_DEP_1)
	v_add3_u32 v180, v0, v1, 0x7fff
                                        ; implicit-def: $vgpr0
; %bb.249:                              ;   in Loop: Header=BB199_31 Depth=1
	s_and_not1_saveexec_b32 s7, s0
; %bb.250:                              ;   in Loop: Header=BB199_31 Depth=1
	v_and_b32_e32 v1, 0xffff, v0
	v_or_b32_e32 v12, 0x10000, v0
	s_delay_alu instid0(VALU_DEP_2) | instskip(NEXT) | instid1(VALU_DEP_1)
	v_cmp_eq_u32_e64 s0, 0, v1
	v_cndmask_b32_e64 v180, v12, v0, s0
; %bb.251:                              ;   in Loop: Header=BB199_31 Depth=1
	s_or_b32 exec_lo, exec_lo, s7
	v_lshlrev_b32_e32 v0, 16, v2
                                        ; implicit-def: $vgpr181
	s_delay_alu instid0(VALU_DEP_1) | instskip(NEXT) | instid1(VALU_DEP_1)
	v_mul_f32_e32 v0, v116, v0
	v_and_b32_e32 v1, 0x7f800000, v0
	s_delay_alu instid0(VALU_DEP_1) | instskip(NEXT) | instid1(VALU_DEP_1)
	v_cmp_ne_u32_e64 s0, 0x7f800000, v1
	s_and_saveexec_b32 s7, s0
	s_delay_alu instid0(SALU_CYCLE_1)
	s_xor_b32 s0, exec_lo, s7
; %bb.252:                              ;   in Loop: Header=BB199_31 Depth=1
	v_bfe_u32 v1, v0, 16, 1
	s_delay_alu instid0(VALU_DEP_1)
	v_add3_u32 v181, v0, v1, 0x7fff
                                        ; implicit-def: $vgpr0
; %bb.253:                              ;   in Loop: Header=BB199_31 Depth=1
	s_and_not1_saveexec_b32 s7, s0
; %bb.254:                              ;   in Loop: Header=BB199_31 Depth=1
	v_and_b32_e32 v1, 0xffff, v0
	v_or_b32_e32 v2, 0x10000, v0
	s_delay_alu instid0(VALU_DEP_2) | instskip(NEXT) | instid1(VALU_DEP_1)
	v_cmp_eq_u32_e64 s0, 0, v1
	v_cndmask_b32_e64 v181, v2, v0, s0
; %bb.255:                              ;   in Loop: Header=BB199_31 Depth=1
	s_or_b32 exec_lo, exec_lo, s7
	v_lshlrev_b32_e32 v0, 16, v5
                                        ; implicit-def: $vgpr182
	s_delay_alu instid0(VALU_DEP_1) | instskip(NEXT) | instid1(VALU_DEP_1)
	v_mul_f32_e32 v0, v117, v0
	v_and_b32_e32 v1, 0x7f800000, v0
	s_delay_alu instid0(VALU_DEP_1) | instskip(NEXT) | instid1(VALU_DEP_1)
	v_cmp_ne_u32_e64 s0, 0x7f800000, v1
	s_and_saveexec_b32 s7, s0
	s_delay_alu instid0(SALU_CYCLE_1)
	s_xor_b32 s0, exec_lo, s7
; %bb.256:                              ;   in Loop: Header=BB199_31 Depth=1
	v_bfe_u32 v1, v0, 16, 1
	s_delay_alu instid0(VALU_DEP_1)
	v_add3_u32 v182, v0, v1, 0x7fff
                                        ; implicit-def: $vgpr0
; %bb.257:                              ;   in Loop: Header=BB199_31 Depth=1
	s_and_not1_saveexec_b32 s7, s0
; %bb.258:                              ;   in Loop: Header=BB199_31 Depth=1
	v_and_b32_e32 v1, 0xffff, v0
	v_or_b32_e32 v2, 0x10000, v0
	s_delay_alu instid0(VALU_DEP_2) | instskip(NEXT) | instid1(VALU_DEP_1)
	v_cmp_eq_u32_e64 s0, 0, v1
	v_cndmask_b32_e64 v182, v2, v0, s0
; %bb.259:                              ;   in Loop: Header=BB199_31 Depth=1
	s_or_b32 exec_lo, exec_lo, s7
	v_lshlrev_b32_e32 v0, 16, v3
                                        ; implicit-def: $vgpr183
	s_delay_alu instid0(VALU_DEP_1) | instskip(NEXT) | instid1(VALU_DEP_1)
	v_mul_f32_e32 v0, v118, v0
	v_and_b32_e32 v1, 0x7f800000, v0
	s_delay_alu instid0(VALU_DEP_1) | instskip(NEXT) | instid1(VALU_DEP_1)
	v_cmp_ne_u32_e64 s0, 0x7f800000, v1
	s_and_saveexec_b32 s7, s0
	s_delay_alu instid0(SALU_CYCLE_1)
	s_xor_b32 s0, exec_lo, s7
; %bb.260:                              ;   in Loop: Header=BB199_31 Depth=1
	v_bfe_u32 v1, v0, 16, 1
	s_delay_alu instid0(VALU_DEP_1)
	v_add3_u32 v183, v0, v1, 0x7fff
                                        ; implicit-def: $vgpr0
; %bb.261:                              ;   in Loop: Header=BB199_31 Depth=1
	s_and_not1_saveexec_b32 s7, s0
; %bb.262:                              ;   in Loop: Header=BB199_31 Depth=1
	v_and_b32_e32 v1, 0xffff, v0
	v_or_b32_e32 v2, 0x10000, v0
	s_delay_alu instid0(VALU_DEP_2) | instskip(NEXT) | instid1(VALU_DEP_1)
	v_cmp_eq_u32_e64 s0, 0, v1
	v_cndmask_b32_e64 v183, v2, v0, s0
; %bb.263:                              ;   in Loop: Header=BB199_31 Depth=1
	s_or_b32 exec_lo, exec_lo, s7
	v_lshlrev_b32_e32 v0, 16, v4
                                        ; implicit-def: $vgpr40
	s_delay_alu instid0(VALU_DEP_1) | instskip(NEXT) | instid1(VALU_DEP_1)
	v_mul_f32_e32 v0, v119, v0
	v_and_b32_e32 v1, 0x7f800000, v0
	s_delay_alu instid0(VALU_DEP_1) | instskip(NEXT) | instid1(VALU_DEP_1)
	v_cmp_ne_u32_e64 s0, 0x7f800000, v1
	s_and_saveexec_b32 s7, s0
	s_delay_alu instid0(SALU_CYCLE_1)
	s_xor_b32 s0, exec_lo, s7
; %bb.264:                              ;   in Loop: Header=BB199_31 Depth=1
	v_bfe_u32 v1, v0, 16, 1
	s_delay_alu instid0(VALU_DEP_1)
	v_add3_u32 v40, v0, v1, 0x7fff
                                        ; implicit-def: $vgpr0
; %bb.265:                              ;   in Loop: Header=BB199_31 Depth=1
	s_and_not1_saveexec_b32 s7, s0
; %bb.266:                              ;   in Loop: Header=BB199_31 Depth=1
	v_and_b32_e32 v1, 0xffff, v0
	v_or_b32_e32 v2, 0x10000, v0
	s_delay_alu instid0(VALU_DEP_2) | instskip(NEXT) | instid1(VALU_DEP_1)
	v_cmp_eq_u32_e64 s0, 0, v1
	v_cndmask_b32_e64 v40, v2, v0, s0
; %bb.267:                              ;   in Loop: Header=BB199_31 Depth=1
	s_or_b32 exec_lo, exec_lo, s7
	flat_load_b128 v[0:3], v[6:7] offset:3072
	s_waitcnt vmcnt(0) lgkmcnt(0)
	v_lshrrev_b32_e32 v39, 16, v0
	v_lshrrev_b32_e32 v12, 16, v1
	;; [unrolled: 1-line block ×4, first 2 shown]
	s_and_saveexec_b32 s7, vcc_lo
	s_cbranch_execz .LBB199_269
; %bb.268:                              ;   in Loop: Header=BB199_31 Depth=1
	v_cmp_lt_i32_e64 s0, v85, v82
	s_delay_alu instid0(VALU_DEP_1) | instskip(SKIP_1) | instid1(VALU_DEP_1)
	v_cndmask_b32_e64 v0, 0, v0, s0
	v_cmp_lt_i32_e64 s0, v100, v82
	v_cndmask_b32_e64 v39, 0, v39, s0
	v_cmp_lt_i32_e64 s0, v98, v82
	s_delay_alu instid0(VALU_DEP_1) | instskip(SKIP_1) | instid1(VALU_DEP_1)
	v_cndmask_b32_e64 v1, 0, v1, s0
	v_cmp_lt_i32_e64 s0, v97, v82
	v_cndmask_b32_e64 v12, 0, v12, s0
	;; [unrolled: 5-line block ×4, first 2 shown]
.LBB199_269:                            ;   in Loop: Header=BB199_31 Depth=1
	s_or_b32 exec_lo, exec_lo, s7
	v_lshlrev_b32_e32 v0, 16, v0
                                        ; implicit-def: $vgpr41
	s_delay_alu instid0(VALU_DEP_1) | instskip(NEXT) | instid1(VALU_DEP_1)
	v_mul_f32_e32 v0, v112, v0
	v_and_b32_e32 v22, 0x7f800000, v0
	s_delay_alu instid0(VALU_DEP_1) | instskip(NEXT) | instid1(VALU_DEP_1)
	v_cmp_ne_u32_e64 s0, 0x7f800000, v22
	s_and_saveexec_b32 s7, s0
	s_delay_alu instid0(SALU_CYCLE_1)
	s_xor_b32 s0, exec_lo, s7
; %bb.270:                              ;   in Loop: Header=BB199_31 Depth=1
	v_bfe_u32 v22, v0, 16, 1
	s_delay_alu instid0(VALU_DEP_1)
	v_add3_u32 v41, v0, v22, 0x7fff
                                        ; implicit-def: $vgpr0
; %bb.271:                              ;   in Loop: Header=BB199_31 Depth=1
	s_and_not1_saveexec_b32 s7, s0
; %bb.272:                              ;   in Loop: Header=BB199_31 Depth=1
	v_and_b32_e32 v22, 0xffff, v0
	v_or_b32_e32 v83, 0x10000, v0
	s_delay_alu instid0(VALU_DEP_2) | instskip(NEXT) | instid1(VALU_DEP_1)
	v_cmp_eq_u32_e64 s0, 0, v22
	v_cndmask_b32_e64 v41, v83, v0, s0
; %bb.273:                              ;   in Loop: Header=BB199_31 Depth=1
	s_or_b32 exec_lo, exec_lo, s7
	v_lshlrev_b32_e32 v0, 16, v39
                                        ; implicit-def: $vgpr42
	s_delay_alu instid0(VALU_DEP_1) | instskip(NEXT) | instid1(VALU_DEP_1)
	v_mul_f32_e32 v0, v113, v0
	v_and_b32_e32 v22, 0x7f800000, v0
	s_delay_alu instid0(VALU_DEP_1) | instskip(NEXT) | instid1(VALU_DEP_1)
	v_cmp_ne_u32_e64 s0, 0x7f800000, v22
	s_and_saveexec_b32 s7, s0
	s_delay_alu instid0(SALU_CYCLE_1)
	s_xor_b32 s0, exec_lo, s7
; %bb.274:                              ;   in Loop: Header=BB199_31 Depth=1
	v_bfe_u32 v22, v0, 16, 1
	s_delay_alu instid0(VALU_DEP_1)
	v_add3_u32 v42, v0, v22, 0x7fff
                                        ; implicit-def: $vgpr0
; %bb.275:                              ;   in Loop: Header=BB199_31 Depth=1
	s_and_not1_saveexec_b32 s7, s0
; %bb.276:                              ;   in Loop: Header=BB199_31 Depth=1
	v_and_b32_e32 v22, 0xffff, v0
	v_or_b32_e32 v39, 0x10000, v0
	s_delay_alu instid0(VALU_DEP_2) | instskip(NEXT) | instid1(VALU_DEP_1)
	v_cmp_eq_u32_e64 s0, 0, v22
	v_cndmask_b32_e64 v42, v39, v0, s0
; %bb.277:                              ;   in Loop: Header=BB199_31 Depth=1
	s_or_b32 exec_lo, exec_lo, s7
	v_lshlrev_b32_e32 v0, 16, v1
                                        ; implicit-def: $vgpr43
	s_delay_alu instid0(VALU_DEP_1) | instskip(NEXT) | instid1(VALU_DEP_1)
	v_mul_f32_e32 v0, v114, v0
	v_and_b32_e32 v1, 0x7f800000, v0
	s_delay_alu instid0(VALU_DEP_1) | instskip(NEXT) | instid1(VALU_DEP_1)
	v_cmp_ne_u32_e64 s0, 0x7f800000, v1
	s_and_saveexec_b32 s7, s0
	s_delay_alu instid0(SALU_CYCLE_1)
	s_xor_b32 s0, exec_lo, s7
; %bb.278:                              ;   in Loop: Header=BB199_31 Depth=1
	v_bfe_u32 v1, v0, 16, 1
	s_delay_alu instid0(VALU_DEP_1)
	v_add3_u32 v43, v0, v1, 0x7fff
                                        ; implicit-def: $vgpr0
; %bb.279:                              ;   in Loop: Header=BB199_31 Depth=1
	s_and_not1_saveexec_b32 s7, s0
; %bb.280:                              ;   in Loop: Header=BB199_31 Depth=1
	v_and_b32_e32 v1, 0xffff, v0
	v_or_b32_e32 v22, 0x10000, v0
	s_delay_alu instid0(VALU_DEP_2) | instskip(NEXT) | instid1(VALU_DEP_1)
	v_cmp_eq_u32_e64 s0, 0, v1
	v_cndmask_b32_e64 v43, v22, v0, s0
; %bb.281:                              ;   in Loop: Header=BB199_31 Depth=1
	s_or_b32 exec_lo, exec_lo, s7
	v_lshlrev_b32_e32 v0, 16, v12
                                        ; implicit-def: $vgpr44
	s_delay_alu instid0(VALU_DEP_1) | instskip(NEXT) | instid1(VALU_DEP_1)
	v_mul_f32_e32 v0, v115, v0
	v_and_b32_e32 v1, 0x7f800000, v0
	s_delay_alu instid0(VALU_DEP_1) | instskip(NEXT) | instid1(VALU_DEP_1)
	v_cmp_ne_u32_e64 s0, 0x7f800000, v1
	s_and_saveexec_b32 s7, s0
	s_delay_alu instid0(SALU_CYCLE_1)
	s_xor_b32 s0, exec_lo, s7
; %bb.282:                              ;   in Loop: Header=BB199_31 Depth=1
	v_bfe_u32 v1, v0, 16, 1
	s_delay_alu instid0(VALU_DEP_1)
	v_add3_u32 v44, v0, v1, 0x7fff
                                        ; implicit-def: $vgpr0
; %bb.283:                              ;   in Loop: Header=BB199_31 Depth=1
	s_and_not1_saveexec_b32 s7, s0
; %bb.284:                              ;   in Loop: Header=BB199_31 Depth=1
	v_and_b32_e32 v1, 0xffff, v0
	v_or_b32_e32 v12, 0x10000, v0
	s_delay_alu instid0(VALU_DEP_2) | instskip(NEXT) | instid1(VALU_DEP_1)
	v_cmp_eq_u32_e64 s0, 0, v1
	v_cndmask_b32_e64 v44, v12, v0, s0
; %bb.285:                              ;   in Loop: Header=BB199_31 Depth=1
	s_or_b32 exec_lo, exec_lo, s7
	v_lshlrev_b32_e32 v0, 16, v2
                                        ; implicit-def: $vgpr45
	s_delay_alu instid0(VALU_DEP_1) | instskip(NEXT) | instid1(VALU_DEP_1)
	v_mul_f32_e32 v0, v116, v0
	v_and_b32_e32 v1, 0x7f800000, v0
	s_delay_alu instid0(VALU_DEP_1) | instskip(NEXT) | instid1(VALU_DEP_1)
	v_cmp_ne_u32_e64 s0, 0x7f800000, v1
	s_and_saveexec_b32 s7, s0
	s_delay_alu instid0(SALU_CYCLE_1)
	s_xor_b32 s0, exec_lo, s7
; %bb.286:                              ;   in Loop: Header=BB199_31 Depth=1
	v_bfe_u32 v1, v0, 16, 1
	s_delay_alu instid0(VALU_DEP_1)
	v_add3_u32 v45, v0, v1, 0x7fff
                                        ; implicit-def: $vgpr0
; %bb.287:                              ;   in Loop: Header=BB199_31 Depth=1
	s_and_not1_saveexec_b32 s7, s0
; %bb.288:                              ;   in Loop: Header=BB199_31 Depth=1
	v_and_b32_e32 v1, 0xffff, v0
	v_or_b32_e32 v2, 0x10000, v0
	s_delay_alu instid0(VALU_DEP_2) | instskip(NEXT) | instid1(VALU_DEP_1)
	v_cmp_eq_u32_e64 s0, 0, v1
	v_cndmask_b32_e64 v45, v2, v0, s0
; %bb.289:                              ;   in Loop: Header=BB199_31 Depth=1
	s_or_b32 exec_lo, exec_lo, s7
	v_lshlrev_b32_e32 v0, 16, v5
                                        ; implicit-def: $vgpr46
	s_delay_alu instid0(VALU_DEP_1) | instskip(NEXT) | instid1(VALU_DEP_1)
	v_mul_f32_e32 v0, v117, v0
	v_and_b32_e32 v1, 0x7f800000, v0
	s_delay_alu instid0(VALU_DEP_1) | instskip(NEXT) | instid1(VALU_DEP_1)
	v_cmp_ne_u32_e64 s0, 0x7f800000, v1
	s_and_saveexec_b32 s7, s0
	s_delay_alu instid0(SALU_CYCLE_1)
	s_xor_b32 s0, exec_lo, s7
; %bb.290:                              ;   in Loop: Header=BB199_31 Depth=1
	v_bfe_u32 v1, v0, 16, 1
	s_delay_alu instid0(VALU_DEP_1)
	v_add3_u32 v46, v0, v1, 0x7fff
                                        ; implicit-def: $vgpr0
; %bb.291:                              ;   in Loop: Header=BB199_31 Depth=1
	s_and_not1_saveexec_b32 s7, s0
; %bb.292:                              ;   in Loop: Header=BB199_31 Depth=1
	v_and_b32_e32 v1, 0xffff, v0
	v_or_b32_e32 v2, 0x10000, v0
	s_delay_alu instid0(VALU_DEP_2) | instskip(NEXT) | instid1(VALU_DEP_1)
	v_cmp_eq_u32_e64 s0, 0, v1
	v_cndmask_b32_e64 v46, v2, v0, s0
; %bb.293:                              ;   in Loop: Header=BB199_31 Depth=1
	s_or_b32 exec_lo, exec_lo, s7
	v_lshlrev_b32_e32 v0, 16, v3
                                        ; implicit-def: $vgpr47
	s_delay_alu instid0(VALU_DEP_1) | instskip(NEXT) | instid1(VALU_DEP_1)
	v_mul_f32_e32 v0, v118, v0
	v_and_b32_e32 v1, 0x7f800000, v0
	s_delay_alu instid0(VALU_DEP_1) | instskip(NEXT) | instid1(VALU_DEP_1)
	v_cmp_ne_u32_e64 s0, 0x7f800000, v1
	s_and_saveexec_b32 s7, s0
	s_delay_alu instid0(SALU_CYCLE_1)
	s_xor_b32 s0, exec_lo, s7
; %bb.294:                              ;   in Loop: Header=BB199_31 Depth=1
	v_bfe_u32 v1, v0, 16, 1
	s_delay_alu instid0(VALU_DEP_1)
	v_add3_u32 v47, v0, v1, 0x7fff
                                        ; implicit-def: $vgpr0
; %bb.295:                              ;   in Loop: Header=BB199_31 Depth=1
	s_and_not1_saveexec_b32 s7, s0
; %bb.296:                              ;   in Loop: Header=BB199_31 Depth=1
	v_and_b32_e32 v1, 0xffff, v0
	v_or_b32_e32 v2, 0x10000, v0
	s_delay_alu instid0(VALU_DEP_2) | instskip(NEXT) | instid1(VALU_DEP_1)
	v_cmp_eq_u32_e64 s0, 0, v1
	v_cndmask_b32_e64 v47, v2, v0, s0
; %bb.297:                              ;   in Loop: Header=BB199_31 Depth=1
	s_or_b32 exec_lo, exec_lo, s7
	v_lshlrev_b32_e32 v0, 16, v4
                                        ; implicit-def: $vgpr56
	s_delay_alu instid0(VALU_DEP_1) | instskip(NEXT) | instid1(VALU_DEP_1)
	v_mul_f32_e32 v0, v119, v0
	v_and_b32_e32 v1, 0x7f800000, v0
	s_delay_alu instid0(VALU_DEP_1) | instskip(NEXT) | instid1(VALU_DEP_1)
	v_cmp_ne_u32_e64 s0, 0x7f800000, v1
	s_and_saveexec_b32 s7, s0
	s_delay_alu instid0(SALU_CYCLE_1)
	s_xor_b32 s0, exec_lo, s7
; %bb.298:                              ;   in Loop: Header=BB199_31 Depth=1
	v_bfe_u32 v1, v0, 16, 1
	s_delay_alu instid0(VALU_DEP_1)
	v_add3_u32 v56, v0, v1, 0x7fff
                                        ; implicit-def: $vgpr0
; %bb.299:                              ;   in Loop: Header=BB199_31 Depth=1
	s_and_not1_saveexec_b32 s7, s0
; %bb.300:                              ;   in Loop: Header=BB199_31 Depth=1
	v_and_b32_e32 v1, 0xffff, v0
	v_or_b32_e32 v2, 0x10000, v0
	s_delay_alu instid0(VALU_DEP_2) | instskip(NEXT) | instid1(VALU_DEP_1)
	v_cmp_eq_u32_e64 s0, 0, v1
	v_cndmask_b32_e64 v56, v2, v0, s0
; %bb.301:                              ;   in Loop: Header=BB199_31 Depth=1
	s_or_b32 exec_lo, exec_lo, s7
	flat_load_b128 v[0:3], v[6:7] offset:3584
	s_waitcnt vmcnt(0) lgkmcnt(0)
	v_lshrrev_b32_e32 v7, 16, v0
	v_lshrrev_b32_e32 v12, 16, v1
	v_lshrrev_b32_e32 v5, 16, v2
	v_lshrrev_b32_e32 v4, 16, v3
	s_and_saveexec_b32 s7, vcc_lo
	s_cbranch_execz .LBB199_303
; %bb.302:                              ;   in Loop: Header=BB199_31 Depth=1
	v_cmp_lt_i32_e64 s0, v85, v82
	s_delay_alu instid0(VALU_DEP_1) | instskip(SKIP_1) | instid1(VALU_DEP_1)
	v_cndmask_b32_e64 v0, 0, v0, s0
	v_cmp_lt_i32_e64 s0, v100, v82
	v_cndmask_b32_e64 v7, 0, v7, s0
	v_cmp_lt_i32_e64 s0, v98, v82
	s_delay_alu instid0(VALU_DEP_1) | instskip(SKIP_1) | instid1(VALU_DEP_1)
	v_cndmask_b32_e64 v1, 0, v1, s0
	v_cmp_lt_i32_e64 s0, v97, v82
	v_cndmask_b32_e64 v12, 0, v12, s0
	;; [unrolled: 5-line block ×4, first 2 shown]
.LBB199_303:                            ;   in Loop: Header=BB199_31 Depth=1
	s_or_b32 exec_lo, exec_lo, s7
	v_lshlrev_b32_e32 v0, 16, v0
	s_delay_alu instid0(VALU_DEP_1) | instskip(NEXT) | instid1(VALU_DEP_1)
	v_mul_f32_e32 v0, v112, v0
	v_and_b32_e32 v6, 0x7f800000, v0
	s_delay_alu instid0(VALU_DEP_1) | instskip(NEXT) | instid1(VALU_DEP_1)
	v_cmp_ne_u32_e64 s0, 0x7f800000, v6
                                        ; implicit-def: $vgpr6
	s_and_saveexec_b32 s7, s0
	s_delay_alu instid0(SALU_CYCLE_1)
	s_xor_b32 s0, exec_lo, s7
; %bb.304:                              ;   in Loop: Header=BB199_31 Depth=1
	v_bfe_u32 v6, v0, 16, 1
	s_delay_alu instid0(VALU_DEP_1)
	v_add3_u32 v6, v0, v6, 0x7fff
                                        ; implicit-def: $vgpr0
; %bb.305:                              ;   in Loop: Header=BB199_31 Depth=1
	s_and_not1_saveexec_b32 s7, s0
; %bb.306:                              ;   in Loop: Header=BB199_31 Depth=1
	v_and_b32_e32 v6, 0xffff, v0
	v_or_b32_e32 v22, 0x10000, v0
	s_delay_alu instid0(VALU_DEP_2) | instskip(NEXT) | instid1(VALU_DEP_1)
	v_cmp_eq_u32_e64 s0, 0, v6
	v_cndmask_b32_e64 v6, v22, v0, s0
; %bb.307:                              ;   in Loop: Header=BB199_31 Depth=1
	s_or_b32 exec_lo, exec_lo, s7
	v_lshlrev_b32_e32 v0, 16, v7
	s_delay_alu instid0(VALU_DEP_1) | instskip(NEXT) | instid1(VALU_DEP_1)
	v_mul_f32_e32 v0, v113, v0
	v_and_b32_e32 v7, 0x7f800000, v0
	s_delay_alu instid0(VALU_DEP_1) | instskip(NEXT) | instid1(VALU_DEP_1)
	v_cmp_ne_u32_e64 s0, 0x7f800000, v7
                                        ; implicit-def: $vgpr7
	s_and_saveexec_b32 s7, s0
	s_delay_alu instid0(SALU_CYCLE_1)
	s_xor_b32 s0, exec_lo, s7
; %bb.308:                              ;   in Loop: Header=BB199_31 Depth=1
	v_bfe_u32 v7, v0, 16, 1
	s_delay_alu instid0(VALU_DEP_1)
	v_add3_u32 v7, v0, v7, 0x7fff
                                        ; implicit-def: $vgpr0
; %bb.309:                              ;   in Loop: Header=BB199_31 Depth=1
	s_and_not1_saveexec_b32 s7, s0
; %bb.310:                              ;   in Loop: Header=BB199_31 Depth=1
	v_and_b32_e32 v7, 0xffff, v0
	v_or_b32_e32 v22, 0x10000, v0
	s_delay_alu instid0(VALU_DEP_2) | instskip(NEXT) | instid1(VALU_DEP_1)
	v_cmp_eq_u32_e64 s0, 0, v7
	v_cndmask_b32_e64 v7, v22, v0, s0
; %bb.311:                              ;   in Loop: Header=BB199_31 Depth=1
	s_or_b32 exec_lo, exec_lo, s7
	v_lshlrev_b32_e32 v0, 16, v1
                                        ; implicit-def: $vgpr57
	s_delay_alu instid0(VALU_DEP_1) | instskip(NEXT) | instid1(VALU_DEP_1)
	v_mul_f32_e32 v0, v114, v0
	v_and_b32_e32 v1, 0x7f800000, v0
	s_delay_alu instid0(VALU_DEP_1) | instskip(NEXT) | instid1(VALU_DEP_1)
	v_cmp_ne_u32_e64 s0, 0x7f800000, v1
	s_and_saveexec_b32 s7, s0
	s_delay_alu instid0(SALU_CYCLE_1)
	s_xor_b32 s0, exec_lo, s7
; %bb.312:                              ;   in Loop: Header=BB199_31 Depth=1
	v_bfe_u32 v1, v0, 16, 1
	s_delay_alu instid0(VALU_DEP_1)
	v_add3_u32 v57, v0, v1, 0x7fff
                                        ; implicit-def: $vgpr0
; %bb.313:                              ;   in Loop: Header=BB199_31 Depth=1
	s_and_not1_saveexec_b32 s7, s0
; %bb.314:                              ;   in Loop: Header=BB199_31 Depth=1
	v_and_b32_e32 v1, 0xffff, v0
	v_or_b32_e32 v22, 0x10000, v0
	s_delay_alu instid0(VALU_DEP_2) | instskip(NEXT) | instid1(VALU_DEP_1)
	v_cmp_eq_u32_e64 s0, 0, v1
	v_cndmask_b32_e64 v57, v22, v0, s0
; %bb.315:                              ;   in Loop: Header=BB199_31 Depth=1
	s_or_b32 exec_lo, exec_lo, s7
	v_lshlrev_b32_e32 v0, 16, v12
                                        ; implicit-def: $vgpr58
	s_delay_alu instid0(VALU_DEP_1) | instskip(NEXT) | instid1(VALU_DEP_1)
	v_mul_f32_e32 v0, v115, v0
	v_and_b32_e32 v1, 0x7f800000, v0
	s_delay_alu instid0(VALU_DEP_1) | instskip(NEXT) | instid1(VALU_DEP_1)
	v_cmp_ne_u32_e64 s0, 0x7f800000, v1
	s_and_saveexec_b32 s7, s0
	s_delay_alu instid0(SALU_CYCLE_1)
	s_xor_b32 s0, exec_lo, s7
; %bb.316:                              ;   in Loop: Header=BB199_31 Depth=1
	v_bfe_u32 v1, v0, 16, 1
	s_delay_alu instid0(VALU_DEP_1)
	v_add3_u32 v58, v0, v1, 0x7fff
                                        ; implicit-def: $vgpr0
; %bb.317:                              ;   in Loop: Header=BB199_31 Depth=1
	s_and_not1_saveexec_b32 s7, s0
; %bb.318:                              ;   in Loop: Header=BB199_31 Depth=1
	v_and_b32_e32 v1, 0xffff, v0
	v_or_b32_e32 v12, 0x10000, v0
	s_delay_alu instid0(VALU_DEP_2) | instskip(NEXT) | instid1(VALU_DEP_1)
	v_cmp_eq_u32_e64 s0, 0, v1
	v_cndmask_b32_e64 v58, v12, v0, s0
; %bb.319:                              ;   in Loop: Header=BB199_31 Depth=1
	s_or_b32 exec_lo, exec_lo, s7
	v_lshlrev_b32_e32 v0, 16, v2
                                        ; implicit-def: $vgpr59
	s_delay_alu instid0(VALU_DEP_1) | instskip(NEXT) | instid1(VALU_DEP_1)
	v_mul_f32_e32 v0, v116, v0
	v_and_b32_e32 v1, 0x7f800000, v0
	s_delay_alu instid0(VALU_DEP_1) | instskip(NEXT) | instid1(VALU_DEP_1)
	v_cmp_ne_u32_e64 s0, 0x7f800000, v1
	s_and_saveexec_b32 s7, s0
	s_delay_alu instid0(SALU_CYCLE_1)
	s_xor_b32 s0, exec_lo, s7
; %bb.320:                              ;   in Loop: Header=BB199_31 Depth=1
	v_bfe_u32 v1, v0, 16, 1
	s_delay_alu instid0(VALU_DEP_1)
	v_add3_u32 v59, v0, v1, 0x7fff
                                        ; implicit-def: $vgpr0
; %bb.321:                              ;   in Loop: Header=BB199_31 Depth=1
	s_and_not1_saveexec_b32 s7, s0
; %bb.322:                              ;   in Loop: Header=BB199_31 Depth=1
	v_and_b32_e32 v1, 0xffff, v0
	v_or_b32_e32 v2, 0x10000, v0
	s_delay_alu instid0(VALU_DEP_2) | instskip(NEXT) | instid1(VALU_DEP_1)
	v_cmp_eq_u32_e64 s0, 0, v1
	v_cndmask_b32_e64 v59, v2, v0, s0
; %bb.323:                              ;   in Loop: Header=BB199_31 Depth=1
	s_or_b32 exec_lo, exec_lo, s7
	v_lshlrev_b32_e32 v0, 16, v5
                                        ; implicit-def: $vgpr60
	s_delay_alu instid0(VALU_DEP_1) | instskip(NEXT) | instid1(VALU_DEP_1)
	v_mul_f32_e32 v0, v117, v0
	v_and_b32_e32 v1, 0x7f800000, v0
	s_delay_alu instid0(VALU_DEP_1) | instskip(NEXT) | instid1(VALU_DEP_1)
	v_cmp_ne_u32_e64 s0, 0x7f800000, v1
	s_and_saveexec_b32 s7, s0
	s_delay_alu instid0(SALU_CYCLE_1)
	s_xor_b32 s0, exec_lo, s7
; %bb.324:                              ;   in Loop: Header=BB199_31 Depth=1
	v_bfe_u32 v1, v0, 16, 1
	s_delay_alu instid0(VALU_DEP_1)
	v_add3_u32 v60, v0, v1, 0x7fff
                                        ; implicit-def: $vgpr0
; %bb.325:                              ;   in Loop: Header=BB199_31 Depth=1
	s_and_not1_saveexec_b32 s7, s0
; %bb.326:                              ;   in Loop: Header=BB199_31 Depth=1
	v_and_b32_e32 v1, 0xffff, v0
	v_or_b32_e32 v2, 0x10000, v0
	s_delay_alu instid0(VALU_DEP_2) | instskip(NEXT) | instid1(VALU_DEP_1)
	v_cmp_eq_u32_e64 s0, 0, v1
	v_cndmask_b32_e64 v60, v2, v0, s0
; %bb.327:                              ;   in Loop: Header=BB199_31 Depth=1
	s_or_b32 exec_lo, exec_lo, s7
	v_lshlrev_b32_e32 v0, 16, v3
                                        ; implicit-def: $vgpr61
	s_delay_alu instid0(VALU_DEP_1) | instskip(NEXT) | instid1(VALU_DEP_1)
	v_mul_f32_e32 v0, v118, v0
	v_and_b32_e32 v1, 0x7f800000, v0
	s_delay_alu instid0(VALU_DEP_1) | instskip(NEXT) | instid1(VALU_DEP_1)
	v_cmp_ne_u32_e64 s0, 0x7f800000, v1
	s_and_saveexec_b32 s7, s0
	s_delay_alu instid0(SALU_CYCLE_1)
	s_xor_b32 s0, exec_lo, s7
; %bb.328:                              ;   in Loop: Header=BB199_31 Depth=1
	v_bfe_u32 v1, v0, 16, 1
	s_delay_alu instid0(VALU_DEP_1)
	v_add3_u32 v61, v0, v1, 0x7fff
                                        ; implicit-def: $vgpr0
; %bb.329:                              ;   in Loop: Header=BB199_31 Depth=1
	s_and_not1_saveexec_b32 s7, s0
; %bb.330:                              ;   in Loop: Header=BB199_31 Depth=1
	v_and_b32_e32 v1, 0xffff, v0
	v_or_b32_e32 v2, 0x10000, v0
	s_delay_alu instid0(VALU_DEP_2) | instskip(NEXT) | instid1(VALU_DEP_1)
	v_cmp_eq_u32_e64 s0, 0, v1
	v_cndmask_b32_e64 v61, v2, v0, s0
; %bb.331:                              ;   in Loop: Header=BB199_31 Depth=1
	s_or_b32 exec_lo, exec_lo, s7
	v_lshlrev_b32_e32 v0, 16, v4
                                        ; implicit-def: $vgpr62
	s_delay_alu instid0(VALU_DEP_1) | instskip(NEXT) | instid1(VALU_DEP_1)
	v_mul_f32_e32 v0, v119, v0
	v_and_b32_e32 v1, 0x7f800000, v0
	s_delay_alu instid0(VALU_DEP_1) | instskip(NEXT) | instid1(VALU_DEP_1)
	v_cmp_ne_u32_e64 s0, 0x7f800000, v1
	s_and_saveexec_b32 s7, s0
	s_delay_alu instid0(SALU_CYCLE_1)
	s_xor_b32 s0, exec_lo, s7
; %bb.332:                              ;   in Loop: Header=BB199_31 Depth=1
	v_bfe_u32 v1, v0, 16, 1
	s_delay_alu instid0(VALU_DEP_1)
	v_add3_u32 v62, v0, v1, 0x7fff
                                        ; implicit-def: $vgpr0
; %bb.333:                              ;   in Loop: Header=BB199_31 Depth=1
	s_and_not1_saveexec_b32 s7, s0
; %bb.334:                              ;   in Loop: Header=BB199_31 Depth=1
	v_and_b32_e32 v1, 0xffff, v0
	v_or_b32_e32 v2, 0x10000, v0
	s_delay_alu instid0(VALU_DEP_2) | instskip(NEXT) | instid1(VALU_DEP_1)
	v_cmp_eq_u32_e64 s0, 0, v1
	v_cndmask_b32_e64 v62, v2, v0, s0
; %bb.335:                              ;   in Loop: Header=BB199_31 Depth=1
	s_or_b32 exec_lo, exec_lo, s7
	v_add_co_u32 v0, s0, v101, v48
	s_delay_alu instid0(VALU_DEP_1)
	v_add_co_ci_u32_e64 v1, s0, 0, v102, s0
	flat_load_b128 v[0:3], v[0:1]
	s_waitcnt vmcnt(0) lgkmcnt(0)
	v_lshrrev_b32_e32 v39, 16, v0
	v_lshrrev_b32_e32 v12, 16, v1
	;; [unrolled: 1-line block ×4, first 2 shown]
	s_and_saveexec_b32 s7, vcc_lo
	s_cbranch_execz .LBB199_337
; %bb.336:                              ;   in Loop: Header=BB199_31 Depth=1
	v_cmp_lt_i32_e64 s0, v85, v82
	s_delay_alu instid0(VALU_DEP_1) | instskip(SKIP_1) | instid1(VALU_DEP_1)
	v_cndmask_b32_e64 v0, 0, v0, s0
	v_cmp_lt_i32_e64 s0, v100, v82
	v_cndmask_b32_e64 v39, 0, v39, s0
	v_cmp_lt_i32_e64 s0, v98, v82
	s_delay_alu instid0(VALU_DEP_1) | instskip(SKIP_1) | instid1(VALU_DEP_1)
	v_cndmask_b32_e64 v1, 0, v1, s0
	v_cmp_lt_i32_e64 s0, v97, v82
	v_cndmask_b32_e64 v12, 0, v12, s0
	;; [unrolled: 5-line block ×4, first 2 shown]
.LBB199_337:                            ;   in Loop: Header=BB199_31 Depth=1
	s_or_b32 exec_lo, exec_lo, s7
	v_lshlrev_b32_e32 v0, 16, v0
                                        ; implicit-def: $vgpr63
	s_delay_alu instid0(VALU_DEP_1) | instskip(NEXT) | instid1(VALU_DEP_1)
	v_mul_f32_e32 v0, v112, v0
	v_and_b32_e32 v22, 0x7f800000, v0
	s_delay_alu instid0(VALU_DEP_1) | instskip(NEXT) | instid1(VALU_DEP_1)
	v_cmp_ne_u32_e64 s0, 0x7f800000, v22
	s_and_saveexec_b32 s7, s0
	s_delay_alu instid0(SALU_CYCLE_1)
	s_xor_b32 s0, exec_lo, s7
; %bb.338:                              ;   in Loop: Header=BB199_31 Depth=1
	v_bfe_u32 v22, v0, 16, 1
	s_delay_alu instid0(VALU_DEP_1)
	v_add3_u32 v63, v0, v22, 0x7fff
                                        ; implicit-def: $vgpr0
; %bb.339:                              ;   in Loop: Header=BB199_31 Depth=1
	s_and_not1_saveexec_b32 s7, s0
; %bb.340:                              ;   in Loop: Header=BB199_31 Depth=1
	v_and_b32_e32 v22, 0xffff, v0
	v_or_b32_e32 v83, 0x10000, v0
	s_delay_alu instid0(VALU_DEP_2) | instskip(NEXT) | instid1(VALU_DEP_1)
	v_cmp_eq_u32_e64 s0, 0, v22
	v_cndmask_b32_e64 v63, v83, v0, s0
; %bb.341:                              ;   in Loop: Header=BB199_31 Depth=1
	s_or_b32 exec_lo, exec_lo, s7
	v_lshlrev_b32_e32 v0, 16, v39
                                        ; implicit-def: $vgpr72
	s_delay_alu instid0(VALU_DEP_1) | instskip(NEXT) | instid1(VALU_DEP_1)
	v_mul_f32_e32 v0, v113, v0
	v_and_b32_e32 v22, 0x7f800000, v0
	s_delay_alu instid0(VALU_DEP_1) | instskip(NEXT) | instid1(VALU_DEP_1)
	v_cmp_ne_u32_e64 s0, 0x7f800000, v22
	s_and_saveexec_b32 s7, s0
	s_delay_alu instid0(SALU_CYCLE_1)
	s_xor_b32 s0, exec_lo, s7
; %bb.342:                              ;   in Loop: Header=BB199_31 Depth=1
	v_bfe_u32 v22, v0, 16, 1
	s_delay_alu instid0(VALU_DEP_1)
	v_add3_u32 v72, v0, v22, 0x7fff
                                        ; implicit-def: $vgpr0
; %bb.343:                              ;   in Loop: Header=BB199_31 Depth=1
	s_and_not1_saveexec_b32 s7, s0
; %bb.344:                              ;   in Loop: Header=BB199_31 Depth=1
	v_and_b32_e32 v22, 0xffff, v0
	v_or_b32_e32 v39, 0x10000, v0
	s_delay_alu instid0(VALU_DEP_2) | instskip(NEXT) | instid1(VALU_DEP_1)
	v_cmp_eq_u32_e64 s0, 0, v22
	v_cndmask_b32_e64 v72, v39, v0, s0
; %bb.345:                              ;   in Loop: Header=BB199_31 Depth=1
	s_or_b32 exec_lo, exec_lo, s7
	v_lshlrev_b32_e32 v0, 16, v1
                                        ; implicit-def: $vgpr73
	s_delay_alu instid0(VALU_DEP_1) | instskip(NEXT) | instid1(VALU_DEP_1)
	v_mul_f32_e32 v0, v114, v0
	v_and_b32_e32 v1, 0x7f800000, v0
	s_delay_alu instid0(VALU_DEP_1) | instskip(NEXT) | instid1(VALU_DEP_1)
	v_cmp_ne_u32_e64 s0, 0x7f800000, v1
	s_and_saveexec_b32 s7, s0
	s_delay_alu instid0(SALU_CYCLE_1)
	s_xor_b32 s0, exec_lo, s7
; %bb.346:                              ;   in Loop: Header=BB199_31 Depth=1
	v_bfe_u32 v1, v0, 16, 1
	s_delay_alu instid0(VALU_DEP_1)
	v_add3_u32 v73, v0, v1, 0x7fff
                                        ; implicit-def: $vgpr0
; %bb.347:                              ;   in Loop: Header=BB199_31 Depth=1
	s_and_not1_saveexec_b32 s7, s0
; %bb.348:                              ;   in Loop: Header=BB199_31 Depth=1
	v_and_b32_e32 v1, 0xffff, v0
	v_or_b32_e32 v22, 0x10000, v0
	s_delay_alu instid0(VALU_DEP_2) | instskip(NEXT) | instid1(VALU_DEP_1)
	v_cmp_eq_u32_e64 s0, 0, v1
	v_cndmask_b32_e64 v73, v22, v0, s0
; %bb.349:                              ;   in Loop: Header=BB199_31 Depth=1
	s_or_b32 exec_lo, exec_lo, s7
	v_lshlrev_b32_e32 v0, 16, v12
                                        ; implicit-def: $vgpr74
	s_delay_alu instid0(VALU_DEP_1) | instskip(NEXT) | instid1(VALU_DEP_1)
	v_mul_f32_e32 v0, v115, v0
	v_and_b32_e32 v1, 0x7f800000, v0
	s_delay_alu instid0(VALU_DEP_1) | instskip(NEXT) | instid1(VALU_DEP_1)
	v_cmp_ne_u32_e64 s0, 0x7f800000, v1
	s_and_saveexec_b32 s7, s0
	s_delay_alu instid0(SALU_CYCLE_1)
	s_xor_b32 s0, exec_lo, s7
; %bb.350:                              ;   in Loop: Header=BB199_31 Depth=1
	v_bfe_u32 v1, v0, 16, 1
	s_delay_alu instid0(VALU_DEP_1)
	v_add3_u32 v74, v0, v1, 0x7fff
                                        ; implicit-def: $vgpr0
; %bb.351:                              ;   in Loop: Header=BB199_31 Depth=1
	s_and_not1_saveexec_b32 s7, s0
; %bb.352:                              ;   in Loop: Header=BB199_31 Depth=1
	v_and_b32_e32 v1, 0xffff, v0
	v_or_b32_e32 v12, 0x10000, v0
	s_delay_alu instid0(VALU_DEP_2) | instskip(NEXT) | instid1(VALU_DEP_1)
	v_cmp_eq_u32_e64 s0, 0, v1
	v_cndmask_b32_e64 v74, v12, v0, s0
; %bb.353:                              ;   in Loop: Header=BB199_31 Depth=1
	s_or_b32 exec_lo, exec_lo, s7
	v_lshlrev_b32_e32 v0, 16, v2
                                        ; implicit-def: $vgpr75
	s_delay_alu instid0(VALU_DEP_1) | instskip(NEXT) | instid1(VALU_DEP_1)
	v_mul_f32_e32 v0, v116, v0
	v_and_b32_e32 v1, 0x7f800000, v0
	s_delay_alu instid0(VALU_DEP_1) | instskip(NEXT) | instid1(VALU_DEP_1)
	v_cmp_ne_u32_e64 s0, 0x7f800000, v1
	s_and_saveexec_b32 s7, s0
	s_delay_alu instid0(SALU_CYCLE_1)
	s_xor_b32 s0, exec_lo, s7
; %bb.354:                              ;   in Loop: Header=BB199_31 Depth=1
	v_bfe_u32 v1, v0, 16, 1
	s_delay_alu instid0(VALU_DEP_1)
	v_add3_u32 v75, v0, v1, 0x7fff
                                        ; implicit-def: $vgpr0
; %bb.355:                              ;   in Loop: Header=BB199_31 Depth=1
	s_and_not1_saveexec_b32 s7, s0
; %bb.356:                              ;   in Loop: Header=BB199_31 Depth=1
	v_and_b32_e32 v1, 0xffff, v0
	v_or_b32_e32 v2, 0x10000, v0
	s_delay_alu instid0(VALU_DEP_2) | instskip(NEXT) | instid1(VALU_DEP_1)
	v_cmp_eq_u32_e64 s0, 0, v1
	v_cndmask_b32_e64 v75, v2, v0, s0
; %bb.357:                              ;   in Loop: Header=BB199_31 Depth=1
	s_or_b32 exec_lo, exec_lo, s7
	v_lshlrev_b32_e32 v0, 16, v5
                                        ; implicit-def: $vgpr76
	s_delay_alu instid0(VALU_DEP_1) | instskip(NEXT) | instid1(VALU_DEP_1)
	v_mul_f32_e32 v0, v117, v0
	v_and_b32_e32 v1, 0x7f800000, v0
	s_delay_alu instid0(VALU_DEP_1) | instskip(NEXT) | instid1(VALU_DEP_1)
	v_cmp_ne_u32_e64 s0, 0x7f800000, v1
	s_and_saveexec_b32 s7, s0
	s_delay_alu instid0(SALU_CYCLE_1)
	s_xor_b32 s0, exec_lo, s7
; %bb.358:                              ;   in Loop: Header=BB199_31 Depth=1
	v_bfe_u32 v1, v0, 16, 1
	s_delay_alu instid0(VALU_DEP_1)
	v_add3_u32 v76, v0, v1, 0x7fff
                                        ; implicit-def: $vgpr0
; %bb.359:                              ;   in Loop: Header=BB199_31 Depth=1
	s_and_not1_saveexec_b32 s7, s0
; %bb.360:                              ;   in Loop: Header=BB199_31 Depth=1
	v_and_b32_e32 v1, 0xffff, v0
	v_or_b32_e32 v2, 0x10000, v0
	s_delay_alu instid0(VALU_DEP_2) | instskip(NEXT) | instid1(VALU_DEP_1)
	v_cmp_eq_u32_e64 s0, 0, v1
	v_cndmask_b32_e64 v76, v2, v0, s0
; %bb.361:                              ;   in Loop: Header=BB199_31 Depth=1
	s_or_b32 exec_lo, exec_lo, s7
	v_lshlrev_b32_e32 v0, 16, v3
                                        ; implicit-def: $vgpr77
	s_delay_alu instid0(VALU_DEP_1) | instskip(NEXT) | instid1(VALU_DEP_1)
	v_mul_f32_e32 v0, v118, v0
	v_and_b32_e32 v1, 0x7f800000, v0
	s_delay_alu instid0(VALU_DEP_1) | instskip(NEXT) | instid1(VALU_DEP_1)
	v_cmp_ne_u32_e64 s0, 0x7f800000, v1
	s_and_saveexec_b32 s7, s0
	s_delay_alu instid0(SALU_CYCLE_1)
	s_xor_b32 s0, exec_lo, s7
; %bb.362:                              ;   in Loop: Header=BB199_31 Depth=1
	v_bfe_u32 v1, v0, 16, 1
	s_delay_alu instid0(VALU_DEP_1)
	v_add3_u32 v77, v0, v1, 0x7fff
                                        ; implicit-def: $vgpr0
; %bb.363:                              ;   in Loop: Header=BB199_31 Depth=1
	s_and_not1_saveexec_b32 s7, s0
; %bb.364:                              ;   in Loop: Header=BB199_31 Depth=1
	v_and_b32_e32 v1, 0xffff, v0
	v_or_b32_e32 v2, 0x10000, v0
	s_delay_alu instid0(VALU_DEP_2) | instskip(NEXT) | instid1(VALU_DEP_1)
	v_cmp_eq_u32_e64 s0, 0, v1
	v_cndmask_b32_e64 v77, v2, v0, s0
; %bb.365:                              ;   in Loop: Header=BB199_31 Depth=1
	s_or_b32 exec_lo, exec_lo, s7
	v_lshlrev_b32_e32 v0, 16, v4
                                        ; implicit-def: $vgpr78
	s_delay_alu instid0(VALU_DEP_1) | instskip(NEXT) | instid1(VALU_DEP_1)
	v_mul_f32_e32 v0, v119, v0
	v_and_b32_e32 v1, 0x7f800000, v0
	s_delay_alu instid0(VALU_DEP_1) | instskip(NEXT) | instid1(VALU_DEP_1)
	v_cmp_ne_u32_e64 s0, 0x7f800000, v1
	s_and_saveexec_b32 s7, s0
	s_delay_alu instid0(SALU_CYCLE_1)
	s_xor_b32 s0, exec_lo, s7
; %bb.366:                              ;   in Loop: Header=BB199_31 Depth=1
	v_bfe_u32 v1, v0, 16, 1
	s_delay_alu instid0(VALU_DEP_1)
	v_add3_u32 v78, v0, v1, 0x7fff
                                        ; implicit-def: $vgpr0
; %bb.367:                              ;   in Loop: Header=BB199_31 Depth=1
	s_and_not1_saveexec_b32 s7, s0
; %bb.368:                              ;   in Loop: Header=BB199_31 Depth=1
	v_and_b32_e32 v1, 0xffff, v0
	v_or_b32_e32 v2, 0x10000, v0
	s_delay_alu instid0(VALU_DEP_2) | instskip(NEXT) | instid1(VALU_DEP_1)
	v_cmp_eq_u32_e64 s0, 0, v1
	v_cndmask_b32_e64 v78, v2, v0, s0
; %bb.369:                              ;   in Loop: Header=BB199_31 Depth=1
	s_or_b32 exec_lo, exec_lo, s7
	v_add_co_u32 v0, s0, v101, v49
	s_delay_alu instid0(VALU_DEP_1)
	v_add_co_ci_u32_e64 v1, s0, 0, v102, s0
	flat_load_b128 v[0:3], v[0:1]
	s_waitcnt vmcnt(0) lgkmcnt(0)
	v_lshrrev_b32_e32 v39, 16, v0
	v_lshrrev_b32_e32 v12, 16, v1
	;; [unrolled: 1-line block ×4, first 2 shown]
	s_and_saveexec_b32 s7, vcc_lo
	s_cbranch_execz .LBB199_371
; %bb.370:                              ;   in Loop: Header=BB199_31 Depth=1
	v_cmp_lt_i32_e64 s0, v85, v82
	s_delay_alu instid0(VALU_DEP_1) | instskip(SKIP_1) | instid1(VALU_DEP_1)
	v_cndmask_b32_e64 v0, 0, v0, s0
	v_cmp_lt_i32_e64 s0, v100, v82
	v_cndmask_b32_e64 v39, 0, v39, s0
	v_cmp_lt_i32_e64 s0, v98, v82
	s_delay_alu instid0(VALU_DEP_1) | instskip(SKIP_1) | instid1(VALU_DEP_1)
	v_cndmask_b32_e64 v1, 0, v1, s0
	v_cmp_lt_i32_e64 s0, v97, v82
	v_cndmask_b32_e64 v12, 0, v12, s0
	;; [unrolled: 5-line block ×4, first 2 shown]
.LBB199_371:                            ;   in Loop: Header=BB199_31 Depth=1
	s_or_b32 exec_lo, exec_lo, s7
	v_lshlrev_b32_e32 v0, 16, v0
                                        ; implicit-def: $vgpr79
	s_delay_alu instid0(VALU_DEP_1) | instskip(NEXT) | instid1(VALU_DEP_1)
	v_mul_f32_e32 v0, v112, v0
	v_and_b32_e32 v22, 0x7f800000, v0
	s_delay_alu instid0(VALU_DEP_1) | instskip(NEXT) | instid1(VALU_DEP_1)
	v_cmp_ne_u32_e64 s0, 0x7f800000, v22
	s_and_saveexec_b32 s7, s0
	s_delay_alu instid0(SALU_CYCLE_1)
	s_xor_b32 s0, exec_lo, s7
; %bb.372:                              ;   in Loop: Header=BB199_31 Depth=1
	v_bfe_u32 v22, v0, 16, 1
	s_delay_alu instid0(VALU_DEP_1)
	v_add3_u32 v79, v0, v22, 0x7fff
                                        ; implicit-def: $vgpr0
; %bb.373:                              ;   in Loop: Header=BB199_31 Depth=1
	s_and_not1_saveexec_b32 s7, s0
; %bb.374:                              ;   in Loop: Header=BB199_31 Depth=1
	v_and_b32_e32 v22, 0xffff, v0
	v_or_b32_e32 v83, 0x10000, v0
	s_delay_alu instid0(VALU_DEP_2) | instskip(NEXT) | instid1(VALU_DEP_1)
	v_cmp_eq_u32_e64 s0, 0, v22
	v_cndmask_b32_e64 v79, v83, v0, s0
; %bb.375:                              ;   in Loop: Header=BB199_31 Depth=1
	s_or_b32 exec_lo, exec_lo, s7
	v_lshlrev_b32_e32 v0, 16, v39
                                        ; implicit-def: $vgpr88
	s_delay_alu instid0(VALU_DEP_1) | instskip(NEXT) | instid1(VALU_DEP_1)
	v_mul_f32_e32 v0, v113, v0
	v_and_b32_e32 v22, 0x7f800000, v0
	s_delay_alu instid0(VALU_DEP_1) | instskip(NEXT) | instid1(VALU_DEP_1)
	v_cmp_ne_u32_e64 s0, 0x7f800000, v22
	s_and_saveexec_b32 s7, s0
	s_delay_alu instid0(SALU_CYCLE_1)
	s_xor_b32 s0, exec_lo, s7
; %bb.376:                              ;   in Loop: Header=BB199_31 Depth=1
	v_bfe_u32 v22, v0, 16, 1
	s_delay_alu instid0(VALU_DEP_1)
	v_add3_u32 v88, v0, v22, 0x7fff
                                        ; implicit-def: $vgpr0
; %bb.377:                              ;   in Loop: Header=BB199_31 Depth=1
	s_and_not1_saveexec_b32 s7, s0
; %bb.378:                              ;   in Loop: Header=BB199_31 Depth=1
	v_and_b32_e32 v22, 0xffff, v0
	v_or_b32_e32 v39, 0x10000, v0
	s_delay_alu instid0(VALU_DEP_2) | instskip(NEXT) | instid1(VALU_DEP_1)
	v_cmp_eq_u32_e64 s0, 0, v22
	v_cndmask_b32_e64 v88, v39, v0, s0
; %bb.379:                              ;   in Loop: Header=BB199_31 Depth=1
	s_or_b32 exec_lo, exec_lo, s7
	v_lshlrev_b32_e32 v0, 16, v1
                                        ; implicit-def: $vgpr89
	s_delay_alu instid0(VALU_DEP_1) | instskip(NEXT) | instid1(VALU_DEP_1)
	v_mul_f32_e32 v0, v114, v0
	v_and_b32_e32 v1, 0x7f800000, v0
	s_delay_alu instid0(VALU_DEP_1) | instskip(NEXT) | instid1(VALU_DEP_1)
	v_cmp_ne_u32_e64 s0, 0x7f800000, v1
	s_and_saveexec_b32 s7, s0
	s_delay_alu instid0(SALU_CYCLE_1)
	s_xor_b32 s0, exec_lo, s7
; %bb.380:                              ;   in Loop: Header=BB199_31 Depth=1
	v_bfe_u32 v1, v0, 16, 1
	s_delay_alu instid0(VALU_DEP_1)
	v_add3_u32 v89, v0, v1, 0x7fff
                                        ; implicit-def: $vgpr0
; %bb.381:                              ;   in Loop: Header=BB199_31 Depth=1
	s_and_not1_saveexec_b32 s7, s0
; %bb.382:                              ;   in Loop: Header=BB199_31 Depth=1
	v_and_b32_e32 v1, 0xffff, v0
	v_or_b32_e32 v22, 0x10000, v0
	s_delay_alu instid0(VALU_DEP_2) | instskip(NEXT) | instid1(VALU_DEP_1)
	v_cmp_eq_u32_e64 s0, 0, v1
	v_cndmask_b32_e64 v89, v22, v0, s0
; %bb.383:                              ;   in Loop: Header=BB199_31 Depth=1
	s_or_b32 exec_lo, exec_lo, s7
	v_lshlrev_b32_e32 v0, 16, v12
                                        ; implicit-def: $vgpr90
	s_delay_alu instid0(VALU_DEP_1) | instskip(NEXT) | instid1(VALU_DEP_1)
	v_mul_f32_e32 v0, v115, v0
	v_and_b32_e32 v1, 0x7f800000, v0
	s_delay_alu instid0(VALU_DEP_1) | instskip(NEXT) | instid1(VALU_DEP_1)
	v_cmp_ne_u32_e64 s0, 0x7f800000, v1
	s_and_saveexec_b32 s7, s0
	s_delay_alu instid0(SALU_CYCLE_1)
	s_xor_b32 s0, exec_lo, s7
; %bb.384:                              ;   in Loop: Header=BB199_31 Depth=1
	v_bfe_u32 v1, v0, 16, 1
	s_delay_alu instid0(VALU_DEP_1)
	v_add3_u32 v90, v0, v1, 0x7fff
                                        ; implicit-def: $vgpr0
; %bb.385:                              ;   in Loop: Header=BB199_31 Depth=1
	s_and_not1_saveexec_b32 s7, s0
; %bb.386:                              ;   in Loop: Header=BB199_31 Depth=1
	v_and_b32_e32 v1, 0xffff, v0
	v_or_b32_e32 v12, 0x10000, v0
	s_delay_alu instid0(VALU_DEP_2) | instskip(NEXT) | instid1(VALU_DEP_1)
	v_cmp_eq_u32_e64 s0, 0, v1
	v_cndmask_b32_e64 v90, v12, v0, s0
; %bb.387:                              ;   in Loop: Header=BB199_31 Depth=1
	s_or_b32 exec_lo, exec_lo, s7
	v_lshlrev_b32_e32 v0, 16, v2
                                        ; implicit-def: $vgpr91
	s_delay_alu instid0(VALU_DEP_1) | instskip(NEXT) | instid1(VALU_DEP_1)
	v_mul_f32_e32 v0, v116, v0
	v_and_b32_e32 v1, 0x7f800000, v0
	s_delay_alu instid0(VALU_DEP_1) | instskip(NEXT) | instid1(VALU_DEP_1)
	v_cmp_ne_u32_e64 s0, 0x7f800000, v1
	s_and_saveexec_b32 s7, s0
	s_delay_alu instid0(SALU_CYCLE_1)
	s_xor_b32 s0, exec_lo, s7
; %bb.388:                              ;   in Loop: Header=BB199_31 Depth=1
	v_bfe_u32 v1, v0, 16, 1
	s_delay_alu instid0(VALU_DEP_1)
	v_add3_u32 v91, v0, v1, 0x7fff
                                        ; implicit-def: $vgpr0
; %bb.389:                              ;   in Loop: Header=BB199_31 Depth=1
	s_and_not1_saveexec_b32 s7, s0
; %bb.390:                              ;   in Loop: Header=BB199_31 Depth=1
	v_and_b32_e32 v1, 0xffff, v0
	v_or_b32_e32 v2, 0x10000, v0
	s_delay_alu instid0(VALU_DEP_2) | instskip(NEXT) | instid1(VALU_DEP_1)
	v_cmp_eq_u32_e64 s0, 0, v1
	v_cndmask_b32_e64 v91, v2, v0, s0
; %bb.391:                              ;   in Loop: Header=BB199_31 Depth=1
	s_or_b32 exec_lo, exec_lo, s7
	v_lshlrev_b32_e32 v0, 16, v5
                                        ; implicit-def: $vgpr92
	s_delay_alu instid0(VALU_DEP_1) | instskip(NEXT) | instid1(VALU_DEP_1)
	v_mul_f32_e32 v0, v117, v0
	v_and_b32_e32 v1, 0x7f800000, v0
	s_delay_alu instid0(VALU_DEP_1) | instskip(NEXT) | instid1(VALU_DEP_1)
	v_cmp_ne_u32_e64 s0, 0x7f800000, v1
	s_and_saveexec_b32 s7, s0
	s_delay_alu instid0(SALU_CYCLE_1)
	s_xor_b32 s0, exec_lo, s7
; %bb.392:                              ;   in Loop: Header=BB199_31 Depth=1
	v_bfe_u32 v1, v0, 16, 1
	s_delay_alu instid0(VALU_DEP_1)
	v_add3_u32 v92, v0, v1, 0x7fff
                                        ; implicit-def: $vgpr0
; %bb.393:                              ;   in Loop: Header=BB199_31 Depth=1
	s_and_not1_saveexec_b32 s7, s0
; %bb.394:                              ;   in Loop: Header=BB199_31 Depth=1
	v_and_b32_e32 v1, 0xffff, v0
	v_or_b32_e32 v2, 0x10000, v0
	s_delay_alu instid0(VALU_DEP_2) | instskip(NEXT) | instid1(VALU_DEP_1)
	v_cmp_eq_u32_e64 s0, 0, v1
	v_cndmask_b32_e64 v92, v2, v0, s0
; %bb.395:                              ;   in Loop: Header=BB199_31 Depth=1
	s_or_b32 exec_lo, exec_lo, s7
	v_lshlrev_b32_e32 v0, 16, v3
                                        ; implicit-def: $vgpr93
	s_delay_alu instid0(VALU_DEP_1) | instskip(NEXT) | instid1(VALU_DEP_1)
	v_mul_f32_e32 v0, v118, v0
	v_and_b32_e32 v1, 0x7f800000, v0
	s_delay_alu instid0(VALU_DEP_1) | instskip(NEXT) | instid1(VALU_DEP_1)
	v_cmp_ne_u32_e64 s0, 0x7f800000, v1
	s_and_saveexec_b32 s7, s0
	s_delay_alu instid0(SALU_CYCLE_1)
	s_xor_b32 s0, exec_lo, s7
; %bb.396:                              ;   in Loop: Header=BB199_31 Depth=1
	v_bfe_u32 v1, v0, 16, 1
	s_delay_alu instid0(VALU_DEP_1)
	v_add3_u32 v93, v0, v1, 0x7fff
                                        ; implicit-def: $vgpr0
; %bb.397:                              ;   in Loop: Header=BB199_31 Depth=1
	s_and_not1_saveexec_b32 s7, s0
; %bb.398:                              ;   in Loop: Header=BB199_31 Depth=1
	v_and_b32_e32 v1, 0xffff, v0
	v_or_b32_e32 v2, 0x10000, v0
	s_delay_alu instid0(VALU_DEP_2) | instskip(NEXT) | instid1(VALU_DEP_1)
	v_cmp_eq_u32_e64 s0, 0, v1
	v_cndmask_b32_e64 v93, v2, v0, s0
; %bb.399:                              ;   in Loop: Header=BB199_31 Depth=1
	s_or_b32 exec_lo, exec_lo, s7
	v_lshlrev_b32_e32 v0, 16, v4
                                        ; implicit-def: $vgpr94
	s_delay_alu instid0(VALU_DEP_1) | instskip(NEXT) | instid1(VALU_DEP_1)
	v_mul_f32_e32 v0, v119, v0
	v_and_b32_e32 v1, 0x7f800000, v0
	s_delay_alu instid0(VALU_DEP_1) | instskip(NEXT) | instid1(VALU_DEP_1)
	v_cmp_ne_u32_e64 s0, 0x7f800000, v1
	s_and_saveexec_b32 s7, s0
	s_delay_alu instid0(SALU_CYCLE_1)
	s_xor_b32 s0, exec_lo, s7
; %bb.400:                              ;   in Loop: Header=BB199_31 Depth=1
	v_bfe_u32 v1, v0, 16, 1
	s_delay_alu instid0(VALU_DEP_1)
	v_add3_u32 v94, v0, v1, 0x7fff
                                        ; implicit-def: $vgpr0
; %bb.401:                              ;   in Loop: Header=BB199_31 Depth=1
	s_and_not1_saveexec_b32 s7, s0
; %bb.402:                              ;   in Loop: Header=BB199_31 Depth=1
	v_and_b32_e32 v1, 0xffff, v0
	v_or_b32_e32 v2, 0x10000, v0
	s_delay_alu instid0(VALU_DEP_2) | instskip(NEXT) | instid1(VALU_DEP_1)
	v_cmp_eq_u32_e64 s0, 0, v1
	v_cndmask_b32_e64 v94, v2, v0, s0
; %bb.403:                              ;   in Loop: Header=BB199_31 Depth=1
	s_or_b32 exec_lo, exec_lo, s7
	v_add_co_u32 v0, s0, v101, v50
	s_delay_alu instid0(VALU_DEP_1)
	v_add_co_ci_u32_e64 v1, s0, 0, v102, s0
	flat_load_b128 v[0:3], v[0:1]
	s_waitcnt vmcnt(0) lgkmcnt(0)
	v_lshrrev_b32_e32 v39, 16, v0
	v_lshrrev_b32_e32 v12, 16, v1
	;; [unrolled: 1-line block ×4, first 2 shown]
	s_and_saveexec_b32 s7, vcc_lo
	s_cbranch_execz .LBB199_405
; %bb.404:                              ;   in Loop: Header=BB199_31 Depth=1
	v_cmp_lt_i32_e64 s0, v85, v82
	s_delay_alu instid0(VALU_DEP_1) | instskip(SKIP_1) | instid1(VALU_DEP_1)
	v_cndmask_b32_e64 v0, 0, v0, s0
	v_cmp_lt_i32_e64 s0, v100, v82
	v_cndmask_b32_e64 v39, 0, v39, s0
	v_cmp_lt_i32_e64 s0, v98, v82
	s_delay_alu instid0(VALU_DEP_1) | instskip(SKIP_1) | instid1(VALU_DEP_1)
	v_cndmask_b32_e64 v1, 0, v1, s0
	v_cmp_lt_i32_e64 s0, v97, v82
	v_cndmask_b32_e64 v12, 0, v12, s0
	;; [unrolled: 5-line block ×4, first 2 shown]
.LBB199_405:                            ;   in Loop: Header=BB199_31 Depth=1
	s_or_b32 exec_lo, exec_lo, s7
	v_lshlrev_b32_e32 v0, 16, v0
                                        ; implicit-def: $vgpr95
	s_delay_alu instid0(VALU_DEP_1) | instskip(NEXT) | instid1(VALU_DEP_1)
	v_mul_f32_e32 v0, v112, v0
	v_and_b32_e32 v22, 0x7f800000, v0
	s_delay_alu instid0(VALU_DEP_1) | instskip(NEXT) | instid1(VALU_DEP_1)
	v_cmp_ne_u32_e64 s0, 0x7f800000, v22
	s_and_saveexec_b32 s7, s0
	s_delay_alu instid0(SALU_CYCLE_1)
	s_xor_b32 s0, exec_lo, s7
; %bb.406:                              ;   in Loop: Header=BB199_31 Depth=1
	v_bfe_u32 v22, v0, 16, 1
	s_delay_alu instid0(VALU_DEP_1)
	v_add3_u32 v95, v0, v22, 0x7fff
                                        ; implicit-def: $vgpr0
; %bb.407:                              ;   in Loop: Header=BB199_31 Depth=1
	s_and_not1_saveexec_b32 s7, s0
; %bb.408:                              ;   in Loop: Header=BB199_31 Depth=1
	v_and_b32_e32 v22, 0xffff, v0
	v_or_b32_e32 v83, 0x10000, v0
	s_delay_alu instid0(VALU_DEP_2) | instskip(NEXT) | instid1(VALU_DEP_1)
	v_cmp_eq_u32_e64 s0, 0, v22
	v_cndmask_b32_e64 v95, v83, v0, s0
; %bb.409:                              ;   in Loop: Header=BB199_31 Depth=1
	s_or_b32 exec_lo, exec_lo, s7
	v_lshlrev_b32_e32 v0, 16, v39
                                        ; implicit-def: $vgpr104
	s_delay_alu instid0(VALU_DEP_1) | instskip(NEXT) | instid1(VALU_DEP_1)
	v_mul_f32_e32 v0, v113, v0
	v_and_b32_e32 v22, 0x7f800000, v0
	s_delay_alu instid0(VALU_DEP_1) | instskip(NEXT) | instid1(VALU_DEP_1)
	v_cmp_ne_u32_e64 s0, 0x7f800000, v22
	s_and_saveexec_b32 s7, s0
	s_delay_alu instid0(SALU_CYCLE_1)
	s_xor_b32 s0, exec_lo, s7
; %bb.410:                              ;   in Loop: Header=BB199_31 Depth=1
	v_bfe_u32 v22, v0, 16, 1
	s_delay_alu instid0(VALU_DEP_1)
	v_add3_u32 v104, v0, v22, 0x7fff
                                        ; implicit-def: $vgpr0
; %bb.411:                              ;   in Loop: Header=BB199_31 Depth=1
	s_and_not1_saveexec_b32 s7, s0
; %bb.412:                              ;   in Loop: Header=BB199_31 Depth=1
	v_and_b32_e32 v22, 0xffff, v0
	v_or_b32_e32 v39, 0x10000, v0
	s_delay_alu instid0(VALU_DEP_2) | instskip(NEXT) | instid1(VALU_DEP_1)
	v_cmp_eq_u32_e64 s0, 0, v22
	v_cndmask_b32_e64 v104, v39, v0, s0
; %bb.413:                              ;   in Loop: Header=BB199_31 Depth=1
	s_or_b32 exec_lo, exec_lo, s7
	v_lshlrev_b32_e32 v0, 16, v1
                                        ; implicit-def: $vgpr105
	s_delay_alu instid0(VALU_DEP_1) | instskip(NEXT) | instid1(VALU_DEP_1)
	v_mul_f32_e32 v0, v114, v0
	v_and_b32_e32 v1, 0x7f800000, v0
	s_delay_alu instid0(VALU_DEP_1) | instskip(NEXT) | instid1(VALU_DEP_1)
	v_cmp_ne_u32_e64 s0, 0x7f800000, v1
	s_and_saveexec_b32 s7, s0
	s_delay_alu instid0(SALU_CYCLE_1)
	s_xor_b32 s0, exec_lo, s7
; %bb.414:                              ;   in Loop: Header=BB199_31 Depth=1
	v_bfe_u32 v1, v0, 16, 1
	s_delay_alu instid0(VALU_DEP_1)
	v_add3_u32 v105, v0, v1, 0x7fff
                                        ; implicit-def: $vgpr0
; %bb.415:                              ;   in Loop: Header=BB199_31 Depth=1
	s_and_not1_saveexec_b32 s7, s0
; %bb.416:                              ;   in Loop: Header=BB199_31 Depth=1
	v_and_b32_e32 v1, 0xffff, v0
	v_or_b32_e32 v22, 0x10000, v0
	s_delay_alu instid0(VALU_DEP_2) | instskip(NEXT) | instid1(VALU_DEP_1)
	v_cmp_eq_u32_e64 s0, 0, v1
	v_cndmask_b32_e64 v105, v22, v0, s0
; %bb.417:                              ;   in Loop: Header=BB199_31 Depth=1
	s_or_b32 exec_lo, exec_lo, s7
	v_lshlrev_b32_e32 v0, 16, v12
                                        ; implicit-def: $vgpr106
	s_delay_alu instid0(VALU_DEP_1) | instskip(NEXT) | instid1(VALU_DEP_1)
	v_mul_f32_e32 v0, v115, v0
	v_and_b32_e32 v1, 0x7f800000, v0
	s_delay_alu instid0(VALU_DEP_1) | instskip(NEXT) | instid1(VALU_DEP_1)
	v_cmp_ne_u32_e64 s0, 0x7f800000, v1
	s_and_saveexec_b32 s7, s0
	s_delay_alu instid0(SALU_CYCLE_1)
	s_xor_b32 s0, exec_lo, s7
; %bb.418:                              ;   in Loop: Header=BB199_31 Depth=1
	v_bfe_u32 v1, v0, 16, 1
	s_delay_alu instid0(VALU_DEP_1)
	v_add3_u32 v106, v0, v1, 0x7fff
                                        ; implicit-def: $vgpr0
; %bb.419:                              ;   in Loop: Header=BB199_31 Depth=1
	s_and_not1_saveexec_b32 s7, s0
; %bb.420:                              ;   in Loop: Header=BB199_31 Depth=1
	v_and_b32_e32 v1, 0xffff, v0
	v_or_b32_e32 v12, 0x10000, v0
	s_delay_alu instid0(VALU_DEP_2) | instskip(NEXT) | instid1(VALU_DEP_1)
	v_cmp_eq_u32_e64 s0, 0, v1
	v_cndmask_b32_e64 v106, v12, v0, s0
; %bb.421:                              ;   in Loop: Header=BB199_31 Depth=1
	s_or_b32 exec_lo, exec_lo, s7
	v_lshlrev_b32_e32 v0, 16, v2
                                        ; implicit-def: $vgpr107
	s_delay_alu instid0(VALU_DEP_1) | instskip(NEXT) | instid1(VALU_DEP_1)
	v_mul_f32_e32 v0, v116, v0
	v_and_b32_e32 v1, 0x7f800000, v0
	s_delay_alu instid0(VALU_DEP_1) | instskip(NEXT) | instid1(VALU_DEP_1)
	v_cmp_ne_u32_e64 s0, 0x7f800000, v1
	s_and_saveexec_b32 s7, s0
	s_delay_alu instid0(SALU_CYCLE_1)
	s_xor_b32 s0, exec_lo, s7
; %bb.422:                              ;   in Loop: Header=BB199_31 Depth=1
	v_bfe_u32 v1, v0, 16, 1
	s_delay_alu instid0(VALU_DEP_1)
	v_add3_u32 v107, v0, v1, 0x7fff
                                        ; implicit-def: $vgpr0
; %bb.423:                              ;   in Loop: Header=BB199_31 Depth=1
	s_and_not1_saveexec_b32 s7, s0
; %bb.424:                              ;   in Loop: Header=BB199_31 Depth=1
	v_and_b32_e32 v1, 0xffff, v0
	v_or_b32_e32 v2, 0x10000, v0
	s_delay_alu instid0(VALU_DEP_2) | instskip(NEXT) | instid1(VALU_DEP_1)
	v_cmp_eq_u32_e64 s0, 0, v1
	v_cndmask_b32_e64 v107, v2, v0, s0
; %bb.425:                              ;   in Loop: Header=BB199_31 Depth=1
	s_or_b32 exec_lo, exec_lo, s7
	v_lshlrev_b32_e32 v0, 16, v5
                                        ; implicit-def: $vgpr108
	s_delay_alu instid0(VALU_DEP_1) | instskip(NEXT) | instid1(VALU_DEP_1)
	v_mul_f32_e32 v0, v117, v0
	v_and_b32_e32 v1, 0x7f800000, v0
	s_delay_alu instid0(VALU_DEP_1) | instskip(NEXT) | instid1(VALU_DEP_1)
	v_cmp_ne_u32_e64 s0, 0x7f800000, v1
	s_and_saveexec_b32 s7, s0
	s_delay_alu instid0(SALU_CYCLE_1)
	s_xor_b32 s0, exec_lo, s7
; %bb.426:                              ;   in Loop: Header=BB199_31 Depth=1
	v_bfe_u32 v1, v0, 16, 1
	s_delay_alu instid0(VALU_DEP_1)
	v_add3_u32 v108, v0, v1, 0x7fff
                                        ; implicit-def: $vgpr0
; %bb.427:                              ;   in Loop: Header=BB199_31 Depth=1
	s_and_not1_saveexec_b32 s7, s0
; %bb.428:                              ;   in Loop: Header=BB199_31 Depth=1
	v_and_b32_e32 v1, 0xffff, v0
	v_or_b32_e32 v2, 0x10000, v0
	s_delay_alu instid0(VALU_DEP_2) | instskip(NEXT) | instid1(VALU_DEP_1)
	v_cmp_eq_u32_e64 s0, 0, v1
	v_cndmask_b32_e64 v108, v2, v0, s0
; %bb.429:                              ;   in Loop: Header=BB199_31 Depth=1
	s_or_b32 exec_lo, exec_lo, s7
	v_lshlrev_b32_e32 v0, 16, v3
                                        ; implicit-def: $vgpr109
	s_delay_alu instid0(VALU_DEP_1) | instskip(NEXT) | instid1(VALU_DEP_1)
	v_mul_f32_e32 v0, v118, v0
	v_and_b32_e32 v1, 0x7f800000, v0
	s_delay_alu instid0(VALU_DEP_1) | instskip(NEXT) | instid1(VALU_DEP_1)
	v_cmp_ne_u32_e64 s0, 0x7f800000, v1
	s_and_saveexec_b32 s7, s0
	s_delay_alu instid0(SALU_CYCLE_1)
	s_xor_b32 s0, exec_lo, s7
; %bb.430:                              ;   in Loop: Header=BB199_31 Depth=1
	v_bfe_u32 v1, v0, 16, 1
	s_delay_alu instid0(VALU_DEP_1)
	v_add3_u32 v109, v0, v1, 0x7fff
                                        ; implicit-def: $vgpr0
; %bb.431:                              ;   in Loop: Header=BB199_31 Depth=1
	s_and_not1_saveexec_b32 s7, s0
; %bb.432:                              ;   in Loop: Header=BB199_31 Depth=1
	v_and_b32_e32 v1, 0xffff, v0
	v_or_b32_e32 v2, 0x10000, v0
	s_delay_alu instid0(VALU_DEP_2) | instskip(NEXT) | instid1(VALU_DEP_1)
	v_cmp_eq_u32_e64 s0, 0, v1
	v_cndmask_b32_e64 v109, v2, v0, s0
; %bb.433:                              ;   in Loop: Header=BB199_31 Depth=1
	s_or_b32 exec_lo, exec_lo, s7
	v_lshlrev_b32_e32 v0, 16, v4
                                        ; implicit-def: $vgpr110
	s_delay_alu instid0(VALU_DEP_1) | instskip(NEXT) | instid1(VALU_DEP_1)
	v_mul_f32_e32 v0, v119, v0
	v_and_b32_e32 v1, 0x7f800000, v0
	s_delay_alu instid0(VALU_DEP_1) | instskip(NEXT) | instid1(VALU_DEP_1)
	v_cmp_ne_u32_e64 s0, 0x7f800000, v1
	s_and_saveexec_b32 s7, s0
	s_delay_alu instid0(SALU_CYCLE_1)
	s_xor_b32 s0, exec_lo, s7
; %bb.434:                              ;   in Loop: Header=BB199_31 Depth=1
	v_bfe_u32 v1, v0, 16, 1
	s_delay_alu instid0(VALU_DEP_1)
	v_add3_u32 v110, v0, v1, 0x7fff
                                        ; implicit-def: $vgpr0
; %bb.435:                              ;   in Loop: Header=BB199_31 Depth=1
	s_and_not1_saveexec_b32 s7, s0
; %bb.436:                              ;   in Loop: Header=BB199_31 Depth=1
	v_and_b32_e32 v1, 0xffff, v0
	v_or_b32_e32 v2, 0x10000, v0
	s_delay_alu instid0(VALU_DEP_2) | instskip(NEXT) | instid1(VALU_DEP_1)
	v_cmp_eq_u32_e64 s0, 0, v1
	v_cndmask_b32_e64 v110, v2, v0, s0
; %bb.437:                              ;   in Loop: Header=BB199_31 Depth=1
	s_or_b32 exec_lo, exec_lo, s7
	v_add_co_u32 v0, s0, v101, v51
	s_delay_alu instid0(VALU_DEP_1)
	v_add_co_ci_u32_e64 v1, s0, 0, v102, s0
	flat_load_b128 v[0:3], v[0:1]
	s_waitcnt vmcnt(0) lgkmcnt(0)
	v_lshrrev_b32_e32 v5, 16, v0
	v_lshrrev_b32_e32 v39, 16, v1
	;; [unrolled: 1-line block ×4, first 2 shown]
	s_and_saveexec_b32 s7, vcc_lo
	s_cbranch_execz .LBB199_439
; %bb.438:                              ;   in Loop: Header=BB199_31 Depth=1
	v_cmp_lt_i32_e64 s0, v85, v82
	s_delay_alu instid0(VALU_DEP_1) | instskip(SKIP_1) | instid1(VALU_DEP_1)
	v_cndmask_b32_e64 v0, 0, v0, s0
	v_cmp_lt_i32_e64 s0, v100, v82
	v_cndmask_b32_e64 v5, 0, v5, s0
	v_cmp_lt_i32_e64 s0, v98, v82
	s_delay_alu instid0(VALU_DEP_1) | instskip(SKIP_1) | instid1(VALU_DEP_1)
	v_cndmask_b32_e64 v1, 0, v1, s0
	v_cmp_lt_i32_e64 s0, v97, v82
	v_cndmask_b32_e64 v39, 0, v39, s0
	v_cmp_lt_i32_e64 s0, v96, v82
	s_delay_alu instid0(VALU_DEP_1) | instskip(SKIP_1) | instid1(VALU_DEP_1)
	v_cndmask_b32_e64 v2, 0, v2, s0
	v_cmp_lt_i32_e64 s0, v86, v82
	v_cndmask_b32_e64 v111, 0, v111, s0
	v_cmp_lt_i32_e64 s0, v99, v82
	s_delay_alu instid0(VALU_DEP_1) | instskip(SKIP_1) | instid1(VALU_DEP_1)
	v_cndmask_b32_e64 v3, 0, v3, s0
	v_cmp_lt_i32_e64 s0, v14, v82
	v_cndmask_b32_e64 v121, 0, v121, s0
.LBB199_439:                            ;   in Loop: Header=BB199_31 Depth=1
	s_or_b32 exec_lo, exec_lo, s7
	v_lshlrev_b32_e32 v0, 16, v0
	s_delay_alu instid0(VALU_DEP_1) | instskip(NEXT) | instid1(VALU_DEP_1)
	v_mul_f32_e32 v0, v112, v0
	v_and_b32_e32 v4, 0x7f800000, v0
	s_delay_alu instid0(VALU_DEP_1) | instskip(NEXT) | instid1(VALU_DEP_1)
	v_cmp_ne_u32_e64 s0, 0x7f800000, v4
                                        ; implicit-def: $vgpr4
	s_and_saveexec_b32 s7, s0
	s_delay_alu instid0(SALU_CYCLE_1)
	s_xor_b32 s0, exec_lo, s7
; %bb.440:                              ;   in Loop: Header=BB199_31 Depth=1
	v_bfe_u32 v4, v0, 16, 1
	s_delay_alu instid0(VALU_DEP_1)
	v_add3_u32 v4, v0, v4, 0x7fff
                                        ; implicit-def: $vgpr0
; %bb.441:                              ;   in Loop: Header=BB199_31 Depth=1
	s_and_not1_saveexec_b32 s7, s0
; %bb.442:                              ;   in Loop: Header=BB199_31 Depth=1
	v_and_b32_e32 v4, 0xffff, v0
	v_or_b32_e32 v12, 0x10000, v0
	s_delay_alu instid0(VALU_DEP_2) | instskip(NEXT) | instid1(VALU_DEP_1)
	v_cmp_eq_u32_e64 s0, 0, v4
	v_cndmask_b32_e64 v4, v12, v0, s0
; %bb.443:                              ;   in Loop: Header=BB199_31 Depth=1
	s_or_b32 exec_lo, exec_lo, s7
	v_lshlrev_b32_e32 v0, 16, v5
	s_delay_alu instid0(VALU_DEP_1) | instskip(NEXT) | instid1(VALU_DEP_1)
	v_mul_f32_e32 v0, v113, v0
	v_and_b32_e32 v5, 0x7f800000, v0
	s_delay_alu instid0(VALU_DEP_1) | instskip(NEXT) | instid1(VALU_DEP_1)
	v_cmp_ne_u32_e64 s0, 0x7f800000, v5
                                        ; implicit-def: $vgpr5
	s_and_saveexec_b32 s7, s0
	s_delay_alu instid0(SALU_CYCLE_1)
	s_xor_b32 s0, exec_lo, s7
; %bb.444:                              ;   in Loop: Header=BB199_31 Depth=1
	v_bfe_u32 v5, v0, 16, 1
	s_delay_alu instid0(VALU_DEP_1)
	v_add3_u32 v5, v0, v5, 0x7fff
                                        ; implicit-def: $vgpr0
; %bb.445:                              ;   in Loop: Header=BB199_31 Depth=1
	s_and_not1_saveexec_b32 s7, s0
; %bb.446:                              ;   in Loop: Header=BB199_31 Depth=1
	v_and_b32_e32 v5, 0xffff, v0
	v_or_b32_e32 v12, 0x10000, v0
	s_delay_alu instid0(VALU_DEP_2) | instskip(NEXT) | instid1(VALU_DEP_1)
	v_cmp_eq_u32_e64 s0, 0, v5
	v_cndmask_b32_e64 v5, v12, v0, s0
; %bb.447:                              ;   in Loop: Header=BB199_31 Depth=1
	s_or_b32 exec_lo, exec_lo, s7
	v_lshlrev_b32_e32 v0, 16, v1
                                        ; implicit-def: $vgpr12
	s_delay_alu instid0(VALU_DEP_1) | instskip(NEXT) | instid1(VALU_DEP_1)
	v_mul_f32_e32 v0, v114, v0
	v_and_b32_e32 v1, 0x7f800000, v0
	s_delay_alu instid0(VALU_DEP_1) | instskip(NEXT) | instid1(VALU_DEP_1)
	v_cmp_ne_u32_e64 s0, 0x7f800000, v1
	s_and_saveexec_b32 s7, s0
	s_delay_alu instid0(SALU_CYCLE_1)
	s_xor_b32 s0, exec_lo, s7
; %bb.448:                              ;   in Loop: Header=BB199_31 Depth=1
	v_bfe_u32 v1, v0, 16, 1
	s_delay_alu instid0(VALU_DEP_1)
	v_add3_u32 v12, v0, v1, 0x7fff
                                        ; implicit-def: $vgpr0
; %bb.449:                              ;   in Loop: Header=BB199_31 Depth=1
	s_and_not1_saveexec_b32 s7, s0
; %bb.450:                              ;   in Loop: Header=BB199_31 Depth=1
	v_and_b32_e32 v1, 0xffff, v0
	v_or_b32_e32 v12, 0x10000, v0
	s_delay_alu instid0(VALU_DEP_2) | instskip(NEXT) | instid1(VALU_DEP_1)
	v_cmp_eq_u32_e64 s0, 0, v1
	v_cndmask_b32_e64 v12, v12, v0, s0
; %bb.451:                              ;   in Loop: Header=BB199_31 Depth=1
	s_or_b32 exec_lo, exec_lo, s7
	v_lshlrev_b32_e32 v0, 16, v39
                                        ; implicit-def: $vgpr39
	s_delay_alu instid0(VALU_DEP_1) | instskip(NEXT) | instid1(VALU_DEP_1)
	v_mul_f32_e32 v0, v115, v0
	v_and_b32_e32 v1, 0x7f800000, v0
	s_delay_alu instid0(VALU_DEP_1) | instskip(NEXT) | instid1(VALU_DEP_1)
	v_cmp_ne_u32_e64 s0, 0x7f800000, v1
	s_and_saveexec_b32 s7, s0
	s_delay_alu instid0(SALU_CYCLE_1)
	s_xor_b32 s0, exec_lo, s7
; %bb.452:                              ;   in Loop: Header=BB199_31 Depth=1
	v_bfe_u32 v1, v0, 16, 1
	s_delay_alu instid0(VALU_DEP_1)
	v_add3_u32 v39, v0, v1, 0x7fff
                                        ; implicit-def: $vgpr0
; %bb.453:                              ;   in Loop: Header=BB199_31 Depth=1
	s_and_not1_saveexec_b32 s7, s0
; %bb.454:                              ;   in Loop: Header=BB199_31 Depth=1
	v_and_b32_e32 v1, 0xffff, v0
	v_or_b32_e32 v22, 0x10000, v0
	s_delay_alu instid0(VALU_DEP_2) | instskip(NEXT) | instid1(VALU_DEP_1)
	v_cmp_eq_u32_e64 s0, 0, v1
	v_cndmask_b32_e64 v39, v22, v0, s0
; %bb.455:                              ;   in Loop: Header=BB199_31 Depth=1
	s_or_b32 exec_lo, exec_lo, s7
	v_lshlrev_b32_e32 v0, 16, v2
                                        ; implicit-def: $vgpr83
	s_delay_alu instid0(VALU_DEP_1) | instskip(NEXT) | instid1(VALU_DEP_1)
	v_mul_f32_e32 v0, v116, v0
	v_and_b32_e32 v1, 0x7f800000, v0
	s_delay_alu instid0(VALU_DEP_1) | instskip(NEXT) | instid1(VALU_DEP_1)
	v_cmp_ne_u32_e64 s0, 0x7f800000, v1
	s_and_saveexec_b32 s7, s0
	s_delay_alu instid0(SALU_CYCLE_1)
	s_xor_b32 s0, exec_lo, s7
; %bb.456:                              ;   in Loop: Header=BB199_31 Depth=1
	v_bfe_u32 v1, v0, 16, 1
	s_delay_alu instid0(VALU_DEP_1)
	v_add3_u32 v83, v0, v1, 0x7fff
                                        ; implicit-def: $vgpr0
; %bb.457:                              ;   in Loop: Header=BB199_31 Depth=1
	s_and_not1_saveexec_b32 s7, s0
; %bb.458:                              ;   in Loop: Header=BB199_31 Depth=1
	v_and_b32_e32 v1, 0xffff, v0
	v_or_b32_e32 v2, 0x10000, v0
	s_delay_alu instid0(VALU_DEP_2) | instskip(NEXT) | instid1(VALU_DEP_1)
	v_cmp_eq_u32_e64 s0, 0, v1
	v_cndmask_b32_e64 v83, v2, v0, s0
; %bb.459:                              ;   in Loop: Header=BB199_31 Depth=1
	s_or_b32 exec_lo, exec_lo, s7
	v_lshlrev_b32_e32 v0, 16, v111
                                        ; implicit-def: $vgpr111
	s_delay_alu instid0(VALU_DEP_1) | instskip(NEXT) | instid1(VALU_DEP_1)
	v_mul_f32_e32 v0, v117, v0
	v_and_b32_e32 v1, 0x7f800000, v0
	s_delay_alu instid0(VALU_DEP_1) | instskip(NEXT) | instid1(VALU_DEP_1)
	v_cmp_ne_u32_e64 s0, 0x7f800000, v1
	s_and_saveexec_b32 s7, s0
	s_delay_alu instid0(SALU_CYCLE_1)
	s_xor_b32 s0, exec_lo, s7
; %bb.460:                              ;   in Loop: Header=BB199_31 Depth=1
	v_bfe_u32 v1, v0, 16, 1
	s_delay_alu instid0(VALU_DEP_1)
	v_add3_u32 v111, v0, v1, 0x7fff
                                        ; implicit-def: $vgpr0
; %bb.461:                              ;   in Loop: Header=BB199_31 Depth=1
	s_and_not1_saveexec_b32 s7, s0
; %bb.462:                              ;   in Loop: Header=BB199_31 Depth=1
	v_and_b32_e32 v1, 0xffff, v0
	v_or_b32_e32 v2, 0x10000, v0
	s_delay_alu instid0(VALU_DEP_2) | instskip(NEXT) | instid1(VALU_DEP_1)
	v_cmp_eq_u32_e64 s0, 0, v1
	v_cndmask_b32_e64 v111, v2, v0, s0
; %bb.463:                              ;   in Loop: Header=BB199_31 Depth=1
	s_or_b32 exec_lo, exec_lo, s7
	v_lshlrev_b32_e32 v0, 16, v3
                                        ; implicit-def: $vgpr120
	s_delay_alu instid0(VALU_DEP_1) | instskip(NEXT) | instid1(VALU_DEP_1)
	v_mul_f32_e32 v0, v118, v0
	v_and_b32_e32 v1, 0x7f800000, v0
	s_delay_alu instid0(VALU_DEP_1) | instskip(NEXT) | instid1(VALU_DEP_1)
	v_cmp_ne_u32_e64 s0, 0x7f800000, v1
	s_and_saveexec_b32 s7, s0
	s_delay_alu instid0(SALU_CYCLE_1)
	s_xor_b32 s0, exec_lo, s7
; %bb.464:                              ;   in Loop: Header=BB199_31 Depth=1
	v_bfe_u32 v1, v0, 16, 1
	s_delay_alu instid0(VALU_DEP_1)
	v_add3_u32 v120, v0, v1, 0x7fff
                                        ; implicit-def: $vgpr0
; %bb.465:                              ;   in Loop: Header=BB199_31 Depth=1
	s_and_not1_saveexec_b32 s7, s0
; %bb.466:                              ;   in Loop: Header=BB199_31 Depth=1
	v_and_b32_e32 v1, 0xffff, v0
	v_or_b32_e32 v2, 0x10000, v0
	s_delay_alu instid0(VALU_DEP_2) | instskip(NEXT) | instid1(VALU_DEP_1)
	v_cmp_eq_u32_e64 s0, 0, v1
	v_cndmask_b32_e64 v120, v2, v0, s0
; %bb.467:                              ;   in Loop: Header=BB199_31 Depth=1
	s_or_b32 exec_lo, exec_lo, s7
	v_lshlrev_b32_e32 v0, 16, v121
                                        ; implicit-def: $vgpr121
	s_delay_alu instid0(VALU_DEP_1) | instskip(NEXT) | instid1(VALU_DEP_1)
	v_mul_f32_e32 v0, v119, v0
	v_and_b32_e32 v1, 0x7f800000, v0
	s_delay_alu instid0(VALU_DEP_1) | instskip(NEXT) | instid1(VALU_DEP_1)
	v_cmp_ne_u32_e64 s0, 0x7f800000, v1
	s_and_saveexec_b32 s7, s0
	s_delay_alu instid0(SALU_CYCLE_1)
	s_xor_b32 s0, exec_lo, s7
; %bb.468:                              ;   in Loop: Header=BB199_31 Depth=1
	v_bfe_u32 v1, v0, 16, 1
	s_delay_alu instid0(VALU_DEP_1)
	v_add3_u32 v121, v0, v1, 0x7fff
                                        ; implicit-def: $vgpr0
; %bb.469:                              ;   in Loop: Header=BB199_31 Depth=1
	s_and_not1_saveexec_b32 s7, s0
; %bb.470:                              ;   in Loop: Header=BB199_31 Depth=1
	v_and_b32_e32 v1, 0xffff, v0
	v_or_b32_e32 v2, 0x10000, v0
	s_delay_alu instid0(VALU_DEP_2) | instskip(NEXT) | instid1(VALU_DEP_1)
	v_cmp_eq_u32_e64 s0, 0, v1
	v_cndmask_b32_e64 v121, v2, v0, s0
; %bb.471:                              ;   in Loop: Header=BB199_31 Depth=1
	s_or_b32 exec_lo, exec_lo, s7
	v_add_co_u32 v0, s0, v101, v52
	s_delay_alu instid0(VALU_DEP_1)
	v_add_co_ci_u32_e64 v1, s0, 0, v102, s0
	flat_load_b128 v[0:3], v[0:1]
	s_waitcnt vmcnt(0) lgkmcnt(0)
	v_lshrrev_b32_e32 v123, 16, v0
	v_lshrrev_b32_e32 v125, 16, v1
	v_lshrrev_b32_e32 v127, 16, v2
	v_lshrrev_b32_e32 v137, 16, v3
	s_and_saveexec_b32 s7, vcc_lo
	s_cbranch_execz .LBB199_473
; %bb.472:                              ;   in Loop: Header=BB199_31 Depth=1
	v_cmp_lt_i32_e64 s0, v85, v82
	s_delay_alu instid0(VALU_DEP_1) | instskip(SKIP_1) | instid1(VALU_DEP_1)
	v_cndmask_b32_e64 v0, 0, v0, s0
	v_cmp_lt_i32_e64 s0, v100, v82
	v_cndmask_b32_e64 v123, 0, v123, s0
	v_cmp_lt_i32_e64 s0, v98, v82
	s_delay_alu instid0(VALU_DEP_1) | instskip(SKIP_1) | instid1(VALU_DEP_1)
	v_cndmask_b32_e64 v1, 0, v1, s0
	v_cmp_lt_i32_e64 s0, v97, v82
	v_cndmask_b32_e64 v125, 0, v125, s0
	;; [unrolled: 5-line block ×4, first 2 shown]
.LBB199_473:                            ;   in Loop: Header=BB199_31 Depth=1
	s_or_b32 exec_lo, exec_lo, s7
	v_lshlrev_b32_e32 v0, 16, v0
                                        ; implicit-def: $vgpr122
	s_delay_alu instid0(VALU_DEP_1) | instskip(NEXT) | instid1(VALU_DEP_1)
	v_mul_f32_e32 v0, v112, v0
	v_and_b32_e32 v22, 0x7f800000, v0
	s_delay_alu instid0(VALU_DEP_1) | instskip(NEXT) | instid1(VALU_DEP_1)
	v_cmp_ne_u32_e64 s0, 0x7f800000, v22
	s_and_saveexec_b32 s7, s0
	s_delay_alu instid0(SALU_CYCLE_1)
	s_xor_b32 s0, exec_lo, s7
; %bb.474:                              ;   in Loop: Header=BB199_31 Depth=1
	v_bfe_u32 v22, v0, 16, 1
	s_delay_alu instid0(VALU_DEP_1)
	v_add3_u32 v122, v0, v22, 0x7fff
                                        ; implicit-def: $vgpr0
; %bb.475:                              ;   in Loop: Header=BB199_31 Depth=1
	s_and_not1_saveexec_b32 s7, s0
; %bb.476:                              ;   in Loop: Header=BB199_31 Depth=1
	v_and_b32_e32 v22, 0xffff, v0
	v_or_b32_e32 v122, 0x10000, v0
	s_delay_alu instid0(VALU_DEP_2) | instskip(NEXT) | instid1(VALU_DEP_1)
	v_cmp_eq_u32_e64 s0, 0, v22
	v_cndmask_b32_e64 v122, v122, v0, s0
; %bb.477:                              ;   in Loop: Header=BB199_31 Depth=1
	s_or_b32 exec_lo, exec_lo, s7
	v_lshlrev_b32_e32 v0, 16, v123
                                        ; implicit-def: $vgpr123
	s_delay_alu instid0(VALU_DEP_1) | instskip(NEXT) | instid1(VALU_DEP_1)
	v_mul_f32_e32 v0, v113, v0
	v_and_b32_e32 v22, 0x7f800000, v0
	s_delay_alu instid0(VALU_DEP_1) | instskip(NEXT) | instid1(VALU_DEP_1)
	v_cmp_ne_u32_e64 s0, 0x7f800000, v22
	s_and_saveexec_b32 s7, s0
	s_delay_alu instid0(SALU_CYCLE_1)
	s_xor_b32 s0, exec_lo, s7
; %bb.478:                              ;   in Loop: Header=BB199_31 Depth=1
	v_bfe_u32 v22, v0, 16, 1
	s_delay_alu instid0(VALU_DEP_1)
	v_add3_u32 v123, v0, v22, 0x7fff
                                        ; implicit-def: $vgpr0
; %bb.479:                              ;   in Loop: Header=BB199_31 Depth=1
	s_and_not1_saveexec_b32 s7, s0
; %bb.480:                              ;   in Loop: Header=BB199_31 Depth=1
	v_and_b32_e32 v22, 0xffff, v0
	v_or_b32_e32 v123, 0x10000, v0
	s_delay_alu instid0(VALU_DEP_2) | instskip(NEXT) | instid1(VALU_DEP_1)
	v_cmp_eq_u32_e64 s0, 0, v22
	v_cndmask_b32_e64 v123, v123, v0, s0
; %bb.481:                              ;   in Loop: Header=BB199_31 Depth=1
	s_or_b32 exec_lo, exec_lo, s7
	v_lshlrev_b32_e32 v0, 16, v1
                                        ; implicit-def: $vgpr124
	s_delay_alu instid0(VALU_DEP_1) | instskip(NEXT) | instid1(VALU_DEP_1)
	v_mul_f32_e32 v0, v114, v0
	v_and_b32_e32 v1, 0x7f800000, v0
	s_delay_alu instid0(VALU_DEP_1) | instskip(NEXT) | instid1(VALU_DEP_1)
	v_cmp_ne_u32_e64 s0, 0x7f800000, v1
	s_and_saveexec_b32 s7, s0
	s_delay_alu instid0(SALU_CYCLE_1)
	s_xor_b32 s0, exec_lo, s7
; %bb.482:                              ;   in Loop: Header=BB199_31 Depth=1
	v_bfe_u32 v1, v0, 16, 1
	s_delay_alu instid0(VALU_DEP_1)
	v_add3_u32 v124, v0, v1, 0x7fff
                                        ; implicit-def: $vgpr0
; %bb.483:                              ;   in Loop: Header=BB199_31 Depth=1
	s_and_not1_saveexec_b32 s7, s0
; %bb.484:                              ;   in Loop: Header=BB199_31 Depth=1
	v_and_b32_e32 v1, 0xffff, v0
	v_or_b32_e32 v22, 0x10000, v0
	s_delay_alu instid0(VALU_DEP_2) | instskip(NEXT) | instid1(VALU_DEP_1)
	v_cmp_eq_u32_e64 s0, 0, v1
	v_cndmask_b32_e64 v124, v22, v0, s0
; %bb.485:                              ;   in Loop: Header=BB199_31 Depth=1
	s_or_b32 exec_lo, exec_lo, s7
	v_lshlrev_b32_e32 v0, 16, v125
                                        ; implicit-def: $vgpr125
	s_delay_alu instid0(VALU_DEP_1) | instskip(NEXT) | instid1(VALU_DEP_1)
	v_mul_f32_e32 v0, v115, v0
	v_and_b32_e32 v1, 0x7f800000, v0
	s_delay_alu instid0(VALU_DEP_1) | instskip(NEXT) | instid1(VALU_DEP_1)
	v_cmp_ne_u32_e64 s0, 0x7f800000, v1
	s_and_saveexec_b32 s7, s0
	s_delay_alu instid0(SALU_CYCLE_1)
	s_xor_b32 s0, exec_lo, s7
; %bb.486:                              ;   in Loop: Header=BB199_31 Depth=1
	v_bfe_u32 v1, v0, 16, 1
	s_delay_alu instid0(VALU_DEP_1)
	v_add3_u32 v125, v0, v1, 0x7fff
                                        ; implicit-def: $vgpr0
; %bb.487:                              ;   in Loop: Header=BB199_31 Depth=1
	s_and_not1_saveexec_b32 s7, s0
; %bb.488:                              ;   in Loop: Header=BB199_31 Depth=1
	v_and_b32_e32 v1, 0xffff, v0
	v_or_b32_e32 v22, 0x10000, v0
	s_delay_alu instid0(VALU_DEP_2) | instskip(NEXT) | instid1(VALU_DEP_1)
	v_cmp_eq_u32_e64 s0, 0, v1
	v_cndmask_b32_e64 v125, v22, v0, s0
; %bb.489:                              ;   in Loop: Header=BB199_31 Depth=1
	s_or_b32 exec_lo, exec_lo, s7
	v_lshlrev_b32_e32 v0, 16, v2
                                        ; implicit-def: $vgpr126
	s_delay_alu instid0(VALU_DEP_1) | instskip(NEXT) | instid1(VALU_DEP_1)
	v_mul_f32_e32 v0, v116, v0
	v_and_b32_e32 v1, 0x7f800000, v0
	s_delay_alu instid0(VALU_DEP_1) | instskip(NEXT) | instid1(VALU_DEP_1)
	v_cmp_ne_u32_e64 s0, 0x7f800000, v1
	s_and_saveexec_b32 s7, s0
	s_delay_alu instid0(SALU_CYCLE_1)
	s_xor_b32 s0, exec_lo, s7
; %bb.490:                              ;   in Loop: Header=BB199_31 Depth=1
	v_bfe_u32 v1, v0, 16, 1
	s_delay_alu instid0(VALU_DEP_1)
	v_add3_u32 v126, v0, v1, 0x7fff
                                        ; implicit-def: $vgpr0
; %bb.491:                              ;   in Loop: Header=BB199_31 Depth=1
	s_and_not1_saveexec_b32 s7, s0
; %bb.492:                              ;   in Loop: Header=BB199_31 Depth=1
	v_and_b32_e32 v1, 0xffff, v0
	v_or_b32_e32 v2, 0x10000, v0
	s_delay_alu instid0(VALU_DEP_2) | instskip(NEXT) | instid1(VALU_DEP_1)
	v_cmp_eq_u32_e64 s0, 0, v1
	v_cndmask_b32_e64 v126, v2, v0, s0
; %bb.493:                              ;   in Loop: Header=BB199_31 Depth=1
	s_or_b32 exec_lo, exec_lo, s7
	v_lshlrev_b32_e32 v0, 16, v127
                                        ; implicit-def: $vgpr127
	s_delay_alu instid0(VALU_DEP_1) | instskip(NEXT) | instid1(VALU_DEP_1)
	v_mul_f32_e32 v0, v117, v0
	v_and_b32_e32 v1, 0x7f800000, v0
	s_delay_alu instid0(VALU_DEP_1) | instskip(NEXT) | instid1(VALU_DEP_1)
	v_cmp_ne_u32_e64 s0, 0x7f800000, v1
	s_and_saveexec_b32 s7, s0
	s_delay_alu instid0(SALU_CYCLE_1)
	s_xor_b32 s0, exec_lo, s7
; %bb.494:                              ;   in Loop: Header=BB199_31 Depth=1
	v_bfe_u32 v1, v0, 16, 1
	s_delay_alu instid0(VALU_DEP_1)
	v_add3_u32 v127, v0, v1, 0x7fff
                                        ; implicit-def: $vgpr0
; %bb.495:                              ;   in Loop: Header=BB199_31 Depth=1
	s_and_not1_saveexec_b32 s7, s0
; %bb.496:                              ;   in Loop: Header=BB199_31 Depth=1
	v_and_b32_e32 v1, 0xffff, v0
	v_or_b32_e32 v2, 0x10000, v0
	s_delay_alu instid0(VALU_DEP_2) | instskip(NEXT) | instid1(VALU_DEP_1)
	v_cmp_eq_u32_e64 s0, 0, v1
	v_cndmask_b32_e64 v127, v2, v0, s0
; %bb.497:                              ;   in Loop: Header=BB199_31 Depth=1
	s_or_b32 exec_lo, exec_lo, s7
	v_lshlrev_b32_e32 v0, 16, v3
                                        ; implicit-def: $vgpr136
	s_delay_alu instid0(VALU_DEP_1) | instskip(NEXT) | instid1(VALU_DEP_1)
	v_mul_f32_e32 v0, v118, v0
	v_and_b32_e32 v1, 0x7f800000, v0
	s_delay_alu instid0(VALU_DEP_1) | instskip(NEXT) | instid1(VALU_DEP_1)
	v_cmp_ne_u32_e64 s0, 0x7f800000, v1
	s_and_saveexec_b32 s7, s0
	s_delay_alu instid0(SALU_CYCLE_1)
	s_xor_b32 s0, exec_lo, s7
; %bb.498:                              ;   in Loop: Header=BB199_31 Depth=1
	v_bfe_u32 v1, v0, 16, 1
	s_delay_alu instid0(VALU_DEP_1)
	v_add3_u32 v136, v0, v1, 0x7fff
                                        ; implicit-def: $vgpr0
; %bb.499:                              ;   in Loop: Header=BB199_31 Depth=1
	s_and_not1_saveexec_b32 s7, s0
; %bb.500:                              ;   in Loop: Header=BB199_31 Depth=1
	v_and_b32_e32 v1, 0xffff, v0
	v_or_b32_e32 v2, 0x10000, v0
	s_delay_alu instid0(VALU_DEP_2) | instskip(NEXT) | instid1(VALU_DEP_1)
	v_cmp_eq_u32_e64 s0, 0, v1
	v_cndmask_b32_e64 v136, v2, v0, s0
; %bb.501:                              ;   in Loop: Header=BB199_31 Depth=1
	s_or_b32 exec_lo, exec_lo, s7
	v_lshlrev_b32_e32 v0, 16, v137
                                        ; implicit-def: $vgpr137
	s_delay_alu instid0(VALU_DEP_1) | instskip(NEXT) | instid1(VALU_DEP_1)
	v_mul_f32_e32 v0, v119, v0
	v_and_b32_e32 v1, 0x7f800000, v0
	s_delay_alu instid0(VALU_DEP_1) | instskip(NEXT) | instid1(VALU_DEP_1)
	v_cmp_ne_u32_e64 s0, 0x7f800000, v1
	s_and_saveexec_b32 s7, s0
	s_delay_alu instid0(SALU_CYCLE_1)
	s_xor_b32 s0, exec_lo, s7
; %bb.502:                              ;   in Loop: Header=BB199_31 Depth=1
	v_bfe_u32 v1, v0, 16, 1
	s_delay_alu instid0(VALU_DEP_1)
	v_add3_u32 v137, v0, v1, 0x7fff
                                        ; implicit-def: $vgpr0
; %bb.503:                              ;   in Loop: Header=BB199_31 Depth=1
	s_and_not1_saveexec_b32 s7, s0
; %bb.504:                              ;   in Loop: Header=BB199_31 Depth=1
	v_and_b32_e32 v1, 0xffff, v0
	v_or_b32_e32 v2, 0x10000, v0
	s_delay_alu instid0(VALU_DEP_2) | instskip(NEXT) | instid1(VALU_DEP_1)
	v_cmp_eq_u32_e64 s0, 0, v1
	v_cndmask_b32_e64 v137, v2, v0, s0
; %bb.505:                              ;   in Loop: Header=BB199_31 Depth=1
	s_or_b32 exec_lo, exec_lo, s7
	v_add_co_u32 v0, s0, v101, v53
	s_delay_alu instid0(VALU_DEP_1)
	v_add_co_ci_u32_e64 v1, s0, 0, v102, s0
	flat_load_b128 v[0:3], v[0:1]
	s_waitcnt vmcnt(0) lgkmcnt(0)
	v_lshrrev_b32_e32 v139, 16, v0
	v_lshrrev_b32_e32 v141, 16, v1
	;; [unrolled: 1-line block ×4, first 2 shown]
	s_and_saveexec_b32 s7, vcc_lo
	s_cbranch_execz .LBB199_507
; %bb.506:                              ;   in Loop: Header=BB199_31 Depth=1
	v_cmp_lt_i32_e64 s0, v85, v82
	s_delay_alu instid0(VALU_DEP_1) | instskip(SKIP_1) | instid1(VALU_DEP_1)
	v_cndmask_b32_e64 v0, 0, v0, s0
	v_cmp_lt_i32_e64 s0, v100, v82
	v_cndmask_b32_e64 v139, 0, v139, s0
	v_cmp_lt_i32_e64 s0, v98, v82
	s_delay_alu instid0(VALU_DEP_1) | instskip(SKIP_1) | instid1(VALU_DEP_1)
	v_cndmask_b32_e64 v1, 0, v1, s0
	v_cmp_lt_i32_e64 s0, v97, v82
	v_cndmask_b32_e64 v141, 0, v141, s0
	;; [unrolled: 5-line block ×4, first 2 shown]
.LBB199_507:                            ;   in Loop: Header=BB199_31 Depth=1
	s_or_b32 exec_lo, exec_lo, s7
	v_lshlrev_b32_e32 v0, 16, v0
                                        ; implicit-def: $vgpr138
	s_delay_alu instid0(VALU_DEP_1) | instskip(NEXT) | instid1(VALU_DEP_1)
	v_mul_f32_e32 v0, v112, v0
	v_and_b32_e32 v22, 0x7f800000, v0
	s_delay_alu instid0(VALU_DEP_1) | instskip(NEXT) | instid1(VALU_DEP_1)
	v_cmp_ne_u32_e64 s0, 0x7f800000, v22
	s_and_saveexec_b32 s7, s0
	s_delay_alu instid0(SALU_CYCLE_1)
	s_xor_b32 s0, exec_lo, s7
; %bb.508:                              ;   in Loop: Header=BB199_31 Depth=1
	v_bfe_u32 v22, v0, 16, 1
	s_delay_alu instid0(VALU_DEP_1)
	v_add3_u32 v138, v0, v22, 0x7fff
                                        ; implicit-def: $vgpr0
; %bb.509:                              ;   in Loop: Header=BB199_31 Depth=1
	s_and_not1_saveexec_b32 s7, s0
; %bb.510:                              ;   in Loop: Header=BB199_31 Depth=1
	v_and_b32_e32 v22, 0xffff, v0
	v_or_b32_e32 v138, 0x10000, v0
	s_delay_alu instid0(VALU_DEP_2) | instskip(NEXT) | instid1(VALU_DEP_1)
	v_cmp_eq_u32_e64 s0, 0, v22
	v_cndmask_b32_e64 v138, v138, v0, s0
; %bb.511:                              ;   in Loop: Header=BB199_31 Depth=1
	s_or_b32 exec_lo, exec_lo, s7
	v_lshlrev_b32_e32 v0, 16, v139
                                        ; implicit-def: $vgpr139
	s_delay_alu instid0(VALU_DEP_1) | instskip(NEXT) | instid1(VALU_DEP_1)
	v_mul_f32_e32 v0, v113, v0
	v_and_b32_e32 v22, 0x7f800000, v0
	s_delay_alu instid0(VALU_DEP_1) | instskip(NEXT) | instid1(VALU_DEP_1)
	v_cmp_ne_u32_e64 s0, 0x7f800000, v22
	s_and_saveexec_b32 s7, s0
	s_delay_alu instid0(SALU_CYCLE_1)
	s_xor_b32 s0, exec_lo, s7
; %bb.512:                              ;   in Loop: Header=BB199_31 Depth=1
	v_bfe_u32 v22, v0, 16, 1
	s_delay_alu instid0(VALU_DEP_1)
	v_add3_u32 v139, v0, v22, 0x7fff
                                        ; implicit-def: $vgpr0
; %bb.513:                              ;   in Loop: Header=BB199_31 Depth=1
	s_and_not1_saveexec_b32 s7, s0
; %bb.514:                              ;   in Loop: Header=BB199_31 Depth=1
	v_and_b32_e32 v22, 0xffff, v0
	v_or_b32_e32 v139, 0x10000, v0
	s_delay_alu instid0(VALU_DEP_2) | instskip(NEXT) | instid1(VALU_DEP_1)
	v_cmp_eq_u32_e64 s0, 0, v22
	v_cndmask_b32_e64 v139, v139, v0, s0
; %bb.515:                              ;   in Loop: Header=BB199_31 Depth=1
	s_or_b32 exec_lo, exec_lo, s7
	v_lshlrev_b32_e32 v0, 16, v1
                                        ; implicit-def: $vgpr140
	s_delay_alu instid0(VALU_DEP_1) | instskip(NEXT) | instid1(VALU_DEP_1)
	v_mul_f32_e32 v0, v114, v0
	v_and_b32_e32 v1, 0x7f800000, v0
	s_delay_alu instid0(VALU_DEP_1) | instskip(NEXT) | instid1(VALU_DEP_1)
	v_cmp_ne_u32_e64 s0, 0x7f800000, v1
	s_and_saveexec_b32 s7, s0
	s_delay_alu instid0(SALU_CYCLE_1)
	s_xor_b32 s0, exec_lo, s7
; %bb.516:                              ;   in Loop: Header=BB199_31 Depth=1
	v_bfe_u32 v1, v0, 16, 1
	s_delay_alu instid0(VALU_DEP_1)
	v_add3_u32 v140, v0, v1, 0x7fff
                                        ; implicit-def: $vgpr0
; %bb.517:                              ;   in Loop: Header=BB199_31 Depth=1
	s_and_not1_saveexec_b32 s7, s0
; %bb.518:                              ;   in Loop: Header=BB199_31 Depth=1
	v_and_b32_e32 v1, 0xffff, v0
	v_or_b32_e32 v22, 0x10000, v0
	s_delay_alu instid0(VALU_DEP_2) | instskip(NEXT) | instid1(VALU_DEP_1)
	v_cmp_eq_u32_e64 s0, 0, v1
	v_cndmask_b32_e64 v140, v22, v0, s0
; %bb.519:                              ;   in Loop: Header=BB199_31 Depth=1
	s_or_b32 exec_lo, exec_lo, s7
	v_lshlrev_b32_e32 v0, 16, v141
                                        ; implicit-def: $vgpr141
	s_delay_alu instid0(VALU_DEP_1) | instskip(NEXT) | instid1(VALU_DEP_1)
	v_mul_f32_e32 v0, v115, v0
	v_and_b32_e32 v1, 0x7f800000, v0
	s_delay_alu instid0(VALU_DEP_1) | instskip(NEXT) | instid1(VALU_DEP_1)
	v_cmp_ne_u32_e64 s0, 0x7f800000, v1
	s_and_saveexec_b32 s7, s0
	s_delay_alu instid0(SALU_CYCLE_1)
	s_xor_b32 s0, exec_lo, s7
; %bb.520:                              ;   in Loop: Header=BB199_31 Depth=1
	v_bfe_u32 v1, v0, 16, 1
	s_delay_alu instid0(VALU_DEP_1)
	v_add3_u32 v141, v0, v1, 0x7fff
                                        ; implicit-def: $vgpr0
; %bb.521:                              ;   in Loop: Header=BB199_31 Depth=1
	s_and_not1_saveexec_b32 s7, s0
; %bb.522:                              ;   in Loop: Header=BB199_31 Depth=1
	v_and_b32_e32 v1, 0xffff, v0
	v_or_b32_e32 v22, 0x10000, v0
	s_delay_alu instid0(VALU_DEP_2) | instskip(NEXT) | instid1(VALU_DEP_1)
	v_cmp_eq_u32_e64 s0, 0, v1
	v_cndmask_b32_e64 v141, v22, v0, s0
; %bb.523:                              ;   in Loop: Header=BB199_31 Depth=1
	s_or_b32 exec_lo, exec_lo, s7
	v_lshlrev_b32_e32 v0, 16, v2
                                        ; implicit-def: $vgpr142
	s_delay_alu instid0(VALU_DEP_1) | instskip(NEXT) | instid1(VALU_DEP_1)
	v_mul_f32_e32 v0, v116, v0
	v_and_b32_e32 v1, 0x7f800000, v0
	s_delay_alu instid0(VALU_DEP_1) | instskip(NEXT) | instid1(VALU_DEP_1)
	v_cmp_ne_u32_e64 s0, 0x7f800000, v1
	s_and_saveexec_b32 s7, s0
	s_delay_alu instid0(SALU_CYCLE_1)
	s_xor_b32 s0, exec_lo, s7
; %bb.524:                              ;   in Loop: Header=BB199_31 Depth=1
	v_bfe_u32 v1, v0, 16, 1
	s_delay_alu instid0(VALU_DEP_1)
	v_add3_u32 v142, v0, v1, 0x7fff
                                        ; implicit-def: $vgpr0
; %bb.525:                              ;   in Loop: Header=BB199_31 Depth=1
	s_and_not1_saveexec_b32 s7, s0
; %bb.526:                              ;   in Loop: Header=BB199_31 Depth=1
	v_and_b32_e32 v1, 0xffff, v0
	v_or_b32_e32 v2, 0x10000, v0
	s_delay_alu instid0(VALU_DEP_2) | instskip(NEXT) | instid1(VALU_DEP_1)
	v_cmp_eq_u32_e64 s0, 0, v1
	v_cndmask_b32_e64 v142, v2, v0, s0
; %bb.527:                              ;   in Loop: Header=BB199_31 Depth=1
	s_or_b32 exec_lo, exec_lo, s7
	v_lshlrev_b32_e32 v0, 16, v143
                                        ; implicit-def: $vgpr143
	s_delay_alu instid0(VALU_DEP_1) | instskip(NEXT) | instid1(VALU_DEP_1)
	v_mul_f32_e32 v0, v117, v0
	v_and_b32_e32 v1, 0x7f800000, v0
	s_delay_alu instid0(VALU_DEP_1) | instskip(NEXT) | instid1(VALU_DEP_1)
	v_cmp_ne_u32_e64 s0, 0x7f800000, v1
	s_and_saveexec_b32 s7, s0
	s_delay_alu instid0(SALU_CYCLE_1)
	s_xor_b32 s0, exec_lo, s7
; %bb.528:                              ;   in Loop: Header=BB199_31 Depth=1
	v_bfe_u32 v1, v0, 16, 1
	s_delay_alu instid0(VALU_DEP_1)
	v_add3_u32 v143, v0, v1, 0x7fff
                                        ; implicit-def: $vgpr0
; %bb.529:                              ;   in Loop: Header=BB199_31 Depth=1
	s_and_not1_saveexec_b32 s7, s0
; %bb.530:                              ;   in Loop: Header=BB199_31 Depth=1
	v_and_b32_e32 v1, 0xffff, v0
	v_or_b32_e32 v2, 0x10000, v0
	s_delay_alu instid0(VALU_DEP_2) | instskip(NEXT) | instid1(VALU_DEP_1)
	v_cmp_eq_u32_e64 s0, 0, v1
	v_cndmask_b32_e64 v143, v2, v0, s0
; %bb.531:                              ;   in Loop: Header=BB199_31 Depth=1
	s_or_b32 exec_lo, exec_lo, s7
	v_lshlrev_b32_e32 v0, 16, v3
                                        ; implicit-def: $vgpr152
	s_delay_alu instid0(VALU_DEP_1) | instskip(NEXT) | instid1(VALU_DEP_1)
	v_mul_f32_e32 v0, v118, v0
	v_and_b32_e32 v1, 0x7f800000, v0
	s_delay_alu instid0(VALU_DEP_1) | instskip(NEXT) | instid1(VALU_DEP_1)
	v_cmp_ne_u32_e64 s0, 0x7f800000, v1
	s_and_saveexec_b32 s7, s0
	s_delay_alu instid0(SALU_CYCLE_1)
	s_xor_b32 s0, exec_lo, s7
; %bb.532:                              ;   in Loop: Header=BB199_31 Depth=1
	v_bfe_u32 v1, v0, 16, 1
	s_delay_alu instid0(VALU_DEP_1)
	v_add3_u32 v152, v0, v1, 0x7fff
                                        ; implicit-def: $vgpr0
; %bb.533:                              ;   in Loop: Header=BB199_31 Depth=1
	s_and_not1_saveexec_b32 s7, s0
; %bb.534:                              ;   in Loop: Header=BB199_31 Depth=1
	v_and_b32_e32 v1, 0xffff, v0
	v_or_b32_e32 v2, 0x10000, v0
	s_delay_alu instid0(VALU_DEP_2) | instskip(NEXT) | instid1(VALU_DEP_1)
	v_cmp_eq_u32_e64 s0, 0, v1
	v_cndmask_b32_e64 v152, v2, v0, s0
; %bb.535:                              ;   in Loop: Header=BB199_31 Depth=1
	s_or_b32 exec_lo, exec_lo, s7
	v_lshlrev_b32_e32 v0, 16, v153
                                        ; implicit-def: $vgpr153
	s_delay_alu instid0(VALU_DEP_1) | instskip(NEXT) | instid1(VALU_DEP_1)
	v_mul_f32_e32 v0, v119, v0
	v_and_b32_e32 v1, 0x7f800000, v0
	s_delay_alu instid0(VALU_DEP_1) | instskip(NEXT) | instid1(VALU_DEP_1)
	v_cmp_ne_u32_e64 s0, 0x7f800000, v1
	s_and_saveexec_b32 s7, s0
	s_delay_alu instid0(SALU_CYCLE_1)
	s_xor_b32 s0, exec_lo, s7
; %bb.536:                              ;   in Loop: Header=BB199_31 Depth=1
	v_bfe_u32 v1, v0, 16, 1
	s_delay_alu instid0(VALU_DEP_1)
	v_add3_u32 v153, v0, v1, 0x7fff
                                        ; implicit-def: $vgpr0
; %bb.537:                              ;   in Loop: Header=BB199_31 Depth=1
	s_and_not1_saveexec_b32 s7, s0
; %bb.538:                              ;   in Loop: Header=BB199_31 Depth=1
	v_and_b32_e32 v1, 0xffff, v0
	v_or_b32_e32 v2, 0x10000, v0
	s_delay_alu instid0(VALU_DEP_2) | instskip(NEXT) | instid1(VALU_DEP_1)
	v_cmp_eq_u32_e64 s0, 0, v1
	v_cndmask_b32_e64 v153, v2, v0, s0
; %bb.539:                              ;   in Loop: Header=BB199_31 Depth=1
	s_or_b32 exec_lo, exec_lo, s7
	v_add_co_u32 v0, s0, v101, v54
	s_delay_alu instid0(VALU_DEP_1)
	v_add_co_ci_u32_e64 v1, s0, 0, v102, s0
	flat_load_b128 v[0:3], v[0:1]
	s_waitcnt vmcnt(0) lgkmcnt(0)
	v_lshrrev_b32_e32 v155, 16, v0
	v_lshrrev_b32_e32 v154, 16, v1
	;; [unrolled: 1-line block ×4, first 2 shown]
	s_and_saveexec_b32 s0, vcc_lo
	s_cbranch_execz .LBB199_541
; %bb.540:                              ;   in Loop: Header=BB199_31 Depth=1
	v_cmp_lt_i32_e32 vcc_lo, v85, v82
	v_cndmask_b32_e32 v0, 0, v0, vcc_lo
	v_cmp_lt_i32_e32 vcc_lo, v100, v82
	v_cndmask_b32_e32 v155, 0, v155, vcc_lo
	;; [unrolled: 2-line block ×8, first 2 shown]
.LBB199_541:                            ;   in Loop: Header=BB199_31 Depth=1
	s_or_b32 exec_lo, exec_lo, s0
	v_lshlrev_b32_e32 v0, 16, v0
	s_delay_alu instid0(VALU_DEP_1) | instskip(NEXT) | instid1(VALU_DEP_1)
	v_mul_f32_e32 v85, v112, v0
	v_and_b32_e32 v0, 0x7f800000, v85
	s_delay_alu instid0(VALU_DEP_1) | instskip(SKIP_1) | instid1(SALU_CYCLE_1)
	v_cmp_ne_u32_e32 vcc_lo, 0x7f800000, v0
                                        ; implicit-def: $vgpr0
	s_and_saveexec_b32 s0, vcc_lo
	s_xor_b32 s0, exec_lo, s0
; %bb.542:                              ;   in Loop: Header=BB199_31 Depth=1
	v_bfe_u32 v0, v85, 16, 1
	s_delay_alu instid0(VALU_DEP_1)
	v_add3_u32 v0, v85, v0, 0x7fff
                                        ; implicit-def: $vgpr85
; %bb.543:                              ;   in Loop: Header=BB199_31 Depth=1
	s_and_not1_saveexec_b32 s0, s0
; %bb.544:                              ;   in Loop: Header=BB199_31 Depth=1
	v_and_b32_e32 v0, 0xffff, v85
	v_or_b32_e32 v22, 0x10000, v85
	s_delay_alu instid0(VALU_DEP_2) | instskip(NEXT) | instid1(VALU_DEP_2)
	v_cmp_eq_u32_e32 vcc_lo, 0, v0
	v_cndmask_b32_e32 v0, v22, v85, vcc_lo
; %bb.545:                              ;   in Loop: Header=BB199_31 Depth=1
	s_or_b32 exec_lo, exec_lo, s0
	v_lshlrev_b32_e32 v22, 16, v155
	s_mov_b32 s0, exec_lo
                                        ; implicit-def: $vgpr85
	s_delay_alu instid0(VALU_DEP_1) | instskip(NEXT) | instid1(VALU_DEP_1)
	v_mul_f32_e32 v86, v113, v22
	v_and_b32_e32 v22, 0x7f800000, v86
	s_delay_alu instid0(VALU_DEP_1)
	v_cmpx_ne_u32_e32 0x7f800000, v22
	s_xor_b32 s0, exec_lo, s0
; %bb.546:                              ;   in Loop: Header=BB199_31 Depth=1
	v_bfe_u32 v22, v86, 16, 1
	s_delay_alu instid0(VALU_DEP_1)
	v_add3_u32 v85, v86, v22, 0x7fff
                                        ; implicit-def: $vgpr86
; %bb.547:                              ;   in Loop: Header=BB199_31 Depth=1
	s_and_not1_saveexec_b32 s0, s0
; %bb.548:                              ;   in Loop: Header=BB199_31 Depth=1
	v_and_b32_e32 v22, 0xffff, v86
	v_or_b32_e32 v85, 0x10000, v86
	s_delay_alu instid0(VALU_DEP_2) | instskip(NEXT) | instid1(VALU_DEP_2)
	v_cmp_eq_u32_e32 vcc_lo, 0, v22
	v_cndmask_b32_e32 v85, v85, v86, vcc_lo
; %bb.549:                              ;   in Loop: Header=BB199_31 Depth=1
	s_or_b32 exec_lo, exec_lo, s0
	v_lshlrev_b32_e32 v1, 16, v1
	s_delay_alu instid0(VALU_DEP_1) | instskip(NEXT) | instid1(VALU_DEP_1)
	v_mul_f32_e32 v86, v114, v1
	v_and_b32_e32 v1, 0x7f800000, v86
	s_delay_alu instid0(VALU_DEP_1) | instskip(SKIP_1) | instid1(SALU_CYCLE_1)
	v_cmp_ne_u32_e32 vcc_lo, 0x7f800000, v1
                                        ; implicit-def: $vgpr1
	s_and_saveexec_b32 s0, vcc_lo
	s_xor_b32 s0, exec_lo, s0
; %bb.550:                              ;   in Loop: Header=BB199_31 Depth=1
	v_bfe_u32 v1, v86, 16, 1
	s_delay_alu instid0(VALU_DEP_1)
	v_add3_u32 v1, v86, v1, 0x7fff
                                        ; implicit-def: $vgpr86
; %bb.551:                              ;   in Loop: Header=BB199_31 Depth=1
	s_and_not1_saveexec_b32 s0, s0
; %bb.552:                              ;   in Loop: Header=BB199_31 Depth=1
	v_and_b32_e32 v1, 0xffff, v86
	v_or_b32_e32 v22, 0x10000, v86
	s_delay_alu instid0(VALU_DEP_2) | instskip(NEXT) | instid1(VALU_DEP_2)
	v_cmp_eq_u32_e32 vcc_lo, 0, v1
	v_cndmask_b32_e32 v1, v22, v86, vcc_lo
; %bb.553:                              ;   in Loop: Header=BB199_31 Depth=1
	s_or_b32 exec_lo, exec_lo, s0
	v_lshlrev_b32_e32 v22, 16, v154
	s_mov_b32 s0, exec_lo
                                        ; implicit-def: $vgpr86
	s_delay_alu instid0(VALU_DEP_1) | instskip(NEXT) | instid1(VALU_DEP_1)
	v_mul_f32_e32 v96, v115, v22
	v_and_b32_e32 v22, 0x7f800000, v96
	s_delay_alu instid0(VALU_DEP_1)
	v_cmpx_ne_u32_e32 0x7f800000, v22
	s_xor_b32 s0, exec_lo, s0
; %bb.554:                              ;   in Loop: Header=BB199_31 Depth=1
	v_bfe_u32 v22, v96, 16, 1
	s_delay_alu instid0(VALU_DEP_1)
	v_add3_u32 v86, v96, v22, 0x7fff
                                        ; implicit-def: $vgpr96
; %bb.555:                              ;   in Loop: Header=BB199_31 Depth=1
	s_and_not1_saveexec_b32 s0, s0
; %bb.556:                              ;   in Loop: Header=BB199_31 Depth=1
	v_and_b32_e32 v22, 0xffff, v96
	v_or_b32_e32 v86, 0x10000, v96
	s_delay_alu instid0(VALU_DEP_2) | instskip(NEXT) | instid1(VALU_DEP_2)
	v_cmp_eq_u32_e32 vcc_lo, 0, v22
	v_cndmask_b32_e32 v86, v86, v96, vcc_lo
; %bb.557:                              ;   in Loop: Header=BB199_31 Depth=1
	s_or_b32 exec_lo, exec_lo, s0
	v_lshlrev_b32_e32 v2, 16, v2
	s_delay_alu instid0(VALU_DEP_1) | instskip(NEXT) | instid1(VALU_DEP_1)
	v_mul_f32_e32 v96, v116, v2
	v_and_b32_e32 v2, 0x7f800000, v96
	s_delay_alu instid0(VALU_DEP_1) | instskip(SKIP_1) | instid1(SALU_CYCLE_1)
	v_cmp_ne_u32_e32 vcc_lo, 0x7f800000, v2
                                        ; implicit-def: $vgpr2
	s_and_saveexec_b32 s0, vcc_lo
	s_xor_b32 s0, exec_lo, s0
; %bb.558:                              ;   in Loop: Header=BB199_31 Depth=1
	v_bfe_u32 v2, v96, 16, 1
	s_delay_alu instid0(VALU_DEP_1)
	v_add3_u32 v2, v96, v2, 0x7fff
                                        ; implicit-def: $vgpr96
; %bb.559:                              ;   in Loop: Header=BB199_31 Depth=1
	s_and_not1_saveexec_b32 s0, s0
; %bb.560:                              ;   in Loop: Header=BB199_31 Depth=1
	v_and_b32_e32 v2, 0xffff, v96
	v_or_b32_e32 v22, 0x10000, v96
	s_delay_alu instid0(VALU_DEP_2) | instskip(NEXT) | instid1(VALU_DEP_2)
	v_cmp_eq_u32_e32 vcc_lo, 0, v2
	v_cndmask_b32_e32 v2, v22, v96, vcc_lo
; %bb.561:                              ;   in Loop: Header=BB199_31 Depth=1
	s_or_b32 exec_lo, exec_lo, s0
	v_lshlrev_b32_e32 v22, 16, v102
	s_mov_b32 s0, exec_lo
                                        ; implicit-def: $vgpr96
	s_delay_alu instid0(VALU_DEP_1) | instskip(NEXT) | instid1(VALU_DEP_1)
	v_mul_f32_e32 v97, v117, v22
	v_and_b32_e32 v22, 0x7f800000, v97
	s_delay_alu instid0(VALU_DEP_1)
	v_cmpx_ne_u32_e32 0x7f800000, v22
	s_xor_b32 s0, exec_lo, s0
; %bb.562:                              ;   in Loop: Header=BB199_31 Depth=1
	v_bfe_u32 v22, v97, 16, 1
	s_delay_alu instid0(VALU_DEP_1)
	v_add3_u32 v96, v97, v22, 0x7fff
                                        ; implicit-def: $vgpr97
; %bb.563:                              ;   in Loop: Header=BB199_31 Depth=1
	s_and_not1_saveexec_b32 s0, s0
; %bb.564:                              ;   in Loop: Header=BB199_31 Depth=1
	v_and_b32_e32 v22, 0xffff, v97
	v_or_b32_e32 v96, 0x10000, v97
	s_delay_alu instid0(VALU_DEP_2) | instskip(NEXT) | instid1(VALU_DEP_2)
	v_cmp_eq_u32_e32 vcc_lo, 0, v22
	v_cndmask_b32_e32 v96, v96, v97, vcc_lo
; %bb.565:                              ;   in Loop: Header=BB199_31 Depth=1
	s_or_b32 exec_lo, exec_lo, s0
	v_lshlrev_b32_e32 v3, 16, v3
	s_delay_alu instid0(VALU_DEP_1) | instskip(NEXT) | instid1(VALU_DEP_1)
	v_mul_f32_e32 v97, v118, v3
	v_and_b32_e32 v3, 0x7f800000, v97
	s_delay_alu instid0(VALU_DEP_1) | instskip(SKIP_1) | instid1(SALU_CYCLE_1)
	v_cmp_ne_u32_e32 vcc_lo, 0x7f800000, v3
                                        ; implicit-def: $vgpr3
	s_and_saveexec_b32 s0, vcc_lo
	s_xor_b32 s0, exec_lo, s0
; %bb.566:                              ;   in Loop: Header=BB199_31 Depth=1
	v_bfe_u32 v3, v97, 16, 1
	s_delay_alu instid0(VALU_DEP_1)
	v_add3_u32 v3, v97, v3, 0x7fff
                                        ; implicit-def: $vgpr97
; %bb.567:                              ;   in Loop: Header=BB199_31 Depth=1
	s_and_not1_saveexec_b32 s0, s0
; %bb.568:                              ;   in Loop: Header=BB199_31 Depth=1
	v_and_b32_e32 v3, 0xffff, v97
	v_or_b32_e32 v22, 0x10000, v97
	s_delay_alu instid0(VALU_DEP_2) | instskip(NEXT) | instid1(VALU_DEP_2)
	v_cmp_eq_u32_e32 vcc_lo, 0, v3
	v_cndmask_b32_e32 v3, v22, v97, vcc_lo
; %bb.569:                              ;   in Loop: Header=BB199_31 Depth=1
	s_or_b32 exec_lo, exec_lo, s0
	v_lshlrev_b32_e32 v22, 16, v101
	s_mov_b32 s0, exec_lo
                                        ; implicit-def: $vgpr97
	s_delay_alu instid0(VALU_DEP_1) | instskip(NEXT) | instid1(VALU_DEP_1)
	v_mul_f32_e32 v98, v119, v22
	v_and_b32_e32 v22, 0x7f800000, v98
	s_delay_alu instid0(VALU_DEP_1)
	v_cmpx_ne_u32_e32 0x7f800000, v22
	s_xor_b32 s0, exec_lo, s0
; %bb.570:                              ;   in Loop: Header=BB199_31 Depth=1
	v_bfe_u32 v22, v98, 16, 1
	s_delay_alu instid0(VALU_DEP_1)
	v_add3_u32 v97, v98, v22, 0x7fff
                                        ; implicit-def: $vgpr98
; %bb.571:                              ;   in Loop: Header=BB199_31 Depth=1
	s_and_not1_saveexec_b32 s0, s0
	s_cbranch_execz .LBB199_30
; %bb.572:                              ;   in Loop: Header=BB199_31 Depth=1
	v_and_b32_e32 v22, 0xffff, v98
	v_or_b32_e32 v97, 0x10000, v98
	s_delay_alu instid0(VALU_DEP_2) | instskip(NEXT) | instid1(VALU_DEP_2)
	v_cmp_eq_u32_e32 vcc_lo, 0, v22
	v_cndmask_b32_e32 v97, v97, v98, vcc_lo
	s_branch .LBB199_30
.LBB199_573:
	s_or_b32 exec_lo, exec_lo, s3
	v_dual_mov_b32 v0, s10 :: v_dual_mov_b32 v1, s11
.LBB199_574:
	s_or_b32 exec_lo, exec_lo, s2
	s_delay_alu instid0(VALU_DEP_1)
	v_lshlrev_b64 v[0:1], 2, v[0:1]
	s_getpc_b64 s[2:3]
	s_add_u32 s2, s2, llvm.amdgcn.dynlds.offset.table@rel32@lo+4
	s_addc_u32 s3, s3, llvm.amdgcn.dynlds.offset.table@rel32@hi+12
	s_waitcnt lgkmcnt(0)
	s_waitcnt_vscnt null, 0x0
	s_barrier
	buffer_gl0_inv
	ds_bpermute_b32 v3, v16, v33
	v_add_co_u32 v0, vcc_lo, v0, s2
	v_add_co_ci_u32_e32 v1, vcc_lo, s3, v1, vcc_lo
	ds_bpermute_b32 v2, v16, v34
	ds_bpermute_b32 v7, v16, v28
	;; [unrolled: 1-line block ×3, first 2 shown]
	global_load_b32 v20, v[0:1], off
	ds_bpermute_b32 v0, v16, v32
	ds_bpermute_b32 v1, v16, v35
	;; [unrolled: 1-line block ×11, first 2 shown]
	s_waitcnt lgkmcnt(13)
	v_dual_add_f32 v3, v33, v3 :: v_dual_add_f32 v2, v34, v2
	s_waitcnt lgkmcnt(12)
	v_add_f32_e32 v7, v28, v7
	s_waitcnt lgkmcnt(10)
	v_add_f32_e32 v0, v32, v0
	;; [unrolled: 2-line block ×4, first 2 shown]
	s_waitcnt lgkmcnt(6)
	v_dual_add_f32 v4, v31, v4 :: v_dual_add_f32 v5, v30, v5
	ds_bpermute_b32 v12, v13, v3
	v_add_f32_e32 v22, v25, v10
	ds_bpermute_b32 v10, v13, v16
	s_waitcnt lgkmcnt(5)
	v_dual_add_f32 v6, v29, v6 :: v_dual_add_f32 v21, v26, v9
	v_add_f32_e32 v8, v27, v8
	s_waitcnt lgkmcnt(3)
	v_dual_add_f32 v24, v24, v11 :: v_dual_add_f32 v19, v19, v14
	s_waitcnt lgkmcnt(2)
	v_add_f32_e32 v18, v18, v15
	ds_bpermute_b32 v9, v13, v0
	ds_bpermute_b32 v11, v13, v2
	;; [unrolled: 1-line block ×12, first 2 shown]
	v_lshrrev_b32_e32 v1, 2, v187
	s_waitcnt lgkmcnt(12)
	v_add_f32_e32 v15, v16, v10
	ds_bpermute_b32 v35, v13, v18
	v_and_b32_e32 v13, 0x3c3, v158
	s_delay_alu instid0(VALU_DEP_1)
	v_cmp_eq_u32_e32 vcc_lo, 64, v13
	s_waitcnt lgkmcnt(12)
	v_add_f32_e32 v0, v0, v9
	s_waitcnt lgkmcnt(11)
	v_dual_add_f32 v14, v2, v11 :: v_dual_add_f32 v13, v3, v12
	s_waitcnt lgkmcnt(9)
	v_dual_add_f32 v12, v4, v25 :: v_dual_add_f32 v11, v5, v26
	;; [unrolled: 2-line block ×5, first 2 shown]
	v_dual_add_f32 v5, v24, v32 :: v_dual_add_f32 v4, v23, v33
	s_waitcnt lgkmcnt(0)
	v_add_f32_e32 v2, v18, v35
	v_lshlrev_b32_e32 v18, 2, v1
	s_waitcnt vmcnt(0)
	v_mad_u32_u24 v16, 0x1e0, v185, v20
	s_and_saveexec_b32 s0, vcc_lo
	s_cbranch_execz .LBB199_576
; %bb.575:
	s_delay_alu instid0(VALU_DEP_1)
	v_add3_u32 v19, v16, v18, 0xfffffc40
	ds_store_2addr_b32 v19, v0, v15 offset1:8
	ds_store_2addr_b32 v19, v14, v13 offset0:16 offset1:24
	ds_store_2addr_b32 v19, v12, v11 offset0:32 offset1:40
	;; [unrolled: 1-line block ×6, first 2 shown]
	ds_store_b32 v19, v2 offset:448
.LBB199_576:
	s_or_b32 exec_lo, exec_lo, s0
	v_cmp_eq_u32_e32 vcc_lo, 0, v17
	s_mov_b32 s2, exec_lo
	s_waitcnt lgkmcnt(0)
	s_barrier
	buffer_gl0_inv
	v_cmpx_gt_u32_e32 64, v158
	s_cbranch_execz .LBB199_594
; %bb.577:
	s_and_saveexec_b32 s0, vcc_lo
	s_cbranch_execnz .LBB199_678
; %bb.578:
	s_or_b32 exec_lo, exec_lo, s0
	s_and_saveexec_b32 s0, vcc_lo
	s_cbranch_execnz .LBB199_679
.LBB199_579:
	s_or_b32 exec_lo, exec_lo, s0
	s_and_saveexec_b32 s0, vcc_lo
	s_cbranch_execnz .LBB199_680
.LBB199_580:
	s_or_b32 exec_lo, exec_lo, s0
	s_and_saveexec_b32 s0, vcc_lo
	s_cbranch_execnz .LBB199_681
.LBB199_581:
	s_or_b32 exec_lo, exec_lo, s0
	s_and_saveexec_b32 s0, vcc_lo
	s_cbranch_execnz .LBB199_682
.LBB199_582:
	s_or_b32 exec_lo, exec_lo, s0
	s_and_saveexec_b32 s0, vcc_lo
	s_cbranch_execnz .LBB199_683
.LBB199_583:
	s_or_b32 exec_lo, exec_lo, s0
	s_and_saveexec_b32 s0, vcc_lo
	s_cbranch_execnz .LBB199_684
.LBB199_584:
	s_or_b32 exec_lo, exec_lo, s0
	s_and_saveexec_b32 s0, vcc_lo
	s_cbranch_execnz .LBB199_685
.LBB199_585:
	s_or_b32 exec_lo, exec_lo, s0
	s_and_saveexec_b32 s0, vcc_lo
	s_cbranch_execnz .LBB199_686
.LBB199_586:
	s_or_b32 exec_lo, exec_lo, s0
	s_and_saveexec_b32 s0, vcc_lo
	s_cbranch_execnz .LBB199_687
.LBB199_587:
	s_or_b32 exec_lo, exec_lo, s0
	s_and_saveexec_b32 s0, vcc_lo
	s_cbranch_execnz .LBB199_688
.LBB199_588:
	s_or_b32 exec_lo, exec_lo, s0
	s_and_saveexec_b32 s0, vcc_lo
	s_cbranch_execnz .LBB199_689
.LBB199_589:
	s_or_b32 exec_lo, exec_lo, s0
	s_and_saveexec_b32 s0, vcc_lo
	s_cbranch_execnz .LBB199_690
.LBB199_590:
	s_or_b32 exec_lo, exec_lo, s0
	s_and_saveexec_b32 s0, vcc_lo
	s_cbranch_execnz .LBB199_691
.LBB199_591:
	s_or_b32 exec_lo, exec_lo, s0
	s_and_saveexec_b32 s0, vcc_lo
	s_cbranch_execz .LBB199_593
.LBB199_592:
	v_lshl_add_u32 v17, v1, 2, v16
	ds_load_b32 v17, v17 offset:448
	s_waitcnt lgkmcnt(0)
	v_add_f32_e32 v2, v17, v2
.LBB199_593:
	s_or_b32 exec_lo, exec_lo, s0
.LBB199_594:
	s_delay_alu instid0(SALU_CYCLE_1)
	s_or_b32 exec_lo, exec_lo, s2
	v_and_b32_e32 v17, 0x3e3, v158
	s_mov_b32 s2, exec_lo
	s_barrier
	buffer_gl0_inv
	v_cmpx_eq_u32_e32 32, v17
	s_cbranch_execz .LBB199_596
; %bb.595:
	v_add3_u32 v17, v16, v18, 0xfffffe20
	ds_store_2addr_b32 v17, v0, v15 offset1:8
	ds_store_2addr_b32 v17, v14, v13 offset0:16 offset1:24
	ds_store_2addr_b32 v17, v12, v11 offset0:32 offset1:40
	;; [unrolled: 1-line block ×6, first 2 shown]
	ds_store_b32 v17, v2 offset:448
.LBB199_596:
	s_or_b32 exec_lo, exec_lo, s2
	v_cmp_gt_u32_e64 s0, 32, v158
	s_waitcnt lgkmcnt(0)
	s_barrier
	buffer_gl0_inv
	s_and_saveexec_b32 s2, s0
	s_cbranch_execz .LBB199_614
; %bb.597:
	v_lshl_add_u32 v1, v1, 2, v16
	s_and_saveexec_b32 s3, vcc_lo
	s_cbranch_execnz .LBB199_692
; %bb.598:
	s_or_b32 exec_lo, exec_lo, s3
	s_and_saveexec_b32 s3, vcc_lo
	s_cbranch_execnz .LBB199_693
.LBB199_599:
	s_or_b32 exec_lo, exec_lo, s3
	s_and_saveexec_b32 s3, vcc_lo
	s_cbranch_execnz .LBB199_694
.LBB199_600:
	s_or_b32 exec_lo, exec_lo, s3
	s_and_saveexec_b32 s3, vcc_lo
	s_cbranch_execnz .LBB199_695
.LBB199_601:
	s_or_b32 exec_lo, exec_lo, s3
	s_and_saveexec_b32 s3, vcc_lo
	s_cbranch_execnz .LBB199_696
.LBB199_602:
	s_or_b32 exec_lo, exec_lo, s3
	s_and_saveexec_b32 s3, vcc_lo
	s_cbranch_execnz .LBB199_697
.LBB199_603:
	s_or_b32 exec_lo, exec_lo, s3
	s_and_saveexec_b32 s3, vcc_lo
	s_cbranch_execnz .LBB199_698
.LBB199_604:
	s_or_b32 exec_lo, exec_lo, s3
	s_and_saveexec_b32 s3, vcc_lo
	s_cbranch_execnz .LBB199_699
.LBB199_605:
	s_or_b32 exec_lo, exec_lo, s3
	s_and_saveexec_b32 s3, vcc_lo
	s_cbranch_execnz .LBB199_700
.LBB199_606:
	s_or_b32 exec_lo, exec_lo, s3
	s_and_saveexec_b32 s3, vcc_lo
	s_cbranch_execnz .LBB199_701
.LBB199_607:
	s_or_b32 exec_lo, exec_lo, s3
	s_and_saveexec_b32 s3, vcc_lo
	s_cbranch_execnz .LBB199_702
.LBB199_608:
	s_or_b32 exec_lo, exec_lo, s3
	s_and_saveexec_b32 s3, vcc_lo
	s_cbranch_execnz .LBB199_703
.LBB199_609:
	s_or_b32 exec_lo, exec_lo, s3
	s_and_saveexec_b32 s3, vcc_lo
	s_cbranch_execnz .LBB199_704
.LBB199_610:
	s_or_b32 exec_lo, exec_lo, s3
	s_and_saveexec_b32 s3, vcc_lo
	s_cbranch_execnz .LBB199_705
.LBB199_611:
	s_or_b32 exec_lo, exec_lo, s3
	s_and_saveexec_b32 s3, vcc_lo
	s_cbranch_execz .LBB199_613
.LBB199_612:
	ds_load_b32 v1, v1 offset:448
	s_waitcnt lgkmcnt(0)
	v_add_f32_e32 v2, v1, v2
.LBB199_613:
	s_or_b32 exec_lo, exec_lo, s3
.LBB199_614:
	s_delay_alu instid0(SALU_CYCLE_1)
	s_or_b32 exec_lo, exec_lo, s2
	s_barrier
	buffer_gl0_inv
	s_and_b32 exec_lo, exec_lo, s0
	s_cbranch_execz .LBB199_677
; %bb.615:
	s_and_b32 exec_lo, exec_lo, vcc_lo
	s_cbranch_execz .LBB199_677
; %bb.616:
	v_and_b32_e32 v1, 0x7f800000, v0
	s_mov_b32 s0, exec_lo
                                        ; implicit-def: $vgpr16
	s_delay_alu instid0(VALU_DEP_1)
	v_cmpx_ne_u32_e32 0x7f800000, v1
	s_xor_b32 s0, exec_lo, s0
; %bb.617:
	v_bfe_u32 v1, v0, 16, 1
	s_delay_alu instid0(VALU_DEP_1)
	v_add3_u32 v16, v0, v1, 0x7fff
                                        ; implicit-def: $vgpr0
; %bb.618:
	s_and_not1_saveexec_b32 s0, s0
; %bb.619:
	v_and_b32_e32 v1, 0xffff, v0
	v_or_b32_e32 v16, 0x10000, v0
	s_delay_alu instid0(VALU_DEP_2) | instskip(NEXT) | instid1(VALU_DEP_2)
	v_cmp_eq_u32_e32 vcc_lo, 0, v1
	v_cndmask_b32_e32 v16, v16, v0, vcc_lo
; %bb.620:
	s_or_b32 exec_lo, exec_lo, s0
	s_mul_i32 s2, s1, s4
	s_mul_i32 s0, s6, s1
	;; [unrolled: 1-line block ×5, first 2 shown]
	s_ashr_i32 s1, s0, 31
	s_ashr_i32 s3, s2, 31
	;; [unrolled: 1-line block ×3, first 2 shown]
	s_lshl_b64 s[0:1], s[0:1], 1
	s_lshl_b64 s[2:3], s[2:3], 1
	;; [unrolled: 1-line block ×3, first 2 shown]
	v_lshrrev_b32_e32 v0, 1, v158
	s_add_u32 s0, s2, s0
	s_addc_u32 s1, s3, s1
	s_add_u32 s0, s0, s6
	s_addc_u32 s1, s1, s7
	v_and_b32_e32 v0, 0x1fe, v0
	v_add_co_u32 v1, vcc_lo, s0, v157
	v_add_co_ci_u32_e32 v17, vcc_lo, s1, v156, vcc_lo
	v_and_b32_e32 v18, 0x7f800000, v15
	s_delay_alu instid0(VALU_DEP_3) | instskip(NEXT) | instid1(VALU_DEP_3)
	v_add_co_u32 v0, vcc_lo, v1, v0
	v_add_co_ci_u32_e32 v1, vcc_lo, 0, v17, vcc_lo
	s_mov_b32 s0, exec_lo
	flat_store_d16_hi_b16 v[0:1], v16
                                        ; implicit-def: $vgpr16
	v_cmpx_ne_u32_e32 0x7f800000, v18
	s_xor_b32 s0, exec_lo, s0
; %bb.621:
	v_bfe_u32 v16, v15, 16, 1
	s_delay_alu instid0(VALU_DEP_1)
	v_add3_u32 v16, v15, v16, 0x7fff
                                        ; implicit-def: $vgpr15
; %bb.622:
	s_and_not1_saveexec_b32 s0, s0
; %bb.623:
	v_and_b32_e32 v16, 0xffff, v15
	v_or_b32_e32 v17, 0x10000, v15
	s_delay_alu instid0(VALU_DEP_2) | instskip(NEXT) | instid1(VALU_DEP_2)
	v_cmp_eq_u32_e32 vcc_lo, 0, v16
	v_cndmask_b32_e32 v16, v17, v15, vcc_lo
; %bb.624:
	s_or_b32 exec_lo, exec_lo, s0
	v_and_b32_e32 v15, 0x7f800000, v14
	flat_store_d16_hi_b16 v[0:1], v16 offset:16
	v_cmp_ne_u32_e32 vcc_lo, 0x7f800000, v15
                                        ; implicit-def: $vgpr15
	s_and_saveexec_b32 s0, vcc_lo
	s_delay_alu instid0(SALU_CYCLE_1)
	s_xor_b32 s0, exec_lo, s0
; %bb.625:
	v_bfe_u32 v15, v14, 16, 1
	s_delay_alu instid0(VALU_DEP_1)
	v_add3_u32 v15, v14, v15, 0x7fff
                                        ; implicit-def: $vgpr14
; %bb.626:
	s_and_not1_saveexec_b32 s0, s0
; %bb.627:
	v_and_b32_e32 v15, 0xffff, v14
	v_or_b32_e32 v16, 0x10000, v14
	s_delay_alu instid0(VALU_DEP_2) | instskip(NEXT) | instid1(VALU_DEP_2)
	v_cmp_eq_u32_e32 vcc_lo, 0, v15
	v_cndmask_b32_e32 v15, v16, v14, vcc_lo
; %bb.628:
	s_or_b32 exec_lo, exec_lo, s0
	v_and_b32_e32 v14, 0x7f800000, v13
	flat_store_d16_hi_b16 v[0:1], v15 offset:32
	v_cmp_ne_u32_e32 vcc_lo, 0x7f800000, v14
                                        ; implicit-def: $vgpr14
	s_and_saveexec_b32 s0, vcc_lo
	s_delay_alu instid0(SALU_CYCLE_1)
	s_xor_b32 s0, exec_lo, s0
; %bb.629:
	v_bfe_u32 v14, v13, 16, 1
	s_delay_alu instid0(VALU_DEP_1)
	v_add3_u32 v14, v13, v14, 0x7fff
                                        ; implicit-def: $vgpr13
; %bb.630:
	s_and_not1_saveexec_b32 s0, s0
; %bb.631:
	v_and_b32_e32 v14, 0xffff, v13
	v_or_b32_e32 v15, 0x10000, v13
	s_delay_alu instid0(VALU_DEP_2) | instskip(NEXT) | instid1(VALU_DEP_2)
	v_cmp_eq_u32_e32 vcc_lo, 0, v14
	v_cndmask_b32_e32 v14, v15, v13, vcc_lo
; %bb.632:
	s_or_b32 exec_lo, exec_lo, s0
	v_and_b32_e32 v13, 0x7f800000, v12
	flat_store_d16_hi_b16 v[0:1], v14 offset:48
	v_cmp_ne_u32_e32 vcc_lo, 0x7f800000, v13
                                        ; implicit-def: $vgpr13
	s_and_saveexec_b32 s0, vcc_lo
	s_delay_alu instid0(SALU_CYCLE_1)
	s_xor_b32 s0, exec_lo, s0
; %bb.633:
	v_bfe_u32 v13, v12, 16, 1
	s_delay_alu instid0(VALU_DEP_1)
	v_add3_u32 v13, v12, v13, 0x7fff
                                        ; implicit-def: $vgpr12
; %bb.634:
	s_and_not1_saveexec_b32 s0, s0
; %bb.635:
	v_and_b32_e32 v13, 0xffff, v12
	v_or_b32_e32 v14, 0x10000, v12
	s_delay_alu instid0(VALU_DEP_2) | instskip(NEXT) | instid1(VALU_DEP_2)
	v_cmp_eq_u32_e32 vcc_lo, 0, v13
	v_cndmask_b32_e32 v13, v14, v12, vcc_lo
; %bb.636:
	s_or_b32 exec_lo, exec_lo, s0
	v_and_b32_e32 v12, 0x7f800000, v11
	flat_store_d16_hi_b16 v[0:1], v13 offset:64
	v_cmp_ne_u32_e32 vcc_lo, 0x7f800000, v12
                                        ; implicit-def: $vgpr12
	s_and_saveexec_b32 s0, vcc_lo
	s_delay_alu instid0(SALU_CYCLE_1)
	s_xor_b32 s0, exec_lo, s0
; %bb.637:
	v_bfe_u32 v12, v11, 16, 1
	s_delay_alu instid0(VALU_DEP_1)
	v_add3_u32 v12, v11, v12, 0x7fff
                                        ; implicit-def: $vgpr11
; %bb.638:
	s_and_not1_saveexec_b32 s0, s0
; %bb.639:
	v_and_b32_e32 v12, 0xffff, v11
	v_or_b32_e32 v13, 0x10000, v11
	s_delay_alu instid0(VALU_DEP_2) | instskip(NEXT) | instid1(VALU_DEP_2)
	v_cmp_eq_u32_e32 vcc_lo, 0, v12
	v_cndmask_b32_e32 v12, v13, v11, vcc_lo
; %bb.640:
	s_or_b32 exec_lo, exec_lo, s0
	v_and_b32_e32 v11, 0x7f800000, v10
	flat_store_d16_hi_b16 v[0:1], v12 offset:80
	v_cmp_ne_u32_e32 vcc_lo, 0x7f800000, v11
                                        ; implicit-def: $vgpr11
	s_and_saveexec_b32 s0, vcc_lo
	s_delay_alu instid0(SALU_CYCLE_1)
	s_xor_b32 s0, exec_lo, s0
; %bb.641:
	v_bfe_u32 v11, v10, 16, 1
	s_delay_alu instid0(VALU_DEP_1)
	v_add3_u32 v11, v10, v11, 0x7fff
                                        ; implicit-def: $vgpr10
; %bb.642:
	s_and_not1_saveexec_b32 s0, s0
; %bb.643:
	v_and_b32_e32 v11, 0xffff, v10
	v_or_b32_e32 v12, 0x10000, v10
	s_delay_alu instid0(VALU_DEP_2) | instskip(NEXT) | instid1(VALU_DEP_2)
	v_cmp_eq_u32_e32 vcc_lo, 0, v11
	v_cndmask_b32_e32 v11, v12, v10, vcc_lo
; %bb.644:
	s_or_b32 exec_lo, exec_lo, s0
	v_and_b32_e32 v10, 0x7f800000, v9
	flat_store_d16_hi_b16 v[0:1], v11 offset:96
	v_cmp_ne_u32_e32 vcc_lo, 0x7f800000, v10
                                        ; implicit-def: $vgpr10
	s_and_saveexec_b32 s0, vcc_lo
	s_delay_alu instid0(SALU_CYCLE_1)
	s_xor_b32 s0, exec_lo, s0
; %bb.645:
	v_bfe_u32 v10, v9, 16, 1
	s_delay_alu instid0(VALU_DEP_1)
	v_add3_u32 v10, v9, v10, 0x7fff
                                        ; implicit-def: $vgpr9
; %bb.646:
	s_and_not1_saveexec_b32 s0, s0
; %bb.647:
	v_and_b32_e32 v10, 0xffff, v9
	v_or_b32_e32 v11, 0x10000, v9
	s_delay_alu instid0(VALU_DEP_2) | instskip(NEXT) | instid1(VALU_DEP_2)
	v_cmp_eq_u32_e32 vcc_lo, 0, v10
	v_cndmask_b32_e32 v10, v11, v9, vcc_lo
; %bb.648:
	s_or_b32 exec_lo, exec_lo, s0
	v_and_b32_e32 v9, 0x7f800000, v8
	flat_store_d16_hi_b16 v[0:1], v10 offset:112
	v_cmp_ne_u32_e32 vcc_lo, 0x7f800000, v9
                                        ; implicit-def: $vgpr9
	s_and_saveexec_b32 s0, vcc_lo
	s_delay_alu instid0(SALU_CYCLE_1)
	s_xor_b32 s0, exec_lo, s0
; %bb.649:
	v_bfe_u32 v9, v8, 16, 1
	s_delay_alu instid0(VALU_DEP_1)
	v_add3_u32 v9, v8, v9, 0x7fff
                                        ; implicit-def: $vgpr8
; %bb.650:
	s_and_not1_saveexec_b32 s0, s0
; %bb.651:
	v_and_b32_e32 v9, 0xffff, v8
	v_or_b32_e32 v10, 0x10000, v8
	s_delay_alu instid0(VALU_DEP_2) | instskip(NEXT) | instid1(VALU_DEP_2)
	v_cmp_eq_u32_e32 vcc_lo, 0, v9
	v_cndmask_b32_e32 v9, v10, v8, vcc_lo
; %bb.652:
	s_or_b32 exec_lo, exec_lo, s0
	v_and_b32_e32 v8, 0x7f800000, v7
	flat_store_d16_hi_b16 v[0:1], v9 offset:128
	v_cmp_ne_u32_e32 vcc_lo, 0x7f800000, v8
                                        ; implicit-def: $vgpr8
	s_and_saveexec_b32 s0, vcc_lo
	s_delay_alu instid0(SALU_CYCLE_1)
	s_xor_b32 s0, exec_lo, s0
; %bb.653:
	v_bfe_u32 v8, v7, 16, 1
	s_delay_alu instid0(VALU_DEP_1)
	v_add3_u32 v8, v7, v8, 0x7fff
                                        ; implicit-def: $vgpr7
; %bb.654:
	s_and_not1_saveexec_b32 s0, s0
; %bb.655:
	v_and_b32_e32 v8, 0xffff, v7
	v_or_b32_e32 v9, 0x10000, v7
	s_delay_alu instid0(VALU_DEP_2) | instskip(NEXT) | instid1(VALU_DEP_2)
	v_cmp_eq_u32_e32 vcc_lo, 0, v8
	v_cndmask_b32_e32 v8, v9, v7, vcc_lo
; %bb.656:
	s_or_b32 exec_lo, exec_lo, s0
	v_and_b32_e32 v7, 0x7f800000, v6
	flat_store_d16_hi_b16 v[0:1], v8 offset:144
	v_cmp_ne_u32_e32 vcc_lo, 0x7f800000, v7
                                        ; implicit-def: $vgpr7
	s_and_saveexec_b32 s0, vcc_lo
	s_delay_alu instid0(SALU_CYCLE_1)
	s_xor_b32 s0, exec_lo, s0
; %bb.657:
	v_bfe_u32 v7, v6, 16, 1
	s_delay_alu instid0(VALU_DEP_1)
	v_add3_u32 v7, v6, v7, 0x7fff
                                        ; implicit-def: $vgpr6
; %bb.658:
	s_and_not1_saveexec_b32 s0, s0
; %bb.659:
	v_and_b32_e32 v7, 0xffff, v6
	v_or_b32_e32 v8, 0x10000, v6
	s_delay_alu instid0(VALU_DEP_2) | instskip(NEXT) | instid1(VALU_DEP_2)
	v_cmp_eq_u32_e32 vcc_lo, 0, v7
	v_cndmask_b32_e32 v7, v8, v6, vcc_lo
; %bb.660:
	s_or_b32 exec_lo, exec_lo, s0
	v_and_b32_e32 v6, 0x7f800000, v5
	flat_store_d16_hi_b16 v[0:1], v7 offset:160
	v_cmp_ne_u32_e32 vcc_lo, 0x7f800000, v6
                                        ; implicit-def: $vgpr6
	s_and_saveexec_b32 s0, vcc_lo
	s_delay_alu instid0(SALU_CYCLE_1)
	s_xor_b32 s0, exec_lo, s0
; %bb.661:
	v_bfe_u32 v6, v5, 16, 1
	s_delay_alu instid0(VALU_DEP_1)
	v_add3_u32 v6, v5, v6, 0x7fff
                                        ; implicit-def: $vgpr5
; %bb.662:
	s_and_not1_saveexec_b32 s0, s0
; %bb.663:
	v_and_b32_e32 v6, 0xffff, v5
	v_or_b32_e32 v7, 0x10000, v5
	s_delay_alu instid0(VALU_DEP_2) | instskip(NEXT) | instid1(VALU_DEP_2)
	v_cmp_eq_u32_e32 vcc_lo, 0, v6
	v_cndmask_b32_e32 v6, v7, v5, vcc_lo
; %bb.664:
	s_or_b32 exec_lo, exec_lo, s0
	v_and_b32_e32 v5, 0x7f800000, v4
	flat_store_d16_hi_b16 v[0:1], v6 offset:176
	v_cmp_ne_u32_e32 vcc_lo, 0x7f800000, v5
                                        ; implicit-def: $vgpr5
	s_and_saveexec_b32 s0, vcc_lo
	s_delay_alu instid0(SALU_CYCLE_1)
	s_xor_b32 s0, exec_lo, s0
; %bb.665:
	v_bfe_u32 v5, v4, 16, 1
	s_delay_alu instid0(VALU_DEP_1)
	v_add3_u32 v5, v4, v5, 0x7fff
                                        ; implicit-def: $vgpr4
; %bb.666:
	s_and_not1_saveexec_b32 s0, s0
; %bb.667:
	v_and_b32_e32 v5, 0xffff, v4
	v_or_b32_e32 v6, 0x10000, v4
	s_delay_alu instid0(VALU_DEP_2) | instskip(NEXT) | instid1(VALU_DEP_2)
	v_cmp_eq_u32_e32 vcc_lo, 0, v5
	v_cndmask_b32_e32 v5, v6, v4, vcc_lo
; %bb.668:
	s_or_b32 exec_lo, exec_lo, s0
	v_and_b32_e32 v4, 0x7f800000, v3
	flat_store_d16_hi_b16 v[0:1], v5 offset:192
	v_cmp_ne_u32_e32 vcc_lo, 0x7f800000, v4
                                        ; implicit-def: $vgpr4
	s_and_saveexec_b32 s0, vcc_lo
	s_delay_alu instid0(SALU_CYCLE_1)
	s_xor_b32 s0, exec_lo, s0
; %bb.669:
	v_bfe_u32 v4, v3, 16, 1
	s_delay_alu instid0(VALU_DEP_1)
	v_add3_u32 v4, v3, v4, 0x7fff
                                        ; implicit-def: $vgpr3
; %bb.670:
	s_and_not1_saveexec_b32 s0, s0
; %bb.671:
	v_and_b32_e32 v4, 0xffff, v3
	v_or_b32_e32 v5, 0x10000, v3
	s_delay_alu instid0(VALU_DEP_2) | instskip(NEXT) | instid1(VALU_DEP_2)
	v_cmp_eq_u32_e32 vcc_lo, 0, v4
	v_cndmask_b32_e32 v4, v5, v3, vcc_lo
; %bb.672:
	s_or_b32 exec_lo, exec_lo, s0
	v_and_b32_e32 v3, 0x7f800000, v2
	flat_store_d16_hi_b16 v[0:1], v4 offset:208
	v_cmp_ne_u32_e32 vcc_lo, 0x7f800000, v3
                                        ; implicit-def: $vgpr3
	s_and_saveexec_b32 s0, vcc_lo
	s_delay_alu instid0(SALU_CYCLE_1)
	s_xor_b32 s0, exec_lo, s0
; %bb.673:
	v_bfe_u32 v3, v2, 16, 1
	s_delay_alu instid0(VALU_DEP_1)
	v_add3_u32 v3, v2, v3, 0x7fff
                                        ; implicit-def: $vgpr2
; %bb.674:
	s_and_not1_saveexec_b32 s0, s0
; %bb.675:
	v_and_b32_e32 v3, 0xffff, v2
	v_or_b32_e32 v4, 0x10000, v2
	s_delay_alu instid0(VALU_DEP_2) | instskip(NEXT) | instid1(VALU_DEP_2)
	v_cmp_eq_u32_e32 vcc_lo, 0, v3
	v_cndmask_b32_e32 v3, v4, v2, vcc_lo
; %bb.676:
	s_or_b32 exec_lo, exec_lo, s0
	flat_store_d16_hi_b16 v[0:1], v3 offset:224
.LBB199_677:
	s_or_b32 exec_lo, exec_lo, s5
	s_clause 0x1f
	scratch_load_b32 v191, off, s32
	scratch_load_b32 v190, off, s32 offset:4
	scratch_load_b32 v189, off, s32 offset:8
	;; [unrolled: 1-line block ×31, first 2 shown]
	s_clause 0x1f
	scratch_load_b32 v127, off, s32 offset:128
	scratch_load_b32 v126, off, s32 offset:132
	;; [unrolled: 1-line block ×32, first 2 shown]
	s_clause 0xf
	scratch_load_b32 v63, off, s32 offset:256
	scratch_load_b32 v62, off, s32 offset:260
	;; [unrolled: 1-line block ×16, first 2 shown]
	s_waitcnt vmcnt(0) lgkmcnt(0)
	s_setpc_b64 s[30:31]
.LBB199_678:
	v_lshl_add_u32 v17, v1, 2, v16
	ds_load_b32 v17, v17
	s_waitcnt lgkmcnt(0)
	v_add_f32_e32 v0, v17, v0
	s_or_b32 exec_lo, exec_lo, s0
	s_and_saveexec_b32 s0, vcc_lo
	s_cbranch_execz .LBB199_579
.LBB199_679:
	v_lshl_add_u32 v17, v1, 2, v16
	ds_load_b32 v17, v17 offset:32
	s_waitcnt lgkmcnt(0)
	v_add_f32_e32 v15, v17, v15
	s_or_b32 exec_lo, exec_lo, s0
	s_and_saveexec_b32 s0, vcc_lo
	s_cbranch_execz .LBB199_580
.LBB199_680:
	v_lshl_add_u32 v17, v1, 2, v16
	ds_load_b32 v17, v17 offset:64
	s_waitcnt lgkmcnt(0)
	v_add_f32_e32 v14, v17, v14
	s_or_b32 exec_lo, exec_lo, s0
	s_and_saveexec_b32 s0, vcc_lo
	s_cbranch_execz .LBB199_581
.LBB199_681:
	v_lshl_add_u32 v17, v1, 2, v16
	ds_load_b32 v17, v17 offset:96
	s_waitcnt lgkmcnt(0)
	v_add_f32_e32 v13, v17, v13
	s_or_b32 exec_lo, exec_lo, s0
	s_and_saveexec_b32 s0, vcc_lo
	s_cbranch_execz .LBB199_582
.LBB199_682:
	v_lshl_add_u32 v17, v1, 2, v16
	ds_load_b32 v17, v17 offset:128
	s_waitcnt lgkmcnt(0)
	v_add_f32_e32 v12, v17, v12
	s_or_b32 exec_lo, exec_lo, s0
	s_and_saveexec_b32 s0, vcc_lo
	s_cbranch_execz .LBB199_583
.LBB199_683:
	v_lshl_add_u32 v17, v1, 2, v16
	ds_load_b32 v17, v17 offset:160
	s_waitcnt lgkmcnt(0)
	v_add_f32_e32 v11, v17, v11
	s_or_b32 exec_lo, exec_lo, s0
	s_and_saveexec_b32 s0, vcc_lo
	s_cbranch_execz .LBB199_584
.LBB199_684:
	v_lshl_add_u32 v17, v1, 2, v16
	ds_load_b32 v17, v17 offset:192
	s_waitcnt lgkmcnt(0)
	v_add_f32_e32 v10, v17, v10
	s_or_b32 exec_lo, exec_lo, s0
	s_and_saveexec_b32 s0, vcc_lo
	s_cbranch_execz .LBB199_585
.LBB199_685:
	v_lshl_add_u32 v17, v1, 2, v16
	ds_load_b32 v17, v17 offset:224
	s_waitcnt lgkmcnt(0)
	v_add_f32_e32 v9, v17, v9
	s_or_b32 exec_lo, exec_lo, s0
	s_and_saveexec_b32 s0, vcc_lo
	s_cbranch_execz .LBB199_586
.LBB199_686:
	v_lshl_add_u32 v17, v1, 2, v16
	ds_load_b32 v17, v17 offset:256
	s_waitcnt lgkmcnt(0)
	v_add_f32_e32 v8, v17, v8
	s_or_b32 exec_lo, exec_lo, s0
	s_and_saveexec_b32 s0, vcc_lo
	s_cbranch_execz .LBB199_587
.LBB199_687:
	v_lshl_add_u32 v17, v1, 2, v16
	ds_load_b32 v17, v17 offset:288
	s_waitcnt lgkmcnt(0)
	v_add_f32_e32 v7, v17, v7
	s_or_b32 exec_lo, exec_lo, s0
	s_and_saveexec_b32 s0, vcc_lo
	s_cbranch_execz .LBB199_588
.LBB199_688:
	v_lshl_add_u32 v17, v1, 2, v16
	ds_load_b32 v17, v17 offset:320
	s_waitcnt lgkmcnt(0)
	v_add_f32_e32 v6, v17, v6
	s_or_b32 exec_lo, exec_lo, s0
	s_and_saveexec_b32 s0, vcc_lo
	s_cbranch_execz .LBB199_589
.LBB199_689:
	v_lshl_add_u32 v17, v1, 2, v16
	ds_load_b32 v17, v17 offset:352
	s_waitcnt lgkmcnt(0)
	v_add_f32_e32 v5, v17, v5
	s_or_b32 exec_lo, exec_lo, s0
	s_and_saveexec_b32 s0, vcc_lo
	s_cbranch_execz .LBB199_590
.LBB199_690:
	v_lshl_add_u32 v17, v1, 2, v16
	ds_load_b32 v17, v17 offset:384
	s_waitcnt lgkmcnt(0)
	v_add_f32_e32 v4, v17, v4
	s_or_b32 exec_lo, exec_lo, s0
	s_and_saveexec_b32 s0, vcc_lo
	s_cbranch_execz .LBB199_591
.LBB199_691:
	v_lshl_add_u32 v17, v1, 2, v16
	ds_load_b32 v17, v17 offset:416
	s_waitcnt lgkmcnt(0)
	v_add_f32_e32 v3, v17, v3
	s_or_b32 exec_lo, exec_lo, s0
	s_and_saveexec_b32 s0, vcc_lo
	s_cbranch_execnz .LBB199_592
	s_branch .LBB199_593
.LBB199_692:
	ds_load_b32 v16, v1
	s_waitcnt lgkmcnt(0)
	v_add_f32_e32 v0, v16, v0
	s_or_b32 exec_lo, exec_lo, s3
	s_and_saveexec_b32 s3, vcc_lo
	s_cbranch_execz .LBB199_599
.LBB199_693:
	ds_load_b32 v16, v1 offset:32
	s_waitcnt lgkmcnt(0)
	v_add_f32_e32 v15, v16, v15
	s_or_b32 exec_lo, exec_lo, s3
	s_and_saveexec_b32 s3, vcc_lo
	s_cbranch_execz .LBB199_600
.LBB199_694:
	ds_load_b32 v16, v1 offset:64
	s_waitcnt lgkmcnt(0)
	v_add_f32_e32 v14, v16, v14
	s_or_b32 exec_lo, exec_lo, s3
	s_and_saveexec_b32 s3, vcc_lo
	s_cbranch_execz .LBB199_601
.LBB199_695:
	ds_load_b32 v16, v1 offset:96
	s_waitcnt lgkmcnt(0)
	v_add_f32_e32 v13, v16, v13
	s_or_b32 exec_lo, exec_lo, s3
	s_and_saveexec_b32 s3, vcc_lo
	s_cbranch_execz .LBB199_602
.LBB199_696:
	ds_load_b32 v16, v1 offset:128
	s_waitcnt lgkmcnt(0)
	v_add_f32_e32 v12, v16, v12
	s_or_b32 exec_lo, exec_lo, s3
	s_and_saveexec_b32 s3, vcc_lo
	s_cbranch_execz .LBB199_603
.LBB199_697:
	ds_load_b32 v16, v1 offset:160
	s_waitcnt lgkmcnt(0)
	v_add_f32_e32 v11, v16, v11
	s_or_b32 exec_lo, exec_lo, s3
	s_and_saveexec_b32 s3, vcc_lo
	s_cbranch_execz .LBB199_604
.LBB199_698:
	ds_load_b32 v16, v1 offset:192
	s_waitcnt lgkmcnt(0)
	v_add_f32_e32 v10, v16, v10
	s_or_b32 exec_lo, exec_lo, s3
	s_and_saveexec_b32 s3, vcc_lo
	s_cbranch_execz .LBB199_605
.LBB199_699:
	ds_load_b32 v16, v1 offset:224
	s_waitcnt lgkmcnt(0)
	v_add_f32_e32 v9, v16, v9
	s_or_b32 exec_lo, exec_lo, s3
	s_and_saveexec_b32 s3, vcc_lo
	s_cbranch_execz .LBB199_606
.LBB199_700:
	ds_load_b32 v16, v1 offset:256
	s_waitcnt lgkmcnt(0)
	v_add_f32_e32 v8, v16, v8
	s_or_b32 exec_lo, exec_lo, s3
	s_and_saveexec_b32 s3, vcc_lo
	s_cbranch_execz .LBB199_607
.LBB199_701:
	ds_load_b32 v16, v1 offset:288
	s_waitcnt lgkmcnt(0)
	v_add_f32_e32 v7, v16, v7
	s_or_b32 exec_lo, exec_lo, s3
	s_and_saveexec_b32 s3, vcc_lo
	s_cbranch_execz .LBB199_608
.LBB199_702:
	ds_load_b32 v16, v1 offset:320
	s_waitcnt lgkmcnt(0)
	v_add_f32_e32 v6, v16, v6
	s_or_b32 exec_lo, exec_lo, s3
	s_and_saveexec_b32 s3, vcc_lo
	s_cbranch_execz .LBB199_609
.LBB199_703:
	ds_load_b32 v16, v1 offset:352
	s_waitcnt lgkmcnt(0)
	v_add_f32_e32 v5, v16, v5
	s_or_b32 exec_lo, exec_lo, s3
	s_and_saveexec_b32 s3, vcc_lo
	s_cbranch_execz .LBB199_610
.LBB199_704:
	ds_load_b32 v16, v1 offset:384
	s_waitcnt lgkmcnt(0)
	v_add_f32_e32 v4, v16, v4
	s_or_b32 exec_lo, exec_lo, s3
	s_and_saveexec_b32 s3, vcc_lo
	s_cbranch_execz .LBB199_611
.LBB199_705:
	ds_load_b32 v16, v1 offset:416
	s_waitcnt lgkmcnt(0)
	v_add_f32_e32 v3, v16, v3
	s_or_b32 exec_lo, exec_lo, s3
	s_and_saveexec_b32 s3, vcc_lo
	s_cbranch_execnz .LBB199_612
	s_branch .LBB199_613
.Lfunc_end199:
	.size	_ZN4vllm22paged_attention_kernelI14__hip_bfloat16S1_Li120ELi32ELi128ELNS_18Fp8KVCacheDataTypeE0ELb0ELi512EEEvPfS3_PT_PKS4_PKT0_SA_ifPKiSC_iPKfiiiSE_SE_iiiii, .Lfunc_end199-_ZN4vllm22paged_attention_kernelI14__hip_bfloat16S1_Li120ELi32ELi128ELNS_18Fp8KVCacheDataTypeE0ELb0ELi512EEEvPfS3_PT_PKS4_PKT0_SA_ifPKiSC_iPKfiiiSE_SE_iiiii
                                        ; -- End function
	.section	.AMDGPU.csdata,"",@progbits
; Function info:
; codeLenInByte = 30244
; NumSgprs: 35
; NumVgprs: 192
; ScratchSize: 456
; MemoryBound: 0
	.section	.text._ZN4vllm25paged_attention_v2_kernelI14__hip_bfloat16S1_Li120ELi32ELi128ELNS_18Fp8KVCacheDataTypeE0ELb0ELi512EEEvPfS3_PT_PKS4_PKT0_SA_ifPKiSC_iPKfiiiSE_SE_iiiii,"axG",@progbits,_ZN4vllm25paged_attention_v2_kernelI14__hip_bfloat16S1_Li120ELi32ELi128ELNS_18Fp8KVCacheDataTypeE0ELb0ELi512EEEvPfS3_PT_PKS4_PKT0_SA_ifPKiSC_iPKfiiiSE_SE_iiiii,comdat
	.protected	_ZN4vllm25paged_attention_v2_kernelI14__hip_bfloat16S1_Li120ELi32ELi128ELNS_18Fp8KVCacheDataTypeE0ELb0ELi512EEEvPfS3_PT_PKS4_PKT0_SA_ifPKiSC_iPKfiiiSE_SE_iiiii ; -- Begin function _ZN4vllm25paged_attention_v2_kernelI14__hip_bfloat16S1_Li120ELi32ELi128ELNS_18Fp8KVCacheDataTypeE0ELb0ELi512EEEvPfS3_PT_PKS4_PKT0_SA_ifPKiSC_iPKfiiiSE_SE_iiiii
	.globl	_ZN4vllm25paged_attention_v2_kernelI14__hip_bfloat16S1_Li120ELi32ELi128ELNS_18Fp8KVCacheDataTypeE0ELb0ELi512EEEvPfS3_PT_PKS4_PKT0_SA_ifPKiSC_iPKfiiiSE_SE_iiiii
	.p2align	8
	.type	_ZN4vllm25paged_attention_v2_kernelI14__hip_bfloat16S1_Li120ELi32ELi128ELNS_18Fp8KVCacheDataTypeE0ELb0ELi512EEEvPfS3_PT_PKS4_PKT0_SA_ifPKiSC_iPKfiiiSE_SE_iiiii,@function
_ZN4vllm25paged_attention_v2_kernelI14__hip_bfloat16S1_Li120ELi32ELi128ELNS_18Fp8KVCacheDataTypeE0ELb0ELi512EEEvPfS3_PT_PKS4_PKT0_SA_ifPKiSC_iPKfiiiSE_SE_iiiii: ; @_ZN4vllm25paged_attention_v2_kernelI14__hip_bfloat16S1_Li120ELi32ELi128ELNS_18Fp8KVCacheDataTypeE0ELb0ELi512EEEvPfS3_PT_PKS4_PKT0_SA_ifPKiSC_iPKfiiiSE_SE_iiiii
; %bb.0:
	s_mov_b32 s12, s13
	s_clause 0x5
	s_load_b256 s[24:31], s[0:1], 0x0
	s_load_b256 s[16:23], s[0:1], 0x20
	s_load_b64 s[2:3], s[0:1], 0x40
	s_load_b64 s[10:11], s[0:1], 0x50
	s_load_b32 s13, s[0:1], 0x48
	s_load_b128 s[4:7], s[0:1], 0x58
	v_mov_b32_e32 v31, v0
	s_add_u32 s8, s0, 0x90
	s_addc_u32 s9, s1, 0
	s_mov_b32 s32, 0
	s_getpc_b64 s[0:1]
	s_add_u32 s0, s0, _ZN4vllm22paged_attention_kernelI14__hip_bfloat16S1_Li120ELi32ELi128ELNS_18Fp8KVCacheDataTypeE0ELb0ELi512EEEvPfS3_PT_PKS4_PKT0_SA_ifPKiSC_iPKfiiiSE_SE_iiiii@rel32@lo+4
	s_addc_u32 s1, s1, _ZN4vllm22paged_attention_kernelI14__hip_bfloat16S1_Li120ELi32ELi128ELNS_18Fp8KVCacheDataTypeE0ELb0ELi512EEEvPfS3_PT_PKS4_PKT0_SA_ifPKiSC_iPKfiiiSE_SE_iiiii@rel32@hi+12
	s_waitcnt lgkmcnt(0)
	v_dual_mov_b32 v0, s24 :: v_dual_mov_b32 v1, s25
	v_dual_mov_b32 v2, s26 :: v_dual_mov_b32 v3, s27
	;; [unrolled: 1-line block ×12, first 2 shown]
	s_mov_b32 s13, s14
	s_mov_b32 s14, s15
	;; [unrolled: 1-line block ×3, first 2 shown]
	s_swappc_b64 s[30:31], s[0:1]
	s_endpgm
	.section	.rodata,"a",@progbits
	.p2align	6, 0x0
	.amdhsa_kernel _ZN4vllm25paged_attention_v2_kernelI14__hip_bfloat16S1_Li120ELi32ELi128ELNS_18Fp8KVCacheDataTypeE0ELb0ELi512EEEvPfS3_PT_PKS4_PKT0_SA_ifPKiSC_iPKfiiiSE_SE_iiiii
		.amdhsa_group_segment_fixed_size 272
		.amdhsa_private_segment_fixed_size 456
		.amdhsa_kernarg_size 400
		.amdhsa_user_sgpr_count 13
		.amdhsa_user_sgpr_dispatch_ptr 0
		.amdhsa_user_sgpr_queue_ptr 0
		.amdhsa_user_sgpr_kernarg_segment_ptr 1
		.amdhsa_user_sgpr_dispatch_id 0
		.amdhsa_user_sgpr_private_segment_size 0
		.amdhsa_wavefront_size32 1
		.amdhsa_uses_dynamic_stack 0
		.amdhsa_enable_private_segment 1
		.amdhsa_system_sgpr_workgroup_id_x 1
		.amdhsa_system_sgpr_workgroup_id_y 1
		.amdhsa_system_sgpr_workgroup_id_z 1
		.amdhsa_system_sgpr_workgroup_info 0
		.amdhsa_system_vgpr_workitem_id 0
		.amdhsa_next_free_vgpr 192
		.amdhsa_next_free_sgpr 33
		.amdhsa_reserve_vcc 1
		.amdhsa_float_round_mode_32 0
		.amdhsa_float_round_mode_16_64 0
		.amdhsa_float_denorm_mode_32 3
		.amdhsa_float_denorm_mode_16_64 3
		.amdhsa_dx10_clamp 1
		.amdhsa_ieee_mode 1
		.amdhsa_fp16_overflow 0
		.amdhsa_workgroup_processor_mode 1
		.amdhsa_memory_ordered 1
		.amdhsa_forward_progress 0
		.amdhsa_shared_vgpr_count 0
		.amdhsa_exception_fp_ieee_invalid_op 0
		.amdhsa_exception_fp_denorm_src 0
		.amdhsa_exception_fp_ieee_div_zero 0
		.amdhsa_exception_fp_ieee_overflow 0
		.amdhsa_exception_fp_ieee_underflow 0
		.amdhsa_exception_fp_ieee_inexact 0
		.amdhsa_exception_int_div_zero 0
	.end_amdhsa_kernel
	.section	.text._ZN4vllm25paged_attention_v2_kernelI14__hip_bfloat16S1_Li120ELi32ELi128ELNS_18Fp8KVCacheDataTypeE0ELb0ELi512EEEvPfS3_PT_PKS4_PKT0_SA_ifPKiSC_iPKfiiiSE_SE_iiiii,"axG",@progbits,_ZN4vllm25paged_attention_v2_kernelI14__hip_bfloat16S1_Li120ELi32ELi128ELNS_18Fp8KVCacheDataTypeE0ELb0ELi512EEEvPfS3_PT_PKS4_PKT0_SA_ifPKiSC_iPKfiiiSE_SE_iiiii,comdat
.Lfunc_end200:
	.size	_ZN4vllm25paged_attention_v2_kernelI14__hip_bfloat16S1_Li120ELi32ELi128ELNS_18Fp8KVCacheDataTypeE0ELb0ELi512EEEvPfS3_PT_PKS4_PKT0_SA_ifPKiSC_iPKfiiiSE_SE_iiiii, .Lfunc_end200-_ZN4vllm25paged_attention_v2_kernelI14__hip_bfloat16S1_Li120ELi32ELi128ELNS_18Fp8KVCacheDataTypeE0ELb0ELi512EEEvPfS3_PT_PKS4_PKT0_SA_ifPKiSC_iPKfiiiSE_SE_iiiii
                                        ; -- End function
	.section	.AMDGPU.csdata,"",@progbits
; Kernel info:
; codeLenInByte = 216
; NumSgprs: 35
; NumVgprs: 192
; ScratchSize: 456
; MemoryBound: 0
; FloatMode: 240
; IeeeMode: 1
; LDSByteSize: 272 bytes/workgroup (compile time only)
; SGPRBlocks: 4
; VGPRBlocks: 23
; NumSGPRsForWavesPerEU: 35
; NumVGPRsForWavesPerEU: 192
; Occupancy: 8
; WaveLimiterHint : 1
; COMPUTE_PGM_RSRC2:SCRATCH_EN: 1
; COMPUTE_PGM_RSRC2:USER_SGPR: 13
; COMPUTE_PGM_RSRC2:TRAP_HANDLER: 0
; COMPUTE_PGM_RSRC2:TGID_X_EN: 1
; COMPUTE_PGM_RSRC2:TGID_Y_EN: 1
; COMPUTE_PGM_RSRC2:TGID_Z_EN: 1
; COMPUTE_PGM_RSRC2:TIDIG_COMP_CNT: 0
	.text
	.p2align	2                               ; -- Begin function _ZN4vllm22paged_attention_kernelI14__hip_bfloat16S1_Li128ELi32ELi128ELNS_18Fp8KVCacheDataTypeE0ELb0ELi512EEEvPfS3_PT_PKS4_PKT0_SA_ifPKiSC_iPKfiiiSE_SE_iiiii
	.type	_ZN4vllm22paged_attention_kernelI14__hip_bfloat16S1_Li128ELi32ELi128ELNS_18Fp8KVCacheDataTypeE0ELb0ELi512EEEvPfS3_PT_PKS4_PKT0_SA_ifPKiSC_iPKfiiiSE_SE_iiiii,@function
_ZN4vllm22paged_attention_kernelI14__hip_bfloat16S1_Li128ELi32ELi128ELNS_18Fp8KVCacheDataTypeE0ELb0ELi512EEEvPfS3_PT_PKS4_PKT0_SA_ifPKiSC_iPKfiiiSE_SE_iiiii: ; @_ZN4vllm22paged_attention_kernelI14__hip_bfloat16S1_Li128ELi32ELi128ELNS_18Fp8KVCacheDataTypeE0ELb0ELi512EEEvPfS3_PT_PKS4_PKT0_SA_ifPKiSC_iPKfiiiSE_SE_iiiii
; %bb.0:
	s_waitcnt vmcnt(0) expcnt(0) lgkmcnt(0)
	s_clause 0x1f
	scratch_store_b32 off, v40, s32 offset:316
	; meta instruction
	scratch_store_b32 off, v41, s32 offset:312
	; meta instruction
	;; [unrolled: 2-line block ×31, first 2 shown]
	scratch_store_b32 off, v95, s32 offset:192
	s_clause 0x1f
	scratch_store_b32 off, v104, s32 offset:188
	; meta instruction
	scratch_store_b32 off, v105, s32 offset:184
	; meta instruction
	scratch_store_b32 off, v106, s32 offset:180
	; meta instruction
	scratch_store_b32 off, v107, s32 offset:176
	; meta instruction
	scratch_store_b32 off, v108, s32 offset:172
	; meta instruction
	scratch_store_b32 off, v109, s32 offset:168
	; meta instruction
	scratch_store_b32 off, v110, s32 offset:164
	; meta instruction
	scratch_store_b32 off, v111, s32 offset:160
	; meta instruction
	scratch_store_b32 off, v120, s32 offset:156
	; meta instruction
	scratch_store_b32 off, v121, s32 offset:152
	; meta instruction
	scratch_store_b32 off, v122, s32 offset:148
	; meta instruction
	scratch_store_b32 off, v123, s32 offset:144
	; meta instruction
	scratch_store_b32 off, v124, s32 offset:140
	; meta instruction
	scratch_store_b32 off, v125, s32 offset:136
	; meta instruction
	scratch_store_b32 off, v126, s32 offset:132
	; meta instruction
	scratch_store_b32 off, v127, s32 offset:128
	; meta instruction
	scratch_store_b32 off, v136, s32 offset:124
	; meta instruction
	scratch_store_b32 off, v137, s32 offset:120
	; meta instruction
	scratch_store_b32 off, v138, s32 offset:116
	; meta instruction
	scratch_store_b32 off, v139, s32 offset:112
	; meta instruction
	scratch_store_b32 off, v140, s32 offset:108
	; meta instruction
	scratch_store_b32 off, v141, s32 offset:104
	; meta instruction
	scratch_store_b32 off, v142, s32 offset:100
	; meta instruction
	scratch_store_b32 off, v143, s32 offset:96
	; meta instruction
	scratch_store_b32 off, v152, s32 offset:92
	; meta instruction
	scratch_store_b32 off, v153, s32 offset:88
	; meta instruction
	scratch_store_b32 off, v154, s32 offset:84
	; meta instruction
	scratch_store_b32 off, v155, s32 offset:80
	; meta instruction
	scratch_store_b32 off, v156, s32 offset:76
	; meta instruction
	scratch_store_b32 off, v157, s32 offset:72
	; meta instruction
	scratch_store_b32 off, v158, s32 offset:68
	; meta instruction
	scratch_store_b32 off, v159, s32 offset:64
	s_clause 0xf
	scratch_store_b32 off, v168, s32 offset:60
	; meta instruction
	scratch_store_b32 off, v169, s32 offset:56
	; meta instruction
	;; [unrolled: 2-line block ×15, first 2 shown]
	scratch_store_b32 off, v191, s32
	s_mov_b32 s4, s13
	s_ashr_i32 s5, s13, 31
	v_mov_b32_e32 v24, v0
	s_lshl_b64 s[0:1], s[4:5], 2
	v_dual_mov_b32 v184, v22 :: v_dual_mov_b32 v173, v5
	v_add_co_u32 v0, vcc_lo, v16, s0
	v_mov_b32_e32 v22, v1
	v_add_co_ci_u32_e32 v1, vcc_lo, s1, v17, vcc_lo
	v_dual_mov_b32 v174, v4 :: v_dual_mov_b32 v25, v3
	v_mov_b32_e32 v26, v2
	flat_load_b32 v82, v[0:1]
	s_lshl_b32 s17, s14, 9
	s_mov_b32 s5, exec_lo
	s_waitcnt vmcnt(0) lgkmcnt(0)
	v_cmpx_lt_i32_e64 s17, v82
	s_cbranch_execz .LBB201_717
; %bb.1:
	v_sub_nc_u32_e32 v0, 0, v12
	s_clause 0x1
	s_load_b32 s0, s[8:9], 0x10
	s_load_b32 s1, s[8:9], 0x0
	s_mov_b32 s10, s15
	v_mov_b32_e32 v87, 0
	v_max_i32_e32 v0, v12, v0
	s_delay_alu instid0(VALU_DEP_1) | instskip(SKIP_1) | instid1(VALU_DEP_2)
	v_cvt_f32_u32_e32 v1, v0
	v_sub_nc_u32_e32 v2, 0, v0
	v_rcp_iflag_f32_e32 v1, v1
	s_waitcnt lgkmcnt(0)
	s_lshr_b32 s0, s0, 16
	s_delay_alu instid0(SALU_CYCLE_1) | instskip(SKIP_3) | instid1(SALU_CYCLE_1)
	s_cmp_lg_u32 s0, 0
	s_waitcnt_depctr 0xfff
	v_mul_f32_e32 v1, 0x4f7ffffe, v1
	s_cselect_b32 s0, -1, 0
	s_cmp_lg_u32 s0, 0
	s_delay_alu instid0(VALU_DEP_1) | instskip(SKIP_3) | instid1(VALU_DEP_1)
	v_cvt_u32_f32_e32 v1, v1
	s_addc_u32 s16, s1, 0
	s_mov_b32 s1, exec_lo
	s_abs_i32 s0, s16
	v_mul_lo_u32 v2, v2, v1
	s_delay_alu instid0(VALU_DEP_1) | instskip(NEXT) | instid1(VALU_DEP_1)
	v_mul_hi_u32 v2, v1, v2
	v_add_nc_u32_e32 v1, v1, v2
	s_delay_alu instid0(VALU_DEP_1) | instskip(NEXT) | instid1(VALU_DEP_1)
	v_mul_hi_u32 v1, s0, v1
	v_mul_lo_u32 v2, v1, v0
	v_add_nc_u32_e32 v3, 1, v1
	s_delay_alu instid0(VALU_DEP_2) | instskip(SKIP_1) | instid1(VALU_DEP_1)
	v_sub_nc_u32_e32 v2, s0, v2
	s_abs_i32 s0, s12
	v_sub_nc_u32_e32 v4, v2, v0
	v_cmp_ge_u32_e32 vcc_lo, v2, v0
	s_delay_alu instid0(VALU_DEP_2) | instskip(SKIP_1) | instid1(VALU_DEP_2)
	v_dual_cndmask_b32 v1, v1, v3 :: v_dual_cndmask_b32 v2, v2, v4
	v_xor_b32_e32 v3, s16, v12
	v_add_nc_u32_e32 v4, 1, v1
	s_delay_alu instid0(VALU_DEP_3) | instskip(NEXT) | instid1(VALU_DEP_3)
	v_cmp_ge_u32_e32 vcc_lo, v2, v0
	v_ashrrev_i32_e32 v3, 31, v3
	s_delay_alu instid0(VALU_DEP_3) | instskip(NEXT) | instid1(VALU_DEP_1)
	v_cndmask_b32_e32 v0, v1, v4, vcc_lo
	v_xor_b32_e32 v0, v0, v3
	s_delay_alu instid0(VALU_DEP_1) | instskip(NEXT) | instid1(VALU_DEP_1)
	v_sub_nc_u32_e32 v1, v0, v3
	v_sub_nc_u32_e32 v0, 0, v1
	s_delay_alu instid0(VALU_DEP_1) | instskip(NEXT) | instid1(VALU_DEP_1)
	v_max_i32_e32 v0, v1, v0
	v_cvt_f32_u32_e32 v2, v0
	v_sub_nc_u32_e32 v3, 0, v0
	s_delay_alu instid0(VALU_DEP_2) | instskip(SKIP_2) | instid1(VALU_DEP_1)
	v_rcp_iflag_f32_e32 v2, v2
	s_waitcnt_depctr 0xfff
	v_mul_f32_e32 v2, 0x4f7ffffe, v2
	v_cvt_u32_f32_e32 v2, v2
	s_delay_alu instid0(VALU_DEP_1) | instskip(NEXT) | instid1(VALU_DEP_1)
	v_mul_lo_u32 v3, v3, v2
	v_mul_hi_u32 v3, v2, v3
	s_delay_alu instid0(VALU_DEP_1) | instskip(NEXT) | instid1(VALU_DEP_1)
	v_add_nc_u32_e32 v2, v2, v3
	v_mad_u64_u32 v[16:17], null, s0, v2, 0
	v_cmpx_ne_u64_e32 0, v[19:20]
	s_cbranch_execz .LBB201_3
; %bb.2:
	s_ashr_i32 s13, s12, 31
	s_delay_alu instid0(SALU_CYCLE_1) | instskip(NEXT) | instid1(SALU_CYCLE_1)
	s_lshl_b64 s[2:3], s[12:13], 2
	v_add_co_u32 v2, vcc_lo, v19, s2
	v_add_co_ci_u32_e32 v3, vcc_lo, s3, v20, vcc_lo
	flat_load_b32 v87, v[2:3]
.LBB201_3:
	s_or_b32 exec_lo, exec_lo, s1
	v_and_b32_e32 v175, 0x3ff, v31
	v_ashrrev_i32_e32 v1, 31, v1
	s_ashr_i32 s1, s12, 31
	s_lshl_b32 s6, s12, 7
	s_mov_b32 s2, exec_lo
	v_cmpx_gt_u32_e32 16, v175
	s_cbranch_execz .LBB201_5
; %bb.4:
	v_mul_lo_u32 v2, s4, v21
	s_ashr_i32 s7, s6, 31
	v_lshlrev_b32_e32 v12, 4, v175
	s_lshl_b64 s[18:19], s[6:7], 1
	s_delay_alu instid0(VALU_DEP_2) | instskip(NEXT) | instid1(VALU_DEP_1)
	v_ashrrev_i32_e32 v3, 31, v2
	v_lshlrev_b64 v[2:3], 1, v[2:3]
	s_delay_alu instid0(VALU_DEP_1) | instskip(NEXT) | instid1(VALU_DEP_2)
	v_add_co_u32 v2, vcc_lo, v6, v2
	v_add_co_ci_u32_e32 v3, vcc_lo, v7, v3, vcc_lo
	s_delay_alu instid0(VALU_DEP_2) | instskip(NEXT) | instid1(VALU_DEP_2)
	v_add_co_u32 v2, vcc_lo, v2, s18
	v_add_co_ci_u32_e32 v3, vcc_lo, s19, v3, vcc_lo
	s_delay_alu instid0(VALU_DEP_2) | instskip(NEXT) | instid1(VALU_DEP_2)
	v_add_co_u32 v2, vcc_lo, v2, v12
	v_add_co_ci_u32_e32 v3, vcc_lo, 0, v3, vcc_lo
	flat_load_b128 v[2:5], v[2:3]
	s_waitcnt vmcnt(0) lgkmcnt(0)
	ds_store_b128 v12, v[2:5]
.LBB201_5:
	s_or_b32 exec_lo, exec_lo, s2
	v_mul_lo_u32 v2, v17, v0
	v_add_nc_u32_e32 v3, 1, v17
	v_xor_b32_e32 v1, s1, v1
	s_clause 0x1
	s_load_b32 s3, s[8:9], 0x14
	s_load_b32 s7, s[8:9], 0x8
	v_lshrrev_b32_e32 v49, 5, v175
	s_lshl_b32 s2, s14, 4
	v_dual_mov_b32 v191, 0xff7fffff :: v_dual_and_b32 v38, 31, v175
	v_sub_nc_u32_e32 v2, s0, v2
	s_add_i32 s0, s2, 16
	v_add_nc_u32_e32 v20, s2, v49
	s_delay_alu instid0(VALU_DEP_3)
	v_lshlrev_b32_e32 v34, 2, v38
	s_mov_b32 s8, exec_lo
	v_sub_nc_u32_e32 v5, v2, v0
	v_cmp_ge_u32_e32 vcc_lo, v2, v0
	v_add_nc_u32_e32 v4, 31, v82
	v_ashrrev_i32_e32 v21, 31, v20
	s_waitcnt vmcnt(0) lgkmcnt(0)
	s_waitcnt_vscnt null, 0x0
	s_barrier
	v_dual_cndmask_b32 v3, v17, v3 :: v_dual_cndmask_b32 v2, v2, v5
	v_ashrrev_i32_e32 v6, 31, v4
	buffer_gl0_inv
	v_add_nc_u32_e32 v5, 1, v3
	v_cmp_ge_u32_e32 vcc_lo, v2, v0
	v_lshrrev_b32_e32 v6, 27, v6
	v_mul_lo_u32 v0, s4, v18
	s_delay_alu instid0(VALU_DEP_2) | instskip(NEXT) | instid1(VALU_DEP_1)
	v_dual_cndmask_b32 v2, v3, v5 :: v_dual_add_nc_u32 v3, v4, v6
	v_xor_b32_e32 v2, v2, v1
	s_delay_alu instid0(VALU_DEP_2) | instskip(NEXT) | instid1(VALU_DEP_2)
	v_ashrrev_i32_e32 v12, 5, v3
	v_sub_nc_u32_e32 v2, v2, v1
	v_ashrrev_i32_e32 v1, 31, v0
	s_delay_alu instid0(VALU_DEP_3) | instskip(NEXT) | instid1(VALU_DEP_3)
	v_min_i32_e32 v84, s0, v12
	v_mul_lo_u32 v52, v2, v23
	s_delay_alu instid0(VALU_DEP_3) | instskip(NEXT) | instid1(VALU_DEP_3)
	v_lshlrev_b64 v[50:51], 2, v[0:1]
	v_cmp_ge_i32_e64 s0, v20, v84
	s_delay_alu instid0(VALU_DEP_3)
	v_ashrrev_i32_e32 v53, 31, v52
	v_cmpx_lt_i32_e64 v20, v84
	s_cbranch_execz .LBB201_9
; %bb.6:
	s_clause 0x9
	scratch_store_b32 off, v12, s32 offset:464
	scratch_store_b32 off, v26, s32 offset:452
	;; [unrolled: 1-line block ×10, first 2 shown]
	v_mov_b32_e32 v10, 0
	s_getpc_b64 s[18:19]
	s_add_u32 s18, s18, llvm.amdgcn.dynlds.offset.table@rel32@lo+4
	s_addc_u32 s19, s19, llvm.amdgcn.dynlds.offset.table@rel32@hi+12
	s_ashr_i32 s11, s10, 31
	v_sub_nc_u32_e32 v12, 1, v82
	ds_load_b128 v[0:3], v10
	ds_load_b128 v[4:7], v10 offset:16
	ds_load_b128 v[16:19], v10 offset:32
	;; [unrolled: 1-line block ×3, first 2 shown]
	s_lshl_b64 s[20:21], s[10:11], 2
	s_mov_b32 s9, 0
	s_add_u32 s18, s20, s18
	s_addc_u32 s19, s21, s19
	v_mov_b32_e32 v191, 0xff7fffff
	s_load_b32 s1, s[18:19], 0x0
	scratch_store_b32 off, v15, s32 offset:424 ; 4-byte Folded Spill
	v_mov_b32_e32 v85, v20
	s_clause 0x2
	scratch_store_b32 off, v14, s32 offset:428
	scratch_store_b64 off, v[50:51], s32 offset:456
	scratch_store_b64 off, v[52:53], s32 offset:468
	s_waitcnt lgkmcnt(0)
	v_bfi_b32 v11, 0xffff, 0, v0
	v_lshlrev_b32_e32 v0, 16, v0
	v_lshlrev_b32_e32 v133, 16, v18
	v_bfi_b32 v144, 0xffff, 0, v3
	v_lshlrev_b32_e32 v145, 16, v3
	s_clause 0x1
	scratch_store_b32 off, v11, s32 offset:320
	scratch_store_b32 off, v0, s32 offset:324
	v_bfi_b32 v0, 0xffff, 0, v4
	v_bfi_b32 v146, 0xffff, 0, v7
	v_lshlrev_b32_e32 v147, 16, v7
	v_bfi_b32 v134, 0xffff, 0, v24
	v_lshlrev_b32_e32 v135, 16, v24
	scratch_store_b32 off, v0, s32 offset:328 ; 4-byte Folded Spill
	v_lshlrev_b32_e32 v0, 16, v4
	v_bfi_b32 v148, 0xffff, 0, v19
	v_lshlrev_b32_e32 v149, 16, v19
	v_bfi_b32 v150, 0xffff, 0, v25
	v_lshlrev_b32_e32 v151, 16, v25
	scratch_store_b32 off, v0, s32 offset:332 ; 4-byte Folded Spill
	v_bfi_b32 v0, 0xffff, 0, v16
	ds_load_b128 v[26:29], v10 offset:64
	ds_load_b128 v[30:33], v10 offset:80
	scratch_store_b32 off, v0, s32 offset:336 ; 4-byte Folded Spill
	v_lshlrev_b32_e32 v0, 16, v16
	scratch_store_b32 off, v0, s32 offset:340 ; 4-byte Folded Spill
	v_bfi_b32 v0, 0xffff, 0, v22
	scratch_store_b32 off, v0, s32 offset:344 ; 4-byte Folded Spill
	v_lshlrev_b32_e32 v0, 16, v22
	s_waitcnt lgkmcnt(1)
	v_bfi_b32 v160, 0xffff, 0, v26
	v_lshlrev_b32_e32 v161, 16, v26
	scratch_store_b32 off, v0, s32 offset:348 ; 4-byte Folded Spill
	v_bfi_b32 v0, 0xffff, 0, v1
	v_bfi_b32 v162, 0xffff, 0, v27
	v_lshlrev_b32_e32 v163, 16, v27
	v_bfi_b32 v164, 0xffff, 0, v28
	v_lshlrev_b32_e32 v165, 16, v28
	scratch_store_b32 off, v0, s32 offset:352 ; 4-byte Folded Spill
	v_lshlrev_b32_e32 v0, 16, v1
	v_bfi_b32 v166, 0xffff, 0, v29
	v_lshlrev_b32_e32 v167, 16, v29
	s_waitcnt lgkmcnt(0)
	v_bfi_b32 v176, 0xffff, 0, v30
	v_lshlrev_b32_e32 v177, 16, v30
	scratch_store_b32 off, v0, s32 offset:356 ; 4-byte Folded Spill
	v_bfi_b32 v0, 0xffff, 0, v5
	v_bfi_b32 v178, 0xffff, 0, v31
	v_lshlrev_b32_e32 v179, 16, v31
	v_bfi_b32 v180, 0xffff, 0, v32
	v_lshlrev_b32_e32 v181, 16, v32
	scratch_store_b32 off, v0, s32 offset:360 ; 4-byte Folded Spill
	v_lshlrev_b32_e32 v0, 16, v5
	v_bfi_b32 v182, 0xffff, 0, v33
	v_lshlrev_b32_e32 v183, 16, v33
	scratch_store_b32 off, v0, s32 offset:364 ; 4-byte Folded Spill
	v_bfi_b32 v0, 0xffff, 0, v17
	scratch_store_b32 off, v0, s32 offset:368 ; 4-byte Folded Spill
	v_lshlrev_b32_e32 v0, 16, v17
	scratch_store_b32 off, v0, s32 offset:372 ; 4-byte Folded Spill
	v_bfi_b32 v0, 0xffff, 0, v23
	scratch_store_b32 off, v0, s32 offset:376 ; 4-byte Folded Spill
	v_lshlrev_b32_e32 v0, 16, v23
	ds_load_b128 v[22:25], v10 offset:144
	scratch_store_b32 off, v0, s32 offset:380 ; 4-byte Folded Spill
	v_bfi_b32 v0, 0xffff, 0, v2
	scratch_store_b32 off, v0, s32 offset:384 ; 4-byte Folded Spill
	v_lshlrev_b32_e32 v0, 16, v2
	scratch_store_b32 off, v0, s32 offset:388 ; 4-byte Folded Spill
	v_bfi_b32 v0, 0xffff, 0, v6
	s_waitcnt lgkmcnt(0)
	v_bfi_b32 v88, 0xffff, 0, v22
	v_lshlrev_b32_e32 v89, 16, v22
	scratch_store_b32 off, v0, s32 offset:392 ; 4-byte Folded Spill
	v_lshlrev_b32_e32 v0, 16, v6
	ds_load_b128 v[4:7], v10 offset:112
	v_bfi_b32 v90, 0xffff, 0, v23
	v_lshlrev_b32_e32 v91, 16, v23
	v_bfi_b32 v92, 0xffff, 0, v24
	scratch_store_b32 off, v0, s32 offset:396 ; 4-byte Folded Spill
	v_bfi_b32 v0, 0xffff, 0, v18
	ds_load_b128 v[16:19], v10 offset:128
	v_lshlrev_b32_e32 v93, 16, v24
	v_bfi_b32 v94, 0xffff, 0, v25
	v_lshlrev_b32_e32 v95, 16, v25
	scratch_store_b32 off, v0, s32 offset:400 ; 4-byte Folded Spill
	ds_load_b128 v[0:3], v10 offset:96
	ds_load_b128 v[22:25], v10 offset:208
	s_waitcnt lgkmcnt(3)
	v_bfi_b32 v56, 0xffff, 0, v4
	v_lshlrev_b32_e32 v57, 16, v4
	v_bfi_b32 v59, 0xffff, 0, v5
	v_lshlrev_b32_e32 v60, 16, v5
	;; [unrolled: 2-line block ×4, first 2 shown]
	ds_load_b128 v[4:7], v10 offset:176
	s_waitcnt lgkmcnt(3)
	v_bfi_b32 v58, 0xffff, 0, v16
	v_lshlrev_b32_e32 v73, 16, v16
	s_waitcnt lgkmcnt(2)
	v_bfi_b32 v40, 0xffff, 0, v0
	v_lshlrev_b32_e32 v41, 16, v0
	v_bfi_b32 v42, 0xffff, 0, v1
	v_lshlrev_b32_e32 v43, 16, v1
	;; [unrolled: 2-line block ×4, first 2 shown]
	ds_load_b128 v[0:3], v10 offset:160
	v_bfi_b32 v74, 0xffff, 0, v17
	v_lshlrev_b32_e32 v75, 16, v17
	v_bfi_b32 v76, 0xffff, 0, v18
	v_lshlrev_b32_e32 v77, 16, v18
	;; [unrolled: 2-line block ×3, first 2 shown]
	ds_load_b128 v[16:19], v10 offset:192
	s_waitcnt lgkmcnt(3)
	v_bfi_b32 v152, 0xffff, 0, v22
	s_waitcnt lgkmcnt(2)
	v_bfi_b32 v120, 0xffff, 0, v4
	v_lshlrev_b32_e32 v121, 16, v4
	v_bfi_b32 v122, 0xffff, 0, v5
	v_lshlrev_b32_e32 v123, 16, v5
	;; [unrolled: 2-line block ×4, first 2 shown]
	ds_load_b128 v[4:7], v10 offset:240
	v_lshlrev_b32_e32 v153, 16, v22
	v_bfi_b32 v154, 0xffff, 0, v23
	s_waitcnt lgkmcnt(2)
	v_bfi_b32 v104, 0xffff, 0, v0
	v_lshlrev_b32_e32 v105, 16, v0
	v_bfi_b32 v106, 0xffff, 0, v1
	v_lshlrev_b32_e32 v107, 16, v1
	;; [unrolled: 2-line block ×4, first 2 shown]
	ds_load_b128 v[0:3], v10 offset:224
	s_waitcnt lgkmcnt(2)
	v_bfi_b32 v136, 0xffff, 0, v16
	v_lshlrev_b32_e32 v137, 16, v16
	v_bfi_b32 v138, 0xffff, 0, v17
	v_lshlrev_b32_e32 v139, 16, v17
	;; [unrolled: 2-line block ×4, first 2 shown]
	s_waitcnt lgkmcnt(1)
	v_bfi_b32 v132, 0xffff, 0, v4
	v_lshlrev_b32_e32 v185, 16, v4
	v_lshlrev_b32_e32 v4, 4, v38
	v_bfi_b32 v186, 0xffff, 0, v5
	v_lshlrev_b32_e32 v187, 16, v5
	v_lshlrev_b32_e32 v155, 16, v23
	v_bfi_b32 v156, 0xffff, 0, v24
	v_lshlrev_b32_e32 v157, 16, v24
	v_bfi_b32 v158, 0xffff, 0, v25
	;; [unrolled: 2-line block ×3, first 2 shown]
	s_waitcnt lgkmcnt(0)
	v_bfi_b32 v168, 0xffff, 0, v0
	v_lshlrev_b32_e32 v169, 16, v0
	v_bfi_b32 v170, 0xffff, 0, v1
	v_lshlrev_b32_e32 v171, 16, v1
	v_lshlrev_b64 v[0:1], 1, v[52:53]
	v_bfi_b32 v172, 0xffff, 0, v2
	v_lshlrev_b32_e32 v173, 16, v2
	v_bfi_b32 v174, 0xffff, 0, v3
	v_lshlrev_b32_e32 v175, 16, v3
	v_lshlrev_b64 v[2:3], 2, v[20:21]
	v_add_co_u32 v0, vcc_lo, v8, v0
	v_add_co_ci_u32_e32 v1, vcc_lo, v9, v1, vcc_lo
	v_lshlrev_b32_e32 v189, 16, v6
	s_delay_alu instid0(VALU_DEP_4) | instskip(SKIP_2) | instid1(VALU_DEP_3)
	v_add_co_u32 v2, vcc_lo, v50, v2
	v_add_co_ci_u32_e32 v3, vcc_lo, v51, v3, vcc_lo
	v_bfi_b32 v190, 0xffff, 0, v7
	v_add_co_u32 v80, vcc_lo, v14, v2
	s_delay_alu instid0(VALU_DEP_3)
	v_add_co_ci_u32_e32 v81, vcc_lo, v15, v3, vcc_lo
	v_lshlrev_b32_e32 v2, 5, v49
	v_lshl_or_b32 v3, v49, 7, v34
	v_add_co_u32 v5, vcc_lo, v0, v4
	v_add_co_ci_u32_e32 v4, vcc_lo, 0, v1, vcc_lo
	v_lshlrev_b32_e32 v39, 16, v7
	v_cmp_neq_f32_e32 vcc_lo, 0, v87
	v_add3_u32 v83, s17, v2, v38
	v_add_nc_u32_e32 v86, s1, v3
	s_clause 0x2
	scratch_store_b32 off, v49, s32 offset:416
	scratch_store_b32 off, v34, s32 offset:476
	;; [unrolled: 1-line block ×3, first 2 shown]
.LBB201_7:                              ; =>This Inner Loop Header: Depth=1
	flat_load_b32 v2, v[80:81]
	v_add_nc_u32_e32 v85, 4, v85
	s_waitcnt vmcnt(0) lgkmcnt(0)
	v_mad_i64_i32 v[0:1], null, v2, v184, 0
	s_delay_alu instid0(VALU_DEP_1) | instskip(NEXT) | instid1(VALU_DEP_1)
	v_lshlrev_b64 v[0:1], 1, v[0:1]
	v_add_co_u32 v18, s1, v5, v0
	s_delay_alu instid0(VALU_DEP_1) | instskip(NEXT) | instid1(VALU_DEP_2)
	v_add_co_ci_u32_e64 v19, s1, v4, v1, s1
	v_add_co_u32 v16, s1, 0x1000, v18
	s_delay_alu instid0(VALU_DEP_1)
	v_add_co_ci_u32_e64 v17, s1, 0, v19, s1
	v_cmp_lt_i32_e64 s1, v83, v82
	s_clause 0x4
	flat_load_b128 v[6:9], v[16:17]
	flat_load_b128 v[22:25], v[18:19]
	flat_load_b128 v[26:29], v[18:19] offset:512
	flat_load_b128 v[30:33], v[18:19] offset:1024
	;; [unrolled: 1-line block ×3, first 2 shown]
	s_clause 0x1
	scratch_load_b32 v10, off, s32 offset:332
	scratch_load_b32 v15, off, s32 offset:364
	s_waitcnt vmcnt(5) lgkmcnt(3)
	v_and_b32_e32 v1, 0xffff0000, v22
	s_waitcnt vmcnt(4) lgkmcnt(2)
	v_lshlrev_b32_e32 v3, 16, v26
	v_and_b32_e32 v2, 0xffff0000, v26
	v_and_b32_e32 v14, 0xffff0000, v27
	s_waitcnt vmcnt(1)
	s_delay_alu instid0(VALU_DEP_3) | instskip(SKIP_3) | instid1(VALU_DEP_2)
	v_mul_f32_e32 v10, v10, v3
	scratch_load_b32 v3, off, s32 offset:328 ; 4-byte Folded Reload
	v_add_nc_u32_e32 v0, v12, v83
	v_add_nc_u32_e32 v83, 0x80, v83
	v_cvt_f32_i32_e32 v0, v0
	s_delay_alu instid0(VALU_DEP_1) | instskip(NEXT) | instid1(VALU_DEP_1)
	v_mul_f32_e32 v0, v87, v0
	v_dual_cndmask_b32 v11, 0, v0 :: v_dual_lshlrev_b32 v0, 16, v22
	scratch_load_b32 v22, off, s32 offset:396 ; 4-byte Folded Reload
	s_waitcnt vmcnt(1)
	v_mul_f32_e32 v3, v3, v2
	scratch_load_b32 v2, off, s32 offset:320 ; 4-byte Folded Reload
	s_waitcnt vmcnt(0)
	v_fmac_f32_e32 v3, v2, v1
	s_clause 0x1
	scratch_load_b32 v1, off, s32 offset:324
	scratch_load_b32 v2, off, s32 offset:340
	s_waitcnt vmcnt(1) lgkmcnt(1)
	v_dual_fmac_f32 v10, v1, v0 :: v_dual_lshlrev_b32 v1, 16, v30
	v_and_b32_e32 v0, 0xffff0000, v30
	s_waitcnt vmcnt(0)
	s_delay_alu instid0(VALU_DEP_2)
	v_fmac_f32_e32 v10, v2, v1
	s_clause 0x1
	scratch_load_b32 v1, off, s32 offset:336
	scratch_load_b32 v2, off, s32 offset:344
	s_waitcnt vmcnt(1)
	v_fmac_f32_e32 v3, v1, v0
	s_waitcnt lgkmcnt(0)
	v_and_b32_e32 v1, 0xffff0000, v34
	s_waitcnt vmcnt(0)
	s_delay_alu instid0(VALU_DEP_1)
	v_dual_fmac_f32 v3, v2, v1 :: v_dual_lshlrev_b32 v0, 16, v34
	v_lshlrev_b32_e32 v2, 16, v27
	scratch_load_b32 v1, off, s32 offset:348 ; 4-byte Folded Reload
	v_mul_f32_e32 v2, v15, v2
	scratch_load_b32 v15, off, s32 offset:360 ; 4-byte Folded Reload
	s_waitcnt vmcnt(0)
	v_mul_f32_e32 v68, v15, v14
	scratch_load_b32 v14, off, s32 offset:352 ; 4-byte Folded Reload
	v_lshlrev_b32_e32 v15, 16, v28
	s_delay_alu instid0(VALU_DEP_1) | instskip(SKIP_4) | instid1(VALU_DEP_1)
	v_mul_f32_e32 v69, v22, v15
	scratch_load_b32 v15, off, s32 offset:392 ; 4-byte Folded Reload
	v_dual_fmac_f32 v10, v1, v0 :: v_dual_and_b32 v1, 0xffff0000, v23
	v_lshlrev_b32_e32 v0, 16, v23
	v_and_b32_e32 v22, 0xffff0000, v29
	v_mul_f32_e32 v70, v146, v22
	s_waitcnt vmcnt(1)
	v_fmac_f32_e32 v68, v14, v1
	s_clause 0x1
	scratch_load_b32 v1, off, s32 offset:356
	scratch_load_b32 v14, off, s32 offset:372
	s_waitcnt vmcnt(1)
	v_dual_fmac_f32 v2, v1, v0 :: v_dual_lshlrev_b32 v1, 16, v31
	v_and_b32_e32 v0, 0xffff0000, v31
	s_waitcnt vmcnt(0)
	s_delay_alu instid0(VALU_DEP_2)
	v_fmac_f32_e32 v2, v14, v1
	s_clause 0x1
	scratch_load_b32 v1, off, s32 offset:368
	scratch_load_b32 v14, off, s32 offset:376
	s_waitcnt vmcnt(1)
	v_dual_fmac_f32 v68, v1, v0 :: v_dual_and_b32 v1, 0xffff0000, v35
	v_lshlrev_b32_e32 v0, 16, v35
	s_waitcnt vmcnt(0)
	s_delay_alu instid0(VALU_DEP_2) | instskip(SKIP_2) | instid1(VALU_DEP_1)
	v_fmac_f32_e32 v68, v14, v1
	scratch_load_b32 v1, off, s32 offset:380 ; 4-byte Folded Reload
	v_and_b32_e32 v14, 0xffff0000, v28
	v_mul_f32_e32 v14, v15, v14
	scratch_load_b32 v15, off, s32 offset:384 ; 4-byte Folded Reload
	s_waitcnt vmcnt(1)
	v_fmac_f32_e32 v2, v1, v0
	v_and_b32_e32 v1, 0xffff0000, v24
	v_lshlrev_b32_e32 v0, 16, v24
	s_waitcnt vmcnt(0)
	s_delay_alu instid0(VALU_DEP_2) | instskip(SKIP_2) | instid1(VALU_DEP_1)
	v_fmac_f32_e32 v14, v15, v1
	scratch_load_b32 v1, off, s32 offset:388 ; 4-byte Folded Reload
	v_lshlrev_b32_e32 v15, 16, v29
	v_mul_f32_e32 v15, v147, v15
	s_waitcnt vmcnt(0)
	v_fmac_f32_e32 v69, v1, v0
	v_lshlrev_b32_e32 v1, 16, v32
	s_delay_alu instid0(VALU_DEP_1)
	v_dual_fmac_f32 v69, v133, v1 :: v_dual_and_b32 v0, 0xffff0000, v32
	scratch_load_b32 v1, off, s32 offset:400 ; 4-byte Folded Reload
	s_waitcnt vmcnt(0)
	v_fmac_f32_e32 v14, v1, v0
	v_lshlrev_b32_e32 v0, 16, v36
	v_and_b32_e32 v1, 0xffff0000, v36
	s_delay_alu instid0(VALU_DEP_1)
	v_dual_fmac_f32 v69, v135, v0 :: v_dual_fmac_f32 v14, v134, v1
	v_lshlrev_b32_e32 v0, 16, v25
	v_and_b32_e32 v1, 0xffff0000, v25
	flat_load_b128 v[22:25], v[18:19] offset:2048
	v_dual_fmac_f32 v15, v145, v0 :: v_dual_fmac_f32 v70, v144, v1
	v_and_b32_e32 v0, 0xffff0000, v33
	v_lshlrev_b32_e32 v1, 16, v33
	s_delay_alu instid0(VALU_DEP_1)
	v_fmac_f32_e32 v15, v149, v1
	v_and_b32_e32 v1, 0xffff0000, v37
	s_waitcnt vmcnt(0) lgkmcnt(0)
	v_dual_fmac_f32 v70, v148, v0 :: v_dual_lshlrev_b32 v99, 16, v22
	v_lshlrev_b32_e32 v101, 16, v23
	v_and_b32_e32 v98, 0xffff0000, v22
	v_and_b32_e32 v100, 0xffff0000, v23
	;; [unrolled: 1-line block ×3, first 2 shown]
	v_dual_fmac_f32 v70, v150, v1 :: v_dual_lshlrev_b32 v103, 16, v24
	v_dual_fmac_f32 v10, v161, v99 :: v_dual_and_b32 v71, 0xffff0000, v25
	v_lshlrev_b32_e32 v96, 16, v25
	flat_load_b128 v[22:25], v[18:19] offset:2560
	v_dual_fmac_f32 v69, v165, v103 :: v_dual_lshlrev_b32 v0, 16, v37
	v_dual_fmac_f32 v3, v160, v98 :: v_dual_fmac_f32 v2, v163, v101
	s_delay_alu instid0(VALU_DEP_2)
	v_dual_fmac_f32 v70, v166, v71 :: v_dual_fmac_f32 v15, v151, v0
	s_waitcnt vmcnt(0) lgkmcnt(0)
	v_lshlrev_b32_e32 v112, 16, v22
	v_and_b32_e32 v113, 0xffff0000, v22
	v_and_b32_e32 v115, 0xffff0000, v23
	v_lshlrev_b32_e32 v116, 16, v24
	v_lshlrev_b32_e32 v114, 16, v23
	;; [unrolled: 1-line block ×3, first 2 shown]
	v_and_b32_e32 v0, 0xffff0000, v25
	v_fmac_f32_e32 v10, v177, v112
	v_and_b32_e32 v117, 0xffff0000, v24
	flat_load_b128 v[22:25], v[18:19] offset:3072
	v_fmac_f32_e32 v3, v176, v113
	v_dual_fmac_f32 v69, v181, v116 :: v_dual_fmac_f32 v2, v179, v114
	s_waitcnt vmcnt(0) lgkmcnt(0)
	v_and_b32_e32 v118, 0xffff0000, v22
	v_lshlrev_b32_e32 v119, 16, v22
	v_and_b32_e32 v128, 0xffff0000, v23
	v_lshlrev_b32_e32 v129, 16, v23
	;; [unrolled: 2-line block ×4, first 2 shown]
	s_clause 0x7
	flat_load_b128 v[64:67], v[18:19] offset:3584
	flat_load_b128 v[52:55], v[16:17] offset:512
	flat_load_b128 v[48:51], v[16:17] offset:1024
	flat_load_b128 v[35:38], v[16:17] offset:1536
	flat_load_b128 v[31:34], v[16:17] offset:2048
	flat_load_b128 v[27:30], v[16:17] offset:2560
	flat_load_b128 v[23:26], v[16:17] offset:3072
	flat_load_b128 v[16:19], v[16:17] offset:3584
	v_dual_fmac_f32 v10, v41, v119 :: v_dual_fmac_f32 v3, v40, v118
	s_waitcnt vmcnt(7) lgkmcnt(7)
	v_lshlrev_b32_e32 v98, 16, v64
	v_and_b32_e32 v64, 0xffff0000, v64
	s_delay_alu instid0(VALU_DEP_1) | instskip(SKIP_1) | instid1(VALU_DEP_1)
	v_dual_fmac_f32 v10, v57, v98 :: v_dual_fmac_f32 v3, v56, v64
	v_and_b32_e32 v64, 0xffff0000, v6
	v_dual_fmac_f32 v3, v58, v64 :: v_dual_lshlrev_b32 v6, 16, v6
	s_delay_alu instid0(VALU_DEP_1) | instskip(SKIP_3) | instid1(VALU_DEP_1)
	v_fmac_f32_e32 v10, v73, v6
	s_waitcnt vmcnt(6) lgkmcnt(6)
	v_lshlrev_b32_e32 v6, 16, v52
	v_and_b32_e32 v52, 0xffff0000, v52
	v_dual_fmac_f32 v10, v89, v6 :: v_dual_fmac_f32 v3, v88, v52
	s_waitcnt vmcnt(5) lgkmcnt(5)
	v_and_b32_e32 v6, 0xffff0000, v48
	v_lshlrev_b32_e32 v48, 16, v48
	s_delay_alu instid0(VALU_DEP_2) | instskip(NEXT) | instid1(VALU_DEP_2)
	v_dual_fmac_f32 v2, v43, v129 :: v_dual_fmac_f32 v3, v104, v6
	v_fmac_f32_e32 v10, v105, v48
	s_waitcnt vmcnt(4) lgkmcnt(4)
	v_lshlrev_b32_e32 v6, 16, v35
	s_delay_alu instid0(VALU_DEP_1) | instskip(SKIP_4) | instid1(VALU_DEP_2)
	v_fmac_f32_e32 v10, v121, v6
	s_waitcnt vmcnt(3) lgkmcnt(3)
	v_and_b32_e32 v6, 0xffff0000, v31
	v_lshlrev_b32_e32 v31, 16, v31
	v_fmac_f32_e32 v69, v45, v131
	v_fmac_f32_e32 v10, v137, v31
	v_and_b32_e32 v35, 0xffff0000, v35
	s_delay_alu instid0(VALU_DEP_1) | instskip(SKIP_1) | instid1(VALU_DEP_1)
	v_fmac_f32_e32 v3, v120, v35
	s_waitcnt vmcnt(2) lgkmcnt(2)
	v_dual_fmac_f32 v3, v136, v6 :: v_dual_lshlrev_b32 v6, 16, v27
	v_dual_fmac_f32 v68, v162, v100 :: v_dual_and_b32 v27, 0xffff0000, v27
	s_delay_alu instid0(VALU_DEP_1) | instskip(SKIP_3) | instid1(VALU_DEP_2)
	v_dual_fmac_f32 v10, v153, v6 :: v_dual_fmac_f32 v3, v152, v27
	s_waitcnt vmcnt(1) lgkmcnt(1)
	v_and_b32_e32 v6, 0xffff0000, v23
	v_lshlrev_b32_e32 v23, 16, v23
	v_dual_fmac_f32 v68, v178, v115 :: v_dual_fmac_f32 v3, v168, v6
	s_delay_alu instid0(VALU_DEP_2)
	v_fmac_f32_e32 v10, v169, v23
	s_waitcnt vmcnt(0) lgkmcnt(0)
	v_lshlrev_b32_e32 v6, 16, v16
	v_and_b32_e32 v16, 0xffff0000, v16
	v_fmac_f32_e32 v68, v42, v128
	v_fmac_f32_e32 v14, v164, v102
	s_delay_alu instid0(VALU_DEP_3) | instskip(SKIP_2) | instid1(VALU_DEP_4)
	v_dual_fmac_f32 v10, v185, v6 :: v_dual_fmac_f32 v3, v132, v16
	v_lshlrev_b32_e32 v6, 16, v65
	v_dual_fmac_f32 v15, v167, v96 :: v_dual_and_b32 v16, 0xffff0000, v65
	v_fmac_f32_e32 v14, v180, v117
	s_delay_alu instid0(VALU_DEP_3) | instskip(NEXT) | instid1(VALU_DEP_3)
	v_fmac_f32_e32 v2, v60, v6
	v_fmac_f32_e32 v68, v59, v16
	v_and_b32_e32 v6, 0xffff0000, v7
	v_lshlrev_b32_e32 v7, 16, v7
	v_fmac_f32_e32 v15, v183, v1
	v_dual_fmac_f32 v14, v44, v130 :: v_dual_and_b32 v1, 0xffff0000, v67
	s_delay_alu instid0(VALU_DEP_4) | instskip(NEXT) | instid1(VALU_DEP_4)
	v_fmac_f32_e32 v68, v74, v6
	v_fmac_f32_e32 v2, v75, v7
	v_lshlrev_b32_e32 v6, 16, v53
	v_and_b32_e32 v7, 0xffff0000, v53
	v_fmac_f32_e32 v15, v47, v97
	s_delay_alu instid0(VALU_DEP_3) | instskip(NEXT) | instid1(VALU_DEP_3)
	v_fmac_f32_e32 v2, v91, v6
	v_fmac_f32_e32 v68, v90, v7
	v_and_b32_e32 v6, 0xffff0000, v49
	s_delay_alu instid0(VALU_DEP_1) | instskip(NEXT) | instid1(VALU_DEP_1)
	v_dual_fmac_f32 v68, v106, v6 :: v_dual_lshlrev_b32 v7, 16, v49
	v_fmac_f32_e32 v2, v107, v7
	v_lshlrev_b32_e32 v6, 16, v36
	s_delay_alu instid0(VALU_DEP_1) | instskip(NEXT) | instid1(VALU_DEP_1)
	v_dual_fmac_f32 v2, v123, v6 :: v_dual_and_b32 v7, 0xffff0000, v36
	v_fmac_f32_e32 v68, v122, v7
	v_and_b32_e32 v6, 0xffff0000, v32
	s_delay_alu instid0(VALU_DEP_1) | instskip(NEXT) | instid1(VALU_DEP_1)
	v_dual_fmac_f32 v68, v138, v6 :: v_dual_lshlrev_b32 v7, 16, v32
	v_fmac_f32_e32 v2, v139, v7
	v_lshlrev_b32_e32 v6, 16, v28
	s_delay_alu instid0(VALU_DEP_1) | instskip(NEXT) | instid1(VALU_DEP_1)
	v_dual_fmac_f32 v2, v155, v6 :: v_dual_and_b32 v7, 0xffff0000, v28
	;; [unrolled: 8-line block ×3, first 2 shown]
	v_fmac_f32_e32 v68, v186, v7
	v_lshlrev_b32_e32 v6, 16, v66
	v_and_b32_e32 v7, 0xffff0000, v66
	s_delay_alu instid0(VALU_DEP_1) | instskip(SKIP_4) | instid1(VALU_DEP_3)
	v_dual_fmac_f32 v69, v62, v6 :: v_dual_fmac_f32 v14, v61, v7
	v_and_b32_e32 v6, 0xffff0000, v8
	v_lshlrev_b32_e32 v7, 16, v8
	v_fmac_f32_e32 v70, v182, v0
	v_lshlrev_b32_e32 v0, 16, v67
	v_dual_fmac_f32 v14, v76, v6 :: v_dual_fmac_f32 v69, v77, v7
	v_lshlrev_b32_e32 v6, 16, v54
	v_and_b32_e32 v7, 0xffff0000, v54
	s_delay_alu instid0(VALU_DEP_4) | instskip(NEXT) | instid1(VALU_DEP_2)
	v_dual_fmac_f32 v15, v72, v0 :: v_dual_and_b32 v0, 0xffff0000, v9
	v_dual_fmac_f32 v69, v93, v6 :: v_dual_fmac_f32 v14, v92, v7
	v_and_b32_e32 v6, 0xffff0000, v50
	v_lshlrev_b32_e32 v7, 16, v50
	s_delay_alu instid0(VALU_DEP_1) | instskip(SKIP_2) | instid1(VALU_DEP_2)
	v_dual_fmac_f32 v14, v108, v6 :: v_dual_fmac_f32 v69, v109, v7
	v_lshlrev_b32_e32 v6, 16, v37
	v_and_b32_e32 v7, 0xffff0000, v37
	v_fmac_f32_e32 v69, v125, v6
	v_fmac_f32_e32 v70, v46, v22
	s_delay_alu instid0(VALU_DEP_3) | instskip(SKIP_2) | instid1(VALU_DEP_4)
	v_fmac_f32_e32 v14, v124, v7
	v_and_b32_e32 v6, 0xffff0000, v33
	v_lshlrev_b32_e32 v7, 16, v33
	v_fmac_f32_e32 v70, v63, v1
	s_delay_alu instid0(VALU_DEP_3) | instskip(NEXT) | instid1(VALU_DEP_3)
	v_dual_fmac_f32 v14, v140, v6 :: v_dual_lshlrev_b32 v1, 16, v9
	v_dual_fmac_f32 v69, v141, v7 :: v_dual_lshlrev_b32 v6, 16, v29
	s_delay_alu instid0(VALU_DEP_2) | instskip(SKIP_4) | instid1(VALU_DEP_3)
	v_dual_fmac_f32 v70, v78, v0 :: v_dual_fmac_f32 v15, v79, v1
	v_lshlrev_b32_e32 v0, 16, v55
	v_and_b32_e32 v1, 0xffff0000, v55
	v_and_b32_e32 v7, 0xffff0000, v29
	v_dual_fmac_f32 v69, v157, v6 :: v_dual_and_b32 v6, 0xffff0000, v25
	v_dual_fmac_f32 v15, v95, v0 :: v_dual_fmac_f32 v70, v94, v1
	v_and_b32_e32 v0, 0xffff0000, v51
	v_lshlrev_b32_e32 v1, 16, v51
	v_dual_fmac_f32 v14, v156, v7 :: v_dual_lshlrev_b32 v7, 16, v25
	s_delay_alu instid0(VALU_DEP_2) | instskip(SKIP_2) | instid1(VALU_DEP_4)
	v_dual_fmac_f32 v70, v110, v0 :: v_dual_fmac_f32 v15, v111, v1
	v_lshlrev_b32_e32 v0, 16, v38
	v_and_b32_e32 v1, 0xffff0000, v38
	v_dual_fmac_f32 v69, v173, v7 :: v_dual_fmac_f32 v14, v172, v6
	s_delay_alu instid0(VALU_DEP_3) | instskip(NEXT) | instid1(VALU_DEP_3)
	v_dual_fmac_f32 v15, v127, v0 :: v_dual_lshlrev_b32 v6, 16, v18
	v_fmac_f32_e32 v70, v126, v1
	v_and_b32_e32 v0, 0xffff0000, v34
	v_lshlrev_b32_e32 v1, 16, v34
	v_and_b32_e32 v7, 0xffff0000, v18
	s_delay_alu instid0(VALU_DEP_3) | instskip(NEXT) | instid1(VALU_DEP_3)
	v_dual_fmac_f32 v69, v189, v6 :: v_dual_fmac_f32 v70, v142, v0
	v_dual_fmac_f32 v15, v143, v1 :: v_dual_lshlrev_b32 v0, 16, v30
	s_delay_alu instid0(VALU_DEP_3) | instskip(NEXT) | instid1(VALU_DEP_1)
	v_dual_fmac_f32 v14, v188, v7 :: v_dual_and_b32 v1, 0xffff0000, v30
	v_dual_fmac_f32 v15, v159, v0 :: v_dual_fmac_f32 v70, v158, v1
	v_and_b32_e32 v0, 0xffff0000, v26
	s_delay_alu instid0(VALU_DEP_1) | instskip(NEXT) | instid1(VALU_DEP_1)
	v_dual_fmac_f32 v70, v174, v0 :: v_dual_lshlrev_b32 v1, 16, v26
	v_dual_fmac_f32 v15, v175, v1 :: v_dual_lshlrev_b32 v0, 16, v19
	v_and_b32_e32 v1, 0xffff0000, v19
	s_delay_alu instid0(VALU_DEP_2) | instskip(NEXT) | instid1(VALU_DEP_2)
	v_dual_fmac_f32 v15, v39, v0 :: v_dual_add_f32 v0, v10, v3
	v_fmac_f32_e32 v70, v190, v1
	s_delay_alu instid0(VALU_DEP_2) | instskip(NEXT) | instid1(VALU_DEP_1)
	v_add_f32_e32 v0, v0, v2
	v_add_f32_e32 v0, v68, v0
	s_delay_alu instid0(VALU_DEP_1) | instskip(NEXT) | instid1(VALU_DEP_1)
	v_add_f32_e32 v0, v69, v0
	v_add_f32_e32 v0, v14, v0
	s_delay_alu instid0(VALU_DEP_1) | instskip(NEXT) | instid1(VALU_DEP_1)
	;; [unrolled: 3-line block ×3, first 2 shown]
	v_fmac_f32_e32 v11, v0, v13
	v_cndmask_b32_e64 v0, 0, v11, s1
	ds_store_b32 v86, v0
	v_max_f32_e32 v0, v191, v191
	v_add_nc_u32_e32 v86, 0x200, v86
	s_delay_alu instid0(VALU_DEP_2) | instskip(NEXT) | instid1(VALU_DEP_1)
	v_max_f32_e32 v0, v0, v11
	v_cndmask_b32_e64 v191, v191, v0, s1
	v_add_co_u32 v80, s1, v80, 16
	s_delay_alu instid0(VALU_DEP_1) | instskip(SKIP_1) | instid1(VALU_DEP_1)
	v_add_co_ci_u32_e64 v81, s1, 0, v81, s1
	v_cmp_ge_i32_e64 s1, v85, v84
	s_or_b32 s9, s1, s9
	s_delay_alu instid0(SALU_CYCLE_1)
	s_and_not1_b32 exec_lo, exec_lo, s9
	s_cbranch_execnz .LBB201_7
; %bb.8:
	s_or_b32 exec_lo, exec_lo, s9
	s_clause 0x10
	scratch_load_b32 v173, off, s32 offset:404
	scratch_load_b32 v174, off, s32 offset:408
	;; [unrolled: 1-line block ×13, first 2 shown]
	scratch_load_b64 v[50:51], off, s32 offset:456
	scratch_load_b32 v12, off, s32 offset:464
	scratch_load_b64 v[52:53], off, s32 offset:468
	scratch_load_b32 v34, off, s32 offset:476
.LBB201_9:
	s_or_b32 exec_lo, exec_lo, s8
	v_mbcnt_lo_u32_b32 v0, -1, 0
	s_lshr_b32 s8, s3, 16
	v_max_f32_e32 v4, v191, v191
	s_delay_alu instid0(VALU_DEP_2) | instskip(SKIP_2) | instid1(VALU_DEP_3)
	v_xor_b32_e32 v1, 16, v0
	v_xor_b32_e32 v3, 8, v0
	;; [unrolled: 1-line block ×3, first 2 shown]
	v_cmp_gt_i32_e32 vcc_lo, 32, v1
	v_cndmask_b32_e32 v1, v0, v1, vcc_lo
	s_delay_alu instid0(VALU_DEP_4) | instskip(NEXT) | instid1(VALU_DEP_2)
	v_cmp_gt_i32_e32 vcc_lo, 32, v3
	v_dual_cndmask_b32 v3, v0, v3 :: v_dual_lshlrev_b32 v2, 2, v1
	v_cmp_gt_i32_e32 vcc_lo, 32, v5
	ds_bpermute_b32 v1, v2, v191
	v_lshlrev_b32_e32 v3, 2, v3
	v_cndmask_b32_e32 v5, v0, v5, vcc_lo
	s_waitcnt lgkmcnt(0)
	v_max_f32_e32 v1, v1, v1
	s_delay_alu instid0(VALU_DEP_1) | instskip(SKIP_3) | instid1(VALU_DEP_1)
	v_max_f32_e32 v1, v4, v1
	ds_bpermute_b32 v4, v3, v1
	s_waitcnt lgkmcnt(0)
	v_max_f32_e32 v6, v4, v4
	v_dual_max_f32 v1, v1, v6 :: v_dual_lshlrev_b32 v4, 2, v5
	v_xor_b32_e32 v6, 2, v0
	ds_bpermute_b32 v5, v4, v1
	v_cmp_gt_i32_e32 vcc_lo, 32, v6
	v_cndmask_b32_e32 v6, v0, v6, vcc_lo
	s_delay_alu instid0(VALU_DEP_1) | instskip(SKIP_1) | instid1(VALU_DEP_1)
	v_lshlrev_b32_e32 v16, 2, v6
	v_xor_b32_e32 v6, 1, v0
	v_cmp_gt_i32_e32 vcc_lo, 32, v6
	s_waitcnt lgkmcnt(0)
	v_dual_max_f32 v5, v5, v5 :: v_dual_cndmask_b32 v6, v0, v6
	s_waitcnt vmcnt(12)
	v_cmp_eq_u32_e32 vcc_lo, 0, v38
	s_delay_alu instid0(VALU_DEP_2) | instskip(NEXT) | instid1(VALU_DEP_3)
	v_max_f32_e32 v1, v1, v5
	v_lshlrev_b32_e32 v13, 2, v6
	ds_bpermute_b32 v5, v16, v1
	s_waitcnt lgkmcnt(0)
	v_max_f32_e32 v5, v5, v5
	s_delay_alu instid0(VALU_DEP_1)
	v_max_f32_e32 v0, v1, v5
	v_lshlrev_b32_e32 v5, 2, v49
	ds_bpermute_b32 v1, v13, v0
	s_and_saveexec_b32 s1, vcc_lo
	s_cbranch_execz .LBB201_11
; %bb.10:
	s_waitcnt lgkmcnt(0)
	v_dual_max_f32 v1, v1, v1 :: v_dual_max_f32 v0, v0, v0
	s_delay_alu instid0(VALU_DEP_1)
	v_max_f32_e32 v0, v0, v1
	ds_store_b32 v5, v0 offset:256
.LBB201_11:
	s_or_b32 exec_lo, exec_lo, s1
	v_cmp_gt_u32_e64 s1, 4, v38
	v_mov_b32_e32 v0, 0xff7fffff
	s_waitcnt vmcnt(0) lgkmcnt(0)
	s_waitcnt_vscnt null, 0x0
	s_barrier
	buffer_gl0_inv
	s_and_saveexec_b32 s3, s1
	s_cbranch_execz .LBB201_13
; %bb.12:
	ds_load_b32 v0, v34 offset:256
.LBB201_13:
	s_or_b32 exec_lo, exec_lo, s3
	s_waitcnt lgkmcnt(0)
	ds_bpermute_b32 v1, v16, v0
	v_max_f32_e32 v0, v0, v0
	v_subrev_nc_u32_e32 v7, s2, v84
	s_waitcnt lgkmcnt(0)
	v_dual_mov_b32 v6, 0 :: v_dual_max_f32 v1, v1, v1
	s_delay_alu instid0(VALU_DEP_1) | instskip(SKIP_3) | instid1(VALU_DEP_1)
	v_max_f32_e32 v0, v0, v1
	ds_bpermute_b32 v1, v13, v0
	s_waitcnt lgkmcnt(0)
	v_max_f32_e32 v1, v1, v1
	v_max_f32_e32 v0, v0, v1
	v_lshl_add_u32 v1, v7, 5, s17
	ds_bpermute_b32 v0, v6, v0
	v_min_i32_e32 v1, v1, v82
	s_delay_alu instid0(VALU_DEP_1) | instskip(NEXT) | instid1(VALU_DEP_1)
	v_subrev_nc_u32_e32 v1, s17, v1
	v_cmp_lt_i32_e64 s2, v175, v1
	s_delay_alu instid0(VALU_DEP_1)
	s_and_saveexec_b32 s9, s2
	s_cbranch_execz .LBB201_17
; %bb.14:
	s_getpc_b64 s[18:19]
	s_add_u32 s18, s18, llvm.amdgcn.dynlds.offset.table@rel32@lo+4
	s_addc_u32 s19, s19, llvm.amdgcn.dynlds.offset.table@rel32@hi+12
	s_ashr_i32 s11, s10, 31
	v_mov_b32_e32 v6, 0
	s_lshl_b64 s[20:21], s[10:11], 2
	v_mov_b32_e32 v8, v175
	s_add_u32 s18, s20, s18
	s_addc_u32 s19, s21, s19
	s_mov_b32 s11, 0
	s_load_b32 s3, s[18:19], 0x0
	s_waitcnt lgkmcnt(0)
	v_lshl_add_u32 v7, v175, 2, s3
	.p2align	6
.LBB201_15:                             ; =>This Inner Loop Header: Depth=1
	ds_load_b32 v9, v7
	v_add_nc_u32_e32 v8, 0x80, v8
	s_delay_alu instid0(VALU_DEP_1) | instskip(NEXT) | instid1(VALU_DEP_1)
	v_cmp_ge_i32_e64 s3, v8, v1
	s_or_b32 s11, s3, s11
	s_waitcnt lgkmcnt(0)
	v_sub_f32_e32 v9, v9, v0
	s_delay_alu instid0(VALU_DEP_1) | instskip(NEXT) | instid1(VALU_DEP_1)
	v_mul_f32_e32 v9, 0x3fb8aa3b, v9
	v_exp_f32_e32 v9, v9
	ds_store_b32 v7, v9
	v_dual_add_f32 v6, v6, v9 :: v_dual_add_nc_u32 v7, 0x200, v7
	s_and_not1_b32 exec_lo, exec_lo, s11
	s_cbranch_execnz .LBB201_15
; %bb.16:
	s_or_b32 exec_lo, exec_lo, s11
.LBB201_17:
	s_delay_alu instid0(SALU_CYCLE_1)
	s_or_b32 exec_lo, exec_lo, s9
	ds_bpermute_b32 v2, v2, v6
	s_waitcnt lgkmcnt(0)
	v_add_f32_e32 v2, v6, v2
	ds_bpermute_b32 v3, v3, v2
	s_waitcnt lgkmcnt(0)
	v_add_f32_e32 v2, v2, v3
	;; [unrolled: 3-line block ×5, first 2 shown]
	s_and_saveexec_b32 s3, vcc_lo
	s_cbranch_execz .LBB201_19
; %bb.18:
	ds_store_b32 v5, v2 offset:272
.LBB201_19:
	s_or_b32 exec_lo, exec_lo, s3
	s_waitcnt lgkmcnt(0)
	s_barrier
	buffer_gl0_inv
	s_and_saveexec_b32 s3, s1
	s_cbranch_execz .LBB201_21
; %bb.20:
	ds_load_b32 v2, v34 offset:272
.LBB201_21:
	s_or_b32 exec_lo, exec_lo, s3
	s_waitcnt lgkmcnt(0)
	ds_bpermute_b32 v3, v16, v2
	s_waitcnt lgkmcnt(0)
	v_add_f32_e32 v2, v2, v3
	ds_bpermute_b32 v3, v13, v2
	s_waitcnt lgkmcnt(0)
	v_dual_add_f32 v2, v2, v3 :: v_dual_mov_b32 v3, 0
	ds_bpermute_b32 v2, v3, v2
	s_and_saveexec_b32 s1, s2
	s_cbranch_execz .LBB201_24
; %bb.22:
	s_waitcnt lgkmcnt(0)
	v_add_f32_e32 v4, 0x358637bd, v2
	s_getpc_b64 s[2:3]
	s_add_u32 s2, s2, llvm.amdgcn.dynlds.offset.table@rel32@lo+4
	s_addc_u32 s3, s3, llvm.amdgcn.dynlds.offset.table@rel32@hi+12
	s_ashr_i32 s11, s10, 31
	s_delay_alu instid0(SALU_CYCLE_1) | instskip(SKIP_4) | instid1(VALU_DEP_1)
	s_lshl_b64 s[18:19], s[10:11], 2
	v_div_scale_f32 v3, null, v4, v4, 1.0
	s_add_u32 s2, s18, s2
	s_addc_u32 s3, s19, s3
	s_load_b32 s2, s[2:3], 0x0
	v_rcp_f32_e32 v5, v3
	s_waitcnt_depctr 0xfff
	v_fma_f32 v6, -v3, v5, 1.0
	s_delay_alu instid0(VALU_DEP_1) | instskip(SKIP_1) | instid1(VALU_DEP_1)
	v_fmac_f32_e32 v5, v6, v5
	v_div_scale_f32 v7, vcc_lo, 1.0, v4, 1.0
	v_mul_f32_e32 v6, v7, v5
	s_delay_alu instid0(VALU_DEP_1) | instskip(NEXT) | instid1(VALU_DEP_1)
	v_fma_f32 v8, -v3, v6, v7
	v_fmac_f32_e32 v6, v8, v5
	s_delay_alu instid0(VALU_DEP_1) | instskip(NEXT) | instid1(VALU_DEP_1)
	v_fma_f32 v3, -v3, v6, v7
	v_div_fmas_f32 v5, v3, v5, v6
	s_waitcnt lgkmcnt(0)
	v_lshl_add_u32 v3, v175, 2, s2
	s_mov_b32 s2, 0
	s_delay_alu instid0(VALU_DEP_2)
	v_div_fixup_f32 v4, v5, v4, 1.0
	v_mov_b32_e32 v5, v175
.LBB201_23:                             ; =>This Inner Loop Header: Depth=1
	ds_load_b32 v6, v3
	s_waitcnt lgkmcnt(0)
	v_dual_mul_f32 v6, v4, v6 :: v_dual_add_nc_u32 v5, 0x80, v5
	s_delay_alu instid0(VALU_DEP_1) | instskip(SKIP_3) | instid1(SALU_CYCLE_1)
	v_cmp_ge_i32_e32 vcc_lo, v5, v1
	ds_store_b32 v3, v6
	v_add_nc_u32_e32 v3, 0x200, v3
	s_or_b32 s2, vcc_lo, s2
	s_and_not1_b32 exec_lo, exec_lo, s2
	s_cbranch_execnz .LBB201_23
.LBB201_24:
	s_or_b32 exec_lo, exec_lo, s1
	v_cmp_ne_u16_e64 s1, s8, 0
	s_mov_b32 s2, exec_lo
	s_waitcnt lgkmcnt(0)
	s_barrier
	buffer_gl0_inv
	s_cmp_lg_u32 s1, 0
	s_addc_u32 s1, s7, 0
	v_cmpx_eq_u32_e32 0, v175
	s_cbranch_execz .LBB201_26
; %bb.25:
	s_mul_i32 s3, s1, s4
	s_mul_i32 s8, s1, s12
	;; [unrolled: 1-line block ×3, first 2 shown]
	s_ashr_i32 s9, s8, 31
	s_ashr_i32 s15, s14, 31
	;; [unrolled: 1-line block ×3, first 2 shown]
	s_lshl_b64 s[8:9], s[8:9], 2
	s_lshl_b64 s[18:19], s[14:15], 2
	;; [unrolled: 1-line block ×3, first 2 shown]
	s_add_u32 s3, s18, s8
	s_addc_u32 s7, s19, s9
	s_add_u32 s3, s3, s12
	s_addc_u32 s7, s7, s13
	v_add_co_u32 v3, vcc_lo, s3, v26
	v_add_co_ci_u32_e32 v4, vcc_lo, s7, v25, vcc_lo
	v_add_co_u32 v5, vcc_lo, s3, v24
	v_add_co_ci_u32_e32 v6, vcc_lo, s7, v22, vcc_lo
	flat_store_b32 v[3:4], v0
	flat_store_b32 v[5:6], v2
.LBB201_26:
	s_or_b32 exec_lo, exec_lo, s2
                                        ; implicit-def: $sgpr3
	s_and_saveexec_b32 s2, s0
	s_delay_alu instid0(SALU_CYCLE_1)
	s_xor_b32 s0, exec_lo, s2
; %bb.27:
	s_ashr_i32 s11, s10, 31
	s_mov_b32 s3, 0
                                        ; implicit-def: $vgpr82
                                        ; implicit-def: $vgpr12
                                        ; implicit-def: $vgpr84
                                        ; implicit-def: $vgpr20
                                        ; implicit-def: $vgpr10
                                        ; implicit-def: $vgpr11
                                        ; implicit-def: $vgpr14
                                        ; implicit-def: $vgpr15
                                        ; implicit-def: $vgpr184
                                        ; implicit-def: $vgpr52
                                        ; implicit-def: $vgpr50_vgpr51
; %bb.28:
	s_or_saveexec_b32 s2, s0
	v_dual_mov_b32 v33, s3 :: v_dual_mov_b32 v0, s10
	v_dual_mov_b32 v1, s11 :: v_dual_mov_b32 v36, s3
	v_dual_mov_b32 v34, s3 :: v_dual_and_b32 v17, 3, v175
	v_dual_mov_b32 v35, s3 :: v_dual_mov_b32 v32, s3
	v_dual_mov_b32 v31, s3 :: v_dual_mov_b32 v30, s3
	v_dual_mov_b32 v29, s3 :: v_dual_mov_b32 v28, s3
	v_dual_mov_b32 v27, s3 :: v_dual_mov_b32 v26, s3
	v_dual_mov_b32 v25, s3 :: v_dual_mov_b32 v24, s3
	v_dual_mov_b32 v23, s3 :: v_dual_mov_b32 v18, s3
	v_mov_b32_e32 v19, s3
	s_xor_b32 exec_lo, exec_lo, s2
	s_cbranch_execz .LBB201_608
; %bb.29:
	s_getpc_b64 s[8:9]
	s_add_u32 s8, s8, llvm.amdgcn.dynlds.offset.table@rel32@lo+4
	s_addc_u32 s9, s9, llvm.amdgcn.dynlds.offset.table@rel32@hi+12
	s_ashr_i32 s11, s10, 31
	v_lshlrev_b64 v[0:1], 1, v[52:53]
	s_lshl_b64 s[12:13], s[10:11], 2
	v_dual_mov_b32 v185, v49 :: v_dual_lshlrev_b32 v2, 3, v175
	s_add_u32 s8, s12, s8
	s_addc_u32 s9, s13, s9
	s_delay_alu instid0(VALU_DEP_1)
	v_dual_mov_b32 v186, v38 :: v_dual_and_b32 v3, 24, v2
	s_load_b32 s0, s[8:9], 0x0
	v_and_b32_e32 v2, 0xf8, v2
	v_add_co_u32 v37, vcc_lo, v10, v0
	v_add_co_ci_u32_e32 v38, vcc_lo, v11, v1, vcc_lo
	v_lshlrev_b64 v[0:1], 2, v[20:21]
	s_delay_alu instid0(VALU_DEP_4) | instskip(SKIP_2) | instid1(VALU_DEP_4)
	v_or_b32_e32 v19, 0xf00, v2
	v_dual_mov_b32 v25, 0 :: v_dual_lshlrev_b32 v10, 5, v17
	v_dual_mov_b32 v23, 0 :: v_dual_add_nc_u32 v48, -1, v12
	v_add_co_u32 v0, vcc_lo, v50, v0
	v_add_co_ci_u32_e32 v1, vcc_lo, v51, v1, vcc_lo
	v_lshl_add_u32 v22, v49, 5, s17
	v_lshl_or_b32 v21, v49, 7, v10
	v_dual_mov_b32 v35, 0 :: v_dual_lshlrev_b32 v64, 1, v19
	v_mov_b32_e32 v19, 0
	v_or_b32_e32 v4, 0x800, v2
	v_or_b32_e32 v5, 0x900, v2
	;; [unrolled: 1-line block ×7, first 2 shown]
	v_add_co_u32 v10, vcc_lo, v14, v0
	v_mov_b32_e32 v18, 0
	v_add_co_ci_u32_e32 v11, vcc_lo, v15, v1, vcc_lo
	s_waitcnt lgkmcnt(0)
	v_add_nc_u32_e32 v15, s0, v21
	v_add3_u32 v14, v22, v3, 7
	v_dual_mov_b32 v24, 0 :: v_dual_lshlrev_b32 v21, 1, v2
	v_dual_mov_b32 v26, 0 :: v_dual_lshlrev_b32 v49, 1, v4
	;; [unrolled: 1-line block ×8, first 2 shown]
	v_dual_mov_b32 v34, 0 :: v_dual_mov_b32 v33, 0
	v_mov_b32_e32 v36, 0
	s_mov_b32 s3, 0
	s_branch .LBB201_31
.LBB201_30:                             ;   in Loop: Header=BB201_31 Depth=1
	s_or_b32 exec_lo, exec_lo, s0
	v_and_b32_e32 v102, 0xffff0000, v157
	v_and_b32_e32 v113, 0xffff0000, v168
	v_and_b32_e32 v22, 0xffff0000, v22
	v_and_b32_e32 v103, 0xffff0000, v156
	v_and_b32_e32 v39, 0xffff0000, v39
	v_and_b32_e32 v12, 0xffff0000, v12
	v_and_b32_e32 v5, 0xffff0000, v5
	v_dual_add_f32 v22, v22, v113 :: v_dual_and_b32 v101, 0xffff0000, v159
	v_add_f32_e32 v102, v103, v102
	v_and_b32_e32 v112, 0xffff0000, v158
	v_and_b32_e32 v4, 0xffff0000, v4
	;; [unrolled: 1-line block ×4, first 2 shown]
	s_delay_alu instid0(VALU_DEP_4)
	v_dual_add_f32 v101, v112, v101 :: v_dual_and_b32 v66, 0xffff0000, v66
	v_and_b32_e32 v9, 0xffff0000, v9
	v_and_b32_e32 v0, 0xffff0000, v0
	;; [unrolled: 1-line block ×4, first 2 shown]
	v_add_f32_e32 v101, v102, v101
	v_and_b32_e32 v102, 0xffff0000, v153
	v_add_co_u32 v10, s0, v10, 16
	s_delay_alu instid0(VALU_DEP_1) | instskip(NEXT) | instid1(VALU_DEP_4)
	v_add_co_ci_u32_e64 v11, s0, 0, v11, s0
	v_dual_add_f32 v22, v101, v22 :: v_dual_and_b32 v119, 0xffff0000, v124
	v_and_b32_e32 v113, 0xffff0000, v143
	v_and_b32_e32 v115, 0xffff0000, v152
	;; [unrolled: 1-line block ×3, first 2 shown]
	v_add_f32_e32 v4, v4, v5
	v_dual_add_f32 v5, v12, v39 :: v_dual_and_b32 v112, 0xffff0000, v170
	s_delay_alu instid0(VALU_DEP_4) | instskip(SKIP_1) | instid1(VALU_DEP_3)
	v_dual_add_f32 v102, v115, v102 :: v_dual_and_b32 v115, 0xffff0000, v136
	v_and_b32_e32 v101, 0xffff0000, v141
	v_dual_add_f32 v4, v4, v5 :: v_dual_and_b32 v83, 0xffff0000, v83
	s_delay_alu instid0(VALU_DEP_4) | instskip(SKIP_4) | instid1(VALU_DEP_4)
	v_add_f32_e32 v103, v103, v112
	v_and_b32_e32 v112, 0xffff0000, v140
	v_and_b32_e32 v114, 0xffff0000, v142
	v_add_nc_u32_e32 v15, 0x200, v15
	v_add_nc_u32_e32 v14, 0x80, v14
	v_dual_add_f32 v22, v22, v103 :: v_dual_add_f32 v101, v112, v101
	s_delay_alu instid0(VALU_DEP_4) | instskip(NEXT) | instid1(VALU_DEP_2)
	v_dual_add_f32 v112, v114, v113 :: v_dual_and_b32 v113, 0xffff0000, v127
	v_add_f32_e32 v19, v19, v22
	s_delay_alu instid0(VALU_DEP_2) | instskip(NEXT) | instid1(VALU_DEP_3)
	v_add_f32_e32 v101, v101, v112
	v_add_f32_e32 v113, v128, v113
	s_delay_alu instid0(VALU_DEP_2) | instskip(NEXT) | instid1(VALU_DEP_1)
	v_dual_add_f32 v101, v101, v102 :: v_dual_and_b32 v114, 0xffff0000, v125
	v_add_f32_e32 v114, v119, v114
	v_and_b32_e32 v116, 0xffff0000, v154
	v_and_b32_e32 v119, 0xffff0000, v107
	s_delay_alu instid0(VALU_DEP_3) | instskip(SKIP_1) | instid1(VALU_DEP_1)
	v_dual_add_f32 v113, v114, v113 :: v_dual_and_b32 v114, 0xffff0000, v139
	v_and_b32_e32 v112, 0xffff0000, v137
	v_dual_add_f32 v112, v115, v112 :: v_dual_and_b32 v117, 0xffff0000, v155
	s_delay_alu instid0(VALU_DEP_1) | instskip(NEXT) | instid1(VALU_DEP_1)
	v_dual_add_f32 v102, v116, v117 :: v_dual_and_b32 v115, 0xffff0000, v108
	v_dual_add_f32 v115, v119, v115 :: v_dual_and_b32 v116, 0xffff0000, v138
	v_and_b32_e32 v117, 0xffff0000, v105
	s_delay_alu instid0(VALU_DEP_3) | instskip(NEXT) | instid1(VALU_DEP_3)
	v_add_f32_e32 v101, v101, v102
	v_add_f32_e32 v103, v116, v114
	v_and_b32_e32 v116, 0xffff0000, v106
	v_add_f32_e32 v102, v113, v112
	s_delay_alu instid0(VALU_DEP_4) | instskip(SKIP_1) | instid1(VALU_DEP_4)
	v_dual_add_f32 v23, v23, v101 :: v_dual_and_b32 v12, 0xffff0000, v110
	v_and_b32_e32 v101, 0xffff0000, v91
	v_dual_add_f32 v39, v117, v116 :: v_dual_and_b32 v112, 0xffff0000, v121
	v_and_b32_e32 v116, 0xffff0000, v109
	v_add_f32_e32 v102, v102, v103
	s_delay_alu instid0(VALU_DEP_3) | instskip(NEXT) | instid1(VALU_DEP_4)
	v_add_f32_e32 v39, v39, v115
	v_dual_add_f32 v5, v83, v112 :: v_dual_and_b32 v114, 0xffff0000, v123
	s_delay_alu instid0(VALU_DEP_4) | instskip(SKIP_2) | instid1(VALU_DEP_3)
	v_dual_add_f32 v12, v116, v12 :: v_dual_and_b32 v113, 0xffff0000, v122
	v_and_b32_e32 v112, 0xffff0000, v120
	v_add_f32_e32 v24, v24, v102
	v_dual_add_f32 v4, v4, v5 :: v_dual_add_f32 v5, v113, v114
	s_delay_alu instid0(VALU_DEP_4) | instskip(NEXT) | instid1(VALU_DEP_2)
	v_dual_add_f32 v12, v39, v12 :: v_dual_and_b32 v113, 0xffff0000, v73
	v_add_f32_e32 v4, v4, v5
	s_delay_alu instid0(VALU_DEP_1) | instskip(SKIP_1) | instid1(VALU_DEP_1)
	v_dual_add_f32 v25, v25, v4 :: v_dual_and_b32 v114, 0xffff0000, v75
	v_and_b32_e32 v22, 0xffff0000, v92
	v_dual_add_f32 v22, v101, v22 :: v_dual_and_b32 v83, 0xffff0000, v111
	s_delay_alu instid0(VALU_DEP_1) | instskip(SKIP_1) | instid1(VALU_DEP_2)
	v_add_f32_e32 v39, v83, v112
	v_and_b32_e32 v83, 0xffff0000, v89
	v_add_f32_e32 v5, v12, v39
	s_delay_alu instid0(VALU_DEP_1) | instskip(SKIP_1) | instid1(VALU_DEP_1)
	v_dual_add_f32 v26, v26, v5 :: v_dual_and_b32 v103, 0xffff0000, v95
	v_and_b32_e32 v101, 0xffff0000, v74
	v_dual_add_f32 v101, v113, v101 :: v_dual_and_b32 v12, 0xffff0000, v94
	v_and_b32_e32 v102, 0xffff0000, v93
	s_delay_alu instid0(VALU_DEP_1) | instskip(NEXT) | instid1(VALU_DEP_1)
	v_dual_add_f32 v12, v102, v12 :: v_dual_and_b32 v39, 0xffff0000, v90
	v_dual_add_f32 v39, v83, v39 :: v_dual_and_b32 v102, 0xffff0000, v77
	s_delay_alu instid0(VALU_DEP_1) | instskip(SKIP_2) | instid1(VALU_DEP_3)
	v_add_f32_e32 v22, v39, v22
	v_and_b32_e32 v39, 0xffff0000, v78
	v_and_b32_e32 v112, 0xffff0000, v104
	v_add_f32_e32 v12, v22, v12
	s_delay_alu instid0(VALU_DEP_2) | instskip(SKIP_1) | instid1(VALU_DEP_2)
	v_dual_add_f32 v39, v102, v39 :: v_dual_add_f32 v22, v103, v112
	v_and_b32_e32 v83, 0xffff0000, v76
	v_dual_add_f32 v4, v12, v22 :: v_dual_and_b32 v103, 0xffff0000, v79
	s_delay_alu instid0(VALU_DEP_2) | instskip(NEXT) | instid1(VALU_DEP_2)
	v_dual_add_f32 v83, v114, v83 :: v_dual_and_b32 v6, 0xffff0000, v6
	v_add_f32_e32 v27, v27, v4
	s_delay_alu instid0(VALU_DEP_2) | instskip(NEXT) | instid1(VALU_DEP_3)
	v_add_f32_e32 v83, v101, v83
	v_dual_add_f32 v6, v6, v7 :: v_dual_and_b32 v101, 0xffff0000, v88
	s_delay_alu instid0(VALU_DEP_2) | instskip(NEXT) | instid1(VALU_DEP_2)
	v_add_f32_e32 v5, v83, v39
	v_dual_add_f32 v12, v103, v101 :: v_dual_and_b32 v39, 0xffff0000, v59
	v_and_b32_e32 v83, 0xffff0000, v45
	s_delay_alu instid0(VALU_DEP_2) | instskip(SKIP_3) | instid1(VALU_DEP_4)
	v_dual_add_f32 v4, v5, v12 :: v_dual_and_b32 v103, 0xffff0000, v149
	v_and_b32_e32 v5, 0xffff0000, v62
	v_and_b32_e32 v12, 0xffff0000, v61
	;; [unrolled: 1-line block ×3, first 2 shown]
	v_add_f32_e32 v28, v28, v4
	s_delay_alu instid0(VALU_DEP_3) | instskip(NEXT) | instid1(VALU_DEP_3)
	v_dual_add_f32 v5, v12, v5 :: v_dual_and_b32 v4, 0xffff0000, v63
	v_add_f32_e32 v7, v39, v22
	s_delay_alu instid0(VALU_DEP_1) | instskip(NEXT) | instid1(VALU_DEP_1)
	v_add_f32_e32 v6, v6, v7
	v_dual_add_f32 v5, v6, v5 :: v_dual_and_b32 v22, 0xffff0000, v72
	s_delay_alu instid0(VALU_DEP_1) | instskip(SKIP_1) | instid1(VALU_DEP_2)
	v_add_f32_e32 v4, v4, v22
	v_and_b32_e32 v6, 0xffff0000, v56
	v_add_f32_e32 v4, v5, v4
	s_delay_alu instid0(VALU_DEP_1) | instskip(NEXT) | instid1(VALU_DEP_1)
	v_dual_add_f32 v29, v29, v4 :: v_dual_and_b32 v22, 0xffff0000, v47
	v_dual_add_f32 v6, v22, v6 :: v_dual_and_b32 v39, 0xffff0000, v43
	v_and_b32_e32 v22, 0xffff0000, v180
	v_and_b32_e32 v5, 0xffff0000, v57
	;; [unrolled: 1-line block ×3, first 2 shown]
	s_delay_alu instid0(VALU_DEP_1) | instskip(NEXT) | instid1(VALU_DEP_1)
	v_dual_add_f32 v12, v39, v12 :: v_dual_and_b32 v7, 0xffff0000, v46
	v_add_f32_e32 v7, v83, v7
	s_delay_alu instid0(VALU_DEP_1) | instskip(NEXT) | instid1(VALU_DEP_1)
	v_add_f32_e32 v7, v12, v7
	v_dual_add_f32 v6, v7, v6 :: v_dual_and_b32 v83, 0xffff0000, v179
	v_and_b32_e32 v7, 0xffff0000, v40
	v_and_b32_e32 v12, 0xffff0000, v182
	s_delay_alu instid0(VALU_DEP_3) | instskip(SKIP_1) | instid1(VALU_DEP_2)
	v_dual_add_f32 v22, v83, v22 :: v_dual_and_b32 v101, 0xffff0000, v181
	v_and_b32_e32 v39, 0xffff0000, v58
	v_dual_add_f32 v12, v101, v12 :: v_dual_and_b32 v83, 0xffff0000, v165
	s_delay_alu instid0(VALU_DEP_2) | instskip(NEXT) | instid1(VALU_DEP_1)
	v_add_f32_e32 v5, v5, v39
	v_add_f32_e32 v4, v6, v5
	s_delay_alu instid0(VALU_DEP_3) | instskip(SKIP_4) | instid1(VALU_DEP_4)
	v_add_f32_e32 v6, v22, v12
	v_and_b32_e32 v12, 0xffff0000, v166
	v_and_b32_e32 v39, 0xffff0000, v183
	;; [unrolled: 1-line block ×3, first 2 shown]
	v_add_f32_e32 v30, v30, v4
	v_add_f32_e32 v12, v83, v12
	s_delay_alu instid0(VALU_DEP_4) | instskip(SKIP_1) | instid1(VALU_DEP_2)
	v_add_f32_e32 v7, v39, v7
	v_and_b32_e32 v39, 0xffff0000, v163
	v_dual_add_f32 v6, v6, v7 :: v_dual_and_b32 v5, 0xffff0000, v41
	s_delay_alu instid0(VALU_DEP_2) | instskip(SKIP_1) | instid1(VALU_DEP_2)
	v_add_f32_e32 v22, v39, v22
	v_and_b32_e32 v102, 0xffff0000, v147
	v_dual_add_f32 v12, v22, v12 :: v_dual_and_b32 v39, 0xffff0000, v167
	v_and_b32_e32 v22, 0xffff0000, v150
	s_delay_alu instid0(VALU_DEP_1) | instskip(SKIP_1) | instid1(VALU_DEP_1)
	v_dual_add_f32 v22, v103, v22 :: v_dual_and_b32 v83, 0xffff0000, v177
	v_and_b32_e32 v7, 0xffff0000, v176
	v_add_f32_e32 v7, v39, v7
	v_and_b32_e32 v39, 0xffff0000, v148
	s_delay_alu instid0(VALU_DEP_2) | instskip(SKIP_1) | instid1(VALU_DEP_1)
	v_add_f32_e32 v7, v12, v7
	v_and_b32_e32 v101, 0xffff0000, v42
	v_add_f32_e32 v5, v5, v101
	s_delay_alu instid0(VALU_DEP_1) | instskip(SKIP_1) | instid1(VALU_DEP_2)
	v_add_f32_e32 v5, v6, v5
	v_add_f32_e32 v39, v102, v39
	;; [unrolled: 1-line block ×3, first 2 shown]
	s_delay_alu instid0(VALU_DEP_2) | instskip(SKIP_3) | instid1(VALU_DEP_3)
	v_add_f32_e32 v4, v39, v22
	v_and_b32_e32 v101, 0xffff0000, v178
	v_and_b32_e32 v5, 0xffff0000, v161
	;; [unrolled: 1-line block ×3, first 2 shown]
	v_add_f32_e32 v12, v83, v101
	s_delay_alu instid0(VALU_DEP_1) | instskip(NEXT) | instid1(VALU_DEP_1)
	v_add_f32_e32 v6, v7, v12
	v_add_f32_e32 v32, v32, v6
	v_and_b32_e32 v6, 0xffff0000, v162
	s_delay_alu instid0(VALU_DEP_1) | instskip(SKIP_1) | instid1(VALU_DEP_2)
	v_dual_add_f32 v5, v5, v6 :: v_dual_and_b32 v12, 0xffff0000, v132
	v_and_b32_e32 v6, 0xffff0000, v144
	v_dual_add_f32 v12, v22, v12 :: v_dual_and_b32 v101, 0xffff0000, v151
	v_and_b32_e32 v22, 0xffff0000, v85
	v_and_b32_e32 v83, 0xffff0000, v160
	s_delay_alu instid0(VALU_DEP_1) | instskip(NEXT) | instid1(VALU_DEP_1)
	v_add_f32_e32 v7, v101, v83
	v_dual_add_f32 v4, v4, v7 :: v_dual_and_b32 v7, 0xffff0000, v134
	s_delay_alu instid0(VALU_DEP_1) | instskip(NEXT) | instid1(VALU_DEP_1)
	v_add_f32_e32 v4, v4, v5
	v_dual_add_f32 v34, v34, v4 :: v_dual_and_b32 v65, 0xffff0000, v65
	v_and_b32_e32 v8, 0xffff0000, v8
	s_delay_alu instid0(VALU_DEP_1) | instskip(NEXT) | instid1(VALU_DEP_1)
	v_dual_add_f32 v8, v8, v9 :: v_dual_and_b32 v83, 0xffff0000, v135
	v_dual_add_f32 v6, v83, v6 :: v_dual_and_b32 v39, 0xffff0000, v133
	s_delay_alu instid0(VALU_DEP_4) | instskip(SKIP_2) | instid1(VALU_DEP_4)
	v_add_f32_e32 v9, v65, v66
	v_and_b32_e32 v71, 0xffff0000, v71
	v_and_b32_e32 v65, 0xffff0000, v99
	v_add_f32_e32 v7, v39, v7
	v_and_b32_e32 v39, 0xffff0000, v80
	v_and_b32_e32 v80, 0xffff0000, v81
	v_add_f32_e32 v8, v8, v9
	s_delay_alu instid0(VALU_DEP_4) | instskip(NEXT) | instid1(VALU_DEP_3)
	v_add_f32_e32 v7, v12, v7
	v_dual_add_f32 v39, v71, v39 :: v_dual_add_f32 v22, v80, v22
	v_and_b32_e32 v80, 0xffff0000, v146
	v_and_b32_e32 v12, 0xffff0000, v87
	;; [unrolled: 1-line block ×3, first 2 shown]
	v_add_f32_e32 v6, v7, v6
	v_add_f32_e32 v5, v39, v22
	s_delay_alu instid0(VALU_DEP_3) | instskip(SKIP_2) | instid1(VALU_DEP_3)
	v_add_f32_e32 v12, v71, v12
	v_and_b32_e32 v22, 0xffff0000, v97
	v_and_b32_e32 v71, 0xffff0000, v96
	v_add_f32_e32 v5, v5, v12
	v_and_b32_e32 v12, 0xffff0000, v68
	v_and_b32_e32 v68, 0xffff0000, v69
	;; [unrolled: 1-line block ×5, first 2 shown]
	s_delay_alu instid0(VALU_DEP_1) | instskip(NEXT) | instid1(VALU_DEP_1)
	v_dual_add_f32 v0, v0, v71 :: v_dual_add_f32 v1, v1, v70
	v_add_f32_e32 v0, v0, v1
	s_delay_alu instid0(VALU_DEP_4) | instskip(SKIP_2) | instid1(VALU_DEP_2)
	v_add_f32_e32 v1, v2, v65
	v_and_b32_e32 v67, 0xffff0000, v67
	v_and_b32_e32 v2, 0xffff0000, v100
	v_dual_add_f32 v0, v0, v1 :: v_dual_add_f32 v9, v67, v12
	v_and_b32_e32 v39, 0xffff0000, v118
	s_delay_alu instid0(VALU_DEP_2) | instskip(NEXT) | instid1(VALU_DEP_2)
	v_dual_add_f32 v1, v3, v2 :: v_dual_add_f32 v8, v8, v9
	v_dual_add_f32 v12, v22, v39 :: v_dual_and_b32 v81, 0xffff0000, v145
	v_add_f32_e32 v9, v68, v69
	s_delay_alu instid0(VALU_DEP_2) | instskip(NEXT) | instid1(VALU_DEP_2)
	v_dual_add_f32 v0, v0, v1 :: v_dual_add_f32 v7, v81, v80
	v_dual_add_f32 v3, v5, v12 :: v_dual_add_f32 v4, v8, v9
	s_delay_alu instid0(VALU_DEP_2) | instskip(NEXT) | instid1(VALU_DEP_3)
	v_add_f32_e32 v18, v18, v0
	v_add_f32_e32 v2, v6, v7
	v_add_nc_u32_e32 v20, 4, v20
	s_delay_alu instid0(VALU_DEP_4) | instskip(NEXT) | instid1(VALU_DEP_3)
	v_dual_add_f32 v36, v36, v3 :: v_dual_add_f32 v33, v33, v4
	v_add_f32_e32 v35, v35, v2
	s_delay_alu instid0(VALU_DEP_3) | instskip(SKIP_1) | instid1(SALU_CYCLE_1)
	v_cmp_ge_i32_e32 vcc_lo, v20, v84
	s_or_b32 s3, vcc_lo, s3
	s_and_not1_b32 exec_lo, exec_lo, s3
	s_cbranch_execz .LBB201_607
.LBB201_31:                             ; =>This Inner Loop Header: Depth=1
	flat_load_b32 v68, v[10:11]
	ds_load_2addr_b64 v[6:9], v15 offset1:1
	ds_load_2addr_b64 v[0:3], v15 offset0:2 offset1:3
	s_mov_b32 s0, exec_lo
                                        ; implicit-def: $vgpr67
	s_waitcnt lgkmcnt(1)
	v_and_b32_e32 v4, 0x7f800000, v6
	s_delay_alu instid0(VALU_DEP_1)
	v_cmpx_ne_u32_e32 0x7f800000, v4
	s_xor_b32 s0, exec_lo, s0
; %bb.32:                               ;   in Loop: Header=BB201_31 Depth=1
	v_bfe_u32 v4, v6, 16, 1
	s_delay_alu instid0(VALU_DEP_1)
	v_add3_u32 v67, v6, v4, 0x7fff
; %bb.33:                               ;   in Loop: Header=BB201_31 Depth=1
	s_and_not1_saveexec_b32 s0, s0
; %bb.34:                               ;   in Loop: Header=BB201_31 Depth=1
	v_and_b32_e32 v4, 0xffff, v6
	v_or_b32_e32 v5, 0x10000, v6
	s_delay_alu instid0(VALU_DEP_2) | instskip(NEXT) | instid1(VALU_DEP_2)
	v_cmp_eq_u32_e32 vcc_lo, 0, v4
	v_cndmask_b32_e32 v67, v5, v6, vcc_lo
; %bb.35:                               ;   in Loop: Header=BB201_31 Depth=1
	s_or_b32 exec_lo, exec_lo, s0
	v_and_b32_e32 v4, 0x7f800000, v7
	s_mov_b32 s0, exec_lo
                                        ; implicit-def: $vgpr66
	s_delay_alu instid0(VALU_DEP_1)
	v_cmpx_ne_u32_e32 0x7f800000, v4
	s_xor_b32 s0, exec_lo, s0
; %bb.36:                               ;   in Loop: Header=BB201_31 Depth=1
	v_bfe_u32 v4, v7, 16, 1
	s_delay_alu instid0(VALU_DEP_1)
	v_add3_u32 v66, v7, v4, 0x7fff
; %bb.37:                               ;   in Loop: Header=BB201_31 Depth=1
	s_and_not1_saveexec_b32 s0, s0
; %bb.38:                               ;   in Loop: Header=BB201_31 Depth=1
	v_and_b32_e32 v4, 0xffff, v7
	v_or_b32_e32 v5, 0x10000, v7
	s_delay_alu instid0(VALU_DEP_2) | instskip(NEXT) | instid1(VALU_DEP_2)
	v_cmp_eq_u32_e32 vcc_lo, 0, v4
	v_cndmask_b32_e32 v66, v5, v7, vcc_lo
; %bb.39:                               ;   in Loop: Header=BB201_31 Depth=1
	s_or_b32 exec_lo, exec_lo, s0
	v_and_b32_e32 v4, 0x7f800000, v8
	s_mov_b32 s0, exec_lo
                                        ; implicit-def: $vgpr65
	s_delay_alu instid0(VALU_DEP_1)
	v_cmpx_ne_u32_e32 0x7f800000, v4
	s_xor_b32 s0, exec_lo, s0
; %bb.40:                               ;   in Loop: Header=BB201_31 Depth=1
	v_bfe_u32 v4, v8, 16, 1
	s_delay_alu instid0(VALU_DEP_1)
	v_add3_u32 v65, v8, v4, 0x7fff
; %bb.41:                               ;   in Loop: Header=BB201_31 Depth=1
	s_and_not1_saveexec_b32 s0, s0
; %bb.42:                               ;   in Loop: Header=BB201_31 Depth=1
	v_and_b32_e32 v4, 0xffff, v8
	v_or_b32_e32 v5, 0x10000, v8
	s_delay_alu instid0(VALU_DEP_2) | instskip(NEXT) | instid1(VALU_DEP_2)
	v_cmp_eq_u32_e32 vcc_lo, 0, v4
	v_cndmask_b32_e32 v65, v5, v8, vcc_lo
; %bb.43:                               ;   in Loop: Header=BB201_31 Depth=1
	s_or_b32 exec_lo, exec_lo, s0
	v_and_b32_e32 v4, 0x7f800000, v9
	s_mov_b32 s0, exec_lo
                                        ; implicit-def: $vgpr39
	s_delay_alu instid0(VALU_DEP_1)
	v_cmpx_ne_u32_e32 0x7f800000, v4
	s_xor_b32 s0, exec_lo, s0
; %bb.44:                               ;   in Loop: Header=BB201_31 Depth=1
	v_bfe_u32 v4, v9, 16, 1
	s_delay_alu instid0(VALU_DEP_1)
	v_add3_u32 v39, v9, v4, 0x7fff
                                        ; implicit-def: $vgpr6_vgpr7_vgpr8_vgpr9
; %bb.45:                               ;   in Loop: Header=BB201_31 Depth=1
	s_and_not1_saveexec_b32 s0, s0
; %bb.46:                               ;   in Loop: Header=BB201_31 Depth=1
	v_and_b32_e32 v4, 0xffff, v9
	v_or_b32_e32 v5, 0x10000, v9
	s_delay_alu instid0(VALU_DEP_2) | instskip(NEXT) | instid1(VALU_DEP_2)
	v_cmp_eq_u32_e32 vcc_lo, 0, v4
	v_cndmask_b32_e32 v39, v5, v9, vcc_lo
; %bb.47:                               ;   in Loop: Header=BB201_31 Depth=1
	s_or_b32 exec_lo, exec_lo, s0
	s_waitcnt lgkmcnt(0)
	v_and_b32_e32 v4, 0x7f800000, v0
	s_mov_b32 s0, exec_lo
                                        ; implicit-def: $vgpr22
	s_delay_alu instid0(VALU_DEP_1)
	v_cmpx_ne_u32_e32 0x7f800000, v4
	s_xor_b32 s0, exec_lo, s0
; %bb.48:                               ;   in Loop: Header=BB201_31 Depth=1
	v_bfe_u32 v4, v0, 16, 1
	s_delay_alu instid0(VALU_DEP_1)
	v_add3_u32 v22, v0, v4, 0x7fff
; %bb.49:                               ;   in Loop: Header=BB201_31 Depth=1
	s_and_not1_saveexec_b32 s0, s0
; %bb.50:                               ;   in Loop: Header=BB201_31 Depth=1
	v_and_b32_e32 v4, 0xffff, v0
	v_or_b32_e32 v5, 0x10000, v0
	s_delay_alu instid0(VALU_DEP_2) | instskip(NEXT) | instid1(VALU_DEP_2)
	v_cmp_eq_u32_e32 vcc_lo, 0, v4
	v_cndmask_b32_e32 v22, v5, v0, vcc_lo
; %bb.51:                               ;   in Loop: Header=BB201_31 Depth=1
	s_or_b32 exec_lo, exec_lo, s0
	v_and_b32_e32 v0, 0x7f800000, v1
	s_mov_b32 s0, exec_lo
                                        ; implicit-def: $vgpr12
	s_delay_alu instid0(VALU_DEP_1)
	v_cmpx_ne_u32_e32 0x7f800000, v0
	s_xor_b32 s0, exec_lo, s0
; %bb.52:                               ;   in Loop: Header=BB201_31 Depth=1
	v_bfe_u32 v0, v1, 16, 1
	s_delay_alu instid0(VALU_DEP_1)
	v_add3_u32 v12, v1, v0, 0x7fff
; %bb.53:                               ;   in Loop: Header=BB201_31 Depth=1
	s_and_not1_saveexec_b32 s0, s0
; %bb.54:                               ;   in Loop: Header=BB201_31 Depth=1
	v_and_b32_e32 v0, 0xffff, v1
	v_or_b32_e32 v4, 0x10000, v1
	s_delay_alu instid0(VALU_DEP_2) | instskip(NEXT) | instid1(VALU_DEP_2)
	v_cmp_eq_u32_e32 vcc_lo, 0, v0
	v_cndmask_b32_e32 v12, v4, v1, vcc_lo
; %bb.55:                               ;   in Loop: Header=BB201_31 Depth=1
	s_or_b32 exec_lo, exec_lo, s0
	v_and_b32_e32 v0, 0x7f800000, v2
	s_mov_b32 s0, exec_lo
                                        ; implicit-def: $vgpr5
	s_delay_alu instid0(VALU_DEP_1)
	v_cmpx_ne_u32_e32 0x7f800000, v0
	s_xor_b32 s0, exec_lo, s0
; %bb.56:                               ;   in Loop: Header=BB201_31 Depth=1
	v_bfe_u32 v0, v2, 16, 1
	s_delay_alu instid0(VALU_DEP_1)
	v_add3_u32 v5, v2, v0, 0x7fff
; %bb.57:                               ;   in Loop: Header=BB201_31 Depth=1
	s_and_not1_saveexec_b32 s0, s0
; %bb.58:                               ;   in Loop: Header=BB201_31 Depth=1
	v_and_b32_e32 v0, 0xffff, v2
	v_or_b32_e32 v1, 0x10000, v2
	s_delay_alu instid0(VALU_DEP_2) | instskip(NEXT) | instid1(VALU_DEP_2)
	v_cmp_eq_u32_e32 vcc_lo, 0, v0
	v_cndmask_b32_e32 v5, v1, v2, vcc_lo
; %bb.59:                               ;   in Loop: Header=BB201_31 Depth=1
	s_or_b32 exec_lo, exec_lo, s0
	v_and_b32_e32 v0, 0x7f800000, v3
	s_mov_b32 s0, exec_lo
                                        ; implicit-def: $vgpr4
	s_delay_alu instid0(VALU_DEP_1)
	v_cmpx_ne_u32_e32 0x7f800000, v0
	s_xor_b32 s0, exec_lo, s0
; %bb.60:                               ;   in Loop: Header=BB201_31 Depth=1
	v_bfe_u32 v0, v3, 16, 1
	s_delay_alu instid0(VALU_DEP_1)
	v_add3_u32 v4, v3, v0, 0x7fff
                                        ; implicit-def: $vgpr0_vgpr1_vgpr2_vgpr3
; %bb.61:                               ;   in Loop: Header=BB201_31 Depth=1
	s_and_not1_saveexec_b32 s0, s0
; %bb.62:                               ;   in Loop: Header=BB201_31 Depth=1
	v_and_b32_e32 v0, 0xffff, v3
	v_or_b32_e32 v1, 0x10000, v3
	s_delay_alu instid0(VALU_DEP_2) | instskip(NEXT) | instid1(VALU_DEP_2)
	v_cmp_eq_u32_e32 vcc_lo, 0, v0
	v_cndmask_b32_e32 v4, v1, v3, vcc_lo
; %bb.63:                               ;   in Loop: Header=BB201_31 Depth=1
	s_or_b32 exec_lo, exec_lo, s0
	s_waitcnt vmcnt(0)
	v_mad_i64_i32 v[0:1], null, v68, v184, 0
	v_add_nc_u32_e32 v96, -7, v14
	v_add_nc_u32_e32 v103, -6, v14
	v_add_nc_u32_e32 v101, -5, v14
	v_add_nc_u32_e32 v100, -4, v14
	v_add_nc_u32_e32 v99, -3, v14
	v_add_nc_u32_e32 v98, -2, v14
	v_lshlrev_b64 v[0:1], 1, v[0:1]
	v_add_nc_u32_e32 v102, -1, v14
	s_delay_alu instid0(VALU_DEP_2) | instskip(NEXT) | instid1(VALU_DEP_3)
	v_add_co_u32 v112, vcc_lo, v37, v0
	v_add_co_ci_u32_e32 v113, vcc_lo, v38, v1, vcc_lo
	s_delay_alu instid0(VALU_DEP_2) | instskip(NEXT) | instid1(VALU_DEP_2)
	v_add_co_u32 v6, vcc_lo, v112, v21
	v_add_co_ci_u32_e32 v7, vcc_lo, 0, v113, vcc_lo
	v_cmp_eq_u32_e32 vcc_lo, v48, v20
	flat_load_b128 v[0:3], v[6:7]
	s_waitcnt vmcnt(0) lgkmcnt(0)
	v_lshrrev_b32_e32 v9, 16, v0
	v_lshrrev_b32_e32 v69, 16, v1
	;; [unrolled: 1-line block ×4, first 2 shown]
	s_and_saveexec_b32 s7, vcc_lo
	s_cbranch_execz .LBB201_65
; %bb.64:                               ;   in Loop: Header=BB201_31 Depth=1
	v_cmp_lt_i32_e64 s0, v96, v82
	s_delay_alu instid0(VALU_DEP_1) | instskip(SKIP_1) | instid1(VALU_DEP_1)
	v_cndmask_b32_e64 v0, 0, v0, s0
	v_cmp_lt_i32_e64 s0, v103, v82
	v_cndmask_b32_e64 v9, 0, v9, s0
	v_cmp_lt_i32_e64 s0, v101, v82
	s_delay_alu instid0(VALU_DEP_1) | instskip(SKIP_1) | instid1(VALU_DEP_1)
	v_cndmask_b32_e64 v1, 0, v1, s0
	v_cmp_lt_i32_e64 s0, v100, v82
	v_cndmask_b32_e64 v69, 0, v69, s0
	;; [unrolled: 5-line block ×4, first 2 shown]
.LBB201_65:                             ;   in Loop: Header=BB201_31 Depth=1
	s_or_b32 exec_lo, exec_lo, s7
	v_and_b32_e32 v114, 0xffff0000, v67
	v_lshlrev_b32_e32 v0, 16, v0
	s_delay_alu instid0(VALU_DEP_1) | instskip(NEXT) | instid1(VALU_DEP_1)
	v_mul_f32_e32 v0, v114, v0
	v_and_b32_e32 v8, 0x7f800000, v0
	s_delay_alu instid0(VALU_DEP_1) | instskip(NEXT) | instid1(VALU_DEP_1)
	v_cmp_ne_u32_e64 s0, 0x7f800000, v8
                                        ; implicit-def: $vgpr8
	s_and_saveexec_b32 s7, s0
	s_delay_alu instid0(SALU_CYCLE_1)
	s_xor_b32 s0, exec_lo, s7
; %bb.66:                               ;   in Loop: Header=BB201_31 Depth=1
	v_bfe_u32 v8, v0, 16, 1
	s_delay_alu instid0(VALU_DEP_1)
	v_add3_u32 v8, v0, v8, 0x7fff
                                        ; implicit-def: $vgpr0
; %bb.67:                               ;   in Loop: Header=BB201_31 Depth=1
	s_and_not1_saveexec_b32 s7, s0
; %bb.68:                               ;   in Loop: Header=BB201_31 Depth=1
	v_and_b32_e32 v8, 0xffff, v0
	v_or_b32_e32 v67, 0x10000, v0
	s_delay_alu instid0(VALU_DEP_2) | instskip(NEXT) | instid1(VALU_DEP_1)
	v_cmp_eq_u32_e64 s0, 0, v8
	v_cndmask_b32_e64 v8, v67, v0, s0
; %bb.69:                               ;   in Loop: Header=BB201_31 Depth=1
	s_or_b32 exec_lo, exec_lo, s7
	v_and_b32_e32 v115, 0xffff0000, v66
	v_lshlrev_b32_e32 v0, 16, v9
	s_delay_alu instid0(VALU_DEP_1) | instskip(NEXT) | instid1(VALU_DEP_1)
	v_mul_f32_e32 v0, v115, v0
	v_and_b32_e32 v9, 0x7f800000, v0
	s_delay_alu instid0(VALU_DEP_1) | instskip(NEXT) | instid1(VALU_DEP_1)
	v_cmp_ne_u32_e64 s0, 0x7f800000, v9
                                        ; implicit-def: $vgpr9
	s_and_saveexec_b32 s7, s0
	s_delay_alu instid0(SALU_CYCLE_1)
	s_xor_b32 s0, exec_lo, s7
; %bb.70:                               ;   in Loop: Header=BB201_31 Depth=1
	v_bfe_u32 v9, v0, 16, 1
	s_delay_alu instid0(VALU_DEP_1)
	v_add3_u32 v9, v0, v9, 0x7fff
                                        ; implicit-def: $vgpr0
; %bb.71:                               ;   in Loop: Header=BB201_31 Depth=1
	s_and_not1_saveexec_b32 s7, s0
; %bb.72:                               ;   in Loop: Header=BB201_31 Depth=1
	v_and_b32_e32 v9, 0xffff, v0
	v_or_b32_e32 v66, 0x10000, v0
	s_delay_alu instid0(VALU_DEP_2) | instskip(NEXT) | instid1(VALU_DEP_1)
	v_cmp_eq_u32_e64 s0, 0, v9
	v_cndmask_b32_e64 v9, v66, v0, s0
; %bb.73:                               ;   in Loop: Header=BB201_31 Depth=1
	s_or_b32 exec_lo, exec_lo, s7
	v_and_b32_e32 v116, 0xffff0000, v65
	v_lshlrev_b32_e32 v0, 16, v1
                                        ; implicit-def: $vgpr65
	s_delay_alu instid0(VALU_DEP_1) | instskip(NEXT) | instid1(VALU_DEP_1)
	v_mul_f32_e32 v0, v116, v0
	v_and_b32_e32 v1, 0x7f800000, v0
	s_delay_alu instid0(VALU_DEP_1) | instskip(NEXT) | instid1(VALU_DEP_1)
	v_cmp_ne_u32_e64 s0, 0x7f800000, v1
	s_and_saveexec_b32 s7, s0
	s_delay_alu instid0(SALU_CYCLE_1)
	s_xor_b32 s0, exec_lo, s7
; %bb.74:                               ;   in Loop: Header=BB201_31 Depth=1
	v_bfe_u32 v1, v0, 16, 1
	s_delay_alu instid0(VALU_DEP_1)
	v_add3_u32 v65, v0, v1, 0x7fff
                                        ; implicit-def: $vgpr0
; %bb.75:                               ;   in Loop: Header=BB201_31 Depth=1
	s_and_not1_saveexec_b32 s7, s0
; %bb.76:                               ;   in Loop: Header=BB201_31 Depth=1
	v_and_b32_e32 v1, 0xffff, v0
	v_or_b32_e32 v65, 0x10000, v0
	s_delay_alu instid0(VALU_DEP_2) | instskip(NEXT) | instid1(VALU_DEP_1)
	v_cmp_eq_u32_e64 s0, 0, v1
	v_cndmask_b32_e64 v65, v65, v0, s0
; %bb.77:                               ;   in Loop: Header=BB201_31 Depth=1
	s_or_b32 exec_lo, exec_lo, s7
	v_and_b32_e32 v117, 0xffff0000, v39
	v_lshlrev_b32_e32 v0, 16, v69
                                        ; implicit-def: $vgpr66
	s_delay_alu instid0(VALU_DEP_1) | instskip(NEXT) | instid1(VALU_DEP_1)
	v_mul_f32_e32 v0, v117, v0
	v_and_b32_e32 v1, 0x7f800000, v0
	s_delay_alu instid0(VALU_DEP_1) | instskip(NEXT) | instid1(VALU_DEP_1)
	v_cmp_ne_u32_e64 s0, 0x7f800000, v1
	s_and_saveexec_b32 s7, s0
	s_delay_alu instid0(SALU_CYCLE_1)
	s_xor_b32 s0, exec_lo, s7
; %bb.78:                               ;   in Loop: Header=BB201_31 Depth=1
	v_bfe_u32 v1, v0, 16, 1
	s_delay_alu instid0(VALU_DEP_1)
	v_add3_u32 v66, v0, v1, 0x7fff
                                        ; implicit-def: $vgpr0
; %bb.79:                               ;   in Loop: Header=BB201_31 Depth=1
	s_and_not1_saveexec_b32 s7, s0
; %bb.80:                               ;   in Loop: Header=BB201_31 Depth=1
	v_and_b32_e32 v1, 0xffff, v0
	v_or_b32_e32 v39, 0x10000, v0
	s_delay_alu instid0(VALU_DEP_2) | instskip(NEXT) | instid1(VALU_DEP_1)
	v_cmp_eq_u32_e64 s0, 0, v1
	v_cndmask_b32_e64 v66, v39, v0, s0
; %bb.81:                               ;   in Loop: Header=BB201_31 Depth=1
	s_or_b32 exec_lo, exec_lo, s7
	v_and_b32_e32 v119, 0xffff0000, v22
	v_lshlrev_b32_e32 v0, 16, v2
                                        ; implicit-def: $vgpr67
	s_delay_alu instid0(VALU_DEP_1) | instskip(NEXT) | instid1(VALU_DEP_1)
	v_mul_f32_e32 v0, v119, v0
	v_and_b32_e32 v1, 0x7f800000, v0
	s_delay_alu instid0(VALU_DEP_1) | instskip(NEXT) | instid1(VALU_DEP_1)
	v_cmp_ne_u32_e64 s0, 0x7f800000, v1
	s_and_saveexec_b32 s7, s0
	s_delay_alu instid0(SALU_CYCLE_1)
	s_xor_b32 s0, exec_lo, s7
; %bb.82:                               ;   in Loop: Header=BB201_31 Depth=1
	v_bfe_u32 v1, v0, 16, 1
	s_delay_alu instid0(VALU_DEP_1)
	v_add3_u32 v67, v0, v1, 0x7fff
                                        ; implicit-def: $vgpr0
; %bb.83:                               ;   in Loop: Header=BB201_31 Depth=1
	s_and_not1_saveexec_b32 s7, s0
; %bb.84:                               ;   in Loop: Header=BB201_31 Depth=1
	v_and_b32_e32 v1, 0xffff, v0
	v_or_b32_e32 v2, 0x10000, v0
	s_delay_alu instid0(VALU_DEP_2) | instskip(NEXT) | instid1(VALU_DEP_1)
	v_cmp_eq_u32_e64 s0, 0, v1
	v_cndmask_b32_e64 v67, v2, v0, s0
; %bb.85:                               ;   in Loop: Header=BB201_31 Depth=1
	s_or_b32 exec_lo, exec_lo, s7
	v_and_b32_e32 v128, 0xffff0000, v12
	v_lshlrev_b32_e32 v0, 16, v68
                                        ; implicit-def: $vgpr68
	s_delay_alu instid0(VALU_DEP_1) | instskip(NEXT) | instid1(VALU_DEP_1)
	v_mul_f32_e32 v0, v128, v0
	v_and_b32_e32 v1, 0x7f800000, v0
	s_delay_alu instid0(VALU_DEP_1) | instskip(NEXT) | instid1(VALU_DEP_1)
	v_cmp_ne_u32_e64 s0, 0x7f800000, v1
	s_and_saveexec_b32 s7, s0
	s_delay_alu instid0(SALU_CYCLE_1)
	s_xor_b32 s0, exec_lo, s7
; %bb.86:                               ;   in Loop: Header=BB201_31 Depth=1
	v_bfe_u32 v1, v0, 16, 1
	s_delay_alu instid0(VALU_DEP_1)
	v_add3_u32 v68, v0, v1, 0x7fff
                                        ; implicit-def: $vgpr0
; %bb.87:                               ;   in Loop: Header=BB201_31 Depth=1
	s_and_not1_saveexec_b32 s7, s0
; %bb.88:                               ;   in Loop: Header=BB201_31 Depth=1
	v_and_b32_e32 v1, 0xffff, v0
	v_or_b32_e32 v2, 0x10000, v0
	s_delay_alu instid0(VALU_DEP_2) | instskip(NEXT) | instid1(VALU_DEP_1)
	v_cmp_eq_u32_e64 s0, 0, v1
	v_cndmask_b32_e64 v68, v2, v0, s0
; %bb.89:                               ;   in Loop: Header=BB201_31 Depth=1
	s_or_b32 exec_lo, exec_lo, s7
	v_and_b32_e32 v129, 0xffff0000, v5
	v_lshlrev_b32_e32 v0, 16, v3
                                        ; implicit-def: $vgpr69
	s_delay_alu instid0(VALU_DEP_1) | instskip(NEXT) | instid1(VALU_DEP_1)
	v_mul_f32_e32 v0, v129, v0
	v_and_b32_e32 v1, 0x7f800000, v0
	s_delay_alu instid0(VALU_DEP_1) | instskip(NEXT) | instid1(VALU_DEP_1)
	v_cmp_ne_u32_e64 s0, 0x7f800000, v1
	s_and_saveexec_b32 s7, s0
	s_delay_alu instid0(SALU_CYCLE_1)
	s_xor_b32 s0, exec_lo, s7
; %bb.90:                               ;   in Loop: Header=BB201_31 Depth=1
	v_bfe_u32 v1, v0, 16, 1
	s_delay_alu instid0(VALU_DEP_1)
	v_add3_u32 v69, v0, v1, 0x7fff
                                        ; implicit-def: $vgpr0
; %bb.91:                               ;   in Loop: Header=BB201_31 Depth=1
	s_and_not1_saveexec_b32 s7, s0
; %bb.92:                               ;   in Loop: Header=BB201_31 Depth=1
	v_and_b32_e32 v1, 0xffff, v0
	v_or_b32_e32 v2, 0x10000, v0
	s_delay_alu instid0(VALU_DEP_2) | instskip(NEXT) | instid1(VALU_DEP_1)
	v_cmp_eq_u32_e64 s0, 0, v1
	v_cndmask_b32_e64 v69, v2, v0, s0
; %bb.93:                               ;   in Loop: Header=BB201_31 Depth=1
	s_or_b32 exec_lo, exec_lo, s7
	v_and_b32_e32 v130, 0xffff0000, v4
	v_lshlrev_b32_e32 v0, 16, v70
                                        ; implicit-def: $vgpr70
	s_delay_alu instid0(VALU_DEP_1) | instskip(NEXT) | instid1(VALU_DEP_1)
	v_mul_f32_e32 v0, v130, v0
	v_and_b32_e32 v1, 0x7f800000, v0
	s_delay_alu instid0(VALU_DEP_1) | instskip(NEXT) | instid1(VALU_DEP_1)
	v_cmp_ne_u32_e64 s0, 0x7f800000, v1
	s_and_saveexec_b32 s7, s0
	s_delay_alu instid0(SALU_CYCLE_1)
	s_xor_b32 s0, exec_lo, s7
; %bb.94:                               ;   in Loop: Header=BB201_31 Depth=1
	v_bfe_u32 v1, v0, 16, 1
	s_delay_alu instid0(VALU_DEP_1)
	v_add3_u32 v70, v0, v1, 0x7fff
                                        ; implicit-def: $vgpr0
; %bb.95:                               ;   in Loop: Header=BB201_31 Depth=1
	s_and_not1_saveexec_b32 s7, s0
; %bb.96:                               ;   in Loop: Header=BB201_31 Depth=1
	v_and_b32_e32 v1, 0xffff, v0
	v_or_b32_e32 v2, 0x10000, v0
	s_delay_alu instid0(VALU_DEP_2) | instskip(NEXT) | instid1(VALU_DEP_1)
	v_cmp_eq_u32_e64 s0, 0, v1
	v_cndmask_b32_e64 v70, v2, v0, s0
; %bb.97:                               ;   in Loop: Header=BB201_31 Depth=1
	s_or_b32 exec_lo, exec_lo, s7
	flat_load_b128 v[0:3], v[6:7] offset:512
	s_waitcnt vmcnt(0) lgkmcnt(0)
	v_lshrrev_b32_e32 v22, 16, v0
	v_lshrrev_b32_e32 v12, 16, v1
	;; [unrolled: 1-line block ×4, first 2 shown]
	s_and_saveexec_b32 s7, vcc_lo
	s_cbranch_execz .LBB201_99
; %bb.98:                               ;   in Loop: Header=BB201_31 Depth=1
	v_cmp_lt_i32_e64 s0, v96, v82
	s_delay_alu instid0(VALU_DEP_1) | instskip(SKIP_1) | instid1(VALU_DEP_1)
	v_cndmask_b32_e64 v0, 0, v0, s0
	v_cmp_lt_i32_e64 s0, v103, v82
	v_cndmask_b32_e64 v22, 0, v22, s0
	v_cmp_lt_i32_e64 s0, v101, v82
	s_delay_alu instid0(VALU_DEP_1) | instskip(SKIP_1) | instid1(VALU_DEP_1)
	v_cndmask_b32_e64 v1, 0, v1, s0
	v_cmp_lt_i32_e64 s0, v100, v82
	v_cndmask_b32_e64 v12, 0, v12, s0
	;; [unrolled: 5-line block ×4, first 2 shown]
.LBB201_99:                             ;   in Loop: Header=BB201_31 Depth=1
	s_or_b32 exec_lo, exec_lo, s7
	v_lshlrev_b32_e32 v0, 16, v0
                                        ; implicit-def: $vgpr71
	s_delay_alu instid0(VALU_DEP_1) | instskip(NEXT) | instid1(VALU_DEP_1)
	v_mul_f32_e32 v0, v114, v0
	v_and_b32_e32 v39, 0x7f800000, v0
	s_delay_alu instid0(VALU_DEP_1) | instskip(NEXT) | instid1(VALU_DEP_1)
	v_cmp_ne_u32_e64 s0, 0x7f800000, v39
	s_and_saveexec_b32 s7, s0
	s_delay_alu instid0(SALU_CYCLE_1)
	s_xor_b32 s0, exec_lo, s7
; %bb.100:                              ;   in Loop: Header=BB201_31 Depth=1
	v_bfe_u32 v39, v0, 16, 1
	s_delay_alu instid0(VALU_DEP_1)
	v_add3_u32 v71, v0, v39, 0x7fff
                                        ; implicit-def: $vgpr0
; %bb.101:                              ;   in Loop: Header=BB201_31 Depth=1
	s_and_not1_saveexec_b32 s7, s0
; %bb.102:                              ;   in Loop: Header=BB201_31 Depth=1
	v_and_b32_e32 v39, 0xffff, v0
	v_or_b32_e32 v71, 0x10000, v0
	s_delay_alu instid0(VALU_DEP_2) | instskip(NEXT) | instid1(VALU_DEP_1)
	v_cmp_eq_u32_e64 s0, 0, v39
	v_cndmask_b32_e64 v71, v71, v0, s0
; %bb.103:                              ;   in Loop: Header=BB201_31 Depth=1
	s_or_b32 exec_lo, exec_lo, s7
	v_lshlrev_b32_e32 v0, 16, v22
                                        ; implicit-def: $vgpr80
	s_delay_alu instid0(VALU_DEP_1) | instskip(NEXT) | instid1(VALU_DEP_1)
	v_mul_f32_e32 v0, v115, v0
	v_and_b32_e32 v22, 0x7f800000, v0
	s_delay_alu instid0(VALU_DEP_1) | instskip(NEXT) | instid1(VALU_DEP_1)
	v_cmp_ne_u32_e64 s0, 0x7f800000, v22
	s_and_saveexec_b32 s7, s0
	s_delay_alu instid0(SALU_CYCLE_1)
	s_xor_b32 s0, exec_lo, s7
; %bb.104:                              ;   in Loop: Header=BB201_31 Depth=1
	v_bfe_u32 v22, v0, 16, 1
	s_delay_alu instid0(VALU_DEP_1)
	v_add3_u32 v80, v0, v22, 0x7fff
                                        ; implicit-def: $vgpr0
; %bb.105:                              ;   in Loop: Header=BB201_31 Depth=1
	s_and_not1_saveexec_b32 s7, s0
; %bb.106:                              ;   in Loop: Header=BB201_31 Depth=1
	v_and_b32_e32 v22, 0xffff, v0
	v_or_b32_e32 v39, 0x10000, v0
	s_delay_alu instid0(VALU_DEP_2) | instskip(NEXT) | instid1(VALU_DEP_1)
	v_cmp_eq_u32_e64 s0, 0, v22
	v_cndmask_b32_e64 v80, v39, v0, s0
; %bb.107:                              ;   in Loop: Header=BB201_31 Depth=1
	s_or_b32 exec_lo, exec_lo, s7
	v_lshlrev_b32_e32 v0, 16, v1
                                        ; implicit-def: $vgpr81
	s_delay_alu instid0(VALU_DEP_1) | instskip(NEXT) | instid1(VALU_DEP_1)
	v_mul_f32_e32 v0, v116, v0
	v_and_b32_e32 v1, 0x7f800000, v0
	s_delay_alu instid0(VALU_DEP_1) | instskip(NEXT) | instid1(VALU_DEP_1)
	v_cmp_ne_u32_e64 s0, 0x7f800000, v1
	s_and_saveexec_b32 s7, s0
	s_delay_alu instid0(SALU_CYCLE_1)
	s_xor_b32 s0, exec_lo, s7
; %bb.108:                              ;   in Loop: Header=BB201_31 Depth=1
	v_bfe_u32 v1, v0, 16, 1
	s_delay_alu instid0(VALU_DEP_1)
	v_add3_u32 v81, v0, v1, 0x7fff
                                        ; implicit-def: $vgpr0
; %bb.109:                              ;   in Loop: Header=BB201_31 Depth=1
	s_and_not1_saveexec_b32 s7, s0
; %bb.110:                              ;   in Loop: Header=BB201_31 Depth=1
	v_and_b32_e32 v1, 0xffff, v0
	v_or_b32_e32 v22, 0x10000, v0
	s_delay_alu instid0(VALU_DEP_2) | instskip(NEXT) | instid1(VALU_DEP_1)
	v_cmp_eq_u32_e64 s0, 0, v1
	v_cndmask_b32_e64 v81, v22, v0, s0
; %bb.111:                              ;   in Loop: Header=BB201_31 Depth=1
	s_or_b32 exec_lo, exec_lo, s7
	v_lshlrev_b32_e32 v0, 16, v12
                                        ; implicit-def: $vgpr85
	s_delay_alu instid0(VALU_DEP_1) | instskip(NEXT) | instid1(VALU_DEP_1)
	v_mul_f32_e32 v0, v117, v0
	v_and_b32_e32 v1, 0x7f800000, v0
	s_delay_alu instid0(VALU_DEP_1) | instskip(NEXT) | instid1(VALU_DEP_1)
	v_cmp_ne_u32_e64 s0, 0x7f800000, v1
	s_and_saveexec_b32 s7, s0
	s_delay_alu instid0(SALU_CYCLE_1)
	s_xor_b32 s0, exec_lo, s7
; %bb.112:                              ;   in Loop: Header=BB201_31 Depth=1
	v_bfe_u32 v1, v0, 16, 1
	s_delay_alu instid0(VALU_DEP_1)
	v_add3_u32 v85, v0, v1, 0x7fff
                                        ; implicit-def: $vgpr0
; %bb.113:                              ;   in Loop: Header=BB201_31 Depth=1
	s_and_not1_saveexec_b32 s7, s0
; %bb.114:                              ;   in Loop: Header=BB201_31 Depth=1
	v_and_b32_e32 v1, 0xffff, v0
	v_or_b32_e32 v12, 0x10000, v0
	s_delay_alu instid0(VALU_DEP_2) | instskip(NEXT) | instid1(VALU_DEP_1)
	v_cmp_eq_u32_e64 s0, 0, v1
	v_cndmask_b32_e64 v85, v12, v0, s0
; %bb.115:                              ;   in Loop: Header=BB201_31 Depth=1
	s_or_b32 exec_lo, exec_lo, s7
	v_lshlrev_b32_e32 v0, 16, v2
                                        ; implicit-def: $vgpr86
	s_delay_alu instid0(VALU_DEP_1) | instskip(NEXT) | instid1(VALU_DEP_1)
	v_mul_f32_e32 v0, v119, v0
	v_and_b32_e32 v1, 0x7f800000, v0
	s_delay_alu instid0(VALU_DEP_1) | instskip(NEXT) | instid1(VALU_DEP_1)
	v_cmp_ne_u32_e64 s0, 0x7f800000, v1
	s_and_saveexec_b32 s7, s0
	s_delay_alu instid0(SALU_CYCLE_1)
	s_xor_b32 s0, exec_lo, s7
; %bb.116:                              ;   in Loop: Header=BB201_31 Depth=1
	v_bfe_u32 v1, v0, 16, 1
	s_delay_alu instid0(VALU_DEP_1)
	v_add3_u32 v86, v0, v1, 0x7fff
                                        ; implicit-def: $vgpr0
; %bb.117:                              ;   in Loop: Header=BB201_31 Depth=1
	s_and_not1_saveexec_b32 s7, s0
; %bb.118:                              ;   in Loop: Header=BB201_31 Depth=1
	v_and_b32_e32 v1, 0xffff, v0
	v_or_b32_e32 v2, 0x10000, v0
	s_delay_alu instid0(VALU_DEP_2) | instskip(NEXT) | instid1(VALU_DEP_1)
	v_cmp_eq_u32_e64 s0, 0, v1
	v_cndmask_b32_e64 v86, v2, v0, s0
; %bb.119:                              ;   in Loop: Header=BB201_31 Depth=1
	s_or_b32 exec_lo, exec_lo, s7
	v_lshlrev_b32_e32 v0, 16, v5
                                        ; implicit-def: $vgpr87
	s_delay_alu instid0(VALU_DEP_1) | instskip(NEXT) | instid1(VALU_DEP_1)
	v_mul_f32_e32 v0, v128, v0
	v_and_b32_e32 v1, 0x7f800000, v0
	s_delay_alu instid0(VALU_DEP_1) | instskip(NEXT) | instid1(VALU_DEP_1)
	v_cmp_ne_u32_e64 s0, 0x7f800000, v1
	s_and_saveexec_b32 s7, s0
	s_delay_alu instid0(SALU_CYCLE_1)
	s_xor_b32 s0, exec_lo, s7
; %bb.120:                              ;   in Loop: Header=BB201_31 Depth=1
	v_bfe_u32 v1, v0, 16, 1
	s_delay_alu instid0(VALU_DEP_1)
	v_add3_u32 v87, v0, v1, 0x7fff
                                        ; implicit-def: $vgpr0
; %bb.121:                              ;   in Loop: Header=BB201_31 Depth=1
	s_and_not1_saveexec_b32 s7, s0
; %bb.122:                              ;   in Loop: Header=BB201_31 Depth=1
	v_and_b32_e32 v1, 0xffff, v0
	v_or_b32_e32 v2, 0x10000, v0
	s_delay_alu instid0(VALU_DEP_2) | instskip(NEXT) | instid1(VALU_DEP_1)
	v_cmp_eq_u32_e64 s0, 0, v1
	v_cndmask_b32_e64 v87, v2, v0, s0
; %bb.123:                              ;   in Loop: Header=BB201_31 Depth=1
	s_or_b32 exec_lo, exec_lo, s7
	v_lshlrev_b32_e32 v0, 16, v3
                                        ; implicit-def: $vgpr97
	s_delay_alu instid0(VALU_DEP_1) | instskip(NEXT) | instid1(VALU_DEP_1)
	v_mul_f32_e32 v0, v129, v0
	v_and_b32_e32 v1, 0x7f800000, v0
	s_delay_alu instid0(VALU_DEP_1) | instskip(NEXT) | instid1(VALU_DEP_1)
	v_cmp_ne_u32_e64 s0, 0x7f800000, v1
	s_and_saveexec_b32 s7, s0
	s_delay_alu instid0(SALU_CYCLE_1)
	s_xor_b32 s0, exec_lo, s7
; %bb.124:                              ;   in Loop: Header=BB201_31 Depth=1
	v_bfe_u32 v1, v0, 16, 1
	s_delay_alu instid0(VALU_DEP_1)
	v_add3_u32 v97, v0, v1, 0x7fff
                                        ; implicit-def: $vgpr0
; %bb.125:                              ;   in Loop: Header=BB201_31 Depth=1
	s_and_not1_saveexec_b32 s7, s0
; %bb.126:                              ;   in Loop: Header=BB201_31 Depth=1
	v_and_b32_e32 v1, 0xffff, v0
	v_or_b32_e32 v2, 0x10000, v0
	s_delay_alu instid0(VALU_DEP_2) | instskip(NEXT) | instid1(VALU_DEP_1)
	v_cmp_eq_u32_e64 s0, 0, v1
	v_cndmask_b32_e64 v97, v2, v0, s0
; %bb.127:                              ;   in Loop: Header=BB201_31 Depth=1
	s_or_b32 exec_lo, exec_lo, s7
	v_lshlrev_b32_e32 v0, 16, v4
                                        ; implicit-def: $vgpr118
	s_delay_alu instid0(VALU_DEP_1) | instskip(NEXT) | instid1(VALU_DEP_1)
	v_mul_f32_e32 v0, v130, v0
	v_and_b32_e32 v1, 0x7f800000, v0
	s_delay_alu instid0(VALU_DEP_1) | instskip(NEXT) | instid1(VALU_DEP_1)
	v_cmp_ne_u32_e64 s0, 0x7f800000, v1
	s_and_saveexec_b32 s7, s0
	s_delay_alu instid0(SALU_CYCLE_1)
	s_xor_b32 s0, exec_lo, s7
; %bb.128:                              ;   in Loop: Header=BB201_31 Depth=1
	v_bfe_u32 v1, v0, 16, 1
	s_delay_alu instid0(VALU_DEP_1)
	v_add3_u32 v118, v0, v1, 0x7fff
                                        ; implicit-def: $vgpr0
; %bb.129:                              ;   in Loop: Header=BB201_31 Depth=1
	s_and_not1_saveexec_b32 s7, s0
; %bb.130:                              ;   in Loop: Header=BB201_31 Depth=1
	v_and_b32_e32 v1, 0xffff, v0
	v_or_b32_e32 v2, 0x10000, v0
	s_delay_alu instid0(VALU_DEP_2) | instskip(NEXT) | instid1(VALU_DEP_1)
	v_cmp_eq_u32_e64 s0, 0, v1
	v_cndmask_b32_e64 v118, v2, v0, s0
; %bb.131:                              ;   in Loop: Header=BB201_31 Depth=1
	s_or_b32 exec_lo, exec_lo, s7
	flat_load_b128 v[0:3], v[6:7] offset:1024
	s_waitcnt vmcnt(0) lgkmcnt(0)
	v_lshrrev_b32_e32 v22, 16, v0
	v_lshrrev_b32_e32 v12, 16, v1
	;; [unrolled: 1-line block ×4, first 2 shown]
	s_and_saveexec_b32 s7, vcc_lo
	s_cbranch_execz .LBB201_133
; %bb.132:                              ;   in Loop: Header=BB201_31 Depth=1
	v_cmp_lt_i32_e64 s0, v96, v82
	s_delay_alu instid0(VALU_DEP_1) | instskip(SKIP_1) | instid1(VALU_DEP_1)
	v_cndmask_b32_e64 v0, 0, v0, s0
	v_cmp_lt_i32_e64 s0, v103, v82
	v_cndmask_b32_e64 v22, 0, v22, s0
	v_cmp_lt_i32_e64 s0, v101, v82
	s_delay_alu instid0(VALU_DEP_1) | instskip(SKIP_1) | instid1(VALU_DEP_1)
	v_cndmask_b32_e64 v1, 0, v1, s0
	v_cmp_lt_i32_e64 s0, v100, v82
	v_cndmask_b32_e64 v12, 0, v12, s0
	;; [unrolled: 5-line block ×4, first 2 shown]
.LBB201_133:                            ;   in Loop: Header=BB201_31 Depth=1
	s_or_b32 exec_lo, exec_lo, s7
	v_lshlrev_b32_e32 v0, 16, v0
                                        ; implicit-def: $vgpr131
	s_delay_alu instid0(VALU_DEP_1) | instskip(NEXT) | instid1(VALU_DEP_1)
	v_mul_f32_e32 v0, v114, v0
	v_and_b32_e32 v39, 0x7f800000, v0
	s_delay_alu instid0(VALU_DEP_1) | instskip(NEXT) | instid1(VALU_DEP_1)
	v_cmp_ne_u32_e64 s0, 0x7f800000, v39
	s_and_saveexec_b32 s7, s0
	s_delay_alu instid0(SALU_CYCLE_1)
	s_xor_b32 s0, exec_lo, s7
; %bb.134:                              ;   in Loop: Header=BB201_31 Depth=1
	v_bfe_u32 v39, v0, 16, 1
	s_delay_alu instid0(VALU_DEP_1)
	v_add3_u32 v131, v0, v39, 0x7fff
                                        ; implicit-def: $vgpr0
; %bb.135:                              ;   in Loop: Header=BB201_31 Depth=1
	s_and_not1_saveexec_b32 s7, s0
; %bb.136:                              ;   in Loop: Header=BB201_31 Depth=1
	v_and_b32_e32 v39, 0xffff, v0
	v_or_b32_e32 v83, 0x10000, v0
	s_delay_alu instid0(VALU_DEP_2) | instskip(NEXT) | instid1(VALU_DEP_1)
	v_cmp_eq_u32_e64 s0, 0, v39
	v_cndmask_b32_e64 v131, v83, v0, s0
; %bb.137:                              ;   in Loop: Header=BB201_31 Depth=1
	s_or_b32 exec_lo, exec_lo, s7
	v_lshlrev_b32_e32 v0, 16, v22
                                        ; implicit-def: $vgpr132
	s_delay_alu instid0(VALU_DEP_1) | instskip(NEXT) | instid1(VALU_DEP_1)
	v_mul_f32_e32 v0, v115, v0
	v_and_b32_e32 v22, 0x7f800000, v0
	s_delay_alu instid0(VALU_DEP_1) | instskip(NEXT) | instid1(VALU_DEP_1)
	v_cmp_ne_u32_e64 s0, 0x7f800000, v22
	s_and_saveexec_b32 s7, s0
	s_delay_alu instid0(SALU_CYCLE_1)
	s_xor_b32 s0, exec_lo, s7
; %bb.138:                              ;   in Loop: Header=BB201_31 Depth=1
	v_bfe_u32 v22, v0, 16, 1
	s_delay_alu instid0(VALU_DEP_1)
	v_add3_u32 v132, v0, v22, 0x7fff
                                        ; implicit-def: $vgpr0
; %bb.139:                              ;   in Loop: Header=BB201_31 Depth=1
	s_and_not1_saveexec_b32 s7, s0
; %bb.140:                              ;   in Loop: Header=BB201_31 Depth=1
	v_and_b32_e32 v22, 0xffff, v0
	v_or_b32_e32 v39, 0x10000, v0
	s_delay_alu instid0(VALU_DEP_2) | instskip(NEXT) | instid1(VALU_DEP_1)
	v_cmp_eq_u32_e64 s0, 0, v22
	v_cndmask_b32_e64 v132, v39, v0, s0
; %bb.141:                              ;   in Loop: Header=BB201_31 Depth=1
	s_or_b32 exec_lo, exec_lo, s7
	v_lshlrev_b32_e32 v0, 16, v1
                                        ; implicit-def: $vgpr133
	s_delay_alu instid0(VALU_DEP_1) | instskip(NEXT) | instid1(VALU_DEP_1)
	v_mul_f32_e32 v0, v116, v0
	v_and_b32_e32 v1, 0x7f800000, v0
	s_delay_alu instid0(VALU_DEP_1) | instskip(NEXT) | instid1(VALU_DEP_1)
	v_cmp_ne_u32_e64 s0, 0x7f800000, v1
	s_and_saveexec_b32 s7, s0
	s_delay_alu instid0(SALU_CYCLE_1)
	s_xor_b32 s0, exec_lo, s7
; %bb.142:                              ;   in Loop: Header=BB201_31 Depth=1
	v_bfe_u32 v1, v0, 16, 1
	s_delay_alu instid0(VALU_DEP_1)
	v_add3_u32 v133, v0, v1, 0x7fff
                                        ; implicit-def: $vgpr0
; %bb.143:                              ;   in Loop: Header=BB201_31 Depth=1
	s_and_not1_saveexec_b32 s7, s0
; %bb.144:                              ;   in Loop: Header=BB201_31 Depth=1
	v_and_b32_e32 v1, 0xffff, v0
	v_or_b32_e32 v22, 0x10000, v0
	s_delay_alu instid0(VALU_DEP_2) | instskip(NEXT) | instid1(VALU_DEP_1)
	v_cmp_eq_u32_e64 s0, 0, v1
	v_cndmask_b32_e64 v133, v22, v0, s0
; %bb.145:                              ;   in Loop: Header=BB201_31 Depth=1
	s_or_b32 exec_lo, exec_lo, s7
	v_lshlrev_b32_e32 v0, 16, v12
                                        ; implicit-def: $vgpr134
	s_delay_alu instid0(VALU_DEP_1) | instskip(NEXT) | instid1(VALU_DEP_1)
	v_mul_f32_e32 v0, v117, v0
	v_and_b32_e32 v1, 0x7f800000, v0
	s_delay_alu instid0(VALU_DEP_1) | instskip(NEXT) | instid1(VALU_DEP_1)
	v_cmp_ne_u32_e64 s0, 0x7f800000, v1
	s_and_saveexec_b32 s7, s0
	s_delay_alu instid0(SALU_CYCLE_1)
	s_xor_b32 s0, exec_lo, s7
; %bb.146:                              ;   in Loop: Header=BB201_31 Depth=1
	v_bfe_u32 v1, v0, 16, 1
	s_delay_alu instid0(VALU_DEP_1)
	v_add3_u32 v134, v0, v1, 0x7fff
                                        ; implicit-def: $vgpr0
; %bb.147:                              ;   in Loop: Header=BB201_31 Depth=1
	s_and_not1_saveexec_b32 s7, s0
; %bb.148:                              ;   in Loop: Header=BB201_31 Depth=1
	v_and_b32_e32 v1, 0xffff, v0
	v_or_b32_e32 v12, 0x10000, v0
	s_delay_alu instid0(VALU_DEP_2) | instskip(NEXT) | instid1(VALU_DEP_1)
	v_cmp_eq_u32_e64 s0, 0, v1
	v_cndmask_b32_e64 v134, v12, v0, s0
; %bb.149:                              ;   in Loop: Header=BB201_31 Depth=1
	s_or_b32 exec_lo, exec_lo, s7
	v_lshlrev_b32_e32 v0, 16, v2
                                        ; implicit-def: $vgpr135
	s_delay_alu instid0(VALU_DEP_1) | instskip(NEXT) | instid1(VALU_DEP_1)
	v_mul_f32_e32 v0, v119, v0
	v_and_b32_e32 v1, 0x7f800000, v0
	s_delay_alu instid0(VALU_DEP_1) | instskip(NEXT) | instid1(VALU_DEP_1)
	v_cmp_ne_u32_e64 s0, 0x7f800000, v1
	s_and_saveexec_b32 s7, s0
	s_delay_alu instid0(SALU_CYCLE_1)
	s_xor_b32 s0, exec_lo, s7
; %bb.150:                              ;   in Loop: Header=BB201_31 Depth=1
	v_bfe_u32 v1, v0, 16, 1
	s_delay_alu instid0(VALU_DEP_1)
	v_add3_u32 v135, v0, v1, 0x7fff
                                        ; implicit-def: $vgpr0
; %bb.151:                              ;   in Loop: Header=BB201_31 Depth=1
	s_and_not1_saveexec_b32 s7, s0
; %bb.152:                              ;   in Loop: Header=BB201_31 Depth=1
	v_and_b32_e32 v1, 0xffff, v0
	v_or_b32_e32 v2, 0x10000, v0
	s_delay_alu instid0(VALU_DEP_2) | instskip(NEXT) | instid1(VALU_DEP_1)
	v_cmp_eq_u32_e64 s0, 0, v1
	v_cndmask_b32_e64 v135, v2, v0, s0
; %bb.153:                              ;   in Loop: Header=BB201_31 Depth=1
	s_or_b32 exec_lo, exec_lo, s7
	v_lshlrev_b32_e32 v0, 16, v5
                                        ; implicit-def: $vgpr144
	s_delay_alu instid0(VALU_DEP_1) | instskip(NEXT) | instid1(VALU_DEP_1)
	v_mul_f32_e32 v0, v128, v0
	v_and_b32_e32 v1, 0x7f800000, v0
	s_delay_alu instid0(VALU_DEP_1) | instskip(NEXT) | instid1(VALU_DEP_1)
	v_cmp_ne_u32_e64 s0, 0x7f800000, v1
	s_and_saveexec_b32 s7, s0
	s_delay_alu instid0(SALU_CYCLE_1)
	s_xor_b32 s0, exec_lo, s7
; %bb.154:                              ;   in Loop: Header=BB201_31 Depth=1
	v_bfe_u32 v1, v0, 16, 1
	s_delay_alu instid0(VALU_DEP_1)
	v_add3_u32 v144, v0, v1, 0x7fff
                                        ; implicit-def: $vgpr0
; %bb.155:                              ;   in Loop: Header=BB201_31 Depth=1
	s_and_not1_saveexec_b32 s7, s0
; %bb.156:                              ;   in Loop: Header=BB201_31 Depth=1
	v_and_b32_e32 v1, 0xffff, v0
	v_or_b32_e32 v2, 0x10000, v0
	s_delay_alu instid0(VALU_DEP_2) | instskip(NEXT) | instid1(VALU_DEP_1)
	v_cmp_eq_u32_e64 s0, 0, v1
	v_cndmask_b32_e64 v144, v2, v0, s0
; %bb.157:                              ;   in Loop: Header=BB201_31 Depth=1
	s_or_b32 exec_lo, exec_lo, s7
	v_lshlrev_b32_e32 v0, 16, v3
                                        ; implicit-def: $vgpr145
	s_delay_alu instid0(VALU_DEP_1) | instskip(NEXT) | instid1(VALU_DEP_1)
	v_mul_f32_e32 v0, v129, v0
	v_and_b32_e32 v1, 0x7f800000, v0
	s_delay_alu instid0(VALU_DEP_1) | instskip(NEXT) | instid1(VALU_DEP_1)
	v_cmp_ne_u32_e64 s0, 0x7f800000, v1
	s_and_saveexec_b32 s7, s0
	s_delay_alu instid0(SALU_CYCLE_1)
	s_xor_b32 s0, exec_lo, s7
; %bb.158:                              ;   in Loop: Header=BB201_31 Depth=1
	v_bfe_u32 v1, v0, 16, 1
	s_delay_alu instid0(VALU_DEP_1)
	v_add3_u32 v145, v0, v1, 0x7fff
                                        ; implicit-def: $vgpr0
; %bb.159:                              ;   in Loop: Header=BB201_31 Depth=1
	s_and_not1_saveexec_b32 s7, s0
; %bb.160:                              ;   in Loop: Header=BB201_31 Depth=1
	v_and_b32_e32 v1, 0xffff, v0
	v_or_b32_e32 v2, 0x10000, v0
	s_delay_alu instid0(VALU_DEP_2) | instskip(NEXT) | instid1(VALU_DEP_1)
	v_cmp_eq_u32_e64 s0, 0, v1
	v_cndmask_b32_e64 v145, v2, v0, s0
; %bb.161:                              ;   in Loop: Header=BB201_31 Depth=1
	s_or_b32 exec_lo, exec_lo, s7
	v_lshlrev_b32_e32 v0, 16, v4
                                        ; implicit-def: $vgpr146
	s_delay_alu instid0(VALU_DEP_1) | instskip(NEXT) | instid1(VALU_DEP_1)
	v_mul_f32_e32 v0, v130, v0
	v_and_b32_e32 v1, 0x7f800000, v0
	s_delay_alu instid0(VALU_DEP_1) | instskip(NEXT) | instid1(VALU_DEP_1)
	v_cmp_ne_u32_e64 s0, 0x7f800000, v1
	s_and_saveexec_b32 s7, s0
	s_delay_alu instid0(SALU_CYCLE_1)
	s_xor_b32 s0, exec_lo, s7
; %bb.162:                              ;   in Loop: Header=BB201_31 Depth=1
	v_bfe_u32 v1, v0, 16, 1
	s_delay_alu instid0(VALU_DEP_1)
	v_add3_u32 v146, v0, v1, 0x7fff
                                        ; implicit-def: $vgpr0
; %bb.163:                              ;   in Loop: Header=BB201_31 Depth=1
	s_and_not1_saveexec_b32 s7, s0
; %bb.164:                              ;   in Loop: Header=BB201_31 Depth=1
	v_and_b32_e32 v1, 0xffff, v0
	v_or_b32_e32 v2, 0x10000, v0
	s_delay_alu instid0(VALU_DEP_2) | instskip(NEXT) | instid1(VALU_DEP_1)
	v_cmp_eq_u32_e64 s0, 0, v1
	v_cndmask_b32_e64 v146, v2, v0, s0
; %bb.165:                              ;   in Loop: Header=BB201_31 Depth=1
	s_or_b32 exec_lo, exec_lo, s7
	flat_load_b128 v[0:3], v[6:7] offset:1536
	s_waitcnt vmcnt(0) lgkmcnt(0)
	v_lshrrev_b32_e32 v22, 16, v0
	v_lshrrev_b32_e32 v12, 16, v1
	;; [unrolled: 1-line block ×4, first 2 shown]
	s_and_saveexec_b32 s7, vcc_lo
	s_cbranch_execz .LBB201_167
; %bb.166:                              ;   in Loop: Header=BB201_31 Depth=1
	v_cmp_lt_i32_e64 s0, v96, v82
	s_delay_alu instid0(VALU_DEP_1) | instskip(SKIP_1) | instid1(VALU_DEP_1)
	v_cndmask_b32_e64 v0, 0, v0, s0
	v_cmp_lt_i32_e64 s0, v103, v82
	v_cndmask_b32_e64 v22, 0, v22, s0
	v_cmp_lt_i32_e64 s0, v101, v82
	s_delay_alu instid0(VALU_DEP_1) | instskip(SKIP_1) | instid1(VALU_DEP_1)
	v_cndmask_b32_e64 v1, 0, v1, s0
	v_cmp_lt_i32_e64 s0, v100, v82
	v_cndmask_b32_e64 v12, 0, v12, s0
	;; [unrolled: 5-line block ×4, first 2 shown]
.LBB201_167:                            ;   in Loop: Header=BB201_31 Depth=1
	s_or_b32 exec_lo, exec_lo, s7
	v_lshlrev_b32_e32 v0, 16, v0
                                        ; implicit-def: $vgpr147
	s_delay_alu instid0(VALU_DEP_1) | instskip(NEXT) | instid1(VALU_DEP_1)
	v_mul_f32_e32 v0, v114, v0
	v_and_b32_e32 v39, 0x7f800000, v0
	s_delay_alu instid0(VALU_DEP_1) | instskip(NEXT) | instid1(VALU_DEP_1)
	v_cmp_ne_u32_e64 s0, 0x7f800000, v39
	s_and_saveexec_b32 s7, s0
	s_delay_alu instid0(SALU_CYCLE_1)
	s_xor_b32 s0, exec_lo, s7
; %bb.168:                              ;   in Loop: Header=BB201_31 Depth=1
	v_bfe_u32 v39, v0, 16, 1
	s_delay_alu instid0(VALU_DEP_1)
	v_add3_u32 v147, v0, v39, 0x7fff
                                        ; implicit-def: $vgpr0
; %bb.169:                              ;   in Loop: Header=BB201_31 Depth=1
	s_and_not1_saveexec_b32 s7, s0
; %bb.170:                              ;   in Loop: Header=BB201_31 Depth=1
	v_and_b32_e32 v39, 0xffff, v0
	v_or_b32_e32 v83, 0x10000, v0
	s_delay_alu instid0(VALU_DEP_2) | instskip(NEXT) | instid1(VALU_DEP_1)
	v_cmp_eq_u32_e64 s0, 0, v39
	v_cndmask_b32_e64 v147, v83, v0, s0
; %bb.171:                              ;   in Loop: Header=BB201_31 Depth=1
	s_or_b32 exec_lo, exec_lo, s7
	v_lshlrev_b32_e32 v0, 16, v22
                                        ; implicit-def: $vgpr148
	s_delay_alu instid0(VALU_DEP_1) | instskip(NEXT) | instid1(VALU_DEP_1)
	v_mul_f32_e32 v0, v115, v0
	v_and_b32_e32 v22, 0x7f800000, v0
	s_delay_alu instid0(VALU_DEP_1) | instskip(NEXT) | instid1(VALU_DEP_1)
	v_cmp_ne_u32_e64 s0, 0x7f800000, v22
	s_and_saveexec_b32 s7, s0
	s_delay_alu instid0(SALU_CYCLE_1)
	s_xor_b32 s0, exec_lo, s7
; %bb.172:                              ;   in Loop: Header=BB201_31 Depth=1
	v_bfe_u32 v22, v0, 16, 1
	s_delay_alu instid0(VALU_DEP_1)
	v_add3_u32 v148, v0, v22, 0x7fff
                                        ; implicit-def: $vgpr0
; %bb.173:                              ;   in Loop: Header=BB201_31 Depth=1
	s_and_not1_saveexec_b32 s7, s0
; %bb.174:                              ;   in Loop: Header=BB201_31 Depth=1
	v_and_b32_e32 v22, 0xffff, v0
	v_or_b32_e32 v39, 0x10000, v0
	s_delay_alu instid0(VALU_DEP_2) | instskip(NEXT) | instid1(VALU_DEP_1)
	v_cmp_eq_u32_e64 s0, 0, v22
	v_cndmask_b32_e64 v148, v39, v0, s0
; %bb.175:                              ;   in Loop: Header=BB201_31 Depth=1
	s_or_b32 exec_lo, exec_lo, s7
	v_lshlrev_b32_e32 v0, 16, v1
                                        ; implicit-def: $vgpr149
	s_delay_alu instid0(VALU_DEP_1) | instskip(NEXT) | instid1(VALU_DEP_1)
	v_mul_f32_e32 v0, v116, v0
	v_and_b32_e32 v1, 0x7f800000, v0
	s_delay_alu instid0(VALU_DEP_1) | instskip(NEXT) | instid1(VALU_DEP_1)
	v_cmp_ne_u32_e64 s0, 0x7f800000, v1
	s_and_saveexec_b32 s7, s0
	s_delay_alu instid0(SALU_CYCLE_1)
	s_xor_b32 s0, exec_lo, s7
; %bb.176:                              ;   in Loop: Header=BB201_31 Depth=1
	v_bfe_u32 v1, v0, 16, 1
	s_delay_alu instid0(VALU_DEP_1)
	v_add3_u32 v149, v0, v1, 0x7fff
                                        ; implicit-def: $vgpr0
; %bb.177:                              ;   in Loop: Header=BB201_31 Depth=1
	s_and_not1_saveexec_b32 s7, s0
; %bb.178:                              ;   in Loop: Header=BB201_31 Depth=1
	v_and_b32_e32 v1, 0xffff, v0
	v_or_b32_e32 v22, 0x10000, v0
	s_delay_alu instid0(VALU_DEP_2) | instskip(NEXT) | instid1(VALU_DEP_1)
	v_cmp_eq_u32_e64 s0, 0, v1
	v_cndmask_b32_e64 v149, v22, v0, s0
; %bb.179:                              ;   in Loop: Header=BB201_31 Depth=1
	s_or_b32 exec_lo, exec_lo, s7
	v_lshlrev_b32_e32 v0, 16, v12
                                        ; implicit-def: $vgpr150
	s_delay_alu instid0(VALU_DEP_1) | instskip(NEXT) | instid1(VALU_DEP_1)
	v_mul_f32_e32 v0, v117, v0
	v_and_b32_e32 v1, 0x7f800000, v0
	s_delay_alu instid0(VALU_DEP_1) | instskip(NEXT) | instid1(VALU_DEP_1)
	v_cmp_ne_u32_e64 s0, 0x7f800000, v1
	s_and_saveexec_b32 s7, s0
	s_delay_alu instid0(SALU_CYCLE_1)
	s_xor_b32 s0, exec_lo, s7
; %bb.180:                              ;   in Loop: Header=BB201_31 Depth=1
	v_bfe_u32 v1, v0, 16, 1
	s_delay_alu instid0(VALU_DEP_1)
	v_add3_u32 v150, v0, v1, 0x7fff
                                        ; implicit-def: $vgpr0
; %bb.181:                              ;   in Loop: Header=BB201_31 Depth=1
	s_and_not1_saveexec_b32 s7, s0
; %bb.182:                              ;   in Loop: Header=BB201_31 Depth=1
	v_and_b32_e32 v1, 0xffff, v0
	v_or_b32_e32 v12, 0x10000, v0
	s_delay_alu instid0(VALU_DEP_2) | instskip(NEXT) | instid1(VALU_DEP_1)
	v_cmp_eq_u32_e64 s0, 0, v1
	v_cndmask_b32_e64 v150, v12, v0, s0
; %bb.183:                              ;   in Loop: Header=BB201_31 Depth=1
	s_or_b32 exec_lo, exec_lo, s7
	v_lshlrev_b32_e32 v0, 16, v2
                                        ; implicit-def: $vgpr151
	s_delay_alu instid0(VALU_DEP_1) | instskip(NEXT) | instid1(VALU_DEP_1)
	v_mul_f32_e32 v0, v119, v0
	v_and_b32_e32 v1, 0x7f800000, v0
	s_delay_alu instid0(VALU_DEP_1) | instskip(NEXT) | instid1(VALU_DEP_1)
	v_cmp_ne_u32_e64 s0, 0x7f800000, v1
	s_and_saveexec_b32 s7, s0
	s_delay_alu instid0(SALU_CYCLE_1)
	s_xor_b32 s0, exec_lo, s7
; %bb.184:                              ;   in Loop: Header=BB201_31 Depth=1
	v_bfe_u32 v1, v0, 16, 1
	s_delay_alu instid0(VALU_DEP_1)
	v_add3_u32 v151, v0, v1, 0x7fff
                                        ; implicit-def: $vgpr0
; %bb.185:                              ;   in Loop: Header=BB201_31 Depth=1
	s_and_not1_saveexec_b32 s7, s0
; %bb.186:                              ;   in Loop: Header=BB201_31 Depth=1
	v_and_b32_e32 v1, 0xffff, v0
	v_or_b32_e32 v2, 0x10000, v0
	s_delay_alu instid0(VALU_DEP_2) | instskip(NEXT) | instid1(VALU_DEP_1)
	v_cmp_eq_u32_e64 s0, 0, v1
	v_cndmask_b32_e64 v151, v2, v0, s0
; %bb.187:                              ;   in Loop: Header=BB201_31 Depth=1
	s_or_b32 exec_lo, exec_lo, s7
	v_lshlrev_b32_e32 v0, 16, v5
                                        ; implicit-def: $vgpr160
	s_delay_alu instid0(VALU_DEP_1) | instskip(NEXT) | instid1(VALU_DEP_1)
	v_mul_f32_e32 v0, v128, v0
	v_and_b32_e32 v1, 0x7f800000, v0
	s_delay_alu instid0(VALU_DEP_1) | instskip(NEXT) | instid1(VALU_DEP_1)
	v_cmp_ne_u32_e64 s0, 0x7f800000, v1
	s_and_saveexec_b32 s7, s0
	s_delay_alu instid0(SALU_CYCLE_1)
	s_xor_b32 s0, exec_lo, s7
; %bb.188:                              ;   in Loop: Header=BB201_31 Depth=1
	v_bfe_u32 v1, v0, 16, 1
	s_delay_alu instid0(VALU_DEP_1)
	v_add3_u32 v160, v0, v1, 0x7fff
                                        ; implicit-def: $vgpr0
; %bb.189:                              ;   in Loop: Header=BB201_31 Depth=1
	s_and_not1_saveexec_b32 s7, s0
; %bb.190:                              ;   in Loop: Header=BB201_31 Depth=1
	v_and_b32_e32 v1, 0xffff, v0
	v_or_b32_e32 v2, 0x10000, v0
	s_delay_alu instid0(VALU_DEP_2) | instskip(NEXT) | instid1(VALU_DEP_1)
	v_cmp_eq_u32_e64 s0, 0, v1
	v_cndmask_b32_e64 v160, v2, v0, s0
; %bb.191:                              ;   in Loop: Header=BB201_31 Depth=1
	s_or_b32 exec_lo, exec_lo, s7
	v_lshlrev_b32_e32 v0, 16, v3
                                        ; implicit-def: $vgpr161
	s_delay_alu instid0(VALU_DEP_1) | instskip(NEXT) | instid1(VALU_DEP_1)
	v_mul_f32_e32 v0, v129, v0
	v_and_b32_e32 v1, 0x7f800000, v0
	s_delay_alu instid0(VALU_DEP_1) | instskip(NEXT) | instid1(VALU_DEP_1)
	v_cmp_ne_u32_e64 s0, 0x7f800000, v1
	s_and_saveexec_b32 s7, s0
	s_delay_alu instid0(SALU_CYCLE_1)
	s_xor_b32 s0, exec_lo, s7
; %bb.192:                              ;   in Loop: Header=BB201_31 Depth=1
	v_bfe_u32 v1, v0, 16, 1
	s_delay_alu instid0(VALU_DEP_1)
	v_add3_u32 v161, v0, v1, 0x7fff
                                        ; implicit-def: $vgpr0
; %bb.193:                              ;   in Loop: Header=BB201_31 Depth=1
	s_and_not1_saveexec_b32 s7, s0
; %bb.194:                              ;   in Loop: Header=BB201_31 Depth=1
	v_and_b32_e32 v1, 0xffff, v0
	v_or_b32_e32 v2, 0x10000, v0
	s_delay_alu instid0(VALU_DEP_2) | instskip(NEXT) | instid1(VALU_DEP_1)
	v_cmp_eq_u32_e64 s0, 0, v1
	v_cndmask_b32_e64 v161, v2, v0, s0
; %bb.195:                              ;   in Loop: Header=BB201_31 Depth=1
	s_or_b32 exec_lo, exec_lo, s7
	v_lshlrev_b32_e32 v0, 16, v4
                                        ; implicit-def: $vgpr162
	s_delay_alu instid0(VALU_DEP_1) | instskip(NEXT) | instid1(VALU_DEP_1)
	v_mul_f32_e32 v0, v130, v0
	v_and_b32_e32 v1, 0x7f800000, v0
	s_delay_alu instid0(VALU_DEP_1) | instskip(NEXT) | instid1(VALU_DEP_1)
	v_cmp_ne_u32_e64 s0, 0x7f800000, v1
	s_and_saveexec_b32 s7, s0
	s_delay_alu instid0(SALU_CYCLE_1)
	s_xor_b32 s0, exec_lo, s7
; %bb.196:                              ;   in Loop: Header=BB201_31 Depth=1
	v_bfe_u32 v1, v0, 16, 1
	s_delay_alu instid0(VALU_DEP_1)
	v_add3_u32 v162, v0, v1, 0x7fff
                                        ; implicit-def: $vgpr0
; %bb.197:                              ;   in Loop: Header=BB201_31 Depth=1
	s_and_not1_saveexec_b32 s7, s0
; %bb.198:                              ;   in Loop: Header=BB201_31 Depth=1
	v_and_b32_e32 v1, 0xffff, v0
	v_or_b32_e32 v2, 0x10000, v0
	s_delay_alu instid0(VALU_DEP_2) | instskip(NEXT) | instid1(VALU_DEP_1)
	v_cmp_eq_u32_e64 s0, 0, v1
	v_cndmask_b32_e64 v162, v2, v0, s0
; %bb.199:                              ;   in Loop: Header=BB201_31 Depth=1
	s_or_b32 exec_lo, exec_lo, s7
	flat_load_b128 v[0:3], v[6:7] offset:2048
	s_waitcnt vmcnt(0) lgkmcnt(0)
	v_lshrrev_b32_e32 v22, 16, v0
	v_lshrrev_b32_e32 v12, 16, v1
	;; [unrolled: 1-line block ×4, first 2 shown]
	s_and_saveexec_b32 s7, vcc_lo
	s_cbranch_execz .LBB201_201
; %bb.200:                              ;   in Loop: Header=BB201_31 Depth=1
	v_cmp_lt_i32_e64 s0, v96, v82
	s_delay_alu instid0(VALU_DEP_1) | instskip(SKIP_1) | instid1(VALU_DEP_1)
	v_cndmask_b32_e64 v0, 0, v0, s0
	v_cmp_lt_i32_e64 s0, v103, v82
	v_cndmask_b32_e64 v22, 0, v22, s0
	v_cmp_lt_i32_e64 s0, v101, v82
	s_delay_alu instid0(VALU_DEP_1) | instskip(SKIP_1) | instid1(VALU_DEP_1)
	v_cndmask_b32_e64 v1, 0, v1, s0
	v_cmp_lt_i32_e64 s0, v100, v82
	v_cndmask_b32_e64 v12, 0, v12, s0
	;; [unrolled: 5-line block ×4, first 2 shown]
.LBB201_201:                            ;   in Loop: Header=BB201_31 Depth=1
	s_or_b32 exec_lo, exec_lo, s7
	v_lshlrev_b32_e32 v0, 16, v0
                                        ; implicit-def: $vgpr163
	s_delay_alu instid0(VALU_DEP_1) | instskip(NEXT) | instid1(VALU_DEP_1)
	v_mul_f32_e32 v0, v114, v0
	v_and_b32_e32 v39, 0x7f800000, v0
	s_delay_alu instid0(VALU_DEP_1) | instskip(NEXT) | instid1(VALU_DEP_1)
	v_cmp_ne_u32_e64 s0, 0x7f800000, v39
	s_and_saveexec_b32 s7, s0
	s_delay_alu instid0(SALU_CYCLE_1)
	s_xor_b32 s0, exec_lo, s7
; %bb.202:                              ;   in Loop: Header=BB201_31 Depth=1
	v_bfe_u32 v39, v0, 16, 1
	s_delay_alu instid0(VALU_DEP_1)
	v_add3_u32 v163, v0, v39, 0x7fff
                                        ; implicit-def: $vgpr0
; %bb.203:                              ;   in Loop: Header=BB201_31 Depth=1
	s_and_not1_saveexec_b32 s7, s0
; %bb.204:                              ;   in Loop: Header=BB201_31 Depth=1
	v_and_b32_e32 v39, 0xffff, v0
	v_or_b32_e32 v83, 0x10000, v0
	s_delay_alu instid0(VALU_DEP_2) | instskip(NEXT) | instid1(VALU_DEP_1)
	v_cmp_eq_u32_e64 s0, 0, v39
	v_cndmask_b32_e64 v163, v83, v0, s0
; %bb.205:                              ;   in Loop: Header=BB201_31 Depth=1
	s_or_b32 exec_lo, exec_lo, s7
	v_lshlrev_b32_e32 v0, 16, v22
                                        ; implicit-def: $vgpr164
	s_delay_alu instid0(VALU_DEP_1) | instskip(NEXT) | instid1(VALU_DEP_1)
	v_mul_f32_e32 v0, v115, v0
	v_and_b32_e32 v22, 0x7f800000, v0
	s_delay_alu instid0(VALU_DEP_1) | instskip(NEXT) | instid1(VALU_DEP_1)
	v_cmp_ne_u32_e64 s0, 0x7f800000, v22
	s_and_saveexec_b32 s7, s0
	s_delay_alu instid0(SALU_CYCLE_1)
	s_xor_b32 s0, exec_lo, s7
; %bb.206:                              ;   in Loop: Header=BB201_31 Depth=1
	v_bfe_u32 v22, v0, 16, 1
	s_delay_alu instid0(VALU_DEP_1)
	v_add3_u32 v164, v0, v22, 0x7fff
                                        ; implicit-def: $vgpr0
; %bb.207:                              ;   in Loop: Header=BB201_31 Depth=1
	s_and_not1_saveexec_b32 s7, s0
; %bb.208:                              ;   in Loop: Header=BB201_31 Depth=1
	v_and_b32_e32 v22, 0xffff, v0
	v_or_b32_e32 v39, 0x10000, v0
	s_delay_alu instid0(VALU_DEP_2) | instskip(NEXT) | instid1(VALU_DEP_1)
	v_cmp_eq_u32_e64 s0, 0, v22
	v_cndmask_b32_e64 v164, v39, v0, s0
; %bb.209:                              ;   in Loop: Header=BB201_31 Depth=1
	s_or_b32 exec_lo, exec_lo, s7
	v_lshlrev_b32_e32 v0, 16, v1
                                        ; implicit-def: $vgpr165
	s_delay_alu instid0(VALU_DEP_1) | instskip(NEXT) | instid1(VALU_DEP_1)
	v_mul_f32_e32 v0, v116, v0
	v_and_b32_e32 v1, 0x7f800000, v0
	s_delay_alu instid0(VALU_DEP_1) | instskip(NEXT) | instid1(VALU_DEP_1)
	v_cmp_ne_u32_e64 s0, 0x7f800000, v1
	s_and_saveexec_b32 s7, s0
	s_delay_alu instid0(SALU_CYCLE_1)
	s_xor_b32 s0, exec_lo, s7
; %bb.210:                              ;   in Loop: Header=BB201_31 Depth=1
	v_bfe_u32 v1, v0, 16, 1
	s_delay_alu instid0(VALU_DEP_1)
	v_add3_u32 v165, v0, v1, 0x7fff
                                        ; implicit-def: $vgpr0
; %bb.211:                              ;   in Loop: Header=BB201_31 Depth=1
	s_and_not1_saveexec_b32 s7, s0
; %bb.212:                              ;   in Loop: Header=BB201_31 Depth=1
	v_and_b32_e32 v1, 0xffff, v0
	v_or_b32_e32 v22, 0x10000, v0
	s_delay_alu instid0(VALU_DEP_2) | instskip(NEXT) | instid1(VALU_DEP_1)
	v_cmp_eq_u32_e64 s0, 0, v1
	v_cndmask_b32_e64 v165, v22, v0, s0
; %bb.213:                              ;   in Loop: Header=BB201_31 Depth=1
	s_or_b32 exec_lo, exec_lo, s7
	v_lshlrev_b32_e32 v0, 16, v12
                                        ; implicit-def: $vgpr166
	s_delay_alu instid0(VALU_DEP_1) | instskip(NEXT) | instid1(VALU_DEP_1)
	v_mul_f32_e32 v0, v117, v0
	v_and_b32_e32 v1, 0x7f800000, v0
	s_delay_alu instid0(VALU_DEP_1) | instskip(NEXT) | instid1(VALU_DEP_1)
	v_cmp_ne_u32_e64 s0, 0x7f800000, v1
	s_and_saveexec_b32 s7, s0
	s_delay_alu instid0(SALU_CYCLE_1)
	s_xor_b32 s0, exec_lo, s7
; %bb.214:                              ;   in Loop: Header=BB201_31 Depth=1
	v_bfe_u32 v1, v0, 16, 1
	s_delay_alu instid0(VALU_DEP_1)
	v_add3_u32 v166, v0, v1, 0x7fff
                                        ; implicit-def: $vgpr0
; %bb.215:                              ;   in Loop: Header=BB201_31 Depth=1
	s_and_not1_saveexec_b32 s7, s0
; %bb.216:                              ;   in Loop: Header=BB201_31 Depth=1
	v_and_b32_e32 v1, 0xffff, v0
	v_or_b32_e32 v12, 0x10000, v0
	s_delay_alu instid0(VALU_DEP_2) | instskip(NEXT) | instid1(VALU_DEP_1)
	v_cmp_eq_u32_e64 s0, 0, v1
	v_cndmask_b32_e64 v166, v12, v0, s0
; %bb.217:                              ;   in Loop: Header=BB201_31 Depth=1
	s_or_b32 exec_lo, exec_lo, s7
	v_lshlrev_b32_e32 v0, 16, v2
                                        ; implicit-def: $vgpr167
	s_delay_alu instid0(VALU_DEP_1) | instskip(NEXT) | instid1(VALU_DEP_1)
	v_mul_f32_e32 v0, v119, v0
	v_and_b32_e32 v1, 0x7f800000, v0
	s_delay_alu instid0(VALU_DEP_1) | instskip(NEXT) | instid1(VALU_DEP_1)
	v_cmp_ne_u32_e64 s0, 0x7f800000, v1
	s_and_saveexec_b32 s7, s0
	s_delay_alu instid0(SALU_CYCLE_1)
	s_xor_b32 s0, exec_lo, s7
; %bb.218:                              ;   in Loop: Header=BB201_31 Depth=1
	v_bfe_u32 v1, v0, 16, 1
	s_delay_alu instid0(VALU_DEP_1)
	v_add3_u32 v167, v0, v1, 0x7fff
                                        ; implicit-def: $vgpr0
; %bb.219:                              ;   in Loop: Header=BB201_31 Depth=1
	s_and_not1_saveexec_b32 s7, s0
; %bb.220:                              ;   in Loop: Header=BB201_31 Depth=1
	v_and_b32_e32 v1, 0xffff, v0
	v_or_b32_e32 v2, 0x10000, v0
	s_delay_alu instid0(VALU_DEP_2) | instskip(NEXT) | instid1(VALU_DEP_1)
	v_cmp_eq_u32_e64 s0, 0, v1
	v_cndmask_b32_e64 v167, v2, v0, s0
; %bb.221:                              ;   in Loop: Header=BB201_31 Depth=1
	s_or_b32 exec_lo, exec_lo, s7
	v_lshlrev_b32_e32 v0, 16, v5
                                        ; implicit-def: $vgpr176
	s_delay_alu instid0(VALU_DEP_1) | instskip(NEXT) | instid1(VALU_DEP_1)
	v_mul_f32_e32 v0, v128, v0
	v_and_b32_e32 v1, 0x7f800000, v0
	s_delay_alu instid0(VALU_DEP_1) | instskip(NEXT) | instid1(VALU_DEP_1)
	v_cmp_ne_u32_e64 s0, 0x7f800000, v1
	s_and_saveexec_b32 s7, s0
	s_delay_alu instid0(SALU_CYCLE_1)
	s_xor_b32 s0, exec_lo, s7
; %bb.222:                              ;   in Loop: Header=BB201_31 Depth=1
	v_bfe_u32 v1, v0, 16, 1
	s_delay_alu instid0(VALU_DEP_1)
	v_add3_u32 v176, v0, v1, 0x7fff
                                        ; implicit-def: $vgpr0
; %bb.223:                              ;   in Loop: Header=BB201_31 Depth=1
	s_and_not1_saveexec_b32 s7, s0
; %bb.224:                              ;   in Loop: Header=BB201_31 Depth=1
	v_and_b32_e32 v1, 0xffff, v0
	v_or_b32_e32 v2, 0x10000, v0
	s_delay_alu instid0(VALU_DEP_2) | instskip(NEXT) | instid1(VALU_DEP_1)
	v_cmp_eq_u32_e64 s0, 0, v1
	v_cndmask_b32_e64 v176, v2, v0, s0
; %bb.225:                              ;   in Loop: Header=BB201_31 Depth=1
	s_or_b32 exec_lo, exec_lo, s7
	v_lshlrev_b32_e32 v0, 16, v3
                                        ; implicit-def: $vgpr177
	s_delay_alu instid0(VALU_DEP_1) | instskip(NEXT) | instid1(VALU_DEP_1)
	v_mul_f32_e32 v0, v129, v0
	v_and_b32_e32 v1, 0x7f800000, v0
	s_delay_alu instid0(VALU_DEP_1) | instskip(NEXT) | instid1(VALU_DEP_1)
	v_cmp_ne_u32_e64 s0, 0x7f800000, v1
	s_and_saveexec_b32 s7, s0
	s_delay_alu instid0(SALU_CYCLE_1)
	s_xor_b32 s0, exec_lo, s7
; %bb.226:                              ;   in Loop: Header=BB201_31 Depth=1
	v_bfe_u32 v1, v0, 16, 1
	s_delay_alu instid0(VALU_DEP_1)
	v_add3_u32 v177, v0, v1, 0x7fff
                                        ; implicit-def: $vgpr0
; %bb.227:                              ;   in Loop: Header=BB201_31 Depth=1
	s_and_not1_saveexec_b32 s7, s0
; %bb.228:                              ;   in Loop: Header=BB201_31 Depth=1
	v_and_b32_e32 v1, 0xffff, v0
	v_or_b32_e32 v2, 0x10000, v0
	s_delay_alu instid0(VALU_DEP_2) | instskip(NEXT) | instid1(VALU_DEP_1)
	v_cmp_eq_u32_e64 s0, 0, v1
	v_cndmask_b32_e64 v177, v2, v0, s0
; %bb.229:                              ;   in Loop: Header=BB201_31 Depth=1
	s_or_b32 exec_lo, exec_lo, s7
	v_lshlrev_b32_e32 v0, 16, v4
                                        ; implicit-def: $vgpr178
	s_delay_alu instid0(VALU_DEP_1) | instskip(NEXT) | instid1(VALU_DEP_1)
	v_mul_f32_e32 v0, v130, v0
	v_and_b32_e32 v1, 0x7f800000, v0
	s_delay_alu instid0(VALU_DEP_1) | instskip(NEXT) | instid1(VALU_DEP_1)
	v_cmp_ne_u32_e64 s0, 0x7f800000, v1
	s_and_saveexec_b32 s7, s0
	s_delay_alu instid0(SALU_CYCLE_1)
	s_xor_b32 s0, exec_lo, s7
; %bb.230:                              ;   in Loop: Header=BB201_31 Depth=1
	v_bfe_u32 v1, v0, 16, 1
	s_delay_alu instid0(VALU_DEP_1)
	v_add3_u32 v178, v0, v1, 0x7fff
                                        ; implicit-def: $vgpr0
; %bb.231:                              ;   in Loop: Header=BB201_31 Depth=1
	s_and_not1_saveexec_b32 s7, s0
; %bb.232:                              ;   in Loop: Header=BB201_31 Depth=1
	v_and_b32_e32 v1, 0xffff, v0
	v_or_b32_e32 v2, 0x10000, v0
	s_delay_alu instid0(VALU_DEP_2) | instskip(NEXT) | instid1(VALU_DEP_1)
	v_cmp_eq_u32_e64 s0, 0, v1
	v_cndmask_b32_e64 v178, v2, v0, s0
; %bb.233:                              ;   in Loop: Header=BB201_31 Depth=1
	s_or_b32 exec_lo, exec_lo, s7
	flat_load_b128 v[0:3], v[6:7] offset:2560
	s_waitcnt vmcnt(0) lgkmcnt(0)
	v_lshrrev_b32_e32 v22, 16, v0
	v_lshrrev_b32_e32 v12, 16, v1
	;; [unrolled: 1-line block ×4, first 2 shown]
	s_and_saveexec_b32 s7, vcc_lo
	s_cbranch_execz .LBB201_235
; %bb.234:                              ;   in Loop: Header=BB201_31 Depth=1
	v_cmp_lt_i32_e64 s0, v96, v82
	s_delay_alu instid0(VALU_DEP_1) | instskip(SKIP_1) | instid1(VALU_DEP_1)
	v_cndmask_b32_e64 v0, 0, v0, s0
	v_cmp_lt_i32_e64 s0, v103, v82
	v_cndmask_b32_e64 v22, 0, v22, s0
	v_cmp_lt_i32_e64 s0, v101, v82
	s_delay_alu instid0(VALU_DEP_1) | instskip(SKIP_1) | instid1(VALU_DEP_1)
	v_cndmask_b32_e64 v1, 0, v1, s0
	v_cmp_lt_i32_e64 s0, v100, v82
	v_cndmask_b32_e64 v12, 0, v12, s0
	v_cmp_lt_i32_e64 s0, v99, v82
	s_delay_alu instid0(VALU_DEP_1) | instskip(SKIP_1) | instid1(VALU_DEP_1)
	v_cndmask_b32_e64 v2, 0, v2, s0
	v_cmp_lt_i32_e64 s0, v98, v82
	v_cndmask_b32_e64 v5, 0, v5, s0
	v_cmp_lt_i32_e64 s0, v102, v82
	s_delay_alu instid0(VALU_DEP_1) | instskip(SKIP_1) | instid1(VALU_DEP_1)
	v_cndmask_b32_e64 v3, 0, v3, s0
	v_cmp_lt_i32_e64 s0, v14, v82
	v_cndmask_b32_e64 v4, 0, v4, s0
.LBB201_235:                            ;   in Loop: Header=BB201_31 Depth=1
	s_or_b32 exec_lo, exec_lo, s7
	v_lshlrev_b32_e32 v0, 16, v0
                                        ; implicit-def: $vgpr179
	s_delay_alu instid0(VALU_DEP_1) | instskip(NEXT) | instid1(VALU_DEP_1)
	v_mul_f32_e32 v0, v114, v0
	v_and_b32_e32 v39, 0x7f800000, v0
	s_delay_alu instid0(VALU_DEP_1) | instskip(NEXT) | instid1(VALU_DEP_1)
	v_cmp_ne_u32_e64 s0, 0x7f800000, v39
	s_and_saveexec_b32 s7, s0
	s_delay_alu instid0(SALU_CYCLE_1)
	s_xor_b32 s0, exec_lo, s7
; %bb.236:                              ;   in Loop: Header=BB201_31 Depth=1
	v_bfe_u32 v39, v0, 16, 1
	s_delay_alu instid0(VALU_DEP_1)
	v_add3_u32 v179, v0, v39, 0x7fff
                                        ; implicit-def: $vgpr0
; %bb.237:                              ;   in Loop: Header=BB201_31 Depth=1
	s_and_not1_saveexec_b32 s7, s0
; %bb.238:                              ;   in Loop: Header=BB201_31 Depth=1
	v_and_b32_e32 v39, 0xffff, v0
	v_or_b32_e32 v83, 0x10000, v0
	s_delay_alu instid0(VALU_DEP_2) | instskip(NEXT) | instid1(VALU_DEP_1)
	v_cmp_eq_u32_e64 s0, 0, v39
	v_cndmask_b32_e64 v179, v83, v0, s0
; %bb.239:                              ;   in Loop: Header=BB201_31 Depth=1
	s_or_b32 exec_lo, exec_lo, s7
	v_lshlrev_b32_e32 v0, 16, v22
                                        ; implicit-def: $vgpr180
	s_delay_alu instid0(VALU_DEP_1) | instskip(NEXT) | instid1(VALU_DEP_1)
	v_mul_f32_e32 v0, v115, v0
	v_and_b32_e32 v22, 0x7f800000, v0
	s_delay_alu instid0(VALU_DEP_1) | instskip(NEXT) | instid1(VALU_DEP_1)
	v_cmp_ne_u32_e64 s0, 0x7f800000, v22
	s_and_saveexec_b32 s7, s0
	s_delay_alu instid0(SALU_CYCLE_1)
	s_xor_b32 s0, exec_lo, s7
; %bb.240:                              ;   in Loop: Header=BB201_31 Depth=1
	v_bfe_u32 v22, v0, 16, 1
	s_delay_alu instid0(VALU_DEP_1)
	v_add3_u32 v180, v0, v22, 0x7fff
                                        ; implicit-def: $vgpr0
; %bb.241:                              ;   in Loop: Header=BB201_31 Depth=1
	s_and_not1_saveexec_b32 s7, s0
; %bb.242:                              ;   in Loop: Header=BB201_31 Depth=1
	v_and_b32_e32 v22, 0xffff, v0
	v_or_b32_e32 v39, 0x10000, v0
	s_delay_alu instid0(VALU_DEP_2) | instskip(NEXT) | instid1(VALU_DEP_1)
	v_cmp_eq_u32_e64 s0, 0, v22
	v_cndmask_b32_e64 v180, v39, v0, s0
; %bb.243:                              ;   in Loop: Header=BB201_31 Depth=1
	s_or_b32 exec_lo, exec_lo, s7
	v_lshlrev_b32_e32 v0, 16, v1
                                        ; implicit-def: $vgpr181
	s_delay_alu instid0(VALU_DEP_1) | instskip(NEXT) | instid1(VALU_DEP_1)
	v_mul_f32_e32 v0, v116, v0
	v_and_b32_e32 v1, 0x7f800000, v0
	s_delay_alu instid0(VALU_DEP_1) | instskip(NEXT) | instid1(VALU_DEP_1)
	v_cmp_ne_u32_e64 s0, 0x7f800000, v1
	s_and_saveexec_b32 s7, s0
	s_delay_alu instid0(SALU_CYCLE_1)
	s_xor_b32 s0, exec_lo, s7
; %bb.244:                              ;   in Loop: Header=BB201_31 Depth=1
	v_bfe_u32 v1, v0, 16, 1
	s_delay_alu instid0(VALU_DEP_1)
	v_add3_u32 v181, v0, v1, 0x7fff
                                        ; implicit-def: $vgpr0
; %bb.245:                              ;   in Loop: Header=BB201_31 Depth=1
	s_and_not1_saveexec_b32 s7, s0
; %bb.246:                              ;   in Loop: Header=BB201_31 Depth=1
	v_and_b32_e32 v1, 0xffff, v0
	v_or_b32_e32 v22, 0x10000, v0
	s_delay_alu instid0(VALU_DEP_2) | instskip(NEXT) | instid1(VALU_DEP_1)
	v_cmp_eq_u32_e64 s0, 0, v1
	v_cndmask_b32_e64 v181, v22, v0, s0
; %bb.247:                              ;   in Loop: Header=BB201_31 Depth=1
	s_or_b32 exec_lo, exec_lo, s7
	v_lshlrev_b32_e32 v0, 16, v12
                                        ; implicit-def: $vgpr182
	s_delay_alu instid0(VALU_DEP_1) | instskip(NEXT) | instid1(VALU_DEP_1)
	v_mul_f32_e32 v0, v117, v0
	v_and_b32_e32 v1, 0x7f800000, v0
	s_delay_alu instid0(VALU_DEP_1) | instskip(NEXT) | instid1(VALU_DEP_1)
	v_cmp_ne_u32_e64 s0, 0x7f800000, v1
	s_and_saveexec_b32 s7, s0
	s_delay_alu instid0(SALU_CYCLE_1)
	s_xor_b32 s0, exec_lo, s7
; %bb.248:                              ;   in Loop: Header=BB201_31 Depth=1
	v_bfe_u32 v1, v0, 16, 1
	s_delay_alu instid0(VALU_DEP_1)
	v_add3_u32 v182, v0, v1, 0x7fff
                                        ; implicit-def: $vgpr0
; %bb.249:                              ;   in Loop: Header=BB201_31 Depth=1
	s_and_not1_saveexec_b32 s7, s0
; %bb.250:                              ;   in Loop: Header=BB201_31 Depth=1
	v_and_b32_e32 v1, 0xffff, v0
	v_or_b32_e32 v12, 0x10000, v0
	s_delay_alu instid0(VALU_DEP_2) | instskip(NEXT) | instid1(VALU_DEP_1)
	v_cmp_eq_u32_e64 s0, 0, v1
	v_cndmask_b32_e64 v182, v12, v0, s0
; %bb.251:                              ;   in Loop: Header=BB201_31 Depth=1
	s_or_b32 exec_lo, exec_lo, s7
	v_lshlrev_b32_e32 v0, 16, v2
                                        ; implicit-def: $vgpr183
	s_delay_alu instid0(VALU_DEP_1) | instskip(NEXT) | instid1(VALU_DEP_1)
	v_mul_f32_e32 v0, v119, v0
	v_and_b32_e32 v1, 0x7f800000, v0
	s_delay_alu instid0(VALU_DEP_1) | instskip(NEXT) | instid1(VALU_DEP_1)
	v_cmp_ne_u32_e64 s0, 0x7f800000, v1
	s_and_saveexec_b32 s7, s0
	s_delay_alu instid0(SALU_CYCLE_1)
	s_xor_b32 s0, exec_lo, s7
; %bb.252:                              ;   in Loop: Header=BB201_31 Depth=1
	v_bfe_u32 v1, v0, 16, 1
	s_delay_alu instid0(VALU_DEP_1)
	v_add3_u32 v183, v0, v1, 0x7fff
                                        ; implicit-def: $vgpr0
; %bb.253:                              ;   in Loop: Header=BB201_31 Depth=1
	s_and_not1_saveexec_b32 s7, s0
; %bb.254:                              ;   in Loop: Header=BB201_31 Depth=1
	v_and_b32_e32 v1, 0xffff, v0
	v_or_b32_e32 v2, 0x10000, v0
	s_delay_alu instid0(VALU_DEP_2) | instskip(NEXT) | instid1(VALU_DEP_1)
	v_cmp_eq_u32_e64 s0, 0, v1
	v_cndmask_b32_e64 v183, v2, v0, s0
; %bb.255:                              ;   in Loop: Header=BB201_31 Depth=1
	s_or_b32 exec_lo, exec_lo, s7
	v_lshlrev_b32_e32 v0, 16, v5
                                        ; implicit-def: $vgpr40
	s_delay_alu instid0(VALU_DEP_1) | instskip(NEXT) | instid1(VALU_DEP_1)
	v_mul_f32_e32 v0, v128, v0
	v_and_b32_e32 v1, 0x7f800000, v0
	s_delay_alu instid0(VALU_DEP_1) | instskip(NEXT) | instid1(VALU_DEP_1)
	v_cmp_ne_u32_e64 s0, 0x7f800000, v1
	s_and_saveexec_b32 s7, s0
	s_delay_alu instid0(SALU_CYCLE_1)
	s_xor_b32 s0, exec_lo, s7
; %bb.256:                              ;   in Loop: Header=BB201_31 Depth=1
	v_bfe_u32 v1, v0, 16, 1
	s_delay_alu instid0(VALU_DEP_1)
	v_add3_u32 v40, v0, v1, 0x7fff
                                        ; implicit-def: $vgpr0
; %bb.257:                              ;   in Loop: Header=BB201_31 Depth=1
	s_and_not1_saveexec_b32 s7, s0
; %bb.258:                              ;   in Loop: Header=BB201_31 Depth=1
	v_and_b32_e32 v1, 0xffff, v0
	v_or_b32_e32 v2, 0x10000, v0
	s_delay_alu instid0(VALU_DEP_2) | instskip(NEXT) | instid1(VALU_DEP_1)
	v_cmp_eq_u32_e64 s0, 0, v1
	v_cndmask_b32_e64 v40, v2, v0, s0
; %bb.259:                              ;   in Loop: Header=BB201_31 Depth=1
	s_or_b32 exec_lo, exec_lo, s7
	v_lshlrev_b32_e32 v0, 16, v3
                                        ; implicit-def: $vgpr41
	s_delay_alu instid0(VALU_DEP_1) | instskip(NEXT) | instid1(VALU_DEP_1)
	v_mul_f32_e32 v0, v129, v0
	v_and_b32_e32 v1, 0x7f800000, v0
	s_delay_alu instid0(VALU_DEP_1) | instskip(NEXT) | instid1(VALU_DEP_1)
	v_cmp_ne_u32_e64 s0, 0x7f800000, v1
	s_and_saveexec_b32 s7, s0
	s_delay_alu instid0(SALU_CYCLE_1)
	s_xor_b32 s0, exec_lo, s7
; %bb.260:                              ;   in Loop: Header=BB201_31 Depth=1
	v_bfe_u32 v1, v0, 16, 1
	s_delay_alu instid0(VALU_DEP_1)
	v_add3_u32 v41, v0, v1, 0x7fff
                                        ; implicit-def: $vgpr0
; %bb.261:                              ;   in Loop: Header=BB201_31 Depth=1
	s_and_not1_saveexec_b32 s7, s0
; %bb.262:                              ;   in Loop: Header=BB201_31 Depth=1
	v_and_b32_e32 v1, 0xffff, v0
	v_or_b32_e32 v2, 0x10000, v0
	s_delay_alu instid0(VALU_DEP_2) | instskip(NEXT) | instid1(VALU_DEP_1)
	v_cmp_eq_u32_e64 s0, 0, v1
	v_cndmask_b32_e64 v41, v2, v0, s0
; %bb.263:                              ;   in Loop: Header=BB201_31 Depth=1
	s_or_b32 exec_lo, exec_lo, s7
	v_lshlrev_b32_e32 v0, 16, v4
                                        ; implicit-def: $vgpr42
	s_delay_alu instid0(VALU_DEP_1) | instskip(NEXT) | instid1(VALU_DEP_1)
	v_mul_f32_e32 v0, v130, v0
	v_and_b32_e32 v1, 0x7f800000, v0
	s_delay_alu instid0(VALU_DEP_1) | instskip(NEXT) | instid1(VALU_DEP_1)
	v_cmp_ne_u32_e64 s0, 0x7f800000, v1
	s_and_saveexec_b32 s7, s0
	s_delay_alu instid0(SALU_CYCLE_1)
	s_xor_b32 s0, exec_lo, s7
; %bb.264:                              ;   in Loop: Header=BB201_31 Depth=1
	v_bfe_u32 v1, v0, 16, 1
	s_delay_alu instid0(VALU_DEP_1)
	v_add3_u32 v42, v0, v1, 0x7fff
                                        ; implicit-def: $vgpr0
; %bb.265:                              ;   in Loop: Header=BB201_31 Depth=1
	s_and_not1_saveexec_b32 s7, s0
; %bb.266:                              ;   in Loop: Header=BB201_31 Depth=1
	v_and_b32_e32 v1, 0xffff, v0
	v_or_b32_e32 v2, 0x10000, v0
	s_delay_alu instid0(VALU_DEP_2) | instskip(NEXT) | instid1(VALU_DEP_1)
	v_cmp_eq_u32_e64 s0, 0, v1
	v_cndmask_b32_e64 v42, v2, v0, s0
; %bb.267:                              ;   in Loop: Header=BB201_31 Depth=1
	s_or_b32 exec_lo, exec_lo, s7
	flat_load_b128 v[0:3], v[6:7] offset:3072
	s_waitcnt vmcnt(0) lgkmcnt(0)
	v_lshrrev_b32_e32 v22, 16, v0
	v_lshrrev_b32_e32 v12, 16, v1
	;; [unrolled: 1-line block ×4, first 2 shown]
	s_and_saveexec_b32 s7, vcc_lo
	s_cbranch_execz .LBB201_269
; %bb.268:                              ;   in Loop: Header=BB201_31 Depth=1
	v_cmp_lt_i32_e64 s0, v96, v82
	s_delay_alu instid0(VALU_DEP_1) | instskip(SKIP_1) | instid1(VALU_DEP_1)
	v_cndmask_b32_e64 v0, 0, v0, s0
	v_cmp_lt_i32_e64 s0, v103, v82
	v_cndmask_b32_e64 v22, 0, v22, s0
	v_cmp_lt_i32_e64 s0, v101, v82
	s_delay_alu instid0(VALU_DEP_1) | instskip(SKIP_1) | instid1(VALU_DEP_1)
	v_cndmask_b32_e64 v1, 0, v1, s0
	v_cmp_lt_i32_e64 s0, v100, v82
	v_cndmask_b32_e64 v12, 0, v12, s0
	;; [unrolled: 5-line block ×4, first 2 shown]
.LBB201_269:                            ;   in Loop: Header=BB201_31 Depth=1
	s_or_b32 exec_lo, exec_lo, s7
	v_lshlrev_b32_e32 v0, 16, v0
                                        ; implicit-def: $vgpr43
	s_delay_alu instid0(VALU_DEP_1) | instskip(NEXT) | instid1(VALU_DEP_1)
	v_mul_f32_e32 v0, v114, v0
	v_and_b32_e32 v39, 0x7f800000, v0
	s_delay_alu instid0(VALU_DEP_1) | instskip(NEXT) | instid1(VALU_DEP_1)
	v_cmp_ne_u32_e64 s0, 0x7f800000, v39
	s_and_saveexec_b32 s7, s0
	s_delay_alu instid0(SALU_CYCLE_1)
	s_xor_b32 s0, exec_lo, s7
; %bb.270:                              ;   in Loop: Header=BB201_31 Depth=1
	v_bfe_u32 v39, v0, 16, 1
	s_delay_alu instid0(VALU_DEP_1)
	v_add3_u32 v43, v0, v39, 0x7fff
                                        ; implicit-def: $vgpr0
; %bb.271:                              ;   in Loop: Header=BB201_31 Depth=1
	s_and_not1_saveexec_b32 s7, s0
; %bb.272:                              ;   in Loop: Header=BB201_31 Depth=1
	v_and_b32_e32 v39, 0xffff, v0
	v_or_b32_e32 v83, 0x10000, v0
	s_delay_alu instid0(VALU_DEP_2) | instskip(NEXT) | instid1(VALU_DEP_1)
	v_cmp_eq_u32_e64 s0, 0, v39
	v_cndmask_b32_e64 v43, v83, v0, s0
; %bb.273:                              ;   in Loop: Header=BB201_31 Depth=1
	s_or_b32 exec_lo, exec_lo, s7
	v_lshlrev_b32_e32 v0, 16, v22
                                        ; implicit-def: $vgpr44
	s_delay_alu instid0(VALU_DEP_1) | instskip(NEXT) | instid1(VALU_DEP_1)
	v_mul_f32_e32 v0, v115, v0
	v_and_b32_e32 v22, 0x7f800000, v0
	s_delay_alu instid0(VALU_DEP_1) | instskip(NEXT) | instid1(VALU_DEP_1)
	v_cmp_ne_u32_e64 s0, 0x7f800000, v22
	s_and_saveexec_b32 s7, s0
	s_delay_alu instid0(SALU_CYCLE_1)
	s_xor_b32 s0, exec_lo, s7
; %bb.274:                              ;   in Loop: Header=BB201_31 Depth=1
	v_bfe_u32 v22, v0, 16, 1
	s_delay_alu instid0(VALU_DEP_1)
	v_add3_u32 v44, v0, v22, 0x7fff
                                        ; implicit-def: $vgpr0
; %bb.275:                              ;   in Loop: Header=BB201_31 Depth=1
	s_and_not1_saveexec_b32 s7, s0
; %bb.276:                              ;   in Loop: Header=BB201_31 Depth=1
	v_and_b32_e32 v22, 0xffff, v0
	v_or_b32_e32 v39, 0x10000, v0
	s_delay_alu instid0(VALU_DEP_2) | instskip(NEXT) | instid1(VALU_DEP_1)
	v_cmp_eq_u32_e64 s0, 0, v22
	v_cndmask_b32_e64 v44, v39, v0, s0
; %bb.277:                              ;   in Loop: Header=BB201_31 Depth=1
	s_or_b32 exec_lo, exec_lo, s7
	v_lshlrev_b32_e32 v0, 16, v1
                                        ; implicit-def: $vgpr45
	s_delay_alu instid0(VALU_DEP_1) | instskip(NEXT) | instid1(VALU_DEP_1)
	v_mul_f32_e32 v0, v116, v0
	v_and_b32_e32 v1, 0x7f800000, v0
	s_delay_alu instid0(VALU_DEP_1) | instskip(NEXT) | instid1(VALU_DEP_1)
	v_cmp_ne_u32_e64 s0, 0x7f800000, v1
	s_and_saveexec_b32 s7, s0
	s_delay_alu instid0(SALU_CYCLE_1)
	s_xor_b32 s0, exec_lo, s7
; %bb.278:                              ;   in Loop: Header=BB201_31 Depth=1
	v_bfe_u32 v1, v0, 16, 1
	s_delay_alu instid0(VALU_DEP_1)
	v_add3_u32 v45, v0, v1, 0x7fff
                                        ; implicit-def: $vgpr0
; %bb.279:                              ;   in Loop: Header=BB201_31 Depth=1
	s_and_not1_saveexec_b32 s7, s0
; %bb.280:                              ;   in Loop: Header=BB201_31 Depth=1
	v_and_b32_e32 v1, 0xffff, v0
	v_or_b32_e32 v22, 0x10000, v0
	s_delay_alu instid0(VALU_DEP_2) | instskip(NEXT) | instid1(VALU_DEP_1)
	v_cmp_eq_u32_e64 s0, 0, v1
	v_cndmask_b32_e64 v45, v22, v0, s0
; %bb.281:                              ;   in Loop: Header=BB201_31 Depth=1
	s_or_b32 exec_lo, exec_lo, s7
	v_lshlrev_b32_e32 v0, 16, v12
                                        ; implicit-def: $vgpr46
	s_delay_alu instid0(VALU_DEP_1) | instskip(NEXT) | instid1(VALU_DEP_1)
	v_mul_f32_e32 v0, v117, v0
	v_and_b32_e32 v1, 0x7f800000, v0
	s_delay_alu instid0(VALU_DEP_1) | instskip(NEXT) | instid1(VALU_DEP_1)
	v_cmp_ne_u32_e64 s0, 0x7f800000, v1
	s_and_saveexec_b32 s7, s0
	s_delay_alu instid0(SALU_CYCLE_1)
	s_xor_b32 s0, exec_lo, s7
; %bb.282:                              ;   in Loop: Header=BB201_31 Depth=1
	v_bfe_u32 v1, v0, 16, 1
	s_delay_alu instid0(VALU_DEP_1)
	v_add3_u32 v46, v0, v1, 0x7fff
                                        ; implicit-def: $vgpr0
; %bb.283:                              ;   in Loop: Header=BB201_31 Depth=1
	s_and_not1_saveexec_b32 s7, s0
; %bb.284:                              ;   in Loop: Header=BB201_31 Depth=1
	v_and_b32_e32 v1, 0xffff, v0
	v_or_b32_e32 v12, 0x10000, v0
	s_delay_alu instid0(VALU_DEP_2) | instskip(NEXT) | instid1(VALU_DEP_1)
	v_cmp_eq_u32_e64 s0, 0, v1
	v_cndmask_b32_e64 v46, v12, v0, s0
; %bb.285:                              ;   in Loop: Header=BB201_31 Depth=1
	s_or_b32 exec_lo, exec_lo, s7
	v_lshlrev_b32_e32 v0, 16, v2
                                        ; implicit-def: $vgpr47
	s_delay_alu instid0(VALU_DEP_1) | instskip(NEXT) | instid1(VALU_DEP_1)
	v_mul_f32_e32 v0, v119, v0
	v_and_b32_e32 v1, 0x7f800000, v0
	s_delay_alu instid0(VALU_DEP_1) | instskip(NEXT) | instid1(VALU_DEP_1)
	v_cmp_ne_u32_e64 s0, 0x7f800000, v1
	s_and_saveexec_b32 s7, s0
	s_delay_alu instid0(SALU_CYCLE_1)
	s_xor_b32 s0, exec_lo, s7
; %bb.286:                              ;   in Loop: Header=BB201_31 Depth=1
	v_bfe_u32 v1, v0, 16, 1
	s_delay_alu instid0(VALU_DEP_1)
	v_add3_u32 v47, v0, v1, 0x7fff
                                        ; implicit-def: $vgpr0
; %bb.287:                              ;   in Loop: Header=BB201_31 Depth=1
	s_and_not1_saveexec_b32 s7, s0
; %bb.288:                              ;   in Loop: Header=BB201_31 Depth=1
	v_and_b32_e32 v1, 0xffff, v0
	v_or_b32_e32 v2, 0x10000, v0
	s_delay_alu instid0(VALU_DEP_2) | instskip(NEXT) | instid1(VALU_DEP_1)
	v_cmp_eq_u32_e64 s0, 0, v1
	v_cndmask_b32_e64 v47, v2, v0, s0
; %bb.289:                              ;   in Loop: Header=BB201_31 Depth=1
	s_or_b32 exec_lo, exec_lo, s7
	v_lshlrev_b32_e32 v0, 16, v5
                                        ; implicit-def: $vgpr56
	s_delay_alu instid0(VALU_DEP_1) | instskip(NEXT) | instid1(VALU_DEP_1)
	v_mul_f32_e32 v0, v128, v0
	v_and_b32_e32 v1, 0x7f800000, v0
	s_delay_alu instid0(VALU_DEP_1) | instskip(NEXT) | instid1(VALU_DEP_1)
	v_cmp_ne_u32_e64 s0, 0x7f800000, v1
	s_and_saveexec_b32 s7, s0
	s_delay_alu instid0(SALU_CYCLE_1)
	s_xor_b32 s0, exec_lo, s7
; %bb.290:                              ;   in Loop: Header=BB201_31 Depth=1
	v_bfe_u32 v1, v0, 16, 1
	s_delay_alu instid0(VALU_DEP_1)
	v_add3_u32 v56, v0, v1, 0x7fff
                                        ; implicit-def: $vgpr0
; %bb.291:                              ;   in Loop: Header=BB201_31 Depth=1
	s_and_not1_saveexec_b32 s7, s0
; %bb.292:                              ;   in Loop: Header=BB201_31 Depth=1
	v_and_b32_e32 v1, 0xffff, v0
	v_or_b32_e32 v2, 0x10000, v0
	s_delay_alu instid0(VALU_DEP_2) | instskip(NEXT) | instid1(VALU_DEP_1)
	v_cmp_eq_u32_e64 s0, 0, v1
	v_cndmask_b32_e64 v56, v2, v0, s0
; %bb.293:                              ;   in Loop: Header=BB201_31 Depth=1
	s_or_b32 exec_lo, exec_lo, s7
	v_lshlrev_b32_e32 v0, 16, v3
                                        ; implicit-def: $vgpr57
	s_delay_alu instid0(VALU_DEP_1) | instskip(NEXT) | instid1(VALU_DEP_1)
	v_mul_f32_e32 v0, v129, v0
	v_and_b32_e32 v1, 0x7f800000, v0
	s_delay_alu instid0(VALU_DEP_1) | instskip(NEXT) | instid1(VALU_DEP_1)
	v_cmp_ne_u32_e64 s0, 0x7f800000, v1
	s_and_saveexec_b32 s7, s0
	s_delay_alu instid0(SALU_CYCLE_1)
	s_xor_b32 s0, exec_lo, s7
; %bb.294:                              ;   in Loop: Header=BB201_31 Depth=1
	v_bfe_u32 v1, v0, 16, 1
	s_delay_alu instid0(VALU_DEP_1)
	v_add3_u32 v57, v0, v1, 0x7fff
                                        ; implicit-def: $vgpr0
; %bb.295:                              ;   in Loop: Header=BB201_31 Depth=1
	s_and_not1_saveexec_b32 s7, s0
; %bb.296:                              ;   in Loop: Header=BB201_31 Depth=1
	v_and_b32_e32 v1, 0xffff, v0
	v_or_b32_e32 v2, 0x10000, v0
	s_delay_alu instid0(VALU_DEP_2) | instskip(NEXT) | instid1(VALU_DEP_1)
	v_cmp_eq_u32_e64 s0, 0, v1
	v_cndmask_b32_e64 v57, v2, v0, s0
; %bb.297:                              ;   in Loop: Header=BB201_31 Depth=1
	s_or_b32 exec_lo, exec_lo, s7
	v_lshlrev_b32_e32 v0, 16, v4
                                        ; implicit-def: $vgpr58
	s_delay_alu instid0(VALU_DEP_1) | instskip(NEXT) | instid1(VALU_DEP_1)
	v_mul_f32_e32 v0, v130, v0
	v_and_b32_e32 v1, 0x7f800000, v0
	s_delay_alu instid0(VALU_DEP_1) | instskip(NEXT) | instid1(VALU_DEP_1)
	v_cmp_ne_u32_e64 s0, 0x7f800000, v1
	s_and_saveexec_b32 s7, s0
	s_delay_alu instid0(SALU_CYCLE_1)
	s_xor_b32 s0, exec_lo, s7
; %bb.298:                              ;   in Loop: Header=BB201_31 Depth=1
	v_bfe_u32 v1, v0, 16, 1
	s_delay_alu instid0(VALU_DEP_1)
	v_add3_u32 v58, v0, v1, 0x7fff
                                        ; implicit-def: $vgpr0
; %bb.299:                              ;   in Loop: Header=BB201_31 Depth=1
	s_and_not1_saveexec_b32 s7, s0
; %bb.300:                              ;   in Loop: Header=BB201_31 Depth=1
	v_and_b32_e32 v1, 0xffff, v0
	v_or_b32_e32 v2, 0x10000, v0
	s_delay_alu instid0(VALU_DEP_2) | instskip(NEXT) | instid1(VALU_DEP_1)
	v_cmp_eq_u32_e64 s0, 0, v1
	v_cndmask_b32_e64 v58, v2, v0, s0
; %bb.301:                              ;   in Loop: Header=BB201_31 Depth=1
	s_or_b32 exec_lo, exec_lo, s7
	flat_load_b128 v[0:3], v[6:7] offset:3584
	s_waitcnt vmcnt(0) lgkmcnt(0)
	v_lshrrev_b32_e32 v7, 16, v0
	v_lshrrev_b32_e32 v12, 16, v1
	;; [unrolled: 1-line block ×4, first 2 shown]
	s_and_saveexec_b32 s7, vcc_lo
	s_cbranch_execz .LBB201_303
; %bb.302:                              ;   in Loop: Header=BB201_31 Depth=1
	v_cmp_lt_i32_e64 s0, v96, v82
	s_delay_alu instid0(VALU_DEP_1) | instskip(SKIP_1) | instid1(VALU_DEP_1)
	v_cndmask_b32_e64 v0, 0, v0, s0
	v_cmp_lt_i32_e64 s0, v103, v82
	v_cndmask_b32_e64 v7, 0, v7, s0
	v_cmp_lt_i32_e64 s0, v101, v82
	s_delay_alu instid0(VALU_DEP_1) | instskip(SKIP_1) | instid1(VALU_DEP_1)
	v_cndmask_b32_e64 v1, 0, v1, s0
	v_cmp_lt_i32_e64 s0, v100, v82
	v_cndmask_b32_e64 v12, 0, v12, s0
	;; [unrolled: 5-line block ×4, first 2 shown]
.LBB201_303:                            ;   in Loop: Header=BB201_31 Depth=1
	s_or_b32 exec_lo, exec_lo, s7
	v_lshlrev_b32_e32 v0, 16, v0
	s_delay_alu instid0(VALU_DEP_1) | instskip(NEXT) | instid1(VALU_DEP_1)
	v_mul_f32_e32 v0, v114, v0
	v_and_b32_e32 v6, 0x7f800000, v0
	s_delay_alu instid0(VALU_DEP_1) | instskip(NEXT) | instid1(VALU_DEP_1)
	v_cmp_ne_u32_e64 s0, 0x7f800000, v6
                                        ; implicit-def: $vgpr6
	s_and_saveexec_b32 s7, s0
	s_delay_alu instid0(SALU_CYCLE_1)
	s_xor_b32 s0, exec_lo, s7
; %bb.304:                              ;   in Loop: Header=BB201_31 Depth=1
	v_bfe_u32 v6, v0, 16, 1
	s_delay_alu instid0(VALU_DEP_1)
	v_add3_u32 v6, v0, v6, 0x7fff
                                        ; implicit-def: $vgpr0
; %bb.305:                              ;   in Loop: Header=BB201_31 Depth=1
	s_and_not1_saveexec_b32 s7, s0
; %bb.306:                              ;   in Loop: Header=BB201_31 Depth=1
	v_and_b32_e32 v6, 0xffff, v0
	v_or_b32_e32 v22, 0x10000, v0
	s_delay_alu instid0(VALU_DEP_2) | instskip(NEXT) | instid1(VALU_DEP_1)
	v_cmp_eq_u32_e64 s0, 0, v6
	v_cndmask_b32_e64 v6, v22, v0, s0
; %bb.307:                              ;   in Loop: Header=BB201_31 Depth=1
	s_or_b32 exec_lo, exec_lo, s7
	v_lshlrev_b32_e32 v0, 16, v7
	s_delay_alu instid0(VALU_DEP_1) | instskip(NEXT) | instid1(VALU_DEP_1)
	v_mul_f32_e32 v0, v115, v0
	v_and_b32_e32 v7, 0x7f800000, v0
	s_delay_alu instid0(VALU_DEP_1) | instskip(NEXT) | instid1(VALU_DEP_1)
	v_cmp_ne_u32_e64 s0, 0x7f800000, v7
                                        ; implicit-def: $vgpr7
	s_and_saveexec_b32 s7, s0
	s_delay_alu instid0(SALU_CYCLE_1)
	s_xor_b32 s0, exec_lo, s7
; %bb.308:                              ;   in Loop: Header=BB201_31 Depth=1
	v_bfe_u32 v7, v0, 16, 1
	s_delay_alu instid0(VALU_DEP_1)
	v_add3_u32 v7, v0, v7, 0x7fff
                                        ; implicit-def: $vgpr0
; %bb.309:                              ;   in Loop: Header=BB201_31 Depth=1
	s_and_not1_saveexec_b32 s7, s0
; %bb.310:                              ;   in Loop: Header=BB201_31 Depth=1
	v_and_b32_e32 v7, 0xffff, v0
	v_or_b32_e32 v22, 0x10000, v0
	s_delay_alu instid0(VALU_DEP_2) | instskip(NEXT) | instid1(VALU_DEP_1)
	v_cmp_eq_u32_e64 s0, 0, v7
	v_cndmask_b32_e64 v7, v22, v0, s0
; %bb.311:                              ;   in Loop: Header=BB201_31 Depth=1
	s_or_b32 exec_lo, exec_lo, s7
	v_lshlrev_b32_e32 v0, 16, v1
                                        ; implicit-def: $vgpr59
	s_delay_alu instid0(VALU_DEP_1) | instskip(NEXT) | instid1(VALU_DEP_1)
	v_mul_f32_e32 v0, v116, v0
	v_and_b32_e32 v1, 0x7f800000, v0
	s_delay_alu instid0(VALU_DEP_1) | instskip(NEXT) | instid1(VALU_DEP_1)
	v_cmp_ne_u32_e64 s0, 0x7f800000, v1
	s_and_saveexec_b32 s7, s0
	s_delay_alu instid0(SALU_CYCLE_1)
	s_xor_b32 s0, exec_lo, s7
; %bb.312:                              ;   in Loop: Header=BB201_31 Depth=1
	v_bfe_u32 v1, v0, 16, 1
	s_delay_alu instid0(VALU_DEP_1)
	v_add3_u32 v59, v0, v1, 0x7fff
                                        ; implicit-def: $vgpr0
; %bb.313:                              ;   in Loop: Header=BB201_31 Depth=1
	s_and_not1_saveexec_b32 s7, s0
; %bb.314:                              ;   in Loop: Header=BB201_31 Depth=1
	v_and_b32_e32 v1, 0xffff, v0
	v_or_b32_e32 v22, 0x10000, v0
	s_delay_alu instid0(VALU_DEP_2) | instskip(NEXT) | instid1(VALU_DEP_1)
	v_cmp_eq_u32_e64 s0, 0, v1
	v_cndmask_b32_e64 v59, v22, v0, s0
; %bb.315:                              ;   in Loop: Header=BB201_31 Depth=1
	s_or_b32 exec_lo, exec_lo, s7
	v_lshlrev_b32_e32 v0, 16, v12
                                        ; implicit-def: $vgpr60
	s_delay_alu instid0(VALU_DEP_1) | instskip(NEXT) | instid1(VALU_DEP_1)
	v_mul_f32_e32 v0, v117, v0
	v_and_b32_e32 v1, 0x7f800000, v0
	s_delay_alu instid0(VALU_DEP_1) | instskip(NEXT) | instid1(VALU_DEP_1)
	v_cmp_ne_u32_e64 s0, 0x7f800000, v1
	s_and_saveexec_b32 s7, s0
	s_delay_alu instid0(SALU_CYCLE_1)
	s_xor_b32 s0, exec_lo, s7
; %bb.316:                              ;   in Loop: Header=BB201_31 Depth=1
	v_bfe_u32 v1, v0, 16, 1
	s_delay_alu instid0(VALU_DEP_1)
	v_add3_u32 v60, v0, v1, 0x7fff
                                        ; implicit-def: $vgpr0
; %bb.317:                              ;   in Loop: Header=BB201_31 Depth=1
	s_and_not1_saveexec_b32 s7, s0
; %bb.318:                              ;   in Loop: Header=BB201_31 Depth=1
	v_and_b32_e32 v1, 0xffff, v0
	v_or_b32_e32 v12, 0x10000, v0
	s_delay_alu instid0(VALU_DEP_2) | instskip(NEXT) | instid1(VALU_DEP_1)
	v_cmp_eq_u32_e64 s0, 0, v1
	v_cndmask_b32_e64 v60, v12, v0, s0
; %bb.319:                              ;   in Loop: Header=BB201_31 Depth=1
	s_or_b32 exec_lo, exec_lo, s7
	v_lshlrev_b32_e32 v0, 16, v2
                                        ; implicit-def: $vgpr61
	s_delay_alu instid0(VALU_DEP_1) | instskip(NEXT) | instid1(VALU_DEP_1)
	v_mul_f32_e32 v0, v119, v0
	v_and_b32_e32 v1, 0x7f800000, v0
	s_delay_alu instid0(VALU_DEP_1) | instskip(NEXT) | instid1(VALU_DEP_1)
	v_cmp_ne_u32_e64 s0, 0x7f800000, v1
	s_and_saveexec_b32 s7, s0
	s_delay_alu instid0(SALU_CYCLE_1)
	s_xor_b32 s0, exec_lo, s7
; %bb.320:                              ;   in Loop: Header=BB201_31 Depth=1
	v_bfe_u32 v1, v0, 16, 1
	s_delay_alu instid0(VALU_DEP_1)
	v_add3_u32 v61, v0, v1, 0x7fff
                                        ; implicit-def: $vgpr0
; %bb.321:                              ;   in Loop: Header=BB201_31 Depth=1
	s_and_not1_saveexec_b32 s7, s0
; %bb.322:                              ;   in Loop: Header=BB201_31 Depth=1
	v_and_b32_e32 v1, 0xffff, v0
	v_or_b32_e32 v2, 0x10000, v0
	s_delay_alu instid0(VALU_DEP_2) | instskip(NEXT) | instid1(VALU_DEP_1)
	v_cmp_eq_u32_e64 s0, 0, v1
	v_cndmask_b32_e64 v61, v2, v0, s0
; %bb.323:                              ;   in Loop: Header=BB201_31 Depth=1
	s_or_b32 exec_lo, exec_lo, s7
	v_lshlrev_b32_e32 v0, 16, v5
                                        ; implicit-def: $vgpr62
	s_delay_alu instid0(VALU_DEP_1) | instskip(NEXT) | instid1(VALU_DEP_1)
	v_mul_f32_e32 v0, v128, v0
	v_and_b32_e32 v1, 0x7f800000, v0
	s_delay_alu instid0(VALU_DEP_1) | instskip(NEXT) | instid1(VALU_DEP_1)
	v_cmp_ne_u32_e64 s0, 0x7f800000, v1
	s_and_saveexec_b32 s7, s0
	s_delay_alu instid0(SALU_CYCLE_1)
	s_xor_b32 s0, exec_lo, s7
; %bb.324:                              ;   in Loop: Header=BB201_31 Depth=1
	v_bfe_u32 v1, v0, 16, 1
	s_delay_alu instid0(VALU_DEP_1)
	v_add3_u32 v62, v0, v1, 0x7fff
                                        ; implicit-def: $vgpr0
; %bb.325:                              ;   in Loop: Header=BB201_31 Depth=1
	s_and_not1_saveexec_b32 s7, s0
; %bb.326:                              ;   in Loop: Header=BB201_31 Depth=1
	v_and_b32_e32 v1, 0xffff, v0
	v_or_b32_e32 v2, 0x10000, v0
	s_delay_alu instid0(VALU_DEP_2) | instskip(NEXT) | instid1(VALU_DEP_1)
	v_cmp_eq_u32_e64 s0, 0, v1
	v_cndmask_b32_e64 v62, v2, v0, s0
; %bb.327:                              ;   in Loop: Header=BB201_31 Depth=1
	s_or_b32 exec_lo, exec_lo, s7
	v_lshlrev_b32_e32 v0, 16, v3
                                        ; implicit-def: $vgpr63
	s_delay_alu instid0(VALU_DEP_1) | instskip(NEXT) | instid1(VALU_DEP_1)
	v_mul_f32_e32 v0, v129, v0
	v_and_b32_e32 v1, 0x7f800000, v0
	s_delay_alu instid0(VALU_DEP_1) | instskip(NEXT) | instid1(VALU_DEP_1)
	v_cmp_ne_u32_e64 s0, 0x7f800000, v1
	s_and_saveexec_b32 s7, s0
	s_delay_alu instid0(SALU_CYCLE_1)
	s_xor_b32 s0, exec_lo, s7
; %bb.328:                              ;   in Loop: Header=BB201_31 Depth=1
	v_bfe_u32 v1, v0, 16, 1
	s_delay_alu instid0(VALU_DEP_1)
	v_add3_u32 v63, v0, v1, 0x7fff
                                        ; implicit-def: $vgpr0
; %bb.329:                              ;   in Loop: Header=BB201_31 Depth=1
	s_and_not1_saveexec_b32 s7, s0
; %bb.330:                              ;   in Loop: Header=BB201_31 Depth=1
	v_and_b32_e32 v1, 0xffff, v0
	v_or_b32_e32 v2, 0x10000, v0
	s_delay_alu instid0(VALU_DEP_2) | instskip(NEXT) | instid1(VALU_DEP_1)
	v_cmp_eq_u32_e64 s0, 0, v1
	v_cndmask_b32_e64 v63, v2, v0, s0
; %bb.331:                              ;   in Loop: Header=BB201_31 Depth=1
	s_or_b32 exec_lo, exec_lo, s7
	v_lshlrev_b32_e32 v0, 16, v4
                                        ; implicit-def: $vgpr72
	s_delay_alu instid0(VALU_DEP_1) | instskip(NEXT) | instid1(VALU_DEP_1)
	v_mul_f32_e32 v0, v130, v0
	v_and_b32_e32 v1, 0x7f800000, v0
	s_delay_alu instid0(VALU_DEP_1) | instskip(NEXT) | instid1(VALU_DEP_1)
	v_cmp_ne_u32_e64 s0, 0x7f800000, v1
	s_and_saveexec_b32 s7, s0
	s_delay_alu instid0(SALU_CYCLE_1)
	s_xor_b32 s0, exec_lo, s7
; %bb.332:                              ;   in Loop: Header=BB201_31 Depth=1
	v_bfe_u32 v1, v0, 16, 1
	s_delay_alu instid0(VALU_DEP_1)
	v_add3_u32 v72, v0, v1, 0x7fff
                                        ; implicit-def: $vgpr0
; %bb.333:                              ;   in Loop: Header=BB201_31 Depth=1
	s_and_not1_saveexec_b32 s7, s0
; %bb.334:                              ;   in Loop: Header=BB201_31 Depth=1
	v_and_b32_e32 v1, 0xffff, v0
	v_or_b32_e32 v2, 0x10000, v0
	s_delay_alu instid0(VALU_DEP_2) | instskip(NEXT) | instid1(VALU_DEP_1)
	v_cmp_eq_u32_e64 s0, 0, v1
	v_cndmask_b32_e64 v72, v2, v0, s0
; %bb.335:                              ;   in Loop: Header=BB201_31 Depth=1
	s_or_b32 exec_lo, exec_lo, s7
	v_add_co_u32 v0, s0, v112, v49
	s_delay_alu instid0(VALU_DEP_1)
	v_add_co_ci_u32_e64 v1, s0, 0, v113, s0
	flat_load_b128 v[0:3], v[0:1]
	s_waitcnt vmcnt(0) lgkmcnt(0)
	v_lshrrev_b32_e32 v22, 16, v0
	v_lshrrev_b32_e32 v12, 16, v1
	;; [unrolled: 1-line block ×4, first 2 shown]
	s_and_saveexec_b32 s7, vcc_lo
	s_cbranch_execz .LBB201_337
; %bb.336:                              ;   in Loop: Header=BB201_31 Depth=1
	v_cmp_lt_i32_e64 s0, v96, v82
	s_delay_alu instid0(VALU_DEP_1) | instskip(SKIP_1) | instid1(VALU_DEP_1)
	v_cndmask_b32_e64 v0, 0, v0, s0
	v_cmp_lt_i32_e64 s0, v103, v82
	v_cndmask_b32_e64 v22, 0, v22, s0
	v_cmp_lt_i32_e64 s0, v101, v82
	s_delay_alu instid0(VALU_DEP_1) | instskip(SKIP_1) | instid1(VALU_DEP_1)
	v_cndmask_b32_e64 v1, 0, v1, s0
	v_cmp_lt_i32_e64 s0, v100, v82
	v_cndmask_b32_e64 v12, 0, v12, s0
	;; [unrolled: 5-line block ×4, first 2 shown]
.LBB201_337:                            ;   in Loop: Header=BB201_31 Depth=1
	s_or_b32 exec_lo, exec_lo, s7
	v_lshlrev_b32_e32 v0, 16, v0
                                        ; implicit-def: $vgpr73
	s_delay_alu instid0(VALU_DEP_1) | instskip(NEXT) | instid1(VALU_DEP_1)
	v_mul_f32_e32 v0, v114, v0
	v_and_b32_e32 v39, 0x7f800000, v0
	s_delay_alu instid0(VALU_DEP_1) | instskip(NEXT) | instid1(VALU_DEP_1)
	v_cmp_ne_u32_e64 s0, 0x7f800000, v39
	s_and_saveexec_b32 s7, s0
	s_delay_alu instid0(SALU_CYCLE_1)
	s_xor_b32 s0, exec_lo, s7
; %bb.338:                              ;   in Loop: Header=BB201_31 Depth=1
	v_bfe_u32 v39, v0, 16, 1
	s_delay_alu instid0(VALU_DEP_1)
	v_add3_u32 v73, v0, v39, 0x7fff
                                        ; implicit-def: $vgpr0
; %bb.339:                              ;   in Loop: Header=BB201_31 Depth=1
	s_and_not1_saveexec_b32 s7, s0
; %bb.340:                              ;   in Loop: Header=BB201_31 Depth=1
	v_and_b32_e32 v39, 0xffff, v0
	v_or_b32_e32 v83, 0x10000, v0
	s_delay_alu instid0(VALU_DEP_2) | instskip(NEXT) | instid1(VALU_DEP_1)
	v_cmp_eq_u32_e64 s0, 0, v39
	v_cndmask_b32_e64 v73, v83, v0, s0
; %bb.341:                              ;   in Loop: Header=BB201_31 Depth=1
	s_or_b32 exec_lo, exec_lo, s7
	v_lshlrev_b32_e32 v0, 16, v22
                                        ; implicit-def: $vgpr74
	s_delay_alu instid0(VALU_DEP_1) | instskip(NEXT) | instid1(VALU_DEP_1)
	v_mul_f32_e32 v0, v115, v0
	v_and_b32_e32 v22, 0x7f800000, v0
	s_delay_alu instid0(VALU_DEP_1) | instskip(NEXT) | instid1(VALU_DEP_1)
	v_cmp_ne_u32_e64 s0, 0x7f800000, v22
	s_and_saveexec_b32 s7, s0
	s_delay_alu instid0(SALU_CYCLE_1)
	s_xor_b32 s0, exec_lo, s7
; %bb.342:                              ;   in Loop: Header=BB201_31 Depth=1
	v_bfe_u32 v22, v0, 16, 1
	s_delay_alu instid0(VALU_DEP_1)
	v_add3_u32 v74, v0, v22, 0x7fff
                                        ; implicit-def: $vgpr0
; %bb.343:                              ;   in Loop: Header=BB201_31 Depth=1
	s_and_not1_saveexec_b32 s7, s0
; %bb.344:                              ;   in Loop: Header=BB201_31 Depth=1
	v_and_b32_e32 v22, 0xffff, v0
	v_or_b32_e32 v39, 0x10000, v0
	s_delay_alu instid0(VALU_DEP_2) | instskip(NEXT) | instid1(VALU_DEP_1)
	v_cmp_eq_u32_e64 s0, 0, v22
	v_cndmask_b32_e64 v74, v39, v0, s0
; %bb.345:                              ;   in Loop: Header=BB201_31 Depth=1
	s_or_b32 exec_lo, exec_lo, s7
	v_lshlrev_b32_e32 v0, 16, v1
                                        ; implicit-def: $vgpr75
	s_delay_alu instid0(VALU_DEP_1) | instskip(NEXT) | instid1(VALU_DEP_1)
	v_mul_f32_e32 v0, v116, v0
	v_and_b32_e32 v1, 0x7f800000, v0
	s_delay_alu instid0(VALU_DEP_1) | instskip(NEXT) | instid1(VALU_DEP_1)
	v_cmp_ne_u32_e64 s0, 0x7f800000, v1
	s_and_saveexec_b32 s7, s0
	s_delay_alu instid0(SALU_CYCLE_1)
	s_xor_b32 s0, exec_lo, s7
; %bb.346:                              ;   in Loop: Header=BB201_31 Depth=1
	v_bfe_u32 v1, v0, 16, 1
	s_delay_alu instid0(VALU_DEP_1)
	v_add3_u32 v75, v0, v1, 0x7fff
                                        ; implicit-def: $vgpr0
; %bb.347:                              ;   in Loop: Header=BB201_31 Depth=1
	s_and_not1_saveexec_b32 s7, s0
; %bb.348:                              ;   in Loop: Header=BB201_31 Depth=1
	v_and_b32_e32 v1, 0xffff, v0
	v_or_b32_e32 v22, 0x10000, v0
	s_delay_alu instid0(VALU_DEP_2) | instskip(NEXT) | instid1(VALU_DEP_1)
	v_cmp_eq_u32_e64 s0, 0, v1
	v_cndmask_b32_e64 v75, v22, v0, s0
; %bb.349:                              ;   in Loop: Header=BB201_31 Depth=1
	s_or_b32 exec_lo, exec_lo, s7
	v_lshlrev_b32_e32 v0, 16, v12
                                        ; implicit-def: $vgpr76
	s_delay_alu instid0(VALU_DEP_1) | instskip(NEXT) | instid1(VALU_DEP_1)
	v_mul_f32_e32 v0, v117, v0
	v_and_b32_e32 v1, 0x7f800000, v0
	s_delay_alu instid0(VALU_DEP_1) | instskip(NEXT) | instid1(VALU_DEP_1)
	v_cmp_ne_u32_e64 s0, 0x7f800000, v1
	s_and_saveexec_b32 s7, s0
	s_delay_alu instid0(SALU_CYCLE_1)
	s_xor_b32 s0, exec_lo, s7
; %bb.350:                              ;   in Loop: Header=BB201_31 Depth=1
	v_bfe_u32 v1, v0, 16, 1
	s_delay_alu instid0(VALU_DEP_1)
	v_add3_u32 v76, v0, v1, 0x7fff
                                        ; implicit-def: $vgpr0
; %bb.351:                              ;   in Loop: Header=BB201_31 Depth=1
	s_and_not1_saveexec_b32 s7, s0
; %bb.352:                              ;   in Loop: Header=BB201_31 Depth=1
	v_and_b32_e32 v1, 0xffff, v0
	v_or_b32_e32 v12, 0x10000, v0
	s_delay_alu instid0(VALU_DEP_2) | instskip(NEXT) | instid1(VALU_DEP_1)
	v_cmp_eq_u32_e64 s0, 0, v1
	v_cndmask_b32_e64 v76, v12, v0, s0
; %bb.353:                              ;   in Loop: Header=BB201_31 Depth=1
	s_or_b32 exec_lo, exec_lo, s7
	v_lshlrev_b32_e32 v0, 16, v2
                                        ; implicit-def: $vgpr77
	s_delay_alu instid0(VALU_DEP_1) | instskip(NEXT) | instid1(VALU_DEP_1)
	v_mul_f32_e32 v0, v119, v0
	v_and_b32_e32 v1, 0x7f800000, v0
	s_delay_alu instid0(VALU_DEP_1) | instskip(NEXT) | instid1(VALU_DEP_1)
	v_cmp_ne_u32_e64 s0, 0x7f800000, v1
	s_and_saveexec_b32 s7, s0
	s_delay_alu instid0(SALU_CYCLE_1)
	s_xor_b32 s0, exec_lo, s7
; %bb.354:                              ;   in Loop: Header=BB201_31 Depth=1
	v_bfe_u32 v1, v0, 16, 1
	s_delay_alu instid0(VALU_DEP_1)
	v_add3_u32 v77, v0, v1, 0x7fff
                                        ; implicit-def: $vgpr0
; %bb.355:                              ;   in Loop: Header=BB201_31 Depth=1
	s_and_not1_saveexec_b32 s7, s0
; %bb.356:                              ;   in Loop: Header=BB201_31 Depth=1
	v_and_b32_e32 v1, 0xffff, v0
	v_or_b32_e32 v2, 0x10000, v0
	s_delay_alu instid0(VALU_DEP_2) | instskip(NEXT) | instid1(VALU_DEP_1)
	v_cmp_eq_u32_e64 s0, 0, v1
	v_cndmask_b32_e64 v77, v2, v0, s0
; %bb.357:                              ;   in Loop: Header=BB201_31 Depth=1
	s_or_b32 exec_lo, exec_lo, s7
	v_lshlrev_b32_e32 v0, 16, v5
                                        ; implicit-def: $vgpr78
	s_delay_alu instid0(VALU_DEP_1) | instskip(NEXT) | instid1(VALU_DEP_1)
	v_mul_f32_e32 v0, v128, v0
	v_and_b32_e32 v1, 0x7f800000, v0
	s_delay_alu instid0(VALU_DEP_1) | instskip(NEXT) | instid1(VALU_DEP_1)
	v_cmp_ne_u32_e64 s0, 0x7f800000, v1
	s_and_saveexec_b32 s7, s0
	s_delay_alu instid0(SALU_CYCLE_1)
	s_xor_b32 s0, exec_lo, s7
; %bb.358:                              ;   in Loop: Header=BB201_31 Depth=1
	v_bfe_u32 v1, v0, 16, 1
	s_delay_alu instid0(VALU_DEP_1)
	v_add3_u32 v78, v0, v1, 0x7fff
                                        ; implicit-def: $vgpr0
; %bb.359:                              ;   in Loop: Header=BB201_31 Depth=1
	s_and_not1_saveexec_b32 s7, s0
; %bb.360:                              ;   in Loop: Header=BB201_31 Depth=1
	v_and_b32_e32 v1, 0xffff, v0
	v_or_b32_e32 v2, 0x10000, v0
	s_delay_alu instid0(VALU_DEP_2) | instskip(NEXT) | instid1(VALU_DEP_1)
	v_cmp_eq_u32_e64 s0, 0, v1
	v_cndmask_b32_e64 v78, v2, v0, s0
; %bb.361:                              ;   in Loop: Header=BB201_31 Depth=1
	s_or_b32 exec_lo, exec_lo, s7
	v_lshlrev_b32_e32 v0, 16, v3
                                        ; implicit-def: $vgpr79
	s_delay_alu instid0(VALU_DEP_1) | instskip(NEXT) | instid1(VALU_DEP_1)
	v_mul_f32_e32 v0, v129, v0
	v_and_b32_e32 v1, 0x7f800000, v0
	s_delay_alu instid0(VALU_DEP_1) | instskip(NEXT) | instid1(VALU_DEP_1)
	v_cmp_ne_u32_e64 s0, 0x7f800000, v1
	s_and_saveexec_b32 s7, s0
	s_delay_alu instid0(SALU_CYCLE_1)
	s_xor_b32 s0, exec_lo, s7
; %bb.362:                              ;   in Loop: Header=BB201_31 Depth=1
	v_bfe_u32 v1, v0, 16, 1
	s_delay_alu instid0(VALU_DEP_1)
	v_add3_u32 v79, v0, v1, 0x7fff
                                        ; implicit-def: $vgpr0
; %bb.363:                              ;   in Loop: Header=BB201_31 Depth=1
	s_and_not1_saveexec_b32 s7, s0
; %bb.364:                              ;   in Loop: Header=BB201_31 Depth=1
	v_and_b32_e32 v1, 0xffff, v0
	v_or_b32_e32 v2, 0x10000, v0
	s_delay_alu instid0(VALU_DEP_2) | instskip(NEXT) | instid1(VALU_DEP_1)
	v_cmp_eq_u32_e64 s0, 0, v1
	v_cndmask_b32_e64 v79, v2, v0, s0
; %bb.365:                              ;   in Loop: Header=BB201_31 Depth=1
	s_or_b32 exec_lo, exec_lo, s7
	v_lshlrev_b32_e32 v0, 16, v4
                                        ; implicit-def: $vgpr88
	s_delay_alu instid0(VALU_DEP_1) | instskip(NEXT) | instid1(VALU_DEP_1)
	v_mul_f32_e32 v0, v130, v0
	v_and_b32_e32 v1, 0x7f800000, v0
	s_delay_alu instid0(VALU_DEP_1) | instskip(NEXT) | instid1(VALU_DEP_1)
	v_cmp_ne_u32_e64 s0, 0x7f800000, v1
	s_and_saveexec_b32 s7, s0
	s_delay_alu instid0(SALU_CYCLE_1)
	s_xor_b32 s0, exec_lo, s7
; %bb.366:                              ;   in Loop: Header=BB201_31 Depth=1
	v_bfe_u32 v1, v0, 16, 1
	s_delay_alu instid0(VALU_DEP_1)
	v_add3_u32 v88, v0, v1, 0x7fff
                                        ; implicit-def: $vgpr0
; %bb.367:                              ;   in Loop: Header=BB201_31 Depth=1
	s_and_not1_saveexec_b32 s7, s0
; %bb.368:                              ;   in Loop: Header=BB201_31 Depth=1
	v_and_b32_e32 v1, 0xffff, v0
	v_or_b32_e32 v2, 0x10000, v0
	s_delay_alu instid0(VALU_DEP_2) | instskip(NEXT) | instid1(VALU_DEP_1)
	v_cmp_eq_u32_e64 s0, 0, v1
	v_cndmask_b32_e64 v88, v2, v0, s0
; %bb.369:                              ;   in Loop: Header=BB201_31 Depth=1
	s_or_b32 exec_lo, exec_lo, s7
	v_add_co_u32 v0, s0, v112, v50
	s_delay_alu instid0(VALU_DEP_1)
	v_add_co_ci_u32_e64 v1, s0, 0, v113, s0
	flat_load_b128 v[0:3], v[0:1]
	s_waitcnt vmcnt(0) lgkmcnt(0)
	v_lshrrev_b32_e32 v22, 16, v0
	v_lshrrev_b32_e32 v12, 16, v1
	;; [unrolled: 1-line block ×4, first 2 shown]
	s_and_saveexec_b32 s7, vcc_lo
	s_cbranch_execz .LBB201_371
; %bb.370:                              ;   in Loop: Header=BB201_31 Depth=1
	v_cmp_lt_i32_e64 s0, v96, v82
	s_delay_alu instid0(VALU_DEP_1) | instskip(SKIP_1) | instid1(VALU_DEP_1)
	v_cndmask_b32_e64 v0, 0, v0, s0
	v_cmp_lt_i32_e64 s0, v103, v82
	v_cndmask_b32_e64 v22, 0, v22, s0
	v_cmp_lt_i32_e64 s0, v101, v82
	s_delay_alu instid0(VALU_DEP_1) | instskip(SKIP_1) | instid1(VALU_DEP_1)
	v_cndmask_b32_e64 v1, 0, v1, s0
	v_cmp_lt_i32_e64 s0, v100, v82
	v_cndmask_b32_e64 v12, 0, v12, s0
	;; [unrolled: 5-line block ×4, first 2 shown]
.LBB201_371:                            ;   in Loop: Header=BB201_31 Depth=1
	s_or_b32 exec_lo, exec_lo, s7
	v_lshlrev_b32_e32 v0, 16, v0
                                        ; implicit-def: $vgpr89
	s_delay_alu instid0(VALU_DEP_1) | instskip(NEXT) | instid1(VALU_DEP_1)
	v_mul_f32_e32 v0, v114, v0
	v_and_b32_e32 v39, 0x7f800000, v0
	s_delay_alu instid0(VALU_DEP_1) | instskip(NEXT) | instid1(VALU_DEP_1)
	v_cmp_ne_u32_e64 s0, 0x7f800000, v39
	s_and_saveexec_b32 s7, s0
	s_delay_alu instid0(SALU_CYCLE_1)
	s_xor_b32 s0, exec_lo, s7
; %bb.372:                              ;   in Loop: Header=BB201_31 Depth=1
	v_bfe_u32 v39, v0, 16, 1
	s_delay_alu instid0(VALU_DEP_1)
	v_add3_u32 v89, v0, v39, 0x7fff
                                        ; implicit-def: $vgpr0
; %bb.373:                              ;   in Loop: Header=BB201_31 Depth=1
	s_and_not1_saveexec_b32 s7, s0
; %bb.374:                              ;   in Loop: Header=BB201_31 Depth=1
	v_and_b32_e32 v39, 0xffff, v0
	v_or_b32_e32 v83, 0x10000, v0
	s_delay_alu instid0(VALU_DEP_2) | instskip(NEXT) | instid1(VALU_DEP_1)
	v_cmp_eq_u32_e64 s0, 0, v39
	v_cndmask_b32_e64 v89, v83, v0, s0
; %bb.375:                              ;   in Loop: Header=BB201_31 Depth=1
	s_or_b32 exec_lo, exec_lo, s7
	v_lshlrev_b32_e32 v0, 16, v22
                                        ; implicit-def: $vgpr90
	s_delay_alu instid0(VALU_DEP_1) | instskip(NEXT) | instid1(VALU_DEP_1)
	v_mul_f32_e32 v0, v115, v0
	v_and_b32_e32 v22, 0x7f800000, v0
	s_delay_alu instid0(VALU_DEP_1) | instskip(NEXT) | instid1(VALU_DEP_1)
	v_cmp_ne_u32_e64 s0, 0x7f800000, v22
	s_and_saveexec_b32 s7, s0
	s_delay_alu instid0(SALU_CYCLE_1)
	s_xor_b32 s0, exec_lo, s7
; %bb.376:                              ;   in Loop: Header=BB201_31 Depth=1
	v_bfe_u32 v22, v0, 16, 1
	s_delay_alu instid0(VALU_DEP_1)
	v_add3_u32 v90, v0, v22, 0x7fff
                                        ; implicit-def: $vgpr0
; %bb.377:                              ;   in Loop: Header=BB201_31 Depth=1
	s_and_not1_saveexec_b32 s7, s0
; %bb.378:                              ;   in Loop: Header=BB201_31 Depth=1
	v_and_b32_e32 v22, 0xffff, v0
	v_or_b32_e32 v39, 0x10000, v0
	s_delay_alu instid0(VALU_DEP_2) | instskip(NEXT) | instid1(VALU_DEP_1)
	v_cmp_eq_u32_e64 s0, 0, v22
	v_cndmask_b32_e64 v90, v39, v0, s0
; %bb.379:                              ;   in Loop: Header=BB201_31 Depth=1
	s_or_b32 exec_lo, exec_lo, s7
	v_lshlrev_b32_e32 v0, 16, v1
                                        ; implicit-def: $vgpr91
	s_delay_alu instid0(VALU_DEP_1) | instskip(NEXT) | instid1(VALU_DEP_1)
	v_mul_f32_e32 v0, v116, v0
	v_and_b32_e32 v1, 0x7f800000, v0
	s_delay_alu instid0(VALU_DEP_1) | instskip(NEXT) | instid1(VALU_DEP_1)
	v_cmp_ne_u32_e64 s0, 0x7f800000, v1
	s_and_saveexec_b32 s7, s0
	s_delay_alu instid0(SALU_CYCLE_1)
	s_xor_b32 s0, exec_lo, s7
; %bb.380:                              ;   in Loop: Header=BB201_31 Depth=1
	v_bfe_u32 v1, v0, 16, 1
	s_delay_alu instid0(VALU_DEP_1)
	v_add3_u32 v91, v0, v1, 0x7fff
                                        ; implicit-def: $vgpr0
; %bb.381:                              ;   in Loop: Header=BB201_31 Depth=1
	s_and_not1_saveexec_b32 s7, s0
; %bb.382:                              ;   in Loop: Header=BB201_31 Depth=1
	v_and_b32_e32 v1, 0xffff, v0
	v_or_b32_e32 v22, 0x10000, v0
	s_delay_alu instid0(VALU_DEP_2) | instskip(NEXT) | instid1(VALU_DEP_1)
	v_cmp_eq_u32_e64 s0, 0, v1
	v_cndmask_b32_e64 v91, v22, v0, s0
; %bb.383:                              ;   in Loop: Header=BB201_31 Depth=1
	s_or_b32 exec_lo, exec_lo, s7
	v_lshlrev_b32_e32 v0, 16, v12
                                        ; implicit-def: $vgpr92
	s_delay_alu instid0(VALU_DEP_1) | instskip(NEXT) | instid1(VALU_DEP_1)
	v_mul_f32_e32 v0, v117, v0
	v_and_b32_e32 v1, 0x7f800000, v0
	s_delay_alu instid0(VALU_DEP_1) | instskip(NEXT) | instid1(VALU_DEP_1)
	v_cmp_ne_u32_e64 s0, 0x7f800000, v1
	s_and_saveexec_b32 s7, s0
	s_delay_alu instid0(SALU_CYCLE_1)
	s_xor_b32 s0, exec_lo, s7
; %bb.384:                              ;   in Loop: Header=BB201_31 Depth=1
	v_bfe_u32 v1, v0, 16, 1
	s_delay_alu instid0(VALU_DEP_1)
	v_add3_u32 v92, v0, v1, 0x7fff
                                        ; implicit-def: $vgpr0
; %bb.385:                              ;   in Loop: Header=BB201_31 Depth=1
	s_and_not1_saveexec_b32 s7, s0
; %bb.386:                              ;   in Loop: Header=BB201_31 Depth=1
	v_and_b32_e32 v1, 0xffff, v0
	v_or_b32_e32 v12, 0x10000, v0
	s_delay_alu instid0(VALU_DEP_2) | instskip(NEXT) | instid1(VALU_DEP_1)
	v_cmp_eq_u32_e64 s0, 0, v1
	v_cndmask_b32_e64 v92, v12, v0, s0
; %bb.387:                              ;   in Loop: Header=BB201_31 Depth=1
	s_or_b32 exec_lo, exec_lo, s7
	v_lshlrev_b32_e32 v0, 16, v2
                                        ; implicit-def: $vgpr93
	s_delay_alu instid0(VALU_DEP_1) | instskip(NEXT) | instid1(VALU_DEP_1)
	v_mul_f32_e32 v0, v119, v0
	v_and_b32_e32 v1, 0x7f800000, v0
	s_delay_alu instid0(VALU_DEP_1) | instskip(NEXT) | instid1(VALU_DEP_1)
	v_cmp_ne_u32_e64 s0, 0x7f800000, v1
	s_and_saveexec_b32 s7, s0
	s_delay_alu instid0(SALU_CYCLE_1)
	s_xor_b32 s0, exec_lo, s7
; %bb.388:                              ;   in Loop: Header=BB201_31 Depth=1
	v_bfe_u32 v1, v0, 16, 1
	s_delay_alu instid0(VALU_DEP_1)
	v_add3_u32 v93, v0, v1, 0x7fff
                                        ; implicit-def: $vgpr0
; %bb.389:                              ;   in Loop: Header=BB201_31 Depth=1
	s_and_not1_saveexec_b32 s7, s0
; %bb.390:                              ;   in Loop: Header=BB201_31 Depth=1
	v_and_b32_e32 v1, 0xffff, v0
	v_or_b32_e32 v2, 0x10000, v0
	s_delay_alu instid0(VALU_DEP_2) | instskip(NEXT) | instid1(VALU_DEP_1)
	v_cmp_eq_u32_e64 s0, 0, v1
	v_cndmask_b32_e64 v93, v2, v0, s0
; %bb.391:                              ;   in Loop: Header=BB201_31 Depth=1
	s_or_b32 exec_lo, exec_lo, s7
	v_lshlrev_b32_e32 v0, 16, v5
                                        ; implicit-def: $vgpr94
	s_delay_alu instid0(VALU_DEP_1) | instskip(NEXT) | instid1(VALU_DEP_1)
	v_mul_f32_e32 v0, v128, v0
	v_and_b32_e32 v1, 0x7f800000, v0
	s_delay_alu instid0(VALU_DEP_1) | instskip(NEXT) | instid1(VALU_DEP_1)
	v_cmp_ne_u32_e64 s0, 0x7f800000, v1
	s_and_saveexec_b32 s7, s0
	s_delay_alu instid0(SALU_CYCLE_1)
	s_xor_b32 s0, exec_lo, s7
; %bb.392:                              ;   in Loop: Header=BB201_31 Depth=1
	v_bfe_u32 v1, v0, 16, 1
	s_delay_alu instid0(VALU_DEP_1)
	v_add3_u32 v94, v0, v1, 0x7fff
                                        ; implicit-def: $vgpr0
; %bb.393:                              ;   in Loop: Header=BB201_31 Depth=1
	s_and_not1_saveexec_b32 s7, s0
; %bb.394:                              ;   in Loop: Header=BB201_31 Depth=1
	v_and_b32_e32 v1, 0xffff, v0
	v_or_b32_e32 v2, 0x10000, v0
	s_delay_alu instid0(VALU_DEP_2) | instskip(NEXT) | instid1(VALU_DEP_1)
	v_cmp_eq_u32_e64 s0, 0, v1
	v_cndmask_b32_e64 v94, v2, v0, s0
; %bb.395:                              ;   in Loop: Header=BB201_31 Depth=1
	s_or_b32 exec_lo, exec_lo, s7
	v_lshlrev_b32_e32 v0, 16, v3
                                        ; implicit-def: $vgpr95
	s_delay_alu instid0(VALU_DEP_1) | instskip(NEXT) | instid1(VALU_DEP_1)
	v_mul_f32_e32 v0, v129, v0
	v_and_b32_e32 v1, 0x7f800000, v0
	s_delay_alu instid0(VALU_DEP_1) | instskip(NEXT) | instid1(VALU_DEP_1)
	v_cmp_ne_u32_e64 s0, 0x7f800000, v1
	s_and_saveexec_b32 s7, s0
	s_delay_alu instid0(SALU_CYCLE_1)
	s_xor_b32 s0, exec_lo, s7
; %bb.396:                              ;   in Loop: Header=BB201_31 Depth=1
	v_bfe_u32 v1, v0, 16, 1
	s_delay_alu instid0(VALU_DEP_1)
	v_add3_u32 v95, v0, v1, 0x7fff
                                        ; implicit-def: $vgpr0
; %bb.397:                              ;   in Loop: Header=BB201_31 Depth=1
	s_and_not1_saveexec_b32 s7, s0
; %bb.398:                              ;   in Loop: Header=BB201_31 Depth=1
	v_and_b32_e32 v1, 0xffff, v0
	v_or_b32_e32 v2, 0x10000, v0
	s_delay_alu instid0(VALU_DEP_2) | instskip(NEXT) | instid1(VALU_DEP_1)
	v_cmp_eq_u32_e64 s0, 0, v1
	v_cndmask_b32_e64 v95, v2, v0, s0
; %bb.399:                              ;   in Loop: Header=BB201_31 Depth=1
	s_or_b32 exec_lo, exec_lo, s7
	v_lshlrev_b32_e32 v0, 16, v4
                                        ; implicit-def: $vgpr104
	s_delay_alu instid0(VALU_DEP_1) | instskip(NEXT) | instid1(VALU_DEP_1)
	v_mul_f32_e32 v0, v130, v0
	v_and_b32_e32 v1, 0x7f800000, v0
	s_delay_alu instid0(VALU_DEP_1) | instskip(NEXT) | instid1(VALU_DEP_1)
	v_cmp_ne_u32_e64 s0, 0x7f800000, v1
	s_and_saveexec_b32 s7, s0
	s_delay_alu instid0(SALU_CYCLE_1)
	s_xor_b32 s0, exec_lo, s7
; %bb.400:                              ;   in Loop: Header=BB201_31 Depth=1
	v_bfe_u32 v1, v0, 16, 1
	s_delay_alu instid0(VALU_DEP_1)
	v_add3_u32 v104, v0, v1, 0x7fff
                                        ; implicit-def: $vgpr0
; %bb.401:                              ;   in Loop: Header=BB201_31 Depth=1
	s_and_not1_saveexec_b32 s7, s0
; %bb.402:                              ;   in Loop: Header=BB201_31 Depth=1
	v_and_b32_e32 v1, 0xffff, v0
	v_or_b32_e32 v2, 0x10000, v0
	s_delay_alu instid0(VALU_DEP_2) | instskip(NEXT) | instid1(VALU_DEP_1)
	v_cmp_eq_u32_e64 s0, 0, v1
	v_cndmask_b32_e64 v104, v2, v0, s0
; %bb.403:                              ;   in Loop: Header=BB201_31 Depth=1
	s_or_b32 exec_lo, exec_lo, s7
	v_add_co_u32 v0, s0, v112, v51
	s_delay_alu instid0(VALU_DEP_1)
	v_add_co_ci_u32_e64 v1, s0, 0, v113, s0
	flat_load_b128 v[0:3], v[0:1]
	s_waitcnt vmcnt(0) lgkmcnt(0)
	v_lshrrev_b32_e32 v22, 16, v0
	v_lshrrev_b32_e32 v12, 16, v1
	;; [unrolled: 1-line block ×4, first 2 shown]
	s_and_saveexec_b32 s7, vcc_lo
	s_cbranch_execz .LBB201_405
; %bb.404:                              ;   in Loop: Header=BB201_31 Depth=1
	v_cmp_lt_i32_e64 s0, v96, v82
	s_delay_alu instid0(VALU_DEP_1) | instskip(SKIP_1) | instid1(VALU_DEP_1)
	v_cndmask_b32_e64 v0, 0, v0, s0
	v_cmp_lt_i32_e64 s0, v103, v82
	v_cndmask_b32_e64 v22, 0, v22, s0
	v_cmp_lt_i32_e64 s0, v101, v82
	s_delay_alu instid0(VALU_DEP_1) | instskip(SKIP_1) | instid1(VALU_DEP_1)
	v_cndmask_b32_e64 v1, 0, v1, s0
	v_cmp_lt_i32_e64 s0, v100, v82
	v_cndmask_b32_e64 v12, 0, v12, s0
	;; [unrolled: 5-line block ×4, first 2 shown]
.LBB201_405:                            ;   in Loop: Header=BB201_31 Depth=1
	s_or_b32 exec_lo, exec_lo, s7
	v_lshlrev_b32_e32 v0, 16, v0
                                        ; implicit-def: $vgpr105
	s_delay_alu instid0(VALU_DEP_1) | instskip(NEXT) | instid1(VALU_DEP_1)
	v_mul_f32_e32 v0, v114, v0
	v_and_b32_e32 v39, 0x7f800000, v0
	s_delay_alu instid0(VALU_DEP_1) | instskip(NEXT) | instid1(VALU_DEP_1)
	v_cmp_ne_u32_e64 s0, 0x7f800000, v39
	s_and_saveexec_b32 s7, s0
	s_delay_alu instid0(SALU_CYCLE_1)
	s_xor_b32 s0, exec_lo, s7
; %bb.406:                              ;   in Loop: Header=BB201_31 Depth=1
	v_bfe_u32 v39, v0, 16, 1
	s_delay_alu instid0(VALU_DEP_1)
	v_add3_u32 v105, v0, v39, 0x7fff
                                        ; implicit-def: $vgpr0
; %bb.407:                              ;   in Loop: Header=BB201_31 Depth=1
	s_and_not1_saveexec_b32 s7, s0
; %bb.408:                              ;   in Loop: Header=BB201_31 Depth=1
	v_and_b32_e32 v39, 0xffff, v0
	v_or_b32_e32 v83, 0x10000, v0
	s_delay_alu instid0(VALU_DEP_2) | instskip(NEXT) | instid1(VALU_DEP_1)
	v_cmp_eq_u32_e64 s0, 0, v39
	v_cndmask_b32_e64 v105, v83, v0, s0
; %bb.409:                              ;   in Loop: Header=BB201_31 Depth=1
	s_or_b32 exec_lo, exec_lo, s7
	v_lshlrev_b32_e32 v0, 16, v22
                                        ; implicit-def: $vgpr106
	s_delay_alu instid0(VALU_DEP_1) | instskip(NEXT) | instid1(VALU_DEP_1)
	v_mul_f32_e32 v0, v115, v0
	v_and_b32_e32 v22, 0x7f800000, v0
	s_delay_alu instid0(VALU_DEP_1) | instskip(NEXT) | instid1(VALU_DEP_1)
	v_cmp_ne_u32_e64 s0, 0x7f800000, v22
	s_and_saveexec_b32 s7, s0
	s_delay_alu instid0(SALU_CYCLE_1)
	s_xor_b32 s0, exec_lo, s7
; %bb.410:                              ;   in Loop: Header=BB201_31 Depth=1
	v_bfe_u32 v22, v0, 16, 1
	s_delay_alu instid0(VALU_DEP_1)
	v_add3_u32 v106, v0, v22, 0x7fff
                                        ; implicit-def: $vgpr0
; %bb.411:                              ;   in Loop: Header=BB201_31 Depth=1
	s_and_not1_saveexec_b32 s7, s0
; %bb.412:                              ;   in Loop: Header=BB201_31 Depth=1
	v_and_b32_e32 v22, 0xffff, v0
	v_or_b32_e32 v39, 0x10000, v0
	s_delay_alu instid0(VALU_DEP_2) | instskip(NEXT) | instid1(VALU_DEP_1)
	v_cmp_eq_u32_e64 s0, 0, v22
	v_cndmask_b32_e64 v106, v39, v0, s0
; %bb.413:                              ;   in Loop: Header=BB201_31 Depth=1
	s_or_b32 exec_lo, exec_lo, s7
	v_lshlrev_b32_e32 v0, 16, v1
                                        ; implicit-def: $vgpr107
	s_delay_alu instid0(VALU_DEP_1) | instskip(NEXT) | instid1(VALU_DEP_1)
	v_mul_f32_e32 v0, v116, v0
	v_and_b32_e32 v1, 0x7f800000, v0
	s_delay_alu instid0(VALU_DEP_1) | instskip(NEXT) | instid1(VALU_DEP_1)
	v_cmp_ne_u32_e64 s0, 0x7f800000, v1
	s_and_saveexec_b32 s7, s0
	s_delay_alu instid0(SALU_CYCLE_1)
	s_xor_b32 s0, exec_lo, s7
; %bb.414:                              ;   in Loop: Header=BB201_31 Depth=1
	v_bfe_u32 v1, v0, 16, 1
	s_delay_alu instid0(VALU_DEP_1)
	v_add3_u32 v107, v0, v1, 0x7fff
                                        ; implicit-def: $vgpr0
; %bb.415:                              ;   in Loop: Header=BB201_31 Depth=1
	s_and_not1_saveexec_b32 s7, s0
; %bb.416:                              ;   in Loop: Header=BB201_31 Depth=1
	v_and_b32_e32 v1, 0xffff, v0
	v_or_b32_e32 v22, 0x10000, v0
	s_delay_alu instid0(VALU_DEP_2) | instskip(NEXT) | instid1(VALU_DEP_1)
	v_cmp_eq_u32_e64 s0, 0, v1
	v_cndmask_b32_e64 v107, v22, v0, s0
; %bb.417:                              ;   in Loop: Header=BB201_31 Depth=1
	s_or_b32 exec_lo, exec_lo, s7
	v_lshlrev_b32_e32 v0, 16, v12
                                        ; implicit-def: $vgpr108
	s_delay_alu instid0(VALU_DEP_1) | instskip(NEXT) | instid1(VALU_DEP_1)
	v_mul_f32_e32 v0, v117, v0
	v_and_b32_e32 v1, 0x7f800000, v0
	s_delay_alu instid0(VALU_DEP_1) | instskip(NEXT) | instid1(VALU_DEP_1)
	v_cmp_ne_u32_e64 s0, 0x7f800000, v1
	s_and_saveexec_b32 s7, s0
	s_delay_alu instid0(SALU_CYCLE_1)
	s_xor_b32 s0, exec_lo, s7
; %bb.418:                              ;   in Loop: Header=BB201_31 Depth=1
	v_bfe_u32 v1, v0, 16, 1
	s_delay_alu instid0(VALU_DEP_1)
	v_add3_u32 v108, v0, v1, 0x7fff
                                        ; implicit-def: $vgpr0
; %bb.419:                              ;   in Loop: Header=BB201_31 Depth=1
	s_and_not1_saveexec_b32 s7, s0
; %bb.420:                              ;   in Loop: Header=BB201_31 Depth=1
	v_and_b32_e32 v1, 0xffff, v0
	v_or_b32_e32 v12, 0x10000, v0
	s_delay_alu instid0(VALU_DEP_2) | instskip(NEXT) | instid1(VALU_DEP_1)
	v_cmp_eq_u32_e64 s0, 0, v1
	v_cndmask_b32_e64 v108, v12, v0, s0
; %bb.421:                              ;   in Loop: Header=BB201_31 Depth=1
	s_or_b32 exec_lo, exec_lo, s7
	v_lshlrev_b32_e32 v0, 16, v2
                                        ; implicit-def: $vgpr109
	s_delay_alu instid0(VALU_DEP_1) | instskip(NEXT) | instid1(VALU_DEP_1)
	v_mul_f32_e32 v0, v119, v0
	v_and_b32_e32 v1, 0x7f800000, v0
	s_delay_alu instid0(VALU_DEP_1) | instskip(NEXT) | instid1(VALU_DEP_1)
	v_cmp_ne_u32_e64 s0, 0x7f800000, v1
	s_and_saveexec_b32 s7, s0
	s_delay_alu instid0(SALU_CYCLE_1)
	s_xor_b32 s0, exec_lo, s7
; %bb.422:                              ;   in Loop: Header=BB201_31 Depth=1
	v_bfe_u32 v1, v0, 16, 1
	s_delay_alu instid0(VALU_DEP_1)
	v_add3_u32 v109, v0, v1, 0x7fff
                                        ; implicit-def: $vgpr0
; %bb.423:                              ;   in Loop: Header=BB201_31 Depth=1
	s_and_not1_saveexec_b32 s7, s0
; %bb.424:                              ;   in Loop: Header=BB201_31 Depth=1
	v_and_b32_e32 v1, 0xffff, v0
	v_or_b32_e32 v2, 0x10000, v0
	s_delay_alu instid0(VALU_DEP_2) | instskip(NEXT) | instid1(VALU_DEP_1)
	v_cmp_eq_u32_e64 s0, 0, v1
	v_cndmask_b32_e64 v109, v2, v0, s0
; %bb.425:                              ;   in Loop: Header=BB201_31 Depth=1
	s_or_b32 exec_lo, exec_lo, s7
	v_lshlrev_b32_e32 v0, 16, v5
                                        ; implicit-def: $vgpr110
	s_delay_alu instid0(VALU_DEP_1) | instskip(NEXT) | instid1(VALU_DEP_1)
	v_mul_f32_e32 v0, v128, v0
	v_and_b32_e32 v1, 0x7f800000, v0
	s_delay_alu instid0(VALU_DEP_1) | instskip(NEXT) | instid1(VALU_DEP_1)
	v_cmp_ne_u32_e64 s0, 0x7f800000, v1
	s_and_saveexec_b32 s7, s0
	s_delay_alu instid0(SALU_CYCLE_1)
	s_xor_b32 s0, exec_lo, s7
; %bb.426:                              ;   in Loop: Header=BB201_31 Depth=1
	v_bfe_u32 v1, v0, 16, 1
	s_delay_alu instid0(VALU_DEP_1)
	v_add3_u32 v110, v0, v1, 0x7fff
                                        ; implicit-def: $vgpr0
; %bb.427:                              ;   in Loop: Header=BB201_31 Depth=1
	s_and_not1_saveexec_b32 s7, s0
; %bb.428:                              ;   in Loop: Header=BB201_31 Depth=1
	v_and_b32_e32 v1, 0xffff, v0
	v_or_b32_e32 v2, 0x10000, v0
	s_delay_alu instid0(VALU_DEP_2) | instskip(NEXT) | instid1(VALU_DEP_1)
	v_cmp_eq_u32_e64 s0, 0, v1
	v_cndmask_b32_e64 v110, v2, v0, s0
; %bb.429:                              ;   in Loop: Header=BB201_31 Depth=1
	s_or_b32 exec_lo, exec_lo, s7
	v_lshlrev_b32_e32 v0, 16, v3
                                        ; implicit-def: $vgpr111
	s_delay_alu instid0(VALU_DEP_1) | instskip(NEXT) | instid1(VALU_DEP_1)
	v_mul_f32_e32 v0, v129, v0
	v_and_b32_e32 v1, 0x7f800000, v0
	s_delay_alu instid0(VALU_DEP_1) | instskip(NEXT) | instid1(VALU_DEP_1)
	v_cmp_ne_u32_e64 s0, 0x7f800000, v1
	s_and_saveexec_b32 s7, s0
	s_delay_alu instid0(SALU_CYCLE_1)
	s_xor_b32 s0, exec_lo, s7
; %bb.430:                              ;   in Loop: Header=BB201_31 Depth=1
	v_bfe_u32 v1, v0, 16, 1
	s_delay_alu instid0(VALU_DEP_1)
	v_add3_u32 v111, v0, v1, 0x7fff
                                        ; implicit-def: $vgpr0
; %bb.431:                              ;   in Loop: Header=BB201_31 Depth=1
	s_and_not1_saveexec_b32 s7, s0
; %bb.432:                              ;   in Loop: Header=BB201_31 Depth=1
	v_and_b32_e32 v1, 0xffff, v0
	v_or_b32_e32 v2, 0x10000, v0
	s_delay_alu instid0(VALU_DEP_2) | instskip(NEXT) | instid1(VALU_DEP_1)
	v_cmp_eq_u32_e64 s0, 0, v1
	v_cndmask_b32_e64 v111, v2, v0, s0
; %bb.433:                              ;   in Loop: Header=BB201_31 Depth=1
	s_or_b32 exec_lo, exec_lo, s7
	v_lshlrev_b32_e32 v0, 16, v4
                                        ; implicit-def: $vgpr120
	s_delay_alu instid0(VALU_DEP_1) | instskip(NEXT) | instid1(VALU_DEP_1)
	v_mul_f32_e32 v0, v130, v0
	v_and_b32_e32 v1, 0x7f800000, v0
	s_delay_alu instid0(VALU_DEP_1) | instskip(NEXT) | instid1(VALU_DEP_1)
	v_cmp_ne_u32_e64 s0, 0x7f800000, v1
	s_and_saveexec_b32 s7, s0
	s_delay_alu instid0(SALU_CYCLE_1)
	s_xor_b32 s0, exec_lo, s7
; %bb.434:                              ;   in Loop: Header=BB201_31 Depth=1
	v_bfe_u32 v1, v0, 16, 1
	s_delay_alu instid0(VALU_DEP_1)
	v_add3_u32 v120, v0, v1, 0x7fff
                                        ; implicit-def: $vgpr0
; %bb.435:                              ;   in Loop: Header=BB201_31 Depth=1
	s_and_not1_saveexec_b32 s7, s0
; %bb.436:                              ;   in Loop: Header=BB201_31 Depth=1
	v_and_b32_e32 v1, 0xffff, v0
	v_or_b32_e32 v2, 0x10000, v0
	s_delay_alu instid0(VALU_DEP_2) | instskip(NEXT) | instid1(VALU_DEP_1)
	v_cmp_eq_u32_e64 s0, 0, v1
	v_cndmask_b32_e64 v120, v2, v0, s0
; %bb.437:                              ;   in Loop: Header=BB201_31 Depth=1
	s_or_b32 exec_lo, exec_lo, s7
	v_add_co_u32 v0, s0, v112, v52
	s_delay_alu instid0(VALU_DEP_1)
	v_add_co_ci_u32_e64 v1, s0, 0, v113, s0
	flat_load_b128 v[0:3], v[0:1]
	s_waitcnt vmcnt(0) lgkmcnt(0)
	v_lshrrev_b32_e32 v5, 16, v0
	v_lshrrev_b32_e32 v39, 16, v1
	;; [unrolled: 1-line block ×4, first 2 shown]
	s_and_saveexec_b32 s7, vcc_lo
	s_cbranch_execz .LBB201_439
; %bb.438:                              ;   in Loop: Header=BB201_31 Depth=1
	v_cmp_lt_i32_e64 s0, v96, v82
	s_delay_alu instid0(VALU_DEP_1) | instskip(SKIP_1) | instid1(VALU_DEP_1)
	v_cndmask_b32_e64 v0, 0, v0, s0
	v_cmp_lt_i32_e64 s0, v103, v82
	v_cndmask_b32_e64 v5, 0, v5, s0
	v_cmp_lt_i32_e64 s0, v101, v82
	s_delay_alu instid0(VALU_DEP_1) | instskip(SKIP_1) | instid1(VALU_DEP_1)
	v_cndmask_b32_e64 v1, 0, v1, s0
	v_cmp_lt_i32_e64 s0, v100, v82
	v_cndmask_b32_e64 v39, 0, v39, s0
	v_cmp_lt_i32_e64 s0, v99, v82
	s_delay_alu instid0(VALU_DEP_1) | instskip(SKIP_1) | instid1(VALU_DEP_1)
	v_cndmask_b32_e64 v2, 0, v2, s0
	v_cmp_lt_i32_e64 s0, v98, v82
	v_cndmask_b32_e64 v121, 0, v121, s0
	v_cmp_lt_i32_e64 s0, v102, v82
	s_delay_alu instid0(VALU_DEP_1) | instskip(SKIP_1) | instid1(VALU_DEP_1)
	v_cndmask_b32_e64 v3, 0, v3, s0
	v_cmp_lt_i32_e64 s0, v14, v82
	v_cndmask_b32_e64 v22, 0, v22, s0
.LBB201_439:                            ;   in Loop: Header=BB201_31 Depth=1
	s_or_b32 exec_lo, exec_lo, s7
	v_lshlrev_b32_e32 v0, 16, v0
	s_delay_alu instid0(VALU_DEP_1) | instskip(NEXT) | instid1(VALU_DEP_1)
	v_mul_f32_e32 v0, v114, v0
	v_and_b32_e32 v4, 0x7f800000, v0
	s_delay_alu instid0(VALU_DEP_1) | instskip(NEXT) | instid1(VALU_DEP_1)
	v_cmp_ne_u32_e64 s0, 0x7f800000, v4
                                        ; implicit-def: $vgpr4
	s_and_saveexec_b32 s7, s0
	s_delay_alu instid0(SALU_CYCLE_1)
	s_xor_b32 s0, exec_lo, s7
; %bb.440:                              ;   in Loop: Header=BB201_31 Depth=1
	v_bfe_u32 v4, v0, 16, 1
	s_delay_alu instid0(VALU_DEP_1)
	v_add3_u32 v4, v0, v4, 0x7fff
                                        ; implicit-def: $vgpr0
; %bb.441:                              ;   in Loop: Header=BB201_31 Depth=1
	s_and_not1_saveexec_b32 s7, s0
; %bb.442:                              ;   in Loop: Header=BB201_31 Depth=1
	v_and_b32_e32 v4, 0xffff, v0
	v_or_b32_e32 v12, 0x10000, v0
	s_delay_alu instid0(VALU_DEP_2) | instskip(NEXT) | instid1(VALU_DEP_1)
	v_cmp_eq_u32_e64 s0, 0, v4
	v_cndmask_b32_e64 v4, v12, v0, s0
; %bb.443:                              ;   in Loop: Header=BB201_31 Depth=1
	s_or_b32 exec_lo, exec_lo, s7
	v_lshlrev_b32_e32 v0, 16, v5
	s_delay_alu instid0(VALU_DEP_1) | instskip(NEXT) | instid1(VALU_DEP_1)
	v_mul_f32_e32 v0, v115, v0
	v_and_b32_e32 v5, 0x7f800000, v0
	s_delay_alu instid0(VALU_DEP_1) | instskip(NEXT) | instid1(VALU_DEP_1)
	v_cmp_ne_u32_e64 s0, 0x7f800000, v5
                                        ; implicit-def: $vgpr5
	s_and_saveexec_b32 s7, s0
	s_delay_alu instid0(SALU_CYCLE_1)
	s_xor_b32 s0, exec_lo, s7
; %bb.444:                              ;   in Loop: Header=BB201_31 Depth=1
	v_bfe_u32 v5, v0, 16, 1
	s_delay_alu instid0(VALU_DEP_1)
	v_add3_u32 v5, v0, v5, 0x7fff
                                        ; implicit-def: $vgpr0
; %bb.445:                              ;   in Loop: Header=BB201_31 Depth=1
	s_and_not1_saveexec_b32 s7, s0
; %bb.446:                              ;   in Loop: Header=BB201_31 Depth=1
	v_and_b32_e32 v5, 0xffff, v0
	v_or_b32_e32 v12, 0x10000, v0
	s_delay_alu instid0(VALU_DEP_2) | instskip(NEXT) | instid1(VALU_DEP_1)
	v_cmp_eq_u32_e64 s0, 0, v5
	v_cndmask_b32_e64 v5, v12, v0, s0
; %bb.447:                              ;   in Loop: Header=BB201_31 Depth=1
	s_or_b32 exec_lo, exec_lo, s7
	v_lshlrev_b32_e32 v0, 16, v1
                                        ; implicit-def: $vgpr12
	s_delay_alu instid0(VALU_DEP_1) | instskip(NEXT) | instid1(VALU_DEP_1)
	v_mul_f32_e32 v0, v116, v0
	v_and_b32_e32 v1, 0x7f800000, v0
	s_delay_alu instid0(VALU_DEP_1) | instskip(NEXT) | instid1(VALU_DEP_1)
	v_cmp_ne_u32_e64 s0, 0x7f800000, v1
	s_and_saveexec_b32 s7, s0
	s_delay_alu instid0(SALU_CYCLE_1)
	s_xor_b32 s0, exec_lo, s7
; %bb.448:                              ;   in Loop: Header=BB201_31 Depth=1
	v_bfe_u32 v1, v0, 16, 1
	s_delay_alu instid0(VALU_DEP_1)
	v_add3_u32 v12, v0, v1, 0x7fff
                                        ; implicit-def: $vgpr0
; %bb.449:                              ;   in Loop: Header=BB201_31 Depth=1
	s_and_not1_saveexec_b32 s7, s0
; %bb.450:                              ;   in Loop: Header=BB201_31 Depth=1
	v_and_b32_e32 v1, 0xffff, v0
	v_or_b32_e32 v12, 0x10000, v0
	s_delay_alu instid0(VALU_DEP_2) | instskip(NEXT) | instid1(VALU_DEP_1)
	v_cmp_eq_u32_e64 s0, 0, v1
	v_cndmask_b32_e64 v12, v12, v0, s0
; %bb.451:                              ;   in Loop: Header=BB201_31 Depth=1
	s_or_b32 exec_lo, exec_lo, s7
	v_lshlrev_b32_e32 v0, 16, v39
                                        ; implicit-def: $vgpr39
	s_delay_alu instid0(VALU_DEP_1) | instskip(NEXT) | instid1(VALU_DEP_1)
	v_mul_f32_e32 v0, v117, v0
	v_and_b32_e32 v1, 0x7f800000, v0
	s_delay_alu instid0(VALU_DEP_1) | instskip(NEXT) | instid1(VALU_DEP_1)
	v_cmp_ne_u32_e64 s0, 0x7f800000, v1
	s_and_saveexec_b32 s7, s0
	s_delay_alu instid0(SALU_CYCLE_1)
	s_xor_b32 s0, exec_lo, s7
; %bb.452:                              ;   in Loop: Header=BB201_31 Depth=1
	v_bfe_u32 v1, v0, 16, 1
	s_delay_alu instid0(VALU_DEP_1)
	v_add3_u32 v39, v0, v1, 0x7fff
                                        ; implicit-def: $vgpr0
; %bb.453:                              ;   in Loop: Header=BB201_31 Depth=1
	s_and_not1_saveexec_b32 s7, s0
; %bb.454:                              ;   in Loop: Header=BB201_31 Depth=1
	v_and_b32_e32 v1, 0xffff, v0
	v_or_b32_e32 v39, 0x10000, v0
	s_delay_alu instid0(VALU_DEP_2) | instskip(NEXT) | instid1(VALU_DEP_1)
	v_cmp_eq_u32_e64 s0, 0, v1
	v_cndmask_b32_e64 v39, v39, v0, s0
; %bb.455:                              ;   in Loop: Header=BB201_31 Depth=1
	s_or_b32 exec_lo, exec_lo, s7
	v_lshlrev_b32_e32 v0, 16, v2
                                        ; implicit-def: $vgpr83
	s_delay_alu instid0(VALU_DEP_1) | instskip(NEXT) | instid1(VALU_DEP_1)
	v_mul_f32_e32 v0, v119, v0
	v_and_b32_e32 v1, 0x7f800000, v0
	s_delay_alu instid0(VALU_DEP_1) | instskip(NEXT) | instid1(VALU_DEP_1)
	v_cmp_ne_u32_e64 s0, 0x7f800000, v1
	s_and_saveexec_b32 s7, s0
	s_delay_alu instid0(SALU_CYCLE_1)
	s_xor_b32 s0, exec_lo, s7
; %bb.456:                              ;   in Loop: Header=BB201_31 Depth=1
	v_bfe_u32 v1, v0, 16, 1
	s_delay_alu instid0(VALU_DEP_1)
	v_add3_u32 v83, v0, v1, 0x7fff
                                        ; implicit-def: $vgpr0
; %bb.457:                              ;   in Loop: Header=BB201_31 Depth=1
	s_and_not1_saveexec_b32 s7, s0
; %bb.458:                              ;   in Loop: Header=BB201_31 Depth=1
	v_and_b32_e32 v1, 0xffff, v0
	v_or_b32_e32 v2, 0x10000, v0
	s_delay_alu instid0(VALU_DEP_2) | instskip(NEXT) | instid1(VALU_DEP_1)
	v_cmp_eq_u32_e64 s0, 0, v1
	v_cndmask_b32_e64 v83, v2, v0, s0
; %bb.459:                              ;   in Loop: Header=BB201_31 Depth=1
	s_or_b32 exec_lo, exec_lo, s7
	v_lshlrev_b32_e32 v0, 16, v121
                                        ; implicit-def: $vgpr121
	s_delay_alu instid0(VALU_DEP_1) | instskip(NEXT) | instid1(VALU_DEP_1)
	v_mul_f32_e32 v0, v128, v0
	v_and_b32_e32 v1, 0x7f800000, v0
	s_delay_alu instid0(VALU_DEP_1) | instskip(NEXT) | instid1(VALU_DEP_1)
	v_cmp_ne_u32_e64 s0, 0x7f800000, v1
	s_and_saveexec_b32 s7, s0
	s_delay_alu instid0(SALU_CYCLE_1)
	s_xor_b32 s0, exec_lo, s7
; %bb.460:                              ;   in Loop: Header=BB201_31 Depth=1
	v_bfe_u32 v1, v0, 16, 1
	s_delay_alu instid0(VALU_DEP_1)
	v_add3_u32 v121, v0, v1, 0x7fff
                                        ; implicit-def: $vgpr0
; %bb.461:                              ;   in Loop: Header=BB201_31 Depth=1
	s_and_not1_saveexec_b32 s7, s0
; %bb.462:                              ;   in Loop: Header=BB201_31 Depth=1
	v_and_b32_e32 v1, 0xffff, v0
	v_or_b32_e32 v2, 0x10000, v0
	s_delay_alu instid0(VALU_DEP_2) | instskip(NEXT) | instid1(VALU_DEP_1)
	v_cmp_eq_u32_e64 s0, 0, v1
	v_cndmask_b32_e64 v121, v2, v0, s0
; %bb.463:                              ;   in Loop: Header=BB201_31 Depth=1
	s_or_b32 exec_lo, exec_lo, s7
	v_lshlrev_b32_e32 v0, 16, v3
                                        ; implicit-def: $vgpr122
	s_delay_alu instid0(VALU_DEP_1) | instskip(NEXT) | instid1(VALU_DEP_1)
	v_mul_f32_e32 v0, v129, v0
	v_and_b32_e32 v1, 0x7f800000, v0
	s_delay_alu instid0(VALU_DEP_1) | instskip(NEXT) | instid1(VALU_DEP_1)
	v_cmp_ne_u32_e64 s0, 0x7f800000, v1
	s_and_saveexec_b32 s7, s0
	s_delay_alu instid0(SALU_CYCLE_1)
	s_xor_b32 s0, exec_lo, s7
; %bb.464:                              ;   in Loop: Header=BB201_31 Depth=1
	v_bfe_u32 v1, v0, 16, 1
	s_delay_alu instid0(VALU_DEP_1)
	v_add3_u32 v122, v0, v1, 0x7fff
                                        ; implicit-def: $vgpr0
; %bb.465:                              ;   in Loop: Header=BB201_31 Depth=1
	s_and_not1_saveexec_b32 s7, s0
; %bb.466:                              ;   in Loop: Header=BB201_31 Depth=1
	v_and_b32_e32 v1, 0xffff, v0
	v_or_b32_e32 v2, 0x10000, v0
	s_delay_alu instid0(VALU_DEP_2) | instskip(NEXT) | instid1(VALU_DEP_1)
	v_cmp_eq_u32_e64 s0, 0, v1
	v_cndmask_b32_e64 v122, v2, v0, s0
; %bb.467:                              ;   in Loop: Header=BB201_31 Depth=1
	s_or_b32 exec_lo, exec_lo, s7
	v_lshlrev_b32_e32 v0, 16, v22
                                        ; implicit-def: $vgpr123
	s_delay_alu instid0(VALU_DEP_1) | instskip(NEXT) | instid1(VALU_DEP_1)
	v_mul_f32_e32 v0, v130, v0
	v_and_b32_e32 v1, 0x7f800000, v0
	s_delay_alu instid0(VALU_DEP_1) | instskip(NEXT) | instid1(VALU_DEP_1)
	v_cmp_ne_u32_e64 s0, 0x7f800000, v1
	s_and_saveexec_b32 s7, s0
	s_delay_alu instid0(SALU_CYCLE_1)
	s_xor_b32 s0, exec_lo, s7
; %bb.468:                              ;   in Loop: Header=BB201_31 Depth=1
	v_bfe_u32 v1, v0, 16, 1
	s_delay_alu instid0(VALU_DEP_1)
	v_add3_u32 v123, v0, v1, 0x7fff
                                        ; implicit-def: $vgpr0
; %bb.469:                              ;   in Loop: Header=BB201_31 Depth=1
	s_and_not1_saveexec_b32 s7, s0
; %bb.470:                              ;   in Loop: Header=BB201_31 Depth=1
	v_and_b32_e32 v1, 0xffff, v0
	v_or_b32_e32 v2, 0x10000, v0
	s_delay_alu instid0(VALU_DEP_2) | instskip(NEXT) | instid1(VALU_DEP_1)
	v_cmp_eq_u32_e64 s0, 0, v1
	v_cndmask_b32_e64 v123, v2, v0, s0
; %bb.471:                              ;   in Loop: Header=BB201_31 Depth=1
	s_or_b32 exec_lo, exec_lo, s7
	v_add_co_u32 v0, s0, v112, v53
	s_delay_alu instid0(VALU_DEP_1)
	v_add_co_ci_u32_e64 v1, s0, 0, v113, s0
	flat_load_b128 v[0:3], v[0:1]
	s_waitcnt vmcnt(0) lgkmcnt(0)
	v_lshrrev_b32_e32 v125, 16, v0
	v_lshrrev_b32_e32 v127, 16, v1
	;; [unrolled: 1-line block ×4, first 2 shown]
	s_and_saveexec_b32 s7, vcc_lo
	s_cbranch_execz .LBB201_473
; %bb.472:                              ;   in Loop: Header=BB201_31 Depth=1
	v_cmp_lt_i32_e64 s0, v96, v82
	s_delay_alu instid0(VALU_DEP_1) | instskip(SKIP_1) | instid1(VALU_DEP_1)
	v_cndmask_b32_e64 v0, 0, v0, s0
	v_cmp_lt_i32_e64 s0, v103, v82
	v_cndmask_b32_e64 v125, 0, v125, s0
	v_cmp_lt_i32_e64 s0, v101, v82
	s_delay_alu instid0(VALU_DEP_1) | instskip(SKIP_1) | instid1(VALU_DEP_1)
	v_cndmask_b32_e64 v1, 0, v1, s0
	v_cmp_lt_i32_e64 s0, v100, v82
	v_cndmask_b32_e64 v127, 0, v127, s0
	v_cmp_lt_i32_e64 s0, v99, v82
	s_delay_alu instid0(VALU_DEP_1) | instskip(SKIP_1) | instid1(VALU_DEP_1)
	v_cndmask_b32_e64 v2, 0, v2, s0
	v_cmp_lt_i32_e64 s0, v98, v82
	v_cndmask_b32_e64 v137, 0, v137, s0
	v_cmp_lt_i32_e64 s0, v102, v82
	s_delay_alu instid0(VALU_DEP_1) | instskip(SKIP_1) | instid1(VALU_DEP_1)
	v_cndmask_b32_e64 v3, 0, v3, s0
	v_cmp_lt_i32_e64 s0, v14, v82
	v_cndmask_b32_e64 v22, 0, v22, s0
.LBB201_473:                            ;   in Loop: Header=BB201_31 Depth=1
	s_or_b32 exec_lo, exec_lo, s7
	v_lshlrev_b32_e32 v0, 16, v0
	s_delay_alu instid0(VALU_DEP_1) | instskip(NEXT) | instid1(VALU_DEP_1)
	v_mul_f32_e32 v0, v114, v0
	v_and_b32_e32 v124, 0x7f800000, v0
	s_delay_alu instid0(VALU_DEP_1) | instskip(NEXT) | instid1(VALU_DEP_1)
	v_cmp_ne_u32_e64 s0, 0x7f800000, v124
                                        ; implicit-def: $vgpr124
	s_and_saveexec_b32 s7, s0
	s_delay_alu instid0(SALU_CYCLE_1)
	s_xor_b32 s0, exec_lo, s7
; %bb.474:                              ;   in Loop: Header=BB201_31 Depth=1
	v_bfe_u32 v124, v0, 16, 1
	s_delay_alu instid0(VALU_DEP_1)
	v_add3_u32 v124, v0, v124, 0x7fff
                                        ; implicit-def: $vgpr0
; %bb.475:                              ;   in Loop: Header=BB201_31 Depth=1
	s_and_not1_saveexec_b32 s7, s0
; %bb.476:                              ;   in Loop: Header=BB201_31 Depth=1
	v_and_b32_e32 v124, 0xffff, v0
	v_or_b32_e32 v126, 0x10000, v0
	s_delay_alu instid0(VALU_DEP_2) | instskip(NEXT) | instid1(VALU_DEP_1)
	v_cmp_eq_u32_e64 s0, 0, v124
	v_cndmask_b32_e64 v124, v126, v0, s0
; %bb.477:                              ;   in Loop: Header=BB201_31 Depth=1
	s_or_b32 exec_lo, exec_lo, s7
	v_lshlrev_b32_e32 v0, 16, v125
	s_delay_alu instid0(VALU_DEP_1) | instskip(NEXT) | instid1(VALU_DEP_1)
	v_mul_f32_e32 v0, v115, v0
	v_and_b32_e32 v125, 0x7f800000, v0
	s_delay_alu instid0(VALU_DEP_1) | instskip(NEXT) | instid1(VALU_DEP_1)
	v_cmp_ne_u32_e64 s0, 0x7f800000, v125
                                        ; implicit-def: $vgpr125
	s_and_saveexec_b32 s7, s0
	s_delay_alu instid0(SALU_CYCLE_1)
	s_xor_b32 s0, exec_lo, s7
; %bb.478:                              ;   in Loop: Header=BB201_31 Depth=1
	v_bfe_u32 v125, v0, 16, 1
	s_delay_alu instid0(VALU_DEP_1)
	v_add3_u32 v125, v0, v125, 0x7fff
                                        ; implicit-def: $vgpr0
; %bb.479:                              ;   in Loop: Header=BB201_31 Depth=1
	s_and_not1_saveexec_b32 s7, s0
; %bb.480:                              ;   in Loop: Header=BB201_31 Depth=1
	v_and_b32_e32 v125, 0xffff, v0
	v_or_b32_e32 v126, 0x10000, v0
	s_delay_alu instid0(VALU_DEP_2) | instskip(NEXT) | instid1(VALU_DEP_1)
	v_cmp_eq_u32_e64 s0, 0, v125
	v_cndmask_b32_e64 v125, v126, v0, s0
; %bb.481:                              ;   in Loop: Header=BB201_31 Depth=1
	s_or_b32 exec_lo, exec_lo, s7
	v_lshlrev_b32_e32 v0, 16, v1
                                        ; implicit-def: $vgpr126
	s_delay_alu instid0(VALU_DEP_1) | instskip(NEXT) | instid1(VALU_DEP_1)
	v_mul_f32_e32 v0, v116, v0
	v_and_b32_e32 v1, 0x7f800000, v0
	s_delay_alu instid0(VALU_DEP_1) | instskip(NEXT) | instid1(VALU_DEP_1)
	v_cmp_ne_u32_e64 s0, 0x7f800000, v1
	s_and_saveexec_b32 s7, s0
	s_delay_alu instid0(SALU_CYCLE_1)
	s_xor_b32 s0, exec_lo, s7
; %bb.482:                              ;   in Loop: Header=BB201_31 Depth=1
	v_bfe_u32 v1, v0, 16, 1
	s_delay_alu instid0(VALU_DEP_1)
	v_add3_u32 v126, v0, v1, 0x7fff
                                        ; implicit-def: $vgpr0
; %bb.483:                              ;   in Loop: Header=BB201_31 Depth=1
	s_and_not1_saveexec_b32 s7, s0
; %bb.484:                              ;   in Loop: Header=BB201_31 Depth=1
	v_and_b32_e32 v1, 0xffff, v0
	v_or_b32_e32 v126, 0x10000, v0
	s_delay_alu instid0(VALU_DEP_2) | instskip(NEXT) | instid1(VALU_DEP_1)
	v_cmp_eq_u32_e64 s0, 0, v1
	v_cndmask_b32_e64 v126, v126, v0, s0
; %bb.485:                              ;   in Loop: Header=BB201_31 Depth=1
	s_or_b32 exec_lo, exec_lo, s7
	v_lshlrev_b32_e32 v0, 16, v127
                                        ; implicit-def: $vgpr127
	s_delay_alu instid0(VALU_DEP_1) | instskip(NEXT) | instid1(VALU_DEP_1)
	v_mul_f32_e32 v0, v117, v0
	v_and_b32_e32 v1, 0x7f800000, v0
	s_delay_alu instid0(VALU_DEP_1) | instskip(NEXT) | instid1(VALU_DEP_1)
	v_cmp_ne_u32_e64 s0, 0x7f800000, v1
	s_and_saveexec_b32 s7, s0
	s_delay_alu instid0(SALU_CYCLE_1)
	s_xor_b32 s0, exec_lo, s7
; %bb.486:                              ;   in Loop: Header=BB201_31 Depth=1
	v_bfe_u32 v1, v0, 16, 1
	s_delay_alu instid0(VALU_DEP_1)
	v_add3_u32 v127, v0, v1, 0x7fff
                                        ; implicit-def: $vgpr0
; %bb.487:                              ;   in Loop: Header=BB201_31 Depth=1
	s_and_not1_saveexec_b32 s7, s0
; %bb.488:                              ;   in Loop: Header=BB201_31 Depth=1
	v_and_b32_e32 v1, 0xffff, v0
	v_or_b32_e32 v127, 0x10000, v0
	s_delay_alu instid0(VALU_DEP_2) | instskip(NEXT) | instid1(VALU_DEP_1)
	v_cmp_eq_u32_e64 s0, 0, v1
	v_cndmask_b32_e64 v127, v127, v0, s0
; %bb.489:                              ;   in Loop: Header=BB201_31 Depth=1
	s_or_b32 exec_lo, exec_lo, s7
	v_lshlrev_b32_e32 v0, 16, v2
                                        ; implicit-def: $vgpr136
	s_delay_alu instid0(VALU_DEP_1) | instskip(NEXT) | instid1(VALU_DEP_1)
	v_mul_f32_e32 v0, v119, v0
	v_and_b32_e32 v1, 0x7f800000, v0
	s_delay_alu instid0(VALU_DEP_1) | instskip(NEXT) | instid1(VALU_DEP_1)
	v_cmp_ne_u32_e64 s0, 0x7f800000, v1
	s_and_saveexec_b32 s7, s0
	s_delay_alu instid0(SALU_CYCLE_1)
	s_xor_b32 s0, exec_lo, s7
; %bb.490:                              ;   in Loop: Header=BB201_31 Depth=1
	v_bfe_u32 v1, v0, 16, 1
	s_delay_alu instid0(VALU_DEP_1)
	v_add3_u32 v136, v0, v1, 0x7fff
                                        ; implicit-def: $vgpr0
; %bb.491:                              ;   in Loop: Header=BB201_31 Depth=1
	s_and_not1_saveexec_b32 s7, s0
; %bb.492:                              ;   in Loop: Header=BB201_31 Depth=1
	v_and_b32_e32 v1, 0xffff, v0
	v_or_b32_e32 v2, 0x10000, v0
	s_delay_alu instid0(VALU_DEP_2) | instskip(NEXT) | instid1(VALU_DEP_1)
	v_cmp_eq_u32_e64 s0, 0, v1
	v_cndmask_b32_e64 v136, v2, v0, s0
; %bb.493:                              ;   in Loop: Header=BB201_31 Depth=1
	s_or_b32 exec_lo, exec_lo, s7
	v_lshlrev_b32_e32 v0, 16, v137
                                        ; implicit-def: $vgpr137
	s_delay_alu instid0(VALU_DEP_1) | instskip(NEXT) | instid1(VALU_DEP_1)
	v_mul_f32_e32 v0, v128, v0
	v_and_b32_e32 v1, 0x7f800000, v0
	s_delay_alu instid0(VALU_DEP_1) | instskip(NEXT) | instid1(VALU_DEP_1)
	v_cmp_ne_u32_e64 s0, 0x7f800000, v1
	s_and_saveexec_b32 s7, s0
	s_delay_alu instid0(SALU_CYCLE_1)
	s_xor_b32 s0, exec_lo, s7
; %bb.494:                              ;   in Loop: Header=BB201_31 Depth=1
	v_bfe_u32 v1, v0, 16, 1
	s_delay_alu instid0(VALU_DEP_1)
	v_add3_u32 v137, v0, v1, 0x7fff
                                        ; implicit-def: $vgpr0
; %bb.495:                              ;   in Loop: Header=BB201_31 Depth=1
	s_and_not1_saveexec_b32 s7, s0
; %bb.496:                              ;   in Loop: Header=BB201_31 Depth=1
	v_and_b32_e32 v1, 0xffff, v0
	v_or_b32_e32 v2, 0x10000, v0
	s_delay_alu instid0(VALU_DEP_2) | instskip(NEXT) | instid1(VALU_DEP_1)
	v_cmp_eq_u32_e64 s0, 0, v1
	v_cndmask_b32_e64 v137, v2, v0, s0
; %bb.497:                              ;   in Loop: Header=BB201_31 Depth=1
	s_or_b32 exec_lo, exec_lo, s7
	v_lshlrev_b32_e32 v0, 16, v3
                                        ; implicit-def: $vgpr138
	s_delay_alu instid0(VALU_DEP_1) | instskip(NEXT) | instid1(VALU_DEP_1)
	v_mul_f32_e32 v0, v129, v0
	v_and_b32_e32 v1, 0x7f800000, v0
	s_delay_alu instid0(VALU_DEP_1) | instskip(NEXT) | instid1(VALU_DEP_1)
	v_cmp_ne_u32_e64 s0, 0x7f800000, v1
	s_and_saveexec_b32 s7, s0
	s_delay_alu instid0(SALU_CYCLE_1)
	s_xor_b32 s0, exec_lo, s7
; %bb.498:                              ;   in Loop: Header=BB201_31 Depth=1
	v_bfe_u32 v1, v0, 16, 1
	s_delay_alu instid0(VALU_DEP_1)
	v_add3_u32 v138, v0, v1, 0x7fff
                                        ; implicit-def: $vgpr0
; %bb.499:                              ;   in Loop: Header=BB201_31 Depth=1
	s_and_not1_saveexec_b32 s7, s0
; %bb.500:                              ;   in Loop: Header=BB201_31 Depth=1
	v_and_b32_e32 v1, 0xffff, v0
	v_or_b32_e32 v2, 0x10000, v0
	s_delay_alu instid0(VALU_DEP_2) | instskip(NEXT) | instid1(VALU_DEP_1)
	v_cmp_eq_u32_e64 s0, 0, v1
	v_cndmask_b32_e64 v138, v2, v0, s0
; %bb.501:                              ;   in Loop: Header=BB201_31 Depth=1
	s_or_b32 exec_lo, exec_lo, s7
	v_lshlrev_b32_e32 v0, 16, v22
                                        ; implicit-def: $vgpr139
	s_delay_alu instid0(VALU_DEP_1) | instskip(NEXT) | instid1(VALU_DEP_1)
	v_mul_f32_e32 v0, v130, v0
	v_and_b32_e32 v1, 0x7f800000, v0
	s_delay_alu instid0(VALU_DEP_1) | instskip(NEXT) | instid1(VALU_DEP_1)
	v_cmp_ne_u32_e64 s0, 0x7f800000, v1
	s_and_saveexec_b32 s7, s0
	s_delay_alu instid0(SALU_CYCLE_1)
	s_xor_b32 s0, exec_lo, s7
; %bb.502:                              ;   in Loop: Header=BB201_31 Depth=1
	v_bfe_u32 v1, v0, 16, 1
	s_delay_alu instid0(VALU_DEP_1)
	v_add3_u32 v139, v0, v1, 0x7fff
                                        ; implicit-def: $vgpr0
; %bb.503:                              ;   in Loop: Header=BB201_31 Depth=1
	s_and_not1_saveexec_b32 s7, s0
; %bb.504:                              ;   in Loop: Header=BB201_31 Depth=1
	v_and_b32_e32 v1, 0xffff, v0
	v_or_b32_e32 v2, 0x10000, v0
	s_delay_alu instid0(VALU_DEP_2) | instskip(NEXT) | instid1(VALU_DEP_1)
	v_cmp_eq_u32_e64 s0, 0, v1
	v_cndmask_b32_e64 v139, v2, v0, s0
; %bb.505:                              ;   in Loop: Header=BB201_31 Depth=1
	s_or_b32 exec_lo, exec_lo, s7
	v_add_co_u32 v0, s0, v112, v54
	s_delay_alu instid0(VALU_DEP_1)
	v_add_co_ci_u32_e64 v1, s0, 0, v113, s0
	flat_load_b128 v[0:3], v[0:1]
	s_waitcnt vmcnt(0) lgkmcnt(0)
	v_lshrrev_b32_e32 v141, 16, v0
	v_lshrrev_b32_e32 v143, 16, v1
	;; [unrolled: 1-line block ×4, first 2 shown]
	s_and_saveexec_b32 s7, vcc_lo
	s_cbranch_execz .LBB201_507
; %bb.506:                              ;   in Loop: Header=BB201_31 Depth=1
	v_cmp_lt_i32_e64 s0, v96, v82
	s_delay_alu instid0(VALU_DEP_1) | instskip(SKIP_1) | instid1(VALU_DEP_1)
	v_cndmask_b32_e64 v0, 0, v0, s0
	v_cmp_lt_i32_e64 s0, v103, v82
	v_cndmask_b32_e64 v141, 0, v141, s0
	v_cmp_lt_i32_e64 s0, v101, v82
	s_delay_alu instid0(VALU_DEP_1) | instskip(SKIP_1) | instid1(VALU_DEP_1)
	v_cndmask_b32_e64 v1, 0, v1, s0
	v_cmp_lt_i32_e64 s0, v100, v82
	v_cndmask_b32_e64 v143, 0, v143, s0
	;; [unrolled: 5-line block ×4, first 2 shown]
.LBB201_507:                            ;   in Loop: Header=BB201_31 Depth=1
	s_or_b32 exec_lo, exec_lo, s7
	v_lshlrev_b32_e32 v0, 16, v0
	s_delay_alu instid0(VALU_DEP_1) | instskip(NEXT) | instid1(VALU_DEP_1)
	v_mul_f32_e32 v0, v114, v0
	v_and_b32_e32 v140, 0x7f800000, v0
	s_delay_alu instid0(VALU_DEP_1) | instskip(NEXT) | instid1(VALU_DEP_1)
	v_cmp_ne_u32_e64 s0, 0x7f800000, v140
                                        ; implicit-def: $vgpr140
	s_and_saveexec_b32 s7, s0
	s_delay_alu instid0(SALU_CYCLE_1)
	s_xor_b32 s0, exec_lo, s7
; %bb.508:                              ;   in Loop: Header=BB201_31 Depth=1
	v_bfe_u32 v140, v0, 16, 1
	s_delay_alu instid0(VALU_DEP_1)
	v_add3_u32 v140, v0, v140, 0x7fff
                                        ; implicit-def: $vgpr0
; %bb.509:                              ;   in Loop: Header=BB201_31 Depth=1
	s_and_not1_saveexec_b32 s7, s0
; %bb.510:                              ;   in Loop: Header=BB201_31 Depth=1
	v_and_b32_e32 v140, 0xffff, v0
	v_or_b32_e32 v142, 0x10000, v0
	s_delay_alu instid0(VALU_DEP_2) | instskip(NEXT) | instid1(VALU_DEP_1)
	v_cmp_eq_u32_e64 s0, 0, v140
	v_cndmask_b32_e64 v140, v142, v0, s0
; %bb.511:                              ;   in Loop: Header=BB201_31 Depth=1
	s_or_b32 exec_lo, exec_lo, s7
	v_lshlrev_b32_e32 v0, 16, v141
	s_delay_alu instid0(VALU_DEP_1) | instskip(NEXT) | instid1(VALU_DEP_1)
	v_mul_f32_e32 v0, v115, v0
	v_and_b32_e32 v141, 0x7f800000, v0
	s_delay_alu instid0(VALU_DEP_1) | instskip(NEXT) | instid1(VALU_DEP_1)
	v_cmp_ne_u32_e64 s0, 0x7f800000, v141
                                        ; implicit-def: $vgpr141
	s_and_saveexec_b32 s7, s0
	s_delay_alu instid0(SALU_CYCLE_1)
	s_xor_b32 s0, exec_lo, s7
; %bb.512:                              ;   in Loop: Header=BB201_31 Depth=1
	v_bfe_u32 v141, v0, 16, 1
	s_delay_alu instid0(VALU_DEP_1)
	v_add3_u32 v141, v0, v141, 0x7fff
                                        ; implicit-def: $vgpr0
; %bb.513:                              ;   in Loop: Header=BB201_31 Depth=1
	s_and_not1_saveexec_b32 s7, s0
; %bb.514:                              ;   in Loop: Header=BB201_31 Depth=1
	v_and_b32_e32 v141, 0xffff, v0
	v_or_b32_e32 v142, 0x10000, v0
	s_delay_alu instid0(VALU_DEP_2) | instskip(NEXT) | instid1(VALU_DEP_1)
	v_cmp_eq_u32_e64 s0, 0, v141
	v_cndmask_b32_e64 v141, v142, v0, s0
; %bb.515:                              ;   in Loop: Header=BB201_31 Depth=1
	s_or_b32 exec_lo, exec_lo, s7
	v_lshlrev_b32_e32 v0, 16, v1
                                        ; implicit-def: $vgpr142
	s_delay_alu instid0(VALU_DEP_1) | instskip(NEXT) | instid1(VALU_DEP_1)
	v_mul_f32_e32 v0, v116, v0
	v_and_b32_e32 v1, 0x7f800000, v0
	s_delay_alu instid0(VALU_DEP_1) | instskip(NEXT) | instid1(VALU_DEP_1)
	v_cmp_ne_u32_e64 s0, 0x7f800000, v1
	s_and_saveexec_b32 s7, s0
	s_delay_alu instid0(SALU_CYCLE_1)
	s_xor_b32 s0, exec_lo, s7
; %bb.516:                              ;   in Loop: Header=BB201_31 Depth=1
	v_bfe_u32 v1, v0, 16, 1
	s_delay_alu instid0(VALU_DEP_1)
	v_add3_u32 v142, v0, v1, 0x7fff
                                        ; implicit-def: $vgpr0
; %bb.517:                              ;   in Loop: Header=BB201_31 Depth=1
	s_and_not1_saveexec_b32 s7, s0
; %bb.518:                              ;   in Loop: Header=BB201_31 Depth=1
	v_and_b32_e32 v1, 0xffff, v0
	v_or_b32_e32 v142, 0x10000, v0
	s_delay_alu instid0(VALU_DEP_2) | instskip(NEXT) | instid1(VALU_DEP_1)
	v_cmp_eq_u32_e64 s0, 0, v1
	v_cndmask_b32_e64 v142, v142, v0, s0
; %bb.519:                              ;   in Loop: Header=BB201_31 Depth=1
	s_or_b32 exec_lo, exec_lo, s7
	v_lshlrev_b32_e32 v0, 16, v143
                                        ; implicit-def: $vgpr143
	s_delay_alu instid0(VALU_DEP_1) | instskip(NEXT) | instid1(VALU_DEP_1)
	v_mul_f32_e32 v0, v117, v0
	v_and_b32_e32 v1, 0x7f800000, v0
	s_delay_alu instid0(VALU_DEP_1) | instskip(NEXT) | instid1(VALU_DEP_1)
	v_cmp_ne_u32_e64 s0, 0x7f800000, v1
	s_and_saveexec_b32 s7, s0
	s_delay_alu instid0(SALU_CYCLE_1)
	s_xor_b32 s0, exec_lo, s7
; %bb.520:                              ;   in Loop: Header=BB201_31 Depth=1
	v_bfe_u32 v1, v0, 16, 1
	s_delay_alu instid0(VALU_DEP_1)
	v_add3_u32 v143, v0, v1, 0x7fff
                                        ; implicit-def: $vgpr0
; %bb.521:                              ;   in Loop: Header=BB201_31 Depth=1
	s_and_not1_saveexec_b32 s7, s0
; %bb.522:                              ;   in Loop: Header=BB201_31 Depth=1
	v_and_b32_e32 v1, 0xffff, v0
	v_or_b32_e32 v143, 0x10000, v0
	s_delay_alu instid0(VALU_DEP_2) | instskip(NEXT) | instid1(VALU_DEP_1)
	v_cmp_eq_u32_e64 s0, 0, v1
	v_cndmask_b32_e64 v143, v143, v0, s0
; %bb.523:                              ;   in Loop: Header=BB201_31 Depth=1
	s_or_b32 exec_lo, exec_lo, s7
	v_lshlrev_b32_e32 v0, 16, v2
                                        ; implicit-def: $vgpr152
	s_delay_alu instid0(VALU_DEP_1) | instskip(NEXT) | instid1(VALU_DEP_1)
	v_mul_f32_e32 v0, v119, v0
	v_and_b32_e32 v1, 0x7f800000, v0
	s_delay_alu instid0(VALU_DEP_1) | instskip(NEXT) | instid1(VALU_DEP_1)
	v_cmp_ne_u32_e64 s0, 0x7f800000, v1
	s_and_saveexec_b32 s7, s0
	s_delay_alu instid0(SALU_CYCLE_1)
	s_xor_b32 s0, exec_lo, s7
; %bb.524:                              ;   in Loop: Header=BB201_31 Depth=1
	v_bfe_u32 v1, v0, 16, 1
	s_delay_alu instid0(VALU_DEP_1)
	v_add3_u32 v152, v0, v1, 0x7fff
                                        ; implicit-def: $vgpr0
; %bb.525:                              ;   in Loop: Header=BB201_31 Depth=1
	s_and_not1_saveexec_b32 s7, s0
; %bb.526:                              ;   in Loop: Header=BB201_31 Depth=1
	v_and_b32_e32 v1, 0xffff, v0
	v_or_b32_e32 v2, 0x10000, v0
	s_delay_alu instid0(VALU_DEP_2) | instskip(NEXT) | instid1(VALU_DEP_1)
	v_cmp_eq_u32_e64 s0, 0, v1
	v_cndmask_b32_e64 v152, v2, v0, s0
; %bb.527:                              ;   in Loop: Header=BB201_31 Depth=1
	s_or_b32 exec_lo, exec_lo, s7
	v_lshlrev_b32_e32 v0, 16, v153
                                        ; implicit-def: $vgpr153
	s_delay_alu instid0(VALU_DEP_1) | instskip(NEXT) | instid1(VALU_DEP_1)
	v_mul_f32_e32 v0, v128, v0
	v_and_b32_e32 v1, 0x7f800000, v0
	s_delay_alu instid0(VALU_DEP_1) | instskip(NEXT) | instid1(VALU_DEP_1)
	v_cmp_ne_u32_e64 s0, 0x7f800000, v1
	s_and_saveexec_b32 s7, s0
	s_delay_alu instid0(SALU_CYCLE_1)
	s_xor_b32 s0, exec_lo, s7
; %bb.528:                              ;   in Loop: Header=BB201_31 Depth=1
	v_bfe_u32 v1, v0, 16, 1
	s_delay_alu instid0(VALU_DEP_1)
	v_add3_u32 v153, v0, v1, 0x7fff
                                        ; implicit-def: $vgpr0
; %bb.529:                              ;   in Loop: Header=BB201_31 Depth=1
	s_and_not1_saveexec_b32 s7, s0
; %bb.530:                              ;   in Loop: Header=BB201_31 Depth=1
	v_and_b32_e32 v1, 0xffff, v0
	v_or_b32_e32 v2, 0x10000, v0
	s_delay_alu instid0(VALU_DEP_2) | instskip(NEXT) | instid1(VALU_DEP_1)
	v_cmp_eq_u32_e64 s0, 0, v1
	v_cndmask_b32_e64 v153, v2, v0, s0
; %bb.531:                              ;   in Loop: Header=BB201_31 Depth=1
	s_or_b32 exec_lo, exec_lo, s7
	v_lshlrev_b32_e32 v0, 16, v3
                                        ; implicit-def: $vgpr154
	s_delay_alu instid0(VALU_DEP_1) | instskip(NEXT) | instid1(VALU_DEP_1)
	v_mul_f32_e32 v0, v129, v0
	v_and_b32_e32 v1, 0x7f800000, v0
	s_delay_alu instid0(VALU_DEP_1) | instskip(NEXT) | instid1(VALU_DEP_1)
	v_cmp_ne_u32_e64 s0, 0x7f800000, v1
	s_and_saveexec_b32 s7, s0
	s_delay_alu instid0(SALU_CYCLE_1)
	s_xor_b32 s0, exec_lo, s7
; %bb.532:                              ;   in Loop: Header=BB201_31 Depth=1
	v_bfe_u32 v1, v0, 16, 1
	s_delay_alu instid0(VALU_DEP_1)
	v_add3_u32 v154, v0, v1, 0x7fff
                                        ; implicit-def: $vgpr0
; %bb.533:                              ;   in Loop: Header=BB201_31 Depth=1
	s_and_not1_saveexec_b32 s7, s0
; %bb.534:                              ;   in Loop: Header=BB201_31 Depth=1
	v_and_b32_e32 v1, 0xffff, v0
	v_or_b32_e32 v2, 0x10000, v0
	s_delay_alu instid0(VALU_DEP_2) | instskip(NEXT) | instid1(VALU_DEP_1)
	v_cmp_eq_u32_e64 s0, 0, v1
	v_cndmask_b32_e64 v154, v2, v0, s0
; %bb.535:                              ;   in Loop: Header=BB201_31 Depth=1
	s_or_b32 exec_lo, exec_lo, s7
	v_lshlrev_b32_e32 v0, 16, v22
                                        ; implicit-def: $vgpr155
	s_delay_alu instid0(VALU_DEP_1) | instskip(NEXT) | instid1(VALU_DEP_1)
	v_mul_f32_e32 v0, v130, v0
	v_and_b32_e32 v1, 0x7f800000, v0
	s_delay_alu instid0(VALU_DEP_1) | instskip(NEXT) | instid1(VALU_DEP_1)
	v_cmp_ne_u32_e64 s0, 0x7f800000, v1
	s_and_saveexec_b32 s7, s0
	s_delay_alu instid0(SALU_CYCLE_1)
	s_xor_b32 s0, exec_lo, s7
; %bb.536:                              ;   in Loop: Header=BB201_31 Depth=1
	v_bfe_u32 v1, v0, 16, 1
	s_delay_alu instid0(VALU_DEP_1)
	v_add3_u32 v155, v0, v1, 0x7fff
                                        ; implicit-def: $vgpr0
; %bb.537:                              ;   in Loop: Header=BB201_31 Depth=1
	s_and_not1_saveexec_b32 s7, s0
; %bb.538:                              ;   in Loop: Header=BB201_31 Depth=1
	v_and_b32_e32 v1, 0xffff, v0
	v_or_b32_e32 v2, 0x10000, v0
	s_delay_alu instid0(VALU_DEP_2) | instskip(NEXT) | instid1(VALU_DEP_1)
	v_cmp_eq_u32_e64 s0, 0, v1
	v_cndmask_b32_e64 v155, v2, v0, s0
; %bb.539:                              ;   in Loop: Header=BB201_31 Depth=1
	s_or_b32 exec_lo, exec_lo, s7
	v_add_co_u32 v0, s0, v112, v55
	s_delay_alu instid0(VALU_DEP_1)
	v_add_co_ci_u32_e64 v1, s0, 0, v113, s0
	flat_load_b128 v[0:3], v[0:1]
	s_waitcnt vmcnt(0) lgkmcnt(0)
	v_lshrrev_b32_e32 v157, 16, v0
	v_lshrrev_b32_e32 v22, 16, v1
	;; [unrolled: 1-line block ×4, first 2 shown]
	s_and_saveexec_b32 s7, vcc_lo
	s_cbranch_execz .LBB201_541
; %bb.540:                              ;   in Loop: Header=BB201_31 Depth=1
	v_cmp_lt_i32_e64 s0, v96, v82
	s_delay_alu instid0(VALU_DEP_1) | instskip(SKIP_1) | instid1(VALU_DEP_1)
	v_cndmask_b32_e64 v0, 0, v0, s0
	v_cmp_lt_i32_e64 s0, v103, v82
	v_cndmask_b32_e64 v157, 0, v157, s0
	v_cmp_lt_i32_e64 s0, v101, v82
	s_delay_alu instid0(VALU_DEP_1) | instskip(SKIP_1) | instid1(VALU_DEP_1)
	v_cndmask_b32_e64 v1, 0, v1, s0
	v_cmp_lt_i32_e64 s0, v100, v82
	v_cndmask_b32_e64 v22, 0, v22, s0
	;; [unrolled: 5-line block ×4, first 2 shown]
.LBB201_541:                            ;   in Loop: Header=BB201_31 Depth=1
	s_or_b32 exec_lo, exec_lo, s7
	v_lshlrev_b32_e32 v0, 16, v0
	s_delay_alu instid0(VALU_DEP_1) | instskip(NEXT) | instid1(VALU_DEP_1)
	v_mul_f32_e32 v0, v114, v0
	v_and_b32_e32 v156, 0x7f800000, v0
	s_delay_alu instid0(VALU_DEP_1) | instskip(NEXT) | instid1(VALU_DEP_1)
	v_cmp_ne_u32_e64 s0, 0x7f800000, v156
                                        ; implicit-def: $vgpr156
	s_and_saveexec_b32 s7, s0
	s_delay_alu instid0(SALU_CYCLE_1)
	s_xor_b32 s0, exec_lo, s7
; %bb.542:                              ;   in Loop: Header=BB201_31 Depth=1
	v_bfe_u32 v156, v0, 16, 1
	s_delay_alu instid0(VALU_DEP_1)
	v_add3_u32 v156, v0, v156, 0x7fff
                                        ; implicit-def: $vgpr0
; %bb.543:                              ;   in Loop: Header=BB201_31 Depth=1
	s_and_not1_saveexec_b32 s7, s0
; %bb.544:                              ;   in Loop: Header=BB201_31 Depth=1
	v_and_b32_e32 v156, 0xffff, v0
	v_or_b32_e32 v158, 0x10000, v0
	s_delay_alu instid0(VALU_DEP_2) | instskip(NEXT) | instid1(VALU_DEP_1)
	v_cmp_eq_u32_e64 s0, 0, v156
	v_cndmask_b32_e64 v156, v158, v0, s0
; %bb.545:                              ;   in Loop: Header=BB201_31 Depth=1
	s_or_b32 exec_lo, exec_lo, s7
	v_lshlrev_b32_e32 v0, 16, v157
	s_delay_alu instid0(VALU_DEP_1) | instskip(NEXT) | instid1(VALU_DEP_1)
	v_mul_f32_e32 v0, v115, v0
	v_and_b32_e32 v157, 0x7f800000, v0
	s_delay_alu instid0(VALU_DEP_1) | instskip(NEXT) | instid1(VALU_DEP_1)
	v_cmp_ne_u32_e64 s0, 0x7f800000, v157
                                        ; implicit-def: $vgpr157
	s_and_saveexec_b32 s7, s0
	s_delay_alu instid0(SALU_CYCLE_1)
	s_xor_b32 s0, exec_lo, s7
; %bb.546:                              ;   in Loop: Header=BB201_31 Depth=1
	v_bfe_u32 v157, v0, 16, 1
	s_delay_alu instid0(VALU_DEP_1)
	v_add3_u32 v157, v0, v157, 0x7fff
                                        ; implicit-def: $vgpr0
; %bb.547:                              ;   in Loop: Header=BB201_31 Depth=1
	s_and_not1_saveexec_b32 s7, s0
; %bb.548:                              ;   in Loop: Header=BB201_31 Depth=1
	v_and_b32_e32 v157, 0xffff, v0
	v_or_b32_e32 v158, 0x10000, v0
	s_delay_alu instid0(VALU_DEP_2) | instskip(NEXT) | instid1(VALU_DEP_1)
	v_cmp_eq_u32_e64 s0, 0, v157
	v_cndmask_b32_e64 v157, v158, v0, s0
; %bb.549:                              ;   in Loop: Header=BB201_31 Depth=1
	s_or_b32 exec_lo, exec_lo, s7
	v_lshlrev_b32_e32 v0, 16, v1
                                        ; implicit-def: $vgpr158
	s_delay_alu instid0(VALU_DEP_1) | instskip(NEXT) | instid1(VALU_DEP_1)
	v_mul_f32_e32 v0, v116, v0
	v_and_b32_e32 v1, 0x7f800000, v0
	s_delay_alu instid0(VALU_DEP_1) | instskip(NEXT) | instid1(VALU_DEP_1)
	v_cmp_ne_u32_e64 s0, 0x7f800000, v1
	s_and_saveexec_b32 s7, s0
	s_delay_alu instid0(SALU_CYCLE_1)
	s_xor_b32 s0, exec_lo, s7
; %bb.550:                              ;   in Loop: Header=BB201_31 Depth=1
	v_bfe_u32 v1, v0, 16, 1
	s_delay_alu instid0(VALU_DEP_1)
	v_add3_u32 v158, v0, v1, 0x7fff
                                        ; implicit-def: $vgpr0
; %bb.551:                              ;   in Loop: Header=BB201_31 Depth=1
	s_and_not1_saveexec_b32 s7, s0
; %bb.552:                              ;   in Loop: Header=BB201_31 Depth=1
	v_and_b32_e32 v1, 0xffff, v0
	v_or_b32_e32 v158, 0x10000, v0
	s_delay_alu instid0(VALU_DEP_2) | instskip(NEXT) | instid1(VALU_DEP_1)
	v_cmp_eq_u32_e64 s0, 0, v1
	v_cndmask_b32_e64 v158, v158, v0, s0
; %bb.553:                              ;   in Loop: Header=BB201_31 Depth=1
	s_or_b32 exec_lo, exec_lo, s7
	v_lshlrev_b32_e32 v0, 16, v22
                                        ; implicit-def: $vgpr159
	s_delay_alu instid0(VALU_DEP_1) | instskip(NEXT) | instid1(VALU_DEP_1)
	v_mul_f32_e32 v0, v117, v0
	v_and_b32_e32 v1, 0x7f800000, v0
	s_delay_alu instid0(VALU_DEP_1) | instskip(NEXT) | instid1(VALU_DEP_1)
	v_cmp_ne_u32_e64 s0, 0x7f800000, v1
	s_and_saveexec_b32 s7, s0
	s_delay_alu instid0(SALU_CYCLE_1)
	s_xor_b32 s0, exec_lo, s7
; %bb.554:                              ;   in Loop: Header=BB201_31 Depth=1
	v_bfe_u32 v1, v0, 16, 1
	s_delay_alu instid0(VALU_DEP_1)
	v_add3_u32 v159, v0, v1, 0x7fff
                                        ; implicit-def: $vgpr0
; %bb.555:                              ;   in Loop: Header=BB201_31 Depth=1
	s_and_not1_saveexec_b32 s7, s0
; %bb.556:                              ;   in Loop: Header=BB201_31 Depth=1
	v_and_b32_e32 v1, 0xffff, v0
	v_or_b32_e32 v22, 0x10000, v0
	s_delay_alu instid0(VALU_DEP_2) | instskip(NEXT) | instid1(VALU_DEP_1)
	v_cmp_eq_u32_e64 s0, 0, v1
	v_cndmask_b32_e64 v159, v22, v0, s0
; %bb.557:                              ;   in Loop: Header=BB201_31 Depth=1
	s_or_b32 exec_lo, exec_lo, s7
	v_lshlrev_b32_e32 v0, 16, v2
                                        ; implicit-def: $vgpr22
	s_delay_alu instid0(VALU_DEP_1) | instskip(NEXT) | instid1(VALU_DEP_1)
	v_mul_f32_e32 v0, v119, v0
	v_and_b32_e32 v1, 0x7f800000, v0
	s_delay_alu instid0(VALU_DEP_1) | instskip(NEXT) | instid1(VALU_DEP_1)
	v_cmp_ne_u32_e64 s0, 0x7f800000, v1
	s_and_saveexec_b32 s7, s0
	s_delay_alu instid0(SALU_CYCLE_1)
	s_xor_b32 s0, exec_lo, s7
; %bb.558:                              ;   in Loop: Header=BB201_31 Depth=1
	v_bfe_u32 v1, v0, 16, 1
	s_delay_alu instid0(VALU_DEP_1)
	v_add3_u32 v22, v0, v1, 0x7fff
                                        ; implicit-def: $vgpr0
; %bb.559:                              ;   in Loop: Header=BB201_31 Depth=1
	s_and_not1_saveexec_b32 s7, s0
; %bb.560:                              ;   in Loop: Header=BB201_31 Depth=1
	v_and_b32_e32 v1, 0xffff, v0
	v_or_b32_e32 v2, 0x10000, v0
	s_delay_alu instid0(VALU_DEP_2) | instskip(NEXT) | instid1(VALU_DEP_1)
	v_cmp_eq_u32_e64 s0, 0, v1
	v_cndmask_b32_e64 v22, v2, v0, s0
; %bb.561:                              ;   in Loop: Header=BB201_31 Depth=1
	s_or_b32 exec_lo, exec_lo, s7
	v_lshlrev_b32_e32 v0, 16, v168
                                        ; implicit-def: $vgpr168
	s_delay_alu instid0(VALU_DEP_1) | instskip(NEXT) | instid1(VALU_DEP_1)
	v_mul_f32_e32 v0, v128, v0
	v_and_b32_e32 v1, 0x7f800000, v0
	s_delay_alu instid0(VALU_DEP_1) | instskip(NEXT) | instid1(VALU_DEP_1)
	v_cmp_ne_u32_e64 s0, 0x7f800000, v1
	s_and_saveexec_b32 s7, s0
	s_delay_alu instid0(SALU_CYCLE_1)
	s_xor_b32 s0, exec_lo, s7
; %bb.562:                              ;   in Loop: Header=BB201_31 Depth=1
	v_bfe_u32 v1, v0, 16, 1
	s_delay_alu instid0(VALU_DEP_1)
	v_add3_u32 v168, v0, v1, 0x7fff
                                        ; implicit-def: $vgpr0
; %bb.563:                              ;   in Loop: Header=BB201_31 Depth=1
	s_and_not1_saveexec_b32 s7, s0
; %bb.564:                              ;   in Loop: Header=BB201_31 Depth=1
	v_and_b32_e32 v1, 0xffff, v0
	v_or_b32_e32 v2, 0x10000, v0
	s_delay_alu instid0(VALU_DEP_2) | instskip(NEXT) | instid1(VALU_DEP_1)
	v_cmp_eq_u32_e64 s0, 0, v1
	v_cndmask_b32_e64 v168, v2, v0, s0
; %bb.565:                              ;   in Loop: Header=BB201_31 Depth=1
	s_or_b32 exec_lo, exec_lo, s7
	v_lshlrev_b32_e32 v0, 16, v3
                                        ; implicit-def: $vgpr169
	s_delay_alu instid0(VALU_DEP_1) | instskip(NEXT) | instid1(VALU_DEP_1)
	v_mul_f32_e32 v0, v129, v0
	v_and_b32_e32 v1, 0x7f800000, v0
	s_delay_alu instid0(VALU_DEP_1) | instskip(NEXT) | instid1(VALU_DEP_1)
	v_cmp_ne_u32_e64 s0, 0x7f800000, v1
	s_and_saveexec_b32 s7, s0
	s_delay_alu instid0(SALU_CYCLE_1)
	s_xor_b32 s0, exec_lo, s7
; %bb.566:                              ;   in Loop: Header=BB201_31 Depth=1
	v_bfe_u32 v1, v0, 16, 1
	s_delay_alu instid0(VALU_DEP_1)
	v_add3_u32 v169, v0, v1, 0x7fff
                                        ; implicit-def: $vgpr0
; %bb.567:                              ;   in Loop: Header=BB201_31 Depth=1
	s_and_not1_saveexec_b32 s7, s0
; %bb.568:                              ;   in Loop: Header=BB201_31 Depth=1
	v_and_b32_e32 v1, 0xffff, v0
	v_or_b32_e32 v2, 0x10000, v0
	s_delay_alu instid0(VALU_DEP_2) | instskip(NEXT) | instid1(VALU_DEP_1)
	v_cmp_eq_u32_e64 s0, 0, v1
	v_cndmask_b32_e64 v169, v2, v0, s0
; %bb.569:                              ;   in Loop: Header=BB201_31 Depth=1
	s_or_b32 exec_lo, exec_lo, s7
	v_lshlrev_b32_e32 v0, 16, v170
                                        ; implicit-def: $vgpr170
	s_delay_alu instid0(VALU_DEP_1) | instskip(NEXT) | instid1(VALU_DEP_1)
	v_mul_f32_e32 v0, v130, v0
	v_and_b32_e32 v1, 0x7f800000, v0
	s_delay_alu instid0(VALU_DEP_1) | instskip(NEXT) | instid1(VALU_DEP_1)
	v_cmp_ne_u32_e64 s0, 0x7f800000, v1
	s_and_saveexec_b32 s7, s0
	s_delay_alu instid0(SALU_CYCLE_1)
	s_xor_b32 s0, exec_lo, s7
; %bb.570:                              ;   in Loop: Header=BB201_31 Depth=1
	v_bfe_u32 v1, v0, 16, 1
	s_delay_alu instid0(VALU_DEP_1)
	v_add3_u32 v170, v0, v1, 0x7fff
                                        ; implicit-def: $vgpr0
; %bb.571:                              ;   in Loop: Header=BB201_31 Depth=1
	s_and_not1_saveexec_b32 s7, s0
; %bb.572:                              ;   in Loop: Header=BB201_31 Depth=1
	v_and_b32_e32 v1, 0xffff, v0
	v_or_b32_e32 v2, 0x10000, v0
	s_delay_alu instid0(VALU_DEP_2) | instskip(NEXT) | instid1(VALU_DEP_1)
	v_cmp_eq_u32_e64 s0, 0, v1
	v_cndmask_b32_e64 v170, v2, v0, s0
; %bb.573:                              ;   in Loop: Header=BB201_31 Depth=1
	s_or_b32 exec_lo, exec_lo, s7
	v_add_co_u32 v0, s0, v112, v64
	s_delay_alu instid0(VALU_DEP_1)
	v_add_co_ci_u32_e64 v1, s0, 0, v113, s0
	flat_load_b128 v[0:3], v[0:1]
	s_waitcnt vmcnt(0) lgkmcnt(0)
	v_lshrrev_b32_e32 v172, 16, v0
	v_lshrrev_b32_e32 v171, 16, v1
	;; [unrolled: 1-line block ×4, first 2 shown]
	s_and_saveexec_b32 s0, vcc_lo
	s_cbranch_execz .LBB201_575
; %bb.574:                              ;   in Loop: Header=BB201_31 Depth=1
	v_cmp_lt_i32_e32 vcc_lo, v96, v82
	v_cndmask_b32_e32 v0, 0, v0, vcc_lo
	v_cmp_lt_i32_e32 vcc_lo, v103, v82
	v_cndmask_b32_e32 v172, 0, v172, vcc_lo
	;; [unrolled: 2-line block ×8, first 2 shown]
.LBB201_575:                            ;   in Loop: Header=BB201_31 Depth=1
	s_or_b32 exec_lo, exec_lo, s0
	v_lshlrev_b32_e32 v0, 16, v0
	s_delay_alu instid0(VALU_DEP_1) | instskip(NEXT) | instid1(VALU_DEP_1)
	v_mul_f32_e32 v96, v114, v0
	v_and_b32_e32 v0, 0x7f800000, v96
	s_delay_alu instid0(VALU_DEP_1) | instskip(SKIP_1) | instid1(SALU_CYCLE_1)
	v_cmp_ne_u32_e32 vcc_lo, 0x7f800000, v0
                                        ; implicit-def: $vgpr0
	s_and_saveexec_b32 s0, vcc_lo
	s_xor_b32 s0, exec_lo, s0
; %bb.576:                              ;   in Loop: Header=BB201_31 Depth=1
	v_bfe_u32 v0, v96, 16, 1
	s_delay_alu instid0(VALU_DEP_1)
	v_add3_u32 v0, v96, v0, 0x7fff
                                        ; implicit-def: $vgpr96
; %bb.577:                              ;   in Loop: Header=BB201_31 Depth=1
	s_and_not1_saveexec_b32 s0, s0
; %bb.578:                              ;   in Loop: Header=BB201_31 Depth=1
	v_and_b32_e32 v0, 0xffff, v96
	v_or_b32_e32 v98, 0x10000, v96
	s_delay_alu instid0(VALU_DEP_2) | instskip(NEXT) | instid1(VALU_DEP_2)
	v_cmp_eq_u32_e32 vcc_lo, 0, v0
	v_cndmask_b32_e32 v0, v98, v96, vcc_lo
; %bb.579:                              ;   in Loop: Header=BB201_31 Depth=1
	s_or_b32 exec_lo, exec_lo, s0
	v_lshlrev_b32_e32 v96, 16, v172
	s_delay_alu instid0(VALU_DEP_1) | instskip(NEXT) | instid1(VALU_DEP_1)
	v_mul_f32_e32 v98, v115, v96
	v_and_b32_e32 v96, 0x7f800000, v98
	s_delay_alu instid0(VALU_DEP_1) | instskip(SKIP_1) | instid1(SALU_CYCLE_1)
	v_cmp_ne_u32_e32 vcc_lo, 0x7f800000, v96
                                        ; implicit-def: $vgpr96
	s_and_saveexec_b32 s0, vcc_lo
	s_xor_b32 s0, exec_lo, s0
; %bb.580:                              ;   in Loop: Header=BB201_31 Depth=1
	v_bfe_u32 v96, v98, 16, 1
	s_delay_alu instid0(VALU_DEP_1)
	v_add3_u32 v96, v98, v96, 0x7fff
                                        ; implicit-def: $vgpr98
; %bb.581:                              ;   in Loop: Header=BB201_31 Depth=1
	s_and_not1_saveexec_b32 s0, s0
; %bb.582:                              ;   in Loop: Header=BB201_31 Depth=1
	v_and_b32_e32 v96, 0xffff, v98
	v_or_b32_e32 v99, 0x10000, v98
	s_delay_alu instid0(VALU_DEP_2) | instskip(NEXT) | instid1(VALU_DEP_2)
	v_cmp_eq_u32_e32 vcc_lo, 0, v96
	v_cndmask_b32_e32 v96, v99, v98, vcc_lo
; %bb.583:                              ;   in Loop: Header=BB201_31 Depth=1
	s_or_b32 exec_lo, exec_lo, s0
	v_lshlrev_b32_e32 v1, 16, v1
	s_delay_alu instid0(VALU_DEP_1) | instskip(NEXT) | instid1(VALU_DEP_1)
	v_mul_f32_e32 v98, v116, v1
	v_and_b32_e32 v1, 0x7f800000, v98
	s_delay_alu instid0(VALU_DEP_1) | instskip(SKIP_1) | instid1(SALU_CYCLE_1)
	v_cmp_ne_u32_e32 vcc_lo, 0x7f800000, v1
                                        ; implicit-def: $vgpr1
	s_and_saveexec_b32 s0, vcc_lo
	s_xor_b32 s0, exec_lo, s0
; %bb.584:                              ;   in Loop: Header=BB201_31 Depth=1
	v_bfe_u32 v1, v98, 16, 1
	s_delay_alu instid0(VALU_DEP_1)
	v_add3_u32 v1, v98, v1, 0x7fff
                                        ; implicit-def: $vgpr98
; %bb.585:                              ;   in Loop: Header=BB201_31 Depth=1
	s_and_not1_saveexec_b32 s0, s0
; %bb.586:                              ;   in Loop: Header=BB201_31 Depth=1
	v_and_b32_e32 v1, 0xffff, v98
	v_or_b32_e32 v99, 0x10000, v98
	s_delay_alu instid0(VALU_DEP_2) | instskip(NEXT) | instid1(VALU_DEP_2)
	v_cmp_eq_u32_e32 vcc_lo, 0, v1
	v_cndmask_b32_e32 v1, v99, v98, vcc_lo
; %bb.587:                              ;   in Loop: Header=BB201_31 Depth=1
	s_or_b32 exec_lo, exec_lo, s0
	v_lshlrev_b32_e32 v98, 16, v171
	s_delay_alu instid0(VALU_DEP_1) | instskip(NEXT) | instid1(VALU_DEP_1)
	v_mul_f32_e32 v99, v117, v98
	v_and_b32_e32 v98, 0x7f800000, v99
	s_delay_alu instid0(VALU_DEP_1) | instskip(SKIP_1) | instid1(SALU_CYCLE_1)
	v_cmp_ne_u32_e32 vcc_lo, 0x7f800000, v98
                                        ; implicit-def: $vgpr98
	s_and_saveexec_b32 s0, vcc_lo
	s_xor_b32 s0, exec_lo, s0
; %bb.588:                              ;   in Loop: Header=BB201_31 Depth=1
	v_bfe_u32 v98, v99, 16, 1
	s_delay_alu instid0(VALU_DEP_1)
	v_add3_u32 v98, v99, v98, 0x7fff
                                        ; implicit-def: $vgpr99
; %bb.589:                              ;   in Loop: Header=BB201_31 Depth=1
	s_and_not1_saveexec_b32 s0, s0
; %bb.590:                              ;   in Loop: Header=BB201_31 Depth=1
	v_and_b32_e32 v98, 0xffff, v99
	v_or_b32_e32 v100, 0x10000, v99
	s_delay_alu instid0(VALU_DEP_2) | instskip(NEXT) | instid1(VALU_DEP_2)
	v_cmp_eq_u32_e32 vcc_lo, 0, v98
	v_cndmask_b32_e32 v98, v100, v99, vcc_lo
; %bb.591:                              ;   in Loop: Header=BB201_31 Depth=1
	s_or_b32 exec_lo, exec_lo, s0
	v_lshlrev_b32_e32 v2, 16, v2
	s_delay_alu instid0(VALU_DEP_1) | instskip(NEXT) | instid1(VALU_DEP_1)
	v_mul_f32_e32 v99, v119, v2
	v_and_b32_e32 v2, 0x7f800000, v99
	s_delay_alu instid0(VALU_DEP_1) | instskip(SKIP_1) | instid1(SALU_CYCLE_1)
	v_cmp_ne_u32_e32 vcc_lo, 0x7f800000, v2
                                        ; implicit-def: $vgpr2
	s_and_saveexec_b32 s0, vcc_lo
	s_xor_b32 s0, exec_lo, s0
; %bb.592:                              ;   in Loop: Header=BB201_31 Depth=1
	v_bfe_u32 v2, v99, 16, 1
	s_delay_alu instid0(VALU_DEP_1)
	v_add3_u32 v2, v99, v2, 0x7fff
                                        ; implicit-def: $vgpr99
; %bb.593:                              ;   in Loop: Header=BB201_31 Depth=1
	s_and_not1_saveexec_b32 s0, s0
; %bb.594:                              ;   in Loop: Header=BB201_31 Depth=1
	v_and_b32_e32 v2, 0xffff, v99
	v_or_b32_e32 v100, 0x10000, v99
	s_delay_alu instid0(VALU_DEP_2) | instskip(NEXT) | instid1(VALU_DEP_2)
	v_cmp_eq_u32_e32 vcc_lo, 0, v2
	v_cndmask_b32_e32 v2, v100, v99, vcc_lo
; %bb.595:                              ;   in Loop: Header=BB201_31 Depth=1
	s_or_b32 exec_lo, exec_lo, s0
	v_lshlrev_b32_e32 v99, 16, v113
	s_delay_alu instid0(VALU_DEP_1) | instskip(NEXT) | instid1(VALU_DEP_1)
	v_mul_f32_e32 v100, v128, v99
	v_and_b32_e32 v99, 0x7f800000, v100
	s_delay_alu instid0(VALU_DEP_1) | instskip(SKIP_1) | instid1(SALU_CYCLE_1)
	v_cmp_ne_u32_e32 vcc_lo, 0x7f800000, v99
                                        ; implicit-def: $vgpr99
	s_and_saveexec_b32 s0, vcc_lo
	s_xor_b32 s0, exec_lo, s0
; %bb.596:                              ;   in Loop: Header=BB201_31 Depth=1
	v_bfe_u32 v99, v100, 16, 1
	s_delay_alu instid0(VALU_DEP_1)
	v_add3_u32 v99, v100, v99, 0x7fff
                                        ; implicit-def: $vgpr100
; %bb.597:                              ;   in Loop: Header=BB201_31 Depth=1
	s_and_not1_saveexec_b32 s0, s0
; %bb.598:                              ;   in Loop: Header=BB201_31 Depth=1
	v_and_b32_e32 v99, 0xffff, v100
	v_or_b32_e32 v101, 0x10000, v100
	s_delay_alu instid0(VALU_DEP_2) | instskip(NEXT) | instid1(VALU_DEP_2)
	v_cmp_eq_u32_e32 vcc_lo, 0, v99
	v_cndmask_b32_e32 v99, v101, v100, vcc_lo
; %bb.599:                              ;   in Loop: Header=BB201_31 Depth=1
	s_or_b32 exec_lo, exec_lo, s0
	v_lshlrev_b32_e32 v3, 16, v3
	s_delay_alu instid0(VALU_DEP_1) | instskip(NEXT) | instid1(VALU_DEP_1)
	v_mul_f32_e32 v100, v129, v3
	v_and_b32_e32 v3, 0x7f800000, v100
	s_delay_alu instid0(VALU_DEP_1) | instskip(SKIP_1) | instid1(SALU_CYCLE_1)
	v_cmp_ne_u32_e32 vcc_lo, 0x7f800000, v3
                                        ; implicit-def: $vgpr3
	s_and_saveexec_b32 s0, vcc_lo
	s_xor_b32 s0, exec_lo, s0
; %bb.600:                              ;   in Loop: Header=BB201_31 Depth=1
	v_bfe_u32 v3, v100, 16, 1
	s_delay_alu instid0(VALU_DEP_1)
	v_add3_u32 v3, v100, v3, 0x7fff
                                        ; implicit-def: $vgpr100
; %bb.601:                              ;   in Loop: Header=BB201_31 Depth=1
	s_and_not1_saveexec_b32 s0, s0
; %bb.602:                              ;   in Loop: Header=BB201_31 Depth=1
	v_and_b32_e32 v3, 0xffff, v100
	v_or_b32_e32 v101, 0x10000, v100
	s_delay_alu instid0(VALU_DEP_2) | instskip(NEXT) | instid1(VALU_DEP_2)
	v_cmp_eq_u32_e32 vcc_lo, 0, v3
	v_cndmask_b32_e32 v3, v101, v100, vcc_lo
; %bb.603:                              ;   in Loop: Header=BB201_31 Depth=1
	s_or_b32 exec_lo, exec_lo, s0
	v_lshlrev_b32_e32 v100, 16, v112
	s_delay_alu instid0(VALU_DEP_1) | instskip(NEXT) | instid1(VALU_DEP_1)
	v_mul_f32_e32 v101, v130, v100
	v_and_b32_e32 v100, 0x7f800000, v101
	s_delay_alu instid0(VALU_DEP_1) | instskip(SKIP_1) | instid1(SALU_CYCLE_1)
	v_cmp_ne_u32_e32 vcc_lo, 0x7f800000, v100
                                        ; implicit-def: $vgpr100
	s_and_saveexec_b32 s0, vcc_lo
	s_xor_b32 s0, exec_lo, s0
; %bb.604:                              ;   in Loop: Header=BB201_31 Depth=1
	v_bfe_u32 v100, v101, 16, 1
	s_delay_alu instid0(VALU_DEP_1)
	v_add3_u32 v100, v101, v100, 0x7fff
                                        ; implicit-def: $vgpr101
; %bb.605:                              ;   in Loop: Header=BB201_31 Depth=1
	s_and_not1_saveexec_b32 s0, s0
	s_cbranch_execz .LBB201_30
; %bb.606:                              ;   in Loop: Header=BB201_31 Depth=1
	v_and_b32_e32 v100, 0xffff, v101
	v_or_b32_e32 v102, 0x10000, v101
	s_delay_alu instid0(VALU_DEP_2) | instskip(NEXT) | instid1(VALU_DEP_2)
	v_cmp_eq_u32_e32 vcc_lo, 0, v100
	v_cndmask_b32_e32 v100, v102, v101, vcc_lo
	s_branch .LBB201_30
.LBB201_607:
	s_or_b32 exec_lo, exec_lo, s3
	v_dual_mov_b32 v0, s10 :: v_dual_mov_b32 v1, s11
	v_dual_mov_b32 v49, v185 :: v_dual_mov_b32 v38, v186
.LBB201_608:
	s_or_b32 exec_lo, exec_lo, s2
	s_delay_alu instid0(VALU_DEP_2)
	v_lshlrev_b64 v[0:1], 2, v[0:1]
	s_getpc_b64 s[2:3]
	s_add_u32 s2, s2, llvm.amdgcn.dynlds.offset.table@rel32@lo+4
	s_addc_u32 s3, s3, llvm.amdgcn.dynlds.offset.table@rel32@hi+12
	s_waitcnt lgkmcnt(0)
	s_waitcnt_vscnt null, 0x0
	s_barrier
	buffer_gl0_inv
	ds_bpermute_b32 v4, v16, v34
	v_add_co_u32 v0, vcc_lo, v0, s2
	v_add_co_ci_u32_e32 v1, vcc_lo, s3, v1, vcc_lo
	ds_bpermute_b32 v5, v16, v32
	ds_bpermute_b32 v2, v16, v36
	ds_bpermute_b32 v3, v16, v35
	global_load_b32 v1, v[0:1], off
	ds_bpermute_b32 v0, v16, v33
	ds_bpermute_b32 v6, v16, v31
	;; [unrolled: 1-line block ×12, first 2 shown]
	s_waitcnt lgkmcnt(15)
	v_add_f32_e32 v4, v34, v4
	s_mov_b32 s0, exec_lo
	s_waitcnt lgkmcnt(14)
	v_add_f32_e32 v5, v32, v5
	s_waitcnt lgkmcnt(12)
	v_dual_add_f32 v2, v36, v2 :: v_dual_add_f32 v3, v35, v3
	s_waitcnt lgkmcnt(11)
	v_add_f32_e32 v0, v33, v0
	s_waitcnt lgkmcnt(9)
	v_dual_add_f32 v6, v31, v6 :: v_dual_add_f32 v7, v30, v7
	s_waitcnt lgkmcnt(7)
	v_dual_add_f32 v8, v29, v8 :: v_dual_add_f32 v9, v28, v9
	;; [unrolled: 2-line block ×4, first 2 shown]
	s_waitcnt lgkmcnt(2)
	v_add_f32_e32 v23, v23, v15
	s_waitcnt lgkmcnt(1)
	v_add_f32_e32 v19, v19, v20
	ds_bpermute_b32 v26, v13, v5
	s_waitcnt lgkmcnt(1)
	v_add_f32_e32 v20, v18, v16
	ds_bpermute_b32 v10, v13, v0
	ds_bpermute_b32 v11, v13, v2
	;; [unrolled: 1-line block ×14, first 2 shown]
	v_lshrrev_b32_e32 v18, 2, v38
	v_and_b32_e32 v38, 0x3c3, v175
	ds_bpermute_b32 v36, v13, v19
	s_waitcnt lgkmcnt(15)
	v_add_f32_e32 v13, v5, v26
	s_waitcnt lgkmcnt(14)
	v_add_f32_e32 v0, v0, v10
	s_waitcnt lgkmcnt(12)
	v_dual_add_f32 v16, v2, v11 :: v_dual_add_f32 v15, v3, v12
	s_waitcnt lgkmcnt(11)
	v_add_f32_e32 v14, v4, v14
	s_waitcnt lgkmcnt(9)
	v_dual_add_f32 v12, v6, v27 :: v_dual_add_f32 v11, v7, v28
	s_waitcnt lgkmcnt(7)
	v_dual_add_f32 v10, v8, v29 :: v_dual_add_f32 v9, v9, v30
	;; [unrolled: 2-line block ×4, first 2 shown]
	s_waitcnt lgkmcnt(2)
	v_add_f32_e32 v4, v23, v35
	s_waitcnt lgkmcnt(0)
	v_dual_add_f32 v2, v20, v37 :: v_dual_add_f32 v3, v19, v36
	s_waitcnt vmcnt(0)
	v_lshl_add_u32 v19, v49, 9, v1
	v_cmpx_eq_u32_e32 64, v38
	s_cbranch_execz .LBB201_610
; %bb.609:
	v_lshlrev_b32_e32 v20, 2, v18
	s_delay_alu instid0(VALU_DEP_1)
	v_add3_u32 v20, v19, v20, 0xfffffc00
	ds_store_2addr_b32 v20, v0, v16 offset1:8
	ds_store_2addr_b32 v20, v15, v14 offset0:16 offset1:24
	ds_store_2addr_b32 v20, v13, v12 offset0:32 offset1:40
	;; [unrolled: 1-line block ×7, first 2 shown]
.LBB201_610:
	s_or_b32 exec_lo, exec_lo, s0
	v_cmp_eq_u32_e32 vcc_lo, 0, v17
	s_mov_b32 s2, exec_lo
	s_waitcnt lgkmcnt(0)
	s_barrier
	buffer_gl0_inv
	v_cmpx_gt_u32_e32 64, v175
	s_cbranch_execz .LBB201_629
; %bb.611:
	s_and_saveexec_b32 s0, vcc_lo
	s_cbranch_execnz .LBB201_718
; %bb.612:
	s_or_b32 exec_lo, exec_lo, s0
	s_and_saveexec_b32 s0, vcc_lo
	s_cbranch_execnz .LBB201_719
.LBB201_613:
	s_or_b32 exec_lo, exec_lo, s0
	s_and_saveexec_b32 s0, vcc_lo
	s_cbranch_execnz .LBB201_720
.LBB201_614:
	s_or_b32 exec_lo, exec_lo, s0
	s_and_saveexec_b32 s0, vcc_lo
	s_cbranch_execnz .LBB201_721
.LBB201_615:
	s_or_b32 exec_lo, exec_lo, s0
	s_and_saveexec_b32 s0, vcc_lo
	s_cbranch_execnz .LBB201_722
.LBB201_616:
	s_or_b32 exec_lo, exec_lo, s0
	s_and_saveexec_b32 s0, vcc_lo
	s_cbranch_execnz .LBB201_723
.LBB201_617:
	s_or_b32 exec_lo, exec_lo, s0
	s_and_saveexec_b32 s0, vcc_lo
	s_cbranch_execnz .LBB201_724
.LBB201_618:
	s_or_b32 exec_lo, exec_lo, s0
	s_and_saveexec_b32 s0, vcc_lo
	s_cbranch_execnz .LBB201_725
.LBB201_619:
	s_or_b32 exec_lo, exec_lo, s0
	s_and_saveexec_b32 s0, vcc_lo
	s_cbranch_execnz .LBB201_726
.LBB201_620:
	s_or_b32 exec_lo, exec_lo, s0
	s_and_saveexec_b32 s0, vcc_lo
	s_cbranch_execnz .LBB201_727
.LBB201_621:
	s_or_b32 exec_lo, exec_lo, s0
	s_and_saveexec_b32 s0, vcc_lo
	s_cbranch_execnz .LBB201_728
.LBB201_622:
	s_or_b32 exec_lo, exec_lo, s0
	s_and_saveexec_b32 s0, vcc_lo
	s_cbranch_execnz .LBB201_729
.LBB201_623:
	s_or_b32 exec_lo, exec_lo, s0
	s_and_saveexec_b32 s0, vcc_lo
	s_cbranch_execnz .LBB201_730
.LBB201_624:
	s_or_b32 exec_lo, exec_lo, s0
	s_and_saveexec_b32 s0, vcc_lo
	s_cbranch_execnz .LBB201_731
.LBB201_625:
	s_or_b32 exec_lo, exec_lo, s0
	s_and_saveexec_b32 s0, vcc_lo
	s_cbranch_execnz .LBB201_732
.LBB201_626:
	s_or_b32 exec_lo, exec_lo, s0
	s_and_saveexec_b32 s0, vcc_lo
	s_cbranch_execz .LBB201_628
.LBB201_627:
	v_lshl_add_u32 v17, v18, 2, v19
	ds_load_b32 v17, v17 offset:480
	s_waitcnt lgkmcnt(0)
	v_add_f32_e32 v2, v17, v2
.LBB201_628:
	s_or_b32 exec_lo, exec_lo, s0
.LBB201_629:
	s_delay_alu instid0(SALU_CYCLE_1)
	s_or_b32 exec_lo, exec_lo, s2
	v_and_b32_e32 v17, 0x3e3, v175
	s_mov_b32 s2, exec_lo
	s_barrier
	buffer_gl0_inv
	v_cmpx_eq_u32_e32 32, v17
	s_cbranch_execz .LBB201_631
; %bb.630:
	v_lshl_add_u32 v1, v18, 2, v1
	ds_store_2addr_b32 v1, v0, v16 offset1:8
	ds_store_2addr_b32 v1, v15, v14 offset0:16 offset1:24
	ds_store_2addr_b32 v1, v13, v12 offset0:32 offset1:40
	;; [unrolled: 1-line block ×7, first 2 shown]
.LBB201_631:
	s_or_b32 exec_lo, exec_lo, s2
	v_cmp_gt_u32_e64 s0, 32, v175
	s_waitcnt lgkmcnt(0)
	s_barrier
	buffer_gl0_inv
	s_and_saveexec_b32 s2, s0
	s_cbranch_execz .LBB201_650
; %bb.632:
	v_lshl_add_u32 v1, v18, 2, v19
	s_and_saveexec_b32 s3, vcc_lo
	s_cbranch_execnz .LBB201_733
; %bb.633:
	s_or_b32 exec_lo, exec_lo, s3
	s_and_saveexec_b32 s3, vcc_lo
	s_cbranch_execnz .LBB201_734
.LBB201_634:
	s_or_b32 exec_lo, exec_lo, s3
	s_and_saveexec_b32 s3, vcc_lo
	s_cbranch_execnz .LBB201_735
.LBB201_635:
	s_or_b32 exec_lo, exec_lo, s3
	s_and_saveexec_b32 s3, vcc_lo
	s_cbranch_execnz .LBB201_736
.LBB201_636:
	s_or_b32 exec_lo, exec_lo, s3
	s_and_saveexec_b32 s3, vcc_lo
	s_cbranch_execnz .LBB201_737
.LBB201_637:
	s_or_b32 exec_lo, exec_lo, s3
	s_and_saveexec_b32 s3, vcc_lo
	s_cbranch_execnz .LBB201_738
.LBB201_638:
	s_or_b32 exec_lo, exec_lo, s3
	s_and_saveexec_b32 s3, vcc_lo
	s_cbranch_execnz .LBB201_739
.LBB201_639:
	s_or_b32 exec_lo, exec_lo, s3
	s_and_saveexec_b32 s3, vcc_lo
	s_cbranch_execnz .LBB201_740
.LBB201_640:
	s_or_b32 exec_lo, exec_lo, s3
	s_and_saveexec_b32 s3, vcc_lo
	s_cbranch_execnz .LBB201_741
.LBB201_641:
	s_or_b32 exec_lo, exec_lo, s3
	s_and_saveexec_b32 s3, vcc_lo
	s_cbranch_execnz .LBB201_742
.LBB201_642:
	s_or_b32 exec_lo, exec_lo, s3
	s_and_saveexec_b32 s3, vcc_lo
	s_cbranch_execnz .LBB201_743
.LBB201_643:
	s_or_b32 exec_lo, exec_lo, s3
	s_and_saveexec_b32 s3, vcc_lo
	s_cbranch_execnz .LBB201_744
.LBB201_644:
	s_or_b32 exec_lo, exec_lo, s3
	s_and_saveexec_b32 s3, vcc_lo
	s_cbranch_execnz .LBB201_745
.LBB201_645:
	s_or_b32 exec_lo, exec_lo, s3
	s_and_saveexec_b32 s3, vcc_lo
	s_cbranch_execnz .LBB201_746
.LBB201_646:
	s_or_b32 exec_lo, exec_lo, s3
	s_and_saveexec_b32 s3, vcc_lo
	s_cbranch_execnz .LBB201_747
.LBB201_647:
	s_or_b32 exec_lo, exec_lo, s3
	s_and_saveexec_b32 s3, vcc_lo
	s_cbranch_execz .LBB201_649
.LBB201_648:
	ds_load_b32 v1, v1 offset:480
	s_waitcnt lgkmcnt(0)
	v_add_f32_e32 v2, v1, v2
.LBB201_649:
	s_or_b32 exec_lo, exec_lo, s3
.LBB201_650:
	s_delay_alu instid0(SALU_CYCLE_1)
	s_or_b32 exec_lo, exec_lo, s2
	s_barrier
	buffer_gl0_inv
	s_and_b32 exec_lo, exec_lo, s0
	s_cbranch_execz .LBB201_717
; %bb.651:
	s_and_b32 exec_lo, exec_lo, vcc_lo
	s_cbranch_execz .LBB201_717
; %bb.652:
	v_and_b32_e32 v1, 0x7f800000, v0
	s_mov_b32 s0, exec_lo
                                        ; implicit-def: $vgpr17
	s_delay_alu instid0(VALU_DEP_1)
	v_cmpx_ne_u32_e32 0x7f800000, v1
	s_xor_b32 s0, exec_lo, s0
; %bb.653:
	v_bfe_u32 v1, v0, 16, 1
	s_delay_alu instid0(VALU_DEP_1)
	v_add3_u32 v17, v0, v1, 0x7fff
                                        ; implicit-def: $vgpr0
; %bb.654:
	s_and_not1_saveexec_b32 s0, s0
; %bb.655:
	v_and_b32_e32 v1, 0xffff, v0
	v_or_b32_e32 v17, 0x10000, v0
	s_delay_alu instid0(VALU_DEP_2) | instskip(NEXT) | instid1(VALU_DEP_2)
	v_cmp_eq_u32_e32 vcc_lo, 0, v1
	v_cndmask_b32_e32 v17, v17, v0, vcc_lo
; %bb.656:
	s_or_b32 exec_lo, exec_lo, s0
	s_mul_i32 s2, s1, s4
	s_mul_i32 s0, s6, s1
	;; [unrolled: 1-line block ×3, first 2 shown]
	s_lshl_b32 s2, s14, 7
	s_lshl_b32 s6, s1, 7
	s_ashr_i32 s1, s0, 31
	s_ashr_i32 s3, s2, 31
	;; [unrolled: 1-line block ×3, first 2 shown]
	s_lshl_b64 s[0:1], s[0:1], 1
	s_lshl_b64 s[2:3], s[2:3], 1
	;; [unrolled: 1-line block ×3, first 2 shown]
	v_lshrrev_b32_e32 v0, 1, v175
	s_add_u32 s0, s2, s0
	s_addc_u32 s1, s3, s1
	s_add_u32 s0, s0, s6
	s_addc_u32 s1, s1, s7
	v_and_b32_e32 v0, 0x1fe, v0
	v_add_co_u32 v1, vcc_lo, s0, v174
	v_add_co_ci_u32_e32 v18, vcc_lo, s1, v173, vcc_lo
	v_and_b32_e32 v19, 0x7f800000, v16
	s_delay_alu instid0(VALU_DEP_3) | instskip(NEXT) | instid1(VALU_DEP_3)
	v_add_co_u32 v0, vcc_lo, v1, v0
	v_add_co_ci_u32_e32 v1, vcc_lo, 0, v18, vcc_lo
	s_mov_b32 s0, exec_lo
	flat_store_d16_hi_b16 v[0:1], v17
                                        ; implicit-def: $vgpr17
	v_cmpx_ne_u32_e32 0x7f800000, v19
	s_xor_b32 s0, exec_lo, s0
; %bb.657:
	v_bfe_u32 v17, v16, 16, 1
	s_delay_alu instid0(VALU_DEP_1)
	v_add3_u32 v17, v16, v17, 0x7fff
                                        ; implicit-def: $vgpr16
; %bb.658:
	s_and_not1_saveexec_b32 s0, s0
; %bb.659:
	v_and_b32_e32 v17, 0xffff, v16
	v_or_b32_e32 v18, 0x10000, v16
	s_delay_alu instid0(VALU_DEP_2) | instskip(NEXT) | instid1(VALU_DEP_2)
	v_cmp_eq_u32_e32 vcc_lo, 0, v17
	v_cndmask_b32_e32 v17, v18, v16, vcc_lo
; %bb.660:
	s_or_b32 exec_lo, exec_lo, s0
	v_and_b32_e32 v16, 0x7f800000, v15
	flat_store_d16_hi_b16 v[0:1], v17 offset:16
	v_cmp_ne_u32_e32 vcc_lo, 0x7f800000, v16
                                        ; implicit-def: $vgpr16
	s_and_saveexec_b32 s0, vcc_lo
	s_delay_alu instid0(SALU_CYCLE_1)
	s_xor_b32 s0, exec_lo, s0
; %bb.661:
	v_bfe_u32 v16, v15, 16, 1
	s_delay_alu instid0(VALU_DEP_1)
	v_add3_u32 v16, v15, v16, 0x7fff
                                        ; implicit-def: $vgpr15
; %bb.662:
	s_and_not1_saveexec_b32 s0, s0
; %bb.663:
	v_and_b32_e32 v16, 0xffff, v15
	v_or_b32_e32 v17, 0x10000, v15
	s_delay_alu instid0(VALU_DEP_2) | instskip(NEXT) | instid1(VALU_DEP_2)
	v_cmp_eq_u32_e32 vcc_lo, 0, v16
	v_cndmask_b32_e32 v16, v17, v15, vcc_lo
; %bb.664:
	s_or_b32 exec_lo, exec_lo, s0
	v_and_b32_e32 v15, 0x7f800000, v14
	flat_store_d16_hi_b16 v[0:1], v16 offset:32
	v_cmp_ne_u32_e32 vcc_lo, 0x7f800000, v15
                                        ; implicit-def: $vgpr15
	s_and_saveexec_b32 s0, vcc_lo
	s_delay_alu instid0(SALU_CYCLE_1)
	s_xor_b32 s0, exec_lo, s0
; %bb.665:
	v_bfe_u32 v15, v14, 16, 1
	s_delay_alu instid0(VALU_DEP_1)
	v_add3_u32 v15, v14, v15, 0x7fff
                                        ; implicit-def: $vgpr14
; %bb.666:
	s_and_not1_saveexec_b32 s0, s0
; %bb.667:
	v_and_b32_e32 v15, 0xffff, v14
	v_or_b32_e32 v16, 0x10000, v14
	s_delay_alu instid0(VALU_DEP_2) | instskip(NEXT) | instid1(VALU_DEP_2)
	v_cmp_eq_u32_e32 vcc_lo, 0, v15
	v_cndmask_b32_e32 v15, v16, v14, vcc_lo
; %bb.668:
	s_or_b32 exec_lo, exec_lo, s0
	v_and_b32_e32 v14, 0x7f800000, v13
	flat_store_d16_hi_b16 v[0:1], v15 offset:48
	v_cmp_ne_u32_e32 vcc_lo, 0x7f800000, v14
                                        ; implicit-def: $vgpr14
	s_and_saveexec_b32 s0, vcc_lo
	s_delay_alu instid0(SALU_CYCLE_1)
	s_xor_b32 s0, exec_lo, s0
; %bb.669:
	v_bfe_u32 v14, v13, 16, 1
	s_delay_alu instid0(VALU_DEP_1)
	v_add3_u32 v14, v13, v14, 0x7fff
                                        ; implicit-def: $vgpr13
; %bb.670:
	s_and_not1_saveexec_b32 s0, s0
; %bb.671:
	v_and_b32_e32 v14, 0xffff, v13
	v_or_b32_e32 v15, 0x10000, v13
	s_delay_alu instid0(VALU_DEP_2) | instskip(NEXT) | instid1(VALU_DEP_2)
	v_cmp_eq_u32_e32 vcc_lo, 0, v14
	v_cndmask_b32_e32 v14, v15, v13, vcc_lo
; %bb.672:
	s_or_b32 exec_lo, exec_lo, s0
	v_and_b32_e32 v13, 0x7f800000, v12
	flat_store_d16_hi_b16 v[0:1], v14 offset:64
	v_cmp_ne_u32_e32 vcc_lo, 0x7f800000, v13
                                        ; implicit-def: $vgpr13
	s_and_saveexec_b32 s0, vcc_lo
	s_delay_alu instid0(SALU_CYCLE_1)
	s_xor_b32 s0, exec_lo, s0
; %bb.673:
	v_bfe_u32 v13, v12, 16, 1
	s_delay_alu instid0(VALU_DEP_1)
	v_add3_u32 v13, v12, v13, 0x7fff
                                        ; implicit-def: $vgpr12
; %bb.674:
	s_and_not1_saveexec_b32 s0, s0
; %bb.675:
	v_and_b32_e32 v13, 0xffff, v12
	v_or_b32_e32 v14, 0x10000, v12
	s_delay_alu instid0(VALU_DEP_2) | instskip(NEXT) | instid1(VALU_DEP_2)
	v_cmp_eq_u32_e32 vcc_lo, 0, v13
	v_cndmask_b32_e32 v13, v14, v12, vcc_lo
; %bb.676:
	s_or_b32 exec_lo, exec_lo, s0
	v_and_b32_e32 v12, 0x7f800000, v11
	flat_store_d16_hi_b16 v[0:1], v13 offset:80
	v_cmp_ne_u32_e32 vcc_lo, 0x7f800000, v12
                                        ; implicit-def: $vgpr12
	s_and_saveexec_b32 s0, vcc_lo
	s_delay_alu instid0(SALU_CYCLE_1)
	s_xor_b32 s0, exec_lo, s0
; %bb.677:
	v_bfe_u32 v12, v11, 16, 1
	s_delay_alu instid0(VALU_DEP_1)
	v_add3_u32 v12, v11, v12, 0x7fff
                                        ; implicit-def: $vgpr11
; %bb.678:
	s_and_not1_saveexec_b32 s0, s0
; %bb.679:
	v_and_b32_e32 v12, 0xffff, v11
	v_or_b32_e32 v13, 0x10000, v11
	s_delay_alu instid0(VALU_DEP_2) | instskip(NEXT) | instid1(VALU_DEP_2)
	v_cmp_eq_u32_e32 vcc_lo, 0, v12
	v_cndmask_b32_e32 v12, v13, v11, vcc_lo
; %bb.680:
	s_or_b32 exec_lo, exec_lo, s0
	v_and_b32_e32 v11, 0x7f800000, v10
	flat_store_d16_hi_b16 v[0:1], v12 offset:96
	v_cmp_ne_u32_e32 vcc_lo, 0x7f800000, v11
                                        ; implicit-def: $vgpr11
	s_and_saveexec_b32 s0, vcc_lo
	s_delay_alu instid0(SALU_CYCLE_1)
	s_xor_b32 s0, exec_lo, s0
; %bb.681:
	v_bfe_u32 v11, v10, 16, 1
	s_delay_alu instid0(VALU_DEP_1)
	v_add3_u32 v11, v10, v11, 0x7fff
                                        ; implicit-def: $vgpr10
; %bb.682:
	s_and_not1_saveexec_b32 s0, s0
; %bb.683:
	v_and_b32_e32 v11, 0xffff, v10
	v_or_b32_e32 v12, 0x10000, v10
	s_delay_alu instid0(VALU_DEP_2) | instskip(NEXT) | instid1(VALU_DEP_2)
	v_cmp_eq_u32_e32 vcc_lo, 0, v11
	v_cndmask_b32_e32 v11, v12, v10, vcc_lo
; %bb.684:
	s_or_b32 exec_lo, exec_lo, s0
	v_and_b32_e32 v10, 0x7f800000, v9
	flat_store_d16_hi_b16 v[0:1], v11 offset:112
	v_cmp_ne_u32_e32 vcc_lo, 0x7f800000, v10
                                        ; implicit-def: $vgpr10
	s_and_saveexec_b32 s0, vcc_lo
	s_delay_alu instid0(SALU_CYCLE_1)
	s_xor_b32 s0, exec_lo, s0
; %bb.685:
	v_bfe_u32 v10, v9, 16, 1
	s_delay_alu instid0(VALU_DEP_1)
	v_add3_u32 v10, v9, v10, 0x7fff
                                        ; implicit-def: $vgpr9
; %bb.686:
	s_and_not1_saveexec_b32 s0, s0
; %bb.687:
	v_and_b32_e32 v10, 0xffff, v9
	v_or_b32_e32 v11, 0x10000, v9
	s_delay_alu instid0(VALU_DEP_2) | instskip(NEXT) | instid1(VALU_DEP_2)
	v_cmp_eq_u32_e32 vcc_lo, 0, v10
	v_cndmask_b32_e32 v10, v11, v9, vcc_lo
; %bb.688:
	s_or_b32 exec_lo, exec_lo, s0
	v_and_b32_e32 v9, 0x7f800000, v8
	flat_store_d16_hi_b16 v[0:1], v10 offset:128
	v_cmp_ne_u32_e32 vcc_lo, 0x7f800000, v9
                                        ; implicit-def: $vgpr9
	s_and_saveexec_b32 s0, vcc_lo
	s_delay_alu instid0(SALU_CYCLE_1)
	s_xor_b32 s0, exec_lo, s0
; %bb.689:
	v_bfe_u32 v9, v8, 16, 1
	s_delay_alu instid0(VALU_DEP_1)
	v_add3_u32 v9, v8, v9, 0x7fff
                                        ; implicit-def: $vgpr8
; %bb.690:
	s_and_not1_saveexec_b32 s0, s0
; %bb.691:
	v_and_b32_e32 v9, 0xffff, v8
	v_or_b32_e32 v10, 0x10000, v8
	s_delay_alu instid0(VALU_DEP_2) | instskip(NEXT) | instid1(VALU_DEP_2)
	v_cmp_eq_u32_e32 vcc_lo, 0, v9
	v_cndmask_b32_e32 v9, v10, v8, vcc_lo
; %bb.692:
	s_or_b32 exec_lo, exec_lo, s0
	v_and_b32_e32 v8, 0x7f800000, v7
	flat_store_d16_hi_b16 v[0:1], v9 offset:144
	v_cmp_ne_u32_e32 vcc_lo, 0x7f800000, v8
                                        ; implicit-def: $vgpr8
	s_and_saveexec_b32 s0, vcc_lo
	s_delay_alu instid0(SALU_CYCLE_1)
	s_xor_b32 s0, exec_lo, s0
; %bb.693:
	v_bfe_u32 v8, v7, 16, 1
	s_delay_alu instid0(VALU_DEP_1)
	v_add3_u32 v8, v7, v8, 0x7fff
                                        ; implicit-def: $vgpr7
; %bb.694:
	s_and_not1_saveexec_b32 s0, s0
; %bb.695:
	v_and_b32_e32 v8, 0xffff, v7
	v_or_b32_e32 v9, 0x10000, v7
	s_delay_alu instid0(VALU_DEP_2) | instskip(NEXT) | instid1(VALU_DEP_2)
	v_cmp_eq_u32_e32 vcc_lo, 0, v8
	v_cndmask_b32_e32 v8, v9, v7, vcc_lo
; %bb.696:
	s_or_b32 exec_lo, exec_lo, s0
	v_and_b32_e32 v7, 0x7f800000, v6
	flat_store_d16_hi_b16 v[0:1], v8 offset:160
	v_cmp_ne_u32_e32 vcc_lo, 0x7f800000, v7
                                        ; implicit-def: $vgpr7
	s_and_saveexec_b32 s0, vcc_lo
	s_delay_alu instid0(SALU_CYCLE_1)
	s_xor_b32 s0, exec_lo, s0
; %bb.697:
	v_bfe_u32 v7, v6, 16, 1
	s_delay_alu instid0(VALU_DEP_1)
	v_add3_u32 v7, v6, v7, 0x7fff
                                        ; implicit-def: $vgpr6
; %bb.698:
	s_and_not1_saveexec_b32 s0, s0
; %bb.699:
	v_and_b32_e32 v7, 0xffff, v6
	v_or_b32_e32 v8, 0x10000, v6
	s_delay_alu instid0(VALU_DEP_2) | instskip(NEXT) | instid1(VALU_DEP_2)
	v_cmp_eq_u32_e32 vcc_lo, 0, v7
	v_cndmask_b32_e32 v7, v8, v6, vcc_lo
; %bb.700:
	s_or_b32 exec_lo, exec_lo, s0
	v_and_b32_e32 v6, 0x7f800000, v5
	flat_store_d16_hi_b16 v[0:1], v7 offset:176
	v_cmp_ne_u32_e32 vcc_lo, 0x7f800000, v6
                                        ; implicit-def: $vgpr6
	s_and_saveexec_b32 s0, vcc_lo
	s_delay_alu instid0(SALU_CYCLE_1)
	s_xor_b32 s0, exec_lo, s0
; %bb.701:
	v_bfe_u32 v6, v5, 16, 1
	s_delay_alu instid0(VALU_DEP_1)
	v_add3_u32 v6, v5, v6, 0x7fff
                                        ; implicit-def: $vgpr5
; %bb.702:
	s_and_not1_saveexec_b32 s0, s0
; %bb.703:
	v_and_b32_e32 v6, 0xffff, v5
	v_or_b32_e32 v7, 0x10000, v5
	s_delay_alu instid0(VALU_DEP_2) | instskip(NEXT) | instid1(VALU_DEP_2)
	v_cmp_eq_u32_e32 vcc_lo, 0, v6
	v_cndmask_b32_e32 v6, v7, v5, vcc_lo
; %bb.704:
	s_or_b32 exec_lo, exec_lo, s0
	v_and_b32_e32 v5, 0x7f800000, v4
	flat_store_d16_hi_b16 v[0:1], v6 offset:192
	v_cmp_ne_u32_e32 vcc_lo, 0x7f800000, v5
                                        ; implicit-def: $vgpr5
	s_and_saveexec_b32 s0, vcc_lo
	s_delay_alu instid0(SALU_CYCLE_1)
	s_xor_b32 s0, exec_lo, s0
; %bb.705:
	v_bfe_u32 v5, v4, 16, 1
	s_delay_alu instid0(VALU_DEP_1)
	v_add3_u32 v5, v4, v5, 0x7fff
                                        ; implicit-def: $vgpr4
; %bb.706:
	s_and_not1_saveexec_b32 s0, s0
; %bb.707:
	v_and_b32_e32 v5, 0xffff, v4
	v_or_b32_e32 v6, 0x10000, v4
	s_delay_alu instid0(VALU_DEP_2) | instskip(NEXT) | instid1(VALU_DEP_2)
	v_cmp_eq_u32_e32 vcc_lo, 0, v5
	v_cndmask_b32_e32 v5, v6, v4, vcc_lo
; %bb.708:
	s_or_b32 exec_lo, exec_lo, s0
	v_and_b32_e32 v4, 0x7f800000, v3
	flat_store_d16_hi_b16 v[0:1], v5 offset:208
	v_cmp_ne_u32_e32 vcc_lo, 0x7f800000, v4
                                        ; implicit-def: $vgpr4
	s_and_saveexec_b32 s0, vcc_lo
	s_delay_alu instid0(SALU_CYCLE_1)
	s_xor_b32 s0, exec_lo, s0
; %bb.709:
	v_bfe_u32 v4, v3, 16, 1
	s_delay_alu instid0(VALU_DEP_1)
	v_add3_u32 v4, v3, v4, 0x7fff
                                        ; implicit-def: $vgpr3
; %bb.710:
	s_and_not1_saveexec_b32 s0, s0
; %bb.711:
	v_and_b32_e32 v4, 0xffff, v3
	v_or_b32_e32 v5, 0x10000, v3
	s_delay_alu instid0(VALU_DEP_2) | instskip(NEXT) | instid1(VALU_DEP_2)
	v_cmp_eq_u32_e32 vcc_lo, 0, v4
	v_cndmask_b32_e32 v4, v5, v3, vcc_lo
; %bb.712:
	s_or_b32 exec_lo, exec_lo, s0
	v_and_b32_e32 v3, 0x7f800000, v2
	flat_store_d16_hi_b16 v[0:1], v4 offset:224
	v_cmp_ne_u32_e32 vcc_lo, 0x7f800000, v3
                                        ; implicit-def: $vgpr3
	s_and_saveexec_b32 s0, vcc_lo
	s_delay_alu instid0(SALU_CYCLE_1)
	s_xor_b32 s0, exec_lo, s0
; %bb.713:
	v_bfe_u32 v3, v2, 16, 1
	s_delay_alu instid0(VALU_DEP_1)
	v_add3_u32 v3, v2, v3, 0x7fff
                                        ; implicit-def: $vgpr2
; %bb.714:
	s_and_not1_saveexec_b32 s0, s0
; %bb.715:
	v_and_b32_e32 v3, 0xffff, v2
	v_or_b32_e32 v4, 0x10000, v2
	s_delay_alu instid0(VALU_DEP_2) | instskip(NEXT) | instid1(VALU_DEP_2)
	v_cmp_eq_u32_e32 vcc_lo, 0, v3
	v_cndmask_b32_e32 v3, v4, v2, vcc_lo
; %bb.716:
	s_or_b32 exec_lo, exec_lo, s0
	flat_store_d16_hi_b16 v[0:1], v3 offset:240
.LBB201_717:
	s_or_b32 exec_lo, exec_lo, s5
	s_clause 0x1f
	scratch_load_b32 v191, off, s32
	scratch_load_b32 v190, off, s32 offset:4
	scratch_load_b32 v189, off, s32 offset:8
	;; [unrolled: 1-line block ×31, first 2 shown]
	s_clause 0x1f
	scratch_load_b32 v127, off, s32 offset:128
	scratch_load_b32 v126, off, s32 offset:132
	;; [unrolled: 1-line block ×32, first 2 shown]
	s_clause 0xf
	scratch_load_b32 v63, off, s32 offset:256
	scratch_load_b32 v62, off, s32 offset:260
	;; [unrolled: 1-line block ×16, first 2 shown]
	s_waitcnt vmcnt(0) lgkmcnt(0)
	s_setpc_b64 s[30:31]
.LBB201_718:
	v_lshl_add_u32 v17, v18, 2, v19
	ds_load_b32 v17, v17
	s_waitcnt lgkmcnt(0)
	v_add_f32_e32 v0, v17, v0
	s_or_b32 exec_lo, exec_lo, s0
	s_and_saveexec_b32 s0, vcc_lo
	s_cbranch_execz .LBB201_613
.LBB201_719:
	v_lshl_add_u32 v17, v18, 2, v19
	ds_load_b32 v17, v17 offset:32
	s_waitcnt lgkmcnt(0)
	v_add_f32_e32 v16, v17, v16
	s_or_b32 exec_lo, exec_lo, s0
	s_and_saveexec_b32 s0, vcc_lo
	s_cbranch_execz .LBB201_614
.LBB201_720:
	v_lshl_add_u32 v17, v18, 2, v19
	ds_load_b32 v17, v17 offset:64
	s_waitcnt lgkmcnt(0)
	v_add_f32_e32 v15, v17, v15
	s_or_b32 exec_lo, exec_lo, s0
	s_and_saveexec_b32 s0, vcc_lo
	s_cbranch_execz .LBB201_615
.LBB201_721:
	v_lshl_add_u32 v17, v18, 2, v19
	ds_load_b32 v17, v17 offset:96
	s_waitcnt lgkmcnt(0)
	v_add_f32_e32 v14, v17, v14
	s_or_b32 exec_lo, exec_lo, s0
	s_and_saveexec_b32 s0, vcc_lo
	s_cbranch_execz .LBB201_616
.LBB201_722:
	v_lshl_add_u32 v17, v18, 2, v19
	ds_load_b32 v17, v17 offset:128
	s_waitcnt lgkmcnt(0)
	v_add_f32_e32 v13, v17, v13
	s_or_b32 exec_lo, exec_lo, s0
	s_and_saveexec_b32 s0, vcc_lo
	s_cbranch_execz .LBB201_617
.LBB201_723:
	v_lshl_add_u32 v17, v18, 2, v19
	ds_load_b32 v17, v17 offset:160
	s_waitcnt lgkmcnt(0)
	v_add_f32_e32 v12, v17, v12
	s_or_b32 exec_lo, exec_lo, s0
	s_and_saveexec_b32 s0, vcc_lo
	s_cbranch_execz .LBB201_618
.LBB201_724:
	v_lshl_add_u32 v17, v18, 2, v19
	ds_load_b32 v17, v17 offset:192
	s_waitcnt lgkmcnt(0)
	v_add_f32_e32 v11, v17, v11
	s_or_b32 exec_lo, exec_lo, s0
	s_and_saveexec_b32 s0, vcc_lo
	s_cbranch_execz .LBB201_619
.LBB201_725:
	v_lshl_add_u32 v17, v18, 2, v19
	ds_load_b32 v17, v17 offset:224
	s_waitcnt lgkmcnt(0)
	v_add_f32_e32 v10, v17, v10
	s_or_b32 exec_lo, exec_lo, s0
	s_and_saveexec_b32 s0, vcc_lo
	s_cbranch_execz .LBB201_620
.LBB201_726:
	v_lshl_add_u32 v17, v18, 2, v19
	ds_load_b32 v17, v17 offset:256
	s_waitcnt lgkmcnt(0)
	v_add_f32_e32 v9, v17, v9
	s_or_b32 exec_lo, exec_lo, s0
	s_and_saveexec_b32 s0, vcc_lo
	s_cbranch_execz .LBB201_621
.LBB201_727:
	v_lshl_add_u32 v17, v18, 2, v19
	ds_load_b32 v17, v17 offset:288
	s_waitcnt lgkmcnt(0)
	v_add_f32_e32 v8, v17, v8
	s_or_b32 exec_lo, exec_lo, s0
	s_and_saveexec_b32 s0, vcc_lo
	s_cbranch_execz .LBB201_622
.LBB201_728:
	v_lshl_add_u32 v17, v18, 2, v19
	ds_load_b32 v17, v17 offset:320
	s_waitcnt lgkmcnt(0)
	v_add_f32_e32 v7, v17, v7
	s_or_b32 exec_lo, exec_lo, s0
	s_and_saveexec_b32 s0, vcc_lo
	s_cbranch_execz .LBB201_623
.LBB201_729:
	v_lshl_add_u32 v17, v18, 2, v19
	ds_load_b32 v17, v17 offset:352
	s_waitcnt lgkmcnt(0)
	v_add_f32_e32 v6, v17, v6
	s_or_b32 exec_lo, exec_lo, s0
	s_and_saveexec_b32 s0, vcc_lo
	s_cbranch_execz .LBB201_624
.LBB201_730:
	v_lshl_add_u32 v17, v18, 2, v19
	ds_load_b32 v17, v17 offset:384
	s_waitcnt lgkmcnt(0)
	v_add_f32_e32 v5, v17, v5
	s_or_b32 exec_lo, exec_lo, s0
	s_and_saveexec_b32 s0, vcc_lo
	s_cbranch_execz .LBB201_625
.LBB201_731:
	v_lshl_add_u32 v17, v18, 2, v19
	ds_load_b32 v17, v17 offset:416
	s_waitcnt lgkmcnt(0)
	v_add_f32_e32 v4, v17, v4
	s_or_b32 exec_lo, exec_lo, s0
	s_and_saveexec_b32 s0, vcc_lo
	s_cbranch_execz .LBB201_626
.LBB201_732:
	v_lshl_add_u32 v17, v18, 2, v19
	ds_load_b32 v17, v17 offset:448
	s_waitcnt lgkmcnt(0)
	v_add_f32_e32 v3, v17, v3
	s_or_b32 exec_lo, exec_lo, s0
	s_and_saveexec_b32 s0, vcc_lo
	s_cbranch_execnz .LBB201_627
	s_branch .LBB201_628
.LBB201_733:
	ds_load_b32 v17, v1
	s_waitcnt lgkmcnt(0)
	v_add_f32_e32 v0, v17, v0
	s_or_b32 exec_lo, exec_lo, s3
	s_and_saveexec_b32 s3, vcc_lo
	s_cbranch_execz .LBB201_634
.LBB201_734:
	ds_load_b32 v17, v1 offset:32
	s_waitcnt lgkmcnt(0)
	v_add_f32_e32 v16, v17, v16
	s_or_b32 exec_lo, exec_lo, s3
	s_and_saveexec_b32 s3, vcc_lo
	s_cbranch_execz .LBB201_635
.LBB201_735:
	ds_load_b32 v17, v1 offset:64
	s_waitcnt lgkmcnt(0)
	v_add_f32_e32 v15, v17, v15
	s_or_b32 exec_lo, exec_lo, s3
	s_and_saveexec_b32 s3, vcc_lo
	s_cbranch_execz .LBB201_636
.LBB201_736:
	ds_load_b32 v17, v1 offset:96
	s_waitcnt lgkmcnt(0)
	v_add_f32_e32 v14, v17, v14
	s_or_b32 exec_lo, exec_lo, s3
	s_and_saveexec_b32 s3, vcc_lo
	s_cbranch_execz .LBB201_637
.LBB201_737:
	ds_load_b32 v17, v1 offset:128
	s_waitcnt lgkmcnt(0)
	v_add_f32_e32 v13, v17, v13
	s_or_b32 exec_lo, exec_lo, s3
	s_and_saveexec_b32 s3, vcc_lo
	s_cbranch_execz .LBB201_638
.LBB201_738:
	ds_load_b32 v17, v1 offset:160
	s_waitcnt lgkmcnt(0)
	v_add_f32_e32 v12, v17, v12
	s_or_b32 exec_lo, exec_lo, s3
	s_and_saveexec_b32 s3, vcc_lo
	s_cbranch_execz .LBB201_639
.LBB201_739:
	ds_load_b32 v17, v1 offset:192
	s_waitcnt lgkmcnt(0)
	v_add_f32_e32 v11, v17, v11
	s_or_b32 exec_lo, exec_lo, s3
	s_and_saveexec_b32 s3, vcc_lo
	s_cbranch_execz .LBB201_640
.LBB201_740:
	ds_load_b32 v17, v1 offset:224
	s_waitcnt lgkmcnt(0)
	v_add_f32_e32 v10, v17, v10
	s_or_b32 exec_lo, exec_lo, s3
	s_and_saveexec_b32 s3, vcc_lo
	s_cbranch_execz .LBB201_641
.LBB201_741:
	ds_load_b32 v17, v1 offset:256
	s_waitcnt lgkmcnt(0)
	v_add_f32_e32 v9, v17, v9
	s_or_b32 exec_lo, exec_lo, s3
	s_and_saveexec_b32 s3, vcc_lo
	s_cbranch_execz .LBB201_642
.LBB201_742:
	ds_load_b32 v17, v1 offset:288
	s_waitcnt lgkmcnt(0)
	v_add_f32_e32 v8, v17, v8
	s_or_b32 exec_lo, exec_lo, s3
	s_and_saveexec_b32 s3, vcc_lo
	s_cbranch_execz .LBB201_643
.LBB201_743:
	ds_load_b32 v17, v1 offset:320
	s_waitcnt lgkmcnt(0)
	v_add_f32_e32 v7, v17, v7
	s_or_b32 exec_lo, exec_lo, s3
	s_and_saveexec_b32 s3, vcc_lo
	s_cbranch_execz .LBB201_644
.LBB201_744:
	ds_load_b32 v17, v1 offset:352
	s_waitcnt lgkmcnt(0)
	v_add_f32_e32 v6, v17, v6
	s_or_b32 exec_lo, exec_lo, s3
	s_and_saveexec_b32 s3, vcc_lo
	s_cbranch_execz .LBB201_645
.LBB201_745:
	ds_load_b32 v17, v1 offset:384
	s_waitcnt lgkmcnt(0)
	v_add_f32_e32 v5, v17, v5
	s_or_b32 exec_lo, exec_lo, s3
	s_and_saveexec_b32 s3, vcc_lo
	s_cbranch_execz .LBB201_646
.LBB201_746:
	ds_load_b32 v17, v1 offset:416
	s_waitcnt lgkmcnt(0)
	v_add_f32_e32 v4, v17, v4
	s_or_b32 exec_lo, exec_lo, s3
	s_and_saveexec_b32 s3, vcc_lo
	s_cbranch_execz .LBB201_647
.LBB201_747:
	ds_load_b32 v17, v1 offset:448
	s_waitcnt lgkmcnt(0)
	v_add_f32_e32 v3, v17, v3
	s_or_b32 exec_lo, exec_lo, s3
	s_and_saveexec_b32 s3, vcc_lo
	s_cbranch_execnz .LBB201_648
	s_branch .LBB201_649
.Lfunc_end201:
	.size	_ZN4vllm22paged_attention_kernelI14__hip_bfloat16S1_Li128ELi32ELi128ELNS_18Fp8KVCacheDataTypeE0ELb0ELi512EEEvPfS3_PT_PKS4_PKT0_SA_ifPKiSC_iPKfiiiSE_SE_iiiii, .Lfunc_end201-_ZN4vllm22paged_attention_kernelI14__hip_bfloat16S1_Li128ELi32ELi128ELNS_18Fp8KVCacheDataTypeE0ELb0ELi512EEEvPfS3_PT_PKS4_PKT0_SA_ifPKiSC_iPKfiiiSE_SE_iiiii
                                        ; -- End function
	.section	.AMDGPU.csdata,"",@progbits
; Function info:
; codeLenInByte = 32096
; NumSgprs: 35
; NumVgprs: 192
; ScratchSize: 484
; MemoryBound: 0
	.section	.text._ZN4vllm25paged_attention_v2_kernelI14__hip_bfloat16S1_Li128ELi32ELi128ELNS_18Fp8KVCacheDataTypeE0ELb0ELi512EEEvPfS3_PT_PKS4_PKT0_SA_ifPKiSC_iPKfiiiSE_SE_iiiii,"axG",@progbits,_ZN4vllm25paged_attention_v2_kernelI14__hip_bfloat16S1_Li128ELi32ELi128ELNS_18Fp8KVCacheDataTypeE0ELb0ELi512EEEvPfS3_PT_PKS4_PKT0_SA_ifPKiSC_iPKfiiiSE_SE_iiiii,comdat
	.protected	_ZN4vllm25paged_attention_v2_kernelI14__hip_bfloat16S1_Li128ELi32ELi128ELNS_18Fp8KVCacheDataTypeE0ELb0ELi512EEEvPfS3_PT_PKS4_PKT0_SA_ifPKiSC_iPKfiiiSE_SE_iiiii ; -- Begin function _ZN4vllm25paged_attention_v2_kernelI14__hip_bfloat16S1_Li128ELi32ELi128ELNS_18Fp8KVCacheDataTypeE0ELb0ELi512EEEvPfS3_PT_PKS4_PKT0_SA_ifPKiSC_iPKfiiiSE_SE_iiiii
	.globl	_ZN4vllm25paged_attention_v2_kernelI14__hip_bfloat16S1_Li128ELi32ELi128ELNS_18Fp8KVCacheDataTypeE0ELb0ELi512EEEvPfS3_PT_PKS4_PKT0_SA_ifPKiSC_iPKfiiiSE_SE_iiiii
	.p2align	8
	.type	_ZN4vllm25paged_attention_v2_kernelI14__hip_bfloat16S1_Li128ELi32ELi128ELNS_18Fp8KVCacheDataTypeE0ELb0ELi512EEEvPfS3_PT_PKS4_PKT0_SA_ifPKiSC_iPKfiiiSE_SE_iiiii,@function
_ZN4vllm25paged_attention_v2_kernelI14__hip_bfloat16S1_Li128ELi32ELi128ELNS_18Fp8KVCacheDataTypeE0ELb0ELi512EEEvPfS3_PT_PKS4_PKT0_SA_ifPKiSC_iPKfiiiSE_SE_iiiii: ; @_ZN4vllm25paged_attention_v2_kernelI14__hip_bfloat16S1_Li128ELi32ELi128ELNS_18Fp8KVCacheDataTypeE0ELb0ELi512EEEvPfS3_PT_PKS4_PKT0_SA_ifPKiSC_iPKfiiiSE_SE_iiiii
; %bb.0:
	s_mov_b32 s12, s13
	s_clause 0x5
	s_load_b256 s[24:31], s[0:1], 0x0
	s_load_b256 s[16:23], s[0:1], 0x20
	s_load_b64 s[2:3], s[0:1], 0x40
	s_load_b64 s[10:11], s[0:1], 0x50
	s_load_b32 s13, s[0:1], 0x48
	s_load_b128 s[4:7], s[0:1], 0x58
	v_mov_b32_e32 v31, v0
	s_add_u32 s8, s0, 0x90
	s_addc_u32 s9, s1, 0
	s_mov_b32 s32, 0
	s_getpc_b64 s[0:1]
	s_add_u32 s0, s0, _ZN4vllm22paged_attention_kernelI14__hip_bfloat16S1_Li128ELi32ELi128ELNS_18Fp8KVCacheDataTypeE0ELb0ELi512EEEvPfS3_PT_PKS4_PKT0_SA_ifPKiSC_iPKfiiiSE_SE_iiiii@rel32@lo+4
	s_addc_u32 s1, s1, _ZN4vllm22paged_attention_kernelI14__hip_bfloat16S1_Li128ELi32ELi128ELNS_18Fp8KVCacheDataTypeE0ELb0ELi512EEEvPfS3_PT_PKS4_PKT0_SA_ifPKiSC_iPKfiiiSE_SE_iiiii@rel32@hi+12
	s_waitcnt lgkmcnt(0)
	v_dual_mov_b32 v0, s24 :: v_dual_mov_b32 v1, s25
	v_dual_mov_b32 v2, s26 :: v_dual_mov_b32 v3, s27
	;; [unrolled: 1-line block ×12, first 2 shown]
	s_mov_b32 s13, s14
	s_mov_b32 s14, s15
	;; [unrolled: 1-line block ×3, first 2 shown]
	s_swappc_b64 s[30:31], s[0:1]
	s_endpgm
	.section	.rodata,"a",@progbits
	.p2align	6, 0x0
	.amdhsa_kernel _ZN4vllm25paged_attention_v2_kernelI14__hip_bfloat16S1_Li128ELi32ELi128ELNS_18Fp8KVCacheDataTypeE0ELb0ELi512EEEvPfS3_PT_PKS4_PKT0_SA_ifPKiSC_iPKfiiiSE_SE_iiiii
		.amdhsa_group_segment_fixed_size 288
		.amdhsa_private_segment_fixed_size 484
		.amdhsa_kernarg_size 400
		.amdhsa_user_sgpr_count 13
		.amdhsa_user_sgpr_dispatch_ptr 0
		.amdhsa_user_sgpr_queue_ptr 0
		.amdhsa_user_sgpr_kernarg_segment_ptr 1
		.amdhsa_user_sgpr_dispatch_id 0
		.amdhsa_user_sgpr_private_segment_size 0
		.amdhsa_wavefront_size32 1
		.amdhsa_uses_dynamic_stack 0
		.amdhsa_enable_private_segment 1
		.amdhsa_system_sgpr_workgroup_id_x 1
		.amdhsa_system_sgpr_workgroup_id_y 1
		.amdhsa_system_sgpr_workgroup_id_z 1
		.amdhsa_system_sgpr_workgroup_info 0
		.amdhsa_system_vgpr_workitem_id 0
		.amdhsa_next_free_vgpr 192
		.amdhsa_next_free_sgpr 33
		.amdhsa_reserve_vcc 1
		.amdhsa_float_round_mode_32 0
		.amdhsa_float_round_mode_16_64 0
		.amdhsa_float_denorm_mode_32 3
		.amdhsa_float_denorm_mode_16_64 3
		.amdhsa_dx10_clamp 1
		.amdhsa_ieee_mode 1
		.amdhsa_fp16_overflow 0
		.amdhsa_workgroup_processor_mode 1
		.amdhsa_memory_ordered 1
		.amdhsa_forward_progress 0
		.amdhsa_shared_vgpr_count 0
		.amdhsa_exception_fp_ieee_invalid_op 0
		.amdhsa_exception_fp_denorm_src 0
		.amdhsa_exception_fp_ieee_div_zero 0
		.amdhsa_exception_fp_ieee_overflow 0
		.amdhsa_exception_fp_ieee_underflow 0
		.amdhsa_exception_fp_ieee_inexact 0
		.amdhsa_exception_int_div_zero 0
	.end_amdhsa_kernel
	.section	.text._ZN4vllm25paged_attention_v2_kernelI14__hip_bfloat16S1_Li128ELi32ELi128ELNS_18Fp8KVCacheDataTypeE0ELb0ELi512EEEvPfS3_PT_PKS4_PKT0_SA_ifPKiSC_iPKfiiiSE_SE_iiiii,"axG",@progbits,_ZN4vllm25paged_attention_v2_kernelI14__hip_bfloat16S1_Li128ELi32ELi128ELNS_18Fp8KVCacheDataTypeE0ELb0ELi512EEEvPfS3_PT_PKS4_PKT0_SA_ifPKiSC_iPKfiiiSE_SE_iiiii,comdat
.Lfunc_end202:
	.size	_ZN4vllm25paged_attention_v2_kernelI14__hip_bfloat16S1_Li128ELi32ELi128ELNS_18Fp8KVCacheDataTypeE0ELb0ELi512EEEvPfS3_PT_PKS4_PKT0_SA_ifPKiSC_iPKfiiiSE_SE_iiiii, .Lfunc_end202-_ZN4vllm25paged_attention_v2_kernelI14__hip_bfloat16S1_Li128ELi32ELi128ELNS_18Fp8KVCacheDataTypeE0ELb0ELi512EEEvPfS3_PT_PKS4_PKT0_SA_ifPKiSC_iPKfiiiSE_SE_iiiii
                                        ; -- End function
	.section	.AMDGPU.csdata,"",@progbits
; Kernel info:
; codeLenInByte = 216
; NumSgprs: 35
; NumVgprs: 192
; ScratchSize: 484
; MemoryBound: 0
; FloatMode: 240
; IeeeMode: 1
; LDSByteSize: 288 bytes/workgroup (compile time only)
; SGPRBlocks: 4
; VGPRBlocks: 23
; NumSGPRsForWavesPerEU: 35
; NumVGPRsForWavesPerEU: 192
; Occupancy: 8
; WaveLimiterHint : 1
; COMPUTE_PGM_RSRC2:SCRATCH_EN: 1
; COMPUTE_PGM_RSRC2:USER_SGPR: 13
; COMPUTE_PGM_RSRC2:TRAP_HANDLER: 0
; COMPUTE_PGM_RSRC2:TGID_X_EN: 1
; COMPUTE_PGM_RSRC2:TGID_Y_EN: 1
; COMPUTE_PGM_RSRC2:TGID_Z_EN: 1
; COMPUTE_PGM_RSRC2:TIDIG_COMP_CNT: 0
	.text
	.p2align	2                               ; -- Begin function _ZN4vllm22paged_attention_kernelI14__hip_bfloat16S1_Li192ELi32ELi128ELNS_18Fp8KVCacheDataTypeE0ELb0ELi512EEEvPfS3_PT_PKS4_PKT0_SA_ifPKiSC_iPKfiiiSE_SE_iiiii
	.type	_ZN4vllm22paged_attention_kernelI14__hip_bfloat16S1_Li192ELi32ELi128ELNS_18Fp8KVCacheDataTypeE0ELb0ELi512EEEvPfS3_PT_PKS4_PKT0_SA_ifPKiSC_iPKfiiiSE_SE_iiiii,@function
_ZN4vllm22paged_attention_kernelI14__hip_bfloat16S1_Li192ELi32ELi128ELNS_18Fp8KVCacheDataTypeE0ELb0ELi512EEEvPfS3_PT_PKS4_PKT0_SA_ifPKiSC_iPKfiiiSE_SE_iiiii: ; @_ZN4vllm22paged_attention_kernelI14__hip_bfloat16S1_Li192ELi32ELi128ELNS_18Fp8KVCacheDataTypeE0ELb0ELi512EEEvPfS3_PT_PKS4_PKT0_SA_ifPKiSC_iPKfiiiSE_SE_iiiii
; %bb.0:
	s_waitcnt vmcnt(0) expcnt(0) lgkmcnt(0)
	s_clause 0x1f
	scratch_store_b32 off, v40, s32 offset:316
	; meta instruction
	scratch_store_b32 off, v41, s32 offset:312
	; meta instruction
	;; [unrolled: 2-line block ×31, first 2 shown]
	scratch_store_b32 off, v95, s32 offset:192
	s_clause 0x1f
	scratch_store_b32 off, v104, s32 offset:188
	; meta instruction
	scratch_store_b32 off, v105, s32 offset:184
	; meta instruction
	;; [unrolled: 2-line block ×31, first 2 shown]
	scratch_store_b32 off, v159, s32 offset:64
	s_clause 0xf
	scratch_store_b32 off, v168, s32 offset:60
	; meta instruction
	scratch_store_b32 off, v169, s32 offset:56
	; meta instruction
	;; [unrolled: 2-line block ×15, first 2 shown]
	scratch_store_b32 off, v191, s32
	s_mov_b32 s4, s13
	s_ashr_i32 s5, s13, 31
	v_mov_b32_e32 v24, v0
	s_lshl_b64 s[0:1], s[4:5], 2
	s_clause 0x2
	scratch_store_b32 off, v22, s32 offset:500
	scratch_store_b32 off, v5, s32 offset:692
	;; [unrolled: 1-line block ×3, first 2 shown]
	v_add_co_u32 v0, vcc_lo, v16, s0
	v_mov_b32_e32 v22, v1
	v_add_co_ci_u32_e32 v1, vcc_lo, s1, v17, vcc_lo
	v_dual_mov_b32 v25, v3 :: v_dual_mov_b32 v26, v2
	s_lshl_b32 s17, s14, 9
	flat_load_b32 v87, v[0:1]
	s_mov_b32 s5, exec_lo
	s_waitcnt vmcnt(0) lgkmcnt(0)
	v_cmpx_lt_i32_e64 s17, v87
	s_cbranch_execz .LBB203_1037
; %bb.1:
	v_sub_nc_u32_e32 v0, 0, v12
	s_clause 0x1
	s_load_b32 s0, s[8:9], 0x10
	s_load_b32 s1, s[8:9], 0x0
	s_mov_b32 s10, s15
	v_max_i32_e32 v0, v12, v0
	s_delay_alu instid0(VALU_DEP_1) | instskip(SKIP_1) | instid1(VALU_DEP_2)
	v_cvt_f32_u32_e32 v1, v0
	v_sub_nc_u32_e32 v2, 0, v0
	v_rcp_iflag_f32_e32 v1, v1
	s_waitcnt lgkmcnt(0)
	s_lshr_b32 s0, s0, 16
	s_delay_alu instid0(SALU_CYCLE_1)
	s_cmp_lg_u32 s0, 0
	s_cselect_b32 s0, -1, 0
	s_waitcnt_depctr 0xfff
	v_mul_f32_e32 v1, 0x4f7ffffe, v1
	s_cmp_lg_u32 s0, 0
	s_addc_u32 s16, s1, 0
	s_mov_b32 s1, exec_lo
	s_delay_alu instid0(VALU_DEP_1) | instskip(SKIP_1) | instid1(VALU_DEP_1)
	v_cvt_u32_f32_e32 v1, v1
	s_abs_i32 s0, s16
	v_mul_lo_u32 v2, v2, v1
	s_delay_alu instid0(VALU_DEP_1) | instskip(NEXT) | instid1(VALU_DEP_1)
	v_mul_hi_u32 v2, v1, v2
	v_add_nc_u32_e32 v1, v1, v2
	s_delay_alu instid0(VALU_DEP_1) | instskip(NEXT) | instid1(VALU_DEP_1)
	v_mul_hi_u32 v1, s0, v1
	v_mul_lo_u32 v2, v1, v0
	v_add_nc_u32_e32 v3, 1, v1
	s_delay_alu instid0(VALU_DEP_2) | instskip(SKIP_1) | instid1(VALU_DEP_1)
	v_sub_nc_u32_e32 v2, s0, v2
	s_abs_i32 s0, s12
	v_sub_nc_u32_e32 v4, v2, v0
	v_cmp_ge_u32_e32 vcc_lo, v2, v0
	s_delay_alu instid0(VALU_DEP_2) | instskip(SKIP_2) | instid1(VALU_DEP_3)
	v_dual_cndmask_b32 v1, v1, v3 :: v_dual_cndmask_b32 v2, v2, v4
	v_xor_b32_e32 v3, s16, v12
	v_mov_b32_e32 v12, 0
	v_add_nc_u32_e32 v4, 1, v1
	s_delay_alu instid0(VALU_DEP_4) | instskip(NEXT) | instid1(VALU_DEP_4)
	v_cmp_ge_u32_e32 vcc_lo, v2, v0
	v_ashrrev_i32_e32 v3, 31, v3
	s_delay_alu instid0(VALU_DEP_3) | instskip(NEXT) | instid1(VALU_DEP_1)
	v_cndmask_b32_e32 v0, v1, v4, vcc_lo
	v_xor_b32_e32 v0, v0, v3
	s_delay_alu instid0(VALU_DEP_1) | instskip(NEXT) | instid1(VALU_DEP_1)
	v_sub_nc_u32_e32 v1, v0, v3
	v_sub_nc_u32_e32 v0, 0, v1
	s_delay_alu instid0(VALU_DEP_1) | instskip(NEXT) | instid1(VALU_DEP_1)
	v_max_i32_e32 v0, v1, v0
	v_cvt_f32_u32_e32 v2, v0
	v_sub_nc_u32_e32 v3, 0, v0
	s_delay_alu instid0(VALU_DEP_2) | instskip(SKIP_2) | instid1(VALU_DEP_1)
	v_rcp_iflag_f32_e32 v2, v2
	s_waitcnt_depctr 0xfff
	v_mul_f32_e32 v2, 0x4f7ffffe, v2
	v_cvt_u32_f32_e32 v2, v2
	s_delay_alu instid0(VALU_DEP_1) | instskip(NEXT) | instid1(VALU_DEP_1)
	v_mul_lo_u32 v3, v3, v2
	v_mul_hi_u32 v3, v2, v3
	s_delay_alu instid0(VALU_DEP_1) | instskip(NEXT) | instid1(VALU_DEP_1)
	v_add_nc_u32_e32 v2, v2, v3
	v_mad_u64_u32 v[16:17], null, s0, v2, 0
	v_cmpx_ne_u64_e32 0, v[19:20]
	s_cbranch_execz .LBB203_3
; %bb.2:
	s_ashr_i32 s13, s12, 31
	s_delay_alu instid0(SALU_CYCLE_1) | instskip(NEXT) | instid1(SALU_CYCLE_1)
	s_lshl_b64 s[2:3], s[12:13], 2
	v_add_co_u32 v2, vcc_lo, v19, s2
	v_add_co_ci_u32_e32 v3, vcc_lo, s3, v20, vcc_lo
	flat_load_b32 v12, v[2:3]
.LBB203_3:
	s_or_b32 exec_lo, exec_lo, s1
	v_and_b32_e32 v16, 0x3ff, v31
	v_ashrrev_i32_e32 v1, 31, v1
	s_ashr_i32 s1, s12, 31
	s_mul_i32 s6, s12, 0xc0
	s_mov_b32 s2, exec_lo
	v_cmpx_gt_u32_e32 24, v16
	s_cbranch_execz .LBB203_5
; %bb.4:
	v_mul_lo_u32 v2, s4, v21
	s_ashr_i32 s7, s6, 31
	v_lshlrev_b32_e32 v19, 4, v16
	s_lshl_b64 s[18:19], s[6:7], 1
	s_delay_alu instid0(VALU_DEP_2) | instskip(NEXT) | instid1(VALU_DEP_1)
	v_ashrrev_i32_e32 v3, 31, v2
	v_lshlrev_b64 v[2:3], 1, v[2:3]
	s_delay_alu instid0(VALU_DEP_1) | instskip(NEXT) | instid1(VALU_DEP_2)
	v_add_co_u32 v2, vcc_lo, v6, v2
	v_add_co_ci_u32_e32 v3, vcc_lo, v7, v3, vcc_lo
	s_delay_alu instid0(VALU_DEP_2) | instskip(NEXT) | instid1(VALU_DEP_2)
	v_add_co_u32 v2, vcc_lo, v2, s18
	v_add_co_ci_u32_e32 v3, vcc_lo, s19, v3, vcc_lo
	s_delay_alu instid0(VALU_DEP_2) | instskip(NEXT) | instid1(VALU_DEP_2)
	v_add_co_u32 v2, vcc_lo, v2, v19
	v_add_co_ci_u32_e32 v3, vcc_lo, 0, v3, vcc_lo
	flat_load_b128 v[2:5], v[2:3]
	s_waitcnt vmcnt(0) lgkmcnt(0)
	ds_store_b128 v19, v[2:5]
.LBB203_5:
	s_or_b32 exec_lo, exec_lo, s2
	v_mul_lo_u32 v2, v17, v0
	v_dual_mov_b32 v182, 0xff7fffff :: v_dual_add_nc_u32 v3, 1, v17
	v_add_nc_u32_e32 v4, 31, v87
	v_xor_b32_e32 v1, s1, v1
	s_clause 0x1
	s_load_b32 s13, s[8:9], 0x14
	s_load_b32 s7, s[8:9], 0x8
	s_lshl_b32 s3, s14, 4
	v_and_b32_e32 v7, 31, v16
	v_sub_nc_u32_e32 v2, s0, v2
	v_ashrrev_i32_e32 v6, 31, v4
	s_add_i32 s0, s3, 16
	s_delay_alu instid0(VALU_DEP_3) | instskip(NEXT) | instid1(VALU_DEP_3)
	v_lshlrev_b32_e32 v27, 2, v7
	v_sub_nc_u32_e32 v5, v2, v0
	v_cmp_ge_u32_e32 vcc_lo, v2, v0
	v_lshrrev_b32_e32 v6, 27, v6
	s_delay_alu instid0(VALU_DEP_3) | instskip(NEXT) | instid1(VALU_DEP_1)
	v_dual_cndmask_b32 v3, v17, v3 :: v_dual_cndmask_b32 v2, v2, v5
	v_add_nc_u32_e32 v5, 1, v3
	s_delay_alu instid0(VALU_DEP_2) | instskip(SKIP_1) | instid1(VALU_DEP_3)
	v_cmp_ge_u32_e32 vcc_lo, v2, v0
	v_mul_lo_u32 v0, s4, v18
	v_dual_cndmask_b32 v2, v3, v5 :: v_dual_add_nc_u32 v3, v4, v6
	v_lshrrev_b32_e32 v4, 5, v16
	s_delay_alu instid0(VALU_DEP_2) | instskip(NEXT) | instid1(VALU_DEP_3)
	v_xor_b32_e32 v2, v2, v1
	v_ashrrev_i32_e32 v17, 5, v3
	s_delay_alu instid0(VALU_DEP_3)
	v_add_nc_u32_e32 v20, s3, v4
	scratch_store_b32 off, v4, s32 offset:684 ; 4-byte Folded Spill
	s_waitcnt vmcnt(0) lgkmcnt(0)
	s_waitcnt_vscnt null, 0x0
	v_sub_nc_u32_e32 v2, v2, v1
	v_ashrrev_i32_e32 v1, 31, v0
	v_min_i32_e32 v111, s0, v17
	v_ashrrev_i32_e32 v21, 31, v20
	s_barrier
	v_mul_lo_u32 v64, v2, v23
	v_lshlrev_b64 v[54:55], 2, v[0:1]
	v_cmp_ge_i32_e64 s0, v20, v111
	v_cmp_lt_i32_e32 vcc_lo, v20, v111
	buffer_gl0_inv
	v_ashrrev_i32_e32 v65, 31, v64
	s_mov_b32 s8, exec_lo
	s_delay_alu instid0(SALU_CYCLE_1)
	s_and_b32 s1, s8, vcc_lo
	s_clause 0x1
	scratch_store_b32 off, v7, s32 offset:688
	scratch_store_b32 off, v16, s32 offset:680
	s_mov_b32 exec_lo, s1
	s_cbranch_execz .LBB203_9
; %bb.6:
	v_mov_b32_e32 v6, 0
	s_clause 0x6
	scratch_store_b32 off, v17, s32 offset:740
	scratch_store_b32 off, v26, s32 offset:728
	;; [unrolled: 1-line block ×7, first 2 shown]
	s_getpc_b64 s[18:19]
	s_add_u32 s18, s18, llvm.amdgcn.dynlds.offset.table@rel32@lo+4
	s_addc_u32 s19, s19, llvm.amdgcn.dynlds.offset.table@rel32@hi+12
	s_ashr_i32 s11, s10, 31
	v_sub_nc_u32_e32 v43, 1, v87
	ds_load_b128 v[0:3], v6
	ds_load_b128 v[16:19], v6 offset:16
	s_lshl_b64 s[20:21], s[10:11], 2
	s_mov_b32 s9, 0
	s_add_u32 s18, s20, s18
	s_addc_u32 s19, s21, s19
	v_mov_b32_e32 v23, v7
	s_load_b32 s1, s[18:19], 0x0
	s_clause 0x4
	scratch_store_b32 off, v15, s32 offset:700
	scratch_store_b32 off, v14, s32 offset:704
	scratch_store_b64 off, v[54:55], s32 offset:732
	scratch_store_b64 off, v[64:65], s32 offset:744
	scratch_store_b32 off, v27, s32 offset:752
	v_mov_b32_e32 v182, 0xff7fffff
	v_mov_b32_e32 v44, v20
	scratch_load_b32 v110, off, s32 offset:500 ; 4-byte Folded Reload
	s_waitcnt lgkmcnt(0)
	v_lshlrev_b32_e32 v25, 16, v0
	v_bfi_b32 v24, 0xffff, 0, v0
	v_bfi_b32 v0, 0xffff, 0, v1
	scratch_store_b32 off, v0, s32 offset:320 ; 4-byte Folded Spill
	v_lshlrev_b32_e32 v0, 16, v1
	scratch_store_b32 off, v0, s32 offset:324 ; 4-byte Folded Spill
	v_bfi_b32 v0, 0xffff, 0, v2
	scratch_store_b32 off, v0, s32 offset:328 ; 4-byte Folded Spill
	v_lshlrev_b32_e32 v0, 16, v2
	scratch_store_b32 off, v0, s32 offset:332 ; 4-byte Folded Spill
	;; [unrolled: 4-line block ×6, first 2 shown]
	v_bfi_b32 v0, 0xffff, 0, v19
	scratch_store_b32 off, v0, s32 offset:368 ; 4-byte Folded Spill
	v_lshlrev_b32_e32 v0, 16, v19
	ds_load_b128 v[16:19], v6 offset:256
	scratch_store_b32 off, v0, s32 offset:372 ; 4-byte Folded Spill
	ds_load_b128 v[0:3], v6 offset:32
	s_waitcnt lgkmcnt(1)
	v_bfi_b32 v191, 0xffff, 0, v16
	v_lshlrev_b32_e32 v5, 16, v16
	v_lshlrev_b32_e32 v11, 16, v17
	v_bfi_b32 v10, 0xffff, 0, v18
	v_lshlrev_b32_e32 v68, 16, v19
	s_waitcnt lgkmcnt(0)
	v_bfi_b32 v4, 0xffff, 0, v0
	v_lshlrev_b32_e32 v0, 16, v0
	s_clause 0x1
	scratch_store_b32 off, v4, s32 offset:376
	scratch_store_b32 off, v0, s32 offset:380
	v_bfi_b32 v0, 0xffff, 0, v1
	scratch_store_b32 off, v0, s32 offset:384 ; 4-byte Folded Spill
	v_lshlrev_b32_e32 v0, 16, v1
	scratch_store_b32 off, v0, s32 offset:388 ; 4-byte Folded Spill
	v_bfi_b32 v0, 0xffff, 0, v2
	scratch_store_b32 off, v0, s32 offset:392 ; 4-byte Folded Spill
	v_lshlrev_b32_e32 v0, 16, v2
	scratch_store_b32 off, v0, s32 offset:396 ; 4-byte Folded Spill
	v_bfi_b32 v0, 0xffff, 0, v3
	scratch_store_b32 off, v0, s32 offset:400 ; 4-byte Folded Spill
	v_lshlrev_b32_e32 v0, 16, v3
	scratch_store_b32 off, v0, s32 offset:404 ; 4-byte Folded Spill
	ds_load_b128 v[0:3], v6 offset:48
	s_waitcnt lgkmcnt(0)
	v_bfi_b32 v4, 0xffff, 0, v0
	v_lshlrev_b32_e32 v0, 16, v0
	s_clause 0x1
	scratch_store_b32 off, v4, s32 offset:408
	scratch_store_b32 off, v0, s32 offset:412
	v_bfi_b32 v0, 0xffff, 0, v1
	scratch_store_b32 off, v0, s32 offset:416 ; 4-byte Folded Spill
	v_lshlrev_b32_e32 v0, 16, v1
	scratch_store_b32 off, v0, s32 offset:420 ; 4-byte Folded Spill
	v_bfi_b32 v0, 0xffff, 0, v2
	scratch_store_b32 off, v0, s32 offset:424 ; 4-byte Folded Spill
	v_lshlrev_b32_e32 v0, 16, v2
	scratch_store_b32 off, v0, s32 offset:428 ; 4-byte Folded Spill
	v_bfi_b32 v0, 0xffff, 0, v3
	scratch_store_b32 off, v0, s32 offset:432 ; 4-byte Folded Spill
	v_lshlrev_b32_e32 v0, 16, v3
	scratch_store_b32 off, v0, s32 offset:436 ; 4-byte Folded Spill
	ds_load_b128 v[0:3], v6 offset:64
	s_waitcnt lgkmcnt(0)
	v_bfi_b32 v4, 0xffff, 0, v0
	v_lshlrev_b32_e32 v0, 16, v0
	s_clause 0x1
	scratch_store_b32 off, v4, s32 offset:440
	scratch_store_b32 off, v0, s32 offset:444
	v_bfi_b32 v0, 0xffff, 0, v1
	scratch_store_b32 off, v0, s32 offset:448 ; 4-byte Folded Spill
	v_lshlrev_b32_e32 v0, 16, v1
	scratch_store_b32 off, v0, s32 offset:452 ; 4-byte Folded Spill
	v_bfi_b32 v0, 0xffff, 0, v2
	scratch_store_b32 off, v0, s32 offset:456 ; 4-byte Folded Spill
	v_lshlrev_b32_e32 v0, 16, v2
	scratch_store_b32 off, v0, s32 offset:460 ; 4-byte Folded Spill
	v_bfi_b32 v0, 0xffff, 0, v3
	scratch_store_b32 off, v0, s32 offset:464 ; 4-byte Folded Spill
	v_lshlrev_b32_e32 v0, 16, v3
	scratch_store_b32 off, v0, s32 offset:468 ; 4-byte Folded Spill
	ds_load_b128 v[0:3], v6 offset:80
	s_waitcnt lgkmcnt(0)
	v_bfi_b32 v4, 0xffff, 0, v0
	v_lshlrev_b32_e32 v0, 16, v0
	s_clause 0x1
	scratch_store_b32 off, v4, s32 offset:472
	scratch_store_b32 off, v0, s32 offset:476
	v_bfi_b32 v0, 0xffff, 0, v1
	scratch_store_b32 off, v0, s32 offset:480 ; 4-byte Folded Spill
	v_lshlrev_b32_e32 v0, 16, v1
	scratch_store_b32 off, v0, s32 offset:484 ; 4-byte Folded Spill
	v_bfi_b32 v0, 0xffff, 0, v2
	scratch_store_b32 off, v0, s32 offset:488 ; 4-byte Folded Spill
	v_lshlrev_b32_e32 v0, 16, v2
	scratch_store_b32 off, v0, s32 offset:492 ; 4-byte Folded Spill
	v_bfi_b32 v0, 0xffff, 0, v3
	scratch_store_b32 off, v0, s32 offset:496 ; 4-byte Folded Spill
	v_lshlrev_b32_e32 v0, 16, v3
	scratch_store_b32 off, v0, s32 offset:504 ; 4-byte Folded Spill
	ds_load_b128 v[0:3], v6 offset:96
	s_waitcnt lgkmcnt(0)
	v_bfi_b32 v4, 0xffff, 0, v0
	v_lshlrev_b32_e32 v0, 16, v0
	s_clause 0x1
	scratch_store_b32 off, v4, s32 offset:508
	scratch_store_b32 off, v0, s32 offset:512
	v_bfi_b32 v0, 0xffff, 0, v1
	scratch_store_b32 off, v0, s32 offset:516 ; 4-byte Folded Spill
	v_lshlrev_b32_e32 v0, 16, v1
	scratch_store_b32 off, v0, s32 offset:520 ; 4-byte Folded Spill
	v_bfi_b32 v0, 0xffff, 0, v2
	scratch_store_b32 off, v0, s32 offset:524 ; 4-byte Folded Spill
	v_lshlrev_b32_e32 v0, 16, v2
	scratch_store_b32 off, v0, s32 offset:528 ; 4-byte Folded Spill
	v_bfi_b32 v0, 0xffff, 0, v3
	scratch_store_b32 off, v0, s32 offset:532 ; 4-byte Folded Spill
	v_lshlrev_b32_e32 v0, 16, v3
	scratch_store_b32 off, v0, s32 offset:536 ; 4-byte Folded Spill
	ds_load_b128 v[0:3], v6 offset:112
	s_waitcnt lgkmcnt(0)
	v_bfi_b32 v4, 0xffff, 0, v0
	v_lshlrev_b32_e32 v0, 16, v0
	s_clause 0x1
	scratch_store_b32 off, v4, s32 offset:540
	scratch_store_b32 off, v0, s32 offset:544
	v_bfi_b32 v0, 0xffff, 0, v1
	scratch_store_b32 off, v0, s32 offset:548 ; 4-byte Folded Spill
	v_lshlrev_b32_e32 v0, 16, v1
	scratch_store_b32 off, v0, s32 offset:552 ; 4-byte Folded Spill
	v_bfi_b32 v0, 0xffff, 0, v2
	scratch_store_b32 off, v0, s32 offset:556 ; 4-byte Folded Spill
	v_lshlrev_b32_e32 v0, 16, v2
	scratch_store_b32 off, v0, s32 offset:560 ; 4-byte Folded Spill
	v_bfi_b32 v0, 0xffff, 0, v3
	scratch_store_b32 off, v0, s32 offset:564 ; 4-byte Folded Spill
	v_lshlrev_b32_e32 v0, 16, v3
	scratch_store_b32 off, v0, s32 offset:568 ; 4-byte Folded Spill
	ds_load_b128 v[0:3], v6 offset:128
	s_waitcnt lgkmcnt(0)
	v_bfi_b32 v4, 0xffff, 0, v0
	v_lshlrev_b32_e32 v0, 16, v0
	s_clause 0x1
	scratch_store_b32 off, v4, s32 offset:572
	scratch_store_b32 off, v0, s32 offset:576
	v_bfi_b32 v0, 0xffff, 0, v1
	scratch_store_b32 off, v0, s32 offset:580 ; 4-byte Folded Spill
	v_lshlrev_b32_e32 v0, 16, v1
	scratch_store_b32 off, v0, s32 offset:584 ; 4-byte Folded Spill
	v_bfi_b32 v0, 0xffff, 0, v2
	scratch_store_b32 off, v0, s32 offset:588 ; 4-byte Folded Spill
	v_lshlrev_b32_e32 v0, 16, v2
	scratch_store_b32 off, v0, s32 offset:592 ; 4-byte Folded Spill
	v_bfi_b32 v0, 0xffff, 0, v3
	scratch_store_b32 off, v0, s32 offset:596 ; 4-byte Folded Spill
	v_lshlrev_b32_e32 v0, 16, v3
	scratch_store_b32 off, v0, s32 offset:600 ; 4-byte Folded Spill
	ds_load_b128 v[0:3], v6 offset:144
	s_waitcnt lgkmcnt(0)
	v_bfi_b32 v4, 0xffff, 0, v0
	v_lshlrev_b32_e32 v0, 16, v0
	s_clause 0x1
	scratch_store_b32 off, v4, s32 offset:604
	scratch_store_b32 off, v0, s32 offset:608
	v_bfi_b32 v0, 0xffff, 0, v1
	scratch_store_b32 off, v0, s32 offset:612 ; 4-byte Folded Spill
	v_lshlrev_b32_e32 v0, 16, v1
	scratch_store_b32 off, v0, s32 offset:616 ; 4-byte Folded Spill
	v_bfi_b32 v0, 0xffff, 0, v2
	scratch_store_b32 off, v0, s32 offset:620 ; 4-byte Folded Spill
	v_lshlrev_b32_e32 v0, 16, v2
	scratch_store_b32 off, v0, s32 offset:624 ; 4-byte Folded Spill
	v_bfi_b32 v0, 0xffff, 0, v3
	scratch_store_b32 off, v0, s32 offset:628 ; 4-byte Folded Spill
	v_lshlrev_b32_e32 v0, 16, v3
	scratch_store_b32 off, v0, s32 offset:632 ; 4-byte Folded Spill
	ds_load_b128 v[0:3], v6 offset:160
	s_waitcnt lgkmcnt(0)
	v_bfi_b32 v4, 0xffff, 0, v0
	v_lshlrev_b32_e32 v0, 16, v0
	s_clause 0x1
	scratch_store_b32 off, v4, s32 offset:636
	scratch_store_b32 off, v0, s32 offset:640
	v_bfi_b32 v0, 0xffff, 0, v1
	scratch_store_b32 off, v0, s32 offset:644 ; 4-byte Folded Spill
	v_lshlrev_b32_e32 v0, 16, v1
	scratch_store_b32 off, v0, s32 offset:648 ; 4-byte Folded Spill
	v_bfi_b32 v0, 0xffff, 0, v2
	scratch_store_b32 off, v0, s32 offset:652 ; 4-byte Folded Spill
	v_lshlrev_b32_e32 v0, 16, v2
	scratch_store_b32 off, v0, s32 offset:656 ; 4-byte Folded Spill
	v_bfi_b32 v0, 0xffff, 0, v3
	scratch_store_b32 off, v0, s32 offset:660 ; 4-byte Folded Spill
	v_lshlrev_b32_e32 v0, 16, v3
	scratch_store_b32 off, v0, s32 offset:664 ; 4-byte Folded Spill
	ds_load_b128 v[0:3], v6 offset:176
	s_waitcnt lgkmcnt(0)
	v_bfi_b32 v4, 0xffff, 0, v0
	v_lshlrev_b32_e32 v0, 16, v0
	v_lshlrev_b32_e32 v122, 16, v1
	v_bfi_b32 v123, 0xffff, 0, v2
	v_lshlrev_b32_e32 v124, 16, v2
	s_clause 0x1
	scratch_store_b32 off, v4, s32 offset:668
	scratch_store_b32 off, v0, s32 offset:672
	v_bfi_b32 v0, 0xffff, 0, v1
	v_bfi_b32 v125, 0xffff, 0, v3
	v_lshlrev_b32_e32 v126, 16, v3
	v_bfi_b32 v4, 0xffff, 0, v17
	scratch_store_b32 off, v0, s32 offset:676 ; 4-byte Folded Spill
	ds_load_b128 v[0:3], v6 offset:192
	s_waitcnt lgkmcnt(0)
	v_bfi_b32 v127, 0xffff, 0, v0
	v_lshlrev_b32_e32 v136, 16, v0
	v_bfi_b32 v137, 0xffff, 0, v1
	v_lshlrev_b32_e32 v138, 16, v1
	v_bfi_b32 v139, 0xffff, 0, v2
	v_lshlrev_b32_e32 v140, 16, v2
	v_bfi_b32 v141, 0xffff, 0, v3
	v_lshlrev_b32_e32 v142, 16, v3
	ds_load_b128 v[0:3], v6 offset:208
	s_waitcnt lgkmcnt(0)
	v_bfi_b32 v143, 0xffff, 0, v0
	v_lshlrev_b32_e32 v152, 16, v0
	v_bfi_b32 v153, 0xffff, 0, v1
	v_lshlrev_b32_e32 v154, 16, v1
	v_bfi_b32 v155, 0xffff, 0, v2
	v_lshlrev_b32_e32 v156, 16, v2
	v_bfi_b32 v157, 0xffff, 0, v3
	v_lshlrev_b32_e32 v158, 16, v3
	;; [unrolled: 10-line block ×3, first 2 shown]
	ds_load_b128 v[0:3], v6 offset:240
	s_waitcnt lgkmcnt(0)
	v_bfi_b32 v187, 0xffff, 0, v2
	v_lshlrev_b32_e32 v188, 16, v2
	v_bfi_b32 v189, 0xffff, 0, v3
	v_lshlrev_b32_e32 v190, 16, v3
	v_lshlrev_b32_e32 v3, 16, v18
	v_bfi_b32 v2, 0xffff, 0, v19
	ds_load_b128 v[16:19], v6 offset:272
	v_bfi_b32 v175, 0xffff, 0, v0
	v_lshlrev_b32_e32 v184, 16, v0
	v_bfi_b32 v185, 0xffff, 0, v1
	v_lshlrev_b32_e32 v186, 16, v1
	s_waitcnt lgkmcnt(0)
	v_bfi_b32 v69, 0xffff, 0, v16
	v_lshlrev_b32_e32 v121, 16, v16
	v_bfi_b32 v120, 0xffff, 0, v17
	v_lshlrev_b32_e32 v70, 16, v17
	v_bfi_b32 v71, 0xffff, 0, v18
	v_lshlrev_b32_e32 v96, 16, v18
	v_bfi_b32 v22, 0xffff, 0, v19
	v_lshlrev_b32_e32 v39, 16, v19
	ds_load_b128 v[16:19], v6 offset:288
	s_waitcnt lgkmcnt(0)
	v_bfi_b32 v1, 0xffff, 0, v16
	v_lshlrev_b32_e32 v0, 16, v16
	v_bfi_b32 v86, 0xffff, 0, v17
	v_lshlrev_b32_e32 v97, 16, v17
	v_bfi_b32 v98, 0xffff, 0, v18
	v_lshlrev_b32_e32 v99, 16, v18
	v_bfi_b32 v100, 0xffff, 0, v19
	v_lshlrev_b32_e32 v101, 16, v19
	ds_load_b128 v[16:19], v6 offset:304
	;; [unrolled: 10-line block ×6, first 2 shown]
	v_lshlrev_b64 v[6:7], 1, v[64:65]
	s_delay_alu instid0(VALU_DEP_1) | instskip(NEXT) | instid1(VALU_DEP_2)
	v_add_co_u32 v8, vcc_lo, v8, v6
	v_add_co_ci_u32_e32 v9, vcc_lo, v9, v7, vcc_lo
	v_lshlrev_b64 v[6:7], 2, v[20:21]
	s_delay_alu instid0(VALU_DEP_1) | instskip(NEXT) | instid1(VALU_DEP_2)
	v_add_co_u32 v6, vcc_lo, v54, v6
	v_add_co_ci_u32_e32 v7, vcc_lo, v55, v7, vcc_lo
	s_waitcnt lgkmcnt(0)
	v_bfi_b32 v166, 0xffff, 0, v16
	s_delay_alu instid0(VALU_DEP_3) | instskip(NEXT) | instid1(VALU_DEP_3)
	v_add_co_u32 v80, vcc_lo, v14, v6
	v_add_co_ci_u32_e32 v81, vcc_lo, v15, v7, vcc_lo
	scratch_load_b32 v7, off, s32 offset:684 ; 4-byte Folded Reload
	v_lshlrev_b32_e32 v6, 4, v23
	v_lshlrev_b32_e32 v167, 16, v16
	v_bfi_b32 v176, 0xffff, 0, v17
	v_lshlrev_b32_e32 v177, 16, v17
	v_bfi_b32 v178, 0xffff, 0, v18
	v_add_co_u32 v183, vcc_lo, v8, v6
	v_add_co_ci_u32_e32 v40, vcc_lo, 0, v9, vcc_lo
	v_lshlrev_b32_e32 v179, 16, v18
	v_bfi_b32 v180, 0xffff, 0, v19
	v_dual_mov_b32 v14, v24 :: v_dual_lshlrev_b32 v181, 16, v19
	v_mov_b32_e32 v15, v25
	v_cmp_neq_f32_e32 vcc_lo, 0, v12
	s_waitcnt vmcnt(0)
	v_lshlrev_b32_e32 v6, 5, v7
	s_delay_alu instid0(VALU_DEP_1) | instskip(SKIP_1) | instid1(VALU_DEP_1)
	v_add3_u32 v41, s17, v6, v23
	v_lshl_or_b32 v6, v7, 7, v27
	v_add_nc_u32_e32 v42, s1, v6
.LBB203_7:                              ; =>This Inner Loop Header: Depth=1
	flat_load_b32 v8, v[80:81]
	scratch_load_b32 v30, off, s32 offset:348 ; 4-byte Folded Reload
	v_add_nc_u32_e32 v44, 4, v44
	s_waitcnt vmcnt(1) lgkmcnt(0)
	v_mad_i64_i32 v[6:7], null, v8, v110, 0
	s_delay_alu instid0(VALU_DEP_1) | instskip(NEXT) | instid1(VALU_DEP_1)
	v_lshlrev_b64 v[6:7], 1, v[6:7]
	v_add_co_u32 v27, s1, v183, v6
	s_delay_alu instid0(VALU_DEP_1) | instskip(SKIP_1) | instid1(VALU_DEP_3)
	v_add_co_ci_u32_e64 v28, s1, v40, v7, s1
	v_add_nc_u32_e32 v6, v43, v41
	v_add_co_u32 v82, s1, 0x2000, v27
	s_clause 0x1
	flat_load_b128 v[23:26], v[27:28] offset:2560
	flat_load_b128 v[16:19], v[27:28]
	v_cvt_f32_i32_e32 v6, v6
	v_add_co_ci_u32_e64 v83, s1, 0, v28, s1
	v_add_co_u32 v84, s2, 0x1000, v27
	s_delay_alu instid0(VALU_DEP_3)
	v_mul_f32_e32 v6, v12, v6
	v_add_co_ci_u32_e64 v85, s2, 0, v28, s2
	v_cmp_lt_i32_e64 s1, v41, v87
	v_add_nc_u32_e32 v41, 0x80, v41
	s_waitcnt vmcnt(0) lgkmcnt(0)
	v_and_b32_e32 v79, 0xffff0000, v16
	v_dual_cndmask_b32 v45, 0, v6 :: v_dual_lshlrev_b32 v78, 16, v16
	flat_load_b128 v[6:9], v[82:83]
	v_lshlrev_b32_e32 v88, 16, v17
	v_and_b32_e32 v89, 0xffff0000, v17
	v_lshlrev_b32_e32 v76, 16, v18
	v_and_b32_e32 v77, 0xffff0000, v18
	;; [unrolled: 2-line block ×3, first 2 shown]
	flat_load_b128 v[16:19], v[27:28] offset:512
	s_waitcnt vmcnt(0) lgkmcnt(0)
	v_and_b32_e32 v29, 0xffff0000, v16
	v_lshlrev_b32_e32 v16, 16, v16
	s_delay_alu instid0(VALU_DEP_1)
	v_mul_f32_e32 v46, v30, v16
	scratch_load_b32 v16, off, s32 offset:344 ; 4-byte Folded Reload
	s_waitcnt vmcnt(0)
	v_dual_fmac_f32 v46, v15, v78 :: v_dual_mul_f32 v47, v16, v29
	scratch_load_b32 v29, off, s32 offset:356 ; 4-byte Folded Reload
	v_dual_fmac_f32 v47, v14, v79 :: v_dual_and_b32 v16, 0xffff0000, v17
	v_lshlrev_b32_e32 v17, 16, v17
	s_waitcnt vmcnt(0)
	s_delay_alu instid0(VALU_DEP_1)
	v_mul_f32_e32 v56, v29, v17
	scratch_load_b32 v17, off, s32 offset:352 ; 4-byte Folded Reload
	s_waitcnt vmcnt(0)
	v_dual_mul_f32 v57, v17, v16 :: v_dual_and_b32 v16, 0xffff0000, v18
	v_lshlrev_b32_e32 v17, 16, v18
	scratch_load_b32 v18, off, s32 offset:364 ; 4-byte Folded Reload
	s_waitcnt vmcnt(0)
	v_mul_f32_e32 v58, v18, v17
	s_clause 0x1
	scratch_load_b32 v17, off, s32 offset:360
	scratch_load_b32 v18, off, s32 offset:372
	s_waitcnt vmcnt(1)
	v_mul_f32_e32 v59, v17, v16
	v_lshlrev_b32_e32 v17, 16, v19
	v_and_b32_e32 v16, 0xffff0000, v19
	s_waitcnt vmcnt(0)
	s_delay_alu instid0(VALU_DEP_2)
	v_mul_f32_e32 v60, v18, v17
	scratch_load_b32 v17, off, s32 offset:368 ; 4-byte Folded Reload
	s_waitcnt vmcnt(0)
	v_mul_f32_e32 v61, v17, v16
	flat_load_b128 v[16:19], v[27:28] offset:1024
	s_waitcnt vmcnt(0) lgkmcnt(0)
	v_and_b32_e32 v90, 0xffff0000, v16
	v_lshlrev_b32_e32 v91, 16, v16
	v_and_b32_e32 v92, 0xffff0000, v17
	v_lshlrev_b32_e32 v93, 16, v17
	;; [unrolled: 2-line block ×4, first 2 shown]
	s_clause 0x3
	flat_load_b128 v[16:19], v[27:28] offset:1536
	flat_load_b128 v[64:67], v[27:28] offset:2048
	;; [unrolled: 1-line block ×4, first 2 shown]
	s_waitcnt vmcnt(3) lgkmcnt(3)
	v_lshlrev_b32_e32 v104, 16, v16
	v_and_b32_e32 v105, 0xffff0000, v16
	v_lshlrev_b32_e32 v106, 16, v17
	v_and_b32_e32 v107, 0xffff0000, v17
	;; [unrolled: 2-line block ×4, first 2 shown]
	s_clause 0x3
	flat_load_b128 v[35:38], v[84:85]
	flat_load_b128 v[31:34], v[84:85] offset:512
	flat_load_b128 v[27:30], v[84:85] offset:1024
	;; [unrolled: 1-line block ×3, first 2 shown]
	s_clause 0x1
	scratch_load_b32 v78, off, s32 offset:380
	scratch_load_b32 v79, off, s32 offset:444
	s_waitcnt vmcnt(1)
	v_fmac_f32_e32 v46, v78, v91
	scratch_load_b32 v78, off, s32 offset:376 ; 4-byte Folded Reload
	s_waitcnt vmcnt(0)
	v_fmac_f32_e32 v47, v78, v90
	scratch_load_b32 v78, off, s32 offset:408 ; 4-byte Folded Reload
	;; [unrolled: 3-line block ×3, first 2 shown]
	s_waitcnt vmcnt(0)
	v_fmac_f32_e32 v46, v78, v104
	s_waitcnt lgkmcnt(6)
	v_and_b32_e32 v78, 0xffff0000, v64
	v_lshlrev_b32_e32 v64, 16, v64
	s_delay_alu instid0(VALU_DEP_1)
	v_fmac_f32_e32 v46, v79, v64
	scratch_load_b32 v64, off, s32 offset:440 ; 4-byte Folded Reload
	s_waitcnt vmcnt(0)
	v_fmac_f32_e32 v47, v64, v78
	scratch_load_b32 v78, off, s32 offset:472 ; 4-byte Folded Reload
	v_lshlrev_b32_e32 v64, 16, v23
	v_and_b32_e32 v23, 0xffff0000, v23
	s_waitcnt vmcnt(0)
	s_delay_alu instid0(VALU_DEP_1)
	v_fmac_f32_e32 v47, v78, v23
	scratch_load_b32 v23, off, s32 offset:476 ; 4-byte Folded Reload
	s_waitcnt vmcnt(0)
	v_fmac_f32_e32 v46, v23, v64
	scratch_load_b32 v64, off, s32 offset:512 ; 4-byte Folded Reload
	s_waitcnt lgkmcnt(5)
	v_and_b32_e32 v23, 0xffff0000, v52
	v_lshlrev_b32_e32 v52, 16, v52
	s_waitcnt vmcnt(0)
	s_delay_alu instid0(VALU_DEP_1)
	v_fmac_f32_e32 v46, v64, v52
	scratch_load_b32 v52, off, s32 offset:508 ; 4-byte Folded Reload
	s_waitcnt vmcnt(0)
	v_fmac_f32_e32 v47, v52, v23
	scratch_load_b32 v52, off, s32 offset:540 ; 4-byte Folded Reload
	s_waitcnt lgkmcnt(4)
	v_lshlrev_b32_e32 v23, 16, v48
	v_and_b32_e32 v48, 0xffff0000, v48
	s_waitcnt vmcnt(0)
	s_delay_alu instid0(VALU_DEP_1)
	v_fmac_f32_e32 v47, v52, v48
	scratch_load_b32 v48, off, s32 offset:544 ; 4-byte Folded Reload
	s_waitcnt vmcnt(0)
	v_fmac_f32_e32 v46, v48, v23
	scratch_load_b32 v48, off, s32 offset:576 ; 4-byte Folded Reload
	s_waitcnt lgkmcnt(3)
	v_and_b32_e32 v23, 0xffff0000, v35
	v_lshlrev_b32_e32 v35, 16, v35
	s_waitcnt vmcnt(0)
	s_delay_alu instid0(VALU_DEP_1)
	v_fmac_f32_e32 v46, v48, v35
	scratch_load_b32 v35, off, s32 offset:572 ; 4-byte Folded Reload
	s_waitcnt vmcnt(0)
	v_fmac_f32_e32 v47, v35, v23
	scratch_load_b32 v35, off, s32 offset:604 ; 4-byte Folded Reload
	s_waitcnt lgkmcnt(2)
	;; [unrolled: 20-line block ×3, first 2 shown]
	v_lshlrev_b32_e32 v23, 16, v16
	v_and_b32_e32 v16, 0xffff0000, v16
	s_waitcnt vmcnt(0)
	s_delay_alu instid0(VALU_DEP_1)
	v_fmac_f32_e32 v47, v27, v16
	s_clause 0x1
	scratch_load_b32 v16, off, s32 offset:672
	scratch_load_b32 v27, off, s32 offset:452
	s_waitcnt vmcnt(1)
	v_dual_fmac_f32 v46, v16, v23 :: v_dual_lshlrev_b32 v23, 16, v65
	scratch_load_b32 v16, off, s32 offset:320 ; 4-byte Folded Reload
	s_waitcnt vmcnt(0)
	v_fmac_f32_e32 v57, v16, v89
	scratch_load_b32 v16, off, s32 offset:324 ; 4-byte Folded Reload
	s_waitcnt vmcnt(0)
	v_fmac_f32_e32 v56, v16, v88
	;; [unrolled: 3-line block ×6, first 2 shown]
	v_and_b32_e32 v16, 0xffff0000, v65
	s_delay_alu instid0(VALU_DEP_2)
	v_fmac_f32_e32 v56, v27, v23
	scratch_load_b32 v23, off, s32 offset:448 ; 4-byte Folded Reload
	s_waitcnt vmcnt(0)
	v_fmac_f32_e32 v57, v23, v16
	v_lshlrev_b32_e32 v16, 16, v24
	v_and_b32_e32 v23, 0xffff0000, v24
	scratch_load_b32 v24, off, s32 offset:480 ; 4-byte Folded Reload
	s_waitcnt vmcnt(0)
	v_fmac_f32_e32 v57, v24, v23
	s_clause 0x1
	scratch_load_b32 v23, off, s32 offset:484
	scratch_load_b32 v24, off, s32 offset:520
	s_waitcnt vmcnt(1)
	v_dual_fmac_f32 v56, v23, v16 :: v_dual_lshlrev_b32 v23, 16, v53
	v_and_b32_e32 v16, 0xffff0000, v53
	s_waitcnt vmcnt(0)
	s_delay_alu instid0(VALU_DEP_2)
	v_fmac_f32_e32 v56, v24, v23
	s_clause 0x1
	scratch_load_b32 v23, off, s32 offset:516
	scratch_load_b32 v24, off, s32 offset:548
	s_waitcnt vmcnt(1)
	v_fmac_f32_e32 v57, v23, v16
	v_and_b32_e32 v23, 0xffff0000, v49
	s_waitcnt vmcnt(0)
	s_delay_alu instid0(VALU_DEP_1)
	v_dual_fmac_f32 v57, v24, v23 :: v_dual_lshlrev_b32 v16, 16, v49
	s_clause 0x1
	scratch_load_b32 v23, off, s32 offset:552
	scratch_load_b32 v24, off, s32 offset:584
	s_waitcnt vmcnt(1)
	v_fmac_f32_e32 v56, v23, v16
	v_lshlrev_b32_e32 v23, 16, v36
	v_and_b32_e32 v16, 0xffff0000, v36
	s_waitcnt vmcnt(0)
	s_delay_alu instid0(VALU_DEP_2)
	v_fmac_f32_e32 v56, v24, v23
	s_clause 0x1
	scratch_load_b32 v23, off, s32 offset:580
	scratch_load_b32 v24, off, s32 offset:612
	s_waitcnt vmcnt(1)
	v_fmac_f32_e32 v57, v23, v16
	v_and_b32_e32 v23, 0xffff0000, v32
	s_waitcnt vmcnt(0)
	s_delay_alu instid0(VALU_DEP_1)
	v_dual_fmac_f32 v57, v24, v23 :: v_dual_lshlrev_b32 v16, 16, v32
	s_clause 0x1
	scratch_load_b32 v23, off, s32 offset:616
	scratch_load_b32 v24, off, s32 offset:648
	s_waitcnt vmcnt(1)
	v_fmac_f32_e32 v56, v23, v16
	v_lshlrev_b32_e32 v23, 16, v28
	v_and_b32_e32 v16, 0xffff0000, v28
	s_waitcnt vmcnt(0)
	s_delay_alu instid0(VALU_DEP_2)
	v_fmac_f32_e32 v56, v24, v23
	scratch_load_b32 v23, off, s32 offset:644 ; 4-byte Folded Reload
	s_waitcnt vmcnt(0)
	v_dual_fmac_f32 v57, v23, v16 :: v_dual_lshlrev_b32 v16, 16, v17
	scratch_load_b32 v23, off, s32 offset:676 ; 4-byte Folded Reload
	v_dual_fmac_f32 v56, v122, v16 :: v_dual_and_b32 v17, 0xffff0000, v17
	scratch_load_b32 v16, off, s32 offset:328 ; 4-byte Folded Reload
	s_waitcnt vmcnt(1)
	v_fmac_f32_e32 v57, v23, v17
	scratch_load_b32 v23, off, s32 offset:460 ; 4-byte Folded Reload
	v_lshlrev_b32_e32 v17, 16, v66
	s_waitcnt vmcnt(1)
	v_fmac_f32_e32 v59, v16, v77
	scratch_load_b32 v16, off, s32 offset:332 ; 4-byte Folded Reload
	s_waitcnt vmcnt(0)
	v_fmac_f32_e32 v58, v16, v76
	scratch_load_b32 v16, off, s32 offset:396 ; 4-byte Folded Reload
	;; [unrolled: 3-line block ×5, first 2 shown]
	s_waitcnt vmcnt(0)
	v_fmac_f32_e32 v58, v16, v108
	v_and_b32_e32 v16, 0xffff0000, v66
	s_delay_alu instid0(VALU_DEP_2)
	v_fmac_f32_e32 v58, v23, v17
	s_clause 0x1
	scratch_load_b32 v17, off, s32 offset:456
	scratch_load_b32 v23, off, s32 offset:488
	s_waitcnt vmcnt(1)
	v_dual_fmac_f32 v59, v17, v16 :: v_dual_lshlrev_b32 v16, 16, v25
	v_and_b32_e32 v17, 0xffff0000, v25
	s_waitcnt vmcnt(0)
	s_delay_alu instid0(VALU_DEP_1)
	v_fmac_f32_e32 v59, v23, v17
	s_clause 0x1
	scratch_load_b32 v17, off, s32 offset:492
	scratch_load_b32 v23, off, s32 offset:528
	s_waitcnt vmcnt(1)
	v_dual_fmac_f32 v58, v17, v16 :: v_dual_lshlrev_b32 v17, 16, v54
	v_and_b32_e32 v16, 0xffff0000, v54
	s_waitcnt vmcnt(0)
	s_delay_alu instid0(VALU_DEP_2)
	v_fmac_f32_e32 v58, v23, v17
	s_clause 0x1
	scratch_load_b32 v17, off, s32 offset:524
	scratch_load_b32 v23, off, s32 offset:556
	s_waitcnt vmcnt(1)
	v_fmac_f32_e32 v59, v17, v16
	v_and_b32_e32 v17, 0xffff0000, v50
	s_waitcnt vmcnt(0)
	s_delay_alu instid0(VALU_DEP_1)
	v_dual_fmac_f32 v59, v23, v17 :: v_dual_lshlrev_b32 v16, 16, v50
	s_clause 0x1
	scratch_load_b32 v17, off, s32 offset:560
	scratch_load_b32 v23, off, s32 offset:592
	s_waitcnt vmcnt(1)
	v_dual_fmac_f32 v58, v17, v16 :: v_dual_lshlrev_b32 v17, 16, v37
	v_and_b32_e32 v16, 0xffff0000, v37
	s_waitcnt vmcnt(0)
	s_delay_alu instid0(VALU_DEP_2)
	v_fmac_f32_e32 v58, v23, v17
	s_clause 0x1
	scratch_load_b32 v17, off, s32 offset:588
	scratch_load_b32 v23, off, s32 offset:620
	s_waitcnt vmcnt(1)
	v_fmac_f32_e32 v59, v17, v16
	v_and_b32_e32 v17, 0xffff0000, v33
	v_lshlrev_b32_e32 v16, 16, v33
	s_waitcnt vmcnt(0)
	s_delay_alu instid0(VALU_DEP_2)
	v_fmac_f32_e32 v59, v23, v17
	s_clause 0x1
	scratch_load_b32 v17, off, s32 offset:624
	scratch_load_b32 v23, off, s32 offset:656
	s_waitcnt vmcnt(1)
	v_dual_fmac_f32 v58, v17, v16 :: v_dual_lshlrev_b32 v17, 16, v29
	v_and_b32_e32 v16, 0xffff0000, v29
	s_waitcnt vmcnt(0)
	s_delay_alu instid0(VALU_DEP_2)
	v_fmac_f32_e32 v58, v23, v17
	scratch_load_b32 v17, off, s32 offset:652 ; 4-byte Folded Reload
	s_waitcnt vmcnt(0)
	v_dual_fmac_f32 v59, v17, v16 :: v_dual_lshlrev_b32 v16, 16, v18
	v_and_b32_e32 v17, 0xffff0000, v18
	scratch_load_b32 v18, off, s32 offset:468 ; 4-byte Folded Reload
	v_fmac_f32_e32 v58, v124, v16
	scratch_load_b32 v16, off, s32 offset:336 ; 4-byte Folded Reload
	v_fmac_f32_e32 v59, v123, v17
	v_lshlrev_b32_e32 v17, 16, v67
	s_waitcnt vmcnt(0)
	v_fmac_f32_e32 v61, v16, v63
	scratch_load_b32 v16, off, s32 offset:340 ; 4-byte Folded Reload
	s_waitcnt vmcnt(0)
	v_fmac_f32_e32 v60, v16, v62
	scratch_load_b32 v16, off, s32 offset:404 ; 4-byte Folded Reload
	;; [unrolled: 3-line block ×5, first 2 shown]
	s_waitcnt vmcnt(0)
	v_fmac_f32_e32 v60, v16, v74
	v_and_b32_e32 v16, 0xffff0000, v67
	s_delay_alu instid0(VALU_DEP_2)
	v_fmac_f32_e32 v60, v18, v17
	s_clause 0x1
	scratch_load_b32 v17, off, s32 offset:464
	scratch_load_b32 v18, off, s32 offset:496
	s_waitcnt vmcnt(1)
	v_fmac_f32_e32 v61, v17, v16
	v_and_b32_e32 v17, 0xffff0000, v26
	s_waitcnt vmcnt(0)
	s_delay_alu instid0(VALU_DEP_1)
	v_dual_fmac_f32 v61, v18, v17 :: v_dual_lshlrev_b32 v16, 16, v26
	s_clause 0x1
	scratch_load_b32 v17, off, s32 offset:504
	scratch_load_b32 v18, off, s32 offset:536
	s_waitcnt vmcnt(1)
	v_dual_fmac_f32 v60, v17, v16 :: v_dual_lshlrev_b32 v17, 16, v55
	v_and_b32_e32 v16, 0xffff0000, v55
	s_waitcnt vmcnt(0)
	s_delay_alu instid0(VALU_DEP_2)
	v_fmac_f32_e32 v60, v18, v17
	s_clause 0x1
	scratch_load_b32 v17, off, s32 offset:532
	scratch_load_b32 v18, off, s32 offset:564
	s_waitcnt vmcnt(1)
	v_fmac_f32_e32 v61, v17, v16
	v_and_b32_e32 v17, 0xffff0000, v51
	s_waitcnt vmcnt(0)
	s_delay_alu instid0(VALU_DEP_1)
	v_dual_fmac_f32 v61, v18, v17 :: v_dual_lshlrev_b32 v16, 16, v51
	s_clause 0x1
	scratch_load_b32 v17, off, s32 offset:568
	scratch_load_b32 v18, off, s32 offset:600
	s_waitcnt vmcnt(1)
	v_dual_fmac_f32 v60, v17, v16 :: v_dual_lshlrev_b32 v17, 16, v38
	v_and_b32_e32 v16, 0xffff0000, v38
	s_waitcnt vmcnt(0)
	;; [unrolled: 18-line block ×3, first 2 shown]
	s_delay_alu instid0(VALU_DEP_2) | instskip(SKIP_3) | instid1(VALU_DEP_1)
	v_fmac_f32_e32 v60, v18, v17
	scratch_load_b32 v17, off, s32 offset:660 ; 4-byte Folded Reload
	s_waitcnt vmcnt(0)
	v_dual_fmac_f32 v61, v17, v16 :: v_dual_lshlrev_b32 v16, 16, v19
	v_dual_fmac_f32 v60, v126, v16 :: v_dual_and_b32 v17, 0xffff0000, v19
	s_delay_alu instid0(VALU_DEP_1)
	v_fmac_f32_e32 v61, v125, v17
	flat_load_b128 v[16:19], v[84:85] offset:2048
	s_waitcnt vmcnt(0) lgkmcnt(0)
	v_and_b32_e32 v76, 0xffff0000, v16
	v_and_b32_e32 v78, 0xffff0000, v17
	v_lshlrev_b32_e32 v79, 16, v17
	v_lshlrev_b32_e32 v77, 16, v16
	v_and_b32_e32 v88, 0xffff0000, v18
	v_lshlrev_b32_e32 v89, 16, v18
	v_and_b32_e32 v62, 0xffff0000, v19
	v_lshlrev_b32_e32 v63, 16, v19
	flat_load_b128 v[16:19], v[84:85] offset:2560
	v_dual_fmac_f32 v47, v127, v76 :: v_dual_fmac_f32 v56, v138, v79
	s_waitcnt vmcnt(0) lgkmcnt(0)
	v_dual_fmac_f32 v46, v136, v77 :: v_dual_and_b32 v91, 0xffff0000, v16
	v_lshlrev_b32_e32 v92, 16, v17
	v_and_b32_e32 v93, 0xffff0000, v17
	v_lshlrev_b32_e32 v90, 16, v16
	v_lshlrev_b32_e32 v94, 16, v18
	v_and_b32_e32 v95, 0xffff0000, v18
	v_lshlrev_b32_e32 v72, 16, v19
	v_and_b32_e32 v73, 0xffff0000, v19
	flat_load_b128 v[16:19], v[84:85] offset:3072
	v_dual_fmac_f32 v47, v143, v91 :: v_dual_fmac_f32 v46, v152, v90
	s_waitcnt vmcnt(0) lgkmcnt(0)
	v_and_b32_e32 v104, 0xffff0000, v16
	v_lshlrev_b32_e32 v105, 16, v16
	v_and_b32_e32 v106, 0xffff0000, v17
	v_lshlrev_b32_e32 v107, 16, v17
	;; [unrolled: 2-line block ×4, first 2 shown]
	s_clause 0x7
	flat_load_b128 v[64:67], v[84:85] offset:3584
	flat_load_b128 v[52:55], v[82:83] offset:512
	;; [unrolled: 1-line block ×8, first 2 shown]
	v_dual_fmac_f32 v46, v168, v105 :: v_dual_fmac_f32 v47, v159, v104
	s_waitcnt vmcnt(7) lgkmcnt(7)
	v_lshlrev_b32_e32 v82, 16, v64
	v_and_b32_e32 v64, 0xffff0000, v64
	s_delay_alu instid0(VALU_DEP_1) | instskip(SKIP_1) | instid1(VALU_DEP_1)
	v_dual_fmac_f32 v46, v184, v82 :: v_dual_fmac_f32 v47, v175, v64
	v_and_b32_e32 v64, 0xffff0000, v6
	v_dual_fmac_f32 v47, v191, v64 :: v_dual_lshlrev_b32 v6, 16, v6
	s_delay_alu instid0(VALU_DEP_1) | instskip(SKIP_3) | instid1(VALU_DEP_2)
	v_fmac_f32_e32 v46, v5, v6
	s_waitcnt vmcnt(6) lgkmcnt(6)
	v_lshlrev_b32_e32 v6, 16, v52
	v_and_b32_e32 v52, 0xffff0000, v52
	v_fmac_f32_e32 v46, v121, v6
	s_delay_alu instid0(VALU_DEP_2) | instskip(SKIP_2) | instid1(VALU_DEP_1)
	v_fmac_f32_e32 v47, v69, v52
	s_waitcnt vmcnt(5) lgkmcnt(5)
	v_and_b32_e32 v6, 0xffff0000, v48
	v_dual_fmac_f32 v47, v1, v6 :: v_dual_lshlrev_b32 v48, 16, v48
	s_delay_alu instid0(VALU_DEP_1) | instskip(SKIP_2) | instid1(VALU_DEP_1)
	v_fmac_f32_e32 v46, v0, v48
	s_waitcnt vmcnt(4) lgkmcnt(4)
	v_lshlrev_b32_e32 v6, 16, v35
	v_dual_fmac_f32 v46, v103, v6 :: v_dual_and_b32 v35, 0xffff0000, v35
	s_delay_alu instid0(VALU_DEP_1) | instskip(SKIP_3) | instid1(VALU_DEP_1)
	v_fmac_f32_e32 v47, v102, v35
	s_waitcnt vmcnt(3) lgkmcnt(3)
	v_and_b32_e32 v6, 0xffff0000, v31
	v_lshlrev_b32_e32 v31, 16, v31
	v_dual_fmac_f32 v47, v118, v6 :: v_dual_fmac_f32 v46, v119, v31
	s_waitcnt vmcnt(2) lgkmcnt(2)
	v_lshlrev_b32_e32 v6, 16, v27
	s_delay_alu instid0(VALU_DEP_1) | instskip(NEXT) | instid1(VALU_DEP_1)
	v_dual_fmac_f32 v46, v135, v6 :: v_dual_and_b32 v27, 0xffff0000, v27
	v_fmac_f32_e32 v47, v134, v27
	s_waitcnt vmcnt(1) lgkmcnt(1)
	v_and_b32_e32 v6, 0xffff0000, v23
	v_lshlrev_b32_e32 v23, 16, v23
	s_delay_alu instid0(VALU_DEP_2) | instskip(NEXT) | instid1(VALU_DEP_2)
	v_fmac_f32_e32 v47, v150, v6
	v_dual_fmac_f32 v57, v137, v78 :: v_dual_fmac_f32 v46, v151, v23
	s_waitcnt vmcnt(0) lgkmcnt(0)
	v_lshlrev_b32_e32 v6, 16, v16
	v_dual_fmac_f32 v61, v141, v62 :: v_dual_and_b32 v16, 0xffff0000, v16
	s_delay_alu instid0(VALU_DEP_2) | instskip(NEXT) | instid1(VALU_DEP_2)
	v_dual_fmac_f32 v57, v153, v93 :: v_dual_fmac_f32 v46, v167, v6
	v_dual_fmac_f32 v47, v166, v16 :: v_dual_lshlrev_b32 v6, 16, v65
	s_delay_alu instid0(VALU_DEP_2) | instskip(SKIP_1) | instid1(VALU_DEP_1)
	v_dual_fmac_f32 v57, v169, v106 :: v_dual_fmac_f32 v56, v154, v92
	v_dual_fmac_f32 v59, v139, v88 :: v_dual_and_b32 v16, 0xffff0000, v65
	v_dual_fmac_f32 v56, v170, v107 :: v_dual_fmac_f32 v57, v185, v16
	v_fmac_f32_e32 v58, v140, v89
	s_delay_alu instid0(VALU_DEP_2) | instskip(SKIP_4) | instid1(VALU_DEP_3)
	v_fmac_f32_e32 v56, v186, v6
	v_and_b32_e32 v6, 0xffff0000, v7
	v_lshlrev_b32_e32 v7, 16, v7
	v_fmac_f32_e32 v60, v142, v63
	v_fmac_f32_e32 v58, v156, v94
	v_dual_fmac_f32 v57, v4, v6 :: v_dual_fmac_f32 v56, v11, v7
	v_lshlrev_b32_e32 v6, 16, v53
	s_delay_alu instid0(VALU_DEP_4) | instskip(NEXT) | instid1(VALU_DEP_1)
	v_dual_fmac_f32 v60, v158, v72 :: v_dual_and_b32 v7, 0xffff0000, v53
	v_dual_fmac_f32 v56, v70, v6 :: v_dual_fmac_f32 v57, v120, v7
	v_and_b32_e32 v6, 0xffff0000, v49
	v_lshlrev_b32_e32 v7, 16, v49
	s_delay_alu instid0(VALU_DEP_1) | instskip(SKIP_2) | instid1(VALU_DEP_2)
	v_dual_fmac_f32 v57, v86, v6 :: v_dual_fmac_f32 v56, v97, v7
	v_lshlrev_b32_e32 v6, 16, v36
	v_and_b32_e32 v7, 0xffff0000, v36
	v_dual_fmac_f32 v59, v155, v95 :: v_dual_fmac_f32 v56, v113, v6
	s_delay_alu instid0(VALU_DEP_2) | instskip(SKIP_1) | instid1(VALU_DEP_3)
	v_dual_fmac_f32 v57, v112, v7 :: v_dual_and_b32 v6, 0xffff0000, v32
	v_lshlrev_b32_e32 v7, 16, v32
	v_fmac_f32_e32 v59, v171, v108
	v_fmac_f32_e32 v61, v157, v73
	s_delay_alu instid0(VALU_DEP_3) | instskip(SKIP_2) | instid1(VALU_DEP_4)
	v_dual_fmac_f32 v57, v128, v6 :: v_dual_fmac_f32 v56, v129, v7
	v_lshlrev_b32_e32 v6, 16, v28
	v_and_b32_e32 v7, 0xffff0000, v28
	v_fmac_f32_e32 v61, v173, v74
	s_delay_alu instid0(VALU_DEP_2) | instskip(SKIP_2) | instid1(VALU_DEP_1)
	v_dual_fmac_f32 v56, v145, v6 :: v_dual_fmac_f32 v57, v144, v7
	v_and_b32_e32 v6, 0xffff0000, v24
	v_lshlrev_b32_e32 v7, 16, v24
	v_dual_fmac_f32 v57, v160, v6 :: v_dual_fmac_f32 v56, v161, v7
	v_lshlrev_b32_e32 v6, 16, v17
	v_and_b32_e32 v7, 0xffff0000, v17
	v_fmac_f32_e32 v58, v172, v109
	s_delay_alu instid0(VALU_DEP_2) | instskip(SKIP_2) | instid1(VALU_DEP_1)
	v_dual_fmac_f32 v56, v177, v6 :: v_dual_fmac_f32 v57, v176, v7
	v_lshlrev_b32_e32 v6, 16, v66
	v_and_b32_e32 v7, 0xffff0000, v66
	v_dual_fmac_f32 v58, v188, v6 :: v_dual_fmac_f32 v59, v187, v7
	v_and_b32_e32 v6, 0xffff0000, v8
	v_lshlrev_b32_e32 v7, 16, v8
	s_delay_alu instid0(VALU_DEP_1) | instskip(SKIP_1) | instid1(VALU_DEP_1)
	v_dual_fmac_f32 v59, v10, v6 :: v_dual_fmac_f32 v58, v3, v7
	v_and_b32_e32 v7, 0xffff0000, v54
	v_dual_fmac_f32 v59, v71, v7 :: v_dual_lshlrev_b32 v6, 16, v54
	s_delay_alu instid0(VALU_DEP_1) | instskip(SKIP_2) | instid1(VALU_DEP_1)
	v_fmac_f32_e32 v58, v96, v6
	v_and_b32_e32 v6, 0xffff0000, v50
	v_lshlrev_b32_e32 v7, 16, v50
	v_dual_fmac_f32 v59, v98, v6 :: v_dual_fmac_f32 v58, v99, v7
	v_and_b32_e32 v7, 0xffff0000, v37
	s_delay_alu instid0(VALU_DEP_1) | instskip(NEXT) | instid1(VALU_DEP_1)
	v_dual_fmac_f32 v59, v114, v7 :: v_dual_lshlrev_b32 v6, 16, v37
	v_fmac_f32_e32 v58, v115, v6
	v_and_b32_e32 v6, 0xffff0000, v33
	v_lshlrev_b32_e32 v7, 16, v33
	s_delay_alu instid0(VALU_DEP_1) | instskip(SKIP_1) | instid1(VALU_DEP_1)
	v_dual_fmac_f32 v59, v130, v6 :: v_dual_fmac_f32 v58, v131, v7
	v_and_b32_e32 v7, 0xffff0000, v29
	v_dual_fmac_f32 v59, v146, v7 :: v_dual_lshlrev_b32 v6, 16, v29
	s_delay_alu instid0(VALU_DEP_1) | instskip(SKIP_2) | instid1(VALU_DEP_1)
	v_fmac_f32_e32 v58, v147, v6
	v_and_b32_e32 v6, 0xffff0000, v25
	v_lshlrev_b32_e32 v7, 16, v25
	v_dual_fmac_f32 v59, v162, v6 :: v_dual_fmac_f32 v58, v163, v7
	v_lshlrev_b32_e32 v6, 16, v18
	v_and_b32_e32 v7, 0xffff0000, v18
	s_delay_alu instid0(VALU_DEP_1) | instskip(SKIP_3) | instid1(VALU_DEP_1)
	v_dual_fmac_f32 v58, v179, v6 :: v_dual_fmac_f32 v59, v178, v7
	v_lshlrev_b32_e32 v6, 16, v67
	v_and_b32_e32 v7, 0xffff0000, v67
	v_fmac_f32_e32 v60, v174, v75
	v_dual_fmac_f32 v61, v189, v7 :: v_dual_fmac_f32 v60, v190, v6
	v_and_b32_e32 v6, 0xffff0000, v9
	v_lshlrev_b32_e32 v7, 16, v9
	s_delay_alu instid0(VALU_DEP_1) | instskip(SKIP_1) | instid1(VALU_DEP_1)
	v_dual_fmac_f32 v61, v2, v6 :: v_dual_fmac_f32 v60, v68, v7
	v_lshlrev_b32_e32 v6, 16, v55
	v_dual_fmac_f32 v60, v39, v6 :: v_dual_and_b32 v7, 0xffff0000, v55
	s_delay_alu instid0(VALU_DEP_1) | instskip(SKIP_2) | instid1(VALU_DEP_1)
	v_fmac_f32_e32 v61, v22, v7
	v_and_b32_e32 v6, 0xffff0000, v51
	v_lshlrev_b32_e32 v7, 16, v51
	v_dual_fmac_f32 v61, v100, v6 :: v_dual_fmac_f32 v60, v101, v7
	v_lshlrev_b32_e32 v6, 16, v38
	v_and_b32_e32 v7, 0xffff0000, v38
	s_delay_alu instid0(VALU_DEP_1) | instskip(SKIP_2) | instid1(VALU_DEP_1)
	v_dual_fmac_f32 v60, v117, v6 :: v_dual_fmac_f32 v61, v116, v7
	v_and_b32_e32 v6, 0xffff0000, v34
	v_lshlrev_b32_e32 v7, 16, v34
	v_dual_fmac_f32 v61, v132, v6 :: v_dual_fmac_f32 v60, v133, v7
	v_lshlrev_b32_e32 v6, 16, v30
	v_and_b32_e32 v7, 0xffff0000, v30
	s_delay_alu instid0(VALU_DEP_1) | instskip(SKIP_2) | instid1(VALU_DEP_1)
	v_dual_fmac_f32 v60, v149, v6 :: v_dual_fmac_f32 v61, v148, v7
	v_and_b32_e32 v6, 0xffff0000, v26
	v_lshlrev_b32_e32 v7, 16, v26
	v_dual_fmac_f32 v61, v164, v6 :: v_dual_fmac_f32 v60, v165, v7
	v_lshlrev_b32_e32 v6, 16, v19
	s_delay_alu instid0(VALU_DEP_1) | instskip(SKIP_1) | instid1(VALU_DEP_1)
	v_fmac_f32_e32 v60, v181, v6
	v_add_f32_e32 v6, v46, v47
	v_add_f32_e32 v6, v6, v56
	s_delay_alu instid0(VALU_DEP_1) | instskip(NEXT) | instid1(VALU_DEP_1)
	v_add_f32_e32 v6, v57, v6
	v_add_f32_e32 v6, v58, v6
	s_delay_alu instid0(VALU_DEP_1) | instskip(NEXT) | instid1(VALU_DEP_1)
	v_dual_add_f32 v6, v59, v6 :: v_dual_and_b32 v7, 0xffff0000, v19
	v_add_f32_e32 v6, v60, v6
	s_delay_alu instid0(VALU_DEP_2) | instskip(NEXT) | instid1(VALU_DEP_1)
	v_fmac_f32_e32 v61, v180, v7
	v_add_f32_e32 v6, v61, v6
	s_delay_alu instid0(VALU_DEP_1) | instskip(NEXT) | instid1(VALU_DEP_1)
	v_fmac_f32_e32 v45, v6, v13
	v_cndmask_b32_e64 v6, 0, v45, s1
	ds_store_b32 v42, v6
	v_max_f32_e32 v6, v182, v182
	v_add_nc_u32_e32 v42, 0x200, v42
	s_delay_alu instid0(VALU_DEP_2) | instskip(NEXT) | instid1(VALU_DEP_1)
	v_max_f32_e32 v6, v6, v45
	v_cndmask_b32_e64 v182, v182, v6, s1
	v_add_co_u32 v80, s1, v80, 16
	s_delay_alu instid0(VALU_DEP_1) | instskip(SKIP_1) | instid1(VALU_DEP_1)
	v_add_co_ci_u32_e64 v81, s1, 0, v81, s1
	v_cmp_ge_i32_e64 s1, v44, v111
	s_or_b32 s9, s1, s9
	s_delay_alu instid0(SALU_CYCLE_1)
	s_and_not1_b32 exec_lo, exec_lo, s9
	s_cbranch_execnz .LBB203_7
; %bb.8:
	s_or_b32 exec_lo, exec_lo, s9
	s_clause 0xd
	scratch_load_b32 v16, off, s32 offset:680
	scratch_load_b32 v7, off, s32 offset:688
	;; [unrolled: 1-line block ×10, first 2 shown]
	scratch_load_b64 v[54:55], off, s32 offset:732
	scratch_load_b32 v17, off, s32 offset:740
	scratch_load_b64 v[64:65], off, s32 offset:744
	scratch_load_b32 v27, off, s32 offset:752
.LBB203_9:
	s_or_b32 exec_lo, exec_lo, s8
	v_mbcnt_lo_u32_b32 v0, -1, 0
	s_lshr_b32 s8, s13, 16
	v_max_f32_e32 v4, v182, v182
	s_delay_alu instid0(VALU_DEP_2) | instskip(SKIP_2) | instid1(VALU_DEP_3)
	v_xor_b32_e32 v1, 16, v0
	v_xor_b32_e32 v3, 8, v0
	;; [unrolled: 1-line block ×3, first 2 shown]
	v_cmp_gt_i32_e32 vcc_lo, 32, v1
	v_cndmask_b32_e32 v1, v0, v1, vcc_lo
	s_delay_alu instid0(VALU_DEP_4) | instskip(NEXT) | instid1(VALU_DEP_2)
	v_cmp_gt_i32_e32 vcc_lo, 32, v3
	v_dual_cndmask_b32 v3, v0, v3 :: v_dual_lshlrev_b32 v2, 2, v1
	v_cmp_gt_i32_e32 vcc_lo, 32, v5
	ds_bpermute_b32 v1, v2, v182
	v_lshlrev_b32_e32 v3, 2, v3
	v_cndmask_b32_e32 v5, v0, v5, vcc_lo
	s_waitcnt lgkmcnt(0)
	v_max_f32_e32 v1, v1, v1
	s_delay_alu instid0(VALU_DEP_1) | instskip(SKIP_3) | instid1(VALU_DEP_1)
	v_max_f32_e32 v1, v4, v1
	ds_bpermute_b32 v4, v3, v1
	s_waitcnt lgkmcnt(0)
	v_max_f32_e32 v6, v4, v4
	v_dual_max_f32 v1, v1, v6 :: v_dual_lshlrev_b32 v4, 2, v5
	v_xor_b32_e32 v6, 2, v0
	ds_bpermute_b32 v5, v4, v1
	v_cmp_gt_i32_e32 vcc_lo, 32, v6
	v_cndmask_b32_e32 v6, v0, v6, vcc_lo
	s_delay_alu instid0(VALU_DEP_1) | instskip(SKIP_1) | instid1(VALU_DEP_1)
	v_lshlrev_b32_e32 v12, 2, v6
	v_xor_b32_e32 v6, 1, v0
	v_cmp_gt_i32_e32 vcc_lo, 32, v6
	s_waitcnt lgkmcnt(0)
	v_dual_max_f32 v5, v5, v5 :: v_dual_cndmask_b32 v6, v0, v6
	s_waitcnt vmcnt(12)
	v_cmp_eq_u32_e32 vcc_lo, 0, v7
	s_delay_alu instid0(VALU_DEP_2) | instskip(NEXT) | instid1(VALU_DEP_3)
	v_max_f32_e32 v1, v1, v5
	v_lshlrev_b32_e32 v13, 2, v6
	ds_bpermute_b32 v5, v12, v1
	s_waitcnt lgkmcnt(0)
	v_max_f32_e32 v5, v5, v5
	s_delay_alu instid0(VALU_DEP_1)
	v_max_f32_e32 v0, v1, v5
	scratch_load_b32 v5, off, s32 offset:684 ; 4-byte Folded Reload
	ds_bpermute_b32 v1, v13, v0
	s_waitcnt vmcnt(0)
	v_lshlrev_b32_e32 v5, 2, v5
	s_and_saveexec_b32 s1, vcc_lo
	s_cbranch_execz .LBB203_11
; %bb.10:
	s_waitcnt lgkmcnt(0)
	v_dual_max_f32 v1, v1, v1 :: v_dual_max_f32 v0, v0, v0
	s_delay_alu instid0(VALU_DEP_1)
	v_max_f32_e32 v0, v0, v1
	ds_store_b32 v5, v0 offset:384
.LBB203_11:
	s_or_b32 exec_lo, exec_lo, s1
	v_cmp_gt_u32_e64 s1, 4, v7
	v_mov_b32_e32 v0, 0xff7fffff
	s_waitcnt lgkmcnt(0)
	s_waitcnt_vscnt null, 0x0
	s_barrier
	buffer_gl0_inv
	s_and_saveexec_b32 s2, s1
	s_cbranch_execz .LBB203_13
; %bb.12:
	ds_load_b32 v0, v27 offset:384
.LBB203_13:
	s_or_b32 exec_lo, exec_lo, s2
	s_waitcnt lgkmcnt(0)
	ds_bpermute_b32 v1, v12, v0
	v_max_f32_e32 v0, v0, v0
	v_subrev_nc_u32_e32 v7, s3, v111
	s_waitcnt lgkmcnt(0)
	v_dual_mov_b32 v6, 0 :: v_dual_max_f32 v1, v1, v1
	s_delay_alu instid0(VALU_DEP_1) | instskip(SKIP_3) | instid1(VALU_DEP_1)
	v_max_f32_e32 v0, v0, v1
	ds_bpermute_b32 v1, v13, v0
	s_waitcnt lgkmcnt(0)
	v_max_f32_e32 v1, v1, v1
	v_max_f32_e32 v0, v0, v1
	v_lshl_add_u32 v1, v7, 5, s17
	ds_bpermute_b32 v0, v6, v0
	v_min_i32_e32 v1, v1, v87
	s_delay_alu instid0(VALU_DEP_1) | instskip(NEXT) | instid1(VALU_DEP_1)
	v_subrev_nc_u32_e32 v1, s17, v1
	v_cmp_lt_i32_e64 s2, v16, v1
	s_delay_alu instid0(VALU_DEP_1)
	s_and_saveexec_b32 s9, s2
	s_cbranch_execz .LBB203_17
; %bb.14:
	s_getpc_b64 s[18:19]
	s_add_u32 s18, s18, llvm.amdgcn.dynlds.offset.table@rel32@lo+4
	s_addc_u32 s19, s19, llvm.amdgcn.dynlds.offset.table@rel32@hi+12
	s_ashr_i32 s11, s10, 31
	v_mov_b32_e32 v6, 0
	s_lshl_b64 s[20:21], s[10:11], 2
	v_mov_b32_e32 v8, v16
	s_add_u32 s18, s20, s18
	s_addc_u32 s19, s21, s19
	s_mov_b32 s11, 0
	s_load_b32 s3, s[18:19], 0x0
	s_waitcnt lgkmcnt(0)
	v_lshl_add_u32 v7, v16, 2, s3
	.p2align	6
.LBB203_15:                             ; =>This Inner Loop Header: Depth=1
	ds_load_b32 v9, v7
	v_add_nc_u32_e32 v8, 0x80, v8
	s_delay_alu instid0(VALU_DEP_1) | instskip(NEXT) | instid1(VALU_DEP_1)
	v_cmp_ge_i32_e64 s3, v8, v1
	s_or_b32 s11, s3, s11
	s_waitcnt lgkmcnt(0)
	v_sub_f32_e32 v9, v9, v0
	s_delay_alu instid0(VALU_DEP_1) | instskip(NEXT) | instid1(VALU_DEP_1)
	v_mul_f32_e32 v9, 0x3fb8aa3b, v9
	v_exp_f32_e32 v9, v9
	ds_store_b32 v7, v9
	v_dual_add_f32 v6, v6, v9 :: v_dual_add_nc_u32 v7, 0x200, v7
	s_and_not1_b32 exec_lo, exec_lo, s11
	s_cbranch_execnz .LBB203_15
; %bb.16:
	s_or_b32 exec_lo, exec_lo, s11
.LBB203_17:
	s_delay_alu instid0(SALU_CYCLE_1)
	s_or_b32 exec_lo, exec_lo, s9
	ds_bpermute_b32 v2, v2, v6
	s_waitcnt lgkmcnt(0)
	v_add_f32_e32 v2, v6, v2
	ds_bpermute_b32 v3, v3, v2
	s_waitcnt lgkmcnt(0)
	v_add_f32_e32 v2, v2, v3
	;; [unrolled: 3-line block ×5, first 2 shown]
	s_and_saveexec_b32 s3, vcc_lo
	s_cbranch_execz .LBB203_19
; %bb.18:
	ds_store_b32 v5, v2 offset:400
.LBB203_19:
	s_or_b32 exec_lo, exec_lo, s3
	s_waitcnt lgkmcnt(0)
	s_barrier
	buffer_gl0_inv
	s_and_saveexec_b32 s3, s1
	s_cbranch_execz .LBB203_21
; %bb.20:
	ds_load_b32 v2, v27 offset:400
.LBB203_21:
	s_or_b32 exec_lo, exec_lo, s3
	s_waitcnt lgkmcnt(0)
	ds_bpermute_b32 v3, v12, v2
	s_waitcnt lgkmcnt(0)
	v_add_f32_e32 v2, v2, v3
	ds_bpermute_b32 v3, v13, v2
	s_waitcnt lgkmcnt(0)
	v_dual_add_f32 v2, v2, v3 :: v_dual_mov_b32 v3, 0
	ds_bpermute_b32 v2, v3, v2
	s_and_saveexec_b32 s1, s2
	s_cbranch_execz .LBB203_24
; %bb.22:
	s_waitcnt lgkmcnt(0)
	v_add_f32_e32 v4, 0x358637bd, v2
	s_getpc_b64 s[2:3]
	s_add_u32 s2, s2, llvm.amdgcn.dynlds.offset.table@rel32@lo+4
	s_addc_u32 s3, s3, llvm.amdgcn.dynlds.offset.table@rel32@hi+12
	s_ashr_i32 s11, s10, 31
	s_delay_alu instid0(SALU_CYCLE_1) | instskip(SKIP_4) | instid1(VALU_DEP_1)
	s_lshl_b64 s[18:19], s[10:11], 2
	v_div_scale_f32 v3, null, v4, v4, 1.0
	s_add_u32 s2, s18, s2
	s_addc_u32 s3, s19, s3
	s_load_b32 s2, s[2:3], 0x0
	v_rcp_f32_e32 v5, v3
	s_waitcnt_depctr 0xfff
	v_fma_f32 v6, -v3, v5, 1.0
	s_delay_alu instid0(VALU_DEP_1) | instskip(SKIP_1) | instid1(VALU_DEP_1)
	v_fmac_f32_e32 v5, v6, v5
	v_div_scale_f32 v7, vcc_lo, 1.0, v4, 1.0
	v_mul_f32_e32 v6, v7, v5
	s_delay_alu instid0(VALU_DEP_1) | instskip(NEXT) | instid1(VALU_DEP_1)
	v_fma_f32 v8, -v3, v6, v7
	v_fmac_f32_e32 v6, v8, v5
	s_delay_alu instid0(VALU_DEP_1) | instskip(NEXT) | instid1(VALU_DEP_1)
	v_fma_f32 v3, -v3, v6, v7
	v_div_fmas_f32 v5, v3, v5, v6
	s_waitcnt lgkmcnt(0)
	v_lshl_add_u32 v3, v16, 2, s2
	s_mov_b32 s2, 0
	s_delay_alu instid0(VALU_DEP_2)
	v_div_fixup_f32 v4, v5, v4, 1.0
	v_mov_b32_e32 v5, v16
.LBB203_23:                             ; =>This Inner Loop Header: Depth=1
	ds_load_b32 v6, v3
	s_waitcnt lgkmcnt(0)
	v_dual_mul_f32 v6, v4, v6 :: v_dual_add_nc_u32 v5, 0x80, v5
	s_delay_alu instid0(VALU_DEP_1) | instskip(SKIP_3) | instid1(SALU_CYCLE_1)
	v_cmp_ge_i32_e32 vcc_lo, v5, v1
	ds_store_b32 v3, v6
	v_add_nc_u32_e32 v3, 0x200, v3
	s_or_b32 s2, vcc_lo, s2
	s_and_not1_b32 exec_lo, exec_lo, s2
	s_cbranch_execnz .LBB203_23
.LBB203_24:
	s_or_b32 exec_lo, exec_lo, s1
	v_cmp_ne_u16_e64 s1, s8, 0
	s_mov_b32 s2, exec_lo
	s_waitcnt lgkmcnt(0)
	s_barrier
	buffer_gl0_inv
	s_cmp_lg_u32 s1, 0
	s_addc_u32 s1, s7, 0
	v_cmpx_eq_u32_e32 0, v16
	s_cbranch_execz .LBB203_26
; %bb.25:
	s_mul_i32 s3, s1, s4
	s_mul_i32 s8, s1, s12
	;; [unrolled: 1-line block ×3, first 2 shown]
	s_ashr_i32 s9, s8, 31
	s_ashr_i32 s15, s14, 31
	;; [unrolled: 1-line block ×3, first 2 shown]
	s_lshl_b64 s[8:9], s[8:9], 2
	s_lshl_b64 s[18:19], s[14:15], 2
	;; [unrolled: 1-line block ×3, first 2 shown]
	s_add_u32 s3, s18, s8
	s_addc_u32 s7, s19, s9
	s_add_u32 s3, s3, s12
	s_addc_u32 s7, s7, s13
	v_add_co_u32 v3, vcc_lo, s3, v26
	v_add_co_ci_u32_e32 v4, vcc_lo, s7, v25, vcc_lo
	v_add_co_u32 v5, vcc_lo, s3, v24
	v_add_co_ci_u32_e32 v6, vcc_lo, s7, v22, vcc_lo
	flat_store_b32 v[3:4], v0
	flat_store_b32 v[5:6], v2
.LBB203_26:
	s_or_b32 exec_lo, exec_lo, s2
                                        ; implicit-def: $sgpr3
	s_and_saveexec_b32 s2, s0
	s_delay_alu instid0(SALU_CYCLE_1)
	s_xor_b32 s0, exec_lo, s2
; %bb.27:
	s_ashr_i32 s11, s10, 31
	s_mov_b32 s3, 0
                                        ; implicit-def: $vgpr87
                                        ; implicit-def: $vgpr17
                                        ; implicit-def: $vgpr111
                                        ; implicit-def: $vgpr20
                                        ; implicit-def: $vgpr10
                                        ; implicit-def: $vgpr11
                                        ; implicit-def: $vgpr14
                                        ; implicit-def: $vgpr15
                                        ; implicit-def: $vgpr0
                                        ; kill: killed $vgpr0
                                        ; implicit-def: $vgpr64
                                        ; implicit-def: $vgpr54_vgpr55
; %bb.28:
	s_or_saveexec_b32 s2, s0
	v_dual_mov_b32 v0, s10 :: v_dual_mov_b32 v53, s3
	v_dual_mov_b32 v50, s3 :: v_dual_mov_b32 v1, s11
	v_dual_mov_b32 v51, s3 :: v_dual_and_b32 v2, 3, v16
	v_dual_mov_b32 v52, s3 :: v_dual_mov_b32 v49, s3
	v_dual_mov_b32 v48, s3 :: v_dual_mov_b32 v37, s3
	;; [unrolled: 1-line block ×10, first 2 shown]
	v_mov_b32_e32 v18, s3
	s_clause 0x1
	scratch_store_b32 off, v13, s32 offset:592
	scratch_store_b32 off, v2, s32 offset:588
	s_xor_b32 exec_lo, exec_lo, s2
	s_cbranch_execz .LBB203_880
; %bb.29:
	s_clause 0x1
	scratch_store_b32 off, v12, s32 offset:596
	scratch_store_b32 off, v111, s32 offset:504
	scratch_load_b32 v0, off, s32 offset:680 ; 4-byte Folded Reload
	s_getpc_b64 s[8:9]
	s_add_u32 s8, s8, llvm.amdgcn.dynlds.offset.table@rel32@lo+4
	s_addc_u32 s9, s9, llvm.amdgcn.dynlds.offset.table@rel32@hi+12
	s_ashr_i32 s11, s10, 31
	v_mov_b32_e32 v28, 0
	s_lshl_b64 s[12:13], s[10:11], 2
	v_mov_b32_e32 v30, 0
	s_add_u32 s8, s12, s8
	s_addc_u32 s9, s13, s9
	v_mov_b32_e32 v32, 0
	s_load_b32 s0, s[8:9], 0x0
	v_mov_b32_e32 v34, 0
	v_mov_b32_e32 v36, 0
	;; [unrolled: 1-line block ×6, first 2 shown]
	s_mov_b32 s3, 0
	v_dual_mov_b32 v18, 0 :: v_dual_mov_b32 v29, 0
	v_mov_b32_e32 v31, 0
	v_mov_b32_e32 v33, 0
	;; [unrolled: 1-line block ×6, first 2 shown]
	s_waitcnt vmcnt(0)
	v_dual_mov_b32 v53, 0 :: v_dual_lshlrev_b32 v2, 3, v0
	v_lshlrev_b64 v[0:1], 1, v[64:65]
	s_delay_alu instid0(VALU_DEP_2) | instskip(SKIP_1) | instid1(VALU_DEP_3)
	v_and_b32_e32 v3, 24, v2
	v_and_b32_e32 v2, 0xf8, v2
	v_add_co_u32 v0, vcc_lo, v10, v0
	scratch_load_b32 v10, off, s32 offset:588 ; 4-byte Folded Reload
	v_or_b32_e32 v4, 0x800, v2
	scratch_store_b32 off, v0, s32 offset:508 ; 4-byte Folded Spill
	v_add_co_ci_u32_e32 v0, vcc_lo, v11, v1, vcc_lo
	scratch_load_b32 v11, off, s32 offset:684 ; 4-byte Folded Reload
	v_or_b32_e32 v5, 0x900, v2
	v_or_b32_e32 v6, 0xa00, v2
	scratch_store_b32 off, v0, s32 offset:512 ; 4-byte Folded Spill
	v_add_nc_u32_e32 v0, -1, v17
	v_or_b32_e32 v7, 0xb00, v2
	v_or_b32_e32 v8, 0xc00, v2
	;; [unrolled: 1-line block ×4, first 2 shown]
	scratch_store_b32 off, v0, s32 offset:516 ; 4-byte Folded Spill
	v_lshlrev_b64 v[0:1], 2, v[20:21]
	v_or_b32_e32 v13, 0xf00, v2
	v_or_b32_e32 v16, 0x1000, v2
	;; [unrolled: 1-line block ×5, first 2 shown]
	v_add_co_u32 v0, vcc_lo, v54, v0
	v_add_co_ci_u32_e32 v1, vcc_lo, v55, v1, vcc_lo
	v_or_b32_e32 v23, 0x1400, v2
	s_waitcnt vmcnt(1)
	v_lshlrev_b32_e32 v10, 5, v10
	s_waitcnt vmcnt(0)
	s_delay_alu instid0(VALU_DEP_1)
	v_lshl_or_b32 v26, v11, 7, v10
	v_add_co_u32 v10, vcc_lo, v14, v0
	v_lshlrev_b32_e32 v0, 1, v2
	v_lshl_add_u32 v27, v11, 5, s17
	v_add_co_ci_u32_e32 v11, vcc_lo, v15, v1, vcc_lo
	s_waitcnt lgkmcnt(0)
	v_add_nc_u32_e32 v15, s0, v26
	scratch_store_b32 off, v0, s32 offset:520 ; 4-byte Folded Spill
	v_lshlrev_b32_e32 v0, 1, v4
	v_add3_u32 v14, v27, v3, 7
	v_dual_mov_b32 v26, 0 :: v_dual_mov_b32 v27, 0
	scratch_store_b32 off, v0, s32 offset:524 ; 4-byte Folded Spill
	v_lshlrev_b32_e32 v0, 1, v5
	scratch_store_b32 off, v0, s32 offset:528 ; 4-byte Folded Spill
	v_lshlrev_b32_e32 v0, 1, v6
	;; [unrolled: 2-line block ×9, first 2 shown]
	scratch_store_b32 off, v0, s32 offset:560 ; 4-byte Folded Spill
	v_dual_mov_b32 v19, 0 :: v_dual_lshlrev_b32 v0, 1, v19
	scratch_store_b32 off, v0, s32 offset:564 ; 4-byte Folded Spill
	v_lshlrev_b32_e32 v0, 1, v22
	scratch_store_b32 off, v0, s32 offset:568 ; 4-byte Folded Spill
	v_dual_mov_b32 v23, 0 :: v_dual_lshlrev_b32 v0, 1, v23
	v_or_b32_e32 v21, 0x1500, v2
	v_or_b32_e32 v24, 0x1600, v2
	;; [unrolled: 1-line block ×3, first 2 shown]
	scratch_store_b32 off, v0, s32 offset:572 ; 4-byte Folded Spill
	v_lshlrev_b32_e32 v0, 1, v21
	scratch_store_b32 off, v0, s32 offset:576 ; 4-byte Folded Spill
	v_lshlrev_b32_e32 v0, 1, v24
	v_mov_b32_e32 v24, 0
	scratch_store_b32 off, v0, s32 offset:580 ; 4-byte Folded Spill
	v_dual_mov_b32 v25, 0 :: v_dual_lshlrev_b32 v0, 1, v25
	scratch_store_b32 off, v0, s32 offset:584 ; 4-byte Folded Spill
	s_branch .LBB203_31
.LBB203_30:                             ;   in Loop: Header=BB203_31 Depth=1
	s_or_b32 exec_lo, exec_lo, s0
	v_and_b32_e32 v8, 0xffff0000, v8
	v_and_b32_e32 v55, 0xffff0000, v55
	;; [unrolled: 1-line block ×6, first 2 shown]
	v_dual_add_f32 v8, v55, v8 :: v_dual_and_b32 v55, 0xffff0000, v82
	v_and_b32_e32 v101, 0xffff0000, v101
	v_and_b32_e32 v5, 0xffff0000, v5
	;; [unrolled: 1-line block ×5, first 2 shown]
	v_add_f32_e32 v101, v101, v102
	s_delay_alu instid0(VALU_DEP_4) | instskip(NEXT) | instid1(VALU_DEP_4)
	v_dual_add_f32 v22, v22, v96 :: v_dual_and_b32 v119, 0xffff0000, v119
	v_dual_add_f32 v16, v16, v54 :: v_dual_and_b32 v117, 0xffff0000, v117
	v_and_b32_e32 v9, 0xffff0000, v9
	v_and_b32_e32 v100, 0xffff0000, v100
	;; [unrolled: 1-line block ×3, first 2 shown]
	s_delay_alu instid0(VALU_DEP_4) | instskip(NEXT) | instid1(VALU_DEP_3)
	v_dual_add_f32 v16, v16, v22 :: v_dual_and_b32 v113, 0xffff0000, v113
	v_dual_add_f32 v9, v9, v100 :: v_dual_and_b32 v82, 0xffff0000, v99
	v_and_b32_e32 v4, 0xffff0000, v4
	s_delay_alu instid0(VALU_DEP_3) | instskip(SKIP_3) | instid1(VALU_DEP_4)
	v_dual_add_f32 v8, v16, v8 :: v_dual_and_b32 v103, 0xffff0000, v103
	v_and_b32_e32 v13, 0xffff0000, v13
	v_and_b32_e32 v118, 0xffff0000, v118
	v_and_b32_e32 v17, 0xffff0000, v17
	v_add_f32_e32 v8, v8, v9
	v_and_b32_e32 v134, 0xffff0000, v134
	v_and_b32_e32 v9, 0xffff0000, v97
	;; [unrolled: 1-line block ×4, first 2 shown]
	v_dual_add_f32 v27, v27, v8 :: v_dual_and_b32 v8, 0xffff0000, v98
	v_and_b32_e32 v162, 0xffff0000, v162
	v_and_b32_e32 v163, 0xffff0000, v163
	;; [unrolled: 1-line block ×3, first 2 shown]
	s_delay_alu instid0(VALU_DEP_4) | instskip(SKIP_1) | instid1(VALU_DEP_3)
	v_dual_add_f32 v8, v9, v8 :: v_dual_and_b32 v133, 0xffff0000, v133
	v_add_f32_e32 v9, v82, v13
	v_dual_add_f32 v117, v117, v118 :: v_dual_add_f32 v102, v103, v112
	v_and_b32_e32 v13, 0xffff0000, v69
	v_and_b32_e32 v114, 0xffff0000, v114
	v_dual_add_f32 v133, v133, v134 :: v_dual_and_b32 v144, 0xffff0000, v144
	v_and_b32_e32 v151, 0xffff0000, v151
	v_and_b32_e32 v147, 0xffff0000, v147
	v_add_f32_e32 v101, v101, v102
	v_dual_add_f32 v102, v113, v114 :: v_dual_and_b32 v149, 0xffff0000, v149
	v_and_b32_e32 v160, 0xffff0000, v160
	v_and_b32_e32 v161, 0xffff0000, v161
	v_dual_add_f32 v134, v135, v144 :: v_dual_and_b32 v181, 0xffff0000, v47
	s_delay_alu instid0(VALU_DEP_4) | instskip(NEXT) | instid1(VALU_DEP_4)
	v_add_f32_e32 v149, v149, v150
	v_dual_add_f32 v150, v151, v160 :: v_dual_and_b32 v179, 0xffff0000, v57
	v_and_b32_e32 v182, 0xffff0000, v46
	v_and_b32_e32 v145, 0xffff0000, v145
	;; [unrolled: 1-line block ×3, first 2 shown]
	s_delay_alu instid0(VALU_DEP_4)
	v_dual_add_f32 v149, v149, v150 :: v_dual_and_b32 v40, 0xffff0000, v61
	v_and_b32_e32 v128, 0xffff0000, v128
	v_add_f32_e32 v150, v161, v162
	v_dual_add_f32 v181, v182, v181 :: v_dual_and_b32 v178, 0xffff0000, v58
	v_dual_add_f32 v133, v133, v134 :: v_dual_and_b32 v180, 0xffff0000, v56
	v_and_b32_e32 v116, 0xffff0000, v116
	v_dual_add_f32 v134, v145, v146 :: v_dual_and_b32 v177, 0xffff0000, v59
	s_delay_alu instid0(VALU_DEP_3) | instskip(SKIP_2) | instid1(VALU_DEP_4)
	v_dual_add_f32 v179, v180, v179 :: v_dual_and_b32 v164, 0xffff0000, v164
	v_and_b32_e32 v148, 0xffff0000, v148
	v_and_b32_e32 v115, 0xffff0000, v115
	v_add_f32_e32 v177, v178, v177
	s_delay_alu instid0(VALU_DEP_4) | instskip(NEXT) | instid1(VALU_DEP_4)
	v_add_f32_e32 v179, v181, v179
	v_dual_add_f32 v133, v133, v134 :: v_dual_add_f32 v134, v147, v148
	s_delay_alu instid0(VALU_DEP_4) | instskip(NEXT) | instid1(VALU_DEP_3)
	v_dual_add_f32 v101, v101, v102 :: v_dual_add_f32 v102, v115, v116
	v_add_f32_e32 v177, v179, v177
	v_dual_add_f32 v178, v183, v40 :: v_dual_add_f32 v149, v149, v150
	s_delay_alu instid0(VALU_DEP_3) | instskip(SKIP_1) | instid1(VALU_DEP_3)
	v_dual_add_f32 v101, v101, v102 :: v_dual_and_b32 v132, 0xffff0000, v132
	v_add_f32_e32 v133, v133, v134
	v_add_f32_e32 v177, v177, v178
	v_and_b32_e32 v130, 0xffff0000, v130
	v_and_b32_e32 v2, 0xffff0000, v2
	v_add_f32_e32 v26, v26, v101
	v_add_f32_e32 v24, v24, v133
	;; [unrolled: 1-line block ×5, first 2 shown]
	v_and_b32_e32 v16, 0xffff0000, v85
	s_delay_alu instid0(VALU_DEP_4) | instskip(SKIP_1) | instid1(VALU_DEP_4)
	v_dual_add_f32 v149, v149, v150 :: v_dual_and_b32 v0, 0xffff0000, v0
	v_and_b32_e32 v1, 0xffff0000, v1
	v_add_f32_e32 v117, v117, v118
	v_add_f32_e32 v118, v129, v130
	v_and_b32_e32 v22, 0xffff0000, v84
	v_and_b32_e32 v3, 0xffff0000, v3
	;; [unrolled: 1-line block ×3, first 2 shown]
	s_delay_alu instid0(VALU_DEP_4)
	v_dual_add_f32 v117, v117, v118 :: v_dual_add_nc_u32 v20, 4, v20
	v_add_f32_e32 v118, v131, v132
	v_and_b32_e32 v54, 0xffff0000, v83
	v_add_f32_e32 v16, v22, v16
	v_and_b32_e32 v22, 0xffff0000, v67
	v_add_co_u32 v10, vcc_lo, v10, 16
	v_add_f32_e32 v117, v117, v118
	v_add_f32_e32 v54, v55, v54
	v_add_co_ci_u32_e32 v11, vcc_lo, 0, v11, vcc_lo
	v_add_f32_e32 v23, v23, v149
	s_delay_alu instid0(VALU_DEP_3) | instskip(SKIP_3) | instid1(VALU_DEP_4)
	v_dual_add_f32 v25, v25, v117 :: v_dual_add_f32 v16, v54, v16
	v_and_b32_e32 v54, 0xffff0000, v66
	v_and_b32_e32 v66, 0xffff0000, v81
	v_add_nc_u32_e32 v14, 0x80, v14
	v_dual_add_f32 v8, v16, v8 :: v_dual_and_b32 v7, 0xffff0000, v7
	v_and_b32_e32 v16, 0xffff0000, v68
	v_dual_add_f32 v22, v54, v22 :: v_dual_add_nc_u32 v15, 0x200, v15
	s_delay_alu instid0(VALU_DEP_3) | instskip(NEXT) | instid1(VALU_DEP_4)
	v_add_f32_e32 v6, v6, v7
	v_add_f32_e32 v8, v8, v9
	s_delay_alu instid0(VALU_DEP_4) | instskip(SKIP_1) | instid1(VALU_DEP_3)
	v_add_f32_e32 v13, v16, v13
	v_and_b32_e32 v16, 0xffff0000, v21
	v_add_f32_e32 v28, v28, v8
	s_delay_alu instid0(VALU_DEP_3) | instskip(SKIP_1) | instid1(VALU_DEP_1)
	v_dual_add_f32 v13, v22, v13 :: v_dual_and_b32 v8, 0xffff0000, v71
	v_and_b32_e32 v9, 0xffff0000, v70
	v_add_f32_e32 v8, v9, v8
	s_delay_alu instid0(VALU_DEP_1) | instskip(SKIP_2) | instid1(VALU_DEP_2)
	v_add_f32_e32 v8, v13, v8
	v_and_b32_e32 v55, 0xffff0000, v80
	v_and_b32_e32 v13, 0xffff0000, v39
	v_add_f32_e32 v9, v55, v66
	s_delay_alu instid0(VALU_DEP_2) | instskip(SKIP_1) | instid1(VALU_DEP_3)
	v_add_f32_e32 v5, v13, v5
	v_and_b32_e32 v13, 0xffff0000, v185
	v_dual_add_f32 v8, v8, v9 :: v_dual_and_b32 v9, 0xffff0000, v12
	s_delay_alu instid0(VALU_DEP_1) | instskip(SKIP_1) | instid1(VALU_DEP_2)
	v_dual_add_f32 v29, v29, v8 :: v_dual_and_b32 v12, 0xffff0000, v86
	v_and_b32_e32 v8, 0xffff0000, v64
	v_add_f32_e32 v4, v4, v12
	v_and_b32_e32 v12, 0xffff0000, v186
	s_delay_alu instid0(VALU_DEP_2) | instskip(NEXT) | instid1(VALU_DEP_2)
	v_dual_add_f32 v4, v5, v4 :: v_dual_and_b32 v21, 0xffff0000, v65
	v_add_f32_e32 v12, v13, v12
	v_add_f32_e32 v5, v9, v8
	v_and_b32_e32 v8, 0xffff0000, v188
	s_delay_alu instid0(VALU_DEP_2) | instskip(NEXT) | instid1(VALU_DEP_1)
	v_dual_add_f32 v4, v4, v5 :: v_dual_and_b32 v9, 0xffff0000, v187
	v_dual_add_f32 v5, v16, v21 :: v_dual_add_f32 v8, v9, v8
	v_and_b32_e32 v16, 0xffff0000, v191
	s_delay_alu instid0(VALU_DEP_2) | instskip(NEXT) | instid1(VALU_DEP_3)
	v_dual_add_f32 v4, v4, v5 :: v_dual_and_b32 v9, 0xffff0000, v171
	v_dual_add_f32 v8, v12, v8 :: v_dual_and_b32 v5, 0xffff0000, v189
	v_and_b32_e32 v12, 0xffff0000, v170
	s_delay_alu instid0(VALU_DEP_3) | instskip(SKIP_1) | instid1(VALU_DEP_1)
	v_add_f32_e32 v30, v30, v4
	v_and_b32_e32 v4, 0xffff0000, v190
	v_add_f32_e32 v4, v5, v4
	s_delay_alu instid0(VALU_DEP_1) | instskip(SKIP_3) | instid1(VALU_DEP_3)
	v_add_f32_e32 v4, v8, v4
	v_dual_add_f32 v5, v16, v17 :: v_dual_and_b32 v8, 0xffff0000, v172
	v_and_b32_e32 v13, 0xffff0000, v169
	v_and_b32_e32 v16, 0xffff0000, v175
	v_add_f32_e32 v4, v4, v5
	s_delay_alu instid0(VALU_DEP_4) | instskip(NEXT) | instid1(VALU_DEP_4)
	v_dual_add_f32 v8, v9, v8 :: v_dual_and_b32 v5, 0xffff0000, v173
	v_dual_add_f32 v12, v13, v12 :: v_dual_and_b32 v9, 0xffff0000, v155
	s_delay_alu instid0(VALU_DEP_3) | instskip(NEXT) | instid1(VALU_DEP_2)
	v_dual_add_f32 v31, v31, v4 :: v_dual_and_b32 v4, 0xffff0000, v174
	v_dual_add_f32 v8, v12, v8 :: v_dual_and_b32 v13, 0xffff0000, v153
	v_and_b32_e32 v12, 0xffff0000, v154
	s_delay_alu instid0(VALU_DEP_3) | instskip(NEXT) | instid1(VALU_DEP_2)
	v_add_f32_e32 v4, v5, v4
	v_dual_add_f32 v12, v13, v12 :: v_dual_and_b32 v13, 0xffff0000, v137
	s_delay_alu instid0(VALU_DEP_2) | instskip(SKIP_1) | instid1(VALU_DEP_1)
	v_add_f32_e32 v4, v8, v4
	v_and_b32_e32 v17, 0xffff0000, v184
	v_dual_add_f32 v5, v16, v17 :: v_dual_and_b32 v8, 0xffff0000, v156
	s_delay_alu instid0(VALU_DEP_1) | instskip(SKIP_1) | instid1(VALU_DEP_3)
	v_dual_add_f32 v8, v9, v8 :: v_dual_and_b32 v9, 0xffff0000, v139
	v_and_b32_e32 v16, 0xffff0000, v159
	v_add_f32_e32 v4, v4, v5
	s_delay_alu instid0(VALU_DEP_3) | instskip(SKIP_1) | instid1(VALU_DEP_3)
	v_dual_add_f32 v8, v12, v8 :: v_dual_and_b32 v5, 0xffff0000, v157
	v_and_b32_e32 v12, 0xffff0000, v138
	v_add_f32_e32 v32, v32, v4
	v_and_b32_e32 v4, 0xffff0000, v158
	s_delay_alu instid0(VALU_DEP_3) | instskip(NEXT) | instid1(VALU_DEP_2)
	v_dual_add_f32 v12, v13, v12 :: v_dual_and_b32 v13, 0xffff0000, v121
	v_add_f32_e32 v4, v5, v4
	s_delay_alu instid0(VALU_DEP_1) | instskip(SKIP_1) | instid1(VALU_DEP_1)
	v_add_f32_e32 v4, v8, v4
	v_and_b32_e32 v17, 0xffff0000, v168
	v_dual_add_f32 v5, v16, v17 :: v_dual_and_b32 v8, 0xffff0000, v140
	s_delay_alu instid0(VALU_DEP_1) | instskip(SKIP_1) | instid1(VALU_DEP_3)
	v_add_f32_e32 v8, v9, v8
	v_and_b32_e32 v16, 0xffff0000, v143
	v_dual_add_f32 v4, v4, v5 :: v_dual_and_b32 v9, 0xffff0000, v123
	s_delay_alu instid0(VALU_DEP_3) | instskip(NEXT) | instid1(VALU_DEP_2)
	v_dual_add_f32 v8, v12, v8 :: v_dual_and_b32 v5, 0xffff0000, v141
	v_dual_add_f32 v33, v33, v4 :: v_dual_and_b32 v12, 0xffff0000, v122
	v_and_b32_e32 v4, 0xffff0000, v142
	s_delay_alu instid0(VALU_DEP_2) | instskip(NEXT) | instid1(VALU_DEP_2)
	v_dual_add_f32 v12, v13, v12 :: v_dual_and_b32 v13, 0xffff0000, v105
	v_add_f32_e32 v4, v5, v4
	s_delay_alu instid0(VALU_DEP_1) | instskip(SKIP_1) | instid1(VALU_DEP_1)
	v_add_f32_e32 v4, v8, v4
	v_and_b32_e32 v17, 0xffff0000, v152
	v_dual_add_f32 v5, v16, v17 :: v_dual_and_b32 v8, 0xffff0000, v124
	s_delay_alu instid0(VALU_DEP_1) | instskip(SKIP_1) | instid1(VALU_DEP_3)
	v_add_f32_e32 v8, v9, v8
	v_and_b32_e32 v16, 0xffff0000, v127
	v_dual_add_f32 v4, v4, v5 :: v_dual_and_b32 v9, 0xffff0000, v107
	s_delay_alu instid0(VALU_DEP_3) | instskip(SKIP_1) | instid1(VALU_DEP_3)
	v_dual_add_f32 v8, v12, v8 :: v_dual_and_b32 v5, 0xffff0000, v125
	v_and_b32_e32 v12, 0xffff0000, v106
	v_add_f32_e32 v34, v34, v4
	v_and_b32_e32 v4, 0xffff0000, v126
	s_delay_alu instid0(VALU_DEP_3) | instskip(SKIP_1) | instid1(VALU_DEP_3)
	v_add_f32_e32 v12, v13, v12
	v_and_b32_e32 v13, 0xffff0000, v104
	v_add_f32_e32 v4, v5, v4
	s_delay_alu instid0(VALU_DEP_1) | instskip(SKIP_1) | instid1(VALU_DEP_1)
	v_add_f32_e32 v4, v8, v4
	v_and_b32_e32 v17, 0xffff0000, v136
	v_dual_add_f32 v5, v16, v17 :: v_dual_and_b32 v8, 0xffff0000, v108
	s_delay_alu instid0(VALU_DEP_1) | instskip(SKIP_1) | instid1(VALU_DEP_3)
	v_add_f32_e32 v8, v9, v8
	v_and_b32_e32 v16, 0xffff0000, v111
	v_dual_add_f32 v4, v4, v5 :: v_dual_and_b32 v9, 0xffff0000, v91
	s_delay_alu instid0(VALU_DEP_3) | instskip(NEXT) | instid1(VALU_DEP_2)
	v_dual_add_f32 v8, v12, v8 :: v_dual_and_b32 v5, 0xffff0000, v109
	v_dual_add_f32 v35, v35, v4 :: v_dual_and_b32 v12, 0xffff0000, v95
	v_and_b32_e32 v4, 0xffff0000, v110
	s_delay_alu instid0(VALU_DEP_1) | instskip(NEXT) | instid1(VALU_DEP_1)
	v_add_f32_e32 v4, v5, v4
	v_add_f32_e32 v4, v8, v4
	v_and_b32_e32 v17, 0xffff0000, v120
	s_delay_alu instid0(VALU_DEP_1) | instskip(NEXT) | instid1(VALU_DEP_1)
	v_dual_add_f32 v5, v16, v17 :: v_dual_and_b32 v8, 0xffff0000, v92
	v_add_f32_e32 v7, v9, v8
	v_and_b32_e32 v8, 0xffff0000, v76
	s_delay_alu instid0(VALU_DEP_3) | instskip(NEXT) | instid1(VALU_DEP_3)
	v_dual_add_f32 v4, v4, v5 :: v_dual_and_b32 v9, 0xffff0000, v75
	v_dual_add_f32 v6, v6, v7 :: v_dual_and_b32 v5, 0xffff0000, v93
	s_delay_alu instid0(VALU_DEP_2) | instskip(NEXT) | instid1(VALU_DEP_3)
	v_dual_add_f32 v8, v9, v8 :: v_dual_and_b32 v7, 0xffff0000, v77
	v_add_f32_e32 v36, v36, v4
	v_and_b32_e32 v4, 0xffff0000, v94
	scratch_load_b32 v9, off, s32 offset:480 ; 4-byte Folded Reload
	v_dual_add_f32 v4, v5, v4 :: v_dual_add_f32 v5, v12, v13
	v_and_b32_e32 v12, 0xffff0000, v89
	s_delay_alu instid0(VALU_DEP_2) | instskip(SKIP_1) | instid1(VALU_DEP_2)
	v_dual_add_f32 v4, v6, v4 :: v_dual_and_b32 v13, 0xffff0000, v90
	v_and_b32_e32 v6, 0xffff0000, v78
	v_dual_add_f32 v4, v4, v5 :: v_dual_and_b32 v5, 0xffff0000, v79
	s_delay_alu instid0(VALU_DEP_2)
	v_add_f32_e32 v6, v7, v6
	scratch_load_b32 v7, off, s32 offset:488 ; 4-byte Folded Reload
	v_add_f32_e32 v37, v37, v4
	v_and_b32_e32 v4, 0xffff0000, v88
	v_add_f32_e32 v6, v8, v6
	scratch_load_b32 v8, off, s32 offset:484 ; 4-byte Folded Reload
	v_dual_add_f32 v4, v5, v4 :: v_dual_add_f32 v5, v12, v13
	v_and_b32_e32 v12, 0xffff0000, v73
	s_delay_alu instid0(VALU_DEP_2)
	v_dual_add_f32 v4, v6, v4 :: v_dual_and_b32 v13, 0xffff0000, v74
	scratch_load_b32 v6, off, s32 offset:492 ; 4-byte Folded Reload
	v_add_f32_e32 v4, v4, v5
	scratch_load_b32 v5, off, s32 offset:496 ; 4-byte Folded Reload
	v_add_f32_e32 v38, v38, v4
	v_and_b32_e32 v4, 0xffff0000, v72
	s_waitcnt vmcnt(4)
	v_and_b32_e32 v9, 0xffff0000, v9
	s_waitcnt vmcnt(3)
	;; [unrolled: 2-line block ×3, first 2 shown]
	v_and_b32_e32 v8, 0xffff0000, v8
	s_delay_alu instid0(VALU_DEP_1) | instskip(SKIP_4) | instid1(VALU_DEP_1)
	v_add_f32_e32 v8, v9, v8
	scratch_load_b32 v9, off, s32 offset:448 ; 4-byte Folded Reload
	s_waitcnt vmcnt(2)
	v_and_b32_e32 v6, 0xffff0000, v6
	s_waitcnt vmcnt(1)
	v_dual_add_f32 v6, v7, v6 :: v_dual_and_b32 v5, 0xffff0000, v5
	scratch_load_b32 v7, off, s32 offset:456 ; 4-byte Folded Reload
	v_add_f32_e32 v4, v5, v4
	v_add_f32_e32 v6, v8, v6
	;; [unrolled: 1-line block ×3, first 2 shown]
	s_clause 0x2
	scratch_load_b32 v8, off, s32 offset:452
	scratch_load_b32 v12, off, s32 offset:472
	;; [unrolled: 1-line block ×3, first 2 shown]
	v_add_f32_e32 v4, v6, v4
	scratch_load_b32 v6, off, s32 offset:460 ; 4-byte Folded Reload
	v_add_f32_e32 v4, v4, v5
	scratch_load_b32 v5, off, s32 offset:464 ; 4-byte Folded Reload
	;; [unrolled: 2-line block ×3, first 2 shown]
	s_waitcnt vmcnt(7)
	v_and_b32_e32 v9, 0xffff0000, v9
	s_waitcnt vmcnt(6)
	v_and_b32_e32 v7, 0xffff0000, v7
	;; [unrolled: 2-line block ×6, first 2 shown]
	v_add_f32_e32 v8, v9, v8
	scratch_load_b32 v9, off, s32 offset:416 ; 4-byte Folded Reload
	s_waitcnt vmcnt(2)
	v_dual_add_f32 v6, v7, v6 :: v_dual_and_b32 v5, 0xffff0000, v5
	scratch_load_b32 v7, off, s32 offset:424 ; 4-byte Folded Reload
	s_waitcnt vmcnt(2)
	v_and_b32_e32 v4, 0xffff0000, v4
	v_add_f32_e32 v6, v8, v6
	scratch_load_b32 v8, off, s32 offset:420 ; 4-byte Folded Reload
	v_dual_add_f32 v4, v5, v4 :: v_dual_add_f32 v5, v12, v13
	s_clause 0x1
	scratch_load_b32 v12, off, s32 offset:440
	scratch_load_b32 v13, off, s32 offset:444
	v_add_f32_e32 v4, v6, v4
	scratch_load_b32 v6, off, s32 offset:428 ; 4-byte Folded Reload
	v_add_f32_e32 v4, v4, v5
	scratch_load_b32 v5, off, s32 offset:432 ; 4-byte Folded Reload
	v_add_f32_e32 v49, v49, v4
	scratch_load_b32 v4, off, s32 offset:436 ; 4-byte Folded Reload
	s_waitcnt vmcnt(7)
	v_and_b32_e32 v9, 0xffff0000, v9
	s_waitcnt vmcnt(6)
	v_and_b32_e32 v7, 0xffff0000, v7
	s_waitcnt vmcnt(5)
	v_and_b32_e32 v8, 0xffff0000, v8
	s_waitcnt vmcnt(4)
	v_and_b32_e32 v12, 0xffff0000, v12
	s_waitcnt vmcnt(3)
	s_delay_alu instid0(VALU_DEP_2) | instskip(SKIP_4) | instid1(VALU_DEP_1)
	v_dual_add_f32 v8, v9, v8 :: v_dual_and_b32 v13, 0xffff0000, v13
	scratch_load_b32 v9, off, s32 offset:384 ; 4-byte Folded Reload
	s_waitcnt vmcnt(3)
	v_and_b32_e32 v6, 0xffff0000, v6
	s_waitcnt vmcnt(2)
	v_dual_add_f32 v6, v7, v6 :: v_dual_and_b32 v5, 0xffff0000, v5
	scratch_load_b32 v7, off, s32 offset:392 ; 4-byte Folded Reload
	s_waitcnt vmcnt(2)
	v_and_b32_e32 v4, 0xffff0000, v4
	v_add_f32_e32 v6, v8, v6
	scratch_load_b32 v8, off, s32 offset:388 ; 4-byte Folded Reload
	v_dual_add_f32 v4, v5, v4 :: v_dual_add_f32 v5, v12, v13
	s_clause 0x1
	scratch_load_b32 v12, off, s32 offset:408
	scratch_load_b32 v13, off, s32 offset:412
	v_add_f32_e32 v4, v6, v4
	scratch_load_b32 v6, off, s32 offset:396 ; 4-byte Folded Reload
	v_add_f32_e32 v4, v4, v5
	scratch_load_b32 v5, off, s32 offset:400 ; 4-byte Folded Reload
	v_add_f32_e32 v51, v51, v4
	scratch_load_b32 v4, off, s32 offset:404 ; 4-byte Folded Reload
	s_waitcnt vmcnt(7)
	v_and_b32_e32 v9, 0xffff0000, v9
	s_waitcnt vmcnt(6)
	v_and_b32_e32 v7, 0xffff0000, v7
	s_waitcnt vmcnt(5)
	v_and_b32_e32 v8, 0xffff0000, v8
	s_waitcnt vmcnt(4)
	v_and_b32_e32 v12, 0xffff0000, v12
	s_waitcnt vmcnt(3)
	s_delay_alu instid0(VALU_DEP_2) | instskip(SKIP_4) | instid1(VALU_DEP_1)
	v_dual_add_f32 v8, v9, v8 :: v_dual_and_b32 v13, 0xffff0000, v13
	scratch_load_b32 v9, off, s32 offset:352 ; 4-byte Folded Reload
	s_waitcnt vmcnt(3)
	v_and_b32_e32 v6, 0xffff0000, v6
	;; [unrolled: 31-line block ×3, first 2 shown]
	s_waitcnt vmcnt(2)
	v_dual_add_f32 v6, v7, v6 :: v_dual_and_b32 v5, 0xffff0000, v5
	scratch_load_b32 v7, off, s32 offset:328 ; 4-byte Folded Reload
	s_waitcnt vmcnt(2)
	v_and_b32_e32 v4, 0xffff0000, v4
	v_add_f32_e32 v6, v8, v6
	scratch_load_b32 v8, off, s32 offset:324 ; 4-byte Folded Reload
	v_dual_add_f32 v4, v5, v4 :: v_dual_add_f32 v5, v12, v13
	s_clause 0x1
	scratch_load_b32 v12, off, s32 offset:344
	scratch_load_b32 v13, off, s32 offset:348
	v_add_f32_e32 v4, v6, v4
	scratch_load_b32 v6, off, s32 offset:332 ; 4-byte Folded Reload
	v_add_f32_e32 v4, v4, v5
	scratch_load_b32 v5, off, s32 offset:336 ; 4-byte Folded Reload
	;; [unrolled: 2-line block ×3, first 2 shown]
	s_waitcnt vmcnt(7)
	v_and_b32_e32 v9, 0xffff0000, v9
	s_waitcnt vmcnt(6)
	v_and_b32_e32 v7, 0xffff0000, v7
	;; [unrolled: 2-line block ×4, first 2 shown]
	s_waitcnt vmcnt(3)
	s_delay_alu instid0(VALU_DEP_2) | instskip(SKIP_3) | instid1(VALU_DEP_1)
	v_dual_add_f32 v8, v9, v8 :: v_dual_and_b32 v13, 0xffff0000, v13
	s_waitcnt vmcnt(2)
	v_and_b32_e32 v6, 0xffff0000, v6
	s_waitcnt vmcnt(1)
	v_dual_add_f32 v6, v7, v6 :: v_dual_and_b32 v5, 0xffff0000, v5
	v_and_b32_e32 v7, 0xffff0000, v176
	s_waitcnt vmcnt(0)
	v_and_b32_e32 v4, 0xffff0000, v4
	s_delay_alu instid0(VALU_DEP_3) | instskip(NEXT) | instid1(VALU_DEP_2)
	v_add_f32_e32 v6, v8, v6
	v_dual_add_f32 v4, v5, v4 :: v_dual_add_f32 v5, v12, v13
	s_delay_alu instid0(VALU_DEP_1) | instskip(SKIP_1) | instid1(VALU_DEP_2)
	v_add_f32_e32 v4, v6, v4
	v_and_b32_e32 v6, 0xffff0000, v165
	v_dual_add_f32 v4, v4, v5 :: v_dual_and_b32 v5, 0xffff0000, v166
	s_delay_alu instid0(VALU_DEP_2) | instskip(NEXT) | instid1(VALU_DEP_2)
	v_add_f32_e32 v0, v0, v6
	v_add_f32_e32 v50, v50, v4
	s_delay_alu instid0(VALU_DEP_3) | instskip(NEXT) | instid1(VALU_DEP_1)
	v_dual_add_f32 v1, v1, v5 :: v_dual_and_b32 v4, 0xffff0000, v167
	v_dual_add_f32 v0, v0, v1 :: v_dual_add_f32 v1, v2, v4
	s_delay_alu instid0(VALU_DEP_1) | instskip(NEXT) | instid1(VALU_DEP_1)
	v_dual_add_f32 v0, v0, v1 :: v_dual_add_f32 v1, v3, v7
	v_add_f32_e32 v0, v0, v1
	s_delay_alu instid0(VALU_DEP_1) | instskip(SKIP_4) | instid1(SALU_CYCLE_1)
	v_add_f32_e32 v18, v18, v0
	scratch_load_b32 v0, off, s32 offset:504 ; 4-byte Folded Reload
	s_waitcnt vmcnt(0)
	v_cmp_ge_i32_e32 vcc_lo, v20, v0
	s_or_b32 s3, vcc_lo, s3
	s_and_not1_b32 exec_lo, exec_lo, s3
	s_cbranch_execz .LBB203_879
.LBB203_31:                             ; =>This Inner Loop Header: Depth=1
	flat_load_b32 v21, v[10:11]
	ds_load_2addr_b64 v[6:9], v15 offset1:1
	ds_load_2addr_b64 v[0:3], v15 offset0:2 offset1:3
	s_mov_b32 s0, exec_lo
                                        ; implicit-def: $vgpr17
	s_waitcnt lgkmcnt(1)
	v_and_b32_e32 v4, 0x7f800000, v6
	s_delay_alu instid0(VALU_DEP_1)
	v_cmpx_ne_u32_e32 0x7f800000, v4
	s_xor_b32 s0, exec_lo, s0
; %bb.32:                               ;   in Loop: Header=BB203_31 Depth=1
	v_bfe_u32 v4, v6, 16, 1
	s_delay_alu instid0(VALU_DEP_1)
	v_add3_u32 v17, v6, v4, 0x7fff
; %bb.33:                               ;   in Loop: Header=BB203_31 Depth=1
	s_and_not1_saveexec_b32 s0, s0
; %bb.34:                               ;   in Loop: Header=BB203_31 Depth=1
	v_and_b32_e32 v4, 0xffff, v6
	v_or_b32_e32 v5, 0x10000, v6
	s_delay_alu instid0(VALU_DEP_2) | instskip(NEXT) | instid1(VALU_DEP_2)
	v_cmp_eq_u32_e32 vcc_lo, 0, v4
	v_cndmask_b32_e32 v17, v5, v6, vcc_lo
; %bb.35:                               ;   in Loop: Header=BB203_31 Depth=1
	s_or_b32 exec_lo, exec_lo, s0
	v_and_b32_e32 v4, 0x7f800000, v7
	s_mov_b32 s0, exec_lo
                                        ; implicit-def: $vgpr16
	s_delay_alu instid0(VALU_DEP_1)
	v_cmpx_ne_u32_e32 0x7f800000, v4
	s_xor_b32 s0, exec_lo, s0
; %bb.36:                               ;   in Loop: Header=BB203_31 Depth=1
	v_bfe_u32 v4, v7, 16, 1
	s_delay_alu instid0(VALU_DEP_1)
	v_add3_u32 v16, v7, v4, 0x7fff
; %bb.37:                               ;   in Loop: Header=BB203_31 Depth=1
	s_and_not1_saveexec_b32 s0, s0
; %bb.38:                               ;   in Loop: Header=BB203_31 Depth=1
	v_and_b32_e32 v4, 0xffff, v7
	v_or_b32_e32 v5, 0x10000, v7
	s_delay_alu instid0(VALU_DEP_2) | instskip(NEXT) | instid1(VALU_DEP_2)
	v_cmp_eq_u32_e32 vcc_lo, 0, v4
	v_cndmask_b32_e32 v16, v5, v7, vcc_lo
; %bb.39:                               ;   in Loop: Header=BB203_31 Depth=1
	s_or_b32 exec_lo, exec_lo, s0
	v_and_b32_e32 v4, 0x7f800000, v8
	s_mov_b32 s0, exec_lo
                                        ; implicit-def: $vgpr13
	s_delay_alu instid0(VALU_DEP_1)
	v_cmpx_ne_u32_e32 0x7f800000, v4
	s_xor_b32 s0, exec_lo, s0
; %bb.40:                               ;   in Loop: Header=BB203_31 Depth=1
	v_bfe_u32 v4, v8, 16, 1
	s_delay_alu instid0(VALU_DEP_1)
	v_add3_u32 v13, v8, v4, 0x7fff
; %bb.41:                               ;   in Loop: Header=BB203_31 Depth=1
	s_and_not1_saveexec_b32 s0, s0
; %bb.42:                               ;   in Loop: Header=BB203_31 Depth=1
	v_and_b32_e32 v4, 0xffff, v8
	v_or_b32_e32 v5, 0x10000, v8
	s_delay_alu instid0(VALU_DEP_2) | instskip(NEXT) | instid1(VALU_DEP_2)
	v_cmp_eq_u32_e32 vcc_lo, 0, v4
	v_cndmask_b32_e32 v13, v5, v8, vcc_lo
; %bb.43:                               ;   in Loop: Header=BB203_31 Depth=1
	s_or_b32 exec_lo, exec_lo, s0
	v_and_b32_e32 v4, 0x7f800000, v9
	s_mov_b32 s0, exec_lo
                                        ; implicit-def: $vgpr12
	s_delay_alu instid0(VALU_DEP_1)
	v_cmpx_ne_u32_e32 0x7f800000, v4
	s_xor_b32 s0, exec_lo, s0
; %bb.44:                               ;   in Loop: Header=BB203_31 Depth=1
	v_bfe_u32 v4, v9, 16, 1
	s_delay_alu instid0(VALU_DEP_1)
	v_add3_u32 v12, v9, v4, 0x7fff
                                        ; implicit-def: $vgpr6_vgpr7_vgpr8_vgpr9
; %bb.45:                               ;   in Loop: Header=BB203_31 Depth=1
	s_and_not1_saveexec_b32 s0, s0
; %bb.46:                               ;   in Loop: Header=BB203_31 Depth=1
	v_and_b32_e32 v4, 0xffff, v9
	v_or_b32_e32 v5, 0x10000, v9
	s_delay_alu instid0(VALU_DEP_2) | instskip(NEXT) | instid1(VALU_DEP_2)
	v_cmp_eq_u32_e32 vcc_lo, 0, v4
	v_cndmask_b32_e32 v12, v5, v9, vcc_lo
; %bb.47:                               ;   in Loop: Header=BB203_31 Depth=1
	s_or_b32 exec_lo, exec_lo, s0
	s_waitcnt lgkmcnt(0)
	v_and_b32_e32 v4, 0x7f800000, v0
	s_mov_b32 s0, exec_lo
                                        ; implicit-def: $vgpr9
	s_delay_alu instid0(VALU_DEP_1)
	v_cmpx_ne_u32_e32 0x7f800000, v4
	s_xor_b32 s0, exec_lo, s0
; %bb.48:                               ;   in Loop: Header=BB203_31 Depth=1
	v_bfe_u32 v4, v0, 16, 1
	s_delay_alu instid0(VALU_DEP_1)
	v_add3_u32 v9, v0, v4, 0x7fff
; %bb.49:                               ;   in Loop: Header=BB203_31 Depth=1
	s_and_not1_saveexec_b32 s0, s0
; %bb.50:                               ;   in Loop: Header=BB203_31 Depth=1
	v_and_b32_e32 v4, 0xffff, v0
	v_or_b32_e32 v5, 0x10000, v0
	s_delay_alu instid0(VALU_DEP_2) | instskip(NEXT) | instid1(VALU_DEP_2)
	v_cmp_eq_u32_e32 vcc_lo, 0, v4
	v_cndmask_b32_e32 v9, v5, v0, vcc_lo
; %bb.51:                               ;   in Loop: Header=BB203_31 Depth=1
	s_or_b32 exec_lo, exec_lo, s0
	v_and_b32_e32 v0, 0x7f800000, v1
	s_mov_b32 s0, exec_lo
                                        ; implicit-def: $vgpr8
	s_delay_alu instid0(VALU_DEP_1)
	v_cmpx_ne_u32_e32 0x7f800000, v0
	s_xor_b32 s0, exec_lo, s0
; %bb.52:                               ;   in Loop: Header=BB203_31 Depth=1
	v_bfe_u32 v0, v1, 16, 1
	s_delay_alu instid0(VALU_DEP_1)
	v_add3_u32 v8, v1, v0, 0x7fff
; %bb.53:                               ;   in Loop: Header=BB203_31 Depth=1
	s_and_not1_saveexec_b32 s0, s0
; %bb.54:                               ;   in Loop: Header=BB203_31 Depth=1
	v_and_b32_e32 v0, 0xffff, v1
	v_or_b32_e32 v4, 0x10000, v1
	s_delay_alu instid0(VALU_DEP_2) | instskip(NEXT) | instid1(VALU_DEP_2)
	v_cmp_eq_u32_e32 vcc_lo, 0, v0
	v_cndmask_b32_e32 v8, v4, v1, vcc_lo
; %bb.55:                               ;   in Loop: Header=BB203_31 Depth=1
	s_or_b32 exec_lo, exec_lo, s0
	v_and_b32_e32 v0, 0x7f800000, v2
	s_mov_b32 s0, exec_lo
                                        ; implicit-def: $vgpr5
	s_delay_alu instid0(VALU_DEP_1)
	v_cmpx_ne_u32_e32 0x7f800000, v0
	s_xor_b32 s0, exec_lo, s0
; %bb.56:                               ;   in Loop: Header=BB203_31 Depth=1
	v_bfe_u32 v0, v2, 16, 1
	s_delay_alu instid0(VALU_DEP_1)
	v_add3_u32 v5, v2, v0, 0x7fff
; %bb.57:                               ;   in Loop: Header=BB203_31 Depth=1
	s_and_not1_saveexec_b32 s0, s0
; %bb.58:                               ;   in Loop: Header=BB203_31 Depth=1
	v_and_b32_e32 v0, 0xffff, v2
	v_or_b32_e32 v1, 0x10000, v2
	s_delay_alu instid0(VALU_DEP_2) | instskip(NEXT) | instid1(VALU_DEP_2)
	v_cmp_eq_u32_e32 vcc_lo, 0, v0
	v_cndmask_b32_e32 v5, v1, v2, vcc_lo
; %bb.59:                               ;   in Loop: Header=BB203_31 Depth=1
	s_or_b32 exec_lo, exec_lo, s0
	v_and_b32_e32 v0, 0x7f800000, v3
	s_mov_b32 s0, exec_lo
                                        ; implicit-def: $vgpr4
	s_delay_alu instid0(VALU_DEP_1)
	v_cmpx_ne_u32_e32 0x7f800000, v0
	s_xor_b32 s0, exec_lo, s0
; %bb.60:                               ;   in Loop: Header=BB203_31 Depth=1
	v_bfe_u32 v0, v3, 16, 1
	s_delay_alu instid0(VALU_DEP_1)
	v_add3_u32 v4, v3, v0, 0x7fff
                                        ; implicit-def: $vgpr0_vgpr1_vgpr2_vgpr3
; %bb.61:                               ;   in Loop: Header=BB203_31 Depth=1
	s_and_not1_saveexec_b32 s0, s0
; %bb.62:                               ;   in Loop: Header=BB203_31 Depth=1
	v_and_b32_e32 v0, 0xffff, v3
	v_or_b32_e32 v1, 0x10000, v3
	s_delay_alu instid0(VALU_DEP_2) | instskip(NEXT) | instid1(VALU_DEP_2)
	v_cmp_eq_u32_e32 vcc_lo, 0, v0
	v_cndmask_b32_e32 v4, v1, v3, vcc_lo
; %bb.63:                               ;   in Loop: Header=BB203_31 Depth=1
	s_or_b32 exec_lo, exec_lo, s0
	scratch_load_b32 v2, off, s32 offset:500 ; 4-byte Folded Reload
	v_add_nc_u32_e32 v165, -7, v14
	v_add_nc_u32_e32 v179, -6, v14
	;; [unrolled: 1-line block ×7, first 2 shown]
	s_waitcnt vmcnt(0)
	v_mad_i64_i32 v[0:1], null, v21, v2, 0
	s_clause 0x1
	scratch_load_b32 v2, off, s32 offset:508
	scratch_load_b32 v21, off, s32 offset:516
	v_lshlrev_b64 v[0:1], 1, v[0:1]
	s_waitcnt vmcnt(1)
	s_delay_alu instid0(VALU_DEP_1)
	v_add_co_u32 v180, vcc_lo, v2, v0
	scratch_load_b32 v0, off, s32 offset:512 ; 4-byte Folded Reload
	s_waitcnt vmcnt(0)
	v_add_co_ci_u32_e32 v181, vcc_lo, v0, v1, vcc_lo
	scratch_load_b32 v0, off, s32 offset:520 ; 4-byte Folded Reload
	s_waitcnt vmcnt(0)
	v_add_co_u32 v6, vcc_lo, v180, v0
	v_add_co_ci_u32_e32 v7, vcc_lo, 0, v181, vcc_lo
	v_cmp_eq_u32_e32 vcc_lo, v21, v20
	flat_load_b128 v[0:3], v[6:7]
	s_waitcnt vmcnt(0) lgkmcnt(0)
	v_lshrrev_b32_e32 v54, 16, v0
	v_lshrrev_b32_e32 v39, 16, v1
	;; [unrolled: 1-line block ×4, first 2 shown]
	s_and_saveexec_b32 s7, vcc_lo
	s_cbranch_execz .LBB203_65
; %bb.64:                               ;   in Loop: Header=BB203_31 Depth=1
	v_cmp_lt_i32_e64 s0, v165, v87
	s_delay_alu instid0(VALU_DEP_1) | instskip(SKIP_1) | instid1(VALU_DEP_1)
	v_cndmask_b32_e64 v0, 0, v0, s0
	v_cmp_lt_i32_e64 s0, v179, v87
	v_cndmask_b32_e64 v54, 0, v54, s0
	v_cmp_lt_i32_e64 s0, v178, v87
	s_delay_alu instid0(VALU_DEP_1) | instskip(SKIP_1) | instid1(VALU_DEP_1)
	v_cndmask_b32_e64 v1, 0, v1, s0
	v_cmp_lt_i32_e64 s0, v177, v87
	v_cndmask_b32_e64 v39, 0, v39, s0
	;; [unrolled: 5-line block ×4, first 2 shown]
.LBB203_65:                             ;   in Loop: Header=BB203_31 Depth=1
	s_or_b32 exec_lo, exec_lo, s7
	v_and_b32_e32 v182, 0xffff0000, v17
	v_lshlrev_b32_e32 v0, 16, v0
	s_delay_alu instid0(VALU_DEP_1) | instskip(NEXT) | instid1(VALU_DEP_1)
	v_mul_f32_e32 v0, v182, v0
	v_and_b32_e32 v17, 0x7f800000, v0
	s_delay_alu instid0(VALU_DEP_1) | instskip(NEXT) | instid1(VALU_DEP_1)
	v_cmp_ne_u32_e64 s0, 0x7f800000, v17
                                        ; implicit-def: $vgpr17
                                        ; kill: killed $vgpr17
	s_and_saveexec_b32 s7, s0
	s_delay_alu instid0(SALU_CYCLE_1)
	s_xor_b32 s0, exec_lo, s7
	s_cbranch_execz .LBB203_67
; %bb.66:                               ;   in Loop: Header=BB203_31 Depth=1
	v_bfe_u32 v17, v0, 16, 1
	s_delay_alu instid0(VALU_DEP_1)
	v_add3_u32 v0, v0, v17, 0x7fff
	scratch_store_b32 off, v0, s32 offset:320 ; 4-byte Folded Spill
                                        ; implicit-def: $vgpr0
.LBB203_67:                             ;   in Loop: Header=BB203_31 Depth=1
	s_and_not1_saveexec_b32 s7, s0
	s_cbranch_execz .LBB203_69
; %bb.68:                               ;   in Loop: Header=BB203_31 Depth=1
	v_and_b32_e32 v17, 0xffff, v0
	v_or_b32_e32 v55, 0x10000, v0
	s_delay_alu instid0(VALU_DEP_2) | instskip(NEXT) | instid1(VALU_DEP_1)
	v_cmp_eq_u32_e64 s0, 0, v17
	v_cndmask_b32_e64 v0, v55, v0, s0
	scratch_store_b32 off, v0, s32 offset:320 ; 4-byte Folded Spill
.LBB203_69:                             ;   in Loop: Header=BB203_31 Depth=1
	s_or_b32 exec_lo, exec_lo, s7
	v_and_b32_e32 v183, 0xffff0000, v16
	v_lshlrev_b32_e32 v0, 16, v54
	s_delay_alu instid0(VALU_DEP_1) | instskip(NEXT) | instid1(VALU_DEP_1)
	v_mul_f32_e32 v0, v183, v0
	v_and_b32_e32 v16, 0x7f800000, v0
	s_delay_alu instid0(VALU_DEP_1) | instskip(NEXT) | instid1(VALU_DEP_1)
	v_cmp_ne_u32_e64 s0, 0x7f800000, v16
                                        ; implicit-def: $vgpr16
                                        ; kill: killed $vgpr16
	s_and_saveexec_b32 s7, s0
	s_delay_alu instid0(SALU_CYCLE_1)
	s_xor_b32 s0, exec_lo, s7
	s_cbranch_execz .LBB203_71
; %bb.70:                               ;   in Loop: Header=BB203_31 Depth=1
	v_bfe_u32 v16, v0, 16, 1
	s_delay_alu instid0(VALU_DEP_1)
	v_add3_u32 v0, v0, v16, 0x7fff
	scratch_store_b32 off, v0, s32 offset:324 ; 4-byte Folded Spill
                                        ; implicit-def: $vgpr0
.LBB203_71:                             ;   in Loop: Header=BB203_31 Depth=1
	s_and_not1_saveexec_b32 s7, s0
	s_cbranch_execz .LBB203_73
; %bb.72:                               ;   in Loop: Header=BB203_31 Depth=1
	v_and_b32_e32 v16, 0xffff, v0
	v_or_b32_e32 v17, 0x10000, v0
	s_delay_alu instid0(VALU_DEP_2) | instskip(NEXT) | instid1(VALU_DEP_1)
	v_cmp_eq_u32_e64 s0, 0, v16
	v_cndmask_b32_e64 v0, v17, v0, s0
	scratch_store_b32 off, v0, s32 offset:324 ; 4-byte Folded Spill
.LBB203_73:                             ;   in Loop: Header=BB203_31 Depth=1
	s_or_b32 exec_lo, exec_lo, s7
	v_and_b32_e32 v40, 0xffff0000, v13
	v_lshlrev_b32_e32 v0, 16, v1
	s_delay_alu instid0(VALU_DEP_1) | instskip(NEXT) | instid1(VALU_DEP_1)
	v_mul_f32_e32 v0, v40, v0
	v_and_b32_e32 v1, 0x7f800000, v0
	s_delay_alu instid0(VALU_DEP_1) | instskip(NEXT) | instid1(VALU_DEP_1)
	v_cmp_ne_u32_e64 s0, 0x7f800000, v1
                                        ; implicit-def: $vgpr1
                                        ; kill: killed $vgpr1
	s_and_saveexec_b32 s7, s0
	s_delay_alu instid0(SALU_CYCLE_1)
	s_xor_b32 s0, exec_lo, s7
	s_cbranch_execz .LBB203_75
; %bb.74:                               ;   in Loop: Header=BB203_31 Depth=1
	v_bfe_u32 v1, v0, 16, 1
	s_delay_alu instid0(VALU_DEP_1)
	v_add3_u32 v0, v0, v1, 0x7fff
	scratch_store_b32 off, v0, s32 offset:328 ; 4-byte Folded Spill
                                        ; implicit-def: $vgpr0
.LBB203_75:                             ;   in Loop: Header=BB203_31 Depth=1
	s_and_not1_saveexec_b32 s7, s0
	s_cbranch_execz .LBB203_77
; %bb.76:                               ;   in Loop: Header=BB203_31 Depth=1
	v_and_b32_e32 v1, 0xffff, v0
	v_or_b32_e32 v13, 0x10000, v0
	s_delay_alu instid0(VALU_DEP_2) | instskip(NEXT) | instid1(VALU_DEP_1)
	v_cmp_eq_u32_e64 s0, 0, v1
	v_cndmask_b32_e64 v0, v13, v0, s0
	scratch_store_b32 off, v0, s32 offset:328 ; 4-byte Folded Spill
.LBB203_77:                             ;   in Loop: Header=BB203_31 Depth=1
	s_or_b32 exec_lo, exec_lo, s7
	v_and_b32_e32 v41, 0xffff0000, v12
	v_lshlrev_b32_e32 v0, 16, v39
	s_delay_alu instid0(VALU_DEP_1) | instskip(NEXT) | instid1(VALU_DEP_1)
	v_mul_f32_e32 v0, v41, v0
	v_and_b32_e32 v1, 0x7f800000, v0
	s_delay_alu instid0(VALU_DEP_1) | instskip(NEXT) | instid1(VALU_DEP_1)
	v_cmp_ne_u32_e64 s0, 0x7f800000, v1
                                        ; implicit-def: $vgpr1
                                        ; kill: killed $vgpr1
	;; [unrolled: 31-line block ×6, first 2 shown]
	s_and_saveexec_b32 s7, s0
	s_delay_alu instid0(SALU_CYCLE_1)
	s_xor_b32 s0, exec_lo, s7
	s_cbranch_execz .LBB203_95
; %bb.94:                               ;   in Loop: Header=BB203_31 Depth=1
	v_bfe_u32 v1, v0, 16, 1
	s_delay_alu instid0(VALU_DEP_1)
	v_add3_u32 v0, v0, v1, 0x7fff
	scratch_store_b32 off, v0, s32 offset:348 ; 4-byte Folded Spill
                                        ; implicit-def: $vgpr0
.LBB203_95:                             ;   in Loop: Header=BB203_31 Depth=1
	s_and_not1_saveexec_b32 s7, s0
	s_cbranch_execz .LBB203_97
; %bb.96:                               ;   in Loop: Header=BB203_31 Depth=1
	v_and_b32_e32 v1, 0xffff, v0
	v_or_b32_e32 v2, 0x10000, v0
	s_delay_alu instid0(VALU_DEP_2) | instskip(NEXT) | instid1(VALU_DEP_1)
	v_cmp_eq_u32_e64 s0, 0, v1
	v_cndmask_b32_e64 v0, v2, v0, s0
	scratch_store_b32 off, v0, s32 offset:348 ; 4-byte Folded Spill
.LBB203_97:                             ;   in Loop: Header=BB203_31 Depth=1
	s_or_b32 exec_lo, exec_lo, s7
	flat_load_b128 v[0:3], v[6:7] offset:512
	s_waitcnt vmcnt(0) lgkmcnt(0)
	v_lshrrev_b32_e32 v9, 16, v0
	v_lshrrev_b32_e32 v8, 16, v1
	v_lshrrev_b32_e32 v5, 16, v2
	v_lshrrev_b32_e32 v4, 16, v3
	s_and_saveexec_b32 s7, vcc_lo
	s_cbranch_execz .LBB203_99
; %bb.98:                               ;   in Loop: Header=BB203_31 Depth=1
	v_cmp_lt_i32_e64 s0, v165, v87
	s_delay_alu instid0(VALU_DEP_1) | instskip(SKIP_1) | instid1(VALU_DEP_1)
	v_cndmask_b32_e64 v0, 0, v0, s0
	v_cmp_lt_i32_e64 s0, v179, v87
	v_cndmask_b32_e64 v9, 0, v9, s0
	v_cmp_lt_i32_e64 s0, v178, v87
	s_delay_alu instid0(VALU_DEP_1) | instskip(SKIP_1) | instid1(VALU_DEP_1)
	v_cndmask_b32_e64 v1, 0, v1, s0
	v_cmp_lt_i32_e64 s0, v177, v87
	v_cndmask_b32_e64 v8, 0, v8, s0
	;; [unrolled: 5-line block ×4, first 2 shown]
.LBB203_99:                             ;   in Loop: Header=BB203_31 Depth=1
	s_or_b32 exec_lo, exec_lo, s7
	v_lshlrev_b32_e32 v0, 16, v0
	s_delay_alu instid0(VALU_DEP_1) | instskip(NEXT) | instid1(VALU_DEP_1)
	v_mul_f32_e32 v0, v182, v0
	v_and_b32_e32 v12, 0x7f800000, v0
	s_delay_alu instid0(VALU_DEP_1) | instskip(NEXT) | instid1(VALU_DEP_1)
	v_cmp_ne_u32_e64 s0, 0x7f800000, v12
                                        ; implicit-def: $vgpr12
                                        ; kill: killed $vgpr12
	s_and_saveexec_b32 s7, s0
	s_delay_alu instid0(SALU_CYCLE_1)
	s_xor_b32 s0, exec_lo, s7
	s_cbranch_execz .LBB203_101
; %bb.100:                              ;   in Loop: Header=BB203_31 Depth=1
	v_bfe_u32 v12, v0, 16, 1
	s_delay_alu instid0(VALU_DEP_1)
	v_add3_u32 v0, v0, v12, 0x7fff
	scratch_store_b32 off, v0, s32 offset:352 ; 4-byte Folded Spill
                                        ; implicit-def: $vgpr0
.LBB203_101:                            ;   in Loop: Header=BB203_31 Depth=1
	s_and_not1_saveexec_b32 s7, s0
	s_cbranch_execz .LBB203_103
; %bb.102:                              ;   in Loop: Header=BB203_31 Depth=1
	v_and_b32_e32 v12, 0xffff, v0
	v_or_b32_e32 v13, 0x10000, v0
	s_delay_alu instid0(VALU_DEP_2) | instskip(NEXT) | instid1(VALU_DEP_1)
	v_cmp_eq_u32_e64 s0, 0, v12
	v_cndmask_b32_e64 v0, v13, v0, s0
	scratch_store_b32 off, v0, s32 offset:352 ; 4-byte Folded Spill
.LBB203_103:                            ;   in Loop: Header=BB203_31 Depth=1
	s_or_b32 exec_lo, exec_lo, s7
	v_lshlrev_b32_e32 v0, 16, v9
	s_delay_alu instid0(VALU_DEP_1) | instskip(NEXT) | instid1(VALU_DEP_1)
	v_mul_f32_e32 v0, v183, v0
	v_and_b32_e32 v9, 0x7f800000, v0
	s_delay_alu instid0(VALU_DEP_1) | instskip(NEXT) | instid1(VALU_DEP_1)
	v_cmp_ne_u32_e64 s0, 0x7f800000, v9
                                        ; implicit-def: $vgpr9
                                        ; kill: killed $vgpr9
	s_and_saveexec_b32 s7, s0
	s_delay_alu instid0(SALU_CYCLE_1)
	s_xor_b32 s0, exec_lo, s7
	s_cbranch_execz .LBB203_105
; %bb.104:                              ;   in Loop: Header=BB203_31 Depth=1
	v_bfe_u32 v9, v0, 16, 1
	s_delay_alu instid0(VALU_DEP_1)
	v_add3_u32 v0, v0, v9, 0x7fff
	scratch_store_b32 off, v0, s32 offset:356 ; 4-byte Folded Spill
                                        ; implicit-def: $vgpr0
.LBB203_105:                            ;   in Loop: Header=BB203_31 Depth=1
	s_and_not1_saveexec_b32 s7, s0
	s_cbranch_execz .LBB203_107
; %bb.106:                              ;   in Loop: Header=BB203_31 Depth=1
	v_and_b32_e32 v9, 0xffff, v0
	v_or_b32_e32 v12, 0x10000, v0
	s_delay_alu instid0(VALU_DEP_2) | instskip(NEXT) | instid1(VALU_DEP_1)
	v_cmp_eq_u32_e64 s0, 0, v9
	v_cndmask_b32_e64 v0, v12, v0, s0
	scratch_store_b32 off, v0, s32 offset:356 ; 4-byte Folded Spill
.LBB203_107:                            ;   in Loop: Header=BB203_31 Depth=1
	s_or_b32 exec_lo, exec_lo, s7
	v_lshlrev_b32_e32 v0, 16, v1
	s_delay_alu instid0(VALU_DEP_1) | instskip(NEXT) | instid1(VALU_DEP_1)
	v_mul_f32_e32 v0, v40, v0
	v_and_b32_e32 v1, 0x7f800000, v0
	s_delay_alu instid0(VALU_DEP_1) | instskip(NEXT) | instid1(VALU_DEP_1)
	v_cmp_ne_u32_e64 s0, 0x7f800000, v1
                                        ; implicit-def: $vgpr1
                                        ; kill: killed $vgpr1
	s_and_saveexec_b32 s7, s0
	s_delay_alu instid0(SALU_CYCLE_1)
	s_xor_b32 s0, exec_lo, s7
	s_cbranch_execz .LBB203_109
; %bb.108:                              ;   in Loop: Header=BB203_31 Depth=1
	v_bfe_u32 v1, v0, 16, 1
	s_delay_alu instid0(VALU_DEP_1)
	v_add3_u32 v0, v0, v1, 0x7fff
	scratch_store_b32 off, v0, s32 offset:360 ; 4-byte Folded Spill
                                        ; implicit-def: $vgpr0
.LBB203_109:                            ;   in Loop: Header=BB203_31 Depth=1
	s_and_not1_saveexec_b32 s7, s0
	s_cbranch_execz .LBB203_111
; %bb.110:                              ;   in Loop: Header=BB203_31 Depth=1
	v_and_b32_e32 v1, 0xffff, v0
	v_or_b32_e32 v9, 0x10000, v0
	s_delay_alu instid0(VALU_DEP_2) | instskip(NEXT) | instid1(VALU_DEP_1)
	v_cmp_eq_u32_e64 s0, 0, v1
	v_cndmask_b32_e64 v0, v9, v0, s0
	scratch_store_b32 off, v0, s32 offset:360 ; 4-byte Folded Spill
.LBB203_111:                            ;   in Loop: Header=BB203_31 Depth=1
	s_or_b32 exec_lo, exec_lo, s7
	v_lshlrev_b32_e32 v0, 16, v8
	s_delay_alu instid0(VALU_DEP_1) | instskip(NEXT) | instid1(VALU_DEP_1)
	v_mul_f32_e32 v0, v41, v0
	v_and_b32_e32 v1, 0x7f800000, v0
	s_delay_alu instid0(VALU_DEP_1) | instskip(NEXT) | instid1(VALU_DEP_1)
	v_cmp_ne_u32_e64 s0, 0x7f800000, v1
                                        ; implicit-def: $vgpr1
                                        ; kill: killed $vgpr1
	;; [unrolled: 30-line block ×6, first 2 shown]
	s_and_saveexec_b32 s7, s0
	s_delay_alu instid0(SALU_CYCLE_1)
	s_xor_b32 s0, exec_lo, s7
	s_cbranch_execz .LBB203_129
; %bb.128:                              ;   in Loop: Header=BB203_31 Depth=1
	v_bfe_u32 v1, v0, 16, 1
	s_delay_alu instid0(VALU_DEP_1)
	v_add3_u32 v0, v0, v1, 0x7fff
	scratch_store_b32 off, v0, s32 offset:380 ; 4-byte Folded Spill
                                        ; implicit-def: $vgpr0
.LBB203_129:                            ;   in Loop: Header=BB203_31 Depth=1
	s_and_not1_saveexec_b32 s7, s0
	s_cbranch_execz .LBB203_131
; %bb.130:                              ;   in Loop: Header=BB203_31 Depth=1
	v_and_b32_e32 v1, 0xffff, v0
	v_or_b32_e32 v2, 0x10000, v0
	s_delay_alu instid0(VALU_DEP_2) | instskip(NEXT) | instid1(VALU_DEP_1)
	v_cmp_eq_u32_e64 s0, 0, v1
	v_cndmask_b32_e64 v0, v2, v0, s0
	scratch_store_b32 off, v0, s32 offset:380 ; 4-byte Folded Spill
.LBB203_131:                            ;   in Loop: Header=BB203_31 Depth=1
	s_or_b32 exec_lo, exec_lo, s7
	flat_load_b128 v[0:3], v[6:7] offset:1024
	s_waitcnt vmcnt(0) lgkmcnt(0)
	v_lshrrev_b32_e32 v9, 16, v0
	v_lshrrev_b32_e32 v8, 16, v1
	v_lshrrev_b32_e32 v5, 16, v2
	v_lshrrev_b32_e32 v4, 16, v3
	s_and_saveexec_b32 s7, vcc_lo
	s_cbranch_execz .LBB203_133
; %bb.132:                              ;   in Loop: Header=BB203_31 Depth=1
	v_cmp_lt_i32_e64 s0, v165, v87
	s_delay_alu instid0(VALU_DEP_1) | instskip(SKIP_1) | instid1(VALU_DEP_1)
	v_cndmask_b32_e64 v0, 0, v0, s0
	v_cmp_lt_i32_e64 s0, v179, v87
	v_cndmask_b32_e64 v9, 0, v9, s0
	v_cmp_lt_i32_e64 s0, v178, v87
	s_delay_alu instid0(VALU_DEP_1) | instskip(SKIP_1) | instid1(VALU_DEP_1)
	v_cndmask_b32_e64 v1, 0, v1, s0
	v_cmp_lt_i32_e64 s0, v177, v87
	v_cndmask_b32_e64 v8, 0, v8, s0
	;; [unrolled: 5-line block ×4, first 2 shown]
.LBB203_133:                            ;   in Loop: Header=BB203_31 Depth=1
	s_or_b32 exec_lo, exec_lo, s7
	v_lshlrev_b32_e32 v0, 16, v0
	s_delay_alu instid0(VALU_DEP_1) | instskip(NEXT) | instid1(VALU_DEP_1)
	v_mul_f32_e32 v0, v182, v0
	v_and_b32_e32 v12, 0x7f800000, v0
	s_delay_alu instid0(VALU_DEP_1) | instskip(NEXT) | instid1(VALU_DEP_1)
	v_cmp_ne_u32_e64 s0, 0x7f800000, v12
                                        ; implicit-def: $vgpr12
                                        ; kill: killed $vgpr12
	s_and_saveexec_b32 s7, s0
	s_delay_alu instid0(SALU_CYCLE_1)
	s_xor_b32 s0, exec_lo, s7
	s_cbranch_execz .LBB203_135
; %bb.134:                              ;   in Loop: Header=BB203_31 Depth=1
	v_bfe_u32 v12, v0, 16, 1
	s_delay_alu instid0(VALU_DEP_1)
	v_add3_u32 v0, v0, v12, 0x7fff
	scratch_store_b32 off, v0, s32 offset:384 ; 4-byte Folded Spill
                                        ; implicit-def: $vgpr0
.LBB203_135:                            ;   in Loop: Header=BB203_31 Depth=1
	s_and_not1_saveexec_b32 s7, s0
	s_cbranch_execz .LBB203_137
; %bb.136:                              ;   in Loop: Header=BB203_31 Depth=1
	v_and_b32_e32 v12, 0xffff, v0
	v_or_b32_e32 v13, 0x10000, v0
	s_delay_alu instid0(VALU_DEP_2) | instskip(NEXT) | instid1(VALU_DEP_1)
	v_cmp_eq_u32_e64 s0, 0, v12
	v_cndmask_b32_e64 v0, v13, v0, s0
	scratch_store_b32 off, v0, s32 offset:384 ; 4-byte Folded Spill
.LBB203_137:                            ;   in Loop: Header=BB203_31 Depth=1
	s_or_b32 exec_lo, exec_lo, s7
	v_lshlrev_b32_e32 v0, 16, v9
	s_delay_alu instid0(VALU_DEP_1) | instskip(NEXT) | instid1(VALU_DEP_1)
	v_mul_f32_e32 v0, v183, v0
	v_and_b32_e32 v9, 0x7f800000, v0
	s_delay_alu instid0(VALU_DEP_1) | instskip(NEXT) | instid1(VALU_DEP_1)
	v_cmp_ne_u32_e64 s0, 0x7f800000, v9
                                        ; implicit-def: $vgpr9
                                        ; kill: killed $vgpr9
	s_and_saveexec_b32 s7, s0
	s_delay_alu instid0(SALU_CYCLE_1)
	s_xor_b32 s0, exec_lo, s7
	s_cbranch_execz .LBB203_139
; %bb.138:                              ;   in Loop: Header=BB203_31 Depth=1
	v_bfe_u32 v9, v0, 16, 1
	s_delay_alu instid0(VALU_DEP_1)
	v_add3_u32 v0, v0, v9, 0x7fff
	scratch_store_b32 off, v0, s32 offset:388 ; 4-byte Folded Spill
                                        ; implicit-def: $vgpr0
.LBB203_139:                            ;   in Loop: Header=BB203_31 Depth=1
	s_and_not1_saveexec_b32 s7, s0
	s_cbranch_execz .LBB203_141
; %bb.140:                              ;   in Loop: Header=BB203_31 Depth=1
	v_and_b32_e32 v9, 0xffff, v0
	v_or_b32_e32 v12, 0x10000, v0
	s_delay_alu instid0(VALU_DEP_2) | instskip(NEXT) | instid1(VALU_DEP_1)
	v_cmp_eq_u32_e64 s0, 0, v9
	v_cndmask_b32_e64 v0, v12, v0, s0
	scratch_store_b32 off, v0, s32 offset:388 ; 4-byte Folded Spill
.LBB203_141:                            ;   in Loop: Header=BB203_31 Depth=1
	s_or_b32 exec_lo, exec_lo, s7
	v_lshlrev_b32_e32 v0, 16, v1
	s_delay_alu instid0(VALU_DEP_1) | instskip(NEXT) | instid1(VALU_DEP_1)
	v_mul_f32_e32 v0, v40, v0
	v_and_b32_e32 v1, 0x7f800000, v0
	s_delay_alu instid0(VALU_DEP_1) | instskip(NEXT) | instid1(VALU_DEP_1)
	v_cmp_ne_u32_e64 s0, 0x7f800000, v1
                                        ; implicit-def: $vgpr1
                                        ; kill: killed $vgpr1
	s_and_saveexec_b32 s7, s0
	s_delay_alu instid0(SALU_CYCLE_1)
	s_xor_b32 s0, exec_lo, s7
	s_cbranch_execz .LBB203_143
; %bb.142:                              ;   in Loop: Header=BB203_31 Depth=1
	v_bfe_u32 v1, v0, 16, 1
	s_delay_alu instid0(VALU_DEP_1)
	v_add3_u32 v0, v0, v1, 0x7fff
	scratch_store_b32 off, v0, s32 offset:392 ; 4-byte Folded Spill
                                        ; implicit-def: $vgpr0
.LBB203_143:                            ;   in Loop: Header=BB203_31 Depth=1
	s_and_not1_saveexec_b32 s7, s0
	s_cbranch_execz .LBB203_145
; %bb.144:                              ;   in Loop: Header=BB203_31 Depth=1
	v_and_b32_e32 v1, 0xffff, v0
	v_or_b32_e32 v9, 0x10000, v0
	s_delay_alu instid0(VALU_DEP_2) | instskip(NEXT) | instid1(VALU_DEP_1)
	v_cmp_eq_u32_e64 s0, 0, v1
	v_cndmask_b32_e64 v0, v9, v0, s0
	scratch_store_b32 off, v0, s32 offset:392 ; 4-byte Folded Spill
.LBB203_145:                            ;   in Loop: Header=BB203_31 Depth=1
	s_or_b32 exec_lo, exec_lo, s7
	v_lshlrev_b32_e32 v0, 16, v8
	s_delay_alu instid0(VALU_DEP_1) | instskip(NEXT) | instid1(VALU_DEP_1)
	v_mul_f32_e32 v0, v41, v0
	v_and_b32_e32 v1, 0x7f800000, v0
	s_delay_alu instid0(VALU_DEP_1) | instskip(NEXT) | instid1(VALU_DEP_1)
	v_cmp_ne_u32_e64 s0, 0x7f800000, v1
                                        ; implicit-def: $vgpr1
                                        ; kill: killed $vgpr1
	;; [unrolled: 30-line block ×6, first 2 shown]
	s_and_saveexec_b32 s7, s0
	s_delay_alu instid0(SALU_CYCLE_1)
	s_xor_b32 s0, exec_lo, s7
	s_cbranch_execz .LBB203_163
; %bb.162:                              ;   in Loop: Header=BB203_31 Depth=1
	v_bfe_u32 v1, v0, 16, 1
	s_delay_alu instid0(VALU_DEP_1)
	v_add3_u32 v0, v0, v1, 0x7fff
	scratch_store_b32 off, v0, s32 offset:412 ; 4-byte Folded Spill
                                        ; implicit-def: $vgpr0
.LBB203_163:                            ;   in Loop: Header=BB203_31 Depth=1
	s_and_not1_saveexec_b32 s7, s0
	s_cbranch_execz .LBB203_165
; %bb.164:                              ;   in Loop: Header=BB203_31 Depth=1
	v_and_b32_e32 v1, 0xffff, v0
	v_or_b32_e32 v2, 0x10000, v0
	s_delay_alu instid0(VALU_DEP_2) | instskip(NEXT) | instid1(VALU_DEP_1)
	v_cmp_eq_u32_e64 s0, 0, v1
	v_cndmask_b32_e64 v0, v2, v0, s0
	scratch_store_b32 off, v0, s32 offset:412 ; 4-byte Folded Spill
.LBB203_165:                            ;   in Loop: Header=BB203_31 Depth=1
	s_or_b32 exec_lo, exec_lo, s7
	flat_load_b128 v[0:3], v[6:7] offset:1536
	s_waitcnt vmcnt(0) lgkmcnt(0)
	v_lshrrev_b32_e32 v9, 16, v0
	v_lshrrev_b32_e32 v8, 16, v1
	;; [unrolled: 1-line block ×4, first 2 shown]
	s_and_saveexec_b32 s7, vcc_lo
	s_cbranch_execz .LBB203_167
; %bb.166:                              ;   in Loop: Header=BB203_31 Depth=1
	v_cmp_lt_i32_e64 s0, v165, v87
	s_delay_alu instid0(VALU_DEP_1) | instskip(SKIP_1) | instid1(VALU_DEP_1)
	v_cndmask_b32_e64 v0, 0, v0, s0
	v_cmp_lt_i32_e64 s0, v179, v87
	v_cndmask_b32_e64 v9, 0, v9, s0
	v_cmp_lt_i32_e64 s0, v178, v87
	s_delay_alu instid0(VALU_DEP_1) | instskip(SKIP_1) | instid1(VALU_DEP_1)
	v_cndmask_b32_e64 v1, 0, v1, s0
	v_cmp_lt_i32_e64 s0, v177, v87
	v_cndmask_b32_e64 v8, 0, v8, s0
	;; [unrolled: 5-line block ×4, first 2 shown]
.LBB203_167:                            ;   in Loop: Header=BB203_31 Depth=1
	s_or_b32 exec_lo, exec_lo, s7
	v_lshlrev_b32_e32 v0, 16, v0
	s_delay_alu instid0(VALU_DEP_1) | instskip(NEXT) | instid1(VALU_DEP_1)
	v_mul_f32_e32 v0, v182, v0
	v_and_b32_e32 v12, 0x7f800000, v0
	s_delay_alu instid0(VALU_DEP_1) | instskip(NEXT) | instid1(VALU_DEP_1)
	v_cmp_ne_u32_e64 s0, 0x7f800000, v12
                                        ; implicit-def: $vgpr12
                                        ; kill: killed $vgpr12
	s_and_saveexec_b32 s7, s0
	s_delay_alu instid0(SALU_CYCLE_1)
	s_xor_b32 s0, exec_lo, s7
	s_cbranch_execz .LBB203_169
; %bb.168:                              ;   in Loop: Header=BB203_31 Depth=1
	v_bfe_u32 v12, v0, 16, 1
	s_delay_alu instid0(VALU_DEP_1)
	v_add3_u32 v0, v0, v12, 0x7fff
	scratch_store_b32 off, v0, s32 offset:416 ; 4-byte Folded Spill
                                        ; implicit-def: $vgpr0
.LBB203_169:                            ;   in Loop: Header=BB203_31 Depth=1
	s_and_not1_saveexec_b32 s7, s0
	s_cbranch_execz .LBB203_171
; %bb.170:                              ;   in Loop: Header=BB203_31 Depth=1
	v_and_b32_e32 v12, 0xffff, v0
	v_or_b32_e32 v13, 0x10000, v0
	s_delay_alu instid0(VALU_DEP_2) | instskip(NEXT) | instid1(VALU_DEP_1)
	v_cmp_eq_u32_e64 s0, 0, v12
	v_cndmask_b32_e64 v0, v13, v0, s0
	scratch_store_b32 off, v0, s32 offset:416 ; 4-byte Folded Spill
.LBB203_171:                            ;   in Loop: Header=BB203_31 Depth=1
	s_or_b32 exec_lo, exec_lo, s7
	v_lshlrev_b32_e32 v0, 16, v9
	s_delay_alu instid0(VALU_DEP_1) | instskip(NEXT) | instid1(VALU_DEP_1)
	v_mul_f32_e32 v0, v183, v0
	v_and_b32_e32 v9, 0x7f800000, v0
	s_delay_alu instid0(VALU_DEP_1) | instskip(NEXT) | instid1(VALU_DEP_1)
	v_cmp_ne_u32_e64 s0, 0x7f800000, v9
                                        ; implicit-def: $vgpr9
                                        ; kill: killed $vgpr9
	s_and_saveexec_b32 s7, s0
	s_delay_alu instid0(SALU_CYCLE_1)
	s_xor_b32 s0, exec_lo, s7
	s_cbranch_execz .LBB203_173
; %bb.172:                              ;   in Loop: Header=BB203_31 Depth=1
	v_bfe_u32 v9, v0, 16, 1
	s_delay_alu instid0(VALU_DEP_1)
	v_add3_u32 v0, v0, v9, 0x7fff
	scratch_store_b32 off, v0, s32 offset:420 ; 4-byte Folded Spill
                                        ; implicit-def: $vgpr0
.LBB203_173:                            ;   in Loop: Header=BB203_31 Depth=1
	s_and_not1_saveexec_b32 s7, s0
	s_cbranch_execz .LBB203_175
; %bb.174:                              ;   in Loop: Header=BB203_31 Depth=1
	v_and_b32_e32 v9, 0xffff, v0
	v_or_b32_e32 v12, 0x10000, v0
	s_delay_alu instid0(VALU_DEP_2) | instskip(NEXT) | instid1(VALU_DEP_1)
	v_cmp_eq_u32_e64 s0, 0, v9
	v_cndmask_b32_e64 v0, v12, v0, s0
	scratch_store_b32 off, v0, s32 offset:420 ; 4-byte Folded Spill
.LBB203_175:                            ;   in Loop: Header=BB203_31 Depth=1
	s_or_b32 exec_lo, exec_lo, s7
	v_lshlrev_b32_e32 v0, 16, v1
	s_delay_alu instid0(VALU_DEP_1) | instskip(NEXT) | instid1(VALU_DEP_1)
	v_mul_f32_e32 v0, v40, v0
	v_and_b32_e32 v1, 0x7f800000, v0
	s_delay_alu instid0(VALU_DEP_1) | instskip(NEXT) | instid1(VALU_DEP_1)
	v_cmp_ne_u32_e64 s0, 0x7f800000, v1
                                        ; implicit-def: $vgpr1
                                        ; kill: killed $vgpr1
	s_and_saveexec_b32 s7, s0
	s_delay_alu instid0(SALU_CYCLE_1)
	s_xor_b32 s0, exec_lo, s7
	s_cbranch_execz .LBB203_177
; %bb.176:                              ;   in Loop: Header=BB203_31 Depth=1
	v_bfe_u32 v1, v0, 16, 1
	s_delay_alu instid0(VALU_DEP_1)
	v_add3_u32 v0, v0, v1, 0x7fff
	scratch_store_b32 off, v0, s32 offset:424 ; 4-byte Folded Spill
                                        ; implicit-def: $vgpr0
.LBB203_177:                            ;   in Loop: Header=BB203_31 Depth=1
	s_and_not1_saveexec_b32 s7, s0
	s_cbranch_execz .LBB203_179
; %bb.178:                              ;   in Loop: Header=BB203_31 Depth=1
	v_and_b32_e32 v1, 0xffff, v0
	v_or_b32_e32 v9, 0x10000, v0
	s_delay_alu instid0(VALU_DEP_2) | instskip(NEXT) | instid1(VALU_DEP_1)
	v_cmp_eq_u32_e64 s0, 0, v1
	v_cndmask_b32_e64 v0, v9, v0, s0
	scratch_store_b32 off, v0, s32 offset:424 ; 4-byte Folded Spill
.LBB203_179:                            ;   in Loop: Header=BB203_31 Depth=1
	s_or_b32 exec_lo, exec_lo, s7
	v_lshlrev_b32_e32 v0, 16, v8
	s_delay_alu instid0(VALU_DEP_1) | instskip(NEXT) | instid1(VALU_DEP_1)
	v_mul_f32_e32 v0, v41, v0
	v_and_b32_e32 v1, 0x7f800000, v0
	s_delay_alu instid0(VALU_DEP_1) | instskip(NEXT) | instid1(VALU_DEP_1)
	v_cmp_ne_u32_e64 s0, 0x7f800000, v1
                                        ; implicit-def: $vgpr1
                                        ; kill: killed $vgpr1
	;; [unrolled: 30-line block ×6, first 2 shown]
	s_and_saveexec_b32 s7, s0
	s_delay_alu instid0(SALU_CYCLE_1)
	s_xor_b32 s0, exec_lo, s7
	s_cbranch_execz .LBB203_197
; %bb.196:                              ;   in Loop: Header=BB203_31 Depth=1
	v_bfe_u32 v1, v0, 16, 1
	s_delay_alu instid0(VALU_DEP_1)
	v_add3_u32 v0, v0, v1, 0x7fff
	scratch_store_b32 off, v0, s32 offset:444 ; 4-byte Folded Spill
                                        ; implicit-def: $vgpr0
.LBB203_197:                            ;   in Loop: Header=BB203_31 Depth=1
	s_and_not1_saveexec_b32 s7, s0
	s_cbranch_execz .LBB203_199
; %bb.198:                              ;   in Loop: Header=BB203_31 Depth=1
	v_and_b32_e32 v1, 0xffff, v0
	v_or_b32_e32 v2, 0x10000, v0
	s_delay_alu instid0(VALU_DEP_2) | instskip(NEXT) | instid1(VALU_DEP_1)
	v_cmp_eq_u32_e64 s0, 0, v1
	v_cndmask_b32_e64 v0, v2, v0, s0
	scratch_store_b32 off, v0, s32 offset:444 ; 4-byte Folded Spill
.LBB203_199:                            ;   in Loop: Header=BB203_31 Depth=1
	s_or_b32 exec_lo, exec_lo, s7
	flat_load_b128 v[0:3], v[6:7] offset:2048
	s_waitcnt vmcnt(0) lgkmcnt(0)
	v_lshrrev_b32_e32 v9, 16, v0
	v_lshrrev_b32_e32 v8, 16, v1
	;; [unrolled: 1-line block ×4, first 2 shown]
	s_and_saveexec_b32 s7, vcc_lo
	s_cbranch_execz .LBB203_201
; %bb.200:                              ;   in Loop: Header=BB203_31 Depth=1
	v_cmp_lt_i32_e64 s0, v165, v87
	s_delay_alu instid0(VALU_DEP_1) | instskip(SKIP_1) | instid1(VALU_DEP_1)
	v_cndmask_b32_e64 v0, 0, v0, s0
	v_cmp_lt_i32_e64 s0, v179, v87
	v_cndmask_b32_e64 v9, 0, v9, s0
	v_cmp_lt_i32_e64 s0, v178, v87
	s_delay_alu instid0(VALU_DEP_1) | instskip(SKIP_1) | instid1(VALU_DEP_1)
	v_cndmask_b32_e64 v1, 0, v1, s0
	v_cmp_lt_i32_e64 s0, v177, v87
	v_cndmask_b32_e64 v8, 0, v8, s0
	;; [unrolled: 5-line block ×4, first 2 shown]
.LBB203_201:                            ;   in Loop: Header=BB203_31 Depth=1
	s_or_b32 exec_lo, exec_lo, s7
	v_lshlrev_b32_e32 v0, 16, v0
	s_delay_alu instid0(VALU_DEP_1) | instskip(NEXT) | instid1(VALU_DEP_1)
	v_mul_f32_e32 v0, v182, v0
	v_and_b32_e32 v12, 0x7f800000, v0
	s_delay_alu instid0(VALU_DEP_1) | instskip(NEXT) | instid1(VALU_DEP_1)
	v_cmp_ne_u32_e64 s0, 0x7f800000, v12
                                        ; implicit-def: $vgpr12
                                        ; kill: killed $vgpr12
	s_and_saveexec_b32 s7, s0
	s_delay_alu instid0(SALU_CYCLE_1)
	s_xor_b32 s0, exec_lo, s7
	s_cbranch_execz .LBB203_203
; %bb.202:                              ;   in Loop: Header=BB203_31 Depth=1
	v_bfe_u32 v12, v0, 16, 1
	s_delay_alu instid0(VALU_DEP_1)
	v_add3_u32 v0, v0, v12, 0x7fff
	scratch_store_b32 off, v0, s32 offset:448 ; 4-byte Folded Spill
                                        ; implicit-def: $vgpr0
.LBB203_203:                            ;   in Loop: Header=BB203_31 Depth=1
	s_and_not1_saveexec_b32 s7, s0
	s_cbranch_execz .LBB203_205
; %bb.204:                              ;   in Loop: Header=BB203_31 Depth=1
	v_and_b32_e32 v12, 0xffff, v0
	v_or_b32_e32 v13, 0x10000, v0
	s_delay_alu instid0(VALU_DEP_2) | instskip(NEXT) | instid1(VALU_DEP_1)
	v_cmp_eq_u32_e64 s0, 0, v12
	v_cndmask_b32_e64 v0, v13, v0, s0
	scratch_store_b32 off, v0, s32 offset:448 ; 4-byte Folded Spill
.LBB203_205:                            ;   in Loop: Header=BB203_31 Depth=1
	s_or_b32 exec_lo, exec_lo, s7
	v_lshlrev_b32_e32 v0, 16, v9
	s_delay_alu instid0(VALU_DEP_1) | instskip(NEXT) | instid1(VALU_DEP_1)
	v_mul_f32_e32 v0, v183, v0
	v_and_b32_e32 v9, 0x7f800000, v0
	s_delay_alu instid0(VALU_DEP_1) | instskip(NEXT) | instid1(VALU_DEP_1)
	v_cmp_ne_u32_e64 s0, 0x7f800000, v9
                                        ; implicit-def: $vgpr9
                                        ; kill: killed $vgpr9
	s_and_saveexec_b32 s7, s0
	s_delay_alu instid0(SALU_CYCLE_1)
	s_xor_b32 s0, exec_lo, s7
	s_cbranch_execz .LBB203_207
; %bb.206:                              ;   in Loop: Header=BB203_31 Depth=1
	v_bfe_u32 v9, v0, 16, 1
	s_delay_alu instid0(VALU_DEP_1)
	v_add3_u32 v0, v0, v9, 0x7fff
	scratch_store_b32 off, v0, s32 offset:452 ; 4-byte Folded Spill
                                        ; implicit-def: $vgpr0
.LBB203_207:                            ;   in Loop: Header=BB203_31 Depth=1
	s_and_not1_saveexec_b32 s7, s0
	s_cbranch_execz .LBB203_209
; %bb.208:                              ;   in Loop: Header=BB203_31 Depth=1
	v_and_b32_e32 v9, 0xffff, v0
	v_or_b32_e32 v12, 0x10000, v0
	s_delay_alu instid0(VALU_DEP_2) | instskip(NEXT) | instid1(VALU_DEP_1)
	v_cmp_eq_u32_e64 s0, 0, v9
	v_cndmask_b32_e64 v0, v12, v0, s0
	scratch_store_b32 off, v0, s32 offset:452 ; 4-byte Folded Spill
.LBB203_209:                            ;   in Loop: Header=BB203_31 Depth=1
	s_or_b32 exec_lo, exec_lo, s7
	v_lshlrev_b32_e32 v0, 16, v1
	s_delay_alu instid0(VALU_DEP_1) | instskip(NEXT) | instid1(VALU_DEP_1)
	v_mul_f32_e32 v0, v40, v0
	v_and_b32_e32 v1, 0x7f800000, v0
	s_delay_alu instid0(VALU_DEP_1) | instskip(NEXT) | instid1(VALU_DEP_1)
	v_cmp_ne_u32_e64 s0, 0x7f800000, v1
                                        ; implicit-def: $vgpr1
                                        ; kill: killed $vgpr1
	s_and_saveexec_b32 s7, s0
	s_delay_alu instid0(SALU_CYCLE_1)
	s_xor_b32 s0, exec_lo, s7
	s_cbranch_execz .LBB203_211
; %bb.210:                              ;   in Loop: Header=BB203_31 Depth=1
	v_bfe_u32 v1, v0, 16, 1
	s_delay_alu instid0(VALU_DEP_1)
	v_add3_u32 v0, v0, v1, 0x7fff
	scratch_store_b32 off, v0, s32 offset:456 ; 4-byte Folded Spill
                                        ; implicit-def: $vgpr0
.LBB203_211:                            ;   in Loop: Header=BB203_31 Depth=1
	s_and_not1_saveexec_b32 s7, s0
	s_cbranch_execz .LBB203_213
; %bb.212:                              ;   in Loop: Header=BB203_31 Depth=1
	v_and_b32_e32 v1, 0xffff, v0
	v_or_b32_e32 v9, 0x10000, v0
	s_delay_alu instid0(VALU_DEP_2) | instskip(NEXT) | instid1(VALU_DEP_1)
	v_cmp_eq_u32_e64 s0, 0, v1
	v_cndmask_b32_e64 v0, v9, v0, s0
	scratch_store_b32 off, v0, s32 offset:456 ; 4-byte Folded Spill
.LBB203_213:                            ;   in Loop: Header=BB203_31 Depth=1
	s_or_b32 exec_lo, exec_lo, s7
	v_lshlrev_b32_e32 v0, 16, v8
	s_delay_alu instid0(VALU_DEP_1) | instskip(NEXT) | instid1(VALU_DEP_1)
	v_mul_f32_e32 v0, v41, v0
	v_and_b32_e32 v1, 0x7f800000, v0
	s_delay_alu instid0(VALU_DEP_1) | instskip(NEXT) | instid1(VALU_DEP_1)
	v_cmp_ne_u32_e64 s0, 0x7f800000, v1
                                        ; implicit-def: $vgpr1
                                        ; kill: killed $vgpr1
	;; [unrolled: 30-line block ×6, first 2 shown]
	s_and_saveexec_b32 s7, s0
	s_delay_alu instid0(SALU_CYCLE_1)
	s_xor_b32 s0, exec_lo, s7
	s_cbranch_execz .LBB203_231
; %bb.230:                              ;   in Loop: Header=BB203_31 Depth=1
	v_bfe_u32 v1, v0, 16, 1
	s_delay_alu instid0(VALU_DEP_1)
	v_add3_u32 v0, v0, v1, 0x7fff
	scratch_store_b32 off, v0, s32 offset:476 ; 4-byte Folded Spill
                                        ; implicit-def: $vgpr0
.LBB203_231:                            ;   in Loop: Header=BB203_31 Depth=1
	s_and_not1_saveexec_b32 s7, s0
	s_cbranch_execz .LBB203_233
; %bb.232:                              ;   in Loop: Header=BB203_31 Depth=1
	v_and_b32_e32 v1, 0xffff, v0
	v_or_b32_e32 v2, 0x10000, v0
	s_delay_alu instid0(VALU_DEP_2) | instskip(NEXT) | instid1(VALU_DEP_1)
	v_cmp_eq_u32_e64 s0, 0, v1
	v_cndmask_b32_e64 v0, v2, v0, s0
	scratch_store_b32 off, v0, s32 offset:476 ; 4-byte Folded Spill
.LBB203_233:                            ;   in Loop: Header=BB203_31 Depth=1
	s_or_b32 exec_lo, exec_lo, s7
	flat_load_b128 v[0:3], v[6:7] offset:2560
	s_waitcnt vmcnt(0) lgkmcnt(0)
	v_lshrrev_b32_e32 v9, 16, v0
	v_lshrrev_b32_e32 v8, 16, v1
	v_lshrrev_b32_e32 v5, 16, v2
	v_lshrrev_b32_e32 v4, 16, v3
	s_and_saveexec_b32 s7, vcc_lo
	s_cbranch_execz .LBB203_235
; %bb.234:                              ;   in Loop: Header=BB203_31 Depth=1
	v_cmp_lt_i32_e64 s0, v165, v87
	s_delay_alu instid0(VALU_DEP_1) | instskip(SKIP_1) | instid1(VALU_DEP_1)
	v_cndmask_b32_e64 v0, 0, v0, s0
	v_cmp_lt_i32_e64 s0, v179, v87
	v_cndmask_b32_e64 v9, 0, v9, s0
	v_cmp_lt_i32_e64 s0, v178, v87
	s_delay_alu instid0(VALU_DEP_1) | instskip(SKIP_1) | instid1(VALU_DEP_1)
	v_cndmask_b32_e64 v1, 0, v1, s0
	v_cmp_lt_i32_e64 s0, v177, v87
	v_cndmask_b32_e64 v8, 0, v8, s0
	;; [unrolled: 5-line block ×4, first 2 shown]
.LBB203_235:                            ;   in Loop: Header=BB203_31 Depth=1
	s_or_b32 exec_lo, exec_lo, s7
	v_lshlrev_b32_e32 v0, 16, v0
	s_delay_alu instid0(VALU_DEP_1) | instskip(NEXT) | instid1(VALU_DEP_1)
	v_mul_f32_e32 v0, v182, v0
	v_and_b32_e32 v12, 0x7f800000, v0
	s_delay_alu instid0(VALU_DEP_1) | instskip(NEXT) | instid1(VALU_DEP_1)
	v_cmp_ne_u32_e64 s0, 0x7f800000, v12
                                        ; implicit-def: $vgpr12
                                        ; kill: killed $vgpr12
	s_and_saveexec_b32 s7, s0
	s_delay_alu instid0(SALU_CYCLE_1)
	s_xor_b32 s0, exec_lo, s7
	s_cbranch_execz .LBB203_237
; %bb.236:                              ;   in Loop: Header=BB203_31 Depth=1
	v_bfe_u32 v12, v0, 16, 1
	s_delay_alu instid0(VALU_DEP_1)
	v_add3_u32 v0, v0, v12, 0x7fff
	scratch_store_b32 off, v0, s32 offset:480 ; 4-byte Folded Spill
                                        ; implicit-def: $vgpr0
.LBB203_237:                            ;   in Loop: Header=BB203_31 Depth=1
	s_and_not1_saveexec_b32 s7, s0
	s_cbranch_execz .LBB203_239
; %bb.238:                              ;   in Loop: Header=BB203_31 Depth=1
	v_and_b32_e32 v12, 0xffff, v0
	v_or_b32_e32 v13, 0x10000, v0
	s_delay_alu instid0(VALU_DEP_2) | instskip(NEXT) | instid1(VALU_DEP_1)
	v_cmp_eq_u32_e64 s0, 0, v12
	v_cndmask_b32_e64 v0, v13, v0, s0
	scratch_store_b32 off, v0, s32 offset:480 ; 4-byte Folded Spill
.LBB203_239:                            ;   in Loop: Header=BB203_31 Depth=1
	s_or_b32 exec_lo, exec_lo, s7
	v_lshlrev_b32_e32 v0, 16, v9
	s_delay_alu instid0(VALU_DEP_1) | instskip(NEXT) | instid1(VALU_DEP_1)
	v_mul_f32_e32 v0, v183, v0
	v_and_b32_e32 v9, 0x7f800000, v0
	s_delay_alu instid0(VALU_DEP_1) | instskip(NEXT) | instid1(VALU_DEP_1)
	v_cmp_ne_u32_e64 s0, 0x7f800000, v9
                                        ; implicit-def: $vgpr9
                                        ; kill: killed $vgpr9
	s_and_saveexec_b32 s7, s0
	s_delay_alu instid0(SALU_CYCLE_1)
	s_xor_b32 s0, exec_lo, s7
	s_cbranch_execz .LBB203_241
; %bb.240:                              ;   in Loop: Header=BB203_31 Depth=1
	v_bfe_u32 v9, v0, 16, 1
	s_delay_alu instid0(VALU_DEP_1)
	v_add3_u32 v0, v0, v9, 0x7fff
	scratch_store_b32 off, v0, s32 offset:484 ; 4-byte Folded Spill
                                        ; implicit-def: $vgpr0
.LBB203_241:                            ;   in Loop: Header=BB203_31 Depth=1
	s_and_not1_saveexec_b32 s7, s0
	s_cbranch_execz .LBB203_243
; %bb.242:                              ;   in Loop: Header=BB203_31 Depth=1
	v_and_b32_e32 v9, 0xffff, v0
	v_or_b32_e32 v12, 0x10000, v0
	s_delay_alu instid0(VALU_DEP_2) | instskip(NEXT) | instid1(VALU_DEP_1)
	v_cmp_eq_u32_e64 s0, 0, v9
	v_cndmask_b32_e64 v0, v12, v0, s0
	scratch_store_b32 off, v0, s32 offset:484 ; 4-byte Folded Spill
.LBB203_243:                            ;   in Loop: Header=BB203_31 Depth=1
	s_or_b32 exec_lo, exec_lo, s7
	v_lshlrev_b32_e32 v0, 16, v1
	s_delay_alu instid0(VALU_DEP_1) | instskip(NEXT) | instid1(VALU_DEP_1)
	v_mul_f32_e32 v0, v40, v0
	v_and_b32_e32 v1, 0x7f800000, v0
	s_delay_alu instid0(VALU_DEP_1) | instskip(NEXT) | instid1(VALU_DEP_1)
	v_cmp_ne_u32_e64 s0, 0x7f800000, v1
                                        ; implicit-def: $vgpr1
                                        ; kill: killed $vgpr1
	s_and_saveexec_b32 s7, s0
	s_delay_alu instid0(SALU_CYCLE_1)
	s_xor_b32 s0, exec_lo, s7
	s_cbranch_execz .LBB203_245
; %bb.244:                              ;   in Loop: Header=BB203_31 Depth=1
	v_bfe_u32 v1, v0, 16, 1
	s_delay_alu instid0(VALU_DEP_1)
	v_add3_u32 v0, v0, v1, 0x7fff
	scratch_store_b32 off, v0, s32 offset:488 ; 4-byte Folded Spill
                                        ; implicit-def: $vgpr0
.LBB203_245:                            ;   in Loop: Header=BB203_31 Depth=1
	s_and_not1_saveexec_b32 s7, s0
	s_cbranch_execz .LBB203_247
; %bb.246:                              ;   in Loop: Header=BB203_31 Depth=1
	v_and_b32_e32 v1, 0xffff, v0
	v_or_b32_e32 v9, 0x10000, v0
	s_delay_alu instid0(VALU_DEP_2) | instskip(NEXT) | instid1(VALU_DEP_1)
	v_cmp_eq_u32_e64 s0, 0, v1
	v_cndmask_b32_e64 v0, v9, v0, s0
	scratch_store_b32 off, v0, s32 offset:488 ; 4-byte Folded Spill
.LBB203_247:                            ;   in Loop: Header=BB203_31 Depth=1
	s_or_b32 exec_lo, exec_lo, s7
	v_lshlrev_b32_e32 v0, 16, v8
	s_delay_alu instid0(VALU_DEP_1) | instskip(NEXT) | instid1(VALU_DEP_1)
	v_mul_f32_e32 v0, v41, v0
	v_and_b32_e32 v1, 0x7f800000, v0
	s_delay_alu instid0(VALU_DEP_1) | instskip(NEXT) | instid1(VALU_DEP_1)
	v_cmp_ne_u32_e64 s0, 0x7f800000, v1
                                        ; implicit-def: $vgpr1
                                        ; kill: killed $vgpr1
	;; [unrolled: 30-line block ×3, first 2 shown]
	s_and_saveexec_b32 s7, s0
	s_delay_alu instid0(SALU_CYCLE_1)
	s_xor_b32 s0, exec_lo, s7
	s_cbranch_execz .LBB203_253
; %bb.252:                              ;   in Loop: Header=BB203_31 Depth=1
	v_bfe_u32 v1, v0, 16, 1
	s_delay_alu instid0(VALU_DEP_1)
	v_add3_u32 v0, v0, v1, 0x7fff
	scratch_store_b32 off, v0, s32 offset:496 ; 4-byte Folded Spill
                                        ; implicit-def: $vgpr0
.LBB203_253:                            ;   in Loop: Header=BB203_31 Depth=1
	s_and_not1_saveexec_b32 s7, s0
	s_cbranch_execz .LBB203_255
; %bb.254:                              ;   in Loop: Header=BB203_31 Depth=1
	v_and_b32_e32 v1, 0xffff, v0
	v_or_b32_e32 v2, 0x10000, v0
	s_delay_alu instid0(VALU_DEP_2) | instskip(NEXT) | instid1(VALU_DEP_1)
	v_cmp_eq_u32_e64 s0, 0, v1
	v_cndmask_b32_e64 v0, v2, v0, s0
	scratch_store_b32 off, v0, s32 offset:496 ; 4-byte Folded Spill
.LBB203_255:                            ;   in Loop: Header=BB203_31 Depth=1
	s_or_b32 exec_lo, exec_lo, s7
	v_lshlrev_b32_e32 v0, 16, v5
                                        ; implicit-def: $vgpr72
	s_delay_alu instid0(VALU_DEP_1) | instskip(NEXT) | instid1(VALU_DEP_1)
	v_mul_f32_e32 v0, v43, v0
	v_and_b32_e32 v1, 0x7f800000, v0
	s_delay_alu instid0(VALU_DEP_1) | instskip(NEXT) | instid1(VALU_DEP_1)
	v_cmp_ne_u32_e64 s0, 0x7f800000, v1
	s_and_saveexec_b32 s7, s0
	s_delay_alu instid0(SALU_CYCLE_1)
	s_xor_b32 s0, exec_lo, s7
; %bb.256:                              ;   in Loop: Header=BB203_31 Depth=1
	v_bfe_u32 v1, v0, 16, 1
	s_delay_alu instid0(VALU_DEP_1)
	v_add3_u32 v72, v0, v1, 0x7fff
                                        ; implicit-def: $vgpr0
; %bb.257:                              ;   in Loop: Header=BB203_31 Depth=1
	s_and_not1_saveexec_b32 s7, s0
; %bb.258:                              ;   in Loop: Header=BB203_31 Depth=1
	v_and_b32_e32 v1, 0xffff, v0
	v_or_b32_e32 v2, 0x10000, v0
	s_delay_alu instid0(VALU_DEP_2) | instskip(NEXT) | instid1(VALU_DEP_1)
	v_cmp_eq_u32_e64 s0, 0, v1
	v_cndmask_b32_e64 v72, v2, v0, s0
; %bb.259:                              ;   in Loop: Header=BB203_31 Depth=1
	s_or_b32 exec_lo, exec_lo, s7
	v_lshlrev_b32_e32 v0, 16, v3
                                        ; implicit-def: $vgpr73
	s_delay_alu instid0(VALU_DEP_1) | instskip(NEXT) | instid1(VALU_DEP_1)
	v_mul_f32_e32 v0, v44, v0
	v_and_b32_e32 v1, 0x7f800000, v0
	s_delay_alu instid0(VALU_DEP_1) | instskip(NEXT) | instid1(VALU_DEP_1)
	v_cmp_ne_u32_e64 s0, 0x7f800000, v1
	s_and_saveexec_b32 s7, s0
	s_delay_alu instid0(SALU_CYCLE_1)
	s_xor_b32 s0, exec_lo, s7
; %bb.260:                              ;   in Loop: Header=BB203_31 Depth=1
	v_bfe_u32 v1, v0, 16, 1
	s_delay_alu instid0(VALU_DEP_1)
	v_add3_u32 v73, v0, v1, 0x7fff
                                        ; implicit-def: $vgpr0
; %bb.261:                              ;   in Loop: Header=BB203_31 Depth=1
	s_and_not1_saveexec_b32 s7, s0
; %bb.262:                              ;   in Loop: Header=BB203_31 Depth=1
	v_and_b32_e32 v1, 0xffff, v0
	v_or_b32_e32 v2, 0x10000, v0
	s_delay_alu instid0(VALU_DEP_2) | instskip(NEXT) | instid1(VALU_DEP_1)
	v_cmp_eq_u32_e64 s0, 0, v1
	v_cndmask_b32_e64 v73, v2, v0, s0
; %bb.263:                              ;   in Loop: Header=BB203_31 Depth=1
	s_or_b32 exec_lo, exec_lo, s7
	v_lshlrev_b32_e32 v0, 16, v4
                                        ; implicit-def: $vgpr74
	s_delay_alu instid0(VALU_DEP_1) | instskip(NEXT) | instid1(VALU_DEP_1)
	v_mul_f32_e32 v0, v45, v0
	v_and_b32_e32 v1, 0x7f800000, v0
	s_delay_alu instid0(VALU_DEP_1) | instskip(NEXT) | instid1(VALU_DEP_1)
	v_cmp_ne_u32_e64 s0, 0x7f800000, v1
	s_and_saveexec_b32 s7, s0
	s_delay_alu instid0(SALU_CYCLE_1)
	s_xor_b32 s0, exec_lo, s7
; %bb.264:                              ;   in Loop: Header=BB203_31 Depth=1
	v_bfe_u32 v1, v0, 16, 1
	s_delay_alu instid0(VALU_DEP_1)
	v_add3_u32 v74, v0, v1, 0x7fff
                                        ; implicit-def: $vgpr0
; %bb.265:                              ;   in Loop: Header=BB203_31 Depth=1
	s_and_not1_saveexec_b32 s7, s0
; %bb.266:                              ;   in Loop: Header=BB203_31 Depth=1
	v_and_b32_e32 v1, 0xffff, v0
	v_or_b32_e32 v2, 0x10000, v0
	s_delay_alu instid0(VALU_DEP_2) | instskip(NEXT) | instid1(VALU_DEP_1)
	v_cmp_eq_u32_e64 s0, 0, v1
	v_cndmask_b32_e64 v74, v2, v0, s0
; %bb.267:                              ;   in Loop: Header=BB203_31 Depth=1
	s_or_b32 exec_lo, exec_lo, s7
	flat_load_b128 v[0:3], v[6:7] offset:3072
	s_waitcnt vmcnt(0) lgkmcnt(0)
	v_lshrrev_b32_e32 v9, 16, v0
	v_lshrrev_b32_e32 v8, 16, v1
	;; [unrolled: 1-line block ×4, first 2 shown]
	s_and_saveexec_b32 s7, vcc_lo
	s_cbranch_execz .LBB203_269
; %bb.268:                              ;   in Loop: Header=BB203_31 Depth=1
	v_cmp_lt_i32_e64 s0, v165, v87
	s_delay_alu instid0(VALU_DEP_1) | instskip(SKIP_1) | instid1(VALU_DEP_1)
	v_cndmask_b32_e64 v0, 0, v0, s0
	v_cmp_lt_i32_e64 s0, v179, v87
	v_cndmask_b32_e64 v9, 0, v9, s0
	v_cmp_lt_i32_e64 s0, v178, v87
	s_delay_alu instid0(VALU_DEP_1) | instskip(SKIP_1) | instid1(VALU_DEP_1)
	v_cndmask_b32_e64 v1, 0, v1, s0
	v_cmp_lt_i32_e64 s0, v177, v87
	v_cndmask_b32_e64 v8, 0, v8, s0
	;; [unrolled: 5-line block ×4, first 2 shown]
.LBB203_269:                            ;   in Loop: Header=BB203_31 Depth=1
	s_or_b32 exec_lo, exec_lo, s7
	v_lshlrev_b32_e32 v0, 16, v0
                                        ; implicit-def: $vgpr75
	s_delay_alu instid0(VALU_DEP_1) | instskip(NEXT) | instid1(VALU_DEP_1)
	v_mul_f32_e32 v0, v182, v0
	v_and_b32_e32 v12, 0x7f800000, v0
	s_delay_alu instid0(VALU_DEP_1) | instskip(NEXT) | instid1(VALU_DEP_1)
	v_cmp_ne_u32_e64 s0, 0x7f800000, v12
	s_and_saveexec_b32 s7, s0
	s_delay_alu instid0(SALU_CYCLE_1)
	s_xor_b32 s0, exec_lo, s7
; %bb.270:                              ;   in Loop: Header=BB203_31 Depth=1
	v_bfe_u32 v12, v0, 16, 1
	s_delay_alu instid0(VALU_DEP_1)
	v_add3_u32 v75, v0, v12, 0x7fff
                                        ; implicit-def: $vgpr0
; %bb.271:                              ;   in Loop: Header=BB203_31 Depth=1
	s_and_not1_saveexec_b32 s7, s0
; %bb.272:                              ;   in Loop: Header=BB203_31 Depth=1
	v_and_b32_e32 v12, 0xffff, v0
	v_or_b32_e32 v13, 0x10000, v0
	s_delay_alu instid0(VALU_DEP_2) | instskip(NEXT) | instid1(VALU_DEP_1)
	v_cmp_eq_u32_e64 s0, 0, v12
	v_cndmask_b32_e64 v75, v13, v0, s0
; %bb.273:                              ;   in Loop: Header=BB203_31 Depth=1
	s_or_b32 exec_lo, exec_lo, s7
	v_lshlrev_b32_e32 v0, 16, v9
                                        ; implicit-def: $vgpr76
	s_delay_alu instid0(VALU_DEP_1) | instskip(NEXT) | instid1(VALU_DEP_1)
	v_mul_f32_e32 v0, v183, v0
	v_and_b32_e32 v9, 0x7f800000, v0
	s_delay_alu instid0(VALU_DEP_1) | instskip(NEXT) | instid1(VALU_DEP_1)
	v_cmp_ne_u32_e64 s0, 0x7f800000, v9
	s_and_saveexec_b32 s7, s0
	s_delay_alu instid0(SALU_CYCLE_1)
	s_xor_b32 s0, exec_lo, s7
; %bb.274:                              ;   in Loop: Header=BB203_31 Depth=1
	v_bfe_u32 v9, v0, 16, 1
	s_delay_alu instid0(VALU_DEP_1)
	v_add3_u32 v76, v0, v9, 0x7fff
                                        ; implicit-def: $vgpr0
; %bb.275:                              ;   in Loop: Header=BB203_31 Depth=1
	s_and_not1_saveexec_b32 s7, s0
; %bb.276:                              ;   in Loop: Header=BB203_31 Depth=1
	v_and_b32_e32 v9, 0xffff, v0
	v_or_b32_e32 v12, 0x10000, v0
	s_delay_alu instid0(VALU_DEP_2) | instskip(NEXT) | instid1(VALU_DEP_1)
	v_cmp_eq_u32_e64 s0, 0, v9
	v_cndmask_b32_e64 v76, v12, v0, s0
; %bb.277:                              ;   in Loop: Header=BB203_31 Depth=1
	s_or_b32 exec_lo, exec_lo, s7
	v_lshlrev_b32_e32 v0, 16, v1
                                        ; implicit-def: $vgpr77
	s_delay_alu instid0(VALU_DEP_1) | instskip(NEXT) | instid1(VALU_DEP_1)
	v_mul_f32_e32 v0, v40, v0
	v_and_b32_e32 v1, 0x7f800000, v0
	s_delay_alu instid0(VALU_DEP_1) | instskip(NEXT) | instid1(VALU_DEP_1)
	v_cmp_ne_u32_e64 s0, 0x7f800000, v1
	s_and_saveexec_b32 s7, s0
	s_delay_alu instid0(SALU_CYCLE_1)
	s_xor_b32 s0, exec_lo, s7
; %bb.278:                              ;   in Loop: Header=BB203_31 Depth=1
	v_bfe_u32 v1, v0, 16, 1
	s_delay_alu instid0(VALU_DEP_1)
	v_add3_u32 v77, v0, v1, 0x7fff
                                        ; implicit-def: $vgpr0
; %bb.279:                              ;   in Loop: Header=BB203_31 Depth=1
	s_and_not1_saveexec_b32 s7, s0
; %bb.280:                              ;   in Loop: Header=BB203_31 Depth=1
	v_and_b32_e32 v1, 0xffff, v0
	v_or_b32_e32 v9, 0x10000, v0
	s_delay_alu instid0(VALU_DEP_2) | instskip(NEXT) | instid1(VALU_DEP_1)
	v_cmp_eq_u32_e64 s0, 0, v1
	v_cndmask_b32_e64 v77, v9, v0, s0
; %bb.281:                              ;   in Loop: Header=BB203_31 Depth=1
	s_or_b32 exec_lo, exec_lo, s7
	v_lshlrev_b32_e32 v0, 16, v8
                                        ; implicit-def: $vgpr78
	s_delay_alu instid0(VALU_DEP_1) | instskip(NEXT) | instid1(VALU_DEP_1)
	v_mul_f32_e32 v0, v41, v0
	v_and_b32_e32 v1, 0x7f800000, v0
	s_delay_alu instid0(VALU_DEP_1) | instskip(NEXT) | instid1(VALU_DEP_1)
	v_cmp_ne_u32_e64 s0, 0x7f800000, v1
	s_and_saveexec_b32 s7, s0
	s_delay_alu instid0(SALU_CYCLE_1)
	s_xor_b32 s0, exec_lo, s7
; %bb.282:                              ;   in Loop: Header=BB203_31 Depth=1
	v_bfe_u32 v1, v0, 16, 1
	s_delay_alu instid0(VALU_DEP_1)
	v_add3_u32 v78, v0, v1, 0x7fff
                                        ; implicit-def: $vgpr0
; %bb.283:                              ;   in Loop: Header=BB203_31 Depth=1
	s_and_not1_saveexec_b32 s7, s0
; %bb.284:                              ;   in Loop: Header=BB203_31 Depth=1
	v_and_b32_e32 v1, 0xffff, v0
	v_or_b32_e32 v8, 0x10000, v0
	s_delay_alu instid0(VALU_DEP_2) | instskip(NEXT) | instid1(VALU_DEP_1)
	v_cmp_eq_u32_e64 s0, 0, v1
	v_cndmask_b32_e64 v78, v8, v0, s0
; %bb.285:                              ;   in Loop: Header=BB203_31 Depth=1
	s_or_b32 exec_lo, exec_lo, s7
	v_lshlrev_b32_e32 v0, 16, v2
                                        ; implicit-def: $vgpr79
	s_delay_alu instid0(VALU_DEP_1) | instskip(NEXT) | instid1(VALU_DEP_1)
	v_mul_f32_e32 v0, v42, v0
	v_and_b32_e32 v1, 0x7f800000, v0
	s_delay_alu instid0(VALU_DEP_1) | instskip(NEXT) | instid1(VALU_DEP_1)
	v_cmp_ne_u32_e64 s0, 0x7f800000, v1
	s_and_saveexec_b32 s7, s0
	s_delay_alu instid0(SALU_CYCLE_1)
	s_xor_b32 s0, exec_lo, s7
; %bb.286:                              ;   in Loop: Header=BB203_31 Depth=1
	v_bfe_u32 v1, v0, 16, 1
	s_delay_alu instid0(VALU_DEP_1)
	v_add3_u32 v79, v0, v1, 0x7fff
                                        ; implicit-def: $vgpr0
; %bb.287:                              ;   in Loop: Header=BB203_31 Depth=1
	s_and_not1_saveexec_b32 s7, s0
; %bb.288:                              ;   in Loop: Header=BB203_31 Depth=1
	v_and_b32_e32 v1, 0xffff, v0
	v_or_b32_e32 v2, 0x10000, v0
	s_delay_alu instid0(VALU_DEP_2) | instskip(NEXT) | instid1(VALU_DEP_1)
	v_cmp_eq_u32_e64 s0, 0, v1
	v_cndmask_b32_e64 v79, v2, v0, s0
; %bb.289:                              ;   in Loop: Header=BB203_31 Depth=1
	s_or_b32 exec_lo, exec_lo, s7
	v_lshlrev_b32_e32 v0, 16, v5
                                        ; implicit-def: $vgpr88
	s_delay_alu instid0(VALU_DEP_1) | instskip(NEXT) | instid1(VALU_DEP_1)
	v_mul_f32_e32 v0, v43, v0
	v_and_b32_e32 v1, 0x7f800000, v0
	s_delay_alu instid0(VALU_DEP_1) | instskip(NEXT) | instid1(VALU_DEP_1)
	v_cmp_ne_u32_e64 s0, 0x7f800000, v1
	s_and_saveexec_b32 s7, s0
	s_delay_alu instid0(SALU_CYCLE_1)
	s_xor_b32 s0, exec_lo, s7
; %bb.290:                              ;   in Loop: Header=BB203_31 Depth=1
	v_bfe_u32 v1, v0, 16, 1
	s_delay_alu instid0(VALU_DEP_1)
	v_add3_u32 v88, v0, v1, 0x7fff
                                        ; implicit-def: $vgpr0
; %bb.291:                              ;   in Loop: Header=BB203_31 Depth=1
	s_and_not1_saveexec_b32 s7, s0
; %bb.292:                              ;   in Loop: Header=BB203_31 Depth=1
	v_and_b32_e32 v1, 0xffff, v0
	v_or_b32_e32 v2, 0x10000, v0
	s_delay_alu instid0(VALU_DEP_2) | instskip(NEXT) | instid1(VALU_DEP_1)
	v_cmp_eq_u32_e64 s0, 0, v1
	v_cndmask_b32_e64 v88, v2, v0, s0
; %bb.293:                              ;   in Loop: Header=BB203_31 Depth=1
	s_or_b32 exec_lo, exec_lo, s7
	v_lshlrev_b32_e32 v0, 16, v3
                                        ; implicit-def: $vgpr89
	s_delay_alu instid0(VALU_DEP_1) | instskip(NEXT) | instid1(VALU_DEP_1)
	v_mul_f32_e32 v0, v44, v0
	v_and_b32_e32 v1, 0x7f800000, v0
	s_delay_alu instid0(VALU_DEP_1) | instskip(NEXT) | instid1(VALU_DEP_1)
	v_cmp_ne_u32_e64 s0, 0x7f800000, v1
	s_and_saveexec_b32 s7, s0
	s_delay_alu instid0(SALU_CYCLE_1)
	s_xor_b32 s0, exec_lo, s7
; %bb.294:                              ;   in Loop: Header=BB203_31 Depth=1
	v_bfe_u32 v1, v0, 16, 1
	s_delay_alu instid0(VALU_DEP_1)
	v_add3_u32 v89, v0, v1, 0x7fff
                                        ; implicit-def: $vgpr0
; %bb.295:                              ;   in Loop: Header=BB203_31 Depth=1
	s_and_not1_saveexec_b32 s7, s0
; %bb.296:                              ;   in Loop: Header=BB203_31 Depth=1
	v_and_b32_e32 v1, 0xffff, v0
	v_or_b32_e32 v2, 0x10000, v0
	s_delay_alu instid0(VALU_DEP_2) | instskip(NEXT) | instid1(VALU_DEP_1)
	v_cmp_eq_u32_e64 s0, 0, v1
	v_cndmask_b32_e64 v89, v2, v0, s0
; %bb.297:                              ;   in Loop: Header=BB203_31 Depth=1
	s_or_b32 exec_lo, exec_lo, s7
	v_lshlrev_b32_e32 v0, 16, v4
                                        ; implicit-def: $vgpr90
	s_delay_alu instid0(VALU_DEP_1) | instskip(NEXT) | instid1(VALU_DEP_1)
	v_mul_f32_e32 v0, v45, v0
	v_and_b32_e32 v1, 0x7f800000, v0
	s_delay_alu instid0(VALU_DEP_1) | instskip(NEXT) | instid1(VALU_DEP_1)
	v_cmp_ne_u32_e64 s0, 0x7f800000, v1
	s_and_saveexec_b32 s7, s0
	s_delay_alu instid0(SALU_CYCLE_1)
	s_xor_b32 s0, exec_lo, s7
; %bb.298:                              ;   in Loop: Header=BB203_31 Depth=1
	v_bfe_u32 v1, v0, 16, 1
	s_delay_alu instid0(VALU_DEP_1)
	v_add3_u32 v90, v0, v1, 0x7fff
                                        ; implicit-def: $vgpr0
; %bb.299:                              ;   in Loop: Header=BB203_31 Depth=1
	s_and_not1_saveexec_b32 s7, s0
; %bb.300:                              ;   in Loop: Header=BB203_31 Depth=1
	v_and_b32_e32 v1, 0xffff, v0
	v_or_b32_e32 v2, 0x10000, v0
	s_delay_alu instid0(VALU_DEP_2) | instskip(NEXT) | instid1(VALU_DEP_1)
	v_cmp_eq_u32_e64 s0, 0, v1
	v_cndmask_b32_e64 v90, v2, v0, s0
; %bb.301:                              ;   in Loop: Header=BB203_31 Depth=1
	s_or_b32 exec_lo, exec_lo, s7
	flat_load_b128 v[0:3], v[6:7] offset:3584
	s_waitcnt vmcnt(0) lgkmcnt(0)
	v_lshrrev_b32_e32 v7, 16, v0
	v_lshrrev_b32_e32 v8, 16, v1
	;; [unrolled: 1-line block ×4, first 2 shown]
	s_and_saveexec_b32 s7, vcc_lo
	s_cbranch_execz .LBB203_303
; %bb.302:                              ;   in Loop: Header=BB203_31 Depth=1
	v_cmp_lt_i32_e64 s0, v165, v87
	s_delay_alu instid0(VALU_DEP_1) | instskip(SKIP_1) | instid1(VALU_DEP_1)
	v_cndmask_b32_e64 v0, 0, v0, s0
	v_cmp_lt_i32_e64 s0, v179, v87
	v_cndmask_b32_e64 v7, 0, v7, s0
	v_cmp_lt_i32_e64 s0, v178, v87
	s_delay_alu instid0(VALU_DEP_1) | instskip(SKIP_1) | instid1(VALU_DEP_1)
	v_cndmask_b32_e64 v1, 0, v1, s0
	v_cmp_lt_i32_e64 s0, v177, v87
	v_cndmask_b32_e64 v8, 0, v8, s0
	;; [unrolled: 5-line block ×4, first 2 shown]
.LBB203_303:                            ;   in Loop: Header=BB203_31 Depth=1
	s_or_b32 exec_lo, exec_lo, s7
	v_lshlrev_b32_e32 v0, 16, v0
	s_delay_alu instid0(VALU_DEP_1) | instskip(NEXT) | instid1(VALU_DEP_1)
	v_mul_f32_e32 v0, v182, v0
	v_and_b32_e32 v6, 0x7f800000, v0
	s_delay_alu instid0(VALU_DEP_1) | instskip(NEXT) | instid1(VALU_DEP_1)
	v_cmp_ne_u32_e64 s0, 0x7f800000, v6
                                        ; implicit-def: $vgpr6
	s_and_saveexec_b32 s7, s0
	s_delay_alu instid0(SALU_CYCLE_1)
	s_xor_b32 s0, exec_lo, s7
; %bb.304:                              ;   in Loop: Header=BB203_31 Depth=1
	v_bfe_u32 v6, v0, 16, 1
	s_delay_alu instid0(VALU_DEP_1)
	v_add3_u32 v6, v0, v6, 0x7fff
                                        ; implicit-def: $vgpr0
; %bb.305:                              ;   in Loop: Header=BB203_31 Depth=1
	s_and_not1_saveexec_b32 s7, s0
; %bb.306:                              ;   in Loop: Header=BB203_31 Depth=1
	v_and_b32_e32 v6, 0xffff, v0
	v_or_b32_e32 v9, 0x10000, v0
	s_delay_alu instid0(VALU_DEP_2) | instskip(NEXT) | instid1(VALU_DEP_1)
	v_cmp_eq_u32_e64 s0, 0, v6
	v_cndmask_b32_e64 v6, v9, v0, s0
; %bb.307:                              ;   in Loop: Header=BB203_31 Depth=1
	s_or_b32 exec_lo, exec_lo, s7
	v_lshlrev_b32_e32 v0, 16, v7
	s_delay_alu instid0(VALU_DEP_1) | instskip(NEXT) | instid1(VALU_DEP_1)
	v_mul_f32_e32 v0, v183, v0
	v_and_b32_e32 v7, 0x7f800000, v0
	s_delay_alu instid0(VALU_DEP_1) | instskip(NEXT) | instid1(VALU_DEP_1)
	v_cmp_ne_u32_e64 s0, 0x7f800000, v7
                                        ; implicit-def: $vgpr7
	s_and_saveexec_b32 s7, s0
	s_delay_alu instid0(SALU_CYCLE_1)
	s_xor_b32 s0, exec_lo, s7
; %bb.308:                              ;   in Loop: Header=BB203_31 Depth=1
	v_bfe_u32 v7, v0, 16, 1
	s_delay_alu instid0(VALU_DEP_1)
	v_add3_u32 v7, v0, v7, 0x7fff
                                        ; implicit-def: $vgpr0
; %bb.309:                              ;   in Loop: Header=BB203_31 Depth=1
	s_and_not1_saveexec_b32 s7, s0
; %bb.310:                              ;   in Loop: Header=BB203_31 Depth=1
	v_and_b32_e32 v7, 0xffff, v0
	v_or_b32_e32 v9, 0x10000, v0
	s_delay_alu instid0(VALU_DEP_2) | instskip(NEXT) | instid1(VALU_DEP_1)
	v_cmp_eq_u32_e64 s0, 0, v7
	v_cndmask_b32_e64 v7, v9, v0, s0
; %bb.311:                              ;   in Loop: Header=BB203_31 Depth=1
	s_or_b32 exec_lo, exec_lo, s7
	v_lshlrev_b32_e32 v0, 16, v1
                                        ; implicit-def: $vgpr91
	s_delay_alu instid0(VALU_DEP_1) | instskip(NEXT) | instid1(VALU_DEP_1)
	v_mul_f32_e32 v0, v40, v0
	v_and_b32_e32 v1, 0x7f800000, v0
	s_delay_alu instid0(VALU_DEP_1) | instskip(NEXT) | instid1(VALU_DEP_1)
	v_cmp_ne_u32_e64 s0, 0x7f800000, v1
	s_and_saveexec_b32 s7, s0
	s_delay_alu instid0(SALU_CYCLE_1)
	s_xor_b32 s0, exec_lo, s7
; %bb.312:                              ;   in Loop: Header=BB203_31 Depth=1
	v_bfe_u32 v1, v0, 16, 1
	s_delay_alu instid0(VALU_DEP_1)
	v_add3_u32 v91, v0, v1, 0x7fff
                                        ; implicit-def: $vgpr0
; %bb.313:                              ;   in Loop: Header=BB203_31 Depth=1
	s_and_not1_saveexec_b32 s7, s0
; %bb.314:                              ;   in Loop: Header=BB203_31 Depth=1
	v_and_b32_e32 v1, 0xffff, v0
	v_or_b32_e32 v9, 0x10000, v0
	s_delay_alu instid0(VALU_DEP_2) | instskip(NEXT) | instid1(VALU_DEP_1)
	v_cmp_eq_u32_e64 s0, 0, v1
	v_cndmask_b32_e64 v91, v9, v0, s0
; %bb.315:                              ;   in Loop: Header=BB203_31 Depth=1
	s_or_b32 exec_lo, exec_lo, s7
	v_lshlrev_b32_e32 v0, 16, v8
                                        ; implicit-def: $vgpr92
	s_delay_alu instid0(VALU_DEP_1) | instskip(NEXT) | instid1(VALU_DEP_1)
	v_mul_f32_e32 v0, v41, v0
	v_and_b32_e32 v1, 0x7f800000, v0
	s_delay_alu instid0(VALU_DEP_1) | instskip(NEXT) | instid1(VALU_DEP_1)
	v_cmp_ne_u32_e64 s0, 0x7f800000, v1
	s_and_saveexec_b32 s7, s0
	s_delay_alu instid0(SALU_CYCLE_1)
	s_xor_b32 s0, exec_lo, s7
; %bb.316:                              ;   in Loop: Header=BB203_31 Depth=1
	v_bfe_u32 v1, v0, 16, 1
	s_delay_alu instid0(VALU_DEP_1)
	v_add3_u32 v92, v0, v1, 0x7fff
                                        ; implicit-def: $vgpr0
; %bb.317:                              ;   in Loop: Header=BB203_31 Depth=1
	s_and_not1_saveexec_b32 s7, s0
; %bb.318:                              ;   in Loop: Header=BB203_31 Depth=1
	v_and_b32_e32 v1, 0xffff, v0
	v_or_b32_e32 v8, 0x10000, v0
	s_delay_alu instid0(VALU_DEP_2) | instskip(NEXT) | instid1(VALU_DEP_1)
	v_cmp_eq_u32_e64 s0, 0, v1
	v_cndmask_b32_e64 v92, v8, v0, s0
; %bb.319:                              ;   in Loop: Header=BB203_31 Depth=1
	s_or_b32 exec_lo, exec_lo, s7
	v_lshlrev_b32_e32 v0, 16, v2
                                        ; implicit-def: $vgpr93
	s_delay_alu instid0(VALU_DEP_1) | instskip(NEXT) | instid1(VALU_DEP_1)
	v_mul_f32_e32 v0, v42, v0
	v_and_b32_e32 v1, 0x7f800000, v0
	s_delay_alu instid0(VALU_DEP_1) | instskip(NEXT) | instid1(VALU_DEP_1)
	v_cmp_ne_u32_e64 s0, 0x7f800000, v1
	s_and_saveexec_b32 s7, s0
	s_delay_alu instid0(SALU_CYCLE_1)
	s_xor_b32 s0, exec_lo, s7
; %bb.320:                              ;   in Loop: Header=BB203_31 Depth=1
	v_bfe_u32 v1, v0, 16, 1
	s_delay_alu instid0(VALU_DEP_1)
	v_add3_u32 v93, v0, v1, 0x7fff
                                        ; implicit-def: $vgpr0
; %bb.321:                              ;   in Loop: Header=BB203_31 Depth=1
	s_and_not1_saveexec_b32 s7, s0
; %bb.322:                              ;   in Loop: Header=BB203_31 Depth=1
	v_and_b32_e32 v1, 0xffff, v0
	v_or_b32_e32 v2, 0x10000, v0
	s_delay_alu instid0(VALU_DEP_2) | instskip(NEXT) | instid1(VALU_DEP_1)
	v_cmp_eq_u32_e64 s0, 0, v1
	v_cndmask_b32_e64 v93, v2, v0, s0
; %bb.323:                              ;   in Loop: Header=BB203_31 Depth=1
	s_or_b32 exec_lo, exec_lo, s7
	v_lshlrev_b32_e32 v0, 16, v5
                                        ; implicit-def: $vgpr94
	s_delay_alu instid0(VALU_DEP_1) | instskip(NEXT) | instid1(VALU_DEP_1)
	v_mul_f32_e32 v0, v43, v0
	v_and_b32_e32 v1, 0x7f800000, v0
	s_delay_alu instid0(VALU_DEP_1) | instskip(NEXT) | instid1(VALU_DEP_1)
	v_cmp_ne_u32_e64 s0, 0x7f800000, v1
	s_and_saveexec_b32 s7, s0
	s_delay_alu instid0(SALU_CYCLE_1)
	s_xor_b32 s0, exec_lo, s7
; %bb.324:                              ;   in Loop: Header=BB203_31 Depth=1
	v_bfe_u32 v1, v0, 16, 1
	s_delay_alu instid0(VALU_DEP_1)
	v_add3_u32 v94, v0, v1, 0x7fff
                                        ; implicit-def: $vgpr0
; %bb.325:                              ;   in Loop: Header=BB203_31 Depth=1
	s_and_not1_saveexec_b32 s7, s0
; %bb.326:                              ;   in Loop: Header=BB203_31 Depth=1
	v_and_b32_e32 v1, 0xffff, v0
	v_or_b32_e32 v2, 0x10000, v0
	s_delay_alu instid0(VALU_DEP_2) | instskip(NEXT) | instid1(VALU_DEP_1)
	v_cmp_eq_u32_e64 s0, 0, v1
	v_cndmask_b32_e64 v94, v2, v0, s0
; %bb.327:                              ;   in Loop: Header=BB203_31 Depth=1
	s_or_b32 exec_lo, exec_lo, s7
	v_lshlrev_b32_e32 v0, 16, v3
                                        ; implicit-def: $vgpr95
	s_delay_alu instid0(VALU_DEP_1) | instskip(NEXT) | instid1(VALU_DEP_1)
	v_mul_f32_e32 v0, v44, v0
	v_and_b32_e32 v1, 0x7f800000, v0
	s_delay_alu instid0(VALU_DEP_1) | instskip(NEXT) | instid1(VALU_DEP_1)
	v_cmp_ne_u32_e64 s0, 0x7f800000, v1
	s_and_saveexec_b32 s7, s0
	s_delay_alu instid0(SALU_CYCLE_1)
	s_xor_b32 s0, exec_lo, s7
; %bb.328:                              ;   in Loop: Header=BB203_31 Depth=1
	v_bfe_u32 v1, v0, 16, 1
	s_delay_alu instid0(VALU_DEP_1)
	v_add3_u32 v95, v0, v1, 0x7fff
                                        ; implicit-def: $vgpr0
; %bb.329:                              ;   in Loop: Header=BB203_31 Depth=1
	s_and_not1_saveexec_b32 s7, s0
; %bb.330:                              ;   in Loop: Header=BB203_31 Depth=1
	v_and_b32_e32 v1, 0xffff, v0
	v_or_b32_e32 v2, 0x10000, v0
	s_delay_alu instid0(VALU_DEP_2) | instskip(NEXT) | instid1(VALU_DEP_1)
	v_cmp_eq_u32_e64 s0, 0, v1
	v_cndmask_b32_e64 v95, v2, v0, s0
; %bb.331:                              ;   in Loop: Header=BB203_31 Depth=1
	s_or_b32 exec_lo, exec_lo, s7
	v_lshlrev_b32_e32 v0, 16, v4
                                        ; implicit-def: $vgpr104
	s_delay_alu instid0(VALU_DEP_1) | instskip(NEXT) | instid1(VALU_DEP_1)
	v_mul_f32_e32 v0, v45, v0
	v_and_b32_e32 v1, 0x7f800000, v0
	s_delay_alu instid0(VALU_DEP_1) | instskip(NEXT) | instid1(VALU_DEP_1)
	v_cmp_ne_u32_e64 s0, 0x7f800000, v1
	s_and_saveexec_b32 s7, s0
	s_delay_alu instid0(SALU_CYCLE_1)
	s_xor_b32 s0, exec_lo, s7
; %bb.332:                              ;   in Loop: Header=BB203_31 Depth=1
	v_bfe_u32 v1, v0, 16, 1
	s_delay_alu instid0(VALU_DEP_1)
	v_add3_u32 v104, v0, v1, 0x7fff
                                        ; implicit-def: $vgpr0
; %bb.333:                              ;   in Loop: Header=BB203_31 Depth=1
	s_and_not1_saveexec_b32 s7, s0
; %bb.334:                              ;   in Loop: Header=BB203_31 Depth=1
	v_and_b32_e32 v1, 0xffff, v0
	v_or_b32_e32 v2, 0x10000, v0
	s_delay_alu instid0(VALU_DEP_2) | instskip(NEXT) | instid1(VALU_DEP_1)
	v_cmp_eq_u32_e64 s0, 0, v1
	v_cndmask_b32_e64 v104, v2, v0, s0
; %bb.335:                              ;   in Loop: Header=BB203_31 Depth=1
	s_or_b32 exec_lo, exec_lo, s7
	scratch_load_b32 v0, off, s32 offset:524 ; 4-byte Folded Reload
	s_waitcnt vmcnt(0)
	v_add_co_u32 v0, s0, v180, v0
	s_delay_alu instid0(VALU_DEP_1)
	v_add_co_ci_u32_e64 v1, s0, 0, v181, s0
	flat_load_b128 v[0:3], v[0:1]
	s_waitcnt vmcnt(0) lgkmcnt(0)
	v_lshrrev_b32_e32 v9, 16, v0
	v_lshrrev_b32_e32 v8, 16, v1
	;; [unrolled: 1-line block ×4, first 2 shown]
	s_and_saveexec_b32 s7, vcc_lo
	s_cbranch_execz .LBB203_337
; %bb.336:                              ;   in Loop: Header=BB203_31 Depth=1
	v_cmp_lt_i32_e64 s0, v165, v87
	s_delay_alu instid0(VALU_DEP_1) | instskip(SKIP_1) | instid1(VALU_DEP_1)
	v_cndmask_b32_e64 v0, 0, v0, s0
	v_cmp_lt_i32_e64 s0, v179, v87
	v_cndmask_b32_e64 v9, 0, v9, s0
	v_cmp_lt_i32_e64 s0, v178, v87
	s_delay_alu instid0(VALU_DEP_1) | instskip(SKIP_1) | instid1(VALU_DEP_1)
	v_cndmask_b32_e64 v1, 0, v1, s0
	v_cmp_lt_i32_e64 s0, v177, v87
	v_cndmask_b32_e64 v8, 0, v8, s0
	;; [unrolled: 5-line block ×4, first 2 shown]
.LBB203_337:                            ;   in Loop: Header=BB203_31 Depth=1
	s_or_b32 exec_lo, exec_lo, s7
	v_lshlrev_b32_e32 v0, 16, v0
                                        ; implicit-def: $vgpr105
	s_delay_alu instid0(VALU_DEP_1) | instskip(NEXT) | instid1(VALU_DEP_1)
	v_mul_f32_e32 v0, v182, v0
	v_and_b32_e32 v12, 0x7f800000, v0
	s_delay_alu instid0(VALU_DEP_1) | instskip(NEXT) | instid1(VALU_DEP_1)
	v_cmp_ne_u32_e64 s0, 0x7f800000, v12
	s_and_saveexec_b32 s7, s0
	s_delay_alu instid0(SALU_CYCLE_1)
	s_xor_b32 s0, exec_lo, s7
; %bb.338:                              ;   in Loop: Header=BB203_31 Depth=1
	v_bfe_u32 v12, v0, 16, 1
	s_delay_alu instid0(VALU_DEP_1)
	v_add3_u32 v105, v0, v12, 0x7fff
                                        ; implicit-def: $vgpr0
; %bb.339:                              ;   in Loop: Header=BB203_31 Depth=1
	s_and_not1_saveexec_b32 s7, s0
; %bb.340:                              ;   in Loop: Header=BB203_31 Depth=1
	v_and_b32_e32 v12, 0xffff, v0
	v_or_b32_e32 v13, 0x10000, v0
	s_delay_alu instid0(VALU_DEP_2) | instskip(NEXT) | instid1(VALU_DEP_1)
	v_cmp_eq_u32_e64 s0, 0, v12
	v_cndmask_b32_e64 v105, v13, v0, s0
; %bb.341:                              ;   in Loop: Header=BB203_31 Depth=1
	s_or_b32 exec_lo, exec_lo, s7
	v_lshlrev_b32_e32 v0, 16, v9
                                        ; implicit-def: $vgpr106
	s_delay_alu instid0(VALU_DEP_1) | instskip(NEXT) | instid1(VALU_DEP_1)
	v_mul_f32_e32 v0, v183, v0
	v_and_b32_e32 v9, 0x7f800000, v0
	s_delay_alu instid0(VALU_DEP_1) | instskip(NEXT) | instid1(VALU_DEP_1)
	v_cmp_ne_u32_e64 s0, 0x7f800000, v9
	s_and_saveexec_b32 s7, s0
	s_delay_alu instid0(SALU_CYCLE_1)
	s_xor_b32 s0, exec_lo, s7
; %bb.342:                              ;   in Loop: Header=BB203_31 Depth=1
	v_bfe_u32 v9, v0, 16, 1
	s_delay_alu instid0(VALU_DEP_1)
	v_add3_u32 v106, v0, v9, 0x7fff
                                        ; implicit-def: $vgpr0
; %bb.343:                              ;   in Loop: Header=BB203_31 Depth=1
	s_and_not1_saveexec_b32 s7, s0
; %bb.344:                              ;   in Loop: Header=BB203_31 Depth=1
	v_and_b32_e32 v9, 0xffff, v0
	v_or_b32_e32 v12, 0x10000, v0
	s_delay_alu instid0(VALU_DEP_2) | instskip(NEXT) | instid1(VALU_DEP_1)
	v_cmp_eq_u32_e64 s0, 0, v9
	v_cndmask_b32_e64 v106, v12, v0, s0
; %bb.345:                              ;   in Loop: Header=BB203_31 Depth=1
	s_or_b32 exec_lo, exec_lo, s7
	v_lshlrev_b32_e32 v0, 16, v1
                                        ; implicit-def: $vgpr107
	s_delay_alu instid0(VALU_DEP_1) | instskip(NEXT) | instid1(VALU_DEP_1)
	v_mul_f32_e32 v0, v40, v0
	v_and_b32_e32 v1, 0x7f800000, v0
	s_delay_alu instid0(VALU_DEP_1) | instskip(NEXT) | instid1(VALU_DEP_1)
	v_cmp_ne_u32_e64 s0, 0x7f800000, v1
	s_and_saveexec_b32 s7, s0
	s_delay_alu instid0(SALU_CYCLE_1)
	s_xor_b32 s0, exec_lo, s7
; %bb.346:                              ;   in Loop: Header=BB203_31 Depth=1
	v_bfe_u32 v1, v0, 16, 1
	s_delay_alu instid0(VALU_DEP_1)
	v_add3_u32 v107, v0, v1, 0x7fff
                                        ; implicit-def: $vgpr0
; %bb.347:                              ;   in Loop: Header=BB203_31 Depth=1
	s_and_not1_saveexec_b32 s7, s0
; %bb.348:                              ;   in Loop: Header=BB203_31 Depth=1
	v_and_b32_e32 v1, 0xffff, v0
	v_or_b32_e32 v9, 0x10000, v0
	s_delay_alu instid0(VALU_DEP_2) | instskip(NEXT) | instid1(VALU_DEP_1)
	v_cmp_eq_u32_e64 s0, 0, v1
	v_cndmask_b32_e64 v107, v9, v0, s0
; %bb.349:                              ;   in Loop: Header=BB203_31 Depth=1
	s_or_b32 exec_lo, exec_lo, s7
	v_lshlrev_b32_e32 v0, 16, v8
                                        ; implicit-def: $vgpr108
	s_delay_alu instid0(VALU_DEP_1) | instskip(NEXT) | instid1(VALU_DEP_1)
	v_mul_f32_e32 v0, v41, v0
	v_and_b32_e32 v1, 0x7f800000, v0
	s_delay_alu instid0(VALU_DEP_1) | instskip(NEXT) | instid1(VALU_DEP_1)
	v_cmp_ne_u32_e64 s0, 0x7f800000, v1
	s_and_saveexec_b32 s7, s0
	s_delay_alu instid0(SALU_CYCLE_1)
	s_xor_b32 s0, exec_lo, s7
; %bb.350:                              ;   in Loop: Header=BB203_31 Depth=1
	v_bfe_u32 v1, v0, 16, 1
	s_delay_alu instid0(VALU_DEP_1)
	v_add3_u32 v108, v0, v1, 0x7fff
                                        ; implicit-def: $vgpr0
; %bb.351:                              ;   in Loop: Header=BB203_31 Depth=1
	s_and_not1_saveexec_b32 s7, s0
; %bb.352:                              ;   in Loop: Header=BB203_31 Depth=1
	v_and_b32_e32 v1, 0xffff, v0
	v_or_b32_e32 v8, 0x10000, v0
	s_delay_alu instid0(VALU_DEP_2) | instskip(NEXT) | instid1(VALU_DEP_1)
	v_cmp_eq_u32_e64 s0, 0, v1
	v_cndmask_b32_e64 v108, v8, v0, s0
; %bb.353:                              ;   in Loop: Header=BB203_31 Depth=1
	s_or_b32 exec_lo, exec_lo, s7
	v_lshlrev_b32_e32 v0, 16, v2
                                        ; implicit-def: $vgpr109
	s_delay_alu instid0(VALU_DEP_1) | instskip(NEXT) | instid1(VALU_DEP_1)
	v_mul_f32_e32 v0, v42, v0
	v_and_b32_e32 v1, 0x7f800000, v0
	s_delay_alu instid0(VALU_DEP_1) | instskip(NEXT) | instid1(VALU_DEP_1)
	v_cmp_ne_u32_e64 s0, 0x7f800000, v1
	s_and_saveexec_b32 s7, s0
	s_delay_alu instid0(SALU_CYCLE_1)
	s_xor_b32 s0, exec_lo, s7
; %bb.354:                              ;   in Loop: Header=BB203_31 Depth=1
	v_bfe_u32 v1, v0, 16, 1
	s_delay_alu instid0(VALU_DEP_1)
	v_add3_u32 v109, v0, v1, 0x7fff
                                        ; implicit-def: $vgpr0
; %bb.355:                              ;   in Loop: Header=BB203_31 Depth=1
	s_and_not1_saveexec_b32 s7, s0
; %bb.356:                              ;   in Loop: Header=BB203_31 Depth=1
	v_and_b32_e32 v1, 0xffff, v0
	v_or_b32_e32 v2, 0x10000, v0
	s_delay_alu instid0(VALU_DEP_2) | instskip(NEXT) | instid1(VALU_DEP_1)
	v_cmp_eq_u32_e64 s0, 0, v1
	v_cndmask_b32_e64 v109, v2, v0, s0
; %bb.357:                              ;   in Loop: Header=BB203_31 Depth=1
	s_or_b32 exec_lo, exec_lo, s7
	v_lshlrev_b32_e32 v0, 16, v5
                                        ; implicit-def: $vgpr110
	s_delay_alu instid0(VALU_DEP_1) | instskip(NEXT) | instid1(VALU_DEP_1)
	v_mul_f32_e32 v0, v43, v0
	v_and_b32_e32 v1, 0x7f800000, v0
	s_delay_alu instid0(VALU_DEP_1) | instskip(NEXT) | instid1(VALU_DEP_1)
	v_cmp_ne_u32_e64 s0, 0x7f800000, v1
	s_and_saveexec_b32 s7, s0
	s_delay_alu instid0(SALU_CYCLE_1)
	s_xor_b32 s0, exec_lo, s7
; %bb.358:                              ;   in Loop: Header=BB203_31 Depth=1
	v_bfe_u32 v1, v0, 16, 1
	s_delay_alu instid0(VALU_DEP_1)
	v_add3_u32 v110, v0, v1, 0x7fff
                                        ; implicit-def: $vgpr0
; %bb.359:                              ;   in Loop: Header=BB203_31 Depth=1
	s_and_not1_saveexec_b32 s7, s0
; %bb.360:                              ;   in Loop: Header=BB203_31 Depth=1
	v_and_b32_e32 v1, 0xffff, v0
	v_or_b32_e32 v2, 0x10000, v0
	s_delay_alu instid0(VALU_DEP_2) | instskip(NEXT) | instid1(VALU_DEP_1)
	v_cmp_eq_u32_e64 s0, 0, v1
	v_cndmask_b32_e64 v110, v2, v0, s0
; %bb.361:                              ;   in Loop: Header=BB203_31 Depth=1
	s_or_b32 exec_lo, exec_lo, s7
	v_lshlrev_b32_e32 v0, 16, v3
                                        ; implicit-def: $vgpr111
	s_delay_alu instid0(VALU_DEP_1) | instskip(NEXT) | instid1(VALU_DEP_1)
	v_mul_f32_e32 v0, v44, v0
	v_and_b32_e32 v1, 0x7f800000, v0
	s_delay_alu instid0(VALU_DEP_1) | instskip(NEXT) | instid1(VALU_DEP_1)
	v_cmp_ne_u32_e64 s0, 0x7f800000, v1
	s_and_saveexec_b32 s7, s0
	s_delay_alu instid0(SALU_CYCLE_1)
	s_xor_b32 s0, exec_lo, s7
; %bb.362:                              ;   in Loop: Header=BB203_31 Depth=1
	v_bfe_u32 v1, v0, 16, 1
	s_delay_alu instid0(VALU_DEP_1)
	v_add3_u32 v111, v0, v1, 0x7fff
                                        ; implicit-def: $vgpr0
; %bb.363:                              ;   in Loop: Header=BB203_31 Depth=1
	s_and_not1_saveexec_b32 s7, s0
; %bb.364:                              ;   in Loop: Header=BB203_31 Depth=1
	v_and_b32_e32 v1, 0xffff, v0
	v_or_b32_e32 v2, 0x10000, v0
	s_delay_alu instid0(VALU_DEP_2) | instskip(NEXT) | instid1(VALU_DEP_1)
	v_cmp_eq_u32_e64 s0, 0, v1
	v_cndmask_b32_e64 v111, v2, v0, s0
; %bb.365:                              ;   in Loop: Header=BB203_31 Depth=1
	s_or_b32 exec_lo, exec_lo, s7
	v_lshlrev_b32_e32 v0, 16, v4
                                        ; implicit-def: $vgpr120
	s_delay_alu instid0(VALU_DEP_1) | instskip(NEXT) | instid1(VALU_DEP_1)
	v_mul_f32_e32 v0, v45, v0
	v_and_b32_e32 v1, 0x7f800000, v0
	s_delay_alu instid0(VALU_DEP_1) | instskip(NEXT) | instid1(VALU_DEP_1)
	v_cmp_ne_u32_e64 s0, 0x7f800000, v1
	s_and_saveexec_b32 s7, s0
	s_delay_alu instid0(SALU_CYCLE_1)
	s_xor_b32 s0, exec_lo, s7
; %bb.366:                              ;   in Loop: Header=BB203_31 Depth=1
	v_bfe_u32 v1, v0, 16, 1
	s_delay_alu instid0(VALU_DEP_1)
	v_add3_u32 v120, v0, v1, 0x7fff
                                        ; implicit-def: $vgpr0
; %bb.367:                              ;   in Loop: Header=BB203_31 Depth=1
	s_and_not1_saveexec_b32 s7, s0
; %bb.368:                              ;   in Loop: Header=BB203_31 Depth=1
	v_and_b32_e32 v1, 0xffff, v0
	v_or_b32_e32 v2, 0x10000, v0
	s_delay_alu instid0(VALU_DEP_2) | instskip(NEXT) | instid1(VALU_DEP_1)
	v_cmp_eq_u32_e64 s0, 0, v1
	v_cndmask_b32_e64 v120, v2, v0, s0
; %bb.369:                              ;   in Loop: Header=BB203_31 Depth=1
	s_or_b32 exec_lo, exec_lo, s7
	scratch_load_b32 v0, off, s32 offset:528 ; 4-byte Folded Reload
	s_waitcnt vmcnt(0)
	v_add_co_u32 v0, s0, v180, v0
	s_delay_alu instid0(VALU_DEP_1)
	v_add_co_ci_u32_e64 v1, s0, 0, v181, s0
	flat_load_b128 v[0:3], v[0:1]
	s_waitcnt vmcnt(0) lgkmcnt(0)
	v_lshrrev_b32_e32 v9, 16, v0
	v_lshrrev_b32_e32 v8, 16, v1
	;; [unrolled: 1-line block ×4, first 2 shown]
	s_and_saveexec_b32 s7, vcc_lo
	s_cbranch_execz .LBB203_371
; %bb.370:                              ;   in Loop: Header=BB203_31 Depth=1
	v_cmp_lt_i32_e64 s0, v165, v87
	s_delay_alu instid0(VALU_DEP_1) | instskip(SKIP_1) | instid1(VALU_DEP_1)
	v_cndmask_b32_e64 v0, 0, v0, s0
	v_cmp_lt_i32_e64 s0, v179, v87
	v_cndmask_b32_e64 v9, 0, v9, s0
	v_cmp_lt_i32_e64 s0, v178, v87
	s_delay_alu instid0(VALU_DEP_1) | instskip(SKIP_1) | instid1(VALU_DEP_1)
	v_cndmask_b32_e64 v1, 0, v1, s0
	v_cmp_lt_i32_e64 s0, v177, v87
	v_cndmask_b32_e64 v8, 0, v8, s0
	;; [unrolled: 5-line block ×4, first 2 shown]
.LBB203_371:                            ;   in Loop: Header=BB203_31 Depth=1
	s_or_b32 exec_lo, exec_lo, s7
	v_lshlrev_b32_e32 v0, 16, v0
                                        ; implicit-def: $vgpr121
	s_delay_alu instid0(VALU_DEP_1) | instskip(NEXT) | instid1(VALU_DEP_1)
	v_mul_f32_e32 v0, v182, v0
	v_and_b32_e32 v12, 0x7f800000, v0
	s_delay_alu instid0(VALU_DEP_1) | instskip(NEXT) | instid1(VALU_DEP_1)
	v_cmp_ne_u32_e64 s0, 0x7f800000, v12
	s_and_saveexec_b32 s7, s0
	s_delay_alu instid0(SALU_CYCLE_1)
	s_xor_b32 s0, exec_lo, s7
; %bb.372:                              ;   in Loop: Header=BB203_31 Depth=1
	v_bfe_u32 v12, v0, 16, 1
	s_delay_alu instid0(VALU_DEP_1)
	v_add3_u32 v121, v0, v12, 0x7fff
                                        ; implicit-def: $vgpr0
; %bb.373:                              ;   in Loop: Header=BB203_31 Depth=1
	s_and_not1_saveexec_b32 s7, s0
; %bb.374:                              ;   in Loop: Header=BB203_31 Depth=1
	v_and_b32_e32 v12, 0xffff, v0
	v_or_b32_e32 v13, 0x10000, v0
	s_delay_alu instid0(VALU_DEP_2) | instskip(NEXT) | instid1(VALU_DEP_1)
	v_cmp_eq_u32_e64 s0, 0, v12
	v_cndmask_b32_e64 v121, v13, v0, s0
; %bb.375:                              ;   in Loop: Header=BB203_31 Depth=1
	s_or_b32 exec_lo, exec_lo, s7
	v_lshlrev_b32_e32 v0, 16, v9
                                        ; implicit-def: $vgpr122
	s_delay_alu instid0(VALU_DEP_1) | instskip(NEXT) | instid1(VALU_DEP_1)
	v_mul_f32_e32 v0, v183, v0
	v_and_b32_e32 v9, 0x7f800000, v0
	s_delay_alu instid0(VALU_DEP_1) | instskip(NEXT) | instid1(VALU_DEP_1)
	v_cmp_ne_u32_e64 s0, 0x7f800000, v9
	s_and_saveexec_b32 s7, s0
	s_delay_alu instid0(SALU_CYCLE_1)
	s_xor_b32 s0, exec_lo, s7
; %bb.376:                              ;   in Loop: Header=BB203_31 Depth=1
	v_bfe_u32 v9, v0, 16, 1
	s_delay_alu instid0(VALU_DEP_1)
	v_add3_u32 v122, v0, v9, 0x7fff
                                        ; implicit-def: $vgpr0
; %bb.377:                              ;   in Loop: Header=BB203_31 Depth=1
	s_and_not1_saveexec_b32 s7, s0
; %bb.378:                              ;   in Loop: Header=BB203_31 Depth=1
	v_and_b32_e32 v9, 0xffff, v0
	v_or_b32_e32 v12, 0x10000, v0
	s_delay_alu instid0(VALU_DEP_2) | instskip(NEXT) | instid1(VALU_DEP_1)
	v_cmp_eq_u32_e64 s0, 0, v9
	v_cndmask_b32_e64 v122, v12, v0, s0
; %bb.379:                              ;   in Loop: Header=BB203_31 Depth=1
	s_or_b32 exec_lo, exec_lo, s7
	v_lshlrev_b32_e32 v0, 16, v1
                                        ; implicit-def: $vgpr123
	s_delay_alu instid0(VALU_DEP_1) | instskip(NEXT) | instid1(VALU_DEP_1)
	v_mul_f32_e32 v0, v40, v0
	v_and_b32_e32 v1, 0x7f800000, v0
	s_delay_alu instid0(VALU_DEP_1) | instskip(NEXT) | instid1(VALU_DEP_1)
	v_cmp_ne_u32_e64 s0, 0x7f800000, v1
	s_and_saveexec_b32 s7, s0
	s_delay_alu instid0(SALU_CYCLE_1)
	s_xor_b32 s0, exec_lo, s7
; %bb.380:                              ;   in Loop: Header=BB203_31 Depth=1
	v_bfe_u32 v1, v0, 16, 1
	s_delay_alu instid0(VALU_DEP_1)
	v_add3_u32 v123, v0, v1, 0x7fff
                                        ; implicit-def: $vgpr0
; %bb.381:                              ;   in Loop: Header=BB203_31 Depth=1
	s_and_not1_saveexec_b32 s7, s0
; %bb.382:                              ;   in Loop: Header=BB203_31 Depth=1
	v_and_b32_e32 v1, 0xffff, v0
	v_or_b32_e32 v9, 0x10000, v0
	s_delay_alu instid0(VALU_DEP_2) | instskip(NEXT) | instid1(VALU_DEP_1)
	v_cmp_eq_u32_e64 s0, 0, v1
	v_cndmask_b32_e64 v123, v9, v0, s0
; %bb.383:                              ;   in Loop: Header=BB203_31 Depth=1
	s_or_b32 exec_lo, exec_lo, s7
	v_lshlrev_b32_e32 v0, 16, v8
                                        ; implicit-def: $vgpr124
	s_delay_alu instid0(VALU_DEP_1) | instskip(NEXT) | instid1(VALU_DEP_1)
	v_mul_f32_e32 v0, v41, v0
	v_and_b32_e32 v1, 0x7f800000, v0
	s_delay_alu instid0(VALU_DEP_1) | instskip(NEXT) | instid1(VALU_DEP_1)
	v_cmp_ne_u32_e64 s0, 0x7f800000, v1
	s_and_saveexec_b32 s7, s0
	s_delay_alu instid0(SALU_CYCLE_1)
	s_xor_b32 s0, exec_lo, s7
; %bb.384:                              ;   in Loop: Header=BB203_31 Depth=1
	v_bfe_u32 v1, v0, 16, 1
	s_delay_alu instid0(VALU_DEP_1)
	v_add3_u32 v124, v0, v1, 0x7fff
                                        ; implicit-def: $vgpr0
; %bb.385:                              ;   in Loop: Header=BB203_31 Depth=1
	s_and_not1_saveexec_b32 s7, s0
; %bb.386:                              ;   in Loop: Header=BB203_31 Depth=1
	v_and_b32_e32 v1, 0xffff, v0
	v_or_b32_e32 v8, 0x10000, v0
	s_delay_alu instid0(VALU_DEP_2) | instskip(NEXT) | instid1(VALU_DEP_1)
	v_cmp_eq_u32_e64 s0, 0, v1
	v_cndmask_b32_e64 v124, v8, v0, s0
; %bb.387:                              ;   in Loop: Header=BB203_31 Depth=1
	s_or_b32 exec_lo, exec_lo, s7
	v_lshlrev_b32_e32 v0, 16, v2
                                        ; implicit-def: $vgpr125
	s_delay_alu instid0(VALU_DEP_1) | instskip(NEXT) | instid1(VALU_DEP_1)
	v_mul_f32_e32 v0, v42, v0
	v_and_b32_e32 v1, 0x7f800000, v0
	s_delay_alu instid0(VALU_DEP_1) | instskip(NEXT) | instid1(VALU_DEP_1)
	v_cmp_ne_u32_e64 s0, 0x7f800000, v1
	s_and_saveexec_b32 s7, s0
	s_delay_alu instid0(SALU_CYCLE_1)
	s_xor_b32 s0, exec_lo, s7
; %bb.388:                              ;   in Loop: Header=BB203_31 Depth=1
	v_bfe_u32 v1, v0, 16, 1
	s_delay_alu instid0(VALU_DEP_1)
	v_add3_u32 v125, v0, v1, 0x7fff
                                        ; implicit-def: $vgpr0
; %bb.389:                              ;   in Loop: Header=BB203_31 Depth=1
	s_and_not1_saveexec_b32 s7, s0
; %bb.390:                              ;   in Loop: Header=BB203_31 Depth=1
	v_and_b32_e32 v1, 0xffff, v0
	v_or_b32_e32 v2, 0x10000, v0
	s_delay_alu instid0(VALU_DEP_2) | instskip(NEXT) | instid1(VALU_DEP_1)
	v_cmp_eq_u32_e64 s0, 0, v1
	v_cndmask_b32_e64 v125, v2, v0, s0
; %bb.391:                              ;   in Loop: Header=BB203_31 Depth=1
	s_or_b32 exec_lo, exec_lo, s7
	v_lshlrev_b32_e32 v0, 16, v5
                                        ; implicit-def: $vgpr126
	s_delay_alu instid0(VALU_DEP_1) | instskip(NEXT) | instid1(VALU_DEP_1)
	v_mul_f32_e32 v0, v43, v0
	v_and_b32_e32 v1, 0x7f800000, v0
	s_delay_alu instid0(VALU_DEP_1) | instskip(NEXT) | instid1(VALU_DEP_1)
	v_cmp_ne_u32_e64 s0, 0x7f800000, v1
	s_and_saveexec_b32 s7, s0
	s_delay_alu instid0(SALU_CYCLE_1)
	s_xor_b32 s0, exec_lo, s7
; %bb.392:                              ;   in Loop: Header=BB203_31 Depth=1
	v_bfe_u32 v1, v0, 16, 1
	s_delay_alu instid0(VALU_DEP_1)
	v_add3_u32 v126, v0, v1, 0x7fff
                                        ; implicit-def: $vgpr0
; %bb.393:                              ;   in Loop: Header=BB203_31 Depth=1
	s_and_not1_saveexec_b32 s7, s0
; %bb.394:                              ;   in Loop: Header=BB203_31 Depth=1
	v_and_b32_e32 v1, 0xffff, v0
	v_or_b32_e32 v2, 0x10000, v0
	s_delay_alu instid0(VALU_DEP_2) | instskip(NEXT) | instid1(VALU_DEP_1)
	v_cmp_eq_u32_e64 s0, 0, v1
	v_cndmask_b32_e64 v126, v2, v0, s0
; %bb.395:                              ;   in Loop: Header=BB203_31 Depth=1
	s_or_b32 exec_lo, exec_lo, s7
	v_lshlrev_b32_e32 v0, 16, v3
                                        ; implicit-def: $vgpr127
	s_delay_alu instid0(VALU_DEP_1) | instskip(NEXT) | instid1(VALU_DEP_1)
	v_mul_f32_e32 v0, v44, v0
	v_and_b32_e32 v1, 0x7f800000, v0
	s_delay_alu instid0(VALU_DEP_1) | instskip(NEXT) | instid1(VALU_DEP_1)
	v_cmp_ne_u32_e64 s0, 0x7f800000, v1
	s_and_saveexec_b32 s7, s0
	s_delay_alu instid0(SALU_CYCLE_1)
	s_xor_b32 s0, exec_lo, s7
; %bb.396:                              ;   in Loop: Header=BB203_31 Depth=1
	v_bfe_u32 v1, v0, 16, 1
	s_delay_alu instid0(VALU_DEP_1)
	v_add3_u32 v127, v0, v1, 0x7fff
                                        ; implicit-def: $vgpr0
; %bb.397:                              ;   in Loop: Header=BB203_31 Depth=1
	s_and_not1_saveexec_b32 s7, s0
; %bb.398:                              ;   in Loop: Header=BB203_31 Depth=1
	v_and_b32_e32 v1, 0xffff, v0
	v_or_b32_e32 v2, 0x10000, v0
	s_delay_alu instid0(VALU_DEP_2) | instskip(NEXT) | instid1(VALU_DEP_1)
	v_cmp_eq_u32_e64 s0, 0, v1
	v_cndmask_b32_e64 v127, v2, v0, s0
; %bb.399:                              ;   in Loop: Header=BB203_31 Depth=1
	s_or_b32 exec_lo, exec_lo, s7
	v_lshlrev_b32_e32 v0, 16, v4
                                        ; implicit-def: $vgpr136
	s_delay_alu instid0(VALU_DEP_1) | instskip(NEXT) | instid1(VALU_DEP_1)
	v_mul_f32_e32 v0, v45, v0
	v_and_b32_e32 v1, 0x7f800000, v0
	s_delay_alu instid0(VALU_DEP_1) | instskip(NEXT) | instid1(VALU_DEP_1)
	v_cmp_ne_u32_e64 s0, 0x7f800000, v1
	s_and_saveexec_b32 s7, s0
	s_delay_alu instid0(SALU_CYCLE_1)
	s_xor_b32 s0, exec_lo, s7
; %bb.400:                              ;   in Loop: Header=BB203_31 Depth=1
	v_bfe_u32 v1, v0, 16, 1
	s_delay_alu instid0(VALU_DEP_1)
	v_add3_u32 v136, v0, v1, 0x7fff
                                        ; implicit-def: $vgpr0
; %bb.401:                              ;   in Loop: Header=BB203_31 Depth=1
	s_and_not1_saveexec_b32 s7, s0
; %bb.402:                              ;   in Loop: Header=BB203_31 Depth=1
	v_and_b32_e32 v1, 0xffff, v0
	v_or_b32_e32 v2, 0x10000, v0
	s_delay_alu instid0(VALU_DEP_2) | instskip(NEXT) | instid1(VALU_DEP_1)
	v_cmp_eq_u32_e64 s0, 0, v1
	v_cndmask_b32_e64 v136, v2, v0, s0
; %bb.403:                              ;   in Loop: Header=BB203_31 Depth=1
	s_or_b32 exec_lo, exec_lo, s7
	scratch_load_b32 v0, off, s32 offset:532 ; 4-byte Folded Reload
	s_waitcnt vmcnt(0)
	v_add_co_u32 v0, s0, v180, v0
	s_delay_alu instid0(VALU_DEP_1)
	v_add_co_ci_u32_e64 v1, s0, 0, v181, s0
	flat_load_b128 v[0:3], v[0:1]
	s_waitcnt vmcnt(0) lgkmcnt(0)
	v_lshrrev_b32_e32 v9, 16, v0
	v_lshrrev_b32_e32 v8, 16, v1
	;; [unrolled: 1-line block ×4, first 2 shown]
	s_and_saveexec_b32 s7, vcc_lo
	s_cbranch_execz .LBB203_405
; %bb.404:                              ;   in Loop: Header=BB203_31 Depth=1
	v_cmp_lt_i32_e64 s0, v165, v87
	s_delay_alu instid0(VALU_DEP_1) | instskip(SKIP_1) | instid1(VALU_DEP_1)
	v_cndmask_b32_e64 v0, 0, v0, s0
	v_cmp_lt_i32_e64 s0, v179, v87
	v_cndmask_b32_e64 v9, 0, v9, s0
	v_cmp_lt_i32_e64 s0, v178, v87
	s_delay_alu instid0(VALU_DEP_1) | instskip(SKIP_1) | instid1(VALU_DEP_1)
	v_cndmask_b32_e64 v1, 0, v1, s0
	v_cmp_lt_i32_e64 s0, v177, v87
	v_cndmask_b32_e64 v8, 0, v8, s0
	;; [unrolled: 5-line block ×4, first 2 shown]
.LBB203_405:                            ;   in Loop: Header=BB203_31 Depth=1
	s_or_b32 exec_lo, exec_lo, s7
	v_lshlrev_b32_e32 v0, 16, v0
                                        ; implicit-def: $vgpr137
	s_delay_alu instid0(VALU_DEP_1) | instskip(NEXT) | instid1(VALU_DEP_1)
	v_mul_f32_e32 v0, v182, v0
	v_and_b32_e32 v12, 0x7f800000, v0
	s_delay_alu instid0(VALU_DEP_1) | instskip(NEXT) | instid1(VALU_DEP_1)
	v_cmp_ne_u32_e64 s0, 0x7f800000, v12
	s_and_saveexec_b32 s7, s0
	s_delay_alu instid0(SALU_CYCLE_1)
	s_xor_b32 s0, exec_lo, s7
; %bb.406:                              ;   in Loop: Header=BB203_31 Depth=1
	v_bfe_u32 v12, v0, 16, 1
	s_delay_alu instid0(VALU_DEP_1)
	v_add3_u32 v137, v0, v12, 0x7fff
                                        ; implicit-def: $vgpr0
; %bb.407:                              ;   in Loop: Header=BB203_31 Depth=1
	s_and_not1_saveexec_b32 s7, s0
; %bb.408:                              ;   in Loop: Header=BB203_31 Depth=1
	v_and_b32_e32 v12, 0xffff, v0
	v_or_b32_e32 v13, 0x10000, v0
	s_delay_alu instid0(VALU_DEP_2) | instskip(NEXT) | instid1(VALU_DEP_1)
	v_cmp_eq_u32_e64 s0, 0, v12
	v_cndmask_b32_e64 v137, v13, v0, s0
; %bb.409:                              ;   in Loop: Header=BB203_31 Depth=1
	s_or_b32 exec_lo, exec_lo, s7
	v_lshlrev_b32_e32 v0, 16, v9
                                        ; implicit-def: $vgpr138
	s_delay_alu instid0(VALU_DEP_1) | instskip(NEXT) | instid1(VALU_DEP_1)
	v_mul_f32_e32 v0, v183, v0
	v_and_b32_e32 v9, 0x7f800000, v0
	s_delay_alu instid0(VALU_DEP_1) | instskip(NEXT) | instid1(VALU_DEP_1)
	v_cmp_ne_u32_e64 s0, 0x7f800000, v9
	s_and_saveexec_b32 s7, s0
	s_delay_alu instid0(SALU_CYCLE_1)
	s_xor_b32 s0, exec_lo, s7
; %bb.410:                              ;   in Loop: Header=BB203_31 Depth=1
	v_bfe_u32 v9, v0, 16, 1
	s_delay_alu instid0(VALU_DEP_1)
	v_add3_u32 v138, v0, v9, 0x7fff
                                        ; implicit-def: $vgpr0
; %bb.411:                              ;   in Loop: Header=BB203_31 Depth=1
	s_and_not1_saveexec_b32 s7, s0
; %bb.412:                              ;   in Loop: Header=BB203_31 Depth=1
	v_and_b32_e32 v9, 0xffff, v0
	v_or_b32_e32 v12, 0x10000, v0
	s_delay_alu instid0(VALU_DEP_2) | instskip(NEXT) | instid1(VALU_DEP_1)
	v_cmp_eq_u32_e64 s0, 0, v9
	v_cndmask_b32_e64 v138, v12, v0, s0
; %bb.413:                              ;   in Loop: Header=BB203_31 Depth=1
	s_or_b32 exec_lo, exec_lo, s7
	v_lshlrev_b32_e32 v0, 16, v1
                                        ; implicit-def: $vgpr139
	s_delay_alu instid0(VALU_DEP_1) | instskip(NEXT) | instid1(VALU_DEP_1)
	v_mul_f32_e32 v0, v40, v0
	v_and_b32_e32 v1, 0x7f800000, v0
	s_delay_alu instid0(VALU_DEP_1) | instskip(NEXT) | instid1(VALU_DEP_1)
	v_cmp_ne_u32_e64 s0, 0x7f800000, v1
	s_and_saveexec_b32 s7, s0
	s_delay_alu instid0(SALU_CYCLE_1)
	s_xor_b32 s0, exec_lo, s7
; %bb.414:                              ;   in Loop: Header=BB203_31 Depth=1
	v_bfe_u32 v1, v0, 16, 1
	s_delay_alu instid0(VALU_DEP_1)
	v_add3_u32 v139, v0, v1, 0x7fff
                                        ; implicit-def: $vgpr0
; %bb.415:                              ;   in Loop: Header=BB203_31 Depth=1
	s_and_not1_saveexec_b32 s7, s0
; %bb.416:                              ;   in Loop: Header=BB203_31 Depth=1
	v_and_b32_e32 v1, 0xffff, v0
	v_or_b32_e32 v9, 0x10000, v0
	s_delay_alu instid0(VALU_DEP_2) | instskip(NEXT) | instid1(VALU_DEP_1)
	v_cmp_eq_u32_e64 s0, 0, v1
	v_cndmask_b32_e64 v139, v9, v0, s0
; %bb.417:                              ;   in Loop: Header=BB203_31 Depth=1
	s_or_b32 exec_lo, exec_lo, s7
	v_lshlrev_b32_e32 v0, 16, v8
                                        ; implicit-def: $vgpr140
	s_delay_alu instid0(VALU_DEP_1) | instskip(NEXT) | instid1(VALU_DEP_1)
	v_mul_f32_e32 v0, v41, v0
	v_and_b32_e32 v1, 0x7f800000, v0
	s_delay_alu instid0(VALU_DEP_1) | instskip(NEXT) | instid1(VALU_DEP_1)
	v_cmp_ne_u32_e64 s0, 0x7f800000, v1
	s_and_saveexec_b32 s7, s0
	s_delay_alu instid0(SALU_CYCLE_1)
	s_xor_b32 s0, exec_lo, s7
; %bb.418:                              ;   in Loop: Header=BB203_31 Depth=1
	v_bfe_u32 v1, v0, 16, 1
	s_delay_alu instid0(VALU_DEP_1)
	v_add3_u32 v140, v0, v1, 0x7fff
                                        ; implicit-def: $vgpr0
; %bb.419:                              ;   in Loop: Header=BB203_31 Depth=1
	s_and_not1_saveexec_b32 s7, s0
; %bb.420:                              ;   in Loop: Header=BB203_31 Depth=1
	v_and_b32_e32 v1, 0xffff, v0
	v_or_b32_e32 v8, 0x10000, v0
	s_delay_alu instid0(VALU_DEP_2) | instskip(NEXT) | instid1(VALU_DEP_1)
	v_cmp_eq_u32_e64 s0, 0, v1
	v_cndmask_b32_e64 v140, v8, v0, s0
; %bb.421:                              ;   in Loop: Header=BB203_31 Depth=1
	s_or_b32 exec_lo, exec_lo, s7
	v_lshlrev_b32_e32 v0, 16, v2
                                        ; implicit-def: $vgpr141
	s_delay_alu instid0(VALU_DEP_1) | instskip(NEXT) | instid1(VALU_DEP_1)
	v_mul_f32_e32 v0, v42, v0
	v_and_b32_e32 v1, 0x7f800000, v0
	s_delay_alu instid0(VALU_DEP_1) | instskip(NEXT) | instid1(VALU_DEP_1)
	v_cmp_ne_u32_e64 s0, 0x7f800000, v1
	s_and_saveexec_b32 s7, s0
	s_delay_alu instid0(SALU_CYCLE_1)
	s_xor_b32 s0, exec_lo, s7
; %bb.422:                              ;   in Loop: Header=BB203_31 Depth=1
	v_bfe_u32 v1, v0, 16, 1
	s_delay_alu instid0(VALU_DEP_1)
	v_add3_u32 v141, v0, v1, 0x7fff
                                        ; implicit-def: $vgpr0
; %bb.423:                              ;   in Loop: Header=BB203_31 Depth=1
	s_and_not1_saveexec_b32 s7, s0
; %bb.424:                              ;   in Loop: Header=BB203_31 Depth=1
	v_and_b32_e32 v1, 0xffff, v0
	v_or_b32_e32 v2, 0x10000, v0
	s_delay_alu instid0(VALU_DEP_2) | instskip(NEXT) | instid1(VALU_DEP_1)
	v_cmp_eq_u32_e64 s0, 0, v1
	v_cndmask_b32_e64 v141, v2, v0, s0
; %bb.425:                              ;   in Loop: Header=BB203_31 Depth=1
	s_or_b32 exec_lo, exec_lo, s7
	v_lshlrev_b32_e32 v0, 16, v5
                                        ; implicit-def: $vgpr142
	s_delay_alu instid0(VALU_DEP_1) | instskip(NEXT) | instid1(VALU_DEP_1)
	v_mul_f32_e32 v0, v43, v0
	v_and_b32_e32 v1, 0x7f800000, v0
	s_delay_alu instid0(VALU_DEP_1) | instskip(NEXT) | instid1(VALU_DEP_1)
	v_cmp_ne_u32_e64 s0, 0x7f800000, v1
	s_and_saveexec_b32 s7, s0
	s_delay_alu instid0(SALU_CYCLE_1)
	s_xor_b32 s0, exec_lo, s7
; %bb.426:                              ;   in Loop: Header=BB203_31 Depth=1
	v_bfe_u32 v1, v0, 16, 1
	s_delay_alu instid0(VALU_DEP_1)
	v_add3_u32 v142, v0, v1, 0x7fff
                                        ; implicit-def: $vgpr0
; %bb.427:                              ;   in Loop: Header=BB203_31 Depth=1
	s_and_not1_saveexec_b32 s7, s0
; %bb.428:                              ;   in Loop: Header=BB203_31 Depth=1
	v_and_b32_e32 v1, 0xffff, v0
	v_or_b32_e32 v2, 0x10000, v0
	s_delay_alu instid0(VALU_DEP_2) | instskip(NEXT) | instid1(VALU_DEP_1)
	v_cmp_eq_u32_e64 s0, 0, v1
	v_cndmask_b32_e64 v142, v2, v0, s0
; %bb.429:                              ;   in Loop: Header=BB203_31 Depth=1
	s_or_b32 exec_lo, exec_lo, s7
	v_lshlrev_b32_e32 v0, 16, v3
                                        ; implicit-def: $vgpr143
	s_delay_alu instid0(VALU_DEP_1) | instskip(NEXT) | instid1(VALU_DEP_1)
	v_mul_f32_e32 v0, v44, v0
	v_and_b32_e32 v1, 0x7f800000, v0
	s_delay_alu instid0(VALU_DEP_1) | instskip(NEXT) | instid1(VALU_DEP_1)
	v_cmp_ne_u32_e64 s0, 0x7f800000, v1
	s_and_saveexec_b32 s7, s0
	s_delay_alu instid0(SALU_CYCLE_1)
	s_xor_b32 s0, exec_lo, s7
; %bb.430:                              ;   in Loop: Header=BB203_31 Depth=1
	v_bfe_u32 v1, v0, 16, 1
	s_delay_alu instid0(VALU_DEP_1)
	v_add3_u32 v143, v0, v1, 0x7fff
                                        ; implicit-def: $vgpr0
; %bb.431:                              ;   in Loop: Header=BB203_31 Depth=1
	s_and_not1_saveexec_b32 s7, s0
; %bb.432:                              ;   in Loop: Header=BB203_31 Depth=1
	v_and_b32_e32 v1, 0xffff, v0
	v_or_b32_e32 v2, 0x10000, v0
	s_delay_alu instid0(VALU_DEP_2) | instskip(NEXT) | instid1(VALU_DEP_1)
	v_cmp_eq_u32_e64 s0, 0, v1
	v_cndmask_b32_e64 v143, v2, v0, s0
; %bb.433:                              ;   in Loop: Header=BB203_31 Depth=1
	s_or_b32 exec_lo, exec_lo, s7
	v_lshlrev_b32_e32 v0, 16, v4
                                        ; implicit-def: $vgpr152
	s_delay_alu instid0(VALU_DEP_1) | instskip(NEXT) | instid1(VALU_DEP_1)
	v_mul_f32_e32 v0, v45, v0
	v_and_b32_e32 v1, 0x7f800000, v0
	s_delay_alu instid0(VALU_DEP_1) | instskip(NEXT) | instid1(VALU_DEP_1)
	v_cmp_ne_u32_e64 s0, 0x7f800000, v1
	s_and_saveexec_b32 s7, s0
	s_delay_alu instid0(SALU_CYCLE_1)
	s_xor_b32 s0, exec_lo, s7
; %bb.434:                              ;   in Loop: Header=BB203_31 Depth=1
	v_bfe_u32 v1, v0, 16, 1
	s_delay_alu instid0(VALU_DEP_1)
	v_add3_u32 v152, v0, v1, 0x7fff
                                        ; implicit-def: $vgpr0
; %bb.435:                              ;   in Loop: Header=BB203_31 Depth=1
	s_and_not1_saveexec_b32 s7, s0
; %bb.436:                              ;   in Loop: Header=BB203_31 Depth=1
	v_and_b32_e32 v1, 0xffff, v0
	v_or_b32_e32 v2, 0x10000, v0
	s_delay_alu instid0(VALU_DEP_2) | instskip(NEXT) | instid1(VALU_DEP_1)
	v_cmp_eq_u32_e64 s0, 0, v1
	v_cndmask_b32_e64 v152, v2, v0, s0
; %bb.437:                              ;   in Loop: Header=BB203_31 Depth=1
	s_or_b32 exec_lo, exec_lo, s7
	scratch_load_b32 v0, off, s32 offset:536 ; 4-byte Folded Reload
	s_waitcnt vmcnt(0)
	v_add_co_u32 v0, s0, v180, v0
	s_delay_alu instid0(VALU_DEP_1)
	v_add_co_ci_u32_e64 v1, s0, 0, v181, s0
	flat_load_b128 v[0:3], v[0:1]
	s_waitcnt vmcnt(0) lgkmcnt(0)
	v_lshrrev_b32_e32 v9, 16, v0
	v_lshrrev_b32_e32 v8, 16, v1
	;; [unrolled: 1-line block ×4, first 2 shown]
	s_and_saveexec_b32 s7, vcc_lo
	s_cbranch_execz .LBB203_439
; %bb.438:                              ;   in Loop: Header=BB203_31 Depth=1
	v_cmp_lt_i32_e64 s0, v165, v87
	s_delay_alu instid0(VALU_DEP_1) | instskip(SKIP_1) | instid1(VALU_DEP_1)
	v_cndmask_b32_e64 v0, 0, v0, s0
	v_cmp_lt_i32_e64 s0, v179, v87
	v_cndmask_b32_e64 v9, 0, v9, s0
	v_cmp_lt_i32_e64 s0, v178, v87
	s_delay_alu instid0(VALU_DEP_1) | instskip(SKIP_1) | instid1(VALU_DEP_1)
	v_cndmask_b32_e64 v1, 0, v1, s0
	v_cmp_lt_i32_e64 s0, v177, v87
	v_cndmask_b32_e64 v8, 0, v8, s0
	;; [unrolled: 5-line block ×4, first 2 shown]
.LBB203_439:                            ;   in Loop: Header=BB203_31 Depth=1
	s_or_b32 exec_lo, exec_lo, s7
	v_lshlrev_b32_e32 v0, 16, v0
                                        ; implicit-def: $vgpr153
	s_delay_alu instid0(VALU_DEP_1) | instskip(NEXT) | instid1(VALU_DEP_1)
	v_mul_f32_e32 v0, v182, v0
	v_and_b32_e32 v12, 0x7f800000, v0
	s_delay_alu instid0(VALU_DEP_1) | instskip(NEXT) | instid1(VALU_DEP_1)
	v_cmp_ne_u32_e64 s0, 0x7f800000, v12
	s_and_saveexec_b32 s7, s0
	s_delay_alu instid0(SALU_CYCLE_1)
	s_xor_b32 s0, exec_lo, s7
; %bb.440:                              ;   in Loop: Header=BB203_31 Depth=1
	v_bfe_u32 v12, v0, 16, 1
	s_delay_alu instid0(VALU_DEP_1)
	v_add3_u32 v153, v0, v12, 0x7fff
                                        ; implicit-def: $vgpr0
; %bb.441:                              ;   in Loop: Header=BB203_31 Depth=1
	s_and_not1_saveexec_b32 s7, s0
; %bb.442:                              ;   in Loop: Header=BB203_31 Depth=1
	v_and_b32_e32 v12, 0xffff, v0
	v_or_b32_e32 v13, 0x10000, v0
	s_delay_alu instid0(VALU_DEP_2) | instskip(NEXT) | instid1(VALU_DEP_1)
	v_cmp_eq_u32_e64 s0, 0, v12
	v_cndmask_b32_e64 v153, v13, v0, s0
; %bb.443:                              ;   in Loop: Header=BB203_31 Depth=1
	s_or_b32 exec_lo, exec_lo, s7
	v_lshlrev_b32_e32 v0, 16, v9
                                        ; implicit-def: $vgpr154
	s_delay_alu instid0(VALU_DEP_1) | instskip(NEXT) | instid1(VALU_DEP_1)
	v_mul_f32_e32 v0, v183, v0
	v_and_b32_e32 v9, 0x7f800000, v0
	s_delay_alu instid0(VALU_DEP_1) | instskip(NEXT) | instid1(VALU_DEP_1)
	v_cmp_ne_u32_e64 s0, 0x7f800000, v9
	s_and_saveexec_b32 s7, s0
	s_delay_alu instid0(SALU_CYCLE_1)
	s_xor_b32 s0, exec_lo, s7
; %bb.444:                              ;   in Loop: Header=BB203_31 Depth=1
	v_bfe_u32 v9, v0, 16, 1
	s_delay_alu instid0(VALU_DEP_1)
	v_add3_u32 v154, v0, v9, 0x7fff
                                        ; implicit-def: $vgpr0
; %bb.445:                              ;   in Loop: Header=BB203_31 Depth=1
	s_and_not1_saveexec_b32 s7, s0
; %bb.446:                              ;   in Loop: Header=BB203_31 Depth=1
	v_and_b32_e32 v9, 0xffff, v0
	v_or_b32_e32 v12, 0x10000, v0
	s_delay_alu instid0(VALU_DEP_2) | instskip(NEXT) | instid1(VALU_DEP_1)
	v_cmp_eq_u32_e64 s0, 0, v9
	v_cndmask_b32_e64 v154, v12, v0, s0
; %bb.447:                              ;   in Loop: Header=BB203_31 Depth=1
	s_or_b32 exec_lo, exec_lo, s7
	v_lshlrev_b32_e32 v0, 16, v1
                                        ; implicit-def: $vgpr155
	s_delay_alu instid0(VALU_DEP_1) | instskip(NEXT) | instid1(VALU_DEP_1)
	v_mul_f32_e32 v0, v40, v0
	v_and_b32_e32 v1, 0x7f800000, v0
	s_delay_alu instid0(VALU_DEP_1) | instskip(NEXT) | instid1(VALU_DEP_1)
	v_cmp_ne_u32_e64 s0, 0x7f800000, v1
	s_and_saveexec_b32 s7, s0
	s_delay_alu instid0(SALU_CYCLE_1)
	s_xor_b32 s0, exec_lo, s7
; %bb.448:                              ;   in Loop: Header=BB203_31 Depth=1
	v_bfe_u32 v1, v0, 16, 1
	s_delay_alu instid0(VALU_DEP_1)
	v_add3_u32 v155, v0, v1, 0x7fff
                                        ; implicit-def: $vgpr0
; %bb.449:                              ;   in Loop: Header=BB203_31 Depth=1
	s_and_not1_saveexec_b32 s7, s0
; %bb.450:                              ;   in Loop: Header=BB203_31 Depth=1
	v_and_b32_e32 v1, 0xffff, v0
	v_or_b32_e32 v9, 0x10000, v0
	s_delay_alu instid0(VALU_DEP_2) | instskip(NEXT) | instid1(VALU_DEP_1)
	v_cmp_eq_u32_e64 s0, 0, v1
	v_cndmask_b32_e64 v155, v9, v0, s0
; %bb.451:                              ;   in Loop: Header=BB203_31 Depth=1
	s_or_b32 exec_lo, exec_lo, s7
	v_lshlrev_b32_e32 v0, 16, v8
                                        ; implicit-def: $vgpr156
	s_delay_alu instid0(VALU_DEP_1) | instskip(NEXT) | instid1(VALU_DEP_1)
	v_mul_f32_e32 v0, v41, v0
	v_and_b32_e32 v1, 0x7f800000, v0
	s_delay_alu instid0(VALU_DEP_1) | instskip(NEXT) | instid1(VALU_DEP_1)
	v_cmp_ne_u32_e64 s0, 0x7f800000, v1
	s_and_saveexec_b32 s7, s0
	s_delay_alu instid0(SALU_CYCLE_1)
	s_xor_b32 s0, exec_lo, s7
; %bb.452:                              ;   in Loop: Header=BB203_31 Depth=1
	v_bfe_u32 v1, v0, 16, 1
	s_delay_alu instid0(VALU_DEP_1)
	v_add3_u32 v156, v0, v1, 0x7fff
                                        ; implicit-def: $vgpr0
; %bb.453:                              ;   in Loop: Header=BB203_31 Depth=1
	s_and_not1_saveexec_b32 s7, s0
; %bb.454:                              ;   in Loop: Header=BB203_31 Depth=1
	v_and_b32_e32 v1, 0xffff, v0
	v_or_b32_e32 v8, 0x10000, v0
	s_delay_alu instid0(VALU_DEP_2) | instskip(NEXT) | instid1(VALU_DEP_1)
	v_cmp_eq_u32_e64 s0, 0, v1
	v_cndmask_b32_e64 v156, v8, v0, s0
; %bb.455:                              ;   in Loop: Header=BB203_31 Depth=1
	s_or_b32 exec_lo, exec_lo, s7
	v_lshlrev_b32_e32 v0, 16, v2
                                        ; implicit-def: $vgpr157
	s_delay_alu instid0(VALU_DEP_1) | instskip(NEXT) | instid1(VALU_DEP_1)
	v_mul_f32_e32 v0, v42, v0
	v_and_b32_e32 v1, 0x7f800000, v0
	s_delay_alu instid0(VALU_DEP_1) | instskip(NEXT) | instid1(VALU_DEP_1)
	v_cmp_ne_u32_e64 s0, 0x7f800000, v1
	s_and_saveexec_b32 s7, s0
	s_delay_alu instid0(SALU_CYCLE_1)
	s_xor_b32 s0, exec_lo, s7
; %bb.456:                              ;   in Loop: Header=BB203_31 Depth=1
	v_bfe_u32 v1, v0, 16, 1
	s_delay_alu instid0(VALU_DEP_1)
	v_add3_u32 v157, v0, v1, 0x7fff
                                        ; implicit-def: $vgpr0
; %bb.457:                              ;   in Loop: Header=BB203_31 Depth=1
	s_and_not1_saveexec_b32 s7, s0
; %bb.458:                              ;   in Loop: Header=BB203_31 Depth=1
	v_and_b32_e32 v1, 0xffff, v0
	v_or_b32_e32 v2, 0x10000, v0
	s_delay_alu instid0(VALU_DEP_2) | instskip(NEXT) | instid1(VALU_DEP_1)
	v_cmp_eq_u32_e64 s0, 0, v1
	v_cndmask_b32_e64 v157, v2, v0, s0
; %bb.459:                              ;   in Loop: Header=BB203_31 Depth=1
	s_or_b32 exec_lo, exec_lo, s7
	v_lshlrev_b32_e32 v0, 16, v5
                                        ; implicit-def: $vgpr158
	s_delay_alu instid0(VALU_DEP_1) | instskip(NEXT) | instid1(VALU_DEP_1)
	v_mul_f32_e32 v0, v43, v0
	v_and_b32_e32 v1, 0x7f800000, v0
	s_delay_alu instid0(VALU_DEP_1) | instskip(NEXT) | instid1(VALU_DEP_1)
	v_cmp_ne_u32_e64 s0, 0x7f800000, v1
	s_and_saveexec_b32 s7, s0
	s_delay_alu instid0(SALU_CYCLE_1)
	s_xor_b32 s0, exec_lo, s7
; %bb.460:                              ;   in Loop: Header=BB203_31 Depth=1
	v_bfe_u32 v1, v0, 16, 1
	s_delay_alu instid0(VALU_DEP_1)
	v_add3_u32 v158, v0, v1, 0x7fff
                                        ; implicit-def: $vgpr0
; %bb.461:                              ;   in Loop: Header=BB203_31 Depth=1
	s_and_not1_saveexec_b32 s7, s0
; %bb.462:                              ;   in Loop: Header=BB203_31 Depth=1
	v_and_b32_e32 v1, 0xffff, v0
	v_or_b32_e32 v2, 0x10000, v0
	s_delay_alu instid0(VALU_DEP_2) | instskip(NEXT) | instid1(VALU_DEP_1)
	v_cmp_eq_u32_e64 s0, 0, v1
	v_cndmask_b32_e64 v158, v2, v0, s0
; %bb.463:                              ;   in Loop: Header=BB203_31 Depth=1
	s_or_b32 exec_lo, exec_lo, s7
	v_lshlrev_b32_e32 v0, 16, v3
                                        ; implicit-def: $vgpr159
	s_delay_alu instid0(VALU_DEP_1) | instskip(NEXT) | instid1(VALU_DEP_1)
	v_mul_f32_e32 v0, v44, v0
	v_and_b32_e32 v1, 0x7f800000, v0
	s_delay_alu instid0(VALU_DEP_1) | instskip(NEXT) | instid1(VALU_DEP_1)
	v_cmp_ne_u32_e64 s0, 0x7f800000, v1
	s_and_saveexec_b32 s7, s0
	s_delay_alu instid0(SALU_CYCLE_1)
	s_xor_b32 s0, exec_lo, s7
; %bb.464:                              ;   in Loop: Header=BB203_31 Depth=1
	v_bfe_u32 v1, v0, 16, 1
	s_delay_alu instid0(VALU_DEP_1)
	v_add3_u32 v159, v0, v1, 0x7fff
                                        ; implicit-def: $vgpr0
; %bb.465:                              ;   in Loop: Header=BB203_31 Depth=1
	s_and_not1_saveexec_b32 s7, s0
; %bb.466:                              ;   in Loop: Header=BB203_31 Depth=1
	v_and_b32_e32 v1, 0xffff, v0
	v_or_b32_e32 v2, 0x10000, v0
	s_delay_alu instid0(VALU_DEP_2) | instskip(NEXT) | instid1(VALU_DEP_1)
	v_cmp_eq_u32_e64 s0, 0, v1
	v_cndmask_b32_e64 v159, v2, v0, s0
; %bb.467:                              ;   in Loop: Header=BB203_31 Depth=1
	s_or_b32 exec_lo, exec_lo, s7
	v_lshlrev_b32_e32 v0, 16, v4
                                        ; implicit-def: $vgpr168
	s_delay_alu instid0(VALU_DEP_1) | instskip(NEXT) | instid1(VALU_DEP_1)
	v_mul_f32_e32 v0, v45, v0
	v_and_b32_e32 v1, 0x7f800000, v0
	s_delay_alu instid0(VALU_DEP_1) | instskip(NEXT) | instid1(VALU_DEP_1)
	v_cmp_ne_u32_e64 s0, 0x7f800000, v1
	s_and_saveexec_b32 s7, s0
	s_delay_alu instid0(SALU_CYCLE_1)
	s_xor_b32 s0, exec_lo, s7
; %bb.468:                              ;   in Loop: Header=BB203_31 Depth=1
	v_bfe_u32 v1, v0, 16, 1
	s_delay_alu instid0(VALU_DEP_1)
	v_add3_u32 v168, v0, v1, 0x7fff
                                        ; implicit-def: $vgpr0
; %bb.469:                              ;   in Loop: Header=BB203_31 Depth=1
	s_and_not1_saveexec_b32 s7, s0
; %bb.470:                              ;   in Loop: Header=BB203_31 Depth=1
	v_and_b32_e32 v1, 0xffff, v0
	v_or_b32_e32 v2, 0x10000, v0
	s_delay_alu instid0(VALU_DEP_2) | instskip(NEXT) | instid1(VALU_DEP_1)
	v_cmp_eq_u32_e64 s0, 0, v1
	v_cndmask_b32_e64 v168, v2, v0, s0
; %bb.471:                              ;   in Loop: Header=BB203_31 Depth=1
	s_or_b32 exec_lo, exec_lo, s7
	scratch_load_b32 v0, off, s32 offset:540 ; 4-byte Folded Reload
	s_waitcnt vmcnt(0)
	v_add_co_u32 v0, s0, v180, v0
	s_delay_alu instid0(VALU_DEP_1)
	v_add_co_ci_u32_e64 v1, s0, 0, v181, s0
	flat_load_b128 v[0:3], v[0:1]
	s_waitcnt vmcnt(0) lgkmcnt(0)
	v_lshrrev_b32_e32 v9, 16, v0
	v_lshrrev_b32_e32 v8, 16, v1
	;; [unrolled: 1-line block ×4, first 2 shown]
	s_and_saveexec_b32 s7, vcc_lo
	s_cbranch_execz .LBB203_473
; %bb.472:                              ;   in Loop: Header=BB203_31 Depth=1
	v_cmp_lt_i32_e64 s0, v165, v87
	s_delay_alu instid0(VALU_DEP_1) | instskip(SKIP_1) | instid1(VALU_DEP_1)
	v_cndmask_b32_e64 v0, 0, v0, s0
	v_cmp_lt_i32_e64 s0, v179, v87
	v_cndmask_b32_e64 v9, 0, v9, s0
	v_cmp_lt_i32_e64 s0, v178, v87
	s_delay_alu instid0(VALU_DEP_1) | instskip(SKIP_1) | instid1(VALU_DEP_1)
	v_cndmask_b32_e64 v1, 0, v1, s0
	v_cmp_lt_i32_e64 s0, v177, v87
	v_cndmask_b32_e64 v8, 0, v8, s0
	;; [unrolled: 5-line block ×4, first 2 shown]
.LBB203_473:                            ;   in Loop: Header=BB203_31 Depth=1
	s_or_b32 exec_lo, exec_lo, s7
	v_lshlrev_b32_e32 v0, 16, v0
                                        ; implicit-def: $vgpr169
	s_delay_alu instid0(VALU_DEP_1) | instskip(NEXT) | instid1(VALU_DEP_1)
	v_mul_f32_e32 v0, v182, v0
	v_and_b32_e32 v12, 0x7f800000, v0
	s_delay_alu instid0(VALU_DEP_1) | instskip(NEXT) | instid1(VALU_DEP_1)
	v_cmp_ne_u32_e64 s0, 0x7f800000, v12
	s_and_saveexec_b32 s7, s0
	s_delay_alu instid0(SALU_CYCLE_1)
	s_xor_b32 s0, exec_lo, s7
; %bb.474:                              ;   in Loop: Header=BB203_31 Depth=1
	v_bfe_u32 v12, v0, 16, 1
	s_delay_alu instid0(VALU_DEP_1)
	v_add3_u32 v169, v0, v12, 0x7fff
                                        ; implicit-def: $vgpr0
; %bb.475:                              ;   in Loop: Header=BB203_31 Depth=1
	s_and_not1_saveexec_b32 s7, s0
; %bb.476:                              ;   in Loop: Header=BB203_31 Depth=1
	v_and_b32_e32 v12, 0xffff, v0
	v_or_b32_e32 v13, 0x10000, v0
	s_delay_alu instid0(VALU_DEP_2) | instskip(NEXT) | instid1(VALU_DEP_1)
	v_cmp_eq_u32_e64 s0, 0, v12
	v_cndmask_b32_e64 v169, v13, v0, s0
; %bb.477:                              ;   in Loop: Header=BB203_31 Depth=1
	s_or_b32 exec_lo, exec_lo, s7
	v_lshlrev_b32_e32 v0, 16, v9
                                        ; implicit-def: $vgpr170
	s_delay_alu instid0(VALU_DEP_1) | instskip(NEXT) | instid1(VALU_DEP_1)
	v_mul_f32_e32 v0, v183, v0
	v_and_b32_e32 v9, 0x7f800000, v0
	s_delay_alu instid0(VALU_DEP_1) | instskip(NEXT) | instid1(VALU_DEP_1)
	v_cmp_ne_u32_e64 s0, 0x7f800000, v9
	s_and_saveexec_b32 s7, s0
	s_delay_alu instid0(SALU_CYCLE_1)
	s_xor_b32 s0, exec_lo, s7
; %bb.478:                              ;   in Loop: Header=BB203_31 Depth=1
	v_bfe_u32 v9, v0, 16, 1
	s_delay_alu instid0(VALU_DEP_1)
	v_add3_u32 v170, v0, v9, 0x7fff
                                        ; implicit-def: $vgpr0
; %bb.479:                              ;   in Loop: Header=BB203_31 Depth=1
	s_and_not1_saveexec_b32 s7, s0
; %bb.480:                              ;   in Loop: Header=BB203_31 Depth=1
	v_and_b32_e32 v9, 0xffff, v0
	v_or_b32_e32 v12, 0x10000, v0
	s_delay_alu instid0(VALU_DEP_2) | instskip(NEXT) | instid1(VALU_DEP_1)
	v_cmp_eq_u32_e64 s0, 0, v9
	v_cndmask_b32_e64 v170, v12, v0, s0
; %bb.481:                              ;   in Loop: Header=BB203_31 Depth=1
	s_or_b32 exec_lo, exec_lo, s7
	v_lshlrev_b32_e32 v0, 16, v1
                                        ; implicit-def: $vgpr171
	s_delay_alu instid0(VALU_DEP_1) | instskip(NEXT) | instid1(VALU_DEP_1)
	v_mul_f32_e32 v0, v40, v0
	v_and_b32_e32 v1, 0x7f800000, v0
	s_delay_alu instid0(VALU_DEP_1) | instskip(NEXT) | instid1(VALU_DEP_1)
	v_cmp_ne_u32_e64 s0, 0x7f800000, v1
	s_and_saveexec_b32 s7, s0
	s_delay_alu instid0(SALU_CYCLE_1)
	s_xor_b32 s0, exec_lo, s7
; %bb.482:                              ;   in Loop: Header=BB203_31 Depth=1
	v_bfe_u32 v1, v0, 16, 1
	s_delay_alu instid0(VALU_DEP_1)
	v_add3_u32 v171, v0, v1, 0x7fff
                                        ; implicit-def: $vgpr0
; %bb.483:                              ;   in Loop: Header=BB203_31 Depth=1
	s_and_not1_saveexec_b32 s7, s0
; %bb.484:                              ;   in Loop: Header=BB203_31 Depth=1
	v_and_b32_e32 v1, 0xffff, v0
	v_or_b32_e32 v9, 0x10000, v0
	s_delay_alu instid0(VALU_DEP_2) | instskip(NEXT) | instid1(VALU_DEP_1)
	v_cmp_eq_u32_e64 s0, 0, v1
	v_cndmask_b32_e64 v171, v9, v0, s0
; %bb.485:                              ;   in Loop: Header=BB203_31 Depth=1
	s_or_b32 exec_lo, exec_lo, s7
	v_lshlrev_b32_e32 v0, 16, v8
                                        ; implicit-def: $vgpr172
	s_delay_alu instid0(VALU_DEP_1) | instskip(NEXT) | instid1(VALU_DEP_1)
	v_mul_f32_e32 v0, v41, v0
	v_and_b32_e32 v1, 0x7f800000, v0
	s_delay_alu instid0(VALU_DEP_1) | instskip(NEXT) | instid1(VALU_DEP_1)
	v_cmp_ne_u32_e64 s0, 0x7f800000, v1
	s_and_saveexec_b32 s7, s0
	s_delay_alu instid0(SALU_CYCLE_1)
	s_xor_b32 s0, exec_lo, s7
; %bb.486:                              ;   in Loop: Header=BB203_31 Depth=1
	v_bfe_u32 v1, v0, 16, 1
	s_delay_alu instid0(VALU_DEP_1)
	v_add3_u32 v172, v0, v1, 0x7fff
                                        ; implicit-def: $vgpr0
; %bb.487:                              ;   in Loop: Header=BB203_31 Depth=1
	s_and_not1_saveexec_b32 s7, s0
; %bb.488:                              ;   in Loop: Header=BB203_31 Depth=1
	v_and_b32_e32 v1, 0xffff, v0
	v_or_b32_e32 v8, 0x10000, v0
	s_delay_alu instid0(VALU_DEP_2) | instskip(NEXT) | instid1(VALU_DEP_1)
	v_cmp_eq_u32_e64 s0, 0, v1
	v_cndmask_b32_e64 v172, v8, v0, s0
; %bb.489:                              ;   in Loop: Header=BB203_31 Depth=1
	s_or_b32 exec_lo, exec_lo, s7
	v_lshlrev_b32_e32 v0, 16, v2
                                        ; implicit-def: $vgpr173
	s_delay_alu instid0(VALU_DEP_1) | instskip(NEXT) | instid1(VALU_DEP_1)
	v_mul_f32_e32 v0, v42, v0
	v_and_b32_e32 v1, 0x7f800000, v0
	s_delay_alu instid0(VALU_DEP_1) | instskip(NEXT) | instid1(VALU_DEP_1)
	v_cmp_ne_u32_e64 s0, 0x7f800000, v1
	s_and_saveexec_b32 s7, s0
	s_delay_alu instid0(SALU_CYCLE_1)
	s_xor_b32 s0, exec_lo, s7
; %bb.490:                              ;   in Loop: Header=BB203_31 Depth=1
	v_bfe_u32 v1, v0, 16, 1
	s_delay_alu instid0(VALU_DEP_1)
	v_add3_u32 v173, v0, v1, 0x7fff
                                        ; implicit-def: $vgpr0
; %bb.491:                              ;   in Loop: Header=BB203_31 Depth=1
	s_and_not1_saveexec_b32 s7, s0
; %bb.492:                              ;   in Loop: Header=BB203_31 Depth=1
	v_and_b32_e32 v1, 0xffff, v0
	v_or_b32_e32 v2, 0x10000, v0
	s_delay_alu instid0(VALU_DEP_2) | instskip(NEXT) | instid1(VALU_DEP_1)
	v_cmp_eq_u32_e64 s0, 0, v1
	v_cndmask_b32_e64 v173, v2, v0, s0
; %bb.493:                              ;   in Loop: Header=BB203_31 Depth=1
	s_or_b32 exec_lo, exec_lo, s7
	v_lshlrev_b32_e32 v0, 16, v5
                                        ; implicit-def: $vgpr174
	s_delay_alu instid0(VALU_DEP_1) | instskip(NEXT) | instid1(VALU_DEP_1)
	v_mul_f32_e32 v0, v43, v0
	v_and_b32_e32 v1, 0x7f800000, v0
	s_delay_alu instid0(VALU_DEP_1) | instskip(NEXT) | instid1(VALU_DEP_1)
	v_cmp_ne_u32_e64 s0, 0x7f800000, v1
	s_and_saveexec_b32 s7, s0
	s_delay_alu instid0(SALU_CYCLE_1)
	s_xor_b32 s0, exec_lo, s7
; %bb.494:                              ;   in Loop: Header=BB203_31 Depth=1
	v_bfe_u32 v1, v0, 16, 1
	s_delay_alu instid0(VALU_DEP_1)
	v_add3_u32 v174, v0, v1, 0x7fff
                                        ; implicit-def: $vgpr0
; %bb.495:                              ;   in Loop: Header=BB203_31 Depth=1
	s_and_not1_saveexec_b32 s7, s0
; %bb.496:                              ;   in Loop: Header=BB203_31 Depth=1
	v_and_b32_e32 v1, 0xffff, v0
	v_or_b32_e32 v2, 0x10000, v0
	s_delay_alu instid0(VALU_DEP_2) | instskip(NEXT) | instid1(VALU_DEP_1)
	v_cmp_eq_u32_e64 s0, 0, v1
	v_cndmask_b32_e64 v174, v2, v0, s0
; %bb.497:                              ;   in Loop: Header=BB203_31 Depth=1
	s_or_b32 exec_lo, exec_lo, s7
	v_lshlrev_b32_e32 v0, 16, v3
                                        ; implicit-def: $vgpr175
	s_delay_alu instid0(VALU_DEP_1) | instskip(NEXT) | instid1(VALU_DEP_1)
	v_mul_f32_e32 v0, v44, v0
	v_and_b32_e32 v1, 0x7f800000, v0
	s_delay_alu instid0(VALU_DEP_1) | instskip(NEXT) | instid1(VALU_DEP_1)
	v_cmp_ne_u32_e64 s0, 0x7f800000, v1
	s_and_saveexec_b32 s7, s0
	s_delay_alu instid0(SALU_CYCLE_1)
	s_xor_b32 s0, exec_lo, s7
; %bb.498:                              ;   in Loop: Header=BB203_31 Depth=1
	v_bfe_u32 v1, v0, 16, 1
	s_delay_alu instid0(VALU_DEP_1)
	v_add3_u32 v175, v0, v1, 0x7fff
                                        ; implicit-def: $vgpr0
; %bb.499:                              ;   in Loop: Header=BB203_31 Depth=1
	s_and_not1_saveexec_b32 s7, s0
; %bb.500:                              ;   in Loop: Header=BB203_31 Depth=1
	v_and_b32_e32 v1, 0xffff, v0
	v_or_b32_e32 v2, 0x10000, v0
	s_delay_alu instid0(VALU_DEP_2) | instskip(NEXT) | instid1(VALU_DEP_1)
	v_cmp_eq_u32_e64 s0, 0, v1
	v_cndmask_b32_e64 v175, v2, v0, s0
; %bb.501:                              ;   in Loop: Header=BB203_31 Depth=1
	s_or_b32 exec_lo, exec_lo, s7
	v_lshlrev_b32_e32 v0, 16, v4
                                        ; implicit-def: $vgpr184
	s_delay_alu instid0(VALU_DEP_1) | instskip(NEXT) | instid1(VALU_DEP_1)
	v_mul_f32_e32 v0, v45, v0
	v_and_b32_e32 v1, 0x7f800000, v0
	s_delay_alu instid0(VALU_DEP_1) | instskip(NEXT) | instid1(VALU_DEP_1)
	v_cmp_ne_u32_e64 s0, 0x7f800000, v1
	s_and_saveexec_b32 s7, s0
	s_delay_alu instid0(SALU_CYCLE_1)
	s_xor_b32 s0, exec_lo, s7
; %bb.502:                              ;   in Loop: Header=BB203_31 Depth=1
	v_bfe_u32 v1, v0, 16, 1
	s_delay_alu instid0(VALU_DEP_1)
	v_add3_u32 v184, v0, v1, 0x7fff
                                        ; implicit-def: $vgpr0
; %bb.503:                              ;   in Loop: Header=BB203_31 Depth=1
	s_and_not1_saveexec_b32 s7, s0
; %bb.504:                              ;   in Loop: Header=BB203_31 Depth=1
	v_and_b32_e32 v1, 0xffff, v0
	v_or_b32_e32 v2, 0x10000, v0
	s_delay_alu instid0(VALU_DEP_2) | instskip(NEXT) | instid1(VALU_DEP_1)
	v_cmp_eq_u32_e64 s0, 0, v1
	v_cndmask_b32_e64 v184, v2, v0, s0
; %bb.505:                              ;   in Loop: Header=BB203_31 Depth=1
	s_or_b32 exec_lo, exec_lo, s7
	scratch_load_b32 v0, off, s32 offset:544 ; 4-byte Folded Reload
	s_waitcnt vmcnt(0)
	v_add_co_u32 v0, s0, v180, v0
	s_delay_alu instid0(VALU_DEP_1)
	v_add_co_ci_u32_e64 v1, s0, 0, v181, s0
	flat_load_b128 v[0:3], v[0:1]
	s_waitcnt vmcnt(0) lgkmcnt(0)
	v_lshrrev_b32_e32 v9, 16, v0
	v_lshrrev_b32_e32 v8, 16, v1
	;; [unrolled: 1-line block ×4, first 2 shown]
	s_and_saveexec_b32 s7, vcc_lo
	s_cbranch_execz .LBB203_507
; %bb.506:                              ;   in Loop: Header=BB203_31 Depth=1
	v_cmp_lt_i32_e64 s0, v165, v87
	s_delay_alu instid0(VALU_DEP_1) | instskip(SKIP_1) | instid1(VALU_DEP_1)
	v_cndmask_b32_e64 v0, 0, v0, s0
	v_cmp_lt_i32_e64 s0, v179, v87
	v_cndmask_b32_e64 v9, 0, v9, s0
	v_cmp_lt_i32_e64 s0, v178, v87
	s_delay_alu instid0(VALU_DEP_1) | instskip(SKIP_1) | instid1(VALU_DEP_1)
	v_cndmask_b32_e64 v1, 0, v1, s0
	v_cmp_lt_i32_e64 s0, v177, v87
	v_cndmask_b32_e64 v8, 0, v8, s0
	v_cmp_lt_i32_e64 s0, v167, v87
	s_delay_alu instid0(VALU_DEP_1) | instskip(SKIP_1) | instid1(VALU_DEP_1)
	v_cndmask_b32_e64 v2, 0, v2, s0
	v_cmp_lt_i32_e64 s0, v166, v87
	v_cndmask_b32_e64 v5, 0, v5, s0
	v_cmp_lt_i32_e64 s0, v176, v87
	s_delay_alu instid0(VALU_DEP_1) | instskip(SKIP_1) | instid1(VALU_DEP_1)
	v_cndmask_b32_e64 v3, 0, v3, s0
	v_cmp_lt_i32_e64 s0, v14, v87
	v_cndmask_b32_e64 v4, 0, v4, s0
.LBB203_507:                            ;   in Loop: Header=BB203_31 Depth=1
	s_or_b32 exec_lo, exec_lo, s7
	v_lshlrev_b32_e32 v0, 16, v0
                                        ; implicit-def: $vgpr185
	s_delay_alu instid0(VALU_DEP_1) | instskip(NEXT) | instid1(VALU_DEP_1)
	v_mul_f32_e32 v0, v182, v0
	v_and_b32_e32 v12, 0x7f800000, v0
	s_delay_alu instid0(VALU_DEP_1) | instskip(NEXT) | instid1(VALU_DEP_1)
	v_cmp_ne_u32_e64 s0, 0x7f800000, v12
	s_and_saveexec_b32 s7, s0
	s_delay_alu instid0(SALU_CYCLE_1)
	s_xor_b32 s0, exec_lo, s7
; %bb.508:                              ;   in Loop: Header=BB203_31 Depth=1
	v_bfe_u32 v12, v0, 16, 1
	s_delay_alu instid0(VALU_DEP_1)
	v_add3_u32 v185, v0, v12, 0x7fff
                                        ; implicit-def: $vgpr0
; %bb.509:                              ;   in Loop: Header=BB203_31 Depth=1
	s_and_not1_saveexec_b32 s7, s0
; %bb.510:                              ;   in Loop: Header=BB203_31 Depth=1
	v_and_b32_e32 v12, 0xffff, v0
	v_or_b32_e32 v13, 0x10000, v0
	s_delay_alu instid0(VALU_DEP_2) | instskip(NEXT) | instid1(VALU_DEP_1)
	v_cmp_eq_u32_e64 s0, 0, v12
	v_cndmask_b32_e64 v185, v13, v0, s0
; %bb.511:                              ;   in Loop: Header=BB203_31 Depth=1
	s_or_b32 exec_lo, exec_lo, s7
	v_lshlrev_b32_e32 v0, 16, v9
                                        ; implicit-def: $vgpr186
	s_delay_alu instid0(VALU_DEP_1) | instskip(NEXT) | instid1(VALU_DEP_1)
	v_mul_f32_e32 v0, v183, v0
	v_and_b32_e32 v9, 0x7f800000, v0
	s_delay_alu instid0(VALU_DEP_1) | instskip(NEXT) | instid1(VALU_DEP_1)
	v_cmp_ne_u32_e64 s0, 0x7f800000, v9
	s_and_saveexec_b32 s7, s0
	s_delay_alu instid0(SALU_CYCLE_1)
	s_xor_b32 s0, exec_lo, s7
; %bb.512:                              ;   in Loop: Header=BB203_31 Depth=1
	v_bfe_u32 v9, v0, 16, 1
	s_delay_alu instid0(VALU_DEP_1)
	v_add3_u32 v186, v0, v9, 0x7fff
                                        ; implicit-def: $vgpr0
; %bb.513:                              ;   in Loop: Header=BB203_31 Depth=1
	s_and_not1_saveexec_b32 s7, s0
; %bb.514:                              ;   in Loop: Header=BB203_31 Depth=1
	v_and_b32_e32 v9, 0xffff, v0
	v_or_b32_e32 v12, 0x10000, v0
	s_delay_alu instid0(VALU_DEP_2) | instskip(NEXT) | instid1(VALU_DEP_1)
	v_cmp_eq_u32_e64 s0, 0, v9
	v_cndmask_b32_e64 v186, v12, v0, s0
; %bb.515:                              ;   in Loop: Header=BB203_31 Depth=1
	s_or_b32 exec_lo, exec_lo, s7
	v_lshlrev_b32_e32 v0, 16, v1
                                        ; implicit-def: $vgpr187
	s_delay_alu instid0(VALU_DEP_1) | instskip(NEXT) | instid1(VALU_DEP_1)
	v_mul_f32_e32 v0, v40, v0
	v_and_b32_e32 v1, 0x7f800000, v0
	s_delay_alu instid0(VALU_DEP_1) | instskip(NEXT) | instid1(VALU_DEP_1)
	v_cmp_ne_u32_e64 s0, 0x7f800000, v1
	s_and_saveexec_b32 s7, s0
	s_delay_alu instid0(SALU_CYCLE_1)
	s_xor_b32 s0, exec_lo, s7
; %bb.516:                              ;   in Loop: Header=BB203_31 Depth=1
	v_bfe_u32 v1, v0, 16, 1
	s_delay_alu instid0(VALU_DEP_1)
	v_add3_u32 v187, v0, v1, 0x7fff
                                        ; implicit-def: $vgpr0
; %bb.517:                              ;   in Loop: Header=BB203_31 Depth=1
	s_and_not1_saveexec_b32 s7, s0
; %bb.518:                              ;   in Loop: Header=BB203_31 Depth=1
	v_and_b32_e32 v1, 0xffff, v0
	v_or_b32_e32 v9, 0x10000, v0
	s_delay_alu instid0(VALU_DEP_2) | instskip(NEXT) | instid1(VALU_DEP_1)
	v_cmp_eq_u32_e64 s0, 0, v1
	v_cndmask_b32_e64 v187, v9, v0, s0
; %bb.519:                              ;   in Loop: Header=BB203_31 Depth=1
	s_or_b32 exec_lo, exec_lo, s7
	v_lshlrev_b32_e32 v0, 16, v8
                                        ; implicit-def: $vgpr188
	s_delay_alu instid0(VALU_DEP_1) | instskip(NEXT) | instid1(VALU_DEP_1)
	v_mul_f32_e32 v0, v41, v0
	v_and_b32_e32 v1, 0x7f800000, v0
	s_delay_alu instid0(VALU_DEP_1) | instskip(NEXT) | instid1(VALU_DEP_1)
	v_cmp_ne_u32_e64 s0, 0x7f800000, v1
	s_and_saveexec_b32 s7, s0
	s_delay_alu instid0(SALU_CYCLE_1)
	s_xor_b32 s0, exec_lo, s7
; %bb.520:                              ;   in Loop: Header=BB203_31 Depth=1
	v_bfe_u32 v1, v0, 16, 1
	s_delay_alu instid0(VALU_DEP_1)
	v_add3_u32 v188, v0, v1, 0x7fff
                                        ; implicit-def: $vgpr0
; %bb.521:                              ;   in Loop: Header=BB203_31 Depth=1
	s_and_not1_saveexec_b32 s7, s0
; %bb.522:                              ;   in Loop: Header=BB203_31 Depth=1
	v_and_b32_e32 v1, 0xffff, v0
	v_or_b32_e32 v8, 0x10000, v0
	s_delay_alu instid0(VALU_DEP_2) | instskip(NEXT) | instid1(VALU_DEP_1)
	v_cmp_eq_u32_e64 s0, 0, v1
	v_cndmask_b32_e64 v188, v8, v0, s0
; %bb.523:                              ;   in Loop: Header=BB203_31 Depth=1
	s_or_b32 exec_lo, exec_lo, s7
	v_lshlrev_b32_e32 v0, 16, v2
                                        ; implicit-def: $vgpr189
	s_delay_alu instid0(VALU_DEP_1) | instskip(NEXT) | instid1(VALU_DEP_1)
	v_mul_f32_e32 v0, v42, v0
	v_and_b32_e32 v1, 0x7f800000, v0
	s_delay_alu instid0(VALU_DEP_1) | instskip(NEXT) | instid1(VALU_DEP_1)
	v_cmp_ne_u32_e64 s0, 0x7f800000, v1
	s_and_saveexec_b32 s7, s0
	s_delay_alu instid0(SALU_CYCLE_1)
	s_xor_b32 s0, exec_lo, s7
; %bb.524:                              ;   in Loop: Header=BB203_31 Depth=1
	v_bfe_u32 v1, v0, 16, 1
	s_delay_alu instid0(VALU_DEP_1)
	v_add3_u32 v189, v0, v1, 0x7fff
                                        ; implicit-def: $vgpr0
; %bb.525:                              ;   in Loop: Header=BB203_31 Depth=1
	s_and_not1_saveexec_b32 s7, s0
; %bb.526:                              ;   in Loop: Header=BB203_31 Depth=1
	v_and_b32_e32 v1, 0xffff, v0
	v_or_b32_e32 v2, 0x10000, v0
	s_delay_alu instid0(VALU_DEP_2) | instskip(NEXT) | instid1(VALU_DEP_1)
	v_cmp_eq_u32_e64 s0, 0, v1
	v_cndmask_b32_e64 v189, v2, v0, s0
; %bb.527:                              ;   in Loop: Header=BB203_31 Depth=1
	s_or_b32 exec_lo, exec_lo, s7
	v_lshlrev_b32_e32 v0, 16, v5
                                        ; implicit-def: $vgpr190
	s_delay_alu instid0(VALU_DEP_1) | instskip(NEXT) | instid1(VALU_DEP_1)
	v_mul_f32_e32 v0, v43, v0
	v_and_b32_e32 v1, 0x7f800000, v0
	s_delay_alu instid0(VALU_DEP_1) | instskip(NEXT) | instid1(VALU_DEP_1)
	v_cmp_ne_u32_e64 s0, 0x7f800000, v1
	s_and_saveexec_b32 s7, s0
	s_delay_alu instid0(SALU_CYCLE_1)
	s_xor_b32 s0, exec_lo, s7
; %bb.528:                              ;   in Loop: Header=BB203_31 Depth=1
	v_bfe_u32 v1, v0, 16, 1
	s_delay_alu instid0(VALU_DEP_1)
	v_add3_u32 v190, v0, v1, 0x7fff
                                        ; implicit-def: $vgpr0
; %bb.529:                              ;   in Loop: Header=BB203_31 Depth=1
	s_and_not1_saveexec_b32 s7, s0
; %bb.530:                              ;   in Loop: Header=BB203_31 Depth=1
	v_and_b32_e32 v1, 0xffff, v0
	v_or_b32_e32 v2, 0x10000, v0
	s_delay_alu instid0(VALU_DEP_2) | instskip(NEXT) | instid1(VALU_DEP_1)
	v_cmp_eq_u32_e64 s0, 0, v1
	v_cndmask_b32_e64 v190, v2, v0, s0
; %bb.531:                              ;   in Loop: Header=BB203_31 Depth=1
	s_or_b32 exec_lo, exec_lo, s7
	v_lshlrev_b32_e32 v0, 16, v3
                                        ; implicit-def: $vgpr191
	s_delay_alu instid0(VALU_DEP_1) | instskip(NEXT) | instid1(VALU_DEP_1)
	v_mul_f32_e32 v0, v44, v0
	v_and_b32_e32 v1, 0x7f800000, v0
	s_delay_alu instid0(VALU_DEP_1) | instskip(NEXT) | instid1(VALU_DEP_1)
	v_cmp_ne_u32_e64 s0, 0x7f800000, v1
	s_and_saveexec_b32 s7, s0
	s_delay_alu instid0(SALU_CYCLE_1)
	s_xor_b32 s0, exec_lo, s7
; %bb.532:                              ;   in Loop: Header=BB203_31 Depth=1
	v_bfe_u32 v1, v0, 16, 1
	s_delay_alu instid0(VALU_DEP_1)
	v_add3_u32 v191, v0, v1, 0x7fff
                                        ; implicit-def: $vgpr0
; %bb.533:                              ;   in Loop: Header=BB203_31 Depth=1
	s_and_not1_saveexec_b32 s7, s0
; %bb.534:                              ;   in Loop: Header=BB203_31 Depth=1
	v_and_b32_e32 v1, 0xffff, v0
	v_or_b32_e32 v2, 0x10000, v0
	s_delay_alu instid0(VALU_DEP_2) | instskip(NEXT) | instid1(VALU_DEP_1)
	v_cmp_eq_u32_e64 s0, 0, v1
	v_cndmask_b32_e64 v191, v2, v0, s0
; %bb.535:                              ;   in Loop: Header=BB203_31 Depth=1
	s_or_b32 exec_lo, exec_lo, s7
	v_lshlrev_b32_e32 v0, 16, v4
                                        ; implicit-def: $vgpr17
	s_delay_alu instid0(VALU_DEP_1) | instskip(NEXT) | instid1(VALU_DEP_1)
	v_mul_f32_e32 v0, v45, v0
	v_and_b32_e32 v1, 0x7f800000, v0
	s_delay_alu instid0(VALU_DEP_1) | instskip(NEXT) | instid1(VALU_DEP_1)
	v_cmp_ne_u32_e64 s0, 0x7f800000, v1
	s_and_saveexec_b32 s7, s0
	s_delay_alu instid0(SALU_CYCLE_1)
	s_xor_b32 s0, exec_lo, s7
; %bb.536:                              ;   in Loop: Header=BB203_31 Depth=1
	v_bfe_u32 v1, v0, 16, 1
	s_delay_alu instid0(VALU_DEP_1)
	v_add3_u32 v17, v0, v1, 0x7fff
                                        ; implicit-def: $vgpr0
; %bb.537:                              ;   in Loop: Header=BB203_31 Depth=1
	s_and_not1_saveexec_b32 s7, s0
; %bb.538:                              ;   in Loop: Header=BB203_31 Depth=1
	v_and_b32_e32 v1, 0xffff, v0
	v_or_b32_e32 v2, 0x10000, v0
	s_delay_alu instid0(VALU_DEP_2) | instskip(NEXT) | instid1(VALU_DEP_1)
	v_cmp_eq_u32_e64 s0, 0, v1
	v_cndmask_b32_e64 v17, v2, v0, s0
; %bb.539:                              ;   in Loop: Header=BB203_31 Depth=1
	s_or_b32 exec_lo, exec_lo, s7
	scratch_load_b32 v0, off, s32 offset:548 ; 4-byte Folded Reload
	s_waitcnt vmcnt(0)
	v_add_co_u32 v0, s0, v180, v0
	s_delay_alu instid0(VALU_DEP_1)
	v_add_co_ci_u32_e64 v1, s0, 0, v181, s0
	flat_load_b128 v[0:3], v[0:1]
	s_waitcnt vmcnt(0) lgkmcnt(0)
	v_lshrrev_b32_e32 v4, 16, v0
	v_lshrrev_b32_e32 v12, 16, v1
	;; [unrolled: 1-line block ×4, first 2 shown]
	s_and_saveexec_b32 s7, vcc_lo
	s_cbranch_execz .LBB203_541
; %bb.540:                              ;   in Loop: Header=BB203_31 Depth=1
	v_cmp_lt_i32_e64 s0, v165, v87
	s_delay_alu instid0(VALU_DEP_1) | instskip(SKIP_1) | instid1(VALU_DEP_1)
	v_cndmask_b32_e64 v0, 0, v0, s0
	v_cmp_lt_i32_e64 s0, v179, v87
	v_cndmask_b32_e64 v4, 0, v4, s0
	v_cmp_lt_i32_e64 s0, v178, v87
	s_delay_alu instid0(VALU_DEP_1) | instskip(SKIP_1) | instid1(VALU_DEP_1)
	v_cndmask_b32_e64 v1, 0, v1, s0
	v_cmp_lt_i32_e64 s0, v177, v87
	v_cndmask_b32_e64 v12, 0, v12, s0
	;; [unrolled: 5-line block ×4, first 2 shown]
.LBB203_541:                            ;   in Loop: Header=BB203_31 Depth=1
	s_or_b32 exec_lo, exec_lo, s7
	v_lshlrev_b32_e32 v0, 16, v0
                                        ; implicit-def: $vgpr39
	s_delay_alu instid0(VALU_DEP_1) | instskip(NEXT) | instid1(VALU_DEP_1)
	v_mul_f32_e32 v0, v182, v0
	v_and_b32_e32 v5, 0x7f800000, v0
	s_delay_alu instid0(VALU_DEP_1) | instskip(NEXT) | instid1(VALU_DEP_1)
	v_cmp_ne_u32_e64 s0, 0x7f800000, v5
	s_and_saveexec_b32 s7, s0
	s_delay_alu instid0(SALU_CYCLE_1)
	s_xor_b32 s0, exec_lo, s7
; %bb.542:                              ;   in Loop: Header=BB203_31 Depth=1
	v_bfe_u32 v5, v0, 16, 1
	s_delay_alu instid0(VALU_DEP_1)
	v_add3_u32 v39, v0, v5, 0x7fff
                                        ; implicit-def: $vgpr0
; %bb.543:                              ;   in Loop: Header=BB203_31 Depth=1
	s_and_not1_saveexec_b32 s7, s0
; %bb.544:                              ;   in Loop: Header=BB203_31 Depth=1
	v_and_b32_e32 v5, 0xffff, v0
	v_or_b32_e32 v13, 0x10000, v0
	s_delay_alu instid0(VALU_DEP_2) | instskip(NEXT) | instid1(VALU_DEP_1)
	v_cmp_eq_u32_e64 s0, 0, v5
	v_cndmask_b32_e64 v39, v13, v0, s0
; %bb.545:                              ;   in Loop: Header=BB203_31 Depth=1
	s_or_b32 exec_lo, exec_lo, s7
	v_lshlrev_b32_e32 v0, 16, v4
                                        ; implicit-def: $vgpr5
	s_delay_alu instid0(VALU_DEP_1) | instskip(NEXT) | instid1(VALU_DEP_1)
	v_mul_f32_e32 v0, v183, v0
	v_and_b32_e32 v4, 0x7f800000, v0
	s_delay_alu instid0(VALU_DEP_1) | instskip(NEXT) | instid1(VALU_DEP_1)
	v_cmp_ne_u32_e64 s0, 0x7f800000, v4
	s_and_saveexec_b32 s7, s0
	s_delay_alu instid0(SALU_CYCLE_1)
	s_xor_b32 s0, exec_lo, s7
; %bb.546:                              ;   in Loop: Header=BB203_31 Depth=1
	v_bfe_u32 v4, v0, 16, 1
	s_delay_alu instid0(VALU_DEP_1)
	v_add3_u32 v5, v0, v4, 0x7fff
                                        ; implicit-def: $vgpr0
; %bb.547:                              ;   in Loop: Header=BB203_31 Depth=1
	s_and_not1_saveexec_b32 s7, s0
; %bb.548:                              ;   in Loop: Header=BB203_31 Depth=1
	v_and_b32_e32 v4, 0xffff, v0
	v_or_b32_e32 v5, 0x10000, v0
	s_delay_alu instid0(VALU_DEP_2) | instskip(NEXT) | instid1(VALU_DEP_1)
	v_cmp_eq_u32_e64 s0, 0, v4
	v_cndmask_b32_e64 v5, v5, v0, s0
; %bb.549:                              ;   in Loop: Header=BB203_31 Depth=1
	s_or_b32 exec_lo, exec_lo, s7
	v_lshlrev_b32_e32 v0, 16, v1
                                        ; implicit-def: $vgpr4
	s_delay_alu instid0(VALU_DEP_1) | instskip(NEXT) | instid1(VALU_DEP_1)
	v_mul_f32_e32 v0, v40, v0
	v_and_b32_e32 v1, 0x7f800000, v0
	s_delay_alu instid0(VALU_DEP_1) | instskip(NEXT) | instid1(VALU_DEP_1)
	v_cmp_ne_u32_e64 s0, 0x7f800000, v1
	s_and_saveexec_b32 s7, s0
	s_delay_alu instid0(SALU_CYCLE_1)
	s_xor_b32 s0, exec_lo, s7
; %bb.550:                              ;   in Loop: Header=BB203_31 Depth=1
	v_bfe_u32 v1, v0, 16, 1
	s_delay_alu instid0(VALU_DEP_1)
	v_add3_u32 v4, v0, v1, 0x7fff
                                        ; implicit-def: $vgpr0
; %bb.551:                              ;   in Loop: Header=BB203_31 Depth=1
	s_and_not1_saveexec_b32 s7, s0
; %bb.552:                              ;   in Loop: Header=BB203_31 Depth=1
	v_and_b32_e32 v1, 0xffff, v0
	v_or_b32_e32 v4, 0x10000, v0
	s_delay_alu instid0(VALU_DEP_2) | instskip(NEXT) | instid1(VALU_DEP_1)
	v_cmp_eq_u32_e64 s0, 0, v1
	v_cndmask_b32_e64 v4, v4, v0, s0
; %bb.553:                              ;   in Loop: Header=BB203_31 Depth=1
	s_or_b32 exec_lo, exec_lo, s7
	v_lshlrev_b32_e32 v0, 16, v12
                                        ; implicit-def: $vgpr86
	s_delay_alu instid0(VALU_DEP_1) | instskip(NEXT) | instid1(VALU_DEP_1)
	v_mul_f32_e32 v0, v41, v0
	v_and_b32_e32 v1, 0x7f800000, v0
	s_delay_alu instid0(VALU_DEP_1) | instskip(NEXT) | instid1(VALU_DEP_1)
	v_cmp_ne_u32_e64 s0, 0x7f800000, v1
	s_and_saveexec_b32 s7, s0
	s_delay_alu instid0(SALU_CYCLE_1)
	s_xor_b32 s0, exec_lo, s7
; %bb.554:                              ;   in Loop: Header=BB203_31 Depth=1
	v_bfe_u32 v1, v0, 16, 1
	s_delay_alu instid0(VALU_DEP_1)
	v_add3_u32 v86, v0, v1, 0x7fff
                                        ; implicit-def: $vgpr0
; %bb.555:                              ;   in Loop: Header=BB203_31 Depth=1
	s_and_not1_saveexec_b32 s7, s0
; %bb.556:                              ;   in Loop: Header=BB203_31 Depth=1
	v_and_b32_e32 v1, 0xffff, v0
	v_or_b32_e32 v12, 0x10000, v0
	s_delay_alu instid0(VALU_DEP_2) | instskip(NEXT) | instid1(VALU_DEP_1)
	v_cmp_eq_u32_e64 s0, 0, v1
	v_cndmask_b32_e64 v86, v12, v0, s0
; %bb.557:                              ;   in Loop: Header=BB203_31 Depth=1
	s_or_b32 exec_lo, exec_lo, s7
	v_lshlrev_b32_e32 v0, 16, v2
                                        ; implicit-def: $vgpr12
	s_delay_alu instid0(VALU_DEP_1) | instskip(NEXT) | instid1(VALU_DEP_1)
	v_mul_f32_e32 v0, v42, v0
	v_and_b32_e32 v1, 0x7f800000, v0
	s_delay_alu instid0(VALU_DEP_1) | instskip(NEXT) | instid1(VALU_DEP_1)
	v_cmp_ne_u32_e64 s0, 0x7f800000, v1
	s_and_saveexec_b32 s7, s0
	s_delay_alu instid0(SALU_CYCLE_1)
	s_xor_b32 s0, exec_lo, s7
; %bb.558:                              ;   in Loop: Header=BB203_31 Depth=1
	v_bfe_u32 v1, v0, 16, 1
	s_delay_alu instid0(VALU_DEP_1)
	v_add3_u32 v12, v0, v1, 0x7fff
                                        ; implicit-def: $vgpr0
; %bb.559:                              ;   in Loop: Header=BB203_31 Depth=1
	s_and_not1_saveexec_b32 s7, s0
; %bb.560:                              ;   in Loop: Header=BB203_31 Depth=1
	v_and_b32_e32 v1, 0xffff, v0
	v_or_b32_e32 v2, 0x10000, v0
	s_delay_alu instid0(VALU_DEP_2) | instskip(NEXT) | instid1(VALU_DEP_1)
	v_cmp_eq_u32_e64 s0, 0, v1
	v_cndmask_b32_e64 v12, v2, v0, s0
; %bb.561:                              ;   in Loop: Header=BB203_31 Depth=1
	s_or_b32 exec_lo, exec_lo, s7
	v_lshlrev_b32_e32 v0, 16, v9
                                        ; implicit-def: $vgpr64
	s_delay_alu instid0(VALU_DEP_1) | instskip(NEXT) | instid1(VALU_DEP_1)
	v_mul_f32_e32 v0, v43, v0
	v_and_b32_e32 v1, 0x7f800000, v0
	s_delay_alu instid0(VALU_DEP_1) | instskip(NEXT) | instid1(VALU_DEP_1)
	v_cmp_ne_u32_e64 s0, 0x7f800000, v1
	s_and_saveexec_b32 s7, s0
	s_delay_alu instid0(SALU_CYCLE_1)
	s_xor_b32 s0, exec_lo, s7
; %bb.562:                              ;   in Loop: Header=BB203_31 Depth=1
	v_bfe_u32 v1, v0, 16, 1
	s_delay_alu instid0(VALU_DEP_1)
	v_add3_u32 v64, v0, v1, 0x7fff
                                        ; implicit-def: $vgpr0
; %bb.563:                              ;   in Loop: Header=BB203_31 Depth=1
	s_and_not1_saveexec_b32 s7, s0
; %bb.564:                              ;   in Loop: Header=BB203_31 Depth=1
	v_and_b32_e32 v1, 0xffff, v0
	v_or_b32_e32 v2, 0x10000, v0
	s_delay_alu instid0(VALU_DEP_2) | instskip(NEXT) | instid1(VALU_DEP_1)
	v_cmp_eq_u32_e64 s0, 0, v1
	v_cndmask_b32_e64 v64, v2, v0, s0
; %bb.565:                              ;   in Loop: Header=BB203_31 Depth=1
	s_or_b32 exec_lo, exec_lo, s7
	v_lshlrev_b32_e32 v0, 16, v3
                                        ; implicit-def: $vgpr21
	s_delay_alu instid0(VALU_DEP_1) | instskip(NEXT) | instid1(VALU_DEP_1)
	v_mul_f32_e32 v0, v44, v0
	v_and_b32_e32 v1, 0x7f800000, v0
	s_delay_alu instid0(VALU_DEP_1) | instskip(NEXT) | instid1(VALU_DEP_1)
	v_cmp_ne_u32_e64 s0, 0x7f800000, v1
	s_and_saveexec_b32 s7, s0
	s_delay_alu instid0(SALU_CYCLE_1)
	s_xor_b32 s0, exec_lo, s7
; %bb.566:                              ;   in Loop: Header=BB203_31 Depth=1
	v_bfe_u32 v1, v0, 16, 1
	s_delay_alu instid0(VALU_DEP_1)
	v_add3_u32 v21, v0, v1, 0x7fff
                                        ; implicit-def: $vgpr0
; %bb.567:                              ;   in Loop: Header=BB203_31 Depth=1
	s_and_not1_saveexec_b32 s7, s0
; %bb.568:                              ;   in Loop: Header=BB203_31 Depth=1
	v_and_b32_e32 v1, 0xffff, v0
	v_or_b32_e32 v2, 0x10000, v0
	s_delay_alu instid0(VALU_DEP_2) | instskip(NEXT) | instid1(VALU_DEP_1)
	v_cmp_eq_u32_e64 s0, 0, v1
	v_cndmask_b32_e64 v21, v2, v0, s0
; %bb.569:                              ;   in Loop: Header=BB203_31 Depth=1
	s_or_b32 exec_lo, exec_lo, s7
	v_lshlrev_b32_e32 v0, 16, v8
                                        ; implicit-def: $vgpr65
	s_delay_alu instid0(VALU_DEP_1) | instskip(NEXT) | instid1(VALU_DEP_1)
	v_mul_f32_e32 v0, v45, v0
	v_and_b32_e32 v1, 0x7f800000, v0
	s_delay_alu instid0(VALU_DEP_1) | instskip(NEXT) | instid1(VALU_DEP_1)
	v_cmp_ne_u32_e64 s0, 0x7f800000, v1
	s_and_saveexec_b32 s7, s0
	s_delay_alu instid0(SALU_CYCLE_1)
	s_xor_b32 s0, exec_lo, s7
; %bb.570:                              ;   in Loop: Header=BB203_31 Depth=1
	v_bfe_u32 v1, v0, 16, 1
	s_delay_alu instid0(VALU_DEP_1)
	v_add3_u32 v65, v0, v1, 0x7fff
                                        ; implicit-def: $vgpr0
; %bb.571:                              ;   in Loop: Header=BB203_31 Depth=1
	s_and_not1_saveexec_b32 s7, s0
; %bb.572:                              ;   in Loop: Header=BB203_31 Depth=1
	v_and_b32_e32 v1, 0xffff, v0
	v_or_b32_e32 v2, 0x10000, v0
	s_delay_alu instid0(VALU_DEP_2) | instskip(NEXT) | instid1(VALU_DEP_1)
	v_cmp_eq_u32_e64 s0, 0, v1
	v_cndmask_b32_e64 v65, v2, v0, s0
; %bb.573:                              ;   in Loop: Header=BB203_31 Depth=1
	s_or_b32 exec_lo, exec_lo, s7
	scratch_load_b32 v0, off, s32 offset:552 ; 4-byte Folded Reload
	s_waitcnt vmcnt(0)
	v_add_co_u32 v0, s0, v180, v0
	s_delay_alu instid0(VALU_DEP_1)
	v_add_co_ci_u32_e64 v1, s0, 0, v181, s0
	flat_load_b128 v[0:3], v[0:1]
	s_waitcnt vmcnt(0) lgkmcnt(0)
	v_lshrrev_b32_e32 v16, 16, v0
	v_lshrrev_b32_e32 v13, 16, v1
	;; [unrolled: 1-line block ×4, first 2 shown]
	s_and_saveexec_b32 s7, vcc_lo
	s_cbranch_execz .LBB203_575
; %bb.574:                              ;   in Loop: Header=BB203_31 Depth=1
	v_cmp_lt_i32_e64 s0, v165, v87
	s_delay_alu instid0(VALU_DEP_1) | instskip(SKIP_1) | instid1(VALU_DEP_1)
	v_cndmask_b32_e64 v0, 0, v0, s0
	v_cmp_lt_i32_e64 s0, v179, v87
	v_cndmask_b32_e64 v16, 0, v16, s0
	v_cmp_lt_i32_e64 s0, v178, v87
	s_delay_alu instid0(VALU_DEP_1) | instskip(SKIP_1) | instid1(VALU_DEP_1)
	v_cndmask_b32_e64 v1, 0, v1, s0
	v_cmp_lt_i32_e64 s0, v177, v87
	v_cndmask_b32_e64 v13, 0, v13, s0
	;; [unrolled: 5-line block ×4, first 2 shown]
.LBB203_575:                            ;   in Loop: Header=BB203_31 Depth=1
	s_or_b32 exec_lo, exec_lo, s7
	v_lshlrev_b32_e32 v0, 16, v0
                                        ; implicit-def: $vgpr66
	s_delay_alu instid0(VALU_DEP_1) | instskip(NEXT) | instid1(VALU_DEP_1)
	v_mul_f32_e32 v0, v182, v0
	v_and_b32_e32 v22, 0x7f800000, v0
	s_delay_alu instid0(VALU_DEP_1) | instskip(NEXT) | instid1(VALU_DEP_1)
	v_cmp_ne_u32_e64 s0, 0x7f800000, v22
	s_and_saveexec_b32 s7, s0
	s_delay_alu instid0(SALU_CYCLE_1)
	s_xor_b32 s0, exec_lo, s7
; %bb.576:                              ;   in Loop: Header=BB203_31 Depth=1
	v_bfe_u32 v22, v0, 16, 1
	s_delay_alu instid0(VALU_DEP_1)
	v_add3_u32 v66, v0, v22, 0x7fff
                                        ; implicit-def: $vgpr0
; %bb.577:                              ;   in Loop: Header=BB203_31 Depth=1
	s_and_not1_saveexec_b32 s7, s0
; %bb.578:                              ;   in Loop: Header=BB203_31 Depth=1
	v_and_b32_e32 v22, 0xffff, v0
	v_or_b32_e32 v54, 0x10000, v0
	s_delay_alu instid0(VALU_DEP_2) | instskip(NEXT) | instid1(VALU_DEP_1)
	v_cmp_eq_u32_e64 s0, 0, v22
	v_cndmask_b32_e64 v66, v54, v0, s0
; %bb.579:                              ;   in Loop: Header=BB203_31 Depth=1
	s_or_b32 exec_lo, exec_lo, s7
	v_lshlrev_b32_e32 v0, 16, v16
                                        ; implicit-def: $vgpr67
	s_delay_alu instid0(VALU_DEP_1) | instskip(NEXT) | instid1(VALU_DEP_1)
	v_mul_f32_e32 v0, v183, v0
	v_and_b32_e32 v16, 0x7f800000, v0
	s_delay_alu instid0(VALU_DEP_1) | instskip(NEXT) | instid1(VALU_DEP_1)
	v_cmp_ne_u32_e64 s0, 0x7f800000, v16
	s_and_saveexec_b32 s7, s0
	s_delay_alu instid0(SALU_CYCLE_1)
	s_xor_b32 s0, exec_lo, s7
; %bb.580:                              ;   in Loop: Header=BB203_31 Depth=1
	v_bfe_u32 v16, v0, 16, 1
	s_delay_alu instid0(VALU_DEP_1)
	v_add3_u32 v67, v0, v16, 0x7fff
                                        ; implicit-def: $vgpr0
; %bb.581:                              ;   in Loop: Header=BB203_31 Depth=1
	s_and_not1_saveexec_b32 s7, s0
; %bb.582:                              ;   in Loop: Header=BB203_31 Depth=1
	v_and_b32_e32 v16, 0xffff, v0
	v_or_b32_e32 v22, 0x10000, v0
	s_delay_alu instid0(VALU_DEP_2) | instskip(NEXT) | instid1(VALU_DEP_1)
	v_cmp_eq_u32_e64 s0, 0, v16
	v_cndmask_b32_e64 v67, v22, v0, s0
; %bb.583:                              ;   in Loop: Header=BB203_31 Depth=1
	s_or_b32 exec_lo, exec_lo, s7
	v_lshlrev_b32_e32 v0, 16, v1
                                        ; implicit-def: $vgpr68
	s_delay_alu instid0(VALU_DEP_1) | instskip(NEXT) | instid1(VALU_DEP_1)
	v_mul_f32_e32 v0, v40, v0
	v_and_b32_e32 v1, 0x7f800000, v0
	s_delay_alu instid0(VALU_DEP_1) | instskip(NEXT) | instid1(VALU_DEP_1)
	v_cmp_ne_u32_e64 s0, 0x7f800000, v1
	s_and_saveexec_b32 s7, s0
	s_delay_alu instid0(SALU_CYCLE_1)
	s_xor_b32 s0, exec_lo, s7
; %bb.584:                              ;   in Loop: Header=BB203_31 Depth=1
	v_bfe_u32 v1, v0, 16, 1
	s_delay_alu instid0(VALU_DEP_1)
	v_add3_u32 v68, v0, v1, 0x7fff
                                        ; implicit-def: $vgpr0
; %bb.585:                              ;   in Loop: Header=BB203_31 Depth=1
	s_and_not1_saveexec_b32 s7, s0
; %bb.586:                              ;   in Loop: Header=BB203_31 Depth=1
	v_and_b32_e32 v1, 0xffff, v0
	v_or_b32_e32 v16, 0x10000, v0
	s_delay_alu instid0(VALU_DEP_2) | instskip(NEXT) | instid1(VALU_DEP_1)
	v_cmp_eq_u32_e64 s0, 0, v1
	v_cndmask_b32_e64 v68, v16, v0, s0
; %bb.587:                              ;   in Loop: Header=BB203_31 Depth=1
	s_or_b32 exec_lo, exec_lo, s7
	v_lshlrev_b32_e32 v0, 16, v13
                                        ; implicit-def: $vgpr69
	s_delay_alu instid0(VALU_DEP_1) | instskip(NEXT) | instid1(VALU_DEP_1)
	v_mul_f32_e32 v0, v41, v0
	v_and_b32_e32 v1, 0x7f800000, v0
	s_delay_alu instid0(VALU_DEP_1) | instskip(NEXT) | instid1(VALU_DEP_1)
	v_cmp_ne_u32_e64 s0, 0x7f800000, v1
	s_and_saveexec_b32 s7, s0
	s_delay_alu instid0(SALU_CYCLE_1)
	s_xor_b32 s0, exec_lo, s7
; %bb.588:                              ;   in Loop: Header=BB203_31 Depth=1
	v_bfe_u32 v1, v0, 16, 1
	s_delay_alu instid0(VALU_DEP_1)
	v_add3_u32 v69, v0, v1, 0x7fff
                                        ; implicit-def: $vgpr0
; %bb.589:                              ;   in Loop: Header=BB203_31 Depth=1
	s_and_not1_saveexec_b32 s7, s0
; %bb.590:                              ;   in Loop: Header=BB203_31 Depth=1
	v_and_b32_e32 v1, 0xffff, v0
	v_or_b32_e32 v13, 0x10000, v0
	s_delay_alu instid0(VALU_DEP_2) | instskip(NEXT) | instid1(VALU_DEP_1)
	v_cmp_eq_u32_e64 s0, 0, v1
	v_cndmask_b32_e64 v69, v13, v0, s0
; %bb.591:                              ;   in Loop: Header=BB203_31 Depth=1
	s_or_b32 exec_lo, exec_lo, s7
	v_lshlrev_b32_e32 v0, 16, v2
                                        ; implicit-def: $vgpr70
	s_delay_alu instid0(VALU_DEP_1) | instskip(NEXT) | instid1(VALU_DEP_1)
	v_mul_f32_e32 v0, v42, v0
	v_and_b32_e32 v1, 0x7f800000, v0
	s_delay_alu instid0(VALU_DEP_1) | instskip(NEXT) | instid1(VALU_DEP_1)
	v_cmp_ne_u32_e64 s0, 0x7f800000, v1
	s_and_saveexec_b32 s7, s0
	s_delay_alu instid0(SALU_CYCLE_1)
	s_xor_b32 s0, exec_lo, s7
; %bb.592:                              ;   in Loop: Header=BB203_31 Depth=1
	v_bfe_u32 v1, v0, 16, 1
	s_delay_alu instid0(VALU_DEP_1)
	v_add3_u32 v70, v0, v1, 0x7fff
                                        ; implicit-def: $vgpr0
; %bb.593:                              ;   in Loop: Header=BB203_31 Depth=1
	s_and_not1_saveexec_b32 s7, s0
; %bb.594:                              ;   in Loop: Header=BB203_31 Depth=1
	v_and_b32_e32 v1, 0xffff, v0
	v_or_b32_e32 v2, 0x10000, v0
	s_delay_alu instid0(VALU_DEP_2) | instskip(NEXT) | instid1(VALU_DEP_1)
	v_cmp_eq_u32_e64 s0, 0, v1
	v_cndmask_b32_e64 v70, v2, v0, s0
; %bb.595:                              ;   in Loop: Header=BB203_31 Depth=1
	s_or_b32 exec_lo, exec_lo, s7
	v_lshlrev_b32_e32 v0, 16, v9
                                        ; implicit-def: $vgpr71
	s_delay_alu instid0(VALU_DEP_1) | instskip(NEXT) | instid1(VALU_DEP_1)
	v_mul_f32_e32 v0, v43, v0
	v_and_b32_e32 v1, 0x7f800000, v0
	s_delay_alu instid0(VALU_DEP_1) | instskip(NEXT) | instid1(VALU_DEP_1)
	v_cmp_ne_u32_e64 s0, 0x7f800000, v1
	s_and_saveexec_b32 s7, s0
	s_delay_alu instid0(SALU_CYCLE_1)
	s_xor_b32 s0, exec_lo, s7
; %bb.596:                              ;   in Loop: Header=BB203_31 Depth=1
	v_bfe_u32 v1, v0, 16, 1
	s_delay_alu instid0(VALU_DEP_1)
	v_add3_u32 v71, v0, v1, 0x7fff
                                        ; implicit-def: $vgpr0
; %bb.597:                              ;   in Loop: Header=BB203_31 Depth=1
	s_and_not1_saveexec_b32 s7, s0
; %bb.598:                              ;   in Loop: Header=BB203_31 Depth=1
	v_and_b32_e32 v1, 0xffff, v0
	v_or_b32_e32 v2, 0x10000, v0
	s_delay_alu instid0(VALU_DEP_2) | instskip(NEXT) | instid1(VALU_DEP_1)
	v_cmp_eq_u32_e64 s0, 0, v1
	v_cndmask_b32_e64 v71, v2, v0, s0
; %bb.599:                              ;   in Loop: Header=BB203_31 Depth=1
	s_or_b32 exec_lo, exec_lo, s7
	v_lshlrev_b32_e32 v0, 16, v3
                                        ; implicit-def: $vgpr80
	s_delay_alu instid0(VALU_DEP_1) | instskip(NEXT) | instid1(VALU_DEP_1)
	v_mul_f32_e32 v0, v44, v0
	v_and_b32_e32 v1, 0x7f800000, v0
	s_delay_alu instid0(VALU_DEP_1) | instskip(NEXT) | instid1(VALU_DEP_1)
	v_cmp_ne_u32_e64 s0, 0x7f800000, v1
	s_and_saveexec_b32 s7, s0
	s_delay_alu instid0(SALU_CYCLE_1)
	s_xor_b32 s0, exec_lo, s7
; %bb.600:                              ;   in Loop: Header=BB203_31 Depth=1
	v_bfe_u32 v1, v0, 16, 1
	s_delay_alu instid0(VALU_DEP_1)
	v_add3_u32 v80, v0, v1, 0x7fff
                                        ; implicit-def: $vgpr0
; %bb.601:                              ;   in Loop: Header=BB203_31 Depth=1
	s_and_not1_saveexec_b32 s7, s0
; %bb.602:                              ;   in Loop: Header=BB203_31 Depth=1
	v_and_b32_e32 v1, 0xffff, v0
	v_or_b32_e32 v2, 0x10000, v0
	s_delay_alu instid0(VALU_DEP_2) | instskip(NEXT) | instid1(VALU_DEP_1)
	v_cmp_eq_u32_e64 s0, 0, v1
	v_cndmask_b32_e64 v80, v2, v0, s0
; %bb.603:                              ;   in Loop: Header=BB203_31 Depth=1
	s_or_b32 exec_lo, exec_lo, s7
	v_lshlrev_b32_e32 v0, 16, v8
                                        ; implicit-def: $vgpr81
	s_delay_alu instid0(VALU_DEP_1) | instskip(NEXT) | instid1(VALU_DEP_1)
	v_mul_f32_e32 v0, v45, v0
	v_and_b32_e32 v1, 0x7f800000, v0
	s_delay_alu instid0(VALU_DEP_1) | instskip(NEXT) | instid1(VALU_DEP_1)
	v_cmp_ne_u32_e64 s0, 0x7f800000, v1
	s_and_saveexec_b32 s7, s0
	s_delay_alu instid0(SALU_CYCLE_1)
	s_xor_b32 s0, exec_lo, s7
; %bb.604:                              ;   in Loop: Header=BB203_31 Depth=1
	v_bfe_u32 v1, v0, 16, 1
	s_delay_alu instid0(VALU_DEP_1)
	v_add3_u32 v81, v0, v1, 0x7fff
                                        ; implicit-def: $vgpr0
; %bb.605:                              ;   in Loop: Header=BB203_31 Depth=1
	s_and_not1_saveexec_b32 s7, s0
; %bb.606:                              ;   in Loop: Header=BB203_31 Depth=1
	v_and_b32_e32 v1, 0xffff, v0
	v_or_b32_e32 v2, 0x10000, v0
	s_delay_alu instid0(VALU_DEP_2) | instskip(NEXT) | instid1(VALU_DEP_1)
	v_cmp_eq_u32_e64 s0, 0, v1
	v_cndmask_b32_e64 v81, v2, v0, s0
; %bb.607:                              ;   in Loop: Header=BB203_31 Depth=1
	s_or_b32 exec_lo, exec_lo, s7
	scratch_load_b32 v0, off, s32 offset:556 ; 4-byte Folded Reload
	s_waitcnt vmcnt(0)
	v_add_co_u32 v0, s0, v180, v0
	s_delay_alu instid0(VALU_DEP_1)
	v_add_co_ci_u32_e64 v1, s0, 0, v181, s0
	flat_load_b128 v[0:3], v[0:1]
	s_waitcnt vmcnt(0) lgkmcnt(0)
	v_lshrrev_b32_e32 v16, 16, v0
	v_lshrrev_b32_e32 v13, 16, v1
	;; [unrolled: 1-line block ×4, first 2 shown]
	s_and_saveexec_b32 s7, vcc_lo
	s_cbranch_execz .LBB203_609
; %bb.608:                              ;   in Loop: Header=BB203_31 Depth=1
	v_cmp_lt_i32_e64 s0, v165, v87
	s_delay_alu instid0(VALU_DEP_1) | instskip(SKIP_1) | instid1(VALU_DEP_1)
	v_cndmask_b32_e64 v0, 0, v0, s0
	v_cmp_lt_i32_e64 s0, v179, v87
	v_cndmask_b32_e64 v16, 0, v16, s0
	v_cmp_lt_i32_e64 s0, v178, v87
	s_delay_alu instid0(VALU_DEP_1) | instskip(SKIP_1) | instid1(VALU_DEP_1)
	v_cndmask_b32_e64 v1, 0, v1, s0
	v_cmp_lt_i32_e64 s0, v177, v87
	v_cndmask_b32_e64 v13, 0, v13, s0
	;; [unrolled: 5-line block ×4, first 2 shown]
.LBB203_609:                            ;   in Loop: Header=BB203_31 Depth=1
	s_or_b32 exec_lo, exec_lo, s7
	v_lshlrev_b32_e32 v0, 16, v0
                                        ; implicit-def: $vgpr82
	s_delay_alu instid0(VALU_DEP_1) | instskip(NEXT) | instid1(VALU_DEP_1)
	v_mul_f32_e32 v0, v182, v0
	v_and_b32_e32 v22, 0x7f800000, v0
	s_delay_alu instid0(VALU_DEP_1) | instskip(NEXT) | instid1(VALU_DEP_1)
	v_cmp_ne_u32_e64 s0, 0x7f800000, v22
	s_and_saveexec_b32 s7, s0
	s_delay_alu instid0(SALU_CYCLE_1)
	s_xor_b32 s0, exec_lo, s7
; %bb.610:                              ;   in Loop: Header=BB203_31 Depth=1
	v_bfe_u32 v22, v0, 16, 1
	s_delay_alu instid0(VALU_DEP_1)
	v_add3_u32 v82, v0, v22, 0x7fff
                                        ; implicit-def: $vgpr0
; %bb.611:                              ;   in Loop: Header=BB203_31 Depth=1
	s_and_not1_saveexec_b32 s7, s0
; %bb.612:                              ;   in Loop: Header=BB203_31 Depth=1
	v_and_b32_e32 v22, 0xffff, v0
	v_or_b32_e32 v54, 0x10000, v0
	s_delay_alu instid0(VALU_DEP_2) | instskip(NEXT) | instid1(VALU_DEP_1)
	v_cmp_eq_u32_e64 s0, 0, v22
	v_cndmask_b32_e64 v82, v54, v0, s0
; %bb.613:                              ;   in Loop: Header=BB203_31 Depth=1
	s_or_b32 exec_lo, exec_lo, s7
	v_lshlrev_b32_e32 v0, 16, v16
                                        ; implicit-def: $vgpr83
	s_delay_alu instid0(VALU_DEP_1) | instskip(NEXT) | instid1(VALU_DEP_1)
	v_mul_f32_e32 v0, v183, v0
	v_and_b32_e32 v16, 0x7f800000, v0
	s_delay_alu instid0(VALU_DEP_1) | instskip(NEXT) | instid1(VALU_DEP_1)
	v_cmp_ne_u32_e64 s0, 0x7f800000, v16
	s_and_saveexec_b32 s7, s0
	s_delay_alu instid0(SALU_CYCLE_1)
	s_xor_b32 s0, exec_lo, s7
; %bb.614:                              ;   in Loop: Header=BB203_31 Depth=1
	v_bfe_u32 v16, v0, 16, 1
	s_delay_alu instid0(VALU_DEP_1)
	v_add3_u32 v83, v0, v16, 0x7fff
                                        ; implicit-def: $vgpr0
; %bb.615:                              ;   in Loop: Header=BB203_31 Depth=1
	s_and_not1_saveexec_b32 s7, s0
; %bb.616:                              ;   in Loop: Header=BB203_31 Depth=1
	v_and_b32_e32 v16, 0xffff, v0
	v_or_b32_e32 v22, 0x10000, v0
	s_delay_alu instid0(VALU_DEP_2) | instskip(NEXT) | instid1(VALU_DEP_1)
	v_cmp_eq_u32_e64 s0, 0, v16
	v_cndmask_b32_e64 v83, v22, v0, s0
; %bb.617:                              ;   in Loop: Header=BB203_31 Depth=1
	s_or_b32 exec_lo, exec_lo, s7
	v_lshlrev_b32_e32 v0, 16, v1
                                        ; implicit-def: $vgpr84
	s_delay_alu instid0(VALU_DEP_1) | instskip(NEXT) | instid1(VALU_DEP_1)
	v_mul_f32_e32 v0, v40, v0
	v_and_b32_e32 v1, 0x7f800000, v0
	s_delay_alu instid0(VALU_DEP_1) | instskip(NEXT) | instid1(VALU_DEP_1)
	v_cmp_ne_u32_e64 s0, 0x7f800000, v1
	s_and_saveexec_b32 s7, s0
	s_delay_alu instid0(SALU_CYCLE_1)
	s_xor_b32 s0, exec_lo, s7
; %bb.618:                              ;   in Loop: Header=BB203_31 Depth=1
	v_bfe_u32 v1, v0, 16, 1
	s_delay_alu instid0(VALU_DEP_1)
	v_add3_u32 v84, v0, v1, 0x7fff
                                        ; implicit-def: $vgpr0
; %bb.619:                              ;   in Loop: Header=BB203_31 Depth=1
	s_and_not1_saveexec_b32 s7, s0
; %bb.620:                              ;   in Loop: Header=BB203_31 Depth=1
	v_and_b32_e32 v1, 0xffff, v0
	v_or_b32_e32 v16, 0x10000, v0
	s_delay_alu instid0(VALU_DEP_2) | instskip(NEXT) | instid1(VALU_DEP_1)
	v_cmp_eq_u32_e64 s0, 0, v1
	v_cndmask_b32_e64 v84, v16, v0, s0
; %bb.621:                              ;   in Loop: Header=BB203_31 Depth=1
	s_or_b32 exec_lo, exec_lo, s7
	v_lshlrev_b32_e32 v0, 16, v13
                                        ; implicit-def: $vgpr85
	s_delay_alu instid0(VALU_DEP_1) | instskip(NEXT) | instid1(VALU_DEP_1)
	v_mul_f32_e32 v0, v41, v0
	v_and_b32_e32 v1, 0x7f800000, v0
	s_delay_alu instid0(VALU_DEP_1) | instskip(NEXT) | instid1(VALU_DEP_1)
	v_cmp_ne_u32_e64 s0, 0x7f800000, v1
	s_and_saveexec_b32 s7, s0
	s_delay_alu instid0(SALU_CYCLE_1)
	s_xor_b32 s0, exec_lo, s7
; %bb.622:                              ;   in Loop: Header=BB203_31 Depth=1
	v_bfe_u32 v1, v0, 16, 1
	s_delay_alu instid0(VALU_DEP_1)
	v_add3_u32 v85, v0, v1, 0x7fff
                                        ; implicit-def: $vgpr0
; %bb.623:                              ;   in Loop: Header=BB203_31 Depth=1
	s_and_not1_saveexec_b32 s7, s0
; %bb.624:                              ;   in Loop: Header=BB203_31 Depth=1
	v_and_b32_e32 v1, 0xffff, v0
	v_or_b32_e32 v13, 0x10000, v0
	s_delay_alu instid0(VALU_DEP_2) | instskip(NEXT) | instid1(VALU_DEP_1)
	v_cmp_eq_u32_e64 s0, 0, v1
	v_cndmask_b32_e64 v85, v13, v0, s0
; %bb.625:                              ;   in Loop: Header=BB203_31 Depth=1
	s_or_b32 exec_lo, exec_lo, s7
	v_lshlrev_b32_e32 v0, 16, v2
                                        ; implicit-def: $vgpr97
	s_delay_alu instid0(VALU_DEP_1) | instskip(NEXT) | instid1(VALU_DEP_1)
	v_mul_f32_e32 v0, v42, v0
	v_and_b32_e32 v1, 0x7f800000, v0
	s_delay_alu instid0(VALU_DEP_1) | instskip(NEXT) | instid1(VALU_DEP_1)
	v_cmp_ne_u32_e64 s0, 0x7f800000, v1
	s_and_saveexec_b32 s7, s0
	s_delay_alu instid0(SALU_CYCLE_1)
	s_xor_b32 s0, exec_lo, s7
; %bb.626:                              ;   in Loop: Header=BB203_31 Depth=1
	v_bfe_u32 v1, v0, 16, 1
	s_delay_alu instid0(VALU_DEP_1)
	v_add3_u32 v97, v0, v1, 0x7fff
                                        ; implicit-def: $vgpr0
; %bb.627:                              ;   in Loop: Header=BB203_31 Depth=1
	s_and_not1_saveexec_b32 s7, s0
; %bb.628:                              ;   in Loop: Header=BB203_31 Depth=1
	v_and_b32_e32 v1, 0xffff, v0
	v_or_b32_e32 v2, 0x10000, v0
	s_delay_alu instid0(VALU_DEP_2) | instskip(NEXT) | instid1(VALU_DEP_1)
	v_cmp_eq_u32_e64 s0, 0, v1
	v_cndmask_b32_e64 v97, v2, v0, s0
; %bb.629:                              ;   in Loop: Header=BB203_31 Depth=1
	s_or_b32 exec_lo, exec_lo, s7
	v_lshlrev_b32_e32 v0, 16, v9
                                        ; implicit-def: $vgpr98
	s_delay_alu instid0(VALU_DEP_1) | instskip(NEXT) | instid1(VALU_DEP_1)
	v_mul_f32_e32 v0, v43, v0
	v_and_b32_e32 v1, 0x7f800000, v0
	s_delay_alu instid0(VALU_DEP_1) | instskip(NEXT) | instid1(VALU_DEP_1)
	v_cmp_ne_u32_e64 s0, 0x7f800000, v1
	s_and_saveexec_b32 s7, s0
	s_delay_alu instid0(SALU_CYCLE_1)
	s_xor_b32 s0, exec_lo, s7
; %bb.630:                              ;   in Loop: Header=BB203_31 Depth=1
	v_bfe_u32 v1, v0, 16, 1
	s_delay_alu instid0(VALU_DEP_1)
	v_add3_u32 v98, v0, v1, 0x7fff
                                        ; implicit-def: $vgpr0
; %bb.631:                              ;   in Loop: Header=BB203_31 Depth=1
	s_and_not1_saveexec_b32 s7, s0
; %bb.632:                              ;   in Loop: Header=BB203_31 Depth=1
	v_and_b32_e32 v1, 0xffff, v0
	v_or_b32_e32 v2, 0x10000, v0
	s_delay_alu instid0(VALU_DEP_2) | instskip(NEXT) | instid1(VALU_DEP_1)
	v_cmp_eq_u32_e64 s0, 0, v1
	v_cndmask_b32_e64 v98, v2, v0, s0
; %bb.633:                              ;   in Loop: Header=BB203_31 Depth=1
	s_or_b32 exec_lo, exec_lo, s7
	v_lshlrev_b32_e32 v0, 16, v3
                                        ; implicit-def: $vgpr99
	s_delay_alu instid0(VALU_DEP_1) | instskip(NEXT) | instid1(VALU_DEP_1)
	v_mul_f32_e32 v0, v44, v0
	v_and_b32_e32 v1, 0x7f800000, v0
	s_delay_alu instid0(VALU_DEP_1) | instskip(NEXT) | instid1(VALU_DEP_1)
	v_cmp_ne_u32_e64 s0, 0x7f800000, v1
	s_and_saveexec_b32 s7, s0
	s_delay_alu instid0(SALU_CYCLE_1)
	s_xor_b32 s0, exec_lo, s7
; %bb.634:                              ;   in Loop: Header=BB203_31 Depth=1
	v_bfe_u32 v1, v0, 16, 1
	s_delay_alu instid0(VALU_DEP_1)
	v_add3_u32 v99, v0, v1, 0x7fff
                                        ; implicit-def: $vgpr0
; %bb.635:                              ;   in Loop: Header=BB203_31 Depth=1
	s_and_not1_saveexec_b32 s7, s0
; %bb.636:                              ;   in Loop: Header=BB203_31 Depth=1
	v_and_b32_e32 v1, 0xffff, v0
	v_or_b32_e32 v2, 0x10000, v0
	s_delay_alu instid0(VALU_DEP_2) | instskip(NEXT) | instid1(VALU_DEP_1)
	v_cmp_eq_u32_e64 s0, 0, v1
	v_cndmask_b32_e64 v99, v2, v0, s0
; %bb.637:                              ;   in Loop: Header=BB203_31 Depth=1
	s_or_b32 exec_lo, exec_lo, s7
	v_lshlrev_b32_e32 v0, 16, v8
                                        ; implicit-def: $vgpr13
	s_delay_alu instid0(VALU_DEP_1) | instskip(NEXT) | instid1(VALU_DEP_1)
	v_mul_f32_e32 v0, v45, v0
	v_and_b32_e32 v1, 0x7f800000, v0
	s_delay_alu instid0(VALU_DEP_1) | instskip(NEXT) | instid1(VALU_DEP_1)
	v_cmp_ne_u32_e64 s0, 0x7f800000, v1
	s_and_saveexec_b32 s7, s0
	s_delay_alu instid0(SALU_CYCLE_1)
	s_xor_b32 s0, exec_lo, s7
; %bb.638:                              ;   in Loop: Header=BB203_31 Depth=1
	v_bfe_u32 v1, v0, 16, 1
	s_delay_alu instid0(VALU_DEP_1)
	v_add3_u32 v13, v0, v1, 0x7fff
                                        ; implicit-def: $vgpr0
; %bb.639:                              ;   in Loop: Header=BB203_31 Depth=1
	s_and_not1_saveexec_b32 s7, s0
; %bb.640:                              ;   in Loop: Header=BB203_31 Depth=1
	v_and_b32_e32 v1, 0xffff, v0
	v_or_b32_e32 v2, 0x10000, v0
	s_delay_alu instid0(VALU_DEP_2) | instskip(NEXT) | instid1(VALU_DEP_1)
	v_cmp_eq_u32_e64 s0, 0, v1
	v_cndmask_b32_e64 v13, v2, v0, s0
; %bb.641:                              ;   in Loop: Header=BB203_31 Depth=1
	s_or_b32 exec_lo, exec_lo, s7
	scratch_load_b32 v0, off, s32 offset:560 ; 4-byte Folded Reload
	s_waitcnt vmcnt(0)
	v_add_co_u32 v0, s0, v180, v0
	s_delay_alu instid0(VALU_DEP_1)
	v_add_co_ci_u32_e64 v1, s0, 0, v181, s0
	flat_load_b128 v[0:3], v[0:1]
	s_waitcnt vmcnt(0) lgkmcnt(0)
	v_lshrrev_b32_e32 v22, 16, v0
	v_lshrrev_b32_e32 v9, 16, v1
	;; [unrolled: 1-line block ×4, first 2 shown]
	s_and_saveexec_b32 s7, vcc_lo
	s_cbranch_execz .LBB203_643
; %bb.642:                              ;   in Loop: Header=BB203_31 Depth=1
	v_cmp_lt_i32_e64 s0, v165, v87
	s_delay_alu instid0(VALU_DEP_1) | instskip(SKIP_1) | instid1(VALU_DEP_1)
	v_cndmask_b32_e64 v0, 0, v0, s0
	v_cmp_lt_i32_e64 s0, v179, v87
	v_cndmask_b32_e64 v22, 0, v22, s0
	v_cmp_lt_i32_e64 s0, v178, v87
	s_delay_alu instid0(VALU_DEP_1) | instskip(SKIP_1) | instid1(VALU_DEP_1)
	v_cndmask_b32_e64 v1, 0, v1, s0
	v_cmp_lt_i32_e64 s0, v177, v87
	v_cndmask_b32_e64 v9, 0, v9, s0
	;; [unrolled: 5-line block ×4, first 2 shown]
.LBB203_643:                            ;   in Loop: Header=BB203_31 Depth=1
	s_or_b32 exec_lo, exec_lo, s7
	v_lshlrev_b32_e32 v0, 16, v0
	s_delay_alu instid0(VALU_DEP_1) | instskip(NEXT) | instid1(VALU_DEP_1)
	v_mul_f32_e32 v0, v182, v0
	v_and_b32_e32 v16, 0x7f800000, v0
	s_delay_alu instid0(VALU_DEP_1) | instskip(NEXT) | instid1(VALU_DEP_1)
	v_cmp_ne_u32_e64 s0, 0x7f800000, v16
                                        ; implicit-def: $vgpr16
	s_and_saveexec_b32 s7, s0
	s_delay_alu instid0(SALU_CYCLE_1)
	s_xor_b32 s0, exec_lo, s7
; %bb.644:                              ;   in Loop: Header=BB203_31 Depth=1
	v_bfe_u32 v16, v0, 16, 1
	s_delay_alu instid0(VALU_DEP_1)
	v_add3_u32 v16, v0, v16, 0x7fff
                                        ; implicit-def: $vgpr0
; %bb.645:                              ;   in Loop: Header=BB203_31 Depth=1
	s_and_not1_saveexec_b32 s7, s0
; %bb.646:                              ;   in Loop: Header=BB203_31 Depth=1
	v_and_b32_e32 v16, 0xffff, v0
	v_or_b32_e32 v54, 0x10000, v0
	s_delay_alu instid0(VALU_DEP_2) | instskip(NEXT) | instid1(VALU_DEP_1)
	v_cmp_eq_u32_e64 s0, 0, v16
	v_cndmask_b32_e64 v16, v54, v0, s0
; %bb.647:                              ;   in Loop: Header=BB203_31 Depth=1
	s_or_b32 exec_lo, exec_lo, s7
	v_lshlrev_b32_e32 v0, 16, v22
                                        ; implicit-def: $vgpr54
	s_delay_alu instid0(VALU_DEP_1) | instskip(NEXT) | instid1(VALU_DEP_1)
	v_mul_f32_e32 v0, v183, v0
	v_and_b32_e32 v22, 0x7f800000, v0
	s_delay_alu instid0(VALU_DEP_1) | instskip(NEXT) | instid1(VALU_DEP_1)
	v_cmp_ne_u32_e64 s0, 0x7f800000, v22
	s_and_saveexec_b32 s7, s0
	s_delay_alu instid0(SALU_CYCLE_1)
	s_xor_b32 s0, exec_lo, s7
; %bb.648:                              ;   in Loop: Header=BB203_31 Depth=1
	v_bfe_u32 v22, v0, 16, 1
	s_delay_alu instid0(VALU_DEP_1)
	v_add3_u32 v54, v0, v22, 0x7fff
                                        ; implicit-def: $vgpr0
; %bb.649:                              ;   in Loop: Header=BB203_31 Depth=1
	s_and_not1_saveexec_b32 s7, s0
; %bb.650:                              ;   in Loop: Header=BB203_31 Depth=1
	v_and_b32_e32 v22, 0xffff, v0
	v_or_b32_e32 v54, 0x10000, v0
	s_delay_alu instid0(VALU_DEP_2) | instskip(NEXT) | instid1(VALU_DEP_1)
	v_cmp_eq_u32_e64 s0, 0, v22
	v_cndmask_b32_e64 v54, v54, v0, s0
; %bb.651:                              ;   in Loop: Header=BB203_31 Depth=1
	s_or_b32 exec_lo, exec_lo, s7
	v_lshlrev_b32_e32 v0, 16, v1
                                        ; implicit-def: $vgpr22
	s_delay_alu instid0(VALU_DEP_1) | instskip(NEXT) | instid1(VALU_DEP_1)
	v_mul_f32_e32 v0, v40, v0
	v_and_b32_e32 v1, 0x7f800000, v0
	s_delay_alu instid0(VALU_DEP_1) | instskip(NEXT) | instid1(VALU_DEP_1)
	v_cmp_ne_u32_e64 s0, 0x7f800000, v1
	s_and_saveexec_b32 s7, s0
	s_delay_alu instid0(SALU_CYCLE_1)
	s_xor_b32 s0, exec_lo, s7
; %bb.652:                              ;   in Loop: Header=BB203_31 Depth=1
	v_bfe_u32 v1, v0, 16, 1
	s_delay_alu instid0(VALU_DEP_1)
	v_add3_u32 v22, v0, v1, 0x7fff
                                        ; implicit-def: $vgpr0
; %bb.653:                              ;   in Loop: Header=BB203_31 Depth=1
	s_and_not1_saveexec_b32 s7, s0
; %bb.654:                              ;   in Loop: Header=BB203_31 Depth=1
	v_and_b32_e32 v1, 0xffff, v0
	v_or_b32_e32 v22, 0x10000, v0
	s_delay_alu instid0(VALU_DEP_2) | instskip(NEXT) | instid1(VALU_DEP_1)
	v_cmp_eq_u32_e64 s0, 0, v1
	v_cndmask_b32_e64 v22, v22, v0, s0
; %bb.655:                              ;   in Loop: Header=BB203_31 Depth=1
	s_or_b32 exec_lo, exec_lo, s7
	v_lshlrev_b32_e32 v0, 16, v9
                                        ; implicit-def: $vgpr96
	s_delay_alu instid0(VALU_DEP_1) | instskip(NEXT) | instid1(VALU_DEP_1)
	v_mul_f32_e32 v0, v41, v0
	v_and_b32_e32 v1, 0x7f800000, v0
	s_delay_alu instid0(VALU_DEP_1) | instskip(NEXT) | instid1(VALU_DEP_1)
	v_cmp_ne_u32_e64 s0, 0x7f800000, v1
	s_and_saveexec_b32 s7, s0
	s_delay_alu instid0(SALU_CYCLE_1)
	s_xor_b32 s0, exec_lo, s7
; %bb.656:                              ;   in Loop: Header=BB203_31 Depth=1
	v_bfe_u32 v1, v0, 16, 1
	s_delay_alu instid0(VALU_DEP_1)
	v_add3_u32 v96, v0, v1, 0x7fff
                                        ; implicit-def: $vgpr0
; %bb.657:                              ;   in Loop: Header=BB203_31 Depth=1
	s_and_not1_saveexec_b32 s7, s0
; %bb.658:                              ;   in Loop: Header=BB203_31 Depth=1
	v_and_b32_e32 v1, 0xffff, v0
	v_or_b32_e32 v9, 0x10000, v0
	s_delay_alu instid0(VALU_DEP_2) | instskip(NEXT) | instid1(VALU_DEP_1)
	v_cmp_eq_u32_e64 s0, 0, v1
	v_cndmask_b32_e64 v96, v9, v0, s0
; %bb.659:                              ;   in Loop: Header=BB203_31 Depth=1
	s_or_b32 exec_lo, exec_lo, s7
	v_lshlrev_b32_e32 v0, 16, v2
                                        ; implicit-def: $vgpr55
	s_delay_alu instid0(VALU_DEP_1) | instskip(NEXT) | instid1(VALU_DEP_1)
	v_mul_f32_e32 v0, v42, v0
	v_and_b32_e32 v1, 0x7f800000, v0
	s_delay_alu instid0(VALU_DEP_1) | instskip(NEXT) | instid1(VALU_DEP_1)
	v_cmp_ne_u32_e64 s0, 0x7f800000, v1
	s_and_saveexec_b32 s7, s0
	s_delay_alu instid0(SALU_CYCLE_1)
	s_xor_b32 s0, exec_lo, s7
; %bb.660:                              ;   in Loop: Header=BB203_31 Depth=1
	v_bfe_u32 v1, v0, 16, 1
	s_delay_alu instid0(VALU_DEP_1)
	v_add3_u32 v55, v0, v1, 0x7fff
                                        ; implicit-def: $vgpr0
; %bb.661:                              ;   in Loop: Header=BB203_31 Depth=1
	s_and_not1_saveexec_b32 s7, s0
; %bb.662:                              ;   in Loop: Header=BB203_31 Depth=1
	v_and_b32_e32 v1, 0xffff, v0
	v_or_b32_e32 v2, 0x10000, v0
	s_delay_alu instid0(VALU_DEP_2) | instskip(NEXT) | instid1(VALU_DEP_1)
	v_cmp_eq_u32_e64 s0, 0, v1
	v_cndmask_b32_e64 v55, v2, v0, s0
; %bb.663:                              ;   in Loop: Header=BB203_31 Depth=1
	s_or_b32 exec_lo, exec_lo, s7
	v_lshlrev_b32_e32 v0, 16, v8
                                        ; implicit-def: $vgpr8
	s_delay_alu instid0(VALU_DEP_1) | instskip(NEXT) | instid1(VALU_DEP_1)
	v_mul_f32_e32 v0, v43, v0
	v_and_b32_e32 v1, 0x7f800000, v0
	s_delay_alu instid0(VALU_DEP_1) | instskip(NEXT) | instid1(VALU_DEP_1)
	v_cmp_ne_u32_e64 s0, 0x7f800000, v1
	s_and_saveexec_b32 s7, s0
	s_delay_alu instid0(SALU_CYCLE_1)
	s_xor_b32 s0, exec_lo, s7
; %bb.664:                              ;   in Loop: Header=BB203_31 Depth=1
	v_bfe_u32 v1, v0, 16, 1
	s_delay_alu instid0(VALU_DEP_1)
	v_add3_u32 v8, v0, v1, 0x7fff
                                        ; implicit-def: $vgpr0
; %bb.665:                              ;   in Loop: Header=BB203_31 Depth=1
	s_and_not1_saveexec_b32 s7, s0
; %bb.666:                              ;   in Loop: Header=BB203_31 Depth=1
	v_and_b32_e32 v1, 0xffff, v0
	v_or_b32_e32 v2, 0x10000, v0
	s_delay_alu instid0(VALU_DEP_2) | instskip(NEXT) | instid1(VALU_DEP_1)
	v_cmp_eq_u32_e64 s0, 0, v1
	v_cndmask_b32_e64 v8, v2, v0, s0
; %bb.667:                              ;   in Loop: Header=BB203_31 Depth=1
	s_or_b32 exec_lo, exec_lo, s7
	v_lshlrev_b32_e32 v0, 16, v3
                                        ; implicit-def: $vgpr9
	s_delay_alu instid0(VALU_DEP_1) | instskip(NEXT) | instid1(VALU_DEP_1)
	v_mul_f32_e32 v0, v44, v0
	v_and_b32_e32 v1, 0x7f800000, v0
	s_delay_alu instid0(VALU_DEP_1) | instskip(NEXT) | instid1(VALU_DEP_1)
	v_cmp_ne_u32_e64 s0, 0x7f800000, v1
	s_and_saveexec_b32 s7, s0
	s_delay_alu instid0(SALU_CYCLE_1)
	s_xor_b32 s0, exec_lo, s7
; %bb.668:                              ;   in Loop: Header=BB203_31 Depth=1
	v_bfe_u32 v1, v0, 16, 1
	s_delay_alu instid0(VALU_DEP_1)
	v_add3_u32 v9, v0, v1, 0x7fff
                                        ; implicit-def: $vgpr0
; %bb.669:                              ;   in Loop: Header=BB203_31 Depth=1
	s_and_not1_saveexec_b32 s7, s0
; %bb.670:                              ;   in Loop: Header=BB203_31 Depth=1
	v_and_b32_e32 v1, 0xffff, v0
	v_or_b32_e32 v2, 0x10000, v0
	s_delay_alu instid0(VALU_DEP_2) | instskip(NEXT) | instid1(VALU_DEP_1)
	v_cmp_eq_u32_e64 s0, 0, v1
	v_cndmask_b32_e64 v9, v2, v0, s0
; %bb.671:                              ;   in Loop: Header=BB203_31 Depth=1
	s_or_b32 exec_lo, exec_lo, s7
	v_lshlrev_b32_e32 v0, 16, v100
                                        ; implicit-def: $vgpr100
	s_delay_alu instid0(VALU_DEP_1) | instskip(NEXT) | instid1(VALU_DEP_1)
	v_mul_f32_e32 v0, v45, v0
	v_and_b32_e32 v1, 0x7f800000, v0
	s_delay_alu instid0(VALU_DEP_1) | instskip(NEXT) | instid1(VALU_DEP_1)
	v_cmp_ne_u32_e64 s0, 0x7f800000, v1
	s_and_saveexec_b32 s7, s0
	s_delay_alu instid0(SALU_CYCLE_1)
	s_xor_b32 s0, exec_lo, s7
; %bb.672:                              ;   in Loop: Header=BB203_31 Depth=1
	v_bfe_u32 v1, v0, 16, 1
	s_delay_alu instid0(VALU_DEP_1)
	v_add3_u32 v100, v0, v1, 0x7fff
                                        ; implicit-def: $vgpr0
; %bb.673:                              ;   in Loop: Header=BB203_31 Depth=1
	s_and_not1_saveexec_b32 s7, s0
; %bb.674:                              ;   in Loop: Header=BB203_31 Depth=1
	v_and_b32_e32 v1, 0xffff, v0
	v_or_b32_e32 v2, 0x10000, v0
	s_delay_alu instid0(VALU_DEP_2) | instskip(NEXT) | instid1(VALU_DEP_1)
	v_cmp_eq_u32_e64 s0, 0, v1
	v_cndmask_b32_e64 v100, v2, v0, s0
; %bb.675:                              ;   in Loop: Header=BB203_31 Depth=1
	s_or_b32 exec_lo, exec_lo, s7
	scratch_load_b32 v0, off, s32 offset:564 ; 4-byte Folded Reload
	s_waitcnt vmcnt(0)
	v_add_co_u32 v0, s0, v180, v0
	s_delay_alu instid0(VALU_DEP_1)
	v_add_co_ci_u32_e64 v1, s0, 0, v181, s0
	flat_load_b128 v[0:3], v[0:1]
	s_waitcnt vmcnt(0) lgkmcnt(0)
	v_lshrrev_b32_e32 v102, 16, v0
	v_lshrrev_b32_e32 v112, 16, v1
	;; [unrolled: 1-line block ×4, first 2 shown]
	s_and_saveexec_b32 s7, vcc_lo
	s_cbranch_execz .LBB203_677
; %bb.676:                              ;   in Loop: Header=BB203_31 Depth=1
	v_cmp_lt_i32_e64 s0, v165, v87
	s_delay_alu instid0(VALU_DEP_1) | instskip(SKIP_1) | instid1(VALU_DEP_1)
	v_cndmask_b32_e64 v0, 0, v0, s0
	v_cmp_lt_i32_e64 s0, v179, v87
	v_cndmask_b32_e64 v102, 0, v102, s0
	v_cmp_lt_i32_e64 s0, v178, v87
	s_delay_alu instid0(VALU_DEP_1) | instskip(SKIP_1) | instid1(VALU_DEP_1)
	v_cndmask_b32_e64 v1, 0, v1, s0
	v_cmp_lt_i32_e64 s0, v177, v87
	v_cndmask_b32_e64 v112, 0, v112, s0
	;; [unrolled: 5-line block ×4, first 2 shown]
.LBB203_677:                            ;   in Loop: Header=BB203_31 Depth=1
	s_or_b32 exec_lo, exec_lo, s7
	v_lshlrev_b32_e32 v0, 16, v0
	s_delay_alu instid0(VALU_DEP_1) | instskip(NEXT) | instid1(VALU_DEP_1)
	v_mul_f32_e32 v0, v182, v0
	v_and_b32_e32 v101, 0x7f800000, v0
	s_delay_alu instid0(VALU_DEP_1) | instskip(NEXT) | instid1(VALU_DEP_1)
	v_cmp_ne_u32_e64 s0, 0x7f800000, v101
                                        ; implicit-def: $vgpr101
	s_and_saveexec_b32 s7, s0
	s_delay_alu instid0(SALU_CYCLE_1)
	s_xor_b32 s0, exec_lo, s7
; %bb.678:                              ;   in Loop: Header=BB203_31 Depth=1
	v_bfe_u32 v101, v0, 16, 1
	s_delay_alu instid0(VALU_DEP_1)
	v_add3_u32 v101, v0, v101, 0x7fff
                                        ; implicit-def: $vgpr0
; %bb.679:                              ;   in Loop: Header=BB203_31 Depth=1
	s_and_not1_saveexec_b32 s7, s0
; %bb.680:                              ;   in Loop: Header=BB203_31 Depth=1
	v_and_b32_e32 v101, 0xffff, v0
	v_or_b32_e32 v103, 0x10000, v0
	s_delay_alu instid0(VALU_DEP_2) | instskip(NEXT) | instid1(VALU_DEP_1)
	v_cmp_eq_u32_e64 s0, 0, v101
	v_cndmask_b32_e64 v101, v103, v0, s0
; %bb.681:                              ;   in Loop: Header=BB203_31 Depth=1
	s_or_b32 exec_lo, exec_lo, s7
	v_lshlrev_b32_e32 v0, 16, v102
	s_delay_alu instid0(VALU_DEP_1) | instskip(NEXT) | instid1(VALU_DEP_1)
	v_mul_f32_e32 v0, v183, v0
	v_and_b32_e32 v102, 0x7f800000, v0
	s_delay_alu instid0(VALU_DEP_1) | instskip(NEXT) | instid1(VALU_DEP_1)
	v_cmp_ne_u32_e64 s0, 0x7f800000, v102
                                        ; implicit-def: $vgpr102
	s_and_saveexec_b32 s7, s0
	s_delay_alu instid0(SALU_CYCLE_1)
	s_xor_b32 s0, exec_lo, s7
; %bb.682:                              ;   in Loop: Header=BB203_31 Depth=1
	v_bfe_u32 v102, v0, 16, 1
	s_delay_alu instid0(VALU_DEP_1)
	v_add3_u32 v102, v0, v102, 0x7fff
                                        ; implicit-def: $vgpr0
; %bb.683:                              ;   in Loop: Header=BB203_31 Depth=1
	s_and_not1_saveexec_b32 s7, s0
; %bb.684:                              ;   in Loop: Header=BB203_31 Depth=1
	v_and_b32_e32 v102, 0xffff, v0
	v_or_b32_e32 v103, 0x10000, v0
	s_delay_alu instid0(VALU_DEP_2) | instskip(NEXT) | instid1(VALU_DEP_1)
	v_cmp_eq_u32_e64 s0, 0, v102
	v_cndmask_b32_e64 v102, v103, v0, s0
; %bb.685:                              ;   in Loop: Header=BB203_31 Depth=1
	s_or_b32 exec_lo, exec_lo, s7
	v_lshlrev_b32_e32 v0, 16, v1
                                        ; implicit-def: $vgpr103
	s_delay_alu instid0(VALU_DEP_1) | instskip(NEXT) | instid1(VALU_DEP_1)
	v_mul_f32_e32 v0, v40, v0
	v_and_b32_e32 v1, 0x7f800000, v0
	s_delay_alu instid0(VALU_DEP_1) | instskip(NEXT) | instid1(VALU_DEP_1)
	v_cmp_ne_u32_e64 s0, 0x7f800000, v1
	s_and_saveexec_b32 s7, s0
	s_delay_alu instid0(SALU_CYCLE_1)
	s_xor_b32 s0, exec_lo, s7
; %bb.686:                              ;   in Loop: Header=BB203_31 Depth=1
	v_bfe_u32 v1, v0, 16, 1
	s_delay_alu instid0(VALU_DEP_1)
	v_add3_u32 v103, v0, v1, 0x7fff
                                        ; implicit-def: $vgpr0
; %bb.687:                              ;   in Loop: Header=BB203_31 Depth=1
	s_and_not1_saveexec_b32 s7, s0
; %bb.688:                              ;   in Loop: Header=BB203_31 Depth=1
	v_and_b32_e32 v1, 0xffff, v0
	v_or_b32_e32 v103, 0x10000, v0
	s_delay_alu instid0(VALU_DEP_2) | instskip(NEXT) | instid1(VALU_DEP_1)
	v_cmp_eq_u32_e64 s0, 0, v1
	v_cndmask_b32_e64 v103, v103, v0, s0
; %bb.689:                              ;   in Loop: Header=BB203_31 Depth=1
	s_or_b32 exec_lo, exec_lo, s7
	v_lshlrev_b32_e32 v0, 16, v112
                                        ; implicit-def: $vgpr112
	s_delay_alu instid0(VALU_DEP_1) | instskip(NEXT) | instid1(VALU_DEP_1)
	v_mul_f32_e32 v0, v41, v0
	v_and_b32_e32 v1, 0x7f800000, v0
	s_delay_alu instid0(VALU_DEP_1) | instskip(NEXT) | instid1(VALU_DEP_1)
	v_cmp_ne_u32_e64 s0, 0x7f800000, v1
	s_and_saveexec_b32 s7, s0
	s_delay_alu instid0(SALU_CYCLE_1)
	s_xor_b32 s0, exec_lo, s7
; %bb.690:                              ;   in Loop: Header=BB203_31 Depth=1
	v_bfe_u32 v1, v0, 16, 1
	s_delay_alu instid0(VALU_DEP_1)
	v_add3_u32 v112, v0, v1, 0x7fff
                                        ; implicit-def: $vgpr0
; %bb.691:                              ;   in Loop: Header=BB203_31 Depth=1
	s_and_not1_saveexec_b32 s7, s0
; %bb.692:                              ;   in Loop: Header=BB203_31 Depth=1
	v_and_b32_e32 v1, 0xffff, v0
	v_or_b32_e32 v112, 0x10000, v0
	s_delay_alu instid0(VALU_DEP_2) | instskip(NEXT) | instid1(VALU_DEP_1)
	v_cmp_eq_u32_e64 s0, 0, v1
	v_cndmask_b32_e64 v112, v112, v0, s0
; %bb.693:                              ;   in Loop: Header=BB203_31 Depth=1
	s_or_b32 exec_lo, exec_lo, s7
	v_lshlrev_b32_e32 v0, 16, v2
                                        ; implicit-def: $vgpr113
	s_delay_alu instid0(VALU_DEP_1) | instskip(NEXT) | instid1(VALU_DEP_1)
	v_mul_f32_e32 v0, v42, v0
	v_and_b32_e32 v1, 0x7f800000, v0
	s_delay_alu instid0(VALU_DEP_1) | instskip(NEXT) | instid1(VALU_DEP_1)
	v_cmp_ne_u32_e64 s0, 0x7f800000, v1
	s_and_saveexec_b32 s7, s0
	s_delay_alu instid0(SALU_CYCLE_1)
	s_xor_b32 s0, exec_lo, s7
; %bb.694:                              ;   in Loop: Header=BB203_31 Depth=1
	v_bfe_u32 v1, v0, 16, 1
	s_delay_alu instid0(VALU_DEP_1)
	v_add3_u32 v113, v0, v1, 0x7fff
                                        ; implicit-def: $vgpr0
; %bb.695:                              ;   in Loop: Header=BB203_31 Depth=1
	s_and_not1_saveexec_b32 s7, s0
; %bb.696:                              ;   in Loop: Header=BB203_31 Depth=1
	v_and_b32_e32 v1, 0xffff, v0
	v_or_b32_e32 v2, 0x10000, v0
	s_delay_alu instid0(VALU_DEP_2) | instskip(NEXT) | instid1(VALU_DEP_1)
	v_cmp_eq_u32_e64 s0, 0, v1
	v_cndmask_b32_e64 v113, v2, v0, s0
; %bb.697:                              ;   in Loop: Header=BB203_31 Depth=1
	s_or_b32 exec_lo, exec_lo, s7
	v_lshlrev_b32_e32 v0, 16, v114
                                        ; implicit-def: $vgpr114
	s_delay_alu instid0(VALU_DEP_1) | instskip(NEXT) | instid1(VALU_DEP_1)
	v_mul_f32_e32 v0, v43, v0
	v_and_b32_e32 v1, 0x7f800000, v0
	s_delay_alu instid0(VALU_DEP_1) | instskip(NEXT) | instid1(VALU_DEP_1)
	v_cmp_ne_u32_e64 s0, 0x7f800000, v1
	s_and_saveexec_b32 s7, s0
	s_delay_alu instid0(SALU_CYCLE_1)
	s_xor_b32 s0, exec_lo, s7
; %bb.698:                              ;   in Loop: Header=BB203_31 Depth=1
	v_bfe_u32 v1, v0, 16, 1
	s_delay_alu instid0(VALU_DEP_1)
	v_add3_u32 v114, v0, v1, 0x7fff
                                        ; implicit-def: $vgpr0
; %bb.699:                              ;   in Loop: Header=BB203_31 Depth=1
	s_and_not1_saveexec_b32 s7, s0
; %bb.700:                              ;   in Loop: Header=BB203_31 Depth=1
	v_and_b32_e32 v1, 0xffff, v0
	v_or_b32_e32 v2, 0x10000, v0
	s_delay_alu instid0(VALU_DEP_2) | instskip(NEXT) | instid1(VALU_DEP_1)
	v_cmp_eq_u32_e64 s0, 0, v1
	v_cndmask_b32_e64 v114, v2, v0, s0
; %bb.701:                              ;   in Loop: Header=BB203_31 Depth=1
	s_or_b32 exec_lo, exec_lo, s7
	v_lshlrev_b32_e32 v0, 16, v3
                                        ; implicit-def: $vgpr115
	s_delay_alu instid0(VALU_DEP_1) | instskip(NEXT) | instid1(VALU_DEP_1)
	v_mul_f32_e32 v0, v44, v0
	v_and_b32_e32 v1, 0x7f800000, v0
	s_delay_alu instid0(VALU_DEP_1) | instskip(NEXT) | instid1(VALU_DEP_1)
	v_cmp_ne_u32_e64 s0, 0x7f800000, v1
	s_and_saveexec_b32 s7, s0
	s_delay_alu instid0(SALU_CYCLE_1)
	s_xor_b32 s0, exec_lo, s7
; %bb.702:                              ;   in Loop: Header=BB203_31 Depth=1
	v_bfe_u32 v1, v0, 16, 1
	s_delay_alu instid0(VALU_DEP_1)
	v_add3_u32 v115, v0, v1, 0x7fff
                                        ; implicit-def: $vgpr0
; %bb.703:                              ;   in Loop: Header=BB203_31 Depth=1
	s_and_not1_saveexec_b32 s7, s0
; %bb.704:                              ;   in Loop: Header=BB203_31 Depth=1
	v_and_b32_e32 v1, 0xffff, v0
	v_or_b32_e32 v2, 0x10000, v0
	s_delay_alu instid0(VALU_DEP_2) | instskip(NEXT) | instid1(VALU_DEP_1)
	v_cmp_eq_u32_e64 s0, 0, v1
	v_cndmask_b32_e64 v115, v2, v0, s0
; %bb.705:                              ;   in Loop: Header=BB203_31 Depth=1
	s_or_b32 exec_lo, exec_lo, s7
	v_lshlrev_b32_e32 v0, 16, v116
                                        ; implicit-def: $vgpr116
	s_delay_alu instid0(VALU_DEP_1) | instskip(NEXT) | instid1(VALU_DEP_1)
	v_mul_f32_e32 v0, v45, v0
	v_and_b32_e32 v1, 0x7f800000, v0
	s_delay_alu instid0(VALU_DEP_1) | instskip(NEXT) | instid1(VALU_DEP_1)
	v_cmp_ne_u32_e64 s0, 0x7f800000, v1
	s_and_saveexec_b32 s7, s0
	s_delay_alu instid0(SALU_CYCLE_1)
	s_xor_b32 s0, exec_lo, s7
; %bb.706:                              ;   in Loop: Header=BB203_31 Depth=1
	v_bfe_u32 v1, v0, 16, 1
	s_delay_alu instid0(VALU_DEP_1)
	v_add3_u32 v116, v0, v1, 0x7fff
                                        ; implicit-def: $vgpr0
; %bb.707:                              ;   in Loop: Header=BB203_31 Depth=1
	s_and_not1_saveexec_b32 s7, s0
; %bb.708:                              ;   in Loop: Header=BB203_31 Depth=1
	v_and_b32_e32 v1, 0xffff, v0
	v_or_b32_e32 v2, 0x10000, v0
	s_delay_alu instid0(VALU_DEP_2) | instskip(NEXT) | instid1(VALU_DEP_1)
	v_cmp_eq_u32_e64 s0, 0, v1
	v_cndmask_b32_e64 v116, v2, v0, s0
; %bb.709:                              ;   in Loop: Header=BB203_31 Depth=1
	s_or_b32 exec_lo, exec_lo, s7
	scratch_load_b32 v0, off, s32 offset:568 ; 4-byte Folded Reload
	s_waitcnt vmcnt(0)
	v_add_co_u32 v0, s0, v180, v0
	s_delay_alu instid0(VALU_DEP_1)
	v_add_co_ci_u32_e64 v1, s0, 0, v181, s0
	flat_load_b128 v[0:3], v[0:1]
	s_waitcnt vmcnt(0) lgkmcnt(0)
	v_lshrrev_b32_e32 v118, 16, v0
	v_lshrrev_b32_e32 v128, 16, v1
	;; [unrolled: 1-line block ×4, first 2 shown]
	s_and_saveexec_b32 s7, vcc_lo
	s_cbranch_execz .LBB203_711
; %bb.710:                              ;   in Loop: Header=BB203_31 Depth=1
	v_cmp_lt_i32_e64 s0, v165, v87
	s_delay_alu instid0(VALU_DEP_1) | instskip(SKIP_1) | instid1(VALU_DEP_1)
	v_cndmask_b32_e64 v0, 0, v0, s0
	v_cmp_lt_i32_e64 s0, v179, v87
	v_cndmask_b32_e64 v118, 0, v118, s0
	v_cmp_lt_i32_e64 s0, v178, v87
	s_delay_alu instid0(VALU_DEP_1) | instskip(SKIP_1) | instid1(VALU_DEP_1)
	v_cndmask_b32_e64 v1, 0, v1, s0
	v_cmp_lt_i32_e64 s0, v177, v87
	v_cndmask_b32_e64 v128, 0, v128, s0
	;; [unrolled: 5-line block ×4, first 2 shown]
.LBB203_711:                            ;   in Loop: Header=BB203_31 Depth=1
	s_or_b32 exec_lo, exec_lo, s7
	v_lshlrev_b32_e32 v0, 16, v0
	s_delay_alu instid0(VALU_DEP_1) | instskip(NEXT) | instid1(VALU_DEP_1)
	v_mul_f32_e32 v0, v182, v0
	v_and_b32_e32 v117, 0x7f800000, v0
	s_delay_alu instid0(VALU_DEP_1) | instskip(NEXT) | instid1(VALU_DEP_1)
	v_cmp_ne_u32_e64 s0, 0x7f800000, v117
                                        ; implicit-def: $vgpr117
	s_and_saveexec_b32 s7, s0
	s_delay_alu instid0(SALU_CYCLE_1)
	s_xor_b32 s0, exec_lo, s7
; %bb.712:                              ;   in Loop: Header=BB203_31 Depth=1
	v_bfe_u32 v117, v0, 16, 1
	s_delay_alu instid0(VALU_DEP_1)
	v_add3_u32 v117, v0, v117, 0x7fff
                                        ; implicit-def: $vgpr0
; %bb.713:                              ;   in Loop: Header=BB203_31 Depth=1
	s_and_not1_saveexec_b32 s7, s0
; %bb.714:                              ;   in Loop: Header=BB203_31 Depth=1
	v_and_b32_e32 v117, 0xffff, v0
	v_or_b32_e32 v119, 0x10000, v0
	s_delay_alu instid0(VALU_DEP_2) | instskip(NEXT) | instid1(VALU_DEP_1)
	v_cmp_eq_u32_e64 s0, 0, v117
	v_cndmask_b32_e64 v117, v119, v0, s0
; %bb.715:                              ;   in Loop: Header=BB203_31 Depth=1
	s_or_b32 exec_lo, exec_lo, s7
	v_lshlrev_b32_e32 v0, 16, v118
	s_delay_alu instid0(VALU_DEP_1) | instskip(NEXT) | instid1(VALU_DEP_1)
	v_mul_f32_e32 v0, v183, v0
	v_and_b32_e32 v118, 0x7f800000, v0
	s_delay_alu instid0(VALU_DEP_1) | instskip(NEXT) | instid1(VALU_DEP_1)
	v_cmp_ne_u32_e64 s0, 0x7f800000, v118
                                        ; implicit-def: $vgpr118
	s_and_saveexec_b32 s7, s0
	s_delay_alu instid0(SALU_CYCLE_1)
	s_xor_b32 s0, exec_lo, s7
; %bb.716:                              ;   in Loop: Header=BB203_31 Depth=1
	v_bfe_u32 v118, v0, 16, 1
	s_delay_alu instid0(VALU_DEP_1)
	v_add3_u32 v118, v0, v118, 0x7fff
                                        ; implicit-def: $vgpr0
; %bb.717:                              ;   in Loop: Header=BB203_31 Depth=1
	s_and_not1_saveexec_b32 s7, s0
; %bb.718:                              ;   in Loop: Header=BB203_31 Depth=1
	v_and_b32_e32 v118, 0xffff, v0
	v_or_b32_e32 v119, 0x10000, v0
	s_delay_alu instid0(VALU_DEP_2) | instskip(NEXT) | instid1(VALU_DEP_1)
	v_cmp_eq_u32_e64 s0, 0, v118
	v_cndmask_b32_e64 v118, v119, v0, s0
; %bb.719:                              ;   in Loop: Header=BB203_31 Depth=1
	s_or_b32 exec_lo, exec_lo, s7
	v_lshlrev_b32_e32 v0, 16, v1
                                        ; implicit-def: $vgpr119
	s_delay_alu instid0(VALU_DEP_1) | instskip(NEXT) | instid1(VALU_DEP_1)
	v_mul_f32_e32 v0, v40, v0
	v_and_b32_e32 v1, 0x7f800000, v0
	s_delay_alu instid0(VALU_DEP_1) | instskip(NEXT) | instid1(VALU_DEP_1)
	v_cmp_ne_u32_e64 s0, 0x7f800000, v1
	s_and_saveexec_b32 s7, s0
	s_delay_alu instid0(SALU_CYCLE_1)
	s_xor_b32 s0, exec_lo, s7
; %bb.720:                              ;   in Loop: Header=BB203_31 Depth=1
	v_bfe_u32 v1, v0, 16, 1
	s_delay_alu instid0(VALU_DEP_1)
	v_add3_u32 v119, v0, v1, 0x7fff
                                        ; implicit-def: $vgpr0
; %bb.721:                              ;   in Loop: Header=BB203_31 Depth=1
	s_and_not1_saveexec_b32 s7, s0
; %bb.722:                              ;   in Loop: Header=BB203_31 Depth=1
	v_and_b32_e32 v1, 0xffff, v0
	v_or_b32_e32 v119, 0x10000, v0
	s_delay_alu instid0(VALU_DEP_2) | instskip(NEXT) | instid1(VALU_DEP_1)
	v_cmp_eq_u32_e64 s0, 0, v1
	v_cndmask_b32_e64 v119, v119, v0, s0
; %bb.723:                              ;   in Loop: Header=BB203_31 Depth=1
	s_or_b32 exec_lo, exec_lo, s7
	v_lshlrev_b32_e32 v0, 16, v128
                                        ; implicit-def: $vgpr128
	s_delay_alu instid0(VALU_DEP_1) | instskip(NEXT) | instid1(VALU_DEP_1)
	v_mul_f32_e32 v0, v41, v0
	v_and_b32_e32 v1, 0x7f800000, v0
	s_delay_alu instid0(VALU_DEP_1) | instskip(NEXT) | instid1(VALU_DEP_1)
	v_cmp_ne_u32_e64 s0, 0x7f800000, v1
	s_and_saveexec_b32 s7, s0
	s_delay_alu instid0(SALU_CYCLE_1)
	s_xor_b32 s0, exec_lo, s7
; %bb.724:                              ;   in Loop: Header=BB203_31 Depth=1
	v_bfe_u32 v1, v0, 16, 1
	s_delay_alu instid0(VALU_DEP_1)
	v_add3_u32 v128, v0, v1, 0x7fff
                                        ; implicit-def: $vgpr0
; %bb.725:                              ;   in Loop: Header=BB203_31 Depth=1
	s_and_not1_saveexec_b32 s7, s0
; %bb.726:                              ;   in Loop: Header=BB203_31 Depth=1
	v_and_b32_e32 v1, 0xffff, v0
	v_or_b32_e32 v128, 0x10000, v0
	s_delay_alu instid0(VALU_DEP_2) | instskip(NEXT) | instid1(VALU_DEP_1)
	v_cmp_eq_u32_e64 s0, 0, v1
	v_cndmask_b32_e64 v128, v128, v0, s0
; %bb.727:                              ;   in Loop: Header=BB203_31 Depth=1
	s_or_b32 exec_lo, exec_lo, s7
	v_lshlrev_b32_e32 v0, 16, v2
                                        ; implicit-def: $vgpr129
	s_delay_alu instid0(VALU_DEP_1) | instskip(NEXT) | instid1(VALU_DEP_1)
	v_mul_f32_e32 v0, v42, v0
	v_and_b32_e32 v1, 0x7f800000, v0
	s_delay_alu instid0(VALU_DEP_1) | instskip(NEXT) | instid1(VALU_DEP_1)
	v_cmp_ne_u32_e64 s0, 0x7f800000, v1
	s_and_saveexec_b32 s7, s0
	s_delay_alu instid0(SALU_CYCLE_1)
	s_xor_b32 s0, exec_lo, s7
; %bb.728:                              ;   in Loop: Header=BB203_31 Depth=1
	v_bfe_u32 v1, v0, 16, 1
	s_delay_alu instid0(VALU_DEP_1)
	v_add3_u32 v129, v0, v1, 0x7fff
                                        ; implicit-def: $vgpr0
; %bb.729:                              ;   in Loop: Header=BB203_31 Depth=1
	s_and_not1_saveexec_b32 s7, s0
; %bb.730:                              ;   in Loop: Header=BB203_31 Depth=1
	v_and_b32_e32 v1, 0xffff, v0
	v_or_b32_e32 v2, 0x10000, v0
	s_delay_alu instid0(VALU_DEP_2) | instskip(NEXT) | instid1(VALU_DEP_1)
	v_cmp_eq_u32_e64 s0, 0, v1
	v_cndmask_b32_e64 v129, v2, v0, s0
; %bb.731:                              ;   in Loop: Header=BB203_31 Depth=1
	s_or_b32 exec_lo, exec_lo, s7
	v_lshlrev_b32_e32 v0, 16, v130
                                        ; implicit-def: $vgpr130
	s_delay_alu instid0(VALU_DEP_1) | instskip(NEXT) | instid1(VALU_DEP_1)
	v_mul_f32_e32 v0, v43, v0
	v_and_b32_e32 v1, 0x7f800000, v0
	s_delay_alu instid0(VALU_DEP_1) | instskip(NEXT) | instid1(VALU_DEP_1)
	v_cmp_ne_u32_e64 s0, 0x7f800000, v1
	s_and_saveexec_b32 s7, s0
	s_delay_alu instid0(SALU_CYCLE_1)
	s_xor_b32 s0, exec_lo, s7
; %bb.732:                              ;   in Loop: Header=BB203_31 Depth=1
	v_bfe_u32 v1, v0, 16, 1
	s_delay_alu instid0(VALU_DEP_1)
	v_add3_u32 v130, v0, v1, 0x7fff
                                        ; implicit-def: $vgpr0
; %bb.733:                              ;   in Loop: Header=BB203_31 Depth=1
	s_and_not1_saveexec_b32 s7, s0
; %bb.734:                              ;   in Loop: Header=BB203_31 Depth=1
	v_and_b32_e32 v1, 0xffff, v0
	v_or_b32_e32 v2, 0x10000, v0
	s_delay_alu instid0(VALU_DEP_2) | instskip(NEXT) | instid1(VALU_DEP_1)
	v_cmp_eq_u32_e64 s0, 0, v1
	v_cndmask_b32_e64 v130, v2, v0, s0
; %bb.735:                              ;   in Loop: Header=BB203_31 Depth=1
	s_or_b32 exec_lo, exec_lo, s7
	v_lshlrev_b32_e32 v0, 16, v3
                                        ; implicit-def: $vgpr131
	s_delay_alu instid0(VALU_DEP_1) | instskip(NEXT) | instid1(VALU_DEP_1)
	v_mul_f32_e32 v0, v44, v0
	v_and_b32_e32 v1, 0x7f800000, v0
	s_delay_alu instid0(VALU_DEP_1) | instskip(NEXT) | instid1(VALU_DEP_1)
	v_cmp_ne_u32_e64 s0, 0x7f800000, v1
	s_and_saveexec_b32 s7, s0
	s_delay_alu instid0(SALU_CYCLE_1)
	s_xor_b32 s0, exec_lo, s7
; %bb.736:                              ;   in Loop: Header=BB203_31 Depth=1
	v_bfe_u32 v1, v0, 16, 1
	s_delay_alu instid0(VALU_DEP_1)
	v_add3_u32 v131, v0, v1, 0x7fff
                                        ; implicit-def: $vgpr0
; %bb.737:                              ;   in Loop: Header=BB203_31 Depth=1
	s_and_not1_saveexec_b32 s7, s0
; %bb.738:                              ;   in Loop: Header=BB203_31 Depth=1
	v_and_b32_e32 v1, 0xffff, v0
	v_or_b32_e32 v2, 0x10000, v0
	s_delay_alu instid0(VALU_DEP_2) | instskip(NEXT) | instid1(VALU_DEP_1)
	v_cmp_eq_u32_e64 s0, 0, v1
	v_cndmask_b32_e64 v131, v2, v0, s0
; %bb.739:                              ;   in Loop: Header=BB203_31 Depth=1
	s_or_b32 exec_lo, exec_lo, s7
	v_lshlrev_b32_e32 v0, 16, v132
                                        ; implicit-def: $vgpr132
	s_delay_alu instid0(VALU_DEP_1) | instskip(NEXT) | instid1(VALU_DEP_1)
	v_mul_f32_e32 v0, v45, v0
	v_and_b32_e32 v1, 0x7f800000, v0
	s_delay_alu instid0(VALU_DEP_1) | instskip(NEXT) | instid1(VALU_DEP_1)
	v_cmp_ne_u32_e64 s0, 0x7f800000, v1
	s_and_saveexec_b32 s7, s0
	s_delay_alu instid0(SALU_CYCLE_1)
	s_xor_b32 s0, exec_lo, s7
; %bb.740:                              ;   in Loop: Header=BB203_31 Depth=1
	v_bfe_u32 v1, v0, 16, 1
	s_delay_alu instid0(VALU_DEP_1)
	v_add3_u32 v132, v0, v1, 0x7fff
                                        ; implicit-def: $vgpr0
; %bb.741:                              ;   in Loop: Header=BB203_31 Depth=1
	s_and_not1_saveexec_b32 s7, s0
; %bb.742:                              ;   in Loop: Header=BB203_31 Depth=1
	v_and_b32_e32 v1, 0xffff, v0
	v_or_b32_e32 v2, 0x10000, v0
	s_delay_alu instid0(VALU_DEP_2) | instskip(NEXT) | instid1(VALU_DEP_1)
	v_cmp_eq_u32_e64 s0, 0, v1
	v_cndmask_b32_e64 v132, v2, v0, s0
; %bb.743:                              ;   in Loop: Header=BB203_31 Depth=1
	s_or_b32 exec_lo, exec_lo, s7
	scratch_load_b32 v0, off, s32 offset:572 ; 4-byte Folded Reload
	s_waitcnt vmcnt(0)
	v_add_co_u32 v0, s0, v180, v0
	s_delay_alu instid0(VALU_DEP_1)
	v_add_co_ci_u32_e64 v1, s0, 0, v181, s0
	flat_load_b128 v[0:3], v[0:1]
	s_waitcnt vmcnt(0) lgkmcnt(0)
	v_lshrrev_b32_e32 v134, 16, v0
	v_lshrrev_b32_e32 v144, 16, v1
	;; [unrolled: 1-line block ×4, first 2 shown]
	s_and_saveexec_b32 s7, vcc_lo
	s_cbranch_execz .LBB203_745
; %bb.744:                              ;   in Loop: Header=BB203_31 Depth=1
	v_cmp_lt_i32_e64 s0, v165, v87
	s_delay_alu instid0(VALU_DEP_1) | instskip(SKIP_1) | instid1(VALU_DEP_1)
	v_cndmask_b32_e64 v0, 0, v0, s0
	v_cmp_lt_i32_e64 s0, v179, v87
	v_cndmask_b32_e64 v134, 0, v134, s0
	v_cmp_lt_i32_e64 s0, v178, v87
	s_delay_alu instid0(VALU_DEP_1) | instskip(SKIP_1) | instid1(VALU_DEP_1)
	v_cndmask_b32_e64 v1, 0, v1, s0
	v_cmp_lt_i32_e64 s0, v177, v87
	v_cndmask_b32_e64 v144, 0, v144, s0
	;; [unrolled: 5-line block ×4, first 2 shown]
.LBB203_745:                            ;   in Loop: Header=BB203_31 Depth=1
	s_or_b32 exec_lo, exec_lo, s7
	v_lshlrev_b32_e32 v0, 16, v0
	s_delay_alu instid0(VALU_DEP_1) | instskip(NEXT) | instid1(VALU_DEP_1)
	v_mul_f32_e32 v0, v182, v0
	v_and_b32_e32 v133, 0x7f800000, v0
	s_delay_alu instid0(VALU_DEP_1) | instskip(NEXT) | instid1(VALU_DEP_1)
	v_cmp_ne_u32_e64 s0, 0x7f800000, v133
                                        ; implicit-def: $vgpr133
	s_and_saveexec_b32 s7, s0
	s_delay_alu instid0(SALU_CYCLE_1)
	s_xor_b32 s0, exec_lo, s7
; %bb.746:                              ;   in Loop: Header=BB203_31 Depth=1
	v_bfe_u32 v133, v0, 16, 1
	s_delay_alu instid0(VALU_DEP_1)
	v_add3_u32 v133, v0, v133, 0x7fff
                                        ; implicit-def: $vgpr0
; %bb.747:                              ;   in Loop: Header=BB203_31 Depth=1
	s_and_not1_saveexec_b32 s7, s0
; %bb.748:                              ;   in Loop: Header=BB203_31 Depth=1
	v_and_b32_e32 v133, 0xffff, v0
	v_or_b32_e32 v135, 0x10000, v0
	s_delay_alu instid0(VALU_DEP_2) | instskip(NEXT) | instid1(VALU_DEP_1)
	v_cmp_eq_u32_e64 s0, 0, v133
	v_cndmask_b32_e64 v133, v135, v0, s0
; %bb.749:                              ;   in Loop: Header=BB203_31 Depth=1
	s_or_b32 exec_lo, exec_lo, s7
	v_lshlrev_b32_e32 v0, 16, v134
	s_delay_alu instid0(VALU_DEP_1) | instskip(NEXT) | instid1(VALU_DEP_1)
	v_mul_f32_e32 v0, v183, v0
	v_and_b32_e32 v134, 0x7f800000, v0
	s_delay_alu instid0(VALU_DEP_1) | instskip(NEXT) | instid1(VALU_DEP_1)
	v_cmp_ne_u32_e64 s0, 0x7f800000, v134
                                        ; implicit-def: $vgpr134
	s_and_saveexec_b32 s7, s0
	s_delay_alu instid0(SALU_CYCLE_1)
	s_xor_b32 s0, exec_lo, s7
; %bb.750:                              ;   in Loop: Header=BB203_31 Depth=1
	v_bfe_u32 v134, v0, 16, 1
	s_delay_alu instid0(VALU_DEP_1)
	v_add3_u32 v134, v0, v134, 0x7fff
                                        ; implicit-def: $vgpr0
; %bb.751:                              ;   in Loop: Header=BB203_31 Depth=1
	s_and_not1_saveexec_b32 s7, s0
; %bb.752:                              ;   in Loop: Header=BB203_31 Depth=1
	v_and_b32_e32 v134, 0xffff, v0
	v_or_b32_e32 v135, 0x10000, v0
	s_delay_alu instid0(VALU_DEP_2) | instskip(NEXT) | instid1(VALU_DEP_1)
	v_cmp_eq_u32_e64 s0, 0, v134
	v_cndmask_b32_e64 v134, v135, v0, s0
; %bb.753:                              ;   in Loop: Header=BB203_31 Depth=1
	s_or_b32 exec_lo, exec_lo, s7
	v_lshlrev_b32_e32 v0, 16, v1
                                        ; implicit-def: $vgpr135
	s_delay_alu instid0(VALU_DEP_1) | instskip(NEXT) | instid1(VALU_DEP_1)
	v_mul_f32_e32 v0, v40, v0
	v_and_b32_e32 v1, 0x7f800000, v0
	s_delay_alu instid0(VALU_DEP_1) | instskip(NEXT) | instid1(VALU_DEP_1)
	v_cmp_ne_u32_e64 s0, 0x7f800000, v1
	s_and_saveexec_b32 s7, s0
	s_delay_alu instid0(SALU_CYCLE_1)
	s_xor_b32 s0, exec_lo, s7
; %bb.754:                              ;   in Loop: Header=BB203_31 Depth=1
	v_bfe_u32 v1, v0, 16, 1
	s_delay_alu instid0(VALU_DEP_1)
	v_add3_u32 v135, v0, v1, 0x7fff
                                        ; implicit-def: $vgpr0
; %bb.755:                              ;   in Loop: Header=BB203_31 Depth=1
	s_and_not1_saveexec_b32 s7, s0
; %bb.756:                              ;   in Loop: Header=BB203_31 Depth=1
	v_and_b32_e32 v1, 0xffff, v0
	v_or_b32_e32 v135, 0x10000, v0
	s_delay_alu instid0(VALU_DEP_2) | instskip(NEXT) | instid1(VALU_DEP_1)
	v_cmp_eq_u32_e64 s0, 0, v1
	v_cndmask_b32_e64 v135, v135, v0, s0
; %bb.757:                              ;   in Loop: Header=BB203_31 Depth=1
	s_or_b32 exec_lo, exec_lo, s7
	v_lshlrev_b32_e32 v0, 16, v144
                                        ; implicit-def: $vgpr144
	s_delay_alu instid0(VALU_DEP_1) | instskip(NEXT) | instid1(VALU_DEP_1)
	v_mul_f32_e32 v0, v41, v0
	v_and_b32_e32 v1, 0x7f800000, v0
	s_delay_alu instid0(VALU_DEP_1) | instskip(NEXT) | instid1(VALU_DEP_1)
	v_cmp_ne_u32_e64 s0, 0x7f800000, v1
	s_and_saveexec_b32 s7, s0
	s_delay_alu instid0(SALU_CYCLE_1)
	s_xor_b32 s0, exec_lo, s7
; %bb.758:                              ;   in Loop: Header=BB203_31 Depth=1
	v_bfe_u32 v1, v0, 16, 1
	s_delay_alu instid0(VALU_DEP_1)
	v_add3_u32 v144, v0, v1, 0x7fff
                                        ; implicit-def: $vgpr0
; %bb.759:                              ;   in Loop: Header=BB203_31 Depth=1
	s_and_not1_saveexec_b32 s7, s0
; %bb.760:                              ;   in Loop: Header=BB203_31 Depth=1
	v_and_b32_e32 v1, 0xffff, v0
	v_or_b32_e32 v144, 0x10000, v0
	s_delay_alu instid0(VALU_DEP_2) | instskip(NEXT) | instid1(VALU_DEP_1)
	v_cmp_eq_u32_e64 s0, 0, v1
	v_cndmask_b32_e64 v144, v144, v0, s0
; %bb.761:                              ;   in Loop: Header=BB203_31 Depth=1
	s_or_b32 exec_lo, exec_lo, s7
	v_lshlrev_b32_e32 v0, 16, v2
                                        ; implicit-def: $vgpr145
	s_delay_alu instid0(VALU_DEP_1) | instskip(NEXT) | instid1(VALU_DEP_1)
	v_mul_f32_e32 v0, v42, v0
	v_and_b32_e32 v1, 0x7f800000, v0
	s_delay_alu instid0(VALU_DEP_1) | instskip(NEXT) | instid1(VALU_DEP_1)
	v_cmp_ne_u32_e64 s0, 0x7f800000, v1
	s_and_saveexec_b32 s7, s0
	s_delay_alu instid0(SALU_CYCLE_1)
	s_xor_b32 s0, exec_lo, s7
; %bb.762:                              ;   in Loop: Header=BB203_31 Depth=1
	v_bfe_u32 v1, v0, 16, 1
	s_delay_alu instid0(VALU_DEP_1)
	v_add3_u32 v145, v0, v1, 0x7fff
                                        ; implicit-def: $vgpr0
; %bb.763:                              ;   in Loop: Header=BB203_31 Depth=1
	s_and_not1_saveexec_b32 s7, s0
; %bb.764:                              ;   in Loop: Header=BB203_31 Depth=1
	v_and_b32_e32 v1, 0xffff, v0
	v_or_b32_e32 v2, 0x10000, v0
	s_delay_alu instid0(VALU_DEP_2) | instskip(NEXT) | instid1(VALU_DEP_1)
	v_cmp_eq_u32_e64 s0, 0, v1
	v_cndmask_b32_e64 v145, v2, v0, s0
; %bb.765:                              ;   in Loop: Header=BB203_31 Depth=1
	s_or_b32 exec_lo, exec_lo, s7
	v_lshlrev_b32_e32 v0, 16, v146
                                        ; implicit-def: $vgpr146
	s_delay_alu instid0(VALU_DEP_1) | instskip(NEXT) | instid1(VALU_DEP_1)
	v_mul_f32_e32 v0, v43, v0
	v_and_b32_e32 v1, 0x7f800000, v0
	s_delay_alu instid0(VALU_DEP_1) | instskip(NEXT) | instid1(VALU_DEP_1)
	v_cmp_ne_u32_e64 s0, 0x7f800000, v1
	s_and_saveexec_b32 s7, s0
	s_delay_alu instid0(SALU_CYCLE_1)
	s_xor_b32 s0, exec_lo, s7
; %bb.766:                              ;   in Loop: Header=BB203_31 Depth=1
	v_bfe_u32 v1, v0, 16, 1
	s_delay_alu instid0(VALU_DEP_1)
	v_add3_u32 v146, v0, v1, 0x7fff
                                        ; implicit-def: $vgpr0
; %bb.767:                              ;   in Loop: Header=BB203_31 Depth=1
	s_and_not1_saveexec_b32 s7, s0
; %bb.768:                              ;   in Loop: Header=BB203_31 Depth=1
	v_and_b32_e32 v1, 0xffff, v0
	v_or_b32_e32 v2, 0x10000, v0
	s_delay_alu instid0(VALU_DEP_2) | instskip(NEXT) | instid1(VALU_DEP_1)
	v_cmp_eq_u32_e64 s0, 0, v1
	v_cndmask_b32_e64 v146, v2, v0, s0
; %bb.769:                              ;   in Loop: Header=BB203_31 Depth=1
	s_or_b32 exec_lo, exec_lo, s7
	v_lshlrev_b32_e32 v0, 16, v3
                                        ; implicit-def: $vgpr147
	s_delay_alu instid0(VALU_DEP_1) | instskip(NEXT) | instid1(VALU_DEP_1)
	v_mul_f32_e32 v0, v44, v0
	v_and_b32_e32 v1, 0x7f800000, v0
	s_delay_alu instid0(VALU_DEP_1) | instskip(NEXT) | instid1(VALU_DEP_1)
	v_cmp_ne_u32_e64 s0, 0x7f800000, v1
	s_and_saveexec_b32 s7, s0
	s_delay_alu instid0(SALU_CYCLE_1)
	s_xor_b32 s0, exec_lo, s7
; %bb.770:                              ;   in Loop: Header=BB203_31 Depth=1
	v_bfe_u32 v1, v0, 16, 1
	s_delay_alu instid0(VALU_DEP_1)
	v_add3_u32 v147, v0, v1, 0x7fff
                                        ; implicit-def: $vgpr0
; %bb.771:                              ;   in Loop: Header=BB203_31 Depth=1
	s_and_not1_saveexec_b32 s7, s0
; %bb.772:                              ;   in Loop: Header=BB203_31 Depth=1
	v_and_b32_e32 v1, 0xffff, v0
	v_or_b32_e32 v2, 0x10000, v0
	s_delay_alu instid0(VALU_DEP_2) | instskip(NEXT) | instid1(VALU_DEP_1)
	v_cmp_eq_u32_e64 s0, 0, v1
	v_cndmask_b32_e64 v147, v2, v0, s0
; %bb.773:                              ;   in Loop: Header=BB203_31 Depth=1
	s_or_b32 exec_lo, exec_lo, s7
	v_lshlrev_b32_e32 v0, 16, v148
                                        ; implicit-def: $vgpr148
	s_delay_alu instid0(VALU_DEP_1) | instskip(NEXT) | instid1(VALU_DEP_1)
	v_mul_f32_e32 v0, v45, v0
	v_and_b32_e32 v1, 0x7f800000, v0
	s_delay_alu instid0(VALU_DEP_1) | instskip(NEXT) | instid1(VALU_DEP_1)
	v_cmp_ne_u32_e64 s0, 0x7f800000, v1
	s_and_saveexec_b32 s7, s0
	s_delay_alu instid0(SALU_CYCLE_1)
	s_xor_b32 s0, exec_lo, s7
; %bb.774:                              ;   in Loop: Header=BB203_31 Depth=1
	v_bfe_u32 v1, v0, 16, 1
	s_delay_alu instid0(VALU_DEP_1)
	v_add3_u32 v148, v0, v1, 0x7fff
                                        ; implicit-def: $vgpr0
; %bb.775:                              ;   in Loop: Header=BB203_31 Depth=1
	s_and_not1_saveexec_b32 s7, s0
; %bb.776:                              ;   in Loop: Header=BB203_31 Depth=1
	v_and_b32_e32 v1, 0xffff, v0
	v_or_b32_e32 v2, 0x10000, v0
	s_delay_alu instid0(VALU_DEP_2) | instskip(NEXT) | instid1(VALU_DEP_1)
	v_cmp_eq_u32_e64 s0, 0, v1
	v_cndmask_b32_e64 v148, v2, v0, s0
; %bb.777:                              ;   in Loop: Header=BB203_31 Depth=1
	s_or_b32 exec_lo, exec_lo, s7
	scratch_load_b32 v0, off, s32 offset:576 ; 4-byte Folded Reload
	s_waitcnt vmcnt(0)
	v_add_co_u32 v0, s0, v180, v0
	s_delay_alu instid0(VALU_DEP_1)
	v_add_co_ci_u32_e64 v1, s0, 0, v181, s0
	flat_load_b128 v[0:3], v[0:1]
	s_waitcnt vmcnt(0) lgkmcnt(0)
	v_lshrrev_b32_e32 v150, 16, v0
	v_lshrrev_b32_e32 v160, 16, v1
	;; [unrolled: 1-line block ×4, first 2 shown]
	s_and_saveexec_b32 s7, vcc_lo
	s_cbranch_execz .LBB203_779
; %bb.778:                              ;   in Loop: Header=BB203_31 Depth=1
	v_cmp_lt_i32_e64 s0, v165, v87
	s_delay_alu instid0(VALU_DEP_1) | instskip(SKIP_1) | instid1(VALU_DEP_1)
	v_cndmask_b32_e64 v0, 0, v0, s0
	v_cmp_lt_i32_e64 s0, v179, v87
	v_cndmask_b32_e64 v150, 0, v150, s0
	v_cmp_lt_i32_e64 s0, v178, v87
	s_delay_alu instid0(VALU_DEP_1) | instskip(SKIP_1) | instid1(VALU_DEP_1)
	v_cndmask_b32_e64 v1, 0, v1, s0
	v_cmp_lt_i32_e64 s0, v177, v87
	v_cndmask_b32_e64 v160, 0, v160, s0
	;; [unrolled: 5-line block ×4, first 2 shown]
.LBB203_779:                            ;   in Loop: Header=BB203_31 Depth=1
	s_or_b32 exec_lo, exec_lo, s7
	v_lshlrev_b32_e32 v0, 16, v0
	s_delay_alu instid0(VALU_DEP_1) | instskip(NEXT) | instid1(VALU_DEP_1)
	v_mul_f32_e32 v0, v182, v0
	v_and_b32_e32 v149, 0x7f800000, v0
	s_delay_alu instid0(VALU_DEP_1) | instskip(NEXT) | instid1(VALU_DEP_1)
	v_cmp_ne_u32_e64 s0, 0x7f800000, v149
                                        ; implicit-def: $vgpr149
	s_and_saveexec_b32 s7, s0
	s_delay_alu instid0(SALU_CYCLE_1)
	s_xor_b32 s0, exec_lo, s7
; %bb.780:                              ;   in Loop: Header=BB203_31 Depth=1
	v_bfe_u32 v149, v0, 16, 1
	s_delay_alu instid0(VALU_DEP_1)
	v_add3_u32 v149, v0, v149, 0x7fff
                                        ; implicit-def: $vgpr0
; %bb.781:                              ;   in Loop: Header=BB203_31 Depth=1
	s_and_not1_saveexec_b32 s7, s0
; %bb.782:                              ;   in Loop: Header=BB203_31 Depth=1
	v_and_b32_e32 v149, 0xffff, v0
	v_or_b32_e32 v151, 0x10000, v0
	s_delay_alu instid0(VALU_DEP_2) | instskip(NEXT) | instid1(VALU_DEP_1)
	v_cmp_eq_u32_e64 s0, 0, v149
	v_cndmask_b32_e64 v149, v151, v0, s0
; %bb.783:                              ;   in Loop: Header=BB203_31 Depth=1
	s_or_b32 exec_lo, exec_lo, s7
	v_lshlrev_b32_e32 v0, 16, v150
	s_delay_alu instid0(VALU_DEP_1) | instskip(NEXT) | instid1(VALU_DEP_1)
	v_mul_f32_e32 v0, v183, v0
	v_and_b32_e32 v150, 0x7f800000, v0
	s_delay_alu instid0(VALU_DEP_1) | instskip(NEXT) | instid1(VALU_DEP_1)
	v_cmp_ne_u32_e64 s0, 0x7f800000, v150
                                        ; implicit-def: $vgpr150
	s_and_saveexec_b32 s7, s0
	s_delay_alu instid0(SALU_CYCLE_1)
	s_xor_b32 s0, exec_lo, s7
; %bb.784:                              ;   in Loop: Header=BB203_31 Depth=1
	v_bfe_u32 v150, v0, 16, 1
	s_delay_alu instid0(VALU_DEP_1)
	v_add3_u32 v150, v0, v150, 0x7fff
                                        ; implicit-def: $vgpr0
; %bb.785:                              ;   in Loop: Header=BB203_31 Depth=1
	s_and_not1_saveexec_b32 s7, s0
; %bb.786:                              ;   in Loop: Header=BB203_31 Depth=1
	v_and_b32_e32 v150, 0xffff, v0
	v_or_b32_e32 v151, 0x10000, v0
	s_delay_alu instid0(VALU_DEP_2) | instskip(NEXT) | instid1(VALU_DEP_1)
	v_cmp_eq_u32_e64 s0, 0, v150
	v_cndmask_b32_e64 v150, v151, v0, s0
; %bb.787:                              ;   in Loop: Header=BB203_31 Depth=1
	s_or_b32 exec_lo, exec_lo, s7
	v_lshlrev_b32_e32 v0, 16, v1
                                        ; implicit-def: $vgpr151
	s_delay_alu instid0(VALU_DEP_1) | instskip(NEXT) | instid1(VALU_DEP_1)
	v_mul_f32_e32 v0, v40, v0
	v_and_b32_e32 v1, 0x7f800000, v0
	s_delay_alu instid0(VALU_DEP_1) | instskip(NEXT) | instid1(VALU_DEP_1)
	v_cmp_ne_u32_e64 s0, 0x7f800000, v1
	s_and_saveexec_b32 s7, s0
	s_delay_alu instid0(SALU_CYCLE_1)
	s_xor_b32 s0, exec_lo, s7
; %bb.788:                              ;   in Loop: Header=BB203_31 Depth=1
	v_bfe_u32 v1, v0, 16, 1
	s_delay_alu instid0(VALU_DEP_1)
	v_add3_u32 v151, v0, v1, 0x7fff
                                        ; implicit-def: $vgpr0
; %bb.789:                              ;   in Loop: Header=BB203_31 Depth=1
	s_and_not1_saveexec_b32 s7, s0
; %bb.790:                              ;   in Loop: Header=BB203_31 Depth=1
	v_and_b32_e32 v1, 0xffff, v0
	v_or_b32_e32 v151, 0x10000, v0
	s_delay_alu instid0(VALU_DEP_2) | instskip(NEXT) | instid1(VALU_DEP_1)
	v_cmp_eq_u32_e64 s0, 0, v1
	v_cndmask_b32_e64 v151, v151, v0, s0
; %bb.791:                              ;   in Loop: Header=BB203_31 Depth=1
	s_or_b32 exec_lo, exec_lo, s7
	v_lshlrev_b32_e32 v0, 16, v160
                                        ; implicit-def: $vgpr160
	s_delay_alu instid0(VALU_DEP_1) | instskip(NEXT) | instid1(VALU_DEP_1)
	v_mul_f32_e32 v0, v41, v0
	v_and_b32_e32 v1, 0x7f800000, v0
	s_delay_alu instid0(VALU_DEP_1) | instskip(NEXT) | instid1(VALU_DEP_1)
	v_cmp_ne_u32_e64 s0, 0x7f800000, v1
	s_and_saveexec_b32 s7, s0
	s_delay_alu instid0(SALU_CYCLE_1)
	s_xor_b32 s0, exec_lo, s7
; %bb.792:                              ;   in Loop: Header=BB203_31 Depth=1
	v_bfe_u32 v1, v0, 16, 1
	s_delay_alu instid0(VALU_DEP_1)
	v_add3_u32 v160, v0, v1, 0x7fff
                                        ; implicit-def: $vgpr0
; %bb.793:                              ;   in Loop: Header=BB203_31 Depth=1
	s_and_not1_saveexec_b32 s7, s0
; %bb.794:                              ;   in Loop: Header=BB203_31 Depth=1
	v_and_b32_e32 v1, 0xffff, v0
	v_or_b32_e32 v160, 0x10000, v0
	s_delay_alu instid0(VALU_DEP_2) | instskip(NEXT) | instid1(VALU_DEP_1)
	v_cmp_eq_u32_e64 s0, 0, v1
	v_cndmask_b32_e64 v160, v160, v0, s0
; %bb.795:                              ;   in Loop: Header=BB203_31 Depth=1
	s_or_b32 exec_lo, exec_lo, s7
	v_lshlrev_b32_e32 v0, 16, v2
                                        ; implicit-def: $vgpr161
	s_delay_alu instid0(VALU_DEP_1) | instskip(NEXT) | instid1(VALU_DEP_1)
	v_mul_f32_e32 v0, v42, v0
	v_and_b32_e32 v1, 0x7f800000, v0
	s_delay_alu instid0(VALU_DEP_1) | instskip(NEXT) | instid1(VALU_DEP_1)
	v_cmp_ne_u32_e64 s0, 0x7f800000, v1
	s_and_saveexec_b32 s7, s0
	s_delay_alu instid0(SALU_CYCLE_1)
	s_xor_b32 s0, exec_lo, s7
; %bb.796:                              ;   in Loop: Header=BB203_31 Depth=1
	v_bfe_u32 v1, v0, 16, 1
	s_delay_alu instid0(VALU_DEP_1)
	v_add3_u32 v161, v0, v1, 0x7fff
                                        ; implicit-def: $vgpr0
; %bb.797:                              ;   in Loop: Header=BB203_31 Depth=1
	s_and_not1_saveexec_b32 s7, s0
; %bb.798:                              ;   in Loop: Header=BB203_31 Depth=1
	v_and_b32_e32 v1, 0xffff, v0
	v_or_b32_e32 v2, 0x10000, v0
	s_delay_alu instid0(VALU_DEP_2) | instskip(NEXT) | instid1(VALU_DEP_1)
	v_cmp_eq_u32_e64 s0, 0, v1
	v_cndmask_b32_e64 v161, v2, v0, s0
; %bb.799:                              ;   in Loop: Header=BB203_31 Depth=1
	s_or_b32 exec_lo, exec_lo, s7
	v_lshlrev_b32_e32 v0, 16, v162
                                        ; implicit-def: $vgpr162
	s_delay_alu instid0(VALU_DEP_1) | instskip(NEXT) | instid1(VALU_DEP_1)
	v_mul_f32_e32 v0, v43, v0
	v_and_b32_e32 v1, 0x7f800000, v0
	s_delay_alu instid0(VALU_DEP_1) | instskip(NEXT) | instid1(VALU_DEP_1)
	v_cmp_ne_u32_e64 s0, 0x7f800000, v1
	s_and_saveexec_b32 s7, s0
	s_delay_alu instid0(SALU_CYCLE_1)
	s_xor_b32 s0, exec_lo, s7
; %bb.800:                              ;   in Loop: Header=BB203_31 Depth=1
	v_bfe_u32 v1, v0, 16, 1
	s_delay_alu instid0(VALU_DEP_1)
	v_add3_u32 v162, v0, v1, 0x7fff
                                        ; implicit-def: $vgpr0
; %bb.801:                              ;   in Loop: Header=BB203_31 Depth=1
	s_and_not1_saveexec_b32 s7, s0
; %bb.802:                              ;   in Loop: Header=BB203_31 Depth=1
	v_and_b32_e32 v1, 0xffff, v0
	v_or_b32_e32 v2, 0x10000, v0
	s_delay_alu instid0(VALU_DEP_2) | instskip(NEXT) | instid1(VALU_DEP_1)
	v_cmp_eq_u32_e64 s0, 0, v1
	v_cndmask_b32_e64 v162, v2, v0, s0
; %bb.803:                              ;   in Loop: Header=BB203_31 Depth=1
	s_or_b32 exec_lo, exec_lo, s7
	v_lshlrev_b32_e32 v0, 16, v3
                                        ; implicit-def: $vgpr163
	s_delay_alu instid0(VALU_DEP_1) | instskip(NEXT) | instid1(VALU_DEP_1)
	v_mul_f32_e32 v0, v44, v0
	v_and_b32_e32 v1, 0x7f800000, v0
	s_delay_alu instid0(VALU_DEP_1) | instskip(NEXT) | instid1(VALU_DEP_1)
	v_cmp_ne_u32_e64 s0, 0x7f800000, v1
	s_and_saveexec_b32 s7, s0
	s_delay_alu instid0(SALU_CYCLE_1)
	s_xor_b32 s0, exec_lo, s7
; %bb.804:                              ;   in Loop: Header=BB203_31 Depth=1
	v_bfe_u32 v1, v0, 16, 1
	s_delay_alu instid0(VALU_DEP_1)
	v_add3_u32 v163, v0, v1, 0x7fff
                                        ; implicit-def: $vgpr0
; %bb.805:                              ;   in Loop: Header=BB203_31 Depth=1
	s_and_not1_saveexec_b32 s7, s0
; %bb.806:                              ;   in Loop: Header=BB203_31 Depth=1
	v_and_b32_e32 v1, 0xffff, v0
	v_or_b32_e32 v2, 0x10000, v0
	s_delay_alu instid0(VALU_DEP_2) | instskip(NEXT) | instid1(VALU_DEP_1)
	v_cmp_eq_u32_e64 s0, 0, v1
	v_cndmask_b32_e64 v163, v2, v0, s0
; %bb.807:                              ;   in Loop: Header=BB203_31 Depth=1
	s_or_b32 exec_lo, exec_lo, s7
	v_lshlrev_b32_e32 v0, 16, v164
                                        ; implicit-def: $vgpr164
	s_delay_alu instid0(VALU_DEP_1) | instskip(NEXT) | instid1(VALU_DEP_1)
	v_mul_f32_e32 v0, v45, v0
	v_and_b32_e32 v1, 0x7f800000, v0
	s_delay_alu instid0(VALU_DEP_1) | instskip(NEXT) | instid1(VALU_DEP_1)
	v_cmp_ne_u32_e64 s0, 0x7f800000, v1
	s_and_saveexec_b32 s7, s0
	s_delay_alu instid0(SALU_CYCLE_1)
	s_xor_b32 s0, exec_lo, s7
; %bb.808:                              ;   in Loop: Header=BB203_31 Depth=1
	v_bfe_u32 v1, v0, 16, 1
	s_delay_alu instid0(VALU_DEP_1)
	v_add3_u32 v164, v0, v1, 0x7fff
                                        ; implicit-def: $vgpr0
; %bb.809:                              ;   in Loop: Header=BB203_31 Depth=1
	s_and_not1_saveexec_b32 s7, s0
; %bb.810:                              ;   in Loop: Header=BB203_31 Depth=1
	v_and_b32_e32 v1, 0xffff, v0
	v_or_b32_e32 v2, 0x10000, v0
	s_delay_alu instid0(VALU_DEP_2) | instskip(NEXT) | instid1(VALU_DEP_1)
	v_cmp_eq_u32_e64 s0, 0, v1
	v_cndmask_b32_e64 v164, v2, v0, s0
; %bb.811:                              ;   in Loop: Header=BB203_31 Depth=1
	s_or_b32 exec_lo, exec_lo, s7
	scratch_load_b32 v0, off, s32 offset:580 ; 4-byte Folded Reload
	s_waitcnt vmcnt(0)
	v_add_co_u32 v0, s0, v180, v0
	s_delay_alu instid0(VALU_DEP_1)
	v_add_co_ci_u32_e64 v1, s0, 0, v181, s0
	flat_load_b128 v[0:3], v[0:1]
	s_waitcnt vmcnt(0) lgkmcnt(0)
	v_lshrrev_b32_e32 v47, 16, v0
	v_lshrrev_b32_e32 v57, 16, v1
	;; [unrolled: 1-line block ×4, first 2 shown]
	s_and_saveexec_b32 s7, vcc_lo
	s_cbranch_execz .LBB203_813
; %bb.812:                              ;   in Loop: Header=BB203_31 Depth=1
	v_cmp_lt_i32_e64 s0, v165, v87
	s_delay_alu instid0(VALU_DEP_1) | instskip(SKIP_1) | instid1(VALU_DEP_1)
	v_cndmask_b32_e64 v0, 0, v0, s0
	v_cmp_lt_i32_e64 s0, v179, v87
	v_cndmask_b32_e64 v47, 0, v47, s0
	v_cmp_lt_i32_e64 s0, v178, v87
	s_delay_alu instid0(VALU_DEP_1) | instskip(SKIP_1) | instid1(VALU_DEP_1)
	v_cndmask_b32_e64 v1, 0, v1, s0
	v_cmp_lt_i32_e64 s0, v177, v87
	v_cndmask_b32_e64 v57, 0, v57, s0
	;; [unrolled: 5-line block ×4, first 2 shown]
.LBB203_813:                            ;   in Loop: Header=BB203_31 Depth=1
	s_or_b32 exec_lo, exec_lo, s7
	v_lshlrev_b32_e32 v0, 16, v0
	s_delay_alu instid0(VALU_DEP_1) | instskip(NEXT) | instid1(VALU_DEP_1)
	v_mul_f32_e32 v0, v182, v0
	v_and_b32_e32 v46, 0x7f800000, v0
	s_delay_alu instid0(VALU_DEP_1) | instskip(NEXT) | instid1(VALU_DEP_1)
	v_cmp_ne_u32_e64 s0, 0x7f800000, v46
                                        ; implicit-def: $vgpr46
	s_and_saveexec_b32 s7, s0
	s_delay_alu instid0(SALU_CYCLE_1)
	s_xor_b32 s0, exec_lo, s7
; %bb.814:                              ;   in Loop: Header=BB203_31 Depth=1
	v_bfe_u32 v46, v0, 16, 1
	s_delay_alu instid0(VALU_DEP_1)
	v_add3_u32 v46, v0, v46, 0x7fff
                                        ; implicit-def: $vgpr0
; %bb.815:                              ;   in Loop: Header=BB203_31 Depth=1
	s_and_not1_saveexec_b32 s7, s0
; %bb.816:                              ;   in Loop: Header=BB203_31 Depth=1
	v_and_b32_e32 v46, 0xffff, v0
	v_or_b32_e32 v56, 0x10000, v0
	s_delay_alu instid0(VALU_DEP_2) | instskip(NEXT) | instid1(VALU_DEP_1)
	v_cmp_eq_u32_e64 s0, 0, v46
	v_cndmask_b32_e64 v46, v56, v0, s0
; %bb.817:                              ;   in Loop: Header=BB203_31 Depth=1
	s_or_b32 exec_lo, exec_lo, s7
	v_lshlrev_b32_e32 v0, 16, v47
	s_delay_alu instid0(VALU_DEP_1) | instskip(NEXT) | instid1(VALU_DEP_1)
	v_mul_f32_e32 v0, v183, v0
	v_and_b32_e32 v47, 0x7f800000, v0
	s_delay_alu instid0(VALU_DEP_1) | instskip(NEXT) | instid1(VALU_DEP_1)
	v_cmp_ne_u32_e64 s0, 0x7f800000, v47
                                        ; implicit-def: $vgpr47
	s_and_saveexec_b32 s7, s0
	s_delay_alu instid0(SALU_CYCLE_1)
	s_xor_b32 s0, exec_lo, s7
; %bb.818:                              ;   in Loop: Header=BB203_31 Depth=1
	v_bfe_u32 v47, v0, 16, 1
	s_delay_alu instid0(VALU_DEP_1)
	v_add3_u32 v47, v0, v47, 0x7fff
                                        ; implicit-def: $vgpr0
; %bb.819:                              ;   in Loop: Header=BB203_31 Depth=1
	s_and_not1_saveexec_b32 s7, s0
; %bb.820:                              ;   in Loop: Header=BB203_31 Depth=1
	v_and_b32_e32 v47, 0xffff, v0
	v_or_b32_e32 v56, 0x10000, v0
	s_delay_alu instid0(VALU_DEP_2) | instskip(NEXT) | instid1(VALU_DEP_1)
	v_cmp_eq_u32_e64 s0, 0, v47
	v_cndmask_b32_e64 v47, v56, v0, s0
; %bb.821:                              ;   in Loop: Header=BB203_31 Depth=1
	s_or_b32 exec_lo, exec_lo, s7
	v_lshlrev_b32_e32 v0, 16, v1
                                        ; implicit-def: $vgpr56
	s_delay_alu instid0(VALU_DEP_1) | instskip(NEXT) | instid1(VALU_DEP_1)
	v_mul_f32_e32 v0, v40, v0
	v_and_b32_e32 v1, 0x7f800000, v0
	s_delay_alu instid0(VALU_DEP_1) | instskip(NEXT) | instid1(VALU_DEP_1)
	v_cmp_ne_u32_e64 s0, 0x7f800000, v1
	s_and_saveexec_b32 s7, s0
	s_delay_alu instid0(SALU_CYCLE_1)
	s_xor_b32 s0, exec_lo, s7
; %bb.822:                              ;   in Loop: Header=BB203_31 Depth=1
	v_bfe_u32 v1, v0, 16, 1
	s_delay_alu instid0(VALU_DEP_1)
	v_add3_u32 v56, v0, v1, 0x7fff
                                        ; implicit-def: $vgpr0
; %bb.823:                              ;   in Loop: Header=BB203_31 Depth=1
	s_and_not1_saveexec_b32 s7, s0
; %bb.824:                              ;   in Loop: Header=BB203_31 Depth=1
	v_and_b32_e32 v1, 0xffff, v0
	v_or_b32_e32 v56, 0x10000, v0
	s_delay_alu instid0(VALU_DEP_2) | instskip(NEXT) | instid1(VALU_DEP_1)
	v_cmp_eq_u32_e64 s0, 0, v1
	v_cndmask_b32_e64 v56, v56, v0, s0
; %bb.825:                              ;   in Loop: Header=BB203_31 Depth=1
	s_or_b32 exec_lo, exec_lo, s7
	v_lshlrev_b32_e32 v0, 16, v57
                                        ; implicit-def: $vgpr57
	s_delay_alu instid0(VALU_DEP_1) | instskip(NEXT) | instid1(VALU_DEP_1)
	v_mul_f32_e32 v0, v41, v0
	v_and_b32_e32 v1, 0x7f800000, v0
	s_delay_alu instid0(VALU_DEP_1) | instskip(NEXT) | instid1(VALU_DEP_1)
	v_cmp_ne_u32_e64 s0, 0x7f800000, v1
	s_and_saveexec_b32 s7, s0
	s_delay_alu instid0(SALU_CYCLE_1)
	s_xor_b32 s0, exec_lo, s7
; %bb.826:                              ;   in Loop: Header=BB203_31 Depth=1
	v_bfe_u32 v1, v0, 16, 1
	s_delay_alu instid0(VALU_DEP_1)
	v_add3_u32 v57, v0, v1, 0x7fff
                                        ; implicit-def: $vgpr0
; %bb.827:                              ;   in Loop: Header=BB203_31 Depth=1
	s_and_not1_saveexec_b32 s7, s0
; %bb.828:                              ;   in Loop: Header=BB203_31 Depth=1
	v_and_b32_e32 v1, 0xffff, v0
	v_or_b32_e32 v57, 0x10000, v0
	s_delay_alu instid0(VALU_DEP_2) | instskip(NEXT) | instid1(VALU_DEP_1)
	v_cmp_eq_u32_e64 s0, 0, v1
	v_cndmask_b32_e64 v57, v57, v0, s0
; %bb.829:                              ;   in Loop: Header=BB203_31 Depth=1
	s_or_b32 exec_lo, exec_lo, s7
	v_lshlrev_b32_e32 v0, 16, v2
                                        ; implicit-def: $vgpr58
	s_delay_alu instid0(VALU_DEP_1) | instskip(NEXT) | instid1(VALU_DEP_1)
	v_mul_f32_e32 v0, v42, v0
	v_and_b32_e32 v1, 0x7f800000, v0
	s_delay_alu instid0(VALU_DEP_1) | instskip(NEXT) | instid1(VALU_DEP_1)
	v_cmp_ne_u32_e64 s0, 0x7f800000, v1
	s_and_saveexec_b32 s7, s0
	s_delay_alu instid0(SALU_CYCLE_1)
	s_xor_b32 s0, exec_lo, s7
; %bb.830:                              ;   in Loop: Header=BB203_31 Depth=1
	v_bfe_u32 v1, v0, 16, 1
	s_delay_alu instid0(VALU_DEP_1)
	v_add3_u32 v58, v0, v1, 0x7fff
                                        ; implicit-def: $vgpr0
; %bb.831:                              ;   in Loop: Header=BB203_31 Depth=1
	s_and_not1_saveexec_b32 s7, s0
; %bb.832:                              ;   in Loop: Header=BB203_31 Depth=1
	v_and_b32_e32 v1, 0xffff, v0
	v_or_b32_e32 v2, 0x10000, v0
	s_delay_alu instid0(VALU_DEP_2) | instskip(NEXT) | instid1(VALU_DEP_1)
	v_cmp_eq_u32_e64 s0, 0, v1
	v_cndmask_b32_e64 v58, v2, v0, s0
; %bb.833:                              ;   in Loop: Header=BB203_31 Depth=1
	s_or_b32 exec_lo, exec_lo, s7
	v_lshlrev_b32_e32 v0, 16, v59
                                        ; implicit-def: $vgpr59
	s_delay_alu instid0(VALU_DEP_1) | instskip(NEXT) | instid1(VALU_DEP_1)
	v_mul_f32_e32 v0, v43, v0
	v_and_b32_e32 v1, 0x7f800000, v0
	s_delay_alu instid0(VALU_DEP_1) | instskip(NEXT) | instid1(VALU_DEP_1)
	v_cmp_ne_u32_e64 s0, 0x7f800000, v1
	s_and_saveexec_b32 s7, s0
	s_delay_alu instid0(SALU_CYCLE_1)
	s_xor_b32 s0, exec_lo, s7
; %bb.834:                              ;   in Loop: Header=BB203_31 Depth=1
	v_bfe_u32 v1, v0, 16, 1
	s_delay_alu instid0(VALU_DEP_1)
	v_add3_u32 v59, v0, v1, 0x7fff
                                        ; implicit-def: $vgpr0
; %bb.835:                              ;   in Loop: Header=BB203_31 Depth=1
	s_and_not1_saveexec_b32 s7, s0
; %bb.836:                              ;   in Loop: Header=BB203_31 Depth=1
	v_and_b32_e32 v1, 0xffff, v0
	v_or_b32_e32 v2, 0x10000, v0
	s_delay_alu instid0(VALU_DEP_2) | instskip(NEXT) | instid1(VALU_DEP_1)
	v_cmp_eq_u32_e64 s0, 0, v1
	v_cndmask_b32_e64 v59, v2, v0, s0
; %bb.837:                              ;   in Loop: Header=BB203_31 Depth=1
	s_or_b32 exec_lo, exec_lo, s7
	v_lshlrev_b32_e32 v0, 16, v3
                                        ; implicit-def: $vgpr60
	s_delay_alu instid0(VALU_DEP_1) | instskip(NEXT) | instid1(VALU_DEP_1)
	v_mul_f32_e32 v0, v44, v0
	v_and_b32_e32 v1, 0x7f800000, v0
	s_delay_alu instid0(VALU_DEP_1) | instskip(NEXT) | instid1(VALU_DEP_1)
	v_cmp_ne_u32_e64 s0, 0x7f800000, v1
	s_and_saveexec_b32 s7, s0
	s_delay_alu instid0(SALU_CYCLE_1)
	s_xor_b32 s0, exec_lo, s7
; %bb.838:                              ;   in Loop: Header=BB203_31 Depth=1
	v_bfe_u32 v1, v0, 16, 1
	s_delay_alu instid0(VALU_DEP_1)
	v_add3_u32 v60, v0, v1, 0x7fff
                                        ; implicit-def: $vgpr0
; %bb.839:                              ;   in Loop: Header=BB203_31 Depth=1
	s_and_not1_saveexec_b32 s7, s0
; %bb.840:                              ;   in Loop: Header=BB203_31 Depth=1
	v_and_b32_e32 v1, 0xffff, v0
	v_or_b32_e32 v2, 0x10000, v0
	s_delay_alu instid0(VALU_DEP_2) | instskip(NEXT) | instid1(VALU_DEP_1)
	v_cmp_eq_u32_e64 s0, 0, v1
	v_cndmask_b32_e64 v60, v2, v0, s0
; %bb.841:                              ;   in Loop: Header=BB203_31 Depth=1
	s_or_b32 exec_lo, exec_lo, s7
	v_lshlrev_b32_e32 v0, 16, v61
                                        ; implicit-def: $vgpr61
	s_delay_alu instid0(VALU_DEP_1) | instskip(NEXT) | instid1(VALU_DEP_1)
	v_mul_f32_e32 v0, v45, v0
	v_and_b32_e32 v1, 0x7f800000, v0
	s_delay_alu instid0(VALU_DEP_1) | instskip(NEXT) | instid1(VALU_DEP_1)
	v_cmp_ne_u32_e64 s0, 0x7f800000, v1
	s_and_saveexec_b32 s7, s0
	s_delay_alu instid0(SALU_CYCLE_1)
	s_xor_b32 s0, exec_lo, s7
; %bb.842:                              ;   in Loop: Header=BB203_31 Depth=1
	v_bfe_u32 v1, v0, 16, 1
	s_delay_alu instid0(VALU_DEP_1)
	v_add3_u32 v61, v0, v1, 0x7fff
                                        ; implicit-def: $vgpr0
; %bb.843:                              ;   in Loop: Header=BB203_31 Depth=1
	s_and_not1_saveexec_b32 s7, s0
; %bb.844:                              ;   in Loop: Header=BB203_31 Depth=1
	v_and_b32_e32 v1, 0xffff, v0
	v_or_b32_e32 v2, 0x10000, v0
	s_delay_alu instid0(VALU_DEP_2) | instskip(NEXT) | instid1(VALU_DEP_1)
	v_cmp_eq_u32_e64 s0, 0, v1
	v_cndmask_b32_e64 v61, v2, v0, s0
; %bb.845:                              ;   in Loop: Header=BB203_31 Depth=1
	s_or_b32 exec_lo, exec_lo, s7
	scratch_load_b32 v0, off, s32 offset:584 ; 4-byte Folded Reload
	s_waitcnt vmcnt(0)
	v_add_co_u32 v0, s0, v180, v0
	s_delay_alu instid0(VALU_DEP_1)
	v_add_co_ci_u32_e64 v1, s0, 0, v181, s0
	flat_load_b128 v[0:3], v[0:1]
	s_waitcnt vmcnt(0) lgkmcnt(0)
	v_lshrrev_b32_e32 v63, 16, v0
	v_lshrrev_b32_e32 v62, 16, v1
	;; [unrolled: 1-line block ×4, first 2 shown]
	s_and_saveexec_b32 s0, vcc_lo
	s_cbranch_execz .LBB203_847
; %bb.846:                              ;   in Loop: Header=BB203_31 Depth=1
	v_cmp_lt_i32_e32 vcc_lo, v165, v87
	v_cndmask_b32_e32 v0, 0, v0, vcc_lo
	v_cmp_lt_i32_e32 vcc_lo, v179, v87
	v_cndmask_b32_e32 v63, 0, v63, vcc_lo
	;; [unrolled: 2-line block ×8, first 2 shown]
.LBB203_847:                            ;   in Loop: Header=BB203_31 Depth=1
	s_or_b32 exec_lo, exec_lo, s0
	v_lshlrev_b32_e32 v0, 16, v0
	s_delay_alu instid0(VALU_DEP_1) | instskip(NEXT) | instid1(VALU_DEP_1)
	v_mul_f32_e32 v165, v182, v0
	v_and_b32_e32 v0, 0x7f800000, v165
	s_delay_alu instid0(VALU_DEP_1) | instskip(SKIP_1) | instid1(SALU_CYCLE_1)
	v_cmp_ne_u32_e32 vcc_lo, 0x7f800000, v0
                                        ; implicit-def: $vgpr0
	s_and_saveexec_b32 s0, vcc_lo
	s_xor_b32 s0, exec_lo, s0
; %bb.848:                              ;   in Loop: Header=BB203_31 Depth=1
	v_bfe_u32 v0, v165, 16, 1
	s_delay_alu instid0(VALU_DEP_1)
	v_add3_u32 v0, v165, v0, 0x7fff
                                        ; implicit-def: $vgpr165
; %bb.849:                              ;   in Loop: Header=BB203_31 Depth=1
	s_and_not1_saveexec_b32 s0, s0
; %bb.850:                              ;   in Loop: Header=BB203_31 Depth=1
	v_and_b32_e32 v0, 0xffff, v165
	v_or_b32_e32 v166, 0x10000, v165
	s_delay_alu instid0(VALU_DEP_2) | instskip(NEXT) | instid1(VALU_DEP_2)
	v_cmp_eq_u32_e32 vcc_lo, 0, v0
	v_cndmask_b32_e32 v0, v166, v165, vcc_lo
; %bb.851:                              ;   in Loop: Header=BB203_31 Depth=1
	s_or_b32 exec_lo, exec_lo, s0
	v_lshlrev_b32_e32 v165, 16, v63
	s_delay_alu instid0(VALU_DEP_1) | instskip(NEXT) | instid1(VALU_DEP_1)
	v_mul_f32_e32 v166, v183, v165
	v_and_b32_e32 v165, 0x7f800000, v166
	s_delay_alu instid0(VALU_DEP_1) | instskip(SKIP_1) | instid1(SALU_CYCLE_1)
	v_cmp_ne_u32_e32 vcc_lo, 0x7f800000, v165
                                        ; implicit-def: $vgpr165
	s_and_saveexec_b32 s0, vcc_lo
	s_xor_b32 s0, exec_lo, s0
; %bb.852:                              ;   in Loop: Header=BB203_31 Depth=1
	v_bfe_u32 v165, v166, 16, 1
	s_delay_alu instid0(VALU_DEP_1)
	v_add3_u32 v165, v166, v165, 0x7fff
                                        ; implicit-def: $vgpr166
; %bb.853:                              ;   in Loop: Header=BB203_31 Depth=1
	s_and_not1_saveexec_b32 s0, s0
; %bb.854:                              ;   in Loop: Header=BB203_31 Depth=1
	v_and_b32_e32 v165, 0xffff, v166
	v_or_b32_e32 v167, 0x10000, v166
	s_delay_alu instid0(VALU_DEP_2) | instskip(NEXT) | instid1(VALU_DEP_2)
	v_cmp_eq_u32_e32 vcc_lo, 0, v165
	v_cndmask_b32_e32 v165, v167, v166, vcc_lo
; %bb.855:                              ;   in Loop: Header=BB203_31 Depth=1
	s_or_b32 exec_lo, exec_lo, s0
	v_lshlrev_b32_e32 v1, 16, v1
	s_delay_alu instid0(VALU_DEP_1) | instskip(NEXT) | instid1(VALU_DEP_1)
	v_mul_f32_e32 v166, v40, v1
	v_and_b32_e32 v1, 0x7f800000, v166
	s_delay_alu instid0(VALU_DEP_1) | instskip(SKIP_1) | instid1(SALU_CYCLE_1)
	v_cmp_ne_u32_e32 vcc_lo, 0x7f800000, v1
                                        ; implicit-def: $vgpr1
	s_and_saveexec_b32 s0, vcc_lo
	s_xor_b32 s0, exec_lo, s0
; %bb.856:                              ;   in Loop: Header=BB203_31 Depth=1
	v_bfe_u32 v1, v166, 16, 1
	s_delay_alu instid0(VALU_DEP_1)
	v_add3_u32 v1, v166, v1, 0x7fff
                                        ; implicit-def: $vgpr166
; %bb.857:                              ;   in Loop: Header=BB203_31 Depth=1
	s_and_not1_saveexec_b32 s0, s0
; %bb.858:                              ;   in Loop: Header=BB203_31 Depth=1
	v_and_b32_e32 v1, 0xffff, v166
	v_or_b32_e32 v167, 0x10000, v166
	s_delay_alu instid0(VALU_DEP_2) | instskip(NEXT) | instid1(VALU_DEP_2)
	v_cmp_eq_u32_e32 vcc_lo, 0, v1
	v_cndmask_b32_e32 v1, v167, v166, vcc_lo
; %bb.859:                              ;   in Loop: Header=BB203_31 Depth=1
	s_or_b32 exec_lo, exec_lo, s0
	v_lshlrev_b32_e32 v166, 16, v62
	s_delay_alu instid0(VALU_DEP_1) | instskip(NEXT) | instid1(VALU_DEP_1)
	v_mul_f32_e32 v167, v41, v166
	v_and_b32_e32 v166, 0x7f800000, v167
	s_delay_alu instid0(VALU_DEP_1) | instskip(SKIP_1) | instid1(SALU_CYCLE_1)
	v_cmp_ne_u32_e32 vcc_lo, 0x7f800000, v166
                                        ; implicit-def: $vgpr166
	s_and_saveexec_b32 s0, vcc_lo
	s_xor_b32 s0, exec_lo, s0
; %bb.860:                              ;   in Loop: Header=BB203_31 Depth=1
	v_bfe_u32 v166, v167, 16, 1
	s_delay_alu instid0(VALU_DEP_1)
	v_add3_u32 v166, v167, v166, 0x7fff
                                        ; implicit-def: $vgpr167
; %bb.861:                              ;   in Loop: Header=BB203_31 Depth=1
	s_and_not1_saveexec_b32 s0, s0
; %bb.862:                              ;   in Loop: Header=BB203_31 Depth=1
	v_and_b32_e32 v166, 0xffff, v167
	v_or_b32_e32 v176, 0x10000, v167
	s_delay_alu instid0(VALU_DEP_2) | instskip(NEXT) | instid1(VALU_DEP_2)
	v_cmp_eq_u32_e32 vcc_lo, 0, v166
	v_cndmask_b32_e32 v166, v176, v167, vcc_lo
; %bb.863:                              ;   in Loop: Header=BB203_31 Depth=1
	s_or_b32 exec_lo, exec_lo, s0
	v_lshlrev_b32_e32 v2, 16, v2
	s_delay_alu instid0(VALU_DEP_1) | instskip(NEXT) | instid1(VALU_DEP_1)
	v_mul_f32_e32 v167, v42, v2
	v_and_b32_e32 v2, 0x7f800000, v167
	s_delay_alu instid0(VALU_DEP_1) | instskip(SKIP_1) | instid1(SALU_CYCLE_1)
	v_cmp_ne_u32_e32 vcc_lo, 0x7f800000, v2
                                        ; implicit-def: $vgpr2
	s_and_saveexec_b32 s0, vcc_lo
	s_xor_b32 s0, exec_lo, s0
; %bb.864:                              ;   in Loop: Header=BB203_31 Depth=1
	v_bfe_u32 v2, v167, 16, 1
	s_delay_alu instid0(VALU_DEP_1)
	v_add3_u32 v2, v167, v2, 0x7fff
                                        ; implicit-def: $vgpr167
; %bb.865:                              ;   in Loop: Header=BB203_31 Depth=1
	s_and_not1_saveexec_b32 s0, s0
; %bb.866:                              ;   in Loop: Header=BB203_31 Depth=1
	v_and_b32_e32 v2, 0xffff, v167
	v_or_b32_e32 v176, 0x10000, v167
	s_delay_alu instid0(VALU_DEP_2) | instskip(NEXT) | instid1(VALU_DEP_2)
	v_cmp_eq_u32_e32 vcc_lo, 0, v2
	v_cndmask_b32_e32 v2, v176, v167, vcc_lo
; %bb.867:                              ;   in Loop: Header=BB203_31 Depth=1
	s_or_b32 exec_lo, exec_lo, s0
	v_lshlrev_b32_e32 v167, 16, v181
	s_delay_alu instid0(VALU_DEP_1) | instskip(NEXT) | instid1(VALU_DEP_1)
	v_mul_f32_e32 v176, v43, v167
	v_and_b32_e32 v167, 0x7f800000, v176
	s_delay_alu instid0(VALU_DEP_1) | instskip(SKIP_1) | instid1(SALU_CYCLE_1)
	v_cmp_ne_u32_e32 vcc_lo, 0x7f800000, v167
                                        ; implicit-def: $vgpr167
	s_and_saveexec_b32 s0, vcc_lo
	s_xor_b32 s0, exec_lo, s0
; %bb.868:                              ;   in Loop: Header=BB203_31 Depth=1
	v_bfe_u32 v167, v176, 16, 1
	s_delay_alu instid0(VALU_DEP_1)
	v_add3_u32 v167, v176, v167, 0x7fff
                                        ; implicit-def: $vgpr176
; %bb.869:                              ;   in Loop: Header=BB203_31 Depth=1
	s_and_not1_saveexec_b32 s0, s0
; %bb.870:                              ;   in Loop: Header=BB203_31 Depth=1
	v_and_b32_e32 v167, 0xffff, v176
	v_or_b32_e32 v177, 0x10000, v176
	s_delay_alu instid0(VALU_DEP_2) | instskip(NEXT) | instid1(VALU_DEP_2)
	v_cmp_eq_u32_e32 vcc_lo, 0, v167
	v_cndmask_b32_e32 v167, v177, v176, vcc_lo
; %bb.871:                              ;   in Loop: Header=BB203_31 Depth=1
	s_or_b32 exec_lo, exec_lo, s0
	v_lshlrev_b32_e32 v3, 16, v3
	s_delay_alu instid0(VALU_DEP_1) | instskip(NEXT) | instid1(VALU_DEP_1)
	v_mul_f32_e32 v176, v44, v3
	v_and_b32_e32 v3, 0x7f800000, v176
	s_delay_alu instid0(VALU_DEP_1) | instskip(SKIP_1) | instid1(SALU_CYCLE_1)
	v_cmp_ne_u32_e32 vcc_lo, 0x7f800000, v3
                                        ; implicit-def: $vgpr3
	s_and_saveexec_b32 s0, vcc_lo
	s_xor_b32 s0, exec_lo, s0
; %bb.872:                              ;   in Loop: Header=BB203_31 Depth=1
	v_bfe_u32 v3, v176, 16, 1
	s_delay_alu instid0(VALU_DEP_1)
	v_add3_u32 v3, v176, v3, 0x7fff
                                        ; implicit-def: $vgpr176
; %bb.873:                              ;   in Loop: Header=BB203_31 Depth=1
	s_and_not1_saveexec_b32 s0, s0
; %bb.874:                              ;   in Loop: Header=BB203_31 Depth=1
	v_and_b32_e32 v3, 0xffff, v176
	v_or_b32_e32 v177, 0x10000, v176
	s_delay_alu instid0(VALU_DEP_2) | instskip(NEXT) | instid1(VALU_DEP_2)
	v_cmp_eq_u32_e32 vcc_lo, 0, v3
	v_cndmask_b32_e32 v3, v177, v176, vcc_lo
; %bb.875:                              ;   in Loop: Header=BB203_31 Depth=1
	s_or_b32 exec_lo, exec_lo, s0
	v_lshlrev_b32_e32 v176, 16, v180
	s_delay_alu instid0(VALU_DEP_1) | instskip(NEXT) | instid1(VALU_DEP_1)
	v_mul_f32_e32 v177, v45, v176
	v_and_b32_e32 v176, 0x7f800000, v177
	s_delay_alu instid0(VALU_DEP_1) | instskip(SKIP_1) | instid1(SALU_CYCLE_1)
	v_cmp_ne_u32_e32 vcc_lo, 0x7f800000, v176
                                        ; implicit-def: $vgpr176
	s_and_saveexec_b32 s0, vcc_lo
	s_xor_b32 s0, exec_lo, s0
; %bb.876:                              ;   in Loop: Header=BB203_31 Depth=1
	v_bfe_u32 v176, v177, 16, 1
	s_delay_alu instid0(VALU_DEP_1)
	v_add3_u32 v176, v177, v176, 0x7fff
                                        ; implicit-def: $vgpr177
; %bb.877:                              ;   in Loop: Header=BB203_31 Depth=1
	s_and_not1_saveexec_b32 s0, s0
	s_cbranch_execz .LBB203_30
; %bb.878:                              ;   in Loop: Header=BB203_31 Depth=1
	v_and_b32_e32 v176, 0xffff, v177
	v_or_b32_e32 v178, 0x10000, v177
	s_delay_alu instid0(VALU_DEP_2) | instskip(NEXT) | instid1(VALU_DEP_2)
	v_cmp_eq_u32_e32 vcc_lo, 0, v176
	v_cndmask_b32_e32 v176, v178, v177, vcc_lo
	s_branch .LBB203_30
.LBB203_879:
	s_or_b32 exec_lo, exec_lo, s3
	scratch_load_b32 v12, off, s32 offset:596 ; 4-byte Folded Reload
	v_dual_mov_b32 v0, s10 :: v_dual_mov_b32 v1, s11
.LBB203_880:
	s_or_b32 exec_lo, exec_lo, s2
	s_delay_alu instid0(VALU_DEP_1)
	v_lshlrev_b64 v[0:1], 2, v[0:1]
	s_getpc_b64 s[2:3]
	s_add_u32 s2, s2, llvm.amdgcn.dynlds.offset.table@rel32@lo+4
	s_addc_u32 s3, s3, llvm.amdgcn.dynlds.offset.table@rel32@hi+12
	s_waitcnt vmcnt(0) lgkmcnt(0)
	s_waitcnt_vscnt null, 0x0
	s_barrier
	buffer_gl0_inv
	ds_bpermute_b32 v6, v12, v48
	v_add_co_u32 v0, vcc_lo, v0, s2
	v_add_co_ci_u32_e32 v1, vcc_lo, s3, v1, vcc_lo
	ds_bpermute_b32 v10, v12, v35
	ds_bpermute_b32 v11, v12, v34
	;; [unrolled: 1-line block ×3, first 2 shown]
	global_load_b32 v39, v[0:1], off
	scratch_load_b32 v1, off, s32 offset:680 ; 4-byte Folded Reload
	v_mov_b32_e32 v66, v12
	ds_bpermute_b32 v0, v12, v50
	ds_bpermute_b32 v3, v12, v52
	;; [unrolled: 1-line block ×9, first 2 shown]
	s_waitcnt lgkmcnt(10)
	v_dual_add_f32 v6, v48, v6 :: v_dual_add_f32 v11, v34, v11
	s_waitcnt lgkmcnt(9)
	v_add_f32_e32 v2, v53, v2
	s_waitcnt lgkmcnt(7)
	v_dual_add_f32 v0, v50, v0 :: v_dual_add_f32 v3, v52, v3
	s_waitcnt lgkmcnt(5)
	v_dual_add_f32 v4, v51, v4 :: v_dual_add_f32 v5, v49, v5
	s_waitcnt lgkmcnt(4)
	v_add_f32_e32 v27, v27, v20
	scratch_load_b32 v20, off, s32 offset:592 ; 4-byte Folded Reload
	s_waitcnt lgkmcnt(2)
	v_dual_add_f32 v7, v38, v7 :: v_dual_add_f32 v8, v37, v8
	s_waitcnt lgkmcnt(1)
	v_add_f32_e32 v9, v36, v9
	s_waitcnt vmcnt(1)
	v_and_b32_e32 v55, 0x3c3, v1
	ds_bpermute_b32 v17, v66, v28
	ds_bpermute_b32 v22, v66, v25
	ds_bpermute_b32 v13, v66, v32
	ds_bpermute_b32 v14, v66, v31
	ds_bpermute_b32 v15, v66, v30
	ds_bpermute_b32 v16, v66, v29
	ds_bpermute_b32 v21, v66, v26
	ds_bpermute_b32 v54, v66, v24
	ds_bpermute_b32 v64, v66, v23
	ds_bpermute_b32 v65, v66, v19
	ds_bpermute_b32 v66, v66, v18
	v_add_f32_e32 v10, v35, v10
	scratch_load_b32 v1, off, s32 offset:688 ; 4-byte Folded Reload
	s_waitcnt lgkmcnt(11)
	v_add_f32_e32 v12, v33, v12
	v_cmp_eq_u32_e32 vcc_lo, 64, v55
	s_waitcnt lgkmcnt(9)
	v_dual_add_f32 v28, v28, v17 :: v_dual_add_f32 v25, v25, v22
	s_waitcnt lgkmcnt(8)
	v_add_f32_e32 v13, v32, v13
	s_waitcnt lgkmcnt(6)
	v_dual_add_f32 v31, v31, v14 :: v_dual_add_f32 v30, v30, v15
	s_waitcnt lgkmcnt(4)
	v_dual_add_f32 v29, v29, v16 :: v_dual_add_f32 v26, v26, v21
	;; [unrolled: 2-line block ×4, first 2 shown]
	s_waitcnt vmcnt(1)
	ds_bpermute_b32 v19, v20, v6
	ds_bpermute_b32 v66, v20, v25
	;; [unrolled: 1-line block ×24, first 2 shown]
	s_waitcnt lgkmcnt(23)
	v_add_f32_e32 v20, v6, v19
	s_waitcnt lgkmcnt(22)
	v_add_f32_e32 v6, v25, v66
	scratch_load_b32 v25, off, s32 offset:684 ; 4-byte Folded Reload
	s_waitcnt lgkmcnt(19)
	v_dual_add_f32 v0, v0, v14 :: v_dual_add_f32 v23, v3, v16
	s_waitcnt lgkmcnt(17)
	v_dual_add_f32 v24, v2, v15 :: v_dual_add_f32 v21, v5, v18
	;; [unrolled: 2-line block ×4, first 2 shown]
	v_dual_add_f32 v17, v9, v38 :: v_dual_add_f32 v16, v10, v48
	v_dual_add_f32 v15, v11, v49 :: v_dual_add_f32 v14, v12, v50
	s_waitcnt lgkmcnt(8)
	v_dual_add_f32 v11, v30, v53 :: v_dual_add_f32 v12, v31, v52
	s_waitcnt lgkmcnt(6)
	;; [unrolled: 2-line block ×5, first 2 shown]
	v_dual_add_f32 v3, v34, v69 :: v_dual_add_f32 v2, v35, v70
	s_waitcnt vmcnt(1)
	v_lshrrev_b32_e32 v1, 2, v1
	s_delay_alu instid0(VALU_DEP_1)
	v_lshlrev_b32_e32 v26, 2, v1
	s_waitcnt vmcnt(0)
	v_mad_u32_u24 v25, 0x300, v25, v39
	s_and_saveexec_b32 s0, vcc_lo
	s_cbranch_execz .LBB203_882
; %bb.881:
	s_delay_alu instid0(VALU_DEP_1)
	v_add3_u32 v27, v25, v26, 0xfffffa00
	ds_store_2addr_b32 v27, v0, v24 offset1:8
	ds_store_2addr_b32 v27, v23, v22 offset0:16 offset1:24
	ds_store_2addr_b32 v27, v21, v20 offset0:32 offset1:40
	;; [unrolled: 1-line block ×11, first 2 shown]
.LBB203_882:
	s_or_b32 exec_lo, exec_lo, s0
	s_clause 0x1
	scratch_load_b32 v27, off, s32 offset:588
	scratch_load_b32 v28, off, s32 offset:680
	s_mov_b32 s2, exec_lo
	s_waitcnt vmcnt(0) lgkmcnt(0)
	s_barrier
	buffer_gl0_inv
	v_cmp_eq_u32_e32 vcc_lo, 0, v27
	v_cmpx_gt_u32_e32 64, v28
	s_cbranch_execz .LBB203_909
; %bb.883:
	s_and_saveexec_b32 s0, vcc_lo
	s_cbranch_execnz .LBB203_1038
; %bb.884:
	s_or_b32 exec_lo, exec_lo, s0
	s_and_saveexec_b32 s0, vcc_lo
	s_cbranch_execnz .LBB203_1039
.LBB203_885:
	s_or_b32 exec_lo, exec_lo, s0
	s_and_saveexec_b32 s0, vcc_lo
	s_cbranch_execnz .LBB203_1040
.LBB203_886:
	s_or_b32 exec_lo, exec_lo, s0
	s_and_saveexec_b32 s0, vcc_lo
	s_cbranch_execnz .LBB203_1041
.LBB203_887:
	s_or_b32 exec_lo, exec_lo, s0
	s_and_saveexec_b32 s0, vcc_lo
	s_cbranch_execnz .LBB203_1042
.LBB203_888:
	s_or_b32 exec_lo, exec_lo, s0
	s_and_saveexec_b32 s0, vcc_lo
	s_cbranch_execnz .LBB203_1043
.LBB203_889:
	s_or_b32 exec_lo, exec_lo, s0
	s_and_saveexec_b32 s0, vcc_lo
	s_cbranch_execnz .LBB203_1044
.LBB203_890:
	s_or_b32 exec_lo, exec_lo, s0
	s_and_saveexec_b32 s0, vcc_lo
	s_cbranch_execnz .LBB203_1045
.LBB203_891:
	s_or_b32 exec_lo, exec_lo, s0
	s_and_saveexec_b32 s0, vcc_lo
	s_cbranch_execnz .LBB203_1046
.LBB203_892:
	s_or_b32 exec_lo, exec_lo, s0
	s_and_saveexec_b32 s0, vcc_lo
	s_cbranch_execnz .LBB203_1047
.LBB203_893:
	s_or_b32 exec_lo, exec_lo, s0
	s_and_saveexec_b32 s0, vcc_lo
	s_cbranch_execnz .LBB203_1048
.LBB203_894:
	s_or_b32 exec_lo, exec_lo, s0
	s_and_saveexec_b32 s0, vcc_lo
	s_cbranch_execnz .LBB203_1049
.LBB203_895:
	s_or_b32 exec_lo, exec_lo, s0
	s_and_saveexec_b32 s0, vcc_lo
	s_cbranch_execnz .LBB203_1050
.LBB203_896:
	s_or_b32 exec_lo, exec_lo, s0
	s_and_saveexec_b32 s0, vcc_lo
	s_cbranch_execnz .LBB203_1051
.LBB203_897:
	s_or_b32 exec_lo, exec_lo, s0
	s_and_saveexec_b32 s0, vcc_lo
	s_cbranch_execnz .LBB203_1052
.LBB203_898:
	s_or_b32 exec_lo, exec_lo, s0
	s_and_saveexec_b32 s0, vcc_lo
	s_cbranch_execnz .LBB203_1053
.LBB203_899:
	s_or_b32 exec_lo, exec_lo, s0
	s_and_saveexec_b32 s0, vcc_lo
	s_cbranch_execnz .LBB203_1054
.LBB203_900:
	s_or_b32 exec_lo, exec_lo, s0
	s_and_saveexec_b32 s0, vcc_lo
	s_cbranch_execnz .LBB203_1055
.LBB203_901:
	s_or_b32 exec_lo, exec_lo, s0
	s_and_saveexec_b32 s0, vcc_lo
	s_cbranch_execnz .LBB203_1056
.LBB203_902:
	s_or_b32 exec_lo, exec_lo, s0
	s_and_saveexec_b32 s0, vcc_lo
	s_cbranch_execnz .LBB203_1057
.LBB203_903:
	s_or_b32 exec_lo, exec_lo, s0
	s_and_saveexec_b32 s0, vcc_lo
	s_cbranch_execnz .LBB203_1058
.LBB203_904:
	s_or_b32 exec_lo, exec_lo, s0
	s_and_saveexec_b32 s0, vcc_lo
	s_cbranch_execnz .LBB203_1059
.LBB203_905:
	s_or_b32 exec_lo, exec_lo, s0
	s_and_saveexec_b32 s0, vcc_lo
	s_cbranch_execnz .LBB203_1060
.LBB203_906:
	s_or_b32 exec_lo, exec_lo, s0
	s_and_saveexec_b32 s0, vcc_lo
	s_cbranch_execz .LBB203_908
.LBB203_907:
	v_lshl_add_u32 v27, v1, 2, v25
	ds_load_b32 v27, v27 offset:736
	s_waitcnt lgkmcnt(0)
	v_add_f32_e32 v2, v27, v2
.LBB203_908:
	s_or_b32 exec_lo, exec_lo, s0
.LBB203_909:
	s_delay_alu instid0(SALU_CYCLE_1)
	s_or_b32 exec_lo, exec_lo, s2
	v_and_b32_e32 v27, 0x3e3, v28
	s_mov_b32 s2, exec_lo
	s_barrier
	buffer_gl0_inv
	v_cmpx_eq_u32_e32 32, v27
	s_cbranch_execz .LBB203_911
; %bb.910:
	v_add3_u32 v26, v25, v26, 0xfffffd00
	ds_store_2addr_b32 v26, v0, v24 offset1:8
	ds_store_2addr_b32 v26, v23, v22 offset0:16 offset1:24
	ds_store_2addr_b32 v26, v21, v20 offset0:32 offset1:40
	ds_store_2addr_b32 v26, v19, v18 offset0:48 offset1:56
	ds_store_2addr_b32 v26, v17, v16 offset0:64 offset1:72
	ds_store_2addr_b32 v26, v15, v14 offset0:80 offset1:88
	ds_store_2addr_b32 v26, v13, v12 offset0:96 offset1:104
	ds_store_2addr_b32 v26, v11, v10 offset0:112 offset1:120
	ds_store_2addr_b32 v26, v9, v8 offset0:128 offset1:136
	ds_store_2addr_b32 v26, v7, v6 offset0:144 offset1:152
	ds_store_2addr_b32 v26, v5, v4 offset0:160 offset1:168
	ds_store_2addr_b32 v26, v3, v2 offset0:176 offset1:184
.LBB203_911:
	s_or_b32 exec_lo, exec_lo, s2
	v_cmp_gt_u32_e64 s0, 32, v28
	s_waitcnt lgkmcnt(0)
	s_barrier
	buffer_gl0_inv
	s_and_saveexec_b32 s2, s0
	s_cbranch_execz .LBB203_938
; %bb.912:
	v_lshl_add_u32 v1, v1, 2, v25
	s_and_saveexec_b32 s3, vcc_lo
	s_cbranch_execnz .LBB203_1061
; %bb.913:
	s_or_b32 exec_lo, exec_lo, s3
	s_and_saveexec_b32 s3, vcc_lo
	s_cbranch_execnz .LBB203_1062
.LBB203_914:
	s_or_b32 exec_lo, exec_lo, s3
	s_and_saveexec_b32 s3, vcc_lo
	s_cbranch_execnz .LBB203_1063
.LBB203_915:
	s_or_b32 exec_lo, exec_lo, s3
	s_and_saveexec_b32 s3, vcc_lo
	s_cbranch_execnz .LBB203_1064
.LBB203_916:
	s_or_b32 exec_lo, exec_lo, s3
	s_and_saveexec_b32 s3, vcc_lo
	s_cbranch_execnz .LBB203_1065
.LBB203_917:
	s_or_b32 exec_lo, exec_lo, s3
	s_and_saveexec_b32 s3, vcc_lo
	s_cbranch_execnz .LBB203_1066
.LBB203_918:
	s_or_b32 exec_lo, exec_lo, s3
	s_and_saveexec_b32 s3, vcc_lo
	s_cbranch_execnz .LBB203_1067
.LBB203_919:
	s_or_b32 exec_lo, exec_lo, s3
	s_and_saveexec_b32 s3, vcc_lo
	s_cbranch_execnz .LBB203_1068
.LBB203_920:
	s_or_b32 exec_lo, exec_lo, s3
	s_and_saveexec_b32 s3, vcc_lo
	s_cbranch_execnz .LBB203_1069
.LBB203_921:
	s_or_b32 exec_lo, exec_lo, s3
	s_and_saveexec_b32 s3, vcc_lo
	s_cbranch_execnz .LBB203_1070
.LBB203_922:
	s_or_b32 exec_lo, exec_lo, s3
	s_and_saveexec_b32 s3, vcc_lo
	s_cbranch_execnz .LBB203_1071
.LBB203_923:
	s_or_b32 exec_lo, exec_lo, s3
	s_and_saveexec_b32 s3, vcc_lo
	s_cbranch_execnz .LBB203_1072
.LBB203_924:
	s_or_b32 exec_lo, exec_lo, s3
	s_and_saveexec_b32 s3, vcc_lo
	s_cbranch_execnz .LBB203_1073
.LBB203_925:
	s_or_b32 exec_lo, exec_lo, s3
	s_and_saveexec_b32 s3, vcc_lo
	s_cbranch_execnz .LBB203_1074
.LBB203_926:
	s_or_b32 exec_lo, exec_lo, s3
	s_and_saveexec_b32 s3, vcc_lo
	s_cbranch_execnz .LBB203_1075
.LBB203_927:
	s_or_b32 exec_lo, exec_lo, s3
	s_and_saveexec_b32 s3, vcc_lo
	s_cbranch_execnz .LBB203_1076
.LBB203_928:
	s_or_b32 exec_lo, exec_lo, s3
	s_and_saveexec_b32 s3, vcc_lo
	s_cbranch_execnz .LBB203_1077
.LBB203_929:
	s_or_b32 exec_lo, exec_lo, s3
	s_and_saveexec_b32 s3, vcc_lo
	s_cbranch_execnz .LBB203_1078
.LBB203_930:
	s_or_b32 exec_lo, exec_lo, s3
	s_and_saveexec_b32 s3, vcc_lo
	s_cbranch_execnz .LBB203_1079
.LBB203_931:
	s_or_b32 exec_lo, exec_lo, s3
	s_and_saveexec_b32 s3, vcc_lo
	s_cbranch_execnz .LBB203_1080
.LBB203_932:
	s_or_b32 exec_lo, exec_lo, s3
	s_and_saveexec_b32 s3, vcc_lo
	s_cbranch_execnz .LBB203_1081
.LBB203_933:
	s_or_b32 exec_lo, exec_lo, s3
	s_and_saveexec_b32 s3, vcc_lo
	s_cbranch_execnz .LBB203_1082
.LBB203_934:
	s_or_b32 exec_lo, exec_lo, s3
	s_and_saveexec_b32 s3, vcc_lo
	s_cbranch_execnz .LBB203_1083
.LBB203_935:
	s_or_b32 exec_lo, exec_lo, s3
	s_and_saveexec_b32 s3, vcc_lo
	s_cbranch_execz .LBB203_937
.LBB203_936:
	ds_load_b32 v1, v1 offset:736
	s_waitcnt lgkmcnt(0)
	v_add_f32_e32 v2, v1, v2
.LBB203_937:
	s_or_b32 exec_lo, exec_lo, s3
.LBB203_938:
	s_delay_alu instid0(SALU_CYCLE_1)
	s_or_b32 exec_lo, exec_lo, s2
	s_barrier
	buffer_gl0_inv
	s_and_b32 exec_lo, exec_lo, s0
	s_cbranch_execz .LBB203_1037
; %bb.939:
	s_and_b32 exec_lo, exec_lo, vcc_lo
	s_cbranch_execz .LBB203_1037
; %bb.940:
	v_and_b32_e32 v1, 0x7f800000, v0
	s_mov_b32 s0, exec_lo
                                        ; implicit-def: $vgpr25
	s_delay_alu instid0(VALU_DEP_1)
	v_cmpx_ne_u32_e32 0x7f800000, v1
	s_xor_b32 s0, exec_lo, s0
; %bb.941:
	v_bfe_u32 v1, v0, 16, 1
	s_delay_alu instid0(VALU_DEP_1)
	v_add3_u32 v25, v0, v1, 0x7fff
                                        ; implicit-def: $vgpr0
; %bb.942:
	s_and_not1_saveexec_b32 s0, s0
; %bb.943:
	v_and_b32_e32 v1, 0xffff, v0
	v_or_b32_e32 v25, 0x10000, v0
	s_delay_alu instid0(VALU_DEP_2) | instskip(NEXT) | instid1(VALU_DEP_2)
	v_cmp_eq_u32_e32 vcc_lo, 0, v1
	v_cndmask_b32_e32 v25, v25, v0, vcc_lo
; %bb.944:
	s_or_b32 exec_lo, exec_lo, s0
	s_clause 0x1
	scratch_load_b32 v1, off, s32 offset:696
	scratch_load_b32 v26, off, s32 offset:692
	s_mul_i32 s2, s1, s4
	s_mul_i32 s0, s6, s1
	;; [unrolled: 1-line block ×5, first 2 shown]
	s_ashr_i32 s1, s0, 31
	s_ashr_i32 s3, s2, 31
	;; [unrolled: 1-line block ×3, first 2 shown]
	s_lshl_b64 s[0:1], s[0:1], 1
	s_lshl_b64 s[2:3], s[2:3], 1
	s_lshl_b64 s[6:7], s[6:7], 1
	v_lshrrev_b32_e32 v0, 1, v28
	s_add_u32 s0, s2, s0
	s_addc_u32 s1, s3, s1
	s_add_u32 s0, s0, s6
	s_addc_u32 s1, s1, s7
	v_and_b32_e32 v0, 0x1fe, v0
	v_and_b32_e32 v27, 0x7f800000, v24
	s_waitcnt vmcnt(1)
	v_add_co_u32 v1, vcc_lo, s0, v1
	s_waitcnt vmcnt(0)
	v_add_co_ci_u32_e32 v26, vcc_lo, s1, v26, vcc_lo
	s_mov_b32 s0, exec_lo
	s_delay_alu instid0(VALU_DEP_2) | instskip(NEXT) | instid1(VALU_DEP_2)
	v_add_co_u32 v0, vcc_lo, v1, v0
	v_add_co_ci_u32_e32 v1, vcc_lo, 0, v26, vcc_lo
	flat_store_d16_hi_b16 v[0:1], v25
                                        ; implicit-def: $vgpr25
	v_cmpx_ne_u32_e32 0x7f800000, v27
	s_xor_b32 s0, exec_lo, s0
; %bb.945:
	v_bfe_u32 v25, v24, 16, 1
	s_delay_alu instid0(VALU_DEP_1)
	v_add3_u32 v25, v24, v25, 0x7fff
                                        ; implicit-def: $vgpr24
; %bb.946:
	s_and_not1_saveexec_b32 s0, s0
; %bb.947:
	v_and_b32_e32 v25, 0xffff, v24
	v_or_b32_e32 v26, 0x10000, v24
	s_delay_alu instid0(VALU_DEP_2) | instskip(NEXT) | instid1(VALU_DEP_2)
	v_cmp_eq_u32_e32 vcc_lo, 0, v25
	v_cndmask_b32_e32 v25, v26, v24, vcc_lo
; %bb.948:
	s_or_b32 exec_lo, exec_lo, s0
	v_and_b32_e32 v24, 0x7f800000, v23
	flat_store_d16_hi_b16 v[0:1], v25 offset:16
	v_cmp_ne_u32_e32 vcc_lo, 0x7f800000, v24
                                        ; implicit-def: $vgpr24
	s_and_saveexec_b32 s0, vcc_lo
	s_delay_alu instid0(SALU_CYCLE_1)
	s_xor_b32 s0, exec_lo, s0
; %bb.949:
	v_bfe_u32 v24, v23, 16, 1
	s_delay_alu instid0(VALU_DEP_1)
	v_add3_u32 v24, v23, v24, 0x7fff
                                        ; implicit-def: $vgpr23
; %bb.950:
	s_and_not1_saveexec_b32 s0, s0
; %bb.951:
	v_and_b32_e32 v24, 0xffff, v23
	v_or_b32_e32 v25, 0x10000, v23
	s_delay_alu instid0(VALU_DEP_2) | instskip(NEXT) | instid1(VALU_DEP_2)
	v_cmp_eq_u32_e32 vcc_lo, 0, v24
	v_cndmask_b32_e32 v24, v25, v23, vcc_lo
; %bb.952:
	s_or_b32 exec_lo, exec_lo, s0
	v_and_b32_e32 v23, 0x7f800000, v22
	flat_store_d16_hi_b16 v[0:1], v24 offset:32
	v_cmp_ne_u32_e32 vcc_lo, 0x7f800000, v23
                                        ; implicit-def: $vgpr23
	s_and_saveexec_b32 s0, vcc_lo
	s_delay_alu instid0(SALU_CYCLE_1)
	s_xor_b32 s0, exec_lo, s0
; %bb.953:
	v_bfe_u32 v23, v22, 16, 1
	s_delay_alu instid0(VALU_DEP_1)
	v_add3_u32 v23, v22, v23, 0x7fff
                                        ; implicit-def: $vgpr22
; %bb.954:
	s_and_not1_saveexec_b32 s0, s0
; %bb.955:
	v_and_b32_e32 v23, 0xffff, v22
	v_or_b32_e32 v24, 0x10000, v22
	s_delay_alu instid0(VALU_DEP_2) | instskip(NEXT) | instid1(VALU_DEP_2)
	v_cmp_eq_u32_e32 vcc_lo, 0, v23
	v_cndmask_b32_e32 v23, v24, v22, vcc_lo
; %bb.956:
	s_or_b32 exec_lo, exec_lo, s0
	v_and_b32_e32 v22, 0x7f800000, v21
	flat_store_d16_hi_b16 v[0:1], v23 offset:48
	v_cmp_ne_u32_e32 vcc_lo, 0x7f800000, v22
                                        ; implicit-def: $vgpr22
	s_and_saveexec_b32 s0, vcc_lo
	s_delay_alu instid0(SALU_CYCLE_1)
	s_xor_b32 s0, exec_lo, s0
; %bb.957:
	v_bfe_u32 v22, v21, 16, 1
	s_delay_alu instid0(VALU_DEP_1)
	v_add3_u32 v22, v21, v22, 0x7fff
                                        ; implicit-def: $vgpr21
; %bb.958:
	s_and_not1_saveexec_b32 s0, s0
; %bb.959:
	v_and_b32_e32 v22, 0xffff, v21
	v_or_b32_e32 v23, 0x10000, v21
	s_delay_alu instid0(VALU_DEP_2) | instskip(NEXT) | instid1(VALU_DEP_2)
	v_cmp_eq_u32_e32 vcc_lo, 0, v22
	v_cndmask_b32_e32 v22, v23, v21, vcc_lo
; %bb.960:
	s_or_b32 exec_lo, exec_lo, s0
	v_and_b32_e32 v21, 0x7f800000, v20
	flat_store_d16_hi_b16 v[0:1], v22 offset:64
	v_cmp_ne_u32_e32 vcc_lo, 0x7f800000, v21
                                        ; implicit-def: $vgpr21
	s_and_saveexec_b32 s0, vcc_lo
	s_delay_alu instid0(SALU_CYCLE_1)
	s_xor_b32 s0, exec_lo, s0
; %bb.961:
	v_bfe_u32 v21, v20, 16, 1
	s_delay_alu instid0(VALU_DEP_1)
	v_add3_u32 v21, v20, v21, 0x7fff
                                        ; implicit-def: $vgpr20
; %bb.962:
	s_and_not1_saveexec_b32 s0, s0
; %bb.963:
	v_and_b32_e32 v21, 0xffff, v20
	v_or_b32_e32 v22, 0x10000, v20
	s_delay_alu instid0(VALU_DEP_2) | instskip(NEXT) | instid1(VALU_DEP_2)
	v_cmp_eq_u32_e32 vcc_lo, 0, v21
	v_cndmask_b32_e32 v21, v22, v20, vcc_lo
; %bb.964:
	s_or_b32 exec_lo, exec_lo, s0
	v_and_b32_e32 v20, 0x7f800000, v19
	flat_store_d16_hi_b16 v[0:1], v21 offset:80
	v_cmp_ne_u32_e32 vcc_lo, 0x7f800000, v20
                                        ; implicit-def: $vgpr20
	s_and_saveexec_b32 s0, vcc_lo
	s_delay_alu instid0(SALU_CYCLE_1)
	s_xor_b32 s0, exec_lo, s0
; %bb.965:
	v_bfe_u32 v20, v19, 16, 1
	s_delay_alu instid0(VALU_DEP_1)
	v_add3_u32 v20, v19, v20, 0x7fff
                                        ; implicit-def: $vgpr19
; %bb.966:
	s_and_not1_saveexec_b32 s0, s0
; %bb.967:
	v_and_b32_e32 v20, 0xffff, v19
	v_or_b32_e32 v21, 0x10000, v19
	s_delay_alu instid0(VALU_DEP_2) | instskip(NEXT) | instid1(VALU_DEP_2)
	v_cmp_eq_u32_e32 vcc_lo, 0, v20
	v_cndmask_b32_e32 v20, v21, v19, vcc_lo
; %bb.968:
	s_or_b32 exec_lo, exec_lo, s0
	v_and_b32_e32 v19, 0x7f800000, v18
	flat_store_d16_hi_b16 v[0:1], v20 offset:96
	v_cmp_ne_u32_e32 vcc_lo, 0x7f800000, v19
                                        ; implicit-def: $vgpr19
	s_and_saveexec_b32 s0, vcc_lo
	s_delay_alu instid0(SALU_CYCLE_1)
	s_xor_b32 s0, exec_lo, s0
; %bb.969:
	v_bfe_u32 v19, v18, 16, 1
	s_delay_alu instid0(VALU_DEP_1)
	v_add3_u32 v19, v18, v19, 0x7fff
                                        ; implicit-def: $vgpr18
; %bb.970:
	s_and_not1_saveexec_b32 s0, s0
; %bb.971:
	v_and_b32_e32 v19, 0xffff, v18
	v_or_b32_e32 v20, 0x10000, v18
	s_delay_alu instid0(VALU_DEP_2) | instskip(NEXT) | instid1(VALU_DEP_2)
	v_cmp_eq_u32_e32 vcc_lo, 0, v19
	v_cndmask_b32_e32 v19, v20, v18, vcc_lo
; %bb.972:
	s_or_b32 exec_lo, exec_lo, s0
	v_and_b32_e32 v18, 0x7f800000, v17
	flat_store_d16_hi_b16 v[0:1], v19 offset:112
	v_cmp_ne_u32_e32 vcc_lo, 0x7f800000, v18
                                        ; implicit-def: $vgpr18
	s_and_saveexec_b32 s0, vcc_lo
	s_delay_alu instid0(SALU_CYCLE_1)
	s_xor_b32 s0, exec_lo, s0
; %bb.973:
	v_bfe_u32 v18, v17, 16, 1
	s_delay_alu instid0(VALU_DEP_1)
	v_add3_u32 v18, v17, v18, 0x7fff
                                        ; implicit-def: $vgpr17
; %bb.974:
	s_and_not1_saveexec_b32 s0, s0
; %bb.975:
	v_and_b32_e32 v18, 0xffff, v17
	v_or_b32_e32 v19, 0x10000, v17
	s_delay_alu instid0(VALU_DEP_2) | instskip(NEXT) | instid1(VALU_DEP_2)
	v_cmp_eq_u32_e32 vcc_lo, 0, v18
	v_cndmask_b32_e32 v18, v19, v17, vcc_lo
; %bb.976:
	s_or_b32 exec_lo, exec_lo, s0
	v_and_b32_e32 v17, 0x7f800000, v16
	flat_store_d16_hi_b16 v[0:1], v18 offset:128
	v_cmp_ne_u32_e32 vcc_lo, 0x7f800000, v17
                                        ; implicit-def: $vgpr17
	s_and_saveexec_b32 s0, vcc_lo
	s_delay_alu instid0(SALU_CYCLE_1)
	s_xor_b32 s0, exec_lo, s0
; %bb.977:
	v_bfe_u32 v17, v16, 16, 1
	s_delay_alu instid0(VALU_DEP_1)
	v_add3_u32 v17, v16, v17, 0x7fff
                                        ; implicit-def: $vgpr16
; %bb.978:
	s_and_not1_saveexec_b32 s0, s0
; %bb.979:
	v_and_b32_e32 v17, 0xffff, v16
	v_or_b32_e32 v18, 0x10000, v16
	s_delay_alu instid0(VALU_DEP_2) | instskip(NEXT) | instid1(VALU_DEP_2)
	v_cmp_eq_u32_e32 vcc_lo, 0, v17
	v_cndmask_b32_e32 v17, v18, v16, vcc_lo
; %bb.980:
	s_or_b32 exec_lo, exec_lo, s0
	v_and_b32_e32 v16, 0x7f800000, v15
	flat_store_d16_hi_b16 v[0:1], v17 offset:144
	v_cmp_ne_u32_e32 vcc_lo, 0x7f800000, v16
                                        ; implicit-def: $vgpr16
	s_and_saveexec_b32 s0, vcc_lo
	s_delay_alu instid0(SALU_CYCLE_1)
	s_xor_b32 s0, exec_lo, s0
; %bb.981:
	v_bfe_u32 v16, v15, 16, 1
	s_delay_alu instid0(VALU_DEP_1)
	v_add3_u32 v16, v15, v16, 0x7fff
                                        ; implicit-def: $vgpr15
; %bb.982:
	s_and_not1_saveexec_b32 s0, s0
; %bb.983:
	v_and_b32_e32 v16, 0xffff, v15
	v_or_b32_e32 v17, 0x10000, v15
	s_delay_alu instid0(VALU_DEP_2) | instskip(NEXT) | instid1(VALU_DEP_2)
	v_cmp_eq_u32_e32 vcc_lo, 0, v16
	v_cndmask_b32_e32 v16, v17, v15, vcc_lo
; %bb.984:
	s_or_b32 exec_lo, exec_lo, s0
	v_and_b32_e32 v15, 0x7f800000, v14
	flat_store_d16_hi_b16 v[0:1], v16 offset:160
	v_cmp_ne_u32_e32 vcc_lo, 0x7f800000, v15
                                        ; implicit-def: $vgpr15
	s_and_saveexec_b32 s0, vcc_lo
	s_delay_alu instid0(SALU_CYCLE_1)
	s_xor_b32 s0, exec_lo, s0
; %bb.985:
	v_bfe_u32 v15, v14, 16, 1
	s_delay_alu instid0(VALU_DEP_1)
	v_add3_u32 v15, v14, v15, 0x7fff
                                        ; implicit-def: $vgpr14
; %bb.986:
	s_and_not1_saveexec_b32 s0, s0
; %bb.987:
	v_and_b32_e32 v15, 0xffff, v14
	v_or_b32_e32 v16, 0x10000, v14
	s_delay_alu instid0(VALU_DEP_2) | instskip(NEXT) | instid1(VALU_DEP_2)
	v_cmp_eq_u32_e32 vcc_lo, 0, v15
	v_cndmask_b32_e32 v15, v16, v14, vcc_lo
; %bb.988:
	s_or_b32 exec_lo, exec_lo, s0
	v_and_b32_e32 v14, 0x7f800000, v13
	flat_store_d16_hi_b16 v[0:1], v15 offset:176
	v_cmp_ne_u32_e32 vcc_lo, 0x7f800000, v14
                                        ; implicit-def: $vgpr14
	s_and_saveexec_b32 s0, vcc_lo
	s_delay_alu instid0(SALU_CYCLE_1)
	s_xor_b32 s0, exec_lo, s0
; %bb.989:
	v_bfe_u32 v14, v13, 16, 1
	s_delay_alu instid0(VALU_DEP_1)
	v_add3_u32 v14, v13, v14, 0x7fff
                                        ; implicit-def: $vgpr13
; %bb.990:
	s_and_not1_saveexec_b32 s0, s0
; %bb.991:
	v_and_b32_e32 v14, 0xffff, v13
	v_or_b32_e32 v15, 0x10000, v13
	s_delay_alu instid0(VALU_DEP_2) | instskip(NEXT) | instid1(VALU_DEP_2)
	v_cmp_eq_u32_e32 vcc_lo, 0, v14
	v_cndmask_b32_e32 v14, v15, v13, vcc_lo
; %bb.992:
	s_or_b32 exec_lo, exec_lo, s0
	v_and_b32_e32 v13, 0x7f800000, v12
	flat_store_d16_hi_b16 v[0:1], v14 offset:192
	v_cmp_ne_u32_e32 vcc_lo, 0x7f800000, v13
                                        ; implicit-def: $vgpr13
	s_and_saveexec_b32 s0, vcc_lo
	s_delay_alu instid0(SALU_CYCLE_1)
	s_xor_b32 s0, exec_lo, s0
; %bb.993:
	v_bfe_u32 v13, v12, 16, 1
	s_delay_alu instid0(VALU_DEP_1)
	v_add3_u32 v13, v12, v13, 0x7fff
                                        ; implicit-def: $vgpr12
; %bb.994:
	s_and_not1_saveexec_b32 s0, s0
; %bb.995:
	v_and_b32_e32 v13, 0xffff, v12
	v_or_b32_e32 v14, 0x10000, v12
	s_delay_alu instid0(VALU_DEP_2) | instskip(NEXT) | instid1(VALU_DEP_2)
	v_cmp_eq_u32_e32 vcc_lo, 0, v13
	v_cndmask_b32_e32 v13, v14, v12, vcc_lo
; %bb.996:
	s_or_b32 exec_lo, exec_lo, s0
	v_and_b32_e32 v12, 0x7f800000, v11
	flat_store_d16_hi_b16 v[0:1], v13 offset:208
	v_cmp_ne_u32_e32 vcc_lo, 0x7f800000, v12
                                        ; implicit-def: $vgpr12
	s_and_saveexec_b32 s0, vcc_lo
	s_delay_alu instid0(SALU_CYCLE_1)
	s_xor_b32 s0, exec_lo, s0
; %bb.997:
	v_bfe_u32 v12, v11, 16, 1
	s_delay_alu instid0(VALU_DEP_1)
	v_add3_u32 v12, v11, v12, 0x7fff
                                        ; implicit-def: $vgpr11
; %bb.998:
	s_and_not1_saveexec_b32 s0, s0
; %bb.999:
	v_and_b32_e32 v12, 0xffff, v11
	v_or_b32_e32 v13, 0x10000, v11
	s_delay_alu instid0(VALU_DEP_2) | instskip(NEXT) | instid1(VALU_DEP_2)
	v_cmp_eq_u32_e32 vcc_lo, 0, v12
	v_cndmask_b32_e32 v12, v13, v11, vcc_lo
; %bb.1000:
	s_or_b32 exec_lo, exec_lo, s0
	v_and_b32_e32 v11, 0x7f800000, v10
	flat_store_d16_hi_b16 v[0:1], v12 offset:224
	v_cmp_ne_u32_e32 vcc_lo, 0x7f800000, v11
                                        ; implicit-def: $vgpr11
	s_and_saveexec_b32 s0, vcc_lo
	s_delay_alu instid0(SALU_CYCLE_1)
	s_xor_b32 s0, exec_lo, s0
; %bb.1001:
	v_bfe_u32 v11, v10, 16, 1
	s_delay_alu instid0(VALU_DEP_1)
	v_add3_u32 v11, v10, v11, 0x7fff
                                        ; implicit-def: $vgpr10
; %bb.1002:
	s_and_not1_saveexec_b32 s0, s0
; %bb.1003:
	v_and_b32_e32 v11, 0xffff, v10
	v_or_b32_e32 v12, 0x10000, v10
	s_delay_alu instid0(VALU_DEP_2) | instskip(NEXT) | instid1(VALU_DEP_2)
	v_cmp_eq_u32_e32 vcc_lo, 0, v11
	v_cndmask_b32_e32 v11, v12, v10, vcc_lo
; %bb.1004:
	s_or_b32 exec_lo, exec_lo, s0
	v_and_b32_e32 v10, 0x7f800000, v9
	flat_store_d16_hi_b16 v[0:1], v11 offset:240
	v_cmp_ne_u32_e32 vcc_lo, 0x7f800000, v10
                                        ; implicit-def: $vgpr10
	s_and_saveexec_b32 s0, vcc_lo
	s_delay_alu instid0(SALU_CYCLE_1)
	s_xor_b32 s0, exec_lo, s0
; %bb.1005:
	v_bfe_u32 v10, v9, 16, 1
	s_delay_alu instid0(VALU_DEP_1)
	v_add3_u32 v10, v9, v10, 0x7fff
                                        ; implicit-def: $vgpr9
; %bb.1006:
	s_and_not1_saveexec_b32 s0, s0
; %bb.1007:
	v_and_b32_e32 v10, 0xffff, v9
	v_or_b32_e32 v11, 0x10000, v9
	s_delay_alu instid0(VALU_DEP_2) | instskip(NEXT) | instid1(VALU_DEP_2)
	v_cmp_eq_u32_e32 vcc_lo, 0, v10
	v_cndmask_b32_e32 v10, v11, v9, vcc_lo
; %bb.1008:
	s_or_b32 exec_lo, exec_lo, s0
	v_and_b32_e32 v9, 0x7f800000, v8
	flat_store_d16_hi_b16 v[0:1], v10 offset:256
	v_cmp_ne_u32_e32 vcc_lo, 0x7f800000, v9
                                        ; implicit-def: $vgpr9
	s_and_saveexec_b32 s0, vcc_lo
	s_delay_alu instid0(SALU_CYCLE_1)
	s_xor_b32 s0, exec_lo, s0
; %bb.1009:
	v_bfe_u32 v9, v8, 16, 1
	s_delay_alu instid0(VALU_DEP_1)
	v_add3_u32 v9, v8, v9, 0x7fff
                                        ; implicit-def: $vgpr8
; %bb.1010:
	s_and_not1_saveexec_b32 s0, s0
; %bb.1011:
	v_and_b32_e32 v9, 0xffff, v8
	v_or_b32_e32 v10, 0x10000, v8
	s_delay_alu instid0(VALU_DEP_2) | instskip(NEXT) | instid1(VALU_DEP_2)
	v_cmp_eq_u32_e32 vcc_lo, 0, v9
	v_cndmask_b32_e32 v9, v10, v8, vcc_lo
; %bb.1012:
	s_or_b32 exec_lo, exec_lo, s0
	v_and_b32_e32 v8, 0x7f800000, v7
	flat_store_d16_hi_b16 v[0:1], v9 offset:272
	v_cmp_ne_u32_e32 vcc_lo, 0x7f800000, v8
                                        ; implicit-def: $vgpr8
	s_and_saveexec_b32 s0, vcc_lo
	s_delay_alu instid0(SALU_CYCLE_1)
	s_xor_b32 s0, exec_lo, s0
; %bb.1013:
	v_bfe_u32 v8, v7, 16, 1
	s_delay_alu instid0(VALU_DEP_1)
	v_add3_u32 v8, v7, v8, 0x7fff
                                        ; implicit-def: $vgpr7
; %bb.1014:
	s_and_not1_saveexec_b32 s0, s0
; %bb.1015:
	v_and_b32_e32 v8, 0xffff, v7
	v_or_b32_e32 v9, 0x10000, v7
	s_delay_alu instid0(VALU_DEP_2) | instskip(NEXT) | instid1(VALU_DEP_2)
	v_cmp_eq_u32_e32 vcc_lo, 0, v8
	v_cndmask_b32_e32 v8, v9, v7, vcc_lo
; %bb.1016:
	s_or_b32 exec_lo, exec_lo, s0
	v_and_b32_e32 v7, 0x7f800000, v6
	flat_store_d16_hi_b16 v[0:1], v8 offset:288
	v_cmp_ne_u32_e32 vcc_lo, 0x7f800000, v7
                                        ; implicit-def: $vgpr7
	s_and_saveexec_b32 s0, vcc_lo
	s_delay_alu instid0(SALU_CYCLE_1)
	s_xor_b32 s0, exec_lo, s0
; %bb.1017:
	v_bfe_u32 v7, v6, 16, 1
	s_delay_alu instid0(VALU_DEP_1)
	v_add3_u32 v7, v6, v7, 0x7fff
                                        ; implicit-def: $vgpr6
; %bb.1018:
	s_and_not1_saveexec_b32 s0, s0
; %bb.1019:
	v_and_b32_e32 v7, 0xffff, v6
	v_or_b32_e32 v8, 0x10000, v6
	s_delay_alu instid0(VALU_DEP_2) | instskip(NEXT) | instid1(VALU_DEP_2)
	v_cmp_eq_u32_e32 vcc_lo, 0, v7
	v_cndmask_b32_e32 v7, v8, v6, vcc_lo
; %bb.1020:
	s_or_b32 exec_lo, exec_lo, s0
	v_and_b32_e32 v6, 0x7f800000, v5
	flat_store_d16_hi_b16 v[0:1], v7 offset:304
	v_cmp_ne_u32_e32 vcc_lo, 0x7f800000, v6
                                        ; implicit-def: $vgpr6
	s_and_saveexec_b32 s0, vcc_lo
	s_delay_alu instid0(SALU_CYCLE_1)
	s_xor_b32 s0, exec_lo, s0
; %bb.1021:
	v_bfe_u32 v6, v5, 16, 1
	s_delay_alu instid0(VALU_DEP_1)
	v_add3_u32 v6, v5, v6, 0x7fff
                                        ; implicit-def: $vgpr5
; %bb.1022:
	s_and_not1_saveexec_b32 s0, s0
; %bb.1023:
	v_and_b32_e32 v6, 0xffff, v5
	v_or_b32_e32 v7, 0x10000, v5
	s_delay_alu instid0(VALU_DEP_2) | instskip(NEXT) | instid1(VALU_DEP_2)
	v_cmp_eq_u32_e32 vcc_lo, 0, v6
	v_cndmask_b32_e32 v6, v7, v5, vcc_lo
; %bb.1024:
	s_or_b32 exec_lo, exec_lo, s0
	v_and_b32_e32 v5, 0x7f800000, v4
	flat_store_d16_hi_b16 v[0:1], v6 offset:320
	v_cmp_ne_u32_e32 vcc_lo, 0x7f800000, v5
                                        ; implicit-def: $vgpr5
	s_and_saveexec_b32 s0, vcc_lo
	s_delay_alu instid0(SALU_CYCLE_1)
	s_xor_b32 s0, exec_lo, s0
; %bb.1025:
	v_bfe_u32 v5, v4, 16, 1
	s_delay_alu instid0(VALU_DEP_1)
	v_add3_u32 v5, v4, v5, 0x7fff
                                        ; implicit-def: $vgpr4
; %bb.1026:
	s_and_not1_saveexec_b32 s0, s0
; %bb.1027:
	v_and_b32_e32 v5, 0xffff, v4
	v_or_b32_e32 v6, 0x10000, v4
	s_delay_alu instid0(VALU_DEP_2) | instskip(NEXT) | instid1(VALU_DEP_2)
	v_cmp_eq_u32_e32 vcc_lo, 0, v5
	v_cndmask_b32_e32 v5, v6, v4, vcc_lo
; %bb.1028:
	s_or_b32 exec_lo, exec_lo, s0
	v_and_b32_e32 v4, 0x7f800000, v3
	flat_store_d16_hi_b16 v[0:1], v5 offset:336
	v_cmp_ne_u32_e32 vcc_lo, 0x7f800000, v4
                                        ; implicit-def: $vgpr4
	s_and_saveexec_b32 s0, vcc_lo
	s_delay_alu instid0(SALU_CYCLE_1)
	s_xor_b32 s0, exec_lo, s0
; %bb.1029:
	v_bfe_u32 v4, v3, 16, 1
	s_delay_alu instid0(VALU_DEP_1)
	v_add3_u32 v4, v3, v4, 0x7fff
                                        ; implicit-def: $vgpr3
; %bb.1030:
	s_and_not1_saveexec_b32 s0, s0
; %bb.1031:
	v_and_b32_e32 v4, 0xffff, v3
	v_or_b32_e32 v5, 0x10000, v3
	s_delay_alu instid0(VALU_DEP_2) | instskip(NEXT) | instid1(VALU_DEP_2)
	v_cmp_eq_u32_e32 vcc_lo, 0, v4
	v_cndmask_b32_e32 v4, v5, v3, vcc_lo
; %bb.1032:
	s_or_b32 exec_lo, exec_lo, s0
	v_and_b32_e32 v3, 0x7f800000, v2
	flat_store_d16_hi_b16 v[0:1], v4 offset:352
	v_cmp_ne_u32_e32 vcc_lo, 0x7f800000, v3
                                        ; implicit-def: $vgpr3
	s_and_saveexec_b32 s0, vcc_lo
	s_delay_alu instid0(SALU_CYCLE_1)
	s_xor_b32 s0, exec_lo, s0
; %bb.1033:
	v_bfe_u32 v3, v2, 16, 1
	s_delay_alu instid0(VALU_DEP_1)
	v_add3_u32 v3, v2, v3, 0x7fff
                                        ; implicit-def: $vgpr2
; %bb.1034:
	s_and_not1_saveexec_b32 s0, s0
; %bb.1035:
	v_and_b32_e32 v3, 0xffff, v2
	v_or_b32_e32 v4, 0x10000, v2
	s_delay_alu instid0(VALU_DEP_2) | instskip(NEXT) | instid1(VALU_DEP_2)
	v_cmp_eq_u32_e32 vcc_lo, 0, v3
	v_cndmask_b32_e32 v3, v4, v2, vcc_lo
; %bb.1036:
	s_or_b32 exec_lo, exec_lo, s0
	flat_store_d16_hi_b16 v[0:1], v3 offset:368
.LBB203_1037:
	s_or_b32 exec_lo, exec_lo, s5
	s_clause 0x1f
	scratch_load_b32 v191, off, s32
	scratch_load_b32 v190, off, s32 offset:4
	scratch_load_b32 v189, off, s32 offset:8
	;; [unrolled: 1-line block ×31, first 2 shown]
	s_clause 0x1f
	scratch_load_b32 v127, off, s32 offset:128
	scratch_load_b32 v126, off, s32 offset:132
	;; [unrolled: 1-line block ×32, first 2 shown]
	s_clause 0xf
	scratch_load_b32 v63, off, s32 offset:256
	scratch_load_b32 v62, off, s32 offset:260
	;; [unrolled: 1-line block ×16, first 2 shown]
	s_waitcnt vmcnt(0) lgkmcnt(0)
	s_setpc_b64 s[30:31]
.LBB203_1038:
	v_lshl_add_u32 v27, v1, 2, v25
	ds_load_b32 v27, v27
	s_waitcnt lgkmcnt(0)
	v_add_f32_e32 v0, v27, v0
	s_or_b32 exec_lo, exec_lo, s0
	s_and_saveexec_b32 s0, vcc_lo
	s_cbranch_execz .LBB203_885
.LBB203_1039:
	v_lshl_add_u32 v27, v1, 2, v25
	ds_load_b32 v27, v27 offset:32
	s_waitcnt lgkmcnt(0)
	v_add_f32_e32 v24, v27, v24
	s_or_b32 exec_lo, exec_lo, s0
	s_and_saveexec_b32 s0, vcc_lo
	s_cbranch_execz .LBB203_886
.LBB203_1040:
	v_lshl_add_u32 v27, v1, 2, v25
	ds_load_b32 v27, v27 offset:64
	s_waitcnt lgkmcnt(0)
	v_add_f32_e32 v23, v27, v23
	s_or_b32 exec_lo, exec_lo, s0
	s_and_saveexec_b32 s0, vcc_lo
	s_cbranch_execz .LBB203_887
.LBB203_1041:
	v_lshl_add_u32 v27, v1, 2, v25
	ds_load_b32 v27, v27 offset:96
	s_waitcnt lgkmcnt(0)
	v_add_f32_e32 v22, v27, v22
	s_or_b32 exec_lo, exec_lo, s0
	s_and_saveexec_b32 s0, vcc_lo
	s_cbranch_execz .LBB203_888
.LBB203_1042:
	v_lshl_add_u32 v27, v1, 2, v25
	ds_load_b32 v27, v27 offset:128
	s_waitcnt lgkmcnt(0)
	v_add_f32_e32 v21, v27, v21
	s_or_b32 exec_lo, exec_lo, s0
	s_and_saveexec_b32 s0, vcc_lo
	s_cbranch_execz .LBB203_889
.LBB203_1043:
	v_lshl_add_u32 v27, v1, 2, v25
	ds_load_b32 v27, v27 offset:160
	s_waitcnt lgkmcnt(0)
	v_add_f32_e32 v20, v27, v20
	s_or_b32 exec_lo, exec_lo, s0
	s_and_saveexec_b32 s0, vcc_lo
	s_cbranch_execz .LBB203_890
.LBB203_1044:
	v_lshl_add_u32 v27, v1, 2, v25
	ds_load_b32 v27, v27 offset:192
	s_waitcnt lgkmcnt(0)
	v_add_f32_e32 v19, v27, v19
	s_or_b32 exec_lo, exec_lo, s0
	s_and_saveexec_b32 s0, vcc_lo
	s_cbranch_execz .LBB203_891
.LBB203_1045:
	v_lshl_add_u32 v27, v1, 2, v25
	ds_load_b32 v27, v27 offset:224
	s_waitcnt lgkmcnt(0)
	v_add_f32_e32 v18, v27, v18
	s_or_b32 exec_lo, exec_lo, s0
	s_and_saveexec_b32 s0, vcc_lo
	s_cbranch_execz .LBB203_892
.LBB203_1046:
	v_lshl_add_u32 v27, v1, 2, v25
	ds_load_b32 v27, v27 offset:256
	s_waitcnt lgkmcnt(0)
	v_add_f32_e32 v17, v27, v17
	s_or_b32 exec_lo, exec_lo, s0
	s_and_saveexec_b32 s0, vcc_lo
	s_cbranch_execz .LBB203_893
.LBB203_1047:
	v_lshl_add_u32 v27, v1, 2, v25
	ds_load_b32 v27, v27 offset:288
	s_waitcnt lgkmcnt(0)
	v_add_f32_e32 v16, v27, v16
	s_or_b32 exec_lo, exec_lo, s0
	s_and_saveexec_b32 s0, vcc_lo
	s_cbranch_execz .LBB203_894
.LBB203_1048:
	v_lshl_add_u32 v27, v1, 2, v25
	ds_load_b32 v27, v27 offset:320
	s_waitcnt lgkmcnt(0)
	v_add_f32_e32 v15, v27, v15
	s_or_b32 exec_lo, exec_lo, s0
	s_and_saveexec_b32 s0, vcc_lo
	s_cbranch_execz .LBB203_895
.LBB203_1049:
	v_lshl_add_u32 v27, v1, 2, v25
	ds_load_b32 v27, v27 offset:352
	s_waitcnt lgkmcnt(0)
	v_add_f32_e32 v14, v27, v14
	s_or_b32 exec_lo, exec_lo, s0
	s_and_saveexec_b32 s0, vcc_lo
	s_cbranch_execz .LBB203_896
.LBB203_1050:
	v_lshl_add_u32 v27, v1, 2, v25
	ds_load_b32 v27, v27 offset:384
	s_waitcnt lgkmcnt(0)
	v_add_f32_e32 v13, v27, v13
	s_or_b32 exec_lo, exec_lo, s0
	s_and_saveexec_b32 s0, vcc_lo
	s_cbranch_execz .LBB203_897
.LBB203_1051:
	v_lshl_add_u32 v27, v1, 2, v25
	ds_load_b32 v27, v27 offset:416
	s_waitcnt lgkmcnt(0)
	v_add_f32_e32 v12, v27, v12
	s_or_b32 exec_lo, exec_lo, s0
	s_and_saveexec_b32 s0, vcc_lo
	s_cbranch_execz .LBB203_898
.LBB203_1052:
	v_lshl_add_u32 v27, v1, 2, v25
	ds_load_b32 v27, v27 offset:448
	s_waitcnt lgkmcnt(0)
	v_add_f32_e32 v11, v27, v11
	s_or_b32 exec_lo, exec_lo, s0
	s_and_saveexec_b32 s0, vcc_lo
	s_cbranch_execz .LBB203_899
.LBB203_1053:
	v_lshl_add_u32 v27, v1, 2, v25
	ds_load_b32 v27, v27 offset:480
	s_waitcnt lgkmcnt(0)
	v_add_f32_e32 v10, v27, v10
	s_or_b32 exec_lo, exec_lo, s0
	s_and_saveexec_b32 s0, vcc_lo
	s_cbranch_execz .LBB203_900
.LBB203_1054:
	v_lshl_add_u32 v27, v1, 2, v25
	ds_load_b32 v27, v27 offset:512
	s_waitcnt lgkmcnt(0)
	v_add_f32_e32 v9, v27, v9
	s_or_b32 exec_lo, exec_lo, s0
	s_and_saveexec_b32 s0, vcc_lo
	s_cbranch_execz .LBB203_901
.LBB203_1055:
	v_lshl_add_u32 v27, v1, 2, v25
	ds_load_b32 v27, v27 offset:544
	s_waitcnt lgkmcnt(0)
	v_add_f32_e32 v8, v27, v8
	s_or_b32 exec_lo, exec_lo, s0
	s_and_saveexec_b32 s0, vcc_lo
	s_cbranch_execz .LBB203_902
.LBB203_1056:
	v_lshl_add_u32 v27, v1, 2, v25
	ds_load_b32 v27, v27 offset:576
	s_waitcnt lgkmcnt(0)
	v_add_f32_e32 v7, v27, v7
	s_or_b32 exec_lo, exec_lo, s0
	s_and_saveexec_b32 s0, vcc_lo
	s_cbranch_execz .LBB203_903
.LBB203_1057:
	v_lshl_add_u32 v27, v1, 2, v25
	ds_load_b32 v27, v27 offset:608
	s_waitcnt lgkmcnt(0)
	v_add_f32_e32 v6, v27, v6
	s_or_b32 exec_lo, exec_lo, s0
	s_and_saveexec_b32 s0, vcc_lo
	s_cbranch_execz .LBB203_904
.LBB203_1058:
	v_lshl_add_u32 v27, v1, 2, v25
	ds_load_b32 v27, v27 offset:640
	s_waitcnt lgkmcnt(0)
	v_add_f32_e32 v5, v27, v5
	s_or_b32 exec_lo, exec_lo, s0
	s_and_saveexec_b32 s0, vcc_lo
	s_cbranch_execz .LBB203_905
.LBB203_1059:
	v_lshl_add_u32 v27, v1, 2, v25
	ds_load_b32 v27, v27 offset:672
	s_waitcnt lgkmcnt(0)
	v_add_f32_e32 v4, v27, v4
	s_or_b32 exec_lo, exec_lo, s0
	s_and_saveexec_b32 s0, vcc_lo
	s_cbranch_execz .LBB203_906
.LBB203_1060:
	v_lshl_add_u32 v27, v1, 2, v25
	ds_load_b32 v27, v27 offset:704
	s_waitcnt lgkmcnt(0)
	v_add_f32_e32 v3, v27, v3
	s_or_b32 exec_lo, exec_lo, s0
	s_and_saveexec_b32 s0, vcc_lo
	s_cbranch_execnz .LBB203_907
	s_branch .LBB203_908
.LBB203_1061:
	ds_load_b32 v25, v1
	s_waitcnt lgkmcnt(0)
	v_add_f32_e32 v0, v25, v0
	s_or_b32 exec_lo, exec_lo, s3
	s_and_saveexec_b32 s3, vcc_lo
	s_cbranch_execz .LBB203_914
.LBB203_1062:
	ds_load_b32 v25, v1 offset:32
	s_waitcnt lgkmcnt(0)
	v_add_f32_e32 v24, v25, v24
	s_or_b32 exec_lo, exec_lo, s3
	s_and_saveexec_b32 s3, vcc_lo
	s_cbranch_execz .LBB203_915
.LBB203_1063:
	ds_load_b32 v25, v1 offset:64
	s_waitcnt lgkmcnt(0)
	v_add_f32_e32 v23, v25, v23
	s_or_b32 exec_lo, exec_lo, s3
	s_and_saveexec_b32 s3, vcc_lo
	s_cbranch_execz .LBB203_916
.LBB203_1064:
	ds_load_b32 v25, v1 offset:96
	s_waitcnt lgkmcnt(0)
	v_add_f32_e32 v22, v25, v22
	s_or_b32 exec_lo, exec_lo, s3
	s_and_saveexec_b32 s3, vcc_lo
	s_cbranch_execz .LBB203_917
.LBB203_1065:
	ds_load_b32 v25, v1 offset:128
	s_waitcnt lgkmcnt(0)
	v_add_f32_e32 v21, v25, v21
	s_or_b32 exec_lo, exec_lo, s3
	s_and_saveexec_b32 s3, vcc_lo
	s_cbranch_execz .LBB203_918
.LBB203_1066:
	ds_load_b32 v25, v1 offset:160
	s_waitcnt lgkmcnt(0)
	v_add_f32_e32 v20, v25, v20
	s_or_b32 exec_lo, exec_lo, s3
	s_and_saveexec_b32 s3, vcc_lo
	s_cbranch_execz .LBB203_919
.LBB203_1067:
	ds_load_b32 v25, v1 offset:192
	s_waitcnt lgkmcnt(0)
	v_add_f32_e32 v19, v25, v19
	s_or_b32 exec_lo, exec_lo, s3
	s_and_saveexec_b32 s3, vcc_lo
	s_cbranch_execz .LBB203_920
.LBB203_1068:
	ds_load_b32 v25, v1 offset:224
	s_waitcnt lgkmcnt(0)
	v_add_f32_e32 v18, v25, v18
	s_or_b32 exec_lo, exec_lo, s3
	s_and_saveexec_b32 s3, vcc_lo
	s_cbranch_execz .LBB203_921
.LBB203_1069:
	ds_load_b32 v25, v1 offset:256
	s_waitcnt lgkmcnt(0)
	v_add_f32_e32 v17, v25, v17
	s_or_b32 exec_lo, exec_lo, s3
	s_and_saveexec_b32 s3, vcc_lo
	s_cbranch_execz .LBB203_922
.LBB203_1070:
	ds_load_b32 v25, v1 offset:288
	s_waitcnt lgkmcnt(0)
	v_add_f32_e32 v16, v25, v16
	s_or_b32 exec_lo, exec_lo, s3
	s_and_saveexec_b32 s3, vcc_lo
	s_cbranch_execz .LBB203_923
.LBB203_1071:
	ds_load_b32 v25, v1 offset:320
	s_waitcnt lgkmcnt(0)
	v_add_f32_e32 v15, v25, v15
	s_or_b32 exec_lo, exec_lo, s3
	s_and_saveexec_b32 s3, vcc_lo
	s_cbranch_execz .LBB203_924
.LBB203_1072:
	ds_load_b32 v25, v1 offset:352
	s_waitcnt lgkmcnt(0)
	v_add_f32_e32 v14, v25, v14
	s_or_b32 exec_lo, exec_lo, s3
	s_and_saveexec_b32 s3, vcc_lo
	s_cbranch_execz .LBB203_925
.LBB203_1073:
	ds_load_b32 v25, v1 offset:384
	s_waitcnt lgkmcnt(0)
	v_add_f32_e32 v13, v25, v13
	s_or_b32 exec_lo, exec_lo, s3
	s_and_saveexec_b32 s3, vcc_lo
	s_cbranch_execz .LBB203_926
.LBB203_1074:
	ds_load_b32 v25, v1 offset:416
	s_waitcnt lgkmcnt(0)
	v_add_f32_e32 v12, v25, v12
	s_or_b32 exec_lo, exec_lo, s3
	s_and_saveexec_b32 s3, vcc_lo
	s_cbranch_execz .LBB203_927
.LBB203_1075:
	ds_load_b32 v25, v1 offset:448
	s_waitcnt lgkmcnt(0)
	v_add_f32_e32 v11, v25, v11
	s_or_b32 exec_lo, exec_lo, s3
	s_and_saveexec_b32 s3, vcc_lo
	s_cbranch_execz .LBB203_928
.LBB203_1076:
	ds_load_b32 v25, v1 offset:480
	s_waitcnt lgkmcnt(0)
	v_add_f32_e32 v10, v25, v10
	s_or_b32 exec_lo, exec_lo, s3
	s_and_saveexec_b32 s3, vcc_lo
	s_cbranch_execz .LBB203_929
.LBB203_1077:
	ds_load_b32 v25, v1 offset:512
	s_waitcnt lgkmcnt(0)
	v_add_f32_e32 v9, v25, v9
	s_or_b32 exec_lo, exec_lo, s3
	s_and_saveexec_b32 s3, vcc_lo
	s_cbranch_execz .LBB203_930
.LBB203_1078:
	ds_load_b32 v25, v1 offset:544
	s_waitcnt lgkmcnt(0)
	v_add_f32_e32 v8, v25, v8
	s_or_b32 exec_lo, exec_lo, s3
	s_and_saveexec_b32 s3, vcc_lo
	s_cbranch_execz .LBB203_931
.LBB203_1079:
	ds_load_b32 v25, v1 offset:576
	s_waitcnt lgkmcnt(0)
	v_add_f32_e32 v7, v25, v7
	s_or_b32 exec_lo, exec_lo, s3
	s_and_saveexec_b32 s3, vcc_lo
	s_cbranch_execz .LBB203_932
.LBB203_1080:
	ds_load_b32 v25, v1 offset:608
	s_waitcnt lgkmcnt(0)
	v_add_f32_e32 v6, v25, v6
	s_or_b32 exec_lo, exec_lo, s3
	s_and_saveexec_b32 s3, vcc_lo
	s_cbranch_execz .LBB203_933
.LBB203_1081:
	ds_load_b32 v25, v1 offset:640
	s_waitcnt lgkmcnt(0)
	v_add_f32_e32 v5, v25, v5
	s_or_b32 exec_lo, exec_lo, s3
	s_and_saveexec_b32 s3, vcc_lo
	s_cbranch_execz .LBB203_934
.LBB203_1082:
	ds_load_b32 v25, v1 offset:672
	s_waitcnt lgkmcnt(0)
	v_add_f32_e32 v4, v25, v4
	s_or_b32 exec_lo, exec_lo, s3
	s_and_saveexec_b32 s3, vcc_lo
	s_cbranch_execz .LBB203_935
.LBB203_1083:
	ds_load_b32 v25, v1 offset:704
	s_waitcnt lgkmcnt(0)
	v_add_f32_e32 v3, v25, v3
	s_or_b32 exec_lo, exec_lo, s3
	s_and_saveexec_b32 s3, vcc_lo
	s_cbranch_execnz .LBB203_936
	s_branch .LBB203_937
.Lfunc_end203:
	.size	_ZN4vllm22paged_attention_kernelI14__hip_bfloat16S1_Li192ELi32ELi128ELNS_18Fp8KVCacheDataTypeE0ELb0ELi512EEEvPfS3_PT_PKS4_PKT0_SA_ifPKiSC_iPKfiiiSE_SE_iiiii, .Lfunc_end203-_ZN4vllm22paged_attention_kernelI14__hip_bfloat16S1_Li192ELi32ELi128ELNS_18Fp8KVCacheDataTypeE0ELb0ELi512EEEvPfS3_PT_PKS4_PKT0_SA_ifPKiSC_iPKfiiiSE_SE_iiiii
                                        ; -- End function
	.section	.AMDGPU.csdata,"",@progbits
; Function info:
; codeLenInByte = 49024
; NumSgprs: 35
; NumVgprs: 192
; ScratchSize: 760
; MemoryBound: 0
	.section	.text._ZN4vllm25paged_attention_v2_kernelI14__hip_bfloat16S1_Li192ELi32ELi128ELNS_18Fp8KVCacheDataTypeE0ELb0ELi512EEEvPfS3_PT_PKS4_PKT0_SA_ifPKiSC_iPKfiiiSE_SE_iiiii,"axG",@progbits,_ZN4vllm25paged_attention_v2_kernelI14__hip_bfloat16S1_Li192ELi32ELi128ELNS_18Fp8KVCacheDataTypeE0ELb0ELi512EEEvPfS3_PT_PKS4_PKT0_SA_ifPKiSC_iPKfiiiSE_SE_iiiii,comdat
	.protected	_ZN4vllm25paged_attention_v2_kernelI14__hip_bfloat16S1_Li192ELi32ELi128ELNS_18Fp8KVCacheDataTypeE0ELb0ELi512EEEvPfS3_PT_PKS4_PKT0_SA_ifPKiSC_iPKfiiiSE_SE_iiiii ; -- Begin function _ZN4vllm25paged_attention_v2_kernelI14__hip_bfloat16S1_Li192ELi32ELi128ELNS_18Fp8KVCacheDataTypeE0ELb0ELi512EEEvPfS3_PT_PKS4_PKT0_SA_ifPKiSC_iPKfiiiSE_SE_iiiii
	.globl	_ZN4vllm25paged_attention_v2_kernelI14__hip_bfloat16S1_Li192ELi32ELi128ELNS_18Fp8KVCacheDataTypeE0ELb0ELi512EEEvPfS3_PT_PKS4_PKT0_SA_ifPKiSC_iPKfiiiSE_SE_iiiii
	.p2align	8
	.type	_ZN4vllm25paged_attention_v2_kernelI14__hip_bfloat16S1_Li192ELi32ELi128ELNS_18Fp8KVCacheDataTypeE0ELb0ELi512EEEvPfS3_PT_PKS4_PKT0_SA_ifPKiSC_iPKfiiiSE_SE_iiiii,@function
_ZN4vllm25paged_attention_v2_kernelI14__hip_bfloat16S1_Li192ELi32ELi128ELNS_18Fp8KVCacheDataTypeE0ELb0ELi512EEEvPfS3_PT_PKS4_PKT0_SA_ifPKiSC_iPKfiiiSE_SE_iiiii: ; @_ZN4vllm25paged_attention_v2_kernelI14__hip_bfloat16S1_Li192ELi32ELi128ELNS_18Fp8KVCacheDataTypeE0ELb0ELi512EEEvPfS3_PT_PKS4_PKT0_SA_ifPKiSC_iPKfiiiSE_SE_iiiii
; %bb.0:
	s_mov_b32 s12, s13
	s_clause 0x5
	s_load_b256 s[24:31], s[0:1], 0x0
	s_load_b256 s[16:23], s[0:1], 0x20
	s_load_b64 s[2:3], s[0:1], 0x40
	s_load_b64 s[10:11], s[0:1], 0x50
	s_load_b32 s13, s[0:1], 0x48
	s_load_b128 s[4:7], s[0:1], 0x58
	v_mov_b32_e32 v31, v0
	s_add_u32 s8, s0, 0x90
	s_addc_u32 s9, s1, 0
	s_mov_b32 s32, 0
	s_getpc_b64 s[0:1]
	s_add_u32 s0, s0, _ZN4vllm22paged_attention_kernelI14__hip_bfloat16S1_Li192ELi32ELi128ELNS_18Fp8KVCacheDataTypeE0ELb0ELi512EEEvPfS3_PT_PKS4_PKT0_SA_ifPKiSC_iPKfiiiSE_SE_iiiii@rel32@lo+4
	s_addc_u32 s1, s1, _ZN4vllm22paged_attention_kernelI14__hip_bfloat16S1_Li192ELi32ELi128ELNS_18Fp8KVCacheDataTypeE0ELb0ELi512EEEvPfS3_PT_PKS4_PKT0_SA_ifPKiSC_iPKfiiiSE_SE_iiiii@rel32@hi+12
	s_waitcnt lgkmcnt(0)
	v_dual_mov_b32 v0, s24 :: v_dual_mov_b32 v1, s25
	v_dual_mov_b32 v2, s26 :: v_dual_mov_b32 v3, s27
	;; [unrolled: 1-line block ×12, first 2 shown]
	s_mov_b32 s13, s14
	s_mov_b32 s14, s15
	;; [unrolled: 1-line block ×3, first 2 shown]
	s_swappc_b64 s[30:31], s[0:1]
	s_endpgm
	.section	.rodata,"a",@progbits
	.p2align	6, 0x0
	.amdhsa_kernel _ZN4vllm25paged_attention_v2_kernelI14__hip_bfloat16S1_Li192ELi32ELi128ELNS_18Fp8KVCacheDataTypeE0ELb0ELi512EEEvPfS3_PT_PKS4_PKT0_SA_ifPKiSC_iPKfiiiSE_SE_iiiii
		.amdhsa_group_segment_fixed_size 416
		.amdhsa_private_segment_fixed_size 760
		.amdhsa_kernarg_size 400
		.amdhsa_user_sgpr_count 13
		.amdhsa_user_sgpr_dispatch_ptr 0
		.amdhsa_user_sgpr_queue_ptr 0
		.amdhsa_user_sgpr_kernarg_segment_ptr 1
		.amdhsa_user_sgpr_dispatch_id 0
		.amdhsa_user_sgpr_private_segment_size 0
		.amdhsa_wavefront_size32 1
		.amdhsa_uses_dynamic_stack 0
		.amdhsa_enable_private_segment 1
		.amdhsa_system_sgpr_workgroup_id_x 1
		.amdhsa_system_sgpr_workgroup_id_y 1
		.amdhsa_system_sgpr_workgroup_id_z 1
		.amdhsa_system_sgpr_workgroup_info 0
		.amdhsa_system_vgpr_workitem_id 0
		.amdhsa_next_free_vgpr 192
		.amdhsa_next_free_sgpr 33
		.amdhsa_reserve_vcc 1
		.amdhsa_float_round_mode_32 0
		.amdhsa_float_round_mode_16_64 0
		.amdhsa_float_denorm_mode_32 3
		.amdhsa_float_denorm_mode_16_64 3
		.amdhsa_dx10_clamp 1
		.amdhsa_ieee_mode 1
		.amdhsa_fp16_overflow 0
		.amdhsa_workgroup_processor_mode 1
		.amdhsa_memory_ordered 1
		.amdhsa_forward_progress 0
		.amdhsa_shared_vgpr_count 0
		.amdhsa_exception_fp_ieee_invalid_op 0
		.amdhsa_exception_fp_denorm_src 0
		.amdhsa_exception_fp_ieee_div_zero 0
		.amdhsa_exception_fp_ieee_overflow 0
		.amdhsa_exception_fp_ieee_underflow 0
		.amdhsa_exception_fp_ieee_inexact 0
		.amdhsa_exception_int_div_zero 0
	.end_amdhsa_kernel
	.section	.text._ZN4vllm25paged_attention_v2_kernelI14__hip_bfloat16S1_Li192ELi32ELi128ELNS_18Fp8KVCacheDataTypeE0ELb0ELi512EEEvPfS3_PT_PKS4_PKT0_SA_ifPKiSC_iPKfiiiSE_SE_iiiii,"axG",@progbits,_ZN4vllm25paged_attention_v2_kernelI14__hip_bfloat16S1_Li192ELi32ELi128ELNS_18Fp8KVCacheDataTypeE0ELb0ELi512EEEvPfS3_PT_PKS4_PKT0_SA_ifPKiSC_iPKfiiiSE_SE_iiiii,comdat
.Lfunc_end204:
	.size	_ZN4vllm25paged_attention_v2_kernelI14__hip_bfloat16S1_Li192ELi32ELi128ELNS_18Fp8KVCacheDataTypeE0ELb0ELi512EEEvPfS3_PT_PKS4_PKT0_SA_ifPKiSC_iPKfiiiSE_SE_iiiii, .Lfunc_end204-_ZN4vllm25paged_attention_v2_kernelI14__hip_bfloat16S1_Li192ELi32ELi128ELNS_18Fp8KVCacheDataTypeE0ELb0ELi512EEEvPfS3_PT_PKS4_PKT0_SA_ifPKiSC_iPKfiiiSE_SE_iiiii
                                        ; -- End function
	.section	.AMDGPU.csdata,"",@progbits
; Kernel info:
; codeLenInByte = 216
; NumSgprs: 35
; NumVgprs: 192
; ScratchSize: 760
; MemoryBound: 0
; FloatMode: 240
; IeeeMode: 1
; LDSByteSize: 416 bytes/workgroup (compile time only)
; SGPRBlocks: 4
; VGPRBlocks: 23
; NumSGPRsForWavesPerEU: 35
; NumVGPRsForWavesPerEU: 192
; Occupancy: 8
; WaveLimiterHint : 1
; COMPUTE_PGM_RSRC2:SCRATCH_EN: 1
; COMPUTE_PGM_RSRC2:USER_SGPR: 13
; COMPUTE_PGM_RSRC2:TRAP_HANDLER: 0
; COMPUTE_PGM_RSRC2:TGID_X_EN: 1
; COMPUTE_PGM_RSRC2:TGID_Y_EN: 1
; COMPUTE_PGM_RSRC2:TGID_Z_EN: 1
; COMPUTE_PGM_RSRC2:TIDIG_COMP_CNT: 0
	.text
	.p2align	2                               ; -- Begin function _ZN4vllm22paged_attention_kernelI14__hip_bfloat16S1_Li256ELi32ELi128ELNS_18Fp8KVCacheDataTypeE0ELb0ELi512EEEvPfS3_PT_PKS4_PKT0_SA_ifPKiSC_iPKfiiiSE_SE_iiiii
	.type	_ZN4vllm22paged_attention_kernelI14__hip_bfloat16S1_Li256ELi32ELi128ELNS_18Fp8KVCacheDataTypeE0ELb0ELi512EEEvPfS3_PT_PKS4_PKT0_SA_ifPKiSC_iPKfiiiSE_SE_iiiii,@function
_ZN4vllm22paged_attention_kernelI14__hip_bfloat16S1_Li256ELi32ELi128ELNS_18Fp8KVCacheDataTypeE0ELb0ELi512EEEvPfS3_PT_PKS4_PKT0_SA_ifPKiSC_iPKfiiiSE_SE_iiiii: ; @_ZN4vllm22paged_attention_kernelI14__hip_bfloat16S1_Li256ELi32ELi128ELNS_18Fp8KVCacheDataTypeE0ELb0ELi512EEEvPfS3_PT_PKS4_PKT0_SA_ifPKiSC_iPKfiiiSE_SE_iiiii
; %bb.0:
	s_waitcnt vmcnt(0) expcnt(0) lgkmcnt(0)
	s_clause 0x1f
	scratch_store_b32 off, v40, s32 offset:316
	; meta instruction
	scratch_store_b32 off, v41, s32 offset:312
	; meta instruction
	;; [unrolled: 2-line block ×31, first 2 shown]
	scratch_store_b32 off, v95, s32 offset:192
	s_clause 0x1f
	scratch_store_b32 off, v104, s32 offset:188
	; meta instruction
	scratch_store_b32 off, v105, s32 offset:184
	; meta instruction
	scratch_store_b32 off, v106, s32 offset:180
	; meta instruction
	scratch_store_b32 off, v107, s32 offset:176
	; meta instruction
	scratch_store_b32 off, v108, s32 offset:172
	; meta instruction
	scratch_store_b32 off, v109, s32 offset:168
	; meta instruction
	scratch_store_b32 off, v110, s32 offset:164
	; meta instruction
	scratch_store_b32 off, v111, s32 offset:160
	; meta instruction
	scratch_store_b32 off, v120, s32 offset:156
	; meta instruction
	scratch_store_b32 off, v121, s32 offset:152
	; meta instruction
	scratch_store_b32 off, v122, s32 offset:148
	; meta instruction
	scratch_store_b32 off, v123, s32 offset:144
	; meta instruction
	scratch_store_b32 off, v124, s32 offset:140
	; meta instruction
	scratch_store_b32 off, v125, s32 offset:136
	; meta instruction
	scratch_store_b32 off, v126, s32 offset:132
	; meta instruction
	scratch_store_b32 off, v127, s32 offset:128
	; meta instruction
	scratch_store_b32 off, v136, s32 offset:124
	; meta instruction
	scratch_store_b32 off, v137, s32 offset:120
	; meta instruction
	scratch_store_b32 off, v138, s32 offset:116
	; meta instruction
	scratch_store_b32 off, v139, s32 offset:112
	; meta instruction
	scratch_store_b32 off, v140, s32 offset:108
	; meta instruction
	scratch_store_b32 off, v141, s32 offset:104
	; meta instruction
	scratch_store_b32 off, v142, s32 offset:100
	; meta instruction
	scratch_store_b32 off, v143, s32 offset:96
	; meta instruction
	scratch_store_b32 off, v152, s32 offset:92
	; meta instruction
	scratch_store_b32 off, v153, s32 offset:88
	; meta instruction
	scratch_store_b32 off, v154, s32 offset:84
	; meta instruction
	scratch_store_b32 off, v155, s32 offset:80
	; meta instruction
	scratch_store_b32 off, v156, s32 offset:76
	; meta instruction
	scratch_store_b32 off, v157, s32 offset:72
	; meta instruction
	scratch_store_b32 off, v158, s32 offset:68
	; meta instruction
	scratch_store_b32 off, v159, s32 offset:64
	s_clause 0xf
	scratch_store_b32 off, v168, s32 offset:60
	; meta instruction
	scratch_store_b32 off, v169, s32 offset:56
	; meta instruction
	;; [unrolled: 2-line block ×15, first 2 shown]
	scratch_store_b32 off, v191, s32
	s_mov_b32 s6, s13
	s_ashr_i32 s7, s13, 31
	v_dual_mov_b32 v24, v1 :: v_dual_mov_b32 v25, v0
	s_lshl_b64 s[0:1], s[6:7], 2
	s_clause 0x2
	scratch_store_b32 off, v22, s32 offset:776
	scratch_store_b32 off, v5, s32 offset:960
	;; [unrolled: 1-line block ×3, first 2 shown]
	v_add_co_u32 v0, vcc_lo, v16, s0
	v_add_co_ci_u32_e32 v1, vcc_lo, s1, v17, vcc_lo
	v_dual_mov_b32 v26, v3 :: v_dual_mov_b32 v27, v2
	s_lshl_b32 s18, s14, 9
	flat_load_b32 v113, v[0:1]
	s_mov_b32 s5, exec_lo
	s_waitcnt vmcnt(0) lgkmcnt(0)
	v_cmpx_lt_i32_e64 s18, v113
	s_cbranch_execz .LBB205_1357
; %bb.1:
	v_sub_nc_u32_e32 v0, 0, v12
	s_clause 0x1
	s_load_b32 s0, s[8:9], 0x10
	s_load_b32 s1, s[8:9], 0x0
	s_mov_b32 s16, s15
	v_max_i32_e32 v0, v12, v0
	s_delay_alu instid0(VALU_DEP_1) | instskip(SKIP_1) | instid1(VALU_DEP_2)
	v_cvt_f32_u32_e32 v1, v0
	v_sub_nc_u32_e32 v2, 0, v0
	v_rcp_iflag_f32_e32 v1, v1
	s_waitcnt lgkmcnt(0)
	s_lshr_b32 s0, s0, 16
	s_delay_alu instid0(SALU_CYCLE_1)
	s_cmp_lg_u32 s0, 0
	s_cselect_b32 s0, -1, 0
	s_waitcnt_depctr 0xfff
	v_mul_f32_e32 v1, 0x4f7ffffe, v1
	s_cmp_lg_u32 s0, 0
	s_addc_u32 s7, s1, 0
	s_abs_i32 s1, s12
	s_delay_alu instid0(VALU_DEP_1) | instskip(SKIP_1) | instid1(VALU_DEP_1)
	v_cvt_u32_f32_e32 v1, v1
	s_abs_i32 s0, s7
	v_mul_lo_u32 v2, v2, v1
	s_delay_alu instid0(VALU_DEP_1) | instskip(NEXT) | instid1(VALU_DEP_1)
	v_mul_hi_u32 v2, v1, v2
	v_add_nc_u32_e32 v1, v1, v2
	s_delay_alu instid0(VALU_DEP_1) | instskip(NEXT) | instid1(VALU_DEP_1)
	v_mul_hi_u32 v1, s0, v1
	v_mul_lo_u32 v2, v1, v0
	v_add_nc_u32_e32 v3, 1, v1
	s_delay_alu instid0(VALU_DEP_2) | instskip(SKIP_1) | instid1(VALU_DEP_1)
	v_sub_nc_u32_e32 v2, s0, v2
	s_mov_b32 s0, exec_lo
	v_sub_nc_u32_e32 v4, v2, v0
	v_cmp_ge_u32_e32 vcc_lo, v2, v0
	s_delay_alu instid0(VALU_DEP_2) | instskip(SKIP_2) | instid1(VALU_DEP_3)
	v_dual_cndmask_b32 v1, v1, v3 :: v_dual_cndmask_b32 v2, v2, v4
	v_xor_b32_e32 v3, s7, v12
	v_mov_b32_e32 v12, 0
	v_add_nc_u32_e32 v4, 1, v1
	s_delay_alu instid0(VALU_DEP_4) | instskip(NEXT) | instid1(VALU_DEP_4)
	v_cmp_ge_u32_e32 vcc_lo, v2, v0
	v_ashrrev_i32_e32 v3, 31, v3
	s_delay_alu instid0(VALU_DEP_3) | instskip(NEXT) | instid1(VALU_DEP_1)
	v_cndmask_b32_e32 v0, v1, v4, vcc_lo
	v_xor_b32_e32 v0, v0, v3
	s_delay_alu instid0(VALU_DEP_1) | instskip(NEXT) | instid1(VALU_DEP_1)
	v_sub_nc_u32_e32 v1, v0, v3
	v_sub_nc_u32_e32 v0, 0, v1
	s_delay_alu instid0(VALU_DEP_1) | instskip(NEXT) | instid1(VALU_DEP_1)
	v_max_i32_e32 v0, v1, v0
	v_cvt_f32_u32_e32 v2, v0
	v_sub_nc_u32_e32 v3, 0, v0
	s_delay_alu instid0(VALU_DEP_2) | instskip(SKIP_2) | instid1(VALU_DEP_1)
	v_rcp_iflag_f32_e32 v2, v2
	s_waitcnt_depctr 0xfff
	v_mul_f32_e32 v2, 0x4f7ffffe, v2
	v_cvt_u32_f32_e32 v2, v2
	s_delay_alu instid0(VALU_DEP_1) | instskip(NEXT) | instid1(VALU_DEP_1)
	v_mul_lo_u32 v3, v3, v2
	v_mul_hi_u32 v3, v2, v3
	s_delay_alu instid0(VALU_DEP_1) | instskip(NEXT) | instid1(VALU_DEP_1)
	v_add_nc_u32_e32 v2, v2, v3
	v_mad_u64_u32 v[16:17], null, s1, v2, 0
	v_cmpx_ne_u64_e32 0, v[19:20]
	s_cbranch_execz .LBB205_3
; %bb.2:
	s_ashr_i32 s13, s12, 31
	s_delay_alu instid0(SALU_CYCLE_1) | instskip(NEXT) | instid1(SALU_CYCLE_1)
	s_lshl_b64 s[2:3], s[12:13], 2
	v_add_co_u32 v2, vcc_lo, v19, s2
	v_add_co_ci_u32_e32 v3, vcc_lo, s3, v20, vcc_lo
	flat_load_b32 v12, v[2:3]
.LBB205_3:
	s_or_b32 exec_lo, exec_lo, s0
	v_and_b32_e32 v22, 0x3ff, v31
	v_ashrrev_i32_e32 v1, 31, v1
	s_ashr_i32 s2, s12, 31
	s_lshl_b32 s10, s12, 8
	s_delay_alu instid0(VALU_DEP_2) | instskip(NEXT) | instid1(VALU_DEP_1)
	v_cmp_gt_u32_e64 s0, 32, v22
	s_and_saveexec_b32 s3, s0
	s_cbranch_execz .LBB205_5
; %bb.4:
	v_mul_lo_u32 v2, s6, v21
	s_ashr_i32 s11, s10, 31
	v_lshlrev_b32_e32 v16, 4, v22
	s_lshl_b64 s[20:21], s[10:11], 1
	s_delay_alu instid0(VALU_DEP_2) | instskip(NEXT) | instid1(VALU_DEP_1)
	v_ashrrev_i32_e32 v3, 31, v2
	v_lshlrev_b64 v[2:3], 1, v[2:3]
	s_delay_alu instid0(VALU_DEP_1) | instskip(NEXT) | instid1(VALU_DEP_2)
	v_add_co_u32 v2, vcc_lo, v6, v2
	v_add_co_ci_u32_e32 v3, vcc_lo, v7, v3, vcc_lo
	s_delay_alu instid0(VALU_DEP_2) | instskip(NEXT) | instid1(VALU_DEP_2)
	v_add_co_u32 v2, vcc_lo, v2, s20
	v_add_co_ci_u32_e32 v3, vcc_lo, s21, v3, vcc_lo
	s_delay_alu instid0(VALU_DEP_2) | instskip(NEXT) | instid1(VALU_DEP_2)
	v_add_co_u32 v2, vcc_lo, v2, v16
	v_add_co_ci_u32_e32 v3, vcc_lo, 0, v3, vcc_lo
	flat_load_b128 v[2:5], v[2:3]
	s_waitcnt vmcnt(0) lgkmcnt(0)
	ds_store_b128 v16, v[2:5]
.LBB205_5:
	s_or_b32 exec_lo, exec_lo, s3
	v_mul_lo_u32 v2, v17, v0
	v_add_nc_u32_e32 v3, 1, v17
	v_xor_b32_e32 v1, s2, v1
	s_clause 0x1
	s_load_b32 s11, s[8:9], 0x14
	s_load_b32 s8, s[8:9], 0x8
	s_lshl_b32 s4, s14, 4
	v_and_b32_e32 v7, 31, v22
	v_mov_b32_e32 v21, 0xff7fffff
	v_sub_nc_u32_e32 v2, s1, v2
	s_add_i32 s1, s4, 16
	s_delay_alu instid0(VALU_DEP_1) | instskip(SKIP_2) | instid1(VALU_DEP_3)
	v_sub_nc_u32_e32 v5, v2, v0
	v_cmp_ge_u32_e32 vcc_lo, v2, v0
	v_dual_cndmask_b32 v3, v17, v3 :: v_dual_add_nc_u32 v4, 31, v113
	v_cndmask_b32_e32 v2, v2, v5, vcc_lo
	s_delay_alu instid0(VALU_DEP_2) | instskip(NEXT) | instid1(VALU_DEP_3)
	v_ashrrev_i32_e32 v6, 31, v4
	v_add_nc_u32_e32 v5, 1, v3
	s_delay_alu instid0(VALU_DEP_3) | instskip(NEXT) | instid1(VALU_DEP_3)
	v_cmp_ge_u32_e32 vcc_lo, v2, v0
	v_lshrrev_b32_e32 v6, 27, v6
	v_mul_lo_u32 v0, s6, v18
	s_delay_alu instid0(VALU_DEP_2) | instskip(SKIP_1) | instid1(VALU_DEP_2)
	v_dual_cndmask_b32 v2, v3, v5 :: v_dual_add_nc_u32 v3, v4, v6
	v_lshrrev_b32_e32 v4, 5, v22
	v_xor_b32_e32 v2, v2, v1
	s_delay_alu instid0(VALU_DEP_3) | instskip(NEXT) | instid1(VALU_DEP_3)
	v_ashrrev_i32_e32 v16, 5, v3
	v_add_nc_u32_e32 v20, s4, v4
	scratch_store_b32 off, v4, s32 offset:952 ; 4-byte Folded Spill
	s_waitcnt vmcnt(0) lgkmcnt(0)
	s_waitcnt_vscnt null, 0x0
	v_sub_nc_u32_e32 v2, v2, v1
	v_ashrrev_i32_e32 v1, 31, v0
	v_min_i32_e32 v147, s1, v16
	s_barrier
	buffer_gl0_inv
	v_mul_lo_u32 v69, v2, v23
	v_lshlrev_b64 v[80:81], 2, v[0:1]
	v_cmp_ge_i32_e64 s1, v20, v147
	v_lshlrev_b32_e32 v23, 2, v7
	v_cmp_lt_i32_e32 vcc_lo, v20, v147
	v_ashrrev_i32_e32 v70, 31, v69
	s_mov_b32 s9, exec_lo
	s_delay_alu instid0(SALU_CYCLE_1)
	s_and_b32 s2, s9, vcc_lo
	s_clause 0x1
	scratch_store_b32 off, v22, s32 offset:948
	scratch_store_b32 off, v7, s32 offset:956
	s_mov_b32 exec_lo, s2
	s_cbranch_execz .LBB205_9
; %bb.6:
	v_mov_b32_e32 v2, 0
	s_clause 0x6
	scratch_store_b32 off, v16, s32 offset:1000
	scratch_store_b32 off, v27, s32 offset:996
	;; [unrolled: 1-line block ×7, first 2 shown]
	v_ashrrev_i32_e32 v21, 31, v20
	s_ashr_i32 s17, s16, 31
	s_mov_b32 s13, 0
	ds_load_b128 v[3:6], v2
	ds_load_b128 v[16:19], v2 offset:16
	s_lshl_b64 s[20:21], s[16:17], 2
	s_clause 0x4
	scratch_store_b32 off, v15, s32 offset:976
	scratch_store_b32 off, v14, s32 offset:980
	scratch_store_b64 off, v[69:70], s32 offset:1004
	scratch_store_b64 off, v[80:81], s32 offset:1012
	scratch_store_b32 off, v23, s32 offset:1020
	scratch_load_b32 v146, off, s32 offset:776 ; 4-byte Folded Reload
	s_waitcnt lgkmcnt(1)
	v_bfi_b32 v0, 0xffff, 0, v3
	scratch_store_b32 off, v0, s32 offset:320 ; 4-byte Folded Spill
	v_lshlrev_b32_e32 v0, 16, v3
	scratch_store_b32 off, v0, s32 offset:324 ; 4-byte Folded Spill
	s_waitcnt lgkmcnt(0)
	v_bfi_b32 v0, 0xffff, 0, v16
	scratch_store_b32 off, v0, s32 offset:328 ; 4-byte Folded Spill
	v_lshlrev_b32_e32 v0, 16, v16
	scratch_store_b32 off, v0, s32 offset:332 ; 4-byte Folded Spill
	v_bfi_b32 v0, 0xffff, 0, v4
	scratch_store_b32 off, v0, s32 offset:336 ; 4-byte Folded Spill
	v_lshlrev_b32_e32 v0, 16, v4
	scratch_store_b32 off, v0, s32 offset:340 ; 4-byte Folded Spill
	;; [unrolled: 4-line block ×5, first 2 shown]
	v_bfi_b32 v0, 0xffff, 0, v6
	scratch_store_b32 off, v0, s32 offset:368 ; 4-byte Folded Spill
	v_lshlrev_b32_e32 v0, 16, v6
	ds_load_b128 v[3:6], v2 offset:32
	scratch_store_b32 off, v0, s32 offset:372 ; 4-byte Folded Spill
	v_bfi_b32 v0, 0xffff, 0, v19
	scratch_store_b32 off, v0, s32 offset:376 ; 4-byte Folded Spill
	v_lshlrev_b32_e32 v0, 16, v19
	scratch_store_b32 off, v0, s32 offset:380 ; 4-byte Folded Spill
	s_waitcnt lgkmcnt(0)
	v_bfi_b32 v0, 0xffff, 0, v3
	scratch_store_b32 off, v0, s32 offset:384 ; 4-byte Folded Spill
	v_lshlrev_b32_e32 v0, 16, v3
	scratch_store_b32 off, v0, s32 offset:388 ; 4-byte Folded Spill
	v_bfi_b32 v0, 0xffff, 0, v4
	scratch_store_b32 off, v0, s32 offset:392 ; 4-byte Folded Spill
	v_lshlrev_b32_e32 v0, 16, v4
	scratch_store_b32 off, v0, s32 offset:396 ; 4-byte Folded Spill
	v_bfi_b32 v0, 0xffff, 0, v5
	scratch_store_b32 off, v0, s32 offset:400 ; 4-byte Folded Spill
	v_lshlrev_b32_e32 v0, 16, v5
	scratch_store_b32 off, v0, s32 offset:404 ; 4-byte Folded Spill
	v_bfi_b32 v0, 0xffff, 0, v6
	scratch_store_b32 off, v0, s32 offset:408 ; 4-byte Folded Spill
	v_lshlrev_b32_e32 v0, 16, v6
	ds_load_b128 v[3:6], v2 offset:48
	scratch_store_b32 off, v0, s32 offset:412 ; 4-byte Folded Spill
	s_waitcnt lgkmcnt(0)
	v_bfi_b32 v0, 0xffff, 0, v3
	scratch_store_b32 off, v0, s32 offset:416 ; 4-byte Folded Spill
	v_lshlrev_b32_e32 v0, 16, v3
	scratch_store_b32 off, v0, s32 offset:420 ; 4-byte Folded Spill
	v_bfi_b32 v0, 0xffff, 0, v4
	scratch_store_b32 off, v0, s32 offset:424 ; 4-byte Folded Spill
	v_lshlrev_b32_e32 v0, 16, v4
	scratch_store_b32 off, v0, s32 offset:428 ; 4-byte Folded Spill
	v_bfi_b32 v0, 0xffff, 0, v5
	scratch_store_b32 off, v0, s32 offset:432 ; 4-byte Folded Spill
	v_lshlrev_b32_e32 v0, 16, v5
	scratch_store_b32 off, v0, s32 offset:436 ; 4-byte Folded Spill
	v_bfi_b32 v0, 0xffff, 0, v6
	scratch_store_b32 off, v0, s32 offset:440 ; 4-byte Folded Spill
	v_lshlrev_b32_e32 v0, 16, v6
	ds_load_b128 v[3:6], v2 offset:64
	;; [unrolled: 18-line block ×17, first 2 shown]
	scratch_store_b32 off, v0, s32 offset:928 ; 4-byte Folded Spill
	s_waitcnt lgkmcnt(0)
	v_bfi_b32 v0, 0xffff, 0, v3
	v_bfi_b32 v148, 0xffff, 0, v5
	v_lshlrev_b32_e32 v149, 16, v5
	v_bfi_b32 v150, 0xffff, 0, v6
	v_lshlrev_b32_e32 v151, 16, v6
	scratch_store_b32 off, v0, s32 offset:932 ; 4-byte Folded Spill
	v_lshlrev_b32_e32 v0, 16, v3
	scratch_store_b32 off, v0, s32 offset:936 ; 4-byte Folded Spill
	v_bfi_b32 v0, 0xffff, 0, v4
	scratch_store_b32 off, v0, s32 offset:940 ; 4-byte Folded Spill
	v_lshlrev_b32_e32 v0, 16, v4
	ds_load_b128 v[3:6], v2 offset:320
	scratch_store_b32 off, v0, s32 offset:944 ; 4-byte Folded Spill
	s_waitcnt lgkmcnt(0)
	v_bfi_b32 v160, 0xffff, 0, v3
	v_lshlrev_b32_e32 v161, 16, v3
	v_bfi_b32 v162, 0xffff, 0, v4
	v_lshlrev_b32_e32 v163, 16, v4
	v_bfi_b32 v164, 0xffff, 0, v5
	v_lshlrev_b32_e32 v165, 16, v5
	v_bfi_b32 v166, 0xffff, 0, v6
	v_lshlrev_b32_e32 v167, 16, v6
	ds_load_b128 v[3:6], v2 offset:336
	s_waitcnt lgkmcnt(0)
	v_bfi_b32 v176, 0xffff, 0, v3
	v_lshlrev_b32_e32 v177, 16, v3
	v_bfi_b32 v178, 0xffff, 0, v4
	v_lshlrev_b32_e32 v179, 16, v4
	v_bfi_b32 v180, 0xffff, 0, v5
	v_lshlrev_b32_e32 v181, 16, v5
	v_bfi_b32 v182, 0xffff, 0, v6
	v_lshlrev_b32_e32 v183, 16, v6
	ds_load_b128 v[3:6], v2 offset:352
	;; [unrolled: 10-line block ×4, first 2 shown]
	s_waitcnt lgkmcnt(0)
	v_bfi_b32 v72, 0xffff, 0, v3
	v_lshlrev_b32_e32 v73, 16, v3
	v_bfi_b32 v74, 0xffff, 0, v4
	v_lshlrev_b32_e32 v75, 16, v4
	;; [unrolled: 2-line block ×3, first 2 shown]
	v_lshlrev_b32_e32 v78, 16, v6
	v_and_b32_e32 v79, 0xffff0000, v6
	ds_load_b128 v[3:6], v2 offset:400
	s_waitcnt lgkmcnt(0)
	v_bfi_b32 v88, 0xffff, 0, v3
	v_lshlrev_b32_e32 v89, 16, v3
	v_bfi_b32 v90, 0xffff, 0, v4
	v_lshlrev_b32_e32 v91, 16, v4
	v_bfi_b32 v92, 0xffff, 0, v5
	v_lshlrev_b32_e32 v93, 16, v5
	v_bfi_b32 v94, 0xffff, 0, v6
	v_lshlrev_b32_e32 v95, 16, v6
	ds_load_b128 v[3:6], v2 offset:416
	s_waitcnt lgkmcnt(0)
	v_bfi_b32 v104, 0xffff, 0, v3
	v_lshlrev_b32_e32 v105, 16, v3
	v_bfi_b32 v106, 0xffff, 0, v4
	v_lshlrev_b32_e32 v107, 16, v4
	v_bfi_b32 v108, 0xffff, 0, v5
	v_lshlrev_b32_e32 v109, 16, v5
	v_bfi_b32 v110, 0xffff, 0, v6
	v_lshlrev_b32_e32 v111, 16, v6
	;; [unrolled: 10-line block ×5, first 2 shown]
	ds_load_b128 v[3:6], v2 offset:480
	s_waitcnt lgkmcnt(0)
	v_bfi_b32 v168, 0xffff, 0, v3
	v_lshlrev_b32_e32 v169, 16, v3
	ds_load_b128 v[0:3], v2 offset:496
	v_bfi_b32 v172, 0xffff, 0, v5
	v_lshlrev_b32_e32 v173, 16, v5
	v_bfi_b32 v170, 0xffff, 0, v4
	v_lshlrev_b32_e32 v171, 16, v4
	;; [unrolled: 2-line block ×3, first 2 shown]
	s_waitcnt lgkmcnt(0)
	v_bfi_b32 v184, 0xffff, 0, v0
	v_lshlrev_b32_e32 v185, 16, v0
	v_bfi_b32 v186, 0xffff, 0, v1
	v_lshlrev_b32_e32 v187, 16, v1
	v_lshlrev_b64 v[0:1], 1, v[69:70]
	v_bfi_b32 v188, 0xffff, 0, v2
	v_lshlrev_b32_e32 v189, 16, v2
	v_bfi_b32 v190, 0xffff, 0, v3
	v_lshlrev_b32_e32 v191, 16, v3
	v_sub_nc_u32_e32 v3, 1, v113
	v_add_co_u32 v0, vcc_lo, v8, v0
	v_add_co_ci_u32_e32 v2, vcc_lo, v9, v1, vcc_lo
	v_lshlrev_b32_e32 v1, 4, v7
	s_delay_alu instid0(VALU_DEP_1) | instskip(SKIP_1) | instid1(VALU_DEP_4)
	v_add_co_u32 v5, vcc_lo, v0, v1
	v_lshlrev_b64 v[0:1], 2, v[20:21]
	v_add_co_ci_u32_e32 v4, vcc_lo, 0, v2, vcc_lo
	v_mov_b32_e32 v2, v20
	v_cmp_neq_f32_e32 vcc_lo, 0, v12
	v_mov_b32_e32 v21, 0xff7fffff
	v_add_co_u32 v0, s2, v80, v0
	s_delay_alu instid0(VALU_DEP_1) | instskip(NEXT) | instid1(VALU_DEP_2)
	v_add_co_ci_u32_e64 v1, s2, v81, v1, s2
	v_add_co_u32 v96, s2, v14, v0
	s_delay_alu instid0(VALU_DEP_1)
	v_add_co_ci_u32_e64 v97, s2, v15, v1, s2
	scratch_load_b32 v1, off, s32 offset:952 ; 4-byte Folded Reload
	s_getpc_b64 s[2:3]
	s_add_u32 s2, s2, llvm.amdgcn.dynlds.offset.table@rel32@lo+4
	s_addc_u32 s3, s3, llvm.amdgcn.dynlds.offset.table@rel32@hi+12
	s_add_u32 s2, s20, s2
	s_addc_u32 s3, s21, s3
	s_load_b32 s2, s[2:3], 0x0
	s_waitcnt vmcnt(0)
	v_lshl_or_b32 v0, v1, 7, v23
	v_lshlrev_b32_e32 v1, 5, v1
	s_waitcnt lgkmcnt(0)
	s_delay_alu instid0(VALU_DEP_2) | instskip(NEXT) | instid1(VALU_DEP_2)
	v_add_nc_u32_e32 v10, s2, v0
	v_add3_u32 v11, s18, v1, v7
.LBB205_7:                              ; =>This Inner Loop Header: Depth=1
	flat_load_b32 v6, v[96:97]
	v_add_nc_u32_e32 v2, 4, v2
	s_waitcnt vmcnt(0) lgkmcnt(0)
	v_mad_i64_i32 v[0:1], null, v6, v146, 0
	s_delay_alu instid0(VALU_DEP_1) | instskip(NEXT) | instid1(VALU_DEP_1)
	v_lshlrev_b64 v[0:1], 1, v[0:1]
	v_add_co_u32 v100, s2, v5, v0
	s_delay_alu instid0(VALU_DEP_1) | instskip(NEXT) | instid1(VALU_DEP_2)
	v_add_co_ci_u32_e64 v101, s2, v4, v1, s2
	v_add_co_u32 v102, s2, 0x1000, v100
	s_delay_alu instid0(VALU_DEP_1) | instskip(SKIP_1) | instid1(VALU_DEP_1)
	v_add_co_ci_u32_e64 v103, s2, 0, v101, s2
	v_add_co_u32 v98, s2, 0x3000, v100
	v_add_co_ci_u32_e64 v99, s2, 0, v101, s2
	s_clause 0x1
	flat_load_b128 v[52:55], v[100:101] offset:1024
	flat_load_b128 v[16:19], v[102:103] offset:2560
	v_cmp_lt_i32_e64 s2, v11, v113
	s_clause 0x8
	flat_load_b128 v[6:9], v[98:99]
	flat_load_b128 v[80:83], v[100:101]
	flat_load_b128 v[68:71], v[100:101] offset:512
	flat_load_b128 v[64:67], v[100:101] offset:1536
	;; [unrolled: 1-line block ×6, first 2 shown]
	flat_load_b128 v[23:26], v[102:103]
	scratch_load_b32 v22, off, s32 offset:332 ; 4-byte Folded Reload
	s_waitcnt vmcnt(7) lgkmcnt(6)
	v_lshlrev_b32_e32 v15, 16, v68
	v_and_b32_e32 v1, 0xffff0000, v80
	v_add_nc_u32_e32 v0, v3, v11
	v_and_b32_e32 v14, 0xffff0000, v68
	v_add_co_u32 v68, s3, 0x2000, v100
	v_add_nc_u32_e32 v11, 0x80, v11
	s_delay_alu instid0(VALU_DEP_4) | instskip(NEXT) | instid1(VALU_DEP_1)
	v_cvt_f32_i32_e32 v0, v0
	v_mul_f32_e32 v0, v12, v0
	s_delay_alu instid0(VALU_DEP_1)
	v_cndmask_b32_e32 v86, 0, v0, vcc_lo
	v_lshlrev_b32_e32 v0, 16, v80
	s_waitcnt vmcnt(0)
	v_mul_f32_e32 v80, v22, v15
	s_clause 0x1
	scratch_load_b32 v15, off, s32 offset:328
	scratch_load_b32 v22, off, s32 offset:348
	s_waitcnt vmcnt(1)
	v_mul_f32_e32 v87, v15, v14
	scratch_load_b32 v14, off, s32 offset:320 ; 4-byte Folded Reload
	v_lshlrev_b32_e32 v15, 16, v69
	s_waitcnt vmcnt(0)
	v_fmac_f32_e32 v87, v14, v1
	s_clause 0x1
	scratch_load_b32 v1, off, s32 offset:324
	scratch_load_b32 v14, off, s32 offset:388
	s_waitcnt vmcnt(1)
	v_fmac_f32_e32 v80, v1, v0
	v_lshlrev_b32_e32 v1, 16, v52
	v_and_b32_e32 v0, 0xffff0000, v52
	s_waitcnt vmcnt(0)
	s_delay_alu instid0(VALU_DEP_2)
	v_fmac_f32_e32 v80, v14, v1
	s_clause 0x1
	scratch_load_b32 v1, off, s32 offset:384
	scratch_load_b32 v14, off, s32 offset:416
	s_waitcnt vmcnt(1)
	v_fmac_f32_e32 v87, v1, v0
	s_waitcnt lgkmcnt(5)
	v_and_b32_e32 v1, 0xffff0000, v64
	s_waitcnt vmcnt(0)
	s_delay_alu instid0(VALU_DEP_1)
	v_dual_fmac_f32 v87, v14, v1 :: v_dual_lshlrev_b32 v0, 16, v64
	s_clause 0x1
	scratch_load_b32 v1, off, s32 offset:420
	scratch_load_b32 v14, off, s32 offset:452
	s_waitcnt vmcnt(1)
	v_fmac_f32_e32 v80, v1, v0
	s_waitcnt lgkmcnt(4)
	v_lshlrev_b32_e32 v1, 16, v48
	v_and_b32_e32 v0, 0xffff0000, v48
	s_waitcnt vmcnt(0)
	s_delay_alu instid0(VALU_DEP_2)
	v_fmac_f32_e32 v80, v14, v1
	s_clause 0x1
	scratch_load_b32 v1, off, s32 offset:448
	scratch_load_b32 v14, off, s32 offset:480
	s_waitcnt vmcnt(1) lgkmcnt(3)
	v_dual_fmac_f32 v87, v1, v0 :: v_dual_lshlrev_b32 v0, 16, v35
	v_and_b32_e32 v1, 0xffff0000, v35
	s_waitcnt vmcnt(0)
	s_delay_alu instid0(VALU_DEP_1)
	v_fmac_f32_e32 v87, v14, v1
	s_clause 0x1
	scratch_load_b32 v1, off, s32 offset:484
	scratch_load_b32 v14, off, s32 offset:516
	s_waitcnt vmcnt(1) lgkmcnt(2)
	v_dual_fmac_f32 v80, v1, v0 :: v_dual_lshlrev_b32 v1, 16, v31
	v_and_b32_e32 v0, 0xffff0000, v31
	s_waitcnt vmcnt(0)
	s_delay_alu instid0(VALU_DEP_2)
	v_fmac_f32_e32 v80, v14, v1
	s_clause 0x1
	scratch_load_b32 v1, off, s32 offset:512
	scratch_load_b32 v14, off, s32 offset:544
	s_waitcnt vmcnt(1)
	v_fmac_f32_e32 v87, v1, v0
	s_waitcnt lgkmcnt(1)
	v_and_b32_e32 v1, 0xffff0000, v27
	s_waitcnt vmcnt(0)
	s_delay_alu instid0(VALU_DEP_1)
	v_dual_fmac_f32 v87, v14, v1 :: v_dual_lshlrev_b32 v0, 16, v27
	s_clause 0x1
	scratch_load_b32 v1, off, s32 offset:548
	scratch_load_b32 v14, off, s32 offset:580
	s_waitcnt vmcnt(1) lgkmcnt(0)
	v_dual_fmac_f32 v80, v1, v0 :: v_dual_lshlrev_b32 v1, 16, v23
	v_and_b32_e32 v0, 0xffff0000, v23
	scratch_load_b32 v23, off, s32 offset:364 ; 4-byte Folded Reload
	s_waitcnt vmcnt(1)
	v_fmac_f32_e32 v80, v14, v1
	scratch_load_b32 v1, off, s32 offset:576 ; 4-byte Folded Reload
	s_waitcnt vmcnt(0)
	v_dual_fmac_f32 v87, v1, v0 :: v_dual_lshlrev_b32 v0, 16, v81
	v_and_b32_e32 v1, 0xffff0000, v81
	v_mul_f32_e32 v81, v22, v15
	scratch_load_b32 v15, off, s32 offset:344 ; 4-byte Folded Reload
	v_and_b32_e32 v14, 0xffff0000, v69
	v_lshlrev_b32_e32 v22, 16, v70
	v_add_co_ci_u32_e64 v69, s3, 0, v101, s3
	s_waitcnt vmcnt(0)
	s_delay_alu instid0(VALU_DEP_3)
	v_mul_f32_e32 v14, v15, v14
	scratch_load_b32 v15, off, s32 offset:336 ; 4-byte Folded Reload
	s_waitcnt vmcnt(0)
	v_fmac_f32_e32 v14, v15, v1
	s_clause 0x1
	scratch_load_b32 v1, off, s32 offset:340
	scratch_load_b32 v15, off, s32 offset:396
	s_waitcnt vmcnt(1)
	v_fmac_f32_e32 v81, v1, v0
	v_lshlrev_b32_e32 v1, 16, v53
	v_and_b32_e32 v0, 0xffff0000, v53
	s_waitcnt vmcnt(0)
	s_delay_alu instid0(VALU_DEP_2)
	v_fmac_f32_e32 v81, v15, v1
	s_clause 0x1
	scratch_load_b32 v1, off, s32 offset:392
	scratch_load_b32 v15, off, s32 offset:424
	s_waitcnt vmcnt(1)
	v_dual_fmac_f32 v14, v1, v0 :: v_dual_and_b32 v1, 0xffff0000, v65
	v_lshlrev_b32_e32 v0, 16, v65
	s_waitcnt vmcnt(0)
	s_delay_alu instid0(VALU_DEP_2)
	v_fmac_f32_e32 v14, v15, v1
	s_clause 0x1
	scratch_load_b32 v1, off, s32 offset:428
	scratch_load_b32 v15, off, s32 offset:460
	s_waitcnt vmcnt(1)
	v_fmac_f32_e32 v81, v1, v0
	v_lshlrev_b32_e32 v1, 16, v49
	v_and_b32_e32 v0, 0xffff0000, v49
	s_waitcnt vmcnt(0)
	s_delay_alu instid0(VALU_DEP_2)
	v_fmac_f32_e32 v81, v15, v1
	s_clause 0x1
	scratch_load_b32 v1, off, s32 offset:456
	scratch_load_b32 v15, off, s32 offset:488
	s_waitcnt vmcnt(1)
	v_fmac_f32_e32 v14, v1, v0
	v_and_b32_e32 v1, 0xffff0000, v36
	v_lshlrev_b32_e32 v0, 16, v36
	s_waitcnt vmcnt(0)
	s_delay_alu instid0(VALU_DEP_2)
	v_fmac_f32_e32 v14, v15, v1
	s_clause 0x1
	scratch_load_b32 v1, off, s32 offset:492
	scratch_load_b32 v15, off, s32 offset:524
	s_waitcnt vmcnt(1)
	v_fmac_f32_e32 v81, v1, v0
	v_lshlrev_b32_e32 v1, 16, v32
	s_waitcnt vmcnt(0)
	s_delay_alu instid0(VALU_DEP_1)
	v_dual_fmac_f32 v81, v15, v1 :: v_dual_and_b32 v0, 0xffff0000, v32
	s_clause 0x1
	scratch_load_b32 v1, off, s32 offset:520
	scratch_load_b32 v15, off, s32 offset:552
	s_waitcnt vmcnt(1)
	v_fmac_f32_e32 v14, v1, v0
	v_and_b32_e32 v1, 0xffff0000, v28
	v_lshlrev_b32_e32 v0, 16, v28
	s_waitcnt vmcnt(0)
	s_delay_alu instid0(VALU_DEP_2)
	v_fmac_f32_e32 v14, v15, v1
	s_clause 0x1
	scratch_load_b32 v1, off, s32 offset:556
	scratch_load_b32 v15, off, s32 offset:588
	s_waitcnt vmcnt(1)
	v_fmac_f32_e32 v81, v1, v0
	v_lshlrev_b32_e32 v1, 16, v24
	s_waitcnt vmcnt(0)
	s_delay_alu instid0(VALU_DEP_1)
	v_dual_fmac_f32 v81, v15, v1 :: v_dual_and_b32 v0, 0xffff0000, v24
	scratch_load_b32 v1, off, s32 offset:584 ; 4-byte Folded Reload
	v_and_b32_e32 v15, 0xffff0000, v70
	v_mul_f32_e32 v70, v23, v22
	s_clause 0x1
	scratch_load_b32 v22, off, s32 offset:360
	scratch_load_b32 v23, off, s32 offset:380
	s_waitcnt vmcnt(2)
	v_fmac_f32_e32 v14, v1, v0
	v_lshlrev_b32_e32 v0, 16, v82
	s_waitcnt vmcnt(1)
	v_dual_mul_f32 v82, v22, v15 :: v_dual_and_b32 v1, 0xffff0000, v82
	scratch_load_b32 v15, off, s32 offset:352 ; 4-byte Folded Reload
	v_lshlrev_b32_e32 v22, 16, v71
	s_waitcnt vmcnt(0)
	v_fmac_f32_e32 v82, v15, v1
	s_clause 0x1
	scratch_load_b32 v1, off, s32 offset:356
	scratch_load_b32 v15, off, s32 offset:404
	s_waitcnt vmcnt(1)
	v_dual_fmac_f32 v70, v1, v0 :: v_dual_lshlrev_b32 v1, 16, v54
	v_and_b32_e32 v0, 0xffff0000, v54
	s_waitcnt vmcnt(0)
	s_delay_alu instid0(VALU_DEP_2)
	v_fmac_f32_e32 v70, v15, v1
	s_clause 0x1
	scratch_load_b32 v1, off, s32 offset:400
	scratch_load_b32 v15, off, s32 offset:432
	s_waitcnt vmcnt(1)
	v_dual_fmac_f32 v82, v1, v0 :: v_dual_and_b32 v1, 0xffff0000, v66
	v_lshlrev_b32_e32 v0, 16, v66
	s_waitcnt vmcnt(0)
	s_delay_alu instid0(VALU_DEP_2)
	v_fmac_f32_e32 v82, v15, v1
	s_clause 0x1
	scratch_load_b32 v1, off, s32 offset:436
	scratch_load_b32 v15, off, s32 offset:468
	s_waitcnt vmcnt(1)
	v_dual_fmac_f32 v70, v1, v0 :: v_dual_lshlrev_b32 v1, 16, v50
	v_and_b32_e32 v0, 0xffff0000, v50
	s_waitcnt vmcnt(0)
	s_delay_alu instid0(VALU_DEP_2)
	v_fmac_f32_e32 v70, v15, v1
	s_clause 0x1
	scratch_load_b32 v1, off, s32 offset:464
	scratch_load_b32 v15, off, s32 offset:496
	s_waitcnt vmcnt(1)
	v_dual_fmac_f32 v82, v1, v0 :: v_dual_and_b32 v1, 0xffff0000, v37
	v_lshlrev_b32_e32 v0, 16, v37
	s_waitcnt vmcnt(0)
	s_delay_alu instid0(VALU_DEP_2)
	;; [unrolled: 18-line block ×3, first 2 shown]
	v_fmac_f32_e32 v82, v15, v1
	s_clause 0x1
	scratch_load_b32 v1, off, s32 offset:564
	scratch_load_b32 v15, off, s32 offset:596
	s_waitcnt vmcnt(1)
	v_dual_fmac_f32 v70, v1, v0 :: v_dual_lshlrev_b32 v1, 16, v25
	v_and_b32_e32 v0, 0xffff0000, v25
	s_waitcnt vmcnt(0)
	s_delay_alu instid0(VALU_DEP_2)
	v_fmac_f32_e32 v70, v15, v1
	scratch_load_b32 v1, off, s32 offset:592 ; 4-byte Folded Reload
	v_and_b32_e32 v15, 0xffff0000, v71
	v_mul_f32_e32 v71, v23, v22
	scratch_load_b32 v22, off, s32 offset:376 ; 4-byte Folded Reload
	s_waitcnt vmcnt(1)
	v_fmac_f32_e32 v82, v1, v0
	v_lshlrev_b32_e32 v0, 16, v83
	v_and_b32_e32 v1, 0xffff0000, v83
	s_waitcnt vmcnt(0)
	v_mul_f32_e32 v83, v22, v15
	scratch_load_b32 v15, off, s32 offset:368 ; 4-byte Folded Reload
	flat_load_b128 v[22:25], v[102:103] offset:512
	s_waitcnt vmcnt(1)
	v_fmac_f32_e32 v83, v15, v1
	s_clause 0x1
	scratch_load_b32 v1, off, s32 offset:372
	scratch_load_b32 v15, off, s32 offset:412
	s_waitcnt vmcnt(2) lgkmcnt(0)
	v_lshlrev_b32_e32 v114, 16, v23
	v_lshlrev_b32_e32 v39, 16, v22
	v_and_b32_e32 v115, 0xffff0000, v23
	v_lshlrev_b32_e32 v116, 16, v24
	v_and_b32_e32 v117, 0xffff0000, v24
	v_and_b32_e32 v84, 0xffff0000, v25
	s_waitcnt vmcnt(1)
	v_dual_fmac_f32 v71, v1, v0 :: v_dual_and_b32 v112, 0xffff0000, v22
	v_lshlrev_b32_e32 v1, 16, v55
	s_waitcnt vmcnt(0)
	s_delay_alu instid0(VALU_DEP_1)
	v_dual_fmac_f32 v71, v15, v1 :: v_dual_and_b32 v0, 0xffff0000, v55
	s_clause 0x1
	scratch_load_b32 v1, off, s32 offset:408
	scratch_load_b32 v15, off, s32 offset:440
	s_waitcnt vmcnt(1)
	v_fmac_f32_e32 v83, v1, v0
	v_and_b32_e32 v1, 0xffff0000, v67
	s_waitcnt vmcnt(0)
	s_delay_alu instid0(VALU_DEP_1)
	v_dual_fmac_f32 v83, v15, v1 :: v_dual_lshlrev_b32 v0, 16, v67
	s_clause 0x1
	scratch_load_b32 v1, off, s32 offset:444
	scratch_load_b32 v15, off, s32 offset:476
	s_waitcnt vmcnt(1)
	v_fmac_f32_e32 v71, v1, v0
	v_lshlrev_b32_e32 v1, 16, v51
	s_waitcnt vmcnt(0)
	s_delay_alu instid0(VALU_DEP_1)
	v_dual_fmac_f32 v71, v15, v1 :: v_dual_and_b32 v0, 0xffff0000, v51
	s_clause 0x1
	scratch_load_b32 v1, off, s32 offset:472
	scratch_load_b32 v15, off, s32 offset:504
	s_waitcnt vmcnt(1)
	v_fmac_f32_e32 v83, v1, v0
	v_and_b32_e32 v1, 0xffff0000, v38
	s_waitcnt vmcnt(0)
	s_delay_alu instid0(VALU_DEP_1)
	v_dual_fmac_f32 v83, v15, v1 :: v_dual_lshlrev_b32 v0, 16, v38
	s_clause 0x1
	scratch_load_b32 v1, off, s32 offset:508
	scratch_load_b32 v15, off, s32 offset:540
	s_waitcnt vmcnt(1)
	v_fmac_f32_e32 v71, v1, v0
	v_lshlrev_b32_e32 v1, 16, v34
	s_waitcnt vmcnt(0)
	s_delay_alu instid0(VALU_DEP_1)
	v_dual_fmac_f32 v71, v15, v1 :: v_dual_and_b32 v0, 0xffff0000, v34
	s_clause 0x1
	scratch_load_b32 v1, off, s32 offset:536
	scratch_load_b32 v15, off, s32 offset:568
	s_waitcnt vmcnt(1)
	v_dual_fmac_f32 v83, v1, v0 :: v_dual_lshlrev_b32 v0, 16, v30
	v_and_b32_e32 v1, 0xffff0000, v30
	s_waitcnt vmcnt(0)
	s_delay_alu instid0(VALU_DEP_1)
	v_fmac_f32_e32 v83, v15, v1
	s_clause 0x1
	scratch_load_b32 v1, off, s32 offset:572
	scratch_load_b32 v15, off, s32 offset:604
	s_waitcnt vmcnt(1)
	v_dual_fmac_f32 v71, v1, v0 :: v_dual_and_b32 v0, 0xffff0000, v26
	v_lshlrev_b32_e32 v1, 16, v26
	s_waitcnt vmcnt(0)
	s_delay_alu instid0(VALU_DEP_1)
	v_fmac_f32_e32 v71, v15, v1
	scratch_load_b32 v1, off, s32 offset:600 ; 4-byte Folded Reload
	v_lshlrev_b32_e32 v15, 16, v25
	flat_load_b128 v[22:25], v[102:103] offset:1024
	s_waitcnt vmcnt(0) lgkmcnt(0)
	v_dual_fmac_f32 v83, v1, v0 :: v_dual_and_b32 v118, 0xffff0000, v22
	v_lshlrev_b32_e32 v119, 16, v22
	v_and_b32_e32 v128, 0xffff0000, v23
	v_lshlrev_b32_e32 v129, 16, v23
	v_and_b32_e32 v130, 0xffff0000, v24
	v_lshlrev_b32_e32 v131, 16, v24
	v_and_b32_e32 v85, 0xffff0000, v25
	v_lshlrev_b32_e32 v22, 16, v25
	s_clause 0x3
	flat_load_b128 v[23:26], v[102:103] offset:1536
	flat_load_b128 v[64:67], v[102:103] offset:2048
	;; [unrolled: 1-line block ×4, first 2 shown]
	s_waitcnt vmcnt(3) lgkmcnt(3)
	v_lshlrev_b32_e32 v132, 16, v23
	v_and_b32_e32 v133, 0xffff0000, v23
	v_lshlrev_b32_e32 v134, 16, v24
	v_and_b32_e32 v135, 0xffff0000, v24
	;; [unrolled: 2-line block ×4, first 2 shown]
	s_clause 0x3
	flat_load_b128 v[35:38], v[68:69]
	flat_load_b128 v[31:34], v[68:69] offset:512
	flat_load_b128 v[27:30], v[68:69] offset:1024
	;; [unrolled: 1-line block ×3, first 2 shown]
	scratch_load_b32 v100, off, s32 offset:608 ; 4-byte Folded Reload
	s_waitcnt vmcnt(0)
	v_fmac_f32_e32 v87, v100, v112
	scratch_load_b32 v100, off, s32 offset:612 ; 4-byte Folded Reload
	s_waitcnt vmcnt(0)
	v_fmac_f32_e32 v80, v100, v39
	s_clause 0x1
	scratch_load_b32 v39, off, s32 offset:644
	scratch_load_b32 v100, off, s32 offset:708
	s_waitcnt vmcnt(1)
	v_fmac_f32_e32 v80, v39, v119
	scratch_load_b32 v39, off, s32 offset:640 ; 4-byte Folded Reload
	s_waitcnt vmcnt(0)
	v_fmac_f32_e32 v87, v39, v118
	scratch_load_b32 v39, off, s32 offset:672 ; 4-byte Folded Reload
	;; [unrolled: 3-line block ×3, first 2 shown]
	s_waitcnt vmcnt(0)
	v_fmac_f32_e32 v80, v39, v132
	s_waitcnt lgkmcnt(6)
	v_and_b32_e32 v39, 0xffff0000, v64
	v_lshlrev_b32_e32 v64, 16, v64
	s_delay_alu instid0(VALU_DEP_1)
	v_fmac_f32_e32 v80, v100, v64
	scratch_load_b32 v64, off, s32 offset:704 ; 4-byte Folded Reload
	s_waitcnt vmcnt(0)
	v_fmac_f32_e32 v87, v64, v39
	scratch_load_b32 v64, off, s32 offset:736 ; 4-byte Folded Reload
	v_lshlrev_b32_e32 v39, 16, v16
	v_and_b32_e32 v16, 0xffff0000, v16
	s_waitcnt vmcnt(0)
	s_delay_alu instid0(VALU_DEP_1)
	v_fmac_f32_e32 v87, v64, v16
	scratch_load_b32 v16, off, s32 offset:740 ; 4-byte Folded Reload
	s_waitcnt vmcnt(0)
	v_fmac_f32_e32 v80, v16, v39
	s_waitcnt lgkmcnt(5)
	v_and_b32_e32 v16, 0xffff0000, v52
	v_lshlrev_b32_e32 v39, 16, v52
	scratch_load_b32 v52, off, s32 offset:772 ; 4-byte Folded Reload
	s_waitcnt vmcnt(0)
	v_fmac_f32_e32 v80, v52, v39
	scratch_load_b32 v39, off, s32 offset:768 ; 4-byte Folded Reload
	s_waitcnt vmcnt(0)
	v_fmac_f32_e32 v87, v39, v16
	s_waitcnt lgkmcnt(4)
	v_lshlrev_b32_e32 v16, 16, v48
	v_and_b32_e32 v39, 0xffff0000, v48
	scratch_load_b32 v48, off, s32 offset:804 ; 4-byte Folded Reload
	s_waitcnt vmcnt(0)
	v_fmac_f32_e32 v87, v48, v39
	scratch_load_b32 v39, off, s32 offset:808 ; 4-byte Folded Reload
	s_waitcnt vmcnt(0)
	v_fmac_f32_e32 v80, v39, v16
	scratch_load_b32 v39, off, s32 offset:840 ; 4-byte Folded Reload
	s_waitcnt lgkmcnt(3)
	v_and_b32_e32 v16, 0xffff0000, v35
	v_lshlrev_b32_e32 v35, 16, v35
	s_waitcnt vmcnt(0)
	s_delay_alu instid0(VALU_DEP_1)
	v_fmac_f32_e32 v80, v39, v35
	scratch_load_b32 v35, off, s32 offset:836 ; 4-byte Folded Reload
	s_waitcnt vmcnt(0)
	v_fmac_f32_e32 v87, v35, v16
	scratch_load_b32 v35, off, s32 offset:868 ; 4-byte Folded Reload
	s_waitcnt lgkmcnt(2)
	v_lshlrev_b32_e32 v16, 16, v31
	v_and_b32_e32 v31, 0xffff0000, v31
	s_waitcnt vmcnt(0)
	s_delay_alu instid0(VALU_DEP_1)
	v_fmac_f32_e32 v87, v35, v31
	scratch_load_b32 v31, off, s32 offset:872 ; 4-byte Folded Reload
	s_waitcnt vmcnt(0)
	v_fmac_f32_e32 v80, v31, v16
	scratch_load_b32 v31, off, s32 offset:904 ; 4-byte Folded Reload
	s_waitcnt lgkmcnt(1)
	v_and_b32_e32 v16, 0xffff0000, v27
	v_lshlrev_b32_e32 v27, 16, v27
	s_waitcnt vmcnt(0)
	s_delay_alu instid0(VALU_DEP_1)
	v_fmac_f32_e32 v80, v31, v27
	scratch_load_b32 v27, off, s32 offset:900 ; 4-byte Folded Reload
	s_waitcnt vmcnt(0)
	v_fmac_f32_e32 v87, v27, v16
	scratch_load_b32 v27, off, s32 offset:932 ; 4-byte Folded Reload
	s_waitcnt lgkmcnt(0)
	v_lshlrev_b32_e32 v16, 16, v23
	v_and_b32_e32 v23, 0xffff0000, v23
	s_waitcnt vmcnt(0)
	s_delay_alu instid0(VALU_DEP_1)
	v_fmac_f32_e32 v87, v27, v23
	s_clause 0x1
	scratch_load_b32 v23, off, s32 offset:936
	scratch_load_b32 v27, off, s32 offset:716
	s_waitcnt vmcnt(1)
	v_fmac_f32_e32 v80, v23, v16
	scratch_load_b32 v16, off, s32 offset:616 ; 4-byte Folded Reload
	s_waitcnt vmcnt(0)
	v_dual_fmac_f32 v14, v16, v115 :: v_dual_lshlrev_b32 v23, 16, v65
	scratch_load_b32 v16, off, s32 offset:620 ; 4-byte Folded Reload
	s_waitcnt vmcnt(0)
	v_fmac_f32_e32 v81, v16, v114
	scratch_load_b32 v16, off, s32 offset:652 ; 4-byte Folded Reload
	s_waitcnt vmcnt(0)
	v_fmac_f32_e32 v81, v16, v129
	;; [unrolled: 3-line block ×4, first 2 shown]
	scratch_load_b32 v16, off, s32 offset:684 ; 4-byte Folded Reload
	s_waitcnt vmcnt(0)
	v_dual_fmac_f32 v81, v16, v134 :: v_dual_and_b32 v16, 0xffff0000, v65
	s_delay_alu instid0(VALU_DEP_1)
	v_fmac_f32_e32 v81, v27, v23
	scratch_load_b32 v23, off, s32 offset:712 ; 4-byte Folded Reload
	s_waitcnt vmcnt(0)
	v_fmac_f32_e32 v14, v23, v16
	scratch_load_b32 v23, off, s32 offset:744 ; 4-byte Folded Reload
	v_lshlrev_b32_e32 v16, 16, v17
	v_and_b32_e32 v17, 0xffff0000, v17
	s_waitcnt vmcnt(0)
	s_delay_alu instid0(VALU_DEP_1)
	v_fmac_f32_e32 v14, v23, v17
	s_clause 0x1
	scratch_load_b32 v17, off, s32 offset:748
	scratch_load_b32 v23, off, s32 offset:784
	s_waitcnt vmcnt(1)
	v_fmac_f32_e32 v81, v17, v16
	v_lshlrev_b32_e32 v17, 16, v53
	v_and_b32_e32 v16, 0xffff0000, v53
	s_waitcnt vmcnt(0)
	s_delay_alu instid0(VALU_DEP_2)
	v_fmac_f32_e32 v81, v23, v17
	s_clause 0x1
	scratch_load_b32 v17, off, s32 offset:780
	scratch_load_b32 v23, off, s32 offset:812
	s_waitcnt vmcnt(1)
	v_dual_fmac_f32 v14, v17, v16 :: v_dual_and_b32 v17, 0xffff0000, v49
	v_lshlrev_b32_e32 v16, 16, v49
	s_waitcnt vmcnt(0)
	s_delay_alu instid0(VALU_DEP_2)
	v_fmac_f32_e32 v14, v23, v17
	s_clause 0x1
	scratch_load_b32 v17, off, s32 offset:816
	scratch_load_b32 v23, off, s32 offset:848
	s_waitcnt vmcnt(1)
	v_fmac_f32_e32 v81, v17, v16
	v_lshlrev_b32_e32 v17, 16, v36
	s_waitcnt vmcnt(0)
	s_delay_alu instid0(VALU_DEP_1)
	v_dual_fmac_f32 v81, v23, v17 :: v_dual_and_b32 v16, 0xffff0000, v36
	s_clause 0x1
	scratch_load_b32 v17, off, s32 offset:844
	scratch_load_b32 v23, off, s32 offset:876
	s_waitcnt vmcnt(1)
	v_fmac_f32_e32 v14, v17, v16
	v_and_b32_e32 v17, 0xffff0000, v32
	v_lshlrev_b32_e32 v16, 16, v32
	s_waitcnt vmcnt(0)
	s_delay_alu instid0(VALU_DEP_2)
	v_fmac_f32_e32 v14, v23, v17
	s_clause 0x1
	scratch_load_b32 v17, off, s32 offset:880
	scratch_load_b32 v23, off, s32 offset:912
	s_waitcnt vmcnt(1)
	v_fmac_f32_e32 v81, v17, v16
	v_lshlrev_b32_e32 v17, 16, v28
	s_waitcnt vmcnt(0)
	s_delay_alu instid0(VALU_DEP_1)
	v_dual_fmac_f32 v81, v23, v17 :: v_dual_and_b32 v16, 0xffff0000, v28
	s_clause 0x1
	scratch_load_b32 v17, off, s32 offset:908
	scratch_load_b32 v23, off, s32 offset:940
	s_waitcnt vmcnt(1)
	v_fmac_f32_e32 v14, v17, v16
	v_and_b32_e32 v17, 0xffff0000, v24
	v_lshlrev_b32_e32 v16, 16, v24
	s_waitcnt vmcnt(0)
	s_delay_alu instid0(VALU_DEP_2)
	v_fmac_f32_e32 v14, v23, v17
	s_clause 0x1
	scratch_load_b32 v17, off, s32 offset:944
	scratch_load_b32 v23, off, s32 offset:724
	s_waitcnt vmcnt(1)
	v_fmac_f32_e32 v81, v17, v16
	scratch_load_b32 v16, off, s32 offset:624 ; 4-byte Folded Reload
	s_waitcnt vmcnt(0)
	v_dual_fmac_f32 v82, v16, v117 :: v_dual_lshlrev_b32 v17, 16, v66
	scratch_load_b32 v16, off, s32 offset:628 ; 4-byte Folded Reload
	s_waitcnt vmcnt(0)
	v_fmac_f32_e32 v70, v16, v116
	scratch_load_b32 v16, off, s32 offset:660 ; 4-byte Folded Reload
	s_waitcnt vmcnt(0)
	v_fmac_f32_e32 v70, v16, v131
	;; [unrolled: 3-line block ×5, first 2 shown]
	v_and_b32_e32 v16, 0xffff0000, v66
	s_delay_alu instid0(VALU_DEP_2)
	v_fmac_f32_e32 v70, v23, v17
	scratch_load_b32 v17, off, s32 offset:720 ; 4-byte Folded Reload
	s_waitcnt vmcnt(0)
	v_dual_fmac_f32 v82, v17, v16 :: v_dual_and_b32 v17, 0xffff0000, v18
	v_lshlrev_b32_e32 v16, 16, v18
	scratch_load_b32 v18, off, s32 offset:752 ; 4-byte Folded Reload
	s_waitcnt vmcnt(0)
	v_fmac_f32_e32 v82, v18, v17
	s_clause 0x1
	scratch_load_b32 v17, off, s32 offset:756
	scratch_load_b32 v18, off, s32 offset:792
	s_waitcnt vmcnt(1)
	v_dual_fmac_f32 v70, v17, v16 :: v_dual_lshlrev_b32 v17, 16, v54
	v_and_b32_e32 v16, 0xffff0000, v54
	s_waitcnt vmcnt(0)
	s_delay_alu instid0(VALU_DEP_2)
	v_fmac_f32_e32 v70, v18, v17
	s_clause 0x1
	scratch_load_b32 v17, off, s32 offset:788
	scratch_load_b32 v18, off, s32 offset:820
	s_waitcnt vmcnt(1)
	v_dual_fmac_f32 v82, v17, v16 :: v_dual_and_b32 v17, 0xffff0000, v50
	v_lshlrev_b32_e32 v16, 16, v50
	s_waitcnt vmcnt(0)
	s_delay_alu instid0(VALU_DEP_2)
	v_fmac_f32_e32 v82, v18, v17
	s_clause 0x1
	scratch_load_b32 v17, off, s32 offset:824
	scratch_load_b32 v18, off, s32 offset:856
	s_waitcnt vmcnt(1)
	v_dual_fmac_f32 v70, v17, v16 :: v_dual_lshlrev_b32 v17, 16, v37
	v_and_b32_e32 v16, 0xffff0000, v37
	s_waitcnt vmcnt(0)
	s_delay_alu instid0(VALU_DEP_2)
	v_fmac_f32_e32 v70, v18, v17
	s_clause 0x1
	scratch_load_b32 v17, off, s32 offset:852
	scratch_load_b32 v18, off, s32 offset:884
	s_waitcnt vmcnt(1)
	v_dual_fmac_f32 v82, v17, v16 :: v_dual_and_b32 v17, 0xffff0000, v33
	v_lshlrev_b32_e32 v16, 16, v33
	s_waitcnt vmcnt(0)
	s_delay_alu instid0(VALU_DEP_2)
	v_fmac_f32_e32 v82, v18, v17
	s_clause 0x1
	scratch_load_b32 v17, off, s32 offset:888
	scratch_load_b32 v18, off, s32 offset:920
	s_waitcnt vmcnt(1)
	v_dual_fmac_f32 v70, v17, v16 :: v_dual_lshlrev_b32 v17, 16, v29
	v_and_b32_e32 v16, 0xffff0000, v29
	s_waitcnt vmcnt(0)
	s_delay_alu instid0(VALU_DEP_2) | instskip(SKIP_4) | instid1(VALU_DEP_1)
	v_fmac_f32_e32 v70, v18, v17
	scratch_load_b32 v17, off, s32 offset:916 ; 4-byte Folded Reload
	s_waitcnt vmcnt(0)
	v_fmac_f32_e32 v82, v17, v16
	v_lshlrev_b32_e32 v16, 16, v25
	v_dual_fmac_f32 v70, v149, v16 :: v_dual_and_b32 v17, 0xffff0000, v25
	scratch_load_b32 v16, off, s32 offset:632 ; 4-byte Folded Reload
	s_waitcnt vmcnt(0)
	v_fmac_f32_e32 v83, v16, v84
	scratch_load_b32 v16, off, s32 offset:636 ; 4-byte Folded Reload
	s_waitcnt vmcnt(0)
	v_fmac_f32_e32 v71, v16, v15
	;; [unrolled: 3-line block ×5, first 2 shown]
	s_clause 0x1
	scratch_load_b32 v0, off, s32 offset:700
	scratch_load_b32 v15, off, s32 offset:732
	s_waitcnt vmcnt(1)
	v_fmac_f32_e32 v71, v0, v1
	v_lshlrev_b32_e32 v1, 16, v67
	s_waitcnt vmcnt(0)
	s_delay_alu instid0(VALU_DEP_1)
	v_dual_fmac_f32 v71, v15, v1 :: v_dual_and_b32 v0, 0xffff0000, v67
	s_clause 0x1
	scratch_load_b32 v1, off, s32 offset:728
	scratch_load_b32 v15, off, s32 offset:760
	s_waitcnt vmcnt(1)
	v_fmac_f32_e32 v83, v1, v0
	v_and_b32_e32 v1, 0xffff0000, v19
	s_waitcnt vmcnt(0)
	s_delay_alu instid0(VALU_DEP_1)
	v_dual_fmac_f32 v83, v15, v1 :: v_dual_lshlrev_b32 v0, 16, v19
	s_clause 0x1
	scratch_load_b32 v1, off, s32 offset:764
	scratch_load_b32 v15, off, s32 offset:800
	s_waitcnt vmcnt(1)
	v_fmac_f32_e32 v71, v1, v0
	v_lshlrev_b32_e32 v1, 16, v55
	s_waitcnt vmcnt(0)
	s_delay_alu instid0(VALU_DEP_1)
	v_dual_fmac_f32 v71, v15, v1 :: v_dual_and_b32 v0, 0xffff0000, v55
	s_clause 0x1
	scratch_load_b32 v1, off, s32 offset:796
	scratch_load_b32 v15, off, s32 offset:828
	s_waitcnt vmcnt(1)
	v_fmac_f32_e32 v83, v1, v0
	v_and_b32_e32 v1, 0xffff0000, v51
	s_waitcnt vmcnt(0)
	s_delay_alu instid0(VALU_DEP_1)
	v_dual_fmac_f32 v83, v15, v1 :: v_dual_lshlrev_b32 v0, 16, v51
	s_clause 0x1
	scratch_load_b32 v1, off, s32 offset:832
	scratch_load_b32 v15, off, s32 offset:864
	s_waitcnt vmcnt(1)
	v_fmac_f32_e32 v71, v1, v0
	v_lshlrev_b32_e32 v1, 16, v38
	s_waitcnt vmcnt(0)
	s_delay_alu instid0(VALU_DEP_1)
	v_dual_fmac_f32 v71, v15, v1 :: v_dual_and_b32 v0, 0xffff0000, v38
	s_clause 0x1
	scratch_load_b32 v1, off, s32 offset:860
	scratch_load_b32 v15, off, s32 offset:892
	s_waitcnt vmcnt(1)
	v_dual_fmac_f32 v82, v148, v17 :: v_dual_fmac_f32 v83, v1, v0
	v_and_b32_e32 v1, 0xffff0000, v34
	s_waitcnt vmcnt(0)
	s_delay_alu instid0(VALU_DEP_1)
	v_dual_fmac_f32 v83, v15, v1 :: v_dual_lshlrev_b32 v0, 16, v34
	s_clause 0x1
	scratch_load_b32 v1, off, s32 offset:896
	scratch_load_b32 v15, off, s32 offset:928
	s_waitcnt vmcnt(1)
	v_fmac_f32_e32 v71, v1, v0
	v_lshlrev_b32_e32 v1, 16, v30
	s_waitcnt vmcnt(0)
	s_delay_alu instid0(VALU_DEP_1)
	v_fmac_f32_e32 v71, v15, v1
	flat_load_b128 v[15:18], v[68:69] offset:2048
	scratch_load_b32 v1, off, s32 offset:924 ; 4-byte Folded Reload
	s_waitcnt vmcnt(1) lgkmcnt(0)
	v_lshlrev_b32_e32 v39, 16, v16
	v_and_b32_e32 v22, 0xffff0000, v16
	v_and_b32_e32 v85, 0xffff0000, v17
	v_lshlrev_b32_e32 v112, 16, v17
	v_and_b32_e32 v100, 0xffff0000, v18
	v_lshlrev_b32_e32 v101, 16, v18
	v_dual_fmac_f32 v81, v163, v39 :: v_dual_and_b32 v0, 0xffff0000, v30
	v_fmac_f32_e32 v14, v162, v22
	s_waitcnt vmcnt(0)
	s_delay_alu instid0(VALU_DEP_2) | instskip(SKIP_2) | instid1(VALU_DEP_2)
	v_dual_fmac_f32 v82, v164, v85 :: v_dual_fmac_f32 v83, v1, v0
	v_lshlrev_b32_e32 v0, 16, v26
	v_and_b32_e32 v1, 0xffff0000, v26
	v_fmac_f32_e32 v71, v151, v0
	s_delay_alu instid0(VALU_DEP_2)
	v_dual_fmac_f32 v83, v150, v1 :: v_dual_and_b32 v0, 0xffff0000, v15
	v_lshlrev_b32_e32 v1, 16, v15
	flat_load_b128 v[15:18], v[68:69] offset:2560
	v_dual_fmac_f32 v87, v160, v0 :: v_dual_fmac_f32 v80, v161, v1
	s_waitcnt vmcnt(0) lgkmcnt(0)
	v_lshlrev_b32_e32 v114, 16, v15
	v_lshlrev_b32_e32 v116, 16, v16
	v_and_b32_e32 v117, 0xffff0000, v16
	v_and_b32_e32 v115, 0xffff0000, v15
	v_lshlrev_b32_e32 v118, 16, v17
	v_and_b32_e32 v119, 0xffff0000, v17
	v_lshlrev_b32_e32 v102, 16, v18
	v_and_b32_e32 v103, 0xffff0000, v18
	flat_load_b128 v[15:18], v[68:69] offset:3072
	v_fmac_f32_e32 v80, v177, v114
	v_dual_fmac_f32 v14, v178, v117 :: v_dual_fmac_f32 v87, v176, v115
	s_waitcnt vmcnt(0) lgkmcnt(0)
	v_dual_fmac_f32 v81, v179, v116 :: v_dual_and_b32 v128, 0xffff0000, v15
	v_lshlrev_b32_e32 v129, 16, v15
	v_and_b32_e32 v130, 0xffff0000, v16
	v_lshlrev_b32_e32 v131, 16, v16
	v_and_b32_e32 v132, 0xffff0000, v17
	;; [unrolled: 2-line block ×3, first 2 shown]
	v_lshlrev_b32_e32 v84, 16, v18
	s_clause 0x7
	flat_load_b128 v[64:67], v[68:69] offset:3584
	flat_load_b128 v[52:55], v[98:99] offset:512
	;; [unrolled: 1-line block ×8, first 2 shown]
	v_dual_fmac_f32 v80, v41, v129 :: v_dual_fmac_f32 v87, v40, v128
	v_dual_fmac_f32 v14, v42, v130 :: v_dual_fmac_f32 v81, v43, v131
	s_waitcnt vmcnt(7) lgkmcnt(7)
	v_lshlrev_b32_e32 v0, 16, v64
	v_and_b32_e32 v1, 0xffff0000, v64
	s_delay_alu instid0(VALU_DEP_1) | instskip(SKIP_3) | instid1(VALU_DEP_2)
	v_dual_fmac_f32 v80, v59, v0 :: v_dual_fmac_f32 v87, v58, v1
	v_and_b32_e32 v0, 0xffff0000, v6
	v_lshlrev_b32_e32 v1, 16, v6
	s_waitcnt vmcnt(0) lgkmcnt(0)
	v_dual_fmac_f32 v87, v72, v0 :: v_dual_lshlrev_b32 v6, 16, v19
	s_delay_alu instid0(VALU_DEP_2) | instskip(SKIP_2) | instid1(VALU_DEP_1)
	v_fmac_f32_e32 v80, v73, v1
	v_lshlrev_b32_e32 v0, 16, v52
	v_and_b32_e32 v1, 0xffff0000, v52
	v_dual_fmac_f32 v80, v89, v0 :: v_dual_fmac_f32 v87, v88, v1
	v_and_b32_e32 v0, 0xffff0000, v48
	s_delay_alu instid0(VALU_DEP_1) | instskip(SKIP_3) | instid1(VALU_DEP_2)
	v_fmac_f32_e32 v87, v104, v0
	v_fmac_f32_e32 v70, v165, v112
	v_lshlrev_b32_e32 v1, 16, v48
	v_lshlrev_b32_e32 v0, 16, v35
	v_dual_fmac_f32 v80, v105, v1 :: v_dual_and_b32 v1, 0xffff0000, v35
	s_delay_alu instid0(VALU_DEP_1) | instskip(SKIP_2) | instid1(VALU_DEP_1)
	v_dual_fmac_f32 v80, v121, v0 :: v_dual_fmac_f32 v87, v120, v1
	v_and_b32_e32 v0, 0xffff0000, v31
	v_lshlrev_b32_e32 v1, 16, v31
	v_dual_fmac_f32 v87, v136, v0 :: v_dual_fmac_f32 v80, v137, v1
	v_lshlrev_b32_e32 v0, 16, v27
	v_and_b32_e32 v1, 0xffff0000, v27
	v_fmac_f32_e32 v83, v166, v100
	s_delay_alu instid0(VALU_DEP_2) | instskip(SKIP_2) | instid1(VALU_DEP_1)
	v_dual_fmac_f32 v80, v153, v0 :: v_dual_fmac_f32 v87, v152, v1
	v_and_b32_e32 v0, 0xffff0000, v23
	v_lshlrev_b32_e32 v1, 16, v23
	v_dual_fmac_f32 v87, v168, v0 :: v_dual_fmac_f32 v80, v169, v1
	v_and_b32_e32 v1, 0xffff0000, v16
	v_fmac_f32_e32 v71, v167, v101
	s_delay_alu instid0(VALU_DEP_2) | instskip(SKIP_1) | instid1(VALU_DEP_1)
	v_fmac_f32_e32 v87, v184, v1
	v_and_b32_e32 v1, 0xffff0000, v65
	v_dual_fmac_f32 v14, v60, v1 :: v_dual_fmac_f32 v83, v182, v103
	v_lshlrev_b32_e32 v0, 16, v16
	s_delay_alu instid0(VALU_DEP_1) | instskip(SKIP_1) | instid1(VALU_DEP_1)
	v_dual_fmac_f32 v80, v185, v0 :: v_dual_lshlrev_b32 v1, 16, v7
	v_lshlrev_b32_e32 v0, 16, v65
	v_dual_fmac_f32 v81, v61, v0 :: v_dual_and_b32 v0, 0xffff0000, v7
	v_dual_fmac_f32 v70, v181, v118 :: v_dual_and_b32 v7, 0xffff0000, v19
	s_delay_alu instid0(VALU_DEP_2) | instskip(SKIP_2) | instid1(VALU_DEP_1)
	v_dual_fmac_f32 v81, v75, v1 :: v_dual_fmac_f32 v14, v74, v0
	v_lshlrev_b32_e32 v0, 16, v53
	v_dual_fmac_f32 v82, v180, v119 :: v_dual_and_b32 v1, 0xffff0000, v53
	v_dual_fmac_f32 v81, v91, v0 :: v_dual_fmac_f32 v14, v90, v1
	v_and_b32_e32 v0, 0xffff0000, v49
	v_lshlrev_b32_e32 v1, 16, v49
	s_delay_alu instid0(VALU_DEP_2) | instskip(NEXT) | instid1(VALU_DEP_2)
	v_dual_fmac_f32 v71, v183, v102 :: v_dual_fmac_f32 v14, v106, v0
	v_dual_fmac_f32 v81, v107, v1 :: v_dual_lshlrev_b32 v0, 16, v36
	v_dual_fmac_f32 v70, v45, v133 :: v_dual_and_b32 v1, 0xffff0000, v36
	s_delay_alu instid0(VALU_DEP_1) | instskip(SKIP_2) | instid1(VALU_DEP_1)
	v_dual_fmac_f32 v81, v123, v0 :: v_dual_fmac_f32 v14, v122, v1
	v_and_b32_e32 v0, 0xffff0000, v32
	v_lshlrev_b32_e32 v1, 16, v32
	v_dual_fmac_f32 v14, v138, v0 :: v_dual_fmac_f32 v81, v139, v1
	v_lshlrev_b32_e32 v0, 16, v28
	v_and_b32_e32 v1, 0xffff0000, v28
	v_fmac_f32_e32 v83, v46, v15
	s_delay_alu instid0(VALU_DEP_2) | instskip(SKIP_2) | instid1(VALU_DEP_2)
	v_dual_fmac_f32 v81, v155, v0 :: v_dual_fmac_f32 v14, v154, v1
	v_lshlrev_b32_e32 v1, 16, v24
	v_and_b32_e32 v0, 0xffff0000, v24
	v_dual_fmac_f32 v82, v44, v132 :: v_dual_fmac_f32 v81, v171, v1
	s_delay_alu instid0(VALU_DEP_2) | instskip(SKIP_2) | instid1(VALU_DEP_1)
	v_fmac_f32_e32 v14, v170, v0
	v_lshlrev_b32_e32 v0, 16, v17
	v_and_b32_e32 v1, 0xffff0000, v17
	v_dual_fmac_f32 v81, v187, v0 :: v_dual_fmac_f32 v14, v186, v1
	v_and_b32_e32 v1, 0xffff0000, v66
	v_dual_fmac_f32 v71, v47, v84 :: v_dual_lshlrev_b32 v0, 16, v66
	s_delay_alu instid0(VALU_DEP_2) | instskip(NEXT) | instid1(VALU_DEP_2)
	v_dual_fmac_f32 v82, v62, v1 :: v_dual_lshlrev_b32 v1, 16, v8
	v_fmac_f32_e32 v70, v63, v0
	v_and_b32_e32 v0, 0xffff0000, v8
	s_delay_alu instid0(VALU_DEP_2) | instskip(NEXT) | instid1(VALU_DEP_2)
	v_fmac_f32_e32 v70, v77, v1
	v_fmac_f32_e32 v82, v76, v0
	v_lshlrev_b32_e32 v0, 16, v54
	v_and_b32_e32 v1, 0xffff0000, v54
	s_delay_alu instid0(VALU_DEP_1) | instskip(NEXT) | instid1(VALU_DEP_3)
	v_dual_fmac_f32 v82, v92, v1 :: v_dual_lshlrev_b32 v1, 16, v50
	v_fmac_f32_e32 v70, v93, v0
	v_and_b32_e32 v0, 0xffff0000, v50
	s_delay_alu instid0(VALU_DEP_2) | instskip(NEXT) | instid1(VALU_DEP_2)
	v_fmac_f32_e32 v70, v109, v1
	v_fmac_f32_e32 v82, v108, v0
	v_lshlrev_b32_e32 v0, 16, v37
	s_delay_alu instid0(VALU_DEP_1) | instskip(NEXT) | instid1(VALU_DEP_1)
	v_dual_fmac_f32 v70, v125, v0 :: v_dual_and_b32 v1, 0xffff0000, v37
	v_fmac_f32_e32 v82, v124, v1
	v_and_b32_e32 v0, 0xffff0000, v33
	s_delay_alu instid0(VALU_DEP_1) | instskip(NEXT) | instid1(VALU_DEP_1)
	v_dual_fmac_f32 v82, v140, v0 :: v_dual_lshlrev_b32 v1, 16, v33
	v_fmac_f32_e32 v70, v141, v1
	v_lshlrev_b32_e32 v0, 16, v29
	s_delay_alu instid0(VALU_DEP_1) | instskip(NEXT) | instid1(VALU_DEP_1)
	v_dual_fmac_f32 v70, v157, v0 :: v_dual_and_b32 v1, 0xffff0000, v29
	v_fmac_f32_e32 v82, v156, v1
	v_and_b32_e32 v0, 0xffff0000, v25
	s_delay_alu instid0(VALU_DEP_1) | instskip(NEXT) | instid1(VALU_DEP_1)
	v_dual_fmac_f32 v82, v172, v0 :: v_dual_lshlrev_b32 v1, 16, v25
	v_fmac_f32_e32 v70, v173, v1
	v_lshlrev_b32_e32 v0, 16, v18
	s_delay_alu instid0(VALU_DEP_1) | instskip(NEXT) | instid1(VALU_DEP_1)
	v_dual_fmac_f32 v70, v189, v0 :: v_dual_and_b32 v1, 0xffff0000, v18
	v_fmac_f32_e32 v82, v188, v1
	v_lshlrev_b32_e32 v0, 16, v67
	v_and_b32_e32 v1, 0xffff0000, v67
	s_delay_alu instid0(VALU_DEP_2) | instskip(NEXT) | instid1(VALU_DEP_2)
	v_fmac_f32_e32 v71, v57, v0
	v_fmac_f32_e32 v83, v56, v1
	v_and_b32_e32 v0, 0xffff0000, v9
	v_lshlrev_b32_e32 v1, 16, v9
	s_delay_alu instid0(VALU_DEP_2) | instskip(NEXT) | instid1(VALU_DEP_2)
	v_fmac_f32_e32 v83, v79, v0
	v_dual_fmac_f32 v71, v78, v1 :: v_dual_lshlrev_b32 v0, 16, v55
	v_and_b32_e32 v1, 0xffff0000, v55
	s_delay_alu instid0(VALU_DEP_2) | instskip(NEXT) | instid1(VALU_DEP_2)
	v_fmac_f32_e32 v71, v95, v0
	v_dual_fmac_f32 v83, v94, v1 :: v_dual_and_b32 v0, 0xffff0000, v51
	v_lshlrev_b32_e32 v1, 16, v51
	s_delay_alu instid0(VALU_DEP_2) | instskip(NEXT) | instid1(VALU_DEP_2)
	v_dual_fmac_f32 v83, v110, v0 :: v_dual_lshlrev_b32 v0, 16, v38
	v_fmac_f32_e32 v71, v111, v1
	v_and_b32_e32 v1, 0xffff0000, v38
	s_delay_alu instid0(VALU_DEP_2) | instskip(NEXT) | instid1(VALU_DEP_2)
	v_dual_fmac_f32 v71, v127, v0 :: v_dual_and_b32 v0, 0xffff0000, v34
	v_fmac_f32_e32 v83, v126, v1
	v_lshlrev_b32_e32 v1, 16, v34
	s_delay_alu instid0(VALU_DEP_2) | instskip(NEXT) | instid1(VALU_DEP_2)
	v_dual_fmac_f32 v83, v142, v0 :: v_dual_lshlrev_b32 v0, 16, v30
	v_fmac_f32_e32 v71, v143, v1
	v_and_b32_e32 v1, 0xffff0000, v30
	s_delay_alu instid0(VALU_DEP_2) | instskip(NEXT) | instid1(VALU_DEP_2)
	v_dual_fmac_f32 v71, v159, v0 :: v_dual_and_b32 v0, 0xffff0000, v26
	v_fmac_f32_e32 v83, v158, v1
	v_lshlrev_b32_e32 v1, 16, v26
	s_delay_alu instid0(VALU_DEP_2) | instskip(NEXT) | instid1(VALU_DEP_2)
	v_dual_fmac_f32 v83, v174, v0 :: v_dual_add_f32 v0, v80, v87
	v_fmac_f32_e32 v71, v175, v1
	s_delay_alu instid0(VALU_DEP_2) | instskip(NEXT) | instid1(VALU_DEP_1)
	v_dual_fmac_f32 v83, v190, v7 :: v_dual_add_f32 v0, v0, v81
	v_dual_fmac_f32 v71, v191, v6 :: v_dual_add_f32 v0, v14, v0
	s_delay_alu instid0(VALU_DEP_1) | instskip(NEXT) | instid1(VALU_DEP_1)
	v_add_f32_e32 v0, v70, v0
	v_add_f32_e32 v0, v82, v0
	s_delay_alu instid0(VALU_DEP_1) | instskip(NEXT) | instid1(VALU_DEP_1)
	v_add_f32_e32 v0, v71, v0
	v_add_f32_e32 v0, v83, v0
	s_delay_alu instid0(VALU_DEP_1) | instskip(NEXT) | instid1(VALU_DEP_1)
	v_fmac_f32_e32 v86, v0, v13
	v_cndmask_b32_e64 v0, 0, v86, s2
	ds_store_b32 v10, v0
	v_max_f32_e32 v0, v21, v21
	v_add_nc_u32_e32 v10, 0x200, v10
	s_delay_alu instid0(VALU_DEP_2) | instskip(NEXT) | instid1(VALU_DEP_1)
	v_max_f32_e32 v0, v0, v86
	v_cndmask_b32_e64 v21, v21, v0, s2
	v_add_co_u32 v96, s2, v96, 16
	s_delay_alu instid0(VALU_DEP_1) | instskip(SKIP_1) | instid1(VALU_DEP_1)
	v_add_co_ci_u32_e64 v97, s2, 0, v97, s2
	v_cmp_ge_i32_e64 s2, v2, v147
	s_or_b32 s13, s2, s13
	s_delay_alu instid0(SALU_CYCLE_1)
	s_and_not1_b32 exec_lo, exec_lo, s13
	s_cbranch_execnz .LBB205_7
; %bb.8:
	s_or_b32 exec_lo, exec_lo, s13
	s_clause 0xd
	scratch_load_b32 v22, off, s32 offset:948
	scratch_load_b32 v7, off, s32 offset:956
	;; [unrolled: 1-line block ×11, first 2 shown]
	scratch_load_b64 v[69:70], off, s32 offset:1004
	scratch_load_b64 v[80:81], off, s32 offset:1012
	scratch_load_b32 v23, off, s32 offset:1020
.LBB205_9:
	s_or_b32 exec_lo, exec_lo, s9
	v_mbcnt_lo_u32_b32 v0, -1, 0
	s_lshr_b32 s9, s11, 16
	s_delay_alu instid0(VALU_DEP_1) | instskip(SKIP_2) | instid1(VALU_DEP_3)
	v_xor_b32_e32 v1, 16, v0
	v_xor_b32_e32 v3, 8, v0
	;; [unrolled: 1-line block ×3, first 2 shown]
	v_cmp_gt_i32_e32 vcc_lo, 32, v1
	v_cndmask_b32_e32 v1, v0, v1, vcc_lo
	s_delay_alu instid0(VALU_DEP_4) | instskip(NEXT) | instid1(VALU_DEP_2)
	v_cmp_gt_i32_e32 vcc_lo, 32, v3
	v_dual_cndmask_b32 v3, v0, v3 :: v_dual_lshlrev_b32 v2, 2, v1
	v_max_f32_e32 v4, v21, v21
	v_cmp_gt_i32_e32 vcc_lo, 32, v5
	ds_bpermute_b32 v1, v2, v21
	v_lshlrev_b32_e32 v3, 2, v3
	v_cndmask_b32_e32 v5, v0, v5, vcc_lo
	s_waitcnt lgkmcnt(0)
	v_max_f32_e32 v1, v1, v1
	s_delay_alu instid0(VALU_DEP_1) | instskip(SKIP_3) | instid1(VALU_DEP_1)
	v_max_f32_e32 v1, v4, v1
	ds_bpermute_b32 v4, v3, v1
	s_waitcnt lgkmcnt(0)
	v_max_f32_e32 v6, v4, v4
	v_dual_max_f32 v1, v1, v6 :: v_dual_lshlrev_b32 v4, 2, v5
	v_xor_b32_e32 v6, 2, v0
	ds_bpermute_b32 v5, v4, v1
	v_cmp_gt_i32_e32 vcc_lo, 32, v6
	s_waitcnt lgkmcnt(0)
	v_dual_cndmask_b32 v6, v0, v6 :: v_dual_max_f32 v5, v5, v5
	s_delay_alu instid0(VALU_DEP_1) | instskip(SKIP_1) | instid1(VALU_DEP_1)
	v_lshlrev_b32_e32 v12, 2, v6
	v_xor_b32_e32 v6, 1, v0
	v_cmp_gt_i32_e32 vcc_lo, 32, v6
	s_delay_alu instid0(VALU_DEP_4)
	v_dual_max_f32 v1, v1, v5 :: v_dual_cndmask_b32 v6, v0, v6
	ds_bpermute_b32 v5, v12, v1
	s_waitcnt vmcnt(12)
	v_cmp_eq_u32_e32 vcc_lo, 0, v7
	v_lshlrev_b32_e32 v13, 2, v6
	s_waitcnt lgkmcnt(0)
	v_max_f32_e32 v5, v5, v5
	s_delay_alu instid0(VALU_DEP_1)
	v_max_f32_e32 v0, v1, v5
	scratch_load_b32 v5, off, s32 offset:952 ; 4-byte Folded Reload
	ds_bpermute_b32 v1, v13, v0
	s_waitcnt vmcnt(0)
	v_lshlrev_b32_e32 v5, 2, v5
	s_and_saveexec_b32 s2, vcc_lo
	s_cbranch_execz .LBB205_11
; %bb.10:
	s_waitcnt lgkmcnt(0)
	v_dual_max_f32 v1, v1, v1 :: v_dual_max_f32 v0, v0, v0
	s_delay_alu instid0(VALU_DEP_1)
	v_max_f32_e32 v0, v0, v1
	ds_store_b32 v5, v0 offset:512
.LBB205_11:
	s_or_b32 exec_lo, exec_lo, s2
	v_cmp_gt_u32_e64 s2, 4, v7
	v_mov_b32_e32 v0, 0xff7fffff
	s_waitcnt lgkmcnt(0)
	s_waitcnt_vscnt null, 0x0
	s_barrier
	buffer_gl0_inv
	s_and_saveexec_b32 s3, s2
	s_cbranch_execz .LBB205_13
; %bb.12:
	ds_load_b32 v0, v23 offset:512
.LBB205_13:
	s_or_b32 exec_lo, exec_lo, s3
	s_waitcnt lgkmcnt(0)
	ds_bpermute_b32 v1, v12, v0
	v_max_f32_e32 v0, v0, v0
	v_subrev_nc_u32_e32 v7, s4, v147
	s_waitcnt lgkmcnt(0)
	v_dual_mov_b32 v6, 0 :: v_dual_max_f32 v1, v1, v1
	s_delay_alu instid0(VALU_DEP_1) | instskip(SKIP_3) | instid1(VALU_DEP_1)
	v_max_f32_e32 v0, v0, v1
	ds_bpermute_b32 v1, v13, v0
	s_waitcnt lgkmcnt(0)
	v_max_f32_e32 v1, v1, v1
	v_max_f32_e32 v0, v0, v1
	v_lshl_add_u32 v1, v7, 5, s18
	ds_bpermute_b32 v0, v6, v0
	v_min_i32_e32 v1, v1, v113
	s_delay_alu instid0(VALU_DEP_1) | instskip(NEXT) | instid1(VALU_DEP_1)
	v_subrev_nc_u32_e32 v1, s18, v1
	v_cmp_lt_i32_e64 s3, v22, v1
	s_delay_alu instid0(VALU_DEP_1)
	s_and_saveexec_b32 s11, s3
	s_cbranch_execz .LBB205_17
; %bb.14:
	s_getpc_b64 s[20:21]
	s_add_u32 s20, s20, llvm.amdgcn.dynlds.offset.table@rel32@lo+4
	s_addc_u32 s21, s21, llvm.amdgcn.dynlds.offset.table@rel32@hi+12
	s_ashr_i32 s17, s16, 31
	v_mov_b32_e32 v6, 0
	s_lshl_b64 s[22:23], s[16:17], 2
	v_mov_b32_e32 v8, v22
	s_add_u32 s20, s22, s20
	s_addc_u32 s21, s23, s21
	s_mov_b32 s13, 0
	s_load_b32 s4, s[20:21], 0x0
	s_waitcnt lgkmcnt(0)
	v_lshl_add_u32 v7, v22, 2, s4
	.p2align	6
.LBB205_15:                             ; =>This Inner Loop Header: Depth=1
	ds_load_b32 v9, v7
	v_add_nc_u32_e32 v8, 0x80, v8
	s_delay_alu instid0(VALU_DEP_1) | instskip(NEXT) | instid1(VALU_DEP_1)
	v_cmp_ge_i32_e64 s4, v8, v1
	s_or_b32 s13, s4, s13
	s_waitcnt lgkmcnt(0)
	v_sub_f32_e32 v9, v9, v0
	s_delay_alu instid0(VALU_DEP_1) | instskip(NEXT) | instid1(VALU_DEP_1)
	v_mul_f32_e32 v9, 0x3fb8aa3b, v9
	v_exp_f32_e32 v9, v9
	ds_store_b32 v7, v9
	v_dual_add_f32 v6, v6, v9 :: v_dual_add_nc_u32 v7, 0x200, v7
	s_and_not1_b32 exec_lo, exec_lo, s13
	s_cbranch_execnz .LBB205_15
; %bb.16:
	s_or_b32 exec_lo, exec_lo, s13
.LBB205_17:
	s_delay_alu instid0(SALU_CYCLE_1)
	s_or_b32 exec_lo, exec_lo, s11
	ds_bpermute_b32 v2, v2, v6
	s_waitcnt lgkmcnt(0)
	v_add_f32_e32 v2, v6, v2
	ds_bpermute_b32 v3, v3, v2
	s_waitcnt lgkmcnt(0)
	v_add_f32_e32 v2, v2, v3
	;; [unrolled: 3-line block ×5, first 2 shown]
	s_and_saveexec_b32 s4, vcc_lo
	s_cbranch_execz .LBB205_19
; %bb.18:
	ds_store_b32 v5, v2 offset:528
.LBB205_19:
	s_or_b32 exec_lo, exec_lo, s4
	s_waitcnt lgkmcnt(0)
	s_barrier
	buffer_gl0_inv
	s_and_saveexec_b32 s4, s2
	s_cbranch_execz .LBB205_21
; %bb.20:
	ds_load_b32 v2, v23 offset:528
.LBB205_21:
	s_or_b32 exec_lo, exec_lo, s4
	s_waitcnt lgkmcnt(0)
	ds_bpermute_b32 v3, v12, v2
	s_waitcnt lgkmcnt(0)
	v_add_f32_e32 v2, v2, v3
	ds_bpermute_b32 v3, v13, v2
	s_waitcnt lgkmcnt(0)
	v_dual_add_f32 v2, v2, v3 :: v_dual_mov_b32 v3, 0
	ds_bpermute_b32 v2, v3, v2
	s_and_saveexec_b32 s2, s3
	s_cbranch_execz .LBB205_24
; %bb.22:
	s_waitcnt lgkmcnt(0)
	v_add_f32_e32 v4, 0x358637bd, v2
	s_getpc_b64 s[20:21]
	s_add_u32 s20, s20, llvm.amdgcn.dynlds.offset.table@rel32@lo+4
	s_addc_u32 s21, s21, llvm.amdgcn.dynlds.offset.table@rel32@hi+12
	s_ashr_i32 s17, s16, 31
	s_delay_alu instid0(SALU_CYCLE_1) | instskip(SKIP_4) | instid1(VALU_DEP_1)
	s_lshl_b64 s[22:23], s[16:17], 2
	v_div_scale_f32 v3, null, v4, v4, 1.0
	s_add_u32 s20, s22, s20
	s_addc_u32 s21, s23, s21
	s_load_b32 s3, s[20:21], 0x0
	v_rcp_f32_e32 v5, v3
	s_waitcnt_depctr 0xfff
	v_fma_f32 v6, -v3, v5, 1.0
	s_delay_alu instid0(VALU_DEP_1) | instskip(SKIP_1) | instid1(VALU_DEP_1)
	v_fmac_f32_e32 v5, v6, v5
	v_div_scale_f32 v7, vcc_lo, 1.0, v4, 1.0
	v_mul_f32_e32 v6, v7, v5
	s_delay_alu instid0(VALU_DEP_1) | instskip(NEXT) | instid1(VALU_DEP_1)
	v_fma_f32 v8, -v3, v6, v7
	v_fmac_f32_e32 v6, v8, v5
	s_delay_alu instid0(VALU_DEP_1) | instskip(NEXT) | instid1(VALU_DEP_1)
	v_fma_f32 v3, -v3, v6, v7
	v_div_fmas_f32 v5, v3, v5, v6
	s_waitcnt lgkmcnt(0)
	v_lshl_add_u32 v3, v22, 2, s3
	s_mov_b32 s3, 0
	s_delay_alu instid0(VALU_DEP_2)
	v_div_fixup_f32 v4, v5, v4, 1.0
	v_mov_b32_e32 v5, v22
.LBB205_23:                             ; =>This Inner Loop Header: Depth=1
	ds_load_b32 v6, v3
	s_waitcnt lgkmcnt(0)
	v_dual_mul_f32 v6, v4, v6 :: v_dual_add_nc_u32 v5, 0x80, v5
	s_delay_alu instid0(VALU_DEP_1) | instskip(SKIP_3) | instid1(SALU_CYCLE_1)
	v_cmp_ge_i32_e32 vcc_lo, v5, v1
	ds_store_b32 v3, v6
	v_add_nc_u32_e32 v3, 0x200, v3
	s_or_b32 s3, vcc_lo, s3
	s_and_not1_b32 exec_lo, exec_lo, s3
	s_cbranch_execnz .LBB205_23
.LBB205_24:
	s_or_b32 exec_lo, exec_lo, s2
	v_cmp_ne_u16_e64 s2, s9, 0
	s_mov_b32 s3, exec_lo
	s_waitcnt lgkmcnt(0)
	s_barrier
	buffer_gl0_inv
	s_cmp_lg_u32 s2, 0
	s_addc_u32 s2, s8, 0
	v_cmpx_eq_u32_e32 0, v22
	s_cbranch_execz .LBB205_26
; %bb.25:
	s_mul_i32 s4, s2, s6
	s_mul_i32 s8, s2, s12
	;; [unrolled: 1-line block ×3, first 2 shown]
	s_ashr_i32 s9, s8, 31
	s_ashr_i32 s15, s14, 31
	;; [unrolled: 1-line block ×3, first 2 shown]
	s_lshl_b64 s[8:9], s[8:9], 2
	s_lshl_b64 s[20:21], s[14:15], 2
	;; [unrolled: 1-line block ×3, first 2 shown]
	s_add_u32 s4, s20, s8
	s_addc_u32 s8, s21, s9
	s_add_u32 s4, s4, s12
	s_addc_u32 s8, s8, s13
	v_add_co_u32 v3, vcc_lo, s4, v27
	v_add_co_ci_u32_e32 v4, vcc_lo, s8, v26, vcc_lo
	v_add_co_u32 v5, vcc_lo, s4, v25
	v_add_co_ci_u32_e32 v6, vcc_lo, s8, v24, vcc_lo
	flat_store_b32 v[3:4], v0
	flat_store_b32 v[5:6], v2
.LBB205_26:
	s_or_b32 exec_lo, exec_lo, s3
                                        ; implicit-def: $sgpr4
	s_and_saveexec_b32 s3, s1
	s_delay_alu instid0(SALU_CYCLE_1)
	s_xor_b32 s1, exec_lo, s3
; %bb.27:
	s_ashr_i32 s17, s16, 31
	s_mov_b32 s4, 0
                                        ; implicit-def: $vgpr113
                                        ; implicit-def: $vgpr16
                                        ; implicit-def: $vgpr147
                                        ; implicit-def: $vgpr20
                                        ; implicit-def: $vgpr10
                                        ; implicit-def: $vgpr11
                                        ; implicit-def: $vgpr14
                                        ; implicit-def: $vgpr15
                                        ; implicit-def: $vgpr0
                                        ; kill: killed $vgpr0
                                        ; implicit-def: $vgpr69
                                        ; implicit-def: $vgpr80_vgpr81
; %bb.28:
	s_or_saveexec_b32 s3, s1
	v_dual_mov_b32 v0, s16 :: v_dual_mov_b32 v67, s4
	v_dual_mov_b32 v66, s4 :: v_dual_mov_b32 v1, s17
	v_dual_mov_b32 v68, s4 :: v_dual_mov_b32 v65, s4
	v_dual_mov_b32 v64, s4 :: v_dual_mov_b32 v55, s4
	v_dual_mov_b32 v54, s4 :: v_dual_mov_b32 v53, s4
	v_dual_mov_b32 v52, s4 :: v_dual_mov_b32 v51, s4
	v_dual_mov_b32 v50, s4 :: v_dual_mov_b32 v49, s4
	v_dual_mov_b32 v48, s4 :: v_dual_mov_b32 v37, s4
	v_dual_mov_b32 v38, s4 :: v_dual_mov_b32 v35, s4
	v_dual_mov_b32 v36, s4 :: v_dual_mov_b32 v33, s4
	v_dual_mov_b32 v34, s4 :: v_dual_mov_b32 v31, s4
	v_dual_mov_b32 v32, s4 :: v_dual_mov_b32 v29, s4
	v_dual_mov_b32 v30, s4 :: v_dual_mov_b32 v27, s4
	v_dual_mov_b32 v28, s4 :: v_dual_mov_b32 v25, s4
	v_dual_mov_b32 v26, s4 :: v_dual_mov_b32 v23, s4
	v_dual_mov_b32 v24, s4 :: v_dual_mov_b32 v19, s4
	v_dual_mov_b32 v18, s4 :: v_dual_mov_b32 v17, s4
	scratch_store_b32 off, v13, s32 offset:908 ; 4-byte Folded Spill
	s_xor_b32 exec_lo, exec_lo, s3
	s_cbranch_execz .LBB205_1152
; %bb.29:
	v_dual_mov_b32 v17, 0 :: v_dual_lshlrev_b32 v2, 3, v22
	v_add_co_u32 v0, vcc_lo, v14, v80
	s_ashr_i32 s17, s16, 31
	s_delay_alu instid0(VALU_DEP_2)
	v_and_b32_e32 v3, 24, v2
	s_lshl_b64 s[8:9], s[16:17], 2
	scratch_store_b32 off, v0, s32 offset:784 ; 4-byte Folded Spill
	v_add_co_ci_u32_e32 v0, vcc_lo, v15, v81, vcc_lo
	scratch_store_b32 off, v12, s32 offset:912 ; 4-byte Folded Spill
	s_getpc_b64 s[12:13]
	s_add_u32 s12, s12, llvm.amdgcn.dynlds.offset.table@rel32@lo+4
	s_addc_u32 s13, s13, llvm.amdgcn.dynlds.offset.table@rel32@hi+12
	s_add_u32 s8, s8, s12
	scratch_store_b32 off, v0, s32 offset:788 ; 4-byte Folded Spill
	v_lshlrev_b64 v[0:1], 1, v[69:70]
	s_addc_u32 s9, s9, s13
	v_mov_b32_e32 v28, 0
	s_load_b32 s1, s[8:9], 0x0
	v_mov_b32_e32 v30, 0
	v_mov_b32_e32 v32, 0
	v_add_co_u32 v0, vcc_lo, v10, v0
	scratch_store_b32 off, v3, s32 offset:792 ; 4-byte Folded Spill
	v_and_b32_e32 v3, 0xf8, v2
	v_or_b32_e32 v2, 0x1f00, v2
	scratch_store_b32 off, v0, s32 offset:796 ; 4-byte Folded Spill
	v_add_co_ci_u32_e32 v0, vcc_lo, v11, v1, vcc_lo
	v_or_b32_e32 v1, 0x900, v3
	v_or_b32_e32 v4, 0xa00, v3
	;; [unrolled: 1-line block ×3, first 2 shown]
	scratch_store_b32 off, v0, s32 offset:800 ; 4-byte Folded Spill
	v_add_nc_u32_e32 v0, -1, v16
	v_or_b32_e32 v6, 0xc00, v3
	v_or_b32_e32 v7, 0xd00, v3
	;; [unrolled: 1-line block ×4, first 2 shown]
	scratch_store_b32 off, v0, s32 offset:804 ; 4-byte Folded Spill
	v_or_b32_e32 v0, 0x800, v3
	v_or_b32_e32 v10, 0x1000, v3
	;; [unrolled: 1-line block ×16, first 2 shown]
	v_lshlrev_b32_e32 v3, 1, v3
	v_dual_mov_b32 v27, 0 :: v_dual_lshlrev_b32 v0, 1, v0
	v_mov_b32_e32 v29, 0
	v_mov_b32_e32 v31, 0
	s_clause 0x1
	scratch_store_b32 off, v3, s32 offset:808
	scratch_store_b32 off, v0, s32 offset:812
	v_dual_mov_b32 v33, 0 :: v_dual_lshlrev_b32 v0, 1, v1
	v_mov_b32_e32 v34, 0
	v_mov_b32_e32 v36, 0
	;; [unrolled: 1-line block ×3, first 2 shown]
	scratch_store_b32 off, v0, s32 offset:816 ; 4-byte Folded Spill
	v_dual_mov_b32 v35, 0 :: v_dual_lshlrev_b32 v0, 1, v4
	v_mov_b32_e32 v48, 0
	v_dual_mov_b32 v50, 0 :: v_dual_mov_b32 v37, 0
	scratch_store_b32 off, v0, s32 offset:820 ; 4-byte Folded Spill
	v_lshlrev_b32_e32 v0, 1, v5
	v_mov_b32_e32 v52, 0
	v_dual_mov_b32 v54, 0 :: v_dual_mov_b32 v49, 0
	v_mov_b32_e32 v64, 0
	scratch_store_b32 off, v0, s32 offset:824 ; 4-byte Folded Spill
	v_lshlrev_b32_e32 v0, 1, v6
	v_dual_mov_b32 v68, 0 :: v_dual_mov_b32 v51, 0
	v_mov_b32_e32 v66, 0
	s_lshl_b32 s4, s18, 2
	scratch_store_b32 off, v0, s32 offset:828 ; 4-byte Folded Spill
	v_dual_mov_b32 v53, 0 :: v_dual_lshlrev_b32 v0, 1, v7
	s_waitcnt lgkmcnt(0)
	s_sub_i32 s8, s1, s4
	s_mov_b32 s4, 0
	s_clause 0x1
	scratch_store_b32 off, v147, s32 offset:780
	scratch_store_b32 off, v0, s32 offset:832
	v_dual_mov_b32 v55, 0 :: v_dual_lshlrev_b32 v0, 1, v8
	v_mov_b32_e32 v65, 0
	v_mov_b32_e32 v67, 0
	scratch_store_b32 off, v0, s32 offset:836 ; 4-byte Folded Spill
	v_lshlrev_b32_e32 v0, 1, v9
	scratch_store_b32 off, v0, s32 offset:840 ; 4-byte Folded Spill
	v_lshlrev_b32_e32 v0, 1, v10
	;; [unrolled: 2-line block ×9, first 2 shown]
	v_mov_b32_e32 v18, 0
	scratch_store_b32 off, v0, s32 offset:872 ; 4-byte Folded Spill
	v_dual_mov_b32 v19, 0 :: v_dual_lshlrev_b32 v0, 1, v19
	scratch_store_b32 off, v0, s32 offset:876 ; 4-byte Folded Spill
	v_lshlrev_b32_e32 v0, 1, v21
	scratch_store_b32 off, v0, s32 offset:880 ; 4-byte Folded Spill
	v_lshlrev_b32_e32 v0, 1, v22
	scratch_store_b32 off, v0, s32 offset:884 ; 4-byte Folded Spill
	v_dual_mov_b32 v23, 0 :: v_dual_lshlrev_b32 v0, 1, v23
	scratch_store_b32 off, v0, s32 offset:888 ; 4-byte Folded Spill
	v_lshlrev_b32_e32 v0, 1, v24
	v_mov_b32_e32 v24, 0
	scratch_store_b32 off, v0, s32 offset:892 ; 4-byte Folded Spill
	v_dual_mov_b32 v25, 0 :: v_dual_lshlrev_b32 v0, 1, v25
	scratch_store_b32 off, v0, s32 offset:896 ; 4-byte Folded Spill
	v_lshlrev_b32_e32 v0, 1, v26
	v_mov_b32_e32 v26, 0
	scratch_store_b32 off, v0, s32 offset:900 ; 4-byte Folded Spill
	v_lshlrev_b32_e32 v0, 1, v2
	scratch_store_b32 off, v0, s32 offset:904 ; 4-byte Folded Spill
	s_branch .LBB205_31
.LBB205_30:                             ;   in Loop: Header=BB205_31 Depth=1
	s_or_b32 exec_lo, exec_lo, s1
	v_and_b32_e32 v39, 0xffff0000, v39
	v_and_b32_e32 v4, 0xffff0000, v4
	;; [unrolled: 1-line block ×6, first 2 shown]
	s_delay_alu instid0(VALU_DEP_4)
	v_dual_add_f32 v5, v39, v5 :: v_dual_and_b32 v70, 0xffff0000, v70
	v_and_b32_e32 v80, 0xffff0000, v80
	v_and_b32_e32 v39, 0xffff0000, v112
	;; [unrolled: 1-line block ×5, first 2 shown]
	v_dual_add_f32 v80, v80, v81 :: v_dual_and_b32 v81, 0xffff0000, v83
	v_add_f32_e32 v4, v4, v39
	v_dual_add_f32 v70, v70, v71 :: v_dual_and_b32 v71, 0xffff0000, v188
	v_and_b32_e32 v9, 0xffff0000, v9
	s_delay_alu instid0(VALU_DEP_4) | instskip(SKIP_3) | instid1(VALU_DEP_4)
	v_add_f32_e32 v81, v82, v81
	v_and_b32_e32 v82, 0xffff0000, v85
	v_and_b32_e32 v83, 0xffff0000, v84
	v_dual_add_f32 v4, v5, v4 :: v_dual_and_b32 v5, 0xffff0000, v69
	v_dual_add_f32 v80, v80, v81 :: v_dual_and_b32 v81, 0xffff0000, v154
	s_delay_alu instid0(VALU_DEP_3) | instskip(NEXT) | instid1(VALU_DEP_3)
	v_add_f32_e32 v82, v83, v82
	v_dual_add_f32 v5, v12, v5 :: v_dual_and_b32 v8, 0xffff0000, v8
	v_and_b32_e32 v12, 0xffff0000, v86
	v_and_b32_e32 v69, 0xffff0000, v87
	s_delay_alu instid0(VALU_DEP_4) | instskip(NEXT) | instid1(VALU_DEP_4)
	v_add_f32_e32 v39, v80, v82
	v_dual_add_f32 v4, v4, v5 :: v_dual_and_b32 v11, 0xffff0000, v11
	v_and_b32_e32 v10, 0xffff0000, v10
	s_delay_alu instid0(VALU_DEP_4) | instskip(SKIP_1) | instid1(VALU_DEP_4)
	v_add_f32_e32 v12, v12, v69
	v_and_b32_e32 v5, 0xffff0000, v185
	v_dual_add_f32 v4, v4, v70 :: v_dual_and_b32 v69, 0xffff0000, v184
	v_and_b32_e32 v70, 0xffff0000, v170
	s_delay_alu instid0(VALU_DEP_4) | instskip(NEXT) | instid1(VALU_DEP_3)
	v_dual_add_f32 v12, v39, v12 :: v_dual_and_b32 v39, 0xffff0000, v169
	v_add_f32_e32 v5, v69, v5
	v_and_b32_e32 v69, 0xffff0000, v187
	v_dual_add_f32 v19, v19, v4 :: v_dual_and_b32 v80, 0xffff0000, v186
	s_delay_alu instid0(VALU_DEP_4) | instskip(NEXT) | instid1(VALU_DEP_2)
	v_dual_add_f32 v18, v18, v12 :: v_dual_and_b32 v1, 0xffff0000, v1
	v_dual_add_f32 v6, v6, v7 :: v_dual_add_f32 v69, v80, v69
	v_and_b32_e32 v80, 0xffff0000, v152
	v_dual_add_f32 v8, v8, v9 :: v_dual_and_b32 v7, 0xffff0000, v123
	s_delay_alu instid0(VALU_DEP_3) | instskip(SKIP_4) | instid1(VALU_DEP_4)
	v_dual_add_f32 v10, v10, v11 :: v_dual_add_f32 v5, v5, v69
	v_and_b32_e32 v69, 0xffff0000, v189
	v_and_b32_e32 v11, 0xffff0000, v132
	v_and_b32_e32 v14, 0xffff0000, v14
	v_and_b32_e32 v9, 0xffff0000, v131
	v_dual_add_f32 v69, v71, v69 :: v_dual_and_b32 v0, 0xffff0000, v0
	v_and_b32_e32 v71, 0xffff0000, v191
	v_and_b32_e32 v2, 0xffff0000, v2
	s_delay_alu instid0(VALU_DEP_3) | instskip(SKIP_1) | instid1(VALU_DEP_1)
	v_dual_add_f32 v5, v5, v69 :: v_dual_add_nc_u32 v20, 4, v20
	v_and_b32_e32 v69, 0xffff0000, v168
	v_add_f32_e32 v39, v69, v39
	v_and_b32_e32 v69, 0xffff0000, v171
	s_delay_alu instid0(VALU_DEP_1) | instskip(NEXT) | instid1(VALU_DEP_1)
	v_dual_add_f32 v69, v70, v69 :: v_dual_and_b32 v70, 0xffff0000, v190
	v_dual_add_f32 v39, v39, v69 :: v_dual_add_f32 v70, v70, v71
	v_and_b32_e32 v69, 0xffff0000, v173
	s_delay_alu instid0(VALU_DEP_2) | instskip(NEXT) | instid1(VALU_DEP_1)
	v_dual_add_f32 v4, v5, v70 :: v_dual_and_b32 v71, 0xffff0000, v172
	v_dual_add_f32 v69, v71, v69 :: v_dual_and_b32 v70, 0xffff0000, v175
	v_and_b32_e32 v71, 0xffff0000, v153
	s_delay_alu instid0(VALU_DEP_3) | instskip(NEXT) | instid1(VALU_DEP_2)
	v_add_f32_e32 v23, v23, v4
	v_add_f32_e32 v71, v80, v71
	s_delay_alu instid0(VALU_DEP_4) | instskip(SKIP_2) | instid1(VALU_DEP_3)
	v_dual_add_f32 v5, v39, v69 :: v_dual_and_b32 v80, 0xffff0000, v155
	v_and_b32_e32 v39, 0xffff0000, v157
	v_and_b32_e32 v69, 0xffff0000, v156
	v_add_f32_e32 v80, v81, v80
	s_delay_alu instid0(VALU_DEP_2) | instskip(SKIP_1) | instid1(VALU_DEP_1)
	v_add_f32_e32 v39, v69, v39
	v_and_b32_e32 v69, 0xffff0000, v174
	v_dual_add_f32 v69, v69, v70 :: v_dual_and_b32 v70, 0xffff0000, v136
	s_delay_alu instid0(VALU_DEP_4) | instskip(SKIP_1) | instid1(VALU_DEP_2)
	v_dual_add_f32 v12, v71, v80 :: v_dual_and_b32 v71, 0xffff0000, v138
	v_and_b32_e32 v80, 0xffff0000, v159
	v_dual_add_f32 v12, v12, v39 :: v_dual_and_b32 v39, 0xffff0000, v137
	s_delay_alu instid0(VALU_DEP_1) | instskip(SKIP_1) | instid1(VALU_DEP_1)
	v_add_f32_e32 v39, v70, v39
	v_and_b32_e32 v70, 0xffff0000, v139
	v_add_f32_e32 v70, v71, v70
	v_and_b32_e32 v71, 0xffff0000, v158
	s_delay_alu instid0(VALU_DEP_2) | instskip(NEXT) | instid1(VALU_DEP_2)
	v_add_f32_e32 v39, v39, v70
	v_dual_add_f32 v71, v71, v80 :: v_dual_and_b32 v70, 0xffff0000, v141
	v_and_b32_e32 v80, 0xffff0000, v140
	v_dual_add_f32 v4, v5, v69 :: v_dual_and_b32 v69, 0xffff0000, v143
	s_delay_alu instid0(VALU_DEP_3) | instskip(NEXT) | instid1(VALU_DEP_3)
	v_add_f32_e32 v5, v12, v71
	v_dual_add_f32 v70, v80, v70 :: v_dual_and_b32 v71, 0xffff0000, v127
	v_and_b32_e32 v80, 0xffff0000, v122
	s_delay_alu instid0(VALU_DEP_3) | instskip(NEXT) | instid1(VALU_DEP_2)
	v_dual_add_f32 v24, v24, v4 :: v_dual_add_f32 v25, v25, v5
	v_dual_add_f32 v12, v39, v70 :: v_dual_add_f32 v7, v80, v7
	v_and_b32_e32 v39, 0xffff0000, v124
	v_and_b32_e32 v70, 0xffff0000, v108
	;; [unrolled: 1-line block ×3, first 2 shown]
	s_delay_alu instid0(VALU_DEP_4) | instskip(NEXT) | instid1(VALU_DEP_1)
	v_dual_add_f32 v6, v6, v7 :: v_dual_and_b32 v7, 0xffff0000, v125
	v_add_f32_e32 v7, v39, v7
	s_delay_alu instid0(VALU_DEP_1) | instskip(NEXT) | instid1(VALU_DEP_1)
	v_dual_add_f32 v6, v6, v7 :: v_dual_and_b32 v39, 0xffff0000, v142
	v_add_f32_e32 v39, v39, v69
	v_and_b32_e32 v7, 0xffff0000, v107
	s_delay_alu instid0(VALU_DEP_2) | instskip(NEXT) | instid1(VALU_DEP_1)
	v_dual_add_f32 v4, v12, v39 :: v_dual_and_b32 v69, 0xffff0000, v106
	v_dual_add_f32 v7, v69, v7 :: v_dual_and_b32 v12, 0xffff0000, v90
	v_and_b32_e32 v69, 0xffff0000, v109
	v_and_b32_e32 v39, 0xffff0000, v92
	s_delay_alu instid0(VALU_DEP_4) | instskip(NEXT) | instid1(VALU_DEP_3)
	v_add_f32_e32 v26, v26, v4
	v_dual_add_f32 v69, v70, v69 :: v_dual_and_b32 v70, 0xffff0000, v126
	s_delay_alu instid0(VALU_DEP_1) | instskip(SKIP_2) | instid1(VALU_DEP_3)
	v_dual_add_f32 v7, v7, v69 :: v_dual_add_f32 v70, v70, v71
	v_and_b32_e32 v69, 0xffff0000, v111
	v_and_b32_e32 v71, 0xffff0000, v110
	v_add_f32_e32 v5, v6, v70
	s_delay_alu instid0(VALU_DEP_2) | instskip(NEXT) | instid1(VALU_DEP_1)
	v_dual_add_f32 v69, v71, v69 :: v_dual_and_b32 v70, 0xffff0000, v74
	v_dual_add_f32 v6, v7, v69 :: v_dual_and_b32 v71, 0xffff0000, v76
	v_and_b32_e32 v7, 0xffff0000, v91
	v_and_b32_e32 v69, 0xffff0000, v121
	s_delay_alu instid0(VALU_DEP_2) | instskip(NEXT) | instid1(VALU_DEP_1)
	v_dual_add_f32 v7, v12, v7 :: v_dual_and_b32 v12, 0xffff0000, v93
	v_add_f32_e32 v12, v39, v12
	v_and_b32_e32 v39, 0xffff0000, v120
	s_delay_alu instid0(VALU_DEP_2) | instskip(NEXT) | instid1(VALU_DEP_2)
	v_add_f32_e32 v7, v7, v12
	v_dual_add_f32 v39, v39, v69 :: v_dual_and_b32 v12, 0xffff0000, v95
	s_delay_alu instid0(VALU_DEP_1) | instskip(NEXT) | instid1(VALU_DEP_1)
	v_dual_add_f32 v4, v6, v39 :: v_dual_and_b32 v69, 0xffff0000, v94
	v_dual_add_f32 v12, v69, v12 :: v_dual_and_b32 v39, 0xffff0000, v105
	s_delay_alu instid0(VALU_DEP_2) | instskip(NEXT) | instid1(VALU_DEP_1)
	v_dual_add_f32 v28, v28, v4 :: v_dual_and_b32 v69, 0xffff0000, v75
	v_add_f32_e32 v69, v70, v69
	v_and_b32_e32 v70, 0xffff0000, v77
	s_delay_alu instid0(VALU_DEP_1) | instskip(NEXT) | instid1(VALU_DEP_1)
	v_dual_add_f32 v70, v71, v70 :: v_dual_and_b32 v71, 0xffff0000, v160
	v_add_f32_e32 v6, v69, v70
	v_and_b32_e32 v70, 0xffff0000, v89
	v_add_f32_e32 v27, v27, v5
	v_add_f32_e32 v5, v7, v12
	v_and_b32_e32 v7, 0xffff0000, v79
	v_and_b32_e32 v12, 0xffff0000, v78
	;; [unrolled: 1-line block ×3, first 2 shown]
	s_delay_alu instid0(VALU_DEP_2) | instskip(NEXT) | instid1(VALU_DEP_1)
	v_dual_add_f32 v7, v12, v7 :: v_dual_and_b32 v12, 0xffff0000, v104
	v_add_f32_e32 v6, v6, v7
	s_delay_alu instid0(VALU_DEP_2) | instskip(NEXT) | instid1(VALU_DEP_1)
	v_dual_add_f32 v12, v12, v39 :: v_dual_and_b32 v7, 0xffff0000, v178
	v_dual_add_f32 v4, v5, v12 :: v_dual_and_b32 v39, 0xffff0000, v177
	s_delay_alu instid0(VALU_DEP_1) | instskip(SKIP_1) | instid1(VALU_DEP_3)
	v_dual_add_f32 v7, v39, v7 :: v_dual_and_b32 v12, 0xffff0000, v165
	v_and_b32_e32 v39, 0xffff0000, v180
	v_add_f32_e32 v29, v29, v4
	s_delay_alu instid0(VALU_DEP_2) | instskip(SKIP_1) | instid1(VALU_DEP_2)
	v_add_f32_e32 v39, v69, v39
	v_and_b32_e32 v69, 0xffff0000, v88
	v_add_f32_e32 v7, v7, v39
	s_delay_alu instid0(VALU_DEP_2) | instskip(SKIP_2) | instid1(VALU_DEP_3)
	v_add_f32_e32 v69, v69, v70
	v_and_b32_e32 v39, 0xffff0000, v182
	v_and_b32_e32 v70, 0xffff0000, v181
	v_add_f32_e32 v5, v6, v69
	v_and_b32_e32 v69, 0xffff0000, v40
	s_delay_alu instid0(VALU_DEP_3) | instskip(NEXT) | instid1(VALU_DEP_3)
	v_dual_add_f32 v39, v70, v39 :: v_dual_and_b32 v70, 0xffff0000, v161
	v_add_f32_e32 v30, v30, v5
	s_delay_alu instid0(VALU_DEP_2) | instskip(NEXT) | instid1(VALU_DEP_3)
	v_add_f32_e32 v6, v7, v39
	v_dual_add_f32 v70, v71, v70 :: v_dual_and_b32 v71, 0xffff0000, v163
	v_and_b32_e32 v39, 0xffff0000, v164
	s_delay_alu instid0(VALU_DEP_1) | instskip(SKIP_1) | instid1(VALU_DEP_2)
	v_dual_add_f32 v71, v80, v71 :: v_dual_add_f32 v12, v39, v12
	v_and_b32_e32 v39, 0xffff0000, v183
	v_dual_add_f32 v7, v70, v71 :: v_dual_and_b32 v70, 0xffff0000, v146
	s_delay_alu instid0(VALU_DEP_2) | instskip(SKIP_2) | instid1(VALU_DEP_4)
	v_add_f32_e32 v39, v39, v69
	v_and_b32_e32 v69, 0xffff0000, v144
	v_and_b32_e32 v71, 0xffff0000, v167
	v_dual_add_f32 v7, v7, v12 :: v_dual_and_b32 v12, 0xffff0000, v145
	s_delay_alu instid0(VALU_DEP_4) | instskip(NEXT) | instid1(VALU_DEP_2)
	v_add_f32_e32 v4, v6, v39
	v_dual_add_f32 v12, v69, v12 :: v_dual_and_b32 v69, 0xffff0000, v147
	s_delay_alu instid0(VALU_DEP_2) | instskip(SKIP_2) | instid1(VALU_DEP_1)
	v_add_f32_e32 v31, v31, v4
	scratch_load_b32 v147, off, s32 offset:780 ; 4-byte Folded Reload
	v_dual_add_f32 v69, v70, v69 :: v_dual_and_b32 v70, 0xffff0000, v166
	v_add_f32_e32 v12, v12, v69
	s_delay_alu instid0(VALU_DEP_2) | instskip(SKIP_1) | instid1(VALU_DEP_2)
	v_dual_add_f32 v70, v70, v71 :: v_dual_and_b32 v69, 0xffff0000, v149
	v_and_b32_e32 v71, 0xffff0000, v148
	v_add_f32_e32 v5, v7, v70
	v_and_b32_e32 v7, 0xffff0000, v150
	s_delay_alu instid0(VALU_DEP_3) | instskip(NEXT) | instid1(VALU_DEP_3)
	v_add_f32_e32 v69, v71, v69
	v_add_f32_e32 v32, v32, v5
	s_delay_alu instid0(VALU_DEP_2) | instskip(SKIP_1) | instid1(VALU_DEP_1)
	v_add_f32_e32 v6, v12, v69
	v_and_b32_e32 v12, 0xffff0000, v151
	v_dual_add_f32 v7, v7, v12 :: v_dual_and_b32 v12, 0xffff0000, v21
	s_delay_alu instid0(VALU_DEP_1) | instskip(NEXT) | instid1(VALU_DEP_1)
	v_dual_add_f32 v6, v6, v7 :: v_dual_add_f32 v9, v12, v9
	v_dual_add_f32 v33, v33, v6 :: v_dual_and_b32 v12, 0xffff0000, v15
	s_delay_alu instid0(VALU_DEP_2) | instskip(SKIP_1) | instid1(VALU_DEP_1)
	v_add_f32_e32 v8, v8, v9
	v_and_b32_e32 v9, 0xffff0000, v133
	v_dual_add_f32 v9, v11, v9 :: v_dual_add_f32 v12, v14, v12
	v_and_b32_e32 v11, 0xffff0000, v114
	s_delay_alu instid0(VALU_DEP_2) | instskip(NEXT) | instid1(VALU_DEP_3)
	v_add_f32_e32 v7, v8, v9
	v_add_f32_e32 v10, v12, v10
	v_and_b32_e32 v12, 0xffff0000, v13
	v_and_b32_e32 v8, 0xffff0000, v134
	;; [unrolled: 1-line block ×4, first 2 shown]
	s_delay_alu instid0(VALU_DEP_4) | instskip(NEXT) | instid1(VALU_DEP_1)
	v_dual_add_f32 v11, v12, v11 :: v_dual_and_b32 v12, 0xffff0000, v117
	v_dual_add_f32 v8, v8, v9 :: v_dual_add_f32 v9, v10, v11
	v_and_b32_e32 v10, 0xffff0000, v116
	s_delay_alu instid0(VALU_DEP_2) | instskip(SKIP_2) | instid1(VALU_DEP_3)
	v_dual_add_f32 v4, v7, v8 :: v_dual_and_b32 v11, 0xffff0000, v115
	v_and_b32_e32 v7, 0xffff0000, v128
	v_and_b32_e32 v8, 0xffff0000, v119
	v_add_f32_e32 v10, v11, v10
	s_delay_alu instid0(VALU_DEP_4) | instskip(NEXT) | instid1(VALU_DEP_3)
	v_dual_add_f32 v34, v34, v4 :: v_dual_and_b32 v11, 0xffff0000, v118
	v_add_f32_e32 v7, v8, v7
	scratch_load_b32 v8, off, s32 offset:772 ; 4-byte Folded Reload
	v_dual_add_f32 v11, v12, v11 :: v_dual_and_b32 v12, 0xffff0000, v16
	s_delay_alu instid0(VALU_DEP_1)
	v_add_f32_e32 v5, v10, v11
	scratch_load_b32 v10, off, s32 offset:768 ; 4-byte Folded Reload
	v_dual_add_f32 v12, v12, v13 :: v_dual_and_b32 v11, 0xffff0000, v98
	scratch_load_b32 v13, off, s32 offset:668 ; 4-byte Folded Reload
	v_add_f32_e32 v5, v5, v7
	v_dual_add_f32 v6, v9, v12 :: v_dual_and_b32 v7, 0xffff0000, v129
	s_clause 0x1
	scratch_load_b32 v9, off, s32 offset:744
	scratch_load_b32 v12, off, s32 offset:712
	v_add_f32_e32 v35, v35, v6
	s_waitcnt vmcnt(5)
	v_cmp_ge_i32_e32 vcc_lo, v20, v147
	s_or_b32 s4, vcc_lo, s4
	s_waitcnt vmcnt(4)
	v_and_b32_e32 v8, 0xffff0000, v8
	s_waitcnt vmcnt(3)
	v_and_b32_e32 v10, 0xffff0000, v10
	s_waitcnt vmcnt(2)
	s_delay_alu instid0(VALU_DEP_1) | instskip(SKIP_2) | instid1(VALU_DEP_1)
	v_dual_add_f32 v8, v10, v8 :: v_dual_and_b32 v13, 0xffff0000, v13
	v_and_b32_e32 v10, 0xffff0000, v99
	s_waitcnt vmcnt(1)
	v_dual_add_f32 v10, v11, v10 :: v_dual_and_b32 v9, 0xffff0000, v9
	v_and_b32_e32 v11, 0xffff0000, v130
	s_delay_alu instid0(VALU_DEP_1) | instskip(SKIP_1) | instid1(VALU_DEP_2)
	v_dual_add_f32 v8, v8, v10 :: v_dual_add_f32 v7, v7, v11
	v_and_b32_e32 v10, 0xffff0000, v102
	v_dual_add_f32 v4, v5, v7 :: v_dual_and_b32 v11, 0xffff0000, v100
	scratch_load_b32 v7, off, s32 offset:740 ; 4-byte Folded Reload
	v_add_f32_e32 v10, v11, v10
	v_add_f32_e32 v36, v36, v4
	s_delay_alu instid0(VALU_DEP_2)
	v_add_f32_e32 v5, v8, v10
	scratch_load_b32 v8, off, s32 offset:736 ; 4-byte Folded Reload
	v_and_b32_e32 v10, 0xffff0000, v103
	s_waitcnt vmcnt(1)
	v_and_b32_e32 v7, 0xffff0000, v7
	s_waitcnt vmcnt(0)
	v_and_b32_e32 v8, 0xffff0000, v8
	s_delay_alu instid0(VALU_DEP_1) | instskip(SKIP_3) | instid1(VALU_DEP_1)
	v_add_f32_e32 v7, v8, v7
	scratch_load_b32 v8, off, s32 offset:748 ; 4-byte Folded Reload
	s_waitcnt vmcnt(0)
	v_and_b32_e32 v8, 0xffff0000, v8
	v_dual_add_f32 v8, v9, v8 :: v_dual_and_b32 v9, 0xffff0000, v101
	s_delay_alu instid0(VALU_DEP_1) | instskip(NEXT) | instid1(VALU_DEP_2)
	v_add_f32_e32 v7, v7, v8
	v_add_f32_e32 v9, v9, v10
	s_clause 0x1
	scratch_load_b32 v8, off, s32 offset:756
	scratch_load_b32 v10, off, s32 offset:752
	v_add_f32_e32 v4, v5, v9
	s_delay_alu instid0(VALU_DEP_1) | instskip(SKIP_4) | instid1(VALU_DEP_1)
	v_add_f32_e32 v37, v37, v4
	s_waitcnt vmcnt(1)
	v_and_b32_e32 v8, 0xffff0000, v8
	s_waitcnt vmcnt(0)
	v_and_b32_e32 v10, 0xffff0000, v10
	v_add_f32_e32 v8, v10, v8
	scratch_load_b32 v10, off, s32 offset:708 ; 4-byte Folded Reload
	v_add_f32_e32 v7, v7, v8
	s_clause 0x1
	scratch_load_b32 v8, off, s32 offset:760
	scratch_load_b32 v11, off, s32 offset:704
	v_and_b32_e32 v12, 0xffff0000, v12
	s_waitcnt vmcnt(2)
	v_and_b32_e32 v10, 0xffff0000, v10
	s_waitcnt vmcnt(1)
	;; [unrolled: 2-line block ×3, first 2 shown]
	v_and_b32_e32 v11, 0xffff0000, v11
	s_delay_alu instid0(VALU_DEP_1) | instskip(SKIP_3) | instid1(VALU_DEP_1)
	v_add_f32_e32 v10, v11, v10
	scratch_load_b32 v11, off, s32 offset:716 ; 4-byte Folded Reload
	s_waitcnt vmcnt(0)
	v_and_b32_e32 v11, 0xffff0000, v11
	v_add_f32_e32 v11, v12, v11
	scratch_load_b32 v12, off, s32 offset:764 ; 4-byte Folded Reload
	v_add_f32_e32 v10, v10, v11
	scratch_load_b32 v11, off, s32 offset:724 ; 4-byte Folded Reload
	s_waitcnt vmcnt(1)
	v_and_b32_e32 v12, 0xffff0000, v12
	s_delay_alu instid0(VALU_DEP_1) | instskip(NEXT) | instid1(VALU_DEP_1)
	v_add_f32_e32 v8, v8, v12
	v_add_f32_e32 v5, v7, v8
	s_clause 0x2
	scratch_load_b32 v7, off, s32 offset:728
	scratch_load_b32 v8, off, s32 offset:732
	;; [unrolled: 1-line block ×3, first 2 shown]
	s_waitcnt vmcnt(3)
	v_dual_add_f32 v38, v38, v5 :: v_dual_and_b32 v11, 0xffff0000, v11
	scratch_load_b32 v5, off, s32 offset:632 ; 4-byte Folded Reload
	s_waitcnt vmcnt(3)
	v_and_b32_e32 v7, 0xffff0000, v7
	s_waitcnt vmcnt(2)
	v_and_b32_e32 v8, 0xffff0000, v8
	;; [unrolled: 2-line block ×4, first 2 shown]
	v_add_f32_e32 v7, v7, v8
	s_delay_alu instid0(VALU_DEP_3)
	v_add_f32_e32 v11, v12, v11
	s_clause 0x1
	scratch_load_b32 v8, off, s32 offset:676
	scratch_load_b32 v12, off, s32 offset:648
	v_add_f32_e32 v6, v10, v11
	s_clause 0x1
	scratch_load_b32 v10, off, s32 offset:680
	scratch_load_b32 v9, off, s32 offset:672
	v_add_f32_e32 v6, v6, v7
	s_delay_alu instid0(VALU_DEP_1)
	v_add_f32_e32 v48, v48, v6
	s_waitcnt vmcnt(3)
	v_and_b32_e32 v8, 0xffff0000, v8
	s_waitcnt vmcnt(1)
	v_and_b32_e32 v10, 0xffff0000, v10
	;; [unrolled: 2-line block ×3, first 2 shown]
	s_delay_alu instid0(VALU_DEP_1) | instskip(SKIP_3) | instid1(VALU_DEP_1)
	v_add_f32_e32 v8, v9, v8
	scratch_load_b32 v9, off, s32 offset:684 ; 4-byte Folded Reload
	s_waitcnt vmcnt(0)
	v_and_b32_e32 v9, 0xffff0000, v9
	v_add_f32_e32 v9, v10, v9
	scratch_load_b32 v10, off, s32 offset:644 ; 4-byte Folded Reload
	v_add_f32_e32 v8, v8, v9
	s_clause 0x1
	scratch_load_b32 v9, off, s32 offset:692
	scratch_load_b32 v11, off, s32 offset:640
	v_and_b32_e32 v12, 0xffff0000, v12
	s_waitcnt vmcnt(2)
	v_and_b32_e32 v10, 0xffff0000, v10
	s_waitcnt vmcnt(1)
	;; [unrolled: 2-line block ×3, first 2 shown]
	v_and_b32_e32 v11, 0xffff0000, v11
	s_delay_alu instid0(VALU_DEP_1) | instskip(SKIP_3) | instid1(VALU_DEP_1)
	v_add_f32_e32 v10, v11, v10
	scratch_load_b32 v11, off, s32 offset:652 ; 4-byte Folded Reload
	s_waitcnt vmcnt(0)
	v_and_b32_e32 v11, 0xffff0000, v11
	v_add_f32_e32 v11, v12, v11
	scratch_load_b32 v12, off, s32 offset:688 ; 4-byte Folded Reload
	v_add_f32_e32 v10, v10, v11
	scratch_load_b32 v11, off, s32 offset:664 ; 4-byte Folded Reload
	s_waitcnt vmcnt(1)
	v_and_b32_e32 v12, 0xffff0000, v12
	s_delay_alu instid0(VALU_DEP_1)
	v_add_f32_e32 v9, v12, v9
	scratch_load_b32 v12, off, s32 offset:656 ; 4-byte Folded Reload
	s_waitcnt vmcnt(1)
	v_and_b32_e32 v11, 0xffff0000, v11
	v_add_f32_e32 v7, v8, v9
	s_clause 0x1
	scratch_load_b32 v8, off, s32 offset:696
	scratch_load_b32 v9, off, s32 offset:700
	s_waitcnt vmcnt(2)
	v_and_b32_e32 v12, 0xffff0000, v12
	s_waitcnt vmcnt(1)
	s_delay_alu instid0(VALU_DEP_1)
	v_dual_add_f32 v11, v12, v11 :: v_dual_and_b32 v8, 0xffff0000, v8
	s_waitcnt vmcnt(0)
	v_and_b32_e32 v9, 0xffff0000, v9
	scratch_load_b32 v12, off, s32 offset:616 ; 4-byte Folded Reload
	v_dual_add_f32 v8, v8, v9 :: v_dual_add_f32 v9, v10, v11
	s_clause 0x1
	scratch_load_b32 v10, off, s32 offset:612
	scratch_load_b32 v11, off, s32 offset:608
	v_add_f32_e32 v6, v7, v8
	scratch_load_b32 v8, off, s32 offset:600 ; 4-byte Folded Reload
	s_waitcnt vmcnt(3)
	v_dual_add_f32 v49, v49, v6 :: v_dual_and_b32 v12, 0xffff0000, v12
	s_waitcnt vmcnt(2)
	v_and_b32_e32 v10, 0xffff0000, v10
	s_waitcnt vmcnt(1)
	v_and_b32_e32 v11, 0xffff0000, v11
	;; [unrolled: 2-line block ×3, first 2 shown]
	s_delay_alu instid0(VALU_DEP_2) | instskip(SKIP_3) | instid1(VALU_DEP_1)
	v_add_f32_e32 v10, v11, v10
	scratch_load_b32 v11, off, s32 offset:620 ; 4-byte Folded Reload
	s_waitcnt vmcnt(0)
	v_and_b32_e32 v11, 0xffff0000, v11
	v_add_f32_e32 v11, v12, v11
	scratch_load_b32 v12, off, s32 offset:660 ; 4-byte Folded Reload
	v_add_f32_e32 v4, v10, v11
	scratch_load_b32 v10, off, s32 offset:624 ; 4-byte Folded Reload
	s_waitcnt vmcnt(1)
	v_and_b32_e32 v12, 0xffff0000, v12
	s_delay_alu instid0(VALU_DEP_1)
	v_add_f32_e32 v12, v12, v13
	s_waitcnt vmcnt(0)
	v_and_b32_e32 v10, 0xffff0000, v10
	scratch_load_b32 v13, off, s32 offset:584 ; 4-byte Folded Reload
	v_add_f32_e32 v7, v9, v12
	v_add_f32_e32 v5, v10, v5
	s_clause 0x3
	scratch_load_b32 v10, off, s32 offset:580
	scratch_load_b32 v9, off, s32 offset:592
	;; [unrolled: 1-line block ×4, first 2 shown]
	v_add_f32_e32 v4, v4, v5
	v_add_f32_e32 v50, v50, v7
	scratch_load_b32 v7, off, s32 offset:516 ; 4-byte Folded Reload
	s_waitcnt vmcnt(5)
	v_and_b32_e32 v13, 0xffff0000, v13
	s_waitcnt vmcnt(4)
	v_and_b32_e32 v10, 0xffff0000, v10
	;; [unrolled: 2-line block ×5, first 2 shown]
	v_add_f32_e32 v8, v9, v8
	s_delay_alu instid0(VALU_DEP_3)
	v_add_f32_e32 v10, v11, v10
	s_clause 0x1
	scratch_load_b32 v11, off, s32 offset:588
	scratch_load_b32 v9, off, s32 offset:628
	s_waitcnt vmcnt(1)
	v_and_b32_e32 v11, 0xffff0000, v11
	s_waitcnt vmcnt(0)
	v_and_b32_e32 v9, 0xffff0000, v9
	s_delay_alu instid0(VALU_DEP_2)
	v_add_f32_e32 v11, v13, v11
	scratch_load_b32 v13, off, s32 offset:476 ; 4-byte Folded Reload
	v_add_f32_e32 v5, v10, v11
	s_clause 0x1
	scratch_load_b32 v10, off, s32 offset:636
	scratch_load_b32 v11, off, s32 offset:552
	v_add_f32_e32 v5, v5, v8
	scratch_load_b32 v8, off, s32 offset:548 ; 4-byte Folded Reload
	s_waitcnt vmcnt(3)
	v_and_b32_e32 v13, 0xffff0000, v13
	s_waitcnt vmcnt(2)
	v_and_b32_e32 v10, 0xffff0000, v10
	;; [unrolled: 2-line block ×3, first 2 shown]
	s_delay_alu instid0(VALU_DEP_2)
	v_add_f32_e32 v9, v9, v10
	scratch_load_b32 v10, off, s32 offset:544 ; 4-byte Folded Reload
	s_waitcnt vmcnt(1)
	v_and_b32_e32 v8, 0xffff0000, v8
	v_add_f32_e32 v4, v4, v9
	scratch_load_b32 v9, off, s32 offset:520 ; 4-byte Folded Reload
	s_waitcnt vmcnt(1)
	v_dual_add_f32 v51, v51, v4 :: v_dual_and_b32 v10, 0xffff0000, v10
	s_delay_alu instid0(VALU_DEP_1)
	v_add_f32_e32 v8, v10, v8
	scratch_load_b32 v10, off, s32 offset:556 ; 4-byte Folded Reload
	s_waitcnt vmcnt(1)
	v_and_b32_e32 v9, 0xffff0000, v9
	s_waitcnt vmcnt(0)
	v_and_b32_e32 v10, 0xffff0000, v10
	s_delay_alu instid0(VALU_DEP_1)
	v_add_f32_e32 v10, v11, v10
	scratch_load_b32 v11, off, s32 offset:596 ; 4-byte Folded Reload
	v_add_f32_e32 v8, v8, v10
	scratch_load_b32 v10, off, s32 offset:568 ; 4-byte Folded Reload
	s_waitcnt vmcnt(1)
	v_and_b32_e32 v11, 0xffff0000, v11
	s_delay_alu instid0(VALU_DEP_1) | instskip(SKIP_3) | instid1(VALU_DEP_1)
	v_add_f32_e32 v11, v11, v12
	scratch_load_b32 v12, off, s32 offset:560 ; 4-byte Folded Reload
	s_waitcnt vmcnt(1)
	v_dual_add_f32 v5, v5, v11 :: v_dual_and_b32 v10, 0xffff0000, v10
	v_add_f32_e32 v52, v52, v5
	s_waitcnt vmcnt(0)
	v_and_b32_e32 v12, 0xffff0000, v12
	s_delay_alu instid0(VALU_DEP_1)
	v_add_f32_e32 v10, v12, v10
	scratch_load_b32 v12, off, s32 offset:488 ; 4-byte Folded Reload
	v_add_f32_e32 v6, v8, v10
	scratch_load_b32 v8, off, s32 offset:512 ; 4-byte Folded Reload
	v_and_b32_e32 v7, 0xffff0000, v7
	scratch_load_b32 v10, off, s32 offset:572 ; 4-byte Folded Reload
	s_waitcnt vmcnt(1)
	v_and_b32_e32 v8, 0xffff0000, v8
	s_waitcnt vmcnt(0)
	s_delay_alu instid0(VALU_DEP_1) | instskip(SKIP_3) | instid1(VALU_DEP_1)
	v_dual_add_f32 v7, v8, v7 :: v_dual_and_b32 v10, 0xffff0000, v10
	scratch_load_b32 v8, off, s32 offset:524 ; 4-byte Folded Reload
	s_waitcnt vmcnt(0)
	v_and_b32_e32 v8, 0xffff0000, v8
	v_add_f32_e32 v8, v9, v8
	scratch_load_b32 v9, off, s32 offset:564 ; 4-byte Folded Reload
	v_add_f32_e32 v7, v7, v8
	scratch_load_b32 v8, off, s32 offset:540 ; 4-byte Folded Reload
	s_waitcnt vmcnt(1)
	v_and_b32_e32 v9, 0xffff0000, v9
	s_delay_alu instid0(VALU_DEP_1)
	v_add_f32_e32 v9, v9, v10
	scratch_load_b32 v10, off, s32 offset:532 ; 4-byte Folded Reload
	s_waitcnt vmcnt(1)
	v_and_b32_e32 v8, 0xffff0000, v8
	v_add_f32_e32 v4, v6, v9
	s_waitcnt vmcnt(0)
	s_delay_alu instid0(VALU_DEP_1) | instskip(NEXT) | instid1(VALU_DEP_1)
	v_dual_add_f32 v53, v53, v4 :: v_dual_and_b32 v10, 0xffff0000, v10
	v_add_f32_e32 v8, v10, v8
	scratch_load_b32 v10, off, s32 offset:484 ; 4-byte Folded Reload
	v_add_f32_e32 v5, v7, v8
	s_clause 0x2
	scratch_load_b32 v8, off, s32 offset:496
	scratch_load_b32 v11, off, s32 offset:480
	;; [unrolled: 1-line block ×3, first 2 shown]
	v_and_b32_e32 v12, 0xffff0000, v12
	s_waitcnt vmcnt(3)
	v_and_b32_e32 v10, 0xffff0000, v10
	s_waitcnt vmcnt(2)
	;; [unrolled: 2-line block ×4, first 2 shown]
	s_delay_alu instid0(VALU_DEP_1)
	v_dual_add_f32 v10, v11, v10 :: v_dual_and_b32 v7, 0xffff0000, v7
	scratch_load_b32 v11, off, s32 offset:492 ; 4-byte Folded Reload
	v_add_f32_e32 v7, v8, v7
	scratch_load_b32 v8, off, s32 offset:452 ; 4-byte Folded Reload
	s_waitcnt vmcnt(1)
	v_and_b32_e32 v11, 0xffff0000, v11
	s_delay_alu instid0(VALU_DEP_1)
	v_add_f32_e32 v11, v12, v11
	scratch_load_b32 v12, off, s32 offset:424 ; 4-byte Folded Reload
	v_add_f32_e32 v6, v10, v11
	s_clause 0x2
	scratch_load_b32 v10, off, s32 offset:456
	scratch_load_b32 v11, off, s32 offset:536
	;; [unrolled: 1-line block ×3, first 2 shown]
	s_waitcnt vmcnt(4)
	v_and_b32_e32 v8, 0xffff0000, v8
	v_add_f32_e32 v6, v6, v7
	s_waitcnt vmcnt(2)
	v_and_b32_e32 v10, 0xffff0000, v10
	s_waitcnt vmcnt(1)
	v_and_b32_e32 v11, 0xffff0000, v11
	;; [unrolled: 2-line block ×3, first 2 shown]
	s_delay_alu instid0(VALU_DEP_1) | instskip(SKIP_3) | instid1(VALU_DEP_1)
	v_add_f32_e32 v8, v9, v8
	scratch_load_b32 v9, off, s32 offset:460 ; 4-byte Folded Reload
	s_waitcnt vmcnt(0)
	v_and_b32_e32 v9, 0xffff0000, v9
	v_add_f32_e32 v9, v10, v9
	scratch_load_b32 v10, off, s32 offset:528 ; 4-byte Folded Reload
	v_add_f32_e32 v7, v8, v9
	scratch_load_b32 v8, off, s32 offset:472 ; 4-byte Folded Reload
	s_waitcnt vmcnt(1)
	v_and_b32_e32 v10, 0xffff0000, v10
	s_delay_alu instid0(VALU_DEP_1)
	v_add_f32_e32 v10, v10, v11
	s_clause 0x1
	scratch_load_b32 v11, off, s32 offset:508
	scratch_load_b32 v9, off, s32 offset:464
	s_waitcnt vmcnt(2)
	v_and_b32_e32 v8, 0xffff0000, v8
	v_add_f32_e32 v4, v5, v10
	scratch_load_b32 v10, off, s32 offset:384 ; 4-byte Folded Reload
	s_waitcnt vmcnt(2)
	v_dual_add_f32 v54, v54, v4 :: v_dual_and_b32 v11, 0xffff0000, v11
	s_waitcnt vmcnt(1)
	v_and_b32_e32 v9, 0xffff0000, v9
	s_delay_alu instid0(VALU_DEP_1)
	v_add_f32_e32 v8, v9, v8
	scratch_load_b32 v9, off, s32 offset:500 ; 4-byte Folded Reload
	v_add_f32_e32 v7, v7, v8
	scratch_load_b32 v8, off, s32 offset:420 ; 4-byte Folded Reload
	s_waitcnt vmcnt(1)
	v_and_b32_e32 v9, 0xffff0000, v9
	s_delay_alu instid0(VALU_DEP_1) | instskip(NEXT) | instid1(VALU_DEP_1)
	v_add_f32_e32 v9, v9, v11
	v_add_f32_e32 v5, v6, v9
	s_clause 0x1
	scratch_load_b32 v9, off, s32 offset:444
	scratch_load_b32 v11, off, s32 offset:416
	s_waitcnt vmcnt(2)
	v_and_b32_e32 v8, 0xffff0000, v8
	v_dual_add_f32 v55, v55, v5 :: v_dual_and_b32 v12, 0xffff0000, v12
	s_waitcnt vmcnt(1)
	v_and_b32_e32 v9, 0xffff0000, v9
	s_waitcnt vmcnt(0)
	v_and_b32_e32 v11, 0xffff0000, v11
	s_delay_alu instid0(VALU_DEP_1) | instskip(SKIP_3) | instid1(VALU_DEP_1)
	v_add_f32_e32 v8, v11, v8
	scratch_load_b32 v11, off, s32 offset:428 ; 4-byte Folded Reload
	s_waitcnt vmcnt(0)
	v_and_b32_e32 v11, 0xffff0000, v11
	v_add_f32_e32 v11, v12, v11
	scratch_load_b32 v12, off, s32 offset:468 ; 4-byte Folded Reload
	v_add_f32_e32 v8, v8, v11
	scratch_load_b32 v11, off, s32 offset:436 ; 4-byte Folded Reload
	s_waitcnt vmcnt(1)
	v_and_b32_e32 v12, 0xffff0000, v12
	s_delay_alu instid0(VALU_DEP_1) | instskip(SKIP_3) | instid1(VALU_DEP_1)
	v_add_f32_e32 v12, v12, v13
	scratch_load_b32 v13, off, s32 offset:432 ; 4-byte Folded Reload
	s_waitcnt vmcnt(1)
	v_dual_add_f32 v6, v7, v12 :: v_dual_and_b32 v11, 0xffff0000, v11
	v_add_f32_e32 v64, v64, v6
	scratch_load_b32 v6, off, s32 offset:356 ; 4-byte Folded Reload
	s_waitcnt vmcnt(1)
	v_and_b32_e32 v13, 0xffff0000, v13
	s_delay_alu instid0(VALU_DEP_1) | instskip(NEXT) | instid1(VALU_DEP_1)
	v_add_f32_e32 v11, v13, v11
	v_add_f32_e32 v7, v8, v11
	s_clause 0x1
	scratch_load_b32 v8, off, s32 offset:440
	scratch_load_b32 v11, off, s32 offset:392
	s_waitcnt vmcnt(1)
	v_and_b32_e32 v8, 0xffff0000, v8
	s_delay_alu instid0(VALU_DEP_1)
	v_add_f32_e32 v8, v8, v9
	scratch_load_b32 v9, off, s32 offset:388 ; 4-byte Folded Reload
	v_add_f32_e32 v4, v7, v8
	s_clause 0x1
	scratch_load_b32 v8, off, s32 offset:360
	scratch_load_b32 v7, off, s32 offset:352
	v_and_b32_e32 v6, 0xffff0000, v6
	v_dual_add_f32 v65, v65, v4 :: v_dual_and_b32 v10, 0xffff0000, v10
	s_waitcnt vmcnt(1)
	v_and_b32_e32 v8, 0xffff0000, v8
	s_waitcnt vmcnt(0)
	v_and_b32_e32 v7, 0xffff0000, v7
	s_delay_alu instid0(VALU_DEP_1) | instskip(SKIP_2) | instid1(VALU_DEP_1)
	v_add_f32_e32 v6, v7, v6
	scratch_load_b32 v7, off, s32 offset:364 ; 4-byte Folded Reload
	v_and_b32_e32 v9, 0xffff0000, v9
	v_add_f32_e32 v9, v10, v9
	scratch_load_b32 v10, off, s32 offset:400 ; 4-byte Folded Reload
	s_waitcnt vmcnt(1)
	v_and_b32_e32 v7, 0xffff0000, v7
	s_delay_alu instid0(VALU_DEP_1)
	v_add_f32_e32 v7, v8, v7
	scratch_load_b32 v8, off, s32 offset:404 ; 4-byte Folded Reload
	s_waitcnt vmcnt(1)
	v_and_b32_e32 v10, 0xffff0000, v10
	v_add_f32_e32 v4, v6, v7
	s_clause 0x1
	scratch_load_b32 v6, off, s32 offset:380
	scratch_load_b32 v7, off, s32 offset:372
	v_and_b32_e32 v11, 0xffff0000, v11
	s_delay_alu instid0(VALU_DEP_1) | instskip(NEXT) | instid1(VALU_DEP_1)
	v_add_f32_e32 v10, v11, v10
	v_add_f32_e32 v5, v9, v10
	scratch_load_b32 v9, off, s32 offset:396 ; 4-byte Folded Reload
	s_waitcnt vmcnt(3)
	v_and_b32_e32 v8, 0xffff0000, v8
	s_waitcnt vmcnt(2)
	v_and_b32_e32 v6, 0xffff0000, v6
	;; [unrolled: 2-line block ×3, first 2 shown]
	s_delay_alu instid0(VALU_DEP_1)
	v_add_f32_e32 v6, v7, v6
	scratch_load_b32 v7, off, s32 offset:408 ; 4-byte Folded Reload
	v_add_f32_e32 v4, v4, v6
	scratch_load_b32 v6, off, s32 offset:324 ; 4-byte Folded Reload
	s_waitcnt vmcnt(2)
	v_and_b32_e32 v9, 0xffff0000, v9
	s_delay_alu instid0(VALU_DEP_1) | instskip(NEXT) | instid1(VALU_DEP_1)
	v_add_f32_e32 v8, v9, v8
	v_add_f32_e32 v5, v5, v8
	s_clause 0x1
	scratch_load_b32 v8, off, s32 offset:412
	scratch_load_b32 v9, off, s32 offset:328
	s_waitcnt vmcnt(3)
	v_and_b32_e32 v7, 0xffff0000, v7
	s_waitcnt vmcnt(1)
	v_and_b32_e32 v8, 0xffff0000, v8
	s_waitcnt vmcnt(0)
	v_and_b32_e32 v9, 0xffff0000, v9
	s_delay_alu instid0(VALU_DEP_2) | instskip(SKIP_4) | instid1(VALU_DEP_1)
	v_add_f32_e32 v7, v7, v8
	scratch_load_b32 v8, off, s32 offset:320 ; 4-byte Folded Reload
	v_and_b32_e32 v6, 0xffff0000, v6
	s_waitcnt vmcnt(0)
	v_and_b32_e32 v8, 0xffff0000, v8
	v_add_f32_e32 v6, v8, v6
	scratch_load_b32 v8, off, s32 offset:332 ; 4-byte Folded Reload
	s_waitcnt vmcnt(0)
	v_and_b32_e32 v8, 0xffff0000, v8
	s_delay_alu instid0(VALU_DEP_1) | instskip(SKIP_1) | instid1(VALU_DEP_2)
	v_add_f32_e32 v8, v9, v8
	v_and_b32_e32 v9, 0xffff0000, v176
	v_add_f32_e32 v6, v6, v8
	s_delay_alu instid0(VALU_DEP_2) | instskip(SKIP_3) | instid1(VALU_DEP_1)
	v_add_f32_e32 v0, v0, v9
	v_and_b32_e32 v9, 0xffff0000, v41
	scratch_load_b32 v8, off, s32 offset:340 ; 4-byte Folded Reload
	v_add_f32_e32 v1, v1, v9
	v_dual_add_f32 v0, v0, v1 :: v_dual_and_b32 v1, 0xffff0000, v42
	s_delay_alu instid0(VALU_DEP_1)
	v_add_f32_e32 v1, v2, v1
	s_clause 0x1
	scratch_load_b32 v2, off, s32 offset:368
	scratch_load_b32 v9, off, s32 offset:336
	v_dual_add_f32 v0, v0, v1 :: v_dual_and_b32 v1, 0xffff0000, v3
	v_and_b32_e32 v3, 0xffff0000, v43
	s_delay_alu instid0(VALU_DEP_1) | instskip(NEXT) | instid1(VALU_DEP_1)
	v_add_f32_e32 v1, v1, v3
	v_add_f32_e32 v0, v0, v1
	s_delay_alu instid0(VALU_DEP_1)
	v_add_f32_e32 v17, v17, v0
	s_waitcnt vmcnt(2)
	v_and_b32_e32 v8, 0xffff0000, v8
	s_waitcnt vmcnt(1)
	v_and_b32_e32 v2, 0xffff0000, v2
	s_waitcnt vmcnt(0)
	v_and_b32_e32 v9, 0xffff0000, v9
	s_delay_alu instid0(VALU_DEP_1)
	v_add_f32_e32 v8, v9, v8
	scratch_load_b32 v9, off, s32 offset:376 ; 4-byte Folded Reload
	v_add_f32_e32 v6, v6, v8
	scratch_load_b32 v8, off, s32 offset:344 ; 4-byte Folded Reload
	s_waitcnt vmcnt(1)
	v_and_b32_e32 v9, 0xffff0000, v9
	s_delay_alu instid0(VALU_DEP_1) | instskip(SKIP_4) | instid1(VALU_DEP_1)
	v_add_f32_e32 v2, v2, v9
	scratch_load_b32 v9, off, s32 offset:348 ; 4-byte Folded Reload
	s_waitcnt vmcnt(1)
	v_and_b32_e32 v8, 0xffff0000, v8
	v_add_f32_e32 v2, v4, v2
	v_dual_add_f32 v68, v68, v2 :: v_dual_add_f32 v3, v5, v7
	s_delay_alu instid0(VALU_DEP_1) | instskip(SKIP_2) | instid1(VALU_DEP_1)
	v_add_f32_e32 v67, v67, v3
	s_waitcnt vmcnt(0)
	v_and_b32_e32 v9, 0xffff0000, v9
	v_add_f32_e32 v8, v8, v9
	s_delay_alu instid0(VALU_DEP_1) | instskip(NEXT) | instid1(VALU_DEP_1)
	v_add_f32_e32 v4, v6, v8
	v_add_f32_e32 v66, v66, v4
	s_and_not1_b32 exec_lo, exec_lo, s4
	s_cbranch_execz .LBB205_1151
.LBB205_31:                             ; =>This Inner Loop Header: Depth=1
	scratch_load_b32 v2, off, s32 offset:784 ; 4-byte Folded Reload
	v_ashrrev_i32_e32 v21, 31, v20
	s_mov_b32 s1, exec_lo
                                        ; implicit-def: $vgpr13
	s_delay_alu instid0(VALU_DEP_1) | instskip(SKIP_1) | instid1(VALU_DEP_1)
	v_lshlrev_b64 v[0:1], 2, v[20:21]
	s_waitcnt vmcnt(0)
	v_add_co_u32 v0, vcc_lo, v2, v0
	scratch_load_b32 v2, off, s32 offset:788 ; 4-byte Folded Reload
	s_waitcnt vmcnt(0)
	v_add_co_ci_u32_e32 v1, vcc_lo, v2, v1, vcc_lo
	flat_load_b32 v14, v[0:1]
	scratch_load_b32 v0, off, s32 offset:792 ; 4-byte Folded Reload
	s_waitcnt vmcnt(0)
	v_lshl_or_b32 v176, v20, 5, v0
	s_delay_alu instid0(VALU_DEP_1) | instskip(SKIP_4) | instid1(VALU_DEP_1)
	v_lshl_add_u32 v0, v176, 2, s8
	ds_load_2addr_b64 v[6:9], v0 offset1:1
	ds_load_2addr_b64 v[0:3], v0 offset0:2 offset1:3
	s_waitcnt lgkmcnt(1)
	v_and_b32_e32 v4, 0x7f800000, v6
	v_cmpx_ne_u32_e32 0x7f800000, v4
	s_xor_b32 s1, exec_lo, s1
; %bb.32:                               ;   in Loop: Header=BB205_31 Depth=1
	v_bfe_u32 v4, v6, 16, 1
	s_delay_alu instid0(VALU_DEP_1)
	v_add3_u32 v13, v6, v4, 0x7fff
; %bb.33:                               ;   in Loop: Header=BB205_31 Depth=1
	s_or_saveexec_b32 s1, s1
	scratch_load_b32 v15, off, s32 offset:776 ; 4-byte Folded Reload
	s_xor_b32 exec_lo, exec_lo, s1
; %bb.34:                               ;   in Loop: Header=BB205_31 Depth=1
	v_and_b32_e32 v4, 0xffff, v6
	v_or_b32_e32 v5, 0x10000, v6
	s_delay_alu instid0(VALU_DEP_2) | instskip(NEXT) | instid1(VALU_DEP_2)
	v_cmp_eq_u32_e32 vcc_lo, 0, v4
	v_cndmask_b32_e32 v13, v5, v6, vcc_lo
; %bb.35:                               ;   in Loop: Header=BB205_31 Depth=1
	s_or_b32 exec_lo, exec_lo, s1
	v_and_b32_e32 v4, 0x7f800000, v7
	s_mov_b32 s1, exec_lo
                                        ; implicit-def: $vgpr12
	s_delay_alu instid0(VALU_DEP_1)
	v_cmpx_ne_u32_e32 0x7f800000, v4
	s_xor_b32 s1, exec_lo, s1
; %bb.36:                               ;   in Loop: Header=BB205_31 Depth=1
	v_bfe_u32 v4, v7, 16, 1
	s_delay_alu instid0(VALU_DEP_1)
	v_add3_u32 v12, v7, v4, 0x7fff
; %bb.37:                               ;   in Loop: Header=BB205_31 Depth=1
	s_and_not1_saveexec_b32 s1, s1
; %bb.38:                               ;   in Loop: Header=BB205_31 Depth=1
	v_and_b32_e32 v4, 0xffff, v7
	v_or_b32_e32 v5, 0x10000, v7
	s_delay_alu instid0(VALU_DEP_2) | instskip(NEXT) | instid1(VALU_DEP_2)
	v_cmp_eq_u32_e32 vcc_lo, 0, v4
	v_cndmask_b32_e32 v12, v5, v7, vcc_lo
; %bb.39:                               ;   in Loop: Header=BB205_31 Depth=1
	s_or_b32 exec_lo, exec_lo, s1
	v_and_b32_e32 v4, 0x7f800000, v8
	s_mov_b32 s1, exec_lo
                                        ; implicit-def: $vgpr11
	s_delay_alu instid0(VALU_DEP_1)
	v_cmpx_ne_u32_e32 0x7f800000, v4
	s_xor_b32 s1, exec_lo, s1
; %bb.40:                               ;   in Loop: Header=BB205_31 Depth=1
	v_bfe_u32 v4, v8, 16, 1
	s_delay_alu instid0(VALU_DEP_1)
	v_add3_u32 v11, v8, v4, 0x7fff
; %bb.41:                               ;   in Loop: Header=BB205_31 Depth=1
	s_and_not1_saveexec_b32 s1, s1
; %bb.42:                               ;   in Loop: Header=BB205_31 Depth=1
	v_and_b32_e32 v4, 0xffff, v8
	v_or_b32_e32 v5, 0x10000, v8
	s_delay_alu instid0(VALU_DEP_2) | instskip(NEXT) | instid1(VALU_DEP_2)
	v_cmp_eq_u32_e32 vcc_lo, 0, v4
	v_cndmask_b32_e32 v11, v5, v8, vcc_lo
; %bb.43:                               ;   in Loop: Header=BB205_31 Depth=1
	s_or_b32 exec_lo, exec_lo, s1
	v_and_b32_e32 v4, 0x7f800000, v9
	s_mov_b32 s1, exec_lo
                                        ; implicit-def: $vgpr10
	s_delay_alu instid0(VALU_DEP_1)
	v_cmpx_ne_u32_e32 0x7f800000, v4
	s_xor_b32 s1, exec_lo, s1
; %bb.44:                               ;   in Loop: Header=BB205_31 Depth=1
	v_bfe_u32 v4, v9, 16, 1
	s_delay_alu instid0(VALU_DEP_1)
	v_add3_u32 v10, v9, v4, 0x7fff
                                        ; implicit-def: $vgpr6_vgpr7_vgpr8_vgpr9
; %bb.45:                               ;   in Loop: Header=BB205_31 Depth=1
	s_and_not1_saveexec_b32 s1, s1
; %bb.46:                               ;   in Loop: Header=BB205_31 Depth=1
	v_and_b32_e32 v4, 0xffff, v9
	v_or_b32_e32 v5, 0x10000, v9
	s_delay_alu instid0(VALU_DEP_2) | instskip(NEXT) | instid1(VALU_DEP_2)
	v_cmp_eq_u32_e32 vcc_lo, 0, v4
	v_cndmask_b32_e32 v10, v5, v9, vcc_lo
; %bb.47:                               ;   in Loop: Header=BB205_31 Depth=1
	s_or_b32 exec_lo, exec_lo, s1
	s_waitcnt lgkmcnt(0)
	v_and_b32_e32 v4, 0x7f800000, v0
	s_mov_b32 s1, exec_lo
                                        ; implicit-def: $vgpr9
	s_delay_alu instid0(VALU_DEP_1)
	v_cmpx_ne_u32_e32 0x7f800000, v4
	s_xor_b32 s1, exec_lo, s1
; %bb.48:                               ;   in Loop: Header=BB205_31 Depth=1
	v_bfe_u32 v4, v0, 16, 1
	s_delay_alu instid0(VALU_DEP_1)
	v_add3_u32 v9, v0, v4, 0x7fff
; %bb.49:                               ;   in Loop: Header=BB205_31 Depth=1
	s_and_not1_saveexec_b32 s1, s1
; %bb.50:                               ;   in Loop: Header=BB205_31 Depth=1
	v_and_b32_e32 v4, 0xffff, v0
	v_or_b32_e32 v5, 0x10000, v0
	s_delay_alu instid0(VALU_DEP_2) | instskip(NEXT) | instid1(VALU_DEP_2)
	v_cmp_eq_u32_e32 vcc_lo, 0, v4
	v_cndmask_b32_e32 v9, v5, v0, vcc_lo
; %bb.51:                               ;   in Loop: Header=BB205_31 Depth=1
	s_or_b32 exec_lo, exec_lo, s1
	v_and_b32_e32 v0, 0x7f800000, v1
	s_mov_b32 s1, exec_lo
                                        ; implicit-def: $vgpr8
	s_delay_alu instid0(VALU_DEP_1)
	v_cmpx_ne_u32_e32 0x7f800000, v0
	s_xor_b32 s1, exec_lo, s1
; %bb.52:                               ;   in Loop: Header=BB205_31 Depth=1
	v_bfe_u32 v0, v1, 16, 1
	s_delay_alu instid0(VALU_DEP_1)
	v_add3_u32 v8, v1, v0, 0x7fff
; %bb.53:                               ;   in Loop: Header=BB205_31 Depth=1
	s_and_not1_saveexec_b32 s1, s1
; %bb.54:                               ;   in Loop: Header=BB205_31 Depth=1
	v_and_b32_e32 v0, 0xffff, v1
	v_or_b32_e32 v4, 0x10000, v1
	s_delay_alu instid0(VALU_DEP_2) | instskip(NEXT) | instid1(VALU_DEP_2)
	v_cmp_eq_u32_e32 vcc_lo, 0, v0
	v_cndmask_b32_e32 v8, v4, v1, vcc_lo
; %bb.55:                               ;   in Loop: Header=BB205_31 Depth=1
	s_or_b32 exec_lo, exec_lo, s1
	v_and_b32_e32 v0, 0x7f800000, v2
	s_mov_b32 s1, exec_lo
                                        ; implicit-def: $vgpr5
	s_delay_alu instid0(VALU_DEP_1)
	v_cmpx_ne_u32_e32 0x7f800000, v0
	s_xor_b32 s1, exec_lo, s1
; %bb.56:                               ;   in Loop: Header=BB205_31 Depth=1
	v_bfe_u32 v0, v2, 16, 1
	s_delay_alu instid0(VALU_DEP_1)
	v_add3_u32 v5, v2, v0, 0x7fff
; %bb.57:                               ;   in Loop: Header=BB205_31 Depth=1
	s_and_not1_saveexec_b32 s1, s1
; %bb.58:                               ;   in Loop: Header=BB205_31 Depth=1
	v_and_b32_e32 v0, 0xffff, v2
	v_or_b32_e32 v1, 0x10000, v2
	s_delay_alu instid0(VALU_DEP_2) | instskip(NEXT) | instid1(VALU_DEP_2)
	v_cmp_eq_u32_e32 vcc_lo, 0, v0
	v_cndmask_b32_e32 v5, v1, v2, vcc_lo
; %bb.59:                               ;   in Loop: Header=BB205_31 Depth=1
	s_or_b32 exec_lo, exec_lo, s1
	v_and_b32_e32 v0, 0x7f800000, v3
	s_mov_b32 s1, exec_lo
                                        ; implicit-def: $vgpr4
	s_delay_alu instid0(VALU_DEP_1)
	v_cmpx_ne_u32_e32 0x7f800000, v0
	s_xor_b32 s1, exec_lo, s1
; %bb.60:                               ;   in Loop: Header=BB205_31 Depth=1
	v_bfe_u32 v0, v3, 16, 1
	s_delay_alu instid0(VALU_DEP_1)
	v_add3_u32 v4, v3, v0, 0x7fff
                                        ; implicit-def: $vgpr0_vgpr1_vgpr2_vgpr3
; %bb.61:                               ;   in Loop: Header=BB205_31 Depth=1
	s_and_not1_saveexec_b32 s1, s1
; %bb.62:                               ;   in Loop: Header=BB205_31 Depth=1
	v_and_b32_e32 v0, 0xffff, v3
	v_or_b32_e32 v1, 0x10000, v3
	s_delay_alu instid0(VALU_DEP_2) | instskip(NEXT) | instid1(VALU_DEP_2)
	v_cmp_eq_u32_e32 vcc_lo, 0, v0
	v_cndmask_b32_e32 v4, v1, v3, vcc_lo
; %bb.63:                               ;   in Loop: Header=BB205_31 Depth=1
	s_or_b32 exec_lo, exec_lo, s1
	scratch_load_b32 v2, off, s32 offset:796 ; 4-byte Folded Reload
	s_waitcnt vmcnt(1)
	v_mad_i64_i32 v[0:1], null, v14, v15, 0
	v_or_b32_e32 v47, 1, v176
	v_or_b32_e32 v46, 2, v176
	;; [unrolled: 1-line block ×6, first 2 shown]
	v_lshlrev_b64 v[0:1], 1, v[0:1]
	v_or_b32_e32 v43, 7, v176
	s_waitcnt vmcnt(0)
	s_delay_alu instid0(VALU_DEP_2)
	v_add_co_u32 v56, vcc_lo, v2, v0
	scratch_load_b32 v0, off, s32 offset:800 ; 4-byte Folded Reload
	s_waitcnt vmcnt(0)
	v_add_co_ci_u32_e32 v57, vcc_lo, v0, v1, vcc_lo
	scratch_load_b32 v0, off, s32 offset:808 ; 4-byte Folded Reload
	s_waitcnt vmcnt(0)
	v_add_co_u32 v6, vcc_lo, v56, v0
	v_add_co_ci_u32_e32 v7, vcc_lo, 0, v57, vcc_lo
	flat_load_b128 v[0:3], v[6:7]
	scratch_load_b32 v14, off, s32 offset:804 ; 4-byte Folded Reload
	s_waitcnt vmcnt(1) lgkmcnt(0)
	v_lshrrev_b32_e32 v21, 16, v0
	s_waitcnt vmcnt(0)
	v_cmp_eq_u32_e32 vcc_lo, v20, v14
	v_lshrrev_b32_e32 v16, 16, v1
	v_lshrrev_b32_e32 v15, 16, v2
	v_lshrrev_b32_e32 v14, 16, v3
	s_and_saveexec_b32 s9, vcc_lo
	s_cbranch_execz .LBB205_65
; %bb.64:                               ;   in Loop: Header=BB205_31 Depth=1
	v_cmp_lt_i32_e64 s1, v176, v113
	s_delay_alu instid0(VALU_DEP_1) | instskip(SKIP_1) | instid1(VALU_DEP_1)
	v_cndmask_b32_e64 v0, 0, v0, s1
	v_cmp_lt_i32_e64 s1, v47, v113
	v_cndmask_b32_e64 v21, 0, v21, s1
	v_cmp_lt_i32_e64 s1, v46, v113
	s_delay_alu instid0(VALU_DEP_1) | instskip(SKIP_1) | instid1(VALU_DEP_1)
	v_cndmask_b32_e64 v1, 0, v1, s1
	v_cmp_lt_i32_e64 s1, v45, v113
	v_cndmask_b32_e64 v16, 0, v16, s1
	;; [unrolled: 5-line block ×4, first 2 shown]
.LBB205_65:                             ;   in Loop: Header=BB205_31 Depth=1
	s_or_b32 exec_lo, exec_lo, s9
	v_and_b32_e32 v58, 0xffff0000, v13
	v_lshlrev_b32_e32 v0, 16, v0
	s_delay_alu instid0(VALU_DEP_1) | instskip(NEXT) | instid1(VALU_DEP_1)
	v_mul_f32_e32 v0, v58, v0
	v_and_b32_e32 v13, 0x7f800000, v0
	s_delay_alu instid0(VALU_DEP_1) | instskip(NEXT) | instid1(VALU_DEP_1)
	v_cmp_ne_u32_e64 s1, 0x7f800000, v13
                                        ; implicit-def: $vgpr13
                                        ; kill: killed $vgpr13
	s_and_saveexec_b32 s9, s1
	s_delay_alu instid0(SALU_CYCLE_1)
	s_xor_b32 s1, exec_lo, s9
	s_cbranch_execz .LBB205_67
; %bb.66:                               ;   in Loop: Header=BB205_31 Depth=1
	v_bfe_u32 v13, v0, 16, 1
	s_delay_alu instid0(VALU_DEP_1)
	v_add3_u32 v0, v0, v13, 0x7fff
	scratch_store_b32 off, v0, s32 offset:320 ; 4-byte Folded Spill
                                        ; implicit-def: $vgpr0
.LBB205_67:                             ;   in Loop: Header=BB205_31 Depth=1
	s_and_not1_saveexec_b32 s9, s1
	s_cbranch_execz .LBB205_69
; %bb.68:                               ;   in Loop: Header=BB205_31 Depth=1
	v_and_b32_e32 v13, 0xffff, v0
	v_or_b32_e32 v22, 0x10000, v0
	s_delay_alu instid0(VALU_DEP_2) | instskip(NEXT) | instid1(VALU_DEP_1)
	v_cmp_eq_u32_e64 s1, 0, v13
	v_cndmask_b32_e64 v0, v22, v0, s1
	scratch_store_b32 off, v0, s32 offset:320 ; 4-byte Folded Spill
.LBB205_69:                             ;   in Loop: Header=BB205_31 Depth=1
	s_or_b32 exec_lo, exec_lo, s9
	v_and_b32_e32 v59, 0xffff0000, v12
	v_lshlrev_b32_e32 v0, 16, v21
	s_delay_alu instid0(VALU_DEP_1) | instskip(NEXT) | instid1(VALU_DEP_1)
	v_mul_f32_e32 v0, v59, v0
	v_and_b32_e32 v12, 0x7f800000, v0
	s_delay_alu instid0(VALU_DEP_1) | instskip(NEXT) | instid1(VALU_DEP_1)
	v_cmp_ne_u32_e64 s1, 0x7f800000, v12
                                        ; implicit-def: $vgpr12
                                        ; kill: killed $vgpr12
	s_and_saveexec_b32 s9, s1
	s_delay_alu instid0(SALU_CYCLE_1)
	s_xor_b32 s1, exec_lo, s9
	s_cbranch_execz .LBB205_71
; %bb.70:                               ;   in Loop: Header=BB205_31 Depth=1
	v_bfe_u32 v12, v0, 16, 1
	s_delay_alu instid0(VALU_DEP_1)
	v_add3_u32 v0, v0, v12, 0x7fff
	scratch_store_b32 off, v0, s32 offset:324 ; 4-byte Folded Spill
                                        ; implicit-def: $vgpr0
.LBB205_71:                             ;   in Loop: Header=BB205_31 Depth=1
	s_and_not1_saveexec_b32 s9, s1
	s_cbranch_execz .LBB205_73
; %bb.72:                               ;   in Loop: Header=BB205_31 Depth=1
	v_and_b32_e32 v12, 0xffff, v0
	v_or_b32_e32 v13, 0x10000, v0
	s_delay_alu instid0(VALU_DEP_2) | instskip(NEXT) | instid1(VALU_DEP_1)
	v_cmp_eq_u32_e64 s1, 0, v12
	v_cndmask_b32_e64 v0, v13, v0, s1
	scratch_store_b32 off, v0, s32 offset:324 ; 4-byte Folded Spill
.LBB205_73:                             ;   in Loop: Header=BB205_31 Depth=1
	s_or_b32 exec_lo, exec_lo, s9
	v_and_b32_e32 v60, 0xffff0000, v11
	v_lshlrev_b32_e32 v0, 16, v1
	s_delay_alu instid0(VALU_DEP_1) | instskip(NEXT) | instid1(VALU_DEP_1)
	v_mul_f32_e32 v0, v60, v0
	v_and_b32_e32 v1, 0x7f800000, v0
	s_delay_alu instid0(VALU_DEP_1) | instskip(NEXT) | instid1(VALU_DEP_1)
	v_cmp_ne_u32_e64 s1, 0x7f800000, v1
                                        ; implicit-def: $vgpr1
                                        ; kill: killed $vgpr1
	s_and_saveexec_b32 s9, s1
	s_delay_alu instid0(SALU_CYCLE_1)
	s_xor_b32 s1, exec_lo, s9
	s_cbranch_execz .LBB205_75
; %bb.74:                               ;   in Loop: Header=BB205_31 Depth=1
	v_bfe_u32 v1, v0, 16, 1
	s_delay_alu instid0(VALU_DEP_1)
	v_add3_u32 v0, v0, v1, 0x7fff
	scratch_store_b32 off, v0, s32 offset:328 ; 4-byte Folded Spill
                                        ; implicit-def: $vgpr0
.LBB205_75:                             ;   in Loop: Header=BB205_31 Depth=1
	s_and_not1_saveexec_b32 s9, s1
	s_cbranch_execz .LBB205_77
; %bb.76:                               ;   in Loop: Header=BB205_31 Depth=1
	v_and_b32_e32 v1, 0xffff, v0
	v_or_b32_e32 v11, 0x10000, v0
	s_delay_alu instid0(VALU_DEP_2) | instskip(NEXT) | instid1(VALU_DEP_1)
	v_cmp_eq_u32_e64 s1, 0, v1
	v_cndmask_b32_e64 v0, v11, v0, s1
	scratch_store_b32 off, v0, s32 offset:328 ; 4-byte Folded Spill
.LBB205_77:                             ;   in Loop: Header=BB205_31 Depth=1
	s_or_b32 exec_lo, exec_lo, s9
	v_and_b32_e32 v61, 0xffff0000, v10
	v_lshlrev_b32_e32 v0, 16, v16
	s_delay_alu instid0(VALU_DEP_1) | instskip(NEXT) | instid1(VALU_DEP_1)
	v_mul_f32_e32 v0, v61, v0
	v_and_b32_e32 v1, 0x7f800000, v0
	s_delay_alu instid0(VALU_DEP_1) | instskip(NEXT) | instid1(VALU_DEP_1)
	v_cmp_ne_u32_e64 s1, 0x7f800000, v1
                                        ; implicit-def: $vgpr1
                                        ; kill: killed $vgpr1
	;; [unrolled: 31-line block ×6, first 2 shown]
	s_and_saveexec_b32 s9, s1
	s_delay_alu instid0(SALU_CYCLE_1)
	s_xor_b32 s1, exec_lo, s9
	s_cbranch_execz .LBB205_95
; %bb.94:                               ;   in Loop: Header=BB205_31 Depth=1
	v_bfe_u32 v1, v0, 16, 1
	s_delay_alu instid0(VALU_DEP_1)
	v_add3_u32 v0, v0, v1, 0x7fff
	scratch_store_b32 off, v0, s32 offset:348 ; 4-byte Folded Spill
                                        ; implicit-def: $vgpr0
.LBB205_95:                             ;   in Loop: Header=BB205_31 Depth=1
	s_and_not1_saveexec_b32 s9, s1
	s_cbranch_execz .LBB205_97
; %bb.96:                               ;   in Loop: Header=BB205_31 Depth=1
	v_and_b32_e32 v1, 0xffff, v0
	v_or_b32_e32 v2, 0x10000, v0
	s_delay_alu instid0(VALU_DEP_2) | instskip(NEXT) | instid1(VALU_DEP_1)
	v_cmp_eq_u32_e64 s1, 0, v1
	v_cndmask_b32_e64 v0, v2, v0, s1
	scratch_store_b32 off, v0, s32 offset:348 ; 4-byte Folded Spill
.LBB205_97:                             ;   in Loop: Header=BB205_31 Depth=1
	s_or_b32 exec_lo, exec_lo, s9
	flat_load_b128 v[0:3], v[6:7] offset:512
	s_waitcnt vmcnt(0) lgkmcnt(0)
	v_lshrrev_b32_e32 v9, 16, v0
	v_lshrrev_b32_e32 v8, 16, v1
	;; [unrolled: 1-line block ×4, first 2 shown]
	s_and_saveexec_b32 s9, vcc_lo
	s_cbranch_execz .LBB205_99
; %bb.98:                               ;   in Loop: Header=BB205_31 Depth=1
	v_cmp_lt_i32_e64 s1, v176, v113
	s_delay_alu instid0(VALU_DEP_1) | instskip(SKIP_1) | instid1(VALU_DEP_1)
	v_cndmask_b32_e64 v0, 0, v0, s1
	v_cmp_lt_i32_e64 s1, v47, v113
	v_cndmask_b32_e64 v9, 0, v9, s1
	v_cmp_lt_i32_e64 s1, v46, v113
	s_delay_alu instid0(VALU_DEP_1) | instskip(SKIP_1) | instid1(VALU_DEP_1)
	v_cndmask_b32_e64 v1, 0, v1, s1
	v_cmp_lt_i32_e64 s1, v45, v113
	v_cndmask_b32_e64 v8, 0, v8, s1
	;; [unrolled: 5-line block ×4, first 2 shown]
.LBB205_99:                             ;   in Loop: Header=BB205_31 Depth=1
	s_or_b32 exec_lo, exec_lo, s9
	v_lshlrev_b32_e32 v0, 16, v0
	s_delay_alu instid0(VALU_DEP_1) | instskip(NEXT) | instid1(VALU_DEP_1)
	v_mul_f32_e32 v0, v58, v0
	v_and_b32_e32 v10, 0x7f800000, v0
	s_delay_alu instid0(VALU_DEP_1) | instskip(NEXT) | instid1(VALU_DEP_1)
	v_cmp_ne_u32_e64 s1, 0x7f800000, v10
                                        ; implicit-def: $vgpr10
                                        ; kill: killed $vgpr10
	s_and_saveexec_b32 s9, s1
	s_delay_alu instid0(SALU_CYCLE_1)
	s_xor_b32 s1, exec_lo, s9
	s_cbranch_execz .LBB205_101
; %bb.100:                              ;   in Loop: Header=BB205_31 Depth=1
	v_bfe_u32 v10, v0, 16, 1
	s_delay_alu instid0(VALU_DEP_1)
	v_add3_u32 v0, v0, v10, 0x7fff
	scratch_store_b32 off, v0, s32 offset:352 ; 4-byte Folded Spill
                                        ; implicit-def: $vgpr0
.LBB205_101:                            ;   in Loop: Header=BB205_31 Depth=1
	s_and_not1_saveexec_b32 s9, s1
	s_cbranch_execz .LBB205_103
; %bb.102:                              ;   in Loop: Header=BB205_31 Depth=1
	v_and_b32_e32 v10, 0xffff, v0
	v_or_b32_e32 v11, 0x10000, v0
	s_delay_alu instid0(VALU_DEP_2) | instskip(NEXT) | instid1(VALU_DEP_1)
	v_cmp_eq_u32_e64 s1, 0, v10
	v_cndmask_b32_e64 v0, v11, v0, s1
	scratch_store_b32 off, v0, s32 offset:352 ; 4-byte Folded Spill
.LBB205_103:                            ;   in Loop: Header=BB205_31 Depth=1
	s_or_b32 exec_lo, exec_lo, s9
	v_lshlrev_b32_e32 v0, 16, v9
	s_delay_alu instid0(VALU_DEP_1) | instskip(NEXT) | instid1(VALU_DEP_1)
	v_mul_f32_e32 v0, v59, v0
	v_and_b32_e32 v9, 0x7f800000, v0
	s_delay_alu instid0(VALU_DEP_1) | instskip(NEXT) | instid1(VALU_DEP_1)
	v_cmp_ne_u32_e64 s1, 0x7f800000, v9
                                        ; implicit-def: $vgpr9
                                        ; kill: killed $vgpr9
	s_and_saveexec_b32 s9, s1
	s_delay_alu instid0(SALU_CYCLE_1)
	s_xor_b32 s1, exec_lo, s9
	s_cbranch_execz .LBB205_105
; %bb.104:                              ;   in Loop: Header=BB205_31 Depth=1
	v_bfe_u32 v9, v0, 16, 1
	s_delay_alu instid0(VALU_DEP_1)
	v_add3_u32 v0, v0, v9, 0x7fff
	scratch_store_b32 off, v0, s32 offset:356 ; 4-byte Folded Spill
                                        ; implicit-def: $vgpr0
.LBB205_105:                            ;   in Loop: Header=BB205_31 Depth=1
	s_and_not1_saveexec_b32 s9, s1
	s_cbranch_execz .LBB205_107
; %bb.106:                              ;   in Loop: Header=BB205_31 Depth=1
	v_and_b32_e32 v9, 0xffff, v0
	v_or_b32_e32 v10, 0x10000, v0
	s_delay_alu instid0(VALU_DEP_2) | instskip(NEXT) | instid1(VALU_DEP_1)
	v_cmp_eq_u32_e64 s1, 0, v9
	v_cndmask_b32_e64 v0, v10, v0, s1
	scratch_store_b32 off, v0, s32 offset:356 ; 4-byte Folded Spill
.LBB205_107:                            ;   in Loop: Header=BB205_31 Depth=1
	s_or_b32 exec_lo, exec_lo, s9
	v_lshlrev_b32_e32 v0, 16, v1
	s_delay_alu instid0(VALU_DEP_1) | instskip(NEXT) | instid1(VALU_DEP_1)
	v_mul_f32_e32 v0, v60, v0
	v_and_b32_e32 v1, 0x7f800000, v0
	s_delay_alu instid0(VALU_DEP_1) | instskip(NEXT) | instid1(VALU_DEP_1)
	v_cmp_ne_u32_e64 s1, 0x7f800000, v1
                                        ; implicit-def: $vgpr1
                                        ; kill: killed $vgpr1
	s_and_saveexec_b32 s9, s1
	s_delay_alu instid0(SALU_CYCLE_1)
	s_xor_b32 s1, exec_lo, s9
	s_cbranch_execz .LBB205_109
; %bb.108:                              ;   in Loop: Header=BB205_31 Depth=1
	v_bfe_u32 v1, v0, 16, 1
	s_delay_alu instid0(VALU_DEP_1)
	v_add3_u32 v0, v0, v1, 0x7fff
	scratch_store_b32 off, v0, s32 offset:360 ; 4-byte Folded Spill
                                        ; implicit-def: $vgpr0
.LBB205_109:                            ;   in Loop: Header=BB205_31 Depth=1
	s_and_not1_saveexec_b32 s9, s1
	s_cbranch_execz .LBB205_111
; %bb.110:                              ;   in Loop: Header=BB205_31 Depth=1
	v_and_b32_e32 v1, 0xffff, v0
	v_or_b32_e32 v9, 0x10000, v0
	s_delay_alu instid0(VALU_DEP_2) | instskip(NEXT) | instid1(VALU_DEP_1)
	v_cmp_eq_u32_e64 s1, 0, v1
	v_cndmask_b32_e64 v0, v9, v0, s1
	scratch_store_b32 off, v0, s32 offset:360 ; 4-byte Folded Spill
.LBB205_111:                            ;   in Loop: Header=BB205_31 Depth=1
	s_or_b32 exec_lo, exec_lo, s9
	v_lshlrev_b32_e32 v0, 16, v8
	s_delay_alu instid0(VALU_DEP_1) | instskip(NEXT) | instid1(VALU_DEP_1)
	v_mul_f32_e32 v0, v61, v0
	v_and_b32_e32 v1, 0x7f800000, v0
	s_delay_alu instid0(VALU_DEP_1) | instskip(NEXT) | instid1(VALU_DEP_1)
	v_cmp_ne_u32_e64 s1, 0x7f800000, v1
                                        ; implicit-def: $vgpr1
                                        ; kill: killed $vgpr1
	s_and_saveexec_b32 s9, s1
	s_delay_alu instid0(SALU_CYCLE_1)
	s_xor_b32 s1, exec_lo, s9
	s_cbranch_execz .LBB205_113
; %bb.112:                              ;   in Loop: Header=BB205_31 Depth=1
	v_bfe_u32 v1, v0, 16, 1
	s_delay_alu instid0(VALU_DEP_1)
	v_add3_u32 v0, v0, v1, 0x7fff
	scratch_store_b32 off, v0, s32 offset:364 ; 4-byte Folded Spill
                                        ; implicit-def: $vgpr0
.LBB205_113:                            ;   in Loop: Header=BB205_31 Depth=1
	s_and_not1_saveexec_b32 s9, s1
	s_cbranch_execz .LBB205_115
; %bb.114:                              ;   in Loop: Header=BB205_31 Depth=1
	v_and_b32_e32 v1, 0xffff, v0
	v_or_b32_e32 v8, 0x10000, v0
	s_delay_alu instid0(VALU_DEP_2) | instskip(NEXT) | instid1(VALU_DEP_1)
	v_cmp_eq_u32_e64 s1, 0, v1
	v_cndmask_b32_e64 v0, v8, v0, s1
	scratch_store_b32 off, v0, s32 offset:364 ; 4-byte Folded Spill
.LBB205_115:                            ;   in Loop: Header=BB205_31 Depth=1
	s_or_b32 exec_lo, exec_lo, s9
	v_lshlrev_b32_e32 v0, 16, v2
	s_delay_alu instid0(VALU_DEP_1) | instskip(NEXT) | instid1(VALU_DEP_1)
	v_mul_f32_e32 v0, v62, v0
	v_and_b32_e32 v1, 0x7f800000, v0
	s_delay_alu instid0(VALU_DEP_1) | instskip(NEXT) | instid1(VALU_DEP_1)
	v_cmp_ne_u32_e64 s1, 0x7f800000, v1
                                        ; implicit-def: $vgpr1
                                        ; kill: killed $vgpr1
	s_and_saveexec_b32 s9, s1
	s_delay_alu instid0(SALU_CYCLE_1)
	s_xor_b32 s1, exec_lo, s9
	s_cbranch_execz .LBB205_117
; %bb.116:                              ;   in Loop: Header=BB205_31 Depth=1
	v_bfe_u32 v1, v0, 16, 1
	s_delay_alu instid0(VALU_DEP_1)
	v_add3_u32 v0, v0, v1, 0x7fff
	scratch_store_b32 off, v0, s32 offset:372 ; 4-byte Folded Spill
                                        ; implicit-def: $vgpr0
.LBB205_117:                            ;   in Loop: Header=BB205_31 Depth=1
	s_and_not1_saveexec_b32 s9, s1
	s_cbranch_execz .LBB205_119
; %bb.118:                              ;   in Loop: Header=BB205_31 Depth=1
	v_and_b32_e32 v1, 0xffff, v0
	v_or_b32_e32 v2, 0x10000, v0
	s_delay_alu instid0(VALU_DEP_2) | instskip(NEXT) | instid1(VALU_DEP_1)
	v_cmp_eq_u32_e64 s1, 0, v1
	v_cndmask_b32_e64 v0, v2, v0, s1
	scratch_store_b32 off, v0, s32 offset:372 ; 4-byte Folded Spill
.LBB205_119:                            ;   in Loop: Header=BB205_31 Depth=1
	s_or_b32 exec_lo, exec_lo, s9
	v_lshlrev_b32_e32 v0, 16, v5
	s_delay_alu instid0(VALU_DEP_1) | instskip(NEXT) | instid1(VALU_DEP_1)
	v_mul_f32_e32 v0, v63, v0
	v_and_b32_e32 v1, 0x7f800000, v0
	s_delay_alu instid0(VALU_DEP_1) | instskip(NEXT) | instid1(VALU_DEP_1)
	v_cmp_ne_u32_e64 s1, 0x7f800000, v1
                                        ; implicit-def: $vgpr1
                                        ; kill: killed $vgpr1
	s_and_saveexec_b32 s9, s1
	s_delay_alu instid0(SALU_CYCLE_1)
	s_xor_b32 s1, exec_lo, s9
	s_cbranch_execz .LBB205_121
; %bb.120:                              ;   in Loop: Header=BB205_31 Depth=1
	v_bfe_u32 v1, v0, 16, 1
	s_delay_alu instid0(VALU_DEP_1)
	v_add3_u32 v0, v0, v1, 0x7fff
	scratch_store_b32 off, v0, s32 offset:380 ; 4-byte Folded Spill
                                        ; implicit-def: $vgpr0
.LBB205_121:                            ;   in Loop: Header=BB205_31 Depth=1
	s_and_not1_saveexec_b32 s9, s1
	s_cbranch_execz .LBB205_123
; %bb.122:                              ;   in Loop: Header=BB205_31 Depth=1
	v_and_b32_e32 v1, 0xffff, v0
	v_or_b32_e32 v2, 0x10000, v0
	s_delay_alu instid0(VALU_DEP_2) | instskip(NEXT) | instid1(VALU_DEP_1)
	v_cmp_eq_u32_e64 s1, 0, v1
	v_cndmask_b32_e64 v0, v2, v0, s1
	scratch_store_b32 off, v0, s32 offset:380 ; 4-byte Folded Spill
.LBB205_123:                            ;   in Loop: Header=BB205_31 Depth=1
	s_or_b32 exec_lo, exec_lo, s9
	v_lshlrev_b32_e32 v0, 16, v3
	s_delay_alu instid0(VALU_DEP_1) | instskip(NEXT) | instid1(VALU_DEP_1)
	v_mul_f32_e32 v0, v72, v0
	v_and_b32_e32 v1, 0x7f800000, v0
	s_delay_alu instid0(VALU_DEP_1) | instskip(NEXT) | instid1(VALU_DEP_1)
	v_cmp_ne_u32_e64 s1, 0x7f800000, v1
                                        ; implicit-def: $vgpr1
                                        ; kill: killed $vgpr1
	s_and_saveexec_b32 s9, s1
	s_delay_alu instid0(SALU_CYCLE_1)
	s_xor_b32 s1, exec_lo, s9
	s_cbranch_execz .LBB205_125
; %bb.124:                              ;   in Loop: Header=BB205_31 Depth=1
	v_bfe_u32 v1, v0, 16, 1
	s_delay_alu instid0(VALU_DEP_1)
	v_add3_u32 v0, v0, v1, 0x7fff
	scratch_store_b32 off, v0, s32 offset:368 ; 4-byte Folded Spill
                                        ; implicit-def: $vgpr0
.LBB205_125:                            ;   in Loop: Header=BB205_31 Depth=1
	s_and_not1_saveexec_b32 s9, s1
	s_cbranch_execz .LBB205_127
; %bb.126:                              ;   in Loop: Header=BB205_31 Depth=1
	v_and_b32_e32 v1, 0xffff, v0
	v_or_b32_e32 v2, 0x10000, v0
	s_delay_alu instid0(VALU_DEP_2) | instskip(NEXT) | instid1(VALU_DEP_1)
	v_cmp_eq_u32_e64 s1, 0, v1
	v_cndmask_b32_e64 v0, v2, v0, s1
	scratch_store_b32 off, v0, s32 offset:368 ; 4-byte Folded Spill
.LBB205_127:                            ;   in Loop: Header=BB205_31 Depth=1
	s_or_b32 exec_lo, exec_lo, s9
	v_lshlrev_b32_e32 v0, 16, v4
	s_delay_alu instid0(VALU_DEP_1) | instskip(NEXT) | instid1(VALU_DEP_1)
	v_mul_f32_e32 v0, v73, v0
	v_and_b32_e32 v1, 0x7f800000, v0
	s_delay_alu instid0(VALU_DEP_1) | instskip(NEXT) | instid1(VALU_DEP_1)
	v_cmp_ne_u32_e64 s1, 0x7f800000, v1
                                        ; implicit-def: $vgpr1
                                        ; kill: killed $vgpr1
	s_and_saveexec_b32 s9, s1
	s_delay_alu instid0(SALU_CYCLE_1)
	s_xor_b32 s1, exec_lo, s9
	s_cbranch_execz .LBB205_129
; %bb.128:                              ;   in Loop: Header=BB205_31 Depth=1
	v_bfe_u32 v1, v0, 16, 1
	s_delay_alu instid0(VALU_DEP_1)
	v_add3_u32 v0, v0, v1, 0x7fff
	scratch_store_b32 off, v0, s32 offset:376 ; 4-byte Folded Spill
                                        ; implicit-def: $vgpr0
.LBB205_129:                            ;   in Loop: Header=BB205_31 Depth=1
	s_and_not1_saveexec_b32 s9, s1
	s_cbranch_execz .LBB205_131
; %bb.130:                              ;   in Loop: Header=BB205_31 Depth=1
	v_and_b32_e32 v1, 0xffff, v0
	v_or_b32_e32 v2, 0x10000, v0
	s_delay_alu instid0(VALU_DEP_2) | instskip(NEXT) | instid1(VALU_DEP_1)
	v_cmp_eq_u32_e64 s1, 0, v1
	v_cndmask_b32_e64 v0, v2, v0, s1
	scratch_store_b32 off, v0, s32 offset:376 ; 4-byte Folded Spill
.LBB205_131:                            ;   in Loop: Header=BB205_31 Depth=1
	s_or_b32 exec_lo, exec_lo, s9
	flat_load_b128 v[0:3], v[6:7] offset:1024
	s_waitcnt vmcnt(0) lgkmcnt(0)
	v_lshrrev_b32_e32 v9, 16, v0
	v_lshrrev_b32_e32 v8, 16, v1
	;; [unrolled: 1-line block ×4, first 2 shown]
	s_and_saveexec_b32 s9, vcc_lo
	s_cbranch_execz .LBB205_133
; %bb.132:                              ;   in Loop: Header=BB205_31 Depth=1
	v_cmp_lt_i32_e64 s1, v176, v113
	s_delay_alu instid0(VALU_DEP_1) | instskip(SKIP_1) | instid1(VALU_DEP_1)
	v_cndmask_b32_e64 v0, 0, v0, s1
	v_cmp_lt_i32_e64 s1, v47, v113
	v_cndmask_b32_e64 v9, 0, v9, s1
	v_cmp_lt_i32_e64 s1, v46, v113
	s_delay_alu instid0(VALU_DEP_1) | instskip(SKIP_1) | instid1(VALU_DEP_1)
	v_cndmask_b32_e64 v1, 0, v1, s1
	v_cmp_lt_i32_e64 s1, v45, v113
	v_cndmask_b32_e64 v8, 0, v8, s1
	;; [unrolled: 5-line block ×4, first 2 shown]
.LBB205_133:                            ;   in Loop: Header=BB205_31 Depth=1
	s_or_b32 exec_lo, exec_lo, s9
	v_lshlrev_b32_e32 v0, 16, v0
	s_delay_alu instid0(VALU_DEP_1) | instskip(NEXT) | instid1(VALU_DEP_1)
	v_mul_f32_e32 v0, v58, v0
	v_and_b32_e32 v10, 0x7f800000, v0
	s_delay_alu instid0(VALU_DEP_1) | instskip(NEXT) | instid1(VALU_DEP_1)
	v_cmp_ne_u32_e64 s1, 0x7f800000, v10
                                        ; implicit-def: $vgpr10
                                        ; kill: killed $vgpr10
	s_and_saveexec_b32 s9, s1
	s_delay_alu instid0(SALU_CYCLE_1)
	s_xor_b32 s1, exec_lo, s9
	s_cbranch_execz .LBB205_135
; %bb.134:                              ;   in Loop: Header=BB205_31 Depth=1
	v_bfe_u32 v10, v0, 16, 1
	s_delay_alu instid0(VALU_DEP_1)
	v_add3_u32 v0, v0, v10, 0x7fff
	scratch_store_b32 off, v0, s32 offset:384 ; 4-byte Folded Spill
                                        ; implicit-def: $vgpr0
.LBB205_135:                            ;   in Loop: Header=BB205_31 Depth=1
	s_and_not1_saveexec_b32 s9, s1
	s_cbranch_execz .LBB205_137
; %bb.136:                              ;   in Loop: Header=BB205_31 Depth=1
	v_and_b32_e32 v10, 0xffff, v0
	v_or_b32_e32 v11, 0x10000, v0
	s_delay_alu instid0(VALU_DEP_2) | instskip(NEXT) | instid1(VALU_DEP_1)
	v_cmp_eq_u32_e64 s1, 0, v10
	v_cndmask_b32_e64 v0, v11, v0, s1
	scratch_store_b32 off, v0, s32 offset:384 ; 4-byte Folded Spill
.LBB205_137:                            ;   in Loop: Header=BB205_31 Depth=1
	s_or_b32 exec_lo, exec_lo, s9
	v_lshlrev_b32_e32 v0, 16, v9
	s_delay_alu instid0(VALU_DEP_1) | instskip(NEXT) | instid1(VALU_DEP_1)
	v_mul_f32_e32 v0, v59, v0
	v_and_b32_e32 v9, 0x7f800000, v0
	s_delay_alu instid0(VALU_DEP_1) | instskip(NEXT) | instid1(VALU_DEP_1)
	v_cmp_ne_u32_e64 s1, 0x7f800000, v9
                                        ; implicit-def: $vgpr9
                                        ; kill: killed $vgpr9
	s_and_saveexec_b32 s9, s1
	s_delay_alu instid0(SALU_CYCLE_1)
	s_xor_b32 s1, exec_lo, s9
	s_cbranch_execz .LBB205_139
; %bb.138:                              ;   in Loop: Header=BB205_31 Depth=1
	v_bfe_u32 v9, v0, 16, 1
	s_delay_alu instid0(VALU_DEP_1)
	v_add3_u32 v0, v0, v9, 0x7fff
	scratch_store_b32 off, v0, s32 offset:388 ; 4-byte Folded Spill
                                        ; implicit-def: $vgpr0
.LBB205_139:                            ;   in Loop: Header=BB205_31 Depth=1
	s_and_not1_saveexec_b32 s9, s1
	s_cbranch_execz .LBB205_141
; %bb.140:                              ;   in Loop: Header=BB205_31 Depth=1
	v_and_b32_e32 v9, 0xffff, v0
	v_or_b32_e32 v10, 0x10000, v0
	s_delay_alu instid0(VALU_DEP_2) | instskip(NEXT) | instid1(VALU_DEP_1)
	v_cmp_eq_u32_e64 s1, 0, v9
	v_cndmask_b32_e64 v0, v10, v0, s1
	scratch_store_b32 off, v0, s32 offset:388 ; 4-byte Folded Spill
.LBB205_141:                            ;   in Loop: Header=BB205_31 Depth=1
	s_or_b32 exec_lo, exec_lo, s9
	v_lshlrev_b32_e32 v0, 16, v1
	s_delay_alu instid0(VALU_DEP_1) | instskip(NEXT) | instid1(VALU_DEP_1)
	v_mul_f32_e32 v0, v60, v0
	v_and_b32_e32 v1, 0x7f800000, v0
	s_delay_alu instid0(VALU_DEP_1) | instskip(NEXT) | instid1(VALU_DEP_1)
	v_cmp_ne_u32_e64 s1, 0x7f800000, v1
                                        ; implicit-def: $vgpr1
                                        ; kill: killed $vgpr1
	s_and_saveexec_b32 s9, s1
	s_delay_alu instid0(SALU_CYCLE_1)
	s_xor_b32 s1, exec_lo, s9
	s_cbranch_execz .LBB205_143
; %bb.142:                              ;   in Loop: Header=BB205_31 Depth=1
	v_bfe_u32 v1, v0, 16, 1
	s_delay_alu instid0(VALU_DEP_1)
	v_add3_u32 v0, v0, v1, 0x7fff
	scratch_store_b32 off, v0, s32 offset:392 ; 4-byte Folded Spill
                                        ; implicit-def: $vgpr0
.LBB205_143:                            ;   in Loop: Header=BB205_31 Depth=1
	s_and_not1_saveexec_b32 s9, s1
	s_cbranch_execz .LBB205_145
; %bb.144:                              ;   in Loop: Header=BB205_31 Depth=1
	v_and_b32_e32 v1, 0xffff, v0
	v_or_b32_e32 v9, 0x10000, v0
	s_delay_alu instid0(VALU_DEP_2) | instskip(NEXT) | instid1(VALU_DEP_1)
	v_cmp_eq_u32_e64 s1, 0, v1
	v_cndmask_b32_e64 v0, v9, v0, s1
	scratch_store_b32 off, v0, s32 offset:392 ; 4-byte Folded Spill
.LBB205_145:                            ;   in Loop: Header=BB205_31 Depth=1
	s_or_b32 exec_lo, exec_lo, s9
	v_lshlrev_b32_e32 v0, 16, v8
	s_delay_alu instid0(VALU_DEP_1) | instskip(NEXT) | instid1(VALU_DEP_1)
	v_mul_f32_e32 v0, v61, v0
	v_and_b32_e32 v1, 0x7f800000, v0
	s_delay_alu instid0(VALU_DEP_1) | instskip(NEXT) | instid1(VALU_DEP_1)
	v_cmp_ne_u32_e64 s1, 0x7f800000, v1
                                        ; implicit-def: $vgpr1
                                        ; kill: killed $vgpr1
	;; [unrolled: 30-line block ×6, first 2 shown]
	s_and_saveexec_b32 s9, s1
	s_delay_alu instid0(SALU_CYCLE_1)
	s_xor_b32 s1, exec_lo, s9
	s_cbranch_execz .LBB205_163
; %bb.162:                              ;   in Loop: Header=BB205_31 Depth=1
	v_bfe_u32 v1, v0, 16, 1
	s_delay_alu instid0(VALU_DEP_1)
	v_add3_u32 v0, v0, v1, 0x7fff
	scratch_store_b32 off, v0, s32 offset:412 ; 4-byte Folded Spill
                                        ; implicit-def: $vgpr0
.LBB205_163:                            ;   in Loop: Header=BB205_31 Depth=1
	s_and_not1_saveexec_b32 s9, s1
	s_cbranch_execz .LBB205_165
; %bb.164:                              ;   in Loop: Header=BB205_31 Depth=1
	v_and_b32_e32 v1, 0xffff, v0
	v_or_b32_e32 v2, 0x10000, v0
	s_delay_alu instid0(VALU_DEP_2) | instskip(NEXT) | instid1(VALU_DEP_1)
	v_cmp_eq_u32_e64 s1, 0, v1
	v_cndmask_b32_e64 v0, v2, v0, s1
	scratch_store_b32 off, v0, s32 offset:412 ; 4-byte Folded Spill
.LBB205_165:                            ;   in Loop: Header=BB205_31 Depth=1
	s_or_b32 exec_lo, exec_lo, s9
	flat_load_b128 v[0:3], v[6:7] offset:1536
	s_waitcnt vmcnt(0) lgkmcnt(0)
	v_lshrrev_b32_e32 v9, 16, v0
	v_lshrrev_b32_e32 v8, 16, v1
	;; [unrolled: 1-line block ×4, first 2 shown]
	s_and_saveexec_b32 s9, vcc_lo
	s_cbranch_execz .LBB205_167
; %bb.166:                              ;   in Loop: Header=BB205_31 Depth=1
	v_cmp_lt_i32_e64 s1, v176, v113
	s_delay_alu instid0(VALU_DEP_1) | instskip(SKIP_1) | instid1(VALU_DEP_1)
	v_cndmask_b32_e64 v0, 0, v0, s1
	v_cmp_lt_i32_e64 s1, v47, v113
	v_cndmask_b32_e64 v9, 0, v9, s1
	v_cmp_lt_i32_e64 s1, v46, v113
	s_delay_alu instid0(VALU_DEP_1) | instskip(SKIP_1) | instid1(VALU_DEP_1)
	v_cndmask_b32_e64 v1, 0, v1, s1
	v_cmp_lt_i32_e64 s1, v45, v113
	v_cndmask_b32_e64 v8, 0, v8, s1
	;; [unrolled: 5-line block ×4, first 2 shown]
.LBB205_167:                            ;   in Loop: Header=BB205_31 Depth=1
	s_or_b32 exec_lo, exec_lo, s9
	v_lshlrev_b32_e32 v0, 16, v0
	s_delay_alu instid0(VALU_DEP_1) | instskip(NEXT) | instid1(VALU_DEP_1)
	v_mul_f32_e32 v0, v58, v0
	v_and_b32_e32 v10, 0x7f800000, v0
	s_delay_alu instid0(VALU_DEP_1) | instskip(NEXT) | instid1(VALU_DEP_1)
	v_cmp_ne_u32_e64 s1, 0x7f800000, v10
                                        ; implicit-def: $vgpr10
                                        ; kill: killed $vgpr10
	s_and_saveexec_b32 s9, s1
	s_delay_alu instid0(SALU_CYCLE_1)
	s_xor_b32 s1, exec_lo, s9
	s_cbranch_execz .LBB205_169
; %bb.168:                              ;   in Loop: Header=BB205_31 Depth=1
	v_bfe_u32 v10, v0, 16, 1
	s_delay_alu instid0(VALU_DEP_1)
	v_add3_u32 v0, v0, v10, 0x7fff
	scratch_store_b32 off, v0, s32 offset:416 ; 4-byte Folded Spill
                                        ; implicit-def: $vgpr0
.LBB205_169:                            ;   in Loop: Header=BB205_31 Depth=1
	s_and_not1_saveexec_b32 s9, s1
	s_cbranch_execz .LBB205_171
; %bb.170:                              ;   in Loop: Header=BB205_31 Depth=1
	v_and_b32_e32 v10, 0xffff, v0
	v_or_b32_e32 v11, 0x10000, v0
	s_delay_alu instid0(VALU_DEP_2) | instskip(NEXT) | instid1(VALU_DEP_1)
	v_cmp_eq_u32_e64 s1, 0, v10
	v_cndmask_b32_e64 v0, v11, v0, s1
	scratch_store_b32 off, v0, s32 offset:416 ; 4-byte Folded Spill
.LBB205_171:                            ;   in Loop: Header=BB205_31 Depth=1
	s_or_b32 exec_lo, exec_lo, s9
	v_lshlrev_b32_e32 v0, 16, v9
	s_delay_alu instid0(VALU_DEP_1) | instskip(NEXT) | instid1(VALU_DEP_1)
	v_mul_f32_e32 v0, v59, v0
	v_and_b32_e32 v9, 0x7f800000, v0
	s_delay_alu instid0(VALU_DEP_1) | instskip(NEXT) | instid1(VALU_DEP_1)
	v_cmp_ne_u32_e64 s1, 0x7f800000, v9
                                        ; implicit-def: $vgpr9
                                        ; kill: killed $vgpr9
	s_and_saveexec_b32 s9, s1
	s_delay_alu instid0(SALU_CYCLE_1)
	s_xor_b32 s1, exec_lo, s9
	s_cbranch_execz .LBB205_173
; %bb.172:                              ;   in Loop: Header=BB205_31 Depth=1
	v_bfe_u32 v9, v0, 16, 1
	s_delay_alu instid0(VALU_DEP_1)
	v_add3_u32 v0, v0, v9, 0x7fff
	scratch_store_b32 off, v0, s32 offset:420 ; 4-byte Folded Spill
                                        ; implicit-def: $vgpr0
.LBB205_173:                            ;   in Loop: Header=BB205_31 Depth=1
	s_and_not1_saveexec_b32 s9, s1
	s_cbranch_execz .LBB205_175
; %bb.174:                              ;   in Loop: Header=BB205_31 Depth=1
	v_and_b32_e32 v9, 0xffff, v0
	v_or_b32_e32 v10, 0x10000, v0
	s_delay_alu instid0(VALU_DEP_2) | instskip(NEXT) | instid1(VALU_DEP_1)
	v_cmp_eq_u32_e64 s1, 0, v9
	v_cndmask_b32_e64 v0, v10, v0, s1
	scratch_store_b32 off, v0, s32 offset:420 ; 4-byte Folded Spill
.LBB205_175:                            ;   in Loop: Header=BB205_31 Depth=1
	s_or_b32 exec_lo, exec_lo, s9
	v_lshlrev_b32_e32 v0, 16, v1
	s_delay_alu instid0(VALU_DEP_1) | instskip(NEXT) | instid1(VALU_DEP_1)
	v_mul_f32_e32 v0, v60, v0
	v_and_b32_e32 v1, 0x7f800000, v0
	s_delay_alu instid0(VALU_DEP_1) | instskip(NEXT) | instid1(VALU_DEP_1)
	v_cmp_ne_u32_e64 s1, 0x7f800000, v1
                                        ; implicit-def: $vgpr1
                                        ; kill: killed $vgpr1
	s_and_saveexec_b32 s9, s1
	s_delay_alu instid0(SALU_CYCLE_1)
	s_xor_b32 s1, exec_lo, s9
	s_cbranch_execz .LBB205_177
; %bb.176:                              ;   in Loop: Header=BB205_31 Depth=1
	v_bfe_u32 v1, v0, 16, 1
	s_delay_alu instid0(VALU_DEP_1)
	v_add3_u32 v0, v0, v1, 0x7fff
	scratch_store_b32 off, v0, s32 offset:424 ; 4-byte Folded Spill
                                        ; implicit-def: $vgpr0
.LBB205_177:                            ;   in Loop: Header=BB205_31 Depth=1
	s_and_not1_saveexec_b32 s9, s1
	s_cbranch_execz .LBB205_179
; %bb.178:                              ;   in Loop: Header=BB205_31 Depth=1
	v_and_b32_e32 v1, 0xffff, v0
	v_or_b32_e32 v9, 0x10000, v0
	s_delay_alu instid0(VALU_DEP_2) | instskip(NEXT) | instid1(VALU_DEP_1)
	v_cmp_eq_u32_e64 s1, 0, v1
	v_cndmask_b32_e64 v0, v9, v0, s1
	scratch_store_b32 off, v0, s32 offset:424 ; 4-byte Folded Spill
.LBB205_179:                            ;   in Loop: Header=BB205_31 Depth=1
	s_or_b32 exec_lo, exec_lo, s9
	v_lshlrev_b32_e32 v0, 16, v8
	s_delay_alu instid0(VALU_DEP_1) | instskip(NEXT) | instid1(VALU_DEP_1)
	v_mul_f32_e32 v0, v61, v0
	v_and_b32_e32 v1, 0x7f800000, v0
	s_delay_alu instid0(VALU_DEP_1) | instskip(NEXT) | instid1(VALU_DEP_1)
	v_cmp_ne_u32_e64 s1, 0x7f800000, v1
                                        ; implicit-def: $vgpr1
                                        ; kill: killed $vgpr1
	;; [unrolled: 30-line block ×6, first 2 shown]
	s_and_saveexec_b32 s9, s1
	s_delay_alu instid0(SALU_CYCLE_1)
	s_xor_b32 s1, exec_lo, s9
	s_cbranch_execz .LBB205_197
; %bb.196:                              ;   in Loop: Header=BB205_31 Depth=1
	v_bfe_u32 v1, v0, 16, 1
	s_delay_alu instid0(VALU_DEP_1)
	v_add3_u32 v0, v0, v1, 0x7fff
	scratch_store_b32 off, v0, s32 offset:444 ; 4-byte Folded Spill
                                        ; implicit-def: $vgpr0
.LBB205_197:                            ;   in Loop: Header=BB205_31 Depth=1
	s_and_not1_saveexec_b32 s9, s1
	s_cbranch_execz .LBB205_199
; %bb.198:                              ;   in Loop: Header=BB205_31 Depth=1
	v_and_b32_e32 v1, 0xffff, v0
	v_or_b32_e32 v2, 0x10000, v0
	s_delay_alu instid0(VALU_DEP_2) | instskip(NEXT) | instid1(VALU_DEP_1)
	v_cmp_eq_u32_e64 s1, 0, v1
	v_cndmask_b32_e64 v0, v2, v0, s1
	scratch_store_b32 off, v0, s32 offset:444 ; 4-byte Folded Spill
.LBB205_199:                            ;   in Loop: Header=BB205_31 Depth=1
	s_or_b32 exec_lo, exec_lo, s9
	flat_load_b128 v[0:3], v[6:7] offset:2048
	s_waitcnt vmcnt(0) lgkmcnt(0)
	v_lshrrev_b32_e32 v9, 16, v0
	v_lshrrev_b32_e32 v8, 16, v1
	;; [unrolled: 1-line block ×4, first 2 shown]
	s_and_saveexec_b32 s9, vcc_lo
	s_cbranch_execz .LBB205_201
; %bb.200:                              ;   in Loop: Header=BB205_31 Depth=1
	v_cmp_lt_i32_e64 s1, v176, v113
	s_delay_alu instid0(VALU_DEP_1) | instskip(SKIP_1) | instid1(VALU_DEP_1)
	v_cndmask_b32_e64 v0, 0, v0, s1
	v_cmp_lt_i32_e64 s1, v47, v113
	v_cndmask_b32_e64 v9, 0, v9, s1
	v_cmp_lt_i32_e64 s1, v46, v113
	s_delay_alu instid0(VALU_DEP_1) | instskip(SKIP_1) | instid1(VALU_DEP_1)
	v_cndmask_b32_e64 v1, 0, v1, s1
	v_cmp_lt_i32_e64 s1, v45, v113
	v_cndmask_b32_e64 v8, 0, v8, s1
	;; [unrolled: 5-line block ×4, first 2 shown]
.LBB205_201:                            ;   in Loop: Header=BB205_31 Depth=1
	s_or_b32 exec_lo, exec_lo, s9
	v_lshlrev_b32_e32 v0, 16, v0
	s_delay_alu instid0(VALU_DEP_1) | instskip(NEXT) | instid1(VALU_DEP_1)
	v_mul_f32_e32 v0, v58, v0
	v_and_b32_e32 v10, 0x7f800000, v0
	s_delay_alu instid0(VALU_DEP_1) | instskip(NEXT) | instid1(VALU_DEP_1)
	v_cmp_ne_u32_e64 s1, 0x7f800000, v10
                                        ; implicit-def: $vgpr10
                                        ; kill: killed $vgpr10
	s_and_saveexec_b32 s9, s1
	s_delay_alu instid0(SALU_CYCLE_1)
	s_xor_b32 s1, exec_lo, s9
	s_cbranch_execz .LBB205_203
; %bb.202:                              ;   in Loop: Header=BB205_31 Depth=1
	v_bfe_u32 v10, v0, 16, 1
	s_delay_alu instid0(VALU_DEP_1)
	v_add3_u32 v0, v0, v10, 0x7fff
	scratch_store_b32 off, v0, s32 offset:448 ; 4-byte Folded Spill
                                        ; implicit-def: $vgpr0
.LBB205_203:                            ;   in Loop: Header=BB205_31 Depth=1
	s_and_not1_saveexec_b32 s9, s1
	s_cbranch_execz .LBB205_205
; %bb.204:                              ;   in Loop: Header=BB205_31 Depth=1
	v_and_b32_e32 v10, 0xffff, v0
	v_or_b32_e32 v11, 0x10000, v0
	s_delay_alu instid0(VALU_DEP_2) | instskip(NEXT) | instid1(VALU_DEP_1)
	v_cmp_eq_u32_e64 s1, 0, v10
	v_cndmask_b32_e64 v0, v11, v0, s1
	scratch_store_b32 off, v0, s32 offset:448 ; 4-byte Folded Spill
.LBB205_205:                            ;   in Loop: Header=BB205_31 Depth=1
	s_or_b32 exec_lo, exec_lo, s9
	v_lshlrev_b32_e32 v0, 16, v9
	s_delay_alu instid0(VALU_DEP_1) | instskip(NEXT) | instid1(VALU_DEP_1)
	v_mul_f32_e32 v0, v59, v0
	v_and_b32_e32 v9, 0x7f800000, v0
	s_delay_alu instid0(VALU_DEP_1) | instskip(NEXT) | instid1(VALU_DEP_1)
	v_cmp_ne_u32_e64 s1, 0x7f800000, v9
                                        ; implicit-def: $vgpr9
                                        ; kill: killed $vgpr9
	s_and_saveexec_b32 s9, s1
	s_delay_alu instid0(SALU_CYCLE_1)
	s_xor_b32 s1, exec_lo, s9
	s_cbranch_execz .LBB205_207
; %bb.206:                              ;   in Loop: Header=BB205_31 Depth=1
	v_bfe_u32 v9, v0, 16, 1
	s_delay_alu instid0(VALU_DEP_1)
	v_add3_u32 v0, v0, v9, 0x7fff
	scratch_store_b32 off, v0, s32 offset:452 ; 4-byte Folded Spill
                                        ; implicit-def: $vgpr0
.LBB205_207:                            ;   in Loop: Header=BB205_31 Depth=1
	s_and_not1_saveexec_b32 s9, s1
	s_cbranch_execz .LBB205_209
; %bb.208:                              ;   in Loop: Header=BB205_31 Depth=1
	v_and_b32_e32 v9, 0xffff, v0
	v_or_b32_e32 v10, 0x10000, v0
	s_delay_alu instid0(VALU_DEP_2) | instskip(NEXT) | instid1(VALU_DEP_1)
	v_cmp_eq_u32_e64 s1, 0, v9
	v_cndmask_b32_e64 v0, v10, v0, s1
	scratch_store_b32 off, v0, s32 offset:452 ; 4-byte Folded Spill
.LBB205_209:                            ;   in Loop: Header=BB205_31 Depth=1
	s_or_b32 exec_lo, exec_lo, s9
	v_lshlrev_b32_e32 v0, 16, v1
	s_delay_alu instid0(VALU_DEP_1) | instskip(NEXT) | instid1(VALU_DEP_1)
	v_mul_f32_e32 v0, v60, v0
	v_and_b32_e32 v1, 0x7f800000, v0
	s_delay_alu instid0(VALU_DEP_1) | instskip(NEXT) | instid1(VALU_DEP_1)
	v_cmp_ne_u32_e64 s1, 0x7f800000, v1
                                        ; implicit-def: $vgpr1
                                        ; kill: killed $vgpr1
	s_and_saveexec_b32 s9, s1
	s_delay_alu instid0(SALU_CYCLE_1)
	s_xor_b32 s1, exec_lo, s9
	s_cbranch_execz .LBB205_211
; %bb.210:                              ;   in Loop: Header=BB205_31 Depth=1
	v_bfe_u32 v1, v0, 16, 1
	s_delay_alu instid0(VALU_DEP_1)
	v_add3_u32 v0, v0, v1, 0x7fff
	scratch_store_b32 off, v0, s32 offset:456 ; 4-byte Folded Spill
                                        ; implicit-def: $vgpr0
.LBB205_211:                            ;   in Loop: Header=BB205_31 Depth=1
	s_and_not1_saveexec_b32 s9, s1
	s_cbranch_execz .LBB205_213
; %bb.212:                              ;   in Loop: Header=BB205_31 Depth=1
	v_and_b32_e32 v1, 0xffff, v0
	v_or_b32_e32 v9, 0x10000, v0
	s_delay_alu instid0(VALU_DEP_2) | instskip(NEXT) | instid1(VALU_DEP_1)
	v_cmp_eq_u32_e64 s1, 0, v1
	v_cndmask_b32_e64 v0, v9, v0, s1
	scratch_store_b32 off, v0, s32 offset:456 ; 4-byte Folded Spill
.LBB205_213:                            ;   in Loop: Header=BB205_31 Depth=1
	s_or_b32 exec_lo, exec_lo, s9
	v_lshlrev_b32_e32 v0, 16, v8
	s_delay_alu instid0(VALU_DEP_1) | instskip(NEXT) | instid1(VALU_DEP_1)
	v_mul_f32_e32 v0, v61, v0
	v_and_b32_e32 v1, 0x7f800000, v0
	s_delay_alu instid0(VALU_DEP_1) | instskip(NEXT) | instid1(VALU_DEP_1)
	v_cmp_ne_u32_e64 s1, 0x7f800000, v1
                                        ; implicit-def: $vgpr1
                                        ; kill: killed $vgpr1
	;; [unrolled: 30-line block ×6, first 2 shown]
	s_and_saveexec_b32 s9, s1
	s_delay_alu instid0(SALU_CYCLE_1)
	s_xor_b32 s1, exec_lo, s9
	s_cbranch_execz .LBB205_231
; %bb.230:                              ;   in Loop: Header=BB205_31 Depth=1
	v_bfe_u32 v1, v0, 16, 1
	s_delay_alu instid0(VALU_DEP_1)
	v_add3_u32 v0, v0, v1, 0x7fff
	scratch_store_b32 off, v0, s32 offset:476 ; 4-byte Folded Spill
                                        ; implicit-def: $vgpr0
.LBB205_231:                            ;   in Loop: Header=BB205_31 Depth=1
	s_and_not1_saveexec_b32 s9, s1
	s_cbranch_execz .LBB205_233
; %bb.232:                              ;   in Loop: Header=BB205_31 Depth=1
	v_and_b32_e32 v1, 0xffff, v0
	v_or_b32_e32 v2, 0x10000, v0
	s_delay_alu instid0(VALU_DEP_2) | instskip(NEXT) | instid1(VALU_DEP_1)
	v_cmp_eq_u32_e64 s1, 0, v1
	v_cndmask_b32_e64 v0, v2, v0, s1
	scratch_store_b32 off, v0, s32 offset:476 ; 4-byte Folded Spill
.LBB205_233:                            ;   in Loop: Header=BB205_31 Depth=1
	s_or_b32 exec_lo, exec_lo, s9
	flat_load_b128 v[0:3], v[6:7] offset:2560
	s_waitcnt vmcnt(0) lgkmcnt(0)
	v_lshrrev_b32_e32 v9, 16, v0
	v_lshrrev_b32_e32 v8, 16, v1
	;; [unrolled: 1-line block ×4, first 2 shown]
	s_and_saveexec_b32 s9, vcc_lo
	s_cbranch_execz .LBB205_235
; %bb.234:                              ;   in Loop: Header=BB205_31 Depth=1
	v_cmp_lt_i32_e64 s1, v176, v113
	s_delay_alu instid0(VALU_DEP_1) | instskip(SKIP_1) | instid1(VALU_DEP_1)
	v_cndmask_b32_e64 v0, 0, v0, s1
	v_cmp_lt_i32_e64 s1, v47, v113
	v_cndmask_b32_e64 v9, 0, v9, s1
	v_cmp_lt_i32_e64 s1, v46, v113
	s_delay_alu instid0(VALU_DEP_1) | instskip(SKIP_1) | instid1(VALU_DEP_1)
	v_cndmask_b32_e64 v1, 0, v1, s1
	v_cmp_lt_i32_e64 s1, v45, v113
	v_cndmask_b32_e64 v8, 0, v8, s1
	;; [unrolled: 5-line block ×4, first 2 shown]
.LBB205_235:                            ;   in Loop: Header=BB205_31 Depth=1
	s_or_b32 exec_lo, exec_lo, s9
	v_lshlrev_b32_e32 v0, 16, v0
	s_delay_alu instid0(VALU_DEP_1) | instskip(NEXT) | instid1(VALU_DEP_1)
	v_mul_f32_e32 v0, v58, v0
	v_and_b32_e32 v10, 0x7f800000, v0
	s_delay_alu instid0(VALU_DEP_1) | instskip(NEXT) | instid1(VALU_DEP_1)
	v_cmp_ne_u32_e64 s1, 0x7f800000, v10
                                        ; implicit-def: $vgpr10
                                        ; kill: killed $vgpr10
	s_and_saveexec_b32 s9, s1
	s_delay_alu instid0(SALU_CYCLE_1)
	s_xor_b32 s1, exec_lo, s9
	s_cbranch_execz .LBB205_237
; %bb.236:                              ;   in Loop: Header=BB205_31 Depth=1
	v_bfe_u32 v10, v0, 16, 1
	s_delay_alu instid0(VALU_DEP_1)
	v_add3_u32 v0, v0, v10, 0x7fff
	scratch_store_b32 off, v0, s32 offset:480 ; 4-byte Folded Spill
                                        ; implicit-def: $vgpr0
.LBB205_237:                            ;   in Loop: Header=BB205_31 Depth=1
	s_and_not1_saveexec_b32 s9, s1
	s_cbranch_execz .LBB205_239
; %bb.238:                              ;   in Loop: Header=BB205_31 Depth=1
	v_and_b32_e32 v10, 0xffff, v0
	v_or_b32_e32 v11, 0x10000, v0
	s_delay_alu instid0(VALU_DEP_2) | instskip(NEXT) | instid1(VALU_DEP_1)
	v_cmp_eq_u32_e64 s1, 0, v10
	v_cndmask_b32_e64 v0, v11, v0, s1
	scratch_store_b32 off, v0, s32 offset:480 ; 4-byte Folded Spill
.LBB205_239:                            ;   in Loop: Header=BB205_31 Depth=1
	s_or_b32 exec_lo, exec_lo, s9
	v_lshlrev_b32_e32 v0, 16, v9
	s_delay_alu instid0(VALU_DEP_1) | instskip(NEXT) | instid1(VALU_DEP_1)
	v_mul_f32_e32 v0, v59, v0
	v_and_b32_e32 v9, 0x7f800000, v0
	s_delay_alu instid0(VALU_DEP_1) | instskip(NEXT) | instid1(VALU_DEP_1)
	v_cmp_ne_u32_e64 s1, 0x7f800000, v9
                                        ; implicit-def: $vgpr9
                                        ; kill: killed $vgpr9
	s_and_saveexec_b32 s9, s1
	s_delay_alu instid0(SALU_CYCLE_1)
	s_xor_b32 s1, exec_lo, s9
	s_cbranch_execz .LBB205_241
; %bb.240:                              ;   in Loop: Header=BB205_31 Depth=1
	v_bfe_u32 v9, v0, 16, 1
	s_delay_alu instid0(VALU_DEP_1)
	v_add3_u32 v0, v0, v9, 0x7fff
	scratch_store_b32 off, v0, s32 offset:484 ; 4-byte Folded Spill
                                        ; implicit-def: $vgpr0
.LBB205_241:                            ;   in Loop: Header=BB205_31 Depth=1
	s_and_not1_saveexec_b32 s9, s1
	s_cbranch_execz .LBB205_243
; %bb.242:                              ;   in Loop: Header=BB205_31 Depth=1
	v_and_b32_e32 v9, 0xffff, v0
	v_or_b32_e32 v10, 0x10000, v0
	s_delay_alu instid0(VALU_DEP_2) | instskip(NEXT) | instid1(VALU_DEP_1)
	v_cmp_eq_u32_e64 s1, 0, v9
	v_cndmask_b32_e64 v0, v10, v0, s1
	scratch_store_b32 off, v0, s32 offset:484 ; 4-byte Folded Spill
.LBB205_243:                            ;   in Loop: Header=BB205_31 Depth=1
	s_or_b32 exec_lo, exec_lo, s9
	v_lshlrev_b32_e32 v0, 16, v1
	s_delay_alu instid0(VALU_DEP_1) | instskip(NEXT) | instid1(VALU_DEP_1)
	v_mul_f32_e32 v0, v60, v0
	v_and_b32_e32 v1, 0x7f800000, v0
	s_delay_alu instid0(VALU_DEP_1) | instskip(NEXT) | instid1(VALU_DEP_1)
	v_cmp_ne_u32_e64 s1, 0x7f800000, v1
                                        ; implicit-def: $vgpr1
                                        ; kill: killed $vgpr1
	s_and_saveexec_b32 s9, s1
	s_delay_alu instid0(SALU_CYCLE_1)
	s_xor_b32 s1, exec_lo, s9
	s_cbranch_execz .LBB205_245
; %bb.244:                              ;   in Loop: Header=BB205_31 Depth=1
	v_bfe_u32 v1, v0, 16, 1
	s_delay_alu instid0(VALU_DEP_1)
	v_add3_u32 v0, v0, v1, 0x7fff
	scratch_store_b32 off, v0, s32 offset:488 ; 4-byte Folded Spill
                                        ; implicit-def: $vgpr0
.LBB205_245:                            ;   in Loop: Header=BB205_31 Depth=1
	s_and_not1_saveexec_b32 s9, s1
	s_cbranch_execz .LBB205_247
; %bb.246:                              ;   in Loop: Header=BB205_31 Depth=1
	v_and_b32_e32 v1, 0xffff, v0
	v_or_b32_e32 v9, 0x10000, v0
	s_delay_alu instid0(VALU_DEP_2) | instskip(NEXT) | instid1(VALU_DEP_1)
	v_cmp_eq_u32_e64 s1, 0, v1
	v_cndmask_b32_e64 v0, v9, v0, s1
	scratch_store_b32 off, v0, s32 offset:488 ; 4-byte Folded Spill
.LBB205_247:                            ;   in Loop: Header=BB205_31 Depth=1
	s_or_b32 exec_lo, exec_lo, s9
	v_lshlrev_b32_e32 v0, 16, v8
	s_delay_alu instid0(VALU_DEP_1) | instskip(NEXT) | instid1(VALU_DEP_1)
	v_mul_f32_e32 v0, v61, v0
	v_and_b32_e32 v1, 0x7f800000, v0
	s_delay_alu instid0(VALU_DEP_1) | instskip(NEXT) | instid1(VALU_DEP_1)
	v_cmp_ne_u32_e64 s1, 0x7f800000, v1
                                        ; implicit-def: $vgpr1
                                        ; kill: killed $vgpr1
	;; [unrolled: 30-line block ×6, first 2 shown]
	s_and_saveexec_b32 s9, s1
	s_delay_alu instid0(SALU_CYCLE_1)
	s_xor_b32 s1, exec_lo, s9
	s_cbranch_execz .LBB205_265
; %bb.264:                              ;   in Loop: Header=BB205_31 Depth=1
	v_bfe_u32 v1, v0, 16, 1
	s_delay_alu instid0(VALU_DEP_1)
	v_add3_u32 v0, v0, v1, 0x7fff
	scratch_store_b32 off, v0, s32 offset:508 ; 4-byte Folded Spill
                                        ; implicit-def: $vgpr0
.LBB205_265:                            ;   in Loop: Header=BB205_31 Depth=1
	s_and_not1_saveexec_b32 s9, s1
	s_cbranch_execz .LBB205_267
; %bb.266:                              ;   in Loop: Header=BB205_31 Depth=1
	v_and_b32_e32 v1, 0xffff, v0
	v_or_b32_e32 v2, 0x10000, v0
	s_delay_alu instid0(VALU_DEP_2) | instskip(NEXT) | instid1(VALU_DEP_1)
	v_cmp_eq_u32_e64 s1, 0, v1
	v_cndmask_b32_e64 v0, v2, v0, s1
	scratch_store_b32 off, v0, s32 offset:508 ; 4-byte Folded Spill
.LBB205_267:                            ;   in Loop: Header=BB205_31 Depth=1
	s_or_b32 exec_lo, exec_lo, s9
	flat_load_b128 v[0:3], v[6:7] offset:3072
	s_waitcnt vmcnt(0) lgkmcnt(0)
	v_lshrrev_b32_e32 v9, 16, v0
	v_lshrrev_b32_e32 v8, 16, v1
	;; [unrolled: 1-line block ×4, first 2 shown]
	s_and_saveexec_b32 s9, vcc_lo
	s_cbranch_execz .LBB205_269
; %bb.268:                              ;   in Loop: Header=BB205_31 Depth=1
	v_cmp_lt_i32_e64 s1, v176, v113
	s_delay_alu instid0(VALU_DEP_1) | instskip(SKIP_1) | instid1(VALU_DEP_1)
	v_cndmask_b32_e64 v0, 0, v0, s1
	v_cmp_lt_i32_e64 s1, v47, v113
	v_cndmask_b32_e64 v9, 0, v9, s1
	v_cmp_lt_i32_e64 s1, v46, v113
	s_delay_alu instid0(VALU_DEP_1) | instskip(SKIP_1) | instid1(VALU_DEP_1)
	v_cndmask_b32_e64 v1, 0, v1, s1
	v_cmp_lt_i32_e64 s1, v45, v113
	v_cndmask_b32_e64 v8, 0, v8, s1
	;; [unrolled: 5-line block ×4, first 2 shown]
.LBB205_269:                            ;   in Loop: Header=BB205_31 Depth=1
	s_or_b32 exec_lo, exec_lo, s9
	v_lshlrev_b32_e32 v0, 16, v0
	s_delay_alu instid0(VALU_DEP_1) | instskip(NEXT) | instid1(VALU_DEP_1)
	v_mul_f32_e32 v0, v58, v0
	v_and_b32_e32 v10, 0x7f800000, v0
	s_delay_alu instid0(VALU_DEP_1) | instskip(NEXT) | instid1(VALU_DEP_1)
	v_cmp_ne_u32_e64 s1, 0x7f800000, v10
                                        ; implicit-def: $vgpr10
                                        ; kill: killed $vgpr10
	s_and_saveexec_b32 s9, s1
	s_delay_alu instid0(SALU_CYCLE_1)
	s_xor_b32 s1, exec_lo, s9
	s_cbranch_execz .LBB205_271
; %bb.270:                              ;   in Loop: Header=BB205_31 Depth=1
	v_bfe_u32 v10, v0, 16, 1
	s_delay_alu instid0(VALU_DEP_1)
	v_add3_u32 v0, v0, v10, 0x7fff
	scratch_store_b32 off, v0, s32 offset:512 ; 4-byte Folded Spill
                                        ; implicit-def: $vgpr0
.LBB205_271:                            ;   in Loop: Header=BB205_31 Depth=1
	s_and_not1_saveexec_b32 s9, s1
	s_cbranch_execz .LBB205_273
; %bb.272:                              ;   in Loop: Header=BB205_31 Depth=1
	v_and_b32_e32 v10, 0xffff, v0
	v_or_b32_e32 v11, 0x10000, v0
	s_delay_alu instid0(VALU_DEP_2) | instskip(NEXT) | instid1(VALU_DEP_1)
	v_cmp_eq_u32_e64 s1, 0, v10
	v_cndmask_b32_e64 v0, v11, v0, s1
	scratch_store_b32 off, v0, s32 offset:512 ; 4-byte Folded Spill
.LBB205_273:                            ;   in Loop: Header=BB205_31 Depth=1
	s_or_b32 exec_lo, exec_lo, s9
	v_lshlrev_b32_e32 v0, 16, v9
	s_delay_alu instid0(VALU_DEP_1) | instskip(NEXT) | instid1(VALU_DEP_1)
	v_mul_f32_e32 v0, v59, v0
	v_and_b32_e32 v9, 0x7f800000, v0
	s_delay_alu instid0(VALU_DEP_1) | instskip(NEXT) | instid1(VALU_DEP_1)
	v_cmp_ne_u32_e64 s1, 0x7f800000, v9
                                        ; implicit-def: $vgpr9
                                        ; kill: killed $vgpr9
	s_and_saveexec_b32 s9, s1
	s_delay_alu instid0(SALU_CYCLE_1)
	s_xor_b32 s1, exec_lo, s9
	s_cbranch_execz .LBB205_275
; %bb.274:                              ;   in Loop: Header=BB205_31 Depth=1
	v_bfe_u32 v9, v0, 16, 1
	s_delay_alu instid0(VALU_DEP_1)
	v_add3_u32 v0, v0, v9, 0x7fff
	scratch_store_b32 off, v0, s32 offset:516 ; 4-byte Folded Spill
                                        ; implicit-def: $vgpr0
.LBB205_275:                            ;   in Loop: Header=BB205_31 Depth=1
	s_and_not1_saveexec_b32 s9, s1
	s_cbranch_execz .LBB205_277
; %bb.276:                              ;   in Loop: Header=BB205_31 Depth=1
	v_and_b32_e32 v9, 0xffff, v0
	v_or_b32_e32 v10, 0x10000, v0
	s_delay_alu instid0(VALU_DEP_2) | instskip(NEXT) | instid1(VALU_DEP_1)
	v_cmp_eq_u32_e64 s1, 0, v9
	v_cndmask_b32_e64 v0, v10, v0, s1
	scratch_store_b32 off, v0, s32 offset:516 ; 4-byte Folded Spill
.LBB205_277:                            ;   in Loop: Header=BB205_31 Depth=1
	s_or_b32 exec_lo, exec_lo, s9
	v_lshlrev_b32_e32 v0, 16, v1
	s_delay_alu instid0(VALU_DEP_1) | instskip(NEXT) | instid1(VALU_DEP_1)
	v_mul_f32_e32 v0, v60, v0
	v_and_b32_e32 v1, 0x7f800000, v0
	s_delay_alu instid0(VALU_DEP_1) | instskip(NEXT) | instid1(VALU_DEP_1)
	v_cmp_ne_u32_e64 s1, 0x7f800000, v1
                                        ; implicit-def: $vgpr1
                                        ; kill: killed $vgpr1
	s_and_saveexec_b32 s9, s1
	s_delay_alu instid0(SALU_CYCLE_1)
	s_xor_b32 s1, exec_lo, s9
	s_cbranch_execz .LBB205_279
; %bb.278:                              ;   in Loop: Header=BB205_31 Depth=1
	v_bfe_u32 v1, v0, 16, 1
	s_delay_alu instid0(VALU_DEP_1)
	v_add3_u32 v0, v0, v1, 0x7fff
	scratch_store_b32 off, v0, s32 offset:520 ; 4-byte Folded Spill
                                        ; implicit-def: $vgpr0
.LBB205_279:                            ;   in Loop: Header=BB205_31 Depth=1
	s_and_not1_saveexec_b32 s9, s1
	s_cbranch_execz .LBB205_281
; %bb.280:                              ;   in Loop: Header=BB205_31 Depth=1
	v_and_b32_e32 v1, 0xffff, v0
	v_or_b32_e32 v9, 0x10000, v0
	s_delay_alu instid0(VALU_DEP_2) | instskip(NEXT) | instid1(VALU_DEP_1)
	v_cmp_eq_u32_e64 s1, 0, v1
	v_cndmask_b32_e64 v0, v9, v0, s1
	scratch_store_b32 off, v0, s32 offset:520 ; 4-byte Folded Spill
.LBB205_281:                            ;   in Loop: Header=BB205_31 Depth=1
	s_or_b32 exec_lo, exec_lo, s9
	v_lshlrev_b32_e32 v0, 16, v8
	s_delay_alu instid0(VALU_DEP_1) | instskip(NEXT) | instid1(VALU_DEP_1)
	v_mul_f32_e32 v0, v61, v0
	v_and_b32_e32 v1, 0x7f800000, v0
	s_delay_alu instid0(VALU_DEP_1) | instskip(NEXT) | instid1(VALU_DEP_1)
	v_cmp_ne_u32_e64 s1, 0x7f800000, v1
                                        ; implicit-def: $vgpr1
                                        ; kill: killed $vgpr1
	;; [unrolled: 30-line block ×6, first 2 shown]
	s_and_saveexec_b32 s9, s1
	s_delay_alu instid0(SALU_CYCLE_1)
	s_xor_b32 s1, exec_lo, s9
	s_cbranch_execz .LBB205_299
; %bb.298:                              ;   in Loop: Header=BB205_31 Depth=1
	v_bfe_u32 v1, v0, 16, 1
	s_delay_alu instid0(VALU_DEP_1)
	v_add3_u32 v0, v0, v1, 0x7fff
	scratch_store_b32 off, v0, s32 offset:536 ; 4-byte Folded Spill
                                        ; implicit-def: $vgpr0
.LBB205_299:                            ;   in Loop: Header=BB205_31 Depth=1
	s_and_not1_saveexec_b32 s9, s1
	s_cbranch_execz .LBB205_301
; %bb.300:                              ;   in Loop: Header=BB205_31 Depth=1
	v_and_b32_e32 v1, 0xffff, v0
	v_or_b32_e32 v2, 0x10000, v0
	s_delay_alu instid0(VALU_DEP_2) | instskip(NEXT) | instid1(VALU_DEP_1)
	v_cmp_eq_u32_e64 s1, 0, v1
	v_cndmask_b32_e64 v0, v2, v0, s1
	scratch_store_b32 off, v0, s32 offset:536 ; 4-byte Folded Spill
.LBB205_301:                            ;   in Loop: Header=BB205_31 Depth=1
	s_or_b32 exec_lo, exec_lo, s9
	flat_load_b128 v[0:3], v[6:7] offset:3584
	s_waitcnt vmcnt(0) lgkmcnt(0)
	v_lshrrev_b32_e32 v7, 16, v0
	v_lshrrev_b32_e32 v6, 16, v1
	;; [unrolled: 1-line block ×4, first 2 shown]
	s_and_saveexec_b32 s9, vcc_lo
	s_cbranch_execz .LBB205_303
; %bb.302:                              ;   in Loop: Header=BB205_31 Depth=1
	v_cmp_lt_i32_e64 s1, v176, v113
	s_delay_alu instid0(VALU_DEP_1) | instskip(SKIP_1) | instid1(VALU_DEP_1)
	v_cndmask_b32_e64 v0, 0, v0, s1
	v_cmp_lt_i32_e64 s1, v47, v113
	v_cndmask_b32_e64 v7, 0, v7, s1
	v_cmp_lt_i32_e64 s1, v46, v113
	s_delay_alu instid0(VALU_DEP_1) | instskip(SKIP_1) | instid1(VALU_DEP_1)
	v_cndmask_b32_e64 v1, 0, v1, s1
	v_cmp_lt_i32_e64 s1, v45, v113
	v_cndmask_b32_e64 v6, 0, v6, s1
	;; [unrolled: 5-line block ×4, first 2 shown]
.LBB205_303:                            ;   in Loop: Header=BB205_31 Depth=1
	s_or_b32 exec_lo, exec_lo, s9
	v_lshlrev_b32_e32 v0, 16, v0
	s_delay_alu instid0(VALU_DEP_1) | instskip(NEXT) | instid1(VALU_DEP_1)
	v_mul_f32_e32 v0, v58, v0
	v_and_b32_e32 v8, 0x7f800000, v0
	s_delay_alu instid0(VALU_DEP_1) | instskip(NEXT) | instid1(VALU_DEP_1)
	v_cmp_ne_u32_e64 s1, 0x7f800000, v8
                                        ; implicit-def: $vgpr8
                                        ; kill: killed $vgpr8
	s_and_saveexec_b32 s9, s1
	s_delay_alu instid0(SALU_CYCLE_1)
	s_xor_b32 s1, exec_lo, s9
	s_cbranch_execz .LBB205_305
; %bb.304:                              ;   in Loop: Header=BB205_31 Depth=1
	v_bfe_u32 v8, v0, 16, 1
	s_delay_alu instid0(VALU_DEP_1)
	v_add3_u32 v0, v0, v8, 0x7fff
	scratch_store_b32 off, v0, s32 offset:544 ; 4-byte Folded Spill
                                        ; implicit-def: $vgpr0
.LBB205_305:                            ;   in Loop: Header=BB205_31 Depth=1
	s_and_not1_saveexec_b32 s9, s1
	s_cbranch_execz .LBB205_307
; %bb.306:                              ;   in Loop: Header=BB205_31 Depth=1
	v_and_b32_e32 v8, 0xffff, v0
	v_or_b32_e32 v9, 0x10000, v0
	s_delay_alu instid0(VALU_DEP_2) | instskip(NEXT) | instid1(VALU_DEP_1)
	v_cmp_eq_u32_e64 s1, 0, v8
	v_cndmask_b32_e64 v0, v9, v0, s1
	scratch_store_b32 off, v0, s32 offset:544 ; 4-byte Folded Spill
.LBB205_307:                            ;   in Loop: Header=BB205_31 Depth=1
	s_or_b32 exec_lo, exec_lo, s9
	v_lshlrev_b32_e32 v0, 16, v7
	s_delay_alu instid0(VALU_DEP_1) | instskip(NEXT) | instid1(VALU_DEP_1)
	v_mul_f32_e32 v0, v59, v0
	v_and_b32_e32 v7, 0x7f800000, v0
	s_delay_alu instid0(VALU_DEP_1) | instskip(NEXT) | instid1(VALU_DEP_1)
	v_cmp_ne_u32_e64 s1, 0x7f800000, v7
                                        ; implicit-def: $vgpr7
                                        ; kill: killed $vgpr7
	s_and_saveexec_b32 s9, s1
	s_delay_alu instid0(SALU_CYCLE_1)
	s_xor_b32 s1, exec_lo, s9
	s_cbranch_execz .LBB205_309
; %bb.308:                              ;   in Loop: Header=BB205_31 Depth=1
	v_bfe_u32 v7, v0, 16, 1
	s_delay_alu instid0(VALU_DEP_1)
	v_add3_u32 v0, v0, v7, 0x7fff
	scratch_store_b32 off, v0, s32 offset:548 ; 4-byte Folded Spill
                                        ; implicit-def: $vgpr0
.LBB205_309:                            ;   in Loop: Header=BB205_31 Depth=1
	s_and_not1_saveexec_b32 s9, s1
	s_cbranch_execz .LBB205_311
; %bb.310:                              ;   in Loop: Header=BB205_31 Depth=1
	v_and_b32_e32 v7, 0xffff, v0
	v_or_b32_e32 v8, 0x10000, v0
	s_delay_alu instid0(VALU_DEP_2) | instskip(NEXT) | instid1(VALU_DEP_1)
	v_cmp_eq_u32_e64 s1, 0, v7
	v_cndmask_b32_e64 v0, v8, v0, s1
	scratch_store_b32 off, v0, s32 offset:548 ; 4-byte Folded Spill
.LBB205_311:                            ;   in Loop: Header=BB205_31 Depth=1
	s_or_b32 exec_lo, exec_lo, s9
	v_lshlrev_b32_e32 v0, 16, v1
	s_delay_alu instid0(VALU_DEP_1) | instskip(NEXT) | instid1(VALU_DEP_1)
	v_mul_f32_e32 v0, v60, v0
	v_and_b32_e32 v1, 0x7f800000, v0
	s_delay_alu instid0(VALU_DEP_1) | instskip(NEXT) | instid1(VALU_DEP_1)
	v_cmp_ne_u32_e64 s1, 0x7f800000, v1
                                        ; implicit-def: $vgpr1
                                        ; kill: killed $vgpr1
	s_and_saveexec_b32 s9, s1
	s_delay_alu instid0(SALU_CYCLE_1)
	s_xor_b32 s1, exec_lo, s9
	s_cbranch_execz .LBB205_313
; %bb.312:                              ;   in Loop: Header=BB205_31 Depth=1
	v_bfe_u32 v1, v0, 16, 1
	s_delay_alu instid0(VALU_DEP_1)
	v_add3_u32 v0, v0, v1, 0x7fff
	scratch_store_b32 off, v0, s32 offset:552 ; 4-byte Folded Spill
                                        ; implicit-def: $vgpr0
.LBB205_313:                            ;   in Loop: Header=BB205_31 Depth=1
	s_and_not1_saveexec_b32 s9, s1
	s_cbranch_execz .LBB205_315
; %bb.314:                              ;   in Loop: Header=BB205_31 Depth=1
	v_and_b32_e32 v1, 0xffff, v0
	v_or_b32_e32 v7, 0x10000, v0
	s_delay_alu instid0(VALU_DEP_2) | instskip(NEXT) | instid1(VALU_DEP_1)
	v_cmp_eq_u32_e64 s1, 0, v1
	v_cndmask_b32_e64 v0, v7, v0, s1
	scratch_store_b32 off, v0, s32 offset:552 ; 4-byte Folded Spill
.LBB205_315:                            ;   in Loop: Header=BB205_31 Depth=1
	s_or_b32 exec_lo, exec_lo, s9
	v_lshlrev_b32_e32 v0, 16, v6
	s_delay_alu instid0(VALU_DEP_1) | instskip(NEXT) | instid1(VALU_DEP_1)
	v_mul_f32_e32 v0, v61, v0
	v_and_b32_e32 v1, 0x7f800000, v0
	s_delay_alu instid0(VALU_DEP_1) | instskip(NEXT) | instid1(VALU_DEP_1)
	v_cmp_ne_u32_e64 s1, 0x7f800000, v1
                                        ; implicit-def: $vgpr1
                                        ; kill: killed $vgpr1
	;; [unrolled: 30-line block ×6, first 2 shown]
	s_and_saveexec_b32 s9, s1
	s_delay_alu instid0(SALU_CYCLE_1)
	s_xor_b32 s1, exec_lo, s9
	s_cbranch_execz .LBB205_333
; %bb.332:                              ;   in Loop: Header=BB205_31 Depth=1
	v_bfe_u32 v1, v0, 16, 1
	s_delay_alu instid0(VALU_DEP_1)
	v_add3_u32 v0, v0, v1, 0x7fff
	scratch_store_b32 off, v0, s32 offset:572 ; 4-byte Folded Spill
                                        ; implicit-def: $vgpr0
.LBB205_333:                            ;   in Loop: Header=BB205_31 Depth=1
	s_and_not1_saveexec_b32 s9, s1
	s_cbranch_execz .LBB205_335
; %bb.334:                              ;   in Loop: Header=BB205_31 Depth=1
	v_and_b32_e32 v1, 0xffff, v0
	v_or_b32_e32 v2, 0x10000, v0
	s_delay_alu instid0(VALU_DEP_2) | instskip(NEXT) | instid1(VALU_DEP_1)
	v_cmp_eq_u32_e64 s1, 0, v1
	v_cndmask_b32_e64 v0, v2, v0, s1
	scratch_store_b32 off, v0, s32 offset:572 ; 4-byte Folded Spill
.LBB205_335:                            ;   in Loop: Header=BB205_31 Depth=1
	s_or_b32 exec_lo, exec_lo, s9
	scratch_load_b32 v0, off, s32 offset:812 ; 4-byte Folded Reload
	s_waitcnt vmcnt(0)
	v_add_co_u32 v0, s1, v56, v0
	s_delay_alu instid0(VALU_DEP_1)
	v_add_co_ci_u32_e64 v1, s1, 0, v57, s1
	flat_load_b128 v[0:3], v[0:1]
	s_waitcnt vmcnt(0) lgkmcnt(0)
	v_lshrrev_b32_e32 v7, 16, v0
	v_lshrrev_b32_e32 v6, 16, v1
	;; [unrolled: 1-line block ×4, first 2 shown]
	s_and_saveexec_b32 s9, vcc_lo
	s_cbranch_execz .LBB205_337
; %bb.336:                              ;   in Loop: Header=BB205_31 Depth=1
	v_cmp_lt_i32_e64 s1, v176, v113
	s_delay_alu instid0(VALU_DEP_1) | instskip(SKIP_1) | instid1(VALU_DEP_1)
	v_cndmask_b32_e64 v0, 0, v0, s1
	v_cmp_lt_i32_e64 s1, v47, v113
	v_cndmask_b32_e64 v7, 0, v7, s1
	v_cmp_lt_i32_e64 s1, v46, v113
	s_delay_alu instid0(VALU_DEP_1) | instskip(SKIP_1) | instid1(VALU_DEP_1)
	v_cndmask_b32_e64 v1, 0, v1, s1
	v_cmp_lt_i32_e64 s1, v45, v113
	v_cndmask_b32_e64 v6, 0, v6, s1
	;; [unrolled: 5-line block ×4, first 2 shown]
.LBB205_337:                            ;   in Loop: Header=BB205_31 Depth=1
	s_or_b32 exec_lo, exec_lo, s9
	v_lshlrev_b32_e32 v0, 16, v0
	s_delay_alu instid0(VALU_DEP_1) | instskip(NEXT) | instid1(VALU_DEP_1)
	v_mul_f32_e32 v0, v58, v0
	v_and_b32_e32 v8, 0x7f800000, v0
	s_delay_alu instid0(VALU_DEP_1) | instskip(NEXT) | instid1(VALU_DEP_1)
	v_cmp_ne_u32_e64 s1, 0x7f800000, v8
                                        ; implicit-def: $vgpr8
                                        ; kill: killed $vgpr8
	s_and_saveexec_b32 s9, s1
	s_delay_alu instid0(SALU_CYCLE_1)
	s_xor_b32 s1, exec_lo, s9
	s_cbranch_execz .LBB205_339
; %bb.338:                              ;   in Loop: Header=BB205_31 Depth=1
	v_bfe_u32 v8, v0, 16, 1
	s_delay_alu instid0(VALU_DEP_1)
	v_add3_u32 v0, v0, v8, 0x7fff
	scratch_store_b32 off, v0, s32 offset:576 ; 4-byte Folded Spill
                                        ; implicit-def: $vgpr0
.LBB205_339:                            ;   in Loop: Header=BB205_31 Depth=1
	s_and_not1_saveexec_b32 s9, s1
	s_cbranch_execz .LBB205_341
; %bb.340:                              ;   in Loop: Header=BB205_31 Depth=1
	v_and_b32_e32 v8, 0xffff, v0
	v_or_b32_e32 v9, 0x10000, v0
	s_delay_alu instid0(VALU_DEP_2) | instskip(NEXT) | instid1(VALU_DEP_1)
	v_cmp_eq_u32_e64 s1, 0, v8
	v_cndmask_b32_e64 v0, v9, v0, s1
	scratch_store_b32 off, v0, s32 offset:576 ; 4-byte Folded Spill
.LBB205_341:                            ;   in Loop: Header=BB205_31 Depth=1
	s_or_b32 exec_lo, exec_lo, s9
	v_lshlrev_b32_e32 v0, 16, v7
	s_delay_alu instid0(VALU_DEP_1) | instskip(NEXT) | instid1(VALU_DEP_1)
	v_mul_f32_e32 v0, v59, v0
	v_and_b32_e32 v7, 0x7f800000, v0
	s_delay_alu instid0(VALU_DEP_1) | instskip(NEXT) | instid1(VALU_DEP_1)
	v_cmp_ne_u32_e64 s1, 0x7f800000, v7
                                        ; implicit-def: $vgpr7
                                        ; kill: killed $vgpr7
	s_and_saveexec_b32 s9, s1
	s_delay_alu instid0(SALU_CYCLE_1)
	s_xor_b32 s1, exec_lo, s9
	s_cbranch_execz .LBB205_343
; %bb.342:                              ;   in Loop: Header=BB205_31 Depth=1
	v_bfe_u32 v7, v0, 16, 1
	s_delay_alu instid0(VALU_DEP_1)
	v_add3_u32 v0, v0, v7, 0x7fff
	scratch_store_b32 off, v0, s32 offset:580 ; 4-byte Folded Spill
                                        ; implicit-def: $vgpr0
.LBB205_343:                            ;   in Loop: Header=BB205_31 Depth=1
	s_and_not1_saveexec_b32 s9, s1
	s_cbranch_execz .LBB205_345
; %bb.344:                              ;   in Loop: Header=BB205_31 Depth=1
	v_and_b32_e32 v7, 0xffff, v0
	v_or_b32_e32 v8, 0x10000, v0
	s_delay_alu instid0(VALU_DEP_2) | instskip(NEXT) | instid1(VALU_DEP_1)
	v_cmp_eq_u32_e64 s1, 0, v7
	v_cndmask_b32_e64 v0, v8, v0, s1
	scratch_store_b32 off, v0, s32 offset:580 ; 4-byte Folded Spill
.LBB205_345:                            ;   in Loop: Header=BB205_31 Depth=1
	s_or_b32 exec_lo, exec_lo, s9
	v_lshlrev_b32_e32 v0, 16, v1
	s_delay_alu instid0(VALU_DEP_1) | instskip(NEXT) | instid1(VALU_DEP_1)
	v_mul_f32_e32 v0, v60, v0
	v_and_b32_e32 v1, 0x7f800000, v0
	s_delay_alu instid0(VALU_DEP_1) | instskip(NEXT) | instid1(VALU_DEP_1)
	v_cmp_ne_u32_e64 s1, 0x7f800000, v1
                                        ; implicit-def: $vgpr1
                                        ; kill: killed $vgpr1
	s_and_saveexec_b32 s9, s1
	s_delay_alu instid0(SALU_CYCLE_1)
	s_xor_b32 s1, exec_lo, s9
	s_cbranch_execz .LBB205_347
; %bb.346:                              ;   in Loop: Header=BB205_31 Depth=1
	v_bfe_u32 v1, v0, 16, 1
	s_delay_alu instid0(VALU_DEP_1)
	v_add3_u32 v0, v0, v1, 0x7fff
	scratch_store_b32 off, v0, s32 offset:584 ; 4-byte Folded Spill
                                        ; implicit-def: $vgpr0
.LBB205_347:                            ;   in Loop: Header=BB205_31 Depth=1
	s_and_not1_saveexec_b32 s9, s1
	s_cbranch_execz .LBB205_349
; %bb.348:                              ;   in Loop: Header=BB205_31 Depth=1
	v_and_b32_e32 v1, 0xffff, v0
	v_or_b32_e32 v7, 0x10000, v0
	s_delay_alu instid0(VALU_DEP_2) | instskip(NEXT) | instid1(VALU_DEP_1)
	v_cmp_eq_u32_e64 s1, 0, v1
	v_cndmask_b32_e64 v0, v7, v0, s1
	scratch_store_b32 off, v0, s32 offset:584 ; 4-byte Folded Spill
.LBB205_349:                            ;   in Loop: Header=BB205_31 Depth=1
	s_or_b32 exec_lo, exec_lo, s9
	v_lshlrev_b32_e32 v0, 16, v6
	s_delay_alu instid0(VALU_DEP_1) | instskip(NEXT) | instid1(VALU_DEP_1)
	v_mul_f32_e32 v0, v61, v0
	v_and_b32_e32 v1, 0x7f800000, v0
	s_delay_alu instid0(VALU_DEP_1) | instskip(NEXT) | instid1(VALU_DEP_1)
	v_cmp_ne_u32_e64 s1, 0x7f800000, v1
                                        ; implicit-def: $vgpr1
                                        ; kill: killed $vgpr1
	;; [unrolled: 30-line block ×6, first 2 shown]
	s_and_saveexec_b32 s9, s1
	s_delay_alu instid0(SALU_CYCLE_1)
	s_xor_b32 s1, exec_lo, s9
	s_cbranch_execz .LBB205_367
; %bb.366:                              ;   in Loop: Header=BB205_31 Depth=1
	v_bfe_u32 v1, v0, 16, 1
	s_delay_alu instid0(VALU_DEP_1)
	v_add3_u32 v0, v0, v1, 0x7fff
	scratch_store_b32 off, v0, s32 offset:604 ; 4-byte Folded Spill
                                        ; implicit-def: $vgpr0
.LBB205_367:                            ;   in Loop: Header=BB205_31 Depth=1
	s_and_not1_saveexec_b32 s9, s1
	s_cbranch_execz .LBB205_369
; %bb.368:                              ;   in Loop: Header=BB205_31 Depth=1
	v_and_b32_e32 v1, 0xffff, v0
	v_or_b32_e32 v2, 0x10000, v0
	s_delay_alu instid0(VALU_DEP_2) | instskip(NEXT) | instid1(VALU_DEP_1)
	v_cmp_eq_u32_e64 s1, 0, v1
	v_cndmask_b32_e64 v0, v2, v0, s1
	scratch_store_b32 off, v0, s32 offset:604 ; 4-byte Folded Spill
.LBB205_369:                            ;   in Loop: Header=BB205_31 Depth=1
	s_or_b32 exec_lo, exec_lo, s9
	scratch_load_b32 v0, off, s32 offset:816 ; 4-byte Folded Reload
	s_waitcnt vmcnt(0)
	v_add_co_u32 v0, s1, v56, v0
	s_delay_alu instid0(VALU_DEP_1)
	v_add_co_ci_u32_e64 v1, s1, 0, v57, s1
	flat_load_b128 v[0:3], v[0:1]
	s_waitcnt vmcnt(0) lgkmcnt(0)
	v_lshrrev_b32_e32 v7, 16, v0
	v_lshrrev_b32_e32 v6, 16, v1
	;; [unrolled: 1-line block ×4, first 2 shown]
	s_and_saveexec_b32 s9, vcc_lo
	s_cbranch_execz .LBB205_371
; %bb.370:                              ;   in Loop: Header=BB205_31 Depth=1
	v_cmp_lt_i32_e64 s1, v176, v113
	s_delay_alu instid0(VALU_DEP_1) | instskip(SKIP_1) | instid1(VALU_DEP_1)
	v_cndmask_b32_e64 v0, 0, v0, s1
	v_cmp_lt_i32_e64 s1, v47, v113
	v_cndmask_b32_e64 v7, 0, v7, s1
	v_cmp_lt_i32_e64 s1, v46, v113
	s_delay_alu instid0(VALU_DEP_1) | instskip(SKIP_1) | instid1(VALU_DEP_1)
	v_cndmask_b32_e64 v1, 0, v1, s1
	v_cmp_lt_i32_e64 s1, v45, v113
	v_cndmask_b32_e64 v6, 0, v6, s1
	;; [unrolled: 5-line block ×4, first 2 shown]
.LBB205_371:                            ;   in Loop: Header=BB205_31 Depth=1
	s_or_b32 exec_lo, exec_lo, s9
	v_lshlrev_b32_e32 v0, 16, v0
	s_delay_alu instid0(VALU_DEP_1) | instskip(NEXT) | instid1(VALU_DEP_1)
	v_mul_f32_e32 v0, v58, v0
	v_and_b32_e32 v8, 0x7f800000, v0
	s_delay_alu instid0(VALU_DEP_1) | instskip(NEXT) | instid1(VALU_DEP_1)
	v_cmp_ne_u32_e64 s1, 0x7f800000, v8
                                        ; implicit-def: $vgpr8
                                        ; kill: killed $vgpr8
	s_and_saveexec_b32 s9, s1
	s_delay_alu instid0(SALU_CYCLE_1)
	s_xor_b32 s1, exec_lo, s9
	s_cbranch_execz .LBB205_373
; %bb.372:                              ;   in Loop: Header=BB205_31 Depth=1
	v_bfe_u32 v8, v0, 16, 1
	s_delay_alu instid0(VALU_DEP_1)
	v_add3_u32 v0, v0, v8, 0x7fff
	scratch_store_b32 off, v0, s32 offset:608 ; 4-byte Folded Spill
                                        ; implicit-def: $vgpr0
.LBB205_373:                            ;   in Loop: Header=BB205_31 Depth=1
	s_and_not1_saveexec_b32 s9, s1
	s_cbranch_execz .LBB205_375
; %bb.374:                              ;   in Loop: Header=BB205_31 Depth=1
	v_and_b32_e32 v8, 0xffff, v0
	v_or_b32_e32 v9, 0x10000, v0
	s_delay_alu instid0(VALU_DEP_2) | instskip(NEXT) | instid1(VALU_DEP_1)
	v_cmp_eq_u32_e64 s1, 0, v8
	v_cndmask_b32_e64 v0, v9, v0, s1
	scratch_store_b32 off, v0, s32 offset:608 ; 4-byte Folded Spill
.LBB205_375:                            ;   in Loop: Header=BB205_31 Depth=1
	s_or_b32 exec_lo, exec_lo, s9
	v_lshlrev_b32_e32 v0, 16, v7
	s_delay_alu instid0(VALU_DEP_1) | instskip(NEXT) | instid1(VALU_DEP_1)
	v_mul_f32_e32 v0, v59, v0
	v_and_b32_e32 v7, 0x7f800000, v0
	s_delay_alu instid0(VALU_DEP_1) | instskip(NEXT) | instid1(VALU_DEP_1)
	v_cmp_ne_u32_e64 s1, 0x7f800000, v7
                                        ; implicit-def: $vgpr7
                                        ; kill: killed $vgpr7
	s_and_saveexec_b32 s9, s1
	s_delay_alu instid0(SALU_CYCLE_1)
	s_xor_b32 s1, exec_lo, s9
	s_cbranch_execz .LBB205_377
; %bb.376:                              ;   in Loop: Header=BB205_31 Depth=1
	v_bfe_u32 v7, v0, 16, 1
	s_delay_alu instid0(VALU_DEP_1)
	v_add3_u32 v0, v0, v7, 0x7fff
	scratch_store_b32 off, v0, s32 offset:612 ; 4-byte Folded Spill
                                        ; implicit-def: $vgpr0
.LBB205_377:                            ;   in Loop: Header=BB205_31 Depth=1
	s_and_not1_saveexec_b32 s9, s1
	s_cbranch_execz .LBB205_379
; %bb.378:                              ;   in Loop: Header=BB205_31 Depth=1
	v_and_b32_e32 v7, 0xffff, v0
	v_or_b32_e32 v8, 0x10000, v0
	s_delay_alu instid0(VALU_DEP_2) | instskip(NEXT) | instid1(VALU_DEP_1)
	v_cmp_eq_u32_e64 s1, 0, v7
	v_cndmask_b32_e64 v0, v8, v0, s1
	scratch_store_b32 off, v0, s32 offset:612 ; 4-byte Folded Spill
.LBB205_379:                            ;   in Loop: Header=BB205_31 Depth=1
	s_or_b32 exec_lo, exec_lo, s9
	v_lshlrev_b32_e32 v0, 16, v1
	s_delay_alu instid0(VALU_DEP_1) | instskip(NEXT) | instid1(VALU_DEP_1)
	v_mul_f32_e32 v0, v60, v0
	v_and_b32_e32 v1, 0x7f800000, v0
	s_delay_alu instid0(VALU_DEP_1) | instskip(NEXT) | instid1(VALU_DEP_1)
	v_cmp_ne_u32_e64 s1, 0x7f800000, v1
                                        ; implicit-def: $vgpr1
                                        ; kill: killed $vgpr1
	s_and_saveexec_b32 s9, s1
	s_delay_alu instid0(SALU_CYCLE_1)
	s_xor_b32 s1, exec_lo, s9
	s_cbranch_execz .LBB205_381
; %bb.380:                              ;   in Loop: Header=BB205_31 Depth=1
	v_bfe_u32 v1, v0, 16, 1
	s_delay_alu instid0(VALU_DEP_1)
	v_add3_u32 v0, v0, v1, 0x7fff
	scratch_store_b32 off, v0, s32 offset:616 ; 4-byte Folded Spill
                                        ; implicit-def: $vgpr0
.LBB205_381:                            ;   in Loop: Header=BB205_31 Depth=1
	s_and_not1_saveexec_b32 s9, s1
	s_cbranch_execz .LBB205_383
; %bb.382:                              ;   in Loop: Header=BB205_31 Depth=1
	v_and_b32_e32 v1, 0xffff, v0
	v_or_b32_e32 v7, 0x10000, v0
	s_delay_alu instid0(VALU_DEP_2) | instskip(NEXT) | instid1(VALU_DEP_1)
	v_cmp_eq_u32_e64 s1, 0, v1
	v_cndmask_b32_e64 v0, v7, v0, s1
	scratch_store_b32 off, v0, s32 offset:616 ; 4-byte Folded Spill
.LBB205_383:                            ;   in Loop: Header=BB205_31 Depth=1
	s_or_b32 exec_lo, exec_lo, s9
	v_lshlrev_b32_e32 v0, 16, v6
	s_delay_alu instid0(VALU_DEP_1) | instskip(NEXT) | instid1(VALU_DEP_1)
	v_mul_f32_e32 v0, v61, v0
	v_and_b32_e32 v1, 0x7f800000, v0
	s_delay_alu instid0(VALU_DEP_1) | instskip(NEXT) | instid1(VALU_DEP_1)
	v_cmp_ne_u32_e64 s1, 0x7f800000, v1
                                        ; implicit-def: $vgpr1
                                        ; kill: killed $vgpr1
	;; [unrolled: 30-line block ×6, first 2 shown]
	s_and_saveexec_b32 s9, s1
	s_delay_alu instid0(SALU_CYCLE_1)
	s_xor_b32 s1, exec_lo, s9
	s_cbranch_execz .LBB205_401
; %bb.400:                              ;   in Loop: Header=BB205_31 Depth=1
	v_bfe_u32 v1, v0, 16, 1
	s_delay_alu instid0(VALU_DEP_1)
	v_add3_u32 v0, v0, v1, 0x7fff
	scratch_store_b32 off, v0, s32 offset:636 ; 4-byte Folded Spill
                                        ; implicit-def: $vgpr0
.LBB205_401:                            ;   in Loop: Header=BB205_31 Depth=1
	s_and_not1_saveexec_b32 s9, s1
	s_cbranch_execz .LBB205_403
; %bb.402:                              ;   in Loop: Header=BB205_31 Depth=1
	v_and_b32_e32 v1, 0xffff, v0
	v_or_b32_e32 v2, 0x10000, v0
	s_delay_alu instid0(VALU_DEP_2) | instskip(NEXT) | instid1(VALU_DEP_1)
	v_cmp_eq_u32_e64 s1, 0, v1
	v_cndmask_b32_e64 v0, v2, v0, s1
	scratch_store_b32 off, v0, s32 offset:636 ; 4-byte Folded Spill
.LBB205_403:                            ;   in Loop: Header=BB205_31 Depth=1
	s_or_b32 exec_lo, exec_lo, s9
	scratch_load_b32 v0, off, s32 offset:820 ; 4-byte Folded Reload
	s_waitcnt vmcnt(0)
	v_add_co_u32 v0, s1, v56, v0
	s_delay_alu instid0(VALU_DEP_1)
	v_add_co_ci_u32_e64 v1, s1, 0, v57, s1
	flat_load_b128 v[0:3], v[0:1]
	s_waitcnt vmcnt(0) lgkmcnt(0)
	v_lshrrev_b32_e32 v7, 16, v0
	v_lshrrev_b32_e32 v6, 16, v1
	;; [unrolled: 1-line block ×4, first 2 shown]
	s_and_saveexec_b32 s9, vcc_lo
	s_cbranch_execz .LBB205_405
; %bb.404:                              ;   in Loop: Header=BB205_31 Depth=1
	v_cmp_lt_i32_e64 s1, v176, v113
	s_delay_alu instid0(VALU_DEP_1) | instskip(SKIP_1) | instid1(VALU_DEP_1)
	v_cndmask_b32_e64 v0, 0, v0, s1
	v_cmp_lt_i32_e64 s1, v47, v113
	v_cndmask_b32_e64 v7, 0, v7, s1
	v_cmp_lt_i32_e64 s1, v46, v113
	s_delay_alu instid0(VALU_DEP_1) | instskip(SKIP_1) | instid1(VALU_DEP_1)
	v_cndmask_b32_e64 v1, 0, v1, s1
	v_cmp_lt_i32_e64 s1, v45, v113
	v_cndmask_b32_e64 v6, 0, v6, s1
	;; [unrolled: 5-line block ×4, first 2 shown]
.LBB205_405:                            ;   in Loop: Header=BB205_31 Depth=1
	s_or_b32 exec_lo, exec_lo, s9
	v_lshlrev_b32_e32 v0, 16, v0
	s_delay_alu instid0(VALU_DEP_1) | instskip(NEXT) | instid1(VALU_DEP_1)
	v_mul_f32_e32 v0, v58, v0
	v_and_b32_e32 v8, 0x7f800000, v0
	s_delay_alu instid0(VALU_DEP_1) | instskip(NEXT) | instid1(VALU_DEP_1)
	v_cmp_ne_u32_e64 s1, 0x7f800000, v8
                                        ; implicit-def: $vgpr8
                                        ; kill: killed $vgpr8
	s_and_saveexec_b32 s9, s1
	s_delay_alu instid0(SALU_CYCLE_1)
	s_xor_b32 s1, exec_lo, s9
	s_cbranch_execz .LBB205_407
; %bb.406:                              ;   in Loop: Header=BB205_31 Depth=1
	v_bfe_u32 v8, v0, 16, 1
	s_delay_alu instid0(VALU_DEP_1)
	v_add3_u32 v0, v0, v8, 0x7fff
	scratch_store_b32 off, v0, s32 offset:640 ; 4-byte Folded Spill
                                        ; implicit-def: $vgpr0
.LBB205_407:                            ;   in Loop: Header=BB205_31 Depth=1
	s_and_not1_saveexec_b32 s9, s1
	s_cbranch_execz .LBB205_409
; %bb.408:                              ;   in Loop: Header=BB205_31 Depth=1
	v_and_b32_e32 v8, 0xffff, v0
	v_or_b32_e32 v9, 0x10000, v0
	s_delay_alu instid0(VALU_DEP_2) | instskip(NEXT) | instid1(VALU_DEP_1)
	v_cmp_eq_u32_e64 s1, 0, v8
	v_cndmask_b32_e64 v0, v9, v0, s1
	scratch_store_b32 off, v0, s32 offset:640 ; 4-byte Folded Spill
.LBB205_409:                            ;   in Loop: Header=BB205_31 Depth=1
	s_or_b32 exec_lo, exec_lo, s9
	v_lshlrev_b32_e32 v0, 16, v7
	s_delay_alu instid0(VALU_DEP_1) | instskip(NEXT) | instid1(VALU_DEP_1)
	v_mul_f32_e32 v0, v59, v0
	v_and_b32_e32 v7, 0x7f800000, v0
	s_delay_alu instid0(VALU_DEP_1) | instskip(NEXT) | instid1(VALU_DEP_1)
	v_cmp_ne_u32_e64 s1, 0x7f800000, v7
                                        ; implicit-def: $vgpr7
                                        ; kill: killed $vgpr7
	s_and_saveexec_b32 s9, s1
	s_delay_alu instid0(SALU_CYCLE_1)
	s_xor_b32 s1, exec_lo, s9
	s_cbranch_execz .LBB205_411
; %bb.410:                              ;   in Loop: Header=BB205_31 Depth=1
	v_bfe_u32 v7, v0, 16, 1
	s_delay_alu instid0(VALU_DEP_1)
	v_add3_u32 v0, v0, v7, 0x7fff
	scratch_store_b32 off, v0, s32 offset:644 ; 4-byte Folded Spill
                                        ; implicit-def: $vgpr0
.LBB205_411:                            ;   in Loop: Header=BB205_31 Depth=1
	s_and_not1_saveexec_b32 s9, s1
	s_cbranch_execz .LBB205_413
; %bb.412:                              ;   in Loop: Header=BB205_31 Depth=1
	v_and_b32_e32 v7, 0xffff, v0
	v_or_b32_e32 v8, 0x10000, v0
	s_delay_alu instid0(VALU_DEP_2) | instskip(NEXT) | instid1(VALU_DEP_1)
	v_cmp_eq_u32_e64 s1, 0, v7
	v_cndmask_b32_e64 v0, v8, v0, s1
	scratch_store_b32 off, v0, s32 offset:644 ; 4-byte Folded Spill
.LBB205_413:                            ;   in Loop: Header=BB205_31 Depth=1
	s_or_b32 exec_lo, exec_lo, s9
	v_lshlrev_b32_e32 v0, 16, v1
	s_delay_alu instid0(VALU_DEP_1) | instskip(NEXT) | instid1(VALU_DEP_1)
	v_mul_f32_e32 v0, v60, v0
	v_and_b32_e32 v1, 0x7f800000, v0
	s_delay_alu instid0(VALU_DEP_1) | instskip(NEXT) | instid1(VALU_DEP_1)
	v_cmp_ne_u32_e64 s1, 0x7f800000, v1
                                        ; implicit-def: $vgpr1
                                        ; kill: killed $vgpr1
	s_and_saveexec_b32 s9, s1
	s_delay_alu instid0(SALU_CYCLE_1)
	s_xor_b32 s1, exec_lo, s9
	s_cbranch_execz .LBB205_415
; %bb.414:                              ;   in Loop: Header=BB205_31 Depth=1
	v_bfe_u32 v1, v0, 16, 1
	s_delay_alu instid0(VALU_DEP_1)
	v_add3_u32 v0, v0, v1, 0x7fff
	scratch_store_b32 off, v0, s32 offset:648 ; 4-byte Folded Spill
                                        ; implicit-def: $vgpr0
.LBB205_415:                            ;   in Loop: Header=BB205_31 Depth=1
	s_and_not1_saveexec_b32 s9, s1
	s_cbranch_execz .LBB205_417
; %bb.416:                              ;   in Loop: Header=BB205_31 Depth=1
	v_and_b32_e32 v1, 0xffff, v0
	v_or_b32_e32 v7, 0x10000, v0
	s_delay_alu instid0(VALU_DEP_2) | instskip(NEXT) | instid1(VALU_DEP_1)
	v_cmp_eq_u32_e64 s1, 0, v1
	v_cndmask_b32_e64 v0, v7, v0, s1
	scratch_store_b32 off, v0, s32 offset:648 ; 4-byte Folded Spill
.LBB205_417:                            ;   in Loop: Header=BB205_31 Depth=1
	s_or_b32 exec_lo, exec_lo, s9
	v_lshlrev_b32_e32 v0, 16, v6
	s_delay_alu instid0(VALU_DEP_1) | instskip(NEXT) | instid1(VALU_DEP_1)
	v_mul_f32_e32 v0, v61, v0
	v_and_b32_e32 v1, 0x7f800000, v0
	s_delay_alu instid0(VALU_DEP_1) | instskip(NEXT) | instid1(VALU_DEP_1)
	v_cmp_ne_u32_e64 s1, 0x7f800000, v1
                                        ; implicit-def: $vgpr1
                                        ; kill: killed $vgpr1
	;; [unrolled: 30-line block ×6, first 2 shown]
	s_and_saveexec_b32 s9, s1
	s_delay_alu instid0(SALU_CYCLE_1)
	s_xor_b32 s1, exec_lo, s9
	s_cbranch_execz .LBB205_435
; %bb.434:                              ;   in Loop: Header=BB205_31 Depth=1
	v_bfe_u32 v1, v0, 16, 1
	s_delay_alu instid0(VALU_DEP_1)
	v_add3_u32 v0, v0, v1, 0x7fff
	scratch_store_b32 off, v0, s32 offset:668 ; 4-byte Folded Spill
                                        ; implicit-def: $vgpr0
.LBB205_435:                            ;   in Loop: Header=BB205_31 Depth=1
	s_and_not1_saveexec_b32 s9, s1
	s_cbranch_execz .LBB205_437
; %bb.436:                              ;   in Loop: Header=BB205_31 Depth=1
	v_and_b32_e32 v1, 0xffff, v0
	v_or_b32_e32 v2, 0x10000, v0
	s_delay_alu instid0(VALU_DEP_2) | instskip(NEXT) | instid1(VALU_DEP_1)
	v_cmp_eq_u32_e64 s1, 0, v1
	v_cndmask_b32_e64 v0, v2, v0, s1
	scratch_store_b32 off, v0, s32 offset:668 ; 4-byte Folded Spill
.LBB205_437:                            ;   in Loop: Header=BB205_31 Depth=1
	s_or_b32 exec_lo, exec_lo, s9
	scratch_load_b32 v0, off, s32 offset:824 ; 4-byte Folded Reload
	s_waitcnt vmcnt(0)
	v_add_co_u32 v0, s1, v56, v0
	s_delay_alu instid0(VALU_DEP_1)
	v_add_co_ci_u32_e64 v1, s1, 0, v57, s1
	flat_load_b128 v[0:3], v[0:1]
	s_waitcnt vmcnt(0) lgkmcnt(0)
	v_lshrrev_b32_e32 v7, 16, v0
	v_lshrrev_b32_e32 v6, 16, v1
	;; [unrolled: 1-line block ×4, first 2 shown]
	s_and_saveexec_b32 s9, vcc_lo
	s_cbranch_execz .LBB205_439
; %bb.438:                              ;   in Loop: Header=BB205_31 Depth=1
	v_cmp_lt_i32_e64 s1, v176, v113
	s_delay_alu instid0(VALU_DEP_1) | instskip(SKIP_1) | instid1(VALU_DEP_1)
	v_cndmask_b32_e64 v0, 0, v0, s1
	v_cmp_lt_i32_e64 s1, v47, v113
	v_cndmask_b32_e64 v7, 0, v7, s1
	v_cmp_lt_i32_e64 s1, v46, v113
	s_delay_alu instid0(VALU_DEP_1) | instskip(SKIP_1) | instid1(VALU_DEP_1)
	v_cndmask_b32_e64 v1, 0, v1, s1
	v_cmp_lt_i32_e64 s1, v45, v113
	v_cndmask_b32_e64 v6, 0, v6, s1
	;; [unrolled: 5-line block ×4, first 2 shown]
.LBB205_439:                            ;   in Loop: Header=BB205_31 Depth=1
	s_or_b32 exec_lo, exec_lo, s9
	v_lshlrev_b32_e32 v0, 16, v0
	s_delay_alu instid0(VALU_DEP_1) | instskip(NEXT) | instid1(VALU_DEP_1)
	v_mul_f32_e32 v0, v58, v0
	v_and_b32_e32 v8, 0x7f800000, v0
	s_delay_alu instid0(VALU_DEP_1) | instskip(NEXT) | instid1(VALU_DEP_1)
	v_cmp_ne_u32_e64 s1, 0x7f800000, v8
                                        ; implicit-def: $vgpr8
                                        ; kill: killed $vgpr8
	s_and_saveexec_b32 s9, s1
	s_delay_alu instid0(SALU_CYCLE_1)
	s_xor_b32 s1, exec_lo, s9
	s_cbranch_execz .LBB205_441
; %bb.440:                              ;   in Loop: Header=BB205_31 Depth=1
	v_bfe_u32 v8, v0, 16, 1
	s_delay_alu instid0(VALU_DEP_1)
	v_add3_u32 v0, v0, v8, 0x7fff
	scratch_store_b32 off, v0, s32 offset:672 ; 4-byte Folded Spill
                                        ; implicit-def: $vgpr0
.LBB205_441:                            ;   in Loop: Header=BB205_31 Depth=1
	s_and_not1_saveexec_b32 s9, s1
	s_cbranch_execz .LBB205_443
; %bb.442:                              ;   in Loop: Header=BB205_31 Depth=1
	v_and_b32_e32 v8, 0xffff, v0
	v_or_b32_e32 v9, 0x10000, v0
	s_delay_alu instid0(VALU_DEP_2) | instskip(NEXT) | instid1(VALU_DEP_1)
	v_cmp_eq_u32_e64 s1, 0, v8
	v_cndmask_b32_e64 v0, v9, v0, s1
	scratch_store_b32 off, v0, s32 offset:672 ; 4-byte Folded Spill
.LBB205_443:                            ;   in Loop: Header=BB205_31 Depth=1
	s_or_b32 exec_lo, exec_lo, s9
	v_lshlrev_b32_e32 v0, 16, v7
	s_delay_alu instid0(VALU_DEP_1) | instskip(NEXT) | instid1(VALU_DEP_1)
	v_mul_f32_e32 v0, v59, v0
	v_and_b32_e32 v7, 0x7f800000, v0
	s_delay_alu instid0(VALU_DEP_1) | instskip(NEXT) | instid1(VALU_DEP_1)
	v_cmp_ne_u32_e64 s1, 0x7f800000, v7
                                        ; implicit-def: $vgpr7
                                        ; kill: killed $vgpr7
	s_and_saveexec_b32 s9, s1
	s_delay_alu instid0(SALU_CYCLE_1)
	s_xor_b32 s1, exec_lo, s9
	s_cbranch_execz .LBB205_445
; %bb.444:                              ;   in Loop: Header=BB205_31 Depth=1
	v_bfe_u32 v7, v0, 16, 1
	s_delay_alu instid0(VALU_DEP_1)
	v_add3_u32 v0, v0, v7, 0x7fff
	scratch_store_b32 off, v0, s32 offset:676 ; 4-byte Folded Spill
                                        ; implicit-def: $vgpr0
.LBB205_445:                            ;   in Loop: Header=BB205_31 Depth=1
	s_and_not1_saveexec_b32 s9, s1
	s_cbranch_execz .LBB205_447
; %bb.446:                              ;   in Loop: Header=BB205_31 Depth=1
	v_and_b32_e32 v7, 0xffff, v0
	v_or_b32_e32 v8, 0x10000, v0
	s_delay_alu instid0(VALU_DEP_2) | instskip(NEXT) | instid1(VALU_DEP_1)
	v_cmp_eq_u32_e64 s1, 0, v7
	v_cndmask_b32_e64 v0, v8, v0, s1
	scratch_store_b32 off, v0, s32 offset:676 ; 4-byte Folded Spill
.LBB205_447:                            ;   in Loop: Header=BB205_31 Depth=1
	s_or_b32 exec_lo, exec_lo, s9
	v_lshlrev_b32_e32 v0, 16, v1
	s_delay_alu instid0(VALU_DEP_1) | instskip(NEXT) | instid1(VALU_DEP_1)
	v_mul_f32_e32 v0, v60, v0
	v_and_b32_e32 v1, 0x7f800000, v0
	s_delay_alu instid0(VALU_DEP_1) | instskip(NEXT) | instid1(VALU_DEP_1)
	v_cmp_ne_u32_e64 s1, 0x7f800000, v1
                                        ; implicit-def: $vgpr1
                                        ; kill: killed $vgpr1
	s_and_saveexec_b32 s9, s1
	s_delay_alu instid0(SALU_CYCLE_1)
	s_xor_b32 s1, exec_lo, s9
	s_cbranch_execz .LBB205_449
; %bb.448:                              ;   in Loop: Header=BB205_31 Depth=1
	v_bfe_u32 v1, v0, 16, 1
	s_delay_alu instid0(VALU_DEP_1)
	v_add3_u32 v0, v0, v1, 0x7fff
	scratch_store_b32 off, v0, s32 offset:680 ; 4-byte Folded Spill
                                        ; implicit-def: $vgpr0
.LBB205_449:                            ;   in Loop: Header=BB205_31 Depth=1
	s_and_not1_saveexec_b32 s9, s1
	s_cbranch_execz .LBB205_451
; %bb.450:                              ;   in Loop: Header=BB205_31 Depth=1
	v_and_b32_e32 v1, 0xffff, v0
	v_or_b32_e32 v7, 0x10000, v0
	s_delay_alu instid0(VALU_DEP_2) | instskip(NEXT) | instid1(VALU_DEP_1)
	v_cmp_eq_u32_e64 s1, 0, v1
	v_cndmask_b32_e64 v0, v7, v0, s1
	scratch_store_b32 off, v0, s32 offset:680 ; 4-byte Folded Spill
.LBB205_451:                            ;   in Loop: Header=BB205_31 Depth=1
	s_or_b32 exec_lo, exec_lo, s9
	v_lshlrev_b32_e32 v0, 16, v6
	s_delay_alu instid0(VALU_DEP_1) | instskip(NEXT) | instid1(VALU_DEP_1)
	v_mul_f32_e32 v0, v61, v0
	v_and_b32_e32 v1, 0x7f800000, v0
	s_delay_alu instid0(VALU_DEP_1) | instskip(NEXT) | instid1(VALU_DEP_1)
	v_cmp_ne_u32_e64 s1, 0x7f800000, v1
                                        ; implicit-def: $vgpr1
                                        ; kill: killed $vgpr1
	;; [unrolled: 30-line block ×6, first 2 shown]
	s_and_saveexec_b32 s9, s1
	s_delay_alu instid0(SALU_CYCLE_1)
	s_xor_b32 s1, exec_lo, s9
	s_cbranch_execz .LBB205_469
; %bb.468:                              ;   in Loop: Header=BB205_31 Depth=1
	v_bfe_u32 v1, v0, 16, 1
	s_delay_alu instid0(VALU_DEP_1)
	v_add3_u32 v0, v0, v1, 0x7fff
	scratch_store_b32 off, v0, s32 offset:700 ; 4-byte Folded Spill
                                        ; implicit-def: $vgpr0
.LBB205_469:                            ;   in Loop: Header=BB205_31 Depth=1
	s_and_not1_saveexec_b32 s9, s1
	s_cbranch_execz .LBB205_471
; %bb.470:                              ;   in Loop: Header=BB205_31 Depth=1
	v_and_b32_e32 v1, 0xffff, v0
	v_or_b32_e32 v2, 0x10000, v0
	s_delay_alu instid0(VALU_DEP_2) | instskip(NEXT) | instid1(VALU_DEP_1)
	v_cmp_eq_u32_e64 s1, 0, v1
	v_cndmask_b32_e64 v0, v2, v0, s1
	scratch_store_b32 off, v0, s32 offset:700 ; 4-byte Folded Spill
.LBB205_471:                            ;   in Loop: Header=BB205_31 Depth=1
	s_or_b32 exec_lo, exec_lo, s9
	scratch_load_b32 v0, off, s32 offset:828 ; 4-byte Folded Reload
	s_waitcnt vmcnt(0)
	v_add_co_u32 v0, s1, v56, v0
	s_delay_alu instid0(VALU_DEP_1)
	v_add_co_ci_u32_e64 v1, s1, 0, v57, s1
	flat_load_b128 v[0:3], v[0:1]
	s_waitcnt vmcnt(0) lgkmcnt(0)
	v_lshrrev_b32_e32 v7, 16, v0
	v_lshrrev_b32_e32 v6, 16, v1
	v_lshrrev_b32_e32 v5, 16, v2
	v_lshrrev_b32_e32 v4, 16, v3
	s_and_saveexec_b32 s9, vcc_lo
	s_cbranch_execz .LBB205_473
; %bb.472:                              ;   in Loop: Header=BB205_31 Depth=1
	v_cmp_lt_i32_e64 s1, v176, v113
	s_delay_alu instid0(VALU_DEP_1) | instskip(SKIP_1) | instid1(VALU_DEP_1)
	v_cndmask_b32_e64 v0, 0, v0, s1
	v_cmp_lt_i32_e64 s1, v47, v113
	v_cndmask_b32_e64 v7, 0, v7, s1
	v_cmp_lt_i32_e64 s1, v46, v113
	s_delay_alu instid0(VALU_DEP_1) | instskip(SKIP_1) | instid1(VALU_DEP_1)
	v_cndmask_b32_e64 v1, 0, v1, s1
	v_cmp_lt_i32_e64 s1, v45, v113
	v_cndmask_b32_e64 v6, 0, v6, s1
	;; [unrolled: 5-line block ×4, first 2 shown]
.LBB205_473:                            ;   in Loop: Header=BB205_31 Depth=1
	s_or_b32 exec_lo, exec_lo, s9
	v_lshlrev_b32_e32 v0, 16, v0
	s_delay_alu instid0(VALU_DEP_1) | instskip(NEXT) | instid1(VALU_DEP_1)
	v_mul_f32_e32 v0, v58, v0
	v_and_b32_e32 v8, 0x7f800000, v0
	s_delay_alu instid0(VALU_DEP_1) | instskip(NEXT) | instid1(VALU_DEP_1)
	v_cmp_ne_u32_e64 s1, 0x7f800000, v8
                                        ; implicit-def: $vgpr8
                                        ; kill: killed $vgpr8
	s_and_saveexec_b32 s9, s1
	s_delay_alu instid0(SALU_CYCLE_1)
	s_xor_b32 s1, exec_lo, s9
	s_cbranch_execz .LBB205_475
; %bb.474:                              ;   in Loop: Header=BB205_31 Depth=1
	v_bfe_u32 v8, v0, 16, 1
	s_delay_alu instid0(VALU_DEP_1)
	v_add3_u32 v0, v0, v8, 0x7fff
	scratch_store_b32 off, v0, s32 offset:704 ; 4-byte Folded Spill
                                        ; implicit-def: $vgpr0
.LBB205_475:                            ;   in Loop: Header=BB205_31 Depth=1
	s_and_not1_saveexec_b32 s9, s1
	s_cbranch_execz .LBB205_477
; %bb.476:                              ;   in Loop: Header=BB205_31 Depth=1
	v_and_b32_e32 v8, 0xffff, v0
	v_or_b32_e32 v9, 0x10000, v0
	s_delay_alu instid0(VALU_DEP_2) | instskip(NEXT) | instid1(VALU_DEP_1)
	v_cmp_eq_u32_e64 s1, 0, v8
	v_cndmask_b32_e64 v0, v9, v0, s1
	scratch_store_b32 off, v0, s32 offset:704 ; 4-byte Folded Spill
.LBB205_477:                            ;   in Loop: Header=BB205_31 Depth=1
	s_or_b32 exec_lo, exec_lo, s9
	v_lshlrev_b32_e32 v0, 16, v7
	s_delay_alu instid0(VALU_DEP_1) | instskip(NEXT) | instid1(VALU_DEP_1)
	v_mul_f32_e32 v0, v59, v0
	v_and_b32_e32 v7, 0x7f800000, v0
	s_delay_alu instid0(VALU_DEP_1) | instskip(NEXT) | instid1(VALU_DEP_1)
	v_cmp_ne_u32_e64 s1, 0x7f800000, v7
                                        ; implicit-def: $vgpr7
                                        ; kill: killed $vgpr7
	s_and_saveexec_b32 s9, s1
	s_delay_alu instid0(SALU_CYCLE_1)
	s_xor_b32 s1, exec_lo, s9
	s_cbranch_execz .LBB205_479
; %bb.478:                              ;   in Loop: Header=BB205_31 Depth=1
	v_bfe_u32 v7, v0, 16, 1
	s_delay_alu instid0(VALU_DEP_1)
	v_add3_u32 v0, v0, v7, 0x7fff
	scratch_store_b32 off, v0, s32 offset:708 ; 4-byte Folded Spill
                                        ; implicit-def: $vgpr0
.LBB205_479:                            ;   in Loop: Header=BB205_31 Depth=1
	s_and_not1_saveexec_b32 s9, s1
	s_cbranch_execz .LBB205_481
; %bb.480:                              ;   in Loop: Header=BB205_31 Depth=1
	v_and_b32_e32 v7, 0xffff, v0
	v_or_b32_e32 v8, 0x10000, v0
	s_delay_alu instid0(VALU_DEP_2) | instskip(NEXT) | instid1(VALU_DEP_1)
	v_cmp_eq_u32_e64 s1, 0, v7
	v_cndmask_b32_e64 v0, v8, v0, s1
	scratch_store_b32 off, v0, s32 offset:708 ; 4-byte Folded Spill
.LBB205_481:                            ;   in Loop: Header=BB205_31 Depth=1
	s_or_b32 exec_lo, exec_lo, s9
	v_lshlrev_b32_e32 v0, 16, v1
	s_delay_alu instid0(VALU_DEP_1) | instskip(NEXT) | instid1(VALU_DEP_1)
	v_mul_f32_e32 v0, v60, v0
	v_and_b32_e32 v1, 0x7f800000, v0
	s_delay_alu instid0(VALU_DEP_1) | instskip(NEXT) | instid1(VALU_DEP_1)
	v_cmp_ne_u32_e64 s1, 0x7f800000, v1
                                        ; implicit-def: $vgpr1
                                        ; kill: killed $vgpr1
	s_and_saveexec_b32 s9, s1
	s_delay_alu instid0(SALU_CYCLE_1)
	s_xor_b32 s1, exec_lo, s9
	s_cbranch_execz .LBB205_483
; %bb.482:                              ;   in Loop: Header=BB205_31 Depth=1
	v_bfe_u32 v1, v0, 16, 1
	s_delay_alu instid0(VALU_DEP_1)
	v_add3_u32 v0, v0, v1, 0x7fff
	scratch_store_b32 off, v0, s32 offset:712 ; 4-byte Folded Spill
                                        ; implicit-def: $vgpr0
.LBB205_483:                            ;   in Loop: Header=BB205_31 Depth=1
	s_and_not1_saveexec_b32 s9, s1
	s_cbranch_execz .LBB205_485
; %bb.484:                              ;   in Loop: Header=BB205_31 Depth=1
	v_and_b32_e32 v1, 0xffff, v0
	v_or_b32_e32 v7, 0x10000, v0
	s_delay_alu instid0(VALU_DEP_2) | instskip(NEXT) | instid1(VALU_DEP_1)
	v_cmp_eq_u32_e64 s1, 0, v1
	v_cndmask_b32_e64 v0, v7, v0, s1
	scratch_store_b32 off, v0, s32 offset:712 ; 4-byte Folded Spill
.LBB205_485:                            ;   in Loop: Header=BB205_31 Depth=1
	s_or_b32 exec_lo, exec_lo, s9
	v_lshlrev_b32_e32 v0, 16, v6
	s_delay_alu instid0(VALU_DEP_1) | instskip(NEXT) | instid1(VALU_DEP_1)
	v_mul_f32_e32 v0, v61, v0
	v_and_b32_e32 v1, 0x7f800000, v0
	s_delay_alu instid0(VALU_DEP_1) | instskip(NEXT) | instid1(VALU_DEP_1)
	v_cmp_ne_u32_e64 s1, 0x7f800000, v1
                                        ; implicit-def: $vgpr1
                                        ; kill: killed $vgpr1
	;; [unrolled: 30-line block ×6, first 2 shown]
	s_and_saveexec_b32 s9, s1
	s_delay_alu instid0(SALU_CYCLE_1)
	s_xor_b32 s1, exec_lo, s9
	s_cbranch_execz .LBB205_503
; %bb.502:                              ;   in Loop: Header=BB205_31 Depth=1
	v_bfe_u32 v1, v0, 16, 1
	s_delay_alu instid0(VALU_DEP_1)
	v_add3_u32 v0, v0, v1, 0x7fff
	scratch_store_b32 off, v0, s32 offset:732 ; 4-byte Folded Spill
                                        ; implicit-def: $vgpr0
.LBB205_503:                            ;   in Loop: Header=BB205_31 Depth=1
	s_and_not1_saveexec_b32 s9, s1
	s_cbranch_execz .LBB205_505
; %bb.504:                              ;   in Loop: Header=BB205_31 Depth=1
	v_and_b32_e32 v1, 0xffff, v0
	v_or_b32_e32 v2, 0x10000, v0
	s_delay_alu instid0(VALU_DEP_2) | instskip(NEXT) | instid1(VALU_DEP_1)
	v_cmp_eq_u32_e64 s1, 0, v1
	v_cndmask_b32_e64 v0, v2, v0, s1
	scratch_store_b32 off, v0, s32 offset:732 ; 4-byte Folded Spill
.LBB205_505:                            ;   in Loop: Header=BB205_31 Depth=1
	s_or_b32 exec_lo, exec_lo, s9
	scratch_load_b32 v0, off, s32 offset:832 ; 4-byte Folded Reload
	s_waitcnt vmcnt(0)
	v_add_co_u32 v0, s1, v56, v0
	s_delay_alu instid0(VALU_DEP_1)
	v_add_co_ci_u32_e64 v1, s1, 0, v57, s1
	flat_load_b128 v[0:3], v[0:1]
	s_waitcnt vmcnt(0) lgkmcnt(0)
	v_lshrrev_b32_e32 v7, 16, v0
	v_lshrrev_b32_e32 v6, 16, v1
	v_lshrrev_b32_e32 v5, 16, v2
	v_lshrrev_b32_e32 v4, 16, v3
	s_and_saveexec_b32 s9, vcc_lo
	s_cbranch_execz .LBB205_507
; %bb.506:                              ;   in Loop: Header=BB205_31 Depth=1
	v_cmp_lt_i32_e64 s1, v176, v113
	s_delay_alu instid0(VALU_DEP_1) | instskip(SKIP_1) | instid1(VALU_DEP_1)
	v_cndmask_b32_e64 v0, 0, v0, s1
	v_cmp_lt_i32_e64 s1, v47, v113
	v_cndmask_b32_e64 v7, 0, v7, s1
	v_cmp_lt_i32_e64 s1, v46, v113
	s_delay_alu instid0(VALU_DEP_1) | instskip(SKIP_1) | instid1(VALU_DEP_1)
	v_cndmask_b32_e64 v1, 0, v1, s1
	v_cmp_lt_i32_e64 s1, v45, v113
	v_cndmask_b32_e64 v6, 0, v6, s1
	;; [unrolled: 5-line block ×4, first 2 shown]
.LBB205_507:                            ;   in Loop: Header=BB205_31 Depth=1
	s_or_b32 exec_lo, exec_lo, s9
	v_lshlrev_b32_e32 v0, 16, v0
	s_delay_alu instid0(VALU_DEP_1) | instskip(NEXT) | instid1(VALU_DEP_1)
	v_mul_f32_e32 v0, v58, v0
	v_and_b32_e32 v8, 0x7f800000, v0
	s_delay_alu instid0(VALU_DEP_1) | instskip(NEXT) | instid1(VALU_DEP_1)
	v_cmp_ne_u32_e64 s1, 0x7f800000, v8
                                        ; implicit-def: $vgpr8
                                        ; kill: killed $vgpr8
	s_and_saveexec_b32 s9, s1
	s_delay_alu instid0(SALU_CYCLE_1)
	s_xor_b32 s1, exec_lo, s9
	s_cbranch_execz .LBB205_509
; %bb.508:                              ;   in Loop: Header=BB205_31 Depth=1
	v_bfe_u32 v8, v0, 16, 1
	s_delay_alu instid0(VALU_DEP_1)
	v_add3_u32 v0, v0, v8, 0x7fff
	scratch_store_b32 off, v0, s32 offset:736 ; 4-byte Folded Spill
                                        ; implicit-def: $vgpr0
.LBB205_509:                            ;   in Loop: Header=BB205_31 Depth=1
	s_and_not1_saveexec_b32 s9, s1
	s_cbranch_execz .LBB205_511
; %bb.510:                              ;   in Loop: Header=BB205_31 Depth=1
	v_and_b32_e32 v8, 0xffff, v0
	v_or_b32_e32 v9, 0x10000, v0
	s_delay_alu instid0(VALU_DEP_2) | instskip(NEXT) | instid1(VALU_DEP_1)
	v_cmp_eq_u32_e64 s1, 0, v8
	v_cndmask_b32_e64 v0, v9, v0, s1
	scratch_store_b32 off, v0, s32 offset:736 ; 4-byte Folded Spill
.LBB205_511:                            ;   in Loop: Header=BB205_31 Depth=1
	s_or_b32 exec_lo, exec_lo, s9
	v_lshlrev_b32_e32 v0, 16, v7
	s_delay_alu instid0(VALU_DEP_1) | instskip(NEXT) | instid1(VALU_DEP_1)
	v_mul_f32_e32 v0, v59, v0
	v_and_b32_e32 v7, 0x7f800000, v0
	s_delay_alu instid0(VALU_DEP_1) | instskip(NEXT) | instid1(VALU_DEP_1)
	v_cmp_ne_u32_e64 s1, 0x7f800000, v7
                                        ; implicit-def: $vgpr7
                                        ; kill: killed $vgpr7
	s_and_saveexec_b32 s9, s1
	s_delay_alu instid0(SALU_CYCLE_1)
	s_xor_b32 s1, exec_lo, s9
	s_cbranch_execz .LBB205_513
; %bb.512:                              ;   in Loop: Header=BB205_31 Depth=1
	v_bfe_u32 v7, v0, 16, 1
	s_delay_alu instid0(VALU_DEP_1)
	v_add3_u32 v0, v0, v7, 0x7fff
	scratch_store_b32 off, v0, s32 offset:740 ; 4-byte Folded Spill
                                        ; implicit-def: $vgpr0
.LBB205_513:                            ;   in Loop: Header=BB205_31 Depth=1
	s_and_not1_saveexec_b32 s9, s1
	s_cbranch_execz .LBB205_515
; %bb.514:                              ;   in Loop: Header=BB205_31 Depth=1
	v_and_b32_e32 v7, 0xffff, v0
	v_or_b32_e32 v8, 0x10000, v0
	s_delay_alu instid0(VALU_DEP_2) | instskip(NEXT) | instid1(VALU_DEP_1)
	v_cmp_eq_u32_e64 s1, 0, v7
	v_cndmask_b32_e64 v0, v8, v0, s1
	scratch_store_b32 off, v0, s32 offset:740 ; 4-byte Folded Spill
.LBB205_515:                            ;   in Loop: Header=BB205_31 Depth=1
	s_or_b32 exec_lo, exec_lo, s9
	v_lshlrev_b32_e32 v0, 16, v1
	s_delay_alu instid0(VALU_DEP_1) | instskip(NEXT) | instid1(VALU_DEP_1)
	v_mul_f32_e32 v0, v60, v0
	v_and_b32_e32 v1, 0x7f800000, v0
	s_delay_alu instid0(VALU_DEP_1) | instskip(NEXT) | instid1(VALU_DEP_1)
	v_cmp_ne_u32_e64 s1, 0x7f800000, v1
                                        ; implicit-def: $vgpr1
                                        ; kill: killed $vgpr1
	s_and_saveexec_b32 s9, s1
	s_delay_alu instid0(SALU_CYCLE_1)
	s_xor_b32 s1, exec_lo, s9
	s_cbranch_execz .LBB205_517
; %bb.516:                              ;   in Loop: Header=BB205_31 Depth=1
	v_bfe_u32 v1, v0, 16, 1
	s_delay_alu instid0(VALU_DEP_1)
	v_add3_u32 v0, v0, v1, 0x7fff
	scratch_store_b32 off, v0, s32 offset:744 ; 4-byte Folded Spill
                                        ; implicit-def: $vgpr0
.LBB205_517:                            ;   in Loop: Header=BB205_31 Depth=1
	s_and_not1_saveexec_b32 s9, s1
	s_cbranch_execz .LBB205_519
; %bb.518:                              ;   in Loop: Header=BB205_31 Depth=1
	v_and_b32_e32 v1, 0xffff, v0
	v_or_b32_e32 v7, 0x10000, v0
	s_delay_alu instid0(VALU_DEP_2) | instskip(NEXT) | instid1(VALU_DEP_1)
	v_cmp_eq_u32_e64 s1, 0, v1
	v_cndmask_b32_e64 v0, v7, v0, s1
	scratch_store_b32 off, v0, s32 offset:744 ; 4-byte Folded Spill
.LBB205_519:                            ;   in Loop: Header=BB205_31 Depth=1
	s_or_b32 exec_lo, exec_lo, s9
	v_lshlrev_b32_e32 v0, 16, v6
	s_delay_alu instid0(VALU_DEP_1) | instskip(NEXT) | instid1(VALU_DEP_1)
	v_mul_f32_e32 v0, v61, v0
	v_and_b32_e32 v1, 0x7f800000, v0
	s_delay_alu instid0(VALU_DEP_1) | instskip(NEXT) | instid1(VALU_DEP_1)
	v_cmp_ne_u32_e64 s1, 0x7f800000, v1
                                        ; implicit-def: $vgpr1
                                        ; kill: killed $vgpr1
	;; [unrolled: 30-line block ×6, first 2 shown]
	s_and_saveexec_b32 s9, s1
	s_delay_alu instid0(SALU_CYCLE_1)
	s_xor_b32 s1, exec_lo, s9
	s_cbranch_execz .LBB205_537
; %bb.536:                              ;   in Loop: Header=BB205_31 Depth=1
	v_bfe_u32 v1, v0, 16, 1
	s_delay_alu instid0(VALU_DEP_1)
	v_add3_u32 v0, v0, v1, 0x7fff
	scratch_store_b32 off, v0, s32 offset:764 ; 4-byte Folded Spill
                                        ; implicit-def: $vgpr0
.LBB205_537:                            ;   in Loop: Header=BB205_31 Depth=1
	s_and_not1_saveexec_b32 s9, s1
	s_cbranch_execz .LBB205_539
; %bb.538:                              ;   in Loop: Header=BB205_31 Depth=1
	v_and_b32_e32 v1, 0xffff, v0
	v_or_b32_e32 v2, 0x10000, v0
	s_delay_alu instid0(VALU_DEP_2) | instskip(NEXT) | instid1(VALU_DEP_1)
	v_cmp_eq_u32_e64 s1, 0, v1
	v_cndmask_b32_e64 v0, v2, v0, s1
	scratch_store_b32 off, v0, s32 offset:764 ; 4-byte Folded Spill
.LBB205_539:                            ;   in Loop: Header=BB205_31 Depth=1
	s_or_b32 exec_lo, exec_lo, s9
	scratch_load_b32 v0, off, s32 offset:836 ; 4-byte Folded Reload
	s_waitcnt vmcnt(0)
	v_add_co_u32 v0, s1, v56, v0
	s_delay_alu instid0(VALU_DEP_1)
	v_add_co_ci_u32_e64 v1, s1, 0, v57, s1
	flat_load_b128 v[0:3], v[0:1]
	s_waitcnt vmcnt(0) lgkmcnt(0)
	v_lshrrev_b32_e32 v7, 16, v0
	v_lshrrev_b32_e32 v6, 16, v1
	;; [unrolled: 1-line block ×4, first 2 shown]
	s_and_saveexec_b32 s9, vcc_lo
	s_cbranch_execz .LBB205_541
; %bb.540:                              ;   in Loop: Header=BB205_31 Depth=1
	v_cmp_lt_i32_e64 s1, v176, v113
	s_delay_alu instid0(VALU_DEP_1) | instskip(SKIP_1) | instid1(VALU_DEP_1)
	v_cndmask_b32_e64 v0, 0, v0, s1
	v_cmp_lt_i32_e64 s1, v47, v113
	v_cndmask_b32_e64 v7, 0, v7, s1
	v_cmp_lt_i32_e64 s1, v46, v113
	s_delay_alu instid0(VALU_DEP_1) | instskip(SKIP_1) | instid1(VALU_DEP_1)
	v_cndmask_b32_e64 v1, 0, v1, s1
	v_cmp_lt_i32_e64 s1, v45, v113
	v_cndmask_b32_e64 v6, 0, v6, s1
	;; [unrolled: 5-line block ×4, first 2 shown]
.LBB205_541:                            ;   in Loop: Header=BB205_31 Depth=1
	s_or_b32 exec_lo, exec_lo, s9
	v_lshlrev_b32_e32 v0, 16, v0
	s_delay_alu instid0(VALU_DEP_1) | instskip(NEXT) | instid1(VALU_DEP_1)
	v_mul_f32_e32 v0, v58, v0
	v_and_b32_e32 v8, 0x7f800000, v0
	s_delay_alu instid0(VALU_DEP_1) | instskip(NEXT) | instid1(VALU_DEP_1)
	v_cmp_ne_u32_e64 s1, 0x7f800000, v8
                                        ; implicit-def: $vgpr8
                                        ; kill: killed $vgpr8
	s_and_saveexec_b32 s9, s1
	s_delay_alu instid0(SALU_CYCLE_1)
	s_xor_b32 s1, exec_lo, s9
	s_cbranch_execz .LBB205_543
; %bb.542:                              ;   in Loop: Header=BB205_31 Depth=1
	v_bfe_u32 v8, v0, 16, 1
	s_delay_alu instid0(VALU_DEP_1)
	v_add3_u32 v0, v0, v8, 0x7fff
	scratch_store_b32 off, v0, s32 offset:768 ; 4-byte Folded Spill
                                        ; implicit-def: $vgpr0
.LBB205_543:                            ;   in Loop: Header=BB205_31 Depth=1
	s_and_not1_saveexec_b32 s9, s1
	s_cbranch_execz .LBB205_545
; %bb.544:                              ;   in Loop: Header=BB205_31 Depth=1
	v_and_b32_e32 v8, 0xffff, v0
	v_or_b32_e32 v9, 0x10000, v0
	s_delay_alu instid0(VALU_DEP_2) | instskip(NEXT) | instid1(VALU_DEP_1)
	v_cmp_eq_u32_e64 s1, 0, v8
	v_cndmask_b32_e64 v0, v9, v0, s1
	scratch_store_b32 off, v0, s32 offset:768 ; 4-byte Folded Spill
.LBB205_545:                            ;   in Loop: Header=BB205_31 Depth=1
	s_or_b32 exec_lo, exec_lo, s9
	v_lshlrev_b32_e32 v0, 16, v7
	s_delay_alu instid0(VALU_DEP_1) | instskip(NEXT) | instid1(VALU_DEP_1)
	v_mul_f32_e32 v0, v59, v0
	v_and_b32_e32 v7, 0x7f800000, v0
	s_delay_alu instid0(VALU_DEP_1) | instskip(NEXT) | instid1(VALU_DEP_1)
	v_cmp_ne_u32_e64 s1, 0x7f800000, v7
                                        ; implicit-def: $vgpr7
                                        ; kill: killed $vgpr7
	s_and_saveexec_b32 s9, s1
	s_delay_alu instid0(SALU_CYCLE_1)
	s_xor_b32 s1, exec_lo, s9
	s_cbranch_execz .LBB205_547
; %bb.546:                              ;   in Loop: Header=BB205_31 Depth=1
	v_bfe_u32 v7, v0, 16, 1
	s_delay_alu instid0(VALU_DEP_1)
	v_add3_u32 v0, v0, v7, 0x7fff
	scratch_store_b32 off, v0, s32 offset:772 ; 4-byte Folded Spill
                                        ; implicit-def: $vgpr0
.LBB205_547:                            ;   in Loop: Header=BB205_31 Depth=1
	s_and_not1_saveexec_b32 s9, s1
	s_cbranch_execz .LBB205_549
; %bb.548:                              ;   in Loop: Header=BB205_31 Depth=1
	v_and_b32_e32 v7, 0xffff, v0
	v_or_b32_e32 v8, 0x10000, v0
	s_delay_alu instid0(VALU_DEP_2) | instskip(NEXT) | instid1(VALU_DEP_1)
	v_cmp_eq_u32_e64 s1, 0, v7
	v_cndmask_b32_e64 v0, v8, v0, s1
	scratch_store_b32 off, v0, s32 offset:772 ; 4-byte Folded Spill
.LBB205_549:                            ;   in Loop: Header=BB205_31 Depth=1
	s_or_b32 exec_lo, exec_lo, s9
	v_lshlrev_b32_e32 v0, 16, v1
                                        ; implicit-def: $vgpr98
	s_delay_alu instid0(VALU_DEP_1) | instskip(NEXT) | instid1(VALU_DEP_1)
	v_mul_f32_e32 v0, v60, v0
	v_and_b32_e32 v1, 0x7f800000, v0
	s_delay_alu instid0(VALU_DEP_1) | instskip(NEXT) | instid1(VALU_DEP_1)
	v_cmp_ne_u32_e64 s1, 0x7f800000, v1
	s_and_saveexec_b32 s9, s1
	s_delay_alu instid0(SALU_CYCLE_1)
	s_xor_b32 s1, exec_lo, s9
; %bb.550:                              ;   in Loop: Header=BB205_31 Depth=1
	v_bfe_u32 v1, v0, 16, 1
	s_delay_alu instid0(VALU_DEP_1)
	v_add3_u32 v98, v0, v1, 0x7fff
                                        ; implicit-def: $vgpr0
; %bb.551:                              ;   in Loop: Header=BB205_31 Depth=1
	s_and_not1_saveexec_b32 s9, s1
; %bb.552:                              ;   in Loop: Header=BB205_31 Depth=1
	v_and_b32_e32 v1, 0xffff, v0
	v_or_b32_e32 v7, 0x10000, v0
	s_delay_alu instid0(VALU_DEP_2) | instskip(NEXT) | instid1(VALU_DEP_1)
	v_cmp_eq_u32_e64 s1, 0, v1
	v_cndmask_b32_e64 v98, v7, v0, s1
; %bb.553:                              ;   in Loop: Header=BB205_31 Depth=1
	s_or_b32 exec_lo, exec_lo, s9
	v_lshlrev_b32_e32 v0, 16, v6
                                        ; implicit-def: $vgpr99
	s_delay_alu instid0(VALU_DEP_1) | instskip(NEXT) | instid1(VALU_DEP_1)
	v_mul_f32_e32 v0, v61, v0
	v_and_b32_e32 v1, 0x7f800000, v0
	s_delay_alu instid0(VALU_DEP_1) | instskip(NEXT) | instid1(VALU_DEP_1)
	v_cmp_ne_u32_e64 s1, 0x7f800000, v1
	s_and_saveexec_b32 s9, s1
	s_delay_alu instid0(SALU_CYCLE_1)
	s_xor_b32 s1, exec_lo, s9
; %bb.554:                              ;   in Loop: Header=BB205_31 Depth=1
	v_bfe_u32 v1, v0, 16, 1
	s_delay_alu instid0(VALU_DEP_1)
	v_add3_u32 v99, v0, v1, 0x7fff
                                        ; implicit-def: $vgpr0
; %bb.555:                              ;   in Loop: Header=BB205_31 Depth=1
	s_and_not1_saveexec_b32 s9, s1
; %bb.556:                              ;   in Loop: Header=BB205_31 Depth=1
	v_and_b32_e32 v1, 0xffff, v0
	v_or_b32_e32 v6, 0x10000, v0
	s_delay_alu instid0(VALU_DEP_2) | instskip(NEXT) | instid1(VALU_DEP_1)
	v_cmp_eq_u32_e64 s1, 0, v1
	v_cndmask_b32_e64 v99, v6, v0, s1
; %bb.557:                              ;   in Loop: Header=BB205_31 Depth=1
	s_or_b32 exec_lo, exec_lo, s9
	v_lshlrev_b32_e32 v0, 16, v2
                                        ; implicit-def: $vgpr100
	s_delay_alu instid0(VALU_DEP_1) | instskip(NEXT) | instid1(VALU_DEP_1)
	v_mul_f32_e32 v0, v62, v0
	v_and_b32_e32 v1, 0x7f800000, v0
	s_delay_alu instid0(VALU_DEP_1) | instskip(NEXT) | instid1(VALU_DEP_1)
	v_cmp_ne_u32_e64 s1, 0x7f800000, v1
	s_and_saveexec_b32 s9, s1
	s_delay_alu instid0(SALU_CYCLE_1)
	s_xor_b32 s1, exec_lo, s9
; %bb.558:                              ;   in Loop: Header=BB205_31 Depth=1
	v_bfe_u32 v1, v0, 16, 1
	s_delay_alu instid0(VALU_DEP_1)
	v_add3_u32 v100, v0, v1, 0x7fff
                                        ; implicit-def: $vgpr0
; %bb.559:                              ;   in Loop: Header=BB205_31 Depth=1
	s_and_not1_saveexec_b32 s9, s1
; %bb.560:                              ;   in Loop: Header=BB205_31 Depth=1
	v_and_b32_e32 v1, 0xffff, v0
	v_or_b32_e32 v2, 0x10000, v0
	s_delay_alu instid0(VALU_DEP_2) | instskip(NEXT) | instid1(VALU_DEP_1)
	v_cmp_eq_u32_e64 s1, 0, v1
	v_cndmask_b32_e64 v100, v2, v0, s1
; %bb.561:                              ;   in Loop: Header=BB205_31 Depth=1
	s_or_b32 exec_lo, exec_lo, s9
	v_lshlrev_b32_e32 v0, 16, v5
                                        ; implicit-def: $vgpr102
	s_delay_alu instid0(VALU_DEP_1) | instskip(NEXT) | instid1(VALU_DEP_1)
	v_mul_f32_e32 v0, v63, v0
	v_and_b32_e32 v1, 0x7f800000, v0
	s_delay_alu instid0(VALU_DEP_1) | instskip(NEXT) | instid1(VALU_DEP_1)
	v_cmp_ne_u32_e64 s1, 0x7f800000, v1
	s_and_saveexec_b32 s9, s1
	s_delay_alu instid0(SALU_CYCLE_1)
	s_xor_b32 s1, exec_lo, s9
; %bb.562:                              ;   in Loop: Header=BB205_31 Depth=1
	v_bfe_u32 v1, v0, 16, 1
	s_delay_alu instid0(VALU_DEP_1)
	v_add3_u32 v102, v0, v1, 0x7fff
                                        ; implicit-def: $vgpr0
; %bb.563:                              ;   in Loop: Header=BB205_31 Depth=1
	s_and_not1_saveexec_b32 s9, s1
; %bb.564:                              ;   in Loop: Header=BB205_31 Depth=1
	v_and_b32_e32 v1, 0xffff, v0
	v_or_b32_e32 v2, 0x10000, v0
	s_delay_alu instid0(VALU_DEP_2) | instskip(NEXT) | instid1(VALU_DEP_1)
	v_cmp_eq_u32_e64 s1, 0, v1
	v_cndmask_b32_e64 v102, v2, v0, s1
; %bb.565:                              ;   in Loop: Header=BB205_31 Depth=1
	s_or_b32 exec_lo, exec_lo, s9
	v_lshlrev_b32_e32 v0, 16, v3
                                        ; implicit-def: $vgpr101
	s_delay_alu instid0(VALU_DEP_1) | instskip(NEXT) | instid1(VALU_DEP_1)
	v_mul_f32_e32 v0, v72, v0
	v_and_b32_e32 v1, 0x7f800000, v0
	s_delay_alu instid0(VALU_DEP_1) | instskip(NEXT) | instid1(VALU_DEP_1)
	v_cmp_ne_u32_e64 s1, 0x7f800000, v1
	s_and_saveexec_b32 s9, s1
	s_delay_alu instid0(SALU_CYCLE_1)
	s_xor_b32 s1, exec_lo, s9
; %bb.566:                              ;   in Loop: Header=BB205_31 Depth=1
	v_bfe_u32 v1, v0, 16, 1
	s_delay_alu instid0(VALU_DEP_1)
	v_add3_u32 v101, v0, v1, 0x7fff
                                        ; implicit-def: $vgpr0
; %bb.567:                              ;   in Loop: Header=BB205_31 Depth=1
	s_and_not1_saveexec_b32 s9, s1
; %bb.568:                              ;   in Loop: Header=BB205_31 Depth=1
	v_and_b32_e32 v1, 0xffff, v0
	v_or_b32_e32 v2, 0x10000, v0
	s_delay_alu instid0(VALU_DEP_2) | instskip(NEXT) | instid1(VALU_DEP_1)
	v_cmp_eq_u32_e64 s1, 0, v1
	v_cndmask_b32_e64 v101, v2, v0, s1
; %bb.569:                              ;   in Loop: Header=BB205_31 Depth=1
	s_or_b32 exec_lo, exec_lo, s9
	v_lshlrev_b32_e32 v0, 16, v4
                                        ; implicit-def: $vgpr103
	s_delay_alu instid0(VALU_DEP_1) | instskip(NEXT) | instid1(VALU_DEP_1)
	v_mul_f32_e32 v0, v73, v0
	v_and_b32_e32 v1, 0x7f800000, v0
	s_delay_alu instid0(VALU_DEP_1) | instskip(NEXT) | instid1(VALU_DEP_1)
	v_cmp_ne_u32_e64 s1, 0x7f800000, v1
	s_and_saveexec_b32 s9, s1
	s_delay_alu instid0(SALU_CYCLE_1)
	s_xor_b32 s1, exec_lo, s9
; %bb.570:                              ;   in Loop: Header=BB205_31 Depth=1
	v_bfe_u32 v1, v0, 16, 1
	s_delay_alu instid0(VALU_DEP_1)
	v_add3_u32 v103, v0, v1, 0x7fff
                                        ; implicit-def: $vgpr0
; %bb.571:                              ;   in Loop: Header=BB205_31 Depth=1
	s_and_not1_saveexec_b32 s9, s1
; %bb.572:                              ;   in Loop: Header=BB205_31 Depth=1
	v_and_b32_e32 v1, 0xffff, v0
	v_or_b32_e32 v2, 0x10000, v0
	s_delay_alu instid0(VALU_DEP_2) | instskip(NEXT) | instid1(VALU_DEP_1)
	v_cmp_eq_u32_e64 s1, 0, v1
	v_cndmask_b32_e64 v103, v2, v0, s1
; %bb.573:                              ;   in Loop: Header=BB205_31 Depth=1
	s_or_b32 exec_lo, exec_lo, s9
	scratch_load_b32 v0, off, s32 offset:840 ; 4-byte Folded Reload
	s_waitcnt vmcnt(0)
	v_add_co_u32 v0, s1, v56, v0
	s_delay_alu instid0(VALU_DEP_1)
	v_add_co_ci_u32_e64 v1, s1, 0, v57, s1
	flat_load_b128 v[0:3], v[0:1]
	s_waitcnt vmcnt(0) lgkmcnt(0)
	v_lshrrev_b32_e32 v7, 16, v0
	v_lshrrev_b32_e32 v6, 16, v1
	;; [unrolled: 1-line block ×4, first 2 shown]
	s_and_saveexec_b32 s9, vcc_lo
	s_cbranch_execz .LBB205_575
; %bb.574:                              ;   in Loop: Header=BB205_31 Depth=1
	v_cmp_lt_i32_e64 s1, v176, v113
	s_delay_alu instid0(VALU_DEP_1) | instskip(SKIP_1) | instid1(VALU_DEP_1)
	v_cndmask_b32_e64 v0, 0, v0, s1
	v_cmp_lt_i32_e64 s1, v47, v113
	v_cndmask_b32_e64 v7, 0, v7, s1
	v_cmp_lt_i32_e64 s1, v46, v113
	s_delay_alu instid0(VALU_DEP_1) | instskip(SKIP_1) | instid1(VALU_DEP_1)
	v_cndmask_b32_e64 v1, 0, v1, s1
	v_cmp_lt_i32_e64 s1, v45, v113
	v_cndmask_b32_e64 v6, 0, v6, s1
	;; [unrolled: 5-line block ×4, first 2 shown]
.LBB205_575:                            ;   in Loop: Header=BB205_31 Depth=1
	s_or_b32 exec_lo, exec_lo, s9
	v_lshlrev_b32_e32 v0, 16, v0
                                        ; implicit-def: $vgpr115
	s_delay_alu instid0(VALU_DEP_1) | instskip(NEXT) | instid1(VALU_DEP_1)
	v_mul_f32_e32 v0, v58, v0
	v_and_b32_e32 v8, 0x7f800000, v0
	s_delay_alu instid0(VALU_DEP_1) | instskip(NEXT) | instid1(VALU_DEP_1)
	v_cmp_ne_u32_e64 s1, 0x7f800000, v8
	s_and_saveexec_b32 s9, s1
	s_delay_alu instid0(SALU_CYCLE_1)
	s_xor_b32 s1, exec_lo, s9
; %bb.576:                              ;   in Loop: Header=BB205_31 Depth=1
	v_bfe_u32 v8, v0, 16, 1
	s_delay_alu instid0(VALU_DEP_1)
	v_add3_u32 v115, v0, v8, 0x7fff
                                        ; implicit-def: $vgpr0
; %bb.577:                              ;   in Loop: Header=BB205_31 Depth=1
	s_and_not1_saveexec_b32 s9, s1
; %bb.578:                              ;   in Loop: Header=BB205_31 Depth=1
	v_and_b32_e32 v8, 0xffff, v0
	v_or_b32_e32 v9, 0x10000, v0
	s_delay_alu instid0(VALU_DEP_2) | instskip(NEXT) | instid1(VALU_DEP_1)
	v_cmp_eq_u32_e64 s1, 0, v8
	v_cndmask_b32_e64 v115, v9, v0, s1
; %bb.579:                              ;   in Loop: Header=BB205_31 Depth=1
	s_or_b32 exec_lo, exec_lo, s9
	v_lshlrev_b32_e32 v0, 16, v7
                                        ; implicit-def: $vgpr116
	s_delay_alu instid0(VALU_DEP_1) | instskip(NEXT) | instid1(VALU_DEP_1)
	v_mul_f32_e32 v0, v59, v0
	v_and_b32_e32 v7, 0x7f800000, v0
	s_delay_alu instid0(VALU_DEP_1) | instskip(NEXT) | instid1(VALU_DEP_1)
	v_cmp_ne_u32_e64 s1, 0x7f800000, v7
	s_and_saveexec_b32 s9, s1
	s_delay_alu instid0(SALU_CYCLE_1)
	s_xor_b32 s1, exec_lo, s9
; %bb.580:                              ;   in Loop: Header=BB205_31 Depth=1
	v_bfe_u32 v7, v0, 16, 1
	s_delay_alu instid0(VALU_DEP_1)
	v_add3_u32 v116, v0, v7, 0x7fff
                                        ; implicit-def: $vgpr0
; %bb.581:                              ;   in Loop: Header=BB205_31 Depth=1
	s_and_not1_saveexec_b32 s9, s1
; %bb.582:                              ;   in Loop: Header=BB205_31 Depth=1
	v_and_b32_e32 v7, 0xffff, v0
	v_or_b32_e32 v8, 0x10000, v0
	s_delay_alu instid0(VALU_DEP_2) | instskip(NEXT) | instid1(VALU_DEP_1)
	v_cmp_eq_u32_e64 s1, 0, v7
	v_cndmask_b32_e64 v116, v8, v0, s1
; %bb.583:                              ;   in Loop: Header=BB205_31 Depth=1
	s_or_b32 exec_lo, exec_lo, s9
	v_lshlrev_b32_e32 v0, 16, v1
                                        ; implicit-def: $vgpr117
	s_delay_alu instid0(VALU_DEP_1) | instskip(NEXT) | instid1(VALU_DEP_1)
	v_mul_f32_e32 v0, v60, v0
	v_and_b32_e32 v1, 0x7f800000, v0
	s_delay_alu instid0(VALU_DEP_1) | instskip(NEXT) | instid1(VALU_DEP_1)
	v_cmp_ne_u32_e64 s1, 0x7f800000, v1
	s_and_saveexec_b32 s9, s1
	s_delay_alu instid0(SALU_CYCLE_1)
	s_xor_b32 s1, exec_lo, s9
; %bb.584:                              ;   in Loop: Header=BB205_31 Depth=1
	v_bfe_u32 v1, v0, 16, 1
	s_delay_alu instid0(VALU_DEP_1)
	v_add3_u32 v117, v0, v1, 0x7fff
                                        ; implicit-def: $vgpr0
; %bb.585:                              ;   in Loop: Header=BB205_31 Depth=1
	s_and_not1_saveexec_b32 s9, s1
; %bb.586:                              ;   in Loop: Header=BB205_31 Depth=1
	v_and_b32_e32 v1, 0xffff, v0
	v_or_b32_e32 v7, 0x10000, v0
	s_delay_alu instid0(VALU_DEP_2) | instskip(NEXT) | instid1(VALU_DEP_1)
	v_cmp_eq_u32_e64 s1, 0, v1
	v_cndmask_b32_e64 v117, v7, v0, s1
; %bb.587:                              ;   in Loop: Header=BB205_31 Depth=1
	s_or_b32 exec_lo, exec_lo, s9
	v_lshlrev_b32_e32 v0, 16, v6
                                        ; implicit-def: $vgpr118
	s_delay_alu instid0(VALU_DEP_1) | instskip(NEXT) | instid1(VALU_DEP_1)
	v_mul_f32_e32 v0, v61, v0
	v_and_b32_e32 v1, 0x7f800000, v0
	s_delay_alu instid0(VALU_DEP_1) | instskip(NEXT) | instid1(VALU_DEP_1)
	v_cmp_ne_u32_e64 s1, 0x7f800000, v1
	s_and_saveexec_b32 s9, s1
	s_delay_alu instid0(SALU_CYCLE_1)
	s_xor_b32 s1, exec_lo, s9
; %bb.588:                              ;   in Loop: Header=BB205_31 Depth=1
	v_bfe_u32 v1, v0, 16, 1
	s_delay_alu instid0(VALU_DEP_1)
	v_add3_u32 v118, v0, v1, 0x7fff
                                        ; implicit-def: $vgpr0
; %bb.589:                              ;   in Loop: Header=BB205_31 Depth=1
	s_and_not1_saveexec_b32 s9, s1
; %bb.590:                              ;   in Loop: Header=BB205_31 Depth=1
	v_and_b32_e32 v1, 0xffff, v0
	v_or_b32_e32 v6, 0x10000, v0
	s_delay_alu instid0(VALU_DEP_2) | instskip(NEXT) | instid1(VALU_DEP_1)
	v_cmp_eq_u32_e64 s1, 0, v1
	v_cndmask_b32_e64 v118, v6, v0, s1
; %bb.591:                              ;   in Loop: Header=BB205_31 Depth=1
	s_or_b32 exec_lo, exec_lo, s9
	v_lshlrev_b32_e32 v0, 16, v2
                                        ; implicit-def: $vgpr119
	s_delay_alu instid0(VALU_DEP_1) | instskip(NEXT) | instid1(VALU_DEP_1)
	v_mul_f32_e32 v0, v62, v0
	v_and_b32_e32 v1, 0x7f800000, v0
	s_delay_alu instid0(VALU_DEP_1) | instskip(NEXT) | instid1(VALU_DEP_1)
	v_cmp_ne_u32_e64 s1, 0x7f800000, v1
	s_and_saveexec_b32 s9, s1
	s_delay_alu instid0(SALU_CYCLE_1)
	s_xor_b32 s1, exec_lo, s9
; %bb.592:                              ;   in Loop: Header=BB205_31 Depth=1
	v_bfe_u32 v1, v0, 16, 1
	s_delay_alu instid0(VALU_DEP_1)
	v_add3_u32 v119, v0, v1, 0x7fff
                                        ; implicit-def: $vgpr0
; %bb.593:                              ;   in Loop: Header=BB205_31 Depth=1
	s_and_not1_saveexec_b32 s9, s1
; %bb.594:                              ;   in Loop: Header=BB205_31 Depth=1
	v_and_b32_e32 v1, 0xffff, v0
	v_or_b32_e32 v2, 0x10000, v0
	s_delay_alu instid0(VALU_DEP_2) | instskip(NEXT) | instid1(VALU_DEP_1)
	v_cmp_eq_u32_e64 s1, 0, v1
	v_cndmask_b32_e64 v119, v2, v0, s1
; %bb.595:                              ;   in Loop: Header=BB205_31 Depth=1
	s_or_b32 exec_lo, exec_lo, s9
	v_lshlrev_b32_e32 v0, 16, v5
                                        ; implicit-def: $vgpr128
	s_delay_alu instid0(VALU_DEP_1) | instskip(NEXT) | instid1(VALU_DEP_1)
	v_mul_f32_e32 v0, v63, v0
	v_and_b32_e32 v1, 0x7f800000, v0
	s_delay_alu instid0(VALU_DEP_1) | instskip(NEXT) | instid1(VALU_DEP_1)
	v_cmp_ne_u32_e64 s1, 0x7f800000, v1
	s_and_saveexec_b32 s9, s1
	s_delay_alu instid0(SALU_CYCLE_1)
	s_xor_b32 s1, exec_lo, s9
; %bb.596:                              ;   in Loop: Header=BB205_31 Depth=1
	v_bfe_u32 v1, v0, 16, 1
	s_delay_alu instid0(VALU_DEP_1)
	v_add3_u32 v128, v0, v1, 0x7fff
                                        ; implicit-def: $vgpr0
; %bb.597:                              ;   in Loop: Header=BB205_31 Depth=1
	s_and_not1_saveexec_b32 s9, s1
; %bb.598:                              ;   in Loop: Header=BB205_31 Depth=1
	v_and_b32_e32 v1, 0xffff, v0
	v_or_b32_e32 v2, 0x10000, v0
	s_delay_alu instid0(VALU_DEP_2) | instskip(NEXT) | instid1(VALU_DEP_1)
	v_cmp_eq_u32_e64 s1, 0, v1
	v_cndmask_b32_e64 v128, v2, v0, s1
; %bb.599:                              ;   in Loop: Header=BB205_31 Depth=1
	s_or_b32 exec_lo, exec_lo, s9
	v_lshlrev_b32_e32 v0, 16, v3
                                        ; implicit-def: $vgpr129
	s_delay_alu instid0(VALU_DEP_1) | instskip(NEXT) | instid1(VALU_DEP_1)
	v_mul_f32_e32 v0, v72, v0
	v_and_b32_e32 v1, 0x7f800000, v0
	s_delay_alu instid0(VALU_DEP_1) | instskip(NEXT) | instid1(VALU_DEP_1)
	v_cmp_ne_u32_e64 s1, 0x7f800000, v1
	s_and_saveexec_b32 s9, s1
	s_delay_alu instid0(SALU_CYCLE_1)
	s_xor_b32 s1, exec_lo, s9
; %bb.600:                              ;   in Loop: Header=BB205_31 Depth=1
	v_bfe_u32 v1, v0, 16, 1
	s_delay_alu instid0(VALU_DEP_1)
	v_add3_u32 v129, v0, v1, 0x7fff
                                        ; implicit-def: $vgpr0
; %bb.601:                              ;   in Loop: Header=BB205_31 Depth=1
	s_and_not1_saveexec_b32 s9, s1
; %bb.602:                              ;   in Loop: Header=BB205_31 Depth=1
	v_and_b32_e32 v1, 0xffff, v0
	v_or_b32_e32 v2, 0x10000, v0
	s_delay_alu instid0(VALU_DEP_2) | instskip(NEXT) | instid1(VALU_DEP_1)
	v_cmp_eq_u32_e64 s1, 0, v1
	v_cndmask_b32_e64 v129, v2, v0, s1
; %bb.603:                              ;   in Loop: Header=BB205_31 Depth=1
	s_or_b32 exec_lo, exec_lo, s9
	v_lshlrev_b32_e32 v0, 16, v4
                                        ; implicit-def: $vgpr130
	s_delay_alu instid0(VALU_DEP_1) | instskip(NEXT) | instid1(VALU_DEP_1)
	v_mul_f32_e32 v0, v73, v0
	v_and_b32_e32 v1, 0x7f800000, v0
	s_delay_alu instid0(VALU_DEP_1) | instskip(NEXT) | instid1(VALU_DEP_1)
	v_cmp_ne_u32_e64 s1, 0x7f800000, v1
	s_and_saveexec_b32 s9, s1
	s_delay_alu instid0(SALU_CYCLE_1)
	s_xor_b32 s1, exec_lo, s9
; %bb.604:                              ;   in Loop: Header=BB205_31 Depth=1
	v_bfe_u32 v1, v0, 16, 1
	s_delay_alu instid0(VALU_DEP_1)
	v_add3_u32 v130, v0, v1, 0x7fff
                                        ; implicit-def: $vgpr0
; %bb.605:                              ;   in Loop: Header=BB205_31 Depth=1
	s_and_not1_saveexec_b32 s9, s1
; %bb.606:                              ;   in Loop: Header=BB205_31 Depth=1
	v_and_b32_e32 v1, 0xffff, v0
	v_or_b32_e32 v2, 0x10000, v0
	s_delay_alu instid0(VALU_DEP_2) | instskip(NEXT) | instid1(VALU_DEP_1)
	v_cmp_eq_u32_e64 s1, 0, v1
	v_cndmask_b32_e64 v130, v2, v0, s1
; %bb.607:                              ;   in Loop: Header=BB205_31 Depth=1
	s_or_b32 exec_lo, exec_lo, s9
	scratch_load_b32 v0, off, s32 offset:844 ; 4-byte Folded Reload
	s_waitcnt vmcnt(0)
	v_add_co_u32 v0, s1, v56, v0
	s_delay_alu instid0(VALU_DEP_1)
	v_add_co_ci_u32_e64 v1, s1, 0, v57, s1
	flat_load_b128 v[0:3], v[0:1]
	s_waitcnt vmcnt(0) lgkmcnt(0)
	v_lshrrev_b32_e32 v7, 16, v0
	v_lshrrev_b32_e32 v6, 16, v1
	;; [unrolled: 1-line block ×4, first 2 shown]
	s_and_saveexec_b32 s9, vcc_lo
	s_cbranch_execz .LBB205_609
; %bb.608:                              ;   in Loop: Header=BB205_31 Depth=1
	v_cmp_lt_i32_e64 s1, v176, v113
	s_delay_alu instid0(VALU_DEP_1) | instskip(SKIP_1) | instid1(VALU_DEP_1)
	v_cndmask_b32_e64 v0, 0, v0, s1
	v_cmp_lt_i32_e64 s1, v47, v113
	v_cndmask_b32_e64 v7, 0, v7, s1
	v_cmp_lt_i32_e64 s1, v46, v113
	s_delay_alu instid0(VALU_DEP_1) | instskip(SKIP_1) | instid1(VALU_DEP_1)
	v_cndmask_b32_e64 v1, 0, v1, s1
	v_cmp_lt_i32_e64 s1, v45, v113
	v_cndmask_b32_e64 v6, 0, v6, s1
	;; [unrolled: 5-line block ×4, first 2 shown]
.LBB205_609:                            ;   in Loop: Header=BB205_31 Depth=1
	s_or_b32 exec_lo, exec_lo, s9
	v_lshlrev_b32_e32 v0, 16, v0
                                        ; implicit-def: $vgpr14
	s_delay_alu instid0(VALU_DEP_1) | instskip(NEXT) | instid1(VALU_DEP_1)
	v_mul_f32_e32 v0, v58, v0
	v_and_b32_e32 v8, 0x7f800000, v0
	s_delay_alu instid0(VALU_DEP_1) | instskip(NEXT) | instid1(VALU_DEP_1)
	v_cmp_ne_u32_e64 s1, 0x7f800000, v8
	s_and_saveexec_b32 s9, s1
	s_delay_alu instid0(SALU_CYCLE_1)
	s_xor_b32 s1, exec_lo, s9
; %bb.610:                              ;   in Loop: Header=BB205_31 Depth=1
	v_bfe_u32 v8, v0, 16, 1
	s_delay_alu instid0(VALU_DEP_1)
	v_add3_u32 v14, v0, v8, 0x7fff
                                        ; implicit-def: $vgpr0
; %bb.611:                              ;   in Loop: Header=BB205_31 Depth=1
	s_and_not1_saveexec_b32 s9, s1
; %bb.612:                              ;   in Loop: Header=BB205_31 Depth=1
	v_and_b32_e32 v8, 0xffff, v0
	v_or_b32_e32 v9, 0x10000, v0
	s_delay_alu instid0(VALU_DEP_2) | instskip(NEXT) | instid1(VALU_DEP_1)
	v_cmp_eq_u32_e64 s1, 0, v8
	v_cndmask_b32_e64 v14, v9, v0, s1
; %bb.613:                              ;   in Loop: Header=BB205_31 Depth=1
	s_or_b32 exec_lo, exec_lo, s9
	v_lshlrev_b32_e32 v0, 16, v7
                                        ; implicit-def: $vgpr15
	s_delay_alu instid0(VALU_DEP_1) | instskip(NEXT) | instid1(VALU_DEP_1)
	v_mul_f32_e32 v0, v59, v0
	v_and_b32_e32 v7, 0x7f800000, v0
	s_delay_alu instid0(VALU_DEP_1) | instskip(NEXT) | instid1(VALU_DEP_1)
	v_cmp_ne_u32_e64 s1, 0x7f800000, v7
	s_and_saveexec_b32 s9, s1
	s_delay_alu instid0(SALU_CYCLE_1)
	s_xor_b32 s1, exec_lo, s9
; %bb.614:                              ;   in Loop: Header=BB205_31 Depth=1
	v_bfe_u32 v7, v0, 16, 1
	s_delay_alu instid0(VALU_DEP_1)
	v_add3_u32 v15, v0, v7, 0x7fff
                                        ; implicit-def: $vgpr0
; %bb.615:                              ;   in Loop: Header=BB205_31 Depth=1
	s_and_not1_saveexec_b32 s9, s1
; %bb.616:                              ;   in Loop: Header=BB205_31 Depth=1
	v_and_b32_e32 v7, 0xffff, v0
	v_or_b32_e32 v8, 0x10000, v0
	s_delay_alu instid0(VALU_DEP_2) | instskip(NEXT) | instid1(VALU_DEP_1)
	v_cmp_eq_u32_e64 s1, 0, v7
	v_cndmask_b32_e64 v15, v8, v0, s1
; %bb.617:                              ;   in Loop: Header=BB205_31 Depth=1
	s_or_b32 exec_lo, exec_lo, s9
	v_lshlrev_b32_e32 v0, 16, v1
                                        ; implicit-def: $vgpr10
	s_delay_alu instid0(VALU_DEP_1) | instskip(NEXT) | instid1(VALU_DEP_1)
	v_mul_f32_e32 v0, v60, v0
	v_and_b32_e32 v1, 0x7f800000, v0
	s_delay_alu instid0(VALU_DEP_1) | instskip(NEXT) | instid1(VALU_DEP_1)
	v_cmp_ne_u32_e64 s1, 0x7f800000, v1
	s_and_saveexec_b32 s9, s1
	s_delay_alu instid0(SALU_CYCLE_1)
	s_xor_b32 s1, exec_lo, s9
; %bb.618:                              ;   in Loop: Header=BB205_31 Depth=1
	v_bfe_u32 v1, v0, 16, 1
	s_delay_alu instid0(VALU_DEP_1)
	v_add3_u32 v10, v0, v1, 0x7fff
                                        ; implicit-def: $vgpr0
; %bb.619:                              ;   in Loop: Header=BB205_31 Depth=1
	s_and_not1_saveexec_b32 s9, s1
; %bb.620:                              ;   in Loop: Header=BB205_31 Depth=1
	v_and_b32_e32 v1, 0xffff, v0
	v_or_b32_e32 v7, 0x10000, v0
	s_delay_alu instid0(VALU_DEP_2) | instskip(NEXT) | instid1(VALU_DEP_1)
	v_cmp_eq_u32_e64 s1, 0, v1
	v_cndmask_b32_e64 v10, v7, v0, s1
; %bb.621:                              ;   in Loop: Header=BB205_31 Depth=1
	s_or_b32 exec_lo, exec_lo, s9
	v_lshlrev_b32_e32 v0, 16, v6
                                        ; implicit-def: $vgpr11
	s_delay_alu instid0(VALU_DEP_1) | instskip(NEXT) | instid1(VALU_DEP_1)
	v_mul_f32_e32 v0, v61, v0
	v_and_b32_e32 v1, 0x7f800000, v0
	s_delay_alu instid0(VALU_DEP_1) | instskip(NEXT) | instid1(VALU_DEP_1)
	v_cmp_ne_u32_e64 s1, 0x7f800000, v1
	s_and_saveexec_b32 s9, s1
	s_delay_alu instid0(SALU_CYCLE_1)
	s_xor_b32 s1, exec_lo, s9
; %bb.622:                              ;   in Loop: Header=BB205_31 Depth=1
	v_bfe_u32 v1, v0, 16, 1
	s_delay_alu instid0(VALU_DEP_1)
	v_add3_u32 v11, v0, v1, 0x7fff
                                        ; implicit-def: $vgpr0
; %bb.623:                              ;   in Loop: Header=BB205_31 Depth=1
	s_and_not1_saveexec_b32 s9, s1
; %bb.624:                              ;   in Loop: Header=BB205_31 Depth=1
	v_and_b32_e32 v1, 0xffff, v0
	v_or_b32_e32 v6, 0x10000, v0
	s_delay_alu instid0(VALU_DEP_2) | instskip(NEXT) | instid1(VALU_DEP_1)
	v_cmp_eq_u32_e64 s1, 0, v1
	v_cndmask_b32_e64 v11, v6, v0, s1
; %bb.625:                              ;   in Loop: Header=BB205_31 Depth=1
	s_or_b32 exec_lo, exec_lo, s9
	v_lshlrev_b32_e32 v0, 16, v2
                                        ; implicit-def: $vgpr13
	s_delay_alu instid0(VALU_DEP_1) | instskip(NEXT) | instid1(VALU_DEP_1)
	v_mul_f32_e32 v0, v62, v0
	v_and_b32_e32 v1, 0x7f800000, v0
	s_delay_alu instid0(VALU_DEP_1) | instskip(NEXT) | instid1(VALU_DEP_1)
	v_cmp_ne_u32_e64 s1, 0x7f800000, v1
	s_and_saveexec_b32 s9, s1
	s_delay_alu instid0(SALU_CYCLE_1)
	s_xor_b32 s1, exec_lo, s9
; %bb.626:                              ;   in Loop: Header=BB205_31 Depth=1
	v_bfe_u32 v1, v0, 16, 1
	s_delay_alu instid0(VALU_DEP_1)
	v_add3_u32 v13, v0, v1, 0x7fff
                                        ; implicit-def: $vgpr0
; %bb.627:                              ;   in Loop: Header=BB205_31 Depth=1
	s_and_not1_saveexec_b32 s9, s1
; %bb.628:                              ;   in Loop: Header=BB205_31 Depth=1
	v_and_b32_e32 v1, 0xffff, v0
	v_or_b32_e32 v2, 0x10000, v0
	s_delay_alu instid0(VALU_DEP_2) | instskip(NEXT) | instid1(VALU_DEP_1)
	v_cmp_eq_u32_e64 s1, 0, v1
	v_cndmask_b32_e64 v13, v2, v0, s1
; %bb.629:                              ;   in Loop: Header=BB205_31 Depth=1
	s_or_b32 exec_lo, exec_lo, s9
	v_lshlrev_b32_e32 v0, 16, v5
                                        ; implicit-def: $vgpr114
	s_delay_alu instid0(VALU_DEP_1) | instskip(NEXT) | instid1(VALU_DEP_1)
	v_mul_f32_e32 v0, v63, v0
	v_and_b32_e32 v1, 0x7f800000, v0
	s_delay_alu instid0(VALU_DEP_1) | instskip(NEXT) | instid1(VALU_DEP_1)
	v_cmp_ne_u32_e64 s1, 0x7f800000, v1
	s_and_saveexec_b32 s9, s1
	s_delay_alu instid0(SALU_CYCLE_1)
	s_xor_b32 s1, exec_lo, s9
; %bb.630:                              ;   in Loop: Header=BB205_31 Depth=1
	v_bfe_u32 v1, v0, 16, 1
	s_delay_alu instid0(VALU_DEP_1)
	v_add3_u32 v114, v0, v1, 0x7fff
                                        ; implicit-def: $vgpr0
; %bb.631:                              ;   in Loop: Header=BB205_31 Depth=1
	s_and_not1_saveexec_b32 s9, s1
; %bb.632:                              ;   in Loop: Header=BB205_31 Depth=1
	v_and_b32_e32 v1, 0xffff, v0
	v_or_b32_e32 v2, 0x10000, v0
	s_delay_alu instid0(VALU_DEP_2) | instskip(NEXT) | instid1(VALU_DEP_1)
	v_cmp_eq_u32_e64 s1, 0, v1
	v_cndmask_b32_e64 v114, v2, v0, s1
; %bb.633:                              ;   in Loop: Header=BB205_31 Depth=1
	s_or_b32 exec_lo, exec_lo, s9
	v_lshlrev_b32_e32 v0, 16, v3
                                        ; implicit-def: $vgpr16
	s_delay_alu instid0(VALU_DEP_1) | instskip(NEXT) | instid1(VALU_DEP_1)
	v_mul_f32_e32 v0, v72, v0
	v_and_b32_e32 v1, 0x7f800000, v0
	s_delay_alu instid0(VALU_DEP_1) | instskip(NEXT) | instid1(VALU_DEP_1)
	v_cmp_ne_u32_e64 s1, 0x7f800000, v1
	s_and_saveexec_b32 s9, s1
	s_delay_alu instid0(SALU_CYCLE_1)
	s_xor_b32 s1, exec_lo, s9
; %bb.634:                              ;   in Loop: Header=BB205_31 Depth=1
	v_bfe_u32 v1, v0, 16, 1
	s_delay_alu instid0(VALU_DEP_1)
	v_add3_u32 v16, v0, v1, 0x7fff
                                        ; implicit-def: $vgpr0
; %bb.635:                              ;   in Loop: Header=BB205_31 Depth=1
	s_and_not1_saveexec_b32 s9, s1
; %bb.636:                              ;   in Loop: Header=BB205_31 Depth=1
	v_and_b32_e32 v1, 0xffff, v0
	v_or_b32_e32 v2, 0x10000, v0
	s_delay_alu instid0(VALU_DEP_2) | instskip(NEXT) | instid1(VALU_DEP_1)
	v_cmp_eq_u32_e64 s1, 0, v1
	v_cndmask_b32_e64 v16, v2, v0, s1
; %bb.637:                              ;   in Loop: Header=BB205_31 Depth=1
	s_or_b32 exec_lo, exec_lo, s9
	v_lshlrev_b32_e32 v0, 16, v4
                                        ; implicit-def: $vgpr22
	s_delay_alu instid0(VALU_DEP_1) | instskip(NEXT) | instid1(VALU_DEP_1)
	v_mul_f32_e32 v0, v73, v0
	v_and_b32_e32 v1, 0x7f800000, v0
	s_delay_alu instid0(VALU_DEP_1) | instskip(NEXT) | instid1(VALU_DEP_1)
	v_cmp_ne_u32_e64 s1, 0x7f800000, v1
	s_and_saveexec_b32 s9, s1
	s_delay_alu instid0(SALU_CYCLE_1)
	s_xor_b32 s1, exec_lo, s9
; %bb.638:                              ;   in Loop: Header=BB205_31 Depth=1
	v_bfe_u32 v1, v0, 16, 1
	s_delay_alu instid0(VALU_DEP_1)
	v_add3_u32 v22, v0, v1, 0x7fff
                                        ; implicit-def: $vgpr0
; %bb.639:                              ;   in Loop: Header=BB205_31 Depth=1
	s_and_not1_saveexec_b32 s9, s1
; %bb.640:                              ;   in Loop: Header=BB205_31 Depth=1
	v_and_b32_e32 v1, 0xffff, v0
	v_or_b32_e32 v2, 0x10000, v0
	s_delay_alu instid0(VALU_DEP_2) | instskip(NEXT) | instid1(VALU_DEP_1)
	v_cmp_eq_u32_e64 s1, 0, v1
	v_cndmask_b32_e64 v22, v2, v0, s1
; %bb.641:                              ;   in Loop: Header=BB205_31 Depth=1
	s_or_b32 exec_lo, exec_lo, s9
	scratch_load_b32 v0, off, s32 offset:848 ; 4-byte Folded Reload
	s_waitcnt vmcnt(0)
	v_add_co_u32 v0, s1, v56, v0
	s_delay_alu instid0(VALU_DEP_1)
	v_add_co_ci_u32_e64 v1, s1, 0, v57, s1
	flat_load_b128 v[0:3], v[0:1]
	s_waitcnt vmcnt(0) lgkmcnt(0)
	v_lshrrev_b32_e32 v7, 16, v0
	v_lshrrev_b32_e32 v6, 16, v1
	;; [unrolled: 1-line block ×4, first 2 shown]
	s_and_saveexec_b32 s9, vcc_lo
	s_cbranch_execz .LBB205_643
; %bb.642:                              ;   in Loop: Header=BB205_31 Depth=1
	v_cmp_lt_i32_e64 s1, v176, v113
	s_delay_alu instid0(VALU_DEP_1) | instskip(SKIP_1) | instid1(VALU_DEP_1)
	v_cndmask_b32_e64 v0, 0, v0, s1
	v_cmp_lt_i32_e64 s1, v47, v113
	v_cndmask_b32_e64 v7, 0, v7, s1
	v_cmp_lt_i32_e64 s1, v46, v113
	s_delay_alu instid0(VALU_DEP_1) | instskip(SKIP_1) | instid1(VALU_DEP_1)
	v_cndmask_b32_e64 v1, 0, v1, s1
	v_cmp_lt_i32_e64 s1, v45, v113
	v_cndmask_b32_e64 v6, 0, v6, s1
	;; [unrolled: 5-line block ×4, first 2 shown]
.LBB205_643:                            ;   in Loop: Header=BB205_31 Depth=1
	s_or_b32 exec_lo, exec_lo, s9
	v_lshlrev_b32_e32 v0, 16, v0
	s_delay_alu instid0(VALU_DEP_1) | instskip(NEXT) | instid1(VALU_DEP_1)
	v_mul_f32_e32 v0, v58, v0
	v_and_b32_e32 v8, 0x7f800000, v0
	s_delay_alu instid0(VALU_DEP_1) | instskip(NEXT) | instid1(VALU_DEP_1)
	v_cmp_ne_u32_e64 s1, 0x7f800000, v8
                                        ; implicit-def: $vgpr8
	s_and_saveexec_b32 s9, s1
	s_delay_alu instid0(SALU_CYCLE_1)
	s_xor_b32 s1, exec_lo, s9
; %bb.644:                              ;   in Loop: Header=BB205_31 Depth=1
	v_bfe_u32 v8, v0, 16, 1
	s_delay_alu instid0(VALU_DEP_1)
	v_add3_u32 v8, v0, v8, 0x7fff
                                        ; implicit-def: $vgpr0
; %bb.645:                              ;   in Loop: Header=BB205_31 Depth=1
	s_and_not1_saveexec_b32 s9, s1
; %bb.646:                              ;   in Loop: Header=BB205_31 Depth=1
	v_and_b32_e32 v8, 0xffff, v0
	v_or_b32_e32 v9, 0x10000, v0
	s_delay_alu instid0(VALU_DEP_2) | instskip(NEXT) | instid1(VALU_DEP_1)
	v_cmp_eq_u32_e64 s1, 0, v8
	v_cndmask_b32_e64 v8, v9, v0, s1
; %bb.647:                              ;   in Loop: Header=BB205_31 Depth=1
	s_or_b32 exec_lo, exec_lo, s9
	v_lshlrev_b32_e32 v0, 16, v7
                                        ; implicit-def: $vgpr9
	s_delay_alu instid0(VALU_DEP_1) | instskip(NEXT) | instid1(VALU_DEP_1)
	v_mul_f32_e32 v0, v59, v0
	v_and_b32_e32 v7, 0x7f800000, v0
	s_delay_alu instid0(VALU_DEP_1) | instskip(NEXT) | instid1(VALU_DEP_1)
	v_cmp_ne_u32_e64 s1, 0x7f800000, v7
	s_and_saveexec_b32 s9, s1
	s_delay_alu instid0(SALU_CYCLE_1)
	s_xor_b32 s1, exec_lo, s9
; %bb.648:                              ;   in Loop: Header=BB205_31 Depth=1
	v_bfe_u32 v7, v0, 16, 1
	s_delay_alu instid0(VALU_DEP_1)
	v_add3_u32 v9, v0, v7, 0x7fff
                                        ; implicit-def: $vgpr0
; %bb.649:                              ;   in Loop: Header=BB205_31 Depth=1
	s_and_not1_saveexec_b32 s9, s1
; %bb.650:                              ;   in Loop: Header=BB205_31 Depth=1
	v_and_b32_e32 v7, 0xffff, v0
	v_or_b32_e32 v9, 0x10000, v0
	s_delay_alu instid0(VALU_DEP_2) | instskip(NEXT) | instid1(VALU_DEP_1)
	v_cmp_eq_u32_e64 s1, 0, v7
	v_cndmask_b32_e64 v9, v9, v0, s1
; %bb.651:                              ;   in Loop: Header=BB205_31 Depth=1
	s_or_b32 exec_lo, exec_lo, s9
	v_lshlrev_b32_e32 v0, 16, v1
                                        ; implicit-def: $vgpr21
	s_delay_alu instid0(VALU_DEP_1) | instskip(NEXT) | instid1(VALU_DEP_1)
	v_mul_f32_e32 v0, v60, v0
	v_and_b32_e32 v1, 0x7f800000, v0
	s_delay_alu instid0(VALU_DEP_1) | instskip(NEXT) | instid1(VALU_DEP_1)
	v_cmp_ne_u32_e64 s1, 0x7f800000, v1
	s_and_saveexec_b32 s9, s1
	s_delay_alu instid0(SALU_CYCLE_1)
	s_xor_b32 s1, exec_lo, s9
; %bb.652:                              ;   in Loop: Header=BB205_31 Depth=1
	v_bfe_u32 v1, v0, 16, 1
	s_delay_alu instid0(VALU_DEP_1)
	v_add3_u32 v21, v0, v1, 0x7fff
                                        ; implicit-def: $vgpr0
; %bb.653:                              ;   in Loop: Header=BB205_31 Depth=1
	s_and_not1_saveexec_b32 s9, s1
; %bb.654:                              ;   in Loop: Header=BB205_31 Depth=1
	v_and_b32_e32 v1, 0xffff, v0
	v_or_b32_e32 v7, 0x10000, v0
	s_delay_alu instid0(VALU_DEP_2) | instskip(NEXT) | instid1(VALU_DEP_1)
	v_cmp_eq_u32_e64 s1, 0, v1
	v_cndmask_b32_e64 v21, v7, v0, s1
; %bb.655:                              ;   in Loop: Header=BB205_31 Depth=1
	s_or_b32 exec_lo, exec_lo, s9
	v_lshlrev_b32_e32 v0, 16, v6
                                        ; implicit-def: $vgpr131
	s_delay_alu instid0(VALU_DEP_1) | instskip(NEXT) | instid1(VALU_DEP_1)
	v_mul_f32_e32 v0, v61, v0
	v_and_b32_e32 v1, 0x7f800000, v0
	s_delay_alu instid0(VALU_DEP_1) | instskip(NEXT) | instid1(VALU_DEP_1)
	v_cmp_ne_u32_e64 s1, 0x7f800000, v1
	s_and_saveexec_b32 s9, s1
	s_delay_alu instid0(SALU_CYCLE_1)
	s_xor_b32 s1, exec_lo, s9
; %bb.656:                              ;   in Loop: Header=BB205_31 Depth=1
	v_bfe_u32 v1, v0, 16, 1
	s_delay_alu instid0(VALU_DEP_1)
	v_add3_u32 v131, v0, v1, 0x7fff
                                        ; implicit-def: $vgpr0
; %bb.657:                              ;   in Loop: Header=BB205_31 Depth=1
	s_and_not1_saveexec_b32 s9, s1
; %bb.658:                              ;   in Loop: Header=BB205_31 Depth=1
	v_and_b32_e32 v1, 0xffff, v0
	v_or_b32_e32 v6, 0x10000, v0
	s_delay_alu instid0(VALU_DEP_2) | instskip(NEXT) | instid1(VALU_DEP_1)
	v_cmp_eq_u32_e64 s1, 0, v1
	v_cndmask_b32_e64 v131, v6, v0, s1
; %bb.659:                              ;   in Loop: Header=BB205_31 Depth=1
	s_or_b32 exec_lo, exec_lo, s9
	v_lshlrev_b32_e32 v0, 16, v2
                                        ; implicit-def: $vgpr132
	s_delay_alu instid0(VALU_DEP_1) | instskip(NEXT) | instid1(VALU_DEP_1)
	v_mul_f32_e32 v0, v62, v0
	v_and_b32_e32 v1, 0x7f800000, v0
	s_delay_alu instid0(VALU_DEP_1) | instskip(NEXT) | instid1(VALU_DEP_1)
	v_cmp_ne_u32_e64 s1, 0x7f800000, v1
	s_and_saveexec_b32 s9, s1
	s_delay_alu instid0(SALU_CYCLE_1)
	s_xor_b32 s1, exec_lo, s9
; %bb.660:                              ;   in Loop: Header=BB205_31 Depth=1
	v_bfe_u32 v1, v0, 16, 1
	s_delay_alu instid0(VALU_DEP_1)
	v_add3_u32 v132, v0, v1, 0x7fff
                                        ; implicit-def: $vgpr0
; %bb.661:                              ;   in Loop: Header=BB205_31 Depth=1
	s_and_not1_saveexec_b32 s9, s1
; %bb.662:                              ;   in Loop: Header=BB205_31 Depth=1
	v_and_b32_e32 v1, 0xffff, v0
	v_or_b32_e32 v2, 0x10000, v0
	s_delay_alu instid0(VALU_DEP_2) | instskip(NEXT) | instid1(VALU_DEP_1)
	v_cmp_eq_u32_e64 s1, 0, v1
	v_cndmask_b32_e64 v132, v2, v0, s1
; %bb.663:                              ;   in Loop: Header=BB205_31 Depth=1
	s_or_b32 exec_lo, exec_lo, s9
	v_lshlrev_b32_e32 v0, 16, v5
                                        ; implicit-def: $vgpr133
	s_delay_alu instid0(VALU_DEP_1) | instskip(NEXT) | instid1(VALU_DEP_1)
	v_mul_f32_e32 v0, v63, v0
	v_and_b32_e32 v1, 0x7f800000, v0
	s_delay_alu instid0(VALU_DEP_1) | instskip(NEXT) | instid1(VALU_DEP_1)
	v_cmp_ne_u32_e64 s1, 0x7f800000, v1
	s_and_saveexec_b32 s9, s1
	s_delay_alu instid0(SALU_CYCLE_1)
	s_xor_b32 s1, exec_lo, s9
; %bb.664:                              ;   in Loop: Header=BB205_31 Depth=1
	v_bfe_u32 v1, v0, 16, 1
	s_delay_alu instid0(VALU_DEP_1)
	v_add3_u32 v133, v0, v1, 0x7fff
                                        ; implicit-def: $vgpr0
; %bb.665:                              ;   in Loop: Header=BB205_31 Depth=1
	s_and_not1_saveexec_b32 s9, s1
; %bb.666:                              ;   in Loop: Header=BB205_31 Depth=1
	v_and_b32_e32 v1, 0xffff, v0
	v_or_b32_e32 v2, 0x10000, v0
	s_delay_alu instid0(VALU_DEP_2) | instskip(NEXT) | instid1(VALU_DEP_1)
	v_cmp_eq_u32_e64 s1, 0, v1
	v_cndmask_b32_e64 v133, v2, v0, s1
; %bb.667:                              ;   in Loop: Header=BB205_31 Depth=1
	s_or_b32 exec_lo, exec_lo, s9
	v_lshlrev_b32_e32 v0, 16, v3
                                        ; implicit-def: $vgpr134
	s_delay_alu instid0(VALU_DEP_1) | instskip(NEXT) | instid1(VALU_DEP_1)
	v_mul_f32_e32 v0, v72, v0
	v_and_b32_e32 v1, 0x7f800000, v0
	s_delay_alu instid0(VALU_DEP_1) | instskip(NEXT) | instid1(VALU_DEP_1)
	v_cmp_ne_u32_e64 s1, 0x7f800000, v1
	s_and_saveexec_b32 s9, s1
	s_delay_alu instid0(SALU_CYCLE_1)
	s_xor_b32 s1, exec_lo, s9
; %bb.668:                              ;   in Loop: Header=BB205_31 Depth=1
	v_bfe_u32 v1, v0, 16, 1
	s_delay_alu instid0(VALU_DEP_1)
	v_add3_u32 v134, v0, v1, 0x7fff
                                        ; implicit-def: $vgpr0
; %bb.669:                              ;   in Loop: Header=BB205_31 Depth=1
	s_and_not1_saveexec_b32 s9, s1
; %bb.670:                              ;   in Loop: Header=BB205_31 Depth=1
	v_and_b32_e32 v1, 0xffff, v0
	v_or_b32_e32 v2, 0x10000, v0
	s_delay_alu instid0(VALU_DEP_2) | instskip(NEXT) | instid1(VALU_DEP_1)
	v_cmp_eq_u32_e64 s1, 0, v1
	v_cndmask_b32_e64 v134, v2, v0, s1
; %bb.671:                              ;   in Loop: Header=BB205_31 Depth=1
	s_or_b32 exec_lo, exec_lo, s9
	v_lshlrev_b32_e32 v0, 16, v4
                                        ; implicit-def: $vgpr135
	s_delay_alu instid0(VALU_DEP_1) | instskip(NEXT) | instid1(VALU_DEP_1)
	v_mul_f32_e32 v0, v73, v0
	v_and_b32_e32 v1, 0x7f800000, v0
	s_delay_alu instid0(VALU_DEP_1) | instskip(NEXT) | instid1(VALU_DEP_1)
	v_cmp_ne_u32_e64 s1, 0x7f800000, v1
	s_and_saveexec_b32 s9, s1
	s_delay_alu instid0(SALU_CYCLE_1)
	s_xor_b32 s1, exec_lo, s9
; %bb.672:                              ;   in Loop: Header=BB205_31 Depth=1
	v_bfe_u32 v1, v0, 16, 1
	s_delay_alu instid0(VALU_DEP_1)
	v_add3_u32 v135, v0, v1, 0x7fff
                                        ; implicit-def: $vgpr0
; %bb.673:                              ;   in Loop: Header=BB205_31 Depth=1
	s_and_not1_saveexec_b32 s9, s1
; %bb.674:                              ;   in Loop: Header=BB205_31 Depth=1
	v_and_b32_e32 v1, 0xffff, v0
	v_or_b32_e32 v2, 0x10000, v0
	s_delay_alu instid0(VALU_DEP_2) | instskip(NEXT) | instid1(VALU_DEP_1)
	v_cmp_eq_u32_e64 s1, 0, v1
	v_cndmask_b32_e64 v135, v2, v0, s1
; %bb.675:                              ;   in Loop: Header=BB205_31 Depth=1
	s_or_b32 exec_lo, exec_lo, s9
	scratch_load_b32 v0, off, s32 offset:852 ; 4-byte Folded Reload
	s_waitcnt vmcnt(0)
	v_add_co_u32 v0, s1, v56, v0
	s_delay_alu instid0(VALU_DEP_1)
	v_add_co_ci_u32_e64 v1, s1, 0, v57, s1
	flat_load_b128 v[0:3], v[0:1]
	s_waitcnt vmcnt(0) lgkmcnt(0)
	v_lshrrev_b32_e32 v7, 16, v0
	v_lshrrev_b32_e32 v6, 16, v1
	;; [unrolled: 1-line block ×4, first 2 shown]
	s_and_saveexec_b32 s9, vcc_lo
	s_cbranch_execz .LBB205_677
; %bb.676:                              ;   in Loop: Header=BB205_31 Depth=1
	v_cmp_lt_i32_e64 s1, v176, v113
	s_delay_alu instid0(VALU_DEP_1) | instskip(SKIP_1) | instid1(VALU_DEP_1)
	v_cndmask_b32_e64 v0, 0, v0, s1
	v_cmp_lt_i32_e64 s1, v47, v113
	v_cndmask_b32_e64 v7, 0, v7, s1
	v_cmp_lt_i32_e64 s1, v46, v113
	s_delay_alu instid0(VALU_DEP_1) | instskip(SKIP_1) | instid1(VALU_DEP_1)
	v_cndmask_b32_e64 v1, 0, v1, s1
	v_cmp_lt_i32_e64 s1, v45, v113
	v_cndmask_b32_e64 v6, 0, v6, s1
	;; [unrolled: 5-line block ×4, first 2 shown]
.LBB205_677:                            ;   in Loop: Header=BB205_31 Depth=1
	s_or_b32 exec_lo, exec_lo, s9
	v_lshlrev_b32_e32 v0, 16, v0
                                        ; implicit-def: $vgpr144
	s_delay_alu instid0(VALU_DEP_1) | instskip(NEXT) | instid1(VALU_DEP_1)
	v_mul_f32_e32 v0, v58, v0
	v_and_b32_e32 v12, 0x7f800000, v0
	s_delay_alu instid0(VALU_DEP_1) | instskip(NEXT) | instid1(VALU_DEP_1)
	v_cmp_ne_u32_e64 s1, 0x7f800000, v12
	s_and_saveexec_b32 s9, s1
	s_delay_alu instid0(SALU_CYCLE_1)
	s_xor_b32 s1, exec_lo, s9
; %bb.678:                              ;   in Loop: Header=BB205_31 Depth=1
	v_bfe_u32 v12, v0, 16, 1
	s_delay_alu instid0(VALU_DEP_1)
	v_add3_u32 v144, v0, v12, 0x7fff
                                        ; implicit-def: $vgpr0
; %bb.679:                              ;   in Loop: Header=BB205_31 Depth=1
	s_and_not1_saveexec_b32 s9, s1
; %bb.680:                              ;   in Loop: Header=BB205_31 Depth=1
	v_and_b32_e32 v12, 0xffff, v0
	v_or_b32_e32 v39, 0x10000, v0
	s_delay_alu instid0(VALU_DEP_2) | instskip(NEXT) | instid1(VALU_DEP_1)
	v_cmp_eq_u32_e64 s1, 0, v12
	v_cndmask_b32_e64 v144, v39, v0, s1
; %bb.681:                              ;   in Loop: Header=BB205_31 Depth=1
	s_or_b32 exec_lo, exec_lo, s9
	v_lshlrev_b32_e32 v0, 16, v7
                                        ; implicit-def: $vgpr145
	s_delay_alu instid0(VALU_DEP_1) | instskip(NEXT) | instid1(VALU_DEP_1)
	v_mul_f32_e32 v0, v59, v0
	v_and_b32_e32 v7, 0x7f800000, v0
	s_delay_alu instid0(VALU_DEP_1) | instskip(NEXT) | instid1(VALU_DEP_1)
	v_cmp_ne_u32_e64 s1, 0x7f800000, v7
	s_and_saveexec_b32 s9, s1
	s_delay_alu instid0(SALU_CYCLE_1)
	s_xor_b32 s1, exec_lo, s9
; %bb.682:                              ;   in Loop: Header=BB205_31 Depth=1
	v_bfe_u32 v7, v0, 16, 1
	s_delay_alu instid0(VALU_DEP_1)
	v_add3_u32 v145, v0, v7, 0x7fff
                                        ; implicit-def: $vgpr0
; %bb.683:                              ;   in Loop: Header=BB205_31 Depth=1
	s_and_not1_saveexec_b32 s9, s1
; %bb.684:                              ;   in Loop: Header=BB205_31 Depth=1
	v_and_b32_e32 v7, 0xffff, v0
	v_or_b32_e32 v12, 0x10000, v0
	s_delay_alu instid0(VALU_DEP_2) | instskip(NEXT) | instid1(VALU_DEP_1)
	v_cmp_eq_u32_e64 s1, 0, v7
	v_cndmask_b32_e64 v145, v12, v0, s1
; %bb.685:                              ;   in Loop: Header=BB205_31 Depth=1
	s_or_b32 exec_lo, exec_lo, s9
	v_lshlrev_b32_e32 v0, 16, v1
                                        ; implicit-def: $vgpr146
	s_delay_alu instid0(VALU_DEP_1) | instskip(NEXT) | instid1(VALU_DEP_1)
	v_mul_f32_e32 v0, v60, v0
	v_and_b32_e32 v1, 0x7f800000, v0
	s_delay_alu instid0(VALU_DEP_1) | instskip(NEXT) | instid1(VALU_DEP_1)
	v_cmp_ne_u32_e64 s1, 0x7f800000, v1
	s_and_saveexec_b32 s9, s1
	s_delay_alu instid0(SALU_CYCLE_1)
	s_xor_b32 s1, exec_lo, s9
; %bb.686:                              ;   in Loop: Header=BB205_31 Depth=1
	v_bfe_u32 v1, v0, 16, 1
	s_delay_alu instid0(VALU_DEP_1)
	v_add3_u32 v146, v0, v1, 0x7fff
                                        ; implicit-def: $vgpr0
; %bb.687:                              ;   in Loop: Header=BB205_31 Depth=1
	s_and_not1_saveexec_b32 s9, s1
; %bb.688:                              ;   in Loop: Header=BB205_31 Depth=1
	v_and_b32_e32 v1, 0xffff, v0
	v_or_b32_e32 v7, 0x10000, v0
	s_delay_alu instid0(VALU_DEP_2) | instskip(NEXT) | instid1(VALU_DEP_1)
	v_cmp_eq_u32_e64 s1, 0, v1
	v_cndmask_b32_e64 v146, v7, v0, s1
; %bb.689:                              ;   in Loop: Header=BB205_31 Depth=1
	s_or_b32 exec_lo, exec_lo, s9
	v_lshlrev_b32_e32 v0, 16, v6
                                        ; implicit-def: $vgpr147
	s_delay_alu instid0(VALU_DEP_1) | instskip(NEXT) | instid1(VALU_DEP_1)
	v_mul_f32_e32 v0, v61, v0
	v_and_b32_e32 v1, 0x7f800000, v0
	s_delay_alu instid0(VALU_DEP_1) | instskip(NEXT) | instid1(VALU_DEP_1)
	v_cmp_ne_u32_e64 s1, 0x7f800000, v1
	s_and_saveexec_b32 s9, s1
	s_delay_alu instid0(SALU_CYCLE_1)
	s_xor_b32 s1, exec_lo, s9
; %bb.690:                              ;   in Loop: Header=BB205_31 Depth=1
	v_bfe_u32 v1, v0, 16, 1
	s_delay_alu instid0(VALU_DEP_1)
	v_add3_u32 v147, v0, v1, 0x7fff
                                        ; implicit-def: $vgpr0
; %bb.691:                              ;   in Loop: Header=BB205_31 Depth=1
	s_and_not1_saveexec_b32 s9, s1
; %bb.692:                              ;   in Loop: Header=BB205_31 Depth=1
	v_and_b32_e32 v1, 0xffff, v0
	v_or_b32_e32 v6, 0x10000, v0
	s_delay_alu instid0(VALU_DEP_2) | instskip(NEXT) | instid1(VALU_DEP_1)
	v_cmp_eq_u32_e64 s1, 0, v1
	v_cndmask_b32_e64 v147, v6, v0, s1
; %bb.693:                              ;   in Loop: Header=BB205_31 Depth=1
	s_or_b32 exec_lo, exec_lo, s9
	v_lshlrev_b32_e32 v0, 16, v2
                                        ; implicit-def: $vgpr148
	s_delay_alu instid0(VALU_DEP_1) | instskip(NEXT) | instid1(VALU_DEP_1)
	v_mul_f32_e32 v0, v62, v0
	v_and_b32_e32 v1, 0x7f800000, v0
	s_delay_alu instid0(VALU_DEP_1) | instskip(NEXT) | instid1(VALU_DEP_1)
	v_cmp_ne_u32_e64 s1, 0x7f800000, v1
	s_and_saveexec_b32 s9, s1
	s_delay_alu instid0(SALU_CYCLE_1)
	s_xor_b32 s1, exec_lo, s9
; %bb.694:                              ;   in Loop: Header=BB205_31 Depth=1
	v_bfe_u32 v1, v0, 16, 1
	s_delay_alu instid0(VALU_DEP_1)
	v_add3_u32 v148, v0, v1, 0x7fff
                                        ; implicit-def: $vgpr0
; %bb.695:                              ;   in Loop: Header=BB205_31 Depth=1
	s_and_not1_saveexec_b32 s9, s1
; %bb.696:                              ;   in Loop: Header=BB205_31 Depth=1
	v_and_b32_e32 v1, 0xffff, v0
	v_or_b32_e32 v2, 0x10000, v0
	s_delay_alu instid0(VALU_DEP_2) | instskip(NEXT) | instid1(VALU_DEP_1)
	v_cmp_eq_u32_e64 s1, 0, v1
	v_cndmask_b32_e64 v148, v2, v0, s1
; %bb.697:                              ;   in Loop: Header=BB205_31 Depth=1
	s_or_b32 exec_lo, exec_lo, s9
	v_lshlrev_b32_e32 v0, 16, v5
                                        ; implicit-def: $vgpr149
	s_delay_alu instid0(VALU_DEP_1) | instskip(NEXT) | instid1(VALU_DEP_1)
	v_mul_f32_e32 v0, v63, v0
	v_and_b32_e32 v1, 0x7f800000, v0
	s_delay_alu instid0(VALU_DEP_1) | instskip(NEXT) | instid1(VALU_DEP_1)
	v_cmp_ne_u32_e64 s1, 0x7f800000, v1
	s_and_saveexec_b32 s9, s1
	s_delay_alu instid0(SALU_CYCLE_1)
	s_xor_b32 s1, exec_lo, s9
; %bb.698:                              ;   in Loop: Header=BB205_31 Depth=1
	v_bfe_u32 v1, v0, 16, 1
	s_delay_alu instid0(VALU_DEP_1)
	v_add3_u32 v149, v0, v1, 0x7fff
                                        ; implicit-def: $vgpr0
; %bb.699:                              ;   in Loop: Header=BB205_31 Depth=1
	s_and_not1_saveexec_b32 s9, s1
; %bb.700:                              ;   in Loop: Header=BB205_31 Depth=1
	v_and_b32_e32 v1, 0xffff, v0
	v_or_b32_e32 v2, 0x10000, v0
	s_delay_alu instid0(VALU_DEP_2) | instskip(NEXT) | instid1(VALU_DEP_1)
	v_cmp_eq_u32_e64 s1, 0, v1
	v_cndmask_b32_e64 v149, v2, v0, s1
; %bb.701:                              ;   in Loop: Header=BB205_31 Depth=1
	s_or_b32 exec_lo, exec_lo, s9
	v_lshlrev_b32_e32 v0, 16, v3
                                        ; implicit-def: $vgpr150
	s_delay_alu instid0(VALU_DEP_1) | instskip(NEXT) | instid1(VALU_DEP_1)
	v_mul_f32_e32 v0, v72, v0
	v_and_b32_e32 v1, 0x7f800000, v0
	s_delay_alu instid0(VALU_DEP_1) | instskip(NEXT) | instid1(VALU_DEP_1)
	v_cmp_ne_u32_e64 s1, 0x7f800000, v1
	s_and_saveexec_b32 s9, s1
	s_delay_alu instid0(SALU_CYCLE_1)
	s_xor_b32 s1, exec_lo, s9
; %bb.702:                              ;   in Loop: Header=BB205_31 Depth=1
	v_bfe_u32 v1, v0, 16, 1
	s_delay_alu instid0(VALU_DEP_1)
	v_add3_u32 v150, v0, v1, 0x7fff
                                        ; implicit-def: $vgpr0
; %bb.703:                              ;   in Loop: Header=BB205_31 Depth=1
	s_and_not1_saveexec_b32 s9, s1
; %bb.704:                              ;   in Loop: Header=BB205_31 Depth=1
	v_and_b32_e32 v1, 0xffff, v0
	v_or_b32_e32 v2, 0x10000, v0
	s_delay_alu instid0(VALU_DEP_2) | instskip(NEXT) | instid1(VALU_DEP_1)
	v_cmp_eq_u32_e64 s1, 0, v1
	v_cndmask_b32_e64 v150, v2, v0, s1
; %bb.705:                              ;   in Loop: Header=BB205_31 Depth=1
	s_or_b32 exec_lo, exec_lo, s9
	v_lshlrev_b32_e32 v0, 16, v4
                                        ; implicit-def: $vgpr151
	s_delay_alu instid0(VALU_DEP_1) | instskip(NEXT) | instid1(VALU_DEP_1)
	v_mul_f32_e32 v0, v73, v0
	v_and_b32_e32 v1, 0x7f800000, v0
	s_delay_alu instid0(VALU_DEP_1) | instskip(NEXT) | instid1(VALU_DEP_1)
	v_cmp_ne_u32_e64 s1, 0x7f800000, v1
	s_and_saveexec_b32 s9, s1
	s_delay_alu instid0(SALU_CYCLE_1)
	s_xor_b32 s1, exec_lo, s9
; %bb.706:                              ;   in Loop: Header=BB205_31 Depth=1
	v_bfe_u32 v1, v0, 16, 1
	s_delay_alu instid0(VALU_DEP_1)
	v_add3_u32 v151, v0, v1, 0x7fff
                                        ; implicit-def: $vgpr0
; %bb.707:                              ;   in Loop: Header=BB205_31 Depth=1
	s_and_not1_saveexec_b32 s9, s1
; %bb.708:                              ;   in Loop: Header=BB205_31 Depth=1
	v_and_b32_e32 v1, 0xffff, v0
	v_or_b32_e32 v2, 0x10000, v0
	s_delay_alu instid0(VALU_DEP_2) | instskip(NEXT) | instid1(VALU_DEP_1)
	v_cmp_eq_u32_e64 s1, 0, v1
	v_cndmask_b32_e64 v151, v2, v0, s1
; %bb.709:                              ;   in Loop: Header=BB205_31 Depth=1
	s_or_b32 exec_lo, exec_lo, s9
	scratch_load_b32 v0, off, s32 offset:856 ; 4-byte Folded Reload
	s_waitcnt vmcnt(0)
	v_add_co_u32 v0, s1, v56, v0
	s_delay_alu instid0(VALU_DEP_1)
	v_add_co_ci_u32_e64 v1, s1, 0, v57, s1
	flat_load_b128 v[0:3], v[0:1]
	s_waitcnt vmcnt(0) lgkmcnt(0)
	v_lshrrev_b32_e32 v7, 16, v0
	v_lshrrev_b32_e32 v6, 16, v1
	;; [unrolled: 1-line block ×4, first 2 shown]
	s_and_saveexec_b32 s9, vcc_lo
	s_cbranch_execz .LBB205_711
; %bb.710:                              ;   in Loop: Header=BB205_31 Depth=1
	v_cmp_lt_i32_e64 s1, v176, v113
	s_delay_alu instid0(VALU_DEP_1) | instskip(SKIP_1) | instid1(VALU_DEP_1)
	v_cndmask_b32_e64 v0, 0, v0, s1
	v_cmp_lt_i32_e64 s1, v47, v113
	v_cndmask_b32_e64 v7, 0, v7, s1
	v_cmp_lt_i32_e64 s1, v46, v113
	s_delay_alu instid0(VALU_DEP_1) | instskip(SKIP_1) | instid1(VALU_DEP_1)
	v_cndmask_b32_e64 v1, 0, v1, s1
	v_cmp_lt_i32_e64 s1, v45, v113
	v_cndmask_b32_e64 v6, 0, v6, s1
	;; [unrolled: 5-line block ×4, first 2 shown]
.LBB205_711:                            ;   in Loop: Header=BB205_31 Depth=1
	s_or_b32 exec_lo, exec_lo, s9
	v_lshlrev_b32_e32 v0, 16, v0
                                        ; implicit-def: $vgpr160
	s_delay_alu instid0(VALU_DEP_1) | instskip(NEXT) | instid1(VALU_DEP_1)
	v_mul_f32_e32 v0, v58, v0
	v_and_b32_e32 v12, 0x7f800000, v0
	s_delay_alu instid0(VALU_DEP_1) | instskip(NEXT) | instid1(VALU_DEP_1)
	v_cmp_ne_u32_e64 s1, 0x7f800000, v12
	s_and_saveexec_b32 s9, s1
	s_delay_alu instid0(SALU_CYCLE_1)
	s_xor_b32 s1, exec_lo, s9
; %bb.712:                              ;   in Loop: Header=BB205_31 Depth=1
	v_bfe_u32 v12, v0, 16, 1
	s_delay_alu instid0(VALU_DEP_1)
	v_add3_u32 v160, v0, v12, 0x7fff
                                        ; implicit-def: $vgpr0
; %bb.713:                              ;   in Loop: Header=BB205_31 Depth=1
	s_and_not1_saveexec_b32 s9, s1
; %bb.714:                              ;   in Loop: Header=BB205_31 Depth=1
	v_and_b32_e32 v12, 0xffff, v0
	v_or_b32_e32 v39, 0x10000, v0
	s_delay_alu instid0(VALU_DEP_2) | instskip(NEXT) | instid1(VALU_DEP_1)
	v_cmp_eq_u32_e64 s1, 0, v12
	v_cndmask_b32_e64 v160, v39, v0, s1
; %bb.715:                              ;   in Loop: Header=BB205_31 Depth=1
	s_or_b32 exec_lo, exec_lo, s9
	v_lshlrev_b32_e32 v0, 16, v7
                                        ; implicit-def: $vgpr161
	s_delay_alu instid0(VALU_DEP_1) | instskip(NEXT) | instid1(VALU_DEP_1)
	v_mul_f32_e32 v0, v59, v0
	v_and_b32_e32 v7, 0x7f800000, v0
	s_delay_alu instid0(VALU_DEP_1) | instskip(NEXT) | instid1(VALU_DEP_1)
	v_cmp_ne_u32_e64 s1, 0x7f800000, v7
	s_and_saveexec_b32 s9, s1
	s_delay_alu instid0(SALU_CYCLE_1)
	s_xor_b32 s1, exec_lo, s9
; %bb.716:                              ;   in Loop: Header=BB205_31 Depth=1
	v_bfe_u32 v7, v0, 16, 1
	s_delay_alu instid0(VALU_DEP_1)
	v_add3_u32 v161, v0, v7, 0x7fff
                                        ; implicit-def: $vgpr0
; %bb.717:                              ;   in Loop: Header=BB205_31 Depth=1
	s_and_not1_saveexec_b32 s9, s1
; %bb.718:                              ;   in Loop: Header=BB205_31 Depth=1
	v_and_b32_e32 v7, 0xffff, v0
	v_or_b32_e32 v12, 0x10000, v0
	s_delay_alu instid0(VALU_DEP_2) | instskip(NEXT) | instid1(VALU_DEP_1)
	v_cmp_eq_u32_e64 s1, 0, v7
	v_cndmask_b32_e64 v161, v12, v0, s1
; %bb.719:                              ;   in Loop: Header=BB205_31 Depth=1
	s_or_b32 exec_lo, exec_lo, s9
	v_lshlrev_b32_e32 v0, 16, v1
                                        ; implicit-def: $vgpr162
	s_delay_alu instid0(VALU_DEP_1) | instskip(NEXT) | instid1(VALU_DEP_1)
	v_mul_f32_e32 v0, v60, v0
	v_and_b32_e32 v1, 0x7f800000, v0
	s_delay_alu instid0(VALU_DEP_1) | instskip(NEXT) | instid1(VALU_DEP_1)
	v_cmp_ne_u32_e64 s1, 0x7f800000, v1
	s_and_saveexec_b32 s9, s1
	s_delay_alu instid0(SALU_CYCLE_1)
	s_xor_b32 s1, exec_lo, s9
; %bb.720:                              ;   in Loop: Header=BB205_31 Depth=1
	v_bfe_u32 v1, v0, 16, 1
	s_delay_alu instid0(VALU_DEP_1)
	v_add3_u32 v162, v0, v1, 0x7fff
                                        ; implicit-def: $vgpr0
; %bb.721:                              ;   in Loop: Header=BB205_31 Depth=1
	s_and_not1_saveexec_b32 s9, s1
; %bb.722:                              ;   in Loop: Header=BB205_31 Depth=1
	v_and_b32_e32 v1, 0xffff, v0
	v_or_b32_e32 v7, 0x10000, v0
	s_delay_alu instid0(VALU_DEP_2) | instskip(NEXT) | instid1(VALU_DEP_1)
	v_cmp_eq_u32_e64 s1, 0, v1
	v_cndmask_b32_e64 v162, v7, v0, s1
; %bb.723:                              ;   in Loop: Header=BB205_31 Depth=1
	s_or_b32 exec_lo, exec_lo, s9
	v_lshlrev_b32_e32 v0, 16, v6
                                        ; implicit-def: $vgpr163
	s_delay_alu instid0(VALU_DEP_1) | instskip(NEXT) | instid1(VALU_DEP_1)
	v_mul_f32_e32 v0, v61, v0
	v_and_b32_e32 v1, 0x7f800000, v0
	s_delay_alu instid0(VALU_DEP_1) | instskip(NEXT) | instid1(VALU_DEP_1)
	v_cmp_ne_u32_e64 s1, 0x7f800000, v1
	s_and_saveexec_b32 s9, s1
	s_delay_alu instid0(SALU_CYCLE_1)
	s_xor_b32 s1, exec_lo, s9
; %bb.724:                              ;   in Loop: Header=BB205_31 Depth=1
	v_bfe_u32 v1, v0, 16, 1
	s_delay_alu instid0(VALU_DEP_1)
	v_add3_u32 v163, v0, v1, 0x7fff
                                        ; implicit-def: $vgpr0
; %bb.725:                              ;   in Loop: Header=BB205_31 Depth=1
	s_and_not1_saveexec_b32 s9, s1
; %bb.726:                              ;   in Loop: Header=BB205_31 Depth=1
	v_and_b32_e32 v1, 0xffff, v0
	v_or_b32_e32 v6, 0x10000, v0
	s_delay_alu instid0(VALU_DEP_2) | instskip(NEXT) | instid1(VALU_DEP_1)
	v_cmp_eq_u32_e64 s1, 0, v1
	v_cndmask_b32_e64 v163, v6, v0, s1
; %bb.727:                              ;   in Loop: Header=BB205_31 Depth=1
	s_or_b32 exec_lo, exec_lo, s9
	v_lshlrev_b32_e32 v0, 16, v2
                                        ; implicit-def: $vgpr164
	s_delay_alu instid0(VALU_DEP_1) | instskip(NEXT) | instid1(VALU_DEP_1)
	v_mul_f32_e32 v0, v62, v0
	v_and_b32_e32 v1, 0x7f800000, v0
	s_delay_alu instid0(VALU_DEP_1) | instskip(NEXT) | instid1(VALU_DEP_1)
	v_cmp_ne_u32_e64 s1, 0x7f800000, v1
	s_and_saveexec_b32 s9, s1
	s_delay_alu instid0(SALU_CYCLE_1)
	s_xor_b32 s1, exec_lo, s9
; %bb.728:                              ;   in Loop: Header=BB205_31 Depth=1
	v_bfe_u32 v1, v0, 16, 1
	s_delay_alu instid0(VALU_DEP_1)
	v_add3_u32 v164, v0, v1, 0x7fff
                                        ; implicit-def: $vgpr0
; %bb.729:                              ;   in Loop: Header=BB205_31 Depth=1
	s_and_not1_saveexec_b32 s9, s1
; %bb.730:                              ;   in Loop: Header=BB205_31 Depth=1
	v_and_b32_e32 v1, 0xffff, v0
	v_or_b32_e32 v2, 0x10000, v0
	s_delay_alu instid0(VALU_DEP_2) | instskip(NEXT) | instid1(VALU_DEP_1)
	v_cmp_eq_u32_e64 s1, 0, v1
	v_cndmask_b32_e64 v164, v2, v0, s1
; %bb.731:                              ;   in Loop: Header=BB205_31 Depth=1
	s_or_b32 exec_lo, exec_lo, s9
	v_lshlrev_b32_e32 v0, 16, v5
                                        ; implicit-def: $vgpr165
	s_delay_alu instid0(VALU_DEP_1) | instskip(NEXT) | instid1(VALU_DEP_1)
	v_mul_f32_e32 v0, v63, v0
	v_and_b32_e32 v1, 0x7f800000, v0
	s_delay_alu instid0(VALU_DEP_1) | instskip(NEXT) | instid1(VALU_DEP_1)
	v_cmp_ne_u32_e64 s1, 0x7f800000, v1
	s_and_saveexec_b32 s9, s1
	s_delay_alu instid0(SALU_CYCLE_1)
	s_xor_b32 s1, exec_lo, s9
; %bb.732:                              ;   in Loop: Header=BB205_31 Depth=1
	v_bfe_u32 v1, v0, 16, 1
	s_delay_alu instid0(VALU_DEP_1)
	v_add3_u32 v165, v0, v1, 0x7fff
                                        ; implicit-def: $vgpr0
; %bb.733:                              ;   in Loop: Header=BB205_31 Depth=1
	s_and_not1_saveexec_b32 s9, s1
; %bb.734:                              ;   in Loop: Header=BB205_31 Depth=1
	v_and_b32_e32 v1, 0xffff, v0
	v_or_b32_e32 v2, 0x10000, v0
	s_delay_alu instid0(VALU_DEP_2) | instskip(NEXT) | instid1(VALU_DEP_1)
	v_cmp_eq_u32_e64 s1, 0, v1
	v_cndmask_b32_e64 v165, v2, v0, s1
; %bb.735:                              ;   in Loop: Header=BB205_31 Depth=1
	s_or_b32 exec_lo, exec_lo, s9
	v_lshlrev_b32_e32 v0, 16, v3
                                        ; implicit-def: $vgpr166
	s_delay_alu instid0(VALU_DEP_1) | instskip(NEXT) | instid1(VALU_DEP_1)
	v_mul_f32_e32 v0, v72, v0
	v_and_b32_e32 v1, 0x7f800000, v0
	s_delay_alu instid0(VALU_DEP_1) | instskip(NEXT) | instid1(VALU_DEP_1)
	v_cmp_ne_u32_e64 s1, 0x7f800000, v1
	s_and_saveexec_b32 s9, s1
	s_delay_alu instid0(SALU_CYCLE_1)
	s_xor_b32 s1, exec_lo, s9
; %bb.736:                              ;   in Loop: Header=BB205_31 Depth=1
	v_bfe_u32 v1, v0, 16, 1
	s_delay_alu instid0(VALU_DEP_1)
	v_add3_u32 v166, v0, v1, 0x7fff
                                        ; implicit-def: $vgpr0
; %bb.737:                              ;   in Loop: Header=BB205_31 Depth=1
	s_and_not1_saveexec_b32 s9, s1
; %bb.738:                              ;   in Loop: Header=BB205_31 Depth=1
	v_and_b32_e32 v1, 0xffff, v0
	v_or_b32_e32 v2, 0x10000, v0
	s_delay_alu instid0(VALU_DEP_2) | instskip(NEXT) | instid1(VALU_DEP_1)
	v_cmp_eq_u32_e64 s1, 0, v1
	v_cndmask_b32_e64 v166, v2, v0, s1
; %bb.739:                              ;   in Loop: Header=BB205_31 Depth=1
	s_or_b32 exec_lo, exec_lo, s9
	v_lshlrev_b32_e32 v0, 16, v4
                                        ; implicit-def: $vgpr167
	s_delay_alu instid0(VALU_DEP_1) | instskip(NEXT) | instid1(VALU_DEP_1)
	v_mul_f32_e32 v0, v73, v0
	v_and_b32_e32 v1, 0x7f800000, v0
	s_delay_alu instid0(VALU_DEP_1) | instskip(NEXT) | instid1(VALU_DEP_1)
	v_cmp_ne_u32_e64 s1, 0x7f800000, v1
	s_and_saveexec_b32 s9, s1
	s_delay_alu instid0(SALU_CYCLE_1)
	s_xor_b32 s1, exec_lo, s9
; %bb.740:                              ;   in Loop: Header=BB205_31 Depth=1
	v_bfe_u32 v1, v0, 16, 1
	s_delay_alu instid0(VALU_DEP_1)
	v_add3_u32 v167, v0, v1, 0x7fff
                                        ; implicit-def: $vgpr0
; %bb.741:                              ;   in Loop: Header=BB205_31 Depth=1
	s_and_not1_saveexec_b32 s9, s1
; %bb.742:                              ;   in Loop: Header=BB205_31 Depth=1
	v_and_b32_e32 v1, 0xffff, v0
	v_or_b32_e32 v2, 0x10000, v0
	s_delay_alu instid0(VALU_DEP_2) | instskip(NEXT) | instid1(VALU_DEP_1)
	v_cmp_eq_u32_e64 s1, 0, v1
	v_cndmask_b32_e64 v167, v2, v0, s1
; %bb.743:                              ;   in Loop: Header=BB205_31 Depth=1
	s_or_b32 exec_lo, exec_lo, s9
	scratch_load_b32 v0, off, s32 offset:860 ; 4-byte Folded Reload
	s_waitcnt vmcnt(0)
	v_add_co_u32 v0, s1, v56, v0
	s_delay_alu instid0(VALU_DEP_1)
	v_add_co_ci_u32_e64 v1, s1, 0, v57, s1
	flat_load_b128 v[0:3], v[0:1]
	s_waitcnt vmcnt(0) lgkmcnt(0)
	v_lshrrev_b32_e32 v7, 16, v0
	v_lshrrev_b32_e32 v6, 16, v1
	;; [unrolled: 1-line block ×4, first 2 shown]
	s_and_saveexec_b32 s9, vcc_lo
	s_cbranch_execz .LBB205_745
; %bb.744:                              ;   in Loop: Header=BB205_31 Depth=1
	v_cmp_lt_i32_e64 s1, v176, v113
	s_delay_alu instid0(VALU_DEP_1) | instskip(SKIP_1) | instid1(VALU_DEP_1)
	v_cndmask_b32_e64 v0, 0, v0, s1
	v_cmp_lt_i32_e64 s1, v47, v113
	v_cndmask_b32_e64 v7, 0, v7, s1
	v_cmp_lt_i32_e64 s1, v46, v113
	s_delay_alu instid0(VALU_DEP_1) | instskip(SKIP_1) | instid1(VALU_DEP_1)
	v_cndmask_b32_e64 v1, 0, v1, s1
	v_cmp_lt_i32_e64 s1, v45, v113
	v_cndmask_b32_e64 v6, 0, v6, s1
	;; [unrolled: 5-line block ×4, first 2 shown]
.LBB205_745:                            ;   in Loop: Header=BB205_31 Depth=1
	s_or_b32 exec_lo, exec_lo, s9
	v_lshlrev_b32_e32 v0, 16, v0
                                        ; implicit-def: $vgpr177
	s_delay_alu instid0(VALU_DEP_1) | instskip(NEXT) | instid1(VALU_DEP_1)
	v_mul_f32_e32 v0, v58, v0
	v_and_b32_e32 v12, 0x7f800000, v0
	s_delay_alu instid0(VALU_DEP_1) | instskip(NEXT) | instid1(VALU_DEP_1)
	v_cmp_ne_u32_e64 s1, 0x7f800000, v12
	s_and_saveexec_b32 s9, s1
	s_delay_alu instid0(SALU_CYCLE_1)
	s_xor_b32 s1, exec_lo, s9
; %bb.746:                              ;   in Loop: Header=BB205_31 Depth=1
	v_bfe_u32 v12, v0, 16, 1
	s_delay_alu instid0(VALU_DEP_1)
	v_add3_u32 v177, v0, v12, 0x7fff
                                        ; implicit-def: $vgpr0
; %bb.747:                              ;   in Loop: Header=BB205_31 Depth=1
	s_and_not1_saveexec_b32 s9, s1
; %bb.748:                              ;   in Loop: Header=BB205_31 Depth=1
	v_and_b32_e32 v12, 0xffff, v0
	v_or_b32_e32 v39, 0x10000, v0
	s_delay_alu instid0(VALU_DEP_2) | instskip(NEXT) | instid1(VALU_DEP_1)
	v_cmp_eq_u32_e64 s1, 0, v12
	v_cndmask_b32_e64 v177, v39, v0, s1
; %bb.749:                              ;   in Loop: Header=BB205_31 Depth=1
	s_or_b32 exec_lo, exec_lo, s9
	v_lshlrev_b32_e32 v0, 16, v7
                                        ; implicit-def: $vgpr178
	s_delay_alu instid0(VALU_DEP_1) | instskip(NEXT) | instid1(VALU_DEP_1)
	v_mul_f32_e32 v0, v59, v0
	v_and_b32_e32 v7, 0x7f800000, v0
	s_delay_alu instid0(VALU_DEP_1) | instskip(NEXT) | instid1(VALU_DEP_1)
	v_cmp_ne_u32_e64 s1, 0x7f800000, v7
	s_and_saveexec_b32 s9, s1
	s_delay_alu instid0(SALU_CYCLE_1)
	s_xor_b32 s1, exec_lo, s9
; %bb.750:                              ;   in Loop: Header=BB205_31 Depth=1
	v_bfe_u32 v7, v0, 16, 1
	s_delay_alu instid0(VALU_DEP_1)
	v_add3_u32 v178, v0, v7, 0x7fff
                                        ; implicit-def: $vgpr0
; %bb.751:                              ;   in Loop: Header=BB205_31 Depth=1
	s_and_not1_saveexec_b32 s9, s1
; %bb.752:                              ;   in Loop: Header=BB205_31 Depth=1
	v_and_b32_e32 v7, 0xffff, v0
	v_or_b32_e32 v12, 0x10000, v0
	s_delay_alu instid0(VALU_DEP_2) | instskip(NEXT) | instid1(VALU_DEP_1)
	v_cmp_eq_u32_e64 s1, 0, v7
	v_cndmask_b32_e64 v178, v12, v0, s1
; %bb.753:                              ;   in Loop: Header=BB205_31 Depth=1
	s_or_b32 exec_lo, exec_lo, s9
	v_lshlrev_b32_e32 v0, 16, v1
                                        ; implicit-def: $vgpr179
	s_delay_alu instid0(VALU_DEP_1) | instskip(NEXT) | instid1(VALU_DEP_1)
	v_mul_f32_e32 v0, v60, v0
	v_and_b32_e32 v1, 0x7f800000, v0
	s_delay_alu instid0(VALU_DEP_1) | instskip(NEXT) | instid1(VALU_DEP_1)
	v_cmp_ne_u32_e64 s1, 0x7f800000, v1
	s_and_saveexec_b32 s9, s1
	s_delay_alu instid0(SALU_CYCLE_1)
	s_xor_b32 s1, exec_lo, s9
; %bb.754:                              ;   in Loop: Header=BB205_31 Depth=1
	v_bfe_u32 v1, v0, 16, 1
	s_delay_alu instid0(VALU_DEP_1)
	v_add3_u32 v179, v0, v1, 0x7fff
                                        ; implicit-def: $vgpr0
; %bb.755:                              ;   in Loop: Header=BB205_31 Depth=1
	s_and_not1_saveexec_b32 s9, s1
; %bb.756:                              ;   in Loop: Header=BB205_31 Depth=1
	v_and_b32_e32 v1, 0xffff, v0
	v_or_b32_e32 v7, 0x10000, v0
	s_delay_alu instid0(VALU_DEP_2) | instskip(NEXT) | instid1(VALU_DEP_1)
	v_cmp_eq_u32_e64 s1, 0, v1
	v_cndmask_b32_e64 v179, v7, v0, s1
; %bb.757:                              ;   in Loop: Header=BB205_31 Depth=1
	s_or_b32 exec_lo, exec_lo, s9
	v_lshlrev_b32_e32 v0, 16, v6
                                        ; implicit-def: $vgpr180
	s_delay_alu instid0(VALU_DEP_1) | instskip(NEXT) | instid1(VALU_DEP_1)
	v_mul_f32_e32 v0, v61, v0
	v_and_b32_e32 v1, 0x7f800000, v0
	s_delay_alu instid0(VALU_DEP_1) | instskip(NEXT) | instid1(VALU_DEP_1)
	v_cmp_ne_u32_e64 s1, 0x7f800000, v1
	s_and_saveexec_b32 s9, s1
	s_delay_alu instid0(SALU_CYCLE_1)
	s_xor_b32 s1, exec_lo, s9
; %bb.758:                              ;   in Loop: Header=BB205_31 Depth=1
	v_bfe_u32 v1, v0, 16, 1
	s_delay_alu instid0(VALU_DEP_1)
	v_add3_u32 v180, v0, v1, 0x7fff
                                        ; implicit-def: $vgpr0
; %bb.759:                              ;   in Loop: Header=BB205_31 Depth=1
	s_and_not1_saveexec_b32 s9, s1
; %bb.760:                              ;   in Loop: Header=BB205_31 Depth=1
	v_and_b32_e32 v1, 0xffff, v0
	v_or_b32_e32 v6, 0x10000, v0
	s_delay_alu instid0(VALU_DEP_2) | instskip(NEXT) | instid1(VALU_DEP_1)
	v_cmp_eq_u32_e64 s1, 0, v1
	v_cndmask_b32_e64 v180, v6, v0, s1
; %bb.761:                              ;   in Loop: Header=BB205_31 Depth=1
	s_or_b32 exec_lo, exec_lo, s9
	v_lshlrev_b32_e32 v0, 16, v2
                                        ; implicit-def: $vgpr181
	s_delay_alu instid0(VALU_DEP_1) | instskip(NEXT) | instid1(VALU_DEP_1)
	v_mul_f32_e32 v0, v62, v0
	v_and_b32_e32 v1, 0x7f800000, v0
	s_delay_alu instid0(VALU_DEP_1) | instskip(NEXT) | instid1(VALU_DEP_1)
	v_cmp_ne_u32_e64 s1, 0x7f800000, v1
	s_and_saveexec_b32 s9, s1
	s_delay_alu instid0(SALU_CYCLE_1)
	s_xor_b32 s1, exec_lo, s9
; %bb.762:                              ;   in Loop: Header=BB205_31 Depth=1
	v_bfe_u32 v1, v0, 16, 1
	s_delay_alu instid0(VALU_DEP_1)
	v_add3_u32 v181, v0, v1, 0x7fff
                                        ; implicit-def: $vgpr0
; %bb.763:                              ;   in Loop: Header=BB205_31 Depth=1
	s_and_not1_saveexec_b32 s9, s1
; %bb.764:                              ;   in Loop: Header=BB205_31 Depth=1
	v_and_b32_e32 v1, 0xffff, v0
	v_or_b32_e32 v2, 0x10000, v0
	s_delay_alu instid0(VALU_DEP_2) | instskip(NEXT) | instid1(VALU_DEP_1)
	v_cmp_eq_u32_e64 s1, 0, v1
	v_cndmask_b32_e64 v181, v2, v0, s1
; %bb.765:                              ;   in Loop: Header=BB205_31 Depth=1
	s_or_b32 exec_lo, exec_lo, s9
	v_lshlrev_b32_e32 v0, 16, v5
                                        ; implicit-def: $vgpr182
	s_delay_alu instid0(VALU_DEP_1) | instskip(NEXT) | instid1(VALU_DEP_1)
	v_mul_f32_e32 v0, v63, v0
	v_and_b32_e32 v1, 0x7f800000, v0
	s_delay_alu instid0(VALU_DEP_1) | instskip(NEXT) | instid1(VALU_DEP_1)
	v_cmp_ne_u32_e64 s1, 0x7f800000, v1
	s_and_saveexec_b32 s9, s1
	s_delay_alu instid0(SALU_CYCLE_1)
	s_xor_b32 s1, exec_lo, s9
; %bb.766:                              ;   in Loop: Header=BB205_31 Depth=1
	v_bfe_u32 v1, v0, 16, 1
	s_delay_alu instid0(VALU_DEP_1)
	v_add3_u32 v182, v0, v1, 0x7fff
                                        ; implicit-def: $vgpr0
; %bb.767:                              ;   in Loop: Header=BB205_31 Depth=1
	s_and_not1_saveexec_b32 s9, s1
; %bb.768:                              ;   in Loop: Header=BB205_31 Depth=1
	v_and_b32_e32 v1, 0xffff, v0
	v_or_b32_e32 v2, 0x10000, v0
	s_delay_alu instid0(VALU_DEP_2) | instskip(NEXT) | instid1(VALU_DEP_1)
	v_cmp_eq_u32_e64 s1, 0, v1
	v_cndmask_b32_e64 v182, v2, v0, s1
; %bb.769:                              ;   in Loop: Header=BB205_31 Depth=1
	s_or_b32 exec_lo, exec_lo, s9
	v_lshlrev_b32_e32 v0, 16, v3
                                        ; implicit-def: $vgpr183
	s_delay_alu instid0(VALU_DEP_1) | instskip(NEXT) | instid1(VALU_DEP_1)
	v_mul_f32_e32 v0, v72, v0
	v_and_b32_e32 v1, 0x7f800000, v0
	s_delay_alu instid0(VALU_DEP_1) | instskip(NEXT) | instid1(VALU_DEP_1)
	v_cmp_ne_u32_e64 s1, 0x7f800000, v1
	s_and_saveexec_b32 s9, s1
	s_delay_alu instid0(SALU_CYCLE_1)
	s_xor_b32 s1, exec_lo, s9
; %bb.770:                              ;   in Loop: Header=BB205_31 Depth=1
	v_bfe_u32 v1, v0, 16, 1
	s_delay_alu instid0(VALU_DEP_1)
	v_add3_u32 v183, v0, v1, 0x7fff
                                        ; implicit-def: $vgpr0
; %bb.771:                              ;   in Loop: Header=BB205_31 Depth=1
	s_and_not1_saveexec_b32 s9, s1
; %bb.772:                              ;   in Loop: Header=BB205_31 Depth=1
	v_and_b32_e32 v1, 0xffff, v0
	v_or_b32_e32 v2, 0x10000, v0
	s_delay_alu instid0(VALU_DEP_2) | instskip(NEXT) | instid1(VALU_DEP_1)
	v_cmp_eq_u32_e64 s1, 0, v1
	v_cndmask_b32_e64 v183, v2, v0, s1
; %bb.773:                              ;   in Loop: Header=BB205_31 Depth=1
	s_or_b32 exec_lo, exec_lo, s9
	v_lshlrev_b32_e32 v0, 16, v4
                                        ; implicit-def: $vgpr40
	s_delay_alu instid0(VALU_DEP_1) | instskip(NEXT) | instid1(VALU_DEP_1)
	v_mul_f32_e32 v0, v73, v0
	v_and_b32_e32 v1, 0x7f800000, v0
	s_delay_alu instid0(VALU_DEP_1) | instskip(NEXT) | instid1(VALU_DEP_1)
	v_cmp_ne_u32_e64 s1, 0x7f800000, v1
	s_and_saveexec_b32 s9, s1
	s_delay_alu instid0(SALU_CYCLE_1)
	s_xor_b32 s1, exec_lo, s9
; %bb.774:                              ;   in Loop: Header=BB205_31 Depth=1
	v_bfe_u32 v1, v0, 16, 1
	s_delay_alu instid0(VALU_DEP_1)
	v_add3_u32 v40, v0, v1, 0x7fff
                                        ; implicit-def: $vgpr0
; %bb.775:                              ;   in Loop: Header=BB205_31 Depth=1
	s_and_not1_saveexec_b32 s9, s1
; %bb.776:                              ;   in Loop: Header=BB205_31 Depth=1
	v_and_b32_e32 v1, 0xffff, v0
	v_or_b32_e32 v2, 0x10000, v0
	s_delay_alu instid0(VALU_DEP_2) | instskip(NEXT) | instid1(VALU_DEP_1)
	v_cmp_eq_u32_e64 s1, 0, v1
	v_cndmask_b32_e64 v40, v2, v0, s1
; %bb.777:                              ;   in Loop: Header=BB205_31 Depth=1
	s_or_b32 exec_lo, exec_lo, s9
	scratch_load_b32 v0, off, s32 offset:864 ; 4-byte Folded Reload
	s_waitcnt vmcnt(0)
	v_add_co_u32 v0, s1, v56, v0
	s_delay_alu instid0(VALU_DEP_1)
	v_add_co_ci_u32_e64 v1, s1, 0, v57, s1
	flat_load_b128 v[0:3], v[0:1]
	s_waitcnt vmcnt(0) lgkmcnt(0)
	v_lshrrev_b32_e32 v7, 16, v0
	v_lshrrev_b32_e32 v6, 16, v1
	v_lshrrev_b32_e32 v5, 16, v2
	v_lshrrev_b32_e32 v4, 16, v3
	s_and_saveexec_b32 s9, vcc_lo
	s_cbranch_execz .LBB205_779
; %bb.778:                              ;   in Loop: Header=BB205_31 Depth=1
	v_cmp_lt_i32_e64 s1, v176, v113
	s_delay_alu instid0(VALU_DEP_1) | instskip(SKIP_1) | instid1(VALU_DEP_1)
	v_cndmask_b32_e64 v0, 0, v0, s1
	v_cmp_lt_i32_e64 s1, v47, v113
	v_cndmask_b32_e64 v7, 0, v7, s1
	v_cmp_lt_i32_e64 s1, v46, v113
	s_delay_alu instid0(VALU_DEP_1) | instskip(SKIP_1) | instid1(VALU_DEP_1)
	v_cndmask_b32_e64 v1, 0, v1, s1
	v_cmp_lt_i32_e64 s1, v45, v113
	v_cndmask_b32_e64 v6, 0, v6, s1
	;; [unrolled: 5-line block ×4, first 2 shown]
.LBB205_779:                            ;   in Loop: Header=BB205_31 Depth=1
	s_or_b32 exec_lo, exec_lo, s9
	v_lshlrev_b32_e32 v0, 16, v0
                                        ; implicit-def: $vgpr74
	s_delay_alu instid0(VALU_DEP_1) | instskip(NEXT) | instid1(VALU_DEP_1)
	v_mul_f32_e32 v0, v58, v0
	v_and_b32_e32 v12, 0x7f800000, v0
	s_delay_alu instid0(VALU_DEP_1) | instskip(NEXT) | instid1(VALU_DEP_1)
	v_cmp_ne_u32_e64 s1, 0x7f800000, v12
	s_and_saveexec_b32 s9, s1
	s_delay_alu instid0(SALU_CYCLE_1)
	s_xor_b32 s1, exec_lo, s9
; %bb.780:                              ;   in Loop: Header=BB205_31 Depth=1
	v_bfe_u32 v12, v0, 16, 1
	s_delay_alu instid0(VALU_DEP_1)
	v_add3_u32 v74, v0, v12, 0x7fff
                                        ; implicit-def: $vgpr0
; %bb.781:                              ;   in Loop: Header=BB205_31 Depth=1
	s_and_not1_saveexec_b32 s9, s1
; %bb.782:                              ;   in Loop: Header=BB205_31 Depth=1
	v_and_b32_e32 v12, 0xffff, v0
	v_or_b32_e32 v39, 0x10000, v0
	s_delay_alu instid0(VALU_DEP_2) | instskip(NEXT) | instid1(VALU_DEP_1)
	v_cmp_eq_u32_e64 s1, 0, v12
	v_cndmask_b32_e64 v74, v39, v0, s1
; %bb.783:                              ;   in Loop: Header=BB205_31 Depth=1
	s_or_b32 exec_lo, exec_lo, s9
	v_lshlrev_b32_e32 v0, 16, v7
                                        ; implicit-def: $vgpr75
	s_delay_alu instid0(VALU_DEP_1) | instskip(NEXT) | instid1(VALU_DEP_1)
	v_mul_f32_e32 v0, v59, v0
	v_and_b32_e32 v7, 0x7f800000, v0
	s_delay_alu instid0(VALU_DEP_1) | instskip(NEXT) | instid1(VALU_DEP_1)
	v_cmp_ne_u32_e64 s1, 0x7f800000, v7
	s_and_saveexec_b32 s9, s1
	s_delay_alu instid0(SALU_CYCLE_1)
	s_xor_b32 s1, exec_lo, s9
; %bb.784:                              ;   in Loop: Header=BB205_31 Depth=1
	v_bfe_u32 v7, v0, 16, 1
	s_delay_alu instid0(VALU_DEP_1)
	v_add3_u32 v75, v0, v7, 0x7fff
                                        ; implicit-def: $vgpr0
; %bb.785:                              ;   in Loop: Header=BB205_31 Depth=1
	s_and_not1_saveexec_b32 s9, s1
; %bb.786:                              ;   in Loop: Header=BB205_31 Depth=1
	v_and_b32_e32 v7, 0xffff, v0
	v_or_b32_e32 v12, 0x10000, v0
	s_delay_alu instid0(VALU_DEP_2) | instskip(NEXT) | instid1(VALU_DEP_1)
	v_cmp_eq_u32_e64 s1, 0, v7
	v_cndmask_b32_e64 v75, v12, v0, s1
; %bb.787:                              ;   in Loop: Header=BB205_31 Depth=1
	s_or_b32 exec_lo, exec_lo, s9
	v_lshlrev_b32_e32 v0, 16, v1
                                        ; implicit-def: $vgpr76
	s_delay_alu instid0(VALU_DEP_1) | instskip(NEXT) | instid1(VALU_DEP_1)
	v_mul_f32_e32 v0, v60, v0
	v_and_b32_e32 v1, 0x7f800000, v0
	s_delay_alu instid0(VALU_DEP_1) | instskip(NEXT) | instid1(VALU_DEP_1)
	v_cmp_ne_u32_e64 s1, 0x7f800000, v1
	s_and_saveexec_b32 s9, s1
	s_delay_alu instid0(SALU_CYCLE_1)
	s_xor_b32 s1, exec_lo, s9
; %bb.788:                              ;   in Loop: Header=BB205_31 Depth=1
	v_bfe_u32 v1, v0, 16, 1
	s_delay_alu instid0(VALU_DEP_1)
	v_add3_u32 v76, v0, v1, 0x7fff
                                        ; implicit-def: $vgpr0
; %bb.789:                              ;   in Loop: Header=BB205_31 Depth=1
	s_and_not1_saveexec_b32 s9, s1
; %bb.790:                              ;   in Loop: Header=BB205_31 Depth=1
	v_and_b32_e32 v1, 0xffff, v0
	v_or_b32_e32 v7, 0x10000, v0
	s_delay_alu instid0(VALU_DEP_2) | instskip(NEXT) | instid1(VALU_DEP_1)
	v_cmp_eq_u32_e64 s1, 0, v1
	v_cndmask_b32_e64 v76, v7, v0, s1
; %bb.791:                              ;   in Loop: Header=BB205_31 Depth=1
	s_or_b32 exec_lo, exec_lo, s9
	v_lshlrev_b32_e32 v0, 16, v6
                                        ; implicit-def: $vgpr77
	s_delay_alu instid0(VALU_DEP_1) | instskip(NEXT) | instid1(VALU_DEP_1)
	v_mul_f32_e32 v0, v61, v0
	v_and_b32_e32 v1, 0x7f800000, v0
	s_delay_alu instid0(VALU_DEP_1) | instskip(NEXT) | instid1(VALU_DEP_1)
	v_cmp_ne_u32_e64 s1, 0x7f800000, v1
	s_and_saveexec_b32 s9, s1
	s_delay_alu instid0(SALU_CYCLE_1)
	s_xor_b32 s1, exec_lo, s9
; %bb.792:                              ;   in Loop: Header=BB205_31 Depth=1
	v_bfe_u32 v1, v0, 16, 1
	s_delay_alu instid0(VALU_DEP_1)
	v_add3_u32 v77, v0, v1, 0x7fff
                                        ; implicit-def: $vgpr0
; %bb.793:                              ;   in Loop: Header=BB205_31 Depth=1
	s_and_not1_saveexec_b32 s9, s1
; %bb.794:                              ;   in Loop: Header=BB205_31 Depth=1
	v_and_b32_e32 v1, 0xffff, v0
	v_or_b32_e32 v6, 0x10000, v0
	s_delay_alu instid0(VALU_DEP_2) | instskip(NEXT) | instid1(VALU_DEP_1)
	v_cmp_eq_u32_e64 s1, 0, v1
	v_cndmask_b32_e64 v77, v6, v0, s1
; %bb.795:                              ;   in Loop: Header=BB205_31 Depth=1
	s_or_b32 exec_lo, exec_lo, s9
	v_lshlrev_b32_e32 v0, 16, v2
                                        ; implicit-def: $vgpr78
	s_delay_alu instid0(VALU_DEP_1) | instskip(NEXT) | instid1(VALU_DEP_1)
	v_mul_f32_e32 v0, v62, v0
	v_and_b32_e32 v1, 0x7f800000, v0
	s_delay_alu instid0(VALU_DEP_1) | instskip(NEXT) | instid1(VALU_DEP_1)
	v_cmp_ne_u32_e64 s1, 0x7f800000, v1
	s_and_saveexec_b32 s9, s1
	s_delay_alu instid0(SALU_CYCLE_1)
	s_xor_b32 s1, exec_lo, s9
; %bb.796:                              ;   in Loop: Header=BB205_31 Depth=1
	v_bfe_u32 v1, v0, 16, 1
	s_delay_alu instid0(VALU_DEP_1)
	v_add3_u32 v78, v0, v1, 0x7fff
                                        ; implicit-def: $vgpr0
; %bb.797:                              ;   in Loop: Header=BB205_31 Depth=1
	s_and_not1_saveexec_b32 s9, s1
; %bb.798:                              ;   in Loop: Header=BB205_31 Depth=1
	v_and_b32_e32 v1, 0xffff, v0
	v_or_b32_e32 v2, 0x10000, v0
	s_delay_alu instid0(VALU_DEP_2) | instskip(NEXT) | instid1(VALU_DEP_1)
	v_cmp_eq_u32_e64 s1, 0, v1
	v_cndmask_b32_e64 v78, v2, v0, s1
; %bb.799:                              ;   in Loop: Header=BB205_31 Depth=1
	s_or_b32 exec_lo, exec_lo, s9
	v_lshlrev_b32_e32 v0, 16, v5
                                        ; implicit-def: $vgpr79
	s_delay_alu instid0(VALU_DEP_1) | instskip(NEXT) | instid1(VALU_DEP_1)
	v_mul_f32_e32 v0, v63, v0
	v_and_b32_e32 v1, 0x7f800000, v0
	s_delay_alu instid0(VALU_DEP_1) | instskip(NEXT) | instid1(VALU_DEP_1)
	v_cmp_ne_u32_e64 s1, 0x7f800000, v1
	s_and_saveexec_b32 s9, s1
	s_delay_alu instid0(SALU_CYCLE_1)
	s_xor_b32 s1, exec_lo, s9
; %bb.800:                              ;   in Loop: Header=BB205_31 Depth=1
	v_bfe_u32 v1, v0, 16, 1
	s_delay_alu instid0(VALU_DEP_1)
	v_add3_u32 v79, v0, v1, 0x7fff
                                        ; implicit-def: $vgpr0
; %bb.801:                              ;   in Loop: Header=BB205_31 Depth=1
	s_and_not1_saveexec_b32 s9, s1
; %bb.802:                              ;   in Loop: Header=BB205_31 Depth=1
	v_and_b32_e32 v1, 0xffff, v0
	v_or_b32_e32 v2, 0x10000, v0
	s_delay_alu instid0(VALU_DEP_2) | instskip(NEXT) | instid1(VALU_DEP_1)
	v_cmp_eq_u32_e64 s1, 0, v1
	v_cndmask_b32_e64 v79, v2, v0, s1
; %bb.803:                              ;   in Loop: Header=BB205_31 Depth=1
	s_or_b32 exec_lo, exec_lo, s9
	v_lshlrev_b32_e32 v0, 16, v3
                                        ; implicit-def: $vgpr88
	s_delay_alu instid0(VALU_DEP_1) | instskip(NEXT) | instid1(VALU_DEP_1)
	v_mul_f32_e32 v0, v72, v0
	v_and_b32_e32 v1, 0x7f800000, v0
	s_delay_alu instid0(VALU_DEP_1) | instskip(NEXT) | instid1(VALU_DEP_1)
	v_cmp_ne_u32_e64 s1, 0x7f800000, v1
	s_and_saveexec_b32 s9, s1
	s_delay_alu instid0(SALU_CYCLE_1)
	s_xor_b32 s1, exec_lo, s9
; %bb.804:                              ;   in Loop: Header=BB205_31 Depth=1
	v_bfe_u32 v1, v0, 16, 1
	s_delay_alu instid0(VALU_DEP_1)
	v_add3_u32 v88, v0, v1, 0x7fff
                                        ; implicit-def: $vgpr0
; %bb.805:                              ;   in Loop: Header=BB205_31 Depth=1
	s_and_not1_saveexec_b32 s9, s1
; %bb.806:                              ;   in Loop: Header=BB205_31 Depth=1
	v_and_b32_e32 v1, 0xffff, v0
	v_or_b32_e32 v2, 0x10000, v0
	s_delay_alu instid0(VALU_DEP_2) | instskip(NEXT) | instid1(VALU_DEP_1)
	v_cmp_eq_u32_e64 s1, 0, v1
	v_cndmask_b32_e64 v88, v2, v0, s1
; %bb.807:                              ;   in Loop: Header=BB205_31 Depth=1
	s_or_b32 exec_lo, exec_lo, s9
	v_lshlrev_b32_e32 v0, 16, v4
                                        ; implicit-def: $vgpr89
	s_delay_alu instid0(VALU_DEP_1) | instskip(NEXT) | instid1(VALU_DEP_1)
	v_mul_f32_e32 v0, v73, v0
	v_and_b32_e32 v1, 0x7f800000, v0
	s_delay_alu instid0(VALU_DEP_1) | instskip(NEXT) | instid1(VALU_DEP_1)
	v_cmp_ne_u32_e64 s1, 0x7f800000, v1
	s_and_saveexec_b32 s9, s1
	s_delay_alu instid0(SALU_CYCLE_1)
	s_xor_b32 s1, exec_lo, s9
; %bb.808:                              ;   in Loop: Header=BB205_31 Depth=1
	v_bfe_u32 v1, v0, 16, 1
	s_delay_alu instid0(VALU_DEP_1)
	v_add3_u32 v89, v0, v1, 0x7fff
                                        ; implicit-def: $vgpr0
; %bb.809:                              ;   in Loop: Header=BB205_31 Depth=1
	s_and_not1_saveexec_b32 s9, s1
; %bb.810:                              ;   in Loop: Header=BB205_31 Depth=1
	v_and_b32_e32 v1, 0xffff, v0
	v_or_b32_e32 v2, 0x10000, v0
	s_delay_alu instid0(VALU_DEP_2) | instskip(NEXT) | instid1(VALU_DEP_1)
	v_cmp_eq_u32_e64 s1, 0, v1
	v_cndmask_b32_e64 v89, v2, v0, s1
; %bb.811:                              ;   in Loop: Header=BB205_31 Depth=1
	s_or_b32 exec_lo, exec_lo, s9
	scratch_load_b32 v0, off, s32 offset:868 ; 4-byte Folded Reload
	s_waitcnt vmcnt(0)
	v_add_co_u32 v0, s1, v56, v0
	s_delay_alu instid0(VALU_DEP_1)
	v_add_co_ci_u32_e64 v1, s1, 0, v57, s1
	flat_load_b128 v[0:3], v[0:1]
	s_waitcnt vmcnt(0) lgkmcnt(0)
	v_lshrrev_b32_e32 v7, 16, v0
	v_lshrrev_b32_e32 v6, 16, v1
	;; [unrolled: 1-line block ×4, first 2 shown]
	s_and_saveexec_b32 s9, vcc_lo
	s_cbranch_execz .LBB205_813
; %bb.812:                              ;   in Loop: Header=BB205_31 Depth=1
	v_cmp_lt_i32_e64 s1, v176, v113
	s_delay_alu instid0(VALU_DEP_1) | instskip(SKIP_1) | instid1(VALU_DEP_1)
	v_cndmask_b32_e64 v0, 0, v0, s1
	v_cmp_lt_i32_e64 s1, v47, v113
	v_cndmask_b32_e64 v7, 0, v7, s1
	v_cmp_lt_i32_e64 s1, v46, v113
	s_delay_alu instid0(VALU_DEP_1) | instskip(SKIP_1) | instid1(VALU_DEP_1)
	v_cndmask_b32_e64 v1, 0, v1, s1
	v_cmp_lt_i32_e64 s1, v45, v113
	v_cndmask_b32_e64 v6, 0, v6, s1
	;; [unrolled: 5-line block ×4, first 2 shown]
.LBB205_813:                            ;   in Loop: Header=BB205_31 Depth=1
	s_or_b32 exec_lo, exec_lo, s9
	v_lshlrev_b32_e32 v0, 16, v0
                                        ; implicit-def: $vgpr90
	s_delay_alu instid0(VALU_DEP_1) | instskip(NEXT) | instid1(VALU_DEP_1)
	v_mul_f32_e32 v0, v58, v0
	v_and_b32_e32 v12, 0x7f800000, v0
	s_delay_alu instid0(VALU_DEP_1) | instskip(NEXT) | instid1(VALU_DEP_1)
	v_cmp_ne_u32_e64 s1, 0x7f800000, v12
	s_and_saveexec_b32 s9, s1
	s_delay_alu instid0(SALU_CYCLE_1)
	s_xor_b32 s1, exec_lo, s9
; %bb.814:                              ;   in Loop: Header=BB205_31 Depth=1
	v_bfe_u32 v12, v0, 16, 1
	s_delay_alu instid0(VALU_DEP_1)
	v_add3_u32 v90, v0, v12, 0x7fff
                                        ; implicit-def: $vgpr0
; %bb.815:                              ;   in Loop: Header=BB205_31 Depth=1
	s_and_not1_saveexec_b32 s9, s1
; %bb.816:                              ;   in Loop: Header=BB205_31 Depth=1
	v_and_b32_e32 v12, 0xffff, v0
	v_or_b32_e32 v39, 0x10000, v0
	s_delay_alu instid0(VALU_DEP_2) | instskip(NEXT) | instid1(VALU_DEP_1)
	v_cmp_eq_u32_e64 s1, 0, v12
	v_cndmask_b32_e64 v90, v39, v0, s1
; %bb.817:                              ;   in Loop: Header=BB205_31 Depth=1
	s_or_b32 exec_lo, exec_lo, s9
	v_lshlrev_b32_e32 v0, 16, v7
                                        ; implicit-def: $vgpr91
	s_delay_alu instid0(VALU_DEP_1) | instskip(NEXT) | instid1(VALU_DEP_1)
	v_mul_f32_e32 v0, v59, v0
	v_and_b32_e32 v7, 0x7f800000, v0
	s_delay_alu instid0(VALU_DEP_1) | instskip(NEXT) | instid1(VALU_DEP_1)
	v_cmp_ne_u32_e64 s1, 0x7f800000, v7
	s_and_saveexec_b32 s9, s1
	s_delay_alu instid0(SALU_CYCLE_1)
	s_xor_b32 s1, exec_lo, s9
; %bb.818:                              ;   in Loop: Header=BB205_31 Depth=1
	v_bfe_u32 v7, v0, 16, 1
	s_delay_alu instid0(VALU_DEP_1)
	v_add3_u32 v91, v0, v7, 0x7fff
                                        ; implicit-def: $vgpr0
; %bb.819:                              ;   in Loop: Header=BB205_31 Depth=1
	s_and_not1_saveexec_b32 s9, s1
; %bb.820:                              ;   in Loop: Header=BB205_31 Depth=1
	v_and_b32_e32 v7, 0xffff, v0
	v_or_b32_e32 v12, 0x10000, v0
	s_delay_alu instid0(VALU_DEP_2) | instskip(NEXT) | instid1(VALU_DEP_1)
	v_cmp_eq_u32_e64 s1, 0, v7
	v_cndmask_b32_e64 v91, v12, v0, s1
; %bb.821:                              ;   in Loop: Header=BB205_31 Depth=1
	s_or_b32 exec_lo, exec_lo, s9
	v_lshlrev_b32_e32 v0, 16, v1
                                        ; implicit-def: $vgpr92
	s_delay_alu instid0(VALU_DEP_1) | instskip(NEXT) | instid1(VALU_DEP_1)
	v_mul_f32_e32 v0, v60, v0
	v_and_b32_e32 v1, 0x7f800000, v0
	s_delay_alu instid0(VALU_DEP_1) | instskip(NEXT) | instid1(VALU_DEP_1)
	v_cmp_ne_u32_e64 s1, 0x7f800000, v1
	s_and_saveexec_b32 s9, s1
	s_delay_alu instid0(SALU_CYCLE_1)
	s_xor_b32 s1, exec_lo, s9
; %bb.822:                              ;   in Loop: Header=BB205_31 Depth=1
	v_bfe_u32 v1, v0, 16, 1
	s_delay_alu instid0(VALU_DEP_1)
	v_add3_u32 v92, v0, v1, 0x7fff
                                        ; implicit-def: $vgpr0
; %bb.823:                              ;   in Loop: Header=BB205_31 Depth=1
	s_and_not1_saveexec_b32 s9, s1
; %bb.824:                              ;   in Loop: Header=BB205_31 Depth=1
	v_and_b32_e32 v1, 0xffff, v0
	v_or_b32_e32 v7, 0x10000, v0
	s_delay_alu instid0(VALU_DEP_2) | instskip(NEXT) | instid1(VALU_DEP_1)
	v_cmp_eq_u32_e64 s1, 0, v1
	v_cndmask_b32_e64 v92, v7, v0, s1
; %bb.825:                              ;   in Loop: Header=BB205_31 Depth=1
	s_or_b32 exec_lo, exec_lo, s9
	v_lshlrev_b32_e32 v0, 16, v6
                                        ; implicit-def: $vgpr93
	s_delay_alu instid0(VALU_DEP_1) | instskip(NEXT) | instid1(VALU_DEP_1)
	v_mul_f32_e32 v0, v61, v0
	v_and_b32_e32 v1, 0x7f800000, v0
	s_delay_alu instid0(VALU_DEP_1) | instskip(NEXT) | instid1(VALU_DEP_1)
	v_cmp_ne_u32_e64 s1, 0x7f800000, v1
	s_and_saveexec_b32 s9, s1
	s_delay_alu instid0(SALU_CYCLE_1)
	s_xor_b32 s1, exec_lo, s9
; %bb.826:                              ;   in Loop: Header=BB205_31 Depth=1
	v_bfe_u32 v1, v0, 16, 1
	s_delay_alu instid0(VALU_DEP_1)
	v_add3_u32 v93, v0, v1, 0x7fff
                                        ; implicit-def: $vgpr0
; %bb.827:                              ;   in Loop: Header=BB205_31 Depth=1
	s_and_not1_saveexec_b32 s9, s1
; %bb.828:                              ;   in Loop: Header=BB205_31 Depth=1
	v_and_b32_e32 v1, 0xffff, v0
	v_or_b32_e32 v6, 0x10000, v0
	s_delay_alu instid0(VALU_DEP_2) | instskip(NEXT) | instid1(VALU_DEP_1)
	v_cmp_eq_u32_e64 s1, 0, v1
	v_cndmask_b32_e64 v93, v6, v0, s1
; %bb.829:                              ;   in Loop: Header=BB205_31 Depth=1
	s_or_b32 exec_lo, exec_lo, s9
	v_lshlrev_b32_e32 v0, 16, v2
                                        ; implicit-def: $vgpr94
	s_delay_alu instid0(VALU_DEP_1) | instskip(NEXT) | instid1(VALU_DEP_1)
	v_mul_f32_e32 v0, v62, v0
	v_and_b32_e32 v1, 0x7f800000, v0
	s_delay_alu instid0(VALU_DEP_1) | instskip(NEXT) | instid1(VALU_DEP_1)
	v_cmp_ne_u32_e64 s1, 0x7f800000, v1
	s_and_saveexec_b32 s9, s1
	s_delay_alu instid0(SALU_CYCLE_1)
	s_xor_b32 s1, exec_lo, s9
; %bb.830:                              ;   in Loop: Header=BB205_31 Depth=1
	v_bfe_u32 v1, v0, 16, 1
	s_delay_alu instid0(VALU_DEP_1)
	v_add3_u32 v94, v0, v1, 0x7fff
                                        ; implicit-def: $vgpr0
; %bb.831:                              ;   in Loop: Header=BB205_31 Depth=1
	s_and_not1_saveexec_b32 s9, s1
; %bb.832:                              ;   in Loop: Header=BB205_31 Depth=1
	v_and_b32_e32 v1, 0xffff, v0
	v_or_b32_e32 v2, 0x10000, v0
	s_delay_alu instid0(VALU_DEP_2) | instskip(NEXT) | instid1(VALU_DEP_1)
	v_cmp_eq_u32_e64 s1, 0, v1
	v_cndmask_b32_e64 v94, v2, v0, s1
; %bb.833:                              ;   in Loop: Header=BB205_31 Depth=1
	s_or_b32 exec_lo, exec_lo, s9
	v_lshlrev_b32_e32 v0, 16, v5
                                        ; implicit-def: $vgpr95
	s_delay_alu instid0(VALU_DEP_1) | instskip(NEXT) | instid1(VALU_DEP_1)
	v_mul_f32_e32 v0, v63, v0
	v_and_b32_e32 v1, 0x7f800000, v0
	s_delay_alu instid0(VALU_DEP_1) | instskip(NEXT) | instid1(VALU_DEP_1)
	v_cmp_ne_u32_e64 s1, 0x7f800000, v1
	s_and_saveexec_b32 s9, s1
	s_delay_alu instid0(SALU_CYCLE_1)
	s_xor_b32 s1, exec_lo, s9
; %bb.834:                              ;   in Loop: Header=BB205_31 Depth=1
	v_bfe_u32 v1, v0, 16, 1
	s_delay_alu instid0(VALU_DEP_1)
	v_add3_u32 v95, v0, v1, 0x7fff
                                        ; implicit-def: $vgpr0
; %bb.835:                              ;   in Loop: Header=BB205_31 Depth=1
	s_and_not1_saveexec_b32 s9, s1
; %bb.836:                              ;   in Loop: Header=BB205_31 Depth=1
	v_and_b32_e32 v1, 0xffff, v0
	v_or_b32_e32 v2, 0x10000, v0
	s_delay_alu instid0(VALU_DEP_2) | instskip(NEXT) | instid1(VALU_DEP_1)
	v_cmp_eq_u32_e64 s1, 0, v1
	v_cndmask_b32_e64 v95, v2, v0, s1
; %bb.837:                              ;   in Loop: Header=BB205_31 Depth=1
	s_or_b32 exec_lo, exec_lo, s9
	v_lshlrev_b32_e32 v0, 16, v3
                                        ; implicit-def: $vgpr104
	s_delay_alu instid0(VALU_DEP_1) | instskip(NEXT) | instid1(VALU_DEP_1)
	v_mul_f32_e32 v0, v72, v0
	v_and_b32_e32 v1, 0x7f800000, v0
	s_delay_alu instid0(VALU_DEP_1) | instskip(NEXT) | instid1(VALU_DEP_1)
	v_cmp_ne_u32_e64 s1, 0x7f800000, v1
	s_and_saveexec_b32 s9, s1
	s_delay_alu instid0(SALU_CYCLE_1)
	s_xor_b32 s1, exec_lo, s9
; %bb.838:                              ;   in Loop: Header=BB205_31 Depth=1
	v_bfe_u32 v1, v0, 16, 1
	s_delay_alu instid0(VALU_DEP_1)
	v_add3_u32 v104, v0, v1, 0x7fff
                                        ; implicit-def: $vgpr0
; %bb.839:                              ;   in Loop: Header=BB205_31 Depth=1
	s_and_not1_saveexec_b32 s9, s1
; %bb.840:                              ;   in Loop: Header=BB205_31 Depth=1
	v_and_b32_e32 v1, 0xffff, v0
	v_or_b32_e32 v2, 0x10000, v0
	s_delay_alu instid0(VALU_DEP_2) | instskip(NEXT) | instid1(VALU_DEP_1)
	v_cmp_eq_u32_e64 s1, 0, v1
	v_cndmask_b32_e64 v104, v2, v0, s1
; %bb.841:                              ;   in Loop: Header=BB205_31 Depth=1
	s_or_b32 exec_lo, exec_lo, s9
	v_lshlrev_b32_e32 v0, 16, v4
                                        ; implicit-def: $vgpr105
	s_delay_alu instid0(VALU_DEP_1) | instskip(NEXT) | instid1(VALU_DEP_1)
	v_mul_f32_e32 v0, v73, v0
	v_and_b32_e32 v1, 0x7f800000, v0
	s_delay_alu instid0(VALU_DEP_1) | instskip(NEXT) | instid1(VALU_DEP_1)
	v_cmp_ne_u32_e64 s1, 0x7f800000, v1
	s_and_saveexec_b32 s9, s1
	s_delay_alu instid0(SALU_CYCLE_1)
	s_xor_b32 s1, exec_lo, s9
; %bb.842:                              ;   in Loop: Header=BB205_31 Depth=1
	v_bfe_u32 v1, v0, 16, 1
	s_delay_alu instid0(VALU_DEP_1)
	v_add3_u32 v105, v0, v1, 0x7fff
                                        ; implicit-def: $vgpr0
; %bb.843:                              ;   in Loop: Header=BB205_31 Depth=1
	s_and_not1_saveexec_b32 s9, s1
; %bb.844:                              ;   in Loop: Header=BB205_31 Depth=1
	v_and_b32_e32 v1, 0xffff, v0
	v_or_b32_e32 v2, 0x10000, v0
	s_delay_alu instid0(VALU_DEP_2) | instskip(NEXT) | instid1(VALU_DEP_1)
	v_cmp_eq_u32_e64 s1, 0, v1
	v_cndmask_b32_e64 v105, v2, v0, s1
; %bb.845:                              ;   in Loop: Header=BB205_31 Depth=1
	s_or_b32 exec_lo, exec_lo, s9
	scratch_load_b32 v0, off, s32 offset:872 ; 4-byte Folded Reload
	s_waitcnt vmcnt(0)
	v_add_co_u32 v0, s1, v56, v0
	s_delay_alu instid0(VALU_DEP_1)
	v_add_co_ci_u32_e64 v1, s1, 0, v57, s1
	flat_load_b128 v[0:3], v[0:1]
	s_waitcnt vmcnt(0) lgkmcnt(0)
	v_lshrrev_b32_e32 v7, 16, v0
	v_lshrrev_b32_e32 v6, 16, v1
	;; [unrolled: 1-line block ×4, first 2 shown]
	s_and_saveexec_b32 s9, vcc_lo
	s_cbranch_execz .LBB205_847
; %bb.846:                              ;   in Loop: Header=BB205_31 Depth=1
	v_cmp_lt_i32_e64 s1, v176, v113
	s_delay_alu instid0(VALU_DEP_1) | instskip(SKIP_1) | instid1(VALU_DEP_1)
	v_cndmask_b32_e64 v0, 0, v0, s1
	v_cmp_lt_i32_e64 s1, v47, v113
	v_cndmask_b32_e64 v7, 0, v7, s1
	v_cmp_lt_i32_e64 s1, v46, v113
	s_delay_alu instid0(VALU_DEP_1) | instskip(SKIP_1) | instid1(VALU_DEP_1)
	v_cndmask_b32_e64 v1, 0, v1, s1
	v_cmp_lt_i32_e64 s1, v45, v113
	v_cndmask_b32_e64 v6, 0, v6, s1
	;; [unrolled: 5-line block ×4, first 2 shown]
.LBB205_847:                            ;   in Loop: Header=BB205_31 Depth=1
	s_or_b32 exec_lo, exec_lo, s9
	v_lshlrev_b32_e32 v0, 16, v0
                                        ; implicit-def: $vgpr106
	s_delay_alu instid0(VALU_DEP_1) | instskip(NEXT) | instid1(VALU_DEP_1)
	v_mul_f32_e32 v0, v58, v0
	v_and_b32_e32 v12, 0x7f800000, v0
	s_delay_alu instid0(VALU_DEP_1) | instskip(NEXT) | instid1(VALU_DEP_1)
	v_cmp_ne_u32_e64 s1, 0x7f800000, v12
	s_and_saveexec_b32 s9, s1
	s_delay_alu instid0(SALU_CYCLE_1)
	s_xor_b32 s1, exec_lo, s9
; %bb.848:                              ;   in Loop: Header=BB205_31 Depth=1
	v_bfe_u32 v12, v0, 16, 1
	s_delay_alu instid0(VALU_DEP_1)
	v_add3_u32 v106, v0, v12, 0x7fff
                                        ; implicit-def: $vgpr0
; %bb.849:                              ;   in Loop: Header=BB205_31 Depth=1
	s_and_not1_saveexec_b32 s9, s1
; %bb.850:                              ;   in Loop: Header=BB205_31 Depth=1
	v_and_b32_e32 v12, 0xffff, v0
	v_or_b32_e32 v39, 0x10000, v0
	s_delay_alu instid0(VALU_DEP_2) | instskip(NEXT) | instid1(VALU_DEP_1)
	v_cmp_eq_u32_e64 s1, 0, v12
	v_cndmask_b32_e64 v106, v39, v0, s1
; %bb.851:                              ;   in Loop: Header=BB205_31 Depth=1
	s_or_b32 exec_lo, exec_lo, s9
	v_lshlrev_b32_e32 v0, 16, v7
                                        ; implicit-def: $vgpr107
	s_delay_alu instid0(VALU_DEP_1) | instskip(NEXT) | instid1(VALU_DEP_1)
	v_mul_f32_e32 v0, v59, v0
	v_and_b32_e32 v7, 0x7f800000, v0
	s_delay_alu instid0(VALU_DEP_1) | instskip(NEXT) | instid1(VALU_DEP_1)
	v_cmp_ne_u32_e64 s1, 0x7f800000, v7
	s_and_saveexec_b32 s9, s1
	s_delay_alu instid0(SALU_CYCLE_1)
	s_xor_b32 s1, exec_lo, s9
; %bb.852:                              ;   in Loop: Header=BB205_31 Depth=1
	v_bfe_u32 v7, v0, 16, 1
	s_delay_alu instid0(VALU_DEP_1)
	v_add3_u32 v107, v0, v7, 0x7fff
                                        ; implicit-def: $vgpr0
; %bb.853:                              ;   in Loop: Header=BB205_31 Depth=1
	s_and_not1_saveexec_b32 s9, s1
; %bb.854:                              ;   in Loop: Header=BB205_31 Depth=1
	v_and_b32_e32 v7, 0xffff, v0
	v_or_b32_e32 v12, 0x10000, v0
	s_delay_alu instid0(VALU_DEP_2) | instskip(NEXT) | instid1(VALU_DEP_1)
	v_cmp_eq_u32_e64 s1, 0, v7
	v_cndmask_b32_e64 v107, v12, v0, s1
; %bb.855:                              ;   in Loop: Header=BB205_31 Depth=1
	s_or_b32 exec_lo, exec_lo, s9
	v_lshlrev_b32_e32 v0, 16, v1
                                        ; implicit-def: $vgpr108
	s_delay_alu instid0(VALU_DEP_1) | instskip(NEXT) | instid1(VALU_DEP_1)
	v_mul_f32_e32 v0, v60, v0
	v_and_b32_e32 v1, 0x7f800000, v0
	s_delay_alu instid0(VALU_DEP_1) | instskip(NEXT) | instid1(VALU_DEP_1)
	v_cmp_ne_u32_e64 s1, 0x7f800000, v1
	s_and_saveexec_b32 s9, s1
	s_delay_alu instid0(SALU_CYCLE_1)
	s_xor_b32 s1, exec_lo, s9
; %bb.856:                              ;   in Loop: Header=BB205_31 Depth=1
	v_bfe_u32 v1, v0, 16, 1
	s_delay_alu instid0(VALU_DEP_1)
	v_add3_u32 v108, v0, v1, 0x7fff
                                        ; implicit-def: $vgpr0
; %bb.857:                              ;   in Loop: Header=BB205_31 Depth=1
	s_and_not1_saveexec_b32 s9, s1
; %bb.858:                              ;   in Loop: Header=BB205_31 Depth=1
	v_and_b32_e32 v1, 0xffff, v0
	v_or_b32_e32 v7, 0x10000, v0
	s_delay_alu instid0(VALU_DEP_2) | instskip(NEXT) | instid1(VALU_DEP_1)
	v_cmp_eq_u32_e64 s1, 0, v1
	v_cndmask_b32_e64 v108, v7, v0, s1
; %bb.859:                              ;   in Loop: Header=BB205_31 Depth=1
	s_or_b32 exec_lo, exec_lo, s9
	v_lshlrev_b32_e32 v0, 16, v6
                                        ; implicit-def: $vgpr109
	s_delay_alu instid0(VALU_DEP_1) | instskip(NEXT) | instid1(VALU_DEP_1)
	v_mul_f32_e32 v0, v61, v0
	v_and_b32_e32 v1, 0x7f800000, v0
	s_delay_alu instid0(VALU_DEP_1) | instskip(NEXT) | instid1(VALU_DEP_1)
	v_cmp_ne_u32_e64 s1, 0x7f800000, v1
	s_and_saveexec_b32 s9, s1
	s_delay_alu instid0(SALU_CYCLE_1)
	s_xor_b32 s1, exec_lo, s9
; %bb.860:                              ;   in Loop: Header=BB205_31 Depth=1
	v_bfe_u32 v1, v0, 16, 1
	s_delay_alu instid0(VALU_DEP_1)
	v_add3_u32 v109, v0, v1, 0x7fff
                                        ; implicit-def: $vgpr0
; %bb.861:                              ;   in Loop: Header=BB205_31 Depth=1
	s_and_not1_saveexec_b32 s9, s1
; %bb.862:                              ;   in Loop: Header=BB205_31 Depth=1
	v_and_b32_e32 v1, 0xffff, v0
	v_or_b32_e32 v6, 0x10000, v0
	s_delay_alu instid0(VALU_DEP_2) | instskip(NEXT) | instid1(VALU_DEP_1)
	v_cmp_eq_u32_e64 s1, 0, v1
	v_cndmask_b32_e64 v109, v6, v0, s1
; %bb.863:                              ;   in Loop: Header=BB205_31 Depth=1
	s_or_b32 exec_lo, exec_lo, s9
	v_lshlrev_b32_e32 v0, 16, v2
                                        ; implicit-def: $vgpr110
	s_delay_alu instid0(VALU_DEP_1) | instskip(NEXT) | instid1(VALU_DEP_1)
	v_mul_f32_e32 v0, v62, v0
	v_and_b32_e32 v1, 0x7f800000, v0
	s_delay_alu instid0(VALU_DEP_1) | instskip(NEXT) | instid1(VALU_DEP_1)
	v_cmp_ne_u32_e64 s1, 0x7f800000, v1
	s_and_saveexec_b32 s9, s1
	s_delay_alu instid0(SALU_CYCLE_1)
	s_xor_b32 s1, exec_lo, s9
; %bb.864:                              ;   in Loop: Header=BB205_31 Depth=1
	v_bfe_u32 v1, v0, 16, 1
	s_delay_alu instid0(VALU_DEP_1)
	v_add3_u32 v110, v0, v1, 0x7fff
                                        ; implicit-def: $vgpr0
; %bb.865:                              ;   in Loop: Header=BB205_31 Depth=1
	s_and_not1_saveexec_b32 s9, s1
; %bb.866:                              ;   in Loop: Header=BB205_31 Depth=1
	v_and_b32_e32 v1, 0xffff, v0
	v_or_b32_e32 v2, 0x10000, v0
	s_delay_alu instid0(VALU_DEP_2) | instskip(NEXT) | instid1(VALU_DEP_1)
	v_cmp_eq_u32_e64 s1, 0, v1
	v_cndmask_b32_e64 v110, v2, v0, s1
; %bb.867:                              ;   in Loop: Header=BB205_31 Depth=1
	s_or_b32 exec_lo, exec_lo, s9
	v_lshlrev_b32_e32 v0, 16, v5
                                        ; implicit-def: $vgpr111
	s_delay_alu instid0(VALU_DEP_1) | instskip(NEXT) | instid1(VALU_DEP_1)
	v_mul_f32_e32 v0, v63, v0
	v_and_b32_e32 v1, 0x7f800000, v0
	s_delay_alu instid0(VALU_DEP_1) | instskip(NEXT) | instid1(VALU_DEP_1)
	v_cmp_ne_u32_e64 s1, 0x7f800000, v1
	s_and_saveexec_b32 s9, s1
	s_delay_alu instid0(SALU_CYCLE_1)
	s_xor_b32 s1, exec_lo, s9
; %bb.868:                              ;   in Loop: Header=BB205_31 Depth=1
	v_bfe_u32 v1, v0, 16, 1
	s_delay_alu instid0(VALU_DEP_1)
	v_add3_u32 v111, v0, v1, 0x7fff
                                        ; implicit-def: $vgpr0
; %bb.869:                              ;   in Loop: Header=BB205_31 Depth=1
	s_and_not1_saveexec_b32 s9, s1
; %bb.870:                              ;   in Loop: Header=BB205_31 Depth=1
	v_and_b32_e32 v1, 0xffff, v0
	v_or_b32_e32 v2, 0x10000, v0
	s_delay_alu instid0(VALU_DEP_2) | instskip(NEXT) | instid1(VALU_DEP_1)
	v_cmp_eq_u32_e64 s1, 0, v1
	v_cndmask_b32_e64 v111, v2, v0, s1
; %bb.871:                              ;   in Loop: Header=BB205_31 Depth=1
	s_or_b32 exec_lo, exec_lo, s9
	v_lshlrev_b32_e32 v0, 16, v3
                                        ; implicit-def: $vgpr120
	s_delay_alu instid0(VALU_DEP_1) | instskip(NEXT) | instid1(VALU_DEP_1)
	v_mul_f32_e32 v0, v72, v0
	v_and_b32_e32 v1, 0x7f800000, v0
	s_delay_alu instid0(VALU_DEP_1) | instskip(NEXT) | instid1(VALU_DEP_1)
	v_cmp_ne_u32_e64 s1, 0x7f800000, v1
	s_and_saveexec_b32 s9, s1
	s_delay_alu instid0(SALU_CYCLE_1)
	s_xor_b32 s1, exec_lo, s9
; %bb.872:                              ;   in Loop: Header=BB205_31 Depth=1
	v_bfe_u32 v1, v0, 16, 1
	s_delay_alu instid0(VALU_DEP_1)
	v_add3_u32 v120, v0, v1, 0x7fff
                                        ; implicit-def: $vgpr0
; %bb.873:                              ;   in Loop: Header=BB205_31 Depth=1
	s_and_not1_saveexec_b32 s9, s1
; %bb.874:                              ;   in Loop: Header=BB205_31 Depth=1
	v_and_b32_e32 v1, 0xffff, v0
	v_or_b32_e32 v2, 0x10000, v0
	s_delay_alu instid0(VALU_DEP_2) | instskip(NEXT) | instid1(VALU_DEP_1)
	v_cmp_eq_u32_e64 s1, 0, v1
	v_cndmask_b32_e64 v120, v2, v0, s1
; %bb.875:                              ;   in Loop: Header=BB205_31 Depth=1
	s_or_b32 exec_lo, exec_lo, s9
	v_lshlrev_b32_e32 v0, 16, v4
                                        ; implicit-def: $vgpr121
	s_delay_alu instid0(VALU_DEP_1) | instskip(NEXT) | instid1(VALU_DEP_1)
	v_mul_f32_e32 v0, v73, v0
	v_and_b32_e32 v1, 0x7f800000, v0
	s_delay_alu instid0(VALU_DEP_1) | instskip(NEXT) | instid1(VALU_DEP_1)
	v_cmp_ne_u32_e64 s1, 0x7f800000, v1
	s_and_saveexec_b32 s9, s1
	s_delay_alu instid0(SALU_CYCLE_1)
	s_xor_b32 s1, exec_lo, s9
; %bb.876:                              ;   in Loop: Header=BB205_31 Depth=1
	v_bfe_u32 v1, v0, 16, 1
	s_delay_alu instid0(VALU_DEP_1)
	v_add3_u32 v121, v0, v1, 0x7fff
                                        ; implicit-def: $vgpr0
; %bb.877:                              ;   in Loop: Header=BB205_31 Depth=1
	s_and_not1_saveexec_b32 s9, s1
; %bb.878:                              ;   in Loop: Header=BB205_31 Depth=1
	v_and_b32_e32 v1, 0xffff, v0
	v_or_b32_e32 v2, 0x10000, v0
	s_delay_alu instid0(VALU_DEP_2) | instskip(NEXT) | instid1(VALU_DEP_1)
	v_cmp_eq_u32_e64 s1, 0, v1
	v_cndmask_b32_e64 v121, v2, v0, s1
; %bb.879:                              ;   in Loop: Header=BB205_31 Depth=1
	s_or_b32 exec_lo, exec_lo, s9
	scratch_load_b32 v0, off, s32 offset:876 ; 4-byte Folded Reload
	s_waitcnt vmcnt(0)
	v_add_co_u32 v0, s1, v56, v0
	s_delay_alu instid0(VALU_DEP_1)
	v_add_co_ci_u32_e64 v1, s1, 0, v57, s1
	flat_load_b128 v[0:3], v[0:1]
	s_waitcnt vmcnt(0) lgkmcnt(0)
	v_lshrrev_b32_e32 v7, 16, v0
	v_lshrrev_b32_e32 v12, 16, v1
	;; [unrolled: 1-line block ×4, first 2 shown]
	s_and_saveexec_b32 s9, vcc_lo
	s_cbranch_execz .LBB205_881
; %bb.880:                              ;   in Loop: Header=BB205_31 Depth=1
	v_cmp_lt_i32_e64 s1, v176, v113
	s_delay_alu instid0(VALU_DEP_1) | instskip(SKIP_1) | instid1(VALU_DEP_1)
	v_cndmask_b32_e64 v0, 0, v0, s1
	v_cmp_lt_i32_e64 s1, v47, v113
	v_cndmask_b32_e64 v7, 0, v7, s1
	v_cmp_lt_i32_e64 s1, v46, v113
	s_delay_alu instid0(VALU_DEP_1) | instskip(SKIP_1) | instid1(VALU_DEP_1)
	v_cndmask_b32_e64 v1, 0, v1, s1
	v_cmp_lt_i32_e64 s1, v45, v113
	v_cndmask_b32_e64 v12, 0, v12, s1
	;; [unrolled: 5-line block ×4, first 2 shown]
.LBB205_881:                            ;   in Loop: Header=BB205_31 Depth=1
	s_or_b32 exec_lo, exec_lo, s9
	v_lshlrev_b32_e32 v0, 16, v0
	s_delay_alu instid0(VALU_DEP_1) | instskip(NEXT) | instid1(VALU_DEP_1)
	v_mul_f32_e32 v0, v58, v0
	v_and_b32_e32 v6, 0x7f800000, v0
	s_delay_alu instid0(VALU_DEP_1) | instskip(NEXT) | instid1(VALU_DEP_1)
	v_cmp_ne_u32_e64 s1, 0x7f800000, v6
                                        ; implicit-def: $vgpr6
	s_and_saveexec_b32 s9, s1
	s_delay_alu instid0(SALU_CYCLE_1)
	s_xor_b32 s1, exec_lo, s9
; %bb.882:                              ;   in Loop: Header=BB205_31 Depth=1
	v_bfe_u32 v6, v0, 16, 1
	s_delay_alu instid0(VALU_DEP_1)
	v_add3_u32 v6, v0, v6, 0x7fff
                                        ; implicit-def: $vgpr0
; %bb.883:                              ;   in Loop: Header=BB205_31 Depth=1
	s_and_not1_saveexec_b32 s9, s1
; %bb.884:                              ;   in Loop: Header=BB205_31 Depth=1
	v_and_b32_e32 v6, 0xffff, v0
	v_or_b32_e32 v39, 0x10000, v0
	s_delay_alu instid0(VALU_DEP_2) | instskip(NEXT) | instid1(VALU_DEP_1)
	v_cmp_eq_u32_e64 s1, 0, v6
	v_cndmask_b32_e64 v6, v39, v0, s1
; %bb.885:                              ;   in Loop: Header=BB205_31 Depth=1
	s_or_b32 exec_lo, exec_lo, s9
	v_lshlrev_b32_e32 v0, 16, v7
	s_delay_alu instid0(VALU_DEP_1) | instskip(NEXT) | instid1(VALU_DEP_1)
	v_mul_f32_e32 v0, v59, v0
	v_and_b32_e32 v7, 0x7f800000, v0
	s_delay_alu instid0(VALU_DEP_1) | instskip(NEXT) | instid1(VALU_DEP_1)
	v_cmp_ne_u32_e64 s1, 0x7f800000, v7
                                        ; implicit-def: $vgpr7
	s_and_saveexec_b32 s9, s1
	s_delay_alu instid0(SALU_CYCLE_1)
	s_xor_b32 s1, exec_lo, s9
; %bb.886:                              ;   in Loop: Header=BB205_31 Depth=1
	v_bfe_u32 v7, v0, 16, 1
	s_delay_alu instid0(VALU_DEP_1)
	v_add3_u32 v7, v0, v7, 0x7fff
                                        ; implicit-def: $vgpr0
; %bb.887:                              ;   in Loop: Header=BB205_31 Depth=1
	s_and_not1_saveexec_b32 s9, s1
; %bb.888:                              ;   in Loop: Header=BB205_31 Depth=1
	v_and_b32_e32 v7, 0xffff, v0
	v_or_b32_e32 v39, 0x10000, v0
	s_delay_alu instid0(VALU_DEP_2) | instskip(NEXT) | instid1(VALU_DEP_1)
	v_cmp_eq_u32_e64 s1, 0, v7
	v_cndmask_b32_e64 v7, v39, v0, s1
; %bb.889:                              ;   in Loop: Header=BB205_31 Depth=1
	s_or_b32 exec_lo, exec_lo, s9
	v_lshlrev_b32_e32 v0, 16, v1
                                        ; implicit-def: $vgpr122
	s_delay_alu instid0(VALU_DEP_1) | instskip(NEXT) | instid1(VALU_DEP_1)
	v_mul_f32_e32 v0, v60, v0
	v_and_b32_e32 v1, 0x7f800000, v0
	s_delay_alu instid0(VALU_DEP_1) | instskip(NEXT) | instid1(VALU_DEP_1)
	v_cmp_ne_u32_e64 s1, 0x7f800000, v1
	s_and_saveexec_b32 s9, s1
	s_delay_alu instid0(SALU_CYCLE_1)
	s_xor_b32 s1, exec_lo, s9
; %bb.890:                              ;   in Loop: Header=BB205_31 Depth=1
	v_bfe_u32 v1, v0, 16, 1
	s_delay_alu instid0(VALU_DEP_1)
	v_add3_u32 v122, v0, v1, 0x7fff
                                        ; implicit-def: $vgpr0
; %bb.891:                              ;   in Loop: Header=BB205_31 Depth=1
	s_and_not1_saveexec_b32 s9, s1
; %bb.892:                              ;   in Loop: Header=BB205_31 Depth=1
	v_and_b32_e32 v1, 0xffff, v0
	v_or_b32_e32 v39, 0x10000, v0
	s_delay_alu instid0(VALU_DEP_2) | instskip(NEXT) | instid1(VALU_DEP_1)
	v_cmp_eq_u32_e64 s1, 0, v1
	v_cndmask_b32_e64 v122, v39, v0, s1
; %bb.893:                              ;   in Loop: Header=BB205_31 Depth=1
	s_or_b32 exec_lo, exec_lo, s9
	v_lshlrev_b32_e32 v0, 16, v12
                                        ; implicit-def: $vgpr123
	s_delay_alu instid0(VALU_DEP_1) | instskip(NEXT) | instid1(VALU_DEP_1)
	v_mul_f32_e32 v0, v61, v0
	v_and_b32_e32 v1, 0x7f800000, v0
	s_delay_alu instid0(VALU_DEP_1) | instskip(NEXT) | instid1(VALU_DEP_1)
	v_cmp_ne_u32_e64 s1, 0x7f800000, v1
	s_and_saveexec_b32 s9, s1
	s_delay_alu instid0(SALU_CYCLE_1)
	s_xor_b32 s1, exec_lo, s9
; %bb.894:                              ;   in Loop: Header=BB205_31 Depth=1
	v_bfe_u32 v1, v0, 16, 1
	s_delay_alu instid0(VALU_DEP_1)
	v_add3_u32 v123, v0, v1, 0x7fff
                                        ; implicit-def: $vgpr0
; %bb.895:                              ;   in Loop: Header=BB205_31 Depth=1
	s_and_not1_saveexec_b32 s9, s1
; %bb.896:                              ;   in Loop: Header=BB205_31 Depth=1
	v_and_b32_e32 v1, 0xffff, v0
	v_or_b32_e32 v12, 0x10000, v0
	s_delay_alu instid0(VALU_DEP_2) | instskip(NEXT) | instid1(VALU_DEP_1)
	v_cmp_eq_u32_e64 s1, 0, v1
	v_cndmask_b32_e64 v123, v12, v0, s1
; %bb.897:                              ;   in Loop: Header=BB205_31 Depth=1
	s_or_b32 exec_lo, exec_lo, s9
	v_lshlrev_b32_e32 v0, 16, v2
                                        ; implicit-def: $vgpr124
	s_delay_alu instid0(VALU_DEP_1) | instskip(NEXT) | instid1(VALU_DEP_1)
	v_mul_f32_e32 v0, v62, v0
	v_and_b32_e32 v1, 0x7f800000, v0
	s_delay_alu instid0(VALU_DEP_1) | instskip(NEXT) | instid1(VALU_DEP_1)
	v_cmp_ne_u32_e64 s1, 0x7f800000, v1
	s_and_saveexec_b32 s9, s1
	s_delay_alu instid0(SALU_CYCLE_1)
	s_xor_b32 s1, exec_lo, s9
; %bb.898:                              ;   in Loop: Header=BB205_31 Depth=1
	v_bfe_u32 v1, v0, 16, 1
	s_delay_alu instid0(VALU_DEP_1)
	v_add3_u32 v124, v0, v1, 0x7fff
                                        ; implicit-def: $vgpr0
; %bb.899:                              ;   in Loop: Header=BB205_31 Depth=1
	s_and_not1_saveexec_b32 s9, s1
; %bb.900:                              ;   in Loop: Header=BB205_31 Depth=1
	v_and_b32_e32 v1, 0xffff, v0
	v_or_b32_e32 v2, 0x10000, v0
	s_delay_alu instid0(VALU_DEP_2) | instskip(NEXT) | instid1(VALU_DEP_1)
	v_cmp_eq_u32_e64 s1, 0, v1
	v_cndmask_b32_e64 v124, v2, v0, s1
; %bb.901:                              ;   in Loop: Header=BB205_31 Depth=1
	s_or_b32 exec_lo, exec_lo, s9
	v_lshlrev_b32_e32 v0, 16, v5
                                        ; implicit-def: $vgpr125
	s_delay_alu instid0(VALU_DEP_1) | instskip(NEXT) | instid1(VALU_DEP_1)
	v_mul_f32_e32 v0, v63, v0
	v_and_b32_e32 v1, 0x7f800000, v0
	s_delay_alu instid0(VALU_DEP_1) | instskip(NEXT) | instid1(VALU_DEP_1)
	v_cmp_ne_u32_e64 s1, 0x7f800000, v1
	s_and_saveexec_b32 s9, s1
	s_delay_alu instid0(SALU_CYCLE_1)
	s_xor_b32 s1, exec_lo, s9
; %bb.902:                              ;   in Loop: Header=BB205_31 Depth=1
	v_bfe_u32 v1, v0, 16, 1
	s_delay_alu instid0(VALU_DEP_1)
	v_add3_u32 v125, v0, v1, 0x7fff
                                        ; implicit-def: $vgpr0
; %bb.903:                              ;   in Loop: Header=BB205_31 Depth=1
	s_and_not1_saveexec_b32 s9, s1
; %bb.904:                              ;   in Loop: Header=BB205_31 Depth=1
	v_and_b32_e32 v1, 0xffff, v0
	v_or_b32_e32 v2, 0x10000, v0
	s_delay_alu instid0(VALU_DEP_2) | instskip(NEXT) | instid1(VALU_DEP_1)
	v_cmp_eq_u32_e64 s1, 0, v1
	v_cndmask_b32_e64 v125, v2, v0, s1
; %bb.905:                              ;   in Loop: Header=BB205_31 Depth=1
	s_or_b32 exec_lo, exec_lo, s9
	v_lshlrev_b32_e32 v0, 16, v3
                                        ; implicit-def: $vgpr126
	s_delay_alu instid0(VALU_DEP_1) | instskip(NEXT) | instid1(VALU_DEP_1)
	v_mul_f32_e32 v0, v72, v0
	v_and_b32_e32 v1, 0x7f800000, v0
	s_delay_alu instid0(VALU_DEP_1) | instskip(NEXT) | instid1(VALU_DEP_1)
	v_cmp_ne_u32_e64 s1, 0x7f800000, v1
	s_and_saveexec_b32 s9, s1
	s_delay_alu instid0(SALU_CYCLE_1)
	s_xor_b32 s1, exec_lo, s9
; %bb.906:                              ;   in Loop: Header=BB205_31 Depth=1
	v_bfe_u32 v1, v0, 16, 1
	s_delay_alu instid0(VALU_DEP_1)
	v_add3_u32 v126, v0, v1, 0x7fff
                                        ; implicit-def: $vgpr0
; %bb.907:                              ;   in Loop: Header=BB205_31 Depth=1
	s_and_not1_saveexec_b32 s9, s1
; %bb.908:                              ;   in Loop: Header=BB205_31 Depth=1
	v_and_b32_e32 v1, 0xffff, v0
	v_or_b32_e32 v2, 0x10000, v0
	s_delay_alu instid0(VALU_DEP_2) | instskip(NEXT) | instid1(VALU_DEP_1)
	v_cmp_eq_u32_e64 s1, 0, v1
	v_cndmask_b32_e64 v126, v2, v0, s1
; %bb.909:                              ;   in Loop: Header=BB205_31 Depth=1
	s_or_b32 exec_lo, exec_lo, s9
	v_lshlrev_b32_e32 v0, 16, v4
                                        ; implicit-def: $vgpr127
	s_delay_alu instid0(VALU_DEP_1) | instskip(NEXT) | instid1(VALU_DEP_1)
	v_mul_f32_e32 v0, v73, v0
	v_and_b32_e32 v1, 0x7f800000, v0
	s_delay_alu instid0(VALU_DEP_1) | instskip(NEXT) | instid1(VALU_DEP_1)
	v_cmp_ne_u32_e64 s1, 0x7f800000, v1
	s_and_saveexec_b32 s9, s1
	s_delay_alu instid0(SALU_CYCLE_1)
	s_xor_b32 s1, exec_lo, s9
; %bb.910:                              ;   in Loop: Header=BB205_31 Depth=1
	v_bfe_u32 v1, v0, 16, 1
	s_delay_alu instid0(VALU_DEP_1)
	v_add3_u32 v127, v0, v1, 0x7fff
                                        ; implicit-def: $vgpr0
; %bb.911:                              ;   in Loop: Header=BB205_31 Depth=1
	s_and_not1_saveexec_b32 s9, s1
; %bb.912:                              ;   in Loop: Header=BB205_31 Depth=1
	v_and_b32_e32 v1, 0xffff, v0
	v_or_b32_e32 v2, 0x10000, v0
	s_delay_alu instid0(VALU_DEP_2) | instskip(NEXT) | instid1(VALU_DEP_1)
	v_cmp_eq_u32_e64 s1, 0, v1
	v_cndmask_b32_e64 v127, v2, v0, s1
; %bb.913:                              ;   in Loop: Header=BB205_31 Depth=1
	s_or_b32 exec_lo, exec_lo, s9
	scratch_load_b32 v0, off, s32 offset:880 ; 4-byte Folded Reload
	s_waitcnt vmcnt(0)
	v_add_co_u32 v0, s1, v56, v0
	s_delay_alu instid0(VALU_DEP_1)
	v_add_co_ci_u32_e64 v1, s1, 0, v57, s1
	flat_load_b128 v[0:3], v[0:1]
	s_waitcnt vmcnt(0) lgkmcnt(0)
	v_lshrrev_b32_e32 v39, 16, v0
	v_lshrrev_b32_e32 v12, 16, v1
	v_lshrrev_b32_e32 v5, 16, v2
	v_lshrrev_b32_e32 v4, 16, v3
	s_and_saveexec_b32 s9, vcc_lo
	s_cbranch_execz .LBB205_915
; %bb.914:                              ;   in Loop: Header=BB205_31 Depth=1
	v_cmp_lt_i32_e64 s1, v176, v113
	s_delay_alu instid0(VALU_DEP_1) | instskip(SKIP_1) | instid1(VALU_DEP_1)
	v_cndmask_b32_e64 v0, 0, v0, s1
	v_cmp_lt_i32_e64 s1, v47, v113
	v_cndmask_b32_e64 v39, 0, v39, s1
	v_cmp_lt_i32_e64 s1, v46, v113
	s_delay_alu instid0(VALU_DEP_1) | instskip(SKIP_1) | instid1(VALU_DEP_1)
	v_cndmask_b32_e64 v1, 0, v1, s1
	v_cmp_lt_i32_e64 s1, v45, v113
	v_cndmask_b32_e64 v12, 0, v12, s1
	;; [unrolled: 5-line block ×4, first 2 shown]
.LBB205_915:                            ;   in Loop: Header=BB205_31 Depth=1
	s_or_b32 exec_lo, exec_lo, s9
	v_lshlrev_b32_e32 v0, 16, v0
                                        ; implicit-def: $vgpr136
	s_delay_alu instid0(VALU_DEP_1) | instskip(NEXT) | instid1(VALU_DEP_1)
	v_mul_f32_e32 v0, v58, v0
	v_and_b32_e32 v69, 0x7f800000, v0
	s_delay_alu instid0(VALU_DEP_1) | instskip(NEXT) | instid1(VALU_DEP_1)
	v_cmp_ne_u32_e64 s1, 0x7f800000, v69
	s_and_saveexec_b32 s9, s1
	s_delay_alu instid0(SALU_CYCLE_1)
	s_xor_b32 s1, exec_lo, s9
; %bb.916:                              ;   in Loop: Header=BB205_31 Depth=1
	v_bfe_u32 v69, v0, 16, 1
	s_delay_alu instid0(VALU_DEP_1)
	v_add3_u32 v136, v0, v69, 0x7fff
                                        ; implicit-def: $vgpr0
; %bb.917:                              ;   in Loop: Header=BB205_31 Depth=1
	s_and_not1_saveexec_b32 s9, s1
; %bb.918:                              ;   in Loop: Header=BB205_31 Depth=1
	v_and_b32_e32 v69, 0xffff, v0
	v_or_b32_e32 v70, 0x10000, v0
	s_delay_alu instid0(VALU_DEP_2) | instskip(NEXT) | instid1(VALU_DEP_1)
	v_cmp_eq_u32_e64 s1, 0, v69
	v_cndmask_b32_e64 v136, v70, v0, s1
; %bb.919:                              ;   in Loop: Header=BB205_31 Depth=1
	s_or_b32 exec_lo, exec_lo, s9
	v_lshlrev_b32_e32 v0, 16, v39
                                        ; implicit-def: $vgpr137
	s_delay_alu instid0(VALU_DEP_1) | instskip(NEXT) | instid1(VALU_DEP_1)
	v_mul_f32_e32 v0, v59, v0
	v_and_b32_e32 v39, 0x7f800000, v0
	s_delay_alu instid0(VALU_DEP_1) | instskip(NEXT) | instid1(VALU_DEP_1)
	v_cmp_ne_u32_e64 s1, 0x7f800000, v39
	s_and_saveexec_b32 s9, s1
	s_delay_alu instid0(SALU_CYCLE_1)
	s_xor_b32 s1, exec_lo, s9
; %bb.920:                              ;   in Loop: Header=BB205_31 Depth=1
	v_bfe_u32 v39, v0, 16, 1
	s_delay_alu instid0(VALU_DEP_1)
	v_add3_u32 v137, v0, v39, 0x7fff
                                        ; implicit-def: $vgpr0
; %bb.921:                              ;   in Loop: Header=BB205_31 Depth=1
	s_and_not1_saveexec_b32 s9, s1
; %bb.922:                              ;   in Loop: Header=BB205_31 Depth=1
	v_and_b32_e32 v39, 0xffff, v0
	v_or_b32_e32 v69, 0x10000, v0
	s_delay_alu instid0(VALU_DEP_2) | instskip(NEXT) | instid1(VALU_DEP_1)
	v_cmp_eq_u32_e64 s1, 0, v39
	v_cndmask_b32_e64 v137, v69, v0, s1
; %bb.923:                              ;   in Loop: Header=BB205_31 Depth=1
	s_or_b32 exec_lo, exec_lo, s9
	v_lshlrev_b32_e32 v0, 16, v1
                                        ; implicit-def: $vgpr138
	s_delay_alu instid0(VALU_DEP_1) | instskip(NEXT) | instid1(VALU_DEP_1)
	v_mul_f32_e32 v0, v60, v0
	v_and_b32_e32 v1, 0x7f800000, v0
	s_delay_alu instid0(VALU_DEP_1) | instskip(NEXT) | instid1(VALU_DEP_1)
	v_cmp_ne_u32_e64 s1, 0x7f800000, v1
	s_and_saveexec_b32 s9, s1
	s_delay_alu instid0(SALU_CYCLE_1)
	s_xor_b32 s1, exec_lo, s9
; %bb.924:                              ;   in Loop: Header=BB205_31 Depth=1
	v_bfe_u32 v1, v0, 16, 1
	s_delay_alu instid0(VALU_DEP_1)
	v_add3_u32 v138, v0, v1, 0x7fff
                                        ; implicit-def: $vgpr0
; %bb.925:                              ;   in Loop: Header=BB205_31 Depth=1
	s_and_not1_saveexec_b32 s9, s1
; %bb.926:                              ;   in Loop: Header=BB205_31 Depth=1
	v_and_b32_e32 v1, 0xffff, v0
	v_or_b32_e32 v39, 0x10000, v0
	s_delay_alu instid0(VALU_DEP_2) | instskip(NEXT) | instid1(VALU_DEP_1)
	v_cmp_eq_u32_e64 s1, 0, v1
	v_cndmask_b32_e64 v138, v39, v0, s1
; %bb.927:                              ;   in Loop: Header=BB205_31 Depth=1
	s_or_b32 exec_lo, exec_lo, s9
	v_lshlrev_b32_e32 v0, 16, v12
                                        ; implicit-def: $vgpr139
	s_delay_alu instid0(VALU_DEP_1) | instskip(NEXT) | instid1(VALU_DEP_1)
	v_mul_f32_e32 v0, v61, v0
	v_and_b32_e32 v1, 0x7f800000, v0
	s_delay_alu instid0(VALU_DEP_1) | instskip(NEXT) | instid1(VALU_DEP_1)
	v_cmp_ne_u32_e64 s1, 0x7f800000, v1
	s_and_saveexec_b32 s9, s1
	s_delay_alu instid0(SALU_CYCLE_1)
	s_xor_b32 s1, exec_lo, s9
; %bb.928:                              ;   in Loop: Header=BB205_31 Depth=1
	v_bfe_u32 v1, v0, 16, 1
	s_delay_alu instid0(VALU_DEP_1)
	v_add3_u32 v139, v0, v1, 0x7fff
                                        ; implicit-def: $vgpr0
; %bb.929:                              ;   in Loop: Header=BB205_31 Depth=1
	s_and_not1_saveexec_b32 s9, s1
; %bb.930:                              ;   in Loop: Header=BB205_31 Depth=1
	v_and_b32_e32 v1, 0xffff, v0
	v_or_b32_e32 v12, 0x10000, v0
	s_delay_alu instid0(VALU_DEP_2) | instskip(NEXT) | instid1(VALU_DEP_1)
	v_cmp_eq_u32_e64 s1, 0, v1
	v_cndmask_b32_e64 v139, v12, v0, s1
; %bb.931:                              ;   in Loop: Header=BB205_31 Depth=1
	s_or_b32 exec_lo, exec_lo, s9
	v_lshlrev_b32_e32 v0, 16, v2
                                        ; implicit-def: $vgpr140
	s_delay_alu instid0(VALU_DEP_1) | instskip(NEXT) | instid1(VALU_DEP_1)
	v_mul_f32_e32 v0, v62, v0
	v_and_b32_e32 v1, 0x7f800000, v0
	s_delay_alu instid0(VALU_DEP_1) | instskip(NEXT) | instid1(VALU_DEP_1)
	v_cmp_ne_u32_e64 s1, 0x7f800000, v1
	s_and_saveexec_b32 s9, s1
	s_delay_alu instid0(SALU_CYCLE_1)
	s_xor_b32 s1, exec_lo, s9
; %bb.932:                              ;   in Loop: Header=BB205_31 Depth=1
	v_bfe_u32 v1, v0, 16, 1
	s_delay_alu instid0(VALU_DEP_1)
	v_add3_u32 v140, v0, v1, 0x7fff
                                        ; implicit-def: $vgpr0
; %bb.933:                              ;   in Loop: Header=BB205_31 Depth=1
	s_and_not1_saveexec_b32 s9, s1
; %bb.934:                              ;   in Loop: Header=BB205_31 Depth=1
	v_and_b32_e32 v1, 0xffff, v0
	v_or_b32_e32 v2, 0x10000, v0
	s_delay_alu instid0(VALU_DEP_2) | instskip(NEXT) | instid1(VALU_DEP_1)
	v_cmp_eq_u32_e64 s1, 0, v1
	v_cndmask_b32_e64 v140, v2, v0, s1
; %bb.935:                              ;   in Loop: Header=BB205_31 Depth=1
	s_or_b32 exec_lo, exec_lo, s9
	v_lshlrev_b32_e32 v0, 16, v5
                                        ; implicit-def: $vgpr141
	s_delay_alu instid0(VALU_DEP_1) | instskip(NEXT) | instid1(VALU_DEP_1)
	v_mul_f32_e32 v0, v63, v0
	v_and_b32_e32 v1, 0x7f800000, v0
	s_delay_alu instid0(VALU_DEP_1) | instskip(NEXT) | instid1(VALU_DEP_1)
	v_cmp_ne_u32_e64 s1, 0x7f800000, v1
	s_and_saveexec_b32 s9, s1
	s_delay_alu instid0(SALU_CYCLE_1)
	s_xor_b32 s1, exec_lo, s9
; %bb.936:                              ;   in Loop: Header=BB205_31 Depth=1
	v_bfe_u32 v1, v0, 16, 1
	s_delay_alu instid0(VALU_DEP_1)
	v_add3_u32 v141, v0, v1, 0x7fff
                                        ; implicit-def: $vgpr0
; %bb.937:                              ;   in Loop: Header=BB205_31 Depth=1
	s_and_not1_saveexec_b32 s9, s1
; %bb.938:                              ;   in Loop: Header=BB205_31 Depth=1
	v_and_b32_e32 v1, 0xffff, v0
	v_or_b32_e32 v2, 0x10000, v0
	s_delay_alu instid0(VALU_DEP_2) | instskip(NEXT) | instid1(VALU_DEP_1)
	v_cmp_eq_u32_e64 s1, 0, v1
	v_cndmask_b32_e64 v141, v2, v0, s1
; %bb.939:                              ;   in Loop: Header=BB205_31 Depth=1
	s_or_b32 exec_lo, exec_lo, s9
	v_lshlrev_b32_e32 v0, 16, v3
                                        ; implicit-def: $vgpr142
	s_delay_alu instid0(VALU_DEP_1) | instskip(NEXT) | instid1(VALU_DEP_1)
	v_mul_f32_e32 v0, v72, v0
	v_and_b32_e32 v1, 0x7f800000, v0
	s_delay_alu instid0(VALU_DEP_1) | instskip(NEXT) | instid1(VALU_DEP_1)
	v_cmp_ne_u32_e64 s1, 0x7f800000, v1
	s_and_saveexec_b32 s9, s1
	s_delay_alu instid0(SALU_CYCLE_1)
	s_xor_b32 s1, exec_lo, s9
; %bb.940:                              ;   in Loop: Header=BB205_31 Depth=1
	v_bfe_u32 v1, v0, 16, 1
	s_delay_alu instid0(VALU_DEP_1)
	v_add3_u32 v142, v0, v1, 0x7fff
                                        ; implicit-def: $vgpr0
; %bb.941:                              ;   in Loop: Header=BB205_31 Depth=1
	s_and_not1_saveexec_b32 s9, s1
; %bb.942:                              ;   in Loop: Header=BB205_31 Depth=1
	v_and_b32_e32 v1, 0xffff, v0
	v_or_b32_e32 v2, 0x10000, v0
	s_delay_alu instid0(VALU_DEP_2) | instskip(NEXT) | instid1(VALU_DEP_1)
	v_cmp_eq_u32_e64 s1, 0, v1
	v_cndmask_b32_e64 v142, v2, v0, s1
; %bb.943:                              ;   in Loop: Header=BB205_31 Depth=1
	s_or_b32 exec_lo, exec_lo, s9
	v_lshlrev_b32_e32 v0, 16, v4
                                        ; implicit-def: $vgpr143
	s_delay_alu instid0(VALU_DEP_1) | instskip(NEXT) | instid1(VALU_DEP_1)
	v_mul_f32_e32 v0, v73, v0
	v_and_b32_e32 v1, 0x7f800000, v0
	s_delay_alu instid0(VALU_DEP_1) | instskip(NEXT) | instid1(VALU_DEP_1)
	v_cmp_ne_u32_e64 s1, 0x7f800000, v1
	s_and_saveexec_b32 s9, s1
	s_delay_alu instid0(SALU_CYCLE_1)
	s_xor_b32 s1, exec_lo, s9
; %bb.944:                              ;   in Loop: Header=BB205_31 Depth=1
	v_bfe_u32 v1, v0, 16, 1
	s_delay_alu instid0(VALU_DEP_1)
	v_add3_u32 v143, v0, v1, 0x7fff
                                        ; implicit-def: $vgpr0
; %bb.945:                              ;   in Loop: Header=BB205_31 Depth=1
	s_and_not1_saveexec_b32 s9, s1
; %bb.946:                              ;   in Loop: Header=BB205_31 Depth=1
	v_and_b32_e32 v1, 0xffff, v0
	v_or_b32_e32 v2, 0x10000, v0
	s_delay_alu instid0(VALU_DEP_2) | instskip(NEXT) | instid1(VALU_DEP_1)
	v_cmp_eq_u32_e64 s1, 0, v1
	v_cndmask_b32_e64 v143, v2, v0, s1
; %bb.947:                              ;   in Loop: Header=BB205_31 Depth=1
	s_or_b32 exec_lo, exec_lo, s9
	scratch_load_b32 v0, off, s32 offset:884 ; 4-byte Folded Reload
	s_waitcnt vmcnt(0)
	v_add_co_u32 v0, s1, v56, v0
	s_delay_alu instid0(VALU_DEP_1)
	v_add_co_ci_u32_e64 v1, s1, 0, v57, s1
	flat_load_b128 v[0:3], v[0:1]
	s_waitcnt vmcnt(0) lgkmcnt(0)
	v_lshrrev_b32_e32 v39, 16, v0
	v_lshrrev_b32_e32 v12, 16, v1
	;; [unrolled: 1-line block ×4, first 2 shown]
	s_and_saveexec_b32 s9, vcc_lo
	s_cbranch_execz .LBB205_949
; %bb.948:                              ;   in Loop: Header=BB205_31 Depth=1
	v_cmp_lt_i32_e64 s1, v176, v113
	s_delay_alu instid0(VALU_DEP_1) | instskip(SKIP_1) | instid1(VALU_DEP_1)
	v_cndmask_b32_e64 v0, 0, v0, s1
	v_cmp_lt_i32_e64 s1, v47, v113
	v_cndmask_b32_e64 v39, 0, v39, s1
	v_cmp_lt_i32_e64 s1, v46, v113
	s_delay_alu instid0(VALU_DEP_1) | instskip(SKIP_1) | instid1(VALU_DEP_1)
	v_cndmask_b32_e64 v1, 0, v1, s1
	v_cmp_lt_i32_e64 s1, v45, v113
	v_cndmask_b32_e64 v12, 0, v12, s1
	;; [unrolled: 5-line block ×4, first 2 shown]
.LBB205_949:                            ;   in Loop: Header=BB205_31 Depth=1
	s_or_b32 exec_lo, exec_lo, s9
	v_lshlrev_b32_e32 v0, 16, v0
                                        ; implicit-def: $vgpr152
	s_delay_alu instid0(VALU_DEP_1) | instskip(NEXT) | instid1(VALU_DEP_1)
	v_mul_f32_e32 v0, v58, v0
	v_and_b32_e32 v69, 0x7f800000, v0
	s_delay_alu instid0(VALU_DEP_1) | instskip(NEXT) | instid1(VALU_DEP_1)
	v_cmp_ne_u32_e64 s1, 0x7f800000, v69
	s_and_saveexec_b32 s9, s1
	s_delay_alu instid0(SALU_CYCLE_1)
	s_xor_b32 s1, exec_lo, s9
; %bb.950:                              ;   in Loop: Header=BB205_31 Depth=1
	v_bfe_u32 v69, v0, 16, 1
	s_delay_alu instid0(VALU_DEP_1)
	v_add3_u32 v152, v0, v69, 0x7fff
                                        ; implicit-def: $vgpr0
; %bb.951:                              ;   in Loop: Header=BB205_31 Depth=1
	s_and_not1_saveexec_b32 s9, s1
; %bb.952:                              ;   in Loop: Header=BB205_31 Depth=1
	v_and_b32_e32 v69, 0xffff, v0
	v_or_b32_e32 v70, 0x10000, v0
	s_delay_alu instid0(VALU_DEP_2) | instskip(NEXT) | instid1(VALU_DEP_1)
	v_cmp_eq_u32_e64 s1, 0, v69
	v_cndmask_b32_e64 v152, v70, v0, s1
; %bb.953:                              ;   in Loop: Header=BB205_31 Depth=1
	s_or_b32 exec_lo, exec_lo, s9
	v_lshlrev_b32_e32 v0, 16, v39
                                        ; implicit-def: $vgpr153
	s_delay_alu instid0(VALU_DEP_1) | instskip(NEXT) | instid1(VALU_DEP_1)
	v_mul_f32_e32 v0, v59, v0
	v_and_b32_e32 v39, 0x7f800000, v0
	s_delay_alu instid0(VALU_DEP_1) | instskip(NEXT) | instid1(VALU_DEP_1)
	v_cmp_ne_u32_e64 s1, 0x7f800000, v39
	s_and_saveexec_b32 s9, s1
	s_delay_alu instid0(SALU_CYCLE_1)
	s_xor_b32 s1, exec_lo, s9
; %bb.954:                              ;   in Loop: Header=BB205_31 Depth=1
	v_bfe_u32 v39, v0, 16, 1
	s_delay_alu instid0(VALU_DEP_1)
	v_add3_u32 v153, v0, v39, 0x7fff
                                        ; implicit-def: $vgpr0
; %bb.955:                              ;   in Loop: Header=BB205_31 Depth=1
	s_and_not1_saveexec_b32 s9, s1
; %bb.956:                              ;   in Loop: Header=BB205_31 Depth=1
	v_and_b32_e32 v39, 0xffff, v0
	v_or_b32_e32 v69, 0x10000, v0
	s_delay_alu instid0(VALU_DEP_2) | instskip(NEXT) | instid1(VALU_DEP_1)
	v_cmp_eq_u32_e64 s1, 0, v39
	v_cndmask_b32_e64 v153, v69, v0, s1
; %bb.957:                              ;   in Loop: Header=BB205_31 Depth=1
	s_or_b32 exec_lo, exec_lo, s9
	v_lshlrev_b32_e32 v0, 16, v1
                                        ; implicit-def: $vgpr154
	s_delay_alu instid0(VALU_DEP_1) | instskip(NEXT) | instid1(VALU_DEP_1)
	v_mul_f32_e32 v0, v60, v0
	v_and_b32_e32 v1, 0x7f800000, v0
	s_delay_alu instid0(VALU_DEP_1) | instskip(NEXT) | instid1(VALU_DEP_1)
	v_cmp_ne_u32_e64 s1, 0x7f800000, v1
	s_and_saveexec_b32 s9, s1
	s_delay_alu instid0(SALU_CYCLE_1)
	s_xor_b32 s1, exec_lo, s9
; %bb.958:                              ;   in Loop: Header=BB205_31 Depth=1
	v_bfe_u32 v1, v0, 16, 1
	s_delay_alu instid0(VALU_DEP_1)
	v_add3_u32 v154, v0, v1, 0x7fff
                                        ; implicit-def: $vgpr0
; %bb.959:                              ;   in Loop: Header=BB205_31 Depth=1
	s_and_not1_saveexec_b32 s9, s1
; %bb.960:                              ;   in Loop: Header=BB205_31 Depth=1
	v_and_b32_e32 v1, 0xffff, v0
	v_or_b32_e32 v39, 0x10000, v0
	s_delay_alu instid0(VALU_DEP_2) | instskip(NEXT) | instid1(VALU_DEP_1)
	v_cmp_eq_u32_e64 s1, 0, v1
	v_cndmask_b32_e64 v154, v39, v0, s1
; %bb.961:                              ;   in Loop: Header=BB205_31 Depth=1
	s_or_b32 exec_lo, exec_lo, s9
	v_lshlrev_b32_e32 v0, 16, v12
                                        ; implicit-def: $vgpr155
	s_delay_alu instid0(VALU_DEP_1) | instskip(NEXT) | instid1(VALU_DEP_1)
	v_mul_f32_e32 v0, v61, v0
	v_and_b32_e32 v1, 0x7f800000, v0
	s_delay_alu instid0(VALU_DEP_1) | instskip(NEXT) | instid1(VALU_DEP_1)
	v_cmp_ne_u32_e64 s1, 0x7f800000, v1
	s_and_saveexec_b32 s9, s1
	s_delay_alu instid0(SALU_CYCLE_1)
	s_xor_b32 s1, exec_lo, s9
; %bb.962:                              ;   in Loop: Header=BB205_31 Depth=1
	v_bfe_u32 v1, v0, 16, 1
	s_delay_alu instid0(VALU_DEP_1)
	v_add3_u32 v155, v0, v1, 0x7fff
                                        ; implicit-def: $vgpr0
; %bb.963:                              ;   in Loop: Header=BB205_31 Depth=1
	s_and_not1_saveexec_b32 s9, s1
; %bb.964:                              ;   in Loop: Header=BB205_31 Depth=1
	v_and_b32_e32 v1, 0xffff, v0
	v_or_b32_e32 v12, 0x10000, v0
	s_delay_alu instid0(VALU_DEP_2) | instskip(NEXT) | instid1(VALU_DEP_1)
	v_cmp_eq_u32_e64 s1, 0, v1
	v_cndmask_b32_e64 v155, v12, v0, s1
; %bb.965:                              ;   in Loop: Header=BB205_31 Depth=1
	s_or_b32 exec_lo, exec_lo, s9
	v_lshlrev_b32_e32 v0, 16, v2
                                        ; implicit-def: $vgpr156
	s_delay_alu instid0(VALU_DEP_1) | instskip(NEXT) | instid1(VALU_DEP_1)
	v_mul_f32_e32 v0, v62, v0
	v_and_b32_e32 v1, 0x7f800000, v0
	s_delay_alu instid0(VALU_DEP_1) | instskip(NEXT) | instid1(VALU_DEP_1)
	v_cmp_ne_u32_e64 s1, 0x7f800000, v1
	s_and_saveexec_b32 s9, s1
	s_delay_alu instid0(SALU_CYCLE_1)
	s_xor_b32 s1, exec_lo, s9
; %bb.966:                              ;   in Loop: Header=BB205_31 Depth=1
	v_bfe_u32 v1, v0, 16, 1
	s_delay_alu instid0(VALU_DEP_1)
	v_add3_u32 v156, v0, v1, 0x7fff
                                        ; implicit-def: $vgpr0
; %bb.967:                              ;   in Loop: Header=BB205_31 Depth=1
	s_and_not1_saveexec_b32 s9, s1
; %bb.968:                              ;   in Loop: Header=BB205_31 Depth=1
	v_and_b32_e32 v1, 0xffff, v0
	v_or_b32_e32 v2, 0x10000, v0
	s_delay_alu instid0(VALU_DEP_2) | instskip(NEXT) | instid1(VALU_DEP_1)
	v_cmp_eq_u32_e64 s1, 0, v1
	v_cndmask_b32_e64 v156, v2, v0, s1
; %bb.969:                              ;   in Loop: Header=BB205_31 Depth=1
	s_or_b32 exec_lo, exec_lo, s9
	v_lshlrev_b32_e32 v0, 16, v5
                                        ; implicit-def: $vgpr157
	s_delay_alu instid0(VALU_DEP_1) | instskip(NEXT) | instid1(VALU_DEP_1)
	v_mul_f32_e32 v0, v63, v0
	v_and_b32_e32 v1, 0x7f800000, v0
	s_delay_alu instid0(VALU_DEP_1) | instskip(NEXT) | instid1(VALU_DEP_1)
	v_cmp_ne_u32_e64 s1, 0x7f800000, v1
	s_and_saveexec_b32 s9, s1
	s_delay_alu instid0(SALU_CYCLE_1)
	s_xor_b32 s1, exec_lo, s9
; %bb.970:                              ;   in Loop: Header=BB205_31 Depth=1
	v_bfe_u32 v1, v0, 16, 1
	s_delay_alu instid0(VALU_DEP_1)
	v_add3_u32 v157, v0, v1, 0x7fff
                                        ; implicit-def: $vgpr0
; %bb.971:                              ;   in Loop: Header=BB205_31 Depth=1
	s_and_not1_saveexec_b32 s9, s1
; %bb.972:                              ;   in Loop: Header=BB205_31 Depth=1
	v_and_b32_e32 v1, 0xffff, v0
	v_or_b32_e32 v2, 0x10000, v0
	s_delay_alu instid0(VALU_DEP_2) | instskip(NEXT) | instid1(VALU_DEP_1)
	v_cmp_eq_u32_e64 s1, 0, v1
	v_cndmask_b32_e64 v157, v2, v0, s1
; %bb.973:                              ;   in Loop: Header=BB205_31 Depth=1
	s_or_b32 exec_lo, exec_lo, s9
	v_lshlrev_b32_e32 v0, 16, v3
                                        ; implicit-def: $vgpr158
	s_delay_alu instid0(VALU_DEP_1) | instskip(NEXT) | instid1(VALU_DEP_1)
	v_mul_f32_e32 v0, v72, v0
	v_and_b32_e32 v1, 0x7f800000, v0
	s_delay_alu instid0(VALU_DEP_1) | instskip(NEXT) | instid1(VALU_DEP_1)
	v_cmp_ne_u32_e64 s1, 0x7f800000, v1
	s_and_saveexec_b32 s9, s1
	s_delay_alu instid0(SALU_CYCLE_1)
	s_xor_b32 s1, exec_lo, s9
; %bb.974:                              ;   in Loop: Header=BB205_31 Depth=1
	v_bfe_u32 v1, v0, 16, 1
	s_delay_alu instid0(VALU_DEP_1)
	v_add3_u32 v158, v0, v1, 0x7fff
                                        ; implicit-def: $vgpr0
; %bb.975:                              ;   in Loop: Header=BB205_31 Depth=1
	s_and_not1_saveexec_b32 s9, s1
; %bb.976:                              ;   in Loop: Header=BB205_31 Depth=1
	v_and_b32_e32 v1, 0xffff, v0
	v_or_b32_e32 v2, 0x10000, v0
	s_delay_alu instid0(VALU_DEP_2) | instskip(NEXT) | instid1(VALU_DEP_1)
	v_cmp_eq_u32_e64 s1, 0, v1
	v_cndmask_b32_e64 v158, v2, v0, s1
; %bb.977:                              ;   in Loop: Header=BB205_31 Depth=1
	s_or_b32 exec_lo, exec_lo, s9
	v_lshlrev_b32_e32 v0, 16, v4
                                        ; implicit-def: $vgpr159
	s_delay_alu instid0(VALU_DEP_1) | instskip(NEXT) | instid1(VALU_DEP_1)
	v_mul_f32_e32 v0, v73, v0
	v_and_b32_e32 v1, 0x7f800000, v0
	s_delay_alu instid0(VALU_DEP_1) | instskip(NEXT) | instid1(VALU_DEP_1)
	v_cmp_ne_u32_e64 s1, 0x7f800000, v1
	s_and_saveexec_b32 s9, s1
	s_delay_alu instid0(SALU_CYCLE_1)
	s_xor_b32 s1, exec_lo, s9
; %bb.978:                              ;   in Loop: Header=BB205_31 Depth=1
	v_bfe_u32 v1, v0, 16, 1
	s_delay_alu instid0(VALU_DEP_1)
	v_add3_u32 v159, v0, v1, 0x7fff
                                        ; implicit-def: $vgpr0
; %bb.979:                              ;   in Loop: Header=BB205_31 Depth=1
	s_and_not1_saveexec_b32 s9, s1
; %bb.980:                              ;   in Loop: Header=BB205_31 Depth=1
	v_and_b32_e32 v1, 0xffff, v0
	v_or_b32_e32 v2, 0x10000, v0
	s_delay_alu instid0(VALU_DEP_2) | instskip(NEXT) | instid1(VALU_DEP_1)
	v_cmp_eq_u32_e64 s1, 0, v1
	v_cndmask_b32_e64 v159, v2, v0, s1
; %bb.981:                              ;   in Loop: Header=BB205_31 Depth=1
	s_or_b32 exec_lo, exec_lo, s9
	scratch_load_b32 v0, off, s32 offset:888 ; 4-byte Folded Reload
	s_waitcnt vmcnt(0)
	v_add_co_u32 v0, s1, v56, v0
	s_delay_alu instid0(VALU_DEP_1)
	v_add_co_ci_u32_e64 v1, s1, 0, v57, s1
	flat_load_b128 v[0:3], v[0:1]
	s_waitcnt vmcnt(0) lgkmcnt(0)
	v_lshrrev_b32_e32 v39, 16, v0
	v_lshrrev_b32_e32 v12, 16, v1
	;; [unrolled: 1-line block ×4, first 2 shown]
	s_and_saveexec_b32 s9, vcc_lo
	s_cbranch_execz .LBB205_983
; %bb.982:                              ;   in Loop: Header=BB205_31 Depth=1
	v_cmp_lt_i32_e64 s1, v176, v113
	s_delay_alu instid0(VALU_DEP_1) | instskip(SKIP_1) | instid1(VALU_DEP_1)
	v_cndmask_b32_e64 v0, 0, v0, s1
	v_cmp_lt_i32_e64 s1, v47, v113
	v_cndmask_b32_e64 v39, 0, v39, s1
	v_cmp_lt_i32_e64 s1, v46, v113
	s_delay_alu instid0(VALU_DEP_1) | instskip(SKIP_1) | instid1(VALU_DEP_1)
	v_cndmask_b32_e64 v1, 0, v1, s1
	v_cmp_lt_i32_e64 s1, v45, v113
	v_cndmask_b32_e64 v12, 0, v12, s1
	v_cmp_lt_i32_e64 s1, v44, v113
	s_delay_alu instid0(VALU_DEP_1) | instskip(SKIP_1) | instid1(VALU_DEP_1)
	v_cndmask_b32_e64 v2, 0, v2, s1
	v_cmp_lt_i32_e64 s1, v42, v113
	v_cndmask_b32_e64 v5, 0, v5, s1
	v_cmp_lt_i32_e64 s1, v41, v113
	s_delay_alu instid0(VALU_DEP_1) | instskip(SKIP_1) | instid1(VALU_DEP_1)
	v_cndmask_b32_e64 v3, 0, v3, s1
	v_cmp_lt_i32_e64 s1, v43, v113
	v_cndmask_b32_e64 v4, 0, v4, s1
.LBB205_983:                            ;   in Loop: Header=BB205_31 Depth=1
	s_or_b32 exec_lo, exec_lo, s9
	v_lshlrev_b32_e32 v0, 16, v0
                                        ; implicit-def: $vgpr168
	s_delay_alu instid0(VALU_DEP_1) | instskip(NEXT) | instid1(VALU_DEP_1)
	v_mul_f32_e32 v0, v58, v0
	v_and_b32_e32 v69, 0x7f800000, v0
	s_delay_alu instid0(VALU_DEP_1) | instskip(NEXT) | instid1(VALU_DEP_1)
	v_cmp_ne_u32_e64 s1, 0x7f800000, v69
	s_and_saveexec_b32 s9, s1
	s_delay_alu instid0(SALU_CYCLE_1)
	s_xor_b32 s1, exec_lo, s9
; %bb.984:                              ;   in Loop: Header=BB205_31 Depth=1
	v_bfe_u32 v69, v0, 16, 1
	s_delay_alu instid0(VALU_DEP_1)
	v_add3_u32 v168, v0, v69, 0x7fff
                                        ; implicit-def: $vgpr0
; %bb.985:                              ;   in Loop: Header=BB205_31 Depth=1
	s_and_not1_saveexec_b32 s9, s1
; %bb.986:                              ;   in Loop: Header=BB205_31 Depth=1
	v_and_b32_e32 v69, 0xffff, v0
	v_or_b32_e32 v70, 0x10000, v0
	s_delay_alu instid0(VALU_DEP_2) | instskip(NEXT) | instid1(VALU_DEP_1)
	v_cmp_eq_u32_e64 s1, 0, v69
	v_cndmask_b32_e64 v168, v70, v0, s1
; %bb.987:                              ;   in Loop: Header=BB205_31 Depth=1
	s_or_b32 exec_lo, exec_lo, s9
	v_lshlrev_b32_e32 v0, 16, v39
                                        ; implicit-def: $vgpr169
	s_delay_alu instid0(VALU_DEP_1) | instskip(NEXT) | instid1(VALU_DEP_1)
	v_mul_f32_e32 v0, v59, v0
	v_and_b32_e32 v39, 0x7f800000, v0
	s_delay_alu instid0(VALU_DEP_1) | instskip(NEXT) | instid1(VALU_DEP_1)
	v_cmp_ne_u32_e64 s1, 0x7f800000, v39
	s_and_saveexec_b32 s9, s1
	s_delay_alu instid0(SALU_CYCLE_1)
	s_xor_b32 s1, exec_lo, s9
; %bb.988:                              ;   in Loop: Header=BB205_31 Depth=1
	v_bfe_u32 v39, v0, 16, 1
	s_delay_alu instid0(VALU_DEP_1)
	v_add3_u32 v169, v0, v39, 0x7fff
                                        ; implicit-def: $vgpr0
; %bb.989:                              ;   in Loop: Header=BB205_31 Depth=1
	s_and_not1_saveexec_b32 s9, s1
; %bb.990:                              ;   in Loop: Header=BB205_31 Depth=1
	v_and_b32_e32 v39, 0xffff, v0
	v_or_b32_e32 v69, 0x10000, v0
	s_delay_alu instid0(VALU_DEP_2) | instskip(NEXT) | instid1(VALU_DEP_1)
	v_cmp_eq_u32_e64 s1, 0, v39
	v_cndmask_b32_e64 v169, v69, v0, s1
; %bb.991:                              ;   in Loop: Header=BB205_31 Depth=1
	s_or_b32 exec_lo, exec_lo, s9
	v_lshlrev_b32_e32 v0, 16, v1
                                        ; implicit-def: $vgpr170
	s_delay_alu instid0(VALU_DEP_1) | instskip(NEXT) | instid1(VALU_DEP_1)
	v_mul_f32_e32 v0, v60, v0
	v_and_b32_e32 v1, 0x7f800000, v0
	s_delay_alu instid0(VALU_DEP_1) | instskip(NEXT) | instid1(VALU_DEP_1)
	v_cmp_ne_u32_e64 s1, 0x7f800000, v1
	s_and_saveexec_b32 s9, s1
	s_delay_alu instid0(SALU_CYCLE_1)
	s_xor_b32 s1, exec_lo, s9
; %bb.992:                              ;   in Loop: Header=BB205_31 Depth=1
	v_bfe_u32 v1, v0, 16, 1
	s_delay_alu instid0(VALU_DEP_1)
	v_add3_u32 v170, v0, v1, 0x7fff
                                        ; implicit-def: $vgpr0
; %bb.993:                              ;   in Loop: Header=BB205_31 Depth=1
	s_and_not1_saveexec_b32 s9, s1
; %bb.994:                              ;   in Loop: Header=BB205_31 Depth=1
	v_and_b32_e32 v1, 0xffff, v0
	v_or_b32_e32 v39, 0x10000, v0
	s_delay_alu instid0(VALU_DEP_2) | instskip(NEXT) | instid1(VALU_DEP_1)
	v_cmp_eq_u32_e64 s1, 0, v1
	v_cndmask_b32_e64 v170, v39, v0, s1
; %bb.995:                              ;   in Loop: Header=BB205_31 Depth=1
	s_or_b32 exec_lo, exec_lo, s9
	v_lshlrev_b32_e32 v0, 16, v12
                                        ; implicit-def: $vgpr171
	s_delay_alu instid0(VALU_DEP_1) | instskip(NEXT) | instid1(VALU_DEP_1)
	v_mul_f32_e32 v0, v61, v0
	v_and_b32_e32 v1, 0x7f800000, v0
	s_delay_alu instid0(VALU_DEP_1) | instskip(NEXT) | instid1(VALU_DEP_1)
	v_cmp_ne_u32_e64 s1, 0x7f800000, v1
	s_and_saveexec_b32 s9, s1
	s_delay_alu instid0(SALU_CYCLE_1)
	s_xor_b32 s1, exec_lo, s9
; %bb.996:                              ;   in Loop: Header=BB205_31 Depth=1
	v_bfe_u32 v1, v0, 16, 1
	s_delay_alu instid0(VALU_DEP_1)
	v_add3_u32 v171, v0, v1, 0x7fff
                                        ; implicit-def: $vgpr0
; %bb.997:                              ;   in Loop: Header=BB205_31 Depth=1
	s_and_not1_saveexec_b32 s9, s1
; %bb.998:                              ;   in Loop: Header=BB205_31 Depth=1
	v_and_b32_e32 v1, 0xffff, v0
	v_or_b32_e32 v12, 0x10000, v0
	s_delay_alu instid0(VALU_DEP_2) | instskip(NEXT) | instid1(VALU_DEP_1)
	v_cmp_eq_u32_e64 s1, 0, v1
	v_cndmask_b32_e64 v171, v12, v0, s1
; %bb.999:                              ;   in Loop: Header=BB205_31 Depth=1
	s_or_b32 exec_lo, exec_lo, s9
	v_lshlrev_b32_e32 v0, 16, v2
                                        ; implicit-def: $vgpr172
	s_delay_alu instid0(VALU_DEP_1) | instskip(NEXT) | instid1(VALU_DEP_1)
	v_mul_f32_e32 v0, v62, v0
	v_and_b32_e32 v1, 0x7f800000, v0
	s_delay_alu instid0(VALU_DEP_1) | instskip(NEXT) | instid1(VALU_DEP_1)
	v_cmp_ne_u32_e64 s1, 0x7f800000, v1
	s_and_saveexec_b32 s9, s1
	s_delay_alu instid0(SALU_CYCLE_1)
	s_xor_b32 s1, exec_lo, s9
; %bb.1000:                             ;   in Loop: Header=BB205_31 Depth=1
	v_bfe_u32 v1, v0, 16, 1
	s_delay_alu instid0(VALU_DEP_1)
	v_add3_u32 v172, v0, v1, 0x7fff
                                        ; implicit-def: $vgpr0
; %bb.1001:                             ;   in Loop: Header=BB205_31 Depth=1
	s_and_not1_saveexec_b32 s9, s1
; %bb.1002:                             ;   in Loop: Header=BB205_31 Depth=1
	v_and_b32_e32 v1, 0xffff, v0
	v_or_b32_e32 v2, 0x10000, v0
	s_delay_alu instid0(VALU_DEP_2) | instskip(NEXT) | instid1(VALU_DEP_1)
	v_cmp_eq_u32_e64 s1, 0, v1
	v_cndmask_b32_e64 v172, v2, v0, s1
; %bb.1003:                             ;   in Loop: Header=BB205_31 Depth=1
	s_or_b32 exec_lo, exec_lo, s9
	v_lshlrev_b32_e32 v0, 16, v5
                                        ; implicit-def: $vgpr173
	s_delay_alu instid0(VALU_DEP_1) | instskip(NEXT) | instid1(VALU_DEP_1)
	v_mul_f32_e32 v0, v63, v0
	v_and_b32_e32 v1, 0x7f800000, v0
	s_delay_alu instid0(VALU_DEP_1) | instskip(NEXT) | instid1(VALU_DEP_1)
	v_cmp_ne_u32_e64 s1, 0x7f800000, v1
	s_and_saveexec_b32 s9, s1
	s_delay_alu instid0(SALU_CYCLE_1)
	s_xor_b32 s1, exec_lo, s9
; %bb.1004:                             ;   in Loop: Header=BB205_31 Depth=1
	v_bfe_u32 v1, v0, 16, 1
	s_delay_alu instid0(VALU_DEP_1)
	v_add3_u32 v173, v0, v1, 0x7fff
                                        ; implicit-def: $vgpr0
; %bb.1005:                             ;   in Loop: Header=BB205_31 Depth=1
	s_and_not1_saveexec_b32 s9, s1
; %bb.1006:                             ;   in Loop: Header=BB205_31 Depth=1
	v_and_b32_e32 v1, 0xffff, v0
	v_or_b32_e32 v2, 0x10000, v0
	s_delay_alu instid0(VALU_DEP_2) | instskip(NEXT) | instid1(VALU_DEP_1)
	v_cmp_eq_u32_e64 s1, 0, v1
	v_cndmask_b32_e64 v173, v2, v0, s1
; %bb.1007:                             ;   in Loop: Header=BB205_31 Depth=1
	s_or_b32 exec_lo, exec_lo, s9
	v_lshlrev_b32_e32 v0, 16, v3
                                        ; implicit-def: $vgpr174
	s_delay_alu instid0(VALU_DEP_1) | instskip(NEXT) | instid1(VALU_DEP_1)
	v_mul_f32_e32 v0, v72, v0
	v_and_b32_e32 v1, 0x7f800000, v0
	s_delay_alu instid0(VALU_DEP_1) | instskip(NEXT) | instid1(VALU_DEP_1)
	v_cmp_ne_u32_e64 s1, 0x7f800000, v1
	s_and_saveexec_b32 s9, s1
	s_delay_alu instid0(SALU_CYCLE_1)
	s_xor_b32 s1, exec_lo, s9
; %bb.1008:                             ;   in Loop: Header=BB205_31 Depth=1
	v_bfe_u32 v1, v0, 16, 1
	s_delay_alu instid0(VALU_DEP_1)
	v_add3_u32 v174, v0, v1, 0x7fff
                                        ; implicit-def: $vgpr0
; %bb.1009:                             ;   in Loop: Header=BB205_31 Depth=1
	s_and_not1_saveexec_b32 s9, s1
; %bb.1010:                             ;   in Loop: Header=BB205_31 Depth=1
	v_and_b32_e32 v1, 0xffff, v0
	v_or_b32_e32 v2, 0x10000, v0
	s_delay_alu instid0(VALU_DEP_2) | instskip(NEXT) | instid1(VALU_DEP_1)
	v_cmp_eq_u32_e64 s1, 0, v1
	v_cndmask_b32_e64 v174, v2, v0, s1
; %bb.1011:                             ;   in Loop: Header=BB205_31 Depth=1
	s_or_b32 exec_lo, exec_lo, s9
	v_lshlrev_b32_e32 v0, 16, v4
                                        ; implicit-def: $vgpr175
	s_delay_alu instid0(VALU_DEP_1) | instskip(NEXT) | instid1(VALU_DEP_1)
	v_mul_f32_e32 v0, v73, v0
	v_and_b32_e32 v1, 0x7f800000, v0
	s_delay_alu instid0(VALU_DEP_1) | instskip(NEXT) | instid1(VALU_DEP_1)
	v_cmp_ne_u32_e64 s1, 0x7f800000, v1
	s_and_saveexec_b32 s9, s1
	s_delay_alu instid0(SALU_CYCLE_1)
	s_xor_b32 s1, exec_lo, s9
; %bb.1012:                             ;   in Loop: Header=BB205_31 Depth=1
	v_bfe_u32 v1, v0, 16, 1
	s_delay_alu instid0(VALU_DEP_1)
	v_add3_u32 v175, v0, v1, 0x7fff
                                        ; implicit-def: $vgpr0
; %bb.1013:                             ;   in Loop: Header=BB205_31 Depth=1
	s_and_not1_saveexec_b32 s9, s1
; %bb.1014:                             ;   in Loop: Header=BB205_31 Depth=1
	v_and_b32_e32 v1, 0xffff, v0
	v_or_b32_e32 v2, 0x10000, v0
	s_delay_alu instid0(VALU_DEP_2) | instskip(NEXT) | instid1(VALU_DEP_1)
	v_cmp_eq_u32_e64 s1, 0, v1
	v_cndmask_b32_e64 v175, v2, v0, s1
; %bb.1015:                             ;   in Loop: Header=BB205_31 Depth=1
	s_or_b32 exec_lo, exec_lo, s9
	scratch_load_b32 v0, off, s32 offset:892 ; 4-byte Folded Reload
	s_waitcnt vmcnt(0)
	v_add_co_u32 v0, s1, v56, v0
	s_delay_alu instid0(VALU_DEP_1)
	v_add_co_ci_u32_e64 v1, s1, 0, v57, s1
	flat_load_b128 v[0:3], v[0:1]
	s_waitcnt vmcnt(0) lgkmcnt(0)
	v_lshrrev_b32_e32 v39, 16, v0
	v_lshrrev_b32_e32 v12, 16, v1
	;; [unrolled: 1-line block ×4, first 2 shown]
	s_and_saveexec_b32 s9, vcc_lo
	s_cbranch_execz .LBB205_1017
; %bb.1016:                             ;   in Loop: Header=BB205_31 Depth=1
	v_cmp_lt_i32_e64 s1, v176, v113
	s_delay_alu instid0(VALU_DEP_1) | instskip(SKIP_1) | instid1(VALU_DEP_1)
	v_cndmask_b32_e64 v0, 0, v0, s1
	v_cmp_lt_i32_e64 s1, v47, v113
	v_cndmask_b32_e64 v39, 0, v39, s1
	v_cmp_lt_i32_e64 s1, v46, v113
	s_delay_alu instid0(VALU_DEP_1) | instskip(SKIP_1) | instid1(VALU_DEP_1)
	v_cndmask_b32_e64 v1, 0, v1, s1
	v_cmp_lt_i32_e64 s1, v45, v113
	v_cndmask_b32_e64 v12, 0, v12, s1
	;; [unrolled: 5-line block ×4, first 2 shown]
.LBB205_1017:                           ;   in Loop: Header=BB205_31 Depth=1
	s_or_b32 exec_lo, exec_lo, s9
	v_lshlrev_b32_e32 v0, 16, v0
                                        ; implicit-def: $vgpr184
	s_delay_alu instid0(VALU_DEP_1) | instskip(NEXT) | instid1(VALU_DEP_1)
	v_mul_f32_e32 v0, v58, v0
	v_and_b32_e32 v69, 0x7f800000, v0
	s_delay_alu instid0(VALU_DEP_1) | instskip(NEXT) | instid1(VALU_DEP_1)
	v_cmp_ne_u32_e64 s1, 0x7f800000, v69
	s_and_saveexec_b32 s9, s1
	s_delay_alu instid0(SALU_CYCLE_1)
	s_xor_b32 s1, exec_lo, s9
; %bb.1018:                             ;   in Loop: Header=BB205_31 Depth=1
	v_bfe_u32 v69, v0, 16, 1
	s_delay_alu instid0(VALU_DEP_1)
	v_add3_u32 v184, v0, v69, 0x7fff
                                        ; implicit-def: $vgpr0
; %bb.1019:                             ;   in Loop: Header=BB205_31 Depth=1
	s_and_not1_saveexec_b32 s9, s1
; %bb.1020:                             ;   in Loop: Header=BB205_31 Depth=1
	v_and_b32_e32 v69, 0xffff, v0
	v_or_b32_e32 v70, 0x10000, v0
	s_delay_alu instid0(VALU_DEP_2) | instskip(NEXT) | instid1(VALU_DEP_1)
	v_cmp_eq_u32_e64 s1, 0, v69
	v_cndmask_b32_e64 v184, v70, v0, s1
; %bb.1021:                             ;   in Loop: Header=BB205_31 Depth=1
	s_or_b32 exec_lo, exec_lo, s9
	v_lshlrev_b32_e32 v0, 16, v39
                                        ; implicit-def: $vgpr185
	s_delay_alu instid0(VALU_DEP_1) | instskip(NEXT) | instid1(VALU_DEP_1)
	v_mul_f32_e32 v0, v59, v0
	v_and_b32_e32 v39, 0x7f800000, v0
	s_delay_alu instid0(VALU_DEP_1) | instskip(NEXT) | instid1(VALU_DEP_1)
	v_cmp_ne_u32_e64 s1, 0x7f800000, v39
	s_and_saveexec_b32 s9, s1
	s_delay_alu instid0(SALU_CYCLE_1)
	s_xor_b32 s1, exec_lo, s9
; %bb.1022:                             ;   in Loop: Header=BB205_31 Depth=1
	v_bfe_u32 v39, v0, 16, 1
	s_delay_alu instid0(VALU_DEP_1)
	v_add3_u32 v185, v0, v39, 0x7fff
                                        ; implicit-def: $vgpr0
; %bb.1023:                             ;   in Loop: Header=BB205_31 Depth=1
	s_and_not1_saveexec_b32 s9, s1
; %bb.1024:                             ;   in Loop: Header=BB205_31 Depth=1
	v_and_b32_e32 v39, 0xffff, v0
	v_or_b32_e32 v69, 0x10000, v0
	s_delay_alu instid0(VALU_DEP_2) | instskip(NEXT) | instid1(VALU_DEP_1)
	v_cmp_eq_u32_e64 s1, 0, v39
	v_cndmask_b32_e64 v185, v69, v0, s1
; %bb.1025:                             ;   in Loop: Header=BB205_31 Depth=1
	s_or_b32 exec_lo, exec_lo, s9
	v_lshlrev_b32_e32 v0, 16, v1
                                        ; implicit-def: $vgpr186
	s_delay_alu instid0(VALU_DEP_1) | instskip(NEXT) | instid1(VALU_DEP_1)
	v_mul_f32_e32 v0, v60, v0
	v_and_b32_e32 v1, 0x7f800000, v0
	s_delay_alu instid0(VALU_DEP_1) | instskip(NEXT) | instid1(VALU_DEP_1)
	v_cmp_ne_u32_e64 s1, 0x7f800000, v1
	s_and_saveexec_b32 s9, s1
	s_delay_alu instid0(SALU_CYCLE_1)
	s_xor_b32 s1, exec_lo, s9
; %bb.1026:                             ;   in Loop: Header=BB205_31 Depth=1
	v_bfe_u32 v1, v0, 16, 1
	s_delay_alu instid0(VALU_DEP_1)
	v_add3_u32 v186, v0, v1, 0x7fff
                                        ; implicit-def: $vgpr0
; %bb.1027:                             ;   in Loop: Header=BB205_31 Depth=1
	s_and_not1_saveexec_b32 s9, s1
; %bb.1028:                             ;   in Loop: Header=BB205_31 Depth=1
	v_and_b32_e32 v1, 0xffff, v0
	v_or_b32_e32 v39, 0x10000, v0
	s_delay_alu instid0(VALU_DEP_2) | instskip(NEXT) | instid1(VALU_DEP_1)
	v_cmp_eq_u32_e64 s1, 0, v1
	v_cndmask_b32_e64 v186, v39, v0, s1
; %bb.1029:                             ;   in Loop: Header=BB205_31 Depth=1
	s_or_b32 exec_lo, exec_lo, s9
	v_lshlrev_b32_e32 v0, 16, v12
                                        ; implicit-def: $vgpr187
	s_delay_alu instid0(VALU_DEP_1) | instskip(NEXT) | instid1(VALU_DEP_1)
	v_mul_f32_e32 v0, v61, v0
	v_and_b32_e32 v1, 0x7f800000, v0
	s_delay_alu instid0(VALU_DEP_1) | instskip(NEXT) | instid1(VALU_DEP_1)
	v_cmp_ne_u32_e64 s1, 0x7f800000, v1
	s_and_saveexec_b32 s9, s1
	s_delay_alu instid0(SALU_CYCLE_1)
	s_xor_b32 s1, exec_lo, s9
; %bb.1030:                             ;   in Loop: Header=BB205_31 Depth=1
	v_bfe_u32 v1, v0, 16, 1
	s_delay_alu instid0(VALU_DEP_1)
	v_add3_u32 v187, v0, v1, 0x7fff
                                        ; implicit-def: $vgpr0
; %bb.1031:                             ;   in Loop: Header=BB205_31 Depth=1
	s_and_not1_saveexec_b32 s9, s1
; %bb.1032:                             ;   in Loop: Header=BB205_31 Depth=1
	v_and_b32_e32 v1, 0xffff, v0
	v_or_b32_e32 v12, 0x10000, v0
	s_delay_alu instid0(VALU_DEP_2) | instskip(NEXT) | instid1(VALU_DEP_1)
	v_cmp_eq_u32_e64 s1, 0, v1
	v_cndmask_b32_e64 v187, v12, v0, s1
; %bb.1033:                             ;   in Loop: Header=BB205_31 Depth=1
	s_or_b32 exec_lo, exec_lo, s9
	v_lshlrev_b32_e32 v0, 16, v2
                                        ; implicit-def: $vgpr188
	s_delay_alu instid0(VALU_DEP_1) | instskip(NEXT) | instid1(VALU_DEP_1)
	v_mul_f32_e32 v0, v62, v0
	v_and_b32_e32 v1, 0x7f800000, v0
	s_delay_alu instid0(VALU_DEP_1) | instskip(NEXT) | instid1(VALU_DEP_1)
	v_cmp_ne_u32_e64 s1, 0x7f800000, v1
	s_and_saveexec_b32 s9, s1
	s_delay_alu instid0(SALU_CYCLE_1)
	s_xor_b32 s1, exec_lo, s9
; %bb.1034:                             ;   in Loop: Header=BB205_31 Depth=1
	v_bfe_u32 v1, v0, 16, 1
	s_delay_alu instid0(VALU_DEP_1)
	v_add3_u32 v188, v0, v1, 0x7fff
                                        ; implicit-def: $vgpr0
; %bb.1035:                             ;   in Loop: Header=BB205_31 Depth=1
	s_and_not1_saveexec_b32 s9, s1
; %bb.1036:                             ;   in Loop: Header=BB205_31 Depth=1
	v_and_b32_e32 v1, 0xffff, v0
	v_or_b32_e32 v2, 0x10000, v0
	s_delay_alu instid0(VALU_DEP_2) | instskip(NEXT) | instid1(VALU_DEP_1)
	v_cmp_eq_u32_e64 s1, 0, v1
	v_cndmask_b32_e64 v188, v2, v0, s1
; %bb.1037:                             ;   in Loop: Header=BB205_31 Depth=1
	s_or_b32 exec_lo, exec_lo, s9
	v_lshlrev_b32_e32 v0, 16, v5
                                        ; implicit-def: $vgpr189
	s_delay_alu instid0(VALU_DEP_1) | instskip(NEXT) | instid1(VALU_DEP_1)
	v_mul_f32_e32 v0, v63, v0
	v_and_b32_e32 v1, 0x7f800000, v0
	s_delay_alu instid0(VALU_DEP_1) | instskip(NEXT) | instid1(VALU_DEP_1)
	v_cmp_ne_u32_e64 s1, 0x7f800000, v1
	s_and_saveexec_b32 s9, s1
	s_delay_alu instid0(SALU_CYCLE_1)
	s_xor_b32 s1, exec_lo, s9
; %bb.1038:                             ;   in Loop: Header=BB205_31 Depth=1
	v_bfe_u32 v1, v0, 16, 1
	s_delay_alu instid0(VALU_DEP_1)
	v_add3_u32 v189, v0, v1, 0x7fff
                                        ; implicit-def: $vgpr0
; %bb.1039:                             ;   in Loop: Header=BB205_31 Depth=1
	s_and_not1_saveexec_b32 s9, s1
; %bb.1040:                             ;   in Loop: Header=BB205_31 Depth=1
	v_and_b32_e32 v1, 0xffff, v0
	v_or_b32_e32 v2, 0x10000, v0
	s_delay_alu instid0(VALU_DEP_2) | instskip(NEXT) | instid1(VALU_DEP_1)
	v_cmp_eq_u32_e64 s1, 0, v1
	v_cndmask_b32_e64 v189, v2, v0, s1
; %bb.1041:                             ;   in Loop: Header=BB205_31 Depth=1
	s_or_b32 exec_lo, exec_lo, s9
	v_lshlrev_b32_e32 v0, 16, v3
                                        ; implicit-def: $vgpr190
	s_delay_alu instid0(VALU_DEP_1) | instskip(NEXT) | instid1(VALU_DEP_1)
	v_mul_f32_e32 v0, v72, v0
	v_and_b32_e32 v1, 0x7f800000, v0
	s_delay_alu instid0(VALU_DEP_1) | instskip(NEXT) | instid1(VALU_DEP_1)
	v_cmp_ne_u32_e64 s1, 0x7f800000, v1
	s_and_saveexec_b32 s9, s1
	s_delay_alu instid0(SALU_CYCLE_1)
	s_xor_b32 s1, exec_lo, s9
; %bb.1042:                             ;   in Loop: Header=BB205_31 Depth=1
	v_bfe_u32 v1, v0, 16, 1
	s_delay_alu instid0(VALU_DEP_1)
	v_add3_u32 v190, v0, v1, 0x7fff
                                        ; implicit-def: $vgpr0
; %bb.1043:                             ;   in Loop: Header=BB205_31 Depth=1
	s_and_not1_saveexec_b32 s9, s1
; %bb.1044:                             ;   in Loop: Header=BB205_31 Depth=1
	v_and_b32_e32 v1, 0xffff, v0
	v_or_b32_e32 v2, 0x10000, v0
	s_delay_alu instid0(VALU_DEP_2) | instskip(NEXT) | instid1(VALU_DEP_1)
	v_cmp_eq_u32_e64 s1, 0, v1
	v_cndmask_b32_e64 v190, v2, v0, s1
; %bb.1045:                             ;   in Loop: Header=BB205_31 Depth=1
	s_or_b32 exec_lo, exec_lo, s9
	v_lshlrev_b32_e32 v0, 16, v4
                                        ; implicit-def: $vgpr191
	s_delay_alu instid0(VALU_DEP_1) | instskip(NEXT) | instid1(VALU_DEP_1)
	v_mul_f32_e32 v0, v73, v0
	v_and_b32_e32 v1, 0x7f800000, v0
	s_delay_alu instid0(VALU_DEP_1) | instskip(NEXT) | instid1(VALU_DEP_1)
	v_cmp_ne_u32_e64 s1, 0x7f800000, v1
	s_and_saveexec_b32 s9, s1
	s_delay_alu instid0(SALU_CYCLE_1)
	s_xor_b32 s1, exec_lo, s9
; %bb.1046:                             ;   in Loop: Header=BB205_31 Depth=1
	v_bfe_u32 v1, v0, 16, 1
	s_delay_alu instid0(VALU_DEP_1)
	v_add3_u32 v191, v0, v1, 0x7fff
                                        ; implicit-def: $vgpr0
; %bb.1047:                             ;   in Loop: Header=BB205_31 Depth=1
	s_and_not1_saveexec_b32 s9, s1
; %bb.1048:                             ;   in Loop: Header=BB205_31 Depth=1
	v_and_b32_e32 v1, 0xffff, v0
	v_or_b32_e32 v2, 0x10000, v0
	s_delay_alu instid0(VALU_DEP_2) | instskip(NEXT) | instid1(VALU_DEP_1)
	v_cmp_eq_u32_e64 s1, 0, v1
	v_cndmask_b32_e64 v191, v2, v0, s1
; %bb.1049:                             ;   in Loop: Header=BB205_31 Depth=1
	s_or_b32 exec_lo, exec_lo, s9
	scratch_load_b32 v0, off, s32 offset:896 ; 4-byte Folded Reload
	s_waitcnt vmcnt(0)
	v_add_co_u32 v0, s1, v56, v0
	s_delay_alu instid0(VALU_DEP_1)
	v_add_co_ci_u32_e64 v1, s1, 0, v57, s1
	flat_load_b128 v[0:3], v[0:1]
	s_waitcnt vmcnt(0) lgkmcnt(0)
	v_lshrrev_b32_e32 v4, 16, v0
	v_lshrrev_b32_e32 v12, 16, v1
	;; [unrolled: 1-line block ×4, first 2 shown]
	s_and_saveexec_b32 s9, vcc_lo
	s_cbranch_execz .LBB205_1051
; %bb.1050:                             ;   in Loop: Header=BB205_31 Depth=1
	v_cmp_lt_i32_e64 s1, v176, v113
	s_delay_alu instid0(VALU_DEP_1) | instskip(SKIP_1) | instid1(VALU_DEP_1)
	v_cndmask_b32_e64 v0, 0, v0, s1
	v_cmp_lt_i32_e64 s1, v47, v113
	v_cndmask_b32_e64 v4, 0, v4, s1
	v_cmp_lt_i32_e64 s1, v46, v113
	s_delay_alu instid0(VALU_DEP_1) | instskip(SKIP_1) | instid1(VALU_DEP_1)
	v_cndmask_b32_e64 v1, 0, v1, s1
	v_cmp_lt_i32_e64 s1, v45, v113
	v_cndmask_b32_e64 v12, 0, v12, s1
	;; [unrolled: 5-line block ×4, first 2 shown]
.LBB205_1051:                           ;   in Loop: Header=BB205_31 Depth=1
	s_or_b32 exec_lo, exec_lo, s9
	v_lshlrev_b32_e32 v0, 16, v0
                                        ; implicit-def: $vgpr39
	s_delay_alu instid0(VALU_DEP_1) | instskip(NEXT) | instid1(VALU_DEP_1)
	v_mul_f32_e32 v0, v58, v0
	v_and_b32_e32 v5, 0x7f800000, v0
	s_delay_alu instid0(VALU_DEP_1) | instskip(NEXT) | instid1(VALU_DEP_1)
	v_cmp_ne_u32_e64 s1, 0x7f800000, v5
	s_and_saveexec_b32 s9, s1
	s_delay_alu instid0(SALU_CYCLE_1)
	s_xor_b32 s1, exec_lo, s9
; %bb.1052:                             ;   in Loop: Header=BB205_31 Depth=1
	v_bfe_u32 v5, v0, 16, 1
	s_delay_alu instid0(VALU_DEP_1)
	v_add3_u32 v39, v0, v5, 0x7fff
                                        ; implicit-def: $vgpr0
; %bb.1053:                             ;   in Loop: Header=BB205_31 Depth=1
	s_and_not1_saveexec_b32 s9, s1
; %bb.1054:                             ;   in Loop: Header=BB205_31 Depth=1
	v_and_b32_e32 v5, 0xffff, v0
	v_or_b32_e32 v39, 0x10000, v0
	s_delay_alu instid0(VALU_DEP_2) | instskip(NEXT) | instid1(VALU_DEP_1)
	v_cmp_eq_u32_e64 s1, 0, v5
	v_cndmask_b32_e64 v39, v39, v0, s1
; %bb.1055:                             ;   in Loop: Header=BB205_31 Depth=1
	s_or_b32 exec_lo, exec_lo, s9
	v_lshlrev_b32_e32 v0, 16, v4
                                        ; implicit-def: $vgpr5
	s_delay_alu instid0(VALU_DEP_1) | instskip(NEXT) | instid1(VALU_DEP_1)
	v_mul_f32_e32 v0, v59, v0
	v_and_b32_e32 v4, 0x7f800000, v0
	s_delay_alu instid0(VALU_DEP_1) | instskip(NEXT) | instid1(VALU_DEP_1)
	v_cmp_ne_u32_e64 s1, 0x7f800000, v4
	s_and_saveexec_b32 s9, s1
	s_delay_alu instid0(SALU_CYCLE_1)
	s_xor_b32 s1, exec_lo, s9
; %bb.1056:                             ;   in Loop: Header=BB205_31 Depth=1
	v_bfe_u32 v4, v0, 16, 1
	s_delay_alu instid0(VALU_DEP_1)
	v_add3_u32 v5, v0, v4, 0x7fff
                                        ; implicit-def: $vgpr0
; %bb.1057:                             ;   in Loop: Header=BB205_31 Depth=1
	s_and_not1_saveexec_b32 s9, s1
; %bb.1058:                             ;   in Loop: Header=BB205_31 Depth=1
	v_and_b32_e32 v4, 0xffff, v0
	v_or_b32_e32 v5, 0x10000, v0
	s_delay_alu instid0(VALU_DEP_2) | instskip(NEXT) | instid1(VALU_DEP_1)
	v_cmp_eq_u32_e64 s1, 0, v4
	v_cndmask_b32_e64 v5, v5, v0, s1
; %bb.1059:                             ;   in Loop: Header=BB205_31 Depth=1
	s_or_b32 exec_lo, exec_lo, s9
	v_lshlrev_b32_e32 v0, 16, v1
                                        ; implicit-def: $vgpr4
	s_delay_alu instid0(VALU_DEP_1) | instskip(NEXT) | instid1(VALU_DEP_1)
	v_mul_f32_e32 v0, v60, v0
	v_and_b32_e32 v1, 0x7f800000, v0
	s_delay_alu instid0(VALU_DEP_1) | instskip(NEXT) | instid1(VALU_DEP_1)
	v_cmp_ne_u32_e64 s1, 0x7f800000, v1
	s_and_saveexec_b32 s9, s1
	s_delay_alu instid0(SALU_CYCLE_1)
	s_xor_b32 s1, exec_lo, s9
; %bb.1060:                             ;   in Loop: Header=BB205_31 Depth=1
	v_bfe_u32 v1, v0, 16, 1
	s_delay_alu instid0(VALU_DEP_1)
	v_add3_u32 v4, v0, v1, 0x7fff
                                        ; implicit-def: $vgpr0
; %bb.1061:                             ;   in Loop: Header=BB205_31 Depth=1
	s_and_not1_saveexec_b32 s9, s1
; %bb.1062:                             ;   in Loop: Header=BB205_31 Depth=1
	v_and_b32_e32 v1, 0xffff, v0
	v_or_b32_e32 v4, 0x10000, v0
	s_delay_alu instid0(VALU_DEP_2) | instskip(NEXT) | instid1(VALU_DEP_1)
	v_cmp_eq_u32_e64 s1, 0, v1
	v_cndmask_b32_e64 v4, v4, v0, s1
; %bb.1063:                             ;   in Loop: Header=BB205_31 Depth=1
	s_or_b32 exec_lo, exec_lo, s9
	v_lshlrev_b32_e32 v0, 16, v12
                                        ; implicit-def: $vgpr112
	s_delay_alu instid0(VALU_DEP_1) | instskip(NEXT) | instid1(VALU_DEP_1)
	v_mul_f32_e32 v0, v61, v0
	v_and_b32_e32 v1, 0x7f800000, v0
	s_delay_alu instid0(VALU_DEP_1) | instskip(NEXT) | instid1(VALU_DEP_1)
	v_cmp_ne_u32_e64 s1, 0x7f800000, v1
	s_and_saveexec_b32 s9, s1
	s_delay_alu instid0(SALU_CYCLE_1)
	s_xor_b32 s1, exec_lo, s9
; %bb.1064:                             ;   in Loop: Header=BB205_31 Depth=1
	v_bfe_u32 v1, v0, 16, 1
	s_delay_alu instid0(VALU_DEP_1)
	v_add3_u32 v112, v0, v1, 0x7fff
                                        ; implicit-def: $vgpr0
; %bb.1065:                             ;   in Loop: Header=BB205_31 Depth=1
	s_and_not1_saveexec_b32 s9, s1
; %bb.1066:                             ;   in Loop: Header=BB205_31 Depth=1
	v_and_b32_e32 v1, 0xffff, v0
	v_or_b32_e32 v12, 0x10000, v0
	s_delay_alu instid0(VALU_DEP_2) | instskip(NEXT) | instid1(VALU_DEP_1)
	v_cmp_eq_u32_e64 s1, 0, v1
	v_cndmask_b32_e64 v112, v12, v0, s1
; %bb.1067:                             ;   in Loop: Header=BB205_31 Depth=1
	s_or_b32 exec_lo, exec_lo, s9
	v_lshlrev_b32_e32 v0, 16, v2
                                        ; implicit-def: $vgpr12
	s_delay_alu instid0(VALU_DEP_1) | instskip(NEXT) | instid1(VALU_DEP_1)
	v_mul_f32_e32 v0, v62, v0
	v_and_b32_e32 v1, 0x7f800000, v0
	s_delay_alu instid0(VALU_DEP_1) | instskip(NEXT) | instid1(VALU_DEP_1)
	v_cmp_ne_u32_e64 s1, 0x7f800000, v1
	s_and_saveexec_b32 s9, s1
	s_delay_alu instid0(SALU_CYCLE_1)
	s_xor_b32 s1, exec_lo, s9
; %bb.1068:                             ;   in Loop: Header=BB205_31 Depth=1
	v_bfe_u32 v1, v0, 16, 1
	s_delay_alu instid0(VALU_DEP_1)
	v_add3_u32 v12, v0, v1, 0x7fff
                                        ; implicit-def: $vgpr0
; %bb.1069:                             ;   in Loop: Header=BB205_31 Depth=1
	s_and_not1_saveexec_b32 s9, s1
; %bb.1070:                             ;   in Loop: Header=BB205_31 Depth=1
	v_and_b32_e32 v1, 0xffff, v0
	v_or_b32_e32 v2, 0x10000, v0
	s_delay_alu instid0(VALU_DEP_2) | instskip(NEXT) | instid1(VALU_DEP_1)
	v_cmp_eq_u32_e64 s1, 0, v1
	v_cndmask_b32_e64 v12, v2, v0, s1
; %bb.1071:                             ;   in Loop: Header=BB205_31 Depth=1
	s_or_b32 exec_lo, exec_lo, s9
	v_lshlrev_b32_e32 v0, 16, v69
                                        ; implicit-def: $vgpr69
	s_delay_alu instid0(VALU_DEP_1) | instskip(NEXT) | instid1(VALU_DEP_1)
	v_mul_f32_e32 v0, v63, v0
	v_and_b32_e32 v1, 0x7f800000, v0
	s_delay_alu instid0(VALU_DEP_1) | instskip(NEXT) | instid1(VALU_DEP_1)
	v_cmp_ne_u32_e64 s1, 0x7f800000, v1
	s_and_saveexec_b32 s9, s1
	s_delay_alu instid0(SALU_CYCLE_1)
	s_xor_b32 s1, exec_lo, s9
; %bb.1072:                             ;   in Loop: Header=BB205_31 Depth=1
	v_bfe_u32 v1, v0, 16, 1
	s_delay_alu instid0(VALU_DEP_1)
	v_add3_u32 v69, v0, v1, 0x7fff
                                        ; implicit-def: $vgpr0
; %bb.1073:                             ;   in Loop: Header=BB205_31 Depth=1
	s_and_not1_saveexec_b32 s9, s1
; %bb.1074:                             ;   in Loop: Header=BB205_31 Depth=1
	v_and_b32_e32 v1, 0xffff, v0
	v_or_b32_e32 v2, 0x10000, v0
	s_delay_alu instid0(VALU_DEP_2) | instskip(NEXT) | instid1(VALU_DEP_1)
	v_cmp_eq_u32_e64 s1, 0, v1
	v_cndmask_b32_e64 v69, v2, v0, s1
; %bb.1075:                             ;   in Loop: Header=BB205_31 Depth=1
	s_or_b32 exec_lo, exec_lo, s9
	v_lshlrev_b32_e32 v0, 16, v3
                                        ; implicit-def: $vgpr70
	s_delay_alu instid0(VALU_DEP_1) | instskip(NEXT) | instid1(VALU_DEP_1)
	v_mul_f32_e32 v0, v72, v0
	v_and_b32_e32 v1, 0x7f800000, v0
	s_delay_alu instid0(VALU_DEP_1) | instskip(NEXT) | instid1(VALU_DEP_1)
	v_cmp_ne_u32_e64 s1, 0x7f800000, v1
	s_and_saveexec_b32 s9, s1
	s_delay_alu instid0(SALU_CYCLE_1)
	s_xor_b32 s1, exec_lo, s9
; %bb.1076:                             ;   in Loop: Header=BB205_31 Depth=1
	v_bfe_u32 v1, v0, 16, 1
	s_delay_alu instid0(VALU_DEP_1)
	v_add3_u32 v70, v0, v1, 0x7fff
                                        ; implicit-def: $vgpr0
; %bb.1077:                             ;   in Loop: Header=BB205_31 Depth=1
	s_and_not1_saveexec_b32 s9, s1
; %bb.1078:                             ;   in Loop: Header=BB205_31 Depth=1
	v_and_b32_e32 v1, 0xffff, v0
	v_or_b32_e32 v2, 0x10000, v0
	s_delay_alu instid0(VALU_DEP_2) | instskip(NEXT) | instid1(VALU_DEP_1)
	v_cmp_eq_u32_e64 s1, 0, v1
	v_cndmask_b32_e64 v70, v2, v0, s1
; %bb.1079:                             ;   in Loop: Header=BB205_31 Depth=1
	s_or_b32 exec_lo, exec_lo, s9
	v_lshlrev_b32_e32 v0, 16, v71
                                        ; implicit-def: $vgpr71
	s_delay_alu instid0(VALU_DEP_1) | instskip(NEXT) | instid1(VALU_DEP_1)
	v_mul_f32_e32 v0, v73, v0
	v_and_b32_e32 v1, 0x7f800000, v0
	s_delay_alu instid0(VALU_DEP_1) | instskip(NEXT) | instid1(VALU_DEP_1)
	v_cmp_ne_u32_e64 s1, 0x7f800000, v1
	s_and_saveexec_b32 s9, s1
	s_delay_alu instid0(SALU_CYCLE_1)
	s_xor_b32 s1, exec_lo, s9
; %bb.1080:                             ;   in Loop: Header=BB205_31 Depth=1
	v_bfe_u32 v1, v0, 16, 1
	s_delay_alu instid0(VALU_DEP_1)
	v_add3_u32 v71, v0, v1, 0x7fff
                                        ; implicit-def: $vgpr0
; %bb.1081:                             ;   in Loop: Header=BB205_31 Depth=1
	s_and_not1_saveexec_b32 s9, s1
; %bb.1082:                             ;   in Loop: Header=BB205_31 Depth=1
	v_and_b32_e32 v1, 0xffff, v0
	v_or_b32_e32 v2, 0x10000, v0
	s_delay_alu instid0(VALU_DEP_2) | instskip(NEXT) | instid1(VALU_DEP_1)
	v_cmp_eq_u32_e64 s1, 0, v1
	v_cndmask_b32_e64 v71, v2, v0, s1
; %bb.1083:                             ;   in Loop: Header=BB205_31 Depth=1
	s_or_b32 exec_lo, exec_lo, s9
	scratch_load_b32 v0, off, s32 offset:900 ; 4-byte Folded Reload
	s_waitcnt vmcnt(0)
	v_add_co_u32 v0, s1, v56, v0
	s_delay_alu instid0(VALU_DEP_1)
	v_add_co_ci_u32_e64 v1, s1, 0, v57, s1
	flat_load_b128 v[0:3], v[0:1]
	s_waitcnt vmcnt(0) lgkmcnt(0)
	v_lshrrev_b32_e32 v81, 16, v0
	v_lshrrev_b32_e32 v83, 16, v1
	;; [unrolled: 1-line block ×4, first 2 shown]
	s_and_saveexec_b32 s9, vcc_lo
	s_cbranch_execz .LBB205_1085
; %bb.1084:                             ;   in Loop: Header=BB205_31 Depth=1
	v_cmp_lt_i32_e64 s1, v176, v113
	s_delay_alu instid0(VALU_DEP_1) | instskip(SKIP_1) | instid1(VALU_DEP_1)
	v_cndmask_b32_e64 v0, 0, v0, s1
	v_cmp_lt_i32_e64 s1, v47, v113
	v_cndmask_b32_e64 v81, 0, v81, s1
	v_cmp_lt_i32_e64 s1, v46, v113
	s_delay_alu instid0(VALU_DEP_1) | instskip(SKIP_1) | instid1(VALU_DEP_1)
	v_cndmask_b32_e64 v1, 0, v1, s1
	v_cmp_lt_i32_e64 s1, v45, v113
	v_cndmask_b32_e64 v83, 0, v83, s1
	;; [unrolled: 5-line block ×4, first 2 shown]
.LBB205_1085:                           ;   in Loop: Header=BB205_31 Depth=1
	s_or_b32 exec_lo, exec_lo, s9
	v_lshlrev_b32_e32 v0, 16, v0
	s_delay_alu instid0(VALU_DEP_1) | instskip(NEXT) | instid1(VALU_DEP_1)
	v_mul_f32_e32 v0, v58, v0
	v_and_b32_e32 v80, 0x7f800000, v0
	s_delay_alu instid0(VALU_DEP_1) | instskip(NEXT) | instid1(VALU_DEP_1)
	v_cmp_ne_u32_e64 s1, 0x7f800000, v80
                                        ; implicit-def: $vgpr80
	s_and_saveexec_b32 s9, s1
	s_delay_alu instid0(SALU_CYCLE_1)
	s_xor_b32 s1, exec_lo, s9
; %bb.1086:                             ;   in Loop: Header=BB205_31 Depth=1
	v_bfe_u32 v80, v0, 16, 1
	s_delay_alu instid0(VALU_DEP_1)
	v_add3_u32 v80, v0, v80, 0x7fff
                                        ; implicit-def: $vgpr0
; %bb.1087:                             ;   in Loop: Header=BB205_31 Depth=1
	s_and_not1_saveexec_b32 s9, s1
; %bb.1088:                             ;   in Loop: Header=BB205_31 Depth=1
	v_and_b32_e32 v80, 0xffff, v0
	v_or_b32_e32 v82, 0x10000, v0
	s_delay_alu instid0(VALU_DEP_2) | instskip(NEXT) | instid1(VALU_DEP_1)
	v_cmp_eq_u32_e64 s1, 0, v80
	v_cndmask_b32_e64 v80, v82, v0, s1
; %bb.1089:                             ;   in Loop: Header=BB205_31 Depth=1
	s_or_b32 exec_lo, exec_lo, s9
	v_lshlrev_b32_e32 v0, 16, v81
	s_delay_alu instid0(VALU_DEP_1) | instskip(NEXT) | instid1(VALU_DEP_1)
	v_mul_f32_e32 v0, v59, v0
	v_and_b32_e32 v81, 0x7f800000, v0
	s_delay_alu instid0(VALU_DEP_1) | instskip(NEXT) | instid1(VALU_DEP_1)
	v_cmp_ne_u32_e64 s1, 0x7f800000, v81
                                        ; implicit-def: $vgpr81
	s_and_saveexec_b32 s9, s1
	s_delay_alu instid0(SALU_CYCLE_1)
	s_xor_b32 s1, exec_lo, s9
; %bb.1090:                             ;   in Loop: Header=BB205_31 Depth=1
	v_bfe_u32 v81, v0, 16, 1
	s_delay_alu instid0(VALU_DEP_1)
	v_add3_u32 v81, v0, v81, 0x7fff
                                        ; implicit-def: $vgpr0
; %bb.1091:                             ;   in Loop: Header=BB205_31 Depth=1
	s_and_not1_saveexec_b32 s9, s1
; %bb.1092:                             ;   in Loop: Header=BB205_31 Depth=1
	v_and_b32_e32 v81, 0xffff, v0
	v_or_b32_e32 v82, 0x10000, v0
	s_delay_alu instid0(VALU_DEP_2) | instskip(NEXT) | instid1(VALU_DEP_1)
	v_cmp_eq_u32_e64 s1, 0, v81
	v_cndmask_b32_e64 v81, v82, v0, s1
; %bb.1093:                             ;   in Loop: Header=BB205_31 Depth=1
	s_or_b32 exec_lo, exec_lo, s9
	v_lshlrev_b32_e32 v0, 16, v1
                                        ; implicit-def: $vgpr82
	s_delay_alu instid0(VALU_DEP_1) | instskip(NEXT) | instid1(VALU_DEP_1)
	v_mul_f32_e32 v0, v60, v0
	v_and_b32_e32 v1, 0x7f800000, v0
	s_delay_alu instid0(VALU_DEP_1) | instskip(NEXT) | instid1(VALU_DEP_1)
	v_cmp_ne_u32_e64 s1, 0x7f800000, v1
	s_and_saveexec_b32 s9, s1
	s_delay_alu instid0(SALU_CYCLE_1)
	s_xor_b32 s1, exec_lo, s9
; %bb.1094:                             ;   in Loop: Header=BB205_31 Depth=1
	v_bfe_u32 v1, v0, 16, 1
	s_delay_alu instid0(VALU_DEP_1)
	v_add3_u32 v82, v0, v1, 0x7fff
                                        ; implicit-def: $vgpr0
; %bb.1095:                             ;   in Loop: Header=BB205_31 Depth=1
	s_and_not1_saveexec_b32 s9, s1
; %bb.1096:                             ;   in Loop: Header=BB205_31 Depth=1
	v_and_b32_e32 v1, 0xffff, v0
	v_or_b32_e32 v82, 0x10000, v0
	s_delay_alu instid0(VALU_DEP_2) | instskip(NEXT) | instid1(VALU_DEP_1)
	v_cmp_eq_u32_e64 s1, 0, v1
	v_cndmask_b32_e64 v82, v82, v0, s1
; %bb.1097:                             ;   in Loop: Header=BB205_31 Depth=1
	s_or_b32 exec_lo, exec_lo, s9
	v_lshlrev_b32_e32 v0, 16, v83
                                        ; implicit-def: $vgpr83
	s_delay_alu instid0(VALU_DEP_1) | instskip(NEXT) | instid1(VALU_DEP_1)
	v_mul_f32_e32 v0, v61, v0
	v_and_b32_e32 v1, 0x7f800000, v0
	s_delay_alu instid0(VALU_DEP_1) | instskip(NEXT) | instid1(VALU_DEP_1)
	v_cmp_ne_u32_e64 s1, 0x7f800000, v1
	s_and_saveexec_b32 s9, s1
	s_delay_alu instid0(SALU_CYCLE_1)
	s_xor_b32 s1, exec_lo, s9
; %bb.1098:                             ;   in Loop: Header=BB205_31 Depth=1
	v_bfe_u32 v1, v0, 16, 1
	s_delay_alu instid0(VALU_DEP_1)
	v_add3_u32 v83, v0, v1, 0x7fff
                                        ; implicit-def: $vgpr0
; %bb.1099:                             ;   in Loop: Header=BB205_31 Depth=1
	s_and_not1_saveexec_b32 s9, s1
; %bb.1100:                             ;   in Loop: Header=BB205_31 Depth=1
	v_and_b32_e32 v1, 0xffff, v0
	v_or_b32_e32 v83, 0x10000, v0
	s_delay_alu instid0(VALU_DEP_2) | instskip(NEXT) | instid1(VALU_DEP_1)
	v_cmp_eq_u32_e64 s1, 0, v1
	v_cndmask_b32_e64 v83, v83, v0, s1
; %bb.1101:                             ;   in Loop: Header=BB205_31 Depth=1
	s_or_b32 exec_lo, exec_lo, s9
	v_lshlrev_b32_e32 v0, 16, v2
                                        ; implicit-def: $vgpr84
	s_delay_alu instid0(VALU_DEP_1) | instskip(NEXT) | instid1(VALU_DEP_1)
	v_mul_f32_e32 v0, v62, v0
	v_and_b32_e32 v1, 0x7f800000, v0
	s_delay_alu instid0(VALU_DEP_1) | instskip(NEXT) | instid1(VALU_DEP_1)
	v_cmp_ne_u32_e64 s1, 0x7f800000, v1
	s_and_saveexec_b32 s9, s1
	s_delay_alu instid0(SALU_CYCLE_1)
	s_xor_b32 s1, exec_lo, s9
; %bb.1102:                             ;   in Loop: Header=BB205_31 Depth=1
	v_bfe_u32 v1, v0, 16, 1
	s_delay_alu instid0(VALU_DEP_1)
	v_add3_u32 v84, v0, v1, 0x7fff
                                        ; implicit-def: $vgpr0
; %bb.1103:                             ;   in Loop: Header=BB205_31 Depth=1
	s_and_not1_saveexec_b32 s9, s1
; %bb.1104:                             ;   in Loop: Header=BB205_31 Depth=1
	v_and_b32_e32 v1, 0xffff, v0
	v_or_b32_e32 v2, 0x10000, v0
	s_delay_alu instid0(VALU_DEP_2) | instskip(NEXT) | instid1(VALU_DEP_1)
	v_cmp_eq_u32_e64 s1, 0, v1
	v_cndmask_b32_e64 v84, v2, v0, s1
; %bb.1105:                             ;   in Loop: Header=BB205_31 Depth=1
	s_or_b32 exec_lo, exec_lo, s9
	v_lshlrev_b32_e32 v0, 16, v85
                                        ; implicit-def: $vgpr85
	s_delay_alu instid0(VALU_DEP_1) | instskip(NEXT) | instid1(VALU_DEP_1)
	v_mul_f32_e32 v0, v63, v0
	v_and_b32_e32 v1, 0x7f800000, v0
	s_delay_alu instid0(VALU_DEP_1) | instskip(NEXT) | instid1(VALU_DEP_1)
	v_cmp_ne_u32_e64 s1, 0x7f800000, v1
	s_and_saveexec_b32 s9, s1
	s_delay_alu instid0(SALU_CYCLE_1)
	s_xor_b32 s1, exec_lo, s9
; %bb.1106:                             ;   in Loop: Header=BB205_31 Depth=1
	v_bfe_u32 v1, v0, 16, 1
	s_delay_alu instid0(VALU_DEP_1)
	v_add3_u32 v85, v0, v1, 0x7fff
                                        ; implicit-def: $vgpr0
; %bb.1107:                             ;   in Loop: Header=BB205_31 Depth=1
	s_and_not1_saveexec_b32 s9, s1
; %bb.1108:                             ;   in Loop: Header=BB205_31 Depth=1
	v_and_b32_e32 v1, 0xffff, v0
	v_or_b32_e32 v2, 0x10000, v0
	s_delay_alu instid0(VALU_DEP_2) | instskip(NEXT) | instid1(VALU_DEP_1)
	v_cmp_eq_u32_e64 s1, 0, v1
	v_cndmask_b32_e64 v85, v2, v0, s1
; %bb.1109:                             ;   in Loop: Header=BB205_31 Depth=1
	s_or_b32 exec_lo, exec_lo, s9
	v_lshlrev_b32_e32 v0, 16, v3
                                        ; implicit-def: $vgpr86
	s_delay_alu instid0(VALU_DEP_1) | instskip(NEXT) | instid1(VALU_DEP_1)
	v_mul_f32_e32 v0, v72, v0
	v_and_b32_e32 v1, 0x7f800000, v0
	s_delay_alu instid0(VALU_DEP_1) | instskip(NEXT) | instid1(VALU_DEP_1)
	v_cmp_ne_u32_e64 s1, 0x7f800000, v1
	s_and_saveexec_b32 s9, s1
	s_delay_alu instid0(SALU_CYCLE_1)
	s_xor_b32 s1, exec_lo, s9
; %bb.1110:                             ;   in Loop: Header=BB205_31 Depth=1
	v_bfe_u32 v1, v0, 16, 1
	s_delay_alu instid0(VALU_DEP_1)
	v_add3_u32 v86, v0, v1, 0x7fff
                                        ; implicit-def: $vgpr0
; %bb.1111:                             ;   in Loop: Header=BB205_31 Depth=1
	s_and_not1_saveexec_b32 s9, s1
; %bb.1112:                             ;   in Loop: Header=BB205_31 Depth=1
	v_and_b32_e32 v1, 0xffff, v0
	v_or_b32_e32 v2, 0x10000, v0
	s_delay_alu instid0(VALU_DEP_2) | instskip(NEXT) | instid1(VALU_DEP_1)
	v_cmp_eq_u32_e64 s1, 0, v1
	v_cndmask_b32_e64 v86, v2, v0, s1
; %bb.1113:                             ;   in Loop: Header=BB205_31 Depth=1
	s_or_b32 exec_lo, exec_lo, s9
	v_lshlrev_b32_e32 v0, 16, v87
                                        ; implicit-def: $vgpr87
	s_delay_alu instid0(VALU_DEP_1) | instskip(NEXT) | instid1(VALU_DEP_1)
	v_mul_f32_e32 v0, v73, v0
	v_and_b32_e32 v1, 0x7f800000, v0
	s_delay_alu instid0(VALU_DEP_1) | instskip(NEXT) | instid1(VALU_DEP_1)
	v_cmp_ne_u32_e64 s1, 0x7f800000, v1
	s_and_saveexec_b32 s9, s1
	s_delay_alu instid0(SALU_CYCLE_1)
	s_xor_b32 s1, exec_lo, s9
; %bb.1114:                             ;   in Loop: Header=BB205_31 Depth=1
	v_bfe_u32 v1, v0, 16, 1
	s_delay_alu instid0(VALU_DEP_1)
	v_add3_u32 v87, v0, v1, 0x7fff
                                        ; implicit-def: $vgpr0
; %bb.1115:                             ;   in Loop: Header=BB205_31 Depth=1
	s_and_not1_saveexec_b32 s9, s1
; %bb.1116:                             ;   in Loop: Header=BB205_31 Depth=1
	v_and_b32_e32 v1, 0xffff, v0
	v_or_b32_e32 v2, 0x10000, v0
	s_delay_alu instid0(VALU_DEP_2) | instskip(NEXT) | instid1(VALU_DEP_1)
	v_cmp_eq_u32_e64 s1, 0, v1
	v_cndmask_b32_e64 v87, v2, v0, s1
; %bb.1117:                             ;   in Loop: Header=BB205_31 Depth=1
	s_or_b32 exec_lo, exec_lo, s9
	scratch_load_b32 v0, off, s32 offset:904 ; 4-byte Folded Reload
	s_waitcnt vmcnt(0)
	v_add_co_u32 v0, s1, v56, v0
	s_delay_alu instid0(VALU_DEP_1)
	v_add_co_ci_u32_e64 v1, s1, 0, v57, s1
	flat_load_b128 v[0:3], v[0:1]
	s_waitcnt vmcnt(0) lgkmcnt(0)
	v_lshrrev_b32_e32 v97, 16, v0
	v_lshrrev_b32_e32 v96, 16, v1
	;; [unrolled: 1-line block ×4, first 2 shown]
	s_and_saveexec_b32 s1, vcc_lo
	s_cbranch_execz .LBB205_1119
; %bb.1118:                             ;   in Loop: Header=BB205_31 Depth=1
	v_cmp_lt_i32_e32 vcc_lo, v176, v113
	v_cndmask_b32_e32 v0, 0, v0, vcc_lo
	v_cmp_lt_i32_e32 vcc_lo, v47, v113
	v_cndmask_b32_e32 v97, 0, v97, vcc_lo
	;; [unrolled: 2-line block ×8, first 2 shown]
.LBB205_1119:                           ;   in Loop: Header=BB205_31 Depth=1
	s_or_b32 exec_lo, exec_lo, s1
	v_lshlrev_b32_e32 v0, 16, v0
	s_delay_alu instid0(VALU_DEP_1) | instskip(NEXT) | instid1(VALU_DEP_1)
	v_mul_f32_e32 v176, v58, v0
	v_and_b32_e32 v0, 0x7f800000, v176
	s_delay_alu instid0(VALU_DEP_1) | instskip(SKIP_1) | instid1(SALU_CYCLE_1)
	v_cmp_ne_u32_e32 vcc_lo, 0x7f800000, v0
                                        ; implicit-def: $vgpr0
	s_and_saveexec_b32 s1, vcc_lo
	s_xor_b32 s1, exec_lo, s1
; %bb.1120:                             ;   in Loop: Header=BB205_31 Depth=1
	v_bfe_u32 v0, v176, 16, 1
	s_delay_alu instid0(VALU_DEP_1)
	v_add3_u32 v0, v176, v0, 0x7fff
                                        ; implicit-def: $vgpr176
; %bb.1121:                             ;   in Loop: Header=BB205_31 Depth=1
	s_and_not1_saveexec_b32 s1, s1
; %bb.1122:                             ;   in Loop: Header=BB205_31 Depth=1
	v_and_b32_e32 v0, 0xffff, v176
	v_or_b32_e32 v41, 0x10000, v176
	s_delay_alu instid0(VALU_DEP_2) | instskip(NEXT) | instid1(VALU_DEP_2)
	v_cmp_eq_u32_e32 vcc_lo, 0, v0
	v_cndmask_b32_e32 v0, v41, v176, vcc_lo
; %bb.1123:                             ;   in Loop: Header=BB205_31 Depth=1
	s_or_b32 exec_lo, exec_lo, s1
	v_lshlrev_b32_e32 v97, 16, v97
	s_delay_alu instid0(VALU_DEP_1) | instskip(NEXT) | instid1(VALU_DEP_1)
	v_mul_f32_e32 v97, v59, v97
	v_and_b32_e32 v176, 0x7f800000, v97
	s_delay_alu instid0(VALU_DEP_1) | instskip(SKIP_1) | instid1(SALU_CYCLE_1)
	v_cmp_ne_u32_e32 vcc_lo, 0x7f800000, v176
                                        ; implicit-def: $vgpr176
	s_and_saveexec_b32 s1, vcc_lo
	s_xor_b32 s1, exec_lo, s1
; %bb.1124:                             ;   in Loop: Header=BB205_31 Depth=1
	v_bfe_u32 v176, v97, 16, 1
	s_delay_alu instid0(VALU_DEP_1)
	v_add3_u32 v176, v97, v176, 0x7fff
                                        ; implicit-def: $vgpr97
; %bb.1125:                             ;   in Loop: Header=BB205_31 Depth=1
	s_and_not1_saveexec_b32 s1, s1
; %bb.1126:                             ;   in Loop: Header=BB205_31 Depth=1
	v_and_b32_e32 v176, 0xffff, v97
	v_or_b32_e32 v41, 0x10000, v97
	s_delay_alu instid0(VALU_DEP_2) | instskip(NEXT) | instid1(VALU_DEP_2)
	v_cmp_eq_u32_e32 vcc_lo, 0, v176
	v_cndmask_b32_e32 v176, v41, v97, vcc_lo
; %bb.1127:                             ;   in Loop: Header=BB205_31 Depth=1
	s_or_b32 exec_lo, exec_lo, s1
	v_lshlrev_b32_e32 v1, 16, v1
	s_delay_alu instid0(VALU_DEP_1) | instskip(NEXT) | instid1(VALU_DEP_1)
	v_mul_f32_e32 v97, v60, v1
	v_and_b32_e32 v1, 0x7f800000, v97
	s_delay_alu instid0(VALU_DEP_1) | instskip(SKIP_1) | instid1(SALU_CYCLE_1)
	v_cmp_ne_u32_e32 vcc_lo, 0x7f800000, v1
                                        ; implicit-def: $vgpr1
	s_and_saveexec_b32 s1, vcc_lo
	s_xor_b32 s1, exec_lo, s1
; %bb.1128:                             ;   in Loop: Header=BB205_31 Depth=1
	v_bfe_u32 v1, v97, 16, 1
	s_delay_alu instid0(VALU_DEP_1)
	v_add3_u32 v1, v97, v1, 0x7fff
                                        ; implicit-def: $vgpr97
; %bb.1129:                             ;   in Loop: Header=BB205_31 Depth=1
	s_and_not1_saveexec_b32 s1, s1
; %bb.1130:                             ;   in Loop: Header=BB205_31 Depth=1
	v_and_b32_e32 v1, 0xffff, v97
	v_or_b32_e32 v41, 0x10000, v97
	s_delay_alu instid0(VALU_DEP_2) | instskip(NEXT) | instid1(VALU_DEP_2)
	v_cmp_eq_u32_e32 vcc_lo, 0, v1
	v_cndmask_b32_e32 v1, v41, v97, vcc_lo
; %bb.1131:                             ;   in Loop: Header=BB205_31 Depth=1
	s_or_b32 exec_lo, exec_lo, s1
	v_lshlrev_b32_e32 v96, 16, v96
	s_mov_b32 s1, exec_lo
                                        ; implicit-def: $vgpr41
	s_delay_alu instid0(VALU_DEP_1) | instskip(NEXT) | instid1(VALU_DEP_1)
	v_mul_f32_e32 v96, v61, v96
	v_and_b32_e32 v97, 0x7f800000, v96
	s_delay_alu instid0(VALU_DEP_1)
	v_cmpx_ne_u32_e32 0x7f800000, v97
	s_xor_b32 s1, exec_lo, s1
; %bb.1132:                             ;   in Loop: Header=BB205_31 Depth=1
	v_bfe_u32 v97, v96, 16, 1
	s_delay_alu instid0(VALU_DEP_1)
	v_add3_u32 v41, v96, v97, 0x7fff
                                        ; implicit-def: $vgpr96
; %bb.1133:                             ;   in Loop: Header=BB205_31 Depth=1
	s_and_not1_saveexec_b32 s1, s1
; %bb.1134:                             ;   in Loop: Header=BB205_31 Depth=1
	v_and_b32_e32 v97, 0xffff, v96
	v_or_b32_e32 v41, 0x10000, v96
	s_delay_alu instid0(VALU_DEP_2) | instskip(NEXT) | instid1(VALU_DEP_2)
	v_cmp_eq_u32_e32 vcc_lo, 0, v97
	v_cndmask_b32_e32 v41, v41, v96, vcc_lo
; %bb.1135:                             ;   in Loop: Header=BB205_31 Depth=1
	s_or_b32 exec_lo, exec_lo, s1
	v_lshlrev_b32_e32 v2, 16, v2
	s_delay_alu instid0(VALU_DEP_1) | instskip(NEXT) | instid1(VALU_DEP_1)
	v_mul_f32_e32 v96, v62, v2
	v_and_b32_e32 v2, 0x7f800000, v96
	s_delay_alu instid0(VALU_DEP_1) | instskip(SKIP_1) | instid1(SALU_CYCLE_1)
	v_cmp_ne_u32_e32 vcc_lo, 0x7f800000, v2
                                        ; implicit-def: $vgpr2
	s_and_saveexec_b32 s1, vcc_lo
	s_xor_b32 s1, exec_lo, s1
; %bb.1136:                             ;   in Loop: Header=BB205_31 Depth=1
	v_bfe_u32 v2, v96, 16, 1
	s_delay_alu instid0(VALU_DEP_1)
	v_add3_u32 v2, v96, v2, 0x7fff
                                        ; implicit-def: $vgpr96
; %bb.1137:                             ;   in Loop: Header=BB205_31 Depth=1
	s_and_not1_saveexec_b32 s1, s1
; %bb.1138:                             ;   in Loop: Header=BB205_31 Depth=1
	v_and_b32_e32 v2, 0xffff, v96
	v_or_b32_e32 v97, 0x10000, v96
	s_delay_alu instid0(VALU_DEP_2) | instskip(NEXT) | instid1(VALU_DEP_2)
	v_cmp_eq_u32_e32 vcc_lo, 0, v2
	v_cndmask_b32_e32 v2, v97, v96, vcc_lo
; %bb.1139:                             ;   in Loop: Header=BB205_31 Depth=1
	s_or_b32 exec_lo, exec_lo, s1
	v_lshlrev_b32_e32 v96, 16, v57
	s_mov_b32 s1, exec_lo
                                        ; implicit-def: $vgpr42
	s_delay_alu instid0(VALU_DEP_1) | instskip(NEXT) | instid1(VALU_DEP_1)
	v_mul_f32_e32 v96, v63, v96
	v_and_b32_e32 v97, 0x7f800000, v96
	s_delay_alu instid0(VALU_DEP_1)
	v_cmpx_ne_u32_e32 0x7f800000, v97
	s_xor_b32 s1, exec_lo, s1
; %bb.1140:                             ;   in Loop: Header=BB205_31 Depth=1
	v_bfe_u32 v97, v96, 16, 1
	s_delay_alu instid0(VALU_DEP_1)
	v_add3_u32 v42, v96, v97, 0x7fff
                                        ; implicit-def: $vgpr96
; %bb.1141:                             ;   in Loop: Header=BB205_31 Depth=1
	s_and_not1_saveexec_b32 s1, s1
; %bb.1142:                             ;   in Loop: Header=BB205_31 Depth=1
	v_and_b32_e32 v97, 0xffff, v96
	v_or_b32_e32 v42, 0x10000, v96
	s_delay_alu instid0(VALU_DEP_2) | instskip(NEXT) | instid1(VALU_DEP_2)
	v_cmp_eq_u32_e32 vcc_lo, 0, v97
	v_cndmask_b32_e32 v42, v42, v96, vcc_lo
; %bb.1143:                             ;   in Loop: Header=BB205_31 Depth=1
	s_or_b32 exec_lo, exec_lo, s1
	v_lshlrev_b32_e32 v3, 16, v3
	s_delay_alu instid0(VALU_DEP_1) | instskip(NEXT) | instid1(VALU_DEP_1)
	v_mul_f32_e32 v96, v72, v3
	v_and_b32_e32 v3, 0x7f800000, v96
	s_delay_alu instid0(VALU_DEP_1) | instskip(SKIP_1) | instid1(SALU_CYCLE_1)
	v_cmp_ne_u32_e32 vcc_lo, 0x7f800000, v3
                                        ; implicit-def: $vgpr3
	s_and_saveexec_b32 s1, vcc_lo
	s_xor_b32 s1, exec_lo, s1
; %bb.1144:                             ;   in Loop: Header=BB205_31 Depth=1
	v_bfe_u32 v3, v96, 16, 1
	s_delay_alu instid0(VALU_DEP_1)
	v_add3_u32 v3, v96, v3, 0x7fff
                                        ; implicit-def: $vgpr96
; %bb.1145:                             ;   in Loop: Header=BB205_31 Depth=1
	s_and_not1_saveexec_b32 s1, s1
; %bb.1146:                             ;   in Loop: Header=BB205_31 Depth=1
	v_and_b32_e32 v3, 0xffff, v96
	v_or_b32_e32 v97, 0x10000, v96
	s_delay_alu instid0(VALU_DEP_2) | instskip(NEXT) | instid1(VALU_DEP_2)
	v_cmp_eq_u32_e32 vcc_lo, 0, v3
	v_cndmask_b32_e32 v3, v97, v96, vcc_lo
; %bb.1147:                             ;   in Loop: Header=BB205_31 Depth=1
	s_or_b32 exec_lo, exec_lo, s1
	v_lshlrev_b32_e32 v96, 16, v56
	s_mov_b32 s1, exec_lo
                                        ; implicit-def: $vgpr43
	s_delay_alu instid0(VALU_DEP_1) | instskip(NEXT) | instid1(VALU_DEP_1)
	v_mul_f32_e32 v96, v73, v96
	v_and_b32_e32 v97, 0x7f800000, v96
	s_delay_alu instid0(VALU_DEP_1)
	v_cmpx_ne_u32_e32 0x7f800000, v97
	s_xor_b32 s1, exec_lo, s1
; %bb.1148:                             ;   in Loop: Header=BB205_31 Depth=1
	v_bfe_u32 v97, v96, 16, 1
	s_delay_alu instid0(VALU_DEP_1)
	v_add3_u32 v43, v96, v97, 0x7fff
                                        ; implicit-def: $vgpr96
; %bb.1149:                             ;   in Loop: Header=BB205_31 Depth=1
	s_and_not1_saveexec_b32 s1, s1
	s_cbranch_execz .LBB205_30
; %bb.1150:                             ;   in Loop: Header=BB205_31 Depth=1
	v_and_b32_e32 v97, 0xffff, v96
	v_or_b32_e32 v43, 0x10000, v96
	s_delay_alu instid0(VALU_DEP_2) | instskip(NEXT) | instid1(VALU_DEP_2)
	v_cmp_eq_u32_e32 vcc_lo, 0, v97
	v_cndmask_b32_e32 v43, v43, v96, vcc_lo
	s_branch .LBB205_30
.LBB205_1151:
	s_or_b32 exec_lo, exec_lo, s4
	scratch_load_b32 v12, off, s32 offset:912 ; 4-byte Folded Reload
	v_dual_mov_b32 v0, s16 :: v_dual_mov_b32 v1, s17
.LBB205_1152:
	s_or_b32 exec_lo, exec_lo, s3
	s_delay_alu instid0(VALU_DEP_1)
	v_lshlrev_b64 v[0:1], 2, v[0:1]
	s_getpc_b64 s[8:9]
	s_add_u32 s8, s8, llvm.amdgcn.dynlds.offset.table@rel32@lo+4
	s_addc_u32 s9, s9, llvm.amdgcn.dynlds.offset.table@rel32@hi+12
	s_waitcnt vmcnt(0) lgkmcnt(0)
	s_waitcnt_vscnt null, 0x0
	s_barrier
	buffer_gl0_inv
	ds_bpermute_b32 v10, v12, v51
	v_add_co_u32 v0, vcc_lo, v0, s8
	v_add_co_ci_u32_e32 v1, vcc_lo, s9, v1, vcc_lo
	ds_bpermute_b32 v2, v12, v68
	ds_bpermute_b32 v3, v12, v67
	;; [unrolled: 1-line block ×3, first 2 shown]
	global_load_b32 v39, v[0:1], off
	v_mov_b32_e32 v1, v12
	ds_bpermute_b32 v0, v12, v66
	ds_bpermute_b32 v5, v12, v64
	;; [unrolled: 1-line block ×3, first 2 shown]
	scratch_load_b32 v98, off, s32 offset:948 ; 4-byte Folded Reload
	ds_bpermute_b32 v16, v1, v36
	ds_bpermute_b32 v69, v1, v32
	;; [unrolled: 1-line block ×20, first 2 shown]
	scratch_load_b32 v1, off, s32 offset:956 ; 4-byte Folded Reload
	s_waitcnt lgkmcnt(26)
	v_add_f32_e32 v10, v51, v10
	s_waitcnt lgkmcnt(19)
	v_add_f32_e32 v16, v36, v16
	s_waitcnt lgkmcnt(17)
	v_dual_add_f32 v36, v32, v69 :: v_dual_add_f32 v51, v26, v83
	scratch_load_b32 v26, off, s32 offset:908 ; 4-byte Folded Reload
	ds_bpermute_b32 v7, v12, v54
	ds_bpermute_b32 v8, v12, v53
	;; [unrolled: 1-line block ×5, first 2 shown]
	v_dual_add_f32 v0, v66, v0 :: v_dual_add_f32 v3, v67, v3
	v_dual_add_f32 v4, v65, v4 :: v_dual_add_f32 v5, v64, v5
	v_add_f32_e32 v6, v55, v6
	s_waitcnt lgkmcnt(19)
	v_dual_add_f32 v14, v38, v14 :: v_dual_add_f32 v15, v37, v15
	s_waitcnt lgkmcnt(16)
	v_add_f32_e32 v33, v33, v22
	v_add_f32_e32 v2, v68, v2
	;; [unrolled: 1-line block ×3, first 2 shown]
	v_dual_add_f32 v35, v35, v20 :: v_dual_add_f32 v34, v34, v21
	s_waitcnt lgkmcnt(14)
	v_dual_add_f32 v37, v31, v70 :: v_dual_add_f32 v38, v30, v71
	s_waitcnt lgkmcnt(7)
	v_dual_add_f32 v48, v29, v80 :: v_dual_add_f32 v55, v19, v87
	s_waitcnt lgkmcnt(2)
	v_dual_add_f32 v8, v53, v8 :: v_dual_add_f32 v9, v52, v9
	s_waitcnt lgkmcnt(0)
	v_dual_add_f32 v11, v50, v11 :: v_dual_add_f32 v12, v49, v12
	v_dual_add_f32 v52, v25, v84 :: v_dual_add_f32 v53, v24, v85
	v_add_f32_e32 v7, v54, v7
	v_dual_add_f32 v49, v28, v81 :: v_dual_add_f32 v50, v27, v82
	v_add_f32_e32 v65, v17, v97
	s_mov_b32 s1, exec_lo
	s_waitcnt vmcnt(2)
	v_and_b32_e32 v98, 0x3c3, v98
	s_waitcnt vmcnt(1)
	v_lshrrev_b32_e32 v1, 2, v1
	s_waitcnt vmcnt(0)
	ds_bpermute_b32 v19, v26, v3
	ds_bpermute_b32 v21, v26, v5
	;; [unrolled: 1-line block ×7, first 2 shown]
	v_add_f32_e32 v54, v23, v86
	v_add_f32_e32 v64, v18, v96
	ds_bpermute_b32 v17, v26, v0
	ds_bpermute_b32 v18, v26, v2
	;; [unrolled: 1-line block ×11, first 2 shown]
	s_waitcnt lgkmcnt(17)
	v_add_f32_e32 v31, v3, v19
	ds_bpermute_b32 v82, v26, v34
	ds_bpermute_b32 v84, v26, v36
	;; [unrolled: 1-line block ×13, first 2 shown]
	s_waitcnt lgkmcnt(29)
	v_add_f32_e32 v29, v5, v21
	ds_bpermute_b32 v102, v26, v54
	s_waitcnt lgkmcnt(17)
	v_dual_add_f32 v28, v6, v22 :: v_dual_add_f32 v21, v13, v69
	v_dual_add_f32 v26, v8, v24 :: v_dual_add_f32 v19, v15, v71
	;; [unrolled: 1-line block ×3, first 2 shown]
	scratch_load_b32 v33, off, s32 offset:952 ; 4-byte Folded Reload
	v_dual_add_f32 v0, v0, v17 :: v_dual_add_f32 v27, v7, v23
	v_dual_add_f32 v32, v2, v18 :: v_dual_add_f32 v25, v9, v25
	;; [unrolled: 1-line block ×3, first 2 shown]
	s_waitcnt lgkmcnt(14)
	v_dual_add_f32 v24, v10, v66 :: v_dual_add_f32 v17, v35, v81
	s_waitcnt lgkmcnt(11)
	v_dual_add_f32 v20, v14, v70 :: v_dual_add_f32 v13, v37, v85
	;; [unrolled: 2-line block ×3, first 2 shown]
	v_dual_add_f32 v16, v34, v82 :: v_dual_add_f32 v11, v48, v87
	s_waitcnt lgkmcnt(0)
	v_dual_add_f32 v14, v36, v84 :: v_dual_add_f32 v5, v54, v102
	v_dual_add_f32 v12, v38, v86 :: v_dual_add_f32 v7, v52, v100
	v_add_f32_e32 v10, v49, v96
	v_dual_add_f32 v8, v51, v99 :: v_dual_add_f32 v3, v64, v112
	v_add_f32_e32 v6, v53, v101
	v_add_f32_e32 v4, v55, v103
	v_add_f32_e32 v2, v65, v113
	s_waitcnt vmcnt(0)
	v_lshl_add_u32 v33, v33, 10, v39
	v_cmpx_eq_u32_e32 64, v98
	s_cbranch_execz .LBB205_1154
; %bb.1153:
	v_lshlrev_b32_e32 v34, 2, v1
	s_delay_alu instid0(VALU_DEP_1)
	v_add3_u32 v34, v33, v34, 0xfffff800
	ds_store_2addr_b32 v34, v0, v32 offset1:8
	ds_store_2addr_b32 v34, v31, v30 offset0:16 offset1:24
	ds_store_2addr_b32 v34, v29, v28 offset0:32 offset1:40
	;; [unrolled: 1-line block ×15, first 2 shown]
.LBB205_1154:
	s_or_b32 exec_lo, exec_lo, s1
	scratch_load_b32 v35, off, s32 offset:948 ; 4-byte Folded Reload
	s_mov_b32 s3, exec_lo
	s_waitcnt vmcnt(0) lgkmcnt(0)
	s_barrier
	buffer_gl0_inv
	v_and_b32_e32 v34, 3, v35
	s_delay_alu instid0(VALU_DEP_1)
	v_cmp_eq_u32_e32 vcc_lo, 0, v34
	v_cmpx_gt_u32_e32 64, v35
	s_cbranch_execz .LBB205_1189
; %bb.1155:
	s_and_saveexec_b32 s1, vcc_lo
	s_cbranch_execnz .LBB205_1358
; %bb.1156:
	s_or_b32 exec_lo, exec_lo, s1
	s_and_saveexec_b32 s1, vcc_lo
	s_cbranch_execnz .LBB205_1359
.LBB205_1157:
	s_or_b32 exec_lo, exec_lo, s1
	s_and_saveexec_b32 s1, vcc_lo
	s_cbranch_execnz .LBB205_1360
.LBB205_1158:
	s_or_b32 exec_lo, exec_lo, s1
	s_and_saveexec_b32 s1, vcc_lo
	s_cbranch_execnz .LBB205_1361
.LBB205_1159:
	s_or_b32 exec_lo, exec_lo, s1
	s_and_saveexec_b32 s1, vcc_lo
	s_cbranch_execnz .LBB205_1362
.LBB205_1160:
	s_or_b32 exec_lo, exec_lo, s1
	s_and_saveexec_b32 s1, vcc_lo
	s_cbranch_execnz .LBB205_1363
.LBB205_1161:
	s_or_b32 exec_lo, exec_lo, s1
	s_and_saveexec_b32 s1, vcc_lo
	s_cbranch_execnz .LBB205_1364
.LBB205_1162:
	s_or_b32 exec_lo, exec_lo, s1
	s_and_saveexec_b32 s1, vcc_lo
	s_cbranch_execnz .LBB205_1365
.LBB205_1163:
	s_or_b32 exec_lo, exec_lo, s1
	s_and_saveexec_b32 s1, vcc_lo
	s_cbranch_execnz .LBB205_1366
.LBB205_1164:
	s_or_b32 exec_lo, exec_lo, s1
	s_and_saveexec_b32 s1, vcc_lo
	s_cbranch_execnz .LBB205_1367
.LBB205_1165:
	s_or_b32 exec_lo, exec_lo, s1
	s_and_saveexec_b32 s1, vcc_lo
	s_cbranch_execnz .LBB205_1368
.LBB205_1166:
	s_or_b32 exec_lo, exec_lo, s1
	s_and_saveexec_b32 s1, vcc_lo
	s_cbranch_execnz .LBB205_1369
.LBB205_1167:
	s_or_b32 exec_lo, exec_lo, s1
	s_and_saveexec_b32 s1, vcc_lo
	s_cbranch_execnz .LBB205_1370
.LBB205_1168:
	s_or_b32 exec_lo, exec_lo, s1
	s_and_saveexec_b32 s1, vcc_lo
	s_cbranch_execnz .LBB205_1371
.LBB205_1169:
	s_or_b32 exec_lo, exec_lo, s1
	s_and_saveexec_b32 s1, vcc_lo
	s_cbranch_execnz .LBB205_1372
.LBB205_1170:
	s_or_b32 exec_lo, exec_lo, s1
	s_and_saveexec_b32 s1, vcc_lo
	s_cbranch_execnz .LBB205_1373
.LBB205_1171:
	s_or_b32 exec_lo, exec_lo, s1
	s_and_saveexec_b32 s1, vcc_lo
	s_cbranch_execnz .LBB205_1374
.LBB205_1172:
	s_or_b32 exec_lo, exec_lo, s1
	s_and_saveexec_b32 s1, vcc_lo
	s_cbranch_execnz .LBB205_1375
.LBB205_1173:
	s_or_b32 exec_lo, exec_lo, s1
	s_and_saveexec_b32 s1, vcc_lo
	s_cbranch_execnz .LBB205_1376
.LBB205_1174:
	s_or_b32 exec_lo, exec_lo, s1
	s_and_saveexec_b32 s1, vcc_lo
	s_cbranch_execnz .LBB205_1377
.LBB205_1175:
	s_or_b32 exec_lo, exec_lo, s1
	s_and_saveexec_b32 s1, vcc_lo
	s_cbranch_execnz .LBB205_1378
.LBB205_1176:
	s_or_b32 exec_lo, exec_lo, s1
	s_and_saveexec_b32 s1, vcc_lo
	s_cbranch_execnz .LBB205_1379
.LBB205_1177:
	s_or_b32 exec_lo, exec_lo, s1
	s_and_saveexec_b32 s1, vcc_lo
	s_cbranch_execnz .LBB205_1380
.LBB205_1178:
	s_or_b32 exec_lo, exec_lo, s1
	s_and_saveexec_b32 s1, vcc_lo
	s_cbranch_execnz .LBB205_1381
.LBB205_1179:
	s_or_b32 exec_lo, exec_lo, s1
	s_and_saveexec_b32 s1, vcc_lo
	s_cbranch_execnz .LBB205_1382
.LBB205_1180:
	s_or_b32 exec_lo, exec_lo, s1
	s_and_saveexec_b32 s1, vcc_lo
	s_cbranch_execnz .LBB205_1383
.LBB205_1181:
	s_or_b32 exec_lo, exec_lo, s1
	s_and_saveexec_b32 s1, vcc_lo
	s_cbranch_execnz .LBB205_1384
.LBB205_1182:
	s_or_b32 exec_lo, exec_lo, s1
	s_and_saveexec_b32 s1, vcc_lo
	s_cbranch_execnz .LBB205_1385
.LBB205_1183:
	s_or_b32 exec_lo, exec_lo, s1
	s_and_saveexec_b32 s1, vcc_lo
	s_cbranch_execnz .LBB205_1386
.LBB205_1184:
	s_or_b32 exec_lo, exec_lo, s1
	s_and_saveexec_b32 s1, vcc_lo
	s_cbranch_execnz .LBB205_1387
.LBB205_1185:
	s_or_b32 exec_lo, exec_lo, s1
	s_and_saveexec_b32 s1, vcc_lo
	s_cbranch_execnz .LBB205_1388
.LBB205_1186:
	s_or_b32 exec_lo, exec_lo, s1
	s_and_saveexec_b32 s1, vcc_lo
	s_cbranch_execz .LBB205_1188
.LBB205_1187:
	v_lshl_add_u32 v34, v1, 2, v33
	ds_load_b32 v34, v34 offset:992
	s_waitcnt lgkmcnt(0)
	v_add_f32_e32 v2, v34, v2
.LBB205_1188:
	s_or_b32 exec_lo, exec_lo, s1
.LBB205_1189:
	s_delay_alu instid0(SALU_CYCLE_1)
	s_or_b32 exec_lo, exec_lo, s3
	scratch_load_b32 v34, off, s32 offset:948 ; 4-byte Folded Reload
	s_mov_b32 s3, exec_lo
	s_waitcnt vmcnt(0)
	s_barrier
	buffer_gl0_inv
	v_and_b32_e32 v34, 0x3e3, v34
	s_delay_alu instid0(VALU_DEP_1)
	v_cmpx_eq_u32_e32 32, v34
	s_cbranch_execz .LBB205_1191
; %bb.1190:
	v_lshl_add_u32 v34, v1, 2, v39
	ds_store_2addr_b32 v34, v0, v32 offset1:8
	ds_store_2addr_b32 v34, v31, v30 offset0:16 offset1:24
	ds_store_2addr_b32 v34, v29, v28 offset0:32 offset1:40
	;; [unrolled: 1-line block ×15, first 2 shown]
.LBB205_1191:
	s_or_b32 exec_lo, exec_lo, s3
	s_waitcnt lgkmcnt(0)
	s_barrier
	buffer_gl0_inv
	s_and_saveexec_b32 s1, s0
	s_cbranch_execz .LBB205_1226
; %bb.1192:
	v_lshl_add_u32 v1, v1, 2, v33
	s_and_saveexec_b32 s3, vcc_lo
	s_cbranch_execnz .LBB205_1389
; %bb.1193:
	s_or_b32 exec_lo, exec_lo, s3
	s_and_saveexec_b32 s3, vcc_lo
	s_cbranch_execnz .LBB205_1390
.LBB205_1194:
	s_or_b32 exec_lo, exec_lo, s3
	s_and_saveexec_b32 s3, vcc_lo
	s_cbranch_execnz .LBB205_1391
.LBB205_1195:
	s_or_b32 exec_lo, exec_lo, s3
	s_and_saveexec_b32 s3, vcc_lo
	s_cbranch_execnz .LBB205_1392
.LBB205_1196:
	s_or_b32 exec_lo, exec_lo, s3
	s_and_saveexec_b32 s3, vcc_lo
	s_cbranch_execnz .LBB205_1393
.LBB205_1197:
	s_or_b32 exec_lo, exec_lo, s3
	s_and_saveexec_b32 s3, vcc_lo
	s_cbranch_execnz .LBB205_1394
.LBB205_1198:
	s_or_b32 exec_lo, exec_lo, s3
	s_and_saveexec_b32 s3, vcc_lo
	s_cbranch_execnz .LBB205_1395
.LBB205_1199:
	s_or_b32 exec_lo, exec_lo, s3
	s_and_saveexec_b32 s3, vcc_lo
	s_cbranch_execnz .LBB205_1396
.LBB205_1200:
	s_or_b32 exec_lo, exec_lo, s3
	s_and_saveexec_b32 s3, vcc_lo
	s_cbranch_execnz .LBB205_1397
.LBB205_1201:
	s_or_b32 exec_lo, exec_lo, s3
	s_and_saveexec_b32 s3, vcc_lo
	s_cbranch_execnz .LBB205_1398
.LBB205_1202:
	s_or_b32 exec_lo, exec_lo, s3
	s_and_saveexec_b32 s3, vcc_lo
	s_cbranch_execnz .LBB205_1399
.LBB205_1203:
	s_or_b32 exec_lo, exec_lo, s3
	s_and_saveexec_b32 s3, vcc_lo
	s_cbranch_execnz .LBB205_1400
.LBB205_1204:
	s_or_b32 exec_lo, exec_lo, s3
	s_and_saveexec_b32 s3, vcc_lo
	s_cbranch_execnz .LBB205_1401
.LBB205_1205:
	s_or_b32 exec_lo, exec_lo, s3
	s_and_saveexec_b32 s3, vcc_lo
	s_cbranch_execnz .LBB205_1402
.LBB205_1206:
	s_or_b32 exec_lo, exec_lo, s3
	s_and_saveexec_b32 s3, vcc_lo
	s_cbranch_execnz .LBB205_1403
.LBB205_1207:
	s_or_b32 exec_lo, exec_lo, s3
	s_and_saveexec_b32 s3, vcc_lo
	s_cbranch_execnz .LBB205_1404
.LBB205_1208:
	s_or_b32 exec_lo, exec_lo, s3
	s_and_saveexec_b32 s3, vcc_lo
	s_cbranch_execnz .LBB205_1405
.LBB205_1209:
	s_or_b32 exec_lo, exec_lo, s3
	s_and_saveexec_b32 s3, vcc_lo
	s_cbranch_execnz .LBB205_1406
.LBB205_1210:
	s_or_b32 exec_lo, exec_lo, s3
	s_and_saveexec_b32 s3, vcc_lo
	s_cbranch_execnz .LBB205_1407
.LBB205_1211:
	s_or_b32 exec_lo, exec_lo, s3
	s_and_saveexec_b32 s3, vcc_lo
	s_cbranch_execnz .LBB205_1408
.LBB205_1212:
	s_or_b32 exec_lo, exec_lo, s3
	s_and_saveexec_b32 s3, vcc_lo
	s_cbranch_execnz .LBB205_1409
.LBB205_1213:
	s_or_b32 exec_lo, exec_lo, s3
	s_and_saveexec_b32 s3, vcc_lo
	s_cbranch_execnz .LBB205_1410
.LBB205_1214:
	s_or_b32 exec_lo, exec_lo, s3
	s_and_saveexec_b32 s3, vcc_lo
	s_cbranch_execnz .LBB205_1411
.LBB205_1215:
	s_or_b32 exec_lo, exec_lo, s3
	s_and_saveexec_b32 s3, vcc_lo
	s_cbranch_execnz .LBB205_1412
.LBB205_1216:
	s_or_b32 exec_lo, exec_lo, s3
	s_and_saveexec_b32 s3, vcc_lo
	s_cbranch_execnz .LBB205_1413
.LBB205_1217:
	s_or_b32 exec_lo, exec_lo, s3
	s_and_saveexec_b32 s3, vcc_lo
	s_cbranch_execnz .LBB205_1414
.LBB205_1218:
	s_or_b32 exec_lo, exec_lo, s3
	s_and_saveexec_b32 s3, vcc_lo
	s_cbranch_execnz .LBB205_1415
.LBB205_1219:
	s_or_b32 exec_lo, exec_lo, s3
	s_and_saveexec_b32 s3, vcc_lo
	s_cbranch_execnz .LBB205_1416
.LBB205_1220:
	s_or_b32 exec_lo, exec_lo, s3
	s_and_saveexec_b32 s3, vcc_lo
	s_cbranch_execnz .LBB205_1417
.LBB205_1221:
	s_or_b32 exec_lo, exec_lo, s3
	s_and_saveexec_b32 s3, vcc_lo
	s_cbranch_execnz .LBB205_1418
.LBB205_1222:
	s_or_b32 exec_lo, exec_lo, s3
	s_and_saveexec_b32 s3, vcc_lo
	s_cbranch_execnz .LBB205_1419
.LBB205_1223:
	s_or_b32 exec_lo, exec_lo, s3
	s_and_saveexec_b32 s3, vcc_lo
	s_cbranch_execz .LBB205_1225
.LBB205_1224:
	ds_load_b32 v1, v1 offset:992
	s_waitcnt lgkmcnt(0)
	v_add_f32_e32 v2, v1, v2
.LBB205_1225:
	s_or_b32 exec_lo, exec_lo, s3
.LBB205_1226:
	s_delay_alu instid0(SALU_CYCLE_1)
	s_or_b32 exec_lo, exec_lo, s1
	s_barrier
	buffer_gl0_inv
	s_and_b32 exec_lo, exec_lo, s0
	s_cbranch_execz .LBB205_1357
; %bb.1227:
	s_and_b32 exec_lo, exec_lo, vcc_lo
	s_cbranch_execz .LBB205_1357
; %bb.1228:
	v_and_b32_e32 v1, 0x7f800000, v0
	s_mov_b32 s0, exec_lo
                                        ; implicit-def: $vgpr33
	s_delay_alu instid0(VALU_DEP_1)
	v_cmpx_ne_u32_e32 0x7f800000, v1
	s_xor_b32 s0, exec_lo, s0
; %bb.1229:
	v_bfe_u32 v1, v0, 16, 1
	s_delay_alu instid0(VALU_DEP_1)
	v_add3_u32 v33, v0, v1, 0x7fff
                                        ; implicit-def: $vgpr0
; %bb.1230:
	s_and_not1_saveexec_b32 s0, s0
; %bb.1231:
	v_and_b32_e32 v1, 0xffff, v0
	v_or_b32_e32 v33, 0x10000, v0
	s_delay_alu instid0(VALU_DEP_2) | instskip(NEXT) | instid1(VALU_DEP_2)
	v_cmp_eq_u32_e32 vcc_lo, 0, v1
	v_cndmask_b32_e32 v33, v33, v0, vcc_lo
; %bb.1232:
	s_or_b32 exec_lo, exec_lo, s0
	s_clause 0x2
	scratch_load_b32 v0, off, s32 offset:948
	scratch_load_b32 v34, off, s32 offset:960
	;; [unrolled: 1-line block ×3, first 2 shown]
	s_mul_i32 s1, s2, s6
	s_mul_i32 s0, s10, s2
	;; [unrolled: 1-line block ×3, first 2 shown]
	s_lshl_b32 s2, s14, 8
	s_lshl_b32 s6, s1, 8
	s_ashr_i32 s1, s0, 31
	s_ashr_i32 s3, s2, 31
	;; [unrolled: 1-line block ×3, first 2 shown]
	s_lshl_b64 s[0:1], s[0:1], 1
	s_lshl_b64 s[2:3], s[2:3], 1
	s_lshl_b64 s[6:7], s[6:7], 1
	s_add_u32 s0, s2, s0
	s_addc_u32 s1, s3, s1
	s_add_u32 s0, s0, s6
	s_addc_u32 s1, s1, s7
	v_and_b32_e32 v35, 0x7f800000, v32
	s_waitcnt vmcnt(2)
	v_lshrrev_b32_e32 v0, 1, v0
	s_waitcnt vmcnt(0)
	v_add_co_u32 v1, vcc_lo, s0, v1
	v_add_co_ci_u32_e32 v34, vcc_lo, s1, v34, vcc_lo
	s_delay_alu instid0(VALU_DEP_3) | instskip(SKIP_1) | instid1(VALU_DEP_1)
	v_and_b32_e32 v0, 0x1fe, v0
	s_mov_b32 s0, exec_lo
	v_add_co_u32 v0, vcc_lo, v1, v0
	s_delay_alu instid0(VALU_DEP_3)
	v_add_co_ci_u32_e32 v1, vcc_lo, 0, v34, vcc_lo
	flat_store_d16_hi_b16 v[0:1], v33
                                        ; implicit-def: $vgpr33
	v_cmpx_ne_u32_e32 0x7f800000, v35
	s_xor_b32 s0, exec_lo, s0
; %bb.1233:
	v_bfe_u32 v33, v32, 16, 1
	s_delay_alu instid0(VALU_DEP_1)
	v_add3_u32 v33, v32, v33, 0x7fff
                                        ; implicit-def: $vgpr32
; %bb.1234:
	s_and_not1_saveexec_b32 s0, s0
; %bb.1235:
	v_and_b32_e32 v33, 0xffff, v32
	v_or_b32_e32 v34, 0x10000, v32
	s_delay_alu instid0(VALU_DEP_2) | instskip(NEXT) | instid1(VALU_DEP_2)
	v_cmp_eq_u32_e32 vcc_lo, 0, v33
	v_cndmask_b32_e32 v33, v34, v32, vcc_lo
; %bb.1236:
	s_or_b32 exec_lo, exec_lo, s0
	v_and_b32_e32 v32, 0x7f800000, v31
	flat_store_d16_hi_b16 v[0:1], v33 offset:16
	v_cmp_ne_u32_e32 vcc_lo, 0x7f800000, v32
                                        ; implicit-def: $vgpr32
	s_and_saveexec_b32 s0, vcc_lo
	s_delay_alu instid0(SALU_CYCLE_1)
	s_xor_b32 s0, exec_lo, s0
; %bb.1237:
	v_bfe_u32 v32, v31, 16, 1
	s_delay_alu instid0(VALU_DEP_1)
	v_add3_u32 v32, v31, v32, 0x7fff
                                        ; implicit-def: $vgpr31
; %bb.1238:
	s_and_not1_saveexec_b32 s0, s0
; %bb.1239:
	v_and_b32_e32 v32, 0xffff, v31
	v_or_b32_e32 v33, 0x10000, v31
	s_delay_alu instid0(VALU_DEP_2) | instskip(NEXT) | instid1(VALU_DEP_2)
	v_cmp_eq_u32_e32 vcc_lo, 0, v32
	v_cndmask_b32_e32 v32, v33, v31, vcc_lo
; %bb.1240:
	s_or_b32 exec_lo, exec_lo, s0
	v_and_b32_e32 v31, 0x7f800000, v30
	flat_store_d16_hi_b16 v[0:1], v32 offset:32
	v_cmp_ne_u32_e32 vcc_lo, 0x7f800000, v31
                                        ; implicit-def: $vgpr31
	s_and_saveexec_b32 s0, vcc_lo
	s_delay_alu instid0(SALU_CYCLE_1)
	s_xor_b32 s0, exec_lo, s0
; %bb.1241:
	v_bfe_u32 v31, v30, 16, 1
	s_delay_alu instid0(VALU_DEP_1)
	v_add3_u32 v31, v30, v31, 0x7fff
                                        ; implicit-def: $vgpr30
; %bb.1242:
	s_and_not1_saveexec_b32 s0, s0
; %bb.1243:
	v_and_b32_e32 v31, 0xffff, v30
	v_or_b32_e32 v32, 0x10000, v30
	s_delay_alu instid0(VALU_DEP_2) | instskip(NEXT) | instid1(VALU_DEP_2)
	v_cmp_eq_u32_e32 vcc_lo, 0, v31
	v_cndmask_b32_e32 v31, v32, v30, vcc_lo
; %bb.1244:
	s_or_b32 exec_lo, exec_lo, s0
	v_and_b32_e32 v30, 0x7f800000, v29
	flat_store_d16_hi_b16 v[0:1], v31 offset:48
	v_cmp_ne_u32_e32 vcc_lo, 0x7f800000, v30
                                        ; implicit-def: $vgpr30
	s_and_saveexec_b32 s0, vcc_lo
	s_delay_alu instid0(SALU_CYCLE_1)
	s_xor_b32 s0, exec_lo, s0
; %bb.1245:
	v_bfe_u32 v30, v29, 16, 1
	s_delay_alu instid0(VALU_DEP_1)
	v_add3_u32 v30, v29, v30, 0x7fff
                                        ; implicit-def: $vgpr29
; %bb.1246:
	s_and_not1_saveexec_b32 s0, s0
; %bb.1247:
	v_and_b32_e32 v30, 0xffff, v29
	v_or_b32_e32 v31, 0x10000, v29
	s_delay_alu instid0(VALU_DEP_2) | instskip(NEXT) | instid1(VALU_DEP_2)
	v_cmp_eq_u32_e32 vcc_lo, 0, v30
	v_cndmask_b32_e32 v30, v31, v29, vcc_lo
; %bb.1248:
	s_or_b32 exec_lo, exec_lo, s0
	v_and_b32_e32 v29, 0x7f800000, v28
	flat_store_d16_hi_b16 v[0:1], v30 offset:64
	v_cmp_ne_u32_e32 vcc_lo, 0x7f800000, v29
                                        ; implicit-def: $vgpr29
	s_and_saveexec_b32 s0, vcc_lo
	s_delay_alu instid0(SALU_CYCLE_1)
	s_xor_b32 s0, exec_lo, s0
; %bb.1249:
	v_bfe_u32 v29, v28, 16, 1
	s_delay_alu instid0(VALU_DEP_1)
	v_add3_u32 v29, v28, v29, 0x7fff
                                        ; implicit-def: $vgpr28
; %bb.1250:
	s_and_not1_saveexec_b32 s0, s0
; %bb.1251:
	v_and_b32_e32 v29, 0xffff, v28
	v_or_b32_e32 v30, 0x10000, v28
	s_delay_alu instid0(VALU_DEP_2) | instskip(NEXT) | instid1(VALU_DEP_2)
	v_cmp_eq_u32_e32 vcc_lo, 0, v29
	v_cndmask_b32_e32 v29, v30, v28, vcc_lo
; %bb.1252:
	s_or_b32 exec_lo, exec_lo, s0
	v_and_b32_e32 v28, 0x7f800000, v27
	flat_store_d16_hi_b16 v[0:1], v29 offset:80
	v_cmp_ne_u32_e32 vcc_lo, 0x7f800000, v28
                                        ; implicit-def: $vgpr28
	s_and_saveexec_b32 s0, vcc_lo
	s_delay_alu instid0(SALU_CYCLE_1)
	s_xor_b32 s0, exec_lo, s0
; %bb.1253:
	v_bfe_u32 v28, v27, 16, 1
	s_delay_alu instid0(VALU_DEP_1)
	v_add3_u32 v28, v27, v28, 0x7fff
                                        ; implicit-def: $vgpr27
; %bb.1254:
	s_and_not1_saveexec_b32 s0, s0
; %bb.1255:
	v_and_b32_e32 v28, 0xffff, v27
	v_or_b32_e32 v29, 0x10000, v27
	s_delay_alu instid0(VALU_DEP_2) | instskip(NEXT) | instid1(VALU_DEP_2)
	v_cmp_eq_u32_e32 vcc_lo, 0, v28
	v_cndmask_b32_e32 v28, v29, v27, vcc_lo
; %bb.1256:
	s_or_b32 exec_lo, exec_lo, s0
	v_and_b32_e32 v27, 0x7f800000, v26
	flat_store_d16_hi_b16 v[0:1], v28 offset:96
	v_cmp_ne_u32_e32 vcc_lo, 0x7f800000, v27
                                        ; implicit-def: $vgpr27
	s_and_saveexec_b32 s0, vcc_lo
	s_delay_alu instid0(SALU_CYCLE_1)
	s_xor_b32 s0, exec_lo, s0
; %bb.1257:
	v_bfe_u32 v27, v26, 16, 1
	s_delay_alu instid0(VALU_DEP_1)
	v_add3_u32 v27, v26, v27, 0x7fff
                                        ; implicit-def: $vgpr26
; %bb.1258:
	s_and_not1_saveexec_b32 s0, s0
; %bb.1259:
	v_and_b32_e32 v27, 0xffff, v26
	v_or_b32_e32 v28, 0x10000, v26
	s_delay_alu instid0(VALU_DEP_2) | instskip(NEXT) | instid1(VALU_DEP_2)
	v_cmp_eq_u32_e32 vcc_lo, 0, v27
	v_cndmask_b32_e32 v27, v28, v26, vcc_lo
; %bb.1260:
	s_or_b32 exec_lo, exec_lo, s0
	v_and_b32_e32 v26, 0x7f800000, v25
	flat_store_d16_hi_b16 v[0:1], v27 offset:112
	v_cmp_ne_u32_e32 vcc_lo, 0x7f800000, v26
                                        ; implicit-def: $vgpr26
	s_and_saveexec_b32 s0, vcc_lo
	s_delay_alu instid0(SALU_CYCLE_1)
	s_xor_b32 s0, exec_lo, s0
; %bb.1261:
	v_bfe_u32 v26, v25, 16, 1
	s_delay_alu instid0(VALU_DEP_1)
	v_add3_u32 v26, v25, v26, 0x7fff
                                        ; implicit-def: $vgpr25
; %bb.1262:
	s_and_not1_saveexec_b32 s0, s0
; %bb.1263:
	v_and_b32_e32 v26, 0xffff, v25
	v_or_b32_e32 v27, 0x10000, v25
	s_delay_alu instid0(VALU_DEP_2) | instskip(NEXT) | instid1(VALU_DEP_2)
	v_cmp_eq_u32_e32 vcc_lo, 0, v26
	v_cndmask_b32_e32 v26, v27, v25, vcc_lo
; %bb.1264:
	s_or_b32 exec_lo, exec_lo, s0
	v_and_b32_e32 v25, 0x7f800000, v24
	flat_store_d16_hi_b16 v[0:1], v26 offset:128
	v_cmp_ne_u32_e32 vcc_lo, 0x7f800000, v25
                                        ; implicit-def: $vgpr25
	s_and_saveexec_b32 s0, vcc_lo
	s_delay_alu instid0(SALU_CYCLE_1)
	s_xor_b32 s0, exec_lo, s0
; %bb.1265:
	v_bfe_u32 v25, v24, 16, 1
	s_delay_alu instid0(VALU_DEP_1)
	v_add3_u32 v25, v24, v25, 0x7fff
                                        ; implicit-def: $vgpr24
; %bb.1266:
	s_and_not1_saveexec_b32 s0, s0
; %bb.1267:
	v_and_b32_e32 v25, 0xffff, v24
	v_or_b32_e32 v26, 0x10000, v24
	s_delay_alu instid0(VALU_DEP_2) | instskip(NEXT) | instid1(VALU_DEP_2)
	v_cmp_eq_u32_e32 vcc_lo, 0, v25
	v_cndmask_b32_e32 v25, v26, v24, vcc_lo
; %bb.1268:
	s_or_b32 exec_lo, exec_lo, s0
	v_and_b32_e32 v24, 0x7f800000, v23
	flat_store_d16_hi_b16 v[0:1], v25 offset:144
	v_cmp_ne_u32_e32 vcc_lo, 0x7f800000, v24
                                        ; implicit-def: $vgpr24
	s_and_saveexec_b32 s0, vcc_lo
	s_delay_alu instid0(SALU_CYCLE_1)
	s_xor_b32 s0, exec_lo, s0
; %bb.1269:
	v_bfe_u32 v24, v23, 16, 1
	s_delay_alu instid0(VALU_DEP_1)
	v_add3_u32 v24, v23, v24, 0x7fff
                                        ; implicit-def: $vgpr23
; %bb.1270:
	s_and_not1_saveexec_b32 s0, s0
; %bb.1271:
	v_and_b32_e32 v24, 0xffff, v23
	v_or_b32_e32 v25, 0x10000, v23
	s_delay_alu instid0(VALU_DEP_2) | instskip(NEXT) | instid1(VALU_DEP_2)
	v_cmp_eq_u32_e32 vcc_lo, 0, v24
	v_cndmask_b32_e32 v24, v25, v23, vcc_lo
; %bb.1272:
	s_or_b32 exec_lo, exec_lo, s0
	v_and_b32_e32 v23, 0x7f800000, v22
	flat_store_d16_hi_b16 v[0:1], v24 offset:160
	v_cmp_ne_u32_e32 vcc_lo, 0x7f800000, v23
                                        ; implicit-def: $vgpr23
	s_and_saveexec_b32 s0, vcc_lo
	s_delay_alu instid0(SALU_CYCLE_1)
	s_xor_b32 s0, exec_lo, s0
; %bb.1273:
	v_bfe_u32 v23, v22, 16, 1
	s_delay_alu instid0(VALU_DEP_1)
	v_add3_u32 v23, v22, v23, 0x7fff
                                        ; implicit-def: $vgpr22
; %bb.1274:
	s_and_not1_saveexec_b32 s0, s0
; %bb.1275:
	v_and_b32_e32 v23, 0xffff, v22
	v_or_b32_e32 v24, 0x10000, v22
	s_delay_alu instid0(VALU_DEP_2) | instskip(NEXT) | instid1(VALU_DEP_2)
	v_cmp_eq_u32_e32 vcc_lo, 0, v23
	v_cndmask_b32_e32 v23, v24, v22, vcc_lo
; %bb.1276:
	s_or_b32 exec_lo, exec_lo, s0
	v_and_b32_e32 v22, 0x7f800000, v21
	flat_store_d16_hi_b16 v[0:1], v23 offset:176
	v_cmp_ne_u32_e32 vcc_lo, 0x7f800000, v22
                                        ; implicit-def: $vgpr22
	s_and_saveexec_b32 s0, vcc_lo
	s_delay_alu instid0(SALU_CYCLE_1)
	s_xor_b32 s0, exec_lo, s0
; %bb.1277:
	v_bfe_u32 v22, v21, 16, 1
	s_delay_alu instid0(VALU_DEP_1)
	v_add3_u32 v22, v21, v22, 0x7fff
                                        ; implicit-def: $vgpr21
; %bb.1278:
	s_and_not1_saveexec_b32 s0, s0
; %bb.1279:
	v_and_b32_e32 v22, 0xffff, v21
	v_or_b32_e32 v23, 0x10000, v21
	s_delay_alu instid0(VALU_DEP_2) | instskip(NEXT) | instid1(VALU_DEP_2)
	v_cmp_eq_u32_e32 vcc_lo, 0, v22
	v_cndmask_b32_e32 v22, v23, v21, vcc_lo
; %bb.1280:
	s_or_b32 exec_lo, exec_lo, s0
	v_and_b32_e32 v21, 0x7f800000, v20
	flat_store_d16_hi_b16 v[0:1], v22 offset:192
	v_cmp_ne_u32_e32 vcc_lo, 0x7f800000, v21
                                        ; implicit-def: $vgpr21
	s_and_saveexec_b32 s0, vcc_lo
	s_delay_alu instid0(SALU_CYCLE_1)
	s_xor_b32 s0, exec_lo, s0
; %bb.1281:
	v_bfe_u32 v21, v20, 16, 1
	s_delay_alu instid0(VALU_DEP_1)
	v_add3_u32 v21, v20, v21, 0x7fff
                                        ; implicit-def: $vgpr20
; %bb.1282:
	s_and_not1_saveexec_b32 s0, s0
; %bb.1283:
	v_and_b32_e32 v21, 0xffff, v20
	v_or_b32_e32 v22, 0x10000, v20
	s_delay_alu instid0(VALU_DEP_2) | instskip(NEXT) | instid1(VALU_DEP_2)
	v_cmp_eq_u32_e32 vcc_lo, 0, v21
	v_cndmask_b32_e32 v21, v22, v20, vcc_lo
; %bb.1284:
	s_or_b32 exec_lo, exec_lo, s0
	v_and_b32_e32 v20, 0x7f800000, v19
	flat_store_d16_hi_b16 v[0:1], v21 offset:208
	v_cmp_ne_u32_e32 vcc_lo, 0x7f800000, v20
                                        ; implicit-def: $vgpr20
	s_and_saveexec_b32 s0, vcc_lo
	s_delay_alu instid0(SALU_CYCLE_1)
	s_xor_b32 s0, exec_lo, s0
; %bb.1285:
	v_bfe_u32 v20, v19, 16, 1
	s_delay_alu instid0(VALU_DEP_1)
	v_add3_u32 v20, v19, v20, 0x7fff
                                        ; implicit-def: $vgpr19
; %bb.1286:
	s_and_not1_saveexec_b32 s0, s0
; %bb.1287:
	v_and_b32_e32 v20, 0xffff, v19
	v_or_b32_e32 v21, 0x10000, v19
	s_delay_alu instid0(VALU_DEP_2) | instskip(NEXT) | instid1(VALU_DEP_2)
	v_cmp_eq_u32_e32 vcc_lo, 0, v20
	v_cndmask_b32_e32 v20, v21, v19, vcc_lo
; %bb.1288:
	s_or_b32 exec_lo, exec_lo, s0
	v_and_b32_e32 v19, 0x7f800000, v18
	flat_store_d16_hi_b16 v[0:1], v20 offset:224
	v_cmp_ne_u32_e32 vcc_lo, 0x7f800000, v19
                                        ; implicit-def: $vgpr19
	s_and_saveexec_b32 s0, vcc_lo
	s_delay_alu instid0(SALU_CYCLE_1)
	s_xor_b32 s0, exec_lo, s0
; %bb.1289:
	v_bfe_u32 v19, v18, 16, 1
	s_delay_alu instid0(VALU_DEP_1)
	v_add3_u32 v19, v18, v19, 0x7fff
                                        ; implicit-def: $vgpr18
; %bb.1290:
	s_and_not1_saveexec_b32 s0, s0
; %bb.1291:
	v_and_b32_e32 v19, 0xffff, v18
	v_or_b32_e32 v20, 0x10000, v18
	s_delay_alu instid0(VALU_DEP_2) | instskip(NEXT) | instid1(VALU_DEP_2)
	v_cmp_eq_u32_e32 vcc_lo, 0, v19
	v_cndmask_b32_e32 v19, v20, v18, vcc_lo
; %bb.1292:
	s_or_b32 exec_lo, exec_lo, s0
	v_and_b32_e32 v18, 0x7f800000, v17
	flat_store_d16_hi_b16 v[0:1], v19 offset:240
	v_cmp_ne_u32_e32 vcc_lo, 0x7f800000, v18
                                        ; implicit-def: $vgpr18
	s_and_saveexec_b32 s0, vcc_lo
	s_delay_alu instid0(SALU_CYCLE_1)
	s_xor_b32 s0, exec_lo, s0
; %bb.1293:
	v_bfe_u32 v18, v17, 16, 1
	s_delay_alu instid0(VALU_DEP_1)
	v_add3_u32 v18, v17, v18, 0x7fff
                                        ; implicit-def: $vgpr17
; %bb.1294:
	s_and_not1_saveexec_b32 s0, s0
; %bb.1295:
	v_and_b32_e32 v18, 0xffff, v17
	v_or_b32_e32 v19, 0x10000, v17
	s_delay_alu instid0(VALU_DEP_2) | instskip(NEXT) | instid1(VALU_DEP_2)
	v_cmp_eq_u32_e32 vcc_lo, 0, v18
	v_cndmask_b32_e32 v18, v19, v17, vcc_lo
; %bb.1296:
	s_or_b32 exec_lo, exec_lo, s0
	v_and_b32_e32 v17, 0x7f800000, v16
	flat_store_d16_hi_b16 v[0:1], v18 offset:256
	v_cmp_ne_u32_e32 vcc_lo, 0x7f800000, v17
                                        ; implicit-def: $vgpr17
	s_and_saveexec_b32 s0, vcc_lo
	s_delay_alu instid0(SALU_CYCLE_1)
	s_xor_b32 s0, exec_lo, s0
; %bb.1297:
	v_bfe_u32 v17, v16, 16, 1
	s_delay_alu instid0(VALU_DEP_1)
	v_add3_u32 v17, v16, v17, 0x7fff
                                        ; implicit-def: $vgpr16
; %bb.1298:
	s_and_not1_saveexec_b32 s0, s0
; %bb.1299:
	v_and_b32_e32 v17, 0xffff, v16
	v_or_b32_e32 v18, 0x10000, v16
	s_delay_alu instid0(VALU_DEP_2) | instskip(NEXT) | instid1(VALU_DEP_2)
	v_cmp_eq_u32_e32 vcc_lo, 0, v17
	v_cndmask_b32_e32 v17, v18, v16, vcc_lo
; %bb.1300:
	s_or_b32 exec_lo, exec_lo, s0
	v_and_b32_e32 v16, 0x7f800000, v15
	flat_store_d16_hi_b16 v[0:1], v17 offset:272
	v_cmp_ne_u32_e32 vcc_lo, 0x7f800000, v16
                                        ; implicit-def: $vgpr16
	s_and_saveexec_b32 s0, vcc_lo
	s_delay_alu instid0(SALU_CYCLE_1)
	s_xor_b32 s0, exec_lo, s0
; %bb.1301:
	v_bfe_u32 v16, v15, 16, 1
	s_delay_alu instid0(VALU_DEP_1)
	v_add3_u32 v16, v15, v16, 0x7fff
                                        ; implicit-def: $vgpr15
; %bb.1302:
	s_and_not1_saveexec_b32 s0, s0
; %bb.1303:
	v_and_b32_e32 v16, 0xffff, v15
	v_or_b32_e32 v17, 0x10000, v15
	s_delay_alu instid0(VALU_DEP_2) | instskip(NEXT) | instid1(VALU_DEP_2)
	v_cmp_eq_u32_e32 vcc_lo, 0, v16
	v_cndmask_b32_e32 v16, v17, v15, vcc_lo
; %bb.1304:
	s_or_b32 exec_lo, exec_lo, s0
	v_and_b32_e32 v15, 0x7f800000, v14
	flat_store_d16_hi_b16 v[0:1], v16 offset:288
	v_cmp_ne_u32_e32 vcc_lo, 0x7f800000, v15
                                        ; implicit-def: $vgpr15
	s_and_saveexec_b32 s0, vcc_lo
	s_delay_alu instid0(SALU_CYCLE_1)
	s_xor_b32 s0, exec_lo, s0
; %bb.1305:
	v_bfe_u32 v15, v14, 16, 1
	s_delay_alu instid0(VALU_DEP_1)
	v_add3_u32 v15, v14, v15, 0x7fff
                                        ; implicit-def: $vgpr14
; %bb.1306:
	s_and_not1_saveexec_b32 s0, s0
; %bb.1307:
	v_and_b32_e32 v15, 0xffff, v14
	v_or_b32_e32 v16, 0x10000, v14
	s_delay_alu instid0(VALU_DEP_2) | instskip(NEXT) | instid1(VALU_DEP_2)
	v_cmp_eq_u32_e32 vcc_lo, 0, v15
	v_cndmask_b32_e32 v15, v16, v14, vcc_lo
; %bb.1308:
	s_or_b32 exec_lo, exec_lo, s0
	v_and_b32_e32 v14, 0x7f800000, v13
	flat_store_d16_hi_b16 v[0:1], v15 offset:304
	v_cmp_ne_u32_e32 vcc_lo, 0x7f800000, v14
                                        ; implicit-def: $vgpr14
	s_and_saveexec_b32 s0, vcc_lo
	s_delay_alu instid0(SALU_CYCLE_1)
	s_xor_b32 s0, exec_lo, s0
; %bb.1309:
	v_bfe_u32 v14, v13, 16, 1
	s_delay_alu instid0(VALU_DEP_1)
	v_add3_u32 v14, v13, v14, 0x7fff
                                        ; implicit-def: $vgpr13
; %bb.1310:
	s_and_not1_saveexec_b32 s0, s0
; %bb.1311:
	v_and_b32_e32 v14, 0xffff, v13
	v_or_b32_e32 v15, 0x10000, v13
	s_delay_alu instid0(VALU_DEP_2) | instskip(NEXT) | instid1(VALU_DEP_2)
	v_cmp_eq_u32_e32 vcc_lo, 0, v14
	v_cndmask_b32_e32 v14, v15, v13, vcc_lo
; %bb.1312:
	s_or_b32 exec_lo, exec_lo, s0
	v_and_b32_e32 v13, 0x7f800000, v12
	flat_store_d16_hi_b16 v[0:1], v14 offset:320
	v_cmp_ne_u32_e32 vcc_lo, 0x7f800000, v13
                                        ; implicit-def: $vgpr13
	s_and_saveexec_b32 s0, vcc_lo
	s_delay_alu instid0(SALU_CYCLE_1)
	s_xor_b32 s0, exec_lo, s0
; %bb.1313:
	v_bfe_u32 v13, v12, 16, 1
	s_delay_alu instid0(VALU_DEP_1)
	v_add3_u32 v13, v12, v13, 0x7fff
                                        ; implicit-def: $vgpr12
; %bb.1314:
	s_and_not1_saveexec_b32 s0, s0
; %bb.1315:
	v_and_b32_e32 v13, 0xffff, v12
	v_or_b32_e32 v14, 0x10000, v12
	s_delay_alu instid0(VALU_DEP_2) | instskip(NEXT) | instid1(VALU_DEP_2)
	v_cmp_eq_u32_e32 vcc_lo, 0, v13
	v_cndmask_b32_e32 v13, v14, v12, vcc_lo
; %bb.1316:
	s_or_b32 exec_lo, exec_lo, s0
	v_and_b32_e32 v12, 0x7f800000, v11
	flat_store_d16_hi_b16 v[0:1], v13 offset:336
	v_cmp_ne_u32_e32 vcc_lo, 0x7f800000, v12
                                        ; implicit-def: $vgpr12
	s_and_saveexec_b32 s0, vcc_lo
	s_delay_alu instid0(SALU_CYCLE_1)
	s_xor_b32 s0, exec_lo, s0
; %bb.1317:
	v_bfe_u32 v12, v11, 16, 1
	s_delay_alu instid0(VALU_DEP_1)
	v_add3_u32 v12, v11, v12, 0x7fff
                                        ; implicit-def: $vgpr11
; %bb.1318:
	s_and_not1_saveexec_b32 s0, s0
; %bb.1319:
	v_and_b32_e32 v12, 0xffff, v11
	v_or_b32_e32 v13, 0x10000, v11
	s_delay_alu instid0(VALU_DEP_2) | instskip(NEXT) | instid1(VALU_DEP_2)
	v_cmp_eq_u32_e32 vcc_lo, 0, v12
	v_cndmask_b32_e32 v12, v13, v11, vcc_lo
; %bb.1320:
	s_or_b32 exec_lo, exec_lo, s0
	v_and_b32_e32 v11, 0x7f800000, v10
	flat_store_d16_hi_b16 v[0:1], v12 offset:352
	v_cmp_ne_u32_e32 vcc_lo, 0x7f800000, v11
                                        ; implicit-def: $vgpr11
	s_and_saveexec_b32 s0, vcc_lo
	s_delay_alu instid0(SALU_CYCLE_1)
	s_xor_b32 s0, exec_lo, s0
; %bb.1321:
	v_bfe_u32 v11, v10, 16, 1
	s_delay_alu instid0(VALU_DEP_1)
	v_add3_u32 v11, v10, v11, 0x7fff
                                        ; implicit-def: $vgpr10
; %bb.1322:
	s_and_not1_saveexec_b32 s0, s0
; %bb.1323:
	v_and_b32_e32 v11, 0xffff, v10
	v_or_b32_e32 v12, 0x10000, v10
	s_delay_alu instid0(VALU_DEP_2) | instskip(NEXT) | instid1(VALU_DEP_2)
	v_cmp_eq_u32_e32 vcc_lo, 0, v11
	v_cndmask_b32_e32 v11, v12, v10, vcc_lo
; %bb.1324:
	s_or_b32 exec_lo, exec_lo, s0
	v_and_b32_e32 v10, 0x7f800000, v9
	flat_store_d16_hi_b16 v[0:1], v11 offset:368
	v_cmp_ne_u32_e32 vcc_lo, 0x7f800000, v10
                                        ; implicit-def: $vgpr10
	s_and_saveexec_b32 s0, vcc_lo
	s_delay_alu instid0(SALU_CYCLE_1)
	s_xor_b32 s0, exec_lo, s0
; %bb.1325:
	v_bfe_u32 v10, v9, 16, 1
	s_delay_alu instid0(VALU_DEP_1)
	v_add3_u32 v10, v9, v10, 0x7fff
                                        ; implicit-def: $vgpr9
; %bb.1326:
	s_and_not1_saveexec_b32 s0, s0
; %bb.1327:
	v_and_b32_e32 v10, 0xffff, v9
	v_or_b32_e32 v11, 0x10000, v9
	s_delay_alu instid0(VALU_DEP_2) | instskip(NEXT) | instid1(VALU_DEP_2)
	v_cmp_eq_u32_e32 vcc_lo, 0, v10
	v_cndmask_b32_e32 v10, v11, v9, vcc_lo
; %bb.1328:
	s_or_b32 exec_lo, exec_lo, s0
	v_and_b32_e32 v9, 0x7f800000, v8
	flat_store_d16_hi_b16 v[0:1], v10 offset:384
	v_cmp_ne_u32_e32 vcc_lo, 0x7f800000, v9
                                        ; implicit-def: $vgpr9
	s_and_saveexec_b32 s0, vcc_lo
	s_delay_alu instid0(SALU_CYCLE_1)
	s_xor_b32 s0, exec_lo, s0
; %bb.1329:
	v_bfe_u32 v9, v8, 16, 1
	s_delay_alu instid0(VALU_DEP_1)
	v_add3_u32 v9, v8, v9, 0x7fff
                                        ; implicit-def: $vgpr8
; %bb.1330:
	s_and_not1_saveexec_b32 s0, s0
; %bb.1331:
	v_and_b32_e32 v9, 0xffff, v8
	v_or_b32_e32 v10, 0x10000, v8
	s_delay_alu instid0(VALU_DEP_2) | instskip(NEXT) | instid1(VALU_DEP_2)
	v_cmp_eq_u32_e32 vcc_lo, 0, v9
	v_cndmask_b32_e32 v9, v10, v8, vcc_lo
; %bb.1332:
	s_or_b32 exec_lo, exec_lo, s0
	v_and_b32_e32 v8, 0x7f800000, v7
	flat_store_d16_hi_b16 v[0:1], v9 offset:400
	v_cmp_ne_u32_e32 vcc_lo, 0x7f800000, v8
                                        ; implicit-def: $vgpr8
	s_and_saveexec_b32 s0, vcc_lo
	s_delay_alu instid0(SALU_CYCLE_1)
	s_xor_b32 s0, exec_lo, s0
; %bb.1333:
	v_bfe_u32 v8, v7, 16, 1
	s_delay_alu instid0(VALU_DEP_1)
	v_add3_u32 v8, v7, v8, 0x7fff
                                        ; implicit-def: $vgpr7
; %bb.1334:
	s_and_not1_saveexec_b32 s0, s0
; %bb.1335:
	v_and_b32_e32 v8, 0xffff, v7
	v_or_b32_e32 v9, 0x10000, v7
	s_delay_alu instid0(VALU_DEP_2) | instskip(NEXT) | instid1(VALU_DEP_2)
	v_cmp_eq_u32_e32 vcc_lo, 0, v8
	v_cndmask_b32_e32 v8, v9, v7, vcc_lo
; %bb.1336:
	s_or_b32 exec_lo, exec_lo, s0
	v_and_b32_e32 v7, 0x7f800000, v6
	flat_store_d16_hi_b16 v[0:1], v8 offset:416
	v_cmp_ne_u32_e32 vcc_lo, 0x7f800000, v7
                                        ; implicit-def: $vgpr7
	s_and_saveexec_b32 s0, vcc_lo
	s_delay_alu instid0(SALU_CYCLE_1)
	s_xor_b32 s0, exec_lo, s0
; %bb.1337:
	v_bfe_u32 v7, v6, 16, 1
	s_delay_alu instid0(VALU_DEP_1)
	v_add3_u32 v7, v6, v7, 0x7fff
                                        ; implicit-def: $vgpr6
; %bb.1338:
	s_and_not1_saveexec_b32 s0, s0
; %bb.1339:
	v_and_b32_e32 v7, 0xffff, v6
	v_or_b32_e32 v8, 0x10000, v6
	s_delay_alu instid0(VALU_DEP_2) | instskip(NEXT) | instid1(VALU_DEP_2)
	v_cmp_eq_u32_e32 vcc_lo, 0, v7
	v_cndmask_b32_e32 v7, v8, v6, vcc_lo
; %bb.1340:
	s_or_b32 exec_lo, exec_lo, s0
	v_and_b32_e32 v6, 0x7f800000, v5
	flat_store_d16_hi_b16 v[0:1], v7 offset:432
	v_cmp_ne_u32_e32 vcc_lo, 0x7f800000, v6
                                        ; implicit-def: $vgpr6
	s_and_saveexec_b32 s0, vcc_lo
	s_delay_alu instid0(SALU_CYCLE_1)
	s_xor_b32 s0, exec_lo, s0
; %bb.1341:
	v_bfe_u32 v6, v5, 16, 1
	s_delay_alu instid0(VALU_DEP_1)
	v_add3_u32 v6, v5, v6, 0x7fff
                                        ; implicit-def: $vgpr5
; %bb.1342:
	s_and_not1_saveexec_b32 s0, s0
; %bb.1343:
	v_and_b32_e32 v6, 0xffff, v5
	v_or_b32_e32 v7, 0x10000, v5
	s_delay_alu instid0(VALU_DEP_2) | instskip(NEXT) | instid1(VALU_DEP_2)
	v_cmp_eq_u32_e32 vcc_lo, 0, v6
	v_cndmask_b32_e32 v6, v7, v5, vcc_lo
; %bb.1344:
	s_or_b32 exec_lo, exec_lo, s0
	v_and_b32_e32 v5, 0x7f800000, v4
	flat_store_d16_hi_b16 v[0:1], v6 offset:448
	v_cmp_ne_u32_e32 vcc_lo, 0x7f800000, v5
                                        ; implicit-def: $vgpr5
	s_and_saveexec_b32 s0, vcc_lo
	s_delay_alu instid0(SALU_CYCLE_1)
	s_xor_b32 s0, exec_lo, s0
; %bb.1345:
	v_bfe_u32 v5, v4, 16, 1
	s_delay_alu instid0(VALU_DEP_1)
	v_add3_u32 v5, v4, v5, 0x7fff
                                        ; implicit-def: $vgpr4
; %bb.1346:
	s_and_not1_saveexec_b32 s0, s0
; %bb.1347:
	v_and_b32_e32 v5, 0xffff, v4
	v_or_b32_e32 v6, 0x10000, v4
	s_delay_alu instid0(VALU_DEP_2) | instskip(NEXT) | instid1(VALU_DEP_2)
	v_cmp_eq_u32_e32 vcc_lo, 0, v5
	v_cndmask_b32_e32 v5, v6, v4, vcc_lo
; %bb.1348:
	s_or_b32 exec_lo, exec_lo, s0
	v_and_b32_e32 v4, 0x7f800000, v3
	flat_store_d16_hi_b16 v[0:1], v5 offset:464
	v_cmp_ne_u32_e32 vcc_lo, 0x7f800000, v4
                                        ; implicit-def: $vgpr4
	s_and_saveexec_b32 s0, vcc_lo
	s_delay_alu instid0(SALU_CYCLE_1)
	s_xor_b32 s0, exec_lo, s0
; %bb.1349:
	v_bfe_u32 v4, v3, 16, 1
	s_delay_alu instid0(VALU_DEP_1)
	v_add3_u32 v4, v3, v4, 0x7fff
                                        ; implicit-def: $vgpr3
; %bb.1350:
	s_and_not1_saveexec_b32 s0, s0
; %bb.1351:
	v_and_b32_e32 v4, 0xffff, v3
	v_or_b32_e32 v5, 0x10000, v3
	s_delay_alu instid0(VALU_DEP_2) | instskip(NEXT) | instid1(VALU_DEP_2)
	v_cmp_eq_u32_e32 vcc_lo, 0, v4
	v_cndmask_b32_e32 v4, v5, v3, vcc_lo
; %bb.1352:
	s_or_b32 exec_lo, exec_lo, s0
	v_and_b32_e32 v3, 0x7f800000, v2
	flat_store_d16_hi_b16 v[0:1], v4 offset:480
	v_cmp_ne_u32_e32 vcc_lo, 0x7f800000, v3
                                        ; implicit-def: $vgpr3
	s_and_saveexec_b32 s0, vcc_lo
	s_delay_alu instid0(SALU_CYCLE_1)
	s_xor_b32 s0, exec_lo, s0
; %bb.1353:
	v_bfe_u32 v3, v2, 16, 1
	s_delay_alu instid0(VALU_DEP_1)
	v_add3_u32 v3, v2, v3, 0x7fff
                                        ; implicit-def: $vgpr2
; %bb.1354:
	s_and_not1_saveexec_b32 s0, s0
; %bb.1355:
	v_and_b32_e32 v3, 0xffff, v2
	v_or_b32_e32 v4, 0x10000, v2
	s_delay_alu instid0(VALU_DEP_2) | instskip(NEXT) | instid1(VALU_DEP_2)
	v_cmp_eq_u32_e32 vcc_lo, 0, v3
	v_cndmask_b32_e32 v3, v4, v2, vcc_lo
; %bb.1356:
	s_or_b32 exec_lo, exec_lo, s0
	flat_store_d16_hi_b16 v[0:1], v3 offset:496
.LBB205_1357:
	s_or_b32 exec_lo, exec_lo, s5
	s_clause 0x1f
	scratch_load_b32 v191, off, s32
	scratch_load_b32 v190, off, s32 offset:4
	scratch_load_b32 v189, off, s32 offset:8
	;; [unrolled: 1-line block ×31, first 2 shown]
	s_clause 0x1f
	scratch_load_b32 v127, off, s32 offset:128
	scratch_load_b32 v126, off, s32 offset:132
	;; [unrolled: 1-line block ×32, first 2 shown]
	s_clause 0xf
	scratch_load_b32 v63, off, s32 offset:256
	scratch_load_b32 v62, off, s32 offset:260
	;; [unrolled: 1-line block ×16, first 2 shown]
	s_waitcnt vmcnt(0) lgkmcnt(0)
	s_setpc_b64 s[30:31]
.LBB205_1358:
	v_lshl_add_u32 v34, v1, 2, v33
	ds_load_b32 v34, v34
	s_waitcnt lgkmcnt(0)
	v_add_f32_e32 v0, v34, v0
	s_or_b32 exec_lo, exec_lo, s1
	s_and_saveexec_b32 s1, vcc_lo
	s_cbranch_execz .LBB205_1157
.LBB205_1359:
	v_lshl_add_u32 v34, v1, 2, v33
	ds_load_b32 v34, v34 offset:32
	s_waitcnt lgkmcnt(0)
	v_add_f32_e32 v32, v34, v32
	s_or_b32 exec_lo, exec_lo, s1
	s_and_saveexec_b32 s1, vcc_lo
	s_cbranch_execz .LBB205_1158
.LBB205_1360:
	v_lshl_add_u32 v34, v1, 2, v33
	ds_load_b32 v34, v34 offset:64
	s_waitcnt lgkmcnt(0)
	v_add_f32_e32 v31, v34, v31
	s_or_b32 exec_lo, exec_lo, s1
	s_and_saveexec_b32 s1, vcc_lo
	s_cbranch_execz .LBB205_1159
.LBB205_1361:
	v_lshl_add_u32 v34, v1, 2, v33
	ds_load_b32 v34, v34 offset:96
	s_waitcnt lgkmcnt(0)
	v_add_f32_e32 v30, v34, v30
	s_or_b32 exec_lo, exec_lo, s1
	s_and_saveexec_b32 s1, vcc_lo
	s_cbranch_execz .LBB205_1160
.LBB205_1362:
	v_lshl_add_u32 v34, v1, 2, v33
	ds_load_b32 v34, v34 offset:128
	s_waitcnt lgkmcnt(0)
	v_add_f32_e32 v29, v34, v29
	s_or_b32 exec_lo, exec_lo, s1
	s_and_saveexec_b32 s1, vcc_lo
	s_cbranch_execz .LBB205_1161
.LBB205_1363:
	v_lshl_add_u32 v34, v1, 2, v33
	ds_load_b32 v34, v34 offset:160
	s_waitcnt lgkmcnt(0)
	v_add_f32_e32 v28, v34, v28
	s_or_b32 exec_lo, exec_lo, s1
	s_and_saveexec_b32 s1, vcc_lo
	s_cbranch_execz .LBB205_1162
.LBB205_1364:
	v_lshl_add_u32 v34, v1, 2, v33
	ds_load_b32 v34, v34 offset:192
	s_waitcnt lgkmcnt(0)
	v_add_f32_e32 v27, v34, v27
	s_or_b32 exec_lo, exec_lo, s1
	s_and_saveexec_b32 s1, vcc_lo
	s_cbranch_execz .LBB205_1163
.LBB205_1365:
	v_lshl_add_u32 v34, v1, 2, v33
	ds_load_b32 v34, v34 offset:224
	s_waitcnt lgkmcnt(0)
	v_add_f32_e32 v26, v34, v26
	s_or_b32 exec_lo, exec_lo, s1
	s_and_saveexec_b32 s1, vcc_lo
	s_cbranch_execz .LBB205_1164
.LBB205_1366:
	v_lshl_add_u32 v34, v1, 2, v33
	ds_load_b32 v34, v34 offset:256
	s_waitcnt lgkmcnt(0)
	v_add_f32_e32 v25, v34, v25
	s_or_b32 exec_lo, exec_lo, s1
	s_and_saveexec_b32 s1, vcc_lo
	s_cbranch_execz .LBB205_1165
.LBB205_1367:
	v_lshl_add_u32 v34, v1, 2, v33
	ds_load_b32 v34, v34 offset:288
	s_waitcnt lgkmcnt(0)
	v_add_f32_e32 v24, v34, v24
	s_or_b32 exec_lo, exec_lo, s1
	s_and_saveexec_b32 s1, vcc_lo
	s_cbranch_execz .LBB205_1166
.LBB205_1368:
	v_lshl_add_u32 v34, v1, 2, v33
	ds_load_b32 v34, v34 offset:320
	s_waitcnt lgkmcnt(0)
	v_add_f32_e32 v23, v34, v23
	s_or_b32 exec_lo, exec_lo, s1
	s_and_saveexec_b32 s1, vcc_lo
	s_cbranch_execz .LBB205_1167
.LBB205_1369:
	v_lshl_add_u32 v34, v1, 2, v33
	ds_load_b32 v34, v34 offset:352
	s_waitcnt lgkmcnt(0)
	v_add_f32_e32 v22, v34, v22
	s_or_b32 exec_lo, exec_lo, s1
	s_and_saveexec_b32 s1, vcc_lo
	s_cbranch_execz .LBB205_1168
.LBB205_1370:
	v_lshl_add_u32 v34, v1, 2, v33
	ds_load_b32 v34, v34 offset:384
	s_waitcnt lgkmcnt(0)
	v_add_f32_e32 v21, v34, v21
	s_or_b32 exec_lo, exec_lo, s1
	s_and_saveexec_b32 s1, vcc_lo
	s_cbranch_execz .LBB205_1169
.LBB205_1371:
	v_lshl_add_u32 v34, v1, 2, v33
	ds_load_b32 v34, v34 offset:416
	s_waitcnt lgkmcnt(0)
	v_add_f32_e32 v20, v34, v20
	s_or_b32 exec_lo, exec_lo, s1
	s_and_saveexec_b32 s1, vcc_lo
	s_cbranch_execz .LBB205_1170
.LBB205_1372:
	v_lshl_add_u32 v34, v1, 2, v33
	ds_load_b32 v34, v34 offset:448
	s_waitcnt lgkmcnt(0)
	v_add_f32_e32 v19, v34, v19
	s_or_b32 exec_lo, exec_lo, s1
	s_and_saveexec_b32 s1, vcc_lo
	s_cbranch_execz .LBB205_1171
.LBB205_1373:
	v_lshl_add_u32 v34, v1, 2, v33
	ds_load_b32 v34, v34 offset:480
	s_waitcnt lgkmcnt(0)
	v_add_f32_e32 v18, v34, v18
	s_or_b32 exec_lo, exec_lo, s1
	s_and_saveexec_b32 s1, vcc_lo
	s_cbranch_execz .LBB205_1172
.LBB205_1374:
	v_lshl_add_u32 v34, v1, 2, v33
	ds_load_b32 v34, v34 offset:512
	s_waitcnt lgkmcnt(0)
	v_add_f32_e32 v17, v34, v17
	s_or_b32 exec_lo, exec_lo, s1
	s_and_saveexec_b32 s1, vcc_lo
	s_cbranch_execz .LBB205_1173
.LBB205_1375:
	v_lshl_add_u32 v34, v1, 2, v33
	ds_load_b32 v34, v34 offset:544
	s_waitcnt lgkmcnt(0)
	v_add_f32_e32 v16, v34, v16
	s_or_b32 exec_lo, exec_lo, s1
	s_and_saveexec_b32 s1, vcc_lo
	s_cbranch_execz .LBB205_1174
.LBB205_1376:
	v_lshl_add_u32 v34, v1, 2, v33
	ds_load_b32 v34, v34 offset:576
	s_waitcnt lgkmcnt(0)
	v_add_f32_e32 v15, v34, v15
	s_or_b32 exec_lo, exec_lo, s1
	s_and_saveexec_b32 s1, vcc_lo
	s_cbranch_execz .LBB205_1175
.LBB205_1377:
	v_lshl_add_u32 v34, v1, 2, v33
	ds_load_b32 v34, v34 offset:608
	s_waitcnt lgkmcnt(0)
	v_add_f32_e32 v14, v34, v14
	s_or_b32 exec_lo, exec_lo, s1
	s_and_saveexec_b32 s1, vcc_lo
	s_cbranch_execz .LBB205_1176
.LBB205_1378:
	v_lshl_add_u32 v34, v1, 2, v33
	ds_load_b32 v34, v34 offset:640
	s_waitcnt lgkmcnt(0)
	v_add_f32_e32 v13, v34, v13
	s_or_b32 exec_lo, exec_lo, s1
	s_and_saveexec_b32 s1, vcc_lo
	s_cbranch_execz .LBB205_1177
.LBB205_1379:
	v_lshl_add_u32 v34, v1, 2, v33
	ds_load_b32 v34, v34 offset:672
	s_waitcnt lgkmcnt(0)
	v_add_f32_e32 v12, v34, v12
	s_or_b32 exec_lo, exec_lo, s1
	s_and_saveexec_b32 s1, vcc_lo
	s_cbranch_execz .LBB205_1178
.LBB205_1380:
	v_lshl_add_u32 v34, v1, 2, v33
	ds_load_b32 v34, v34 offset:704
	s_waitcnt lgkmcnt(0)
	v_add_f32_e32 v11, v34, v11
	s_or_b32 exec_lo, exec_lo, s1
	s_and_saveexec_b32 s1, vcc_lo
	s_cbranch_execz .LBB205_1179
.LBB205_1381:
	v_lshl_add_u32 v34, v1, 2, v33
	ds_load_b32 v34, v34 offset:736
	s_waitcnt lgkmcnt(0)
	v_add_f32_e32 v10, v34, v10
	s_or_b32 exec_lo, exec_lo, s1
	s_and_saveexec_b32 s1, vcc_lo
	s_cbranch_execz .LBB205_1180
.LBB205_1382:
	v_lshl_add_u32 v34, v1, 2, v33
	ds_load_b32 v34, v34 offset:768
	s_waitcnt lgkmcnt(0)
	v_add_f32_e32 v9, v34, v9
	s_or_b32 exec_lo, exec_lo, s1
	s_and_saveexec_b32 s1, vcc_lo
	s_cbranch_execz .LBB205_1181
.LBB205_1383:
	v_lshl_add_u32 v34, v1, 2, v33
	ds_load_b32 v34, v34 offset:800
	s_waitcnt lgkmcnt(0)
	v_add_f32_e32 v8, v34, v8
	s_or_b32 exec_lo, exec_lo, s1
	s_and_saveexec_b32 s1, vcc_lo
	s_cbranch_execz .LBB205_1182
.LBB205_1384:
	v_lshl_add_u32 v34, v1, 2, v33
	ds_load_b32 v34, v34 offset:832
	s_waitcnt lgkmcnt(0)
	v_add_f32_e32 v7, v34, v7
	s_or_b32 exec_lo, exec_lo, s1
	s_and_saveexec_b32 s1, vcc_lo
	s_cbranch_execz .LBB205_1183
.LBB205_1385:
	v_lshl_add_u32 v34, v1, 2, v33
	ds_load_b32 v34, v34 offset:864
	s_waitcnt lgkmcnt(0)
	v_add_f32_e32 v6, v34, v6
	s_or_b32 exec_lo, exec_lo, s1
	s_and_saveexec_b32 s1, vcc_lo
	s_cbranch_execz .LBB205_1184
.LBB205_1386:
	v_lshl_add_u32 v34, v1, 2, v33
	ds_load_b32 v34, v34 offset:896
	s_waitcnt lgkmcnt(0)
	v_add_f32_e32 v5, v34, v5
	s_or_b32 exec_lo, exec_lo, s1
	s_and_saveexec_b32 s1, vcc_lo
	s_cbranch_execz .LBB205_1185
.LBB205_1387:
	v_lshl_add_u32 v34, v1, 2, v33
	ds_load_b32 v34, v34 offset:928
	s_waitcnt lgkmcnt(0)
	v_add_f32_e32 v4, v34, v4
	s_or_b32 exec_lo, exec_lo, s1
	s_and_saveexec_b32 s1, vcc_lo
	s_cbranch_execz .LBB205_1186
.LBB205_1388:
	v_lshl_add_u32 v34, v1, 2, v33
	ds_load_b32 v34, v34 offset:960
	s_waitcnt lgkmcnt(0)
	v_add_f32_e32 v3, v34, v3
	s_or_b32 exec_lo, exec_lo, s1
	s_and_saveexec_b32 s1, vcc_lo
	s_cbranch_execnz .LBB205_1187
	s_branch .LBB205_1188
.LBB205_1389:
	ds_load_b32 v33, v1
	s_waitcnt lgkmcnt(0)
	v_add_f32_e32 v0, v33, v0
	s_or_b32 exec_lo, exec_lo, s3
	s_and_saveexec_b32 s3, vcc_lo
	s_cbranch_execz .LBB205_1194
.LBB205_1390:
	ds_load_b32 v33, v1 offset:32
	s_waitcnt lgkmcnt(0)
	v_add_f32_e32 v32, v33, v32
	s_or_b32 exec_lo, exec_lo, s3
	s_and_saveexec_b32 s3, vcc_lo
	s_cbranch_execz .LBB205_1195
.LBB205_1391:
	ds_load_b32 v33, v1 offset:64
	s_waitcnt lgkmcnt(0)
	v_add_f32_e32 v31, v33, v31
	s_or_b32 exec_lo, exec_lo, s3
	s_and_saveexec_b32 s3, vcc_lo
	s_cbranch_execz .LBB205_1196
.LBB205_1392:
	ds_load_b32 v33, v1 offset:96
	s_waitcnt lgkmcnt(0)
	v_add_f32_e32 v30, v33, v30
	s_or_b32 exec_lo, exec_lo, s3
	s_and_saveexec_b32 s3, vcc_lo
	s_cbranch_execz .LBB205_1197
.LBB205_1393:
	ds_load_b32 v33, v1 offset:128
	s_waitcnt lgkmcnt(0)
	v_add_f32_e32 v29, v33, v29
	s_or_b32 exec_lo, exec_lo, s3
	s_and_saveexec_b32 s3, vcc_lo
	s_cbranch_execz .LBB205_1198
.LBB205_1394:
	ds_load_b32 v33, v1 offset:160
	s_waitcnt lgkmcnt(0)
	v_add_f32_e32 v28, v33, v28
	s_or_b32 exec_lo, exec_lo, s3
	s_and_saveexec_b32 s3, vcc_lo
	s_cbranch_execz .LBB205_1199
.LBB205_1395:
	ds_load_b32 v33, v1 offset:192
	s_waitcnt lgkmcnt(0)
	v_add_f32_e32 v27, v33, v27
	s_or_b32 exec_lo, exec_lo, s3
	s_and_saveexec_b32 s3, vcc_lo
	s_cbranch_execz .LBB205_1200
.LBB205_1396:
	ds_load_b32 v33, v1 offset:224
	s_waitcnt lgkmcnt(0)
	v_add_f32_e32 v26, v33, v26
	s_or_b32 exec_lo, exec_lo, s3
	s_and_saveexec_b32 s3, vcc_lo
	s_cbranch_execz .LBB205_1201
.LBB205_1397:
	ds_load_b32 v33, v1 offset:256
	s_waitcnt lgkmcnt(0)
	v_add_f32_e32 v25, v33, v25
	s_or_b32 exec_lo, exec_lo, s3
	s_and_saveexec_b32 s3, vcc_lo
	s_cbranch_execz .LBB205_1202
.LBB205_1398:
	ds_load_b32 v33, v1 offset:288
	s_waitcnt lgkmcnt(0)
	v_add_f32_e32 v24, v33, v24
	s_or_b32 exec_lo, exec_lo, s3
	s_and_saveexec_b32 s3, vcc_lo
	s_cbranch_execz .LBB205_1203
.LBB205_1399:
	ds_load_b32 v33, v1 offset:320
	s_waitcnt lgkmcnt(0)
	v_add_f32_e32 v23, v33, v23
	s_or_b32 exec_lo, exec_lo, s3
	s_and_saveexec_b32 s3, vcc_lo
	s_cbranch_execz .LBB205_1204
.LBB205_1400:
	ds_load_b32 v33, v1 offset:352
	s_waitcnt lgkmcnt(0)
	v_add_f32_e32 v22, v33, v22
	s_or_b32 exec_lo, exec_lo, s3
	s_and_saveexec_b32 s3, vcc_lo
	s_cbranch_execz .LBB205_1205
.LBB205_1401:
	ds_load_b32 v33, v1 offset:384
	s_waitcnt lgkmcnt(0)
	v_add_f32_e32 v21, v33, v21
	s_or_b32 exec_lo, exec_lo, s3
	s_and_saveexec_b32 s3, vcc_lo
	s_cbranch_execz .LBB205_1206
.LBB205_1402:
	ds_load_b32 v33, v1 offset:416
	s_waitcnt lgkmcnt(0)
	v_add_f32_e32 v20, v33, v20
	s_or_b32 exec_lo, exec_lo, s3
	s_and_saveexec_b32 s3, vcc_lo
	s_cbranch_execz .LBB205_1207
.LBB205_1403:
	ds_load_b32 v33, v1 offset:448
	s_waitcnt lgkmcnt(0)
	v_add_f32_e32 v19, v33, v19
	s_or_b32 exec_lo, exec_lo, s3
	s_and_saveexec_b32 s3, vcc_lo
	s_cbranch_execz .LBB205_1208
.LBB205_1404:
	ds_load_b32 v33, v1 offset:480
	s_waitcnt lgkmcnt(0)
	v_add_f32_e32 v18, v33, v18
	s_or_b32 exec_lo, exec_lo, s3
	s_and_saveexec_b32 s3, vcc_lo
	s_cbranch_execz .LBB205_1209
.LBB205_1405:
	ds_load_b32 v33, v1 offset:512
	s_waitcnt lgkmcnt(0)
	v_add_f32_e32 v17, v33, v17
	s_or_b32 exec_lo, exec_lo, s3
	s_and_saveexec_b32 s3, vcc_lo
	s_cbranch_execz .LBB205_1210
.LBB205_1406:
	ds_load_b32 v33, v1 offset:544
	s_waitcnt lgkmcnt(0)
	v_add_f32_e32 v16, v33, v16
	s_or_b32 exec_lo, exec_lo, s3
	s_and_saveexec_b32 s3, vcc_lo
	s_cbranch_execz .LBB205_1211
.LBB205_1407:
	ds_load_b32 v33, v1 offset:576
	s_waitcnt lgkmcnt(0)
	v_add_f32_e32 v15, v33, v15
	s_or_b32 exec_lo, exec_lo, s3
	s_and_saveexec_b32 s3, vcc_lo
	s_cbranch_execz .LBB205_1212
.LBB205_1408:
	ds_load_b32 v33, v1 offset:608
	s_waitcnt lgkmcnt(0)
	v_add_f32_e32 v14, v33, v14
	s_or_b32 exec_lo, exec_lo, s3
	s_and_saveexec_b32 s3, vcc_lo
	s_cbranch_execz .LBB205_1213
.LBB205_1409:
	ds_load_b32 v33, v1 offset:640
	s_waitcnt lgkmcnt(0)
	v_add_f32_e32 v13, v33, v13
	s_or_b32 exec_lo, exec_lo, s3
	s_and_saveexec_b32 s3, vcc_lo
	s_cbranch_execz .LBB205_1214
.LBB205_1410:
	ds_load_b32 v33, v1 offset:672
	s_waitcnt lgkmcnt(0)
	v_add_f32_e32 v12, v33, v12
	s_or_b32 exec_lo, exec_lo, s3
	s_and_saveexec_b32 s3, vcc_lo
	s_cbranch_execz .LBB205_1215
.LBB205_1411:
	ds_load_b32 v33, v1 offset:704
	s_waitcnt lgkmcnt(0)
	v_add_f32_e32 v11, v33, v11
	s_or_b32 exec_lo, exec_lo, s3
	s_and_saveexec_b32 s3, vcc_lo
	s_cbranch_execz .LBB205_1216
.LBB205_1412:
	ds_load_b32 v33, v1 offset:736
	s_waitcnt lgkmcnt(0)
	v_add_f32_e32 v10, v33, v10
	s_or_b32 exec_lo, exec_lo, s3
	s_and_saveexec_b32 s3, vcc_lo
	s_cbranch_execz .LBB205_1217
.LBB205_1413:
	ds_load_b32 v33, v1 offset:768
	s_waitcnt lgkmcnt(0)
	v_add_f32_e32 v9, v33, v9
	s_or_b32 exec_lo, exec_lo, s3
	s_and_saveexec_b32 s3, vcc_lo
	s_cbranch_execz .LBB205_1218
.LBB205_1414:
	ds_load_b32 v33, v1 offset:800
	s_waitcnt lgkmcnt(0)
	v_add_f32_e32 v8, v33, v8
	s_or_b32 exec_lo, exec_lo, s3
	s_and_saveexec_b32 s3, vcc_lo
	s_cbranch_execz .LBB205_1219
.LBB205_1415:
	ds_load_b32 v33, v1 offset:832
	s_waitcnt lgkmcnt(0)
	v_add_f32_e32 v7, v33, v7
	s_or_b32 exec_lo, exec_lo, s3
	s_and_saveexec_b32 s3, vcc_lo
	s_cbranch_execz .LBB205_1220
.LBB205_1416:
	ds_load_b32 v33, v1 offset:864
	s_waitcnt lgkmcnt(0)
	v_add_f32_e32 v6, v33, v6
	s_or_b32 exec_lo, exec_lo, s3
	s_and_saveexec_b32 s3, vcc_lo
	s_cbranch_execz .LBB205_1221
.LBB205_1417:
	ds_load_b32 v33, v1 offset:896
	s_waitcnt lgkmcnt(0)
	v_add_f32_e32 v5, v33, v5
	s_or_b32 exec_lo, exec_lo, s3
	s_and_saveexec_b32 s3, vcc_lo
	s_cbranch_execz .LBB205_1222
.LBB205_1418:
	ds_load_b32 v33, v1 offset:928
	s_waitcnt lgkmcnt(0)
	v_add_f32_e32 v4, v33, v4
	s_or_b32 exec_lo, exec_lo, s3
	s_and_saveexec_b32 s3, vcc_lo
	s_cbranch_execz .LBB205_1223
.LBB205_1419:
	ds_load_b32 v33, v1 offset:960
	s_waitcnt lgkmcnt(0)
	v_add_f32_e32 v3, v33, v3
	s_or_b32 exec_lo, exec_lo, s3
	s_and_saveexec_b32 s3, vcc_lo
	s_cbranch_execnz .LBB205_1224
	s_branch .LBB205_1225
.Lfunc_end205:
	.size	_ZN4vllm22paged_attention_kernelI14__hip_bfloat16S1_Li256ELi32ELi128ELNS_18Fp8KVCacheDataTypeE0ELb0ELi512EEEvPfS3_PT_PKS4_PKT0_SA_ifPKiSC_iPKfiiiSE_SE_iiiii, .Lfunc_end205-_ZN4vllm22paged_attention_kernelI14__hip_bfloat16S1_Li256ELi32ELi128ELNS_18Fp8KVCacheDataTypeE0ELb0ELi512EEEvPfS3_PT_PKS4_PKT0_SA_ifPKiSC_iPKfiiiSE_SE_iiiii
                                        ; -- End function
	.section	.AMDGPU.csdata,"",@progbits
; Function info:
; codeLenInByte = 66376
; NumSgprs: 35
; NumVgprs: 192
; ScratchSize: 1028
; MemoryBound: 0
	.section	.text._ZN4vllm25paged_attention_v2_kernelI14__hip_bfloat16S1_Li256ELi32ELi128ELNS_18Fp8KVCacheDataTypeE0ELb0ELi512EEEvPfS3_PT_PKS4_PKT0_SA_ifPKiSC_iPKfiiiSE_SE_iiiii,"axG",@progbits,_ZN4vllm25paged_attention_v2_kernelI14__hip_bfloat16S1_Li256ELi32ELi128ELNS_18Fp8KVCacheDataTypeE0ELb0ELi512EEEvPfS3_PT_PKS4_PKT0_SA_ifPKiSC_iPKfiiiSE_SE_iiiii,comdat
	.protected	_ZN4vllm25paged_attention_v2_kernelI14__hip_bfloat16S1_Li256ELi32ELi128ELNS_18Fp8KVCacheDataTypeE0ELb0ELi512EEEvPfS3_PT_PKS4_PKT0_SA_ifPKiSC_iPKfiiiSE_SE_iiiii ; -- Begin function _ZN4vllm25paged_attention_v2_kernelI14__hip_bfloat16S1_Li256ELi32ELi128ELNS_18Fp8KVCacheDataTypeE0ELb0ELi512EEEvPfS3_PT_PKS4_PKT0_SA_ifPKiSC_iPKfiiiSE_SE_iiiii
	.globl	_ZN4vllm25paged_attention_v2_kernelI14__hip_bfloat16S1_Li256ELi32ELi128ELNS_18Fp8KVCacheDataTypeE0ELb0ELi512EEEvPfS3_PT_PKS4_PKT0_SA_ifPKiSC_iPKfiiiSE_SE_iiiii
	.p2align	8
	.type	_ZN4vllm25paged_attention_v2_kernelI14__hip_bfloat16S1_Li256ELi32ELi128ELNS_18Fp8KVCacheDataTypeE0ELb0ELi512EEEvPfS3_PT_PKS4_PKT0_SA_ifPKiSC_iPKfiiiSE_SE_iiiii,@function
_ZN4vllm25paged_attention_v2_kernelI14__hip_bfloat16S1_Li256ELi32ELi128ELNS_18Fp8KVCacheDataTypeE0ELb0ELi512EEEvPfS3_PT_PKS4_PKT0_SA_ifPKiSC_iPKfiiiSE_SE_iiiii: ; @_ZN4vllm25paged_attention_v2_kernelI14__hip_bfloat16S1_Li256ELi32ELi128ELNS_18Fp8KVCacheDataTypeE0ELb0ELi512EEEvPfS3_PT_PKS4_PKT0_SA_ifPKiSC_iPKfiiiSE_SE_iiiii
; %bb.0:
	s_mov_b32 s12, s13
	s_clause 0x5
	s_load_b256 s[24:31], s[0:1], 0x0
	s_load_b256 s[16:23], s[0:1], 0x20
	s_load_b64 s[2:3], s[0:1], 0x40
	s_load_b64 s[10:11], s[0:1], 0x50
	s_load_b32 s13, s[0:1], 0x48
	s_load_b128 s[4:7], s[0:1], 0x58
	v_mov_b32_e32 v31, v0
	s_add_u32 s8, s0, 0x90
	s_addc_u32 s9, s1, 0
	s_mov_b32 s32, 0
	s_getpc_b64 s[0:1]
	s_add_u32 s0, s0, _ZN4vllm22paged_attention_kernelI14__hip_bfloat16S1_Li256ELi32ELi128ELNS_18Fp8KVCacheDataTypeE0ELb0ELi512EEEvPfS3_PT_PKS4_PKT0_SA_ifPKiSC_iPKfiiiSE_SE_iiiii@rel32@lo+4
	s_addc_u32 s1, s1, _ZN4vllm22paged_attention_kernelI14__hip_bfloat16S1_Li256ELi32ELi128ELNS_18Fp8KVCacheDataTypeE0ELb0ELi512EEEvPfS3_PT_PKS4_PKT0_SA_ifPKiSC_iPKfiiiSE_SE_iiiii@rel32@hi+12
	s_waitcnt lgkmcnt(0)
	v_dual_mov_b32 v0, s24 :: v_dual_mov_b32 v1, s25
	v_dual_mov_b32 v2, s26 :: v_dual_mov_b32 v3, s27
	;; [unrolled: 1-line block ×12, first 2 shown]
	s_mov_b32 s13, s14
	s_mov_b32 s14, s15
	;; [unrolled: 1-line block ×3, first 2 shown]
	s_swappc_b64 s[30:31], s[0:1]
	s_endpgm
	.section	.rodata,"a",@progbits
	.p2align	6, 0x0
	.amdhsa_kernel _ZN4vllm25paged_attention_v2_kernelI14__hip_bfloat16S1_Li256ELi32ELi128ELNS_18Fp8KVCacheDataTypeE0ELb0ELi512EEEvPfS3_PT_PKS4_PKT0_SA_ifPKiSC_iPKfiiiSE_SE_iiiii
		.amdhsa_group_segment_fixed_size 544
		.amdhsa_private_segment_fixed_size 1028
		.amdhsa_kernarg_size 400
		.amdhsa_user_sgpr_count 13
		.amdhsa_user_sgpr_dispatch_ptr 0
		.amdhsa_user_sgpr_queue_ptr 0
		.amdhsa_user_sgpr_kernarg_segment_ptr 1
		.amdhsa_user_sgpr_dispatch_id 0
		.amdhsa_user_sgpr_private_segment_size 0
		.amdhsa_wavefront_size32 1
		.amdhsa_uses_dynamic_stack 0
		.amdhsa_enable_private_segment 1
		.amdhsa_system_sgpr_workgroup_id_x 1
		.amdhsa_system_sgpr_workgroup_id_y 1
		.amdhsa_system_sgpr_workgroup_id_z 1
		.amdhsa_system_sgpr_workgroup_info 0
		.amdhsa_system_vgpr_workitem_id 0
		.amdhsa_next_free_vgpr 192
		.amdhsa_next_free_sgpr 33
		.amdhsa_reserve_vcc 1
		.amdhsa_float_round_mode_32 0
		.amdhsa_float_round_mode_16_64 0
		.amdhsa_float_denorm_mode_32 3
		.amdhsa_float_denorm_mode_16_64 3
		.amdhsa_dx10_clamp 1
		.amdhsa_ieee_mode 1
		.amdhsa_fp16_overflow 0
		.amdhsa_workgroup_processor_mode 1
		.amdhsa_memory_ordered 1
		.amdhsa_forward_progress 0
		.amdhsa_shared_vgpr_count 0
		.amdhsa_exception_fp_ieee_invalid_op 0
		.amdhsa_exception_fp_denorm_src 0
		.amdhsa_exception_fp_ieee_div_zero 0
		.amdhsa_exception_fp_ieee_overflow 0
		.amdhsa_exception_fp_ieee_underflow 0
		.amdhsa_exception_fp_ieee_inexact 0
		.amdhsa_exception_int_div_zero 0
	.end_amdhsa_kernel
	.section	.text._ZN4vllm25paged_attention_v2_kernelI14__hip_bfloat16S1_Li256ELi32ELi128ELNS_18Fp8KVCacheDataTypeE0ELb0ELi512EEEvPfS3_PT_PKS4_PKT0_SA_ifPKiSC_iPKfiiiSE_SE_iiiii,"axG",@progbits,_ZN4vllm25paged_attention_v2_kernelI14__hip_bfloat16S1_Li256ELi32ELi128ELNS_18Fp8KVCacheDataTypeE0ELb0ELi512EEEvPfS3_PT_PKS4_PKT0_SA_ifPKiSC_iPKfiiiSE_SE_iiiii,comdat
.Lfunc_end206:
	.size	_ZN4vllm25paged_attention_v2_kernelI14__hip_bfloat16S1_Li256ELi32ELi128ELNS_18Fp8KVCacheDataTypeE0ELb0ELi512EEEvPfS3_PT_PKS4_PKT0_SA_ifPKiSC_iPKfiiiSE_SE_iiiii, .Lfunc_end206-_ZN4vllm25paged_attention_v2_kernelI14__hip_bfloat16S1_Li256ELi32ELi128ELNS_18Fp8KVCacheDataTypeE0ELb0ELi512EEEvPfS3_PT_PKS4_PKT0_SA_ifPKiSC_iPKfiiiSE_SE_iiiii
                                        ; -- End function
	.section	.AMDGPU.csdata,"",@progbits
; Kernel info:
; codeLenInByte = 216
; NumSgprs: 35
; NumVgprs: 192
; ScratchSize: 1028
; MemoryBound: 0
; FloatMode: 240
; IeeeMode: 1
; LDSByteSize: 544 bytes/workgroup (compile time only)
; SGPRBlocks: 4
; VGPRBlocks: 23
; NumSGPRsForWavesPerEU: 35
; NumVGPRsForWavesPerEU: 192
; Occupancy: 8
; WaveLimiterHint : 1
; COMPUTE_PGM_RSRC2:SCRATCH_EN: 1
; COMPUTE_PGM_RSRC2:USER_SGPR: 13
; COMPUTE_PGM_RSRC2:TRAP_HANDLER: 0
; COMPUTE_PGM_RSRC2:TGID_X_EN: 1
; COMPUTE_PGM_RSRC2:TGID_Y_EN: 1
; COMPUTE_PGM_RSRC2:TGID_Z_EN: 1
; COMPUTE_PGM_RSRC2:TIDIG_COMP_CNT: 0
	.section	.text._ZN4vllm25paged_attention_v2_kernelIfhLi32ELi8ELi128ELNS_18Fp8KVCacheDataTypeE1ELb1ELi512EEEvPfS2_PT_PKS3_PKT0_S9_ifPKiSB_iPKfiiiSD_SD_iiiii,"axG",@progbits,_ZN4vllm25paged_attention_v2_kernelIfhLi32ELi8ELi128ELNS_18Fp8KVCacheDataTypeE1ELb1ELi512EEEvPfS2_PT_PKS3_PKT0_S9_ifPKiSB_iPKfiiiSD_SD_iiiii,comdat
	.protected	_ZN4vllm25paged_attention_v2_kernelIfhLi32ELi8ELi128ELNS_18Fp8KVCacheDataTypeE1ELb1ELi512EEEvPfS2_PT_PKS3_PKT0_S9_ifPKiSB_iPKfiiiSD_SD_iiiii ; -- Begin function _ZN4vllm25paged_attention_v2_kernelIfhLi32ELi8ELi128ELNS_18Fp8KVCacheDataTypeE1ELb1ELi512EEEvPfS2_PT_PKS3_PKT0_S9_ifPKiSB_iPKfiiiSD_SD_iiiii
	.globl	_ZN4vllm25paged_attention_v2_kernelIfhLi32ELi8ELi128ELNS_18Fp8KVCacheDataTypeE1ELb1ELi512EEEvPfS2_PT_PKS3_PKT0_S9_ifPKiSB_iPKfiiiSD_SD_iiiii
	.p2align	8
	.type	_ZN4vllm25paged_attention_v2_kernelIfhLi32ELi8ELi128ELNS_18Fp8KVCacheDataTypeE1ELb1ELi512EEEvPfS2_PT_PKS3_PKT0_S9_ifPKiSB_iPKfiiiSD_SD_iiiii,@function
_ZN4vllm25paged_attention_v2_kernelIfhLi32ELi8ELi128ELNS_18Fp8KVCacheDataTypeE1ELb1ELi512EEEvPfS2_PT_PKS3_PKT0_S9_ifPKiSB_iPKfiiiSD_SD_iiiii: ; @_ZN4vllm25paged_attention_v2_kernelIfhLi32ELi8ELi128ELNS_18Fp8KVCacheDataTypeE1ELb1ELi512EEEvPfS2_PT_PKS3_PKT0_S9_ifPKiSB_iPKfiiiSD_SD_iiiii
; %bb.0:
	s_load_b64 s[2:3], s[0:1], 0x40
	s_mov_b32 s12, s15
	s_ashr_i32 s15, s14, 31
	s_delay_alu instid0(SALU_CYCLE_1)
	s_lshl_b64 s[4:5], s[14:15], 2
	s_waitcnt lgkmcnt(0)
	s_add_u32 s2, s2, s4
	s_addc_u32 s3, s3, s5
	s_lshl_b32 s40, s12, 9
	s_load_b32 s15, s[2:3], 0x0
	s_waitcnt lgkmcnt(0)
	s_cmp_ge_i32 s40, s15
	s_cbranch_scc1 .LBB207_192
; %bb.1:
	s_mov_b32 s28, s13
	s_clause 0x1
	s_load_b32 s13, s[0:1], 0x90
	s_load_b64 s[38:39], s[0:1], 0x30
	s_mov_b32 s44, 0
	s_waitcnt lgkmcnt(0)
	s_abs_i32 s5, s13
	s_abs_i32 s2, s38
	s_delay_alu instid0(SALU_CYCLE_1) | instskip(SKIP_1) | instid1(VALU_DEP_1)
	v_cvt_f32_u32_e32 v1, s2
	s_sub_i32 s4, 0, s2
	v_rcp_iflag_f32_e32 v1, v1
	s_waitcnt_depctr 0xfff
	v_mul_f32_e32 v1, 0x4f7ffffe, v1
	s_delay_alu instid0(VALU_DEP_1) | instskip(NEXT) | instid1(VALU_DEP_1)
	v_cvt_u32_f32_e32 v1, v1
	v_readfirstlane_b32 s3, v1
	s_delay_alu instid0(VALU_DEP_1) | instskip(NEXT) | instid1(SALU_CYCLE_1)
	s_mul_i32 s4, s4, s3
	s_mul_hi_u32 s4, s3, s4
	s_delay_alu instid0(SALU_CYCLE_1) | instskip(SKIP_4) | instid1(SALU_CYCLE_1)
	s_add_i32 s3, s3, s4
	s_xor_b32 s4, s13, s38
	s_mul_hi_u32 s3, s5, s3
	s_ashr_i32 s4, s4, 31
	s_mul_i32 s6, s3, s2
	s_sub_i32 s5, s5, s6
	s_add_i32 s6, s3, 1
	s_sub_i32 s7, s5, s2
	s_cmp_ge_u32 s5, s2
	s_cselect_b32 s3, s6, s3
	s_cselect_b32 s5, s7, s5
	s_add_i32 s6, s3, 1
	s_cmp_ge_u32 s5, s2
	s_cselect_b32 s2, s6, s3
	s_abs_i32 s9, s28
	s_xor_b32 s2, s2, s4
	s_delay_alu instid0(SALU_CYCLE_1) | instskip(SKIP_2) | instid1(SALU_CYCLE_1)
	s_sub_i32 s11, s2, s4
	s_load_b64 s[2:3], s[0:1], 0x50
	s_abs_i32 s8, s11
	v_cvt_f32_u32_e32 v1, s8
	s_sub_i32 s5, 0, s8
	s_delay_alu instid0(VALU_DEP_1) | instskip(SKIP_2) | instid1(VALU_DEP_1)
	v_rcp_iflag_f32_e32 v1, v1
	s_waitcnt_depctr 0xfff
	v_mul_f32_e32 v1, 0x4f7ffffe, v1
	v_cvt_u32_f32_e32 v1, v1
	s_delay_alu instid0(VALU_DEP_1) | instskip(NEXT) | instid1(VALU_DEP_1)
	v_readfirstlane_b32 s4, v1
	s_mul_i32 s5, s5, s4
	s_delay_alu instid0(SALU_CYCLE_1) | instskip(NEXT) | instid1(SALU_CYCLE_1)
	s_mul_hi_u32 s5, s4, s5
	s_add_i32 s4, s4, s5
	s_waitcnt lgkmcnt(0)
	s_cmp_eq_u64 s[2:3], 0
	s_mul_hi_u32 s10, s9, s4
	s_cbranch_scc1 .LBB207_3
; %bb.2:
	s_ashr_i32 s29, s28, 31
	s_delay_alu instid0(SALU_CYCLE_1) | instskip(NEXT) | instid1(SALU_CYCLE_1)
	s_lshl_b64 s[4:5], s[28:29], 2
	s_add_u32 s2, s2, s4
	s_addc_u32 s3, s3, s5
	s_load_b32 s44, s[2:3], 0x0
.LBB207_3:
	s_load_b128 s[4:7], s[0:1], 0x58
	v_and_b32_e32 v20, 3, v0
	v_cmp_gt_u32_e64 s2, 32, v0
	v_lshlrev_b32_e32 v19, 2, v0
	s_ashr_i32 s3, s28, 31
	s_waitcnt lgkmcnt(0)
	s_ashr_i32 s7, s11, 31
	s_lshl_b32 s24, s28, 5
	s_and_saveexec_b32 s11, s2
	s_cbranch_execz .LBB207_5
; %bb.4:
	s_load_b64 s[16:17], s[0:1], 0x18
	s_mul_i32 s18, s14, s4
	v_and_b32_e32 v2, 0x3fc, v0
	s_ashr_i32 s19, s18, 31
	s_delay_alu instid0(SALU_CYCLE_1) | instskip(NEXT) | instid1(VALU_DEP_1)
	s_lshl_b64 s[18:19], s[18:19], 2
	v_lshl_add_u32 v2, v20, 5, v2
	s_waitcnt lgkmcnt(0)
	s_add_u32 s4, s16, s18
	s_addc_u32 s18, s17, s19
	s_ashr_i32 s25, s24, 31
	s_delay_alu instid0(SALU_CYCLE_1) | instskip(NEXT) | instid1(SALU_CYCLE_1)
	s_lshl_b64 s[16:17], s[24:25], 2
	s_add_u32 s16, s4, s16
	s_addc_u32 s17, s18, s17
	global_load_b32 v1, v19, s[16:17]
	s_waitcnt vmcnt(0)
	ds_store_b32 v2, v1
.LBB207_5:
	s_or_b32 exec_lo, exec_lo, s11
	s_load_b128 s[16:19], s[0:1], 0x78
	s_mul_i32 s4, s10, s8
	s_xor_b32 s3, s3, s7
	s_sub_i32 s4, s9, s4
	s_add_i32 s7, s10, 1
	s_sub_i32 s9, s4, s8
	s_cmp_ge_u32 s4, s8
	s_waitcnt lgkmcnt(0)
	s_cselect_b32 s7, s7, s10
	s_cselect_b32 s4, s9, s4
	s_add_i32 s9, s7, 1
	s_cmp_ge_u32 s4, s8
	s_barrier
	s_cselect_b32 s4, s9, s7
	s_load_b32 s7, s[0:1], 0x88
	s_xor_b32 s4, s4, s3
	s_add_i32 s8, s15, -1
	s_sub_i32 s42, s4, s3
	s_abs_i32 s4, s8
	s_mov_b32 s9, -1
	s_abs_i32 s25, s19
	s_waitcnt lgkmcnt(0)
	buffer_gl0_inv
	v_cvt_f32_u32_e32 v1, s25
	s_sub_i32 s3, 0, s25
                                        ; implicit-def: $sgpr33
	s_delay_alu instid0(VALU_DEP_1) | instskip(SKIP_2) | instid1(VALU_DEP_1)
	v_rcp_iflag_f32_e32 v1, v1
	s_waitcnt_depctr 0xfff
	v_mul_f32_e32 v1, 0x4f7ffffe, v1
	v_cvt_u32_f32_e32 v1, v1
	s_delay_alu instid0(VALU_DEP_1) | instskip(NEXT) | instid1(VALU_DEP_1)
	v_readfirstlane_b32 s29, v1
	s_mul_i32 s3, s3, s29
	s_delay_alu instid0(SALU_CYCLE_1) | instskip(NEXT) | instid1(SALU_CYCLE_1)
	s_mul_hi_u32 s3, s29, s3
	s_add_i32 s29, s29, s3
	s_cmp_lt_i32 s7, 0
	s_mul_hi_u32 s3, s4, s29
	s_cbranch_scc0 .LBB207_7
; %bb.6:
	s_mul_i32 s9, s16, s38
	s_delay_alu instid0(SALU_CYCLE_1) | instskip(NEXT) | instid1(SALU_CYCLE_1)
	s_add_i32 s9, s42, s9
	s_mul_i32 s9, s9, s7
	s_delay_alu instid0(SALU_CYCLE_1)
	s_sub_i32 s33, 1, s9
	s_mov_b32 s9, 0
.LBB207_7:
	s_load_b64 s[30:31], s[0:1], 0x38
	s_ashr_i32 s34, s8, 31
	s_and_not1_b32 vcc_lo, exec_lo, s9
	s_ashr_i32 s19, s19, 31
	s_cbranch_vccnz .LBB207_9
; %bb.8:
	s_mul_i32 s8, s13, s16
	s_delay_alu instid0(SALU_CYCLE_1) | instskip(NEXT) | instid1(SALU_CYCLE_1)
	s_add_i32 s8, s8, s28
	s_mul_i32 s7, s8, s7
	s_delay_alu instid0(SALU_CYCLE_1)
	s_add_i32 s33, s7, 1
.LBB207_9:
	s_clause 0x5
	s_load_b32 s7, s[0:1], 0x48
	s_load_b64 s[36:37], s[0:1], 0x28
	s_load_b128 s[20:23], s[0:1], 0x0
	s_load_b64 s[26:27], s[0:1], 0x10
	s_load_b32 s16, s[0:1], 0x98
	s_load_b128 s[8:11], s[0:1], 0x68
	s_xor_b32 s43, s34, s19
	s_mul_i32 s34, s3, s25
	s_add_i32 s38, s3, 1
	s_sub_i32 s4, s4, s34
	v_lshrrev_b32_e32 v22, 5, v0
	v_mov_b32_e32 v24, 0xff7fffff
	v_mbcnt_lo_u32_b32 v21, -1, 0
	s_mul_i32 s42, s42, s6
	s_delay_alu instid0(VALU_DEP_3)
	v_lshl_add_u32 v23, v22, 3, s40
	s_waitcnt lgkmcnt(0)
	s_mul_i32 s34, s14, s7
	s_sub_i32 s7, s4, s25
	s_ashr_i32 s35, s34, 31
	s_cmp_ge_u32 s4, s25
	s_cselect_b32 s3, s38, s3
	s_cselect_b32 s4, s7, s4
	s_add_i32 s7, s3, 1
	s_cmp_ge_u32 s4, s25
	s_cselect_b32 s3, s7, s3
	s_add_i32 s4, s15, 7
	s_lshl_b32 s7, s12, 6
	s_ashr_i32 s38, s4, 31
	v_or_b32_e32 v9, s7, v22
	s_lshr_b32 s38, s38, 29
	s_delay_alu instid0(SALU_CYCLE_1)
	s_add_i32 s4, s4, s38
	s_add_i32 s38, s7, 64
	s_ashr_i32 s41, s4, 3
	s_xor_b32 s4, s3, s43
	s_min_i32 s38, s38, s41
	v_ashrrev_i32_e32 v10, 31, v9
	v_cmp_gt_i32_e64 s3, s38, v9
	s_sub_i32 s43, s4, s43
	s_delay_alu instid0(VALU_DEP_1)
	s_and_saveexec_b32 s6, s3
	s_cbranch_execz .LBB207_83
; %bb.10:
	s_load_b64 s[0:1], s[0:1], 0x20
	s_sub_i32 s45, s43, s17
	s_ashr_i32 s4, s42, 31
	v_bfe_u32 v25, v0, 2, 3
	v_mov_b32_e32 v28, 0xff7fffff
	v_cmp_eq_u32_e32 vcc_lo, 0, v20
	v_lshlrev_b32_e32 v26, 5, v20
	v_lshl_add_u32 v27, v22, 3, s40
	v_lshlrev_b32_e32 v7, 4, v25
	v_lshlrev_b32_e32 v4, 2, v25
	v_subrev_nc_u32_e32 v5, s15, v25
	v_mov_b32_e32 v24, 0xff7fffff
	v_mov_b32_e32 v12, 0
	;; [unrolled: 1-line block ×3, first 2 shown]
	v_lshl_or_b32 v4, v22, 5, v4
	v_add_nc_u32_e32 v29, 1, v5
	s_delay_alu instid0(VALU_DEP_2)
	v_add_nc_u32_e32 v30, 0xa0, v4
	s_waitcnt lgkmcnt(0)
	s_add_u32 s47, s0, s42
	s_addc_u32 s1, s1, s4
	s_abs_i32 s46, s18
	s_lshl_b64 s[48:49], s[34:35], 2
	v_cvt_f32_u32_e32 v1, s46
	s_sub_i32 s4, 0, s46
	v_cmp_neq_f32_e64 s0, s44, 0
	s_delay_alu instid0(VALU_DEP_2) | instskip(SKIP_3) | instid1(VALU_DEP_2)
	v_rcp_iflag_f32_e32 v1, v1
	s_waitcnt_depctr 0xfff
	v_mul_f32_e32 v3, 0x4f7ffffe, v1
	v_lshlrev_b64 v[1:2], 2, v[9:10]
	v_cvt_u32_f32_e32 v3, v3
	s_delay_alu instid0(VALU_DEP_1) | instskip(SKIP_1) | instid1(VALU_DEP_1)
	v_mul_lo_u32 v6, s4, v3
	v_add_co_u32 v13, s4, s47, v7
	v_add_co_ci_u32_e64 v14, null, s1, 0, s4
	s_add_u32 s1, s30, s48
	s_addc_u32 s4, s31, s49
	v_add_co_u32 v15, s1, s1, v1
	s_delay_alu instid0(VALU_DEP_4) | instskip(SKIP_3) | instid1(VALU_DEP_2)
	v_mul_hi_u32 v4, v3, v6
	v_add_co_ci_u32_e64 v16, s1, s4, v2, s1
	s_mov_b32 s47, 0
	s_mov_b32 s48, s5
	v_add_nc_u32_e32 v31, v3, v4
	s_branch .LBB207_13
.LBB207_11:                             ;   in Loop: Header=BB207_13 Depth=1
	s_or_b32 exec_lo, exec_lo, s49
.LBB207_12:                             ;   in Loop: Header=BB207_13 Depth=1
	s_delay_alu instid0(SALU_CYCLE_1) | instskip(SKIP_2) | instid1(VALU_DEP_1)
	s_or_b32 exec_lo, exec_lo, s4
	v_add_nc_u32_e32 v32, 4, v32
	v_add_co_u32 v15, s4, v15, 16
	v_add_co_ci_u32_e64 v16, s4, 0, v16, s4
	s_delay_alu instid0(VALU_DEP_3) | instskip(SKIP_2) | instid1(VALU_DEP_3)
	v_cmp_le_i32_e64 s1, s38, v32
	v_add_nc_u32_e32 v27, 32, v27
	v_add_nc_u32_e32 v30, 0x80, v30
	s_or_b32 s47, s1, s47
	s_delay_alu instid0(SALU_CYCLE_1)
	s_and_not1_b32 exec_lo, exec_lo, s47
	s_cbranch_execz .LBB207_82
.LBB207_13:                             ; =>This Inner Loop Header: Depth=1
	v_sub_nc_u32_e32 v1, 0, v27
	s_delay_alu instid0(VALU_DEP_1) | instskip(SKIP_1) | instid1(VALU_DEP_1)
	v_max_i32_e32 v1, v27, v1
	s_waitcnt lgkmcnt(0)
	v_mul_hi_u32 v2, v1, s29
	s_delay_alu instid0(VALU_DEP_1) | instskip(NEXT) | instid1(VALU_DEP_1)
	v_mul_lo_u32 v3, v2, s25
	v_sub_nc_u32_e32 v1, v1, v3
	v_add_nc_u32_e32 v3, 1, v2
	s_delay_alu instid0(VALU_DEP_2) | instskip(SKIP_1) | instid1(VALU_DEP_1)
	v_subrev_nc_u32_e32 v4, s25, v1
	v_cmp_le_u32_e64 s1, s25, v1
	v_cndmask_b32_e64 v2, v2, v3, s1
	s_delay_alu instid0(VALU_DEP_3) | instskip(SKIP_1) | instid1(VALU_DEP_3)
	v_cndmask_b32_e64 v1, v1, v4, s1
	v_ashrrev_i32_e32 v3, 31, v27
	v_add_nc_u32_e32 v4, 1, v2
	s_delay_alu instid0(VALU_DEP_3) | instskip(NEXT) | instid1(VALU_DEP_3)
	v_cmp_le_u32_e64 s1, s25, v1
	v_xor_b32_e32 v3, s19, v3
	s_delay_alu instid0(VALU_DEP_2) | instskip(NEXT) | instid1(VALU_DEP_1)
	v_cndmask_b32_e64 v1, v2, v4, s1
	v_xor_b32_e32 v1, v1, v3
	s_delay_alu instid0(VALU_DEP_1) | instskip(NEXT) | instid1(VALU_DEP_1)
	v_sub_nc_u32_e32 v1, v1, v3
	v_add_nc_u32_e32 v2, s33, v1
	v_cmp_ge_i32_e64 s4, s45, v1
	s_delay_alu instid0(VALU_DEP_2) | instskip(NEXT) | instid1(VALU_DEP_1)
	v_sub_nc_u32_e32 v3, 0, v2
	v_max_i32_e32 v3, v2, v3
	v_ashrrev_i32_e32 v2, 31, v2
	s_delay_alu instid0(VALU_DEP_2) | instskip(NEXT) | instid1(VALU_DEP_1)
	v_mul_hi_u32 v4, v3, v31
	v_mul_lo_u32 v4, v4, s46
	s_delay_alu instid0(VALU_DEP_1) | instskip(NEXT) | instid1(VALU_DEP_1)
	v_sub_nc_u32_e32 v3, v3, v4
	v_subrev_nc_u32_e32 v4, s46, v3
	v_cmp_le_u32_e64 s1, s46, v3
	s_delay_alu instid0(VALU_DEP_1) | instskip(NEXT) | instid1(VALU_DEP_1)
	v_cndmask_b32_e64 v3, v3, v4, s1
	v_subrev_nc_u32_e32 v4, s46, v3
	v_cmp_le_u32_e64 s1, s46, v3
	s_delay_alu instid0(VALU_DEP_1) | instskip(NEXT) | instid1(VALU_DEP_1)
	v_cndmask_b32_e64 v3, v3, v4, s1
	v_xor_b32_e32 v3, v3, v2
	s_delay_alu instid0(VALU_DEP_1) | instskip(NEXT) | instid1(VALU_DEP_1)
	v_sub_nc_u32_e32 v2, v3, v2
	v_cmp_ne_u32_e64 s1, 0, v2
	s_delay_alu instid0(VALU_DEP_1) | instskip(NEXT) | instid1(SALU_CYCLE_1)
	s_and_b32 s1, s1, s4
	s_and_b32 s49, vcc_lo, s1
	s_delay_alu instid0(SALU_CYCLE_1)
	s_and_saveexec_b32 s4, s49
	s_cbranch_execz .LBB207_15
; %bb.14:                               ;   in Loop: Header=BB207_13 Depth=1
	ds_store_b32 v30, v28
.LBB207_15:                             ;   in Loop: Header=BB207_13 Depth=1
	s_or_b32 exec_lo, exec_lo, s4
	s_xor_b32 s1, s1, -1
	s_delay_alu instid0(SALU_CYCLE_1)
	s_and_saveexec_b32 s4, s1
	s_cbranch_execz .LBB207_12
; %bb.16:                               ;   in Loop: Header=BB207_13 Depth=1
	global_load_b32 v3, v[15:16], off
	v_dual_mov_b32 v33, 0 :: v_dual_mov_b32 v34, 0
	s_mov_b32 s50, exec_lo
	s_waitcnt vmcnt(0)
	v_mad_i64_i32 v[1:2], null, v3, s48, v[13:14]
	s_delay_alu instid0(VALU_DEP_1) | instskip(NEXT) | instid1(VALU_DEP_1)
	v_add_co_u32 v17, s1, v1, v20
	v_add_co_ci_u32_e64 v18, s1, 0, v2, s1
	global_load_u8 v35, v[17:18], off
	ds_load_b128 v[5:8], v26
	ds_load_b128 v[1:4], v26 offset:16
	s_load_b32 s49, s[8:9], 0x0
	s_waitcnt vmcnt(0)
	v_cmpx_ne_u16_e32 0, v35
	s_cbranch_execz .LBB207_24
; %bb.17:                               ;   in Loop: Header=BB207_13 Depth=1
	v_bfrev_b32_e32 v34, 1
	s_mov_b32 s51, exec_lo
	v_cmpx_ne_u16_e32 0x80, v35
	s_cbranch_execz .LBB207_23
; %bb.18:                               ;   in Loop: Header=BB207_13 Depth=1
	v_and_b32_e32 v11, 0xffff, v35
	v_mov_b32_e32 v34, 0x7f800001
	s_mov_b32 s52, exec_lo
	s_delay_alu instid0(VALU_DEP_2) | instskip(NEXT) | instid1(VALU_DEP_1)
	v_and_b32_e32 v36, 0x7f, v11
	v_cmpx_ne_u32_e32 0x7f, v36
	s_cbranch_execz .LBB207_22
; %bb.19:                               ;   in Loop: Header=BB207_13 Depth=1
	v_and_b32_e32 v11, 7, v11
	v_lshrrev_b32_e32 v34, 3, v36
	s_mov_b32 s53, exec_lo
	v_cmpx_gt_u32_e32 8, v36
; %bb.20:                               ;   in Loop: Header=BB207_13 Depth=1
	s_delay_alu instid0(VALU_DEP_3) | instskip(NEXT) | instid1(VALU_DEP_1)
	v_clz_i32_u32_e32 v34, v11
	v_min_u32_e32 v34, 32, v34
	s_delay_alu instid0(VALU_DEP_1) | instskip(SKIP_1) | instid1(VALU_DEP_2)
	v_subrev_nc_u32_e32 v36, 28, v34
	v_sub_nc_u32_e32 v34, 29, v34
	v_lshlrev_b64 v[36:37], v36, v[11:12]
	s_delay_alu instid0(VALU_DEP_1)
	v_and_b32_e32 v11, 7, v36
; %bb.21:                               ;   in Loop: Header=BB207_13 Depth=1
	s_or_b32 exec_lo, exec_lo, s53
	v_lshlrev_b32_e32 v35, 24, v35
	s_delay_alu instid0(VALU_DEP_2) | instskip(SKIP_1) | instid1(VALU_DEP_3)
	v_lshlrev_b32_e32 v11, 20, v11
	v_lshl_add_u32 v34, v34, 23, 0x3c000000
	v_and_b32_e32 v35, 0x80000000, v35
	s_delay_alu instid0(VALU_DEP_1)
	v_or3_b32 v34, v11, v35, v34
.LBB207_22:                             ;   in Loop: Header=BB207_13 Depth=1
	s_or_b32 exec_lo, exec_lo, s52
.LBB207_23:                             ;   in Loop: Header=BB207_13 Depth=1
	s_delay_alu instid0(SALU_CYCLE_1)
	s_or_b32 exec_lo, exec_lo, s51
.LBB207_24:                             ;   in Loop: Header=BB207_13 Depth=1
	s_delay_alu instid0(SALU_CYCLE_1)
	s_or_b32 exec_lo, exec_lo, s50
	global_load_u8 v35, v[17:18], off offset:4
	s_mov_b32 s50, exec_lo
	s_waitcnt vmcnt(0)
	v_cmpx_ne_u16_e32 0, v35
	s_cbranch_execz .LBB207_32
; %bb.25:                               ;   in Loop: Header=BB207_13 Depth=1
	v_bfrev_b32_e32 v33, 1
	s_mov_b32 s51, exec_lo
	v_cmpx_ne_u16_e32 0x80, v35
	s_cbranch_execz .LBB207_31
; %bb.26:                               ;   in Loop: Header=BB207_13 Depth=1
	v_and_b32_e32 v11, 0xffff, v35
	v_mov_b32_e32 v33, 0x7f800001
	s_mov_b32 s52, exec_lo
	s_delay_alu instid0(VALU_DEP_2) | instskip(NEXT) | instid1(VALU_DEP_1)
	v_and_b32_e32 v36, 0x7f, v11
	v_cmpx_ne_u32_e32 0x7f, v36
	s_cbranch_execz .LBB207_30
; %bb.27:                               ;   in Loop: Header=BB207_13 Depth=1
	v_and_b32_e32 v11, 7, v11
	v_lshrrev_b32_e32 v33, 3, v36
	s_mov_b32 s53, exec_lo
	v_cmpx_gt_u32_e32 8, v36
; %bb.28:                               ;   in Loop: Header=BB207_13 Depth=1
	s_delay_alu instid0(VALU_DEP_3) | instskip(NEXT) | instid1(VALU_DEP_1)
	v_clz_i32_u32_e32 v33, v11
	v_min_u32_e32 v33, 32, v33
	s_delay_alu instid0(VALU_DEP_1) | instskip(SKIP_1) | instid1(VALU_DEP_2)
	v_subrev_nc_u32_e32 v36, 28, v33
	v_sub_nc_u32_e32 v33, 29, v33
	v_lshlrev_b64 v[36:37], v36, v[11:12]
	s_delay_alu instid0(VALU_DEP_1)
	v_and_b32_e32 v11, 7, v36
; %bb.29:                               ;   in Loop: Header=BB207_13 Depth=1
	s_or_b32 exec_lo, exec_lo, s53
	v_lshlrev_b32_e32 v35, 24, v35
	s_delay_alu instid0(VALU_DEP_2) | instskip(SKIP_1) | instid1(VALU_DEP_3)
	v_lshlrev_b32_e32 v11, 20, v11
	v_lshl_add_u32 v33, v33, 23, 0x3c000000
	v_and_b32_e32 v35, 0x80000000, v35
	s_delay_alu instid0(VALU_DEP_1)
	v_or3_b32 v33, v11, v35, v33
.LBB207_30:                             ;   in Loop: Header=BB207_13 Depth=1
	s_or_b32 exec_lo, exec_lo, s52
.LBB207_31:                             ;   in Loop: Header=BB207_13 Depth=1
	s_delay_alu instid0(SALU_CYCLE_1)
	s_or_b32 exec_lo, exec_lo, s51
.LBB207_32:                             ;   in Loop: Header=BB207_13 Depth=1
	s_delay_alu instid0(SALU_CYCLE_1)
	s_or_b32 exec_lo, exec_lo, s50
	global_load_u8 v37, v[17:18], off offset:8
	v_dual_mov_b32 v35, 0 :: v_dual_mov_b32 v36, 0
	s_mov_b32 s50, exec_lo
	s_waitcnt vmcnt(0)
	v_cmpx_ne_u16_e32 0, v37
	s_cbranch_execz .LBB207_40
; %bb.33:                               ;   in Loop: Header=BB207_13 Depth=1
	v_bfrev_b32_e32 v36, 1
	s_mov_b32 s51, exec_lo
	v_cmpx_ne_u16_e32 0x80, v37
	s_cbranch_execz .LBB207_39
; %bb.34:                               ;   in Loop: Header=BB207_13 Depth=1
	v_and_b32_e32 v11, 0xffff, v37
	v_mov_b32_e32 v36, 0x7f800001
	s_mov_b32 s52, exec_lo
	s_delay_alu instid0(VALU_DEP_2) | instskip(NEXT) | instid1(VALU_DEP_1)
	v_and_b32_e32 v38, 0x7f, v11
	v_cmpx_ne_u32_e32 0x7f, v38
	s_cbranch_execz .LBB207_38
; %bb.35:                               ;   in Loop: Header=BB207_13 Depth=1
	v_and_b32_e32 v11, 7, v11
	v_lshrrev_b32_e32 v36, 3, v38
	s_mov_b32 s53, exec_lo
	v_cmpx_gt_u32_e32 8, v38
; %bb.36:                               ;   in Loop: Header=BB207_13 Depth=1
	s_delay_alu instid0(VALU_DEP_3) | instskip(NEXT) | instid1(VALU_DEP_1)
	v_clz_i32_u32_e32 v36, v11
	v_min_u32_e32 v36, 32, v36
	s_delay_alu instid0(VALU_DEP_1) | instskip(SKIP_1) | instid1(VALU_DEP_2)
	v_subrev_nc_u32_e32 v38, 28, v36
	v_sub_nc_u32_e32 v36, 29, v36
	v_lshlrev_b64 v[38:39], v38, v[11:12]
	s_delay_alu instid0(VALU_DEP_1)
	v_and_b32_e32 v11, 7, v38
; %bb.37:                               ;   in Loop: Header=BB207_13 Depth=1
	s_or_b32 exec_lo, exec_lo, s53
	v_lshlrev_b32_e32 v37, 24, v37
	s_delay_alu instid0(VALU_DEP_2) | instskip(SKIP_1) | instid1(VALU_DEP_3)
	v_lshlrev_b32_e32 v11, 20, v11
	v_lshl_add_u32 v36, v36, 23, 0x3c000000
	v_and_b32_e32 v37, 0x80000000, v37
	s_delay_alu instid0(VALU_DEP_1)
	v_or3_b32 v36, v11, v37, v36
.LBB207_38:                             ;   in Loop: Header=BB207_13 Depth=1
	s_or_b32 exec_lo, exec_lo, s52
.LBB207_39:                             ;   in Loop: Header=BB207_13 Depth=1
	s_delay_alu instid0(SALU_CYCLE_1)
	s_or_b32 exec_lo, exec_lo, s51
.LBB207_40:                             ;   in Loop: Header=BB207_13 Depth=1
	s_delay_alu instid0(SALU_CYCLE_1)
	s_or_b32 exec_lo, exec_lo, s50
	global_load_u8 v37, v[17:18], off offset:12
	s_mov_b32 s50, exec_lo
	s_waitcnt vmcnt(0)
	v_cmpx_ne_u16_e32 0, v37
	s_cbranch_execz .LBB207_48
; %bb.41:                               ;   in Loop: Header=BB207_13 Depth=1
	v_bfrev_b32_e32 v35, 1
	s_mov_b32 s51, exec_lo
	v_cmpx_ne_u16_e32 0x80, v37
	s_cbranch_execz .LBB207_47
; %bb.42:                               ;   in Loop: Header=BB207_13 Depth=1
	v_and_b32_e32 v11, 0xffff, v37
	v_mov_b32_e32 v35, 0x7f800001
	s_mov_b32 s52, exec_lo
	s_delay_alu instid0(VALU_DEP_2) | instskip(NEXT) | instid1(VALU_DEP_1)
	v_and_b32_e32 v38, 0x7f, v11
	v_cmpx_ne_u32_e32 0x7f, v38
	s_cbranch_execz .LBB207_46
; %bb.43:                               ;   in Loop: Header=BB207_13 Depth=1
	v_and_b32_e32 v11, 7, v11
	v_lshrrev_b32_e32 v35, 3, v38
	s_mov_b32 s53, exec_lo
	v_cmpx_gt_u32_e32 8, v38
; %bb.44:                               ;   in Loop: Header=BB207_13 Depth=1
	s_delay_alu instid0(VALU_DEP_3) | instskip(NEXT) | instid1(VALU_DEP_1)
	v_clz_i32_u32_e32 v35, v11
	v_min_u32_e32 v35, 32, v35
	s_delay_alu instid0(VALU_DEP_1) | instskip(SKIP_1) | instid1(VALU_DEP_2)
	v_subrev_nc_u32_e32 v38, 28, v35
	v_sub_nc_u32_e32 v35, 29, v35
	v_lshlrev_b64 v[38:39], v38, v[11:12]
	s_delay_alu instid0(VALU_DEP_1)
	v_and_b32_e32 v11, 7, v38
; %bb.45:                               ;   in Loop: Header=BB207_13 Depth=1
	s_or_b32 exec_lo, exec_lo, s53
	v_lshlrev_b32_e32 v37, 24, v37
	s_delay_alu instid0(VALU_DEP_2) | instskip(SKIP_1) | instid1(VALU_DEP_3)
	v_lshlrev_b32_e32 v11, 20, v11
	v_lshl_add_u32 v35, v35, 23, 0x3c000000
	v_and_b32_e32 v37, 0x80000000, v37
	s_delay_alu instid0(VALU_DEP_1)
	v_or3_b32 v35, v11, v37, v35
.LBB207_46:                             ;   in Loop: Header=BB207_13 Depth=1
	s_or_b32 exec_lo, exec_lo, s52
.LBB207_47:                             ;   in Loop: Header=BB207_13 Depth=1
	s_delay_alu instid0(SALU_CYCLE_1)
	s_or_b32 exec_lo, exec_lo, s51
.LBB207_48:                             ;   in Loop: Header=BB207_13 Depth=1
	s_delay_alu instid0(SALU_CYCLE_1)
	s_or_b32 exec_lo, exec_lo, s50
	global_load_u8 v39, v[17:18], off offset:128
	v_dual_mov_b32 v37, 0 :: v_dual_mov_b32 v38, 0
	s_mov_b32 s50, exec_lo
	s_waitcnt vmcnt(0)
	v_cmpx_ne_u16_e32 0, v39
	s_cbranch_execz .LBB207_56
; %bb.49:                               ;   in Loop: Header=BB207_13 Depth=1
	v_bfrev_b32_e32 v38, 1
	s_mov_b32 s51, exec_lo
	v_cmpx_ne_u16_e32 0x80, v39
	s_cbranch_execz .LBB207_55
; %bb.50:                               ;   in Loop: Header=BB207_13 Depth=1
	v_and_b32_e32 v11, 0xffff, v39
	v_mov_b32_e32 v38, 0x7f800001
	s_mov_b32 s52, exec_lo
	s_delay_alu instid0(VALU_DEP_2) | instskip(NEXT) | instid1(VALU_DEP_1)
	v_and_b32_e32 v40, 0x7f, v11
	v_cmpx_ne_u32_e32 0x7f, v40
	s_cbranch_execz .LBB207_54
; %bb.51:                               ;   in Loop: Header=BB207_13 Depth=1
	v_and_b32_e32 v11, 7, v11
	v_lshrrev_b32_e32 v38, 3, v40
	s_mov_b32 s53, exec_lo
	v_cmpx_gt_u32_e32 8, v40
; %bb.52:                               ;   in Loop: Header=BB207_13 Depth=1
	s_delay_alu instid0(VALU_DEP_3) | instskip(NEXT) | instid1(VALU_DEP_1)
	v_clz_i32_u32_e32 v38, v11
	v_min_u32_e32 v38, 32, v38
	s_delay_alu instid0(VALU_DEP_1) | instskip(SKIP_1) | instid1(VALU_DEP_2)
	v_subrev_nc_u32_e32 v40, 28, v38
	v_sub_nc_u32_e32 v38, 29, v38
	v_lshlrev_b64 v[40:41], v40, v[11:12]
	s_delay_alu instid0(VALU_DEP_1)
	v_and_b32_e32 v11, 7, v40
; %bb.53:                               ;   in Loop: Header=BB207_13 Depth=1
	s_or_b32 exec_lo, exec_lo, s53
	v_lshlrev_b32_e32 v39, 24, v39
	s_delay_alu instid0(VALU_DEP_2) | instskip(SKIP_1) | instid1(VALU_DEP_3)
	v_lshlrev_b32_e32 v11, 20, v11
	v_lshl_add_u32 v38, v38, 23, 0x3c000000
	v_and_b32_e32 v39, 0x80000000, v39
	s_delay_alu instid0(VALU_DEP_1)
	v_or3_b32 v38, v11, v39, v38
.LBB207_54:                             ;   in Loop: Header=BB207_13 Depth=1
	s_or_b32 exec_lo, exec_lo, s52
.LBB207_55:                             ;   in Loop: Header=BB207_13 Depth=1
	s_delay_alu instid0(SALU_CYCLE_1)
	s_or_b32 exec_lo, exec_lo, s51
.LBB207_56:                             ;   in Loop: Header=BB207_13 Depth=1
	s_delay_alu instid0(SALU_CYCLE_1)
	s_or_b32 exec_lo, exec_lo, s50
	global_load_u8 v39, v[17:18], off offset:132
	s_mov_b32 s50, exec_lo
	s_waitcnt vmcnt(0)
	v_cmpx_ne_u16_e32 0, v39
	s_cbranch_execz .LBB207_64
; %bb.57:                               ;   in Loop: Header=BB207_13 Depth=1
	v_bfrev_b32_e32 v37, 1
	s_mov_b32 s51, exec_lo
	v_cmpx_ne_u16_e32 0x80, v39
	s_cbranch_execz .LBB207_63
; %bb.58:                               ;   in Loop: Header=BB207_13 Depth=1
	v_and_b32_e32 v11, 0xffff, v39
	v_mov_b32_e32 v37, 0x7f800001
	s_mov_b32 s52, exec_lo
	s_delay_alu instid0(VALU_DEP_2) | instskip(NEXT) | instid1(VALU_DEP_1)
	v_and_b32_e32 v40, 0x7f, v11
	v_cmpx_ne_u32_e32 0x7f, v40
	s_cbranch_execz .LBB207_62
; %bb.59:                               ;   in Loop: Header=BB207_13 Depth=1
	v_and_b32_e32 v11, 7, v11
	v_lshrrev_b32_e32 v37, 3, v40
	s_mov_b32 s53, exec_lo
	v_cmpx_gt_u32_e32 8, v40
; %bb.60:                               ;   in Loop: Header=BB207_13 Depth=1
	s_delay_alu instid0(VALU_DEP_3) | instskip(NEXT) | instid1(VALU_DEP_1)
	v_clz_i32_u32_e32 v37, v11
	v_min_u32_e32 v37, 32, v37
	s_delay_alu instid0(VALU_DEP_1) | instskip(SKIP_1) | instid1(VALU_DEP_2)
	v_subrev_nc_u32_e32 v40, 28, v37
	v_sub_nc_u32_e32 v37, 29, v37
	v_lshlrev_b64 v[40:41], v40, v[11:12]
	s_delay_alu instid0(VALU_DEP_1)
	v_and_b32_e32 v11, 7, v40
; %bb.61:                               ;   in Loop: Header=BB207_13 Depth=1
	s_or_b32 exec_lo, exec_lo, s53
	v_lshlrev_b32_e32 v39, 24, v39
	s_delay_alu instid0(VALU_DEP_2) | instskip(SKIP_1) | instid1(VALU_DEP_3)
	v_lshlrev_b32_e32 v11, 20, v11
	v_lshl_add_u32 v37, v37, 23, 0x3c000000
	v_and_b32_e32 v39, 0x80000000, v39
	s_delay_alu instid0(VALU_DEP_1)
	v_or3_b32 v37, v11, v39, v37
.LBB207_62:                             ;   in Loop: Header=BB207_13 Depth=1
	s_or_b32 exec_lo, exec_lo, s52
.LBB207_63:                             ;   in Loop: Header=BB207_13 Depth=1
	s_delay_alu instid0(SALU_CYCLE_1)
	s_or_b32 exec_lo, exec_lo, s51
.LBB207_64:                             ;   in Loop: Header=BB207_13 Depth=1
	s_delay_alu instid0(SALU_CYCLE_1) | instskip(SKIP_1) | instid1(VALU_DEP_1)
	s_or_b32 exec_lo, exec_lo, s50
	v_add_co_u32 v17, s1, 0x80, v17
	v_add_co_ci_u32_e64 v18, s1, 0, v18, s1
	v_dual_mov_b32 v39, 0 :: v_dual_mov_b32 v40, 0
	s_mov_b32 s50, exec_lo
	global_load_u8 v41, v[17:18], off offset:8
	s_waitcnt vmcnt(0)
	v_cmpx_ne_u16_e32 0, v41
	s_cbranch_execz .LBB207_72
; %bb.65:                               ;   in Loop: Header=BB207_13 Depth=1
	v_bfrev_b32_e32 v40, 1
	s_mov_b32 s51, exec_lo
	v_cmpx_ne_u16_e32 0x80, v41
	s_cbranch_execz .LBB207_71
; %bb.66:                               ;   in Loop: Header=BB207_13 Depth=1
	v_and_b32_e32 v11, 0xffff, v41
	v_mov_b32_e32 v40, 0x7f800001
	s_mov_b32 s52, exec_lo
	s_delay_alu instid0(VALU_DEP_2) | instskip(NEXT) | instid1(VALU_DEP_1)
	v_and_b32_e32 v42, 0x7f, v11
	v_cmpx_ne_u32_e32 0x7f, v42
	s_cbranch_execz .LBB207_70
; %bb.67:                               ;   in Loop: Header=BB207_13 Depth=1
	v_and_b32_e32 v11, 7, v11
	v_lshrrev_b32_e32 v40, 3, v42
	s_mov_b32 s53, exec_lo
	v_cmpx_gt_u32_e32 8, v42
; %bb.68:                               ;   in Loop: Header=BB207_13 Depth=1
	s_delay_alu instid0(VALU_DEP_3) | instskip(NEXT) | instid1(VALU_DEP_1)
	v_clz_i32_u32_e32 v40, v11
	v_min_u32_e32 v40, 32, v40
	s_delay_alu instid0(VALU_DEP_1) | instskip(SKIP_1) | instid1(VALU_DEP_2)
	v_subrev_nc_u32_e32 v42, 28, v40
	v_sub_nc_u32_e32 v40, 29, v40
	v_lshlrev_b64 v[42:43], v42, v[11:12]
	s_delay_alu instid0(VALU_DEP_1)
	v_and_b32_e32 v11, 7, v42
; %bb.69:                               ;   in Loop: Header=BB207_13 Depth=1
	s_or_b32 exec_lo, exec_lo, s53
	v_lshlrev_b32_e32 v41, 24, v41
	s_delay_alu instid0(VALU_DEP_2) | instskip(SKIP_1) | instid1(VALU_DEP_3)
	v_lshlrev_b32_e32 v11, 20, v11
	v_lshl_add_u32 v40, v40, 23, 0x3c000000
	v_and_b32_e32 v41, 0x80000000, v41
	s_delay_alu instid0(VALU_DEP_1)
	v_or3_b32 v40, v11, v41, v40
.LBB207_70:                             ;   in Loop: Header=BB207_13 Depth=1
	s_or_b32 exec_lo, exec_lo, s52
.LBB207_71:                             ;   in Loop: Header=BB207_13 Depth=1
	s_delay_alu instid0(SALU_CYCLE_1)
	s_or_b32 exec_lo, exec_lo, s51
.LBB207_72:                             ;   in Loop: Header=BB207_13 Depth=1
	s_delay_alu instid0(SALU_CYCLE_1)
	s_or_b32 exec_lo, exec_lo, s50
	global_load_u8 v17, v[17:18], off offset:12
	s_mov_b32 s50, exec_lo
	s_waitcnt vmcnt(0)
	v_cmpx_ne_u16_e32 0, v17
	s_cbranch_execz .LBB207_80
; %bb.73:                               ;   in Loop: Header=BB207_13 Depth=1
	v_bfrev_b32_e32 v39, 1
	s_mov_b32 s51, exec_lo
	v_cmpx_ne_u16_e32 0x80, v17
	s_cbranch_execz .LBB207_79
; %bb.74:                               ;   in Loop: Header=BB207_13 Depth=1
	v_and_b32_e32 v11, 0xffff, v17
	v_mov_b32_e32 v39, 0x7f800001
	s_mov_b32 s52, exec_lo
	s_delay_alu instid0(VALU_DEP_2) | instskip(NEXT) | instid1(VALU_DEP_1)
	v_and_b32_e32 v41, 0x7f, v11
	v_cmpx_ne_u32_e32 0x7f, v41
	s_cbranch_execz .LBB207_78
; %bb.75:                               ;   in Loop: Header=BB207_13 Depth=1
	v_and_b32_e32 v11, 7, v11
	v_lshrrev_b32_e32 v18, 3, v41
	s_mov_b32 s53, exec_lo
	v_cmpx_gt_u32_e32 8, v41
; %bb.76:                               ;   in Loop: Header=BB207_13 Depth=1
	s_delay_alu instid0(VALU_DEP_3) | instskip(NEXT) | instid1(VALU_DEP_1)
	v_clz_i32_u32_e32 v18, v11
	v_min_u32_e32 v18, 32, v18
	s_delay_alu instid0(VALU_DEP_1) | instskip(SKIP_1) | instid1(VALU_DEP_2)
	v_subrev_nc_u32_e32 v39, 28, v18
	v_sub_nc_u32_e32 v18, 29, v18
	v_lshlrev_b64 v[41:42], v39, v[11:12]
	s_delay_alu instid0(VALU_DEP_1)
	v_and_b32_e32 v11, 7, v41
; %bb.77:                               ;   in Loop: Header=BB207_13 Depth=1
	s_or_b32 exec_lo, exec_lo, s53
	v_lshlrev_b32_e32 v17, 24, v17
	s_delay_alu instid0(VALU_DEP_2) | instskip(SKIP_1) | instid1(VALU_DEP_3)
	v_lshlrev_b32_e32 v11, 20, v11
	v_lshl_add_u32 v18, v18, 23, 0x3c000000
	v_and_b32_e32 v17, 0x80000000, v17
	s_delay_alu instid0(VALU_DEP_1)
	v_or3_b32 v39, v11, v17, v18
.LBB207_78:                             ;   in Loop: Header=BB207_13 Depth=1
	s_or_b32 exec_lo, exec_lo, s52
.LBB207_79:                             ;   in Loop: Header=BB207_13 Depth=1
	s_delay_alu instid0(SALU_CYCLE_1)
	s_or_b32 exec_lo, exec_lo, s51
.LBB207_80:                             ;   in Loop: Header=BB207_13 Depth=1
	s_delay_alu instid0(SALU_CYCLE_1) | instskip(SKIP_2) | instid1(VALU_DEP_1)
	s_or_b32 exec_lo, exec_lo, s50
	s_waitcnt lgkmcnt(0)
	v_mul_f32_e32 v11, s49, v33
	v_dual_mul_f32 v17, s49, v34 :: v_dual_mul_f32 v6, v6, v11
	s_delay_alu instid0(VALU_DEP_1) | instskip(SKIP_1) | instid1(VALU_DEP_2)
	v_dual_mul_f32 v11, s49, v36 :: v_dual_fmac_f32 v6, v5, v17
	v_mul_f32_e32 v5, s49, v35
	v_dual_fmac_f32 v6, v7, v11 :: v_dual_mul_f32 v7, s49, v38
	s_delay_alu instid0(VALU_DEP_1) | instskip(NEXT) | instid1(VALU_DEP_1)
	v_fmac_f32_e32 v6, v8, v5
	v_dual_mul_f32 v5, s49, v37 :: v_dual_fmac_f32 v6, v1, v7
	v_xor_b32_e32 v1, 2, v21
	s_delay_alu instid0(VALU_DEP_2) | instskip(SKIP_1) | instid1(VALU_DEP_3)
	v_dual_mul_f32 v7, s49, v40 :: v_dual_fmac_f32 v6, v2, v5
	v_mul_f32_e32 v2, s49, v39
	v_cmp_gt_i32_e64 s1, 32, v1
	s_delay_alu instid0(VALU_DEP_1) | instskip(NEXT) | instid1(VALU_DEP_1)
	v_cndmask_b32_e64 v1, v21, v1, s1
	v_dual_fmac_f32 v6, v3, v7 :: v_dual_lshlrev_b32 v1, 2, v1
	s_delay_alu instid0(VALU_DEP_1) | instskip(SKIP_3) | instid1(VALU_DEP_1)
	v_fmac_f32_e32 v6, v4, v2
	v_xor_b32_e32 v2, 1, v21
	ds_bpermute_b32 v1, v1, v6
	v_cmp_gt_i32_e64 s1, 32, v2
	v_cndmask_b32_e64 v2, v21, v2, s1
	s_waitcnt lgkmcnt(0)
	s_delay_alu instid0(VALU_DEP_1)
	v_dual_add_f32 v1, v6, v1 :: v_dual_lshlrev_b32 v2, 2, v2
	ds_bpermute_b32 v2, v2, v1
	s_and_saveexec_b32 s49, vcc_lo
	s_cbranch_execz .LBB207_11
; %bb.81:                               ;   in Loop: Header=BB207_13 Depth=1
	s_waitcnt lgkmcnt(0)
	v_add_f32_e32 v1, v1, v2
	v_add_nc_u32_e32 v3, v29, v27
	s_delay_alu instid0(VALU_DEP_1) | instskip(NEXT) | instid1(VALU_DEP_1)
	v_cvt_f32_i32_e32 v3, v3
	v_mul_f32_e32 v3, s44, v3
	s_delay_alu instid0(VALU_DEP_1) | instskip(NEXT) | instid1(VALU_DEP_1)
	v_cndmask_b32_e64 v2, 0, v3, s0
	v_dual_max_f32 v3, v24, v24 :: v_dual_fmac_f32 v2, s39, v1
	v_add_nc_u32_e32 v1, v25, v27
	s_delay_alu instid0(VALU_DEP_2) | instskip(NEXT) | instid1(VALU_DEP_2)
	v_max_f32_e32 v3, v3, v2
	v_cmp_gt_i32_e64 s1, s15, v1
	s_delay_alu instid0(VALU_DEP_1) | instskip(NEXT) | instid1(VALU_DEP_3)
	v_cndmask_b32_e64 v1, 0, v2, s1
	v_cndmask_b32_e64 v24, v24, v3, s1
	ds_store_b32 v30, v1
	s_branch .LBB207_11
.LBB207_82:
	s_or_b32 exec_lo, exec_lo, s47
.LBB207_83:
	s_delay_alu instid0(SALU_CYCLE_1) | instskip(SKIP_3) | instid1(VALU_DEP_3)
	s_or_b32 exec_lo, exec_lo, s6
	v_xor_b32_e32 v1, 16, v21
	v_xor_b32_e32 v3, 8, v21
	v_max_f32_e32 v5, v24, v24
	v_cmp_gt_i32_e32 vcc_lo, 32, v1
	v_cndmask_b32_e32 v1, v21, v1, vcc_lo
	s_delay_alu instid0(VALU_DEP_4) | instskip(SKIP_1) | instid1(VALU_DEP_1)
	v_cmp_gt_i32_e32 vcc_lo, 32, v3
	v_cndmask_b32_e32 v3, v21, v3, vcc_lo
	v_lshlrev_b32_e32 v4, 2, v3
	s_waitcnt lgkmcnt(0)
	v_lshlrev_b32_e32 v2, 2, v1
	ds_bpermute_b32 v1, v2, v24
	s_waitcnt lgkmcnt(0)
	v_dual_max_f32 v1, v1, v1 :: v_dual_and_b32 v24, 31, v0
	s_delay_alu instid0(VALU_DEP_1)
	v_max_f32_e32 v1, v5, v1
	v_xor_b32_e32 v5, 4, v21
	ds_bpermute_b32 v3, v4, v1
	v_cmp_gt_i32_e32 vcc_lo, 32, v5
	v_cndmask_b32_e32 v5, v21, v5, vcc_lo
	v_cmp_eq_u32_e32 vcc_lo, 0, v24
	s_delay_alu instid0(VALU_DEP_2) | instskip(SKIP_3) | instid1(VALU_DEP_1)
	v_lshlrev_b32_e32 v7, 2, v5
	v_lshlrev_b32_e32 v5, 2, v22
	s_waitcnt lgkmcnt(0)
	v_max_f32_e32 v3, v3, v3
	v_max_f32_e32 v1, v1, v3
	ds_bpermute_b32 v3, v7, v1
	s_and_saveexec_b32 s0, vcc_lo
	s_cbranch_execz .LBB207_85
; %bb.84:
	s_waitcnt lgkmcnt(0)
	v_max_f32_e32 v3, v3, v3
	v_max_f32_e32 v1, v1, v1
	s_delay_alu instid0(VALU_DEP_1)
	v_max_f32_e32 v1, v1, v3
	ds_store_b32 v5, v1 offset:128
.LBB207_85:
	s_or_b32 exec_lo, exec_lo, s0
	v_cmp_gt_u32_e64 s0, 4, v24
	v_dual_mov_b32 v1, 0xff7fffff :: v_dual_lshlrev_b32 v6, 2, v24
	s_waitcnt lgkmcnt(0)
	s_barrier
	buffer_gl0_inv
	s_and_saveexec_b32 s1, s0
	s_cbranch_execz .LBB207_87
; %bb.86:
	ds_load_b32 v1, v6 offset:128
.LBB207_87:
	s_or_b32 exec_lo, exec_lo, s1
	v_xor_b32_e32 v3, 2, v21
	v_xor_b32_e32 v11, 1, v21
	s_delay_alu instid0(VALU_DEP_2) | instskip(NEXT) | instid1(VALU_DEP_1)
	v_cmp_gt_i32_e64 s1, 32, v3
	v_cndmask_b32_e64 v3, v21, v3, s1
	s_delay_alu instid0(VALU_DEP_3) | instskip(NEXT) | instid1(VALU_DEP_2)
	v_cmp_gt_i32_e64 s1, 32, v11
	v_lshlrev_b32_e32 v8, 2, v3
	s_delay_alu instid0(VALU_DEP_2) | instskip(SKIP_1) | instid1(SALU_CYCLE_1)
	v_cndmask_b32_e64 v11, v21, v11, s1
	s_sub_i32 s1, s38, s7
	s_lshl_b32 s1, s1, 3
	s_waitcnt lgkmcnt(0)
	ds_bpermute_b32 v3, v8, v1
	v_max_f32_e32 v1, v1, v1
	v_lshlrev_b32_e32 v25, 2, v11
	v_mov_b32_e32 v11, 0
	s_add_i32 s1, s1, s40
	s_delay_alu instid0(SALU_CYCLE_1) | instskip(NEXT) | instid1(SALU_CYCLE_1)
	s_min_i32 s1, s1, s15
	s_sub_i32 s6, s1, s40
	s_delay_alu instid0(SALU_CYCLE_1) | instskip(SKIP_2) | instid1(VALU_DEP_1)
	v_cmp_gt_i32_e64 s1, s6, v0
	s_waitcnt lgkmcnt(0)
	v_max_f32_e32 v3, v3, v3
	v_max_f32_e32 v1, v1, v3
	ds_bpermute_b32 v3, v25, v1
	s_waitcnt lgkmcnt(0)
	v_max_f32_e32 v3, v3, v3
	s_delay_alu instid0(VALU_DEP_1)
	v_max_f32_e32 v1, v1, v3
	v_lshl_add_u32 v3, v0, 2, 0xa0
	ds_bpermute_b32 v1, v11, v1
	s_and_saveexec_b32 s7, s1
	s_cbranch_execz .LBB207_91
; %bb.88:
	v_lshl_add_u32 v12, v0, 2, 0xa0
	v_mov_b32_e32 v11, 0
	v_mov_b32_e32 v13, v0
	s_mov_b32 s8, 0
	.p2align	6
.LBB207_89:                             ; =>This Inner Loop Header: Depth=1
	ds_load_b32 v14, v12
	v_add_nc_u32_e32 v13, 0x80, v13
	s_delay_alu instid0(VALU_DEP_1) | instskip(NEXT) | instid1(VALU_DEP_1)
	v_cmp_le_i32_e64 s4, s6, v13
	s_or_b32 s8, s4, s8
	s_waitcnt lgkmcnt(0)
	v_sub_f32_e32 v14, v14, v1
	s_delay_alu instid0(VALU_DEP_1) | instskip(NEXT) | instid1(VALU_DEP_1)
	v_mul_f32_e32 v14, 0x3fb8aa3b, v14
	v_exp_f32_e32 v14, v14
	ds_store_b32 v12, v14
	v_dual_add_f32 v11, v11, v14 :: v_dual_add_nc_u32 v12, 0x200, v12
	s_and_not1_b32 exec_lo, exec_lo, s8
	s_cbranch_execnz .LBB207_89
; %bb.90:
	s_or_b32 exec_lo, exec_lo, s8
.LBB207_91:
	s_delay_alu instid0(SALU_CYCLE_1)
	s_or_b32 exec_lo, exec_lo, s7
	ds_bpermute_b32 v2, v2, v11
	s_waitcnt lgkmcnt(0)
	v_add_f32_e32 v2, v11, v2
	ds_bpermute_b32 v4, v4, v2
	s_waitcnt lgkmcnt(0)
	v_add_f32_e32 v2, v2, v4
	;; [unrolled: 3-line block ×5, first 2 shown]
	s_and_saveexec_b32 s4, vcc_lo
	s_cbranch_execz .LBB207_93
; %bb.92:
	ds_store_b32 v5, v2 offset:144
.LBB207_93:
	s_or_b32 exec_lo, exec_lo, s4
	s_waitcnt lgkmcnt(0)
	s_barrier
	buffer_gl0_inv
	s_and_saveexec_b32 s4, s0
	s_cbranch_execz .LBB207_95
; %bb.94:
	ds_load_b32 v2, v6 offset:144
.LBB207_95:
	s_or_b32 exec_lo, exec_lo, s4
	s_waitcnt lgkmcnt(0)
	ds_bpermute_b32 v4, v8, v2
	s_waitcnt lgkmcnt(0)
	v_add_f32_e32 v2, v2, v4
	ds_bpermute_b32 v4, v25, v2
	s_waitcnt lgkmcnt(0)
	v_add_f32_e32 v2, v2, v4
	v_mov_b32_e32 v4, 0
	ds_bpermute_b32 v2, v4, v2
	s_and_saveexec_b32 s0, s1
	s_cbranch_execz .LBB207_98
; %bb.96:
	s_waitcnt lgkmcnt(0)
	v_add_f32_e32 v4, 0x358637bd, v2
	s_mov_b32 s1, 0
	s_delay_alu instid0(VALU_DEP_1) | instskip(SKIP_1) | instid1(VALU_DEP_2)
	v_div_scale_f32 v5, null, v4, v4, 1.0
	v_div_scale_f32 v8, vcc_lo, 1.0, v4, 1.0
	v_rcp_f32_e32 v6, v5
	s_waitcnt_depctr 0xfff
	v_fma_f32 v7, -v5, v6, 1.0
	s_delay_alu instid0(VALU_DEP_1) | instskip(NEXT) | instid1(VALU_DEP_1)
	v_fmac_f32_e32 v6, v7, v6
	v_mul_f32_e32 v7, v8, v6
	s_delay_alu instid0(VALU_DEP_1) | instskip(NEXT) | instid1(VALU_DEP_1)
	v_fma_f32 v11, -v5, v7, v8
	v_fmac_f32_e32 v7, v11, v6
	s_delay_alu instid0(VALU_DEP_1) | instskip(NEXT) | instid1(VALU_DEP_1)
	v_fma_f32 v5, -v5, v7, v8
	v_div_fmas_f32 v5, v5, v6, v7
	s_delay_alu instid0(VALU_DEP_1)
	v_div_fixup_f32 v4, v5, v4, 1.0
	v_mov_b32_e32 v5, v0
.LBB207_97:                             ; =>This Inner Loop Header: Depth=1
	ds_load_b32 v6, v3
	s_waitcnt lgkmcnt(0)
	v_dual_mul_f32 v6, v4, v6 :: v_dual_add_nc_u32 v5, 0x80, v5
	s_delay_alu instid0(VALU_DEP_1) | instskip(SKIP_3) | instid1(SALU_CYCLE_1)
	v_cmp_le_i32_e32 vcc_lo, s6, v5
	ds_store_b32 v3, v6
	v_add_nc_u32_e32 v3, 0x200, v3
	s_or_b32 s1, vcc_lo, s1
	s_and_not1_b32 exec_lo, exec_lo, s1
	s_cbranch_execnz .LBB207_97
.LBB207_98:
	s_or_b32 exec_lo, exec_lo, s0
	s_mul_i32 s0, s16, s14
	s_waitcnt lgkmcnt(0)
	s_mul_i32 s6, s0, s13
	s_mov_b32 s0, exec_lo
	s_barrier
	buffer_gl0_inv
	v_cmpx_eq_u32_e32 0, v0
	s_cbranch_execz .LBB207_100
; %bb.99:
	s_ashr_i32 s7, s6, 31
	s_mul_i32 s44, s16, s28
	s_lshl_b64 s[8:9], s[6:7], 2
	v_mov_b32_e32 v3, 0
	s_add_u32 s1, s22, s8
	s_addc_u32 s4, s23, s9
	s_ashr_i32 s45, s44, 31
	s_delay_alu instid0(SALU_CYCLE_1) | instskip(NEXT) | instid1(SALU_CYCLE_1)
	s_lshl_b64 s[22:23], s[44:45], 2
	s_add_u32 s1, s1, s22
	s_addc_u32 s4, s4, s23
	s_ashr_i32 s13, s12, 31
	s_delay_alu instid0(SALU_CYCLE_1) | instskip(NEXT) | instid1(SALU_CYCLE_1)
	s_lshl_b64 s[44:45], s[12:13], 2
	s_add_u32 s46, s1, s44
	s_addc_u32 s47, s4, s45
	s_add_u32 s1, s20, s8
	s_addc_u32 s4, s21, s9
	;; [unrolled: 2-line block ×4, first 2 shown]
	s_clause 0x1
	global_store_b32 v3, v1, s[46:47]
	global_store_b32 v3, v2, s[8:9]
.LBB207_100:
	s_or_b32 exec_lo, exec_lo, s0
	v_dual_mov_b32 v29, 0 :: v_dual_and_b32 v26, 1, v0
	v_mov_b32_e32 v27, 0
	s_mov_b32 s4, 0
	s_and_saveexec_b32 s1, s3
	s_cbranch_execz .LBB207_174
; %bb.101:
	s_sub_i32 s3, s43, s17
	s_ashr_i32 s0, s42, 31
	s_add_u32 s14, s36, s42
	s_addc_u32 s0, s37, s0
	s_abs_i32 s7, s18
	s_mov_b32 s13, s5
	v_cvt_f32_u32_e32 v1, s7
	s_sub_i32 s5, 0, s7
	v_dual_mov_b32 v27, 0 :: v_dual_and_b32 v4, 0x7c, v19
	v_dual_mov_b32 v6, 0 :: v_dual_lshlrev_b32 v5, 4, v26
	s_delay_alu instid0(VALU_DEP_3) | instskip(SKIP_2) | instid1(VALU_DEP_1)
	v_rcp_iflag_f32_e32 v1, v1
	s_lshl_b64 s[8:9], s[34:35], 2
	s_add_i32 s41, s41, -1
	v_lshl_or_b32 v5, v22, 5, v5
	v_dual_mov_b32 v29, 0 :: v_dual_and_b32 v28, 4, v19
	s_delay_alu instid0(VALU_DEP_2) | instskip(SKIP_3) | instid1(VALU_DEP_2)
	v_add_nc_u32_e32 v30, 0xa0, v5
	s_waitcnt_depctr 0xfff
	v_mul_f32_e32 v3, 0x4f7ffffe, v1
	v_lshlrev_b64 v[1:2], 2, v[9:10]
	v_cvt_u32_f32_e32 v3, v3
	s_delay_alu instid0(VALU_DEP_1) | instskip(SKIP_1) | instid1(VALU_DEP_1)
	v_mul_lo_u32 v10, s5, v3
	v_add_co_u32 v7, s5, s14, v4
	v_add_co_ci_u32_e64 v8, null, s0, 0, s5
	s_add_u32 s0, s30, s8
	s_addc_u32 s5, s31, s9
	s_mov_b32 s9, 0x7f800001
	s_delay_alu instid0(VALU_DEP_3) | instskip(SKIP_4) | instid1(VALU_DEP_3)
	v_mul_hi_u32 v4, v3, v10
	v_add_co_u32 v10, vcc_lo, s0, v1
	v_add_co_ci_u32_e32 v11, vcc_lo, s5, v2, vcc_lo
	s_brev_b32 s5, 1
	s_mov_b32 s14, s4
	v_add_nc_u32_e32 v31, v3, v4
	s_branch .LBB207_104
.LBB207_102:                            ;   in Loop: Header=BB207_104 Depth=1
	s_or_b32 exec_lo, exec_lo, s0
	v_mul_f32_e32 v15, v2, v33
	v_mul_f32_e32 v2, v2, v14
	s_delay_alu instid0(VALU_DEP_1) | instskip(NEXT) | instid1(VALU_DEP_1)
	v_fmac_f32_e32 v2, v1, v13
	v_fmac_f32_e32 v2, v3, v12
	s_delay_alu instid0(VALU_DEP_4) | instskip(NEXT) | instid1(VALU_DEP_1)
	v_fmac_f32_e32 v15, v1, v32
	v_fmac_f32_e32 v15, v3, v21
	s_delay_alu instid0(VALU_DEP_1) | instskip(NEXT) | instid1(VALU_DEP_1)
	v_fmac_f32_e32 v15, v4, v20
	v_dual_fmac_f32 v2, v4, v5 :: v_dual_add_f32 v29, v29, v15
	s_delay_alu instid0(VALU_DEP_1)
	v_add_f32_e32 v27, v27, v2
.LBB207_103:                            ;   in Loop: Header=BB207_104 Depth=1
	s_or_b32 exec_lo, exec_lo, s17
	v_add_nc_u32_e32 v9, 4, v9
	v_add_co_u32 v10, s0, v10, 16
	s_delay_alu instid0(VALU_DEP_1) | instskip(NEXT) | instid1(VALU_DEP_3)
	v_add_co_ci_u32_e64 v11, s0, 0, v11, s0
	v_cmp_le_i32_e32 vcc_lo, s38, v9
	v_add_nc_u32_e32 v23, 32, v23
	v_add_nc_u32_e32 v30, 0x80, v30
	s_or_b32 s14, vcc_lo, s14
	s_delay_alu instid0(SALU_CYCLE_1)
	s_and_not1_b32 exec_lo, exec_lo, s14
	s_cbranch_execz .LBB207_173
.LBB207_104:                            ; =>This Inner Loop Header: Depth=1
	v_sub_nc_u32_e32 v1, 0, v23
	s_delay_alu instid0(VALU_DEP_1) | instskip(NEXT) | instid1(VALU_DEP_1)
	v_max_i32_e32 v1, v23, v1
	v_mul_hi_u32 v2, v1, s29
	s_delay_alu instid0(VALU_DEP_1) | instskip(NEXT) | instid1(VALU_DEP_1)
	v_mul_lo_u32 v3, v2, s25
	v_sub_nc_u32_e32 v1, v1, v3
	v_add_nc_u32_e32 v3, 1, v2
	s_delay_alu instid0(VALU_DEP_2) | instskip(SKIP_1) | instid1(VALU_DEP_2)
	v_subrev_nc_u32_e32 v4, s25, v1
	v_cmp_le_u32_e32 vcc_lo, s25, v1
	v_dual_cndmask_b32 v2, v2, v3 :: v_dual_cndmask_b32 v1, v1, v4
	v_ashrrev_i32_e32 v3, 31, v23
	s_delay_alu instid0(VALU_DEP_2) | instskip(NEXT) | instid1(VALU_DEP_3)
	v_add_nc_u32_e32 v4, 1, v2
	v_cmp_le_u32_e32 vcc_lo, s25, v1
	s_delay_alu instid0(VALU_DEP_3) | instskip(NEXT) | instid1(VALU_DEP_3)
	v_xor_b32_e32 v3, s19, v3
	v_cndmask_b32_e32 v1, v2, v4, vcc_lo
	s_delay_alu instid0(VALU_DEP_1) | instskip(NEXT) | instid1(VALU_DEP_1)
	v_xor_b32_e32 v1, v1, v3
	v_sub_nc_u32_e32 v1, v1, v3
	s_delay_alu instid0(VALU_DEP_1) | instskip(SKIP_1) | instid1(VALU_DEP_2)
	v_add_nc_u32_e32 v2, s33, v1
	v_cmp_lt_i32_e64 s0, s3, v1
	v_sub_nc_u32_e32 v3, 0, v2
	s_delay_alu instid0(VALU_DEP_1) | instskip(NEXT) | instid1(VALU_DEP_1)
	v_max_i32_e32 v3, v2, v3
	v_mul_hi_u32 v4, v3, v31
	s_delay_alu instid0(VALU_DEP_1) | instskip(NEXT) | instid1(VALU_DEP_1)
	v_mul_lo_u32 v4, v4, s7
	v_sub_nc_u32_e32 v3, v3, v4
	s_delay_alu instid0(VALU_DEP_1) | instskip(SKIP_1) | instid1(VALU_DEP_2)
	v_subrev_nc_u32_e32 v4, s7, v3
	v_cmp_le_u32_e32 vcc_lo, s7, v3
	v_cndmask_b32_e32 v3, v3, v4, vcc_lo
	v_ashrrev_i32_e32 v2, 31, v2
	s_delay_alu instid0(VALU_DEP_2) | instskip(SKIP_1) | instid1(VALU_DEP_2)
	v_subrev_nc_u32_e32 v4, s7, v3
	v_cmp_le_u32_e32 vcc_lo, s7, v3
	v_cndmask_b32_e32 v3, v3, v4, vcc_lo
	s_delay_alu instid0(VALU_DEP_1) | instskip(NEXT) | instid1(VALU_DEP_1)
	v_xor_b32_e32 v3, v3, v2
	v_sub_nc_u32_e32 v2, v3, v2
	s_delay_alu instid0(VALU_DEP_1) | instskip(SKIP_1) | instid1(SALU_CYCLE_1)
	v_cmp_eq_u32_e32 vcc_lo, 0, v2
	s_or_b32 s0, vcc_lo, s0
	s_and_saveexec_b32 s17, s0
	s_cbranch_execz .LBB207_103
; %bb.105:                              ;   in Loop: Header=BB207_104 Depth=1
	global_load_b32 v1, v[10:11], off
	s_load_b32 s18, s[10:11], 0x0
	s_mov_b32 s0, exec_lo
	s_waitcnt vmcnt(0)
	v_mad_i64_i32 v[12:13], null, v1, s13, v[7:8]
	ds_load_b128 v[1:4], v30
	global_load_b32 v32, v[12:13], off
	v_mov_b32_e32 v16, 0
	v_mov_b32_e32 v17, 0
	s_delay_alu instid0(VALU_DEP_1) | instskip(SKIP_2) | instid1(VALU_DEP_1)
	v_dual_mov_b32 v14, v16 :: v_dual_mov_b32 v15, v17
	s_waitcnt vmcnt(0)
	v_and_b32_e32 v5, 0xff, v32
	v_cmpx_ne_u16_e32 0, v5
	s_cbranch_execz .LBB207_113
; %bb.106:                              ;   in Loop: Header=BB207_104 Depth=1
	v_bfrev_b32_e32 v14, 1
	v_mov_b32_e32 v15, 0
	s_mov_b32 s8, exec_lo
	v_cmpx_ne_u16_e32 0x80, v5
	s_cbranch_execz .LBB207_112
; %bb.107:                              ;   in Loop: Header=BB207_104 Depth=1
	v_mov_b32_e32 v14, 0x7f800001
	v_dual_mov_b32 v15, 0 :: v_dual_and_b32 v18, 0x7f, v32
	s_mov_b32 s20, exec_lo
	s_delay_alu instid0(VALU_DEP_1)
	v_cmpx_ne_u32_e32 0x7f, v18
	s_cbranch_execz .LBB207_111
; %bb.108:                              ;   in Loop: Header=BB207_104 Depth=1
	v_and_b32_e32 v5, 7, v32
	v_lshrrev_b32_e32 v14, 3, v18
	s_mov_b32 s21, exec_lo
	v_cmpx_gt_u32_e32 8, v18
; %bb.109:                              ;   in Loop: Header=BB207_104 Depth=1
	s_delay_alu instid0(VALU_DEP_3) | instskip(NEXT) | instid1(VALU_DEP_1)
	v_clz_i32_u32_e32 v14, v5
	v_min_u32_e32 v14, 32, v14
	s_delay_alu instid0(VALU_DEP_1) | instskip(SKIP_1) | instid1(VALU_DEP_2)
	v_subrev_nc_u32_e32 v15, 28, v14
	v_sub_nc_u32_e32 v14, 29, v14
	v_lshlrev_b64 v[18:19], v15, v[5:6]
	s_delay_alu instid0(VALU_DEP_1)
	v_and_b32_e32 v5, 7, v18
; %bb.110:                              ;   in Loop: Header=BB207_104 Depth=1
	s_or_b32 exec_lo, exec_lo, s21
	v_lshlrev_b32_e32 v15, 24, v32
	s_delay_alu instid0(VALU_DEP_2) | instskip(SKIP_1) | instid1(VALU_DEP_3)
	v_lshlrev_b32_e32 v5, 20, v5
	v_lshl_add_u32 v14, v14, 23, 0x3c000000
	v_and_b32_e32 v15, 0x80000000, v15
	s_delay_alu instid0(VALU_DEP_1) | instskip(NEXT) | instid1(VALU_DEP_1)
	v_or3_b32 v5, v5, v15, v14
	v_dual_mov_b32 v15, v6 :: v_dual_mov_b32 v14, v5
.LBB207_111:                            ;   in Loop: Header=BB207_104 Depth=1
	s_or_b32 exec_lo, exec_lo, s20
.LBB207_112:                            ;   in Loop: Header=BB207_104 Depth=1
	s_delay_alu instid0(SALU_CYCLE_1)
	s_or_b32 exec_lo, exec_lo, s8
.LBB207_113:                            ;   in Loop: Header=BB207_104 Depth=1
	s_delay_alu instid0(SALU_CYCLE_1) | instskip(SKIP_2) | instid1(VALU_DEP_1)
	s_or_b32 exec_lo, exec_lo, s0
	v_lshrrev_b16 v5, 8, v32
	s_mov_b32 s0, exec_lo
	v_cmpx_ne_u16_e32 0, v5
	s_cbranch_execz .LBB207_121
; %bb.114:                              ;   in Loop: Header=BB207_104 Depth=1
	v_dual_mov_b32 v17, s5 :: v_dual_mov_b32 v16, s4
	s_mov_b32 s20, exec_lo
	v_cmpx_ne_u16_e32 0x80, v5
	s_cbranch_execz .LBB207_120
; %bb.115:                              ;   in Loop: Header=BB207_104 Depth=1
	s_mov_b32 s8, s4
	v_and_b32_e32 v5, 0xffff, v5
	v_dual_mov_b32 v17, s9 :: v_dual_mov_b32 v16, s8
	s_mov_b32 s8, exec_lo
	s_delay_alu instid0(VALU_DEP_2) | instskip(NEXT) | instid1(VALU_DEP_1)
	v_and_b32_e32 v18, 0x7f, v5
	v_cmpx_ne_u32_e32 0x7f, v18
	s_cbranch_execz .LBB207_119
; %bb.116:                              ;   in Loop: Header=BB207_104 Depth=1
	v_and_b32_e32 v5, 7, v5
	v_lshrrev_b32_e32 v16, 3, v18
	s_mov_b32 s21, exec_lo
	v_cmpx_gt_u32_e32 8, v18
; %bb.117:                              ;   in Loop: Header=BB207_104 Depth=1
	s_delay_alu instid0(VALU_DEP_3) | instskip(NEXT) | instid1(VALU_DEP_1)
	v_clz_i32_u32_e32 v16, v5
	v_min_u32_e32 v16, 32, v16
	s_delay_alu instid0(VALU_DEP_1) | instskip(SKIP_1) | instid1(VALU_DEP_2)
	v_subrev_nc_u32_e32 v17, 28, v16
	v_sub_nc_u32_e32 v16, 29, v16
	v_lshlrev_b64 v[17:18], v17, v[5:6]
	s_delay_alu instid0(VALU_DEP_1)
	v_and_b32_e32 v5, 7, v17
; %bb.118:                              ;   in Loop: Header=BB207_104 Depth=1
	s_or_b32 exec_lo, exec_lo, s21
	v_lshlrev_b32_e32 v17, 16, v32
	s_delay_alu instid0(VALU_DEP_2) | instskip(SKIP_1) | instid1(VALU_DEP_3)
	v_lshlrev_b32_e32 v5, 20, v5
	v_lshl_add_u32 v16, v16, 23, 0x3c000000
	v_and_b32_e32 v17, 0x80000000, v17
	s_delay_alu instid0(VALU_DEP_1)
	v_or3_b32 v17, v5, v17, v16
	v_mov_b32_e32 v16, v6
.LBB207_119:                            ;   in Loop: Header=BB207_104 Depth=1
	s_or_b32 exec_lo, exec_lo, s8
.LBB207_120:                            ;   in Loop: Header=BB207_104 Depth=1
	s_delay_alu instid0(SALU_CYCLE_1)
	s_or_b32 exec_lo, exec_lo, s20
.LBB207_121:                            ;   in Loop: Header=BB207_104 Depth=1
	s_delay_alu instid0(SALU_CYCLE_1) | instskip(SKIP_3) | instid1(VALU_DEP_2)
	s_or_b32 exec_lo, exec_lo, s0
	v_lshrrev_b32_e32 v33, 16, v32
	v_mov_b32_e32 v20, 0
	v_mov_b32_e32 v21, 0
	;; [unrolled: 1-line block ×3, first 2 shown]
	s_mov_b32 s0, exec_lo
	v_and_b32_e32 v5, 0xff, v33
	s_delay_alu instid0(VALU_DEP_3) | instskip(NEXT) | instid1(VALU_DEP_2)
	v_mov_b32_e32 v19, v21
	v_cmpx_ne_u16_e32 0, v5
	s_cbranch_execz .LBB207_129
; %bb.122:                              ;   in Loop: Header=BB207_104 Depth=1
	v_bfrev_b32_e32 v18, 1
	v_mov_b32_e32 v19, 0
	s_mov_b32 s8, exec_lo
	v_cmpx_ne_u16_e32 0x80, v5
	s_cbranch_execz .LBB207_128
; %bb.123:                              ;   in Loop: Header=BB207_104 Depth=1
	v_mov_b32_e32 v18, 0x7f800001
	v_bfe_u32 v34, v32, 16, 7
	v_mov_b32_e32 v19, 0
	s_mov_b32 s20, exec_lo
	s_delay_alu instid0(VALU_DEP_2)
	v_cmpx_ne_u32_e32 0x7f, v34
	s_cbranch_execz .LBB207_127
; %bb.124:                              ;   in Loop: Header=BB207_104 Depth=1
	v_and_b32_e32 v5, 7, v33
	v_lshrrev_b32_e32 v18, 3, v34
	s_mov_b32 s21, exec_lo
	v_cmpx_gt_u32_e32 8, v34
; %bb.125:                              ;   in Loop: Header=BB207_104 Depth=1
	s_delay_alu instid0(VALU_DEP_3) | instskip(NEXT) | instid1(VALU_DEP_1)
	v_clz_i32_u32_e32 v18, v5
	v_min_u32_e32 v18, 32, v18
	s_delay_alu instid0(VALU_DEP_1) | instskip(SKIP_1) | instid1(VALU_DEP_2)
	v_subrev_nc_u32_e32 v19, 28, v18
	v_sub_nc_u32_e32 v18, 29, v18
	v_lshlrev_b64 v[34:35], v19, v[5:6]
	s_delay_alu instid0(VALU_DEP_1)
	v_and_b32_e32 v5, 7, v34
; %bb.126:                              ;   in Loop: Header=BB207_104 Depth=1
	s_or_b32 exec_lo, exec_lo, s21
	v_lshlrev_b32_e32 v19, 24, v33
	s_delay_alu instid0(VALU_DEP_2) | instskip(SKIP_1) | instid1(VALU_DEP_3)
	v_lshlrev_b32_e32 v5, 20, v5
	v_lshl_add_u32 v18, v18, 23, 0x3c000000
	v_and_b32_e32 v19, 0x80000000, v19
	s_delay_alu instid0(VALU_DEP_1) | instskip(NEXT) | instid1(VALU_DEP_1)
	v_or3_b32 v5, v5, v19, v18
	v_dual_mov_b32 v19, v6 :: v_dual_mov_b32 v18, v5
.LBB207_127:                            ;   in Loop: Header=BB207_104 Depth=1
	s_or_b32 exec_lo, exec_lo, s20
.LBB207_128:                            ;   in Loop: Header=BB207_104 Depth=1
	s_delay_alu instid0(SALU_CYCLE_1)
	s_or_b32 exec_lo, exec_lo, s8
.LBB207_129:                            ;   in Loop: Header=BB207_104 Depth=1
	s_delay_alu instid0(SALU_CYCLE_1) | instskip(NEXT) | instid1(SALU_CYCLE_1)
	s_or_b32 exec_lo, exec_lo, s0
	s_mov_b32 s0, exec_lo
	v_cmpx_lt_u32_e32 0xffffff, v32
	s_cbranch_execz .LBB207_137
; %bb.130:                              ;   in Loop: Header=BB207_104 Depth=1
	v_lshrrev_b32_e32 v33, 24, v32
	v_dual_mov_b32 v21, s5 :: v_dual_mov_b32 v20, s4
	s_mov_b32 s20, exec_lo
	s_delay_alu instid0(VALU_DEP_2)
	v_cmpx_ne_u32_e32 0x80, v33
	s_cbranch_execz .LBB207_136
; %bb.131:                              ;   in Loop: Header=BB207_104 Depth=1
	s_mov_b32 s8, s4
	v_bfe_u32 v32, v32, 24, 7
	v_dual_mov_b32 v21, s9 :: v_dual_mov_b32 v20, s8
	s_mov_b32 s8, exec_lo
	s_delay_alu instid0(VALU_DEP_2)
	v_cmpx_ne_u32_e32 0x7f, v32
	s_cbranch_execz .LBB207_135
; %bb.132:                              ;   in Loop: Header=BB207_104 Depth=1
	v_and_b32_e32 v5, 7, v33
	v_lshrrev_b32_e32 v20, 3, v32
	s_mov_b32 s21, exec_lo
	v_cmpx_gt_u32_e32 8, v32
; %bb.133:                              ;   in Loop: Header=BB207_104 Depth=1
	s_delay_alu instid0(VALU_DEP_3) | instskip(NEXT) | instid1(VALU_DEP_1)
	v_clz_i32_u32_e32 v20, v5
	v_min_u32_e32 v20, 32, v20
	s_delay_alu instid0(VALU_DEP_1) | instskip(SKIP_1) | instid1(VALU_DEP_2)
	v_subrev_nc_u32_e32 v21, 28, v20
	v_sub_nc_u32_e32 v20, 29, v20
	v_lshlrev_b64 v[34:35], v21, v[5:6]
	s_delay_alu instid0(VALU_DEP_1)
	v_and_b32_e32 v5, 7, v34
; %bb.134:                              ;   in Loop: Header=BB207_104 Depth=1
	s_or_b32 exec_lo, exec_lo, s21
	v_lshlrev_b32_e32 v21, 24, v33
	s_delay_alu instid0(VALU_DEP_2) | instskip(SKIP_1) | instid1(VALU_DEP_3)
	v_lshlrev_b32_e32 v5, 20, v5
	v_lshl_add_u32 v20, v20, 23, 0x3c000000
	v_and_b32_e32 v21, 0x80000000, v21
	s_delay_alu instid0(VALU_DEP_1)
	v_or3_b32 v21, v5, v21, v20
	v_mov_b32_e32 v20, v6
.LBB207_135:                            ;   in Loop: Header=BB207_104 Depth=1
	s_or_b32 exec_lo, exec_lo, s8
.LBB207_136:                            ;   in Loop: Header=BB207_104 Depth=1
	s_delay_alu instid0(SALU_CYCLE_1)
	s_or_b32 exec_lo, exec_lo, s20
.LBB207_137:                            ;   in Loop: Header=BB207_104 Depth=1
	s_delay_alu instid0(SALU_CYCLE_1)
	s_or_b32 exec_lo, exec_lo, s0
	v_or_b32_e32 v5, v17, v15
	v_add_nc_u32_e32 v34, v28, v23
	v_or_b32_e32 v14, v16, v14
	v_or_b32_e32 v15, v21, v19
	;; [unrolled: 1-line block ×3, first 2 shown]
	s_waitcnt lgkmcnt(0)
	v_mul_f32_e32 v33, s18, v5
	v_cmp_eq_u32_e32 vcc_lo, s41, v9
	v_mul_f32_e32 v32, s18, v14
	v_dual_mul_f32 v20, s18, v15 :: v_dual_add_nc_u32 v37, 1, v34
	v_dual_mul_f32 v21, s18, v16 :: v_dual_add_nc_u32 v36, 2, v34
	v_add_nc_u32_e32 v35, 3, v34
	s_and_saveexec_b32 s8, vcc_lo
; %bb.138:                              ;   in Loop: Header=BB207_104 Depth=1
	v_cmp_gt_i32_e64 s0, s15, v34
	s_delay_alu instid0(VALU_DEP_1) | instskip(SKIP_1) | instid1(VALU_DEP_1)
	v_cndmask_b32_e64 v32, 0, v32, s0
	v_cmp_gt_i32_e64 s0, s15, v37
	v_cndmask_b32_e64 v33, 0, v33, s0
	v_cmp_gt_i32_e64 s0, s15, v36
	s_delay_alu instid0(VALU_DEP_1) | instskip(SKIP_1) | instid1(VALU_DEP_1)
	v_cndmask_b32_e64 v21, 0, v21, s0
	v_cmp_gt_i32_e64 s0, s15, v35
	v_cndmask_b32_e64 v20, 0, v20, s0
; %bb.139:                              ;   in Loop: Header=BB207_104 Depth=1
	s_or_b32 exec_lo, exec_lo, s8
	global_load_b32 v38, v[12:13], off offset:128
	v_mov_b32_e32 v14, 0
	v_mov_b32_e32 v15, 0
	s_delay_alu instid0(VALU_DEP_2) | instskip(SKIP_1) | instid1(VALU_DEP_2)
	v_mov_b32_e32 v12, v14
	s_mov_b32 s8, exec_lo
	v_mov_b32_e32 v13, v15
	s_waitcnt vmcnt(0)
	v_and_b32_e32 v5, 0xff, v38
	s_delay_alu instid0(VALU_DEP_1)
	v_cmpx_ne_u16_e32 0, v5
	s_cbranch_execz .LBB207_147
; %bb.140:                              ;   in Loop: Header=BB207_104 Depth=1
	v_bfrev_b32_e32 v12, 1
	v_mov_b32_e32 v13, 0
	s_mov_b32 s20, exec_lo
	v_cmpx_ne_u16_e32 0x80, v5
	s_cbranch_execz .LBB207_146
; %bb.141:                              ;   in Loop: Header=BB207_104 Depth=1
	v_mov_b32_e32 v12, 0x7f800001
	v_dual_mov_b32 v13, 0 :: v_dual_and_b32 v16, 0x7f, v38
	s_mov_b32 s21, exec_lo
	s_delay_alu instid0(VALU_DEP_1)
	v_cmpx_ne_u32_e32 0x7f, v16
	s_cbranch_execz .LBB207_145
; %bb.142:                              ;   in Loop: Header=BB207_104 Depth=1
	v_and_b32_e32 v5, 7, v38
	v_lshrrev_b32_e32 v12, 3, v16
	s_mov_b32 s22, exec_lo
	v_cmpx_gt_u32_e32 8, v16
; %bb.143:                              ;   in Loop: Header=BB207_104 Depth=1
	s_delay_alu instid0(VALU_DEP_3) | instskip(NEXT) | instid1(VALU_DEP_1)
	v_clz_i32_u32_e32 v12, v5
	v_min_u32_e32 v12, 32, v12
	s_delay_alu instid0(VALU_DEP_1) | instskip(SKIP_1) | instid1(VALU_DEP_2)
	v_subrev_nc_u32_e32 v13, 28, v12
	v_sub_nc_u32_e32 v12, 29, v12
	v_lshlrev_b64 v[16:17], v13, v[5:6]
	s_delay_alu instid0(VALU_DEP_1)
	v_and_b32_e32 v5, 7, v16
; %bb.144:                              ;   in Loop: Header=BB207_104 Depth=1
	s_or_b32 exec_lo, exec_lo, s22
	v_lshlrev_b32_e32 v13, 24, v38
	s_delay_alu instid0(VALU_DEP_2) | instskip(SKIP_1) | instid1(VALU_DEP_3)
	v_lshlrev_b32_e32 v5, 20, v5
	v_lshl_add_u32 v12, v12, 23, 0x3c000000
	v_and_b32_e32 v13, 0x80000000, v13
	s_delay_alu instid0(VALU_DEP_1) | instskip(NEXT) | instid1(VALU_DEP_1)
	v_or3_b32 v5, v5, v13, v12
	v_dual_mov_b32 v13, v6 :: v_dual_mov_b32 v12, v5
.LBB207_145:                            ;   in Loop: Header=BB207_104 Depth=1
	s_or_b32 exec_lo, exec_lo, s21
.LBB207_146:                            ;   in Loop: Header=BB207_104 Depth=1
	s_delay_alu instid0(SALU_CYCLE_1)
	s_or_b32 exec_lo, exec_lo, s20
.LBB207_147:                            ;   in Loop: Header=BB207_104 Depth=1
	s_delay_alu instid0(SALU_CYCLE_1) | instskip(SKIP_2) | instid1(VALU_DEP_1)
	s_or_b32 exec_lo, exec_lo, s8
	v_lshrrev_b16 v5, 8, v38
	s_mov_b32 s20, exec_lo
	v_cmpx_ne_u16_e32 0, v5
	s_cbranch_execz .LBB207_155
; %bb.148:                              ;   in Loop: Header=BB207_104 Depth=1
	v_dual_mov_b32 v15, s5 :: v_dual_mov_b32 v14, s4
	s_mov_b32 s21, exec_lo
	v_cmpx_ne_u16_e32 0x80, v5
	s_cbranch_execz .LBB207_154
; %bb.149:                              ;   in Loop: Header=BB207_104 Depth=1
	s_mov_b32 s8, s4
	v_and_b32_e32 v5, 0xffff, v5
	v_dual_mov_b32 v15, s9 :: v_dual_mov_b32 v14, s8
	s_mov_b32 s8, exec_lo
	s_delay_alu instid0(VALU_DEP_2) | instskip(NEXT) | instid1(VALU_DEP_1)
	v_and_b32_e32 v16, 0x7f, v5
	v_cmpx_ne_u32_e32 0x7f, v16
	s_cbranch_execz .LBB207_153
; %bb.150:                              ;   in Loop: Header=BB207_104 Depth=1
	v_and_b32_e32 v5, 7, v5
	v_lshrrev_b32_e32 v14, 3, v16
	s_mov_b32 s22, exec_lo
	v_cmpx_gt_u32_e32 8, v16
; %bb.151:                              ;   in Loop: Header=BB207_104 Depth=1
	s_delay_alu instid0(VALU_DEP_3) | instskip(NEXT) | instid1(VALU_DEP_1)
	v_clz_i32_u32_e32 v14, v5
	v_min_u32_e32 v14, 32, v14
	s_delay_alu instid0(VALU_DEP_1) | instskip(SKIP_1) | instid1(VALU_DEP_2)
	v_subrev_nc_u32_e32 v15, 28, v14
	v_sub_nc_u32_e32 v14, 29, v14
	v_lshlrev_b64 v[15:16], v15, v[5:6]
	s_delay_alu instid0(VALU_DEP_1)
	v_and_b32_e32 v5, 7, v15
; %bb.152:                              ;   in Loop: Header=BB207_104 Depth=1
	s_or_b32 exec_lo, exec_lo, s22
	v_lshlrev_b32_e32 v15, 16, v38
	s_delay_alu instid0(VALU_DEP_2) | instskip(SKIP_1) | instid1(VALU_DEP_3)
	v_lshlrev_b32_e32 v5, 20, v5
	v_lshl_add_u32 v14, v14, 23, 0x3c000000
	v_and_b32_e32 v15, 0x80000000, v15
	s_delay_alu instid0(VALU_DEP_1)
	v_or3_b32 v15, v5, v15, v14
	v_mov_b32_e32 v14, v6
.LBB207_153:                            ;   in Loop: Header=BB207_104 Depth=1
	s_or_b32 exec_lo, exec_lo, s8
.LBB207_154:                            ;   in Loop: Header=BB207_104 Depth=1
	s_delay_alu instid0(SALU_CYCLE_1)
	s_or_b32 exec_lo, exec_lo, s21
.LBB207_155:                            ;   in Loop: Header=BB207_104 Depth=1
	s_delay_alu instid0(SALU_CYCLE_1) | instskip(SKIP_3) | instid1(VALU_DEP_2)
	s_or_b32 exec_lo, exec_lo, s20
	v_lshrrev_b32_e32 v39, 16, v38
	v_mov_b32_e32 v18, 0
	v_mov_b32_e32 v19, 0
	;; [unrolled: 1-line block ×3, first 2 shown]
	s_mov_b32 s8, exec_lo
	v_and_b32_e32 v5, 0xff, v39
	s_delay_alu instid0(VALU_DEP_3) | instskip(NEXT) | instid1(VALU_DEP_2)
	v_mov_b32_e32 v17, v19
	v_cmpx_ne_u16_e32 0, v5
	s_cbranch_execz .LBB207_163
; %bb.156:                              ;   in Loop: Header=BB207_104 Depth=1
	v_bfrev_b32_e32 v16, 1
	v_mov_b32_e32 v17, 0
	s_mov_b32 s20, exec_lo
	v_cmpx_ne_u16_e32 0x80, v5
	s_cbranch_execz .LBB207_162
; %bb.157:                              ;   in Loop: Header=BB207_104 Depth=1
	v_mov_b32_e32 v16, 0x7f800001
	v_bfe_u32 v40, v38, 16, 7
	v_mov_b32_e32 v17, 0
	s_mov_b32 s21, exec_lo
	s_delay_alu instid0(VALU_DEP_2)
	v_cmpx_ne_u32_e32 0x7f, v40
	s_cbranch_execz .LBB207_161
; %bb.158:                              ;   in Loop: Header=BB207_104 Depth=1
	v_and_b32_e32 v5, 7, v39
	v_lshrrev_b32_e32 v16, 3, v40
	s_mov_b32 s22, exec_lo
	v_cmpx_gt_u32_e32 8, v40
; %bb.159:                              ;   in Loop: Header=BB207_104 Depth=1
	s_delay_alu instid0(VALU_DEP_3) | instskip(NEXT) | instid1(VALU_DEP_1)
	v_clz_i32_u32_e32 v16, v5
	v_min_u32_e32 v16, 32, v16
	s_delay_alu instid0(VALU_DEP_1) | instskip(SKIP_1) | instid1(VALU_DEP_2)
	v_subrev_nc_u32_e32 v17, 28, v16
	v_sub_nc_u32_e32 v16, 29, v16
	v_lshlrev_b64 v[40:41], v17, v[5:6]
	s_delay_alu instid0(VALU_DEP_1)
	v_and_b32_e32 v5, 7, v40
; %bb.160:                              ;   in Loop: Header=BB207_104 Depth=1
	s_or_b32 exec_lo, exec_lo, s22
	v_lshlrev_b32_e32 v17, 24, v39
	s_delay_alu instid0(VALU_DEP_2) | instskip(SKIP_1) | instid1(VALU_DEP_3)
	v_lshlrev_b32_e32 v5, 20, v5
	v_lshl_add_u32 v16, v16, 23, 0x3c000000
	v_and_b32_e32 v17, 0x80000000, v17
	s_delay_alu instid0(VALU_DEP_1) | instskip(NEXT) | instid1(VALU_DEP_1)
	v_or3_b32 v5, v5, v17, v16
	v_dual_mov_b32 v17, v6 :: v_dual_mov_b32 v16, v5
.LBB207_161:                            ;   in Loop: Header=BB207_104 Depth=1
	s_or_b32 exec_lo, exec_lo, s21
.LBB207_162:                            ;   in Loop: Header=BB207_104 Depth=1
	s_delay_alu instid0(SALU_CYCLE_1)
	s_or_b32 exec_lo, exec_lo, s20
.LBB207_163:                            ;   in Loop: Header=BB207_104 Depth=1
	s_delay_alu instid0(SALU_CYCLE_1) | instskip(NEXT) | instid1(SALU_CYCLE_1)
	s_or_b32 exec_lo, exec_lo, s8
	s_mov_b32 s20, exec_lo
	v_cmpx_lt_u32_e32 0xffffff, v38
	s_cbranch_execz .LBB207_171
; %bb.164:                              ;   in Loop: Header=BB207_104 Depth=1
	v_lshrrev_b32_e32 v39, 24, v38
	v_dual_mov_b32 v19, s5 :: v_dual_mov_b32 v18, s4
	s_mov_b32 s21, exec_lo
	s_delay_alu instid0(VALU_DEP_2)
	v_cmpx_ne_u32_e32 0x80, v39
	s_cbranch_execz .LBB207_170
; %bb.165:                              ;   in Loop: Header=BB207_104 Depth=1
	s_mov_b32 s8, s4
	v_bfe_u32 v38, v38, 24, 7
	v_dual_mov_b32 v19, s9 :: v_dual_mov_b32 v18, s8
	s_mov_b32 s8, exec_lo
	s_delay_alu instid0(VALU_DEP_2)
	v_cmpx_ne_u32_e32 0x7f, v38
	s_cbranch_execz .LBB207_169
; %bb.166:                              ;   in Loop: Header=BB207_104 Depth=1
	v_and_b32_e32 v5, 7, v39
	v_lshrrev_b32_e32 v18, 3, v38
	s_mov_b32 s22, exec_lo
	v_cmpx_gt_u32_e32 8, v38
; %bb.167:                              ;   in Loop: Header=BB207_104 Depth=1
	s_delay_alu instid0(VALU_DEP_3) | instskip(NEXT) | instid1(VALU_DEP_1)
	v_clz_i32_u32_e32 v18, v5
	v_min_u32_e32 v18, 32, v18
	s_delay_alu instid0(VALU_DEP_1) | instskip(SKIP_1) | instid1(VALU_DEP_2)
	v_subrev_nc_u32_e32 v19, 28, v18
	v_sub_nc_u32_e32 v18, 29, v18
	v_lshlrev_b64 v[40:41], v19, v[5:6]
	s_delay_alu instid0(VALU_DEP_1)
	v_and_b32_e32 v5, 7, v40
; %bb.168:                              ;   in Loop: Header=BB207_104 Depth=1
	s_or_b32 exec_lo, exec_lo, s22
	v_lshlrev_b32_e32 v19, 24, v39
	s_delay_alu instid0(VALU_DEP_2) | instskip(SKIP_1) | instid1(VALU_DEP_3)
	v_lshlrev_b32_e32 v5, 20, v5
	v_lshl_add_u32 v18, v18, 23, 0x3c000000
	v_and_b32_e32 v19, 0x80000000, v19
	s_delay_alu instid0(VALU_DEP_1)
	v_or3_b32 v19, v5, v19, v18
	v_mov_b32_e32 v18, v6
.LBB207_169:                            ;   in Loop: Header=BB207_104 Depth=1
	s_or_b32 exec_lo, exec_lo, s8
.LBB207_170:                            ;   in Loop: Header=BB207_104 Depth=1
	s_delay_alu instid0(SALU_CYCLE_1)
	s_or_b32 exec_lo, exec_lo, s21
.LBB207_171:                            ;   in Loop: Header=BB207_104 Depth=1
	s_delay_alu instid0(SALU_CYCLE_1)
	s_or_b32 exec_lo, exec_lo, s20
	v_or_b32_e32 v5, v15, v13
	v_or_b32_e32 v12, v14, v12
	;; [unrolled: 1-line block ×4, first 2 shown]
	s_mov_b32 s0, s18
	s_delay_alu instid0(VALU_DEP_3) | instid1(SALU_CYCLE_1)
	v_dual_mul_f32 v14, s0, v5 :: v_dual_mul_f32 v13, s18, v12
	s_delay_alu instid0(VALU_DEP_2)
	v_dual_mul_f32 v5, s0, v15 :: v_dual_mul_f32 v12, s18, v16
	s_and_saveexec_b32 s0, vcc_lo
	s_cbranch_execz .LBB207_102
; %bb.172:                              ;   in Loop: Header=BB207_104 Depth=1
	v_cmp_gt_i32_e32 vcc_lo, s15, v34
	v_cndmask_b32_e32 v13, 0, v13, vcc_lo
	v_cmp_gt_i32_e32 vcc_lo, s15, v37
	v_cndmask_b32_e32 v14, 0, v14, vcc_lo
	;; [unrolled: 2-line block ×4, first 2 shown]
	s_branch .LBB207_102
.LBB207_173:
	s_or_b32 exec_lo, exec_lo, s14
.LBB207_174:
	s_delay_alu instid0(SALU_CYCLE_1)
	s_or_b32 exec_lo, exec_lo, s1
	ds_bpermute_b32 v1, v25, v29
	ds_bpermute_b32 v2, v25, v27
	v_and_b32_e32 v4, 0x3c1, v0
	v_lshrrev_b32_e32 v3, 1, v24
	s_mov_b32 s0, exec_lo
	s_waitcnt lgkmcnt(0)
	s_waitcnt_vscnt null, 0x0
	s_barrier
	buffer_gl0_inv
	v_dual_add_f32 v1, v29, v1 :: v_dual_add_f32 v2, v27, v2
	v_cmpx_eq_u32_e32 64, v4
	s_cbranch_execz .LBB207_176
; %bb.175:
	v_lshl_add_u32 v4, v22, 7, 0xa0
	v_lshlrev_b32_e32 v5, 2, v3
	s_delay_alu instid0(VALU_DEP_1)
	v_add3_u32 v4, v4, v5, 0xffffff00
	ds_store_2addr_b32 v4, v1, v2 offset1:16
.LBB207_176:
	s_or_b32 exec_lo, exec_lo, s0
	v_and_b32_e32 v4, 0x3e0, v0
	v_cmp_eq_u32_e32 vcc_lo, 0, v26
	s_mov_b32 s1, exec_lo
	s_waitcnt lgkmcnt(0)
	s_barrier
	v_lshl_add_u32 v4, v4, 2, 0xa0
	buffer_gl0_inv
	v_cmpx_gt_u32_e32 64, v0
	s_cbranch_execz .LBB207_182
; %bb.177:
	s_and_saveexec_b32 s0, vcc_lo
	s_cbranch_execz .LBB207_179
; %bb.178:
	v_lshl_add_u32 v5, v3, 2, v4
	ds_load_b32 v5, v5
	s_waitcnt lgkmcnt(0)
	v_add_f32_e32 v1, v1, v5
.LBB207_179:
	s_or_b32 exec_lo, exec_lo, s0
	s_and_saveexec_b32 s0, vcc_lo
	s_cbranch_execz .LBB207_181
; %bb.180:
	v_lshl_add_u32 v5, v3, 2, v4
	ds_load_b32 v5, v5 offset:64
	s_waitcnt lgkmcnt(0)
	v_add_f32_e32 v2, v2, v5
.LBB207_181:
	s_or_b32 exec_lo, exec_lo, s0
.LBB207_182:
	s_delay_alu instid0(SALU_CYCLE_1)
	s_or_b32 exec_lo, exec_lo, s1
	v_and_b32_e32 v5, 0x3e1, v0
	s_mov_b32 s1, exec_lo
	s_barrier
	buffer_gl0_inv
	v_cmpx_eq_u32_e32 32, v5
	s_cbranch_execz .LBB207_184
; %bb.183:
	v_lshl_add_u32 v6, v3, 2, 0xa0
	ds_store_2addr_b32 v6, v1, v2 offset1:16
.LBB207_184:
	s_or_b32 exec_lo, exec_lo, s1
	s_waitcnt lgkmcnt(0)
	s_barrier
	buffer_gl0_inv
	s_and_saveexec_b32 s0, s2
	s_cbranch_execz .LBB207_190
; %bb.185:
	v_lshl_add_u32 v3, v3, 2, v4
	s_and_saveexec_b32 s1, vcc_lo
	s_cbranch_execz .LBB207_187
; %bb.186:
	ds_load_b32 v4, v3
	s_waitcnt lgkmcnt(0)
	v_add_f32_e32 v1, v1, v4
.LBB207_187:
	s_or_b32 exec_lo, exec_lo, s1
	s_and_saveexec_b32 s1, vcc_lo
	s_cbranch_execz .LBB207_189
; %bb.188:
	ds_load_b32 v3, v3 offset:64
	s_waitcnt lgkmcnt(0)
	v_add_f32_e32 v2, v2, v3
.LBB207_189:
	s_or_b32 exec_lo, exec_lo, s1
.LBB207_190:
	s_delay_alu instid0(SALU_CYCLE_1)
	s_or_b32 exec_lo, exec_lo, s0
	s_barrier
	buffer_gl0_inv
	s_mov_b32 s0, exec_lo
	v_cmpx_eq_u32_e32 0, v5
	s_cbranch_execz .LBB207_192
; %bb.191:
	s_lshl_b32 s0, s6, 5
	s_mul_i32 s2, s16, s24
	s_ashr_i32 s1, s0, 31
	v_lshlrev_b32_e32 v0, 1, v0
	s_lshl_b64 s[0:1], s[0:1], 2
	s_delay_alu instid0(SALU_CYCLE_1) | instskip(SKIP_2) | instid1(SALU_CYCLE_1)
	s_add_u32 s4, s26, s0
	s_addc_u32 s5, s27, s1
	s_ashr_i32 s3, s2, 31
	s_lshl_b64 s[0:1], s[2:3], 2
	s_delay_alu instid0(SALU_CYCLE_1) | instskip(SKIP_2) | instid1(SALU_CYCLE_1)
	s_add_u32 s2, s4, s0
	s_addc_u32 s3, s5, s1
	s_lshl_b32 s0, s12, 5
	s_ashr_i32 s1, s0, 31
	s_delay_alu instid0(SALU_CYCLE_1) | instskip(NEXT) | instid1(SALU_CYCLE_1)
	s_lshl_b64 s[0:1], s[0:1], 2
	s_add_u32 s0, s2, s0
	s_addc_u32 s1, s3, s1
	s_clause 0x1
	global_store_b32 v0, v1, s[0:1]
	global_store_b32 v0, v2, s[0:1] offset:64
.LBB207_192:
	s_nop 0
	s_sendmsg sendmsg(MSG_DEALLOC_VGPRS)
	s_endpgm
	.section	.rodata,"a",@progbits
	.p2align	6, 0x0
	.amdhsa_kernel _ZN4vllm25paged_attention_v2_kernelIfhLi32ELi8ELi128ELNS_18Fp8KVCacheDataTypeE1ELb1ELi512EEEvPfS2_PT_PKS3_PKT0_S9_ifPKiSB_iPKfiiiSD_SD_iiiii
		.amdhsa_group_segment_fixed_size 160
		.amdhsa_private_segment_fixed_size 0
		.amdhsa_kernarg_size 400
		.amdhsa_user_sgpr_count 13
		.amdhsa_user_sgpr_dispatch_ptr 0
		.amdhsa_user_sgpr_queue_ptr 0
		.amdhsa_user_sgpr_kernarg_segment_ptr 1
		.amdhsa_user_sgpr_dispatch_id 0
		.amdhsa_user_sgpr_private_segment_size 0
		.amdhsa_wavefront_size32 1
		.amdhsa_uses_dynamic_stack 0
		.amdhsa_enable_private_segment 0
		.amdhsa_system_sgpr_workgroup_id_x 1
		.amdhsa_system_sgpr_workgroup_id_y 1
		.amdhsa_system_sgpr_workgroup_id_z 1
		.amdhsa_system_sgpr_workgroup_info 0
		.amdhsa_system_vgpr_workitem_id 0
		.amdhsa_next_free_vgpr 44
		.amdhsa_next_free_sgpr 54
		.amdhsa_reserve_vcc 1
		.amdhsa_float_round_mode_32 0
		.amdhsa_float_round_mode_16_64 0
		.amdhsa_float_denorm_mode_32 3
		.amdhsa_float_denorm_mode_16_64 3
		.amdhsa_dx10_clamp 1
		.amdhsa_ieee_mode 1
		.amdhsa_fp16_overflow 0
		.amdhsa_workgroup_processor_mode 1
		.amdhsa_memory_ordered 1
		.amdhsa_forward_progress 0
		.amdhsa_shared_vgpr_count 0
		.amdhsa_exception_fp_ieee_invalid_op 0
		.amdhsa_exception_fp_denorm_src 0
		.amdhsa_exception_fp_ieee_div_zero 0
		.amdhsa_exception_fp_ieee_overflow 0
		.amdhsa_exception_fp_ieee_underflow 0
		.amdhsa_exception_fp_ieee_inexact 0
		.amdhsa_exception_int_div_zero 0
	.end_amdhsa_kernel
	.section	.text._ZN4vllm25paged_attention_v2_kernelIfhLi32ELi8ELi128ELNS_18Fp8KVCacheDataTypeE1ELb1ELi512EEEvPfS2_PT_PKS3_PKT0_S9_ifPKiSB_iPKfiiiSD_SD_iiiii,"axG",@progbits,_ZN4vllm25paged_attention_v2_kernelIfhLi32ELi8ELi128ELNS_18Fp8KVCacheDataTypeE1ELb1ELi512EEEvPfS2_PT_PKS3_PKT0_S9_ifPKiSB_iPKfiiiSD_SD_iiiii,comdat
.Lfunc_end207:
	.size	_ZN4vllm25paged_attention_v2_kernelIfhLi32ELi8ELi128ELNS_18Fp8KVCacheDataTypeE1ELb1ELi512EEEvPfS2_PT_PKS3_PKT0_S9_ifPKiSB_iPKfiiiSD_SD_iiiii, .Lfunc_end207-_ZN4vllm25paged_attention_v2_kernelIfhLi32ELi8ELi128ELNS_18Fp8KVCacheDataTypeE1ELb1ELi512EEEvPfS2_PT_PKS3_PKT0_S9_ifPKiSB_iPKfiiiSD_SD_iiiii
                                        ; -- End function
	.section	.AMDGPU.csdata,"",@progbits
; Kernel info:
; codeLenInByte = 7928
; NumSgprs: 56
; NumVgprs: 44
; ScratchSize: 0
; MemoryBound: 0
; FloatMode: 240
; IeeeMode: 1
; LDSByteSize: 160 bytes/workgroup (compile time only)
; SGPRBlocks: 6
; VGPRBlocks: 5
; NumSGPRsForWavesPerEU: 56
; NumVGPRsForWavesPerEU: 44
; Occupancy: 16
; WaveLimiterHint : 1
; COMPUTE_PGM_RSRC2:SCRATCH_EN: 0
; COMPUTE_PGM_RSRC2:USER_SGPR: 13
; COMPUTE_PGM_RSRC2:TRAP_HANDLER: 0
; COMPUTE_PGM_RSRC2:TGID_X_EN: 1
; COMPUTE_PGM_RSRC2:TGID_Y_EN: 1
; COMPUTE_PGM_RSRC2:TGID_Z_EN: 1
; COMPUTE_PGM_RSRC2:TIDIG_COMP_CNT: 0
	.section	.text._ZN4vllm25paged_attention_v2_kernelIfhLi64ELi8ELi128ELNS_18Fp8KVCacheDataTypeE1ELb1ELi512EEEvPfS2_PT_PKS3_PKT0_S9_ifPKiSB_iPKfiiiSD_SD_iiiii,"axG",@progbits,_ZN4vllm25paged_attention_v2_kernelIfhLi64ELi8ELi128ELNS_18Fp8KVCacheDataTypeE1ELb1ELi512EEEvPfS2_PT_PKS3_PKT0_S9_ifPKiSB_iPKfiiiSD_SD_iiiii,comdat
	.protected	_ZN4vllm25paged_attention_v2_kernelIfhLi64ELi8ELi128ELNS_18Fp8KVCacheDataTypeE1ELb1ELi512EEEvPfS2_PT_PKS3_PKT0_S9_ifPKiSB_iPKfiiiSD_SD_iiiii ; -- Begin function _ZN4vllm25paged_attention_v2_kernelIfhLi64ELi8ELi128ELNS_18Fp8KVCacheDataTypeE1ELb1ELi512EEEvPfS2_PT_PKS3_PKT0_S9_ifPKiSB_iPKfiiiSD_SD_iiiii
	.globl	_ZN4vllm25paged_attention_v2_kernelIfhLi64ELi8ELi128ELNS_18Fp8KVCacheDataTypeE1ELb1ELi512EEEvPfS2_PT_PKS3_PKT0_S9_ifPKiSB_iPKfiiiSD_SD_iiiii
	.p2align	8
	.type	_ZN4vllm25paged_attention_v2_kernelIfhLi64ELi8ELi128ELNS_18Fp8KVCacheDataTypeE1ELb1ELi512EEEvPfS2_PT_PKS3_PKT0_S9_ifPKiSB_iPKfiiiSD_SD_iiiii,@function
_ZN4vllm25paged_attention_v2_kernelIfhLi64ELi8ELi128ELNS_18Fp8KVCacheDataTypeE1ELb1ELi512EEEvPfS2_PT_PKS3_PKT0_S9_ifPKiSB_iPKfiiiSD_SD_iiiii: ; @_ZN4vllm25paged_attention_v2_kernelIfhLi64ELi8ELi128ELNS_18Fp8KVCacheDataTypeE1ELb1ELi512EEEvPfS2_PT_PKS3_PKT0_S9_ifPKiSB_iPKfiiiSD_SD_iiiii
; %bb.0:
	s_load_b64 s[2:3], s[0:1], 0x40
	s_mov_b32 s26, s15
	s_ashr_i32 s15, s14, 31
	s_delay_alu instid0(SALU_CYCLE_1)
	s_lshl_b64 s[4:5], s[14:15], 2
	s_waitcnt lgkmcnt(0)
	s_add_u32 s2, s2, s4
	s_addc_u32 s3, s3, s5
	s_lshl_b32 s41, s26, 9
	s_load_b32 s15, s[2:3], 0x0
	s_waitcnt lgkmcnt(0)
	s_cmp_ge_i32 s41, s15
	s_cbranch_scc1 .LBB208_326
; %bb.1:
	s_clause 0x1
	s_load_b32 s27, s[0:1], 0x90
	s_load_b64 s[38:39], s[0:1], 0x30
	s_mov_b32 s28, s13
	s_mov_b32 s43, 0
	s_waitcnt lgkmcnt(0)
	s_abs_i32 s5, s27
	s_abs_i32 s2, s38
	s_delay_alu instid0(SALU_CYCLE_1) | instskip(SKIP_1) | instid1(VALU_DEP_1)
	v_cvt_f32_u32_e32 v1, s2
	s_sub_i32 s4, 0, s2
	v_rcp_iflag_f32_e32 v1, v1
	s_waitcnt_depctr 0xfff
	v_mul_f32_e32 v1, 0x4f7ffffe, v1
	s_delay_alu instid0(VALU_DEP_1) | instskip(NEXT) | instid1(VALU_DEP_1)
	v_cvt_u32_f32_e32 v1, v1
	v_readfirstlane_b32 s3, v1
	s_delay_alu instid0(VALU_DEP_1) | instskip(NEXT) | instid1(SALU_CYCLE_1)
	s_mul_i32 s4, s4, s3
	s_mul_hi_u32 s4, s3, s4
	s_delay_alu instid0(SALU_CYCLE_1) | instskip(SKIP_4) | instid1(SALU_CYCLE_1)
	s_add_i32 s3, s3, s4
	s_xor_b32 s4, s27, s38
	s_mul_hi_u32 s3, s5, s3
	s_ashr_i32 s4, s4, 31
	s_mul_i32 s6, s3, s2
	s_sub_i32 s5, s5, s6
	s_add_i32 s6, s3, 1
	s_sub_i32 s7, s5, s2
	s_cmp_ge_u32 s5, s2
	s_cselect_b32 s3, s6, s3
	s_cselect_b32 s5, s7, s5
	s_add_i32 s6, s3, 1
	s_cmp_ge_u32 s5, s2
	s_cselect_b32 s2, s6, s3
	s_abs_i32 s9, s13
	s_xor_b32 s2, s2, s4
	s_delay_alu instid0(SALU_CYCLE_1) | instskip(SKIP_2) | instid1(SALU_CYCLE_1)
	s_sub_i32 s11, s2, s4
	s_load_b64 s[2:3], s[0:1], 0x50
	s_abs_i32 s8, s11
	v_cvt_f32_u32_e32 v1, s8
	s_sub_i32 s5, 0, s8
	s_delay_alu instid0(VALU_DEP_1) | instskip(SKIP_2) | instid1(VALU_DEP_1)
	v_rcp_iflag_f32_e32 v1, v1
	s_waitcnt_depctr 0xfff
	v_mul_f32_e32 v1, 0x4f7ffffe, v1
	v_cvt_u32_f32_e32 v1, v1
	s_delay_alu instid0(VALU_DEP_1) | instskip(NEXT) | instid1(VALU_DEP_1)
	v_readfirstlane_b32 s4, v1
	s_mul_i32 s5, s5, s4
	s_delay_alu instid0(SALU_CYCLE_1) | instskip(NEXT) | instid1(SALU_CYCLE_1)
	s_mul_hi_u32 s5, s4, s5
	s_add_i32 s4, s4, s5
	s_waitcnt lgkmcnt(0)
	s_cmp_eq_u64 s[2:3], 0
	s_mul_hi_u32 s10, s9, s4
	s_cbranch_scc1 .LBB208_3
; %bb.2:
	s_ashr_i32 s29, s28, 31
	s_delay_alu instid0(SALU_CYCLE_1) | instskip(NEXT) | instid1(SALU_CYCLE_1)
	s_lshl_b64 s[4:5], s[28:29], 2
	s_add_u32 s2, s2, s4
	s_addc_u32 s3, s3, s5
	s_load_b32 s43, s[2:3], 0x0
.LBB208_3:
	s_load_b128 s[4:7], s[0:1], 0x58
	v_and_b32_e32 v32, 3, v0
	v_cmp_gt_u32_e64 s2, 64, v0
	v_lshlrev_b32_e32 v31, 2, v0
	s_ashr_i32 s3, s28, 31
	s_waitcnt lgkmcnt(0)
	s_ashr_i32 s7, s11, 31
	s_lshl_b32 s12, s28, 6
	s_and_saveexec_b32 s11, s2
	s_cbranch_execz .LBB208_5
; %bb.4:
	s_load_b64 s[16:17], s[0:1], 0x18
	s_mul_i32 s18, s14, s4
	v_and_b32_e32 v2, 0x3fc, v0
	s_ashr_i32 s19, s18, 31
	s_delay_alu instid0(SALU_CYCLE_1) | instskip(NEXT) | instid1(VALU_DEP_1)
	s_lshl_b64 s[18:19], s[18:19], 2
	v_lshl_add_u32 v2, v32, 6, v2
	s_waitcnt lgkmcnt(0)
	s_add_u32 s4, s16, s18
	s_addc_u32 s18, s17, s19
	s_ashr_i32 s13, s12, 31
	s_delay_alu instid0(SALU_CYCLE_1) | instskip(NEXT) | instid1(SALU_CYCLE_1)
	s_lshl_b64 s[16:17], s[12:13], 2
	s_add_u32 s16, s4, s16
	s_addc_u32 s17, s18, s17
	global_load_b32 v1, v31, s[16:17]
	s_waitcnt vmcnt(0)
	ds_store_b32 v2, v1
.LBB208_5:
	s_or_b32 exec_lo, exec_lo, s11
	s_load_b128 s[16:19], s[0:1], 0x78
	s_mul_i32 s4, s10, s8
	s_xor_b32 s3, s3, s7
	s_sub_i32 s4, s9, s4
	s_add_i32 s7, s10, 1
	s_sub_i32 s9, s4, s8
	s_cmp_ge_u32 s4, s8
	s_waitcnt lgkmcnt(0)
	s_cselect_b32 s7, s7, s10
	s_cselect_b32 s4, s9, s4
	s_add_i32 s9, s7, 1
	s_cmp_ge_u32 s4, s8
	s_load_b32 s8, s[0:1], 0x88
	s_cselect_b32 s4, s9, s7
	s_add_i32 s9, s15, -1
	s_xor_b32 s4, s4, s3
	s_abs_i32 s7, s9
	s_sub_i32 s4, s4, s3
	s_mov_b32 s10, -1
	s_waitcnt lgkmcnt(0)
	s_barrier
	s_abs_i32 s29, s19
	buffer_gl0_inv
	v_cvt_f32_u32_e32 v1, s29
	s_sub_i32 s3, 0, s29
                                        ; implicit-def: $sgpr40
	s_delay_alu instid0(VALU_DEP_1) | instskip(SKIP_2) | instid1(VALU_DEP_1)
	v_rcp_iflag_f32_e32 v1, v1
	s_waitcnt_depctr 0xfff
	v_mul_f32_e32 v1, 0x4f7ffffe, v1
	v_cvt_u32_f32_e32 v1, v1
	s_delay_alu instid0(VALU_DEP_1) | instskip(NEXT) | instid1(VALU_DEP_1)
	v_readfirstlane_b32 s33, v1
	s_mul_i32 s3, s3, s33
	s_delay_alu instid0(SALU_CYCLE_1) | instskip(NEXT) | instid1(SALU_CYCLE_1)
	s_mul_hi_u32 s3, s33, s3
	s_add_i32 s33, s33, s3
	s_cmp_lt_i32 s8, 0
	s_mul_hi_u32 s3, s7, s33
	s_cbranch_scc0 .LBB208_7
; %bb.6:
	s_mul_i32 s10, s16, s38
	s_delay_alu instid0(SALU_CYCLE_1) | instskip(NEXT) | instid1(SALU_CYCLE_1)
	s_add_i32 s10, s4, s10
	s_mul_i32 s10, s10, s8
	s_delay_alu instid0(SALU_CYCLE_1)
	s_sub_i32 s40, 1, s10
	s_mov_b32 s10, 0
.LBB208_7:
	s_load_b64 s[30:31], s[0:1], 0x38
	s_ashr_i32 s34, s9, 31
	s_and_not1_b32 vcc_lo, exec_lo, s10
	s_ashr_i32 s19, s19, 31
	s_cbranch_vccnz .LBB208_9
; %bb.8:
	s_mul_i32 s9, s27, s16
	s_delay_alu instid0(SALU_CYCLE_1) | instskip(NEXT) | instid1(SALU_CYCLE_1)
	s_add_i32 s9, s9, s28
	s_mul_i32 s8, s9, s8
	s_delay_alu instid0(SALU_CYCLE_1)
	s_add_i32 s40, s8, 1
.LBB208_9:
	s_clause 0x5
	s_load_b32 s16, s[0:1], 0x48
	s_load_b64 s[36:37], s[0:1], 0x28
	s_load_b128 s[20:23], s[0:1], 0x0
	s_load_b64 s[24:25], s[0:1], 0x10
	s_load_b32 s13, s[0:1], 0x98
	s_load_b128 s[8:11], s[0:1], 0x68
	s_xor_b32 s44, s34, s19
	s_mul_i32 s34, s3, s29
	s_add_i32 s38, s3, 1
	s_sub_i32 s7, s7, s34
	v_lshrrev_b32_e32 v29, 5, v0
	v_mov_b32_e32 v34, 0xff7fffff
	v_mbcnt_lo_u32_b32 v33, -1, 0
	s_mul_i32 s6, s4, s6
	s_delay_alu instid0(VALU_DEP_3)
	v_lshl_add_u32 v30, v29, 3, s41
	s_waitcnt lgkmcnt(0)
	s_mul_i32 s34, s14, s16
	s_sub_i32 s16, s7, s29
	s_ashr_i32 s35, s34, 31
	s_cmp_ge_u32 s7, s29
	s_cselect_b32 s3, s38, s3
	s_cselect_b32 s7, s16, s7
	s_add_i32 s16, s3, 1
	s_cmp_ge_u32 s7, s29
	s_cselect_b32 s3, s16, s3
	s_add_i32 s7, s15, 7
	s_lshl_b32 s16, s26, 6
	s_ashr_i32 s38, s7, 31
	v_or_b32_e32 v17, s16, v29
	s_lshr_b32 s38, s38, 29
	s_delay_alu instid0(SALU_CYCLE_1)
	s_add_i32 s7, s7, s38
	s_add_i32 s38, s16, 64
	s_ashr_i32 s42, s7, 3
	s_xor_b32 s7, s3, s44
	s_min_i32 s38, s38, s42
	v_ashrrev_i32_e32 v18, 31, v17
	v_cmp_gt_i32_e64 s3, s38, v17
	s_sub_i32 s7, s7, s44
	s_delay_alu instid0(VALU_DEP_1)
	s_and_saveexec_b32 s44, s3
	s_cbranch_execz .LBB208_147
; %bb.10:
	s_load_b64 s[0:1], s[0:1], 0x20
	s_sub_i32 s45, s7, s17
	s_ashr_i32 s4, s6, 31
	v_bfe_u32 v35, v0, 2, 3
	v_mov_b32_e32 v38, 0xff7fffff
	v_cmp_eq_u32_e32 vcc_lo, 0, v32
	v_lshlrev_b32_e32 v36, 6, v32
	v_lshl_add_u32 v37, v29, 3, s41
	v_lshlrev_b32_e32 v7, 4, v35
	v_lshlrev_b32_e32 v4, 2, v35
	v_subrev_nc_u32_e32 v5, s15, v35
	v_mov_b32_e32 v34, 0xff7fffff
	v_mov_b32_e32 v20, 0
	;; [unrolled: 1-line block ×3, first 2 shown]
	v_lshl_or_b32 v4, v29, 5, v4
	v_add_nc_u32_e32 v39, 1, v5
	s_delay_alu instid0(VALU_DEP_2)
	v_add_nc_u32_e32 v40, 0x120, v4
	s_waitcnt lgkmcnt(0)
	s_add_u32 s47, s0, s6
	s_addc_u32 s1, s1, s4
	s_abs_i32 s46, s18
	s_lshl_b64 s[48:49], s[34:35], 2
	v_cvt_f32_u32_e32 v1, s46
	s_sub_i32 s4, 0, s46
	v_cmp_neq_f32_e64 s0, s43, 0
	s_delay_alu instid0(VALU_DEP_2) | instskip(SKIP_3) | instid1(VALU_DEP_2)
	v_rcp_iflag_f32_e32 v1, v1
	s_waitcnt_depctr 0xfff
	v_mul_f32_e32 v3, 0x4f7ffffe, v1
	v_lshlrev_b64 v[1:2], 2, v[17:18]
	v_cvt_u32_f32_e32 v3, v3
	s_delay_alu instid0(VALU_DEP_1) | instskip(SKIP_1) | instid1(VALU_DEP_1)
	v_mul_lo_u32 v6, s4, v3
	v_add_co_u32 v21, s4, s47, v7
	v_add_co_ci_u32_e64 v22, null, s1, 0, s4
	s_add_u32 s1, s30, s48
	s_addc_u32 s4, s31, s49
	v_add_co_u32 v23, s1, s1, v1
	s_delay_alu instid0(VALU_DEP_4) | instskip(SKIP_3) | instid1(VALU_DEP_2)
	v_mul_hi_u32 v4, v3, v6
	v_add_co_ci_u32_e64 v24, s1, s4, v2, s1
	s_mov_b32 s47, 0
	s_mov_b32 s48, s5
	v_add_nc_u32_e32 v41, v3, v4
	s_branch .LBB208_13
.LBB208_11:                             ;   in Loop: Header=BB208_13 Depth=1
	s_or_b32 exec_lo, exec_lo, s49
.LBB208_12:                             ;   in Loop: Header=BB208_13 Depth=1
	s_delay_alu instid0(SALU_CYCLE_1) | instskip(SKIP_2) | instid1(VALU_DEP_1)
	s_or_b32 exec_lo, exec_lo, s4
	v_add_nc_u32_e32 v42, 4, v42
	v_add_co_u32 v23, s4, v23, 16
	v_add_co_ci_u32_e64 v24, s4, 0, v24, s4
	s_delay_alu instid0(VALU_DEP_3) | instskip(SKIP_2) | instid1(VALU_DEP_3)
	v_cmp_le_i32_e64 s1, s38, v42
	v_add_nc_u32_e32 v37, 32, v37
	v_add_nc_u32_e32 v40, 0x80, v40
	s_or_b32 s47, s1, s47
	s_delay_alu instid0(SALU_CYCLE_1)
	s_and_not1_b32 exec_lo, exec_lo, s47
	s_cbranch_execz .LBB208_146
.LBB208_13:                             ; =>This Inner Loop Header: Depth=1
	v_sub_nc_u32_e32 v1, 0, v37
	s_delay_alu instid0(VALU_DEP_1) | instskip(SKIP_1) | instid1(VALU_DEP_1)
	v_max_i32_e32 v1, v37, v1
	s_waitcnt lgkmcnt(0)
	v_mul_hi_u32 v2, v1, s33
	s_delay_alu instid0(VALU_DEP_1) | instskip(NEXT) | instid1(VALU_DEP_1)
	v_mul_lo_u32 v3, v2, s29
	v_sub_nc_u32_e32 v1, v1, v3
	v_add_nc_u32_e32 v3, 1, v2
	s_delay_alu instid0(VALU_DEP_2) | instskip(SKIP_1) | instid1(VALU_DEP_1)
	v_subrev_nc_u32_e32 v4, s29, v1
	v_cmp_le_u32_e64 s1, s29, v1
	v_cndmask_b32_e64 v2, v2, v3, s1
	s_delay_alu instid0(VALU_DEP_3) | instskip(SKIP_1) | instid1(VALU_DEP_3)
	v_cndmask_b32_e64 v1, v1, v4, s1
	v_ashrrev_i32_e32 v3, 31, v37
	v_add_nc_u32_e32 v4, 1, v2
	s_delay_alu instid0(VALU_DEP_3) | instskip(NEXT) | instid1(VALU_DEP_3)
	v_cmp_le_u32_e64 s1, s29, v1
	v_xor_b32_e32 v3, s19, v3
	s_delay_alu instid0(VALU_DEP_2) | instskip(NEXT) | instid1(VALU_DEP_1)
	v_cndmask_b32_e64 v1, v2, v4, s1
	v_xor_b32_e32 v1, v1, v3
	s_delay_alu instid0(VALU_DEP_1) | instskip(NEXT) | instid1(VALU_DEP_1)
	v_sub_nc_u32_e32 v1, v1, v3
	v_add_nc_u32_e32 v2, s40, v1
	v_cmp_ge_i32_e64 s4, s45, v1
	s_delay_alu instid0(VALU_DEP_2) | instskip(NEXT) | instid1(VALU_DEP_1)
	v_sub_nc_u32_e32 v3, 0, v2
	v_max_i32_e32 v3, v2, v3
	v_ashrrev_i32_e32 v2, 31, v2
	s_delay_alu instid0(VALU_DEP_2) | instskip(NEXT) | instid1(VALU_DEP_1)
	v_mul_hi_u32 v4, v3, v41
	v_mul_lo_u32 v4, v4, s46
	s_delay_alu instid0(VALU_DEP_1) | instskip(NEXT) | instid1(VALU_DEP_1)
	v_sub_nc_u32_e32 v3, v3, v4
	v_subrev_nc_u32_e32 v4, s46, v3
	v_cmp_le_u32_e64 s1, s46, v3
	s_delay_alu instid0(VALU_DEP_1) | instskip(NEXT) | instid1(VALU_DEP_1)
	v_cndmask_b32_e64 v3, v3, v4, s1
	v_subrev_nc_u32_e32 v4, s46, v3
	v_cmp_le_u32_e64 s1, s46, v3
	s_delay_alu instid0(VALU_DEP_1) | instskip(NEXT) | instid1(VALU_DEP_1)
	v_cndmask_b32_e64 v3, v3, v4, s1
	v_xor_b32_e32 v3, v3, v2
	s_delay_alu instid0(VALU_DEP_1) | instskip(NEXT) | instid1(VALU_DEP_1)
	v_sub_nc_u32_e32 v2, v3, v2
	v_cmp_ne_u32_e64 s1, 0, v2
	s_delay_alu instid0(VALU_DEP_1) | instskip(NEXT) | instid1(SALU_CYCLE_1)
	s_and_b32 s1, s1, s4
	s_and_b32 s49, vcc_lo, s1
	s_delay_alu instid0(SALU_CYCLE_1)
	s_and_saveexec_b32 s4, s49
	s_cbranch_execz .LBB208_15
; %bb.14:                               ;   in Loop: Header=BB208_13 Depth=1
	ds_store_b32 v40, v38
.LBB208_15:                             ;   in Loop: Header=BB208_13 Depth=1
	s_or_b32 exec_lo, exec_lo, s4
	s_xor_b32 s1, s1, -1
	s_delay_alu instid0(SALU_CYCLE_1)
	s_and_saveexec_b32 s4, s1
	s_cbranch_execz .LBB208_12
; %bb.16:                               ;   in Loop: Header=BB208_13 Depth=1
	global_load_b32 v3, v[23:24], off
	v_dual_mov_b32 v43, 0 :: v_dual_mov_b32 v44, 0
	s_mov_b32 s50, exec_lo
	s_waitcnt vmcnt(0)
	v_mad_i64_i32 v[1:2], null, v3, s48, v[21:22]
	s_delay_alu instid0(VALU_DEP_1) | instskip(NEXT) | instid1(VALU_DEP_1)
	v_add_co_u32 v25, s1, v1, v32
	v_add_co_ci_u32_e64 v26, s1, 0, v2, s1
	global_load_u8 v27, v[25:26], off
	ds_load_b128 v[13:16], v36
	ds_load_b128 v[9:12], v36 offset:16
	ds_load_b128 v[5:8], v36 offset:32
	;; [unrolled: 1-line block ×3, first 2 shown]
	s_load_b32 s49, s[8:9], 0x0
	s_waitcnt vmcnt(0)
	v_cmpx_ne_u16_e32 0, v27
	s_cbranch_execz .LBB208_24
; %bb.17:                               ;   in Loop: Header=BB208_13 Depth=1
	v_bfrev_b32_e32 v44, 1
	s_mov_b32 s51, exec_lo
	v_cmpx_ne_u16_e32 0x80, v27
	s_cbranch_execz .LBB208_23
; %bb.18:                               ;   in Loop: Header=BB208_13 Depth=1
	v_and_b32_e32 v19, 0xffff, v27
	v_mov_b32_e32 v44, 0x7f800001
	s_mov_b32 s52, exec_lo
	s_delay_alu instid0(VALU_DEP_2) | instskip(NEXT) | instid1(VALU_DEP_1)
	v_and_b32_e32 v45, 0x7f, v19
	v_cmpx_ne_u32_e32 0x7f, v45
	s_cbranch_execz .LBB208_22
; %bb.19:                               ;   in Loop: Header=BB208_13 Depth=1
	v_and_b32_e32 v19, 7, v19
	v_lshrrev_b32_e32 v28, 3, v45
	s_mov_b32 s53, exec_lo
	v_cmpx_gt_u32_e32 8, v45
; %bb.20:                               ;   in Loop: Header=BB208_13 Depth=1
	s_delay_alu instid0(VALU_DEP_3) | instskip(NEXT) | instid1(VALU_DEP_1)
	v_clz_i32_u32_e32 v28, v19
	v_min_u32_e32 v28, 32, v28
	s_delay_alu instid0(VALU_DEP_1) | instskip(SKIP_1) | instid1(VALU_DEP_2)
	v_subrev_nc_u32_e32 v44, 28, v28
	v_sub_nc_u32_e32 v28, 29, v28
	v_lshlrev_b64 v[44:45], v44, v[19:20]
	s_delay_alu instid0(VALU_DEP_1)
	v_and_b32_e32 v19, 7, v44
; %bb.21:                               ;   in Loop: Header=BB208_13 Depth=1
	s_or_b32 exec_lo, exec_lo, s53
	v_lshlrev_b32_e32 v27, 24, v27
	s_delay_alu instid0(VALU_DEP_2) | instskip(SKIP_1) | instid1(VALU_DEP_3)
	v_lshlrev_b32_e32 v19, 20, v19
	v_lshl_add_u32 v28, v28, 23, 0x3c000000
	v_and_b32_e32 v27, 0x80000000, v27
	s_delay_alu instid0(VALU_DEP_1)
	v_or3_b32 v44, v19, v27, v28
.LBB208_22:                             ;   in Loop: Header=BB208_13 Depth=1
	s_or_b32 exec_lo, exec_lo, s52
.LBB208_23:                             ;   in Loop: Header=BB208_13 Depth=1
	s_delay_alu instid0(SALU_CYCLE_1)
	s_or_b32 exec_lo, exec_lo, s51
.LBB208_24:                             ;   in Loop: Header=BB208_13 Depth=1
	s_delay_alu instid0(SALU_CYCLE_1)
	s_or_b32 exec_lo, exec_lo, s50
	global_load_u8 v27, v[25:26], off offset:4
	s_mov_b32 s50, exec_lo
	s_waitcnt vmcnt(0)
	v_cmpx_ne_u16_e32 0, v27
	s_cbranch_execz .LBB208_32
; %bb.25:                               ;   in Loop: Header=BB208_13 Depth=1
	v_bfrev_b32_e32 v43, 1
	s_mov_b32 s51, exec_lo
	v_cmpx_ne_u16_e32 0x80, v27
	s_cbranch_execz .LBB208_31
; %bb.26:                               ;   in Loop: Header=BB208_13 Depth=1
	v_and_b32_e32 v19, 0xffff, v27
	v_mov_b32_e32 v43, 0x7f800001
	s_mov_b32 s52, exec_lo
	s_delay_alu instid0(VALU_DEP_2) | instskip(NEXT) | instid1(VALU_DEP_1)
	v_and_b32_e32 v45, 0x7f, v19
	v_cmpx_ne_u32_e32 0x7f, v45
	s_cbranch_execz .LBB208_30
; %bb.27:                               ;   in Loop: Header=BB208_13 Depth=1
	v_and_b32_e32 v19, 7, v19
	v_lshrrev_b32_e32 v28, 3, v45
	s_mov_b32 s53, exec_lo
	v_cmpx_gt_u32_e32 8, v45
; %bb.28:                               ;   in Loop: Header=BB208_13 Depth=1
	s_delay_alu instid0(VALU_DEP_3) | instskip(NEXT) | instid1(VALU_DEP_1)
	v_clz_i32_u32_e32 v28, v19
	v_min_u32_e32 v28, 32, v28
	s_delay_alu instid0(VALU_DEP_1) | instskip(SKIP_1) | instid1(VALU_DEP_2)
	v_subrev_nc_u32_e32 v43, 28, v28
	v_sub_nc_u32_e32 v28, 29, v28
	v_lshlrev_b64 v[45:46], v43, v[19:20]
	s_delay_alu instid0(VALU_DEP_1)
	v_and_b32_e32 v19, 7, v45
; %bb.29:                               ;   in Loop: Header=BB208_13 Depth=1
	s_or_b32 exec_lo, exec_lo, s53
	v_lshlrev_b32_e32 v27, 24, v27
	s_delay_alu instid0(VALU_DEP_2) | instskip(SKIP_1) | instid1(VALU_DEP_3)
	v_lshlrev_b32_e32 v19, 20, v19
	v_lshl_add_u32 v28, v28, 23, 0x3c000000
	v_and_b32_e32 v27, 0x80000000, v27
	s_delay_alu instid0(VALU_DEP_1)
	v_or3_b32 v43, v19, v27, v28
.LBB208_30:                             ;   in Loop: Header=BB208_13 Depth=1
	s_or_b32 exec_lo, exec_lo, s52
.LBB208_31:                             ;   in Loop: Header=BB208_13 Depth=1
	s_delay_alu instid0(SALU_CYCLE_1)
	s_or_b32 exec_lo, exec_lo, s51
.LBB208_32:                             ;   in Loop: Header=BB208_13 Depth=1
	s_delay_alu instid0(SALU_CYCLE_1)
	s_or_b32 exec_lo, exec_lo, s50
	global_load_u8 v27, v[25:26], off offset:8
	v_dual_mov_b32 v45, 0 :: v_dual_mov_b32 v46, 0
	s_mov_b32 s50, exec_lo
	s_waitcnt vmcnt(0)
	v_cmpx_ne_u16_e32 0, v27
	s_cbranch_execz .LBB208_40
; %bb.33:                               ;   in Loop: Header=BB208_13 Depth=1
	v_bfrev_b32_e32 v46, 1
	s_mov_b32 s51, exec_lo
	v_cmpx_ne_u16_e32 0x80, v27
	s_cbranch_execz .LBB208_39
; %bb.34:                               ;   in Loop: Header=BB208_13 Depth=1
	v_and_b32_e32 v19, 0xffff, v27
	v_mov_b32_e32 v46, 0x7f800001
	s_mov_b32 s52, exec_lo
	s_delay_alu instid0(VALU_DEP_2) | instskip(NEXT) | instid1(VALU_DEP_1)
	v_and_b32_e32 v47, 0x7f, v19
	v_cmpx_ne_u32_e32 0x7f, v47
	s_cbranch_execz .LBB208_38
; %bb.35:                               ;   in Loop: Header=BB208_13 Depth=1
	v_and_b32_e32 v19, 7, v19
	v_lshrrev_b32_e32 v28, 3, v47
	s_mov_b32 s53, exec_lo
	v_cmpx_gt_u32_e32 8, v47
; %bb.36:                               ;   in Loop: Header=BB208_13 Depth=1
	s_delay_alu instid0(VALU_DEP_3) | instskip(NEXT) | instid1(VALU_DEP_1)
	v_clz_i32_u32_e32 v28, v19
	v_min_u32_e32 v28, 32, v28
	s_delay_alu instid0(VALU_DEP_1) | instskip(SKIP_1) | instid1(VALU_DEP_2)
	v_subrev_nc_u32_e32 v46, 28, v28
	v_sub_nc_u32_e32 v28, 29, v28
	v_lshlrev_b64 v[46:47], v46, v[19:20]
	s_delay_alu instid0(VALU_DEP_1)
	v_and_b32_e32 v19, 7, v46
; %bb.37:                               ;   in Loop: Header=BB208_13 Depth=1
	s_or_b32 exec_lo, exec_lo, s53
	v_lshlrev_b32_e32 v27, 24, v27
	s_delay_alu instid0(VALU_DEP_2) | instskip(SKIP_1) | instid1(VALU_DEP_3)
	v_lshlrev_b32_e32 v19, 20, v19
	v_lshl_add_u32 v28, v28, 23, 0x3c000000
	v_and_b32_e32 v27, 0x80000000, v27
	s_delay_alu instid0(VALU_DEP_1)
	v_or3_b32 v46, v19, v27, v28
.LBB208_38:                             ;   in Loop: Header=BB208_13 Depth=1
	s_or_b32 exec_lo, exec_lo, s52
.LBB208_39:                             ;   in Loop: Header=BB208_13 Depth=1
	s_delay_alu instid0(SALU_CYCLE_1)
	s_or_b32 exec_lo, exec_lo, s51
.LBB208_40:                             ;   in Loop: Header=BB208_13 Depth=1
	s_delay_alu instid0(SALU_CYCLE_1)
	s_or_b32 exec_lo, exec_lo, s50
	global_load_u8 v27, v[25:26], off offset:12
	s_mov_b32 s50, exec_lo
	s_waitcnt vmcnt(0)
	v_cmpx_ne_u16_e32 0, v27
	s_cbranch_execz .LBB208_48
; %bb.41:                               ;   in Loop: Header=BB208_13 Depth=1
	v_bfrev_b32_e32 v45, 1
	s_mov_b32 s51, exec_lo
	v_cmpx_ne_u16_e32 0x80, v27
	s_cbranch_execz .LBB208_47
; %bb.42:                               ;   in Loop: Header=BB208_13 Depth=1
	v_and_b32_e32 v19, 0xffff, v27
	v_mov_b32_e32 v45, 0x7f800001
	s_mov_b32 s52, exec_lo
	s_delay_alu instid0(VALU_DEP_2) | instskip(NEXT) | instid1(VALU_DEP_1)
	v_and_b32_e32 v47, 0x7f, v19
	v_cmpx_ne_u32_e32 0x7f, v47
	s_cbranch_execz .LBB208_46
; %bb.43:                               ;   in Loop: Header=BB208_13 Depth=1
	v_and_b32_e32 v19, 7, v19
	v_lshrrev_b32_e32 v28, 3, v47
	s_mov_b32 s53, exec_lo
	v_cmpx_gt_u32_e32 8, v47
; %bb.44:                               ;   in Loop: Header=BB208_13 Depth=1
	s_delay_alu instid0(VALU_DEP_3) | instskip(NEXT) | instid1(VALU_DEP_1)
	v_clz_i32_u32_e32 v28, v19
	v_min_u32_e32 v28, 32, v28
	s_delay_alu instid0(VALU_DEP_1) | instskip(SKIP_1) | instid1(VALU_DEP_2)
	v_subrev_nc_u32_e32 v45, 28, v28
	v_sub_nc_u32_e32 v28, 29, v28
	v_lshlrev_b64 v[47:48], v45, v[19:20]
	s_delay_alu instid0(VALU_DEP_1)
	v_and_b32_e32 v19, 7, v47
; %bb.45:                               ;   in Loop: Header=BB208_13 Depth=1
	s_or_b32 exec_lo, exec_lo, s53
	v_lshlrev_b32_e32 v27, 24, v27
	s_delay_alu instid0(VALU_DEP_2) | instskip(SKIP_1) | instid1(VALU_DEP_3)
	v_lshlrev_b32_e32 v19, 20, v19
	v_lshl_add_u32 v28, v28, 23, 0x3c000000
	v_and_b32_e32 v27, 0x80000000, v27
	s_delay_alu instid0(VALU_DEP_1)
	v_or3_b32 v45, v19, v27, v28
.LBB208_46:                             ;   in Loop: Header=BB208_13 Depth=1
	s_or_b32 exec_lo, exec_lo, s52
.LBB208_47:                             ;   in Loop: Header=BB208_13 Depth=1
	s_delay_alu instid0(SALU_CYCLE_1)
	s_or_b32 exec_lo, exec_lo, s51
.LBB208_48:                             ;   in Loop: Header=BB208_13 Depth=1
	s_delay_alu instid0(SALU_CYCLE_1)
	s_or_b32 exec_lo, exec_lo, s50
	global_load_u8 v27, v[25:26], off offset:128
	v_dual_mov_b32 v47, 0 :: v_dual_mov_b32 v48, 0
	s_mov_b32 s50, exec_lo
	s_waitcnt vmcnt(0)
	v_cmpx_ne_u16_e32 0, v27
	s_cbranch_execz .LBB208_56
; %bb.49:                               ;   in Loop: Header=BB208_13 Depth=1
	v_bfrev_b32_e32 v48, 1
	s_mov_b32 s51, exec_lo
	v_cmpx_ne_u16_e32 0x80, v27
	s_cbranch_execz .LBB208_55
; %bb.50:                               ;   in Loop: Header=BB208_13 Depth=1
	v_and_b32_e32 v19, 0xffff, v27
	v_mov_b32_e32 v48, 0x7f800001
	s_mov_b32 s52, exec_lo
	s_delay_alu instid0(VALU_DEP_2) | instskip(NEXT) | instid1(VALU_DEP_1)
	v_and_b32_e32 v49, 0x7f, v19
	v_cmpx_ne_u32_e32 0x7f, v49
	s_cbranch_execz .LBB208_54
; %bb.51:                               ;   in Loop: Header=BB208_13 Depth=1
	v_and_b32_e32 v19, 7, v19
	v_lshrrev_b32_e32 v28, 3, v49
	s_mov_b32 s53, exec_lo
	v_cmpx_gt_u32_e32 8, v49
; %bb.52:                               ;   in Loop: Header=BB208_13 Depth=1
	s_delay_alu instid0(VALU_DEP_3) | instskip(NEXT) | instid1(VALU_DEP_1)
	v_clz_i32_u32_e32 v28, v19
	v_min_u32_e32 v28, 32, v28
	s_delay_alu instid0(VALU_DEP_1) | instskip(SKIP_1) | instid1(VALU_DEP_2)
	v_subrev_nc_u32_e32 v48, 28, v28
	v_sub_nc_u32_e32 v28, 29, v28
	v_lshlrev_b64 v[48:49], v48, v[19:20]
	s_delay_alu instid0(VALU_DEP_1)
	v_and_b32_e32 v19, 7, v48
; %bb.53:                               ;   in Loop: Header=BB208_13 Depth=1
	s_or_b32 exec_lo, exec_lo, s53
	v_lshlrev_b32_e32 v27, 24, v27
	s_delay_alu instid0(VALU_DEP_2) | instskip(SKIP_1) | instid1(VALU_DEP_3)
	v_lshlrev_b32_e32 v19, 20, v19
	v_lshl_add_u32 v28, v28, 23, 0x3c000000
	v_and_b32_e32 v27, 0x80000000, v27
	s_delay_alu instid0(VALU_DEP_1)
	v_or3_b32 v48, v19, v27, v28
.LBB208_54:                             ;   in Loop: Header=BB208_13 Depth=1
	s_or_b32 exec_lo, exec_lo, s52
.LBB208_55:                             ;   in Loop: Header=BB208_13 Depth=1
	s_delay_alu instid0(SALU_CYCLE_1)
	s_or_b32 exec_lo, exec_lo, s51
.LBB208_56:                             ;   in Loop: Header=BB208_13 Depth=1
	s_delay_alu instid0(SALU_CYCLE_1)
	s_or_b32 exec_lo, exec_lo, s50
	global_load_u8 v27, v[25:26], off offset:132
	s_mov_b32 s50, exec_lo
	s_waitcnt vmcnt(0)
	v_cmpx_ne_u16_e32 0, v27
	s_cbranch_execz .LBB208_64
; %bb.57:                               ;   in Loop: Header=BB208_13 Depth=1
	v_bfrev_b32_e32 v47, 1
	s_mov_b32 s51, exec_lo
	v_cmpx_ne_u16_e32 0x80, v27
	s_cbranch_execz .LBB208_63
; %bb.58:                               ;   in Loop: Header=BB208_13 Depth=1
	v_and_b32_e32 v19, 0xffff, v27
	v_mov_b32_e32 v47, 0x7f800001
	s_mov_b32 s52, exec_lo
	s_delay_alu instid0(VALU_DEP_2) | instskip(NEXT) | instid1(VALU_DEP_1)
	v_and_b32_e32 v49, 0x7f, v19
	v_cmpx_ne_u32_e32 0x7f, v49
	s_cbranch_execz .LBB208_62
; %bb.59:                               ;   in Loop: Header=BB208_13 Depth=1
	v_and_b32_e32 v19, 7, v19
	v_lshrrev_b32_e32 v28, 3, v49
	s_mov_b32 s53, exec_lo
	v_cmpx_gt_u32_e32 8, v49
; %bb.60:                               ;   in Loop: Header=BB208_13 Depth=1
	s_delay_alu instid0(VALU_DEP_3) | instskip(NEXT) | instid1(VALU_DEP_1)
	v_clz_i32_u32_e32 v28, v19
	v_min_u32_e32 v28, 32, v28
	s_delay_alu instid0(VALU_DEP_1) | instskip(SKIP_1) | instid1(VALU_DEP_2)
	v_subrev_nc_u32_e32 v47, 28, v28
	v_sub_nc_u32_e32 v28, 29, v28
	v_lshlrev_b64 v[49:50], v47, v[19:20]
	s_delay_alu instid0(VALU_DEP_1)
	v_and_b32_e32 v19, 7, v49
; %bb.61:                               ;   in Loop: Header=BB208_13 Depth=1
	s_or_b32 exec_lo, exec_lo, s53
	v_lshlrev_b32_e32 v27, 24, v27
	s_delay_alu instid0(VALU_DEP_2) | instskip(SKIP_1) | instid1(VALU_DEP_3)
	v_lshlrev_b32_e32 v19, 20, v19
	v_lshl_add_u32 v28, v28, 23, 0x3c000000
	v_and_b32_e32 v27, 0x80000000, v27
	s_delay_alu instid0(VALU_DEP_1)
	v_or3_b32 v47, v19, v27, v28
.LBB208_62:                             ;   in Loop: Header=BB208_13 Depth=1
	s_or_b32 exec_lo, exec_lo, s52
.LBB208_63:                             ;   in Loop: Header=BB208_13 Depth=1
	s_delay_alu instid0(SALU_CYCLE_1)
	s_or_b32 exec_lo, exec_lo, s51
.LBB208_64:                             ;   in Loop: Header=BB208_13 Depth=1
	s_delay_alu instid0(SALU_CYCLE_1) | instskip(SKIP_1) | instid1(VALU_DEP_1)
	s_or_b32 exec_lo, exec_lo, s50
	v_add_co_u32 v27, s1, 0x80, v25
	v_add_co_ci_u32_e64 v28, s1, 0, v26, s1
	v_dual_mov_b32 v49, 0 :: v_dual_mov_b32 v50, 0
	s_mov_b32 s50, exec_lo
	global_load_u8 v51, v[27:28], off offset:8
	s_waitcnt vmcnt(0)
	v_cmpx_ne_u16_e32 0, v51
	s_cbranch_execz .LBB208_72
; %bb.65:                               ;   in Loop: Header=BB208_13 Depth=1
	v_bfrev_b32_e32 v50, 1
	s_mov_b32 s51, exec_lo
	v_cmpx_ne_u16_e32 0x80, v51
	s_cbranch_execz .LBB208_71
; %bb.66:                               ;   in Loop: Header=BB208_13 Depth=1
	v_and_b32_e32 v19, 0xffff, v51
	v_mov_b32_e32 v50, 0x7f800001
	s_mov_b32 s52, exec_lo
	s_delay_alu instid0(VALU_DEP_2) | instskip(NEXT) | instid1(VALU_DEP_1)
	v_and_b32_e32 v52, 0x7f, v19
	v_cmpx_ne_u32_e32 0x7f, v52
	s_cbranch_execz .LBB208_70
; %bb.67:                               ;   in Loop: Header=BB208_13 Depth=1
	v_and_b32_e32 v19, 7, v19
	v_lshrrev_b32_e32 v50, 3, v52
	s_mov_b32 s53, exec_lo
	v_cmpx_gt_u32_e32 8, v52
; %bb.68:                               ;   in Loop: Header=BB208_13 Depth=1
	s_delay_alu instid0(VALU_DEP_3) | instskip(NEXT) | instid1(VALU_DEP_1)
	v_clz_i32_u32_e32 v50, v19
	v_min_u32_e32 v50, 32, v50
	s_delay_alu instid0(VALU_DEP_1) | instskip(SKIP_1) | instid1(VALU_DEP_2)
	v_subrev_nc_u32_e32 v52, 28, v50
	v_sub_nc_u32_e32 v50, 29, v50
	v_lshlrev_b64 v[52:53], v52, v[19:20]
	s_delay_alu instid0(VALU_DEP_1)
	v_and_b32_e32 v19, 7, v52
; %bb.69:                               ;   in Loop: Header=BB208_13 Depth=1
	s_or_b32 exec_lo, exec_lo, s53
	v_lshlrev_b32_e32 v51, 24, v51
	s_delay_alu instid0(VALU_DEP_2) | instskip(SKIP_1) | instid1(VALU_DEP_3)
	v_lshlrev_b32_e32 v19, 20, v19
	v_lshl_add_u32 v50, v50, 23, 0x3c000000
	v_and_b32_e32 v51, 0x80000000, v51
	s_delay_alu instid0(VALU_DEP_1)
	v_or3_b32 v50, v19, v51, v50
.LBB208_70:                             ;   in Loop: Header=BB208_13 Depth=1
	s_or_b32 exec_lo, exec_lo, s52
.LBB208_71:                             ;   in Loop: Header=BB208_13 Depth=1
	s_delay_alu instid0(SALU_CYCLE_1)
	s_or_b32 exec_lo, exec_lo, s51
.LBB208_72:                             ;   in Loop: Header=BB208_13 Depth=1
	s_delay_alu instid0(SALU_CYCLE_1)
	s_or_b32 exec_lo, exec_lo, s50
	global_load_u8 v27, v[27:28], off offset:12
	s_mov_b32 s50, exec_lo
	s_waitcnt vmcnt(0)
	v_cmpx_ne_u16_e32 0, v27
	s_cbranch_execz .LBB208_80
; %bb.73:                               ;   in Loop: Header=BB208_13 Depth=1
	v_bfrev_b32_e32 v49, 1
	s_mov_b32 s51, exec_lo
	v_cmpx_ne_u16_e32 0x80, v27
	s_cbranch_execz .LBB208_79
; %bb.74:                               ;   in Loop: Header=BB208_13 Depth=1
	v_and_b32_e32 v19, 0xffff, v27
	v_mov_b32_e32 v49, 0x7f800001
	s_mov_b32 s52, exec_lo
	s_delay_alu instid0(VALU_DEP_2) | instskip(NEXT) | instid1(VALU_DEP_1)
	v_and_b32_e32 v51, 0x7f, v19
	v_cmpx_ne_u32_e32 0x7f, v51
	s_cbranch_execz .LBB208_78
; %bb.75:                               ;   in Loop: Header=BB208_13 Depth=1
	v_and_b32_e32 v19, 7, v19
	v_lshrrev_b32_e32 v28, 3, v51
	s_mov_b32 s53, exec_lo
	v_cmpx_gt_u32_e32 8, v51
; %bb.76:                               ;   in Loop: Header=BB208_13 Depth=1
	s_delay_alu instid0(VALU_DEP_3) | instskip(NEXT) | instid1(VALU_DEP_1)
	v_clz_i32_u32_e32 v28, v19
	v_min_u32_e32 v28, 32, v28
	s_delay_alu instid0(VALU_DEP_1) | instskip(SKIP_1) | instid1(VALU_DEP_2)
	v_subrev_nc_u32_e32 v49, 28, v28
	v_sub_nc_u32_e32 v28, 29, v28
	v_lshlrev_b64 v[51:52], v49, v[19:20]
	s_delay_alu instid0(VALU_DEP_1)
	v_and_b32_e32 v19, 7, v51
; %bb.77:                               ;   in Loop: Header=BB208_13 Depth=1
	s_or_b32 exec_lo, exec_lo, s53
	v_lshlrev_b32_e32 v27, 24, v27
	s_delay_alu instid0(VALU_DEP_2) | instskip(SKIP_1) | instid1(VALU_DEP_3)
	v_lshlrev_b32_e32 v19, 20, v19
	v_lshl_add_u32 v28, v28, 23, 0x3c000000
	v_and_b32_e32 v27, 0x80000000, v27
	s_delay_alu instid0(VALU_DEP_1)
	v_or3_b32 v49, v19, v27, v28
.LBB208_78:                             ;   in Loop: Header=BB208_13 Depth=1
	s_or_b32 exec_lo, exec_lo, s52
.LBB208_79:                             ;   in Loop: Header=BB208_13 Depth=1
	s_delay_alu instid0(SALU_CYCLE_1)
	s_or_b32 exec_lo, exec_lo, s51
.LBB208_80:                             ;   in Loop: Header=BB208_13 Depth=1
	s_delay_alu instid0(SALU_CYCLE_1)
	s_or_b32 exec_lo, exec_lo, s50
	global_load_u8 v27, v[25:26], off offset:256
	v_dual_mov_b32 v51, 0 :: v_dual_mov_b32 v52, 0
	s_mov_b32 s50, exec_lo
	s_waitcnt vmcnt(0)
	v_cmpx_ne_u16_e32 0, v27
	s_cbranch_execz .LBB208_88
; %bb.81:                               ;   in Loop: Header=BB208_13 Depth=1
	v_bfrev_b32_e32 v52, 1
	s_mov_b32 s51, exec_lo
	v_cmpx_ne_u16_e32 0x80, v27
	s_cbranch_execz .LBB208_87
; %bb.82:                               ;   in Loop: Header=BB208_13 Depth=1
	v_and_b32_e32 v19, 0xffff, v27
	v_mov_b32_e32 v52, 0x7f800001
	s_mov_b32 s52, exec_lo
	s_delay_alu instid0(VALU_DEP_2) | instskip(NEXT) | instid1(VALU_DEP_1)
	v_and_b32_e32 v53, 0x7f, v19
	v_cmpx_ne_u32_e32 0x7f, v53
	s_cbranch_execz .LBB208_86
; %bb.83:                               ;   in Loop: Header=BB208_13 Depth=1
	v_and_b32_e32 v19, 7, v19
	v_lshrrev_b32_e32 v28, 3, v53
	s_mov_b32 s53, exec_lo
	v_cmpx_gt_u32_e32 8, v53
; %bb.84:                               ;   in Loop: Header=BB208_13 Depth=1
	s_delay_alu instid0(VALU_DEP_3) | instskip(NEXT) | instid1(VALU_DEP_1)
	v_clz_i32_u32_e32 v28, v19
	v_min_u32_e32 v28, 32, v28
	s_delay_alu instid0(VALU_DEP_1) | instskip(SKIP_1) | instid1(VALU_DEP_2)
	v_subrev_nc_u32_e32 v52, 28, v28
	v_sub_nc_u32_e32 v28, 29, v28
	v_lshlrev_b64 v[52:53], v52, v[19:20]
	s_delay_alu instid0(VALU_DEP_1)
	v_and_b32_e32 v19, 7, v52
; %bb.85:                               ;   in Loop: Header=BB208_13 Depth=1
	s_or_b32 exec_lo, exec_lo, s53
	v_lshlrev_b32_e32 v27, 24, v27
	s_delay_alu instid0(VALU_DEP_2) | instskip(SKIP_1) | instid1(VALU_DEP_3)
	v_lshlrev_b32_e32 v19, 20, v19
	v_lshl_add_u32 v28, v28, 23, 0x3c000000
	v_and_b32_e32 v27, 0x80000000, v27
	s_delay_alu instid0(VALU_DEP_1)
	v_or3_b32 v52, v19, v27, v28
.LBB208_86:                             ;   in Loop: Header=BB208_13 Depth=1
	s_or_b32 exec_lo, exec_lo, s52
.LBB208_87:                             ;   in Loop: Header=BB208_13 Depth=1
	s_delay_alu instid0(SALU_CYCLE_1)
	s_or_b32 exec_lo, exec_lo, s51
.LBB208_88:                             ;   in Loop: Header=BB208_13 Depth=1
	s_delay_alu instid0(SALU_CYCLE_1)
	s_or_b32 exec_lo, exec_lo, s50
	global_load_u8 v27, v[25:26], off offset:260
	s_mov_b32 s50, exec_lo
	s_waitcnt vmcnt(0)
	v_cmpx_ne_u16_e32 0, v27
	s_cbranch_execz .LBB208_96
; %bb.89:                               ;   in Loop: Header=BB208_13 Depth=1
	v_bfrev_b32_e32 v51, 1
	s_mov_b32 s51, exec_lo
	v_cmpx_ne_u16_e32 0x80, v27
	s_cbranch_execz .LBB208_95
; %bb.90:                               ;   in Loop: Header=BB208_13 Depth=1
	v_and_b32_e32 v19, 0xffff, v27
	v_mov_b32_e32 v51, 0x7f800001
	s_mov_b32 s52, exec_lo
	s_delay_alu instid0(VALU_DEP_2) | instskip(NEXT) | instid1(VALU_DEP_1)
	v_and_b32_e32 v53, 0x7f, v19
	v_cmpx_ne_u32_e32 0x7f, v53
	s_cbranch_execz .LBB208_94
; %bb.91:                               ;   in Loop: Header=BB208_13 Depth=1
	v_and_b32_e32 v19, 7, v19
	v_lshrrev_b32_e32 v28, 3, v53
	s_mov_b32 s53, exec_lo
	v_cmpx_gt_u32_e32 8, v53
; %bb.92:                               ;   in Loop: Header=BB208_13 Depth=1
	s_delay_alu instid0(VALU_DEP_3) | instskip(NEXT) | instid1(VALU_DEP_1)
	v_clz_i32_u32_e32 v28, v19
	v_min_u32_e32 v28, 32, v28
	s_delay_alu instid0(VALU_DEP_1) | instskip(SKIP_1) | instid1(VALU_DEP_2)
	v_subrev_nc_u32_e32 v51, 28, v28
	v_sub_nc_u32_e32 v28, 29, v28
	v_lshlrev_b64 v[53:54], v51, v[19:20]
	s_delay_alu instid0(VALU_DEP_1)
	v_and_b32_e32 v19, 7, v53
; %bb.93:                               ;   in Loop: Header=BB208_13 Depth=1
	s_or_b32 exec_lo, exec_lo, s53
	v_lshlrev_b32_e32 v27, 24, v27
	s_delay_alu instid0(VALU_DEP_2) | instskip(SKIP_1) | instid1(VALU_DEP_3)
	v_lshlrev_b32_e32 v19, 20, v19
	v_lshl_add_u32 v28, v28, 23, 0x3c000000
	v_and_b32_e32 v27, 0x80000000, v27
	s_delay_alu instid0(VALU_DEP_1)
	v_or3_b32 v51, v19, v27, v28
.LBB208_94:                             ;   in Loop: Header=BB208_13 Depth=1
	s_or_b32 exec_lo, exec_lo, s52
.LBB208_95:                             ;   in Loop: Header=BB208_13 Depth=1
	s_delay_alu instid0(SALU_CYCLE_1)
	s_or_b32 exec_lo, exec_lo, s51
.LBB208_96:                             ;   in Loop: Header=BB208_13 Depth=1
	s_delay_alu instid0(SALU_CYCLE_1) | instskip(SKIP_1) | instid1(VALU_DEP_1)
	s_or_b32 exec_lo, exec_lo, s50
	v_add_co_u32 v27, s1, 0x100, v25
	v_add_co_ci_u32_e64 v28, s1, 0, v26, s1
	v_dual_mov_b32 v53, 0 :: v_dual_mov_b32 v54, 0
	s_mov_b32 s50, exec_lo
	global_load_u8 v55, v[27:28], off offset:8
	s_waitcnt vmcnt(0)
	v_cmpx_ne_u16_e32 0, v55
	s_cbranch_execz .LBB208_104
; %bb.97:                               ;   in Loop: Header=BB208_13 Depth=1
	v_bfrev_b32_e32 v54, 1
	s_mov_b32 s51, exec_lo
	v_cmpx_ne_u16_e32 0x80, v55
	s_cbranch_execz .LBB208_103
; %bb.98:                               ;   in Loop: Header=BB208_13 Depth=1
	v_and_b32_e32 v19, 0xffff, v55
	v_mov_b32_e32 v54, 0x7f800001
	s_mov_b32 s52, exec_lo
	s_delay_alu instid0(VALU_DEP_2) | instskip(NEXT) | instid1(VALU_DEP_1)
	v_and_b32_e32 v56, 0x7f, v19
	v_cmpx_ne_u32_e32 0x7f, v56
	s_cbranch_execz .LBB208_102
; %bb.99:                               ;   in Loop: Header=BB208_13 Depth=1
	v_and_b32_e32 v19, 7, v19
	v_lshrrev_b32_e32 v54, 3, v56
	s_mov_b32 s53, exec_lo
	v_cmpx_gt_u32_e32 8, v56
; %bb.100:                              ;   in Loop: Header=BB208_13 Depth=1
	s_delay_alu instid0(VALU_DEP_3) | instskip(NEXT) | instid1(VALU_DEP_1)
	v_clz_i32_u32_e32 v54, v19
	v_min_u32_e32 v54, 32, v54
	s_delay_alu instid0(VALU_DEP_1) | instskip(SKIP_1) | instid1(VALU_DEP_2)
	v_subrev_nc_u32_e32 v56, 28, v54
	v_sub_nc_u32_e32 v54, 29, v54
	v_lshlrev_b64 v[56:57], v56, v[19:20]
	s_delay_alu instid0(VALU_DEP_1)
	v_and_b32_e32 v19, 7, v56
; %bb.101:                              ;   in Loop: Header=BB208_13 Depth=1
	s_or_b32 exec_lo, exec_lo, s53
	v_lshlrev_b32_e32 v55, 24, v55
	s_delay_alu instid0(VALU_DEP_2) | instskip(SKIP_1) | instid1(VALU_DEP_3)
	v_lshlrev_b32_e32 v19, 20, v19
	v_lshl_add_u32 v54, v54, 23, 0x3c000000
	v_and_b32_e32 v55, 0x80000000, v55
	s_delay_alu instid0(VALU_DEP_1)
	v_or3_b32 v54, v19, v55, v54
.LBB208_102:                            ;   in Loop: Header=BB208_13 Depth=1
	s_or_b32 exec_lo, exec_lo, s52
.LBB208_103:                            ;   in Loop: Header=BB208_13 Depth=1
	s_delay_alu instid0(SALU_CYCLE_1)
	s_or_b32 exec_lo, exec_lo, s51
.LBB208_104:                            ;   in Loop: Header=BB208_13 Depth=1
	s_delay_alu instid0(SALU_CYCLE_1)
	s_or_b32 exec_lo, exec_lo, s50
	global_load_u8 v27, v[27:28], off offset:12
	s_mov_b32 s50, exec_lo
	s_waitcnt vmcnt(0)
	v_cmpx_ne_u16_e32 0, v27
	s_cbranch_execz .LBB208_112
; %bb.105:                              ;   in Loop: Header=BB208_13 Depth=1
	v_bfrev_b32_e32 v53, 1
	s_mov_b32 s51, exec_lo
	v_cmpx_ne_u16_e32 0x80, v27
	s_cbranch_execz .LBB208_111
; %bb.106:                              ;   in Loop: Header=BB208_13 Depth=1
	v_and_b32_e32 v19, 0xffff, v27
	v_mov_b32_e32 v53, 0x7f800001
	s_mov_b32 s52, exec_lo
	s_delay_alu instid0(VALU_DEP_2) | instskip(NEXT) | instid1(VALU_DEP_1)
	v_and_b32_e32 v55, 0x7f, v19
	v_cmpx_ne_u32_e32 0x7f, v55
	s_cbranch_execz .LBB208_110
; %bb.107:                              ;   in Loop: Header=BB208_13 Depth=1
	v_and_b32_e32 v19, 7, v19
	v_lshrrev_b32_e32 v28, 3, v55
	s_mov_b32 s53, exec_lo
	v_cmpx_gt_u32_e32 8, v55
; %bb.108:                              ;   in Loop: Header=BB208_13 Depth=1
	s_delay_alu instid0(VALU_DEP_3) | instskip(NEXT) | instid1(VALU_DEP_1)
	v_clz_i32_u32_e32 v28, v19
	v_min_u32_e32 v28, 32, v28
	s_delay_alu instid0(VALU_DEP_1) | instskip(SKIP_1) | instid1(VALU_DEP_2)
	v_subrev_nc_u32_e32 v53, 28, v28
	v_sub_nc_u32_e32 v28, 29, v28
	v_lshlrev_b64 v[55:56], v53, v[19:20]
	s_delay_alu instid0(VALU_DEP_1)
	v_and_b32_e32 v19, 7, v55
; %bb.109:                              ;   in Loop: Header=BB208_13 Depth=1
	s_or_b32 exec_lo, exec_lo, s53
	v_lshlrev_b32_e32 v27, 24, v27
	s_delay_alu instid0(VALU_DEP_2) | instskip(SKIP_1) | instid1(VALU_DEP_3)
	v_lshlrev_b32_e32 v19, 20, v19
	v_lshl_add_u32 v28, v28, 23, 0x3c000000
	v_and_b32_e32 v27, 0x80000000, v27
	s_delay_alu instid0(VALU_DEP_1)
	v_or3_b32 v53, v19, v27, v28
.LBB208_110:                            ;   in Loop: Header=BB208_13 Depth=1
	s_or_b32 exec_lo, exec_lo, s52
.LBB208_111:                            ;   in Loop: Header=BB208_13 Depth=1
	s_delay_alu instid0(SALU_CYCLE_1)
	s_or_b32 exec_lo, exec_lo, s51
.LBB208_112:                            ;   in Loop: Header=BB208_13 Depth=1
	s_delay_alu instid0(SALU_CYCLE_1)
	s_or_b32 exec_lo, exec_lo, s50
	global_load_u8 v55, v[25:26], off offset:384
	v_dual_mov_b32 v27, 0 :: v_dual_mov_b32 v28, 0
	s_mov_b32 s50, exec_lo
	s_waitcnt vmcnt(0)
	v_cmpx_ne_u16_e32 0, v55
	s_cbranch_execz .LBB208_120
; %bb.113:                              ;   in Loop: Header=BB208_13 Depth=1
	v_bfrev_b32_e32 v28, 1
	s_mov_b32 s51, exec_lo
	v_cmpx_ne_u16_e32 0x80, v55
	s_cbranch_execz .LBB208_119
; %bb.114:                              ;   in Loop: Header=BB208_13 Depth=1
	v_and_b32_e32 v19, 0xffff, v55
	v_mov_b32_e32 v28, 0x7f800001
	s_mov_b32 s52, exec_lo
	s_delay_alu instid0(VALU_DEP_2) | instskip(NEXT) | instid1(VALU_DEP_1)
	v_and_b32_e32 v56, 0x7f, v19
	v_cmpx_ne_u32_e32 0x7f, v56
	s_cbranch_execz .LBB208_118
; %bb.115:                              ;   in Loop: Header=BB208_13 Depth=1
	v_and_b32_e32 v19, 7, v19
	v_lshrrev_b32_e32 v28, 3, v56
	s_mov_b32 s53, exec_lo
	v_cmpx_gt_u32_e32 8, v56
; %bb.116:                              ;   in Loop: Header=BB208_13 Depth=1
	s_delay_alu instid0(VALU_DEP_3) | instskip(NEXT) | instid1(VALU_DEP_1)
	v_clz_i32_u32_e32 v28, v19
	v_min_u32_e32 v28, 32, v28
	s_delay_alu instid0(VALU_DEP_1) | instskip(SKIP_1) | instid1(VALU_DEP_2)
	v_subrev_nc_u32_e32 v56, 28, v28
	v_sub_nc_u32_e32 v28, 29, v28
	v_lshlrev_b64 v[56:57], v56, v[19:20]
	s_delay_alu instid0(VALU_DEP_1)
	v_and_b32_e32 v19, 7, v56
; %bb.117:                              ;   in Loop: Header=BB208_13 Depth=1
	s_or_b32 exec_lo, exec_lo, s53
	v_lshlrev_b32_e32 v55, 24, v55
	s_delay_alu instid0(VALU_DEP_2) | instskip(SKIP_1) | instid1(VALU_DEP_3)
	v_lshlrev_b32_e32 v19, 20, v19
	v_lshl_add_u32 v28, v28, 23, 0x3c000000
	v_and_b32_e32 v55, 0x80000000, v55
	s_delay_alu instid0(VALU_DEP_1)
	v_or3_b32 v28, v19, v55, v28
.LBB208_118:                            ;   in Loop: Header=BB208_13 Depth=1
	s_or_b32 exec_lo, exec_lo, s52
.LBB208_119:                            ;   in Loop: Header=BB208_13 Depth=1
	s_delay_alu instid0(SALU_CYCLE_1)
	s_or_b32 exec_lo, exec_lo, s51
.LBB208_120:                            ;   in Loop: Header=BB208_13 Depth=1
	s_delay_alu instid0(SALU_CYCLE_1)
	s_or_b32 exec_lo, exec_lo, s50
	global_load_u8 v55, v[25:26], off offset:388
	s_mov_b32 s50, exec_lo
	s_waitcnt vmcnt(0)
	v_cmpx_ne_u16_e32 0, v55
	s_cbranch_execz .LBB208_128
; %bb.121:                              ;   in Loop: Header=BB208_13 Depth=1
	v_bfrev_b32_e32 v27, 1
	s_mov_b32 s51, exec_lo
	v_cmpx_ne_u16_e32 0x80, v55
	s_cbranch_execz .LBB208_127
; %bb.122:                              ;   in Loop: Header=BB208_13 Depth=1
	v_and_b32_e32 v19, 0xffff, v55
	v_mov_b32_e32 v27, 0x7f800001
	s_mov_b32 s52, exec_lo
	s_delay_alu instid0(VALU_DEP_2) | instskip(NEXT) | instid1(VALU_DEP_1)
	v_and_b32_e32 v56, 0x7f, v19
	v_cmpx_ne_u32_e32 0x7f, v56
	s_cbranch_execz .LBB208_126
; %bb.123:                              ;   in Loop: Header=BB208_13 Depth=1
	v_and_b32_e32 v19, 7, v19
	v_lshrrev_b32_e32 v27, 3, v56
	s_mov_b32 s53, exec_lo
	v_cmpx_gt_u32_e32 8, v56
; %bb.124:                              ;   in Loop: Header=BB208_13 Depth=1
	s_delay_alu instid0(VALU_DEP_3) | instskip(NEXT) | instid1(VALU_DEP_1)
	v_clz_i32_u32_e32 v27, v19
	v_min_u32_e32 v27, 32, v27
	s_delay_alu instid0(VALU_DEP_1) | instskip(SKIP_1) | instid1(VALU_DEP_2)
	v_subrev_nc_u32_e32 v56, 28, v27
	v_sub_nc_u32_e32 v27, 29, v27
	v_lshlrev_b64 v[56:57], v56, v[19:20]
	s_delay_alu instid0(VALU_DEP_1)
	v_and_b32_e32 v19, 7, v56
; %bb.125:                              ;   in Loop: Header=BB208_13 Depth=1
	s_or_b32 exec_lo, exec_lo, s53
	v_lshlrev_b32_e32 v55, 24, v55
	s_delay_alu instid0(VALU_DEP_2) | instskip(SKIP_1) | instid1(VALU_DEP_3)
	v_lshlrev_b32_e32 v19, 20, v19
	v_lshl_add_u32 v27, v27, 23, 0x3c000000
	v_and_b32_e32 v55, 0x80000000, v55
	s_delay_alu instid0(VALU_DEP_1)
	v_or3_b32 v27, v19, v55, v27
.LBB208_126:                            ;   in Loop: Header=BB208_13 Depth=1
	s_or_b32 exec_lo, exec_lo, s52
.LBB208_127:                            ;   in Loop: Header=BB208_13 Depth=1
	s_delay_alu instid0(SALU_CYCLE_1)
	s_or_b32 exec_lo, exec_lo, s51
.LBB208_128:                            ;   in Loop: Header=BB208_13 Depth=1
	s_delay_alu instid0(SALU_CYCLE_1) | instskip(SKIP_1) | instid1(VALU_DEP_1)
	s_or_b32 exec_lo, exec_lo, s50
	v_add_co_u32 v25, s1, 0x180, v25
	v_add_co_ci_u32_e64 v26, s1, 0, v26, s1
	v_dual_mov_b32 v55, 0 :: v_dual_mov_b32 v56, 0
	s_mov_b32 s50, exec_lo
	global_load_u8 v57, v[25:26], off offset:8
	s_waitcnt vmcnt(0)
	v_cmpx_ne_u16_e32 0, v57
	s_cbranch_execz .LBB208_136
; %bb.129:                              ;   in Loop: Header=BB208_13 Depth=1
	v_bfrev_b32_e32 v56, 1
	s_mov_b32 s51, exec_lo
	v_cmpx_ne_u16_e32 0x80, v57
	s_cbranch_execz .LBB208_135
; %bb.130:                              ;   in Loop: Header=BB208_13 Depth=1
	v_and_b32_e32 v19, 0xffff, v57
	v_mov_b32_e32 v56, 0x7f800001
	s_mov_b32 s52, exec_lo
	s_delay_alu instid0(VALU_DEP_2) | instskip(NEXT) | instid1(VALU_DEP_1)
	v_and_b32_e32 v58, 0x7f, v19
	v_cmpx_ne_u32_e32 0x7f, v58
	s_cbranch_execz .LBB208_134
; %bb.131:                              ;   in Loop: Header=BB208_13 Depth=1
	v_and_b32_e32 v19, 7, v19
	v_lshrrev_b32_e32 v56, 3, v58
	s_mov_b32 s53, exec_lo
	v_cmpx_gt_u32_e32 8, v58
; %bb.132:                              ;   in Loop: Header=BB208_13 Depth=1
	s_delay_alu instid0(VALU_DEP_3) | instskip(NEXT) | instid1(VALU_DEP_1)
	v_clz_i32_u32_e32 v56, v19
	v_min_u32_e32 v56, 32, v56
	s_delay_alu instid0(VALU_DEP_1) | instskip(SKIP_1) | instid1(VALU_DEP_2)
	v_subrev_nc_u32_e32 v58, 28, v56
	v_sub_nc_u32_e32 v56, 29, v56
	v_lshlrev_b64 v[58:59], v58, v[19:20]
	s_delay_alu instid0(VALU_DEP_1)
	v_and_b32_e32 v19, 7, v58
; %bb.133:                              ;   in Loop: Header=BB208_13 Depth=1
	s_or_b32 exec_lo, exec_lo, s53
	v_lshlrev_b32_e32 v57, 24, v57
	s_delay_alu instid0(VALU_DEP_2) | instskip(SKIP_1) | instid1(VALU_DEP_3)
	v_lshlrev_b32_e32 v19, 20, v19
	v_lshl_add_u32 v56, v56, 23, 0x3c000000
	v_and_b32_e32 v57, 0x80000000, v57
	s_delay_alu instid0(VALU_DEP_1)
	v_or3_b32 v56, v19, v57, v56
.LBB208_134:                            ;   in Loop: Header=BB208_13 Depth=1
	s_or_b32 exec_lo, exec_lo, s52
.LBB208_135:                            ;   in Loop: Header=BB208_13 Depth=1
	s_delay_alu instid0(SALU_CYCLE_1)
	s_or_b32 exec_lo, exec_lo, s51
.LBB208_136:                            ;   in Loop: Header=BB208_13 Depth=1
	s_delay_alu instid0(SALU_CYCLE_1)
	s_or_b32 exec_lo, exec_lo, s50
	global_load_u8 v25, v[25:26], off offset:12
	s_mov_b32 s50, exec_lo
	s_waitcnt vmcnt(0)
	v_cmpx_ne_u16_e32 0, v25
	s_cbranch_execz .LBB208_144
; %bb.137:                              ;   in Loop: Header=BB208_13 Depth=1
	v_bfrev_b32_e32 v55, 1
	s_mov_b32 s51, exec_lo
	v_cmpx_ne_u16_e32 0x80, v25
	s_cbranch_execz .LBB208_143
; %bb.138:                              ;   in Loop: Header=BB208_13 Depth=1
	v_and_b32_e32 v19, 0xffff, v25
	v_mov_b32_e32 v55, 0x7f800001
	s_mov_b32 s52, exec_lo
	s_delay_alu instid0(VALU_DEP_2) | instskip(NEXT) | instid1(VALU_DEP_1)
	v_and_b32_e32 v57, 0x7f, v19
	v_cmpx_ne_u32_e32 0x7f, v57
	s_cbranch_execz .LBB208_142
; %bb.139:                              ;   in Loop: Header=BB208_13 Depth=1
	v_and_b32_e32 v19, 7, v19
	v_lshrrev_b32_e32 v26, 3, v57
	s_mov_b32 s53, exec_lo
	v_cmpx_gt_u32_e32 8, v57
; %bb.140:                              ;   in Loop: Header=BB208_13 Depth=1
	s_delay_alu instid0(VALU_DEP_3) | instskip(NEXT) | instid1(VALU_DEP_1)
	v_clz_i32_u32_e32 v26, v19
	v_min_u32_e32 v26, 32, v26
	s_delay_alu instid0(VALU_DEP_1) | instskip(SKIP_1) | instid1(VALU_DEP_2)
	v_subrev_nc_u32_e32 v55, 28, v26
	v_sub_nc_u32_e32 v26, 29, v26
	v_lshlrev_b64 v[57:58], v55, v[19:20]
	s_delay_alu instid0(VALU_DEP_1)
	v_and_b32_e32 v19, 7, v57
; %bb.141:                              ;   in Loop: Header=BB208_13 Depth=1
	s_or_b32 exec_lo, exec_lo, s53
	v_lshlrev_b32_e32 v25, 24, v25
	s_delay_alu instid0(VALU_DEP_2) | instskip(SKIP_1) | instid1(VALU_DEP_3)
	v_lshlrev_b32_e32 v19, 20, v19
	v_lshl_add_u32 v26, v26, 23, 0x3c000000
	v_and_b32_e32 v25, 0x80000000, v25
	s_delay_alu instid0(VALU_DEP_1)
	v_or3_b32 v55, v19, v25, v26
.LBB208_142:                            ;   in Loop: Header=BB208_13 Depth=1
	s_or_b32 exec_lo, exec_lo, s52
.LBB208_143:                            ;   in Loop: Header=BB208_13 Depth=1
	s_delay_alu instid0(SALU_CYCLE_1)
	s_or_b32 exec_lo, exec_lo, s51
.LBB208_144:                            ;   in Loop: Header=BB208_13 Depth=1
	s_delay_alu instid0(SALU_CYCLE_1) | instskip(SKIP_3) | instid1(VALU_DEP_1)
	s_or_b32 exec_lo, exec_lo, s50
	s_waitcnt lgkmcnt(0)
	v_mul_f32_e32 v25, s49, v44
	v_mul_f32_e32 v19, s49, v43
	;; [unrolled: 1-line block ×3, first 2 shown]
	s_delay_alu instid0(VALU_DEP_1) | instskip(SKIP_2) | instid1(VALU_DEP_1)
	v_fmac_f32_e32 v14, v13, v25
	v_mul_f32_e32 v13, s49, v45
	v_mul_f32_e32 v19, s49, v46
	v_fmac_f32_e32 v14, v15, v19
	s_delay_alu instid0(VALU_DEP_1) | instskip(SKIP_1) | instid1(VALU_DEP_1)
	v_dual_fmac_f32 v14, v16, v13 :: v_dual_mul_f32 v13, s49, v47
	v_mul_f32_e32 v15, s49, v48
	v_dual_fmac_f32 v14, v9, v15 :: v_dual_mul_f32 v9, s49, v50
	s_delay_alu instid0(VALU_DEP_1) | instskip(SKIP_1) | instid1(VALU_DEP_2)
	v_fmac_f32_e32 v14, v10, v13
	v_mul_f32_e32 v10, s49, v49
	v_dual_fmac_f32 v14, v11, v9 :: v_dual_mul_f32 v9, s49, v52
	s_delay_alu instid0(VALU_DEP_1) | instskip(SKIP_1) | instid1(VALU_DEP_2)
	v_fmac_f32_e32 v14, v12, v10
	;; [unrolled: 4-line block ×4, first 2 shown]
	v_mul_f32_e32 v6, s49, v27
	v_fmac_f32_e32 v14, v1, v5
	v_xor_b32_e32 v1, 2, v33
	s_delay_alu instid0(VALU_DEP_2) | instskip(NEXT) | instid1(VALU_DEP_2)
	v_dual_mul_f32 v5, s49, v56 :: v_dual_fmac_f32 v14, v2, v6
	v_cmp_gt_i32_e64 s1, 32, v1
	v_mul_f32_e32 v2, s49, v55
	s_delay_alu instid0(VALU_DEP_3) | instskip(NEXT) | instid1(VALU_DEP_3)
	v_fmac_f32_e32 v14, v3, v5
	v_cndmask_b32_e64 v1, v33, v1, s1
	s_delay_alu instid0(VALU_DEP_1) | instskip(SKIP_3) | instid1(VALU_DEP_1)
	v_dual_fmac_f32 v14, v4, v2 :: v_dual_lshlrev_b32 v1, 2, v1
	v_xor_b32_e32 v2, 1, v33
	ds_bpermute_b32 v1, v1, v14
	v_cmp_gt_i32_e64 s1, 32, v2
	v_cndmask_b32_e64 v2, v33, v2, s1
	s_waitcnt lgkmcnt(0)
	s_delay_alu instid0(VALU_DEP_1)
	v_dual_add_f32 v1, v14, v1 :: v_dual_lshlrev_b32 v2, 2, v2
	ds_bpermute_b32 v2, v2, v1
	s_and_saveexec_b32 s49, vcc_lo
	s_cbranch_execz .LBB208_11
; %bb.145:                              ;   in Loop: Header=BB208_13 Depth=1
	v_add_nc_u32_e32 v3, v39, v37
	s_waitcnt lgkmcnt(0)
	v_add_f32_e32 v1, v1, v2
	s_delay_alu instid0(VALU_DEP_2) | instskip(NEXT) | instid1(VALU_DEP_1)
	v_cvt_f32_i32_e32 v3, v3
	v_mul_f32_e32 v3, s43, v3
	s_delay_alu instid0(VALU_DEP_1) | instskip(NEXT) | instid1(VALU_DEP_1)
	v_cndmask_b32_e64 v2, 0, v3, s0
	v_dual_max_f32 v3, v34, v34 :: v_dual_fmac_f32 v2, s39, v1
	v_add_nc_u32_e32 v1, v35, v37
	s_delay_alu instid0(VALU_DEP_2) | instskip(NEXT) | instid1(VALU_DEP_2)
	v_max_f32_e32 v3, v3, v2
	v_cmp_gt_i32_e64 s1, s15, v1
	s_delay_alu instid0(VALU_DEP_1) | instskip(NEXT) | instid1(VALU_DEP_3)
	v_cndmask_b32_e64 v1, 0, v2, s1
	v_cndmask_b32_e64 v34, v34, v3, s1
	ds_store_b32 v40, v1
	s_branch .LBB208_11
.LBB208_146:
	s_or_b32 exec_lo, exec_lo, s47
.LBB208_147:
	s_delay_alu instid0(SALU_CYCLE_1) | instskip(SKIP_3) | instid1(VALU_DEP_3)
	s_or_b32 exec_lo, exec_lo, s44
	v_xor_b32_e32 v1, 16, v33
	v_xor_b32_e32 v3, 8, v33
	v_dual_max_f32 v5, v34, v34 :: v_dual_and_b32 v26, 31, v0
	v_cmp_gt_i32_e32 vcc_lo, 32, v1
	v_cndmask_b32_e32 v1, v33, v1, vcc_lo
	s_delay_alu instid0(VALU_DEP_4) | instskip(SKIP_1) | instid1(VALU_DEP_1)
	v_cmp_gt_i32_e32 vcc_lo, 32, v3
	v_cndmask_b32_e32 v3, v33, v3, vcc_lo
	v_lshlrev_b32_e32 v4, 2, v3
	s_waitcnt lgkmcnt(0)
	v_lshlrev_b32_e32 v2, 2, v1
	ds_bpermute_b32 v1, v2, v34
	s_waitcnt lgkmcnt(0)
	v_max_f32_e32 v1, v1, v1
	s_delay_alu instid0(VALU_DEP_1)
	v_max_f32_e32 v1, v5, v1
	v_xor_b32_e32 v5, 4, v33
	ds_bpermute_b32 v3, v4, v1
	v_cmp_gt_i32_e32 vcc_lo, 32, v5
	v_cndmask_b32_e32 v5, v33, v5, vcc_lo
	v_cmp_eq_u32_e32 vcc_lo, 0, v26
	s_delay_alu instid0(VALU_DEP_2) | instskip(SKIP_3) | instid1(VALU_DEP_1)
	v_lshlrev_b32_e32 v7, 2, v5
	v_lshlrev_b32_e32 v5, 2, v29
	s_waitcnt lgkmcnt(0)
	v_max_f32_e32 v3, v3, v3
	v_max_f32_e32 v1, v1, v3
	ds_bpermute_b32 v3, v7, v1
	s_and_saveexec_b32 s0, vcc_lo
	s_cbranch_execz .LBB208_149
; %bb.148:
	s_waitcnt lgkmcnt(0)
	v_max_f32_e32 v3, v3, v3
	v_max_f32_e32 v1, v1, v1
	s_delay_alu instid0(VALU_DEP_1)
	v_max_f32_e32 v1, v1, v3
	ds_store_b32 v5, v1 offset:256
.LBB208_149:
	s_or_b32 exec_lo, exec_lo, s0
	v_cmp_gt_u32_e64 s0, 4, v26
	v_dual_mov_b32 v1, 0xff7fffff :: v_dual_lshlrev_b32 v6, 2, v26
	s_waitcnt lgkmcnt(0)
	s_barrier
	buffer_gl0_inv
	s_and_saveexec_b32 s1, s0
	s_cbranch_execz .LBB208_151
; %bb.150:
	ds_load_b32 v1, v6 offset:256
.LBB208_151:
	s_or_b32 exec_lo, exec_lo, s1
	v_xor_b32_e32 v3, 2, v33
	v_xor_b32_e32 v9, 1, v33
	s_delay_alu instid0(VALU_DEP_2) | instskip(NEXT) | instid1(VALU_DEP_1)
	v_cmp_gt_i32_e64 s1, 32, v3
	v_cndmask_b32_e64 v3, v33, v3, s1
	s_delay_alu instid0(VALU_DEP_3) | instskip(NEXT) | instid1(VALU_DEP_2)
	v_cmp_gt_i32_e64 s1, 32, v9
	v_lshlrev_b32_e32 v8, 2, v3
	s_delay_alu instid0(VALU_DEP_2) | instskip(SKIP_1) | instid1(SALU_CYCLE_1)
	v_cndmask_b32_e64 v9, v33, v9, s1
	s_sub_i32 s1, s38, s16
	s_lshl_b32 s1, s1, 3
	s_waitcnt lgkmcnt(0)
	ds_bpermute_b32 v3, v8, v1
	v_max_f32_e32 v1, v1, v1
	v_lshlrev_b32_e32 v27, 2, v9
	v_mov_b32_e32 v9, 0
	s_add_i32 s1, s1, s41
	s_delay_alu instid0(SALU_CYCLE_1) | instskip(NEXT) | instid1(SALU_CYCLE_1)
	s_min_i32 s1, s1, s15
	s_sub_i32 s8, s1, s41
	s_delay_alu instid0(SALU_CYCLE_1) | instskip(SKIP_2) | instid1(VALU_DEP_1)
	v_cmp_gt_i32_e64 s1, s8, v0
	s_waitcnt lgkmcnt(0)
	v_max_f32_e32 v3, v3, v3
	v_max_f32_e32 v1, v1, v3
	ds_bpermute_b32 v3, v27, v1
	s_waitcnt lgkmcnt(0)
	v_max_f32_e32 v3, v3, v3
	s_delay_alu instid0(VALU_DEP_1)
	v_max_f32_e32 v1, v1, v3
	v_lshl_add_u32 v3, v0, 2, 0x120
	ds_bpermute_b32 v1, v9, v1
	s_and_saveexec_b32 s9, s1
	s_cbranch_execz .LBB208_155
; %bb.152:
	v_lshl_add_u32 v10, v0, 2, 0x120
	v_mov_b32_e32 v9, 0
	v_mov_b32_e32 v11, v0
	s_mov_b32 s39, 0
	.p2align	6
.LBB208_153:                            ; =>This Inner Loop Header: Depth=1
	ds_load_b32 v12, v10
	v_add_nc_u32_e32 v11, 0x80, v11
	s_delay_alu instid0(VALU_DEP_1) | instskip(NEXT) | instid1(VALU_DEP_1)
	v_cmp_le_i32_e64 s4, s8, v11
	s_or_b32 s39, s4, s39
	s_waitcnt lgkmcnt(0)
	v_sub_f32_e32 v12, v12, v1
	s_delay_alu instid0(VALU_DEP_1) | instskip(NEXT) | instid1(VALU_DEP_1)
	v_mul_f32_e32 v12, 0x3fb8aa3b, v12
	v_exp_f32_e32 v12, v12
	ds_store_b32 v10, v12
	v_dual_add_f32 v9, v9, v12 :: v_dual_add_nc_u32 v10, 0x200, v10
	s_and_not1_b32 exec_lo, exec_lo, s39
	s_cbranch_execnz .LBB208_153
; %bb.154:
	s_or_b32 exec_lo, exec_lo, s39
.LBB208_155:
	s_delay_alu instid0(SALU_CYCLE_1)
	s_or_b32 exec_lo, exec_lo, s9
	ds_bpermute_b32 v2, v2, v9
	s_waitcnt lgkmcnt(0)
	v_add_f32_e32 v2, v9, v2
	ds_bpermute_b32 v4, v4, v2
	s_waitcnt lgkmcnt(0)
	v_add_f32_e32 v2, v2, v4
	;; [unrolled: 3-line block ×5, first 2 shown]
	s_and_saveexec_b32 s4, vcc_lo
	s_cbranch_execz .LBB208_157
; %bb.156:
	ds_store_b32 v5, v2 offset:272
.LBB208_157:
	s_or_b32 exec_lo, exec_lo, s4
	s_waitcnt lgkmcnt(0)
	s_barrier
	buffer_gl0_inv
	s_and_saveexec_b32 s4, s0
	s_cbranch_execz .LBB208_159
; %bb.158:
	ds_load_b32 v2, v6 offset:272
.LBB208_159:
	s_or_b32 exec_lo, exec_lo, s4
	s_waitcnt lgkmcnt(0)
	ds_bpermute_b32 v4, v8, v2
	s_waitcnt lgkmcnt(0)
	v_add_f32_e32 v2, v2, v4
	ds_bpermute_b32 v4, v27, v2
	s_waitcnt lgkmcnt(0)
	v_add_f32_e32 v2, v2, v4
	v_mov_b32_e32 v4, 0
	ds_bpermute_b32 v2, v4, v2
	s_and_saveexec_b32 s0, s1
	s_cbranch_execz .LBB208_162
; %bb.160:
	s_waitcnt lgkmcnt(0)
	v_add_f32_e32 v4, 0x358637bd, v2
	s_mov_b32 s1, 0
	s_delay_alu instid0(VALU_DEP_1) | instskip(SKIP_1) | instid1(VALU_DEP_2)
	v_div_scale_f32 v5, null, v4, v4, 1.0
	v_div_scale_f32 v8, vcc_lo, 1.0, v4, 1.0
	v_rcp_f32_e32 v6, v5
	s_waitcnt_depctr 0xfff
	v_fma_f32 v7, -v5, v6, 1.0
	s_delay_alu instid0(VALU_DEP_1) | instskip(NEXT) | instid1(VALU_DEP_1)
	v_fmac_f32_e32 v6, v7, v6
	v_mul_f32_e32 v7, v8, v6
	s_delay_alu instid0(VALU_DEP_1) | instskip(NEXT) | instid1(VALU_DEP_1)
	v_fma_f32 v9, -v5, v7, v8
	v_fmac_f32_e32 v7, v9, v6
	s_delay_alu instid0(VALU_DEP_1) | instskip(NEXT) | instid1(VALU_DEP_1)
	v_fma_f32 v5, -v5, v7, v8
	v_div_fmas_f32 v5, v5, v6, v7
	s_delay_alu instid0(VALU_DEP_1)
	v_div_fixup_f32 v4, v5, v4, 1.0
	v_mov_b32_e32 v5, v0
.LBB208_161:                            ; =>This Inner Loop Header: Depth=1
	ds_load_b32 v6, v3
	s_waitcnt lgkmcnt(0)
	v_dual_mul_f32 v6, v4, v6 :: v_dual_add_nc_u32 v5, 0x80, v5
	s_delay_alu instid0(VALU_DEP_1) | instskip(SKIP_3) | instid1(SALU_CYCLE_1)
	v_cmp_le_i32_e32 vcc_lo, s8, v5
	ds_store_b32 v3, v6
	v_add_nc_u32_e32 v3, 0x200, v3
	s_or_b32 s1, vcc_lo, s1
	s_and_not1_b32 exec_lo, exec_lo, s1
	s_cbranch_execnz .LBB208_161
.LBB208_162:
	s_or_b32 exec_lo, exec_lo, s0
	s_mul_i32 s0, s13, s14
	s_waitcnt lgkmcnt(0)
	s_mul_i32 s8, s0, s27
	s_mov_b32 s0, exec_lo
	s_barrier
	buffer_gl0_inv
	v_cmpx_eq_u32_e32 0, v0
	s_cbranch_execz .LBB208_164
; %bb.163:
	s_ashr_i32 s9, s8, 31
	s_mul_i32 s46, s13, s28
	s_lshl_b64 s[44:45], s[8:9], 2
	v_mov_b32_e32 v3, 0
	s_add_u32 s1, s22, s44
	s_addc_u32 s4, s23, s45
	s_ashr_i32 s47, s46, 31
	s_delay_alu instid0(SALU_CYCLE_1) | instskip(NEXT) | instid1(SALU_CYCLE_1)
	s_lshl_b64 s[22:23], s[46:47], 2
	s_add_u32 s1, s1, s22
	s_addc_u32 s4, s4, s23
	s_ashr_i32 s27, s26, 31
	s_delay_alu instid0(SALU_CYCLE_1) | instskip(NEXT) | instid1(SALU_CYCLE_1)
	s_lshl_b64 s[26:27], s[26:27], 2
	s_add_u32 s46, s1, s26
	s_addc_u32 s47, s4, s27
	s_add_u32 s1, s20, s44
	s_addc_u32 s4, s21, s45
	;; [unrolled: 2-line block ×4, first 2 shown]
	s_clause 0x1
	global_store_b32 v3, v1, s[46:47]
	global_store_b32 v3, v2, s[20:21]
.LBB208_164:
	s_or_b32 exec_lo, exec_lo, s0
	v_dual_mov_b32 v4, 0 :: v_dual_mov_b32 v3, 0
	v_dual_mov_b32 v1, 0 :: v_dual_and_b32 v28, 1, v0
	v_mov_b32_e32 v2, 0
	s_mov_b32 s4, 0
	s_and_saveexec_b32 s1, s3
	s_cbranch_execz .LBB208_306
; %bb.165:
	s_sub_i32 s3, s7, s17
	s_ashr_i32 s0, s6, 31
	s_add_u32 s17, s36, s6
	s_addc_u32 s0, s37, s0
	s_abs_i32 s9, s18
	s_mov_b32 s14, s5
	v_cvt_f32_u32_e32 v1, s9
	s_sub_i32 s18, 0, s9
	s_mov_b32 s5, s4
	s_mov_b32 s6, s4
	;; [unrolled: 1-line block ×3, first 2 shown]
	v_rcp_iflag_f32_e32 v1, v1
	v_and_b32_e32 v32, 4, v31
	v_and_b32_e32 v7, 0x7c, v31
	v_lshlrev_b32_e32 v8, 4, v28
	v_lshlrev_b64 v[5:6], 2, v[17:18]
	s_lshl_b64 s[20:21], s[34:35], 2
	s_add_i32 s42, s42, -1
	s_waitcnt_depctr 0xfff
	v_dual_mov_b32 v14, 0 :: v_dual_mul_f32 v1, 0x4f7ffffe, v1
	s_delay_alu instid0(VALU_DEP_1) | instskip(SKIP_2) | instid1(VALU_DEP_3)
	v_cvt_u32_f32_e32 v13, v1
	v_dual_mov_b32 v1, s4 :: v_dual_mov_b32 v2, s5
	v_dual_mov_b32 v3, s6 :: v_dual_mov_b32 v4, s7
	v_mul_lo_u32 v11, s18, v13
	v_add_co_u32 v9, s5, s17, v7
	v_lshl_or_b32 v8, v29, 5, v8
	v_add_co_ci_u32_e64 v10, null, s0, 0, s5
	s_add_u32 s0, s30, s20
	s_addc_u32 s5, s31, s21
	s_delay_alu instid0(VALU_DEP_4)
	v_mul_hi_u32 v7, v13, v11
	v_add_co_u32 v11, vcc_lo, s0, v5
	v_add_co_ci_u32_e32 v12, vcc_lo, s5, v6, vcc_lo
	v_add_nc_u32_e32 v31, 0x120, v8
	s_brev_b32 s5, 1
	s_mov_b32 s7, 0x7f800001
	s_delay_alu instid0(VALU_DEP_4)
	v_add_nc_u32_e32 v33, v13, v7
	s_mov_b32 s17, s4
	s_branch .LBB208_168
.LBB208_166:                            ;   in Loop: Header=BB208_168 Depth=1
	s_or_b32 exec_lo, exec_lo, s0
	v_mul_f32_e32 v20, v6, v45
	v_mul_f32_e32 v19, v6, v37
	s_delay_alu instid0(VALU_DEP_2) | instskip(NEXT) | instid1(VALU_DEP_2)
	v_dual_mul_f32 v21, v6, v47 :: v_dual_fmac_f32 v20, v5, v44
	v_dual_fmac_f32 v19, v5, v36 :: v_dual_mul_f32 v6, v6, v18
	s_delay_alu instid0(VALU_DEP_2) | instskip(NEXT) | instid1(VALU_DEP_2)
	v_fmac_f32_e32 v20, v7, v43
	v_dual_fmac_f32 v19, v7, v35 :: v_dual_fmac_f32 v6, v5, v16
	s_delay_alu instid0(VALU_DEP_4) | instskip(NEXT) | instid1(VALU_DEP_3)
	v_fmac_f32_e32 v21, v5, v46
	v_fmac_f32_e32 v20, v8, v42
	s_delay_alu instid0(VALU_DEP_3) | instskip(NEXT) | instid1(VALU_DEP_3)
	v_dual_fmac_f32 v19, v8, v34 :: v_dual_fmac_f32 v6, v7, v15
	v_fmac_f32_e32 v21, v7, v25
	s_delay_alu instid0(VALU_DEP_2) | instskip(NEXT) | instid1(VALU_DEP_2)
	v_dual_add_f32 v1, v1, v19 :: v_dual_fmac_f32 v6, v8, v13
	v_fmac_f32_e32 v21, v8, v24
	v_add_f32_e32 v2, v2, v20
	s_delay_alu instid0(VALU_DEP_2)
	v_dual_add_f32 v4, v4, v6 :: v_dual_add_f32 v3, v3, v21
.LBB208_167:                            ;   in Loop: Header=BB208_168 Depth=1
	s_or_b32 exec_lo, exec_lo, s18
	v_add_nc_u32_e32 v17, 4, v17
	v_add_co_u32 v11, s0, v11, 16
	s_delay_alu instid0(VALU_DEP_1) | instskip(NEXT) | instid1(VALU_DEP_3)
	v_add_co_ci_u32_e64 v12, s0, 0, v12, s0
	v_cmp_le_i32_e32 vcc_lo, s38, v17
	v_add_nc_u32_e32 v30, 32, v30
	v_add_nc_u32_e32 v31, 0x80, v31
	s_or_b32 s17, vcc_lo, s17
	s_delay_alu instid0(SALU_CYCLE_1)
	s_and_not1_b32 exec_lo, exec_lo, s17
	s_cbranch_execz .LBB208_305
.LBB208_168:                            ; =>This Inner Loop Header: Depth=1
	v_sub_nc_u32_e32 v5, 0, v30
	s_delay_alu instid0(VALU_DEP_1) | instskip(NEXT) | instid1(VALU_DEP_1)
	v_max_i32_e32 v5, v30, v5
	v_mul_hi_u32 v6, v5, s33
	s_delay_alu instid0(VALU_DEP_1) | instskip(NEXT) | instid1(VALU_DEP_1)
	v_mul_lo_u32 v7, v6, s29
	v_sub_nc_u32_e32 v5, v5, v7
	v_add_nc_u32_e32 v7, 1, v6
	s_delay_alu instid0(VALU_DEP_2) | instskip(SKIP_1) | instid1(VALU_DEP_2)
	v_subrev_nc_u32_e32 v8, s29, v5
	v_cmp_le_u32_e32 vcc_lo, s29, v5
	v_dual_cndmask_b32 v6, v6, v7 :: v_dual_cndmask_b32 v5, v5, v8
	v_ashrrev_i32_e32 v7, 31, v30
	s_delay_alu instid0(VALU_DEP_2) | instskip(NEXT) | instid1(VALU_DEP_3)
	v_add_nc_u32_e32 v8, 1, v6
	v_cmp_le_u32_e32 vcc_lo, s29, v5
	s_delay_alu instid0(VALU_DEP_3) | instskip(NEXT) | instid1(VALU_DEP_3)
	v_xor_b32_e32 v7, s19, v7
	v_cndmask_b32_e32 v5, v6, v8, vcc_lo
	s_delay_alu instid0(VALU_DEP_1) | instskip(NEXT) | instid1(VALU_DEP_1)
	v_xor_b32_e32 v5, v5, v7
	v_sub_nc_u32_e32 v5, v5, v7
	s_delay_alu instid0(VALU_DEP_1) | instskip(SKIP_1) | instid1(VALU_DEP_2)
	v_add_nc_u32_e32 v6, s40, v5
	v_cmp_lt_i32_e64 s0, s3, v5
	v_sub_nc_u32_e32 v7, 0, v6
	s_delay_alu instid0(VALU_DEP_1) | instskip(NEXT) | instid1(VALU_DEP_1)
	v_max_i32_e32 v7, v6, v7
	v_mul_hi_u32 v8, v7, v33
	s_delay_alu instid0(VALU_DEP_1) | instskip(NEXT) | instid1(VALU_DEP_1)
	v_mul_lo_u32 v8, v8, s9
	v_sub_nc_u32_e32 v7, v7, v8
	s_delay_alu instid0(VALU_DEP_1) | instskip(SKIP_1) | instid1(VALU_DEP_2)
	v_subrev_nc_u32_e32 v8, s9, v7
	v_cmp_le_u32_e32 vcc_lo, s9, v7
	v_cndmask_b32_e32 v7, v7, v8, vcc_lo
	v_ashrrev_i32_e32 v6, 31, v6
	s_delay_alu instid0(VALU_DEP_2) | instskip(SKIP_1) | instid1(VALU_DEP_2)
	v_subrev_nc_u32_e32 v8, s9, v7
	v_cmp_le_u32_e32 vcc_lo, s9, v7
	v_cndmask_b32_e32 v7, v7, v8, vcc_lo
	s_delay_alu instid0(VALU_DEP_1) | instskip(NEXT) | instid1(VALU_DEP_1)
	v_xor_b32_e32 v7, v7, v6
	v_sub_nc_u32_e32 v6, v7, v6
	s_delay_alu instid0(VALU_DEP_1) | instskip(SKIP_1) | instid1(SALU_CYCLE_1)
	v_cmp_eq_u32_e32 vcc_lo, 0, v6
	s_or_b32 s0, vcc_lo, s0
	s_and_saveexec_b32 s18, s0
	s_cbranch_execz .LBB208_167
; %bb.169:                              ;   in Loop: Header=BB208_168 Depth=1
	global_load_b32 v5, v[11:12], off
	s_load_b32 s20, s[10:11], 0x0
	s_mov_b32 s0, exec_lo
	s_waitcnt vmcnt(0)
	v_mad_i64_i32 v[15:16], null, v5, s14, v[9:10]
	ds_load_b128 v[5:8], v31
	global_load_b32 v34, v[15:16], off
	v_mov_b32_e32 v20, 0
	v_mov_b32_e32 v21, 0
	s_delay_alu instid0(VALU_DEP_1) | instskip(SKIP_2) | instid1(VALU_DEP_1)
	v_dual_mov_b32 v18, v20 :: v_dual_mov_b32 v19, v21
	s_waitcnt vmcnt(0)
	v_and_b32_e32 v13, 0xff, v34
	v_cmpx_ne_u16_e32 0, v13
	s_cbranch_execz .LBB208_177
; %bb.170:                              ;   in Loop: Header=BB208_168 Depth=1
	v_bfrev_b32_e32 v18, 1
	v_mov_b32_e32 v19, 0
	s_mov_b32 s6, exec_lo
	v_cmpx_ne_u16_e32 0x80, v13
	s_cbranch_execz .LBB208_176
; %bb.171:                              ;   in Loop: Header=BB208_168 Depth=1
	v_mov_b32_e32 v18, 0x7f800001
	v_dual_mov_b32 v19, 0 :: v_dual_and_b32 v22, 0x7f, v34
	s_mov_b32 s21, exec_lo
	s_delay_alu instid0(VALU_DEP_1)
	v_cmpx_ne_u32_e32 0x7f, v22
	s_cbranch_execz .LBB208_175
; %bb.172:                              ;   in Loop: Header=BB208_168 Depth=1
	v_and_b32_e32 v13, 7, v34
	v_lshrrev_b32_e32 v18, 3, v22
	s_mov_b32 s22, exec_lo
	v_cmpx_gt_u32_e32 8, v22
; %bb.173:                              ;   in Loop: Header=BB208_168 Depth=1
	s_delay_alu instid0(VALU_DEP_3) | instskip(NEXT) | instid1(VALU_DEP_1)
	v_clz_i32_u32_e32 v18, v13
	v_min_u32_e32 v18, 32, v18
	s_delay_alu instid0(VALU_DEP_1) | instskip(SKIP_1) | instid1(VALU_DEP_2)
	v_subrev_nc_u32_e32 v19, 28, v18
	v_sub_nc_u32_e32 v18, 29, v18
	v_lshlrev_b64 v[22:23], v19, v[13:14]
	s_delay_alu instid0(VALU_DEP_1)
	v_and_b32_e32 v13, 7, v22
; %bb.174:                              ;   in Loop: Header=BB208_168 Depth=1
	s_or_b32 exec_lo, exec_lo, s22
	v_lshlrev_b32_e32 v19, 24, v34
	s_delay_alu instid0(VALU_DEP_2) | instskip(SKIP_1) | instid1(VALU_DEP_3)
	v_lshlrev_b32_e32 v13, 20, v13
	v_lshl_add_u32 v18, v18, 23, 0x3c000000
	v_and_b32_e32 v19, 0x80000000, v19
	s_delay_alu instid0(VALU_DEP_1) | instskip(NEXT) | instid1(VALU_DEP_1)
	v_or3_b32 v13, v13, v19, v18
	v_dual_mov_b32 v19, v14 :: v_dual_mov_b32 v18, v13
.LBB208_175:                            ;   in Loop: Header=BB208_168 Depth=1
	s_or_b32 exec_lo, exec_lo, s21
.LBB208_176:                            ;   in Loop: Header=BB208_168 Depth=1
	s_delay_alu instid0(SALU_CYCLE_1)
	s_or_b32 exec_lo, exec_lo, s6
.LBB208_177:                            ;   in Loop: Header=BB208_168 Depth=1
	s_delay_alu instid0(SALU_CYCLE_1) | instskip(SKIP_2) | instid1(VALU_DEP_1)
	s_or_b32 exec_lo, exec_lo, s0
	v_lshrrev_b16 v13, 8, v34
	s_mov_b32 s0, exec_lo
	v_cmpx_ne_u16_e32 0, v13
	s_cbranch_execz .LBB208_185
; %bb.178:                              ;   in Loop: Header=BB208_168 Depth=1
	v_dual_mov_b32 v21, s5 :: v_dual_mov_b32 v20, s4
	s_mov_b32 s21, exec_lo
	v_cmpx_ne_u16_e32 0x80, v13
	s_cbranch_execz .LBB208_184
; %bb.179:                              ;   in Loop: Header=BB208_168 Depth=1
	s_mov_b32 s6, s4
	v_and_b32_e32 v13, 0xffff, v13
	v_dual_mov_b32 v21, s7 :: v_dual_mov_b32 v20, s6
	s_mov_b32 s6, exec_lo
	s_delay_alu instid0(VALU_DEP_2) | instskip(NEXT) | instid1(VALU_DEP_1)
	v_and_b32_e32 v22, 0x7f, v13
	v_cmpx_ne_u32_e32 0x7f, v22
	s_cbranch_execz .LBB208_183
; %bb.180:                              ;   in Loop: Header=BB208_168 Depth=1
	v_and_b32_e32 v13, 7, v13
	v_lshrrev_b32_e32 v20, 3, v22
	s_mov_b32 s22, exec_lo
	v_cmpx_gt_u32_e32 8, v22
; %bb.181:                              ;   in Loop: Header=BB208_168 Depth=1
	s_delay_alu instid0(VALU_DEP_3) | instskip(NEXT) | instid1(VALU_DEP_1)
	v_clz_i32_u32_e32 v20, v13
	v_min_u32_e32 v20, 32, v20
	s_delay_alu instid0(VALU_DEP_1) | instskip(SKIP_1) | instid1(VALU_DEP_2)
	v_subrev_nc_u32_e32 v21, 28, v20
	v_sub_nc_u32_e32 v20, 29, v20
	v_lshlrev_b64 v[21:22], v21, v[13:14]
	s_delay_alu instid0(VALU_DEP_1)
	v_and_b32_e32 v13, 7, v21
; %bb.182:                              ;   in Loop: Header=BB208_168 Depth=1
	s_or_b32 exec_lo, exec_lo, s22
	v_lshlrev_b32_e32 v21, 16, v34
	s_delay_alu instid0(VALU_DEP_2) | instskip(SKIP_1) | instid1(VALU_DEP_3)
	v_lshlrev_b32_e32 v13, 20, v13
	v_lshl_add_u32 v20, v20, 23, 0x3c000000
	v_and_b32_e32 v21, 0x80000000, v21
	s_delay_alu instid0(VALU_DEP_1)
	v_or3_b32 v21, v13, v21, v20
	v_mov_b32_e32 v20, v14
.LBB208_183:                            ;   in Loop: Header=BB208_168 Depth=1
	s_or_b32 exec_lo, exec_lo, s6
.LBB208_184:                            ;   in Loop: Header=BB208_168 Depth=1
	s_delay_alu instid0(SALU_CYCLE_1)
	s_or_b32 exec_lo, exec_lo, s21
.LBB208_185:                            ;   in Loop: Header=BB208_168 Depth=1
	s_delay_alu instid0(SALU_CYCLE_1) | instskip(SKIP_3) | instid1(VALU_DEP_2)
	s_or_b32 exec_lo, exec_lo, s0
	v_lshrrev_b32_e32 v35, 16, v34
	v_mov_b32_e32 v24, 0
	v_mov_b32_e32 v25, 0
	;; [unrolled: 1-line block ×3, first 2 shown]
	s_mov_b32 s0, exec_lo
	v_and_b32_e32 v13, 0xff, v35
	s_delay_alu instid0(VALU_DEP_3) | instskip(NEXT) | instid1(VALU_DEP_2)
	v_mov_b32_e32 v23, v25
	v_cmpx_ne_u16_e32 0, v13
	s_cbranch_execz .LBB208_193
; %bb.186:                              ;   in Loop: Header=BB208_168 Depth=1
	v_bfrev_b32_e32 v22, 1
	v_mov_b32_e32 v23, 0
	s_mov_b32 s6, exec_lo
	v_cmpx_ne_u16_e32 0x80, v13
	s_cbranch_execz .LBB208_192
; %bb.187:                              ;   in Loop: Header=BB208_168 Depth=1
	v_mov_b32_e32 v22, 0x7f800001
	v_bfe_u32 v36, v34, 16, 7
	v_mov_b32_e32 v23, 0
	s_mov_b32 s21, exec_lo
	s_delay_alu instid0(VALU_DEP_2)
	v_cmpx_ne_u32_e32 0x7f, v36
	s_cbranch_execz .LBB208_191
; %bb.188:                              ;   in Loop: Header=BB208_168 Depth=1
	v_and_b32_e32 v13, 7, v35
	v_lshrrev_b32_e32 v22, 3, v36
	s_mov_b32 s22, exec_lo
	v_cmpx_gt_u32_e32 8, v36
; %bb.189:                              ;   in Loop: Header=BB208_168 Depth=1
	s_delay_alu instid0(VALU_DEP_3) | instskip(NEXT) | instid1(VALU_DEP_1)
	v_clz_i32_u32_e32 v22, v13
	v_min_u32_e32 v22, 32, v22
	s_delay_alu instid0(VALU_DEP_1) | instskip(SKIP_1) | instid1(VALU_DEP_2)
	v_subrev_nc_u32_e32 v23, 28, v22
	v_sub_nc_u32_e32 v22, 29, v22
	v_lshlrev_b64 v[36:37], v23, v[13:14]
	s_delay_alu instid0(VALU_DEP_1)
	v_and_b32_e32 v13, 7, v36
; %bb.190:                              ;   in Loop: Header=BB208_168 Depth=1
	s_or_b32 exec_lo, exec_lo, s22
	v_lshlrev_b32_e32 v23, 24, v35
	s_delay_alu instid0(VALU_DEP_2) | instskip(SKIP_1) | instid1(VALU_DEP_3)
	v_lshlrev_b32_e32 v13, 20, v13
	v_lshl_add_u32 v22, v22, 23, 0x3c000000
	v_and_b32_e32 v23, 0x80000000, v23
	s_delay_alu instid0(VALU_DEP_1) | instskip(NEXT) | instid1(VALU_DEP_1)
	v_or3_b32 v13, v13, v23, v22
	v_dual_mov_b32 v23, v14 :: v_dual_mov_b32 v22, v13
.LBB208_191:                            ;   in Loop: Header=BB208_168 Depth=1
	s_or_b32 exec_lo, exec_lo, s21
.LBB208_192:                            ;   in Loop: Header=BB208_168 Depth=1
	s_delay_alu instid0(SALU_CYCLE_1)
	s_or_b32 exec_lo, exec_lo, s6
.LBB208_193:                            ;   in Loop: Header=BB208_168 Depth=1
	s_delay_alu instid0(SALU_CYCLE_1) | instskip(NEXT) | instid1(SALU_CYCLE_1)
	s_or_b32 exec_lo, exec_lo, s0
	s_mov_b32 s0, exec_lo
	v_cmpx_lt_u32_e32 0xffffff, v34
	s_cbranch_execz .LBB208_201
; %bb.194:                              ;   in Loop: Header=BB208_168 Depth=1
	v_lshrrev_b32_e32 v35, 24, v34
	v_dual_mov_b32 v25, s5 :: v_dual_mov_b32 v24, s4
	s_mov_b32 s21, exec_lo
	s_delay_alu instid0(VALU_DEP_2)
	v_cmpx_ne_u32_e32 0x80, v35
	s_cbranch_execz .LBB208_200
; %bb.195:                              ;   in Loop: Header=BB208_168 Depth=1
	s_mov_b32 s6, s4
	v_bfe_u32 v34, v34, 24, 7
	v_dual_mov_b32 v25, s7 :: v_dual_mov_b32 v24, s6
	s_mov_b32 s6, exec_lo
	s_delay_alu instid0(VALU_DEP_2)
	v_cmpx_ne_u32_e32 0x7f, v34
	s_cbranch_execz .LBB208_199
; %bb.196:                              ;   in Loop: Header=BB208_168 Depth=1
	v_and_b32_e32 v13, 7, v35
	v_lshrrev_b32_e32 v24, 3, v34
	s_mov_b32 s22, exec_lo
	v_cmpx_gt_u32_e32 8, v34
; %bb.197:                              ;   in Loop: Header=BB208_168 Depth=1
	s_delay_alu instid0(VALU_DEP_3) | instskip(NEXT) | instid1(VALU_DEP_1)
	v_clz_i32_u32_e32 v24, v13
	v_min_u32_e32 v24, 32, v24
	s_delay_alu instid0(VALU_DEP_1) | instskip(SKIP_1) | instid1(VALU_DEP_2)
	v_subrev_nc_u32_e32 v25, 28, v24
	v_sub_nc_u32_e32 v24, 29, v24
	v_lshlrev_b64 v[36:37], v25, v[13:14]
	s_delay_alu instid0(VALU_DEP_1)
	v_and_b32_e32 v13, 7, v36
; %bb.198:                              ;   in Loop: Header=BB208_168 Depth=1
	s_or_b32 exec_lo, exec_lo, s22
	v_lshlrev_b32_e32 v25, 24, v35
	s_delay_alu instid0(VALU_DEP_2) | instskip(SKIP_1) | instid1(VALU_DEP_3)
	v_lshlrev_b32_e32 v13, 20, v13
	v_lshl_add_u32 v24, v24, 23, 0x3c000000
	v_and_b32_e32 v25, 0x80000000, v25
	s_delay_alu instid0(VALU_DEP_1)
	v_or3_b32 v25, v13, v25, v24
	v_mov_b32_e32 v24, v14
.LBB208_199:                            ;   in Loop: Header=BB208_168 Depth=1
	s_or_b32 exec_lo, exec_lo, s6
.LBB208_200:                            ;   in Loop: Header=BB208_168 Depth=1
	s_delay_alu instid0(SALU_CYCLE_1)
	s_or_b32 exec_lo, exec_lo, s21
.LBB208_201:                            ;   in Loop: Header=BB208_168 Depth=1
	s_delay_alu instid0(SALU_CYCLE_1)
	s_or_b32 exec_lo, exec_lo, s0
	v_or_b32_e32 v13, v21, v19
	v_add_nc_u32_e32 v38, v32, v30
	v_or_b32_e32 v18, v20, v18
	v_or_b32_e32 v19, v25, v23
	;; [unrolled: 1-line block ×3, first 2 shown]
	s_waitcnt lgkmcnt(0)
	v_mul_f32_e32 v37, s20, v13
	v_cmp_eq_u32_e32 vcc_lo, s42, v17
	v_mul_f32_e32 v36, s20, v18
	v_dual_mul_f32 v34, s20, v19 :: v_dual_add_nc_u32 v41, 1, v38
	v_dual_mul_f32 v35, s20, v20 :: v_dual_add_nc_u32 v40, 2, v38
	v_add_nc_u32_e32 v39, 3, v38
	s_and_saveexec_b32 s6, vcc_lo
; %bb.202:                              ;   in Loop: Header=BB208_168 Depth=1
	v_cmp_gt_i32_e64 s0, s15, v38
	s_delay_alu instid0(VALU_DEP_1) | instskip(SKIP_1) | instid1(VALU_DEP_1)
	v_cndmask_b32_e64 v36, 0, v36, s0
	v_cmp_gt_i32_e64 s0, s15, v41
	v_cndmask_b32_e64 v37, 0, v37, s0
	v_cmp_gt_i32_e64 s0, s15, v40
	s_delay_alu instid0(VALU_DEP_1) | instskip(SKIP_1) | instid1(VALU_DEP_1)
	v_cndmask_b32_e64 v35, 0, v35, s0
	v_cmp_gt_i32_e64 s0, s15, v39
	v_cndmask_b32_e64 v34, 0, v34, s0
; %bb.203:                              ;   in Loop: Header=BB208_168 Depth=1
	s_or_b32 exec_lo, exec_lo, s6
	global_load_b32 v42, v[15:16], off offset:128
	v_mov_b32_e32 v20, 0
	v_mov_b32_e32 v21, 0
	s_delay_alu instid0(VALU_DEP_2) | instskip(SKIP_1) | instid1(VALU_DEP_2)
	v_mov_b32_e32 v18, v20
	s_mov_b32 s6, exec_lo
	v_mov_b32_e32 v19, v21
	s_waitcnt vmcnt(0)
	v_and_b32_e32 v13, 0xff, v42
	s_delay_alu instid0(VALU_DEP_1)
	v_cmpx_ne_u16_e32 0, v13
	s_cbranch_execz .LBB208_211
; %bb.204:                              ;   in Loop: Header=BB208_168 Depth=1
	v_bfrev_b32_e32 v18, 1
	v_mov_b32_e32 v19, 0
	s_mov_b32 s21, exec_lo
	v_cmpx_ne_u16_e32 0x80, v13
	s_cbranch_execz .LBB208_210
; %bb.205:                              ;   in Loop: Header=BB208_168 Depth=1
	v_mov_b32_e32 v18, 0x7f800001
	v_dual_mov_b32 v19, 0 :: v_dual_and_b32 v22, 0x7f, v42
	s_mov_b32 s22, exec_lo
	s_delay_alu instid0(VALU_DEP_1)
	v_cmpx_ne_u32_e32 0x7f, v22
	s_cbranch_execz .LBB208_209
; %bb.206:                              ;   in Loop: Header=BB208_168 Depth=1
	v_and_b32_e32 v13, 7, v42
	v_lshrrev_b32_e32 v18, 3, v22
	s_mov_b32 s23, exec_lo
	v_cmpx_gt_u32_e32 8, v22
; %bb.207:                              ;   in Loop: Header=BB208_168 Depth=1
	s_delay_alu instid0(VALU_DEP_3) | instskip(NEXT) | instid1(VALU_DEP_1)
	v_clz_i32_u32_e32 v18, v13
	v_min_u32_e32 v18, 32, v18
	s_delay_alu instid0(VALU_DEP_1) | instskip(SKIP_1) | instid1(VALU_DEP_2)
	v_subrev_nc_u32_e32 v19, 28, v18
	v_sub_nc_u32_e32 v18, 29, v18
	v_lshlrev_b64 v[22:23], v19, v[13:14]
	s_delay_alu instid0(VALU_DEP_1)
	v_and_b32_e32 v13, 7, v22
; %bb.208:                              ;   in Loop: Header=BB208_168 Depth=1
	s_or_b32 exec_lo, exec_lo, s23
	v_lshlrev_b32_e32 v19, 24, v42
	s_delay_alu instid0(VALU_DEP_2) | instskip(SKIP_1) | instid1(VALU_DEP_3)
	v_lshlrev_b32_e32 v13, 20, v13
	v_lshl_add_u32 v18, v18, 23, 0x3c000000
	v_and_b32_e32 v19, 0x80000000, v19
	s_delay_alu instid0(VALU_DEP_1) | instskip(NEXT) | instid1(VALU_DEP_1)
	v_or3_b32 v13, v13, v19, v18
	v_dual_mov_b32 v19, v14 :: v_dual_mov_b32 v18, v13
.LBB208_209:                            ;   in Loop: Header=BB208_168 Depth=1
	s_or_b32 exec_lo, exec_lo, s22
.LBB208_210:                            ;   in Loop: Header=BB208_168 Depth=1
	s_delay_alu instid0(SALU_CYCLE_1)
	s_or_b32 exec_lo, exec_lo, s21
.LBB208_211:                            ;   in Loop: Header=BB208_168 Depth=1
	s_delay_alu instid0(SALU_CYCLE_1) | instskip(SKIP_2) | instid1(VALU_DEP_1)
	s_or_b32 exec_lo, exec_lo, s6
	v_lshrrev_b16 v13, 8, v42
	s_mov_b32 s21, exec_lo
	v_cmpx_ne_u16_e32 0, v13
	s_cbranch_execz .LBB208_219
; %bb.212:                              ;   in Loop: Header=BB208_168 Depth=1
	v_dual_mov_b32 v21, s5 :: v_dual_mov_b32 v20, s4
	s_mov_b32 s22, exec_lo
	v_cmpx_ne_u16_e32 0x80, v13
	s_cbranch_execz .LBB208_218
; %bb.213:                              ;   in Loop: Header=BB208_168 Depth=1
	s_mov_b32 s6, s4
	v_and_b32_e32 v13, 0xffff, v13
	v_dual_mov_b32 v21, s7 :: v_dual_mov_b32 v20, s6
	s_mov_b32 s6, exec_lo
	s_delay_alu instid0(VALU_DEP_2) | instskip(NEXT) | instid1(VALU_DEP_1)
	v_and_b32_e32 v22, 0x7f, v13
	v_cmpx_ne_u32_e32 0x7f, v22
	s_cbranch_execz .LBB208_217
; %bb.214:                              ;   in Loop: Header=BB208_168 Depth=1
	v_and_b32_e32 v13, 7, v13
	v_lshrrev_b32_e32 v20, 3, v22
	s_mov_b32 s23, exec_lo
	v_cmpx_gt_u32_e32 8, v22
; %bb.215:                              ;   in Loop: Header=BB208_168 Depth=1
	s_delay_alu instid0(VALU_DEP_3) | instskip(NEXT) | instid1(VALU_DEP_1)
	v_clz_i32_u32_e32 v20, v13
	v_min_u32_e32 v20, 32, v20
	s_delay_alu instid0(VALU_DEP_1) | instskip(SKIP_1) | instid1(VALU_DEP_2)
	v_subrev_nc_u32_e32 v21, 28, v20
	v_sub_nc_u32_e32 v20, 29, v20
	v_lshlrev_b64 v[21:22], v21, v[13:14]
	s_delay_alu instid0(VALU_DEP_1)
	v_and_b32_e32 v13, 7, v21
; %bb.216:                              ;   in Loop: Header=BB208_168 Depth=1
	s_or_b32 exec_lo, exec_lo, s23
	v_lshlrev_b32_e32 v21, 16, v42
	s_delay_alu instid0(VALU_DEP_2) | instskip(SKIP_1) | instid1(VALU_DEP_3)
	v_lshlrev_b32_e32 v13, 20, v13
	v_lshl_add_u32 v20, v20, 23, 0x3c000000
	v_and_b32_e32 v21, 0x80000000, v21
	s_delay_alu instid0(VALU_DEP_1)
	v_or3_b32 v21, v13, v21, v20
	v_mov_b32_e32 v20, v14
.LBB208_217:                            ;   in Loop: Header=BB208_168 Depth=1
	s_or_b32 exec_lo, exec_lo, s6
.LBB208_218:                            ;   in Loop: Header=BB208_168 Depth=1
	s_delay_alu instid0(SALU_CYCLE_1)
	s_or_b32 exec_lo, exec_lo, s22
.LBB208_219:                            ;   in Loop: Header=BB208_168 Depth=1
	s_delay_alu instid0(SALU_CYCLE_1) | instskip(SKIP_3) | instid1(VALU_DEP_2)
	s_or_b32 exec_lo, exec_lo, s21
	v_lshrrev_b32_e32 v43, 16, v42
	v_mov_b32_e32 v24, 0
	v_mov_b32_e32 v25, 0
	;; [unrolled: 1-line block ×3, first 2 shown]
	s_mov_b32 s6, exec_lo
	v_and_b32_e32 v13, 0xff, v43
	s_delay_alu instid0(VALU_DEP_3) | instskip(NEXT) | instid1(VALU_DEP_2)
	v_mov_b32_e32 v23, v25
	v_cmpx_ne_u16_e32 0, v13
	s_cbranch_execz .LBB208_227
; %bb.220:                              ;   in Loop: Header=BB208_168 Depth=1
	v_bfrev_b32_e32 v22, 1
	v_mov_b32_e32 v23, 0
	s_mov_b32 s21, exec_lo
	v_cmpx_ne_u16_e32 0x80, v13
	s_cbranch_execz .LBB208_226
; %bb.221:                              ;   in Loop: Header=BB208_168 Depth=1
	v_mov_b32_e32 v22, 0x7f800001
	v_bfe_u32 v44, v42, 16, 7
	v_mov_b32_e32 v23, 0
	s_mov_b32 s22, exec_lo
	s_delay_alu instid0(VALU_DEP_2)
	v_cmpx_ne_u32_e32 0x7f, v44
	s_cbranch_execz .LBB208_225
; %bb.222:                              ;   in Loop: Header=BB208_168 Depth=1
	v_and_b32_e32 v13, 7, v43
	v_lshrrev_b32_e32 v22, 3, v44
	s_mov_b32 s23, exec_lo
	v_cmpx_gt_u32_e32 8, v44
; %bb.223:                              ;   in Loop: Header=BB208_168 Depth=1
	s_delay_alu instid0(VALU_DEP_3) | instskip(NEXT) | instid1(VALU_DEP_1)
	v_clz_i32_u32_e32 v22, v13
	v_min_u32_e32 v22, 32, v22
	s_delay_alu instid0(VALU_DEP_1) | instskip(SKIP_1) | instid1(VALU_DEP_2)
	v_subrev_nc_u32_e32 v23, 28, v22
	v_sub_nc_u32_e32 v22, 29, v22
	v_lshlrev_b64 v[44:45], v23, v[13:14]
	s_delay_alu instid0(VALU_DEP_1)
	v_and_b32_e32 v13, 7, v44
; %bb.224:                              ;   in Loop: Header=BB208_168 Depth=1
	s_or_b32 exec_lo, exec_lo, s23
	v_lshlrev_b32_e32 v23, 24, v43
	s_delay_alu instid0(VALU_DEP_2) | instskip(SKIP_1) | instid1(VALU_DEP_3)
	v_lshlrev_b32_e32 v13, 20, v13
	v_lshl_add_u32 v22, v22, 23, 0x3c000000
	v_and_b32_e32 v23, 0x80000000, v23
	s_delay_alu instid0(VALU_DEP_1) | instskip(NEXT) | instid1(VALU_DEP_1)
	v_or3_b32 v13, v13, v23, v22
	v_dual_mov_b32 v23, v14 :: v_dual_mov_b32 v22, v13
.LBB208_225:                            ;   in Loop: Header=BB208_168 Depth=1
	s_or_b32 exec_lo, exec_lo, s22
.LBB208_226:                            ;   in Loop: Header=BB208_168 Depth=1
	s_delay_alu instid0(SALU_CYCLE_1)
	s_or_b32 exec_lo, exec_lo, s21
.LBB208_227:                            ;   in Loop: Header=BB208_168 Depth=1
	s_delay_alu instid0(SALU_CYCLE_1) | instskip(NEXT) | instid1(SALU_CYCLE_1)
	s_or_b32 exec_lo, exec_lo, s6
	s_mov_b32 s21, exec_lo
	v_cmpx_lt_u32_e32 0xffffff, v42
	s_cbranch_execz .LBB208_235
; %bb.228:                              ;   in Loop: Header=BB208_168 Depth=1
	v_lshrrev_b32_e32 v43, 24, v42
	v_dual_mov_b32 v25, s5 :: v_dual_mov_b32 v24, s4
	s_mov_b32 s22, exec_lo
	s_delay_alu instid0(VALU_DEP_2)
	v_cmpx_ne_u32_e32 0x80, v43
	s_cbranch_execz .LBB208_234
; %bb.229:                              ;   in Loop: Header=BB208_168 Depth=1
	s_mov_b32 s6, s4
	v_bfe_u32 v42, v42, 24, 7
	v_dual_mov_b32 v25, s7 :: v_dual_mov_b32 v24, s6
	s_mov_b32 s6, exec_lo
	s_delay_alu instid0(VALU_DEP_2)
	v_cmpx_ne_u32_e32 0x7f, v42
	s_cbranch_execz .LBB208_233
; %bb.230:                              ;   in Loop: Header=BB208_168 Depth=1
	v_and_b32_e32 v13, 7, v43
	v_lshrrev_b32_e32 v24, 3, v42
	s_mov_b32 s23, exec_lo
	v_cmpx_gt_u32_e32 8, v42
; %bb.231:                              ;   in Loop: Header=BB208_168 Depth=1
	s_delay_alu instid0(VALU_DEP_3) | instskip(NEXT) | instid1(VALU_DEP_1)
	v_clz_i32_u32_e32 v24, v13
	v_min_u32_e32 v24, 32, v24
	s_delay_alu instid0(VALU_DEP_1) | instskip(SKIP_1) | instid1(VALU_DEP_2)
	v_subrev_nc_u32_e32 v25, 28, v24
	v_sub_nc_u32_e32 v24, 29, v24
	v_lshlrev_b64 v[44:45], v25, v[13:14]
	s_delay_alu instid0(VALU_DEP_1)
	v_and_b32_e32 v13, 7, v44
; %bb.232:                              ;   in Loop: Header=BB208_168 Depth=1
	s_or_b32 exec_lo, exec_lo, s23
	v_lshlrev_b32_e32 v25, 24, v43
	s_delay_alu instid0(VALU_DEP_2) | instskip(SKIP_1) | instid1(VALU_DEP_3)
	v_lshlrev_b32_e32 v13, 20, v13
	v_lshl_add_u32 v24, v24, 23, 0x3c000000
	v_and_b32_e32 v25, 0x80000000, v25
	s_delay_alu instid0(VALU_DEP_1)
	v_or3_b32 v25, v13, v25, v24
	v_mov_b32_e32 v24, v14
.LBB208_233:                            ;   in Loop: Header=BB208_168 Depth=1
	s_or_b32 exec_lo, exec_lo, s6
.LBB208_234:                            ;   in Loop: Header=BB208_168 Depth=1
	s_delay_alu instid0(SALU_CYCLE_1)
	s_or_b32 exec_lo, exec_lo, s22
.LBB208_235:                            ;   in Loop: Header=BB208_168 Depth=1
	s_delay_alu instid0(SALU_CYCLE_1)
	s_or_b32 exec_lo, exec_lo, s21
	v_or_b32_e32 v13, v21, v19
	v_or_b32_e32 v18, v20, v18
	;; [unrolled: 1-line block ×4, first 2 shown]
	s_mov_b32 s21, s20
	s_delay_alu instid0(VALU_DEP_3) | instid1(SALU_CYCLE_1)
	v_dual_mul_f32 v45, s21, v13 :: v_dual_mul_f32 v44, s20, v18
	s_delay_alu instid0(VALU_DEP_2)
	v_dual_mul_f32 v42, s21, v19 :: v_dual_mul_f32 v43, s20, v20
	s_and_saveexec_b32 s6, vcc_lo
; %bb.236:                              ;   in Loop: Header=BB208_168 Depth=1
	v_cmp_gt_i32_e64 s0, s15, v38
	s_delay_alu instid0(VALU_DEP_1) | instskip(SKIP_1) | instid1(VALU_DEP_1)
	v_cndmask_b32_e64 v44, 0, v44, s0
	v_cmp_gt_i32_e64 s0, s15, v41
	v_cndmask_b32_e64 v45, 0, v45, s0
	v_cmp_gt_i32_e64 s0, s15, v40
	s_delay_alu instid0(VALU_DEP_1) | instskip(SKIP_1) | instid1(VALU_DEP_1)
	v_cndmask_b32_e64 v43, 0, v43, s0
	v_cmp_gt_i32_e64 s0, s15, v39
	v_cndmask_b32_e64 v42, 0, v42, s0
; %bb.237:                              ;   in Loop: Header=BB208_168 Depth=1
	s_or_b32 exec_lo, exec_lo, s6
	global_load_b32 v46, v[15:16], off offset:256
	v_mov_b32_e32 v20, 0
	v_mov_b32_e32 v21, 0
	s_delay_alu instid0(VALU_DEP_2) | instskip(SKIP_1) | instid1(VALU_DEP_2)
	v_mov_b32_e32 v18, v20
	s_mov_b32 s6, exec_lo
	v_mov_b32_e32 v19, v21
	s_waitcnt vmcnt(0)
	v_and_b32_e32 v13, 0xff, v46
	s_delay_alu instid0(VALU_DEP_1)
	v_cmpx_ne_u16_e32 0, v13
	s_cbranch_execz .LBB208_245
; %bb.238:                              ;   in Loop: Header=BB208_168 Depth=1
	v_bfrev_b32_e32 v18, 1
	v_mov_b32_e32 v19, 0
	s_mov_b32 s22, exec_lo
	v_cmpx_ne_u16_e32 0x80, v13
	s_cbranch_execz .LBB208_244
; %bb.239:                              ;   in Loop: Header=BB208_168 Depth=1
	v_mov_b32_e32 v18, 0x7f800001
	v_dual_mov_b32 v19, 0 :: v_dual_and_b32 v22, 0x7f, v46
	s_mov_b32 s23, exec_lo
	s_delay_alu instid0(VALU_DEP_1)
	v_cmpx_ne_u32_e32 0x7f, v22
	s_cbranch_execz .LBB208_243
; %bb.240:                              ;   in Loop: Header=BB208_168 Depth=1
	v_and_b32_e32 v13, 7, v46
	v_lshrrev_b32_e32 v18, 3, v22
	s_mov_b32 s26, exec_lo
	v_cmpx_gt_u32_e32 8, v22
; %bb.241:                              ;   in Loop: Header=BB208_168 Depth=1
	s_delay_alu instid0(VALU_DEP_3) | instskip(NEXT) | instid1(VALU_DEP_1)
	v_clz_i32_u32_e32 v18, v13
	v_min_u32_e32 v18, 32, v18
	s_delay_alu instid0(VALU_DEP_1) | instskip(SKIP_1) | instid1(VALU_DEP_2)
	v_subrev_nc_u32_e32 v19, 28, v18
	v_sub_nc_u32_e32 v18, 29, v18
	v_lshlrev_b64 v[22:23], v19, v[13:14]
	s_delay_alu instid0(VALU_DEP_1)
	v_and_b32_e32 v13, 7, v22
; %bb.242:                              ;   in Loop: Header=BB208_168 Depth=1
	s_or_b32 exec_lo, exec_lo, s26
	v_lshlrev_b32_e32 v19, 24, v46
	s_delay_alu instid0(VALU_DEP_2) | instskip(SKIP_1) | instid1(VALU_DEP_3)
	v_lshlrev_b32_e32 v13, 20, v13
	v_lshl_add_u32 v18, v18, 23, 0x3c000000
	v_and_b32_e32 v19, 0x80000000, v19
	s_delay_alu instid0(VALU_DEP_1) | instskip(NEXT) | instid1(VALU_DEP_1)
	v_or3_b32 v13, v13, v19, v18
	v_dual_mov_b32 v19, v14 :: v_dual_mov_b32 v18, v13
.LBB208_243:                            ;   in Loop: Header=BB208_168 Depth=1
	s_or_b32 exec_lo, exec_lo, s23
.LBB208_244:                            ;   in Loop: Header=BB208_168 Depth=1
	s_delay_alu instid0(SALU_CYCLE_1)
	s_or_b32 exec_lo, exec_lo, s22
.LBB208_245:                            ;   in Loop: Header=BB208_168 Depth=1
	s_delay_alu instid0(SALU_CYCLE_1) | instskip(SKIP_2) | instid1(VALU_DEP_1)
	s_or_b32 exec_lo, exec_lo, s6
	v_lshrrev_b16 v13, 8, v46
	s_mov_b32 s22, exec_lo
	v_cmpx_ne_u16_e32 0, v13
	s_cbranch_execz .LBB208_253
; %bb.246:                              ;   in Loop: Header=BB208_168 Depth=1
	v_dual_mov_b32 v21, s5 :: v_dual_mov_b32 v20, s4
	s_mov_b32 s23, exec_lo
	v_cmpx_ne_u16_e32 0x80, v13
	s_cbranch_execz .LBB208_252
; %bb.247:                              ;   in Loop: Header=BB208_168 Depth=1
	s_mov_b32 s6, s4
	v_and_b32_e32 v13, 0xffff, v13
	v_dual_mov_b32 v21, s7 :: v_dual_mov_b32 v20, s6
	s_mov_b32 s6, exec_lo
	s_delay_alu instid0(VALU_DEP_2) | instskip(NEXT) | instid1(VALU_DEP_1)
	v_and_b32_e32 v22, 0x7f, v13
	v_cmpx_ne_u32_e32 0x7f, v22
	s_cbranch_execz .LBB208_251
; %bb.248:                              ;   in Loop: Header=BB208_168 Depth=1
	v_and_b32_e32 v13, 7, v13
	v_lshrrev_b32_e32 v20, 3, v22
	s_mov_b32 s26, exec_lo
	v_cmpx_gt_u32_e32 8, v22
; %bb.249:                              ;   in Loop: Header=BB208_168 Depth=1
	s_delay_alu instid0(VALU_DEP_3) | instskip(NEXT) | instid1(VALU_DEP_1)
	v_clz_i32_u32_e32 v20, v13
	v_min_u32_e32 v20, 32, v20
	s_delay_alu instid0(VALU_DEP_1) | instskip(SKIP_1) | instid1(VALU_DEP_2)
	v_subrev_nc_u32_e32 v21, 28, v20
	v_sub_nc_u32_e32 v20, 29, v20
	v_lshlrev_b64 v[21:22], v21, v[13:14]
	s_delay_alu instid0(VALU_DEP_1)
	v_and_b32_e32 v13, 7, v21
; %bb.250:                              ;   in Loop: Header=BB208_168 Depth=1
	s_or_b32 exec_lo, exec_lo, s26
	v_lshlrev_b32_e32 v21, 16, v46
	s_delay_alu instid0(VALU_DEP_2) | instskip(SKIP_1) | instid1(VALU_DEP_3)
	v_lshlrev_b32_e32 v13, 20, v13
	v_lshl_add_u32 v20, v20, 23, 0x3c000000
	v_and_b32_e32 v21, 0x80000000, v21
	s_delay_alu instid0(VALU_DEP_1)
	v_or3_b32 v21, v13, v21, v20
	v_mov_b32_e32 v20, v14
.LBB208_251:                            ;   in Loop: Header=BB208_168 Depth=1
	s_or_b32 exec_lo, exec_lo, s6
.LBB208_252:                            ;   in Loop: Header=BB208_168 Depth=1
	s_delay_alu instid0(SALU_CYCLE_1)
	s_or_b32 exec_lo, exec_lo, s23
.LBB208_253:                            ;   in Loop: Header=BB208_168 Depth=1
	s_delay_alu instid0(SALU_CYCLE_1) | instskip(SKIP_3) | instid1(VALU_DEP_2)
	s_or_b32 exec_lo, exec_lo, s22
	v_lshrrev_b32_e32 v47, 16, v46
	v_mov_b32_e32 v24, 0
	v_mov_b32_e32 v25, 0
	;; [unrolled: 1-line block ×3, first 2 shown]
	s_mov_b32 s6, exec_lo
	v_and_b32_e32 v13, 0xff, v47
	s_delay_alu instid0(VALU_DEP_3) | instskip(NEXT) | instid1(VALU_DEP_2)
	v_mov_b32_e32 v23, v25
	v_cmpx_ne_u16_e32 0, v13
	s_cbranch_execz .LBB208_261
; %bb.254:                              ;   in Loop: Header=BB208_168 Depth=1
	v_bfrev_b32_e32 v22, 1
	v_mov_b32_e32 v23, 0
	s_mov_b32 s22, exec_lo
	v_cmpx_ne_u16_e32 0x80, v13
	s_cbranch_execz .LBB208_260
; %bb.255:                              ;   in Loop: Header=BB208_168 Depth=1
	v_mov_b32_e32 v22, 0x7f800001
	v_bfe_u32 v48, v46, 16, 7
	v_mov_b32_e32 v23, 0
	s_mov_b32 s23, exec_lo
	s_delay_alu instid0(VALU_DEP_2)
	v_cmpx_ne_u32_e32 0x7f, v48
	s_cbranch_execz .LBB208_259
; %bb.256:                              ;   in Loop: Header=BB208_168 Depth=1
	v_and_b32_e32 v13, 7, v47
	v_lshrrev_b32_e32 v22, 3, v48
	s_mov_b32 s26, exec_lo
	v_cmpx_gt_u32_e32 8, v48
; %bb.257:                              ;   in Loop: Header=BB208_168 Depth=1
	s_delay_alu instid0(VALU_DEP_3) | instskip(NEXT) | instid1(VALU_DEP_1)
	v_clz_i32_u32_e32 v22, v13
	v_min_u32_e32 v22, 32, v22
	s_delay_alu instid0(VALU_DEP_1) | instskip(SKIP_1) | instid1(VALU_DEP_2)
	v_subrev_nc_u32_e32 v23, 28, v22
	v_sub_nc_u32_e32 v22, 29, v22
	v_lshlrev_b64 v[48:49], v23, v[13:14]
	s_delay_alu instid0(VALU_DEP_1)
	v_and_b32_e32 v13, 7, v48
; %bb.258:                              ;   in Loop: Header=BB208_168 Depth=1
	s_or_b32 exec_lo, exec_lo, s26
	v_lshlrev_b32_e32 v23, 24, v47
	s_delay_alu instid0(VALU_DEP_2) | instskip(SKIP_1) | instid1(VALU_DEP_3)
	v_lshlrev_b32_e32 v13, 20, v13
	v_lshl_add_u32 v22, v22, 23, 0x3c000000
	v_and_b32_e32 v23, 0x80000000, v23
	s_delay_alu instid0(VALU_DEP_1) | instskip(NEXT) | instid1(VALU_DEP_1)
	v_or3_b32 v13, v13, v23, v22
	v_dual_mov_b32 v23, v14 :: v_dual_mov_b32 v22, v13
.LBB208_259:                            ;   in Loop: Header=BB208_168 Depth=1
	s_or_b32 exec_lo, exec_lo, s23
.LBB208_260:                            ;   in Loop: Header=BB208_168 Depth=1
	s_delay_alu instid0(SALU_CYCLE_1)
	s_or_b32 exec_lo, exec_lo, s22
.LBB208_261:                            ;   in Loop: Header=BB208_168 Depth=1
	s_delay_alu instid0(SALU_CYCLE_1) | instskip(NEXT) | instid1(SALU_CYCLE_1)
	s_or_b32 exec_lo, exec_lo, s6
	s_mov_b32 s22, exec_lo
	v_cmpx_lt_u32_e32 0xffffff, v46
	s_cbranch_execz .LBB208_269
; %bb.262:                              ;   in Loop: Header=BB208_168 Depth=1
	v_lshrrev_b32_e32 v47, 24, v46
	v_dual_mov_b32 v25, s5 :: v_dual_mov_b32 v24, s4
	s_mov_b32 s23, exec_lo
	s_delay_alu instid0(VALU_DEP_2)
	v_cmpx_ne_u32_e32 0x80, v47
	s_cbranch_execz .LBB208_268
; %bb.263:                              ;   in Loop: Header=BB208_168 Depth=1
	s_mov_b32 s6, s4
	v_bfe_u32 v46, v46, 24, 7
	v_dual_mov_b32 v25, s7 :: v_dual_mov_b32 v24, s6
	s_mov_b32 s6, exec_lo
	s_delay_alu instid0(VALU_DEP_2)
	v_cmpx_ne_u32_e32 0x7f, v46
	s_cbranch_execz .LBB208_267
; %bb.264:                              ;   in Loop: Header=BB208_168 Depth=1
	v_and_b32_e32 v13, 7, v47
	v_lshrrev_b32_e32 v24, 3, v46
	s_mov_b32 s26, exec_lo
	v_cmpx_gt_u32_e32 8, v46
; %bb.265:                              ;   in Loop: Header=BB208_168 Depth=1
	s_delay_alu instid0(VALU_DEP_3) | instskip(NEXT) | instid1(VALU_DEP_1)
	v_clz_i32_u32_e32 v24, v13
	v_min_u32_e32 v24, 32, v24
	s_delay_alu instid0(VALU_DEP_1) | instskip(SKIP_1) | instid1(VALU_DEP_2)
	v_subrev_nc_u32_e32 v25, 28, v24
	v_sub_nc_u32_e32 v24, 29, v24
	v_lshlrev_b64 v[48:49], v25, v[13:14]
	s_delay_alu instid0(VALU_DEP_1)
	v_and_b32_e32 v13, 7, v48
; %bb.266:                              ;   in Loop: Header=BB208_168 Depth=1
	s_or_b32 exec_lo, exec_lo, s26
	v_lshlrev_b32_e32 v25, 24, v47
	s_delay_alu instid0(VALU_DEP_2) | instskip(SKIP_1) | instid1(VALU_DEP_3)
	v_lshlrev_b32_e32 v13, 20, v13
	v_lshl_add_u32 v24, v24, 23, 0x3c000000
	v_and_b32_e32 v25, 0x80000000, v25
	s_delay_alu instid0(VALU_DEP_1)
	v_or3_b32 v25, v13, v25, v24
	v_mov_b32_e32 v24, v14
.LBB208_267:                            ;   in Loop: Header=BB208_168 Depth=1
	s_or_b32 exec_lo, exec_lo, s6
.LBB208_268:                            ;   in Loop: Header=BB208_168 Depth=1
	s_delay_alu instid0(SALU_CYCLE_1)
	s_or_b32 exec_lo, exec_lo, s23
.LBB208_269:                            ;   in Loop: Header=BB208_168 Depth=1
	s_delay_alu instid0(SALU_CYCLE_1) | instskip(SKIP_4) | instid1(VALU_DEP_3)
	s_or_b32 exec_lo, exec_lo, s22
	v_or_b32_e32 v13, v21, v19
	v_or_b32_e32 v18, v20, v18
	;; [unrolled: 1-line block ×4, first 2 shown]
	v_dual_mul_f32 v47, s21, v13 :: v_dual_mul_f32 v46, s20, v18
	s_delay_alu instid0(VALU_DEP_2)
	v_dual_mul_f32 v24, s21, v19 :: v_dual_mul_f32 v25, s20, v20
	s_and_saveexec_b32 s6, vcc_lo
; %bb.270:                              ;   in Loop: Header=BB208_168 Depth=1
	v_cmp_gt_i32_e64 s0, s15, v38
	s_delay_alu instid0(VALU_DEP_1) | instskip(SKIP_1) | instid1(VALU_DEP_1)
	v_cndmask_b32_e64 v46, 0, v46, s0
	v_cmp_gt_i32_e64 s0, s15, v41
	v_cndmask_b32_e64 v47, 0, v47, s0
	v_cmp_gt_i32_e64 s0, s15, v40
	s_delay_alu instid0(VALU_DEP_1) | instskip(SKIP_1) | instid1(VALU_DEP_1)
	v_cndmask_b32_e64 v25, 0, v25, s0
	v_cmp_gt_i32_e64 s0, s15, v39
	v_cndmask_b32_e64 v24, 0, v24, s0
; %bb.271:                              ;   in Loop: Header=BB208_168 Depth=1
	s_or_b32 exec_lo, exec_lo, s6
	global_load_b32 v48, v[15:16], off offset:384
	v_mov_b32_e32 v18, 0
	v_mov_b32_e32 v19, 0
	s_delay_alu instid0(VALU_DEP_2) | instskip(SKIP_2) | instid1(VALU_DEP_2)
	v_mov_b32_e32 v15, v18
	s_mov_b32 s6, exec_lo
	s_waitcnt vmcnt(0)
	v_dual_mov_b32 v16, v19 :: v_dual_and_b32 v13, 0xff, v48
	s_delay_alu instid0(VALU_DEP_1)
	v_cmpx_ne_u16_e32 0, v13
	s_cbranch_execz .LBB208_279
; %bb.272:                              ;   in Loop: Header=BB208_168 Depth=1
	v_bfrev_b32_e32 v15, 1
	v_mov_b32_e32 v16, 0
	s_mov_b32 s22, exec_lo
	v_cmpx_ne_u16_e32 0x80, v13
	s_cbranch_execz .LBB208_278
; %bb.273:                              ;   in Loop: Header=BB208_168 Depth=1
	v_mov_b32_e32 v15, 0x7f800001
	v_and_b32_e32 v20, 0x7f, v48
	v_mov_b32_e32 v16, 0
	s_mov_b32 s23, exec_lo
	s_delay_alu instid0(VALU_DEP_2)
	v_cmpx_ne_u32_e32 0x7f, v20
	s_cbranch_execz .LBB208_277
; %bb.274:                              ;   in Loop: Header=BB208_168 Depth=1
	v_and_b32_e32 v13, 7, v48
	v_lshrrev_b32_e32 v15, 3, v20
	s_mov_b32 s26, exec_lo
	v_cmpx_gt_u32_e32 8, v20
; %bb.275:                              ;   in Loop: Header=BB208_168 Depth=1
	s_delay_alu instid0(VALU_DEP_3) | instskip(NEXT) | instid1(VALU_DEP_1)
	v_clz_i32_u32_e32 v15, v13
	v_min_u32_e32 v15, 32, v15
	s_delay_alu instid0(VALU_DEP_1) | instskip(SKIP_1) | instid1(VALU_DEP_2)
	v_subrev_nc_u32_e32 v16, 28, v15
	v_sub_nc_u32_e32 v15, 29, v15
	v_lshlrev_b64 v[20:21], v16, v[13:14]
	s_delay_alu instid0(VALU_DEP_1)
	v_and_b32_e32 v13, 7, v20
; %bb.276:                              ;   in Loop: Header=BB208_168 Depth=1
	s_or_b32 exec_lo, exec_lo, s26
	v_lshlrev_b32_e32 v16, 24, v48
	s_delay_alu instid0(VALU_DEP_2) | instskip(SKIP_1) | instid1(VALU_DEP_3)
	v_lshlrev_b32_e32 v13, 20, v13
	v_lshl_add_u32 v15, v15, 23, 0x3c000000
	v_and_b32_e32 v16, 0x80000000, v16
	s_delay_alu instid0(VALU_DEP_1) | instskip(NEXT) | instid1(VALU_DEP_1)
	v_or3_b32 v13, v13, v16, v15
	v_dual_mov_b32 v16, v14 :: v_dual_mov_b32 v15, v13
.LBB208_277:                            ;   in Loop: Header=BB208_168 Depth=1
	s_or_b32 exec_lo, exec_lo, s23
.LBB208_278:                            ;   in Loop: Header=BB208_168 Depth=1
	s_delay_alu instid0(SALU_CYCLE_1)
	s_or_b32 exec_lo, exec_lo, s22
.LBB208_279:                            ;   in Loop: Header=BB208_168 Depth=1
	s_delay_alu instid0(SALU_CYCLE_1) | instskip(SKIP_2) | instid1(VALU_DEP_1)
	s_or_b32 exec_lo, exec_lo, s6
	v_lshrrev_b16 v13, 8, v48
	s_mov_b32 s22, exec_lo
	v_cmpx_ne_u16_e32 0, v13
	s_cbranch_execz .LBB208_287
; %bb.280:                              ;   in Loop: Header=BB208_168 Depth=1
	v_dual_mov_b32 v19, s5 :: v_dual_mov_b32 v18, s4
	s_mov_b32 s23, exec_lo
	v_cmpx_ne_u16_e32 0x80, v13
	s_cbranch_execz .LBB208_286
; %bb.281:                              ;   in Loop: Header=BB208_168 Depth=1
	s_mov_b32 s6, s4
	v_and_b32_e32 v13, 0xffff, v13
	v_dual_mov_b32 v19, s7 :: v_dual_mov_b32 v18, s6
	s_mov_b32 s6, exec_lo
	s_delay_alu instid0(VALU_DEP_2) | instskip(NEXT) | instid1(VALU_DEP_1)
	v_and_b32_e32 v20, 0x7f, v13
	v_cmpx_ne_u32_e32 0x7f, v20
	s_cbranch_execz .LBB208_285
; %bb.282:                              ;   in Loop: Header=BB208_168 Depth=1
	v_and_b32_e32 v13, 7, v13
	v_lshrrev_b32_e32 v18, 3, v20
	s_mov_b32 s26, exec_lo
	v_cmpx_gt_u32_e32 8, v20
; %bb.283:                              ;   in Loop: Header=BB208_168 Depth=1
	s_delay_alu instid0(VALU_DEP_3) | instskip(NEXT) | instid1(VALU_DEP_1)
	v_clz_i32_u32_e32 v18, v13
	v_min_u32_e32 v18, 32, v18
	s_delay_alu instid0(VALU_DEP_1) | instskip(SKIP_1) | instid1(VALU_DEP_2)
	v_subrev_nc_u32_e32 v19, 28, v18
	v_sub_nc_u32_e32 v18, 29, v18
	v_lshlrev_b64 v[19:20], v19, v[13:14]
	s_delay_alu instid0(VALU_DEP_1)
	v_and_b32_e32 v13, 7, v19
; %bb.284:                              ;   in Loop: Header=BB208_168 Depth=1
	s_or_b32 exec_lo, exec_lo, s26
	v_lshlrev_b32_e32 v19, 16, v48
	s_delay_alu instid0(VALU_DEP_2) | instskip(SKIP_1) | instid1(VALU_DEP_3)
	v_lshlrev_b32_e32 v13, 20, v13
	v_lshl_add_u32 v18, v18, 23, 0x3c000000
	v_and_b32_e32 v19, 0x80000000, v19
	s_delay_alu instid0(VALU_DEP_1)
	v_or3_b32 v19, v13, v19, v18
	v_mov_b32_e32 v18, v14
.LBB208_285:                            ;   in Loop: Header=BB208_168 Depth=1
	s_or_b32 exec_lo, exec_lo, s6
.LBB208_286:                            ;   in Loop: Header=BB208_168 Depth=1
	s_delay_alu instid0(SALU_CYCLE_1)
	s_or_b32 exec_lo, exec_lo, s23
.LBB208_287:                            ;   in Loop: Header=BB208_168 Depth=1
	s_delay_alu instid0(SALU_CYCLE_1) | instskip(SKIP_3) | instid1(VALU_DEP_2)
	s_or_b32 exec_lo, exec_lo, s22
	v_lshrrev_b32_e32 v49, 16, v48
	v_mov_b32_e32 v22, 0
	v_mov_b32_e32 v23, 0
	;; [unrolled: 1-line block ×3, first 2 shown]
	s_mov_b32 s6, exec_lo
	v_and_b32_e32 v13, 0xff, v49
	s_delay_alu instid0(VALU_DEP_3) | instskip(NEXT) | instid1(VALU_DEP_2)
	v_mov_b32_e32 v21, v23
	v_cmpx_ne_u16_e32 0, v13
	s_cbranch_execz .LBB208_295
; %bb.288:                              ;   in Loop: Header=BB208_168 Depth=1
	v_bfrev_b32_e32 v20, 1
	v_mov_b32_e32 v21, 0
	s_mov_b32 s22, exec_lo
	v_cmpx_ne_u16_e32 0x80, v13
	s_cbranch_execz .LBB208_294
; %bb.289:                              ;   in Loop: Header=BB208_168 Depth=1
	v_mov_b32_e32 v20, 0x7f800001
	v_bfe_u32 v50, v48, 16, 7
	v_mov_b32_e32 v21, 0
	s_mov_b32 s23, exec_lo
	s_delay_alu instid0(VALU_DEP_2)
	v_cmpx_ne_u32_e32 0x7f, v50
	s_cbranch_execz .LBB208_293
; %bb.290:                              ;   in Loop: Header=BB208_168 Depth=1
	v_and_b32_e32 v13, 7, v49
	v_lshrrev_b32_e32 v20, 3, v50
	s_mov_b32 s26, exec_lo
	v_cmpx_gt_u32_e32 8, v50
; %bb.291:                              ;   in Loop: Header=BB208_168 Depth=1
	s_delay_alu instid0(VALU_DEP_3) | instskip(NEXT) | instid1(VALU_DEP_1)
	v_clz_i32_u32_e32 v20, v13
	v_min_u32_e32 v20, 32, v20
	s_delay_alu instid0(VALU_DEP_1) | instskip(SKIP_1) | instid1(VALU_DEP_2)
	v_subrev_nc_u32_e32 v21, 28, v20
	v_sub_nc_u32_e32 v20, 29, v20
	v_lshlrev_b64 v[50:51], v21, v[13:14]
	s_delay_alu instid0(VALU_DEP_1)
	v_and_b32_e32 v13, 7, v50
; %bb.292:                              ;   in Loop: Header=BB208_168 Depth=1
	s_or_b32 exec_lo, exec_lo, s26
	v_lshlrev_b32_e32 v21, 24, v49
	s_delay_alu instid0(VALU_DEP_2) | instskip(SKIP_1) | instid1(VALU_DEP_3)
	v_lshlrev_b32_e32 v13, 20, v13
	v_lshl_add_u32 v20, v20, 23, 0x3c000000
	v_and_b32_e32 v21, 0x80000000, v21
	s_delay_alu instid0(VALU_DEP_1) | instskip(NEXT) | instid1(VALU_DEP_1)
	v_or3_b32 v13, v13, v21, v20
	v_dual_mov_b32 v21, v14 :: v_dual_mov_b32 v20, v13
.LBB208_293:                            ;   in Loop: Header=BB208_168 Depth=1
	s_or_b32 exec_lo, exec_lo, s23
.LBB208_294:                            ;   in Loop: Header=BB208_168 Depth=1
	s_delay_alu instid0(SALU_CYCLE_1)
	s_or_b32 exec_lo, exec_lo, s22
.LBB208_295:                            ;   in Loop: Header=BB208_168 Depth=1
	s_delay_alu instid0(SALU_CYCLE_1) | instskip(NEXT) | instid1(SALU_CYCLE_1)
	s_or_b32 exec_lo, exec_lo, s6
	s_mov_b32 s22, exec_lo
	v_cmpx_lt_u32_e32 0xffffff, v48
	s_cbranch_execz .LBB208_303
; %bb.296:                              ;   in Loop: Header=BB208_168 Depth=1
	v_lshrrev_b32_e32 v49, 24, v48
	v_dual_mov_b32 v23, s5 :: v_dual_mov_b32 v22, s4
	s_mov_b32 s23, exec_lo
	s_delay_alu instid0(VALU_DEP_2)
	v_cmpx_ne_u32_e32 0x80, v49
	s_cbranch_execz .LBB208_302
; %bb.297:                              ;   in Loop: Header=BB208_168 Depth=1
	s_mov_b32 s6, s4
	v_bfe_u32 v48, v48, 24, 7
	v_dual_mov_b32 v23, s7 :: v_dual_mov_b32 v22, s6
	s_mov_b32 s6, exec_lo
	s_delay_alu instid0(VALU_DEP_2)
	v_cmpx_ne_u32_e32 0x7f, v48
	s_cbranch_execz .LBB208_301
; %bb.298:                              ;   in Loop: Header=BB208_168 Depth=1
	v_and_b32_e32 v13, 7, v49
	v_lshrrev_b32_e32 v22, 3, v48
	s_mov_b32 s26, exec_lo
	v_cmpx_gt_u32_e32 8, v48
; %bb.299:                              ;   in Loop: Header=BB208_168 Depth=1
	s_delay_alu instid0(VALU_DEP_3) | instskip(NEXT) | instid1(VALU_DEP_1)
	v_clz_i32_u32_e32 v22, v13
	v_min_u32_e32 v22, 32, v22
	s_delay_alu instid0(VALU_DEP_1) | instskip(SKIP_1) | instid1(VALU_DEP_2)
	v_subrev_nc_u32_e32 v23, 28, v22
	v_sub_nc_u32_e32 v22, 29, v22
	v_lshlrev_b64 v[50:51], v23, v[13:14]
	s_delay_alu instid0(VALU_DEP_1)
	v_and_b32_e32 v13, 7, v50
; %bb.300:                              ;   in Loop: Header=BB208_168 Depth=1
	s_or_b32 exec_lo, exec_lo, s26
	v_lshlrev_b32_e32 v23, 24, v49
	s_delay_alu instid0(VALU_DEP_2) | instskip(SKIP_1) | instid1(VALU_DEP_3)
	v_lshlrev_b32_e32 v13, 20, v13
	v_lshl_add_u32 v22, v22, 23, 0x3c000000
	v_and_b32_e32 v23, 0x80000000, v23
	s_delay_alu instid0(VALU_DEP_1)
	v_or3_b32 v23, v13, v23, v22
	v_mov_b32_e32 v22, v14
.LBB208_301:                            ;   in Loop: Header=BB208_168 Depth=1
	s_or_b32 exec_lo, exec_lo, s6
.LBB208_302:                            ;   in Loop: Header=BB208_168 Depth=1
	s_delay_alu instid0(SALU_CYCLE_1)
	s_or_b32 exec_lo, exec_lo, s23
.LBB208_303:                            ;   in Loop: Header=BB208_168 Depth=1
	s_delay_alu instid0(SALU_CYCLE_1) | instskip(SKIP_4) | instid1(VALU_DEP_4)
	s_or_b32 exec_lo, exec_lo, s22
	v_or_b32_e32 v13, v19, v16
	v_or_b32_e32 v15, v18, v15
	;; [unrolled: 1-line block ×4, first 2 shown]
	v_mul_f32_e32 v18, s21, v13
	s_delay_alu instid0(VALU_DEP_4) | instskip(NEXT) | instid1(VALU_DEP_4)
	v_mul_f32_e32 v16, s20, v15
	v_mul_f32_e32 v13, s21, v19
	s_delay_alu instid0(VALU_DEP_4)
	v_mul_f32_e32 v15, s20, v20
	s_and_saveexec_b32 s0, vcc_lo
	s_cbranch_execz .LBB208_166
; %bb.304:                              ;   in Loop: Header=BB208_168 Depth=1
	v_cmp_gt_i32_e32 vcc_lo, s15, v38
	v_cndmask_b32_e32 v16, 0, v16, vcc_lo
	v_cmp_gt_i32_e32 vcc_lo, s15, v41
	v_cndmask_b32_e32 v18, 0, v18, vcc_lo
	;; [unrolled: 2-line block ×4, first 2 shown]
	s_branch .LBB208_166
.LBB208_305:
	s_or_b32 exec_lo, exec_lo, s17
.LBB208_306:
	s_delay_alu instid0(SALU_CYCLE_1)
	s_or_b32 exec_lo, exec_lo, s1
	ds_bpermute_b32 v5, v27, v1
	ds_bpermute_b32 v9, v27, v2
	;; [unrolled: 1-line block ×4, first 2 shown]
	v_lshrrev_b32_e32 v7, 1, v26
	v_lshl_add_u32 v8, v29, 8, 0x120
	v_and_b32_e32 v12, 0x3c1, v0
	s_mov_b32 s0, exec_lo
	s_waitcnt lgkmcnt(0)
	s_waitcnt_vscnt null, 0x0
	s_barrier
	buffer_gl0_inv
	v_add_f32_e32 v6, v1, v5
	v_dual_add_f32 v5, v2, v9 :: v_dual_add_f32 v2, v3, v10
	v_add_f32_e32 v1, v4, v11
	v_cmpx_eq_u32_e32 64, v12
	s_cbranch_execz .LBB208_308
; %bb.307:
	v_lshlrev_b32_e32 v3, 2, v7
	s_delay_alu instid0(VALU_DEP_1)
	v_add3_u32 v3, v8, v3, 0xfffffe00
	ds_store_2addr_b32 v3, v6, v5 offset1:16
	ds_store_2addr_b32 v3, v2, v1 offset0:32 offset1:48
.LBB208_308:
	s_or_b32 exec_lo, exec_lo, s0
	v_cmp_eq_u32_e32 vcc_lo, 0, v28
	s_waitcnt lgkmcnt(0)
	s_barrier
	buffer_gl0_inv
	s_and_saveexec_b32 s0, s2
	s_cbranch_execz .LBB208_315
; %bb.309:
	s_and_saveexec_b32 s1, vcc_lo
	s_cbranch_execnz .LBB208_327
; %bb.310:
	s_or_b32 exec_lo, exec_lo, s1
	s_and_saveexec_b32 s1, vcc_lo
	s_cbranch_execnz .LBB208_328
.LBB208_311:
	s_or_b32 exec_lo, exec_lo, s1
	s_and_saveexec_b32 s1, vcc_lo
	s_cbranch_execnz .LBB208_329
.LBB208_312:
	s_or_b32 exec_lo, exec_lo, s1
	s_and_saveexec_b32 s1, vcc_lo
	s_cbranch_execz .LBB208_314
.LBB208_313:
	v_lshl_add_u32 v3, v7, 2, v8
	ds_load_b32 v3, v3 offset:192
	s_waitcnt lgkmcnt(0)
	v_add_f32_e32 v1, v1, v3
.LBB208_314:
	s_or_b32 exec_lo, exec_lo, s1
.LBB208_315:
	s_delay_alu instid0(SALU_CYCLE_1)
	s_or_b32 exec_lo, exec_lo, s0
	v_and_b32_e32 v3, 0x3e1, v0
	s_mov_b32 s1, exec_lo
	s_barrier
	buffer_gl0_inv
	v_cmpx_eq_u32_e32 32, v3
	s_cbranch_execz .LBB208_317
; %bb.316:
	v_lshl_add_u32 v4, v7, 2, 0x120
	ds_store_2addr_b32 v4, v6, v5 offset1:16
	ds_store_2addr_b32 v4, v2, v1 offset0:32 offset1:48
.LBB208_317:
	s_or_b32 exec_lo, exec_lo, s1
	s_delay_alu instid0(SALU_CYCLE_1)
	s_mov_b32 s1, exec_lo
	s_waitcnt lgkmcnt(0)
	s_barrier
	buffer_gl0_inv
	v_cmpx_gt_u32_e32 32, v0
	s_cbranch_execz .LBB208_324
; %bb.318:
	v_lshl_add_u32 v4, v7, 2, v8
	s_and_saveexec_b32 s0, vcc_lo
	s_cbranch_execnz .LBB208_330
; %bb.319:
	s_or_b32 exec_lo, exec_lo, s0
	s_and_saveexec_b32 s0, vcc_lo
	s_cbranch_execnz .LBB208_331
.LBB208_320:
	s_or_b32 exec_lo, exec_lo, s0
	s_and_saveexec_b32 s0, vcc_lo
	s_cbranch_execnz .LBB208_332
.LBB208_321:
	s_or_b32 exec_lo, exec_lo, s0
	s_and_saveexec_b32 s0, vcc_lo
	s_cbranch_execz .LBB208_323
.LBB208_322:
	ds_load_b32 v4, v4 offset:192
	s_waitcnt lgkmcnt(0)
	v_add_f32_e32 v1, v1, v4
.LBB208_323:
	s_or_b32 exec_lo, exec_lo, s0
.LBB208_324:
	s_delay_alu instid0(SALU_CYCLE_1)
	s_or_b32 exec_lo, exec_lo, s1
	s_barrier
	buffer_gl0_inv
	s_mov_b32 s0, exec_lo
	v_cmpx_eq_u32_e32 0, v3
	s_cbranch_execz .LBB208_326
; %bb.325:
	s_lshl_b32 s0, s8, 6
	s_mul_i32 s2, s13, s12
	s_ashr_i32 s1, s0, 31
	v_lshlrev_b32_e32 v0, 1, v0
	s_lshl_b64 s[0:1], s[0:1], 2
	s_delay_alu instid0(SALU_CYCLE_1) | instskip(SKIP_2) | instid1(SALU_CYCLE_1)
	s_add_u32 s4, s24, s0
	s_addc_u32 s5, s25, s1
	s_ashr_i32 s3, s2, 31
	s_lshl_b64 s[0:1], s[2:3], 2
	s_delay_alu instid0(SALU_CYCLE_1) | instskip(SKIP_2) | instid1(SALU_CYCLE_1)
	s_add_u32 s2, s4, s0
	s_addc_u32 s3, s5, s1
	s_ashr_i32 s17, s16, 31
	s_lshl_b64 s[0:1], s[16:17], 2
	s_delay_alu instid0(SALU_CYCLE_1)
	s_add_u32 s0, s2, s0
	s_addc_u32 s1, s3, s1
	s_clause 0x3
	global_store_b32 v0, v6, s[0:1]
	global_store_b32 v0, v5, s[0:1] offset:64
	global_store_b32 v0, v2, s[0:1] offset:128
	;; [unrolled: 1-line block ×3, first 2 shown]
.LBB208_326:
	s_nop 0
	s_sendmsg sendmsg(MSG_DEALLOC_VGPRS)
	s_endpgm
.LBB208_327:
	v_lshl_add_u32 v3, v7, 2, v8
	ds_load_b32 v3, v3
	s_waitcnt lgkmcnt(0)
	v_add_f32_e32 v6, v6, v3
	s_or_b32 exec_lo, exec_lo, s1
	s_and_saveexec_b32 s1, vcc_lo
	s_cbranch_execz .LBB208_311
.LBB208_328:
	v_lshl_add_u32 v3, v7, 2, v8
	ds_load_b32 v3, v3 offset:64
	s_waitcnt lgkmcnt(0)
	v_add_f32_e32 v5, v5, v3
	s_or_b32 exec_lo, exec_lo, s1
	s_and_saveexec_b32 s1, vcc_lo
	s_cbranch_execz .LBB208_312
.LBB208_329:
	v_lshl_add_u32 v3, v7, 2, v8
	ds_load_b32 v3, v3 offset:128
	s_waitcnt lgkmcnt(0)
	v_add_f32_e32 v2, v2, v3
	s_or_b32 exec_lo, exec_lo, s1
	s_and_saveexec_b32 s1, vcc_lo
	s_cbranch_execnz .LBB208_313
	s_branch .LBB208_314
.LBB208_330:
	ds_load_b32 v7, v4
	s_waitcnt lgkmcnt(0)
	v_add_f32_e32 v6, v6, v7
	s_or_b32 exec_lo, exec_lo, s0
	s_and_saveexec_b32 s0, vcc_lo
	s_cbranch_execz .LBB208_320
.LBB208_331:
	ds_load_b32 v7, v4 offset:64
	s_waitcnt lgkmcnt(0)
	v_add_f32_e32 v5, v5, v7
	s_or_b32 exec_lo, exec_lo, s0
	s_and_saveexec_b32 s0, vcc_lo
	s_cbranch_execz .LBB208_321
.LBB208_332:
	ds_load_b32 v7, v4 offset:128
	s_waitcnt lgkmcnt(0)
	v_add_f32_e32 v2, v2, v7
	s_or_b32 exec_lo, exec_lo, s0
	s_and_saveexec_b32 s0, vcc_lo
	s_cbranch_execnz .LBB208_322
	s_branch .LBB208_323
	.section	.rodata,"a",@progbits
	.p2align	6, 0x0
	.amdhsa_kernel _ZN4vllm25paged_attention_v2_kernelIfhLi64ELi8ELi128ELNS_18Fp8KVCacheDataTypeE1ELb1ELi512EEEvPfS2_PT_PKS3_PKT0_S9_ifPKiSB_iPKfiiiSD_SD_iiiii
		.amdhsa_group_segment_fixed_size 288
		.amdhsa_private_segment_fixed_size 0
		.amdhsa_kernarg_size 400
		.amdhsa_user_sgpr_count 13
		.amdhsa_user_sgpr_dispatch_ptr 0
		.amdhsa_user_sgpr_queue_ptr 0
		.amdhsa_user_sgpr_kernarg_segment_ptr 1
		.amdhsa_user_sgpr_dispatch_id 0
		.amdhsa_user_sgpr_private_segment_size 0
		.amdhsa_wavefront_size32 1
		.amdhsa_uses_dynamic_stack 0
		.amdhsa_enable_private_segment 0
		.amdhsa_system_sgpr_workgroup_id_x 1
		.amdhsa_system_sgpr_workgroup_id_y 1
		.amdhsa_system_sgpr_workgroup_id_z 1
		.amdhsa_system_sgpr_workgroup_info 0
		.amdhsa_system_vgpr_workitem_id 0
		.amdhsa_next_free_vgpr 60
		.amdhsa_next_free_sgpr 54
		.amdhsa_reserve_vcc 1
		.amdhsa_float_round_mode_32 0
		.amdhsa_float_round_mode_16_64 0
		.amdhsa_float_denorm_mode_32 3
		.amdhsa_float_denorm_mode_16_64 3
		.amdhsa_dx10_clamp 1
		.amdhsa_ieee_mode 1
		.amdhsa_fp16_overflow 0
		.amdhsa_workgroup_processor_mode 1
		.amdhsa_memory_ordered 1
		.amdhsa_forward_progress 0
		.amdhsa_shared_vgpr_count 0
		.amdhsa_exception_fp_ieee_invalid_op 0
		.amdhsa_exception_fp_denorm_src 0
		.amdhsa_exception_fp_ieee_div_zero 0
		.amdhsa_exception_fp_ieee_overflow 0
		.amdhsa_exception_fp_ieee_underflow 0
		.amdhsa_exception_fp_ieee_inexact 0
		.amdhsa_exception_int_div_zero 0
	.end_amdhsa_kernel
	.section	.text._ZN4vllm25paged_attention_v2_kernelIfhLi64ELi8ELi128ELNS_18Fp8KVCacheDataTypeE1ELb1ELi512EEEvPfS2_PT_PKS3_PKT0_S9_ifPKiSB_iPKfiiiSD_SD_iiiii,"axG",@progbits,_ZN4vllm25paged_attention_v2_kernelIfhLi64ELi8ELi128ELNS_18Fp8KVCacheDataTypeE1ELb1ELi512EEEvPfS2_PT_PKS3_PKT0_S9_ifPKiSB_iPKfiiiSD_SD_iiiii,comdat
.Lfunc_end208:
	.size	_ZN4vllm25paged_attention_v2_kernelIfhLi64ELi8ELi128ELNS_18Fp8KVCacheDataTypeE1ELb1ELi512EEEvPfS2_PT_PKS3_PKT0_S9_ifPKiSB_iPKfiiiSD_SD_iiiii, .Lfunc_end208-_ZN4vllm25paged_attention_v2_kernelIfhLi64ELi8ELi128ELNS_18Fp8KVCacheDataTypeE1ELb1ELi512EEEvPfS2_PT_PKS3_PKT0_S9_ifPKiSB_iPKfiiiSD_SD_iiiii
                                        ; -- End function
	.section	.AMDGPU.csdata,"",@progbits
; Kernel info:
; codeLenInByte = 12200
; NumSgprs: 56
; NumVgprs: 60
; ScratchSize: 0
; MemoryBound: 0
; FloatMode: 240
; IeeeMode: 1
; LDSByteSize: 288 bytes/workgroup (compile time only)
; SGPRBlocks: 6
; VGPRBlocks: 7
; NumSGPRsForWavesPerEU: 56
; NumVGPRsForWavesPerEU: 60
; Occupancy: 16
; WaveLimiterHint : 1
; COMPUTE_PGM_RSRC2:SCRATCH_EN: 0
; COMPUTE_PGM_RSRC2:USER_SGPR: 13
; COMPUTE_PGM_RSRC2:TRAP_HANDLER: 0
; COMPUTE_PGM_RSRC2:TGID_X_EN: 1
; COMPUTE_PGM_RSRC2:TGID_Y_EN: 1
; COMPUTE_PGM_RSRC2:TGID_Z_EN: 1
; COMPUTE_PGM_RSRC2:TIDIG_COMP_CNT: 0
	.section	.text._ZN4vllm25paged_attention_v2_kernelIfhLi80ELi8ELi128ELNS_18Fp8KVCacheDataTypeE1ELb1ELi512EEEvPfS2_PT_PKS3_PKT0_S9_ifPKiSB_iPKfiiiSD_SD_iiiii,"axG",@progbits,_ZN4vllm25paged_attention_v2_kernelIfhLi80ELi8ELi128ELNS_18Fp8KVCacheDataTypeE1ELb1ELi512EEEvPfS2_PT_PKS3_PKT0_S9_ifPKiSB_iPKfiiiSD_SD_iiiii,comdat
	.protected	_ZN4vllm25paged_attention_v2_kernelIfhLi80ELi8ELi128ELNS_18Fp8KVCacheDataTypeE1ELb1ELi512EEEvPfS2_PT_PKS3_PKT0_S9_ifPKiSB_iPKfiiiSD_SD_iiiii ; -- Begin function _ZN4vllm25paged_attention_v2_kernelIfhLi80ELi8ELi128ELNS_18Fp8KVCacheDataTypeE1ELb1ELi512EEEvPfS2_PT_PKS3_PKT0_S9_ifPKiSB_iPKfiiiSD_SD_iiiii
	.globl	_ZN4vllm25paged_attention_v2_kernelIfhLi80ELi8ELi128ELNS_18Fp8KVCacheDataTypeE1ELb1ELi512EEEvPfS2_PT_PKS3_PKT0_S9_ifPKiSB_iPKfiiiSD_SD_iiiii
	.p2align	8
	.type	_ZN4vllm25paged_attention_v2_kernelIfhLi80ELi8ELi128ELNS_18Fp8KVCacheDataTypeE1ELb1ELi512EEEvPfS2_PT_PKS3_PKT0_S9_ifPKiSB_iPKfiiiSD_SD_iiiii,@function
_ZN4vllm25paged_attention_v2_kernelIfhLi80ELi8ELi128ELNS_18Fp8KVCacheDataTypeE1ELb1ELi512EEEvPfS2_PT_PKS3_PKT0_S9_ifPKiSB_iPKfiiiSD_SD_iiiii: ; @_ZN4vllm25paged_attention_v2_kernelIfhLi80ELi8ELi128ELNS_18Fp8KVCacheDataTypeE1ELb1ELi512EEEvPfS2_PT_PKS3_PKT0_S9_ifPKiSB_iPKfiiiSD_SD_iiiii
; %bb.0:
	s_load_b64 s[2:3], s[0:1], 0x40
	s_mov_b32 s12, s15
	s_ashr_i32 s15, s14, 31
	s_delay_alu instid0(SALU_CYCLE_1)
	s_lshl_b64 s[4:5], s[14:15], 2
	s_waitcnt lgkmcnt(0)
	s_add_u32 s2, s2, s4
	s_addc_u32 s3, s3, s5
	s_lshl_b32 s15, s12, 9
	s_load_b32 s33, s[2:3], 0x0
	s_waitcnt lgkmcnt(0)
	s_cmp_ge_i32 s15, s33
	s_cbranch_scc1 .LBB209_394
; %bb.1:
	s_mov_b32 s28, s13
	s_clause 0x1
	s_load_b32 s13, s[0:1], 0x90
	s_load_b64 s[38:39], s[0:1], 0x30
	s_mov_b32 s42, 0
	s_waitcnt lgkmcnt(0)
	s_abs_i32 s5, s13
	s_abs_i32 s2, s38
	s_delay_alu instid0(SALU_CYCLE_1) | instskip(SKIP_1) | instid1(VALU_DEP_1)
	v_cvt_f32_u32_e32 v1, s2
	s_sub_i32 s4, 0, s2
	v_rcp_iflag_f32_e32 v1, v1
	s_waitcnt_depctr 0xfff
	v_mul_f32_e32 v1, 0x4f7ffffe, v1
	s_delay_alu instid0(VALU_DEP_1) | instskip(NEXT) | instid1(VALU_DEP_1)
	v_cvt_u32_f32_e32 v1, v1
	v_readfirstlane_b32 s3, v1
	s_delay_alu instid0(VALU_DEP_1) | instskip(NEXT) | instid1(SALU_CYCLE_1)
	s_mul_i32 s4, s4, s3
	s_mul_hi_u32 s4, s3, s4
	s_delay_alu instid0(SALU_CYCLE_1) | instskip(SKIP_4) | instid1(SALU_CYCLE_1)
	s_add_i32 s3, s3, s4
	s_xor_b32 s4, s13, s38
	s_mul_hi_u32 s3, s5, s3
	s_ashr_i32 s4, s4, 31
	s_mul_i32 s6, s3, s2
	s_sub_i32 s5, s5, s6
	s_add_i32 s6, s3, 1
	s_sub_i32 s7, s5, s2
	s_cmp_ge_u32 s5, s2
	s_cselect_b32 s3, s6, s3
	s_cselect_b32 s5, s7, s5
	s_add_i32 s6, s3, 1
	s_cmp_ge_u32 s5, s2
	s_cselect_b32 s2, s6, s3
	s_abs_i32 s9, s28
	s_xor_b32 s2, s2, s4
	s_delay_alu instid0(SALU_CYCLE_1) | instskip(SKIP_2) | instid1(SALU_CYCLE_1)
	s_sub_i32 s11, s2, s4
	s_load_b64 s[2:3], s[0:1], 0x50
	s_abs_i32 s8, s11
	v_cvt_f32_u32_e32 v1, s8
	s_sub_i32 s5, 0, s8
	s_delay_alu instid0(VALU_DEP_1) | instskip(SKIP_2) | instid1(VALU_DEP_1)
	v_rcp_iflag_f32_e32 v1, v1
	s_waitcnt_depctr 0xfff
	v_mul_f32_e32 v1, 0x4f7ffffe, v1
	v_cvt_u32_f32_e32 v1, v1
	s_delay_alu instid0(VALU_DEP_1) | instskip(NEXT) | instid1(VALU_DEP_1)
	v_readfirstlane_b32 s4, v1
	s_mul_i32 s5, s5, s4
	s_delay_alu instid0(SALU_CYCLE_1) | instskip(NEXT) | instid1(SALU_CYCLE_1)
	s_mul_hi_u32 s5, s4, s5
	s_add_i32 s4, s4, s5
	s_waitcnt lgkmcnt(0)
	s_cmp_eq_u64 s[2:3], 0
	s_mul_hi_u32 s10, s9, s4
	s_cbranch_scc1 .LBB209_3
; %bb.2:
	s_ashr_i32 s29, s28, 31
	s_delay_alu instid0(SALU_CYCLE_1) | instskip(NEXT) | instid1(SALU_CYCLE_1)
	s_lshl_b64 s[4:5], s[28:29], 2
	s_add_u32 s2, s2, s4
	s_addc_u32 s3, s3, s5
	s_load_b32 s42, s[2:3], 0x0
.LBB209_3:
	s_load_b128 s[4:7], s[0:1], 0x58
	v_and_b32_e32 v36, 3, v0
	v_lshlrev_b32_e32 v35, 2, v0
	s_ashr_i32 s2, s28, 31
	s_ashr_i32 s3, s11, 31
	s_mul_i32 s24, s28, 0x50
	s_waitcnt lgkmcnt(0)
	s_mov_b32 s7, exec_lo
	v_cmpx_gt_u32_e32 0x50, v0
	s_cbranch_execz .LBB209_5
; %bb.4:
	s_load_b64 s[16:17], s[0:1], 0x18
	s_mul_i32 s18, s14, s4
	v_and_b32_e32 v2, 0x3fc, v0
	s_ashr_i32 s19, s18, 31
	s_delay_alu instid0(SALU_CYCLE_1) | instskip(NEXT) | instid1(VALU_DEP_1)
	s_lshl_b64 s[18:19], s[18:19], 2
	v_mad_u32_u24 v2, 0x50, v36, v2
	s_waitcnt lgkmcnt(0)
	s_add_u32 s4, s16, s18
	s_addc_u32 s11, s17, s19
	s_ashr_i32 s25, s24, 31
	s_delay_alu instid0(SALU_CYCLE_1) | instskip(NEXT) | instid1(SALU_CYCLE_1)
	s_lshl_b64 s[16:17], s[24:25], 2
	s_add_u32 s16, s4, s16
	s_addc_u32 s17, s11, s17
	global_load_b32 v1, v35, s[16:17]
	s_waitcnt vmcnt(0)
	ds_store_b32 v2, v1
.LBB209_5:
	s_or_b32 exec_lo, exec_lo, s7
	s_load_b128 s[16:19], s[0:1], 0x78
	s_mul_i32 s4, s10, s8
	s_xor_b32 s2, s2, s3
	s_sub_i32 s3, s9, s4
	s_add_i32 s4, s10, 1
	s_sub_i32 s7, s3, s8
	s_cmp_ge_u32 s3, s8
	s_mov_b32 s9, -1
	s_cselect_b32 s4, s4, s10
	s_cselect_b32 s3, s7, s3
	s_add_i32 s7, s4, 1
	s_cmp_ge_u32 s3, s8
	s_waitcnt lgkmcnt(0)
	s_cselect_b32 s3, s7, s4
	s_load_b32 s7, s[0:1], 0x88
	s_xor_b32 s3, s3, s2
	s_add_i32 s8, s33, -1
	s_sub_i32 s3, s3, s2
	s_abs_i32 s4, s8
	s_waitcnt lgkmcnt(0)
	s_barrier
	s_abs_i32 s25, s19
	buffer_gl0_inv
	v_cvt_f32_u32_e32 v1, s25
	s_sub_i32 s2, 0, s25
                                        ; implicit-def: $sgpr40
	s_delay_alu instid0(VALU_DEP_1) | instskip(SKIP_2) | instid1(VALU_DEP_1)
	v_rcp_iflag_f32_e32 v1, v1
	s_waitcnt_depctr 0xfff
	v_mul_f32_e32 v1, 0x4f7ffffe, v1
	v_cvt_u32_f32_e32 v1, v1
	s_delay_alu instid0(VALU_DEP_1) | instskip(NEXT) | instid1(VALU_DEP_1)
	v_readfirstlane_b32 s29, v1
	s_mul_i32 s2, s2, s29
	s_delay_alu instid0(SALU_CYCLE_1) | instskip(NEXT) | instid1(SALU_CYCLE_1)
	s_mul_hi_u32 s2, s29, s2
	s_add_i32 s29, s29, s2
	s_cmp_lt_i32 s7, 0
	s_mul_hi_u32 s2, s4, s29
	s_cbranch_scc0 .LBB209_7
; %bb.6:
	s_mul_i32 s9, s16, s38
	s_delay_alu instid0(SALU_CYCLE_1) | instskip(NEXT) | instid1(SALU_CYCLE_1)
	s_add_i32 s9, s3, s9
	s_mul_i32 s9, s9, s7
	s_delay_alu instid0(SALU_CYCLE_1)
	s_sub_i32 s40, 1, s9
	s_mov_b32 s9, 0
.LBB209_7:
	s_load_b64 s[30:31], s[0:1], 0x38
	s_ashr_i32 s34, s8, 31
	s_and_not1_b32 vcc_lo, exec_lo, s9
	s_ashr_i32 s19, s19, 31
	s_cbranch_vccnz .LBB209_9
; %bb.8:
	s_mul_i32 s8, s13, s16
	s_delay_alu instid0(SALU_CYCLE_1) | instskip(NEXT) | instid1(SALU_CYCLE_1)
	s_add_i32 s8, s8, s28
	s_mul_i32 s7, s8, s7
	s_delay_alu instid0(SALU_CYCLE_1)
	s_add_i32 s40, s7, 1
.LBB209_9:
	s_clause 0x5
	s_load_b32 s7, s[0:1], 0x48
	s_load_b64 s[36:37], s[0:1], 0x28
	s_load_b128 s[20:23], s[0:1], 0x0
	s_load_b64 s[26:27], s[0:1], 0x10
	s_load_b32 s16, s[0:1], 0x98
	s_load_b128 s[8:11], s[0:1], 0x68
	s_xor_b32 s43, s34, s19
	s_mul_i32 s34, s2, s25
	s_add_i32 s38, s2, 1
	s_sub_i32 s4, s4, s34
	v_lshrrev_b32_e32 v33, 5, v0
	v_mov_b32_e32 v38, 0xff7fffff
	v_mbcnt_lo_u32_b32 v37, -1, 0
	s_mul_i32 s6, s3, s6
	s_delay_alu instid0(VALU_DEP_3)
	v_lshl_add_u32 v34, v33, 3, s15
	s_waitcnt lgkmcnt(0)
	s_mul_i32 s34, s14, s7
	s_sub_i32 s7, s4, s25
	s_ashr_i32 s35, s34, 31
	s_cmp_ge_u32 s4, s25
	s_cselect_b32 s2, s38, s2
	s_cselect_b32 s4, s7, s4
	s_add_i32 s7, s2, 1
	s_cmp_ge_u32 s4, s25
	s_cselect_b32 s2, s7, s2
	s_add_i32 s7, s33, 7
	s_lshl_b32 s4, s12, 6
	s_ashr_i32 s38, s7, 31
	v_or_b32_e32 v21, s4, v33
	s_lshr_b32 s38, s38, 29
	s_delay_alu instid0(SALU_CYCLE_1)
	s_add_i32 s7, s7, s38
	s_add_i32 s38, s4, 64
	s_ashr_i32 s41, s7, 3
	s_xor_b32 s7, s2, s43
	s_min_i32 s38, s38, s41
	v_ashrrev_i32_e32 v22, 31, v21
	v_cmp_gt_i32_e64 s2, s38, v21
	s_sub_i32 s7, s7, s43
	s_delay_alu instid0(VALU_DEP_1)
	s_and_saveexec_b32 s43, s2
	s_cbranch_execz .LBB209_179
; %bb.10:
	s_load_b64 s[0:1], s[0:1], 0x20
	s_sub_i32 s44, s7, s17
	s_ashr_i32 s3, s6, 31
	v_bfe_u32 v39, v0, 2, 3
	v_mov_b32_e32 v42, 0xff7fffff
	v_cmp_eq_u32_e32 vcc_lo, 0, v36
	v_mul_u32_u24_e32 v40, 0x50, v36
	v_lshl_add_u32 v41, v33, 3, s15
	v_lshlrev_b32_e32 v7, 4, v39
	v_lshlrev_b32_e32 v4, 2, v39
	v_subrev_nc_u32_e32 v5, s33, v39
	v_mov_b32_e32 v38, 0xff7fffff
	v_mov_b32_e32 v24, 0
	;; [unrolled: 1-line block ×3, first 2 shown]
	v_lshl_or_b32 v4, v33, 5, v4
	v_add_nc_u32_e32 v43, 1, v5
	s_delay_alu instid0(VALU_DEP_2)
	v_add_nc_u32_e32 v44, 0x160, v4
	s_waitcnt lgkmcnt(0)
	s_add_u32 s48, s0, s6
	s_addc_u32 s1, s1, s3
	s_abs_i32 s45, s18
	s_lshl_b64 s[46:47], s[34:35], 2
	v_cvt_f32_u32_e32 v1, s45
	s_sub_i32 s3, 0, s45
	v_cmp_neq_f32_e64 s0, s42, 0
	s_delay_alu instid0(VALU_DEP_2) | instskip(SKIP_3) | instid1(VALU_DEP_2)
	v_rcp_iflag_f32_e32 v1, v1
	s_waitcnt_depctr 0xfff
	v_mul_f32_e32 v3, 0x4f7ffffe, v1
	v_lshlrev_b64 v[1:2], 2, v[21:22]
	v_cvt_u32_f32_e32 v3, v3
	s_delay_alu instid0(VALU_DEP_1) | instskip(SKIP_1) | instid1(VALU_DEP_1)
	v_mul_lo_u32 v6, s3, v3
	v_add_co_u32 v25, s3, s48, v7
	v_add_co_ci_u32_e64 v26, null, s1, 0, s3
	s_add_u32 s1, s30, s46
	s_addc_u32 s3, s31, s47
	v_add_co_u32 v27, s1, s1, v1
	s_delay_alu instid0(VALU_DEP_4) | instskip(SKIP_3) | instid1(VALU_DEP_2)
	v_mul_hi_u32 v4, v3, v6
	v_add_co_ci_u32_e64 v28, s1, s3, v2, s1
	s_mov_b32 s46, 0
	s_mov_b32 s47, s5
	v_add_nc_u32_e32 v45, v3, v4
	s_branch .LBB209_13
.LBB209_11:                             ;   in Loop: Header=BB209_13 Depth=1
	s_or_b32 exec_lo, exec_lo, s48
.LBB209_12:                             ;   in Loop: Header=BB209_13 Depth=1
	s_delay_alu instid0(SALU_CYCLE_1) | instskip(SKIP_2) | instid1(VALU_DEP_1)
	s_or_b32 exec_lo, exec_lo, s3
	v_add_nc_u32_e32 v46, 4, v46
	v_add_co_u32 v27, s3, v27, 16
	v_add_co_ci_u32_e64 v28, s3, 0, v28, s3
	s_delay_alu instid0(VALU_DEP_3) | instskip(SKIP_2) | instid1(VALU_DEP_3)
	v_cmp_le_i32_e64 s1, s38, v46
	v_add_nc_u32_e32 v41, 32, v41
	v_add_nc_u32_e32 v44, 0x80, v44
	s_or_b32 s46, s1, s46
	s_delay_alu instid0(SALU_CYCLE_1)
	s_and_not1_b32 exec_lo, exec_lo, s46
	s_cbranch_execz .LBB209_178
.LBB209_13:                             ; =>This Inner Loop Header: Depth=1
	v_sub_nc_u32_e32 v1, 0, v41
	s_delay_alu instid0(VALU_DEP_1) | instskip(SKIP_1) | instid1(VALU_DEP_1)
	v_max_i32_e32 v1, v41, v1
	s_waitcnt lgkmcnt(0)
	v_mul_hi_u32 v2, v1, s29
	s_delay_alu instid0(VALU_DEP_1) | instskip(NEXT) | instid1(VALU_DEP_1)
	v_mul_lo_u32 v3, v2, s25
	v_sub_nc_u32_e32 v1, v1, v3
	v_add_nc_u32_e32 v3, 1, v2
	s_delay_alu instid0(VALU_DEP_2) | instskip(SKIP_1) | instid1(VALU_DEP_1)
	v_subrev_nc_u32_e32 v4, s25, v1
	v_cmp_le_u32_e64 s1, s25, v1
	v_cndmask_b32_e64 v2, v2, v3, s1
	s_delay_alu instid0(VALU_DEP_3) | instskip(SKIP_1) | instid1(VALU_DEP_3)
	v_cndmask_b32_e64 v1, v1, v4, s1
	v_ashrrev_i32_e32 v3, 31, v41
	v_add_nc_u32_e32 v4, 1, v2
	s_delay_alu instid0(VALU_DEP_3) | instskip(NEXT) | instid1(VALU_DEP_3)
	v_cmp_le_u32_e64 s1, s25, v1
	v_xor_b32_e32 v3, s19, v3
	s_delay_alu instid0(VALU_DEP_2) | instskip(NEXT) | instid1(VALU_DEP_1)
	v_cndmask_b32_e64 v1, v2, v4, s1
	v_xor_b32_e32 v1, v1, v3
	s_delay_alu instid0(VALU_DEP_1) | instskip(NEXT) | instid1(VALU_DEP_1)
	v_sub_nc_u32_e32 v1, v1, v3
	v_add_nc_u32_e32 v2, s40, v1
	v_cmp_ge_i32_e64 s3, s44, v1
	s_delay_alu instid0(VALU_DEP_2) | instskip(NEXT) | instid1(VALU_DEP_1)
	v_sub_nc_u32_e32 v3, 0, v2
	v_max_i32_e32 v3, v2, v3
	v_ashrrev_i32_e32 v2, 31, v2
	s_delay_alu instid0(VALU_DEP_2) | instskip(NEXT) | instid1(VALU_DEP_1)
	v_mul_hi_u32 v4, v3, v45
	v_mul_lo_u32 v4, v4, s45
	s_delay_alu instid0(VALU_DEP_1) | instskip(NEXT) | instid1(VALU_DEP_1)
	v_sub_nc_u32_e32 v3, v3, v4
	v_subrev_nc_u32_e32 v4, s45, v3
	v_cmp_le_u32_e64 s1, s45, v3
	s_delay_alu instid0(VALU_DEP_1) | instskip(NEXT) | instid1(VALU_DEP_1)
	v_cndmask_b32_e64 v3, v3, v4, s1
	v_subrev_nc_u32_e32 v4, s45, v3
	v_cmp_le_u32_e64 s1, s45, v3
	s_delay_alu instid0(VALU_DEP_1) | instskip(NEXT) | instid1(VALU_DEP_1)
	v_cndmask_b32_e64 v3, v3, v4, s1
	v_xor_b32_e32 v3, v3, v2
	s_delay_alu instid0(VALU_DEP_1) | instskip(NEXT) | instid1(VALU_DEP_1)
	v_sub_nc_u32_e32 v2, v3, v2
	v_cmp_ne_u32_e64 s1, 0, v2
	s_delay_alu instid0(VALU_DEP_1) | instskip(NEXT) | instid1(SALU_CYCLE_1)
	s_and_b32 s1, s1, s3
	s_and_b32 s48, vcc_lo, s1
	s_delay_alu instid0(SALU_CYCLE_1)
	s_and_saveexec_b32 s3, s48
	s_cbranch_execz .LBB209_15
; %bb.14:                               ;   in Loop: Header=BB209_13 Depth=1
	ds_store_b32 v44, v42
.LBB209_15:                             ;   in Loop: Header=BB209_13 Depth=1
	s_or_b32 exec_lo, exec_lo, s3
	s_xor_b32 s1, s1, -1
	s_delay_alu instid0(SALU_CYCLE_1)
	s_and_saveexec_b32 s3, s1
	s_cbranch_execz .LBB209_12
; %bb.16:                               ;   in Loop: Header=BB209_13 Depth=1
	global_load_b32 v3, v[27:28], off
	v_dual_mov_b32 v47, 0 :: v_dual_mov_b32 v48, 0
	s_mov_b32 s49, exec_lo
	s_waitcnt vmcnt(0)
	v_mad_i64_i32 v[1:2], null, v3, s47, v[25:26]
	s_delay_alu instid0(VALU_DEP_1) | instskip(NEXT) | instid1(VALU_DEP_1)
	v_add_co_u32 v29, s1, v1, v36
	v_add_co_ci_u32_e64 v30, s1, 0, v2, s1
	global_load_u8 v31, v[29:30], off
	ds_load_b128 v[17:20], v40
	ds_load_b128 v[13:16], v40 offset:16
	ds_load_b128 v[9:12], v40 offset:32
	ds_load_b128 v[5:8], v40 offset:48
	ds_load_b128 v[1:4], v40 offset:64
	s_load_b32 s48, s[8:9], 0x0
	s_waitcnt vmcnt(0)
	v_cmpx_ne_u16_e32 0, v31
	s_cbranch_execz .LBB209_24
; %bb.17:                               ;   in Loop: Header=BB209_13 Depth=1
	v_bfrev_b32_e32 v48, 1
	s_mov_b32 s50, exec_lo
	v_cmpx_ne_u16_e32 0x80, v31
	s_cbranch_execz .LBB209_23
; %bb.18:                               ;   in Loop: Header=BB209_13 Depth=1
	v_and_b32_e32 v23, 0xffff, v31
	v_mov_b32_e32 v48, 0x7f800001
	s_mov_b32 s51, exec_lo
	s_delay_alu instid0(VALU_DEP_2) | instskip(NEXT) | instid1(VALU_DEP_1)
	v_and_b32_e32 v49, 0x7f, v23
	v_cmpx_ne_u32_e32 0x7f, v49
	s_cbranch_execz .LBB209_22
; %bb.19:                               ;   in Loop: Header=BB209_13 Depth=1
	v_and_b32_e32 v23, 7, v23
	v_lshrrev_b32_e32 v32, 3, v49
	s_mov_b32 s52, exec_lo
	v_cmpx_gt_u32_e32 8, v49
; %bb.20:                               ;   in Loop: Header=BB209_13 Depth=1
	s_delay_alu instid0(VALU_DEP_3) | instskip(NEXT) | instid1(VALU_DEP_1)
	v_clz_i32_u32_e32 v32, v23
	v_min_u32_e32 v32, 32, v32
	s_delay_alu instid0(VALU_DEP_1) | instskip(SKIP_1) | instid1(VALU_DEP_2)
	v_subrev_nc_u32_e32 v48, 28, v32
	v_sub_nc_u32_e32 v32, 29, v32
	v_lshlrev_b64 v[48:49], v48, v[23:24]
	s_delay_alu instid0(VALU_DEP_1)
	v_and_b32_e32 v23, 7, v48
; %bb.21:                               ;   in Loop: Header=BB209_13 Depth=1
	s_or_b32 exec_lo, exec_lo, s52
	v_lshlrev_b32_e32 v31, 24, v31
	s_delay_alu instid0(VALU_DEP_2) | instskip(SKIP_1) | instid1(VALU_DEP_3)
	v_lshlrev_b32_e32 v23, 20, v23
	v_lshl_add_u32 v32, v32, 23, 0x3c000000
	v_and_b32_e32 v31, 0x80000000, v31
	s_delay_alu instid0(VALU_DEP_1)
	v_or3_b32 v48, v23, v31, v32
.LBB209_22:                             ;   in Loop: Header=BB209_13 Depth=1
	s_or_b32 exec_lo, exec_lo, s51
.LBB209_23:                             ;   in Loop: Header=BB209_13 Depth=1
	s_delay_alu instid0(SALU_CYCLE_1)
	s_or_b32 exec_lo, exec_lo, s50
.LBB209_24:                             ;   in Loop: Header=BB209_13 Depth=1
	s_delay_alu instid0(SALU_CYCLE_1)
	s_or_b32 exec_lo, exec_lo, s49
	global_load_u8 v31, v[29:30], off offset:4
	s_mov_b32 s49, exec_lo
	s_waitcnt vmcnt(0)
	v_cmpx_ne_u16_e32 0, v31
	s_cbranch_execz .LBB209_32
; %bb.25:                               ;   in Loop: Header=BB209_13 Depth=1
	v_bfrev_b32_e32 v47, 1
	s_mov_b32 s50, exec_lo
	v_cmpx_ne_u16_e32 0x80, v31
	s_cbranch_execz .LBB209_31
; %bb.26:                               ;   in Loop: Header=BB209_13 Depth=1
	v_and_b32_e32 v23, 0xffff, v31
	v_mov_b32_e32 v47, 0x7f800001
	s_mov_b32 s51, exec_lo
	s_delay_alu instid0(VALU_DEP_2) | instskip(NEXT) | instid1(VALU_DEP_1)
	v_and_b32_e32 v49, 0x7f, v23
	v_cmpx_ne_u32_e32 0x7f, v49
	s_cbranch_execz .LBB209_30
; %bb.27:                               ;   in Loop: Header=BB209_13 Depth=1
	v_and_b32_e32 v23, 7, v23
	v_lshrrev_b32_e32 v32, 3, v49
	s_mov_b32 s52, exec_lo
	v_cmpx_gt_u32_e32 8, v49
; %bb.28:                               ;   in Loop: Header=BB209_13 Depth=1
	s_delay_alu instid0(VALU_DEP_3) | instskip(NEXT) | instid1(VALU_DEP_1)
	v_clz_i32_u32_e32 v32, v23
	v_min_u32_e32 v32, 32, v32
	s_delay_alu instid0(VALU_DEP_1) | instskip(SKIP_1) | instid1(VALU_DEP_2)
	v_subrev_nc_u32_e32 v47, 28, v32
	v_sub_nc_u32_e32 v32, 29, v32
	v_lshlrev_b64 v[49:50], v47, v[23:24]
	s_delay_alu instid0(VALU_DEP_1)
	v_and_b32_e32 v23, 7, v49
; %bb.29:                               ;   in Loop: Header=BB209_13 Depth=1
	s_or_b32 exec_lo, exec_lo, s52
	v_lshlrev_b32_e32 v31, 24, v31
	s_delay_alu instid0(VALU_DEP_2) | instskip(SKIP_1) | instid1(VALU_DEP_3)
	v_lshlrev_b32_e32 v23, 20, v23
	v_lshl_add_u32 v32, v32, 23, 0x3c000000
	v_and_b32_e32 v31, 0x80000000, v31
	s_delay_alu instid0(VALU_DEP_1)
	v_or3_b32 v47, v23, v31, v32
.LBB209_30:                             ;   in Loop: Header=BB209_13 Depth=1
	s_or_b32 exec_lo, exec_lo, s51
.LBB209_31:                             ;   in Loop: Header=BB209_13 Depth=1
	s_delay_alu instid0(SALU_CYCLE_1)
	s_or_b32 exec_lo, exec_lo, s50
.LBB209_32:                             ;   in Loop: Header=BB209_13 Depth=1
	s_delay_alu instid0(SALU_CYCLE_1)
	s_or_b32 exec_lo, exec_lo, s49
	global_load_u8 v31, v[29:30], off offset:8
	v_dual_mov_b32 v49, 0 :: v_dual_mov_b32 v50, 0
	s_mov_b32 s49, exec_lo
	s_waitcnt vmcnt(0)
	v_cmpx_ne_u16_e32 0, v31
	s_cbranch_execz .LBB209_40
; %bb.33:                               ;   in Loop: Header=BB209_13 Depth=1
	v_bfrev_b32_e32 v50, 1
	s_mov_b32 s50, exec_lo
	v_cmpx_ne_u16_e32 0x80, v31
	s_cbranch_execz .LBB209_39
; %bb.34:                               ;   in Loop: Header=BB209_13 Depth=1
	v_and_b32_e32 v23, 0xffff, v31
	v_mov_b32_e32 v50, 0x7f800001
	s_mov_b32 s51, exec_lo
	s_delay_alu instid0(VALU_DEP_2) | instskip(NEXT) | instid1(VALU_DEP_1)
	v_and_b32_e32 v51, 0x7f, v23
	v_cmpx_ne_u32_e32 0x7f, v51
	s_cbranch_execz .LBB209_38
; %bb.35:                               ;   in Loop: Header=BB209_13 Depth=1
	v_and_b32_e32 v23, 7, v23
	v_lshrrev_b32_e32 v32, 3, v51
	s_mov_b32 s52, exec_lo
	v_cmpx_gt_u32_e32 8, v51
; %bb.36:                               ;   in Loop: Header=BB209_13 Depth=1
	s_delay_alu instid0(VALU_DEP_3) | instskip(NEXT) | instid1(VALU_DEP_1)
	v_clz_i32_u32_e32 v32, v23
	v_min_u32_e32 v32, 32, v32
	s_delay_alu instid0(VALU_DEP_1) | instskip(SKIP_1) | instid1(VALU_DEP_2)
	v_subrev_nc_u32_e32 v50, 28, v32
	v_sub_nc_u32_e32 v32, 29, v32
	v_lshlrev_b64 v[50:51], v50, v[23:24]
	s_delay_alu instid0(VALU_DEP_1)
	v_and_b32_e32 v23, 7, v50
; %bb.37:                               ;   in Loop: Header=BB209_13 Depth=1
	s_or_b32 exec_lo, exec_lo, s52
	v_lshlrev_b32_e32 v31, 24, v31
	s_delay_alu instid0(VALU_DEP_2) | instskip(SKIP_1) | instid1(VALU_DEP_3)
	v_lshlrev_b32_e32 v23, 20, v23
	v_lshl_add_u32 v32, v32, 23, 0x3c000000
	v_and_b32_e32 v31, 0x80000000, v31
	s_delay_alu instid0(VALU_DEP_1)
	v_or3_b32 v50, v23, v31, v32
.LBB209_38:                             ;   in Loop: Header=BB209_13 Depth=1
	s_or_b32 exec_lo, exec_lo, s51
.LBB209_39:                             ;   in Loop: Header=BB209_13 Depth=1
	s_delay_alu instid0(SALU_CYCLE_1)
	s_or_b32 exec_lo, exec_lo, s50
.LBB209_40:                             ;   in Loop: Header=BB209_13 Depth=1
	s_delay_alu instid0(SALU_CYCLE_1)
	s_or_b32 exec_lo, exec_lo, s49
	global_load_u8 v31, v[29:30], off offset:12
	s_mov_b32 s49, exec_lo
	s_waitcnt vmcnt(0)
	v_cmpx_ne_u16_e32 0, v31
	s_cbranch_execz .LBB209_48
; %bb.41:                               ;   in Loop: Header=BB209_13 Depth=1
	v_bfrev_b32_e32 v49, 1
	s_mov_b32 s50, exec_lo
	v_cmpx_ne_u16_e32 0x80, v31
	s_cbranch_execz .LBB209_47
; %bb.42:                               ;   in Loop: Header=BB209_13 Depth=1
	v_and_b32_e32 v23, 0xffff, v31
	v_mov_b32_e32 v49, 0x7f800001
	s_mov_b32 s51, exec_lo
	s_delay_alu instid0(VALU_DEP_2) | instskip(NEXT) | instid1(VALU_DEP_1)
	v_and_b32_e32 v51, 0x7f, v23
	v_cmpx_ne_u32_e32 0x7f, v51
	s_cbranch_execz .LBB209_46
; %bb.43:                               ;   in Loop: Header=BB209_13 Depth=1
	v_and_b32_e32 v23, 7, v23
	v_lshrrev_b32_e32 v32, 3, v51
	s_mov_b32 s52, exec_lo
	v_cmpx_gt_u32_e32 8, v51
; %bb.44:                               ;   in Loop: Header=BB209_13 Depth=1
	s_delay_alu instid0(VALU_DEP_3) | instskip(NEXT) | instid1(VALU_DEP_1)
	v_clz_i32_u32_e32 v32, v23
	v_min_u32_e32 v32, 32, v32
	s_delay_alu instid0(VALU_DEP_1) | instskip(SKIP_1) | instid1(VALU_DEP_2)
	v_subrev_nc_u32_e32 v49, 28, v32
	v_sub_nc_u32_e32 v32, 29, v32
	v_lshlrev_b64 v[51:52], v49, v[23:24]
	s_delay_alu instid0(VALU_DEP_1)
	v_and_b32_e32 v23, 7, v51
; %bb.45:                               ;   in Loop: Header=BB209_13 Depth=1
	s_or_b32 exec_lo, exec_lo, s52
	v_lshlrev_b32_e32 v31, 24, v31
	s_delay_alu instid0(VALU_DEP_2) | instskip(SKIP_1) | instid1(VALU_DEP_3)
	v_lshlrev_b32_e32 v23, 20, v23
	v_lshl_add_u32 v32, v32, 23, 0x3c000000
	v_and_b32_e32 v31, 0x80000000, v31
	s_delay_alu instid0(VALU_DEP_1)
	v_or3_b32 v49, v23, v31, v32
.LBB209_46:                             ;   in Loop: Header=BB209_13 Depth=1
	s_or_b32 exec_lo, exec_lo, s51
.LBB209_47:                             ;   in Loop: Header=BB209_13 Depth=1
	s_delay_alu instid0(SALU_CYCLE_1)
	s_or_b32 exec_lo, exec_lo, s50
.LBB209_48:                             ;   in Loop: Header=BB209_13 Depth=1
	s_delay_alu instid0(SALU_CYCLE_1)
	s_or_b32 exec_lo, exec_lo, s49
	global_load_u8 v31, v[29:30], off offset:128
	v_dual_mov_b32 v51, 0 :: v_dual_mov_b32 v52, 0
	s_mov_b32 s49, exec_lo
	s_waitcnt vmcnt(0)
	v_cmpx_ne_u16_e32 0, v31
	s_cbranch_execz .LBB209_56
; %bb.49:                               ;   in Loop: Header=BB209_13 Depth=1
	v_bfrev_b32_e32 v52, 1
	s_mov_b32 s50, exec_lo
	v_cmpx_ne_u16_e32 0x80, v31
	s_cbranch_execz .LBB209_55
; %bb.50:                               ;   in Loop: Header=BB209_13 Depth=1
	v_and_b32_e32 v23, 0xffff, v31
	v_mov_b32_e32 v52, 0x7f800001
	s_mov_b32 s51, exec_lo
	s_delay_alu instid0(VALU_DEP_2) | instskip(NEXT) | instid1(VALU_DEP_1)
	v_and_b32_e32 v53, 0x7f, v23
	v_cmpx_ne_u32_e32 0x7f, v53
	s_cbranch_execz .LBB209_54
; %bb.51:                               ;   in Loop: Header=BB209_13 Depth=1
	v_and_b32_e32 v23, 7, v23
	v_lshrrev_b32_e32 v32, 3, v53
	s_mov_b32 s52, exec_lo
	v_cmpx_gt_u32_e32 8, v53
; %bb.52:                               ;   in Loop: Header=BB209_13 Depth=1
	s_delay_alu instid0(VALU_DEP_3) | instskip(NEXT) | instid1(VALU_DEP_1)
	v_clz_i32_u32_e32 v32, v23
	v_min_u32_e32 v32, 32, v32
	s_delay_alu instid0(VALU_DEP_1) | instskip(SKIP_1) | instid1(VALU_DEP_2)
	v_subrev_nc_u32_e32 v52, 28, v32
	v_sub_nc_u32_e32 v32, 29, v32
	v_lshlrev_b64 v[52:53], v52, v[23:24]
	s_delay_alu instid0(VALU_DEP_1)
	v_and_b32_e32 v23, 7, v52
; %bb.53:                               ;   in Loop: Header=BB209_13 Depth=1
	s_or_b32 exec_lo, exec_lo, s52
	v_lshlrev_b32_e32 v31, 24, v31
	s_delay_alu instid0(VALU_DEP_2) | instskip(SKIP_1) | instid1(VALU_DEP_3)
	v_lshlrev_b32_e32 v23, 20, v23
	v_lshl_add_u32 v32, v32, 23, 0x3c000000
	v_and_b32_e32 v31, 0x80000000, v31
	s_delay_alu instid0(VALU_DEP_1)
	v_or3_b32 v52, v23, v31, v32
.LBB209_54:                             ;   in Loop: Header=BB209_13 Depth=1
	s_or_b32 exec_lo, exec_lo, s51
.LBB209_55:                             ;   in Loop: Header=BB209_13 Depth=1
	s_delay_alu instid0(SALU_CYCLE_1)
	s_or_b32 exec_lo, exec_lo, s50
.LBB209_56:                             ;   in Loop: Header=BB209_13 Depth=1
	s_delay_alu instid0(SALU_CYCLE_1)
	s_or_b32 exec_lo, exec_lo, s49
	global_load_u8 v31, v[29:30], off offset:132
	s_mov_b32 s49, exec_lo
	s_waitcnt vmcnt(0)
	v_cmpx_ne_u16_e32 0, v31
	s_cbranch_execz .LBB209_64
; %bb.57:                               ;   in Loop: Header=BB209_13 Depth=1
	v_bfrev_b32_e32 v51, 1
	s_mov_b32 s50, exec_lo
	v_cmpx_ne_u16_e32 0x80, v31
	s_cbranch_execz .LBB209_63
; %bb.58:                               ;   in Loop: Header=BB209_13 Depth=1
	v_and_b32_e32 v23, 0xffff, v31
	v_mov_b32_e32 v51, 0x7f800001
	s_mov_b32 s51, exec_lo
	s_delay_alu instid0(VALU_DEP_2) | instskip(NEXT) | instid1(VALU_DEP_1)
	v_and_b32_e32 v53, 0x7f, v23
	v_cmpx_ne_u32_e32 0x7f, v53
	s_cbranch_execz .LBB209_62
; %bb.59:                               ;   in Loop: Header=BB209_13 Depth=1
	v_and_b32_e32 v23, 7, v23
	v_lshrrev_b32_e32 v32, 3, v53
	s_mov_b32 s52, exec_lo
	v_cmpx_gt_u32_e32 8, v53
; %bb.60:                               ;   in Loop: Header=BB209_13 Depth=1
	s_delay_alu instid0(VALU_DEP_3) | instskip(NEXT) | instid1(VALU_DEP_1)
	v_clz_i32_u32_e32 v32, v23
	v_min_u32_e32 v32, 32, v32
	s_delay_alu instid0(VALU_DEP_1) | instskip(SKIP_1) | instid1(VALU_DEP_2)
	v_subrev_nc_u32_e32 v51, 28, v32
	v_sub_nc_u32_e32 v32, 29, v32
	v_lshlrev_b64 v[53:54], v51, v[23:24]
	s_delay_alu instid0(VALU_DEP_1)
	v_and_b32_e32 v23, 7, v53
; %bb.61:                               ;   in Loop: Header=BB209_13 Depth=1
	s_or_b32 exec_lo, exec_lo, s52
	v_lshlrev_b32_e32 v31, 24, v31
	s_delay_alu instid0(VALU_DEP_2) | instskip(SKIP_1) | instid1(VALU_DEP_3)
	v_lshlrev_b32_e32 v23, 20, v23
	v_lshl_add_u32 v32, v32, 23, 0x3c000000
	v_and_b32_e32 v31, 0x80000000, v31
	s_delay_alu instid0(VALU_DEP_1)
	v_or3_b32 v51, v23, v31, v32
.LBB209_62:                             ;   in Loop: Header=BB209_13 Depth=1
	s_or_b32 exec_lo, exec_lo, s51
.LBB209_63:                             ;   in Loop: Header=BB209_13 Depth=1
	s_delay_alu instid0(SALU_CYCLE_1)
	s_or_b32 exec_lo, exec_lo, s50
.LBB209_64:                             ;   in Loop: Header=BB209_13 Depth=1
	s_delay_alu instid0(SALU_CYCLE_1) | instskip(SKIP_1) | instid1(VALU_DEP_1)
	s_or_b32 exec_lo, exec_lo, s49
	v_add_co_u32 v31, s1, 0x80, v29
	v_add_co_ci_u32_e64 v32, s1, 0, v30, s1
	v_dual_mov_b32 v53, 0 :: v_dual_mov_b32 v54, 0
	s_mov_b32 s49, exec_lo
	global_load_u8 v55, v[31:32], off offset:8
	s_waitcnt vmcnt(0)
	v_cmpx_ne_u16_e32 0, v55
	s_cbranch_execz .LBB209_72
; %bb.65:                               ;   in Loop: Header=BB209_13 Depth=1
	v_bfrev_b32_e32 v54, 1
	s_mov_b32 s50, exec_lo
	v_cmpx_ne_u16_e32 0x80, v55
	s_cbranch_execz .LBB209_71
; %bb.66:                               ;   in Loop: Header=BB209_13 Depth=1
	v_and_b32_e32 v23, 0xffff, v55
	v_mov_b32_e32 v54, 0x7f800001
	s_mov_b32 s51, exec_lo
	s_delay_alu instid0(VALU_DEP_2) | instskip(NEXT) | instid1(VALU_DEP_1)
	v_and_b32_e32 v56, 0x7f, v23
	v_cmpx_ne_u32_e32 0x7f, v56
	s_cbranch_execz .LBB209_70
; %bb.67:                               ;   in Loop: Header=BB209_13 Depth=1
	v_and_b32_e32 v23, 7, v23
	v_lshrrev_b32_e32 v54, 3, v56
	s_mov_b32 s52, exec_lo
	v_cmpx_gt_u32_e32 8, v56
; %bb.68:                               ;   in Loop: Header=BB209_13 Depth=1
	s_delay_alu instid0(VALU_DEP_3) | instskip(NEXT) | instid1(VALU_DEP_1)
	v_clz_i32_u32_e32 v54, v23
	v_min_u32_e32 v54, 32, v54
	s_delay_alu instid0(VALU_DEP_1) | instskip(SKIP_1) | instid1(VALU_DEP_2)
	v_subrev_nc_u32_e32 v56, 28, v54
	v_sub_nc_u32_e32 v54, 29, v54
	v_lshlrev_b64 v[56:57], v56, v[23:24]
	s_delay_alu instid0(VALU_DEP_1)
	v_and_b32_e32 v23, 7, v56
; %bb.69:                               ;   in Loop: Header=BB209_13 Depth=1
	s_or_b32 exec_lo, exec_lo, s52
	v_lshlrev_b32_e32 v55, 24, v55
	s_delay_alu instid0(VALU_DEP_2) | instskip(SKIP_1) | instid1(VALU_DEP_3)
	v_lshlrev_b32_e32 v23, 20, v23
	v_lshl_add_u32 v54, v54, 23, 0x3c000000
	v_and_b32_e32 v55, 0x80000000, v55
	s_delay_alu instid0(VALU_DEP_1)
	v_or3_b32 v54, v23, v55, v54
.LBB209_70:                             ;   in Loop: Header=BB209_13 Depth=1
	s_or_b32 exec_lo, exec_lo, s51
.LBB209_71:                             ;   in Loop: Header=BB209_13 Depth=1
	s_delay_alu instid0(SALU_CYCLE_1)
	s_or_b32 exec_lo, exec_lo, s50
.LBB209_72:                             ;   in Loop: Header=BB209_13 Depth=1
	s_delay_alu instid0(SALU_CYCLE_1)
	s_or_b32 exec_lo, exec_lo, s49
	global_load_u8 v31, v[31:32], off offset:12
	s_mov_b32 s49, exec_lo
	s_waitcnt vmcnt(0)
	v_cmpx_ne_u16_e32 0, v31
	s_cbranch_execz .LBB209_80
; %bb.73:                               ;   in Loop: Header=BB209_13 Depth=1
	v_bfrev_b32_e32 v53, 1
	s_mov_b32 s50, exec_lo
	v_cmpx_ne_u16_e32 0x80, v31
	s_cbranch_execz .LBB209_79
; %bb.74:                               ;   in Loop: Header=BB209_13 Depth=1
	v_and_b32_e32 v23, 0xffff, v31
	v_mov_b32_e32 v53, 0x7f800001
	s_mov_b32 s51, exec_lo
	s_delay_alu instid0(VALU_DEP_2) | instskip(NEXT) | instid1(VALU_DEP_1)
	v_and_b32_e32 v55, 0x7f, v23
	v_cmpx_ne_u32_e32 0x7f, v55
	s_cbranch_execz .LBB209_78
; %bb.75:                               ;   in Loop: Header=BB209_13 Depth=1
	v_and_b32_e32 v23, 7, v23
	v_lshrrev_b32_e32 v32, 3, v55
	s_mov_b32 s52, exec_lo
	v_cmpx_gt_u32_e32 8, v55
; %bb.76:                               ;   in Loop: Header=BB209_13 Depth=1
	s_delay_alu instid0(VALU_DEP_3) | instskip(NEXT) | instid1(VALU_DEP_1)
	v_clz_i32_u32_e32 v32, v23
	v_min_u32_e32 v32, 32, v32
	s_delay_alu instid0(VALU_DEP_1) | instskip(SKIP_1) | instid1(VALU_DEP_2)
	v_subrev_nc_u32_e32 v53, 28, v32
	v_sub_nc_u32_e32 v32, 29, v32
	v_lshlrev_b64 v[55:56], v53, v[23:24]
	s_delay_alu instid0(VALU_DEP_1)
	v_and_b32_e32 v23, 7, v55
; %bb.77:                               ;   in Loop: Header=BB209_13 Depth=1
	s_or_b32 exec_lo, exec_lo, s52
	v_lshlrev_b32_e32 v31, 24, v31
	s_delay_alu instid0(VALU_DEP_2) | instskip(SKIP_1) | instid1(VALU_DEP_3)
	v_lshlrev_b32_e32 v23, 20, v23
	v_lshl_add_u32 v32, v32, 23, 0x3c000000
	v_and_b32_e32 v31, 0x80000000, v31
	s_delay_alu instid0(VALU_DEP_1)
	v_or3_b32 v53, v23, v31, v32
.LBB209_78:                             ;   in Loop: Header=BB209_13 Depth=1
	s_or_b32 exec_lo, exec_lo, s51
.LBB209_79:                             ;   in Loop: Header=BB209_13 Depth=1
	s_delay_alu instid0(SALU_CYCLE_1)
	s_or_b32 exec_lo, exec_lo, s50
.LBB209_80:                             ;   in Loop: Header=BB209_13 Depth=1
	s_delay_alu instid0(SALU_CYCLE_1)
	s_or_b32 exec_lo, exec_lo, s49
	global_load_u8 v31, v[29:30], off offset:256
	v_dual_mov_b32 v55, 0 :: v_dual_mov_b32 v56, 0
	s_mov_b32 s49, exec_lo
	s_waitcnt vmcnt(0)
	v_cmpx_ne_u16_e32 0, v31
	s_cbranch_execz .LBB209_88
; %bb.81:                               ;   in Loop: Header=BB209_13 Depth=1
	v_bfrev_b32_e32 v56, 1
	s_mov_b32 s50, exec_lo
	v_cmpx_ne_u16_e32 0x80, v31
	s_cbranch_execz .LBB209_87
; %bb.82:                               ;   in Loop: Header=BB209_13 Depth=1
	v_and_b32_e32 v23, 0xffff, v31
	v_mov_b32_e32 v56, 0x7f800001
	s_mov_b32 s51, exec_lo
	s_delay_alu instid0(VALU_DEP_2) | instskip(NEXT) | instid1(VALU_DEP_1)
	v_and_b32_e32 v57, 0x7f, v23
	v_cmpx_ne_u32_e32 0x7f, v57
	s_cbranch_execz .LBB209_86
; %bb.83:                               ;   in Loop: Header=BB209_13 Depth=1
	v_and_b32_e32 v23, 7, v23
	v_lshrrev_b32_e32 v32, 3, v57
	s_mov_b32 s52, exec_lo
	v_cmpx_gt_u32_e32 8, v57
; %bb.84:                               ;   in Loop: Header=BB209_13 Depth=1
	s_delay_alu instid0(VALU_DEP_3) | instskip(NEXT) | instid1(VALU_DEP_1)
	v_clz_i32_u32_e32 v32, v23
	v_min_u32_e32 v32, 32, v32
	s_delay_alu instid0(VALU_DEP_1) | instskip(SKIP_1) | instid1(VALU_DEP_2)
	v_subrev_nc_u32_e32 v56, 28, v32
	v_sub_nc_u32_e32 v32, 29, v32
	v_lshlrev_b64 v[56:57], v56, v[23:24]
	s_delay_alu instid0(VALU_DEP_1)
	v_and_b32_e32 v23, 7, v56
; %bb.85:                               ;   in Loop: Header=BB209_13 Depth=1
	s_or_b32 exec_lo, exec_lo, s52
	v_lshlrev_b32_e32 v31, 24, v31
	s_delay_alu instid0(VALU_DEP_2) | instskip(SKIP_1) | instid1(VALU_DEP_3)
	v_lshlrev_b32_e32 v23, 20, v23
	v_lshl_add_u32 v32, v32, 23, 0x3c000000
	v_and_b32_e32 v31, 0x80000000, v31
	s_delay_alu instid0(VALU_DEP_1)
	v_or3_b32 v56, v23, v31, v32
.LBB209_86:                             ;   in Loop: Header=BB209_13 Depth=1
	s_or_b32 exec_lo, exec_lo, s51
.LBB209_87:                             ;   in Loop: Header=BB209_13 Depth=1
	s_delay_alu instid0(SALU_CYCLE_1)
	s_or_b32 exec_lo, exec_lo, s50
.LBB209_88:                             ;   in Loop: Header=BB209_13 Depth=1
	s_delay_alu instid0(SALU_CYCLE_1)
	s_or_b32 exec_lo, exec_lo, s49
	global_load_u8 v31, v[29:30], off offset:260
	s_mov_b32 s49, exec_lo
	s_waitcnt vmcnt(0)
	v_cmpx_ne_u16_e32 0, v31
	s_cbranch_execz .LBB209_96
; %bb.89:                               ;   in Loop: Header=BB209_13 Depth=1
	v_bfrev_b32_e32 v55, 1
	s_mov_b32 s50, exec_lo
	v_cmpx_ne_u16_e32 0x80, v31
	s_cbranch_execz .LBB209_95
; %bb.90:                               ;   in Loop: Header=BB209_13 Depth=1
	v_and_b32_e32 v23, 0xffff, v31
	v_mov_b32_e32 v55, 0x7f800001
	s_mov_b32 s51, exec_lo
	s_delay_alu instid0(VALU_DEP_2) | instskip(NEXT) | instid1(VALU_DEP_1)
	v_and_b32_e32 v57, 0x7f, v23
	v_cmpx_ne_u32_e32 0x7f, v57
	s_cbranch_execz .LBB209_94
; %bb.91:                               ;   in Loop: Header=BB209_13 Depth=1
	v_and_b32_e32 v23, 7, v23
	v_lshrrev_b32_e32 v32, 3, v57
	s_mov_b32 s52, exec_lo
	v_cmpx_gt_u32_e32 8, v57
; %bb.92:                               ;   in Loop: Header=BB209_13 Depth=1
	s_delay_alu instid0(VALU_DEP_3) | instskip(NEXT) | instid1(VALU_DEP_1)
	v_clz_i32_u32_e32 v32, v23
	v_min_u32_e32 v32, 32, v32
	s_delay_alu instid0(VALU_DEP_1) | instskip(SKIP_1) | instid1(VALU_DEP_2)
	v_subrev_nc_u32_e32 v55, 28, v32
	v_sub_nc_u32_e32 v32, 29, v32
	v_lshlrev_b64 v[57:58], v55, v[23:24]
	s_delay_alu instid0(VALU_DEP_1)
	v_and_b32_e32 v23, 7, v57
; %bb.93:                               ;   in Loop: Header=BB209_13 Depth=1
	s_or_b32 exec_lo, exec_lo, s52
	v_lshlrev_b32_e32 v31, 24, v31
	s_delay_alu instid0(VALU_DEP_2) | instskip(SKIP_1) | instid1(VALU_DEP_3)
	v_lshlrev_b32_e32 v23, 20, v23
	v_lshl_add_u32 v32, v32, 23, 0x3c000000
	v_and_b32_e32 v31, 0x80000000, v31
	s_delay_alu instid0(VALU_DEP_1)
	v_or3_b32 v55, v23, v31, v32
.LBB209_94:                             ;   in Loop: Header=BB209_13 Depth=1
	s_or_b32 exec_lo, exec_lo, s51
.LBB209_95:                             ;   in Loop: Header=BB209_13 Depth=1
	s_delay_alu instid0(SALU_CYCLE_1)
	s_or_b32 exec_lo, exec_lo, s50
.LBB209_96:                             ;   in Loop: Header=BB209_13 Depth=1
	s_delay_alu instid0(SALU_CYCLE_1) | instskip(SKIP_1) | instid1(VALU_DEP_1)
	s_or_b32 exec_lo, exec_lo, s49
	v_add_co_u32 v31, s1, 0x100, v29
	v_add_co_ci_u32_e64 v32, s1, 0, v30, s1
	v_dual_mov_b32 v57, 0 :: v_dual_mov_b32 v58, 0
	s_mov_b32 s49, exec_lo
	global_load_u8 v59, v[31:32], off offset:8
	s_waitcnt vmcnt(0)
	v_cmpx_ne_u16_e32 0, v59
	s_cbranch_execz .LBB209_104
; %bb.97:                               ;   in Loop: Header=BB209_13 Depth=1
	v_bfrev_b32_e32 v58, 1
	s_mov_b32 s50, exec_lo
	v_cmpx_ne_u16_e32 0x80, v59
	s_cbranch_execz .LBB209_103
; %bb.98:                               ;   in Loop: Header=BB209_13 Depth=1
	v_and_b32_e32 v23, 0xffff, v59
	v_mov_b32_e32 v58, 0x7f800001
	s_mov_b32 s51, exec_lo
	s_delay_alu instid0(VALU_DEP_2) | instskip(NEXT) | instid1(VALU_DEP_1)
	v_and_b32_e32 v60, 0x7f, v23
	v_cmpx_ne_u32_e32 0x7f, v60
	s_cbranch_execz .LBB209_102
; %bb.99:                               ;   in Loop: Header=BB209_13 Depth=1
	v_and_b32_e32 v23, 7, v23
	v_lshrrev_b32_e32 v58, 3, v60
	s_mov_b32 s52, exec_lo
	v_cmpx_gt_u32_e32 8, v60
; %bb.100:                              ;   in Loop: Header=BB209_13 Depth=1
	s_delay_alu instid0(VALU_DEP_3) | instskip(NEXT) | instid1(VALU_DEP_1)
	v_clz_i32_u32_e32 v58, v23
	v_min_u32_e32 v58, 32, v58
	s_delay_alu instid0(VALU_DEP_1) | instskip(SKIP_1) | instid1(VALU_DEP_2)
	v_subrev_nc_u32_e32 v60, 28, v58
	v_sub_nc_u32_e32 v58, 29, v58
	v_lshlrev_b64 v[60:61], v60, v[23:24]
	s_delay_alu instid0(VALU_DEP_1)
	v_and_b32_e32 v23, 7, v60
; %bb.101:                              ;   in Loop: Header=BB209_13 Depth=1
	s_or_b32 exec_lo, exec_lo, s52
	v_lshlrev_b32_e32 v59, 24, v59
	s_delay_alu instid0(VALU_DEP_2) | instskip(SKIP_1) | instid1(VALU_DEP_3)
	v_lshlrev_b32_e32 v23, 20, v23
	v_lshl_add_u32 v58, v58, 23, 0x3c000000
	v_and_b32_e32 v59, 0x80000000, v59
	s_delay_alu instid0(VALU_DEP_1)
	v_or3_b32 v58, v23, v59, v58
.LBB209_102:                            ;   in Loop: Header=BB209_13 Depth=1
	s_or_b32 exec_lo, exec_lo, s51
.LBB209_103:                            ;   in Loop: Header=BB209_13 Depth=1
	s_delay_alu instid0(SALU_CYCLE_1)
	s_or_b32 exec_lo, exec_lo, s50
.LBB209_104:                            ;   in Loop: Header=BB209_13 Depth=1
	s_delay_alu instid0(SALU_CYCLE_1)
	s_or_b32 exec_lo, exec_lo, s49
	global_load_u8 v31, v[31:32], off offset:12
	s_mov_b32 s49, exec_lo
	s_waitcnt vmcnt(0)
	v_cmpx_ne_u16_e32 0, v31
	s_cbranch_execz .LBB209_112
; %bb.105:                              ;   in Loop: Header=BB209_13 Depth=1
	v_bfrev_b32_e32 v57, 1
	s_mov_b32 s50, exec_lo
	v_cmpx_ne_u16_e32 0x80, v31
	s_cbranch_execz .LBB209_111
; %bb.106:                              ;   in Loop: Header=BB209_13 Depth=1
	v_and_b32_e32 v23, 0xffff, v31
	v_mov_b32_e32 v57, 0x7f800001
	s_mov_b32 s51, exec_lo
	s_delay_alu instid0(VALU_DEP_2) | instskip(NEXT) | instid1(VALU_DEP_1)
	v_and_b32_e32 v59, 0x7f, v23
	v_cmpx_ne_u32_e32 0x7f, v59
	s_cbranch_execz .LBB209_110
; %bb.107:                              ;   in Loop: Header=BB209_13 Depth=1
	v_and_b32_e32 v23, 7, v23
	v_lshrrev_b32_e32 v32, 3, v59
	s_mov_b32 s52, exec_lo
	v_cmpx_gt_u32_e32 8, v59
; %bb.108:                              ;   in Loop: Header=BB209_13 Depth=1
	s_delay_alu instid0(VALU_DEP_3) | instskip(NEXT) | instid1(VALU_DEP_1)
	v_clz_i32_u32_e32 v32, v23
	v_min_u32_e32 v32, 32, v32
	s_delay_alu instid0(VALU_DEP_1) | instskip(SKIP_1) | instid1(VALU_DEP_2)
	v_subrev_nc_u32_e32 v57, 28, v32
	v_sub_nc_u32_e32 v32, 29, v32
	v_lshlrev_b64 v[59:60], v57, v[23:24]
	s_delay_alu instid0(VALU_DEP_1)
	v_and_b32_e32 v23, 7, v59
; %bb.109:                              ;   in Loop: Header=BB209_13 Depth=1
	s_or_b32 exec_lo, exec_lo, s52
	v_lshlrev_b32_e32 v31, 24, v31
	s_delay_alu instid0(VALU_DEP_2) | instskip(SKIP_1) | instid1(VALU_DEP_3)
	v_lshlrev_b32_e32 v23, 20, v23
	v_lshl_add_u32 v32, v32, 23, 0x3c000000
	v_and_b32_e32 v31, 0x80000000, v31
	s_delay_alu instid0(VALU_DEP_1)
	v_or3_b32 v57, v23, v31, v32
.LBB209_110:                            ;   in Loop: Header=BB209_13 Depth=1
	s_or_b32 exec_lo, exec_lo, s51
.LBB209_111:                            ;   in Loop: Header=BB209_13 Depth=1
	s_delay_alu instid0(SALU_CYCLE_1)
	s_or_b32 exec_lo, exec_lo, s50
.LBB209_112:                            ;   in Loop: Header=BB209_13 Depth=1
	s_delay_alu instid0(SALU_CYCLE_1)
	s_or_b32 exec_lo, exec_lo, s49
	global_load_u8 v31, v[29:30], off offset:384
	v_dual_mov_b32 v59, 0 :: v_dual_mov_b32 v60, 0
	s_mov_b32 s49, exec_lo
	s_waitcnt vmcnt(0)
	v_cmpx_ne_u16_e32 0, v31
	s_cbranch_execz .LBB209_120
; %bb.113:                              ;   in Loop: Header=BB209_13 Depth=1
	v_bfrev_b32_e32 v60, 1
	s_mov_b32 s50, exec_lo
	v_cmpx_ne_u16_e32 0x80, v31
	s_cbranch_execz .LBB209_119
; %bb.114:                              ;   in Loop: Header=BB209_13 Depth=1
	v_and_b32_e32 v23, 0xffff, v31
	v_mov_b32_e32 v60, 0x7f800001
	s_mov_b32 s51, exec_lo
	s_delay_alu instid0(VALU_DEP_2) | instskip(NEXT) | instid1(VALU_DEP_1)
	v_and_b32_e32 v61, 0x7f, v23
	v_cmpx_ne_u32_e32 0x7f, v61
	s_cbranch_execz .LBB209_118
; %bb.115:                              ;   in Loop: Header=BB209_13 Depth=1
	v_and_b32_e32 v23, 7, v23
	v_lshrrev_b32_e32 v32, 3, v61
	s_mov_b32 s52, exec_lo
	v_cmpx_gt_u32_e32 8, v61
; %bb.116:                              ;   in Loop: Header=BB209_13 Depth=1
	s_delay_alu instid0(VALU_DEP_3) | instskip(NEXT) | instid1(VALU_DEP_1)
	v_clz_i32_u32_e32 v32, v23
	v_min_u32_e32 v32, 32, v32
	s_delay_alu instid0(VALU_DEP_1) | instskip(SKIP_1) | instid1(VALU_DEP_2)
	v_subrev_nc_u32_e32 v60, 28, v32
	v_sub_nc_u32_e32 v32, 29, v32
	v_lshlrev_b64 v[60:61], v60, v[23:24]
	s_delay_alu instid0(VALU_DEP_1)
	v_and_b32_e32 v23, 7, v60
; %bb.117:                              ;   in Loop: Header=BB209_13 Depth=1
	s_or_b32 exec_lo, exec_lo, s52
	v_lshlrev_b32_e32 v31, 24, v31
	s_delay_alu instid0(VALU_DEP_2) | instskip(SKIP_1) | instid1(VALU_DEP_3)
	v_lshlrev_b32_e32 v23, 20, v23
	v_lshl_add_u32 v32, v32, 23, 0x3c000000
	v_and_b32_e32 v31, 0x80000000, v31
	s_delay_alu instid0(VALU_DEP_1)
	v_or3_b32 v60, v23, v31, v32
.LBB209_118:                            ;   in Loop: Header=BB209_13 Depth=1
	s_or_b32 exec_lo, exec_lo, s51
.LBB209_119:                            ;   in Loop: Header=BB209_13 Depth=1
	s_delay_alu instid0(SALU_CYCLE_1)
	s_or_b32 exec_lo, exec_lo, s50
.LBB209_120:                            ;   in Loop: Header=BB209_13 Depth=1
	s_delay_alu instid0(SALU_CYCLE_1)
	s_or_b32 exec_lo, exec_lo, s49
	global_load_u8 v31, v[29:30], off offset:388
	s_mov_b32 s49, exec_lo
	s_waitcnt vmcnt(0)
	v_cmpx_ne_u16_e32 0, v31
	s_cbranch_execz .LBB209_128
; %bb.121:                              ;   in Loop: Header=BB209_13 Depth=1
	v_bfrev_b32_e32 v59, 1
	s_mov_b32 s50, exec_lo
	v_cmpx_ne_u16_e32 0x80, v31
	s_cbranch_execz .LBB209_127
; %bb.122:                              ;   in Loop: Header=BB209_13 Depth=1
	v_and_b32_e32 v23, 0xffff, v31
	v_mov_b32_e32 v59, 0x7f800001
	s_mov_b32 s51, exec_lo
	s_delay_alu instid0(VALU_DEP_2) | instskip(NEXT) | instid1(VALU_DEP_1)
	v_and_b32_e32 v61, 0x7f, v23
	v_cmpx_ne_u32_e32 0x7f, v61
	s_cbranch_execz .LBB209_126
; %bb.123:                              ;   in Loop: Header=BB209_13 Depth=1
	v_and_b32_e32 v23, 7, v23
	v_lshrrev_b32_e32 v32, 3, v61
	s_mov_b32 s52, exec_lo
	v_cmpx_gt_u32_e32 8, v61
; %bb.124:                              ;   in Loop: Header=BB209_13 Depth=1
	s_delay_alu instid0(VALU_DEP_3) | instskip(NEXT) | instid1(VALU_DEP_1)
	v_clz_i32_u32_e32 v32, v23
	v_min_u32_e32 v32, 32, v32
	s_delay_alu instid0(VALU_DEP_1) | instskip(SKIP_1) | instid1(VALU_DEP_2)
	v_subrev_nc_u32_e32 v59, 28, v32
	v_sub_nc_u32_e32 v32, 29, v32
	v_lshlrev_b64 v[61:62], v59, v[23:24]
	s_delay_alu instid0(VALU_DEP_1)
	v_and_b32_e32 v23, 7, v61
; %bb.125:                              ;   in Loop: Header=BB209_13 Depth=1
	s_or_b32 exec_lo, exec_lo, s52
	v_lshlrev_b32_e32 v31, 24, v31
	s_delay_alu instid0(VALU_DEP_2) | instskip(SKIP_1) | instid1(VALU_DEP_3)
	v_lshlrev_b32_e32 v23, 20, v23
	v_lshl_add_u32 v32, v32, 23, 0x3c000000
	v_and_b32_e32 v31, 0x80000000, v31
	s_delay_alu instid0(VALU_DEP_1)
	v_or3_b32 v59, v23, v31, v32
.LBB209_126:                            ;   in Loop: Header=BB209_13 Depth=1
	s_or_b32 exec_lo, exec_lo, s51
.LBB209_127:                            ;   in Loop: Header=BB209_13 Depth=1
	s_delay_alu instid0(SALU_CYCLE_1)
	s_or_b32 exec_lo, exec_lo, s50
.LBB209_128:                            ;   in Loop: Header=BB209_13 Depth=1
	s_delay_alu instid0(SALU_CYCLE_1) | instskip(SKIP_1) | instid1(VALU_DEP_1)
	s_or_b32 exec_lo, exec_lo, s49
	v_add_co_u32 v31, s1, 0x180, v29
	v_add_co_ci_u32_e64 v32, s1, 0, v30, s1
	v_dual_mov_b32 v61, 0 :: v_dual_mov_b32 v62, 0
	s_mov_b32 s49, exec_lo
	global_load_u8 v63, v[31:32], off offset:8
	s_waitcnt vmcnt(0)
	v_cmpx_ne_u16_e32 0, v63
	s_cbranch_execz .LBB209_136
; %bb.129:                              ;   in Loop: Header=BB209_13 Depth=1
	v_bfrev_b32_e32 v62, 1
	s_mov_b32 s50, exec_lo
	v_cmpx_ne_u16_e32 0x80, v63
	s_cbranch_execz .LBB209_135
; %bb.130:                              ;   in Loop: Header=BB209_13 Depth=1
	v_and_b32_e32 v23, 0xffff, v63
	v_mov_b32_e32 v62, 0x7f800001
	s_mov_b32 s51, exec_lo
	s_delay_alu instid0(VALU_DEP_2) | instskip(NEXT) | instid1(VALU_DEP_1)
	v_and_b32_e32 v64, 0x7f, v23
	v_cmpx_ne_u32_e32 0x7f, v64
	s_cbranch_execz .LBB209_134
; %bb.131:                              ;   in Loop: Header=BB209_13 Depth=1
	v_and_b32_e32 v23, 7, v23
	v_lshrrev_b32_e32 v62, 3, v64
	s_mov_b32 s52, exec_lo
	v_cmpx_gt_u32_e32 8, v64
; %bb.132:                              ;   in Loop: Header=BB209_13 Depth=1
	s_delay_alu instid0(VALU_DEP_3) | instskip(NEXT) | instid1(VALU_DEP_1)
	v_clz_i32_u32_e32 v62, v23
	v_min_u32_e32 v62, 32, v62
	s_delay_alu instid0(VALU_DEP_1) | instskip(SKIP_1) | instid1(VALU_DEP_2)
	v_subrev_nc_u32_e32 v64, 28, v62
	v_sub_nc_u32_e32 v62, 29, v62
	v_lshlrev_b64 v[64:65], v64, v[23:24]
	s_delay_alu instid0(VALU_DEP_1)
	v_and_b32_e32 v23, 7, v64
; %bb.133:                              ;   in Loop: Header=BB209_13 Depth=1
	s_or_b32 exec_lo, exec_lo, s52
	v_lshlrev_b32_e32 v63, 24, v63
	s_delay_alu instid0(VALU_DEP_2) | instskip(SKIP_1) | instid1(VALU_DEP_3)
	v_lshlrev_b32_e32 v23, 20, v23
	v_lshl_add_u32 v62, v62, 23, 0x3c000000
	v_and_b32_e32 v63, 0x80000000, v63
	s_delay_alu instid0(VALU_DEP_1)
	v_or3_b32 v62, v23, v63, v62
.LBB209_134:                            ;   in Loop: Header=BB209_13 Depth=1
	s_or_b32 exec_lo, exec_lo, s51
.LBB209_135:                            ;   in Loop: Header=BB209_13 Depth=1
	s_delay_alu instid0(SALU_CYCLE_1)
	s_or_b32 exec_lo, exec_lo, s50
.LBB209_136:                            ;   in Loop: Header=BB209_13 Depth=1
	s_delay_alu instid0(SALU_CYCLE_1)
	s_or_b32 exec_lo, exec_lo, s49
	global_load_u8 v31, v[31:32], off offset:12
	s_mov_b32 s49, exec_lo
	s_waitcnt vmcnt(0)
	v_cmpx_ne_u16_e32 0, v31
	s_cbranch_execz .LBB209_144
; %bb.137:                              ;   in Loop: Header=BB209_13 Depth=1
	v_bfrev_b32_e32 v61, 1
	s_mov_b32 s50, exec_lo
	v_cmpx_ne_u16_e32 0x80, v31
	s_cbranch_execz .LBB209_143
; %bb.138:                              ;   in Loop: Header=BB209_13 Depth=1
	v_and_b32_e32 v23, 0xffff, v31
	v_mov_b32_e32 v61, 0x7f800001
	s_mov_b32 s51, exec_lo
	s_delay_alu instid0(VALU_DEP_2) | instskip(NEXT) | instid1(VALU_DEP_1)
	v_and_b32_e32 v63, 0x7f, v23
	v_cmpx_ne_u32_e32 0x7f, v63
	s_cbranch_execz .LBB209_142
; %bb.139:                              ;   in Loop: Header=BB209_13 Depth=1
	v_and_b32_e32 v23, 7, v23
	v_lshrrev_b32_e32 v32, 3, v63
	s_mov_b32 s52, exec_lo
	v_cmpx_gt_u32_e32 8, v63
; %bb.140:                              ;   in Loop: Header=BB209_13 Depth=1
	s_delay_alu instid0(VALU_DEP_3) | instskip(NEXT) | instid1(VALU_DEP_1)
	v_clz_i32_u32_e32 v32, v23
	v_min_u32_e32 v32, 32, v32
	s_delay_alu instid0(VALU_DEP_1) | instskip(SKIP_1) | instid1(VALU_DEP_2)
	v_subrev_nc_u32_e32 v61, 28, v32
	v_sub_nc_u32_e32 v32, 29, v32
	v_lshlrev_b64 v[63:64], v61, v[23:24]
	s_delay_alu instid0(VALU_DEP_1)
	v_and_b32_e32 v23, 7, v63
; %bb.141:                              ;   in Loop: Header=BB209_13 Depth=1
	s_or_b32 exec_lo, exec_lo, s52
	v_lshlrev_b32_e32 v31, 24, v31
	s_delay_alu instid0(VALU_DEP_2) | instskip(SKIP_1) | instid1(VALU_DEP_3)
	v_lshlrev_b32_e32 v23, 20, v23
	v_lshl_add_u32 v32, v32, 23, 0x3c000000
	v_and_b32_e32 v31, 0x80000000, v31
	s_delay_alu instid0(VALU_DEP_1)
	v_or3_b32 v61, v23, v31, v32
.LBB209_142:                            ;   in Loop: Header=BB209_13 Depth=1
	s_or_b32 exec_lo, exec_lo, s51
.LBB209_143:                            ;   in Loop: Header=BB209_13 Depth=1
	s_delay_alu instid0(SALU_CYCLE_1)
	s_or_b32 exec_lo, exec_lo, s50
.LBB209_144:                            ;   in Loop: Header=BB209_13 Depth=1
	s_delay_alu instid0(SALU_CYCLE_1)
	s_or_b32 exec_lo, exec_lo, s49
	global_load_u8 v63, v[29:30], off offset:512
	v_dual_mov_b32 v31, 0 :: v_dual_mov_b32 v32, 0
	s_mov_b32 s49, exec_lo
	s_waitcnt vmcnt(0)
	v_cmpx_ne_u16_e32 0, v63
	s_cbranch_execz .LBB209_152
; %bb.145:                              ;   in Loop: Header=BB209_13 Depth=1
	v_bfrev_b32_e32 v32, 1
	s_mov_b32 s50, exec_lo
	v_cmpx_ne_u16_e32 0x80, v63
	s_cbranch_execz .LBB209_151
; %bb.146:                              ;   in Loop: Header=BB209_13 Depth=1
	v_and_b32_e32 v23, 0xffff, v63
	v_mov_b32_e32 v32, 0x7f800001
	s_mov_b32 s51, exec_lo
	s_delay_alu instid0(VALU_DEP_2) | instskip(NEXT) | instid1(VALU_DEP_1)
	v_and_b32_e32 v64, 0x7f, v23
	v_cmpx_ne_u32_e32 0x7f, v64
	s_cbranch_execz .LBB209_150
; %bb.147:                              ;   in Loop: Header=BB209_13 Depth=1
	v_and_b32_e32 v23, 7, v23
	v_lshrrev_b32_e32 v32, 3, v64
	s_mov_b32 s52, exec_lo
	v_cmpx_gt_u32_e32 8, v64
; %bb.148:                              ;   in Loop: Header=BB209_13 Depth=1
	s_delay_alu instid0(VALU_DEP_3) | instskip(NEXT) | instid1(VALU_DEP_1)
	v_clz_i32_u32_e32 v32, v23
	v_min_u32_e32 v32, 32, v32
	s_delay_alu instid0(VALU_DEP_1) | instskip(SKIP_1) | instid1(VALU_DEP_2)
	v_subrev_nc_u32_e32 v64, 28, v32
	v_sub_nc_u32_e32 v32, 29, v32
	v_lshlrev_b64 v[64:65], v64, v[23:24]
	s_delay_alu instid0(VALU_DEP_1)
	v_and_b32_e32 v23, 7, v64
; %bb.149:                              ;   in Loop: Header=BB209_13 Depth=1
	s_or_b32 exec_lo, exec_lo, s52
	v_lshlrev_b32_e32 v63, 24, v63
	s_delay_alu instid0(VALU_DEP_2) | instskip(SKIP_1) | instid1(VALU_DEP_3)
	v_lshlrev_b32_e32 v23, 20, v23
	v_lshl_add_u32 v32, v32, 23, 0x3c000000
	v_and_b32_e32 v63, 0x80000000, v63
	s_delay_alu instid0(VALU_DEP_1)
	v_or3_b32 v32, v23, v63, v32
.LBB209_150:                            ;   in Loop: Header=BB209_13 Depth=1
	s_or_b32 exec_lo, exec_lo, s51
.LBB209_151:                            ;   in Loop: Header=BB209_13 Depth=1
	s_delay_alu instid0(SALU_CYCLE_1)
	s_or_b32 exec_lo, exec_lo, s50
.LBB209_152:                            ;   in Loop: Header=BB209_13 Depth=1
	s_delay_alu instid0(SALU_CYCLE_1)
	s_or_b32 exec_lo, exec_lo, s49
	global_load_u8 v63, v[29:30], off offset:516
	s_mov_b32 s49, exec_lo
	s_waitcnt vmcnt(0)
	v_cmpx_ne_u16_e32 0, v63
	s_cbranch_execz .LBB209_160
; %bb.153:                              ;   in Loop: Header=BB209_13 Depth=1
	v_bfrev_b32_e32 v31, 1
	s_mov_b32 s50, exec_lo
	v_cmpx_ne_u16_e32 0x80, v63
	s_cbranch_execz .LBB209_159
; %bb.154:                              ;   in Loop: Header=BB209_13 Depth=1
	v_and_b32_e32 v23, 0xffff, v63
	v_mov_b32_e32 v31, 0x7f800001
	s_mov_b32 s51, exec_lo
	s_delay_alu instid0(VALU_DEP_2) | instskip(NEXT) | instid1(VALU_DEP_1)
	v_and_b32_e32 v64, 0x7f, v23
	v_cmpx_ne_u32_e32 0x7f, v64
	s_cbranch_execz .LBB209_158
; %bb.155:                              ;   in Loop: Header=BB209_13 Depth=1
	v_and_b32_e32 v23, 7, v23
	v_lshrrev_b32_e32 v31, 3, v64
	s_mov_b32 s52, exec_lo
	v_cmpx_gt_u32_e32 8, v64
; %bb.156:                              ;   in Loop: Header=BB209_13 Depth=1
	s_delay_alu instid0(VALU_DEP_3) | instskip(NEXT) | instid1(VALU_DEP_1)
	v_clz_i32_u32_e32 v31, v23
	v_min_u32_e32 v31, 32, v31
	s_delay_alu instid0(VALU_DEP_1) | instskip(SKIP_1) | instid1(VALU_DEP_2)
	v_subrev_nc_u32_e32 v64, 28, v31
	v_sub_nc_u32_e32 v31, 29, v31
	v_lshlrev_b64 v[64:65], v64, v[23:24]
	s_delay_alu instid0(VALU_DEP_1)
	v_and_b32_e32 v23, 7, v64
; %bb.157:                              ;   in Loop: Header=BB209_13 Depth=1
	s_or_b32 exec_lo, exec_lo, s52
	v_lshlrev_b32_e32 v63, 24, v63
	s_delay_alu instid0(VALU_DEP_2) | instskip(SKIP_1) | instid1(VALU_DEP_3)
	v_lshlrev_b32_e32 v23, 20, v23
	v_lshl_add_u32 v31, v31, 23, 0x3c000000
	v_and_b32_e32 v63, 0x80000000, v63
	s_delay_alu instid0(VALU_DEP_1)
	v_or3_b32 v31, v23, v63, v31
.LBB209_158:                            ;   in Loop: Header=BB209_13 Depth=1
	s_or_b32 exec_lo, exec_lo, s51
.LBB209_159:                            ;   in Loop: Header=BB209_13 Depth=1
	s_delay_alu instid0(SALU_CYCLE_1)
	s_or_b32 exec_lo, exec_lo, s50
.LBB209_160:                            ;   in Loop: Header=BB209_13 Depth=1
	s_delay_alu instid0(SALU_CYCLE_1) | instskip(SKIP_1) | instid1(VALU_DEP_1)
	s_or_b32 exec_lo, exec_lo, s49
	v_add_co_u32 v29, s1, 0x200, v29
	v_add_co_ci_u32_e64 v30, s1, 0, v30, s1
	v_dual_mov_b32 v63, 0 :: v_dual_mov_b32 v64, 0
	s_mov_b32 s49, exec_lo
	global_load_u8 v65, v[29:30], off offset:8
	s_waitcnt vmcnt(0)
	v_cmpx_ne_u16_e32 0, v65
	s_cbranch_execz .LBB209_168
; %bb.161:                              ;   in Loop: Header=BB209_13 Depth=1
	v_bfrev_b32_e32 v64, 1
	s_mov_b32 s50, exec_lo
	v_cmpx_ne_u16_e32 0x80, v65
	s_cbranch_execz .LBB209_167
; %bb.162:                              ;   in Loop: Header=BB209_13 Depth=1
	v_and_b32_e32 v23, 0xffff, v65
	v_mov_b32_e32 v64, 0x7f800001
	s_mov_b32 s51, exec_lo
	s_delay_alu instid0(VALU_DEP_2) | instskip(NEXT) | instid1(VALU_DEP_1)
	v_and_b32_e32 v66, 0x7f, v23
	v_cmpx_ne_u32_e32 0x7f, v66
	s_cbranch_execz .LBB209_166
; %bb.163:                              ;   in Loop: Header=BB209_13 Depth=1
	v_and_b32_e32 v23, 7, v23
	v_lshrrev_b32_e32 v64, 3, v66
	s_mov_b32 s52, exec_lo
	v_cmpx_gt_u32_e32 8, v66
; %bb.164:                              ;   in Loop: Header=BB209_13 Depth=1
	s_delay_alu instid0(VALU_DEP_3) | instskip(NEXT) | instid1(VALU_DEP_1)
	v_clz_i32_u32_e32 v64, v23
	v_min_u32_e32 v64, 32, v64
	s_delay_alu instid0(VALU_DEP_1) | instskip(SKIP_1) | instid1(VALU_DEP_2)
	v_subrev_nc_u32_e32 v66, 28, v64
	v_sub_nc_u32_e32 v64, 29, v64
	v_lshlrev_b64 v[66:67], v66, v[23:24]
	s_delay_alu instid0(VALU_DEP_1)
	v_and_b32_e32 v23, 7, v66
; %bb.165:                              ;   in Loop: Header=BB209_13 Depth=1
	s_or_b32 exec_lo, exec_lo, s52
	v_lshlrev_b32_e32 v65, 24, v65
	s_delay_alu instid0(VALU_DEP_2) | instskip(SKIP_1) | instid1(VALU_DEP_3)
	v_lshlrev_b32_e32 v23, 20, v23
	v_lshl_add_u32 v64, v64, 23, 0x3c000000
	v_and_b32_e32 v65, 0x80000000, v65
	s_delay_alu instid0(VALU_DEP_1)
	v_or3_b32 v64, v23, v65, v64
.LBB209_166:                            ;   in Loop: Header=BB209_13 Depth=1
	s_or_b32 exec_lo, exec_lo, s51
.LBB209_167:                            ;   in Loop: Header=BB209_13 Depth=1
	s_delay_alu instid0(SALU_CYCLE_1)
	s_or_b32 exec_lo, exec_lo, s50
.LBB209_168:                            ;   in Loop: Header=BB209_13 Depth=1
	s_delay_alu instid0(SALU_CYCLE_1)
	s_or_b32 exec_lo, exec_lo, s49
	global_load_u8 v29, v[29:30], off offset:12
	s_mov_b32 s49, exec_lo
	s_waitcnt vmcnt(0)
	v_cmpx_ne_u16_e32 0, v29
	s_cbranch_execz .LBB209_176
; %bb.169:                              ;   in Loop: Header=BB209_13 Depth=1
	v_bfrev_b32_e32 v63, 1
	s_mov_b32 s50, exec_lo
	v_cmpx_ne_u16_e32 0x80, v29
	s_cbranch_execz .LBB209_175
; %bb.170:                              ;   in Loop: Header=BB209_13 Depth=1
	v_and_b32_e32 v23, 0xffff, v29
	v_mov_b32_e32 v63, 0x7f800001
	s_mov_b32 s51, exec_lo
	s_delay_alu instid0(VALU_DEP_2) | instskip(NEXT) | instid1(VALU_DEP_1)
	v_and_b32_e32 v65, 0x7f, v23
	v_cmpx_ne_u32_e32 0x7f, v65
	s_cbranch_execz .LBB209_174
; %bb.171:                              ;   in Loop: Header=BB209_13 Depth=1
	v_and_b32_e32 v23, 7, v23
	v_lshrrev_b32_e32 v30, 3, v65
	s_mov_b32 s52, exec_lo
	v_cmpx_gt_u32_e32 8, v65
; %bb.172:                              ;   in Loop: Header=BB209_13 Depth=1
	s_delay_alu instid0(VALU_DEP_3) | instskip(NEXT) | instid1(VALU_DEP_1)
	v_clz_i32_u32_e32 v30, v23
	v_min_u32_e32 v30, 32, v30
	s_delay_alu instid0(VALU_DEP_1) | instskip(SKIP_1) | instid1(VALU_DEP_2)
	v_subrev_nc_u32_e32 v63, 28, v30
	v_sub_nc_u32_e32 v30, 29, v30
	v_lshlrev_b64 v[65:66], v63, v[23:24]
	s_delay_alu instid0(VALU_DEP_1)
	v_and_b32_e32 v23, 7, v65
; %bb.173:                              ;   in Loop: Header=BB209_13 Depth=1
	s_or_b32 exec_lo, exec_lo, s52
	v_lshlrev_b32_e32 v29, 24, v29
	s_delay_alu instid0(VALU_DEP_2) | instskip(SKIP_1) | instid1(VALU_DEP_3)
	v_lshlrev_b32_e32 v23, 20, v23
	v_lshl_add_u32 v30, v30, 23, 0x3c000000
	v_and_b32_e32 v29, 0x80000000, v29
	s_delay_alu instid0(VALU_DEP_1)
	v_or3_b32 v63, v23, v29, v30
.LBB209_174:                            ;   in Loop: Header=BB209_13 Depth=1
	s_or_b32 exec_lo, exec_lo, s51
.LBB209_175:                            ;   in Loop: Header=BB209_13 Depth=1
	s_delay_alu instid0(SALU_CYCLE_1)
	s_or_b32 exec_lo, exec_lo, s50
.LBB209_176:                            ;   in Loop: Header=BB209_13 Depth=1
	s_delay_alu instid0(SALU_CYCLE_1) | instskip(SKIP_3) | instid1(VALU_DEP_1)
	s_or_b32 exec_lo, exec_lo, s49
	s_waitcnt lgkmcnt(0)
	v_mul_f32_e32 v29, s48, v48
	v_mul_f32_e32 v23, s48, v47
	v_mul_f32_e32 v18, v18, v23
	s_delay_alu instid0(VALU_DEP_1) | instskip(SKIP_2) | instid1(VALU_DEP_1)
	v_fmac_f32_e32 v18, v17, v29
	v_mul_f32_e32 v17, s48, v49
	v_mul_f32_e32 v23, s48, v50
	v_fmac_f32_e32 v18, v19, v23
	s_delay_alu instid0(VALU_DEP_1) | instskip(SKIP_1) | instid1(VALU_DEP_1)
	v_dual_fmac_f32 v18, v20, v17 :: v_dual_mul_f32 v17, s48, v51
	v_mul_f32_e32 v19, s48, v52
	v_dual_fmac_f32 v18, v13, v19 :: v_dual_mul_f32 v13, s48, v54
	s_delay_alu instid0(VALU_DEP_1) | instskip(SKIP_1) | instid1(VALU_DEP_2)
	v_fmac_f32_e32 v18, v14, v17
	v_mul_f32_e32 v14, s48, v53
	v_dual_fmac_f32 v18, v15, v13 :: v_dual_mul_f32 v13, s48, v56
	s_delay_alu instid0(VALU_DEP_1) | instskip(SKIP_1) | instid1(VALU_DEP_2)
	v_fmac_f32_e32 v18, v16, v14
	;; [unrolled: 4-line block ×6, first 2 shown]
	v_mul_f32_e32 v6, s48, v31
	v_fmac_f32_e32 v18, v1, v5
	v_xor_b32_e32 v1, 2, v37
	s_delay_alu instid0(VALU_DEP_2) | instskip(NEXT) | instid1(VALU_DEP_2)
	v_dual_mul_f32 v5, s48, v64 :: v_dual_fmac_f32 v18, v2, v6
	v_cmp_gt_i32_e64 s1, 32, v1
	v_mul_f32_e32 v2, s48, v63
	s_delay_alu instid0(VALU_DEP_3) | instskip(NEXT) | instid1(VALU_DEP_3)
	v_fmac_f32_e32 v18, v3, v5
	v_cndmask_b32_e64 v1, v37, v1, s1
	s_delay_alu instid0(VALU_DEP_1) | instskip(SKIP_3) | instid1(VALU_DEP_1)
	v_dual_fmac_f32 v18, v4, v2 :: v_dual_lshlrev_b32 v1, 2, v1
	v_xor_b32_e32 v2, 1, v37
	ds_bpermute_b32 v1, v1, v18
	v_cmp_gt_i32_e64 s1, 32, v2
	v_cndmask_b32_e64 v2, v37, v2, s1
	s_waitcnt lgkmcnt(0)
	s_delay_alu instid0(VALU_DEP_1)
	v_dual_add_f32 v1, v18, v1 :: v_dual_lshlrev_b32 v2, 2, v2
	ds_bpermute_b32 v2, v2, v1
	s_and_saveexec_b32 s48, vcc_lo
	s_cbranch_execz .LBB209_11
; %bb.177:                              ;   in Loop: Header=BB209_13 Depth=1
	v_add_nc_u32_e32 v3, v43, v41
	s_waitcnt lgkmcnt(0)
	v_add_f32_e32 v1, v1, v2
	s_delay_alu instid0(VALU_DEP_2) | instskip(NEXT) | instid1(VALU_DEP_1)
	v_cvt_f32_i32_e32 v3, v3
	v_mul_f32_e32 v3, s42, v3
	s_delay_alu instid0(VALU_DEP_1) | instskip(NEXT) | instid1(VALU_DEP_1)
	v_cndmask_b32_e64 v2, 0, v3, s0
	v_dual_max_f32 v3, v38, v38 :: v_dual_fmac_f32 v2, s39, v1
	v_add_nc_u32_e32 v1, v39, v41
	s_delay_alu instid0(VALU_DEP_2) | instskip(NEXT) | instid1(VALU_DEP_2)
	v_max_f32_e32 v3, v3, v2
	v_cmp_gt_i32_e64 s1, s33, v1
	s_delay_alu instid0(VALU_DEP_1) | instskip(NEXT) | instid1(VALU_DEP_3)
	v_cndmask_b32_e64 v1, 0, v2, s1
	v_cndmask_b32_e64 v38, v38, v3, s1
	ds_store_b32 v44, v1
	s_branch .LBB209_11
.LBB209_178:
	s_or_b32 exec_lo, exec_lo, s46
.LBB209_179:
	s_delay_alu instid0(SALU_CYCLE_1) | instskip(SKIP_3) | instid1(VALU_DEP_3)
	s_or_b32 exec_lo, exec_lo, s43
	v_xor_b32_e32 v1, 16, v37
	v_xor_b32_e32 v3, 8, v37
	v_dual_max_f32 v5, v38, v38 :: v_dual_and_b32 v20, 31, v0
	v_cmp_gt_i32_e32 vcc_lo, 32, v1
	v_cndmask_b32_e32 v1, v37, v1, vcc_lo
	s_delay_alu instid0(VALU_DEP_4) | instskip(SKIP_1) | instid1(VALU_DEP_1)
	v_cmp_gt_i32_e32 vcc_lo, 32, v3
	v_cndmask_b32_e32 v3, v37, v3, vcc_lo
	v_lshlrev_b32_e32 v4, 2, v3
	s_waitcnt lgkmcnt(0)
	v_lshlrev_b32_e32 v2, 2, v1
	ds_bpermute_b32 v1, v2, v38
	s_waitcnt lgkmcnt(0)
	v_max_f32_e32 v1, v1, v1
	s_delay_alu instid0(VALU_DEP_1)
	v_max_f32_e32 v1, v5, v1
	v_xor_b32_e32 v5, 4, v37
	ds_bpermute_b32 v3, v4, v1
	v_cmp_gt_i32_e32 vcc_lo, 32, v5
	v_cndmask_b32_e32 v5, v37, v5, vcc_lo
	v_cmp_eq_u32_e32 vcc_lo, 0, v20
	s_delay_alu instid0(VALU_DEP_2) | instskip(SKIP_3) | instid1(VALU_DEP_1)
	v_lshlrev_b32_e32 v7, 2, v5
	v_lshlrev_b32_e32 v5, 2, v33
	s_waitcnt lgkmcnt(0)
	v_max_f32_e32 v3, v3, v3
	v_max_f32_e32 v1, v1, v3
	ds_bpermute_b32 v3, v7, v1
	s_and_saveexec_b32 s0, vcc_lo
	s_cbranch_execz .LBB209_181
; %bb.180:
	s_waitcnt lgkmcnt(0)
	v_max_f32_e32 v3, v3, v3
	v_max_f32_e32 v1, v1, v1
	s_delay_alu instid0(VALU_DEP_1)
	v_max_f32_e32 v1, v1, v3
	ds_store_b32 v5, v1 offset:320
.LBB209_181:
	s_or_b32 exec_lo, exec_lo, s0
	v_cmp_gt_u32_e64 s0, 4, v20
	v_dual_mov_b32 v1, 0xff7fffff :: v_dual_lshlrev_b32 v6, 2, v20
	s_waitcnt lgkmcnt(0)
	s_barrier
	buffer_gl0_inv
	s_and_saveexec_b32 s1, s0
	s_cbranch_execz .LBB209_183
; %bb.182:
	ds_load_b32 v1, v6 offset:320
.LBB209_183:
	s_or_b32 exec_lo, exec_lo, s1
	v_xor_b32_e32 v3, 2, v37
	v_xor_b32_e32 v9, 1, v37
	s_delay_alu instid0(VALU_DEP_2) | instskip(NEXT) | instid1(VALU_DEP_1)
	v_cmp_gt_i32_e64 s1, 32, v3
	v_cndmask_b32_e64 v3, v37, v3, s1
	s_delay_alu instid0(VALU_DEP_3) | instskip(NEXT) | instid1(VALU_DEP_2)
	v_cmp_gt_i32_e64 s1, 32, v9
	v_lshlrev_b32_e32 v8, 2, v3
	s_delay_alu instid0(VALU_DEP_2) | instskip(SKIP_1) | instid1(SALU_CYCLE_1)
	v_cndmask_b32_e64 v9, v37, v9, s1
	s_sub_i32 s1, s38, s4
	s_lshl_b32 s1, s1, 3
	s_waitcnt lgkmcnt(0)
	ds_bpermute_b32 v3, v8, v1
	v_max_f32_e32 v1, v1, v1
	s_add_i32 s1, s1, s15
	v_dual_mov_b32 v9, 0 :: v_dual_lshlrev_b32 v28, 2, v9
	s_min_i32 s1, s1, s33
	s_delay_alu instid0(SALU_CYCLE_1) | instskip(NEXT) | instid1(SALU_CYCLE_1)
	s_sub_i32 s4, s1, s15
	v_cmp_gt_i32_e64 s1, s4, v0
	s_waitcnt lgkmcnt(0)
	v_max_f32_e32 v3, v3, v3
	s_delay_alu instid0(VALU_DEP_1) | instskip(SKIP_3) | instid1(VALU_DEP_1)
	v_max_f32_e32 v1, v1, v3
	ds_bpermute_b32 v3, v28, v1
	s_waitcnt lgkmcnt(0)
	v_max_f32_e32 v3, v3, v3
	v_max_f32_e32 v1, v1, v3
	v_lshl_add_u32 v3, v0, 2, 0x160
	ds_bpermute_b32 v1, v9, v1
	s_and_saveexec_b32 s8, s1
	s_cbranch_execz .LBB209_187
; %bb.184:
	v_lshl_add_u32 v10, v0, 2, 0x160
	v_mov_b32_e32 v9, 0
	v_mov_b32_e32 v11, v0
	s_mov_b32 s9, 0
	.p2align	6
.LBB209_185:                            ; =>This Inner Loop Header: Depth=1
	ds_load_b32 v12, v10
	v_add_nc_u32_e32 v11, 0x80, v11
	s_delay_alu instid0(VALU_DEP_1) | instskip(NEXT) | instid1(VALU_DEP_1)
	v_cmp_le_i32_e64 s3, s4, v11
	s_or_b32 s9, s3, s9
	s_waitcnt lgkmcnt(0)
	v_sub_f32_e32 v12, v12, v1
	s_delay_alu instid0(VALU_DEP_1) | instskip(NEXT) | instid1(VALU_DEP_1)
	v_mul_f32_e32 v12, 0x3fb8aa3b, v12
	v_exp_f32_e32 v12, v12
	ds_store_b32 v10, v12
	v_dual_add_f32 v9, v9, v12 :: v_dual_add_nc_u32 v10, 0x200, v10
	s_and_not1_b32 exec_lo, exec_lo, s9
	s_cbranch_execnz .LBB209_185
; %bb.186:
	s_or_b32 exec_lo, exec_lo, s9
.LBB209_187:
	s_delay_alu instid0(SALU_CYCLE_1)
	s_or_b32 exec_lo, exec_lo, s8
	ds_bpermute_b32 v2, v2, v9
	s_waitcnt lgkmcnt(0)
	v_add_f32_e32 v2, v9, v2
	ds_bpermute_b32 v4, v4, v2
	s_waitcnt lgkmcnt(0)
	v_add_f32_e32 v2, v2, v4
	;; [unrolled: 3-line block ×5, first 2 shown]
	s_and_saveexec_b32 s3, vcc_lo
	s_cbranch_execz .LBB209_189
; %bb.188:
	ds_store_b32 v5, v2 offset:336
.LBB209_189:
	s_or_b32 exec_lo, exec_lo, s3
	s_waitcnt lgkmcnt(0)
	s_barrier
	buffer_gl0_inv
	s_and_saveexec_b32 s3, s0
	s_cbranch_execz .LBB209_191
; %bb.190:
	ds_load_b32 v2, v6 offset:336
.LBB209_191:
	s_or_b32 exec_lo, exec_lo, s3
	s_waitcnt lgkmcnt(0)
	ds_bpermute_b32 v4, v8, v2
	s_waitcnt lgkmcnt(0)
	v_add_f32_e32 v2, v2, v4
	ds_bpermute_b32 v4, v28, v2
	s_waitcnt lgkmcnt(0)
	v_add_f32_e32 v2, v2, v4
	v_mov_b32_e32 v4, 0
	ds_bpermute_b32 v2, v4, v2
	s_and_saveexec_b32 s0, s1
	s_cbranch_execz .LBB209_194
; %bb.192:
	s_waitcnt lgkmcnt(0)
	v_add_f32_e32 v4, 0x358637bd, v2
	s_mov_b32 s1, 0
	s_delay_alu instid0(VALU_DEP_1) | instskip(SKIP_1) | instid1(VALU_DEP_2)
	v_div_scale_f32 v5, null, v4, v4, 1.0
	v_div_scale_f32 v8, vcc_lo, 1.0, v4, 1.0
	v_rcp_f32_e32 v6, v5
	s_waitcnt_depctr 0xfff
	v_fma_f32 v7, -v5, v6, 1.0
	s_delay_alu instid0(VALU_DEP_1) | instskip(NEXT) | instid1(VALU_DEP_1)
	v_fmac_f32_e32 v6, v7, v6
	v_mul_f32_e32 v7, v8, v6
	s_delay_alu instid0(VALU_DEP_1) | instskip(NEXT) | instid1(VALU_DEP_1)
	v_fma_f32 v9, -v5, v7, v8
	v_fmac_f32_e32 v7, v9, v6
	s_delay_alu instid0(VALU_DEP_1) | instskip(NEXT) | instid1(VALU_DEP_1)
	v_fma_f32 v5, -v5, v7, v8
	v_div_fmas_f32 v5, v5, v6, v7
	s_delay_alu instid0(VALU_DEP_1)
	v_div_fixup_f32 v4, v5, v4, 1.0
	v_mov_b32_e32 v5, v0
.LBB209_193:                            ; =>This Inner Loop Header: Depth=1
	ds_load_b32 v6, v3
	s_waitcnt lgkmcnt(0)
	v_dual_mul_f32 v6, v4, v6 :: v_dual_add_nc_u32 v5, 0x80, v5
	s_delay_alu instid0(VALU_DEP_1) | instskip(SKIP_3) | instid1(SALU_CYCLE_1)
	v_cmp_le_i32_e32 vcc_lo, s4, v5
	ds_store_b32 v3, v6
	v_add_nc_u32_e32 v3, 0x200, v3
	s_or_b32 s1, vcc_lo, s1
	s_and_not1_b32 exec_lo, exec_lo, s1
	s_cbranch_execnz .LBB209_193
.LBB209_194:
	s_or_b32 exec_lo, exec_lo, s0
	s_mul_i32 s0, s16, s14
	s_waitcnt lgkmcnt(0)
	s_mul_i32 s14, s0, s13
	s_mov_b32 s0, exec_lo
	s_barrier
	buffer_gl0_inv
	v_cmpx_eq_u32_e32 0, v0
	s_cbranch_execz .LBB209_196
; %bb.195:
	s_ashr_i32 s15, s14, 31
	s_mul_i32 s42, s16, s28
	s_lshl_b64 s[8:9], s[14:15], 2
	v_mov_b32_e32 v3, 0
	s_add_u32 s1, s22, s8
	s_addc_u32 s3, s23, s9
	s_ashr_i32 s43, s42, 31
	s_delay_alu instid0(SALU_CYCLE_1) | instskip(NEXT) | instid1(SALU_CYCLE_1)
	s_lshl_b64 s[22:23], s[42:43], 2
	s_add_u32 s1, s1, s22
	s_addc_u32 s3, s3, s23
	s_ashr_i32 s13, s12, 31
	s_delay_alu instid0(SALU_CYCLE_1) | instskip(NEXT) | instid1(SALU_CYCLE_1)
	s_lshl_b64 s[42:43], s[12:13], 2
	s_add_u32 s44, s1, s42
	s_addc_u32 s45, s3, s43
	s_add_u32 s1, s20, s8
	s_addc_u32 s3, s21, s9
	;; [unrolled: 2-line block ×4, first 2 shown]
	s_clause 0x1
	global_store_b32 v3, v1, s[44:45]
	global_store_b32 v3, v2, s[8:9]
.LBB209_196:
	s_or_b32 exec_lo, exec_lo, s0
	v_dual_mov_b32 v5, 0 :: v_dual_mov_b32 v4, 0
	v_dual_mov_b32 v2, 0 :: v_dual_and_b32 v29, 1, v0
	v_mov_b32_e32 v3, 0
	v_mov_b32_e32 v1, 0
	s_mov_b32 s4, 0
	s_and_saveexec_b32 s1, s2
	s_cbranch_execz .LBB209_372
; %bb.197:
	s_sub_i32 s9, s7, s17
	s_ashr_i32 s0, s6, 31
	s_add_u32 s17, s36, s6
	s_addc_u32 s0, s37, s0
	s_abs_i32 s13, s18
	s_mov_b32 s15, s5
	v_cvt_f32_u32_e32 v1, s13
	s_sub_i32 s2, 0, s13
	s_mov_b32 s5, s4
	s_mov_b32 s6, s4
	;; [unrolled: 1-line block ×3, first 2 shown]
	v_rcp_iflag_f32_e32 v1, v1
	v_and_b32_e32 v30, 4, v35
	s_mov_b32 s8, s4
	v_and_b32_e32 v8, 0x7c, v35
	v_lshlrev_b32_e32 v9, 4, v29
	v_lshlrev_b64 v[6:7], 2, v[21:22]
	s_add_i32 s41, s41, -1
	v_mov_b32_e32 v15, 0
	s_waitcnt_depctr 0xfff
	v_mul_f32_e32 v1, 0x4f7ffffe, v1
	s_delay_alu instid0(VALU_DEP_1) | instskip(SKIP_2) | instid1(VALU_DEP_3)
	v_cvt_u32_f32_e32 v14, v1
	v_dual_mov_b32 v1, s4 :: v_dual_mov_b32 v2, s5
	v_dual_mov_b32 v3, s6 :: v_dual_mov_b32 v4, s7
	v_mul_lo_u32 v12, s2, v14
	v_mov_b32_e32 v5, s8
	v_add_co_u32 v10, s5, s17, v8
	s_lshl_b64 s[2:3], s[34:35], 2
	v_lshl_or_b32 v9, v33, 5, v9
	v_add_co_ci_u32_e64 v11, null, s0, 0, s5
	v_mul_hi_u32 v8, v14, v12
	s_add_u32 s0, s30, s2
	s_addc_u32 s2, s31, s3
	v_add_co_u32 v12, vcc_lo, s0, v6
	v_add_co_ci_u32_e32 v13, vcc_lo, s2, v7, vcc_lo
	v_add_nc_u32_e32 v31, 0x160, v9
	s_delay_alu instid0(VALU_DEP_4)
	v_add_nc_u32_e32 v32, v14, v8
	s_brev_b32 s5, 1
	s_mov_b32 s3, 0x7f800001
	s_branch .LBB209_200
.LBB209_198:                            ;   in Loop: Header=BB209_200 Depth=1
	s_or_b32 exec_lo, exec_lo, s0
	v_mul_f32_e32 v22, v7, v46
	v_mul_f32_e32 v19, v7, v38
	;; [unrolled: 1-line block ×3, first 2 shown]
	s_delay_alu instid0(VALU_DEP_3) | instskip(SKIP_1) | instid1(VALU_DEP_4)
	v_dual_mul_f32 v23, v7, v50 :: v_dual_fmac_f32 v22, v6, v45
	v_mul_f32_e32 v7, v7, v18
	v_fmac_f32_e32 v19, v6, v37
	s_delay_alu instid0(VALU_DEP_4) | instskip(NEXT) | instid1(VALU_DEP_4)
	v_fmac_f32_e32 v24, v6, v51
	v_dual_fmac_f32 v23, v6, v49 :: v_dual_fmac_f32 v22, v8, v44
	s_delay_alu instid0(VALU_DEP_4) | instskip(NEXT) | instid1(VALU_DEP_4)
	v_fmac_f32_e32 v7, v6, v17
	v_fmac_f32_e32 v19, v8, v36
	s_delay_alu instid0(VALU_DEP_4) | instskip(NEXT) | instid1(VALU_DEP_4)
	v_fmac_f32_e32 v24, v8, v27
	v_dual_fmac_f32 v23, v8, v48 :: v_dual_fmac_f32 v22, v9, v43
	s_delay_alu instid0(VALU_DEP_2) | instskip(NEXT) | instid1(VALU_DEP_4)
	v_dual_fmac_f32 v7, v8, v16 :: v_dual_fmac_f32 v24, v9, v26
	v_fmac_f32_e32 v19, v9, v35
	s_delay_alu instid0(VALU_DEP_3) | instskip(NEXT) | instid1(VALU_DEP_3)
	v_dual_fmac_f32 v23, v9, v47 :: v_dual_add_f32 v2, v2, v22
	v_dual_fmac_f32 v7, v9, v14 :: v_dual_add_f32 v4, v4, v24
	s_delay_alu instid0(VALU_DEP_3) | instskip(NEXT) | instid1(VALU_DEP_3)
	v_add_f32_e32 v1, v1, v19
	v_add_f32_e32 v3, v3, v23
	s_delay_alu instid0(VALU_DEP_3)
	v_add_f32_e32 v5, v5, v7
.LBB209_199:                            ;   in Loop: Header=BB209_200 Depth=1
	s_or_b32 exec_lo, exec_lo, s7
	v_add_nc_u32_e32 v21, 4, v21
	v_add_co_u32 v12, s0, v12, 16
	s_delay_alu instid0(VALU_DEP_1) | instskip(NEXT) | instid1(VALU_DEP_3)
	v_add_co_ci_u32_e64 v13, s0, 0, v13, s0
	v_cmp_le_i32_e32 vcc_lo, s38, v21
	v_add_nc_u32_e32 v34, 32, v34
	v_add_nc_u32_e32 v31, 0x80, v31
	s_or_b32 s6, vcc_lo, s6
	s_delay_alu instid0(SALU_CYCLE_1)
	s_and_not1_b32 exec_lo, exec_lo, s6
	s_cbranch_execz .LBB209_371
.LBB209_200:                            ; =>This Inner Loop Header: Depth=1
	v_sub_nc_u32_e32 v6, 0, v34
	s_delay_alu instid0(VALU_DEP_1) | instskip(NEXT) | instid1(VALU_DEP_1)
	v_max_i32_e32 v6, v34, v6
	v_mul_hi_u32 v7, v6, s29
	s_delay_alu instid0(VALU_DEP_1) | instskip(NEXT) | instid1(VALU_DEP_1)
	v_mul_lo_u32 v8, v7, s25
	v_sub_nc_u32_e32 v6, v6, v8
	v_add_nc_u32_e32 v8, 1, v7
	s_delay_alu instid0(VALU_DEP_2) | instskip(SKIP_1) | instid1(VALU_DEP_2)
	v_subrev_nc_u32_e32 v9, s25, v6
	v_cmp_le_u32_e32 vcc_lo, s25, v6
	v_dual_cndmask_b32 v7, v7, v8 :: v_dual_cndmask_b32 v6, v6, v9
	v_ashrrev_i32_e32 v8, 31, v34
	s_delay_alu instid0(VALU_DEP_2) | instskip(NEXT) | instid1(VALU_DEP_3)
	v_add_nc_u32_e32 v9, 1, v7
	v_cmp_le_u32_e32 vcc_lo, s25, v6
	s_delay_alu instid0(VALU_DEP_3) | instskip(NEXT) | instid1(VALU_DEP_3)
	v_xor_b32_e32 v8, s19, v8
	v_cndmask_b32_e32 v6, v7, v9, vcc_lo
	s_delay_alu instid0(VALU_DEP_1) | instskip(NEXT) | instid1(VALU_DEP_1)
	v_xor_b32_e32 v6, v6, v8
	v_sub_nc_u32_e32 v6, v6, v8
	s_delay_alu instid0(VALU_DEP_1) | instskip(SKIP_1) | instid1(VALU_DEP_2)
	v_add_nc_u32_e32 v7, s40, v6
	v_cmp_lt_i32_e64 s0, s9, v6
	v_sub_nc_u32_e32 v8, 0, v7
	s_delay_alu instid0(VALU_DEP_1) | instskip(NEXT) | instid1(VALU_DEP_1)
	v_max_i32_e32 v8, v7, v8
	v_mul_hi_u32 v9, v8, v32
	s_delay_alu instid0(VALU_DEP_1) | instskip(NEXT) | instid1(VALU_DEP_1)
	v_mul_lo_u32 v9, v9, s13
	v_sub_nc_u32_e32 v8, v8, v9
	s_delay_alu instid0(VALU_DEP_1) | instskip(SKIP_1) | instid1(VALU_DEP_2)
	v_subrev_nc_u32_e32 v9, s13, v8
	v_cmp_le_u32_e32 vcc_lo, s13, v8
	v_cndmask_b32_e32 v8, v8, v9, vcc_lo
	v_ashrrev_i32_e32 v7, 31, v7
	s_delay_alu instid0(VALU_DEP_2) | instskip(SKIP_1) | instid1(VALU_DEP_2)
	v_subrev_nc_u32_e32 v9, s13, v8
	v_cmp_le_u32_e32 vcc_lo, s13, v8
	v_cndmask_b32_e32 v8, v8, v9, vcc_lo
	s_delay_alu instid0(VALU_DEP_1) | instskip(NEXT) | instid1(VALU_DEP_1)
	v_xor_b32_e32 v8, v8, v7
	v_sub_nc_u32_e32 v7, v8, v7
	s_delay_alu instid0(VALU_DEP_1) | instskip(SKIP_1) | instid1(SALU_CYCLE_1)
	v_cmp_eq_u32_e32 vcc_lo, 0, v7
	s_or_b32 s0, vcc_lo, s0
	s_and_saveexec_b32 s7, s0
	s_cbranch_execz .LBB209_199
; %bb.201:                              ;   in Loop: Header=BB209_200 Depth=1
	global_load_b32 v6, v[12:13], off
	s_load_b32 s8, s[10:11], 0x0
	v_mov_b32_e32 v22, 0
	s_mov_b32 s0, exec_lo
	s_waitcnt vmcnt(0)
	v_mad_i64_i32 v[16:17], null, v6, s15, v[10:11]
	ds_load_b128 v[6:9], v31
	global_load_b32 v35, v[16:17], off
	s_waitcnt vmcnt(0)
	v_dual_mov_b32 v23, 0 :: v_dual_and_b32 v14, 0xff, v35
	s_delay_alu instid0(VALU_DEP_1) | instskip(NEXT) | instid1(VALU_DEP_2)
	v_dual_mov_b32 v18, v22 :: v_dual_mov_b32 v19, v23
	v_cmpx_ne_u16_e32 0, v14
	s_cbranch_execz .LBB209_209
; %bb.202:                              ;   in Loop: Header=BB209_200 Depth=1
	v_bfrev_b32_e32 v18, 1
	v_mov_b32_e32 v19, 0
	s_mov_b32 s2, exec_lo
	v_cmpx_ne_u16_e32 0x80, v14
	s_cbranch_execz .LBB209_208
; %bb.203:                              ;   in Loop: Header=BB209_200 Depth=1
	v_mov_b32_e32 v18, 0x7f800001
	v_dual_mov_b32 v19, 0 :: v_dual_and_b32 v24, 0x7f, v35
	s_mov_b32 s17, exec_lo
	s_delay_alu instid0(VALU_DEP_1)
	v_cmpx_ne_u32_e32 0x7f, v24
	s_cbranch_execz .LBB209_207
; %bb.204:                              ;   in Loop: Header=BB209_200 Depth=1
	v_and_b32_e32 v14, 7, v35
	v_lshrrev_b32_e32 v18, 3, v24
	s_mov_b32 s18, exec_lo
	v_cmpx_gt_u32_e32 8, v24
; %bb.205:                              ;   in Loop: Header=BB209_200 Depth=1
	s_delay_alu instid0(VALU_DEP_3) | instskip(NEXT) | instid1(VALU_DEP_1)
	v_clz_i32_u32_e32 v18, v14
	v_min_u32_e32 v18, 32, v18
	s_delay_alu instid0(VALU_DEP_1) | instskip(SKIP_1) | instid1(VALU_DEP_2)
	v_subrev_nc_u32_e32 v19, 28, v18
	v_sub_nc_u32_e32 v18, 29, v18
	v_lshlrev_b64 v[24:25], v19, v[14:15]
	s_delay_alu instid0(VALU_DEP_1)
	v_and_b32_e32 v14, 7, v24
; %bb.206:                              ;   in Loop: Header=BB209_200 Depth=1
	s_or_b32 exec_lo, exec_lo, s18
	v_lshlrev_b32_e32 v19, 24, v35
	s_delay_alu instid0(VALU_DEP_2) | instskip(SKIP_1) | instid1(VALU_DEP_3)
	v_lshlrev_b32_e32 v14, 20, v14
	v_lshl_add_u32 v18, v18, 23, 0x3c000000
	v_and_b32_e32 v19, 0x80000000, v19
	s_delay_alu instid0(VALU_DEP_1) | instskip(NEXT) | instid1(VALU_DEP_1)
	v_or3_b32 v14, v14, v19, v18
	v_dual_mov_b32 v19, v15 :: v_dual_mov_b32 v18, v14
.LBB209_207:                            ;   in Loop: Header=BB209_200 Depth=1
	s_or_b32 exec_lo, exec_lo, s17
.LBB209_208:                            ;   in Loop: Header=BB209_200 Depth=1
	s_delay_alu instid0(SALU_CYCLE_1)
	s_or_b32 exec_lo, exec_lo, s2
.LBB209_209:                            ;   in Loop: Header=BB209_200 Depth=1
	s_delay_alu instid0(SALU_CYCLE_1) | instskip(SKIP_2) | instid1(VALU_DEP_1)
	s_or_b32 exec_lo, exec_lo, s0
	v_lshrrev_b16 v14, 8, v35
	s_mov_b32 s0, exec_lo
	v_cmpx_ne_u16_e32 0, v14
	s_cbranch_execz .LBB209_217
; %bb.210:                              ;   in Loop: Header=BB209_200 Depth=1
	v_dual_mov_b32 v23, s5 :: v_dual_mov_b32 v22, s4
	s_mov_b32 s17, exec_lo
	v_cmpx_ne_u16_e32 0x80, v14
	s_cbranch_execz .LBB209_216
; %bb.211:                              ;   in Loop: Header=BB209_200 Depth=1
	s_mov_b32 s2, s4
	v_dual_mov_b32 v23, s3 :: v_dual_and_b32 v14, 0xffff, v14
	v_mov_b32_e32 v22, s2
	s_mov_b32 s2, exec_lo
	s_delay_alu instid0(VALU_DEP_2) | instskip(NEXT) | instid1(VALU_DEP_1)
	v_and_b32_e32 v24, 0x7f, v14
	v_cmpx_ne_u32_e32 0x7f, v24
	s_cbranch_execz .LBB209_215
; %bb.212:                              ;   in Loop: Header=BB209_200 Depth=1
	v_and_b32_e32 v14, 7, v14
	v_lshrrev_b32_e32 v22, 3, v24
	s_mov_b32 s18, exec_lo
	v_cmpx_gt_u32_e32 8, v24
; %bb.213:                              ;   in Loop: Header=BB209_200 Depth=1
	s_delay_alu instid0(VALU_DEP_3) | instskip(NEXT) | instid1(VALU_DEP_1)
	v_clz_i32_u32_e32 v22, v14
	v_min_u32_e32 v22, 32, v22
	s_delay_alu instid0(VALU_DEP_1) | instskip(SKIP_1) | instid1(VALU_DEP_2)
	v_subrev_nc_u32_e32 v23, 28, v22
	v_sub_nc_u32_e32 v22, 29, v22
	v_lshlrev_b64 v[23:24], v23, v[14:15]
	s_delay_alu instid0(VALU_DEP_1)
	v_and_b32_e32 v14, 7, v23
; %bb.214:                              ;   in Loop: Header=BB209_200 Depth=1
	s_or_b32 exec_lo, exec_lo, s18
	v_lshlrev_b32_e32 v23, 16, v35
	s_delay_alu instid0(VALU_DEP_2) | instskip(SKIP_1) | instid1(VALU_DEP_3)
	v_lshlrev_b32_e32 v14, 20, v14
	v_lshl_add_u32 v22, v22, 23, 0x3c000000
	v_and_b32_e32 v23, 0x80000000, v23
	s_delay_alu instid0(VALU_DEP_1)
	v_or3_b32 v23, v14, v23, v22
	v_mov_b32_e32 v22, v15
.LBB209_215:                            ;   in Loop: Header=BB209_200 Depth=1
	s_or_b32 exec_lo, exec_lo, s2
.LBB209_216:                            ;   in Loop: Header=BB209_200 Depth=1
	s_delay_alu instid0(SALU_CYCLE_1)
	s_or_b32 exec_lo, exec_lo, s17
.LBB209_217:                            ;   in Loop: Header=BB209_200 Depth=1
	s_delay_alu instid0(SALU_CYCLE_1) | instskip(SKIP_4) | instid1(VALU_DEP_2)
	s_or_b32 exec_lo, exec_lo, s0
	v_mov_b32_e32 v26, 0
	v_lshrrev_b32_e32 v36, 16, v35
	v_mov_b32_e32 v27, 0
	s_mov_b32 s0, exec_lo
	v_and_b32_e32 v14, 0xff, v36
	s_delay_alu instid0(VALU_DEP_2) | instskip(NEXT) | instid1(VALU_DEP_2)
	v_dual_mov_b32 v24, v26 :: v_dual_mov_b32 v25, v27
	v_cmpx_ne_u16_e32 0, v14
	s_cbranch_execz .LBB209_225
; %bb.218:                              ;   in Loop: Header=BB209_200 Depth=1
	v_bfrev_b32_e32 v24, 1
	v_mov_b32_e32 v25, 0
	s_mov_b32 s2, exec_lo
	v_cmpx_ne_u16_e32 0x80, v14
	s_cbranch_execz .LBB209_224
; %bb.219:                              ;   in Loop: Header=BB209_200 Depth=1
	v_mov_b32_e32 v24, 0x7f800001
	v_bfe_u32 v37, v35, 16, 7
	v_mov_b32_e32 v25, 0
	s_mov_b32 s17, exec_lo
	s_delay_alu instid0(VALU_DEP_2)
	v_cmpx_ne_u32_e32 0x7f, v37
	s_cbranch_execz .LBB209_223
; %bb.220:                              ;   in Loop: Header=BB209_200 Depth=1
	v_and_b32_e32 v14, 7, v36
	v_lshrrev_b32_e32 v24, 3, v37
	s_mov_b32 s18, exec_lo
	v_cmpx_gt_u32_e32 8, v37
; %bb.221:                              ;   in Loop: Header=BB209_200 Depth=1
	s_delay_alu instid0(VALU_DEP_3) | instskip(NEXT) | instid1(VALU_DEP_1)
	v_clz_i32_u32_e32 v24, v14
	v_min_u32_e32 v24, 32, v24
	s_delay_alu instid0(VALU_DEP_1) | instskip(SKIP_1) | instid1(VALU_DEP_2)
	v_subrev_nc_u32_e32 v25, 28, v24
	v_sub_nc_u32_e32 v24, 29, v24
	v_lshlrev_b64 v[37:38], v25, v[14:15]
	s_delay_alu instid0(VALU_DEP_1)
	v_and_b32_e32 v14, 7, v37
; %bb.222:                              ;   in Loop: Header=BB209_200 Depth=1
	s_or_b32 exec_lo, exec_lo, s18
	v_lshlrev_b32_e32 v25, 24, v36
	s_delay_alu instid0(VALU_DEP_2) | instskip(SKIP_1) | instid1(VALU_DEP_3)
	v_lshlrev_b32_e32 v14, 20, v14
	v_lshl_add_u32 v24, v24, 23, 0x3c000000
	v_and_b32_e32 v25, 0x80000000, v25
	s_delay_alu instid0(VALU_DEP_1) | instskip(NEXT) | instid1(VALU_DEP_1)
	v_or3_b32 v14, v14, v25, v24
	v_dual_mov_b32 v25, v15 :: v_dual_mov_b32 v24, v14
.LBB209_223:                            ;   in Loop: Header=BB209_200 Depth=1
	s_or_b32 exec_lo, exec_lo, s17
.LBB209_224:                            ;   in Loop: Header=BB209_200 Depth=1
	s_delay_alu instid0(SALU_CYCLE_1)
	s_or_b32 exec_lo, exec_lo, s2
.LBB209_225:                            ;   in Loop: Header=BB209_200 Depth=1
	s_delay_alu instid0(SALU_CYCLE_1) | instskip(NEXT) | instid1(SALU_CYCLE_1)
	s_or_b32 exec_lo, exec_lo, s0
	s_mov_b32 s0, exec_lo
	v_cmpx_lt_u32_e32 0xffffff, v35
	s_cbranch_execz .LBB209_233
; %bb.226:                              ;   in Loop: Header=BB209_200 Depth=1
	v_lshrrev_b32_e32 v36, 24, v35
	v_dual_mov_b32 v27, s5 :: v_dual_mov_b32 v26, s4
	s_mov_b32 s17, exec_lo
	s_delay_alu instid0(VALU_DEP_2)
	v_cmpx_ne_u32_e32 0x80, v36
	s_cbranch_execz .LBB209_232
; %bb.227:                              ;   in Loop: Header=BB209_200 Depth=1
	s_mov_b32 s2, s4
	v_bfe_u32 v35, v35, 24, 7
	v_dual_mov_b32 v27, s3 :: v_dual_mov_b32 v26, s2
	s_mov_b32 s2, exec_lo
	s_delay_alu instid0(VALU_DEP_2)
	v_cmpx_ne_u32_e32 0x7f, v35
	s_cbranch_execz .LBB209_231
; %bb.228:                              ;   in Loop: Header=BB209_200 Depth=1
	v_and_b32_e32 v14, 7, v36
	v_lshrrev_b32_e32 v26, 3, v35
	s_mov_b32 s18, exec_lo
	v_cmpx_gt_u32_e32 8, v35
; %bb.229:                              ;   in Loop: Header=BB209_200 Depth=1
	s_delay_alu instid0(VALU_DEP_3) | instskip(NEXT) | instid1(VALU_DEP_1)
	v_clz_i32_u32_e32 v26, v14
	v_min_u32_e32 v26, 32, v26
	s_delay_alu instid0(VALU_DEP_1) | instskip(SKIP_1) | instid1(VALU_DEP_2)
	v_subrev_nc_u32_e32 v27, 28, v26
	v_sub_nc_u32_e32 v26, 29, v26
	v_lshlrev_b64 v[37:38], v27, v[14:15]
	s_delay_alu instid0(VALU_DEP_1)
	v_and_b32_e32 v14, 7, v37
; %bb.230:                              ;   in Loop: Header=BB209_200 Depth=1
	s_or_b32 exec_lo, exec_lo, s18
	v_lshlrev_b32_e32 v27, 24, v36
	s_delay_alu instid0(VALU_DEP_2) | instskip(SKIP_1) | instid1(VALU_DEP_3)
	v_lshlrev_b32_e32 v14, 20, v14
	v_lshl_add_u32 v26, v26, 23, 0x3c000000
	v_and_b32_e32 v27, 0x80000000, v27
	s_delay_alu instid0(VALU_DEP_1)
	v_or3_b32 v27, v14, v27, v26
	v_mov_b32_e32 v26, v15
.LBB209_231:                            ;   in Loop: Header=BB209_200 Depth=1
	s_or_b32 exec_lo, exec_lo, s2
.LBB209_232:                            ;   in Loop: Header=BB209_200 Depth=1
	s_delay_alu instid0(SALU_CYCLE_1)
	s_or_b32 exec_lo, exec_lo, s17
.LBB209_233:                            ;   in Loop: Header=BB209_200 Depth=1
	s_delay_alu instid0(SALU_CYCLE_1)
	s_or_b32 exec_lo, exec_lo, s0
	v_add_nc_u32_e32 v39, v30, v34
	v_or_b32_e32 v14, v23, v19
	v_or_b32_e32 v18, v22, v18
	;; [unrolled: 1-line block ×4, first 2 shown]
	v_cmp_eq_u32_e32 vcc_lo, s41, v21
	s_waitcnt lgkmcnt(0)
	v_mul_f32_e32 v38, s8, v14
	v_dual_mul_f32 v37, s8, v18 :: v_dual_add_nc_u32 v42, 1, v39
	v_dual_mul_f32 v35, s8, v19 :: v_dual_mul_f32 v36, s8, v22
	v_add_nc_u32_e32 v41, 2, v39
	v_add_nc_u32_e32 v40, 3, v39
	s_and_saveexec_b32 s2, vcc_lo
; %bb.234:                              ;   in Loop: Header=BB209_200 Depth=1
	v_cmp_gt_i32_e64 s0, s33, v39
	s_delay_alu instid0(VALU_DEP_1) | instskip(SKIP_1) | instid1(VALU_DEP_1)
	v_cndmask_b32_e64 v37, 0, v37, s0
	v_cmp_gt_i32_e64 s0, s33, v42
	v_cndmask_b32_e64 v38, 0, v38, s0
	v_cmp_gt_i32_e64 s0, s33, v41
	s_delay_alu instid0(VALU_DEP_1) | instskip(SKIP_1) | instid1(VALU_DEP_1)
	v_cndmask_b32_e64 v36, 0, v36, s0
	v_cmp_gt_i32_e64 s0, s33, v40
	v_cndmask_b32_e64 v35, 0, v35, s0
; %bb.235:                              ;   in Loop: Header=BB209_200 Depth=1
	s_or_b32 exec_lo, exec_lo, s2
	global_load_b32 v43, v[16:17], off offset:128
	v_mov_b32_e32 v22, 0
	v_mov_b32_e32 v23, 0
	s_mov_b32 s2, exec_lo
	s_waitcnt vmcnt(0)
	v_and_b32_e32 v14, 0xff, v43
	s_delay_alu instid0(VALU_DEP_2) | instskip(NEXT) | instid1(VALU_DEP_2)
	v_dual_mov_b32 v18, v22 :: v_dual_mov_b32 v19, v23
	v_cmpx_ne_u16_e32 0, v14
	s_cbranch_execz .LBB209_243
; %bb.236:                              ;   in Loop: Header=BB209_200 Depth=1
	v_bfrev_b32_e32 v18, 1
	v_mov_b32_e32 v19, 0
	s_mov_b32 s17, exec_lo
	v_cmpx_ne_u16_e32 0x80, v14
	s_cbranch_execz .LBB209_242
; %bb.237:                              ;   in Loop: Header=BB209_200 Depth=1
	v_mov_b32_e32 v18, 0x7f800001
	v_dual_mov_b32 v19, 0 :: v_dual_and_b32 v24, 0x7f, v43
	s_mov_b32 s18, exec_lo
	s_delay_alu instid0(VALU_DEP_1)
	v_cmpx_ne_u32_e32 0x7f, v24
	s_cbranch_execz .LBB209_241
; %bb.238:                              ;   in Loop: Header=BB209_200 Depth=1
	v_and_b32_e32 v14, 7, v43
	v_lshrrev_b32_e32 v18, 3, v24
	s_mov_b32 s20, exec_lo
	v_cmpx_gt_u32_e32 8, v24
; %bb.239:                              ;   in Loop: Header=BB209_200 Depth=1
	s_delay_alu instid0(VALU_DEP_3) | instskip(NEXT) | instid1(VALU_DEP_1)
	v_clz_i32_u32_e32 v18, v14
	v_min_u32_e32 v18, 32, v18
	s_delay_alu instid0(VALU_DEP_1) | instskip(SKIP_1) | instid1(VALU_DEP_2)
	v_subrev_nc_u32_e32 v19, 28, v18
	v_sub_nc_u32_e32 v18, 29, v18
	v_lshlrev_b64 v[24:25], v19, v[14:15]
	s_delay_alu instid0(VALU_DEP_1)
	v_and_b32_e32 v14, 7, v24
; %bb.240:                              ;   in Loop: Header=BB209_200 Depth=1
	s_or_b32 exec_lo, exec_lo, s20
	v_lshlrev_b32_e32 v19, 24, v43
	s_delay_alu instid0(VALU_DEP_2) | instskip(SKIP_1) | instid1(VALU_DEP_3)
	v_lshlrev_b32_e32 v14, 20, v14
	v_lshl_add_u32 v18, v18, 23, 0x3c000000
	v_and_b32_e32 v19, 0x80000000, v19
	s_delay_alu instid0(VALU_DEP_1) | instskip(NEXT) | instid1(VALU_DEP_1)
	v_or3_b32 v14, v14, v19, v18
	v_dual_mov_b32 v19, v15 :: v_dual_mov_b32 v18, v14
.LBB209_241:                            ;   in Loop: Header=BB209_200 Depth=1
	s_or_b32 exec_lo, exec_lo, s18
.LBB209_242:                            ;   in Loop: Header=BB209_200 Depth=1
	s_delay_alu instid0(SALU_CYCLE_1)
	s_or_b32 exec_lo, exec_lo, s17
.LBB209_243:                            ;   in Loop: Header=BB209_200 Depth=1
	s_delay_alu instid0(SALU_CYCLE_1) | instskip(SKIP_2) | instid1(VALU_DEP_1)
	s_or_b32 exec_lo, exec_lo, s2
	v_lshrrev_b16 v14, 8, v43
	s_mov_b32 s17, exec_lo
	v_cmpx_ne_u16_e32 0, v14
	s_cbranch_execz .LBB209_251
; %bb.244:                              ;   in Loop: Header=BB209_200 Depth=1
	v_dual_mov_b32 v23, s5 :: v_dual_mov_b32 v22, s4
	s_mov_b32 s18, exec_lo
	v_cmpx_ne_u16_e32 0x80, v14
	s_cbranch_execz .LBB209_250
; %bb.245:                              ;   in Loop: Header=BB209_200 Depth=1
	s_mov_b32 s2, s4
	v_dual_mov_b32 v23, s3 :: v_dual_and_b32 v14, 0xffff, v14
	v_mov_b32_e32 v22, s2
	s_mov_b32 s2, exec_lo
	s_delay_alu instid0(VALU_DEP_2) | instskip(NEXT) | instid1(VALU_DEP_1)
	v_and_b32_e32 v24, 0x7f, v14
	v_cmpx_ne_u32_e32 0x7f, v24
	s_cbranch_execz .LBB209_249
; %bb.246:                              ;   in Loop: Header=BB209_200 Depth=1
	v_and_b32_e32 v14, 7, v14
	v_lshrrev_b32_e32 v22, 3, v24
	s_mov_b32 s20, exec_lo
	v_cmpx_gt_u32_e32 8, v24
; %bb.247:                              ;   in Loop: Header=BB209_200 Depth=1
	s_delay_alu instid0(VALU_DEP_3) | instskip(NEXT) | instid1(VALU_DEP_1)
	v_clz_i32_u32_e32 v22, v14
	v_min_u32_e32 v22, 32, v22
	s_delay_alu instid0(VALU_DEP_1) | instskip(SKIP_1) | instid1(VALU_DEP_2)
	v_subrev_nc_u32_e32 v23, 28, v22
	v_sub_nc_u32_e32 v22, 29, v22
	v_lshlrev_b64 v[23:24], v23, v[14:15]
	s_delay_alu instid0(VALU_DEP_1)
	v_and_b32_e32 v14, 7, v23
; %bb.248:                              ;   in Loop: Header=BB209_200 Depth=1
	s_or_b32 exec_lo, exec_lo, s20
	v_lshlrev_b32_e32 v23, 16, v43
	s_delay_alu instid0(VALU_DEP_2) | instskip(SKIP_1) | instid1(VALU_DEP_3)
	v_lshlrev_b32_e32 v14, 20, v14
	v_lshl_add_u32 v22, v22, 23, 0x3c000000
	v_and_b32_e32 v23, 0x80000000, v23
	s_delay_alu instid0(VALU_DEP_1)
	v_or3_b32 v23, v14, v23, v22
	v_mov_b32_e32 v22, v15
.LBB209_249:                            ;   in Loop: Header=BB209_200 Depth=1
	s_or_b32 exec_lo, exec_lo, s2
.LBB209_250:                            ;   in Loop: Header=BB209_200 Depth=1
	s_delay_alu instid0(SALU_CYCLE_1)
	s_or_b32 exec_lo, exec_lo, s18
.LBB209_251:                            ;   in Loop: Header=BB209_200 Depth=1
	s_delay_alu instid0(SALU_CYCLE_1) | instskip(SKIP_4) | instid1(VALU_DEP_2)
	s_or_b32 exec_lo, exec_lo, s17
	v_mov_b32_e32 v26, 0
	v_lshrrev_b32_e32 v44, 16, v43
	v_mov_b32_e32 v27, 0
	s_mov_b32 s2, exec_lo
	v_and_b32_e32 v14, 0xff, v44
	s_delay_alu instid0(VALU_DEP_2) | instskip(NEXT) | instid1(VALU_DEP_2)
	v_dual_mov_b32 v24, v26 :: v_dual_mov_b32 v25, v27
	v_cmpx_ne_u16_e32 0, v14
	s_cbranch_execz .LBB209_259
; %bb.252:                              ;   in Loop: Header=BB209_200 Depth=1
	v_bfrev_b32_e32 v24, 1
	v_mov_b32_e32 v25, 0
	s_mov_b32 s17, exec_lo
	v_cmpx_ne_u16_e32 0x80, v14
	s_cbranch_execz .LBB209_258
; %bb.253:                              ;   in Loop: Header=BB209_200 Depth=1
	v_mov_b32_e32 v24, 0x7f800001
	v_bfe_u32 v45, v43, 16, 7
	v_mov_b32_e32 v25, 0
	s_mov_b32 s18, exec_lo
	s_delay_alu instid0(VALU_DEP_2)
	v_cmpx_ne_u32_e32 0x7f, v45
	s_cbranch_execz .LBB209_257
; %bb.254:                              ;   in Loop: Header=BB209_200 Depth=1
	v_and_b32_e32 v14, 7, v44
	v_lshrrev_b32_e32 v24, 3, v45
	s_mov_b32 s20, exec_lo
	v_cmpx_gt_u32_e32 8, v45
; %bb.255:                              ;   in Loop: Header=BB209_200 Depth=1
	s_delay_alu instid0(VALU_DEP_3) | instskip(NEXT) | instid1(VALU_DEP_1)
	v_clz_i32_u32_e32 v24, v14
	v_min_u32_e32 v24, 32, v24
	s_delay_alu instid0(VALU_DEP_1) | instskip(SKIP_1) | instid1(VALU_DEP_2)
	v_subrev_nc_u32_e32 v25, 28, v24
	v_sub_nc_u32_e32 v24, 29, v24
	v_lshlrev_b64 v[45:46], v25, v[14:15]
	s_delay_alu instid0(VALU_DEP_1)
	v_and_b32_e32 v14, 7, v45
; %bb.256:                              ;   in Loop: Header=BB209_200 Depth=1
	s_or_b32 exec_lo, exec_lo, s20
	v_lshlrev_b32_e32 v25, 24, v44
	s_delay_alu instid0(VALU_DEP_2) | instskip(SKIP_1) | instid1(VALU_DEP_3)
	v_lshlrev_b32_e32 v14, 20, v14
	v_lshl_add_u32 v24, v24, 23, 0x3c000000
	v_and_b32_e32 v25, 0x80000000, v25
	s_delay_alu instid0(VALU_DEP_1) | instskip(NEXT) | instid1(VALU_DEP_1)
	v_or3_b32 v14, v14, v25, v24
	v_dual_mov_b32 v25, v15 :: v_dual_mov_b32 v24, v14
.LBB209_257:                            ;   in Loop: Header=BB209_200 Depth=1
	s_or_b32 exec_lo, exec_lo, s18
.LBB209_258:                            ;   in Loop: Header=BB209_200 Depth=1
	s_delay_alu instid0(SALU_CYCLE_1)
	s_or_b32 exec_lo, exec_lo, s17
.LBB209_259:                            ;   in Loop: Header=BB209_200 Depth=1
	s_delay_alu instid0(SALU_CYCLE_1) | instskip(NEXT) | instid1(SALU_CYCLE_1)
	s_or_b32 exec_lo, exec_lo, s2
	s_mov_b32 s17, exec_lo
	v_cmpx_lt_u32_e32 0xffffff, v43
	s_cbranch_execz .LBB209_267
; %bb.260:                              ;   in Loop: Header=BB209_200 Depth=1
	v_lshrrev_b32_e32 v44, 24, v43
	v_dual_mov_b32 v27, s5 :: v_dual_mov_b32 v26, s4
	s_mov_b32 s18, exec_lo
	s_delay_alu instid0(VALU_DEP_2)
	v_cmpx_ne_u32_e32 0x80, v44
	s_cbranch_execz .LBB209_266
; %bb.261:                              ;   in Loop: Header=BB209_200 Depth=1
	s_mov_b32 s2, s4
	v_bfe_u32 v43, v43, 24, 7
	v_dual_mov_b32 v27, s3 :: v_dual_mov_b32 v26, s2
	s_mov_b32 s2, exec_lo
	s_delay_alu instid0(VALU_DEP_2)
	v_cmpx_ne_u32_e32 0x7f, v43
	s_cbranch_execz .LBB209_265
; %bb.262:                              ;   in Loop: Header=BB209_200 Depth=1
	v_and_b32_e32 v14, 7, v44
	v_lshrrev_b32_e32 v26, 3, v43
	s_mov_b32 s20, exec_lo
	v_cmpx_gt_u32_e32 8, v43
; %bb.263:                              ;   in Loop: Header=BB209_200 Depth=1
	s_delay_alu instid0(VALU_DEP_3) | instskip(NEXT) | instid1(VALU_DEP_1)
	v_clz_i32_u32_e32 v26, v14
	v_min_u32_e32 v26, 32, v26
	s_delay_alu instid0(VALU_DEP_1) | instskip(SKIP_1) | instid1(VALU_DEP_2)
	v_subrev_nc_u32_e32 v27, 28, v26
	v_sub_nc_u32_e32 v26, 29, v26
	v_lshlrev_b64 v[45:46], v27, v[14:15]
	s_delay_alu instid0(VALU_DEP_1)
	v_and_b32_e32 v14, 7, v45
; %bb.264:                              ;   in Loop: Header=BB209_200 Depth=1
	s_or_b32 exec_lo, exec_lo, s20
	v_lshlrev_b32_e32 v27, 24, v44
	s_delay_alu instid0(VALU_DEP_2) | instskip(SKIP_1) | instid1(VALU_DEP_3)
	v_lshlrev_b32_e32 v14, 20, v14
	v_lshl_add_u32 v26, v26, 23, 0x3c000000
	v_and_b32_e32 v27, 0x80000000, v27
	s_delay_alu instid0(VALU_DEP_1)
	v_or3_b32 v27, v14, v27, v26
	v_mov_b32_e32 v26, v15
.LBB209_265:                            ;   in Loop: Header=BB209_200 Depth=1
	s_or_b32 exec_lo, exec_lo, s2
.LBB209_266:                            ;   in Loop: Header=BB209_200 Depth=1
	s_delay_alu instid0(SALU_CYCLE_1)
	s_or_b32 exec_lo, exec_lo, s18
.LBB209_267:                            ;   in Loop: Header=BB209_200 Depth=1
	s_delay_alu instid0(SALU_CYCLE_1)
	s_or_b32 exec_lo, exec_lo, s17
	v_or_b32_e32 v14, v23, v19
	v_or_b32_e32 v18, v22, v18
	;; [unrolled: 1-line block ×4, first 2 shown]
	s_mov_b32 s17, s8
	s_delay_alu instid0(VALU_DEP_2) | instid1(SALU_CYCLE_1)
	v_dual_mul_f32 v46, s17, v14 :: v_dual_mul_f32 v43, s17, v19
	v_mul_f32_e32 v45, s8, v18
	s_delay_alu instid0(VALU_DEP_3)
	v_mul_f32_e32 v44, s8, v22
	s_and_saveexec_b32 s2, vcc_lo
; %bb.268:                              ;   in Loop: Header=BB209_200 Depth=1
	v_cmp_gt_i32_e64 s0, s33, v39
	s_delay_alu instid0(VALU_DEP_1) | instskip(SKIP_1) | instid1(VALU_DEP_1)
	v_cndmask_b32_e64 v45, 0, v45, s0
	v_cmp_gt_i32_e64 s0, s33, v42
	v_cndmask_b32_e64 v46, 0, v46, s0
	v_cmp_gt_i32_e64 s0, s33, v41
	s_delay_alu instid0(VALU_DEP_1) | instskip(SKIP_1) | instid1(VALU_DEP_1)
	v_cndmask_b32_e64 v44, 0, v44, s0
	v_cmp_gt_i32_e64 s0, s33, v40
	v_cndmask_b32_e64 v43, 0, v43, s0
; %bb.269:                              ;   in Loop: Header=BB209_200 Depth=1
	s_or_b32 exec_lo, exec_lo, s2
	global_load_b32 v47, v[16:17], off offset:256
	v_mov_b32_e32 v22, 0
	v_mov_b32_e32 v23, 0
	s_mov_b32 s2, exec_lo
	s_waitcnt vmcnt(0)
	v_and_b32_e32 v14, 0xff, v47
	s_delay_alu instid0(VALU_DEP_2) | instskip(NEXT) | instid1(VALU_DEP_2)
	v_dual_mov_b32 v18, v22 :: v_dual_mov_b32 v19, v23
	v_cmpx_ne_u16_e32 0, v14
	s_cbranch_execz .LBB209_277
; %bb.270:                              ;   in Loop: Header=BB209_200 Depth=1
	v_bfrev_b32_e32 v18, 1
	v_mov_b32_e32 v19, 0
	s_mov_b32 s18, exec_lo
	v_cmpx_ne_u16_e32 0x80, v14
	s_cbranch_execz .LBB209_276
; %bb.271:                              ;   in Loop: Header=BB209_200 Depth=1
	v_mov_b32_e32 v18, 0x7f800001
	v_dual_mov_b32 v19, 0 :: v_dual_and_b32 v24, 0x7f, v47
	s_mov_b32 s20, exec_lo
	s_delay_alu instid0(VALU_DEP_1)
	v_cmpx_ne_u32_e32 0x7f, v24
	s_cbranch_execz .LBB209_275
; %bb.272:                              ;   in Loop: Header=BB209_200 Depth=1
	v_and_b32_e32 v14, 7, v47
	v_lshrrev_b32_e32 v18, 3, v24
	s_mov_b32 s21, exec_lo
	v_cmpx_gt_u32_e32 8, v24
; %bb.273:                              ;   in Loop: Header=BB209_200 Depth=1
	s_delay_alu instid0(VALU_DEP_3) | instskip(NEXT) | instid1(VALU_DEP_1)
	v_clz_i32_u32_e32 v18, v14
	v_min_u32_e32 v18, 32, v18
	s_delay_alu instid0(VALU_DEP_1) | instskip(SKIP_1) | instid1(VALU_DEP_2)
	v_subrev_nc_u32_e32 v19, 28, v18
	v_sub_nc_u32_e32 v18, 29, v18
	v_lshlrev_b64 v[24:25], v19, v[14:15]
	s_delay_alu instid0(VALU_DEP_1)
	v_and_b32_e32 v14, 7, v24
; %bb.274:                              ;   in Loop: Header=BB209_200 Depth=1
	s_or_b32 exec_lo, exec_lo, s21
	v_lshlrev_b32_e32 v19, 24, v47
	s_delay_alu instid0(VALU_DEP_2) | instskip(SKIP_1) | instid1(VALU_DEP_3)
	v_lshlrev_b32_e32 v14, 20, v14
	v_lshl_add_u32 v18, v18, 23, 0x3c000000
	v_and_b32_e32 v19, 0x80000000, v19
	s_delay_alu instid0(VALU_DEP_1) | instskip(NEXT) | instid1(VALU_DEP_1)
	v_or3_b32 v14, v14, v19, v18
	v_dual_mov_b32 v19, v15 :: v_dual_mov_b32 v18, v14
.LBB209_275:                            ;   in Loop: Header=BB209_200 Depth=1
	s_or_b32 exec_lo, exec_lo, s20
.LBB209_276:                            ;   in Loop: Header=BB209_200 Depth=1
	s_delay_alu instid0(SALU_CYCLE_1)
	s_or_b32 exec_lo, exec_lo, s18
.LBB209_277:                            ;   in Loop: Header=BB209_200 Depth=1
	s_delay_alu instid0(SALU_CYCLE_1) | instskip(SKIP_2) | instid1(VALU_DEP_1)
	s_or_b32 exec_lo, exec_lo, s2
	v_lshrrev_b16 v14, 8, v47
	s_mov_b32 s18, exec_lo
	v_cmpx_ne_u16_e32 0, v14
	s_cbranch_execz .LBB209_285
; %bb.278:                              ;   in Loop: Header=BB209_200 Depth=1
	v_dual_mov_b32 v23, s5 :: v_dual_mov_b32 v22, s4
	s_mov_b32 s20, exec_lo
	v_cmpx_ne_u16_e32 0x80, v14
	s_cbranch_execz .LBB209_284
; %bb.279:                              ;   in Loop: Header=BB209_200 Depth=1
	s_mov_b32 s2, s4
	v_dual_mov_b32 v23, s3 :: v_dual_and_b32 v14, 0xffff, v14
	v_mov_b32_e32 v22, s2
	s_mov_b32 s2, exec_lo
	s_delay_alu instid0(VALU_DEP_2) | instskip(NEXT) | instid1(VALU_DEP_1)
	v_and_b32_e32 v24, 0x7f, v14
	v_cmpx_ne_u32_e32 0x7f, v24
	s_cbranch_execz .LBB209_283
; %bb.280:                              ;   in Loop: Header=BB209_200 Depth=1
	v_and_b32_e32 v14, 7, v14
	v_lshrrev_b32_e32 v22, 3, v24
	s_mov_b32 s21, exec_lo
	v_cmpx_gt_u32_e32 8, v24
; %bb.281:                              ;   in Loop: Header=BB209_200 Depth=1
	s_delay_alu instid0(VALU_DEP_3) | instskip(NEXT) | instid1(VALU_DEP_1)
	v_clz_i32_u32_e32 v22, v14
	v_min_u32_e32 v22, 32, v22
	s_delay_alu instid0(VALU_DEP_1) | instskip(SKIP_1) | instid1(VALU_DEP_2)
	v_subrev_nc_u32_e32 v23, 28, v22
	v_sub_nc_u32_e32 v22, 29, v22
	v_lshlrev_b64 v[23:24], v23, v[14:15]
	s_delay_alu instid0(VALU_DEP_1)
	v_and_b32_e32 v14, 7, v23
; %bb.282:                              ;   in Loop: Header=BB209_200 Depth=1
	s_or_b32 exec_lo, exec_lo, s21
	v_lshlrev_b32_e32 v23, 16, v47
	s_delay_alu instid0(VALU_DEP_2) | instskip(SKIP_1) | instid1(VALU_DEP_3)
	v_lshlrev_b32_e32 v14, 20, v14
	v_lshl_add_u32 v22, v22, 23, 0x3c000000
	v_and_b32_e32 v23, 0x80000000, v23
	s_delay_alu instid0(VALU_DEP_1)
	v_or3_b32 v23, v14, v23, v22
	v_mov_b32_e32 v22, v15
.LBB209_283:                            ;   in Loop: Header=BB209_200 Depth=1
	s_or_b32 exec_lo, exec_lo, s2
.LBB209_284:                            ;   in Loop: Header=BB209_200 Depth=1
	s_delay_alu instid0(SALU_CYCLE_1)
	s_or_b32 exec_lo, exec_lo, s20
.LBB209_285:                            ;   in Loop: Header=BB209_200 Depth=1
	s_delay_alu instid0(SALU_CYCLE_1) | instskip(SKIP_4) | instid1(VALU_DEP_2)
	s_or_b32 exec_lo, exec_lo, s18
	v_mov_b32_e32 v26, 0
	v_lshrrev_b32_e32 v48, 16, v47
	v_mov_b32_e32 v27, 0
	s_mov_b32 s2, exec_lo
	v_and_b32_e32 v14, 0xff, v48
	s_delay_alu instid0(VALU_DEP_2) | instskip(NEXT) | instid1(VALU_DEP_2)
	v_dual_mov_b32 v24, v26 :: v_dual_mov_b32 v25, v27
	v_cmpx_ne_u16_e32 0, v14
	s_cbranch_execz .LBB209_293
; %bb.286:                              ;   in Loop: Header=BB209_200 Depth=1
	v_bfrev_b32_e32 v24, 1
	v_mov_b32_e32 v25, 0
	s_mov_b32 s18, exec_lo
	v_cmpx_ne_u16_e32 0x80, v14
	s_cbranch_execz .LBB209_292
; %bb.287:                              ;   in Loop: Header=BB209_200 Depth=1
	v_mov_b32_e32 v24, 0x7f800001
	v_bfe_u32 v49, v47, 16, 7
	v_mov_b32_e32 v25, 0
	s_mov_b32 s20, exec_lo
	s_delay_alu instid0(VALU_DEP_2)
	v_cmpx_ne_u32_e32 0x7f, v49
	s_cbranch_execz .LBB209_291
; %bb.288:                              ;   in Loop: Header=BB209_200 Depth=1
	v_and_b32_e32 v14, 7, v48
	v_lshrrev_b32_e32 v24, 3, v49
	s_mov_b32 s21, exec_lo
	v_cmpx_gt_u32_e32 8, v49
; %bb.289:                              ;   in Loop: Header=BB209_200 Depth=1
	s_delay_alu instid0(VALU_DEP_3) | instskip(NEXT) | instid1(VALU_DEP_1)
	v_clz_i32_u32_e32 v24, v14
	v_min_u32_e32 v24, 32, v24
	s_delay_alu instid0(VALU_DEP_1) | instskip(SKIP_1) | instid1(VALU_DEP_2)
	v_subrev_nc_u32_e32 v25, 28, v24
	v_sub_nc_u32_e32 v24, 29, v24
	v_lshlrev_b64 v[49:50], v25, v[14:15]
	s_delay_alu instid0(VALU_DEP_1)
	v_and_b32_e32 v14, 7, v49
; %bb.290:                              ;   in Loop: Header=BB209_200 Depth=1
	s_or_b32 exec_lo, exec_lo, s21
	v_lshlrev_b32_e32 v25, 24, v48
	s_delay_alu instid0(VALU_DEP_2) | instskip(SKIP_1) | instid1(VALU_DEP_3)
	v_lshlrev_b32_e32 v14, 20, v14
	v_lshl_add_u32 v24, v24, 23, 0x3c000000
	v_and_b32_e32 v25, 0x80000000, v25
	s_delay_alu instid0(VALU_DEP_1) | instskip(NEXT) | instid1(VALU_DEP_1)
	v_or3_b32 v14, v14, v25, v24
	v_dual_mov_b32 v25, v15 :: v_dual_mov_b32 v24, v14
.LBB209_291:                            ;   in Loop: Header=BB209_200 Depth=1
	s_or_b32 exec_lo, exec_lo, s20
.LBB209_292:                            ;   in Loop: Header=BB209_200 Depth=1
	s_delay_alu instid0(SALU_CYCLE_1)
	s_or_b32 exec_lo, exec_lo, s18
.LBB209_293:                            ;   in Loop: Header=BB209_200 Depth=1
	s_delay_alu instid0(SALU_CYCLE_1) | instskip(NEXT) | instid1(SALU_CYCLE_1)
	s_or_b32 exec_lo, exec_lo, s2
	s_mov_b32 s18, exec_lo
	v_cmpx_lt_u32_e32 0xffffff, v47
	s_cbranch_execz .LBB209_301
; %bb.294:                              ;   in Loop: Header=BB209_200 Depth=1
	v_lshrrev_b32_e32 v48, 24, v47
	v_dual_mov_b32 v27, s5 :: v_dual_mov_b32 v26, s4
	s_mov_b32 s20, exec_lo
	s_delay_alu instid0(VALU_DEP_2)
	v_cmpx_ne_u32_e32 0x80, v48
	s_cbranch_execz .LBB209_300
; %bb.295:                              ;   in Loop: Header=BB209_200 Depth=1
	s_mov_b32 s2, s4
	v_bfe_u32 v47, v47, 24, 7
	v_dual_mov_b32 v27, s3 :: v_dual_mov_b32 v26, s2
	s_mov_b32 s2, exec_lo
	s_delay_alu instid0(VALU_DEP_2)
	v_cmpx_ne_u32_e32 0x7f, v47
	s_cbranch_execz .LBB209_299
; %bb.296:                              ;   in Loop: Header=BB209_200 Depth=1
	v_and_b32_e32 v14, 7, v48
	v_lshrrev_b32_e32 v26, 3, v47
	s_mov_b32 s21, exec_lo
	v_cmpx_gt_u32_e32 8, v47
; %bb.297:                              ;   in Loop: Header=BB209_200 Depth=1
	s_delay_alu instid0(VALU_DEP_3) | instskip(NEXT) | instid1(VALU_DEP_1)
	v_clz_i32_u32_e32 v26, v14
	v_min_u32_e32 v26, 32, v26
	s_delay_alu instid0(VALU_DEP_1) | instskip(SKIP_1) | instid1(VALU_DEP_2)
	v_subrev_nc_u32_e32 v27, 28, v26
	v_sub_nc_u32_e32 v26, 29, v26
	v_lshlrev_b64 v[49:50], v27, v[14:15]
	s_delay_alu instid0(VALU_DEP_1)
	v_and_b32_e32 v14, 7, v49
; %bb.298:                              ;   in Loop: Header=BB209_200 Depth=1
	s_or_b32 exec_lo, exec_lo, s21
	v_lshlrev_b32_e32 v27, 24, v48
	s_delay_alu instid0(VALU_DEP_2) | instskip(SKIP_1) | instid1(VALU_DEP_3)
	v_lshlrev_b32_e32 v14, 20, v14
	v_lshl_add_u32 v26, v26, 23, 0x3c000000
	v_and_b32_e32 v27, 0x80000000, v27
	s_delay_alu instid0(VALU_DEP_1)
	v_or3_b32 v27, v14, v27, v26
	v_mov_b32_e32 v26, v15
.LBB209_299:                            ;   in Loop: Header=BB209_200 Depth=1
	s_or_b32 exec_lo, exec_lo, s2
.LBB209_300:                            ;   in Loop: Header=BB209_200 Depth=1
	s_delay_alu instid0(SALU_CYCLE_1)
	s_or_b32 exec_lo, exec_lo, s20
.LBB209_301:                            ;   in Loop: Header=BB209_200 Depth=1
	s_delay_alu instid0(SALU_CYCLE_1) | instskip(SKIP_4) | instid1(VALU_DEP_4)
	s_or_b32 exec_lo, exec_lo, s18
	v_or_b32_e32 v14, v23, v19
	v_or_b32_e32 v18, v22, v18
	;; [unrolled: 1-line block ×4, first 2 shown]
	v_mul_f32_e32 v50, s17, v14
	s_delay_alu instid0(VALU_DEP_4) | instskip(NEXT) | instid1(VALU_DEP_3)
	v_mul_f32_e32 v49, s8, v18
	v_dual_mul_f32 v47, s17, v19 :: v_dual_mul_f32 v48, s8, v22
	s_and_saveexec_b32 s2, vcc_lo
; %bb.302:                              ;   in Loop: Header=BB209_200 Depth=1
	v_cmp_gt_i32_e64 s0, s33, v39
	s_delay_alu instid0(VALU_DEP_1) | instskip(SKIP_1) | instid1(VALU_DEP_1)
	v_cndmask_b32_e64 v49, 0, v49, s0
	v_cmp_gt_i32_e64 s0, s33, v42
	v_cndmask_b32_e64 v50, 0, v50, s0
	v_cmp_gt_i32_e64 s0, s33, v41
	s_delay_alu instid0(VALU_DEP_1) | instskip(SKIP_1) | instid1(VALU_DEP_1)
	v_cndmask_b32_e64 v48, 0, v48, s0
	v_cmp_gt_i32_e64 s0, s33, v40
	v_cndmask_b32_e64 v47, 0, v47, s0
; %bb.303:                              ;   in Loop: Header=BB209_200 Depth=1
	s_or_b32 exec_lo, exec_lo, s2
	global_load_b32 v51, v[16:17], off offset:384
	v_mov_b32_e32 v22, 0
	v_mov_b32_e32 v23, 0
	s_mov_b32 s2, exec_lo
	s_waitcnt vmcnt(0)
	v_and_b32_e32 v14, 0xff, v51
	s_delay_alu instid0(VALU_DEP_2) | instskip(NEXT) | instid1(VALU_DEP_2)
	v_dual_mov_b32 v18, v22 :: v_dual_mov_b32 v19, v23
	v_cmpx_ne_u16_e32 0, v14
	s_cbranch_execz .LBB209_311
; %bb.304:                              ;   in Loop: Header=BB209_200 Depth=1
	v_bfrev_b32_e32 v18, 1
	v_mov_b32_e32 v19, 0
	s_mov_b32 s18, exec_lo
	v_cmpx_ne_u16_e32 0x80, v14
	s_cbranch_execz .LBB209_310
; %bb.305:                              ;   in Loop: Header=BB209_200 Depth=1
	v_mov_b32_e32 v18, 0x7f800001
	v_dual_mov_b32 v19, 0 :: v_dual_and_b32 v24, 0x7f, v51
	s_mov_b32 s20, exec_lo
	s_delay_alu instid0(VALU_DEP_1)
	v_cmpx_ne_u32_e32 0x7f, v24
	s_cbranch_execz .LBB209_309
; %bb.306:                              ;   in Loop: Header=BB209_200 Depth=1
	v_and_b32_e32 v14, 7, v51
	v_lshrrev_b32_e32 v18, 3, v24
	s_mov_b32 s21, exec_lo
	v_cmpx_gt_u32_e32 8, v24
; %bb.307:                              ;   in Loop: Header=BB209_200 Depth=1
	s_delay_alu instid0(VALU_DEP_3) | instskip(NEXT) | instid1(VALU_DEP_1)
	v_clz_i32_u32_e32 v18, v14
	v_min_u32_e32 v18, 32, v18
	s_delay_alu instid0(VALU_DEP_1) | instskip(SKIP_1) | instid1(VALU_DEP_2)
	v_subrev_nc_u32_e32 v19, 28, v18
	v_sub_nc_u32_e32 v18, 29, v18
	v_lshlrev_b64 v[24:25], v19, v[14:15]
	s_delay_alu instid0(VALU_DEP_1)
	v_and_b32_e32 v14, 7, v24
; %bb.308:                              ;   in Loop: Header=BB209_200 Depth=1
	s_or_b32 exec_lo, exec_lo, s21
	v_lshlrev_b32_e32 v19, 24, v51
	s_delay_alu instid0(VALU_DEP_2) | instskip(SKIP_1) | instid1(VALU_DEP_3)
	v_lshlrev_b32_e32 v14, 20, v14
	v_lshl_add_u32 v18, v18, 23, 0x3c000000
	v_and_b32_e32 v19, 0x80000000, v19
	s_delay_alu instid0(VALU_DEP_1) | instskip(NEXT) | instid1(VALU_DEP_1)
	v_or3_b32 v14, v14, v19, v18
	v_dual_mov_b32 v19, v15 :: v_dual_mov_b32 v18, v14
.LBB209_309:                            ;   in Loop: Header=BB209_200 Depth=1
	s_or_b32 exec_lo, exec_lo, s20
.LBB209_310:                            ;   in Loop: Header=BB209_200 Depth=1
	s_delay_alu instid0(SALU_CYCLE_1)
	s_or_b32 exec_lo, exec_lo, s18
.LBB209_311:                            ;   in Loop: Header=BB209_200 Depth=1
	s_delay_alu instid0(SALU_CYCLE_1) | instskip(SKIP_2) | instid1(VALU_DEP_1)
	s_or_b32 exec_lo, exec_lo, s2
	v_lshrrev_b16 v14, 8, v51
	s_mov_b32 s18, exec_lo
	v_cmpx_ne_u16_e32 0, v14
	s_cbranch_execz .LBB209_319
; %bb.312:                              ;   in Loop: Header=BB209_200 Depth=1
	v_dual_mov_b32 v23, s5 :: v_dual_mov_b32 v22, s4
	s_mov_b32 s20, exec_lo
	v_cmpx_ne_u16_e32 0x80, v14
	s_cbranch_execz .LBB209_318
; %bb.313:                              ;   in Loop: Header=BB209_200 Depth=1
	s_mov_b32 s2, s4
	v_dual_mov_b32 v23, s3 :: v_dual_and_b32 v14, 0xffff, v14
	v_mov_b32_e32 v22, s2
	s_mov_b32 s2, exec_lo
	s_delay_alu instid0(VALU_DEP_2) | instskip(NEXT) | instid1(VALU_DEP_1)
	v_and_b32_e32 v24, 0x7f, v14
	v_cmpx_ne_u32_e32 0x7f, v24
	s_cbranch_execz .LBB209_317
; %bb.314:                              ;   in Loop: Header=BB209_200 Depth=1
	v_and_b32_e32 v14, 7, v14
	v_lshrrev_b32_e32 v22, 3, v24
	s_mov_b32 s21, exec_lo
	v_cmpx_gt_u32_e32 8, v24
; %bb.315:                              ;   in Loop: Header=BB209_200 Depth=1
	s_delay_alu instid0(VALU_DEP_3) | instskip(NEXT) | instid1(VALU_DEP_1)
	v_clz_i32_u32_e32 v22, v14
	v_min_u32_e32 v22, 32, v22
	s_delay_alu instid0(VALU_DEP_1) | instskip(SKIP_1) | instid1(VALU_DEP_2)
	v_subrev_nc_u32_e32 v23, 28, v22
	v_sub_nc_u32_e32 v22, 29, v22
	v_lshlrev_b64 v[23:24], v23, v[14:15]
	s_delay_alu instid0(VALU_DEP_1)
	v_and_b32_e32 v14, 7, v23
; %bb.316:                              ;   in Loop: Header=BB209_200 Depth=1
	s_or_b32 exec_lo, exec_lo, s21
	v_lshlrev_b32_e32 v23, 16, v51
	s_delay_alu instid0(VALU_DEP_2) | instskip(SKIP_1) | instid1(VALU_DEP_3)
	v_lshlrev_b32_e32 v14, 20, v14
	v_lshl_add_u32 v22, v22, 23, 0x3c000000
	v_and_b32_e32 v23, 0x80000000, v23
	s_delay_alu instid0(VALU_DEP_1)
	v_or3_b32 v23, v14, v23, v22
	v_mov_b32_e32 v22, v15
.LBB209_317:                            ;   in Loop: Header=BB209_200 Depth=1
	s_or_b32 exec_lo, exec_lo, s2
.LBB209_318:                            ;   in Loop: Header=BB209_200 Depth=1
	s_delay_alu instid0(SALU_CYCLE_1)
	s_or_b32 exec_lo, exec_lo, s20
.LBB209_319:                            ;   in Loop: Header=BB209_200 Depth=1
	s_delay_alu instid0(SALU_CYCLE_1) | instskip(SKIP_4) | instid1(VALU_DEP_2)
	s_or_b32 exec_lo, exec_lo, s18
	v_mov_b32_e32 v26, 0
	v_lshrrev_b32_e32 v52, 16, v51
	v_mov_b32_e32 v27, 0
	s_mov_b32 s2, exec_lo
	v_and_b32_e32 v14, 0xff, v52
	s_delay_alu instid0(VALU_DEP_2) | instskip(NEXT) | instid1(VALU_DEP_2)
	v_dual_mov_b32 v24, v26 :: v_dual_mov_b32 v25, v27
	v_cmpx_ne_u16_e32 0, v14
	s_cbranch_execz .LBB209_327
; %bb.320:                              ;   in Loop: Header=BB209_200 Depth=1
	v_bfrev_b32_e32 v24, 1
	v_mov_b32_e32 v25, 0
	s_mov_b32 s18, exec_lo
	v_cmpx_ne_u16_e32 0x80, v14
	s_cbranch_execz .LBB209_326
; %bb.321:                              ;   in Loop: Header=BB209_200 Depth=1
	v_mov_b32_e32 v24, 0x7f800001
	v_bfe_u32 v53, v51, 16, 7
	v_mov_b32_e32 v25, 0
	s_mov_b32 s20, exec_lo
	s_delay_alu instid0(VALU_DEP_2)
	v_cmpx_ne_u32_e32 0x7f, v53
	s_cbranch_execz .LBB209_325
; %bb.322:                              ;   in Loop: Header=BB209_200 Depth=1
	v_and_b32_e32 v14, 7, v52
	v_lshrrev_b32_e32 v24, 3, v53
	s_mov_b32 s21, exec_lo
	v_cmpx_gt_u32_e32 8, v53
; %bb.323:                              ;   in Loop: Header=BB209_200 Depth=1
	s_delay_alu instid0(VALU_DEP_3) | instskip(NEXT) | instid1(VALU_DEP_1)
	v_clz_i32_u32_e32 v24, v14
	v_min_u32_e32 v24, 32, v24
	s_delay_alu instid0(VALU_DEP_1) | instskip(SKIP_1) | instid1(VALU_DEP_2)
	v_subrev_nc_u32_e32 v25, 28, v24
	v_sub_nc_u32_e32 v24, 29, v24
	v_lshlrev_b64 v[53:54], v25, v[14:15]
	s_delay_alu instid0(VALU_DEP_1)
	v_and_b32_e32 v14, 7, v53
; %bb.324:                              ;   in Loop: Header=BB209_200 Depth=1
	s_or_b32 exec_lo, exec_lo, s21
	v_lshlrev_b32_e32 v25, 24, v52
	s_delay_alu instid0(VALU_DEP_2) | instskip(SKIP_1) | instid1(VALU_DEP_3)
	v_lshlrev_b32_e32 v14, 20, v14
	v_lshl_add_u32 v24, v24, 23, 0x3c000000
	v_and_b32_e32 v25, 0x80000000, v25
	s_delay_alu instid0(VALU_DEP_1) | instskip(NEXT) | instid1(VALU_DEP_1)
	v_or3_b32 v14, v14, v25, v24
	v_dual_mov_b32 v25, v15 :: v_dual_mov_b32 v24, v14
.LBB209_325:                            ;   in Loop: Header=BB209_200 Depth=1
	s_or_b32 exec_lo, exec_lo, s20
.LBB209_326:                            ;   in Loop: Header=BB209_200 Depth=1
	s_delay_alu instid0(SALU_CYCLE_1)
	s_or_b32 exec_lo, exec_lo, s18
.LBB209_327:                            ;   in Loop: Header=BB209_200 Depth=1
	s_delay_alu instid0(SALU_CYCLE_1) | instskip(NEXT) | instid1(SALU_CYCLE_1)
	s_or_b32 exec_lo, exec_lo, s2
	s_mov_b32 s18, exec_lo
	v_cmpx_lt_u32_e32 0xffffff, v51
	s_cbranch_execz .LBB209_335
; %bb.328:                              ;   in Loop: Header=BB209_200 Depth=1
	v_lshrrev_b32_e32 v52, 24, v51
	v_dual_mov_b32 v27, s5 :: v_dual_mov_b32 v26, s4
	s_mov_b32 s20, exec_lo
	s_delay_alu instid0(VALU_DEP_2)
	v_cmpx_ne_u32_e32 0x80, v52
	s_cbranch_execz .LBB209_334
; %bb.329:                              ;   in Loop: Header=BB209_200 Depth=1
	s_mov_b32 s2, s4
	v_bfe_u32 v51, v51, 24, 7
	v_dual_mov_b32 v27, s3 :: v_dual_mov_b32 v26, s2
	s_mov_b32 s2, exec_lo
	s_delay_alu instid0(VALU_DEP_2)
	v_cmpx_ne_u32_e32 0x7f, v51
	s_cbranch_execz .LBB209_333
; %bb.330:                              ;   in Loop: Header=BB209_200 Depth=1
	v_and_b32_e32 v14, 7, v52
	v_lshrrev_b32_e32 v26, 3, v51
	s_mov_b32 s21, exec_lo
	v_cmpx_gt_u32_e32 8, v51
; %bb.331:                              ;   in Loop: Header=BB209_200 Depth=1
	s_delay_alu instid0(VALU_DEP_3) | instskip(NEXT) | instid1(VALU_DEP_1)
	v_clz_i32_u32_e32 v26, v14
	v_min_u32_e32 v26, 32, v26
	s_delay_alu instid0(VALU_DEP_1) | instskip(SKIP_1) | instid1(VALU_DEP_2)
	v_subrev_nc_u32_e32 v27, 28, v26
	v_sub_nc_u32_e32 v26, 29, v26
	v_lshlrev_b64 v[53:54], v27, v[14:15]
	s_delay_alu instid0(VALU_DEP_1)
	v_and_b32_e32 v14, 7, v53
; %bb.332:                              ;   in Loop: Header=BB209_200 Depth=1
	s_or_b32 exec_lo, exec_lo, s21
	v_lshlrev_b32_e32 v27, 24, v52
	s_delay_alu instid0(VALU_DEP_2) | instskip(SKIP_1) | instid1(VALU_DEP_3)
	v_lshlrev_b32_e32 v14, 20, v14
	v_lshl_add_u32 v26, v26, 23, 0x3c000000
	v_and_b32_e32 v27, 0x80000000, v27
	s_delay_alu instid0(VALU_DEP_1)
	v_or3_b32 v27, v14, v27, v26
	v_mov_b32_e32 v26, v15
.LBB209_333:                            ;   in Loop: Header=BB209_200 Depth=1
	s_or_b32 exec_lo, exec_lo, s2
.LBB209_334:                            ;   in Loop: Header=BB209_200 Depth=1
	s_delay_alu instid0(SALU_CYCLE_1)
	s_or_b32 exec_lo, exec_lo, s20
.LBB209_335:                            ;   in Loop: Header=BB209_200 Depth=1
	s_delay_alu instid0(SALU_CYCLE_1) | instskip(SKIP_4) | instid1(VALU_DEP_4)
	s_or_b32 exec_lo, exec_lo, s18
	v_or_b32_e32 v14, v23, v19
	v_or_b32_e32 v18, v22, v18
	;; [unrolled: 1-line block ×4, first 2 shown]
	v_mul_f32_e32 v52, s17, v14
	s_delay_alu instid0(VALU_DEP_3) | instskip(NEXT) | instid1(VALU_DEP_3)
	v_dual_mul_f32 v51, s8, v18 :: v_dual_mul_f32 v26, s17, v19
	v_mul_f32_e32 v27, s8, v22
	s_and_saveexec_b32 s2, vcc_lo
; %bb.336:                              ;   in Loop: Header=BB209_200 Depth=1
	v_cmp_gt_i32_e64 s0, s33, v39
	s_delay_alu instid0(VALU_DEP_1) | instskip(SKIP_1) | instid1(VALU_DEP_1)
	v_cndmask_b32_e64 v51, 0, v51, s0
	v_cmp_gt_i32_e64 s0, s33, v42
	v_cndmask_b32_e64 v52, 0, v52, s0
	v_cmp_gt_i32_e64 s0, s33, v41
	s_delay_alu instid0(VALU_DEP_1) | instskip(SKIP_1) | instid1(VALU_DEP_1)
	v_cndmask_b32_e64 v27, 0, v27, s0
	v_cmp_gt_i32_e64 s0, s33, v40
	v_cndmask_b32_e64 v26, 0, v26, s0
; %bb.337:                              ;   in Loop: Header=BB209_200 Depth=1
	s_or_b32 exec_lo, exec_lo, s2
	global_load_b32 v53, v[16:17], off offset:512
	v_mov_b32_e32 v18, 0
	v_mov_b32_e32 v19, 0
	s_mov_b32 s2, exec_lo
	s_waitcnt vmcnt(0)
	v_and_b32_e32 v14, 0xff, v53
	s_delay_alu instid0(VALU_DEP_2) | instskip(NEXT) | instid1(VALU_DEP_2)
	v_dual_mov_b32 v16, v18 :: v_dual_mov_b32 v17, v19
	v_cmpx_ne_u16_e32 0, v14
	s_cbranch_execz .LBB209_345
; %bb.338:                              ;   in Loop: Header=BB209_200 Depth=1
	v_bfrev_b32_e32 v16, 1
	v_mov_b32_e32 v17, 0
	s_mov_b32 s18, exec_lo
	v_cmpx_ne_u16_e32 0x80, v14
	s_cbranch_execz .LBB209_344
; %bb.339:                              ;   in Loop: Header=BB209_200 Depth=1
	v_mov_b32_e32 v16, 0x7f800001
	v_dual_mov_b32 v17, 0 :: v_dual_and_b32 v22, 0x7f, v53
	s_mov_b32 s20, exec_lo
	s_delay_alu instid0(VALU_DEP_1)
	v_cmpx_ne_u32_e32 0x7f, v22
	s_cbranch_execz .LBB209_343
; %bb.340:                              ;   in Loop: Header=BB209_200 Depth=1
	v_and_b32_e32 v14, 7, v53
	v_lshrrev_b32_e32 v16, 3, v22
	s_mov_b32 s21, exec_lo
	v_cmpx_gt_u32_e32 8, v22
; %bb.341:                              ;   in Loop: Header=BB209_200 Depth=1
	s_delay_alu instid0(VALU_DEP_3) | instskip(NEXT) | instid1(VALU_DEP_1)
	v_clz_i32_u32_e32 v16, v14
	v_min_u32_e32 v16, 32, v16
	s_delay_alu instid0(VALU_DEP_1) | instskip(SKIP_1) | instid1(VALU_DEP_2)
	v_subrev_nc_u32_e32 v17, 28, v16
	v_sub_nc_u32_e32 v16, 29, v16
	v_lshlrev_b64 v[22:23], v17, v[14:15]
	s_delay_alu instid0(VALU_DEP_1)
	v_and_b32_e32 v14, 7, v22
; %bb.342:                              ;   in Loop: Header=BB209_200 Depth=1
	s_or_b32 exec_lo, exec_lo, s21
	v_lshlrev_b32_e32 v17, 24, v53
	s_delay_alu instid0(VALU_DEP_2) | instskip(SKIP_1) | instid1(VALU_DEP_3)
	v_lshlrev_b32_e32 v14, 20, v14
	v_lshl_add_u32 v16, v16, 23, 0x3c000000
	v_and_b32_e32 v17, 0x80000000, v17
	s_delay_alu instid0(VALU_DEP_1) | instskip(NEXT) | instid1(VALU_DEP_1)
	v_or3_b32 v14, v14, v17, v16
	v_dual_mov_b32 v17, v15 :: v_dual_mov_b32 v16, v14
.LBB209_343:                            ;   in Loop: Header=BB209_200 Depth=1
	s_or_b32 exec_lo, exec_lo, s20
.LBB209_344:                            ;   in Loop: Header=BB209_200 Depth=1
	s_delay_alu instid0(SALU_CYCLE_1)
	s_or_b32 exec_lo, exec_lo, s18
.LBB209_345:                            ;   in Loop: Header=BB209_200 Depth=1
	s_delay_alu instid0(SALU_CYCLE_1) | instskip(SKIP_2) | instid1(VALU_DEP_1)
	s_or_b32 exec_lo, exec_lo, s2
	v_lshrrev_b16 v14, 8, v53
	s_mov_b32 s18, exec_lo
	v_cmpx_ne_u16_e32 0, v14
	s_cbranch_execz .LBB209_353
; %bb.346:                              ;   in Loop: Header=BB209_200 Depth=1
	v_dual_mov_b32 v19, s5 :: v_dual_mov_b32 v18, s4
	s_mov_b32 s20, exec_lo
	v_cmpx_ne_u16_e32 0x80, v14
	s_cbranch_execz .LBB209_352
; %bb.347:                              ;   in Loop: Header=BB209_200 Depth=1
	s_mov_b32 s2, s4
	v_dual_mov_b32 v19, s3 :: v_dual_and_b32 v14, 0xffff, v14
	v_mov_b32_e32 v18, s2
	s_mov_b32 s2, exec_lo
	s_delay_alu instid0(VALU_DEP_2) | instskip(NEXT) | instid1(VALU_DEP_1)
	v_and_b32_e32 v22, 0x7f, v14
	v_cmpx_ne_u32_e32 0x7f, v22
	s_cbranch_execz .LBB209_351
; %bb.348:                              ;   in Loop: Header=BB209_200 Depth=1
	v_and_b32_e32 v14, 7, v14
	v_lshrrev_b32_e32 v18, 3, v22
	s_mov_b32 s21, exec_lo
	v_cmpx_gt_u32_e32 8, v22
; %bb.349:                              ;   in Loop: Header=BB209_200 Depth=1
	s_delay_alu instid0(VALU_DEP_3) | instskip(NEXT) | instid1(VALU_DEP_1)
	v_clz_i32_u32_e32 v18, v14
	v_min_u32_e32 v18, 32, v18
	s_delay_alu instid0(VALU_DEP_1) | instskip(SKIP_1) | instid1(VALU_DEP_2)
	v_subrev_nc_u32_e32 v19, 28, v18
	v_sub_nc_u32_e32 v18, 29, v18
	v_lshlrev_b64 v[22:23], v19, v[14:15]
	s_delay_alu instid0(VALU_DEP_1)
	v_and_b32_e32 v14, 7, v22
; %bb.350:                              ;   in Loop: Header=BB209_200 Depth=1
	s_or_b32 exec_lo, exec_lo, s21
	v_lshlrev_b32_e32 v19, 16, v53
	s_delay_alu instid0(VALU_DEP_2) | instskip(SKIP_1) | instid1(VALU_DEP_3)
	v_lshlrev_b32_e32 v14, 20, v14
	v_lshl_add_u32 v18, v18, 23, 0x3c000000
	v_and_b32_e32 v19, 0x80000000, v19
	s_delay_alu instid0(VALU_DEP_1)
	v_or3_b32 v19, v14, v19, v18
	v_mov_b32_e32 v18, v15
.LBB209_351:                            ;   in Loop: Header=BB209_200 Depth=1
	s_or_b32 exec_lo, exec_lo, s2
.LBB209_352:                            ;   in Loop: Header=BB209_200 Depth=1
	s_delay_alu instid0(SALU_CYCLE_1)
	s_or_b32 exec_lo, exec_lo, s20
.LBB209_353:                            ;   in Loop: Header=BB209_200 Depth=1
	s_delay_alu instid0(SALU_CYCLE_1) | instskip(SKIP_4) | instid1(VALU_DEP_2)
	s_or_b32 exec_lo, exec_lo, s18
	v_mov_b32_e32 v24, 0
	v_lshrrev_b32_e32 v54, 16, v53
	v_mov_b32_e32 v25, 0
	s_mov_b32 s2, exec_lo
	v_and_b32_e32 v14, 0xff, v54
	s_delay_alu instid0(VALU_DEP_2) | instskip(NEXT) | instid1(VALU_DEP_2)
	v_dual_mov_b32 v22, v24 :: v_dual_mov_b32 v23, v25
	v_cmpx_ne_u16_e32 0, v14
	s_cbranch_execz .LBB209_361
; %bb.354:                              ;   in Loop: Header=BB209_200 Depth=1
	v_bfrev_b32_e32 v22, 1
	v_mov_b32_e32 v23, 0
	s_mov_b32 s18, exec_lo
	v_cmpx_ne_u16_e32 0x80, v14
	s_cbranch_execz .LBB209_360
; %bb.355:                              ;   in Loop: Header=BB209_200 Depth=1
	v_mov_b32_e32 v22, 0x7f800001
	v_bfe_u32 v55, v53, 16, 7
	v_mov_b32_e32 v23, 0
	s_mov_b32 s20, exec_lo
	s_delay_alu instid0(VALU_DEP_2)
	v_cmpx_ne_u32_e32 0x7f, v55
	s_cbranch_execz .LBB209_359
; %bb.356:                              ;   in Loop: Header=BB209_200 Depth=1
	v_and_b32_e32 v14, 7, v54
	v_lshrrev_b32_e32 v22, 3, v55
	s_mov_b32 s21, exec_lo
	v_cmpx_gt_u32_e32 8, v55
; %bb.357:                              ;   in Loop: Header=BB209_200 Depth=1
	s_delay_alu instid0(VALU_DEP_3) | instskip(NEXT) | instid1(VALU_DEP_1)
	v_clz_i32_u32_e32 v22, v14
	v_min_u32_e32 v22, 32, v22
	s_delay_alu instid0(VALU_DEP_1) | instskip(SKIP_1) | instid1(VALU_DEP_2)
	v_subrev_nc_u32_e32 v23, 28, v22
	v_sub_nc_u32_e32 v22, 29, v22
	v_lshlrev_b64 v[55:56], v23, v[14:15]
	s_delay_alu instid0(VALU_DEP_1)
	v_and_b32_e32 v14, 7, v55
; %bb.358:                              ;   in Loop: Header=BB209_200 Depth=1
	s_or_b32 exec_lo, exec_lo, s21
	v_lshlrev_b32_e32 v23, 24, v54
	s_delay_alu instid0(VALU_DEP_2) | instskip(SKIP_1) | instid1(VALU_DEP_3)
	v_lshlrev_b32_e32 v14, 20, v14
	v_lshl_add_u32 v22, v22, 23, 0x3c000000
	v_and_b32_e32 v23, 0x80000000, v23
	s_delay_alu instid0(VALU_DEP_1) | instskip(NEXT) | instid1(VALU_DEP_1)
	v_or3_b32 v14, v14, v23, v22
	v_dual_mov_b32 v23, v15 :: v_dual_mov_b32 v22, v14
.LBB209_359:                            ;   in Loop: Header=BB209_200 Depth=1
	s_or_b32 exec_lo, exec_lo, s20
.LBB209_360:                            ;   in Loop: Header=BB209_200 Depth=1
	s_delay_alu instid0(SALU_CYCLE_1)
	s_or_b32 exec_lo, exec_lo, s18
.LBB209_361:                            ;   in Loop: Header=BB209_200 Depth=1
	s_delay_alu instid0(SALU_CYCLE_1) | instskip(NEXT) | instid1(SALU_CYCLE_1)
	s_or_b32 exec_lo, exec_lo, s2
	s_mov_b32 s18, exec_lo
	v_cmpx_lt_u32_e32 0xffffff, v53
	s_cbranch_execz .LBB209_369
; %bb.362:                              ;   in Loop: Header=BB209_200 Depth=1
	v_lshrrev_b32_e32 v54, 24, v53
	v_dual_mov_b32 v25, s5 :: v_dual_mov_b32 v24, s4
	s_mov_b32 s20, exec_lo
	s_delay_alu instid0(VALU_DEP_2)
	v_cmpx_ne_u32_e32 0x80, v54
	s_cbranch_execz .LBB209_368
; %bb.363:                              ;   in Loop: Header=BB209_200 Depth=1
	s_mov_b32 s2, s4
	v_bfe_u32 v53, v53, 24, 7
	v_dual_mov_b32 v25, s3 :: v_dual_mov_b32 v24, s2
	s_mov_b32 s2, exec_lo
	s_delay_alu instid0(VALU_DEP_2)
	v_cmpx_ne_u32_e32 0x7f, v53
	s_cbranch_execz .LBB209_367
; %bb.364:                              ;   in Loop: Header=BB209_200 Depth=1
	v_and_b32_e32 v14, 7, v54
	v_lshrrev_b32_e32 v24, 3, v53
	s_mov_b32 s21, exec_lo
	v_cmpx_gt_u32_e32 8, v53
; %bb.365:                              ;   in Loop: Header=BB209_200 Depth=1
	s_delay_alu instid0(VALU_DEP_3) | instskip(NEXT) | instid1(VALU_DEP_1)
	v_clz_i32_u32_e32 v24, v14
	v_min_u32_e32 v24, 32, v24
	s_delay_alu instid0(VALU_DEP_1) | instskip(SKIP_1) | instid1(VALU_DEP_2)
	v_subrev_nc_u32_e32 v25, 28, v24
	v_sub_nc_u32_e32 v24, 29, v24
	v_lshlrev_b64 v[55:56], v25, v[14:15]
	s_delay_alu instid0(VALU_DEP_1)
	v_and_b32_e32 v14, 7, v55
; %bb.366:                              ;   in Loop: Header=BB209_200 Depth=1
	s_or_b32 exec_lo, exec_lo, s21
	v_lshlrev_b32_e32 v25, 24, v54
	s_delay_alu instid0(VALU_DEP_2) | instskip(SKIP_1) | instid1(VALU_DEP_3)
	v_lshlrev_b32_e32 v14, 20, v14
	v_lshl_add_u32 v24, v24, 23, 0x3c000000
	v_and_b32_e32 v25, 0x80000000, v25
	s_delay_alu instid0(VALU_DEP_1)
	v_or3_b32 v25, v14, v25, v24
	v_mov_b32_e32 v24, v15
.LBB209_367:                            ;   in Loop: Header=BB209_200 Depth=1
	s_or_b32 exec_lo, exec_lo, s2
.LBB209_368:                            ;   in Loop: Header=BB209_200 Depth=1
	s_delay_alu instid0(SALU_CYCLE_1)
	s_or_b32 exec_lo, exec_lo, s20
.LBB209_369:                            ;   in Loop: Header=BB209_200 Depth=1
	s_delay_alu instid0(SALU_CYCLE_1) | instskip(SKIP_4) | instid1(VALU_DEP_3)
	s_or_b32 exec_lo, exec_lo, s18
	v_or_b32_e32 v14, v19, v17
	v_or_b32_e32 v16, v18, v16
	;; [unrolled: 1-line block ×4, first 2 shown]
	v_dual_mul_f32 v18, s17, v14 :: v_dual_mul_f32 v17, s8, v16
	s_delay_alu instid0(VALU_DEP_3) | instskip(NEXT) | instid1(VALU_DEP_3)
	v_mul_f32_e32 v14, s17, v19
	v_mul_f32_e32 v16, s8, v22
	s_and_saveexec_b32 s0, vcc_lo
	s_cbranch_execz .LBB209_198
; %bb.370:                              ;   in Loop: Header=BB209_200 Depth=1
	v_cmp_gt_i32_e32 vcc_lo, s33, v39
	v_cndmask_b32_e32 v17, 0, v17, vcc_lo
	v_cmp_gt_i32_e32 vcc_lo, s33, v42
	v_cndmask_b32_e32 v18, 0, v18, vcc_lo
	;; [unrolled: 2-line block ×4, first 2 shown]
	s_branch .LBB209_198
.LBB209_371:
	s_or_b32 exec_lo, exec_lo, s6
.LBB209_372:
	s_delay_alu instid0(SALU_CYCLE_1)
	s_or_b32 exec_lo, exec_lo, s1
	ds_bpermute_b32 v6, v28, v1
	ds_bpermute_b32 v10, v28, v2
	ds_bpermute_b32 v11, v28, v3
	ds_bpermute_b32 v12, v28, v4
	ds_bpermute_b32 v13, v28, v5
	v_and_b32_e32 v7, 0x3c1, v0
	v_lshrrev_b32_e32 v8, 1, v20
	s_movk_i32 s0, 0x140
	s_waitcnt lgkmcnt(0)
	s_waitcnt_vscnt null, 0x0
	v_mad_u32_u24 v9, v33, s0, 0x160
	v_cmp_eq_u32_e32 vcc_lo, 64, v7
	s_barrier
	buffer_gl0_inv
	v_add_f32_e32 v7, v1, v6
	v_dual_add_f32 v6, v2, v10 :: v_dual_add_f32 v3, v3, v11
	v_add_f32_e32 v2, v4, v12
	v_dual_add_f32 v1, v5, v13 :: v_dual_lshlrev_b32 v4, 2, v8
	s_and_saveexec_b32 s0, vcc_lo
	s_cbranch_execz .LBB209_374
; %bb.373:
	s_delay_alu instid0(VALU_DEP_1)
	v_add3_u32 v5, v9, v4, 0xfffffd80
	ds_store_2addr_b32 v5, v7, v6 offset1:16
	ds_store_2addr_b32 v5, v3, v2 offset0:32 offset1:48
	ds_store_b32 v5, v1 offset:256
.LBB209_374:
	s_or_b32 exec_lo, exec_lo, s0
	v_cmp_eq_u32_e32 vcc_lo, 0, v29
	s_mov_b32 s1, exec_lo
	s_waitcnt lgkmcnt(0)
	s_barrier
	buffer_gl0_inv
	v_cmpx_gt_u32_e32 64, v0
	s_cbranch_execz .LBB209_382
; %bb.375:
	s_and_saveexec_b32 s0, vcc_lo
	s_cbranch_execnz .LBB209_395
; %bb.376:
	s_or_b32 exec_lo, exec_lo, s0
	s_and_saveexec_b32 s0, vcc_lo
	s_cbranch_execnz .LBB209_396
.LBB209_377:
	s_or_b32 exec_lo, exec_lo, s0
	s_and_saveexec_b32 s0, vcc_lo
	s_cbranch_execnz .LBB209_397
.LBB209_378:
	s_or_b32 exec_lo, exec_lo, s0
	s_and_saveexec_b32 s0, vcc_lo
	s_cbranch_execnz .LBB209_398
.LBB209_379:
	s_or_b32 exec_lo, exec_lo, s0
	s_and_saveexec_b32 s0, vcc_lo
	s_cbranch_execz .LBB209_381
.LBB209_380:
	v_lshl_add_u32 v5, v8, 2, v9
	ds_load_b32 v5, v5 offset:256
	s_waitcnt lgkmcnt(0)
	v_add_f32_e32 v1, v1, v5
.LBB209_381:
	s_or_b32 exec_lo, exec_lo, s0
.LBB209_382:
	s_delay_alu instid0(SALU_CYCLE_1)
	s_or_b32 exec_lo, exec_lo, s1
	v_and_b32_e32 v5, 0x3e1, v0
	s_mov_b32 s1, exec_lo
	s_barrier
	buffer_gl0_inv
	v_cmpx_eq_u32_e32 32, v5
	s_cbranch_execz .LBB209_384
; %bb.383:
	v_add3_u32 v4, v9, v4, 0xfffffec0
	ds_store_2addr_b32 v4, v7, v6 offset1:16
	ds_store_2addr_b32 v4, v3, v2 offset0:32 offset1:48
	ds_store_b32 v4, v1 offset:256
.LBB209_384:
	s_or_b32 exec_lo, exec_lo, s1
	s_delay_alu instid0(SALU_CYCLE_1)
	s_mov_b32 s1, exec_lo
	s_waitcnt lgkmcnt(0)
	s_barrier
	buffer_gl0_inv
	v_cmpx_gt_u32_e32 32, v0
	s_cbranch_execz .LBB209_392
; %bb.385:
	v_lshl_add_u32 v4, v8, 2, v9
	s_and_saveexec_b32 s0, vcc_lo
	s_cbranch_execnz .LBB209_399
; %bb.386:
	s_or_b32 exec_lo, exec_lo, s0
	s_and_saveexec_b32 s0, vcc_lo
	s_cbranch_execnz .LBB209_400
.LBB209_387:
	s_or_b32 exec_lo, exec_lo, s0
	s_and_saveexec_b32 s0, vcc_lo
	s_cbranch_execnz .LBB209_401
.LBB209_388:
	s_or_b32 exec_lo, exec_lo, s0
	s_and_saveexec_b32 s0, vcc_lo
	s_cbranch_execnz .LBB209_402
.LBB209_389:
	s_or_b32 exec_lo, exec_lo, s0
	s_and_saveexec_b32 s0, vcc_lo
	s_cbranch_execz .LBB209_391
.LBB209_390:
	ds_load_b32 v4, v4 offset:256
	s_waitcnt lgkmcnt(0)
	v_add_f32_e32 v1, v1, v4
.LBB209_391:
	s_or_b32 exec_lo, exec_lo, s0
.LBB209_392:
	s_delay_alu instid0(SALU_CYCLE_1)
	s_or_b32 exec_lo, exec_lo, s1
	s_barrier
	buffer_gl0_inv
	s_mov_b32 s0, exec_lo
	v_cmpx_eq_u32_e32 0, v5
	s_cbranch_execz .LBB209_394
; %bb.393:
	s_mul_i32 s0, s14, 0x50
	s_mul_i32 s2, s16, s24
	s_ashr_i32 s1, s0, 31
	v_lshlrev_b32_e32 v0, 1, v0
	s_lshl_b64 s[0:1], s[0:1], 2
	s_delay_alu instid0(SALU_CYCLE_1) | instskip(SKIP_2) | instid1(SALU_CYCLE_1)
	s_add_u32 s4, s26, s0
	s_addc_u32 s5, s27, s1
	s_ashr_i32 s3, s2, 31
	s_lshl_b64 s[0:1], s[2:3], 2
	s_mul_i32 s2, s12, 0x50
	s_add_u32 s4, s4, s0
	s_addc_u32 s5, s5, s1
	s_ashr_i32 s3, s2, 31
	s_delay_alu instid0(SALU_CYCLE_1) | instskip(NEXT) | instid1(SALU_CYCLE_1)
	s_lshl_b64 s[0:1], s[2:3], 2
	s_add_u32 s0, s4, s0
	s_addc_u32 s1, s5, s1
	s_clause 0x4
	global_store_b32 v0, v7, s[0:1]
	global_store_b32 v0, v6, s[0:1] offset:64
	global_store_b32 v0, v3, s[0:1] offset:128
	;; [unrolled: 1-line block ×4, first 2 shown]
.LBB209_394:
	s_nop 0
	s_sendmsg sendmsg(MSG_DEALLOC_VGPRS)
	s_endpgm
.LBB209_395:
	v_lshl_add_u32 v5, v8, 2, v9
	ds_load_b32 v5, v5
	s_waitcnt lgkmcnt(0)
	v_add_f32_e32 v7, v7, v5
	s_or_b32 exec_lo, exec_lo, s0
	s_and_saveexec_b32 s0, vcc_lo
	s_cbranch_execz .LBB209_377
.LBB209_396:
	v_lshl_add_u32 v5, v8, 2, v9
	ds_load_b32 v5, v5 offset:64
	s_waitcnt lgkmcnt(0)
	v_add_f32_e32 v6, v6, v5
	s_or_b32 exec_lo, exec_lo, s0
	s_and_saveexec_b32 s0, vcc_lo
	s_cbranch_execz .LBB209_378
.LBB209_397:
	v_lshl_add_u32 v5, v8, 2, v9
	ds_load_b32 v5, v5 offset:128
	s_waitcnt lgkmcnt(0)
	v_add_f32_e32 v3, v3, v5
	s_or_b32 exec_lo, exec_lo, s0
	s_and_saveexec_b32 s0, vcc_lo
	s_cbranch_execz .LBB209_379
.LBB209_398:
	v_lshl_add_u32 v5, v8, 2, v9
	ds_load_b32 v5, v5 offset:192
	s_waitcnt lgkmcnt(0)
	v_add_f32_e32 v2, v2, v5
	s_or_b32 exec_lo, exec_lo, s0
	s_and_saveexec_b32 s0, vcc_lo
	s_cbranch_execnz .LBB209_380
	s_branch .LBB209_381
.LBB209_399:
	ds_load_b32 v8, v4
	s_waitcnt lgkmcnt(0)
	v_add_f32_e32 v7, v7, v8
	s_or_b32 exec_lo, exec_lo, s0
	s_and_saveexec_b32 s0, vcc_lo
	s_cbranch_execz .LBB209_387
.LBB209_400:
	ds_load_b32 v8, v4 offset:64
	s_waitcnt lgkmcnt(0)
	v_add_f32_e32 v6, v6, v8
	s_or_b32 exec_lo, exec_lo, s0
	s_and_saveexec_b32 s0, vcc_lo
	s_cbranch_execz .LBB209_388
.LBB209_401:
	ds_load_b32 v8, v4 offset:128
	s_waitcnt lgkmcnt(0)
	v_add_f32_e32 v3, v3, v8
	s_or_b32 exec_lo, exec_lo, s0
	s_and_saveexec_b32 s0, vcc_lo
	s_cbranch_execz .LBB209_389
.LBB209_402:
	ds_load_b32 v8, v4 offset:192
	s_waitcnt lgkmcnt(0)
	v_add_f32_e32 v2, v2, v8
	s_or_b32 exec_lo, exec_lo, s0
	s_and_saveexec_b32 s0, vcc_lo
	s_cbranch_execnz .LBB209_390
	s_branch .LBB209_391
	.section	.rodata,"a",@progbits
	.p2align	6, 0x0
	.amdhsa_kernel _ZN4vllm25paged_attention_v2_kernelIfhLi80ELi8ELi128ELNS_18Fp8KVCacheDataTypeE1ELb1ELi512EEEvPfS2_PT_PKS3_PKT0_S9_ifPKiSB_iPKfiiiSD_SD_iiiii
		.amdhsa_group_segment_fixed_size 352
		.amdhsa_private_segment_fixed_size 0
		.amdhsa_kernarg_size 400
		.amdhsa_user_sgpr_count 13
		.amdhsa_user_sgpr_dispatch_ptr 0
		.amdhsa_user_sgpr_queue_ptr 0
		.amdhsa_user_sgpr_kernarg_segment_ptr 1
		.amdhsa_user_sgpr_dispatch_id 0
		.amdhsa_user_sgpr_private_segment_size 0
		.amdhsa_wavefront_size32 1
		.amdhsa_uses_dynamic_stack 0
		.amdhsa_enable_private_segment 0
		.amdhsa_system_sgpr_workgroup_id_x 1
		.amdhsa_system_sgpr_workgroup_id_y 1
		.amdhsa_system_sgpr_workgroup_id_z 1
		.amdhsa_system_sgpr_workgroup_info 0
		.amdhsa_system_vgpr_workitem_id 0
		.amdhsa_next_free_vgpr 68
		.amdhsa_next_free_sgpr 53
		.amdhsa_reserve_vcc 1
		.amdhsa_float_round_mode_32 0
		.amdhsa_float_round_mode_16_64 0
		.amdhsa_float_denorm_mode_32 3
		.amdhsa_float_denorm_mode_16_64 3
		.amdhsa_dx10_clamp 1
		.amdhsa_ieee_mode 1
		.amdhsa_fp16_overflow 0
		.amdhsa_workgroup_processor_mode 1
		.amdhsa_memory_ordered 1
		.amdhsa_forward_progress 0
		.amdhsa_shared_vgpr_count 0
		.amdhsa_exception_fp_ieee_invalid_op 0
		.amdhsa_exception_fp_denorm_src 0
		.amdhsa_exception_fp_ieee_div_zero 0
		.amdhsa_exception_fp_ieee_overflow 0
		.amdhsa_exception_fp_ieee_underflow 0
		.amdhsa_exception_fp_ieee_inexact 0
		.amdhsa_exception_int_div_zero 0
	.end_amdhsa_kernel
	.section	.text._ZN4vllm25paged_attention_v2_kernelIfhLi80ELi8ELi128ELNS_18Fp8KVCacheDataTypeE1ELb1ELi512EEEvPfS2_PT_PKS3_PKT0_S9_ifPKiSB_iPKfiiiSD_SD_iiiii,"axG",@progbits,_ZN4vllm25paged_attention_v2_kernelIfhLi80ELi8ELi128ELNS_18Fp8KVCacheDataTypeE1ELb1ELi512EEEvPfS2_PT_PKS3_PKT0_S9_ifPKiSB_iPKfiiiSD_SD_iiiii,comdat
.Lfunc_end209:
	.size	_ZN4vllm25paged_attention_v2_kernelIfhLi80ELi8ELi128ELNS_18Fp8KVCacheDataTypeE1ELb1ELi512EEEvPfS2_PT_PKS3_PKT0_S9_ifPKiSB_iPKfiiiSD_SD_iiiii, .Lfunc_end209-_ZN4vllm25paged_attention_v2_kernelIfhLi80ELi8ELi128ELNS_18Fp8KVCacheDataTypeE1ELb1ELi512EEEvPfS2_PT_PKS3_PKT0_S9_ifPKiSB_iPKfiiiSD_SD_iiiii
                                        ; -- End function
	.section	.AMDGPU.csdata,"",@progbits
; Kernel info:
; codeLenInByte = 14336
; NumSgprs: 55
; NumVgprs: 68
; ScratchSize: 0
; MemoryBound: 0
; FloatMode: 240
; IeeeMode: 1
; LDSByteSize: 352 bytes/workgroup (compile time only)
; SGPRBlocks: 6
; VGPRBlocks: 8
; NumSGPRsForWavesPerEU: 55
; NumVGPRsForWavesPerEU: 68
; Occupancy: 16
; WaveLimiterHint : 1
; COMPUTE_PGM_RSRC2:SCRATCH_EN: 0
; COMPUTE_PGM_RSRC2:USER_SGPR: 13
; COMPUTE_PGM_RSRC2:TRAP_HANDLER: 0
; COMPUTE_PGM_RSRC2:TGID_X_EN: 1
; COMPUTE_PGM_RSRC2:TGID_Y_EN: 1
; COMPUTE_PGM_RSRC2:TGID_Z_EN: 1
; COMPUTE_PGM_RSRC2:TIDIG_COMP_CNT: 0
	.section	.text._ZN4vllm25paged_attention_v2_kernelIfhLi96ELi8ELi128ELNS_18Fp8KVCacheDataTypeE1ELb1ELi512EEEvPfS2_PT_PKS3_PKT0_S9_ifPKiSB_iPKfiiiSD_SD_iiiii,"axG",@progbits,_ZN4vllm25paged_attention_v2_kernelIfhLi96ELi8ELi128ELNS_18Fp8KVCacheDataTypeE1ELb1ELi512EEEvPfS2_PT_PKS3_PKT0_S9_ifPKiSB_iPKfiiiSD_SD_iiiii,comdat
	.protected	_ZN4vllm25paged_attention_v2_kernelIfhLi96ELi8ELi128ELNS_18Fp8KVCacheDataTypeE1ELb1ELi512EEEvPfS2_PT_PKS3_PKT0_S9_ifPKiSB_iPKfiiiSD_SD_iiiii ; -- Begin function _ZN4vllm25paged_attention_v2_kernelIfhLi96ELi8ELi128ELNS_18Fp8KVCacheDataTypeE1ELb1ELi512EEEvPfS2_PT_PKS3_PKT0_S9_ifPKiSB_iPKfiiiSD_SD_iiiii
	.globl	_ZN4vllm25paged_attention_v2_kernelIfhLi96ELi8ELi128ELNS_18Fp8KVCacheDataTypeE1ELb1ELi512EEEvPfS2_PT_PKS3_PKT0_S9_ifPKiSB_iPKfiiiSD_SD_iiiii
	.p2align	8
	.type	_ZN4vllm25paged_attention_v2_kernelIfhLi96ELi8ELi128ELNS_18Fp8KVCacheDataTypeE1ELb1ELi512EEEvPfS2_PT_PKS3_PKT0_S9_ifPKiSB_iPKfiiiSD_SD_iiiii,@function
_ZN4vllm25paged_attention_v2_kernelIfhLi96ELi8ELi128ELNS_18Fp8KVCacheDataTypeE1ELb1ELi512EEEvPfS2_PT_PKS3_PKT0_S9_ifPKiSB_iPKfiiiSD_SD_iiiii: ; @_ZN4vllm25paged_attention_v2_kernelIfhLi96ELi8ELi128ELNS_18Fp8KVCacheDataTypeE1ELb1ELi512EEEvPfS2_PT_PKS3_PKT0_S9_ifPKiSB_iPKfiiiSD_SD_iiiii
; %bb.0:
	s_load_b64 s[2:3], s[0:1], 0x40
	s_mov_b32 s12, s15
	s_ashr_i32 s15, s14, 31
	s_delay_alu instid0(SALU_CYCLE_1)
	s_lshl_b64 s[4:5], s[14:15], 2
	s_waitcnt lgkmcnt(0)
	s_add_u32 s2, s2, s4
	s_addc_u32 s3, s3, s5
	s_lshl_b32 s40, s12, 9
	s_load_b32 s15, s[2:3], 0x0
	s_waitcnt lgkmcnt(0)
	s_cmp_ge_i32 s40, s15
	s_cbranch_scc1 .LBB210_462
; %bb.1:
	s_mov_b32 s28, s13
	s_clause 0x1
	s_load_b32 s13, s[0:1], 0x90
	s_load_b64 s[38:39], s[0:1], 0x30
	s_mov_b32 s42, 0
	s_waitcnt lgkmcnt(0)
	s_abs_i32 s5, s13
	s_abs_i32 s2, s38
	s_delay_alu instid0(SALU_CYCLE_1) | instskip(SKIP_1) | instid1(VALU_DEP_1)
	v_cvt_f32_u32_e32 v1, s2
	s_sub_i32 s4, 0, s2
	v_rcp_iflag_f32_e32 v1, v1
	s_waitcnt_depctr 0xfff
	v_mul_f32_e32 v1, 0x4f7ffffe, v1
	s_delay_alu instid0(VALU_DEP_1) | instskip(NEXT) | instid1(VALU_DEP_1)
	v_cvt_u32_f32_e32 v1, v1
	v_readfirstlane_b32 s3, v1
	s_delay_alu instid0(VALU_DEP_1) | instskip(NEXT) | instid1(SALU_CYCLE_1)
	s_mul_i32 s4, s4, s3
	s_mul_hi_u32 s4, s3, s4
	s_delay_alu instid0(SALU_CYCLE_1) | instskip(SKIP_4) | instid1(SALU_CYCLE_1)
	s_add_i32 s3, s3, s4
	s_xor_b32 s4, s13, s38
	s_mul_hi_u32 s3, s5, s3
	s_ashr_i32 s4, s4, 31
	s_mul_i32 s6, s3, s2
	s_sub_i32 s5, s5, s6
	s_add_i32 s6, s3, 1
	s_sub_i32 s7, s5, s2
	s_cmp_ge_u32 s5, s2
	s_cselect_b32 s3, s6, s3
	s_cselect_b32 s5, s7, s5
	s_add_i32 s6, s3, 1
	s_cmp_ge_u32 s5, s2
	s_cselect_b32 s2, s6, s3
	s_delay_alu instid0(SALU_CYCLE_1) | instskip(NEXT) | instid1(SALU_CYCLE_1)
	s_xor_b32 s2, s2, s4
	s_sub_i32 s7, s2, s4
	s_load_b64 s[2:3], s[0:1], 0x50
	s_abs_i32 s4, s7
	s_delay_alu instid0(SALU_CYCLE_1) | instskip(SKIP_1) | instid1(VALU_DEP_1)
	v_cvt_f32_u32_e32 v1, s4
	s_sub_i32 s5, 0, s4
	v_rcp_iflag_f32_e32 v1, v1
	s_waitcnt_depctr 0xfff
	v_mul_f32_e32 v1, 0x4f7ffffe, v1
	s_delay_alu instid0(VALU_DEP_1) | instskip(NEXT) | instid1(VALU_DEP_1)
	v_cvt_u32_f32_e32 v1, v1
	v_readfirstlane_b32 s6, v1
	s_delay_alu instid0(VALU_DEP_1) | instskip(NEXT) | instid1(SALU_CYCLE_1)
	s_mul_i32 s5, s5, s6
	s_mul_hi_u32 s8, s6, s5
	s_abs_i32 s5, s28
	s_add_i32 s6, s6, s8
	s_waitcnt lgkmcnt(0)
	s_cmp_eq_u64 s[2:3], 0
	s_mul_hi_u32 s6, s5, s6
	s_cbranch_scc1 .LBB210_3
; %bb.2:
	s_ashr_i32 s29, s28, 31
	s_delay_alu instid0(SALU_CYCLE_1) | instskip(NEXT) | instid1(SALU_CYCLE_1)
	s_lshl_b64 s[8:9], s[28:29], 2
	s_add_u32 s2, s2, s8
	s_addc_u32 s3, s3, s9
	s_load_b32 s42, s[2:3], 0x0
.LBB210_3:
	s_load_b128 s[8:11], s[0:1], 0x58
	v_and_b32_e32 v40, 3, v0
	v_lshlrev_b32_e32 v39, 2, v0
	s_ashr_i32 s2, s28, 31
	s_ashr_i32 s3, s7, 31
	s_mul_i32 s24, s28, 0x60
	s_mov_b32 s7, exec_lo
	v_cmpx_gt_u32_e32 0x60, v0
	s_cbranch_execz .LBB210_5
; %bb.4:
	s_load_b64 s[16:17], s[0:1], 0x18
	s_waitcnt lgkmcnt(0)
	s_mul_i32 s18, s14, s8
	v_and_b32_e32 v2, 0x3fc, v0
	s_ashr_i32 s19, s18, 31
	s_delay_alu instid0(SALU_CYCLE_1) | instskip(NEXT) | instid1(VALU_DEP_1)
	s_lshl_b64 s[18:19], s[18:19], 2
	v_mad_u32_u24 v2, 0x60, v40, v2
	s_add_u32 s8, s16, s18
	s_addc_u32 s11, s17, s19
	s_ashr_i32 s25, s24, 31
	s_delay_alu instid0(SALU_CYCLE_1) | instskip(NEXT) | instid1(SALU_CYCLE_1)
	s_lshl_b64 s[16:17], s[24:25], 2
	s_add_u32 s16, s8, s16
	s_addc_u32 s17, s11, s17
	global_load_b32 v1, v39, s[16:17]
	s_waitcnt vmcnt(0)
	ds_store_b32 v2, v1
.LBB210_5:
	s_or_b32 exec_lo, exec_lo, s7
	s_load_b128 s[16:19], s[0:1], 0x78
	s_mul_i32 s7, s6, s4
	s_xor_b32 s2, s2, s3
	s_sub_i32 s3, s5, s7
	s_add_i32 s5, s6, 1
	s_sub_i32 s7, s3, s4
	s_cmp_ge_u32 s3, s4
	s_waitcnt lgkmcnt(0)
	s_cselect_b32 s5, s5, s6
	s_cselect_b32 s3, s7, s3
	s_add_i32 s6, s5, 1
	s_cmp_ge_u32 s3, s4
	s_load_b32 s4, s[0:1], 0x88
	s_cselect_b32 s3, s6, s5
	s_add_i32 s5, s15, -1
	s_xor_b32 s3, s3, s2
	s_abs_i32 s8, s5
	s_sub_i32 s3, s3, s2
	s_mov_b32 s6, -1
	s_waitcnt lgkmcnt(0)
	s_barrier
	s_abs_i32 s25, s19
	buffer_gl0_inv
	v_cvt_f32_u32_e32 v1, s25
	s_sub_i32 s2, 0, s25
                                        ; implicit-def: $sgpr33
	s_delay_alu instid0(VALU_DEP_1) | instskip(SKIP_2) | instid1(VALU_DEP_1)
	v_rcp_iflag_f32_e32 v1, v1
	s_waitcnt_depctr 0xfff
	v_mul_f32_e32 v1, 0x4f7ffffe, v1
	v_cvt_u32_f32_e32 v1, v1
	s_delay_alu instid0(VALU_DEP_1) | instskip(NEXT) | instid1(VALU_DEP_1)
	v_readfirstlane_b32 s29, v1
	s_mul_i32 s2, s2, s29
	s_delay_alu instid0(SALU_CYCLE_1) | instskip(NEXT) | instid1(SALU_CYCLE_1)
	s_mul_hi_u32 s2, s29, s2
	s_add_i32 s29, s29, s2
	s_cmp_lt_i32 s4, 0
	s_mul_hi_u32 s2, s8, s29
	s_cbranch_scc0 .LBB210_7
; %bb.6:
	s_mul_i32 s6, s16, s38
	s_delay_alu instid0(SALU_CYCLE_1) | instskip(NEXT) | instid1(SALU_CYCLE_1)
	s_add_i32 s6, s3, s6
	s_mul_i32 s6, s6, s4
	s_delay_alu instid0(SALU_CYCLE_1)
	s_sub_i32 s33, 1, s6
	s_mov_b32 s6, 0
.LBB210_7:
	s_load_b64 s[30:31], s[0:1], 0x38
	s_ashr_i32 s34, s5, 31
	s_and_not1_b32 vcc_lo, exec_lo, s6
	s_ashr_i32 s19, s19, 31
	s_cbranch_vccnz .LBB210_9
; %bb.8:
	s_mul_i32 s5, s13, s16
	s_delay_alu instid0(SALU_CYCLE_1) | instskip(NEXT) | instid1(SALU_CYCLE_1)
	s_add_i32 s5, s5, s28
	s_mul_i32 s4, s5, s4
	s_delay_alu instid0(SALU_CYCLE_1)
	s_add_i32 s33, s4, 1
.LBB210_9:
	s_clause 0x5
	s_load_b32 s16, s[0:1], 0x48
	s_load_b64 s[36:37], s[0:1], 0x28
	s_load_b128 s[20:23], s[0:1], 0x0
	s_load_b64 s[26:27], s[0:1], 0x10
	s_load_b32 s11, s[0:1], 0x98
	s_load_b128 s[4:7], s[0:1], 0x68
	s_xor_b32 s41, s34, s19
	s_mul_i32 s34, s2, s25
	s_add_i32 s38, s2, 1
	s_sub_i32 s8, s8, s34
	v_lshrrev_b32_e32 v37, 5, v0
	v_mov_b32_e32 v42, 0xff7fffff
	v_mbcnt_lo_u32_b32 v41, -1, 0
	s_mul_i32 s10, s3, s10
	s_delay_alu instid0(VALU_DEP_3)
	v_lshl_add_u32 v38, v37, 3, s40
	s_waitcnt lgkmcnt(0)
	s_mul_i32 s34, s14, s16
	s_sub_i32 s16, s8, s25
	s_ashr_i32 s35, s34, 31
	s_cmp_ge_u32 s8, s25
	s_cselect_b32 s2, s38, s2
	s_cselect_b32 s8, s16, s8
	s_add_i32 s16, s2, 1
	s_cmp_ge_u32 s8, s25
	s_cselect_b32 s2, s16, s2
	s_add_i32 s16, s15, 7
	s_lshl_b32 s8, s12, 6
	s_ashr_i32 s38, s16, 31
	v_or_b32_e32 v25, s8, v37
	s_lshr_b32 s38, s38, 29
	s_add_i32 s43, s8, 64
	s_add_i32 s16, s16, s38
	s_xor_b32 s44, s2, s41
	s_ashr_i32 s38, s16, 3
	v_ashrrev_i32_e32 v26, 31, v25
	s_min_i32 s16, s43, s38
	s_sub_i32 s41, s44, s41
	v_cmp_gt_i32_e64 s2, s16, v25
	s_delay_alu instid0(VALU_DEP_1)
	s_and_saveexec_b32 s43, s2
	s_cbranch_execz .LBB210_211
; %bb.10:
	s_load_b64 s[0:1], s[0:1], 0x20
	s_sub_i32 s44, s41, s17
	s_ashr_i32 s3, s10, 31
	v_bfe_u32 v43, v0, 2, 3
	v_mov_b32_e32 v46, 0xff7fffff
	v_cmp_eq_u32_e32 vcc_lo, 0, v40
	v_mul_u32_u24_e32 v44, 0x60, v40
	v_lshl_add_u32 v45, v37, 3, s40
	v_lshlrev_b32_e32 v7, 4, v43
	v_lshlrev_b32_e32 v4, 2, v43
	v_subrev_nc_u32_e32 v5, s15, v43
	v_mov_b32_e32 v42, 0xff7fffff
	v_mov_b32_e32 v28, 0
	;; [unrolled: 1-line block ×3, first 2 shown]
	v_lshl_or_b32 v4, v37, 5, v4
	v_add_nc_u32_e32 v47, 1, v5
	s_delay_alu instid0(VALU_DEP_2)
	v_add_nc_u32_e32 v48, 0x1a0, v4
	s_waitcnt lgkmcnt(0)
	s_add_u32 s48, s0, s10
	s_addc_u32 s1, s1, s3
	s_abs_i32 s45, s18
	s_lshl_b64 s[46:47], s[34:35], 2
	v_cvt_f32_u32_e32 v1, s45
	s_sub_i32 s3, 0, s45
	v_cmp_neq_f32_e64 s0, s42, 0
	s_delay_alu instid0(VALU_DEP_2) | instskip(SKIP_3) | instid1(VALU_DEP_2)
	v_rcp_iflag_f32_e32 v1, v1
	s_waitcnt_depctr 0xfff
	v_mul_f32_e32 v3, 0x4f7ffffe, v1
	v_lshlrev_b64 v[1:2], 2, v[25:26]
	v_cvt_u32_f32_e32 v3, v3
	s_delay_alu instid0(VALU_DEP_1) | instskip(SKIP_1) | instid1(VALU_DEP_1)
	v_mul_lo_u32 v6, s3, v3
	v_add_co_u32 v29, s3, s48, v7
	v_add_co_ci_u32_e64 v30, null, s1, 0, s3
	s_add_u32 s1, s30, s46
	s_addc_u32 s3, s31, s47
	v_add_co_u32 v31, s1, s1, v1
	s_delay_alu instid0(VALU_DEP_4) | instskip(SKIP_3) | instid1(VALU_DEP_2)
	v_mul_hi_u32 v4, v3, v6
	v_add_co_ci_u32_e64 v32, s1, s3, v2, s1
	s_mov_b32 s46, 0
	s_mov_b32 s47, s9
	v_add_nc_u32_e32 v49, v3, v4
	s_branch .LBB210_13
.LBB210_11:                             ;   in Loop: Header=BB210_13 Depth=1
	s_or_b32 exec_lo, exec_lo, s48
.LBB210_12:                             ;   in Loop: Header=BB210_13 Depth=1
	s_delay_alu instid0(SALU_CYCLE_1) | instskip(SKIP_2) | instid1(VALU_DEP_1)
	s_or_b32 exec_lo, exec_lo, s3
	v_add_nc_u32_e32 v50, 4, v50
	v_add_co_u32 v31, s3, v31, 16
	v_add_co_ci_u32_e64 v32, s3, 0, v32, s3
	s_delay_alu instid0(VALU_DEP_3) | instskip(SKIP_2) | instid1(VALU_DEP_3)
	v_cmp_le_i32_e64 s1, s16, v50
	v_add_nc_u32_e32 v45, 32, v45
	v_add_nc_u32_e32 v48, 0x80, v48
	s_or_b32 s46, s1, s46
	s_delay_alu instid0(SALU_CYCLE_1)
	s_and_not1_b32 exec_lo, exec_lo, s46
	s_cbranch_execz .LBB210_210
.LBB210_13:                             ; =>This Inner Loop Header: Depth=1
	v_sub_nc_u32_e32 v1, 0, v45
	s_delay_alu instid0(VALU_DEP_1) | instskip(SKIP_1) | instid1(VALU_DEP_1)
	v_max_i32_e32 v1, v45, v1
	s_waitcnt lgkmcnt(0)
	v_mul_hi_u32 v2, v1, s29
	s_delay_alu instid0(VALU_DEP_1) | instskip(NEXT) | instid1(VALU_DEP_1)
	v_mul_lo_u32 v3, v2, s25
	v_sub_nc_u32_e32 v1, v1, v3
	v_add_nc_u32_e32 v3, 1, v2
	s_delay_alu instid0(VALU_DEP_2) | instskip(SKIP_1) | instid1(VALU_DEP_1)
	v_subrev_nc_u32_e32 v4, s25, v1
	v_cmp_le_u32_e64 s1, s25, v1
	v_cndmask_b32_e64 v2, v2, v3, s1
	s_delay_alu instid0(VALU_DEP_3) | instskip(SKIP_1) | instid1(VALU_DEP_3)
	v_cndmask_b32_e64 v1, v1, v4, s1
	v_ashrrev_i32_e32 v3, 31, v45
	v_add_nc_u32_e32 v4, 1, v2
	s_delay_alu instid0(VALU_DEP_3) | instskip(NEXT) | instid1(VALU_DEP_3)
	v_cmp_le_u32_e64 s1, s25, v1
	v_xor_b32_e32 v3, s19, v3
	s_delay_alu instid0(VALU_DEP_2) | instskip(NEXT) | instid1(VALU_DEP_1)
	v_cndmask_b32_e64 v1, v2, v4, s1
	v_xor_b32_e32 v1, v1, v3
	s_delay_alu instid0(VALU_DEP_1) | instskip(NEXT) | instid1(VALU_DEP_1)
	v_sub_nc_u32_e32 v1, v1, v3
	v_add_nc_u32_e32 v2, s33, v1
	v_cmp_ge_i32_e64 s3, s44, v1
	s_delay_alu instid0(VALU_DEP_2) | instskip(NEXT) | instid1(VALU_DEP_1)
	v_sub_nc_u32_e32 v3, 0, v2
	v_max_i32_e32 v3, v2, v3
	v_ashrrev_i32_e32 v2, 31, v2
	s_delay_alu instid0(VALU_DEP_2) | instskip(NEXT) | instid1(VALU_DEP_1)
	v_mul_hi_u32 v4, v3, v49
	v_mul_lo_u32 v4, v4, s45
	s_delay_alu instid0(VALU_DEP_1) | instskip(NEXT) | instid1(VALU_DEP_1)
	v_sub_nc_u32_e32 v3, v3, v4
	v_subrev_nc_u32_e32 v4, s45, v3
	v_cmp_le_u32_e64 s1, s45, v3
	s_delay_alu instid0(VALU_DEP_1) | instskip(NEXT) | instid1(VALU_DEP_1)
	v_cndmask_b32_e64 v3, v3, v4, s1
	v_subrev_nc_u32_e32 v4, s45, v3
	v_cmp_le_u32_e64 s1, s45, v3
	s_delay_alu instid0(VALU_DEP_1) | instskip(NEXT) | instid1(VALU_DEP_1)
	v_cndmask_b32_e64 v3, v3, v4, s1
	v_xor_b32_e32 v3, v3, v2
	s_delay_alu instid0(VALU_DEP_1) | instskip(NEXT) | instid1(VALU_DEP_1)
	v_sub_nc_u32_e32 v2, v3, v2
	v_cmp_ne_u32_e64 s1, 0, v2
	s_delay_alu instid0(VALU_DEP_1) | instskip(NEXT) | instid1(SALU_CYCLE_1)
	s_and_b32 s1, s1, s3
	s_and_b32 s48, vcc_lo, s1
	s_delay_alu instid0(SALU_CYCLE_1)
	s_and_saveexec_b32 s3, s48
	s_cbranch_execz .LBB210_15
; %bb.14:                               ;   in Loop: Header=BB210_13 Depth=1
	ds_store_b32 v48, v46
.LBB210_15:                             ;   in Loop: Header=BB210_13 Depth=1
	s_or_b32 exec_lo, exec_lo, s3
	s_xor_b32 s1, s1, -1
	s_delay_alu instid0(SALU_CYCLE_1)
	s_and_saveexec_b32 s3, s1
	s_cbranch_execz .LBB210_12
; %bb.16:                               ;   in Loop: Header=BB210_13 Depth=1
	global_load_b32 v3, v[31:32], off
	v_dual_mov_b32 v51, 0 :: v_dual_mov_b32 v52, 0
	s_mov_b32 s49, exec_lo
	s_waitcnt vmcnt(0)
	v_mad_i64_i32 v[1:2], null, v3, s47, v[29:30]
	s_delay_alu instid0(VALU_DEP_1) | instskip(NEXT) | instid1(VALU_DEP_1)
	v_add_co_u32 v33, s1, v1, v40
	v_add_co_ci_u32_e64 v34, s1, 0, v2, s1
	global_load_u8 v35, v[33:34], off
	ds_load_b128 v[21:24], v44
	ds_load_b128 v[17:20], v44 offset:16
	ds_load_b128 v[13:16], v44 offset:32
	;; [unrolled: 1-line block ×5, first 2 shown]
	s_load_b32 s48, s[4:5], 0x0
	s_waitcnt vmcnt(0)
	v_cmpx_ne_u16_e32 0, v35
	s_cbranch_execz .LBB210_24
; %bb.17:                               ;   in Loop: Header=BB210_13 Depth=1
	v_bfrev_b32_e32 v52, 1
	s_mov_b32 s50, exec_lo
	v_cmpx_ne_u16_e32 0x80, v35
	s_cbranch_execz .LBB210_23
; %bb.18:                               ;   in Loop: Header=BB210_13 Depth=1
	v_and_b32_e32 v27, 0xffff, v35
	v_mov_b32_e32 v52, 0x7f800001
	s_mov_b32 s51, exec_lo
	s_delay_alu instid0(VALU_DEP_2) | instskip(NEXT) | instid1(VALU_DEP_1)
	v_and_b32_e32 v53, 0x7f, v27
	v_cmpx_ne_u32_e32 0x7f, v53
	s_cbranch_execz .LBB210_22
; %bb.19:                               ;   in Loop: Header=BB210_13 Depth=1
	v_and_b32_e32 v27, 7, v27
	v_lshrrev_b32_e32 v36, 3, v53
	s_mov_b32 s52, exec_lo
	v_cmpx_gt_u32_e32 8, v53
; %bb.20:                               ;   in Loop: Header=BB210_13 Depth=1
	s_delay_alu instid0(VALU_DEP_3) | instskip(NEXT) | instid1(VALU_DEP_1)
	v_clz_i32_u32_e32 v36, v27
	v_min_u32_e32 v36, 32, v36
	s_delay_alu instid0(VALU_DEP_1) | instskip(SKIP_1) | instid1(VALU_DEP_2)
	v_subrev_nc_u32_e32 v52, 28, v36
	v_sub_nc_u32_e32 v36, 29, v36
	v_lshlrev_b64 v[52:53], v52, v[27:28]
	s_delay_alu instid0(VALU_DEP_1)
	v_and_b32_e32 v27, 7, v52
; %bb.21:                               ;   in Loop: Header=BB210_13 Depth=1
	s_or_b32 exec_lo, exec_lo, s52
	v_lshlrev_b32_e32 v35, 24, v35
	s_delay_alu instid0(VALU_DEP_2) | instskip(SKIP_1) | instid1(VALU_DEP_3)
	v_lshlrev_b32_e32 v27, 20, v27
	v_lshl_add_u32 v36, v36, 23, 0x3c000000
	v_and_b32_e32 v35, 0x80000000, v35
	s_delay_alu instid0(VALU_DEP_1)
	v_or3_b32 v52, v27, v35, v36
.LBB210_22:                             ;   in Loop: Header=BB210_13 Depth=1
	s_or_b32 exec_lo, exec_lo, s51
.LBB210_23:                             ;   in Loop: Header=BB210_13 Depth=1
	s_delay_alu instid0(SALU_CYCLE_1)
	s_or_b32 exec_lo, exec_lo, s50
.LBB210_24:                             ;   in Loop: Header=BB210_13 Depth=1
	s_delay_alu instid0(SALU_CYCLE_1)
	s_or_b32 exec_lo, exec_lo, s49
	global_load_u8 v35, v[33:34], off offset:4
	s_mov_b32 s49, exec_lo
	s_waitcnt vmcnt(0)
	v_cmpx_ne_u16_e32 0, v35
	s_cbranch_execz .LBB210_32
; %bb.25:                               ;   in Loop: Header=BB210_13 Depth=1
	v_bfrev_b32_e32 v51, 1
	s_mov_b32 s50, exec_lo
	v_cmpx_ne_u16_e32 0x80, v35
	s_cbranch_execz .LBB210_31
; %bb.26:                               ;   in Loop: Header=BB210_13 Depth=1
	v_and_b32_e32 v27, 0xffff, v35
	v_mov_b32_e32 v51, 0x7f800001
	s_mov_b32 s51, exec_lo
	s_delay_alu instid0(VALU_DEP_2) | instskip(NEXT) | instid1(VALU_DEP_1)
	v_and_b32_e32 v53, 0x7f, v27
	v_cmpx_ne_u32_e32 0x7f, v53
	s_cbranch_execz .LBB210_30
; %bb.27:                               ;   in Loop: Header=BB210_13 Depth=1
	v_and_b32_e32 v27, 7, v27
	v_lshrrev_b32_e32 v36, 3, v53
	s_mov_b32 s52, exec_lo
	v_cmpx_gt_u32_e32 8, v53
; %bb.28:                               ;   in Loop: Header=BB210_13 Depth=1
	s_delay_alu instid0(VALU_DEP_3) | instskip(NEXT) | instid1(VALU_DEP_1)
	v_clz_i32_u32_e32 v36, v27
	v_min_u32_e32 v36, 32, v36
	s_delay_alu instid0(VALU_DEP_1) | instskip(SKIP_1) | instid1(VALU_DEP_2)
	v_subrev_nc_u32_e32 v51, 28, v36
	v_sub_nc_u32_e32 v36, 29, v36
	v_lshlrev_b64 v[53:54], v51, v[27:28]
	s_delay_alu instid0(VALU_DEP_1)
	v_and_b32_e32 v27, 7, v53
; %bb.29:                               ;   in Loop: Header=BB210_13 Depth=1
	s_or_b32 exec_lo, exec_lo, s52
	v_lshlrev_b32_e32 v35, 24, v35
	s_delay_alu instid0(VALU_DEP_2) | instskip(SKIP_1) | instid1(VALU_DEP_3)
	v_lshlrev_b32_e32 v27, 20, v27
	v_lshl_add_u32 v36, v36, 23, 0x3c000000
	v_and_b32_e32 v35, 0x80000000, v35
	s_delay_alu instid0(VALU_DEP_1)
	v_or3_b32 v51, v27, v35, v36
.LBB210_30:                             ;   in Loop: Header=BB210_13 Depth=1
	s_or_b32 exec_lo, exec_lo, s51
.LBB210_31:                             ;   in Loop: Header=BB210_13 Depth=1
	s_delay_alu instid0(SALU_CYCLE_1)
	s_or_b32 exec_lo, exec_lo, s50
.LBB210_32:                             ;   in Loop: Header=BB210_13 Depth=1
	s_delay_alu instid0(SALU_CYCLE_1)
	s_or_b32 exec_lo, exec_lo, s49
	global_load_u8 v35, v[33:34], off offset:8
	v_dual_mov_b32 v53, 0 :: v_dual_mov_b32 v54, 0
	s_mov_b32 s49, exec_lo
	s_waitcnt vmcnt(0)
	v_cmpx_ne_u16_e32 0, v35
	s_cbranch_execz .LBB210_40
; %bb.33:                               ;   in Loop: Header=BB210_13 Depth=1
	v_bfrev_b32_e32 v54, 1
	s_mov_b32 s50, exec_lo
	v_cmpx_ne_u16_e32 0x80, v35
	s_cbranch_execz .LBB210_39
; %bb.34:                               ;   in Loop: Header=BB210_13 Depth=1
	v_and_b32_e32 v27, 0xffff, v35
	v_mov_b32_e32 v54, 0x7f800001
	s_mov_b32 s51, exec_lo
	s_delay_alu instid0(VALU_DEP_2) | instskip(NEXT) | instid1(VALU_DEP_1)
	v_and_b32_e32 v55, 0x7f, v27
	v_cmpx_ne_u32_e32 0x7f, v55
	s_cbranch_execz .LBB210_38
; %bb.35:                               ;   in Loop: Header=BB210_13 Depth=1
	v_and_b32_e32 v27, 7, v27
	v_lshrrev_b32_e32 v36, 3, v55
	s_mov_b32 s52, exec_lo
	v_cmpx_gt_u32_e32 8, v55
; %bb.36:                               ;   in Loop: Header=BB210_13 Depth=1
	s_delay_alu instid0(VALU_DEP_3) | instskip(NEXT) | instid1(VALU_DEP_1)
	v_clz_i32_u32_e32 v36, v27
	v_min_u32_e32 v36, 32, v36
	s_delay_alu instid0(VALU_DEP_1) | instskip(SKIP_1) | instid1(VALU_DEP_2)
	v_subrev_nc_u32_e32 v54, 28, v36
	v_sub_nc_u32_e32 v36, 29, v36
	v_lshlrev_b64 v[54:55], v54, v[27:28]
	s_delay_alu instid0(VALU_DEP_1)
	v_and_b32_e32 v27, 7, v54
; %bb.37:                               ;   in Loop: Header=BB210_13 Depth=1
	s_or_b32 exec_lo, exec_lo, s52
	v_lshlrev_b32_e32 v35, 24, v35
	s_delay_alu instid0(VALU_DEP_2) | instskip(SKIP_1) | instid1(VALU_DEP_3)
	v_lshlrev_b32_e32 v27, 20, v27
	v_lshl_add_u32 v36, v36, 23, 0x3c000000
	v_and_b32_e32 v35, 0x80000000, v35
	s_delay_alu instid0(VALU_DEP_1)
	v_or3_b32 v54, v27, v35, v36
.LBB210_38:                             ;   in Loop: Header=BB210_13 Depth=1
	s_or_b32 exec_lo, exec_lo, s51
.LBB210_39:                             ;   in Loop: Header=BB210_13 Depth=1
	s_delay_alu instid0(SALU_CYCLE_1)
	s_or_b32 exec_lo, exec_lo, s50
.LBB210_40:                             ;   in Loop: Header=BB210_13 Depth=1
	s_delay_alu instid0(SALU_CYCLE_1)
	s_or_b32 exec_lo, exec_lo, s49
	global_load_u8 v35, v[33:34], off offset:12
	s_mov_b32 s49, exec_lo
	s_waitcnt vmcnt(0)
	v_cmpx_ne_u16_e32 0, v35
	s_cbranch_execz .LBB210_48
; %bb.41:                               ;   in Loop: Header=BB210_13 Depth=1
	v_bfrev_b32_e32 v53, 1
	s_mov_b32 s50, exec_lo
	v_cmpx_ne_u16_e32 0x80, v35
	s_cbranch_execz .LBB210_47
; %bb.42:                               ;   in Loop: Header=BB210_13 Depth=1
	v_and_b32_e32 v27, 0xffff, v35
	v_mov_b32_e32 v53, 0x7f800001
	s_mov_b32 s51, exec_lo
	s_delay_alu instid0(VALU_DEP_2) | instskip(NEXT) | instid1(VALU_DEP_1)
	v_and_b32_e32 v55, 0x7f, v27
	v_cmpx_ne_u32_e32 0x7f, v55
	s_cbranch_execz .LBB210_46
; %bb.43:                               ;   in Loop: Header=BB210_13 Depth=1
	v_and_b32_e32 v27, 7, v27
	v_lshrrev_b32_e32 v36, 3, v55
	s_mov_b32 s52, exec_lo
	v_cmpx_gt_u32_e32 8, v55
; %bb.44:                               ;   in Loop: Header=BB210_13 Depth=1
	s_delay_alu instid0(VALU_DEP_3) | instskip(NEXT) | instid1(VALU_DEP_1)
	v_clz_i32_u32_e32 v36, v27
	v_min_u32_e32 v36, 32, v36
	s_delay_alu instid0(VALU_DEP_1) | instskip(SKIP_1) | instid1(VALU_DEP_2)
	v_subrev_nc_u32_e32 v53, 28, v36
	v_sub_nc_u32_e32 v36, 29, v36
	v_lshlrev_b64 v[55:56], v53, v[27:28]
	s_delay_alu instid0(VALU_DEP_1)
	v_and_b32_e32 v27, 7, v55
; %bb.45:                               ;   in Loop: Header=BB210_13 Depth=1
	s_or_b32 exec_lo, exec_lo, s52
	v_lshlrev_b32_e32 v35, 24, v35
	s_delay_alu instid0(VALU_DEP_2) | instskip(SKIP_1) | instid1(VALU_DEP_3)
	v_lshlrev_b32_e32 v27, 20, v27
	v_lshl_add_u32 v36, v36, 23, 0x3c000000
	v_and_b32_e32 v35, 0x80000000, v35
	s_delay_alu instid0(VALU_DEP_1)
	v_or3_b32 v53, v27, v35, v36
.LBB210_46:                             ;   in Loop: Header=BB210_13 Depth=1
	s_or_b32 exec_lo, exec_lo, s51
.LBB210_47:                             ;   in Loop: Header=BB210_13 Depth=1
	s_delay_alu instid0(SALU_CYCLE_1)
	s_or_b32 exec_lo, exec_lo, s50
.LBB210_48:                             ;   in Loop: Header=BB210_13 Depth=1
	s_delay_alu instid0(SALU_CYCLE_1)
	s_or_b32 exec_lo, exec_lo, s49
	global_load_u8 v35, v[33:34], off offset:128
	v_dual_mov_b32 v55, 0 :: v_dual_mov_b32 v56, 0
	s_mov_b32 s49, exec_lo
	s_waitcnt vmcnt(0)
	v_cmpx_ne_u16_e32 0, v35
	s_cbranch_execz .LBB210_56
; %bb.49:                               ;   in Loop: Header=BB210_13 Depth=1
	v_bfrev_b32_e32 v56, 1
	s_mov_b32 s50, exec_lo
	v_cmpx_ne_u16_e32 0x80, v35
	s_cbranch_execz .LBB210_55
; %bb.50:                               ;   in Loop: Header=BB210_13 Depth=1
	v_and_b32_e32 v27, 0xffff, v35
	v_mov_b32_e32 v56, 0x7f800001
	s_mov_b32 s51, exec_lo
	s_delay_alu instid0(VALU_DEP_2) | instskip(NEXT) | instid1(VALU_DEP_1)
	v_and_b32_e32 v57, 0x7f, v27
	v_cmpx_ne_u32_e32 0x7f, v57
	s_cbranch_execz .LBB210_54
; %bb.51:                               ;   in Loop: Header=BB210_13 Depth=1
	v_and_b32_e32 v27, 7, v27
	v_lshrrev_b32_e32 v36, 3, v57
	s_mov_b32 s52, exec_lo
	v_cmpx_gt_u32_e32 8, v57
; %bb.52:                               ;   in Loop: Header=BB210_13 Depth=1
	s_delay_alu instid0(VALU_DEP_3) | instskip(NEXT) | instid1(VALU_DEP_1)
	v_clz_i32_u32_e32 v36, v27
	v_min_u32_e32 v36, 32, v36
	s_delay_alu instid0(VALU_DEP_1) | instskip(SKIP_1) | instid1(VALU_DEP_2)
	v_subrev_nc_u32_e32 v56, 28, v36
	v_sub_nc_u32_e32 v36, 29, v36
	v_lshlrev_b64 v[56:57], v56, v[27:28]
	s_delay_alu instid0(VALU_DEP_1)
	v_and_b32_e32 v27, 7, v56
; %bb.53:                               ;   in Loop: Header=BB210_13 Depth=1
	s_or_b32 exec_lo, exec_lo, s52
	v_lshlrev_b32_e32 v35, 24, v35
	s_delay_alu instid0(VALU_DEP_2) | instskip(SKIP_1) | instid1(VALU_DEP_3)
	v_lshlrev_b32_e32 v27, 20, v27
	v_lshl_add_u32 v36, v36, 23, 0x3c000000
	v_and_b32_e32 v35, 0x80000000, v35
	s_delay_alu instid0(VALU_DEP_1)
	v_or3_b32 v56, v27, v35, v36
.LBB210_54:                             ;   in Loop: Header=BB210_13 Depth=1
	s_or_b32 exec_lo, exec_lo, s51
.LBB210_55:                             ;   in Loop: Header=BB210_13 Depth=1
	s_delay_alu instid0(SALU_CYCLE_1)
	s_or_b32 exec_lo, exec_lo, s50
.LBB210_56:                             ;   in Loop: Header=BB210_13 Depth=1
	s_delay_alu instid0(SALU_CYCLE_1)
	s_or_b32 exec_lo, exec_lo, s49
	global_load_u8 v35, v[33:34], off offset:132
	s_mov_b32 s49, exec_lo
	s_waitcnt vmcnt(0)
	v_cmpx_ne_u16_e32 0, v35
	s_cbranch_execz .LBB210_64
; %bb.57:                               ;   in Loop: Header=BB210_13 Depth=1
	v_bfrev_b32_e32 v55, 1
	s_mov_b32 s50, exec_lo
	v_cmpx_ne_u16_e32 0x80, v35
	s_cbranch_execz .LBB210_63
; %bb.58:                               ;   in Loop: Header=BB210_13 Depth=1
	v_and_b32_e32 v27, 0xffff, v35
	v_mov_b32_e32 v55, 0x7f800001
	s_mov_b32 s51, exec_lo
	s_delay_alu instid0(VALU_DEP_2) | instskip(NEXT) | instid1(VALU_DEP_1)
	v_and_b32_e32 v57, 0x7f, v27
	v_cmpx_ne_u32_e32 0x7f, v57
	s_cbranch_execz .LBB210_62
; %bb.59:                               ;   in Loop: Header=BB210_13 Depth=1
	v_and_b32_e32 v27, 7, v27
	v_lshrrev_b32_e32 v36, 3, v57
	s_mov_b32 s52, exec_lo
	v_cmpx_gt_u32_e32 8, v57
; %bb.60:                               ;   in Loop: Header=BB210_13 Depth=1
	s_delay_alu instid0(VALU_DEP_3) | instskip(NEXT) | instid1(VALU_DEP_1)
	v_clz_i32_u32_e32 v36, v27
	v_min_u32_e32 v36, 32, v36
	s_delay_alu instid0(VALU_DEP_1) | instskip(SKIP_1) | instid1(VALU_DEP_2)
	v_subrev_nc_u32_e32 v55, 28, v36
	v_sub_nc_u32_e32 v36, 29, v36
	v_lshlrev_b64 v[57:58], v55, v[27:28]
	s_delay_alu instid0(VALU_DEP_1)
	v_and_b32_e32 v27, 7, v57
; %bb.61:                               ;   in Loop: Header=BB210_13 Depth=1
	s_or_b32 exec_lo, exec_lo, s52
	v_lshlrev_b32_e32 v35, 24, v35
	s_delay_alu instid0(VALU_DEP_2) | instskip(SKIP_1) | instid1(VALU_DEP_3)
	v_lshlrev_b32_e32 v27, 20, v27
	v_lshl_add_u32 v36, v36, 23, 0x3c000000
	v_and_b32_e32 v35, 0x80000000, v35
	s_delay_alu instid0(VALU_DEP_1)
	v_or3_b32 v55, v27, v35, v36
.LBB210_62:                             ;   in Loop: Header=BB210_13 Depth=1
	s_or_b32 exec_lo, exec_lo, s51
.LBB210_63:                             ;   in Loop: Header=BB210_13 Depth=1
	s_delay_alu instid0(SALU_CYCLE_1)
	s_or_b32 exec_lo, exec_lo, s50
.LBB210_64:                             ;   in Loop: Header=BB210_13 Depth=1
	s_delay_alu instid0(SALU_CYCLE_1) | instskip(SKIP_1) | instid1(VALU_DEP_1)
	s_or_b32 exec_lo, exec_lo, s49
	v_add_co_u32 v35, s1, 0x80, v33
	v_add_co_ci_u32_e64 v36, s1, 0, v34, s1
	v_dual_mov_b32 v57, 0 :: v_dual_mov_b32 v58, 0
	s_mov_b32 s49, exec_lo
	global_load_u8 v59, v[35:36], off offset:8
	s_waitcnt vmcnt(0)
	v_cmpx_ne_u16_e32 0, v59
	s_cbranch_execz .LBB210_72
; %bb.65:                               ;   in Loop: Header=BB210_13 Depth=1
	v_bfrev_b32_e32 v58, 1
	s_mov_b32 s50, exec_lo
	v_cmpx_ne_u16_e32 0x80, v59
	s_cbranch_execz .LBB210_71
; %bb.66:                               ;   in Loop: Header=BB210_13 Depth=1
	v_and_b32_e32 v27, 0xffff, v59
	v_mov_b32_e32 v58, 0x7f800001
	s_mov_b32 s51, exec_lo
	s_delay_alu instid0(VALU_DEP_2) | instskip(NEXT) | instid1(VALU_DEP_1)
	v_and_b32_e32 v60, 0x7f, v27
	v_cmpx_ne_u32_e32 0x7f, v60
	s_cbranch_execz .LBB210_70
; %bb.67:                               ;   in Loop: Header=BB210_13 Depth=1
	v_and_b32_e32 v27, 7, v27
	v_lshrrev_b32_e32 v58, 3, v60
	s_mov_b32 s52, exec_lo
	v_cmpx_gt_u32_e32 8, v60
; %bb.68:                               ;   in Loop: Header=BB210_13 Depth=1
	s_delay_alu instid0(VALU_DEP_3) | instskip(NEXT) | instid1(VALU_DEP_1)
	v_clz_i32_u32_e32 v58, v27
	v_min_u32_e32 v58, 32, v58
	s_delay_alu instid0(VALU_DEP_1) | instskip(SKIP_1) | instid1(VALU_DEP_2)
	v_subrev_nc_u32_e32 v60, 28, v58
	v_sub_nc_u32_e32 v58, 29, v58
	v_lshlrev_b64 v[60:61], v60, v[27:28]
	s_delay_alu instid0(VALU_DEP_1)
	v_and_b32_e32 v27, 7, v60
; %bb.69:                               ;   in Loop: Header=BB210_13 Depth=1
	s_or_b32 exec_lo, exec_lo, s52
	v_lshlrev_b32_e32 v59, 24, v59
	s_delay_alu instid0(VALU_DEP_2) | instskip(SKIP_1) | instid1(VALU_DEP_3)
	v_lshlrev_b32_e32 v27, 20, v27
	v_lshl_add_u32 v58, v58, 23, 0x3c000000
	v_and_b32_e32 v59, 0x80000000, v59
	s_delay_alu instid0(VALU_DEP_1)
	v_or3_b32 v58, v27, v59, v58
.LBB210_70:                             ;   in Loop: Header=BB210_13 Depth=1
	s_or_b32 exec_lo, exec_lo, s51
.LBB210_71:                             ;   in Loop: Header=BB210_13 Depth=1
	s_delay_alu instid0(SALU_CYCLE_1)
	s_or_b32 exec_lo, exec_lo, s50
.LBB210_72:                             ;   in Loop: Header=BB210_13 Depth=1
	s_delay_alu instid0(SALU_CYCLE_1)
	s_or_b32 exec_lo, exec_lo, s49
	global_load_u8 v35, v[35:36], off offset:12
	s_mov_b32 s49, exec_lo
	s_waitcnt vmcnt(0)
	v_cmpx_ne_u16_e32 0, v35
	s_cbranch_execz .LBB210_80
; %bb.73:                               ;   in Loop: Header=BB210_13 Depth=1
	v_bfrev_b32_e32 v57, 1
	s_mov_b32 s50, exec_lo
	v_cmpx_ne_u16_e32 0x80, v35
	s_cbranch_execz .LBB210_79
; %bb.74:                               ;   in Loop: Header=BB210_13 Depth=1
	v_and_b32_e32 v27, 0xffff, v35
	v_mov_b32_e32 v57, 0x7f800001
	s_mov_b32 s51, exec_lo
	s_delay_alu instid0(VALU_DEP_2) | instskip(NEXT) | instid1(VALU_DEP_1)
	v_and_b32_e32 v59, 0x7f, v27
	v_cmpx_ne_u32_e32 0x7f, v59
	s_cbranch_execz .LBB210_78
; %bb.75:                               ;   in Loop: Header=BB210_13 Depth=1
	v_and_b32_e32 v27, 7, v27
	v_lshrrev_b32_e32 v36, 3, v59
	s_mov_b32 s52, exec_lo
	v_cmpx_gt_u32_e32 8, v59
; %bb.76:                               ;   in Loop: Header=BB210_13 Depth=1
	s_delay_alu instid0(VALU_DEP_3) | instskip(NEXT) | instid1(VALU_DEP_1)
	v_clz_i32_u32_e32 v36, v27
	v_min_u32_e32 v36, 32, v36
	s_delay_alu instid0(VALU_DEP_1) | instskip(SKIP_1) | instid1(VALU_DEP_2)
	v_subrev_nc_u32_e32 v57, 28, v36
	v_sub_nc_u32_e32 v36, 29, v36
	v_lshlrev_b64 v[59:60], v57, v[27:28]
	s_delay_alu instid0(VALU_DEP_1)
	v_and_b32_e32 v27, 7, v59
; %bb.77:                               ;   in Loop: Header=BB210_13 Depth=1
	s_or_b32 exec_lo, exec_lo, s52
	v_lshlrev_b32_e32 v35, 24, v35
	s_delay_alu instid0(VALU_DEP_2) | instskip(SKIP_1) | instid1(VALU_DEP_3)
	v_lshlrev_b32_e32 v27, 20, v27
	v_lshl_add_u32 v36, v36, 23, 0x3c000000
	v_and_b32_e32 v35, 0x80000000, v35
	s_delay_alu instid0(VALU_DEP_1)
	v_or3_b32 v57, v27, v35, v36
.LBB210_78:                             ;   in Loop: Header=BB210_13 Depth=1
	s_or_b32 exec_lo, exec_lo, s51
.LBB210_79:                             ;   in Loop: Header=BB210_13 Depth=1
	s_delay_alu instid0(SALU_CYCLE_1)
	s_or_b32 exec_lo, exec_lo, s50
.LBB210_80:                             ;   in Loop: Header=BB210_13 Depth=1
	s_delay_alu instid0(SALU_CYCLE_1)
	s_or_b32 exec_lo, exec_lo, s49
	global_load_u8 v35, v[33:34], off offset:256
	v_dual_mov_b32 v59, 0 :: v_dual_mov_b32 v60, 0
	s_mov_b32 s49, exec_lo
	s_waitcnt vmcnt(0)
	v_cmpx_ne_u16_e32 0, v35
	s_cbranch_execz .LBB210_88
; %bb.81:                               ;   in Loop: Header=BB210_13 Depth=1
	v_bfrev_b32_e32 v60, 1
	s_mov_b32 s50, exec_lo
	v_cmpx_ne_u16_e32 0x80, v35
	s_cbranch_execz .LBB210_87
; %bb.82:                               ;   in Loop: Header=BB210_13 Depth=1
	v_and_b32_e32 v27, 0xffff, v35
	v_mov_b32_e32 v60, 0x7f800001
	s_mov_b32 s51, exec_lo
	s_delay_alu instid0(VALU_DEP_2) | instskip(NEXT) | instid1(VALU_DEP_1)
	v_and_b32_e32 v61, 0x7f, v27
	v_cmpx_ne_u32_e32 0x7f, v61
	s_cbranch_execz .LBB210_86
; %bb.83:                               ;   in Loop: Header=BB210_13 Depth=1
	v_and_b32_e32 v27, 7, v27
	v_lshrrev_b32_e32 v36, 3, v61
	s_mov_b32 s52, exec_lo
	v_cmpx_gt_u32_e32 8, v61
; %bb.84:                               ;   in Loop: Header=BB210_13 Depth=1
	s_delay_alu instid0(VALU_DEP_3) | instskip(NEXT) | instid1(VALU_DEP_1)
	v_clz_i32_u32_e32 v36, v27
	v_min_u32_e32 v36, 32, v36
	s_delay_alu instid0(VALU_DEP_1) | instskip(SKIP_1) | instid1(VALU_DEP_2)
	v_subrev_nc_u32_e32 v60, 28, v36
	v_sub_nc_u32_e32 v36, 29, v36
	v_lshlrev_b64 v[60:61], v60, v[27:28]
	s_delay_alu instid0(VALU_DEP_1)
	v_and_b32_e32 v27, 7, v60
; %bb.85:                               ;   in Loop: Header=BB210_13 Depth=1
	s_or_b32 exec_lo, exec_lo, s52
	v_lshlrev_b32_e32 v35, 24, v35
	s_delay_alu instid0(VALU_DEP_2) | instskip(SKIP_1) | instid1(VALU_DEP_3)
	v_lshlrev_b32_e32 v27, 20, v27
	v_lshl_add_u32 v36, v36, 23, 0x3c000000
	v_and_b32_e32 v35, 0x80000000, v35
	s_delay_alu instid0(VALU_DEP_1)
	v_or3_b32 v60, v27, v35, v36
.LBB210_86:                             ;   in Loop: Header=BB210_13 Depth=1
	s_or_b32 exec_lo, exec_lo, s51
.LBB210_87:                             ;   in Loop: Header=BB210_13 Depth=1
	s_delay_alu instid0(SALU_CYCLE_1)
	s_or_b32 exec_lo, exec_lo, s50
.LBB210_88:                             ;   in Loop: Header=BB210_13 Depth=1
	s_delay_alu instid0(SALU_CYCLE_1)
	s_or_b32 exec_lo, exec_lo, s49
	global_load_u8 v35, v[33:34], off offset:260
	s_mov_b32 s49, exec_lo
	s_waitcnt vmcnt(0)
	v_cmpx_ne_u16_e32 0, v35
	s_cbranch_execz .LBB210_96
; %bb.89:                               ;   in Loop: Header=BB210_13 Depth=1
	v_bfrev_b32_e32 v59, 1
	s_mov_b32 s50, exec_lo
	v_cmpx_ne_u16_e32 0x80, v35
	s_cbranch_execz .LBB210_95
; %bb.90:                               ;   in Loop: Header=BB210_13 Depth=1
	v_and_b32_e32 v27, 0xffff, v35
	v_mov_b32_e32 v59, 0x7f800001
	s_mov_b32 s51, exec_lo
	s_delay_alu instid0(VALU_DEP_2) | instskip(NEXT) | instid1(VALU_DEP_1)
	v_and_b32_e32 v61, 0x7f, v27
	v_cmpx_ne_u32_e32 0x7f, v61
	s_cbranch_execz .LBB210_94
; %bb.91:                               ;   in Loop: Header=BB210_13 Depth=1
	v_and_b32_e32 v27, 7, v27
	v_lshrrev_b32_e32 v36, 3, v61
	s_mov_b32 s52, exec_lo
	v_cmpx_gt_u32_e32 8, v61
; %bb.92:                               ;   in Loop: Header=BB210_13 Depth=1
	s_delay_alu instid0(VALU_DEP_3) | instskip(NEXT) | instid1(VALU_DEP_1)
	v_clz_i32_u32_e32 v36, v27
	v_min_u32_e32 v36, 32, v36
	s_delay_alu instid0(VALU_DEP_1) | instskip(SKIP_1) | instid1(VALU_DEP_2)
	v_subrev_nc_u32_e32 v59, 28, v36
	v_sub_nc_u32_e32 v36, 29, v36
	v_lshlrev_b64 v[61:62], v59, v[27:28]
	s_delay_alu instid0(VALU_DEP_1)
	v_and_b32_e32 v27, 7, v61
; %bb.93:                               ;   in Loop: Header=BB210_13 Depth=1
	s_or_b32 exec_lo, exec_lo, s52
	v_lshlrev_b32_e32 v35, 24, v35
	s_delay_alu instid0(VALU_DEP_2) | instskip(SKIP_1) | instid1(VALU_DEP_3)
	v_lshlrev_b32_e32 v27, 20, v27
	v_lshl_add_u32 v36, v36, 23, 0x3c000000
	v_and_b32_e32 v35, 0x80000000, v35
	s_delay_alu instid0(VALU_DEP_1)
	v_or3_b32 v59, v27, v35, v36
.LBB210_94:                             ;   in Loop: Header=BB210_13 Depth=1
	s_or_b32 exec_lo, exec_lo, s51
.LBB210_95:                             ;   in Loop: Header=BB210_13 Depth=1
	s_delay_alu instid0(SALU_CYCLE_1)
	s_or_b32 exec_lo, exec_lo, s50
.LBB210_96:                             ;   in Loop: Header=BB210_13 Depth=1
	s_delay_alu instid0(SALU_CYCLE_1) | instskip(SKIP_1) | instid1(VALU_DEP_1)
	s_or_b32 exec_lo, exec_lo, s49
	v_add_co_u32 v35, s1, 0x100, v33
	v_add_co_ci_u32_e64 v36, s1, 0, v34, s1
	v_dual_mov_b32 v61, 0 :: v_dual_mov_b32 v62, 0
	s_mov_b32 s49, exec_lo
	global_load_u8 v63, v[35:36], off offset:8
	s_waitcnt vmcnt(0)
	v_cmpx_ne_u16_e32 0, v63
	s_cbranch_execz .LBB210_104
; %bb.97:                               ;   in Loop: Header=BB210_13 Depth=1
	v_bfrev_b32_e32 v62, 1
	s_mov_b32 s50, exec_lo
	v_cmpx_ne_u16_e32 0x80, v63
	s_cbranch_execz .LBB210_103
; %bb.98:                               ;   in Loop: Header=BB210_13 Depth=1
	v_and_b32_e32 v27, 0xffff, v63
	v_mov_b32_e32 v62, 0x7f800001
	s_mov_b32 s51, exec_lo
	s_delay_alu instid0(VALU_DEP_2) | instskip(NEXT) | instid1(VALU_DEP_1)
	v_and_b32_e32 v64, 0x7f, v27
	v_cmpx_ne_u32_e32 0x7f, v64
	s_cbranch_execz .LBB210_102
; %bb.99:                               ;   in Loop: Header=BB210_13 Depth=1
	v_and_b32_e32 v27, 7, v27
	v_lshrrev_b32_e32 v62, 3, v64
	s_mov_b32 s52, exec_lo
	v_cmpx_gt_u32_e32 8, v64
; %bb.100:                              ;   in Loop: Header=BB210_13 Depth=1
	s_delay_alu instid0(VALU_DEP_3) | instskip(NEXT) | instid1(VALU_DEP_1)
	v_clz_i32_u32_e32 v62, v27
	v_min_u32_e32 v62, 32, v62
	s_delay_alu instid0(VALU_DEP_1) | instskip(SKIP_1) | instid1(VALU_DEP_2)
	v_subrev_nc_u32_e32 v64, 28, v62
	v_sub_nc_u32_e32 v62, 29, v62
	v_lshlrev_b64 v[64:65], v64, v[27:28]
	s_delay_alu instid0(VALU_DEP_1)
	v_and_b32_e32 v27, 7, v64
; %bb.101:                              ;   in Loop: Header=BB210_13 Depth=1
	s_or_b32 exec_lo, exec_lo, s52
	v_lshlrev_b32_e32 v63, 24, v63
	s_delay_alu instid0(VALU_DEP_2) | instskip(SKIP_1) | instid1(VALU_DEP_3)
	v_lshlrev_b32_e32 v27, 20, v27
	v_lshl_add_u32 v62, v62, 23, 0x3c000000
	v_and_b32_e32 v63, 0x80000000, v63
	s_delay_alu instid0(VALU_DEP_1)
	v_or3_b32 v62, v27, v63, v62
.LBB210_102:                            ;   in Loop: Header=BB210_13 Depth=1
	s_or_b32 exec_lo, exec_lo, s51
.LBB210_103:                            ;   in Loop: Header=BB210_13 Depth=1
	s_delay_alu instid0(SALU_CYCLE_1)
	s_or_b32 exec_lo, exec_lo, s50
.LBB210_104:                            ;   in Loop: Header=BB210_13 Depth=1
	s_delay_alu instid0(SALU_CYCLE_1)
	s_or_b32 exec_lo, exec_lo, s49
	global_load_u8 v35, v[35:36], off offset:12
	s_mov_b32 s49, exec_lo
	s_waitcnt vmcnt(0)
	v_cmpx_ne_u16_e32 0, v35
	s_cbranch_execz .LBB210_112
; %bb.105:                              ;   in Loop: Header=BB210_13 Depth=1
	v_bfrev_b32_e32 v61, 1
	s_mov_b32 s50, exec_lo
	v_cmpx_ne_u16_e32 0x80, v35
	s_cbranch_execz .LBB210_111
; %bb.106:                              ;   in Loop: Header=BB210_13 Depth=1
	v_and_b32_e32 v27, 0xffff, v35
	v_mov_b32_e32 v61, 0x7f800001
	s_mov_b32 s51, exec_lo
	s_delay_alu instid0(VALU_DEP_2) | instskip(NEXT) | instid1(VALU_DEP_1)
	v_and_b32_e32 v63, 0x7f, v27
	v_cmpx_ne_u32_e32 0x7f, v63
	s_cbranch_execz .LBB210_110
; %bb.107:                              ;   in Loop: Header=BB210_13 Depth=1
	v_and_b32_e32 v27, 7, v27
	v_lshrrev_b32_e32 v36, 3, v63
	s_mov_b32 s52, exec_lo
	v_cmpx_gt_u32_e32 8, v63
; %bb.108:                              ;   in Loop: Header=BB210_13 Depth=1
	s_delay_alu instid0(VALU_DEP_3) | instskip(NEXT) | instid1(VALU_DEP_1)
	v_clz_i32_u32_e32 v36, v27
	v_min_u32_e32 v36, 32, v36
	s_delay_alu instid0(VALU_DEP_1) | instskip(SKIP_1) | instid1(VALU_DEP_2)
	v_subrev_nc_u32_e32 v61, 28, v36
	v_sub_nc_u32_e32 v36, 29, v36
	v_lshlrev_b64 v[63:64], v61, v[27:28]
	s_delay_alu instid0(VALU_DEP_1)
	v_and_b32_e32 v27, 7, v63
; %bb.109:                              ;   in Loop: Header=BB210_13 Depth=1
	s_or_b32 exec_lo, exec_lo, s52
	v_lshlrev_b32_e32 v35, 24, v35
	s_delay_alu instid0(VALU_DEP_2) | instskip(SKIP_1) | instid1(VALU_DEP_3)
	v_lshlrev_b32_e32 v27, 20, v27
	v_lshl_add_u32 v36, v36, 23, 0x3c000000
	v_and_b32_e32 v35, 0x80000000, v35
	s_delay_alu instid0(VALU_DEP_1)
	v_or3_b32 v61, v27, v35, v36
.LBB210_110:                            ;   in Loop: Header=BB210_13 Depth=1
	s_or_b32 exec_lo, exec_lo, s51
.LBB210_111:                            ;   in Loop: Header=BB210_13 Depth=1
	s_delay_alu instid0(SALU_CYCLE_1)
	s_or_b32 exec_lo, exec_lo, s50
.LBB210_112:                            ;   in Loop: Header=BB210_13 Depth=1
	s_delay_alu instid0(SALU_CYCLE_1)
	s_or_b32 exec_lo, exec_lo, s49
	global_load_u8 v35, v[33:34], off offset:384
	v_dual_mov_b32 v63, 0 :: v_dual_mov_b32 v64, 0
	s_mov_b32 s49, exec_lo
	s_waitcnt vmcnt(0)
	v_cmpx_ne_u16_e32 0, v35
	s_cbranch_execz .LBB210_120
; %bb.113:                              ;   in Loop: Header=BB210_13 Depth=1
	v_bfrev_b32_e32 v64, 1
	s_mov_b32 s50, exec_lo
	v_cmpx_ne_u16_e32 0x80, v35
	s_cbranch_execz .LBB210_119
; %bb.114:                              ;   in Loop: Header=BB210_13 Depth=1
	v_and_b32_e32 v27, 0xffff, v35
	v_mov_b32_e32 v64, 0x7f800001
	s_mov_b32 s51, exec_lo
	s_delay_alu instid0(VALU_DEP_2) | instskip(NEXT) | instid1(VALU_DEP_1)
	v_and_b32_e32 v65, 0x7f, v27
	v_cmpx_ne_u32_e32 0x7f, v65
	s_cbranch_execz .LBB210_118
; %bb.115:                              ;   in Loop: Header=BB210_13 Depth=1
	v_and_b32_e32 v27, 7, v27
	v_lshrrev_b32_e32 v36, 3, v65
	s_mov_b32 s52, exec_lo
	v_cmpx_gt_u32_e32 8, v65
; %bb.116:                              ;   in Loop: Header=BB210_13 Depth=1
	s_delay_alu instid0(VALU_DEP_3) | instskip(NEXT) | instid1(VALU_DEP_1)
	v_clz_i32_u32_e32 v36, v27
	v_min_u32_e32 v36, 32, v36
	s_delay_alu instid0(VALU_DEP_1) | instskip(SKIP_1) | instid1(VALU_DEP_2)
	v_subrev_nc_u32_e32 v64, 28, v36
	v_sub_nc_u32_e32 v36, 29, v36
	v_lshlrev_b64 v[64:65], v64, v[27:28]
	s_delay_alu instid0(VALU_DEP_1)
	v_and_b32_e32 v27, 7, v64
; %bb.117:                              ;   in Loop: Header=BB210_13 Depth=1
	s_or_b32 exec_lo, exec_lo, s52
	v_lshlrev_b32_e32 v35, 24, v35
	s_delay_alu instid0(VALU_DEP_2) | instskip(SKIP_1) | instid1(VALU_DEP_3)
	v_lshlrev_b32_e32 v27, 20, v27
	v_lshl_add_u32 v36, v36, 23, 0x3c000000
	v_and_b32_e32 v35, 0x80000000, v35
	s_delay_alu instid0(VALU_DEP_1)
	v_or3_b32 v64, v27, v35, v36
.LBB210_118:                            ;   in Loop: Header=BB210_13 Depth=1
	s_or_b32 exec_lo, exec_lo, s51
.LBB210_119:                            ;   in Loop: Header=BB210_13 Depth=1
	s_delay_alu instid0(SALU_CYCLE_1)
	s_or_b32 exec_lo, exec_lo, s50
.LBB210_120:                            ;   in Loop: Header=BB210_13 Depth=1
	s_delay_alu instid0(SALU_CYCLE_1)
	s_or_b32 exec_lo, exec_lo, s49
	global_load_u8 v35, v[33:34], off offset:388
	s_mov_b32 s49, exec_lo
	s_waitcnt vmcnt(0)
	v_cmpx_ne_u16_e32 0, v35
	s_cbranch_execz .LBB210_128
; %bb.121:                              ;   in Loop: Header=BB210_13 Depth=1
	v_bfrev_b32_e32 v63, 1
	s_mov_b32 s50, exec_lo
	v_cmpx_ne_u16_e32 0x80, v35
	s_cbranch_execz .LBB210_127
; %bb.122:                              ;   in Loop: Header=BB210_13 Depth=1
	v_and_b32_e32 v27, 0xffff, v35
	v_mov_b32_e32 v63, 0x7f800001
	s_mov_b32 s51, exec_lo
	s_delay_alu instid0(VALU_DEP_2) | instskip(NEXT) | instid1(VALU_DEP_1)
	v_and_b32_e32 v65, 0x7f, v27
	v_cmpx_ne_u32_e32 0x7f, v65
	s_cbranch_execz .LBB210_126
; %bb.123:                              ;   in Loop: Header=BB210_13 Depth=1
	v_and_b32_e32 v27, 7, v27
	v_lshrrev_b32_e32 v36, 3, v65
	s_mov_b32 s52, exec_lo
	v_cmpx_gt_u32_e32 8, v65
; %bb.124:                              ;   in Loop: Header=BB210_13 Depth=1
	s_delay_alu instid0(VALU_DEP_3) | instskip(NEXT) | instid1(VALU_DEP_1)
	v_clz_i32_u32_e32 v36, v27
	v_min_u32_e32 v36, 32, v36
	s_delay_alu instid0(VALU_DEP_1) | instskip(SKIP_1) | instid1(VALU_DEP_2)
	v_subrev_nc_u32_e32 v63, 28, v36
	v_sub_nc_u32_e32 v36, 29, v36
	v_lshlrev_b64 v[65:66], v63, v[27:28]
	s_delay_alu instid0(VALU_DEP_1)
	v_and_b32_e32 v27, 7, v65
; %bb.125:                              ;   in Loop: Header=BB210_13 Depth=1
	s_or_b32 exec_lo, exec_lo, s52
	v_lshlrev_b32_e32 v35, 24, v35
	s_delay_alu instid0(VALU_DEP_2) | instskip(SKIP_1) | instid1(VALU_DEP_3)
	v_lshlrev_b32_e32 v27, 20, v27
	v_lshl_add_u32 v36, v36, 23, 0x3c000000
	v_and_b32_e32 v35, 0x80000000, v35
	s_delay_alu instid0(VALU_DEP_1)
	v_or3_b32 v63, v27, v35, v36
.LBB210_126:                            ;   in Loop: Header=BB210_13 Depth=1
	s_or_b32 exec_lo, exec_lo, s51
.LBB210_127:                            ;   in Loop: Header=BB210_13 Depth=1
	s_delay_alu instid0(SALU_CYCLE_1)
	s_or_b32 exec_lo, exec_lo, s50
.LBB210_128:                            ;   in Loop: Header=BB210_13 Depth=1
	s_delay_alu instid0(SALU_CYCLE_1) | instskip(SKIP_1) | instid1(VALU_DEP_1)
	s_or_b32 exec_lo, exec_lo, s49
	v_add_co_u32 v35, s1, 0x180, v33
	v_add_co_ci_u32_e64 v36, s1, 0, v34, s1
	v_dual_mov_b32 v65, 0 :: v_dual_mov_b32 v66, 0
	s_mov_b32 s49, exec_lo
	global_load_u8 v67, v[35:36], off offset:8
	s_waitcnt vmcnt(0)
	v_cmpx_ne_u16_e32 0, v67
	s_cbranch_execz .LBB210_136
; %bb.129:                              ;   in Loop: Header=BB210_13 Depth=1
	v_bfrev_b32_e32 v66, 1
	s_mov_b32 s50, exec_lo
	v_cmpx_ne_u16_e32 0x80, v67
	s_cbranch_execz .LBB210_135
; %bb.130:                              ;   in Loop: Header=BB210_13 Depth=1
	v_and_b32_e32 v27, 0xffff, v67
	v_mov_b32_e32 v66, 0x7f800001
	s_mov_b32 s51, exec_lo
	s_delay_alu instid0(VALU_DEP_2) | instskip(NEXT) | instid1(VALU_DEP_1)
	v_and_b32_e32 v68, 0x7f, v27
	v_cmpx_ne_u32_e32 0x7f, v68
	s_cbranch_execz .LBB210_134
; %bb.131:                              ;   in Loop: Header=BB210_13 Depth=1
	v_and_b32_e32 v27, 7, v27
	v_lshrrev_b32_e32 v66, 3, v68
	s_mov_b32 s52, exec_lo
	v_cmpx_gt_u32_e32 8, v68
; %bb.132:                              ;   in Loop: Header=BB210_13 Depth=1
	s_delay_alu instid0(VALU_DEP_3) | instskip(NEXT) | instid1(VALU_DEP_1)
	v_clz_i32_u32_e32 v66, v27
	v_min_u32_e32 v66, 32, v66
	s_delay_alu instid0(VALU_DEP_1) | instskip(SKIP_1) | instid1(VALU_DEP_2)
	v_subrev_nc_u32_e32 v68, 28, v66
	v_sub_nc_u32_e32 v66, 29, v66
	v_lshlrev_b64 v[68:69], v68, v[27:28]
	s_delay_alu instid0(VALU_DEP_1)
	v_and_b32_e32 v27, 7, v68
; %bb.133:                              ;   in Loop: Header=BB210_13 Depth=1
	s_or_b32 exec_lo, exec_lo, s52
	v_lshlrev_b32_e32 v67, 24, v67
	s_delay_alu instid0(VALU_DEP_2) | instskip(SKIP_1) | instid1(VALU_DEP_3)
	v_lshlrev_b32_e32 v27, 20, v27
	v_lshl_add_u32 v66, v66, 23, 0x3c000000
	v_and_b32_e32 v67, 0x80000000, v67
	s_delay_alu instid0(VALU_DEP_1)
	v_or3_b32 v66, v27, v67, v66
.LBB210_134:                            ;   in Loop: Header=BB210_13 Depth=1
	s_or_b32 exec_lo, exec_lo, s51
.LBB210_135:                            ;   in Loop: Header=BB210_13 Depth=1
	s_delay_alu instid0(SALU_CYCLE_1)
	s_or_b32 exec_lo, exec_lo, s50
.LBB210_136:                            ;   in Loop: Header=BB210_13 Depth=1
	s_delay_alu instid0(SALU_CYCLE_1)
	s_or_b32 exec_lo, exec_lo, s49
	global_load_u8 v35, v[35:36], off offset:12
	s_mov_b32 s49, exec_lo
	s_waitcnt vmcnt(0)
	v_cmpx_ne_u16_e32 0, v35
	s_cbranch_execz .LBB210_144
; %bb.137:                              ;   in Loop: Header=BB210_13 Depth=1
	v_bfrev_b32_e32 v65, 1
	s_mov_b32 s50, exec_lo
	v_cmpx_ne_u16_e32 0x80, v35
	s_cbranch_execz .LBB210_143
; %bb.138:                              ;   in Loop: Header=BB210_13 Depth=1
	v_and_b32_e32 v27, 0xffff, v35
	v_mov_b32_e32 v65, 0x7f800001
	s_mov_b32 s51, exec_lo
	s_delay_alu instid0(VALU_DEP_2) | instskip(NEXT) | instid1(VALU_DEP_1)
	v_and_b32_e32 v67, 0x7f, v27
	v_cmpx_ne_u32_e32 0x7f, v67
	s_cbranch_execz .LBB210_142
; %bb.139:                              ;   in Loop: Header=BB210_13 Depth=1
	v_and_b32_e32 v27, 7, v27
	v_lshrrev_b32_e32 v36, 3, v67
	s_mov_b32 s52, exec_lo
	v_cmpx_gt_u32_e32 8, v67
; %bb.140:                              ;   in Loop: Header=BB210_13 Depth=1
	s_delay_alu instid0(VALU_DEP_3) | instskip(NEXT) | instid1(VALU_DEP_1)
	v_clz_i32_u32_e32 v36, v27
	v_min_u32_e32 v36, 32, v36
	s_delay_alu instid0(VALU_DEP_1) | instskip(SKIP_1) | instid1(VALU_DEP_2)
	v_subrev_nc_u32_e32 v65, 28, v36
	v_sub_nc_u32_e32 v36, 29, v36
	v_lshlrev_b64 v[67:68], v65, v[27:28]
	s_delay_alu instid0(VALU_DEP_1)
	v_and_b32_e32 v27, 7, v67
; %bb.141:                              ;   in Loop: Header=BB210_13 Depth=1
	s_or_b32 exec_lo, exec_lo, s52
	v_lshlrev_b32_e32 v35, 24, v35
	s_delay_alu instid0(VALU_DEP_2) | instskip(SKIP_1) | instid1(VALU_DEP_3)
	v_lshlrev_b32_e32 v27, 20, v27
	v_lshl_add_u32 v36, v36, 23, 0x3c000000
	v_and_b32_e32 v35, 0x80000000, v35
	s_delay_alu instid0(VALU_DEP_1)
	v_or3_b32 v65, v27, v35, v36
.LBB210_142:                            ;   in Loop: Header=BB210_13 Depth=1
	s_or_b32 exec_lo, exec_lo, s51
.LBB210_143:                            ;   in Loop: Header=BB210_13 Depth=1
	s_delay_alu instid0(SALU_CYCLE_1)
	s_or_b32 exec_lo, exec_lo, s50
.LBB210_144:                            ;   in Loop: Header=BB210_13 Depth=1
	s_delay_alu instid0(SALU_CYCLE_1)
	s_or_b32 exec_lo, exec_lo, s49
	global_load_u8 v35, v[33:34], off offset:512
	v_dual_mov_b32 v67, 0 :: v_dual_mov_b32 v68, 0
	s_mov_b32 s49, exec_lo
	s_waitcnt vmcnt(0)
	v_cmpx_ne_u16_e32 0, v35
	s_cbranch_execz .LBB210_152
; %bb.145:                              ;   in Loop: Header=BB210_13 Depth=1
	v_bfrev_b32_e32 v68, 1
	s_mov_b32 s50, exec_lo
	v_cmpx_ne_u16_e32 0x80, v35
	s_cbranch_execz .LBB210_151
; %bb.146:                              ;   in Loop: Header=BB210_13 Depth=1
	v_and_b32_e32 v27, 0xffff, v35
	v_mov_b32_e32 v68, 0x7f800001
	s_mov_b32 s51, exec_lo
	s_delay_alu instid0(VALU_DEP_2) | instskip(NEXT) | instid1(VALU_DEP_1)
	v_and_b32_e32 v69, 0x7f, v27
	v_cmpx_ne_u32_e32 0x7f, v69
	s_cbranch_execz .LBB210_150
; %bb.147:                              ;   in Loop: Header=BB210_13 Depth=1
	v_and_b32_e32 v27, 7, v27
	v_lshrrev_b32_e32 v36, 3, v69
	s_mov_b32 s52, exec_lo
	v_cmpx_gt_u32_e32 8, v69
; %bb.148:                              ;   in Loop: Header=BB210_13 Depth=1
	s_delay_alu instid0(VALU_DEP_3) | instskip(NEXT) | instid1(VALU_DEP_1)
	v_clz_i32_u32_e32 v36, v27
	v_min_u32_e32 v36, 32, v36
	s_delay_alu instid0(VALU_DEP_1) | instskip(SKIP_1) | instid1(VALU_DEP_2)
	v_subrev_nc_u32_e32 v68, 28, v36
	v_sub_nc_u32_e32 v36, 29, v36
	v_lshlrev_b64 v[68:69], v68, v[27:28]
	s_delay_alu instid0(VALU_DEP_1)
	v_and_b32_e32 v27, 7, v68
; %bb.149:                              ;   in Loop: Header=BB210_13 Depth=1
	s_or_b32 exec_lo, exec_lo, s52
	v_lshlrev_b32_e32 v35, 24, v35
	s_delay_alu instid0(VALU_DEP_2) | instskip(SKIP_1) | instid1(VALU_DEP_3)
	v_lshlrev_b32_e32 v27, 20, v27
	v_lshl_add_u32 v36, v36, 23, 0x3c000000
	v_and_b32_e32 v35, 0x80000000, v35
	s_delay_alu instid0(VALU_DEP_1)
	v_or3_b32 v68, v27, v35, v36
.LBB210_150:                            ;   in Loop: Header=BB210_13 Depth=1
	s_or_b32 exec_lo, exec_lo, s51
.LBB210_151:                            ;   in Loop: Header=BB210_13 Depth=1
	s_delay_alu instid0(SALU_CYCLE_1)
	s_or_b32 exec_lo, exec_lo, s50
.LBB210_152:                            ;   in Loop: Header=BB210_13 Depth=1
	s_delay_alu instid0(SALU_CYCLE_1)
	s_or_b32 exec_lo, exec_lo, s49
	global_load_u8 v35, v[33:34], off offset:516
	s_mov_b32 s49, exec_lo
	s_waitcnt vmcnt(0)
	v_cmpx_ne_u16_e32 0, v35
	s_cbranch_execz .LBB210_160
; %bb.153:                              ;   in Loop: Header=BB210_13 Depth=1
	v_bfrev_b32_e32 v67, 1
	s_mov_b32 s50, exec_lo
	v_cmpx_ne_u16_e32 0x80, v35
	s_cbranch_execz .LBB210_159
; %bb.154:                              ;   in Loop: Header=BB210_13 Depth=1
	v_and_b32_e32 v27, 0xffff, v35
	v_mov_b32_e32 v67, 0x7f800001
	s_mov_b32 s51, exec_lo
	s_delay_alu instid0(VALU_DEP_2) | instskip(NEXT) | instid1(VALU_DEP_1)
	v_and_b32_e32 v69, 0x7f, v27
	v_cmpx_ne_u32_e32 0x7f, v69
	s_cbranch_execz .LBB210_158
; %bb.155:                              ;   in Loop: Header=BB210_13 Depth=1
	v_and_b32_e32 v27, 7, v27
	v_lshrrev_b32_e32 v36, 3, v69
	s_mov_b32 s52, exec_lo
	v_cmpx_gt_u32_e32 8, v69
; %bb.156:                              ;   in Loop: Header=BB210_13 Depth=1
	s_delay_alu instid0(VALU_DEP_3) | instskip(NEXT) | instid1(VALU_DEP_1)
	v_clz_i32_u32_e32 v36, v27
	v_min_u32_e32 v36, 32, v36
	s_delay_alu instid0(VALU_DEP_1) | instskip(SKIP_1) | instid1(VALU_DEP_2)
	v_subrev_nc_u32_e32 v67, 28, v36
	v_sub_nc_u32_e32 v36, 29, v36
	v_lshlrev_b64 v[69:70], v67, v[27:28]
	s_delay_alu instid0(VALU_DEP_1)
	v_and_b32_e32 v27, 7, v69
; %bb.157:                              ;   in Loop: Header=BB210_13 Depth=1
	s_or_b32 exec_lo, exec_lo, s52
	v_lshlrev_b32_e32 v35, 24, v35
	s_delay_alu instid0(VALU_DEP_2) | instskip(SKIP_1) | instid1(VALU_DEP_3)
	v_lshlrev_b32_e32 v27, 20, v27
	v_lshl_add_u32 v36, v36, 23, 0x3c000000
	v_and_b32_e32 v35, 0x80000000, v35
	s_delay_alu instid0(VALU_DEP_1)
	v_or3_b32 v67, v27, v35, v36
.LBB210_158:                            ;   in Loop: Header=BB210_13 Depth=1
	s_or_b32 exec_lo, exec_lo, s51
.LBB210_159:                            ;   in Loop: Header=BB210_13 Depth=1
	s_delay_alu instid0(SALU_CYCLE_1)
	s_or_b32 exec_lo, exec_lo, s50
.LBB210_160:                            ;   in Loop: Header=BB210_13 Depth=1
	s_delay_alu instid0(SALU_CYCLE_1) | instskip(SKIP_1) | instid1(VALU_DEP_1)
	s_or_b32 exec_lo, exec_lo, s49
	v_add_co_u32 v35, s1, 0x200, v33
	v_add_co_ci_u32_e64 v36, s1, 0, v34, s1
	v_dual_mov_b32 v69, 0 :: v_dual_mov_b32 v70, 0
	s_mov_b32 s49, exec_lo
	global_load_u8 v71, v[35:36], off offset:8
	s_waitcnt vmcnt(0)
	v_cmpx_ne_u16_e32 0, v71
	s_cbranch_execz .LBB210_168
; %bb.161:                              ;   in Loop: Header=BB210_13 Depth=1
	v_bfrev_b32_e32 v70, 1
	s_mov_b32 s50, exec_lo
	v_cmpx_ne_u16_e32 0x80, v71
	s_cbranch_execz .LBB210_167
; %bb.162:                              ;   in Loop: Header=BB210_13 Depth=1
	v_and_b32_e32 v27, 0xffff, v71
	v_mov_b32_e32 v70, 0x7f800001
	s_mov_b32 s51, exec_lo
	s_delay_alu instid0(VALU_DEP_2) | instskip(NEXT) | instid1(VALU_DEP_1)
	v_and_b32_e32 v72, 0x7f, v27
	v_cmpx_ne_u32_e32 0x7f, v72
	s_cbranch_execz .LBB210_166
; %bb.163:                              ;   in Loop: Header=BB210_13 Depth=1
	v_and_b32_e32 v27, 7, v27
	v_lshrrev_b32_e32 v70, 3, v72
	s_mov_b32 s52, exec_lo
	v_cmpx_gt_u32_e32 8, v72
; %bb.164:                              ;   in Loop: Header=BB210_13 Depth=1
	s_delay_alu instid0(VALU_DEP_3) | instskip(NEXT) | instid1(VALU_DEP_1)
	v_clz_i32_u32_e32 v70, v27
	v_min_u32_e32 v70, 32, v70
	s_delay_alu instid0(VALU_DEP_1) | instskip(SKIP_1) | instid1(VALU_DEP_2)
	v_subrev_nc_u32_e32 v72, 28, v70
	v_sub_nc_u32_e32 v70, 29, v70
	v_lshlrev_b64 v[72:73], v72, v[27:28]
	s_delay_alu instid0(VALU_DEP_1)
	v_and_b32_e32 v27, 7, v72
; %bb.165:                              ;   in Loop: Header=BB210_13 Depth=1
	s_or_b32 exec_lo, exec_lo, s52
	v_lshlrev_b32_e32 v71, 24, v71
	s_delay_alu instid0(VALU_DEP_2) | instskip(SKIP_1) | instid1(VALU_DEP_3)
	v_lshlrev_b32_e32 v27, 20, v27
	v_lshl_add_u32 v70, v70, 23, 0x3c000000
	v_and_b32_e32 v71, 0x80000000, v71
	s_delay_alu instid0(VALU_DEP_1)
	v_or3_b32 v70, v27, v71, v70
.LBB210_166:                            ;   in Loop: Header=BB210_13 Depth=1
	s_or_b32 exec_lo, exec_lo, s51
.LBB210_167:                            ;   in Loop: Header=BB210_13 Depth=1
	s_delay_alu instid0(SALU_CYCLE_1)
	s_or_b32 exec_lo, exec_lo, s50
.LBB210_168:                            ;   in Loop: Header=BB210_13 Depth=1
	s_delay_alu instid0(SALU_CYCLE_1)
	s_or_b32 exec_lo, exec_lo, s49
	global_load_u8 v35, v[35:36], off offset:12
	s_mov_b32 s49, exec_lo
	s_waitcnt vmcnt(0)
	v_cmpx_ne_u16_e32 0, v35
	s_cbranch_execz .LBB210_176
; %bb.169:                              ;   in Loop: Header=BB210_13 Depth=1
	v_bfrev_b32_e32 v69, 1
	s_mov_b32 s50, exec_lo
	v_cmpx_ne_u16_e32 0x80, v35
	s_cbranch_execz .LBB210_175
; %bb.170:                              ;   in Loop: Header=BB210_13 Depth=1
	v_and_b32_e32 v27, 0xffff, v35
	v_mov_b32_e32 v69, 0x7f800001
	s_mov_b32 s51, exec_lo
	s_delay_alu instid0(VALU_DEP_2) | instskip(NEXT) | instid1(VALU_DEP_1)
	v_and_b32_e32 v71, 0x7f, v27
	v_cmpx_ne_u32_e32 0x7f, v71
	s_cbranch_execz .LBB210_174
; %bb.171:                              ;   in Loop: Header=BB210_13 Depth=1
	v_and_b32_e32 v27, 7, v27
	v_lshrrev_b32_e32 v36, 3, v71
	s_mov_b32 s52, exec_lo
	v_cmpx_gt_u32_e32 8, v71
; %bb.172:                              ;   in Loop: Header=BB210_13 Depth=1
	s_delay_alu instid0(VALU_DEP_3) | instskip(NEXT) | instid1(VALU_DEP_1)
	v_clz_i32_u32_e32 v36, v27
	v_min_u32_e32 v36, 32, v36
	s_delay_alu instid0(VALU_DEP_1) | instskip(SKIP_1) | instid1(VALU_DEP_2)
	v_subrev_nc_u32_e32 v69, 28, v36
	v_sub_nc_u32_e32 v36, 29, v36
	v_lshlrev_b64 v[71:72], v69, v[27:28]
	s_delay_alu instid0(VALU_DEP_1)
	v_and_b32_e32 v27, 7, v71
; %bb.173:                              ;   in Loop: Header=BB210_13 Depth=1
	s_or_b32 exec_lo, exec_lo, s52
	v_lshlrev_b32_e32 v35, 24, v35
	s_delay_alu instid0(VALU_DEP_2) | instskip(SKIP_1) | instid1(VALU_DEP_3)
	v_lshlrev_b32_e32 v27, 20, v27
	v_lshl_add_u32 v36, v36, 23, 0x3c000000
	v_and_b32_e32 v35, 0x80000000, v35
	s_delay_alu instid0(VALU_DEP_1)
	v_or3_b32 v69, v27, v35, v36
.LBB210_174:                            ;   in Loop: Header=BB210_13 Depth=1
	s_or_b32 exec_lo, exec_lo, s51
.LBB210_175:                            ;   in Loop: Header=BB210_13 Depth=1
	s_delay_alu instid0(SALU_CYCLE_1)
	s_or_b32 exec_lo, exec_lo, s50
.LBB210_176:                            ;   in Loop: Header=BB210_13 Depth=1
	s_delay_alu instid0(SALU_CYCLE_1)
	s_or_b32 exec_lo, exec_lo, s49
	global_load_u8 v71, v[33:34], off offset:640
	v_dual_mov_b32 v35, 0 :: v_dual_mov_b32 v36, 0
	s_mov_b32 s49, exec_lo
	s_waitcnt vmcnt(0)
	v_cmpx_ne_u16_e32 0, v71
	s_cbranch_execz .LBB210_184
; %bb.177:                              ;   in Loop: Header=BB210_13 Depth=1
	v_bfrev_b32_e32 v36, 1
	s_mov_b32 s50, exec_lo
	v_cmpx_ne_u16_e32 0x80, v71
	s_cbranch_execz .LBB210_183
; %bb.178:                              ;   in Loop: Header=BB210_13 Depth=1
	v_and_b32_e32 v27, 0xffff, v71
	v_mov_b32_e32 v36, 0x7f800001
	s_mov_b32 s51, exec_lo
	s_delay_alu instid0(VALU_DEP_2) | instskip(NEXT) | instid1(VALU_DEP_1)
	v_and_b32_e32 v72, 0x7f, v27
	v_cmpx_ne_u32_e32 0x7f, v72
	s_cbranch_execz .LBB210_182
; %bb.179:                              ;   in Loop: Header=BB210_13 Depth=1
	v_and_b32_e32 v27, 7, v27
	v_lshrrev_b32_e32 v36, 3, v72
	s_mov_b32 s52, exec_lo
	v_cmpx_gt_u32_e32 8, v72
; %bb.180:                              ;   in Loop: Header=BB210_13 Depth=1
	s_delay_alu instid0(VALU_DEP_3) | instskip(NEXT) | instid1(VALU_DEP_1)
	v_clz_i32_u32_e32 v36, v27
	v_min_u32_e32 v36, 32, v36
	s_delay_alu instid0(VALU_DEP_1) | instskip(SKIP_1) | instid1(VALU_DEP_2)
	v_subrev_nc_u32_e32 v72, 28, v36
	v_sub_nc_u32_e32 v36, 29, v36
	v_lshlrev_b64 v[72:73], v72, v[27:28]
	s_delay_alu instid0(VALU_DEP_1)
	v_and_b32_e32 v27, 7, v72
; %bb.181:                              ;   in Loop: Header=BB210_13 Depth=1
	s_or_b32 exec_lo, exec_lo, s52
	v_lshlrev_b32_e32 v71, 24, v71
	s_delay_alu instid0(VALU_DEP_2) | instskip(SKIP_1) | instid1(VALU_DEP_3)
	v_lshlrev_b32_e32 v27, 20, v27
	v_lshl_add_u32 v36, v36, 23, 0x3c000000
	v_and_b32_e32 v71, 0x80000000, v71
	s_delay_alu instid0(VALU_DEP_1)
	v_or3_b32 v36, v27, v71, v36
.LBB210_182:                            ;   in Loop: Header=BB210_13 Depth=1
	s_or_b32 exec_lo, exec_lo, s51
.LBB210_183:                            ;   in Loop: Header=BB210_13 Depth=1
	s_delay_alu instid0(SALU_CYCLE_1)
	s_or_b32 exec_lo, exec_lo, s50
.LBB210_184:                            ;   in Loop: Header=BB210_13 Depth=1
	s_delay_alu instid0(SALU_CYCLE_1)
	s_or_b32 exec_lo, exec_lo, s49
	global_load_u8 v71, v[33:34], off offset:644
	s_mov_b32 s49, exec_lo
	s_waitcnt vmcnt(0)
	v_cmpx_ne_u16_e32 0, v71
	s_cbranch_execz .LBB210_192
; %bb.185:                              ;   in Loop: Header=BB210_13 Depth=1
	v_bfrev_b32_e32 v35, 1
	s_mov_b32 s50, exec_lo
	v_cmpx_ne_u16_e32 0x80, v71
	s_cbranch_execz .LBB210_191
; %bb.186:                              ;   in Loop: Header=BB210_13 Depth=1
	v_and_b32_e32 v27, 0xffff, v71
	v_mov_b32_e32 v35, 0x7f800001
	s_mov_b32 s51, exec_lo
	s_delay_alu instid0(VALU_DEP_2) | instskip(NEXT) | instid1(VALU_DEP_1)
	v_and_b32_e32 v72, 0x7f, v27
	v_cmpx_ne_u32_e32 0x7f, v72
	s_cbranch_execz .LBB210_190
; %bb.187:                              ;   in Loop: Header=BB210_13 Depth=1
	v_and_b32_e32 v27, 7, v27
	v_lshrrev_b32_e32 v35, 3, v72
	s_mov_b32 s52, exec_lo
	v_cmpx_gt_u32_e32 8, v72
; %bb.188:                              ;   in Loop: Header=BB210_13 Depth=1
	s_delay_alu instid0(VALU_DEP_3) | instskip(NEXT) | instid1(VALU_DEP_1)
	v_clz_i32_u32_e32 v35, v27
	v_min_u32_e32 v35, 32, v35
	s_delay_alu instid0(VALU_DEP_1) | instskip(SKIP_1) | instid1(VALU_DEP_2)
	v_subrev_nc_u32_e32 v72, 28, v35
	v_sub_nc_u32_e32 v35, 29, v35
	v_lshlrev_b64 v[72:73], v72, v[27:28]
	s_delay_alu instid0(VALU_DEP_1)
	v_and_b32_e32 v27, 7, v72
; %bb.189:                              ;   in Loop: Header=BB210_13 Depth=1
	s_or_b32 exec_lo, exec_lo, s52
	v_lshlrev_b32_e32 v71, 24, v71
	s_delay_alu instid0(VALU_DEP_2) | instskip(SKIP_1) | instid1(VALU_DEP_3)
	v_lshlrev_b32_e32 v27, 20, v27
	v_lshl_add_u32 v35, v35, 23, 0x3c000000
	v_and_b32_e32 v71, 0x80000000, v71
	s_delay_alu instid0(VALU_DEP_1)
	v_or3_b32 v35, v27, v71, v35
.LBB210_190:                            ;   in Loop: Header=BB210_13 Depth=1
	s_or_b32 exec_lo, exec_lo, s51
.LBB210_191:                            ;   in Loop: Header=BB210_13 Depth=1
	s_delay_alu instid0(SALU_CYCLE_1)
	s_or_b32 exec_lo, exec_lo, s50
.LBB210_192:                            ;   in Loop: Header=BB210_13 Depth=1
	s_delay_alu instid0(SALU_CYCLE_1) | instskip(SKIP_1) | instid1(VALU_DEP_1)
	s_or_b32 exec_lo, exec_lo, s49
	v_add_co_u32 v33, s1, 0x280, v33
	v_add_co_ci_u32_e64 v34, s1, 0, v34, s1
	v_dual_mov_b32 v71, 0 :: v_dual_mov_b32 v72, 0
	s_mov_b32 s49, exec_lo
	global_load_u8 v73, v[33:34], off offset:8
	s_waitcnt vmcnt(0)
	v_cmpx_ne_u16_e32 0, v73
	s_cbranch_execz .LBB210_200
; %bb.193:                              ;   in Loop: Header=BB210_13 Depth=1
	v_bfrev_b32_e32 v72, 1
	s_mov_b32 s50, exec_lo
	v_cmpx_ne_u16_e32 0x80, v73
	s_cbranch_execz .LBB210_199
; %bb.194:                              ;   in Loop: Header=BB210_13 Depth=1
	v_and_b32_e32 v27, 0xffff, v73
	v_mov_b32_e32 v72, 0x7f800001
	s_mov_b32 s51, exec_lo
	s_delay_alu instid0(VALU_DEP_2) | instskip(NEXT) | instid1(VALU_DEP_1)
	v_and_b32_e32 v74, 0x7f, v27
	v_cmpx_ne_u32_e32 0x7f, v74
	s_cbranch_execz .LBB210_198
; %bb.195:                              ;   in Loop: Header=BB210_13 Depth=1
	v_and_b32_e32 v27, 7, v27
	v_lshrrev_b32_e32 v72, 3, v74
	s_mov_b32 s52, exec_lo
	v_cmpx_gt_u32_e32 8, v74
; %bb.196:                              ;   in Loop: Header=BB210_13 Depth=1
	s_delay_alu instid0(VALU_DEP_3) | instskip(NEXT) | instid1(VALU_DEP_1)
	v_clz_i32_u32_e32 v72, v27
	v_min_u32_e32 v72, 32, v72
	s_delay_alu instid0(VALU_DEP_1) | instskip(SKIP_1) | instid1(VALU_DEP_2)
	v_subrev_nc_u32_e32 v74, 28, v72
	v_sub_nc_u32_e32 v72, 29, v72
	v_lshlrev_b64 v[74:75], v74, v[27:28]
	s_delay_alu instid0(VALU_DEP_1)
	v_and_b32_e32 v27, 7, v74
; %bb.197:                              ;   in Loop: Header=BB210_13 Depth=1
	s_or_b32 exec_lo, exec_lo, s52
	v_lshlrev_b32_e32 v73, 24, v73
	s_delay_alu instid0(VALU_DEP_2) | instskip(SKIP_1) | instid1(VALU_DEP_3)
	v_lshlrev_b32_e32 v27, 20, v27
	v_lshl_add_u32 v72, v72, 23, 0x3c000000
	v_and_b32_e32 v73, 0x80000000, v73
	s_delay_alu instid0(VALU_DEP_1)
	v_or3_b32 v72, v27, v73, v72
.LBB210_198:                            ;   in Loop: Header=BB210_13 Depth=1
	s_or_b32 exec_lo, exec_lo, s51
.LBB210_199:                            ;   in Loop: Header=BB210_13 Depth=1
	s_delay_alu instid0(SALU_CYCLE_1)
	s_or_b32 exec_lo, exec_lo, s50
.LBB210_200:                            ;   in Loop: Header=BB210_13 Depth=1
	s_delay_alu instid0(SALU_CYCLE_1)
	s_or_b32 exec_lo, exec_lo, s49
	global_load_u8 v33, v[33:34], off offset:12
	s_mov_b32 s49, exec_lo
	s_waitcnt vmcnt(0)
	v_cmpx_ne_u16_e32 0, v33
	s_cbranch_execz .LBB210_208
; %bb.201:                              ;   in Loop: Header=BB210_13 Depth=1
	v_bfrev_b32_e32 v71, 1
	s_mov_b32 s50, exec_lo
	v_cmpx_ne_u16_e32 0x80, v33
	s_cbranch_execz .LBB210_207
; %bb.202:                              ;   in Loop: Header=BB210_13 Depth=1
	v_and_b32_e32 v27, 0xffff, v33
	v_mov_b32_e32 v71, 0x7f800001
	s_mov_b32 s51, exec_lo
	s_delay_alu instid0(VALU_DEP_2) | instskip(NEXT) | instid1(VALU_DEP_1)
	v_and_b32_e32 v73, 0x7f, v27
	v_cmpx_ne_u32_e32 0x7f, v73
	s_cbranch_execz .LBB210_206
; %bb.203:                              ;   in Loop: Header=BB210_13 Depth=1
	v_and_b32_e32 v27, 7, v27
	v_lshrrev_b32_e32 v34, 3, v73
	s_mov_b32 s52, exec_lo
	v_cmpx_gt_u32_e32 8, v73
; %bb.204:                              ;   in Loop: Header=BB210_13 Depth=1
	s_delay_alu instid0(VALU_DEP_3) | instskip(NEXT) | instid1(VALU_DEP_1)
	v_clz_i32_u32_e32 v34, v27
	v_min_u32_e32 v34, 32, v34
	s_delay_alu instid0(VALU_DEP_1) | instskip(SKIP_1) | instid1(VALU_DEP_2)
	v_subrev_nc_u32_e32 v71, 28, v34
	v_sub_nc_u32_e32 v34, 29, v34
	v_lshlrev_b64 v[73:74], v71, v[27:28]
	s_delay_alu instid0(VALU_DEP_1)
	v_and_b32_e32 v27, 7, v73
; %bb.205:                              ;   in Loop: Header=BB210_13 Depth=1
	s_or_b32 exec_lo, exec_lo, s52
	v_lshlrev_b32_e32 v33, 24, v33
	s_delay_alu instid0(VALU_DEP_2) | instskip(SKIP_1) | instid1(VALU_DEP_3)
	v_lshlrev_b32_e32 v27, 20, v27
	v_lshl_add_u32 v34, v34, 23, 0x3c000000
	v_and_b32_e32 v33, 0x80000000, v33
	s_delay_alu instid0(VALU_DEP_1)
	v_or3_b32 v71, v27, v33, v34
.LBB210_206:                            ;   in Loop: Header=BB210_13 Depth=1
	s_or_b32 exec_lo, exec_lo, s51
.LBB210_207:                            ;   in Loop: Header=BB210_13 Depth=1
	s_delay_alu instid0(SALU_CYCLE_1)
	s_or_b32 exec_lo, exec_lo, s50
.LBB210_208:                            ;   in Loop: Header=BB210_13 Depth=1
	s_delay_alu instid0(SALU_CYCLE_1) | instskip(SKIP_3) | instid1(VALU_DEP_1)
	s_or_b32 exec_lo, exec_lo, s49
	s_waitcnt lgkmcnt(0)
	v_mul_f32_e32 v33, s48, v52
	v_mul_f32_e32 v27, s48, v51
	;; [unrolled: 1-line block ×3, first 2 shown]
	s_delay_alu instid0(VALU_DEP_1) | instskip(SKIP_2) | instid1(VALU_DEP_1)
	v_fmac_f32_e32 v22, v21, v33
	v_mul_f32_e32 v21, s48, v53
	v_mul_f32_e32 v27, s48, v54
	v_fmac_f32_e32 v22, v23, v27
	s_delay_alu instid0(VALU_DEP_1) | instskip(SKIP_1) | instid1(VALU_DEP_1)
	v_dual_fmac_f32 v22, v24, v21 :: v_dual_mul_f32 v21, s48, v55
	v_mul_f32_e32 v23, s48, v56
	v_dual_fmac_f32 v22, v17, v23 :: v_dual_mul_f32 v17, s48, v58
	s_delay_alu instid0(VALU_DEP_1) | instskip(SKIP_1) | instid1(VALU_DEP_2)
	v_fmac_f32_e32 v22, v18, v21
	v_mul_f32_e32 v18, s48, v57
	v_dual_fmac_f32 v22, v19, v17 :: v_dual_mul_f32 v17, s48, v60
	s_delay_alu instid0(VALU_DEP_1) | instskip(SKIP_1) | instid1(VALU_DEP_2)
	v_fmac_f32_e32 v22, v20, v18
	;; [unrolled: 4-line block ×8, first 2 shown]
	v_mul_f32_e32 v6, s48, v35
	v_fmac_f32_e32 v22, v1, v5
	v_xor_b32_e32 v1, 2, v41
	s_delay_alu instid0(VALU_DEP_2) | instskip(NEXT) | instid1(VALU_DEP_2)
	v_dual_mul_f32 v5, s48, v72 :: v_dual_fmac_f32 v22, v2, v6
	v_cmp_gt_i32_e64 s1, 32, v1
	v_mul_f32_e32 v2, s48, v71
	s_delay_alu instid0(VALU_DEP_3) | instskip(NEXT) | instid1(VALU_DEP_3)
	v_fmac_f32_e32 v22, v3, v5
	v_cndmask_b32_e64 v1, v41, v1, s1
	s_delay_alu instid0(VALU_DEP_1) | instskip(SKIP_3) | instid1(VALU_DEP_1)
	v_dual_fmac_f32 v22, v4, v2 :: v_dual_lshlrev_b32 v1, 2, v1
	v_xor_b32_e32 v2, 1, v41
	ds_bpermute_b32 v1, v1, v22
	v_cmp_gt_i32_e64 s1, 32, v2
	v_cndmask_b32_e64 v2, v41, v2, s1
	s_waitcnt lgkmcnt(0)
	s_delay_alu instid0(VALU_DEP_1)
	v_dual_add_f32 v1, v22, v1 :: v_dual_lshlrev_b32 v2, 2, v2
	ds_bpermute_b32 v2, v2, v1
	s_and_saveexec_b32 s48, vcc_lo
	s_cbranch_execz .LBB210_11
; %bb.209:                              ;   in Loop: Header=BB210_13 Depth=1
	v_add_nc_u32_e32 v3, v47, v45
	s_waitcnt lgkmcnt(0)
	v_add_f32_e32 v1, v1, v2
	s_delay_alu instid0(VALU_DEP_2) | instskip(NEXT) | instid1(VALU_DEP_1)
	v_cvt_f32_i32_e32 v3, v3
	v_mul_f32_e32 v3, s42, v3
	s_delay_alu instid0(VALU_DEP_1) | instskip(NEXT) | instid1(VALU_DEP_1)
	v_cndmask_b32_e64 v2, 0, v3, s0
	v_dual_max_f32 v3, v42, v42 :: v_dual_fmac_f32 v2, s39, v1
	v_add_nc_u32_e32 v1, v43, v45
	s_delay_alu instid0(VALU_DEP_2) | instskip(NEXT) | instid1(VALU_DEP_2)
	v_max_f32_e32 v3, v3, v2
	v_cmp_gt_i32_e64 s1, s15, v1
	s_delay_alu instid0(VALU_DEP_1) | instskip(NEXT) | instid1(VALU_DEP_3)
	v_cndmask_b32_e64 v1, 0, v2, s1
	v_cndmask_b32_e64 v42, v42, v3, s1
	ds_store_b32 v48, v1
	s_branch .LBB210_11
.LBB210_210:
	s_or_b32 exec_lo, exec_lo, s46
.LBB210_211:
	s_delay_alu instid0(SALU_CYCLE_1) | instskip(SKIP_4) | instid1(VALU_DEP_4)
	s_or_b32 exec_lo, exec_lo, s43
	v_xor_b32_e32 v1, 16, v41
	v_xor_b32_e32 v3, 8, v41
	v_and_b32_e32 v21, 31, v0
	v_max_f32_e32 v5, v42, v42
	v_cmp_gt_i32_e32 vcc_lo, 32, v1
	v_cndmask_b32_e32 v1, v41, v1, vcc_lo
	v_cmp_gt_i32_e32 vcc_lo, 32, v3
	v_cndmask_b32_e32 v3, v41, v3, vcc_lo
	s_delay_alu instid0(VALU_DEP_1)
	v_lshlrev_b32_e32 v4, 2, v3
	s_waitcnt lgkmcnt(0)
	v_lshlrev_b32_e32 v2, 2, v1
	ds_bpermute_b32 v1, v2, v42
	s_waitcnt lgkmcnt(0)
	v_max_f32_e32 v1, v1, v1
	s_delay_alu instid0(VALU_DEP_1)
	v_max_f32_e32 v1, v5, v1
	v_xor_b32_e32 v5, 4, v41
	ds_bpermute_b32 v3, v4, v1
	v_cmp_gt_i32_e32 vcc_lo, 32, v5
	v_cndmask_b32_e32 v5, v41, v5, vcc_lo
	v_cmp_eq_u32_e32 vcc_lo, 0, v21
	s_delay_alu instid0(VALU_DEP_2) | instskip(SKIP_3) | instid1(VALU_DEP_1)
	v_lshlrev_b32_e32 v7, 2, v5
	v_lshlrev_b32_e32 v5, 2, v37
	s_waitcnt lgkmcnt(0)
	v_max_f32_e32 v3, v3, v3
	v_max_f32_e32 v1, v1, v3
	ds_bpermute_b32 v3, v7, v1
	s_and_saveexec_b32 s0, vcc_lo
	s_cbranch_execz .LBB210_213
; %bb.212:
	s_waitcnt lgkmcnt(0)
	v_max_f32_e32 v3, v3, v3
	v_max_f32_e32 v1, v1, v1
	s_delay_alu instid0(VALU_DEP_1)
	v_max_f32_e32 v1, v1, v3
	ds_store_b32 v5, v1 offset:384
.LBB210_213:
	s_or_b32 exec_lo, exec_lo, s0
	v_cmp_gt_u32_e64 s0, 4, v21
	v_dual_mov_b32 v1, 0xff7fffff :: v_dual_lshlrev_b32 v6, 2, v21
	s_waitcnt lgkmcnt(0)
	s_barrier
	buffer_gl0_inv
	s_and_saveexec_b32 s1, s0
	s_cbranch_execz .LBB210_215
; %bb.214:
	ds_load_b32 v1, v6 offset:384
.LBB210_215:
	s_or_b32 exec_lo, exec_lo, s1
	v_xor_b32_e32 v3, 2, v41
	v_xor_b32_e32 v9, 1, v41
	s_delay_alu instid0(VALU_DEP_2) | instskip(NEXT) | instid1(VALU_DEP_1)
	v_cmp_gt_i32_e64 s1, 32, v3
	v_cndmask_b32_e64 v3, v41, v3, s1
	s_delay_alu instid0(VALU_DEP_3) | instskip(NEXT) | instid1(VALU_DEP_2)
	v_cmp_gt_i32_e64 s1, 32, v9
	v_lshlrev_b32_e32 v8, 2, v3
	s_delay_alu instid0(VALU_DEP_2) | instskip(SKIP_1) | instid1(SALU_CYCLE_1)
	v_cndmask_b32_e64 v9, v41, v9, s1
	s_sub_i32 s1, s16, s8
	s_lshl_b32 s1, s1, 3
	s_waitcnt lgkmcnt(0)
	ds_bpermute_b32 v3, v8, v1
	v_max_f32_e32 v1, v1, v1
	s_add_i32 s1, s1, s40
	v_dual_mov_b32 v9, 0 :: v_dual_lshlrev_b32 v22, 2, v9
	s_min_i32 s1, s1, s15
	s_delay_alu instid0(SALU_CYCLE_1) | instskip(NEXT) | instid1(SALU_CYCLE_1)
	s_sub_i32 s4, s1, s40
	v_cmp_gt_i32_e64 s1, s4, v0
	s_waitcnt lgkmcnt(0)
	v_max_f32_e32 v3, v3, v3
	s_delay_alu instid0(VALU_DEP_1) | instskip(SKIP_3) | instid1(VALU_DEP_1)
	v_max_f32_e32 v1, v1, v3
	ds_bpermute_b32 v3, v22, v1
	s_waitcnt lgkmcnt(0)
	v_max_f32_e32 v3, v3, v3
	v_max_f32_e32 v1, v1, v3
	v_lshl_add_u32 v3, v0, 2, 0x1a0
	ds_bpermute_b32 v1, v9, v1
	s_and_saveexec_b32 s5, s1
	s_cbranch_execz .LBB210_219
; %bb.216:
	v_lshl_add_u32 v10, v0, 2, 0x1a0
	v_mov_b32_e32 v9, 0
	v_mov_b32_e32 v11, v0
	s_mov_b32 s8, 0
	.p2align	6
.LBB210_217:                            ; =>This Inner Loop Header: Depth=1
	ds_load_b32 v12, v10
	v_add_nc_u32_e32 v11, 0x80, v11
	s_delay_alu instid0(VALU_DEP_1) | instskip(NEXT) | instid1(VALU_DEP_1)
	v_cmp_le_i32_e64 s3, s4, v11
	s_or_b32 s8, s3, s8
	s_waitcnt lgkmcnt(0)
	v_sub_f32_e32 v12, v12, v1
	s_delay_alu instid0(VALU_DEP_1) | instskip(NEXT) | instid1(VALU_DEP_1)
	v_mul_f32_e32 v12, 0x3fb8aa3b, v12
	v_exp_f32_e32 v12, v12
	ds_store_b32 v10, v12
	v_dual_add_f32 v9, v9, v12 :: v_dual_add_nc_u32 v10, 0x200, v10
	s_and_not1_b32 exec_lo, exec_lo, s8
	s_cbranch_execnz .LBB210_217
; %bb.218:
	s_or_b32 exec_lo, exec_lo, s8
.LBB210_219:
	s_delay_alu instid0(SALU_CYCLE_1)
	s_or_b32 exec_lo, exec_lo, s5
	ds_bpermute_b32 v2, v2, v9
	s_waitcnt lgkmcnt(0)
	v_add_f32_e32 v2, v9, v2
	ds_bpermute_b32 v4, v4, v2
	s_waitcnt lgkmcnt(0)
	v_add_f32_e32 v2, v2, v4
	ds_bpermute_b32 v4, v7, v2
	s_waitcnt lgkmcnt(0)
	v_add_f32_e32 v2, v2, v4
	ds_bpermute_b32 v4, v8, v2
	s_waitcnt lgkmcnt(0)
	v_add_f32_e32 v2, v2, v4
	ds_bpermute_b32 v4, v22, v2
	s_waitcnt lgkmcnt(0)
	v_add_f32_e32 v2, v2, v4
	s_and_saveexec_b32 s3, vcc_lo
	s_cbranch_execz .LBB210_221
; %bb.220:
	ds_store_b32 v5, v2 offset:400
.LBB210_221:
	s_or_b32 exec_lo, exec_lo, s3
	s_waitcnt lgkmcnt(0)
	s_barrier
	buffer_gl0_inv
	s_and_saveexec_b32 s3, s0
	s_cbranch_execz .LBB210_223
; %bb.222:
	ds_load_b32 v2, v6 offset:400
.LBB210_223:
	s_or_b32 exec_lo, exec_lo, s3
	s_waitcnt lgkmcnt(0)
	ds_bpermute_b32 v4, v8, v2
	s_waitcnt lgkmcnt(0)
	v_add_f32_e32 v2, v2, v4
	ds_bpermute_b32 v4, v22, v2
	s_waitcnt lgkmcnt(0)
	v_add_f32_e32 v2, v2, v4
	v_mov_b32_e32 v4, 0
	ds_bpermute_b32 v2, v4, v2
	s_and_saveexec_b32 s0, s1
	s_cbranch_execz .LBB210_226
; %bb.224:
	s_waitcnt lgkmcnt(0)
	v_add_f32_e32 v4, 0x358637bd, v2
	s_mov_b32 s1, 0
	s_delay_alu instid0(VALU_DEP_1) | instskip(SKIP_1) | instid1(VALU_DEP_2)
	v_div_scale_f32 v5, null, v4, v4, 1.0
	v_div_scale_f32 v8, vcc_lo, 1.0, v4, 1.0
	v_rcp_f32_e32 v6, v5
	s_waitcnt_depctr 0xfff
	v_fma_f32 v7, -v5, v6, 1.0
	s_delay_alu instid0(VALU_DEP_1) | instskip(NEXT) | instid1(VALU_DEP_1)
	v_fmac_f32_e32 v6, v7, v6
	v_mul_f32_e32 v7, v8, v6
	s_delay_alu instid0(VALU_DEP_1) | instskip(NEXT) | instid1(VALU_DEP_1)
	v_fma_f32 v9, -v5, v7, v8
	v_fmac_f32_e32 v7, v9, v6
	s_delay_alu instid0(VALU_DEP_1) | instskip(NEXT) | instid1(VALU_DEP_1)
	v_fma_f32 v5, -v5, v7, v8
	v_div_fmas_f32 v5, v5, v6, v7
	s_delay_alu instid0(VALU_DEP_1)
	v_div_fixup_f32 v4, v5, v4, 1.0
	v_mov_b32_e32 v5, v0
.LBB210_225:                            ; =>This Inner Loop Header: Depth=1
	ds_load_b32 v6, v3
	s_waitcnt lgkmcnt(0)
	v_dual_mul_f32 v6, v4, v6 :: v_dual_add_nc_u32 v5, 0x80, v5
	s_delay_alu instid0(VALU_DEP_1) | instskip(SKIP_3) | instid1(SALU_CYCLE_1)
	v_cmp_le_i32_e32 vcc_lo, s4, v5
	ds_store_b32 v3, v6
	v_add_nc_u32_e32 v3, 0x200, v3
	s_or_b32 s1, vcc_lo, s1
	s_and_not1_b32 exec_lo, exec_lo, s1
	s_cbranch_execnz .LBB210_225
.LBB210_226:
	s_or_b32 exec_lo, exec_lo, s0
	s_mul_i32 s0, s11, s14
	s_waitcnt lgkmcnt(0)
	s_mul_i32 s4, s0, s13
	s_mov_b32 s0, exec_lo
	s_barrier
	buffer_gl0_inv
	v_cmpx_eq_u32_e32 0, v0
	s_cbranch_execz .LBB210_228
; %bb.227:
	s_ashr_i32 s5, s4, 31
	s_mul_i32 s44, s11, s28
	s_lshl_b64 s[42:43], s[4:5], 2
	v_mov_b32_e32 v3, 0
	s_add_u32 s1, s22, s42
	s_addc_u32 s3, s23, s43
	s_ashr_i32 s45, s44, 31
	s_delay_alu instid0(SALU_CYCLE_1) | instskip(NEXT) | instid1(SALU_CYCLE_1)
	s_lshl_b64 s[22:23], s[44:45], 2
	s_add_u32 s1, s1, s22
	s_addc_u32 s3, s3, s23
	s_ashr_i32 s13, s12, 31
	s_delay_alu instid0(SALU_CYCLE_1) | instskip(NEXT) | instid1(SALU_CYCLE_1)
	s_lshl_b64 s[44:45], s[12:13], 2
	s_add_u32 s46, s1, s44
	s_addc_u32 s47, s3, s45
	s_add_u32 s1, s20, s42
	s_addc_u32 s3, s21, s43
	;; [unrolled: 2-line block ×4, first 2 shown]
	s_clause 0x1
	global_store_b32 v3, v1, s[46:47]
	global_store_b32 v3, v2, s[20:21]
.LBB210_228:
	s_or_b32 exec_lo, exec_lo, s0
	v_dual_mov_b32 v31, 0 :: v_dual_mov_b32 v28, 0
	v_dual_mov_b32 v30, 0 :: v_dual_and_b32 v23, 1, v0
	v_dual_mov_b32 v27, 0 :: v_dual_mov_b32 v24, 0
	v_mov_b32_e32 v29, 0
	s_mov_b32 s8, 0
	s_and_saveexec_b32 s1, s2
	s_cbranch_execz .LBB210_438
; %bb.229:
	s_sub_i32 s5, s41, s17
	s_ashr_i32 s0, s10, 31
	s_add_u32 s14, s36, s10
	s_addc_u32 s0, s37, s0
	s_abs_i32 s10, s18
	v_dual_mov_b32 v27, 0 :: v_dual_and_b32 v4, 0x7c, v39
	v_cvt_f32_u32_e32 v1, s10
	s_sub_i32 s2, 0, s10
	v_dual_mov_b32 v6, 0 :: v_dual_lshlrev_b32 v5, 4, v23
	s_mov_b32 s13, s9
	s_delay_alu instid0(VALU_DEP_2)
	v_rcp_iflag_f32_e32 v3, v1
	v_lshlrev_b64 v[1:2], 2, v[25:26]
	v_add_co_u32 v7, s9, s14, v4
	s_add_i32 s38, s38, -1
	v_lshl_or_b32 v5, v37, 5, v5
	v_add_co_ci_u32_e64 v8, null, s0, 0, s9
	v_mov_b32_e32 v24, 0
	v_dual_mov_b32 v29, 0 :: v_dual_and_b32 v32, 4, v39
	s_delay_alu instid0(TRANS32_DEP_1) | instskip(SKIP_2) | instid1(VALU_DEP_2)
	v_dual_mul_f32 v3, 0x4f7ffffe, v3 :: v_dual_mov_b32 v28, 0
	v_dual_mov_b32 v31, 0 :: v_dual_add_nc_u32 v26, 0x1a0, v5
	s_brev_b32 s9, 1
	v_cvt_u32_f32_e32 v3, v3
	s_mov_b32 s14, s8
	s_delay_alu instid0(VALU_DEP_1) | instskip(SKIP_1) | instid1(SALU_CYCLE_1)
	v_mul_lo_u32 v9, s2, v3
	s_lshl_b64 s[2:3], s[34:35], 2
	s_add_u32 s0, s30, s2
	s_addc_u32 s2, s31, s3
	s_mov_b32 s3, 0x7f800001
	s_delay_alu instid0(VALU_DEP_1) | instskip(SKIP_3) | instid1(VALU_DEP_4)
	v_mul_hi_u32 v4, v3, v9
	v_add_co_u32 v9, vcc_lo, s0, v1
	v_mov_b32_e32 v30, 0
	v_add_co_ci_u32_e32 v10, vcc_lo, s2, v2, vcc_lo
	v_add_nc_u32_e32 v33, v3, v4
	s_branch .LBB210_232
.LBB210_230:                            ;   in Loop: Header=BB210_232 Depth=1
	s_or_b32 exec_lo, exec_lo, s0
	v_mul_f32_e32 v15, v2, v55
	v_mul_f32_e32 v14, v2, v57
	;; [unrolled: 1-line block ×3, first 2 shown]
	s_delay_alu instid0(VALU_DEP_3) | instskip(NEXT) | instid1(VALU_DEP_2)
	v_dual_mul_f32 v16, v2, v51 :: v_dual_fmac_f32 v15, v1, v54
	v_dual_mul_f32 v18, v2, v39 :: v_dual_fmac_f32 v17, v1, v46
	s_delay_alu instid0(VALU_DEP_4) | instskip(NEXT) | instid1(VALU_DEP_3)
	v_fmac_f32_e32 v14, v1, v56
	v_dual_fmac_f32 v16, v1, v50 :: v_dual_fmac_f32 v15, v3, v53
	v_mul_f32_e32 v2, v2, v13
	s_delay_alu instid0(VALU_DEP_4) | instskip(NEXT) | instid1(VALU_DEP_3)
	v_dual_fmac_f32 v18, v1, v36 :: v_dual_fmac_f32 v17, v3, v45
	v_dual_fmac_f32 v16, v3, v49 :: v_dual_fmac_f32 v15, v4, v52
	s_delay_alu instid0(VALU_DEP_3) | instskip(NEXT) | instid1(VALU_DEP_3)
	v_fmac_f32_e32 v2, v1, v12
	v_dual_fmac_f32 v18, v3, v35 :: v_dual_fmac_f32 v17, v4, v44
	v_fmac_f32_e32 v14, v3, v20
	s_delay_alu instid0(VALU_DEP_4) | instskip(NEXT) | instid1(VALU_DEP_4)
	v_add_f32_e32 v27, v27, v15
	v_fmac_f32_e32 v2, v3, v11
	s_delay_alu instid0(VALU_DEP_4) | instskip(SKIP_1) | instid1(VALU_DEP_3)
	v_dual_fmac_f32 v16, v4, v48 :: v_dual_add_f32 v29, v29, v17
	v_fmac_f32_e32 v18, v4, v34
	v_fmac_f32_e32 v2, v4, v5
	;; [unrolled: 1-line block ×3, first 2 shown]
	s_delay_alu instid0(VALU_DEP_4) | instskip(NEXT) | instid1(VALU_DEP_4)
	v_add_f32_e32 v30, v30, v16
	v_add_f32_e32 v24, v24, v18
	s_delay_alu instid0(VALU_DEP_4) | instskip(NEXT) | instid1(VALU_DEP_4)
	v_add_f32_e32 v31, v31, v2
	v_add_f32_e32 v28, v28, v14
.LBB210_231:                            ;   in Loop: Header=BB210_232 Depth=1
	s_or_b32 exec_lo, exec_lo, s17
	v_add_nc_u32_e32 v25, 4, v25
	v_add_co_u32 v9, s0, v9, 16
	s_delay_alu instid0(VALU_DEP_1) | instskip(NEXT) | instid1(VALU_DEP_3)
	v_add_co_ci_u32_e64 v10, s0, 0, v10, s0
	v_cmp_le_i32_e32 vcc_lo, s16, v25
	v_add_nc_u32_e32 v38, 32, v38
	v_add_nc_u32_e32 v26, 0x80, v26
	s_or_b32 s14, vcc_lo, s14
	s_delay_alu instid0(SALU_CYCLE_1)
	s_and_not1_b32 exec_lo, exec_lo, s14
	s_cbranch_execz .LBB210_437
.LBB210_232:                            ; =>This Inner Loop Header: Depth=1
	v_sub_nc_u32_e32 v1, 0, v38
	s_delay_alu instid0(VALU_DEP_1) | instskip(NEXT) | instid1(VALU_DEP_1)
	v_max_i32_e32 v1, v38, v1
	v_mul_hi_u32 v2, v1, s29
	s_delay_alu instid0(VALU_DEP_1) | instskip(NEXT) | instid1(VALU_DEP_1)
	v_mul_lo_u32 v3, v2, s25
	v_sub_nc_u32_e32 v1, v1, v3
	v_add_nc_u32_e32 v3, 1, v2
	s_delay_alu instid0(VALU_DEP_2) | instskip(SKIP_1) | instid1(VALU_DEP_2)
	v_subrev_nc_u32_e32 v4, s25, v1
	v_cmp_le_u32_e32 vcc_lo, s25, v1
	v_dual_cndmask_b32 v2, v2, v3 :: v_dual_cndmask_b32 v1, v1, v4
	v_ashrrev_i32_e32 v3, 31, v38
	s_delay_alu instid0(VALU_DEP_2) | instskip(NEXT) | instid1(VALU_DEP_3)
	v_add_nc_u32_e32 v4, 1, v2
	v_cmp_le_u32_e32 vcc_lo, s25, v1
	s_delay_alu instid0(VALU_DEP_3) | instskip(NEXT) | instid1(VALU_DEP_3)
	v_xor_b32_e32 v3, s19, v3
	v_cndmask_b32_e32 v1, v2, v4, vcc_lo
	s_delay_alu instid0(VALU_DEP_1) | instskip(NEXT) | instid1(VALU_DEP_1)
	v_xor_b32_e32 v1, v1, v3
	v_sub_nc_u32_e32 v1, v1, v3
	s_delay_alu instid0(VALU_DEP_1) | instskip(SKIP_1) | instid1(VALU_DEP_2)
	v_add_nc_u32_e32 v2, s33, v1
	v_cmp_lt_i32_e64 s0, s5, v1
	v_sub_nc_u32_e32 v3, 0, v2
	s_delay_alu instid0(VALU_DEP_1) | instskip(NEXT) | instid1(VALU_DEP_1)
	v_max_i32_e32 v3, v2, v3
	v_mul_hi_u32 v4, v3, v33
	s_delay_alu instid0(VALU_DEP_1) | instskip(NEXT) | instid1(VALU_DEP_1)
	v_mul_lo_u32 v4, v4, s10
	v_sub_nc_u32_e32 v3, v3, v4
	s_delay_alu instid0(VALU_DEP_1) | instskip(SKIP_1) | instid1(VALU_DEP_2)
	v_subrev_nc_u32_e32 v4, s10, v3
	v_cmp_le_u32_e32 vcc_lo, s10, v3
	v_cndmask_b32_e32 v3, v3, v4, vcc_lo
	v_ashrrev_i32_e32 v2, 31, v2
	s_delay_alu instid0(VALU_DEP_2) | instskip(SKIP_1) | instid1(VALU_DEP_2)
	v_subrev_nc_u32_e32 v4, s10, v3
	v_cmp_le_u32_e32 vcc_lo, s10, v3
	v_cndmask_b32_e32 v3, v3, v4, vcc_lo
	s_delay_alu instid0(VALU_DEP_1) | instskip(NEXT) | instid1(VALU_DEP_1)
	v_xor_b32_e32 v3, v3, v2
	v_sub_nc_u32_e32 v2, v3, v2
	s_delay_alu instid0(VALU_DEP_1) | instskip(SKIP_1) | instid1(SALU_CYCLE_1)
	v_cmp_eq_u32_e32 vcc_lo, 0, v2
	s_or_b32 s0, vcc_lo, s0
	s_and_saveexec_b32 s17, s0
	s_cbranch_execz .LBB210_231
; %bb.233:                              ;   in Loop: Header=BB210_232 Depth=1
	global_load_b32 v1, v[9:10], off
	s_load_b32 s18, s[6:7], 0x0
	v_mov_b32_e32 v15, 0
	s_mov_b32 s0, exec_lo
	s_waitcnt vmcnt(0)
	v_mad_i64_i32 v[11:12], null, v1, s13, v[7:8]
	ds_load_b128 v[1:4], v26
	global_load_b32 v34, v[11:12], off
	s_waitcnt vmcnt(0)
	v_dual_mov_b32 v16, 0 :: v_dual_and_b32 v5, 0xff, v34
	s_delay_alu instid0(VALU_DEP_1) | instskip(NEXT) | instid1(VALU_DEP_2)
	v_dual_mov_b32 v13, v15 :: v_dual_mov_b32 v14, v16
	v_cmpx_ne_u16_e32 0, v5
	s_cbranch_execz .LBB210_241
; %bb.234:                              ;   in Loop: Header=BB210_232 Depth=1
	v_bfrev_b32_e32 v13, 1
	v_mov_b32_e32 v14, 0
	s_mov_b32 s2, exec_lo
	v_cmpx_ne_u16_e32 0x80, v5
	s_cbranch_execz .LBB210_240
; %bb.235:                              ;   in Loop: Header=BB210_232 Depth=1
	v_mov_b32_e32 v13, 0x7f800001
	v_dual_mov_b32 v14, 0 :: v_dual_and_b32 v17, 0x7f, v34
	s_mov_b32 s20, exec_lo
	s_delay_alu instid0(VALU_DEP_1)
	v_cmpx_ne_u32_e32 0x7f, v17
	s_cbranch_execz .LBB210_239
; %bb.236:                              ;   in Loop: Header=BB210_232 Depth=1
	v_and_b32_e32 v5, 7, v34
	v_lshrrev_b32_e32 v13, 3, v17
	s_mov_b32 s21, exec_lo
	v_cmpx_gt_u32_e32 8, v17
; %bb.237:                              ;   in Loop: Header=BB210_232 Depth=1
	s_delay_alu instid0(VALU_DEP_3) | instskip(NEXT) | instid1(VALU_DEP_1)
	v_clz_i32_u32_e32 v13, v5
	v_min_u32_e32 v13, 32, v13
	s_delay_alu instid0(VALU_DEP_1) | instskip(SKIP_1) | instid1(VALU_DEP_2)
	v_subrev_nc_u32_e32 v14, 28, v13
	v_sub_nc_u32_e32 v13, 29, v13
	v_lshlrev_b64 v[17:18], v14, v[5:6]
	s_delay_alu instid0(VALU_DEP_1)
	v_and_b32_e32 v5, 7, v17
; %bb.238:                              ;   in Loop: Header=BB210_232 Depth=1
	s_or_b32 exec_lo, exec_lo, s21
	v_lshlrev_b32_e32 v14, 24, v34
	s_delay_alu instid0(VALU_DEP_2) | instskip(SKIP_1) | instid1(VALU_DEP_3)
	v_lshlrev_b32_e32 v5, 20, v5
	v_lshl_add_u32 v13, v13, 23, 0x3c000000
	v_and_b32_e32 v14, 0x80000000, v14
	s_delay_alu instid0(VALU_DEP_1) | instskip(NEXT) | instid1(VALU_DEP_1)
	v_or3_b32 v5, v5, v14, v13
	v_dual_mov_b32 v14, v6 :: v_dual_mov_b32 v13, v5
.LBB210_239:                            ;   in Loop: Header=BB210_232 Depth=1
	s_or_b32 exec_lo, exec_lo, s20
.LBB210_240:                            ;   in Loop: Header=BB210_232 Depth=1
	s_delay_alu instid0(SALU_CYCLE_1)
	s_or_b32 exec_lo, exec_lo, s2
.LBB210_241:                            ;   in Loop: Header=BB210_232 Depth=1
	s_delay_alu instid0(SALU_CYCLE_1) | instskip(SKIP_2) | instid1(VALU_DEP_1)
	s_or_b32 exec_lo, exec_lo, s0
	v_lshrrev_b16 v5, 8, v34
	s_mov_b32 s0, exec_lo
	v_cmpx_ne_u16_e32 0, v5
	s_cbranch_execz .LBB210_249
; %bb.242:                              ;   in Loop: Header=BB210_232 Depth=1
	v_dual_mov_b32 v16, s9 :: v_dual_mov_b32 v15, s8
	s_mov_b32 s20, exec_lo
	v_cmpx_ne_u16_e32 0x80, v5
	s_cbranch_execz .LBB210_248
; %bb.243:                              ;   in Loop: Header=BB210_232 Depth=1
	s_mov_b32 s2, s8
	v_dual_mov_b32 v16, s3 :: v_dual_and_b32 v5, 0xffff, v5
	v_mov_b32_e32 v15, s2
	s_mov_b32 s2, exec_lo
	s_delay_alu instid0(VALU_DEP_2) | instskip(NEXT) | instid1(VALU_DEP_1)
	v_and_b32_e32 v17, 0x7f, v5
	v_cmpx_ne_u32_e32 0x7f, v17
	s_cbranch_execz .LBB210_247
; %bb.244:                              ;   in Loop: Header=BB210_232 Depth=1
	v_and_b32_e32 v5, 7, v5
	v_lshrrev_b32_e32 v15, 3, v17
	s_mov_b32 s21, exec_lo
	v_cmpx_gt_u32_e32 8, v17
; %bb.245:                              ;   in Loop: Header=BB210_232 Depth=1
	s_delay_alu instid0(VALU_DEP_3) | instskip(NEXT) | instid1(VALU_DEP_1)
	v_clz_i32_u32_e32 v15, v5
	v_min_u32_e32 v15, 32, v15
	s_delay_alu instid0(VALU_DEP_1) | instskip(SKIP_1) | instid1(VALU_DEP_2)
	v_subrev_nc_u32_e32 v16, 28, v15
	v_sub_nc_u32_e32 v15, 29, v15
	v_lshlrev_b64 v[16:17], v16, v[5:6]
	s_delay_alu instid0(VALU_DEP_1)
	v_and_b32_e32 v5, 7, v16
; %bb.246:                              ;   in Loop: Header=BB210_232 Depth=1
	s_or_b32 exec_lo, exec_lo, s21
	v_lshlrev_b32_e32 v16, 16, v34
	s_delay_alu instid0(VALU_DEP_2) | instskip(SKIP_1) | instid1(VALU_DEP_3)
	v_lshlrev_b32_e32 v5, 20, v5
	v_lshl_add_u32 v15, v15, 23, 0x3c000000
	v_and_b32_e32 v16, 0x80000000, v16
	s_delay_alu instid0(VALU_DEP_1)
	v_or3_b32 v16, v5, v16, v15
	v_mov_b32_e32 v15, v6
.LBB210_247:                            ;   in Loop: Header=BB210_232 Depth=1
	s_or_b32 exec_lo, exec_lo, s2
.LBB210_248:                            ;   in Loop: Header=BB210_232 Depth=1
	s_delay_alu instid0(SALU_CYCLE_1)
	s_or_b32 exec_lo, exec_lo, s20
.LBB210_249:                            ;   in Loop: Header=BB210_232 Depth=1
	s_delay_alu instid0(SALU_CYCLE_1) | instskip(SKIP_4) | instid1(VALU_DEP_2)
	s_or_b32 exec_lo, exec_lo, s0
	v_mov_b32_e32 v19, 0
	v_lshrrev_b32_e32 v35, 16, v34
	v_mov_b32_e32 v20, 0
	s_mov_b32 s0, exec_lo
	v_and_b32_e32 v5, 0xff, v35
	s_delay_alu instid0(VALU_DEP_2) | instskip(NEXT) | instid1(VALU_DEP_2)
	v_dual_mov_b32 v17, v19 :: v_dual_mov_b32 v18, v20
	v_cmpx_ne_u16_e32 0, v5
	s_cbranch_execz .LBB210_257
; %bb.250:                              ;   in Loop: Header=BB210_232 Depth=1
	v_bfrev_b32_e32 v17, 1
	v_mov_b32_e32 v18, 0
	s_mov_b32 s2, exec_lo
	v_cmpx_ne_u16_e32 0x80, v5
	s_cbranch_execz .LBB210_256
; %bb.251:                              ;   in Loop: Header=BB210_232 Depth=1
	v_mov_b32_e32 v17, 0x7f800001
	v_bfe_u32 v36, v34, 16, 7
	v_mov_b32_e32 v18, 0
	s_mov_b32 s20, exec_lo
	s_delay_alu instid0(VALU_DEP_2)
	v_cmpx_ne_u32_e32 0x7f, v36
	s_cbranch_execz .LBB210_255
; %bb.252:                              ;   in Loop: Header=BB210_232 Depth=1
	v_and_b32_e32 v5, 7, v35
	v_lshrrev_b32_e32 v17, 3, v36
	s_mov_b32 s21, exec_lo
	v_cmpx_gt_u32_e32 8, v36
; %bb.253:                              ;   in Loop: Header=BB210_232 Depth=1
	s_delay_alu instid0(VALU_DEP_3) | instskip(NEXT) | instid1(VALU_DEP_1)
	v_clz_i32_u32_e32 v17, v5
	v_min_u32_e32 v17, 32, v17
	s_delay_alu instid0(VALU_DEP_1) | instskip(SKIP_1) | instid1(VALU_DEP_2)
	v_subrev_nc_u32_e32 v18, 28, v17
	v_sub_nc_u32_e32 v17, 29, v17
	v_lshlrev_b64 v[39:40], v18, v[5:6]
	s_delay_alu instid0(VALU_DEP_1)
	v_and_b32_e32 v5, 7, v39
; %bb.254:                              ;   in Loop: Header=BB210_232 Depth=1
	s_or_b32 exec_lo, exec_lo, s21
	v_lshlrev_b32_e32 v18, 24, v35
	s_delay_alu instid0(VALU_DEP_2) | instskip(SKIP_1) | instid1(VALU_DEP_3)
	v_lshlrev_b32_e32 v5, 20, v5
	v_lshl_add_u32 v17, v17, 23, 0x3c000000
	v_and_b32_e32 v18, 0x80000000, v18
	s_delay_alu instid0(VALU_DEP_1) | instskip(NEXT) | instid1(VALU_DEP_1)
	v_or3_b32 v5, v5, v18, v17
	v_dual_mov_b32 v18, v6 :: v_dual_mov_b32 v17, v5
.LBB210_255:                            ;   in Loop: Header=BB210_232 Depth=1
	s_or_b32 exec_lo, exec_lo, s20
.LBB210_256:                            ;   in Loop: Header=BB210_232 Depth=1
	s_delay_alu instid0(SALU_CYCLE_1)
	s_or_b32 exec_lo, exec_lo, s2
.LBB210_257:                            ;   in Loop: Header=BB210_232 Depth=1
	s_delay_alu instid0(SALU_CYCLE_1) | instskip(NEXT) | instid1(SALU_CYCLE_1)
	s_or_b32 exec_lo, exec_lo, s0
	s_mov_b32 s0, exec_lo
	v_cmpx_lt_u32_e32 0xffffff, v34
	s_cbranch_execz .LBB210_265
; %bb.258:                              ;   in Loop: Header=BB210_232 Depth=1
	v_lshrrev_b32_e32 v35, 24, v34
	v_dual_mov_b32 v20, s9 :: v_dual_mov_b32 v19, s8
	s_mov_b32 s20, exec_lo
	s_delay_alu instid0(VALU_DEP_2)
	v_cmpx_ne_u32_e32 0x80, v35
	s_cbranch_execz .LBB210_264
; %bb.259:                              ;   in Loop: Header=BB210_232 Depth=1
	s_mov_b32 s2, s8
	v_bfe_u32 v34, v34, 24, 7
	v_dual_mov_b32 v20, s3 :: v_dual_mov_b32 v19, s2
	s_mov_b32 s2, exec_lo
	s_delay_alu instid0(VALU_DEP_2)
	v_cmpx_ne_u32_e32 0x7f, v34
	s_cbranch_execz .LBB210_263
; %bb.260:                              ;   in Loop: Header=BB210_232 Depth=1
	v_and_b32_e32 v5, 7, v35
	v_lshrrev_b32_e32 v19, 3, v34
	s_mov_b32 s21, exec_lo
	v_cmpx_gt_u32_e32 8, v34
; %bb.261:                              ;   in Loop: Header=BB210_232 Depth=1
	s_delay_alu instid0(VALU_DEP_3) | instskip(NEXT) | instid1(VALU_DEP_1)
	v_clz_i32_u32_e32 v19, v5
	v_min_u32_e32 v19, 32, v19
	s_delay_alu instid0(VALU_DEP_1) | instskip(SKIP_1) | instid1(VALU_DEP_2)
	v_subrev_nc_u32_e32 v20, 28, v19
	v_sub_nc_u32_e32 v19, 29, v19
	v_lshlrev_b64 v[39:40], v20, v[5:6]
	s_delay_alu instid0(VALU_DEP_1)
	v_and_b32_e32 v5, 7, v39
; %bb.262:                              ;   in Loop: Header=BB210_232 Depth=1
	s_or_b32 exec_lo, exec_lo, s21
	v_lshlrev_b32_e32 v20, 24, v35
	s_delay_alu instid0(VALU_DEP_2) | instskip(SKIP_1) | instid1(VALU_DEP_3)
	v_lshlrev_b32_e32 v5, 20, v5
	v_lshl_add_u32 v19, v19, 23, 0x3c000000
	v_and_b32_e32 v20, 0x80000000, v20
	s_delay_alu instid0(VALU_DEP_1)
	v_or3_b32 v20, v5, v20, v19
	v_mov_b32_e32 v19, v6
.LBB210_263:                            ;   in Loop: Header=BB210_232 Depth=1
	s_or_b32 exec_lo, exec_lo, s2
.LBB210_264:                            ;   in Loop: Header=BB210_232 Depth=1
	s_delay_alu instid0(SALU_CYCLE_1)
	s_or_b32 exec_lo, exec_lo, s20
.LBB210_265:                            ;   in Loop: Header=BB210_232 Depth=1
	s_delay_alu instid0(SALU_CYCLE_1)
	s_or_b32 exec_lo, exec_lo, s0
	v_or_b32_e32 v5, v16, v14
	v_add_nc_u32_e32 v40, v32, v38
	v_or_b32_e32 v13, v15, v13
	v_or_b32_e32 v14, v20, v18
	;; [unrolled: 1-line block ×3, first 2 shown]
	s_waitcnt lgkmcnt(0)
	v_mul_f32_e32 v39, s18, v5
	v_cmp_eq_u32_e32 vcc_lo, s38, v25
	v_mul_f32_e32 v36, s18, v13
	v_dual_mul_f32 v34, s18, v14 :: v_dual_add_nc_u32 v43, 1, v40
	v_dual_mul_f32 v35, s18, v15 :: v_dual_add_nc_u32 v42, 2, v40
	v_add_nc_u32_e32 v41, 3, v40
	s_and_saveexec_b32 s2, vcc_lo
; %bb.266:                              ;   in Loop: Header=BB210_232 Depth=1
	v_cmp_gt_i32_e64 s0, s15, v40
	s_delay_alu instid0(VALU_DEP_1) | instskip(SKIP_1) | instid1(VALU_DEP_1)
	v_cndmask_b32_e64 v36, 0, v36, s0
	v_cmp_gt_i32_e64 s0, s15, v43
	v_cndmask_b32_e64 v39, 0, v39, s0
	v_cmp_gt_i32_e64 s0, s15, v42
	s_delay_alu instid0(VALU_DEP_1) | instskip(SKIP_1) | instid1(VALU_DEP_1)
	v_cndmask_b32_e64 v35, 0, v35, s0
	v_cmp_gt_i32_e64 s0, s15, v41
	v_cndmask_b32_e64 v34, 0, v34, s0
; %bb.267:                              ;   in Loop: Header=BB210_232 Depth=1
	s_or_b32 exec_lo, exec_lo, s2
	global_load_b32 v44, v[11:12], off offset:128
	v_mov_b32_e32 v15, 0
	v_mov_b32_e32 v16, 0
	s_mov_b32 s2, exec_lo
	s_waitcnt vmcnt(0)
	v_and_b32_e32 v5, 0xff, v44
	s_delay_alu instid0(VALU_DEP_2) | instskip(NEXT) | instid1(VALU_DEP_2)
	v_dual_mov_b32 v13, v15 :: v_dual_mov_b32 v14, v16
	v_cmpx_ne_u16_e32 0, v5
	s_cbranch_execz .LBB210_275
; %bb.268:                              ;   in Loop: Header=BB210_232 Depth=1
	v_bfrev_b32_e32 v13, 1
	v_mov_b32_e32 v14, 0
	s_mov_b32 s20, exec_lo
	v_cmpx_ne_u16_e32 0x80, v5
	s_cbranch_execz .LBB210_274
; %bb.269:                              ;   in Loop: Header=BB210_232 Depth=1
	v_mov_b32_e32 v13, 0x7f800001
	v_dual_mov_b32 v14, 0 :: v_dual_and_b32 v17, 0x7f, v44
	s_mov_b32 s21, exec_lo
	s_delay_alu instid0(VALU_DEP_1)
	v_cmpx_ne_u32_e32 0x7f, v17
	s_cbranch_execz .LBB210_273
; %bb.270:                              ;   in Loop: Header=BB210_232 Depth=1
	v_and_b32_e32 v5, 7, v44
	v_lshrrev_b32_e32 v13, 3, v17
	s_mov_b32 s22, exec_lo
	v_cmpx_gt_u32_e32 8, v17
; %bb.271:                              ;   in Loop: Header=BB210_232 Depth=1
	s_delay_alu instid0(VALU_DEP_3) | instskip(NEXT) | instid1(VALU_DEP_1)
	v_clz_i32_u32_e32 v13, v5
	v_min_u32_e32 v13, 32, v13
	s_delay_alu instid0(VALU_DEP_1) | instskip(SKIP_1) | instid1(VALU_DEP_2)
	v_subrev_nc_u32_e32 v14, 28, v13
	v_sub_nc_u32_e32 v13, 29, v13
	v_lshlrev_b64 v[17:18], v14, v[5:6]
	s_delay_alu instid0(VALU_DEP_1)
	v_and_b32_e32 v5, 7, v17
; %bb.272:                              ;   in Loop: Header=BB210_232 Depth=1
	s_or_b32 exec_lo, exec_lo, s22
	v_lshlrev_b32_e32 v14, 24, v44
	s_delay_alu instid0(VALU_DEP_2) | instskip(SKIP_1) | instid1(VALU_DEP_3)
	v_lshlrev_b32_e32 v5, 20, v5
	v_lshl_add_u32 v13, v13, 23, 0x3c000000
	v_and_b32_e32 v14, 0x80000000, v14
	s_delay_alu instid0(VALU_DEP_1) | instskip(NEXT) | instid1(VALU_DEP_1)
	v_or3_b32 v5, v5, v14, v13
	v_dual_mov_b32 v14, v6 :: v_dual_mov_b32 v13, v5
.LBB210_273:                            ;   in Loop: Header=BB210_232 Depth=1
	s_or_b32 exec_lo, exec_lo, s21
.LBB210_274:                            ;   in Loop: Header=BB210_232 Depth=1
	s_delay_alu instid0(SALU_CYCLE_1)
	s_or_b32 exec_lo, exec_lo, s20
.LBB210_275:                            ;   in Loop: Header=BB210_232 Depth=1
	s_delay_alu instid0(SALU_CYCLE_1) | instskip(SKIP_2) | instid1(VALU_DEP_1)
	s_or_b32 exec_lo, exec_lo, s2
	v_lshrrev_b16 v5, 8, v44
	s_mov_b32 s20, exec_lo
	v_cmpx_ne_u16_e32 0, v5
	s_cbranch_execz .LBB210_283
; %bb.276:                              ;   in Loop: Header=BB210_232 Depth=1
	v_dual_mov_b32 v16, s9 :: v_dual_mov_b32 v15, s8
	s_mov_b32 s21, exec_lo
	v_cmpx_ne_u16_e32 0x80, v5
	s_cbranch_execz .LBB210_282
; %bb.277:                              ;   in Loop: Header=BB210_232 Depth=1
	s_mov_b32 s2, s8
	v_dual_mov_b32 v16, s3 :: v_dual_and_b32 v5, 0xffff, v5
	v_mov_b32_e32 v15, s2
	s_mov_b32 s2, exec_lo
	s_delay_alu instid0(VALU_DEP_2) | instskip(NEXT) | instid1(VALU_DEP_1)
	v_and_b32_e32 v17, 0x7f, v5
	v_cmpx_ne_u32_e32 0x7f, v17
	s_cbranch_execz .LBB210_281
; %bb.278:                              ;   in Loop: Header=BB210_232 Depth=1
	v_and_b32_e32 v5, 7, v5
	v_lshrrev_b32_e32 v15, 3, v17
	s_mov_b32 s22, exec_lo
	v_cmpx_gt_u32_e32 8, v17
; %bb.279:                              ;   in Loop: Header=BB210_232 Depth=1
	s_delay_alu instid0(VALU_DEP_3) | instskip(NEXT) | instid1(VALU_DEP_1)
	v_clz_i32_u32_e32 v15, v5
	v_min_u32_e32 v15, 32, v15
	s_delay_alu instid0(VALU_DEP_1) | instskip(SKIP_1) | instid1(VALU_DEP_2)
	v_subrev_nc_u32_e32 v16, 28, v15
	v_sub_nc_u32_e32 v15, 29, v15
	v_lshlrev_b64 v[16:17], v16, v[5:6]
	s_delay_alu instid0(VALU_DEP_1)
	v_and_b32_e32 v5, 7, v16
; %bb.280:                              ;   in Loop: Header=BB210_232 Depth=1
	s_or_b32 exec_lo, exec_lo, s22
	v_lshlrev_b32_e32 v16, 16, v44
	s_delay_alu instid0(VALU_DEP_2) | instskip(SKIP_1) | instid1(VALU_DEP_3)
	v_lshlrev_b32_e32 v5, 20, v5
	v_lshl_add_u32 v15, v15, 23, 0x3c000000
	v_and_b32_e32 v16, 0x80000000, v16
	s_delay_alu instid0(VALU_DEP_1)
	v_or3_b32 v16, v5, v16, v15
	v_mov_b32_e32 v15, v6
.LBB210_281:                            ;   in Loop: Header=BB210_232 Depth=1
	s_or_b32 exec_lo, exec_lo, s2
.LBB210_282:                            ;   in Loop: Header=BB210_232 Depth=1
	s_delay_alu instid0(SALU_CYCLE_1)
	s_or_b32 exec_lo, exec_lo, s21
.LBB210_283:                            ;   in Loop: Header=BB210_232 Depth=1
	s_delay_alu instid0(SALU_CYCLE_1) | instskip(SKIP_4) | instid1(VALU_DEP_2)
	s_or_b32 exec_lo, exec_lo, s20
	v_mov_b32_e32 v19, 0
	v_lshrrev_b32_e32 v45, 16, v44
	v_mov_b32_e32 v20, 0
	s_mov_b32 s2, exec_lo
	v_and_b32_e32 v5, 0xff, v45
	s_delay_alu instid0(VALU_DEP_2) | instskip(NEXT) | instid1(VALU_DEP_2)
	v_dual_mov_b32 v17, v19 :: v_dual_mov_b32 v18, v20
	v_cmpx_ne_u16_e32 0, v5
	s_cbranch_execz .LBB210_291
; %bb.284:                              ;   in Loop: Header=BB210_232 Depth=1
	v_bfrev_b32_e32 v17, 1
	v_mov_b32_e32 v18, 0
	s_mov_b32 s20, exec_lo
	v_cmpx_ne_u16_e32 0x80, v5
	s_cbranch_execz .LBB210_290
; %bb.285:                              ;   in Loop: Header=BB210_232 Depth=1
	v_mov_b32_e32 v17, 0x7f800001
	v_bfe_u32 v46, v44, 16, 7
	v_mov_b32_e32 v18, 0
	s_mov_b32 s21, exec_lo
	s_delay_alu instid0(VALU_DEP_2)
	v_cmpx_ne_u32_e32 0x7f, v46
	s_cbranch_execz .LBB210_289
; %bb.286:                              ;   in Loop: Header=BB210_232 Depth=1
	v_and_b32_e32 v5, 7, v45
	v_lshrrev_b32_e32 v17, 3, v46
	s_mov_b32 s22, exec_lo
	v_cmpx_gt_u32_e32 8, v46
; %bb.287:                              ;   in Loop: Header=BB210_232 Depth=1
	s_delay_alu instid0(VALU_DEP_3) | instskip(NEXT) | instid1(VALU_DEP_1)
	v_clz_i32_u32_e32 v17, v5
	v_min_u32_e32 v17, 32, v17
	s_delay_alu instid0(VALU_DEP_1) | instskip(SKIP_1) | instid1(VALU_DEP_2)
	v_subrev_nc_u32_e32 v18, 28, v17
	v_sub_nc_u32_e32 v17, 29, v17
	v_lshlrev_b64 v[46:47], v18, v[5:6]
	s_delay_alu instid0(VALU_DEP_1)
	v_and_b32_e32 v5, 7, v46
; %bb.288:                              ;   in Loop: Header=BB210_232 Depth=1
	s_or_b32 exec_lo, exec_lo, s22
	v_lshlrev_b32_e32 v18, 24, v45
	s_delay_alu instid0(VALU_DEP_2) | instskip(SKIP_1) | instid1(VALU_DEP_3)
	v_lshlrev_b32_e32 v5, 20, v5
	v_lshl_add_u32 v17, v17, 23, 0x3c000000
	v_and_b32_e32 v18, 0x80000000, v18
	s_delay_alu instid0(VALU_DEP_1) | instskip(NEXT) | instid1(VALU_DEP_1)
	v_or3_b32 v5, v5, v18, v17
	v_dual_mov_b32 v18, v6 :: v_dual_mov_b32 v17, v5
.LBB210_289:                            ;   in Loop: Header=BB210_232 Depth=1
	s_or_b32 exec_lo, exec_lo, s21
.LBB210_290:                            ;   in Loop: Header=BB210_232 Depth=1
	s_delay_alu instid0(SALU_CYCLE_1)
	s_or_b32 exec_lo, exec_lo, s20
.LBB210_291:                            ;   in Loop: Header=BB210_232 Depth=1
	s_delay_alu instid0(SALU_CYCLE_1) | instskip(NEXT) | instid1(SALU_CYCLE_1)
	s_or_b32 exec_lo, exec_lo, s2
	s_mov_b32 s20, exec_lo
	v_cmpx_lt_u32_e32 0xffffff, v44
	s_cbranch_execz .LBB210_299
; %bb.292:                              ;   in Loop: Header=BB210_232 Depth=1
	v_lshrrev_b32_e32 v45, 24, v44
	v_dual_mov_b32 v20, s9 :: v_dual_mov_b32 v19, s8
	s_mov_b32 s21, exec_lo
	s_delay_alu instid0(VALU_DEP_2)
	v_cmpx_ne_u32_e32 0x80, v45
	s_cbranch_execz .LBB210_298
; %bb.293:                              ;   in Loop: Header=BB210_232 Depth=1
	s_mov_b32 s2, s8
	v_bfe_u32 v44, v44, 24, 7
	v_dual_mov_b32 v20, s3 :: v_dual_mov_b32 v19, s2
	s_mov_b32 s2, exec_lo
	s_delay_alu instid0(VALU_DEP_2)
	v_cmpx_ne_u32_e32 0x7f, v44
	s_cbranch_execz .LBB210_297
; %bb.294:                              ;   in Loop: Header=BB210_232 Depth=1
	v_and_b32_e32 v5, 7, v45
	v_lshrrev_b32_e32 v19, 3, v44
	s_mov_b32 s22, exec_lo
	v_cmpx_gt_u32_e32 8, v44
; %bb.295:                              ;   in Loop: Header=BB210_232 Depth=1
	s_delay_alu instid0(VALU_DEP_3) | instskip(NEXT) | instid1(VALU_DEP_1)
	v_clz_i32_u32_e32 v19, v5
	v_min_u32_e32 v19, 32, v19
	s_delay_alu instid0(VALU_DEP_1) | instskip(SKIP_1) | instid1(VALU_DEP_2)
	v_subrev_nc_u32_e32 v20, 28, v19
	v_sub_nc_u32_e32 v19, 29, v19
	v_lshlrev_b64 v[46:47], v20, v[5:6]
	s_delay_alu instid0(VALU_DEP_1)
	v_and_b32_e32 v5, 7, v46
; %bb.296:                              ;   in Loop: Header=BB210_232 Depth=1
	s_or_b32 exec_lo, exec_lo, s22
	v_lshlrev_b32_e32 v20, 24, v45
	s_delay_alu instid0(VALU_DEP_2) | instskip(SKIP_1) | instid1(VALU_DEP_3)
	v_lshlrev_b32_e32 v5, 20, v5
	v_lshl_add_u32 v19, v19, 23, 0x3c000000
	v_and_b32_e32 v20, 0x80000000, v20
	s_delay_alu instid0(VALU_DEP_1)
	v_or3_b32 v20, v5, v20, v19
	v_mov_b32_e32 v19, v6
.LBB210_297:                            ;   in Loop: Header=BB210_232 Depth=1
	s_or_b32 exec_lo, exec_lo, s2
.LBB210_298:                            ;   in Loop: Header=BB210_232 Depth=1
	s_delay_alu instid0(SALU_CYCLE_1)
	s_or_b32 exec_lo, exec_lo, s21
.LBB210_299:                            ;   in Loop: Header=BB210_232 Depth=1
	s_delay_alu instid0(SALU_CYCLE_1)
	s_or_b32 exec_lo, exec_lo, s20
	v_or_b32_e32 v5, v16, v14
	v_or_b32_e32 v13, v15, v13
	v_or_b32_e32 v14, v20, v18
	v_or_b32_e32 v15, v19, v17
	s_mov_b32 s20, s18
	s_delay_alu instid0(VALU_DEP_2) | instid1(SALU_CYCLE_1)
	v_dual_mul_f32 v47, s20, v5 :: v_dual_mul_f32 v44, s20, v14
	s_delay_alu instid0(VALU_DEP_2)
	v_dual_mul_f32 v46, s18, v13 :: v_dual_mul_f32 v45, s18, v15
	s_and_saveexec_b32 s2, vcc_lo
; %bb.300:                              ;   in Loop: Header=BB210_232 Depth=1
	v_cmp_gt_i32_e64 s0, s15, v40
	s_delay_alu instid0(VALU_DEP_1) | instskip(SKIP_1) | instid1(VALU_DEP_1)
	v_cndmask_b32_e64 v46, 0, v46, s0
	v_cmp_gt_i32_e64 s0, s15, v43
	v_cndmask_b32_e64 v47, 0, v47, s0
	v_cmp_gt_i32_e64 s0, s15, v42
	s_delay_alu instid0(VALU_DEP_1) | instskip(SKIP_1) | instid1(VALU_DEP_1)
	v_cndmask_b32_e64 v45, 0, v45, s0
	v_cmp_gt_i32_e64 s0, s15, v41
	v_cndmask_b32_e64 v44, 0, v44, s0
; %bb.301:                              ;   in Loop: Header=BB210_232 Depth=1
	s_or_b32 exec_lo, exec_lo, s2
	global_load_b32 v48, v[11:12], off offset:256
	v_mov_b32_e32 v15, 0
	v_mov_b32_e32 v16, 0
	s_mov_b32 s2, exec_lo
	s_waitcnt vmcnt(0)
	v_and_b32_e32 v5, 0xff, v48
	s_delay_alu instid0(VALU_DEP_2) | instskip(NEXT) | instid1(VALU_DEP_2)
	v_dual_mov_b32 v13, v15 :: v_dual_mov_b32 v14, v16
	v_cmpx_ne_u16_e32 0, v5
	s_cbranch_execz .LBB210_309
; %bb.302:                              ;   in Loop: Header=BB210_232 Depth=1
	v_bfrev_b32_e32 v13, 1
	v_mov_b32_e32 v14, 0
	s_mov_b32 s21, exec_lo
	v_cmpx_ne_u16_e32 0x80, v5
	s_cbranch_execz .LBB210_308
; %bb.303:                              ;   in Loop: Header=BB210_232 Depth=1
	v_mov_b32_e32 v13, 0x7f800001
	v_dual_mov_b32 v14, 0 :: v_dual_and_b32 v17, 0x7f, v48
	s_mov_b32 s22, exec_lo
	s_delay_alu instid0(VALU_DEP_1)
	v_cmpx_ne_u32_e32 0x7f, v17
	s_cbranch_execz .LBB210_307
; %bb.304:                              ;   in Loop: Header=BB210_232 Depth=1
	v_and_b32_e32 v5, 7, v48
	v_lshrrev_b32_e32 v13, 3, v17
	s_mov_b32 s23, exec_lo
	v_cmpx_gt_u32_e32 8, v17
; %bb.305:                              ;   in Loop: Header=BB210_232 Depth=1
	s_delay_alu instid0(VALU_DEP_3) | instskip(NEXT) | instid1(VALU_DEP_1)
	v_clz_i32_u32_e32 v13, v5
	v_min_u32_e32 v13, 32, v13
	s_delay_alu instid0(VALU_DEP_1) | instskip(SKIP_1) | instid1(VALU_DEP_2)
	v_subrev_nc_u32_e32 v14, 28, v13
	v_sub_nc_u32_e32 v13, 29, v13
	v_lshlrev_b64 v[17:18], v14, v[5:6]
	s_delay_alu instid0(VALU_DEP_1)
	v_and_b32_e32 v5, 7, v17
; %bb.306:                              ;   in Loop: Header=BB210_232 Depth=1
	s_or_b32 exec_lo, exec_lo, s23
	v_lshlrev_b32_e32 v14, 24, v48
	s_delay_alu instid0(VALU_DEP_2) | instskip(SKIP_1) | instid1(VALU_DEP_3)
	v_lshlrev_b32_e32 v5, 20, v5
	v_lshl_add_u32 v13, v13, 23, 0x3c000000
	v_and_b32_e32 v14, 0x80000000, v14
	s_delay_alu instid0(VALU_DEP_1) | instskip(NEXT) | instid1(VALU_DEP_1)
	v_or3_b32 v5, v5, v14, v13
	v_dual_mov_b32 v14, v6 :: v_dual_mov_b32 v13, v5
.LBB210_307:                            ;   in Loop: Header=BB210_232 Depth=1
	s_or_b32 exec_lo, exec_lo, s22
.LBB210_308:                            ;   in Loop: Header=BB210_232 Depth=1
	s_delay_alu instid0(SALU_CYCLE_1)
	s_or_b32 exec_lo, exec_lo, s21
.LBB210_309:                            ;   in Loop: Header=BB210_232 Depth=1
	s_delay_alu instid0(SALU_CYCLE_1) | instskip(SKIP_2) | instid1(VALU_DEP_1)
	s_or_b32 exec_lo, exec_lo, s2
	v_lshrrev_b16 v5, 8, v48
	s_mov_b32 s21, exec_lo
	v_cmpx_ne_u16_e32 0, v5
	s_cbranch_execz .LBB210_317
; %bb.310:                              ;   in Loop: Header=BB210_232 Depth=1
	v_dual_mov_b32 v16, s9 :: v_dual_mov_b32 v15, s8
	s_mov_b32 s22, exec_lo
	v_cmpx_ne_u16_e32 0x80, v5
	s_cbranch_execz .LBB210_316
; %bb.311:                              ;   in Loop: Header=BB210_232 Depth=1
	s_mov_b32 s2, s8
	v_dual_mov_b32 v16, s3 :: v_dual_and_b32 v5, 0xffff, v5
	v_mov_b32_e32 v15, s2
	s_mov_b32 s2, exec_lo
	s_delay_alu instid0(VALU_DEP_2) | instskip(NEXT) | instid1(VALU_DEP_1)
	v_and_b32_e32 v17, 0x7f, v5
	v_cmpx_ne_u32_e32 0x7f, v17
	s_cbranch_execz .LBB210_315
; %bb.312:                              ;   in Loop: Header=BB210_232 Depth=1
	v_and_b32_e32 v5, 7, v5
	v_lshrrev_b32_e32 v15, 3, v17
	s_mov_b32 s23, exec_lo
	v_cmpx_gt_u32_e32 8, v17
; %bb.313:                              ;   in Loop: Header=BB210_232 Depth=1
	s_delay_alu instid0(VALU_DEP_3) | instskip(NEXT) | instid1(VALU_DEP_1)
	v_clz_i32_u32_e32 v15, v5
	v_min_u32_e32 v15, 32, v15
	s_delay_alu instid0(VALU_DEP_1) | instskip(SKIP_1) | instid1(VALU_DEP_2)
	v_subrev_nc_u32_e32 v16, 28, v15
	v_sub_nc_u32_e32 v15, 29, v15
	v_lshlrev_b64 v[16:17], v16, v[5:6]
	s_delay_alu instid0(VALU_DEP_1)
	v_and_b32_e32 v5, 7, v16
; %bb.314:                              ;   in Loop: Header=BB210_232 Depth=1
	s_or_b32 exec_lo, exec_lo, s23
	v_lshlrev_b32_e32 v16, 16, v48
	s_delay_alu instid0(VALU_DEP_2) | instskip(SKIP_1) | instid1(VALU_DEP_3)
	v_lshlrev_b32_e32 v5, 20, v5
	v_lshl_add_u32 v15, v15, 23, 0x3c000000
	v_and_b32_e32 v16, 0x80000000, v16
	s_delay_alu instid0(VALU_DEP_1)
	v_or3_b32 v16, v5, v16, v15
	v_mov_b32_e32 v15, v6
.LBB210_315:                            ;   in Loop: Header=BB210_232 Depth=1
	s_or_b32 exec_lo, exec_lo, s2
.LBB210_316:                            ;   in Loop: Header=BB210_232 Depth=1
	s_delay_alu instid0(SALU_CYCLE_1)
	s_or_b32 exec_lo, exec_lo, s22
.LBB210_317:                            ;   in Loop: Header=BB210_232 Depth=1
	s_delay_alu instid0(SALU_CYCLE_1) | instskip(SKIP_4) | instid1(VALU_DEP_2)
	s_or_b32 exec_lo, exec_lo, s21
	v_mov_b32_e32 v19, 0
	v_lshrrev_b32_e32 v49, 16, v48
	v_mov_b32_e32 v20, 0
	s_mov_b32 s2, exec_lo
	v_and_b32_e32 v5, 0xff, v49
	s_delay_alu instid0(VALU_DEP_2) | instskip(NEXT) | instid1(VALU_DEP_2)
	v_dual_mov_b32 v17, v19 :: v_dual_mov_b32 v18, v20
	v_cmpx_ne_u16_e32 0, v5
	s_cbranch_execz .LBB210_325
; %bb.318:                              ;   in Loop: Header=BB210_232 Depth=1
	v_bfrev_b32_e32 v17, 1
	v_mov_b32_e32 v18, 0
	s_mov_b32 s21, exec_lo
	v_cmpx_ne_u16_e32 0x80, v5
	s_cbranch_execz .LBB210_324
; %bb.319:                              ;   in Loop: Header=BB210_232 Depth=1
	v_mov_b32_e32 v17, 0x7f800001
	v_bfe_u32 v50, v48, 16, 7
	v_mov_b32_e32 v18, 0
	s_mov_b32 s22, exec_lo
	s_delay_alu instid0(VALU_DEP_2)
	v_cmpx_ne_u32_e32 0x7f, v50
	s_cbranch_execz .LBB210_323
; %bb.320:                              ;   in Loop: Header=BB210_232 Depth=1
	v_and_b32_e32 v5, 7, v49
	v_lshrrev_b32_e32 v17, 3, v50
	s_mov_b32 s23, exec_lo
	v_cmpx_gt_u32_e32 8, v50
; %bb.321:                              ;   in Loop: Header=BB210_232 Depth=1
	s_delay_alu instid0(VALU_DEP_3) | instskip(NEXT) | instid1(VALU_DEP_1)
	v_clz_i32_u32_e32 v17, v5
	v_min_u32_e32 v17, 32, v17
	s_delay_alu instid0(VALU_DEP_1) | instskip(SKIP_1) | instid1(VALU_DEP_2)
	v_subrev_nc_u32_e32 v18, 28, v17
	v_sub_nc_u32_e32 v17, 29, v17
	v_lshlrev_b64 v[50:51], v18, v[5:6]
	s_delay_alu instid0(VALU_DEP_1)
	v_and_b32_e32 v5, 7, v50
; %bb.322:                              ;   in Loop: Header=BB210_232 Depth=1
	s_or_b32 exec_lo, exec_lo, s23
	v_lshlrev_b32_e32 v18, 24, v49
	s_delay_alu instid0(VALU_DEP_2) | instskip(SKIP_1) | instid1(VALU_DEP_3)
	v_lshlrev_b32_e32 v5, 20, v5
	v_lshl_add_u32 v17, v17, 23, 0x3c000000
	v_and_b32_e32 v18, 0x80000000, v18
	s_delay_alu instid0(VALU_DEP_1) | instskip(NEXT) | instid1(VALU_DEP_1)
	v_or3_b32 v5, v5, v18, v17
	v_dual_mov_b32 v18, v6 :: v_dual_mov_b32 v17, v5
.LBB210_323:                            ;   in Loop: Header=BB210_232 Depth=1
	s_or_b32 exec_lo, exec_lo, s22
.LBB210_324:                            ;   in Loop: Header=BB210_232 Depth=1
	s_delay_alu instid0(SALU_CYCLE_1)
	s_or_b32 exec_lo, exec_lo, s21
.LBB210_325:                            ;   in Loop: Header=BB210_232 Depth=1
	s_delay_alu instid0(SALU_CYCLE_1) | instskip(NEXT) | instid1(SALU_CYCLE_1)
	s_or_b32 exec_lo, exec_lo, s2
	s_mov_b32 s21, exec_lo
	v_cmpx_lt_u32_e32 0xffffff, v48
	s_cbranch_execz .LBB210_333
; %bb.326:                              ;   in Loop: Header=BB210_232 Depth=1
	v_lshrrev_b32_e32 v49, 24, v48
	v_dual_mov_b32 v20, s9 :: v_dual_mov_b32 v19, s8
	s_mov_b32 s22, exec_lo
	s_delay_alu instid0(VALU_DEP_2)
	v_cmpx_ne_u32_e32 0x80, v49
	s_cbranch_execz .LBB210_332
; %bb.327:                              ;   in Loop: Header=BB210_232 Depth=1
	s_mov_b32 s2, s8
	v_bfe_u32 v48, v48, 24, 7
	v_dual_mov_b32 v20, s3 :: v_dual_mov_b32 v19, s2
	s_mov_b32 s2, exec_lo
	s_delay_alu instid0(VALU_DEP_2)
	v_cmpx_ne_u32_e32 0x7f, v48
	s_cbranch_execz .LBB210_331
; %bb.328:                              ;   in Loop: Header=BB210_232 Depth=1
	v_and_b32_e32 v5, 7, v49
	v_lshrrev_b32_e32 v19, 3, v48
	s_mov_b32 s23, exec_lo
	v_cmpx_gt_u32_e32 8, v48
; %bb.329:                              ;   in Loop: Header=BB210_232 Depth=1
	s_delay_alu instid0(VALU_DEP_3) | instskip(NEXT) | instid1(VALU_DEP_1)
	v_clz_i32_u32_e32 v19, v5
	v_min_u32_e32 v19, 32, v19
	s_delay_alu instid0(VALU_DEP_1) | instskip(SKIP_1) | instid1(VALU_DEP_2)
	v_subrev_nc_u32_e32 v20, 28, v19
	v_sub_nc_u32_e32 v19, 29, v19
	v_lshlrev_b64 v[50:51], v20, v[5:6]
	s_delay_alu instid0(VALU_DEP_1)
	v_and_b32_e32 v5, 7, v50
; %bb.330:                              ;   in Loop: Header=BB210_232 Depth=1
	s_or_b32 exec_lo, exec_lo, s23
	v_lshlrev_b32_e32 v20, 24, v49
	s_delay_alu instid0(VALU_DEP_2) | instskip(SKIP_1) | instid1(VALU_DEP_3)
	v_lshlrev_b32_e32 v5, 20, v5
	v_lshl_add_u32 v19, v19, 23, 0x3c000000
	v_and_b32_e32 v20, 0x80000000, v20
	s_delay_alu instid0(VALU_DEP_1)
	v_or3_b32 v20, v5, v20, v19
	v_mov_b32_e32 v19, v6
.LBB210_331:                            ;   in Loop: Header=BB210_232 Depth=1
	s_or_b32 exec_lo, exec_lo, s2
.LBB210_332:                            ;   in Loop: Header=BB210_232 Depth=1
	s_delay_alu instid0(SALU_CYCLE_1)
	s_or_b32 exec_lo, exec_lo, s22
.LBB210_333:                            ;   in Loop: Header=BB210_232 Depth=1
	s_delay_alu instid0(SALU_CYCLE_1) | instskip(SKIP_4) | instid1(VALU_DEP_4)
	s_or_b32 exec_lo, exec_lo, s21
	v_or_b32_e32 v5, v16, v14
	v_or_b32_e32 v13, v15, v13
	;; [unrolled: 1-line block ×4, first 2 shown]
	v_mul_f32_e32 v51, s20, v5
	s_delay_alu instid0(VALU_DEP_4) | instskip(NEXT) | instid1(VALU_DEP_3)
	v_mul_f32_e32 v50, s18, v13
	v_dual_mul_f32 v48, s20, v14 :: v_dual_mul_f32 v49, s18, v15
	s_and_saveexec_b32 s2, vcc_lo
; %bb.334:                              ;   in Loop: Header=BB210_232 Depth=1
	v_cmp_gt_i32_e64 s0, s15, v40
	s_delay_alu instid0(VALU_DEP_1) | instskip(SKIP_1) | instid1(VALU_DEP_1)
	v_cndmask_b32_e64 v50, 0, v50, s0
	v_cmp_gt_i32_e64 s0, s15, v43
	v_cndmask_b32_e64 v51, 0, v51, s0
	v_cmp_gt_i32_e64 s0, s15, v42
	s_delay_alu instid0(VALU_DEP_1) | instskip(SKIP_1) | instid1(VALU_DEP_1)
	v_cndmask_b32_e64 v49, 0, v49, s0
	v_cmp_gt_i32_e64 s0, s15, v41
	v_cndmask_b32_e64 v48, 0, v48, s0
; %bb.335:                              ;   in Loop: Header=BB210_232 Depth=1
	s_or_b32 exec_lo, exec_lo, s2
	global_load_b32 v52, v[11:12], off offset:384
	v_mov_b32_e32 v15, 0
	v_mov_b32_e32 v16, 0
	s_mov_b32 s2, exec_lo
	s_waitcnt vmcnt(0)
	v_and_b32_e32 v5, 0xff, v52
	s_delay_alu instid0(VALU_DEP_2) | instskip(NEXT) | instid1(VALU_DEP_2)
	v_dual_mov_b32 v13, v15 :: v_dual_mov_b32 v14, v16
	v_cmpx_ne_u16_e32 0, v5
	s_cbranch_execz .LBB210_343
; %bb.336:                              ;   in Loop: Header=BB210_232 Depth=1
	v_bfrev_b32_e32 v13, 1
	v_mov_b32_e32 v14, 0
	s_mov_b32 s21, exec_lo
	v_cmpx_ne_u16_e32 0x80, v5
	s_cbranch_execz .LBB210_342
; %bb.337:                              ;   in Loop: Header=BB210_232 Depth=1
	v_mov_b32_e32 v13, 0x7f800001
	v_dual_mov_b32 v14, 0 :: v_dual_and_b32 v17, 0x7f, v52
	s_mov_b32 s22, exec_lo
	s_delay_alu instid0(VALU_DEP_1)
	v_cmpx_ne_u32_e32 0x7f, v17
	s_cbranch_execz .LBB210_341
; %bb.338:                              ;   in Loop: Header=BB210_232 Depth=1
	v_and_b32_e32 v5, 7, v52
	v_lshrrev_b32_e32 v13, 3, v17
	s_mov_b32 s23, exec_lo
	v_cmpx_gt_u32_e32 8, v17
; %bb.339:                              ;   in Loop: Header=BB210_232 Depth=1
	s_delay_alu instid0(VALU_DEP_3) | instskip(NEXT) | instid1(VALU_DEP_1)
	v_clz_i32_u32_e32 v13, v5
	v_min_u32_e32 v13, 32, v13
	s_delay_alu instid0(VALU_DEP_1) | instskip(SKIP_1) | instid1(VALU_DEP_2)
	v_subrev_nc_u32_e32 v14, 28, v13
	v_sub_nc_u32_e32 v13, 29, v13
	v_lshlrev_b64 v[17:18], v14, v[5:6]
	s_delay_alu instid0(VALU_DEP_1)
	v_and_b32_e32 v5, 7, v17
; %bb.340:                              ;   in Loop: Header=BB210_232 Depth=1
	s_or_b32 exec_lo, exec_lo, s23
	v_lshlrev_b32_e32 v14, 24, v52
	s_delay_alu instid0(VALU_DEP_2) | instskip(SKIP_1) | instid1(VALU_DEP_3)
	v_lshlrev_b32_e32 v5, 20, v5
	v_lshl_add_u32 v13, v13, 23, 0x3c000000
	v_and_b32_e32 v14, 0x80000000, v14
	s_delay_alu instid0(VALU_DEP_1) | instskip(NEXT) | instid1(VALU_DEP_1)
	v_or3_b32 v5, v5, v14, v13
	v_dual_mov_b32 v14, v6 :: v_dual_mov_b32 v13, v5
.LBB210_341:                            ;   in Loop: Header=BB210_232 Depth=1
	s_or_b32 exec_lo, exec_lo, s22
.LBB210_342:                            ;   in Loop: Header=BB210_232 Depth=1
	s_delay_alu instid0(SALU_CYCLE_1)
	s_or_b32 exec_lo, exec_lo, s21
.LBB210_343:                            ;   in Loop: Header=BB210_232 Depth=1
	s_delay_alu instid0(SALU_CYCLE_1) | instskip(SKIP_2) | instid1(VALU_DEP_1)
	s_or_b32 exec_lo, exec_lo, s2
	v_lshrrev_b16 v5, 8, v52
	s_mov_b32 s21, exec_lo
	v_cmpx_ne_u16_e32 0, v5
	s_cbranch_execz .LBB210_351
; %bb.344:                              ;   in Loop: Header=BB210_232 Depth=1
	v_dual_mov_b32 v16, s9 :: v_dual_mov_b32 v15, s8
	s_mov_b32 s22, exec_lo
	v_cmpx_ne_u16_e32 0x80, v5
	s_cbranch_execz .LBB210_350
; %bb.345:                              ;   in Loop: Header=BB210_232 Depth=1
	s_mov_b32 s2, s8
	v_dual_mov_b32 v16, s3 :: v_dual_and_b32 v5, 0xffff, v5
	v_mov_b32_e32 v15, s2
	s_mov_b32 s2, exec_lo
	s_delay_alu instid0(VALU_DEP_2) | instskip(NEXT) | instid1(VALU_DEP_1)
	v_and_b32_e32 v17, 0x7f, v5
	v_cmpx_ne_u32_e32 0x7f, v17
	s_cbranch_execz .LBB210_349
; %bb.346:                              ;   in Loop: Header=BB210_232 Depth=1
	v_and_b32_e32 v5, 7, v5
	v_lshrrev_b32_e32 v15, 3, v17
	s_mov_b32 s23, exec_lo
	v_cmpx_gt_u32_e32 8, v17
; %bb.347:                              ;   in Loop: Header=BB210_232 Depth=1
	s_delay_alu instid0(VALU_DEP_3) | instskip(NEXT) | instid1(VALU_DEP_1)
	v_clz_i32_u32_e32 v15, v5
	v_min_u32_e32 v15, 32, v15
	s_delay_alu instid0(VALU_DEP_1) | instskip(SKIP_1) | instid1(VALU_DEP_2)
	v_subrev_nc_u32_e32 v16, 28, v15
	v_sub_nc_u32_e32 v15, 29, v15
	v_lshlrev_b64 v[16:17], v16, v[5:6]
	s_delay_alu instid0(VALU_DEP_1)
	v_and_b32_e32 v5, 7, v16
; %bb.348:                              ;   in Loop: Header=BB210_232 Depth=1
	s_or_b32 exec_lo, exec_lo, s23
	v_lshlrev_b32_e32 v16, 16, v52
	s_delay_alu instid0(VALU_DEP_2) | instskip(SKIP_1) | instid1(VALU_DEP_3)
	v_lshlrev_b32_e32 v5, 20, v5
	v_lshl_add_u32 v15, v15, 23, 0x3c000000
	v_and_b32_e32 v16, 0x80000000, v16
	s_delay_alu instid0(VALU_DEP_1)
	v_or3_b32 v16, v5, v16, v15
	v_mov_b32_e32 v15, v6
.LBB210_349:                            ;   in Loop: Header=BB210_232 Depth=1
	s_or_b32 exec_lo, exec_lo, s2
.LBB210_350:                            ;   in Loop: Header=BB210_232 Depth=1
	s_delay_alu instid0(SALU_CYCLE_1)
	s_or_b32 exec_lo, exec_lo, s22
.LBB210_351:                            ;   in Loop: Header=BB210_232 Depth=1
	s_delay_alu instid0(SALU_CYCLE_1) | instskip(SKIP_4) | instid1(VALU_DEP_2)
	s_or_b32 exec_lo, exec_lo, s21
	v_mov_b32_e32 v19, 0
	v_lshrrev_b32_e32 v53, 16, v52
	v_mov_b32_e32 v20, 0
	s_mov_b32 s2, exec_lo
	v_and_b32_e32 v5, 0xff, v53
	s_delay_alu instid0(VALU_DEP_2) | instskip(NEXT) | instid1(VALU_DEP_2)
	v_dual_mov_b32 v17, v19 :: v_dual_mov_b32 v18, v20
	v_cmpx_ne_u16_e32 0, v5
	s_cbranch_execz .LBB210_359
; %bb.352:                              ;   in Loop: Header=BB210_232 Depth=1
	v_bfrev_b32_e32 v17, 1
	v_mov_b32_e32 v18, 0
	s_mov_b32 s21, exec_lo
	v_cmpx_ne_u16_e32 0x80, v5
	s_cbranch_execz .LBB210_358
; %bb.353:                              ;   in Loop: Header=BB210_232 Depth=1
	v_mov_b32_e32 v17, 0x7f800001
	v_bfe_u32 v54, v52, 16, 7
	v_mov_b32_e32 v18, 0
	s_mov_b32 s22, exec_lo
	s_delay_alu instid0(VALU_DEP_2)
	v_cmpx_ne_u32_e32 0x7f, v54
	s_cbranch_execz .LBB210_357
; %bb.354:                              ;   in Loop: Header=BB210_232 Depth=1
	v_and_b32_e32 v5, 7, v53
	v_lshrrev_b32_e32 v17, 3, v54
	s_mov_b32 s23, exec_lo
	v_cmpx_gt_u32_e32 8, v54
; %bb.355:                              ;   in Loop: Header=BB210_232 Depth=1
	s_delay_alu instid0(VALU_DEP_3) | instskip(NEXT) | instid1(VALU_DEP_1)
	v_clz_i32_u32_e32 v17, v5
	v_min_u32_e32 v17, 32, v17
	s_delay_alu instid0(VALU_DEP_1) | instskip(SKIP_1) | instid1(VALU_DEP_2)
	v_subrev_nc_u32_e32 v18, 28, v17
	v_sub_nc_u32_e32 v17, 29, v17
	v_lshlrev_b64 v[54:55], v18, v[5:6]
	s_delay_alu instid0(VALU_DEP_1)
	v_and_b32_e32 v5, 7, v54
; %bb.356:                              ;   in Loop: Header=BB210_232 Depth=1
	s_or_b32 exec_lo, exec_lo, s23
	v_lshlrev_b32_e32 v18, 24, v53
	s_delay_alu instid0(VALU_DEP_2) | instskip(SKIP_1) | instid1(VALU_DEP_3)
	v_lshlrev_b32_e32 v5, 20, v5
	v_lshl_add_u32 v17, v17, 23, 0x3c000000
	v_and_b32_e32 v18, 0x80000000, v18
	s_delay_alu instid0(VALU_DEP_1) | instskip(NEXT) | instid1(VALU_DEP_1)
	v_or3_b32 v5, v5, v18, v17
	v_dual_mov_b32 v18, v6 :: v_dual_mov_b32 v17, v5
.LBB210_357:                            ;   in Loop: Header=BB210_232 Depth=1
	s_or_b32 exec_lo, exec_lo, s22
.LBB210_358:                            ;   in Loop: Header=BB210_232 Depth=1
	s_delay_alu instid0(SALU_CYCLE_1)
	s_or_b32 exec_lo, exec_lo, s21
.LBB210_359:                            ;   in Loop: Header=BB210_232 Depth=1
	s_delay_alu instid0(SALU_CYCLE_1) | instskip(NEXT) | instid1(SALU_CYCLE_1)
	s_or_b32 exec_lo, exec_lo, s2
	s_mov_b32 s21, exec_lo
	v_cmpx_lt_u32_e32 0xffffff, v52
	s_cbranch_execz .LBB210_367
; %bb.360:                              ;   in Loop: Header=BB210_232 Depth=1
	v_lshrrev_b32_e32 v53, 24, v52
	v_dual_mov_b32 v20, s9 :: v_dual_mov_b32 v19, s8
	s_mov_b32 s22, exec_lo
	s_delay_alu instid0(VALU_DEP_2)
	v_cmpx_ne_u32_e32 0x80, v53
	s_cbranch_execz .LBB210_366
; %bb.361:                              ;   in Loop: Header=BB210_232 Depth=1
	s_mov_b32 s2, s8
	v_bfe_u32 v52, v52, 24, 7
	v_dual_mov_b32 v20, s3 :: v_dual_mov_b32 v19, s2
	s_mov_b32 s2, exec_lo
	s_delay_alu instid0(VALU_DEP_2)
	v_cmpx_ne_u32_e32 0x7f, v52
	s_cbranch_execz .LBB210_365
; %bb.362:                              ;   in Loop: Header=BB210_232 Depth=1
	v_and_b32_e32 v5, 7, v53
	v_lshrrev_b32_e32 v19, 3, v52
	s_mov_b32 s23, exec_lo
	v_cmpx_gt_u32_e32 8, v52
; %bb.363:                              ;   in Loop: Header=BB210_232 Depth=1
	s_delay_alu instid0(VALU_DEP_3) | instskip(NEXT) | instid1(VALU_DEP_1)
	v_clz_i32_u32_e32 v19, v5
	v_min_u32_e32 v19, 32, v19
	s_delay_alu instid0(VALU_DEP_1) | instskip(SKIP_1) | instid1(VALU_DEP_2)
	v_subrev_nc_u32_e32 v20, 28, v19
	v_sub_nc_u32_e32 v19, 29, v19
	v_lshlrev_b64 v[54:55], v20, v[5:6]
	s_delay_alu instid0(VALU_DEP_1)
	v_and_b32_e32 v5, 7, v54
; %bb.364:                              ;   in Loop: Header=BB210_232 Depth=1
	s_or_b32 exec_lo, exec_lo, s23
	v_lshlrev_b32_e32 v20, 24, v53
	s_delay_alu instid0(VALU_DEP_2) | instskip(SKIP_1) | instid1(VALU_DEP_3)
	v_lshlrev_b32_e32 v5, 20, v5
	v_lshl_add_u32 v19, v19, 23, 0x3c000000
	v_and_b32_e32 v20, 0x80000000, v20
	s_delay_alu instid0(VALU_DEP_1)
	v_or3_b32 v20, v5, v20, v19
	v_mov_b32_e32 v19, v6
.LBB210_365:                            ;   in Loop: Header=BB210_232 Depth=1
	s_or_b32 exec_lo, exec_lo, s2
.LBB210_366:                            ;   in Loop: Header=BB210_232 Depth=1
	s_delay_alu instid0(SALU_CYCLE_1)
	s_or_b32 exec_lo, exec_lo, s22
.LBB210_367:                            ;   in Loop: Header=BB210_232 Depth=1
	s_delay_alu instid0(SALU_CYCLE_1) | instskip(SKIP_4) | instid1(VALU_DEP_4)
	s_or_b32 exec_lo, exec_lo, s21
	v_or_b32_e32 v5, v16, v14
	v_or_b32_e32 v13, v15, v13
	;; [unrolled: 1-line block ×4, first 2 shown]
	v_mul_f32_e32 v55, s20, v5
	s_delay_alu instid0(VALU_DEP_4) | instskip(NEXT) | instid1(VALU_DEP_3)
	v_mul_f32_e32 v54, s18, v13
	v_dual_mul_f32 v52, s20, v14 :: v_dual_mul_f32 v53, s18, v15
	s_and_saveexec_b32 s2, vcc_lo
; %bb.368:                              ;   in Loop: Header=BB210_232 Depth=1
	v_cmp_gt_i32_e64 s0, s15, v40
	s_delay_alu instid0(VALU_DEP_1) | instskip(SKIP_1) | instid1(VALU_DEP_1)
	v_cndmask_b32_e64 v54, 0, v54, s0
	v_cmp_gt_i32_e64 s0, s15, v43
	v_cndmask_b32_e64 v55, 0, v55, s0
	v_cmp_gt_i32_e64 s0, s15, v42
	s_delay_alu instid0(VALU_DEP_1) | instskip(SKIP_1) | instid1(VALU_DEP_1)
	v_cndmask_b32_e64 v53, 0, v53, s0
	v_cmp_gt_i32_e64 s0, s15, v41
	v_cndmask_b32_e64 v52, 0, v52, s0
; %bb.369:                              ;   in Loop: Header=BB210_232 Depth=1
	s_or_b32 exec_lo, exec_lo, s2
	global_load_b32 v56, v[11:12], off offset:512
	v_mov_b32_e32 v15, 0
	v_mov_b32_e32 v16, 0
	s_mov_b32 s2, exec_lo
	s_waitcnt vmcnt(0)
	v_and_b32_e32 v5, 0xff, v56
	s_delay_alu instid0(VALU_DEP_2) | instskip(NEXT) | instid1(VALU_DEP_2)
	v_dual_mov_b32 v13, v15 :: v_dual_mov_b32 v14, v16
	v_cmpx_ne_u16_e32 0, v5
	s_cbranch_execz .LBB210_377
; %bb.370:                              ;   in Loop: Header=BB210_232 Depth=1
	v_bfrev_b32_e32 v13, 1
	v_mov_b32_e32 v14, 0
	s_mov_b32 s21, exec_lo
	v_cmpx_ne_u16_e32 0x80, v5
	s_cbranch_execz .LBB210_376
; %bb.371:                              ;   in Loop: Header=BB210_232 Depth=1
	v_mov_b32_e32 v13, 0x7f800001
	v_dual_mov_b32 v14, 0 :: v_dual_and_b32 v17, 0x7f, v56
	s_mov_b32 s22, exec_lo
	s_delay_alu instid0(VALU_DEP_1)
	v_cmpx_ne_u32_e32 0x7f, v17
	s_cbranch_execz .LBB210_375
; %bb.372:                              ;   in Loop: Header=BB210_232 Depth=1
	v_and_b32_e32 v5, 7, v56
	v_lshrrev_b32_e32 v13, 3, v17
	s_mov_b32 s23, exec_lo
	v_cmpx_gt_u32_e32 8, v17
; %bb.373:                              ;   in Loop: Header=BB210_232 Depth=1
	s_delay_alu instid0(VALU_DEP_3) | instskip(NEXT) | instid1(VALU_DEP_1)
	v_clz_i32_u32_e32 v13, v5
	v_min_u32_e32 v13, 32, v13
	s_delay_alu instid0(VALU_DEP_1) | instskip(SKIP_1) | instid1(VALU_DEP_2)
	v_subrev_nc_u32_e32 v14, 28, v13
	v_sub_nc_u32_e32 v13, 29, v13
	v_lshlrev_b64 v[17:18], v14, v[5:6]
	s_delay_alu instid0(VALU_DEP_1)
	v_and_b32_e32 v5, 7, v17
; %bb.374:                              ;   in Loop: Header=BB210_232 Depth=1
	s_or_b32 exec_lo, exec_lo, s23
	v_lshlrev_b32_e32 v14, 24, v56
	s_delay_alu instid0(VALU_DEP_2) | instskip(SKIP_1) | instid1(VALU_DEP_3)
	v_lshlrev_b32_e32 v5, 20, v5
	v_lshl_add_u32 v13, v13, 23, 0x3c000000
	v_and_b32_e32 v14, 0x80000000, v14
	s_delay_alu instid0(VALU_DEP_1) | instskip(NEXT) | instid1(VALU_DEP_1)
	v_or3_b32 v5, v5, v14, v13
	v_dual_mov_b32 v14, v6 :: v_dual_mov_b32 v13, v5
.LBB210_375:                            ;   in Loop: Header=BB210_232 Depth=1
	s_or_b32 exec_lo, exec_lo, s22
.LBB210_376:                            ;   in Loop: Header=BB210_232 Depth=1
	s_delay_alu instid0(SALU_CYCLE_1)
	s_or_b32 exec_lo, exec_lo, s21
.LBB210_377:                            ;   in Loop: Header=BB210_232 Depth=1
	s_delay_alu instid0(SALU_CYCLE_1) | instskip(SKIP_2) | instid1(VALU_DEP_1)
	s_or_b32 exec_lo, exec_lo, s2
	v_lshrrev_b16 v5, 8, v56
	s_mov_b32 s21, exec_lo
	v_cmpx_ne_u16_e32 0, v5
	s_cbranch_execz .LBB210_385
; %bb.378:                              ;   in Loop: Header=BB210_232 Depth=1
	v_dual_mov_b32 v16, s9 :: v_dual_mov_b32 v15, s8
	s_mov_b32 s22, exec_lo
	v_cmpx_ne_u16_e32 0x80, v5
	s_cbranch_execz .LBB210_384
; %bb.379:                              ;   in Loop: Header=BB210_232 Depth=1
	s_mov_b32 s2, s8
	v_dual_mov_b32 v16, s3 :: v_dual_and_b32 v5, 0xffff, v5
	v_mov_b32_e32 v15, s2
	s_mov_b32 s2, exec_lo
	s_delay_alu instid0(VALU_DEP_2) | instskip(NEXT) | instid1(VALU_DEP_1)
	v_and_b32_e32 v17, 0x7f, v5
	v_cmpx_ne_u32_e32 0x7f, v17
	s_cbranch_execz .LBB210_383
; %bb.380:                              ;   in Loop: Header=BB210_232 Depth=1
	v_and_b32_e32 v5, 7, v5
	v_lshrrev_b32_e32 v15, 3, v17
	s_mov_b32 s23, exec_lo
	v_cmpx_gt_u32_e32 8, v17
; %bb.381:                              ;   in Loop: Header=BB210_232 Depth=1
	s_delay_alu instid0(VALU_DEP_3) | instskip(NEXT) | instid1(VALU_DEP_1)
	v_clz_i32_u32_e32 v15, v5
	v_min_u32_e32 v15, 32, v15
	s_delay_alu instid0(VALU_DEP_1) | instskip(SKIP_1) | instid1(VALU_DEP_2)
	v_subrev_nc_u32_e32 v16, 28, v15
	v_sub_nc_u32_e32 v15, 29, v15
	v_lshlrev_b64 v[16:17], v16, v[5:6]
	s_delay_alu instid0(VALU_DEP_1)
	v_and_b32_e32 v5, 7, v16
; %bb.382:                              ;   in Loop: Header=BB210_232 Depth=1
	s_or_b32 exec_lo, exec_lo, s23
	v_lshlrev_b32_e32 v16, 16, v56
	s_delay_alu instid0(VALU_DEP_2) | instskip(SKIP_1) | instid1(VALU_DEP_3)
	v_lshlrev_b32_e32 v5, 20, v5
	v_lshl_add_u32 v15, v15, 23, 0x3c000000
	v_and_b32_e32 v16, 0x80000000, v16
	s_delay_alu instid0(VALU_DEP_1)
	v_or3_b32 v16, v5, v16, v15
	v_mov_b32_e32 v15, v6
.LBB210_383:                            ;   in Loop: Header=BB210_232 Depth=1
	s_or_b32 exec_lo, exec_lo, s2
.LBB210_384:                            ;   in Loop: Header=BB210_232 Depth=1
	s_delay_alu instid0(SALU_CYCLE_1)
	s_or_b32 exec_lo, exec_lo, s22
.LBB210_385:                            ;   in Loop: Header=BB210_232 Depth=1
	s_delay_alu instid0(SALU_CYCLE_1) | instskip(SKIP_4) | instid1(VALU_DEP_2)
	s_or_b32 exec_lo, exec_lo, s21
	v_mov_b32_e32 v19, 0
	v_lshrrev_b32_e32 v57, 16, v56
	v_mov_b32_e32 v20, 0
	s_mov_b32 s2, exec_lo
	v_and_b32_e32 v5, 0xff, v57
	s_delay_alu instid0(VALU_DEP_2) | instskip(NEXT) | instid1(VALU_DEP_2)
	v_dual_mov_b32 v17, v19 :: v_dual_mov_b32 v18, v20
	v_cmpx_ne_u16_e32 0, v5
	s_cbranch_execz .LBB210_393
; %bb.386:                              ;   in Loop: Header=BB210_232 Depth=1
	v_bfrev_b32_e32 v17, 1
	v_mov_b32_e32 v18, 0
	s_mov_b32 s21, exec_lo
	v_cmpx_ne_u16_e32 0x80, v5
	s_cbranch_execz .LBB210_392
; %bb.387:                              ;   in Loop: Header=BB210_232 Depth=1
	v_mov_b32_e32 v17, 0x7f800001
	v_bfe_u32 v58, v56, 16, 7
	v_mov_b32_e32 v18, 0
	s_mov_b32 s22, exec_lo
	s_delay_alu instid0(VALU_DEP_2)
	v_cmpx_ne_u32_e32 0x7f, v58
	s_cbranch_execz .LBB210_391
; %bb.388:                              ;   in Loop: Header=BB210_232 Depth=1
	v_and_b32_e32 v5, 7, v57
	v_lshrrev_b32_e32 v17, 3, v58
	s_mov_b32 s23, exec_lo
	v_cmpx_gt_u32_e32 8, v58
; %bb.389:                              ;   in Loop: Header=BB210_232 Depth=1
	s_delay_alu instid0(VALU_DEP_3) | instskip(NEXT) | instid1(VALU_DEP_1)
	v_clz_i32_u32_e32 v17, v5
	v_min_u32_e32 v17, 32, v17
	s_delay_alu instid0(VALU_DEP_1) | instskip(SKIP_1) | instid1(VALU_DEP_2)
	v_subrev_nc_u32_e32 v18, 28, v17
	v_sub_nc_u32_e32 v17, 29, v17
	v_lshlrev_b64 v[58:59], v18, v[5:6]
	s_delay_alu instid0(VALU_DEP_1)
	v_and_b32_e32 v5, 7, v58
; %bb.390:                              ;   in Loop: Header=BB210_232 Depth=1
	s_or_b32 exec_lo, exec_lo, s23
	v_lshlrev_b32_e32 v18, 24, v57
	s_delay_alu instid0(VALU_DEP_2) | instskip(SKIP_1) | instid1(VALU_DEP_3)
	v_lshlrev_b32_e32 v5, 20, v5
	v_lshl_add_u32 v17, v17, 23, 0x3c000000
	v_and_b32_e32 v18, 0x80000000, v18
	s_delay_alu instid0(VALU_DEP_1) | instskip(NEXT) | instid1(VALU_DEP_1)
	v_or3_b32 v5, v5, v18, v17
	v_dual_mov_b32 v18, v6 :: v_dual_mov_b32 v17, v5
.LBB210_391:                            ;   in Loop: Header=BB210_232 Depth=1
	s_or_b32 exec_lo, exec_lo, s22
.LBB210_392:                            ;   in Loop: Header=BB210_232 Depth=1
	s_delay_alu instid0(SALU_CYCLE_1)
	s_or_b32 exec_lo, exec_lo, s21
.LBB210_393:                            ;   in Loop: Header=BB210_232 Depth=1
	s_delay_alu instid0(SALU_CYCLE_1) | instskip(NEXT) | instid1(SALU_CYCLE_1)
	s_or_b32 exec_lo, exec_lo, s2
	s_mov_b32 s21, exec_lo
	v_cmpx_lt_u32_e32 0xffffff, v56
	s_cbranch_execz .LBB210_401
; %bb.394:                              ;   in Loop: Header=BB210_232 Depth=1
	v_lshrrev_b32_e32 v57, 24, v56
	v_dual_mov_b32 v20, s9 :: v_dual_mov_b32 v19, s8
	s_mov_b32 s22, exec_lo
	s_delay_alu instid0(VALU_DEP_2)
	v_cmpx_ne_u32_e32 0x80, v57
	s_cbranch_execz .LBB210_400
; %bb.395:                              ;   in Loop: Header=BB210_232 Depth=1
	s_mov_b32 s2, s8
	v_bfe_u32 v56, v56, 24, 7
	v_dual_mov_b32 v20, s3 :: v_dual_mov_b32 v19, s2
	s_mov_b32 s2, exec_lo
	s_delay_alu instid0(VALU_DEP_2)
	v_cmpx_ne_u32_e32 0x7f, v56
	s_cbranch_execz .LBB210_399
; %bb.396:                              ;   in Loop: Header=BB210_232 Depth=1
	v_and_b32_e32 v5, 7, v57
	v_lshrrev_b32_e32 v19, 3, v56
	s_mov_b32 s23, exec_lo
	v_cmpx_gt_u32_e32 8, v56
; %bb.397:                              ;   in Loop: Header=BB210_232 Depth=1
	s_delay_alu instid0(VALU_DEP_3) | instskip(NEXT) | instid1(VALU_DEP_1)
	v_clz_i32_u32_e32 v19, v5
	v_min_u32_e32 v19, 32, v19
	s_delay_alu instid0(VALU_DEP_1) | instskip(SKIP_1) | instid1(VALU_DEP_2)
	v_subrev_nc_u32_e32 v20, 28, v19
	v_sub_nc_u32_e32 v19, 29, v19
	v_lshlrev_b64 v[58:59], v20, v[5:6]
	s_delay_alu instid0(VALU_DEP_1)
	v_and_b32_e32 v5, 7, v58
; %bb.398:                              ;   in Loop: Header=BB210_232 Depth=1
	s_or_b32 exec_lo, exec_lo, s23
	v_lshlrev_b32_e32 v20, 24, v57
	s_delay_alu instid0(VALU_DEP_2) | instskip(SKIP_1) | instid1(VALU_DEP_3)
	v_lshlrev_b32_e32 v5, 20, v5
	v_lshl_add_u32 v19, v19, 23, 0x3c000000
	v_and_b32_e32 v20, 0x80000000, v20
	s_delay_alu instid0(VALU_DEP_1)
	v_or3_b32 v20, v5, v20, v19
	v_mov_b32_e32 v19, v6
.LBB210_399:                            ;   in Loop: Header=BB210_232 Depth=1
	s_or_b32 exec_lo, exec_lo, s2
.LBB210_400:                            ;   in Loop: Header=BB210_232 Depth=1
	s_delay_alu instid0(SALU_CYCLE_1)
	s_or_b32 exec_lo, exec_lo, s22
.LBB210_401:                            ;   in Loop: Header=BB210_232 Depth=1
	s_delay_alu instid0(SALU_CYCLE_1) | instskip(SKIP_4) | instid1(VALU_DEP_4)
	s_or_b32 exec_lo, exec_lo, s21
	v_or_b32_e32 v5, v16, v14
	v_or_b32_e32 v13, v15, v13
	;; [unrolled: 1-line block ×4, first 2 shown]
	v_mul_f32_e32 v57, s20, v5
	s_delay_alu instid0(VALU_DEP_3) | instskip(NEXT) | instid1(VALU_DEP_3)
	v_dual_mul_f32 v56, s18, v13 :: v_dual_mul_f32 v19, s20, v14
	v_mul_f32_e32 v20, s18, v15
	s_and_saveexec_b32 s2, vcc_lo
; %bb.402:                              ;   in Loop: Header=BB210_232 Depth=1
	v_cmp_gt_i32_e64 s0, s15, v40
	s_delay_alu instid0(VALU_DEP_1) | instskip(SKIP_1) | instid1(VALU_DEP_1)
	v_cndmask_b32_e64 v56, 0, v56, s0
	v_cmp_gt_i32_e64 s0, s15, v43
	v_cndmask_b32_e64 v57, 0, v57, s0
	v_cmp_gt_i32_e64 s0, s15, v42
	s_delay_alu instid0(VALU_DEP_1) | instskip(SKIP_1) | instid1(VALU_DEP_1)
	v_cndmask_b32_e64 v20, 0, v20, s0
	v_cmp_gt_i32_e64 s0, s15, v41
	v_cndmask_b32_e64 v19, 0, v19, s0
; %bb.403:                              ;   in Loop: Header=BB210_232 Depth=1
	s_or_b32 exec_lo, exec_lo, s2
	global_load_b32 v58, v[11:12], off offset:640
	v_mov_b32_e32 v13, 0
	v_mov_b32_e32 v14, 0
	s_mov_b32 s2, exec_lo
	s_waitcnt vmcnt(0)
	v_and_b32_e32 v5, 0xff, v58
	s_delay_alu instid0(VALU_DEP_2) | instskip(NEXT) | instid1(VALU_DEP_2)
	v_dual_mov_b32 v11, v13 :: v_dual_mov_b32 v12, v14
	v_cmpx_ne_u16_e32 0, v5
	s_cbranch_execz .LBB210_411
; %bb.404:                              ;   in Loop: Header=BB210_232 Depth=1
	v_bfrev_b32_e32 v11, 1
	v_mov_b32_e32 v12, 0
	s_mov_b32 s21, exec_lo
	v_cmpx_ne_u16_e32 0x80, v5
	s_cbranch_execz .LBB210_410
; %bb.405:                              ;   in Loop: Header=BB210_232 Depth=1
	v_mov_b32_e32 v11, 0x7f800001
	v_dual_mov_b32 v12, 0 :: v_dual_and_b32 v15, 0x7f, v58
	s_mov_b32 s22, exec_lo
	s_delay_alu instid0(VALU_DEP_1)
	v_cmpx_ne_u32_e32 0x7f, v15
	s_cbranch_execz .LBB210_409
; %bb.406:                              ;   in Loop: Header=BB210_232 Depth=1
	v_and_b32_e32 v5, 7, v58
	v_lshrrev_b32_e32 v11, 3, v15
	s_mov_b32 s23, exec_lo
	v_cmpx_gt_u32_e32 8, v15
; %bb.407:                              ;   in Loop: Header=BB210_232 Depth=1
	s_delay_alu instid0(VALU_DEP_3) | instskip(NEXT) | instid1(VALU_DEP_1)
	v_clz_i32_u32_e32 v11, v5
	v_min_u32_e32 v11, 32, v11
	s_delay_alu instid0(VALU_DEP_1) | instskip(SKIP_1) | instid1(VALU_DEP_2)
	v_subrev_nc_u32_e32 v12, 28, v11
	v_sub_nc_u32_e32 v11, 29, v11
	v_lshlrev_b64 v[15:16], v12, v[5:6]
	s_delay_alu instid0(VALU_DEP_1)
	v_and_b32_e32 v5, 7, v15
; %bb.408:                              ;   in Loop: Header=BB210_232 Depth=1
	s_or_b32 exec_lo, exec_lo, s23
	v_lshlrev_b32_e32 v12, 24, v58
	s_delay_alu instid0(VALU_DEP_2) | instskip(SKIP_1) | instid1(VALU_DEP_3)
	v_lshlrev_b32_e32 v5, 20, v5
	v_lshl_add_u32 v11, v11, 23, 0x3c000000
	v_and_b32_e32 v12, 0x80000000, v12
	s_delay_alu instid0(VALU_DEP_1) | instskip(NEXT) | instid1(VALU_DEP_1)
	v_or3_b32 v5, v5, v12, v11
	v_dual_mov_b32 v12, v6 :: v_dual_mov_b32 v11, v5
.LBB210_409:                            ;   in Loop: Header=BB210_232 Depth=1
	s_or_b32 exec_lo, exec_lo, s22
.LBB210_410:                            ;   in Loop: Header=BB210_232 Depth=1
	s_delay_alu instid0(SALU_CYCLE_1)
	s_or_b32 exec_lo, exec_lo, s21
.LBB210_411:                            ;   in Loop: Header=BB210_232 Depth=1
	s_delay_alu instid0(SALU_CYCLE_1) | instskip(SKIP_2) | instid1(VALU_DEP_1)
	s_or_b32 exec_lo, exec_lo, s2
	v_lshrrev_b16 v5, 8, v58
	s_mov_b32 s21, exec_lo
	v_cmpx_ne_u16_e32 0, v5
	s_cbranch_execz .LBB210_419
; %bb.412:                              ;   in Loop: Header=BB210_232 Depth=1
	v_dual_mov_b32 v14, s9 :: v_dual_mov_b32 v13, s8
	s_mov_b32 s22, exec_lo
	v_cmpx_ne_u16_e32 0x80, v5
	s_cbranch_execz .LBB210_418
; %bb.413:                              ;   in Loop: Header=BB210_232 Depth=1
	s_mov_b32 s2, s8
	v_dual_mov_b32 v14, s3 :: v_dual_and_b32 v5, 0xffff, v5
	v_mov_b32_e32 v13, s2
	s_mov_b32 s2, exec_lo
	s_delay_alu instid0(VALU_DEP_2) | instskip(NEXT) | instid1(VALU_DEP_1)
	v_and_b32_e32 v15, 0x7f, v5
	v_cmpx_ne_u32_e32 0x7f, v15
	s_cbranch_execz .LBB210_417
; %bb.414:                              ;   in Loop: Header=BB210_232 Depth=1
	v_and_b32_e32 v5, 7, v5
	v_lshrrev_b32_e32 v13, 3, v15
	s_mov_b32 s23, exec_lo
	v_cmpx_gt_u32_e32 8, v15
; %bb.415:                              ;   in Loop: Header=BB210_232 Depth=1
	s_delay_alu instid0(VALU_DEP_3) | instskip(NEXT) | instid1(VALU_DEP_1)
	v_clz_i32_u32_e32 v13, v5
	v_min_u32_e32 v13, 32, v13
	s_delay_alu instid0(VALU_DEP_1) | instskip(SKIP_1) | instid1(VALU_DEP_2)
	v_subrev_nc_u32_e32 v14, 28, v13
	v_sub_nc_u32_e32 v13, 29, v13
	v_lshlrev_b64 v[14:15], v14, v[5:6]
	s_delay_alu instid0(VALU_DEP_1)
	v_and_b32_e32 v5, 7, v14
; %bb.416:                              ;   in Loop: Header=BB210_232 Depth=1
	s_or_b32 exec_lo, exec_lo, s23
	v_lshlrev_b32_e32 v14, 16, v58
	s_delay_alu instid0(VALU_DEP_2) | instskip(SKIP_1) | instid1(VALU_DEP_3)
	v_lshlrev_b32_e32 v5, 20, v5
	v_lshl_add_u32 v13, v13, 23, 0x3c000000
	v_and_b32_e32 v14, 0x80000000, v14
	s_delay_alu instid0(VALU_DEP_1)
	v_or3_b32 v14, v5, v14, v13
	v_mov_b32_e32 v13, v6
.LBB210_417:                            ;   in Loop: Header=BB210_232 Depth=1
	s_or_b32 exec_lo, exec_lo, s2
.LBB210_418:                            ;   in Loop: Header=BB210_232 Depth=1
	s_delay_alu instid0(SALU_CYCLE_1)
	s_or_b32 exec_lo, exec_lo, s22
.LBB210_419:                            ;   in Loop: Header=BB210_232 Depth=1
	s_delay_alu instid0(SALU_CYCLE_1) | instskip(SKIP_4) | instid1(VALU_DEP_2)
	s_or_b32 exec_lo, exec_lo, s21
	v_mov_b32_e32 v17, 0
	v_lshrrev_b32_e32 v59, 16, v58
	v_mov_b32_e32 v18, 0
	s_mov_b32 s2, exec_lo
	v_and_b32_e32 v5, 0xff, v59
	s_delay_alu instid0(VALU_DEP_2) | instskip(NEXT) | instid1(VALU_DEP_2)
	v_dual_mov_b32 v15, v17 :: v_dual_mov_b32 v16, v18
	v_cmpx_ne_u16_e32 0, v5
	s_cbranch_execz .LBB210_427
; %bb.420:                              ;   in Loop: Header=BB210_232 Depth=1
	v_bfrev_b32_e32 v15, 1
	v_mov_b32_e32 v16, 0
	s_mov_b32 s21, exec_lo
	v_cmpx_ne_u16_e32 0x80, v5
	s_cbranch_execz .LBB210_426
; %bb.421:                              ;   in Loop: Header=BB210_232 Depth=1
	v_mov_b32_e32 v15, 0x7f800001
	v_bfe_u32 v60, v58, 16, 7
	v_mov_b32_e32 v16, 0
	s_mov_b32 s22, exec_lo
	s_delay_alu instid0(VALU_DEP_2)
	v_cmpx_ne_u32_e32 0x7f, v60
	s_cbranch_execz .LBB210_425
; %bb.422:                              ;   in Loop: Header=BB210_232 Depth=1
	v_and_b32_e32 v5, 7, v59
	v_lshrrev_b32_e32 v15, 3, v60
	s_mov_b32 s23, exec_lo
	v_cmpx_gt_u32_e32 8, v60
; %bb.423:                              ;   in Loop: Header=BB210_232 Depth=1
	s_delay_alu instid0(VALU_DEP_3) | instskip(NEXT) | instid1(VALU_DEP_1)
	v_clz_i32_u32_e32 v15, v5
	v_min_u32_e32 v15, 32, v15
	s_delay_alu instid0(VALU_DEP_1) | instskip(SKIP_1) | instid1(VALU_DEP_2)
	v_subrev_nc_u32_e32 v16, 28, v15
	v_sub_nc_u32_e32 v15, 29, v15
	v_lshlrev_b64 v[60:61], v16, v[5:6]
	s_delay_alu instid0(VALU_DEP_1)
	v_and_b32_e32 v5, 7, v60
; %bb.424:                              ;   in Loop: Header=BB210_232 Depth=1
	s_or_b32 exec_lo, exec_lo, s23
	v_lshlrev_b32_e32 v16, 24, v59
	s_delay_alu instid0(VALU_DEP_2) | instskip(SKIP_1) | instid1(VALU_DEP_3)
	v_lshlrev_b32_e32 v5, 20, v5
	v_lshl_add_u32 v15, v15, 23, 0x3c000000
	v_and_b32_e32 v16, 0x80000000, v16
	s_delay_alu instid0(VALU_DEP_1) | instskip(NEXT) | instid1(VALU_DEP_1)
	v_or3_b32 v5, v5, v16, v15
	v_dual_mov_b32 v16, v6 :: v_dual_mov_b32 v15, v5
.LBB210_425:                            ;   in Loop: Header=BB210_232 Depth=1
	s_or_b32 exec_lo, exec_lo, s22
.LBB210_426:                            ;   in Loop: Header=BB210_232 Depth=1
	s_delay_alu instid0(SALU_CYCLE_1)
	s_or_b32 exec_lo, exec_lo, s21
.LBB210_427:                            ;   in Loop: Header=BB210_232 Depth=1
	s_delay_alu instid0(SALU_CYCLE_1) | instskip(NEXT) | instid1(SALU_CYCLE_1)
	s_or_b32 exec_lo, exec_lo, s2
	s_mov_b32 s21, exec_lo
	v_cmpx_lt_u32_e32 0xffffff, v58
	s_cbranch_execz .LBB210_435
; %bb.428:                              ;   in Loop: Header=BB210_232 Depth=1
	v_lshrrev_b32_e32 v59, 24, v58
	v_dual_mov_b32 v18, s9 :: v_dual_mov_b32 v17, s8
	s_mov_b32 s22, exec_lo
	s_delay_alu instid0(VALU_DEP_2)
	v_cmpx_ne_u32_e32 0x80, v59
	s_cbranch_execz .LBB210_434
; %bb.429:                              ;   in Loop: Header=BB210_232 Depth=1
	s_mov_b32 s2, s8
	v_bfe_u32 v58, v58, 24, 7
	v_dual_mov_b32 v18, s3 :: v_dual_mov_b32 v17, s2
	s_mov_b32 s2, exec_lo
	s_delay_alu instid0(VALU_DEP_2)
	v_cmpx_ne_u32_e32 0x7f, v58
	s_cbranch_execz .LBB210_433
; %bb.430:                              ;   in Loop: Header=BB210_232 Depth=1
	v_and_b32_e32 v5, 7, v59
	v_lshrrev_b32_e32 v17, 3, v58
	s_mov_b32 s23, exec_lo
	v_cmpx_gt_u32_e32 8, v58
; %bb.431:                              ;   in Loop: Header=BB210_232 Depth=1
	s_delay_alu instid0(VALU_DEP_3) | instskip(NEXT) | instid1(VALU_DEP_1)
	v_clz_i32_u32_e32 v17, v5
	v_min_u32_e32 v17, 32, v17
	s_delay_alu instid0(VALU_DEP_1) | instskip(SKIP_1) | instid1(VALU_DEP_2)
	v_subrev_nc_u32_e32 v18, 28, v17
	v_sub_nc_u32_e32 v17, 29, v17
	v_lshlrev_b64 v[60:61], v18, v[5:6]
	s_delay_alu instid0(VALU_DEP_1)
	v_and_b32_e32 v5, 7, v60
; %bb.432:                              ;   in Loop: Header=BB210_232 Depth=1
	s_or_b32 exec_lo, exec_lo, s23
	v_lshlrev_b32_e32 v18, 24, v59
	s_delay_alu instid0(VALU_DEP_2) | instskip(SKIP_1) | instid1(VALU_DEP_3)
	v_lshlrev_b32_e32 v5, 20, v5
	v_lshl_add_u32 v17, v17, 23, 0x3c000000
	v_and_b32_e32 v18, 0x80000000, v18
	s_delay_alu instid0(VALU_DEP_1)
	v_or3_b32 v18, v5, v18, v17
	v_mov_b32_e32 v17, v6
.LBB210_433:                            ;   in Loop: Header=BB210_232 Depth=1
	s_or_b32 exec_lo, exec_lo, s2
.LBB210_434:                            ;   in Loop: Header=BB210_232 Depth=1
	s_delay_alu instid0(SALU_CYCLE_1)
	s_or_b32 exec_lo, exec_lo, s22
.LBB210_435:                            ;   in Loop: Header=BB210_232 Depth=1
	s_delay_alu instid0(SALU_CYCLE_1) | instskip(SKIP_4) | instid1(VALU_DEP_3)
	s_or_b32 exec_lo, exec_lo, s21
	v_or_b32_e32 v5, v14, v12
	v_or_b32_e32 v11, v13, v11
	;; [unrolled: 1-line block ×4, first 2 shown]
	v_dual_mul_f32 v13, s20, v5 :: v_dual_mul_f32 v12, s18, v11
	s_delay_alu instid0(VALU_DEP_3) | instskip(NEXT) | instid1(VALU_DEP_3)
	v_mul_f32_e32 v5, s20, v14
	v_mul_f32_e32 v11, s18, v15
	s_and_saveexec_b32 s0, vcc_lo
	s_cbranch_execz .LBB210_230
; %bb.436:                              ;   in Loop: Header=BB210_232 Depth=1
	v_cmp_gt_i32_e32 vcc_lo, s15, v40
	v_cndmask_b32_e32 v12, 0, v12, vcc_lo
	v_cmp_gt_i32_e32 vcc_lo, s15, v43
	v_cndmask_b32_e32 v13, 0, v13, vcc_lo
	;; [unrolled: 2-line block ×4, first 2 shown]
	s_branch .LBB210_230
.LBB210_437:
	s_or_b32 exec_lo, exec_lo, s14
.LBB210_438:
	s_delay_alu instid0(SALU_CYCLE_1)
	s_or_b32 exec_lo, exec_lo, s1
	ds_bpermute_b32 v1, v22, v24
	ds_bpermute_b32 v2, v22, v29
	;; [unrolled: 1-line block ×6, first 2 shown]
	v_and_b32_e32 v4, 0x3c1, v0
	v_lshrrev_b32_e32 v7, 1, v21
	s_movk_i32 s0, 0x180
	s_waitcnt lgkmcnt(0)
	s_waitcnt_vscnt null, 0x0
	v_mad_u32_u24 v8, v37, s0, 0x1a0
	s_barrier
	buffer_gl0_inv
	v_dual_add_f32 v6, v24, v1 :: v_dual_add_f32 v5, v29, v2
	v_cmp_eq_u32_e32 vcc_lo, 64, v4
	v_dual_add_f32 v4, v30, v3 :: v_dual_add_f32 v3, v27, v9
	v_dual_add_f32 v2, v28, v10 :: v_dual_lshlrev_b32 v9, 2, v7
	v_add_f32_e32 v1, v31, v11
	s_and_saveexec_b32 s0, vcc_lo
	s_cbranch_execz .LBB210_440
; %bb.439:
	s_delay_alu instid0(VALU_DEP_2)
	v_add3_u32 v10, v8, v9, 0xfffffd00
	ds_store_2addr_b32 v10, v6, v5 offset1:16
	ds_store_2addr_b32 v10, v4, v3 offset0:32 offset1:48
	ds_store_2addr_b32 v10, v2, v1 offset0:64 offset1:80
.LBB210_440:
	s_or_b32 exec_lo, exec_lo, s0
	v_cmp_eq_u32_e32 vcc_lo, 0, v23
	s_mov_b32 s1, exec_lo
	s_waitcnt lgkmcnt(0)
	s_barrier
	buffer_gl0_inv
	v_cmpx_gt_u32_e32 64, v0
	s_cbranch_execz .LBB210_449
; %bb.441:
	s_and_saveexec_b32 s0, vcc_lo
	s_cbranch_execnz .LBB210_463
; %bb.442:
	s_or_b32 exec_lo, exec_lo, s0
	s_and_saveexec_b32 s0, vcc_lo
	s_cbranch_execnz .LBB210_464
.LBB210_443:
	s_or_b32 exec_lo, exec_lo, s0
	s_and_saveexec_b32 s0, vcc_lo
	s_cbranch_execnz .LBB210_465
.LBB210_444:
	s_or_b32 exec_lo, exec_lo, s0
	s_and_saveexec_b32 s0, vcc_lo
	s_cbranch_execnz .LBB210_466
.LBB210_445:
	s_or_b32 exec_lo, exec_lo, s0
	s_and_saveexec_b32 s0, vcc_lo
	s_cbranch_execnz .LBB210_467
.LBB210_446:
	s_or_b32 exec_lo, exec_lo, s0
	s_and_saveexec_b32 s0, vcc_lo
	s_cbranch_execz .LBB210_448
.LBB210_447:
	v_lshl_add_u32 v10, v7, 2, v8
	ds_load_b32 v10, v10 offset:320
	s_waitcnt lgkmcnt(0)
	v_add_f32_e32 v1, v1, v10
.LBB210_448:
	s_or_b32 exec_lo, exec_lo, s0
.LBB210_449:
	s_delay_alu instid0(SALU_CYCLE_1)
	s_or_b32 exec_lo, exec_lo, s1
	v_and_b32_e32 v10, 0x3e1, v0
	s_mov_b32 s1, exec_lo
	s_barrier
	buffer_gl0_inv
	v_cmpx_eq_u32_e32 32, v10
	s_cbranch_execz .LBB210_451
; %bb.450:
	v_add3_u32 v9, v8, v9, 0xfffffe80
	ds_store_2addr_b32 v9, v6, v5 offset1:16
	ds_store_2addr_b32 v9, v4, v3 offset0:32 offset1:48
	ds_store_2addr_b32 v9, v2, v1 offset0:64 offset1:80
.LBB210_451:
	s_or_b32 exec_lo, exec_lo, s1
	s_delay_alu instid0(SALU_CYCLE_1)
	s_mov_b32 s1, exec_lo
	s_waitcnt lgkmcnt(0)
	s_barrier
	buffer_gl0_inv
	v_cmpx_gt_u32_e32 32, v0
	s_cbranch_execz .LBB210_460
; %bb.452:
	v_lshl_add_u32 v7, v7, 2, v8
	s_and_saveexec_b32 s0, vcc_lo
	s_cbranch_execnz .LBB210_468
; %bb.453:
	s_or_b32 exec_lo, exec_lo, s0
	s_and_saveexec_b32 s0, vcc_lo
	s_cbranch_execnz .LBB210_469
.LBB210_454:
	s_or_b32 exec_lo, exec_lo, s0
	s_and_saveexec_b32 s0, vcc_lo
	s_cbranch_execnz .LBB210_470
.LBB210_455:
	s_or_b32 exec_lo, exec_lo, s0
	s_and_saveexec_b32 s0, vcc_lo
	s_cbranch_execnz .LBB210_471
.LBB210_456:
	s_or_b32 exec_lo, exec_lo, s0
	s_and_saveexec_b32 s0, vcc_lo
	s_cbranch_execnz .LBB210_472
.LBB210_457:
	s_or_b32 exec_lo, exec_lo, s0
	s_and_saveexec_b32 s0, vcc_lo
	s_cbranch_execz .LBB210_459
.LBB210_458:
	ds_load_b32 v7, v7 offset:320
	s_waitcnt lgkmcnt(0)
	v_add_f32_e32 v1, v1, v7
.LBB210_459:
	s_or_b32 exec_lo, exec_lo, s0
.LBB210_460:
	s_delay_alu instid0(SALU_CYCLE_1)
	s_or_b32 exec_lo, exec_lo, s1
	s_barrier
	buffer_gl0_inv
	s_mov_b32 s0, exec_lo
	v_cmpx_eq_u32_e32 0, v10
	s_cbranch_execz .LBB210_462
; %bb.461:
	s_mul_i32 s0, s4, 0x60
	s_mul_i32 s2, s11, s24
	s_ashr_i32 s1, s0, 31
	v_lshlrev_b32_e32 v0, 1, v0
	s_lshl_b64 s[0:1], s[0:1], 2
	s_delay_alu instid0(SALU_CYCLE_1) | instskip(SKIP_2) | instid1(SALU_CYCLE_1)
	s_add_u32 s4, s26, s0
	s_addc_u32 s5, s27, s1
	s_ashr_i32 s3, s2, 31
	s_lshl_b64 s[0:1], s[2:3], 2
	s_mul_i32 s2, s12, 0x60
	s_add_u32 s4, s4, s0
	s_addc_u32 s5, s5, s1
	s_ashr_i32 s3, s2, 31
	s_delay_alu instid0(SALU_CYCLE_1) | instskip(NEXT) | instid1(SALU_CYCLE_1)
	s_lshl_b64 s[0:1], s[2:3], 2
	s_add_u32 s0, s4, s0
	s_addc_u32 s1, s5, s1
	s_clause 0x5
	global_store_b32 v0, v6, s[0:1]
	global_store_b32 v0, v5, s[0:1] offset:64
	global_store_b32 v0, v4, s[0:1] offset:128
	;; [unrolled: 1-line block ×5, first 2 shown]
.LBB210_462:
	s_nop 0
	s_sendmsg sendmsg(MSG_DEALLOC_VGPRS)
	s_endpgm
.LBB210_463:
	v_lshl_add_u32 v10, v7, 2, v8
	ds_load_b32 v10, v10
	s_waitcnt lgkmcnt(0)
	v_add_f32_e32 v6, v6, v10
	s_or_b32 exec_lo, exec_lo, s0
	s_and_saveexec_b32 s0, vcc_lo
	s_cbranch_execz .LBB210_443
.LBB210_464:
	v_lshl_add_u32 v10, v7, 2, v8
	ds_load_b32 v10, v10 offset:64
	s_waitcnt lgkmcnt(0)
	v_add_f32_e32 v5, v5, v10
	s_or_b32 exec_lo, exec_lo, s0
	s_and_saveexec_b32 s0, vcc_lo
	s_cbranch_execz .LBB210_444
.LBB210_465:
	v_lshl_add_u32 v10, v7, 2, v8
	ds_load_b32 v10, v10 offset:128
	s_waitcnt lgkmcnt(0)
	v_add_f32_e32 v4, v4, v10
	s_or_b32 exec_lo, exec_lo, s0
	s_and_saveexec_b32 s0, vcc_lo
	s_cbranch_execz .LBB210_445
.LBB210_466:
	v_lshl_add_u32 v10, v7, 2, v8
	ds_load_b32 v10, v10 offset:192
	s_waitcnt lgkmcnt(0)
	v_add_f32_e32 v3, v3, v10
	s_or_b32 exec_lo, exec_lo, s0
	s_and_saveexec_b32 s0, vcc_lo
	s_cbranch_execz .LBB210_446
.LBB210_467:
	v_lshl_add_u32 v10, v7, 2, v8
	ds_load_b32 v10, v10 offset:256
	s_waitcnt lgkmcnt(0)
	v_add_f32_e32 v2, v2, v10
	s_or_b32 exec_lo, exec_lo, s0
	s_and_saveexec_b32 s0, vcc_lo
	s_cbranch_execnz .LBB210_447
	s_branch .LBB210_448
.LBB210_468:
	ds_load_b32 v8, v7
	s_waitcnt lgkmcnt(0)
	v_add_f32_e32 v6, v6, v8
	s_or_b32 exec_lo, exec_lo, s0
	s_and_saveexec_b32 s0, vcc_lo
	s_cbranch_execz .LBB210_454
.LBB210_469:
	ds_load_b32 v8, v7 offset:64
	s_waitcnt lgkmcnt(0)
	v_add_f32_e32 v5, v5, v8
	s_or_b32 exec_lo, exec_lo, s0
	s_and_saveexec_b32 s0, vcc_lo
	s_cbranch_execz .LBB210_455
.LBB210_470:
	ds_load_b32 v8, v7 offset:128
	s_waitcnt lgkmcnt(0)
	v_add_f32_e32 v4, v4, v8
	s_or_b32 exec_lo, exec_lo, s0
	s_and_saveexec_b32 s0, vcc_lo
	s_cbranch_execz .LBB210_456
.LBB210_471:
	ds_load_b32 v8, v7 offset:192
	s_waitcnt lgkmcnt(0)
	v_add_f32_e32 v3, v3, v8
	s_or_b32 exec_lo, exec_lo, s0
	s_and_saveexec_b32 s0, vcc_lo
	s_cbranch_execz .LBB210_457
.LBB210_472:
	ds_load_b32 v8, v7 offset:256
	s_waitcnt lgkmcnt(0)
	v_add_f32_e32 v2, v2, v8
	s_or_b32 exec_lo, exec_lo, s0
	s_and_saveexec_b32 s0, vcc_lo
	s_cbranch_execnz .LBB210_458
	s_branch .LBB210_459
	.section	.rodata,"a",@progbits
	.p2align	6, 0x0
	.amdhsa_kernel _ZN4vllm25paged_attention_v2_kernelIfhLi96ELi8ELi128ELNS_18Fp8KVCacheDataTypeE1ELb1ELi512EEEvPfS2_PT_PKS3_PKT0_S9_ifPKiSB_iPKfiiiSD_SD_iiiii
		.amdhsa_group_segment_fixed_size 416
		.amdhsa_private_segment_fixed_size 0
		.amdhsa_kernarg_size 400
		.amdhsa_user_sgpr_count 13
		.amdhsa_user_sgpr_dispatch_ptr 0
		.amdhsa_user_sgpr_queue_ptr 0
		.amdhsa_user_sgpr_kernarg_segment_ptr 1
		.amdhsa_user_sgpr_dispatch_id 0
		.amdhsa_user_sgpr_private_segment_size 0
		.amdhsa_wavefront_size32 1
		.amdhsa_uses_dynamic_stack 0
		.amdhsa_enable_private_segment 0
		.amdhsa_system_sgpr_workgroup_id_x 1
		.amdhsa_system_sgpr_workgroup_id_y 1
		.amdhsa_system_sgpr_workgroup_id_z 1
		.amdhsa_system_sgpr_workgroup_info 0
		.amdhsa_system_vgpr_workitem_id 0
		.amdhsa_next_free_vgpr 76
		.amdhsa_next_free_sgpr 53
		.amdhsa_reserve_vcc 1
		.amdhsa_float_round_mode_32 0
		.amdhsa_float_round_mode_16_64 0
		.amdhsa_float_denorm_mode_32 3
		.amdhsa_float_denorm_mode_16_64 3
		.amdhsa_dx10_clamp 1
		.amdhsa_ieee_mode 1
		.amdhsa_fp16_overflow 0
		.amdhsa_workgroup_processor_mode 1
		.amdhsa_memory_ordered 1
		.amdhsa_forward_progress 0
		.amdhsa_shared_vgpr_count 0
		.amdhsa_exception_fp_ieee_invalid_op 0
		.amdhsa_exception_fp_denorm_src 0
		.amdhsa_exception_fp_ieee_div_zero 0
		.amdhsa_exception_fp_ieee_overflow 0
		.amdhsa_exception_fp_ieee_underflow 0
		.amdhsa_exception_fp_ieee_inexact 0
		.amdhsa_exception_int_div_zero 0
	.end_amdhsa_kernel
	.section	.text._ZN4vllm25paged_attention_v2_kernelIfhLi96ELi8ELi128ELNS_18Fp8KVCacheDataTypeE1ELb1ELi512EEEvPfS2_PT_PKS3_PKT0_S9_ifPKiSB_iPKfiiiSD_SD_iiiii,"axG",@progbits,_ZN4vllm25paged_attention_v2_kernelIfhLi96ELi8ELi128ELNS_18Fp8KVCacheDataTypeE1ELb1ELi512EEEvPfS2_PT_PKS3_PKT0_S9_ifPKiSB_iPKfiiiSD_SD_iiiii,comdat
.Lfunc_end210:
	.size	_ZN4vllm25paged_attention_v2_kernelIfhLi96ELi8ELi128ELNS_18Fp8KVCacheDataTypeE1ELb1ELi512EEEvPfS2_PT_PKS3_PKT0_S9_ifPKiSB_iPKfiiiSD_SD_iiiii, .Lfunc_end210-_ZN4vllm25paged_attention_v2_kernelIfhLi96ELi8ELi128ELNS_18Fp8KVCacheDataTypeE1ELb1ELi512EEEvPfS2_PT_PKS3_PKT0_S9_ifPKiSB_iPKfiiiSD_SD_iiiii
                                        ; -- End function
	.section	.AMDGPU.csdata,"",@progbits
; Kernel info:
; codeLenInByte = 16428
; NumSgprs: 55
; NumVgprs: 76
; ScratchSize: 0
; MemoryBound: 0
; FloatMode: 240
; IeeeMode: 1
; LDSByteSize: 416 bytes/workgroup (compile time only)
; SGPRBlocks: 6
; VGPRBlocks: 9
; NumSGPRsForWavesPerEU: 55
; NumVGPRsForWavesPerEU: 76
; Occupancy: 16
; WaveLimiterHint : 1
; COMPUTE_PGM_RSRC2:SCRATCH_EN: 0
; COMPUTE_PGM_RSRC2:USER_SGPR: 13
; COMPUTE_PGM_RSRC2:TRAP_HANDLER: 0
; COMPUTE_PGM_RSRC2:TGID_X_EN: 1
; COMPUTE_PGM_RSRC2:TGID_Y_EN: 1
; COMPUTE_PGM_RSRC2:TGID_Z_EN: 1
; COMPUTE_PGM_RSRC2:TIDIG_COMP_CNT: 0
	.section	.text._ZN4vllm25paged_attention_v2_kernelIfhLi112ELi8ELi128ELNS_18Fp8KVCacheDataTypeE1ELb1ELi512EEEvPfS2_PT_PKS3_PKT0_S9_ifPKiSB_iPKfiiiSD_SD_iiiii,"axG",@progbits,_ZN4vllm25paged_attention_v2_kernelIfhLi112ELi8ELi128ELNS_18Fp8KVCacheDataTypeE1ELb1ELi512EEEvPfS2_PT_PKS3_PKT0_S9_ifPKiSB_iPKfiiiSD_SD_iiiii,comdat
	.protected	_ZN4vllm25paged_attention_v2_kernelIfhLi112ELi8ELi128ELNS_18Fp8KVCacheDataTypeE1ELb1ELi512EEEvPfS2_PT_PKS3_PKT0_S9_ifPKiSB_iPKfiiiSD_SD_iiiii ; -- Begin function _ZN4vllm25paged_attention_v2_kernelIfhLi112ELi8ELi128ELNS_18Fp8KVCacheDataTypeE1ELb1ELi512EEEvPfS2_PT_PKS3_PKT0_S9_ifPKiSB_iPKfiiiSD_SD_iiiii
	.globl	_ZN4vllm25paged_attention_v2_kernelIfhLi112ELi8ELi128ELNS_18Fp8KVCacheDataTypeE1ELb1ELi512EEEvPfS2_PT_PKS3_PKT0_S9_ifPKiSB_iPKfiiiSD_SD_iiiii
	.p2align	8
	.type	_ZN4vllm25paged_attention_v2_kernelIfhLi112ELi8ELi128ELNS_18Fp8KVCacheDataTypeE1ELb1ELi512EEEvPfS2_PT_PKS3_PKT0_S9_ifPKiSB_iPKfiiiSD_SD_iiiii,@function
_ZN4vllm25paged_attention_v2_kernelIfhLi112ELi8ELi128ELNS_18Fp8KVCacheDataTypeE1ELb1ELi512EEEvPfS2_PT_PKS3_PKT0_S9_ifPKiSB_iPKfiiiSD_SD_iiiii: ; @_ZN4vllm25paged_attention_v2_kernelIfhLi112ELi8ELi128ELNS_18Fp8KVCacheDataTypeE1ELb1ELi512EEEvPfS2_PT_PKS3_PKT0_S9_ifPKiSB_iPKfiiiSD_SD_iiiii
; %bb.0:
	s_load_b64 s[2:3], s[0:1], 0x40
	s_mov_b32 s12, s15
	s_ashr_i32 s15, s14, 31
	s_delay_alu instid0(SALU_CYCLE_1)
	s_lshl_b64 s[4:5], s[14:15], 2
	s_waitcnt lgkmcnt(0)
	s_add_u32 s2, s2, s4
	s_addc_u32 s3, s3, s5
	s_lshl_b32 s40, s12, 9
	s_load_b32 s15, s[2:3], 0x0
	s_waitcnt lgkmcnt(0)
	s_cmp_ge_i32 s40, s15
	s_cbranch_scc1 .LBB211_530
; %bb.1:
	s_mov_b32 s28, s13
	s_clause 0x1
	s_load_b32 s13, s[0:1], 0x90
	s_load_b64 s[38:39], s[0:1], 0x30
	s_mov_b32 s42, 0
	s_waitcnt lgkmcnt(0)
	s_abs_i32 s5, s13
	s_abs_i32 s2, s38
	s_delay_alu instid0(SALU_CYCLE_1) | instskip(SKIP_1) | instid1(VALU_DEP_1)
	v_cvt_f32_u32_e32 v1, s2
	s_sub_i32 s4, 0, s2
	v_rcp_iflag_f32_e32 v1, v1
	s_waitcnt_depctr 0xfff
	v_mul_f32_e32 v1, 0x4f7ffffe, v1
	s_delay_alu instid0(VALU_DEP_1) | instskip(NEXT) | instid1(VALU_DEP_1)
	v_cvt_u32_f32_e32 v1, v1
	v_readfirstlane_b32 s3, v1
	s_delay_alu instid0(VALU_DEP_1) | instskip(NEXT) | instid1(SALU_CYCLE_1)
	s_mul_i32 s4, s4, s3
	s_mul_hi_u32 s4, s3, s4
	s_delay_alu instid0(SALU_CYCLE_1) | instskip(SKIP_4) | instid1(SALU_CYCLE_1)
	s_add_i32 s3, s3, s4
	s_xor_b32 s4, s13, s38
	s_mul_hi_u32 s3, s5, s3
	s_ashr_i32 s4, s4, 31
	s_mul_i32 s6, s3, s2
	s_sub_i32 s5, s5, s6
	s_add_i32 s6, s3, 1
	s_sub_i32 s7, s5, s2
	s_cmp_ge_u32 s5, s2
	s_cselect_b32 s3, s6, s3
	s_cselect_b32 s5, s7, s5
	s_add_i32 s6, s3, 1
	s_cmp_ge_u32 s5, s2
	s_cselect_b32 s2, s6, s3
	s_delay_alu instid0(SALU_CYCLE_1) | instskip(NEXT) | instid1(SALU_CYCLE_1)
	s_xor_b32 s2, s2, s4
	s_sub_i32 s7, s2, s4
	s_load_b64 s[2:3], s[0:1], 0x50
	s_abs_i32 s4, s7
	s_delay_alu instid0(SALU_CYCLE_1) | instskip(SKIP_1) | instid1(VALU_DEP_1)
	v_cvt_f32_u32_e32 v1, s4
	s_sub_i32 s5, 0, s4
	v_rcp_iflag_f32_e32 v1, v1
	s_waitcnt_depctr 0xfff
	v_mul_f32_e32 v1, 0x4f7ffffe, v1
	s_delay_alu instid0(VALU_DEP_1) | instskip(NEXT) | instid1(VALU_DEP_1)
	v_cvt_u32_f32_e32 v1, v1
	v_readfirstlane_b32 s6, v1
	s_delay_alu instid0(VALU_DEP_1) | instskip(NEXT) | instid1(SALU_CYCLE_1)
	s_mul_i32 s5, s5, s6
	s_mul_hi_u32 s8, s6, s5
	s_abs_i32 s5, s28
	s_add_i32 s6, s6, s8
	s_waitcnt lgkmcnt(0)
	s_cmp_eq_u64 s[2:3], 0
	s_mul_hi_u32 s6, s5, s6
	s_cbranch_scc1 .LBB211_3
; %bb.2:
	s_ashr_i32 s29, s28, 31
	s_delay_alu instid0(SALU_CYCLE_1) | instskip(NEXT) | instid1(SALU_CYCLE_1)
	s_lshl_b64 s[8:9], s[28:29], 2
	s_add_u32 s2, s2, s8
	s_addc_u32 s3, s3, s9
	s_load_b32 s42, s[2:3], 0x0
.LBB211_3:
	s_load_b128 s[8:11], s[0:1], 0x58
	v_and_b32_e32 v44, 3, v0
	v_lshlrev_b32_e32 v43, 2, v0
	s_ashr_i32 s2, s28, 31
	s_ashr_i32 s3, s7, 31
	s_mul_i32 s24, s28, 0x70
	s_mov_b32 s7, exec_lo
	v_cmpx_gt_u32_e32 0x70, v0
	s_cbranch_execz .LBB211_5
; %bb.4:
	s_load_b64 s[16:17], s[0:1], 0x18
	s_waitcnt lgkmcnt(0)
	s_mul_i32 s18, s14, s8
	v_and_b32_e32 v2, 0x3fc, v0
	s_ashr_i32 s19, s18, 31
	s_delay_alu instid0(SALU_CYCLE_1) | instskip(NEXT) | instid1(VALU_DEP_1)
	s_lshl_b64 s[18:19], s[18:19], 2
	v_mad_u32_u24 v2, 0x70, v44, v2
	s_add_u32 s8, s16, s18
	s_addc_u32 s11, s17, s19
	s_ashr_i32 s25, s24, 31
	s_delay_alu instid0(SALU_CYCLE_1) | instskip(NEXT) | instid1(SALU_CYCLE_1)
	s_lshl_b64 s[16:17], s[24:25], 2
	s_add_u32 s16, s8, s16
	s_addc_u32 s17, s11, s17
	global_load_b32 v1, v43, s[16:17]
	s_waitcnt vmcnt(0)
	ds_store_b32 v2, v1
.LBB211_5:
	s_or_b32 exec_lo, exec_lo, s7
	s_load_b128 s[16:19], s[0:1], 0x78
	s_mul_i32 s7, s6, s4
	s_xor_b32 s2, s2, s3
	s_sub_i32 s3, s5, s7
	s_add_i32 s5, s6, 1
	s_sub_i32 s7, s3, s4
	s_cmp_ge_u32 s3, s4
	s_waitcnt lgkmcnt(0)
	s_cselect_b32 s5, s5, s6
	s_cselect_b32 s3, s7, s3
	s_add_i32 s6, s5, 1
	s_cmp_ge_u32 s3, s4
	s_load_b32 s4, s[0:1], 0x88
	s_cselect_b32 s3, s6, s5
	s_add_i32 s5, s15, -1
	s_xor_b32 s3, s3, s2
	s_abs_i32 s8, s5
	s_sub_i32 s3, s3, s2
	s_mov_b32 s6, -1
	s_waitcnt lgkmcnt(0)
	s_barrier
	s_abs_i32 s25, s19
	buffer_gl0_inv
	v_cvt_f32_u32_e32 v1, s25
	s_sub_i32 s2, 0, s25
                                        ; implicit-def: $sgpr33
	s_delay_alu instid0(VALU_DEP_1) | instskip(SKIP_2) | instid1(VALU_DEP_1)
	v_rcp_iflag_f32_e32 v1, v1
	s_waitcnt_depctr 0xfff
	v_mul_f32_e32 v1, 0x4f7ffffe, v1
	v_cvt_u32_f32_e32 v1, v1
	s_delay_alu instid0(VALU_DEP_1) | instskip(NEXT) | instid1(VALU_DEP_1)
	v_readfirstlane_b32 s29, v1
	s_mul_i32 s2, s2, s29
	s_delay_alu instid0(SALU_CYCLE_1) | instskip(NEXT) | instid1(SALU_CYCLE_1)
	s_mul_hi_u32 s2, s29, s2
	s_add_i32 s29, s29, s2
	s_cmp_lt_i32 s4, 0
	s_mul_hi_u32 s2, s8, s29
	s_cbranch_scc0 .LBB211_7
; %bb.6:
	s_mul_i32 s6, s16, s38
	s_delay_alu instid0(SALU_CYCLE_1) | instskip(NEXT) | instid1(SALU_CYCLE_1)
	s_add_i32 s6, s3, s6
	s_mul_i32 s6, s6, s4
	s_delay_alu instid0(SALU_CYCLE_1)
	s_sub_i32 s33, 1, s6
	s_mov_b32 s6, 0
.LBB211_7:
	s_load_b64 s[30:31], s[0:1], 0x38
	s_ashr_i32 s34, s5, 31
	s_and_not1_b32 vcc_lo, exec_lo, s6
	s_ashr_i32 s19, s19, 31
	s_cbranch_vccnz .LBB211_9
; %bb.8:
	s_mul_i32 s5, s13, s16
	s_delay_alu instid0(SALU_CYCLE_1) | instskip(NEXT) | instid1(SALU_CYCLE_1)
	s_add_i32 s5, s5, s28
	s_mul_i32 s4, s5, s4
	s_delay_alu instid0(SALU_CYCLE_1)
	s_add_i32 s33, s4, 1
.LBB211_9:
	s_clause 0x5
	s_load_b32 s16, s[0:1], 0x48
	s_load_b64 s[36:37], s[0:1], 0x28
	s_load_b128 s[20:23], s[0:1], 0x0
	s_load_b64 s[26:27], s[0:1], 0x10
	s_load_b32 s11, s[0:1], 0x98
	s_load_b128 s[4:7], s[0:1], 0x68
	s_xor_b32 s41, s34, s19
	s_mul_i32 s34, s2, s25
	s_add_i32 s38, s2, 1
	s_sub_i32 s8, s8, s34
	v_lshrrev_b32_e32 v41, 5, v0
	v_mov_b32_e32 v46, 0xff7fffff
	v_mbcnt_lo_u32_b32 v45, -1, 0
	s_mul_i32 s10, s3, s10
	s_delay_alu instid0(VALU_DEP_3)
	v_lshl_add_u32 v42, v41, 3, s40
	s_waitcnt lgkmcnt(0)
	s_mul_i32 s34, s14, s16
	s_sub_i32 s16, s8, s25
	s_ashr_i32 s35, s34, 31
	s_cmp_ge_u32 s8, s25
	s_cselect_b32 s2, s38, s2
	s_cselect_b32 s8, s16, s8
	s_add_i32 s16, s2, 1
	s_cmp_ge_u32 s8, s25
	s_cselect_b32 s2, s16, s2
	s_add_i32 s16, s15, 7
	s_lshl_b32 s8, s12, 6
	s_ashr_i32 s38, s16, 31
	v_or_b32_e32 v29, s8, v41
	s_lshr_b32 s38, s38, 29
	s_add_i32 s43, s8, 64
	s_add_i32 s16, s16, s38
	s_xor_b32 s44, s2, s41
	s_ashr_i32 s38, s16, 3
	v_ashrrev_i32_e32 v30, 31, v29
	s_min_i32 s16, s43, s38
	s_sub_i32 s41, s44, s41
	v_cmp_gt_i32_e64 s2, s16, v29
	s_delay_alu instid0(VALU_DEP_1)
	s_and_saveexec_b32 s43, s2
	s_cbranch_execz .LBB211_243
; %bb.10:
	s_load_b64 s[0:1], s[0:1], 0x20
	s_sub_i32 s44, s41, s17
	s_ashr_i32 s3, s10, 31
	v_bfe_u32 v47, v0, 2, 3
	v_mov_b32_e32 v50, 0xff7fffff
	v_cmp_eq_u32_e32 vcc_lo, 0, v44
	v_mul_u32_u24_e32 v48, 0x70, v44
	v_lshl_add_u32 v49, v41, 3, s40
	v_lshlrev_b32_e32 v7, 4, v47
	v_lshlrev_b32_e32 v4, 2, v47
	v_subrev_nc_u32_e32 v5, s15, v47
	v_mov_b32_e32 v46, 0xff7fffff
	v_mov_b32_e32 v32, 0
	;; [unrolled: 1-line block ×3, first 2 shown]
	v_lshl_or_b32 v4, v41, 5, v4
	v_add_nc_u32_e32 v51, 1, v5
	s_delay_alu instid0(VALU_DEP_2)
	v_add_nc_u32_e32 v52, 0x1e0, v4
	s_waitcnt lgkmcnt(0)
	s_add_u32 s48, s0, s10
	s_addc_u32 s1, s1, s3
	s_abs_i32 s45, s18
	s_lshl_b64 s[46:47], s[34:35], 2
	v_cvt_f32_u32_e32 v1, s45
	s_sub_i32 s3, 0, s45
	v_cmp_neq_f32_e64 s0, s42, 0
	s_delay_alu instid0(VALU_DEP_2) | instskip(SKIP_3) | instid1(VALU_DEP_2)
	v_rcp_iflag_f32_e32 v1, v1
	s_waitcnt_depctr 0xfff
	v_mul_f32_e32 v3, 0x4f7ffffe, v1
	v_lshlrev_b64 v[1:2], 2, v[29:30]
	v_cvt_u32_f32_e32 v3, v3
	s_delay_alu instid0(VALU_DEP_1) | instskip(SKIP_1) | instid1(VALU_DEP_1)
	v_mul_lo_u32 v6, s3, v3
	v_add_co_u32 v33, s3, s48, v7
	v_add_co_ci_u32_e64 v34, null, s1, 0, s3
	s_add_u32 s1, s30, s46
	s_addc_u32 s3, s31, s47
	v_add_co_u32 v35, s1, s1, v1
	s_delay_alu instid0(VALU_DEP_4) | instskip(SKIP_3) | instid1(VALU_DEP_2)
	v_mul_hi_u32 v4, v3, v6
	v_add_co_ci_u32_e64 v36, s1, s3, v2, s1
	s_mov_b32 s46, 0
	s_mov_b32 s47, s9
	v_add_nc_u32_e32 v53, v3, v4
	s_branch .LBB211_13
.LBB211_11:                             ;   in Loop: Header=BB211_13 Depth=1
	s_or_b32 exec_lo, exec_lo, s48
.LBB211_12:                             ;   in Loop: Header=BB211_13 Depth=1
	s_delay_alu instid0(SALU_CYCLE_1) | instskip(SKIP_2) | instid1(VALU_DEP_1)
	s_or_b32 exec_lo, exec_lo, s3
	v_add_nc_u32_e32 v54, 4, v54
	v_add_co_u32 v35, s3, v35, 16
	v_add_co_ci_u32_e64 v36, s3, 0, v36, s3
	s_delay_alu instid0(VALU_DEP_3) | instskip(SKIP_2) | instid1(VALU_DEP_3)
	v_cmp_le_i32_e64 s1, s16, v54
	v_add_nc_u32_e32 v49, 32, v49
	v_add_nc_u32_e32 v52, 0x80, v52
	s_or_b32 s46, s1, s46
	s_delay_alu instid0(SALU_CYCLE_1)
	s_and_not1_b32 exec_lo, exec_lo, s46
	s_cbranch_execz .LBB211_242
.LBB211_13:                             ; =>This Inner Loop Header: Depth=1
	v_sub_nc_u32_e32 v1, 0, v49
	s_delay_alu instid0(VALU_DEP_1) | instskip(SKIP_1) | instid1(VALU_DEP_1)
	v_max_i32_e32 v1, v49, v1
	s_waitcnt lgkmcnt(0)
	v_mul_hi_u32 v2, v1, s29
	s_delay_alu instid0(VALU_DEP_1) | instskip(NEXT) | instid1(VALU_DEP_1)
	v_mul_lo_u32 v3, v2, s25
	v_sub_nc_u32_e32 v1, v1, v3
	v_add_nc_u32_e32 v3, 1, v2
	s_delay_alu instid0(VALU_DEP_2) | instskip(SKIP_1) | instid1(VALU_DEP_1)
	v_subrev_nc_u32_e32 v4, s25, v1
	v_cmp_le_u32_e64 s1, s25, v1
	v_cndmask_b32_e64 v2, v2, v3, s1
	s_delay_alu instid0(VALU_DEP_3) | instskip(SKIP_1) | instid1(VALU_DEP_3)
	v_cndmask_b32_e64 v1, v1, v4, s1
	v_ashrrev_i32_e32 v3, 31, v49
	v_add_nc_u32_e32 v4, 1, v2
	s_delay_alu instid0(VALU_DEP_3) | instskip(NEXT) | instid1(VALU_DEP_3)
	v_cmp_le_u32_e64 s1, s25, v1
	v_xor_b32_e32 v3, s19, v3
	s_delay_alu instid0(VALU_DEP_2) | instskip(NEXT) | instid1(VALU_DEP_1)
	v_cndmask_b32_e64 v1, v2, v4, s1
	v_xor_b32_e32 v1, v1, v3
	s_delay_alu instid0(VALU_DEP_1) | instskip(NEXT) | instid1(VALU_DEP_1)
	v_sub_nc_u32_e32 v1, v1, v3
	v_add_nc_u32_e32 v2, s33, v1
	v_cmp_ge_i32_e64 s3, s44, v1
	s_delay_alu instid0(VALU_DEP_2) | instskip(NEXT) | instid1(VALU_DEP_1)
	v_sub_nc_u32_e32 v3, 0, v2
	v_max_i32_e32 v3, v2, v3
	v_ashrrev_i32_e32 v2, 31, v2
	s_delay_alu instid0(VALU_DEP_2) | instskip(NEXT) | instid1(VALU_DEP_1)
	v_mul_hi_u32 v4, v3, v53
	v_mul_lo_u32 v4, v4, s45
	s_delay_alu instid0(VALU_DEP_1) | instskip(NEXT) | instid1(VALU_DEP_1)
	v_sub_nc_u32_e32 v3, v3, v4
	v_subrev_nc_u32_e32 v4, s45, v3
	v_cmp_le_u32_e64 s1, s45, v3
	s_delay_alu instid0(VALU_DEP_1) | instskip(NEXT) | instid1(VALU_DEP_1)
	v_cndmask_b32_e64 v3, v3, v4, s1
	v_subrev_nc_u32_e32 v4, s45, v3
	v_cmp_le_u32_e64 s1, s45, v3
	s_delay_alu instid0(VALU_DEP_1) | instskip(NEXT) | instid1(VALU_DEP_1)
	v_cndmask_b32_e64 v3, v3, v4, s1
	v_xor_b32_e32 v3, v3, v2
	s_delay_alu instid0(VALU_DEP_1) | instskip(NEXT) | instid1(VALU_DEP_1)
	v_sub_nc_u32_e32 v2, v3, v2
	v_cmp_ne_u32_e64 s1, 0, v2
	s_delay_alu instid0(VALU_DEP_1) | instskip(NEXT) | instid1(SALU_CYCLE_1)
	s_and_b32 s1, s1, s3
	s_and_b32 s48, vcc_lo, s1
	s_delay_alu instid0(SALU_CYCLE_1)
	s_and_saveexec_b32 s3, s48
	s_cbranch_execz .LBB211_15
; %bb.14:                               ;   in Loop: Header=BB211_13 Depth=1
	ds_store_b32 v52, v50
.LBB211_15:                             ;   in Loop: Header=BB211_13 Depth=1
	s_or_b32 exec_lo, exec_lo, s3
	s_xor_b32 s1, s1, -1
	s_delay_alu instid0(SALU_CYCLE_1)
	s_and_saveexec_b32 s3, s1
	s_cbranch_execz .LBB211_12
; %bb.16:                               ;   in Loop: Header=BB211_13 Depth=1
	global_load_b32 v3, v[35:36], off
	v_dual_mov_b32 v55, 0 :: v_dual_mov_b32 v56, 0
	s_mov_b32 s49, exec_lo
	s_waitcnt vmcnt(0)
	v_mad_i64_i32 v[1:2], null, v3, s47, v[33:34]
	s_delay_alu instid0(VALU_DEP_1) | instskip(NEXT) | instid1(VALU_DEP_1)
	v_add_co_u32 v37, s1, v1, v44
	v_add_co_ci_u32_e64 v38, s1, 0, v2, s1
	global_load_u8 v39, v[37:38], off
	ds_load_b128 v[25:28], v48
	ds_load_b128 v[21:24], v48 offset:16
	ds_load_b128 v[17:20], v48 offset:32
	;; [unrolled: 1-line block ×6, first 2 shown]
	s_load_b32 s48, s[4:5], 0x0
	s_waitcnt vmcnt(0)
	v_cmpx_ne_u16_e32 0, v39
	s_cbranch_execz .LBB211_24
; %bb.17:                               ;   in Loop: Header=BB211_13 Depth=1
	v_bfrev_b32_e32 v56, 1
	s_mov_b32 s50, exec_lo
	v_cmpx_ne_u16_e32 0x80, v39
	s_cbranch_execz .LBB211_23
; %bb.18:                               ;   in Loop: Header=BB211_13 Depth=1
	v_and_b32_e32 v31, 0xffff, v39
	v_mov_b32_e32 v56, 0x7f800001
	s_mov_b32 s51, exec_lo
	s_delay_alu instid0(VALU_DEP_2) | instskip(NEXT) | instid1(VALU_DEP_1)
	v_and_b32_e32 v57, 0x7f, v31
	v_cmpx_ne_u32_e32 0x7f, v57
	s_cbranch_execz .LBB211_22
; %bb.19:                               ;   in Loop: Header=BB211_13 Depth=1
	v_and_b32_e32 v31, 7, v31
	v_lshrrev_b32_e32 v40, 3, v57
	s_mov_b32 s52, exec_lo
	v_cmpx_gt_u32_e32 8, v57
; %bb.20:                               ;   in Loop: Header=BB211_13 Depth=1
	s_delay_alu instid0(VALU_DEP_3) | instskip(NEXT) | instid1(VALU_DEP_1)
	v_clz_i32_u32_e32 v40, v31
	v_min_u32_e32 v40, 32, v40
	s_delay_alu instid0(VALU_DEP_1) | instskip(SKIP_1) | instid1(VALU_DEP_2)
	v_subrev_nc_u32_e32 v56, 28, v40
	v_sub_nc_u32_e32 v40, 29, v40
	v_lshlrev_b64 v[56:57], v56, v[31:32]
	s_delay_alu instid0(VALU_DEP_1)
	v_and_b32_e32 v31, 7, v56
; %bb.21:                               ;   in Loop: Header=BB211_13 Depth=1
	s_or_b32 exec_lo, exec_lo, s52
	v_lshlrev_b32_e32 v39, 24, v39
	s_delay_alu instid0(VALU_DEP_2) | instskip(SKIP_1) | instid1(VALU_DEP_3)
	v_lshlrev_b32_e32 v31, 20, v31
	v_lshl_add_u32 v40, v40, 23, 0x3c000000
	v_and_b32_e32 v39, 0x80000000, v39
	s_delay_alu instid0(VALU_DEP_1)
	v_or3_b32 v56, v31, v39, v40
.LBB211_22:                             ;   in Loop: Header=BB211_13 Depth=1
	s_or_b32 exec_lo, exec_lo, s51
.LBB211_23:                             ;   in Loop: Header=BB211_13 Depth=1
	s_delay_alu instid0(SALU_CYCLE_1)
	s_or_b32 exec_lo, exec_lo, s50
.LBB211_24:                             ;   in Loop: Header=BB211_13 Depth=1
	s_delay_alu instid0(SALU_CYCLE_1)
	s_or_b32 exec_lo, exec_lo, s49
	global_load_u8 v39, v[37:38], off offset:4
	s_mov_b32 s49, exec_lo
	s_waitcnt vmcnt(0)
	v_cmpx_ne_u16_e32 0, v39
	s_cbranch_execz .LBB211_32
; %bb.25:                               ;   in Loop: Header=BB211_13 Depth=1
	v_bfrev_b32_e32 v55, 1
	s_mov_b32 s50, exec_lo
	v_cmpx_ne_u16_e32 0x80, v39
	s_cbranch_execz .LBB211_31
; %bb.26:                               ;   in Loop: Header=BB211_13 Depth=1
	v_and_b32_e32 v31, 0xffff, v39
	v_mov_b32_e32 v55, 0x7f800001
	s_mov_b32 s51, exec_lo
	s_delay_alu instid0(VALU_DEP_2) | instskip(NEXT) | instid1(VALU_DEP_1)
	v_and_b32_e32 v57, 0x7f, v31
	v_cmpx_ne_u32_e32 0x7f, v57
	s_cbranch_execz .LBB211_30
; %bb.27:                               ;   in Loop: Header=BB211_13 Depth=1
	v_and_b32_e32 v31, 7, v31
	v_lshrrev_b32_e32 v40, 3, v57
	s_mov_b32 s52, exec_lo
	v_cmpx_gt_u32_e32 8, v57
; %bb.28:                               ;   in Loop: Header=BB211_13 Depth=1
	s_delay_alu instid0(VALU_DEP_3) | instskip(NEXT) | instid1(VALU_DEP_1)
	v_clz_i32_u32_e32 v40, v31
	v_min_u32_e32 v40, 32, v40
	s_delay_alu instid0(VALU_DEP_1) | instskip(SKIP_1) | instid1(VALU_DEP_2)
	v_subrev_nc_u32_e32 v55, 28, v40
	v_sub_nc_u32_e32 v40, 29, v40
	v_lshlrev_b64 v[57:58], v55, v[31:32]
	s_delay_alu instid0(VALU_DEP_1)
	v_and_b32_e32 v31, 7, v57
; %bb.29:                               ;   in Loop: Header=BB211_13 Depth=1
	s_or_b32 exec_lo, exec_lo, s52
	v_lshlrev_b32_e32 v39, 24, v39
	s_delay_alu instid0(VALU_DEP_2) | instskip(SKIP_1) | instid1(VALU_DEP_3)
	v_lshlrev_b32_e32 v31, 20, v31
	v_lshl_add_u32 v40, v40, 23, 0x3c000000
	v_and_b32_e32 v39, 0x80000000, v39
	s_delay_alu instid0(VALU_DEP_1)
	v_or3_b32 v55, v31, v39, v40
.LBB211_30:                             ;   in Loop: Header=BB211_13 Depth=1
	s_or_b32 exec_lo, exec_lo, s51
.LBB211_31:                             ;   in Loop: Header=BB211_13 Depth=1
	s_delay_alu instid0(SALU_CYCLE_1)
	s_or_b32 exec_lo, exec_lo, s50
.LBB211_32:                             ;   in Loop: Header=BB211_13 Depth=1
	s_delay_alu instid0(SALU_CYCLE_1)
	s_or_b32 exec_lo, exec_lo, s49
	global_load_u8 v39, v[37:38], off offset:8
	v_dual_mov_b32 v57, 0 :: v_dual_mov_b32 v58, 0
	s_mov_b32 s49, exec_lo
	s_waitcnt vmcnt(0)
	v_cmpx_ne_u16_e32 0, v39
	s_cbranch_execz .LBB211_40
; %bb.33:                               ;   in Loop: Header=BB211_13 Depth=1
	v_bfrev_b32_e32 v58, 1
	s_mov_b32 s50, exec_lo
	v_cmpx_ne_u16_e32 0x80, v39
	s_cbranch_execz .LBB211_39
; %bb.34:                               ;   in Loop: Header=BB211_13 Depth=1
	v_and_b32_e32 v31, 0xffff, v39
	v_mov_b32_e32 v58, 0x7f800001
	s_mov_b32 s51, exec_lo
	s_delay_alu instid0(VALU_DEP_2) | instskip(NEXT) | instid1(VALU_DEP_1)
	v_and_b32_e32 v59, 0x7f, v31
	v_cmpx_ne_u32_e32 0x7f, v59
	s_cbranch_execz .LBB211_38
; %bb.35:                               ;   in Loop: Header=BB211_13 Depth=1
	v_and_b32_e32 v31, 7, v31
	v_lshrrev_b32_e32 v40, 3, v59
	s_mov_b32 s52, exec_lo
	v_cmpx_gt_u32_e32 8, v59
; %bb.36:                               ;   in Loop: Header=BB211_13 Depth=1
	s_delay_alu instid0(VALU_DEP_3) | instskip(NEXT) | instid1(VALU_DEP_1)
	v_clz_i32_u32_e32 v40, v31
	v_min_u32_e32 v40, 32, v40
	s_delay_alu instid0(VALU_DEP_1) | instskip(SKIP_1) | instid1(VALU_DEP_2)
	v_subrev_nc_u32_e32 v58, 28, v40
	v_sub_nc_u32_e32 v40, 29, v40
	v_lshlrev_b64 v[58:59], v58, v[31:32]
	s_delay_alu instid0(VALU_DEP_1)
	v_and_b32_e32 v31, 7, v58
; %bb.37:                               ;   in Loop: Header=BB211_13 Depth=1
	s_or_b32 exec_lo, exec_lo, s52
	v_lshlrev_b32_e32 v39, 24, v39
	s_delay_alu instid0(VALU_DEP_2) | instskip(SKIP_1) | instid1(VALU_DEP_3)
	v_lshlrev_b32_e32 v31, 20, v31
	v_lshl_add_u32 v40, v40, 23, 0x3c000000
	v_and_b32_e32 v39, 0x80000000, v39
	s_delay_alu instid0(VALU_DEP_1)
	v_or3_b32 v58, v31, v39, v40
.LBB211_38:                             ;   in Loop: Header=BB211_13 Depth=1
	s_or_b32 exec_lo, exec_lo, s51
.LBB211_39:                             ;   in Loop: Header=BB211_13 Depth=1
	s_delay_alu instid0(SALU_CYCLE_1)
	s_or_b32 exec_lo, exec_lo, s50
.LBB211_40:                             ;   in Loop: Header=BB211_13 Depth=1
	s_delay_alu instid0(SALU_CYCLE_1)
	s_or_b32 exec_lo, exec_lo, s49
	global_load_u8 v39, v[37:38], off offset:12
	s_mov_b32 s49, exec_lo
	s_waitcnt vmcnt(0)
	v_cmpx_ne_u16_e32 0, v39
	s_cbranch_execz .LBB211_48
; %bb.41:                               ;   in Loop: Header=BB211_13 Depth=1
	v_bfrev_b32_e32 v57, 1
	s_mov_b32 s50, exec_lo
	v_cmpx_ne_u16_e32 0x80, v39
	s_cbranch_execz .LBB211_47
; %bb.42:                               ;   in Loop: Header=BB211_13 Depth=1
	v_and_b32_e32 v31, 0xffff, v39
	v_mov_b32_e32 v57, 0x7f800001
	s_mov_b32 s51, exec_lo
	s_delay_alu instid0(VALU_DEP_2) | instskip(NEXT) | instid1(VALU_DEP_1)
	v_and_b32_e32 v59, 0x7f, v31
	v_cmpx_ne_u32_e32 0x7f, v59
	s_cbranch_execz .LBB211_46
; %bb.43:                               ;   in Loop: Header=BB211_13 Depth=1
	v_and_b32_e32 v31, 7, v31
	v_lshrrev_b32_e32 v40, 3, v59
	s_mov_b32 s52, exec_lo
	v_cmpx_gt_u32_e32 8, v59
; %bb.44:                               ;   in Loop: Header=BB211_13 Depth=1
	s_delay_alu instid0(VALU_DEP_3) | instskip(NEXT) | instid1(VALU_DEP_1)
	v_clz_i32_u32_e32 v40, v31
	v_min_u32_e32 v40, 32, v40
	s_delay_alu instid0(VALU_DEP_1) | instskip(SKIP_1) | instid1(VALU_DEP_2)
	v_subrev_nc_u32_e32 v57, 28, v40
	v_sub_nc_u32_e32 v40, 29, v40
	v_lshlrev_b64 v[59:60], v57, v[31:32]
	s_delay_alu instid0(VALU_DEP_1)
	v_and_b32_e32 v31, 7, v59
; %bb.45:                               ;   in Loop: Header=BB211_13 Depth=1
	s_or_b32 exec_lo, exec_lo, s52
	v_lshlrev_b32_e32 v39, 24, v39
	s_delay_alu instid0(VALU_DEP_2) | instskip(SKIP_1) | instid1(VALU_DEP_3)
	v_lshlrev_b32_e32 v31, 20, v31
	v_lshl_add_u32 v40, v40, 23, 0x3c000000
	v_and_b32_e32 v39, 0x80000000, v39
	s_delay_alu instid0(VALU_DEP_1)
	v_or3_b32 v57, v31, v39, v40
.LBB211_46:                             ;   in Loop: Header=BB211_13 Depth=1
	s_or_b32 exec_lo, exec_lo, s51
.LBB211_47:                             ;   in Loop: Header=BB211_13 Depth=1
	s_delay_alu instid0(SALU_CYCLE_1)
	s_or_b32 exec_lo, exec_lo, s50
.LBB211_48:                             ;   in Loop: Header=BB211_13 Depth=1
	s_delay_alu instid0(SALU_CYCLE_1)
	s_or_b32 exec_lo, exec_lo, s49
	global_load_u8 v39, v[37:38], off offset:128
	v_dual_mov_b32 v59, 0 :: v_dual_mov_b32 v60, 0
	s_mov_b32 s49, exec_lo
	s_waitcnt vmcnt(0)
	v_cmpx_ne_u16_e32 0, v39
	s_cbranch_execz .LBB211_56
; %bb.49:                               ;   in Loop: Header=BB211_13 Depth=1
	v_bfrev_b32_e32 v60, 1
	s_mov_b32 s50, exec_lo
	v_cmpx_ne_u16_e32 0x80, v39
	s_cbranch_execz .LBB211_55
; %bb.50:                               ;   in Loop: Header=BB211_13 Depth=1
	v_and_b32_e32 v31, 0xffff, v39
	v_mov_b32_e32 v60, 0x7f800001
	s_mov_b32 s51, exec_lo
	s_delay_alu instid0(VALU_DEP_2) | instskip(NEXT) | instid1(VALU_DEP_1)
	v_and_b32_e32 v61, 0x7f, v31
	v_cmpx_ne_u32_e32 0x7f, v61
	s_cbranch_execz .LBB211_54
; %bb.51:                               ;   in Loop: Header=BB211_13 Depth=1
	v_and_b32_e32 v31, 7, v31
	v_lshrrev_b32_e32 v40, 3, v61
	s_mov_b32 s52, exec_lo
	v_cmpx_gt_u32_e32 8, v61
; %bb.52:                               ;   in Loop: Header=BB211_13 Depth=1
	s_delay_alu instid0(VALU_DEP_3) | instskip(NEXT) | instid1(VALU_DEP_1)
	v_clz_i32_u32_e32 v40, v31
	v_min_u32_e32 v40, 32, v40
	s_delay_alu instid0(VALU_DEP_1) | instskip(SKIP_1) | instid1(VALU_DEP_2)
	v_subrev_nc_u32_e32 v60, 28, v40
	v_sub_nc_u32_e32 v40, 29, v40
	v_lshlrev_b64 v[60:61], v60, v[31:32]
	s_delay_alu instid0(VALU_DEP_1)
	v_and_b32_e32 v31, 7, v60
; %bb.53:                               ;   in Loop: Header=BB211_13 Depth=1
	s_or_b32 exec_lo, exec_lo, s52
	v_lshlrev_b32_e32 v39, 24, v39
	s_delay_alu instid0(VALU_DEP_2) | instskip(SKIP_1) | instid1(VALU_DEP_3)
	v_lshlrev_b32_e32 v31, 20, v31
	v_lshl_add_u32 v40, v40, 23, 0x3c000000
	v_and_b32_e32 v39, 0x80000000, v39
	s_delay_alu instid0(VALU_DEP_1)
	v_or3_b32 v60, v31, v39, v40
.LBB211_54:                             ;   in Loop: Header=BB211_13 Depth=1
	s_or_b32 exec_lo, exec_lo, s51
.LBB211_55:                             ;   in Loop: Header=BB211_13 Depth=1
	s_delay_alu instid0(SALU_CYCLE_1)
	s_or_b32 exec_lo, exec_lo, s50
.LBB211_56:                             ;   in Loop: Header=BB211_13 Depth=1
	s_delay_alu instid0(SALU_CYCLE_1)
	s_or_b32 exec_lo, exec_lo, s49
	global_load_u8 v39, v[37:38], off offset:132
	s_mov_b32 s49, exec_lo
	s_waitcnt vmcnt(0)
	v_cmpx_ne_u16_e32 0, v39
	s_cbranch_execz .LBB211_64
; %bb.57:                               ;   in Loop: Header=BB211_13 Depth=1
	v_bfrev_b32_e32 v59, 1
	s_mov_b32 s50, exec_lo
	v_cmpx_ne_u16_e32 0x80, v39
	s_cbranch_execz .LBB211_63
; %bb.58:                               ;   in Loop: Header=BB211_13 Depth=1
	v_and_b32_e32 v31, 0xffff, v39
	v_mov_b32_e32 v59, 0x7f800001
	s_mov_b32 s51, exec_lo
	s_delay_alu instid0(VALU_DEP_2) | instskip(NEXT) | instid1(VALU_DEP_1)
	v_and_b32_e32 v61, 0x7f, v31
	v_cmpx_ne_u32_e32 0x7f, v61
	s_cbranch_execz .LBB211_62
; %bb.59:                               ;   in Loop: Header=BB211_13 Depth=1
	v_and_b32_e32 v31, 7, v31
	v_lshrrev_b32_e32 v40, 3, v61
	s_mov_b32 s52, exec_lo
	v_cmpx_gt_u32_e32 8, v61
; %bb.60:                               ;   in Loop: Header=BB211_13 Depth=1
	s_delay_alu instid0(VALU_DEP_3) | instskip(NEXT) | instid1(VALU_DEP_1)
	v_clz_i32_u32_e32 v40, v31
	v_min_u32_e32 v40, 32, v40
	s_delay_alu instid0(VALU_DEP_1) | instskip(SKIP_1) | instid1(VALU_DEP_2)
	v_subrev_nc_u32_e32 v59, 28, v40
	v_sub_nc_u32_e32 v40, 29, v40
	v_lshlrev_b64 v[61:62], v59, v[31:32]
	s_delay_alu instid0(VALU_DEP_1)
	v_and_b32_e32 v31, 7, v61
; %bb.61:                               ;   in Loop: Header=BB211_13 Depth=1
	s_or_b32 exec_lo, exec_lo, s52
	v_lshlrev_b32_e32 v39, 24, v39
	s_delay_alu instid0(VALU_DEP_2) | instskip(SKIP_1) | instid1(VALU_DEP_3)
	v_lshlrev_b32_e32 v31, 20, v31
	v_lshl_add_u32 v40, v40, 23, 0x3c000000
	v_and_b32_e32 v39, 0x80000000, v39
	s_delay_alu instid0(VALU_DEP_1)
	v_or3_b32 v59, v31, v39, v40
.LBB211_62:                             ;   in Loop: Header=BB211_13 Depth=1
	s_or_b32 exec_lo, exec_lo, s51
.LBB211_63:                             ;   in Loop: Header=BB211_13 Depth=1
	s_delay_alu instid0(SALU_CYCLE_1)
	s_or_b32 exec_lo, exec_lo, s50
.LBB211_64:                             ;   in Loop: Header=BB211_13 Depth=1
	s_delay_alu instid0(SALU_CYCLE_1) | instskip(SKIP_1) | instid1(VALU_DEP_1)
	s_or_b32 exec_lo, exec_lo, s49
	v_add_co_u32 v39, s1, 0x80, v37
	v_add_co_ci_u32_e64 v40, s1, 0, v38, s1
	v_dual_mov_b32 v61, 0 :: v_dual_mov_b32 v62, 0
	s_mov_b32 s49, exec_lo
	global_load_u8 v63, v[39:40], off offset:8
	s_waitcnt vmcnt(0)
	v_cmpx_ne_u16_e32 0, v63
	s_cbranch_execz .LBB211_72
; %bb.65:                               ;   in Loop: Header=BB211_13 Depth=1
	v_bfrev_b32_e32 v62, 1
	s_mov_b32 s50, exec_lo
	v_cmpx_ne_u16_e32 0x80, v63
	s_cbranch_execz .LBB211_71
; %bb.66:                               ;   in Loop: Header=BB211_13 Depth=1
	v_and_b32_e32 v31, 0xffff, v63
	v_mov_b32_e32 v62, 0x7f800001
	s_mov_b32 s51, exec_lo
	s_delay_alu instid0(VALU_DEP_2) | instskip(NEXT) | instid1(VALU_DEP_1)
	v_and_b32_e32 v64, 0x7f, v31
	v_cmpx_ne_u32_e32 0x7f, v64
	s_cbranch_execz .LBB211_70
; %bb.67:                               ;   in Loop: Header=BB211_13 Depth=1
	v_and_b32_e32 v31, 7, v31
	v_lshrrev_b32_e32 v62, 3, v64
	s_mov_b32 s52, exec_lo
	v_cmpx_gt_u32_e32 8, v64
; %bb.68:                               ;   in Loop: Header=BB211_13 Depth=1
	s_delay_alu instid0(VALU_DEP_3) | instskip(NEXT) | instid1(VALU_DEP_1)
	v_clz_i32_u32_e32 v62, v31
	v_min_u32_e32 v62, 32, v62
	s_delay_alu instid0(VALU_DEP_1) | instskip(SKIP_1) | instid1(VALU_DEP_2)
	v_subrev_nc_u32_e32 v64, 28, v62
	v_sub_nc_u32_e32 v62, 29, v62
	v_lshlrev_b64 v[64:65], v64, v[31:32]
	s_delay_alu instid0(VALU_DEP_1)
	v_and_b32_e32 v31, 7, v64
; %bb.69:                               ;   in Loop: Header=BB211_13 Depth=1
	s_or_b32 exec_lo, exec_lo, s52
	v_lshlrev_b32_e32 v63, 24, v63
	s_delay_alu instid0(VALU_DEP_2) | instskip(SKIP_1) | instid1(VALU_DEP_3)
	v_lshlrev_b32_e32 v31, 20, v31
	v_lshl_add_u32 v62, v62, 23, 0x3c000000
	v_and_b32_e32 v63, 0x80000000, v63
	s_delay_alu instid0(VALU_DEP_1)
	v_or3_b32 v62, v31, v63, v62
.LBB211_70:                             ;   in Loop: Header=BB211_13 Depth=1
	s_or_b32 exec_lo, exec_lo, s51
.LBB211_71:                             ;   in Loop: Header=BB211_13 Depth=1
	s_delay_alu instid0(SALU_CYCLE_1)
	s_or_b32 exec_lo, exec_lo, s50
.LBB211_72:                             ;   in Loop: Header=BB211_13 Depth=1
	s_delay_alu instid0(SALU_CYCLE_1)
	s_or_b32 exec_lo, exec_lo, s49
	global_load_u8 v39, v[39:40], off offset:12
	s_mov_b32 s49, exec_lo
	s_waitcnt vmcnt(0)
	v_cmpx_ne_u16_e32 0, v39
	s_cbranch_execz .LBB211_80
; %bb.73:                               ;   in Loop: Header=BB211_13 Depth=1
	v_bfrev_b32_e32 v61, 1
	s_mov_b32 s50, exec_lo
	v_cmpx_ne_u16_e32 0x80, v39
	s_cbranch_execz .LBB211_79
; %bb.74:                               ;   in Loop: Header=BB211_13 Depth=1
	v_and_b32_e32 v31, 0xffff, v39
	v_mov_b32_e32 v61, 0x7f800001
	s_mov_b32 s51, exec_lo
	s_delay_alu instid0(VALU_DEP_2) | instskip(NEXT) | instid1(VALU_DEP_1)
	v_and_b32_e32 v63, 0x7f, v31
	v_cmpx_ne_u32_e32 0x7f, v63
	s_cbranch_execz .LBB211_78
; %bb.75:                               ;   in Loop: Header=BB211_13 Depth=1
	v_and_b32_e32 v31, 7, v31
	v_lshrrev_b32_e32 v40, 3, v63
	s_mov_b32 s52, exec_lo
	v_cmpx_gt_u32_e32 8, v63
; %bb.76:                               ;   in Loop: Header=BB211_13 Depth=1
	s_delay_alu instid0(VALU_DEP_3) | instskip(NEXT) | instid1(VALU_DEP_1)
	v_clz_i32_u32_e32 v40, v31
	v_min_u32_e32 v40, 32, v40
	s_delay_alu instid0(VALU_DEP_1) | instskip(SKIP_1) | instid1(VALU_DEP_2)
	v_subrev_nc_u32_e32 v61, 28, v40
	v_sub_nc_u32_e32 v40, 29, v40
	v_lshlrev_b64 v[63:64], v61, v[31:32]
	s_delay_alu instid0(VALU_DEP_1)
	v_and_b32_e32 v31, 7, v63
; %bb.77:                               ;   in Loop: Header=BB211_13 Depth=1
	s_or_b32 exec_lo, exec_lo, s52
	v_lshlrev_b32_e32 v39, 24, v39
	s_delay_alu instid0(VALU_DEP_2) | instskip(SKIP_1) | instid1(VALU_DEP_3)
	v_lshlrev_b32_e32 v31, 20, v31
	v_lshl_add_u32 v40, v40, 23, 0x3c000000
	v_and_b32_e32 v39, 0x80000000, v39
	s_delay_alu instid0(VALU_DEP_1)
	v_or3_b32 v61, v31, v39, v40
.LBB211_78:                             ;   in Loop: Header=BB211_13 Depth=1
	s_or_b32 exec_lo, exec_lo, s51
.LBB211_79:                             ;   in Loop: Header=BB211_13 Depth=1
	s_delay_alu instid0(SALU_CYCLE_1)
	s_or_b32 exec_lo, exec_lo, s50
.LBB211_80:                             ;   in Loop: Header=BB211_13 Depth=1
	s_delay_alu instid0(SALU_CYCLE_1)
	s_or_b32 exec_lo, exec_lo, s49
	global_load_u8 v39, v[37:38], off offset:256
	v_dual_mov_b32 v63, 0 :: v_dual_mov_b32 v64, 0
	s_mov_b32 s49, exec_lo
	s_waitcnt vmcnt(0)
	v_cmpx_ne_u16_e32 0, v39
	s_cbranch_execz .LBB211_88
; %bb.81:                               ;   in Loop: Header=BB211_13 Depth=1
	v_bfrev_b32_e32 v64, 1
	s_mov_b32 s50, exec_lo
	v_cmpx_ne_u16_e32 0x80, v39
	s_cbranch_execz .LBB211_87
; %bb.82:                               ;   in Loop: Header=BB211_13 Depth=1
	v_and_b32_e32 v31, 0xffff, v39
	v_mov_b32_e32 v64, 0x7f800001
	s_mov_b32 s51, exec_lo
	s_delay_alu instid0(VALU_DEP_2) | instskip(NEXT) | instid1(VALU_DEP_1)
	v_and_b32_e32 v65, 0x7f, v31
	v_cmpx_ne_u32_e32 0x7f, v65
	s_cbranch_execz .LBB211_86
; %bb.83:                               ;   in Loop: Header=BB211_13 Depth=1
	v_and_b32_e32 v31, 7, v31
	v_lshrrev_b32_e32 v40, 3, v65
	s_mov_b32 s52, exec_lo
	v_cmpx_gt_u32_e32 8, v65
; %bb.84:                               ;   in Loop: Header=BB211_13 Depth=1
	s_delay_alu instid0(VALU_DEP_3) | instskip(NEXT) | instid1(VALU_DEP_1)
	v_clz_i32_u32_e32 v40, v31
	v_min_u32_e32 v40, 32, v40
	s_delay_alu instid0(VALU_DEP_1) | instskip(SKIP_1) | instid1(VALU_DEP_2)
	v_subrev_nc_u32_e32 v64, 28, v40
	v_sub_nc_u32_e32 v40, 29, v40
	v_lshlrev_b64 v[64:65], v64, v[31:32]
	s_delay_alu instid0(VALU_DEP_1)
	v_and_b32_e32 v31, 7, v64
; %bb.85:                               ;   in Loop: Header=BB211_13 Depth=1
	s_or_b32 exec_lo, exec_lo, s52
	v_lshlrev_b32_e32 v39, 24, v39
	s_delay_alu instid0(VALU_DEP_2) | instskip(SKIP_1) | instid1(VALU_DEP_3)
	v_lshlrev_b32_e32 v31, 20, v31
	v_lshl_add_u32 v40, v40, 23, 0x3c000000
	v_and_b32_e32 v39, 0x80000000, v39
	s_delay_alu instid0(VALU_DEP_1)
	v_or3_b32 v64, v31, v39, v40
.LBB211_86:                             ;   in Loop: Header=BB211_13 Depth=1
	s_or_b32 exec_lo, exec_lo, s51
.LBB211_87:                             ;   in Loop: Header=BB211_13 Depth=1
	s_delay_alu instid0(SALU_CYCLE_1)
	s_or_b32 exec_lo, exec_lo, s50
.LBB211_88:                             ;   in Loop: Header=BB211_13 Depth=1
	s_delay_alu instid0(SALU_CYCLE_1)
	s_or_b32 exec_lo, exec_lo, s49
	global_load_u8 v39, v[37:38], off offset:260
	s_mov_b32 s49, exec_lo
	s_waitcnt vmcnt(0)
	v_cmpx_ne_u16_e32 0, v39
	s_cbranch_execz .LBB211_96
; %bb.89:                               ;   in Loop: Header=BB211_13 Depth=1
	v_bfrev_b32_e32 v63, 1
	s_mov_b32 s50, exec_lo
	v_cmpx_ne_u16_e32 0x80, v39
	s_cbranch_execz .LBB211_95
; %bb.90:                               ;   in Loop: Header=BB211_13 Depth=1
	v_and_b32_e32 v31, 0xffff, v39
	v_mov_b32_e32 v63, 0x7f800001
	s_mov_b32 s51, exec_lo
	s_delay_alu instid0(VALU_DEP_2) | instskip(NEXT) | instid1(VALU_DEP_1)
	v_and_b32_e32 v65, 0x7f, v31
	v_cmpx_ne_u32_e32 0x7f, v65
	s_cbranch_execz .LBB211_94
; %bb.91:                               ;   in Loop: Header=BB211_13 Depth=1
	v_and_b32_e32 v31, 7, v31
	v_lshrrev_b32_e32 v40, 3, v65
	s_mov_b32 s52, exec_lo
	v_cmpx_gt_u32_e32 8, v65
; %bb.92:                               ;   in Loop: Header=BB211_13 Depth=1
	s_delay_alu instid0(VALU_DEP_3) | instskip(NEXT) | instid1(VALU_DEP_1)
	v_clz_i32_u32_e32 v40, v31
	v_min_u32_e32 v40, 32, v40
	s_delay_alu instid0(VALU_DEP_1) | instskip(SKIP_1) | instid1(VALU_DEP_2)
	v_subrev_nc_u32_e32 v63, 28, v40
	v_sub_nc_u32_e32 v40, 29, v40
	v_lshlrev_b64 v[65:66], v63, v[31:32]
	s_delay_alu instid0(VALU_DEP_1)
	v_and_b32_e32 v31, 7, v65
; %bb.93:                               ;   in Loop: Header=BB211_13 Depth=1
	s_or_b32 exec_lo, exec_lo, s52
	v_lshlrev_b32_e32 v39, 24, v39
	s_delay_alu instid0(VALU_DEP_2) | instskip(SKIP_1) | instid1(VALU_DEP_3)
	v_lshlrev_b32_e32 v31, 20, v31
	v_lshl_add_u32 v40, v40, 23, 0x3c000000
	v_and_b32_e32 v39, 0x80000000, v39
	s_delay_alu instid0(VALU_DEP_1)
	v_or3_b32 v63, v31, v39, v40
.LBB211_94:                             ;   in Loop: Header=BB211_13 Depth=1
	s_or_b32 exec_lo, exec_lo, s51
.LBB211_95:                             ;   in Loop: Header=BB211_13 Depth=1
	s_delay_alu instid0(SALU_CYCLE_1)
	s_or_b32 exec_lo, exec_lo, s50
.LBB211_96:                             ;   in Loop: Header=BB211_13 Depth=1
	s_delay_alu instid0(SALU_CYCLE_1) | instskip(SKIP_1) | instid1(VALU_DEP_1)
	s_or_b32 exec_lo, exec_lo, s49
	v_add_co_u32 v39, s1, 0x100, v37
	v_add_co_ci_u32_e64 v40, s1, 0, v38, s1
	v_dual_mov_b32 v65, 0 :: v_dual_mov_b32 v66, 0
	s_mov_b32 s49, exec_lo
	global_load_u8 v67, v[39:40], off offset:8
	s_waitcnt vmcnt(0)
	v_cmpx_ne_u16_e32 0, v67
	s_cbranch_execz .LBB211_104
; %bb.97:                               ;   in Loop: Header=BB211_13 Depth=1
	v_bfrev_b32_e32 v66, 1
	s_mov_b32 s50, exec_lo
	v_cmpx_ne_u16_e32 0x80, v67
	s_cbranch_execz .LBB211_103
; %bb.98:                               ;   in Loop: Header=BB211_13 Depth=1
	v_and_b32_e32 v31, 0xffff, v67
	v_mov_b32_e32 v66, 0x7f800001
	s_mov_b32 s51, exec_lo
	s_delay_alu instid0(VALU_DEP_2) | instskip(NEXT) | instid1(VALU_DEP_1)
	v_and_b32_e32 v68, 0x7f, v31
	v_cmpx_ne_u32_e32 0x7f, v68
	s_cbranch_execz .LBB211_102
; %bb.99:                               ;   in Loop: Header=BB211_13 Depth=1
	v_and_b32_e32 v31, 7, v31
	v_lshrrev_b32_e32 v66, 3, v68
	s_mov_b32 s52, exec_lo
	v_cmpx_gt_u32_e32 8, v68
; %bb.100:                              ;   in Loop: Header=BB211_13 Depth=1
	s_delay_alu instid0(VALU_DEP_3) | instskip(NEXT) | instid1(VALU_DEP_1)
	v_clz_i32_u32_e32 v66, v31
	v_min_u32_e32 v66, 32, v66
	s_delay_alu instid0(VALU_DEP_1) | instskip(SKIP_1) | instid1(VALU_DEP_2)
	v_subrev_nc_u32_e32 v68, 28, v66
	v_sub_nc_u32_e32 v66, 29, v66
	v_lshlrev_b64 v[68:69], v68, v[31:32]
	s_delay_alu instid0(VALU_DEP_1)
	v_and_b32_e32 v31, 7, v68
; %bb.101:                              ;   in Loop: Header=BB211_13 Depth=1
	s_or_b32 exec_lo, exec_lo, s52
	v_lshlrev_b32_e32 v67, 24, v67
	s_delay_alu instid0(VALU_DEP_2) | instskip(SKIP_1) | instid1(VALU_DEP_3)
	v_lshlrev_b32_e32 v31, 20, v31
	v_lshl_add_u32 v66, v66, 23, 0x3c000000
	v_and_b32_e32 v67, 0x80000000, v67
	s_delay_alu instid0(VALU_DEP_1)
	v_or3_b32 v66, v31, v67, v66
.LBB211_102:                            ;   in Loop: Header=BB211_13 Depth=1
	s_or_b32 exec_lo, exec_lo, s51
.LBB211_103:                            ;   in Loop: Header=BB211_13 Depth=1
	s_delay_alu instid0(SALU_CYCLE_1)
	s_or_b32 exec_lo, exec_lo, s50
.LBB211_104:                            ;   in Loop: Header=BB211_13 Depth=1
	s_delay_alu instid0(SALU_CYCLE_1)
	s_or_b32 exec_lo, exec_lo, s49
	global_load_u8 v39, v[39:40], off offset:12
	s_mov_b32 s49, exec_lo
	s_waitcnt vmcnt(0)
	v_cmpx_ne_u16_e32 0, v39
	s_cbranch_execz .LBB211_112
; %bb.105:                              ;   in Loop: Header=BB211_13 Depth=1
	v_bfrev_b32_e32 v65, 1
	s_mov_b32 s50, exec_lo
	v_cmpx_ne_u16_e32 0x80, v39
	s_cbranch_execz .LBB211_111
; %bb.106:                              ;   in Loop: Header=BB211_13 Depth=1
	v_and_b32_e32 v31, 0xffff, v39
	v_mov_b32_e32 v65, 0x7f800001
	s_mov_b32 s51, exec_lo
	s_delay_alu instid0(VALU_DEP_2) | instskip(NEXT) | instid1(VALU_DEP_1)
	v_and_b32_e32 v67, 0x7f, v31
	v_cmpx_ne_u32_e32 0x7f, v67
	s_cbranch_execz .LBB211_110
; %bb.107:                              ;   in Loop: Header=BB211_13 Depth=1
	v_and_b32_e32 v31, 7, v31
	v_lshrrev_b32_e32 v40, 3, v67
	s_mov_b32 s52, exec_lo
	v_cmpx_gt_u32_e32 8, v67
; %bb.108:                              ;   in Loop: Header=BB211_13 Depth=1
	s_delay_alu instid0(VALU_DEP_3) | instskip(NEXT) | instid1(VALU_DEP_1)
	v_clz_i32_u32_e32 v40, v31
	v_min_u32_e32 v40, 32, v40
	s_delay_alu instid0(VALU_DEP_1) | instskip(SKIP_1) | instid1(VALU_DEP_2)
	v_subrev_nc_u32_e32 v65, 28, v40
	v_sub_nc_u32_e32 v40, 29, v40
	v_lshlrev_b64 v[67:68], v65, v[31:32]
	s_delay_alu instid0(VALU_DEP_1)
	v_and_b32_e32 v31, 7, v67
; %bb.109:                              ;   in Loop: Header=BB211_13 Depth=1
	s_or_b32 exec_lo, exec_lo, s52
	v_lshlrev_b32_e32 v39, 24, v39
	s_delay_alu instid0(VALU_DEP_2) | instskip(SKIP_1) | instid1(VALU_DEP_3)
	v_lshlrev_b32_e32 v31, 20, v31
	v_lshl_add_u32 v40, v40, 23, 0x3c000000
	v_and_b32_e32 v39, 0x80000000, v39
	s_delay_alu instid0(VALU_DEP_1)
	v_or3_b32 v65, v31, v39, v40
.LBB211_110:                            ;   in Loop: Header=BB211_13 Depth=1
	s_or_b32 exec_lo, exec_lo, s51
.LBB211_111:                            ;   in Loop: Header=BB211_13 Depth=1
	s_delay_alu instid0(SALU_CYCLE_1)
	s_or_b32 exec_lo, exec_lo, s50
.LBB211_112:                            ;   in Loop: Header=BB211_13 Depth=1
	s_delay_alu instid0(SALU_CYCLE_1)
	s_or_b32 exec_lo, exec_lo, s49
	global_load_u8 v39, v[37:38], off offset:384
	v_dual_mov_b32 v67, 0 :: v_dual_mov_b32 v68, 0
	s_mov_b32 s49, exec_lo
	s_waitcnt vmcnt(0)
	v_cmpx_ne_u16_e32 0, v39
	s_cbranch_execz .LBB211_120
; %bb.113:                              ;   in Loop: Header=BB211_13 Depth=1
	v_bfrev_b32_e32 v68, 1
	s_mov_b32 s50, exec_lo
	v_cmpx_ne_u16_e32 0x80, v39
	s_cbranch_execz .LBB211_119
; %bb.114:                              ;   in Loop: Header=BB211_13 Depth=1
	v_and_b32_e32 v31, 0xffff, v39
	v_mov_b32_e32 v68, 0x7f800001
	s_mov_b32 s51, exec_lo
	s_delay_alu instid0(VALU_DEP_2) | instskip(NEXT) | instid1(VALU_DEP_1)
	v_and_b32_e32 v69, 0x7f, v31
	v_cmpx_ne_u32_e32 0x7f, v69
	s_cbranch_execz .LBB211_118
; %bb.115:                              ;   in Loop: Header=BB211_13 Depth=1
	v_and_b32_e32 v31, 7, v31
	v_lshrrev_b32_e32 v40, 3, v69
	s_mov_b32 s52, exec_lo
	v_cmpx_gt_u32_e32 8, v69
; %bb.116:                              ;   in Loop: Header=BB211_13 Depth=1
	s_delay_alu instid0(VALU_DEP_3) | instskip(NEXT) | instid1(VALU_DEP_1)
	v_clz_i32_u32_e32 v40, v31
	v_min_u32_e32 v40, 32, v40
	s_delay_alu instid0(VALU_DEP_1) | instskip(SKIP_1) | instid1(VALU_DEP_2)
	v_subrev_nc_u32_e32 v68, 28, v40
	v_sub_nc_u32_e32 v40, 29, v40
	v_lshlrev_b64 v[68:69], v68, v[31:32]
	s_delay_alu instid0(VALU_DEP_1)
	v_and_b32_e32 v31, 7, v68
; %bb.117:                              ;   in Loop: Header=BB211_13 Depth=1
	s_or_b32 exec_lo, exec_lo, s52
	v_lshlrev_b32_e32 v39, 24, v39
	s_delay_alu instid0(VALU_DEP_2) | instskip(SKIP_1) | instid1(VALU_DEP_3)
	v_lshlrev_b32_e32 v31, 20, v31
	v_lshl_add_u32 v40, v40, 23, 0x3c000000
	v_and_b32_e32 v39, 0x80000000, v39
	s_delay_alu instid0(VALU_DEP_1)
	v_or3_b32 v68, v31, v39, v40
.LBB211_118:                            ;   in Loop: Header=BB211_13 Depth=1
	s_or_b32 exec_lo, exec_lo, s51
.LBB211_119:                            ;   in Loop: Header=BB211_13 Depth=1
	s_delay_alu instid0(SALU_CYCLE_1)
	s_or_b32 exec_lo, exec_lo, s50
.LBB211_120:                            ;   in Loop: Header=BB211_13 Depth=1
	s_delay_alu instid0(SALU_CYCLE_1)
	s_or_b32 exec_lo, exec_lo, s49
	global_load_u8 v39, v[37:38], off offset:388
	s_mov_b32 s49, exec_lo
	s_waitcnt vmcnt(0)
	v_cmpx_ne_u16_e32 0, v39
	s_cbranch_execz .LBB211_128
; %bb.121:                              ;   in Loop: Header=BB211_13 Depth=1
	v_bfrev_b32_e32 v67, 1
	s_mov_b32 s50, exec_lo
	v_cmpx_ne_u16_e32 0x80, v39
	s_cbranch_execz .LBB211_127
; %bb.122:                              ;   in Loop: Header=BB211_13 Depth=1
	v_and_b32_e32 v31, 0xffff, v39
	v_mov_b32_e32 v67, 0x7f800001
	s_mov_b32 s51, exec_lo
	s_delay_alu instid0(VALU_DEP_2) | instskip(NEXT) | instid1(VALU_DEP_1)
	v_and_b32_e32 v69, 0x7f, v31
	v_cmpx_ne_u32_e32 0x7f, v69
	s_cbranch_execz .LBB211_126
; %bb.123:                              ;   in Loop: Header=BB211_13 Depth=1
	v_and_b32_e32 v31, 7, v31
	v_lshrrev_b32_e32 v40, 3, v69
	s_mov_b32 s52, exec_lo
	v_cmpx_gt_u32_e32 8, v69
; %bb.124:                              ;   in Loop: Header=BB211_13 Depth=1
	s_delay_alu instid0(VALU_DEP_3) | instskip(NEXT) | instid1(VALU_DEP_1)
	v_clz_i32_u32_e32 v40, v31
	v_min_u32_e32 v40, 32, v40
	s_delay_alu instid0(VALU_DEP_1) | instskip(SKIP_1) | instid1(VALU_DEP_2)
	v_subrev_nc_u32_e32 v67, 28, v40
	v_sub_nc_u32_e32 v40, 29, v40
	v_lshlrev_b64 v[69:70], v67, v[31:32]
	s_delay_alu instid0(VALU_DEP_1)
	v_and_b32_e32 v31, 7, v69
; %bb.125:                              ;   in Loop: Header=BB211_13 Depth=1
	s_or_b32 exec_lo, exec_lo, s52
	v_lshlrev_b32_e32 v39, 24, v39
	s_delay_alu instid0(VALU_DEP_2) | instskip(SKIP_1) | instid1(VALU_DEP_3)
	v_lshlrev_b32_e32 v31, 20, v31
	v_lshl_add_u32 v40, v40, 23, 0x3c000000
	v_and_b32_e32 v39, 0x80000000, v39
	s_delay_alu instid0(VALU_DEP_1)
	v_or3_b32 v67, v31, v39, v40
.LBB211_126:                            ;   in Loop: Header=BB211_13 Depth=1
	s_or_b32 exec_lo, exec_lo, s51
.LBB211_127:                            ;   in Loop: Header=BB211_13 Depth=1
	s_delay_alu instid0(SALU_CYCLE_1)
	s_or_b32 exec_lo, exec_lo, s50
.LBB211_128:                            ;   in Loop: Header=BB211_13 Depth=1
	s_delay_alu instid0(SALU_CYCLE_1) | instskip(SKIP_1) | instid1(VALU_DEP_1)
	s_or_b32 exec_lo, exec_lo, s49
	v_add_co_u32 v39, s1, 0x180, v37
	v_add_co_ci_u32_e64 v40, s1, 0, v38, s1
	v_dual_mov_b32 v69, 0 :: v_dual_mov_b32 v70, 0
	s_mov_b32 s49, exec_lo
	global_load_u8 v71, v[39:40], off offset:8
	s_waitcnt vmcnt(0)
	v_cmpx_ne_u16_e32 0, v71
	s_cbranch_execz .LBB211_136
; %bb.129:                              ;   in Loop: Header=BB211_13 Depth=1
	v_bfrev_b32_e32 v70, 1
	s_mov_b32 s50, exec_lo
	v_cmpx_ne_u16_e32 0x80, v71
	s_cbranch_execz .LBB211_135
; %bb.130:                              ;   in Loop: Header=BB211_13 Depth=1
	v_and_b32_e32 v31, 0xffff, v71
	v_mov_b32_e32 v70, 0x7f800001
	s_mov_b32 s51, exec_lo
	s_delay_alu instid0(VALU_DEP_2) | instskip(NEXT) | instid1(VALU_DEP_1)
	v_and_b32_e32 v72, 0x7f, v31
	v_cmpx_ne_u32_e32 0x7f, v72
	s_cbranch_execz .LBB211_134
; %bb.131:                              ;   in Loop: Header=BB211_13 Depth=1
	v_and_b32_e32 v31, 7, v31
	v_lshrrev_b32_e32 v70, 3, v72
	s_mov_b32 s52, exec_lo
	v_cmpx_gt_u32_e32 8, v72
; %bb.132:                              ;   in Loop: Header=BB211_13 Depth=1
	s_delay_alu instid0(VALU_DEP_3) | instskip(NEXT) | instid1(VALU_DEP_1)
	v_clz_i32_u32_e32 v70, v31
	v_min_u32_e32 v70, 32, v70
	s_delay_alu instid0(VALU_DEP_1) | instskip(SKIP_1) | instid1(VALU_DEP_2)
	v_subrev_nc_u32_e32 v72, 28, v70
	v_sub_nc_u32_e32 v70, 29, v70
	v_lshlrev_b64 v[72:73], v72, v[31:32]
	s_delay_alu instid0(VALU_DEP_1)
	v_and_b32_e32 v31, 7, v72
; %bb.133:                              ;   in Loop: Header=BB211_13 Depth=1
	s_or_b32 exec_lo, exec_lo, s52
	v_lshlrev_b32_e32 v71, 24, v71
	s_delay_alu instid0(VALU_DEP_2) | instskip(SKIP_1) | instid1(VALU_DEP_3)
	v_lshlrev_b32_e32 v31, 20, v31
	v_lshl_add_u32 v70, v70, 23, 0x3c000000
	v_and_b32_e32 v71, 0x80000000, v71
	s_delay_alu instid0(VALU_DEP_1)
	v_or3_b32 v70, v31, v71, v70
.LBB211_134:                            ;   in Loop: Header=BB211_13 Depth=1
	s_or_b32 exec_lo, exec_lo, s51
.LBB211_135:                            ;   in Loop: Header=BB211_13 Depth=1
	s_delay_alu instid0(SALU_CYCLE_1)
	s_or_b32 exec_lo, exec_lo, s50
.LBB211_136:                            ;   in Loop: Header=BB211_13 Depth=1
	s_delay_alu instid0(SALU_CYCLE_1)
	s_or_b32 exec_lo, exec_lo, s49
	global_load_u8 v39, v[39:40], off offset:12
	s_mov_b32 s49, exec_lo
	s_waitcnt vmcnt(0)
	v_cmpx_ne_u16_e32 0, v39
	s_cbranch_execz .LBB211_144
; %bb.137:                              ;   in Loop: Header=BB211_13 Depth=1
	v_bfrev_b32_e32 v69, 1
	s_mov_b32 s50, exec_lo
	v_cmpx_ne_u16_e32 0x80, v39
	s_cbranch_execz .LBB211_143
; %bb.138:                              ;   in Loop: Header=BB211_13 Depth=1
	v_and_b32_e32 v31, 0xffff, v39
	v_mov_b32_e32 v69, 0x7f800001
	s_mov_b32 s51, exec_lo
	s_delay_alu instid0(VALU_DEP_2) | instskip(NEXT) | instid1(VALU_DEP_1)
	v_and_b32_e32 v71, 0x7f, v31
	v_cmpx_ne_u32_e32 0x7f, v71
	s_cbranch_execz .LBB211_142
; %bb.139:                              ;   in Loop: Header=BB211_13 Depth=1
	v_and_b32_e32 v31, 7, v31
	v_lshrrev_b32_e32 v40, 3, v71
	s_mov_b32 s52, exec_lo
	v_cmpx_gt_u32_e32 8, v71
; %bb.140:                              ;   in Loop: Header=BB211_13 Depth=1
	s_delay_alu instid0(VALU_DEP_3) | instskip(NEXT) | instid1(VALU_DEP_1)
	v_clz_i32_u32_e32 v40, v31
	v_min_u32_e32 v40, 32, v40
	s_delay_alu instid0(VALU_DEP_1) | instskip(SKIP_1) | instid1(VALU_DEP_2)
	v_subrev_nc_u32_e32 v69, 28, v40
	v_sub_nc_u32_e32 v40, 29, v40
	v_lshlrev_b64 v[71:72], v69, v[31:32]
	s_delay_alu instid0(VALU_DEP_1)
	v_and_b32_e32 v31, 7, v71
; %bb.141:                              ;   in Loop: Header=BB211_13 Depth=1
	s_or_b32 exec_lo, exec_lo, s52
	v_lshlrev_b32_e32 v39, 24, v39
	s_delay_alu instid0(VALU_DEP_2) | instskip(SKIP_1) | instid1(VALU_DEP_3)
	v_lshlrev_b32_e32 v31, 20, v31
	v_lshl_add_u32 v40, v40, 23, 0x3c000000
	v_and_b32_e32 v39, 0x80000000, v39
	s_delay_alu instid0(VALU_DEP_1)
	v_or3_b32 v69, v31, v39, v40
.LBB211_142:                            ;   in Loop: Header=BB211_13 Depth=1
	s_or_b32 exec_lo, exec_lo, s51
.LBB211_143:                            ;   in Loop: Header=BB211_13 Depth=1
	s_delay_alu instid0(SALU_CYCLE_1)
	s_or_b32 exec_lo, exec_lo, s50
.LBB211_144:                            ;   in Loop: Header=BB211_13 Depth=1
	s_delay_alu instid0(SALU_CYCLE_1)
	s_or_b32 exec_lo, exec_lo, s49
	global_load_u8 v39, v[37:38], off offset:512
	v_dual_mov_b32 v71, 0 :: v_dual_mov_b32 v72, 0
	s_mov_b32 s49, exec_lo
	s_waitcnt vmcnt(0)
	v_cmpx_ne_u16_e32 0, v39
	s_cbranch_execz .LBB211_152
; %bb.145:                              ;   in Loop: Header=BB211_13 Depth=1
	v_bfrev_b32_e32 v72, 1
	s_mov_b32 s50, exec_lo
	v_cmpx_ne_u16_e32 0x80, v39
	s_cbranch_execz .LBB211_151
; %bb.146:                              ;   in Loop: Header=BB211_13 Depth=1
	v_and_b32_e32 v31, 0xffff, v39
	v_mov_b32_e32 v72, 0x7f800001
	s_mov_b32 s51, exec_lo
	s_delay_alu instid0(VALU_DEP_2) | instskip(NEXT) | instid1(VALU_DEP_1)
	v_and_b32_e32 v73, 0x7f, v31
	v_cmpx_ne_u32_e32 0x7f, v73
	s_cbranch_execz .LBB211_150
; %bb.147:                              ;   in Loop: Header=BB211_13 Depth=1
	v_and_b32_e32 v31, 7, v31
	v_lshrrev_b32_e32 v40, 3, v73
	s_mov_b32 s52, exec_lo
	v_cmpx_gt_u32_e32 8, v73
; %bb.148:                              ;   in Loop: Header=BB211_13 Depth=1
	s_delay_alu instid0(VALU_DEP_3) | instskip(NEXT) | instid1(VALU_DEP_1)
	v_clz_i32_u32_e32 v40, v31
	v_min_u32_e32 v40, 32, v40
	s_delay_alu instid0(VALU_DEP_1) | instskip(SKIP_1) | instid1(VALU_DEP_2)
	v_subrev_nc_u32_e32 v72, 28, v40
	v_sub_nc_u32_e32 v40, 29, v40
	v_lshlrev_b64 v[72:73], v72, v[31:32]
	s_delay_alu instid0(VALU_DEP_1)
	v_and_b32_e32 v31, 7, v72
; %bb.149:                              ;   in Loop: Header=BB211_13 Depth=1
	s_or_b32 exec_lo, exec_lo, s52
	v_lshlrev_b32_e32 v39, 24, v39
	s_delay_alu instid0(VALU_DEP_2) | instskip(SKIP_1) | instid1(VALU_DEP_3)
	v_lshlrev_b32_e32 v31, 20, v31
	v_lshl_add_u32 v40, v40, 23, 0x3c000000
	v_and_b32_e32 v39, 0x80000000, v39
	s_delay_alu instid0(VALU_DEP_1)
	v_or3_b32 v72, v31, v39, v40
.LBB211_150:                            ;   in Loop: Header=BB211_13 Depth=1
	s_or_b32 exec_lo, exec_lo, s51
.LBB211_151:                            ;   in Loop: Header=BB211_13 Depth=1
	s_delay_alu instid0(SALU_CYCLE_1)
	s_or_b32 exec_lo, exec_lo, s50
.LBB211_152:                            ;   in Loop: Header=BB211_13 Depth=1
	s_delay_alu instid0(SALU_CYCLE_1)
	s_or_b32 exec_lo, exec_lo, s49
	global_load_u8 v39, v[37:38], off offset:516
	s_mov_b32 s49, exec_lo
	s_waitcnt vmcnt(0)
	v_cmpx_ne_u16_e32 0, v39
	s_cbranch_execz .LBB211_160
; %bb.153:                              ;   in Loop: Header=BB211_13 Depth=1
	v_bfrev_b32_e32 v71, 1
	s_mov_b32 s50, exec_lo
	v_cmpx_ne_u16_e32 0x80, v39
	s_cbranch_execz .LBB211_159
; %bb.154:                              ;   in Loop: Header=BB211_13 Depth=1
	v_and_b32_e32 v31, 0xffff, v39
	v_mov_b32_e32 v71, 0x7f800001
	s_mov_b32 s51, exec_lo
	s_delay_alu instid0(VALU_DEP_2) | instskip(NEXT) | instid1(VALU_DEP_1)
	v_and_b32_e32 v73, 0x7f, v31
	v_cmpx_ne_u32_e32 0x7f, v73
	s_cbranch_execz .LBB211_158
; %bb.155:                              ;   in Loop: Header=BB211_13 Depth=1
	v_and_b32_e32 v31, 7, v31
	v_lshrrev_b32_e32 v40, 3, v73
	s_mov_b32 s52, exec_lo
	v_cmpx_gt_u32_e32 8, v73
; %bb.156:                              ;   in Loop: Header=BB211_13 Depth=1
	s_delay_alu instid0(VALU_DEP_3) | instskip(NEXT) | instid1(VALU_DEP_1)
	v_clz_i32_u32_e32 v40, v31
	v_min_u32_e32 v40, 32, v40
	s_delay_alu instid0(VALU_DEP_1) | instskip(SKIP_1) | instid1(VALU_DEP_2)
	v_subrev_nc_u32_e32 v71, 28, v40
	v_sub_nc_u32_e32 v40, 29, v40
	v_lshlrev_b64 v[73:74], v71, v[31:32]
	s_delay_alu instid0(VALU_DEP_1)
	v_and_b32_e32 v31, 7, v73
; %bb.157:                              ;   in Loop: Header=BB211_13 Depth=1
	s_or_b32 exec_lo, exec_lo, s52
	v_lshlrev_b32_e32 v39, 24, v39
	s_delay_alu instid0(VALU_DEP_2) | instskip(SKIP_1) | instid1(VALU_DEP_3)
	v_lshlrev_b32_e32 v31, 20, v31
	v_lshl_add_u32 v40, v40, 23, 0x3c000000
	v_and_b32_e32 v39, 0x80000000, v39
	s_delay_alu instid0(VALU_DEP_1)
	v_or3_b32 v71, v31, v39, v40
.LBB211_158:                            ;   in Loop: Header=BB211_13 Depth=1
	s_or_b32 exec_lo, exec_lo, s51
.LBB211_159:                            ;   in Loop: Header=BB211_13 Depth=1
	s_delay_alu instid0(SALU_CYCLE_1)
	s_or_b32 exec_lo, exec_lo, s50
.LBB211_160:                            ;   in Loop: Header=BB211_13 Depth=1
	s_delay_alu instid0(SALU_CYCLE_1) | instskip(SKIP_1) | instid1(VALU_DEP_1)
	s_or_b32 exec_lo, exec_lo, s49
	v_add_co_u32 v39, s1, 0x200, v37
	v_add_co_ci_u32_e64 v40, s1, 0, v38, s1
	v_dual_mov_b32 v73, 0 :: v_dual_mov_b32 v74, 0
	s_mov_b32 s49, exec_lo
	global_load_u8 v75, v[39:40], off offset:8
	s_waitcnt vmcnt(0)
	v_cmpx_ne_u16_e32 0, v75
	s_cbranch_execz .LBB211_168
; %bb.161:                              ;   in Loop: Header=BB211_13 Depth=1
	v_bfrev_b32_e32 v74, 1
	s_mov_b32 s50, exec_lo
	v_cmpx_ne_u16_e32 0x80, v75
	s_cbranch_execz .LBB211_167
; %bb.162:                              ;   in Loop: Header=BB211_13 Depth=1
	v_and_b32_e32 v31, 0xffff, v75
	v_mov_b32_e32 v74, 0x7f800001
	s_mov_b32 s51, exec_lo
	s_delay_alu instid0(VALU_DEP_2) | instskip(NEXT) | instid1(VALU_DEP_1)
	v_and_b32_e32 v76, 0x7f, v31
	v_cmpx_ne_u32_e32 0x7f, v76
	s_cbranch_execz .LBB211_166
; %bb.163:                              ;   in Loop: Header=BB211_13 Depth=1
	v_and_b32_e32 v31, 7, v31
	v_lshrrev_b32_e32 v74, 3, v76
	s_mov_b32 s52, exec_lo
	v_cmpx_gt_u32_e32 8, v76
; %bb.164:                              ;   in Loop: Header=BB211_13 Depth=1
	s_delay_alu instid0(VALU_DEP_3) | instskip(NEXT) | instid1(VALU_DEP_1)
	v_clz_i32_u32_e32 v74, v31
	v_min_u32_e32 v74, 32, v74
	s_delay_alu instid0(VALU_DEP_1) | instskip(SKIP_1) | instid1(VALU_DEP_2)
	v_subrev_nc_u32_e32 v76, 28, v74
	v_sub_nc_u32_e32 v74, 29, v74
	v_lshlrev_b64 v[76:77], v76, v[31:32]
	s_delay_alu instid0(VALU_DEP_1)
	v_and_b32_e32 v31, 7, v76
; %bb.165:                              ;   in Loop: Header=BB211_13 Depth=1
	s_or_b32 exec_lo, exec_lo, s52
	v_lshlrev_b32_e32 v75, 24, v75
	s_delay_alu instid0(VALU_DEP_2) | instskip(SKIP_1) | instid1(VALU_DEP_3)
	v_lshlrev_b32_e32 v31, 20, v31
	v_lshl_add_u32 v74, v74, 23, 0x3c000000
	v_and_b32_e32 v75, 0x80000000, v75
	s_delay_alu instid0(VALU_DEP_1)
	v_or3_b32 v74, v31, v75, v74
.LBB211_166:                            ;   in Loop: Header=BB211_13 Depth=1
	s_or_b32 exec_lo, exec_lo, s51
.LBB211_167:                            ;   in Loop: Header=BB211_13 Depth=1
	s_delay_alu instid0(SALU_CYCLE_1)
	s_or_b32 exec_lo, exec_lo, s50
.LBB211_168:                            ;   in Loop: Header=BB211_13 Depth=1
	s_delay_alu instid0(SALU_CYCLE_1)
	s_or_b32 exec_lo, exec_lo, s49
	global_load_u8 v39, v[39:40], off offset:12
	s_mov_b32 s49, exec_lo
	s_waitcnt vmcnt(0)
	v_cmpx_ne_u16_e32 0, v39
	s_cbranch_execz .LBB211_176
; %bb.169:                              ;   in Loop: Header=BB211_13 Depth=1
	v_bfrev_b32_e32 v73, 1
	s_mov_b32 s50, exec_lo
	v_cmpx_ne_u16_e32 0x80, v39
	s_cbranch_execz .LBB211_175
; %bb.170:                              ;   in Loop: Header=BB211_13 Depth=1
	v_and_b32_e32 v31, 0xffff, v39
	v_mov_b32_e32 v73, 0x7f800001
	s_mov_b32 s51, exec_lo
	s_delay_alu instid0(VALU_DEP_2) | instskip(NEXT) | instid1(VALU_DEP_1)
	v_and_b32_e32 v75, 0x7f, v31
	v_cmpx_ne_u32_e32 0x7f, v75
	s_cbranch_execz .LBB211_174
; %bb.171:                              ;   in Loop: Header=BB211_13 Depth=1
	v_and_b32_e32 v31, 7, v31
	v_lshrrev_b32_e32 v40, 3, v75
	s_mov_b32 s52, exec_lo
	v_cmpx_gt_u32_e32 8, v75
; %bb.172:                              ;   in Loop: Header=BB211_13 Depth=1
	s_delay_alu instid0(VALU_DEP_3) | instskip(NEXT) | instid1(VALU_DEP_1)
	v_clz_i32_u32_e32 v40, v31
	v_min_u32_e32 v40, 32, v40
	s_delay_alu instid0(VALU_DEP_1) | instskip(SKIP_1) | instid1(VALU_DEP_2)
	v_subrev_nc_u32_e32 v73, 28, v40
	v_sub_nc_u32_e32 v40, 29, v40
	v_lshlrev_b64 v[75:76], v73, v[31:32]
	s_delay_alu instid0(VALU_DEP_1)
	v_and_b32_e32 v31, 7, v75
; %bb.173:                              ;   in Loop: Header=BB211_13 Depth=1
	s_or_b32 exec_lo, exec_lo, s52
	v_lshlrev_b32_e32 v39, 24, v39
	s_delay_alu instid0(VALU_DEP_2) | instskip(SKIP_1) | instid1(VALU_DEP_3)
	v_lshlrev_b32_e32 v31, 20, v31
	v_lshl_add_u32 v40, v40, 23, 0x3c000000
	v_and_b32_e32 v39, 0x80000000, v39
	s_delay_alu instid0(VALU_DEP_1)
	v_or3_b32 v73, v31, v39, v40
.LBB211_174:                            ;   in Loop: Header=BB211_13 Depth=1
	s_or_b32 exec_lo, exec_lo, s51
.LBB211_175:                            ;   in Loop: Header=BB211_13 Depth=1
	s_delay_alu instid0(SALU_CYCLE_1)
	s_or_b32 exec_lo, exec_lo, s50
.LBB211_176:                            ;   in Loop: Header=BB211_13 Depth=1
	s_delay_alu instid0(SALU_CYCLE_1)
	s_or_b32 exec_lo, exec_lo, s49
	global_load_u8 v39, v[37:38], off offset:640
	v_dual_mov_b32 v75, 0 :: v_dual_mov_b32 v76, 0
	s_mov_b32 s49, exec_lo
	s_waitcnt vmcnt(0)
	v_cmpx_ne_u16_e32 0, v39
	s_cbranch_execz .LBB211_184
; %bb.177:                              ;   in Loop: Header=BB211_13 Depth=1
	v_bfrev_b32_e32 v76, 1
	s_mov_b32 s50, exec_lo
	v_cmpx_ne_u16_e32 0x80, v39
	s_cbranch_execz .LBB211_183
; %bb.178:                              ;   in Loop: Header=BB211_13 Depth=1
	v_and_b32_e32 v31, 0xffff, v39
	v_mov_b32_e32 v76, 0x7f800001
	s_mov_b32 s51, exec_lo
	s_delay_alu instid0(VALU_DEP_2) | instskip(NEXT) | instid1(VALU_DEP_1)
	v_and_b32_e32 v77, 0x7f, v31
	v_cmpx_ne_u32_e32 0x7f, v77
	s_cbranch_execz .LBB211_182
; %bb.179:                              ;   in Loop: Header=BB211_13 Depth=1
	v_and_b32_e32 v31, 7, v31
	v_lshrrev_b32_e32 v40, 3, v77
	s_mov_b32 s52, exec_lo
	v_cmpx_gt_u32_e32 8, v77
; %bb.180:                              ;   in Loop: Header=BB211_13 Depth=1
	s_delay_alu instid0(VALU_DEP_3) | instskip(NEXT) | instid1(VALU_DEP_1)
	v_clz_i32_u32_e32 v40, v31
	v_min_u32_e32 v40, 32, v40
	s_delay_alu instid0(VALU_DEP_1) | instskip(SKIP_1) | instid1(VALU_DEP_2)
	v_subrev_nc_u32_e32 v76, 28, v40
	v_sub_nc_u32_e32 v40, 29, v40
	v_lshlrev_b64 v[76:77], v76, v[31:32]
	s_delay_alu instid0(VALU_DEP_1)
	v_and_b32_e32 v31, 7, v76
; %bb.181:                              ;   in Loop: Header=BB211_13 Depth=1
	s_or_b32 exec_lo, exec_lo, s52
	v_lshlrev_b32_e32 v39, 24, v39
	s_delay_alu instid0(VALU_DEP_2) | instskip(SKIP_1) | instid1(VALU_DEP_3)
	v_lshlrev_b32_e32 v31, 20, v31
	v_lshl_add_u32 v40, v40, 23, 0x3c000000
	v_and_b32_e32 v39, 0x80000000, v39
	s_delay_alu instid0(VALU_DEP_1)
	v_or3_b32 v76, v31, v39, v40
.LBB211_182:                            ;   in Loop: Header=BB211_13 Depth=1
	s_or_b32 exec_lo, exec_lo, s51
.LBB211_183:                            ;   in Loop: Header=BB211_13 Depth=1
	s_delay_alu instid0(SALU_CYCLE_1)
	s_or_b32 exec_lo, exec_lo, s50
.LBB211_184:                            ;   in Loop: Header=BB211_13 Depth=1
	s_delay_alu instid0(SALU_CYCLE_1)
	s_or_b32 exec_lo, exec_lo, s49
	global_load_u8 v39, v[37:38], off offset:644
	s_mov_b32 s49, exec_lo
	s_waitcnt vmcnt(0)
	v_cmpx_ne_u16_e32 0, v39
	s_cbranch_execz .LBB211_192
; %bb.185:                              ;   in Loop: Header=BB211_13 Depth=1
	v_bfrev_b32_e32 v75, 1
	s_mov_b32 s50, exec_lo
	v_cmpx_ne_u16_e32 0x80, v39
	s_cbranch_execz .LBB211_191
; %bb.186:                              ;   in Loop: Header=BB211_13 Depth=1
	v_and_b32_e32 v31, 0xffff, v39
	v_mov_b32_e32 v75, 0x7f800001
	s_mov_b32 s51, exec_lo
	s_delay_alu instid0(VALU_DEP_2) | instskip(NEXT) | instid1(VALU_DEP_1)
	v_and_b32_e32 v77, 0x7f, v31
	v_cmpx_ne_u32_e32 0x7f, v77
	s_cbranch_execz .LBB211_190
; %bb.187:                              ;   in Loop: Header=BB211_13 Depth=1
	v_and_b32_e32 v31, 7, v31
	v_lshrrev_b32_e32 v40, 3, v77
	s_mov_b32 s52, exec_lo
	v_cmpx_gt_u32_e32 8, v77
; %bb.188:                              ;   in Loop: Header=BB211_13 Depth=1
	s_delay_alu instid0(VALU_DEP_3) | instskip(NEXT) | instid1(VALU_DEP_1)
	v_clz_i32_u32_e32 v40, v31
	v_min_u32_e32 v40, 32, v40
	s_delay_alu instid0(VALU_DEP_1) | instskip(SKIP_1) | instid1(VALU_DEP_2)
	v_subrev_nc_u32_e32 v75, 28, v40
	v_sub_nc_u32_e32 v40, 29, v40
	v_lshlrev_b64 v[77:78], v75, v[31:32]
	s_delay_alu instid0(VALU_DEP_1)
	v_and_b32_e32 v31, 7, v77
; %bb.189:                              ;   in Loop: Header=BB211_13 Depth=1
	s_or_b32 exec_lo, exec_lo, s52
	v_lshlrev_b32_e32 v39, 24, v39
	s_delay_alu instid0(VALU_DEP_2) | instskip(SKIP_1) | instid1(VALU_DEP_3)
	v_lshlrev_b32_e32 v31, 20, v31
	v_lshl_add_u32 v40, v40, 23, 0x3c000000
	v_and_b32_e32 v39, 0x80000000, v39
	s_delay_alu instid0(VALU_DEP_1)
	v_or3_b32 v75, v31, v39, v40
.LBB211_190:                            ;   in Loop: Header=BB211_13 Depth=1
	s_or_b32 exec_lo, exec_lo, s51
.LBB211_191:                            ;   in Loop: Header=BB211_13 Depth=1
	s_delay_alu instid0(SALU_CYCLE_1)
	s_or_b32 exec_lo, exec_lo, s50
.LBB211_192:                            ;   in Loop: Header=BB211_13 Depth=1
	s_delay_alu instid0(SALU_CYCLE_1) | instskip(SKIP_1) | instid1(VALU_DEP_1)
	s_or_b32 exec_lo, exec_lo, s49
	v_add_co_u32 v39, s1, 0x280, v37
	v_add_co_ci_u32_e64 v40, s1, 0, v38, s1
	v_dual_mov_b32 v77, 0 :: v_dual_mov_b32 v78, 0
	s_mov_b32 s49, exec_lo
	global_load_u8 v79, v[39:40], off offset:8
	s_waitcnt vmcnt(0)
	v_cmpx_ne_u16_e32 0, v79
	s_cbranch_execz .LBB211_200
; %bb.193:                              ;   in Loop: Header=BB211_13 Depth=1
	v_bfrev_b32_e32 v78, 1
	s_mov_b32 s50, exec_lo
	v_cmpx_ne_u16_e32 0x80, v79
	s_cbranch_execz .LBB211_199
; %bb.194:                              ;   in Loop: Header=BB211_13 Depth=1
	v_and_b32_e32 v31, 0xffff, v79
	v_mov_b32_e32 v78, 0x7f800001
	s_mov_b32 s51, exec_lo
	s_delay_alu instid0(VALU_DEP_2) | instskip(NEXT) | instid1(VALU_DEP_1)
	v_and_b32_e32 v80, 0x7f, v31
	v_cmpx_ne_u32_e32 0x7f, v80
	s_cbranch_execz .LBB211_198
; %bb.195:                              ;   in Loop: Header=BB211_13 Depth=1
	v_and_b32_e32 v31, 7, v31
	v_lshrrev_b32_e32 v78, 3, v80
	s_mov_b32 s52, exec_lo
	v_cmpx_gt_u32_e32 8, v80
; %bb.196:                              ;   in Loop: Header=BB211_13 Depth=1
	s_delay_alu instid0(VALU_DEP_3) | instskip(NEXT) | instid1(VALU_DEP_1)
	v_clz_i32_u32_e32 v78, v31
	v_min_u32_e32 v78, 32, v78
	s_delay_alu instid0(VALU_DEP_1) | instskip(SKIP_1) | instid1(VALU_DEP_2)
	v_subrev_nc_u32_e32 v80, 28, v78
	v_sub_nc_u32_e32 v78, 29, v78
	v_lshlrev_b64 v[80:81], v80, v[31:32]
	s_delay_alu instid0(VALU_DEP_1)
	v_and_b32_e32 v31, 7, v80
; %bb.197:                              ;   in Loop: Header=BB211_13 Depth=1
	s_or_b32 exec_lo, exec_lo, s52
	v_lshlrev_b32_e32 v79, 24, v79
	s_delay_alu instid0(VALU_DEP_2) | instskip(SKIP_1) | instid1(VALU_DEP_3)
	v_lshlrev_b32_e32 v31, 20, v31
	v_lshl_add_u32 v78, v78, 23, 0x3c000000
	v_and_b32_e32 v79, 0x80000000, v79
	s_delay_alu instid0(VALU_DEP_1)
	v_or3_b32 v78, v31, v79, v78
.LBB211_198:                            ;   in Loop: Header=BB211_13 Depth=1
	s_or_b32 exec_lo, exec_lo, s51
.LBB211_199:                            ;   in Loop: Header=BB211_13 Depth=1
	s_delay_alu instid0(SALU_CYCLE_1)
	s_or_b32 exec_lo, exec_lo, s50
.LBB211_200:                            ;   in Loop: Header=BB211_13 Depth=1
	s_delay_alu instid0(SALU_CYCLE_1)
	s_or_b32 exec_lo, exec_lo, s49
	global_load_u8 v39, v[39:40], off offset:12
	s_mov_b32 s49, exec_lo
	s_waitcnt vmcnt(0)
	v_cmpx_ne_u16_e32 0, v39
	s_cbranch_execz .LBB211_208
; %bb.201:                              ;   in Loop: Header=BB211_13 Depth=1
	v_bfrev_b32_e32 v77, 1
	s_mov_b32 s50, exec_lo
	v_cmpx_ne_u16_e32 0x80, v39
	s_cbranch_execz .LBB211_207
; %bb.202:                              ;   in Loop: Header=BB211_13 Depth=1
	v_and_b32_e32 v31, 0xffff, v39
	v_mov_b32_e32 v77, 0x7f800001
	s_mov_b32 s51, exec_lo
	s_delay_alu instid0(VALU_DEP_2) | instskip(NEXT) | instid1(VALU_DEP_1)
	v_and_b32_e32 v79, 0x7f, v31
	v_cmpx_ne_u32_e32 0x7f, v79
	s_cbranch_execz .LBB211_206
; %bb.203:                              ;   in Loop: Header=BB211_13 Depth=1
	v_and_b32_e32 v31, 7, v31
	v_lshrrev_b32_e32 v40, 3, v79
	s_mov_b32 s52, exec_lo
	v_cmpx_gt_u32_e32 8, v79
; %bb.204:                              ;   in Loop: Header=BB211_13 Depth=1
	s_delay_alu instid0(VALU_DEP_3) | instskip(NEXT) | instid1(VALU_DEP_1)
	v_clz_i32_u32_e32 v40, v31
	v_min_u32_e32 v40, 32, v40
	s_delay_alu instid0(VALU_DEP_1) | instskip(SKIP_1) | instid1(VALU_DEP_2)
	v_subrev_nc_u32_e32 v77, 28, v40
	v_sub_nc_u32_e32 v40, 29, v40
	v_lshlrev_b64 v[79:80], v77, v[31:32]
	s_delay_alu instid0(VALU_DEP_1)
	v_and_b32_e32 v31, 7, v79
; %bb.205:                              ;   in Loop: Header=BB211_13 Depth=1
	s_or_b32 exec_lo, exec_lo, s52
	v_lshlrev_b32_e32 v39, 24, v39
	s_delay_alu instid0(VALU_DEP_2) | instskip(SKIP_1) | instid1(VALU_DEP_3)
	v_lshlrev_b32_e32 v31, 20, v31
	v_lshl_add_u32 v40, v40, 23, 0x3c000000
	v_and_b32_e32 v39, 0x80000000, v39
	s_delay_alu instid0(VALU_DEP_1)
	v_or3_b32 v77, v31, v39, v40
.LBB211_206:                            ;   in Loop: Header=BB211_13 Depth=1
	s_or_b32 exec_lo, exec_lo, s51
.LBB211_207:                            ;   in Loop: Header=BB211_13 Depth=1
	s_delay_alu instid0(SALU_CYCLE_1)
	s_or_b32 exec_lo, exec_lo, s50
.LBB211_208:                            ;   in Loop: Header=BB211_13 Depth=1
	s_delay_alu instid0(SALU_CYCLE_1)
	s_or_b32 exec_lo, exec_lo, s49
	global_load_u8 v79, v[37:38], off offset:768
	v_dual_mov_b32 v39, 0 :: v_dual_mov_b32 v40, 0
	s_mov_b32 s49, exec_lo
	s_waitcnt vmcnt(0)
	v_cmpx_ne_u16_e32 0, v79
	s_cbranch_execz .LBB211_216
; %bb.209:                              ;   in Loop: Header=BB211_13 Depth=1
	v_bfrev_b32_e32 v40, 1
	s_mov_b32 s50, exec_lo
	v_cmpx_ne_u16_e32 0x80, v79
	s_cbranch_execz .LBB211_215
; %bb.210:                              ;   in Loop: Header=BB211_13 Depth=1
	v_and_b32_e32 v31, 0xffff, v79
	v_mov_b32_e32 v40, 0x7f800001
	s_mov_b32 s51, exec_lo
	s_delay_alu instid0(VALU_DEP_2) | instskip(NEXT) | instid1(VALU_DEP_1)
	v_and_b32_e32 v80, 0x7f, v31
	v_cmpx_ne_u32_e32 0x7f, v80
	s_cbranch_execz .LBB211_214
; %bb.211:                              ;   in Loop: Header=BB211_13 Depth=1
	v_and_b32_e32 v31, 7, v31
	v_lshrrev_b32_e32 v40, 3, v80
	s_mov_b32 s52, exec_lo
	v_cmpx_gt_u32_e32 8, v80
; %bb.212:                              ;   in Loop: Header=BB211_13 Depth=1
	s_delay_alu instid0(VALU_DEP_3) | instskip(NEXT) | instid1(VALU_DEP_1)
	v_clz_i32_u32_e32 v40, v31
	v_min_u32_e32 v40, 32, v40
	s_delay_alu instid0(VALU_DEP_1) | instskip(SKIP_1) | instid1(VALU_DEP_2)
	v_subrev_nc_u32_e32 v80, 28, v40
	v_sub_nc_u32_e32 v40, 29, v40
	v_lshlrev_b64 v[80:81], v80, v[31:32]
	s_delay_alu instid0(VALU_DEP_1)
	v_and_b32_e32 v31, 7, v80
; %bb.213:                              ;   in Loop: Header=BB211_13 Depth=1
	s_or_b32 exec_lo, exec_lo, s52
	v_lshlrev_b32_e32 v79, 24, v79
	s_delay_alu instid0(VALU_DEP_2) | instskip(SKIP_1) | instid1(VALU_DEP_3)
	v_lshlrev_b32_e32 v31, 20, v31
	v_lshl_add_u32 v40, v40, 23, 0x3c000000
	v_and_b32_e32 v79, 0x80000000, v79
	s_delay_alu instid0(VALU_DEP_1)
	v_or3_b32 v40, v31, v79, v40
.LBB211_214:                            ;   in Loop: Header=BB211_13 Depth=1
	s_or_b32 exec_lo, exec_lo, s51
.LBB211_215:                            ;   in Loop: Header=BB211_13 Depth=1
	s_delay_alu instid0(SALU_CYCLE_1)
	s_or_b32 exec_lo, exec_lo, s50
.LBB211_216:                            ;   in Loop: Header=BB211_13 Depth=1
	s_delay_alu instid0(SALU_CYCLE_1)
	s_or_b32 exec_lo, exec_lo, s49
	global_load_u8 v79, v[37:38], off offset:772
	s_mov_b32 s49, exec_lo
	s_waitcnt vmcnt(0)
	v_cmpx_ne_u16_e32 0, v79
	s_cbranch_execz .LBB211_224
; %bb.217:                              ;   in Loop: Header=BB211_13 Depth=1
	v_bfrev_b32_e32 v39, 1
	s_mov_b32 s50, exec_lo
	v_cmpx_ne_u16_e32 0x80, v79
	s_cbranch_execz .LBB211_223
; %bb.218:                              ;   in Loop: Header=BB211_13 Depth=1
	v_and_b32_e32 v31, 0xffff, v79
	v_mov_b32_e32 v39, 0x7f800001
	s_mov_b32 s51, exec_lo
	s_delay_alu instid0(VALU_DEP_2) | instskip(NEXT) | instid1(VALU_DEP_1)
	v_and_b32_e32 v80, 0x7f, v31
	v_cmpx_ne_u32_e32 0x7f, v80
	s_cbranch_execz .LBB211_222
; %bb.219:                              ;   in Loop: Header=BB211_13 Depth=1
	v_and_b32_e32 v31, 7, v31
	v_lshrrev_b32_e32 v39, 3, v80
	s_mov_b32 s52, exec_lo
	v_cmpx_gt_u32_e32 8, v80
; %bb.220:                              ;   in Loop: Header=BB211_13 Depth=1
	s_delay_alu instid0(VALU_DEP_3) | instskip(NEXT) | instid1(VALU_DEP_1)
	v_clz_i32_u32_e32 v39, v31
	v_min_u32_e32 v39, 32, v39
	s_delay_alu instid0(VALU_DEP_1) | instskip(SKIP_1) | instid1(VALU_DEP_2)
	v_subrev_nc_u32_e32 v80, 28, v39
	v_sub_nc_u32_e32 v39, 29, v39
	v_lshlrev_b64 v[80:81], v80, v[31:32]
	s_delay_alu instid0(VALU_DEP_1)
	v_and_b32_e32 v31, 7, v80
; %bb.221:                              ;   in Loop: Header=BB211_13 Depth=1
	s_or_b32 exec_lo, exec_lo, s52
	v_lshlrev_b32_e32 v79, 24, v79
	s_delay_alu instid0(VALU_DEP_2) | instskip(SKIP_1) | instid1(VALU_DEP_3)
	v_lshlrev_b32_e32 v31, 20, v31
	v_lshl_add_u32 v39, v39, 23, 0x3c000000
	v_and_b32_e32 v79, 0x80000000, v79
	s_delay_alu instid0(VALU_DEP_1)
	v_or3_b32 v39, v31, v79, v39
.LBB211_222:                            ;   in Loop: Header=BB211_13 Depth=1
	s_or_b32 exec_lo, exec_lo, s51
.LBB211_223:                            ;   in Loop: Header=BB211_13 Depth=1
	s_delay_alu instid0(SALU_CYCLE_1)
	s_or_b32 exec_lo, exec_lo, s50
.LBB211_224:                            ;   in Loop: Header=BB211_13 Depth=1
	s_delay_alu instid0(SALU_CYCLE_1) | instskip(SKIP_1) | instid1(VALU_DEP_1)
	s_or_b32 exec_lo, exec_lo, s49
	v_add_co_u32 v37, s1, 0x300, v37
	v_add_co_ci_u32_e64 v38, s1, 0, v38, s1
	v_dual_mov_b32 v79, 0 :: v_dual_mov_b32 v80, 0
	s_mov_b32 s49, exec_lo
	global_load_u8 v81, v[37:38], off offset:8
	s_waitcnt vmcnt(0)
	v_cmpx_ne_u16_e32 0, v81
	s_cbranch_execz .LBB211_232
; %bb.225:                              ;   in Loop: Header=BB211_13 Depth=1
	v_bfrev_b32_e32 v80, 1
	s_mov_b32 s50, exec_lo
	v_cmpx_ne_u16_e32 0x80, v81
	s_cbranch_execz .LBB211_231
; %bb.226:                              ;   in Loop: Header=BB211_13 Depth=1
	v_and_b32_e32 v31, 0xffff, v81
	v_mov_b32_e32 v80, 0x7f800001
	s_mov_b32 s51, exec_lo
	s_delay_alu instid0(VALU_DEP_2) | instskip(NEXT) | instid1(VALU_DEP_1)
	v_and_b32_e32 v82, 0x7f, v31
	v_cmpx_ne_u32_e32 0x7f, v82
	s_cbranch_execz .LBB211_230
; %bb.227:                              ;   in Loop: Header=BB211_13 Depth=1
	v_and_b32_e32 v31, 7, v31
	v_lshrrev_b32_e32 v80, 3, v82
	s_mov_b32 s52, exec_lo
	v_cmpx_gt_u32_e32 8, v82
; %bb.228:                              ;   in Loop: Header=BB211_13 Depth=1
	s_delay_alu instid0(VALU_DEP_3) | instskip(NEXT) | instid1(VALU_DEP_1)
	v_clz_i32_u32_e32 v80, v31
	v_min_u32_e32 v80, 32, v80
	s_delay_alu instid0(VALU_DEP_1) | instskip(SKIP_1) | instid1(VALU_DEP_2)
	v_subrev_nc_u32_e32 v82, 28, v80
	v_sub_nc_u32_e32 v80, 29, v80
	v_lshlrev_b64 v[82:83], v82, v[31:32]
	s_delay_alu instid0(VALU_DEP_1)
	v_and_b32_e32 v31, 7, v82
; %bb.229:                              ;   in Loop: Header=BB211_13 Depth=1
	s_or_b32 exec_lo, exec_lo, s52
	v_lshlrev_b32_e32 v81, 24, v81
	s_delay_alu instid0(VALU_DEP_2) | instskip(SKIP_1) | instid1(VALU_DEP_3)
	v_lshlrev_b32_e32 v31, 20, v31
	v_lshl_add_u32 v80, v80, 23, 0x3c000000
	v_and_b32_e32 v81, 0x80000000, v81
	s_delay_alu instid0(VALU_DEP_1)
	v_or3_b32 v80, v31, v81, v80
.LBB211_230:                            ;   in Loop: Header=BB211_13 Depth=1
	s_or_b32 exec_lo, exec_lo, s51
.LBB211_231:                            ;   in Loop: Header=BB211_13 Depth=1
	s_delay_alu instid0(SALU_CYCLE_1)
	s_or_b32 exec_lo, exec_lo, s50
.LBB211_232:                            ;   in Loop: Header=BB211_13 Depth=1
	s_delay_alu instid0(SALU_CYCLE_1)
	s_or_b32 exec_lo, exec_lo, s49
	global_load_u8 v37, v[37:38], off offset:12
	s_mov_b32 s49, exec_lo
	s_waitcnt vmcnt(0)
	v_cmpx_ne_u16_e32 0, v37
	s_cbranch_execz .LBB211_240
; %bb.233:                              ;   in Loop: Header=BB211_13 Depth=1
	v_bfrev_b32_e32 v79, 1
	s_mov_b32 s50, exec_lo
	v_cmpx_ne_u16_e32 0x80, v37
	s_cbranch_execz .LBB211_239
; %bb.234:                              ;   in Loop: Header=BB211_13 Depth=1
	v_and_b32_e32 v31, 0xffff, v37
	v_mov_b32_e32 v79, 0x7f800001
	s_mov_b32 s51, exec_lo
	s_delay_alu instid0(VALU_DEP_2) | instskip(NEXT) | instid1(VALU_DEP_1)
	v_and_b32_e32 v81, 0x7f, v31
	v_cmpx_ne_u32_e32 0x7f, v81
	s_cbranch_execz .LBB211_238
; %bb.235:                              ;   in Loop: Header=BB211_13 Depth=1
	v_and_b32_e32 v31, 7, v31
	v_lshrrev_b32_e32 v38, 3, v81
	s_mov_b32 s52, exec_lo
	v_cmpx_gt_u32_e32 8, v81
; %bb.236:                              ;   in Loop: Header=BB211_13 Depth=1
	s_delay_alu instid0(VALU_DEP_3) | instskip(NEXT) | instid1(VALU_DEP_1)
	v_clz_i32_u32_e32 v38, v31
	v_min_u32_e32 v38, 32, v38
	s_delay_alu instid0(VALU_DEP_1) | instskip(SKIP_1) | instid1(VALU_DEP_2)
	v_subrev_nc_u32_e32 v79, 28, v38
	v_sub_nc_u32_e32 v38, 29, v38
	v_lshlrev_b64 v[81:82], v79, v[31:32]
	s_delay_alu instid0(VALU_DEP_1)
	v_and_b32_e32 v31, 7, v81
; %bb.237:                              ;   in Loop: Header=BB211_13 Depth=1
	s_or_b32 exec_lo, exec_lo, s52
	v_lshlrev_b32_e32 v37, 24, v37
	s_delay_alu instid0(VALU_DEP_2) | instskip(SKIP_1) | instid1(VALU_DEP_3)
	v_lshlrev_b32_e32 v31, 20, v31
	v_lshl_add_u32 v38, v38, 23, 0x3c000000
	v_and_b32_e32 v37, 0x80000000, v37
	s_delay_alu instid0(VALU_DEP_1)
	v_or3_b32 v79, v31, v37, v38
.LBB211_238:                            ;   in Loop: Header=BB211_13 Depth=1
	s_or_b32 exec_lo, exec_lo, s51
.LBB211_239:                            ;   in Loop: Header=BB211_13 Depth=1
	s_delay_alu instid0(SALU_CYCLE_1)
	s_or_b32 exec_lo, exec_lo, s50
.LBB211_240:                            ;   in Loop: Header=BB211_13 Depth=1
	s_delay_alu instid0(SALU_CYCLE_1) | instskip(SKIP_3) | instid1(VALU_DEP_1)
	s_or_b32 exec_lo, exec_lo, s49
	s_waitcnt lgkmcnt(0)
	v_mul_f32_e32 v37, s48, v56
	v_mul_f32_e32 v31, s48, v55
	;; [unrolled: 1-line block ×3, first 2 shown]
	s_delay_alu instid0(VALU_DEP_1) | instskip(SKIP_2) | instid1(VALU_DEP_1)
	v_fmac_f32_e32 v26, v25, v37
	v_mul_f32_e32 v25, s48, v57
	v_mul_f32_e32 v31, s48, v58
	v_fmac_f32_e32 v26, v27, v31
	s_delay_alu instid0(VALU_DEP_1) | instskip(SKIP_1) | instid1(VALU_DEP_1)
	v_dual_fmac_f32 v26, v28, v25 :: v_dual_mul_f32 v25, s48, v59
	v_mul_f32_e32 v27, s48, v60
	v_dual_fmac_f32 v26, v21, v27 :: v_dual_mul_f32 v21, s48, v62
	s_delay_alu instid0(VALU_DEP_1) | instskip(SKIP_1) | instid1(VALU_DEP_2)
	v_fmac_f32_e32 v26, v22, v25
	v_mul_f32_e32 v22, s48, v61
	v_dual_fmac_f32 v26, v23, v21 :: v_dual_mul_f32 v21, s48, v64
	s_delay_alu instid0(VALU_DEP_1) | instskip(SKIP_1) | instid1(VALU_DEP_2)
	v_fmac_f32_e32 v26, v24, v22
	;; [unrolled: 4-line block ×10, first 2 shown]
	v_mul_f32_e32 v6, s48, v39
	v_fmac_f32_e32 v26, v1, v5
	v_xor_b32_e32 v1, 2, v45
	s_delay_alu instid0(VALU_DEP_2) | instskip(NEXT) | instid1(VALU_DEP_2)
	v_dual_mul_f32 v5, s48, v80 :: v_dual_fmac_f32 v26, v2, v6
	v_cmp_gt_i32_e64 s1, 32, v1
	v_mul_f32_e32 v2, s48, v79
	s_delay_alu instid0(VALU_DEP_3) | instskip(NEXT) | instid1(VALU_DEP_3)
	v_fmac_f32_e32 v26, v3, v5
	v_cndmask_b32_e64 v1, v45, v1, s1
	s_delay_alu instid0(VALU_DEP_1) | instskip(SKIP_3) | instid1(VALU_DEP_1)
	v_dual_fmac_f32 v26, v4, v2 :: v_dual_lshlrev_b32 v1, 2, v1
	v_xor_b32_e32 v2, 1, v45
	ds_bpermute_b32 v1, v1, v26
	v_cmp_gt_i32_e64 s1, 32, v2
	v_cndmask_b32_e64 v2, v45, v2, s1
	s_waitcnt lgkmcnt(0)
	s_delay_alu instid0(VALU_DEP_1)
	v_dual_add_f32 v1, v26, v1 :: v_dual_lshlrev_b32 v2, 2, v2
	ds_bpermute_b32 v2, v2, v1
	s_and_saveexec_b32 s48, vcc_lo
	s_cbranch_execz .LBB211_11
; %bb.241:                              ;   in Loop: Header=BB211_13 Depth=1
	v_add_nc_u32_e32 v3, v51, v49
	s_waitcnt lgkmcnt(0)
	v_add_f32_e32 v1, v1, v2
	s_delay_alu instid0(VALU_DEP_2) | instskip(NEXT) | instid1(VALU_DEP_1)
	v_cvt_f32_i32_e32 v3, v3
	v_mul_f32_e32 v3, s42, v3
	s_delay_alu instid0(VALU_DEP_1) | instskip(NEXT) | instid1(VALU_DEP_1)
	v_cndmask_b32_e64 v2, 0, v3, s0
	v_dual_max_f32 v3, v46, v46 :: v_dual_fmac_f32 v2, s39, v1
	v_add_nc_u32_e32 v1, v47, v49
	s_delay_alu instid0(VALU_DEP_2) | instskip(NEXT) | instid1(VALU_DEP_2)
	v_max_f32_e32 v3, v3, v2
	v_cmp_gt_i32_e64 s1, s15, v1
	s_delay_alu instid0(VALU_DEP_1) | instskip(NEXT) | instid1(VALU_DEP_3)
	v_cndmask_b32_e64 v1, 0, v2, s1
	v_cndmask_b32_e64 v46, v46, v3, s1
	ds_store_b32 v52, v1
	s_branch .LBB211_11
.LBB211_242:
	s_or_b32 exec_lo, exec_lo, s46
.LBB211_243:
	s_delay_alu instid0(SALU_CYCLE_1) | instskip(SKIP_4) | instid1(VALU_DEP_4)
	s_or_b32 exec_lo, exec_lo, s43
	v_xor_b32_e32 v1, 16, v45
	v_xor_b32_e32 v3, 8, v45
	v_and_b32_e32 v21, 31, v0
	v_max_f32_e32 v5, v46, v46
	v_cmp_gt_i32_e32 vcc_lo, 32, v1
	v_cndmask_b32_e32 v1, v45, v1, vcc_lo
	v_cmp_gt_i32_e32 vcc_lo, 32, v3
	v_cndmask_b32_e32 v3, v45, v3, vcc_lo
	s_delay_alu instid0(VALU_DEP_1)
	v_lshlrev_b32_e32 v4, 2, v3
	s_waitcnt lgkmcnt(0)
	v_lshlrev_b32_e32 v2, 2, v1
	ds_bpermute_b32 v1, v2, v46
	s_waitcnt lgkmcnt(0)
	v_max_f32_e32 v1, v1, v1
	s_delay_alu instid0(VALU_DEP_1)
	v_max_f32_e32 v1, v5, v1
	v_xor_b32_e32 v5, 4, v45
	ds_bpermute_b32 v3, v4, v1
	v_cmp_gt_i32_e32 vcc_lo, 32, v5
	v_cndmask_b32_e32 v5, v45, v5, vcc_lo
	v_cmp_eq_u32_e32 vcc_lo, 0, v21
	s_delay_alu instid0(VALU_DEP_2) | instskip(SKIP_3) | instid1(VALU_DEP_1)
	v_lshlrev_b32_e32 v7, 2, v5
	v_lshlrev_b32_e32 v5, 2, v41
	s_waitcnt lgkmcnt(0)
	v_max_f32_e32 v3, v3, v3
	v_max_f32_e32 v1, v1, v3
	ds_bpermute_b32 v3, v7, v1
	s_and_saveexec_b32 s0, vcc_lo
	s_cbranch_execz .LBB211_245
; %bb.244:
	s_waitcnt lgkmcnt(0)
	v_max_f32_e32 v3, v3, v3
	v_max_f32_e32 v1, v1, v1
	s_delay_alu instid0(VALU_DEP_1)
	v_max_f32_e32 v1, v1, v3
	ds_store_b32 v5, v1 offset:448
.LBB211_245:
	s_or_b32 exec_lo, exec_lo, s0
	v_cmp_gt_u32_e64 s0, 4, v21
	v_dual_mov_b32 v1, 0xff7fffff :: v_dual_lshlrev_b32 v6, 2, v21
	s_waitcnt lgkmcnt(0)
	s_barrier
	buffer_gl0_inv
	s_and_saveexec_b32 s1, s0
	s_cbranch_execz .LBB211_247
; %bb.246:
	ds_load_b32 v1, v6 offset:448
.LBB211_247:
	s_or_b32 exec_lo, exec_lo, s1
	v_xor_b32_e32 v3, 2, v45
	v_xor_b32_e32 v9, 1, v45
	s_delay_alu instid0(VALU_DEP_2) | instskip(NEXT) | instid1(VALU_DEP_1)
	v_cmp_gt_i32_e64 s1, 32, v3
	v_cndmask_b32_e64 v3, v45, v3, s1
	s_delay_alu instid0(VALU_DEP_3) | instskip(NEXT) | instid1(VALU_DEP_2)
	v_cmp_gt_i32_e64 s1, 32, v9
	v_lshlrev_b32_e32 v8, 2, v3
	s_delay_alu instid0(VALU_DEP_2) | instskip(SKIP_1) | instid1(SALU_CYCLE_1)
	v_cndmask_b32_e64 v9, v45, v9, s1
	s_sub_i32 s1, s16, s8
	s_lshl_b32 s1, s1, 3
	s_waitcnt lgkmcnt(0)
	ds_bpermute_b32 v3, v8, v1
	v_max_f32_e32 v1, v1, v1
	s_add_i32 s1, s1, s40
	v_dual_mov_b32 v9, 0 :: v_dual_lshlrev_b32 v22, 2, v9
	s_min_i32 s1, s1, s15
	s_delay_alu instid0(SALU_CYCLE_1) | instskip(NEXT) | instid1(SALU_CYCLE_1)
	s_sub_i32 s4, s1, s40
	v_cmp_gt_i32_e64 s1, s4, v0
	s_waitcnt lgkmcnt(0)
	v_max_f32_e32 v3, v3, v3
	s_delay_alu instid0(VALU_DEP_1) | instskip(SKIP_3) | instid1(VALU_DEP_1)
	v_max_f32_e32 v1, v1, v3
	ds_bpermute_b32 v3, v22, v1
	s_waitcnt lgkmcnt(0)
	v_max_f32_e32 v3, v3, v3
	v_max_f32_e32 v1, v1, v3
	v_lshl_add_u32 v3, v0, 2, 0x1e0
	ds_bpermute_b32 v1, v9, v1
	s_and_saveexec_b32 s5, s1
	s_cbranch_execz .LBB211_251
; %bb.248:
	v_lshl_add_u32 v10, v0, 2, 0x1e0
	v_mov_b32_e32 v9, 0
	v_mov_b32_e32 v11, v0
	s_mov_b32 s8, 0
	.p2align	6
.LBB211_249:                            ; =>This Inner Loop Header: Depth=1
	ds_load_b32 v12, v10
	v_add_nc_u32_e32 v11, 0x80, v11
	s_delay_alu instid0(VALU_DEP_1) | instskip(NEXT) | instid1(VALU_DEP_1)
	v_cmp_le_i32_e64 s3, s4, v11
	s_or_b32 s8, s3, s8
	s_waitcnt lgkmcnt(0)
	v_sub_f32_e32 v12, v12, v1
	s_delay_alu instid0(VALU_DEP_1) | instskip(NEXT) | instid1(VALU_DEP_1)
	v_mul_f32_e32 v12, 0x3fb8aa3b, v12
	v_exp_f32_e32 v12, v12
	ds_store_b32 v10, v12
	v_dual_add_f32 v9, v9, v12 :: v_dual_add_nc_u32 v10, 0x200, v10
	s_and_not1_b32 exec_lo, exec_lo, s8
	s_cbranch_execnz .LBB211_249
; %bb.250:
	s_or_b32 exec_lo, exec_lo, s8
.LBB211_251:
	s_delay_alu instid0(SALU_CYCLE_1)
	s_or_b32 exec_lo, exec_lo, s5
	ds_bpermute_b32 v2, v2, v9
	s_waitcnt lgkmcnt(0)
	v_add_f32_e32 v2, v9, v2
	ds_bpermute_b32 v4, v4, v2
	s_waitcnt lgkmcnt(0)
	v_add_f32_e32 v2, v2, v4
	;; [unrolled: 3-line block ×5, first 2 shown]
	s_and_saveexec_b32 s3, vcc_lo
	s_cbranch_execz .LBB211_253
; %bb.252:
	ds_store_b32 v5, v2 offset:464
.LBB211_253:
	s_or_b32 exec_lo, exec_lo, s3
	s_waitcnt lgkmcnt(0)
	s_barrier
	buffer_gl0_inv
	s_and_saveexec_b32 s3, s0
	s_cbranch_execz .LBB211_255
; %bb.254:
	ds_load_b32 v2, v6 offset:464
.LBB211_255:
	s_or_b32 exec_lo, exec_lo, s3
	s_waitcnt lgkmcnt(0)
	ds_bpermute_b32 v4, v8, v2
	s_waitcnt lgkmcnt(0)
	v_add_f32_e32 v2, v2, v4
	ds_bpermute_b32 v4, v22, v2
	s_waitcnt lgkmcnt(0)
	v_add_f32_e32 v2, v2, v4
	v_mov_b32_e32 v4, 0
	ds_bpermute_b32 v2, v4, v2
	s_and_saveexec_b32 s0, s1
	s_cbranch_execz .LBB211_258
; %bb.256:
	s_waitcnt lgkmcnt(0)
	v_add_f32_e32 v4, 0x358637bd, v2
	s_mov_b32 s1, 0
	s_delay_alu instid0(VALU_DEP_1) | instskip(SKIP_1) | instid1(VALU_DEP_2)
	v_div_scale_f32 v5, null, v4, v4, 1.0
	v_div_scale_f32 v8, vcc_lo, 1.0, v4, 1.0
	v_rcp_f32_e32 v6, v5
	s_waitcnt_depctr 0xfff
	v_fma_f32 v7, -v5, v6, 1.0
	s_delay_alu instid0(VALU_DEP_1) | instskip(NEXT) | instid1(VALU_DEP_1)
	v_fmac_f32_e32 v6, v7, v6
	v_mul_f32_e32 v7, v8, v6
	s_delay_alu instid0(VALU_DEP_1) | instskip(NEXT) | instid1(VALU_DEP_1)
	v_fma_f32 v9, -v5, v7, v8
	v_fmac_f32_e32 v7, v9, v6
	s_delay_alu instid0(VALU_DEP_1) | instskip(NEXT) | instid1(VALU_DEP_1)
	v_fma_f32 v5, -v5, v7, v8
	v_div_fmas_f32 v5, v5, v6, v7
	s_delay_alu instid0(VALU_DEP_1)
	v_div_fixup_f32 v4, v5, v4, 1.0
	v_mov_b32_e32 v5, v0
.LBB211_257:                            ; =>This Inner Loop Header: Depth=1
	ds_load_b32 v6, v3
	s_waitcnt lgkmcnt(0)
	v_dual_mul_f32 v6, v4, v6 :: v_dual_add_nc_u32 v5, 0x80, v5
	s_delay_alu instid0(VALU_DEP_1) | instskip(SKIP_3) | instid1(SALU_CYCLE_1)
	v_cmp_le_i32_e32 vcc_lo, s4, v5
	ds_store_b32 v3, v6
	v_add_nc_u32_e32 v3, 0x200, v3
	s_or_b32 s1, vcc_lo, s1
	s_and_not1_b32 exec_lo, exec_lo, s1
	s_cbranch_execnz .LBB211_257
.LBB211_258:
	s_or_b32 exec_lo, exec_lo, s0
	s_mul_i32 s0, s11, s14
	s_waitcnt lgkmcnt(0)
	s_mul_i32 s4, s0, s13
	s_mov_b32 s0, exec_lo
	s_barrier
	buffer_gl0_inv
	v_cmpx_eq_u32_e32 0, v0
	s_cbranch_execz .LBB211_260
; %bb.259:
	s_ashr_i32 s5, s4, 31
	s_mul_i32 s44, s11, s28
	s_lshl_b64 s[42:43], s[4:5], 2
	v_mov_b32_e32 v3, 0
	s_add_u32 s1, s22, s42
	s_addc_u32 s3, s23, s43
	s_ashr_i32 s45, s44, 31
	s_delay_alu instid0(SALU_CYCLE_1) | instskip(NEXT) | instid1(SALU_CYCLE_1)
	s_lshl_b64 s[22:23], s[44:45], 2
	s_add_u32 s1, s1, s22
	s_addc_u32 s3, s3, s23
	s_ashr_i32 s13, s12, 31
	s_delay_alu instid0(SALU_CYCLE_1) | instskip(NEXT) | instid1(SALU_CYCLE_1)
	s_lshl_b64 s[44:45], s[12:13], 2
	s_add_u32 s46, s1, s44
	s_addc_u32 s47, s3, s45
	s_add_u32 s1, s20, s42
	s_addc_u32 s3, s21, s43
	;; [unrolled: 2-line block ×4, first 2 shown]
	s_clause 0x1
	global_store_b32 v3, v1, s[46:47]
	global_store_b32 v3, v2, s[20:21]
.LBB211_260:
	s_or_b32 exec_lo, exec_lo, s0
	v_dual_mov_b32 v32, 0 :: v_dual_and_b32 v23, 1, v0
	v_dual_mov_b32 v26, 0 :: v_dual_mov_b32 v25, 0
	v_dual_mov_b32 v28, 0 :: v_dual_mov_b32 v27, 0
	;; [unrolled: 1-line block ×3, first 2 shown]
	s_mov_b32 s8, 0
	s_and_saveexec_b32 s1, s2
	s_cbranch_execz .LBB211_504
; %bb.261:
	s_sub_i32 s5, s41, s17
	s_ashr_i32 s0, s10, 31
	s_add_u32 s14, s36, s10
	s_addc_u32 s0, s37, s0
	s_abs_i32 s10, s18
	v_dual_mov_b32 v31, 0 :: v_dual_and_b32 v4, 0x7c, v43
	v_cvt_f32_u32_e32 v1, s10
	s_sub_i32 s2, 0, s10
	v_dual_mov_b32 v6, 0 :: v_dual_lshlrev_b32 v5, 4, v23
	s_mov_b32 s13, s9
	s_delay_alu instid0(VALU_DEP_2)
	v_rcp_iflag_f32_e32 v3, v1
	v_lshlrev_b64 v[1:2], 2, v[29:30]
	v_add_co_u32 v7, s9, s14, v4
	s_add_i32 s38, s38, -1
	v_lshl_or_b32 v5, v41, 5, v5
	v_add_co_ci_u32_e64 v8, null, s0, 0, s9
	v_dual_mov_b32 v28, 0 :: v_dual_and_b32 v33, 4, v43
	s_waitcnt_depctr 0xfff
	v_dual_mov_b32 v24, 0 :: v_dual_mul_f32 v3, 0x4f7ffffe, v3
	v_dual_mov_b32 v27, 0 :: v_dual_mov_b32 v26, 0
	v_dual_mov_b32 v25, 0 :: v_dual_add_nc_u32 v30, 0x1e0, v5
	s_delay_alu instid0(VALU_DEP_3) | instskip(SKIP_3) | instid1(VALU_DEP_2)
	v_cvt_u32_f32_e32 v3, v3
	v_mov_b32_e32 v32, 0
	s_brev_b32 s9, 1
	s_mov_b32 s14, s8
	v_mul_lo_u32 v9, s2, v3
	s_lshl_b64 s[2:3], s[34:35], 2
	s_delay_alu instid0(SALU_CYCLE_1) | instskip(SKIP_2) | instid1(VALU_DEP_1)
	s_add_u32 s0, s30, s2
	s_addc_u32 s2, s31, s3
	s_mov_b32 s3, 0x7f800001
	v_mul_hi_u32 v4, v3, v9
	v_add_co_u32 v9, vcc_lo, s0, v1
	v_add_co_ci_u32_e32 v10, vcc_lo, s2, v2, vcc_lo
	s_delay_alu instid0(VALU_DEP_3)
	v_add_nc_u32_e32 v34, v3, v4
	s_branch .LBB211_264
.LBB211_262:                            ;   in Loop: Header=BB211_264 Depth=1
	s_or_b32 exec_lo, exec_lo, s0
	v_mul_f32_e32 v15, v2, v60
	s_delay_alu instid0(VALU_DEP_1) | instskip(SKIP_1) | instid1(VALU_DEP_2)
	v_dual_mul_f32 v14, v2, v62 :: v_dual_fmac_f32 v15, v1, v59
	v_mul_f32_e32 v16, v2, v56
	v_dual_fmac_f32 v14, v1, v61 :: v_dual_fmac_f32 v15, v3, v58
	s_delay_alu instid0(VALU_DEP_2) | instskip(SKIP_1) | instid1(VALU_DEP_3)
	v_dual_mul_f32 v17, v2, v52 :: v_dual_fmac_f32 v16, v1, v55
	v_mul_f32_e32 v18, v2, v48
	v_dual_mul_f32 v38, v2, v38 :: v_dual_fmac_f32 v15, v4, v57
	s_delay_alu instid0(VALU_DEP_3) | instskip(NEXT) | instid1(VALU_DEP_3)
	v_dual_fmac_f32 v17, v1, v51 :: v_dual_mul_f32 v2, v2, v13
	v_fmac_f32_e32 v18, v1, v47
	s_delay_alu instid0(VALU_DEP_3) | instskip(NEXT) | instid1(VALU_DEP_3)
	v_dual_fmac_f32 v16, v3, v54 :: v_dual_add_f32 v25, v25, v15
	v_dual_fmac_f32 v17, v3, v50 :: v_dual_fmac_f32 v2, v1, v12
	s_delay_alu instid0(VALU_DEP_3) | instskip(SKIP_1) | instid1(VALU_DEP_4)
	v_fmac_f32_e32 v18, v3, v46
	v_fmac_f32_e32 v14, v3, v20
	v_fmac_f32_e32 v16, v4, v53
	s_delay_alu instid0(VALU_DEP_4) | instskip(NEXT) | instid1(VALU_DEP_4)
	v_dual_fmac_f32 v17, v4, v49 :: v_dual_fmac_f32 v2, v3, v11
	v_fmac_f32_e32 v18, v4, v45
	v_fmac_f32_e32 v38, v1, v37
	s_delay_alu instid0(VALU_DEP_3) | instskip(NEXT) | instid1(VALU_DEP_3)
	v_dual_fmac_f32 v14, v4, v19 :: v_dual_add_f32 v27, v27, v17
	v_dual_fmac_f32 v2, v4, v5 :: v_dual_add_f32 v31, v31, v18
	s_delay_alu instid0(VALU_DEP_3) | instskip(NEXT) | instid1(VALU_DEP_3)
	v_fmac_f32_e32 v38, v3, v36
	v_add_f32_e32 v26, v26, v14
	v_add_f32_e32 v28, v28, v16
	s_delay_alu instid0(VALU_DEP_4) | instskip(NEXT) | instid1(VALU_DEP_4)
	v_add_f32_e32 v32, v32, v2
	v_fmac_f32_e32 v38, v4, v35
	s_delay_alu instid0(VALU_DEP_1)
	v_add_f32_e32 v24, v24, v38
.LBB211_263:                            ;   in Loop: Header=BB211_264 Depth=1
	s_or_b32 exec_lo, exec_lo, s17
	v_add_nc_u32_e32 v29, 4, v29
	v_add_co_u32 v9, s0, v9, 16
	s_delay_alu instid0(VALU_DEP_1) | instskip(NEXT) | instid1(VALU_DEP_3)
	v_add_co_ci_u32_e64 v10, s0, 0, v10, s0
	v_cmp_le_i32_e32 vcc_lo, s16, v29
	v_add_nc_u32_e32 v42, 32, v42
	v_add_nc_u32_e32 v30, 0x80, v30
	s_or_b32 s14, vcc_lo, s14
	s_delay_alu instid0(SALU_CYCLE_1)
	s_and_not1_b32 exec_lo, exec_lo, s14
	s_cbranch_execz .LBB211_503
.LBB211_264:                            ; =>This Inner Loop Header: Depth=1
	v_sub_nc_u32_e32 v1, 0, v42
	s_delay_alu instid0(VALU_DEP_1) | instskip(NEXT) | instid1(VALU_DEP_1)
	v_max_i32_e32 v1, v42, v1
	v_mul_hi_u32 v2, v1, s29
	s_delay_alu instid0(VALU_DEP_1) | instskip(NEXT) | instid1(VALU_DEP_1)
	v_mul_lo_u32 v3, v2, s25
	v_sub_nc_u32_e32 v1, v1, v3
	v_add_nc_u32_e32 v3, 1, v2
	s_delay_alu instid0(VALU_DEP_2) | instskip(SKIP_1) | instid1(VALU_DEP_2)
	v_subrev_nc_u32_e32 v4, s25, v1
	v_cmp_le_u32_e32 vcc_lo, s25, v1
	v_dual_cndmask_b32 v2, v2, v3 :: v_dual_cndmask_b32 v1, v1, v4
	v_ashrrev_i32_e32 v3, 31, v42
	s_delay_alu instid0(VALU_DEP_2) | instskip(NEXT) | instid1(VALU_DEP_3)
	v_add_nc_u32_e32 v4, 1, v2
	v_cmp_le_u32_e32 vcc_lo, s25, v1
	s_delay_alu instid0(VALU_DEP_3) | instskip(NEXT) | instid1(VALU_DEP_3)
	v_xor_b32_e32 v3, s19, v3
	v_cndmask_b32_e32 v1, v2, v4, vcc_lo
	s_delay_alu instid0(VALU_DEP_1) | instskip(NEXT) | instid1(VALU_DEP_1)
	v_xor_b32_e32 v1, v1, v3
	v_sub_nc_u32_e32 v1, v1, v3
	s_delay_alu instid0(VALU_DEP_1) | instskip(SKIP_1) | instid1(VALU_DEP_2)
	v_add_nc_u32_e32 v2, s33, v1
	v_cmp_lt_i32_e64 s0, s5, v1
	v_sub_nc_u32_e32 v3, 0, v2
	s_delay_alu instid0(VALU_DEP_1) | instskip(NEXT) | instid1(VALU_DEP_1)
	v_max_i32_e32 v3, v2, v3
	v_mul_hi_u32 v4, v3, v34
	s_delay_alu instid0(VALU_DEP_1) | instskip(NEXT) | instid1(VALU_DEP_1)
	v_mul_lo_u32 v4, v4, s10
	v_sub_nc_u32_e32 v3, v3, v4
	s_delay_alu instid0(VALU_DEP_1) | instskip(SKIP_1) | instid1(VALU_DEP_2)
	v_subrev_nc_u32_e32 v4, s10, v3
	v_cmp_le_u32_e32 vcc_lo, s10, v3
	v_cndmask_b32_e32 v3, v3, v4, vcc_lo
	v_ashrrev_i32_e32 v2, 31, v2
	s_delay_alu instid0(VALU_DEP_2) | instskip(SKIP_1) | instid1(VALU_DEP_2)
	v_subrev_nc_u32_e32 v4, s10, v3
	v_cmp_le_u32_e32 vcc_lo, s10, v3
	v_cndmask_b32_e32 v3, v3, v4, vcc_lo
	s_delay_alu instid0(VALU_DEP_1) | instskip(NEXT) | instid1(VALU_DEP_1)
	v_xor_b32_e32 v3, v3, v2
	v_sub_nc_u32_e32 v2, v3, v2
	s_delay_alu instid0(VALU_DEP_1) | instskip(SKIP_1) | instid1(SALU_CYCLE_1)
	v_cmp_eq_u32_e32 vcc_lo, 0, v2
	s_or_b32 s0, vcc_lo, s0
	s_and_saveexec_b32 s17, s0
	s_cbranch_execz .LBB211_263
; %bb.265:                              ;   in Loop: Header=BB211_264 Depth=1
	global_load_b32 v1, v[9:10], off
	s_load_b32 s18, s[6:7], 0x0
	v_mov_b32_e32 v15, 0
	s_mov_b32 s0, exec_lo
	s_waitcnt vmcnt(0)
	v_mad_i64_i32 v[11:12], null, v1, s13, v[7:8]
	ds_load_b128 v[1:4], v30
	global_load_b32 v35, v[11:12], off
	s_waitcnt vmcnt(0)
	v_dual_mov_b32 v16, 0 :: v_dual_and_b32 v5, 0xff, v35
	s_delay_alu instid0(VALU_DEP_1) | instskip(NEXT) | instid1(VALU_DEP_2)
	v_dual_mov_b32 v13, v15 :: v_dual_mov_b32 v14, v16
	v_cmpx_ne_u16_e32 0, v5
	s_cbranch_execz .LBB211_273
; %bb.266:                              ;   in Loop: Header=BB211_264 Depth=1
	v_bfrev_b32_e32 v13, 1
	v_mov_b32_e32 v14, 0
	s_mov_b32 s2, exec_lo
	v_cmpx_ne_u16_e32 0x80, v5
	s_cbranch_execz .LBB211_272
; %bb.267:                              ;   in Loop: Header=BB211_264 Depth=1
	v_mov_b32_e32 v13, 0x7f800001
	v_dual_mov_b32 v14, 0 :: v_dual_and_b32 v17, 0x7f, v35
	s_mov_b32 s20, exec_lo
	s_delay_alu instid0(VALU_DEP_1)
	v_cmpx_ne_u32_e32 0x7f, v17
	s_cbranch_execz .LBB211_271
; %bb.268:                              ;   in Loop: Header=BB211_264 Depth=1
	v_and_b32_e32 v5, 7, v35
	v_lshrrev_b32_e32 v13, 3, v17
	s_mov_b32 s21, exec_lo
	v_cmpx_gt_u32_e32 8, v17
; %bb.269:                              ;   in Loop: Header=BB211_264 Depth=1
	s_delay_alu instid0(VALU_DEP_3) | instskip(NEXT) | instid1(VALU_DEP_1)
	v_clz_i32_u32_e32 v13, v5
	v_min_u32_e32 v13, 32, v13
	s_delay_alu instid0(VALU_DEP_1) | instskip(SKIP_1) | instid1(VALU_DEP_2)
	v_subrev_nc_u32_e32 v14, 28, v13
	v_sub_nc_u32_e32 v13, 29, v13
	v_lshlrev_b64 v[17:18], v14, v[5:6]
	s_delay_alu instid0(VALU_DEP_1)
	v_and_b32_e32 v5, 7, v17
; %bb.270:                              ;   in Loop: Header=BB211_264 Depth=1
	s_or_b32 exec_lo, exec_lo, s21
	v_lshlrev_b32_e32 v14, 24, v35
	s_delay_alu instid0(VALU_DEP_2) | instskip(SKIP_1) | instid1(VALU_DEP_3)
	v_lshlrev_b32_e32 v5, 20, v5
	v_lshl_add_u32 v13, v13, 23, 0x3c000000
	v_and_b32_e32 v14, 0x80000000, v14
	s_delay_alu instid0(VALU_DEP_1) | instskip(NEXT) | instid1(VALU_DEP_1)
	v_or3_b32 v5, v5, v14, v13
	v_dual_mov_b32 v14, v6 :: v_dual_mov_b32 v13, v5
.LBB211_271:                            ;   in Loop: Header=BB211_264 Depth=1
	s_or_b32 exec_lo, exec_lo, s20
.LBB211_272:                            ;   in Loop: Header=BB211_264 Depth=1
	s_delay_alu instid0(SALU_CYCLE_1)
	s_or_b32 exec_lo, exec_lo, s2
.LBB211_273:                            ;   in Loop: Header=BB211_264 Depth=1
	s_delay_alu instid0(SALU_CYCLE_1) | instskip(SKIP_2) | instid1(VALU_DEP_1)
	s_or_b32 exec_lo, exec_lo, s0
	v_lshrrev_b16 v5, 8, v35
	s_mov_b32 s0, exec_lo
	v_cmpx_ne_u16_e32 0, v5
	s_cbranch_execz .LBB211_281
; %bb.274:                              ;   in Loop: Header=BB211_264 Depth=1
	v_dual_mov_b32 v16, s9 :: v_dual_mov_b32 v15, s8
	s_mov_b32 s20, exec_lo
	v_cmpx_ne_u16_e32 0x80, v5
	s_cbranch_execz .LBB211_280
; %bb.275:                              ;   in Loop: Header=BB211_264 Depth=1
	s_mov_b32 s2, s8
	v_dual_mov_b32 v16, s3 :: v_dual_and_b32 v5, 0xffff, v5
	v_mov_b32_e32 v15, s2
	s_mov_b32 s2, exec_lo
	s_delay_alu instid0(VALU_DEP_2) | instskip(NEXT) | instid1(VALU_DEP_1)
	v_and_b32_e32 v17, 0x7f, v5
	v_cmpx_ne_u32_e32 0x7f, v17
	s_cbranch_execz .LBB211_279
; %bb.276:                              ;   in Loop: Header=BB211_264 Depth=1
	v_and_b32_e32 v5, 7, v5
	v_lshrrev_b32_e32 v15, 3, v17
	s_mov_b32 s21, exec_lo
	v_cmpx_gt_u32_e32 8, v17
; %bb.277:                              ;   in Loop: Header=BB211_264 Depth=1
	s_delay_alu instid0(VALU_DEP_3) | instskip(NEXT) | instid1(VALU_DEP_1)
	v_clz_i32_u32_e32 v15, v5
	v_min_u32_e32 v15, 32, v15
	s_delay_alu instid0(VALU_DEP_1) | instskip(SKIP_1) | instid1(VALU_DEP_2)
	v_subrev_nc_u32_e32 v16, 28, v15
	v_sub_nc_u32_e32 v15, 29, v15
	v_lshlrev_b64 v[16:17], v16, v[5:6]
	s_delay_alu instid0(VALU_DEP_1)
	v_and_b32_e32 v5, 7, v16
; %bb.278:                              ;   in Loop: Header=BB211_264 Depth=1
	s_or_b32 exec_lo, exec_lo, s21
	v_lshlrev_b32_e32 v16, 16, v35
	s_delay_alu instid0(VALU_DEP_2) | instskip(SKIP_1) | instid1(VALU_DEP_3)
	v_lshlrev_b32_e32 v5, 20, v5
	v_lshl_add_u32 v15, v15, 23, 0x3c000000
	v_and_b32_e32 v16, 0x80000000, v16
	s_delay_alu instid0(VALU_DEP_1)
	v_or3_b32 v16, v5, v16, v15
	v_mov_b32_e32 v15, v6
.LBB211_279:                            ;   in Loop: Header=BB211_264 Depth=1
	s_or_b32 exec_lo, exec_lo, s2
.LBB211_280:                            ;   in Loop: Header=BB211_264 Depth=1
	s_delay_alu instid0(SALU_CYCLE_1)
	s_or_b32 exec_lo, exec_lo, s20
.LBB211_281:                            ;   in Loop: Header=BB211_264 Depth=1
	s_delay_alu instid0(SALU_CYCLE_1) | instskip(SKIP_4) | instid1(VALU_DEP_2)
	s_or_b32 exec_lo, exec_lo, s0
	v_mov_b32_e32 v19, 0
	v_lshrrev_b32_e32 v36, 16, v35
	v_mov_b32_e32 v20, 0
	s_mov_b32 s0, exec_lo
	v_and_b32_e32 v5, 0xff, v36
	s_delay_alu instid0(VALU_DEP_2) | instskip(NEXT) | instid1(VALU_DEP_2)
	v_dual_mov_b32 v17, v19 :: v_dual_mov_b32 v18, v20
	v_cmpx_ne_u16_e32 0, v5
	s_cbranch_execz .LBB211_289
; %bb.282:                              ;   in Loop: Header=BB211_264 Depth=1
	v_bfrev_b32_e32 v17, 1
	v_mov_b32_e32 v18, 0
	s_mov_b32 s2, exec_lo
	v_cmpx_ne_u16_e32 0x80, v5
	s_cbranch_execz .LBB211_288
; %bb.283:                              ;   in Loop: Header=BB211_264 Depth=1
	v_mov_b32_e32 v17, 0x7f800001
	v_bfe_u32 v37, v35, 16, 7
	v_mov_b32_e32 v18, 0
	s_mov_b32 s20, exec_lo
	s_delay_alu instid0(VALU_DEP_2)
	v_cmpx_ne_u32_e32 0x7f, v37
	s_cbranch_execz .LBB211_287
; %bb.284:                              ;   in Loop: Header=BB211_264 Depth=1
	v_and_b32_e32 v5, 7, v36
	v_lshrrev_b32_e32 v17, 3, v37
	s_mov_b32 s21, exec_lo
	v_cmpx_gt_u32_e32 8, v37
; %bb.285:                              ;   in Loop: Header=BB211_264 Depth=1
	s_delay_alu instid0(VALU_DEP_3) | instskip(NEXT) | instid1(VALU_DEP_1)
	v_clz_i32_u32_e32 v17, v5
	v_min_u32_e32 v17, 32, v17
	s_delay_alu instid0(VALU_DEP_1) | instskip(SKIP_1) | instid1(VALU_DEP_2)
	v_subrev_nc_u32_e32 v18, 28, v17
	v_sub_nc_u32_e32 v17, 29, v17
	v_lshlrev_b64 v[37:38], v18, v[5:6]
	s_delay_alu instid0(VALU_DEP_1)
	v_and_b32_e32 v5, 7, v37
; %bb.286:                              ;   in Loop: Header=BB211_264 Depth=1
	s_or_b32 exec_lo, exec_lo, s21
	v_lshlrev_b32_e32 v18, 24, v36
	s_delay_alu instid0(VALU_DEP_2) | instskip(SKIP_1) | instid1(VALU_DEP_3)
	v_lshlrev_b32_e32 v5, 20, v5
	v_lshl_add_u32 v17, v17, 23, 0x3c000000
	v_and_b32_e32 v18, 0x80000000, v18
	s_delay_alu instid0(VALU_DEP_1) | instskip(NEXT) | instid1(VALU_DEP_1)
	v_or3_b32 v5, v5, v18, v17
	v_dual_mov_b32 v18, v6 :: v_dual_mov_b32 v17, v5
.LBB211_287:                            ;   in Loop: Header=BB211_264 Depth=1
	s_or_b32 exec_lo, exec_lo, s20
.LBB211_288:                            ;   in Loop: Header=BB211_264 Depth=1
	s_delay_alu instid0(SALU_CYCLE_1)
	s_or_b32 exec_lo, exec_lo, s2
.LBB211_289:                            ;   in Loop: Header=BB211_264 Depth=1
	s_delay_alu instid0(SALU_CYCLE_1) | instskip(NEXT) | instid1(SALU_CYCLE_1)
	s_or_b32 exec_lo, exec_lo, s0
	s_mov_b32 s0, exec_lo
	v_cmpx_lt_u32_e32 0xffffff, v35
	s_cbranch_execz .LBB211_297
; %bb.290:                              ;   in Loop: Header=BB211_264 Depth=1
	v_lshrrev_b32_e32 v36, 24, v35
	v_dual_mov_b32 v20, s9 :: v_dual_mov_b32 v19, s8
	s_mov_b32 s20, exec_lo
	s_delay_alu instid0(VALU_DEP_2)
	v_cmpx_ne_u32_e32 0x80, v36
	s_cbranch_execz .LBB211_296
; %bb.291:                              ;   in Loop: Header=BB211_264 Depth=1
	s_mov_b32 s2, s8
	v_bfe_u32 v35, v35, 24, 7
	v_dual_mov_b32 v20, s3 :: v_dual_mov_b32 v19, s2
	s_mov_b32 s2, exec_lo
	s_delay_alu instid0(VALU_DEP_2)
	v_cmpx_ne_u32_e32 0x7f, v35
	s_cbranch_execz .LBB211_295
; %bb.292:                              ;   in Loop: Header=BB211_264 Depth=1
	v_and_b32_e32 v5, 7, v36
	v_lshrrev_b32_e32 v19, 3, v35
	s_mov_b32 s21, exec_lo
	v_cmpx_gt_u32_e32 8, v35
; %bb.293:                              ;   in Loop: Header=BB211_264 Depth=1
	s_delay_alu instid0(VALU_DEP_3) | instskip(NEXT) | instid1(VALU_DEP_1)
	v_clz_i32_u32_e32 v19, v5
	v_min_u32_e32 v19, 32, v19
	s_delay_alu instid0(VALU_DEP_1) | instskip(SKIP_1) | instid1(VALU_DEP_2)
	v_subrev_nc_u32_e32 v20, 28, v19
	v_sub_nc_u32_e32 v19, 29, v19
	v_lshlrev_b64 v[37:38], v20, v[5:6]
	s_delay_alu instid0(VALU_DEP_1)
	v_and_b32_e32 v5, 7, v37
; %bb.294:                              ;   in Loop: Header=BB211_264 Depth=1
	s_or_b32 exec_lo, exec_lo, s21
	v_lshlrev_b32_e32 v20, 24, v36
	s_delay_alu instid0(VALU_DEP_2) | instskip(SKIP_1) | instid1(VALU_DEP_3)
	v_lshlrev_b32_e32 v5, 20, v5
	v_lshl_add_u32 v19, v19, 23, 0x3c000000
	v_and_b32_e32 v20, 0x80000000, v20
	s_delay_alu instid0(VALU_DEP_1)
	v_or3_b32 v20, v5, v20, v19
	v_mov_b32_e32 v19, v6
.LBB211_295:                            ;   in Loop: Header=BB211_264 Depth=1
	s_or_b32 exec_lo, exec_lo, s2
.LBB211_296:                            ;   in Loop: Header=BB211_264 Depth=1
	s_delay_alu instid0(SALU_CYCLE_1)
	s_or_b32 exec_lo, exec_lo, s20
.LBB211_297:                            ;   in Loop: Header=BB211_264 Depth=1
	s_delay_alu instid0(SALU_CYCLE_1)
	s_or_b32 exec_lo, exec_lo, s0
	v_or_b32_e32 v5, v16, v14
	v_add_nc_u32_e32 v39, v33, v42
	v_or_b32_e32 v13, v15, v13
	v_or_b32_e32 v14, v20, v18
	;; [unrolled: 1-line block ×3, first 2 shown]
	s_waitcnt lgkmcnt(0)
	v_mul_f32_e32 v38, s18, v5
	v_cmp_eq_u32_e32 vcc_lo, s38, v29
	v_mul_f32_e32 v37, s18, v13
	v_dual_mul_f32 v35, s18, v14 :: v_dual_add_nc_u32 v44, 1, v39
	v_mul_f32_e32 v36, s18, v15
	v_add_nc_u32_e32 v43, 2, v39
	v_add_nc_u32_e32 v40, 3, v39
	s_and_saveexec_b32 s2, vcc_lo
; %bb.298:                              ;   in Loop: Header=BB211_264 Depth=1
	v_cmp_gt_i32_e64 s0, s15, v39
	s_delay_alu instid0(VALU_DEP_1) | instskip(SKIP_1) | instid1(VALU_DEP_1)
	v_cndmask_b32_e64 v37, 0, v37, s0
	v_cmp_gt_i32_e64 s0, s15, v44
	v_cndmask_b32_e64 v38, 0, v38, s0
	v_cmp_gt_i32_e64 s0, s15, v43
	s_delay_alu instid0(VALU_DEP_1) | instskip(SKIP_1) | instid1(VALU_DEP_1)
	v_cndmask_b32_e64 v36, 0, v36, s0
	v_cmp_gt_i32_e64 s0, s15, v40
	v_cndmask_b32_e64 v35, 0, v35, s0
; %bb.299:                              ;   in Loop: Header=BB211_264 Depth=1
	s_or_b32 exec_lo, exec_lo, s2
	global_load_b32 v45, v[11:12], off offset:128
	v_mov_b32_e32 v15, 0
	v_mov_b32_e32 v16, 0
	s_mov_b32 s2, exec_lo
	s_waitcnt vmcnt(0)
	v_and_b32_e32 v5, 0xff, v45
	s_delay_alu instid0(VALU_DEP_2) | instskip(NEXT) | instid1(VALU_DEP_2)
	v_dual_mov_b32 v13, v15 :: v_dual_mov_b32 v14, v16
	v_cmpx_ne_u16_e32 0, v5
	s_cbranch_execz .LBB211_307
; %bb.300:                              ;   in Loop: Header=BB211_264 Depth=1
	v_bfrev_b32_e32 v13, 1
	v_mov_b32_e32 v14, 0
	s_mov_b32 s20, exec_lo
	v_cmpx_ne_u16_e32 0x80, v5
	s_cbranch_execz .LBB211_306
; %bb.301:                              ;   in Loop: Header=BB211_264 Depth=1
	v_mov_b32_e32 v13, 0x7f800001
	v_dual_mov_b32 v14, 0 :: v_dual_and_b32 v17, 0x7f, v45
	s_mov_b32 s21, exec_lo
	s_delay_alu instid0(VALU_DEP_1)
	v_cmpx_ne_u32_e32 0x7f, v17
	s_cbranch_execz .LBB211_305
; %bb.302:                              ;   in Loop: Header=BB211_264 Depth=1
	v_and_b32_e32 v5, 7, v45
	v_lshrrev_b32_e32 v13, 3, v17
	s_mov_b32 s22, exec_lo
	v_cmpx_gt_u32_e32 8, v17
; %bb.303:                              ;   in Loop: Header=BB211_264 Depth=1
	s_delay_alu instid0(VALU_DEP_3) | instskip(NEXT) | instid1(VALU_DEP_1)
	v_clz_i32_u32_e32 v13, v5
	v_min_u32_e32 v13, 32, v13
	s_delay_alu instid0(VALU_DEP_1) | instskip(SKIP_1) | instid1(VALU_DEP_2)
	v_subrev_nc_u32_e32 v14, 28, v13
	v_sub_nc_u32_e32 v13, 29, v13
	v_lshlrev_b64 v[17:18], v14, v[5:6]
	s_delay_alu instid0(VALU_DEP_1)
	v_and_b32_e32 v5, 7, v17
; %bb.304:                              ;   in Loop: Header=BB211_264 Depth=1
	s_or_b32 exec_lo, exec_lo, s22
	v_lshlrev_b32_e32 v14, 24, v45
	s_delay_alu instid0(VALU_DEP_2) | instskip(SKIP_1) | instid1(VALU_DEP_3)
	v_lshlrev_b32_e32 v5, 20, v5
	v_lshl_add_u32 v13, v13, 23, 0x3c000000
	v_and_b32_e32 v14, 0x80000000, v14
	s_delay_alu instid0(VALU_DEP_1) | instskip(NEXT) | instid1(VALU_DEP_1)
	v_or3_b32 v5, v5, v14, v13
	v_dual_mov_b32 v14, v6 :: v_dual_mov_b32 v13, v5
.LBB211_305:                            ;   in Loop: Header=BB211_264 Depth=1
	s_or_b32 exec_lo, exec_lo, s21
.LBB211_306:                            ;   in Loop: Header=BB211_264 Depth=1
	s_delay_alu instid0(SALU_CYCLE_1)
	s_or_b32 exec_lo, exec_lo, s20
.LBB211_307:                            ;   in Loop: Header=BB211_264 Depth=1
	s_delay_alu instid0(SALU_CYCLE_1) | instskip(SKIP_2) | instid1(VALU_DEP_1)
	s_or_b32 exec_lo, exec_lo, s2
	v_lshrrev_b16 v5, 8, v45
	s_mov_b32 s20, exec_lo
	v_cmpx_ne_u16_e32 0, v5
	s_cbranch_execz .LBB211_315
; %bb.308:                              ;   in Loop: Header=BB211_264 Depth=1
	v_dual_mov_b32 v16, s9 :: v_dual_mov_b32 v15, s8
	s_mov_b32 s21, exec_lo
	v_cmpx_ne_u16_e32 0x80, v5
	s_cbranch_execz .LBB211_314
; %bb.309:                              ;   in Loop: Header=BB211_264 Depth=1
	s_mov_b32 s2, s8
	v_dual_mov_b32 v16, s3 :: v_dual_and_b32 v5, 0xffff, v5
	v_mov_b32_e32 v15, s2
	s_mov_b32 s2, exec_lo
	s_delay_alu instid0(VALU_DEP_2) | instskip(NEXT) | instid1(VALU_DEP_1)
	v_and_b32_e32 v17, 0x7f, v5
	v_cmpx_ne_u32_e32 0x7f, v17
	s_cbranch_execz .LBB211_313
; %bb.310:                              ;   in Loop: Header=BB211_264 Depth=1
	v_and_b32_e32 v5, 7, v5
	v_lshrrev_b32_e32 v15, 3, v17
	s_mov_b32 s22, exec_lo
	v_cmpx_gt_u32_e32 8, v17
; %bb.311:                              ;   in Loop: Header=BB211_264 Depth=1
	s_delay_alu instid0(VALU_DEP_3) | instskip(NEXT) | instid1(VALU_DEP_1)
	v_clz_i32_u32_e32 v15, v5
	v_min_u32_e32 v15, 32, v15
	s_delay_alu instid0(VALU_DEP_1) | instskip(SKIP_1) | instid1(VALU_DEP_2)
	v_subrev_nc_u32_e32 v16, 28, v15
	v_sub_nc_u32_e32 v15, 29, v15
	v_lshlrev_b64 v[16:17], v16, v[5:6]
	s_delay_alu instid0(VALU_DEP_1)
	v_and_b32_e32 v5, 7, v16
; %bb.312:                              ;   in Loop: Header=BB211_264 Depth=1
	s_or_b32 exec_lo, exec_lo, s22
	v_lshlrev_b32_e32 v16, 16, v45
	s_delay_alu instid0(VALU_DEP_2) | instskip(SKIP_1) | instid1(VALU_DEP_3)
	v_lshlrev_b32_e32 v5, 20, v5
	v_lshl_add_u32 v15, v15, 23, 0x3c000000
	v_and_b32_e32 v16, 0x80000000, v16
	s_delay_alu instid0(VALU_DEP_1)
	v_or3_b32 v16, v5, v16, v15
	v_mov_b32_e32 v15, v6
.LBB211_313:                            ;   in Loop: Header=BB211_264 Depth=1
	s_or_b32 exec_lo, exec_lo, s2
.LBB211_314:                            ;   in Loop: Header=BB211_264 Depth=1
	s_delay_alu instid0(SALU_CYCLE_1)
	s_or_b32 exec_lo, exec_lo, s21
.LBB211_315:                            ;   in Loop: Header=BB211_264 Depth=1
	s_delay_alu instid0(SALU_CYCLE_1) | instskip(SKIP_4) | instid1(VALU_DEP_2)
	s_or_b32 exec_lo, exec_lo, s20
	v_mov_b32_e32 v19, 0
	v_lshrrev_b32_e32 v46, 16, v45
	v_mov_b32_e32 v20, 0
	s_mov_b32 s2, exec_lo
	v_and_b32_e32 v5, 0xff, v46
	s_delay_alu instid0(VALU_DEP_2) | instskip(NEXT) | instid1(VALU_DEP_2)
	v_dual_mov_b32 v17, v19 :: v_dual_mov_b32 v18, v20
	v_cmpx_ne_u16_e32 0, v5
	s_cbranch_execz .LBB211_323
; %bb.316:                              ;   in Loop: Header=BB211_264 Depth=1
	v_bfrev_b32_e32 v17, 1
	v_mov_b32_e32 v18, 0
	s_mov_b32 s20, exec_lo
	v_cmpx_ne_u16_e32 0x80, v5
	s_cbranch_execz .LBB211_322
; %bb.317:                              ;   in Loop: Header=BB211_264 Depth=1
	v_mov_b32_e32 v17, 0x7f800001
	v_bfe_u32 v47, v45, 16, 7
	v_mov_b32_e32 v18, 0
	s_mov_b32 s21, exec_lo
	s_delay_alu instid0(VALU_DEP_2)
	v_cmpx_ne_u32_e32 0x7f, v47
	s_cbranch_execz .LBB211_321
; %bb.318:                              ;   in Loop: Header=BB211_264 Depth=1
	v_and_b32_e32 v5, 7, v46
	v_lshrrev_b32_e32 v17, 3, v47
	s_mov_b32 s22, exec_lo
	v_cmpx_gt_u32_e32 8, v47
; %bb.319:                              ;   in Loop: Header=BB211_264 Depth=1
	s_delay_alu instid0(VALU_DEP_3) | instskip(NEXT) | instid1(VALU_DEP_1)
	v_clz_i32_u32_e32 v17, v5
	v_min_u32_e32 v17, 32, v17
	s_delay_alu instid0(VALU_DEP_1) | instskip(SKIP_1) | instid1(VALU_DEP_2)
	v_subrev_nc_u32_e32 v18, 28, v17
	v_sub_nc_u32_e32 v17, 29, v17
	v_lshlrev_b64 v[47:48], v18, v[5:6]
	s_delay_alu instid0(VALU_DEP_1)
	v_and_b32_e32 v5, 7, v47
; %bb.320:                              ;   in Loop: Header=BB211_264 Depth=1
	s_or_b32 exec_lo, exec_lo, s22
	v_lshlrev_b32_e32 v18, 24, v46
	s_delay_alu instid0(VALU_DEP_2) | instskip(SKIP_1) | instid1(VALU_DEP_3)
	v_lshlrev_b32_e32 v5, 20, v5
	v_lshl_add_u32 v17, v17, 23, 0x3c000000
	v_and_b32_e32 v18, 0x80000000, v18
	s_delay_alu instid0(VALU_DEP_1) | instskip(NEXT) | instid1(VALU_DEP_1)
	v_or3_b32 v5, v5, v18, v17
	v_dual_mov_b32 v18, v6 :: v_dual_mov_b32 v17, v5
.LBB211_321:                            ;   in Loop: Header=BB211_264 Depth=1
	s_or_b32 exec_lo, exec_lo, s21
.LBB211_322:                            ;   in Loop: Header=BB211_264 Depth=1
	s_delay_alu instid0(SALU_CYCLE_1)
	s_or_b32 exec_lo, exec_lo, s20
.LBB211_323:                            ;   in Loop: Header=BB211_264 Depth=1
	s_delay_alu instid0(SALU_CYCLE_1) | instskip(NEXT) | instid1(SALU_CYCLE_1)
	s_or_b32 exec_lo, exec_lo, s2
	s_mov_b32 s20, exec_lo
	v_cmpx_lt_u32_e32 0xffffff, v45
	s_cbranch_execz .LBB211_331
; %bb.324:                              ;   in Loop: Header=BB211_264 Depth=1
	v_lshrrev_b32_e32 v46, 24, v45
	v_dual_mov_b32 v20, s9 :: v_dual_mov_b32 v19, s8
	s_mov_b32 s21, exec_lo
	s_delay_alu instid0(VALU_DEP_2)
	v_cmpx_ne_u32_e32 0x80, v46
	s_cbranch_execz .LBB211_330
; %bb.325:                              ;   in Loop: Header=BB211_264 Depth=1
	s_mov_b32 s2, s8
	v_bfe_u32 v45, v45, 24, 7
	v_dual_mov_b32 v20, s3 :: v_dual_mov_b32 v19, s2
	s_mov_b32 s2, exec_lo
	s_delay_alu instid0(VALU_DEP_2)
	v_cmpx_ne_u32_e32 0x7f, v45
	s_cbranch_execz .LBB211_329
; %bb.326:                              ;   in Loop: Header=BB211_264 Depth=1
	v_and_b32_e32 v5, 7, v46
	v_lshrrev_b32_e32 v19, 3, v45
	s_mov_b32 s22, exec_lo
	v_cmpx_gt_u32_e32 8, v45
; %bb.327:                              ;   in Loop: Header=BB211_264 Depth=1
	s_delay_alu instid0(VALU_DEP_3) | instskip(NEXT) | instid1(VALU_DEP_1)
	v_clz_i32_u32_e32 v19, v5
	v_min_u32_e32 v19, 32, v19
	s_delay_alu instid0(VALU_DEP_1) | instskip(SKIP_1) | instid1(VALU_DEP_2)
	v_subrev_nc_u32_e32 v20, 28, v19
	v_sub_nc_u32_e32 v19, 29, v19
	v_lshlrev_b64 v[47:48], v20, v[5:6]
	s_delay_alu instid0(VALU_DEP_1)
	v_and_b32_e32 v5, 7, v47
; %bb.328:                              ;   in Loop: Header=BB211_264 Depth=1
	s_or_b32 exec_lo, exec_lo, s22
	v_lshlrev_b32_e32 v20, 24, v46
	s_delay_alu instid0(VALU_DEP_2) | instskip(SKIP_1) | instid1(VALU_DEP_3)
	v_lshlrev_b32_e32 v5, 20, v5
	v_lshl_add_u32 v19, v19, 23, 0x3c000000
	v_and_b32_e32 v20, 0x80000000, v20
	s_delay_alu instid0(VALU_DEP_1)
	v_or3_b32 v20, v5, v20, v19
	v_mov_b32_e32 v19, v6
.LBB211_329:                            ;   in Loop: Header=BB211_264 Depth=1
	s_or_b32 exec_lo, exec_lo, s2
.LBB211_330:                            ;   in Loop: Header=BB211_264 Depth=1
	s_delay_alu instid0(SALU_CYCLE_1)
	s_or_b32 exec_lo, exec_lo, s21
.LBB211_331:                            ;   in Loop: Header=BB211_264 Depth=1
	s_delay_alu instid0(SALU_CYCLE_1)
	s_or_b32 exec_lo, exec_lo, s20
	v_or_b32_e32 v5, v16, v14
	v_or_b32_e32 v13, v15, v13
	v_or_b32_e32 v14, v20, v18
	v_or_b32_e32 v15, v19, v17
	s_mov_b32 s20, s18
	s_delay_alu instid0(VALU_DEP_2) | instid1(SALU_CYCLE_1)
	v_dual_mul_f32 v48, s20, v5 :: v_dual_mul_f32 v45, s20, v14
	s_delay_alu instid0(VALU_DEP_2)
	v_dual_mul_f32 v47, s18, v13 :: v_dual_mul_f32 v46, s18, v15
	s_and_saveexec_b32 s2, vcc_lo
; %bb.332:                              ;   in Loop: Header=BB211_264 Depth=1
	v_cmp_gt_i32_e64 s0, s15, v39
	s_delay_alu instid0(VALU_DEP_1) | instskip(SKIP_1) | instid1(VALU_DEP_1)
	v_cndmask_b32_e64 v47, 0, v47, s0
	v_cmp_gt_i32_e64 s0, s15, v44
	v_cndmask_b32_e64 v48, 0, v48, s0
	v_cmp_gt_i32_e64 s0, s15, v43
	s_delay_alu instid0(VALU_DEP_1) | instskip(SKIP_1) | instid1(VALU_DEP_1)
	v_cndmask_b32_e64 v46, 0, v46, s0
	v_cmp_gt_i32_e64 s0, s15, v40
	v_cndmask_b32_e64 v45, 0, v45, s0
; %bb.333:                              ;   in Loop: Header=BB211_264 Depth=1
	s_or_b32 exec_lo, exec_lo, s2
	global_load_b32 v49, v[11:12], off offset:256
	v_mov_b32_e32 v15, 0
	v_mov_b32_e32 v16, 0
	s_mov_b32 s2, exec_lo
	s_waitcnt vmcnt(0)
	v_and_b32_e32 v5, 0xff, v49
	s_delay_alu instid0(VALU_DEP_2) | instskip(NEXT) | instid1(VALU_DEP_2)
	v_dual_mov_b32 v13, v15 :: v_dual_mov_b32 v14, v16
	v_cmpx_ne_u16_e32 0, v5
	s_cbranch_execz .LBB211_341
; %bb.334:                              ;   in Loop: Header=BB211_264 Depth=1
	v_bfrev_b32_e32 v13, 1
	v_mov_b32_e32 v14, 0
	s_mov_b32 s21, exec_lo
	v_cmpx_ne_u16_e32 0x80, v5
	s_cbranch_execz .LBB211_340
; %bb.335:                              ;   in Loop: Header=BB211_264 Depth=1
	v_mov_b32_e32 v13, 0x7f800001
	v_dual_mov_b32 v14, 0 :: v_dual_and_b32 v17, 0x7f, v49
	s_mov_b32 s22, exec_lo
	s_delay_alu instid0(VALU_DEP_1)
	v_cmpx_ne_u32_e32 0x7f, v17
	s_cbranch_execz .LBB211_339
; %bb.336:                              ;   in Loop: Header=BB211_264 Depth=1
	v_and_b32_e32 v5, 7, v49
	v_lshrrev_b32_e32 v13, 3, v17
	s_mov_b32 s23, exec_lo
	v_cmpx_gt_u32_e32 8, v17
; %bb.337:                              ;   in Loop: Header=BB211_264 Depth=1
	s_delay_alu instid0(VALU_DEP_3) | instskip(NEXT) | instid1(VALU_DEP_1)
	v_clz_i32_u32_e32 v13, v5
	v_min_u32_e32 v13, 32, v13
	s_delay_alu instid0(VALU_DEP_1) | instskip(SKIP_1) | instid1(VALU_DEP_2)
	v_subrev_nc_u32_e32 v14, 28, v13
	v_sub_nc_u32_e32 v13, 29, v13
	v_lshlrev_b64 v[17:18], v14, v[5:6]
	s_delay_alu instid0(VALU_DEP_1)
	v_and_b32_e32 v5, 7, v17
; %bb.338:                              ;   in Loop: Header=BB211_264 Depth=1
	s_or_b32 exec_lo, exec_lo, s23
	v_lshlrev_b32_e32 v14, 24, v49
	s_delay_alu instid0(VALU_DEP_2) | instskip(SKIP_1) | instid1(VALU_DEP_3)
	v_lshlrev_b32_e32 v5, 20, v5
	v_lshl_add_u32 v13, v13, 23, 0x3c000000
	v_and_b32_e32 v14, 0x80000000, v14
	s_delay_alu instid0(VALU_DEP_1) | instskip(NEXT) | instid1(VALU_DEP_1)
	v_or3_b32 v5, v5, v14, v13
	v_dual_mov_b32 v14, v6 :: v_dual_mov_b32 v13, v5
.LBB211_339:                            ;   in Loop: Header=BB211_264 Depth=1
	s_or_b32 exec_lo, exec_lo, s22
.LBB211_340:                            ;   in Loop: Header=BB211_264 Depth=1
	s_delay_alu instid0(SALU_CYCLE_1)
	s_or_b32 exec_lo, exec_lo, s21
.LBB211_341:                            ;   in Loop: Header=BB211_264 Depth=1
	s_delay_alu instid0(SALU_CYCLE_1) | instskip(SKIP_2) | instid1(VALU_DEP_1)
	s_or_b32 exec_lo, exec_lo, s2
	v_lshrrev_b16 v5, 8, v49
	s_mov_b32 s21, exec_lo
	v_cmpx_ne_u16_e32 0, v5
	s_cbranch_execz .LBB211_349
; %bb.342:                              ;   in Loop: Header=BB211_264 Depth=1
	v_dual_mov_b32 v16, s9 :: v_dual_mov_b32 v15, s8
	s_mov_b32 s22, exec_lo
	v_cmpx_ne_u16_e32 0x80, v5
	s_cbranch_execz .LBB211_348
; %bb.343:                              ;   in Loop: Header=BB211_264 Depth=1
	s_mov_b32 s2, s8
	v_dual_mov_b32 v16, s3 :: v_dual_and_b32 v5, 0xffff, v5
	v_mov_b32_e32 v15, s2
	s_mov_b32 s2, exec_lo
	s_delay_alu instid0(VALU_DEP_2) | instskip(NEXT) | instid1(VALU_DEP_1)
	v_and_b32_e32 v17, 0x7f, v5
	v_cmpx_ne_u32_e32 0x7f, v17
	s_cbranch_execz .LBB211_347
; %bb.344:                              ;   in Loop: Header=BB211_264 Depth=1
	v_and_b32_e32 v5, 7, v5
	v_lshrrev_b32_e32 v15, 3, v17
	s_mov_b32 s23, exec_lo
	v_cmpx_gt_u32_e32 8, v17
; %bb.345:                              ;   in Loop: Header=BB211_264 Depth=1
	s_delay_alu instid0(VALU_DEP_3) | instskip(NEXT) | instid1(VALU_DEP_1)
	v_clz_i32_u32_e32 v15, v5
	v_min_u32_e32 v15, 32, v15
	s_delay_alu instid0(VALU_DEP_1) | instskip(SKIP_1) | instid1(VALU_DEP_2)
	v_subrev_nc_u32_e32 v16, 28, v15
	v_sub_nc_u32_e32 v15, 29, v15
	v_lshlrev_b64 v[16:17], v16, v[5:6]
	s_delay_alu instid0(VALU_DEP_1)
	v_and_b32_e32 v5, 7, v16
; %bb.346:                              ;   in Loop: Header=BB211_264 Depth=1
	s_or_b32 exec_lo, exec_lo, s23
	v_lshlrev_b32_e32 v16, 16, v49
	s_delay_alu instid0(VALU_DEP_2) | instskip(SKIP_1) | instid1(VALU_DEP_3)
	v_lshlrev_b32_e32 v5, 20, v5
	v_lshl_add_u32 v15, v15, 23, 0x3c000000
	v_and_b32_e32 v16, 0x80000000, v16
	s_delay_alu instid0(VALU_DEP_1)
	v_or3_b32 v16, v5, v16, v15
	v_mov_b32_e32 v15, v6
.LBB211_347:                            ;   in Loop: Header=BB211_264 Depth=1
	s_or_b32 exec_lo, exec_lo, s2
.LBB211_348:                            ;   in Loop: Header=BB211_264 Depth=1
	s_delay_alu instid0(SALU_CYCLE_1)
	s_or_b32 exec_lo, exec_lo, s22
.LBB211_349:                            ;   in Loop: Header=BB211_264 Depth=1
	s_delay_alu instid0(SALU_CYCLE_1) | instskip(SKIP_4) | instid1(VALU_DEP_2)
	s_or_b32 exec_lo, exec_lo, s21
	v_mov_b32_e32 v19, 0
	v_lshrrev_b32_e32 v50, 16, v49
	v_mov_b32_e32 v20, 0
	s_mov_b32 s2, exec_lo
	v_and_b32_e32 v5, 0xff, v50
	s_delay_alu instid0(VALU_DEP_2) | instskip(NEXT) | instid1(VALU_DEP_2)
	v_dual_mov_b32 v17, v19 :: v_dual_mov_b32 v18, v20
	v_cmpx_ne_u16_e32 0, v5
	s_cbranch_execz .LBB211_357
; %bb.350:                              ;   in Loop: Header=BB211_264 Depth=1
	v_bfrev_b32_e32 v17, 1
	v_mov_b32_e32 v18, 0
	s_mov_b32 s21, exec_lo
	v_cmpx_ne_u16_e32 0x80, v5
	s_cbranch_execz .LBB211_356
; %bb.351:                              ;   in Loop: Header=BB211_264 Depth=1
	v_mov_b32_e32 v17, 0x7f800001
	v_bfe_u32 v51, v49, 16, 7
	v_mov_b32_e32 v18, 0
	s_mov_b32 s22, exec_lo
	s_delay_alu instid0(VALU_DEP_2)
	v_cmpx_ne_u32_e32 0x7f, v51
	s_cbranch_execz .LBB211_355
; %bb.352:                              ;   in Loop: Header=BB211_264 Depth=1
	v_and_b32_e32 v5, 7, v50
	v_lshrrev_b32_e32 v17, 3, v51
	s_mov_b32 s23, exec_lo
	v_cmpx_gt_u32_e32 8, v51
; %bb.353:                              ;   in Loop: Header=BB211_264 Depth=1
	s_delay_alu instid0(VALU_DEP_3) | instskip(NEXT) | instid1(VALU_DEP_1)
	v_clz_i32_u32_e32 v17, v5
	v_min_u32_e32 v17, 32, v17
	s_delay_alu instid0(VALU_DEP_1) | instskip(SKIP_1) | instid1(VALU_DEP_2)
	v_subrev_nc_u32_e32 v18, 28, v17
	v_sub_nc_u32_e32 v17, 29, v17
	v_lshlrev_b64 v[51:52], v18, v[5:6]
	s_delay_alu instid0(VALU_DEP_1)
	v_and_b32_e32 v5, 7, v51
; %bb.354:                              ;   in Loop: Header=BB211_264 Depth=1
	s_or_b32 exec_lo, exec_lo, s23
	v_lshlrev_b32_e32 v18, 24, v50
	s_delay_alu instid0(VALU_DEP_2) | instskip(SKIP_1) | instid1(VALU_DEP_3)
	v_lshlrev_b32_e32 v5, 20, v5
	v_lshl_add_u32 v17, v17, 23, 0x3c000000
	v_and_b32_e32 v18, 0x80000000, v18
	s_delay_alu instid0(VALU_DEP_1) | instskip(NEXT) | instid1(VALU_DEP_1)
	v_or3_b32 v5, v5, v18, v17
	v_dual_mov_b32 v18, v6 :: v_dual_mov_b32 v17, v5
.LBB211_355:                            ;   in Loop: Header=BB211_264 Depth=1
	s_or_b32 exec_lo, exec_lo, s22
.LBB211_356:                            ;   in Loop: Header=BB211_264 Depth=1
	s_delay_alu instid0(SALU_CYCLE_1)
	s_or_b32 exec_lo, exec_lo, s21
.LBB211_357:                            ;   in Loop: Header=BB211_264 Depth=1
	s_delay_alu instid0(SALU_CYCLE_1) | instskip(NEXT) | instid1(SALU_CYCLE_1)
	s_or_b32 exec_lo, exec_lo, s2
	s_mov_b32 s21, exec_lo
	v_cmpx_lt_u32_e32 0xffffff, v49
	s_cbranch_execz .LBB211_365
; %bb.358:                              ;   in Loop: Header=BB211_264 Depth=1
	v_lshrrev_b32_e32 v50, 24, v49
	v_dual_mov_b32 v20, s9 :: v_dual_mov_b32 v19, s8
	s_mov_b32 s22, exec_lo
	s_delay_alu instid0(VALU_DEP_2)
	v_cmpx_ne_u32_e32 0x80, v50
	s_cbranch_execz .LBB211_364
; %bb.359:                              ;   in Loop: Header=BB211_264 Depth=1
	s_mov_b32 s2, s8
	v_bfe_u32 v49, v49, 24, 7
	v_dual_mov_b32 v20, s3 :: v_dual_mov_b32 v19, s2
	s_mov_b32 s2, exec_lo
	s_delay_alu instid0(VALU_DEP_2)
	v_cmpx_ne_u32_e32 0x7f, v49
	s_cbranch_execz .LBB211_363
; %bb.360:                              ;   in Loop: Header=BB211_264 Depth=1
	v_and_b32_e32 v5, 7, v50
	v_lshrrev_b32_e32 v19, 3, v49
	s_mov_b32 s23, exec_lo
	v_cmpx_gt_u32_e32 8, v49
; %bb.361:                              ;   in Loop: Header=BB211_264 Depth=1
	s_delay_alu instid0(VALU_DEP_3) | instskip(NEXT) | instid1(VALU_DEP_1)
	v_clz_i32_u32_e32 v19, v5
	v_min_u32_e32 v19, 32, v19
	s_delay_alu instid0(VALU_DEP_1) | instskip(SKIP_1) | instid1(VALU_DEP_2)
	v_subrev_nc_u32_e32 v20, 28, v19
	v_sub_nc_u32_e32 v19, 29, v19
	v_lshlrev_b64 v[51:52], v20, v[5:6]
	s_delay_alu instid0(VALU_DEP_1)
	v_and_b32_e32 v5, 7, v51
; %bb.362:                              ;   in Loop: Header=BB211_264 Depth=1
	s_or_b32 exec_lo, exec_lo, s23
	v_lshlrev_b32_e32 v20, 24, v50
	s_delay_alu instid0(VALU_DEP_2) | instskip(SKIP_1) | instid1(VALU_DEP_3)
	v_lshlrev_b32_e32 v5, 20, v5
	v_lshl_add_u32 v19, v19, 23, 0x3c000000
	v_and_b32_e32 v20, 0x80000000, v20
	s_delay_alu instid0(VALU_DEP_1)
	v_or3_b32 v20, v5, v20, v19
	v_mov_b32_e32 v19, v6
.LBB211_363:                            ;   in Loop: Header=BB211_264 Depth=1
	s_or_b32 exec_lo, exec_lo, s2
.LBB211_364:                            ;   in Loop: Header=BB211_264 Depth=1
	s_delay_alu instid0(SALU_CYCLE_1)
	s_or_b32 exec_lo, exec_lo, s22
.LBB211_365:                            ;   in Loop: Header=BB211_264 Depth=1
	s_delay_alu instid0(SALU_CYCLE_1) | instskip(SKIP_4) | instid1(VALU_DEP_4)
	s_or_b32 exec_lo, exec_lo, s21
	v_or_b32_e32 v5, v16, v14
	v_or_b32_e32 v13, v15, v13
	;; [unrolled: 1-line block ×4, first 2 shown]
	v_mul_f32_e32 v52, s20, v5
	s_delay_alu instid0(VALU_DEP_4) | instskip(NEXT) | instid1(VALU_DEP_3)
	v_mul_f32_e32 v51, s18, v13
	v_dual_mul_f32 v49, s20, v14 :: v_dual_mul_f32 v50, s18, v15
	s_and_saveexec_b32 s2, vcc_lo
; %bb.366:                              ;   in Loop: Header=BB211_264 Depth=1
	v_cmp_gt_i32_e64 s0, s15, v39
	s_delay_alu instid0(VALU_DEP_1) | instskip(SKIP_1) | instid1(VALU_DEP_1)
	v_cndmask_b32_e64 v51, 0, v51, s0
	v_cmp_gt_i32_e64 s0, s15, v44
	v_cndmask_b32_e64 v52, 0, v52, s0
	v_cmp_gt_i32_e64 s0, s15, v43
	s_delay_alu instid0(VALU_DEP_1) | instskip(SKIP_1) | instid1(VALU_DEP_1)
	v_cndmask_b32_e64 v50, 0, v50, s0
	v_cmp_gt_i32_e64 s0, s15, v40
	v_cndmask_b32_e64 v49, 0, v49, s0
; %bb.367:                              ;   in Loop: Header=BB211_264 Depth=1
	s_or_b32 exec_lo, exec_lo, s2
	global_load_b32 v53, v[11:12], off offset:384
	v_mov_b32_e32 v15, 0
	v_mov_b32_e32 v16, 0
	s_mov_b32 s2, exec_lo
	s_waitcnt vmcnt(0)
	v_and_b32_e32 v5, 0xff, v53
	s_delay_alu instid0(VALU_DEP_2) | instskip(NEXT) | instid1(VALU_DEP_2)
	v_dual_mov_b32 v13, v15 :: v_dual_mov_b32 v14, v16
	v_cmpx_ne_u16_e32 0, v5
	s_cbranch_execz .LBB211_375
; %bb.368:                              ;   in Loop: Header=BB211_264 Depth=1
	v_bfrev_b32_e32 v13, 1
	v_mov_b32_e32 v14, 0
	s_mov_b32 s21, exec_lo
	v_cmpx_ne_u16_e32 0x80, v5
	s_cbranch_execz .LBB211_374
; %bb.369:                              ;   in Loop: Header=BB211_264 Depth=1
	v_mov_b32_e32 v13, 0x7f800001
	v_dual_mov_b32 v14, 0 :: v_dual_and_b32 v17, 0x7f, v53
	s_mov_b32 s22, exec_lo
	s_delay_alu instid0(VALU_DEP_1)
	v_cmpx_ne_u32_e32 0x7f, v17
	s_cbranch_execz .LBB211_373
; %bb.370:                              ;   in Loop: Header=BB211_264 Depth=1
	v_and_b32_e32 v5, 7, v53
	v_lshrrev_b32_e32 v13, 3, v17
	s_mov_b32 s23, exec_lo
	v_cmpx_gt_u32_e32 8, v17
; %bb.371:                              ;   in Loop: Header=BB211_264 Depth=1
	s_delay_alu instid0(VALU_DEP_3) | instskip(NEXT) | instid1(VALU_DEP_1)
	v_clz_i32_u32_e32 v13, v5
	v_min_u32_e32 v13, 32, v13
	s_delay_alu instid0(VALU_DEP_1) | instskip(SKIP_1) | instid1(VALU_DEP_2)
	v_subrev_nc_u32_e32 v14, 28, v13
	v_sub_nc_u32_e32 v13, 29, v13
	v_lshlrev_b64 v[17:18], v14, v[5:6]
	s_delay_alu instid0(VALU_DEP_1)
	v_and_b32_e32 v5, 7, v17
; %bb.372:                              ;   in Loop: Header=BB211_264 Depth=1
	s_or_b32 exec_lo, exec_lo, s23
	v_lshlrev_b32_e32 v14, 24, v53
	s_delay_alu instid0(VALU_DEP_2) | instskip(SKIP_1) | instid1(VALU_DEP_3)
	v_lshlrev_b32_e32 v5, 20, v5
	v_lshl_add_u32 v13, v13, 23, 0x3c000000
	v_and_b32_e32 v14, 0x80000000, v14
	s_delay_alu instid0(VALU_DEP_1) | instskip(NEXT) | instid1(VALU_DEP_1)
	v_or3_b32 v5, v5, v14, v13
	v_dual_mov_b32 v14, v6 :: v_dual_mov_b32 v13, v5
.LBB211_373:                            ;   in Loop: Header=BB211_264 Depth=1
	s_or_b32 exec_lo, exec_lo, s22
.LBB211_374:                            ;   in Loop: Header=BB211_264 Depth=1
	s_delay_alu instid0(SALU_CYCLE_1)
	s_or_b32 exec_lo, exec_lo, s21
.LBB211_375:                            ;   in Loop: Header=BB211_264 Depth=1
	s_delay_alu instid0(SALU_CYCLE_1) | instskip(SKIP_2) | instid1(VALU_DEP_1)
	s_or_b32 exec_lo, exec_lo, s2
	v_lshrrev_b16 v5, 8, v53
	s_mov_b32 s21, exec_lo
	v_cmpx_ne_u16_e32 0, v5
	s_cbranch_execz .LBB211_383
; %bb.376:                              ;   in Loop: Header=BB211_264 Depth=1
	v_dual_mov_b32 v16, s9 :: v_dual_mov_b32 v15, s8
	s_mov_b32 s22, exec_lo
	v_cmpx_ne_u16_e32 0x80, v5
	s_cbranch_execz .LBB211_382
; %bb.377:                              ;   in Loop: Header=BB211_264 Depth=1
	s_mov_b32 s2, s8
	v_dual_mov_b32 v16, s3 :: v_dual_and_b32 v5, 0xffff, v5
	v_mov_b32_e32 v15, s2
	s_mov_b32 s2, exec_lo
	s_delay_alu instid0(VALU_DEP_2) | instskip(NEXT) | instid1(VALU_DEP_1)
	v_and_b32_e32 v17, 0x7f, v5
	v_cmpx_ne_u32_e32 0x7f, v17
	s_cbranch_execz .LBB211_381
; %bb.378:                              ;   in Loop: Header=BB211_264 Depth=1
	v_and_b32_e32 v5, 7, v5
	v_lshrrev_b32_e32 v15, 3, v17
	s_mov_b32 s23, exec_lo
	v_cmpx_gt_u32_e32 8, v17
; %bb.379:                              ;   in Loop: Header=BB211_264 Depth=1
	s_delay_alu instid0(VALU_DEP_3) | instskip(NEXT) | instid1(VALU_DEP_1)
	v_clz_i32_u32_e32 v15, v5
	v_min_u32_e32 v15, 32, v15
	s_delay_alu instid0(VALU_DEP_1) | instskip(SKIP_1) | instid1(VALU_DEP_2)
	v_subrev_nc_u32_e32 v16, 28, v15
	v_sub_nc_u32_e32 v15, 29, v15
	v_lshlrev_b64 v[16:17], v16, v[5:6]
	s_delay_alu instid0(VALU_DEP_1)
	v_and_b32_e32 v5, 7, v16
; %bb.380:                              ;   in Loop: Header=BB211_264 Depth=1
	s_or_b32 exec_lo, exec_lo, s23
	v_lshlrev_b32_e32 v16, 16, v53
	s_delay_alu instid0(VALU_DEP_2) | instskip(SKIP_1) | instid1(VALU_DEP_3)
	v_lshlrev_b32_e32 v5, 20, v5
	v_lshl_add_u32 v15, v15, 23, 0x3c000000
	v_and_b32_e32 v16, 0x80000000, v16
	s_delay_alu instid0(VALU_DEP_1)
	v_or3_b32 v16, v5, v16, v15
	v_mov_b32_e32 v15, v6
.LBB211_381:                            ;   in Loop: Header=BB211_264 Depth=1
	s_or_b32 exec_lo, exec_lo, s2
.LBB211_382:                            ;   in Loop: Header=BB211_264 Depth=1
	s_delay_alu instid0(SALU_CYCLE_1)
	s_or_b32 exec_lo, exec_lo, s22
.LBB211_383:                            ;   in Loop: Header=BB211_264 Depth=1
	s_delay_alu instid0(SALU_CYCLE_1) | instskip(SKIP_4) | instid1(VALU_DEP_2)
	s_or_b32 exec_lo, exec_lo, s21
	v_mov_b32_e32 v19, 0
	v_lshrrev_b32_e32 v54, 16, v53
	v_mov_b32_e32 v20, 0
	s_mov_b32 s2, exec_lo
	v_and_b32_e32 v5, 0xff, v54
	s_delay_alu instid0(VALU_DEP_2) | instskip(NEXT) | instid1(VALU_DEP_2)
	v_dual_mov_b32 v17, v19 :: v_dual_mov_b32 v18, v20
	v_cmpx_ne_u16_e32 0, v5
	s_cbranch_execz .LBB211_391
; %bb.384:                              ;   in Loop: Header=BB211_264 Depth=1
	v_bfrev_b32_e32 v17, 1
	v_mov_b32_e32 v18, 0
	s_mov_b32 s21, exec_lo
	v_cmpx_ne_u16_e32 0x80, v5
	s_cbranch_execz .LBB211_390
; %bb.385:                              ;   in Loop: Header=BB211_264 Depth=1
	v_mov_b32_e32 v17, 0x7f800001
	v_bfe_u32 v55, v53, 16, 7
	v_mov_b32_e32 v18, 0
	s_mov_b32 s22, exec_lo
	s_delay_alu instid0(VALU_DEP_2)
	v_cmpx_ne_u32_e32 0x7f, v55
	s_cbranch_execz .LBB211_389
; %bb.386:                              ;   in Loop: Header=BB211_264 Depth=1
	v_and_b32_e32 v5, 7, v54
	v_lshrrev_b32_e32 v17, 3, v55
	s_mov_b32 s23, exec_lo
	v_cmpx_gt_u32_e32 8, v55
; %bb.387:                              ;   in Loop: Header=BB211_264 Depth=1
	s_delay_alu instid0(VALU_DEP_3) | instskip(NEXT) | instid1(VALU_DEP_1)
	v_clz_i32_u32_e32 v17, v5
	v_min_u32_e32 v17, 32, v17
	s_delay_alu instid0(VALU_DEP_1) | instskip(SKIP_1) | instid1(VALU_DEP_2)
	v_subrev_nc_u32_e32 v18, 28, v17
	v_sub_nc_u32_e32 v17, 29, v17
	v_lshlrev_b64 v[55:56], v18, v[5:6]
	s_delay_alu instid0(VALU_DEP_1)
	v_and_b32_e32 v5, 7, v55
; %bb.388:                              ;   in Loop: Header=BB211_264 Depth=1
	s_or_b32 exec_lo, exec_lo, s23
	v_lshlrev_b32_e32 v18, 24, v54
	s_delay_alu instid0(VALU_DEP_2) | instskip(SKIP_1) | instid1(VALU_DEP_3)
	v_lshlrev_b32_e32 v5, 20, v5
	v_lshl_add_u32 v17, v17, 23, 0x3c000000
	v_and_b32_e32 v18, 0x80000000, v18
	s_delay_alu instid0(VALU_DEP_1) | instskip(NEXT) | instid1(VALU_DEP_1)
	v_or3_b32 v5, v5, v18, v17
	v_dual_mov_b32 v18, v6 :: v_dual_mov_b32 v17, v5
.LBB211_389:                            ;   in Loop: Header=BB211_264 Depth=1
	s_or_b32 exec_lo, exec_lo, s22
.LBB211_390:                            ;   in Loop: Header=BB211_264 Depth=1
	s_delay_alu instid0(SALU_CYCLE_1)
	s_or_b32 exec_lo, exec_lo, s21
.LBB211_391:                            ;   in Loop: Header=BB211_264 Depth=1
	s_delay_alu instid0(SALU_CYCLE_1) | instskip(NEXT) | instid1(SALU_CYCLE_1)
	s_or_b32 exec_lo, exec_lo, s2
	s_mov_b32 s21, exec_lo
	v_cmpx_lt_u32_e32 0xffffff, v53
	s_cbranch_execz .LBB211_399
; %bb.392:                              ;   in Loop: Header=BB211_264 Depth=1
	v_lshrrev_b32_e32 v54, 24, v53
	v_dual_mov_b32 v20, s9 :: v_dual_mov_b32 v19, s8
	s_mov_b32 s22, exec_lo
	s_delay_alu instid0(VALU_DEP_2)
	v_cmpx_ne_u32_e32 0x80, v54
	s_cbranch_execz .LBB211_398
; %bb.393:                              ;   in Loop: Header=BB211_264 Depth=1
	s_mov_b32 s2, s8
	v_bfe_u32 v53, v53, 24, 7
	v_dual_mov_b32 v20, s3 :: v_dual_mov_b32 v19, s2
	s_mov_b32 s2, exec_lo
	s_delay_alu instid0(VALU_DEP_2)
	v_cmpx_ne_u32_e32 0x7f, v53
	s_cbranch_execz .LBB211_397
; %bb.394:                              ;   in Loop: Header=BB211_264 Depth=1
	v_and_b32_e32 v5, 7, v54
	v_lshrrev_b32_e32 v19, 3, v53
	s_mov_b32 s23, exec_lo
	v_cmpx_gt_u32_e32 8, v53
; %bb.395:                              ;   in Loop: Header=BB211_264 Depth=1
	s_delay_alu instid0(VALU_DEP_3) | instskip(NEXT) | instid1(VALU_DEP_1)
	v_clz_i32_u32_e32 v19, v5
	v_min_u32_e32 v19, 32, v19
	s_delay_alu instid0(VALU_DEP_1) | instskip(SKIP_1) | instid1(VALU_DEP_2)
	v_subrev_nc_u32_e32 v20, 28, v19
	v_sub_nc_u32_e32 v19, 29, v19
	v_lshlrev_b64 v[55:56], v20, v[5:6]
	s_delay_alu instid0(VALU_DEP_1)
	v_and_b32_e32 v5, 7, v55
; %bb.396:                              ;   in Loop: Header=BB211_264 Depth=1
	s_or_b32 exec_lo, exec_lo, s23
	v_lshlrev_b32_e32 v20, 24, v54
	s_delay_alu instid0(VALU_DEP_2) | instskip(SKIP_1) | instid1(VALU_DEP_3)
	v_lshlrev_b32_e32 v5, 20, v5
	v_lshl_add_u32 v19, v19, 23, 0x3c000000
	v_and_b32_e32 v20, 0x80000000, v20
	s_delay_alu instid0(VALU_DEP_1)
	v_or3_b32 v20, v5, v20, v19
	v_mov_b32_e32 v19, v6
.LBB211_397:                            ;   in Loop: Header=BB211_264 Depth=1
	s_or_b32 exec_lo, exec_lo, s2
.LBB211_398:                            ;   in Loop: Header=BB211_264 Depth=1
	s_delay_alu instid0(SALU_CYCLE_1)
	s_or_b32 exec_lo, exec_lo, s22
.LBB211_399:                            ;   in Loop: Header=BB211_264 Depth=1
	s_delay_alu instid0(SALU_CYCLE_1) | instskip(SKIP_4) | instid1(VALU_DEP_4)
	s_or_b32 exec_lo, exec_lo, s21
	v_or_b32_e32 v5, v16, v14
	v_or_b32_e32 v13, v15, v13
	;; [unrolled: 1-line block ×4, first 2 shown]
	v_mul_f32_e32 v56, s20, v5
	s_delay_alu instid0(VALU_DEP_4) | instskip(NEXT) | instid1(VALU_DEP_3)
	v_mul_f32_e32 v55, s18, v13
	v_dual_mul_f32 v53, s20, v14 :: v_dual_mul_f32 v54, s18, v15
	s_and_saveexec_b32 s2, vcc_lo
; %bb.400:                              ;   in Loop: Header=BB211_264 Depth=1
	v_cmp_gt_i32_e64 s0, s15, v39
	s_delay_alu instid0(VALU_DEP_1) | instskip(SKIP_1) | instid1(VALU_DEP_1)
	v_cndmask_b32_e64 v55, 0, v55, s0
	v_cmp_gt_i32_e64 s0, s15, v44
	v_cndmask_b32_e64 v56, 0, v56, s0
	v_cmp_gt_i32_e64 s0, s15, v43
	s_delay_alu instid0(VALU_DEP_1) | instskip(SKIP_1) | instid1(VALU_DEP_1)
	v_cndmask_b32_e64 v54, 0, v54, s0
	v_cmp_gt_i32_e64 s0, s15, v40
	v_cndmask_b32_e64 v53, 0, v53, s0
; %bb.401:                              ;   in Loop: Header=BB211_264 Depth=1
	s_or_b32 exec_lo, exec_lo, s2
	global_load_b32 v57, v[11:12], off offset:512
	v_mov_b32_e32 v15, 0
	v_mov_b32_e32 v16, 0
	s_mov_b32 s2, exec_lo
	s_waitcnt vmcnt(0)
	v_and_b32_e32 v5, 0xff, v57
	s_delay_alu instid0(VALU_DEP_2) | instskip(NEXT) | instid1(VALU_DEP_2)
	v_dual_mov_b32 v13, v15 :: v_dual_mov_b32 v14, v16
	v_cmpx_ne_u16_e32 0, v5
	s_cbranch_execz .LBB211_409
; %bb.402:                              ;   in Loop: Header=BB211_264 Depth=1
	v_bfrev_b32_e32 v13, 1
	v_mov_b32_e32 v14, 0
	s_mov_b32 s21, exec_lo
	v_cmpx_ne_u16_e32 0x80, v5
	s_cbranch_execz .LBB211_408
; %bb.403:                              ;   in Loop: Header=BB211_264 Depth=1
	v_mov_b32_e32 v13, 0x7f800001
	v_dual_mov_b32 v14, 0 :: v_dual_and_b32 v17, 0x7f, v57
	s_mov_b32 s22, exec_lo
	s_delay_alu instid0(VALU_DEP_1)
	v_cmpx_ne_u32_e32 0x7f, v17
	s_cbranch_execz .LBB211_407
; %bb.404:                              ;   in Loop: Header=BB211_264 Depth=1
	v_and_b32_e32 v5, 7, v57
	v_lshrrev_b32_e32 v13, 3, v17
	s_mov_b32 s23, exec_lo
	v_cmpx_gt_u32_e32 8, v17
; %bb.405:                              ;   in Loop: Header=BB211_264 Depth=1
	s_delay_alu instid0(VALU_DEP_3) | instskip(NEXT) | instid1(VALU_DEP_1)
	v_clz_i32_u32_e32 v13, v5
	v_min_u32_e32 v13, 32, v13
	s_delay_alu instid0(VALU_DEP_1) | instskip(SKIP_1) | instid1(VALU_DEP_2)
	v_subrev_nc_u32_e32 v14, 28, v13
	v_sub_nc_u32_e32 v13, 29, v13
	v_lshlrev_b64 v[17:18], v14, v[5:6]
	s_delay_alu instid0(VALU_DEP_1)
	v_and_b32_e32 v5, 7, v17
; %bb.406:                              ;   in Loop: Header=BB211_264 Depth=1
	s_or_b32 exec_lo, exec_lo, s23
	v_lshlrev_b32_e32 v14, 24, v57
	s_delay_alu instid0(VALU_DEP_2) | instskip(SKIP_1) | instid1(VALU_DEP_3)
	v_lshlrev_b32_e32 v5, 20, v5
	v_lshl_add_u32 v13, v13, 23, 0x3c000000
	v_and_b32_e32 v14, 0x80000000, v14
	s_delay_alu instid0(VALU_DEP_1) | instskip(NEXT) | instid1(VALU_DEP_1)
	v_or3_b32 v5, v5, v14, v13
	v_dual_mov_b32 v14, v6 :: v_dual_mov_b32 v13, v5
.LBB211_407:                            ;   in Loop: Header=BB211_264 Depth=1
	s_or_b32 exec_lo, exec_lo, s22
.LBB211_408:                            ;   in Loop: Header=BB211_264 Depth=1
	s_delay_alu instid0(SALU_CYCLE_1)
	s_or_b32 exec_lo, exec_lo, s21
.LBB211_409:                            ;   in Loop: Header=BB211_264 Depth=1
	s_delay_alu instid0(SALU_CYCLE_1) | instskip(SKIP_2) | instid1(VALU_DEP_1)
	s_or_b32 exec_lo, exec_lo, s2
	v_lshrrev_b16 v5, 8, v57
	s_mov_b32 s21, exec_lo
	v_cmpx_ne_u16_e32 0, v5
	s_cbranch_execz .LBB211_417
; %bb.410:                              ;   in Loop: Header=BB211_264 Depth=1
	v_dual_mov_b32 v16, s9 :: v_dual_mov_b32 v15, s8
	s_mov_b32 s22, exec_lo
	v_cmpx_ne_u16_e32 0x80, v5
	s_cbranch_execz .LBB211_416
; %bb.411:                              ;   in Loop: Header=BB211_264 Depth=1
	s_mov_b32 s2, s8
	v_dual_mov_b32 v16, s3 :: v_dual_and_b32 v5, 0xffff, v5
	v_mov_b32_e32 v15, s2
	s_mov_b32 s2, exec_lo
	s_delay_alu instid0(VALU_DEP_2) | instskip(NEXT) | instid1(VALU_DEP_1)
	v_and_b32_e32 v17, 0x7f, v5
	v_cmpx_ne_u32_e32 0x7f, v17
	s_cbranch_execz .LBB211_415
; %bb.412:                              ;   in Loop: Header=BB211_264 Depth=1
	v_and_b32_e32 v5, 7, v5
	v_lshrrev_b32_e32 v15, 3, v17
	s_mov_b32 s23, exec_lo
	v_cmpx_gt_u32_e32 8, v17
; %bb.413:                              ;   in Loop: Header=BB211_264 Depth=1
	s_delay_alu instid0(VALU_DEP_3) | instskip(NEXT) | instid1(VALU_DEP_1)
	v_clz_i32_u32_e32 v15, v5
	v_min_u32_e32 v15, 32, v15
	s_delay_alu instid0(VALU_DEP_1) | instskip(SKIP_1) | instid1(VALU_DEP_2)
	v_subrev_nc_u32_e32 v16, 28, v15
	v_sub_nc_u32_e32 v15, 29, v15
	v_lshlrev_b64 v[16:17], v16, v[5:6]
	s_delay_alu instid0(VALU_DEP_1)
	v_and_b32_e32 v5, 7, v16
; %bb.414:                              ;   in Loop: Header=BB211_264 Depth=1
	s_or_b32 exec_lo, exec_lo, s23
	v_lshlrev_b32_e32 v16, 16, v57
	s_delay_alu instid0(VALU_DEP_2) | instskip(SKIP_1) | instid1(VALU_DEP_3)
	v_lshlrev_b32_e32 v5, 20, v5
	v_lshl_add_u32 v15, v15, 23, 0x3c000000
	v_and_b32_e32 v16, 0x80000000, v16
	s_delay_alu instid0(VALU_DEP_1)
	v_or3_b32 v16, v5, v16, v15
	v_mov_b32_e32 v15, v6
.LBB211_415:                            ;   in Loop: Header=BB211_264 Depth=1
	s_or_b32 exec_lo, exec_lo, s2
.LBB211_416:                            ;   in Loop: Header=BB211_264 Depth=1
	s_delay_alu instid0(SALU_CYCLE_1)
	s_or_b32 exec_lo, exec_lo, s22
.LBB211_417:                            ;   in Loop: Header=BB211_264 Depth=1
	s_delay_alu instid0(SALU_CYCLE_1) | instskip(SKIP_4) | instid1(VALU_DEP_2)
	s_or_b32 exec_lo, exec_lo, s21
	v_mov_b32_e32 v19, 0
	v_lshrrev_b32_e32 v58, 16, v57
	v_mov_b32_e32 v20, 0
	s_mov_b32 s2, exec_lo
	v_and_b32_e32 v5, 0xff, v58
	s_delay_alu instid0(VALU_DEP_2) | instskip(NEXT) | instid1(VALU_DEP_2)
	v_dual_mov_b32 v17, v19 :: v_dual_mov_b32 v18, v20
	v_cmpx_ne_u16_e32 0, v5
	s_cbranch_execz .LBB211_425
; %bb.418:                              ;   in Loop: Header=BB211_264 Depth=1
	v_bfrev_b32_e32 v17, 1
	v_mov_b32_e32 v18, 0
	s_mov_b32 s21, exec_lo
	v_cmpx_ne_u16_e32 0x80, v5
	s_cbranch_execz .LBB211_424
; %bb.419:                              ;   in Loop: Header=BB211_264 Depth=1
	v_mov_b32_e32 v17, 0x7f800001
	v_bfe_u32 v59, v57, 16, 7
	v_mov_b32_e32 v18, 0
	s_mov_b32 s22, exec_lo
	s_delay_alu instid0(VALU_DEP_2)
	v_cmpx_ne_u32_e32 0x7f, v59
	s_cbranch_execz .LBB211_423
; %bb.420:                              ;   in Loop: Header=BB211_264 Depth=1
	v_and_b32_e32 v5, 7, v58
	v_lshrrev_b32_e32 v17, 3, v59
	s_mov_b32 s23, exec_lo
	v_cmpx_gt_u32_e32 8, v59
; %bb.421:                              ;   in Loop: Header=BB211_264 Depth=1
	s_delay_alu instid0(VALU_DEP_3) | instskip(NEXT) | instid1(VALU_DEP_1)
	v_clz_i32_u32_e32 v17, v5
	v_min_u32_e32 v17, 32, v17
	s_delay_alu instid0(VALU_DEP_1) | instskip(SKIP_1) | instid1(VALU_DEP_2)
	v_subrev_nc_u32_e32 v18, 28, v17
	v_sub_nc_u32_e32 v17, 29, v17
	v_lshlrev_b64 v[59:60], v18, v[5:6]
	s_delay_alu instid0(VALU_DEP_1)
	v_and_b32_e32 v5, 7, v59
; %bb.422:                              ;   in Loop: Header=BB211_264 Depth=1
	s_or_b32 exec_lo, exec_lo, s23
	v_lshlrev_b32_e32 v18, 24, v58
	s_delay_alu instid0(VALU_DEP_2) | instskip(SKIP_1) | instid1(VALU_DEP_3)
	v_lshlrev_b32_e32 v5, 20, v5
	v_lshl_add_u32 v17, v17, 23, 0x3c000000
	v_and_b32_e32 v18, 0x80000000, v18
	s_delay_alu instid0(VALU_DEP_1) | instskip(NEXT) | instid1(VALU_DEP_1)
	v_or3_b32 v5, v5, v18, v17
	v_dual_mov_b32 v18, v6 :: v_dual_mov_b32 v17, v5
.LBB211_423:                            ;   in Loop: Header=BB211_264 Depth=1
	s_or_b32 exec_lo, exec_lo, s22
.LBB211_424:                            ;   in Loop: Header=BB211_264 Depth=1
	s_delay_alu instid0(SALU_CYCLE_1)
	s_or_b32 exec_lo, exec_lo, s21
.LBB211_425:                            ;   in Loop: Header=BB211_264 Depth=1
	s_delay_alu instid0(SALU_CYCLE_1) | instskip(NEXT) | instid1(SALU_CYCLE_1)
	s_or_b32 exec_lo, exec_lo, s2
	s_mov_b32 s21, exec_lo
	v_cmpx_lt_u32_e32 0xffffff, v57
	s_cbranch_execz .LBB211_433
; %bb.426:                              ;   in Loop: Header=BB211_264 Depth=1
	v_lshrrev_b32_e32 v58, 24, v57
	v_dual_mov_b32 v20, s9 :: v_dual_mov_b32 v19, s8
	s_mov_b32 s22, exec_lo
	s_delay_alu instid0(VALU_DEP_2)
	v_cmpx_ne_u32_e32 0x80, v58
	s_cbranch_execz .LBB211_432
; %bb.427:                              ;   in Loop: Header=BB211_264 Depth=1
	s_mov_b32 s2, s8
	v_bfe_u32 v57, v57, 24, 7
	v_dual_mov_b32 v20, s3 :: v_dual_mov_b32 v19, s2
	s_mov_b32 s2, exec_lo
	s_delay_alu instid0(VALU_DEP_2)
	v_cmpx_ne_u32_e32 0x7f, v57
	s_cbranch_execz .LBB211_431
; %bb.428:                              ;   in Loop: Header=BB211_264 Depth=1
	v_and_b32_e32 v5, 7, v58
	v_lshrrev_b32_e32 v19, 3, v57
	s_mov_b32 s23, exec_lo
	v_cmpx_gt_u32_e32 8, v57
; %bb.429:                              ;   in Loop: Header=BB211_264 Depth=1
	s_delay_alu instid0(VALU_DEP_3) | instskip(NEXT) | instid1(VALU_DEP_1)
	v_clz_i32_u32_e32 v19, v5
	v_min_u32_e32 v19, 32, v19
	s_delay_alu instid0(VALU_DEP_1) | instskip(SKIP_1) | instid1(VALU_DEP_2)
	v_subrev_nc_u32_e32 v20, 28, v19
	v_sub_nc_u32_e32 v19, 29, v19
	v_lshlrev_b64 v[59:60], v20, v[5:6]
	s_delay_alu instid0(VALU_DEP_1)
	v_and_b32_e32 v5, 7, v59
; %bb.430:                              ;   in Loop: Header=BB211_264 Depth=1
	s_or_b32 exec_lo, exec_lo, s23
	v_lshlrev_b32_e32 v20, 24, v58
	s_delay_alu instid0(VALU_DEP_2) | instskip(SKIP_1) | instid1(VALU_DEP_3)
	v_lshlrev_b32_e32 v5, 20, v5
	v_lshl_add_u32 v19, v19, 23, 0x3c000000
	v_and_b32_e32 v20, 0x80000000, v20
	s_delay_alu instid0(VALU_DEP_1)
	v_or3_b32 v20, v5, v20, v19
	v_mov_b32_e32 v19, v6
.LBB211_431:                            ;   in Loop: Header=BB211_264 Depth=1
	s_or_b32 exec_lo, exec_lo, s2
.LBB211_432:                            ;   in Loop: Header=BB211_264 Depth=1
	s_delay_alu instid0(SALU_CYCLE_1)
	s_or_b32 exec_lo, exec_lo, s22
.LBB211_433:                            ;   in Loop: Header=BB211_264 Depth=1
	s_delay_alu instid0(SALU_CYCLE_1) | instskip(SKIP_4) | instid1(VALU_DEP_4)
	s_or_b32 exec_lo, exec_lo, s21
	v_or_b32_e32 v5, v16, v14
	v_or_b32_e32 v13, v15, v13
	;; [unrolled: 1-line block ×4, first 2 shown]
	v_mul_f32_e32 v60, s20, v5
	s_delay_alu instid0(VALU_DEP_4) | instskip(NEXT) | instid1(VALU_DEP_3)
	v_mul_f32_e32 v59, s18, v13
	v_dual_mul_f32 v57, s20, v14 :: v_dual_mul_f32 v58, s18, v15
	s_and_saveexec_b32 s2, vcc_lo
; %bb.434:                              ;   in Loop: Header=BB211_264 Depth=1
	v_cmp_gt_i32_e64 s0, s15, v39
	s_delay_alu instid0(VALU_DEP_1) | instskip(SKIP_1) | instid1(VALU_DEP_1)
	v_cndmask_b32_e64 v59, 0, v59, s0
	v_cmp_gt_i32_e64 s0, s15, v44
	v_cndmask_b32_e64 v60, 0, v60, s0
	v_cmp_gt_i32_e64 s0, s15, v43
	s_delay_alu instid0(VALU_DEP_1) | instskip(SKIP_1) | instid1(VALU_DEP_1)
	v_cndmask_b32_e64 v58, 0, v58, s0
	v_cmp_gt_i32_e64 s0, s15, v40
	v_cndmask_b32_e64 v57, 0, v57, s0
; %bb.435:                              ;   in Loop: Header=BB211_264 Depth=1
	s_or_b32 exec_lo, exec_lo, s2
	global_load_b32 v61, v[11:12], off offset:640
	v_mov_b32_e32 v15, 0
	v_mov_b32_e32 v16, 0
	s_mov_b32 s2, exec_lo
	s_waitcnt vmcnt(0)
	v_and_b32_e32 v5, 0xff, v61
	s_delay_alu instid0(VALU_DEP_2) | instskip(NEXT) | instid1(VALU_DEP_2)
	v_dual_mov_b32 v13, v15 :: v_dual_mov_b32 v14, v16
	v_cmpx_ne_u16_e32 0, v5
	s_cbranch_execz .LBB211_443
; %bb.436:                              ;   in Loop: Header=BB211_264 Depth=1
	v_bfrev_b32_e32 v13, 1
	v_mov_b32_e32 v14, 0
	s_mov_b32 s21, exec_lo
	v_cmpx_ne_u16_e32 0x80, v5
	s_cbranch_execz .LBB211_442
; %bb.437:                              ;   in Loop: Header=BB211_264 Depth=1
	v_mov_b32_e32 v13, 0x7f800001
	v_dual_mov_b32 v14, 0 :: v_dual_and_b32 v17, 0x7f, v61
	s_mov_b32 s22, exec_lo
	s_delay_alu instid0(VALU_DEP_1)
	v_cmpx_ne_u32_e32 0x7f, v17
	s_cbranch_execz .LBB211_441
; %bb.438:                              ;   in Loop: Header=BB211_264 Depth=1
	v_and_b32_e32 v5, 7, v61
	v_lshrrev_b32_e32 v13, 3, v17
	s_mov_b32 s23, exec_lo
	v_cmpx_gt_u32_e32 8, v17
; %bb.439:                              ;   in Loop: Header=BB211_264 Depth=1
	s_delay_alu instid0(VALU_DEP_3) | instskip(NEXT) | instid1(VALU_DEP_1)
	v_clz_i32_u32_e32 v13, v5
	v_min_u32_e32 v13, 32, v13
	s_delay_alu instid0(VALU_DEP_1) | instskip(SKIP_1) | instid1(VALU_DEP_2)
	v_subrev_nc_u32_e32 v14, 28, v13
	v_sub_nc_u32_e32 v13, 29, v13
	v_lshlrev_b64 v[17:18], v14, v[5:6]
	s_delay_alu instid0(VALU_DEP_1)
	v_and_b32_e32 v5, 7, v17
; %bb.440:                              ;   in Loop: Header=BB211_264 Depth=1
	s_or_b32 exec_lo, exec_lo, s23
	v_lshlrev_b32_e32 v14, 24, v61
	s_delay_alu instid0(VALU_DEP_2) | instskip(SKIP_1) | instid1(VALU_DEP_3)
	v_lshlrev_b32_e32 v5, 20, v5
	v_lshl_add_u32 v13, v13, 23, 0x3c000000
	v_and_b32_e32 v14, 0x80000000, v14
	s_delay_alu instid0(VALU_DEP_1) | instskip(NEXT) | instid1(VALU_DEP_1)
	v_or3_b32 v5, v5, v14, v13
	v_dual_mov_b32 v14, v6 :: v_dual_mov_b32 v13, v5
.LBB211_441:                            ;   in Loop: Header=BB211_264 Depth=1
	s_or_b32 exec_lo, exec_lo, s22
.LBB211_442:                            ;   in Loop: Header=BB211_264 Depth=1
	s_delay_alu instid0(SALU_CYCLE_1)
	s_or_b32 exec_lo, exec_lo, s21
.LBB211_443:                            ;   in Loop: Header=BB211_264 Depth=1
	s_delay_alu instid0(SALU_CYCLE_1) | instskip(SKIP_2) | instid1(VALU_DEP_1)
	s_or_b32 exec_lo, exec_lo, s2
	v_lshrrev_b16 v5, 8, v61
	s_mov_b32 s21, exec_lo
	v_cmpx_ne_u16_e32 0, v5
	s_cbranch_execz .LBB211_451
; %bb.444:                              ;   in Loop: Header=BB211_264 Depth=1
	v_dual_mov_b32 v16, s9 :: v_dual_mov_b32 v15, s8
	s_mov_b32 s22, exec_lo
	v_cmpx_ne_u16_e32 0x80, v5
	s_cbranch_execz .LBB211_450
; %bb.445:                              ;   in Loop: Header=BB211_264 Depth=1
	s_mov_b32 s2, s8
	v_dual_mov_b32 v16, s3 :: v_dual_and_b32 v5, 0xffff, v5
	v_mov_b32_e32 v15, s2
	s_mov_b32 s2, exec_lo
	s_delay_alu instid0(VALU_DEP_2) | instskip(NEXT) | instid1(VALU_DEP_1)
	v_and_b32_e32 v17, 0x7f, v5
	v_cmpx_ne_u32_e32 0x7f, v17
	s_cbranch_execz .LBB211_449
; %bb.446:                              ;   in Loop: Header=BB211_264 Depth=1
	v_and_b32_e32 v5, 7, v5
	v_lshrrev_b32_e32 v15, 3, v17
	s_mov_b32 s23, exec_lo
	v_cmpx_gt_u32_e32 8, v17
; %bb.447:                              ;   in Loop: Header=BB211_264 Depth=1
	s_delay_alu instid0(VALU_DEP_3) | instskip(NEXT) | instid1(VALU_DEP_1)
	v_clz_i32_u32_e32 v15, v5
	v_min_u32_e32 v15, 32, v15
	s_delay_alu instid0(VALU_DEP_1) | instskip(SKIP_1) | instid1(VALU_DEP_2)
	v_subrev_nc_u32_e32 v16, 28, v15
	v_sub_nc_u32_e32 v15, 29, v15
	v_lshlrev_b64 v[16:17], v16, v[5:6]
	s_delay_alu instid0(VALU_DEP_1)
	v_and_b32_e32 v5, 7, v16
; %bb.448:                              ;   in Loop: Header=BB211_264 Depth=1
	s_or_b32 exec_lo, exec_lo, s23
	v_lshlrev_b32_e32 v16, 16, v61
	s_delay_alu instid0(VALU_DEP_2) | instskip(SKIP_1) | instid1(VALU_DEP_3)
	v_lshlrev_b32_e32 v5, 20, v5
	v_lshl_add_u32 v15, v15, 23, 0x3c000000
	v_and_b32_e32 v16, 0x80000000, v16
	s_delay_alu instid0(VALU_DEP_1)
	v_or3_b32 v16, v5, v16, v15
	v_mov_b32_e32 v15, v6
.LBB211_449:                            ;   in Loop: Header=BB211_264 Depth=1
	s_or_b32 exec_lo, exec_lo, s2
.LBB211_450:                            ;   in Loop: Header=BB211_264 Depth=1
	s_delay_alu instid0(SALU_CYCLE_1)
	s_or_b32 exec_lo, exec_lo, s22
.LBB211_451:                            ;   in Loop: Header=BB211_264 Depth=1
	s_delay_alu instid0(SALU_CYCLE_1) | instskip(SKIP_4) | instid1(VALU_DEP_2)
	s_or_b32 exec_lo, exec_lo, s21
	v_mov_b32_e32 v19, 0
	v_lshrrev_b32_e32 v62, 16, v61
	v_mov_b32_e32 v20, 0
	s_mov_b32 s2, exec_lo
	v_and_b32_e32 v5, 0xff, v62
	s_delay_alu instid0(VALU_DEP_2) | instskip(NEXT) | instid1(VALU_DEP_2)
	v_dual_mov_b32 v17, v19 :: v_dual_mov_b32 v18, v20
	v_cmpx_ne_u16_e32 0, v5
	s_cbranch_execz .LBB211_459
; %bb.452:                              ;   in Loop: Header=BB211_264 Depth=1
	v_bfrev_b32_e32 v17, 1
	v_mov_b32_e32 v18, 0
	s_mov_b32 s21, exec_lo
	v_cmpx_ne_u16_e32 0x80, v5
	s_cbranch_execz .LBB211_458
; %bb.453:                              ;   in Loop: Header=BB211_264 Depth=1
	v_mov_b32_e32 v17, 0x7f800001
	v_bfe_u32 v63, v61, 16, 7
	v_mov_b32_e32 v18, 0
	s_mov_b32 s22, exec_lo
	s_delay_alu instid0(VALU_DEP_2)
	v_cmpx_ne_u32_e32 0x7f, v63
	s_cbranch_execz .LBB211_457
; %bb.454:                              ;   in Loop: Header=BB211_264 Depth=1
	v_and_b32_e32 v5, 7, v62
	v_lshrrev_b32_e32 v17, 3, v63
	s_mov_b32 s23, exec_lo
	v_cmpx_gt_u32_e32 8, v63
; %bb.455:                              ;   in Loop: Header=BB211_264 Depth=1
	s_delay_alu instid0(VALU_DEP_3) | instskip(NEXT) | instid1(VALU_DEP_1)
	v_clz_i32_u32_e32 v17, v5
	v_min_u32_e32 v17, 32, v17
	s_delay_alu instid0(VALU_DEP_1) | instskip(SKIP_1) | instid1(VALU_DEP_2)
	v_subrev_nc_u32_e32 v18, 28, v17
	v_sub_nc_u32_e32 v17, 29, v17
	v_lshlrev_b64 v[63:64], v18, v[5:6]
	s_delay_alu instid0(VALU_DEP_1)
	v_and_b32_e32 v5, 7, v63
; %bb.456:                              ;   in Loop: Header=BB211_264 Depth=1
	s_or_b32 exec_lo, exec_lo, s23
	v_lshlrev_b32_e32 v18, 24, v62
	s_delay_alu instid0(VALU_DEP_2) | instskip(SKIP_1) | instid1(VALU_DEP_3)
	v_lshlrev_b32_e32 v5, 20, v5
	v_lshl_add_u32 v17, v17, 23, 0x3c000000
	v_and_b32_e32 v18, 0x80000000, v18
	s_delay_alu instid0(VALU_DEP_1) | instskip(NEXT) | instid1(VALU_DEP_1)
	v_or3_b32 v5, v5, v18, v17
	v_dual_mov_b32 v18, v6 :: v_dual_mov_b32 v17, v5
.LBB211_457:                            ;   in Loop: Header=BB211_264 Depth=1
	s_or_b32 exec_lo, exec_lo, s22
.LBB211_458:                            ;   in Loop: Header=BB211_264 Depth=1
	s_delay_alu instid0(SALU_CYCLE_1)
	s_or_b32 exec_lo, exec_lo, s21
.LBB211_459:                            ;   in Loop: Header=BB211_264 Depth=1
	s_delay_alu instid0(SALU_CYCLE_1) | instskip(NEXT) | instid1(SALU_CYCLE_1)
	s_or_b32 exec_lo, exec_lo, s2
	s_mov_b32 s21, exec_lo
	v_cmpx_lt_u32_e32 0xffffff, v61
	s_cbranch_execz .LBB211_467
; %bb.460:                              ;   in Loop: Header=BB211_264 Depth=1
	v_lshrrev_b32_e32 v62, 24, v61
	v_dual_mov_b32 v20, s9 :: v_dual_mov_b32 v19, s8
	s_mov_b32 s22, exec_lo
	s_delay_alu instid0(VALU_DEP_2)
	v_cmpx_ne_u32_e32 0x80, v62
	s_cbranch_execz .LBB211_466
; %bb.461:                              ;   in Loop: Header=BB211_264 Depth=1
	s_mov_b32 s2, s8
	v_bfe_u32 v61, v61, 24, 7
	v_dual_mov_b32 v20, s3 :: v_dual_mov_b32 v19, s2
	s_mov_b32 s2, exec_lo
	s_delay_alu instid0(VALU_DEP_2)
	v_cmpx_ne_u32_e32 0x7f, v61
	s_cbranch_execz .LBB211_465
; %bb.462:                              ;   in Loop: Header=BB211_264 Depth=1
	v_and_b32_e32 v5, 7, v62
	v_lshrrev_b32_e32 v19, 3, v61
	s_mov_b32 s23, exec_lo
	v_cmpx_gt_u32_e32 8, v61
; %bb.463:                              ;   in Loop: Header=BB211_264 Depth=1
	s_delay_alu instid0(VALU_DEP_3) | instskip(NEXT) | instid1(VALU_DEP_1)
	v_clz_i32_u32_e32 v19, v5
	v_min_u32_e32 v19, 32, v19
	s_delay_alu instid0(VALU_DEP_1) | instskip(SKIP_1) | instid1(VALU_DEP_2)
	v_subrev_nc_u32_e32 v20, 28, v19
	v_sub_nc_u32_e32 v19, 29, v19
	v_lshlrev_b64 v[63:64], v20, v[5:6]
	s_delay_alu instid0(VALU_DEP_1)
	v_and_b32_e32 v5, 7, v63
; %bb.464:                              ;   in Loop: Header=BB211_264 Depth=1
	s_or_b32 exec_lo, exec_lo, s23
	v_lshlrev_b32_e32 v20, 24, v62
	s_delay_alu instid0(VALU_DEP_2) | instskip(SKIP_1) | instid1(VALU_DEP_3)
	v_lshlrev_b32_e32 v5, 20, v5
	v_lshl_add_u32 v19, v19, 23, 0x3c000000
	v_and_b32_e32 v20, 0x80000000, v20
	s_delay_alu instid0(VALU_DEP_1)
	v_or3_b32 v20, v5, v20, v19
	v_mov_b32_e32 v19, v6
.LBB211_465:                            ;   in Loop: Header=BB211_264 Depth=1
	s_or_b32 exec_lo, exec_lo, s2
.LBB211_466:                            ;   in Loop: Header=BB211_264 Depth=1
	s_delay_alu instid0(SALU_CYCLE_1)
	s_or_b32 exec_lo, exec_lo, s22
.LBB211_467:                            ;   in Loop: Header=BB211_264 Depth=1
	s_delay_alu instid0(SALU_CYCLE_1) | instskip(SKIP_4) | instid1(VALU_DEP_4)
	s_or_b32 exec_lo, exec_lo, s21
	v_or_b32_e32 v5, v16, v14
	v_or_b32_e32 v13, v15, v13
	;; [unrolled: 1-line block ×4, first 2 shown]
	v_mul_f32_e32 v62, s20, v5
	s_delay_alu instid0(VALU_DEP_4) | instskip(NEXT) | instid1(VALU_DEP_3)
	v_mul_f32_e32 v61, s18, v13
	v_dual_mul_f32 v19, s20, v14 :: v_dual_mul_f32 v20, s18, v15
	s_and_saveexec_b32 s2, vcc_lo
; %bb.468:                              ;   in Loop: Header=BB211_264 Depth=1
	v_cmp_gt_i32_e64 s0, s15, v39
	s_delay_alu instid0(VALU_DEP_1) | instskip(SKIP_1) | instid1(VALU_DEP_1)
	v_cndmask_b32_e64 v61, 0, v61, s0
	v_cmp_gt_i32_e64 s0, s15, v44
	v_cndmask_b32_e64 v62, 0, v62, s0
	v_cmp_gt_i32_e64 s0, s15, v43
	s_delay_alu instid0(VALU_DEP_1) | instskip(SKIP_1) | instid1(VALU_DEP_1)
	v_cndmask_b32_e64 v20, 0, v20, s0
	v_cmp_gt_i32_e64 s0, s15, v40
	v_cndmask_b32_e64 v19, 0, v19, s0
; %bb.469:                              ;   in Loop: Header=BB211_264 Depth=1
	s_or_b32 exec_lo, exec_lo, s2
	global_load_b32 v63, v[11:12], off offset:768
	v_mov_b32_e32 v13, 0
	v_mov_b32_e32 v14, 0
	s_mov_b32 s2, exec_lo
	s_waitcnt vmcnt(0)
	v_and_b32_e32 v5, 0xff, v63
	s_delay_alu instid0(VALU_DEP_2) | instskip(NEXT) | instid1(VALU_DEP_2)
	v_dual_mov_b32 v11, v13 :: v_dual_mov_b32 v12, v14
	v_cmpx_ne_u16_e32 0, v5
	s_cbranch_execz .LBB211_477
; %bb.470:                              ;   in Loop: Header=BB211_264 Depth=1
	v_bfrev_b32_e32 v11, 1
	v_mov_b32_e32 v12, 0
	s_mov_b32 s21, exec_lo
	v_cmpx_ne_u16_e32 0x80, v5
	s_cbranch_execz .LBB211_476
; %bb.471:                              ;   in Loop: Header=BB211_264 Depth=1
	v_mov_b32_e32 v11, 0x7f800001
	v_dual_mov_b32 v12, 0 :: v_dual_and_b32 v15, 0x7f, v63
	s_mov_b32 s22, exec_lo
	s_delay_alu instid0(VALU_DEP_1)
	v_cmpx_ne_u32_e32 0x7f, v15
	s_cbranch_execz .LBB211_475
; %bb.472:                              ;   in Loop: Header=BB211_264 Depth=1
	v_and_b32_e32 v5, 7, v63
	v_lshrrev_b32_e32 v11, 3, v15
	s_mov_b32 s23, exec_lo
	v_cmpx_gt_u32_e32 8, v15
; %bb.473:                              ;   in Loop: Header=BB211_264 Depth=1
	s_delay_alu instid0(VALU_DEP_3) | instskip(NEXT) | instid1(VALU_DEP_1)
	v_clz_i32_u32_e32 v11, v5
	v_min_u32_e32 v11, 32, v11
	s_delay_alu instid0(VALU_DEP_1) | instskip(SKIP_1) | instid1(VALU_DEP_2)
	v_subrev_nc_u32_e32 v12, 28, v11
	v_sub_nc_u32_e32 v11, 29, v11
	v_lshlrev_b64 v[15:16], v12, v[5:6]
	s_delay_alu instid0(VALU_DEP_1)
	v_and_b32_e32 v5, 7, v15
; %bb.474:                              ;   in Loop: Header=BB211_264 Depth=1
	s_or_b32 exec_lo, exec_lo, s23
	v_lshlrev_b32_e32 v12, 24, v63
	s_delay_alu instid0(VALU_DEP_2) | instskip(SKIP_1) | instid1(VALU_DEP_3)
	v_lshlrev_b32_e32 v5, 20, v5
	v_lshl_add_u32 v11, v11, 23, 0x3c000000
	v_and_b32_e32 v12, 0x80000000, v12
	s_delay_alu instid0(VALU_DEP_1) | instskip(NEXT) | instid1(VALU_DEP_1)
	v_or3_b32 v5, v5, v12, v11
	v_dual_mov_b32 v12, v6 :: v_dual_mov_b32 v11, v5
.LBB211_475:                            ;   in Loop: Header=BB211_264 Depth=1
	s_or_b32 exec_lo, exec_lo, s22
.LBB211_476:                            ;   in Loop: Header=BB211_264 Depth=1
	s_delay_alu instid0(SALU_CYCLE_1)
	s_or_b32 exec_lo, exec_lo, s21
.LBB211_477:                            ;   in Loop: Header=BB211_264 Depth=1
	s_delay_alu instid0(SALU_CYCLE_1) | instskip(SKIP_2) | instid1(VALU_DEP_1)
	s_or_b32 exec_lo, exec_lo, s2
	v_lshrrev_b16 v5, 8, v63
	s_mov_b32 s21, exec_lo
	v_cmpx_ne_u16_e32 0, v5
	s_cbranch_execz .LBB211_485
; %bb.478:                              ;   in Loop: Header=BB211_264 Depth=1
	v_dual_mov_b32 v14, s9 :: v_dual_mov_b32 v13, s8
	s_mov_b32 s22, exec_lo
	v_cmpx_ne_u16_e32 0x80, v5
	s_cbranch_execz .LBB211_484
; %bb.479:                              ;   in Loop: Header=BB211_264 Depth=1
	s_mov_b32 s2, s8
	v_dual_mov_b32 v14, s3 :: v_dual_and_b32 v5, 0xffff, v5
	v_mov_b32_e32 v13, s2
	s_mov_b32 s2, exec_lo
	s_delay_alu instid0(VALU_DEP_2) | instskip(NEXT) | instid1(VALU_DEP_1)
	v_and_b32_e32 v15, 0x7f, v5
	v_cmpx_ne_u32_e32 0x7f, v15
	s_cbranch_execz .LBB211_483
; %bb.480:                              ;   in Loop: Header=BB211_264 Depth=1
	v_and_b32_e32 v5, 7, v5
	v_lshrrev_b32_e32 v13, 3, v15
	s_mov_b32 s23, exec_lo
	v_cmpx_gt_u32_e32 8, v15
; %bb.481:                              ;   in Loop: Header=BB211_264 Depth=1
	s_delay_alu instid0(VALU_DEP_3) | instskip(NEXT) | instid1(VALU_DEP_1)
	v_clz_i32_u32_e32 v13, v5
	v_min_u32_e32 v13, 32, v13
	s_delay_alu instid0(VALU_DEP_1) | instskip(SKIP_1) | instid1(VALU_DEP_2)
	v_subrev_nc_u32_e32 v14, 28, v13
	v_sub_nc_u32_e32 v13, 29, v13
	v_lshlrev_b64 v[14:15], v14, v[5:6]
	s_delay_alu instid0(VALU_DEP_1)
	v_and_b32_e32 v5, 7, v14
; %bb.482:                              ;   in Loop: Header=BB211_264 Depth=1
	s_or_b32 exec_lo, exec_lo, s23
	v_lshlrev_b32_e32 v14, 16, v63
	s_delay_alu instid0(VALU_DEP_2) | instskip(SKIP_1) | instid1(VALU_DEP_3)
	v_lshlrev_b32_e32 v5, 20, v5
	v_lshl_add_u32 v13, v13, 23, 0x3c000000
	v_and_b32_e32 v14, 0x80000000, v14
	s_delay_alu instid0(VALU_DEP_1)
	v_or3_b32 v14, v5, v14, v13
	v_mov_b32_e32 v13, v6
.LBB211_483:                            ;   in Loop: Header=BB211_264 Depth=1
	s_or_b32 exec_lo, exec_lo, s2
.LBB211_484:                            ;   in Loop: Header=BB211_264 Depth=1
	s_delay_alu instid0(SALU_CYCLE_1)
	s_or_b32 exec_lo, exec_lo, s22
.LBB211_485:                            ;   in Loop: Header=BB211_264 Depth=1
	s_delay_alu instid0(SALU_CYCLE_1) | instskip(SKIP_4) | instid1(VALU_DEP_2)
	s_or_b32 exec_lo, exec_lo, s21
	v_mov_b32_e32 v17, 0
	v_lshrrev_b32_e32 v64, 16, v63
	v_mov_b32_e32 v18, 0
	s_mov_b32 s2, exec_lo
	v_and_b32_e32 v5, 0xff, v64
	s_delay_alu instid0(VALU_DEP_2) | instskip(NEXT) | instid1(VALU_DEP_2)
	v_dual_mov_b32 v15, v17 :: v_dual_mov_b32 v16, v18
	v_cmpx_ne_u16_e32 0, v5
	s_cbranch_execz .LBB211_493
; %bb.486:                              ;   in Loop: Header=BB211_264 Depth=1
	v_bfrev_b32_e32 v15, 1
	v_mov_b32_e32 v16, 0
	s_mov_b32 s21, exec_lo
	v_cmpx_ne_u16_e32 0x80, v5
	s_cbranch_execz .LBB211_492
; %bb.487:                              ;   in Loop: Header=BB211_264 Depth=1
	v_mov_b32_e32 v15, 0x7f800001
	v_bfe_u32 v65, v63, 16, 7
	v_mov_b32_e32 v16, 0
	s_mov_b32 s22, exec_lo
	s_delay_alu instid0(VALU_DEP_2)
	v_cmpx_ne_u32_e32 0x7f, v65
	s_cbranch_execz .LBB211_491
; %bb.488:                              ;   in Loop: Header=BB211_264 Depth=1
	v_and_b32_e32 v5, 7, v64
	v_lshrrev_b32_e32 v15, 3, v65
	s_mov_b32 s23, exec_lo
	v_cmpx_gt_u32_e32 8, v65
; %bb.489:                              ;   in Loop: Header=BB211_264 Depth=1
	s_delay_alu instid0(VALU_DEP_3) | instskip(NEXT) | instid1(VALU_DEP_1)
	v_clz_i32_u32_e32 v15, v5
	v_min_u32_e32 v15, 32, v15
	s_delay_alu instid0(VALU_DEP_1) | instskip(SKIP_1) | instid1(VALU_DEP_2)
	v_subrev_nc_u32_e32 v16, 28, v15
	v_sub_nc_u32_e32 v15, 29, v15
	v_lshlrev_b64 v[65:66], v16, v[5:6]
	s_delay_alu instid0(VALU_DEP_1)
	v_and_b32_e32 v5, 7, v65
; %bb.490:                              ;   in Loop: Header=BB211_264 Depth=1
	s_or_b32 exec_lo, exec_lo, s23
	v_lshlrev_b32_e32 v16, 24, v64
	s_delay_alu instid0(VALU_DEP_2) | instskip(SKIP_1) | instid1(VALU_DEP_3)
	v_lshlrev_b32_e32 v5, 20, v5
	v_lshl_add_u32 v15, v15, 23, 0x3c000000
	v_and_b32_e32 v16, 0x80000000, v16
	s_delay_alu instid0(VALU_DEP_1) | instskip(NEXT) | instid1(VALU_DEP_1)
	v_or3_b32 v5, v5, v16, v15
	v_dual_mov_b32 v16, v6 :: v_dual_mov_b32 v15, v5
.LBB211_491:                            ;   in Loop: Header=BB211_264 Depth=1
	s_or_b32 exec_lo, exec_lo, s22
.LBB211_492:                            ;   in Loop: Header=BB211_264 Depth=1
	s_delay_alu instid0(SALU_CYCLE_1)
	s_or_b32 exec_lo, exec_lo, s21
.LBB211_493:                            ;   in Loop: Header=BB211_264 Depth=1
	s_delay_alu instid0(SALU_CYCLE_1) | instskip(NEXT) | instid1(SALU_CYCLE_1)
	s_or_b32 exec_lo, exec_lo, s2
	s_mov_b32 s21, exec_lo
	v_cmpx_lt_u32_e32 0xffffff, v63
	s_cbranch_execz .LBB211_501
; %bb.494:                              ;   in Loop: Header=BB211_264 Depth=1
	v_lshrrev_b32_e32 v64, 24, v63
	v_dual_mov_b32 v18, s9 :: v_dual_mov_b32 v17, s8
	s_mov_b32 s22, exec_lo
	s_delay_alu instid0(VALU_DEP_2)
	v_cmpx_ne_u32_e32 0x80, v64
	s_cbranch_execz .LBB211_500
; %bb.495:                              ;   in Loop: Header=BB211_264 Depth=1
	s_mov_b32 s2, s8
	v_bfe_u32 v63, v63, 24, 7
	v_dual_mov_b32 v18, s3 :: v_dual_mov_b32 v17, s2
	s_mov_b32 s2, exec_lo
	s_delay_alu instid0(VALU_DEP_2)
	v_cmpx_ne_u32_e32 0x7f, v63
	s_cbranch_execz .LBB211_499
; %bb.496:                              ;   in Loop: Header=BB211_264 Depth=1
	v_and_b32_e32 v5, 7, v64
	v_lshrrev_b32_e32 v17, 3, v63
	s_mov_b32 s23, exec_lo
	v_cmpx_gt_u32_e32 8, v63
; %bb.497:                              ;   in Loop: Header=BB211_264 Depth=1
	s_delay_alu instid0(VALU_DEP_3) | instskip(NEXT) | instid1(VALU_DEP_1)
	v_clz_i32_u32_e32 v17, v5
	v_min_u32_e32 v17, 32, v17
	s_delay_alu instid0(VALU_DEP_1) | instskip(SKIP_1) | instid1(VALU_DEP_2)
	v_subrev_nc_u32_e32 v18, 28, v17
	v_sub_nc_u32_e32 v17, 29, v17
	v_lshlrev_b64 v[65:66], v18, v[5:6]
	s_delay_alu instid0(VALU_DEP_1)
	v_and_b32_e32 v5, 7, v65
; %bb.498:                              ;   in Loop: Header=BB211_264 Depth=1
	s_or_b32 exec_lo, exec_lo, s23
	v_lshlrev_b32_e32 v18, 24, v64
	s_delay_alu instid0(VALU_DEP_2) | instskip(SKIP_1) | instid1(VALU_DEP_3)
	v_lshlrev_b32_e32 v5, 20, v5
	v_lshl_add_u32 v17, v17, 23, 0x3c000000
	v_and_b32_e32 v18, 0x80000000, v18
	s_delay_alu instid0(VALU_DEP_1)
	v_or3_b32 v18, v5, v18, v17
	v_mov_b32_e32 v17, v6
.LBB211_499:                            ;   in Loop: Header=BB211_264 Depth=1
	s_or_b32 exec_lo, exec_lo, s2
.LBB211_500:                            ;   in Loop: Header=BB211_264 Depth=1
	s_delay_alu instid0(SALU_CYCLE_1)
	s_or_b32 exec_lo, exec_lo, s22
.LBB211_501:                            ;   in Loop: Header=BB211_264 Depth=1
	s_delay_alu instid0(SALU_CYCLE_1) | instskip(SKIP_4) | instid1(VALU_DEP_3)
	s_or_b32 exec_lo, exec_lo, s21
	v_or_b32_e32 v5, v14, v12
	v_or_b32_e32 v11, v13, v11
	;; [unrolled: 1-line block ×4, first 2 shown]
	v_dual_mul_f32 v13, s20, v5 :: v_dual_mul_f32 v12, s18, v11
	s_delay_alu instid0(VALU_DEP_3) | instskip(NEXT) | instid1(VALU_DEP_3)
	v_mul_f32_e32 v5, s20, v14
	v_mul_f32_e32 v11, s18, v15
	s_and_saveexec_b32 s0, vcc_lo
	s_cbranch_execz .LBB211_262
; %bb.502:                              ;   in Loop: Header=BB211_264 Depth=1
	v_cmp_gt_i32_e32 vcc_lo, s15, v39
	v_cndmask_b32_e32 v12, 0, v12, vcc_lo
	v_cmp_gt_i32_e32 vcc_lo, s15, v44
	v_cndmask_b32_e32 v13, 0, v13, vcc_lo
	;; [unrolled: 2-line block ×4, first 2 shown]
	s_branch .LBB211_262
.LBB211_503:
	s_or_b32 exec_lo, exec_lo, s14
.LBB211_504:
	s_delay_alu instid0(SALU_CYCLE_1)
	s_or_b32 exec_lo, exec_lo, s1
	ds_bpermute_b32 v1, v22, v24
	ds_bpermute_b32 v2, v22, v31
	;; [unrolled: 1-line block ×7, first 2 shown]
	v_and_b32_e32 v5, 0x3c1, v0
	v_lshrrev_b32_e32 v8, 1, v21
	s_movk_i32 s0, 0x1c0
	s_waitcnt lgkmcnt(0)
	s_waitcnt_vscnt null, 0x0
	v_mad_u32_u24 v9, v41, s0, 0x1e0
	s_barrier
	buffer_gl0_inv
	v_dual_add_f32 v7, v24, v1 :: v_dual_add_f32 v6, v31, v2
	v_cmp_eq_u32_e32 vcc_lo, 64, v5
	v_dual_add_f32 v5, v27, v3 :: v_dual_add_f32 v4, v28, v4
	v_dual_add_f32 v3, v25, v10 :: v_dual_lshlrev_b32 v10, 2, v8
	v_dual_add_f32 v2, v26, v11 :: v_dual_add_f32 v1, v32, v12
	s_and_saveexec_b32 s0, vcc_lo
	s_cbranch_execz .LBB211_506
; %bb.505:
	s_delay_alu instid0(VALU_DEP_2)
	v_add3_u32 v11, v9, v10, 0xfffffc80
	ds_store_2addr_b32 v11, v7, v6 offset1:16
	ds_store_2addr_b32 v11, v5, v4 offset0:32 offset1:48
	ds_store_2addr_b32 v11, v3, v2 offset0:64 offset1:80
	ds_store_b32 v11, v1 offset:384
.LBB211_506:
	s_or_b32 exec_lo, exec_lo, s0
	v_cmp_eq_u32_e32 vcc_lo, 0, v23
	s_mov_b32 s1, exec_lo
	s_waitcnt lgkmcnt(0)
	s_barrier
	buffer_gl0_inv
	v_cmpx_gt_u32_e32 64, v0
	s_cbranch_execz .LBB211_516
; %bb.507:
	s_and_saveexec_b32 s0, vcc_lo
	s_cbranch_execnz .LBB211_531
; %bb.508:
	s_or_b32 exec_lo, exec_lo, s0
	s_and_saveexec_b32 s0, vcc_lo
	s_cbranch_execnz .LBB211_532
.LBB211_509:
	s_or_b32 exec_lo, exec_lo, s0
	s_and_saveexec_b32 s0, vcc_lo
	s_cbranch_execnz .LBB211_533
.LBB211_510:
	s_or_b32 exec_lo, exec_lo, s0
	s_and_saveexec_b32 s0, vcc_lo
	s_cbranch_execnz .LBB211_534
.LBB211_511:
	s_or_b32 exec_lo, exec_lo, s0
	s_and_saveexec_b32 s0, vcc_lo
	s_cbranch_execnz .LBB211_535
.LBB211_512:
	s_or_b32 exec_lo, exec_lo, s0
	s_and_saveexec_b32 s0, vcc_lo
	s_cbranch_execnz .LBB211_536
.LBB211_513:
	s_or_b32 exec_lo, exec_lo, s0
	s_and_saveexec_b32 s0, vcc_lo
	s_cbranch_execz .LBB211_515
.LBB211_514:
	v_lshl_add_u32 v11, v8, 2, v9
	ds_load_b32 v11, v11 offset:384
	s_waitcnt lgkmcnt(0)
	v_add_f32_e32 v1, v1, v11
.LBB211_515:
	s_or_b32 exec_lo, exec_lo, s0
.LBB211_516:
	s_delay_alu instid0(SALU_CYCLE_1)
	s_or_b32 exec_lo, exec_lo, s1
	v_and_b32_e32 v11, 0x3e1, v0
	s_mov_b32 s1, exec_lo
	s_barrier
	buffer_gl0_inv
	v_cmpx_eq_u32_e32 32, v11
	s_cbranch_execz .LBB211_518
; %bb.517:
	v_add3_u32 v10, v9, v10, 0xfffffe40
	ds_store_2addr_b32 v10, v7, v6 offset1:16
	ds_store_2addr_b32 v10, v5, v4 offset0:32 offset1:48
	ds_store_2addr_b32 v10, v3, v2 offset0:64 offset1:80
	ds_store_b32 v10, v1 offset:384
.LBB211_518:
	s_or_b32 exec_lo, exec_lo, s1
	s_delay_alu instid0(SALU_CYCLE_1)
	s_mov_b32 s1, exec_lo
	s_waitcnt lgkmcnt(0)
	s_barrier
	buffer_gl0_inv
	v_cmpx_gt_u32_e32 32, v0
	s_cbranch_execz .LBB211_528
; %bb.519:
	v_lshl_add_u32 v8, v8, 2, v9
	s_and_saveexec_b32 s0, vcc_lo
	s_cbranch_execnz .LBB211_537
; %bb.520:
	s_or_b32 exec_lo, exec_lo, s0
	s_and_saveexec_b32 s0, vcc_lo
	s_cbranch_execnz .LBB211_538
.LBB211_521:
	s_or_b32 exec_lo, exec_lo, s0
	s_and_saveexec_b32 s0, vcc_lo
	s_cbranch_execnz .LBB211_539
.LBB211_522:
	s_or_b32 exec_lo, exec_lo, s0
	s_and_saveexec_b32 s0, vcc_lo
	s_cbranch_execnz .LBB211_540
.LBB211_523:
	s_or_b32 exec_lo, exec_lo, s0
	s_and_saveexec_b32 s0, vcc_lo
	s_cbranch_execnz .LBB211_541
.LBB211_524:
	s_or_b32 exec_lo, exec_lo, s0
	s_and_saveexec_b32 s0, vcc_lo
	s_cbranch_execnz .LBB211_542
.LBB211_525:
	s_or_b32 exec_lo, exec_lo, s0
	s_and_saveexec_b32 s0, vcc_lo
	s_cbranch_execz .LBB211_527
.LBB211_526:
	ds_load_b32 v8, v8 offset:384
	s_waitcnt lgkmcnt(0)
	v_add_f32_e32 v1, v1, v8
.LBB211_527:
	s_or_b32 exec_lo, exec_lo, s0
.LBB211_528:
	s_delay_alu instid0(SALU_CYCLE_1)
	s_or_b32 exec_lo, exec_lo, s1
	s_barrier
	buffer_gl0_inv
	s_mov_b32 s0, exec_lo
	v_cmpx_eq_u32_e32 0, v11
	s_cbranch_execz .LBB211_530
; %bb.529:
	s_mul_i32 s0, s4, 0x70
	s_mul_i32 s2, s11, s24
	s_ashr_i32 s1, s0, 31
	v_lshlrev_b32_e32 v0, 1, v0
	s_lshl_b64 s[0:1], s[0:1], 2
	s_delay_alu instid0(SALU_CYCLE_1) | instskip(SKIP_2) | instid1(SALU_CYCLE_1)
	s_add_u32 s4, s26, s0
	s_addc_u32 s5, s27, s1
	s_ashr_i32 s3, s2, 31
	s_lshl_b64 s[0:1], s[2:3], 2
	s_mul_i32 s2, s12, 0x70
	s_add_u32 s4, s4, s0
	s_addc_u32 s5, s5, s1
	s_ashr_i32 s3, s2, 31
	s_delay_alu instid0(SALU_CYCLE_1) | instskip(NEXT) | instid1(SALU_CYCLE_1)
	s_lshl_b64 s[0:1], s[2:3], 2
	s_add_u32 s0, s4, s0
	s_addc_u32 s1, s5, s1
	s_clause 0x6
	global_store_b32 v0, v7, s[0:1]
	global_store_b32 v0, v6, s[0:1] offset:64
	global_store_b32 v0, v5, s[0:1] offset:128
	;; [unrolled: 1-line block ×6, first 2 shown]
.LBB211_530:
	s_nop 0
	s_sendmsg sendmsg(MSG_DEALLOC_VGPRS)
	s_endpgm
.LBB211_531:
	v_lshl_add_u32 v11, v8, 2, v9
	ds_load_b32 v11, v11
	s_waitcnt lgkmcnt(0)
	v_add_f32_e32 v7, v7, v11
	s_or_b32 exec_lo, exec_lo, s0
	s_and_saveexec_b32 s0, vcc_lo
	s_cbranch_execz .LBB211_509
.LBB211_532:
	v_lshl_add_u32 v11, v8, 2, v9
	ds_load_b32 v11, v11 offset:64
	s_waitcnt lgkmcnt(0)
	v_add_f32_e32 v6, v6, v11
	s_or_b32 exec_lo, exec_lo, s0
	s_and_saveexec_b32 s0, vcc_lo
	s_cbranch_execz .LBB211_510
.LBB211_533:
	v_lshl_add_u32 v11, v8, 2, v9
	ds_load_b32 v11, v11 offset:128
	s_waitcnt lgkmcnt(0)
	v_add_f32_e32 v5, v5, v11
	s_or_b32 exec_lo, exec_lo, s0
	s_and_saveexec_b32 s0, vcc_lo
	s_cbranch_execz .LBB211_511
.LBB211_534:
	v_lshl_add_u32 v11, v8, 2, v9
	ds_load_b32 v11, v11 offset:192
	s_waitcnt lgkmcnt(0)
	v_add_f32_e32 v4, v4, v11
	s_or_b32 exec_lo, exec_lo, s0
	s_and_saveexec_b32 s0, vcc_lo
	s_cbranch_execz .LBB211_512
.LBB211_535:
	v_lshl_add_u32 v11, v8, 2, v9
	ds_load_b32 v11, v11 offset:256
	s_waitcnt lgkmcnt(0)
	v_add_f32_e32 v3, v3, v11
	s_or_b32 exec_lo, exec_lo, s0
	s_and_saveexec_b32 s0, vcc_lo
	s_cbranch_execz .LBB211_513
.LBB211_536:
	v_lshl_add_u32 v11, v8, 2, v9
	ds_load_b32 v11, v11 offset:320
	s_waitcnt lgkmcnt(0)
	v_add_f32_e32 v2, v2, v11
	s_or_b32 exec_lo, exec_lo, s0
	s_and_saveexec_b32 s0, vcc_lo
	s_cbranch_execnz .LBB211_514
	s_branch .LBB211_515
.LBB211_537:
	ds_load_b32 v9, v8
	s_waitcnt lgkmcnt(0)
	v_add_f32_e32 v7, v7, v9
	s_or_b32 exec_lo, exec_lo, s0
	s_and_saveexec_b32 s0, vcc_lo
	s_cbranch_execz .LBB211_521
.LBB211_538:
	ds_load_b32 v9, v8 offset:64
	s_waitcnt lgkmcnt(0)
	v_add_f32_e32 v6, v6, v9
	s_or_b32 exec_lo, exec_lo, s0
	s_and_saveexec_b32 s0, vcc_lo
	s_cbranch_execz .LBB211_522
.LBB211_539:
	ds_load_b32 v9, v8 offset:128
	s_waitcnt lgkmcnt(0)
	v_add_f32_e32 v5, v5, v9
	s_or_b32 exec_lo, exec_lo, s0
	s_and_saveexec_b32 s0, vcc_lo
	s_cbranch_execz .LBB211_523
.LBB211_540:
	ds_load_b32 v9, v8 offset:192
	s_waitcnt lgkmcnt(0)
	v_add_f32_e32 v4, v4, v9
	s_or_b32 exec_lo, exec_lo, s0
	s_and_saveexec_b32 s0, vcc_lo
	s_cbranch_execz .LBB211_524
.LBB211_541:
	ds_load_b32 v9, v8 offset:256
	s_waitcnt lgkmcnt(0)
	v_add_f32_e32 v3, v3, v9
	s_or_b32 exec_lo, exec_lo, s0
	s_and_saveexec_b32 s0, vcc_lo
	s_cbranch_execz .LBB211_525
.LBB211_542:
	ds_load_b32 v9, v8 offset:320
	s_waitcnt lgkmcnt(0)
	v_add_f32_e32 v2, v2, v9
	s_or_b32 exec_lo, exec_lo, s0
	s_and_saveexec_b32 s0, vcc_lo
	s_cbranch_execnz .LBB211_526
	s_branch .LBB211_527
	.section	.rodata,"a",@progbits
	.p2align	6, 0x0
	.amdhsa_kernel _ZN4vllm25paged_attention_v2_kernelIfhLi112ELi8ELi128ELNS_18Fp8KVCacheDataTypeE1ELb1ELi512EEEvPfS2_PT_PKS3_PKT0_S9_ifPKiSB_iPKfiiiSD_SD_iiiii
		.amdhsa_group_segment_fixed_size 480
		.amdhsa_private_segment_fixed_size 0
		.amdhsa_kernarg_size 400
		.amdhsa_user_sgpr_count 13
		.amdhsa_user_sgpr_dispatch_ptr 0
		.amdhsa_user_sgpr_queue_ptr 0
		.amdhsa_user_sgpr_kernarg_segment_ptr 1
		.amdhsa_user_sgpr_dispatch_id 0
		.amdhsa_user_sgpr_private_segment_size 0
		.amdhsa_wavefront_size32 1
		.amdhsa_uses_dynamic_stack 0
		.amdhsa_enable_private_segment 0
		.amdhsa_system_sgpr_workgroup_id_x 1
		.amdhsa_system_sgpr_workgroup_id_y 1
		.amdhsa_system_sgpr_workgroup_id_z 1
		.amdhsa_system_sgpr_workgroup_info 0
		.amdhsa_system_vgpr_workitem_id 0
		.amdhsa_next_free_vgpr 84
		.amdhsa_next_free_sgpr 53
		.amdhsa_reserve_vcc 1
		.amdhsa_float_round_mode_32 0
		.amdhsa_float_round_mode_16_64 0
		.amdhsa_float_denorm_mode_32 3
		.amdhsa_float_denorm_mode_16_64 3
		.amdhsa_dx10_clamp 1
		.amdhsa_ieee_mode 1
		.amdhsa_fp16_overflow 0
		.amdhsa_workgroup_processor_mode 1
		.amdhsa_memory_ordered 1
		.amdhsa_forward_progress 0
		.amdhsa_shared_vgpr_count 0
		.amdhsa_exception_fp_ieee_invalid_op 0
		.amdhsa_exception_fp_denorm_src 0
		.amdhsa_exception_fp_ieee_div_zero 0
		.amdhsa_exception_fp_ieee_overflow 0
		.amdhsa_exception_fp_ieee_underflow 0
		.amdhsa_exception_fp_ieee_inexact 0
		.amdhsa_exception_int_div_zero 0
	.end_amdhsa_kernel
	.section	.text._ZN4vllm25paged_attention_v2_kernelIfhLi112ELi8ELi128ELNS_18Fp8KVCacheDataTypeE1ELb1ELi512EEEvPfS2_PT_PKS3_PKT0_S9_ifPKiSB_iPKfiiiSD_SD_iiiii,"axG",@progbits,_ZN4vllm25paged_attention_v2_kernelIfhLi112ELi8ELi128ELNS_18Fp8KVCacheDataTypeE1ELb1ELi512EEEvPfS2_PT_PKS3_PKT0_S9_ifPKiSB_iPKfiiiSD_SD_iiiii,comdat
.Lfunc_end211:
	.size	_ZN4vllm25paged_attention_v2_kernelIfhLi112ELi8ELi128ELNS_18Fp8KVCacheDataTypeE1ELb1ELi512EEEvPfS2_PT_PKS3_PKT0_S9_ifPKiSB_iPKfiiiSD_SD_iiiii, .Lfunc_end211-_ZN4vllm25paged_attention_v2_kernelIfhLi112ELi8ELi128ELNS_18Fp8KVCacheDataTypeE1ELb1ELi512EEEvPfS2_PT_PKS3_PKT0_S9_ifPKiSB_iPKfiiiSD_SD_iiiii
                                        ; -- End function
	.section	.AMDGPU.csdata,"",@progbits
; Kernel info:
; codeLenInByte = 18564
; NumSgprs: 55
; NumVgprs: 84
; ScratchSize: 0
; MemoryBound: 0
; FloatMode: 240
; IeeeMode: 1
; LDSByteSize: 480 bytes/workgroup (compile time only)
; SGPRBlocks: 6
; VGPRBlocks: 10
; NumSGPRsForWavesPerEU: 55
; NumVGPRsForWavesPerEU: 84
; Occupancy: 16
; WaveLimiterHint : 1
; COMPUTE_PGM_RSRC2:SCRATCH_EN: 0
; COMPUTE_PGM_RSRC2:USER_SGPR: 13
; COMPUTE_PGM_RSRC2:TRAP_HANDLER: 0
; COMPUTE_PGM_RSRC2:TGID_X_EN: 1
; COMPUTE_PGM_RSRC2:TGID_Y_EN: 1
; COMPUTE_PGM_RSRC2:TGID_Z_EN: 1
; COMPUTE_PGM_RSRC2:TIDIG_COMP_CNT: 0
	.section	.text._ZN4vllm25paged_attention_v2_kernelIfhLi120ELi8ELi128ELNS_18Fp8KVCacheDataTypeE1ELb1ELi512EEEvPfS2_PT_PKS3_PKT0_S9_ifPKiSB_iPKfiiiSD_SD_iiiii,"axG",@progbits,_ZN4vllm25paged_attention_v2_kernelIfhLi120ELi8ELi128ELNS_18Fp8KVCacheDataTypeE1ELb1ELi512EEEvPfS2_PT_PKS3_PKT0_S9_ifPKiSB_iPKfiiiSD_SD_iiiii,comdat
	.protected	_ZN4vllm25paged_attention_v2_kernelIfhLi120ELi8ELi128ELNS_18Fp8KVCacheDataTypeE1ELb1ELi512EEEvPfS2_PT_PKS3_PKT0_S9_ifPKiSB_iPKfiiiSD_SD_iiiii ; -- Begin function _ZN4vllm25paged_attention_v2_kernelIfhLi120ELi8ELi128ELNS_18Fp8KVCacheDataTypeE1ELb1ELi512EEEvPfS2_PT_PKS3_PKT0_S9_ifPKiSB_iPKfiiiSD_SD_iiiii
	.globl	_ZN4vllm25paged_attention_v2_kernelIfhLi120ELi8ELi128ELNS_18Fp8KVCacheDataTypeE1ELb1ELi512EEEvPfS2_PT_PKS3_PKT0_S9_ifPKiSB_iPKfiiiSD_SD_iiiii
	.p2align	8
	.type	_ZN4vllm25paged_attention_v2_kernelIfhLi120ELi8ELi128ELNS_18Fp8KVCacheDataTypeE1ELb1ELi512EEEvPfS2_PT_PKS3_PKT0_S9_ifPKiSB_iPKfiiiSD_SD_iiiii,@function
_ZN4vllm25paged_attention_v2_kernelIfhLi120ELi8ELi128ELNS_18Fp8KVCacheDataTypeE1ELb1ELi512EEEvPfS2_PT_PKS3_PKT0_S9_ifPKiSB_iPKfiiiSD_SD_iiiii: ; @_ZN4vllm25paged_attention_v2_kernelIfhLi120ELi8ELi128ELNS_18Fp8KVCacheDataTypeE1ELb1ELi512EEEvPfS2_PT_PKS3_PKT0_S9_ifPKiSB_iPKfiiiSD_SD_iiiii
; %bb.0:
	s_load_b64 s[2:3], s[0:1], 0x40
	s_mov_b32 s12, s15
	s_ashr_i32 s15, s14, 31
	s_delay_alu instid0(SALU_CYCLE_1)
	s_lshl_b64 s[4:5], s[14:15], 2
	s_waitcnt lgkmcnt(0)
	s_add_u32 s2, s2, s4
	s_addc_u32 s3, s3, s5
	s_lshl_b32 s41, s12, 9
	s_load_b32 s33, s[2:3], 0x0
	s_waitcnt lgkmcnt(0)
	s_cmp_ge_i32 s41, s33
	s_cbranch_scc1 .LBB212_597
; %bb.1:
	s_mov_b32 s28, s13
	s_clause 0x1
	s_load_b32 s13, s[0:1], 0x90
	s_load_b64 s[38:39], s[0:1], 0x30
	s_mov_b32 s42, 0
	s_waitcnt lgkmcnt(0)
	s_abs_i32 s5, s13
	s_abs_i32 s2, s38
	s_delay_alu instid0(SALU_CYCLE_1) | instskip(SKIP_1) | instid1(VALU_DEP_1)
	v_cvt_f32_u32_e32 v1, s2
	s_sub_i32 s4, 0, s2
	v_rcp_iflag_f32_e32 v1, v1
	s_waitcnt_depctr 0xfff
	v_mul_f32_e32 v1, 0x4f7ffffe, v1
	s_delay_alu instid0(VALU_DEP_1) | instskip(NEXT) | instid1(VALU_DEP_1)
	v_cvt_u32_f32_e32 v1, v1
	v_readfirstlane_b32 s3, v1
	s_delay_alu instid0(VALU_DEP_1) | instskip(NEXT) | instid1(SALU_CYCLE_1)
	s_mul_i32 s4, s4, s3
	s_mul_hi_u32 s4, s3, s4
	s_delay_alu instid0(SALU_CYCLE_1) | instskip(SKIP_4) | instid1(SALU_CYCLE_1)
	s_add_i32 s3, s3, s4
	s_xor_b32 s4, s13, s38
	s_mul_hi_u32 s3, s5, s3
	s_ashr_i32 s4, s4, 31
	s_mul_i32 s6, s3, s2
	s_sub_i32 s5, s5, s6
	s_add_i32 s6, s3, 1
	s_sub_i32 s7, s5, s2
	s_cmp_ge_u32 s5, s2
	s_cselect_b32 s3, s6, s3
	s_cselect_b32 s5, s7, s5
	s_add_i32 s6, s3, 1
	s_cmp_ge_u32 s5, s2
	s_cselect_b32 s2, s6, s3
	s_delay_alu instid0(SALU_CYCLE_1) | instskip(NEXT) | instid1(SALU_CYCLE_1)
	s_xor_b32 s2, s2, s4
	s_sub_i32 s7, s2, s4
	s_load_b64 s[2:3], s[0:1], 0x50
	s_abs_i32 s4, s7
	s_delay_alu instid0(SALU_CYCLE_1) | instskip(SKIP_1) | instid1(VALU_DEP_1)
	v_cvt_f32_u32_e32 v1, s4
	s_sub_i32 s5, 0, s4
	v_rcp_iflag_f32_e32 v1, v1
	s_waitcnt_depctr 0xfff
	v_mul_f32_e32 v1, 0x4f7ffffe, v1
	s_delay_alu instid0(VALU_DEP_1) | instskip(NEXT) | instid1(VALU_DEP_1)
	v_cvt_u32_f32_e32 v1, v1
	v_readfirstlane_b32 s6, v1
	s_delay_alu instid0(VALU_DEP_1) | instskip(NEXT) | instid1(SALU_CYCLE_1)
	s_mul_i32 s5, s5, s6
	s_mul_hi_u32 s8, s6, s5
	s_abs_i32 s5, s28
	s_add_i32 s6, s6, s8
	s_waitcnt lgkmcnt(0)
	s_cmp_eq_u64 s[2:3], 0
	s_mul_hi_u32 s6, s5, s6
	s_cbranch_scc1 .LBB212_3
; %bb.2:
	s_ashr_i32 s29, s28, 31
	s_delay_alu instid0(SALU_CYCLE_1) | instskip(NEXT) | instid1(SALU_CYCLE_1)
	s_lshl_b64 s[8:9], s[28:29], 2
	s_add_u32 s2, s2, s8
	s_addc_u32 s3, s3, s9
	s_load_b32 s42, s[2:3], 0x0
.LBB212_3:
	s_load_b128 s[8:11], s[0:1], 0x58
	v_and_b32_e32 v46, 3, v0
	v_lshlrev_b32_e32 v45, 2, v0
	s_ashr_i32 s2, s28, 31
	s_ashr_i32 s3, s7, 31
	s_mul_i32 s24, s28, 0x78
	s_mov_b32 s7, exec_lo
	v_cmpx_gt_u32_e32 0x78, v0
	s_cbranch_execz .LBB212_5
; %bb.4:
	s_load_b64 s[16:17], s[0:1], 0x18
	s_waitcnt lgkmcnt(0)
	s_mul_i32 s18, s14, s8
	v_and_b32_e32 v2, 0x3fc, v0
	s_ashr_i32 s19, s18, 31
	s_delay_alu instid0(SALU_CYCLE_1) | instskip(NEXT) | instid1(VALU_DEP_1)
	s_lshl_b64 s[18:19], s[18:19], 2
	v_mad_u32_u24 v2, 0x78, v46, v2
	s_add_u32 s8, s16, s18
	s_addc_u32 s11, s17, s19
	s_ashr_i32 s25, s24, 31
	s_delay_alu instid0(SALU_CYCLE_1) | instskip(NEXT) | instid1(SALU_CYCLE_1)
	s_lshl_b64 s[16:17], s[24:25], 2
	s_add_u32 s16, s8, s16
	s_addc_u32 s17, s11, s17
	global_load_b32 v1, v45, s[16:17]
	s_waitcnt vmcnt(0)
	ds_store_b32 v2, v1
.LBB212_5:
	s_or_b32 exec_lo, exec_lo, s7
	s_load_b128 s[16:19], s[0:1], 0x78
	s_mul_i32 s7, s6, s4
	s_xor_b32 s2, s2, s3
	s_sub_i32 s3, s5, s7
	s_add_i32 s5, s6, 1
	s_sub_i32 s7, s3, s4
	s_cmp_ge_u32 s3, s4
	s_waitcnt lgkmcnt(0)
	s_cselect_b32 s5, s5, s6
	s_cselect_b32 s3, s7, s3
	s_add_i32 s6, s5, 1
	s_cmp_ge_u32 s3, s4
	s_load_b32 s4, s[0:1], 0x88
	s_cselect_b32 s3, s6, s5
	s_add_i32 s5, s33, -1
	s_xor_b32 s3, s3, s2
	s_abs_i32 s8, s5
	s_sub_i32 s3, s3, s2
	s_mov_b32 s6, -1
	s_waitcnt lgkmcnt(0)
	s_barrier
	s_abs_i32 s25, s19
	buffer_gl0_inv
	v_cvt_f32_u32_e32 v1, s25
	s_sub_i32 s2, 0, s25
                                        ; implicit-def: $sgpr40
	s_delay_alu instid0(VALU_DEP_1) | instskip(SKIP_2) | instid1(VALU_DEP_1)
	v_rcp_iflag_f32_e32 v1, v1
	s_waitcnt_depctr 0xfff
	v_mul_f32_e32 v1, 0x4f7ffffe, v1
	v_cvt_u32_f32_e32 v1, v1
	s_delay_alu instid0(VALU_DEP_1) | instskip(NEXT) | instid1(VALU_DEP_1)
	v_readfirstlane_b32 s29, v1
	s_mul_i32 s2, s2, s29
	s_delay_alu instid0(SALU_CYCLE_1) | instskip(NEXT) | instid1(SALU_CYCLE_1)
	s_mul_hi_u32 s2, s29, s2
	s_add_i32 s29, s29, s2
	s_cmp_lt_i32 s4, 0
	s_mul_hi_u32 s2, s8, s29
	s_cbranch_scc0 .LBB212_7
; %bb.6:
	s_mul_i32 s6, s16, s38
	s_delay_alu instid0(SALU_CYCLE_1) | instskip(NEXT) | instid1(SALU_CYCLE_1)
	s_add_i32 s6, s3, s6
	s_mul_i32 s6, s6, s4
	s_delay_alu instid0(SALU_CYCLE_1)
	s_sub_i32 s40, 1, s6
	s_mov_b32 s6, 0
.LBB212_7:
	s_load_b64 s[30:31], s[0:1], 0x38
	s_ashr_i32 s11, s5, 31
	s_and_not1_b32 vcc_lo, exec_lo, s6
	s_ashr_i32 s19, s19, 31
	s_cbranch_vccnz .LBB212_9
; %bb.8:
	s_mul_i32 s5, s13, s16
	s_delay_alu instid0(SALU_CYCLE_1) | instskip(NEXT) | instid1(SALU_CYCLE_1)
	s_add_i32 s5, s5, s28
	s_mul_i32 s4, s5, s4
	s_delay_alu instid0(SALU_CYCLE_1)
	s_add_i32 s40, s4, 1
.LBB212_9:
	s_clause 0x5
	s_load_b32 s16, s[0:1], 0x48
	s_load_b64 s[36:37], s[0:1], 0x28
	s_load_b128 s[20:23], s[0:1], 0x0
	s_load_b64 s[26:27], s[0:1], 0x10
	s_load_b32 s15, s[0:1], 0x98
	s_load_b128 s[4:7], s[0:1], 0x68
	s_mul_i32 s34, s2, s25
	s_xor_b32 s11, s11, s19
	s_sub_i32 s8, s8, s34
	s_add_i32 s38, s2, 1
	v_lshrrev_b32_e32 v43, 5, v0
	v_mov_b32_e32 v48, 0xff7fffff
	v_mbcnt_lo_u32_b32 v47, -1, 0
	s_mul_i32 s10, s3, s10
	s_delay_alu instid0(VALU_DEP_3)
	v_lshl_add_u32 v44, v43, 3, s41
	s_waitcnt lgkmcnt(0)
	s_mul_i32 s34, s14, s16
	s_sub_i32 s16, s8, s25
	s_ashr_i32 s35, s34, 31
	s_cmp_ge_u32 s8, s25
	s_cselect_b32 s2, s38, s2
	s_cselect_b32 s8, s16, s8
	s_add_i32 s16, s2, 1
	s_cmp_ge_u32 s8, s25
	s_cselect_b32 s2, s16, s2
	s_add_i32 s8, s33, 7
	s_lshl_b32 s38, s12, 6
	s_ashr_i32 s16, s8, 31
	v_or_b32_e32 v29, s38, v43
	s_lshr_b32 s16, s16, 29
	s_xor_b32 s43, s2, s11
	s_add_i32 s8, s8, s16
	s_add_i32 s16, s38, 64
	s_ashr_i32 s8, s8, 3
	v_ashrrev_i32_e32 v30, 31, v29
	s_min_i32 s16, s16, s8
	s_sub_i32 s11, s43, s11
	v_cmp_le_i32_e64 s2, s16, v29
	s_mov_b32 s43, exec_lo
	v_cmpx_gt_i32_e64 s16, v29
	s_cbranch_execz .LBB212_259
; %bb.10:
	s_load_b64 s[0:1], s[0:1], 0x20
	s_sub_i32 s44, s11, s17
	s_ashr_i32 s3, s10, 31
	v_bfe_u32 v49, v0, 2, 3
	v_mov_b32_e32 v52, 0xff7fffff
	v_cmp_eq_u32_e32 vcc_lo, 0, v46
	v_mul_u32_u24_e32 v50, 0x78, v46
	v_lshl_add_u32 v51, v43, 3, s41
	v_lshlrev_b32_e32 v7, 4, v49
	v_lshlrev_b32_e32 v4, 2, v49
	v_subrev_nc_u32_e32 v5, s33, v49
	v_mov_b32_e32 v48, 0xff7fffff
	v_mov_b32_e32 v32, 0
	;; [unrolled: 1-line block ×3, first 2 shown]
	v_lshl_or_b32 v4, v43, 5, v4
	v_add_nc_u32_e32 v53, 1, v5
	s_delay_alu instid0(VALU_DEP_2)
	v_add_nc_u32_e32 v54, 0x200, v4
	s_waitcnt lgkmcnt(0)
	s_add_u32 s48, s0, s10
	s_addc_u32 s1, s1, s3
	s_abs_i32 s45, s18
	s_lshl_b64 s[46:47], s[34:35], 2
	v_cvt_f32_u32_e32 v1, s45
	s_sub_i32 s3, 0, s45
	v_cmp_neq_f32_e64 s0, s42, 0
	s_delay_alu instid0(VALU_DEP_2) | instskip(SKIP_3) | instid1(VALU_DEP_2)
	v_rcp_iflag_f32_e32 v1, v1
	s_waitcnt_depctr 0xfff
	v_mul_f32_e32 v3, 0x4f7ffffe, v1
	v_lshlrev_b64 v[1:2], 2, v[29:30]
	v_cvt_u32_f32_e32 v3, v3
	s_delay_alu instid0(VALU_DEP_1) | instskip(SKIP_1) | instid1(VALU_DEP_1)
	v_mul_lo_u32 v6, s3, v3
	v_add_co_u32 v33, s3, s48, v7
	v_add_co_ci_u32_e64 v34, null, s1, 0, s3
	s_add_u32 s1, s30, s46
	s_addc_u32 s3, s31, s47
	v_add_co_u32 v35, s1, s1, v1
	s_delay_alu instid0(VALU_DEP_4) | instskip(SKIP_3) | instid1(VALU_DEP_2)
	v_mul_hi_u32 v4, v3, v6
	v_add_co_ci_u32_e64 v36, s1, s3, v2, s1
	s_mov_b32 s46, 0
	s_mov_b32 s47, s9
	v_add_nc_u32_e32 v55, v3, v4
	s_branch .LBB212_13
.LBB212_11:                             ;   in Loop: Header=BB212_13 Depth=1
	s_or_b32 exec_lo, exec_lo, s48
.LBB212_12:                             ;   in Loop: Header=BB212_13 Depth=1
	s_delay_alu instid0(SALU_CYCLE_1) | instskip(SKIP_2) | instid1(VALU_DEP_1)
	s_or_b32 exec_lo, exec_lo, s3
	v_add_nc_u32_e32 v56, 4, v56
	v_add_co_u32 v35, s3, v35, 16
	v_add_co_ci_u32_e64 v36, s3, 0, v36, s3
	s_delay_alu instid0(VALU_DEP_3) | instskip(SKIP_2) | instid1(VALU_DEP_3)
	v_cmp_le_i32_e64 s1, s16, v56
	v_add_nc_u32_e32 v51, 32, v51
	v_add_nc_u32_e32 v54, 0x80, v54
	s_or_b32 s46, s1, s46
	s_delay_alu instid0(SALU_CYCLE_1)
	s_and_not1_b32 exec_lo, exec_lo, s46
	s_cbranch_execz .LBB212_258
.LBB212_13:                             ; =>This Inner Loop Header: Depth=1
	v_sub_nc_u32_e32 v1, 0, v51
	s_delay_alu instid0(VALU_DEP_1) | instskip(SKIP_1) | instid1(VALU_DEP_1)
	v_max_i32_e32 v1, v51, v1
	s_waitcnt lgkmcnt(0)
	v_mul_hi_u32 v2, v1, s29
	s_delay_alu instid0(VALU_DEP_1) | instskip(NEXT) | instid1(VALU_DEP_1)
	v_mul_lo_u32 v3, v2, s25
	v_sub_nc_u32_e32 v1, v1, v3
	v_add_nc_u32_e32 v3, 1, v2
	s_delay_alu instid0(VALU_DEP_2) | instskip(SKIP_1) | instid1(VALU_DEP_1)
	v_subrev_nc_u32_e32 v4, s25, v1
	v_cmp_le_u32_e64 s1, s25, v1
	v_cndmask_b32_e64 v2, v2, v3, s1
	s_delay_alu instid0(VALU_DEP_3) | instskip(SKIP_1) | instid1(VALU_DEP_3)
	v_cndmask_b32_e64 v1, v1, v4, s1
	v_ashrrev_i32_e32 v3, 31, v51
	v_add_nc_u32_e32 v4, 1, v2
	s_delay_alu instid0(VALU_DEP_3) | instskip(NEXT) | instid1(VALU_DEP_3)
	v_cmp_le_u32_e64 s1, s25, v1
	v_xor_b32_e32 v3, s19, v3
	s_delay_alu instid0(VALU_DEP_2) | instskip(NEXT) | instid1(VALU_DEP_1)
	v_cndmask_b32_e64 v1, v2, v4, s1
	v_xor_b32_e32 v1, v1, v3
	s_delay_alu instid0(VALU_DEP_1) | instskip(NEXT) | instid1(VALU_DEP_1)
	v_sub_nc_u32_e32 v1, v1, v3
	v_add_nc_u32_e32 v2, s40, v1
	v_cmp_ge_i32_e64 s3, s44, v1
	s_delay_alu instid0(VALU_DEP_2) | instskip(NEXT) | instid1(VALU_DEP_1)
	v_sub_nc_u32_e32 v3, 0, v2
	v_max_i32_e32 v3, v2, v3
	v_ashrrev_i32_e32 v2, 31, v2
	s_delay_alu instid0(VALU_DEP_2) | instskip(NEXT) | instid1(VALU_DEP_1)
	v_mul_hi_u32 v4, v3, v55
	v_mul_lo_u32 v4, v4, s45
	s_delay_alu instid0(VALU_DEP_1) | instskip(NEXT) | instid1(VALU_DEP_1)
	v_sub_nc_u32_e32 v3, v3, v4
	v_subrev_nc_u32_e32 v4, s45, v3
	v_cmp_le_u32_e64 s1, s45, v3
	s_delay_alu instid0(VALU_DEP_1) | instskip(NEXT) | instid1(VALU_DEP_1)
	v_cndmask_b32_e64 v3, v3, v4, s1
	v_subrev_nc_u32_e32 v4, s45, v3
	v_cmp_le_u32_e64 s1, s45, v3
	s_delay_alu instid0(VALU_DEP_1) | instskip(NEXT) | instid1(VALU_DEP_1)
	v_cndmask_b32_e64 v3, v3, v4, s1
	v_xor_b32_e32 v3, v3, v2
	s_delay_alu instid0(VALU_DEP_1) | instskip(NEXT) | instid1(VALU_DEP_1)
	v_sub_nc_u32_e32 v2, v3, v2
	v_cmp_ne_u32_e64 s1, 0, v2
	s_delay_alu instid0(VALU_DEP_1) | instskip(NEXT) | instid1(SALU_CYCLE_1)
	s_and_b32 s1, s1, s3
	s_and_b32 s48, vcc_lo, s1
	s_delay_alu instid0(SALU_CYCLE_1)
	s_and_saveexec_b32 s3, s48
	s_cbranch_execz .LBB212_15
; %bb.14:                               ;   in Loop: Header=BB212_13 Depth=1
	ds_store_b32 v54, v52
.LBB212_15:                             ;   in Loop: Header=BB212_13 Depth=1
	s_or_b32 exec_lo, exec_lo, s3
	s_xor_b32 s1, s1, -1
	s_delay_alu instid0(SALU_CYCLE_1)
	s_and_saveexec_b32 s3, s1
	s_cbranch_execz .LBB212_12
; %bb.16:                               ;   in Loop: Header=BB212_13 Depth=1
	global_load_b32 v3, v[35:36], off
	v_dual_mov_b32 v57, 0 :: v_dual_mov_b32 v58, 0
	s_mov_b32 s49, exec_lo
	s_waitcnt vmcnt(0)
	v_mad_i64_i32 v[1:2], null, v3, s47, v[33:34]
	s_delay_alu instid0(VALU_DEP_1) | instskip(NEXT) | instid1(VALU_DEP_1)
	v_add_co_u32 v39, s1, v1, v46
	v_add_co_ci_u32_e64 v40, s1, 0, v2, s1
	global_load_u8 v41, v[39:40], off
	ds_load_2addr_b64 v[25:28], v50 offset1:1
	ds_load_2addr_b64 v[21:24], v50 offset0:2 offset1:3
	ds_load_2addr_b64 v[17:20], v50 offset0:4 offset1:5
	ds_load_2addr_b64 v[13:16], v50 offset0:6 offset1:7
	ds_load_2addr_b64 v[9:12], v50 offset0:8 offset1:9
	ds_load_2addr_b64 v[5:8], v50 offset0:10 offset1:11
	ds_load_2addr_b64 v[1:4], v50 offset0:12 offset1:13
	ds_load_b64 v[37:38], v50 offset:112
	s_load_b32 s48, s[4:5], 0x0
	s_waitcnt vmcnt(0)
	v_cmpx_ne_u16_e32 0, v41
	s_cbranch_execz .LBB212_24
; %bb.17:                               ;   in Loop: Header=BB212_13 Depth=1
	v_bfrev_b32_e32 v58, 1
	s_mov_b32 s50, exec_lo
	v_cmpx_ne_u16_e32 0x80, v41
	s_cbranch_execz .LBB212_23
; %bb.18:                               ;   in Loop: Header=BB212_13 Depth=1
	v_and_b32_e32 v31, 0xffff, v41
	v_mov_b32_e32 v58, 0x7f800001
	s_mov_b32 s51, exec_lo
	s_delay_alu instid0(VALU_DEP_2) | instskip(NEXT) | instid1(VALU_DEP_1)
	v_and_b32_e32 v59, 0x7f, v31
	v_cmpx_ne_u32_e32 0x7f, v59
	s_cbranch_execz .LBB212_22
; %bb.19:                               ;   in Loop: Header=BB212_13 Depth=1
	v_and_b32_e32 v31, 7, v31
	v_lshrrev_b32_e32 v42, 3, v59
	s_mov_b32 s52, exec_lo
	v_cmpx_gt_u32_e32 8, v59
; %bb.20:                               ;   in Loop: Header=BB212_13 Depth=1
	s_delay_alu instid0(VALU_DEP_3) | instskip(NEXT) | instid1(VALU_DEP_1)
	v_clz_i32_u32_e32 v42, v31
	v_min_u32_e32 v42, 32, v42
	s_delay_alu instid0(VALU_DEP_1) | instskip(SKIP_1) | instid1(VALU_DEP_2)
	v_subrev_nc_u32_e32 v58, 28, v42
	v_sub_nc_u32_e32 v42, 29, v42
	v_lshlrev_b64 v[58:59], v58, v[31:32]
	s_delay_alu instid0(VALU_DEP_1)
	v_and_b32_e32 v31, 7, v58
; %bb.21:                               ;   in Loop: Header=BB212_13 Depth=1
	s_or_b32 exec_lo, exec_lo, s52
	v_lshlrev_b32_e32 v41, 24, v41
	s_delay_alu instid0(VALU_DEP_2) | instskip(SKIP_1) | instid1(VALU_DEP_3)
	v_lshlrev_b32_e32 v31, 20, v31
	v_lshl_add_u32 v42, v42, 23, 0x3c000000
	v_and_b32_e32 v41, 0x80000000, v41
	s_delay_alu instid0(VALU_DEP_1)
	v_or3_b32 v58, v31, v41, v42
.LBB212_22:                             ;   in Loop: Header=BB212_13 Depth=1
	s_or_b32 exec_lo, exec_lo, s51
.LBB212_23:                             ;   in Loop: Header=BB212_13 Depth=1
	s_delay_alu instid0(SALU_CYCLE_1)
	s_or_b32 exec_lo, exec_lo, s50
.LBB212_24:                             ;   in Loop: Header=BB212_13 Depth=1
	s_delay_alu instid0(SALU_CYCLE_1)
	s_or_b32 exec_lo, exec_lo, s49
	global_load_u8 v41, v[39:40], off offset:4
	s_mov_b32 s49, exec_lo
	s_waitcnt vmcnt(0)
	v_cmpx_ne_u16_e32 0, v41
	s_cbranch_execz .LBB212_32
; %bb.25:                               ;   in Loop: Header=BB212_13 Depth=1
	v_bfrev_b32_e32 v57, 1
	s_mov_b32 s50, exec_lo
	v_cmpx_ne_u16_e32 0x80, v41
	s_cbranch_execz .LBB212_31
; %bb.26:                               ;   in Loop: Header=BB212_13 Depth=1
	v_and_b32_e32 v31, 0xffff, v41
	v_mov_b32_e32 v57, 0x7f800001
	s_mov_b32 s51, exec_lo
	s_delay_alu instid0(VALU_DEP_2) | instskip(NEXT) | instid1(VALU_DEP_1)
	v_and_b32_e32 v59, 0x7f, v31
	v_cmpx_ne_u32_e32 0x7f, v59
	s_cbranch_execz .LBB212_30
; %bb.27:                               ;   in Loop: Header=BB212_13 Depth=1
	v_and_b32_e32 v31, 7, v31
	v_lshrrev_b32_e32 v42, 3, v59
	s_mov_b32 s52, exec_lo
	v_cmpx_gt_u32_e32 8, v59
; %bb.28:                               ;   in Loop: Header=BB212_13 Depth=1
	s_delay_alu instid0(VALU_DEP_3) | instskip(NEXT) | instid1(VALU_DEP_1)
	v_clz_i32_u32_e32 v42, v31
	v_min_u32_e32 v42, 32, v42
	s_delay_alu instid0(VALU_DEP_1) | instskip(SKIP_1) | instid1(VALU_DEP_2)
	v_subrev_nc_u32_e32 v57, 28, v42
	v_sub_nc_u32_e32 v42, 29, v42
	v_lshlrev_b64 v[59:60], v57, v[31:32]
	s_delay_alu instid0(VALU_DEP_1)
	v_and_b32_e32 v31, 7, v59
; %bb.29:                               ;   in Loop: Header=BB212_13 Depth=1
	s_or_b32 exec_lo, exec_lo, s52
	v_lshlrev_b32_e32 v41, 24, v41
	s_delay_alu instid0(VALU_DEP_2) | instskip(SKIP_1) | instid1(VALU_DEP_3)
	v_lshlrev_b32_e32 v31, 20, v31
	v_lshl_add_u32 v42, v42, 23, 0x3c000000
	v_and_b32_e32 v41, 0x80000000, v41
	s_delay_alu instid0(VALU_DEP_1)
	v_or3_b32 v57, v31, v41, v42
.LBB212_30:                             ;   in Loop: Header=BB212_13 Depth=1
	s_or_b32 exec_lo, exec_lo, s51
.LBB212_31:                             ;   in Loop: Header=BB212_13 Depth=1
	s_delay_alu instid0(SALU_CYCLE_1)
	s_or_b32 exec_lo, exec_lo, s50
.LBB212_32:                             ;   in Loop: Header=BB212_13 Depth=1
	s_delay_alu instid0(SALU_CYCLE_1)
	s_or_b32 exec_lo, exec_lo, s49
	global_load_u8 v41, v[39:40], off offset:8
	v_dual_mov_b32 v59, 0 :: v_dual_mov_b32 v60, 0
	s_mov_b32 s49, exec_lo
	s_waitcnt vmcnt(0)
	v_cmpx_ne_u16_e32 0, v41
	s_cbranch_execz .LBB212_40
; %bb.33:                               ;   in Loop: Header=BB212_13 Depth=1
	v_bfrev_b32_e32 v60, 1
	s_mov_b32 s50, exec_lo
	v_cmpx_ne_u16_e32 0x80, v41
	s_cbranch_execz .LBB212_39
; %bb.34:                               ;   in Loop: Header=BB212_13 Depth=1
	v_and_b32_e32 v31, 0xffff, v41
	v_mov_b32_e32 v60, 0x7f800001
	s_mov_b32 s51, exec_lo
	s_delay_alu instid0(VALU_DEP_2) | instskip(NEXT) | instid1(VALU_DEP_1)
	v_and_b32_e32 v61, 0x7f, v31
	v_cmpx_ne_u32_e32 0x7f, v61
	s_cbranch_execz .LBB212_38
; %bb.35:                               ;   in Loop: Header=BB212_13 Depth=1
	v_and_b32_e32 v31, 7, v31
	v_lshrrev_b32_e32 v42, 3, v61
	s_mov_b32 s52, exec_lo
	v_cmpx_gt_u32_e32 8, v61
; %bb.36:                               ;   in Loop: Header=BB212_13 Depth=1
	s_delay_alu instid0(VALU_DEP_3) | instskip(NEXT) | instid1(VALU_DEP_1)
	v_clz_i32_u32_e32 v42, v31
	v_min_u32_e32 v42, 32, v42
	s_delay_alu instid0(VALU_DEP_1) | instskip(SKIP_1) | instid1(VALU_DEP_2)
	v_subrev_nc_u32_e32 v60, 28, v42
	v_sub_nc_u32_e32 v42, 29, v42
	v_lshlrev_b64 v[60:61], v60, v[31:32]
	s_delay_alu instid0(VALU_DEP_1)
	v_and_b32_e32 v31, 7, v60
; %bb.37:                               ;   in Loop: Header=BB212_13 Depth=1
	s_or_b32 exec_lo, exec_lo, s52
	v_lshlrev_b32_e32 v41, 24, v41
	s_delay_alu instid0(VALU_DEP_2) | instskip(SKIP_1) | instid1(VALU_DEP_3)
	v_lshlrev_b32_e32 v31, 20, v31
	v_lshl_add_u32 v42, v42, 23, 0x3c000000
	v_and_b32_e32 v41, 0x80000000, v41
	s_delay_alu instid0(VALU_DEP_1)
	v_or3_b32 v60, v31, v41, v42
.LBB212_38:                             ;   in Loop: Header=BB212_13 Depth=1
	s_or_b32 exec_lo, exec_lo, s51
.LBB212_39:                             ;   in Loop: Header=BB212_13 Depth=1
	s_delay_alu instid0(SALU_CYCLE_1)
	s_or_b32 exec_lo, exec_lo, s50
.LBB212_40:                             ;   in Loop: Header=BB212_13 Depth=1
	s_delay_alu instid0(SALU_CYCLE_1)
	s_or_b32 exec_lo, exec_lo, s49
	global_load_u8 v41, v[39:40], off offset:12
	s_mov_b32 s49, exec_lo
	s_waitcnt vmcnt(0)
	v_cmpx_ne_u16_e32 0, v41
	s_cbranch_execz .LBB212_48
; %bb.41:                               ;   in Loop: Header=BB212_13 Depth=1
	v_bfrev_b32_e32 v59, 1
	s_mov_b32 s50, exec_lo
	v_cmpx_ne_u16_e32 0x80, v41
	s_cbranch_execz .LBB212_47
; %bb.42:                               ;   in Loop: Header=BB212_13 Depth=1
	v_and_b32_e32 v31, 0xffff, v41
	v_mov_b32_e32 v59, 0x7f800001
	s_mov_b32 s51, exec_lo
	s_delay_alu instid0(VALU_DEP_2) | instskip(NEXT) | instid1(VALU_DEP_1)
	v_and_b32_e32 v61, 0x7f, v31
	v_cmpx_ne_u32_e32 0x7f, v61
	s_cbranch_execz .LBB212_46
; %bb.43:                               ;   in Loop: Header=BB212_13 Depth=1
	v_and_b32_e32 v31, 7, v31
	v_lshrrev_b32_e32 v42, 3, v61
	s_mov_b32 s52, exec_lo
	v_cmpx_gt_u32_e32 8, v61
; %bb.44:                               ;   in Loop: Header=BB212_13 Depth=1
	s_delay_alu instid0(VALU_DEP_3) | instskip(NEXT) | instid1(VALU_DEP_1)
	v_clz_i32_u32_e32 v42, v31
	v_min_u32_e32 v42, 32, v42
	s_delay_alu instid0(VALU_DEP_1) | instskip(SKIP_1) | instid1(VALU_DEP_2)
	v_subrev_nc_u32_e32 v59, 28, v42
	v_sub_nc_u32_e32 v42, 29, v42
	v_lshlrev_b64 v[61:62], v59, v[31:32]
	s_delay_alu instid0(VALU_DEP_1)
	v_and_b32_e32 v31, 7, v61
; %bb.45:                               ;   in Loop: Header=BB212_13 Depth=1
	s_or_b32 exec_lo, exec_lo, s52
	v_lshlrev_b32_e32 v41, 24, v41
	s_delay_alu instid0(VALU_DEP_2) | instskip(SKIP_1) | instid1(VALU_DEP_3)
	v_lshlrev_b32_e32 v31, 20, v31
	v_lshl_add_u32 v42, v42, 23, 0x3c000000
	v_and_b32_e32 v41, 0x80000000, v41
	s_delay_alu instid0(VALU_DEP_1)
	v_or3_b32 v59, v31, v41, v42
.LBB212_46:                             ;   in Loop: Header=BB212_13 Depth=1
	s_or_b32 exec_lo, exec_lo, s51
.LBB212_47:                             ;   in Loop: Header=BB212_13 Depth=1
	s_delay_alu instid0(SALU_CYCLE_1)
	s_or_b32 exec_lo, exec_lo, s50
.LBB212_48:                             ;   in Loop: Header=BB212_13 Depth=1
	s_delay_alu instid0(SALU_CYCLE_1)
	s_or_b32 exec_lo, exec_lo, s49
	global_load_u8 v41, v[39:40], off offset:128
	v_dual_mov_b32 v61, 0 :: v_dual_mov_b32 v62, 0
	s_mov_b32 s49, exec_lo
	s_waitcnt vmcnt(0)
	v_cmpx_ne_u16_e32 0, v41
	s_cbranch_execz .LBB212_56
; %bb.49:                               ;   in Loop: Header=BB212_13 Depth=1
	v_bfrev_b32_e32 v62, 1
	s_mov_b32 s50, exec_lo
	v_cmpx_ne_u16_e32 0x80, v41
	s_cbranch_execz .LBB212_55
; %bb.50:                               ;   in Loop: Header=BB212_13 Depth=1
	v_and_b32_e32 v31, 0xffff, v41
	v_mov_b32_e32 v62, 0x7f800001
	s_mov_b32 s51, exec_lo
	s_delay_alu instid0(VALU_DEP_2) | instskip(NEXT) | instid1(VALU_DEP_1)
	v_and_b32_e32 v63, 0x7f, v31
	v_cmpx_ne_u32_e32 0x7f, v63
	s_cbranch_execz .LBB212_54
; %bb.51:                               ;   in Loop: Header=BB212_13 Depth=1
	v_and_b32_e32 v31, 7, v31
	v_lshrrev_b32_e32 v42, 3, v63
	s_mov_b32 s52, exec_lo
	v_cmpx_gt_u32_e32 8, v63
; %bb.52:                               ;   in Loop: Header=BB212_13 Depth=1
	s_delay_alu instid0(VALU_DEP_3) | instskip(NEXT) | instid1(VALU_DEP_1)
	v_clz_i32_u32_e32 v42, v31
	v_min_u32_e32 v42, 32, v42
	s_delay_alu instid0(VALU_DEP_1) | instskip(SKIP_1) | instid1(VALU_DEP_2)
	v_subrev_nc_u32_e32 v62, 28, v42
	v_sub_nc_u32_e32 v42, 29, v42
	v_lshlrev_b64 v[62:63], v62, v[31:32]
	s_delay_alu instid0(VALU_DEP_1)
	v_and_b32_e32 v31, 7, v62
; %bb.53:                               ;   in Loop: Header=BB212_13 Depth=1
	s_or_b32 exec_lo, exec_lo, s52
	v_lshlrev_b32_e32 v41, 24, v41
	s_delay_alu instid0(VALU_DEP_2) | instskip(SKIP_1) | instid1(VALU_DEP_3)
	v_lshlrev_b32_e32 v31, 20, v31
	v_lshl_add_u32 v42, v42, 23, 0x3c000000
	v_and_b32_e32 v41, 0x80000000, v41
	s_delay_alu instid0(VALU_DEP_1)
	v_or3_b32 v62, v31, v41, v42
.LBB212_54:                             ;   in Loop: Header=BB212_13 Depth=1
	s_or_b32 exec_lo, exec_lo, s51
.LBB212_55:                             ;   in Loop: Header=BB212_13 Depth=1
	s_delay_alu instid0(SALU_CYCLE_1)
	s_or_b32 exec_lo, exec_lo, s50
.LBB212_56:                             ;   in Loop: Header=BB212_13 Depth=1
	s_delay_alu instid0(SALU_CYCLE_1)
	s_or_b32 exec_lo, exec_lo, s49
	global_load_u8 v41, v[39:40], off offset:132
	s_mov_b32 s49, exec_lo
	s_waitcnt vmcnt(0)
	v_cmpx_ne_u16_e32 0, v41
	s_cbranch_execz .LBB212_64
; %bb.57:                               ;   in Loop: Header=BB212_13 Depth=1
	v_bfrev_b32_e32 v61, 1
	s_mov_b32 s50, exec_lo
	v_cmpx_ne_u16_e32 0x80, v41
	s_cbranch_execz .LBB212_63
; %bb.58:                               ;   in Loop: Header=BB212_13 Depth=1
	v_and_b32_e32 v31, 0xffff, v41
	v_mov_b32_e32 v61, 0x7f800001
	s_mov_b32 s51, exec_lo
	s_delay_alu instid0(VALU_DEP_2) | instskip(NEXT) | instid1(VALU_DEP_1)
	v_and_b32_e32 v63, 0x7f, v31
	v_cmpx_ne_u32_e32 0x7f, v63
	s_cbranch_execz .LBB212_62
; %bb.59:                               ;   in Loop: Header=BB212_13 Depth=1
	v_and_b32_e32 v31, 7, v31
	v_lshrrev_b32_e32 v42, 3, v63
	s_mov_b32 s52, exec_lo
	v_cmpx_gt_u32_e32 8, v63
; %bb.60:                               ;   in Loop: Header=BB212_13 Depth=1
	s_delay_alu instid0(VALU_DEP_3) | instskip(NEXT) | instid1(VALU_DEP_1)
	v_clz_i32_u32_e32 v42, v31
	v_min_u32_e32 v42, 32, v42
	s_delay_alu instid0(VALU_DEP_1) | instskip(SKIP_1) | instid1(VALU_DEP_2)
	v_subrev_nc_u32_e32 v61, 28, v42
	v_sub_nc_u32_e32 v42, 29, v42
	v_lshlrev_b64 v[63:64], v61, v[31:32]
	s_delay_alu instid0(VALU_DEP_1)
	v_and_b32_e32 v31, 7, v63
; %bb.61:                               ;   in Loop: Header=BB212_13 Depth=1
	s_or_b32 exec_lo, exec_lo, s52
	v_lshlrev_b32_e32 v41, 24, v41
	s_delay_alu instid0(VALU_DEP_2) | instskip(SKIP_1) | instid1(VALU_DEP_3)
	v_lshlrev_b32_e32 v31, 20, v31
	v_lshl_add_u32 v42, v42, 23, 0x3c000000
	v_and_b32_e32 v41, 0x80000000, v41
	s_delay_alu instid0(VALU_DEP_1)
	v_or3_b32 v61, v31, v41, v42
.LBB212_62:                             ;   in Loop: Header=BB212_13 Depth=1
	s_or_b32 exec_lo, exec_lo, s51
.LBB212_63:                             ;   in Loop: Header=BB212_13 Depth=1
	s_delay_alu instid0(SALU_CYCLE_1)
	s_or_b32 exec_lo, exec_lo, s50
.LBB212_64:                             ;   in Loop: Header=BB212_13 Depth=1
	s_delay_alu instid0(SALU_CYCLE_1) | instskip(SKIP_1) | instid1(VALU_DEP_1)
	s_or_b32 exec_lo, exec_lo, s49
	v_add_co_u32 v41, s1, 0x80, v39
	v_add_co_ci_u32_e64 v42, s1, 0, v40, s1
	v_dual_mov_b32 v63, 0 :: v_dual_mov_b32 v64, 0
	s_mov_b32 s49, exec_lo
	global_load_u8 v65, v[41:42], off offset:8
	s_waitcnt vmcnt(0)
	v_cmpx_ne_u16_e32 0, v65
	s_cbranch_execz .LBB212_72
; %bb.65:                               ;   in Loop: Header=BB212_13 Depth=1
	v_bfrev_b32_e32 v64, 1
	s_mov_b32 s50, exec_lo
	v_cmpx_ne_u16_e32 0x80, v65
	s_cbranch_execz .LBB212_71
; %bb.66:                               ;   in Loop: Header=BB212_13 Depth=1
	v_and_b32_e32 v31, 0xffff, v65
	v_mov_b32_e32 v64, 0x7f800001
	s_mov_b32 s51, exec_lo
	s_delay_alu instid0(VALU_DEP_2) | instskip(NEXT) | instid1(VALU_DEP_1)
	v_and_b32_e32 v66, 0x7f, v31
	v_cmpx_ne_u32_e32 0x7f, v66
	s_cbranch_execz .LBB212_70
; %bb.67:                               ;   in Loop: Header=BB212_13 Depth=1
	v_and_b32_e32 v31, 7, v31
	v_lshrrev_b32_e32 v64, 3, v66
	s_mov_b32 s52, exec_lo
	v_cmpx_gt_u32_e32 8, v66
; %bb.68:                               ;   in Loop: Header=BB212_13 Depth=1
	s_delay_alu instid0(VALU_DEP_3) | instskip(NEXT) | instid1(VALU_DEP_1)
	v_clz_i32_u32_e32 v64, v31
	v_min_u32_e32 v64, 32, v64
	s_delay_alu instid0(VALU_DEP_1) | instskip(SKIP_1) | instid1(VALU_DEP_2)
	v_subrev_nc_u32_e32 v66, 28, v64
	v_sub_nc_u32_e32 v64, 29, v64
	v_lshlrev_b64 v[66:67], v66, v[31:32]
	s_delay_alu instid0(VALU_DEP_1)
	v_and_b32_e32 v31, 7, v66
; %bb.69:                               ;   in Loop: Header=BB212_13 Depth=1
	s_or_b32 exec_lo, exec_lo, s52
	v_lshlrev_b32_e32 v65, 24, v65
	s_delay_alu instid0(VALU_DEP_2) | instskip(SKIP_1) | instid1(VALU_DEP_3)
	v_lshlrev_b32_e32 v31, 20, v31
	v_lshl_add_u32 v64, v64, 23, 0x3c000000
	v_and_b32_e32 v65, 0x80000000, v65
	s_delay_alu instid0(VALU_DEP_1)
	v_or3_b32 v64, v31, v65, v64
.LBB212_70:                             ;   in Loop: Header=BB212_13 Depth=1
	s_or_b32 exec_lo, exec_lo, s51
.LBB212_71:                             ;   in Loop: Header=BB212_13 Depth=1
	s_delay_alu instid0(SALU_CYCLE_1)
	s_or_b32 exec_lo, exec_lo, s50
.LBB212_72:                             ;   in Loop: Header=BB212_13 Depth=1
	s_delay_alu instid0(SALU_CYCLE_1)
	s_or_b32 exec_lo, exec_lo, s49
	global_load_u8 v41, v[41:42], off offset:12
	s_mov_b32 s49, exec_lo
	s_waitcnt vmcnt(0)
	v_cmpx_ne_u16_e32 0, v41
	s_cbranch_execz .LBB212_80
; %bb.73:                               ;   in Loop: Header=BB212_13 Depth=1
	v_bfrev_b32_e32 v63, 1
	s_mov_b32 s50, exec_lo
	v_cmpx_ne_u16_e32 0x80, v41
	s_cbranch_execz .LBB212_79
; %bb.74:                               ;   in Loop: Header=BB212_13 Depth=1
	v_and_b32_e32 v31, 0xffff, v41
	v_mov_b32_e32 v63, 0x7f800001
	s_mov_b32 s51, exec_lo
	s_delay_alu instid0(VALU_DEP_2) | instskip(NEXT) | instid1(VALU_DEP_1)
	v_and_b32_e32 v65, 0x7f, v31
	v_cmpx_ne_u32_e32 0x7f, v65
	s_cbranch_execz .LBB212_78
; %bb.75:                               ;   in Loop: Header=BB212_13 Depth=1
	v_and_b32_e32 v31, 7, v31
	v_lshrrev_b32_e32 v42, 3, v65
	s_mov_b32 s52, exec_lo
	v_cmpx_gt_u32_e32 8, v65
; %bb.76:                               ;   in Loop: Header=BB212_13 Depth=1
	s_delay_alu instid0(VALU_DEP_3) | instskip(NEXT) | instid1(VALU_DEP_1)
	v_clz_i32_u32_e32 v42, v31
	v_min_u32_e32 v42, 32, v42
	s_delay_alu instid0(VALU_DEP_1) | instskip(SKIP_1) | instid1(VALU_DEP_2)
	v_subrev_nc_u32_e32 v63, 28, v42
	v_sub_nc_u32_e32 v42, 29, v42
	v_lshlrev_b64 v[65:66], v63, v[31:32]
	s_delay_alu instid0(VALU_DEP_1)
	v_and_b32_e32 v31, 7, v65
; %bb.77:                               ;   in Loop: Header=BB212_13 Depth=1
	s_or_b32 exec_lo, exec_lo, s52
	v_lshlrev_b32_e32 v41, 24, v41
	s_delay_alu instid0(VALU_DEP_2) | instskip(SKIP_1) | instid1(VALU_DEP_3)
	v_lshlrev_b32_e32 v31, 20, v31
	v_lshl_add_u32 v42, v42, 23, 0x3c000000
	v_and_b32_e32 v41, 0x80000000, v41
	s_delay_alu instid0(VALU_DEP_1)
	v_or3_b32 v63, v31, v41, v42
.LBB212_78:                             ;   in Loop: Header=BB212_13 Depth=1
	s_or_b32 exec_lo, exec_lo, s51
.LBB212_79:                             ;   in Loop: Header=BB212_13 Depth=1
	s_delay_alu instid0(SALU_CYCLE_1)
	s_or_b32 exec_lo, exec_lo, s50
.LBB212_80:                             ;   in Loop: Header=BB212_13 Depth=1
	s_delay_alu instid0(SALU_CYCLE_1)
	s_or_b32 exec_lo, exec_lo, s49
	global_load_u8 v41, v[39:40], off offset:256
	v_dual_mov_b32 v65, 0 :: v_dual_mov_b32 v66, 0
	s_mov_b32 s49, exec_lo
	s_waitcnt vmcnt(0)
	v_cmpx_ne_u16_e32 0, v41
	s_cbranch_execz .LBB212_88
; %bb.81:                               ;   in Loop: Header=BB212_13 Depth=1
	v_bfrev_b32_e32 v66, 1
	s_mov_b32 s50, exec_lo
	v_cmpx_ne_u16_e32 0x80, v41
	s_cbranch_execz .LBB212_87
; %bb.82:                               ;   in Loop: Header=BB212_13 Depth=1
	v_and_b32_e32 v31, 0xffff, v41
	v_mov_b32_e32 v66, 0x7f800001
	s_mov_b32 s51, exec_lo
	s_delay_alu instid0(VALU_DEP_2) | instskip(NEXT) | instid1(VALU_DEP_1)
	v_and_b32_e32 v67, 0x7f, v31
	v_cmpx_ne_u32_e32 0x7f, v67
	s_cbranch_execz .LBB212_86
; %bb.83:                               ;   in Loop: Header=BB212_13 Depth=1
	v_and_b32_e32 v31, 7, v31
	v_lshrrev_b32_e32 v42, 3, v67
	s_mov_b32 s52, exec_lo
	v_cmpx_gt_u32_e32 8, v67
; %bb.84:                               ;   in Loop: Header=BB212_13 Depth=1
	s_delay_alu instid0(VALU_DEP_3) | instskip(NEXT) | instid1(VALU_DEP_1)
	v_clz_i32_u32_e32 v42, v31
	v_min_u32_e32 v42, 32, v42
	s_delay_alu instid0(VALU_DEP_1) | instskip(SKIP_1) | instid1(VALU_DEP_2)
	v_subrev_nc_u32_e32 v66, 28, v42
	v_sub_nc_u32_e32 v42, 29, v42
	v_lshlrev_b64 v[66:67], v66, v[31:32]
	s_delay_alu instid0(VALU_DEP_1)
	v_and_b32_e32 v31, 7, v66
; %bb.85:                               ;   in Loop: Header=BB212_13 Depth=1
	s_or_b32 exec_lo, exec_lo, s52
	v_lshlrev_b32_e32 v41, 24, v41
	s_delay_alu instid0(VALU_DEP_2) | instskip(SKIP_1) | instid1(VALU_DEP_3)
	v_lshlrev_b32_e32 v31, 20, v31
	v_lshl_add_u32 v42, v42, 23, 0x3c000000
	v_and_b32_e32 v41, 0x80000000, v41
	s_delay_alu instid0(VALU_DEP_1)
	v_or3_b32 v66, v31, v41, v42
.LBB212_86:                             ;   in Loop: Header=BB212_13 Depth=1
	s_or_b32 exec_lo, exec_lo, s51
.LBB212_87:                             ;   in Loop: Header=BB212_13 Depth=1
	s_delay_alu instid0(SALU_CYCLE_1)
	s_or_b32 exec_lo, exec_lo, s50
.LBB212_88:                             ;   in Loop: Header=BB212_13 Depth=1
	s_delay_alu instid0(SALU_CYCLE_1)
	s_or_b32 exec_lo, exec_lo, s49
	global_load_u8 v41, v[39:40], off offset:260
	s_mov_b32 s49, exec_lo
	s_waitcnt vmcnt(0)
	v_cmpx_ne_u16_e32 0, v41
	s_cbranch_execz .LBB212_96
; %bb.89:                               ;   in Loop: Header=BB212_13 Depth=1
	v_bfrev_b32_e32 v65, 1
	s_mov_b32 s50, exec_lo
	v_cmpx_ne_u16_e32 0x80, v41
	s_cbranch_execz .LBB212_95
; %bb.90:                               ;   in Loop: Header=BB212_13 Depth=1
	v_and_b32_e32 v31, 0xffff, v41
	v_mov_b32_e32 v65, 0x7f800001
	s_mov_b32 s51, exec_lo
	s_delay_alu instid0(VALU_DEP_2) | instskip(NEXT) | instid1(VALU_DEP_1)
	v_and_b32_e32 v67, 0x7f, v31
	v_cmpx_ne_u32_e32 0x7f, v67
	s_cbranch_execz .LBB212_94
; %bb.91:                               ;   in Loop: Header=BB212_13 Depth=1
	v_and_b32_e32 v31, 7, v31
	v_lshrrev_b32_e32 v42, 3, v67
	s_mov_b32 s52, exec_lo
	v_cmpx_gt_u32_e32 8, v67
; %bb.92:                               ;   in Loop: Header=BB212_13 Depth=1
	s_delay_alu instid0(VALU_DEP_3) | instskip(NEXT) | instid1(VALU_DEP_1)
	v_clz_i32_u32_e32 v42, v31
	v_min_u32_e32 v42, 32, v42
	s_delay_alu instid0(VALU_DEP_1) | instskip(SKIP_1) | instid1(VALU_DEP_2)
	v_subrev_nc_u32_e32 v65, 28, v42
	v_sub_nc_u32_e32 v42, 29, v42
	v_lshlrev_b64 v[67:68], v65, v[31:32]
	s_delay_alu instid0(VALU_DEP_1)
	v_and_b32_e32 v31, 7, v67
; %bb.93:                               ;   in Loop: Header=BB212_13 Depth=1
	s_or_b32 exec_lo, exec_lo, s52
	v_lshlrev_b32_e32 v41, 24, v41
	s_delay_alu instid0(VALU_DEP_2) | instskip(SKIP_1) | instid1(VALU_DEP_3)
	v_lshlrev_b32_e32 v31, 20, v31
	v_lshl_add_u32 v42, v42, 23, 0x3c000000
	v_and_b32_e32 v41, 0x80000000, v41
	s_delay_alu instid0(VALU_DEP_1)
	v_or3_b32 v65, v31, v41, v42
.LBB212_94:                             ;   in Loop: Header=BB212_13 Depth=1
	s_or_b32 exec_lo, exec_lo, s51
.LBB212_95:                             ;   in Loop: Header=BB212_13 Depth=1
	s_delay_alu instid0(SALU_CYCLE_1)
	s_or_b32 exec_lo, exec_lo, s50
.LBB212_96:                             ;   in Loop: Header=BB212_13 Depth=1
	s_delay_alu instid0(SALU_CYCLE_1) | instskip(SKIP_1) | instid1(VALU_DEP_1)
	s_or_b32 exec_lo, exec_lo, s49
	v_add_co_u32 v41, s1, 0x100, v39
	v_add_co_ci_u32_e64 v42, s1, 0, v40, s1
	v_dual_mov_b32 v67, 0 :: v_dual_mov_b32 v68, 0
	s_mov_b32 s49, exec_lo
	global_load_u8 v69, v[41:42], off offset:8
	s_waitcnt vmcnt(0)
	v_cmpx_ne_u16_e32 0, v69
	s_cbranch_execz .LBB212_104
; %bb.97:                               ;   in Loop: Header=BB212_13 Depth=1
	v_bfrev_b32_e32 v68, 1
	s_mov_b32 s50, exec_lo
	v_cmpx_ne_u16_e32 0x80, v69
	s_cbranch_execz .LBB212_103
; %bb.98:                               ;   in Loop: Header=BB212_13 Depth=1
	v_and_b32_e32 v31, 0xffff, v69
	v_mov_b32_e32 v68, 0x7f800001
	s_mov_b32 s51, exec_lo
	s_delay_alu instid0(VALU_DEP_2) | instskip(NEXT) | instid1(VALU_DEP_1)
	v_and_b32_e32 v70, 0x7f, v31
	v_cmpx_ne_u32_e32 0x7f, v70
	s_cbranch_execz .LBB212_102
; %bb.99:                               ;   in Loop: Header=BB212_13 Depth=1
	v_and_b32_e32 v31, 7, v31
	v_lshrrev_b32_e32 v68, 3, v70
	s_mov_b32 s52, exec_lo
	v_cmpx_gt_u32_e32 8, v70
; %bb.100:                              ;   in Loop: Header=BB212_13 Depth=1
	s_delay_alu instid0(VALU_DEP_3) | instskip(NEXT) | instid1(VALU_DEP_1)
	v_clz_i32_u32_e32 v68, v31
	v_min_u32_e32 v68, 32, v68
	s_delay_alu instid0(VALU_DEP_1) | instskip(SKIP_1) | instid1(VALU_DEP_2)
	v_subrev_nc_u32_e32 v70, 28, v68
	v_sub_nc_u32_e32 v68, 29, v68
	v_lshlrev_b64 v[70:71], v70, v[31:32]
	s_delay_alu instid0(VALU_DEP_1)
	v_and_b32_e32 v31, 7, v70
; %bb.101:                              ;   in Loop: Header=BB212_13 Depth=1
	s_or_b32 exec_lo, exec_lo, s52
	v_lshlrev_b32_e32 v69, 24, v69
	s_delay_alu instid0(VALU_DEP_2) | instskip(SKIP_1) | instid1(VALU_DEP_3)
	v_lshlrev_b32_e32 v31, 20, v31
	v_lshl_add_u32 v68, v68, 23, 0x3c000000
	v_and_b32_e32 v69, 0x80000000, v69
	s_delay_alu instid0(VALU_DEP_1)
	v_or3_b32 v68, v31, v69, v68
.LBB212_102:                            ;   in Loop: Header=BB212_13 Depth=1
	s_or_b32 exec_lo, exec_lo, s51
.LBB212_103:                            ;   in Loop: Header=BB212_13 Depth=1
	s_delay_alu instid0(SALU_CYCLE_1)
	s_or_b32 exec_lo, exec_lo, s50
.LBB212_104:                            ;   in Loop: Header=BB212_13 Depth=1
	s_delay_alu instid0(SALU_CYCLE_1)
	s_or_b32 exec_lo, exec_lo, s49
	global_load_u8 v41, v[41:42], off offset:12
	s_mov_b32 s49, exec_lo
	s_waitcnt vmcnt(0)
	v_cmpx_ne_u16_e32 0, v41
	s_cbranch_execz .LBB212_112
; %bb.105:                              ;   in Loop: Header=BB212_13 Depth=1
	v_bfrev_b32_e32 v67, 1
	s_mov_b32 s50, exec_lo
	v_cmpx_ne_u16_e32 0x80, v41
	s_cbranch_execz .LBB212_111
; %bb.106:                              ;   in Loop: Header=BB212_13 Depth=1
	v_and_b32_e32 v31, 0xffff, v41
	v_mov_b32_e32 v67, 0x7f800001
	s_mov_b32 s51, exec_lo
	s_delay_alu instid0(VALU_DEP_2) | instskip(NEXT) | instid1(VALU_DEP_1)
	v_and_b32_e32 v69, 0x7f, v31
	v_cmpx_ne_u32_e32 0x7f, v69
	s_cbranch_execz .LBB212_110
; %bb.107:                              ;   in Loop: Header=BB212_13 Depth=1
	v_and_b32_e32 v31, 7, v31
	v_lshrrev_b32_e32 v42, 3, v69
	s_mov_b32 s52, exec_lo
	v_cmpx_gt_u32_e32 8, v69
; %bb.108:                              ;   in Loop: Header=BB212_13 Depth=1
	s_delay_alu instid0(VALU_DEP_3) | instskip(NEXT) | instid1(VALU_DEP_1)
	v_clz_i32_u32_e32 v42, v31
	v_min_u32_e32 v42, 32, v42
	s_delay_alu instid0(VALU_DEP_1) | instskip(SKIP_1) | instid1(VALU_DEP_2)
	v_subrev_nc_u32_e32 v67, 28, v42
	v_sub_nc_u32_e32 v42, 29, v42
	v_lshlrev_b64 v[69:70], v67, v[31:32]
	s_delay_alu instid0(VALU_DEP_1)
	v_and_b32_e32 v31, 7, v69
; %bb.109:                              ;   in Loop: Header=BB212_13 Depth=1
	s_or_b32 exec_lo, exec_lo, s52
	v_lshlrev_b32_e32 v41, 24, v41
	s_delay_alu instid0(VALU_DEP_2) | instskip(SKIP_1) | instid1(VALU_DEP_3)
	v_lshlrev_b32_e32 v31, 20, v31
	v_lshl_add_u32 v42, v42, 23, 0x3c000000
	v_and_b32_e32 v41, 0x80000000, v41
	s_delay_alu instid0(VALU_DEP_1)
	v_or3_b32 v67, v31, v41, v42
.LBB212_110:                            ;   in Loop: Header=BB212_13 Depth=1
	s_or_b32 exec_lo, exec_lo, s51
.LBB212_111:                            ;   in Loop: Header=BB212_13 Depth=1
	s_delay_alu instid0(SALU_CYCLE_1)
	s_or_b32 exec_lo, exec_lo, s50
.LBB212_112:                            ;   in Loop: Header=BB212_13 Depth=1
	s_delay_alu instid0(SALU_CYCLE_1)
	s_or_b32 exec_lo, exec_lo, s49
	global_load_u8 v41, v[39:40], off offset:384
	v_dual_mov_b32 v69, 0 :: v_dual_mov_b32 v70, 0
	s_mov_b32 s49, exec_lo
	s_waitcnt vmcnt(0)
	v_cmpx_ne_u16_e32 0, v41
	s_cbranch_execz .LBB212_120
; %bb.113:                              ;   in Loop: Header=BB212_13 Depth=1
	v_bfrev_b32_e32 v70, 1
	s_mov_b32 s50, exec_lo
	v_cmpx_ne_u16_e32 0x80, v41
	s_cbranch_execz .LBB212_119
; %bb.114:                              ;   in Loop: Header=BB212_13 Depth=1
	v_and_b32_e32 v31, 0xffff, v41
	v_mov_b32_e32 v70, 0x7f800001
	s_mov_b32 s51, exec_lo
	s_delay_alu instid0(VALU_DEP_2) | instskip(NEXT) | instid1(VALU_DEP_1)
	v_and_b32_e32 v71, 0x7f, v31
	v_cmpx_ne_u32_e32 0x7f, v71
	s_cbranch_execz .LBB212_118
; %bb.115:                              ;   in Loop: Header=BB212_13 Depth=1
	v_and_b32_e32 v31, 7, v31
	v_lshrrev_b32_e32 v42, 3, v71
	s_mov_b32 s52, exec_lo
	v_cmpx_gt_u32_e32 8, v71
; %bb.116:                              ;   in Loop: Header=BB212_13 Depth=1
	s_delay_alu instid0(VALU_DEP_3) | instskip(NEXT) | instid1(VALU_DEP_1)
	v_clz_i32_u32_e32 v42, v31
	v_min_u32_e32 v42, 32, v42
	s_delay_alu instid0(VALU_DEP_1) | instskip(SKIP_1) | instid1(VALU_DEP_2)
	v_subrev_nc_u32_e32 v70, 28, v42
	v_sub_nc_u32_e32 v42, 29, v42
	v_lshlrev_b64 v[70:71], v70, v[31:32]
	s_delay_alu instid0(VALU_DEP_1)
	v_and_b32_e32 v31, 7, v70
; %bb.117:                              ;   in Loop: Header=BB212_13 Depth=1
	s_or_b32 exec_lo, exec_lo, s52
	v_lshlrev_b32_e32 v41, 24, v41
	s_delay_alu instid0(VALU_DEP_2) | instskip(SKIP_1) | instid1(VALU_DEP_3)
	v_lshlrev_b32_e32 v31, 20, v31
	v_lshl_add_u32 v42, v42, 23, 0x3c000000
	v_and_b32_e32 v41, 0x80000000, v41
	s_delay_alu instid0(VALU_DEP_1)
	v_or3_b32 v70, v31, v41, v42
.LBB212_118:                            ;   in Loop: Header=BB212_13 Depth=1
	s_or_b32 exec_lo, exec_lo, s51
.LBB212_119:                            ;   in Loop: Header=BB212_13 Depth=1
	s_delay_alu instid0(SALU_CYCLE_1)
	s_or_b32 exec_lo, exec_lo, s50
.LBB212_120:                            ;   in Loop: Header=BB212_13 Depth=1
	s_delay_alu instid0(SALU_CYCLE_1)
	s_or_b32 exec_lo, exec_lo, s49
	global_load_u8 v41, v[39:40], off offset:388
	s_mov_b32 s49, exec_lo
	s_waitcnt vmcnt(0)
	v_cmpx_ne_u16_e32 0, v41
	s_cbranch_execz .LBB212_128
; %bb.121:                              ;   in Loop: Header=BB212_13 Depth=1
	v_bfrev_b32_e32 v69, 1
	s_mov_b32 s50, exec_lo
	v_cmpx_ne_u16_e32 0x80, v41
	s_cbranch_execz .LBB212_127
; %bb.122:                              ;   in Loop: Header=BB212_13 Depth=1
	v_and_b32_e32 v31, 0xffff, v41
	v_mov_b32_e32 v69, 0x7f800001
	s_mov_b32 s51, exec_lo
	s_delay_alu instid0(VALU_DEP_2) | instskip(NEXT) | instid1(VALU_DEP_1)
	v_and_b32_e32 v71, 0x7f, v31
	v_cmpx_ne_u32_e32 0x7f, v71
	s_cbranch_execz .LBB212_126
; %bb.123:                              ;   in Loop: Header=BB212_13 Depth=1
	v_and_b32_e32 v31, 7, v31
	v_lshrrev_b32_e32 v42, 3, v71
	s_mov_b32 s52, exec_lo
	v_cmpx_gt_u32_e32 8, v71
; %bb.124:                              ;   in Loop: Header=BB212_13 Depth=1
	s_delay_alu instid0(VALU_DEP_3) | instskip(NEXT) | instid1(VALU_DEP_1)
	v_clz_i32_u32_e32 v42, v31
	v_min_u32_e32 v42, 32, v42
	s_delay_alu instid0(VALU_DEP_1) | instskip(SKIP_1) | instid1(VALU_DEP_2)
	v_subrev_nc_u32_e32 v69, 28, v42
	v_sub_nc_u32_e32 v42, 29, v42
	v_lshlrev_b64 v[71:72], v69, v[31:32]
	s_delay_alu instid0(VALU_DEP_1)
	v_and_b32_e32 v31, 7, v71
; %bb.125:                              ;   in Loop: Header=BB212_13 Depth=1
	s_or_b32 exec_lo, exec_lo, s52
	v_lshlrev_b32_e32 v41, 24, v41
	s_delay_alu instid0(VALU_DEP_2) | instskip(SKIP_1) | instid1(VALU_DEP_3)
	v_lshlrev_b32_e32 v31, 20, v31
	v_lshl_add_u32 v42, v42, 23, 0x3c000000
	v_and_b32_e32 v41, 0x80000000, v41
	s_delay_alu instid0(VALU_DEP_1)
	v_or3_b32 v69, v31, v41, v42
.LBB212_126:                            ;   in Loop: Header=BB212_13 Depth=1
	s_or_b32 exec_lo, exec_lo, s51
.LBB212_127:                            ;   in Loop: Header=BB212_13 Depth=1
	s_delay_alu instid0(SALU_CYCLE_1)
	s_or_b32 exec_lo, exec_lo, s50
.LBB212_128:                            ;   in Loop: Header=BB212_13 Depth=1
	s_delay_alu instid0(SALU_CYCLE_1) | instskip(SKIP_1) | instid1(VALU_DEP_1)
	s_or_b32 exec_lo, exec_lo, s49
	v_add_co_u32 v41, s1, 0x180, v39
	v_add_co_ci_u32_e64 v42, s1, 0, v40, s1
	v_dual_mov_b32 v71, 0 :: v_dual_mov_b32 v72, 0
	s_mov_b32 s49, exec_lo
	global_load_u8 v73, v[41:42], off offset:8
	s_waitcnt vmcnt(0)
	v_cmpx_ne_u16_e32 0, v73
	s_cbranch_execz .LBB212_136
; %bb.129:                              ;   in Loop: Header=BB212_13 Depth=1
	v_bfrev_b32_e32 v72, 1
	s_mov_b32 s50, exec_lo
	v_cmpx_ne_u16_e32 0x80, v73
	s_cbranch_execz .LBB212_135
; %bb.130:                              ;   in Loop: Header=BB212_13 Depth=1
	v_and_b32_e32 v31, 0xffff, v73
	v_mov_b32_e32 v72, 0x7f800001
	s_mov_b32 s51, exec_lo
	s_delay_alu instid0(VALU_DEP_2) | instskip(NEXT) | instid1(VALU_DEP_1)
	v_and_b32_e32 v74, 0x7f, v31
	v_cmpx_ne_u32_e32 0x7f, v74
	s_cbranch_execz .LBB212_134
; %bb.131:                              ;   in Loop: Header=BB212_13 Depth=1
	v_and_b32_e32 v31, 7, v31
	v_lshrrev_b32_e32 v72, 3, v74
	s_mov_b32 s52, exec_lo
	v_cmpx_gt_u32_e32 8, v74
; %bb.132:                              ;   in Loop: Header=BB212_13 Depth=1
	s_delay_alu instid0(VALU_DEP_3) | instskip(NEXT) | instid1(VALU_DEP_1)
	v_clz_i32_u32_e32 v72, v31
	v_min_u32_e32 v72, 32, v72
	s_delay_alu instid0(VALU_DEP_1) | instskip(SKIP_1) | instid1(VALU_DEP_2)
	v_subrev_nc_u32_e32 v74, 28, v72
	v_sub_nc_u32_e32 v72, 29, v72
	v_lshlrev_b64 v[74:75], v74, v[31:32]
	s_delay_alu instid0(VALU_DEP_1)
	v_and_b32_e32 v31, 7, v74
; %bb.133:                              ;   in Loop: Header=BB212_13 Depth=1
	s_or_b32 exec_lo, exec_lo, s52
	v_lshlrev_b32_e32 v73, 24, v73
	s_delay_alu instid0(VALU_DEP_2) | instskip(SKIP_1) | instid1(VALU_DEP_3)
	v_lshlrev_b32_e32 v31, 20, v31
	v_lshl_add_u32 v72, v72, 23, 0x3c000000
	v_and_b32_e32 v73, 0x80000000, v73
	s_delay_alu instid0(VALU_DEP_1)
	v_or3_b32 v72, v31, v73, v72
.LBB212_134:                            ;   in Loop: Header=BB212_13 Depth=1
	s_or_b32 exec_lo, exec_lo, s51
.LBB212_135:                            ;   in Loop: Header=BB212_13 Depth=1
	s_delay_alu instid0(SALU_CYCLE_1)
	s_or_b32 exec_lo, exec_lo, s50
.LBB212_136:                            ;   in Loop: Header=BB212_13 Depth=1
	s_delay_alu instid0(SALU_CYCLE_1)
	s_or_b32 exec_lo, exec_lo, s49
	global_load_u8 v41, v[41:42], off offset:12
	s_mov_b32 s49, exec_lo
	s_waitcnt vmcnt(0)
	v_cmpx_ne_u16_e32 0, v41
	s_cbranch_execz .LBB212_144
; %bb.137:                              ;   in Loop: Header=BB212_13 Depth=1
	v_bfrev_b32_e32 v71, 1
	s_mov_b32 s50, exec_lo
	v_cmpx_ne_u16_e32 0x80, v41
	s_cbranch_execz .LBB212_143
; %bb.138:                              ;   in Loop: Header=BB212_13 Depth=1
	v_and_b32_e32 v31, 0xffff, v41
	v_mov_b32_e32 v71, 0x7f800001
	s_mov_b32 s51, exec_lo
	s_delay_alu instid0(VALU_DEP_2) | instskip(NEXT) | instid1(VALU_DEP_1)
	v_and_b32_e32 v73, 0x7f, v31
	v_cmpx_ne_u32_e32 0x7f, v73
	s_cbranch_execz .LBB212_142
; %bb.139:                              ;   in Loop: Header=BB212_13 Depth=1
	v_and_b32_e32 v31, 7, v31
	v_lshrrev_b32_e32 v42, 3, v73
	s_mov_b32 s52, exec_lo
	v_cmpx_gt_u32_e32 8, v73
; %bb.140:                              ;   in Loop: Header=BB212_13 Depth=1
	s_delay_alu instid0(VALU_DEP_3) | instskip(NEXT) | instid1(VALU_DEP_1)
	v_clz_i32_u32_e32 v42, v31
	v_min_u32_e32 v42, 32, v42
	s_delay_alu instid0(VALU_DEP_1) | instskip(SKIP_1) | instid1(VALU_DEP_2)
	v_subrev_nc_u32_e32 v71, 28, v42
	v_sub_nc_u32_e32 v42, 29, v42
	v_lshlrev_b64 v[73:74], v71, v[31:32]
	s_delay_alu instid0(VALU_DEP_1)
	v_and_b32_e32 v31, 7, v73
; %bb.141:                              ;   in Loop: Header=BB212_13 Depth=1
	s_or_b32 exec_lo, exec_lo, s52
	v_lshlrev_b32_e32 v41, 24, v41
	s_delay_alu instid0(VALU_DEP_2) | instskip(SKIP_1) | instid1(VALU_DEP_3)
	v_lshlrev_b32_e32 v31, 20, v31
	v_lshl_add_u32 v42, v42, 23, 0x3c000000
	v_and_b32_e32 v41, 0x80000000, v41
	s_delay_alu instid0(VALU_DEP_1)
	v_or3_b32 v71, v31, v41, v42
.LBB212_142:                            ;   in Loop: Header=BB212_13 Depth=1
	s_or_b32 exec_lo, exec_lo, s51
.LBB212_143:                            ;   in Loop: Header=BB212_13 Depth=1
	s_delay_alu instid0(SALU_CYCLE_1)
	s_or_b32 exec_lo, exec_lo, s50
.LBB212_144:                            ;   in Loop: Header=BB212_13 Depth=1
	s_delay_alu instid0(SALU_CYCLE_1)
	s_or_b32 exec_lo, exec_lo, s49
	global_load_u8 v41, v[39:40], off offset:512
	v_dual_mov_b32 v73, 0 :: v_dual_mov_b32 v74, 0
	s_mov_b32 s49, exec_lo
	s_waitcnt vmcnt(0)
	v_cmpx_ne_u16_e32 0, v41
	s_cbranch_execz .LBB212_152
; %bb.145:                              ;   in Loop: Header=BB212_13 Depth=1
	v_bfrev_b32_e32 v74, 1
	s_mov_b32 s50, exec_lo
	v_cmpx_ne_u16_e32 0x80, v41
	s_cbranch_execz .LBB212_151
; %bb.146:                              ;   in Loop: Header=BB212_13 Depth=1
	v_and_b32_e32 v31, 0xffff, v41
	v_mov_b32_e32 v74, 0x7f800001
	s_mov_b32 s51, exec_lo
	s_delay_alu instid0(VALU_DEP_2) | instskip(NEXT) | instid1(VALU_DEP_1)
	v_and_b32_e32 v75, 0x7f, v31
	v_cmpx_ne_u32_e32 0x7f, v75
	s_cbranch_execz .LBB212_150
; %bb.147:                              ;   in Loop: Header=BB212_13 Depth=1
	v_and_b32_e32 v31, 7, v31
	v_lshrrev_b32_e32 v42, 3, v75
	s_mov_b32 s52, exec_lo
	v_cmpx_gt_u32_e32 8, v75
; %bb.148:                              ;   in Loop: Header=BB212_13 Depth=1
	s_delay_alu instid0(VALU_DEP_3) | instskip(NEXT) | instid1(VALU_DEP_1)
	v_clz_i32_u32_e32 v42, v31
	v_min_u32_e32 v42, 32, v42
	s_delay_alu instid0(VALU_DEP_1) | instskip(SKIP_1) | instid1(VALU_DEP_2)
	v_subrev_nc_u32_e32 v74, 28, v42
	v_sub_nc_u32_e32 v42, 29, v42
	v_lshlrev_b64 v[74:75], v74, v[31:32]
	s_delay_alu instid0(VALU_DEP_1)
	v_and_b32_e32 v31, 7, v74
; %bb.149:                              ;   in Loop: Header=BB212_13 Depth=1
	s_or_b32 exec_lo, exec_lo, s52
	v_lshlrev_b32_e32 v41, 24, v41
	s_delay_alu instid0(VALU_DEP_2) | instskip(SKIP_1) | instid1(VALU_DEP_3)
	v_lshlrev_b32_e32 v31, 20, v31
	v_lshl_add_u32 v42, v42, 23, 0x3c000000
	v_and_b32_e32 v41, 0x80000000, v41
	s_delay_alu instid0(VALU_DEP_1)
	v_or3_b32 v74, v31, v41, v42
.LBB212_150:                            ;   in Loop: Header=BB212_13 Depth=1
	s_or_b32 exec_lo, exec_lo, s51
.LBB212_151:                            ;   in Loop: Header=BB212_13 Depth=1
	s_delay_alu instid0(SALU_CYCLE_1)
	s_or_b32 exec_lo, exec_lo, s50
.LBB212_152:                            ;   in Loop: Header=BB212_13 Depth=1
	s_delay_alu instid0(SALU_CYCLE_1)
	s_or_b32 exec_lo, exec_lo, s49
	global_load_u8 v41, v[39:40], off offset:516
	s_mov_b32 s49, exec_lo
	s_waitcnt vmcnt(0)
	v_cmpx_ne_u16_e32 0, v41
	s_cbranch_execz .LBB212_160
; %bb.153:                              ;   in Loop: Header=BB212_13 Depth=1
	v_bfrev_b32_e32 v73, 1
	s_mov_b32 s50, exec_lo
	v_cmpx_ne_u16_e32 0x80, v41
	s_cbranch_execz .LBB212_159
; %bb.154:                              ;   in Loop: Header=BB212_13 Depth=1
	v_and_b32_e32 v31, 0xffff, v41
	v_mov_b32_e32 v73, 0x7f800001
	s_mov_b32 s51, exec_lo
	s_delay_alu instid0(VALU_DEP_2) | instskip(NEXT) | instid1(VALU_DEP_1)
	v_and_b32_e32 v75, 0x7f, v31
	v_cmpx_ne_u32_e32 0x7f, v75
	s_cbranch_execz .LBB212_158
; %bb.155:                              ;   in Loop: Header=BB212_13 Depth=1
	v_and_b32_e32 v31, 7, v31
	v_lshrrev_b32_e32 v42, 3, v75
	s_mov_b32 s52, exec_lo
	v_cmpx_gt_u32_e32 8, v75
; %bb.156:                              ;   in Loop: Header=BB212_13 Depth=1
	s_delay_alu instid0(VALU_DEP_3) | instskip(NEXT) | instid1(VALU_DEP_1)
	v_clz_i32_u32_e32 v42, v31
	v_min_u32_e32 v42, 32, v42
	s_delay_alu instid0(VALU_DEP_1) | instskip(SKIP_1) | instid1(VALU_DEP_2)
	v_subrev_nc_u32_e32 v73, 28, v42
	v_sub_nc_u32_e32 v42, 29, v42
	v_lshlrev_b64 v[75:76], v73, v[31:32]
	s_delay_alu instid0(VALU_DEP_1)
	v_and_b32_e32 v31, 7, v75
; %bb.157:                              ;   in Loop: Header=BB212_13 Depth=1
	s_or_b32 exec_lo, exec_lo, s52
	v_lshlrev_b32_e32 v41, 24, v41
	s_delay_alu instid0(VALU_DEP_2) | instskip(SKIP_1) | instid1(VALU_DEP_3)
	v_lshlrev_b32_e32 v31, 20, v31
	v_lshl_add_u32 v42, v42, 23, 0x3c000000
	v_and_b32_e32 v41, 0x80000000, v41
	s_delay_alu instid0(VALU_DEP_1)
	v_or3_b32 v73, v31, v41, v42
.LBB212_158:                            ;   in Loop: Header=BB212_13 Depth=1
	s_or_b32 exec_lo, exec_lo, s51
.LBB212_159:                            ;   in Loop: Header=BB212_13 Depth=1
	s_delay_alu instid0(SALU_CYCLE_1)
	s_or_b32 exec_lo, exec_lo, s50
.LBB212_160:                            ;   in Loop: Header=BB212_13 Depth=1
	s_delay_alu instid0(SALU_CYCLE_1) | instskip(SKIP_1) | instid1(VALU_DEP_1)
	s_or_b32 exec_lo, exec_lo, s49
	v_add_co_u32 v41, s1, 0x200, v39
	v_add_co_ci_u32_e64 v42, s1, 0, v40, s1
	v_dual_mov_b32 v75, 0 :: v_dual_mov_b32 v76, 0
	s_mov_b32 s49, exec_lo
	global_load_u8 v77, v[41:42], off offset:8
	s_waitcnt vmcnt(0)
	v_cmpx_ne_u16_e32 0, v77
	s_cbranch_execz .LBB212_168
; %bb.161:                              ;   in Loop: Header=BB212_13 Depth=1
	v_bfrev_b32_e32 v76, 1
	s_mov_b32 s50, exec_lo
	v_cmpx_ne_u16_e32 0x80, v77
	s_cbranch_execz .LBB212_167
; %bb.162:                              ;   in Loop: Header=BB212_13 Depth=1
	v_and_b32_e32 v31, 0xffff, v77
	v_mov_b32_e32 v76, 0x7f800001
	s_mov_b32 s51, exec_lo
	s_delay_alu instid0(VALU_DEP_2) | instskip(NEXT) | instid1(VALU_DEP_1)
	v_and_b32_e32 v78, 0x7f, v31
	v_cmpx_ne_u32_e32 0x7f, v78
	s_cbranch_execz .LBB212_166
; %bb.163:                              ;   in Loop: Header=BB212_13 Depth=1
	v_and_b32_e32 v31, 7, v31
	v_lshrrev_b32_e32 v76, 3, v78
	s_mov_b32 s52, exec_lo
	v_cmpx_gt_u32_e32 8, v78
; %bb.164:                              ;   in Loop: Header=BB212_13 Depth=1
	s_delay_alu instid0(VALU_DEP_3) | instskip(NEXT) | instid1(VALU_DEP_1)
	v_clz_i32_u32_e32 v76, v31
	v_min_u32_e32 v76, 32, v76
	s_delay_alu instid0(VALU_DEP_1) | instskip(SKIP_1) | instid1(VALU_DEP_2)
	v_subrev_nc_u32_e32 v78, 28, v76
	v_sub_nc_u32_e32 v76, 29, v76
	v_lshlrev_b64 v[78:79], v78, v[31:32]
	s_delay_alu instid0(VALU_DEP_1)
	v_and_b32_e32 v31, 7, v78
; %bb.165:                              ;   in Loop: Header=BB212_13 Depth=1
	s_or_b32 exec_lo, exec_lo, s52
	v_lshlrev_b32_e32 v77, 24, v77
	s_delay_alu instid0(VALU_DEP_2) | instskip(SKIP_1) | instid1(VALU_DEP_3)
	v_lshlrev_b32_e32 v31, 20, v31
	v_lshl_add_u32 v76, v76, 23, 0x3c000000
	v_and_b32_e32 v77, 0x80000000, v77
	s_delay_alu instid0(VALU_DEP_1)
	v_or3_b32 v76, v31, v77, v76
.LBB212_166:                            ;   in Loop: Header=BB212_13 Depth=1
	s_or_b32 exec_lo, exec_lo, s51
.LBB212_167:                            ;   in Loop: Header=BB212_13 Depth=1
	s_delay_alu instid0(SALU_CYCLE_1)
	s_or_b32 exec_lo, exec_lo, s50
.LBB212_168:                            ;   in Loop: Header=BB212_13 Depth=1
	s_delay_alu instid0(SALU_CYCLE_1)
	s_or_b32 exec_lo, exec_lo, s49
	global_load_u8 v41, v[41:42], off offset:12
	s_mov_b32 s49, exec_lo
	s_waitcnt vmcnt(0)
	v_cmpx_ne_u16_e32 0, v41
	s_cbranch_execz .LBB212_176
; %bb.169:                              ;   in Loop: Header=BB212_13 Depth=1
	v_bfrev_b32_e32 v75, 1
	s_mov_b32 s50, exec_lo
	v_cmpx_ne_u16_e32 0x80, v41
	s_cbranch_execz .LBB212_175
; %bb.170:                              ;   in Loop: Header=BB212_13 Depth=1
	v_and_b32_e32 v31, 0xffff, v41
	v_mov_b32_e32 v75, 0x7f800001
	s_mov_b32 s51, exec_lo
	s_delay_alu instid0(VALU_DEP_2) | instskip(NEXT) | instid1(VALU_DEP_1)
	v_and_b32_e32 v77, 0x7f, v31
	v_cmpx_ne_u32_e32 0x7f, v77
	s_cbranch_execz .LBB212_174
; %bb.171:                              ;   in Loop: Header=BB212_13 Depth=1
	v_and_b32_e32 v31, 7, v31
	v_lshrrev_b32_e32 v42, 3, v77
	s_mov_b32 s52, exec_lo
	v_cmpx_gt_u32_e32 8, v77
; %bb.172:                              ;   in Loop: Header=BB212_13 Depth=1
	s_delay_alu instid0(VALU_DEP_3) | instskip(NEXT) | instid1(VALU_DEP_1)
	v_clz_i32_u32_e32 v42, v31
	v_min_u32_e32 v42, 32, v42
	s_delay_alu instid0(VALU_DEP_1) | instskip(SKIP_1) | instid1(VALU_DEP_2)
	v_subrev_nc_u32_e32 v75, 28, v42
	v_sub_nc_u32_e32 v42, 29, v42
	v_lshlrev_b64 v[77:78], v75, v[31:32]
	s_delay_alu instid0(VALU_DEP_1)
	v_and_b32_e32 v31, 7, v77
; %bb.173:                              ;   in Loop: Header=BB212_13 Depth=1
	s_or_b32 exec_lo, exec_lo, s52
	v_lshlrev_b32_e32 v41, 24, v41
	s_delay_alu instid0(VALU_DEP_2) | instskip(SKIP_1) | instid1(VALU_DEP_3)
	v_lshlrev_b32_e32 v31, 20, v31
	v_lshl_add_u32 v42, v42, 23, 0x3c000000
	v_and_b32_e32 v41, 0x80000000, v41
	s_delay_alu instid0(VALU_DEP_1)
	v_or3_b32 v75, v31, v41, v42
.LBB212_174:                            ;   in Loop: Header=BB212_13 Depth=1
	s_or_b32 exec_lo, exec_lo, s51
.LBB212_175:                            ;   in Loop: Header=BB212_13 Depth=1
	s_delay_alu instid0(SALU_CYCLE_1)
	s_or_b32 exec_lo, exec_lo, s50
.LBB212_176:                            ;   in Loop: Header=BB212_13 Depth=1
	s_delay_alu instid0(SALU_CYCLE_1)
	s_or_b32 exec_lo, exec_lo, s49
	global_load_u8 v41, v[39:40], off offset:640
	v_dual_mov_b32 v77, 0 :: v_dual_mov_b32 v78, 0
	s_mov_b32 s49, exec_lo
	s_waitcnt vmcnt(0)
	v_cmpx_ne_u16_e32 0, v41
	s_cbranch_execz .LBB212_184
; %bb.177:                              ;   in Loop: Header=BB212_13 Depth=1
	v_bfrev_b32_e32 v78, 1
	s_mov_b32 s50, exec_lo
	v_cmpx_ne_u16_e32 0x80, v41
	s_cbranch_execz .LBB212_183
; %bb.178:                              ;   in Loop: Header=BB212_13 Depth=1
	v_and_b32_e32 v31, 0xffff, v41
	v_mov_b32_e32 v78, 0x7f800001
	s_mov_b32 s51, exec_lo
	s_delay_alu instid0(VALU_DEP_2) | instskip(NEXT) | instid1(VALU_DEP_1)
	v_and_b32_e32 v79, 0x7f, v31
	v_cmpx_ne_u32_e32 0x7f, v79
	s_cbranch_execz .LBB212_182
; %bb.179:                              ;   in Loop: Header=BB212_13 Depth=1
	v_and_b32_e32 v31, 7, v31
	v_lshrrev_b32_e32 v42, 3, v79
	s_mov_b32 s52, exec_lo
	v_cmpx_gt_u32_e32 8, v79
; %bb.180:                              ;   in Loop: Header=BB212_13 Depth=1
	s_delay_alu instid0(VALU_DEP_3) | instskip(NEXT) | instid1(VALU_DEP_1)
	v_clz_i32_u32_e32 v42, v31
	v_min_u32_e32 v42, 32, v42
	s_delay_alu instid0(VALU_DEP_1) | instskip(SKIP_1) | instid1(VALU_DEP_2)
	v_subrev_nc_u32_e32 v78, 28, v42
	v_sub_nc_u32_e32 v42, 29, v42
	v_lshlrev_b64 v[78:79], v78, v[31:32]
	s_delay_alu instid0(VALU_DEP_1)
	v_and_b32_e32 v31, 7, v78
; %bb.181:                              ;   in Loop: Header=BB212_13 Depth=1
	s_or_b32 exec_lo, exec_lo, s52
	v_lshlrev_b32_e32 v41, 24, v41
	s_delay_alu instid0(VALU_DEP_2) | instskip(SKIP_1) | instid1(VALU_DEP_3)
	v_lshlrev_b32_e32 v31, 20, v31
	v_lshl_add_u32 v42, v42, 23, 0x3c000000
	v_and_b32_e32 v41, 0x80000000, v41
	s_delay_alu instid0(VALU_DEP_1)
	v_or3_b32 v78, v31, v41, v42
.LBB212_182:                            ;   in Loop: Header=BB212_13 Depth=1
	s_or_b32 exec_lo, exec_lo, s51
.LBB212_183:                            ;   in Loop: Header=BB212_13 Depth=1
	s_delay_alu instid0(SALU_CYCLE_1)
	s_or_b32 exec_lo, exec_lo, s50
.LBB212_184:                            ;   in Loop: Header=BB212_13 Depth=1
	s_delay_alu instid0(SALU_CYCLE_1)
	s_or_b32 exec_lo, exec_lo, s49
	global_load_u8 v41, v[39:40], off offset:644
	s_mov_b32 s49, exec_lo
	s_waitcnt vmcnt(0)
	v_cmpx_ne_u16_e32 0, v41
	s_cbranch_execz .LBB212_192
; %bb.185:                              ;   in Loop: Header=BB212_13 Depth=1
	v_bfrev_b32_e32 v77, 1
	s_mov_b32 s50, exec_lo
	v_cmpx_ne_u16_e32 0x80, v41
	s_cbranch_execz .LBB212_191
; %bb.186:                              ;   in Loop: Header=BB212_13 Depth=1
	v_and_b32_e32 v31, 0xffff, v41
	v_mov_b32_e32 v77, 0x7f800001
	s_mov_b32 s51, exec_lo
	s_delay_alu instid0(VALU_DEP_2) | instskip(NEXT) | instid1(VALU_DEP_1)
	v_and_b32_e32 v79, 0x7f, v31
	v_cmpx_ne_u32_e32 0x7f, v79
	s_cbranch_execz .LBB212_190
; %bb.187:                              ;   in Loop: Header=BB212_13 Depth=1
	v_and_b32_e32 v31, 7, v31
	v_lshrrev_b32_e32 v42, 3, v79
	s_mov_b32 s52, exec_lo
	v_cmpx_gt_u32_e32 8, v79
; %bb.188:                              ;   in Loop: Header=BB212_13 Depth=1
	s_delay_alu instid0(VALU_DEP_3) | instskip(NEXT) | instid1(VALU_DEP_1)
	v_clz_i32_u32_e32 v42, v31
	v_min_u32_e32 v42, 32, v42
	s_delay_alu instid0(VALU_DEP_1) | instskip(SKIP_1) | instid1(VALU_DEP_2)
	v_subrev_nc_u32_e32 v77, 28, v42
	v_sub_nc_u32_e32 v42, 29, v42
	v_lshlrev_b64 v[79:80], v77, v[31:32]
	s_delay_alu instid0(VALU_DEP_1)
	v_and_b32_e32 v31, 7, v79
; %bb.189:                              ;   in Loop: Header=BB212_13 Depth=1
	s_or_b32 exec_lo, exec_lo, s52
	v_lshlrev_b32_e32 v41, 24, v41
	s_delay_alu instid0(VALU_DEP_2) | instskip(SKIP_1) | instid1(VALU_DEP_3)
	v_lshlrev_b32_e32 v31, 20, v31
	v_lshl_add_u32 v42, v42, 23, 0x3c000000
	v_and_b32_e32 v41, 0x80000000, v41
	s_delay_alu instid0(VALU_DEP_1)
	v_or3_b32 v77, v31, v41, v42
.LBB212_190:                            ;   in Loop: Header=BB212_13 Depth=1
	s_or_b32 exec_lo, exec_lo, s51
.LBB212_191:                            ;   in Loop: Header=BB212_13 Depth=1
	s_delay_alu instid0(SALU_CYCLE_1)
	s_or_b32 exec_lo, exec_lo, s50
.LBB212_192:                            ;   in Loop: Header=BB212_13 Depth=1
	s_delay_alu instid0(SALU_CYCLE_1) | instskip(SKIP_1) | instid1(VALU_DEP_1)
	s_or_b32 exec_lo, exec_lo, s49
	v_add_co_u32 v41, s1, 0x280, v39
	v_add_co_ci_u32_e64 v42, s1, 0, v40, s1
	v_dual_mov_b32 v79, 0 :: v_dual_mov_b32 v80, 0
	s_mov_b32 s49, exec_lo
	global_load_u8 v81, v[41:42], off offset:8
	s_waitcnt vmcnt(0)
	v_cmpx_ne_u16_e32 0, v81
	s_cbranch_execz .LBB212_200
; %bb.193:                              ;   in Loop: Header=BB212_13 Depth=1
	v_bfrev_b32_e32 v80, 1
	s_mov_b32 s50, exec_lo
	v_cmpx_ne_u16_e32 0x80, v81
	s_cbranch_execz .LBB212_199
; %bb.194:                              ;   in Loop: Header=BB212_13 Depth=1
	v_and_b32_e32 v31, 0xffff, v81
	v_mov_b32_e32 v80, 0x7f800001
	s_mov_b32 s51, exec_lo
	s_delay_alu instid0(VALU_DEP_2) | instskip(NEXT) | instid1(VALU_DEP_1)
	v_and_b32_e32 v82, 0x7f, v31
	v_cmpx_ne_u32_e32 0x7f, v82
	s_cbranch_execz .LBB212_198
; %bb.195:                              ;   in Loop: Header=BB212_13 Depth=1
	v_and_b32_e32 v31, 7, v31
	v_lshrrev_b32_e32 v80, 3, v82
	s_mov_b32 s52, exec_lo
	v_cmpx_gt_u32_e32 8, v82
; %bb.196:                              ;   in Loop: Header=BB212_13 Depth=1
	s_delay_alu instid0(VALU_DEP_3) | instskip(NEXT) | instid1(VALU_DEP_1)
	v_clz_i32_u32_e32 v80, v31
	v_min_u32_e32 v80, 32, v80
	s_delay_alu instid0(VALU_DEP_1) | instskip(SKIP_1) | instid1(VALU_DEP_2)
	v_subrev_nc_u32_e32 v82, 28, v80
	v_sub_nc_u32_e32 v80, 29, v80
	v_lshlrev_b64 v[82:83], v82, v[31:32]
	s_delay_alu instid0(VALU_DEP_1)
	v_and_b32_e32 v31, 7, v82
; %bb.197:                              ;   in Loop: Header=BB212_13 Depth=1
	s_or_b32 exec_lo, exec_lo, s52
	v_lshlrev_b32_e32 v81, 24, v81
	s_delay_alu instid0(VALU_DEP_2) | instskip(SKIP_1) | instid1(VALU_DEP_3)
	v_lshlrev_b32_e32 v31, 20, v31
	v_lshl_add_u32 v80, v80, 23, 0x3c000000
	v_and_b32_e32 v81, 0x80000000, v81
	s_delay_alu instid0(VALU_DEP_1)
	v_or3_b32 v80, v31, v81, v80
.LBB212_198:                            ;   in Loop: Header=BB212_13 Depth=1
	s_or_b32 exec_lo, exec_lo, s51
.LBB212_199:                            ;   in Loop: Header=BB212_13 Depth=1
	s_delay_alu instid0(SALU_CYCLE_1)
	s_or_b32 exec_lo, exec_lo, s50
.LBB212_200:                            ;   in Loop: Header=BB212_13 Depth=1
	s_delay_alu instid0(SALU_CYCLE_1)
	s_or_b32 exec_lo, exec_lo, s49
	global_load_u8 v41, v[41:42], off offset:12
	s_mov_b32 s49, exec_lo
	s_waitcnt vmcnt(0)
	v_cmpx_ne_u16_e32 0, v41
	s_cbranch_execz .LBB212_208
; %bb.201:                              ;   in Loop: Header=BB212_13 Depth=1
	v_bfrev_b32_e32 v79, 1
	s_mov_b32 s50, exec_lo
	v_cmpx_ne_u16_e32 0x80, v41
	s_cbranch_execz .LBB212_207
; %bb.202:                              ;   in Loop: Header=BB212_13 Depth=1
	v_and_b32_e32 v31, 0xffff, v41
	v_mov_b32_e32 v79, 0x7f800001
	s_mov_b32 s51, exec_lo
	s_delay_alu instid0(VALU_DEP_2) | instskip(NEXT) | instid1(VALU_DEP_1)
	v_and_b32_e32 v81, 0x7f, v31
	v_cmpx_ne_u32_e32 0x7f, v81
	s_cbranch_execz .LBB212_206
; %bb.203:                              ;   in Loop: Header=BB212_13 Depth=1
	v_and_b32_e32 v31, 7, v31
	v_lshrrev_b32_e32 v42, 3, v81
	s_mov_b32 s52, exec_lo
	v_cmpx_gt_u32_e32 8, v81
; %bb.204:                              ;   in Loop: Header=BB212_13 Depth=1
	s_delay_alu instid0(VALU_DEP_3) | instskip(NEXT) | instid1(VALU_DEP_1)
	v_clz_i32_u32_e32 v42, v31
	v_min_u32_e32 v42, 32, v42
	s_delay_alu instid0(VALU_DEP_1) | instskip(SKIP_1) | instid1(VALU_DEP_2)
	v_subrev_nc_u32_e32 v79, 28, v42
	v_sub_nc_u32_e32 v42, 29, v42
	v_lshlrev_b64 v[81:82], v79, v[31:32]
	s_delay_alu instid0(VALU_DEP_1)
	v_and_b32_e32 v31, 7, v81
; %bb.205:                              ;   in Loop: Header=BB212_13 Depth=1
	s_or_b32 exec_lo, exec_lo, s52
	v_lshlrev_b32_e32 v41, 24, v41
	s_delay_alu instid0(VALU_DEP_2) | instskip(SKIP_1) | instid1(VALU_DEP_3)
	v_lshlrev_b32_e32 v31, 20, v31
	v_lshl_add_u32 v42, v42, 23, 0x3c000000
	v_and_b32_e32 v41, 0x80000000, v41
	s_delay_alu instid0(VALU_DEP_1)
	v_or3_b32 v79, v31, v41, v42
.LBB212_206:                            ;   in Loop: Header=BB212_13 Depth=1
	s_or_b32 exec_lo, exec_lo, s51
.LBB212_207:                            ;   in Loop: Header=BB212_13 Depth=1
	s_delay_alu instid0(SALU_CYCLE_1)
	s_or_b32 exec_lo, exec_lo, s50
.LBB212_208:                            ;   in Loop: Header=BB212_13 Depth=1
	s_delay_alu instid0(SALU_CYCLE_1)
	s_or_b32 exec_lo, exec_lo, s49
	global_load_u8 v41, v[39:40], off offset:768
	v_dual_mov_b32 v81, 0 :: v_dual_mov_b32 v82, 0
	s_mov_b32 s49, exec_lo
	s_waitcnt vmcnt(0)
	v_cmpx_ne_u16_e32 0, v41
	s_cbranch_execz .LBB212_216
; %bb.209:                              ;   in Loop: Header=BB212_13 Depth=1
	v_bfrev_b32_e32 v82, 1
	s_mov_b32 s50, exec_lo
	v_cmpx_ne_u16_e32 0x80, v41
	s_cbranch_execz .LBB212_215
; %bb.210:                              ;   in Loop: Header=BB212_13 Depth=1
	v_and_b32_e32 v31, 0xffff, v41
	v_mov_b32_e32 v82, 0x7f800001
	s_mov_b32 s51, exec_lo
	s_delay_alu instid0(VALU_DEP_2) | instskip(NEXT) | instid1(VALU_DEP_1)
	v_and_b32_e32 v83, 0x7f, v31
	v_cmpx_ne_u32_e32 0x7f, v83
	s_cbranch_execz .LBB212_214
; %bb.211:                              ;   in Loop: Header=BB212_13 Depth=1
	v_and_b32_e32 v31, 7, v31
	v_lshrrev_b32_e32 v42, 3, v83
	s_mov_b32 s52, exec_lo
	v_cmpx_gt_u32_e32 8, v83
; %bb.212:                              ;   in Loop: Header=BB212_13 Depth=1
	s_delay_alu instid0(VALU_DEP_3) | instskip(NEXT) | instid1(VALU_DEP_1)
	v_clz_i32_u32_e32 v42, v31
	v_min_u32_e32 v42, 32, v42
	s_delay_alu instid0(VALU_DEP_1) | instskip(SKIP_1) | instid1(VALU_DEP_2)
	v_subrev_nc_u32_e32 v82, 28, v42
	v_sub_nc_u32_e32 v42, 29, v42
	v_lshlrev_b64 v[82:83], v82, v[31:32]
	s_delay_alu instid0(VALU_DEP_1)
	v_and_b32_e32 v31, 7, v82
; %bb.213:                              ;   in Loop: Header=BB212_13 Depth=1
	s_or_b32 exec_lo, exec_lo, s52
	v_lshlrev_b32_e32 v41, 24, v41
	s_delay_alu instid0(VALU_DEP_2) | instskip(SKIP_1) | instid1(VALU_DEP_3)
	v_lshlrev_b32_e32 v31, 20, v31
	v_lshl_add_u32 v42, v42, 23, 0x3c000000
	v_and_b32_e32 v41, 0x80000000, v41
	s_delay_alu instid0(VALU_DEP_1)
	v_or3_b32 v82, v31, v41, v42
.LBB212_214:                            ;   in Loop: Header=BB212_13 Depth=1
	s_or_b32 exec_lo, exec_lo, s51
.LBB212_215:                            ;   in Loop: Header=BB212_13 Depth=1
	s_delay_alu instid0(SALU_CYCLE_1)
	s_or_b32 exec_lo, exec_lo, s50
.LBB212_216:                            ;   in Loop: Header=BB212_13 Depth=1
	s_delay_alu instid0(SALU_CYCLE_1)
	s_or_b32 exec_lo, exec_lo, s49
	global_load_u8 v41, v[39:40], off offset:772
	s_mov_b32 s49, exec_lo
	s_waitcnt vmcnt(0)
	v_cmpx_ne_u16_e32 0, v41
	s_cbranch_execz .LBB212_224
; %bb.217:                              ;   in Loop: Header=BB212_13 Depth=1
	v_bfrev_b32_e32 v81, 1
	s_mov_b32 s50, exec_lo
	v_cmpx_ne_u16_e32 0x80, v41
	s_cbranch_execz .LBB212_223
; %bb.218:                              ;   in Loop: Header=BB212_13 Depth=1
	v_and_b32_e32 v31, 0xffff, v41
	v_mov_b32_e32 v81, 0x7f800001
	s_mov_b32 s51, exec_lo
	s_delay_alu instid0(VALU_DEP_2) | instskip(NEXT) | instid1(VALU_DEP_1)
	v_and_b32_e32 v83, 0x7f, v31
	v_cmpx_ne_u32_e32 0x7f, v83
	s_cbranch_execz .LBB212_222
; %bb.219:                              ;   in Loop: Header=BB212_13 Depth=1
	v_and_b32_e32 v31, 7, v31
	v_lshrrev_b32_e32 v42, 3, v83
	s_mov_b32 s52, exec_lo
	v_cmpx_gt_u32_e32 8, v83
; %bb.220:                              ;   in Loop: Header=BB212_13 Depth=1
	s_delay_alu instid0(VALU_DEP_3) | instskip(NEXT) | instid1(VALU_DEP_1)
	v_clz_i32_u32_e32 v42, v31
	v_min_u32_e32 v42, 32, v42
	s_delay_alu instid0(VALU_DEP_1) | instskip(SKIP_1) | instid1(VALU_DEP_2)
	v_subrev_nc_u32_e32 v81, 28, v42
	v_sub_nc_u32_e32 v42, 29, v42
	v_lshlrev_b64 v[83:84], v81, v[31:32]
	s_delay_alu instid0(VALU_DEP_1)
	v_and_b32_e32 v31, 7, v83
; %bb.221:                              ;   in Loop: Header=BB212_13 Depth=1
	s_or_b32 exec_lo, exec_lo, s52
	v_lshlrev_b32_e32 v41, 24, v41
	s_delay_alu instid0(VALU_DEP_2) | instskip(SKIP_1) | instid1(VALU_DEP_3)
	v_lshlrev_b32_e32 v31, 20, v31
	v_lshl_add_u32 v42, v42, 23, 0x3c000000
	v_and_b32_e32 v41, 0x80000000, v41
	s_delay_alu instid0(VALU_DEP_1)
	v_or3_b32 v81, v31, v41, v42
.LBB212_222:                            ;   in Loop: Header=BB212_13 Depth=1
	s_or_b32 exec_lo, exec_lo, s51
.LBB212_223:                            ;   in Loop: Header=BB212_13 Depth=1
	s_delay_alu instid0(SALU_CYCLE_1)
	s_or_b32 exec_lo, exec_lo, s50
.LBB212_224:                            ;   in Loop: Header=BB212_13 Depth=1
	s_delay_alu instid0(SALU_CYCLE_1) | instskip(SKIP_1) | instid1(VALU_DEP_1)
	s_or_b32 exec_lo, exec_lo, s49
	v_add_co_u32 v41, s1, 0x300, v39
	v_add_co_ci_u32_e64 v42, s1, 0, v40, s1
	v_dual_mov_b32 v83, 0 :: v_dual_mov_b32 v84, 0
	s_mov_b32 s49, exec_lo
	global_load_u8 v85, v[41:42], off offset:8
	s_waitcnt vmcnt(0)
	v_cmpx_ne_u16_e32 0, v85
	s_cbranch_execz .LBB212_232
; %bb.225:                              ;   in Loop: Header=BB212_13 Depth=1
	v_bfrev_b32_e32 v84, 1
	s_mov_b32 s50, exec_lo
	v_cmpx_ne_u16_e32 0x80, v85
	s_cbranch_execz .LBB212_231
; %bb.226:                              ;   in Loop: Header=BB212_13 Depth=1
	v_and_b32_e32 v31, 0xffff, v85
	v_mov_b32_e32 v84, 0x7f800001
	s_mov_b32 s51, exec_lo
	s_delay_alu instid0(VALU_DEP_2) | instskip(NEXT) | instid1(VALU_DEP_1)
	v_and_b32_e32 v86, 0x7f, v31
	v_cmpx_ne_u32_e32 0x7f, v86
	s_cbranch_execz .LBB212_230
; %bb.227:                              ;   in Loop: Header=BB212_13 Depth=1
	v_and_b32_e32 v31, 7, v31
	v_lshrrev_b32_e32 v84, 3, v86
	s_mov_b32 s52, exec_lo
	v_cmpx_gt_u32_e32 8, v86
; %bb.228:                              ;   in Loop: Header=BB212_13 Depth=1
	s_delay_alu instid0(VALU_DEP_3) | instskip(NEXT) | instid1(VALU_DEP_1)
	v_clz_i32_u32_e32 v84, v31
	v_min_u32_e32 v84, 32, v84
	s_delay_alu instid0(VALU_DEP_1) | instskip(SKIP_1) | instid1(VALU_DEP_2)
	v_subrev_nc_u32_e32 v86, 28, v84
	v_sub_nc_u32_e32 v84, 29, v84
	v_lshlrev_b64 v[86:87], v86, v[31:32]
	s_delay_alu instid0(VALU_DEP_1)
	v_and_b32_e32 v31, 7, v86
; %bb.229:                              ;   in Loop: Header=BB212_13 Depth=1
	s_or_b32 exec_lo, exec_lo, s52
	v_lshlrev_b32_e32 v85, 24, v85
	s_delay_alu instid0(VALU_DEP_2) | instskip(SKIP_1) | instid1(VALU_DEP_3)
	v_lshlrev_b32_e32 v31, 20, v31
	v_lshl_add_u32 v84, v84, 23, 0x3c000000
	v_and_b32_e32 v85, 0x80000000, v85
	s_delay_alu instid0(VALU_DEP_1)
	v_or3_b32 v84, v31, v85, v84
.LBB212_230:                            ;   in Loop: Header=BB212_13 Depth=1
	s_or_b32 exec_lo, exec_lo, s51
.LBB212_231:                            ;   in Loop: Header=BB212_13 Depth=1
	s_delay_alu instid0(SALU_CYCLE_1)
	s_or_b32 exec_lo, exec_lo, s50
.LBB212_232:                            ;   in Loop: Header=BB212_13 Depth=1
	s_delay_alu instid0(SALU_CYCLE_1)
	s_or_b32 exec_lo, exec_lo, s49
	global_load_u8 v41, v[41:42], off offset:12
	s_mov_b32 s49, exec_lo
	s_waitcnt vmcnt(0)
	v_cmpx_ne_u16_e32 0, v41
	s_cbranch_execz .LBB212_240
; %bb.233:                              ;   in Loop: Header=BB212_13 Depth=1
	v_bfrev_b32_e32 v83, 1
	s_mov_b32 s50, exec_lo
	v_cmpx_ne_u16_e32 0x80, v41
	s_cbranch_execz .LBB212_239
; %bb.234:                              ;   in Loop: Header=BB212_13 Depth=1
	v_and_b32_e32 v31, 0xffff, v41
	v_mov_b32_e32 v83, 0x7f800001
	s_mov_b32 s51, exec_lo
	s_delay_alu instid0(VALU_DEP_2) | instskip(NEXT) | instid1(VALU_DEP_1)
	v_and_b32_e32 v85, 0x7f, v31
	v_cmpx_ne_u32_e32 0x7f, v85
	s_cbranch_execz .LBB212_238
; %bb.235:                              ;   in Loop: Header=BB212_13 Depth=1
	v_and_b32_e32 v31, 7, v31
	v_lshrrev_b32_e32 v42, 3, v85
	s_mov_b32 s52, exec_lo
	v_cmpx_gt_u32_e32 8, v85
; %bb.236:                              ;   in Loop: Header=BB212_13 Depth=1
	s_delay_alu instid0(VALU_DEP_3) | instskip(NEXT) | instid1(VALU_DEP_1)
	v_clz_i32_u32_e32 v42, v31
	v_min_u32_e32 v42, 32, v42
	s_delay_alu instid0(VALU_DEP_1) | instskip(SKIP_1) | instid1(VALU_DEP_2)
	v_subrev_nc_u32_e32 v83, 28, v42
	v_sub_nc_u32_e32 v42, 29, v42
	v_lshlrev_b64 v[85:86], v83, v[31:32]
	s_delay_alu instid0(VALU_DEP_1)
	v_and_b32_e32 v31, 7, v85
; %bb.237:                              ;   in Loop: Header=BB212_13 Depth=1
	s_or_b32 exec_lo, exec_lo, s52
	v_lshlrev_b32_e32 v41, 24, v41
	s_delay_alu instid0(VALU_DEP_2) | instskip(SKIP_1) | instid1(VALU_DEP_3)
	v_lshlrev_b32_e32 v31, 20, v31
	v_lshl_add_u32 v42, v42, 23, 0x3c000000
	v_and_b32_e32 v41, 0x80000000, v41
	s_delay_alu instid0(VALU_DEP_1)
	v_or3_b32 v83, v31, v41, v42
.LBB212_238:                            ;   in Loop: Header=BB212_13 Depth=1
	s_or_b32 exec_lo, exec_lo, s51
.LBB212_239:                            ;   in Loop: Header=BB212_13 Depth=1
	s_delay_alu instid0(SALU_CYCLE_1)
	s_or_b32 exec_lo, exec_lo, s50
.LBB212_240:                            ;   in Loop: Header=BB212_13 Depth=1
	s_delay_alu instid0(SALU_CYCLE_1)
	s_or_b32 exec_lo, exec_lo, s49
	global_load_u8 v85, v[39:40], off offset:896
	v_dual_mov_b32 v41, 0 :: v_dual_mov_b32 v42, 0
	s_mov_b32 s49, exec_lo
	s_waitcnt vmcnt(0)
	v_cmpx_ne_u16_e32 0, v85
	s_cbranch_execz .LBB212_248
; %bb.241:                              ;   in Loop: Header=BB212_13 Depth=1
	v_bfrev_b32_e32 v42, 1
	s_mov_b32 s50, exec_lo
	v_cmpx_ne_u16_e32 0x80, v85
	s_cbranch_execz .LBB212_247
; %bb.242:                              ;   in Loop: Header=BB212_13 Depth=1
	v_and_b32_e32 v31, 0xffff, v85
	v_mov_b32_e32 v42, 0x7f800001
	s_mov_b32 s51, exec_lo
	s_delay_alu instid0(VALU_DEP_2) | instskip(NEXT) | instid1(VALU_DEP_1)
	v_and_b32_e32 v86, 0x7f, v31
	v_cmpx_ne_u32_e32 0x7f, v86
	s_cbranch_execz .LBB212_246
; %bb.243:                              ;   in Loop: Header=BB212_13 Depth=1
	v_and_b32_e32 v31, 7, v31
	v_lshrrev_b32_e32 v42, 3, v86
	s_mov_b32 s52, exec_lo
	v_cmpx_gt_u32_e32 8, v86
; %bb.244:                              ;   in Loop: Header=BB212_13 Depth=1
	s_delay_alu instid0(VALU_DEP_3) | instskip(NEXT) | instid1(VALU_DEP_1)
	v_clz_i32_u32_e32 v42, v31
	v_min_u32_e32 v42, 32, v42
	s_delay_alu instid0(VALU_DEP_1) | instskip(SKIP_1) | instid1(VALU_DEP_2)
	v_subrev_nc_u32_e32 v86, 28, v42
	v_sub_nc_u32_e32 v42, 29, v42
	v_lshlrev_b64 v[86:87], v86, v[31:32]
	s_delay_alu instid0(VALU_DEP_1)
	v_and_b32_e32 v31, 7, v86
; %bb.245:                              ;   in Loop: Header=BB212_13 Depth=1
	s_or_b32 exec_lo, exec_lo, s52
	v_lshlrev_b32_e32 v85, 24, v85
	s_delay_alu instid0(VALU_DEP_2) | instskip(SKIP_1) | instid1(VALU_DEP_3)
	v_lshlrev_b32_e32 v31, 20, v31
	v_lshl_add_u32 v42, v42, 23, 0x3c000000
	v_and_b32_e32 v85, 0x80000000, v85
	s_delay_alu instid0(VALU_DEP_1)
	v_or3_b32 v42, v31, v85, v42
.LBB212_246:                            ;   in Loop: Header=BB212_13 Depth=1
	s_or_b32 exec_lo, exec_lo, s51
.LBB212_247:                            ;   in Loop: Header=BB212_13 Depth=1
	s_delay_alu instid0(SALU_CYCLE_1)
	s_or_b32 exec_lo, exec_lo, s50
.LBB212_248:                            ;   in Loop: Header=BB212_13 Depth=1
	s_delay_alu instid0(SALU_CYCLE_1)
	s_or_b32 exec_lo, exec_lo, s49
	global_load_u8 v39, v[39:40], off offset:900
	s_mov_b32 s49, exec_lo
	s_waitcnt vmcnt(0)
	v_cmpx_ne_u16_e32 0, v39
	s_cbranch_execz .LBB212_256
; %bb.249:                              ;   in Loop: Header=BB212_13 Depth=1
	v_bfrev_b32_e32 v41, 1
	s_mov_b32 s50, exec_lo
	v_cmpx_ne_u16_e32 0x80, v39
	s_cbranch_execz .LBB212_255
; %bb.250:                              ;   in Loop: Header=BB212_13 Depth=1
	v_and_b32_e32 v31, 0xffff, v39
	v_mov_b32_e32 v41, 0x7f800001
	s_mov_b32 s51, exec_lo
	s_delay_alu instid0(VALU_DEP_2) | instskip(NEXT) | instid1(VALU_DEP_1)
	v_and_b32_e32 v85, 0x7f, v31
	v_cmpx_ne_u32_e32 0x7f, v85
	s_cbranch_execz .LBB212_254
; %bb.251:                              ;   in Loop: Header=BB212_13 Depth=1
	v_and_b32_e32 v31, 7, v31
	v_lshrrev_b32_e32 v40, 3, v85
	s_mov_b32 s52, exec_lo
	v_cmpx_gt_u32_e32 8, v85
; %bb.252:                              ;   in Loop: Header=BB212_13 Depth=1
	s_delay_alu instid0(VALU_DEP_3) | instskip(NEXT) | instid1(VALU_DEP_1)
	v_clz_i32_u32_e32 v40, v31
	v_min_u32_e32 v40, 32, v40
	s_delay_alu instid0(VALU_DEP_1) | instskip(SKIP_1) | instid1(VALU_DEP_2)
	v_subrev_nc_u32_e32 v41, 28, v40
	v_sub_nc_u32_e32 v40, 29, v40
	v_lshlrev_b64 v[85:86], v41, v[31:32]
	s_delay_alu instid0(VALU_DEP_1)
	v_and_b32_e32 v31, 7, v85
; %bb.253:                              ;   in Loop: Header=BB212_13 Depth=1
	s_or_b32 exec_lo, exec_lo, s52
	v_lshlrev_b32_e32 v39, 24, v39
	s_delay_alu instid0(VALU_DEP_2) | instskip(SKIP_1) | instid1(VALU_DEP_3)
	v_lshlrev_b32_e32 v31, 20, v31
	v_lshl_add_u32 v40, v40, 23, 0x3c000000
	v_and_b32_e32 v39, 0x80000000, v39
	s_delay_alu instid0(VALU_DEP_1)
	v_or3_b32 v41, v31, v39, v40
.LBB212_254:                            ;   in Loop: Header=BB212_13 Depth=1
	s_or_b32 exec_lo, exec_lo, s51
.LBB212_255:                            ;   in Loop: Header=BB212_13 Depth=1
	s_delay_alu instid0(SALU_CYCLE_1)
	s_or_b32 exec_lo, exec_lo, s50
.LBB212_256:                            ;   in Loop: Header=BB212_13 Depth=1
	s_delay_alu instid0(SALU_CYCLE_1) | instskip(SKIP_3) | instid1(VALU_DEP_1)
	s_or_b32 exec_lo, exec_lo, s49
	s_waitcnt lgkmcnt(0)
	v_mul_f32_e32 v39, s48, v58
	v_mul_f32_e32 v31, s48, v57
	;; [unrolled: 1-line block ×3, first 2 shown]
	s_delay_alu instid0(VALU_DEP_1) | instskip(SKIP_2) | instid1(VALU_DEP_1)
	v_fmac_f32_e32 v26, v25, v39
	v_mul_f32_e32 v25, s48, v59
	v_mul_f32_e32 v31, s48, v60
	v_dual_fmac_f32 v26, v27, v31 :: v_dual_mul_f32 v27, s48, v62
	s_delay_alu instid0(VALU_DEP_1) | instskip(NEXT) | instid1(VALU_DEP_1)
	v_fmac_f32_e32 v26, v28, v25
	v_dual_mul_f32 v25, s48, v61 :: v_dual_fmac_f32 v26, v21, v27
	s_delay_alu instid0(VALU_DEP_1) | instskip(SKIP_1) | instid1(VALU_DEP_2)
	v_dual_mul_f32 v21, s48, v64 :: v_dual_fmac_f32 v26, v22, v25
	v_mul_f32_e32 v22, s48, v63
	v_dual_fmac_f32 v26, v23, v21 :: v_dual_mul_f32 v21, s48, v66
	s_delay_alu instid0(VALU_DEP_1) | instskip(SKIP_1) | instid1(VALU_DEP_2)
	v_fmac_f32_e32 v26, v24, v22
	v_mul_f32_e32 v22, s48, v65
	v_dual_fmac_f32 v26, v17, v21 :: v_dual_mul_f32 v17, s48, v68
	s_delay_alu instid0(VALU_DEP_1) | instskip(SKIP_1) | instid1(VALU_DEP_2)
	v_fmac_f32_e32 v26, v18, v22
	;; [unrolled: 4-line block ×10, first 2 shown]
	v_mul_f32_e32 v2, s48, v83
	v_fmac_f32_e32 v26, v3, v1
	v_xor_b32_e32 v1, 2, v47
	v_mul_f32_e32 v3, s48, v42
	s_delay_alu instid0(VALU_DEP_3) | instskip(NEXT) | instid1(VALU_DEP_3)
	v_fmac_f32_e32 v26, v4, v2
	v_cmp_gt_i32_e64 s1, 32, v1
	v_mul_f32_e32 v2, s48, v41
	s_delay_alu instid0(VALU_DEP_3) | instskip(NEXT) | instid1(VALU_DEP_3)
	v_fmac_f32_e32 v26, v37, v3
	v_cndmask_b32_e64 v1, v47, v1, s1
	s_delay_alu instid0(VALU_DEP_1) | instskip(SKIP_3) | instid1(VALU_DEP_1)
	v_dual_fmac_f32 v26, v38, v2 :: v_dual_lshlrev_b32 v1, 2, v1
	v_xor_b32_e32 v2, 1, v47
	ds_bpermute_b32 v1, v1, v26
	v_cmp_gt_i32_e64 s1, 32, v2
	v_cndmask_b32_e64 v2, v47, v2, s1
	s_waitcnt lgkmcnt(0)
	s_delay_alu instid0(VALU_DEP_1)
	v_dual_add_f32 v1, v26, v1 :: v_dual_lshlrev_b32 v2, 2, v2
	ds_bpermute_b32 v2, v2, v1
	s_and_saveexec_b32 s48, vcc_lo
	s_cbranch_execz .LBB212_11
; %bb.257:                              ;   in Loop: Header=BB212_13 Depth=1
	s_waitcnt lgkmcnt(0)
	v_add_f32_e32 v1, v1, v2
	v_add_nc_u32_e32 v3, v53, v51
	s_delay_alu instid0(VALU_DEP_1) | instskip(NEXT) | instid1(VALU_DEP_1)
	v_cvt_f32_i32_e32 v3, v3
	v_mul_f32_e32 v3, s42, v3
	s_delay_alu instid0(VALU_DEP_1) | instskip(NEXT) | instid1(VALU_DEP_1)
	v_cndmask_b32_e64 v2, 0, v3, s0
	v_dual_max_f32 v3, v48, v48 :: v_dual_fmac_f32 v2, s39, v1
	v_add_nc_u32_e32 v1, v49, v51
	s_delay_alu instid0(VALU_DEP_2) | instskip(NEXT) | instid1(VALU_DEP_2)
	v_max_f32_e32 v3, v3, v2
	v_cmp_gt_i32_e64 s1, s33, v1
	s_delay_alu instid0(VALU_DEP_1) | instskip(NEXT) | instid1(VALU_DEP_3)
	v_cndmask_b32_e64 v1, 0, v2, s1
	v_cndmask_b32_e64 v48, v48, v3, s1
	ds_store_b32 v54, v1
	s_branch .LBB212_11
.LBB212_258:
	s_or_b32 exec_lo, exec_lo, s46
.LBB212_259:
	s_delay_alu instid0(SALU_CYCLE_1)
	s_or_b32 exec_lo, exec_lo, s43
	v_xor_b32_e32 v1, 16, v47
	s_waitcnt lgkmcnt(0)
	v_xor_b32_e32 v2, 8, v47
	v_lshlrev_b32_e32 v6, 2, v43
	v_max_f32_e32 v4, v48, v48
	v_cmp_gt_i32_e32 vcc_lo, 32, v1
	v_cndmask_b32_e32 v1, v47, v1, vcc_lo
	v_cmp_gt_i32_e32 vcc_lo, 32, v2
	s_delay_alu instid0(VALU_DEP_2) | instskip(SKIP_3) | instid1(VALU_DEP_1)
	v_dual_cndmask_b32 v2, v47, v2 :: v_dual_lshlrev_b32 v3, 2, v1
	ds_bpermute_b32 v1, v3, v48
	s_waitcnt lgkmcnt(0)
	v_max_f32_e32 v1, v1, v1
	v_max_f32_e32 v1, v4, v1
	v_xor_b32_e32 v4, 4, v47
	s_delay_alu instid0(VALU_DEP_1) | instskip(SKIP_1) | instid1(VALU_DEP_1)
	v_cmp_gt_i32_e32 vcc_lo, 32, v4
	v_dual_cndmask_b32 v4, v47, v4 :: v_dual_lshlrev_b32 v5, 2, v2
	v_lshlrev_b32_e32 v8, 2, v4
	ds_bpermute_b32 v2, v5, v1
	s_waitcnt lgkmcnt(0)
	v_max_f32_e32 v2, v2, v2
	s_delay_alu instid0(VALU_DEP_1)
	v_dual_max_f32 v2, v1, v2 :: v_dual_and_b32 v1, 31, v0
	ds_bpermute_b32 v4, v8, v2
	v_cmp_eq_u32_e32 vcc_lo, 0, v1
	s_and_saveexec_b32 s0, vcc_lo
	s_cbranch_execz .LBB212_261
; %bb.260:
	s_waitcnt lgkmcnt(0)
	v_max_f32_e32 v4, v4, v4
	v_max_f32_e32 v2, v2, v2
	s_delay_alu instid0(VALU_DEP_1)
	v_max_f32_e32 v2, v2, v4
	ds_store_b32 v6, v2 offset:480
.LBB212_261:
	s_or_b32 exec_lo, exec_lo, s0
	v_cmp_gt_u32_e64 s0, 4, v1
	v_dual_mov_b32 v2, 0xff7fffff :: v_dual_lshlrev_b32 v7, 2, v1
	s_waitcnt lgkmcnt(0)
	s_barrier
	buffer_gl0_inv
	s_and_saveexec_b32 s1, s0
	s_cbranch_execz .LBB212_263
; %bb.262:
	ds_load_b32 v2, v7 offset:480
.LBB212_263:
	s_or_b32 exec_lo, exec_lo, s1
	v_xor_b32_e32 v4, 2, v47
	v_xor_b32_e32 v10, 1, v47
	s_delay_alu instid0(VALU_DEP_2) | instskip(NEXT) | instid1(VALU_DEP_1)
	v_cmp_gt_i32_e64 s1, 32, v4
	v_cndmask_b32_e64 v4, v47, v4, s1
	s_delay_alu instid0(VALU_DEP_3) | instskip(NEXT) | instid1(VALU_DEP_2)
	v_cmp_gt_i32_e64 s1, 32, v10
	v_lshlrev_b32_e32 v9, 2, v4
	s_delay_alu instid0(VALU_DEP_2) | instskip(SKIP_1) | instid1(SALU_CYCLE_1)
	v_cndmask_b32_e64 v10, v47, v10, s1
	s_sub_i32 s1, s16, s38
	s_lshl_b32 s1, s1, 3
	s_waitcnt lgkmcnt(0)
	ds_bpermute_b32 v4, v9, v2
	v_max_f32_e32 v2, v2, v2
	v_lshlrev_b32_e32 v22, 2, v10
	v_mov_b32_e32 v10, 0
	s_add_i32 s1, s1, s41
	s_delay_alu instid0(SALU_CYCLE_1) | instskip(NEXT) | instid1(SALU_CYCLE_1)
	s_min_i32 s1, s1, s33
	s_sub_i32 s4, s1, s41
	s_delay_alu instid0(SALU_CYCLE_1) | instskip(SKIP_2) | instid1(VALU_DEP_1)
	v_cmp_gt_i32_e64 s1, s4, v0
	s_waitcnt lgkmcnt(0)
	v_max_f32_e32 v4, v4, v4
	v_max_f32_e32 v2, v2, v4
	ds_bpermute_b32 v4, v22, v2
	s_waitcnt lgkmcnt(0)
	v_max_f32_e32 v4, v4, v4
	s_delay_alu instid0(VALU_DEP_1)
	v_max_f32_e32 v2, v2, v4
	v_lshl_add_u32 v4, v0, 2, 0x200
	ds_bpermute_b32 v2, v10, v2
	s_and_saveexec_b32 s5, s1
	s_cbranch_execz .LBB212_267
; %bb.264:
	v_lshl_add_u32 v11, v0, 2, 0x200
	v_mov_b32_e32 v10, 0
	v_mov_b32_e32 v12, v0
	s_mov_b32 s38, 0
	.p2align	6
.LBB212_265:                            ; =>This Inner Loop Header: Depth=1
	ds_load_b32 v13, v11
	v_add_nc_u32_e32 v12, 0x80, v12
	s_delay_alu instid0(VALU_DEP_1) | instskip(NEXT) | instid1(VALU_DEP_1)
	v_cmp_le_i32_e64 s3, s4, v12
	s_or_b32 s38, s3, s38
	s_waitcnt lgkmcnt(0)
	v_sub_f32_e32 v13, v13, v2
	s_delay_alu instid0(VALU_DEP_1) | instskip(NEXT) | instid1(VALU_DEP_1)
	v_mul_f32_e32 v13, 0x3fb8aa3b, v13
	v_exp_f32_e32 v13, v13
	ds_store_b32 v11, v13
	v_dual_add_f32 v10, v10, v13 :: v_dual_add_nc_u32 v11, 0x200, v11
	s_and_not1_b32 exec_lo, exec_lo, s38
	s_cbranch_execnz .LBB212_265
; %bb.266:
	s_or_b32 exec_lo, exec_lo, s38
.LBB212_267:
	s_delay_alu instid0(SALU_CYCLE_1)
	s_or_b32 exec_lo, exec_lo, s5
	ds_bpermute_b32 v3, v3, v10
	s_waitcnt lgkmcnt(0)
	v_add_f32_e32 v3, v10, v3
	ds_bpermute_b32 v5, v5, v3
	s_waitcnt lgkmcnt(0)
	v_add_f32_e32 v3, v3, v5
	;; [unrolled: 3-line block ×5, first 2 shown]
	s_and_saveexec_b32 s3, vcc_lo
	s_cbranch_execz .LBB212_269
; %bb.268:
	ds_store_b32 v6, v3 offset:496
.LBB212_269:
	s_or_b32 exec_lo, exec_lo, s3
	s_waitcnt lgkmcnt(0)
	s_barrier
	buffer_gl0_inv
	s_and_saveexec_b32 s3, s0
	s_cbranch_execz .LBB212_271
; %bb.270:
	ds_load_b32 v3, v7 offset:496
.LBB212_271:
	s_or_b32 exec_lo, exec_lo, s3
	s_waitcnt lgkmcnt(0)
	ds_bpermute_b32 v5, v9, v3
	s_waitcnt lgkmcnt(0)
	v_add_f32_e32 v3, v3, v5
	ds_bpermute_b32 v5, v22, v3
	s_waitcnt lgkmcnt(0)
	v_add_f32_e32 v3, v3, v5
	v_mov_b32_e32 v5, 0
	ds_bpermute_b32 v3, v5, v3
	s_and_saveexec_b32 s0, s1
	s_cbranch_execz .LBB212_274
; %bb.272:
	s_waitcnt lgkmcnt(0)
	v_add_f32_e32 v5, 0x358637bd, v3
	s_mov_b32 s1, 0
	s_delay_alu instid0(VALU_DEP_1) | instskip(SKIP_1) | instid1(VALU_DEP_2)
	v_div_scale_f32 v6, null, v5, v5, 1.0
	v_div_scale_f32 v9, vcc_lo, 1.0, v5, 1.0
	v_rcp_f32_e32 v7, v6
	s_waitcnt_depctr 0xfff
	v_fma_f32 v8, -v6, v7, 1.0
	s_delay_alu instid0(VALU_DEP_1) | instskip(NEXT) | instid1(VALU_DEP_1)
	v_fmac_f32_e32 v7, v8, v7
	v_mul_f32_e32 v8, v9, v7
	s_delay_alu instid0(VALU_DEP_1) | instskip(NEXT) | instid1(VALU_DEP_1)
	v_fma_f32 v10, -v6, v8, v9
	v_fmac_f32_e32 v8, v10, v7
	s_delay_alu instid0(VALU_DEP_1) | instskip(NEXT) | instid1(VALU_DEP_1)
	v_fma_f32 v6, -v6, v8, v9
	v_div_fmas_f32 v6, v6, v7, v8
	s_delay_alu instid0(VALU_DEP_1)
	v_div_fixup_f32 v5, v6, v5, 1.0
	v_mov_b32_e32 v6, v0
.LBB212_273:                            ; =>This Inner Loop Header: Depth=1
	ds_load_b32 v7, v4
	s_waitcnt lgkmcnt(0)
	v_dual_mul_f32 v7, v5, v7 :: v_dual_add_nc_u32 v6, 0x80, v6
	s_delay_alu instid0(VALU_DEP_1) | instskip(SKIP_3) | instid1(SALU_CYCLE_1)
	v_cmp_le_i32_e32 vcc_lo, s4, v6
	ds_store_b32 v4, v7
	v_add_nc_u32_e32 v4, 0x200, v4
	s_or_b32 s1, vcc_lo, s1
	s_and_not1_b32 exec_lo, exec_lo, s1
	s_cbranch_execnz .LBB212_273
.LBB212_274:
	s_or_b32 exec_lo, exec_lo, s0
	s_mul_i32 s0, s15, s14
	s_waitcnt lgkmcnt(0)
	s_mul_i32 s4, s0, s13
	s_mov_b32 s0, exec_lo
	s_barrier
	buffer_gl0_inv
	v_cmpx_eq_u32_e32 0, v0
	s_cbranch_execz .LBB212_276
; %bb.275:
	s_ashr_i32 s5, s4, 31
	s_mul_i32 s42, s15, s28
	s_lshl_b64 s[38:39], s[4:5], 2
	v_mov_b32_e32 v4, 0
	s_add_u32 s1, s22, s38
	s_addc_u32 s3, s23, s39
	s_ashr_i32 s43, s42, 31
	s_delay_alu instid0(SALU_CYCLE_1) | instskip(NEXT) | instid1(SALU_CYCLE_1)
	s_lshl_b64 s[22:23], s[42:43], 2
	s_add_u32 s1, s1, s22
	s_addc_u32 s3, s3, s23
	s_ashr_i32 s13, s12, 31
	s_delay_alu instid0(SALU_CYCLE_1) | instskip(NEXT) | instid1(SALU_CYCLE_1)
	s_lshl_b64 s[42:43], s[12:13], 2
	s_add_u32 s44, s1, s42
	s_addc_u32 s45, s3, s43
	s_add_u32 s1, s20, s38
	s_addc_u32 s3, s21, s39
	s_add_u32 s1, s1, s22
	s_addc_u32 s3, s3, s23
	s_add_u32 s20, s1, s42
	s_addc_u32 s21, s3, s43
	s_clause 0x1
	global_store_b32 v4, v2, s[44:45]
	global_store_b32 v4, v3, s[20:21]
.LBB212_276:
	s_or_b32 exec_lo, exec_lo, s0
	v_lshrrev_b32_e32 v21, 1, v1
                                        ; implicit-def: $sgpr0
	s_and_saveexec_b32 s1, s2
	s_delay_alu instid0(SALU_CYCLE_1)
	s_xor_b32 s1, exec_lo, s1
; %bb.277:
	v_lshrrev_b32_e32 v21, 1, v1
	s_mov_b32 s0, 0
                                        ; implicit-def: $vgpr44
                                        ; implicit-def: $vgpr29
                                        ; implicit-def: $vgpr45
; %bb.278:
	s_or_saveexec_b32 s5, s1
	v_dual_mov_b32 v24, s0 :: v_dual_and_b32 v23, 1, v0
	v_dual_mov_b32 v26, s0 :: v_dual_mov_b32 v25, s0
	v_dual_mov_b32 v28, s0 :: v_dual_mov_b32 v27, s0
	;; [unrolled: 1-line block ×3, first 2 shown]
	v_mov_b32_e32 v33, s0
	s_xor_b32 exec_lo, exec_lo, s5
	s_cbranch_execz .LBB212_558
; %bb.279:
	s_sub_i32 s13, s11, s17
	s_ashr_i32 s0, s10, 31
	s_add_u32 s2, s36, s10
	s_addc_u32 s3, s37, s0
	s_abs_i32 s14, s18
	v_or_b32_e32 v4, 0x70, v21
	v_cvt_f32_u32_e32 v1, s14
	s_sub_i32 s0, 0, s14
	v_dual_mov_b32 v6, 0 :: v_dual_lshlrev_b32 v5, 4, v23
	s_delay_alu instid0(VALU_DEP_3) | instskip(NEXT) | instid1(VALU_DEP_3)
	v_cmp_gt_u32_e32 vcc_lo, 0x78, v4
	v_rcp_iflag_f32_e32 v3, v1
	v_and_b32_e32 v34, 4, v45
	v_lshlrev_b64 v[1:2], 2, v[29:30]
	s_add_i32 s18, s8, -1
	v_lshl_or_b32 v5, v43, 5, v5
	v_dual_mov_b32 v33, 0 :: v_dual_mov_b32 v32, 0
	v_dual_mov_b32 v31, 0 :: v_dual_mov_b32 v28, 0
	;; [unrolled: 1-line block ×3, first 2 shown]
	s_delay_alu instid0(TRANS32_DEP_1) | instskip(SKIP_3) | instid1(VALU_DEP_4)
	v_mul_f32_e32 v3, 0x4f7ffffe, v3
	v_lshl_or_b32 v35, v4, 3, v34
	v_dual_mov_b32 v25, 0 :: v_dual_mov_b32 v24, 0
	v_lshl_or_b32 v30, v21, 3, v34
	v_cvt_u32_f32_e32 v3, v3
	v_add_nc_u32_e32 v36, 0x200, v5
	s_mov_b32 s17, s9
	s_mov_b32 s8, 0
	s_brev_b32 s9, 1
	v_mul_lo_u32 v7, s0, v3
	s_lshl_b64 s[0:1], s[34:35], 2
	s_mov_b32 s11, 0x7f800001
	s_add_u32 s0, s30, s0
	s_addc_u32 s1, s31, s1
	s_mov_b32 s20, s8
	s_delay_alu instid0(VALU_DEP_1) | instskip(SKIP_1) | instid1(VALU_DEP_1)
	v_mul_hi_u32 v4, v3, v7
	v_add_co_u32 v7, s0, s0, v1
	v_add_co_ci_u32_e64 v8, s0, s1, v2, s0
	s_delay_alu instid0(VALU_DEP_3)
	v_add_nc_u32_e32 v37, v3, v4
	s_branch .LBB212_283
.LBB212_280:                            ;   in Loop: Header=BB212_283 Depth=1
	s_or_b32 exec_lo, exec_lo, s1
	v_mul_f32_e32 v11, v2, v11
	s_delay_alu instid0(VALU_DEP_1) | instskip(NEXT) | instid1(VALU_DEP_1)
	v_fmac_f32_e32 v11, v1, v9
	v_fmac_f32_e32 v11, v3, v10
	s_delay_alu instid0(VALU_DEP_1) | instskip(NEXT) | instid1(VALU_DEP_1)
	v_fmac_f32_e32 v11, v4, v5
	v_add_f32_e32 v24, v24, v11
.LBB212_281:                            ;   in Loop: Header=BB212_283 Depth=1
	s_or_b32 exec_lo, exec_lo, s28
	v_mul_f32_e32 v12, v2, v60
	v_mul_f32_e32 v9, v2, v48
	s_delay_alu instid0(VALU_DEP_2) | instskip(NEXT) | instid1(VALU_DEP_2)
	v_dual_mul_f32 v11, v2, v56 :: v_dual_fmac_f32 v12, v1, v59
	v_dual_mul_f32 v10, v2, v52 :: v_dual_fmac_f32 v9, v1, v47
	s_delay_alu instid0(VALU_DEP_2) | instskip(NEXT) | instid1(VALU_DEP_2)
	v_dual_mul_f32 v5, v2, v41 :: v_dual_fmac_f32 v12, v3, v58
	v_fmac_f32_e32 v10, v1, v51
	s_delay_alu instid0(VALU_DEP_2) | instskip(NEXT) | instid1(VALU_DEP_2)
	v_dual_fmac_f32 v5, v1, v40 :: v_dual_fmac_f32 v12, v4, v57
	v_fmac_f32_e32 v10, v3, v50
	v_fmac_f32_e32 v9, v3, v46
	s_delay_alu instid0(VALU_DEP_3) | instskip(NEXT) | instid1(VALU_DEP_3)
	v_dual_fmac_f32 v5, v3, v39 :: v_dual_add_f32 v28, v28, v12
	v_fmac_f32_e32 v10, v4, v49
	s_delay_alu instid0(VALU_DEP_3) | instskip(SKIP_1) | instid1(VALU_DEP_4)
	v_fmac_f32_e32 v9, v4, v45
	v_mul_f32_e32 v13, v2, v62
	v_dual_mul_f32 v2, v2, v64 :: v_dual_fmac_f32 v5, v4, v38
	s_delay_alu instid0(VALU_DEP_3) | instskip(NEXT) | instid1(VALU_DEP_2)
	v_dual_add_f32 v31, v31, v10 :: v_dual_add_f32 v32, v32, v9
	v_fmac_f32_e32 v2, v1, v63
	v_fmac_f32_e32 v11, v1, v55
	;; [unrolled: 1-line block ×3, first 2 shown]
	s_delay_alu instid0(VALU_DEP_3) | instskip(NEXT) | instid1(VALU_DEP_3)
	v_dual_add_f32 v33, v33, v5 :: v_dual_fmac_f32 v2, v3, v18
	v_fmac_f32_e32 v11, v3, v54
	s_delay_alu instid0(VALU_DEP_2) | instskip(NEXT) | instid1(VALU_DEP_2)
	v_dual_fmac_f32 v13, v3, v20 :: v_dual_fmac_f32 v2, v4, v17
	v_fmac_f32_e32 v11, v4, v53
	s_delay_alu instid0(VALU_DEP_2) | instskip(NEXT) | instid1(VALU_DEP_2)
	v_dual_fmac_f32 v13, v4, v19 :: v_dual_add_f32 v26, v26, v2
	v_add_f32_e32 v27, v27, v11
	s_delay_alu instid0(VALU_DEP_2)
	v_add_f32_e32 v25, v25, v13
.LBB212_282:                            ;   in Loop: Header=BB212_283 Depth=1
	s_or_b32 exec_lo, exec_lo, s21
	v_add_nc_u32_e32 v29, 4, v29
	v_add_co_u32 v7, s1, v7, 16
	s_delay_alu instid0(VALU_DEP_1) | instskip(NEXT) | instid1(VALU_DEP_3)
	v_add_co_ci_u32_e64 v8, s1, 0, v8, s1
	v_cmp_le_i32_e64 s0, s16, v29
	v_add_nc_u32_e32 v44, 32, v44
	v_add_nc_u32_e32 v36, 0x80, v36
	s_delay_alu instid0(VALU_DEP_3) | instskip(NEXT) | instid1(SALU_CYCLE_1)
	s_or_b32 s20, s0, s20
	s_and_not1_b32 exec_lo, exec_lo, s20
	s_cbranch_execz .LBB212_557
.LBB212_283:                            ; =>This Inner Loop Header: Depth=1
	v_sub_nc_u32_e32 v1, 0, v44
	s_delay_alu instid0(VALU_DEP_1) | instskip(NEXT) | instid1(VALU_DEP_1)
	v_max_i32_e32 v1, v44, v1
	v_mul_hi_u32 v2, v1, s29
	s_delay_alu instid0(VALU_DEP_1) | instskip(NEXT) | instid1(VALU_DEP_1)
	v_mul_lo_u32 v3, v2, s25
	v_sub_nc_u32_e32 v1, v1, v3
	v_add_nc_u32_e32 v3, 1, v2
	s_delay_alu instid0(VALU_DEP_2) | instskip(SKIP_1) | instid1(VALU_DEP_1)
	v_subrev_nc_u32_e32 v4, s25, v1
	v_cmp_le_u32_e64 s0, s25, v1
	v_cndmask_b32_e64 v2, v2, v3, s0
	s_delay_alu instid0(VALU_DEP_3) | instskip(SKIP_1) | instid1(VALU_DEP_3)
	v_cndmask_b32_e64 v1, v1, v4, s0
	v_ashrrev_i32_e32 v3, 31, v44
	v_add_nc_u32_e32 v4, 1, v2
	s_delay_alu instid0(VALU_DEP_3) | instskip(NEXT) | instid1(VALU_DEP_3)
	v_cmp_le_u32_e64 s0, s25, v1
	v_xor_b32_e32 v3, s19, v3
	s_delay_alu instid0(VALU_DEP_2) | instskip(NEXT) | instid1(VALU_DEP_1)
	v_cndmask_b32_e64 v1, v2, v4, s0
	v_xor_b32_e32 v1, v1, v3
	s_delay_alu instid0(VALU_DEP_1) | instskip(NEXT) | instid1(VALU_DEP_1)
	v_sub_nc_u32_e32 v1, v1, v3
	v_add_nc_u32_e32 v2, s40, v1
	v_cmp_lt_i32_e64 s1, s13, v1
	s_delay_alu instid0(VALU_DEP_2) | instskip(NEXT) | instid1(VALU_DEP_1)
	v_sub_nc_u32_e32 v3, 0, v2
	v_max_i32_e32 v3, v2, v3
	v_ashrrev_i32_e32 v2, 31, v2
	s_delay_alu instid0(VALU_DEP_2) | instskip(NEXT) | instid1(VALU_DEP_1)
	v_mul_hi_u32 v4, v3, v37
	v_mul_lo_u32 v4, v4, s14
	s_delay_alu instid0(VALU_DEP_1) | instskip(NEXT) | instid1(VALU_DEP_1)
	v_sub_nc_u32_e32 v3, v3, v4
	v_subrev_nc_u32_e32 v4, s14, v3
	v_cmp_le_u32_e64 s0, s14, v3
	s_delay_alu instid0(VALU_DEP_1) | instskip(NEXT) | instid1(VALU_DEP_1)
	v_cndmask_b32_e64 v3, v3, v4, s0
	v_subrev_nc_u32_e32 v4, s14, v3
	v_cmp_le_u32_e64 s0, s14, v3
	s_delay_alu instid0(VALU_DEP_1) | instskip(NEXT) | instid1(VALU_DEP_1)
	v_cndmask_b32_e64 v3, v3, v4, s0
	v_xor_b32_e32 v3, v3, v2
	s_delay_alu instid0(VALU_DEP_1) | instskip(NEXT) | instid1(VALU_DEP_1)
	v_sub_nc_u32_e32 v2, v3, v2
	v_cmp_eq_u32_e64 s0, 0, v2
	s_delay_alu instid0(VALU_DEP_1) | instskip(NEXT) | instid1(SALU_CYCLE_1)
	s_or_b32 s0, s0, s1
	s_and_saveexec_b32 s21, s0
	s_cbranch_execz .LBB212_282
; %bb.284:                              ;   in Loop: Header=BB212_283 Depth=1
	global_load_b32 v1, v[7:8], off
	s_load_b32 s22, s[6:7], 0x0
	v_mov_b32_e32 v15, 0
	s_mov_b32 s1, exec_lo
	s_waitcnt vmcnt(0)
	v_mad_i64_i32 v[9:10], null, v1, s17, s[2:3]
	ds_load_b128 v[1:4], v36
	v_add_co_u32 v11, s0, v9, v30
	s_delay_alu instid0(VALU_DEP_1) | instskip(SKIP_3) | instid1(VALU_DEP_1)
	v_add_co_ci_u32_e64 v12, s0, 0, v10, s0
	global_load_b32 v38, v[11:12], off
	s_waitcnt vmcnt(0)
	v_dual_mov_b32 v16, 0 :: v_dual_and_b32 v5, 0xff, v38
	v_dual_mov_b32 v13, v15 :: v_dual_mov_b32 v14, v16
	s_delay_alu instid0(VALU_DEP_2)
	v_cmpx_ne_u16_e32 0, v5
	s_cbranch_execz .LBB212_292
; %bb.285:                              ;   in Loop: Header=BB212_283 Depth=1
	v_bfrev_b32_e32 v13, 1
	v_mov_b32_e32 v14, 0
	s_mov_b32 s10, exec_lo
	v_cmpx_ne_u16_e32 0x80, v5
	s_cbranch_execz .LBB212_291
; %bb.286:                              ;   in Loop: Header=BB212_283 Depth=1
	v_mov_b32_e32 v13, 0x7f800001
	v_dual_mov_b32 v14, 0 :: v_dual_and_b32 v17, 0x7f, v38
	s_mov_b32 s23, exec_lo
	s_delay_alu instid0(VALU_DEP_1)
	v_cmpx_ne_u32_e32 0x7f, v17
	s_cbranch_execz .LBB212_290
; %bb.287:                              ;   in Loop: Header=BB212_283 Depth=1
	v_and_b32_e32 v5, 7, v38
	v_lshrrev_b32_e32 v13, 3, v17
	s_mov_b32 s28, exec_lo
	v_cmpx_gt_u32_e32 8, v17
; %bb.288:                              ;   in Loop: Header=BB212_283 Depth=1
	s_delay_alu instid0(VALU_DEP_3) | instskip(NEXT) | instid1(VALU_DEP_1)
	v_clz_i32_u32_e32 v13, v5
	v_min_u32_e32 v13, 32, v13
	s_delay_alu instid0(VALU_DEP_1) | instskip(SKIP_1) | instid1(VALU_DEP_2)
	v_subrev_nc_u32_e32 v14, 28, v13
	v_sub_nc_u32_e32 v13, 29, v13
	v_lshlrev_b64 v[17:18], v14, v[5:6]
	s_delay_alu instid0(VALU_DEP_1)
	v_and_b32_e32 v5, 7, v17
; %bb.289:                              ;   in Loop: Header=BB212_283 Depth=1
	s_or_b32 exec_lo, exec_lo, s28
	v_lshlrev_b32_e32 v14, 24, v38
	s_delay_alu instid0(VALU_DEP_2) | instskip(SKIP_1) | instid1(VALU_DEP_3)
	v_lshlrev_b32_e32 v5, 20, v5
	v_lshl_add_u32 v13, v13, 23, 0x3c000000
	v_and_b32_e32 v14, 0x80000000, v14
	s_delay_alu instid0(VALU_DEP_1) | instskip(NEXT) | instid1(VALU_DEP_1)
	v_or3_b32 v5, v5, v14, v13
	v_dual_mov_b32 v14, v6 :: v_dual_mov_b32 v13, v5
.LBB212_290:                            ;   in Loop: Header=BB212_283 Depth=1
	s_or_b32 exec_lo, exec_lo, s23
.LBB212_291:                            ;   in Loop: Header=BB212_283 Depth=1
	s_delay_alu instid0(SALU_CYCLE_1)
	s_or_b32 exec_lo, exec_lo, s10
.LBB212_292:                            ;   in Loop: Header=BB212_283 Depth=1
	s_delay_alu instid0(SALU_CYCLE_1) | instskip(SKIP_2) | instid1(VALU_DEP_1)
	s_or_b32 exec_lo, exec_lo, s1
	v_lshrrev_b16 v5, 8, v38
	s_mov_b32 s1, exec_lo
	v_cmpx_ne_u16_e32 0, v5
	s_cbranch_execz .LBB212_300
; %bb.293:                              ;   in Loop: Header=BB212_283 Depth=1
	v_dual_mov_b32 v16, s9 :: v_dual_mov_b32 v15, s8
	s_mov_b32 s23, exec_lo
	v_cmpx_ne_u16_e32 0x80, v5
	s_cbranch_execz .LBB212_299
; %bb.294:                              ;   in Loop: Header=BB212_283 Depth=1
	s_mov_b32 s10, s8
	v_dual_mov_b32 v16, s11 :: v_dual_and_b32 v5, 0xffff, v5
	v_mov_b32_e32 v15, s10
	s_mov_b32 s10, exec_lo
	s_delay_alu instid0(VALU_DEP_2) | instskip(NEXT) | instid1(VALU_DEP_1)
	v_and_b32_e32 v17, 0x7f, v5
	v_cmpx_ne_u32_e32 0x7f, v17
	s_cbranch_execz .LBB212_298
; %bb.295:                              ;   in Loop: Header=BB212_283 Depth=1
	v_and_b32_e32 v5, 7, v5
	v_lshrrev_b32_e32 v15, 3, v17
	s_mov_b32 s28, exec_lo
	v_cmpx_gt_u32_e32 8, v17
; %bb.296:                              ;   in Loop: Header=BB212_283 Depth=1
	s_delay_alu instid0(VALU_DEP_3) | instskip(NEXT) | instid1(VALU_DEP_1)
	v_clz_i32_u32_e32 v15, v5
	v_min_u32_e32 v15, 32, v15
	s_delay_alu instid0(VALU_DEP_1) | instskip(SKIP_1) | instid1(VALU_DEP_2)
	v_subrev_nc_u32_e32 v16, 28, v15
	v_sub_nc_u32_e32 v15, 29, v15
	v_lshlrev_b64 v[16:17], v16, v[5:6]
	s_delay_alu instid0(VALU_DEP_1)
	v_and_b32_e32 v5, 7, v16
; %bb.297:                              ;   in Loop: Header=BB212_283 Depth=1
	s_or_b32 exec_lo, exec_lo, s28
	v_lshlrev_b32_e32 v16, 16, v38
	s_delay_alu instid0(VALU_DEP_2) | instskip(SKIP_1) | instid1(VALU_DEP_3)
	v_lshlrev_b32_e32 v5, 20, v5
	v_lshl_add_u32 v15, v15, 23, 0x3c000000
	v_and_b32_e32 v16, 0x80000000, v16
	s_delay_alu instid0(VALU_DEP_1)
	v_or3_b32 v16, v5, v16, v15
	v_mov_b32_e32 v15, v6
.LBB212_298:                            ;   in Loop: Header=BB212_283 Depth=1
	s_or_b32 exec_lo, exec_lo, s10
.LBB212_299:                            ;   in Loop: Header=BB212_283 Depth=1
	s_delay_alu instid0(SALU_CYCLE_1)
	s_or_b32 exec_lo, exec_lo, s23
.LBB212_300:                            ;   in Loop: Header=BB212_283 Depth=1
	s_delay_alu instid0(SALU_CYCLE_1) | instskip(SKIP_4) | instid1(VALU_DEP_2)
	s_or_b32 exec_lo, exec_lo, s1
	v_mov_b32_e32 v19, 0
	v_lshrrev_b32_e32 v39, 16, v38
	v_mov_b32_e32 v20, 0
	s_mov_b32 s1, exec_lo
	v_and_b32_e32 v5, 0xff, v39
	s_delay_alu instid0(VALU_DEP_2) | instskip(NEXT) | instid1(VALU_DEP_2)
	v_dual_mov_b32 v17, v19 :: v_dual_mov_b32 v18, v20
	v_cmpx_ne_u16_e32 0, v5
	s_cbranch_execz .LBB212_308
; %bb.301:                              ;   in Loop: Header=BB212_283 Depth=1
	v_bfrev_b32_e32 v17, 1
	v_mov_b32_e32 v18, 0
	s_mov_b32 s10, exec_lo
	v_cmpx_ne_u16_e32 0x80, v5
	s_cbranch_execz .LBB212_307
; %bb.302:                              ;   in Loop: Header=BB212_283 Depth=1
	v_mov_b32_e32 v17, 0x7f800001
	v_bfe_u32 v40, v38, 16, 7
	v_mov_b32_e32 v18, 0
	s_mov_b32 s23, exec_lo
	s_delay_alu instid0(VALU_DEP_2)
	v_cmpx_ne_u32_e32 0x7f, v40
	s_cbranch_execz .LBB212_306
; %bb.303:                              ;   in Loop: Header=BB212_283 Depth=1
	v_and_b32_e32 v5, 7, v39
	v_lshrrev_b32_e32 v17, 3, v40
	s_mov_b32 s28, exec_lo
	v_cmpx_gt_u32_e32 8, v40
; %bb.304:                              ;   in Loop: Header=BB212_283 Depth=1
	s_delay_alu instid0(VALU_DEP_3) | instskip(NEXT) | instid1(VALU_DEP_1)
	v_clz_i32_u32_e32 v17, v5
	v_min_u32_e32 v17, 32, v17
	s_delay_alu instid0(VALU_DEP_1) | instskip(SKIP_1) | instid1(VALU_DEP_2)
	v_subrev_nc_u32_e32 v18, 28, v17
	v_sub_nc_u32_e32 v17, 29, v17
	v_lshlrev_b64 v[40:41], v18, v[5:6]
	s_delay_alu instid0(VALU_DEP_1)
	v_and_b32_e32 v5, 7, v40
; %bb.305:                              ;   in Loop: Header=BB212_283 Depth=1
	s_or_b32 exec_lo, exec_lo, s28
	v_lshlrev_b32_e32 v18, 24, v39
	s_delay_alu instid0(VALU_DEP_2) | instskip(SKIP_1) | instid1(VALU_DEP_3)
	v_lshlrev_b32_e32 v5, 20, v5
	v_lshl_add_u32 v17, v17, 23, 0x3c000000
	v_and_b32_e32 v18, 0x80000000, v18
	s_delay_alu instid0(VALU_DEP_1) | instskip(NEXT) | instid1(VALU_DEP_1)
	v_or3_b32 v5, v5, v18, v17
	v_dual_mov_b32 v18, v6 :: v_dual_mov_b32 v17, v5
.LBB212_306:                            ;   in Loop: Header=BB212_283 Depth=1
	s_or_b32 exec_lo, exec_lo, s23
.LBB212_307:                            ;   in Loop: Header=BB212_283 Depth=1
	s_delay_alu instid0(SALU_CYCLE_1)
	s_or_b32 exec_lo, exec_lo, s10
.LBB212_308:                            ;   in Loop: Header=BB212_283 Depth=1
	s_delay_alu instid0(SALU_CYCLE_1) | instskip(NEXT) | instid1(SALU_CYCLE_1)
	s_or_b32 exec_lo, exec_lo, s1
	s_mov_b32 s1, exec_lo
	v_cmpx_lt_u32_e32 0xffffff, v38
	s_cbranch_execz .LBB212_316
; %bb.309:                              ;   in Loop: Header=BB212_283 Depth=1
	v_lshrrev_b32_e32 v39, 24, v38
	v_dual_mov_b32 v20, s9 :: v_dual_mov_b32 v19, s8
	s_mov_b32 s23, exec_lo
	s_delay_alu instid0(VALU_DEP_2)
	v_cmpx_ne_u32_e32 0x80, v39
	s_cbranch_execz .LBB212_315
; %bb.310:                              ;   in Loop: Header=BB212_283 Depth=1
	s_mov_b32 s10, s8
	v_bfe_u32 v38, v38, 24, 7
	v_dual_mov_b32 v20, s11 :: v_dual_mov_b32 v19, s10
	s_mov_b32 s10, exec_lo
	s_delay_alu instid0(VALU_DEP_2)
	v_cmpx_ne_u32_e32 0x7f, v38
	s_cbranch_execz .LBB212_314
; %bb.311:                              ;   in Loop: Header=BB212_283 Depth=1
	v_and_b32_e32 v5, 7, v39
	v_lshrrev_b32_e32 v19, 3, v38
	s_mov_b32 s28, exec_lo
	v_cmpx_gt_u32_e32 8, v38
; %bb.312:                              ;   in Loop: Header=BB212_283 Depth=1
	s_delay_alu instid0(VALU_DEP_3) | instskip(NEXT) | instid1(VALU_DEP_1)
	v_clz_i32_u32_e32 v19, v5
	v_min_u32_e32 v19, 32, v19
	s_delay_alu instid0(VALU_DEP_1) | instskip(SKIP_1) | instid1(VALU_DEP_2)
	v_subrev_nc_u32_e32 v20, 28, v19
	v_sub_nc_u32_e32 v19, 29, v19
	v_lshlrev_b64 v[40:41], v20, v[5:6]
	s_delay_alu instid0(VALU_DEP_1)
	v_and_b32_e32 v5, 7, v40
; %bb.313:                              ;   in Loop: Header=BB212_283 Depth=1
	s_or_b32 exec_lo, exec_lo, s28
	v_lshlrev_b32_e32 v20, 24, v39
	s_delay_alu instid0(VALU_DEP_2) | instskip(SKIP_1) | instid1(VALU_DEP_3)
	v_lshlrev_b32_e32 v5, 20, v5
	v_lshl_add_u32 v19, v19, 23, 0x3c000000
	v_and_b32_e32 v20, 0x80000000, v20
	s_delay_alu instid0(VALU_DEP_1)
	v_or3_b32 v20, v5, v20, v19
	v_mov_b32_e32 v19, v6
.LBB212_314:                            ;   in Loop: Header=BB212_283 Depth=1
	s_or_b32 exec_lo, exec_lo, s10
.LBB212_315:                            ;   in Loop: Header=BB212_283 Depth=1
	s_delay_alu instid0(SALU_CYCLE_1)
	s_or_b32 exec_lo, exec_lo, s23
.LBB212_316:                            ;   in Loop: Header=BB212_283 Depth=1
	s_delay_alu instid0(SALU_CYCLE_1)
	s_or_b32 exec_lo, exec_lo, s1
	v_or_b32_e32 v5, v16, v14
	v_or_b32_e32 v13, v15, v13
	v_or_b32_e32 v14, v20, v18
	v_or_b32_e32 v15, v19, v17
	s_waitcnt lgkmcnt(0)
	v_dual_mul_f32 v41, s22, v5 :: v_dual_add_nc_u32 v42, v34, v44
	v_cmp_eq_u32_e64 s0, s18, v29
	s_delay_alu instid0(VALU_DEP_3) | instskip(SKIP_1) | instid1(VALU_DEP_3)
	v_dual_mul_f32 v40, s22, v13 :: v_dual_mul_f32 v39, s22, v15
	v_mul_f32_e32 v38, s22, v14
	s_and_saveexec_b32 s10, s0
; %bb.317:                              ;   in Loop: Header=BB212_283 Depth=1
	v_add_nc_u32_e32 v5, 1, v42
	v_cmp_gt_i32_e64 s1, s33, v42
	v_add_nc_u32_e32 v13, 2, v42
	v_add_nc_u32_e32 v14, 3, v42
	s_delay_alu instid0(VALU_DEP_3) | instskip(SKIP_1) | instid1(VALU_DEP_1)
	v_cndmask_b32_e64 v40, 0, v40, s1
	v_cmp_gt_i32_e64 s1, s33, v5
	v_cndmask_b32_e64 v41, 0, v41, s1
	v_cmp_gt_i32_e64 s1, s33, v13
	s_delay_alu instid0(VALU_DEP_1) | instskip(SKIP_1) | instid1(VALU_DEP_1)
	v_cndmask_b32_e64 v39, 0, v39, s1
	v_cmp_gt_i32_e64 s1, s33, v14
	v_cndmask_b32_e64 v38, 0, v38, s1
; %bb.318:                              ;   in Loop: Header=BB212_283 Depth=1
	s_or_b32 exec_lo, exec_lo, s10
	global_load_b32 v45, v[11:12], off offset:128
	v_mov_b32_e32 v15, 0
	v_mov_b32_e32 v16, 0
	s_mov_b32 s10, exec_lo
	s_waitcnt vmcnt(0)
	v_and_b32_e32 v5, 0xff, v45
	s_delay_alu instid0(VALU_DEP_2) | instskip(NEXT) | instid1(VALU_DEP_2)
	v_dual_mov_b32 v13, v15 :: v_dual_mov_b32 v14, v16
	v_cmpx_ne_u16_e32 0, v5
	s_cbranch_execz .LBB212_326
; %bb.319:                              ;   in Loop: Header=BB212_283 Depth=1
	v_bfrev_b32_e32 v13, 1
	v_mov_b32_e32 v14, 0
	s_mov_b32 s23, exec_lo
	v_cmpx_ne_u16_e32 0x80, v5
	s_cbranch_execz .LBB212_325
; %bb.320:                              ;   in Loop: Header=BB212_283 Depth=1
	v_mov_b32_e32 v13, 0x7f800001
	v_dual_mov_b32 v14, 0 :: v_dual_and_b32 v17, 0x7f, v45
	s_mov_b32 s28, exec_lo
	s_delay_alu instid0(VALU_DEP_1)
	v_cmpx_ne_u32_e32 0x7f, v17
	s_cbranch_execz .LBB212_324
; %bb.321:                              ;   in Loop: Header=BB212_283 Depth=1
	v_and_b32_e32 v5, 7, v45
	v_lshrrev_b32_e32 v13, 3, v17
	s_mov_b32 s30, exec_lo
	v_cmpx_gt_u32_e32 8, v17
; %bb.322:                              ;   in Loop: Header=BB212_283 Depth=1
	s_delay_alu instid0(VALU_DEP_3) | instskip(NEXT) | instid1(VALU_DEP_1)
	v_clz_i32_u32_e32 v13, v5
	v_min_u32_e32 v13, 32, v13
	s_delay_alu instid0(VALU_DEP_1) | instskip(SKIP_1) | instid1(VALU_DEP_2)
	v_subrev_nc_u32_e32 v14, 28, v13
	v_sub_nc_u32_e32 v13, 29, v13
	v_lshlrev_b64 v[17:18], v14, v[5:6]
	s_delay_alu instid0(VALU_DEP_1)
	v_and_b32_e32 v5, 7, v17
; %bb.323:                              ;   in Loop: Header=BB212_283 Depth=1
	s_or_b32 exec_lo, exec_lo, s30
	v_lshlrev_b32_e32 v14, 24, v45
	s_delay_alu instid0(VALU_DEP_2) | instskip(SKIP_1) | instid1(VALU_DEP_3)
	v_lshlrev_b32_e32 v5, 20, v5
	v_lshl_add_u32 v13, v13, 23, 0x3c000000
	v_and_b32_e32 v14, 0x80000000, v14
	s_delay_alu instid0(VALU_DEP_1) | instskip(NEXT) | instid1(VALU_DEP_1)
	v_or3_b32 v5, v5, v14, v13
	v_dual_mov_b32 v14, v6 :: v_dual_mov_b32 v13, v5
.LBB212_324:                            ;   in Loop: Header=BB212_283 Depth=1
	s_or_b32 exec_lo, exec_lo, s28
.LBB212_325:                            ;   in Loop: Header=BB212_283 Depth=1
	s_delay_alu instid0(SALU_CYCLE_1)
	s_or_b32 exec_lo, exec_lo, s23
.LBB212_326:                            ;   in Loop: Header=BB212_283 Depth=1
	s_delay_alu instid0(SALU_CYCLE_1) | instskip(SKIP_2) | instid1(VALU_DEP_1)
	s_or_b32 exec_lo, exec_lo, s10
	v_lshrrev_b16 v5, 8, v45
	s_mov_b32 s23, exec_lo
	v_cmpx_ne_u16_e32 0, v5
	s_cbranch_execz .LBB212_334
; %bb.327:                              ;   in Loop: Header=BB212_283 Depth=1
	v_dual_mov_b32 v16, s9 :: v_dual_mov_b32 v15, s8
	s_mov_b32 s28, exec_lo
	v_cmpx_ne_u16_e32 0x80, v5
	s_cbranch_execz .LBB212_333
; %bb.328:                              ;   in Loop: Header=BB212_283 Depth=1
	s_mov_b32 s10, s8
	v_dual_mov_b32 v16, s11 :: v_dual_and_b32 v5, 0xffff, v5
	v_mov_b32_e32 v15, s10
	s_mov_b32 s10, exec_lo
	s_delay_alu instid0(VALU_DEP_2) | instskip(NEXT) | instid1(VALU_DEP_1)
	v_and_b32_e32 v17, 0x7f, v5
	v_cmpx_ne_u32_e32 0x7f, v17
	s_cbranch_execz .LBB212_332
; %bb.329:                              ;   in Loop: Header=BB212_283 Depth=1
	v_and_b32_e32 v5, 7, v5
	v_lshrrev_b32_e32 v15, 3, v17
	s_mov_b32 s30, exec_lo
	v_cmpx_gt_u32_e32 8, v17
; %bb.330:                              ;   in Loop: Header=BB212_283 Depth=1
	s_delay_alu instid0(VALU_DEP_3) | instskip(NEXT) | instid1(VALU_DEP_1)
	v_clz_i32_u32_e32 v15, v5
	v_min_u32_e32 v15, 32, v15
	s_delay_alu instid0(VALU_DEP_1) | instskip(SKIP_1) | instid1(VALU_DEP_2)
	v_subrev_nc_u32_e32 v16, 28, v15
	v_sub_nc_u32_e32 v15, 29, v15
	v_lshlrev_b64 v[16:17], v16, v[5:6]
	s_delay_alu instid0(VALU_DEP_1)
	v_and_b32_e32 v5, 7, v16
; %bb.331:                              ;   in Loop: Header=BB212_283 Depth=1
	s_or_b32 exec_lo, exec_lo, s30
	v_lshlrev_b32_e32 v16, 16, v45
	s_delay_alu instid0(VALU_DEP_2) | instskip(SKIP_1) | instid1(VALU_DEP_3)
	v_lshlrev_b32_e32 v5, 20, v5
	v_lshl_add_u32 v15, v15, 23, 0x3c000000
	v_and_b32_e32 v16, 0x80000000, v16
	s_delay_alu instid0(VALU_DEP_1)
	v_or3_b32 v16, v5, v16, v15
	v_mov_b32_e32 v15, v6
.LBB212_332:                            ;   in Loop: Header=BB212_283 Depth=1
	s_or_b32 exec_lo, exec_lo, s10
.LBB212_333:                            ;   in Loop: Header=BB212_283 Depth=1
	s_delay_alu instid0(SALU_CYCLE_1)
	s_or_b32 exec_lo, exec_lo, s28
.LBB212_334:                            ;   in Loop: Header=BB212_283 Depth=1
	s_delay_alu instid0(SALU_CYCLE_1) | instskip(SKIP_4) | instid1(VALU_DEP_2)
	s_or_b32 exec_lo, exec_lo, s23
	v_mov_b32_e32 v19, 0
	v_lshrrev_b32_e32 v46, 16, v45
	v_mov_b32_e32 v20, 0
	s_mov_b32 s10, exec_lo
	v_and_b32_e32 v5, 0xff, v46
	s_delay_alu instid0(VALU_DEP_2) | instskip(NEXT) | instid1(VALU_DEP_2)
	v_dual_mov_b32 v17, v19 :: v_dual_mov_b32 v18, v20
	v_cmpx_ne_u16_e32 0, v5
	s_cbranch_execz .LBB212_342
; %bb.335:                              ;   in Loop: Header=BB212_283 Depth=1
	v_bfrev_b32_e32 v17, 1
	v_mov_b32_e32 v18, 0
	s_mov_b32 s23, exec_lo
	v_cmpx_ne_u16_e32 0x80, v5
	s_cbranch_execz .LBB212_341
; %bb.336:                              ;   in Loop: Header=BB212_283 Depth=1
	v_mov_b32_e32 v17, 0x7f800001
	v_bfe_u32 v47, v45, 16, 7
	v_mov_b32_e32 v18, 0
	s_mov_b32 s28, exec_lo
	s_delay_alu instid0(VALU_DEP_2)
	v_cmpx_ne_u32_e32 0x7f, v47
	s_cbranch_execz .LBB212_340
; %bb.337:                              ;   in Loop: Header=BB212_283 Depth=1
	v_and_b32_e32 v5, 7, v46
	v_lshrrev_b32_e32 v17, 3, v47
	s_mov_b32 s30, exec_lo
	v_cmpx_gt_u32_e32 8, v47
; %bb.338:                              ;   in Loop: Header=BB212_283 Depth=1
	s_delay_alu instid0(VALU_DEP_3) | instskip(NEXT) | instid1(VALU_DEP_1)
	v_clz_i32_u32_e32 v17, v5
	v_min_u32_e32 v17, 32, v17
	s_delay_alu instid0(VALU_DEP_1) | instskip(SKIP_1) | instid1(VALU_DEP_2)
	v_subrev_nc_u32_e32 v18, 28, v17
	v_sub_nc_u32_e32 v17, 29, v17
	v_lshlrev_b64 v[47:48], v18, v[5:6]
	s_delay_alu instid0(VALU_DEP_1)
	v_and_b32_e32 v5, 7, v47
; %bb.339:                              ;   in Loop: Header=BB212_283 Depth=1
	s_or_b32 exec_lo, exec_lo, s30
	v_lshlrev_b32_e32 v18, 24, v46
	s_delay_alu instid0(VALU_DEP_2) | instskip(SKIP_1) | instid1(VALU_DEP_3)
	v_lshlrev_b32_e32 v5, 20, v5
	v_lshl_add_u32 v17, v17, 23, 0x3c000000
	v_and_b32_e32 v18, 0x80000000, v18
	s_delay_alu instid0(VALU_DEP_1) | instskip(NEXT) | instid1(VALU_DEP_1)
	v_or3_b32 v5, v5, v18, v17
	v_dual_mov_b32 v18, v6 :: v_dual_mov_b32 v17, v5
.LBB212_340:                            ;   in Loop: Header=BB212_283 Depth=1
	s_or_b32 exec_lo, exec_lo, s28
.LBB212_341:                            ;   in Loop: Header=BB212_283 Depth=1
	s_delay_alu instid0(SALU_CYCLE_1)
	s_or_b32 exec_lo, exec_lo, s23
.LBB212_342:                            ;   in Loop: Header=BB212_283 Depth=1
	s_delay_alu instid0(SALU_CYCLE_1) | instskip(NEXT) | instid1(SALU_CYCLE_1)
	s_or_b32 exec_lo, exec_lo, s10
	s_mov_b32 s23, exec_lo
	v_cmpx_lt_u32_e32 0xffffff, v45
	s_cbranch_execz .LBB212_350
; %bb.343:                              ;   in Loop: Header=BB212_283 Depth=1
	v_lshrrev_b32_e32 v46, 24, v45
	v_dual_mov_b32 v20, s9 :: v_dual_mov_b32 v19, s8
	s_mov_b32 s28, exec_lo
	s_delay_alu instid0(VALU_DEP_2)
	v_cmpx_ne_u32_e32 0x80, v46
	s_cbranch_execz .LBB212_349
; %bb.344:                              ;   in Loop: Header=BB212_283 Depth=1
	s_mov_b32 s10, s8
	v_bfe_u32 v45, v45, 24, 7
	v_dual_mov_b32 v20, s11 :: v_dual_mov_b32 v19, s10
	s_mov_b32 s10, exec_lo
	s_delay_alu instid0(VALU_DEP_2)
	v_cmpx_ne_u32_e32 0x7f, v45
	s_cbranch_execz .LBB212_348
; %bb.345:                              ;   in Loop: Header=BB212_283 Depth=1
	v_and_b32_e32 v5, 7, v46
	v_lshrrev_b32_e32 v19, 3, v45
	s_mov_b32 s30, exec_lo
	v_cmpx_gt_u32_e32 8, v45
; %bb.346:                              ;   in Loop: Header=BB212_283 Depth=1
	s_delay_alu instid0(VALU_DEP_3) | instskip(NEXT) | instid1(VALU_DEP_1)
	v_clz_i32_u32_e32 v19, v5
	v_min_u32_e32 v19, 32, v19
	s_delay_alu instid0(VALU_DEP_1) | instskip(SKIP_1) | instid1(VALU_DEP_2)
	v_subrev_nc_u32_e32 v20, 28, v19
	v_sub_nc_u32_e32 v19, 29, v19
	v_lshlrev_b64 v[47:48], v20, v[5:6]
	s_delay_alu instid0(VALU_DEP_1)
	v_and_b32_e32 v5, 7, v47
; %bb.347:                              ;   in Loop: Header=BB212_283 Depth=1
	s_or_b32 exec_lo, exec_lo, s30
	v_lshlrev_b32_e32 v20, 24, v46
	s_delay_alu instid0(VALU_DEP_2) | instskip(SKIP_1) | instid1(VALU_DEP_3)
	v_lshlrev_b32_e32 v5, 20, v5
	v_lshl_add_u32 v19, v19, 23, 0x3c000000
	v_and_b32_e32 v20, 0x80000000, v20
	s_delay_alu instid0(VALU_DEP_1)
	v_or3_b32 v20, v5, v20, v19
	v_mov_b32_e32 v19, v6
.LBB212_348:                            ;   in Loop: Header=BB212_283 Depth=1
	s_or_b32 exec_lo, exec_lo, s10
.LBB212_349:                            ;   in Loop: Header=BB212_283 Depth=1
	s_delay_alu instid0(SALU_CYCLE_1)
	s_or_b32 exec_lo, exec_lo, s28
.LBB212_350:                            ;   in Loop: Header=BB212_283 Depth=1
	s_delay_alu instid0(SALU_CYCLE_1)
	s_or_b32 exec_lo, exec_lo, s23
	v_or_b32_e32 v5, v16, v14
	v_or_b32_e32 v13, v15, v13
	;; [unrolled: 1-line block ×4, first 2 shown]
	s_mov_b32 s23, s22
	s_delay_alu instid0(VALU_DEP_2) | instid1(SALU_CYCLE_1)
	v_dual_mul_f32 v48, s23, v5 :: v_dual_mul_f32 v45, s23, v14
	s_delay_alu instid0(VALU_DEP_2)
	v_dual_mul_f32 v47, s22, v13 :: v_dual_mul_f32 v46, s22, v15
	s_and_saveexec_b32 s10, s0
; %bb.351:                              ;   in Loop: Header=BB212_283 Depth=1
	v_add_nc_u32_e32 v5, 1, v42
	v_cmp_gt_i32_e64 s1, s33, v42
	v_add_nc_u32_e32 v13, 2, v42
	v_add_nc_u32_e32 v14, 3, v42
	s_delay_alu instid0(VALU_DEP_3) | instskip(SKIP_1) | instid1(VALU_DEP_1)
	v_cndmask_b32_e64 v47, 0, v47, s1
	v_cmp_gt_i32_e64 s1, s33, v5
	v_cndmask_b32_e64 v48, 0, v48, s1
	v_cmp_gt_i32_e64 s1, s33, v13
	s_delay_alu instid0(VALU_DEP_1) | instskip(SKIP_1) | instid1(VALU_DEP_1)
	v_cndmask_b32_e64 v46, 0, v46, s1
	v_cmp_gt_i32_e64 s1, s33, v14
	v_cndmask_b32_e64 v45, 0, v45, s1
; %bb.352:                              ;   in Loop: Header=BB212_283 Depth=1
	s_or_b32 exec_lo, exec_lo, s10
	global_load_b32 v49, v[11:12], off offset:256
	v_mov_b32_e32 v15, 0
	v_mov_b32_e32 v16, 0
	s_mov_b32 s10, exec_lo
	s_waitcnt vmcnt(0)
	v_and_b32_e32 v5, 0xff, v49
	s_delay_alu instid0(VALU_DEP_2) | instskip(NEXT) | instid1(VALU_DEP_2)
	v_dual_mov_b32 v13, v15 :: v_dual_mov_b32 v14, v16
	v_cmpx_ne_u16_e32 0, v5
	s_cbranch_execz .LBB212_360
; %bb.353:                              ;   in Loop: Header=BB212_283 Depth=1
	v_bfrev_b32_e32 v13, 1
	v_mov_b32_e32 v14, 0
	s_mov_b32 s28, exec_lo
	v_cmpx_ne_u16_e32 0x80, v5
	s_cbranch_execz .LBB212_359
; %bb.354:                              ;   in Loop: Header=BB212_283 Depth=1
	v_mov_b32_e32 v13, 0x7f800001
	v_dual_mov_b32 v14, 0 :: v_dual_and_b32 v17, 0x7f, v49
	s_mov_b32 s30, exec_lo
	s_delay_alu instid0(VALU_DEP_1)
	v_cmpx_ne_u32_e32 0x7f, v17
	s_cbranch_execz .LBB212_358
; %bb.355:                              ;   in Loop: Header=BB212_283 Depth=1
	v_and_b32_e32 v5, 7, v49
	v_lshrrev_b32_e32 v13, 3, v17
	s_mov_b32 s31, exec_lo
	v_cmpx_gt_u32_e32 8, v17
; %bb.356:                              ;   in Loop: Header=BB212_283 Depth=1
	s_delay_alu instid0(VALU_DEP_3) | instskip(NEXT) | instid1(VALU_DEP_1)
	v_clz_i32_u32_e32 v13, v5
	v_min_u32_e32 v13, 32, v13
	s_delay_alu instid0(VALU_DEP_1) | instskip(SKIP_1) | instid1(VALU_DEP_2)
	v_subrev_nc_u32_e32 v14, 28, v13
	v_sub_nc_u32_e32 v13, 29, v13
	v_lshlrev_b64 v[17:18], v14, v[5:6]
	s_delay_alu instid0(VALU_DEP_1)
	v_and_b32_e32 v5, 7, v17
; %bb.357:                              ;   in Loop: Header=BB212_283 Depth=1
	s_or_b32 exec_lo, exec_lo, s31
	v_lshlrev_b32_e32 v14, 24, v49
	s_delay_alu instid0(VALU_DEP_2) | instskip(SKIP_1) | instid1(VALU_DEP_3)
	v_lshlrev_b32_e32 v5, 20, v5
	v_lshl_add_u32 v13, v13, 23, 0x3c000000
	v_and_b32_e32 v14, 0x80000000, v14
	s_delay_alu instid0(VALU_DEP_1) | instskip(NEXT) | instid1(VALU_DEP_1)
	v_or3_b32 v5, v5, v14, v13
	v_dual_mov_b32 v14, v6 :: v_dual_mov_b32 v13, v5
.LBB212_358:                            ;   in Loop: Header=BB212_283 Depth=1
	s_or_b32 exec_lo, exec_lo, s30
.LBB212_359:                            ;   in Loop: Header=BB212_283 Depth=1
	s_delay_alu instid0(SALU_CYCLE_1)
	s_or_b32 exec_lo, exec_lo, s28
.LBB212_360:                            ;   in Loop: Header=BB212_283 Depth=1
	s_delay_alu instid0(SALU_CYCLE_1) | instskip(SKIP_2) | instid1(VALU_DEP_1)
	s_or_b32 exec_lo, exec_lo, s10
	v_lshrrev_b16 v5, 8, v49
	s_mov_b32 s28, exec_lo
	v_cmpx_ne_u16_e32 0, v5
	s_cbranch_execz .LBB212_368
; %bb.361:                              ;   in Loop: Header=BB212_283 Depth=1
	v_dual_mov_b32 v16, s9 :: v_dual_mov_b32 v15, s8
	s_mov_b32 s30, exec_lo
	v_cmpx_ne_u16_e32 0x80, v5
	s_cbranch_execz .LBB212_367
; %bb.362:                              ;   in Loop: Header=BB212_283 Depth=1
	s_mov_b32 s10, s8
	v_dual_mov_b32 v16, s11 :: v_dual_and_b32 v5, 0xffff, v5
	v_mov_b32_e32 v15, s10
	s_mov_b32 s10, exec_lo
	s_delay_alu instid0(VALU_DEP_2) | instskip(NEXT) | instid1(VALU_DEP_1)
	v_and_b32_e32 v17, 0x7f, v5
	v_cmpx_ne_u32_e32 0x7f, v17
	s_cbranch_execz .LBB212_366
; %bb.363:                              ;   in Loop: Header=BB212_283 Depth=1
	v_and_b32_e32 v5, 7, v5
	v_lshrrev_b32_e32 v15, 3, v17
	s_mov_b32 s31, exec_lo
	v_cmpx_gt_u32_e32 8, v17
; %bb.364:                              ;   in Loop: Header=BB212_283 Depth=1
	s_delay_alu instid0(VALU_DEP_3) | instskip(NEXT) | instid1(VALU_DEP_1)
	v_clz_i32_u32_e32 v15, v5
	v_min_u32_e32 v15, 32, v15
	s_delay_alu instid0(VALU_DEP_1) | instskip(SKIP_1) | instid1(VALU_DEP_2)
	v_subrev_nc_u32_e32 v16, 28, v15
	v_sub_nc_u32_e32 v15, 29, v15
	v_lshlrev_b64 v[16:17], v16, v[5:6]
	s_delay_alu instid0(VALU_DEP_1)
	v_and_b32_e32 v5, 7, v16
; %bb.365:                              ;   in Loop: Header=BB212_283 Depth=1
	s_or_b32 exec_lo, exec_lo, s31
	v_lshlrev_b32_e32 v16, 16, v49
	s_delay_alu instid0(VALU_DEP_2) | instskip(SKIP_1) | instid1(VALU_DEP_3)
	v_lshlrev_b32_e32 v5, 20, v5
	v_lshl_add_u32 v15, v15, 23, 0x3c000000
	v_and_b32_e32 v16, 0x80000000, v16
	s_delay_alu instid0(VALU_DEP_1)
	v_or3_b32 v16, v5, v16, v15
	v_mov_b32_e32 v15, v6
.LBB212_366:                            ;   in Loop: Header=BB212_283 Depth=1
	s_or_b32 exec_lo, exec_lo, s10
.LBB212_367:                            ;   in Loop: Header=BB212_283 Depth=1
	s_delay_alu instid0(SALU_CYCLE_1)
	s_or_b32 exec_lo, exec_lo, s30
.LBB212_368:                            ;   in Loop: Header=BB212_283 Depth=1
	s_delay_alu instid0(SALU_CYCLE_1) | instskip(SKIP_4) | instid1(VALU_DEP_2)
	s_or_b32 exec_lo, exec_lo, s28
	v_mov_b32_e32 v19, 0
	v_lshrrev_b32_e32 v50, 16, v49
	v_mov_b32_e32 v20, 0
	s_mov_b32 s10, exec_lo
	v_and_b32_e32 v5, 0xff, v50
	s_delay_alu instid0(VALU_DEP_2) | instskip(NEXT) | instid1(VALU_DEP_2)
	v_dual_mov_b32 v17, v19 :: v_dual_mov_b32 v18, v20
	v_cmpx_ne_u16_e32 0, v5
	s_cbranch_execz .LBB212_376
; %bb.369:                              ;   in Loop: Header=BB212_283 Depth=1
	v_bfrev_b32_e32 v17, 1
	v_mov_b32_e32 v18, 0
	s_mov_b32 s28, exec_lo
	v_cmpx_ne_u16_e32 0x80, v5
	s_cbranch_execz .LBB212_375
; %bb.370:                              ;   in Loop: Header=BB212_283 Depth=1
	v_mov_b32_e32 v17, 0x7f800001
	v_bfe_u32 v51, v49, 16, 7
	v_mov_b32_e32 v18, 0
	s_mov_b32 s30, exec_lo
	s_delay_alu instid0(VALU_DEP_2)
	v_cmpx_ne_u32_e32 0x7f, v51
	s_cbranch_execz .LBB212_374
; %bb.371:                              ;   in Loop: Header=BB212_283 Depth=1
	v_and_b32_e32 v5, 7, v50
	v_lshrrev_b32_e32 v17, 3, v51
	s_mov_b32 s31, exec_lo
	v_cmpx_gt_u32_e32 8, v51
; %bb.372:                              ;   in Loop: Header=BB212_283 Depth=1
	s_delay_alu instid0(VALU_DEP_3) | instskip(NEXT) | instid1(VALU_DEP_1)
	v_clz_i32_u32_e32 v17, v5
	v_min_u32_e32 v17, 32, v17
	s_delay_alu instid0(VALU_DEP_1) | instskip(SKIP_1) | instid1(VALU_DEP_2)
	v_subrev_nc_u32_e32 v18, 28, v17
	v_sub_nc_u32_e32 v17, 29, v17
	v_lshlrev_b64 v[51:52], v18, v[5:6]
	s_delay_alu instid0(VALU_DEP_1)
	v_and_b32_e32 v5, 7, v51
; %bb.373:                              ;   in Loop: Header=BB212_283 Depth=1
	s_or_b32 exec_lo, exec_lo, s31
	v_lshlrev_b32_e32 v18, 24, v50
	s_delay_alu instid0(VALU_DEP_2) | instskip(SKIP_1) | instid1(VALU_DEP_3)
	v_lshlrev_b32_e32 v5, 20, v5
	v_lshl_add_u32 v17, v17, 23, 0x3c000000
	v_and_b32_e32 v18, 0x80000000, v18
	s_delay_alu instid0(VALU_DEP_1) | instskip(NEXT) | instid1(VALU_DEP_1)
	v_or3_b32 v5, v5, v18, v17
	v_dual_mov_b32 v18, v6 :: v_dual_mov_b32 v17, v5
.LBB212_374:                            ;   in Loop: Header=BB212_283 Depth=1
	s_or_b32 exec_lo, exec_lo, s30
.LBB212_375:                            ;   in Loop: Header=BB212_283 Depth=1
	s_delay_alu instid0(SALU_CYCLE_1)
	s_or_b32 exec_lo, exec_lo, s28
.LBB212_376:                            ;   in Loop: Header=BB212_283 Depth=1
	s_delay_alu instid0(SALU_CYCLE_1) | instskip(NEXT) | instid1(SALU_CYCLE_1)
	s_or_b32 exec_lo, exec_lo, s10
	s_mov_b32 s28, exec_lo
	v_cmpx_lt_u32_e32 0xffffff, v49
	s_cbranch_execz .LBB212_384
; %bb.377:                              ;   in Loop: Header=BB212_283 Depth=1
	v_lshrrev_b32_e32 v50, 24, v49
	v_dual_mov_b32 v20, s9 :: v_dual_mov_b32 v19, s8
	s_mov_b32 s30, exec_lo
	s_delay_alu instid0(VALU_DEP_2)
	v_cmpx_ne_u32_e32 0x80, v50
	s_cbranch_execz .LBB212_383
; %bb.378:                              ;   in Loop: Header=BB212_283 Depth=1
	s_mov_b32 s10, s8
	v_bfe_u32 v49, v49, 24, 7
	v_dual_mov_b32 v20, s11 :: v_dual_mov_b32 v19, s10
	s_mov_b32 s10, exec_lo
	s_delay_alu instid0(VALU_DEP_2)
	v_cmpx_ne_u32_e32 0x7f, v49
	s_cbranch_execz .LBB212_382
; %bb.379:                              ;   in Loop: Header=BB212_283 Depth=1
	v_and_b32_e32 v5, 7, v50
	v_lshrrev_b32_e32 v19, 3, v49
	s_mov_b32 s31, exec_lo
	v_cmpx_gt_u32_e32 8, v49
; %bb.380:                              ;   in Loop: Header=BB212_283 Depth=1
	s_delay_alu instid0(VALU_DEP_3) | instskip(NEXT) | instid1(VALU_DEP_1)
	v_clz_i32_u32_e32 v19, v5
	v_min_u32_e32 v19, 32, v19
	s_delay_alu instid0(VALU_DEP_1) | instskip(SKIP_1) | instid1(VALU_DEP_2)
	v_subrev_nc_u32_e32 v20, 28, v19
	v_sub_nc_u32_e32 v19, 29, v19
	v_lshlrev_b64 v[51:52], v20, v[5:6]
	s_delay_alu instid0(VALU_DEP_1)
	v_and_b32_e32 v5, 7, v51
; %bb.381:                              ;   in Loop: Header=BB212_283 Depth=1
	s_or_b32 exec_lo, exec_lo, s31
	v_lshlrev_b32_e32 v20, 24, v50
	s_delay_alu instid0(VALU_DEP_2) | instskip(SKIP_1) | instid1(VALU_DEP_3)
	v_lshlrev_b32_e32 v5, 20, v5
	v_lshl_add_u32 v19, v19, 23, 0x3c000000
	v_and_b32_e32 v20, 0x80000000, v20
	s_delay_alu instid0(VALU_DEP_1)
	v_or3_b32 v20, v5, v20, v19
	v_mov_b32_e32 v19, v6
.LBB212_382:                            ;   in Loop: Header=BB212_283 Depth=1
	s_or_b32 exec_lo, exec_lo, s10
.LBB212_383:                            ;   in Loop: Header=BB212_283 Depth=1
	s_delay_alu instid0(SALU_CYCLE_1)
	s_or_b32 exec_lo, exec_lo, s30
.LBB212_384:                            ;   in Loop: Header=BB212_283 Depth=1
	s_delay_alu instid0(SALU_CYCLE_1) | instskip(SKIP_4) | instid1(VALU_DEP_4)
	s_or_b32 exec_lo, exec_lo, s28
	v_or_b32_e32 v5, v16, v14
	v_or_b32_e32 v13, v15, v13
	;; [unrolled: 1-line block ×4, first 2 shown]
	v_mul_f32_e32 v52, s23, v5
	s_delay_alu instid0(VALU_DEP_4) | instskip(NEXT) | instid1(VALU_DEP_3)
	v_mul_f32_e32 v51, s22, v13
	v_dual_mul_f32 v49, s23, v14 :: v_dual_mul_f32 v50, s22, v15
	s_and_saveexec_b32 s10, s0
; %bb.385:                              ;   in Loop: Header=BB212_283 Depth=1
	v_add_nc_u32_e32 v5, 1, v42
	v_cmp_gt_i32_e64 s1, s33, v42
	v_add_nc_u32_e32 v13, 2, v42
	v_add_nc_u32_e32 v14, 3, v42
	s_delay_alu instid0(VALU_DEP_3) | instskip(SKIP_1) | instid1(VALU_DEP_1)
	v_cndmask_b32_e64 v51, 0, v51, s1
	v_cmp_gt_i32_e64 s1, s33, v5
	v_cndmask_b32_e64 v52, 0, v52, s1
	v_cmp_gt_i32_e64 s1, s33, v13
	s_delay_alu instid0(VALU_DEP_1) | instskip(SKIP_1) | instid1(VALU_DEP_1)
	v_cndmask_b32_e64 v50, 0, v50, s1
	v_cmp_gt_i32_e64 s1, s33, v14
	v_cndmask_b32_e64 v49, 0, v49, s1
; %bb.386:                              ;   in Loop: Header=BB212_283 Depth=1
	s_or_b32 exec_lo, exec_lo, s10
	global_load_b32 v53, v[11:12], off offset:384
	v_mov_b32_e32 v15, 0
	v_mov_b32_e32 v16, 0
	s_mov_b32 s10, exec_lo
	s_waitcnt vmcnt(0)
	v_and_b32_e32 v5, 0xff, v53
	s_delay_alu instid0(VALU_DEP_2) | instskip(NEXT) | instid1(VALU_DEP_2)
	v_dual_mov_b32 v13, v15 :: v_dual_mov_b32 v14, v16
	v_cmpx_ne_u16_e32 0, v5
	s_cbranch_execz .LBB212_394
; %bb.387:                              ;   in Loop: Header=BB212_283 Depth=1
	v_bfrev_b32_e32 v13, 1
	v_mov_b32_e32 v14, 0
	s_mov_b32 s28, exec_lo
	v_cmpx_ne_u16_e32 0x80, v5
	s_cbranch_execz .LBB212_393
; %bb.388:                              ;   in Loop: Header=BB212_283 Depth=1
	v_mov_b32_e32 v13, 0x7f800001
	v_dual_mov_b32 v14, 0 :: v_dual_and_b32 v17, 0x7f, v53
	s_mov_b32 s30, exec_lo
	s_delay_alu instid0(VALU_DEP_1)
	v_cmpx_ne_u32_e32 0x7f, v17
	s_cbranch_execz .LBB212_392
; %bb.389:                              ;   in Loop: Header=BB212_283 Depth=1
	v_and_b32_e32 v5, 7, v53
	v_lshrrev_b32_e32 v13, 3, v17
	s_mov_b32 s31, exec_lo
	v_cmpx_gt_u32_e32 8, v17
; %bb.390:                              ;   in Loop: Header=BB212_283 Depth=1
	s_delay_alu instid0(VALU_DEP_3) | instskip(NEXT) | instid1(VALU_DEP_1)
	v_clz_i32_u32_e32 v13, v5
	v_min_u32_e32 v13, 32, v13
	s_delay_alu instid0(VALU_DEP_1) | instskip(SKIP_1) | instid1(VALU_DEP_2)
	v_subrev_nc_u32_e32 v14, 28, v13
	v_sub_nc_u32_e32 v13, 29, v13
	v_lshlrev_b64 v[17:18], v14, v[5:6]
	s_delay_alu instid0(VALU_DEP_1)
	v_and_b32_e32 v5, 7, v17
; %bb.391:                              ;   in Loop: Header=BB212_283 Depth=1
	s_or_b32 exec_lo, exec_lo, s31
	v_lshlrev_b32_e32 v14, 24, v53
	s_delay_alu instid0(VALU_DEP_2) | instskip(SKIP_1) | instid1(VALU_DEP_3)
	v_lshlrev_b32_e32 v5, 20, v5
	v_lshl_add_u32 v13, v13, 23, 0x3c000000
	v_and_b32_e32 v14, 0x80000000, v14
	s_delay_alu instid0(VALU_DEP_1) | instskip(NEXT) | instid1(VALU_DEP_1)
	v_or3_b32 v5, v5, v14, v13
	v_dual_mov_b32 v14, v6 :: v_dual_mov_b32 v13, v5
.LBB212_392:                            ;   in Loop: Header=BB212_283 Depth=1
	s_or_b32 exec_lo, exec_lo, s30
.LBB212_393:                            ;   in Loop: Header=BB212_283 Depth=1
	s_delay_alu instid0(SALU_CYCLE_1)
	s_or_b32 exec_lo, exec_lo, s28
.LBB212_394:                            ;   in Loop: Header=BB212_283 Depth=1
	s_delay_alu instid0(SALU_CYCLE_1) | instskip(SKIP_2) | instid1(VALU_DEP_1)
	s_or_b32 exec_lo, exec_lo, s10
	v_lshrrev_b16 v5, 8, v53
	s_mov_b32 s28, exec_lo
	v_cmpx_ne_u16_e32 0, v5
	s_cbranch_execz .LBB212_402
; %bb.395:                              ;   in Loop: Header=BB212_283 Depth=1
	v_dual_mov_b32 v16, s9 :: v_dual_mov_b32 v15, s8
	s_mov_b32 s30, exec_lo
	v_cmpx_ne_u16_e32 0x80, v5
	s_cbranch_execz .LBB212_401
; %bb.396:                              ;   in Loop: Header=BB212_283 Depth=1
	s_mov_b32 s10, s8
	v_dual_mov_b32 v16, s11 :: v_dual_and_b32 v5, 0xffff, v5
	v_mov_b32_e32 v15, s10
	s_mov_b32 s10, exec_lo
	s_delay_alu instid0(VALU_DEP_2) | instskip(NEXT) | instid1(VALU_DEP_1)
	v_and_b32_e32 v17, 0x7f, v5
	v_cmpx_ne_u32_e32 0x7f, v17
	s_cbranch_execz .LBB212_400
; %bb.397:                              ;   in Loop: Header=BB212_283 Depth=1
	v_and_b32_e32 v5, 7, v5
	v_lshrrev_b32_e32 v15, 3, v17
	s_mov_b32 s31, exec_lo
	v_cmpx_gt_u32_e32 8, v17
; %bb.398:                              ;   in Loop: Header=BB212_283 Depth=1
	s_delay_alu instid0(VALU_DEP_3) | instskip(NEXT) | instid1(VALU_DEP_1)
	v_clz_i32_u32_e32 v15, v5
	v_min_u32_e32 v15, 32, v15
	s_delay_alu instid0(VALU_DEP_1) | instskip(SKIP_1) | instid1(VALU_DEP_2)
	v_subrev_nc_u32_e32 v16, 28, v15
	v_sub_nc_u32_e32 v15, 29, v15
	v_lshlrev_b64 v[16:17], v16, v[5:6]
	s_delay_alu instid0(VALU_DEP_1)
	v_and_b32_e32 v5, 7, v16
; %bb.399:                              ;   in Loop: Header=BB212_283 Depth=1
	s_or_b32 exec_lo, exec_lo, s31
	v_lshlrev_b32_e32 v16, 16, v53
	s_delay_alu instid0(VALU_DEP_2) | instskip(SKIP_1) | instid1(VALU_DEP_3)
	v_lshlrev_b32_e32 v5, 20, v5
	v_lshl_add_u32 v15, v15, 23, 0x3c000000
	v_and_b32_e32 v16, 0x80000000, v16
	s_delay_alu instid0(VALU_DEP_1)
	v_or3_b32 v16, v5, v16, v15
	v_mov_b32_e32 v15, v6
.LBB212_400:                            ;   in Loop: Header=BB212_283 Depth=1
	s_or_b32 exec_lo, exec_lo, s10
.LBB212_401:                            ;   in Loop: Header=BB212_283 Depth=1
	s_delay_alu instid0(SALU_CYCLE_1)
	s_or_b32 exec_lo, exec_lo, s30
.LBB212_402:                            ;   in Loop: Header=BB212_283 Depth=1
	s_delay_alu instid0(SALU_CYCLE_1) | instskip(SKIP_4) | instid1(VALU_DEP_2)
	s_or_b32 exec_lo, exec_lo, s28
	v_mov_b32_e32 v19, 0
	v_lshrrev_b32_e32 v54, 16, v53
	v_mov_b32_e32 v20, 0
	s_mov_b32 s10, exec_lo
	v_and_b32_e32 v5, 0xff, v54
	s_delay_alu instid0(VALU_DEP_2) | instskip(NEXT) | instid1(VALU_DEP_2)
	v_dual_mov_b32 v17, v19 :: v_dual_mov_b32 v18, v20
	v_cmpx_ne_u16_e32 0, v5
	s_cbranch_execz .LBB212_410
; %bb.403:                              ;   in Loop: Header=BB212_283 Depth=1
	v_bfrev_b32_e32 v17, 1
	v_mov_b32_e32 v18, 0
	s_mov_b32 s28, exec_lo
	v_cmpx_ne_u16_e32 0x80, v5
	s_cbranch_execz .LBB212_409
; %bb.404:                              ;   in Loop: Header=BB212_283 Depth=1
	v_mov_b32_e32 v17, 0x7f800001
	v_bfe_u32 v55, v53, 16, 7
	v_mov_b32_e32 v18, 0
	s_mov_b32 s30, exec_lo
	s_delay_alu instid0(VALU_DEP_2)
	v_cmpx_ne_u32_e32 0x7f, v55
	s_cbranch_execz .LBB212_408
; %bb.405:                              ;   in Loop: Header=BB212_283 Depth=1
	v_and_b32_e32 v5, 7, v54
	v_lshrrev_b32_e32 v17, 3, v55
	s_mov_b32 s31, exec_lo
	v_cmpx_gt_u32_e32 8, v55
; %bb.406:                              ;   in Loop: Header=BB212_283 Depth=1
	s_delay_alu instid0(VALU_DEP_3) | instskip(NEXT) | instid1(VALU_DEP_1)
	v_clz_i32_u32_e32 v17, v5
	v_min_u32_e32 v17, 32, v17
	s_delay_alu instid0(VALU_DEP_1) | instskip(SKIP_1) | instid1(VALU_DEP_2)
	v_subrev_nc_u32_e32 v18, 28, v17
	v_sub_nc_u32_e32 v17, 29, v17
	v_lshlrev_b64 v[55:56], v18, v[5:6]
	s_delay_alu instid0(VALU_DEP_1)
	v_and_b32_e32 v5, 7, v55
; %bb.407:                              ;   in Loop: Header=BB212_283 Depth=1
	s_or_b32 exec_lo, exec_lo, s31
	v_lshlrev_b32_e32 v18, 24, v54
	s_delay_alu instid0(VALU_DEP_2) | instskip(SKIP_1) | instid1(VALU_DEP_3)
	v_lshlrev_b32_e32 v5, 20, v5
	v_lshl_add_u32 v17, v17, 23, 0x3c000000
	v_and_b32_e32 v18, 0x80000000, v18
	s_delay_alu instid0(VALU_DEP_1) | instskip(NEXT) | instid1(VALU_DEP_1)
	v_or3_b32 v5, v5, v18, v17
	v_dual_mov_b32 v18, v6 :: v_dual_mov_b32 v17, v5
.LBB212_408:                            ;   in Loop: Header=BB212_283 Depth=1
	s_or_b32 exec_lo, exec_lo, s30
.LBB212_409:                            ;   in Loop: Header=BB212_283 Depth=1
	s_delay_alu instid0(SALU_CYCLE_1)
	s_or_b32 exec_lo, exec_lo, s28
.LBB212_410:                            ;   in Loop: Header=BB212_283 Depth=1
	s_delay_alu instid0(SALU_CYCLE_1) | instskip(NEXT) | instid1(SALU_CYCLE_1)
	s_or_b32 exec_lo, exec_lo, s10
	s_mov_b32 s28, exec_lo
	v_cmpx_lt_u32_e32 0xffffff, v53
	s_cbranch_execz .LBB212_418
; %bb.411:                              ;   in Loop: Header=BB212_283 Depth=1
	v_lshrrev_b32_e32 v54, 24, v53
	v_dual_mov_b32 v20, s9 :: v_dual_mov_b32 v19, s8
	s_mov_b32 s30, exec_lo
	s_delay_alu instid0(VALU_DEP_2)
	v_cmpx_ne_u32_e32 0x80, v54
	s_cbranch_execz .LBB212_417
; %bb.412:                              ;   in Loop: Header=BB212_283 Depth=1
	s_mov_b32 s10, s8
	v_bfe_u32 v53, v53, 24, 7
	v_dual_mov_b32 v20, s11 :: v_dual_mov_b32 v19, s10
	s_mov_b32 s10, exec_lo
	s_delay_alu instid0(VALU_DEP_2)
	v_cmpx_ne_u32_e32 0x7f, v53
	s_cbranch_execz .LBB212_416
; %bb.413:                              ;   in Loop: Header=BB212_283 Depth=1
	v_and_b32_e32 v5, 7, v54
	v_lshrrev_b32_e32 v19, 3, v53
	s_mov_b32 s31, exec_lo
	v_cmpx_gt_u32_e32 8, v53
; %bb.414:                              ;   in Loop: Header=BB212_283 Depth=1
	s_delay_alu instid0(VALU_DEP_3) | instskip(NEXT) | instid1(VALU_DEP_1)
	v_clz_i32_u32_e32 v19, v5
	v_min_u32_e32 v19, 32, v19
	s_delay_alu instid0(VALU_DEP_1) | instskip(SKIP_1) | instid1(VALU_DEP_2)
	v_subrev_nc_u32_e32 v20, 28, v19
	v_sub_nc_u32_e32 v19, 29, v19
	v_lshlrev_b64 v[55:56], v20, v[5:6]
	s_delay_alu instid0(VALU_DEP_1)
	v_and_b32_e32 v5, 7, v55
; %bb.415:                              ;   in Loop: Header=BB212_283 Depth=1
	s_or_b32 exec_lo, exec_lo, s31
	v_lshlrev_b32_e32 v20, 24, v54
	s_delay_alu instid0(VALU_DEP_2) | instskip(SKIP_1) | instid1(VALU_DEP_3)
	v_lshlrev_b32_e32 v5, 20, v5
	v_lshl_add_u32 v19, v19, 23, 0x3c000000
	v_and_b32_e32 v20, 0x80000000, v20
	s_delay_alu instid0(VALU_DEP_1)
	v_or3_b32 v20, v5, v20, v19
	v_mov_b32_e32 v19, v6
.LBB212_416:                            ;   in Loop: Header=BB212_283 Depth=1
	s_or_b32 exec_lo, exec_lo, s10
.LBB212_417:                            ;   in Loop: Header=BB212_283 Depth=1
	s_delay_alu instid0(SALU_CYCLE_1)
	s_or_b32 exec_lo, exec_lo, s30
.LBB212_418:                            ;   in Loop: Header=BB212_283 Depth=1
	s_delay_alu instid0(SALU_CYCLE_1) | instskip(SKIP_4) | instid1(VALU_DEP_4)
	s_or_b32 exec_lo, exec_lo, s28
	v_or_b32_e32 v5, v16, v14
	v_or_b32_e32 v13, v15, v13
	;; [unrolled: 1-line block ×4, first 2 shown]
	v_mul_f32_e32 v56, s23, v5
	s_delay_alu instid0(VALU_DEP_4) | instskip(NEXT) | instid1(VALU_DEP_3)
	v_mul_f32_e32 v55, s22, v13
	v_dual_mul_f32 v53, s23, v14 :: v_dual_mul_f32 v54, s22, v15
	s_and_saveexec_b32 s10, s0
; %bb.419:                              ;   in Loop: Header=BB212_283 Depth=1
	v_add_nc_u32_e32 v5, 1, v42
	v_cmp_gt_i32_e64 s1, s33, v42
	v_add_nc_u32_e32 v13, 2, v42
	v_add_nc_u32_e32 v14, 3, v42
	s_delay_alu instid0(VALU_DEP_3) | instskip(SKIP_1) | instid1(VALU_DEP_1)
	v_cndmask_b32_e64 v55, 0, v55, s1
	v_cmp_gt_i32_e64 s1, s33, v5
	v_cndmask_b32_e64 v56, 0, v56, s1
	v_cmp_gt_i32_e64 s1, s33, v13
	s_delay_alu instid0(VALU_DEP_1) | instskip(SKIP_1) | instid1(VALU_DEP_1)
	v_cndmask_b32_e64 v54, 0, v54, s1
	v_cmp_gt_i32_e64 s1, s33, v14
	v_cndmask_b32_e64 v53, 0, v53, s1
; %bb.420:                              ;   in Loop: Header=BB212_283 Depth=1
	s_or_b32 exec_lo, exec_lo, s10
	global_load_b32 v57, v[11:12], off offset:512
	v_mov_b32_e32 v15, 0
	v_mov_b32_e32 v16, 0
	s_mov_b32 s10, exec_lo
	s_waitcnt vmcnt(0)
	v_and_b32_e32 v5, 0xff, v57
	s_delay_alu instid0(VALU_DEP_2) | instskip(NEXT) | instid1(VALU_DEP_2)
	v_dual_mov_b32 v13, v15 :: v_dual_mov_b32 v14, v16
	v_cmpx_ne_u16_e32 0, v5
	s_cbranch_execz .LBB212_428
; %bb.421:                              ;   in Loop: Header=BB212_283 Depth=1
	v_bfrev_b32_e32 v13, 1
	v_mov_b32_e32 v14, 0
	s_mov_b32 s28, exec_lo
	v_cmpx_ne_u16_e32 0x80, v5
	s_cbranch_execz .LBB212_427
; %bb.422:                              ;   in Loop: Header=BB212_283 Depth=1
	v_mov_b32_e32 v13, 0x7f800001
	v_dual_mov_b32 v14, 0 :: v_dual_and_b32 v17, 0x7f, v57
	s_mov_b32 s30, exec_lo
	s_delay_alu instid0(VALU_DEP_1)
	v_cmpx_ne_u32_e32 0x7f, v17
	s_cbranch_execz .LBB212_426
; %bb.423:                              ;   in Loop: Header=BB212_283 Depth=1
	v_and_b32_e32 v5, 7, v57
	v_lshrrev_b32_e32 v13, 3, v17
	s_mov_b32 s31, exec_lo
	v_cmpx_gt_u32_e32 8, v17
; %bb.424:                              ;   in Loop: Header=BB212_283 Depth=1
	s_delay_alu instid0(VALU_DEP_3) | instskip(NEXT) | instid1(VALU_DEP_1)
	v_clz_i32_u32_e32 v13, v5
	v_min_u32_e32 v13, 32, v13
	s_delay_alu instid0(VALU_DEP_1) | instskip(SKIP_1) | instid1(VALU_DEP_2)
	v_subrev_nc_u32_e32 v14, 28, v13
	v_sub_nc_u32_e32 v13, 29, v13
	v_lshlrev_b64 v[17:18], v14, v[5:6]
	s_delay_alu instid0(VALU_DEP_1)
	v_and_b32_e32 v5, 7, v17
; %bb.425:                              ;   in Loop: Header=BB212_283 Depth=1
	s_or_b32 exec_lo, exec_lo, s31
	v_lshlrev_b32_e32 v14, 24, v57
	s_delay_alu instid0(VALU_DEP_2) | instskip(SKIP_1) | instid1(VALU_DEP_3)
	v_lshlrev_b32_e32 v5, 20, v5
	v_lshl_add_u32 v13, v13, 23, 0x3c000000
	v_and_b32_e32 v14, 0x80000000, v14
	s_delay_alu instid0(VALU_DEP_1) | instskip(NEXT) | instid1(VALU_DEP_1)
	v_or3_b32 v5, v5, v14, v13
	v_dual_mov_b32 v14, v6 :: v_dual_mov_b32 v13, v5
.LBB212_426:                            ;   in Loop: Header=BB212_283 Depth=1
	s_or_b32 exec_lo, exec_lo, s30
.LBB212_427:                            ;   in Loop: Header=BB212_283 Depth=1
	s_delay_alu instid0(SALU_CYCLE_1)
	s_or_b32 exec_lo, exec_lo, s28
.LBB212_428:                            ;   in Loop: Header=BB212_283 Depth=1
	s_delay_alu instid0(SALU_CYCLE_1) | instskip(SKIP_2) | instid1(VALU_DEP_1)
	s_or_b32 exec_lo, exec_lo, s10
	v_lshrrev_b16 v5, 8, v57
	s_mov_b32 s28, exec_lo
	v_cmpx_ne_u16_e32 0, v5
	s_cbranch_execz .LBB212_436
; %bb.429:                              ;   in Loop: Header=BB212_283 Depth=1
	v_dual_mov_b32 v16, s9 :: v_dual_mov_b32 v15, s8
	s_mov_b32 s30, exec_lo
	v_cmpx_ne_u16_e32 0x80, v5
	s_cbranch_execz .LBB212_435
; %bb.430:                              ;   in Loop: Header=BB212_283 Depth=1
	s_mov_b32 s10, s8
	v_dual_mov_b32 v16, s11 :: v_dual_and_b32 v5, 0xffff, v5
	v_mov_b32_e32 v15, s10
	s_mov_b32 s10, exec_lo
	s_delay_alu instid0(VALU_DEP_2) | instskip(NEXT) | instid1(VALU_DEP_1)
	v_and_b32_e32 v17, 0x7f, v5
	v_cmpx_ne_u32_e32 0x7f, v17
	s_cbranch_execz .LBB212_434
; %bb.431:                              ;   in Loop: Header=BB212_283 Depth=1
	v_and_b32_e32 v5, 7, v5
	v_lshrrev_b32_e32 v15, 3, v17
	s_mov_b32 s31, exec_lo
	v_cmpx_gt_u32_e32 8, v17
; %bb.432:                              ;   in Loop: Header=BB212_283 Depth=1
	s_delay_alu instid0(VALU_DEP_3) | instskip(NEXT) | instid1(VALU_DEP_1)
	v_clz_i32_u32_e32 v15, v5
	v_min_u32_e32 v15, 32, v15
	s_delay_alu instid0(VALU_DEP_1) | instskip(SKIP_1) | instid1(VALU_DEP_2)
	v_subrev_nc_u32_e32 v16, 28, v15
	v_sub_nc_u32_e32 v15, 29, v15
	v_lshlrev_b64 v[16:17], v16, v[5:6]
	s_delay_alu instid0(VALU_DEP_1)
	v_and_b32_e32 v5, 7, v16
; %bb.433:                              ;   in Loop: Header=BB212_283 Depth=1
	s_or_b32 exec_lo, exec_lo, s31
	v_lshlrev_b32_e32 v16, 16, v57
	s_delay_alu instid0(VALU_DEP_2) | instskip(SKIP_1) | instid1(VALU_DEP_3)
	v_lshlrev_b32_e32 v5, 20, v5
	v_lshl_add_u32 v15, v15, 23, 0x3c000000
	v_and_b32_e32 v16, 0x80000000, v16
	s_delay_alu instid0(VALU_DEP_1)
	v_or3_b32 v16, v5, v16, v15
	v_mov_b32_e32 v15, v6
.LBB212_434:                            ;   in Loop: Header=BB212_283 Depth=1
	s_or_b32 exec_lo, exec_lo, s10
.LBB212_435:                            ;   in Loop: Header=BB212_283 Depth=1
	s_delay_alu instid0(SALU_CYCLE_1)
	s_or_b32 exec_lo, exec_lo, s30
.LBB212_436:                            ;   in Loop: Header=BB212_283 Depth=1
	s_delay_alu instid0(SALU_CYCLE_1) | instskip(SKIP_4) | instid1(VALU_DEP_2)
	s_or_b32 exec_lo, exec_lo, s28
	v_mov_b32_e32 v19, 0
	v_lshrrev_b32_e32 v58, 16, v57
	v_mov_b32_e32 v20, 0
	s_mov_b32 s10, exec_lo
	v_and_b32_e32 v5, 0xff, v58
	s_delay_alu instid0(VALU_DEP_2) | instskip(NEXT) | instid1(VALU_DEP_2)
	v_dual_mov_b32 v17, v19 :: v_dual_mov_b32 v18, v20
	v_cmpx_ne_u16_e32 0, v5
	s_cbranch_execz .LBB212_444
; %bb.437:                              ;   in Loop: Header=BB212_283 Depth=1
	v_bfrev_b32_e32 v17, 1
	v_mov_b32_e32 v18, 0
	s_mov_b32 s28, exec_lo
	v_cmpx_ne_u16_e32 0x80, v5
	s_cbranch_execz .LBB212_443
; %bb.438:                              ;   in Loop: Header=BB212_283 Depth=1
	v_mov_b32_e32 v17, 0x7f800001
	v_bfe_u32 v59, v57, 16, 7
	v_mov_b32_e32 v18, 0
	s_mov_b32 s30, exec_lo
	s_delay_alu instid0(VALU_DEP_2)
	v_cmpx_ne_u32_e32 0x7f, v59
	s_cbranch_execz .LBB212_442
; %bb.439:                              ;   in Loop: Header=BB212_283 Depth=1
	v_and_b32_e32 v5, 7, v58
	v_lshrrev_b32_e32 v17, 3, v59
	s_mov_b32 s31, exec_lo
	v_cmpx_gt_u32_e32 8, v59
; %bb.440:                              ;   in Loop: Header=BB212_283 Depth=1
	s_delay_alu instid0(VALU_DEP_3) | instskip(NEXT) | instid1(VALU_DEP_1)
	v_clz_i32_u32_e32 v17, v5
	v_min_u32_e32 v17, 32, v17
	s_delay_alu instid0(VALU_DEP_1) | instskip(SKIP_1) | instid1(VALU_DEP_2)
	v_subrev_nc_u32_e32 v18, 28, v17
	v_sub_nc_u32_e32 v17, 29, v17
	v_lshlrev_b64 v[59:60], v18, v[5:6]
	s_delay_alu instid0(VALU_DEP_1)
	v_and_b32_e32 v5, 7, v59
; %bb.441:                              ;   in Loop: Header=BB212_283 Depth=1
	s_or_b32 exec_lo, exec_lo, s31
	v_lshlrev_b32_e32 v18, 24, v58
	s_delay_alu instid0(VALU_DEP_2) | instskip(SKIP_1) | instid1(VALU_DEP_3)
	v_lshlrev_b32_e32 v5, 20, v5
	v_lshl_add_u32 v17, v17, 23, 0x3c000000
	v_and_b32_e32 v18, 0x80000000, v18
	s_delay_alu instid0(VALU_DEP_1) | instskip(NEXT) | instid1(VALU_DEP_1)
	v_or3_b32 v5, v5, v18, v17
	v_dual_mov_b32 v18, v6 :: v_dual_mov_b32 v17, v5
.LBB212_442:                            ;   in Loop: Header=BB212_283 Depth=1
	s_or_b32 exec_lo, exec_lo, s30
.LBB212_443:                            ;   in Loop: Header=BB212_283 Depth=1
	s_delay_alu instid0(SALU_CYCLE_1)
	s_or_b32 exec_lo, exec_lo, s28
.LBB212_444:                            ;   in Loop: Header=BB212_283 Depth=1
	s_delay_alu instid0(SALU_CYCLE_1) | instskip(NEXT) | instid1(SALU_CYCLE_1)
	s_or_b32 exec_lo, exec_lo, s10
	s_mov_b32 s28, exec_lo
	v_cmpx_lt_u32_e32 0xffffff, v57
	s_cbranch_execz .LBB212_452
; %bb.445:                              ;   in Loop: Header=BB212_283 Depth=1
	v_lshrrev_b32_e32 v58, 24, v57
	v_dual_mov_b32 v20, s9 :: v_dual_mov_b32 v19, s8
	s_mov_b32 s30, exec_lo
	s_delay_alu instid0(VALU_DEP_2)
	v_cmpx_ne_u32_e32 0x80, v58
	s_cbranch_execz .LBB212_451
; %bb.446:                              ;   in Loop: Header=BB212_283 Depth=1
	s_mov_b32 s10, s8
	v_bfe_u32 v57, v57, 24, 7
	v_dual_mov_b32 v20, s11 :: v_dual_mov_b32 v19, s10
	s_mov_b32 s10, exec_lo
	s_delay_alu instid0(VALU_DEP_2)
	v_cmpx_ne_u32_e32 0x7f, v57
	s_cbranch_execz .LBB212_450
; %bb.447:                              ;   in Loop: Header=BB212_283 Depth=1
	v_and_b32_e32 v5, 7, v58
	v_lshrrev_b32_e32 v19, 3, v57
	s_mov_b32 s31, exec_lo
	v_cmpx_gt_u32_e32 8, v57
; %bb.448:                              ;   in Loop: Header=BB212_283 Depth=1
	s_delay_alu instid0(VALU_DEP_3) | instskip(NEXT) | instid1(VALU_DEP_1)
	v_clz_i32_u32_e32 v19, v5
	v_min_u32_e32 v19, 32, v19
	s_delay_alu instid0(VALU_DEP_1) | instskip(SKIP_1) | instid1(VALU_DEP_2)
	v_subrev_nc_u32_e32 v20, 28, v19
	v_sub_nc_u32_e32 v19, 29, v19
	v_lshlrev_b64 v[59:60], v20, v[5:6]
	s_delay_alu instid0(VALU_DEP_1)
	v_and_b32_e32 v5, 7, v59
; %bb.449:                              ;   in Loop: Header=BB212_283 Depth=1
	s_or_b32 exec_lo, exec_lo, s31
	v_lshlrev_b32_e32 v20, 24, v58
	s_delay_alu instid0(VALU_DEP_2) | instskip(SKIP_1) | instid1(VALU_DEP_3)
	v_lshlrev_b32_e32 v5, 20, v5
	v_lshl_add_u32 v19, v19, 23, 0x3c000000
	v_and_b32_e32 v20, 0x80000000, v20
	s_delay_alu instid0(VALU_DEP_1)
	v_or3_b32 v20, v5, v20, v19
	v_mov_b32_e32 v19, v6
.LBB212_450:                            ;   in Loop: Header=BB212_283 Depth=1
	s_or_b32 exec_lo, exec_lo, s10
.LBB212_451:                            ;   in Loop: Header=BB212_283 Depth=1
	s_delay_alu instid0(SALU_CYCLE_1)
	s_or_b32 exec_lo, exec_lo, s30
.LBB212_452:                            ;   in Loop: Header=BB212_283 Depth=1
	s_delay_alu instid0(SALU_CYCLE_1) | instskip(SKIP_4) | instid1(VALU_DEP_4)
	s_or_b32 exec_lo, exec_lo, s28
	v_or_b32_e32 v5, v16, v14
	v_or_b32_e32 v13, v15, v13
	;; [unrolled: 1-line block ×4, first 2 shown]
	v_mul_f32_e32 v60, s23, v5
	s_delay_alu instid0(VALU_DEP_4) | instskip(NEXT) | instid1(VALU_DEP_3)
	v_mul_f32_e32 v59, s22, v13
	v_dual_mul_f32 v57, s23, v14 :: v_dual_mul_f32 v58, s22, v15
	s_and_saveexec_b32 s10, s0
; %bb.453:                              ;   in Loop: Header=BB212_283 Depth=1
	v_add_nc_u32_e32 v5, 1, v42
	v_cmp_gt_i32_e64 s1, s33, v42
	v_add_nc_u32_e32 v13, 2, v42
	v_add_nc_u32_e32 v14, 3, v42
	s_delay_alu instid0(VALU_DEP_3) | instskip(SKIP_1) | instid1(VALU_DEP_1)
	v_cndmask_b32_e64 v59, 0, v59, s1
	v_cmp_gt_i32_e64 s1, s33, v5
	v_cndmask_b32_e64 v60, 0, v60, s1
	v_cmp_gt_i32_e64 s1, s33, v13
	s_delay_alu instid0(VALU_DEP_1) | instskip(SKIP_1) | instid1(VALU_DEP_1)
	v_cndmask_b32_e64 v58, 0, v58, s1
	v_cmp_gt_i32_e64 s1, s33, v14
	v_cndmask_b32_e64 v57, 0, v57, s1
; %bb.454:                              ;   in Loop: Header=BB212_283 Depth=1
	s_or_b32 exec_lo, exec_lo, s10
	global_load_b32 v61, v[11:12], off offset:640
	v_mov_b32_e32 v15, 0
	v_mov_b32_e32 v16, 0
	s_mov_b32 s10, exec_lo
	s_waitcnt vmcnt(0)
	v_and_b32_e32 v5, 0xff, v61
	s_delay_alu instid0(VALU_DEP_2) | instskip(NEXT) | instid1(VALU_DEP_2)
	v_dual_mov_b32 v13, v15 :: v_dual_mov_b32 v14, v16
	v_cmpx_ne_u16_e32 0, v5
	s_cbranch_execz .LBB212_462
; %bb.455:                              ;   in Loop: Header=BB212_283 Depth=1
	v_bfrev_b32_e32 v13, 1
	v_mov_b32_e32 v14, 0
	s_mov_b32 s28, exec_lo
	v_cmpx_ne_u16_e32 0x80, v5
	s_cbranch_execz .LBB212_461
; %bb.456:                              ;   in Loop: Header=BB212_283 Depth=1
	v_mov_b32_e32 v13, 0x7f800001
	v_dual_mov_b32 v14, 0 :: v_dual_and_b32 v17, 0x7f, v61
	s_mov_b32 s30, exec_lo
	s_delay_alu instid0(VALU_DEP_1)
	v_cmpx_ne_u32_e32 0x7f, v17
	s_cbranch_execz .LBB212_460
; %bb.457:                              ;   in Loop: Header=BB212_283 Depth=1
	v_and_b32_e32 v5, 7, v61
	v_lshrrev_b32_e32 v13, 3, v17
	s_mov_b32 s31, exec_lo
	v_cmpx_gt_u32_e32 8, v17
; %bb.458:                              ;   in Loop: Header=BB212_283 Depth=1
	s_delay_alu instid0(VALU_DEP_3) | instskip(NEXT) | instid1(VALU_DEP_1)
	v_clz_i32_u32_e32 v13, v5
	v_min_u32_e32 v13, 32, v13
	s_delay_alu instid0(VALU_DEP_1) | instskip(SKIP_1) | instid1(VALU_DEP_2)
	v_subrev_nc_u32_e32 v14, 28, v13
	v_sub_nc_u32_e32 v13, 29, v13
	v_lshlrev_b64 v[17:18], v14, v[5:6]
	s_delay_alu instid0(VALU_DEP_1)
	v_and_b32_e32 v5, 7, v17
; %bb.459:                              ;   in Loop: Header=BB212_283 Depth=1
	s_or_b32 exec_lo, exec_lo, s31
	v_lshlrev_b32_e32 v14, 24, v61
	s_delay_alu instid0(VALU_DEP_2) | instskip(SKIP_1) | instid1(VALU_DEP_3)
	v_lshlrev_b32_e32 v5, 20, v5
	v_lshl_add_u32 v13, v13, 23, 0x3c000000
	v_and_b32_e32 v14, 0x80000000, v14
	s_delay_alu instid0(VALU_DEP_1) | instskip(NEXT) | instid1(VALU_DEP_1)
	v_or3_b32 v5, v5, v14, v13
	v_dual_mov_b32 v14, v6 :: v_dual_mov_b32 v13, v5
.LBB212_460:                            ;   in Loop: Header=BB212_283 Depth=1
	s_or_b32 exec_lo, exec_lo, s30
.LBB212_461:                            ;   in Loop: Header=BB212_283 Depth=1
	s_delay_alu instid0(SALU_CYCLE_1)
	s_or_b32 exec_lo, exec_lo, s28
.LBB212_462:                            ;   in Loop: Header=BB212_283 Depth=1
	s_delay_alu instid0(SALU_CYCLE_1) | instskip(SKIP_2) | instid1(VALU_DEP_1)
	s_or_b32 exec_lo, exec_lo, s10
	v_lshrrev_b16 v5, 8, v61
	s_mov_b32 s28, exec_lo
	v_cmpx_ne_u16_e32 0, v5
	s_cbranch_execz .LBB212_470
; %bb.463:                              ;   in Loop: Header=BB212_283 Depth=1
	v_dual_mov_b32 v16, s9 :: v_dual_mov_b32 v15, s8
	s_mov_b32 s30, exec_lo
	v_cmpx_ne_u16_e32 0x80, v5
	s_cbranch_execz .LBB212_469
; %bb.464:                              ;   in Loop: Header=BB212_283 Depth=1
	s_mov_b32 s10, s8
	v_dual_mov_b32 v16, s11 :: v_dual_and_b32 v5, 0xffff, v5
	v_mov_b32_e32 v15, s10
	s_mov_b32 s10, exec_lo
	s_delay_alu instid0(VALU_DEP_2) | instskip(NEXT) | instid1(VALU_DEP_1)
	v_and_b32_e32 v17, 0x7f, v5
	v_cmpx_ne_u32_e32 0x7f, v17
	s_cbranch_execz .LBB212_468
; %bb.465:                              ;   in Loop: Header=BB212_283 Depth=1
	v_and_b32_e32 v5, 7, v5
	v_lshrrev_b32_e32 v15, 3, v17
	s_mov_b32 s31, exec_lo
	v_cmpx_gt_u32_e32 8, v17
; %bb.466:                              ;   in Loop: Header=BB212_283 Depth=1
	s_delay_alu instid0(VALU_DEP_3) | instskip(NEXT) | instid1(VALU_DEP_1)
	v_clz_i32_u32_e32 v15, v5
	v_min_u32_e32 v15, 32, v15
	s_delay_alu instid0(VALU_DEP_1) | instskip(SKIP_1) | instid1(VALU_DEP_2)
	v_subrev_nc_u32_e32 v16, 28, v15
	v_sub_nc_u32_e32 v15, 29, v15
	v_lshlrev_b64 v[16:17], v16, v[5:6]
	s_delay_alu instid0(VALU_DEP_1)
	v_and_b32_e32 v5, 7, v16
; %bb.467:                              ;   in Loop: Header=BB212_283 Depth=1
	s_or_b32 exec_lo, exec_lo, s31
	v_lshlrev_b32_e32 v16, 16, v61
	s_delay_alu instid0(VALU_DEP_2) | instskip(SKIP_1) | instid1(VALU_DEP_3)
	v_lshlrev_b32_e32 v5, 20, v5
	v_lshl_add_u32 v15, v15, 23, 0x3c000000
	v_and_b32_e32 v16, 0x80000000, v16
	s_delay_alu instid0(VALU_DEP_1)
	v_or3_b32 v16, v5, v16, v15
	v_mov_b32_e32 v15, v6
.LBB212_468:                            ;   in Loop: Header=BB212_283 Depth=1
	s_or_b32 exec_lo, exec_lo, s10
.LBB212_469:                            ;   in Loop: Header=BB212_283 Depth=1
	s_delay_alu instid0(SALU_CYCLE_1)
	s_or_b32 exec_lo, exec_lo, s30
.LBB212_470:                            ;   in Loop: Header=BB212_283 Depth=1
	s_delay_alu instid0(SALU_CYCLE_1) | instskip(SKIP_4) | instid1(VALU_DEP_2)
	s_or_b32 exec_lo, exec_lo, s28
	v_mov_b32_e32 v19, 0
	v_lshrrev_b32_e32 v62, 16, v61
	v_mov_b32_e32 v20, 0
	s_mov_b32 s10, exec_lo
	v_and_b32_e32 v5, 0xff, v62
	s_delay_alu instid0(VALU_DEP_2) | instskip(NEXT) | instid1(VALU_DEP_2)
	v_dual_mov_b32 v17, v19 :: v_dual_mov_b32 v18, v20
	v_cmpx_ne_u16_e32 0, v5
	s_cbranch_execz .LBB212_478
; %bb.471:                              ;   in Loop: Header=BB212_283 Depth=1
	v_bfrev_b32_e32 v17, 1
	v_mov_b32_e32 v18, 0
	s_mov_b32 s28, exec_lo
	v_cmpx_ne_u16_e32 0x80, v5
	s_cbranch_execz .LBB212_477
; %bb.472:                              ;   in Loop: Header=BB212_283 Depth=1
	v_mov_b32_e32 v17, 0x7f800001
	v_bfe_u32 v63, v61, 16, 7
	v_mov_b32_e32 v18, 0
	s_mov_b32 s30, exec_lo
	s_delay_alu instid0(VALU_DEP_2)
	v_cmpx_ne_u32_e32 0x7f, v63
	s_cbranch_execz .LBB212_476
; %bb.473:                              ;   in Loop: Header=BB212_283 Depth=1
	v_and_b32_e32 v5, 7, v62
	v_lshrrev_b32_e32 v17, 3, v63
	s_mov_b32 s31, exec_lo
	v_cmpx_gt_u32_e32 8, v63
; %bb.474:                              ;   in Loop: Header=BB212_283 Depth=1
	s_delay_alu instid0(VALU_DEP_3) | instskip(NEXT) | instid1(VALU_DEP_1)
	v_clz_i32_u32_e32 v17, v5
	v_min_u32_e32 v17, 32, v17
	s_delay_alu instid0(VALU_DEP_1) | instskip(SKIP_1) | instid1(VALU_DEP_2)
	v_subrev_nc_u32_e32 v18, 28, v17
	v_sub_nc_u32_e32 v17, 29, v17
	v_lshlrev_b64 v[63:64], v18, v[5:6]
	s_delay_alu instid0(VALU_DEP_1)
	v_and_b32_e32 v5, 7, v63
; %bb.475:                              ;   in Loop: Header=BB212_283 Depth=1
	s_or_b32 exec_lo, exec_lo, s31
	v_lshlrev_b32_e32 v18, 24, v62
	s_delay_alu instid0(VALU_DEP_2) | instskip(SKIP_1) | instid1(VALU_DEP_3)
	v_lshlrev_b32_e32 v5, 20, v5
	v_lshl_add_u32 v17, v17, 23, 0x3c000000
	v_and_b32_e32 v18, 0x80000000, v18
	s_delay_alu instid0(VALU_DEP_1) | instskip(NEXT) | instid1(VALU_DEP_1)
	v_or3_b32 v5, v5, v18, v17
	v_dual_mov_b32 v18, v6 :: v_dual_mov_b32 v17, v5
.LBB212_476:                            ;   in Loop: Header=BB212_283 Depth=1
	s_or_b32 exec_lo, exec_lo, s30
.LBB212_477:                            ;   in Loop: Header=BB212_283 Depth=1
	s_delay_alu instid0(SALU_CYCLE_1)
	s_or_b32 exec_lo, exec_lo, s28
.LBB212_478:                            ;   in Loop: Header=BB212_283 Depth=1
	s_delay_alu instid0(SALU_CYCLE_1) | instskip(NEXT) | instid1(SALU_CYCLE_1)
	s_or_b32 exec_lo, exec_lo, s10
	s_mov_b32 s28, exec_lo
	v_cmpx_lt_u32_e32 0xffffff, v61
	s_cbranch_execz .LBB212_486
; %bb.479:                              ;   in Loop: Header=BB212_283 Depth=1
	v_lshrrev_b32_e32 v62, 24, v61
	v_dual_mov_b32 v20, s9 :: v_dual_mov_b32 v19, s8
	s_mov_b32 s30, exec_lo
	s_delay_alu instid0(VALU_DEP_2)
	v_cmpx_ne_u32_e32 0x80, v62
	s_cbranch_execz .LBB212_485
; %bb.480:                              ;   in Loop: Header=BB212_283 Depth=1
	s_mov_b32 s10, s8
	v_bfe_u32 v61, v61, 24, 7
	v_dual_mov_b32 v20, s11 :: v_dual_mov_b32 v19, s10
	s_mov_b32 s10, exec_lo
	s_delay_alu instid0(VALU_DEP_2)
	v_cmpx_ne_u32_e32 0x7f, v61
	s_cbranch_execz .LBB212_484
; %bb.481:                              ;   in Loop: Header=BB212_283 Depth=1
	v_and_b32_e32 v5, 7, v62
	v_lshrrev_b32_e32 v19, 3, v61
	s_mov_b32 s31, exec_lo
	v_cmpx_gt_u32_e32 8, v61
; %bb.482:                              ;   in Loop: Header=BB212_283 Depth=1
	s_delay_alu instid0(VALU_DEP_3) | instskip(NEXT) | instid1(VALU_DEP_1)
	v_clz_i32_u32_e32 v19, v5
	v_min_u32_e32 v19, 32, v19
	s_delay_alu instid0(VALU_DEP_1) | instskip(SKIP_1) | instid1(VALU_DEP_2)
	v_subrev_nc_u32_e32 v20, 28, v19
	v_sub_nc_u32_e32 v19, 29, v19
	v_lshlrev_b64 v[63:64], v20, v[5:6]
	s_delay_alu instid0(VALU_DEP_1)
	v_and_b32_e32 v5, 7, v63
; %bb.483:                              ;   in Loop: Header=BB212_283 Depth=1
	s_or_b32 exec_lo, exec_lo, s31
	v_lshlrev_b32_e32 v20, 24, v62
	s_delay_alu instid0(VALU_DEP_2) | instskip(SKIP_1) | instid1(VALU_DEP_3)
	v_lshlrev_b32_e32 v5, 20, v5
	v_lshl_add_u32 v19, v19, 23, 0x3c000000
	v_and_b32_e32 v20, 0x80000000, v20
	s_delay_alu instid0(VALU_DEP_1)
	v_or3_b32 v20, v5, v20, v19
	v_mov_b32_e32 v19, v6
.LBB212_484:                            ;   in Loop: Header=BB212_283 Depth=1
	s_or_b32 exec_lo, exec_lo, s10
.LBB212_485:                            ;   in Loop: Header=BB212_283 Depth=1
	s_delay_alu instid0(SALU_CYCLE_1)
	s_or_b32 exec_lo, exec_lo, s30
.LBB212_486:                            ;   in Loop: Header=BB212_283 Depth=1
	s_delay_alu instid0(SALU_CYCLE_1) | instskip(SKIP_4) | instid1(VALU_DEP_4)
	s_or_b32 exec_lo, exec_lo, s28
	v_or_b32_e32 v5, v16, v14
	v_or_b32_e32 v13, v15, v13
	;; [unrolled: 1-line block ×4, first 2 shown]
	v_mul_f32_e32 v62, s23, v5
	s_delay_alu instid0(VALU_DEP_4) | instskip(NEXT) | instid1(VALU_DEP_3)
	v_mul_f32_e32 v61, s22, v13
	v_dual_mul_f32 v19, s23, v14 :: v_dual_mul_f32 v20, s22, v15
	s_and_saveexec_b32 s10, s0
; %bb.487:                              ;   in Loop: Header=BB212_283 Depth=1
	v_add_nc_u32_e32 v5, 1, v42
	v_cmp_gt_i32_e64 s1, s33, v42
	v_add_nc_u32_e32 v13, 2, v42
	v_add_nc_u32_e32 v14, 3, v42
	s_delay_alu instid0(VALU_DEP_3) | instskip(SKIP_1) | instid1(VALU_DEP_1)
	v_cndmask_b32_e64 v61, 0, v61, s1
	v_cmp_gt_i32_e64 s1, s33, v5
	v_cndmask_b32_e64 v62, 0, v62, s1
	v_cmp_gt_i32_e64 s1, s33, v13
	s_delay_alu instid0(VALU_DEP_1) | instskip(SKIP_1) | instid1(VALU_DEP_1)
	v_cndmask_b32_e64 v20, 0, v20, s1
	v_cmp_gt_i32_e64 s1, s33, v14
	v_cndmask_b32_e64 v19, 0, v19, s1
; %bb.488:                              ;   in Loop: Header=BB212_283 Depth=1
	s_or_b32 exec_lo, exec_lo, s10
	global_load_b32 v63, v[11:12], off offset:768
	v_mov_b32_e32 v13, 0
	v_mov_b32_e32 v14, 0
	s_mov_b32 s10, exec_lo
	s_waitcnt vmcnt(0)
	v_and_b32_e32 v5, 0xff, v63
	s_delay_alu instid0(VALU_DEP_2) | instskip(NEXT) | instid1(VALU_DEP_2)
	v_dual_mov_b32 v11, v13 :: v_dual_mov_b32 v12, v14
	v_cmpx_ne_u16_e32 0, v5
	s_cbranch_execz .LBB212_496
; %bb.489:                              ;   in Loop: Header=BB212_283 Depth=1
	v_bfrev_b32_e32 v11, 1
	v_mov_b32_e32 v12, 0
	s_mov_b32 s28, exec_lo
	v_cmpx_ne_u16_e32 0x80, v5
	s_cbranch_execz .LBB212_495
; %bb.490:                              ;   in Loop: Header=BB212_283 Depth=1
	v_mov_b32_e32 v11, 0x7f800001
	v_dual_mov_b32 v12, 0 :: v_dual_and_b32 v15, 0x7f, v63
	s_mov_b32 s30, exec_lo
	s_delay_alu instid0(VALU_DEP_1)
	v_cmpx_ne_u32_e32 0x7f, v15
	s_cbranch_execz .LBB212_494
; %bb.491:                              ;   in Loop: Header=BB212_283 Depth=1
	v_and_b32_e32 v5, 7, v63
	v_lshrrev_b32_e32 v11, 3, v15
	s_mov_b32 s31, exec_lo
	v_cmpx_gt_u32_e32 8, v15
; %bb.492:                              ;   in Loop: Header=BB212_283 Depth=1
	s_delay_alu instid0(VALU_DEP_3) | instskip(NEXT) | instid1(VALU_DEP_1)
	v_clz_i32_u32_e32 v11, v5
	v_min_u32_e32 v11, 32, v11
	s_delay_alu instid0(VALU_DEP_1) | instskip(SKIP_1) | instid1(VALU_DEP_2)
	v_subrev_nc_u32_e32 v12, 28, v11
	v_sub_nc_u32_e32 v11, 29, v11
	v_lshlrev_b64 v[15:16], v12, v[5:6]
	s_delay_alu instid0(VALU_DEP_1)
	v_and_b32_e32 v5, 7, v15
; %bb.493:                              ;   in Loop: Header=BB212_283 Depth=1
	s_or_b32 exec_lo, exec_lo, s31
	v_lshlrev_b32_e32 v12, 24, v63
	s_delay_alu instid0(VALU_DEP_2) | instskip(SKIP_1) | instid1(VALU_DEP_3)
	v_lshlrev_b32_e32 v5, 20, v5
	v_lshl_add_u32 v11, v11, 23, 0x3c000000
	v_and_b32_e32 v12, 0x80000000, v12
	s_delay_alu instid0(VALU_DEP_1) | instskip(NEXT) | instid1(VALU_DEP_1)
	v_or3_b32 v5, v5, v12, v11
	v_dual_mov_b32 v12, v6 :: v_dual_mov_b32 v11, v5
.LBB212_494:                            ;   in Loop: Header=BB212_283 Depth=1
	s_or_b32 exec_lo, exec_lo, s30
.LBB212_495:                            ;   in Loop: Header=BB212_283 Depth=1
	s_delay_alu instid0(SALU_CYCLE_1)
	s_or_b32 exec_lo, exec_lo, s28
.LBB212_496:                            ;   in Loop: Header=BB212_283 Depth=1
	s_delay_alu instid0(SALU_CYCLE_1) | instskip(SKIP_2) | instid1(VALU_DEP_1)
	s_or_b32 exec_lo, exec_lo, s10
	v_lshrrev_b16 v5, 8, v63
	s_mov_b32 s28, exec_lo
	v_cmpx_ne_u16_e32 0, v5
	s_cbranch_execz .LBB212_504
; %bb.497:                              ;   in Loop: Header=BB212_283 Depth=1
	v_dual_mov_b32 v14, s9 :: v_dual_mov_b32 v13, s8
	s_mov_b32 s30, exec_lo
	v_cmpx_ne_u16_e32 0x80, v5
	s_cbranch_execz .LBB212_503
; %bb.498:                              ;   in Loop: Header=BB212_283 Depth=1
	s_mov_b32 s10, s8
	v_dual_mov_b32 v14, s11 :: v_dual_and_b32 v5, 0xffff, v5
	v_mov_b32_e32 v13, s10
	s_mov_b32 s10, exec_lo
	s_delay_alu instid0(VALU_DEP_2) | instskip(NEXT) | instid1(VALU_DEP_1)
	v_and_b32_e32 v15, 0x7f, v5
	v_cmpx_ne_u32_e32 0x7f, v15
	s_cbranch_execz .LBB212_502
; %bb.499:                              ;   in Loop: Header=BB212_283 Depth=1
	v_and_b32_e32 v5, 7, v5
	v_lshrrev_b32_e32 v13, 3, v15
	s_mov_b32 s31, exec_lo
	v_cmpx_gt_u32_e32 8, v15
; %bb.500:                              ;   in Loop: Header=BB212_283 Depth=1
	s_delay_alu instid0(VALU_DEP_3) | instskip(NEXT) | instid1(VALU_DEP_1)
	v_clz_i32_u32_e32 v13, v5
	v_min_u32_e32 v13, 32, v13
	s_delay_alu instid0(VALU_DEP_1) | instskip(SKIP_1) | instid1(VALU_DEP_2)
	v_subrev_nc_u32_e32 v14, 28, v13
	v_sub_nc_u32_e32 v13, 29, v13
	v_lshlrev_b64 v[14:15], v14, v[5:6]
	s_delay_alu instid0(VALU_DEP_1)
	v_and_b32_e32 v5, 7, v14
; %bb.501:                              ;   in Loop: Header=BB212_283 Depth=1
	s_or_b32 exec_lo, exec_lo, s31
	v_lshlrev_b32_e32 v14, 16, v63
	s_delay_alu instid0(VALU_DEP_2) | instskip(SKIP_1) | instid1(VALU_DEP_3)
	v_lshlrev_b32_e32 v5, 20, v5
	v_lshl_add_u32 v13, v13, 23, 0x3c000000
	v_and_b32_e32 v14, 0x80000000, v14
	s_delay_alu instid0(VALU_DEP_1)
	v_or3_b32 v14, v5, v14, v13
	v_mov_b32_e32 v13, v6
.LBB212_502:                            ;   in Loop: Header=BB212_283 Depth=1
	s_or_b32 exec_lo, exec_lo, s10
.LBB212_503:                            ;   in Loop: Header=BB212_283 Depth=1
	s_delay_alu instid0(SALU_CYCLE_1)
	s_or_b32 exec_lo, exec_lo, s30
.LBB212_504:                            ;   in Loop: Header=BB212_283 Depth=1
	s_delay_alu instid0(SALU_CYCLE_1) | instskip(SKIP_4) | instid1(VALU_DEP_2)
	s_or_b32 exec_lo, exec_lo, s28
	v_mov_b32_e32 v17, 0
	v_lshrrev_b32_e32 v64, 16, v63
	v_mov_b32_e32 v18, 0
	s_mov_b32 s10, exec_lo
	v_and_b32_e32 v5, 0xff, v64
	s_delay_alu instid0(VALU_DEP_2) | instskip(NEXT) | instid1(VALU_DEP_2)
	v_dual_mov_b32 v15, v17 :: v_dual_mov_b32 v16, v18
	v_cmpx_ne_u16_e32 0, v5
	s_cbranch_execz .LBB212_512
; %bb.505:                              ;   in Loop: Header=BB212_283 Depth=1
	v_bfrev_b32_e32 v15, 1
	v_mov_b32_e32 v16, 0
	s_mov_b32 s28, exec_lo
	v_cmpx_ne_u16_e32 0x80, v5
	s_cbranch_execz .LBB212_511
; %bb.506:                              ;   in Loop: Header=BB212_283 Depth=1
	v_mov_b32_e32 v15, 0x7f800001
	v_bfe_u32 v65, v63, 16, 7
	v_mov_b32_e32 v16, 0
	s_mov_b32 s30, exec_lo
	s_delay_alu instid0(VALU_DEP_2)
	v_cmpx_ne_u32_e32 0x7f, v65
	s_cbranch_execz .LBB212_510
; %bb.507:                              ;   in Loop: Header=BB212_283 Depth=1
	v_and_b32_e32 v5, 7, v64
	v_lshrrev_b32_e32 v15, 3, v65
	s_mov_b32 s31, exec_lo
	v_cmpx_gt_u32_e32 8, v65
; %bb.508:                              ;   in Loop: Header=BB212_283 Depth=1
	s_delay_alu instid0(VALU_DEP_3) | instskip(NEXT) | instid1(VALU_DEP_1)
	v_clz_i32_u32_e32 v15, v5
	v_min_u32_e32 v15, 32, v15
	s_delay_alu instid0(VALU_DEP_1) | instskip(SKIP_1) | instid1(VALU_DEP_2)
	v_subrev_nc_u32_e32 v16, 28, v15
	v_sub_nc_u32_e32 v15, 29, v15
	v_lshlrev_b64 v[65:66], v16, v[5:6]
	s_delay_alu instid0(VALU_DEP_1)
	v_and_b32_e32 v5, 7, v65
; %bb.509:                              ;   in Loop: Header=BB212_283 Depth=1
	s_or_b32 exec_lo, exec_lo, s31
	v_lshlrev_b32_e32 v16, 24, v64
	s_delay_alu instid0(VALU_DEP_2) | instskip(SKIP_1) | instid1(VALU_DEP_3)
	v_lshlrev_b32_e32 v5, 20, v5
	v_lshl_add_u32 v15, v15, 23, 0x3c000000
	v_and_b32_e32 v16, 0x80000000, v16
	s_delay_alu instid0(VALU_DEP_1) | instskip(NEXT) | instid1(VALU_DEP_1)
	v_or3_b32 v5, v5, v16, v15
	v_dual_mov_b32 v16, v6 :: v_dual_mov_b32 v15, v5
.LBB212_510:                            ;   in Loop: Header=BB212_283 Depth=1
	s_or_b32 exec_lo, exec_lo, s30
.LBB212_511:                            ;   in Loop: Header=BB212_283 Depth=1
	s_delay_alu instid0(SALU_CYCLE_1)
	s_or_b32 exec_lo, exec_lo, s28
.LBB212_512:                            ;   in Loop: Header=BB212_283 Depth=1
	s_delay_alu instid0(SALU_CYCLE_1) | instskip(NEXT) | instid1(SALU_CYCLE_1)
	s_or_b32 exec_lo, exec_lo, s10
	s_mov_b32 s28, exec_lo
	v_cmpx_lt_u32_e32 0xffffff, v63
	s_cbranch_execz .LBB212_520
; %bb.513:                              ;   in Loop: Header=BB212_283 Depth=1
	v_lshrrev_b32_e32 v64, 24, v63
	v_dual_mov_b32 v18, s9 :: v_dual_mov_b32 v17, s8
	s_mov_b32 s30, exec_lo
	s_delay_alu instid0(VALU_DEP_2)
	v_cmpx_ne_u32_e32 0x80, v64
	s_cbranch_execz .LBB212_519
; %bb.514:                              ;   in Loop: Header=BB212_283 Depth=1
	s_mov_b32 s10, s8
	v_bfe_u32 v63, v63, 24, 7
	v_dual_mov_b32 v18, s11 :: v_dual_mov_b32 v17, s10
	s_mov_b32 s10, exec_lo
	s_delay_alu instid0(VALU_DEP_2)
	v_cmpx_ne_u32_e32 0x7f, v63
	s_cbranch_execz .LBB212_518
; %bb.515:                              ;   in Loop: Header=BB212_283 Depth=1
	v_and_b32_e32 v5, 7, v64
	v_lshrrev_b32_e32 v17, 3, v63
	s_mov_b32 s31, exec_lo
	v_cmpx_gt_u32_e32 8, v63
; %bb.516:                              ;   in Loop: Header=BB212_283 Depth=1
	s_delay_alu instid0(VALU_DEP_3) | instskip(NEXT) | instid1(VALU_DEP_1)
	v_clz_i32_u32_e32 v17, v5
	v_min_u32_e32 v17, 32, v17
	s_delay_alu instid0(VALU_DEP_1) | instskip(SKIP_1) | instid1(VALU_DEP_2)
	v_subrev_nc_u32_e32 v18, 28, v17
	v_sub_nc_u32_e32 v17, 29, v17
	v_lshlrev_b64 v[65:66], v18, v[5:6]
	s_delay_alu instid0(VALU_DEP_1)
	v_and_b32_e32 v5, 7, v65
; %bb.517:                              ;   in Loop: Header=BB212_283 Depth=1
	s_or_b32 exec_lo, exec_lo, s31
	v_lshlrev_b32_e32 v18, 24, v64
	s_delay_alu instid0(VALU_DEP_2) | instskip(SKIP_1) | instid1(VALU_DEP_3)
	v_lshlrev_b32_e32 v5, 20, v5
	v_lshl_add_u32 v17, v17, 23, 0x3c000000
	v_and_b32_e32 v18, 0x80000000, v18
	s_delay_alu instid0(VALU_DEP_1)
	v_or3_b32 v18, v5, v18, v17
	v_mov_b32_e32 v17, v6
.LBB212_518:                            ;   in Loop: Header=BB212_283 Depth=1
	s_or_b32 exec_lo, exec_lo, s10
.LBB212_519:                            ;   in Loop: Header=BB212_283 Depth=1
	s_delay_alu instid0(SALU_CYCLE_1)
	s_or_b32 exec_lo, exec_lo, s30
.LBB212_520:                            ;   in Loop: Header=BB212_283 Depth=1
	s_delay_alu instid0(SALU_CYCLE_1) | instskip(SKIP_4) | instid1(VALU_DEP_3)
	s_or_b32 exec_lo, exec_lo, s28
	v_or_b32_e32 v5, v14, v12
	v_or_b32_e32 v11, v13, v11
	;; [unrolled: 1-line block ×4, first 2 shown]
	v_dual_mul_f32 v64, s23, v5 :: v_dual_mul_f32 v63, s22, v11
	s_delay_alu instid0(VALU_DEP_2)
	v_dual_mul_f32 v17, s23, v12 :: v_dual_mul_f32 v18, s22, v13
	s_and_saveexec_b32 s10, s0
; %bb.521:                              ;   in Loop: Header=BB212_283 Depth=1
	v_add_nc_u32_e32 v5, 1, v42
	v_cmp_gt_i32_e64 s1, s33, v42
	v_add_nc_u32_e32 v11, 2, v42
	v_add_nc_u32_e32 v12, 3, v42
	s_delay_alu instid0(VALU_DEP_3) | instskip(SKIP_1) | instid1(VALU_DEP_1)
	v_cndmask_b32_e64 v63, 0, v63, s1
	v_cmp_gt_i32_e64 s1, s33, v5
	v_cndmask_b32_e64 v64, 0, v64, s1
	v_cmp_gt_i32_e64 s1, s33, v11
	s_delay_alu instid0(VALU_DEP_1) | instskip(SKIP_1) | instid1(VALU_DEP_1)
	v_cndmask_b32_e64 v18, 0, v18, s1
	v_cmp_gt_i32_e64 s1, s33, v12
	v_cndmask_b32_e64 v17, 0, v17, s1
; %bb.522:                              ;   in Loop: Header=BB212_283 Depth=1
	s_or_b32 exec_lo, exec_lo, s10
	s_and_saveexec_b32 s28, vcc_lo
	s_cbranch_execz .LBB212_281
; %bb.523:                              ;   in Loop: Header=BB212_283 Depth=1
	v_add_co_u32 v9, s1, v9, v35
	s_delay_alu instid0(VALU_DEP_1)
	v_add_co_ci_u32_e64 v10, s1, 0, v10, s1
	v_mov_b32_e32 v11, 0
	s_mov_b32 s10, exec_lo
	global_load_b32 v65, v[9:10], off
	s_waitcnt vmcnt(0)
	v_dual_mov_b32 v12, 0 :: v_dual_and_b32 v5, 0xff, v65
	s_delay_alu instid0(VALU_DEP_1) | instskip(NEXT) | instid1(VALU_DEP_2)
	v_dual_mov_b32 v9, v11 :: v_dual_mov_b32 v10, v12
	v_cmpx_ne_u16_e32 0, v5
	s_cbranch_execz .LBB212_531
; %bb.524:                              ;   in Loop: Header=BB212_283 Depth=1
	v_bfrev_b32_e32 v9, 1
	v_mov_b32_e32 v10, 0
	s_mov_b32 s30, exec_lo
	v_cmpx_ne_u16_e32 0x80, v5
	s_cbranch_execz .LBB212_530
; %bb.525:                              ;   in Loop: Header=BB212_283 Depth=1
	v_mov_b32_e32 v9, 0x7f800001
	v_dual_mov_b32 v10, 0 :: v_dual_and_b32 v13, 0x7f, v65
	s_mov_b32 s31, exec_lo
	s_delay_alu instid0(VALU_DEP_1)
	v_cmpx_ne_u32_e32 0x7f, v13
	s_cbranch_execz .LBB212_529
; %bb.526:                              ;   in Loop: Header=BB212_283 Depth=1
	v_and_b32_e32 v5, 7, v65
	v_lshrrev_b32_e32 v9, 3, v13
	s_mov_b32 s34, exec_lo
	v_cmpx_gt_u32_e32 8, v13
; %bb.527:                              ;   in Loop: Header=BB212_283 Depth=1
	s_delay_alu instid0(VALU_DEP_3) | instskip(NEXT) | instid1(VALU_DEP_1)
	v_clz_i32_u32_e32 v9, v5
	v_min_u32_e32 v9, 32, v9
	s_delay_alu instid0(VALU_DEP_1) | instskip(SKIP_1) | instid1(VALU_DEP_2)
	v_subrev_nc_u32_e32 v10, 28, v9
	v_sub_nc_u32_e32 v9, 29, v9
	v_lshlrev_b64 v[13:14], v10, v[5:6]
	s_delay_alu instid0(VALU_DEP_1)
	v_and_b32_e32 v5, 7, v13
; %bb.528:                              ;   in Loop: Header=BB212_283 Depth=1
	s_or_b32 exec_lo, exec_lo, s34
	v_lshlrev_b32_e32 v10, 24, v65
	s_delay_alu instid0(VALU_DEP_2) | instskip(SKIP_1) | instid1(VALU_DEP_3)
	v_lshlrev_b32_e32 v5, 20, v5
	v_lshl_add_u32 v9, v9, 23, 0x3c000000
	v_and_b32_e32 v10, 0x80000000, v10
	s_delay_alu instid0(VALU_DEP_1) | instskip(NEXT) | instid1(VALU_DEP_1)
	v_or3_b32 v5, v5, v10, v9
	v_dual_mov_b32 v10, v6 :: v_dual_mov_b32 v9, v5
.LBB212_529:                            ;   in Loop: Header=BB212_283 Depth=1
	s_or_b32 exec_lo, exec_lo, s31
.LBB212_530:                            ;   in Loop: Header=BB212_283 Depth=1
	s_delay_alu instid0(SALU_CYCLE_1)
	s_or_b32 exec_lo, exec_lo, s30
.LBB212_531:                            ;   in Loop: Header=BB212_283 Depth=1
	s_delay_alu instid0(SALU_CYCLE_1) | instskip(SKIP_2) | instid1(VALU_DEP_1)
	s_or_b32 exec_lo, exec_lo, s10
	v_lshrrev_b16 v5, 8, v65
	s_mov_b32 s30, exec_lo
	v_cmpx_ne_u16_e32 0, v5
	s_cbranch_execz .LBB212_539
; %bb.532:                              ;   in Loop: Header=BB212_283 Depth=1
	v_dual_mov_b32 v12, s9 :: v_dual_mov_b32 v11, s8
	s_mov_b32 s31, exec_lo
	v_cmpx_ne_u16_e32 0x80, v5
	s_cbranch_execz .LBB212_538
; %bb.533:                              ;   in Loop: Header=BB212_283 Depth=1
	s_mov_b32 s10, s8
	v_dual_mov_b32 v12, s11 :: v_dual_and_b32 v5, 0xffff, v5
	v_mov_b32_e32 v11, s10
	s_mov_b32 s10, exec_lo
	s_delay_alu instid0(VALU_DEP_2) | instskip(NEXT) | instid1(VALU_DEP_1)
	v_and_b32_e32 v13, 0x7f, v5
	v_cmpx_ne_u32_e32 0x7f, v13
	s_cbranch_execz .LBB212_537
; %bb.534:                              ;   in Loop: Header=BB212_283 Depth=1
	v_and_b32_e32 v5, 7, v5
	v_lshrrev_b32_e32 v11, 3, v13
	s_mov_b32 s34, exec_lo
	v_cmpx_gt_u32_e32 8, v13
; %bb.535:                              ;   in Loop: Header=BB212_283 Depth=1
	s_delay_alu instid0(VALU_DEP_3) | instskip(NEXT) | instid1(VALU_DEP_1)
	v_clz_i32_u32_e32 v11, v5
	v_min_u32_e32 v11, 32, v11
	s_delay_alu instid0(VALU_DEP_1) | instskip(SKIP_1) | instid1(VALU_DEP_2)
	v_subrev_nc_u32_e32 v12, 28, v11
	v_sub_nc_u32_e32 v11, 29, v11
	v_lshlrev_b64 v[12:13], v12, v[5:6]
	s_delay_alu instid0(VALU_DEP_1)
	v_and_b32_e32 v5, 7, v12
; %bb.536:                              ;   in Loop: Header=BB212_283 Depth=1
	s_or_b32 exec_lo, exec_lo, s34
	v_lshlrev_b32_e32 v12, 16, v65
	s_delay_alu instid0(VALU_DEP_2) | instskip(SKIP_1) | instid1(VALU_DEP_3)
	v_lshlrev_b32_e32 v5, 20, v5
	v_lshl_add_u32 v11, v11, 23, 0x3c000000
	v_and_b32_e32 v12, 0x80000000, v12
	s_delay_alu instid0(VALU_DEP_1)
	v_or3_b32 v12, v5, v12, v11
	v_mov_b32_e32 v11, v6
.LBB212_537:                            ;   in Loop: Header=BB212_283 Depth=1
	s_or_b32 exec_lo, exec_lo, s10
.LBB212_538:                            ;   in Loop: Header=BB212_283 Depth=1
	s_delay_alu instid0(SALU_CYCLE_1)
	s_or_b32 exec_lo, exec_lo, s31
.LBB212_539:                            ;   in Loop: Header=BB212_283 Depth=1
	s_delay_alu instid0(SALU_CYCLE_1) | instskip(SKIP_4) | instid1(VALU_DEP_2)
	s_or_b32 exec_lo, exec_lo, s30
	v_mov_b32_e32 v15, 0
	v_lshrrev_b32_e32 v66, 16, v65
	v_mov_b32_e32 v16, 0
	s_mov_b32 s10, exec_lo
	v_and_b32_e32 v5, 0xff, v66
	s_delay_alu instid0(VALU_DEP_2) | instskip(NEXT) | instid1(VALU_DEP_2)
	v_dual_mov_b32 v13, v15 :: v_dual_mov_b32 v14, v16
	v_cmpx_ne_u16_e32 0, v5
	s_cbranch_execz .LBB212_547
; %bb.540:                              ;   in Loop: Header=BB212_283 Depth=1
	v_bfrev_b32_e32 v13, 1
	v_mov_b32_e32 v14, 0
	s_mov_b32 s30, exec_lo
	v_cmpx_ne_u16_e32 0x80, v5
	s_cbranch_execz .LBB212_546
; %bb.541:                              ;   in Loop: Header=BB212_283 Depth=1
	v_mov_b32_e32 v13, 0x7f800001
	v_bfe_u32 v67, v65, 16, 7
	v_mov_b32_e32 v14, 0
	s_mov_b32 s31, exec_lo
	s_delay_alu instid0(VALU_DEP_2)
	v_cmpx_ne_u32_e32 0x7f, v67
	s_cbranch_execz .LBB212_545
; %bb.542:                              ;   in Loop: Header=BB212_283 Depth=1
	v_and_b32_e32 v5, 7, v66
	v_lshrrev_b32_e32 v13, 3, v67
	s_mov_b32 s34, exec_lo
	v_cmpx_gt_u32_e32 8, v67
; %bb.543:                              ;   in Loop: Header=BB212_283 Depth=1
	s_delay_alu instid0(VALU_DEP_3) | instskip(NEXT) | instid1(VALU_DEP_1)
	v_clz_i32_u32_e32 v13, v5
	v_min_u32_e32 v13, 32, v13
	s_delay_alu instid0(VALU_DEP_1) | instskip(SKIP_1) | instid1(VALU_DEP_2)
	v_subrev_nc_u32_e32 v14, 28, v13
	v_sub_nc_u32_e32 v13, 29, v13
	v_lshlrev_b64 v[67:68], v14, v[5:6]
	s_delay_alu instid0(VALU_DEP_1)
	v_and_b32_e32 v5, 7, v67
; %bb.544:                              ;   in Loop: Header=BB212_283 Depth=1
	s_or_b32 exec_lo, exec_lo, s34
	v_lshlrev_b32_e32 v14, 24, v66
	s_delay_alu instid0(VALU_DEP_2) | instskip(SKIP_1) | instid1(VALU_DEP_3)
	v_lshlrev_b32_e32 v5, 20, v5
	v_lshl_add_u32 v13, v13, 23, 0x3c000000
	v_and_b32_e32 v14, 0x80000000, v14
	s_delay_alu instid0(VALU_DEP_1) | instskip(NEXT) | instid1(VALU_DEP_1)
	v_or3_b32 v5, v5, v14, v13
	v_dual_mov_b32 v14, v6 :: v_dual_mov_b32 v13, v5
.LBB212_545:                            ;   in Loop: Header=BB212_283 Depth=1
	s_or_b32 exec_lo, exec_lo, s31
.LBB212_546:                            ;   in Loop: Header=BB212_283 Depth=1
	s_delay_alu instid0(SALU_CYCLE_1)
	s_or_b32 exec_lo, exec_lo, s30
.LBB212_547:                            ;   in Loop: Header=BB212_283 Depth=1
	s_delay_alu instid0(SALU_CYCLE_1) | instskip(NEXT) | instid1(SALU_CYCLE_1)
	s_or_b32 exec_lo, exec_lo, s10
	s_mov_b32 s30, exec_lo
	v_cmpx_lt_u32_e32 0xffffff, v65
	s_cbranch_execz .LBB212_555
; %bb.548:                              ;   in Loop: Header=BB212_283 Depth=1
	v_lshrrev_b32_e32 v66, 24, v65
	v_dual_mov_b32 v16, s9 :: v_dual_mov_b32 v15, s8
	s_mov_b32 s31, exec_lo
	s_delay_alu instid0(VALU_DEP_2)
	v_cmpx_ne_u32_e32 0x80, v66
	s_cbranch_execz .LBB212_554
; %bb.549:                              ;   in Loop: Header=BB212_283 Depth=1
	s_mov_b32 s10, s8
	v_bfe_u32 v65, v65, 24, 7
	v_dual_mov_b32 v16, s11 :: v_dual_mov_b32 v15, s10
	s_mov_b32 s10, exec_lo
	s_delay_alu instid0(VALU_DEP_2)
	v_cmpx_ne_u32_e32 0x7f, v65
	s_cbranch_execz .LBB212_553
; %bb.550:                              ;   in Loop: Header=BB212_283 Depth=1
	v_and_b32_e32 v5, 7, v66
	v_lshrrev_b32_e32 v15, 3, v65
	s_mov_b32 s34, exec_lo
	v_cmpx_gt_u32_e32 8, v65
; %bb.551:                              ;   in Loop: Header=BB212_283 Depth=1
	s_delay_alu instid0(VALU_DEP_3) | instskip(NEXT) | instid1(VALU_DEP_1)
	v_clz_i32_u32_e32 v15, v5
	v_min_u32_e32 v15, 32, v15
	s_delay_alu instid0(VALU_DEP_1) | instskip(SKIP_1) | instid1(VALU_DEP_2)
	v_subrev_nc_u32_e32 v16, 28, v15
	v_sub_nc_u32_e32 v15, 29, v15
	v_lshlrev_b64 v[67:68], v16, v[5:6]
	s_delay_alu instid0(VALU_DEP_1)
	v_and_b32_e32 v5, 7, v67
; %bb.552:                              ;   in Loop: Header=BB212_283 Depth=1
	s_or_b32 exec_lo, exec_lo, s34
	v_lshlrev_b32_e32 v16, 24, v66
	s_delay_alu instid0(VALU_DEP_2) | instskip(SKIP_1) | instid1(VALU_DEP_3)
	v_lshlrev_b32_e32 v5, 20, v5
	v_lshl_add_u32 v15, v15, 23, 0x3c000000
	v_and_b32_e32 v16, 0x80000000, v16
	s_delay_alu instid0(VALU_DEP_1)
	v_or3_b32 v16, v5, v16, v15
	v_mov_b32_e32 v15, v6
.LBB212_553:                            ;   in Loop: Header=BB212_283 Depth=1
	s_or_b32 exec_lo, exec_lo, s10
.LBB212_554:                            ;   in Loop: Header=BB212_283 Depth=1
	s_delay_alu instid0(SALU_CYCLE_1)
	s_or_b32 exec_lo, exec_lo, s31
.LBB212_555:                            ;   in Loop: Header=BB212_283 Depth=1
	s_delay_alu instid0(SALU_CYCLE_1) | instskip(SKIP_4) | instid1(VALU_DEP_4)
	s_or_b32 exec_lo, exec_lo, s30
	v_or_b32_e32 v5, v12, v10
	v_or_b32_e32 v9, v11, v9
	;; [unrolled: 1-line block ×4, first 2 shown]
	v_mul_f32_e32 v11, s23, v5
	s_delay_alu instid0(VALU_DEP_4) | instskip(NEXT) | instid1(VALU_DEP_3)
	v_mul_f32_e32 v9, s22, v9
	v_dual_mul_f32 v5, s23, v10 :: v_dual_mul_f32 v10, s22, v12
	s_and_saveexec_b32 s1, s0
	s_cbranch_execz .LBB212_280
; %bb.556:                              ;   in Loop: Header=BB212_283 Depth=1
	v_add_nc_u32_e32 v12, 1, v42
	v_cmp_gt_i32_e64 s0, s33, v42
	v_add_nc_u32_e32 v13, 2, v42
	v_add_nc_u32_e32 v14, 3, v42
	s_delay_alu instid0(VALU_DEP_3) | instskip(SKIP_1) | instid1(VALU_DEP_1)
	v_cndmask_b32_e64 v9, 0, v9, s0
	v_cmp_gt_i32_e64 s0, s33, v12
	v_cndmask_b32_e64 v11, 0, v11, s0
	v_cmp_gt_i32_e64 s0, s33, v13
	s_delay_alu instid0(VALU_DEP_1) | instskip(SKIP_1) | instid1(VALU_DEP_1)
	v_cndmask_b32_e64 v10, 0, v10, s0
	v_cmp_gt_i32_e64 s0, s33, v14
	v_cndmask_b32_e64 v5, 0, v5, s0
	s_branch .LBB212_280
.LBB212_557:
	s_or_b32 exec_lo, exec_lo, s20
.LBB212_558:
	s_delay_alu instid0(SALU_CYCLE_1)
	s_or_b32 exec_lo, exec_lo, s5
	ds_bpermute_b32 v1, v22, v33
	ds_bpermute_b32 v2, v22, v32
	;; [unrolled: 1-line block ×8, first 2 shown]
	s_movk_i32 s0, 0x1e0
	v_cmp_eq_u32_e32 vcc_lo, 0, v23
	v_and_b32_e32 v14, 0x3c0, v0
	v_mad_u32_u24 v9, v43, s0, 0x200
	s_mov_b32 s1, exec_lo
	s_waitcnt lgkmcnt(0)
	s_waitcnt_vscnt null, 0x0
	s_barrier
	buffer_gl0_inv
	v_dual_add_f32 v8, v33, v1 :: v_dual_add_f32 v7, v32, v2
	v_add_f32_e32 v6, v31, v3
	v_dual_add_f32 v5, v27, v4 :: v_dual_add_f32 v4, v28, v10
	v_dual_add_f32 v3, v25, v11 :: v_dual_add_f32 v2, v26, v12
	v_add_f32_e32 v1, v24, v13
	v_cmpx_eq_u32_e32 64, v14
	s_cbranch_execz .LBB212_563
; %bb.559:
	v_add_nc_u32_e32 v10, 0xfffffc40, v9
	s_delay_alu instid0(VALU_DEP_1)
	v_lshl_add_u32 v10, v21, 2, v10
	s_and_saveexec_b32 s0, vcc_lo
	s_cbranch_execz .LBB212_561
; %bb.560:
	ds_store_2addr_b32 v10, v8, v7 offset1:16
	ds_store_2addr_b32 v10, v6, v5 offset0:32 offset1:48
	ds_store_2addr_b32 v10, v4, v3 offset0:64 offset1:80
	ds_store_b32 v10, v2 offset:384
.LBB212_561:
	s_or_b32 exec_lo, exec_lo, s0
	v_or_b32_e32 v11, 0x70, v21
	s_delay_alu instid0(VALU_DEP_1) | instskip(NEXT) | instid1(VALU_DEP_1)
	v_cmp_gt_u32_e64 s0, 0x78, v11
	s_and_b32 s0, vcc_lo, s0
	s_delay_alu instid0(SALU_CYCLE_1)
	s_and_b32 exec_lo, exec_lo, s0
	s_cbranch_execz .LBB212_563
; %bb.562:
	ds_store_b32 v10, v1 offset:448
.LBB212_563:
	s_or_b32 exec_lo, exec_lo, s1
	s_delay_alu instid0(SALU_CYCLE_1)
	s_mov_b32 s1, exec_lo
	s_waitcnt lgkmcnt(0)
	s_barrier
	buffer_gl0_inv
	v_cmpx_gt_u32_e32 64, v0
	s_cbranch_execz .LBB212_575
; %bb.564:
	s_and_saveexec_b32 s0, vcc_lo
	s_cbranch_execnz .LBB212_598
; %bb.565:
	s_or_b32 exec_lo, exec_lo, s0
	s_and_saveexec_b32 s0, vcc_lo
	s_cbranch_execnz .LBB212_599
.LBB212_566:
	s_or_b32 exec_lo, exec_lo, s0
	s_and_saveexec_b32 s0, vcc_lo
	s_cbranch_execnz .LBB212_600
.LBB212_567:
	s_or_b32 exec_lo, exec_lo, s0
	s_and_saveexec_b32 s0, vcc_lo
	s_cbranch_execnz .LBB212_601
.LBB212_568:
	s_or_b32 exec_lo, exec_lo, s0
	s_and_saveexec_b32 s0, vcc_lo
	s_cbranch_execnz .LBB212_602
.LBB212_569:
	s_or_b32 exec_lo, exec_lo, s0
	s_and_saveexec_b32 s0, vcc_lo
	s_cbranch_execnz .LBB212_603
.LBB212_570:
	s_or_b32 exec_lo, exec_lo, s0
	s_and_saveexec_b32 s0, vcc_lo
	s_cbranch_execz .LBB212_572
.LBB212_571:
	v_lshl_add_u32 v10, v21, 2, v9
	ds_load_b32 v10, v10 offset:384
	s_waitcnt lgkmcnt(0)
	v_add_f32_e32 v2, v2, v10
.LBB212_572:
	s_or_b32 exec_lo, exec_lo, s0
	v_or_b32_e32 v10, 0x70, v21
	s_delay_alu instid0(VALU_DEP_1) | instskip(NEXT) | instid1(VALU_DEP_1)
	v_cmp_gt_u32_e64 s0, 0x78, v10
	s_and_b32 s2, vcc_lo, s0
	s_delay_alu instid0(SALU_CYCLE_1)
	s_and_saveexec_b32 s0, s2
	s_cbranch_execz .LBB212_574
; %bb.573:
	v_lshl_add_u32 v10, v21, 2, v9
	ds_load_b32 v10, v10 offset:448
	s_waitcnt lgkmcnt(0)
	v_add_f32_e32 v1, v1, v10
.LBB212_574:
	s_or_b32 exec_lo, exec_lo, s0
.LBB212_575:
	s_delay_alu instid0(SALU_CYCLE_1)
	s_or_b32 exec_lo, exec_lo, s1
	v_and_b32_e32 v10, 0x3e0, v0
	s_mov_b32 s1, exec_lo
	s_barrier
	buffer_gl0_inv
	v_cmpx_eq_u32_e32 32, v10
	s_cbranch_execz .LBB212_580
; %bb.576:
	v_add_nc_u32_e32 v10, 0xfffffe20, v9
	s_delay_alu instid0(VALU_DEP_1)
	v_lshl_add_u32 v10, v21, 2, v10
	s_and_saveexec_b32 s0, vcc_lo
	s_cbranch_execz .LBB212_578
; %bb.577:
	ds_store_2addr_b32 v10, v8, v7 offset1:16
	ds_store_2addr_b32 v10, v6, v5 offset0:32 offset1:48
	ds_store_2addr_b32 v10, v4, v3 offset0:64 offset1:80
	ds_store_b32 v10, v2 offset:384
.LBB212_578:
	s_or_b32 exec_lo, exec_lo, s0
	v_or_b32_e32 v11, 0x70, v21
	s_delay_alu instid0(VALU_DEP_1) | instskip(NEXT) | instid1(VALU_DEP_1)
	v_cmp_gt_u32_e64 s0, 0x78, v11
	s_and_b32 s0, vcc_lo, s0
	s_delay_alu instid0(SALU_CYCLE_1)
	s_and_b32 exec_lo, exec_lo, s0
	s_cbranch_execz .LBB212_580
; %bb.579:
	ds_store_b32 v10, v1 offset:448
.LBB212_580:
	s_or_b32 exec_lo, exec_lo, s1
	v_cmp_gt_u32_e64 s0, 32, v0
	s_waitcnt lgkmcnt(0)
	s_barrier
	buffer_gl0_inv
	s_and_saveexec_b32 s2, s0
	s_cbranch_execz .LBB212_592
; %bb.581:
	v_lshl_add_u32 v9, v21, 2, v9
	s_and_saveexec_b32 s1, vcc_lo
	s_cbranch_execnz .LBB212_604
; %bb.582:
	s_or_b32 exec_lo, exec_lo, s1
	s_and_saveexec_b32 s1, vcc_lo
	s_cbranch_execnz .LBB212_605
.LBB212_583:
	s_or_b32 exec_lo, exec_lo, s1
	s_and_saveexec_b32 s1, vcc_lo
	s_cbranch_execnz .LBB212_606
.LBB212_584:
	s_or_b32 exec_lo, exec_lo, s1
	s_and_saveexec_b32 s1, vcc_lo
	s_cbranch_execnz .LBB212_607
.LBB212_585:
	s_or_b32 exec_lo, exec_lo, s1
	s_and_saveexec_b32 s1, vcc_lo
	s_cbranch_execnz .LBB212_608
.LBB212_586:
	s_or_b32 exec_lo, exec_lo, s1
	s_and_saveexec_b32 s1, vcc_lo
	s_cbranch_execnz .LBB212_609
.LBB212_587:
	s_or_b32 exec_lo, exec_lo, s1
	s_and_saveexec_b32 s1, vcc_lo
	s_cbranch_execz .LBB212_589
.LBB212_588:
	ds_load_b32 v10, v9 offset:384
	s_waitcnt lgkmcnt(0)
	v_add_f32_e32 v2, v2, v10
.LBB212_589:
	s_or_b32 exec_lo, exec_lo, s1
	v_or_b32_e32 v10, 0x70, v21
	s_delay_alu instid0(VALU_DEP_1) | instskip(NEXT) | instid1(VALU_DEP_1)
	v_cmp_gt_u32_e64 s1, 0x78, v10
	s_and_b32 s3, vcc_lo, s1
	s_delay_alu instid0(SALU_CYCLE_1)
	s_and_saveexec_b32 s1, s3
	s_cbranch_execz .LBB212_591
; %bb.590:
	ds_load_b32 v9, v9 offset:448
	s_waitcnt lgkmcnt(0)
	v_add_f32_e32 v1, v1, v9
.LBB212_591:
	s_or_b32 exec_lo, exec_lo, s1
.LBB212_592:
	s_delay_alu instid0(SALU_CYCLE_1)
	s_or_b32 exec_lo, exec_lo, s2
	s_barrier
	buffer_gl0_inv
	s_and_saveexec_b32 s1, s0
	s_cbranch_execz .LBB212_597
; %bb.593:
	s_mul_i32 s0, s4, 0x78
	s_mul_i32 s2, s15, s24
	s_ashr_i32 s1, s0, 31
	v_lshrrev_b32_e32 v9, 1, v0
	s_lshl_b64 s[0:1], s[0:1], 2
	s_delay_alu instid0(SALU_CYCLE_1)
	s_add_u32 s4, s26, s0
	s_addc_u32 s1, s27, s1
	s_ashr_i32 s3, s2, 31
	s_mul_i32 s0, s12, 0x78
	s_lshl_b64 s[2:3], s[2:3], 2
	v_lshlrev_b32_e32 v0, 2, v9
	s_add_u32 s2, s4, s2
	s_addc_u32 s3, s1, s3
	s_ashr_i32 s1, s0, 31
	s_delay_alu instid0(SALU_CYCLE_1) | instskip(NEXT) | instid1(SALU_CYCLE_1)
	s_lshl_b64 s[0:1], s[0:1], 2
	s_add_u32 s2, s2, s0
	s_addc_u32 s3, s3, s1
	s_and_saveexec_b32 s0, vcc_lo
; %bb.594:
	s_clause 0x6
	global_store_b32 v0, v8, s[2:3]
	global_store_b32 v0, v7, s[2:3] offset:64
	global_store_b32 v0, v6, s[2:3] offset:128
	;; [unrolled: 1-line block ×6, first 2 shown]
; %bb.595:
	s_or_b32 exec_lo, exec_lo, s0
	v_or_b32_e32 v2, 0x70, v9
	s_delay_alu instid0(VALU_DEP_1) | instskip(NEXT) | instid1(VALU_DEP_1)
	v_cmp_gt_u32_e64 s0, 0x78, v2
	s_and_b32 s0, vcc_lo, s0
	s_delay_alu instid0(SALU_CYCLE_1)
	s_and_b32 exec_lo, exec_lo, s0
	s_cbranch_execz .LBB212_597
; %bb.596:
	global_store_b32 v0, v1, s[2:3] offset:448
.LBB212_597:
	s_nop 0
	s_sendmsg sendmsg(MSG_DEALLOC_VGPRS)
	s_endpgm
.LBB212_598:
	v_lshl_add_u32 v10, v21, 2, v9
	ds_load_b32 v10, v10
	s_waitcnt lgkmcnt(0)
	v_add_f32_e32 v8, v8, v10
	s_or_b32 exec_lo, exec_lo, s0
	s_and_saveexec_b32 s0, vcc_lo
	s_cbranch_execz .LBB212_566
.LBB212_599:
	v_lshl_add_u32 v10, v21, 2, v9
	ds_load_b32 v10, v10 offset:64
	s_waitcnt lgkmcnt(0)
	v_add_f32_e32 v7, v7, v10
	s_or_b32 exec_lo, exec_lo, s0
	s_and_saveexec_b32 s0, vcc_lo
	s_cbranch_execz .LBB212_567
.LBB212_600:
	v_lshl_add_u32 v10, v21, 2, v9
	ds_load_b32 v10, v10 offset:128
	s_waitcnt lgkmcnt(0)
	v_add_f32_e32 v6, v6, v10
	s_or_b32 exec_lo, exec_lo, s0
	s_and_saveexec_b32 s0, vcc_lo
	s_cbranch_execz .LBB212_568
.LBB212_601:
	v_lshl_add_u32 v10, v21, 2, v9
	ds_load_b32 v10, v10 offset:192
	s_waitcnt lgkmcnt(0)
	v_add_f32_e32 v5, v5, v10
	s_or_b32 exec_lo, exec_lo, s0
	s_and_saveexec_b32 s0, vcc_lo
	s_cbranch_execz .LBB212_569
.LBB212_602:
	v_lshl_add_u32 v10, v21, 2, v9
	ds_load_b32 v10, v10 offset:256
	s_waitcnt lgkmcnt(0)
	v_add_f32_e32 v4, v4, v10
	s_or_b32 exec_lo, exec_lo, s0
	s_and_saveexec_b32 s0, vcc_lo
	s_cbranch_execz .LBB212_570
.LBB212_603:
	v_lshl_add_u32 v10, v21, 2, v9
	ds_load_b32 v10, v10 offset:320
	s_waitcnt lgkmcnt(0)
	v_add_f32_e32 v3, v3, v10
	s_or_b32 exec_lo, exec_lo, s0
	s_and_saveexec_b32 s0, vcc_lo
	s_cbranch_execnz .LBB212_571
	s_branch .LBB212_572
.LBB212_604:
	ds_load_b32 v10, v9
	s_waitcnt lgkmcnt(0)
	v_add_f32_e32 v8, v8, v10
	s_or_b32 exec_lo, exec_lo, s1
	s_and_saveexec_b32 s1, vcc_lo
	s_cbranch_execz .LBB212_583
.LBB212_605:
	ds_load_b32 v10, v9 offset:64
	s_waitcnt lgkmcnt(0)
	v_add_f32_e32 v7, v7, v10
	s_or_b32 exec_lo, exec_lo, s1
	s_and_saveexec_b32 s1, vcc_lo
	s_cbranch_execz .LBB212_584
.LBB212_606:
	ds_load_b32 v10, v9 offset:128
	s_waitcnt lgkmcnt(0)
	v_add_f32_e32 v6, v6, v10
	s_or_b32 exec_lo, exec_lo, s1
	s_and_saveexec_b32 s1, vcc_lo
	s_cbranch_execz .LBB212_585
.LBB212_607:
	ds_load_b32 v10, v9 offset:192
	s_waitcnt lgkmcnt(0)
	v_add_f32_e32 v5, v5, v10
	s_or_b32 exec_lo, exec_lo, s1
	s_and_saveexec_b32 s1, vcc_lo
	s_cbranch_execz .LBB212_586
.LBB212_608:
	ds_load_b32 v10, v9 offset:256
	s_waitcnt lgkmcnt(0)
	v_add_f32_e32 v4, v4, v10
	s_or_b32 exec_lo, exec_lo, s1
	s_and_saveexec_b32 s1, vcc_lo
	s_cbranch_execz .LBB212_587
.LBB212_609:
	ds_load_b32 v10, v9 offset:320
	s_waitcnt lgkmcnt(0)
	v_add_f32_e32 v3, v3, v10
	s_or_b32 exec_lo, exec_lo, s1
	s_and_saveexec_b32 s1, vcc_lo
	s_cbranch_execnz .LBB212_588
	s_branch .LBB212_589
	.section	.rodata,"a",@progbits
	.p2align	6, 0x0
	.amdhsa_kernel _ZN4vllm25paged_attention_v2_kernelIfhLi120ELi8ELi128ELNS_18Fp8KVCacheDataTypeE1ELb1ELi512EEEvPfS2_PT_PKS3_PKT0_S9_ifPKiSB_iPKfiiiSD_SD_iiiii
		.amdhsa_group_segment_fixed_size 512
		.amdhsa_private_segment_fixed_size 0
		.amdhsa_kernarg_size 400
		.amdhsa_user_sgpr_count 13
		.amdhsa_user_sgpr_dispatch_ptr 0
		.amdhsa_user_sgpr_queue_ptr 0
		.amdhsa_user_sgpr_kernarg_segment_ptr 1
		.amdhsa_user_sgpr_dispatch_id 0
		.amdhsa_user_sgpr_private_segment_size 0
		.amdhsa_wavefront_size32 1
		.amdhsa_uses_dynamic_stack 0
		.amdhsa_enable_private_segment 0
		.amdhsa_system_sgpr_workgroup_id_x 1
		.amdhsa_system_sgpr_workgroup_id_y 1
		.amdhsa_system_sgpr_workgroup_id_z 1
		.amdhsa_system_sgpr_workgroup_info 0
		.amdhsa_system_vgpr_workitem_id 0
		.amdhsa_next_free_vgpr 88
		.amdhsa_next_free_sgpr 53
		.amdhsa_reserve_vcc 1
		.amdhsa_float_round_mode_32 0
		.amdhsa_float_round_mode_16_64 0
		.amdhsa_float_denorm_mode_32 3
		.amdhsa_float_denorm_mode_16_64 3
		.amdhsa_dx10_clamp 1
		.amdhsa_ieee_mode 1
		.amdhsa_fp16_overflow 0
		.amdhsa_workgroup_processor_mode 1
		.amdhsa_memory_ordered 1
		.amdhsa_forward_progress 0
		.amdhsa_shared_vgpr_count 0
		.amdhsa_exception_fp_ieee_invalid_op 0
		.amdhsa_exception_fp_denorm_src 0
		.amdhsa_exception_fp_ieee_div_zero 0
		.amdhsa_exception_fp_ieee_overflow 0
		.amdhsa_exception_fp_ieee_underflow 0
		.amdhsa_exception_fp_ieee_inexact 0
		.amdhsa_exception_int_div_zero 0
	.end_amdhsa_kernel
	.section	.text._ZN4vllm25paged_attention_v2_kernelIfhLi120ELi8ELi128ELNS_18Fp8KVCacheDataTypeE1ELb1ELi512EEEvPfS2_PT_PKS3_PKT0_S9_ifPKiSB_iPKfiiiSD_SD_iiiii,"axG",@progbits,_ZN4vllm25paged_attention_v2_kernelIfhLi120ELi8ELi128ELNS_18Fp8KVCacheDataTypeE1ELb1ELi512EEEvPfS2_PT_PKS3_PKT0_S9_ifPKiSB_iPKfiiiSD_SD_iiiii,comdat
.Lfunc_end212:
	.size	_ZN4vllm25paged_attention_v2_kernelIfhLi120ELi8ELi128ELNS_18Fp8KVCacheDataTypeE1ELb1ELi512EEEvPfS2_PT_PKS3_PKT0_S9_ifPKiSB_iPKfiiiSD_SD_iiiii, .Lfunc_end212-_ZN4vllm25paged_attention_v2_kernelIfhLi120ELi8ELi128ELNS_18Fp8KVCacheDataTypeE1ELb1ELi512EEEvPfS2_PT_PKS3_PKT0_S9_ifPKiSB_iPKfiiiSD_SD_iiiii
                                        ; -- End function
	.section	.AMDGPU.csdata,"",@progbits
; Kernel info:
; codeLenInByte = 20700
; NumSgprs: 55
; NumVgprs: 88
; ScratchSize: 0
; MemoryBound: 0
; FloatMode: 240
; IeeeMode: 1
; LDSByteSize: 512 bytes/workgroup (compile time only)
; SGPRBlocks: 6
; VGPRBlocks: 10
; NumSGPRsForWavesPerEU: 55
; NumVGPRsForWavesPerEU: 88
; Occupancy: 16
; WaveLimiterHint : 1
; COMPUTE_PGM_RSRC2:SCRATCH_EN: 0
; COMPUTE_PGM_RSRC2:USER_SGPR: 13
; COMPUTE_PGM_RSRC2:TRAP_HANDLER: 0
; COMPUTE_PGM_RSRC2:TGID_X_EN: 1
; COMPUTE_PGM_RSRC2:TGID_Y_EN: 1
; COMPUTE_PGM_RSRC2:TGID_Z_EN: 1
; COMPUTE_PGM_RSRC2:TIDIG_COMP_CNT: 0
	.section	.text._ZN4vllm25paged_attention_v2_kernelIfhLi128ELi8ELi128ELNS_18Fp8KVCacheDataTypeE1ELb1ELi512EEEvPfS2_PT_PKS3_PKT0_S9_ifPKiSB_iPKfiiiSD_SD_iiiii,"axG",@progbits,_ZN4vllm25paged_attention_v2_kernelIfhLi128ELi8ELi128ELNS_18Fp8KVCacheDataTypeE1ELb1ELi512EEEvPfS2_PT_PKS3_PKT0_S9_ifPKiSB_iPKfiiiSD_SD_iiiii,comdat
	.protected	_ZN4vllm25paged_attention_v2_kernelIfhLi128ELi8ELi128ELNS_18Fp8KVCacheDataTypeE1ELb1ELi512EEEvPfS2_PT_PKS3_PKT0_S9_ifPKiSB_iPKfiiiSD_SD_iiiii ; -- Begin function _ZN4vllm25paged_attention_v2_kernelIfhLi128ELi8ELi128ELNS_18Fp8KVCacheDataTypeE1ELb1ELi512EEEvPfS2_PT_PKS3_PKT0_S9_ifPKiSB_iPKfiiiSD_SD_iiiii
	.globl	_ZN4vllm25paged_attention_v2_kernelIfhLi128ELi8ELi128ELNS_18Fp8KVCacheDataTypeE1ELb1ELi512EEEvPfS2_PT_PKS3_PKT0_S9_ifPKiSB_iPKfiiiSD_SD_iiiii
	.p2align	8
	.type	_ZN4vllm25paged_attention_v2_kernelIfhLi128ELi8ELi128ELNS_18Fp8KVCacheDataTypeE1ELb1ELi512EEEvPfS2_PT_PKS3_PKT0_S9_ifPKiSB_iPKfiiiSD_SD_iiiii,@function
_ZN4vllm25paged_attention_v2_kernelIfhLi128ELi8ELi128ELNS_18Fp8KVCacheDataTypeE1ELb1ELi512EEEvPfS2_PT_PKS3_PKT0_S9_ifPKiSB_iPKfiiiSD_SD_iiiii: ; @_ZN4vllm25paged_attention_v2_kernelIfhLi128ELi8ELi128ELNS_18Fp8KVCacheDataTypeE1ELb1ELi512EEEvPfS2_PT_PKS3_PKT0_S9_ifPKiSB_iPKfiiiSD_SD_iiiii
; %bb.0:
	s_load_b64 s[2:3], s[0:1], 0x40
	s_mov_b32 s12, s15
	s_ashr_i32 s15, s14, 31
	s_delay_alu instid0(SALU_CYCLE_1)
	s_lshl_b64 s[4:5], s[14:15], 2
	s_waitcnt lgkmcnt(0)
	s_add_u32 s2, s2, s4
	s_addc_u32 s3, s3, s5
	s_lshl_b32 s40, s12, 9
	s_load_b32 s15, s[2:3], 0x0
	s_waitcnt lgkmcnt(0)
	s_cmp_ge_i32 s40, s15
	s_cbranch_scc1 .LBB213_598
; %bb.1:
	s_mov_b32 s28, s13
	s_clause 0x1
	s_load_b32 s13, s[0:1], 0x90
	s_load_b64 s[38:39], s[0:1], 0x30
	s_mov_b32 s42, 0
	s_waitcnt lgkmcnt(0)
	s_abs_i32 s5, s13
	s_abs_i32 s2, s38
	s_delay_alu instid0(SALU_CYCLE_1) | instskip(SKIP_1) | instid1(VALU_DEP_1)
	v_cvt_f32_u32_e32 v1, s2
	s_sub_i32 s4, 0, s2
	v_rcp_iflag_f32_e32 v1, v1
	s_waitcnt_depctr 0xfff
	v_mul_f32_e32 v1, 0x4f7ffffe, v1
	s_delay_alu instid0(VALU_DEP_1) | instskip(NEXT) | instid1(VALU_DEP_1)
	v_cvt_u32_f32_e32 v1, v1
	v_readfirstlane_b32 s3, v1
	s_delay_alu instid0(VALU_DEP_1) | instskip(NEXT) | instid1(SALU_CYCLE_1)
	s_mul_i32 s4, s4, s3
	s_mul_hi_u32 s4, s3, s4
	s_delay_alu instid0(SALU_CYCLE_1) | instskip(SKIP_4) | instid1(SALU_CYCLE_1)
	s_add_i32 s3, s3, s4
	s_xor_b32 s4, s13, s38
	s_mul_hi_u32 s3, s5, s3
	s_ashr_i32 s4, s4, 31
	s_mul_i32 s6, s3, s2
	s_sub_i32 s5, s5, s6
	s_add_i32 s6, s3, 1
	s_sub_i32 s7, s5, s2
	s_cmp_ge_u32 s5, s2
	s_cselect_b32 s3, s6, s3
	s_cselect_b32 s5, s7, s5
	s_add_i32 s6, s3, 1
	s_cmp_ge_u32 s5, s2
	s_cselect_b32 s2, s6, s3
	s_delay_alu instid0(SALU_CYCLE_1) | instskip(NEXT) | instid1(SALU_CYCLE_1)
	s_xor_b32 s2, s2, s4
	s_sub_i32 s7, s2, s4
	s_load_b64 s[2:3], s[0:1], 0x50
	s_abs_i32 s4, s7
	s_delay_alu instid0(SALU_CYCLE_1) | instskip(SKIP_1) | instid1(VALU_DEP_1)
	v_cvt_f32_u32_e32 v1, s4
	s_sub_i32 s5, 0, s4
	v_rcp_iflag_f32_e32 v1, v1
	s_waitcnt_depctr 0xfff
	v_mul_f32_e32 v1, 0x4f7ffffe, v1
	s_delay_alu instid0(VALU_DEP_1) | instskip(NEXT) | instid1(VALU_DEP_1)
	v_cvt_u32_f32_e32 v1, v1
	v_readfirstlane_b32 s6, v1
	s_delay_alu instid0(VALU_DEP_1) | instskip(NEXT) | instid1(SALU_CYCLE_1)
	s_mul_i32 s5, s5, s6
	s_mul_hi_u32 s8, s6, s5
	s_abs_i32 s5, s28
	s_add_i32 s6, s6, s8
	s_waitcnt lgkmcnt(0)
	s_cmp_eq_u64 s[2:3], 0
	s_mul_hi_u32 s6, s5, s6
	s_cbranch_scc1 .LBB213_3
; %bb.2:
	s_ashr_i32 s29, s28, 31
	s_delay_alu instid0(SALU_CYCLE_1) | instskip(NEXT) | instid1(SALU_CYCLE_1)
	s_lshl_b64 s[8:9], s[28:29], 2
	s_add_u32 s2, s2, s8
	s_addc_u32 s3, s3, s9
	s_load_b32 s42, s[2:3], 0x0
.LBB213_3:
	s_load_b128 s[8:11], s[0:1], 0x58
	v_and_b32_e32 v48, 3, v0
	v_lshlrev_b32_e32 v47, 2, v0
	s_ashr_i32 s2, s28, 31
	s_ashr_i32 s3, s7, 31
	s_lshl_b32 s24, s28, 7
	s_mov_b32 s7, exec_lo
	v_cmpx_gt_u32_e32 0x80, v0
	s_cbranch_execz .LBB213_5
; %bb.4:
	s_load_b64 s[16:17], s[0:1], 0x18
	s_waitcnt lgkmcnt(0)
	s_mul_i32 s18, s14, s8
	v_and_b32_e32 v2, 0x3fc, v0
	s_ashr_i32 s19, s18, 31
	s_delay_alu instid0(SALU_CYCLE_1) | instskip(NEXT) | instid1(VALU_DEP_1)
	s_lshl_b64 s[18:19], s[18:19], 2
	v_lshl_add_u32 v2, v48, 7, v2
	s_add_u32 s8, s16, s18
	s_addc_u32 s11, s17, s19
	s_ashr_i32 s25, s24, 31
	s_delay_alu instid0(SALU_CYCLE_1) | instskip(NEXT) | instid1(SALU_CYCLE_1)
	s_lshl_b64 s[16:17], s[24:25], 2
	s_add_u32 s16, s8, s16
	s_addc_u32 s17, s11, s17
	global_load_b32 v1, v47, s[16:17]
	s_waitcnt vmcnt(0)
	ds_store_b32 v2, v1
.LBB213_5:
	s_or_b32 exec_lo, exec_lo, s7
	s_load_b128 s[16:19], s[0:1], 0x78
	s_mul_i32 s7, s6, s4
	s_xor_b32 s2, s2, s3
	s_sub_i32 s3, s5, s7
	s_add_i32 s5, s6, 1
	s_sub_i32 s7, s3, s4
	s_cmp_ge_u32 s3, s4
	s_waitcnt lgkmcnt(0)
	s_cselect_b32 s5, s5, s6
	s_cselect_b32 s3, s7, s3
	s_add_i32 s6, s5, 1
	s_cmp_ge_u32 s3, s4
	s_load_b32 s4, s[0:1], 0x88
	s_cselect_b32 s3, s6, s5
	s_add_i32 s5, s15, -1
	s_xor_b32 s3, s3, s2
	s_abs_i32 s8, s5
	s_sub_i32 s3, s3, s2
	s_mov_b32 s6, -1
	s_waitcnt lgkmcnt(0)
	s_barrier
	s_abs_i32 s25, s19
	buffer_gl0_inv
	v_cvt_f32_u32_e32 v1, s25
	s_sub_i32 s2, 0, s25
                                        ; implicit-def: $sgpr33
	s_delay_alu instid0(VALU_DEP_1) | instskip(SKIP_2) | instid1(VALU_DEP_1)
	v_rcp_iflag_f32_e32 v1, v1
	s_waitcnt_depctr 0xfff
	v_mul_f32_e32 v1, 0x4f7ffffe, v1
	v_cvt_u32_f32_e32 v1, v1
	s_delay_alu instid0(VALU_DEP_1) | instskip(NEXT) | instid1(VALU_DEP_1)
	v_readfirstlane_b32 s29, v1
	s_mul_i32 s2, s2, s29
	s_delay_alu instid0(SALU_CYCLE_1) | instskip(NEXT) | instid1(SALU_CYCLE_1)
	s_mul_hi_u32 s2, s29, s2
	s_add_i32 s29, s29, s2
	s_cmp_lt_i32 s4, 0
	s_mul_hi_u32 s2, s8, s29
	s_cbranch_scc0 .LBB213_7
; %bb.6:
	s_mul_i32 s6, s16, s38
	s_delay_alu instid0(SALU_CYCLE_1) | instskip(NEXT) | instid1(SALU_CYCLE_1)
	s_add_i32 s6, s3, s6
	s_mul_i32 s6, s6, s4
	s_delay_alu instid0(SALU_CYCLE_1)
	s_sub_i32 s33, 1, s6
	s_mov_b32 s6, 0
.LBB213_7:
	s_load_b64 s[30:31], s[0:1], 0x38
	s_ashr_i32 s34, s5, 31
	s_and_not1_b32 vcc_lo, exec_lo, s6
	s_ashr_i32 s19, s19, 31
	s_cbranch_vccnz .LBB213_9
; %bb.8:
	s_mul_i32 s5, s13, s16
	s_delay_alu instid0(SALU_CYCLE_1) | instskip(NEXT) | instid1(SALU_CYCLE_1)
	s_add_i32 s5, s5, s28
	s_mul_i32 s4, s5, s4
	s_delay_alu instid0(SALU_CYCLE_1)
	s_add_i32 s33, s4, 1
.LBB213_9:
	s_clause 0x5
	s_load_b32 s16, s[0:1], 0x48
	s_load_b64 s[36:37], s[0:1], 0x28
	s_load_b128 s[20:23], s[0:1], 0x0
	s_load_b64 s[26:27], s[0:1], 0x10
	s_load_b32 s11, s[0:1], 0x98
	s_load_b128 s[4:7], s[0:1], 0x68
	s_xor_b32 s41, s34, s19
	s_mul_i32 s34, s2, s25
	s_add_i32 s38, s2, 1
	s_sub_i32 s8, s8, s34
	v_lshrrev_b32_e32 v45, 5, v0
	v_mov_b32_e32 v50, 0xff7fffff
	v_mbcnt_lo_u32_b32 v49, -1, 0
	s_mul_i32 s10, s3, s10
	s_delay_alu instid0(VALU_DEP_3)
	v_lshl_add_u32 v46, v45, 3, s40
	s_waitcnt lgkmcnt(0)
	s_mul_i32 s34, s14, s16
	s_sub_i32 s16, s8, s25
	s_ashr_i32 s35, s34, 31
	s_cmp_ge_u32 s8, s25
	s_cselect_b32 s2, s38, s2
	s_cselect_b32 s8, s16, s8
	s_add_i32 s16, s2, 1
	s_cmp_ge_u32 s8, s25
	s_cselect_b32 s2, s16, s2
	s_add_i32 s16, s15, 7
	s_lshl_b32 s8, s12, 6
	s_ashr_i32 s38, s16, 31
	v_or_b32_e32 v33, s8, v45
	s_lshr_b32 s38, s38, 29
	s_add_i32 s43, s8, 64
	s_add_i32 s16, s16, s38
	s_xor_b32 s44, s2, s41
	s_ashr_i32 s38, s16, 3
	v_ashrrev_i32_e32 v34, 31, v33
	s_min_i32 s16, s43, s38
	s_sub_i32 s41, s44, s41
	v_cmp_gt_i32_e64 s2, s16, v33
	s_delay_alu instid0(VALU_DEP_1)
	s_and_saveexec_b32 s43, s2
	s_cbranch_execz .LBB213_275
; %bb.10:
	s_load_b64 s[0:1], s[0:1], 0x20
	s_sub_i32 s44, s41, s17
	s_ashr_i32 s3, s10, 31
	v_bfe_u32 v51, v0, 2, 3
	v_mov_b32_e32 v54, 0xff7fffff
	v_cmp_eq_u32_e32 vcc_lo, 0, v48
	v_lshlrev_b32_e32 v52, 7, v48
	v_lshl_add_u32 v53, v45, 3, s40
	v_lshlrev_b32_e32 v7, 4, v51
	v_lshlrev_b32_e32 v4, 2, v51
	v_subrev_nc_u32_e32 v5, s15, v51
	v_mov_b32_e32 v50, 0xff7fffff
	v_mov_b32_e32 v36, 0
	;; [unrolled: 1-line block ×3, first 2 shown]
	v_lshl_or_b32 v4, v45, 5, v4
	v_add_nc_u32_e32 v55, 1, v5
	s_delay_alu instid0(VALU_DEP_2)
	v_add_nc_u32_e32 v56, 0x220, v4
	s_waitcnt lgkmcnt(0)
	s_add_u32 s48, s0, s10
	s_addc_u32 s1, s1, s3
	s_abs_i32 s45, s18
	s_lshl_b64 s[46:47], s[34:35], 2
	v_cvt_f32_u32_e32 v1, s45
	s_sub_i32 s3, 0, s45
	v_cmp_neq_f32_e64 s0, s42, 0
	s_delay_alu instid0(VALU_DEP_2) | instskip(SKIP_3) | instid1(VALU_DEP_2)
	v_rcp_iflag_f32_e32 v1, v1
	s_waitcnt_depctr 0xfff
	v_mul_f32_e32 v3, 0x4f7ffffe, v1
	v_lshlrev_b64 v[1:2], 2, v[33:34]
	v_cvt_u32_f32_e32 v3, v3
	s_delay_alu instid0(VALU_DEP_1) | instskip(SKIP_1) | instid1(VALU_DEP_1)
	v_mul_lo_u32 v6, s3, v3
	v_add_co_u32 v37, s3, s48, v7
	v_add_co_ci_u32_e64 v38, null, s1, 0, s3
	s_add_u32 s1, s30, s46
	s_addc_u32 s3, s31, s47
	v_add_co_u32 v39, s1, s1, v1
	s_delay_alu instid0(VALU_DEP_4) | instskip(SKIP_3) | instid1(VALU_DEP_2)
	v_mul_hi_u32 v4, v3, v6
	v_add_co_ci_u32_e64 v40, s1, s3, v2, s1
	s_mov_b32 s46, 0
	s_mov_b32 s47, s9
	v_add_nc_u32_e32 v57, v3, v4
	s_branch .LBB213_13
.LBB213_11:                             ;   in Loop: Header=BB213_13 Depth=1
	s_or_b32 exec_lo, exec_lo, s48
.LBB213_12:                             ;   in Loop: Header=BB213_13 Depth=1
	s_delay_alu instid0(SALU_CYCLE_1) | instskip(SKIP_2) | instid1(VALU_DEP_1)
	s_or_b32 exec_lo, exec_lo, s3
	v_add_nc_u32_e32 v58, 4, v58
	v_add_co_u32 v39, s3, v39, 16
	v_add_co_ci_u32_e64 v40, s3, 0, v40, s3
	s_delay_alu instid0(VALU_DEP_3) | instskip(SKIP_2) | instid1(VALU_DEP_3)
	v_cmp_le_i32_e64 s1, s16, v58
	v_add_nc_u32_e32 v53, 32, v53
	v_add_nc_u32_e32 v56, 0x80, v56
	s_or_b32 s46, s1, s46
	s_delay_alu instid0(SALU_CYCLE_1)
	s_and_not1_b32 exec_lo, exec_lo, s46
	s_cbranch_execz .LBB213_274
.LBB213_13:                             ; =>This Inner Loop Header: Depth=1
	v_sub_nc_u32_e32 v1, 0, v53
	s_delay_alu instid0(VALU_DEP_1) | instskip(SKIP_1) | instid1(VALU_DEP_1)
	v_max_i32_e32 v1, v53, v1
	s_waitcnt lgkmcnt(0)
	v_mul_hi_u32 v2, v1, s29
	s_delay_alu instid0(VALU_DEP_1) | instskip(NEXT) | instid1(VALU_DEP_1)
	v_mul_lo_u32 v3, v2, s25
	v_sub_nc_u32_e32 v1, v1, v3
	v_add_nc_u32_e32 v3, 1, v2
	s_delay_alu instid0(VALU_DEP_2) | instskip(SKIP_1) | instid1(VALU_DEP_1)
	v_subrev_nc_u32_e32 v4, s25, v1
	v_cmp_le_u32_e64 s1, s25, v1
	v_cndmask_b32_e64 v2, v2, v3, s1
	s_delay_alu instid0(VALU_DEP_3) | instskip(SKIP_1) | instid1(VALU_DEP_3)
	v_cndmask_b32_e64 v1, v1, v4, s1
	v_ashrrev_i32_e32 v3, 31, v53
	v_add_nc_u32_e32 v4, 1, v2
	s_delay_alu instid0(VALU_DEP_3) | instskip(NEXT) | instid1(VALU_DEP_3)
	v_cmp_le_u32_e64 s1, s25, v1
	v_xor_b32_e32 v3, s19, v3
	s_delay_alu instid0(VALU_DEP_2) | instskip(NEXT) | instid1(VALU_DEP_1)
	v_cndmask_b32_e64 v1, v2, v4, s1
	v_xor_b32_e32 v1, v1, v3
	s_delay_alu instid0(VALU_DEP_1) | instskip(NEXT) | instid1(VALU_DEP_1)
	v_sub_nc_u32_e32 v1, v1, v3
	v_add_nc_u32_e32 v2, s33, v1
	v_cmp_ge_i32_e64 s3, s44, v1
	s_delay_alu instid0(VALU_DEP_2) | instskip(NEXT) | instid1(VALU_DEP_1)
	v_sub_nc_u32_e32 v3, 0, v2
	v_max_i32_e32 v3, v2, v3
	v_ashrrev_i32_e32 v2, 31, v2
	s_delay_alu instid0(VALU_DEP_2) | instskip(NEXT) | instid1(VALU_DEP_1)
	v_mul_hi_u32 v4, v3, v57
	v_mul_lo_u32 v4, v4, s45
	s_delay_alu instid0(VALU_DEP_1) | instskip(NEXT) | instid1(VALU_DEP_1)
	v_sub_nc_u32_e32 v3, v3, v4
	v_subrev_nc_u32_e32 v4, s45, v3
	v_cmp_le_u32_e64 s1, s45, v3
	s_delay_alu instid0(VALU_DEP_1) | instskip(NEXT) | instid1(VALU_DEP_1)
	v_cndmask_b32_e64 v3, v3, v4, s1
	v_subrev_nc_u32_e32 v4, s45, v3
	v_cmp_le_u32_e64 s1, s45, v3
	s_delay_alu instid0(VALU_DEP_1) | instskip(NEXT) | instid1(VALU_DEP_1)
	v_cndmask_b32_e64 v3, v3, v4, s1
	v_xor_b32_e32 v3, v3, v2
	s_delay_alu instid0(VALU_DEP_1) | instskip(NEXT) | instid1(VALU_DEP_1)
	v_sub_nc_u32_e32 v2, v3, v2
	v_cmp_ne_u32_e64 s1, 0, v2
	s_delay_alu instid0(VALU_DEP_1) | instskip(NEXT) | instid1(SALU_CYCLE_1)
	s_and_b32 s1, s1, s3
	s_and_b32 s48, vcc_lo, s1
	s_delay_alu instid0(SALU_CYCLE_1)
	s_and_saveexec_b32 s3, s48
	s_cbranch_execz .LBB213_15
; %bb.14:                               ;   in Loop: Header=BB213_13 Depth=1
	ds_store_b32 v56, v54
.LBB213_15:                             ;   in Loop: Header=BB213_13 Depth=1
	s_or_b32 exec_lo, exec_lo, s3
	s_xor_b32 s1, s1, -1
	s_delay_alu instid0(SALU_CYCLE_1)
	s_and_saveexec_b32 s3, s1
	s_cbranch_execz .LBB213_12
; %bb.16:                               ;   in Loop: Header=BB213_13 Depth=1
	global_load_b32 v3, v[39:40], off
	v_dual_mov_b32 v59, 0 :: v_dual_mov_b32 v60, 0
	s_mov_b32 s49, exec_lo
	s_waitcnt vmcnt(0)
	v_mad_i64_i32 v[1:2], null, v3, s47, v[37:38]
	s_delay_alu instid0(VALU_DEP_1) | instskip(NEXT) | instid1(VALU_DEP_1)
	v_add_co_u32 v41, s1, v1, v48
	v_add_co_ci_u32_e64 v42, s1, 0, v2, s1
	global_load_u8 v43, v[41:42], off
	ds_load_b128 v[29:32], v52
	ds_load_b128 v[25:28], v52 offset:16
	ds_load_b128 v[21:24], v52 offset:32
	;; [unrolled: 1-line block ×7, first 2 shown]
	s_load_b32 s48, s[4:5], 0x0
	s_waitcnt vmcnt(0)
	v_cmpx_ne_u16_e32 0, v43
	s_cbranch_execz .LBB213_24
; %bb.17:                               ;   in Loop: Header=BB213_13 Depth=1
	v_bfrev_b32_e32 v60, 1
	s_mov_b32 s50, exec_lo
	v_cmpx_ne_u16_e32 0x80, v43
	s_cbranch_execz .LBB213_23
; %bb.18:                               ;   in Loop: Header=BB213_13 Depth=1
	v_and_b32_e32 v35, 0xffff, v43
	v_mov_b32_e32 v60, 0x7f800001
	s_mov_b32 s51, exec_lo
	s_delay_alu instid0(VALU_DEP_2) | instskip(NEXT) | instid1(VALU_DEP_1)
	v_and_b32_e32 v61, 0x7f, v35
	v_cmpx_ne_u32_e32 0x7f, v61
	s_cbranch_execz .LBB213_22
; %bb.19:                               ;   in Loop: Header=BB213_13 Depth=1
	v_and_b32_e32 v35, 7, v35
	v_lshrrev_b32_e32 v44, 3, v61
	s_mov_b32 s52, exec_lo
	v_cmpx_gt_u32_e32 8, v61
; %bb.20:                               ;   in Loop: Header=BB213_13 Depth=1
	s_delay_alu instid0(VALU_DEP_3) | instskip(NEXT) | instid1(VALU_DEP_1)
	v_clz_i32_u32_e32 v44, v35
	v_min_u32_e32 v44, 32, v44
	s_delay_alu instid0(VALU_DEP_1) | instskip(SKIP_1) | instid1(VALU_DEP_2)
	v_subrev_nc_u32_e32 v60, 28, v44
	v_sub_nc_u32_e32 v44, 29, v44
	v_lshlrev_b64 v[60:61], v60, v[35:36]
	s_delay_alu instid0(VALU_DEP_1)
	v_and_b32_e32 v35, 7, v60
; %bb.21:                               ;   in Loop: Header=BB213_13 Depth=1
	s_or_b32 exec_lo, exec_lo, s52
	v_lshlrev_b32_e32 v43, 24, v43
	s_delay_alu instid0(VALU_DEP_2) | instskip(SKIP_1) | instid1(VALU_DEP_3)
	v_lshlrev_b32_e32 v35, 20, v35
	v_lshl_add_u32 v44, v44, 23, 0x3c000000
	v_and_b32_e32 v43, 0x80000000, v43
	s_delay_alu instid0(VALU_DEP_1)
	v_or3_b32 v60, v35, v43, v44
.LBB213_22:                             ;   in Loop: Header=BB213_13 Depth=1
	s_or_b32 exec_lo, exec_lo, s51
.LBB213_23:                             ;   in Loop: Header=BB213_13 Depth=1
	s_delay_alu instid0(SALU_CYCLE_1)
	s_or_b32 exec_lo, exec_lo, s50
.LBB213_24:                             ;   in Loop: Header=BB213_13 Depth=1
	s_delay_alu instid0(SALU_CYCLE_1)
	s_or_b32 exec_lo, exec_lo, s49
	global_load_u8 v43, v[41:42], off offset:4
	s_mov_b32 s49, exec_lo
	s_waitcnt vmcnt(0)
	v_cmpx_ne_u16_e32 0, v43
	s_cbranch_execz .LBB213_32
; %bb.25:                               ;   in Loop: Header=BB213_13 Depth=1
	v_bfrev_b32_e32 v59, 1
	s_mov_b32 s50, exec_lo
	v_cmpx_ne_u16_e32 0x80, v43
	s_cbranch_execz .LBB213_31
; %bb.26:                               ;   in Loop: Header=BB213_13 Depth=1
	v_and_b32_e32 v35, 0xffff, v43
	v_mov_b32_e32 v59, 0x7f800001
	s_mov_b32 s51, exec_lo
	s_delay_alu instid0(VALU_DEP_2) | instskip(NEXT) | instid1(VALU_DEP_1)
	v_and_b32_e32 v61, 0x7f, v35
	v_cmpx_ne_u32_e32 0x7f, v61
	s_cbranch_execz .LBB213_30
; %bb.27:                               ;   in Loop: Header=BB213_13 Depth=1
	v_and_b32_e32 v35, 7, v35
	v_lshrrev_b32_e32 v44, 3, v61
	s_mov_b32 s52, exec_lo
	v_cmpx_gt_u32_e32 8, v61
; %bb.28:                               ;   in Loop: Header=BB213_13 Depth=1
	s_delay_alu instid0(VALU_DEP_3) | instskip(NEXT) | instid1(VALU_DEP_1)
	v_clz_i32_u32_e32 v44, v35
	v_min_u32_e32 v44, 32, v44
	s_delay_alu instid0(VALU_DEP_1) | instskip(SKIP_1) | instid1(VALU_DEP_2)
	v_subrev_nc_u32_e32 v59, 28, v44
	v_sub_nc_u32_e32 v44, 29, v44
	v_lshlrev_b64 v[61:62], v59, v[35:36]
	s_delay_alu instid0(VALU_DEP_1)
	v_and_b32_e32 v35, 7, v61
; %bb.29:                               ;   in Loop: Header=BB213_13 Depth=1
	s_or_b32 exec_lo, exec_lo, s52
	v_lshlrev_b32_e32 v43, 24, v43
	s_delay_alu instid0(VALU_DEP_2) | instskip(SKIP_1) | instid1(VALU_DEP_3)
	v_lshlrev_b32_e32 v35, 20, v35
	v_lshl_add_u32 v44, v44, 23, 0x3c000000
	v_and_b32_e32 v43, 0x80000000, v43
	s_delay_alu instid0(VALU_DEP_1)
	v_or3_b32 v59, v35, v43, v44
.LBB213_30:                             ;   in Loop: Header=BB213_13 Depth=1
	s_or_b32 exec_lo, exec_lo, s51
.LBB213_31:                             ;   in Loop: Header=BB213_13 Depth=1
	s_delay_alu instid0(SALU_CYCLE_1)
	s_or_b32 exec_lo, exec_lo, s50
.LBB213_32:                             ;   in Loop: Header=BB213_13 Depth=1
	s_delay_alu instid0(SALU_CYCLE_1)
	s_or_b32 exec_lo, exec_lo, s49
	global_load_u8 v43, v[41:42], off offset:8
	v_dual_mov_b32 v61, 0 :: v_dual_mov_b32 v62, 0
	s_mov_b32 s49, exec_lo
	s_waitcnt vmcnt(0)
	v_cmpx_ne_u16_e32 0, v43
	s_cbranch_execz .LBB213_40
; %bb.33:                               ;   in Loop: Header=BB213_13 Depth=1
	v_bfrev_b32_e32 v62, 1
	s_mov_b32 s50, exec_lo
	v_cmpx_ne_u16_e32 0x80, v43
	s_cbranch_execz .LBB213_39
; %bb.34:                               ;   in Loop: Header=BB213_13 Depth=1
	v_and_b32_e32 v35, 0xffff, v43
	v_mov_b32_e32 v62, 0x7f800001
	s_mov_b32 s51, exec_lo
	s_delay_alu instid0(VALU_DEP_2) | instskip(NEXT) | instid1(VALU_DEP_1)
	v_and_b32_e32 v63, 0x7f, v35
	v_cmpx_ne_u32_e32 0x7f, v63
	s_cbranch_execz .LBB213_38
; %bb.35:                               ;   in Loop: Header=BB213_13 Depth=1
	v_and_b32_e32 v35, 7, v35
	v_lshrrev_b32_e32 v44, 3, v63
	s_mov_b32 s52, exec_lo
	v_cmpx_gt_u32_e32 8, v63
; %bb.36:                               ;   in Loop: Header=BB213_13 Depth=1
	s_delay_alu instid0(VALU_DEP_3) | instskip(NEXT) | instid1(VALU_DEP_1)
	v_clz_i32_u32_e32 v44, v35
	v_min_u32_e32 v44, 32, v44
	s_delay_alu instid0(VALU_DEP_1) | instskip(SKIP_1) | instid1(VALU_DEP_2)
	v_subrev_nc_u32_e32 v62, 28, v44
	v_sub_nc_u32_e32 v44, 29, v44
	v_lshlrev_b64 v[62:63], v62, v[35:36]
	s_delay_alu instid0(VALU_DEP_1)
	v_and_b32_e32 v35, 7, v62
; %bb.37:                               ;   in Loop: Header=BB213_13 Depth=1
	s_or_b32 exec_lo, exec_lo, s52
	v_lshlrev_b32_e32 v43, 24, v43
	s_delay_alu instid0(VALU_DEP_2) | instskip(SKIP_1) | instid1(VALU_DEP_3)
	v_lshlrev_b32_e32 v35, 20, v35
	v_lshl_add_u32 v44, v44, 23, 0x3c000000
	v_and_b32_e32 v43, 0x80000000, v43
	s_delay_alu instid0(VALU_DEP_1)
	v_or3_b32 v62, v35, v43, v44
.LBB213_38:                             ;   in Loop: Header=BB213_13 Depth=1
	s_or_b32 exec_lo, exec_lo, s51
.LBB213_39:                             ;   in Loop: Header=BB213_13 Depth=1
	s_delay_alu instid0(SALU_CYCLE_1)
	s_or_b32 exec_lo, exec_lo, s50
.LBB213_40:                             ;   in Loop: Header=BB213_13 Depth=1
	s_delay_alu instid0(SALU_CYCLE_1)
	s_or_b32 exec_lo, exec_lo, s49
	global_load_u8 v43, v[41:42], off offset:12
	s_mov_b32 s49, exec_lo
	s_waitcnt vmcnt(0)
	v_cmpx_ne_u16_e32 0, v43
	s_cbranch_execz .LBB213_48
; %bb.41:                               ;   in Loop: Header=BB213_13 Depth=1
	v_bfrev_b32_e32 v61, 1
	s_mov_b32 s50, exec_lo
	v_cmpx_ne_u16_e32 0x80, v43
	s_cbranch_execz .LBB213_47
; %bb.42:                               ;   in Loop: Header=BB213_13 Depth=1
	v_and_b32_e32 v35, 0xffff, v43
	v_mov_b32_e32 v61, 0x7f800001
	s_mov_b32 s51, exec_lo
	s_delay_alu instid0(VALU_DEP_2) | instskip(NEXT) | instid1(VALU_DEP_1)
	v_and_b32_e32 v63, 0x7f, v35
	v_cmpx_ne_u32_e32 0x7f, v63
	s_cbranch_execz .LBB213_46
; %bb.43:                               ;   in Loop: Header=BB213_13 Depth=1
	v_and_b32_e32 v35, 7, v35
	v_lshrrev_b32_e32 v44, 3, v63
	s_mov_b32 s52, exec_lo
	v_cmpx_gt_u32_e32 8, v63
; %bb.44:                               ;   in Loop: Header=BB213_13 Depth=1
	s_delay_alu instid0(VALU_DEP_3) | instskip(NEXT) | instid1(VALU_DEP_1)
	v_clz_i32_u32_e32 v44, v35
	v_min_u32_e32 v44, 32, v44
	s_delay_alu instid0(VALU_DEP_1) | instskip(SKIP_1) | instid1(VALU_DEP_2)
	v_subrev_nc_u32_e32 v61, 28, v44
	v_sub_nc_u32_e32 v44, 29, v44
	v_lshlrev_b64 v[63:64], v61, v[35:36]
	s_delay_alu instid0(VALU_DEP_1)
	v_and_b32_e32 v35, 7, v63
; %bb.45:                               ;   in Loop: Header=BB213_13 Depth=1
	s_or_b32 exec_lo, exec_lo, s52
	v_lshlrev_b32_e32 v43, 24, v43
	s_delay_alu instid0(VALU_DEP_2) | instskip(SKIP_1) | instid1(VALU_DEP_3)
	v_lshlrev_b32_e32 v35, 20, v35
	v_lshl_add_u32 v44, v44, 23, 0x3c000000
	v_and_b32_e32 v43, 0x80000000, v43
	s_delay_alu instid0(VALU_DEP_1)
	v_or3_b32 v61, v35, v43, v44
.LBB213_46:                             ;   in Loop: Header=BB213_13 Depth=1
	s_or_b32 exec_lo, exec_lo, s51
.LBB213_47:                             ;   in Loop: Header=BB213_13 Depth=1
	s_delay_alu instid0(SALU_CYCLE_1)
	s_or_b32 exec_lo, exec_lo, s50
.LBB213_48:                             ;   in Loop: Header=BB213_13 Depth=1
	s_delay_alu instid0(SALU_CYCLE_1)
	s_or_b32 exec_lo, exec_lo, s49
	global_load_u8 v43, v[41:42], off offset:128
	v_dual_mov_b32 v63, 0 :: v_dual_mov_b32 v64, 0
	s_mov_b32 s49, exec_lo
	s_waitcnt vmcnt(0)
	v_cmpx_ne_u16_e32 0, v43
	s_cbranch_execz .LBB213_56
; %bb.49:                               ;   in Loop: Header=BB213_13 Depth=1
	v_bfrev_b32_e32 v64, 1
	s_mov_b32 s50, exec_lo
	v_cmpx_ne_u16_e32 0x80, v43
	s_cbranch_execz .LBB213_55
; %bb.50:                               ;   in Loop: Header=BB213_13 Depth=1
	v_and_b32_e32 v35, 0xffff, v43
	v_mov_b32_e32 v64, 0x7f800001
	s_mov_b32 s51, exec_lo
	s_delay_alu instid0(VALU_DEP_2) | instskip(NEXT) | instid1(VALU_DEP_1)
	v_and_b32_e32 v65, 0x7f, v35
	v_cmpx_ne_u32_e32 0x7f, v65
	s_cbranch_execz .LBB213_54
; %bb.51:                               ;   in Loop: Header=BB213_13 Depth=1
	v_and_b32_e32 v35, 7, v35
	v_lshrrev_b32_e32 v44, 3, v65
	s_mov_b32 s52, exec_lo
	v_cmpx_gt_u32_e32 8, v65
; %bb.52:                               ;   in Loop: Header=BB213_13 Depth=1
	s_delay_alu instid0(VALU_DEP_3) | instskip(NEXT) | instid1(VALU_DEP_1)
	v_clz_i32_u32_e32 v44, v35
	v_min_u32_e32 v44, 32, v44
	s_delay_alu instid0(VALU_DEP_1) | instskip(SKIP_1) | instid1(VALU_DEP_2)
	v_subrev_nc_u32_e32 v64, 28, v44
	v_sub_nc_u32_e32 v44, 29, v44
	v_lshlrev_b64 v[64:65], v64, v[35:36]
	s_delay_alu instid0(VALU_DEP_1)
	v_and_b32_e32 v35, 7, v64
; %bb.53:                               ;   in Loop: Header=BB213_13 Depth=1
	s_or_b32 exec_lo, exec_lo, s52
	v_lshlrev_b32_e32 v43, 24, v43
	s_delay_alu instid0(VALU_DEP_2) | instskip(SKIP_1) | instid1(VALU_DEP_3)
	v_lshlrev_b32_e32 v35, 20, v35
	v_lshl_add_u32 v44, v44, 23, 0x3c000000
	v_and_b32_e32 v43, 0x80000000, v43
	s_delay_alu instid0(VALU_DEP_1)
	v_or3_b32 v64, v35, v43, v44
.LBB213_54:                             ;   in Loop: Header=BB213_13 Depth=1
	s_or_b32 exec_lo, exec_lo, s51
.LBB213_55:                             ;   in Loop: Header=BB213_13 Depth=1
	s_delay_alu instid0(SALU_CYCLE_1)
	s_or_b32 exec_lo, exec_lo, s50
.LBB213_56:                             ;   in Loop: Header=BB213_13 Depth=1
	s_delay_alu instid0(SALU_CYCLE_1)
	s_or_b32 exec_lo, exec_lo, s49
	global_load_u8 v43, v[41:42], off offset:132
	s_mov_b32 s49, exec_lo
	s_waitcnt vmcnt(0)
	v_cmpx_ne_u16_e32 0, v43
	s_cbranch_execz .LBB213_64
; %bb.57:                               ;   in Loop: Header=BB213_13 Depth=1
	v_bfrev_b32_e32 v63, 1
	s_mov_b32 s50, exec_lo
	v_cmpx_ne_u16_e32 0x80, v43
	s_cbranch_execz .LBB213_63
; %bb.58:                               ;   in Loop: Header=BB213_13 Depth=1
	v_and_b32_e32 v35, 0xffff, v43
	v_mov_b32_e32 v63, 0x7f800001
	s_mov_b32 s51, exec_lo
	s_delay_alu instid0(VALU_DEP_2) | instskip(NEXT) | instid1(VALU_DEP_1)
	v_and_b32_e32 v65, 0x7f, v35
	v_cmpx_ne_u32_e32 0x7f, v65
	s_cbranch_execz .LBB213_62
; %bb.59:                               ;   in Loop: Header=BB213_13 Depth=1
	v_and_b32_e32 v35, 7, v35
	v_lshrrev_b32_e32 v44, 3, v65
	s_mov_b32 s52, exec_lo
	v_cmpx_gt_u32_e32 8, v65
; %bb.60:                               ;   in Loop: Header=BB213_13 Depth=1
	s_delay_alu instid0(VALU_DEP_3) | instskip(NEXT) | instid1(VALU_DEP_1)
	v_clz_i32_u32_e32 v44, v35
	v_min_u32_e32 v44, 32, v44
	s_delay_alu instid0(VALU_DEP_1) | instskip(SKIP_1) | instid1(VALU_DEP_2)
	v_subrev_nc_u32_e32 v63, 28, v44
	v_sub_nc_u32_e32 v44, 29, v44
	v_lshlrev_b64 v[65:66], v63, v[35:36]
	s_delay_alu instid0(VALU_DEP_1)
	v_and_b32_e32 v35, 7, v65
; %bb.61:                               ;   in Loop: Header=BB213_13 Depth=1
	s_or_b32 exec_lo, exec_lo, s52
	v_lshlrev_b32_e32 v43, 24, v43
	s_delay_alu instid0(VALU_DEP_2) | instskip(SKIP_1) | instid1(VALU_DEP_3)
	v_lshlrev_b32_e32 v35, 20, v35
	v_lshl_add_u32 v44, v44, 23, 0x3c000000
	v_and_b32_e32 v43, 0x80000000, v43
	s_delay_alu instid0(VALU_DEP_1)
	v_or3_b32 v63, v35, v43, v44
.LBB213_62:                             ;   in Loop: Header=BB213_13 Depth=1
	s_or_b32 exec_lo, exec_lo, s51
.LBB213_63:                             ;   in Loop: Header=BB213_13 Depth=1
	s_delay_alu instid0(SALU_CYCLE_1)
	s_or_b32 exec_lo, exec_lo, s50
.LBB213_64:                             ;   in Loop: Header=BB213_13 Depth=1
	s_delay_alu instid0(SALU_CYCLE_1) | instskip(SKIP_1) | instid1(VALU_DEP_1)
	s_or_b32 exec_lo, exec_lo, s49
	v_add_co_u32 v43, s1, 0x80, v41
	v_add_co_ci_u32_e64 v44, s1, 0, v42, s1
	v_dual_mov_b32 v65, 0 :: v_dual_mov_b32 v66, 0
	s_mov_b32 s49, exec_lo
	global_load_u8 v67, v[43:44], off offset:8
	s_waitcnt vmcnt(0)
	v_cmpx_ne_u16_e32 0, v67
	s_cbranch_execz .LBB213_72
; %bb.65:                               ;   in Loop: Header=BB213_13 Depth=1
	v_bfrev_b32_e32 v66, 1
	s_mov_b32 s50, exec_lo
	v_cmpx_ne_u16_e32 0x80, v67
	s_cbranch_execz .LBB213_71
; %bb.66:                               ;   in Loop: Header=BB213_13 Depth=1
	v_and_b32_e32 v35, 0xffff, v67
	v_mov_b32_e32 v66, 0x7f800001
	s_mov_b32 s51, exec_lo
	s_delay_alu instid0(VALU_DEP_2) | instskip(NEXT) | instid1(VALU_DEP_1)
	v_and_b32_e32 v68, 0x7f, v35
	v_cmpx_ne_u32_e32 0x7f, v68
	s_cbranch_execz .LBB213_70
; %bb.67:                               ;   in Loop: Header=BB213_13 Depth=1
	v_and_b32_e32 v35, 7, v35
	v_lshrrev_b32_e32 v66, 3, v68
	s_mov_b32 s52, exec_lo
	v_cmpx_gt_u32_e32 8, v68
; %bb.68:                               ;   in Loop: Header=BB213_13 Depth=1
	s_delay_alu instid0(VALU_DEP_3) | instskip(NEXT) | instid1(VALU_DEP_1)
	v_clz_i32_u32_e32 v66, v35
	v_min_u32_e32 v66, 32, v66
	s_delay_alu instid0(VALU_DEP_1) | instskip(SKIP_1) | instid1(VALU_DEP_2)
	v_subrev_nc_u32_e32 v68, 28, v66
	v_sub_nc_u32_e32 v66, 29, v66
	v_lshlrev_b64 v[68:69], v68, v[35:36]
	s_delay_alu instid0(VALU_DEP_1)
	v_and_b32_e32 v35, 7, v68
; %bb.69:                               ;   in Loop: Header=BB213_13 Depth=1
	s_or_b32 exec_lo, exec_lo, s52
	v_lshlrev_b32_e32 v67, 24, v67
	s_delay_alu instid0(VALU_DEP_2) | instskip(SKIP_1) | instid1(VALU_DEP_3)
	v_lshlrev_b32_e32 v35, 20, v35
	v_lshl_add_u32 v66, v66, 23, 0x3c000000
	v_and_b32_e32 v67, 0x80000000, v67
	s_delay_alu instid0(VALU_DEP_1)
	v_or3_b32 v66, v35, v67, v66
.LBB213_70:                             ;   in Loop: Header=BB213_13 Depth=1
	s_or_b32 exec_lo, exec_lo, s51
.LBB213_71:                             ;   in Loop: Header=BB213_13 Depth=1
	s_delay_alu instid0(SALU_CYCLE_1)
	s_or_b32 exec_lo, exec_lo, s50
.LBB213_72:                             ;   in Loop: Header=BB213_13 Depth=1
	s_delay_alu instid0(SALU_CYCLE_1)
	s_or_b32 exec_lo, exec_lo, s49
	global_load_u8 v43, v[43:44], off offset:12
	s_mov_b32 s49, exec_lo
	s_waitcnt vmcnt(0)
	v_cmpx_ne_u16_e32 0, v43
	s_cbranch_execz .LBB213_80
; %bb.73:                               ;   in Loop: Header=BB213_13 Depth=1
	v_bfrev_b32_e32 v65, 1
	s_mov_b32 s50, exec_lo
	v_cmpx_ne_u16_e32 0x80, v43
	s_cbranch_execz .LBB213_79
; %bb.74:                               ;   in Loop: Header=BB213_13 Depth=1
	v_and_b32_e32 v35, 0xffff, v43
	v_mov_b32_e32 v65, 0x7f800001
	s_mov_b32 s51, exec_lo
	s_delay_alu instid0(VALU_DEP_2) | instskip(NEXT) | instid1(VALU_DEP_1)
	v_and_b32_e32 v67, 0x7f, v35
	v_cmpx_ne_u32_e32 0x7f, v67
	s_cbranch_execz .LBB213_78
; %bb.75:                               ;   in Loop: Header=BB213_13 Depth=1
	v_and_b32_e32 v35, 7, v35
	v_lshrrev_b32_e32 v44, 3, v67
	s_mov_b32 s52, exec_lo
	v_cmpx_gt_u32_e32 8, v67
; %bb.76:                               ;   in Loop: Header=BB213_13 Depth=1
	s_delay_alu instid0(VALU_DEP_3) | instskip(NEXT) | instid1(VALU_DEP_1)
	v_clz_i32_u32_e32 v44, v35
	v_min_u32_e32 v44, 32, v44
	s_delay_alu instid0(VALU_DEP_1) | instskip(SKIP_1) | instid1(VALU_DEP_2)
	v_subrev_nc_u32_e32 v65, 28, v44
	v_sub_nc_u32_e32 v44, 29, v44
	v_lshlrev_b64 v[67:68], v65, v[35:36]
	s_delay_alu instid0(VALU_DEP_1)
	v_and_b32_e32 v35, 7, v67
; %bb.77:                               ;   in Loop: Header=BB213_13 Depth=1
	s_or_b32 exec_lo, exec_lo, s52
	v_lshlrev_b32_e32 v43, 24, v43
	s_delay_alu instid0(VALU_DEP_2) | instskip(SKIP_1) | instid1(VALU_DEP_3)
	v_lshlrev_b32_e32 v35, 20, v35
	v_lshl_add_u32 v44, v44, 23, 0x3c000000
	v_and_b32_e32 v43, 0x80000000, v43
	s_delay_alu instid0(VALU_DEP_1)
	v_or3_b32 v65, v35, v43, v44
.LBB213_78:                             ;   in Loop: Header=BB213_13 Depth=1
	s_or_b32 exec_lo, exec_lo, s51
.LBB213_79:                             ;   in Loop: Header=BB213_13 Depth=1
	s_delay_alu instid0(SALU_CYCLE_1)
	s_or_b32 exec_lo, exec_lo, s50
.LBB213_80:                             ;   in Loop: Header=BB213_13 Depth=1
	s_delay_alu instid0(SALU_CYCLE_1)
	s_or_b32 exec_lo, exec_lo, s49
	global_load_u8 v43, v[41:42], off offset:256
	v_dual_mov_b32 v67, 0 :: v_dual_mov_b32 v68, 0
	s_mov_b32 s49, exec_lo
	s_waitcnt vmcnt(0)
	v_cmpx_ne_u16_e32 0, v43
	s_cbranch_execz .LBB213_88
; %bb.81:                               ;   in Loop: Header=BB213_13 Depth=1
	v_bfrev_b32_e32 v68, 1
	s_mov_b32 s50, exec_lo
	v_cmpx_ne_u16_e32 0x80, v43
	s_cbranch_execz .LBB213_87
; %bb.82:                               ;   in Loop: Header=BB213_13 Depth=1
	v_and_b32_e32 v35, 0xffff, v43
	v_mov_b32_e32 v68, 0x7f800001
	s_mov_b32 s51, exec_lo
	s_delay_alu instid0(VALU_DEP_2) | instskip(NEXT) | instid1(VALU_DEP_1)
	v_and_b32_e32 v69, 0x7f, v35
	v_cmpx_ne_u32_e32 0x7f, v69
	s_cbranch_execz .LBB213_86
; %bb.83:                               ;   in Loop: Header=BB213_13 Depth=1
	v_and_b32_e32 v35, 7, v35
	v_lshrrev_b32_e32 v44, 3, v69
	s_mov_b32 s52, exec_lo
	v_cmpx_gt_u32_e32 8, v69
; %bb.84:                               ;   in Loop: Header=BB213_13 Depth=1
	s_delay_alu instid0(VALU_DEP_3) | instskip(NEXT) | instid1(VALU_DEP_1)
	v_clz_i32_u32_e32 v44, v35
	v_min_u32_e32 v44, 32, v44
	s_delay_alu instid0(VALU_DEP_1) | instskip(SKIP_1) | instid1(VALU_DEP_2)
	v_subrev_nc_u32_e32 v68, 28, v44
	v_sub_nc_u32_e32 v44, 29, v44
	v_lshlrev_b64 v[68:69], v68, v[35:36]
	s_delay_alu instid0(VALU_DEP_1)
	v_and_b32_e32 v35, 7, v68
; %bb.85:                               ;   in Loop: Header=BB213_13 Depth=1
	s_or_b32 exec_lo, exec_lo, s52
	v_lshlrev_b32_e32 v43, 24, v43
	s_delay_alu instid0(VALU_DEP_2) | instskip(SKIP_1) | instid1(VALU_DEP_3)
	v_lshlrev_b32_e32 v35, 20, v35
	v_lshl_add_u32 v44, v44, 23, 0x3c000000
	v_and_b32_e32 v43, 0x80000000, v43
	s_delay_alu instid0(VALU_DEP_1)
	v_or3_b32 v68, v35, v43, v44
.LBB213_86:                             ;   in Loop: Header=BB213_13 Depth=1
	s_or_b32 exec_lo, exec_lo, s51
.LBB213_87:                             ;   in Loop: Header=BB213_13 Depth=1
	s_delay_alu instid0(SALU_CYCLE_1)
	s_or_b32 exec_lo, exec_lo, s50
.LBB213_88:                             ;   in Loop: Header=BB213_13 Depth=1
	s_delay_alu instid0(SALU_CYCLE_1)
	s_or_b32 exec_lo, exec_lo, s49
	global_load_u8 v43, v[41:42], off offset:260
	s_mov_b32 s49, exec_lo
	s_waitcnt vmcnt(0)
	v_cmpx_ne_u16_e32 0, v43
	s_cbranch_execz .LBB213_96
; %bb.89:                               ;   in Loop: Header=BB213_13 Depth=1
	v_bfrev_b32_e32 v67, 1
	s_mov_b32 s50, exec_lo
	v_cmpx_ne_u16_e32 0x80, v43
	s_cbranch_execz .LBB213_95
; %bb.90:                               ;   in Loop: Header=BB213_13 Depth=1
	v_and_b32_e32 v35, 0xffff, v43
	v_mov_b32_e32 v67, 0x7f800001
	s_mov_b32 s51, exec_lo
	s_delay_alu instid0(VALU_DEP_2) | instskip(NEXT) | instid1(VALU_DEP_1)
	v_and_b32_e32 v69, 0x7f, v35
	v_cmpx_ne_u32_e32 0x7f, v69
	s_cbranch_execz .LBB213_94
; %bb.91:                               ;   in Loop: Header=BB213_13 Depth=1
	v_and_b32_e32 v35, 7, v35
	v_lshrrev_b32_e32 v44, 3, v69
	s_mov_b32 s52, exec_lo
	v_cmpx_gt_u32_e32 8, v69
; %bb.92:                               ;   in Loop: Header=BB213_13 Depth=1
	s_delay_alu instid0(VALU_DEP_3) | instskip(NEXT) | instid1(VALU_DEP_1)
	v_clz_i32_u32_e32 v44, v35
	v_min_u32_e32 v44, 32, v44
	s_delay_alu instid0(VALU_DEP_1) | instskip(SKIP_1) | instid1(VALU_DEP_2)
	v_subrev_nc_u32_e32 v67, 28, v44
	v_sub_nc_u32_e32 v44, 29, v44
	v_lshlrev_b64 v[69:70], v67, v[35:36]
	s_delay_alu instid0(VALU_DEP_1)
	v_and_b32_e32 v35, 7, v69
; %bb.93:                               ;   in Loop: Header=BB213_13 Depth=1
	s_or_b32 exec_lo, exec_lo, s52
	v_lshlrev_b32_e32 v43, 24, v43
	s_delay_alu instid0(VALU_DEP_2) | instskip(SKIP_1) | instid1(VALU_DEP_3)
	v_lshlrev_b32_e32 v35, 20, v35
	v_lshl_add_u32 v44, v44, 23, 0x3c000000
	v_and_b32_e32 v43, 0x80000000, v43
	s_delay_alu instid0(VALU_DEP_1)
	v_or3_b32 v67, v35, v43, v44
.LBB213_94:                             ;   in Loop: Header=BB213_13 Depth=1
	s_or_b32 exec_lo, exec_lo, s51
.LBB213_95:                             ;   in Loop: Header=BB213_13 Depth=1
	s_delay_alu instid0(SALU_CYCLE_1)
	s_or_b32 exec_lo, exec_lo, s50
.LBB213_96:                             ;   in Loop: Header=BB213_13 Depth=1
	s_delay_alu instid0(SALU_CYCLE_1) | instskip(SKIP_1) | instid1(VALU_DEP_1)
	s_or_b32 exec_lo, exec_lo, s49
	v_add_co_u32 v43, s1, 0x100, v41
	v_add_co_ci_u32_e64 v44, s1, 0, v42, s1
	v_dual_mov_b32 v69, 0 :: v_dual_mov_b32 v70, 0
	s_mov_b32 s49, exec_lo
	global_load_u8 v71, v[43:44], off offset:8
	s_waitcnt vmcnt(0)
	v_cmpx_ne_u16_e32 0, v71
	s_cbranch_execz .LBB213_104
; %bb.97:                               ;   in Loop: Header=BB213_13 Depth=1
	v_bfrev_b32_e32 v70, 1
	s_mov_b32 s50, exec_lo
	v_cmpx_ne_u16_e32 0x80, v71
	s_cbranch_execz .LBB213_103
; %bb.98:                               ;   in Loop: Header=BB213_13 Depth=1
	v_and_b32_e32 v35, 0xffff, v71
	v_mov_b32_e32 v70, 0x7f800001
	s_mov_b32 s51, exec_lo
	s_delay_alu instid0(VALU_DEP_2) | instskip(NEXT) | instid1(VALU_DEP_1)
	v_and_b32_e32 v72, 0x7f, v35
	v_cmpx_ne_u32_e32 0x7f, v72
	s_cbranch_execz .LBB213_102
; %bb.99:                               ;   in Loop: Header=BB213_13 Depth=1
	v_and_b32_e32 v35, 7, v35
	v_lshrrev_b32_e32 v70, 3, v72
	s_mov_b32 s52, exec_lo
	v_cmpx_gt_u32_e32 8, v72
; %bb.100:                              ;   in Loop: Header=BB213_13 Depth=1
	s_delay_alu instid0(VALU_DEP_3) | instskip(NEXT) | instid1(VALU_DEP_1)
	v_clz_i32_u32_e32 v70, v35
	v_min_u32_e32 v70, 32, v70
	s_delay_alu instid0(VALU_DEP_1) | instskip(SKIP_1) | instid1(VALU_DEP_2)
	v_subrev_nc_u32_e32 v72, 28, v70
	v_sub_nc_u32_e32 v70, 29, v70
	v_lshlrev_b64 v[72:73], v72, v[35:36]
	s_delay_alu instid0(VALU_DEP_1)
	v_and_b32_e32 v35, 7, v72
; %bb.101:                              ;   in Loop: Header=BB213_13 Depth=1
	s_or_b32 exec_lo, exec_lo, s52
	v_lshlrev_b32_e32 v71, 24, v71
	s_delay_alu instid0(VALU_DEP_2) | instskip(SKIP_1) | instid1(VALU_DEP_3)
	v_lshlrev_b32_e32 v35, 20, v35
	v_lshl_add_u32 v70, v70, 23, 0x3c000000
	v_and_b32_e32 v71, 0x80000000, v71
	s_delay_alu instid0(VALU_DEP_1)
	v_or3_b32 v70, v35, v71, v70
.LBB213_102:                            ;   in Loop: Header=BB213_13 Depth=1
	s_or_b32 exec_lo, exec_lo, s51
.LBB213_103:                            ;   in Loop: Header=BB213_13 Depth=1
	s_delay_alu instid0(SALU_CYCLE_1)
	s_or_b32 exec_lo, exec_lo, s50
.LBB213_104:                            ;   in Loop: Header=BB213_13 Depth=1
	s_delay_alu instid0(SALU_CYCLE_1)
	s_or_b32 exec_lo, exec_lo, s49
	global_load_u8 v43, v[43:44], off offset:12
	s_mov_b32 s49, exec_lo
	s_waitcnt vmcnt(0)
	v_cmpx_ne_u16_e32 0, v43
	s_cbranch_execz .LBB213_112
; %bb.105:                              ;   in Loop: Header=BB213_13 Depth=1
	v_bfrev_b32_e32 v69, 1
	s_mov_b32 s50, exec_lo
	v_cmpx_ne_u16_e32 0x80, v43
	s_cbranch_execz .LBB213_111
; %bb.106:                              ;   in Loop: Header=BB213_13 Depth=1
	v_and_b32_e32 v35, 0xffff, v43
	v_mov_b32_e32 v69, 0x7f800001
	s_mov_b32 s51, exec_lo
	s_delay_alu instid0(VALU_DEP_2) | instskip(NEXT) | instid1(VALU_DEP_1)
	v_and_b32_e32 v71, 0x7f, v35
	v_cmpx_ne_u32_e32 0x7f, v71
	s_cbranch_execz .LBB213_110
; %bb.107:                              ;   in Loop: Header=BB213_13 Depth=1
	v_and_b32_e32 v35, 7, v35
	v_lshrrev_b32_e32 v44, 3, v71
	s_mov_b32 s52, exec_lo
	v_cmpx_gt_u32_e32 8, v71
; %bb.108:                              ;   in Loop: Header=BB213_13 Depth=1
	s_delay_alu instid0(VALU_DEP_3) | instskip(NEXT) | instid1(VALU_DEP_1)
	v_clz_i32_u32_e32 v44, v35
	v_min_u32_e32 v44, 32, v44
	s_delay_alu instid0(VALU_DEP_1) | instskip(SKIP_1) | instid1(VALU_DEP_2)
	v_subrev_nc_u32_e32 v69, 28, v44
	v_sub_nc_u32_e32 v44, 29, v44
	v_lshlrev_b64 v[71:72], v69, v[35:36]
	s_delay_alu instid0(VALU_DEP_1)
	v_and_b32_e32 v35, 7, v71
; %bb.109:                              ;   in Loop: Header=BB213_13 Depth=1
	s_or_b32 exec_lo, exec_lo, s52
	v_lshlrev_b32_e32 v43, 24, v43
	s_delay_alu instid0(VALU_DEP_2) | instskip(SKIP_1) | instid1(VALU_DEP_3)
	v_lshlrev_b32_e32 v35, 20, v35
	v_lshl_add_u32 v44, v44, 23, 0x3c000000
	v_and_b32_e32 v43, 0x80000000, v43
	s_delay_alu instid0(VALU_DEP_1)
	v_or3_b32 v69, v35, v43, v44
.LBB213_110:                            ;   in Loop: Header=BB213_13 Depth=1
	s_or_b32 exec_lo, exec_lo, s51
.LBB213_111:                            ;   in Loop: Header=BB213_13 Depth=1
	s_delay_alu instid0(SALU_CYCLE_1)
	s_or_b32 exec_lo, exec_lo, s50
.LBB213_112:                            ;   in Loop: Header=BB213_13 Depth=1
	s_delay_alu instid0(SALU_CYCLE_1)
	s_or_b32 exec_lo, exec_lo, s49
	global_load_u8 v43, v[41:42], off offset:384
	v_dual_mov_b32 v71, 0 :: v_dual_mov_b32 v72, 0
	s_mov_b32 s49, exec_lo
	s_waitcnt vmcnt(0)
	v_cmpx_ne_u16_e32 0, v43
	s_cbranch_execz .LBB213_120
; %bb.113:                              ;   in Loop: Header=BB213_13 Depth=1
	v_bfrev_b32_e32 v72, 1
	s_mov_b32 s50, exec_lo
	v_cmpx_ne_u16_e32 0x80, v43
	s_cbranch_execz .LBB213_119
; %bb.114:                              ;   in Loop: Header=BB213_13 Depth=1
	v_and_b32_e32 v35, 0xffff, v43
	v_mov_b32_e32 v72, 0x7f800001
	s_mov_b32 s51, exec_lo
	s_delay_alu instid0(VALU_DEP_2) | instskip(NEXT) | instid1(VALU_DEP_1)
	v_and_b32_e32 v73, 0x7f, v35
	v_cmpx_ne_u32_e32 0x7f, v73
	s_cbranch_execz .LBB213_118
; %bb.115:                              ;   in Loop: Header=BB213_13 Depth=1
	v_and_b32_e32 v35, 7, v35
	v_lshrrev_b32_e32 v44, 3, v73
	s_mov_b32 s52, exec_lo
	v_cmpx_gt_u32_e32 8, v73
; %bb.116:                              ;   in Loop: Header=BB213_13 Depth=1
	s_delay_alu instid0(VALU_DEP_3) | instskip(NEXT) | instid1(VALU_DEP_1)
	v_clz_i32_u32_e32 v44, v35
	v_min_u32_e32 v44, 32, v44
	s_delay_alu instid0(VALU_DEP_1) | instskip(SKIP_1) | instid1(VALU_DEP_2)
	v_subrev_nc_u32_e32 v72, 28, v44
	v_sub_nc_u32_e32 v44, 29, v44
	v_lshlrev_b64 v[72:73], v72, v[35:36]
	s_delay_alu instid0(VALU_DEP_1)
	v_and_b32_e32 v35, 7, v72
; %bb.117:                              ;   in Loop: Header=BB213_13 Depth=1
	s_or_b32 exec_lo, exec_lo, s52
	v_lshlrev_b32_e32 v43, 24, v43
	s_delay_alu instid0(VALU_DEP_2) | instskip(SKIP_1) | instid1(VALU_DEP_3)
	v_lshlrev_b32_e32 v35, 20, v35
	v_lshl_add_u32 v44, v44, 23, 0x3c000000
	v_and_b32_e32 v43, 0x80000000, v43
	s_delay_alu instid0(VALU_DEP_1)
	v_or3_b32 v72, v35, v43, v44
.LBB213_118:                            ;   in Loop: Header=BB213_13 Depth=1
	s_or_b32 exec_lo, exec_lo, s51
.LBB213_119:                            ;   in Loop: Header=BB213_13 Depth=1
	s_delay_alu instid0(SALU_CYCLE_1)
	s_or_b32 exec_lo, exec_lo, s50
.LBB213_120:                            ;   in Loop: Header=BB213_13 Depth=1
	s_delay_alu instid0(SALU_CYCLE_1)
	s_or_b32 exec_lo, exec_lo, s49
	global_load_u8 v43, v[41:42], off offset:388
	s_mov_b32 s49, exec_lo
	s_waitcnt vmcnt(0)
	v_cmpx_ne_u16_e32 0, v43
	s_cbranch_execz .LBB213_128
; %bb.121:                              ;   in Loop: Header=BB213_13 Depth=1
	v_bfrev_b32_e32 v71, 1
	s_mov_b32 s50, exec_lo
	v_cmpx_ne_u16_e32 0x80, v43
	s_cbranch_execz .LBB213_127
; %bb.122:                              ;   in Loop: Header=BB213_13 Depth=1
	v_and_b32_e32 v35, 0xffff, v43
	v_mov_b32_e32 v71, 0x7f800001
	s_mov_b32 s51, exec_lo
	s_delay_alu instid0(VALU_DEP_2) | instskip(NEXT) | instid1(VALU_DEP_1)
	v_and_b32_e32 v73, 0x7f, v35
	v_cmpx_ne_u32_e32 0x7f, v73
	s_cbranch_execz .LBB213_126
; %bb.123:                              ;   in Loop: Header=BB213_13 Depth=1
	v_and_b32_e32 v35, 7, v35
	v_lshrrev_b32_e32 v44, 3, v73
	s_mov_b32 s52, exec_lo
	v_cmpx_gt_u32_e32 8, v73
; %bb.124:                              ;   in Loop: Header=BB213_13 Depth=1
	s_delay_alu instid0(VALU_DEP_3) | instskip(NEXT) | instid1(VALU_DEP_1)
	v_clz_i32_u32_e32 v44, v35
	v_min_u32_e32 v44, 32, v44
	s_delay_alu instid0(VALU_DEP_1) | instskip(SKIP_1) | instid1(VALU_DEP_2)
	v_subrev_nc_u32_e32 v71, 28, v44
	v_sub_nc_u32_e32 v44, 29, v44
	v_lshlrev_b64 v[73:74], v71, v[35:36]
	s_delay_alu instid0(VALU_DEP_1)
	v_and_b32_e32 v35, 7, v73
; %bb.125:                              ;   in Loop: Header=BB213_13 Depth=1
	s_or_b32 exec_lo, exec_lo, s52
	v_lshlrev_b32_e32 v43, 24, v43
	s_delay_alu instid0(VALU_DEP_2) | instskip(SKIP_1) | instid1(VALU_DEP_3)
	v_lshlrev_b32_e32 v35, 20, v35
	v_lshl_add_u32 v44, v44, 23, 0x3c000000
	v_and_b32_e32 v43, 0x80000000, v43
	s_delay_alu instid0(VALU_DEP_1)
	v_or3_b32 v71, v35, v43, v44
.LBB213_126:                            ;   in Loop: Header=BB213_13 Depth=1
	s_or_b32 exec_lo, exec_lo, s51
.LBB213_127:                            ;   in Loop: Header=BB213_13 Depth=1
	s_delay_alu instid0(SALU_CYCLE_1)
	s_or_b32 exec_lo, exec_lo, s50
.LBB213_128:                            ;   in Loop: Header=BB213_13 Depth=1
	s_delay_alu instid0(SALU_CYCLE_1) | instskip(SKIP_1) | instid1(VALU_DEP_1)
	s_or_b32 exec_lo, exec_lo, s49
	v_add_co_u32 v43, s1, 0x180, v41
	v_add_co_ci_u32_e64 v44, s1, 0, v42, s1
	v_dual_mov_b32 v73, 0 :: v_dual_mov_b32 v74, 0
	s_mov_b32 s49, exec_lo
	global_load_u8 v75, v[43:44], off offset:8
	s_waitcnt vmcnt(0)
	v_cmpx_ne_u16_e32 0, v75
	s_cbranch_execz .LBB213_136
; %bb.129:                              ;   in Loop: Header=BB213_13 Depth=1
	v_bfrev_b32_e32 v74, 1
	s_mov_b32 s50, exec_lo
	v_cmpx_ne_u16_e32 0x80, v75
	s_cbranch_execz .LBB213_135
; %bb.130:                              ;   in Loop: Header=BB213_13 Depth=1
	v_and_b32_e32 v35, 0xffff, v75
	v_mov_b32_e32 v74, 0x7f800001
	s_mov_b32 s51, exec_lo
	s_delay_alu instid0(VALU_DEP_2) | instskip(NEXT) | instid1(VALU_DEP_1)
	v_and_b32_e32 v76, 0x7f, v35
	v_cmpx_ne_u32_e32 0x7f, v76
	s_cbranch_execz .LBB213_134
; %bb.131:                              ;   in Loop: Header=BB213_13 Depth=1
	v_and_b32_e32 v35, 7, v35
	v_lshrrev_b32_e32 v74, 3, v76
	s_mov_b32 s52, exec_lo
	v_cmpx_gt_u32_e32 8, v76
; %bb.132:                              ;   in Loop: Header=BB213_13 Depth=1
	s_delay_alu instid0(VALU_DEP_3) | instskip(NEXT) | instid1(VALU_DEP_1)
	v_clz_i32_u32_e32 v74, v35
	v_min_u32_e32 v74, 32, v74
	s_delay_alu instid0(VALU_DEP_1) | instskip(SKIP_1) | instid1(VALU_DEP_2)
	v_subrev_nc_u32_e32 v76, 28, v74
	v_sub_nc_u32_e32 v74, 29, v74
	v_lshlrev_b64 v[76:77], v76, v[35:36]
	s_delay_alu instid0(VALU_DEP_1)
	v_and_b32_e32 v35, 7, v76
; %bb.133:                              ;   in Loop: Header=BB213_13 Depth=1
	s_or_b32 exec_lo, exec_lo, s52
	v_lshlrev_b32_e32 v75, 24, v75
	s_delay_alu instid0(VALU_DEP_2) | instskip(SKIP_1) | instid1(VALU_DEP_3)
	v_lshlrev_b32_e32 v35, 20, v35
	v_lshl_add_u32 v74, v74, 23, 0x3c000000
	v_and_b32_e32 v75, 0x80000000, v75
	s_delay_alu instid0(VALU_DEP_1)
	v_or3_b32 v74, v35, v75, v74
.LBB213_134:                            ;   in Loop: Header=BB213_13 Depth=1
	s_or_b32 exec_lo, exec_lo, s51
.LBB213_135:                            ;   in Loop: Header=BB213_13 Depth=1
	s_delay_alu instid0(SALU_CYCLE_1)
	s_or_b32 exec_lo, exec_lo, s50
.LBB213_136:                            ;   in Loop: Header=BB213_13 Depth=1
	s_delay_alu instid0(SALU_CYCLE_1)
	s_or_b32 exec_lo, exec_lo, s49
	global_load_u8 v43, v[43:44], off offset:12
	s_mov_b32 s49, exec_lo
	s_waitcnt vmcnt(0)
	v_cmpx_ne_u16_e32 0, v43
	s_cbranch_execz .LBB213_144
; %bb.137:                              ;   in Loop: Header=BB213_13 Depth=1
	v_bfrev_b32_e32 v73, 1
	s_mov_b32 s50, exec_lo
	v_cmpx_ne_u16_e32 0x80, v43
	s_cbranch_execz .LBB213_143
; %bb.138:                              ;   in Loop: Header=BB213_13 Depth=1
	v_and_b32_e32 v35, 0xffff, v43
	v_mov_b32_e32 v73, 0x7f800001
	s_mov_b32 s51, exec_lo
	s_delay_alu instid0(VALU_DEP_2) | instskip(NEXT) | instid1(VALU_DEP_1)
	v_and_b32_e32 v75, 0x7f, v35
	v_cmpx_ne_u32_e32 0x7f, v75
	s_cbranch_execz .LBB213_142
; %bb.139:                              ;   in Loop: Header=BB213_13 Depth=1
	v_and_b32_e32 v35, 7, v35
	v_lshrrev_b32_e32 v44, 3, v75
	s_mov_b32 s52, exec_lo
	v_cmpx_gt_u32_e32 8, v75
; %bb.140:                              ;   in Loop: Header=BB213_13 Depth=1
	s_delay_alu instid0(VALU_DEP_3) | instskip(NEXT) | instid1(VALU_DEP_1)
	v_clz_i32_u32_e32 v44, v35
	v_min_u32_e32 v44, 32, v44
	s_delay_alu instid0(VALU_DEP_1) | instskip(SKIP_1) | instid1(VALU_DEP_2)
	v_subrev_nc_u32_e32 v73, 28, v44
	v_sub_nc_u32_e32 v44, 29, v44
	v_lshlrev_b64 v[75:76], v73, v[35:36]
	s_delay_alu instid0(VALU_DEP_1)
	v_and_b32_e32 v35, 7, v75
; %bb.141:                              ;   in Loop: Header=BB213_13 Depth=1
	s_or_b32 exec_lo, exec_lo, s52
	v_lshlrev_b32_e32 v43, 24, v43
	s_delay_alu instid0(VALU_DEP_2) | instskip(SKIP_1) | instid1(VALU_DEP_3)
	v_lshlrev_b32_e32 v35, 20, v35
	v_lshl_add_u32 v44, v44, 23, 0x3c000000
	v_and_b32_e32 v43, 0x80000000, v43
	s_delay_alu instid0(VALU_DEP_1)
	v_or3_b32 v73, v35, v43, v44
.LBB213_142:                            ;   in Loop: Header=BB213_13 Depth=1
	s_or_b32 exec_lo, exec_lo, s51
.LBB213_143:                            ;   in Loop: Header=BB213_13 Depth=1
	s_delay_alu instid0(SALU_CYCLE_1)
	s_or_b32 exec_lo, exec_lo, s50
.LBB213_144:                            ;   in Loop: Header=BB213_13 Depth=1
	s_delay_alu instid0(SALU_CYCLE_1)
	s_or_b32 exec_lo, exec_lo, s49
	global_load_u8 v43, v[41:42], off offset:512
	v_dual_mov_b32 v75, 0 :: v_dual_mov_b32 v76, 0
	s_mov_b32 s49, exec_lo
	s_waitcnt vmcnt(0)
	v_cmpx_ne_u16_e32 0, v43
	s_cbranch_execz .LBB213_152
; %bb.145:                              ;   in Loop: Header=BB213_13 Depth=1
	v_bfrev_b32_e32 v76, 1
	s_mov_b32 s50, exec_lo
	v_cmpx_ne_u16_e32 0x80, v43
	s_cbranch_execz .LBB213_151
; %bb.146:                              ;   in Loop: Header=BB213_13 Depth=1
	v_and_b32_e32 v35, 0xffff, v43
	v_mov_b32_e32 v76, 0x7f800001
	s_mov_b32 s51, exec_lo
	s_delay_alu instid0(VALU_DEP_2) | instskip(NEXT) | instid1(VALU_DEP_1)
	v_and_b32_e32 v77, 0x7f, v35
	v_cmpx_ne_u32_e32 0x7f, v77
	s_cbranch_execz .LBB213_150
; %bb.147:                              ;   in Loop: Header=BB213_13 Depth=1
	v_and_b32_e32 v35, 7, v35
	v_lshrrev_b32_e32 v44, 3, v77
	s_mov_b32 s52, exec_lo
	v_cmpx_gt_u32_e32 8, v77
; %bb.148:                              ;   in Loop: Header=BB213_13 Depth=1
	s_delay_alu instid0(VALU_DEP_3) | instskip(NEXT) | instid1(VALU_DEP_1)
	v_clz_i32_u32_e32 v44, v35
	v_min_u32_e32 v44, 32, v44
	s_delay_alu instid0(VALU_DEP_1) | instskip(SKIP_1) | instid1(VALU_DEP_2)
	v_subrev_nc_u32_e32 v76, 28, v44
	v_sub_nc_u32_e32 v44, 29, v44
	v_lshlrev_b64 v[76:77], v76, v[35:36]
	s_delay_alu instid0(VALU_DEP_1)
	v_and_b32_e32 v35, 7, v76
; %bb.149:                              ;   in Loop: Header=BB213_13 Depth=1
	s_or_b32 exec_lo, exec_lo, s52
	v_lshlrev_b32_e32 v43, 24, v43
	s_delay_alu instid0(VALU_DEP_2) | instskip(SKIP_1) | instid1(VALU_DEP_3)
	v_lshlrev_b32_e32 v35, 20, v35
	v_lshl_add_u32 v44, v44, 23, 0x3c000000
	v_and_b32_e32 v43, 0x80000000, v43
	s_delay_alu instid0(VALU_DEP_1)
	v_or3_b32 v76, v35, v43, v44
.LBB213_150:                            ;   in Loop: Header=BB213_13 Depth=1
	s_or_b32 exec_lo, exec_lo, s51
.LBB213_151:                            ;   in Loop: Header=BB213_13 Depth=1
	s_delay_alu instid0(SALU_CYCLE_1)
	s_or_b32 exec_lo, exec_lo, s50
.LBB213_152:                            ;   in Loop: Header=BB213_13 Depth=1
	s_delay_alu instid0(SALU_CYCLE_1)
	s_or_b32 exec_lo, exec_lo, s49
	global_load_u8 v43, v[41:42], off offset:516
	s_mov_b32 s49, exec_lo
	s_waitcnt vmcnt(0)
	v_cmpx_ne_u16_e32 0, v43
	s_cbranch_execz .LBB213_160
; %bb.153:                              ;   in Loop: Header=BB213_13 Depth=1
	v_bfrev_b32_e32 v75, 1
	s_mov_b32 s50, exec_lo
	v_cmpx_ne_u16_e32 0x80, v43
	s_cbranch_execz .LBB213_159
; %bb.154:                              ;   in Loop: Header=BB213_13 Depth=1
	v_and_b32_e32 v35, 0xffff, v43
	v_mov_b32_e32 v75, 0x7f800001
	s_mov_b32 s51, exec_lo
	s_delay_alu instid0(VALU_DEP_2) | instskip(NEXT) | instid1(VALU_DEP_1)
	v_and_b32_e32 v77, 0x7f, v35
	v_cmpx_ne_u32_e32 0x7f, v77
	s_cbranch_execz .LBB213_158
; %bb.155:                              ;   in Loop: Header=BB213_13 Depth=1
	v_and_b32_e32 v35, 7, v35
	v_lshrrev_b32_e32 v44, 3, v77
	s_mov_b32 s52, exec_lo
	v_cmpx_gt_u32_e32 8, v77
; %bb.156:                              ;   in Loop: Header=BB213_13 Depth=1
	s_delay_alu instid0(VALU_DEP_3) | instskip(NEXT) | instid1(VALU_DEP_1)
	v_clz_i32_u32_e32 v44, v35
	v_min_u32_e32 v44, 32, v44
	s_delay_alu instid0(VALU_DEP_1) | instskip(SKIP_1) | instid1(VALU_DEP_2)
	v_subrev_nc_u32_e32 v75, 28, v44
	v_sub_nc_u32_e32 v44, 29, v44
	v_lshlrev_b64 v[77:78], v75, v[35:36]
	s_delay_alu instid0(VALU_DEP_1)
	v_and_b32_e32 v35, 7, v77
; %bb.157:                              ;   in Loop: Header=BB213_13 Depth=1
	s_or_b32 exec_lo, exec_lo, s52
	v_lshlrev_b32_e32 v43, 24, v43
	s_delay_alu instid0(VALU_DEP_2) | instskip(SKIP_1) | instid1(VALU_DEP_3)
	v_lshlrev_b32_e32 v35, 20, v35
	v_lshl_add_u32 v44, v44, 23, 0x3c000000
	v_and_b32_e32 v43, 0x80000000, v43
	s_delay_alu instid0(VALU_DEP_1)
	v_or3_b32 v75, v35, v43, v44
.LBB213_158:                            ;   in Loop: Header=BB213_13 Depth=1
	s_or_b32 exec_lo, exec_lo, s51
.LBB213_159:                            ;   in Loop: Header=BB213_13 Depth=1
	s_delay_alu instid0(SALU_CYCLE_1)
	s_or_b32 exec_lo, exec_lo, s50
.LBB213_160:                            ;   in Loop: Header=BB213_13 Depth=1
	s_delay_alu instid0(SALU_CYCLE_1) | instskip(SKIP_1) | instid1(VALU_DEP_1)
	s_or_b32 exec_lo, exec_lo, s49
	v_add_co_u32 v43, s1, 0x200, v41
	v_add_co_ci_u32_e64 v44, s1, 0, v42, s1
	v_dual_mov_b32 v77, 0 :: v_dual_mov_b32 v78, 0
	s_mov_b32 s49, exec_lo
	global_load_u8 v79, v[43:44], off offset:8
	s_waitcnt vmcnt(0)
	v_cmpx_ne_u16_e32 0, v79
	s_cbranch_execz .LBB213_168
; %bb.161:                              ;   in Loop: Header=BB213_13 Depth=1
	v_bfrev_b32_e32 v78, 1
	s_mov_b32 s50, exec_lo
	v_cmpx_ne_u16_e32 0x80, v79
	s_cbranch_execz .LBB213_167
; %bb.162:                              ;   in Loop: Header=BB213_13 Depth=1
	v_and_b32_e32 v35, 0xffff, v79
	v_mov_b32_e32 v78, 0x7f800001
	s_mov_b32 s51, exec_lo
	s_delay_alu instid0(VALU_DEP_2) | instskip(NEXT) | instid1(VALU_DEP_1)
	v_and_b32_e32 v80, 0x7f, v35
	v_cmpx_ne_u32_e32 0x7f, v80
	s_cbranch_execz .LBB213_166
; %bb.163:                              ;   in Loop: Header=BB213_13 Depth=1
	v_and_b32_e32 v35, 7, v35
	v_lshrrev_b32_e32 v78, 3, v80
	s_mov_b32 s52, exec_lo
	v_cmpx_gt_u32_e32 8, v80
; %bb.164:                              ;   in Loop: Header=BB213_13 Depth=1
	s_delay_alu instid0(VALU_DEP_3) | instskip(NEXT) | instid1(VALU_DEP_1)
	v_clz_i32_u32_e32 v78, v35
	v_min_u32_e32 v78, 32, v78
	s_delay_alu instid0(VALU_DEP_1) | instskip(SKIP_1) | instid1(VALU_DEP_2)
	v_subrev_nc_u32_e32 v80, 28, v78
	v_sub_nc_u32_e32 v78, 29, v78
	v_lshlrev_b64 v[80:81], v80, v[35:36]
	s_delay_alu instid0(VALU_DEP_1)
	v_and_b32_e32 v35, 7, v80
; %bb.165:                              ;   in Loop: Header=BB213_13 Depth=1
	s_or_b32 exec_lo, exec_lo, s52
	v_lshlrev_b32_e32 v79, 24, v79
	s_delay_alu instid0(VALU_DEP_2) | instskip(SKIP_1) | instid1(VALU_DEP_3)
	v_lshlrev_b32_e32 v35, 20, v35
	v_lshl_add_u32 v78, v78, 23, 0x3c000000
	v_and_b32_e32 v79, 0x80000000, v79
	s_delay_alu instid0(VALU_DEP_1)
	v_or3_b32 v78, v35, v79, v78
.LBB213_166:                            ;   in Loop: Header=BB213_13 Depth=1
	s_or_b32 exec_lo, exec_lo, s51
.LBB213_167:                            ;   in Loop: Header=BB213_13 Depth=1
	s_delay_alu instid0(SALU_CYCLE_1)
	s_or_b32 exec_lo, exec_lo, s50
.LBB213_168:                            ;   in Loop: Header=BB213_13 Depth=1
	s_delay_alu instid0(SALU_CYCLE_1)
	s_or_b32 exec_lo, exec_lo, s49
	global_load_u8 v43, v[43:44], off offset:12
	s_mov_b32 s49, exec_lo
	s_waitcnt vmcnt(0)
	v_cmpx_ne_u16_e32 0, v43
	s_cbranch_execz .LBB213_176
; %bb.169:                              ;   in Loop: Header=BB213_13 Depth=1
	v_bfrev_b32_e32 v77, 1
	s_mov_b32 s50, exec_lo
	v_cmpx_ne_u16_e32 0x80, v43
	s_cbranch_execz .LBB213_175
; %bb.170:                              ;   in Loop: Header=BB213_13 Depth=1
	v_and_b32_e32 v35, 0xffff, v43
	v_mov_b32_e32 v77, 0x7f800001
	s_mov_b32 s51, exec_lo
	s_delay_alu instid0(VALU_DEP_2) | instskip(NEXT) | instid1(VALU_DEP_1)
	v_and_b32_e32 v79, 0x7f, v35
	v_cmpx_ne_u32_e32 0x7f, v79
	s_cbranch_execz .LBB213_174
; %bb.171:                              ;   in Loop: Header=BB213_13 Depth=1
	v_and_b32_e32 v35, 7, v35
	v_lshrrev_b32_e32 v44, 3, v79
	s_mov_b32 s52, exec_lo
	v_cmpx_gt_u32_e32 8, v79
; %bb.172:                              ;   in Loop: Header=BB213_13 Depth=1
	s_delay_alu instid0(VALU_DEP_3) | instskip(NEXT) | instid1(VALU_DEP_1)
	v_clz_i32_u32_e32 v44, v35
	v_min_u32_e32 v44, 32, v44
	s_delay_alu instid0(VALU_DEP_1) | instskip(SKIP_1) | instid1(VALU_DEP_2)
	v_subrev_nc_u32_e32 v77, 28, v44
	v_sub_nc_u32_e32 v44, 29, v44
	v_lshlrev_b64 v[79:80], v77, v[35:36]
	s_delay_alu instid0(VALU_DEP_1)
	v_and_b32_e32 v35, 7, v79
; %bb.173:                              ;   in Loop: Header=BB213_13 Depth=1
	s_or_b32 exec_lo, exec_lo, s52
	v_lshlrev_b32_e32 v43, 24, v43
	s_delay_alu instid0(VALU_DEP_2) | instskip(SKIP_1) | instid1(VALU_DEP_3)
	v_lshlrev_b32_e32 v35, 20, v35
	v_lshl_add_u32 v44, v44, 23, 0x3c000000
	v_and_b32_e32 v43, 0x80000000, v43
	s_delay_alu instid0(VALU_DEP_1)
	v_or3_b32 v77, v35, v43, v44
.LBB213_174:                            ;   in Loop: Header=BB213_13 Depth=1
	s_or_b32 exec_lo, exec_lo, s51
.LBB213_175:                            ;   in Loop: Header=BB213_13 Depth=1
	s_delay_alu instid0(SALU_CYCLE_1)
	s_or_b32 exec_lo, exec_lo, s50
.LBB213_176:                            ;   in Loop: Header=BB213_13 Depth=1
	s_delay_alu instid0(SALU_CYCLE_1)
	s_or_b32 exec_lo, exec_lo, s49
	global_load_u8 v43, v[41:42], off offset:640
	v_dual_mov_b32 v79, 0 :: v_dual_mov_b32 v80, 0
	s_mov_b32 s49, exec_lo
	s_waitcnt vmcnt(0)
	v_cmpx_ne_u16_e32 0, v43
	s_cbranch_execz .LBB213_184
; %bb.177:                              ;   in Loop: Header=BB213_13 Depth=1
	v_bfrev_b32_e32 v80, 1
	s_mov_b32 s50, exec_lo
	v_cmpx_ne_u16_e32 0x80, v43
	s_cbranch_execz .LBB213_183
; %bb.178:                              ;   in Loop: Header=BB213_13 Depth=1
	v_and_b32_e32 v35, 0xffff, v43
	v_mov_b32_e32 v80, 0x7f800001
	s_mov_b32 s51, exec_lo
	s_delay_alu instid0(VALU_DEP_2) | instskip(NEXT) | instid1(VALU_DEP_1)
	v_and_b32_e32 v81, 0x7f, v35
	v_cmpx_ne_u32_e32 0x7f, v81
	s_cbranch_execz .LBB213_182
; %bb.179:                              ;   in Loop: Header=BB213_13 Depth=1
	v_and_b32_e32 v35, 7, v35
	v_lshrrev_b32_e32 v44, 3, v81
	s_mov_b32 s52, exec_lo
	v_cmpx_gt_u32_e32 8, v81
; %bb.180:                              ;   in Loop: Header=BB213_13 Depth=1
	s_delay_alu instid0(VALU_DEP_3) | instskip(NEXT) | instid1(VALU_DEP_1)
	v_clz_i32_u32_e32 v44, v35
	v_min_u32_e32 v44, 32, v44
	s_delay_alu instid0(VALU_DEP_1) | instskip(SKIP_1) | instid1(VALU_DEP_2)
	v_subrev_nc_u32_e32 v80, 28, v44
	v_sub_nc_u32_e32 v44, 29, v44
	v_lshlrev_b64 v[80:81], v80, v[35:36]
	s_delay_alu instid0(VALU_DEP_1)
	v_and_b32_e32 v35, 7, v80
; %bb.181:                              ;   in Loop: Header=BB213_13 Depth=1
	s_or_b32 exec_lo, exec_lo, s52
	v_lshlrev_b32_e32 v43, 24, v43
	s_delay_alu instid0(VALU_DEP_2) | instskip(SKIP_1) | instid1(VALU_DEP_3)
	v_lshlrev_b32_e32 v35, 20, v35
	v_lshl_add_u32 v44, v44, 23, 0x3c000000
	v_and_b32_e32 v43, 0x80000000, v43
	s_delay_alu instid0(VALU_DEP_1)
	v_or3_b32 v80, v35, v43, v44
.LBB213_182:                            ;   in Loop: Header=BB213_13 Depth=1
	s_or_b32 exec_lo, exec_lo, s51
.LBB213_183:                            ;   in Loop: Header=BB213_13 Depth=1
	s_delay_alu instid0(SALU_CYCLE_1)
	s_or_b32 exec_lo, exec_lo, s50
.LBB213_184:                            ;   in Loop: Header=BB213_13 Depth=1
	s_delay_alu instid0(SALU_CYCLE_1)
	s_or_b32 exec_lo, exec_lo, s49
	global_load_u8 v43, v[41:42], off offset:644
	s_mov_b32 s49, exec_lo
	s_waitcnt vmcnt(0)
	v_cmpx_ne_u16_e32 0, v43
	s_cbranch_execz .LBB213_192
; %bb.185:                              ;   in Loop: Header=BB213_13 Depth=1
	v_bfrev_b32_e32 v79, 1
	s_mov_b32 s50, exec_lo
	v_cmpx_ne_u16_e32 0x80, v43
	s_cbranch_execz .LBB213_191
; %bb.186:                              ;   in Loop: Header=BB213_13 Depth=1
	v_and_b32_e32 v35, 0xffff, v43
	v_mov_b32_e32 v79, 0x7f800001
	s_mov_b32 s51, exec_lo
	s_delay_alu instid0(VALU_DEP_2) | instskip(NEXT) | instid1(VALU_DEP_1)
	v_and_b32_e32 v81, 0x7f, v35
	v_cmpx_ne_u32_e32 0x7f, v81
	s_cbranch_execz .LBB213_190
; %bb.187:                              ;   in Loop: Header=BB213_13 Depth=1
	v_and_b32_e32 v35, 7, v35
	v_lshrrev_b32_e32 v44, 3, v81
	s_mov_b32 s52, exec_lo
	v_cmpx_gt_u32_e32 8, v81
; %bb.188:                              ;   in Loop: Header=BB213_13 Depth=1
	s_delay_alu instid0(VALU_DEP_3) | instskip(NEXT) | instid1(VALU_DEP_1)
	v_clz_i32_u32_e32 v44, v35
	v_min_u32_e32 v44, 32, v44
	s_delay_alu instid0(VALU_DEP_1) | instskip(SKIP_1) | instid1(VALU_DEP_2)
	v_subrev_nc_u32_e32 v79, 28, v44
	v_sub_nc_u32_e32 v44, 29, v44
	v_lshlrev_b64 v[81:82], v79, v[35:36]
	s_delay_alu instid0(VALU_DEP_1)
	v_and_b32_e32 v35, 7, v81
; %bb.189:                              ;   in Loop: Header=BB213_13 Depth=1
	s_or_b32 exec_lo, exec_lo, s52
	v_lshlrev_b32_e32 v43, 24, v43
	s_delay_alu instid0(VALU_DEP_2) | instskip(SKIP_1) | instid1(VALU_DEP_3)
	v_lshlrev_b32_e32 v35, 20, v35
	v_lshl_add_u32 v44, v44, 23, 0x3c000000
	v_and_b32_e32 v43, 0x80000000, v43
	s_delay_alu instid0(VALU_DEP_1)
	v_or3_b32 v79, v35, v43, v44
.LBB213_190:                            ;   in Loop: Header=BB213_13 Depth=1
	s_or_b32 exec_lo, exec_lo, s51
.LBB213_191:                            ;   in Loop: Header=BB213_13 Depth=1
	s_delay_alu instid0(SALU_CYCLE_1)
	s_or_b32 exec_lo, exec_lo, s50
.LBB213_192:                            ;   in Loop: Header=BB213_13 Depth=1
	s_delay_alu instid0(SALU_CYCLE_1) | instskip(SKIP_1) | instid1(VALU_DEP_1)
	s_or_b32 exec_lo, exec_lo, s49
	v_add_co_u32 v43, s1, 0x280, v41
	v_add_co_ci_u32_e64 v44, s1, 0, v42, s1
	v_dual_mov_b32 v81, 0 :: v_dual_mov_b32 v82, 0
	s_mov_b32 s49, exec_lo
	global_load_u8 v83, v[43:44], off offset:8
	s_waitcnt vmcnt(0)
	v_cmpx_ne_u16_e32 0, v83
	s_cbranch_execz .LBB213_200
; %bb.193:                              ;   in Loop: Header=BB213_13 Depth=1
	v_bfrev_b32_e32 v82, 1
	s_mov_b32 s50, exec_lo
	v_cmpx_ne_u16_e32 0x80, v83
	s_cbranch_execz .LBB213_199
; %bb.194:                              ;   in Loop: Header=BB213_13 Depth=1
	v_and_b32_e32 v35, 0xffff, v83
	v_mov_b32_e32 v82, 0x7f800001
	s_mov_b32 s51, exec_lo
	s_delay_alu instid0(VALU_DEP_2) | instskip(NEXT) | instid1(VALU_DEP_1)
	v_and_b32_e32 v84, 0x7f, v35
	v_cmpx_ne_u32_e32 0x7f, v84
	s_cbranch_execz .LBB213_198
; %bb.195:                              ;   in Loop: Header=BB213_13 Depth=1
	v_and_b32_e32 v35, 7, v35
	v_lshrrev_b32_e32 v82, 3, v84
	s_mov_b32 s52, exec_lo
	v_cmpx_gt_u32_e32 8, v84
; %bb.196:                              ;   in Loop: Header=BB213_13 Depth=1
	s_delay_alu instid0(VALU_DEP_3) | instskip(NEXT) | instid1(VALU_DEP_1)
	v_clz_i32_u32_e32 v82, v35
	v_min_u32_e32 v82, 32, v82
	s_delay_alu instid0(VALU_DEP_1) | instskip(SKIP_1) | instid1(VALU_DEP_2)
	v_subrev_nc_u32_e32 v84, 28, v82
	v_sub_nc_u32_e32 v82, 29, v82
	v_lshlrev_b64 v[84:85], v84, v[35:36]
	s_delay_alu instid0(VALU_DEP_1)
	v_and_b32_e32 v35, 7, v84
; %bb.197:                              ;   in Loop: Header=BB213_13 Depth=1
	s_or_b32 exec_lo, exec_lo, s52
	v_lshlrev_b32_e32 v83, 24, v83
	s_delay_alu instid0(VALU_DEP_2) | instskip(SKIP_1) | instid1(VALU_DEP_3)
	v_lshlrev_b32_e32 v35, 20, v35
	v_lshl_add_u32 v82, v82, 23, 0x3c000000
	v_and_b32_e32 v83, 0x80000000, v83
	s_delay_alu instid0(VALU_DEP_1)
	v_or3_b32 v82, v35, v83, v82
.LBB213_198:                            ;   in Loop: Header=BB213_13 Depth=1
	s_or_b32 exec_lo, exec_lo, s51
.LBB213_199:                            ;   in Loop: Header=BB213_13 Depth=1
	s_delay_alu instid0(SALU_CYCLE_1)
	s_or_b32 exec_lo, exec_lo, s50
.LBB213_200:                            ;   in Loop: Header=BB213_13 Depth=1
	s_delay_alu instid0(SALU_CYCLE_1)
	s_or_b32 exec_lo, exec_lo, s49
	global_load_u8 v43, v[43:44], off offset:12
	s_mov_b32 s49, exec_lo
	s_waitcnt vmcnt(0)
	v_cmpx_ne_u16_e32 0, v43
	s_cbranch_execz .LBB213_208
; %bb.201:                              ;   in Loop: Header=BB213_13 Depth=1
	v_bfrev_b32_e32 v81, 1
	s_mov_b32 s50, exec_lo
	v_cmpx_ne_u16_e32 0x80, v43
	s_cbranch_execz .LBB213_207
; %bb.202:                              ;   in Loop: Header=BB213_13 Depth=1
	v_and_b32_e32 v35, 0xffff, v43
	v_mov_b32_e32 v81, 0x7f800001
	s_mov_b32 s51, exec_lo
	s_delay_alu instid0(VALU_DEP_2) | instskip(NEXT) | instid1(VALU_DEP_1)
	v_and_b32_e32 v83, 0x7f, v35
	v_cmpx_ne_u32_e32 0x7f, v83
	s_cbranch_execz .LBB213_206
; %bb.203:                              ;   in Loop: Header=BB213_13 Depth=1
	v_and_b32_e32 v35, 7, v35
	v_lshrrev_b32_e32 v44, 3, v83
	s_mov_b32 s52, exec_lo
	v_cmpx_gt_u32_e32 8, v83
; %bb.204:                              ;   in Loop: Header=BB213_13 Depth=1
	s_delay_alu instid0(VALU_DEP_3) | instskip(NEXT) | instid1(VALU_DEP_1)
	v_clz_i32_u32_e32 v44, v35
	v_min_u32_e32 v44, 32, v44
	s_delay_alu instid0(VALU_DEP_1) | instskip(SKIP_1) | instid1(VALU_DEP_2)
	v_subrev_nc_u32_e32 v81, 28, v44
	v_sub_nc_u32_e32 v44, 29, v44
	v_lshlrev_b64 v[83:84], v81, v[35:36]
	s_delay_alu instid0(VALU_DEP_1)
	v_and_b32_e32 v35, 7, v83
; %bb.205:                              ;   in Loop: Header=BB213_13 Depth=1
	s_or_b32 exec_lo, exec_lo, s52
	v_lshlrev_b32_e32 v43, 24, v43
	s_delay_alu instid0(VALU_DEP_2) | instskip(SKIP_1) | instid1(VALU_DEP_3)
	v_lshlrev_b32_e32 v35, 20, v35
	v_lshl_add_u32 v44, v44, 23, 0x3c000000
	v_and_b32_e32 v43, 0x80000000, v43
	s_delay_alu instid0(VALU_DEP_1)
	v_or3_b32 v81, v35, v43, v44
.LBB213_206:                            ;   in Loop: Header=BB213_13 Depth=1
	s_or_b32 exec_lo, exec_lo, s51
.LBB213_207:                            ;   in Loop: Header=BB213_13 Depth=1
	s_delay_alu instid0(SALU_CYCLE_1)
	s_or_b32 exec_lo, exec_lo, s50
.LBB213_208:                            ;   in Loop: Header=BB213_13 Depth=1
	s_delay_alu instid0(SALU_CYCLE_1)
	s_or_b32 exec_lo, exec_lo, s49
	global_load_u8 v43, v[41:42], off offset:768
	v_dual_mov_b32 v83, 0 :: v_dual_mov_b32 v84, 0
	s_mov_b32 s49, exec_lo
	s_waitcnt vmcnt(0)
	v_cmpx_ne_u16_e32 0, v43
	s_cbranch_execz .LBB213_216
; %bb.209:                              ;   in Loop: Header=BB213_13 Depth=1
	v_bfrev_b32_e32 v84, 1
	s_mov_b32 s50, exec_lo
	v_cmpx_ne_u16_e32 0x80, v43
	s_cbranch_execz .LBB213_215
; %bb.210:                              ;   in Loop: Header=BB213_13 Depth=1
	v_and_b32_e32 v35, 0xffff, v43
	v_mov_b32_e32 v84, 0x7f800001
	s_mov_b32 s51, exec_lo
	s_delay_alu instid0(VALU_DEP_2) | instskip(NEXT) | instid1(VALU_DEP_1)
	v_and_b32_e32 v85, 0x7f, v35
	v_cmpx_ne_u32_e32 0x7f, v85
	s_cbranch_execz .LBB213_214
; %bb.211:                              ;   in Loop: Header=BB213_13 Depth=1
	v_and_b32_e32 v35, 7, v35
	v_lshrrev_b32_e32 v44, 3, v85
	s_mov_b32 s52, exec_lo
	v_cmpx_gt_u32_e32 8, v85
; %bb.212:                              ;   in Loop: Header=BB213_13 Depth=1
	s_delay_alu instid0(VALU_DEP_3) | instskip(NEXT) | instid1(VALU_DEP_1)
	v_clz_i32_u32_e32 v44, v35
	v_min_u32_e32 v44, 32, v44
	s_delay_alu instid0(VALU_DEP_1) | instskip(SKIP_1) | instid1(VALU_DEP_2)
	v_subrev_nc_u32_e32 v84, 28, v44
	v_sub_nc_u32_e32 v44, 29, v44
	v_lshlrev_b64 v[84:85], v84, v[35:36]
	s_delay_alu instid0(VALU_DEP_1)
	v_and_b32_e32 v35, 7, v84
; %bb.213:                              ;   in Loop: Header=BB213_13 Depth=1
	s_or_b32 exec_lo, exec_lo, s52
	v_lshlrev_b32_e32 v43, 24, v43
	s_delay_alu instid0(VALU_DEP_2) | instskip(SKIP_1) | instid1(VALU_DEP_3)
	v_lshlrev_b32_e32 v35, 20, v35
	v_lshl_add_u32 v44, v44, 23, 0x3c000000
	v_and_b32_e32 v43, 0x80000000, v43
	s_delay_alu instid0(VALU_DEP_1)
	v_or3_b32 v84, v35, v43, v44
.LBB213_214:                            ;   in Loop: Header=BB213_13 Depth=1
	s_or_b32 exec_lo, exec_lo, s51
.LBB213_215:                            ;   in Loop: Header=BB213_13 Depth=1
	s_delay_alu instid0(SALU_CYCLE_1)
	s_or_b32 exec_lo, exec_lo, s50
.LBB213_216:                            ;   in Loop: Header=BB213_13 Depth=1
	s_delay_alu instid0(SALU_CYCLE_1)
	s_or_b32 exec_lo, exec_lo, s49
	global_load_u8 v43, v[41:42], off offset:772
	s_mov_b32 s49, exec_lo
	s_waitcnt vmcnt(0)
	v_cmpx_ne_u16_e32 0, v43
	s_cbranch_execz .LBB213_224
; %bb.217:                              ;   in Loop: Header=BB213_13 Depth=1
	v_bfrev_b32_e32 v83, 1
	s_mov_b32 s50, exec_lo
	v_cmpx_ne_u16_e32 0x80, v43
	s_cbranch_execz .LBB213_223
; %bb.218:                              ;   in Loop: Header=BB213_13 Depth=1
	v_and_b32_e32 v35, 0xffff, v43
	v_mov_b32_e32 v83, 0x7f800001
	s_mov_b32 s51, exec_lo
	s_delay_alu instid0(VALU_DEP_2) | instskip(NEXT) | instid1(VALU_DEP_1)
	v_and_b32_e32 v85, 0x7f, v35
	v_cmpx_ne_u32_e32 0x7f, v85
	s_cbranch_execz .LBB213_222
; %bb.219:                              ;   in Loop: Header=BB213_13 Depth=1
	v_and_b32_e32 v35, 7, v35
	v_lshrrev_b32_e32 v44, 3, v85
	s_mov_b32 s52, exec_lo
	v_cmpx_gt_u32_e32 8, v85
; %bb.220:                              ;   in Loop: Header=BB213_13 Depth=1
	s_delay_alu instid0(VALU_DEP_3) | instskip(NEXT) | instid1(VALU_DEP_1)
	v_clz_i32_u32_e32 v44, v35
	v_min_u32_e32 v44, 32, v44
	s_delay_alu instid0(VALU_DEP_1) | instskip(SKIP_1) | instid1(VALU_DEP_2)
	v_subrev_nc_u32_e32 v83, 28, v44
	v_sub_nc_u32_e32 v44, 29, v44
	v_lshlrev_b64 v[85:86], v83, v[35:36]
	s_delay_alu instid0(VALU_DEP_1)
	v_and_b32_e32 v35, 7, v85
; %bb.221:                              ;   in Loop: Header=BB213_13 Depth=1
	s_or_b32 exec_lo, exec_lo, s52
	v_lshlrev_b32_e32 v43, 24, v43
	s_delay_alu instid0(VALU_DEP_2) | instskip(SKIP_1) | instid1(VALU_DEP_3)
	v_lshlrev_b32_e32 v35, 20, v35
	v_lshl_add_u32 v44, v44, 23, 0x3c000000
	v_and_b32_e32 v43, 0x80000000, v43
	s_delay_alu instid0(VALU_DEP_1)
	v_or3_b32 v83, v35, v43, v44
.LBB213_222:                            ;   in Loop: Header=BB213_13 Depth=1
	s_or_b32 exec_lo, exec_lo, s51
.LBB213_223:                            ;   in Loop: Header=BB213_13 Depth=1
	s_delay_alu instid0(SALU_CYCLE_1)
	s_or_b32 exec_lo, exec_lo, s50
.LBB213_224:                            ;   in Loop: Header=BB213_13 Depth=1
	s_delay_alu instid0(SALU_CYCLE_1) | instskip(SKIP_1) | instid1(VALU_DEP_1)
	s_or_b32 exec_lo, exec_lo, s49
	v_add_co_u32 v43, s1, 0x300, v41
	v_add_co_ci_u32_e64 v44, s1, 0, v42, s1
	v_dual_mov_b32 v85, 0 :: v_dual_mov_b32 v86, 0
	s_mov_b32 s49, exec_lo
	global_load_u8 v87, v[43:44], off offset:8
	s_waitcnt vmcnt(0)
	v_cmpx_ne_u16_e32 0, v87
	s_cbranch_execz .LBB213_232
; %bb.225:                              ;   in Loop: Header=BB213_13 Depth=1
	v_bfrev_b32_e32 v86, 1
	s_mov_b32 s50, exec_lo
	v_cmpx_ne_u16_e32 0x80, v87
	s_cbranch_execz .LBB213_231
; %bb.226:                              ;   in Loop: Header=BB213_13 Depth=1
	v_and_b32_e32 v35, 0xffff, v87
	v_mov_b32_e32 v86, 0x7f800001
	s_mov_b32 s51, exec_lo
	s_delay_alu instid0(VALU_DEP_2) | instskip(NEXT) | instid1(VALU_DEP_1)
	v_and_b32_e32 v88, 0x7f, v35
	v_cmpx_ne_u32_e32 0x7f, v88
	s_cbranch_execz .LBB213_230
; %bb.227:                              ;   in Loop: Header=BB213_13 Depth=1
	v_and_b32_e32 v35, 7, v35
	v_lshrrev_b32_e32 v86, 3, v88
	s_mov_b32 s52, exec_lo
	v_cmpx_gt_u32_e32 8, v88
; %bb.228:                              ;   in Loop: Header=BB213_13 Depth=1
	s_delay_alu instid0(VALU_DEP_3) | instskip(NEXT) | instid1(VALU_DEP_1)
	v_clz_i32_u32_e32 v86, v35
	v_min_u32_e32 v86, 32, v86
	s_delay_alu instid0(VALU_DEP_1) | instskip(SKIP_1) | instid1(VALU_DEP_2)
	v_subrev_nc_u32_e32 v88, 28, v86
	v_sub_nc_u32_e32 v86, 29, v86
	v_lshlrev_b64 v[88:89], v88, v[35:36]
	s_delay_alu instid0(VALU_DEP_1)
	v_and_b32_e32 v35, 7, v88
; %bb.229:                              ;   in Loop: Header=BB213_13 Depth=1
	s_or_b32 exec_lo, exec_lo, s52
	v_lshlrev_b32_e32 v87, 24, v87
	s_delay_alu instid0(VALU_DEP_2) | instskip(SKIP_1) | instid1(VALU_DEP_3)
	v_lshlrev_b32_e32 v35, 20, v35
	v_lshl_add_u32 v86, v86, 23, 0x3c000000
	v_and_b32_e32 v87, 0x80000000, v87
	s_delay_alu instid0(VALU_DEP_1)
	v_or3_b32 v86, v35, v87, v86
.LBB213_230:                            ;   in Loop: Header=BB213_13 Depth=1
	s_or_b32 exec_lo, exec_lo, s51
.LBB213_231:                            ;   in Loop: Header=BB213_13 Depth=1
	s_delay_alu instid0(SALU_CYCLE_1)
	s_or_b32 exec_lo, exec_lo, s50
.LBB213_232:                            ;   in Loop: Header=BB213_13 Depth=1
	s_delay_alu instid0(SALU_CYCLE_1)
	s_or_b32 exec_lo, exec_lo, s49
	global_load_u8 v43, v[43:44], off offset:12
	s_mov_b32 s49, exec_lo
	s_waitcnt vmcnt(0)
	v_cmpx_ne_u16_e32 0, v43
	s_cbranch_execz .LBB213_240
; %bb.233:                              ;   in Loop: Header=BB213_13 Depth=1
	v_bfrev_b32_e32 v85, 1
	s_mov_b32 s50, exec_lo
	v_cmpx_ne_u16_e32 0x80, v43
	s_cbranch_execz .LBB213_239
; %bb.234:                              ;   in Loop: Header=BB213_13 Depth=1
	v_and_b32_e32 v35, 0xffff, v43
	v_mov_b32_e32 v85, 0x7f800001
	s_mov_b32 s51, exec_lo
	s_delay_alu instid0(VALU_DEP_2) | instskip(NEXT) | instid1(VALU_DEP_1)
	v_and_b32_e32 v87, 0x7f, v35
	v_cmpx_ne_u32_e32 0x7f, v87
	s_cbranch_execz .LBB213_238
; %bb.235:                              ;   in Loop: Header=BB213_13 Depth=1
	v_and_b32_e32 v35, 7, v35
	v_lshrrev_b32_e32 v44, 3, v87
	s_mov_b32 s52, exec_lo
	v_cmpx_gt_u32_e32 8, v87
; %bb.236:                              ;   in Loop: Header=BB213_13 Depth=1
	s_delay_alu instid0(VALU_DEP_3) | instskip(NEXT) | instid1(VALU_DEP_1)
	v_clz_i32_u32_e32 v44, v35
	v_min_u32_e32 v44, 32, v44
	s_delay_alu instid0(VALU_DEP_1) | instskip(SKIP_1) | instid1(VALU_DEP_2)
	v_subrev_nc_u32_e32 v85, 28, v44
	v_sub_nc_u32_e32 v44, 29, v44
	v_lshlrev_b64 v[87:88], v85, v[35:36]
	s_delay_alu instid0(VALU_DEP_1)
	v_and_b32_e32 v35, 7, v87
; %bb.237:                              ;   in Loop: Header=BB213_13 Depth=1
	s_or_b32 exec_lo, exec_lo, s52
	v_lshlrev_b32_e32 v43, 24, v43
	s_delay_alu instid0(VALU_DEP_2) | instskip(SKIP_1) | instid1(VALU_DEP_3)
	v_lshlrev_b32_e32 v35, 20, v35
	v_lshl_add_u32 v44, v44, 23, 0x3c000000
	v_and_b32_e32 v43, 0x80000000, v43
	s_delay_alu instid0(VALU_DEP_1)
	v_or3_b32 v85, v35, v43, v44
.LBB213_238:                            ;   in Loop: Header=BB213_13 Depth=1
	s_or_b32 exec_lo, exec_lo, s51
.LBB213_239:                            ;   in Loop: Header=BB213_13 Depth=1
	s_delay_alu instid0(SALU_CYCLE_1)
	s_or_b32 exec_lo, exec_lo, s50
.LBB213_240:                            ;   in Loop: Header=BB213_13 Depth=1
	s_delay_alu instid0(SALU_CYCLE_1)
	s_or_b32 exec_lo, exec_lo, s49
	global_load_u8 v87, v[41:42], off offset:896
	v_dual_mov_b32 v43, 0 :: v_dual_mov_b32 v44, 0
	s_mov_b32 s49, exec_lo
	s_waitcnt vmcnt(0)
	v_cmpx_ne_u16_e32 0, v87
	s_cbranch_execz .LBB213_248
; %bb.241:                              ;   in Loop: Header=BB213_13 Depth=1
	v_bfrev_b32_e32 v44, 1
	s_mov_b32 s50, exec_lo
	v_cmpx_ne_u16_e32 0x80, v87
	s_cbranch_execz .LBB213_247
; %bb.242:                              ;   in Loop: Header=BB213_13 Depth=1
	v_and_b32_e32 v35, 0xffff, v87
	v_mov_b32_e32 v44, 0x7f800001
	s_mov_b32 s51, exec_lo
	s_delay_alu instid0(VALU_DEP_2) | instskip(NEXT) | instid1(VALU_DEP_1)
	v_and_b32_e32 v88, 0x7f, v35
	v_cmpx_ne_u32_e32 0x7f, v88
	s_cbranch_execz .LBB213_246
; %bb.243:                              ;   in Loop: Header=BB213_13 Depth=1
	v_and_b32_e32 v35, 7, v35
	v_lshrrev_b32_e32 v44, 3, v88
	s_mov_b32 s52, exec_lo
	v_cmpx_gt_u32_e32 8, v88
; %bb.244:                              ;   in Loop: Header=BB213_13 Depth=1
	s_delay_alu instid0(VALU_DEP_3) | instskip(NEXT) | instid1(VALU_DEP_1)
	v_clz_i32_u32_e32 v44, v35
	v_min_u32_e32 v44, 32, v44
	s_delay_alu instid0(VALU_DEP_1) | instskip(SKIP_1) | instid1(VALU_DEP_2)
	v_subrev_nc_u32_e32 v88, 28, v44
	v_sub_nc_u32_e32 v44, 29, v44
	v_lshlrev_b64 v[88:89], v88, v[35:36]
	s_delay_alu instid0(VALU_DEP_1)
	v_and_b32_e32 v35, 7, v88
; %bb.245:                              ;   in Loop: Header=BB213_13 Depth=1
	s_or_b32 exec_lo, exec_lo, s52
	v_lshlrev_b32_e32 v87, 24, v87
	s_delay_alu instid0(VALU_DEP_2) | instskip(SKIP_1) | instid1(VALU_DEP_3)
	v_lshlrev_b32_e32 v35, 20, v35
	v_lshl_add_u32 v44, v44, 23, 0x3c000000
	v_and_b32_e32 v87, 0x80000000, v87
	s_delay_alu instid0(VALU_DEP_1)
	v_or3_b32 v44, v35, v87, v44
.LBB213_246:                            ;   in Loop: Header=BB213_13 Depth=1
	s_or_b32 exec_lo, exec_lo, s51
.LBB213_247:                            ;   in Loop: Header=BB213_13 Depth=1
	s_delay_alu instid0(SALU_CYCLE_1)
	s_or_b32 exec_lo, exec_lo, s50
.LBB213_248:                            ;   in Loop: Header=BB213_13 Depth=1
	s_delay_alu instid0(SALU_CYCLE_1)
	s_or_b32 exec_lo, exec_lo, s49
	global_load_u8 v87, v[41:42], off offset:900
	s_mov_b32 s49, exec_lo
	s_waitcnt vmcnt(0)
	v_cmpx_ne_u16_e32 0, v87
	s_cbranch_execz .LBB213_256
; %bb.249:                              ;   in Loop: Header=BB213_13 Depth=1
	v_bfrev_b32_e32 v43, 1
	s_mov_b32 s50, exec_lo
	v_cmpx_ne_u16_e32 0x80, v87
	s_cbranch_execz .LBB213_255
; %bb.250:                              ;   in Loop: Header=BB213_13 Depth=1
	v_and_b32_e32 v35, 0xffff, v87
	v_mov_b32_e32 v43, 0x7f800001
	s_mov_b32 s51, exec_lo
	s_delay_alu instid0(VALU_DEP_2) | instskip(NEXT) | instid1(VALU_DEP_1)
	v_and_b32_e32 v88, 0x7f, v35
	v_cmpx_ne_u32_e32 0x7f, v88
	s_cbranch_execz .LBB213_254
; %bb.251:                              ;   in Loop: Header=BB213_13 Depth=1
	v_and_b32_e32 v35, 7, v35
	v_lshrrev_b32_e32 v43, 3, v88
	s_mov_b32 s52, exec_lo
	v_cmpx_gt_u32_e32 8, v88
; %bb.252:                              ;   in Loop: Header=BB213_13 Depth=1
	s_delay_alu instid0(VALU_DEP_3) | instskip(NEXT) | instid1(VALU_DEP_1)
	v_clz_i32_u32_e32 v43, v35
	v_min_u32_e32 v43, 32, v43
	s_delay_alu instid0(VALU_DEP_1) | instskip(SKIP_1) | instid1(VALU_DEP_2)
	v_subrev_nc_u32_e32 v88, 28, v43
	v_sub_nc_u32_e32 v43, 29, v43
	v_lshlrev_b64 v[88:89], v88, v[35:36]
	s_delay_alu instid0(VALU_DEP_1)
	v_and_b32_e32 v35, 7, v88
; %bb.253:                              ;   in Loop: Header=BB213_13 Depth=1
	s_or_b32 exec_lo, exec_lo, s52
	v_lshlrev_b32_e32 v87, 24, v87
	s_delay_alu instid0(VALU_DEP_2) | instskip(SKIP_1) | instid1(VALU_DEP_3)
	v_lshlrev_b32_e32 v35, 20, v35
	v_lshl_add_u32 v43, v43, 23, 0x3c000000
	v_and_b32_e32 v87, 0x80000000, v87
	s_delay_alu instid0(VALU_DEP_1)
	v_or3_b32 v43, v35, v87, v43
.LBB213_254:                            ;   in Loop: Header=BB213_13 Depth=1
	s_or_b32 exec_lo, exec_lo, s51
.LBB213_255:                            ;   in Loop: Header=BB213_13 Depth=1
	s_delay_alu instid0(SALU_CYCLE_1)
	s_or_b32 exec_lo, exec_lo, s50
.LBB213_256:                            ;   in Loop: Header=BB213_13 Depth=1
	s_delay_alu instid0(SALU_CYCLE_1) | instskip(SKIP_1) | instid1(VALU_DEP_1)
	s_or_b32 exec_lo, exec_lo, s49
	v_add_co_u32 v41, s1, 0x380, v41
	v_add_co_ci_u32_e64 v42, s1, 0, v42, s1
	v_dual_mov_b32 v87, 0 :: v_dual_mov_b32 v88, 0
	s_mov_b32 s49, exec_lo
	global_load_u8 v89, v[41:42], off offset:8
	s_waitcnt vmcnt(0)
	v_cmpx_ne_u16_e32 0, v89
	s_cbranch_execz .LBB213_264
; %bb.257:                              ;   in Loop: Header=BB213_13 Depth=1
	v_bfrev_b32_e32 v88, 1
	s_mov_b32 s50, exec_lo
	v_cmpx_ne_u16_e32 0x80, v89
	s_cbranch_execz .LBB213_263
; %bb.258:                              ;   in Loop: Header=BB213_13 Depth=1
	v_and_b32_e32 v35, 0xffff, v89
	v_mov_b32_e32 v88, 0x7f800001
	s_mov_b32 s51, exec_lo
	s_delay_alu instid0(VALU_DEP_2) | instskip(NEXT) | instid1(VALU_DEP_1)
	v_and_b32_e32 v90, 0x7f, v35
	v_cmpx_ne_u32_e32 0x7f, v90
	s_cbranch_execz .LBB213_262
; %bb.259:                              ;   in Loop: Header=BB213_13 Depth=1
	v_and_b32_e32 v35, 7, v35
	v_lshrrev_b32_e32 v88, 3, v90
	s_mov_b32 s52, exec_lo
	v_cmpx_gt_u32_e32 8, v90
; %bb.260:                              ;   in Loop: Header=BB213_13 Depth=1
	s_delay_alu instid0(VALU_DEP_3) | instskip(NEXT) | instid1(VALU_DEP_1)
	v_clz_i32_u32_e32 v88, v35
	v_min_u32_e32 v88, 32, v88
	s_delay_alu instid0(VALU_DEP_1) | instskip(SKIP_1) | instid1(VALU_DEP_2)
	v_subrev_nc_u32_e32 v90, 28, v88
	v_sub_nc_u32_e32 v88, 29, v88
	v_lshlrev_b64 v[90:91], v90, v[35:36]
	s_delay_alu instid0(VALU_DEP_1)
	v_and_b32_e32 v35, 7, v90
; %bb.261:                              ;   in Loop: Header=BB213_13 Depth=1
	s_or_b32 exec_lo, exec_lo, s52
	v_lshlrev_b32_e32 v89, 24, v89
	s_delay_alu instid0(VALU_DEP_2) | instskip(SKIP_1) | instid1(VALU_DEP_3)
	v_lshlrev_b32_e32 v35, 20, v35
	v_lshl_add_u32 v88, v88, 23, 0x3c000000
	v_and_b32_e32 v89, 0x80000000, v89
	s_delay_alu instid0(VALU_DEP_1)
	v_or3_b32 v88, v35, v89, v88
.LBB213_262:                            ;   in Loop: Header=BB213_13 Depth=1
	s_or_b32 exec_lo, exec_lo, s51
.LBB213_263:                            ;   in Loop: Header=BB213_13 Depth=1
	s_delay_alu instid0(SALU_CYCLE_1)
	s_or_b32 exec_lo, exec_lo, s50
.LBB213_264:                            ;   in Loop: Header=BB213_13 Depth=1
	s_delay_alu instid0(SALU_CYCLE_1)
	s_or_b32 exec_lo, exec_lo, s49
	global_load_u8 v41, v[41:42], off offset:12
	s_mov_b32 s49, exec_lo
	s_waitcnt vmcnt(0)
	v_cmpx_ne_u16_e32 0, v41
	s_cbranch_execz .LBB213_272
; %bb.265:                              ;   in Loop: Header=BB213_13 Depth=1
	v_bfrev_b32_e32 v87, 1
	s_mov_b32 s50, exec_lo
	v_cmpx_ne_u16_e32 0x80, v41
	s_cbranch_execz .LBB213_271
; %bb.266:                              ;   in Loop: Header=BB213_13 Depth=1
	v_and_b32_e32 v35, 0xffff, v41
	v_mov_b32_e32 v87, 0x7f800001
	s_mov_b32 s51, exec_lo
	s_delay_alu instid0(VALU_DEP_2) | instskip(NEXT) | instid1(VALU_DEP_1)
	v_and_b32_e32 v89, 0x7f, v35
	v_cmpx_ne_u32_e32 0x7f, v89
	s_cbranch_execz .LBB213_270
; %bb.267:                              ;   in Loop: Header=BB213_13 Depth=1
	v_and_b32_e32 v35, 7, v35
	v_lshrrev_b32_e32 v42, 3, v89
	s_mov_b32 s52, exec_lo
	v_cmpx_gt_u32_e32 8, v89
; %bb.268:                              ;   in Loop: Header=BB213_13 Depth=1
	s_delay_alu instid0(VALU_DEP_3) | instskip(NEXT) | instid1(VALU_DEP_1)
	v_clz_i32_u32_e32 v42, v35
	v_min_u32_e32 v42, 32, v42
	s_delay_alu instid0(VALU_DEP_1) | instskip(SKIP_1) | instid1(VALU_DEP_2)
	v_subrev_nc_u32_e32 v87, 28, v42
	v_sub_nc_u32_e32 v42, 29, v42
	v_lshlrev_b64 v[89:90], v87, v[35:36]
	s_delay_alu instid0(VALU_DEP_1)
	v_and_b32_e32 v35, 7, v89
; %bb.269:                              ;   in Loop: Header=BB213_13 Depth=1
	s_or_b32 exec_lo, exec_lo, s52
	v_lshlrev_b32_e32 v41, 24, v41
	s_delay_alu instid0(VALU_DEP_2) | instskip(SKIP_1) | instid1(VALU_DEP_3)
	v_lshlrev_b32_e32 v35, 20, v35
	v_lshl_add_u32 v42, v42, 23, 0x3c000000
	v_and_b32_e32 v41, 0x80000000, v41
	s_delay_alu instid0(VALU_DEP_1)
	v_or3_b32 v87, v35, v41, v42
.LBB213_270:                            ;   in Loop: Header=BB213_13 Depth=1
	s_or_b32 exec_lo, exec_lo, s51
.LBB213_271:                            ;   in Loop: Header=BB213_13 Depth=1
	s_delay_alu instid0(SALU_CYCLE_1)
	s_or_b32 exec_lo, exec_lo, s50
.LBB213_272:                            ;   in Loop: Header=BB213_13 Depth=1
	s_delay_alu instid0(SALU_CYCLE_1) | instskip(SKIP_3) | instid1(VALU_DEP_1)
	s_or_b32 exec_lo, exec_lo, s49
	s_waitcnt lgkmcnt(0)
	v_mul_f32_e32 v41, s48, v60
	v_mul_f32_e32 v35, s48, v59
	;; [unrolled: 1-line block ×3, first 2 shown]
	s_delay_alu instid0(VALU_DEP_1) | instskip(SKIP_2) | instid1(VALU_DEP_1)
	v_fmac_f32_e32 v30, v29, v41
	v_mul_f32_e32 v29, s48, v61
	v_mul_f32_e32 v35, s48, v62
	v_fmac_f32_e32 v30, v31, v35
	s_delay_alu instid0(VALU_DEP_1) | instskip(SKIP_1) | instid1(VALU_DEP_1)
	v_dual_fmac_f32 v30, v32, v29 :: v_dual_mul_f32 v29, s48, v63
	v_mul_f32_e32 v31, s48, v64
	v_dual_fmac_f32 v30, v25, v31 :: v_dual_mul_f32 v25, s48, v66
	s_delay_alu instid0(VALU_DEP_1) | instskip(SKIP_1) | instid1(VALU_DEP_2)
	v_fmac_f32_e32 v30, v26, v29
	v_mul_f32_e32 v26, s48, v65
	v_dual_fmac_f32 v30, v27, v25 :: v_dual_mul_f32 v25, s48, v68
	s_delay_alu instid0(VALU_DEP_1) | instskip(SKIP_1) | instid1(VALU_DEP_2)
	v_fmac_f32_e32 v30, v28, v26
	;; [unrolled: 4-line block ×12, first 2 shown]
	v_mul_f32_e32 v6, s48, v43
	v_fmac_f32_e32 v30, v1, v5
	v_xor_b32_e32 v1, 2, v49
	s_delay_alu instid0(VALU_DEP_2) | instskip(NEXT) | instid1(VALU_DEP_2)
	v_dual_mul_f32 v5, s48, v88 :: v_dual_fmac_f32 v30, v2, v6
	v_cmp_gt_i32_e64 s1, 32, v1
	v_mul_f32_e32 v2, s48, v87
	s_delay_alu instid0(VALU_DEP_3) | instskip(NEXT) | instid1(VALU_DEP_3)
	v_fmac_f32_e32 v30, v3, v5
	v_cndmask_b32_e64 v1, v49, v1, s1
	s_delay_alu instid0(VALU_DEP_1) | instskip(SKIP_3) | instid1(VALU_DEP_1)
	v_dual_fmac_f32 v30, v4, v2 :: v_dual_lshlrev_b32 v1, 2, v1
	v_xor_b32_e32 v2, 1, v49
	ds_bpermute_b32 v1, v1, v30
	v_cmp_gt_i32_e64 s1, 32, v2
	v_cndmask_b32_e64 v2, v49, v2, s1
	s_waitcnt lgkmcnt(0)
	s_delay_alu instid0(VALU_DEP_1)
	v_dual_add_f32 v1, v30, v1 :: v_dual_lshlrev_b32 v2, 2, v2
	ds_bpermute_b32 v2, v2, v1
	s_and_saveexec_b32 s48, vcc_lo
	s_cbranch_execz .LBB213_11
; %bb.273:                              ;   in Loop: Header=BB213_13 Depth=1
	v_add_nc_u32_e32 v3, v55, v53
	s_waitcnt lgkmcnt(0)
	v_add_f32_e32 v1, v1, v2
	s_delay_alu instid0(VALU_DEP_2) | instskip(NEXT) | instid1(VALU_DEP_1)
	v_cvt_f32_i32_e32 v3, v3
	v_mul_f32_e32 v3, s42, v3
	s_delay_alu instid0(VALU_DEP_1) | instskip(NEXT) | instid1(VALU_DEP_1)
	v_cndmask_b32_e64 v2, 0, v3, s0
	v_dual_max_f32 v3, v50, v50 :: v_dual_fmac_f32 v2, s39, v1
	v_add_nc_u32_e32 v1, v51, v53
	s_delay_alu instid0(VALU_DEP_2) | instskip(NEXT) | instid1(VALU_DEP_2)
	v_max_f32_e32 v3, v3, v2
	v_cmp_gt_i32_e64 s1, s15, v1
	s_delay_alu instid0(VALU_DEP_1) | instskip(NEXT) | instid1(VALU_DEP_3)
	v_cndmask_b32_e64 v1, 0, v2, s1
	v_cndmask_b32_e64 v50, v50, v3, s1
	ds_store_b32 v56, v1
	s_branch .LBB213_11
.LBB213_274:
	s_or_b32 exec_lo, exec_lo, s46
.LBB213_275:
	s_delay_alu instid0(SALU_CYCLE_1) | instskip(SKIP_4) | instid1(VALU_DEP_4)
	s_or_b32 exec_lo, exec_lo, s43
	v_xor_b32_e32 v1, 16, v49
	v_xor_b32_e32 v3, 8, v49
	v_and_b32_e32 v21, 31, v0
	v_max_f32_e32 v5, v50, v50
	v_cmp_gt_i32_e32 vcc_lo, 32, v1
	v_cndmask_b32_e32 v1, v49, v1, vcc_lo
	v_cmp_gt_i32_e32 vcc_lo, 32, v3
	v_cndmask_b32_e32 v3, v49, v3, vcc_lo
	s_delay_alu instid0(VALU_DEP_1)
	v_lshlrev_b32_e32 v4, 2, v3
	s_waitcnt lgkmcnt(0)
	v_lshlrev_b32_e32 v2, 2, v1
	ds_bpermute_b32 v1, v2, v50
	s_waitcnt lgkmcnt(0)
	v_max_f32_e32 v1, v1, v1
	s_delay_alu instid0(VALU_DEP_1)
	v_max_f32_e32 v1, v5, v1
	v_xor_b32_e32 v5, 4, v49
	ds_bpermute_b32 v3, v4, v1
	v_cmp_gt_i32_e32 vcc_lo, 32, v5
	v_cndmask_b32_e32 v5, v49, v5, vcc_lo
	v_cmp_eq_u32_e32 vcc_lo, 0, v21
	s_delay_alu instid0(VALU_DEP_2) | instskip(SKIP_3) | instid1(VALU_DEP_1)
	v_lshlrev_b32_e32 v7, 2, v5
	v_lshlrev_b32_e32 v5, 2, v45
	s_waitcnt lgkmcnt(0)
	v_max_f32_e32 v3, v3, v3
	v_max_f32_e32 v1, v1, v3
	ds_bpermute_b32 v3, v7, v1
	s_and_saveexec_b32 s0, vcc_lo
	s_cbranch_execz .LBB213_277
; %bb.276:
	s_waitcnt lgkmcnt(0)
	v_max_f32_e32 v3, v3, v3
	v_max_f32_e32 v1, v1, v1
	s_delay_alu instid0(VALU_DEP_1)
	v_max_f32_e32 v1, v1, v3
	ds_store_b32 v5, v1 offset:512
.LBB213_277:
	s_or_b32 exec_lo, exec_lo, s0
	v_cmp_gt_u32_e64 s0, 4, v21
	v_dual_mov_b32 v1, 0xff7fffff :: v_dual_lshlrev_b32 v6, 2, v21
	s_waitcnt lgkmcnt(0)
	s_barrier
	buffer_gl0_inv
	s_and_saveexec_b32 s1, s0
	s_cbranch_execz .LBB213_279
; %bb.278:
	ds_load_b32 v1, v6 offset:512
.LBB213_279:
	s_or_b32 exec_lo, exec_lo, s1
	v_xor_b32_e32 v3, 2, v49
	v_xor_b32_e32 v9, 1, v49
	s_delay_alu instid0(VALU_DEP_2) | instskip(NEXT) | instid1(VALU_DEP_1)
	v_cmp_gt_i32_e64 s1, 32, v3
	v_cndmask_b32_e64 v3, v49, v3, s1
	s_delay_alu instid0(VALU_DEP_3) | instskip(NEXT) | instid1(VALU_DEP_2)
	v_cmp_gt_i32_e64 s1, 32, v9
	v_lshlrev_b32_e32 v8, 2, v3
	s_delay_alu instid0(VALU_DEP_2) | instskip(SKIP_1) | instid1(SALU_CYCLE_1)
	v_cndmask_b32_e64 v9, v49, v9, s1
	s_sub_i32 s1, s16, s8
	s_lshl_b32 s1, s1, 3
	s_waitcnt lgkmcnt(0)
	ds_bpermute_b32 v3, v8, v1
	v_max_f32_e32 v1, v1, v1
	s_add_i32 s1, s1, s40
	v_dual_mov_b32 v9, 0 :: v_dual_lshlrev_b32 v22, 2, v9
	s_min_i32 s1, s1, s15
	s_delay_alu instid0(SALU_CYCLE_1) | instskip(NEXT) | instid1(SALU_CYCLE_1)
	s_sub_i32 s4, s1, s40
	v_cmp_gt_i32_e64 s1, s4, v0
	s_waitcnt lgkmcnt(0)
	v_max_f32_e32 v3, v3, v3
	s_delay_alu instid0(VALU_DEP_1) | instskip(SKIP_3) | instid1(VALU_DEP_1)
	v_max_f32_e32 v1, v1, v3
	ds_bpermute_b32 v3, v22, v1
	s_waitcnt lgkmcnt(0)
	v_max_f32_e32 v3, v3, v3
	v_max_f32_e32 v1, v1, v3
	v_lshl_add_u32 v3, v0, 2, 0x220
	ds_bpermute_b32 v1, v9, v1
	s_and_saveexec_b32 s5, s1
	s_cbranch_execz .LBB213_283
; %bb.280:
	v_lshl_add_u32 v10, v0, 2, 0x220
	v_mov_b32_e32 v9, 0
	v_mov_b32_e32 v11, v0
	s_mov_b32 s8, 0
	.p2align	6
.LBB213_281:                            ; =>This Inner Loop Header: Depth=1
	ds_load_b32 v12, v10
	v_add_nc_u32_e32 v11, 0x80, v11
	s_delay_alu instid0(VALU_DEP_1) | instskip(NEXT) | instid1(VALU_DEP_1)
	v_cmp_le_i32_e64 s3, s4, v11
	s_or_b32 s8, s3, s8
	s_waitcnt lgkmcnt(0)
	v_sub_f32_e32 v12, v12, v1
	s_delay_alu instid0(VALU_DEP_1) | instskip(NEXT) | instid1(VALU_DEP_1)
	v_mul_f32_e32 v12, 0x3fb8aa3b, v12
	v_exp_f32_e32 v12, v12
	ds_store_b32 v10, v12
	v_dual_add_f32 v9, v9, v12 :: v_dual_add_nc_u32 v10, 0x200, v10
	s_and_not1_b32 exec_lo, exec_lo, s8
	s_cbranch_execnz .LBB213_281
; %bb.282:
	s_or_b32 exec_lo, exec_lo, s8
.LBB213_283:
	s_delay_alu instid0(SALU_CYCLE_1)
	s_or_b32 exec_lo, exec_lo, s5
	ds_bpermute_b32 v2, v2, v9
	s_waitcnt lgkmcnt(0)
	v_add_f32_e32 v2, v9, v2
	ds_bpermute_b32 v4, v4, v2
	s_waitcnt lgkmcnt(0)
	v_add_f32_e32 v2, v2, v4
	;; [unrolled: 3-line block ×5, first 2 shown]
	s_and_saveexec_b32 s3, vcc_lo
	s_cbranch_execz .LBB213_285
; %bb.284:
	ds_store_b32 v5, v2 offset:528
.LBB213_285:
	s_or_b32 exec_lo, exec_lo, s3
	s_waitcnt lgkmcnt(0)
	s_barrier
	buffer_gl0_inv
	s_and_saveexec_b32 s3, s0
	s_cbranch_execz .LBB213_287
; %bb.286:
	ds_load_b32 v2, v6 offset:528
.LBB213_287:
	s_or_b32 exec_lo, exec_lo, s3
	s_waitcnt lgkmcnt(0)
	ds_bpermute_b32 v4, v8, v2
	s_waitcnt lgkmcnt(0)
	v_add_f32_e32 v2, v2, v4
	ds_bpermute_b32 v4, v22, v2
	s_waitcnt lgkmcnt(0)
	v_add_f32_e32 v2, v2, v4
	v_mov_b32_e32 v4, 0
	ds_bpermute_b32 v2, v4, v2
	s_and_saveexec_b32 s0, s1
	s_cbranch_execz .LBB213_290
; %bb.288:
	s_waitcnt lgkmcnt(0)
	v_add_f32_e32 v4, 0x358637bd, v2
	s_mov_b32 s1, 0
	s_delay_alu instid0(VALU_DEP_1) | instskip(SKIP_1) | instid1(VALU_DEP_2)
	v_div_scale_f32 v5, null, v4, v4, 1.0
	v_div_scale_f32 v8, vcc_lo, 1.0, v4, 1.0
	v_rcp_f32_e32 v6, v5
	s_waitcnt_depctr 0xfff
	v_fma_f32 v7, -v5, v6, 1.0
	s_delay_alu instid0(VALU_DEP_1) | instskip(NEXT) | instid1(VALU_DEP_1)
	v_fmac_f32_e32 v6, v7, v6
	v_mul_f32_e32 v7, v8, v6
	s_delay_alu instid0(VALU_DEP_1) | instskip(NEXT) | instid1(VALU_DEP_1)
	v_fma_f32 v9, -v5, v7, v8
	v_fmac_f32_e32 v7, v9, v6
	s_delay_alu instid0(VALU_DEP_1) | instskip(NEXT) | instid1(VALU_DEP_1)
	v_fma_f32 v5, -v5, v7, v8
	v_div_fmas_f32 v5, v5, v6, v7
	s_delay_alu instid0(VALU_DEP_1)
	v_div_fixup_f32 v4, v5, v4, 1.0
	v_mov_b32_e32 v5, v0
.LBB213_289:                            ; =>This Inner Loop Header: Depth=1
	ds_load_b32 v6, v3
	s_waitcnt lgkmcnt(0)
	v_dual_mul_f32 v6, v4, v6 :: v_dual_add_nc_u32 v5, 0x80, v5
	s_delay_alu instid0(VALU_DEP_1) | instskip(SKIP_3) | instid1(SALU_CYCLE_1)
	v_cmp_le_i32_e32 vcc_lo, s4, v5
	ds_store_b32 v3, v6
	v_add_nc_u32_e32 v3, 0x200, v3
	s_or_b32 s1, vcc_lo, s1
	s_and_not1_b32 exec_lo, exec_lo, s1
	s_cbranch_execnz .LBB213_289
.LBB213_290:
	s_or_b32 exec_lo, exec_lo, s0
	s_mul_i32 s0, s11, s14
	s_waitcnt lgkmcnt(0)
	s_mul_i32 s4, s0, s13
	s_mov_b32 s0, exec_lo
	s_barrier
	buffer_gl0_inv
	v_cmpx_eq_u32_e32 0, v0
	s_cbranch_execz .LBB213_292
; %bb.291:
	s_ashr_i32 s5, s4, 31
	s_mul_i32 s44, s11, s28
	s_lshl_b64 s[42:43], s[4:5], 2
	v_mov_b32_e32 v3, 0
	s_add_u32 s1, s22, s42
	s_addc_u32 s3, s23, s43
	s_ashr_i32 s45, s44, 31
	s_delay_alu instid0(SALU_CYCLE_1) | instskip(NEXT) | instid1(SALU_CYCLE_1)
	s_lshl_b64 s[22:23], s[44:45], 2
	s_add_u32 s1, s1, s22
	s_addc_u32 s3, s3, s23
	s_ashr_i32 s13, s12, 31
	s_delay_alu instid0(SALU_CYCLE_1) | instskip(NEXT) | instid1(SALU_CYCLE_1)
	s_lshl_b64 s[44:45], s[12:13], 2
	s_add_u32 s46, s1, s44
	s_addc_u32 s47, s3, s45
	s_add_u32 s1, s20, s42
	s_addc_u32 s3, s21, s43
	;; [unrolled: 2-line block ×4, first 2 shown]
	s_clause 0x1
	global_store_b32 v3, v1, s[46:47]
	global_store_b32 v3, v2, s[20:21]
.LBB213_292:
	s_or_b32 exec_lo, exec_lo, s0
	v_dual_mov_b32 v31, 0 :: v_dual_mov_b32 v26, 0
	v_dual_mov_b32 v28, 0 :: v_dual_and_b32 v23, 1, v0
	v_dual_mov_b32 v25, 0 :: v_dual_mov_b32 v30, 0
	v_dual_mov_b32 v27, 0 :: v_dual_mov_b32 v24, 0
	v_mov_b32_e32 v29, 0
	s_mov_b32 s8, 0
	s_and_saveexec_b32 s1, s2
	s_cbranch_execz .LBB213_570
; %bb.293:
	s_sub_i32 s5, s41, s17
	s_ashr_i32 s0, s10, 31
	s_add_u32 s14, s36, s10
	s_addc_u32 s0, s37, s0
	s_abs_i32 s10, s18
	v_dual_mov_b32 v27, 0 :: v_dual_and_b32 v4, 0x7c, v47
	v_cvt_f32_u32_e32 v1, s10
	s_sub_i32 s2, 0, s10
	v_dual_mov_b32 v24, 0 :: v_dual_lshlrev_b32 v5, 4, v23
	s_mov_b32 s13, s9
	s_delay_alu instid0(VALU_DEP_2)
	v_rcp_iflag_f32_e32 v3, v1
	v_lshlrev_b64 v[1:2], 2, v[33:34]
	v_add_co_u32 v7, s9, s14, v4
	s_add_i32 s38, s38, -1
	v_lshl_or_b32 v5, v45, 5, v5
	v_add_co_ci_u32_e64 v8, null, s0, 0, s9
	v_mov_b32_e32 v6, 0
	v_dual_mov_b32 v29, 0 :: v_dual_and_b32 v32, 4, v47
	s_delay_alu instid0(TRANS32_DEP_1) | instskip(SKIP_2) | instid1(VALU_DEP_3)
	v_dual_mul_f32 v3, 0x4f7ffffe, v3 :: v_dual_mov_b32 v30, 0
	v_dual_mov_b32 v25, 0 :: v_dual_mov_b32 v26, 0
	v_mov_b32_e32 v31, 0
	v_cvt_u32_f32_e32 v3, v3
	v_add_nc_u32_e32 v34, 0x220, v5
	s_brev_b32 s9, 1
	s_mov_b32 s14, s8
	s_delay_alu instid0(VALU_DEP_2) | instskip(SKIP_1) | instid1(SALU_CYCLE_1)
	v_mul_lo_u32 v9, s2, v3
	s_lshl_b64 s[2:3], s[34:35], 2
	s_add_u32 s0, s30, s2
	s_addc_u32 s2, s31, s3
	s_mov_b32 s3, 0x7f800001
	s_delay_alu instid0(VALU_DEP_1) | instskip(SKIP_3) | instid1(VALU_DEP_4)
	v_mul_hi_u32 v4, v3, v9
	v_add_co_u32 v9, vcc_lo, s0, v1
	v_mov_b32_e32 v28, 0
	v_add_co_ci_u32_e32 v10, vcc_lo, s2, v2, vcc_lo
	v_add_nc_u32_e32 v35, v3, v4
	s_branch .LBB213_296
.LBB213_294:                            ;   in Loop: Header=BB213_296 Depth=1
	s_or_b32 exec_lo, exec_lo, s0
	v_mul_f32_e32 v15, v2, v65
	v_mul_f32_e32 v14, v2, v67
	;; [unrolled: 1-line block ×4, first 2 shown]
	s_delay_alu instid0(VALU_DEP_4) | instskip(NEXT) | instid1(VALU_DEP_4)
	v_dual_fmac_f32 v15, v1, v64 :: v_dual_mul_f32 v16, v2, v61
	v_fmac_f32_e32 v14, v1, v66
	s_delay_alu instid0(VALU_DEP_4) | instskip(NEXT) | instid1(VALU_DEP_4)
	v_fmac_f32_e32 v17, v1, v56
	v_fmac_f32_e32 v39, v1, v38
	s_delay_alu instid0(VALU_DEP_4) | instskip(SKIP_3) | instid1(VALU_DEP_4)
	v_dual_fmac_f32 v15, v3, v63 :: v_dual_fmac_f32 v16, v1, v60
	v_mul_f32_e32 v18, v2, v53
	v_fmac_f32_e32 v14, v3, v20
	v_fmac_f32_e32 v17, v3, v55
	v_dual_fmac_f32 v15, v4, v62 :: v_dual_fmac_f32 v16, v3, v59
	v_mul_f32_e32 v20, v2, v49
	s_delay_alu instid0(VALU_DEP_3) | instskip(SKIP_1) | instid1(VALU_DEP_4)
	v_dual_mul_f32 v2, v2, v13 :: v_dual_fmac_f32 v17, v4, v54
	v_fmac_f32_e32 v14, v4, v19
	v_dual_fmac_f32 v16, v4, v58 :: v_dual_add_f32 v25, v25, v15
	s_delay_alu instid0(VALU_DEP_3) | instskip(SKIP_1) | instid1(VALU_DEP_4)
	v_fmac_f32_e32 v2, v1, v12
	v_fmac_f32_e32 v20, v1, v48
	v_dual_add_f32 v26, v26, v14 :: v_dual_fmac_f32 v39, v3, v37
	s_delay_alu instid0(VALU_DEP_4) | instskip(NEXT) | instid1(VALU_DEP_2)
	v_dual_add_f32 v28, v28, v16 :: v_dual_add_f32 v27, v27, v17
	v_dual_fmac_f32 v2, v3, v11 :: v_dual_fmac_f32 v39, v4, v36
	s_delay_alu instid0(VALU_DEP_1) | instskip(SKIP_1) | instid1(VALU_DEP_2)
	v_fmac_f32_e32 v2, v4, v5
	v_fmac_f32_e32 v18, v1, v52
	v_dual_add_f32 v24, v24, v39 :: v_dual_add_f32 v31, v31, v2
	s_delay_alu instid0(VALU_DEP_2) | instskip(NEXT) | instid1(VALU_DEP_1)
	v_fmac_f32_e32 v18, v3, v51
	v_fmac_f32_e32 v18, v4, v50
	s_delay_alu instid0(VALU_DEP_1) | instskip(NEXT) | instid1(VALU_DEP_1)
	v_dual_fmac_f32 v20, v3, v47 :: v_dual_add_f32 v29, v29, v18
	v_fmac_f32_e32 v20, v4, v44
	s_delay_alu instid0(VALU_DEP_1)
	v_add_f32_e32 v30, v30, v20
.LBB213_295:                            ;   in Loop: Header=BB213_296 Depth=1
	s_or_b32 exec_lo, exec_lo, s17
	v_add_nc_u32_e32 v33, 4, v33
	v_add_co_u32 v9, s0, v9, 16
	s_delay_alu instid0(VALU_DEP_1) | instskip(NEXT) | instid1(VALU_DEP_3)
	v_add_co_ci_u32_e64 v10, s0, 0, v10, s0
	v_cmp_le_i32_e32 vcc_lo, s16, v33
	v_add_nc_u32_e32 v46, 32, v46
	v_add_nc_u32_e32 v34, 0x80, v34
	s_or_b32 s14, vcc_lo, s14
	s_delay_alu instid0(SALU_CYCLE_1)
	s_and_not1_b32 exec_lo, exec_lo, s14
	s_cbranch_execz .LBB213_569
.LBB213_296:                            ; =>This Inner Loop Header: Depth=1
	v_sub_nc_u32_e32 v1, 0, v46
	s_delay_alu instid0(VALU_DEP_1) | instskip(NEXT) | instid1(VALU_DEP_1)
	v_max_i32_e32 v1, v46, v1
	v_mul_hi_u32 v2, v1, s29
	s_delay_alu instid0(VALU_DEP_1) | instskip(NEXT) | instid1(VALU_DEP_1)
	v_mul_lo_u32 v3, v2, s25
	v_sub_nc_u32_e32 v1, v1, v3
	v_add_nc_u32_e32 v3, 1, v2
	s_delay_alu instid0(VALU_DEP_2) | instskip(SKIP_1) | instid1(VALU_DEP_2)
	v_subrev_nc_u32_e32 v4, s25, v1
	v_cmp_le_u32_e32 vcc_lo, s25, v1
	v_dual_cndmask_b32 v2, v2, v3 :: v_dual_cndmask_b32 v1, v1, v4
	v_ashrrev_i32_e32 v3, 31, v46
	s_delay_alu instid0(VALU_DEP_2) | instskip(NEXT) | instid1(VALU_DEP_3)
	v_add_nc_u32_e32 v4, 1, v2
	v_cmp_le_u32_e32 vcc_lo, s25, v1
	s_delay_alu instid0(VALU_DEP_3) | instskip(NEXT) | instid1(VALU_DEP_3)
	v_xor_b32_e32 v3, s19, v3
	v_cndmask_b32_e32 v1, v2, v4, vcc_lo
	s_delay_alu instid0(VALU_DEP_1) | instskip(NEXT) | instid1(VALU_DEP_1)
	v_xor_b32_e32 v1, v1, v3
	v_sub_nc_u32_e32 v1, v1, v3
	s_delay_alu instid0(VALU_DEP_1) | instskip(SKIP_1) | instid1(VALU_DEP_2)
	v_add_nc_u32_e32 v2, s33, v1
	v_cmp_lt_i32_e64 s0, s5, v1
	v_sub_nc_u32_e32 v3, 0, v2
	s_delay_alu instid0(VALU_DEP_1) | instskip(NEXT) | instid1(VALU_DEP_1)
	v_max_i32_e32 v3, v2, v3
	v_mul_hi_u32 v4, v3, v35
	s_delay_alu instid0(VALU_DEP_1) | instskip(NEXT) | instid1(VALU_DEP_1)
	v_mul_lo_u32 v4, v4, s10
	v_sub_nc_u32_e32 v3, v3, v4
	s_delay_alu instid0(VALU_DEP_1) | instskip(SKIP_1) | instid1(VALU_DEP_2)
	v_subrev_nc_u32_e32 v4, s10, v3
	v_cmp_le_u32_e32 vcc_lo, s10, v3
	v_cndmask_b32_e32 v3, v3, v4, vcc_lo
	v_ashrrev_i32_e32 v2, 31, v2
	s_delay_alu instid0(VALU_DEP_2) | instskip(SKIP_1) | instid1(VALU_DEP_2)
	v_subrev_nc_u32_e32 v4, s10, v3
	v_cmp_le_u32_e32 vcc_lo, s10, v3
	v_cndmask_b32_e32 v3, v3, v4, vcc_lo
	s_delay_alu instid0(VALU_DEP_1) | instskip(NEXT) | instid1(VALU_DEP_1)
	v_xor_b32_e32 v3, v3, v2
	v_sub_nc_u32_e32 v2, v3, v2
	s_delay_alu instid0(VALU_DEP_1) | instskip(SKIP_1) | instid1(SALU_CYCLE_1)
	v_cmp_eq_u32_e32 vcc_lo, 0, v2
	s_or_b32 s0, vcc_lo, s0
	s_and_saveexec_b32 s17, s0
	s_cbranch_execz .LBB213_295
; %bb.297:                              ;   in Loop: Header=BB213_296 Depth=1
	global_load_b32 v1, v[9:10], off
	s_load_b32 s18, s[6:7], 0x0
	v_mov_b32_e32 v15, 0
	s_mov_b32 s0, exec_lo
	s_waitcnt vmcnt(0)
	v_mad_i64_i32 v[11:12], null, v1, s13, v[7:8]
	ds_load_b128 v[1:4], v34
	global_load_b32 v36, v[11:12], off
	s_waitcnt vmcnt(0)
	v_dual_mov_b32 v16, 0 :: v_dual_and_b32 v5, 0xff, v36
	s_delay_alu instid0(VALU_DEP_1) | instskip(NEXT) | instid1(VALU_DEP_2)
	v_dual_mov_b32 v13, v15 :: v_dual_mov_b32 v14, v16
	v_cmpx_ne_u16_e32 0, v5
	s_cbranch_execz .LBB213_305
; %bb.298:                              ;   in Loop: Header=BB213_296 Depth=1
	v_bfrev_b32_e32 v13, 1
	v_mov_b32_e32 v14, 0
	s_mov_b32 s2, exec_lo
	v_cmpx_ne_u16_e32 0x80, v5
	s_cbranch_execz .LBB213_304
; %bb.299:                              ;   in Loop: Header=BB213_296 Depth=1
	v_mov_b32_e32 v13, 0x7f800001
	v_dual_mov_b32 v14, 0 :: v_dual_and_b32 v17, 0x7f, v36
	s_mov_b32 s20, exec_lo
	s_delay_alu instid0(VALU_DEP_1)
	v_cmpx_ne_u32_e32 0x7f, v17
	s_cbranch_execz .LBB213_303
; %bb.300:                              ;   in Loop: Header=BB213_296 Depth=1
	v_and_b32_e32 v5, 7, v36
	v_lshrrev_b32_e32 v13, 3, v17
	s_mov_b32 s21, exec_lo
	v_cmpx_gt_u32_e32 8, v17
; %bb.301:                              ;   in Loop: Header=BB213_296 Depth=1
	s_delay_alu instid0(VALU_DEP_3) | instskip(NEXT) | instid1(VALU_DEP_1)
	v_clz_i32_u32_e32 v13, v5
	v_min_u32_e32 v13, 32, v13
	s_delay_alu instid0(VALU_DEP_1) | instskip(SKIP_1) | instid1(VALU_DEP_2)
	v_subrev_nc_u32_e32 v14, 28, v13
	v_sub_nc_u32_e32 v13, 29, v13
	v_lshlrev_b64 v[17:18], v14, v[5:6]
	s_delay_alu instid0(VALU_DEP_1)
	v_and_b32_e32 v5, 7, v17
; %bb.302:                              ;   in Loop: Header=BB213_296 Depth=1
	s_or_b32 exec_lo, exec_lo, s21
	v_lshlrev_b32_e32 v14, 24, v36
	s_delay_alu instid0(VALU_DEP_2) | instskip(SKIP_1) | instid1(VALU_DEP_3)
	v_lshlrev_b32_e32 v5, 20, v5
	v_lshl_add_u32 v13, v13, 23, 0x3c000000
	v_and_b32_e32 v14, 0x80000000, v14
	s_delay_alu instid0(VALU_DEP_1) | instskip(NEXT) | instid1(VALU_DEP_1)
	v_or3_b32 v5, v5, v14, v13
	v_dual_mov_b32 v14, v6 :: v_dual_mov_b32 v13, v5
.LBB213_303:                            ;   in Loop: Header=BB213_296 Depth=1
	s_or_b32 exec_lo, exec_lo, s20
.LBB213_304:                            ;   in Loop: Header=BB213_296 Depth=1
	s_delay_alu instid0(SALU_CYCLE_1)
	s_or_b32 exec_lo, exec_lo, s2
.LBB213_305:                            ;   in Loop: Header=BB213_296 Depth=1
	s_delay_alu instid0(SALU_CYCLE_1) | instskip(SKIP_2) | instid1(VALU_DEP_1)
	s_or_b32 exec_lo, exec_lo, s0
	v_lshrrev_b16 v5, 8, v36
	s_mov_b32 s0, exec_lo
	v_cmpx_ne_u16_e32 0, v5
	s_cbranch_execz .LBB213_313
; %bb.306:                              ;   in Loop: Header=BB213_296 Depth=1
	v_dual_mov_b32 v16, s9 :: v_dual_mov_b32 v15, s8
	s_mov_b32 s20, exec_lo
	v_cmpx_ne_u16_e32 0x80, v5
	s_cbranch_execz .LBB213_312
; %bb.307:                              ;   in Loop: Header=BB213_296 Depth=1
	s_mov_b32 s2, s8
	v_dual_mov_b32 v16, s3 :: v_dual_and_b32 v5, 0xffff, v5
	v_mov_b32_e32 v15, s2
	s_mov_b32 s2, exec_lo
	s_delay_alu instid0(VALU_DEP_2) | instskip(NEXT) | instid1(VALU_DEP_1)
	v_and_b32_e32 v17, 0x7f, v5
	v_cmpx_ne_u32_e32 0x7f, v17
	s_cbranch_execz .LBB213_311
; %bb.308:                              ;   in Loop: Header=BB213_296 Depth=1
	v_and_b32_e32 v5, 7, v5
	v_lshrrev_b32_e32 v15, 3, v17
	s_mov_b32 s21, exec_lo
	v_cmpx_gt_u32_e32 8, v17
; %bb.309:                              ;   in Loop: Header=BB213_296 Depth=1
	s_delay_alu instid0(VALU_DEP_3) | instskip(NEXT) | instid1(VALU_DEP_1)
	v_clz_i32_u32_e32 v15, v5
	v_min_u32_e32 v15, 32, v15
	s_delay_alu instid0(VALU_DEP_1) | instskip(SKIP_1) | instid1(VALU_DEP_2)
	v_subrev_nc_u32_e32 v16, 28, v15
	v_sub_nc_u32_e32 v15, 29, v15
	v_lshlrev_b64 v[16:17], v16, v[5:6]
	s_delay_alu instid0(VALU_DEP_1)
	v_and_b32_e32 v5, 7, v16
; %bb.310:                              ;   in Loop: Header=BB213_296 Depth=1
	s_or_b32 exec_lo, exec_lo, s21
	v_lshlrev_b32_e32 v16, 16, v36
	s_delay_alu instid0(VALU_DEP_2) | instskip(SKIP_1) | instid1(VALU_DEP_3)
	v_lshlrev_b32_e32 v5, 20, v5
	v_lshl_add_u32 v15, v15, 23, 0x3c000000
	v_and_b32_e32 v16, 0x80000000, v16
	s_delay_alu instid0(VALU_DEP_1)
	v_or3_b32 v16, v5, v16, v15
	v_mov_b32_e32 v15, v6
.LBB213_311:                            ;   in Loop: Header=BB213_296 Depth=1
	s_or_b32 exec_lo, exec_lo, s2
.LBB213_312:                            ;   in Loop: Header=BB213_296 Depth=1
	s_delay_alu instid0(SALU_CYCLE_1)
	s_or_b32 exec_lo, exec_lo, s20
.LBB213_313:                            ;   in Loop: Header=BB213_296 Depth=1
	s_delay_alu instid0(SALU_CYCLE_1) | instskip(SKIP_4) | instid1(VALU_DEP_2)
	s_or_b32 exec_lo, exec_lo, s0
	v_mov_b32_e32 v19, 0
	v_lshrrev_b32_e32 v37, 16, v36
	v_mov_b32_e32 v20, 0
	s_mov_b32 s0, exec_lo
	v_and_b32_e32 v5, 0xff, v37
	s_delay_alu instid0(VALU_DEP_2) | instskip(NEXT) | instid1(VALU_DEP_2)
	v_dual_mov_b32 v17, v19 :: v_dual_mov_b32 v18, v20
	v_cmpx_ne_u16_e32 0, v5
	s_cbranch_execz .LBB213_321
; %bb.314:                              ;   in Loop: Header=BB213_296 Depth=1
	v_bfrev_b32_e32 v17, 1
	v_mov_b32_e32 v18, 0
	s_mov_b32 s2, exec_lo
	v_cmpx_ne_u16_e32 0x80, v5
	s_cbranch_execz .LBB213_320
; %bb.315:                              ;   in Loop: Header=BB213_296 Depth=1
	v_mov_b32_e32 v17, 0x7f800001
	v_bfe_u32 v38, v36, 16, 7
	v_mov_b32_e32 v18, 0
	s_mov_b32 s20, exec_lo
	s_delay_alu instid0(VALU_DEP_2)
	v_cmpx_ne_u32_e32 0x7f, v38
	s_cbranch_execz .LBB213_319
; %bb.316:                              ;   in Loop: Header=BB213_296 Depth=1
	v_and_b32_e32 v5, 7, v37
	v_lshrrev_b32_e32 v17, 3, v38
	s_mov_b32 s21, exec_lo
	v_cmpx_gt_u32_e32 8, v38
; %bb.317:                              ;   in Loop: Header=BB213_296 Depth=1
	s_delay_alu instid0(VALU_DEP_3) | instskip(NEXT) | instid1(VALU_DEP_1)
	v_clz_i32_u32_e32 v17, v5
	v_min_u32_e32 v17, 32, v17
	s_delay_alu instid0(VALU_DEP_1) | instskip(SKIP_1) | instid1(VALU_DEP_2)
	v_subrev_nc_u32_e32 v18, 28, v17
	v_sub_nc_u32_e32 v17, 29, v17
	v_lshlrev_b64 v[38:39], v18, v[5:6]
	s_delay_alu instid0(VALU_DEP_1)
	v_and_b32_e32 v5, 7, v38
; %bb.318:                              ;   in Loop: Header=BB213_296 Depth=1
	s_or_b32 exec_lo, exec_lo, s21
	v_lshlrev_b32_e32 v18, 24, v37
	s_delay_alu instid0(VALU_DEP_2) | instskip(SKIP_1) | instid1(VALU_DEP_3)
	v_lshlrev_b32_e32 v5, 20, v5
	v_lshl_add_u32 v17, v17, 23, 0x3c000000
	v_and_b32_e32 v18, 0x80000000, v18
	s_delay_alu instid0(VALU_DEP_1) | instskip(NEXT) | instid1(VALU_DEP_1)
	v_or3_b32 v5, v5, v18, v17
	v_dual_mov_b32 v18, v6 :: v_dual_mov_b32 v17, v5
.LBB213_319:                            ;   in Loop: Header=BB213_296 Depth=1
	s_or_b32 exec_lo, exec_lo, s20
.LBB213_320:                            ;   in Loop: Header=BB213_296 Depth=1
	s_delay_alu instid0(SALU_CYCLE_1)
	s_or_b32 exec_lo, exec_lo, s2
.LBB213_321:                            ;   in Loop: Header=BB213_296 Depth=1
	s_delay_alu instid0(SALU_CYCLE_1) | instskip(NEXT) | instid1(SALU_CYCLE_1)
	s_or_b32 exec_lo, exec_lo, s0
	s_mov_b32 s0, exec_lo
	v_cmpx_lt_u32_e32 0xffffff, v36
	s_cbranch_execz .LBB213_329
; %bb.322:                              ;   in Loop: Header=BB213_296 Depth=1
	v_lshrrev_b32_e32 v37, 24, v36
	v_dual_mov_b32 v20, s9 :: v_dual_mov_b32 v19, s8
	s_mov_b32 s20, exec_lo
	s_delay_alu instid0(VALU_DEP_2)
	v_cmpx_ne_u32_e32 0x80, v37
	s_cbranch_execz .LBB213_328
; %bb.323:                              ;   in Loop: Header=BB213_296 Depth=1
	s_mov_b32 s2, s8
	v_bfe_u32 v36, v36, 24, 7
	v_dual_mov_b32 v20, s3 :: v_dual_mov_b32 v19, s2
	s_mov_b32 s2, exec_lo
	s_delay_alu instid0(VALU_DEP_2)
	v_cmpx_ne_u32_e32 0x7f, v36
	s_cbranch_execz .LBB213_327
; %bb.324:                              ;   in Loop: Header=BB213_296 Depth=1
	v_and_b32_e32 v5, 7, v37
	v_lshrrev_b32_e32 v19, 3, v36
	s_mov_b32 s21, exec_lo
	v_cmpx_gt_u32_e32 8, v36
; %bb.325:                              ;   in Loop: Header=BB213_296 Depth=1
	s_delay_alu instid0(VALU_DEP_3) | instskip(NEXT) | instid1(VALU_DEP_1)
	v_clz_i32_u32_e32 v19, v5
	v_min_u32_e32 v19, 32, v19
	s_delay_alu instid0(VALU_DEP_1) | instskip(SKIP_1) | instid1(VALU_DEP_2)
	v_subrev_nc_u32_e32 v20, 28, v19
	v_sub_nc_u32_e32 v19, 29, v19
	v_lshlrev_b64 v[38:39], v20, v[5:6]
	s_delay_alu instid0(VALU_DEP_1)
	v_and_b32_e32 v5, 7, v38
; %bb.326:                              ;   in Loop: Header=BB213_296 Depth=1
	s_or_b32 exec_lo, exec_lo, s21
	v_lshlrev_b32_e32 v20, 24, v37
	s_delay_alu instid0(VALU_DEP_2) | instskip(SKIP_1) | instid1(VALU_DEP_3)
	v_lshlrev_b32_e32 v5, 20, v5
	v_lshl_add_u32 v19, v19, 23, 0x3c000000
	v_and_b32_e32 v20, 0x80000000, v20
	s_delay_alu instid0(VALU_DEP_1)
	v_or3_b32 v20, v5, v20, v19
	v_mov_b32_e32 v19, v6
.LBB213_327:                            ;   in Loop: Header=BB213_296 Depth=1
	s_or_b32 exec_lo, exec_lo, s2
.LBB213_328:                            ;   in Loop: Header=BB213_296 Depth=1
	s_delay_alu instid0(SALU_CYCLE_1)
	s_or_b32 exec_lo, exec_lo, s20
.LBB213_329:                            ;   in Loop: Header=BB213_296 Depth=1
	s_delay_alu instid0(SALU_CYCLE_1)
	s_or_b32 exec_lo, exec_lo, s0
	v_or_b32_e32 v5, v16, v14
	v_add_nc_u32_e32 v40, v32, v46
	v_or_b32_e32 v13, v15, v13
	v_or_b32_e32 v14, v20, v18
	;; [unrolled: 1-line block ×3, first 2 shown]
	s_waitcnt lgkmcnt(0)
	v_mul_f32_e32 v39, s18, v5
	v_cmp_eq_u32_e32 vcc_lo, s38, v33
	v_mul_f32_e32 v38, s18, v13
	v_dual_mul_f32 v36, s18, v14 :: v_dual_add_nc_u32 v43, 1, v40
	v_dual_mul_f32 v37, s18, v15 :: v_dual_add_nc_u32 v42, 2, v40
	v_add_nc_u32_e32 v41, 3, v40
	s_and_saveexec_b32 s2, vcc_lo
; %bb.330:                              ;   in Loop: Header=BB213_296 Depth=1
	v_cmp_gt_i32_e64 s0, s15, v40
	s_delay_alu instid0(VALU_DEP_1) | instskip(SKIP_1) | instid1(VALU_DEP_1)
	v_cndmask_b32_e64 v38, 0, v38, s0
	v_cmp_gt_i32_e64 s0, s15, v43
	v_cndmask_b32_e64 v39, 0, v39, s0
	v_cmp_gt_i32_e64 s0, s15, v42
	s_delay_alu instid0(VALU_DEP_1) | instskip(SKIP_1) | instid1(VALU_DEP_1)
	v_cndmask_b32_e64 v37, 0, v37, s0
	v_cmp_gt_i32_e64 s0, s15, v41
	v_cndmask_b32_e64 v36, 0, v36, s0
; %bb.331:                              ;   in Loop: Header=BB213_296 Depth=1
	s_or_b32 exec_lo, exec_lo, s2
	global_load_b32 v44, v[11:12], off offset:128
	v_mov_b32_e32 v15, 0
	v_mov_b32_e32 v16, 0
	s_mov_b32 s2, exec_lo
	s_waitcnt vmcnt(0)
	v_and_b32_e32 v5, 0xff, v44
	s_delay_alu instid0(VALU_DEP_2) | instskip(NEXT) | instid1(VALU_DEP_2)
	v_dual_mov_b32 v13, v15 :: v_dual_mov_b32 v14, v16
	v_cmpx_ne_u16_e32 0, v5
	s_cbranch_execz .LBB213_339
; %bb.332:                              ;   in Loop: Header=BB213_296 Depth=1
	v_bfrev_b32_e32 v13, 1
	v_mov_b32_e32 v14, 0
	s_mov_b32 s20, exec_lo
	v_cmpx_ne_u16_e32 0x80, v5
	s_cbranch_execz .LBB213_338
; %bb.333:                              ;   in Loop: Header=BB213_296 Depth=1
	v_mov_b32_e32 v13, 0x7f800001
	v_dual_mov_b32 v14, 0 :: v_dual_and_b32 v17, 0x7f, v44
	s_mov_b32 s21, exec_lo
	s_delay_alu instid0(VALU_DEP_1)
	v_cmpx_ne_u32_e32 0x7f, v17
	s_cbranch_execz .LBB213_337
; %bb.334:                              ;   in Loop: Header=BB213_296 Depth=1
	v_and_b32_e32 v5, 7, v44
	v_lshrrev_b32_e32 v13, 3, v17
	s_mov_b32 s22, exec_lo
	v_cmpx_gt_u32_e32 8, v17
; %bb.335:                              ;   in Loop: Header=BB213_296 Depth=1
	s_delay_alu instid0(VALU_DEP_3) | instskip(NEXT) | instid1(VALU_DEP_1)
	v_clz_i32_u32_e32 v13, v5
	v_min_u32_e32 v13, 32, v13
	s_delay_alu instid0(VALU_DEP_1) | instskip(SKIP_1) | instid1(VALU_DEP_2)
	v_subrev_nc_u32_e32 v14, 28, v13
	v_sub_nc_u32_e32 v13, 29, v13
	v_lshlrev_b64 v[17:18], v14, v[5:6]
	s_delay_alu instid0(VALU_DEP_1)
	v_and_b32_e32 v5, 7, v17
; %bb.336:                              ;   in Loop: Header=BB213_296 Depth=1
	s_or_b32 exec_lo, exec_lo, s22
	v_lshlrev_b32_e32 v14, 24, v44
	s_delay_alu instid0(VALU_DEP_2) | instskip(SKIP_1) | instid1(VALU_DEP_3)
	v_lshlrev_b32_e32 v5, 20, v5
	v_lshl_add_u32 v13, v13, 23, 0x3c000000
	v_and_b32_e32 v14, 0x80000000, v14
	s_delay_alu instid0(VALU_DEP_1) | instskip(NEXT) | instid1(VALU_DEP_1)
	v_or3_b32 v5, v5, v14, v13
	v_dual_mov_b32 v14, v6 :: v_dual_mov_b32 v13, v5
.LBB213_337:                            ;   in Loop: Header=BB213_296 Depth=1
	s_or_b32 exec_lo, exec_lo, s21
.LBB213_338:                            ;   in Loop: Header=BB213_296 Depth=1
	s_delay_alu instid0(SALU_CYCLE_1)
	s_or_b32 exec_lo, exec_lo, s20
.LBB213_339:                            ;   in Loop: Header=BB213_296 Depth=1
	s_delay_alu instid0(SALU_CYCLE_1) | instskip(SKIP_2) | instid1(VALU_DEP_1)
	s_or_b32 exec_lo, exec_lo, s2
	v_lshrrev_b16 v5, 8, v44
	s_mov_b32 s20, exec_lo
	v_cmpx_ne_u16_e32 0, v5
	s_cbranch_execz .LBB213_347
; %bb.340:                              ;   in Loop: Header=BB213_296 Depth=1
	v_dual_mov_b32 v16, s9 :: v_dual_mov_b32 v15, s8
	s_mov_b32 s21, exec_lo
	v_cmpx_ne_u16_e32 0x80, v5
	s_cbranch_execz .LBB213_346
; %bb.341:                              ;   in Loop: Header=BB213_296 Depth=1
	s_mov_b32 s2, s8
	v_dual_mov_b32 v16, s3 :: v_dual_and_b32 v5, 0xffff, v5
	v_mov_b32_e32 v15, s2
	s_mov_b32 s2, exec_lo
	s_delay_alu instid0(VALU_DEP_2) | instskip(NEXT) | instid1(VALU_DEP_1)
	v_and_b32_e32 v17, 0x7f, v5
	v_cmpx_ne_u32_e32 0x7f, v17
	s_cbranch_execz .LBB213_345
; %bb.342:                              ;   in Loop: Header=BB213_296 Depth=1
	v_and_b32_e32 v5, 7, v5
	v_lshrrev_b32_e32 v15, 3, v17
	s_mov_b32 s22, exec_lo
	v_cmpx_gt_u32_e32 8, v17
; %bb.343:                              ;   in Loop: Header=BB213_296 Depth=1
	s_delay_alu instid0(VALU_DEP_3) | instskip(NEXT) | instid1(VALU_DEP_1)
	v_clz_i32_u32_e32 v15, v5
	v_min_u32_e32 v15, 32, v15
	s_delay_alu instid0(VALU_DEP_1) | instskip(SKIP_1) | instid1(VALU_DEP_2)
	v_subrev_nc_u32_e32 v16, 28, v15
	v_sub_nc_u32_e32 v15, 29, v15
	v_lshlrev_b64 v[16:17], v16, v[5:6]
	s_delay_alu instid0(VALU_DEP_1)
	v_and_b32_e32 v5, 7, v16
; %bb.344:                              ;   in Loop: Header=BB213_296 Depth=1
	s_or_b32 exec_lo, exec_lo, s22
	v_lshlrev_b32_e32 v16, 16, v44
	s_delay_alu instid0(VALU_DEP_2) | instskip(SKIP_1) | instid1(VALU_DEP_3)
	v_lshlrev_b32_e32 v5, 20, v5
	v_lshl_add_u32 v15, v15, 23, 0x3c000000
	v_and_b32_e32 v16, 0x80000000, v16
	s_delay_alu instid0(VALU_DEP_1)
	v_or3_b32 v16, v5, v16, v15
	v_mov_b32_e32 v15, v6
.LBB213_345:                            ;   in Loop: Header=BB213_296 Depth=1
	s_or_b32 exec_lo, exec_lo, s2
.LBB213_346:                            ;   in Loop: Header=BB213_296 Depth=1
	s_delay_alu instid0(SALU_CYCLE_1)
	s_or_b32 exec_lo, exec_lo, s21
.LBB213_347:                            ;   in Loop: Header=BB213_296 Depth=1
	s_delay_alu instid0(SALU_CYCLE_1) | instskip(SKIP_4) | instid1(VALU_DEP_2)
	s_or_b32 exec_lo, exec_lo, s20
	v_mov_b32_e32 v19, 0
	v_lshrrev_b32_e32 v47, 16, v44
	v_mov_b32_e32 v20, 0
	s_mov_b32 s2, exec_lo
	v_and_b32_e32 v5, 0xff, v47
	s_delay_alu instid0(VALU_DEP_2) | instskip(NEXT) | instid1(VALU_DEP_2)
	v_dual_mov_b32 v17, v19 :: v_dual_mov_b32 v18, v20
	v_cmpx_ne_u16_e32 0, v5
	s_cbranch_execz .LBB213_355
; %bb.348:                              ;   in Loop: Header=BB213_296 Depth=1
	v_bfrev_b32_e32 v17, 1
	v_mov_b32_e32 v18, 0
	s_mov_b32 s20, exec_lo
	v_cmpx_ne_u16_e32 0x80, v5
	s_cbranch_execz .LBB213_354
; %bb.349:                              ;   in Loop: Header=BB213_296 Depth=1
	v_mov_b32_e32 v17, 0x7f800001
	v_bfe_u32 v48, v44, 16, 7
	v_mov_b32_e32 v18, 0
	s_mov_b32 s21, exec_lo
	s_delay_alu instid0(VALU_DEP_2)
	v_cmpx_ne_u32_e32 0x7f, v48
	s_cbranch_execz .LBB213_353
; %bb.350:                              ;   in Loop: Header=BB213_296 Depth=1
	v_and_b32_e32 v5, 7, v47
	v_lshrrev_b32_e32 v17, 3, v48
	s_mov_b32 s22, exec_lo
	v_cmpx_gt_u32_e32 8, v48
; %bb.351:                              ;   in Loop: Header=BB213_296 Depth=1
	s_delay_alu instid0(VALU_DEP_3) | instskip(NEXT) | instid1(VALU_DEP_1)
	v_clz_i32_u32_e32 v17, v5
	v_min_u32_e32 v17, 32, v17
	s_delay_alu instid0(VALU_DEP_1) | instskip(SKIP_1) | instid1(VALU_DEP_2)
	v_subrev_nc_u32_e32 v18, 28, v17
	v_sub_nc_u32_e32 v17, 29, v17
	v_lshlrev_b64 v[48:49], v18, v[5:6]
	s_delay_alu instid0(VALU_DEP_1)
	v_and_b32_e32 v5, 7, v48
; %bb.352:                              ;   in Loop: Header=BB213_296 Depth=1
	s_or_b32 exec_lo, exec_lo, s22
	v_lshlrev_b32_e32 v18, 24, v47
	s_delay_alu instid0(VALU_DEP_2) | instskip(SKIP_1) | instid1(VALU_DEP_3)
	v_lshlrev_b32_e32 v5, 20, v5
	v_lshl_add_u32 v17, v17, 23, 0x3c000000
	v_and_b32_e32 v18, 0x80000000, v18
	s_delay_alu instid0(VALU_DEP_1) | instskip(NEXT) | instid1(VALU_DEP_1)
	v_or3_b32 v5, v5, v18, v17
	v_dual_mov_b32 v18, v6 :: v_dual_mov_b32 v17, v5
.LBB213_353:                            ;   in Loop: Header=BB213_296 Depth=1
	s_or_b32 exec_lo, exec_lo, s21
.LBB213_354:                            ;   in Loop: Header=BB213_296 Depth=1
	s_delay_alu instid0(SALU_CYCLE_1)
	s_or_b32 exec_lo, exec_lo, s20
.LBB213_355:                            ;   in Loop: Header=BB213_296 Depth=1
	s_delay_alu instid0(SALU_CYCLE_1) | instskip(NEXT) | instid1(SALU_CYCLE_1)
	s_or_b32 exec_lo, exec_lo, s2
	s_mov_b32 s20, exec_lo
	v_cmpx_lt_u32_e32 0xffffff, v44
	s_cbranch_execz .LBB213_363
; %bb.356:                              ;   in Loop: Header=BB213_296 Depth=1
	v_lshrrev_b32_e32 v47, 24, v44
	v_dual_mov_b32 v20, s9 :: v_dual_mov_b32 v19, s8
	s_mov_b32 s21, exec_lo
	s_delay_alu instid0(VALU_DEP_2)
	v_cmpx_ne_u32_e32 0x80, v47
	s_cbranch_execz .LBB213_362
; %bb.357:                              ;   in Loop: Header=BB213_296 Depth=1
	s_mov_b32 s2, s8
	v_bfe_u32 v44, v44, 24, 7
	v_dual_mov_b32 v20, s3 :: v_dual_mov_b32 v19, s2
	s_mov_b32 s2, exec_lo
	s_delay_alu instid0(VALU_DEP_2)
	v_cmpx_ne_u32_e32 0x7f, v44
	s_cbranch_execz .LBB213_361
; %bb.358:                              ;   in Loop: Header=BB213_296 Depth=1
	v_and_b32_e32 v5, 7, v47
	v_lshrrev_b32_e32 v19, 3, v44
	s_mov_b32 s22, exec_lo
	v_cmpx_gt_u32_e32 8, v44
; %bb.359:                              ;   in Loop: Header=BB213_296 Depth=1
	s_delay_alu instid0(VALU_DEP_3) | instskip(NEXT) | instid1(VALU_DEP_1)
	v_clz_i32_u32_e32 v19, v5
	v_min_u32_e32 v19, 32, v19
	s_delay_alu instid0(VALU_DEP_1) | instskip(SKIP_1) | instid1(VALU_DEP_2)
	v_subrev_nc_u32_e32 v20, 28, v19
	v_sub_nc_u32_e32 v19, 29, v19
	v_lshlrev_b64 v[48:49], v20, v[5:6]
	s_delay_alu instid0(VALU_DEP_1)
	v_and_b32_e32 v5, 7, v48
; %bb.360:                              ;   in Loop: Header=BB213_296 Depth=1
	s_or_b32 exec_lo, exec_lo, s22
	v_lshlrev_b32_e32 v20, 24, v47
	s_delay_alu instid0(VALU_DEP_2) | instskip(SKIP_1) | instid1(VALU_DEP_3)
	v_lshlrev_b32_e32 v5, 20, v5
	v_lshl_add_u32 v19, v19, 23, 0x3c000000
	v_and_b32_e32 v20, 0x80000000, v20
	s_delay_alu instid0(VALU_DEP_1)
	v_or3_b32 v20, v5, v20, v19
	v_mov_b32_e32 v19, v6
.LBB213_361:                            ;   in Loop: Header=BB213_296 Depth=1
	s_or_b32 exec_lo, exec_lo, s2
.LBB213_362:                            ;   in Loop: Header=BB213_296 Depth=1
	s_delay_alu instid0(SALU_CYCLE_1)
	s_or_b32 exec_lo, exec_lo, s21
.LBB213_363:                            ;   in Loop: Header=BB213_296 Depth=1
	s_delay_alu instid0(SALU_CYCLE_1)
	s_or_b32 exec_lo, exec_lo, s20
	v_or_b32_e32 v5, v16, v14
	v_or_b32_e32 v13, v15, v13
	;; [unrolled: 1-line block ×4, first 2 shown]
	s_mov_b32 s20, s18
	s_delay_alu instid0(VALU_DEP_2) | instid1(SALU_CYCLE_1)
	v_dual_mul_f32 v49, s20, v5 :: v_dual_mul_f32 v44, s20, v14
	s_delay_alu instid0(VALU_DEP_2)
	v_dual_mul_f32 v48, s18, v13 :: v_dual_mul_f32 v47, s18, v15
	s_and_saveexec_b32 s2, vcc_lo
; %bb.364:                              ;   in Loop: Header=BB213_296 Depth=1
	v_cmp_gt_i32_e64 s0, s15, v40
	s_delay_alu instid0(VALU_DEP_1) | instskip(SKIP_1) | instid1(VALU_DEP_1)
	v_cndmask_b32_e64 v48, 0, v48, s0
	v_cmp_gt_i32_e64 s0, s15, v43
	v_cndmask_b32_e64 v49, 0, v49, s0
	v_cmp_gt_i32_e64 s0, s15, v42
	s_delay_alu instid0(VALU_DEP_1) | instskip(SKIP_1) | instid1(VALU_DEP_1)
	v_cndmask_b32_e64 v47, 0, v47, s0
	v_cmp_gt_i32_e64 s0, s15, v41
	v_cndmask_b32_e64 v44, 0, v44, s0
; %bb.365:                              ;   in Loop: Header=BB213_296 Depth=1
	s_or_b32 exec_lo, exec_lo, s2
	global_load_b32 v50, v[11:12], off offset:256
	v_mov_b32_e32 v15, 0
	v_mov_b32_e32 v16, 0
	s_mov_b32 s2, exec_lo
	s_waitcnt vmcnt(0)
	v_and_b32_e32 v5, 0xff, v50
	s_delay_alu instid0(VALU_DEP_2) | instskip(NEXT) | instid1(VALU_DEP_2)
	v_dual_mov_b32 v13, v15 :: v_dual_mov_b32 v14, v16
	v_cmpx_ne_u16_e32 0, v5
	s_cbranch_execz .LBB213_373
; %bb.366:                              ;   in Loop: Header=BB213_296 Depth=1
	v_bfrev_b32_e32 v13, 1
	v_mov_b32_e32 v14, 0
	s_mov_b32 s21, exec_lo
	v_cmpx_ne_u16_e32 0x80, v5
	s_cbranch_execz .LBB213_372
; %bb.367:                              ;   in Loop: Header=BB213_296 Depth=1
	v_mov_b32_e32 v13, 0x7f800001
	v_dual_mov_b32 v14, 0 :: v_dual_and_b32 v17, 0x7f, v50
	s_mov_b32 s22, exec_lo
	s_delay_alu instid0(VALU_DEP_1)
	v_cmpx_ne_u32_e32 0x7f, v17
	s_cbranch_execz .LBB213_371
; %bb.368:                              ;   in Loop: Header=BB213_296 Depth=1
	v_and_b32_e32 v5, 7, v50
	v_lshrrev_b32_e32 v13, 3, v17
	s_mov_b32 s23, exec_lo
	v_cmpx_gt_u32_e32 8, v17
; %bb.369:                              ;   in Loop: Header=BB213_296 Depth=1
	s_delay_alu instid0(VALU_DEP_3) | instskip(NEXT) | instid1(VALU_DEP_1)
	v_clz_i32_u32_e32 v13, v5
	v_min_u32_e32 v13, 32, v13
	s_delay_alu instid0(VALU_DEP_1) | instskip(SKIP_1) | instid1(VALU_DEP_2)
	v_subrev_nc_u32_e32 v14, 28, v13
	v_sub_nc_u32_e32 v13, 29, v13
	v_lshlrev_b64 v[17:18], v14, v[5:6]
	s_delay_alu instid0(VALU_DEP_1)
	v_and_b32_e32 v5, 7, v17
; %bb.370:                              ;   in Loop: Header=BB213_296 Depth=1
	s_or_b32 exec_lo, exec_lo, s23
	v_lshlrev_b32_e32 v14, 24, v50
	s_delay_alu instid0(VALU_DEP_2) | instskip(SKIP_1) | instid1(VALU_DEP_3)
	v_lshlrev_b32_e32 v5, 20, v5
	v_lshl_add_u32 v13, v13, 23, 0x3c000000
	v_and_b32_e32 v14, 0x80000000, v14
	s_delay_alu instid0(VALU_DEP_1) | instskip(NEXT) | instid1(VALU_DEP_1)
	v_or3_b32 v5, v5, v14, v13
	v_dual_mov_b32 v14, v6 :: v_dual_mov_b32 v13, v5
.LBB213_371:                            ;   in Loop: Header=BB213_296 Depth=1
	s_or_b32 exec_lo, exec_lo, s22
.LBB213_372:                            ;   in Loop: Header=BB213_296 Depth=1
	s_delay_alu instid0(SALU_CYCLE_1)
	s_or_b32 exec_lo, exec_lo, s21
.LBB213_373:                            ;   in Loop: Header=BB213_296 Depth=1
	s_delay_alu instid0(SALU_CYCLE_1) | instskip(SKIP_2) | instid1(VALU_DEP_1)
	s_or_b32 exec_lo, exec_lo, s2
	v_lshrrev_b16 v5, 8, v50
	s_mov_b32 s21, exec_lo
	v_cmpx_ne_u16_e32 0, v5
	s_cbranch_execz .LBB213_381
; %bb.374:                              ;   in Loop: Header=BB213_296 Depth=1
	v_dual_mov_b32 v16, s9 :: v_dual_mov_b32 v15, s8
	s_mov_b32 s22, exec_lo
	v_cmpx_ne_u16_e32 0x80, v5
	s_cbranch_execz .LBB213_380
; %bb.375:                              ;   in Loop: Header=BB213_296 Depth=1
	s_mov_b32 s2, s8
	v_dual_mov_b32 v16, s3 :: v_dual_and_b32 v5, 0xffff, v5
	v_mov_b32_e32 v15, s2
	s_mov_b32 s2, exec_lo
	s_delay_alu instid0(VALU_DEP_2) | instskip(NEXT) | instid1(VALU_DEP_1)
	v_and_b32_e32 v17, 0x7f, v5
	v_cmpx_ne_u32_e32 0x7f, v17
	s_cbranch_execz .LBB213_379
; %bb.376:                              ;   in Loop: Header=BB213_296 Depth=1
	v_and_b32_e32 v5, 7, v5
	v_lshrrev_b32_e32 v15, 3, v17
	s_mov_b32 s23, exec_lo
	v_cmpx_gt_u32_e32 8, v17
; %bb.377:                              ;   in Loop: Header=BB213_296 Depth=1
	s_delay_alu instid0(VALU_DEP_3) | instskip(NEXT) | instid1(VALU_DEP_1)
	v_clz_i32_u32_e32 v15, v5
	v_min_u32_e32 v15, 32, v15
	s_delay_alu instid0(VALU_DEP_1) | instskip(SKIP_1) | instid1(VALU_DEP_2)
	v_subrev_nc_u32_e32 v16, 28, v15
	v_sub_nc_u32_e32 v15, 29, v15
	v_lshlrev_b64 v[16:17], v16, v[5:6]
	s_delay_alu instid0(VALU_DEP_1)
	v_and_b32_e32 v5, 7, v16
; %bb.378:                              ;   in Loop: Header=BB213_296 Depth=1
	s_or_b32 exec_lo, exec_lo, s23
	v_lshlrev_b32_e32 v16, 16, v50
	s_delay_alu instid0(VALU_DEP_2) | instskip(SKIP_1) | instid1(VALU_DEP_3)
	v_lshlrev_b32_e32 v5, 20, v5
	v_lshl_add_u32 v15, v15, 23, 0x3c000000
	v_and_b32_e32 v16, 0x80000000, v16
	s_delay_alu instid0(VALU_DEP_1)
	v_or3_b32 v16, v5, v16, v15
	v_mov_b32_e32 v15, v6
.LBB213_379:                            ;   in Loop: Header=BB213_296 Depth=1
	s_or_b32 exec_lo, exec_lo, s2
.LBB213_380:                            ;   in Loop: Header=BB213_296 Depth=1
	s_delay_alu instid0(SALU_CYCLE_1)
	s_or_b32 exec_lo, exec_lo, s22
.LBB213_381:                            ;   in Loop: Header=BB213_296 Depth=1
	s_delay_alu instid0(SALU_CYCLE_1) | instskip(SKIP_4) | instid1(VALU_DEP_2)
	s_or_b32 exec_lo, exec_lo, s21
	v_mov_b32_e32 v19, 0
	v_lshrrev_b32_e32 v51, 16, v50
	v_mov_b32_e32 v20, 0
	s_mov_b32 s2, exec_lo
	v_and_b32_e32 v5, 0xff, v51
	s_delay_alu instid0(VALU_DEP_2) | instskip(NEXT) | instid1(VALU_DEP_2)
	v_dual_mov_b32 v17, v19 :: v_dual_mov_b32 v18, v20
	v_cmpx_ne_u16_e32 0, v5
	s_cbranch_execz .LBB213_389
; %bb.382:                              ;   in Loop: Header=BB213_296 Depth=1
	v_bfrev_b32_e32 v17, 1
	v_mov_b32_e32 v18, 0
	s_mov_b32 s21, exec_lo
	v_cmpx_ne_u16_e32 0x80, v5
	s_cbranch_execz .LBB213_388
; %bb.383:                              ;   in Loop: Header=BB213_296 Depth=1
	v_mov_b32_e32 v17, 0x7f800001
	v_bfe_u32 v52, v50, 16, 7
	v_mov_b32_e32 v18, 0
	s_mov_b32 s22, exec_lo
	s_delay_alu instid0(VALU_DEP_2)
	v_cmpx_ne_u32_e32 0x7f, v52
	s_cbranch_execz .LBB213_387
; %bb.384:                              ;   in Loop: Header=BB213_296 Depth=1
	v_and_b32_e32 v5, 7, v51
	v_lshrrev_b32_e32 v17, 3, v52
	s_mov_b32 s23, exec_lo
	v_cmpx_gt_u32_e32 8, v52
; %bb.385:                              ;   in Loop: Header=BB213_296 Depth=1
	s_delay_alu instid0(VALU_DEP_3) | instskip(NEXT) | instid1(VALU_DEP_1)
	v_clz_i32_u32_e32 v17, v5
	v_min_u32_e32 v17, 32, v17
	s_delay_alu instid0(VALU_DEP_1) | instskip(SKIP_1) | instid1(VALU_DEP_2)
	v_subrev_nc_u32_e32 v18, 28, v17
	v_sub_nc_u32_e32 v17, 29, v17
	v_lshlrev_b64 v[52:53], v18, v[5:6]
	s_delay_alu instid0(VALU_DEP_1)
	v_and_b32_e32 v5, 7, v52
; %bb.386:                              ;   in Loop: Header=BB213_296 Depth=1
	s_or_b32 exec_lo, exec_lo, s23
	v_lshlrev_b32_e32 v18, 24, v51
	s_delay_alu instid0(VALU_DEP_2) | instskip(SKIP_1) | instid1(VALU_DEP_3)
	v_lshlrev_b32_e32 v5, 20, v5
	v_lshl_add_u32 v17, v17, 23, 0x3c000000
	v_and_b32_e32 v18, 0x80000000, v18
	s_delay_alu instid0(VALU_DEP_1) | instskip(NEXT) | instid1(VALU_DEP_1)
	v_or3_b32 v5, v5, v18, v17
	v_dual_mov_b32 v18, v6 :: v_dual_mov_b32 v17, v5
.LBB213_387:                            ;   in Loop: Header=BB213_296 Depth=1
	s_or_b32 exec_lo, exec_lo, s22
.LBB213_388:                            ;   in Loop: Header=BB213_296 Depth=1
	s_delay_alu instid0(SALU_CYCLE_1)
	s_or_b32 exec_lo, exec_lo, s21
.LBB213_389:                            ;   in Loop: Header=BB213_296 Depth=1
	s_delay_alu instid0(SALU_CYCLE_1) | instskip(NEXT) | instid1(SALU_CYCLE_1)
	s_or_b32 exec_lo, exec_lo, s2
	s_mov_b32 s21, exec_lo
	v_cmpx_lt_u32_e32 0xffffff, v50
	s_cbranch_execz .LBB213_397
; %bb.390:                              ;   in Loop: Header=BB213_296 Depth=1
	v_lshrrev_b32_e32 v51, 24, v50
	v_dual_mov_b32 v20, s9 :: v_dual_mov_b32 v19, s8
	s_mov_b32 s22, exec_lo
	s_delay_alu instid0(VALU_DEP_2)
	v_cmpx_ne_u32_e32 0x80, v51
	s_cbranch_execz .LBB213_396
; %bb.391:                              ;   in Loop: Header=BB213_296 Depth=1
	s_mov_b32 s2, s8
	v_bfe_u32 v50, v50, 24, 7
	v_dual_mov_b32 v20, s3 :: v_dual_mov_b32 v19, s2
	s_mov_b32 s2, exec_lo
	s_delay_alu instid0(VALU_DEP_2)
	v_cmpx_ne_u32_e32 0x7f, v50
	s_cbranch_execz .LBB213_395
; %bb.392:                              ;   in Loop: Header=BB213_296 Depth=1
	v_and_b32_e32 v5, 7, v51
	v_lshrrev_b32_e32 v19, 3, v50
	s_mov_b32 s23, exec_lo
	v_cmpx_gt_u32_e32 8, v50
; %bb.393:                              ;   in Loop: Header=BB213_296 Depth=1
	s_delay_alu instid0(VALU_DEP_3) | instskip(NEXT) | instid1(VALU_DEP_1)
	v_clz_i32_u32_e32 v19, v5
	v_min_u32_e32 v19, 32, v19
	s_delay_alu instid0(VALU_DEP_1) | instskip(SKIP_1) | instid1(VALU_DEP_2)
	v_subrev_nc_u32_e32 v20, 28, v19
	v_sub_nc_u32_e32 v19, 29, v19
	v_lshlrev_b64 v[52:53], v20, v[5:6]
	s_delay_alu instid0(VALU_DEP_1)
	v_and_b32_e32 v5, 7, v52
; %bb.394:                              ;   in Loop: Header=BB213_296 Depth=1
	s_or_b32 exec_lo, exec_lo, s23
	v_lshlrev_b32_e32 v20, 24, v51
	s_delay_alu instid0(VALU_DEP_2) | instskip(SKIP_1) | instid1(VALU_DEP_3)
	v_lshlrev_b32_e32 v5, 20, v5
	v_lshl_add_u32 v19, v19, 23, 0x3c000000
	v_and_b32_e32 v20, 0x80000000, v20
	s_delay_alu instid0(VALU_DEP_1)
	v_or3_b32 v20, v5, v20, v19
	v_mov_b32_e32 v19, v6
.LBB213_395:                            ;   in Loop: Header=BB213_296 Depth=1
	s_or_b32 exec_lo, exec_lo, s2
.LBB213_396:                            ;   in Loop: Header=BB213_296 Depth=1
	s_delay_alu instid0(SALU_CYCLE_1)
	s_or_b32 exec_lo, exec_lo, s22
.LBB213_397:                            ;   in Loop: Header=BB213_296 Depth=1
	s_delay_alu instid0(SALU_CYCLE_1) | instskip(SKIP_4) | instid1(VALU_DEP_4)
	s_or_b32 exec_lo, exec_lo, s21
	v_or_b32_e32 v5, v16, v14
	v_or_b32_e32 v13, v15, v13
	v_or_b32_e32 v14, v20, v18
	v_or_b32_e32 v15, v19, v17
	v_mul_f32_e32 v53, s20, v5
	s_delay_alu instid0(VALU_DEP_4) | instskip(NEXT) | instid1(VALU_DEP_3)
	v_mul_f32_e32 v52, s18, v13
	v_dual_mul_f32 v50, s20, v14 :: v_dual_mul_f32 v51, s18, v15
	s_and_saveexec_b32 s2, vcc_lo
; %bb.398:                              ;   in Loop: Header=BB213_296 Depth=1
	v_cmp_gt_i32_e64 s0, s15, v40
	s_delay_alu instid0(VALU_DEP_1) | instskip(SKIP_1) | instid1(VALU_DEP_1)
	v_cndmask_b32_e64 v52, 0, v52, s0
	v_cmp_gt_i32_e64 s0, s15, v43
	v_cndmask_b32_e64 v53, 0, v53, s0
	v_cmp_gt_i32_e64 s0, s15, v42
	s_delay_alu instid0(VALU_DEP_1) | instskip(SKIP_1) | instid1(VALU_DEP_1)
	v_cndmask_b32_e64 v51, 0, v51, s0
	v_cmp_gt_i32_e64 s0, s15, v41
	v_cndmask_b32_e64 v50, 0, v50, s0
; %bb.399:                              ;   in Loop: Header=BB213_296 Depth=1
	s_or_b32 exec_lo, exec_lo, s2
	global_load_b32 v54, v[11:12], off offset:384
	v_mov_b32_e32 v15, 0
	v_mov_b32_e32 v16, 0
	s_mov_b32 s2, exec_lo
	s_waitcnt vmcnt(0)
	v_and_b32_e32 v5, 0xff, v54
	s_delay_alu instid0(VALU_DEP_2) | instskip(NEXT) | instid1(VALU_DEP_2)
	v_dual_mov_b32 v13, v15 :: v_dual_mov_b32 v14, v16
	v_cmpx_ne_u16_e32 0, v5
	s_cbranch_execz .LBB213_407
; %bb.400:                              ;   in Loop: Header=BB213_296 Depth=1
	v_bfrev_b32_e32 v13, 1
	v_mov_b32_e32 v14, 0
	s_mov_b32 s21, exec_lo
	v_cmpx_ne_u16_e32 0x80, v5
	s_cbranch_execz .LBB213_406
; %bb.401:                              ;   in Loop: Header=BB213_296 Depth=1
	v_mov_b32_e32 v13, 0x7f800001
	v_dual_mov_b32 v14, 0 :: v_dual_and_b32 v17, 0x7f, v54
	s_mov_b32 s22, exec_lo
	s_delay_alu instid0(VALU_DEP_1)
	v_cmpx_ne_u32_e32 0x7f, v17
	s_cbranch_execz .LBB213_405
; %bb.402:                              ;   in Loop: Header=BB213_296 Depth=1
	v_and_b32_e32 v5, 7, v54
	v_lshrrev_b32_e32 v13, 3, v17
	s_mov_b32 s23, exec_lo
	v_cmpx_gt_u32_e32 8, v17
; %bb.403:                              ;   in Loop: Header=BB213_296 Depth=1
	s_delay_alu instid0(VALU_DEP_3) | instskip(NEXT) | instid1(VALU_DEP_1)
	v_clz_i32_u32_e32 v13, v5
	v_min_u32_e32 v13, 32, v13
	s_delay_alu instid0(VALU_DEP_1) | instskip(SKIP_1) | instid1(VALU_DEP_2)
	v_subrev_nc_u32_e32 v14, 28, v13
	v_sub_nc_u32_e32 v13, 29, v13
	v_lshlrev_b64 v[17:18], v14, v[5:6]
	s_delay_alu instid0(VALU_DEP_1)
	v_and_b32_e32 v5, 7, v17
; %bb.404:                              ;   in Loop: Header=BB213_296 Depth=1
	s_or_b32 exec_lo, exec_lo, s23
	v_lshlrev_b32_e32 v14, 24, v54
	s_delay_alu instid0(VALU_DEP_2) | instskip(SKIP_1) | instid1(VALU_DEP_3)
	v_lshlrev_b32_e32 v5, 20, v5
	v_lshl_add_u32 v13, v13, 23, 0x3c000000
	v_and_b32_e32 v14, 0x80000000, v14
	s_delay_alu instid0(VALU_DEP_1) | instskip(NEXT) | instid1(VALU_DEP_1)
	v_or3_b32 v5, v5, v14, v13
	v_dual_mov_b32 v14, v6 :: v_dual_mov_b32 v13, v5
.LBB213_405:                            ;   in Loop: Header=BB213_296 Depth=1
	s_or_b32 exec_lo, exec_lo, s22
.LBB213_406:                            ;   in Loop: Header=BB213_296 Depth=1
	s_delay_alu instid0(SALU_CYCLE_1)
	s_or_b32 exec_lo, exec_lo, s21
.LBB213_407:                            ;   in Loop: Header=BB213_296 Depth=1
	s_delay_alu instid0(SALU_CYCLE_1) | instskip(SKIP_2) | instid1(VALU_DEP_1)
	s_or_b32 exec_lo, exec_lo, s2
	v_lshrrev_b16 v5, 8, v54
	s_mov_b32 s21, exec_lo
	v_cmpx_ne_u16_e32 0, v5
	s_cbranch_execz .LBB213_415
; %bb.408:                              ;   in Loop: Header=BB213_296 Depth=1
	v_dual_mov_b32 v16, s9 :: v_dual_mov_b32 v15, s8
	s_mov_b32 s22, exec_lo
	v_cmpx_ne_u16_e32 0x80, v5
	s_cbranch_execz .LBB213_414
; %bb.409:                              ;   in Loop: Header=BB213_296 Depth=1
	s_mov_b32 s2, s8
	v_dual_mov_b32 v16, s3 :: v_dual_and_b32 v5, 0xffff, v5
	v_mov_b32_e32 v15, s2
	s_mov_b32 s2, exec_lo
	s_delay_alu instid0(VALU_DEP_2) | instskip(NEXT) | instid1(VALU_DEP_1)
	v_and_b32_e32 v17, 0x7f, v5
	v_cmpx_ne_u32_e32 0x7f, v17
	s_cbranch_execz .LBB213_413
; %bb.410:                              ;   in Loop: Header=BB213_296 Depth=1
	v_and_b32_e32 v5, 7, v5
	v_lshrrev_b32_e32 v15, 3, v17
	s_mov_b32 s23, exec_lo
	v_cmpx_gt_u32_e32 8, v17
; %bb.411:                              ;   in Loop: Header=BB213_296 Depth=1
	s_delay_alu instid0(VALU_DEP_3) | instskip(NEXT) | instid1(VALU_DEP_1)
	v_clz_i32_u32_e32 v15, v5
	v_min_u32_e32 v15, 32, v15
	s_delay_alu instid0(VALU_DEP_1) | instskip(SKIP_1) | instid1(VALU_DEP_2)
	v_subrev_nc_u32_e32 v16, 28, v15
	v_sub_nc_u32_e32 v15, 29, v15
	v_lshlrev_b64 v[16:17], v16, v[5:6]
	s_delay_alu instid0(VALU_DEP_1)
	v_and_b32_e32 v5, 7, v16
; %bb.412:                              ;   in Loop: Header=BB213_296 Depth=1
	s_or_b32 exec_lo, exec_lo, s23
	v_lshlrev_b32_e32 v16, 16, v54
	s_delay_alu instid0(VALU_DEP_2) | instskip(SKIP_1) | instid1(VALU_DEP_3)
	v_lshlrev_b32_e32 v5, 20, v5
	v_lshl_add_u32 v15, v15, 23, 0x3c000000
	v_and_b32_e32 v16, 0x80000000, v16
	s_delay_alu instid0(VALU_DEP_1)
	v_or3_b32 v16, v5, v16, v15
	v_mov_b32_e32 v15, v6
.LBB213_413:                            ;   in Loop: Header=BB213_296 Depth=1
	s_or_b32 exec_lo, exec_lo, s2
.LBB213_414:                            ;   in Loop: Header=BB213_296 Depth=1
	s_delay_alu instid0(SALU_CYCLE_1)
	s_or_b32 exec_lo, exec_lo, s22
.LBB213_415:                            ;   in Loop: Header=BB213_296 Depth=1
	s_delay_alu instid0(SALU_CYCLE_1) | instskip(SKIP_4) | instid1(VALU_DEP_2)
	s_or_b32 exec_lo, exec_lo, s21
	v_mov_b32_e32 v19, 0
	v_lshrrev_b32_e32 v55, 16, v54
	v_mov_b32_e32 v20, 0
	s_mov_b32 s2, exec_lo
	v_and_b32_e32 v5, 0xff, v55
	s_delay_alu instid0(VALU_DEP_2) | instskip(NEXT) | instid1(VALU_DEP_2)
	v_dual_mov_b32 v17, v19 :: v_dual_mov_b32 v18, v20
	v_cmpx_ne_u16_e32 0, v5
	s_cbranch_execz .LBB213_423
; %bb.416:                              ;   in Loop: Header=BB213_296 Depth=1
	v_bfrev_b32_e32 v17, 1
	v_mov_b32_e32 v18, 0
	s_mov_b32 s21, exec_lo
	v_cmpx_ne_u16_e32 0x80, v5
	s_cbranch_execz .LBB213_422
; %bb.417:                              ;   in Loop: Header=BB213_296 Depth=1
	v_mov_b32_e32 v17, 0x7f800001
	v_bfe_u32 v56, v54, 16, 7
	v_mov_b32_e32 v18, 0
	s_mov_b32 s22, exec_lo
	s_delay_alu instid0(VALU_DEP_2)
	v_cmpx_ne_u32_e32 0x7f, v56
	s_cbranch_execz .LBB213_421
; %bb.418:                              ;   in Loop: Header=BB213_296 Depth=1
	v_and_b32_e32 v5, 7, v55
	v_lshrrev_b32_e32 v17, 3, v56
	s_mov_b32 s23, exec_lo
	v_cmpx_gt_u32_e32 8, v56
; %bb.419:                              ;   in Loop: Header=BB213_296 Depth=1
	s_delay_alu instid0(VALU_DEP_3) | instskip(NEXT) | instid1(VALU_DEP_1)
	v_clz_i32_u32_e32 v17, v5
	v_min_u32_e32 v17, 32, v17
	s_delay_alu instid0(VALU_DEP_1) | instskip(SKIP_1) | instid1(VALU_DEP_2)
	v_subrev_nc_u32_e32 v18, 28, v17
	v_sub_nc_u32_e32 v17, 29, v17
	v_lshlrev_b64 v[56:57], v18, v[5:6]
	s_delay_alu instid0(VALU_DEP_1)
	v_and_b32_e32 v5, 7, v56
; %bb.420:                              ;   in Loop: Header=BB213_296 Depth=1
	s_or_b32 exec_lo, exec_lo, s23
	v_lshlrev_b32_e32 v18, 24, v55
	s_delay_alu instid0(VALU_DEP_2) | instskip(SKIP_1) | instid1(VALU_DEP_3)
	v_lshlrev_b32_e32 v5, 20, v5
	v_lshl_add_u32 v17, v17, 23, 0x3c000000
	v_and_b32_e32 v18, 0x80000000, v18
	s_delay_alu instid0(VALU_DEP_1) | instskip(NEXT) | instid1(VALU_DEP_1)
	v_or3_b32 v5, v5, v18, v17
	v_dual_mov_b32 v18, v6 :: v_dual_mov_b32 v17, v5
.LBB213_421:                            ;   in Loop: Header=BB213_296 Depth=1
	s_or_b32 exec_lo, exec_lo, s22
.LBB213_422:                            ;   in Loop: Header=BB213_296 Depth=1
	s_delay_alu instid0(SALU_CYCLE_1)
	s_or_b32 exec_lo, exec_lo, s21
.LBB213_423:                            ;   in Loop: Header=BB213_296 Depth=1
	s_delay_alu instid0(SALU_CYCLE_1) | instskip(NEXT) | instid1(SALU_CYCLE_1)
	s_or_b32 exec_lo, exec_lo, s2
	s_mov_b32 s21, exec_lo
	v_cmpx_lt_u32_e32 0xffffff, v54
	s_cbranch_execz .LBB213_431
; %bb.424:                              ;   in Loop: Header=BB213_296 Depth=1
	v_lshrrev_b32_e32 v55, 24, v54
	v_dual_mov_b32 v20, s9 :: v_dual_mov_b32 v19, s8
	s_mov_b32 s22, exec_lo
	s_delay_alu instid0(VALU_DEP_2)
	v_cmpx_ne_u32_e32 0x80, v55
	s_cbranch_execz .LBB213_430
; %bb.425:                              ;   in Loop: Header=BB213_296 Depth=1
	s_mov_b32 s2, s8
	v_bfe_u32 v54, v54, 24, 7
	v_dual_mov_b32 v20, s3 :: v_dual_mov_b32 v19, s2
	s_mov_b32 s2, exec_lo
	s_delay_alu instid0(VALU_DEP_2)
	v_cmpx_ne_u32_e32 0x7f, v54
	s_cbranch_execz .LBB213_429
; %bb.426:                              ;   in Loop: Header=BB213_296 Depth=1
	v_and_b32_e32 v5, 7, v55
	v_lshrrev_b32_e32 v19, 3, v54
	s_mov_b32 s23, exec_lo
	v_cmpx_gt_u32_e32 8, v54
; %bb.427:                              ;   in Loop: Header=BB213_296 Depth=1
	s_delay_alu instid0(VALU_DEP_3) | instskip(NEXT) | instid1(VALU_DEP_1)
	v_clz_i32_u32_e32 v19, v5
	v_min_u32_e32 v19, 32, v19
	s_delay_alu instid0(VALU_DEP_1) | instskip(SKIP_1) | instid1(VALU_DEP_2)
	v_subrev_nc_u32_e32 v20, 28, v19
	v_sub_nc_u32_e32 v19, 29, v19
	v_lshlrev_b64 v[56:57], v20, v[5:6]
	s_delay_alu instid0(VALU_DEP_1)
	v_and_b32_e32 v5, 7, v56
; %bb.428:                              ;   in Loop: Header=BB213_296 Depth=1
	s_or_b32 exec_lo, exec_lo, s23
	v_lshlrev_b32_e32 v20, 24, v55
	s_delay_alu instid0(VALU_DEP_2) | instskip(SKIP_1) | instid1(VALU_DEP_3)
	v_lshlrev_b32_e32 v5, 20, v5
	v_lshl_add_u32 v19, v19, 23, 0x3c000000
	v_and_b32_e32 v20, 0x80000000, v20
	s_delay_alu instid0(VALU_DEP_1)
	v_or3_b32 v20, v5, v20, v19
	v_mov_b32_e32 v19, v6
.LBB213_429:                            ;   in Loop: Header=BB213_296 Depth=1
	s_or_b32 exec_lo, exec_lo, s2
.LBB213_430:                            ;   in Loop: Header=BB213_296 Depth=1
	s_delay_alu instid0(SALU_CYCLE_1)
	s_or_b32 exec_lo, exec_lo, s22
.LBB213_431:                            ;   in Loop: Header=BB213_296 Depth=1
	s_delay_alu instid0(SALU_CYCLE_1) | instskip(SKIP_4) | instid1(VALU_DEP_4)
	s_or_b32 exec_lo, exec_lo, s21
	v_or_b32_e32 v5, v16, v14
	v_or_b32_e32 v13, v15, v13
	;; [unrolled: 1-line block ×4, first 2 shown]
	v_mul_f32_e32 v57, s20, v5
	s_delay_alu instid0(VALU_DEP_4) | instskip(NEXT) | instid1(VALU_DEP_3)
	v_mul_f32_e32 v56, s18, v13
	v_dual_mul_f32 v54, s20, v14 :: v_dual_mul_f32 v55, s18, v15
	s_and_saveexec_b32 s2, vcc_lo
; %bb.432:                              ;   in Loop: Header=BB213_296 Depth=1
	v_cmp_gt_i32_e64 s0, s15, v40
	s_delay_alu instid0(VALU_DEP_1) | instskip(SKIP_1) | instid1(VALU_DEP_1)
	v_cndmask_b32_e64 v56, 0, v56, s0
	v_cmp_gt_i32_e64 s0, s15, v43
	v_cndmask_b32_e64 v57, 0, v57, s0
	v_cmp_gt_i32_e64 s0, s15, v42
	s_delay_alu instid0(VALU_DEP_1) | instskip(SKIP_1) | instid1(VALU_DEP_1)
	v_cndmask_b32_e64 v55, 0, v55, s0
	v_cmp_gt_i32_e64 s0, s15, v41
	v_cndmask_b32_e64 v54, 0, v54, s0
; %bb.433:                              ;   in Loop: Header=BB213_296 Depth=1
	s_or_b32 exec_lo, exec_lo, s2
	global_load_b32 v58, v[11:12], off offset:512
	v_mov_b32_e32 v15, 0
	v_mov_b32_e32 v16, 0
	s_mov_b32 s2, exec_lo
	s_waitcnt vmcnt(0)
	v_and_b32_e32 v5, 0xff, v58
	s_delay_alu instid0(VALU_DEP_2) | instskip(NEXT) | instid1(VALU_DEP_2)
	v_dual_mov_b32 v13, v15 :: v_dual_mov_b32 v14, v16
	v_cmpx_ne_u16_e32 0, v5
	s_cbranch_execz .LBB213_441
; %bb.434:                              ;   in Loop: Header=BB213_296 Depth=1
	v_bfrev_b32_e32 v13, 1
	v_mov_b32_e32 v14, 0
	s_mov_b32 s21, exec_lo
	v_cmpx_ne_u16_e32 0x80, v5
	s_cbranch_execz .LBB213_440
; %bb.435:                              ;   in Loop: Header=BB213_296 Depth=1
	v_mov_b32_e32 v13, 0x7f800001
	v_dual_mov_b32 v14, 0 :: v_dual_and_b32 v17, 0x7f, v58
	s_mov_b32 s22, exec_lo
	s_delay_alu instid0(VALU_DEP_1)
	v_cmpx_ne_u32_e32 0x7f, v17
	s_cbranch_execz .LBB213_439
; %bb.436:                              ;   in Loop: Header=BB213_296 Depth=1
	v_and_b32_e32 v5, 7, v58
	v_lshrrev_b32_e32 v13, 3, v17
	s_mov_b32 s23, exec_lo
	v_cmpx_gt_u32_e32 8, v17
; %bb.437:                              ;   in Loop: Header=BB213_296 Depth=1
	s_delay_alu instid0(VALU_DEP_3) | instskip(NEXT) | instid1(VALU_DEP_1)
	v_clz_i32_u32_e32 v13, v5
	v_min_u32_e32 v13, 32, v13
	s_delay_alu instid0(VALU_DEP_1) | instskip(SKIP_1) | instid1(VALU_DEP_2)
	v_subrev_nc_u32_e32 v14, 28, v13
	v_sub_nc_u32_e32 v13, 29, v13
	v_lshlrev_b64 v[17:18], v14, v[5:6]
	s_delay_alu instid0(VALU_DEP_1)
	v_and_b32_e32 v5, 7, v17
; %bb.438:                              ;   in Loop: Header=BB213_296 Depth=1
	s_or_b32 exec_lo, exec_lo, s23
	v_lshlrev_b32_e32 v14, 24, v58
	s_delay_alu instid0(VALU_DEP_2) | instskip(SKIP_1) | instid1(VALU_DEP_3)
	v_lshlrev_b32_e32 v5, 20, v5
	v_lshl_add_u32 v13, v13, 23, 0x3c000000
	v_and_b32_e32 v14, 0x80000000, v14
	s_delay_alu instid0(VALU_DEP_1) | instskip(NEXT) | instid1(VALU_DEP_1)
	v_or3_b32 v5, v5, v14, v13
	v_dual_mov_b32 v14, v6 :: v_dual_mov_b32 v13, v5
.LBB213_439:                            ;   in Loop: Header=BB213_296 Depth=1
	s_or_b32 exec_lo, exec_lo, s22
.LBB213_440:                            ;   in Loop: Header=BB213_296 Depth=1
	s_delay_alu instid0(SALU_CYCLE_1)
	s_or_b32 exec_lo, exec_lo, s21
.LBB213_441:                            ;   in Loop: Header=BB213_296 Depth=1
	s_delay_alu instid0(SALU_CYCLE_1) | instskip(SKIP_2) | instid1(VALU_DEP_1)
	s_or_b32 exec_lo, exec_lo, s2
	v_lshrrev_b16 v5, 8, v58
	s_mov_b32 s21, exec_lo
	v_cmpx_ne_u16_e32 0, v5
	s_cbranch_execz .LBB213_449
; %bb.442:                              ;   in Loop: Header=BB213_296 Depth=1
	v_dual_mov_b32 v16, s9 :: v_dual_mov_b32 v15, s8
	s_mov_b32 s22, exec_lo
	v_cmpx_ne_u16_e32 0x80, v5
	s_cbranch_execz .LBB213_448
; %bb.443:                              ;   in Loop: Header=BB213_296 Depth=1
	s_mov_b32 s2, s8
	v_dual_mov_b32 v16, s3 :: v_dual_and_b32 v5, 0xffff, v5
	v_mov_b32_e32 v15, s2
	s_mov_b32 s2, exec_lo
	s_delay_alu instid0(VALU_DEP_2) | instskip(NEXT) | instid1(VALU_DEP_1)
	v_and_b32_e32 v17, 0x7f, v5
	v_cmpx_ne_u32_e32 0x7f, v17
	s_cbranch_execz .LBB213_447
; %bb.444:                              ;   in Loop: Header=BB213_296 Depth=1
	v_and_b32_e32 v5, 7, v5
	v_lshrrev_b32_e32 v15, 3, v17
	s_mov_b32 s23, exec_lo
	v_cmpx_gt_u32_e32 8, v17
; %bb.445:                              ;   in Loop: Header=BB213_296 Depth=1
	s_delay_alu instid0(VALU_DEP_3) | instskip(NEXT) | instid1(VALU_DEP_1)
	v_clz_i32_u32_e32 v15, v5
	v_min_u32_e32 v15, 32, v15
	s_delay_alu instid0(VALU_DEP_1) | instskip(SKIP_1) | instid1(VALU_DEP_2)
	v_subrev_nc_u32_e32 v16, 28, v15
	v_sub_nc_u32_e32 v15, 29, v15
	v_lshlrev_b64 v[16:17], v16, v[5:6]
	s_delay_alu instid0(VALU_DEP_1)
	v_and_b32_e32 v5, 7, v16
; %bb.446:                              ;   in Loop: Header=BB213_296 Depth=1
	s_or_b32 exec_lo, exec_lo, s23
	v_lshlrev_b32_e32 v16, 16, v58
	s_delay_alu instid0(VALU_DEP_2) | instskip(SKIP_1) | instid1(VALU_DEP_3)
	v_lshlrev_b32_e32 v5, 20, v5
	v_lshl_add_u32 v15, v15, 23, 0x3c000000
	v_and_b32_e32 v16, 0x80000000, v16
	s_delay_alu instid0(VALU_DEP_1)
	v_or3_b32 v16, v5, v16, v15
	v_mov_b32_e32 v15, v6
.LBB213_447:                            ;   in Loop: Header=BB213_296 Depth=1
	s_or_b32 exec_lo, exec_lo, s2
.LBB213_448:                            ;   in Loop: Header=BB213_296 Depth=1
	s_delay_alu instid0(SALU_CYCLE_1)
	s_or_b32 exec_lo, exec_lo, s22
.LBB213_449:                            ;   in Loop: Header=BB213_296 Depth=1
	s_delay_alu instid0(SALU_CYCLE_1) | instskip(SKIP_4) | instid1(VALU_DEP_2)
	s_or_b32 exec_lo, exec_lo, s21
	v_mov_b32_e32 v19, 0
	v_lshrrev_b32_e32 v59, 16, v58
	v_mov_b32_e32 v20, 0
	s_mov_b32 s2, exec_lo
	v_and_b32_e32 v5, 0xff, v59
	s_delay_alu instid0(VALU_DEP_2) | instskip(NEXT) | instid1(VALU_DEP_2)
	v_dual_mov_b32 v17, v19 :: v_dual_mov_b32 v18, v20
	v_cmpx_ne_u16_e32 0, v5
	s_cbranch_execz .LBB213_457
; %bb.450:                              ;   in Loop: Header=BB213_296 Depth=1
	v_bfrev_b32_e32 v17, 1
	v_mov_b32_e32 v18, 0
	s_mov_b32 s21, exec_lo
	v_cmpx_ne_u16_e32 0x80, v5
	s_cbranch_execz .LBB213_456
; %bb.451:                              ;   in Loop: Header=BB213_296 Depth=1
	v_mov_b32_e32 v17, 0x7f800001
	v_bfe_u32 v60, v58, 16, 7
	v_mov_b32_e32 v18, 0
	s_mov_b32 s22, exec_lo
	s_delay_alu instid0(VALU_DEP_2)
	v_cmpx_ne_u32_e32 0x7f, v60
	s_cbranch_execz .LBB213_455
; %bb.452:                              ;   in Loop: Header=BB213_296 Depth=1
	v_and_b32_e32 v5, 7, v59
	v_lshrrev_b32_e32 v17, 3, v60
	s_mov_b32 s23, exec_lo
	v_cmpx_gt_u32_e32 8, v60
; %bb.453:                              ;   in Loop: Header=BB213_296 Depth=1
	s_delay_alu instid0(VALU_DEP_3) | instskip(NEXT) | instid1(VALU_DEP_1)
	v_clz_i32_u32_e32 v17, v5
	v_min_u32_e32 v17, 32, v17
	s_delay_alu instid0(VALU_DEP_1) | instskip(SKIP_1) | instid1(VALU_DEP_2)
	v_subrev_nc_u32_e32 v18, 28, v17
	v_sub_nc_u32_e32 v17, 29, v17
	v_lshlrev_b64 v[60:61], v18, v[5:6]
	s_delay_alu instid0(VALU_DEP_1)
	v_and_b32_e32 v5, 7, v60
; %bb.454:                              ;   in Loop: Header=BB213_296 Depth=1
	s_or_b32 exec_lo, exec_lo, s23
	v_lshlrev_b32_e32 v18, 24, v59
	s_delay_alu instid0(VALU_DEP_2) | instskip(SKIP_1) | instid1(VALU_DEP_3)
	v_lshlrev_b32_e32 v5, 20, v5
	v_lshl_add_u32 v17, v17, 23, 0x3c000000
	v_and_b32_e32 v18, 0x80000000, v18
	s_delay_alu instid0(VALU_DEP_1) | instskip(NEXT) | instid1(VALU_DEP_1)
	v_or3_b32 v5, v5, v18, v17
	v_dual_mov_b32 v18, v6 :: v_dual_mov_b32 v17, v5
.LBB213_455:                            ;   in Loop: Header=BB213_296 Depth=1
	s_or_b32 exec_lo, exec_lo, s22
.LBB213_456:                            ;   in Loop: Header=BB213_296 Depth=1
	s_delay_alu instid0(SALU_CYCLE_1)
	s_or_b32 exec_lo, exec_lo, s21
.LBB213_457:                            ;   in Loop: Header=BB213_296 Depth=1
	s_delay_alu instid0(SALU_CYCLE_1) | instskip(NEXT) | instid1(SALU_CYCLE_1)
	s_or_b32 exec_lo, exec_lo, s2
	s_mov_b32 s21, exec_lo
	v_cmpx_lt_u32_e32 0xffffff, v58
	s_cbranch_execz .LBB213_465
; %bb.458:                              ;   in Loop: Header=BB213_296 Depth=1
	v_lshrrev_b32_e32 v59, 24, v58
	v_dual_mov_b32 v20, s9 :: v_dual_mov_b32 v19, s8
	s_mov_b32 s22, exec_lo
	s_delay_alu instid0(VALU_DEP_2)
	v_cmpx_ne_u32_e32 0x80, v59
	s_cbranch_execz .LBB213_464
; %bb.459:                              ;   in Loop: Header=BB213_296 Depth=1
	s_mov_b32 s2, s8
	v_bfe_u32 v58, v58, 24, 7
	v_dual_mov_b32 v20, s3 :: v_dual_mov_b32 v19, s2
	s_mov_b32 s2, exec_lo
	s_delay_alu instid0(VALU_DEP_2)
	v_cmpx_ne_u32_e32 0x7f, v58
	s_cbranch_execz .LBB213_463
; %bb.460:                              ;   in Loop: Header=BB213_296 Depth=1
	v_and_b32_e32 v5, 7, v59
	v_lshrrev_b32_e32 v19, 3, v58
	s_mov_b32 s23, exec_lo
	v_cmpx_gt_u32_e32 8, v58
; %bb.461:                              ;   in Loop: Header=BB213_296 Depth=1
	s_delay_alu instid0(VALU_DEP_3) | instskip(NEXT) | instid1(VALU_DEP_1)
	v_clz_i32_u32_e32 v19, v5
	v_min_u32_e32 v19, 32, v19
	s_delay_alu instid0(VALU_DEP_1) | instskip(SKIP_1) | instid1(VALU_DEP_2)
	v_subrev_nc_u32_e32 v20, 28, v19
	v_sub_nc_u32_e32 v19, 29, v19
	v_lshlrev_b64 v[60:61], v20, v[5:6]
	s_delay_alu instid0(VALU_DEP_1)
	v_and_b32_e32 v5, 7, v60
; %bb.462:                              ;   in Loop: Header=BB213_296 Depth=1
	s_or_b32 exec_lo, exec_lo, s23
	v_lshlrev_b32_e32 v20, 24, v59
	s_delay_alu instid0(VALU_DEP_2) | instskip(SKIP_1) | instid1(VALU_DEP_3)
	v_lshlrev_b32_e32 v5, 20, v5
	v_lshl_add_u32 v19, v19, 23, 0x3c000000
	v_and_b32_e32 v20, 0x80000000, v20
	s_delay_alu instid0(VALU_DEP_1)
	v_or3_b32 v20, v5, v20, v19
	v_mov_b32_e32 v19, v6
.LBB213_463:                            ;   in Loop: Header=BB213_296 Depth=1
	s_or_b32 exec_lo, exec_lo, s2
.LBB213_464:                            ;   in Loop: Header=BB213_296 Depth=1
	s_delay_alu instid0(SALU_CYCLE_1)
	s_or_b32 exec_lo, exec_lo, s22
.LBB213_465:                            ;   in Loop: Header=BB213_296 Depth=1
	s_delay_alu instid0(SALU_CYCLE_1) | instskip(SKIP_4) | instid1(VALU_DEP_4)
	s_or_b32 exec_lo, exec_lo, s21
	v_or_b32_e32 v5, v16, v14
	v_or_b32_e32 v13, v15, v13
	;; [unrolled: 1-line block ×4, first 2 shown]
	v_mul_f32_e32 v61, s20, v5
	s_delay_alu instid0(VALU_DEP_4) | instskip(NEXT) | instid1(VALU_DEP_3)
	v_mul_f32_e32 v60, s18, v13
	v_dual_mul_f32 v58, s20, v14 :: v_dual_mul_f32 v59, s18, v15
	s_and_saveexec_b32 s2, vcc_lo
; %bb.466:                              ;   in Loop: Header=BB213_296 Depth=1
	v_cmp_gt_i32_e64 s0, s15, v40
	s_delay_alu instid0(VALU_DEP_1) | instskip(SKIP_1) | instid1(VALU_DEP_1)
	v_cndmask_b32_e64 v60, 0, v60, s0
	v_cmp_gt_i32_e64 s0, s15, v43
	v_cndmask_b32_e64 v61, 0, v61, s0
	v_cmp_gt_i32_e64 s0, s15, v42
	s_delay_alu instid0(VALU_DEP_1) | instskip(SKIP_1) | instid1(VALU_DEP_1)
	v_cndmask_b32_e64 v59, 0, v59, s0
	v_cmp_gt_i32_e64 s0, s15, v41
	v_cndmask_b32_e64 v58, 0, v58, s0
; %bb.467:                              ;   in Loop: Header=BB213_296 Depth=1
	s_or_b32 exec_lo, exec_lo, s2
	global_load_b32 v62, v[11:12], off offset:640
	v_mov_b32_e32 v15, 0
	v_mov_b32_e32 v16, 0
	s_mov_b32 s2, exec_lo
	s_waitcnt vmcnt(0)
	v_and_b32_e32 v5, 0xff, v62
	s_delay_alu instid0(VALU_DEP_2) | instskip(NEXT) | instid1(VALU_DEP_2)
	v_dual_mov_b32 v13, v15 :: v_dual_mov_b32 v14, v16
	v_cmpx_ne_u16_e32 0, v5
	s_cbranch_execz .LBB213_475
; %bb.468:                              ;   in Loop: Header=BB213_296 Depth=1
	v_bfrev_b32_e32 v13, 1
	v_mov_b32_e32 v14, 0
	s_mov_b32 s21, exec_lo
	v_cmpx_ne_u16_e32 0x80, v5
	s_cbranch_execz .LBB213_474
; %bb.469:                              ;   in Loop: Header=BB213_296 Depth=1
	v_mov_b32_e32 v13, 0x7f800001
	v_dual_mov_b32 v14, 0 :: v_dual_and_b32 v17, 0x7f, v62
	s_mov_b32 s22, exec_lo
	s_delay_alu instid0(VALU_DEP_1)
	v_cmpx_ne_u32_e32 0x7f, v17
	s_cbranch_execz .LBB213_473
; %bb.470:                              ;   in Loop: Header=BB213_296 Depth=1
	v_and_b32_e32 v5, 7, v62
	v_lshrrev_b32_e32 v13, 3, v17
	s_mov_b32 s23, exec_lo
	v_cmpx_gt_u32_e32 8, v17
; %bb.471:                              ;   in Loop: Header=BB213_296 Depth=1
	s_delay_alu instid0(VALU_DEP_3) | instskip(NEXT) | instid1(VALU_DEP_1)
	v_clz_i32_u32_e32 v13, v5
	v_min_u32_e32 v13, 32, v13
	s_delay_alu instid0(VALU_DEP_1) | instskip(SKIP_1) | instid1(VALU_DEP_2)
	v_subrev_nc_u32_e32 v14, 28, v13
	v_sub_nc_u32_e32 v13, 29, v13
	v_lshlrev_b64 v[17:18], v14, v[5:6]
	s_delay_alu instid0(VALU_DEP_1)
	v_and_b32_e32 v5, 7, v17
; %bb.472:                              ;   in Loop: Header=BB213_296 Depth=1
	s_or_b32 exec_lo, exec_lo, s23
	v_lshlrev_b32_e32 v14, 24, v62
	s_delay_alu instid0(VALU_DEP_2) | instskip(SKIP_1) | instid1(VALU_DEP_3)
	v_lshlrev_b32_e32 v5, 20, v5
	v_lshl_add_u32 v13, v13, 23, 0x3c000000
	v_and_b32_e32 v14, 0x80000000, v14
	s_delay_alu instid0(VALU_DEP_1) | instskip(NEXT) | instid1(VALU_DEP_1)
	v_or3_b32 v5, v5, v14, v13
	v_dual_mov_b32 v14, v6 :: v_dual_mov_b32 v13, v5
.LBB213_473:                            ;   in Loop: Header=BB213_296 Depth=1
	s_or_b32 exec_lo, exec_lo, s22
.LBB213_474:                            ;   in Loop: Header=BB213_296 Depth=1
	s_delay_alu instid0(SALU_CYCLE_1)
	s_or_b32 exec_lo, exec_lo, s21
.LBB213_475:                            ;   in Loop: Header=BB213_296 Depth=1
	s_delay_alu instid0(SALU_CYCLE_1) | instskip(SKIP_2) | instid1(VALU_DEP_1)
	s_or_b32 exec_lo, exec_lo, s2
	v_lshrrev_b16 v5, 8, v62
	s_mov_b32 s21, exec_lo
	v_cmpx_ne_u16_e32 0, v5
	s_cbranch_execz .LBB213_483
; %bb.476:                              ;   in Loop: Header=BB213_296 Depth=1
	v_dual_mov_b32 v16, s9 :: v_dual_mov_b32 v15, s8
	s_mov_b32 s22, exec_lo
	v_cmpx_ne_u16_e32 0x80, v5
	s_cbranch_execz .LBB213_482
; %bb.477:                              ;   in Loop: Header=BB213_296 Depth=1
	s_mov_b32 s2, s8
	v_dual_mov_b32 v16, s3 :: v_dual_and_b32 v5, 0xffff, v5
	v_mov_b32_e32 v15, s2
	s_mov_b32 s2, exec_lo
	s_delay_alu instid0(VALU_DEP_2) | instskip(NEXT) | instid1(VALU_DEP_1)
	v_and_b32_e32 v17, 0x7f, v5
	v_cmpx_ne_u32_e32 0x7f, v17
	s_cbranch_execz .LBB213_481
; %bb.478:                              ;   in Loop: Header=BB213_296 Depth=1
	v_and_b32_e32 v5, 7, v5
	v_lshrrev_b32_e32 v15, 3, v17
	s_mov_b32 s23, exec_lo
	v_cmpx_gt_u32_e32 8, v17
; %bb.479:                              ;   in Loop: Header=BB213_296 Depth=1
	s_delay_alu instid0(VALU_DEP_3) | instskip(NEXT) | instid1(VALU_DEP_1)
	v_clz_i32_u32_e32 v15, v5
	v_min_u32_e32 v15, 32, v15
	s_delay_alu instid0(VALU_DEP_1) | instskip(SKIP_1) | instid1(VALU_DEP_2)
	v_subrev_nc_u32_e32 v16, 28, v15
	v_sub_nc_u32_e32 v15, 29, v15
	v_lshlrev_b64 v[16:17], v16, v[5:6]
	s_delay_alu instid0(VALU_DEP_1)
	v_and_b32_e32 v5, 7, v16
; %bb.480:                              ;   in Loop: Header=BB213_296 Depth=1
	s_or_b32 exec_lo, exec_lo, s23
	v_lshlrev_b32_e32 v16, 16, v62
	s_delay_alu instid0(VALU_DEP_2) | instskip(SKIP_1) | instid1(VALU_DEP_3)
	v_lshlrev_b32_e32 v5, 20, v5
	v_lshl_add_u32 v15, v15, 23, 0x3c000000
	v_and_b32_e32 v16, 0x80000000, v16
	s_delay_alu instid0(VALU_DEP_1)
	v_or3_b32 v16, v5, v16, v15
	v_mov_b32_e32 v15, v6
.LBB213_481:                            ;   in Loop: Header=BB213_296 Depth=1
	s_or_b32 exec_lo, exec_lo, s2
.LBB213_482:                            ;   in Loop: Header=BB213_296 Depth=1
	s_delay_alu instid0(SALU_CYCLE_1)
	s_or_b32 exec_lo, exec_lo, s22
.LBB213_483:                            ;   in Loop: Header=BB213_296 Depth=1
	s_delay_alu instid0(SALU_CYCLE_1) | instskip(SKIP_4) | instid1(VALU_DEP_2)
	s_or_b32 exec_lo, exec_lo, s21
	v_mov_b32_e32 v19, 0
	v_lshrrev_b32_e32 v63, 16, v62
	v_mov_b32_e32 v20, 0
	s_mov_b32 s2, exec_lo
	v_and_b32_e32 v5, 0xff, v63
	s_delay_alu instid0(VALU_DEP_2) | instskip(NEXT) | instid1(VALU_DEP_2)
	v_dual_mov_b32 v17, v19 :: v_dual_mov_b32 v18, v20
	v_cmpx_ne_u16_e32 0, v5
	s_cbranch_execz .LBB213_491
; %bb.484:                              ;   in Loop: Header=BB213_296 Depth=1
	v_bfrev_b32_e32 v17, 1
	v_mov_b32_e32 v18, 0
	s_mov_b32 s21, exec_lo
	v_cmpx_ne_u16_e32 0x80, v5
	s_cbranch_execz .LBB213_490
; %bb.485:                              ;   in Loop: Header=BB213_296 Depth=1
	v_mov_b32_e32 v17, 0x7f800001
	v_bfe_u32 v64, v62, 16, 7
	v_mov_b32_e32 v18, 0
	s_mov_b32 s22, exec_lo
	s_delay_alu instid0(VALU_DEP_2)
	v_cmpx_ne_u32_e32 0x7f, v64
	s_cbranch_execz .LBB213_489
; %bb.486:                              ;   in Loop: Header=BB213_296 Depth=1
	v_and_b32_e32 v5, 7, v63
	v_lshrrev_b32_e32 v17, 3, v64
	s_mov_b32 s23, exec_lo
	v_cmpx_gt_u32_e32 8, v64
; %bb.487:                              ;   in Loop: Header=BB213_296 Depth=1
	s_delay_alu instid0(VALU_DEP_3) | instskip(NEXT) | instid1(VALU_DEP_1)
	v_clz_i32_u32_e32 v17, v5
	v_min_u32_e32 v17, 32, v17
	s_delay_alu instid0(VALU_DEP_1) | instskip(SKIP_1) | instid1(VALU_DEP_2)
	v_subrev_nc_u32_e32 v18, 28, v17
	v_sub_nc_u32_e32 v17, 29, v17
	v_lshlrev_b64 v[64:65], v18, v[5:6]
	s_delay_alu instid0(VALU_DEP_1)
	v_and_b32_e32 v5, 7, v64
; %bb.488:                              ;   in Loop: Header=BB213_296 Depth=1
	s_or_b32 exec_lo, exec_lo, s23
	v_lshlrev_b32_e32 v18, 24, v63
	s_delay_alu instid0(VALU_DEP_2) | instskip(SKIP_1) | instid1(VALU_DEP_3)
	v_lshlrev_b32_e32 v5, 20, v5
	v_lshl_add_u32 v17, v17, 23, 0x3c000000
	v_and_b32_e32 v18, 0x80000000, v18
	s_delay_alu instid0(VALU_DEP_1) | instskip(NEXT) | instid1(VALU_DEP_1)
	v_or3_b32 v5, v5, v18, v17
	v_dual_mov_b32 v18, v6 :: v_dual_mov_b32 v17, v5
.LBB213_489:                            ;   in Loop: Header=BB213_296 Depth=1
	s_or_b32 exec_lo, exec_lo, s22
.LBB213_490:                            ;   in Loop: Header=BB213_296 Depth=1
	s_delay_alu instid0(SALU_CYCLE_1)
	s_or_b32 exec_lo, exec_lo, s21
.LBB213_491:                            ;   in Loop: Header=BB213_296 Depth=1
	s_delay_alu instid0(SALU_CYCLE_1) | instskip(NEXT) | instid1(SALU_CYCLE_1)
	s_or_b32 exec_lo, exec_lo, s2
	s_mov_b32 s21, exec_lo
	v_cmpx_lt_u32_e32 0xffffff, v62
	s_cbranch_execz .LBB213_499
; %bb.492:                              ;   in Loop: Header=BB213_296 Depth=1
	v_lshrrev_b32_e32 v63, 24, v62
	v_dual_mov_b32 v20, s9 :: v_dual_mov_b32 v19, s8
	s_mov_b32 s22, exec_lo
	s_delay_alu instid0(VALU_DEP_2)
	v_cmpx_ne_u32_e32 0x80, v63
	s_cbranch_execz .LBB213_498
; %bb.493:                              ;   in Loop: Header=BB213_296 Depth=1
	s_mov_b32 s2, s8
	v_bfe_u32 v62, v62, 24, 7
	v_dual_mov_b32 v20, s3 :: v_dual_mov_b32 v19, s2
	s_mov_b32 s2, exec_lo
	s_delay_alu instid0(VALU_DEP_2)
	v_cmpx_ne_u32_e32 0x7f, v62
	s_cbranch_execz .LBB213_497
; %bb.494:                              ;   in Loop: Header=BB213_296 Depth=1
	v_and_b32_e32 v5, 7, v63
	v_lshrrev_b32_e32 v19, 3, v62
	s_mov_b32 s23, exec_lo
	v_cmpx_gt_u32_e32 8, v62
; %bb.495:                              ;   in Loop: Header=BB213_296 Depth=1
	s_delay_alu instid0(VALU_DEP_3) | instskip(NEXT) | instid1(VALU_DEP_1)
	v_clz_i32_u32_e32 v19, v5
	v_min_u32_e32 v19, 32, v19
	s_delay_alu instid0(VALU_DEP_1) | instskip(SKIP_1) | instid1(VALU_DEP_2)
	v_subrev_nc_u32_e32 v20, 28, v19
	v_sub_nc_u32_e32 v19, 29, v19
	v_lshlrev_b64 v[64:65], v20, v[5:6]
	s_delay_alu instid0(VALU_DEP_1)
	v_and_b32_e32 v5, 7, v64
; %bb.496:                              ;   in Loop: Header=BB213_296 Depth=1
	s_or_b32 exec_lo, exec_lo, s23
	v_lshlrev_b32_e32 v20, 24, v63
	s_delay_alu instid0(VALU_DEP_2) | instskip(SKIP_1) | instid1(VALU_DEP_3)
	v_lshlrev_b32_e32 v5, 20, v5
	v_lshl_add_u32 v19, v19, 23, 0x3c000000
	v_and_b32_e32 v20, 0x80000000, v20
	s_delay_alu instid0(VALU_DEP_1)
	v_or3_b32 v20, v5, v20, v19
	v_mov_b32_e32 v19, v6
.LBB213_497:                            ;   in Loop: Header=BB213_296 Depth=1
	s_or_b32 exec_lo, exec_lo, s2
.LBB213_498:                            ;   in Loop: Header=BB213_296 Depth=1
	s_delay_alu instid0(SALU_CYCLE_1)
	s_or_b32 exec_lo, exec_lo, s22
.LBB213_499:                            ;   in Loop: Header=BB213_296 Depth=1
	s_delay_alu instid0(SALU_CYCLE_1) | instskip(SKIP_4) | instid1(VALU_DEP_4)
	s_or_b32 exec_lo, exec_lo, s21
	v_or_b32_e32 v5, v16, v14
	v_or_b32_e32 v13, v15, v13
	v_or_b32_e32 v14, v20, v18
	v_or_b32_e32 v15, v19, v17
	v_mul_f32_e32 v65, s20, v5
	s_delay_alu instid0(VALU_DEP_4) | instskip(NEXT) | instid1(VALU_DEP_3)
	v_mul_f32_e32 v64, s18, v13
	v_dual_mul_f32 v62, s20, v14 :: v_dual_mul_f32 v63, s18, v15
	s_and_saveexec_b32 s2, vcc_lo
; %bb.500:                              ;   in Loop: Header=BB213_296 Depth=1
	v_cmp_gt_i32_e64 s0, s15, v40
	s_delay_alu instid0(VALU_DEP_1) | instskip(SKIP_1) | instid1(VALU_DEP_1)
	v_cndmask_b32_e64 v64, 0, v64, s0
	v_cmp_gt_i32_e64 s0, s15, v43
	v_cndmask_b32_e64 v65, 0, v65, s0
	v_cmp_gt_i32_e64 s0, s15, v42
	s_delay_alu instid0(VALU_DEP_1) | instskip(SKIP_1) | instid1(VALU_DEP_1)
	v_cndmask_b32_e64 v63, 0, v63, s0
	v_cmp_gt_i32_e64 s0, s15, v41
	v_cndmask_b32_e64 v62, 0, v62, s0
; %bb.501:                              ;   in Loop: Header=BB213_296 Depth=1
	s_or_b32 exec_lo, exec_lo, s2
	global_load_b32 v66, v[11:12], off offset:768
	v_mov_b32_e32 v15, 0
	v_mov_b32_e32 v16, 0
	s_mov_b32 s2, exec_lo
	s_waitcnt vmcnt(0)
	v_and_b32_e32 v5, 0xff, v66
	s_delay_alu instid0(VALU_DEP_2) | instskip(NEXT) | instid1(VALU_DEP_2)
	v_dual_mov_b32 v13, v15 :: v_dual_mov_b32 v14, v16
	v_cmpx_ne_u16_e32 0, v5
	s_cbranch_execz .LBB213_509
; %bb.502:                              ;   in Loop: Header=BB213_296 Depth=1
	v_bfrev_b32_e32 v13, 1
	v_mov_b32_e32 v14, 0
	s_mov_b32 s21, exec_lo
	v_cmpx_ne_u16_e32 0x80, v5
	s_cbranch_execz .LBB213_508
; %bb.503:                              ;   in Loop: Header=BB213_296 Depth=1
	v_mov_b32_e32 v13, 0x7f800001
	v_dual_mov_b32 v14, 0 :: v_dual_and_b32 v17, 0x7f, v66
	s_mov_b32 s22, exec_lo
	s_delay_alu instid0(VALU_DEP_1)
	v_cmpx_ne_u32_e32 0x7f, v17
	s_cbranch_execz .LBB213_507
; %bb.504:                              ;   in Loop: Header=BB213_296 Depth=1
	v_and_b32_e32 v5, 7, v66
	v_lshrrev_b32_e32 v13, 3, v17
	s_mov_b32 s23, exec_lo
	v_cmpx_gt_u32_e32 8, v17
; %bb.505:                              ;   in Loop: Header=BB213_296 Depth=1
	s_delay_alu instid0(VALU_DEP_3) | instskip(NEXT) | instid1(VALU_DEP_1)
	v_clz_i32_u32_e32 v13, v5
	v_min_u32_e32 v13, 32, v13
	s_delay_alu instid0(VALU_DEP_1) | instskip(SKIP_1) | instid1(VALU_DEP_2)
	v_subrev_nc_u32_e32 v14, 28, v13
	v_sub_nc_u32_e32 v13, 29, v13
	v_lshlrev_b64 v[17:18], v14, v[5:6]
	s_delay_alu instid0(VALU_DEP_1)
	v_and_b32_e32 v5, 7, v17
; %bb.506:                              ;   in Loop: Header=BB213_296 Depth=1
	s_or_b32 exec_lo, exec_lo, s23
	v_lshlrev_b32_e32 v14, 24, v66
	s_delay_alu instid0(VALU_DEP_2) | instskip(SKIP_1) | instid1(VALU_DEP_3)
	v_lshlrev_b32_e32 v5, 20, v5
	v_lshl_add_u32 v13, v13, 23, 0x3c000000
	v_and_b32_e32 v14, 0x80000000, v14
	s_delay_alu instid0(VALU_DEP_1) | instskip(NEXT) | instid1(VALU_DEP_1)
	v_or3_b32 v5, v5, v14, v13
	v_dual_mov_b32 v14, v6 :: v_dual_mov_b32 v13, v5
.LBB213_507:                            ;   in Loop: Header=BB213_296 Depth=1
	s_or_b32 exec_lo, exec_lo, s22
.LBB213_508:                            ;   in Loop: Header=BB213_296 Depth=1
	s_delay_alu instid0(SALU_CYCLE_1)
	s_or_b32 exec_lo, exec_lo, s21
.LBB213_509:                            ;   in Loop: Header=BB213_296 Depth=1
	s_delay_alu instid0(SALU_CYCLE_1) | instskip(SKIP_2) | instid1(VALU_DEP_1)
	s_or_b32 exec_lo, exec_lo, s2
	v_lshrrev_b16 v5, 8, v66
	s_mov_b32 s21, exec_lo
	v_cmpx_ne_u16_e32 0, v5
	s_cbranch_execz .LBB213_517
; %bb.510:                              ;   in Loop: Header=BB213_296 Depth=1
	v_dual_mov_b32 v16, s9 :: v_dual_mov_b32 v15, s8
	s_mov_b32 s22, exec_lo
	v_cmpx_ne_u16_e32 0x80, v5
	s_cbranch_execz .LBB213_516
; %bb.511:                              ;   in Loop: Header=BB213_296 Depth=1
	s_mov_b32 s2, s8
	v_dual_mov_b32 v16, s3 :: v_dual_and_b32 v5, 0xffff, v5
	v_mov_b32_e32 v15, s2
	s_mov_b32 s2, exec_lo
	s_delay_alu instid0(VALU_DEP_2) | instskip(NEXT) | instid1(VALU_DEP_1)
	v_and_b32_e32 v17, 0x7f, v5
	v_cmpx_ne_u32_e32 0x7f, v17
	s_cbranch_execz .LBB213_515
; %bb.512:                              ;   in Loop: Header=BB213_296 Depth=1
	v_and_b32_e32 v5, 7, v5
	v_lshrrev_b32_e32 v15, 3, v17
	s_mov_b32 s23, exec_lo
	v_cmpx_gt_u32_e32 8, v17
; %bb.513:                              ;   in Loop: Header=BB213_296 Depth=1
	s_delay_alu instid0(VALU_DEP_3) | instskip(NEXT) | instid1(VALU_DEP_1)
	v_clz_i32_u32_e32 v15, v5
	v_min_u32_e32 v15, 32, v15
	s_delay_alu instid0(VALU_DEP_1) | instskip(SKIP_1) | instid1(VALU_DEP_2)
	v_subrev_nc_u32_e32 v16, 28, v15
	v_sub_nc_u32_e32 v15, 29, v15
	v_lshlrev_b64 v[16:17], v16, v[5:6]
	s_delay_alu instid0(VALU_DEP_1)
	v_and_b32_e32 v5, 7, v16
; %bb.514:                              ;   in Loop: Header=BB213_296 Depth=1
	s_or_b32 exec_lo, exec_lo, s23
	v_lshlrev_b32_e32 v16, 16, v66
	s_delay_alu instid0(VALU_DEP_2) | instskip(SKIP_1) | instid1(VALU_DEP_3)
	v_lshlrev_b32_e32 v5, 20, v5
	v_lshl_add_u32 v15, v15, 23, 0x3c000000
	v_and_b32_e32 v16, 0x80000000, v16
	s_delay_alu instid0(VALU_DEP_1)
	v_or3_b32 v16, v5, v16, v15
	v_mov_b32_e32 v15, v6
.LBB213_515:                            ;   in Loop: Header=BB213_296 Depth=1
	s_or_b32 exec_lo, exec_lo, s2
.LBB213_516:                            ;   in Loop: Header=BB213_296 Depth=1
	s_delay_alu instid0(SALU_CYCLE_1)
	s_or_b32 exec_lo, exec_lo, s22
.LBB213_517:                            ;   in Loop: Header=BB213_296 Depth=1
	s_delay_alu instid0(SALU_CYCLE_1) | instskip(SKIP_4) | instid1(VALU_DEP_2)
	s_or_b32 exec_lo, exec_lo, s21
	v_mov_b32_e32 v19, 0
	v_lshrrev_b32_e32 v67, 16, v66
	v_mov_b32_e32 v20, 0
	s_mov_b32 s2, exec_lo
	v_and_b32_e32 v5, 0xff, v67
	s_delay_alu instid0(VALU_DEP_2) | instskip(NEXT) | instid1(VALU_DEP_2)
	v_dual_mov_b32 v17, v19 :: v_dual_mov_b32 v18, v20
	v_cmpx_ne_u16_e32 0, v5
	s_cbranch_execz .LBB213_525
; %bb.518:                              ;   in Loop: Header=BB213_296 Depth=1
	v_bfrev_b32_e32 v17, 1
	v_mov_b32_e32 v18, 0
	s_mov_b32 s21, exec_lo
	v_cmpx_ne_u16_e32 0x80, v5
	s_cbranch_execz .LBB213_524
; %bb.519:                              ;   in Loop: Header=BB213_296 Depth=1
	v_mov_b32_e32 v17, 0x7f800001
	v_bfe_u32 v68, v66, 16, 7
	v_mov_b32_e32 v18, 0
	s_mov_b32 s22, exec_lo
	s_delay_alu instid0(VALU_DEP_2)
	v_cmpx_ne_u32_e32 0x7f, v68
	s_cbranch_execz .LBB213_523
; %bb.520:                              ;   in Loop: Header=BB213_296 Depth=1
	v_and_b32_e32 v5, 7, v67
	v_lshrrev_b32_e32 v17, 3, v68
	s_mov_b32 s23, exec_lo
	v_cmpx_gt_u32_e32 8, v68
; %bb.521:                              ;   in Loop: Header=BB213_296 Depth=1
	s_delay_alu instid0(VALU_DEP_3) | instskip(NEXT) | instid1(VALU_DEP_1)
	v_clz_i32_u32_e32 v17, v5
	v_min_u32_e32 v17, 32, v17
	s_delay_alu instid0(VALU_DEP_1) | instskip(SKIP_1) | instid1(VALU_DEP_2)
	v_subrev_nc_u32_e32 v18, 28, v17
	v_sub_nc_u32_e32 v17, 29, v17
	v_lshlrev_b64 v[68:69], v18, v[5:6]
	s_delay_alu instid0(VALU_DEP_1)
	v_and_b32_e32 v5, 7, v68
; %bb.522:                              ;   in Loop: Header=BB213_296 Depth=1
	s_or_b32 exec_lo, exec_lo, s23
	v_lshlrev_b32_e32 v18, 24, v67
	s_delay_alu instid0(VALU_DEP_2) | instskip(SKIP_1) | instid1(VALU_DEP_3)
	v_lshlrev_b32_e32 v5, 20, v5
	v_lshl_add_u32 v17, v17, 23, 0x3c000000
	v_and_b32_e32 v18, 0x80000000, v18
	s_delay_alu instid0(VALU_DEP_1) | instskip(NEXT) | instid1(VALU_DEP_1)
	v_or3_b32 v5, v5, v18, v17
	v_dual_mov_b32 v18, v6 :: v_dual_mov_b32 v17, v5
.LBB213_523:                            ;   in Loop: Header=BB213_296 Depth=1
	s_or_b32 exec_lo, exec_lo, s22
.LBB213_524:                            ;   in Loop: Header=BB213_296 Depth=1
	s_delay_alu instid0(SALU_CYCLE_1)
	s_or_b32 exec_lo, exec_lo, s21
.LBB213_525:                            ;   in Loop: Header=BB213_296 Depth=1
	s_delay_alu instid0(SALU_CYCLE_1) | instskip(NEXT) | instid1(SALU_CYCLE_1)
	s_or_b32 exec_lo, exec_lo, s2
	s_mov_b32 s21, exec_lo
	v_cmpx_lt_u32_e32 0xffffff, v66
	s_cbranch_execz .LBB213_533
; %bb.526:                              ;   in Loop: Header=BB213_296 Depth=1
	v_lshrrev_b32_e32 v67, 24, v66
	v_dual_mov_b32 v20, s9 :: v_dual_mov_b32 v19, s8
	s_mov_b32 s22, exec_lo
	s_delay_alu instid0(VALU_DEP_2)
	v_cmpx_ne_u32_e32 0x80, v67
	s_cbranch_execz .LBB213_532
; %bb.527:                              ;   in Loop: Header=BB213_296 Depth=1
	s_mov_b32 s2, s8
	v_bfe_u32 v66, v66, 24, 7
	v_dual_mov_b32 v20, s3 :: v_dual_mov_b32 v19, s2
	s_mov_b32 s2, exec_lo
	s_delay_alu instid0(VALU_DEP_2)
	v_cmpx_ne_u32_e32 0x7f, v66
	s_cbranch_execz .LBB213_531
; %bb.528:                              ;   in Loop: Header=BB213_296 Depth=1
	v_and_b32_e32 v5, 7, v67
	v_lshrrev_b32_e32 v19, 3, v66
	s_mov_b32 s23, exec_lo
	v_cmpx_gt_u32_e32 8, v66
; %bb.529:                              ;   in Loop: Header=BB213_296 Depth=1
	s_delay_alu instid0(VALU_DEP_3) | instskip(NEXT) | instid1(VALU_DEP_1)
	v_clz_i32_u32_e32 v19, v5
	v_min_u32_e32 v19, 32, v19
	s_delay_alu instid0(VALU_DEP_1) | instskip(SKIP_1) | instid1(VALU_DEP_2)
	v_subrev_nc_u32_e32 v20, 28, v19
	v_sub_nc_u32_e32 v19, 29, v19
	v_lshlrev_b64 v[68:69], v20, v[5:6]
	s_delay_alu instid0(VALU_DEP_1)
	v_and_b32_e32 v5, 7, v68
; %bb.530:                              ;   in Loop: Header=BB213_296 Depth=1
	s_or_b32 exec_lo, exec_lo, s23
	v_lshlrev_b32_e32 v20, 24, v67
	s_delay_alu instid0(VALU_DEP_2) | instskip(SKIP_1) | instid1(VALU_DEP_3)
	v_lshlrev_b32_e32 v5, 20, v5
	v_lshl_add_u32 v19, v19, 23, 0x3c000000
	v_and_b32_e32 v20, 0x80000000, v20
	s_delay_alu instid0(VALU_DEP_1)
	v_or3_b32 v20, v5, v20, v19
	v_mov_b32_e32 v19, v6
.LBB213_531:                            ;   in Loop: Header=BB213_296 Depth=1
	s_or_b32 exec_lo, exec_lo, s2
.LBB213_532:                            ;   in Loop: Header=BB213_296 Depth=1
	s_delay_alu instid0(SALU_CYCLE_1)
	s_or_b32 exec_lo, exec_lo, s22
.LBB213_533:                            ;   in Loop: Header=BB213_296 Depth=1
	s_delay_alu instid0(SALU_CYCLE_1) | instskip(SKIP_4) | instid1(VALU_DEP_4)
	s_or_b32 exec_lo, exec_lo, s21
	v_or_b32_e32 v5, v16, v14
	v_or_b32_e32 v13, v15, v13
	;; [unrolled: 1-line block ×4, first 2 shown]
	v_mul_f32_e32 v67, s20, v5
	s_delay_alu instid0(VALU_DEP_3) | instskip(NEXT) | instid1(VALU_DEP_3)
	v_dual_mul_f32 v66, s18, v13 :: v_dual_mul_f32 v19, s20, v14
	v_mul_f32_e32 v20, s18, v15
	s_and_saveexec_b32 s2, vcc_lo
; %bb.534:                              ;   in Loop: Header=BB213_296 Depth=1
	v_cmp_gt_i32_e64 s0, s15, v40
	s_delay_alu instid0(VALU_DEP_1) | instskip(SKIP_1) | instid1(VALU_DEP_1)
	v_cndmask_b32_e64 v66, 0, v66, s0
	v_cmp_gt_i32_e64 s0, s15, v43
	v_cndmask_b32_e64 v67, 0, v67, s0
	v_cmp_gt_i32_e64 s0, s15, v42
	s_delay_alu instid0(VALU_DEP_1) | instskip(SKIP_1) | instid1(VALU_DEP_1)
	v_cndmask_b32_e64 v20, 0, v20, s0
	v_cmp_gt_i32_e64 s0, s15, v41
	v_cndmask_b32_e64 v19, 0, v19, s0
; %bb.535:                              ;   in Loop: Header=BB213_296 Depth=1
	s_or_b32 exec_lo, exec_lo, s2
	global_load_b32 v68, v[11:12], off offset:896
	v_mov_b32_e32 v13, 0
	v_mov_b32_e32 v14, 0
	s_mov_b32 s2, exec_lo
	s_waitcnt vmcnt(0)
	v_and_b32_e32 v5, 0xff, v68
	s_delay_alu instid0(VALU_DEP_2) | instskip(NEXT) | instid1(VALU_DEP_2)
	v_dual_mov_b32 v11, v13 :: v_dual_mov_b32 v12, v14
	v_cmpx_ne_u16_e32 0, v5
	s_cbranch_execz .LBB213_543
; %bb.536:                              ;   in Loop: Header=BB213_296 Depth=1
	v_bfrev_b32_e32 v11, 1
	v_mov_b32_e32 v12, 0
	s_mov_b32 s21, exec_lo
	v_cmpx_ne_u16_e32 0x80, v5
	s_cbranch_execz .LBB213_542
; %bb.537:                              ;   in Loop: Header=BB213_296 Depth=1
	v_mov_b32_e32 v11, 0x7f800001
	v_dual_mov_b32 v12, 0 :: v_dual_and_b32 v15, 0x7f, v68
	s_mov_b32 s22, exec_lo
	s_delay_alu instid0(VALU_DEP_1)
	v_cmpx_ne_u32_e32 0x7f, v15
	s_cbranch_execz .LBB213_541
; %bb.538:                              ;   in Loop: Header=BB213_296 Depth=1
	v_and_b32_e32 v5, 7, v68
	v_lshrrev_b32_e32 v11, 3, v15
	s_mov_b32 s23, exec_lo
	v_cmpx_gt_u32_e32 8, v15
; %bb.539:                              ;   in Loop: Header=BB213_296 Depth=1
	s_delay_alu instid0(VALU_DEP_3) | instskip(NEXT) | instid1(VALU_DEP_1)
	v_clz_i32_u32_e32 v11, v5
	v_min_u32_e32 v11, 32, v11
	s_delay_alu instid0(VALU_DEP_1) | instskip(SKIP_1) | instid1(VALU_DEP_2)
	v_subrev_nc_u32_e32 v12, 28, v11
	v_sub_nc_u32_e32 v11, 29, v11
	v_lshlrev_b64 v[15:16], v12, v[5:6]
	s_delay_alu instid0(VALU_DEP_1)
	v_and_b32_e32 v5, 7, v15
; %bb.540:                              ;   in Loop: Header=BB213_296 Depth=1
	s_or_b32 exec_lo, exec_lo, s23
	v_lshlrev_b32_e32 v12, 24, v68
	s_delay_alu instid0(VALU_DEP_2) | instskip(SKIP_1) | instid1(VALU_DEP_3)
	v_lshlrev_b32_e32 v5, 20, v5
	v_lshl_add_u32 v11, v11, 23, 0x3c000000
	v_and_b32_e32 v12, 0x80000000, v12
	s_delay_alu instid0(VALU_DEP_1) | instskip(NEXT) | instid1(VALU_DEP_1)
	v_or3_b32 v5, v5, v12, v11
	v_dual_mov_b32 v12, v6 :: v_dual_mov_b32 v11, v5
.LBB213_541:                            ;   in Loop: Header=BB213_296 Depth=1
	s_or_b32 exec_lo, exec_lo, s22
.LBB213_542:                            ;   in Loop: Header=BB213_296 Depth=1
	s_delay_alu instid0(SALU_CYCLE_1)
	s_or_b32 exec_lo, exec_lo, s21
.LBB213_543:                            ;   in Loop: Header=BB213_296 Depth=1
	s_delay_alu instid0(SALU_CYCLE_1) | instskip(SKIP_2) | instid1(VALU_DEP_1)
	s_or_b32 exec_lo, exec_lo, s2
	v_lshrrev_b16 v5, 8, v68
	s_mov_b32 s21, exec_lo
	v_cmpx_ne_u16_e32 0, v5
	s_cbranch_execz .LBB213_551
; %bb.544:                              ;   in Loop: Header=BB213_296 Depth=1
	v_dual_mov_b32 v14, s9 :: v_dual_mov_b32 v13, s8
	s_mov_b32 s22, exec_lo
	v_cmpx_ne_u16_e32 0x80, v5
	s_cbranch_execz .LBB213_550
; %bb.545:                              ;   in Loop: Header=BB213_296 Depth=1
	s_mov_b32 s2, s8
	v_dual_mov_b32 v14, s3 :: v_dual_and_b32 v5, 0xffff, v5
	v_mov_b32_e32 v13, s2
	s_mov_b32 s2, exec_lo
	s_delay_alu instid0(VALU_DEP_2) | instskip(NEXT) | instid1(VALU_DEP_1)
	v_and_b32_e32 v15, 0x7f, v5
	v_cmpx_ne_u32_e32 0x7f, v15
	s_cbranch_execz .LBB213_549
; %bb.546:                              ;   in Loop: Header=BB213_296 Depth=1
	v_and_b32_e32 v5, 7, v5
	v_lshrrev_b32_e32 v13, 3, v15
	s_mov_b32 s23, exec_lo
	v_cmpx_gt_u32_e32 8, v15
; %bb.547:                              ;   in Loop: Header=BB213_296 Depth=1
	s_delay_alu instid0(VALU_DEP_3) | instskip(NEXT) | instid1(VALU_DEP_1)
	v_clz_i32_u32_e32 v13, v5
	v_min_u32_e32 v13, 32, v13
	s_delay_alu instid0(VALU_DEP_1) | instskip(SKIP_1) | instid1(VALU_DEP_2)
	v_subrev_nc_u32_e32 v14, 28, v13
	v_sub_nc_u32_e32 v13, 29, v13
	v_lshlrev_b64 v[14:15], v14, v[5:6]
	s_delay_alu instid0(VALU_DEP_1)
	v_and_b32_e32 v5, 7, v14
; %bb.548:                              ;   in Loop: Header=BB213_296 Depth=1
	s_or_b32 exec_lo, exec_lo, s23
	v_lshlrev_b32_e32 v14, 16, v68
	s_delay_alu instid0(VALU_DEP_2) | instskip(SKIP_1) | instid1(VALU_DEP_3)
	v_lshlrev_b32_e32 v5, 20, v5
	v_lshl_add_u32 v13, v13, 23, 0x3c000000
	v_and_b32_e32 v14, 0x80000000, v14
	s_delay_alu instid0(VALU_DEP_1)
	v_or3_b32 v14, v5, v14, v13
	v_mov_b32_e32 v13, v6
.LBB213_549:                            ;   in Loop: Header=BB213_296 Depth=1
	s_or_b32 exec_lo, exec_lo, s2
.LBB213_550:                            ;   in Loop: Header=BB213_296 Depth=1
	s_delay_alu instid0(SALU_CYCLE_1)
	s_or_b32 exec_lo, exec_lo, s22
.LBB213_551:                            ;   in Loop: Header=BB213_296 Depth=1
	s_delay_alu instid0(SALU_CYCLE_1) | instskip(SKIP_4) | instid1(VALU_DEP_2)
	s_or_b32 exec_lo, exec_lo, s21
	v_mov_b32_e32 v17, 0
	v_lshrrev_b32_e32 v69, 16, v68
	v_mov_b32_e32 v18, 0
	s_mov_b32 s2, exec_lo
	v_and_b32_e32 v5, 0xff, v69
	s_delay_alu instid0(VALU_DEP_2) | instskip(NEXT) | instid1(VALU_DEP_2)
	v_dual_mov_b32 v15, v17 :: v_dual_mov_b32 v16, v18
	v_cmpx_ne_u16_e32 0, v5
	s_cbranch_execz .LBB213_559
; %bb.552:                              ;   in Loop: Header=BB213_296 Depth=1
	v_bfrev_b32_e32 v15, 1
	v_mov_b32_e32 v16, 0
	s_mov_b32 s21, exec_lo
	v_cmpx_ne_u16_e32 0x80, v5
	s_cbranch_execz .LBB213_558
; %bb.553:                              ;   in Loop: Header=BB213_296 Depth=1
	v_mov_b32_e32 v15, 0x7f800001
	v_bfe_u32 v70, v68, 16, 7
	v_mov_b32_e32 v16, 0
	s_mov_b32 s22, exec_lo
	s_delay_alu instid0(VALU_DEP_2)
	v_cmpx_ne_u32_e32 0x7f, v70
	s_cbranch_execz .LBB213_557
; %bb.554:                              ;   in Loop: Header=BB213_296 Depth=1
	v_and_b32_e32 v5, 7, v69
	v_lshrrev_b32_e32 v15, 3, v70
	s_mov_b32 s23, exec_lo
	v_cmpx_gt_u32_e32 8, v70
; %bb.555:                              ;   in Loop: Header=BB213_296 Depth=1
	s_delay_alu instid0(VALU_DEP_3) | instskip(NEXT) | instid1(VALU_DEP_1)
	v_clz_i32_u32_e32 v15, v5
	v_min_u32_e32 v15, 32, v15
	s_delay_alu instid0(VALU_DEP_1) | instskip(SKIP_1) | instid1(VALU_DEP_2)
	v_subrev_nc_u32_e32 v16, 28, v15
	v_sub_nc_u32_e32 v15, 29, v15
	v_lshlrev_b64 v[70:71], v16, v[5:6]
	s_delay_alu instid0(VALU_DEP_1)
	v_and_b32_e32 v5, 7, v70
; %bb.556:                              ;   in Loop: Header=BB213_296 Depth=1
	s_or_b32 exec_lo, exec_lo, s23
	v_lshlrev_b32_e32 v16, 24, v69
	s_delay_alu instid0(VALU_DEP_2) | instskip(SKIP_1) | instid1(VALU_DEP_3)
	v_lshlrev_b32_e32 v5, 20, v5
	v_lshl_add_u32 v15, v15, 23, 0x3c000000
	v_and_b32_e32 v16, 0x80000000, v16
	s_delay_alu instid0(VALU_DEP_1) | instskip(NEXT) | instid1(VALU_DEP_1)
	v_or3_b32 v5, v5, v16, v15
	v_dual_mov_b32 v16, v6 :: v_dual_mov_b32 v15, v5
.LBB213_557:                            ;   in Loop: Header=BB213_296 Depth=1
	s_or_b32 exec_lo, exec_lo, s22
.LBB213_558:                            ;   in Loop: Header=BB213_296 Depth=1
	s_delay_alu instid0(SALU_CYCLE_1)
	s_or_b32 exec_lo, exec_lo, s21
.LBB213_559:                            ;   in Loop: Header=BB213_296 Depth=1
	s_delay_alu instid0(SALU_CYCLE_1) | instskip(NEXT) | instid1(SALU_CYCLE_1)
	s_or_b32 exec_lo, exec_lo, s2
	s_mov_b32 s21, exec_lo
	v_cmpx_lt_u32_e32 0xffffff, v68
	s_cbranch_execz .LBB213_567
; %bb.560:                              ;   in Loop: Header=BB213_296 Depth=1
	v_lshrrev_b32_e32 v69, 24, v68
	v_dual_mov_b32 v18, s9 :: v_dual_mov_b32 v17, s8
	s_mov_b32 s22, exec_lo
	s_delay_alu instid0(VALU_DEP_2)
	v_cmpx_ne_u32_e32 0x80, v69
	s_cbranch_execz .LBB213_566
; %bb.561:                              ;   in Loop: Header=BB213_296 Depth=1
	s_mov_b32 s2, s8
	v_bfe_u32 v68, v68, 24, 7
	v_dual_mov_b32 v18, s3 :: v_dual_mov_b32 v17, s2
	s_mov_b32 s2, exec_lo
	s_delay_alu instid0(VALU_DEP_2)
	v_cmpx_ne_u32_e32 0x7f, v68
	s_cbranch_execz .LBB213_565
; %bb.562:                              ;   in Loop: Header=BB213_296 Depth=1
	v_and_b32_e32 v5, 7, v69
	v_lshrrev_b32_e32 v17, 3, v68
	s_mov_b32 s23, exec_lo
	v_cmpx_gt_u32_e32 8, v68
; %bb.563:                              ;   in Loop: Header=BB213_296 Depth=1
	s_delay_alu instid0(VALU_DEP_3) | instskip(NEXT) | instid1(VALU_DEP_1)
	v_clz_i32_u32_e32 v17, v5
	v_min_u32_e32 v17, 32, v17
	s_delay_alu instid0(VALU_DEP_1) | instskip(SKIP_1) | instid1(VALU_DEP_2)
	v_subrev_nc_u32_e32 v18, 28, v17
	v_sub_nc_u32_e32 v17, 29, v17
	v_lshlrev_b64 v[70:71], v18, v[5:6]
	s_delay_alu instid0(VALU_DEP_1)
	v_and_b32_e32 v5, 7, v70
; %bb.564:                              ;   in Loop: Header=BB213_296 Depth=1
	s_or_b32 exec_lo, exec_lo, s23
	v_lshlrev_b32_e32 v18, 24, v69
	s_delay_alu instid0(VALU_DEP_2) | instskip(SKIP_1) | instid1(VALU_DEP_3)
	v_lshlrev_b32_e32 v5, 20, v5
	v_lshl_add_u32 v17, v17, 23, 0x3c000000
	v_and_b32_e32 v18, 0x80000000, v18
	s_delay_alu instid0(VALU_DEP_1)
	v_or3_b32 v18, v5, v18, v17
	v_mov_b32_e32 v17, v6
.LBB213_565:                            ;   in Loop: Header=BB213_296 Depth=1
	s_or_b32 exec_lo, exec_lo, s2
.LBB213_566:                            ;   in Loop: Header=BB213_296 Depth=1
	s_delay_alu instid0(SALU_CYCLE_1)
	s_or_b32 exec_lo, exec_lo, s22
.LBB213_567:                            ;   in Loop: Header=BB213_296 Depth=1
	s_delay_alu instid0(SALU_CYCLE_1) | instskip(SKIP_4) | instid1(VALU_DEP_3)
	s_or_b32 exec_lo, exec_lo, s21
	v_or_b32_e32 v5, v14, v12
	v_or_b32_e32 v11, v13, v11
	;; [unrolled: 1-line block ×4, first 2 shown]
	v_dual_mul_f32 v13, s20, v5 :: v_dual_mul_f32 v12, s18, v11
	s_delay_alu instid0(VALU_DEP_3) | instskip(NEXT) | instid1(VALU_DEP_3)
	v_mul_f32_e32 v5, s20, v14
	v_mul_f32_e32 v11, s18, v15
	s_and_saveexec_b32 s0, vcc_lo
	s_cbranch_execz .LBB213_294
; %bb.568:                              ;   in Loop: Header=BB213_296 Depth=1
	v_cmp_gt_i32_e32 vcc_lo, s15, v40
	v_cndmask_b32_e32 v12, 0, v12, vcc_lo
	v_cmp_gt_i32_e32 vcc_lo, s15, v43
	v_cndmask_b32_e32 v13, 0, v13, vcc_lo
	;; [unrolled: 2-line block ×4, first 2 shown]
	s_branch .LBB213_294
.LBB213_569:
	s_or_b32 exec_lo, exec_lo, s14
.LBB213_570:
	s_delay_alu instid0(SALU_CYCLE_1)
	s_or_b32 exec_lo, exec_lo, s1
	ds_bpermute_b32 v1, v22, v24
	ds_bpermute_b32 v2, v22, v30
	;; [unrolled: 1-line block ×8, first 2 shown]
	v_lshrrev_b32_e32 v9, 1, v21
	v_lshl_add_u32 v10, v45, 9, 0x220
	v_and_b32_e32 v15, 0x3c1, v0
	s_mov_b32 s0, exec_lo
	s_waitcnt lgkmcnt(0)
	s_waitcnt_vscnt null, 0x0
	s_barrier
	buffer_gl0_inv
	v_dual_add_f32 v8, v24, v1 :: v_dual_add_f32 v7, v30, v2
	v_dual_add_f32 v6, v29, v3 :: v_dual_add_f32 v5, v27, v4
	;; [unrolled: 1-line block ×4, first 2 shown]
	v_cmpx_eq_u32_e32 64, v15
	s_cbranch_execz .LBB213_572
; %bb.571:
	v_lshlrev_b32_e32 v11, 2, v9
	s_delay_alu instid0(VALU_DEP_1)
	v_add3_u32 v11, v10, v11, 0xfffffc00
	ds_store_2addr_b32 v11, v8, v7 offset1:16
	ds_store_2addr_b32 v11, v6, v5 offset0:32 offset1:48
	ds_store_2addr_b32 v11, v4, v3 offset0:64 offset1:80
	;; [unrolled: 1-line block ×3, first 2 shown]
.LBB213_572:
	s_or_b32 exec_lo, exec_lo, s0
	v_cmp_eq_u32_e32 vcc_lo, 0, v23
	s_mov_b32 s1, exec_lo
	s_waitcnt lgkmcnt(0)
	s_barrier
	buffer_gl0_inv
	v_cmpx_gt_u32_e32 64, v0
	s_cbranch_execz .LBB213_583
; %bb.573:
	s_and_saveexec_b32 s0, vcc_lo
	s_cbranch_execnz .LBB213_599
; %bb.574:
	s_or_b32 exec_lo, exec_lo, s0
	s_and_saveexec_b32 s0, vcc_lo
	s_cbranch_execnz .LBB213_600
.LBB213_575:
	s_or_b32 exec_lo, exec_lo, s0
	s_and_saveexec_b32 s0, vcc_lo
	s_cbranch_execnz .LBB213_601
.LBB213_576:
	s_or_b32 exec_lo, exec_lo, s0
	s_and_saveexec_b32 s0, vcc_lo
	s_cbranch_execnz .LBB213_602
.LBB213_577:
	s_or_b32 exec_lo, exec_lo, s0
	s_and_saveexec_b32 s0, vcc_lo
	s_cbranch_execnz .LBB213_603
.LBB213_578:
	s_or_b32 exec_lo, exec_lo, s0
	s_and_saveexec_b32 s0, vcc_lo
	s_cbranch_execnz .LBB213_604
.LBB213_579:
	s_or_b32 exec_lo, exec_lo, s0
	s_and_saveexec_b32 s0, vcc_lo
	s_cbranch_execnz .LBB213_605
.LBB213_580:
	s_or_b32 exec_lo, exec_lo, s0
	s_and_saveexec_b32 s0, vcc_lo
	s_cbranch_execz .LBB213_582
.LBB213_581:
	v_lshl_add_u32 v11, v9, 2, v10
	ds_load_b32 v11, v11 offset:448
	s_waitcnt lgkmcnt(0)
	v_add_f32_e32 v1, v1, v11
.LBB213_582:
	s_or_b32 exec_lo, exec_lo, s0
.LBB213_583:
	s_delay_alu instid0(SALU_CYCLE_1)
	s_or_b32 exec_lo, exec_lo, s1
	v_and_b32_e32 v11, 0x3e1, v0
	s_mov_b32 s1, exec_lo
	s_barrier
	buffer_gl0_inv
	v_cmpx_eq_u32_e32 32, v11
	s_cbranch_execz .LBB213_585
; %bb.584:
	v_lshl_add_u32 v12, v9, 2, 0x220
	ds_store_2addr_b32 v12, v8, v7 offset1:16
	ds_store_2addr_b32 v12, v6, v5 offset0:32 offset1:48
	ds_store_2addr_b32 v12, v4, v3 offset0:64 offset1:80
	;; [unrolled: 1-line block ×3, first 2 shown]
.LBB213_585:
	s_or_b32 exec_lo, exec_lo, s1
	s_delay_alu instid0(SALU_CYCLE_1)
	s_mov_b32 s1, exec_lo
	s_waitcnt lgkmcnt(0)
	s_barrier
	buffer_gl0_inv
	v_cmpx_gt_u32_e32 32, v0
	s_cbranch_execz .LBB213_596
; %bb.586:
	v_lshl_add_u32 v9, v9, 2, v10
	s_and_saveexec_b32 s0, vcc_lo
	s_cbranch_execnz .LBB213_606
; %bb.587:
	s_or_b32 exec_lo, exec_lo, s0
	s_and_saveexec_b32 s0, vcc_lo
	s_cbranch_execnz .LBB213_607
.LBB213_588:
	s_or_b32 exec_lo, exec_lo, s0
	s_and_saveexec_b32 s0, vcc_lo
	s_cbranch_execnz .LBB213_608
.LBB213_589:
	s_or_b32 exec_lo, exec_lo, s0
	s_and_saveexec_b32 s0, vcc_lo
	s_cbranch_execnz .LBB213_609
.LBB213_590:
	s_or_b32 exec_lo, exec_lo, s0
	s_and_saveexec_b32 s0, vcc_lo
	s_cbranch_execnz .LBB213_610
.LBB213_591:
	s_or_b32 exec_lo, exec_lo, s0
	s_and_saveexec_b32 s0, vcc_lo
	s_cbranch_execnz .LBB213_611
.LBB213_592:
	s_or_b32 exec_lo, exec_lo, s0
	s_and_saveexec_b32 s0, vcc_lo
	s_cbranch_execnz .LBB213_612
.LBB213_593:
	s_or_b32 exec_lo, exec_lo, s0
	s_and_saveexec_b32 s0, vcc_lo
	s_cbranch_execz .LBB213_595
.LBB213_594:
	ds_load_b32 v9, v9 offset:448
	s_waitcnt lgkmcnt(0)
	v_add_f32_e32 v1, v1, v9
.LBB213_595:
	s_or_b32 exec_lo, exec_lo, s0
.LBB213_596:
	s_delay_alu instid0(SALU_CYCLE_1)
	s_or_b32 exec_lo, exec_lo, s1
	s_barrier
	buffer_gl0_inv
	s_mov_b32 s0, exec_lo
	v_cmpx_eq_u32_e32 0, v11
	s_cbranch_execz .LBB213_598
; %bb.597:
	s_lshl_b32 s0, s4, 7
	s_mul_i32 s2, s11, s24
	s_ashr_i32 s1, s0, 31
	v_lshlrev_b32_e32 v0, 1, v0
	s_lshl_b64 s[0:1], s[0:1], 2
	s_delay_alu instid0(SALU_CYCLE_1) | instskip(SKIP_2) | instid1(SALU_CYCLE_1)
	s_add_u32 s4, s26, s0
	s_addc_u32 s5, s27, s1
	s_ashr_i32 s3, s2, 31
	s_lshl_b64 s[0:1], s[2:3], 2
	s_delay_alu instid0(SALU_CYCLE_1) | instskip(SKIP_2) | instid1(SALU_CYCLE_1)
	s_add_u32 s2, s4, s0
	s_addc_u32 s3, s5, s1
	s_lshl_b32 s0, s12, 7
	s_ashr_i32 s1, s0, 31
	s_delay_alu instid0(SALU_CYCLE_1) | instskip(NEXT) | instid1(SALU_CYCLE_1)
	s_lshl_b64 s[0:1], s[0:1], 2
	s_add_u32 s0, s2, s0
	s_addc_u32 s1, s3, s1
	s_clause 0x7
	global_store_b32 v0, v8, s[0:1]
	global_store_b32 v0, v7, s[0:1] offset:64
	global_store_b32 v0, v6, s[0:1] offset:128
	;; [unrolled: 1-line block ×7, first 2 shown]
.LBB213_598:
	s_nop 0
	s_sendmsg sendmsg(MSG_DEALLOC_VGPRS)
	s_endpgm
.LBB213_599:
	v_lshl_add_u32 v11, v9, 2, v10
	ds_load_b32 v11, v11
	s_waitcnt lgkmcnt(0)
	v_add_f32_e32 v8, v8, v11
	s_or_b32 exec_lo, exec_lo, s0
	s_and_saveexec_b32 s0, vcc_lo
	s_cbranch_execz .LBB213_575
.LBB213_600:
	v_lshl_add_u32 v11, v9, 2, v10
	ds_load_b32 v11, v11 offset:64
	s_waitcnt lgkmcnt(0)
	v_add_f32_e32 v7, v7, v11
	s_or_b32 exec_lo, exec_lo, s0
	s_and_saveexec_b32 s0, vcc_lo
	s_cbranch_execz .LBB213_576
.LBB213_601:
	v_lshl_add_u32 v11, v9, 2, v10
	ds_load_b32 v11, v11 offset:128
	s_waitcnt lgkmcnt(0)
	v_add_f32_e32 v6, v6, v11
	s_or_b32 exec_lo, exec_lo, s0
	s_and_saveexec_b32 s0, vcc_lo
	s_cbranch_execz .LBB213_577
.LBB213_602:
	v_lshl_add_u32 v11, v9, 2, v10
	ds_load_b32 v11, v11 offset:192
	s_waitcnt lgkmcnt(0)
	v_add_f32_e32 v5, v5, v11
	s_or_b32 exec_lo, exec_lo, s0
	s_and_saveexec_b32 s0, vcc_lo
	s_cbranch_execz .LBB213_578
.LBB213_603:
	v_lshl_add_u32 v11, v9, 2, v10
	ds_load_b32 v11, v11 offset:256
	s_waitcnt lgkmcnt(0)
	v_add_f32_e32 v4, v4, v11
	s_or_b32 exec_lo, exec_lo, s0
	s_and_saveexec_b32 s0, vcc_lo
	s_cbranch_execz .LBB213_579
.LBB213_604:
	v_lshl_add_u32 v11, v9, 2, v10
	ds_load_b32 v11, v11 offset:320
	s_waitcnt lgkmcnt(0)
	v_add_f32_e32 v3, v3, v11
	s_or_b32 exec_lo, exec_lo, s0
	s_and_saveexec_b32 s0, vcc_lo
	s_cbranch_execz .LBB213_580
.LBB213_605:
	v_lshl_add_u32 v11, v9, 2, v10
	ds_load_b32 v11, v11 offset:384
	s_waitcnt lgkmcnt(0)
	v_add_f32_e32 v2, v2, v11
	s_or_b32 exec_lo, exec_lo, s0
	s_and_saveexec_b32 s0, vcc_lo
	s_cbranch_execnz .LBB213_581
	s_branch .LBB213_582
.LBB213_606:
	ds_load_b32 v10, v9
	s_waitcnt lgkmcnt(0)
	v_add_f32_e32 v8, v8, v10
	s_or_b32 exec_lo, exec_lo, s0
	s_and_saveexec_b32 s0, vcc_lo
	s_cbranch_execz .LBB213_588
.LBB213_607:
	ds_load_b32 v10, v9 offset:64
	s_waitcnt lgkmcnt(0)
	v_add_f32_e32 v7, v7, v10
	s_or_b32 exec_lo, exec_lo, s0
	s_and_saveexec_b32 s0, vcc_lo
	s_cbranch_execz .LBB213_589
.LBB213_608:
	ds_load_b32 v10, v9 offset:128
	s_waitcnt lgkmcnt(0)
	v_add_f32_e32 v6, v6, v10
	s_or_b32 exec_lo, exec_lo, s0
	s_and_saveexec_b32 s0, vcc_lo
	s_cbranch_execz .LBB213_590
.LBB213_609:
	ds_load_b32 v10, v9 offset:192
	s_waitcnt lgkmcnt(0)
	v_add_f32_e32 v5, v5, v10
	s_or_b32 exec_lo, exec_lo, s0
	s_and_saveexec_b32 s0, vcc_lo
	s_cbranch_execz .LBB213_591
.LBB213_610:
	ds_load_b32 v10, v9 offset:256
	s_waitcnt lgkmcnt(0)
	v_add_f32_e32 v4, v4, v10
	s_or_b32 exec_lo, exec_lo, s0
	s_and_saveexec_b32 s0, vcc_lo
	s_cbranch_execz .LBB213_592
.LBB213_611:
	ds_load_b32 v10, v9 offset:320
	s_waitcnt lgkmcnt(0)
	v_add_f32_e32 v3, v3, v10
	s_or_b32 exec_lo, exec_lo, s0
	s_and_saveexec_b32 s0, vcc_lo
	s_cbranch_execz .LBB213_593
.LBB213_612:
	ds_load_b32 v10, v9 offset:384
	s_waitcnt lgkmcnt(0)
	v_add_f32_e32 v2, v2, v10
	s_or_b32 exec_lo, exec_lo, s0
	s_and_saveexec_b32 s0, vcc_lo
	s_cbranch_execnz .LBB213_594
	s_branch .LBB213_595
	.section	.rodata,"a",@progbits
	.p2align	6, 0x0
	.amdhsa_kernel _ZN4vllm25paged_attention_v2_kernelIfhLi128ELi8ELi128ELNS_18Fp8KVCacheDataTypeE1ELb1ELi512EEEvPfS2_PT_PKS3_PKT0_S9_ifPKiSB_iPKfiiiSD_SD_iiiii
		.amdhsa_group_segment_fixed_size 544
		.amdhsa_private_segment_fixed_size 0
		.amdhsa_kernarg_size 400
		.amdhsa_user_sgpr_count 13
		.amdhsa_user_sgpr_dispatch_ptr 0
		.amdhsa_user_sgpr_queue_ptr 0
		.amdhsa_user_sgpr_kernarg_segment_ptr 1
		.amdhsa_user_sgpr_dispatch_id 0
		.amdhsa_user_sgpr_private_segment_size 0
		.amdhsa_wavefront_size32 1
		.amdhsa_uses_dynamic_stack 0
		.amdhsa_enable_private_segment 0
		.amdhsa_system_sgpr_workgroup_id_x 1
		.amdhsa_system_sgpr_workgroup_id_y 1
		.amdhsa_system_sgpr_workgroup_id_z 1
		.amdhsa_system_sgpr_workgroup_info 0
		.amdhsa_system_vgpr_workitem_id 0
		.amdhsa_next_free_vgpr 92
		.amdhsa_next_free_sgpr 53
		.amdhsa_reserve_vcc 1
		.amdhsa_float_round_mode_32 0
		.amdhsa_float_round_mode_16_64 0
		.amdhsa_float_denorm_mode_32 3
		.amdhsa_float_denorm_mode_16_64 3
		.amdhsa_dx10_clamp 1
		.amdhsa_ieee_mode 1
		.amdhsa_fp16_overflow 0
		.amdhsa_workgroup_processor_mode 1
		.amdhsa_memory_ordered 1
		.amdhsa_forward_progress 0
		.amdhsa_shared_vgpr_count 0
		.amdhsa_exception_fp_ieee_invalid_op 0
		.amdhsa_exception_fp_denorm_src 0
		.amdhsa_exception_fp_ieee_div_zero 0
		.amdhsa_exception_fp_ieee_overflow 0
		.amdhsa_exception_fp_ieee_underflow 0
		.amdhsa_exception_fp_ieee_inexact 0
		.amdhsa_exception_int_div_zero 0
	.end_amdhsa_kernel
	.section	.text._ZN4vllm25paged_attention_v2_kernelIfhLi128ELi8ELi128ELNS_18Fp8KVCacheDataTypeE1ELb1ELi512EEEvPfS2_PT_PKS3_PKT0_S9_ifPKiSB_iPKfiiiSD_SD_iiiii,"axG",@progbits,_ZN4vllm25paged_attention_v2_kernelIfhLi128ELi8ELi128ELNS_18Fp8KVCacheDataTypeE1ELb1ELi512EEEvPfS2_PT_PKS3_PKT0_S9_ifPKiSB_iPKfiiiSD_SD_iiiii,comdat
.Lfunc_end213:
	.size	_ZN4vllm25paged_attention_v2_kernelIfhLi128ELi8ELi128ELNS_18Fp8KVCacheDataTypeE1ELb1ELi512EEEvPfS2_PT_PKS3_PKT0_S9_ifPKiSB_iPKfiiiSD_SD_iiiii, .Lfunc_end213-_ZN4vllm25paged_attention_v2_kernelIfhLi128ELi8ELi128ELNS_18Fp8KVCacheDataTypeE1ELb1ELi512EEEvPfS2_PT_PKS3_PKT0_S9_ifPKiSB_iPKfiiiSD_SD_iiiii
                                        ; -- End function
	.section	.AMDGPU.csdata,"",@progbits
; Kernel info:
; codeLenInByte = 20648
; NumSgprs: 55
; NumVgprs: 92
; ScratchSize: 0
; MemoryBound: 0
; FloatMode: 240
; IeeeMode: 1
; LDSByteSize: 544 bytes/workgroup (compile time only)
; SGPRBlocks: 6
; VGPRBlocks: 11
; NumSGPRsForWavesPerEU: 55
; NumVGPRsForWavesPerEU: 92
; Occupancy: 16
; WaveLimiterHint : 1
; COMPUTE_PGM_RSRC2:SCRATCH_EN: 0
; COMPUTE_PGM_RSRC2:USER_SGPR: 13
; COMPUTE_PGM_RSRC2:TRAP_HANDLER: 0
; COMPUTE_PGM_RSRC2:TGID_X_EN: 1
; COMPUTE_PGM_RSRC2:TGID_Y_EN: 1
; COMPUTE_PGM_RSRC2:TGID_Z_EN: 1
; COMPUTE_PGM_RSRC2:TIDIG_COMP_CNT: 0
	.section	.text._ZN4vllm25paged_attention_v2_kernelIfhLi192ELi8ELi128ELNS_18Fp8KVCacheDataTypeE1ELb1ELi512EEEvPfS2_PT_PKS3_PKT0_S9_ifPKiSB_iPKfiiiSD_SD_iiiii,"axG",@progbits,_ZN4vllm25paged_attention_v2_kernelIfhLi192ELi8ELi128ELNS_18Fp8KVCacheDataTypeE1ELb1ELi512EEEvPfS2_PT_PKS3_PKT0_S9_ifPKiSB_iPKfiiiSD_SD_iiiii,comdat
	.protected	_ZN4vllm25paged_attention_v2_kernelIfhLi192ELi8ELi128ELNS_18Fp8KVCacheDataTypeE1ELb1ELi512EEEvPfS2_PT_PKS3_PKT0_S9_ifPKiSB_iPKfiiiSD_SD_iiiii ; -- Begin function _ZN4vllm25paged_attention_v2_kernelIfhLi192ELi8ELi128ELNS_18Fp8KVCacheDataTypeE1ELb1ELi512EEEvPfS2_PT_PKS3_PKT0_S9_ifPKiSB_iPKfiiiSD_SD_iiiii
	.globl	_ZN4vllm25paged_attention_v2_kernelIfhLi192ELi8ELi128ELNS_18Fp8KVCacheDataTypeE1ELb1ELi512EEEvPfS2_PT_PKS3_PKT0_S9_ifPKiSB_iPKfiiiSD_SD_iiiii
	.p2align	8
	.type	_ZN4vllm25paged_attention_v2_kernelIfhLi192ELi8ELi128ELNS_18Fp8KVCacheDataTypeE1ELb1ELi512EEEvPfS2_PT_PKS3_PKT0_S9_ifPKiSB_iPKfiiiSD_SD_iiiii,@function
_ZN4vllm25paged_attention_v2_kernelIfhLi192ELi8ELi128ELNS_18Fp8KVCacheDataTypeE1ELb1ELi512EEEvPfS2_PT_PKS3_PKT0_S9_ifPKiSB_iPKfiiiSD_SD_iiiii: ; @_ZN4vllm25paged_attention_v2_kernelIfhLi192ELi8ELi128ELNS_18Fp8KVCacheDataTypeE1ELb1ELi512EEEvPfS2_PT_PKS3_PKT0_S9_ifPKiSB_iPKfiiiSD_SD_iiiii
; %bb.0:
	s_load_b64 s[2:3], s[0:1], 0x40
	s_mov_b32 s12, s15
	s_ashr_i32 s15, s14, 31
	s_delay_alu instid0(SALU_CYCLE_1)
	s_lshl_b64 s[4:5], s[14:15], 2
	s_waitcnt lgkmcnt(0)
	s_add_u32 s2, s2, s4
	s_addc_u32 s3, s3, s5
	s_lshl_b32 s42, s12, 9
	s_load_b32 s33, s[2:3], 0x0
	s_waitcnt lgkmcnt(0)
	s_cmp_ge_i32 s42, s33
	s_cbranch_scc1 .LBB214_871
; %bb.1:
	s_mov_b32 s36, s13
	s_clause 0x1
	s_load_b32 s13, s[0:1], 0x90
	s_load_b64 s[40:41], s[0:1], 0x30
	s_mov_b32 s43, 0
	s_waitcnt lgkmcnt(0)
	s_abs_i32 s5, s13
	s_abs_i32 s2, s40
	s_delay_alu instid0(SALU_CYCLE_1) | instskip(SKIP_1) | instid1(VALU_DEP_1)
	v_cvt_f32_u32_e32 v1, s2
	s_sub_i32 s4, 0, s2
	v_rcp_iflag_f32_e32 v1, v1
	s_waitcnt_depctr 0xfff
	v_mul_f32_e32 v1, 0x4f7ffffe, v1
	s_delay_alu instid0(VALU_DEP_1) | instskip(NEXT) | instid1(VALU_DEP_1)
	v_cvt_u32_f32_e32 v1, v1
	v_readfirstlane_b32 s3, v1
	s_delay_alu instid0(VALU_DEP_1) | instskip(NEXT) | instid1(SALU_CYCLE_1)
	s_mul_i32 s4, s4, s3
	s_mul_hi_u32 s4, s3, s4
	s_delay_alu instid0(SALU_CYCLE_1) | instskip(SKIP_4) | instid1(SALU_CYCLE_1)
	s_add_i32 s3, s3, s4
	s_xor_b32 s4, s13, s40
	s_mul_hi_u32 s3, s5, s3
	s_ashr_i32 s4, s4, 31
	s_mul_i32 s6, s3, s2
	s_sub_i32 s5, s5, s6
	s_add_i32 s6, s3, 1
	s_sub_i32 s7, s5, s2
	s_cmp_ge_u32 s5, s2
	s_cselect_b32 s3, s6, s3
	s_cselect_b32 s5, s7, s5
	s_add_i32 s6, s3, 1
	s_cmp_ge_u32 s5, s2
	s_cselect_b32 s2, s6, s3
	s_delay_alu instid0(SALU_CYCLE_1) | instskip(NEXT) | instid1(SALU_CYCLE_1)
	s_xor_b32 s2, s2, s4
	s_sub_i32 s6, s2, s4
	s_load_b64 s[2:3], s[0:1], 0x50
	s_abs_i32 s4, s6
	s_delay_alu instid0(SALU_CYCLE_1) | instskip(SKIP_1) | instid1(VALU_DEP_1)
	v_cvt_f32_u32_e32 v1, s4
	s_sub_i32 s5, 0, s4
	v_rcp_iflag_f32_e32 v1, v1
	s_waitcnt_depctr 0xfff
	v_mul_f32_e32 v1, 0x4f7ffffe, v1
	s_delay_alu instid0(VALU_DEP_1) | instskip(NEXT) | instid1(VALU_DEP_1)
	v_cvt_u32_f32_e32 v1, v1
	v_readfirstlane_b32 s7, v1
	s_delay_alu instid0(VALU_DEP_1) | instskip(NEXT) | instid1(SALU_CYCLE_1)
	s_mul_i32 s5, s5, s7
	s_mul_hi_u32 s8, s7, s5
	s_abs_i32 s5, s36
	s_add_i32 s7, s7, s8
	s_waitcnt lgkmcnt(0)
	s_cmp_eq_u64 s[2:3], 0
	s_cbranch_scc1 .LBB214_3
; %bb.2:
	s_ashr_i32 s37, s36, 31
	s_delay_alu instid0(SALU_CYCLE_1) | instskip(NEXT) | instid1(SALU_CYCLE_1)
	s_lshl_b64 s[8:9], s[36:37], 2
	s_add_u32 s2, s2, s8
	s_addc_u32 s3, s3, s9
	s_load_b32 s43, s[2:3], 0x0
.LBB214_3:
	s_clause 0x5
	s_load_b128 s[20:23], s[0:1], 0x0
	s_load_b64 s[28:29], s[0:1], 0x10
	s_load_b128 s[16:19], s[0:1], 0x20
	s_load_b64 s[34:35], s[0:1], 0x38
	s_load_b32 s15, s[0:1], 0x98
	s_load_b128 s[8:11], s[0:1], 0x58
	v_and_b32_e32 v63, 3, v0
	s_mul_i32 s30, s36, 0xc0
	s_mul_hi_u32 s3, s5, s7
	s_ashr_i32 s31, s30, 31
	s_mov_b32 s7, exec_lo
	v_cmpx_gt_u32_e32 0xc0, v0
	s_cbranch_execz .LBB214_6
; %bb.4:
	s_load_b64 s[24:25], s[0:1], 0x18
	v_and_b32_e32 v1, 0x3fc, v0
	s_waitcnt lgkmcnt(0)
	s_mul_i32 s26, s14, s8
	s_lshl_b64 s[38:39], s[30:31], 2
	s_ashr_i32 s27, s26, 31
	v_lshrrev_b32_e32 v2, 2, v0
	v_or_b32_e32 v5, v1, v63
	s_lshl_b64 s[26:27], s[26:27], 2
	v_mad_u32_u24 v4, 0xc0, v63, v1
	s_add_u32 s2, s26, s38
	s_addc_u32 s8, s27, s39
	v_lshlrev_b32_e32 v1, 2, v5
	v_subrev_nc_u32_e32 v3, 32, v2
	s_add_u32 s2, s24, s2
	s_addc_u32 s8, s25, s8
	s_delay_alu instid0(VALU_DEP_2) | instskip(NEXT) | instid1(VALU_DEP_1)
	v_add_co_u32 v1, s2, s2, v1
	v_add_co_ci_u32_e64 v2, null, s8, 0, s2
	s_mov_b32 s8, 0
.LBB214_5:                              ; =>This Inner Loop Header: Depth=1
	global_load_b32 v5, v[1:2], off
	v_add_nc_u32_e32 v3, 32, v3
	v_add_co_u32 v1, vcc_lo, 0x200, v1
	v_add_co_ci_u32_e32 v2, vcc_lo, 0, v2, vcc_lo
	s_delay_alu instid0(VALU_DEP_3) | instskip(NEXT) | instid1(VALU_DEP_1)
	v_cmp_lt_u32_e64 s2, 15, v3
	s_or_b32 s8, s2, s8
	s_waitcnt vmcnt(0)
	ds_store_b32 v4, v5
	v_add_nc_u32_e32 v4, 0x80, v4
	s_and_not1_b32 exec_lo, exec_lo, s8
	s_cbranch_execnz .LBB214_5
.LBB214_6:
	s_or_b32 exec_lo, exec_lo, s7
	s_load_b128 s[24:27], s[0:1], 0x78
	s_mul_i32 s7, s3, s4
	s_ashr_i32 s2, s36, 31
	s_ashr_i32 s6, s6, 31
	s_sub_i32 s5, s5, s7
	s_xor_b32 s2, s2, s6
	s_add_i32 s6, s3, 1
	s_sub_i32 s7, s5, s4
	s_cmp_ge_u32 s5, s4
	s_waitcnt lgkmcnt(0)
	s_cselect_b32 s3, s6, s3
	s_cselect_b32 s5, s7, s5
	s_add_i32 s6, s3, 1
	s_cmp_ge_u32 s5, s4
	s_load_b32 s4, s[0:1], 0x88
	s_cselect_b32 s3, s6, s3
	s_add_i32 s5, s33, -1
	s_xor_b32 s3, s3, s2
	s_abs_i32 s8, s5
	s_sub_i32 s2, s3, s2
	s_abs_i32 s11, s27
	s_mov_b32 s6, -1
	v_cvt_f32_u32_e32 v1, s11
	s_sub_i32 s3, 0, s11
	s_waitcnt lgkmcnt(0)
	s_barrier
	buffer_gl0_inv
                                        ; implicit-def: $sgpr37
	v_rcp_iflag_f32_e32 v1, v1
	s_waitcnt_depctr 0xfff
	v_mul_f32_e32 v1, 0x4f7ffffe, v1
	s_delay_alu instid0(VALU_DEP_1) | instskip(NEXT) | instid1(VALU_DEP_1)
	v_cvt_u32_f32_e32 v1, v1
	v_readfirstlane_b32 s31, v1
	s_delay_alu instid0(VALU_DEP_1) | instskip(NEXT) | instid1(SALU_CYCLE_1)
	s_mul_i32 s3, s3, s31
	s_mul_hi_u32 s3, s31, s3
	s_delay_alu instid0(SALU_CYCLE_1)
	s_add_i32 s31, s31, s3
	s_cmp_lt_i32 s4, 0
	s_mul_hi_u32 s3, s8, s31
	s_cbranch_scc0 .LBB214_8
; %bb.7:
	s_mul_i32 s6, s24, s40
	s_delay_alu instid0(SALU_CYCLE_1) | instskip(NEXT) | instid1(SALU_CYCLE_1)
	s_add_i32 s6, s2, s6
	s_mul_i32 s6, s6, s4
	s_delay_alu instid0(SALU_CYCLE_1)
	s_sub_i32 s37, 1, s6
	s_mov_b32 s6, 0
.LBB214_8:
	s_ashr_i32 s38, s5, 31
	s_and_not1_b32 vcc_lo, exec_lo, s6
	s_ashr_i32 s27, s27, 31
	s_cbranch_vccnz .LBB214_10
; %bb.9:
	s_mul_i32 s5, s13, s24
	s_delay_alu instid0(SALU_CYCLE_1) | instskip(NEXT) | instid1(SALU_CYCLE_1)
	s_add_i32 s5, s5, s36
	s_mul_i32 s4, s5, s4
	s_delay_alu instid0(SALU_CYCLE_1)
	s_add_i32 s37, s4, 1
.LBB214_10:
	s_clause 0x1
	s_load_b32 s24, s[0:1], 0x48
	s_load_b128 s[4:7], s[0:1], 0x68
	s_mul_i32 s0, s3, s11
	s_xor_b32 s1, s38, s27
	s_sub_i32 s0, s8, s0
	s_add_i32 s40, s3, 1
	s_sub_i32 s8, s0, s11
	v_lshrrev_b32_e32 v61, 5, v0
	v_mov_b32_e32 v65, 0xff7fffff
	v_mbcnt_lo_u32_b32 v64, -1, 0
	s_mul_i32 s10, s2, s10
	s_delay_alu instid0(VALU_DEP_3) | instskip(SKIP_2) | instid1(SALU_CYCLE_1)
	v_lshl_add_u32 v62, v61, 3, s42
	s_waitcnt lgkmcnt(0)
	s_mul_i32 s38, s14, s24
	s_ashr_i32 s39, s38, 31
	s_cmp_ge_u32 s0, s11
	s_cselect_b32 s3, s40, s3
	s_cselect_b32 s0, s8, s0
	s_add_i32 s8, s3, 1
	s_cmp_ge_u32 s0, s11
	s_cselect_b32 s0, s8, s3
	s_add_i32 s3, s33, 7
	s_lshl_b32 s44, s12, 6
	s_ashr_i32 s8, s3, 31
	v_or_b32_e32 v49, s44, v61
	s_lshr_b32 s8, s8, 29
	s_add_i32 s24, s44, 64
	s_add_i32 s3, s3, s8
	s_delay_alu instid0(SALU_CYCLE_1)
	s_ashr_i32 s8, s3, 3
	s_xor_b32 s3, s0, s1
	s_min_i32 s24, s24, s8
	v_ashrrev_i32_e32 v50, 31, v49
	v_cmp_gt_i32_e64 s0, s24, v49
	s_sub_i32 s40, s3, s1
	s_delay_alu instid0(VALU_DEP_1)
	s_and_saveexec_b32 s45, s0
	s_cbranch_execz .LBB214_404
; %bb.11:
	s_sub_i32 s46, s40, s25
	s_ashr_i32 s1, s10, 31
	s_add_u32 s47, s16, s10
	s_addc_u32 s17, s17, s1
	s_abs_i32 s16, s26
	v_bfe_u32 v66, v0, 2, 3
	v_cvt_f32_u32_e32 v1, s16
	s_sub_i32 s48, 0, s16
	s_lshl_b64 s[2:3], s[38:39], 2
	s_delay_alu instid0(VALU_DEP_2) | instskip(NEXT) | instid1(VALU_DEP_2)
	v_dual_mov_b32 v65, 0xff7fffff :: v_dual_lshlrev_b32 v6, 2, v66
	v_rcp_iflag_f32_e32 v1, v1
	v_mov_b32_e32 v52, 0
	s_add_u32 s2, s34, s2
	v_dual_mov_b32 v69, 0xff7fffff :: v_dual_lshlrev_b32 v4, 4, v66
	s_addc_u32 s3, s35, s3
	v_subrev_nc_u32_e32 v7, s33, v66
	v_cmp_eq_u32_e32 vcc_lo, 0, v63
	v_mul_u32_u24_e32 v67, 0xc0, v63
	v_cmp_neq_f32_e64 s1, s43, 0
	s_delay_alu instid0(TRANS32_DEP_1) | instskip(SKIP_3) | instid1(VALU_DEP_4)
	v_mul_f32_e32 v3, 0x4f7ffffe, v1
	v_lshlrev_b64 v[1:2], 2, v[49:50]
	v_lshl_add_u32 v68, v61, 3, s42
	v_dual_mov_b32 v73, v49 :: v_dual_add_nc_u32 v70, 1, v7
	v_cvt_u32_f32_e32 v3, v3
	s_delay_alu instid0(VALU_DEP_4) | instskip(NEXT) | instid1(VALU_DEP_1)
	v_add_co_u32 v53, s2, s2, v1
	v_add_co_ci_u32_e64 v54, s2, s3, v2, s2
	s_delay_alu instid0(VALU_DEP_3) | instskip(SKIP_2) | instid1(VALU_DEP_1)
	v_mul_lo_u32 v5, s48, v3
	v_lshl_or_b32 v2, v61, 5, v6
	v_add_co_u32 v55, s2, s47, v4
	v_add_co_ci_u32_e64 v56, null, s17, 0, s2
	s_delay_alu instid0(VALU_DEP_3) | instskip(SKIP_3) | instid1(VALU_DEP_1)
	v_add_nc_u32_e32 v71, 0x320, v2
	s_mov_b32 s17, 0
	v_mul_hi_u32 v1, v3, v5
	s_mov_b32 s47, s9
	v_add_nc_u32_e32 v72, v3, v1
	s_branch .LBB214_14
.LBB214_12:                             ;   in Loop: Header=BB214_14 Depth=1
	s_or_b32 exec_lo, exec_lo, s48
.LBB214_13:                             ;   in Loop: Header=BB214_14 Depth=1
	s_delay_alu instid0(SALU_CYCLE_1) | instskip(SKIP_2) | instid1(VALU_DEP_1)
	s_or_b32 exec_lo, exec_lo, s3
	v_add_nc_u32_e32 v73, 4, v73
	v_add_co_u32 v53, s3, v53, 16
	v_add_co_ci_u32_e64 v54, s3, 0, v54, s3
	s_delay_alu instid0(VALU_DEP_3) | instskip(SKIP_2) | instid1(VALU_DEP_3)
	v_cmp_le_i32_e64 s2, s24, v73
	v_add_nc_u32_e32 v68, 32, v68
	v_add_nc_u32_e32 v71, 0x80, v71
	s_or_b32 s17, s2, s17
	s_delay_alu instid0(SALU_CYCLE_1)
	s_and_not1_b32 exec_lo, exec_lo, s17
	s_cbranch_execz .LBB214_403
.LBB214_14:                             ; =>This Inner Loop Header: Depth=1
	v_sub_nc_u32_e32 v1, 0, v68
	s_delay_alu instid0(VALU_DEP_1) | instskip(SKIP_1) | instid1(VALU_DEP_1)
	v_max_i32_e32 v1, v68, v1
	s_waitcnt lgkmcnt(0)
	v_mul_hi_u32 v2, v1, s31
	s_delay_alu instid0(VALU_DEP_1) | instskip(NEXT) | instid1(VALU_DEP_1)
	v_mul_lo_u32 v3, v2, s11
	v_sub_nc_u32_e32 v1, v1, v3
	v_add_nc_u32_e32 v3, 1, v2
	s_delay_alu instid0(VALU_DEP_2) | instskip(SKIP_1) | instid1(VALU_DEP_1)
	v_subrev_nc_u32_e32 v4, s11, v1
	v_cmp_le_u32_e64 s2, s11, v1
	v_cndmask_b32_e64 v2, v2, v3, s2
	s_delay_alu instid0(VALU_DEP_3) | instskip(SKIP_1) | instid1(VALU_DEP_3)
	v_cndmask_b32_e64 v1, v1, v4, s2
	v_ashrrev_i32_e32 v3, 31, v68
	v_add_nc_u32_e32 v4, 1, v2
	s_delay_alu instid0(VALU_DEP_3) | instskip(NEXT) | instid1(VALU_DEP_3)
	v_cmp_le_u32_e64 s2, s11, v1
	v_xor_b32_e32 v3, s27, v3
	s_delay_alu instid0(VALU_DEP_2) | instskip(NEXT) | instid1(VALU_DEP_1)
	v_cndmask_b32_e64 v1, v2, v4, s2
	v_xor_b32_e32 v1, v1, v3
	s_delay_alu instid0(VALU_DEP_1) | instskip(NEXT) | instid1(VALU_DEP_1)
	v_sub_nc_u32_e32 v1, v1, v3
	v_add_nc_u32_e32 v2, s37, v1
	v_cmp_ge_i32_e64 s3, s46, v1
	s_delay_alu instid0(VALU_DEP_2) | instskip(NEXT) | instid1(VALU_DEP_1)
	v_sub_nc_u32_e32 v3, 0, v2
	v_max_i32_e32 v3, v2, v3
	v_ashrrev_i32_e32 v2, 31, v2
	s_delay_alu instid0(VALU_DEP_2) | instskip(NEXT) | instid1(VALU_DEP_1)
	v_mul_hi_u32 v4, v3, v72
	v_mul_lo_u32 v4, v4, s16
	s_delay_alu instid0(VALU_DEP_1) | instskip(NEXT) | instid1(VALU_DEP_1)
	v_sub_nc_u32_e32 v3, v3, v4
	v_subrev_nc_u32_e32 v4, s16, v3
	v_cmp_le_u32_e64 s2, s16, v3
	s_delay_alu instid0(VALU_DEP_1) | instskip(NEXT) | instid1(VALU_DEP_1)
	v_cndmask_b32_e64 v3, v3, v4, s2
	v_subrev_nc_u32_e32 v4, s16, v3
	v_cmp_le_u32_e64 s2, s16, v3
	s_delay_alu instid0(VALU_DEP_1) | instskip(NEXT) | instid1(VALU_DEP_1)
	v_cndmask_b32_e64 v3, v3, v4, s2
	v_xor_b32_e32 v3, v3, v2
	s_delay_alu instid0(VALU_DEP_1) | instskip(NEXT) | instid1(VALU_DEP_1)
	v_sub_nc_u32_e32 v2, v3, v2
	v_cmp_ne_u32_e64 s2, 0, v2
	s_delay_alu instid0(VALU_DEP_1) | instskip(NEXT) | instid1(SALU_CYCLE_1)
	s_and_b32 s2, s2, s3
	s_and_b32 s48, vcc_lo, s2
	s_delay_alu instid0(SALU_CYCLE_1)
	s_and_saveexec_b32 s3, s48
	s_cbranch_execz .LBB214_16
; %bb.15:                               ;   in Loop: Header=BB214_14 Depth=1
	ds_store_b32 v71, v69
.LBB214_16:                             ;   in Loop: Header=BB214_14 Depth=1
	s_or_b32 exec_lo, exec_lo, s3
	s_xor_b32 s2, s2, -1
	s_delay_alu instid0(SALU_CYCLE_1)
	s_and_saveexec_b32 s3, s2
	s_cbranch_execz .LBB214_13
; %bb.17:                               ;   in Loop: Header=BB214_14 Depth=1
	global_load_b32 v3, v[53:54], off
	v_dual_mov_b32 v74, 0 :: v_dual_mov_b32 v75, 0
	s_mov_b32 s49, exec_lo
	s_waitcnt vmcnt(0)
	v_mad_i64_i32 v[1:2], null, v3, s47, v[55:56]
	s_delay_alu instid0(VALU_DEP_1) | instskip(NEXT) | instid1(VALU_DEP_1)
	v_add_co_u32 v57, s2, v1, v63
	v_add_co_ci_u32_e64 v58, s2, 0, v2, s2
	global_load_u8 v59, v[57:58], off
	ds_load_b128 v[45:48], v67
	ds_load_b128 v[41:44], v67 offset:16
	ds_load_b128 v[37:40], v67 offset:32
	;; [unrolled: 1-line block ×11, first 2 shown]
	s_load_b32 s48, s[4:5], 0x0
	s_waitcnt vmcnt(0)
	v_cmpx_ne_u16_e32 0, v59
	s_cbranch_execz .LBB214_25
; %bb.18:                               ;   in Loop: Header=BB214_14 Depth=1
	v_bfrev_b32_e32 v75, 1
	s_mov_b32 s50, exec_lo
	v_cmpx_ne_u16_e32 0x80, v59
	s_cbranch_execz .LBB214_24
; %bb.19:                               ;   in Loop: Header=BB214_14 Depth=1
	v_and_b32_e32 v51, 0xffff, v59
	v_mov_b32_e32 v75, 0x7f800001
	s_mov_b32 s51, exec_lo
	s_delay_alu instid0(VALU_DEP_2) | instskip(NEXT) | instid1(VALU_DEP_1)
	v_and_b32_e32 v76, 0x7f, v51
	v_cmpx_ne_u32_e32 0x7f, v76
	s_cbranch_execz .LBB214_23
; %bb.20:                               ;   in Loop: Header=BB214_14 Depth=1
	v_and_b32_e32 v51, 7, v51
	v_lshrrev_b32_e32 v60, 3, v76
	s_mov_b32 s52, exec_lo
	v_cmpx_gt_u32_e32 8, v76
; %bb.21:                               ;   in Loop: Header=BB214_14 Depth=1
	s_delay_alu instid0(VALU_DEP_3) | instskip(NEXT) | instid1(VALU_DEP_1)
	v_clz_i32_u32_e32 v60, v51
	v_min_u32_e32 v60, 32, v60
	s_delay_alu instid0(VALU_DEP_1) | instskip(SKIP_1) | instid1(VALU_DEP_2)
	v_subrev_nc_u32_e32 v75, 28, v60
	v_sub_nc_u32_e32 v60, 29, v60
	v_lshlrev_b64 v[75:76], v75, v[51:52]
	s_delay_alu instid0(VALU_DEP_1)
	v_and_b32_e32 v51, 7, v75
; %bb.22:                               ;   in Loop: Header=BB214_14 Depth=1
	s_or_b32 exec_lo, exec_lo, s52
	v_lshlrev_b32_e32 v59, 24, v59
	s_delay_alu instid0(VALU_DEP_2) | instskip(SKIP_1) | instid1(VALU_DEP_3)
	v_lshlrev_b32_e32 v51, 20, v51
	v_lshl_add_u32 v60, v60, 23, 0x3c000000
	v_and_b32_e32 v59, 0x80000000, v59
	s_delay_alu instid0(VALU_DEP_1)
	v_or3_b32 v75, v51, v59, v60
.LBB214_23:                             ;   in Loop: Header=BB214_14 Depth=1
	s_or_b32 exec_lo, exec_lo, s51
.LBB214_24:                             ;   in Loop: Header=BB214_14 Depth=1
	s_delay_alu instid0(SALU_CYCLE_1)
	s_or_b32 exec_lo, exec_lo, s50
.LBB214_25:                             ;   in Loop: Header=BB214_14 Depth=1
	s_delay_alu instid0(SALU_CYCLE_1)
	s_or_b32 exec_lo, exec_lo, s49
	global_load_u8 v59, v[57:58], off offset:4
	s_mov_b32 s49, exec_lo
	s_waitcnt vmcnt(0)
	v_cmpx_ne_u16_e32 0, v59
	s_cbranch_execz .LBB214_33
; %bb.26:                               ;   in Loop: Header=BB214_14 Depth=1
	v_bfrev_b32_e32 v74, 1
	s_mov_b32 s50, exec_lo
	v_cmpx_ne_u16_e32 0x80, v59
	s_cbranch_execz .LBB214_32
; %bb.27:                               ;   in Loop: Header=BB214_14 Depth=1
	v_and_b32_e32 v51, 0xffff, v59
	v_mov_b32_e32 v74, 0x7f800001
	s_mov_b32 s51, exec_lo
	s_delay_alu instid0(VALU_DEP_2) | instskip(NEXT) | instid1(VALU_DEP_1)
	v_and_b32_e32 v76, 0x7f, v51
	v_cmpx_ne_u32_e32 0x7f, v76
	s_cbranch_execz .LBB214_31
; %bb.28:                               ;   in Loop: Header=BB214_14 Depth=1
	v_and_b32_e32 v51, 7, v51
	v_lshrrev_b32_e32 v60, 3, v76
	s_mov_b32 s52, exec_lo
	v_cmpx_gt_u32_e32 8, v76
; %bb.29:                               ;   in Loop: Header=BB214_14 Depth=1
	s_delay_alu instid0(VALU_DEP_3) | instskip(NEXT) | instid1(VALU_DEP_1)
	v_clz_i32_u32_e32 v60, v51
	v_min_u32_e32 v60, 32, v60
	s_delay_alu instid0(VALU_DEP_1) | instskip(SKIP_1) | instid1(VALU_DEP_2)
	v_subrev_nc_u32_e32 v74, 28, v60
	v_sub_nc_u32_e32 v60, 29, v60
	v_lshlrev_b64 v[76:77], v74, v[51:52]
	s_delay_alu instid0(VALU_DEP_1)
	v_and_b32_e32 v51, 7, v76
; %bb.30:                               ;   in Loop: Header=BB214_14 Depth=1
	s_or_b32 exec_lo, exec_lo, s52
	v_lshlrev_b32_e32 v59, 24, v59
	s_delay_alu instid0(VALU_DEP_2) | instskip(SKIP_1) | instid1(VALU_DEP_3)
	v_lshlrev_b32_e32 v51, 20, v51
	v_lshl_add_u32 v60, v60, 23, 0x3c000000
	v_and_b32_e32 v59, 0x80000000, v59
	s_delay_alu instid0(VALU_DEP_1)
	v_or3_b32 v74, v51, v59, v60
.LBB214_31:                             ;   in Loop: Header=BB214_14 Depth=1
	s_or_b32 exec_lo, exec_lo, s51
.LBB214_32:                             ;   in Loop: Header=BB214_14 Depth=1
	s_delay_alu instid0(SALU_CYCLE_1)
	s_or_b32 exec_lo, exec_lo, s50
.LBB214_33:                             ;   in Loop: Header=BB214_14 Depth=1
	s_delay_alu instid0(SALU_CYCLE_1)
	s_or_b32 exec_lo, exec_lo, s49
	global_load_u8 v59, v[57:58], off offset:8
	v_dual_mov_b32 v76, 0 :: v_dual_mov_b32 v77, 0
	s_mov_b32 s49, exec_lo
	s_waitcnt vmcnt(0)
	v_cmpx_ne_u16_e32 0, v59
	s_cbranch_execz .LBB214_41
; %bb.34:                               ;   in Loop: Header=BB214_14 Depth=1
	v_bfrev_b32_e32 v77, 1
	s_mov_b32 s50, exec_lo
	v_cmpx_ne_u16_e32 0x80, v59
	s_cbranch_execz .LBB214_40
; %bb.35:                               ;   in Loop: Header=BB214_14 Depth=1
	v_and_b32_e32 v51, 0xffff, v59
	v_mov_b32_e32 v77, 0x7f800001
	s_mov_b32 s51, exec_lo
	s_delay_alu instid0(VALU_DEP_2) | instskip(NEXT) | instid1(VALU_DEP_1)
	v_and_b32_e32 v78, 0x7f, v51
	v_cmpx_ne_u32_e32 0x7f, v78
	s_cbranch_execz .LBB214_39
; %bb.36:                               ;   in Loop: Header=BB214_14 Depth=1
	v_and_b32_e32 v51, 7, v51
	v_lshrrev_b32_e32 v60, 3, v78
	s_mov_b32 s52, exec_lo
	v_cmpx_gt_u32_e32 8, v78
; %bb.37:                               ;   in Loop: Header=BB214_14 Depth=1
	s_delay_alu instid0(VALU_DEP_3) | instskip(NEXT) | instid1(VALU_DEP_1)
	v_clz_i32_u32_e32 v60, v51
	v_min_u32_e32 v60, 32, v60
	s_delay_alu instid0(VALU_DEP_1) | instskip(SKIP_1) | instid1(VALU_DEP_2)
	v_subrev_nc_u32_e32 v77, 28, v60
	v_sub_nc_u32_e32 v60, 29, v60
	v_lshlrev_b64 v[77:78], v77, v[51:52]
	s_delay_alu instid0(VALU_DEP_1)
	v_and_b32_e32 v51, 7, v77
; %bb.38:                               ;   in Loop: Header=BB214_14 Depth=1
	s_or_b32 exec_lo, exec_lo, s52
	v_lshlrev_b32_e32 v59, 24, v59
	s_delay_alu instid0(VALU_DEP_2) | instskip(SKIP_1) | instid1(VALU_DEP_3)
	v_lshlrev_b32_e32 v51, 20, v51
	v_lshl_add_u32 v60, v60, 23, 0x3c000000
	v_and_b32_e32 v59, 0x80000000, v59
	s_delay_alu instid0(VALU_DEP_1)
	v_or3_b32 v77, v51, v59, v60
.LBB214_39:                             ;   in Loop: Header=BB214_14 Depth=1
	s_or_b32 exec_lo, exec_lo, s51
.LBB214_40:                             ;   in Loop: Header=BB214_14 Depth=1
	s_delay_alu instid0(SALU_CYCLE_1)
	s_or_b32 exec_lo, exec_lo, s50
.LBB214_41:                             ;   in Loop: Header=BB214_14 Depth=1
	s_delay_alu instid0(SALU_CYCLE_1)
	s_or_b32 exec_lo, exec_lo, s49
	global_load_u8 v59, v[57:58], off offset:12
	s_mov_b32 s49, exec_lo
	s_waitcnt vmcnt(0)
	v_cmpx_ne_u16_e32 0, v59
	s_cbranch_execz .LBB214_49
; %bb.42:                               ;   in Loop: Header=BB214_14 Depth=1
	v_bfrev_b32_e32 v76, 1
	s_mov_b32 s50, exec_lo
	v_cmpx_ne_u16_e32 0x80, v59
	s_cbranch_execz .LBB214_48
; %bb.43:                               ;   in Loop: Header=BB214_14 Depth=1
	v_and_b32_e32 v51, 0xffff, v59
	v_mov_b32_e32 v76, 0x7f800001
	s_mov_b32 s51, exec_lo
	s_delay_alu instid0(VALU_DEP_2) | instskip(NEXT) | instid1(VALU_DEP_1)
	v_and_b32_e32 v78, 0x7f, v51
	v_cmpx_ne_u32_e32 0x7f, v78
	s_cbranch_execz .LBB214_47
; %bb.44:                               ;   in Loop: Header=BB214_14 Depth=1
	v_and_b32_e32 v51, 7, v51
	v_lshrrev_b32_e32 v60, 3, v78
	s_mov_b32 s52, exec_lo
	v_cmpx_gt_u32_e32 8, v78
; %bb.45:                               ;   in Loop: Header=BB214_14 Depth=1
	s_delay_alu instid0(VALU_DEP_3) | instskip(NEXT) | instid1(VALU_DEP_1)
	v_clz_i32_u32_e32 v60, v51
	v_min_u32_e32 v60, 32, v60
	s_delay_alu instid0(VALU_DEP_1) | instskip(SKIP_1) | instid1(VALU_DEP_2)
	v_subrev_nc_u32_e32 v76, 28, v60
	v_sub_nc_u32_e32 v60, 29, v60
	v_lshlrev_b64 v[78:79], v76, v[51:52]
	s_delay_alu instid0(VALU_DEP_1)
	v_and_b32_e32 v51, 7, v78
; %bb.46:                               ;   in Loop: Header=BB214_14 Depth=1
	s_or_b32 exec_lo, exec_lo, s52
	v_lshlrev_b32_e32 v59, 24, v59
	s_delay_alu instid0(VALU_DEP_2) | instskip(SKIP_1) | instid1(VALU_DEP_3)
	v_lshlrev_b32_e32 v51, 20, v51
	v_lshl_add_u32 v60, v60, 23, 0x3c000000
	v_and_b32_e32 v59, 0x80000000, v59
	s_delay_alu instid0(VALU_DEP_1)
	v_or3_b32 v76, v51, v59, v60
.LBB214_47:                             ;   in Loop: Header=BB214_14 Depth=1
	s_or_b32 exec_lo, exec_lo, s51
.LBB214_48:                             ;   in Loop: Header=BB214_14 Depth=1
	s_delay_alu instid0(SALU_CYCLE_1)
	s_or_b32 exec_lo, exec_lo, s50
.LBB214_49:                             ;   in Loop: Header=BB214_14 Depth=1
	s_delay_alu instid0(SALU_CYCLE_1)
	s_or_b32 exec_lo, exec_lo, s49
	global_load_u8 v59, v[57:58], off offset:128
	v_dual_mov_b32 v78, 0 :: v_dual_mov_b32 v79, 0
	s_mov_b32 s49, exec_lo
	s_waitcnt vmcnt(0)
	v_cmpx_ne_u16_e32 0, v59
	s_cbranch_execz .LBB214_57
; %bb.50:                               ;   in Loop: Header=BB214_14 Depth=1
	v_bfrev_b32_e32 v79, 1
	s_mov_b32 s50, exec_lo
	v_cmpx_ne_u16_e32 0x80, v59
	s_cbranch_execz .LBB214_56
; %bb.51:                               ;   in Loop: Header=BB214_14 Depth=1
	v_and_b32_e32 v51, 0xffff, v59
	v_mov_b32_e32 v79, 0x7f800001
	s_mov_b32 s51, exec_lo
	s_delay_alu instid0(VALU_DEP_2) | instskip(NEXT) | instid1(VALU_DEP_1)
	v_and_b32_e32 v80, 0x7f, v51
	v_cmpx_ne_u32_e32 0x7f, v80
	s_cbranch_execz .LBB214_55
; %bb.52:                               ;   in Loop: Header=BB214_14 Depth=1
	v_and_b32_e32 v51, 7, v51
	v_lshrrev_b32_e32 v60, 3, v80
	s_mov_b32 s52, exec_lo
	v_cmpx_gt_u32_e32 8, v80
; %bb.53:                               ;   in Loop: Header=BB214_14 Depth=1
	s_delay_alu instid0(VALU_DEP_3) | instskip(NEXT) | instid1(VALU_DEP_1)
	v_clz_i32_u32_e32 v60, v51
	v_min_u32_e32 v60, 32, v60
	s_delay_alu instid0(VALU_DEP_1) | instskip(SKIP_1) | instid1(VALU_DEP_2)
	v_subrev_nc_u32_e32 v79, 28, v60
	v_sub_nc_u32_e32 v60, 29, v60
	v_lshlrev_b64 v[79:80], v79, v[51:52]
	s_delay_alu instid0(VALU_DEP_1)
	v_and_b32_e32 v51, 7, v79
; %bb.54:                               ;   in Loop: Header=BB214_14 Depth=1
	s_or_b32 exec_lo, exec_lo, s52
	v_lshlrev_b32_e32 v59, 24, v59
	s_delay_alu instid0(VALU_DEP_2) | instskip(SKIP_1) | instid1(VALU_DEP_3)
	v_lshlrev_b32_e32 v51, 20, v51
	v_lshl_add_u32 v60, v60, 23, 0x3c000000
	v_and_b32_e32 v59, 0x80000000, v59
	s_delay_alu instid0(VALU_DEP_1)
	v_or3_b32 v79, v51, v59, v60
.LBB214_55:                             ;   in Loop: Header=BB214_14 Depth=1
	s_or_b32 exec_lo, exec_lo, s51
.LBB214_56:                             ;   in Loop: Header=BB214_14 Depth=1
	s_delay_alu instid0(SALU_CYCLE_1)
	s_or_b32 exec_lo, exec_lo, s50
.LBB214_57:                             ;   in Loop: Header=BB214_14 Depth=1
	s_delay_alu instid0(SALU_CYCLE_1)
	s_or_b32 exec_lo, exec_lo, s49
	global_load_u8 v59, v[57:58], off offset:132
	s_mov_b32 s49, exec_lo
	s_waitcnt vmcnt(0)
	v_cmpx_ne_u16_e32 0, v59
	s_cbranch_execz .LBB214_65
; %bb.58:                               ;   in Loop: Header=BB214_14 Depth=1
	v_bfrev_b32_e32 v78, 1
	s_mov_b32 s50, exec_lo
	v_cmpx_ne_u16_e32 0x80, v59
	s_cbranch_execz .LBB214_64
; %bb.59:                               ;   in Loop: Header=BB214_14 Depth=1
	v_and_b32_e32 v51, 0xffff, v59
	v_mov_b32_e32 v78, 0x7f800001
	s_mov_b32 s51, exec_lo
	s_delay_alu instid0(VALU_DEP_2) | instskip(NEXT) | instid1(VALU_DEP_1)
	v_and_b32_e32 v80, 0x7f, v51
	v_cmpx_ne_u32_e32 0x7f, v80
	s_cbranch_execz .LBB214_63
; %bb.60:                               ;   in Loop: Header=BB214_14 Depth=1
	v_and_b32_e32 v51, 7, v51
	v_lshrrev_b32_e32 v60, 3, v80
	s_mov_b32 s52, exec_lo
	v_cmpx_gt_u32_e32 8, v80
; %bb.61:                               ;   in Loop: Header=BB214_14 Depth=1
	s_delay_alu instid0(VALU_DEP_3) | instskip(NEXT) | instid1(VALU_DEP_1)
	v_clz_i32_u32_e32 v60, v51
	v_min_u32_e32 v60, 32, v60
	s_delay_alu instid0(VALU_DEP_1) | instskip(SKIP_1) | instid1(VALU_DEP_2)
	v_subrev_nc_u32_e32 v78, 28, v60
	v_sub_nc_u32_e32 v60, 29, v60
	v_lshlrev_b64 v[80:81], v78, v[51:52]
	s_delay_alu instid0(VALU_DEP_1)
	v_and_b32_e32 v51, 7, v80
; %bb.62:                               ;   in Loop: Header=BB214_14 Depth=1
	s_or_b32 exec_lo, exec_lo, s52
	v_lshlrev_b32_e32 v59, 24, v59
	s_delay_alu instid0(VALU_DEP_2) | instskip(SKIP_1) | instid1(VALU_DEP_3)
	v_lshlrev_b32_e32 v51, 20, v51
	v_lshl_add_u32 v60, v60, 23, 0x3c000000
	v_and_b32_e32 v59, 0x80000000, v59
	s_delay_alu instid0(VALU_DEP_1)
	v_or3_b32 v78, v51, v59, v60
.LBB214_63:                             ;   in Loop: Header=BB214_14 Depth=1
	s_or_b32 exec_lo, exec_lo, s51
.LBB214_64:                             ;   in Loop: Header=BB214_14 Depth=1
	s_delay_alu instid0(SALU_CYCLE_1)
	s_or_b32 exec_lo, exec_lo, s50
.LBB214_65:                             ;   in Loop: Header=BB214_14 Depth=1
	s_delay_alu instid0(SALU_CYCLE_1) | instskip(SKIP_1) | instid1(VALU_DEP_1)
	s_or_b32 exec_lo, exec_lo, s49
	v_add_co_u32 v59, s2, 0x80, v57
	v_add_co_ci_u32_e64 v60, s2, 0, v58, s2
	v_dual_mov_b32 v80, 0 :: v_dual_mov_b32 v81, 0
	s_mov_b32 s49, exec_lo
	global_load_u8 v82, v[59:60], off offset:8
	s_waitcnt vmcnt(0)
	v_cmpx_ne_u16_e32 0, v82
	s_cbranch_execz .LBB214_73
; %bb.66:                               ;   in Loop: Header=BB214_14 Depth=1
	v_bfrev_b32_e32 v81, 1
	s_mov_b32 s50, exec_lo
	v_cmpx_ne_u16_e32 0x80, v82
	s_cbranch_execz .LBB214_72
; %bb.67:                               ;   in Loop: Header=BB214_14 Depth=1
	v_and_b32_e32 v51, 0xffff, v82
	v_mov_b32_e32 v81, 0x7f800001
	s_mov_b32 s51, exec_lo
	s_delay_alu instid0(VALU_DEP_2) | instskip(NEXT) | instid1(VALU_DEP_1)
	v_and_b32_e32 v83, 0x7f, v51
	v_cmpx_ne_u32_e32 0x7f, v83
	s_cbranch_execz .LBB214_71
; %bb.68:                               ;   in Loop: Header=BB214_14 Depth=1
	v_and_b32_e32 v51, 7, v51
	v_lshrrev_b32_e32 v81, 3, v83
	s_mov_b32 s52, exec_lo
	v_cmpx_gt_u32_e32 8, v83
; %bb.69:                               ;   in Loop: Header=BB214_14 Depth=1
	s_delay_alu instid0(VALU_DEP_3) | instskip(NEXT) | instid1(VALU_DEP_1)
	v_clz_i32_u32_e32 v81, v51
	v_min_u32_e32 v81, 32, v81
	s_delay_alu instid0(VALU_DEP_1) | instskip(SKIP_1) | instid1(VALU_DEP_2)
	v_subrev_nc_u32_e32 v83, 28, v81
	v_sub_nc_u32_e32 v81, 29, v81
	v_lshlrev_b64 v[83:84], v83, v[51:52]
	s_delay_alu instid0(VALU_DEP_1)
	v_and_b32_e32 v51, 7, v83
; %bb.70:                               ;   in Loop: Header=BB214_14 Depth=1
	s_or_b32 exec_lo, exec_lo, s52
	v_lshlrev_b32_e32 v82, 24, v82
	s_delay_alu instid0(VALU_DEP_2) | instskip(SKIP_1) | instid1(VALU_DEP_3)
	v_lshlrev_b32_e32 v51, 20, v51
	v_lshl_add_u32 v81, v81, 23, 0x3c000000
	v_and_b32_e32 v82, 0x80000000, v82
	s_delay_alu instid0(VALU_DEP_1)
	v_or3_b32 v81, v51, v82, v81
.LBB214_71:                             ;   in Loop: Header=BB214_14 Depth=1
	s_or_b32 exec_lo, exec_lo, s51
.LBB214_72:                             ;   in Loop: Header=BB214_14 Depth=1
	s_delay_alu instid0(SALU_CYCLE_1)
	s_or_b32 exec_lo, exec_lo, s50
.LBB214_73:                             ;   in Loop: Header=BB214_14 Depth=1
	s_delay_alu instid0(SALU_CYCLE_1)
	s_or_b32 exec_lo, exec_lo, s49
	global_load_u8 v59, v[59:60], off offset:12
	s_mov_b32 s49, exec_lo
	s_waitcnt vmcnt(0)
	v_cmpx_ne_u16_e32 0, v59
	s_cbranch_execz .LBB214_81
; %bb.74:                               ;   in Loop: Header=BB214_14 Depth=1
	v_bfrev_b32_e32 v80, 1
	s_mov_b32 s50, exec_lo
	v_cmpx_ne_u16_e32 0x80, v59
	s_cbranch_execz .LBB214_80
; %bb.75:                               ;   in Loop: Header=BB214_14 Depth=1
	v_and_b32_e32 v51, 0xffff, v59
	v_mov_b32_e32 v80, 0x7f800001
	s_mov_b32 s51, exec_lo
	s_delay_alu instid0(VALU_DEP_2) | instskip(NEXT) | instid1(VALU_DEP_1)
	v_and_b32_e32 v82, 0x7f, v51
	v_cmpx_ne_u32_e32 0x7f, v82
	s_cbranch_execz .LBB214_79
; %bb.76:                               ;   in Loop: Header=BB214_14 Depth=1
	v_and_b32_e32 v51, 7, v51
	v_lshrrev_b32_e32 v60, 3, v82
	s_mov_b32 s52, exec_lo
	v_cmpx_gt_u32_e32 8, v82
; %bb.77:                               ;   in Loop: Header=BB214_14 Depth=1
	s_delay_alu instid0(VALU_DEP_3) | instskip(NEXT) | instid1(VALU_DEP_1)
	v_clz_i32_u32_e32 v60, v51
	v_min_u32_e32 v60, 32, v60
	s_delay_alu instid0(VALU_DEP_1) | instskip(SKIP_1) | instid1(VALU_DEP_2)
	v_subrev_nc_u32_e32 v80, 28, v60
	v_sub_nc_u32_e32 v60, 29, v60
	v_lshlrev_b64 v[82:83], v80, v[51:52]
	s_delay_alu instid0(VALU_DEP_1)
	v_and_b32_e32 v51, 7, v82
; %bb.78:                               ;   in Loop: Header=BB214_14 Depth=1
	s_or_b32 exec_lo, exec_lo, s52
	v_lshlrev_b32_e32 v59, 24, v59
	s_delay_alu instid0(VALU_DEP_2) | instskip(SKIP_1) | instid1(VALU_DEP_3)
	v_lshlrev_b32_e32 v51, 20, v51
	v_lshl_add_u32 v60, v60, 23, 0x3c000000
	v_and_b32_e32 v59, 0x80000000, v59
	s_delay_alu instid0(VALU_DEP_1)
	v_or3_b32 v80, v51, v59, v60
.LBB214_79:                             ;   in Loop: Header=BB214_14 Depth=1
	s_or_b32 exec_lo, exec_lo, s51
.LBB214_80:                             ;   in Loop: Header=BB214_14 Depth=1
	s_delay_alu instid0(SALU_CYCLE_1)
	s_or_b32 exec_lo, exec_lo, s50
.LBB214_81:                             ;   in Loop: Header=BB214_14 Depth=1
	s_delay_alu instid0(SALU_CYCLE_1)
	s_or_b32 exec_lo, exec_lo, s49
	global_load_u8 v59, v[57:58], off offset:256
	v_dual_mov_b32 v82, 0 :: v_dual_mov_b32 v83, 0
	s_mov_b32 s49, exec_lo
	s_waitcnt vmcnt(0)
	v_cmpx_ne_u16_e32 0, v59
	s_cbranch_execz .LBB214_89
; %bb.82:                               ;   in Loop: Header=BB214_14 Depth=1
	v_bfrev_b32_e32 v83, 1
	s_mov_b32 s50, exec_lo
	v_cmpx_ne_u16_e32 0x80, v59
	s_cbranch_execz .LBB214_88
; %bb.83:                               ;   in Loop: Header=BB214_14 Depth=1
	v_and_b32_e32 v51, 0xffff, v59
	v_mov_b32_e32 v83, 0x7f800001
	s_mov_b32 s51, exec_lo
	s_delay_alu instid0(VALU_DEP_2) | instskip(NEXT) | instid1(VALU_DEP_1)
	v_and_b32_e32 v84, 0x7f, v51
	v_cmpx_ne_u32_e32 0x7f, v84
	s_cbranch_execz .LBB214_87
; %bb.84:                               ;   in Loop: Header=BB214_14 Depth=1
	v_and_b32_e32 v51, 7, v51
	v_lshrrev_b32_e32 v60, 3, v84
	s_mov_b32 s52, exec_lo
	v_cmpx_gt_u32_e32 8, v84
; %bb.85:                               ;   in Loop: Header=BB214_14 Depth=1
	s_delay_alu instid0(VALU_DEP_3) | instskip(NEXT) | instid1(VALU_DEP_1)
	v_clz_i32_u32_e32 v60, v51
	v_min_u32_e32 v60, 32, v60
	s_delay_alu instid0(VALU_DEP_1) | instskip(SKIP_1) | instid1(VALU_DEP_2)
	v_subrev_nc_u32_e32 v83, 28, v60
	v_sub_nc_u32_e32 v60, 29, v60
	v_lshlrev_b64 v[83:84], v83, v[51:52]
	s_delay_alu instid0(VALU_DEP_1)
	v_and_b32_e32 v51, 7, v83
; %bb.86:                               ;   in Loop: Header=BB214_14 Depth=1
	s_or_b32 exec_lo, exec_lo, s52
	v_lshlrev_b32_e32 v59, 24, v59
	s_delay_alu instid0(VALU_DEP_2) | instskip(SKIP_1) | instid1(VALU_DEP_3)
	v_lshlrev_b32_e32 v51, 20, v51
	v_lshl_add_u32 v60, v60, 23, 0x3c000000
	v_and_b32_e32 v59, 0x80000000, v59
	s_delay_alu instid0(VALU_DEP_1)
	v_or3_b32 v83, v51, v59, v60
.LBB214_87:                             ;   in Loop: Header=BB214_14 Depth=1
	s_or_b32 exec_lo, exec_lo, s51
.LBB214_88:                             ;   in Loop: Header=BB214_14 Depth=1
	s_delay_alu instid0(SALU_CYCLE_1)
	s_or_b32 exec_lo, exec_lo, s50
.LBB214_89:                             ;   in Loop: Header=BB214_14 Depth=1
	s_delay_alu instid0(SALU_CYCLE_1)
	s_or_b32 exec_lo, exec_lo, s49
	global_load_u8 v59, v[57:58], off offset:260
	s_mov_b32 s49, exec_lo
	s_waitcnt vmcnt(0)
	v_cmpx_ne_u16_e32 0, v59
	s_cbranch_execz .LBB214_97
; %bb.90:                               ;   in Loop: Header=BB214_14 Depth=1
	v_bfrev_b32_e32 v82, 1
	s_mov_b32 s50, exec_lo
	v_cmpx_ne_u16_e32 0x80, v59
	s_cbranch_execz .LBB214_96
; %bb.91:                               ;   in Loop: Header=BB214_14 Depth=1
	v_and_b32_e32 v51, 0xffff, v59
	v_mov_b32_e32 v82, 0x7f800001
	s_mov_b32 s51, exec_lo
	s_delay_alu instid0(VALU_DEP_2) | instskip(NEXT) | instid1(VALU_DEP_1)
	v_and_b32_e32 v84, 0x7f, v51
	v_cmpx_ne_u32_e32 0x7f, v84
	s_cbranch_execz .LBB214_95
; %bb.92:                               ;   in Loop: Header=BB214_14 Depth=1
	v_and_b32_e32 v51, 7, v51
	v_lshrrev_b32_e32 v60, 3, v84
	s_mov_b32 s52, exec_lo
	v_cmpx_gt_u32_e32 8, v84
; %bb.93:                               ;   in Loop: Header=BB214_14 Depth=1
	s_delay_alu instid0(VALU_DEP_3) | instskip(NEXT) | instid1(VALU_DEP_1)
	v_clz_i32_u32_e32 v60, v51
	v_min_u32_e32 v60, 32, v60
	s_delay_alu instid0(VALU_DEP_1) | instskip(SKIP_1) | instid1(VALU_DEP_2)
	v_subrev_nc_u32_e32 v82, 28, v60
	v_sub_nc_u32_e32 v60, 29, v60
	v_lshlrev_b64 v[84:85], v82, v[51:52]
	s_delay_alu instid0(VALU_DEP_1)
	v_and_b32_e32 v51, 7, v84
; %bb.94:                               ;   in Loop: Header=BB214_14 Depth=1
	s_or_b32 exec_lo, exec_lo, s52
	v_lshlrev_b32_e32 v59, 24, v59
	s_delay_alu instid0(VALU_DEP_2) | instskip(SKIP_1) | instid1(VALU_DEP_3)
	v_lshlrev_b32_e32 v51, 20, v51
	v_lshl_add_u32 v60, v60, 23, 0x3c000000
	v_and_b32_e32 v59, 0x80000000, v59
	s_delay_alu instid0(VALU_DEP_1)
	v_or3_b32 v82, v51, v59, v60
.LBB214_95:                             ;   in Loop: Header=BB214_14 Depth=1
	s_or_b32 exec_lo, exec_lo, s51
.LBB214_96:                             ;   in Loop: Header=BB214_14 Depth=1
	s_delay_alu instid0(SALU_CYCLE_1)
	s_or_b32 exec_lo, exec_lo, s50
.LBB214_97:                             ;   in Loop: Header=BB214_14 Depth=1
	s_delay_alu instid0(SALU_CYCLE_1) | instskip(SKIP_1) | instid1(VALU_DEP_1)
	s_or_b32 exec_lo, exec_lo, s49
	v_add_co_u32 v59, s2, 0x100, v57
	v_add_co_ci_u32_e64 v60, s2, 0, v58, s2
	v_dual_mov_b32 v84, 0 :: v_dual_mov_b32 v85, 0
	s_mov_b32 s49, exec_lo
	global_load_u8 v86, v[59:60], off offset:8
	s_waitcnt vmcnt(0)
	v_cmpx_ne_u16_e32 0, v86
	s_cbranch_execz .LBB214_105
; %bb.98:                               ;   in Loop: Header=BB214_14 Depth=1
	v_bfrev_b32_e32 v85, 1
	s_mov_b32 s50, exec_lo
	v_cmpx_ne_u16_e32 0x80, v86
	s_cbranch_execz .LBB214_104
; %bb.99:                               ;   in Loop: Header=BB214_14 Depth=1
	v_and_b32_e32 v51, 0xffff, v86
	v_mov_b32_e32 v85, 0x7f800001
	s_mov_b32 s51, exec_lo
	s_delay_alu instid0(VALU_DEP_2) | instskip(NEXT) | instid1(VALU_DEP_1)
	v_and_b32_e32 v87, 0x7f, v51
	v_cmpx_ne_u32_e32 0x7f, v87
	s_cbranch_execz .LBB214_103
; %bb.100:                              ;   in Loop: Header=BB214_14 Depth=1
	v_and_b32_e32 v51, 7, v51
	v_lshrrev_b32_e32 v85, 3, v87
	s_mov_b32 s52, exec_lo
	v_cmpx_gt_u32_e32 8, v87
; %bb.101:                              ;   in Loop: Header=BB214_14 Depth=1
	s_delay_alu instid0(VALU_DEP_3) | instskip(NEXT) | instid1(VALU_DEP_1)
	v_clz_i32_u32_e32 v85, v51
	v_min_u32_e32 v85, 32, v85
	s_delay_alu instid0(VALU_DEP_1) | instskip(SKIP_1) | instid1(VALU_DEP_2)
	v_subrev_nc_u32_e32 v87, 28, v85
	v_sub_nc_u32_e32 v85, 29, v85
	v_lshlrev_b64 v[87:88], v87, v[51:52]
	s_delay_alu instid0(VALU_DEP_1)
	v_and_b32_e32 v51, 7, v87
; %bb.102:                              ;   in Loop: Header=BB214_14 Depth=1
	s_or_b32 exec_lo, exec_lo, s52
	v_lshlrev_b32_e32 v86, 24, v86
	s_delay_alu instid0(VALU_DEP_2) | instskip(SKIP_1) | instid1(VALU_DEP_3)
	v_lshlrev_b32_e32 v51, 20, v51
	v_lshl_add_u32 v85, v85, 23, 0x3c000000
	v_and_b32_e32 v86, 0x80000000, v86
	s_delay_alu instid0(VALU_DEP_1)
	v_or3_b32 v85, v51, v86, v85
.LBB214_103:                            ;   in Loop: Header=BB214_14 Depth=1
	s_or_b32 exec_lo, exec_lo, s51
.LBB214_104:                            ;   in Loop: Header=BB214_14 Depth=1
	s_delay_alu instid0(SALU_CYCLE_1)
	s_or_b32 exec_lo, exec_lo, s50
.LBB214_105:                            ;   in Loop: Header=BB214_14 Depth=1
	s_delay_alu instid0(SALU_CYCLE_1)
	s_or_b32 exec_lo, exec_lo, s49
	global_load_u8 v59, v[59:60], off offset:12
	s_mov_b32 s49, exec_lo
	s_waitcnt vmcnt(0)
	v_cmpx_ne_u16_e32 0, v59
	s_cbranch_execz .LBB214_113
; %bb.106:                              ;   in Loop: Header=BB214_14 Depth=1
	v_bfrev_b32_e32 v84, 1
	s_mov_b32 s50, exec_lo
	v_cmpx_ne_u16_e32 0x80, v59
	s_cbranch_execz .LBB214_112
; %bb.107:                              ;   in Loop: Header=BB214_14 Depth=1
	v_and_b32_e32 v51, 0xffff, v59
	v_mov_b32_e32 v84, 0x7f800001
	s_mov_b32 s51, exec_lo
	s_delay_alu instid0(VALU_DEP_2) | instskip(NEXT) | instid1(VALU_DEP_1)
	v_and_b32_e32 v86, 0x7f, v51
	v_cmpx_ne_u32_e32 0x7f, v86
	s_cbranch_execz .LBB214_111
; %bb.108:                              ;   in Loop: Header=BB214_14 Depth=1
	v_and_b32_e32 v51, 7, v51
	v_lshrrev_b32_e32 v60, 3, v86
	s_mov_b32 s52, exec_lo
	v_cmpx_gt_u32_e32 8, v86
; %bb.109:                              ;   in Loop: Header=BB214_14 Depth=1
	s_delay_alu instid0(VALU_DEP_3) | instskip(NEXT) | instid1(VALU_DEP_1)
	v_clz_i32_u32_e32 v60, v51
	v_min_u32_e32 v60, 32, v60
	s_delay_alu instid0(VALU_DEP_1) | instskip(SKIP_1) | instid1(VALU_DEP_2)
	v_subrev_nc_u32_e32 v84, 28, v60
	v_sub_nc_u32_e32 v60, 29, v60
	v_lshlrev_b64 v[86:87], v84, v[51:52]
	s_delay_alu instid0(VALU_DEP_1)
	v_and_b32_e32 v51, 7, v86
; %bb.110:                              ;   in Loop: Header=BB214_14 Depth=1
	s_or_b32 exec_lo, exec_lo, s52
	v_lshlrev_b32_e32 v59, 24, v59
	s_delay_alu instid0(VALU_DEP_2) | instskip(SKIP_1) | instid1(VALU_DEP_3)
	v_lshlrev_b32_e32 v51, 20, v51
	v_lshl_add_u32 v60, v60, 23, 0x3c000000
	v_and_b32_e32 v59, 0x80000000, v59
	s_delay_alu instid0(VALU_DEP_1)
	v_or3_b32 v84, v51, v59, v60
.LBB214_111:                            ;   in Loop: Header=BB214_14 Depth=1
	s_or_b32 exec_lo, exec_lo, s51
.LBB214_112:                            ;   in Loop: Header=BB214_14 Depth=1
	s_delay_alu instid0(SALU_CYCLE_1)
	s_or_b32 exec_lo, exec_lo, s50
.LBB214_113:                            ;   in Loop: Header=BB214_14 Depth=1
	s_delay_alu instid0(SALU_CYCLE_1)
	s_or_b32 exec_lo, exec_lo, s49
	global_load_u8 v59, v[57:58], off offset:384
	v_dual_mov_b32 v86, 0 :: v_dual_mov_b32 v87, 0
	s_mov_b32 s49, exec_lo
	s_waitcnt vmcnt(0)
	v_cmpx_ne_u16_e32 0, v59
	s_cbranch_execz .LBB214_121
; %bb.114:                              ;   in Loop: Header=BB214_14 Depth=1
	v_bfrev_b32_e32 v87, 1
	s_mov_b32 s50, exec_lo
	v_cmpx_ne_u16_e32 0x80, v59
	s_cbranch_execz .LBB214_120
; %bb.115:                              ;   in Loop: Header=BB214_14 Depth=1
	v_and_b32_e32 v51, 0xffff, v59
	v_mov_b32_e32 v87, 0x7f800001
	s_mov_b32 s51, exec_lo
	s_delay_alu instid0(VALU_DEP_2) | instskip(NEXT) | instid1(VALU_DEP_1)
	v_and_b32_e32 v88, 0x7f, v51
	v_cmpx_ne_u32_e32 0x7f, v88
	s_cbranch_execz .LBB214_119
; %bb.116:                              ;   in Loop: Header=BB214_14 Depth=1
	v_and_b32_e32 v51, 7, v51
	v_lshrrev_b32_e32 v60, 3, v88
	s_mov_b32 s52, exec_lo
	v_cmpx_gt_u32_e32 8, v88
; %bb.117:                              ;   in Loop: Header=BB214_14 Depth=1
	s_delay_alu instid0(VALU_DEP_3) | instskip(NEXT) | instid1(VALU_DEP_1)
	v_clz_i32_u32_e32 v60, v51
	v_min_u32_e32 v60, 32, v60
	s_delay_alu instid0(VALU_DEP_1) | instskip(SKIP_1) | instid1(VALU_DEP_2)
	v_subrev_nc_u32_e32 v87, 28, v60
	v_sub_nc_u32_e32 v60, 29, v60
	v_lshlrev_b64 v[87:88], v87, v[51:52]
	s_delay_alu instid0(VALU_DEP_1)
	v_and_b32_e32 v51, 7, v87
; %bb.118:                              ;   in Loop: Header=BB214_14 Depth=1
	s_or_b32 exec_lo, exec_lo, s52
	v_lshlrev_b32_e32 v59, 24, v59
	s_delay_alu instid0(VALU_DEP_2) | instskip(SKIP_1) | instid1(VALU_DEP_3)
	v_lshlrev_b32_e32 v51, 20, v51
	v_lshl_add_u32 v60, v60, 23, 0x3c000000
	v_and_b32_e32 v59, 0x80000000, v59
	s_delay_alu instid0(VALU_DEP_1)
	v_or3_b32 v87, v51, v59, v60
.LBB214_119:                            ;   in Loop: Header=BB214_14 Depth=1
	s_or_b32 exec_lo, exec_lo, s51
.LBB214_120:                            ;   in Loop: Header=BB214_14 Depth=1
	s_delay_alu instid0(SALU_CYCLE_1)
	s_or_b32 exec_lo, exec_lo, s50
.LBB214_121:                            ;   in Loop: Header=BB214_14 Depth=1
	s_delay_alu instid0(SALU_CYCLE_1)
	s_or_b32 exec_lo, exec_lo, s49
	global_load_u8 v59, v[57:58], off offset:388
	s_mov_b32 s49, exec_lo
	s_waitcnt vmcnt(0)
	v_cmpx_ne_u16_e32 0, v59
	s_cbranch_execz .LBB214_129
; %bb.122:                              ;   in Loop: Header=BB214_14 Depth=1
	v_bfrev_b32_e32 v86, 1
	s_mov_b32 s50, exec_lo
	v_cmpx_ne_u16_e32 0x80, v59
	s_cbranch_execz .LBB214_128
; %bb.123:                              ;   in Loop: Header=BB214_14 Depth=1
	v_and_b32_e32 v51, 0xffff, v59
	v_mov_b32_e32 v86, 0x7f800001
	s_mov_b32 s51, exec_lo
	s_delay_alu instid0(VALU_DEP_2) | instskip(NEXT) | instid1(VALU_DEP_1)
	v_and_b32_e32 v88, 0x7f, v51
	v_cmpx_ne_u32_e32 0x7f, v88
	s_cbranch_execz .LBB214_127
; %bb.124:                              ;   in Loop: Header=BB214_14 Depth=1
	v_and_b32_e32 v51, 7, v51
	v_lshrrev_b32_e32 v60, 3, v88
	s_mov_b32 s52, exec_lo
	v_cmpx_gt_u32_e32 8, v88
; %bb.125:                              ;   in Loop: Header=BB214_14 Depth=1
	s_delay_alu instid0(VALU_DEP_3) | instskip(NEXT) | instid1(VALU_DEP_1)
	v_clz_i32_u32_e32 v60, v51
	v_min_u32_e32 v60, 32, v60
	s_delay_alu instid0(VALU_DEP_1) | instskip(SKIP_1) | instid1(VALU_DEP_2)
	v_subrev_nc_u32_e32 v86, 28, v60
	v_sub_nc_u32_e32 v60, 29, v60
	v_lshlrev_b64 v[88:89], v86, v[51:52]
	s_delay_alu instid0(VALU_DEP_1)
	v_and_b32_e32 v51, 7, v88
; %bb.126:                              ;   in Loop: Header=BB214_14 Depth=1
	s_or_b32 exec_lo, exec_lo, s52
	v_lshlrev_b32_e32 v59, 24, v59
	s_delay_alu instid0(VALU_DEP_2) | instskip(SKIP_1) | instid1(VALU_DEP_3)
	v_lshlrev_b32_e32 v51, 20, v51
	v_lshl_add_u32 v60, v60, 23, 0x3c000000
	v_and_b32_e32 v59, 0x80000000, v59
	s_delay_alu instid0(VALU_DEP_1)
	v_or3_b32 v86, v51, v59, v60
.LBB214_127:                            ;   in Loop: Header=BB214_14 Depth=1
	s_or_b32 exec_lo, exec_lo, s51
.LBB214_128:                            ;   in Loop: Header=BB214_14 Depth=1
	s_delay_alu instid0(SALU_CYCLE_1)
	s_or_b32 exec_lo, exec_lo, s50
.LBB214_129:                            ;   in Loop: Header=BB214_14 Depth=1
	s_delay_alu instid0(SALU_CYCLE_1) | instskip(SKIP_1) | instid1(VALU_DEP_1)
	s_or_b32 exec_lo, exec_lo, s49
	v_add_co_u32 v59, s2, 0x180, v57
	v_add_co_ci_u32_e64 v60, s2, 0, v58, s2
	v_dual_mov_b32 v88, 0 :: v_dual_mov_b32 v89, 0
	s_mov_b32 s49, exec_lo
	global_load_u8 v90, v[59:60], off offset:8
	s_waitcnt vmcnt(0)
	v_cmpx_ne_u16_e32 0, v90
	s_cbranch_execz .LBB214_137
; %bb.130:                              ;   in Loop: Header=BB214_14 Depth=1
	v_bfrev_b32_e32 v89, 1
	s_mov_b32 s50, exec_lo
	v_cmpx_ne_u16_e32 0x80, v90
	s_cbranch_execz .LBB214_136
; %bb.131:                              ;   in Loop: Header=BB214_14 Depth=1
	v_and_b32_e32 v51, 0xffff, v90
	v_mov_b32_e32 v89, 0x7f800001
	s_mov_b32 s51, exec_lo
	s_delay_alu instid0(VALU_DEP_2) | instskip(NEXT) | instid1(VALU_DEP_1)
	v_and_b32_e32 v91, 0x7f, v51
	v_cmpx_ne_u32_e32 0x7f, v91
	s_cbranch_execz .LBB214_135
; %bb.132:                              ;   in Loop: Header=BB214_14 Depth=1
	v_and_b32_e32 v51, 7, v51
	v_lshrrev_b32_e32 v89, 3, v91
	s_mov_b32 s52, exec_lo
	v_cmpx_gt_u32_e32 8, v91
; %bb.133:                              ;   in Loop: Header=BB214_14 Depth=1
	s_delay_alu instid0(VALU_DEP_3) | instskip(NEXT) | instid1(VALU_DEP_1)
	v_clz_i32_u32_e32 v89, v51
	v_min_u32_e32 v89, 32, v89
	s_delay_alu instid0(VALU_DEP_1) | instskip(SKIP_1) | instid1(VALU_DEP_2)
	v_subrev_nc_u32_e32 v91, 28, v89
	v_sub_nc_u32_e32 v89, 29, v89
	v_lshlrev_b64 v[91:92], v91, v[51:52]
	s_delay_alu instid0(VALU_DEP_1)
	v_and_b32_e32 v51, 7, v91
; %bb.134:                              ;   in Loop: Header=BB214_14 Depth=1
	s_or_b32 exec_lo, exec_lo, s52
	v_lshlrev_b32_e32 v90, 24, v90
	s_delay_alu instid0(VALU_DEP_2) | instskip(SKIP_1) | instid1(VALU_DEP_3)
	v_lshlrev_b32_e32 v51, 20, v51
	v_lshl_add_u32 v89, v89, 23, 0x3c000000
	v_and_b32_e32 v90, 0x80000000, v90
	s_delay_alu instid0(VALU_DEP_1)
	v_or3_b32 v89, v51, v90, v89
.LBB214_135:                            ;   in Loop: Header=BB214_14 Depth=1
	s_or_b32 exec_lo, exec_lo, s51
.LBB214_136:                            ;   in Loop: Header=BB214_14 Depth=1
	s_delay_alu instid0(SALU_CYCLE_1)
	s_or_b32 exec_lo, exec_lo, s50
.LBB214_137:                            ;   in Loop: Header=BB214_14 Depth=1
	s_delay_alu instid0(SALU_CYCLE_1)
	s_or_b32 exec_lo, exec_lo, s49
	global_load_u8 v59, v[59:60], off offset:12
	s_mov_b32 s49, exec_lo
	s_waitcnt vmcnt(0)
	v_cmpx_ne_u16_e32 0, v59
	s_cbranch_execz .LBB214_145
; %bb.138:                              ;   in Loop: Header=BB214_14 Depth=1
	v_bfrev_b32_e32 v88, 1
	s_mov_b32 s50, exec_lo
	v_cmpx_ne_u16_e32 0x80, v59
	s_cbranch_execz .LBB214_144
; %bb.139:                              ;   in Loop: Header=BB214_14 Depth=1
	v_and_b32_e32 v51, 0xffff, v59
	v_mov_b32_e32 v88, 0x7f800001
	s_mov_b32 s51, exec_lo
	s_delay_alu instid0(VALU_DEP_2) | instskip(NEXT) | instid1(VALU_DEP_1)
	v_and_b32_e32 v90, 0x7f, v51
	v_cmpx_ne_u32_e32 0x7f, v90
	s_cbranch_execz .LBB214_143
; %bb.140:                              ;   in Loop: Header=BB214_14 Depth=1
	v_and_b32_e32 v51, 7, v51
	v_lshrrev_b32_e32 v60, 3, v90
	s_mov_b32 s52, exec_lo
	v_cmpx_gt_u32_e32 8, v90
; %bb.141:                              ;   in Loop: Header=BB214_14 Depth=1
	s_delay_alu instid0(VALU_DEP_3) | instskip(NEXT) | instid1(VALU_DEP_1)
	v_clz_i32_u32_e32 v60, v51
	v_min_u32_e32 v60, 32, v60
	s_delay_alu instid0(VALU_DEP_1) | instskip(SKIP_1) | instid1(VALU_DEP_2)
	v_subrev_nc_u32_e32 v88, 28, v60
	v_sub_nc_u32_e32 v60, 29, v60
	v_lshlrev_b64 v[90:91], v88, v[51:52]
	s_delay_alu instid0(VALU_DEP_1)
	v_and_b32_e32 v51, 7, v90
; %bb.142:                              ;   in Loop: Header=BB214_14 Depth=1
	s_or_b32 exec_lo, exec_lo, s52
	v_lshlrev_b32_e32 v59, 24, v59
	s_delay_alu instid0(VALU_DEP_2) | instskip(SKIP_1) | instid1(VALU_DEP_3)
	v_lshlrev_b32_e32 v51, 20, v51
	v_lshl_add_u32 v60, v60, 23, 0x3c000000
	v_and_b32_e32 v59, 0x80000000, v59
	s_delay_alu instid0(VALU_DEP_1)
	v_or3_b32 v88, v51, v59, v60
.LBB214_143:                            ;   in Loop: Header=BB214_14 Depth=1
	s_or_b32 exec_lo, exec_lo, s51
.LBB214_144:                            ;   in Loop: Header=BB214_14 Depth=1
	s_delay_alu instid0(SALU_CYCLE_1)
	s_or_b32 exec_lo, exec_lo, s50
.LBB214_145:                            ;   in Loop: Header=BB214_14 Depth=1
	s_delay_alu instid0(SALU_CYCLE_1)
	s_or_b32 exec_lo, exec_lo, s49
	global_load_u8 v59, v[57:58], off offset:512
	v_dual_mov_b32 v90, 0 :: v_dual_mov_b32 v91, 0
	s_mov_b32 s49, exec_lo
	s_waitcnt vmcnt(0)
	v_cmpx_ne_u16_e32 0, v59
	s_cbranch_execz .LBB214_153
; %bb.146:                              ;   in Loop: Header=BB214_14 Depth=1
	v_bfrev_b32_e32 v91, 1
	s_mov_b32 s50, exec_lo
	v_cmpx_ne_u16_e32 0x80, v59
	s_cbranch_execz .LBB214_152
; %bb.147:                              ;   in Loop: Header=BB214_14 Depth=1
	v_and_b32_e32 v51, 0xffff, v59
	v_mov_b32_e32 v91, 0x7f800001
	s_mov_b32 s51, exec_lo
	s_delay_alu instid0(VALU_DEP_2) | instskip(NEXT) | instid1(VALU_DEP_1)
	v_and_b32_e32 v92, 0x7f, v51
	v_cmpx_ne_u32_e32 0x7f, v92
	s_cbranch_execz .LBB214_151
; %bb.148:                              ;   in Loop: Header=BB214_14 Depth=1
	v_and_b32_e32 v51, 7, v51
	v_lshrrev_b32_e32 v60, 3, v92
	s_mov_b32 s52, exec_lo
	v_cmpx_gt_u32_e32 8, v92
; %bb.149:                              ;   in Loop: Header=BB214_14 Depth=1
	s_delay_alu instid0(VALU_DEP_3) | instskip(NEXT) | instid1(VALU_DEP_1)
	v_clz_i32_u32_e32 v60, v51
	v_min_u32_e32 v60, 32, v60
	s_delay_alu instid0(VALU_DEP_1) | instskip(SKIP_1) | instid1(VALU_DEP_2)
	v_subrev_nc_u32_e32 v91, 28, v60
	v_sub_nc_u32_e32 v60, 29, v60
	v_lshlrev_b64 v[91:92], v91, v[51:52]
	s_delay_alu instid0(VALU_DEP_1)
	v_and_b32_e32 v51, 7, v91
; %bb.150:                              ;   in Loop: Header=BB214_14 Depth=1
	s_or_b32 exec_lo, exec_lo, s52
	v_lshlrev_b32_e32 v59, 24, v59
	s_delay_alu instid0(VALU_DEP_2) | instskip(SKIP_1) | instid1(VALU_DEP_3)
	v_lshlrev_b32_e32 v51, 20, v51
	v_lshl_add_u32 v60, v60, 23, 0x3c000000
	v_and_b32_e32 v59, 0x80000000, v59
	s_delay_alu instid0(VALU_DEP_1)
	v_or3_b32 v91, v51, v59, v60
.LBB214_151:                            ;   in Loop: Header=BB214_14 Depth=1
	s_or_b32 exec_lo, exec_lo, s51
.LBB214_152:                            ;   in Loop: Header=BB214_14 Depth=1
	s_delay_alu instid0(SALU_CYCLE_1)
	s_or_b32 exec_lo, exec_lo, s50
.LBB214_153:                            ;   in Loop: Header=BB214_14 Depth=1
	s_delay_alu instid0(SALU_CYCLE_1)
	s_or_b32 exec_lo, exec_lo, s49
	global_load_u8 v59, v[57:58], off offset:516
	s_mov_b32 s49, exec_lo
	s_waitcnt vmcnt(0)
	v_cmpx_ne_u16_e32 0, v59
	s_cbranch_execz .LBB214_161
; %bb.154:                              ;   in Loop: Header=BB214_14 Depth=1
	v_bfrev_b32_e32 v90, 1
	s_mov_b32 s50, exec_lo
	v_cmpx_ne_u16_e32 0x80, v59
	s_cbranch_execz .LBB214_160
; %bb.155:                              ;   in Loop: Header=BB214_14 Depth=1
	v_and_b32_e32 v51, 0xffff, v59
	v_mov_b32_e32 v90, 0x7f800001
	s_mov_b32 s51, exec_lo
	s_delay_alu instid0(VALU_DEP_2) | instskip(NEXT) | instid1(VALU_DEP_1)
	v_and_b32_e32 v92, 0x7f, v51
	v_cmpx_ne_u32_e32 0x7f, v92
	s_cbranch_execz .LBB214_159
; %bb.156:                              ;   in Loop: Header=BB214_14 Depth=1
	v_and_b32_e32 v51, 7, v51
	v_lshrrev_b32_e32 v60, 3, v92
	s_mov_b32 s52, exec_lo
	v_cmpx_gt_u32_e32 8, v92
; %bb.157:                              ;   in Loop: Header=BB214_14 Depth=1
	s_delay_alu instid0(VALU_DEP_3) | instskip(NEXT) | instid1(VALU_DEP_1)
	v_clz_i32_u32_e32 v60, v51
	v_min_u32_e32 v60, 32, v60
	s_delay_alu instid0(VALU_DEP_1) | instskip(SKIP_1) | instid1(VALU_DEP_2)
	v_subrev_nc_u32_e32 v90, 28, v60
	v_sub_nc_u32_e32 v60, 29, v60
	v_lshlrev_b64 v[92:93], v90, v[51:52]
	s_delay_alu instid0(VALU_DEP_1)
	v_and_b32_e32 v51, 7, v92
; %bb.158:                              ;   in Loop: Header=BB214_14 Depth=1
	s_or_b32 exec_lo, exec_lo, s52
	v_lshlrev_b32_e32 v59, 24, v59
	s_delay_alu instid0(VALU_DEP_2) | instskip(SKIP_1) | instid1(VALU_DEP_3)
	v_lshlrev_b32_e32 v51, 20, v51
	v_lshl_add_u32 v60, v60, 23, 0x3c000000
	v_and_b32_e32 v59, 0x80000000, v59
	s_delay_alu instid0(VALU_DEP_1)
	v_or3_b32 v90, v51, v59, v60
.LBB214_159:                            ;   in Loop: Header=BB214_14 Depth=1
	s_or_b32 exec_lo, exec_lo, s51
.LBB214_160:                            ;   in Loop: Header=BB214_14 Depth=1
	s_delay_alu instid0(SALU_CYCLE_1)
	s_or_b32 exec_lo, exec_lo, s50
.LBB214_161:                            ;   in Loop: Header=BB214_14 Depth=1
	s_delay_alu instid0(SALU_CYCLE_1) | instskip(SKIP_1) | instid1(VALU_DEP_1)
	s_or_b32 exec_lo, exec_lo, s49
	v_add_co_u32 v59, s2, 0x200, v57
	v_add_co_ci_u32_e64 v60, s2, 0, v58, s2
	v_dual_mov_b32 v92, 0 :: v_dual_mov_b32 v93, 0
	s_mov_b32 s49, exec_lo
	global_load_u8 v94, v[59:60], off offset:8
	s_waitcnt vmcnt(0)
	v_cmpx_ne_u16_e32 0, v94
	s_cbranch_execz .LBB214_169
; %bb.162:                              ;   in Loop: Header=BB214_14 Depth=1
	v_bfrev_b32_e32 v93, 1
	s_mov_b32 s50, exec_lo
	v_cmpx_ne_u16_e32 0x80, v94
	s_cbranch_execz .LBB214_168
; %bb.163:                              ;   in Loop: Header=BB214_14 Depth=1
	v_and_b32_e32 v51, 0xffff, v94
	v_mov_b32_e32 v93, 0x7f800001
	s_mov_b32 s51, exec_lo
	s_delay_alu instid0(VALU_DEP_2) | instskip(NEXT) | instid1(VALU_DEP_1)
	v_and_b32_e32 v95, 0x7f, v51
	v_cmpx_ne_u32_e32 0x7f, v95
	s_cbranch_execz .LBB214_167
; %bb.164:                              ;   in Loop: Header=BB214_14 Depth=1
	v_and_b32_e32 v51, 7, v51
	v_lshrrev_b32_e32 v93, 3, v95
	s_mov_b32 s52, exec_lo
	v_cmpx_gt_u32_e32 8, v95
; %bb.165:                              ;   in Loop: Header=BB214_14 Depth=1
	s_delay_alu instid0(VALU_DEP_3) | instskip(NEXT) | instid1(VALU_DEP_1)
	v_clz_i32_u32_e32 v93, v51
	v_min_u32_e32 v93, 32, v93
	s_delay_alu instid0(VALU_DEP_1) | instskip(SKIP_1) | instid1(VALU_DEP_2)
	v_subrev_nc_u32_e32 v95, 28, v93
	v_sub_nc_u32_e32 v93, 29, v93
	v_lshlrev_b64 v[95:96], v95, v[51:52]
	s_delay_alu instid0(VALU_DEP_1)
	v_and_b32_e32 v51, 7, v95
; %bb.166:                              ;   in Loop: Header=BB214_14 Depth=1
	s_or_b32 exec_lo, exec_lo, s52
	v_lshlrev_b32_e32 v94, 24, v94
	s_delay_alu instid0(VALU_DEP_2) | instskip(SKIP_1) | instid1(VALU_DEP_3)
	v_lshlrev_b32_e32 v51, 20, v51
	v_lshl_add_u32 v93, v93, 23, 0x3c000000
	v_and_b32_e32 v94, 0x80000000, v94
	s_delay_alu instid0(VALU_DEP_1)
	v_or3_b32 v93, v51, v94, v93
.LBB214_167:                            ;   in Loop: Header=BB214_14 Depth=1
	s_or_b32 exec_lo, exec_lo, s51
.LBB214_168:                            ;   in Loop: Header=BB214_14 Depth=1
	s_delay_alu instid0(SALU_CYCLE_1)
	s_or_b32 exec_lo, exec_lo, s50
.LBB214_169:                            ;   in Loop: Header=BB214_14 Depth=1
	s_delay_alu instid0(SALU_CYCLE_1)
	s_or_b32 exec_lo, exec_lo, s49
	global_load_u8 v59, v[59:60], off offset:12
	s_mov_b32 s49, exec_lo
	s_waitcnt vmcnt(0)
	v_cmpx_ne_u16_e32 0, v59
	s_cbranch_execz .LBB214_177
; %bb.170:                              ;   in Loop: Header=BB214_14 Depth=1
	v_bfrev_b32_e32 v92, 1
	s_mov_b32 s50, exec_lo
	v_cmpx_ne_u16_e32 0x80, v59
	s_cbranch_execz .LBB214_176
; %bb.171:                              ;   in Loop: Header=BB214_14 Depth=1
	v_and_b32_e32 v51, 0xffff, v59
	v_mov_b32_e32 v92, 0x7f800001
	s_mov_b32 s51, exec_lo
	s_delay_alu instid0(VALU_DEP_2) | instskip(NEXT) | instid1(VALU_DEP_1)
	v_and_b32_e32 v94, 0x7f, v51
	v_cmpx_ne_u32_e32 0x7f, v94
	s_cbranch_execz .LBB214_175
; %bb.172:                              ;   in Loop: Header=BB214_14 Depth=1
	v_and_b32_e32 v51, 7, v51
	v_lshrrev_b32_e32 v60, 3, v94
	s_mov_b32 s52, exec_lo
	v_cmpx_gt_u32_e32 8, v94
; %bb.173:                              ;   in Loop: Header=BB214_14 Depth=1
	s_delay_alu instid0(VALU_DEP_3) | instskip(NEXT) | instid1(VALU_DEP_1)
	v_clz_i32_u32_e32 v60, v51
	v_min_u32_e32 v60, 32, v60
	s_delay_alu instid0(VALU_DEP_1) | instskip(SKIP_1) | instid1(VALU_DEP_2)
	v_subrev_nc_u32_e32 v92, 28, v60
	v_sub_nc_u32_e32 v60, 29, v60
	v_lshlrev_b64 v[94:95], v92, v[51:52]
	s_delay_alu instid0(VALU_DEP_1)
	v_and_b32_e32 v51, 7, v94
; %bb.174:                              ;   in Loop: Header=BB214_14 Depth=1
	s_or_b32 exec_lo, exec_lo, s52
	v_lshlrev_b32_e32 v59, 24, v59
	s_delay_alu instid0(VALU_DEP_2) | instskip(SKIP_1) | instid1(VALU_DEP_3)
	v_lshlrev_b32_e32 v51, 20, v51
	v_lshl_add_u32 v60, v60, 23, 0x3c000000
	v_and_b32_e32 v59, 0x80000000, v59
	s_delay_alu instid0(VALU_DEP_1)
	v_or3_b32 v92, v51, v59, v60
.LBB214_175:                            ;   in Loop: Header=BB214_14 Depth=1
	s_or_b32 exec_lo, exec_lo, s51
.LBB214_176:                            ;   in Loop: Header=BB214_14 Depth=1
	s_delay_alu instid0(SALU_CYCLE_1)
	s_or_b32 exec_lo, exec_lo, s50
.LBB214_177:                            ;   in Loop: Header=BB214_14 Depth=1
	s_delay_alu instid0(SALU_CYCLE_1)
	s_or_b32 exec_lo, exec_lo, s49
	global_load_u8 v59, v[57:58], off offset:640
	v_dual_mov_b32 v94, 0 :: v_dual_mov_b32 v95, 0
	s_mov_b32 s49, exec_lo
	s_waitcnt vmcnt(0)
	v_cmpx_ne_u16_e32 0, v59
	s_cbranch_execz .LBB214_185
; %bb.178:                              ;   in Loop: Header=BB214_14 Depth=1
	v_bfrev_b32_e32 v95, 1
	s_mov_b32 s50, exec_lo
	v_cmpx_ne_u16_e32 0x80, v59
	s_cbranch_execz .LBB214_184
; %bb.179:                              ;   in Loop: Header=BB214_14 Depth=1
	v_and_b32_e32 v51, 0xffff, v59
	v_mov_b32_e32 v95, 0x7f800001
	s_mov_b32 s51, exec_lo
	s_delay_alu instid0(VALU_DEP_2) | instskip(NEXT) | instid1(VALU_DEP_1)
	v_and_b32_e32 v96, 0x7f, v51
	v_cmpx_ne_u32_e32 0x7f, v96
	s_cbranch_execz .LBB214_183
; %bb.180:                              ;   in Loop: Header=BB214_14 Depth=1
	v_and_b32_e32 v51, 7, v51
	v_lshrrev_b32_e32 v60, 3, v96
	s_mov_b32 s52, exec_lo
	v_cmpx_gt_u32_e32 8, v96
; %bb.181:                              ;   in Loop: Header=BB214_14 Depth=1
	s_delay_alu instid0(VALU_DEP_3) | instskip(NEXT) | instid1(VALU_DEP_1)
	v_clz_i32_u32_e32 v60, v51
	v_min_u32_e32 v60, 32, v60
	s_delay_alu instid0(VALU_DEP_1) | instskip(SKIP_1) | instid1(VALU_DEP_2)
	v_subrev_nc_u32_e32 v95, 28, v60
	v_sub_nc_u32_e32 v60, 29, v60
	v_lshlrev_b64 v[95:96], v95, v[51:52]
	s_delay_alu instid0(VALU_DEP_1)
	v_and_b32_e32 v51, 7, v95
; %bb.182:                              ;   in Loop: Header=BB214_14 Depth=1
	s_or_b32 exec_lo, exec_lo, s52
	v_lshlrev_b32_e32 v59, 24, v59
	s_delay_alu instid0(VALU_DEP_2) | instskip(SKIP_1) | instid1(VALU_DEP_3)
	v_lshlrev_b32_e32 v51, 20, v51
	v_lshl_add_u32 v60, v60, 23, 0x3c000000
	v_and_b32_e32 v59, 0x80000000, v59
	s_delay_alu instid0(VALU_DEP_1)
	v_or3_b32 v95, v51, v59, v60
.LBB214_183:                            ;   in Loop: Header=BB214_14 Depth=1
	s_or_b32 exec_lo, exec_lo, s51
.LBB214_184:                            ;   in Loop: Header=BB214_14 Depth=1
	s_delay_alu instid0(SALU_CYCLE_1)
	s_or_b32 exec_lo, exec_lo, s50
.LBB214_185:                            ;   in Loop: Header=BB214_14 Depth=1
	s_delay_alu instid0(SALU_CYCLE_1)
	s_or_b32 exec_lo, exec_lo, s49
	global_load_u8 v59, v[57:58], off offset:644
	s_mov_b32 s49, exec_lo
	s_waitcnt vmcnt(0)
	v_cmpx_ne_u16_e32 0, v59
	s_cbranch_execz .LBB214_193
; %bb.186:                              ;   in Loop: Header=BB214_14 Depth=1
	v_bfrev_b32_e32 v94, 1
	s_mov_b32 s50, exec_lo
	v_cmpx_ne_u16_e32 0x80, v59
	s_cbranch_execz .LBB214_192
; %bb.187:                              ;   in Loop: Header=BB214_14 Depth=1
	v_and_b32_e32 v51, 0xffff, v59
	v_mov_b32_e32 v94, 0x7f800001
	s_mov_b32 s51, exec_lo
	s_delay_alu instid0(VALU_DEP_2) | instskip(NEXT) | instid1(VALU_DEP_1)
	v_and_b32_e32 v96, 0x7f, v51
	v_cmpx_ne_u32_e32 0x7f, v96
	s_cbranch_execz .LBB214_191
; %bb.188:                              ;   in Loop: Header=BB214_14 Depth=1
	v_and_b32_e32 v51, 7, v51
	v_lshrrev_b32_e32 v60, 3, v96
	s_mov_b32 s52, exec_lo
	v_cmpx_gt_u32_e32 8, v96
; %bb.189:                              ;   in Loop: Header=BB214_14 Depth=1
	s_delay_alu instid0(VALU_DEP_3) | instskip(NEXT) | instid1(VALU_DEP_1)
	v_clz_i32_u32_e32 v60, v51
	v_min_u32_e32 v60, 32, v60
	s_delay_alu instid0(VALU_DEP_1) | instskip(SKIP_1) | instid1(VALU_DEP_2)
	v_subrev_nc_u32_e32 v94, 28, v60
	v_sub_nc_u32_e32 v60, 29, v60
	v_lshlrev_b64 v[96:97], v94, v[51:52]
	s_delay_alu instid0(VALU_DEP_1)
	v_and_b32_e32 v51, 7, v96
; %bb.190:                              ;   in Loop: Header=BB214_14 Depth=1
	s_or_b32 exec_lo, exec_lo, s52
	v_lshlrev_b32_e32 v59, 24, v59
	s_delay_alu instid0(VALU_DEP_2) | instskip(SKIP_1) | instid1(VALU_DEP_3)
	v_lshlrev_b32_e32 v51, 20, v51
	v_lshl_add_u32 v60, v60, 23, 0x3c000000
	v_and_b32_e32 v59, 0x80000000, v59
	s_delay_alu instid0(VALU_DEP_1)
	v_or3_b32 v94, v51, v59, v60
.LBB214_191:                            ;   in Loop: Header=BB214_14 Depth=1
	s_or_b32 exec_lo, exec_lo, s51
.LBB214_192:                            ;   in Loop: Header=BB214_14 Depth=1
	s_delay_alu instid0(SALU_CYCLE_1)
	s_or_b32 exec_lo, exec_lo, s50
.LBB214_193:                            ;   in Loop: Header=BB214_14 Depth=1
	s_delay_alu instid0(SALU_CYCLE_1) | instskip(SKIP_1) | instid1(VALU_DEP_1)
	s_or_b32 exec_lo, exec_lo, s49
	v_add_co_u32 v59, s2, 0x280, v57
	v_add_co_ci_u32_e64 v60, s2, 0, v58, s2
	v_dual_mov_b32 v96, 0 :: v_dual_mov_b32 v97, 0
	s_mov_b32 s49, exec_lo
	global_load_u8 v98, v[59:60], off offset:8
	s_waitcnt vmcnt(0)
	v_cmpx_ne_u16_e32 0, v98
	s_cbranch_execz .LBB214_201
; %bb.194:                              ;   in Loop: Header=BB214_14 Depth=1
	v_bfrev_b32_e32 v97, 1
	s_mov_b32 s50, exec_lo
	v_cmpx_ne_u16_e32 0x80, v98
	s_cbranch_execz .LBB214_200
; %bb.195:                              ;   in Loop: Header=BB214_14 Depth=1
	v_and_b32_e32 v51, 0xffff, v98
	v_mov_b32_e32 v97, 0x7f800001
	s_mov_b32 s51, exec_lo
	s_delay_alu instid0(VALU_DEP_2) | instskip(NEXT) | instid1(VALU_DEP_1)
	v_and_b32_e32 v99, 0x7f, v51
	v_cmpx_ne_u32_e32 0x7f, v99
	s_cbranch_execz .LBB214_199
; %bb.196:                              ;   in Loop: Header=BB214_14 Depth=1
	v_and_b32_e32 v51, 7, v51
	v_lshrrev_b32_e32 v97, 3, v99
	s_mov_b32 s52, exec_lo
	v_cmpx_gt_u32_e32 8, v99
; %bb.197:                              ;   in Loop: Header=BB214_14 Depth=1
	s_delay_alu instid0(VALU_DEP_3) | instskip(NEXT) | instid1(VALU_DEP_1)
	v_clz_i32_u32_e32 v97, v51
	v_min_u32_e32 v97, 32, v97
	s_delay_alu instid0(VALU_DEP_1) | instskip(SKIP_1) | instid1(VALU_DEP_2)
	v_subrev_nc_u32_e32 v99, 28, v97
	v_sub_nc_u32_e32 v97, 29, v97
	v_lshlrev_b64 v[99:100], v99, v[51:52]
	s_delay_alu instid0(VALU_DEP_1)
	v_and_b32_e32 v51, 7, v99
; %bb.198:                              ;   in Loop: Header=BB214_14 Depth=1
	s_or_b32 exec_lo, exec_lo, s52
	v_lshlrev_b32_e32 v98, 24, v98
	s_delay_alu instid0(VALU_DEP_2) | instskip(SKIP_1) | instid1(VALU_DEP_3)
	v_lshlrev_b32_e32 v51, 20, v51
	v_lshl_add_u32 v97, v97, 23, 0x3c000000
	v_and_b32_e32 v98, 0x80000000, v98
	s_delay_alu instid0(VALU_DEP_1)
	v_or3_b32 v97, v51, v98, v97
.LBB214_199:                            ;   in Loop: Header=BB214_14 Depth=1
	s_or_b32 exec_lo, exec_lo, s51
.LBB214_200:                            ;   in Loop: Header=BB214_14 Depth=1
	s_delay_alu instid0(SALU_CYCLE_1)
	s_or_b32 exec_lo, exec_lo, s50
.LBB214_201:                            ;   in Loop: Header=BB214_14 Depth=1
	s_delay_alu instid0(SALU_CYCLE_1)
	s_or_b32 exec_lo, exec_lo, s49
	global_load_u8 v59, v[59:60], off offset:12
	s_mov_b32 s49, exec_lo
	s_waitcnt vmcnt(0)
	v_cmpx_ne_u16_e32 0, v59
	s_cbranch_execz .LBB214_209
; %bb.202:                              ;   in Loop: Header=BB214_14 Depth=1
	v_bfrev_b32_e32 v96, 1
	s_mov_b32 s50, exec_lo
	v_cmpx_ne_u16_e32 0x80, v59
	s_cbranch_execz .LBB214_208
; %bb.203:                              ;   in Loop: Header=BB214_14 Depth=1
	v_and_b32_e32 v51, 0xffff, v59
	v_mov_b32_e32 v96, 0x7f800001
	s_mov_b32 s51, exec_lo
	s_delay_alu instid0(VALU_DEP_2) | instskip(NEXT) | instid1(VALU_DEP_1)
	v_and_b32_e32 v98, 0x7f, v51
	v_cmpx_ne_u32_e32 0x7f, v98
	s_cbranch_execz .LBB214_207
; %bb.204:                              ;   in Loop: Header=BB214_14 Depth=1
	v_and_b32_e32 v51, 7, v51
	v_lshrrev_b32_e32 v60, 3, v98
	s_mov_b32 s52, exec_lo
	v_cmpx_gt_u32_e32 8, v98
; %bb.205:                              ;   in Loop: Header=BB214_14 Depth=1
	s_delay_alu instid0(VALU_DEP_3) | instskip(NEXT) | instid1(VALU_DEP_1)
	v_clz_i32_u32_e32 v60, v51
	v_min_u32_e32 v60, 32, v60
	s_delay_alu instid0(VALU_DEP_1) | instskip(SKIP_1) | instid1(VALU_DEP_2)
	v_subrev_nc_u32_e32 v96, 28, v60
	v_sub_nc_u32_e32 v60, 29, v60
	v_lshlrev_b64 v[98:99], v96, v[51:52]
	s_delay_alu instid0(VALU_DEP_1)
	v_and_b32_e32 v51, 7, v98
; %bb.206:                              ;   in Loop: Header=BB214_14 Depth=1
	s_or_b32 exec_lo, exec_lo, s52
	v_lshlrev_b32_e32 v59, 24, v59
	s_delay_alu instid0(VALU_DEP_2) | instskip(SKIP_1) | instid1(VALU_DEP_3)
	v_lshlrev_b32_e32 v51, 20, v51
	v_lshl_add_u32 v60, v60, 23, 0x3c000000
	v_and_b32_e32 v59, 0x80000000, v59
	s_delay_alu instid0(VALU_DEP_1)
	v_or3_b32 v96, v51, v59, v60
.LBB214_207:                            ;   in Loop: Header=BB214_14 Depth=1
	s_or_b32 exec_lo, exec_lo, s51
.LBB214_208:                            ;   in Loop: Header=BB214_14 Depth=1
	s_delay_alu instid0(SALU_CYCLE_1)
	s_or_b32 exec_lo, exec_lo, s50
.LBB214_209:                            ;   in Loop: Header=BB214_14 Depth=1
	s_delay_alu instid0(SALU_CYCLE_1)
	s_or_b32 exec_lo, exec_lo, s49
	global_load_u8 v59, v[57:58], off offset:768
	v_dual_mov_b32 v98, 0 :: v_dual_mov_b32 v99, 0
	s_mov_b32 s49, exec_lo
	s_waitcnt vmcnt(0)
	v_cmpx_ne_u16_e32 0, v59
	s_cbranch_execz .LBB214_217
; %bb.210:                              ;   in Loop: Header=BB214_14 Depth=1
	v_bfrev_b32_e32 v99, 1
	s_mov_b32 s50, exec_lo
	v_cmpx_ne_u16_e32 0x80, v59
	s_cbranch_execz .LBB214_216
; %bb.211:                              ;   in Loop: Header=BB214_14 Depth=1
	v_and_b32_e32 v51, 0xffff, v59
	v_mov_b32_e32 v99, 0x7f800001
	s_mov_b32 s51, exec_lo
	s_delay_alu instid0(VALU_DEP_2) | instskip(NEXT) | instid1(VALU_DEP_1)
	v_and_b32_e32 v100, 0x7f, v51
	v_cmpx_ne_u32_e32 0x7f, v100
	s_cbranch_execz .LBB214_215
; %bb.212:                              ;   in Loop: Header=BB214_14 Depth=1
	v_and_b32_e32 v51, 7, v51
	v_lshrrev_b32_e32 v60, 3, v100
	s_mov_b32 s52, exec_lo
	v_cmpx_gt_u32_e32 8, v100
; %bb.213:                              ;   in Loop: Header=BB214_14 Depth=1
	s_delay_alu instid0(VALU_DEP_3) | instskip(NEXT) | instid1(VALU_DEP_1)
	v_clz_i32_u32_e32 v60, v51
	v_min_u32_e32 v60, 32, v60
	s_delay_alu instid0(VALU_DEP_1) | instskip(SKIP_1) | instid1(VALU_DEP_2)
	v_subrev_nc_u32_e32 v99, 28, v60
	v_sub_nc_u32_e32 v60, 29, v60
	v_lshlrev_b64 v[99:100], v99, v[51:52]
	s_delay_alu instid0(VALU_DEP_1)
	v_and_b32_e32 v51, 7, v99
; %bb.214:                              ;   in Loop: Header=BB214_14 Depth=1
	s_or_b32 exec_lo, exec_lo, s52
	v_lshlrev_b32_e32 v59, 24, v59
	s_delay_alu instid0(VALU_DEP_2) | instskip(SKIP_1) | instid1(VALU_DEP_3)
	v_lshlrev_b32_e32 v51, 20, v51
	v_lshl_add_u32 v60, v60, 23, 0x3c000000
	v_and_b32_e32 v59, 0x80000000, v59
	s_delay_alu instid0(VALU_DEP_1)
	v_or3_b32 v99, v51, v59, v60
.LBB214_215:                            ;   in Loop: Header=BB214_14 Depth=1
	s_or_b32 exec_lo, exec_lo, s51
.LBB214_216:                            ;   in Loop: Header=BB214_14 Depth=1
	s_delay_alu instid0(SALU_CYCLE_1)
	s_or_b32 exec_lo, exec_lo, s50
.LBB214_217:                            ;   in Loop: Header=BB214_14 Depth=1
	s_delay_alu instid0(SALU_CYCLE_1)
	s_or_b32 exec_lo, exec_lo, s49
	global_load_u8 v59, v[57:58], off offset:772
	s_mov_b32 s49, exec_lo
	s_waitcnt vmcnt(0)
	v_cmpx_ne_u16_e32 0, v59
	s_cbranch_execz .LBB214_225
; %bb.218:                              ;   in Loop: Header=BB214_14 Depth=1
	v_bfrev_b32_e32 v98, 1
	s_mov_b32 s50, exec_lo
	v_cmpx_ne_u16_e32 0x80, v59
	s_cbranch_execz .LBB214_224
; %bb.219:                              ;   in Loop: Header=BB214_14 Depth=1
	v_and_b32_e32 v51, 0xffff, v59
	v_mov_b32_e32 v98, 0x7f800001
	s_mov_b32 s51, exec_lo
	s_delay_alu instid0(VALU_DEP_2) | instskip(NEXT) | instid1(VALU_DEP_1)
	v_and_b32_e32 v100, 0x7f, v51
	v_cmpx_ne_u32_e32 0x7f, v100
	s_cbranch_execz .LBB214_223
; %bb.220:                              ;   in Loop: Header=BB214_14 Depth=1
	v_and_b32_e32 v51, 7, v51
	v_lshrrev_b32_e32 v60, 3, v100
	s_mov_b32 s52, exec_lo
	v_cmpx_gt_u32_e32 8, v100
; %bb.221:                              ;   in Loop: Header=BB214_14 Depth=1
	s_delay_alu instid0(VALU_DEP_3) | instskip(NEXT) | instid1(VALU_DEP_1)
	v_clz_i32_u32_e32 v60, v51
	v_min_u32_e32 v60, 32, v60
	s_delay_alu instid0(VALU_DEP_1) | instskip(SKIP_1) | instid1(VALU_DEP_2)
	v_subrev_nc_u32_e32 v98, 28, v60
	v_sub_nc_u32_e32 v60, 29, v60
	v_lshlrev_b64 v[100:101], v98, v[51:52]
	s_delay_alu instid0(VALU_DEP_1)
	v_and_b32_e32 v51, 7, v100
; %bb.222:                              ;   in Loop: Header=BB214_14 Depth=1
	s_or_b32 exec_lo, exec_lo, s52
	v_lshlrev_b32_e32 v59, 24, v59
	s_delay_alu instid0(VALU_DEP_2) | instskip(SKIP_1) | instid1(VALU_DEP_3)
	v_lshlrev_b32_e32 v51, 20, v51
	v_lshl_add_u32 v60, v60, 23, 0x3c000000
	v_and_b32_e32 v59, 0x80000000, v59
	s_delay_alu instid0(VALU_DEP_1)
	v_or3_b32 v98, v51, v59, v60
.LBB214_223:                            ;   in Loop: Header=BB214_14 Depth=1
	s_or_b32 exec_lo, exec_lo, s51
.LBB214_224:                            ;   in Loop: Header=BB214_14 Depth=1
	s_delay_alu instid0(SALU_CYCLE_1)
	s_or_b32 exec_lo, exec_lo, s50
.LBB214_225:                            ;   in Loop: Header=BB214_14 Depth=1
	s_delay_alu instid0(SALU_CYCLE_1) | instskip(SKIP_1) | instid1(VALU_DEP_1)
	s_or_b32 exec_lo, exec_lo, s49
	v_add_co_u32 v59, s2, 0x300, v57
	v_add_co_ci_u32_e64 v60, s2, 0, v58, s2
	v_dual_mov_b32 v100, 0 :: v_dual_mov_b32 v101, 0
	s_mov_b32 s49, exec_lo
	global_load_u8 v102, v[59:60], off offset:8
	s_waitcnt vmcnt(0)
	v_cmpx_ne_u16_e32 0, v102
	s_cbranch_execz .LBB214_233
; %bb.226:                              ;   in Loop: Header=BB214_14 Depth=1
	v_bfrev_b32_e32 v101, 1
	s_mov_b32 s50, exec_lo
	v_cmpx_ne_u16_e32 0x80, v102
	s_cbranch_execz .LBB214_232
; %bb.227:                              ;   in Loop: Header=BB214_14 Depth=1
	v_and_b32_e32 v51, 0xffff, v102
	v_mov_b32_e32 v101, 0x7f800001
	s_mov_b32 s51, exec_lo
	s_delay_alu instid0(VALU_DEP_2) | instskip(NEXT) | instid1(VALU_DEP_1)
	v_and_b32_e32 v103, 0x7f, v51
	v_cmpx_ne_u32_e32 0x7f, v103
	s_cbranch_execz .LBB214_231
; %bb.228:                              ;   in Loop: Header=BB214_14 Depth=1
	v_and_b32_e32 v51, 7, v51
	v_lshrrev_b32_e32 v101, 3, v103
	s_mov_b32 s52, exec_lo
	v_cmpx_gt_u32_e32 8, v103
; %bb.229:                              ;   in Loop: Header=BB214_14 Depth=1
	s_delay_alu instid0(VALU_DEP_3) | instskip(NEXT) | instid1(VALU_DEP_1)
	v_clz_i32_u32_e32 v101, v51
	v_min_u32_e32 v101, 32, v101
	s_delay_alu instid0(VALU_DEP_1) | instskip(SKIP_1) | instid1(VALU_DEP_2)
	v_subrev_nc_u32_e32 v103, 28, v101
	v_sub_nc_u32_e32 v101, 29, v101
	v_lshlrev_b64 v[103:104], v103, v[51:52]
	s_delay_alu instid0(VALU_DEP_1)
	v_and_b32_e32 v51, 7, v103
; %bb.230:                              ;   in Loop: Header=BB214_14 Depth=1
	s_or_b32 exec_lo, exec_lo, s52
	v_lshlrev_b32_e32 v102, 24, v102
	s_delay_alu instid0(VALU_DEP_2) | instskip(SKIP_1) | instid1(VALU_DEP_3)
	v_lshlrev_b32_e32 v51, 20, v51
	v_lshl_add_u32 v101, v101, 23, 0x3c000000
	v_and_b32_e32 v102, 0x80000000, v102
	s_delay_alu instid0(VALU_DEP_1)
	v_or3_b32 v101, v51, v102, v101
.LBB214_231:                            ;   in Loop: Header=BB214_14 Depth=1
	s_or_b32 exec_lo, exec_lo, s51
.LBB214_232:                            ;   in Loop: Header=BB214_14 Depth=1
	s_delay_alu instid0(SALU_CYCLE_1)
	s_or_b32 exec_lo, exec_lo, s50
.LBB214_233:                            ;   in Loop: Header=BB214_14 Depth=1
	s_delay_alu instid0(SALU_CYCLE_1)
	s_or_b32 exec_lo, exec_lo, s49
	global_load_u8 v59, v[59:60], off offset:12
	s_mov_b32 s49, exec_lo
	s_waitcnt vmcnt(0)
	v_cmpx_ne_u16_e32 0, v59
	s_cbranch_execz .LBB214_241
; %bb.234:                              ;   in Loop: Header=BB214_14 Depth=1
	v_bfrev_b32_e32 v100, 1
	s_mov_b32 s50, exec_lo
	v_cmpx_ne_u16_e32 0x80, v59
	s_cbranch_execz .LBB214_240
; %bb.235:                              ;   in Loop: Header=BB214_14 Depth=1
	v_and_b32_e32 v51, 0xffff, v59
	v_mov_b32_e32 v100, 0x7f800001
	s_mov_b32 s51, exec_lo
	s_delay_alu instid0(VALU_DEP_2) | instskip(NEXT) | instid1(VALU_DEP_1)
	v_and_b32_e32 v102, 0x7f, v51
	v_cmpx_ne_u32_e32 0x7f, v102
	s_cbranch_execz .LBB214_239
; %bb.236:                              ;   in Loop: Header=BB214_14 Depth=1
	v_and_b32_e32 v51, 7, v51
	v_lshrrev_b32_e32 v60, 3, v102
	s_mov_b32 s52, exec_lo
	v_cmpx_gt_u32_e32 8, v102
; %bb.237:                              ;   in Loop: Header=BB214_14 Depth=1
	s_delay_alu instid0(VALU_DEP_3) | instskip(NEXT) | instid1(VALU_DEP_1)
	v_clz_i32_u32_e32 v60, v51
	v_min_u32_e32 v60, 32, v60
	s_delay_alu instid0(VALU_DEP_1) | instskip(SKIP_1) | instid1(VALU_DEP_2)
	v_subrev_nc_u32_e32 v100, 28, v60
	v_sub_nc_u32_e32 v60, 29, v60
	v_lshlrev_b64 v[102:103], v100, v[51:52]
	s_delay_alu instid0(VALU_DEP_1)
	v_and_b32_e32 v51, 7, v102
; %bb.238:                              ;   in Loop: Header=BB214_14 Depth=1
	s_or_b32 exec_lo, exec_lo, s52
	v_lshlrev_b32_e32 v59, 24, v59
	s_delay_alu instid0(VALU_DEP_2) | instskip(SKIP_1) | instid1(VALU_DEP_3)
	v_lshlrev_b32_e32 v51, 20, v51
	v_lshl_add_u32 v60, v60, 23, 0x3c000000
	v_and_b32_e32 v59, 0x80000000, v59
	s_delay_alu instid0(VALU_DEP_1)
	v_or3_b32 v100, v51, v59, v60
.LBB214_239:                            ;   in Loop: Header=BB214_14 Depth=1
	s_or_b32 exec_lo, exec_lo, s51
.LBB214_240:                            ;   in Loop: Header=BB214_14 Depth=1
	s_delay_alu instid0(SALU_CYCLE_1)
	s_or_b32 exec_lo, exec_lo, s50
.LBB214_241:                            ;   in Loop: Header=BB214_14 Depth=1
	s_delay_alu instid0(SALU_CYCLE_1)
	s_or_b32 exec_lo, exec_lo, s49
	global_load_u8 v59, v[57:58], off offset:896
	v_dual_mov_b32 v102, 0 :: v_dual_mov_b32 v103, 0
	s_mov_b32 s49, exec_lo
	s_waitcnt vmcnt(0)
	v_cmpx_ne_u16_e32 0, v59
	s_cbranch_execz .LBB214_249
; %bb.242:                              ;   in Loop: Header=BB214_14 Depth=1
	v_bfrev_b32_e32 v103, 1
	s_mov_b32 s50, exec_lo
	v_cmpx_ne_u16_e32 0x80, v59
	s_cbranch_execz .LBB214_248
; %bb.243:                              ;   in Loop: Header=BB214_14 Depth=1
	v_and_b32_e32 v51, 0xffff, v59
	v_mov_b32_e32 v103, 0x7f800001
	s_mov_b32 s51, exec_lo
	s_delay_alu instid0(VALU_DEP_2) | instskip(NEXT) | instid1(VALU_DEP_1)
	v_and_b32_e32 v104, 0x7f, v51
	v_cmpx_ne_u32_e32 0x7f, v104
	s_cbranch_execz .LBB214_247
; %bb.244:                              ;   in Loop: Header=BB214_14 Depth=1
	v_and_b32_e32 v51, 7, v51
	v_lshrrev_b32_e32 v60, 3, v104
	s_mov_b32 s52, exec_lo
	v_cmpx_gt_u32_e32 8, v104
; %bb.245:                              ;   in Loop: Header=BB214_14 Depth=1
	s_delay_alu instid0(VALU_DEP_3) | instskip(NEXT) | instid1(VALU_DEP_1)
	v_clz_i32_u32_e32 v60, v51
	v_min_u32_e32 v60, 32, v60
	s_delay_alu instid0(VALU_DEP_1) | instskip(SKIP_1) | instid1(VALU_DEP_2)
	v_subrev_nc_u32_e32 v103, 28, v60
	v_sub_nc_u32_e32 v60, 29, v60
	v_lshlrev_b64 v[103:104], v103, v[51:52]
	s_delay_alu instid0(VALU_DEP_1)
	v_and_b32_e32 v51, 7, v103
; %bb.246:                              ;   in Loop: Header=BB214_14 Depth=1
	s_or_b32 exec_lo, exec_lo, s52
	v_lshlrev_b32_e32 v59, 24, v59
	s_delay_alu instid0(VALU_DEP_2) | instskip(SKIP_1) | instid1(VALU_DEP_3)
	v_lshlrev_b32_e32 v51, 20, v51
	v_lshl_add_u32 v60, v60, 23, 0x3c000000
	v_and_b32_e32 v59, 0x80000000, v59
	s_delay_alu instid0(VALU_DEP_1)
	v_or3_b32 v103, v51, v59, v60
.LBB214_247:                            ;   in Loop: Header=BB214_14 Depth=1
	s_or_b32 exec_lo, exec_lo, s51
.LBB214_248:                            ;   in Loop: Header=BB214_14 Depth=1
	s_delay_alu instid0(SALU_CYCLE_1)
	s_or_b32 exec_lo, exec_lo, s50
.LBB214_249:                            ;   in Loop: Header=BB214_14 Depth=1
	s_delay_alu instid0(SALU_CYCLE_1)
	s_or_b32 exec_lo, exec_lo, s49
	global_load_u8 v59, v[57:58], off offset:900
	s_mov_b32 s49, exec_lo
	s_waitcnt vmcnt(0)
	v_cmpx_ne_u16_e32 0, v59
	s_cbranch_execz .LBB214_257
; %bb.250:                              ;   in Loop: Header=BB214_14 Depth=1
	v_bfrev_b32_e32 v102, 1
	s_mov_b32 s50, exec_lo
	v_cmpx_ne_u16_e32 0x80, v59
	s_cbranch_execz .LBB214_256
; %bb.251:                              ;   in Loop: Header=BB214_14 Depth=1
	v_and_b32_e32 v51, 0xffff, v59
	v_mov_b32_e32 v102, 0x7f800001
	s_mov_b32 s51, exec_lo
	s_delay_alu instid0(VALU_DEP_2) | instskip(NEXT) | instid1(VALU_DEP_1)
	v_and_b32_e32 v104, 0x7f, v51
	v_cmpx_ne_u32_e32 0x7f, v104
	s_cbranch_execz .LBB214_255
; %bb.252:                              ;   in Loop: Header=BB214_14 Depth=1
	v_and_b32_e32 v51, 7, v51
	v_lshrrev_b32_e32 v60, 3, v104
	s_mov_b32 s52, exec_lo
	v_cmpx_gt_u32_e32 8, v104
; %bb.253:                              ;   in Loop: Header=BB214_14 Depth=1
	s_delay_alu instid0(VALU_DEP_3) | instskip(NEXT) | instid1(VALU_DEP_1)
	v_clz_i32_u32_e32 v60, v51
	v_min_u32_e32 v60, 32, v60
	s_delay_alu instid0(VALU_DEP_1) | instskip(SKIP_1) | instid1(VALU_DEP_2)
	v_subrev_nc_u32_e32 v102, 28, v60
	v_sub_nc_u32_e32 v60, 29, v60
	v_lshlrev_b64 v[104:105], v102, v[51:52]
	s_delay_alu instid0(VALU_DEP_1)
	v_and_b32_e32 v51, 7, v104
; %bb.254:                              ;   in Loop: Header=BB214_14 Depth=1
	s_or_b32 exec_lo, exec_lo, s52
	v_lshlrev_b32_e32 v59, 24, v59
	s_delay_alu instid0(VALU_DEP_2) | instskip(SKIP_1) | instid1(VALU_DEP_3)
	v_lshlrev_b32_e32 v51, 20, v51
	v_lshl_add_u32 v60, v60, 23, 0x3c000000
	v_and_b32_e32 v59, 0x80000000, v59
	s_delay_alu instid0(VALU_DEP_1)
	v_or3_b32 v102, v51, v59, v60
.LBB214_255:                            ;   in Loop: Header=BB214_14 Depth=1
	s_or_b32 exec_lo, exec_lo, s51
.LBB214_256:                            ;   in Loop: Header=BB214_14 Depth=1
	s_delay_alu instid0(SALU_CYCLE_1)
	s_or_b32 exec_lo, exec_lo, s50
.LBB214_257:                            ;   in Loop: Header=BB214_14 Depth=1
	s_delay_alu instid0(SALU_CYCLE_1) | instskip(SKIP_1) | instid1(VALU_DEP_1)
	s_or_b32 exec_lo, exec_lo, s49
	v_add_co_u32 v59, s2, 0x380, v57
	v_add_co_ci_u32_e64 v60, s2, 0, v58, s2
	v_dual_mov_b32 v104, 0 :: v_dual_mov_b32 v105, 0
	s_mov_b32 s49, exec_lo
	global_load_u8 v106, v[59:60], off offset:8
	s_waitcnt vmcnt(0)
	v_cmpx_ne_u16_e32 0, v106
	s_cbranch_execz .LBB214_265
; %bb.258:                              ;   in Loop: Header=BB214_14 Depth=1
	v_bfrev_b32_e32 v105, 1
	s_mov_b32 s50, exec_lo
	v_cmpx_ne_u16_e32 0x80, v106
	s_cbranch_execz .LBB214_264
; %bb.259:                              ;   in Loop: Header=BB214_14 Depth=1
	v_and_b32_e32 v51, 0xffff, v106
	v_mov_b32_e32 v105, 0x7f800001
	s_mov_b32 s51, exec_lo
	s_delay_alu instid0(VALU_DEP_2) | instskip(NEXT) | instid1(VALU_DEP_1)
	v_and_b32_e32 v107, 0x7f, v51
	v_cmpx_ne_u32_e32 0x7f, v107
	s_cbranch_execz .LBB214_263
; %bb.260:                              ;   in Loop: Header=BB214_14 Depth=1
	v_and_b32_e32 v51, 7, v51
	v_lshrrev_b32_e32 v105, 3, v107
	s_mov_b32 s52, exec_lo
	v_cmpx_gt_u32_e32 8, v107
; %bb.261:                              ;   in Loop: Header=BB214_14 Depth=1
	s_delay_alu instid0(VALU_DEP_3) | instskip(NEXT) | instid1(VALU_DEP_1)
	v_clz_i32_u32_e32 v105, v51
	v_min_u32_e32 v105, 32, v105
	s_delay_alu instid0(VALU_DEP_1) | instskip(SKIP_1) | instid1(VALU_DEP_2)
	v_subrev_nc_u32_e32 v107, 28, v105
	v_sub_nc_u32_e32 v105, 29, v105
	v_lshlrev_b64 v[107:108], v107, v[51:52]
	s_delay_alu instid0(VALU_DEP_1)
	v_and_b32_e32 v51, 7, v107
; %bb.262:                              ;   in Loop: Header=BB214_14 Depth=1
	s_or_b32 exec_lo, exec_lo, s52
	v_lshlrev_b32_e32 v106, 24, v106
	s_delay_alu instid0(VALU_DEP_2) | instskip(SKIP_1) | instid1(VALU_DEP_3)
	v_lshlrev_b32_e32 v51, 20, v51
	v_lshl_add_u32 v105, v105, 23, 0x3c000000
	v_and_b32_e32 v106, 0x80000000, v106
	s_delay_alu instid0(VALU_DEP_1)
	v_or3_b32 v105, v51, v106, v105
.LBB214_263:                            ;   in Loop: Header=BB214_14 Depth=1
	s_or_b32 exec_lo, exec_lo, s51
.LBB214_264:                            ;   in Loop: Header=BB214_14 Depth=1
	s_delay_alu instid0(SALU_CYCLE_1)
	s_or_b32 exec_lo, exec_lo, s50
.LBB214_265:                            ;   in Loop: Header=BB214_14 Depth=1
	s_delay_alu instid0(SALU_CYCLE_1)
	s_or_b32 exec_lo, exec_lo, s49
	global_load_u8 v59, v[59:60], off offset:12
	s_mov_b32 s49, exec_lo
	s_waitcnt vmcnt(0)
	v_cmpx_ne_u16_e32 0, v59
	s_cbranch_execz .LBB214_273
; %bb.266:                              ;   in Loop: Header=BB214_14 Depth=1
	v_bfrev_b32_e32 v104, 1
	s_mov_b32 s50, exec_lo
	v_cmpx_ne_u16_e32 0x80, v59
	s_cbranch_execz .LBB214_272
; %bb.267:                              ;   in Loop: Header=BB214_14 Depth=1
	v_and_b32_e32 v51, 0xffff, v59
	v_mov_b32_e32 v104, 0x7f800001
	s_mov_b32 s51, exec_lo
	s_delay_alu instid0(VALU_DEP_2) | instskip(NEXT) | instid1(VALU_DEP_1)
	v_and_b32_e32 v106, 0x7f, v51
	v_cmpx_ne_u32_e32 0x7f, v106
	s_cbranch_execz .LBB214_271
; %bb.268:                              ;   in Loop: Header=BB214_14 Depth=1
	v_and_b32_e32 v51, 7, v51
	v_lshrrev_b32_e32 v60, 3, v106
	s_mov_b32 s52, exec_lo
	v_cmpx_gt_u32_e32 8, v106
; %bb.269:                              ;   in Loop: Header=BB214_14 Depth=1
	s_delay_alu instid0(VALU_DEP_3) | instskip(NEXT) | instid1(VALU_DEP_1)
	v_clz_i32_u32_e32 v60, v51
	v_min_u32_e32 v60, 32, v60
	s_delay_alu instid0(VALU_DEP_1) | instskip(SKIP_1) | instid1(VALU_DEP_2)
	v_subrev_nc_u32_e32 v104, 28, v60
	v_sub_nc_u32_e32 v60, 29, v60
	v_lshlrev_b64 v[106:107], v104, v[51:52]
	s_delay_alu instid0(VALU_DEP_1)
	v_and_b32_e32 v51, 7, v106
; %bb.270:                              ;   in Loop: Header=BB214_14 Depth=1
	s_or_b32 exec_lo, exec_lo, s52
	v_lshlrev_b32_e32 v59, 24, v59
	s_delay_alu instid0(VALU_DEP_2) | instskip(SKIP_1) | instid1(VALU_DEP_3)
	v_lshlrev_b32_e32 v51, 20, v51
	v_lshl_add_u32 v60, v60, 23, 0x3c000000
	v_and_b32_e32 v59, 0x80000000, v59
	s_delay_alu instid0(VALU_DEP_1)
	v_or3_b32 v104, v51, v59, v60
.LBB214_271:                            ;   in Loop: Header=BB214_14 Depth=1
	s_or_b32 exec_lo, exec_lo, s51
.LBB214_272:                            ;   in Loop: Header=BB214_14 Depth=1
	s_delay_alu instid0(SALU_CYCLE_1)
	s_or_b32 exec_lo, exec_lo, s50
.LBB214_273:                            ;   in Loop: Header=BB214_14 Depth=1
	s_delay_alu instid0(SALU_CYCLE_1)
	s_or_b32 exec_lo, exec_lo, s49
	global_load_u8 v59, v[57:58], off offset:1024
	v_dual_mov_b32 v106, 0 :: v_dual_mov_b32 v107, 0
	s_mov_b32 s49, exec_lo
	s_waitcnt vmcnt(0)
	v_cmpx_ne_u16_e32 0, v59
	s_cbranch_execz .LBB214_281
; %bb.274:                              ;   in Loop: Header=BB214_14 Depth=1
	v_bfrev_b32_e32 v107, 1
	s_mov_b32 s50, exec_lo
	v_cmpx_ne_u16_e32 0x80, v59
	s_cbranch_execz .LBB214_280
; %bb.275:                              ;   in Loop: Header=BB214_14 Depth=1
	v_and_b32_e32 v51, 0xffff, v59
	v_mov_b32_e32 v107, 0x7f800001
	s_mov_b32 s51, exec_lo
	s_delay_alu instid0(VALU_DEP_2) | instskip(NEXT) | instid1(VALU_DEP_1)
	v_and_b32_e32 v108, 0x7f, v51
	v_cmpx_ne_u32_e32 0x7f, v108
	s_cbranch_execz .LBB214_279
; %bb.276:                              ;   in Loop: Header=BB214_14 Depth=1
	v_and_b32_e32 v51, 7, v51
	v_lshrrev_b32_e32 v60, 3, v108
	s_mov_b32 s52, exec_lo
	v_cmpx_gt_u32_e32 8, v108
; %bb.277:                              ;   in Loop: Header=BB214_14 Depth=1
	s_delay_alu instid0(VALU_DEP_3) | instskip(NEXT) | instid1(VALU_DEP_1)
	v_clz_i32_u32_e32 v60, v51
	v_min_u32_e32 v60, 32, v60
	s_delay_alu instid0(VALU_DEP_1) | instskip(SKIP_1) | instid1(VALU_DEP_2)
	v_subrev_nc_u32_e32 v107, 28, v60
	v_sub_nc_u32_e32 v60, 29, v60
	v_lshlrev_b64 v[107:108], v107, v[51:52]
	s_delay_alu instid0(VALU_DEP_1)
	v_and_b32_e32 v51, 7, v107
; %bb.278:                              ;   in Loop: Header=BB214_14 Depth=1
	s_or_b32 exec_lo, exec_lo, s52
	v_lshlrev_b32_e32 v59, 24, v59
	s_delay_alu instid0(VALU_DEP_2) | instskip(SKIP_1) | instid1(VALU_DEP_3)
	v_lshlrev_b32_e32 v51, 20, v51
	v_lshl_add_u32 v60, v60, 23, 0x3c000000
	v_and_b32_e32 v59, 0x80000000, v59
	s_delay_alu instid0(VALU_DEP_1)
	v_or3_b32 v107, v51, v59, v60
.LBB214_279:                            ;   in Loop: Header=BB214_14 Depth=1
	s_or_b32 exec_lo, exec_lo, s51
.LBB214_280:                            ;   in Loop: Header=BB214_14 Depth=1
	s_delay_alu instid0(SALU_CYCLE_1)
	s_or_b32 exec_lo, exec_lo, s50
.LBB214_281:                            ;   in Loop: Header=BB214_14 Depth=1
	s_delay_alu instid0(SALU_CYCLE_1)
	s_or_b32 exec_lo, exec_lo, s49
	global_load_u8 v59, v[57:58], off offset:1028
	s_mov_b32 s49, exec_lo
	s_waitcnt vmcnt(0)
	v_cmpx_ne_u16_e32 0, v59
	s_cbranch_execz .LBB214_289
; %bb.282:                              ;   in Loop: Header=BB214_14 Depth=1
	v_bfrev_b32_e32 v106, 1
	s_mov_b32 s50, exec_lo
	v_cmpx_ne_u16_e32 0x80, v59
	s_cbranch_execz .LBB214_288
; %bb.283:                              ;   in Loop: Header=BB214_14 Depth=1
	v_and_b32_e32 v51, 0xffff, v59
	v_mov_b32_e32 v106, 0x7f800001
	s_mov_b32 s51, exec_lo
	s_delay_alu instid0(VALU_DEP_2) | instskip(NEXT) | instid1(VALU_DEP_1)
	v_and_b32_e32 v108, 0x7f, v51
	v_cmpx_ne_u32_e32 0x7f, v108
	s_cbranch_execz .LBB214_287
; %bb.284:                              ;   in Loop: Header=BB214_14 Depth=1
	v_and_b32_e32 v51, 7, v51
	v_lshrrev_b32_e32 v60, 3, v108
	s_mov_b32 s52, exec_lo
	v_cmpx_gt_u32_e32 8, v108
; %bb.285:                              ;   in Loop: Header=BB214_14 Depth=1
	s_delay_alu instid0(VALU_DEP_3) | instskip(NEXT) | instid1(VALU_DEP_1)
	v_clz_i32_u32_e32 v60, v51
	v_min_u32_e32 v60, 32, v60
	s_delay_alu instid0(VALU_DEP_1) | instskip(SKIP_1) | instid1(VALU_DEP_2)
	v_subrev_nc_u32_e32 v106, 28, v60
	v_sub_nc_u32_e32 v60, 29, v60
	v_lshlrev_b64 v[108:109], v106, v[51:52]
	s_delay_alu instid0(VALU_DEP_1)
	v_and_b32_e32 v51, 7, v108
; %bb.286:                              ;   in Loop: Header=BB214_14 Depth=1
	s_or_b32 exec_lo, exec_lo, s52
	v_lshlrev_b32_e32 v59, 24, v59
	s_delay_alu instid0(VALU_DEP_2) | instskip(SKIP_1) | instid1(VALU_DEP_3)
	v_lshlrev_b32_e32 v51, 20, v51
	v_lshl_add_u32 v60, v60, 23, 0x3c000000
	v_and_b32_e32 v59, 0x80000000, v59
	s_delay_alu instid0(VALU_DEP_1)
	v_or3_b32 v106, v51, v59, v60
.LBB214_287:                            ;   in Loop: Header=BB214_14 Depth=1
	s_or_b32 exec_lo, exec_lo, s51
.LBB214_288:                            ;   in Loop: Header=BB214_14 Depth=1
	s_delay_alu instid0(SALU_CYCLE_1)
	s_or_b32 exec_lo, exec_lo, s50
.LBB214_289:                            ;   in Loop: Header=BB214_14 Depth=1
	s_delay_alu instid0(SALU_CYCLE_1) | instskip(SKIP_1) | instid1(VALU_DEP_1)
	s_or_b32 exec_lo, exec_lo, s49
	v_add_co_u32 v59, s2, 0x400, v57
	v_add_co_ci_u32_e64 v60, s2, 0, v58, s2
	v_dual_mov_b32 v108, 0 :: v_dual_mov_b32 v109, 0
	s_mov_b32 s49, exec_lo
	global_load_u8 v110, v[59:60], off offset:8
	s_waitcnt vmcnt(0)
	v_cmpx_ne_u16_e32 0, v110
	s_cbranch_execz .LBB214_297
; %bb.290:                              ;   in Loop: Header=BB214_14 Depth=1
	v_bfrev_b32_e32 v109, 1
	s_mov_b32 s50, exec_lo
	v_cmpx_ne_u16_e32 0x80, v110
	s_cbranch_execz .LBB214_296
; %bb.291:                              ;   in Loop: Header=BB214_14 Depth=1
	v_and_b32_e32 v51, 0xffff, v110
	v_mov_b32_e32 v109, 0x7f800001
	s_mov_b32 s51, exec_lo
	s_delay_alu instid0(VALU_DEP_2) | instskip(NEXT) | instid1(VALU_DEP_1)
	v_and_b32_e32 v111, 0x7f, v51
	v_cmpx_ne_u32_e32 0x7f, v111
	s_cbranch_execz .LBB214_295
; %bb.292:                              ;   in Loop: Header=BB214_14 Depth=1
	v_and_b32_e32 v51, 7, v51
	v_lshrrev_b32_e32 v109, 3, v111
	s_mov_b32 s52, exec_lo
	v_cmpx_gt_u32_e32 8, v111
; %bb.293:                              ;   in Loop: Header=BB214_14 Depth=1
	s_delay_alu instid0(VALU_DEP_3) | instskip(NEXT) | instid1(VALU_DEP_1)
	v_clz_i32_u32_e32 v109, v51
	v_min_u32_e32 v109, 32, v109
	s_delay_alu instid0(VALU_DEP_1) | instskip(SKIP_1) | instid1(VALU_DEP_2)
	v_subrev_nc_u32_e32 v111, 28, v109
	v_sub_nc_u32_e32 v109, 29, v109
	v_lshlrev_b64 v[111:112], v111, v[51:52]
	s_delay_alu instid0(VALU_DEP_1)
	v_and_b32_e32 v51, 7, v111
; %bb.294:                              ;   in Loop: Header=BB214_14 Depth=1
	s_or_b32 exec_lo, exec_lo, s52
	v_lshlrev_b32_e32 v110, 24, v110
	s_delay_alu instid0(VALU_DEP_2) | instskip(SKIP_1) | instid1(VALU_DEP_3)
	v_lshlrev_b32_e32 v51, 20, v51
	v_lshl_add_u32 v109, v109, 23, 0x3c000000
	v_and_b32_e32 v110, 0x80000000, v110
	s_delay_alu instid0(VALU_DEP_1)
	v_or3_b32 v109, v51, v110, v109
.LBB214_295:                            ;   in Loop: Header=BB214_14 Depth=1
	s_or_b32 exec_lo, exec_lo, s51
.LBB214_296:                            ;   in Loop: Header=BB214_14 Depth=1
	s_delay_alu instid0(SALU_CYCLE_1)
	s_or_b32 exec_lo, exec_lo, s50
.LBB214_297:                            ;   in Loop: Header=BB214_14 Depth=1
	s_delay_alu instid0(SALU_CYCLE_1)
	s_or_b32 exec_lo, exec_lo, s49
	global_load_u8 v59, v[59:60], off offset:12
	s_mov_b32 s49, exec_lo
	s_waitcnt vmcnt(0)
	v_cmpx_ne_u16_e32 0, v59
	s_cbranch_execz .LBB214_305
; %bb.298:                              ;   in Loop: Header=BB214_14 Depth=1
	v_bfrev_b32_e32 v108, 1
	s_mov_b32 s50, exec_lo
	v_cmpx_ne_u16_e32 0x80, v59
	s_cbranch_execz .LBB214_304
; %bb.299:                              ;   in Loop: Header=BB214_14 Depth=1
	v_and_b32_e32 v51, 0xffff, v59
	v_mov_b32_e32 v108, 0x7f800001
	s_mov_b32 s51, exec_lo
	s_delay_alu instid0(VALU_DEP_2) | instskip(NEXT) | instid1(VALU_DEP_1)
	v_and_b32_e32 v110, 0x7f, v51
	v_cmpx_ne_u32_e32 0x7f, v110
	s_cbranch_execz .LBB214_303
; %bb.300:                              ;   in Loop: Header=BB214_14 Depth=1
	v_and_b32_e32 v51, 7, v51
	v_lshrrev_b32_e32 v60, 3, v110
	s_mov_b32 s52, exec_lo
	v_cmpx_gt_u32_e32 8, v110
; %bb.301:                              ;   in Loop: Header=BB214_14 Depth=1
	s_delay_alu instid0(VALU_DEP_3) | instskip(NEXT) | instid1(VALU_DEP_1)
	v_clz_i32_u32_e32 v60, v51
	v_min_u32_e32 v60, 32, v60
	s_delay_alu instid0(VALU_DEP_1) | instskip(SKIP_1) | instid1(VALU_DEP_2)
	v_subrev_nc_u32_e32 v108, 28, v60
	v_sub_nc_u32_e32 v60, 29, v60
	v_lshlrev_b64 v[110:111], v108, v[51:52]
	s_delay_alu instid0(VALU_DEP_1)
	v_and_b32_e32 v51, 7, v110
; %bb.302:                              ;   in Loop: Header=BB214_14 Depth=1
	s_or_b32 exec_lo, exec_lo, s52
	v_lshlrev_b32_e32 v59, 24, v59
	s_delay_alu instid0(VALU_DEP_2) | instskip(SKIP_1) | instid1(VALU_DEP_3)
	v_lshlrev_b32_e32 v51, 20, v51
	v_lshl_add_u32 v60, v60, 23, 0x3c000000
	v_and_b32_e32 v59, 0x80000000, v59
	s_delay_alu instid0(VALU_DEP_1)
	v_or3_b32 v108, v51, v59, v60
.LBB214_303:                            ;   in Loop: Header=BB214_14 Depth=1
	s_or_b32 exec_lo, exec_lo, s51
.LBB214_304:                            ;   in Loop: Header=BB214_14 Depth=1
	s_delay_alu instid0(SALU_CYCLE_1)
	s_or_b32 exec_lo, exec_lo, s50
.LBB214_305:                            ;   in Loop: Header=BB214_14 Depth=1
	s_delay_alu instid0(SALU_CYCLE_1)
	s_or_b32 exec_lo, exec_lo, s49
	global_load_u8 v59, v[57:58], off offset:1152
	v_dual_mov_b32 v110, 0 :: v_dual_mov_b32 v111, 0
	s_mov_b32 s49, exec_lo
	s_waitcnt vmcnt(0)
	v_cmpx_ne_u16_e32 0, v59
	s_cbranch_execz .LBB214_313
; %bb.306:                              ;   in Loop: Header=BB214_14 Depth=1
	v_bfrev_b32_e32 v111, 1
	s_mov_b32 s50, exec_lo
	v_cmpx_ne_u16_e32 0x80, v59
	s_cbranch_execz .LBB214_312
; %bb.307:                              ;   in Loop: Header=BB214_14 Depth=1
	v_and_b32_e32 v51, 0xffff, v59
	v_mov_b32_e32 v111, 0x7f800001
	s_mov_b32 s51, exec_lo
	s_delay_alu instid0(VALU_DEP_2) | instskip(NEXT) | instid1(VALU_DEP_1)
	v_and_b32_e32 v112, 0x7f, v51
	v_cmpx_ne_u32_e32 0x7f, v112
	s_cbranch_execz .LBB214_311
; %bb.308:                              ;   in Loop: Header=BB214_14 Depth=1
	v_and_b32_e32 v51, 7, v51
	v_lshrrev_b32_e32 v60, 3, v112
	s_mov_b32 s52, exec_lo
	v_cmpx_gt_u32_e32 8, v112
; %bb.309:                              ;   in Loop: Header=BB214_14 Depth=1
	s_delay_alu instid0(VALU_DEP_3) | instskip(NEXT) | instid1(VALU_DEP_1)
	v_clz_i32_u32_e32 v60, v51
	v_min_u32_e32 v60, 32, v60
	s_delay_alu instid0(VALU_DEP_1) | instskip(SKIP_1) | instid1(VALU_DEP_2)
	v_subrev_nc_u32_e32 v111, 28, v60
	v_sub_nc_u32_e32 v60, 29, v60
	v_lshlrev_b64 v[111:112], v111, v[51:52]
	s_delay_alu instid0(VALU_DEP_1)
	v_and_b32_e32 v51, 7, v111
; %bb.310:                              ;   in Loop: Header=BB214_14 Depth=1
	s_or_b32 exec_lo, exec_lo, s52
	v_lshlrev_b32_e32 v59, 24, v59
	s_delay_alu instid0(VALU_DEP_2) | instskip(SKIP_1) | instid1(VALU_DEP_3)
	v_lshlrev_b32_e32 v51, 20, v51
	v_lshl_add_u32 v60, v60, 23, 0x3c000000
	v_and_b32_e32 v59, 0x80000000, v59
	s_delay_alu instid0(VALU_DEP_1)
	v_or3_b32 v111, v51, v59, v60
.LBB214_311:                            ;   in Loop: Header=BB214_14 Depth=1
	s_or_b32 exec_lo, exec_lo, s51
.LBB214_312:                            ;   in Loop: Header=BB214_14 Depth=1
	s_delay_alu instid0(SALU_CYCLE_1)
	s_or_b32 exec_lo, exec_lo, s50
.LBB214_313:                            ;   in Loop: Header=BB214_14 Depth=1
	s_delay_alu instid0(SALU_CYCLE_1)
	s_or_b32 exec_lo, exec_lo, s49
	global_load_u8 v59, v[57:58], off offset:1156
	s_mov_b32 s49, exec_lo
	s_waitcnt vmcnt(0)
	v_cmpx_ne_u16_e32 0, v59
	s_cbranch_execz .LBB214_321
; %bb.314:                              ;   in Loop: Header=BB214_14 Depth=1
	v_bfrev_b32_e32 v110, 1
	s_mov_b32 s50, exec_lo
	v_cmpx_ne_u16_e32 0x80, v59
	s_cbranch_execz .LBB214_320
; %bb.315:                              ;   in Loop: Header=BB214_14 Depth=1
	v_and_b32_e32 v51, 0xffff, v59
	v_mov_b32_e32 v110, 0x7f800001
	s_mov_b32 s51, exec_lo
	s_delay_alu instid0(VALU_DEP_2) | instskip(NEXT) | instid1(VALU_DEP_1)
	v_and_b32_e32 v112, 0x7f, v51
	v_cmpx_ne_u32_e32 0x7f, v112
	s_cbranch_execz .LBB214_319
; %bb.316:                              ;   in Loop: Header=BB214_14 Depth=1
	v_and_b32_e32 v51, 7, v51
	v_lshrrev_b32_e32 v60, 3, v112
	s_mov_b32 s52, exec_lo
	v_cmpx_gt_u32_e32 8, v112
; %bb.317:                              ;   in Loop: Header=BB214_14 Depth=1
	s_delay_alu instid0(VALU_DEP_3) | instskip(NEXT) | instid1(VALU_DEP_1)
	v_clz_i32_u32_e32 v60, v51
	v_min_u32_e32 v60, 32, v60
	s_delay_alu instid0(VALU_DEP_1) | instskip(SKIP_1) | instid1(VALU_DEP_2)
	v_subrev_nc_u32_e32 v110, 28, v60
	v_sub_nc_u32_e32 v60, 29, v60
	v_lshlrev_b64 v[112:113], v110, v[51:52]
	s_delay_alu instid0(VALU_DEP_1)
	v_and_b32_e32 v51, 7, v112
; %bb.318:                              ;   in Loop: Header=BB214_14 Depth=1
	s_or_b32 exec_lo, exec_lo, s52
	v_lshlrev_b32_e32 v59, 24, v59
	s_delay_alu instid0(VALU_DEP_2) | instskip(SKIP_1) | instid1(VALU_DEP_3)
	v_lshlrev_b32_e32 v51, 20, v51
	v_lshl_add_u32 v60, v60, 23, 0x3c000000
	v_and_b32_e32 v59, 0x80000000, v59
	s_delay_alu instid0(VALU_DEP_1)
	v_or3_b32 v110, v51, v59, v60
.LBB214_319:                            ;   in Loop: Header=BB214_14 Depth=1
	s_or_b32 exec_lo, exec_lo, s51
.LBB214_320:                            ;   in Loop: Header=BB214_14 Depth=1
	s_delay_alu instid0(SALU_CYCLE_1)
	s_or_b32 exec_lo, exec_lo, s50
.LBB214_321:                            ;   in Loop: Header=BB214_14 Depth=1
	s_delay_alu instid0(SALU_CYCLE_1) | instskip(SKIP_1) | instid1(VALU_DEP_1)
	s_or_b32 exec_lo, exec_lo, s49
	v_add_co_u32 v59, s2, 0x480, v57
	v_add_co_ci_u32_e64 v60, s2, 0, v58, s2
	v_dual_mov_b32 v112, 0 :: v_dual_mov_b32 v113, 0
	s_mov_b32 s49, exec_lo
	global_load_u8 v114, v[59:60], off offset:8
	s_waitcnt vmcnt(0)
	v_cmpx_ne_u16_e32 0, v114
	s_cbranch_execz .LBB214_329
; %bb.322:                              ;   in Loop: Header=BB214_14 Depth=1
	v_bfrev_b32_e32 v113, 1
	s_mov_b32 s50, exec_lo
	v_cmpx_ne_u16_e32 0x80, v114
	s_cbranch_execz .LBB214_328
; %bb.323:                              ;   in Loop: Header=BB214_14 Depth=1
	v_and_b32_e32 v51, 0xffff, v114
	v_mov_b32_e32 v113, 0x7f800001
	s_mov_b32 s51, exec_lo
	s_delay_alu instid0(VALU_DEP_2) | instskip(NEXT) | instid1(VALU_DEP_1)
	v_and_b32_e32 v115, 0x7f, v51
	v_cmpx_ne_u32_e32 0x7f, v115
	s_cbranch_execz .LBB214_327
; %bb.324:                              ;   in Loop: Header=BB214_14 Depth=1
	v_and_b32_e32 v51, 7, v51
	v_lshrrev_b32_e32 v113, 3, v115
	s_mov_b32 s52, exec_lo
	v_cmpx_gt_u32_e32 8, v115
; %bb.325:                              ;   in Loop: Header=BB214_14 Depth=1
	s_delay_alu instid0(VALU_DEP_3) | instskip(NEXT) | instid1(VALU_DEP_1)
	v_clz_i32_u32_e32 v113, v51
	v_min_u32_e32 v113, 32, v113
	s_delay_alu instid0(VALU_DEP_1) | instskip(SKIP_1) | instid1(VALU_DEP_2)
	v_subrev_nc_u32_e32 v115, 28, v113
	v_sub_nc_u32_e32 v113, 29, v113
	v_lshlrev_b64 v[115:116], v115, v[51:52]
	s_delay_alu instid0(VALU_DEP_1)
	v_and_b32_e32 v51, 7, v115
; %bb.326:                              ;   in Loop: Header=BB214_14 Depth=1
	s_or_b32 exec_lo, exec_lo, s52
	v_lshlrev_b32_e32 v114, 24, v114
	s_delay_alu instid0(VALU_DEP_2) | instskip(SKIP_1) | instid1(VALU_DEP_3)
	v_lshlrev_b32_e32 v51, 20, v51
	v_lshl_add_u32 v113, v113, 23, 0x3c000000
	v_and_b32_e32 v114, 0x80000000, v114
	s_delay_alu instid0(VALU_DEP_1)
	v_or3_b32 v113, v51, v114, v113
.LBB214_327:                            ;   in Loop: Header=BB214_14 Depth=1
	s_or_b32 exec_lo, exec_lo, s51
.LBB214_328:                            ;   in Loop: Header=BB214_14 Depth=1
	s_delay_alu instid0(SALU_CYCLE_1)
	s_or_b32 exec_lo, exec_lo, s50
.LBB214_329:                            ;   in Loop: Header=BB214_14 Depth=1
	s_delay_alu instid0(SALU_CYCLE_1)
	s_or_b32 exec_lo, exec_lo, s49
	global_load_u8 v59, v[59:60], off offset:12
	s_mov_b32 s49, exec_lo
	s_waitcnt vmcnt(0)
	v_cmpx_ne_u16_e32 0, v59
	s_cbranch_execz .LBB214_337
; %bb.330:                              ;   in Loop: Header=BB214_14 Depth=1
	v_bfrev_b32_e32 v112, 1
	s_mov_b32 s50, exec_lo
	v_cmpx_ne_u16_e32 0x80, v59
	s_cbranch_execz .LBB214_336
; %bb.331:                              ;   in Loop: Header=BB214_14 Depth=1
	v_and_b32_e32 v51, 0xffff, v59
	v_mov_b32_e32 v112, 0x7f800001
	s_mov_b32 s51, exec_lo
	s_delay_alu instid0(VALU_DEP_2) | instskip(NEXT) | instid1(VALU_DEP_1)
	v_and_b32_e32 v114, 0x7f, v51
	v_cmpx_ne_u32_e32 0x7f, v114
	s_cbranch_execz .LBB214_335
; %bb.332:                              ;   in Loop: Header=BB214_14 Depth=1
	v_and_b32_e32 v51, 7, v51
	v_lshrrev_b32_e32 v60, 3, v114
	s_mov_b32 s52, exec_lo
	v_cmpx_gt_u32_e32 8, v114
; %bb.333:                              ;   in Loop: Header=BB214_14 Depth=1
	s_delay_alu instid0(VALU_DEP_3) | instskip(NEXT) | instid1(VALU_DEP_1)
	v_clz_i32_u32_e32 v60, v51
	v_min_u32_e32 v60, 32, v60
	s_delay_alu instid0(VALU_DEP_1) | instskip(SKIP_1) | instid1(VALU_DEP_2)
	v_subrev_nc_u32_e32 v112, 28, v60
	v_sub_nc_u32_e32 v60, 29, v60
	v_lshlrev_b64 v[114:115], v112, v[51:52]
	s_delay_alu instid0(VALU_DEP_1)
	v_and_b32_e32 v51, 7, v114
; %bb.334:                              ;   in Loop: Header=BB214_14 Depth=1
	s_or_b32 exec_lo, exec_lo, s52
	v_lshlrev_b32_e32 v59, 24, v59
	s_delay_alu instid0(VALU_DEP_2) | instskip(SKIP_1) | instid1(VALU_DEP_3)
	v_lshlrev_b32_e32 v51, 20, v51
	v_lshl_add_u32 v60, v60, 23, 0x3c000000
	v_and_b32_e32 v59, 0x80000000, v59
	s_delay_alu instid0(VALU_DEP_1)
	v_or3_b32 v112, v51, v59, v60
.LBB214_335:                            ;   in Loop: Header=BB214_14 Depth=1
	s_or_b32 exec_lo, exec_lo, s51
.LBB214_336:                            ;   in Loop: Header=BB214_14 Depth=1
	s_delay_alu instid0(SALU_CYCLE_1)
	s_or_b32 exec_lo, exec_lo, s50
.LBB214_337:                            ;   in Loop: Header=BB214_14 Depth=1
	s_delay_alu instid0(SALU_CYCLE_1)
	s_or_b32 exec_lo, exec_lo, s49
	global_load_u8 v59, v[57:58], off offset:1280
	v_dual_mov_b32 v114, 0 :: v_dual_mov_b32 v115, 0
	s_mov_b32 s49, exec_lo
	s_waitcnt vmcnt(0)
	v_cmpx_ne_u16_e32 0, v59
	s_cbranch_execz .LBB214_345
; %bb.338:                              ;   in Loop: Header=BB214_14 Depth=1
	v_bfrev_b32_e32 v115, 1
	s_mov_b32 s50, exec_lo
	v_cmpx_ne_u16_e32 0x80, v59
	s_cbranch_execz .LBB214_344
; %bb.339:                              ;   in Loop: Header=BB214_14 Depth=1
	v_and_b32_e32 v51, 0xffff, v59
	v_mov_b32_e32 v115, 0x7f800001
	s_mov_b32 s51, exec_lo
	s_delay_alu instid0(VALU_DEP_2) | instskip(NEXT) | instid1(VALU_DEP_1)
	v_and_b32_e32 v116, 0x7f, v51
	v_cmpx_ne_u32_e32 0x7f, v116
	s_cbranch_execz .LBB214_343
; %bb.340:                              ;   in Loop: Header=BB214_14 Depth=1
	v_and_b32_e32 v51, 7, v51
	v_lshrrev_b32_e32 v60, 3, v116
	s_mov_b32 s52, exec_lo
	v_cmpx_gt_u32_e32 8, v116
; %bb.341:                              ;   in Loop: Header=BB214_14 Depth=1
	s_delay_alu instid0(VALU_DEP_3) | instskip(NEXT) | instid1(VALU_DEP_1)
	v_clz_i32_u32_e32 v60, v51
	v_min_u32_e32 v60, 32, v60
	s_delay_alu instid0(VALU_DEP_1) | instskip(SKIP_1) | instid1(VALU_DEP_2)
	v_subrev_nc_u32_e32 v115, 28, v60
	v_sub_nc_u32_e32 v60, 29, v60
	v_lshlrev_b64 v[115:116], v115, v[51:52]
	s_delay_alu instid0(VALU_DEP_1)
	v_and_b32_e32 v51, 7, v115
; %bb.342:                              ;   in Loop: Header=BB214_14 Depth=1
	s_or_b32 exec_lo, exec_lo, s52
	v_lshlrev_b32_e32 v59, 24, v59
	s_delay_alu instid0(VALU_DEP_2) | instskip(SKIP_1) | instid1(VALU_DEP_3)
	v_lshlrev_b32_e32 v51, 20, v51
	v_lshl_add_u32 v60, v60, 23, 0x3c000000
	v_and_b32_e32 v59, 0x80000000, v59
	s_delay_alu instid0(VALU_DEP_1)
	v_or3_b32 v115, v51, v59, v60
.LBB214_343:                            ;   in Loop: Header=BB214_14 Depth=1
	s_or_b32 exec_lo, exec_lo, s51
.LBB214_344:                            ;   in Loop: Header=BB214_14 Depth=1
	s_delay_alu instid0(SALU_CYCLE_1)
	s_or_b32 exec_lo, exec_lo, s50
.LBB214_345:                            ;   in Loop: Header=BB214_14 Depth=1
	s_delay_alu instid0(SALU_CYCLE_1)
	s_or_b32 exec_lo, exec_lo, s49
	global_load_u8 v59, v[57:58], off offset:1284
	s_mov_b32 s49, exec_lo
	s_waitcnt vmcnt(0)
	v_cmpx_ne_u16_e32 0, v59
	s_cbranch_execz .LBB214_353
; %bb.346:                              ;   in Loop: Header=BB214_14 Depth=1
	v_bfrev_b32_e32 v114, 1
	s_mov_b32 s50, exec_lo
	v_cmpx_ne_u16_e32 0x80, v59
	s_cbranch_execz .LBB214_352
; %bb.347:                              ;   in Loop: Header=BB214_14 Depth=1
	v_and_b32_e32 v51, 0xffff, v59
	v_mov_b32_e32 v114, 0x7f800001
	s_mov_b32 s51, exec_lo
	s_delay_alu instid0(VALU_DEP_2) | instskip(NEXT) | instid1(VALU_DEP_1)
	v_and_b32_e32 v116, 0x7f, v51
	v_cmpx_ne_u32_e32 0x7f, v116
	s_cbranch_execz .LBB214_351
; %bb.348:                              ;   in Loop: Header=BB214_14 Depth=1
	v_and_b32_e32 v51, 7, v51
	v_lshrrev_b32_e32 v60, 3, v116
	s_mov_b32 s52, exec_lo
	v_cmpx_gt_u32_e32 8, v116
; %bb.349:                              ;   in Loop: Header=BB214_14 Depth=1
	s_delay_alu instid0(VALU_DEP_3) | instskip(NEXT) | instid1(VALU_DEP_1)
	v_clz_i32_u32_e32 v60, v51
	v_min_u32_e32 v60, 32, v60
	s_delay_alu instid0(VALU_DEP_1) | instskip(SKIP_1) | instid1(VALU_DEP_2)
	v_subrev_nc_u32_e32 v114, 28, v60
	v_sub_nc_u32_e32 v60, 29, v60
	v_lshlrev_b64 v[116:117], v114, v[51:52]
	s_delay_alu instid0(VALU_DEP_1)
	v_and_b32_e32 v51, 7, v116
; %bb.350:                              ;   in Loop: Header=BB214_14 Depth=1
	s_or_b32 exec_lo, exec_lo, s52
	v_lshlrev_b32_e32 v59, 24, v59
	s_delay_alu instid0(VALU_DEP_2) | instskip(SKIP_1) | instid1(VALU_DEP_3)
	v_lshlrev_b32_e32 v51, 20, v51
	v_lshl_add_u32 v60, v60, 23, 0x3c000000
	v_and_b32_e32 v59, 0x80000000, v59
	s_delay_alu instid0(VALU_DEP_1)
	v_or3_b32 v114, v51, v59, v60
.LBB214_351:                            ;   in Loop: Header=BB214_14 Depth=1
	s_or_b32 exec_lo, exec_lo, s51
.LBB214_352:                            ;   in Loop: Header=BB214_14 Depth=1
	s_delay_alu instid0(SALU_CYCLE_1)
	s_or_b32 exec_lo, exec_lo, s50
.LBB214_353:                            ;   in Loop: Header=BB214_14 Depth=1
	s_delay_alu instid0(SALU_CYCLE_1) | instskip(SKIP_1) | instid1(VALU_DEP_1)
	s_or_b32 exec_lo, exec_lo, s49
	v_add_co_u32 v59, s2, 0x500, v57
	v_add_co_ci_u32_e64 v60, s2, 0, v58, s2
	v_dual_mov_b32 v116, 0 :: v_dual_mov_b32 v117, 0
	s_mov_b32 s49, exec_lo
	global_load_u8 v118, v[59:60], off offset:8
	s_waitcnt vmcnt(0)
	v_cmpx_ne_u16_e32 0, v118
	s_cbranch_execz .LBB214_361
; %bb.354:                              ;   in Loop: Header=BB214_14 Depth=1
	v_bfrev_b32_e32 v117, 1
	s_mov_b32 s50, exec_lo
	v_cmpx_ne_u16_e32 0x80, v118
	s_cbranch_execz .LBB214_360
; %bb.355:                              ;   in Loop: Header=BB214_14 Depth=1
	v_and_b32_e32 v51, 0xffff, v118
	v_mov_b32_e32 v117, 0x7f800001
	s_mov_b32 s51, exec_lo
	s_delay_alu instid0(VALU_DEP_2) | instskip(NEXT) | instid1(VALU_DEP_1)
	v_and_b32_e32 v119, 0x7f, v51
	v_cmpx_ne_u32_e32 0x7f, v119
	s_cbranch_execz .LBB214_359
; %bb.356:                              ;   in Loop: Header=BB214_14 Depth=1
	v_and_b32_e32 v51, 7, v51
	v_lshrrev_b32_e32 v117, 3, v119
	s_mov_b32 s52, exec_lo
	v_cmpx_gt_u32_e32 8, v119
; %bb.357:                              ;   in Loop: Header=BB214_14 Depth=1
	s_delay_alu instid0(VALU_DEP_3) | instskip(NEXT) | instid1(VALU_DEP_1)
	v_clz_i32_u32_e32 v117, v51
	v_min_u32_e32 v117, 32, v117
	s_delay_alu instid0(VALU_DEP_1) | instskip(SKIP_1) | instid1(VALU_DEP_2)
	v_subrev_nc_u32_e32 v119, 28, v117
	v_sub_nc_u32_e32 v117, 29, v117
	v_lshlrev_b64 v[119:120], v119, v[51:52]
	s_delay_alu instid0(VALU_DEP_1)
	v_and_b32_e32 v51, 7, v119
; %bb.358:                              ;   in Loop: Header=BB214_14 Depth=1
	s_or_b32 exec_lo, exec_lo, s52
	v_lshlrev_b32_e32 v118, 24, v118
	s_delay_alu instid0(VALU_DEP_2) | instskip(SKIP_1) | instid1(VALU_DEP_3)
	v_lshlrev_b32_e32 v51, 20, v51
	v_lshl_add_u32 v117, v117, 23, 0x3c000000
	v_and_b32_e32 v118, 0x80000000, v118
	s_delay_alu instid0(VALU_DEP_1)
	v_or3_b32 v117, v51, v118, v117
.LBB214_359:                            ;   in Loop: Header=BB214_14 Depth=1
	s_or_b32 exec_lo, exec_lo, s51
.LBB214_360:                            ;   in Loop: Header=BB214_14 Depth=1
	s_delay_alu instid0(SALU_CYCLE_1)
	s_or_b32 exec_lo, exec_lo, s50
.LBB214_361:                            ;   in Loop: Header=BB214_14 Depth=1
	s_delay_alu instid0(SALU_CYCLE_1)
	s_or_b32 exec_lo, exec_lo, s49
	global_load_u8 v59, v[59:60], off offset:12
	s_mov_b32 s49, exec_lo
	s_waitcnt vmcnt(0)
	v_cmpx_ne_u16_e32 0, v59
	s_cbranch_execz .LBB214_369
; %bb.362:                              ;   in Loop: Header=BB214_14 Depth=1
	v_bfrev_b32_e32 v116, 1
	s_mov_b32 s50, exec_lo
	v_cmpx_ne_u16_e32 0x80, v59
	s_cbranch_execz .LBB214_368
; %bb.363:                              ;   in Loop: Header=BB214_14 Depth=1
	v_and_b32_e32 v51, 0xffff, v59
	v_mov_b32_e32 v116, 0x7f800001
	s_mov_b32 s51, exec_lo
	s_delay_alu instid0(VALU_DEP_2) | instskip(NEXT) | instid1(VALU_DEP_1)
	v_and_b32_e32 v118, 0x7f, v51
	v_cmpx_ne_u32_e32 0x7f, v118
	s_cbranch_execz .LBB214_367
; %bb.364:                              ;   in Loop: Header=BB214_14 Depth=1
	v_and_b32_e32 v51, 7, v51
	v_lshrrev_b32_e32 v60, 3, v118
	s_mov_b32 s52, exec_lo
	v_cmpx_gt_u32_e32 8, v118
; %bb.365:                              ;   in Loop: Header=BB214_14 Depth=1
	s_delay_alu instid0(VALU_DEP_3) | instskip(NEXT) | instid1(VALU_DEP_1)
	v_clz_i32_u32_e32 v60, v51
	v_min_u32_e32 v60, 32, v60
	s_delay_alu instid0(VALU_DEP_1) | instskip(SKIP_1) | instid1(VALU_DEP_2)
	v_subrev_nc_u32_e32 v116, 28, v60
	v_sub_nc_u32_e32 v60, 29, v60
	v_lshlrev_b64 v[118:119], v116, v[51:52]
	s_delay_alu instid0(VALU_DEP_1)
	v_and_b32_e32 v51, 7, v118
; %bb.366:                              ;   in Loop: Header=BB214_14 Depth=1
	s_or_b32 exec_lo, exec_lo, s52
	v_lshlrev_b32_e32 v59, 24, v59
	s_delay_alu instid0(VALU_DEP_2) | instskip(SKIP_1) | instid1(VALU_DEP_3)
	v_lshlrev_b32_e32 v51, 20, v51
	v_lshl_add_u32 v60, v60, 23, 0x3c000000
	v_and_b32_e32 v59, 0x80000000, v59
	s_delay_alu instid0(VALU_DEP_1)
	v_or3_b32 v116, v51, v59, v60
.LBB214_367:                            ;   in Loop: Header=BB214_14 Depth=1
	s_or_b32 exec_lo, exec_lo, s51
.LBB214_368:                            ;   in Loop: Header=BB214_14 Depth=1
	s_delay_alu instid0(SALU_CYCLE_1)
	s_or_b32 exec_lo, exec_lo, s50
.LBB214_369:                            ;   in Loop: Header=BB214_14 Depth=1
	s_delay_alu instid0(SALU_CYCLE_1)
	s_or_b32 exec_lo, exec_lo, s49
	global_load_u8 v118, v[57:58], off offset:1408
	v_dual_mov_b32 v59, 0 :: v_dual_mov_b32 v60, 0
	s_mov_b32 s49, exec_lo
	s_waitcnt vmcnt(0)
	v_cmpx_ne_u16_e32 0, v118
	s_cbranch_execz .LBB214_377
; %bb.370:                              ;   in Loop: Header=BB214_14 Depth=1
	v_bfrev_b32_e32 v60, 1
	s_mov_b32 s50, exec_lo
	v_cmpx_ne_u16_e32 0x80, v118
	s_cbranch_execz .LBB214_376
; %bb.371:                              ;   in Loop: Header=BB214_14 Depth=1
	v_and_b32_e32 v51, 0xffff, v118
	v_mov_b32_e32 v60, 0x7f800001
	s_mov_b32 s51, exec_lo
	s_delay_alu instid0(VALU_DEP_2) | instskip(NEXT) | instid1(VALU_DEP_1)
	v_and_b32_e32 v119, 0x7f, v51
	v_cmpx_ne_u32_e32 0x7f, v119
	s_cbranch_execz .LBB214_375
; %bb.372:                              ;   in Loop: Header=BB214_14 Depth=1
	v_and_b32_e32 v51, 7, v51
	v_lshrrev_b32_e32 v60, 3, v119
	s_mov_b32 s52, exec_lo
	v_cmpx_gt_u32_e32 8, v119
; %bb.373:                              ;   in Loop: Header=BB214_14 Depth=1
	s_delay_alu instid0(VALU_DEP_3) | instskip(NEXT) | instid1(VALU_DEP_1)
	v_clz_i32_u32_e32 v60, v51
	v_min_u32_e32 v60, 32, v60
	s_delay_alu instid0(VALU_DEP_1) | instskip(SKIP_1) | instid1(VALU_DEP_2)
	v_subrev_nc_u32_e32 v119, 28, v60
	v_sub_nc_u32_e32 v60, 29, v60
	v_lshlrev_b64 v[119:120], v119, v[51:52]
	s_delay_alu instid0(VALU_DEP_1)
	v_and_b32_e32 v51, 7, v119
; %bb.374:                              ;   in Loop: Header=BB214_14 Depth=1
	s_or_b32 exec_lo, exec_lo, s52
	v_lshlrev_b32_e32 v118, 24, v118
	s_delay_alu instid0(VALU_DEP_2) | instskip(SKIP_1) | instid1(VALU_DEP_3)
	v_lshlrev_b32_e32 v51, 20, v51
	v_lshl_add_u32 v60, v60, 23, 0x3c000000
	v_and_b32_e32 v118, 0x80000000, v118
	s_delay_alu instid0(VALU_DEP_1)
	v_or3_b32 v60, v51, v118, v60
.LBB214_375:                            ;   in Loop: Header=BB214_14 Depth=1
	s_or_b32 exec_lo, exec_lo, s51
.LBB214_376:                            ;   in Loop: Header=BB214_14 Depth=1
	s_delay_alu instid0(SALU_CYCLE_1)
	s_or_b32 exec_lo, exec_lo, s50
.LBB214_377:                            ;   in Loop: Header=BB214_14 Depth=1
	s_delay_alu instid0(SALU_CYCLE_1)
	s_or_b32 exec_lo, exec_lo, s49
	global_load_u8 v118, v[57:58], off offset:1412
	s_mov_b32 s49, exec_lo
	s_waitcnt vmcnt(0)
	v_cmpx_ne_u16_e32 0, v118
	s_cbranch_execz .LBB214_385
; %bb.378:                              ;   in Loop: Header=BB214_14 Depth=1
	v_bfrev_b32_e32 v59, 1
	s_mov_b32 s50, exec_lo
	v_cmpx_ne_u16_e32 0x80, v118
	s_cbranch_execz .LBB214_384
; %bb.379:                              ;   in Loop: Header=BB214_14 Depth=1
	v_and_b32_e32 v51, 0xffff, v118
	v_mov_b32_e32 v59, 0x7f800001
	s_mov_b32 s51, exec_lo
	s_delay_alu instid0(VALU_DEP_2) | instskip(NEXT) | instid1(VALU_DEP_1)
	v_and_b32_e32 v119, 0x7f, v51
	v_cmpx_ne_u32_e32 0x7f, v119
	s_cbranch_execz .LBB214_383
; %bb.380:                              ;   in Loop: Header=BB214_14 Depth=1
	v_and_b32_e32 v51, 7, v51
	v_lshrrev_b32_e32 v59, 3, v119
	s_mov_b32 s52, exec_lo
	v_cmpx_gt_u32_e32 8, v119
; %bb.381:                              ;   in Loop: Header=BB214_14 Depth=1
	s_delay_alu instid0(VALU_DEP_3) | instskip(NEXT) | instid1(VALU_DEP_1)
	v_clz_i32_u32_e32 v59, v51
	v_min_u32_e32 v59, 32, v59
	s_delay_alu instid0(VALU_DEP_1) | instskip(SKIP_1) | instid1(VALU_DEP_2)
	v_subrev_nc_u32_e32 v119, 28, v59
	v_sub_nc_u32_e32 v59, 29, v59
	v_lshlrev_b64 v[119:120], v119, v[51:52]
	s_delay_alu instid0(VALU_DEP_1)
	v_and_b32_e32 v51, 7, v119
; %bb.382:                              ;   in Loop: Header=BB214_14 Depth=1
	s_or_b32 exec_lo, exec_lo, s52
	v_lshlrev_b32_e32 v118, 24, v118
	s_delay_alu instid0(VALU_DEP_2) | instskip(SKIP_1) | instid1(VALU_DEP_3)
	v_lshlrev_b32_e32 v51, 20, v51
	v_lshl_add_u32 v59, v59, 23, 0x3c000000
	v_and_b32_e32 v118, 0x80000000, v118
	s_delay_alu instid0(VALU_DEP_1)
	v_or3_b32 v59, v51, v118, v59
.LBB214_383:                            ;   in Loop: Header=BB214_14 Depth=1
	s_or_b32 exec_lo, exec_lo, s51
.LBB214_384:                            ;   in Loop: Header=BB214_14 Depth=1
	s_delay_alu instid0(SALU_CYCLE_1)
	s_or_b32 exec_lo, exec_lo, s50
.LBB214_385:                            ;   in Loop: Header=BB214_14 Depth=1
	s_delay_alu instid0(SALU_CYCLE_1) | instskip(SKIP_1) | instid1(VALU_DEP_1)
	s_or_b32 exec_lo, exec_lo, s49
	v_add_co_u32 v57, s2, 0x580, v57
	v_add_co_ci_u32_e64 v58, s2, 0, v58, s2
	v_dual_mov_b32 v118, 0 :: v_dual_mov_b32 v119, 0
	s_mov_b32 s49, exec_lo
	global_load_u8 v120, v[57:58], off offset:8
	s_waitcnt vmcnt(0)
	v_cmpx_ne_u16_e32 0, v120
	s_cbranch_execz .LBB214_393
; %bb.386:                              ;   in Loop: Header=BB214_14 Depth=1
	v_bfrev_b32_e32 v119, 1
	s_mov_b32 s50, exec_lo
	v_cmpx_ne_u16_e32 0x80, v120
	s_cbranch_execz .LBB214_392
; %bb.387:                              ;   in Loop: Header=BB214_14 Depth=1
	v_and_b32_e32 v51, 0xffff, v120
	v_mov_b32_e32 v119, 0x7f800001
	s_mov_b32 s51, exec_lo
	s_delay_alu instid0(VALU_DEP_2) | instskip(NEXT) | instid1(VALU_DEP_1)
	v_and_b32_e32 v121, 0x7f, v51
	v_cmpx_ne_u32_e32 0x7f, v121
	s_cbranch_execz .LBB214_391
; %bb.388:                              ;   in Loop: Header=BB214_14 Depth=1
	v_and_b32_e32 v51, 7, v51
	v_lshrrev_b32_e32 v119, 3, v121
	s_mov_b32 s52, exec_lo
	v_cmpx_gt_u32_e32 8, v121
; %bb.389:                              ;   in Loop: Header=BB214_14 Depth=1
	s_delay_alu instid0(VALU_DEP_3) | instskip(NEXT) | instid1(VALU_DEP_1)
	v_clz_i32_u32_e32 v119, v51
	v_min_u32_e32 v119, 32, v119
	s_delay_alu instid0(VALU_DEP_1) | instskip(SKIP_1) | instid1(VALU_DEP_2)
	v_subrev_nc_u32_e32 v121, 28, v119
	v_sub_nc_u32_e32 v119, 29, v119
	v_lshlrev_b64 v[121:122], v121, v[51:52]
	s_delay_alu instid0(VALU_DEP_1)
	v_and_b32_e32 v51, 7, v121
; %bb.390:                              ;   in Loop: Header=BB214_14 Depth=1
	s_or_b32 exec_lo, exec_lo, s52
	v_lshlrev_b32_e32 v120, 24, v120
	s_delay_alu instid0(VALU_DEP_2) | instskip(SKIP_1) | instid1(VALU_DEP_3)
	v_lshlrev_b32_e32 v51, 20, v51
	v_lshl_add_u32 v119, v119, 23, 0x3c000000
	v_and_b32_e32 v120, 0x80000000, v120
	s_delay_alu instid0(VALU_DEP_1)
	v_or3_b32 v119, v51, v120, v119
.LBB214_391:                            ;   in Loop: Header=BB214_14 Depth=1
	s_or_b32 exec_lo, exec_lo, s51
.LBB214_392:                            ;   in Loop: Header=BB214_14 Depth=1
	s_delay_alu instid0(SALU_CYCLE_1)
	s_or_b32 exec_lo, exec_lo, s50
.LBB214_393:                            ;   in Loop: Header=BB214_14 Depth=1
	s_delay_alu instid0(SALU_CYCLE_1)
	s_or_b32 exec_lo, exec_lo, s49
	global_load_u8 v57, v[57:58], off offset:12
	s_mov_b32 s49, exec_lo
	s_waitcnt vmcnt(0)
	v_cmpx_ne_u16_e32 0, v57
	s_cbranch_execz .LBB214_401
; %bb.394:                              ;   in Loop: Header=BB214_14 Depth=1
	v_bfrev_b32_e32 v118, 1
	s_mov_b32 s50, exec_lo
	v_cmpx_ne_u16_e32 0x80, v57
	s_cbranch_execz .LBB214_400
; %bb.395:                              ;   in Loop: Header=BB214_14 Depth=1
	v_and_b32_e32 v51, 0xffff, v57
	v_mov_b32_e32 v118, 0x7f800001
	s_mov_b32 s51, exec_lo
	s_delay_alu instid0(VALU_DEP_2) | instskip(NEXT) | instid1(VALU_DEP_1)
	v_and_b32_e32 v120, 0x7f, v51
	v_cmpx_ne_u32_e32 0x7f, v120
	s_cbranch_execz .LBB214_399
; %bb.396:                              ;   in Loop: Header=BB214_14 Depth=1
	v_and_b32_e32 v51, 7, v51
	v_lshrrev_b32_e32 v58, 3, v120
	s_mov_b32 s52, exec_lo
	v_cmpx_gt_u32_e32 8, v120
; %bb.397:                              ;   in Loop: Header=BB214_14 Depth=1
	s_delay_alu instid0(VALU_DEP_3) | instskip(NEXT) | instid1(VALU_DEP_1)
	v_clz_i32_u32_e32 v58, v51
	v_min_u32_e32 v58, 32, v58
	s_delay_alu instid0(VALU_DEP_1) | instskip(SKIP_1) | instid1(VALU_DEP_2)
	v_subrev_nc_u32_e32 v118, 28, v58
	v_sub_nc_u32_e32 v58, 29, v58
	v_lshlrev_b64 v[120:121], v118, v[51:52]
	s_delay_alu instid0(VALU_DEP_1)
	v_and_b32_e32 v51, 7, v120
; %bb.398:                              ;   in Loop: Header=BB214_14 Depth=1
	s_or_b32 exec_lo, exec_lo, s52
	v_lshlrev_b32_e32 v57, 24, v57
	s_delay_alu instid0(VALU_DEP_2) | instskip(SKIP_1) | instid1(VALU_DEP_3)
	v_lshlrev_b32_e32 v51, 20, v51
	v_lshl_add_u32 v58, v58, 23, 0x3c000000
	v_and_b32_e32 v57, 0x80000000, v57
	s_delay_alu instid0(VALU_DEP_1)
	v_or3_b32 v118, v51, v57, v58
.LBB214_399:                            ;   in Loop: Header=BB214_14 Depth=1
	s_or_b32 exec_lo, exec_lo, s51
.LBB214_400:                            ;   in Loop: Header=BB214_14 Depth=1
	s_delay_alu instid0(SALU_CYCLE_1)
	s_or_b32 exec_lo, exec_lo, s50
.LBB214_401:                            ;   in Loop: Header=BB214_14 Depth=1
	s_delay_alu instid0(SALU_CYCLE_1) | instskip(SKIP_3) | instid1(VALU_DEP_1)
	s_or_b32 exec_lo, exec_lo, s49
	s_waitcnt lgkmcnt(0)
	v_mul_f32_e32 v57, s48, v75
	v_mul_f32_e32 v51, s48, v74
	v_dual_mul_f32 v46, v46, v51 :: v_dual_mul_f32 v51, s48, v77
	s_delay_alu instid0(VALU_DEP_1) | instskip(NEXT) | instid1(VALU_DEP_1)
	v_dual_fmac_f32 v46, v45, v57 :: v_dual_mul_f32 v45, s48, v76
	v_fmac_f32_e32 v46, v47, v51
	s_delay_alu instid0(VALU_DEP_1) | instskip(SKIP_1) | instid1(VALU_DEP_1)
	v_dual_fmac_f32 v46, v48, v45 :: v_dual_mul_f32 v45, s48, v78
	v_mul_f32_e32 v47, s48, v79
	v_dual_fmac_f32 v46, v41, v47 :: v_dual_mul_f32 v41, s48, v81
	s_delay_alu instid0(VALU_DEP_1) | instskip(SKIP_1) | instid1(VALU_DEP_2)
	v_fmac_f32_e32 v46, v42, v45
	v_mul_f32_e32 v42, s48, v80
	v_dual_fmac_f32 v46, v43, v41 :: v_dual_mul_f32 v41, s48, v83
	s_delay_alu instid0(VALU_DEP_1) | instskip(SKIP_1) | instid1(VALU_DEP_2)
	v_fmac_f32_e32 v46, v44, v42
	v_mul_f32_e32 v42, s48, v82
	v_fmac_f32_e32 v46, v37, v41
	s_delay_alu instid0(VALU_DEP_1) | instskip(SKIP_1) | instid1(VALU_DEP_2)
	v_dual_mul_f32 v37, s48, v85 :: v_dual_fmac_f32 v46, v38, v42
	v_mul_f32_e32 v38, s48, v84
	v_dual_fmac_f32 v46, v39, v37 :: v_dual_mul_f32 v37, s48, v87
	s_delay_alu instid0(VALU_DEP_1) | instskip(SKIP_1) | instid1(VALU_DEP_2)
	v_fmac_f32_e32 v46, v40, v38
	v_mul_f32_e32 v38, s48, v86
	v_fmac_f32_e32 v46, v33, v37
	s_delay_alu instid0(VALU_DEP_1) | instskip(SKIP_1) | instid1(VALU_DEP_2)
	v_dual_mul_f32 v33, s48, v89 :: v_dual_fmac_f32 v46, v34, v38
	;; [unrolled: 8-line block ×9, first 2 shown]
	v_mul_f32_e32 v6, s48, v116
	v_dual_fmac_f32 v46, v7, v5 :: v_dual_mul_f32 v5, s48, v60
	s_delay_alu instid0(VALU_DEP_1) | instskip(SKIP_1) | instid1(VALU_DEP_2)
	v_fmac_f32_e32 v46, v8, v6
	v_mul_f32_e32 v6, s48, v59
	v_fmac_f32_e32 v46, v1, v5
	v_xor_b32_e32 v1, 2, v64
	s_delay_alu instid0(VALU_DEP_2) | instskip(NEXT) | instid1(VALU_DEP_2)
	v_dual_mul_f32 v5, s48, v119 :: v_dual_fmac_f32 v46, v2, v6
	v_cmp_gt_i32_e64 s2, 32, v1
	v_mul_f32_e32 v2, s48, v118
	s_delay_alu instid0(VALU_DEP_3) | instskip(NEXT) | instid1(VALU_DEP_3)
	v_fmac_f32_e32 v46, v3, v5
	v_cndmask_b32_e64 v1, v64, v1, s2
	s_delay_alu instid0(VALU_DEP_1) | instskip(SKIP_3) | instid1(VALU_DEP_1)
	v_dual_fmac_f32 v46, v4, v2 :: v_dual_lshlrev_b32 v1, 2, v1
	v_xor_b32_e32 v2, 1, v64
	ds_bpermute_b32 v1, v1, v46
	v_cmp_gt_i32_e64 s2, 32, v2
	v_cndmask_b32_e64 v2, v64, v2, s2
	s_waitcnt lgkmcnt(0)
	s_delay_alu instid0(VALU_DEP_1)
	v_dual_add_f32 v1, v46, v1 :: v_dual_lshlrev_b32 v2, 2, v2
	ds_bpermute_b32 v2, v2, v1
	s_and_saveexec_b32 s48, vcc_lo
	s_cbranch_execz .LBB214_12
; %bb.402:                              ;   in Loop: Header=BB214_14 Depth=1
	s_waitcnt lgkmcnt(0)
	v_add_f32_e32 v1, v1, v2
	v_add_nc_u32_e32 v3, v70, v68
	s_delay_alu instid0(VALU_DEP_1) | instskip(NEXT) | instid1(VALU_DEP_1)
	v_cvt_f32_i32_e32 v3, v3
	v_mul_f32_e32 v3, s43, v3
	s_delay_alu instid0(VALU_DEP_1) | instskip(SKIP_1) | instid1(VALU_DEP_2)
	v_cndmask_b32_e64 v2, 0, v3, s1
	v_max_f32_e32 v3, v65, v65
	v_dual_fmac_f32 v2, s41, v1 :: v_dual_add_nc_u32 v1, v66, v68
	s_delay_alu instid0(VALU_DEP_1) | instskip(NEXT) | instid1(VALU_DEP_2)
	v_max_f32_e32 v3, v3, v2
	v_cmp_gt_i32_e64 s2, s33, v1
	s_delay_alu instid0(VALU_DEP_1) | instskip(NEXT) | instid1(VALU_DEP_3)
	v_cndmask_b32_e64 v1, 0, v2, s2
	v_cndmask_b32_e64 v65, v65, v3, s2
	ds_store_b32 v71, v1
	s_branch .LBB214_12
.LBB214_403:
	s_or_b32 exec_lo, exec_lo, s17
.LBB214_404:
	s_delay_alu instid0(SALU_CYCLE_1) | instskip(SKIP_4) | instid1(VALU_DEP_4)
	s_or_b32 exec_lo, exec_lo, s45
	v_xor_b32_e32 v1, 16, v64
	v_xor_b32_e32 v3, 8, v64
	v_max_f32_e32 v5, v65, v65
	v_and_b32_e32 v21, 31, v0
	v_cmp_gt_i32_e32 vcc_lo, 32, v1
	v_cndmask_b32_e32 v1, v64, v1, vcc_lo
	v_cmp_gt_i32_e32 vcc_lo, 32, v3
	v_cndmask_b32_e32 v3, v64, v3, vcc_lo
	s_delay_alu instid0(VALU_DEP_1)
	v_lshlrev_b32_e32 v4, 2, v3
	s_waitcnt lgkmcnt(0)
	v_lshlrev_b32_e32 v2, 2, v1
	ds_bpermute_b32 v1, v2, v65
	s_waitcnt lgkmcnt(0)
	v_max_f32_e32 v1, v1, v1
	s_delay_alu instid0(VALU_DEP_1)
	v_max_f32_e32 v1, v5, v1
	v_xor_b32_e32 v5, 4, v64
	ds_bpermute_b32 v3, v4, v1
	v_cmp_gt_i32_e32 vcc_lo, 32, v5
	v_cndmask_b32_e32 v5, v64, v5, vcc_lo
	v_cmp_eq_u32_e32 vcc_lo, 0, v21
	s_delay_alu instid0(VALU_DEP_2) | instskip(SKIP_3) | instid1(VALU_DEP_1)
	v_lshlrev_b32_e32 v7, 2, v5
	v_lshlrev_b32_e32 v5, 2, v61
	s_waitcnt lgkmcnt(0)
	v_max_f32_e32 v3, v3, v3
	v_max_f32_e32 v1, v1, v3
	ds_bpermute_b32 v3, v7, v1
	s_and_saveexec_b32 s1, vcc_lo
	s_cbranch_execz .LBB214_406
; %bb.405:
	s_waitcnt lgkmcnt(0)
	v_max_f32_e32 v3, v3, v3
	v_max_f32_e32 v1, v1, v1
	s_delay_alu instid0(VALU_DEP_1)
	v_max_f32_e32 v1, v1, v3
	ds_store_b32 v5, v1 offset:768
.LBB214_406:
	s_or_b32 exec_lo, exec_lo, s1
	v_cmp_gt_u32_e64 s1, 4, v21
	v_dual_mov_b32 v1, 0xff7fffff :: v_dual_lshlrev_b32 v6, 2, v21
	s_waitcnt lgkmcnt(0)
	s_barrier
	buffer_gl0_inv
	s_and_saveexec_b32 s2, s1
	s_cbranch_execz .LBB214_408
; %bb.407:
	ds_load_b32 v1, v6 offset:768
.LBB214_408:
	s_or_b32 exec_lo, exec_lo, s2
	v_xor_b32_e32 v3, 2, v64
	v_xor_b32_e32 v9, 1, v64
	s_delay_alu instid0(VALU_DEP_2) | instskip(NEXT) | instid1(VALU_DEP_1)
	v_cmp_gt_i32_e64 s2, 32, v3
	v_cndmask_b32_e64 v3, v64, v3, s2
	s_delay_alu instid0(VALU_DEP_3) | instskip(NEXT) | instid1(VALU_DEP_2)
	v_cmp_gt_i32_e64 s2, 32, v9
	v_lshlrev_b32_e32 v8, 2, v3
	s_delay_alu instid0(VALU_DEP_2) | instskip(SKIP_1) | instid1(SALU_CYCLE_1)
	v_cndmask_b32_e64 v9, v64, v9, s2
	s_sub_i32 s2, s24, s44
	s_lshl_b32 s2, s2, 3
	s_waitcnt lgkmcnt(0)
	ds_bpermute_b32 v3, v8, v1
	v_max_f32_e32 v1, v1, v1
	s_add_i32 s2, s2, s42
	v_dual_mov_b32 v9, 0 :: v_dual_lshlrev_b32 v22, 2, v9
	s_min_i32 s2, s2, s33
	s_delay_alu instid0(SALU_CYCLE_1) | instskip(NEXT) | instid1(SALU_CYCLE_1)
	s_sub_i32 s4, s2, s42
	v_cmp_gt_i32_e64 s2, s4, v0
	s_waitcnt lgkmcnt(0)
	v_max_f32_e32 v3, v3, v3
	s_delay_alu instid0(VALU_DEP_1) | instskip(SKIP_3) | instid1(VALU_DEP_1)
	v_max_f32_e32 v1, v1, v3
	ds_bpermute_b32 v3, v22, v1
	s_waitcnt lgkmcnt(0)
	v_max_f32_e32 v3, v3, v3
	v_max_f32_e32 v1, v1, v3
	v_lshl_add_u32 v3, v0, 2, 0x320
	ds_bpermute_b32 v1, v9, v1
	s_and_saveexec_b32 s5, s2
	s_cbranch_execz .LBB214_412
; %bb.409:
	v_lshl_add_u32 v10, v0, 2, 0x320
	v_mov_b32_e32 v9, 0
	v_mov_b32_e32 v11, v0
	s_mov_b32 s16, 0
	.p2align	6
.LBB214_410:                            ; =>This Inner Loop Header: Depth=1
	ds_load_b32 v12, v10
	v_add_nc_u32_e32 v11, 0x80, v11
	s_delay_alu instid0(VALU_DEP_1) | instskip(NEXT) | instid1(VALU_DEP_1)
	v_cmp_le_i32_e64 s3, s4, v11
	s_or_b32 s16, s3, s16
	s_waitcnt lgkmcnt(0)
	v_sub_f32_e32 v12, v12, v1
	s_delay_alu instid0(VALU_DEP_1) | instskip(NEXT) | instid1(VALU_DEP_1)
	v_mul_f32_e32 v12, 0x3fb8aa3b, v12
	v_exp_f32_e32 v12, v12
	ds_store_b32 v10, v12
	v_dual_add_f32 v9, v9, v12 :: v_dual_add_nc_u32 v10, 0x200, v10
	s_and_not1_b32 exec_lo, exec_lo, s16
	s_cbranch_execnz .LBB214_410
; %bb.411:
	s_or_b32 exec_lo, exec_lo, s16
.LBB214_412:
	s_delay_alu instid0(SALU_CYCLE_1)
	s_or_b32 exec_lo, exec_lo, s5
	ds_bpermute_b32 v2, v2, v9
	s_waitcnt lgkmcnt(0)
	v_add_f32_e32 v2, v9, v2
	ds_bpermute_b32 v4, v4, v2
	s_waitcnt lgkmcnt(0)
	v_add_f32_e32 v2, v2, v4
	;; [unrolled: 3-line block ×5, first 2 shown]
	s_and_saveexec_b32 s3, vcc_lo
	s_cbranch_execz .LBB214_414
; %bb.413:
	ds_store_b32 v5, v2 offset:784
.LBB214_414:
	s_or_b32 exec_lo, exec_lo, s3
	s_waitcnt lgkmcnt(0)
	s_barrier
	buffer_gl0_inv
	s_and_saveexec_b32 s3, s1
	s_cbranch_execz .LBB214_416
; %bb.415:
	ds_load_b32 v2, v6 offset:784
.LBB214_416:
	s_or_b32 exec_lo, exec_lo, s3
	s_waitcnt lgkmcnt(0)
	ds_bpermute_b32 v4, v8, v2
	s_waitcnt lgkmcnt(0)
	v_add_f32_e32 v2, v2, v4
	ds_bpermute_b32 v4, v22, v2
	s_waitcnt lgkmcnt(0)
	v_add_f32_e32 v2, v2, v4
	v_mov_b32_e32 v4, 0
	ds_bpermute_b32 v2, v4, v2
	s_and_saveexec_b32 s1, s2
	s_cbranch_execz .LBB214_419
; %bb.417:
	s_waitcnt lgkmcnt(0)
	v_add_f32_e32 v4, 0x358637bd, v2
	s_mov_b32 s2, 0
	s_delay_alu instid0(VALU_DEP_1) | instskip(SKIP_1) | instid1(VALU_DEP_2)
	v_div_scale_f32 v5, null, v4, v4, 1.0
	v_div_scale_f32 v8, vcc_lo, 1.0, v4, 1.0
	v_rcp_f32_e32 v6, v5
	s_waitcnt_depctr 0xfff
	v_fma_f32 v7, -v5, v6, 1.0
	s_delay_alu instid0(VALU_DEP_1) | instskip(NEXT) | instid1(VALU_DEP_1)
	v_fmac_f32_e32 v6, v7, v6
	v_mul_f32_e32 v7, v8, v6
	s_delay_alu instid0(VALU_DEP_1) | instskip(NEXT) | instid1(VALU_DEP_1)
	v_fma_f32 v9, -v5, v7, v8
	v_fmac_f32_e32 v7, v9, v6
	s_delay_alu instid0(VALU_DEP_1) | instskip(NEXT) | instid1(VALU_DEP_1)
	v_fma_f32 v5, -v5, v7, v8
	v_div_fmas_f32 v5, v5, v6, v7
	s_delay_alu instid0(VALU_DEP_1)
	v_div_fixup_f32 v4, v5, v4, 1.0
	v_mov_b32_e32 v5, v0
.LBB214_418:                            ; =>This Inner Loop Header: Depth=1
	ds_load_b32 v6, v3
	s_waitcnt lgkmcnt(0)
	v_dual_mul_f32 v6, v4, v6 :: v_dual_add_nc_u32 v5, 0x80, v5
	s_delay_alu instid0(VALU_DEP_1) | instskip(SKIP_3) | instid1(SALU_CYCLE_1)
	v_cmp_le_i32_e32 vcc_lo, s4, v5
	ds_store_b32 v3, v6
	v_add_nc_u32_e32 v3, 0x200, v3
	s_or_b32 s2, vcc_lo, s2
	s_and_not1_b32 exec_lo, exec_lo, s2
	s_cbranch_execnz .LBB214_418
.LBB214_419:
	s_or_b32 exec_lo, exec_lo, s1
	s_mul_i32 s1, s15, s14
	s_waitcnt lgkmcnt(0)
	s_mul_i32 s2, s1, s13
	s_mov_b32 s1, exec_lo
	s_barrier
	buffer_gl0_inv
	v_cmpx_eq_u32_e32 0, v0
	s_cbranch_execz .LBB214_421
; %bb.420:
	s_ashr_i32 s3, s2, 31
	s_mul_i32 s16, s15, s36
	s_lshl_b64 s[4:5], s[2:3], 2
	v_mov_b32_e32 v3, 0
	s_add_u32 s3, s22, s4
	s_addc_u32 s13, s23, s5
	s_ashr_i32 s17, s16, 31
	s_delay_alu instid0(SALU_CYCLE_1) | instskip(NEXT) | instid1(SALU_CYCLE_1)
	s_lshl_b64 s[16:17], s[16:17], 2
	s_add_u32 s3, s3, s16
	s_addc_u32 s14, s13, s17
	s_ashr_i32 s13, s12, 31
	s_delay_alu instid0(SALU_CYCLE_1) | instskip(NEXT) | instid1(SALU_CYCLE_1)
	s_lshl_b64 s[22:23], s[12:13], 2
	s_add_u32 s42, s3, s22
	s_addc_u32 s43, s14, s23
	s_add_u32 s3, s20, s4
	s_addc_u32 s4, s21, s5
	;; [unrolled: 2-line block ×4, first 2 shown]
	s_clause 0x1
	global_store_b32 v3, v1, s[42:43]
	global_store_b32 v3, v2, s[4:5]
.LBB214_421:
	s_or_b32 exec_lo, exec_lo, s1
	v_dual_mov_b32 v35, 0 :: v_dual_mov_b32 v34, 0
	v_dual_mov_b32 v32, 0 :: v_dual_and_b32 v23, 1, v0
	v_dual_mov_b32 v33, 0 :: v_dual_mov_b32 v30, 0
	v_dual_mov_b32 v31, 0 :: v_dual_mov_b32 v28, 0
	;; [unrolled: 1-line block ×4, first 2 shown]
	v_mov_b32_e32 v25, 0
	s_mov_b32 s4, 0
	s_and_saveexec_b32 s1, s0
	s_cbranch_execz .LBB214_835
; %bb.422:
	s_sub_i32 s3, s40, s25
	s_ashr_i32 s0, s10, 31
	s_add_u32 s5, s18, s10
	s_addc_u32 s0, s19, s0
	s_abs_i32 s10, s26
	s_mov_b32 s13, s9
	v_cvt_f32_u32_e32 v1, s10
	s_sub_i32 s9, 0, s10
	v_dual_mov_b32 v25, 0 :: v_dual_lshlrev_b32 v4, 2, v0
	v_dual_mov_b32 v24, 0 :: v_dual_lshlrev_b32 v5, 4, v23
	s_delay_alu instid0(VALU_DEP_3)
	v_rcp_iflag_f32_e32 v3, v1
	v_mov_b32_e32 v26, 0
	v_lshlrev_b64 v[1:2], 2, v[49:50]
	v_dual_mov_b32 v35, 0 :: v_dual_and_b32 v36, 4, v4
	v_and_b32_e32 v4, 0x7c, v4
	s_add_i32 s14, s8, -1
	v_lshl_or_b32 v5, v61, 5, v5
	v_dual_mov_b32 v6, 0 :: v_dual_mov_b32 v27, 0
	s_delay_alu instid0(TRANS32_DEP_1) | instskip(SKIP_2) | instid1(VALU_DEP_3)
	v_mul_f32_e32 v3, 0x4f7ffffe, v3
	v_add_co_u32 v9, s5, s5, v4
	v_dual_mov_b32 v28, 0 :: v_dual_mov_b32 v29, 0
	v_cvt_u32_f32_e32 v3, v3
	v_dual_mov_b32 v30, 0 :: v_dual_mov_b32 v31, 0
	v_dual_mov_b32 v32, 0 :: v_dual_mov_b32 v33, 0
	s_delay_alu instid0(VALU_DEP_3)
	v_mul_lo_u32 v7, s9, v3
	s_lshl_b64 s[8:9], s[38:39], 2
	v_dual_mov_b32 v34, 0 :: v_dual_add_nc_u32 v37, 0x320, v5
	s_add_u32 s8, s34, s8
	s_addc_u32 s9, s35, s9
	v_add_co_ci_u32_e64 v10, null, s0, 0, s5
	s_delay_alu instid0(VALU_DEP_3)
	v_mul_hi_u32 v11, v3, v7
	v_add_co_u32 v7, vcc_lo, s8, v1
	v_add_co_ci_u32_e32 v8, vcc_lo, s9, v2, vcc_lo
	s_brev_b32 s5, 1
	s_mov_b32 s9, 0x7f800001
	s_mov_b32 s16, s4
	s_delay_alu instid0(VALU_DEP_3)
	v_add_nc_u32_e32 v38, v3, v11
	s_branch .LBB214_425
.LBB214_423:                            ;   in Loop: Header=BB214_425 Depth=1
	s_or_b32 exec_lo, exec_lo, s0
	v_mul_f32_e32 v15, v2, v85
	s_delay_alu instid0(VALU_DEP_1) | instskip(NEXT) | instid1(VALU_DEP_1)
	v_dual_mul_f32 v14, v2, v87 :: v_dual_fmac_f32 v15, v1, v84
	v_dual_fmac_f32 v14, v1, v86 :: v_dual_mul_f32 v17, v2, v77
	s_delay_alu instid0(VALU_DEP_2) | instskip(NEXT) | instid1(VALU_DEP_2)
	v_dual_mul_f32 v16, v2, v81 :: v_dual_fmac_f32 v15, v3, v83
	v_dual_mul_f32 v43, v2, v69 :: v_dual_fmac_f32 v14, v3, v20
	s_delay_alu instid0(VALU_DEP_2) | instskip(NEXT) | instid1(VALU_DEP_4)
	v_fmac_f32_e32 v16, v1, v80
	v_dual_mul_f32 v18, v2, v73 :: v_dual_fmac_f32 v17, v1, v76
	s_delay_alu instid0(VALU_DEP_4) | instskip(NEXT) | instid1(VALU_DEP_4)
	v_dual_mul_f32 v44, v2, v65 :: v_dual_fmac_f32 v15, v4, v82
	v_dual_fmac_f32 v14, v4, v19 :: v_dual_fmac_f32 v43, v1, v68
	s_delay_alu instid0(VALU_DEP_3) | instskip(NEXT) | instid1(VALU_DEP_3)
	v_dual_fmac_f32 v18, v1, v72 :: v_dual_fmac_f32 v17, v3, v75
	v_fmac_f32_e32 v44, v1, v64
	s_delay_alu instid0(VALU_DEP_4) | instskip(NEXT) | instid1(VALU_DEP_4)
	v_add_f32_e32 v26, v26, v15
	v_fmac_f32_e32 v43, v3, v67
	s_delay_alu instid0(VALU_DEP_4) | instskip(SKIP_1) | instid1(VALU_DEP_3)
	v_dual_fmac_f32 v18, v3, v71 :: v_dual_fmac_f32 v17, v4, v74
	v_dual_fmac_f32 v16, v3, v79 :: v_dual_add_f32 v25, v25, v14
	v_fmac_f32_e32 v43, v4, v66
	s_delay_alu instid0(VALU_DEP_3) | instskip(SKIP_2) | instid1(VALU_DEP_3)
	v_fmac_f32_e32 v18, v4, v70
	v_fmac_f32_e32 v44, v3, v63
	v_dual_add_f32 v28, v28, v17 :: v_dual_mul_f32 v17, v2, v42
	v_dual_mul_f32 v14, v2, v59 :: v_dual_add_f32 v29, v29, v18
	s_delay_alu instid0(VALU_DEP_3) | instskip(NEXT) | instid1(VALU_DEP_3)
	v_dual_fmac_f32 v44, v4, v60 :: v_dual_mul_f32 v15, v2, v55
	v_dual_fmac_f32 v16, v4, v78 :: v_dual_fmac_f32 v17, v1, v41
	s_delay_alu instid0(VALU_DEP_2) | instskip(NEXT) | instid1(VALU_DEP_3)
	v_dual_add_f32 v30, v30, v43 :: v_dual_add_f32 v31, v31, v44
	v_fmac_f32_e32 v15, v1, v54
	s_delay_alu instid0(VALU_DEP_3) | instskip(NEXT) | instid1(VALU_DEP_4)
	v_dual_add_f32 v27, v27, v16 :: v_dual_mul_f32 v16, v2, v51
	v_dual_mul_f32 v2, v2, v13 :: v_dual_fmac_f32 v17, v3, v40
	s_delay_alu instid0(VALU_DEP_3) | instskip(NEXT) | instid1(VALU_DEP_2)
	v_dual_fmac_f32 v15, v3, v53 :: v_dual_fmac_f32 v14, v1, v58
	v_dual_fmac_f32 v16, v1, v50 :: v_dual_fmac_f32 v17, v4, v39
	s_delay_alu instid0(VALU_DEP_3) | instskip(NEXT) | instid1(VALU_DEP_3)
	v_fmac_f32_e32 v2, v1, v12
	v_dual_fmac_f32 v15, v4, v52 :: v_dual_fmac_f32 v14, v3, v57
	s_delay_alu instid0(VALU_DEP_3) | instskip(NEXT) | instid1(VALU_DEP_4)
	v_fmac_f32_e32 v16, v3, v48
	v_add_f32_e32 v35, v35, v17
	s_delay_alu instid0(VALU_DEP_4) | instskip(NEXT) | instid1(VALU_DEP_4)
	v_fmac_f32_e32 v2, v3, v11
	v_dual_add_f32 v33, v33, v15 :: v_dual_fmac_f32 v14, v4, v56
	s_delay_alu instid0(VALU_DEP_4) | instskip(NEXT) | instid1(VALU_DEP_3)
	v_fmac_f32_e32 v16, v4, v47
	v_fmac_f32_e32 v2, v4, v5
	s_delay_alu instid0(VALU_DEP_3) | instskip(NEXT) | instid1(VALU_DEP_3)
	v_add_f32_e32 v32, v32, v14
	v_add_f32_e32 v34, v34, v16
	s_delay_alu instid0(VALU_DEP_3)
	v_add_f32_e32 v24, v24, v2
.LBB214_424:                            ;   in Loop: Header=BB214_425 Depth=1
	s_or_b32 exec_lo, exec_lo, s17
	v_add_nc_u32_e32 v49, 4, v49
	v_add_co_u32 v7, s0, v7, 16
	s_delay_alu instid0(VALU_DEP_1) | instskip(NEXT) | instid1(VALU_DEP_3)
	v_add_co_ci_u32_e64 v8, s0, 0, v8, s0
	v_cmp_le_i32_e32 vcc_lo, s24, v49
	v_add_nc_u32_e32 v62, 32, v62
	v_add_nc_u32_e32 v37, 0x80, v37
	s_or_b32 s16, vcc_lo, s16
	s_delay_alu instid0(SALU_CYCLE_1)
	s_and_not1_b32 exec_lo, exec_lo, s16
	s_cbranch_execz .LBB214_834
.LBB214_425:                            ; =>This Inner Loop Header: Depth=1
	v_sub_nc_u32_e32 v1, 0, v62
	s_delay_alu instid0(VALU_DEP_1) | instskip(NEXT) | instid1(VALU_DEP_1)
	v_max_i32_e32 v1, v62, v1
	v_mul_hi_u32 v2, v1, s31
	s_delay_alu instid0(VALU_DEP_1) | instskip(NEXT) | instid1(VALU_DEP_1)
	v_mul_lo_u32 v3, v2, s11
	v_sub_nc_u32_e32 v1, v1, v3
	v_add_nc_u32_e32 v3, 1, v2
	s_delay_alu instid0(VALU_DEP_2) | instskip(SKIP_1) | instid1(VALU_DEP_2)
	v_subrev_nc_u32_e32 v4, s11, v1
	v_cmp_le_u32_e32 vcc_lo, s11, v1
	v_dual_cndmask_b32 v2, v2, v3 :: v_dual_cndmask_b32 v1, v1, v4
	v_ashrrev_i32_e32 v3, 31, v62
	s_delay_alu instid0(VALU_DEP_2) | instskip(NEXT) | instid1(VALU_DEP_3)
	v_add_nc_u32_e32 v4, 1, v2
	v_cmp_le_u32_e32 vcc_lo, s11, v1
	s_delay_alu instid0(VALU_DEP_3) | instskip(NEXT) | instid1(VALU_DEP_3)
	v_xor_b32_e32 v3, s27, v3
	v_cndmask_b32_e32 v1, v2, v4, vcc_lo
	s_delay_alu instid0(VALU_DEP_1) | instskip(NEXT) | instid1(VALU_DEP_1)
	v_xor_b32_e32 v1, v1, v3
	v_sub_nc_u32_e32 v1, v1, v3
	s_delay_alu instid0(VALU_DEP_1) | instskip(SKIP_1) | instid1(VALU_DEP_2)
	v_add_nc_u32_e32 v2, s37, v1
	v_cmp_lt_i32_e64 s0, s3, v1
	v_sub_nc_u32_e32 v3, 0, v2
	s_delay_alu instid0(VALU_DEP_1) | instskip(NEXT) | instid1(VALU_DEP_1)
	v_max_i32_e32 v3, v2, v3
	v_mul_hi_u32 v4, v3, v38
	s_delay_alu instid0(VALU_DEP_1) | instskip(NEXT) | instid1(VALU_DEP_1)
	v_mul_lo_u32 v4, v4, s10
	v_sub_nc_u32_e32 v3, v3, v4
	s_delay_alu instid0(VALU_DEP_1) | instskip(SKIP_1) | instid1(VALU_DEP_2)
	v_subrev_nc_u32_e32 v4, s10, v3
	v_cmp_le_u32_e32 vcc_lo, s10, v3
	v_cndmask_b32_e32 v3, v3, v4, vcc_lo
	v_ashrrev_i32_e32 v2, 31, v2
	s_delay_alu instid0(VALU_DEP_2) | instskip(SKIP_1) | instid1(VALU_DEP_2)
	v_subrev_nc_u32_e32 v4, s10, v3
	v_cmp_le_u32_e32 vcc_lo, s10, v3
	v_cndmask_b32_e32 v3, v3, v4, vcc_lo
	s_delay_alu instid0(VALU_DEP_1) | instskip(NEXT) | instid1(VALU_DEP_1)
	v_xor_b32_e32 v3, v3, v2
	v_sub_nc_u32_e32 v2, v3, v2
	s_delay_alu instid0(VALU_DEP_1) | instskip(SKIP_1) | instid1(SALU_CYCLE_1)
	v_cmp_eq_u32_e32 vcc_lo, 0, v2
	s_or_b32 s0, vcc_lo, s0
	s_and_saveexec_b32 s17, s0
	s_cbranch_execz .LBB214_424
; %bb.426:                              ;   in Loop: Header=BB214_425 Depth=1
	global_load_b32 v1, v[7:8], off
	s_load_b32 s18, s[6:7], 0x0
	v_mov_b32_e32 v15, 0
	s_mov_b32 s0, exec_lo
	s_waitcnt vmcnt(0)
	v_mad_i64_i32 v[11:12], null, v1, s13, v[9:10]
	ds_load_b128 v[1:4], v37
	global_load_b32 v39, v[11:12], off
	s_waitcnt vmcnt(0)
	v_dual_mov_b32 v16, 0 :: v_dual_and_b32 v5, 0xff, v39
	s_delay_alu instid0(VALU_DEP_1) | instskip(NEXT) | instid1(VALU_DEP_2)
	v_dual_mov_b32 v13, v15 :: v_dual_mov_b32 v14, v16
	v_cmpx_ne_u16_e32 0, v5
	s_cbranch_execz .LBB214_434
; %bb.427:                              ;   in Loop: Header=BB214_425 Depth=1
	v_bfrev_b32_e32 v13, 1
	v_mov_b32_e32 v14, 0
	s_mov_b32 s8, exec_lo
	v_cmpx_ne_u16_e32 0x80, v5
	s_cbranch_execz .LBB214_433
; %bb.428:                              ;   in Loop: Header=BB214_425 Depth=1
	v_mov_b32_e32 v13, 0x7f800001
	v_dual_mov_b32 v14, 0 :: v_dual_and_b32 v17, 0x7f, v39
	s_mov_b32 s19, exec_lo
	s_delay_alu instid0(VALU_DEP_1)
	v_cmpx_ne_u32_e32 0x7f, v17
	s_cbranch_execz .LBB214_432
; %bb.429:                              ;   in Loop: Header=BB214_425 Depth=1
	v_and_b32_e32 v5, 7, v39
	v_lshrrev_b32_e32 v13, 3, v17
	s_mov_b32 s20, exec_lo
	v_cmpx_gt_u32_e32 8, v17
; %bb.430:                              ;   in Loop: Header=BB214_425 Depth=1
	s_delay_alu instid0(VALU_DEP_3) | instskip(NEXT) | instid1(VALU_DEP_1)
	v_clz_i32_u32_e32 v13, v5
	v_min_u32_e32 v13, 32, v13
	s_delay_alu instid0(VALU_DEP_1) | instskip(SKIP_1) | instid1(VALU_DEP_2)
	v_subrev_nc_u32_e32 v14, 28, v13
	v_sub_nc_u32_e32 v13, 29, v13
	v_lshlrev_b64 v[17:18], v14, v[5:6]
	s_delay_alu instid0(VALU_DEP_1)
	v_and_b32_e32 v5, 7, v17
; %bb.431:                              ;   in Loop: Header=BB214_425 Depth=1
	s_or_b32 exec_lo, exec_lo, s20
	v_lshlrev_b32_e32 v14, 24, v39
	s_delay_alu instid0(VALU_DEP_2) | instskip(SKIP_1) | instid1(VALU_DEP_3)
	v_lshlrev_b32_e32 v5, 20, v5
	v_lshl_add_u32 v13, v13, 23, 0x3c000000
	v_and_b32_e32 v14, 0x80000000, v14
	s_delay_alu instid0(VALU_DEP_1) | instskip(NEXT) | instid1(VALU_DEP_1)
	v_or3_b32 v5, v5, v14, v13
	v_dual_mov_b32 v14, v6 :: v_dual_mov_b32 v13, v5
.LBB214_432:                            ;   in Loop: Header=BB214_425 Depth=1
	s_or_b32 exec_lo, exec_lo, s19
.LBB214_433:                            ;   in Loop: Header=BB214_425 Depth=1
	s_delay_alu instid0(SALU_CYCLE_1)
	s_or_b32 exec_lo, exec_lo, s8
.LBB214_434:                            ;   in Loop: Header=BB214_425 Depth=1
	s_delay_alu instid0(SALU_CYCLE_1) | instskip(SKIP_2) | instid1(VALU_DEP_1)
	s_or_b32 exec_lo, exec_lo, s0
	v_lshrrev_b16 v5, 8, v39
	s_mov_b32 s0, exec_lo
	v_cmpx_ne_u16_e32 0, v5
	s_cbranch_execz .LBB214_442
; %bb.435:                              ;   in Loop: Header=BB214_425 Depth=1
	v_dual_mov_b32 v16, s5 :: v_dual_mov_b32 v15, s4
	s_mov_b32 s19, exec_lo
	v_cmpx_ne_u16_e32 0x80, v5
	s_cbranch_execz .LBB214_441
; %bb.436:                              ;   in Loop: Header=BB214_425 Depth=1
	s_mov_b32 s8, s4
	v_dual_mov_b32 v16, s9 :: v_dual_and_b32 v5, 0xffff, v5
	v_mov_b32_e32 v15, s8
	s_mov_b32 s8, exec_lo
	s_delay_alu instid0(VALU_DEP_2) | instskip(NEXT) | instid1(VALU_DEP_1)
	v_and_b32_e32 v17, 0x7f, v5
	v_cmpx_ne_u32_e32 0x7f, v17
	s_cbranch_execz .LBB214_440
; %bb.437:                              ;   in Loop: Header=BB214_425 Depth=1
	v_and_b32_e32 v5, 7, v5
	v_lshrrev_b32_e32 v15, 3, v17
	s_mov_b32 s20, exec_lo
	v_cmpx_gt_u32_e32 8, v17
; %bb.438:                              ;   in Loop: Header=BB214_425 Depth=1
	s_delay_alu instid0(VALU_DEP_3) | instskip(NEXT) | instid1(VALU_DEP_1)
	v_clz_i32_u32_e32 v15, v5
	v_min_u32_e32 v15, 32, v15
	s_delay_alu instid0(VALU_DEP_1) | instskip(SKIP_1) | instid1(VALU_DEP_2)
	v_subrev_nc_u32_e32 v16, 28, v15
	v_sub_nc_u32_e32 v15, 29, v15
	v_lshlrev_b64 v[16:17], v16, v[5:6]
	s_delay_alu instid0(VALU_DEP_1)
	v_and_b32_e32 v5, 7, v16
; %bb.439:                              ;   in Loop: Header=BB214_425 Depth=1
	s_or_b32 exec_lo, exec_lo, s20
	v_lshlrev_b32_e32 v16, 16, v39
	s_delay_alu instid0(VALU_DEP_2) | instskip(SKIP_1) | instid1(VALU_DEP_3)
	v_lshlrev_b32_e32 v5, 20, v5
	v_lshl_add_u32 v15, v15, 23, 0x3c000000
	v_and_b32_e32 v16, 0x80000000, v16
	s_delay_alu instid0(VALU_DEP_1)
	v_or3_b32 v16, v5, v16, v15
	v_mov_b32_e32 v15, v6
.LBB214_440:                            ;   in Loop: Header=BB214_425 Depth=1
	s_or_b32 exec_lo, exec_lo, s8
.LBB214_441:                            ;   in Loop: Header=BB214_425 Depth=1
	s_delay_alu instid0(SALU_CYCLE_1)
	s_or_b32 exec_lo, exec_lo, s19
.LBB214_442:                            ;   in Loop: Header=BB214_425 Depth=1
	s_delay_alu instid0(SALU_CYCLE_1) | instskip(SKIP_4) | instid1(VALU_DEP_2)
	s_or_b32 exec_lo, exec_lo, s0
	v_mov_b32_e32 v19, 0
	v_lshrrev_b32_e32 v40, 16, v39
	v_mov_b32_e32 v20, 0
	s_mov_b32 s0, exec_lo
	v_and_b32_e32 v5, 0xff, v40
	s_delay_alu instid0(VALU_DEP_2) | instskip(NEXT) | instid1(VALU_DEP_2)
	v_dual_mov_b32 v17, v19 :: v_dual_mov_b32 v18, v20
	v_cmpx_ne_u16_e32 0, v5
	s_cbranch_execz .LBB214_450
; %bb.443:                              ;   in Loop: Header=BB214_425 Depth=1
	v_bfrev_b32_e32 v17, 1
	v_mov_b32_e32 v18, 0
	s_mov_b32 s8, exec_lo
	v_cmpx_ne_u16_e32 0x80, v5
	s_cbranch_execz .LBB214_449
; %bb.444:                              ;   in Loop: Header=BB214_425 Depth=1
	v_mov_b32_e32 v17, 0x7f800001
	v_bfe_u32 v41, v39, 16, 7
	v_mov_b32_e32 v18, 0
	s_mov_b32 s19, exec_lo
	s_delay_alu instid0(VALU_DEP_2)
	v_cmpx_ne_u32_e32 0x7f, v41
	s_cbranch_execz .LBB214_448
; %bb.445:                              ;   in Loop: Header=BB214_425 Depth=1
	v_and_b32_e32 v5, 7, v40
	v_lshrrev_b32_e32 v17, 3, v41
	s_mov_b32 s20, exec_lo
	v_cmpx_gt_u32_e32 8, v41
; %bb.446:                              ;   in Loop: Header=BB214_425 Depth=1
	s_delay_alu instid0(VALU_DEP_3) | instskip(NEXT) | instid1(VALU_DEP_1)
	v_clz_i32_u32_e32 v17, v5
	v_min_u32_e32 v17, 32, v17
	s_delay_alu instid0(VALU_DEP_1) | instskip(SKIP_1) | instid1(VALU_DEP_2)
	v_subrev_nc_u32_e32 v18, 28, v17
	v_sub_nc_u32_e32 v17, 29, v17
	v_lshlrev_b64 v[41:42], v18, v[5:6]
	s_delay_alu instid0(VALU_DEP_1)
	v_and_b32_e32 v5, 7, v41
; %bb.447:                              ;   in Loop: Header=BB214_425 Depth=1
	s_or_b32 exec_lo, exec_lo, s20
	v_lshlrev_b32_e32 v18, 24, v40
	s_delay_alu instid0(VALU_DEP_2) | instskip(SKIP_1) | instid1(VALU_DEP_3)
	v_lshlrev_b32_e32 v5, 20, v5
	v_lshl_add_u32 v17, v17, 23, 0x3c000000
	v_and_b32_e32 v18, 0x80000000, v18
	s_delay_alu instid0(VALU_DEP_1) | instskip(NEXT) | instid1(VALU_DEP_1)
	v_or3_b32 v5, v5, v18, v17
	v_dual_mov_b32 v18, v6 :: v_dual_mov_b32 v17, v5
.LBB214_448:                            ;   in Loop: Header=BB214_425 Depth=1
	s_or_b32 exec_lo, exec_lo, s19
.LBB214_449:                            ;   in Loop: Header=BB214_425 Depth=1
	s_delay_alu instid0(SALU_CYCLE_1)
	s_or_b32 exec_lo, exec_lo, s8
.LBB214_450:                            ;   in Loop: Header=BB214_425 Depth=1
	s_delay_alu instid0(SALU_CYCLE_1) | instskip(NEXT) | instid1(SALU_CYCLE_1)
	s_or_b32 exec_lo, exec_lo, s0
	s_mov_b32 s0, exec_lo
	v_cmpx_lt_u32_e32 0xffffff, v39
	s_cbranch_execz .LBB214_458
; %bb.451:                              ;   in Loop: Header=BB214_425 Depth=1
	v_lshrrev_b32_e32 v40, 24, v39
	v_dual_mov_b32 v20, s5 :: v_dual_mov_b32 v19, s4
	s_mov_b32 s19, exec_lo
	s_delay_alu instid0(VALU_DEP_2)
	v_cmpx_ne_u32_e32 0x80, v40
	s_cbranch_execz .LBB214_457
; %bb.452:                              ;   in Loop: Header=BB214_425 Depth=1
	s_mov_b32 s8, s4
	v_bfe_u32 v39, v39, 24, 7
	v_dual_mov_b32 v20, s9 :: v_dual_mov_b32 v19, s8
	s_mov_b32 s8, exec_lo
	s_delay_alu instid0(VALU_DEP_2)
	v_cmpx_ne_u32_e32 0x7f, v39
	s_cbranch_execz .LBB214_456
; %bb.453:                              ;   in Loop: Header=BB214_425 Depth=1
	v_and_b32_e32 v5, 7, v40
	v_lshrrev_b32_e32 v19, 3, v39
	s_mov_b32 s20, exec_lo
	v_cmpx_gt_u32_e32 8, v39
; %bb.454:                              ;   in Loop: Header=BB214_425 Depth=1
	s_delay_alu instid0(VALU_DEP_3) | instskip(NEXT) | instid1(VALU_DEP_1)
	v_clz_i32_u32_e32 v19, v5
	v_min_u32_e32 v19, 32, v19
	s_delay_alu instid0(VALU_DEP_1) | instskip(SKIP_1) | instid1(VALU_DEP_2)
	v_subrev_nc_u32_e32 v20, 28, v19
	v_sub_nc_u32_e32 v19, 29, v19
	v_lshlrev_b64 v[41:42], v20, v[5:6]
	s_delay_alu instid0(VALU_DEP_1)
	v_and_b32_e32 v5, 7, v41
; %bb.455:                              ;   in Loop: Header=BB214_425 Depth=1
	s_or_b32 exec_lo, exec_lo, s20
	v_lshlrev_b32_e32 v20, 24, v40
	s_delay_alu instid0(VALU_DEP_2) | instskip(SKIP_1) | instid1(VALU_DEP_3)
	v_lshlrev_b32_e32 v5, 20, v5
	v_lshl_add_u32 v19, v19, 23, 0x3c000000
	v_and_b32_e32 v20, 0x80000000, v20
	s_delay_alu instid0(VALU_DEP_1)
	v_or3_b32 v20, v5, v20, v19
	v_mov_b32_e32 v19, v6
.LBB214_456:                            ;   in Loop: Header=BB214_425 Depth=1
	s_or_b32 exec_lo, exec_lo, s8
.LBB214_457:                            ;   in Loop: Header=BB214_425 Depth=1
	s_delay_alu instid0(SALU_CYCLE_1)
	s_or_b32 exec_lo, exec_lo, s19
.LBB214_458:                            ;   in Loop: Header=BB214_425 Depth=1
	s_delay_alu instid0(SALU_CYCLE_1)
	s_or_b32 exec_lo, exec_lo, s0
	v_or_b32_e32 v5, v16, v14
	v_add_nc_u32_e32 v43, v36, v62
	v_or_b32_e32 v13, v15, v13
	v_or_b32_e32 v14, v20, v18
	;; [unrolled: 1-line block ×3, first 2 shown]
	s_waitcnt lgkmcnt(0)
	v_mul_f32_e32 v42, s18, v5
	v_cmp_eq_u32_e32 vcc_lo, s14, v49
	v_mul_f32_e32 v41, s18, v13
	v_dual_mul_f32 v39, s18, v14 :: v_dual_add_nc_u32 v46, 1, v43
	v_mul_f32_e32 v40, s18, v15
	v_add_nc_u32_e32 v45, 2, v43
	v_add_nc_u32_e32 v44, 3, v43
	s_and_saveexec_b32 s8, vcc_lo
; %bb.459:                              ;   in Loop: Header=BB214_425 Depth=1
	v_cmp_gt_i32_e64 s0, s33, v43
	s_delay_alu instid0(VALU_DEP_1) | instskip(SKIP_1) | instid1(VALU_DEP_1)
	v_cndmask_b32_e64 v41, 0, v41, s0
	v_cmp_gt_i32_e64 s0, s33, v46
	v_cndmask_b32_e64 v42, 0, v42, s0
	v_cmp_gt_i32_e64 s0, s33, v45
	s_delay_alu instid0(VALU_DEP_1) | instskip(SKIP_1) | instid1(VALU_DEP_1)
	v_cndmask_b32_e64 v40, 0, v40, s0
	v_cmp_gt_i32_e64 s0, s33, v44
	v_cndmask_b32_e64 v39, 0, v39, s0
; %bb.460:                              ;   in Loop: Header=BB214_425 Depth=1
	s_or_b32 exec_lo, exec_lo, s8
	global_load_b32 v47, v[11:12], off offset:128
	v_mov_b32_e32 v15, 0
	v_mov_b32_e32 v16, 0
	s_mov_b32 s8, exec_lo
	s_waitcnt vmcnt(0)
	v_and_b32_e32 v5, 0xff, v47
	s_delay_alu instid0(VALU_DEP_2) | instskip(NEXT) | instid1(VALU_DEP_2)
	v_dual_mov_b32 v13, v15 :: v_dual_mov_b32 v14, v16
	v_cmpx_ne_u16_e32 0, v5
	s_cbranch_execz .LBB214_468
; %bb.461:                              ;   in Loop: Header=BB214_425 Depth=1
	v_bfrev_b32_e32 v13, 1
	v_mov_b32_e32 v14, 0
	s_mov_b32 s19, exec_lo
	v_cmpx_ne_u16_e32 0x80, v5
	s_cbranch_execz .LBB214_467
; %bb.462:                              ;   in Loop: Header=BB214_425 Depth=1
	v_mov_b32_e32 v13, 0x7f800001
	v_dual_mov_b32 v14, 0 :: v_dual_and_b32 v17, 0x7f, v47
	s_mov_b32 s20, exec_lo
	s_delay_alu instid0(VALU_DEP_1)
	v_cmpx_ne_u32_e32 0x7f, v17
	s_cbranch_execz .LBB214_466
; %bb.463:                              ;   in Loop: Header=BB214_425 Depth=1
	v_and_b32_e32 v5, 7, v47
	v_lshrrev_b32_e32 v13, 3, v17
	s_mov_b32 s21, exec_lo
	v_cmpx_gt_u32_e32 8, v17
; %bb.464:                              ;   in Loop: Header=BB214_425 Depth=1
	s_delay_alu instid0(VALU_DEP_3) | instskip(NEXT) | instid1(VALU_DEP_1)
	v_clz_i32_u32_e32 v13, v5
	v_min_u32_e32 v13, 32, v13
	s_delay_alu instid0(VALU_DEP_1) | instskip(SKIP_1) | instid1(VALU_DEP_2)
	v_subrev_nc_u32_e32 v14, 28, v13
	v_sub_nc_u32_e32 v13, 29, v13
	v_lshlrev_b64 v[17:18], v14, v[5:6]
	s_delay_alu instid0(VALU_DEP_1)
	v_and_b32_e32 v5, 7, v17
; %bb.465:                              ;   in Loop: Header=BB214_425 Depth=1
	s_or_b32 exec_lo, exec_lo, s21
	v_lshlrev_b32_e32 v14, 24, v47
	s_delay_alu instid0(VALU_DEP_2) | instskip(SKIP_1) | instid1(VALU_DEP_3)
	v_lshlrev_b32_e32 v5, 20, v5
	v_lshl_add_u32 v13, v13, 23, 0x3c000000
	v_and_b32_e32 v14, 0x80000000, v14
	s_delay_alu instid0(VALU_DEP_1) | instskip(NEXT) | instid1(VALU_DEP_1)
	v_or3_b32 v5, v5, v14, v13
	v_dual_mov_b32 v14, v6 :: v_dual_mov_b32 v13, v5
.LBB214_466:                            ;   in Loop: Header=BB214_425 Depth=1
	s_or_b32 exec_lo, exec_lo, s20
.LBB214_467:                            ;   in Loop: Header=BB214_425 Depth=1
	s_delay_alu instid0(SALU_CYCLE_1)
	s_or_b32 exec_lo, exec_lo, s19
.LBB214_468:                            ;   in Loop: Header=BB214_425 Depth=1
	s_delay_alu instid0(SALU_CYCLE_1) | instskip(SKIP_2) | instid1(VALU_DEP_1)
	s_or_b32 exec_lo, exec_lo, s8
	v_lshrrev_b16 v5, 8, v47
	s_mov_b32 s19, exec_lo
	v_cmpx_ne_u16_e32 0, v5
	s_cbranch_execz .LBB214_476
; %bb.469:                              ;   in Loop: Header=BB214_425 Depth=1
	v_dual_mov_b32 v16, s5 :: v_dual_mov_b32 v15, s4
	s_mov_b32 s20, exec_lo
	v_cmpx_ne_u16_e32 0x80, v5
	s_cbranch_execz .LBB214_475
; %bb.470:                              ;   in Loop: Header=BB214_425 Depth=1
	s_mov_b32 s8, s4
	v_dual_mov_b32 v16, s9 :: v_dual_and_b32 v5, 0xffff, v5
	v_mov_b32_e32 v15, s8
	s_mov_b32 s8, exec_lo
	s_delay_alu instid0(VALU_DEP_2) | instskip(NEXT) | instid1(VALU_DEP_1)
	v_and_b32_e32 v17, 0x7f, v5
	v_cmpx_ne_u32_e32 0x7f, v17
	s_cbranch_execz .LBB214_474
; %bb.471:                              ;   in Loop: Header=BB214_425 Depth=1
	v_and_b32_e32 v5, 7, v5
	v_lshrrev_b32_e32 v15, 3, v17
	s_mov_b32 s21, exec_lo
	v_cmpx_gt_u32_e32 8, v17
; %bb.472:                              ;   in Loop: Header=BB214_425 Depth=1
	s_delay_alu instid0(VALU_DEP_3) | instskip(NEXT) | instid1(VALU_DEP_1)
	v_clz_i32_u32_e32 v15, v5
	v_min_u32_e32 v15, 32, v15
	s_delay_alu instid0(VALU_DEP_1) | instskip(SKIP_1) | instid1(VALU_DEP_2)
	v_subrev_nc_u32_e32 v16, 28, v15
	v_sub_nc_u32_e32 v15, 29, v15
	v_lshlrev_b64 v[16:17], v16, v[5:6]
	s_delay_alu instid0(VALU_DEP_1)
	v_and_b32_e32 v5, 7, v16
; %bb.473:                              ;   in Loop: Header=BB214_425 Depth=1
	s_or_b32 exec_lo, exec_lo, s21
	v_lshlrev_b32_e32 v16, 16, v47
	s_delay_alu instid0(VALU_DEP_2) | instskip(SKIP_1) | instid1(VALU_DEP_3)
	v_lshlrev_b32_e32 v5, 20, v5
	v_lshl_add_u32 v15, v15, 23, 0x3c000000
	v_and_b32_e32 v16, 0x80000000, v16
	s_delay_alu instid0(VALU_DEP_1)
	v_or3_b32 v16, v5, v16, v15
	v_mov_b32_e32 v15, v6
.LBB214_474:                            ;   in Loop: Header=BB214_425 Depth=1
	s_or_b32 exec_lo, exec_lo, s8
.LBB214_475:                            ;   in Loop: Header=BB214_425 Depth=1
	s_delay_alu instid0(SALU_CYCLE_1)
	s_or_b32 exec_lo, exec_lo, s20
.LBB214_476:                            ;   in Loop: Header=BB214_425 Depth=1
	s_delay_alu instid0(SALU_CYCLE_1) | instskip(SKIP_4) | instid1(VALU_DEP_2)
	s_or_b32 exec_lo, exec_lo, s19
	v_mov_b32_e32 v19, 0
	v_lshrrev_b32_e32 v48, 16, v47
	v_mov_b32_e32 v20, 0
	s_mov_b32 s8, exec_lo
	v_and_b32_e32 v5, 0xff, v48
	s_delay_alu instid0(VALU_DEP_2) | instskip(NEXT) | instid1(VALU_DEP_2)
	v_dual_mov_b32 v17, v19 :: v_dual_mov_b32 v18, v20
	v_cmpx_ne_u16_e32 0, v5
	s_cbranch_execz .LBB214_484
; %bb.477:                              ;   in Loop: Header=BB214_425 Depth=1
	v_bfrev_b32_e32 v17, 1
	v_mov_b32_e32 v18, 0
	s_mov_b32 s19, exec_lo
	v_cmpx_ne_u16_e32 0x80, v5
	s_cbranch_execz .LBB214_483
; %bb.478:                              ;   in Loop: Header=BB214_425 Depth=1
	v_mov_b32_e32 v17, 0x7f800001
	v_bfe_u32 v50, v47, 16, 7
	v_mov_b32_e32 v18, 0
	s_mov_b32 s20, exec_lo
	s_delay_alu instid0(VALU_DEP_2)
	v_cmpx_ne_u32_e32 0x7f, v50
	s_cbranch_execz .LBB214_482
; %bb.479:                              ;   in Loop: Header=BB214_425 Depth=1
	v_and_b32_e32 v5, 7, v48
	v_lshrrev_b32_e32 v17, 3, v50
	s_mov_b32 s21, exec_lo
	v_cmpx_gt_u32_e32 8, v50
; %bb.480:                              ;   in Loop: Header=BB214_425 Depth=1
	s_delay_alu instid0(VALU_DEP_3) | instskip(NEXT) | instid1(VALU_DEP_1)
	v_clz_i32_u32_e32 v17, v5
	v_min_u32_e32 v17, 32, v17
	s_delay_alu instid0(VALU_DEP_1) | instskip(SKIP_1) | instid1(VALU_DEP_2)
	v_subrev_nc_u32_e32 v18, 28, v17
	v_sub_nc_u32_e32 v17, 29, v17
	v_lshlrev_b64 v[50:51], v18, v[5:6]
	s_delay_alu instid0(VALU_DEP_1)
	v_and_b32_e32 v5, 7, v50
; %bb.481:                              ;   in Loop: Header=BB214_425 Depth=1
	s_or_b32 exec_lo, exec_lo, s21
	v_lshlrev_b32_e32 v18, 24, v48
	s_delay_alu instid0(VALU_DEP_2) | instskip(SKIP_1) | instid1(VALU_DEP_3)
	v_lshlrev_b32_e32 v5, 20, v5
	v_lshl_add_u32 v17, v17, 23, 0x3c000000
	v_and_b32_e32 v18, 0x80000000, v18
	s_delay_alu instid0(VALU_DEP_1) | instskip(NEXT) | instid1(VALU_DEP_1)
	v_or3_b32 v5, v5, v18, v17
	v_dual_mov_b32 v18, v6 :: v_dual_mov_b32 v17, v5
.LBB214_482:                            ;   in Loop: Header=BB214_425 Depth=1
	s_or_b32 exec_lo, exec_lo, s20
.LBB214_483:                            ;   in Loop: Header=BB214_425 Depth=1
	s_delay_alu instid0(SALU_CYCLE_1)
	s_or_b32 exec_lo, exec_lo, s19
.LBB214_484:                            ;   in Loop: Header=BB214_425 Depth=1
	s_delay_alu instid0(SALU_CYCLE_1) | instskip(NEXT) | instid1(SALU_CYCLE_1)
	s_or_b32 exec_lo, exec_lo, s8
	s_mov_b32 s19, exec_lo
	v_cmpx_lt_u32_e32 0xffffff, v47
	s_cbranch_execz .LBB214_492
; %bb.485:                              ;   in Loop: Header=BB214_425 Depth=1
	v_lshrrev_b32_e32 v48, 24, v47
	v_dual_mov_b32 v20, s5 :: v_dual_mov_b32 v19, s4
	s_mov_b32 s20, exec_lo
	s_delay_alu instid0(VALU_DEP_2)
	v_cmpx_ne_u32_e32 0x80, v48
	s_cbranch_execz .LBB214_491
; %bb.486:                              ;   in Loop: Header=BB214_425 Depth=1
	s_mov_b32 s8, s4
	v_bfe_u32 v47, v47, 24, 7
	v_dual_mov_b32 v20, s9 :: v_dual_mov_b32 v19, s8
	s_mov_b32 s8, exec_lo
	s_delay_alu instid0(VALU_DEP_2)
	v_cmpx_ne_u32_e32 0x7f, v47
	s_cbranch_execz .LBB214_490
; %bb.487:                              ;   in Loop: Header=BB214_425 Depth=1
	v_and_b32_e32 v5, 7, v48
	v_lshrrev_b32_e32 v19, 3, v47
	s_mov_b32 s21, exec_lo
	v_cmpx_gt_u32_e32 8, v47
; %bb.488:                              ;   in Loop: Header=BB214_425 Depth=1
	s_delay_alu instid0(VALU_DEP_3) | instskip(NEXT) | instid1(VALU_DEP_1)
	v_clz_i32_u32_e32 v19, v5
	v_min_u32_e32 v19, 32, v19
	s_delay_alu instid0(VALU_DEP_1) | instskip(SKIP_1) | instid1(VALU_DEP_2)
	v_subrev_nc_u32_e32 v20, 28, v19
	v_sub_nc_u32_e32 v19, 29, v19
	v_lshlrev_b64 v[50:51], v20, v[5:6]
	s_delay_alu instid0(VALU_DEP_1)
	v_and_b32_e32 v5, 7, v50
; %bb.489:                              ;   in Loop: Header=BB214_425 Depth=1
	s_or_b32 exec_lo, exec_lo, s21
	v_lshlrev_b32_e32 v20, 24, v48
	s_delay_alu instid0(VALU_DEP_2) | instskip(SKIP_1) | instid1(VALU_DEP_3)
	v_lshlrev_b32_e32 v5, 20, v5
	v_lshl_add_u32 v19, v19, 23, 0x3c000000
	v_and_b32_e32 v20, 0x80000000, v20
	s_delay_alu instid0(VALU_DEP_1)
	v_or3_b32 v20, v5, v20, v19
	v_mov_b32_e32 v19, v6
.LBB214_490:                            ;   in Loop: Header=BB214_425 Depth=1
	s_or_b32 exec_lo, exec_lo, s8
.LBB214_491:                            ;   in Loop: Header=BB214_425 Depth=1
	s_delay_alu instid0(SALU_CYCLE_1)
	s_or_b32 exec_lo, exec_lo, s20
.LBB214_492:                            ;   in Loop: Header=BB214_425 Depth=1
	s_delay_alu instid0(SALU_CYCLE_1)
	s_or_b32 exec_lo, exec_lo, s19
	v_or_b32_e32 v5, v16, v14
	v_or_b32_e32 v13, v15, v13
	;; [unrolled: 1-line block ×4, first 2 shown]
	s_mov_b32 s19, s18
	s_delay_alu instid0(SALU_CYCLE_1) | instskip(NEXT) | instid1(VALU_DEP_3)
	v_mul_f32_e32 v51, s19, v5
	v_dual_mul_f32 v50, s18, v13 :: v_dual_mul_f32 v47, s19, v14
	s_delay_alu instid0(VALU_DEP_3)
	v_mul_f32_e32 v48, s18, v15
	s_and_saveexec_b32 s8, vcc_lo
; %bb.493:                              ;   in Loop: Header=BB214_425 Depth=1
	v_cmp_gt_i32_e64 s0, s33, v43
	s_delay_alu instid0(VALU_DEP_1) | instskip(SKIP_1) | instid1(VALU_DEP_1)
	v_cndmask_b32_e64 v50, 0, v50, s0
	v_cmp_gt_i32_e64 s0, s33, v46
	v_cndmask_b32_e64 v51, 0, v51, s0
	v_cmp_gt_i32_e64 s0, s33, v45
	s_delay_alu instid0(VALU_DEP_1) | instskip(SKIP_1) | instid1(VALU_DEP_1)
	v_cndmask_b32_e64 v48, 0, v48, s0
	v_cmp_gt_i32_e64 s0, s33, v44
	v_cndmask_b32_e64 v47, 0, v47, s0
; %bb.494:                              ;   in Loop: Header=BB214_425 Depth=1
	s_or_b32 exec_lo, exec_lo, s8
	global_load_b32 v52, v[11:12], off offset:256
	v_mov_b32_e32 v15, 0
	v_mov_b32_e32 v16, 0
	s_mov_b32 s8, exec_lo
	s_waitcnt vmcnt(0)
	v_and_b32_e32 v5, 0xff, v52
	s_delay_alu instid0(VALU_DEP_2) | instskip(NEXT) | instid1(VALU_DEP_2)
	v_dual_mov_b32 v13, v15 :: v_dual_mov_b32 v14, v16
	v_cmpx_ne_u16_e32 0, v5
	s_cbranch_execz .LBB214_502
; %bb.495:                              ;   in Loop: Header=BB214_425 Depth=1
	v_bfrev_b32_e32 v13, 1
	v_mov_b32_e32 v14, 0
	s_mov_b32 s20, exec_lo
	v_cmpx_ne_u16_e32 0x80, v5
	s_cbranch_execz .LBB214_501
; %bb.496:                              ;   in Loop: Header=BB214_425 Depth=1
	v_mov_b32_e32 v13, 0x7f800001
	v_dual_mov_b32 v14, 0 :: v_dual_and_b32 v17, 0x7f, v52
	s_mov_b32 s21, exec_lo
	s_delay_alu instid0(VALU_DEP_1)
	v_cmpx_ne_u32_e32 0x7f, v17
	s_cbranch_execz .LBB214_500
; %bb.497:                              ;   in Loop: Header=BB214_425 Depth=1
	v_and_b32_e32 v5, 7, v52
	v_lshrrev_b32_e32 v13, 3, v17
	s_mov_b32 s22, exec_lo
	v_cmpx_gt_u32_e32 8, v17
; %bb.498:                              ;   in Loop: Header=BB214_425 Depth=1
	s_delay_alu instid0(VALU_DEP_3) | instskip(NEXT) | instid1(VALU_DEP_1)
	v_clz_i32_u32_e32 v13, v5
	v_min_u32_e32 v13, 32, v13
	s_delay_alu instid0(VALU_DEP_1) | instskip(SKIP_1) | instid1(VALU_DEP_2)
	v_subrev_nc_u32_e32 v14, 28, v13
	v_sub_nc_u32_e32 v13, 29, v13
	v_lshlrev_b64 v[17:18], v14, v[5:6]
	s_delay_alu instid0(VALU_DEP_1)
	v_and_b32_e32 v5, 7, v17
; %bb.499:                              ;   in Loop: Header=BB214_425 Depth=1
	s_or_b32 exec_lo, exec_lo, s22
	v_lshlrev_b32_e32 v14, 24, v52
	s_delay_alu instid0(VALU_DEP_2) | instskip(SKIP_1) | instid1(VALU_DEP_3)
	v_lshlrev_b32_e32 v5, 20, v5
	v_lshl_add_u32 v13, v13, 23, 0x3c000000
	v_and_b32_e32 v14, 0x80000000, v14
	s_delay_alu instid0(VALU_DEP_1) | instskip(NEXT) | instid1(VALU_DEP_1)
	v_or3_b32 v5, v5, v14, v13
	v_dual_mov_b32 v14, v6 :: v_dual_mov_b32 v13, v5
.LBB214_500:                            ;   in Loop: Header=BB214_425 Depth=1
	s_or_b32 exec_lo, exec_lo, s21
.LBB214_501:                            ;   in Loop: Header=BB214_425 Depth=1
	s_delay_alu instid0(SALU_CYCLE_1)
	s_or_b32 exec_lo, exec_lo, s20
.LBB214_502:                            ;   in Loop: Header=BB214_425 Depth=1
	s_delay_alu instid0(SALU_CYCLE_1) | instskip(SKIP_2) | instid1(VALU_DEP_1)
	s_or_b32 exec_lo, exec_lo, s8
	v_lshrrev_b16 v5, 8, v52
	s_mov_b32 s20, exec_lo
	v_cmpx_ne_u16_e32 0, v5
	s_cbranch_execz .LBB214_510
; %bb.503:                              ;   in Loop: Header=BB214_425 Depth=1
	v_dual_mov_b32 v16, s5 :: v_dual_mov_b32 v15, s4
	s_mov_b32 s21, exec_lo
	v_cmpx_ne_u16_e32 0x80, v5
	s_cbranch_execz .LBB214_509
; %bb.504:                              ;   in Loop: Header=BB214_425 Depth=1
	s_mov_b32 s8, s4
	v_dual_mov_b32 v16, s9 :: v_dual_and_b32 v5, 0xffff, v5
	v_mov_b32_e32 v15, s8
	s_mov_b32 s8, exec_lo
	s_delay_alu instid0(VALU_DEP_2) | instskip(NEXT) | instid1(VALU_DEP_1)
	v_and_b32_e32 v17, 0x7f, v5
	v_cmpx_ne_u32_e32 0x7f, v17
	s_cbranch_execz .LBB214_508
; %bb.505:                              ;   in Loop: Header=BB214_425 Depth=1
	v_and_b32_e32 v5, 7, v5
	v_lshrrev_b32_e32 v15, 3, v17
	s_mov_b32 s22, exec_lo
	v_cmpx_gt_u32_e32 8, v17
; %bb.506:                              ;   in Loop: Header=BB214_425 Depth=1
	s_delay_alu instid0(VALU_DEP_3) | instskip(NEXT) | instid1(VALU_DEP_1)
	v_clz_i32_u32_e32 v15, v5
	v_min_u32_e32 v15, 32, v15
	s_delay_alu instid0(VALU_DEP_1) | instskip(SKIP_1) | instid1(VALU_DEP_2)
	v_subrev_nc_u32_e32 v16, 28, v15
	v_sub_nc_u32_e32 v15, 29, v15
	v_lshlrev_b64 v[16:17], v16, v[5:6]
	s_delay_alu instid0(VALU_DEP_1)
	v_and_b32_e32 v5, 7, v16
; %bb.507:                              ;   in Loop: Header=BB214_425 Depth=1
	s_or_b32 exec_lo, exec_lo, s22
	v_lshlrev_b32_e32 v16, 16, v52
	s_delay_alu instid0(VALU_DEP_2) | instskip(SKIP_1) | instid1(VALU_DEP_3)
	v_lshlrev_b32_e32 v5, 20, v5
	v_lshl_add_u32 v15, v15, 23, 0x3c000000
	v_and_b32_e32 v16, 0x80000000, v16
	s_delay_alu instid0(VALU_DEP_1)
	v_or3_b32 v16, v5, v16, v15
	v_mov_b32_e32 v15, v6
.LBB214_508:                            ;   in Loop: Header=BB214_425 Depth=1
	s_or_b32 exec_lo, exec_lo, s8
.LBB214_509:                            ;   in Loop: Header=BB214_425 Depth=1
	s_delay_alu instid0(SALU_CYCLE_1)
	s_or_b32 exec_lo, exec_lo, s21
.LBB214_510:                            ;   in Loop: Header=BB214_425 Depth=1
	s_delay_alu instid0(SALU_CYCLE_1) | instskip(SKIP_4) | instid1(VALU_DEP_2)
	s_or_b32 exec_lo, exec_lo, s20
	v_mov_b32_e32 v19, 0
	v_lshrrev_b32_e32 v53, 16, v52
	v_mov_b32_e32 v20, 0
	s_mov_b32 s8, exec_lo
	v_and_b32_e32 v5, 0xff, v53
	s_delay_alu instid0(VALU_DEP_2) | instskip(NEXT) | instid1(VALU_DEP_2)
	v_dual_mov_b32 v17, v19 :: v_dual_mov_b32 v18, v20
	v_cmpx_ne_u16_e32 0, v5
	s_cbranch_execz .LBB214_518
; %bb.511:                              ;   in Loop: Header=BB214_425 Depth=1
	v_bfrev_b32_e32 v17, 1
	v_mov_b32_e32 v18, 0
	s_mov_b32 s20, exec_lo
	v_cmpx_ne_u16_e32 0x80, v5
	s_cbranch_execz .LBB214_517
; %bb.512:                              ;   in Loop: Header=BB214_425 Depth=1
	v_mov_b32_e32 v17, 0x7f800001
	v_bfe_u32 v54, v52, 16, 7
	v_mov_b32_e32 v18, 0
	s_mov_b32 s21, exec_lo
	s_delay_alu instid0(VALU_DEP_2)
	v_cmpx_ne_u32_e32 0x7f, v54
	s_cbranch_execz .LBB214_516
; %bb.513:                              ;   in Loop: Header=BB214_425 Depth=1
	v_and_b32_e32 v5, 7, v53
	v_lshrrev_b32_e32 v17, 3, v54
	s_mov_b32 s22, exec_lo
	v_cmpx_gt_u32_e32 8, v54
; %bb.514:                              ;   in Loop: Header=BB214_425 Depth=1
	s_delay_alu instid0(VALU_DEP_3) | instskip(NEXT) | instid1(VALU_DEP_1)
	v_clz_i32_u32_e32 v17, v5
	v_min_u32_e32 v17, 32, v17
	s_delay_alu instid0(VALU_DEP_1) | instskip(SKIP_1) | instid1(VALU_DEP_2)
	v_subrev_nc_u32_e32 v18, 28, v17
	v_sub_nc_u32_e32 v17, 29, v17
	v_lshlrev_b64 v[54:55], v18, v[5:6]
	s_delay_alu instid0(VALU_DEP_1)
	v_and_b32_e32 v5, 7, v54
; %bb.515:                              ;   in Loop: Header=BB214_425 Depth=1
	s_or_b32 exec_lo, exec_lo, s22
	v_lshlrev_b32_e32 v18, 24, v53
	s_delay_alu instid0(VALU_DEP_2) | instskip(SKIP_1) | instid1(VALU_DEP_3)
	v_lshlrev_b32_e32 v5, 20, v5
	v_lshl_add_u32 v17, v17, 23, 0x3c000000
	v_and_b32_e32 v18, 0x80000000, v18
	s_delay_alu instid0(VALU_DEP_1) | instskip(NEXT) | instid1(VALU_DEP_1)
	v_or3_b32 v5, v5, v18, v17
	v_dual_mov_b32 v18, v6 :: v_dual_mov_b32 v17, v5
.LBB214_516:                            ;   in Loop: Header=BB214_425 Depth=1
	s_or_b32 exec_lo, exec_lo, s21
.LBB214_517:                            ;   in Loop: Header=BB214_425 Depth=1
	s_delay_alu instid0(SALU_CYCLE_1)
	s_or_b32 exec_lo, exec_lo, s20
.LBB214_518:                            ;   in Loop: Header=BB214_425 Depth=1
	s_delay_alu instid0(SALU_CYCLE_1) | instskip(NEXT) | instid1(SALU_CYCLE_1)
	s_or_b32 exec_lo, exec_lo, s8
	s_mov_b32 s20, exec_lo
	v_cmpx_lt_u32_e32 0xffffff, v52
	s_cbranch_execz .LBB214_526
; %bb.519:                              ;   in Loop: Header=BB214_425 Depth=1
	v_lshrrev_b32_e32 v53, 24, v52
	v_dual_mov_b32 v20, s5 :: v_dual_mov_b32 v19, s4
	s_mov_b32 s21, exec_lo
	s_delay_alu instid0(VALU_DEP_2)
	v_cmpx_ne_u32_e32 0x80, v53
	s_cbranch_execz .LBB214_525
; %bb.520:                              ;   in Loop: Header=BB214_425 Depth=1
	s_mov_b32 s8, s4
	v_bfe_u32 v52, v52, 24, 7
	v_dual_mov_b32 v20, s9 :: v_dual_mov_b32 v19, s8
	s_mov_b32 s8, exec_lo
	s_delay_alu instid0(VALU_DEP_2)
	v_cmpx_ne_u32_e32 0x7f, v52
	s_cbranch_execz .LBB214_524
; %bb.521:                              ;   in Loop: Header=BB214_425 Depth=1
	v_and_b32_e32 v5, 7, v53
	v_lshrrev_b32_e32 v19, 3, v52
	s_mov_b32 s22, exec_lo
	v_cmpx_gt_u32_e32 8, v52
; %bb.522:                              ;   in Loop: Header=BB214_425 Depth=1
	s_delay_alu instid0(VALU_DEP_3) | instskip(NEXT) | instid1(VALU_DEP_1)
	v_clz_i32_u32_e32 v19, v5
	v_min_u32_e32 v19, 32, v19
	s_delay_alu instid0(VALU_DEP_1) | instskip(SKIP_1) | instid1(VALU_DEP_2)
	v_subrev_nc_u32_e32 v20, 28, v19
	v_sub_nc_u32_e32 v19, 29, v19
	v_lshlrev_b64 v[54:55], v20, v[5:6]
	s_delay_alu instid0(VALU_DEP_1)
	v_and_b32_e32 v5, 7, v54
; %bb.523:                              ;   in Loop: Header=BB214_425 Depth=1
	s_or_b32 exec_lo, exec_lo, s22
	v_lshlrev_b32_e32 v20, 24, v53
	s_delay_alu instid0(VALU_DEP_2) | instskip(SKIP_1) | instid1(VALU_DEP_3)
	v_lshlrev_b32_e32 v5, 20, v5
	v_lshl_add_u32 v19, v19, 23, 0x3c000000
	v_and_b32_e32 v20, 0x80000000, v20
	s_delay_alu instid0(VALU_DEP_1)
	v_or3_b32 v20, v5, v20, v19
	v_mov_b32_e32 v19, v6
.LBB214_524:                            ;   in Loop: Header=BB214_425 Depth=1
	s_or_b32 exec_lo, exec_lo, s8
.LBB214_525:                            ;   in Loop: Header=BB214_425 Depth=1
	s_delay_alu instid0(SALU_CYCLE_1)
	s_or_b32 exec_lo, exec_lo, s21
.LBB214_526:                            ;   in Loop: Header=BB214_425 Depth=1
	s_delay_alu instid0(SALU_CYCLE_1) | instskip(SKIP_4) | instid1(VALU_DEP_4)
	s_or_b32 exec_lo, exec_lo, s20
	v_or_b32_e32 v5, v16, v14
	v_or_b32_e32 v13, v15, v13
	;; [unrolled: 1-line block ×4, first 2 shown]
	v_mul_f32_e32 v55, s19, v5
	s_delay_alu instid0(VALU_DEP_4) | instskip(NEXT) | instid1(VALU_DEP_3)
	v_mul_f32_e32 v54, s18, v13
	v_dual_mul_f32 v52, s19, v14 :: v_dual_mul_f32 v53, s18, v15
	s_and_saveexec_b32 s8, vcc_lo
; %bb.527:                              ;   in Loop: Header=BB214_425 Depth=1
	v_cmp_gt_i32_e64 s0, s33, v43
	s_delay_alu instid0(VALU_DEP_1) | instskip(SKIP_1) | instid1(VALU_DEP_1)
	v_cndmask_b32_e64 v54, 0, v54, s0
	v_cmp_gt_i32_e64 s0, s33, v46
	v_cndmask_b32_e64 v55, 0, v55, s0
	v_cmp_gt_i32_e64 s0, s33, v45
	s_delay_alu instid0(VALU_DEP_1) | instskip(SKIP_1) | instid1(VALU_DEP_1)
	v_cndmask_b32_e64 v53, 0, v53, s0
	v_cmp_gt_i32_e64 s0, s33, v44
	v_cndmask_b32_e64 v52, 0, v52, s0
; %bb.528:                              ;   in Loop: Header=BB214_425 Depth=1
	s_or_b32 exec_lo, exec_lo, s8
	global_load_b32 v56, v[11:12], off offset:384
	v_mov_b32_e32 v15, 0
	v_mov_b32_e32 v16, 0
	s_mov_b32 s8, exec_lo
	s_waitcnt vmcnt(0)
	v_and_b32_e32 v5, 0xff, v56
	s_delay_alu instid0(VALU_DEP_2) | instskip(NEXT) | instid1(VALU_DEP_2)
	v_dual_mov_b32 v13, v15 :: v_dual_mov_b32 v14, v16
	v_cmpx_ne_u16_e32 0, v5
	s_cbranch_execz .LBB214_536
; %bb.529:                              ;   in Loop: Header=BB214_425 Depth=1
	v_bfrev_b32_e32 v13, 1
	v_mov_b32_e32 v14, 0
	s_mov_b32 s20, exec_lo
	v_cmpx_ne_u16_e32 0x80, v5
	s_cbranch_execz .LBB214_535
; %bb.530:                              ;   in Loop: Header=BB214_425 Depth=1
	v_mov_b32_e32 v13, 0x7f800001
	v_dual_mov_b32 v14, 0 :: v_dual_and_b32 v17, 0x7f, v56
	s_mov_b32 s21, exec_lo
	s_delay_alu instid0(VALU_DEP_1)
	v_cmpx_ne_u32_e32 0x7f, v17
	s_cbranch_execz .LBB214_534
; %bb.531:                              ;   in Loop: Header=BB214_425 Depth=1
	v_and_b32_e32 v5, 7, v56
	v_lshrrev_b32_e32 v13, 3, v17
	s_mov_b32 s22, exec_lo
	v_cmpx_gt_u32_e32 8, v17
; %bb.532:                              ;   in Loop: Header=BB214_425 Depth=1
	s_delay_alu instid0(VALU_DEP_3) | instskip(NEXT) | instid1(VALU_DEP_1)
	v_clz_i32_u32_e32 v13, v5
	v_min_u32_e32 v13, 32, v13
	s_delay_alu instid0(VALU_DEP_1) | instskip(SKIP_1) | instid1(VALU_DEP_2)
	v_subrev_nc_u32_e32 v14, 28, v13
	v_sub_nc_u32_e32 v13, 29, v13
	v_lshlrev_b64 v[17:18], v14, v[5:6]
	s_delay_alu instid0(VALU_DEP_1)
	v_and_b32_e32 v5, 7, v17
; %bb.533:                              ;   in Loop: Header=BB214_425 Depth=1
	s_or_b32 exec_lo, exec_lo, s22
	v_lshlrev_b32_e32 v14, 24, v56
	s_delay_alu instid0(VALU_DEP_2) | instskip(SKIP_1) | instid1(VALU_DEP_3)
	v_lshlrev_b32_e32 v5, 20, v5
	v_lshl_add_u32 v13, v13, 23, 0x3c000000
	v_and_b32_e32 v14, 0x80000000, v14
	s_delay_alu instid0(VALU_DEP_1) | instskip(NEXT) | instid1(VALU_DEP_1)
	v_or3_b32 v5, v5, v14, v13
	v_dual_mov_b32 v14, v6 :: v_dual_mov_b32 v13, v5
.LBB214_534:                            ;   in Loop: Header=BB214_425 Depth=1
	s_or_b32 exec_lo, exec_lo, s21
.LBB214_535:                            ;   in Loop: Header=BB214_425 Depth=1
	s_delay_alu instid0(SALU_CYCLE_1)
	s_or_b32 exec_lo, exec_lo, s20
.LBB214_536:                            ;   in Loop: Header=BB214_425 Depth=1
	s_delay_alu instid0(SALU_CYCLE_1) | instskip(SKIP_2) | instid1(VALU_DEP_1)
	s_or_b32 exec_lo, exec_lo, s8
	v_lshrrev_b16 v5, 8, v56
	s_mov_b32 s20, exec_lo
	v_cmpx_ne_u16_e32 0, v5
	s_cbranch_execz .LBB214_544
; %bb.537:                              ;   in Loop: Header=BB214_425 Depth=1
	v_dual_mov_b32 v16, s5 :: v_dual_mov_b32 v15, s4
	s_mov_b32 s21, exec_lo
	v_cmpx_ne_u16_e32 0x80, v5
	s_cbranch_execz .LBB214_543
; %bb.538:                              ;   in Loop: Header=BB214_425 Depth=1
	s_mov_b32 s8, s4
	v_dual_mov_b32 v16, s9 :: v_dual_and_b32 v5, 0xffff, v5
	v_mov_b32_e32 v15, s8
	s_mov_b32 s8, exec_lo
	s_delay_alu instid0(VALU_DEP_2) | instskip(NEXT) | instid1(VALU_DEP_1)
	v_and_b32_e32 v17, 0x7f, v5
	v_cmpx_ne_u32_e32 0x7f, v17
	s_cbranch_execz .LBB214_542
; %bb.539:                              ;   in Loop: Header=BB214_425 Depth=1
	v_and_b32_e32 v5, 7, v5
	v_lshrrev_b32_e32 v15, 3, v17
	s_mov_b32 s22, exec_lo
	v_cmpx_gt_u32_e32 8, v17
; %bb.540:                              ;   in Loop: Header=BB214_425 Depth=1
	s_delay_alu instid0(VALU_DEP_3) | instskip(NEXT) | instid1(VALU_DEP_1)
	v_clz_i32_u32_e32 v15, v5
	v_min_u32_e32 v15, 32, v15
	s_delay_alu instid0(VALU_DEP_1) | instskip(SKIP_1) | instid1(VALU_DEP_2)
	v_subrev_nc_u32_e32 v16, 28, v15
	v_sub_nc_u32_e32 v15, 29, v15
	v_lshlrev_b64 v[16:17], v16, v[5:6]
	s_delay_alu instid0(VALU_DEP_1)
	v_and_b32_e32 v5, 7, v16
; %bb.541:                              ;   in Loop: Header=BB214_425 Depth=1
	s_or_b32 exec_lo, exec_lo, s22
	v_lshlrev_b32_e32 v16, 16, v56
	s_delay_alu instid0(VALU_DEP_2) | instskip(SKIP_1) | instid1(VALU_DEP_3)
	v_lshlrev_b32_e32 v5, 20, v5
	v_lshl_add_u32 v15, v15, 23, 0x3c000000
	v_and_b32_e32 v16, 0x80000000, v16
	s_delay_alu instid0(VALU_DEP_1)
	v_or3_b32 v16, v5, v16, v15
	v_mov_b32_e32 v15, v6
.LBB214_542:                            ;   in Loop: Header=BB214_425 Depth=1
	s_or_b32 exec_lo, exec_lo, s8
.LBB214_543:                            ;   in Loop: Header=BB214_425 Depth=1
	s_delay_alu instid0(SALU_CYCLE_1)
	s_or_b32 exec_lo, exec_lo, s21
.LBB214_544:                            ;   in Loop: Header=BB214_425 Depth=1
	s_delay_alu instid0(SALU_CYCLE_1) | instskip(SKIP_4) | instid1(VALU_DEP_2)
	s_or_b32 exec_lo, exec_lo, s20
	v_mov_b32_e32 v19, 0
	v_lshrrev_b32_e32 v57, 16, v56
	v_mov_b32_e32 v20, 0
	s_mov_b32 s8, exec_lo
	v_and_b32_e32 v5, 0xff, v57
	s_delay_alu instid0(VALU_DEP_2) | instskip(NEXT) | instid1(VALU_DEP_2)
	v_dual_mov_b32 v17, v19 :: v_dual_mov_b32 v18, v20
	v_cmpx_ne_u16_e32 0, v5
	s_cbranch_execz .LBB214_552
; %bb.545:                              ;   in Loop: Header=BB214_425 Depth=1
	v_bfrev_b32_e32 v17, 1
	v_mov_b32_e32 v18, 0
	s_mov_b32 s20, exec_lo
	v_cmpx_ne_u16_e32 0x80, v5
	s_cbranch_execz .LBB214_551
; %bb.546:                              ;   in Loop: Header=BB214_425 Depth=1
	v_mov_b32_e32 v17, 0x7f800001
	v_bfe_u32 v58, v56, 16, 7
	v_mov_b32_e32 v18, 0
	s_mov_b32 s21, exec_lo
	s_delay_alu instid0(VALU_DEP_2)
	v_cmpx_ne_u32_e32 0x7f, v58
	s_cbranch_execz .LBB214_550
; %bb.547:                              ;   in Loop: Header=BB214_425 Depth=1
	v_and_b32_e32 v5, 7, v57
	v_lshrrev_b32_e32 v17, 3, v58
	s_mov_b32 s22, exec_lo
	v_cmpx_gt_u32_e32 8, v58
; %bb.548:                              ;   in Loop: Header=BB214_425 Depth=1
	s_delay_alu instid0(VALU_DEP_3) | instskip(NEXT) | instid1(VALU_DEP_1)
	v_clz_i32_u32_e32 v17, v5
	v_min_u32_e32 v17, 32, v17
	s_delay_alu instid0(VALU_DEP_1) | instskip(SKIP_1) | instid1(VALU_DEP_2)
	v_subrev_nc_u32_e32 v18, 28, v17
	v_sub_nc_u32_e32 v17, 29, v17
	v_lshlrev_b64 v[58:59], v18, v[5:6]
	s_delay_alu instid0(VALU_DEP_1)
	v_and_b32_e32 v5, 7, v58
; %bb.549:                              ;   in Loop: Header=BB214_425 Depth=1
	s_or_b32 exec_lo, exec_lo, s22
	v_lshlrev_b32_e32 v18, 24, v57
	s_delay_alu instid0(VALU_DEP_2) | instskip(SKIP_1) | instid1(VALU_DEP_3)
	v_lshlrev_b32_e32 v5, 20, v5
	v_lshl_add_u32 v17, v17, 23, 0x3c000000
	v_and_b32_e32 v18, 0x80000000, v18
	s_delay_alu instid0(VALU_DEP_1) | instskip(NEXT) | instid1(VALU_DEP_1)
	v_or3_b32 v5, v5, v18, v17
	v_dual_mov_b32 v18, v6 :: v_dual_mov_b32 v17, v5
.LBB214_550:                            ;   in Loop: Header=BB214_425 Depth=1
	s_or_b32 exec_lo, exec_lo, s21
.LBB214_551:                            ;   in Loop: Header=BB214_425 Depth=1
	s_delay_alu instid0(SALU_CYCLE_1)
	s_or_b32 exec_lo, exec_lo, s20
.LBB214_552:                            ;   in Loop: Header=BB214_425 Depth=1
	s_delay_alu instid0(SALU_CYCLE_1) | instskip(NEXT) | instid1(SALU_CYCLE_1)
	s_or_b32 exec_lo, exec_lo, s8
	s_mov_b32 s20, exec_lo
	v_cmpx_lt_u32_e32 0xffffff, v56
	s_cbranch_execz .LBB214_560
; %bb.553:                              ;   in Loop: Header=BB214_425 Depth=1
	v_lshrrev_b32_e32 v57, 24, v56
	v_dual_mov_b32 v20, s5 :: v_dual_mov_b32 v19, s4
	s_mov_b32 s21, exec_lo
	s_delay_alu instid0(VALU_DEP_2)
	v_cmpx_ne_u32_e32 0x80, v57
	s_cbranch_execz .LBB214_559
; %bb.554:                              ;   in Loop: Header=BB214_425 Depth=1
	s_mov_b32 s8, s4
	v_bfe_u32 v56, v56, 24, 7
	v_dual_mov_b32 v20, s9 :: v_dual_mov_b32 v19, s8
	s_mov_b32 s8, exec_lo
	s_delay_alu instid0(VALU_DEP_2)
	v_cmpx_ne_u32_e32 0x7f, v56
	s_cbranch_execz .LBB214_558
; %bb.555:                              ;   in Loop: Header=BB214_425 Depth=1
	v_and_b32_e32 v5, 7, v57
	v_lshrrev_b32_e32 v19, 3, v56
	s_mov_b32 s22, exec_lo
	v_cmpx_gt_u32_e32 8, v56
; %bb.556:                              ;   in Loop: Header=BB214_425 Depth=1
	s_delay_alu instid0(VALU_DEP_3) | instskip(NEXT) | instid1(VALU_DEP_1)
	v_clz_i32_u32_e32 v19, v5
	v_min_u32_e32 v19, 32, v19
	s_delay_alu instid0(VALU_DEP_1) | instskip(SKIP_1) | instid1(VALU_DEP_2)
	v_subrev_nc_u32_e32 v20, 28, v19
	v_sub_nc_u32_e32 v19, 29, v19
	v_lshlrev_b64 v[58:59], v20, v[5:6]
	s_delay_alu instid0(VALU_DEP_1)
	v_and_b32_e32 v5, 7, v58
; %bb.557:                              ;   in Loop: Header=BB214_425 Depth=1
	s_or_b32 exec_lo, exec_lo, s22
	v_lshlrev_b32_e32 v20, 24, v57
	s_delay_alu instid0(VALU_DEP_2) | instskip(SKIP_1) | instid1(VALU_DEP_3)
	v_lshlrev_b32_e32 v5, 20, v5
	v_lshl_add_u32 v19, v19, 23, 0x3c000000
	v_and_b32_e32 v20, 0x80000000, v20
	s_delay_alu instid0(VALU_DEP_1)
	v_or3_b32 v20, v5, v20, v19
	v_mov_b32_e32 v19, v6
.LBB214_558:                            ;   in Loop: Header=BB214_425 Depth=1
	s_or_b32 exec_lo, exec_lo, s8
.LBB214_559:                            ;   in Loop: Header=BB214_425 Depth=1
	s_delay_alu instid0(SALU_CYCLE_1)
	s_or_b32 exec_lo, exec_lo, s21
.LBB214_560:                            ;   in Loop: Header=BB214_425 Depth=1
	s_delay_alu instid0(SALU_CYCLE_1) | instskip(SKIP_4) | instid1(VALU_DEP_4)
	s_or_b32 exec_lo, exec_lo, s20
	v_or_b32_e32 v5, v16, v14
	v_or_b32_e32 v13, v15, v13
	;; [unrolled: 1-line block ×4, first 2 shown]
	v_mul_f32_e32 v59, s19, v5
	s_delay_alu instid0(VALU_DEP_4) | instskip(NEXT) | instid1(VALU_DEP_3)
	v_mul_f32_e32 v58, s18, v13
	v_dual_mul_f32 v56, s19, v14 :: v_dual_mul_f32 v57, s18, v15
	s_and_saveexec_b32 s8, vcc_lo
; %bb.561:                              ;   in Loop: Header=BB214_425 Depth=1
	v_cmp_gt_i32_e64 s0, s33, v43
	s_delay_alu instid0(VALU_DEP_1) | instskip(SKIP_1) | instid1(VALU_DEP_1)
	v_cndmask_b32_e64 v58, 0, v58, s0
	v_cmp_gt_i32_e64 s0, s33, v46
	v_cndmask_b32_e64 v59, 0, v59, s0
	v_cmp_gt_i32_e64 s0, s33, v45
	s_delay_alu instid0(VALU_DEP_1) | instskip(SKIP_1) | instid1(VALU_DEP_1)
	v_cndmask_b32_e64 v57, 0, v57, s0
	v_cmp_gt_i32_e64 s0, s33, v44
	v_cndmask_b32_e64 v56, 0, v56, s0
; %bb.562:                              ;   in Loop: Header=BB214_425 Depth=1
	s_or_b32 exec_lo, exec_lo, s8
	global_load_b32 v60, v[11:12], off offset:512
	v_mov_b32_e32 v15, 0
	v_mov_b32_e32 v16, 0
	s_mov_b32 s8, exec_lo
	s_waitcnt vmcnt(0)
	v_and_b32_e32 v5, 0xff, v60
	s_delay_alu instid0(VALU_DEP_2) | instskip(NEXT) | instid1(VALU_DEP_2)
	v_dual_mov_b32 v13, v15 :: v_dual_mov_b32 v14, v16
	v_cmpx_ne_u16_e32 0, v5
	s_cbranch_execz .LBB214_570
; %bb.563:                              ;   in Loop: Header=BB214_425 Depth=1
	v_bfrev_b32_e32 v13, 1
	v_mov_b32_e32 v14, 0
	s_mov_b32 s20, exec_lo
	v_cmpx_ne_u16_e32 0x80, v5
	s_cbranch_execz .LBB214_569
; %bb.564:                              ;   in Loop: Header=BB214_425 Depth=1
	v_mov_b32_e32 v13, 0x7f800001
	v_dual_mov_b32 v14, 0 :: v_dual_and_b32 v17, 0x7f, v60
	s_mov_b32 s21, exec_lo
	s_delay_alu instid0(VALU_DEP_1)
	v_cmpx_ne_u32_e32 0x7f, v17
	s_cbranch_execz .LBB214_568
; %bb.565:                              ;   in Loop: Header=BB214_425 Depth=1
	v_and_b32_e32 v5, 7, v60
	v_lshrrev_b32_e32 v13, 3, v17
	s_mov_b32 s22, exec_lo
	v_cmpx_gt_u32_e32 8, v17
; %bb.566:                              ;   in Loop: Header=BB214_425 Depth=1
	s_delay_alu instid0(VALU_DEP_3) | instskip(NEXT) | instid1(VALU_DEP_1)
	v_clz_i32_u32_e32 v13, v5
	v_min_u32_e32 v13, 32, v13
	s_delay_alu instid0(VALU_DEP_1) | instskip(SKIP_1) | instid1(VALU_DEP_2)
	v_subrev_nc_u32_e32 v14, 28, v13
	v_sub_nc_u32_e32 v13, 29, v13
	v_lshlrev_b64 v[17:18], v14, v[5:6]
	s_delay_alu instid0(VALU_DEP_1)
	v_and_b32_e32 v5, 7, v17
; %bb.567:                              ;   in Loop: Header=BB214_425 Depth=1
	s_or_b32 exec_lo, exec_lo, s22
	v_lshlrev_b32_e32 v14, 24, v60
	s_delay_alu instid0(VALU_DEP_2) | instskip(SKIP_1) | instid1(VALU_DEP_3)
	v_lshlrev_b32_e32 v5, 20, v5
	v_lshl_add_u32 v13, v13, 23, 0x3c000000
	v_and_b32_e32 v14, 0x80000000, v14
	s_delay_alu instid0(VALU_DEP_1) | instskip(NEXT) | instid1(VALU_DEP_1)
	v_or3_b32 v5, v5, v14, v13
	v_dual_mov_b32 v14, v6 :: v_dual_mov_b32 v13, v5
.LBB214_568:                            ;   in Loop: Header=BB214_425 Depth=1
	s_or_b32 exec_lo, exec_lo, s21
.LBB214_569:                            ;   in Loop: Header=BB214_425 Depth=1
	s_delay_alu instid0(SALU_CYCLE_1)
	s_or_b32 exec_lo, exec_lo, s20
.LBB214_570:                            ;   in Loop: Header=BB214_425 Depth=1
	s_delay_alu instid0(SALU_CYCLE_1) | instskip(SKIP_2) | instid1(VALU_DEP_1)
	s_or_b32 exec_lo, exec_lo, s8
	v_lshrrev_b16 v5, 8, v60
	s_mov_b32 s20, exec_lo
	v_cmpx_ne_u16_e32 0, v5
	s_cbranch_execz .LBB214_578
; %bb.571:                              ;   in Loop: Header=BB214_425 Depth=1
	v_dual_mov_b32 v16, s5 :: v_dual_mov_b32 v15, s4
	s_mov_b32 s21, exec_lo
	v_cmpx_ne_u16_e32 0x80, v5
	s_cbranch_execz .LBB214_577
; %bb.572:                              ;   in Loop: Header=BB214_425 Depth=1
	s_mov_b32 s8, s4
	v_dual_mov_b32 v16, s9 :: v_dual_and_b32 v5, 0xffff, v5
	v_mov_b32_e32 v15, s8
	s_mov_b32 s8, exec_lo
	s_delay_alu instid0(VALU_DEP_2) | instskip(NEXT) | instid1(VALU_DEP_1)
	v_and_b32_e32 v17, 0x7f, v5
	v_cmpx_ne_u32_e32 0x7f, v17
	s_cbranch_execz .LBB214_576
; %bb.573:                              ;   in Loop: Header=BB214_425 Depth=1
	v_and_b32_e32 v5, 7, v5
	v_lshrrev_b32_e32 v15, 3, v17
	s_mov_b32 s22, exec_lo
	v_cmpx_gt_u32_e32 8, v17
; %bb.574:                              ;   in Loop: Header=BB214_425 Depth=1
	s_delay_alu instid0(VALU_DEP_3) | instskip(NEXT) | instid1(VALU_DEP_1)
	v_clz_i32_u32_e32 v15, v5
	v_min_u32_e32 v15, 32, v15
	s_delay_alu instid0(VALU_DEP_1) | instskip(SKIP_1) | instid1(VALU_DEP_2)
	v_subrev_nc_u32_e32 v16, 28, v15
	v_sub_nc_u32_e32 v15, 29, v15
	v_lshlrev_b64 v[16:17], v16, v[5:6]
	s_delay_alu instid0(VALU_DEP_1)
	v_and_b32_e32 v5, 7, v16
; %bb.575:                              ;   in Loop: Header=BB214_425 Depth=1
	s_or_b32 exec_lo, exec_lo, s22
	v_lshlrev_b32_e32 v16, 16, v60
	s_delay_alu instid0(VALU_DEP_2) | instskip(SKIP_1) | instid1(VALU_DEP_3)
	v_lshlrev_b32_e32 v5, 20, v5
	v_lshl_add_u32 v15, v15, 23, 0x3c000000
	v_and_b32_e32 v16, 0x80000000, v16
	s_delay_alu instid0(VALU_DEP_1)
	v_or3_b32 v16, v5, v16, v15
	v_mov_b32_e32 v15, v6
.LBB214_576:                            ;   in Loop: Header=BB214_425 Depth=1
	s_or_b32 exec_lo, exec_lo, s8
.LBB214_577:                            ;   in Loop: Header=BB214_425 Depth=1
	s_delay_alu instid0(SALU_CYCLE_1)
	s_or_b32 exec_lo, exec_lo, s21
.LBB214_578:                            ;   in Loop: Header=BB214_425 Depth=1
	s_delay_alu instid0(SALU_CYCLE_1) | instskip(SKIP_4) | instid1(VALU_DEP_2)
	s_or_b32 exec_lo, exec_lo, s20
	v_mov_b32_e32 v19, 0
	v_lshrrev_b32_e32 v63, 16, v60
	v_mov_b32_e32 v20, 0
	s_mov_b32 s8, exec_lo
	v_and_b32_e32 v5, 0xff, v63
	s_delay_alu instid0(VALU_DEP_2) | instskip(NEXT) | instid1(VALU_DEP_2)
	v_dual_mov_b32 v17, v19 :: v_dual_mov_b32 v18, v20
	v_cmpx_ne_u16_e32 0, v5
	s_cbranch_execz .LBB214_586
; %bb.579:                              ;   in Loop: Header=BB214_425 Depth=1
	v_bfrev_b32_e32 v17, 1
	v_mov_b32_e32 v18, 0
	s_mov_b32 s20, exec_lo
	v_cmpx_ne_u16_e32 0x80, v5
	s_cbranch_execz .LBB214_585
; %bb.580:                              ;   in Loop: Header=BB214_425 Depth=1
	v_mov_b32_e32 v17, 0x7f800001
	v_bfe_u32 v64, v60, 16, 7
	v_mov_b32_e32 v18, 0
	s_mov_b32 s21, exec_lo
	s_delay_alu instid0(VALU_DEP_2)
	v_cmpx_ne_u32_e32 0x7f, v64
	s_cbranch_execz .LBB214_584
; %bb.581:                              ;   in Loop: Header=BB214_425 Depth=1
	v_and_b32_e32 v5, 7, v63
	v_lshrrev_b32_e32 v17, 3, v64
	s_mov_b32 s22, exec_lo
	v_cmpx_gt_u32_e32 8, v64
; %bb.582:                              ;   in Loop: Header=BB214_425 Depth=1
	s_delay_alu instid0(VALU_DEP_3) | instskip(NEXT) | instid1(VALU_DEP_1)
	v_clz_i32_u32_e32 v17, v5
	v_min_u32_e32 v17, 32, v17
	s_delay_alu instid0(VALU_DEP_1) | instskip(SKIP_1) | instid1(VALU_DEP_2)
	v_subrev_nc_u32_e32 v18, 28, v17
	v_sub_nc_u32_e32 v17, 29, v17
	v_lshlrev_b64 v[64:65], v18, v[5:6]
	s_delay_alu instid0(VALU_DEP_1)
	v_and_b32_e32 v5, 7, v64
; %bb.583:                              ;   in Loop: Header=BB214_425 Depth=1
	s_or_b32 exec_lo, exec_lo, s22
	v_lshlrev_b32_e32 v18, 24, v63
	s_delay_alu instid0(VALU_DEP_2) | instskip(SKIP_1) | instid1(VALU_DEP_3)
	v_lshlrev_b32_e32 v5, 20, v5
	v_lshl_add_u32 v17, v17, 23, 0x3c000000
	v_and_b32_e32 v18, 0x80000000, v18
	s_delay_alu instid0(VALU_DEP_1) | instskip(NEXT) | instid1(VALU_DEP_1)
	v_or3_b32 v5, v5, v18, v17
	v_dual_mov_b32 v18, v6 :: v_dual_mov_b32 v17, v5
.LBB214_584:                            ;   in Loop: Header=BB214_425 Depth=1
	s_or_b32 exec_lo, exec_lo, s21
.LBB214_585:                            ;   in Loop: Header=BB214_425 Depth=1
	s_delay_alu instid0(SALU_CYCLE_1)
	s_or_b32 exec_lo, exec_lo, s20
.LBB214_586:                            ;   in Loop: Header=BB214_425 Depth=1
	s_delay_alu instid0(SALU_CYCLE_1) | instskip(NEXT) | instid1(SALU_CYCLE_1)
	s_or_b32 exec_lo, exec_lo, s8
	s_mov_b32 s20, exec_lo
	v_cmpx_lt_u32_e32 0xffffff, v60
	s_cbranch_execz .LBB214_594
; %bb.587:                              ;   in Loop: Header=BB214_425 Depth=1
	v_lshrrev_b32_e32 v63, 24, v60
	v_dual_mov_b32 v20, s5 :: v_dual_mov_b32 v19, s4
	s_mov_b32 s21, exec_lo
	s_delay_alu instid0(VALU_DEP_2)
	v_cmpx_ne_u32_e32 0x80, v63
	s_cbranch_execz .LBB214_593
; %bb.588:                              ;   in Loop: Header=BB214_425 Depth=1
	s_mov_b32 s8, s4
	v_bfe_u32 v60, v60, 24, 7
	v_dual_mov_b32 v20, s9 :: v_dual_mov_b32 v19, s8
	s_mov_b32 s8, exec_lo
	s_delay_alu instid0(VALU_DEP_2)
	v_cmpx_ne_u32_e32 0x7f, v60
	s_cbranch_execz .LBB214_592
; %bb.589:                              ;   in Loop: Header=BB214_425 Depth=1
	v_and_b32_e32 v5, 7, v63
	v_lshrrev_b32_e32 v19, 3, v60
	s_mov_b32 s22, exec_lo
	v_cmpx_gt_u32_e32 8, v60
; %bb.590:                              ;   in Loop: Header=BB214_425 Depth=1
	s_delay_alu instid0(VALU_DEP_3) | instskip(NEXT) | instid1(VALU_DEP_1)
	v_clz_i32_u32_e32 v19, v5
	v_min_u32_e32 v19, 32, v19
	s_delay_alu instid0(VALU_DEP_1) | instskip(SKIP_1) | instid1(VALU_DEP_2)
	v_subrev_nc_u32_e32 v20, 28, v19
	v_sub_nc_u32_e32 v19, 29, v19
	v_lshlrev_b64 v[64:65], v20, v[5:6]
	s_delay_alu instid0(VALU_DEP_1)
	v_and_b32_e32 v5, 7, v64
; %bb.591:                              ;   in Loop: Header=BB214_425 Depth=1
	s_or_b32 exec_lo, exec_lo, s22
	v_lshlrev_b32_e32 v20, 24, v63
	s_delay_alu instid0(VALU_DEP_2) | instskip(SKIP_1) | instid1(VALU_DEP_3)
	v_lshlrev_b32_e32 v5, 20, v5
	v_lshl_add_u32 v19, v19, 23, 0x3c000000
	v_and_b32_e32 v20, 0x80000000, v20
	s_delay_alu instid0(VALU_DEP_1)
	v_or3_b32 v20, v5, v20, v19
	v_mov_b32_e32 v19, v6
.LBB214_592:                            ;   in Loop: Header=BB214_425 Depth=1
	s_or_b32 exec_lo, exec_lo, s8
.LBB214_593:                            ;   in Loop: Header=BB214_425 Depth=1
	s_delay_alu instid0(SALU_CYCLE_1)
	s_or_b32 exec_lo, exec_lo, s21
.LBB214_594:                            ;   in Loop: Header=BB214_425 Depth=1
	s_delay_alu instid0(SALU_CYCLE_1) | instskip(SKIP_4) | instid1(VALU_DEP_4)
	s_or_b32 exec_lo, exec_lo, s20
	v_or_b32_e32 v5, v16, v14
	v_or_b32_e32 v13, v15, v13
	;; [unrolled: 1-line block ×4, first 2 shown]
	v_mul_f32_e32 v65, s19, v5
	s_delay_alu instid0(VALU_DEP_4) | instskip(NEXT) | instid1(VALU_DEP_3)
	v_mul_f32_e32 v64, s18, v13
	v_dual_mul_f32 v60, s19, v14 :: v_dual_mul_f32 v63, s18, v15
	s_and_saveexec_b32 s8, vcc_lo
; %bb.595:                              ;   in Loop: Header=BB214_425 Depth=1
	v_cmp_gt_i32_e64 s0, s33, v43
	s_delay_alu instid0(VALU_DEP_1) | instskip(SKIP_1) | instid1(VALU_DEP_1)
	v_cndmask_b32_e64 v64, 0, v64, s0
	v_cmp_gt_i32_e64 s0, s33, v46
	v_cndmask_b32_e64 v65, 0, v65, s0
	v_cmp_gt_i32_e64 s0, s33, v45
	s_delay_alu instid0(VALU_DEP_1) | instskip(SKIP_1) | instid1(VALU_DEP_1)
	v_cndmask_b32_e64 v63, 0, v63, s0
	v_cmp_gt_i32_e64 s0, s33, v44
	v_cndmask_b32_e64 v60, 0, v60, s0
; %bb.596:                              ;   in Loop: Header=BB214_425 Depth=1
	s_or_b32 exec_lo, exec_lo, s8
	global_load_b32 v66, v[11:12], off offset:640
	v_mov_b32_e32 v15, 0
	v_mov_b32_e32 v16, 0
	s_mov_b32 s8, exec_lo
	s_waitcnt vmcnt(0)
	v_and_b32_e32 v5, 0xff, v66
	s_delay_alu instid0(VALU_DEP_2) | instskip(NEXT) | instid1(VALU_DEP_2)
	v_dual_mov_b32 v13, v15 :: v_dual_mov_b32 v14, v16
	v_cmpx_ne_u16_e32 0, v5
	s_cbranch_execz .LBB214_604
; %bb.597:                              ;   in Loop: Header=BB214_425 Depth=1
	v_bfrev_b32_e32 v13, 1
	v_mov_b32_e32 v14, 0
	s_mov_b32 s20, exec_lo
	v_cmpx_ne_u16_e32 0x80, v5
	s_cbranch_execz .LBB214_603
; %bb.598:                              ;   in Loop: Header=BB214_425 Depth=1
	v_mov_b32_e32 v13, 0x7f800001
	v_dual_mov_b32 v14, 0 :: v_dual_and_b32 v17, 0x7f, v66
	s_mov_b32 s21, exec_lo
	s_delay_alu instid0(VALU_DEP_1)
	v_cmpx_ne_u32_e32 0x7f, v17
	s_cbranch_execz .LBB214_602
; %bb.599:                              ;   in Loop: Header=BB214_425 Depth=1
	v_and_b32_e32 v5, 7, v66
	v_lshrrev_b32_e32 v13, 3, v17
	s_mov_b32 s22, exec_lo
	v_cmpx_gt_u32_e32 8, v17
; %bb.600:                              ;   in Loop: Header=BB214_425 Depth=1
	s_delay_alu instid0(VALU_DEP_3) | instskip(NEXT) | instid1(VALU_DEP_1)
	v_clz_i32_u32_e32 v13, v5
	v_min_u32_e32 v13, 32, v13
	s_delay_alu instid0(VALU_DEP_1) | instskip(SKIP_1) | instid1(VALU_DEP_2)
	v_subrev_nc_u32_e32 v14, 28, v13
	v_sub_nc_u32_e32 v13, 29, v13
	v_lshlrev_b64 v[17:18], v14, v[5:6]
	s_delay_alu instid0(VALU_DEP_1)
	v_and_b32_e32 v5, 7, v17
; %bb.601:                              ;   in Loop: Header=BB214_425 Depth=1
	s_or_b32 exec_lo, exec_lo, s22
	v_lshlrev_b32_e32 v14, 24, v66
	s_delay_alu instid0(VALU_DEP_2) | instskip(SKIP_1) | instid1(VALU_DEP_3)
	v_lshlrev_b32_e32 v5, 20, v5
	v_lshl_add_u32 v13, v13, 23, 0x3c000000
	v_and_b32_e32 v14, 0x80000000, v14
	s_delay_alu instid0(VALU_DEP_1) | instskip(NEXT) | instid1(VALU_DEP_1)
	v_or3_b32 v5, v5, v14, v13
	v_dual_mov_b32 v14, v6 :: v_dual_mov_b32 v13, v5
.LBB214_602:                            ;   in Loop: Header=BB214_425 Depth=1
	s_or_b32 exec_lo, exec_lo, s21
.LBB214_603:                            ;   in Loop: Header=BB214_425 Depth=1
	s_delay_alu instid0(SALU_CYCLE_1)
	s_or_b32 exec_lo, exec_lo, s20
.LBB214_604:                            ;   in Loop: Header=BB214_425 Depth=1
	s_delay_alu instid0(SALU_CYCLE_1) | instskip(SKIP_2) | instid1(VALU_DEP_1)
	s_or_b32 exec_lo, exec_lo, s8
	v_lshrrev_b16 v5, 8, v66
	s_mov_b32 s20, exec_lo
	v_cmpx_ne_u16_e32 0, v5
	s_cbranch_execz .LBB214_612
; %bb.605:                              ;   in Loop: Header=BB214_425 Depth=1
	v_dual_mov_b32 v16, s5 :: v_dual_mov_b32 v15, s4
	s_mov_b32 s21, exec_lo
	v_cmpx_ne_u16_e32 0x80, v5
	s_cbranch_execz .LBB214_611
; %bb.606:                              ;   in Loop: Header=BB214_425 Depth=1
	s_mov_b32 s8, s4
	v_dual_mov_b32 v16, s9 :: v_dual_and_b32 v5, 0xffff, v5
	v_mov_b32_e32 v15, s8
	s_mov_b32 s8, exec_lo
	s_delay_alu instid0(VALU_DEP_2) | instskip(NEXT) | instid1(VALU_DEP_1)
	v_and_b32_e32 v17, 0x7f, v5
	v_cmpx_ne_u32_e32 0x7f, v17
	s_cbranch_execz .LBB214_610
; %bb.607:                              ;   in Loop: Header=BB214_425 Depth=1
	v_and_b32_e32 v5, 7, v5
	v_lshrrev_b32_e32 v15, 3, v17
	s_mov_b32 s22, exec_lo
	v_cmpx_gt_u32_e32 8, v17
; %bb.608:                              ;   in Loop: Header=BB214_425 Depth=1
	s_delay_alu instid0(VALU_DEP_3) | instskip(NEXT) | instid1(VALU_DEP_1)
	v_clz_i32_u32_e32 v15, v5
	v_min_u32_e32 v15, 32, v15
	s_delay_alu instid0(VALU_DEP_1) | instskip(SKIP_1) | instid1(VALU_DEP_2)
	v_subrev_nc_u32_e32 v16, 28, v15
	v_sub_nc_u32_e32 v15, 29, v15
	v_lshlrev_b64 v[16:17], v16, v[5:6]
	s_delay_alu instid0(VALU_DEP_1)
	v_and_b32_e32 v5, 7, v16
; %bb.609:                              ;   in Loop: Header=BB214_425 Depth=1
	s_or_b32 exec_lo, exec_lo, s22
	v_lshlrev_b32_e32 v16, 16, v66
	s_delay_alu instid0(VALU_DEP_2) | instskip(SKIP_1) | instid1(VALU_DEP_3)
	v_lshlrev_b32_e32 v5, 20, v5
	v_lshl_add_u32 v15, v15, 23, 0x3c000000
	v_and_b32_e32 v16, 0x80000000, v16
	s_delay_alu instid0(VALU_DEP_1)
	v_or3_b32 v16, v5, v16, v15
	v_mov_b32_e32 v15, v6
.LBB214_610:                            ;   in Loop: Header=BB214_425 Depth=1
	s_or_b32 exec_lo, exec_lo, s8
.LBB214_611:                            ;   in Loop: Header=BB214_425 Depth=1
	s_delay_alu instid0(SALU_CYCLE_1)
	s_or_b32 exec_lo, exec_lo, s21
.LBB214_612:                            ;   in Loop: Header=BB214_425 Depth=1
	s_delay_alu instid0(SALU_CYCLE_1) | instskip(SKIP_4) | instid1(VALU_DEP_2)
	s_or_b32 exec_lo, exec_lo, s20
	v_mov_b32_e32 v19, 0
	v_lshrrev_b32_e32 v67, 16, v66
	v_mov_b32_e32 v20, 0
	s_mov_b32 s8, exec_lo
	v_and_b32_e32 v5, 0xff, v67
	s_delay_alu instid0(VALU_DEP_2) | instskip(NEXT) | instid1(VALU_DEP_2)
	v_dual_mov_b32 v17, v19 :: v_dual_mov_b32 v18, v20
	v_cmpx_ne_u16_e32 0, v5
	s_cbranch_execz .LBB214_620
; %bb.613:                              ;   in Loop: Header=BB214_425 Depth=1
	v_bfrev_b32_e32 v17, 1
	v_mov_b32_e32 v18, 0
	s_mov_b32 s20, exec_lo
	v_cmpx_ne_u16_e32 0x80, v5
	s_cbranch_execz .LBB214_619
; %bb.614:                              ;   in Loop: Header=BB214_425 Depth=1
	v_mov_b32_e32 v17, 0x7f800001
	v_bfe_u32 v68, v66, 16, 7
	v_mov_b32_e32 v18, 0
	s_mov_b32 s21, exec_lo
	s_delay_alu instid0(VALU_DEP_2)
	v_cmpx_ne_u32_e32 0x7f, v68
	s_cbranch_execz .LBB214_618
; %bb.615:                              ;   in Loop: Header=BB214_425 Depth=1
	v_and_b32_e32 v5, 7, v67
	v_lshrrev_b32_e32 v17, 3, v68
	s_mov_b32 s22, exec_lo
	v_cmpx_gt_u32_e32 8, v68
; %bb.616:                              ;   in Loop: Header=BB214_425 Depth=1
	s_delay_alu instid0(VALU_DEP_3) | instskip(NEXT) | instid1(VALU_DEP_1)
	v_clz_i32_u32_e32 v17, v5
	v_min_u32_e32 v17, 32, v17
	s_delay_alu instid0(VALU_DEP_1) | instskip(SKIP_1) | instid1(VALU_DEP_2)
	v_subrev_nc_u32_e32 v18, 28, v17
	v_sub_nc_u32_e32 v17, 29, v17
	v_lshlrev_b64 v[68:69], v18, v[5:6]
	s_delay_alu instid0(VALU_DEP_1)
	v_and_b32_e32 v5, 7, v68
; %bb.617:                              ;   in Loop: Header=BB214_425 Depth=1
	s_or_b32 exec_lo, exec_lo, s22
	v_lshlrev_b32_e32 v18, 24, v67
	s_delay_alu instid0(VALU_DEP_2) | instskip(SKIP_1) | instid1(VALU_DEP_3)
	v_lshlrev_b32_e32 v5, 20, v5
	v_lshl_add_u32 v17, v17, 23, 0x3c000000
	v_and_b32_e32 v18, 0x80000000, v18
	s_delay_alu instid0(VALU_DEP_1) | instskip(NEXT) | instid1(VALU_DEP_1)
	v_or3_b32 v5, v5, v18, v17
	v_dual_mov_b32 v18, v6 :: v_dual_mov_b32 v17, v5
.LBB214_618:                            ;   in Loop: Header=BB214_425 Depth=1
	s_or_b32 exec_lo, exec_lo, s21
.LBB214_619:                            ;   in Loop: Header=BB214_425 Depth=1
	s_delay_alu instid0(SALU_CYCLE_1)
	s_or_b32 exec_lo, exec_lo, s20
.LBB214_620:                            ;   in Loop: Header=BB214_425 Depth=1
	s_delay_alu instid0(SALU_CYCLE_1) | instskip(NEXT) | instid1(SALU_CYCLE_1)
	s_or_b32 exec_lo, exec_lo, s8
	s_mov_b32 s20, exec_lo
	v_cmpx_lt_u32_e32 0xffffff, v66
	s_cbranch_execz .LBB214_628
; %bb.621:                              ;   in Loop: Header=BB214_425 Depth=1
	v_lshrrev_b32_e32 v67, 24, v66
	v_dual_mov_b32 v20, s5 :: v_dual_mov_b32 v19, s4
	s_mov_b32 s21, exec_lo
	s_delay_alu instid0(VALU_DEP_2)
	v_cmpx_ne_u32_e32 0x80, v67
	s_cbranch_execz .LBB214_627
; %bb.622:                              ;   in Loop: Header=BB214_425 Depth=1
	s_mov_b32 s8, s4
	v_bfe_u32 v66, v66, 24, 7
	v_dual_mov_b32 v20, s9 :: v_dual_mov_b32 v19, s8
	s_mov_b32 s8, exec_lo
	s_delay_alu instid0(VALU_DEP_2)
	v_cmpx_ne_u32_e32 0x7f, v66
	s_cbranch_execz .LBB214_626
; %bb.623:                              ;   in Loop: Header=BB214_425 Depth=1
	v_and_b32_e32 v5, 7, v67
	v_lshrrev_b32_e32 v19, 3, v66
	s_mov_b32 s22, exec_lo
	v_cmpx_gt_u32_e32 8, v66
; %bb.624:                              ;   in Loop: Header=BB214_425 Depth=1
	s_delay_alu instid0(VALU_DEP_3) | instskip(NEXT) | instid1(VALU_DEP_1)
	v_clz_i32_u32_e32 v19, v5
	v_min_u32_e32 v19, 32, v19
	s_delay_alu instid0(VALU_DEP_1) | instskip(SKIP_1) | instid1(VALU_DEP_2)
	v_subrev_nc_u32_e32 v20, 28, v19
	v_sub_nc_u32_e32 v19, 29, v19
	v_lshlrev_b64 v[68:69], v20, v[5:6]
	s_delay_alu instid0(VALU_DEP_1)
	v_and_b32_e32 v5, 7, v68
; %bb.625:                              ;   in Loop: Header=BB214_425 Depth=1
	s_or_b32 exec_lo, exec_lo, s22
	v_lshlrev_b32_e32 v20, 24, v67
	s_delay_alu instid0(VALU_DEP_2) | instskip(SKIP_1) | instid1(VALU_DEP_3)
	v_lshlrev_b32_e32 v5, 20, v5
	v_lshl_add_u32 v19, v19, 23, 0x3c000000
	v_and_b32_e32 v20, 0x80000000, v20
	s_delay_alu instid0(VALU_DEP_1)
	v_or3_b32 v20, v5, v20, v19
	v_mov_b32_e32 v19, v6
.LBB214_626:                            ;   in Loop: Header=BB214_425 Depth=1
	s_or_b32 exec_lo, exec_lo, s8
.LBB214_627:                            ;   in Loop: Header=BB214_425 Depth=1
	s_delay_alu instid0(SALU_CYCLE_1)
	s_or_b32 exec_lo, exec_lo, s21
.LBB214_628:                            ;   in Loop: Header=BB214_425 Depth=1
	s_delay_alu instid0(SALU_CYCLE_1) | instskip(SKIP_4) | instid1(VALU_DEP_4)
	s_or_b32 exec_lo, exec_lo, s20
	v_or_b32_e32 v5, v16, v14
	v_or_b32_e32 v13, v15, v13
	;; [unrolled: 1-line block ×4, first 2 shown]
	v_mul_f32_e32 v69, s19, v5
	s_delay_alu instid0(VALU_DEP_4) | instskip(NEXT) | instid1(VALU_DEP_3)
	v_mul_f32_e32 v68, s18, v13
	v_dual_mul_f32 v66, s19, v14 :: v_dual_mul_f32 v67, s18, v15
	s_and_saveexec_b32 s8, vcc_lo
; %bb.629:                              ;   in Loop: Header=BB214_425 Depth=1
	v_cmp_gt_i32_e64 s0, s33, v43
	s_delay_alu instid0(VALU_DEP_1) | instskip(SKIP_1) | instid1(VALU_DEP_1)
	v_cndmask_b32_e64 v68, 0, v68, s0
	v_cmp_gt_i32_e64 s0, s33, v46
	v_cndmask_b32_e64 v69, 0, v69, s0
	v_cmp_gt_i32_e64 s0, s33, v45
	s_delay_alu instid0(VALU_DEP_1) | instskip(SKIP_1) | instid1(VALU_DEP_1)
	v_cndmask_b32_e64 v67, 0, v67, s0
	v_cmp_gt_i32_e64 s0, s33, v44
	v_cndmask_b32_e64 v66, 0, v66, s0
; %bb.630:                              ;   in Loop: Header=BB214_425 Depth=1
	s_or_b32 exec_lo, exec_lo, s8
	global_load_b32 v70, v[11:12], off offset:768
	v_mov_b32_e32 v15, 0
	v_mov_b32_e32 v16, 0
	s_mov_b32 s8, exec_lo
	s_waitcnt vmcnt(0)
	v_and_b32_e32 v5, 0xff, v70
	s_delay_alu instid0(VALU_DEP_2) | instskip(NEXT) | instid1(VALU_DEP_2)
	v_dual_mov_b32 v13, v15 :: v_dual_mov_b32 v14, v16
	v_cmpx_ne_u16_e32 0, v5
	s_cbranch_execz .LBB214_638
; %bb.631:                              ;   in Loop: Header=BB214_425 Depth=1
	v_bfrev_b32_e32 v13, 1
	v_mov_b32_e32 v14, 0
	s_mov_b32 s20, exec_lo
	v_cmpx_ne_u16_e32 0x80, v5
	s_cbranch_execz .LBB214_637
; %bb.632:                              ;   in Loop: Header=BB214_425 Depth=1
	v_mov_b32_e32 v13, 0x7f800001
	v_dual_mov_b32 v14, 0 :: v_dual_and_b32 v17, 0x7f, v70
	s_mov_b32 s21, exec_lo
	s_delay_alu instid0(VALU_DEP_1)
	v_cmpx_ne_u32_e32 0x7f, v17
	s_cbranch_execz .LBB214_636
; %bb.633:                              ;   in Loop: Header=BB214_425 Depth=1
	v_and_b32_e32 v5, 7, v70
	v_lshrrev_b32_e32 v13, 3, v17
	s_mov_b32 s22, exec_lo
	v_cmpx_gt_u32_e32 8, v17
; %bb.634:                              ;   in Loop: Header=BB214_425 Depth=1
	s_delay_alu instid0(VALU_DEP_3) | instskip(NEXT) | instid1(VALU_DEP_1)
	v_clz_i32_u32_e32 v13, v5
	v_min_u32_e32 v13, 32, v13
	s_delay_alu instid0(VALU_DEP_1) | instskip(SKIP_1) | instid1(VALU_DEP_2)
	v_subrev_nc_u32_e32 v14, 28, v13
	v_sub_nc_u32_e32 v13, 29, v13
	v_lshlrev_b64 v[17:18], v14, v[5:6]
	s_delay_alu instid0(VALU_DEP_1)
	v_and_b32_e32 v5, 7, v17
; %bb.635:                              ;   in Loop: Header=BB214_425 Depth=1
	s_or_b32 exec_lo, exec_lo, s22
	v_lshlrev_b32_e32 v14, 24, v70
	s_delay_alu instid0(VALU_DEP_2) | instskip(SKIP_1) | instid1(VALU_DEP_3)
	v_lshlrev_b32_e32 v5, 20, v5
	v_lshl_add_u32 v13, v13, 23, 0x3c000000
	v_and_b32_e32 v14, 0x80000000, v14
	s_delay_alu instid0(VALU_DEP_1) | instskip(NEXT) | instid1(VALU_DEP_1)
	v_or3_b32 v5, v5, v14, v13
	v_dual_mov_b32 v14, v6 :: v_dual_mov_b32 v13, v5
.LBB214_636:                            ;   in Loop: Header=BB214_425 Depth=1
	s_or_b32 exec_lo, exec_lo, s21
.LBB214_637:                            ;   in Loop: Header=BB214_425 Depth=1
	s_delay_alu instid0(SALU_CYCLE_1)
	s_or_b32 exec_lo, exec_lo, s20
.LBB214_638:                            ;   in Loop: Header=BB214_425 Depth=1
	s_delay_alu instid0(SALU_CYCLE_1) | instskip(SKIP_2) | instid1(VALU_DEP_1)
	s_or_b32 exec_lo, exec_lo, s8
	v_lshrrev_b16 v5, 8, v70
	s_mov_b32 s20, exec_lo
	v_cmpx_ne_u16_e32 0, v5
	s_cbranch_execz .LBB214_646
; %bb.639:                              ;   in Loop: Header=BB214_425 Depth=1
	v_dual_mov_b32 v16, s5 :: v_dual_mov_b32 v15, s4
	s_mov_b32 s21, exec_lo
	v_cmpx_ne_u16_e32 0x80, v5
	s_cbranch_execz .LBB214_645
; %bb.640:                              ;   in Loop: Header=BB214_425 Depth=1
	s_mov_b32 s8, s4
	v_dual_mov_b32 v16, s9 :: v_dual_and_b32 v5, 0xffff, v5
	v_mov_b32_e32 v15, s8
	s_mov_b32 s8, exec_lo
	s_delay_alu instid0(VALU_DEP_2) | instskip(NEXT) | instid1(VALU_DEP_1)
	v_and_b32_e32 v17, 0x7f, v5
	v_cmpx_ne_u32_e32 0x7f, v17
	s_cbranch_execz .LBB214_644
; %bb.641:                              ;   in Loop: Header=BB214_425 Depth=1
	v_and_b32_e32 v5, 7, v5
	v_lshrrev_b32_e32 v15, 3, v17
	s_mov_b32 s22, exec_lo
	v_cmpx_gt_u32_e32 8, v17
; %bb.642:                              ;   in Loop: Header=BB214_425 Depth=1
	s_delay_alu instid0(VALU_DEP_3) | instskip(NEXT) | instid1(VALU_DEP_1)
	v_clz_i32_u32_e32 v15, v5
	v_min_u32_e32 v15, 32, v15
	s_delay_alu instid0(VALU_DEP_1) | instskip(SKIP_1) | instid1(VALU_DEP_2)
	v_subrev_nc_u32_e32 v16, 28, v15
	v_sub_nc_u32_e32 v15, 29, v15
	v_lshlrev_b64 v[16:17], v16, v[5:6]
	s_delay_alu instid0(VALU_DEP_1)
	v_and_b32_e32 v5, 7, v16
; %bb.643:                              ;   in Loop: Header=BB214_425 Depth=1
	s_or_b32 exec_lo, exec_lo, s22
	v_lshlrev_b32_e32 v16, 16, v70
	s_delay_alu instid0(VALU_DEP_2) | instskip(SKIP_1) | instid1(VALU_DEP_3)
	v_lshlrev_b32_e32 v5, 20, v5
	v_lshl_add_u32 v15, v15, 23, 0x3c000000
	v_and_b32_e32 v16, 0x80000000, v16
	s_delay_alu instid0(VALU_DEP_1)
	v_or3_b32 v16, v5, v16, v15
	v_mov_b32_e32 v15, v6
.LBB214_644:                            ;   in Loop: Header=BB214_425 Depth=1
	s_or_b32 exec_lo, exec_lo, s8
.LBB214_645:                            ;   in Loop: Header=BB214_425 Depth=1
	s_delay_alu instid0(SALU_CYCLE_1)
	s_or_b32 exec_lo, exec_lo, s21
.LBB214_646:                            ;   in Loop: Header=BB214_425 Depth=1
	s_delay_alu instid0(SALU_CYCLE_1) | instskip(SKIP_4) | instid1(VALU_DEP_2)
	s_or_b32 exec_lo, exec_lo, s20
	v_mov_b32_e32 v19, 0
	v_lshrrev_b32_e32 v71, 16, v70
	v_mov_b32_e32 v20, 0
	s_mov_b32 s8, exec_lo
	v_and_b32_e32 v5, 0xff, v71
	s_delay_alu instid0(VALU_DEP_2) | instskip(NEXT) | instid1(VALU_DEP_2)
	v_dual_mov_b32 v17, v19 :: v_dual_mov_b32 v18, v20
	v_cmpx_ne_u16_e32 0, v5
	s_cbranch_execz .LBB214_654
; %bb.647:                              ;   in Loop: Header=BB214_425 Depth=1
	v_bfrev_b32_e32 v17, 1
	v_mov_b32_e32 v18, 0
	s_mov_b32 s20, exec_lo
	v_cmpx_ne_u16_e32 0x80, v5
	s_cbranch_execz .LBB214_653
; %bb.648:                              ;   in Loop: Header=BB214_425 Depth=1
	v_mov_b32_e32 v17, 0x7f800001
	v_bfe_u32 v72, v70, 16, 7
	v_mov_b32_e32 v18, 0
	s_mov_b32 s21, exec_lo
	s_delay_alu instid0(VALU_DEP_2)
	v_cmpx_ne_u32_e32 0x7f, v72
	s_cbranch_execz .LBB214_652
; %bb.649:                              ;   in Loop: Header=BB214_425 Depth=1
	v_and_b32_e32 v5, 7, v71
	v_lshrrev_b32_e32 v17, 3, v72
	s_mov_b32 s22, exec_lo
	v_cmpx_gt_u32_e32 8, v72
; %bb.650:                              ;   in Loop: Header=BB214_425 Depth=1
	s_delay_alu instid0(VALU_DEP_3) | instskip(NEXT) | instid1(VALU_DEP_1)
	v_clz_i32_u32_e32 v17, v5
	v_min_u32_e32 v17, 32, v17
	s_delay_alu instid0(VALU_DEP_1) | instskip(SKIP_1) | instid1(VALU_DEP_2)
	v_subrev_nc_u32_e32 v18, 28, v17
	v_sub_nc_u32_e32 v17, 29, v17
	v_lshlrev_b64 v[72:73], v18, v[5:6]
	s_delay_alu instid0(VALU_DEP_1)
	v_and_b32_e32 v5, 7, v72
; %bb.651:                              ;   in Loop: Header=BB214_425 Depth=1
	s_or_b32 exec_lo, exec_lo, s22
	v_lshlrev_b32_e32 v18, 24, v71
	s_delay_alu instid0(VALU_DEP_2) | instskip(SKIP_1) | instid1(VALU_DEP_3)
	v_lshlrev_b32_e32 v5, 20, v5
	v_lshl_add_u32 v17, v17, 23, 0x3c000000
	v_and_b32_e32 v18, 0x80000000, v18
	s_delay_alu instid0(VALU_DEP_1) | instskip(NEXT) | instid1(VALU_DEP_1)
	v_or3_b32 v5, v5, v18, v17
	v_dual_mov_b32 v18, v6 :: v_dual_mov_b32 v17, v5
.LBB214_652:                            ;   in Loop: Header=BB214_425 Depth=1
	s_or_b32 exec_lo, exec_lo, s21
.LBB214_653:                            ;   in Loop: Header=BB214_425 Depth=1
	s_delay_alu instid0(SALU_CYCLE_1)
	s_or_b32 exec_lo, exec_lo, s20
.LBB214_654:                            ;   in Loop: Header=BB214_425 Depth=1
	s_delay_alu instid0(SALU_CYCLE_1) | instskip(NEXT) | instid1(SALU_CYCLE_1)
	s_or_b32 exec_lo, exec_lo, s8
	s_mov_b32 s20, exec_lo
	v_cmpx_lt_u32_e32 0xffffff, v70
	s_cbranch_execz .LBB214_662
; %bb.655:                              ;   in Loop: Header=BB214_425 Depth=1
	v_lshrrev_b32_e32 v71, 24, v70
	v_dual_mov_b32 v20, s5 :: v_dual_mov_b32 v19, s4
	s_mov_b32 s21, exec_lo
	s_delay_alu instid0(VALU_DEP_2)
	v_cmpx_ne_u32_e32 0x80, v71
	s_cbranch_execz .LBB214_661
; %bb.656:                              ;   in Loop: Header=BB214_425 Depth=1
	s_mov_b32 s8, s4
	v_bfe_u32 v70, v70, 24, 7
	v_dual_mov_b32 v20, s9 :: v_dual_mov_b32 v19, s8
	s_mov_b32 s8, exec_lo
	s_delay_alu instid0(VALU_DEP_2)
	v_cmpx_ne_u32_e32 0x7f, v70
	s_cbranch_execz .LBB214_660
; %bb.657:                              ;   in Loop: Header=BB214_425 Depth=1
	v_and_b32_e32 v5, 7, v71
	v_lshrrev_b32_e32 v19, 3, v70
	s_mov_b32 s22, exec_lo
	v_cmpx_gt_u32_e32 8, v70
; %bb.658:                              ;   in Loop: Header=BB214_425 Depth=1
	s_delay_alu instid0(VALU_DEP_3) | instskip(NEXT) | instid1(VALU_DEP_1)
	v_clz_i32_u32_e32 v19, v5
	v_min_u32_e32 v19, 32, v19
	s_delay_alu instid0(VALU_DEP_1) | instskip(SKIP_1) | instid1(VALU_DEP_2)
	v_subrev_nc_u32_e32 v20, 28, v19
	v_sub_nc_u32_e32 v19, 29, v19
	v_lshlrev_b64 v[72:73], v20, v[5:6]
	s_delay_alu instid0(VALU_DEP_1)
	v_and_b32_e32 v5, 7, v72
; %bb.659:                              ;   in Loop: Header=BB214_425 Depth=1
	s_or_b32 exec_lo, exec_lo, s22
	v_lshlrev_b32_e32 v20, 24, v71
	s_delay_alu instid0(VALU_DEP_2) | instskip(SKIP_1) | instid1(VALU_DEP_3)
	v_lshlrev_b32_e32 v5, 20, v5
	v_lshl_add_u32 v19, v19, 23, 0x3c000000
	v_and_b32_e32 v20, 0x80000000, v20
	s_delay_alu instid0(VALU_DEP_1)
	v_or3_b32 v20, v5, v20, v19
	v_mov_b32_e32 v19, v6
.LBB214_660:                            ;   in Loop: Header=BB214_425 Depth=1
	s_or_b32 exec_lo, exec_lo, s8
.LBB214_661:                            ;   in Loop: Header=BB214_425 Depth=1
	s_delay_alu instid0(SALU_CYCLE_1)
	s_or_b32 exec_lo, exec_lo, s21
.LBB214_662:                            ;   in Loop: Header=BB214_425 Depth=1
	s_delay_alu instid0(SALU_CYCLE_1) | instskip(SKIP_4) | instid1(VALU_DEP_4)
	s_or_b32 exec_lo, exec_lo, s20
	v_or_b32_e32 v5, v16, v14
	v_or_b32_e32 v13, v15, v13
	;; [unrolled: 1-line block ×4, first 2 shown]
	v_mul_f32_e32 v73, s19, v5
	s_delay_alu instid0(VALU_DEP_4) | instskip(NEXT) | instid1(VALU_DEP_3)
	v_mul_f32_e32 v72, s18, v13
	v_dual_mul_f32 v70, s19, v14 :: v_dual_mul_f32 v71, s18, v15
	s_and_saveexec_b32 s8, vcc_lo
; %bb.663:                              ;   in Loop: Header=BB214_425 Depth=1
	v_cmp_gt_i32_e64 s0, s33, v43
	s_delay_alu instid0(VALU_DEP_1) | instskip(SKIP_1) | instid1(VALU_DEP_1)
	v_cndmask_b32_e64 v72, 0, v72, s0
	v_cmp_gt_i32_e64 s0, s33, v46
	v_cndmask_b32_e64 v73, 0, v73, s0
	v_cmp_gt_i32_e64 s0, s33, v45
	s_delay_alu instid0(VALU_DEP_1) | instskip(SKIP_1) | instid1(VALU_DEP_1)
	v_cndmask_b32_e64 v71, 0, v71, s0
	v_cmp_gt_i32_e64 s0, s33, v44
	v_cndmask_b32_e64 v70, 0, v70, s0
; %bb.664:                              ;   in Loop: Header=BB214_425 Depth=1
	s_or_b32 exec_lo, exec_lo, s8
	global_load_b32 v74, v[11:12], off offset:896
	v_mov_b32_e32 v15, 0
	v_mov_b32_e32 v16, 0
	s_mov_b32 s8, exec_lo
	s_waitcnt vmcnt(0)
	v_and_b32_e32 v5, 0xff, v74
	s_delay_alu instid0(VALU_DEP_2) | instskip(NEXT) | instid1(VALU_DEP_2)
	v_dual_mov_b32 v13, v15 :: v_dual_mov_b32 v14, v16
	v_cmpx_ne_u16_e32 0, v5
	s_cbranch_execz .LBB214_672
; %bb.665:                              ;   in Loop: Header=BB214_425 Depth=1
	v_bfrev_b32_e32 v13, 1
	v_mov_b32_e32 v14, 0
	s_mov_b32 s20, exec_lo
	v_cmpx_ne_u16_e32 0x80, v5
	s_cbranch_execz .LBB214_671
; %bb.666:                              ;   in Loop: Header=BB214_425 Depth=1
	v_mov_b32_e32 v13, 0x7f800001
	v_dual_mov_b32 v14, 0 :: v_dual_and_b32 v17, 0x7f, v74
	s_mov_b32 s21, exec_lo
	s_delay_alu instid0(VALU_DEP_1)
	v_cmpx_ne_u32_e32 0x7f, v17
	s_cbranch_execz .LBB214_670
; %bb.667:                              ;   in Loop: Header=BB214_425 Depth=1
	v_and_b32_e32 v5, 7, v74
	v_lshrrev_b32_e32 v13, 3, v17
	s_mov_b32 s22, exec_lo
	v_cmpx_gt_u32_e32 8, v17
; %bb.668:                              ;   in Loop: Header=BB214_425 Depth=1
	s_delay_alu instid0(VALU_DEP_3) | instskip(NEXT) | instid1(VALU_DEP_1)
	v_clz_i32_u32_e32 v13, v5
	v_min_u32_e32 v13, 32, v13
	s_delay_alu instid0(VALU_DEP_1) | instskip(SKIP_1) | instid1(VALU_DEP_2)
	v_subrev_nc_u32_e32 v14, 28, v13
	v_sub_nc_u32_e32 v13, 29, v13
	v_lshlrev_b64 v[17:18], v14, v[5:6]
	s_delay_alu instid0(VALU_DEP_1)
	v_and_b32_e32 v5, 7, v17
; %bb.669:                              ;   in Loop: Header=BB214_425 Depth=1
	s_or_b32 exec_lo, exec_lo, s22
	v_lshlrev_b32_e32 v14, 24, v74
	s_delay_alu instid0(VALU_DEP_2) | instskip(SKIP_1) | instid1(VALU_DEP_3)
	v_lshlrev_b32_e32 v5, 20, v5
	v_lshl_add_u32 v13, v13, 23, 0x3c000000
	v_and_b32_e32 v14, 0x80000000, v14
	s_delay_alu instid0(VALU_DEP_1) | instskip(NEXT) | instid1(VALU_DEP_1)
	v_or3_b32 v5, v5, v14, v13
	v_dual_mov_b32 v14, v6 :: v_dual_mov_b32 v13, v5
.LBB214_670:                            ;   in Loop: Header=BB214_425 Depth=1
	s_or_b32 exec_lo, exec_lo, s21
.LBB214_671:                            ;   in Loop: Header=BB214_425 Depth=1
	s_delay_alu instid0(SALU_CYCLE_1)
	s_or_b32 exec_lo, exec_lo, s20
.LBB214_672:                            ;   in Loop: Header=BB214_425 Depth=1
	s_delay_alu instid0(SALU_CYCLE_1) | instskip(SKIP_2) | instid1(VALU_DEP_1)
	s_or_b32 exec_lo, exec_lo, s8
	v_lshrrev_b16 v5, 8, v74
	s_mov_b32 s20, exec_lo
	v_cmpx_ne_u16_e32 0, v5
	s_cbranch_execz .LBB214_680
; %bb.673:                              ;   in Loop: Header=BB214_425 Depth=1
	v_dual_mov_b32 v16, s5 :: v_dual_mov_b32 v15, s4
	s_mov_b32 s21, exec_lo
	v_cmpx_ne_u16_e32 0x80, v5
	s_cbranch_execz .LBB214_679
; %bb.674:                              ;   in Loop: Header=BB214_425 Depth=1
	s_mov_b32 s8, s4
	v_dual_mov_b32 v16, s9 :: v_dual_and_b32 v5, 0xffff, v5
	v_mov_b32_e32 v15, s8
	s_mov_b32 s8, exec_lo
	s_delay_alu instid0(VALU_DEP_2) | instskip(NEXT) | instid1(VALU_DEP_1)
	v_and_b32_e32 v17, 0x7f, v5
	v_cmpx_ne_u32_e32 0x7f, v17
	s_cbranch_execz .LBB214_678
; %bb.675:                              ;   in Loop: Header=BB214_425 Depth=1
	v_and_b32_e32 v5, 7, v5
	v_lshrrev_b32_e32 v15, 3, v17
	s_mov_b32 s22, exec_lo
	v_cmpx_gt_u32_e32 8, v17
; %bb.676:                              ;   in Loop: Header=BB214_425 Depth=1
	s_delay_alu instid0(VALU_DEP_3) | instskip(NEXT) | instid1(VALU_DEP_1)
	v_clz_i32_u32_e32 v15, v5
	v_min_u32_e32 v15, 32, v15
	s_delay_alu instid0(VALU_DEP_1) | instskip(SKIP_1) | instid1(VALU_DEP_2)
	v_subrev_nc_u32_e32 v16, 28, v15
	v_sub_nc_u32_e32 v15, 29, v15
	v_lshlrev_b64 v[16:17], v16, v[5:6]
	s_delay_alu instid0(VALU_DEP_1)
	v_and_b32_e32 v5, 7, v16
; %bb.677:                              ;   in Loop: Header=BB214_425 Depth=1
	s_or_b32 exec_lo, exec_lo, s22
	v_lshlrev_b32_e32 v16, 16, v74
	s_delay_alu instid0(VALU_DEP_2) | instskip(SKIP_1) | instid1(VALU_DEP_3)
	v_lshlrev_b32_e32 v5, 20, v5
	v_lshl_add_u32 v15, v15, 23, 0x3c000000
	v_and_b32_e32 v16, 0x80000000, v16
	s_delay_alu instid0(VALU_DEP_1)
	v_or3_b32 v16, v5, v16, v15
	v_mov_b32_e32 v15, v6
.LBB214_678:                            ;   in Loop: Header=BB214_425 Depth=1
	s_or_b32 exec_lo, exec_lo, s8
.LBB214_679:                            ;   in Loop: Header=BB214_425 Depth=1
	s_delay_alu instid0(SALU_CYCLE_1)
	s_or_b32 exec_lo, exec_lo, s21
.LBB214_680:                            ;   in Loop: Header=BB214_425 Depth=1
	s_delay_alu instid0(SALU_CYCLE_1) | instskip(SKIP_4) | instid1(VALU_DEP_2)
	s_or_b32 exec_lo, exec_lo, s20
	v_mov_b32_e32 v19, 0
	v_lshrrev_b32_e32 v75, 16, v74
	v_mov_b32_e32 v20, 0
	s_mov_b32 s8, exec_lo
	v_and_b32_e32 v5, 0xff, v75
	s_delay_alu instid0(VALU_DEP_2) | instskip(NEXT) | instid1(VALU_DEP_2)
	v_dual_mov_b32 v17, v19 :: v_dual_mov_b32 v18, v20
	v_cmpx_ne_u16_e32 0, v5
	s_cbranch_execz .LBB214_688
; %bb.681:                              ;   in Loop: Header=BB214_425 Depth=1
	v_bfrev_b32_e32 v17, 1
	v_mov_b32_e32 v18, 0
	s_mov_b32 s20, exec_lo
	v_cmpx_ne_u16_e32 0x80, v5
	s_cbranch_execz .LBB214_687
; %bb.682:                              ;   in Loop: Header=BB214_425 Depth=1
	v_mov_b32_e32 v17, 0x7f800001
	v_bfe_u32 v76, v74, 16, 7
	v_mov_b32_e32 v18, 0
	s_mov_b32 s21, exec_lo
	s_delay_alu instid0(VALU_DEP_2)
	v_cmpx_ne_u32_e32 0x7f, v76
	s_cbranch_execz .LBB214_686
; %bb.683:                              ;   in Loop: Header=BB214_425 Depth=1
	v_and_b32_e32 v5, 7, v75
	v_lshrrev_b32_e32 v17, 3, v76
	s_mov_b32 s22, exec_lo
	v_cmpx_gt_u32_e32 8, v76
; %bb.684:                              ;   in Loop: Header=BB214_425 Depth=1
	s_delay_alu instid0(VALU_DEP_3) | instskip(NEXT) | instid1(VALU_DEP_1)
	v_clz_i32_u32_e32 v17, v5
	v_min_u32_e32 v17, 32, v17
	s_delay_alu instid0(VALU_DEP_1) | instskip(SKIP_1) | instid1(VALU_DEP_2)
	v_subrev_nc_u32_e32 v18, 28, v17
	v_sub_nc_u32_e32 v17, 29, v17
	v_lshlrev_b64 v[76:77], v18, v[5:6]
	s_delay_alu instid0(VALU_DEP_1)
	v_and_b32_e32 v5, 7, v76
; %bb.685:                              ;   in Loop: Header=BB214_425 Depth=1
	s_or_b32 exec_lo, exec_lo, s22
	v_lshlrev_b32_e32 v18, 24, v75
	s_delay_alu instid0(VALU_DEP_2) | instskip(SKIP_1) | instid1(VALU_DEP_3)
	v_lshlrev_b32_e32 v5, 20, v5
	v_lshl_add_u32 v17, v17, 23, 0x3c000000
	v_and_b32_e32 v18, 0x80000000, v18
	s_delay_alu instid0(VALU_DEP_1) | instskip(NEXT) | instid1(VALU_DEP_1)
	v_or3_b32 v5, v5, v18, v17
	v_dual_mov_b32 v18, v6 :: v_dual_mov_b32 v17, v5
.LBB214_686:                            ;   in Loop: Header=BB214_425 Depth=1
	s_or_b32 exec_lo, exec_lo, s21
.LBB214_687:                            ;   in Loop: Header=BB214_425 Depth=1
	s_delay_alu instid0(SALU_CYCLE_1)
	s_or_b32 exec_lo, exec_lo, s20
.LBB214_688:                            ;   in Loop: Header=BB214_425 Depth=1
	s_delay_alu instid0(SALU_CYCLE_1) | instskip(NEXT) | instid1(SALU_CYCLE_1)
	s_or_b32 exec_lo, exec_lo, s8
	s_mov_b32 s20, exec_lo
	v_cmpx_lt_u32_e32 0xffffff, v74
	s_cbranch_execz .LBB214_696
; %bb.689:                              ;   in Loop: Header=BB214_425 Depth=1
	v_lshrrev_b32_e32 v75, 24, v74
	v_dual_mov_b32 v20, s5 :: v_dual_mov_b32 v19, s4
	s_mov_b32 s21, exec_lo
	s_delay_alu instid0(VALU_DEP_2)
	v_cmpx_ne_u32_e32 0x80, v75
	s_cbranch_execz .LBB214_695
; %bb.690:                              ;   in Loop: Header=BB214_425 Depth=1
	s_mov_b32 s8, s4
	v_bfe_u32 v74, v74, 24, 7
	v_dual_mov_b32 v20, s9 :: v_dual_mov_b32 v19, s8
	s_mov_b32 s8, exec_lo
	s_delay_alu instid0(VALU_DEP_2)
	v_cmpx_ne_u32_e32 0x7f, v74
	s_cbranch_execz .LBB214_694
; %bb.691:                              ;   in Loop: Header=BB214_425 Depth=1
	v_and_b32_e32 v5, 7, v75
	v_lshrrev_b32_e32 v19, 3, v74
	s_mov_b32 s22, exec_lo
	v_cmpx_gt_u32_e32 8, v74
; %bb.692:                              ;   in Loop: Header=BB214_425 Depth=1
	s_delay_alu instid0(VALU_DEP_3) | instskip(NEXT) | instid1(VALU_DEP_1)
	v_clz_i32_u32_e32 v19, v5
	v_min_u32_e32 v19, 32, v19
	s_delay_alu instid0(VALU_DEP_1) | instskip(SKIP_1) | instid1(VALU_DEP_2)
	v_subrev_nc_u32_e32 v20, 28, v19
	v_sub_nc_u32_e32 v19, 29, v19
	v_lshlrev_b64 v[76:77], v20, v[5:6]
	s_delay_alu instid0(VALU_DEP_1)
	v_and_b32_e32 v5, 7, v76
; %bb.693:                              ;   in Loop: Header=BB214_425 Depth=1
	s_or_b32 exec_lo, exec_lo, s22
	v_lshlrev_b32_e32 v20, 24, v75
	s_delay_alu instid0(VALU_DEP_2) | instskip(SKIP_1) | instid1(VALU_DEP_3)
	v_lshlrev_b32_e32 v5, 20, v5
	v_lshl_add_u32 v19, v19, 23, 0x3c000000
	v_and_b32_e32 v20, 0x80000000, v20
	s_delay_alu instid0(VALU_DEP_1)
	v_or3_b32 v20, v5, v20, v19
	v_mov_b32_e32 v19, v6
.LBB214_694:                            ;   in Loop: Header=BB214_425 Depth=1
	s_or_b32 exec_lo, exec_lo, s8
.LBB214_695:                            ;   in Loop: Header=BB214_425 Depth=1
	s_delay_alu instid0(SALU_CYCLE_1)
	s_or_b32 exec_lo, exec_lo, s21
.LBB214_696:                            ;   in Loop: Header=BB214_425 Depth=1
	s_delay_alu instid0(SALU_CYCLE_1) | instskip(SKIP_4) | instid1(VALU_DEP_4)
	s_or_b32 exec_lo, exec_lo, s20
	v_or_b32_e32 v5, v16, v14
	v_or_b32_e32 v13, v15, v13
	;; [unrolled: 1-line block ×4, first 2 shown]
	v_mul_f32_e32 v77, s19, v5
	s_delay_alu instid0(VALU_DEP_4) | instskip(NEXT) | instid1(VALU_DEP_3)
	v_mul_f32_e32 v76, s18, v13
	v_dual_mul_f32 v74, s19, v14 :: v_dual_mul_f32 v75, s18, v15
	s_and_saveexec_b32 s8, vcc_lo
; %bb.697:                              ;   in Loop: Header=BB214_425 Depth=1
	v_cmp_gt_i32_e64 s0, s33, v43
	s_delay_alu instid0(VALU_DEP_1) | instskip(SKIP_1) | instid1(VALU_DEP_1)
	v_cndmask_b32_e64 v76, 0, v76, s0
	v_cmp_gt_i32_e64 s0, s33, v46
	v_cndmask_b32_e64 v77, 0, v77, s0
	v_cmp_gt_i32_e64 s0, s33, v45
	s_delay_alu instid0(VALU_DEP_1) | instskip(SKIP_1) | instid1(VALU_DEP_1)
	v_cndmask_b32_e64 v75, 0, v75, s0
	v_cmp_gt_i32_e64 s0, s33, v44
	v_cndmask_b32_e64 v74, 0, v74, s0
; %bb.698:                              ;   in Loop: Header=BB214_425 Depth=1
	s_or_b32 exec_lo, exec_lo, s8
	global_load_b32 v78, v[11:12], off offset:1024
	v_mov_b32_e32 v15, 0
	v_mov_b32_e32 v16, 0
	s_mov_b32 s8, exec_lo
	s_waitcnt vmcnt(0)
	v_and_b32_e32 v5, 0xff, v78
	s_delay_alu instid0(VALU_DEP_2) | instskip(NEXT) | instid1(VALU_DEP_2)
	v_dual_mov_b32 v13, v15 :: v_dual_mov_b32 v14, v16
	v_cmpx_ne_u16_e32 0, v5
	s_cbranch_execz .LBB214_706
; %bb.699:                              ;   in Loop: Header=BB214_425 Depth=1
	v_bfrev_b32_e32 v13, 1
	v_mov_b32_e32 v14, 0
	s_mov_b32 s20, exec_lo
	v_cmpx_ne_u16_e32 0x80, v5
	s_cbranch_execz .LBB214_705
; %bb.700:                              ;   in Loop: Header=BB214_425 Depth=1
	v_mov_b32_e32 v13, 0x7f800001
	v_dual_mov_b32 v14, 0 :: v_dual_and_b32 v17, 0x7f, v78
	s_mov_b32 s21, exec_lo
	s_delay_alu instid0(VALU_DEP_1)
	v_cmpx_ne_u32_e32 0x7f, v17
	s_cbranch_execz .LBB214_704
; %bb.701:                              ;   in Loop: Header=BB214_425 Depth=1
	v_and_b32_e32 v5, 7, v78
	v_lshrrev_b32_e32 v13, 3, v17
	s_mov_b32 s22, exec_lo
	v_cmpx_gt_u32_e32 8, v17
; %bb.702:                              ;   in Loop: Header=BB214_425 Depth=1
	s_delay_alu instid0(VALU_DEP_3) | instskip(NEXT) | instid1(VALU_DEP_1)
	v_clz_i32_u32_e32 v13, v5
	v_min_u32_e32 v13, 32, v13
	s_delay_alu instid0(VALU_DEP_1) | instskip(SKIP_1) | instid1(VALU_DEP_2)
	v_subrev_nc_u32_e32 v14, 28, v13
	v_sub_nc_u32_e32 v13, 29, v13
	v_lshlrev_b64 v[17:18], v14, v[5:6]
	s_delay_alu instid0(VALU_DEP_1)
	v_and_b32_e32 v5, 7, v17
; %bb.703:                              ;   in Loop: Header=BB214_425 Depth=1
	s_or_b32 exec_lo, exec_lo, s22
	v_lshlrev_b32_e32 v14, 24, v78
	s_delay_alu instid0(VALU_DEP_2) | instskip(SKIP_1) | instid1(VALU_DEP_3)
	v_lshlrev_b32_e32 v5, 20, v5
	v_lshl_add_u32 v13, v13, 23, 0x3c000000
	v_and_b32_e32 v14, 0x80000000, v14
	s_delay_alu instid0(VALU_DEP_1) | instskip(NEXT) | instid1(VALU_DEP_1)
	v_or3_b32 v5, v5, v14, v13
	v_dual_mov_b32 v14, v6 :: v_dual_mov_b32 v13, v5
.LBB214_704:                            ;   in Loop: Header=BB214_425 Depth=1
	s_or_b32 exec_lo, exec_lo, s21
.LBB214_705:                            ;   in Loop: Header=BB214_425 Depth=1
	s_delay_alu instid0(SALU_CYCLE_1)
	s_or_b32 exec_lo, exec_lo, s20
.LBB214_706:                            ;   in Loop: Header=BB214_425 Depth=1
	s_delay_alu instid0(SALU_CYCLE_1) | instskip(SKIP_2) | instid1(VALU_DEP_1)
	s_or_b32 exec_lo, exec_lo, s8
	v_lshrrev_b16 v5, 8, v78
	s_mov_b32 s20, exec_lo
	v_cmpx_ne_u16_e32 0, v5
	s_cbranch_execz .LBB214_714
; %bb.707:                              ;   in Loop: Header=BB214_425 Depth=1
	v_dual_mov_b32 v16, s5 :: v_dual_mov_b32 v15, s4
	s_mov_b32 s21, exec_lo
	v_cmpx_ne_u16_e32 0x80, v5
	s_cbranch_execz .LBB214_713
; %bb.708:                              ;   in Loop: Header=BB214_425 Depth=1
	s_mov_b32 s8, s4
	v_dual_mov_b32 v16, s9 :: v_dual_and_b32 v5, 0xffff, v5
	v_mov_b32_e32 v15, s8
	s_mov_b32 s8, exec_lo
	s_delay_alu instid0(VALU_DEP_2) | instskip(NEXT) | instid1(VALU_DEP_1)
	v_and_b32_e32 v17, 0x7f, v5
	v_cmpx_ne_u32_e32 0x7f, v17
	s_cbranch_execz .LBB214_712
; %bb.709:                              ;   in Loop: Header=BB214_425 Depth=1
	v_and_b32_e32 v5, 7, v5
	v_lshrrev_b32_e32 v15, 3, v17
	s_mov_b32 s22, exec_lo
	v_cmpx_gt_u32_e32 8, v17
; %bb.710:                              ;   in Loop: Header=BB214_425 Depth=1
	s_delay_alu instid0(VALU_DEP_3) | instskip(NEXT) | instid1(VALU_DEP_1)
	v_clz_i32_u32_e32 v15, v5
	v_min_u32_e32 v15, 32, v15
	s_delay_alu instid0(VALU_DEP_1) | instskip(SKIP_1) | instid1(VALU_DEP_2)
	v_subrev_nc_u32_e32 v16, 28, v15
	v_sub_nc_u32_e32 v15, 29, v15
	v_lshlrev_b64 v[16:17], v16, v[5:6]
	s_delay_alu instid0(VALU_DEP_1)
	v_and_b32_e32 v5, 7, v16
; %bb.711:                              ;   in Loop: Header=BB214_425 Depth=1
	s_or_b32 exec_lo, exec_lo, s22
	v_lshlrev_b32_e32 v16, 16, v78
	s_delay_alu instid0(VALU_DEP_2) | instskip(SKIP_1) | instid1(VALU_DEP_3)
	v_lshlrev_b32_e32 v5, 20, v5
	v_lshl_add_u32 v15, v15, 23, 0x3c000000
	v_and_b32_e32 v16, 0x80000000, v16
	s_delay_alu instid0(VALU_DEP_1)
	v_or3_b32 v16, v5, v16, v15
	v_mov_b32_e32 v15, v6
.LBB214_712:                            ;   in Loop: Header=BB214_425 Depth=1
	s_or_b32 exec_lo, exec_lo, s8
.LBB214_713:                            ;   in Loop: Header=BB214_425 Depth=1
	s_delay_alu instid0(SALU_CYCLE_1)
	s_or_b32 exec_lo, exec_lo, s21
.LBB214_714:                            ;   in Loop: Header=BB214_425 Depth=1
	s_delay_alu instid0(SALU_CYCLE_1) | instskip(SKIP_4) | instid1(VALU_DEP_2)
	s_or_b32 exec_lo, exec_lo, s20
	v_mov_b32_e32 v19, 0
	v_lshrrev_b32_e32 v79, 16, v78
	v_mov_b32_e32 v20, 0
	s_mov_b32 s8, exec_lo
	v_and_b32_e32 v5, 0xff, v79
	s_delay_alu instid0(VALU_DEP_2) | instskip(NEXT) | instid1(VALU_DEP_2)
	v_dual_mov_b32 v17, v19 :: v_dual_mov_b32 v18, v20
	v_cmpx_ne_u16_e32 0, v5
	s_cbranch_execz .LBB214_722
; %bb.715:                              ;   in Loop: Header=BB214_425 Depth=1
	v_bfrev_b32_e32 v17, 1
	v_mov_b32_e32 v18, 0
	s_mov_b32 s20, exec_lo
	v_cmpx_ne_u16_e32 0x80, v5
	s_cbranch_execz .LBB214_721
; %bb.716:                              ;   in Loop: Header=BB214_425 Depth=1
	v_mov_b32_e32 v17, 0x7f800001
	v_bfe_u32 v80, v78, 16, 7
	v_mov_b32_e32 v18, 0
	s_mov_b32 s21, exec_lo
	s_delay_alu instid0(VALU_DEP_2)
	v_cmpx_ne_u32_e32 0x7f, v80
	s_cbranch_execz .LBB214_720
; %bb.717:                              ;   in Loop: Header=BB214_425 Depth=1
	v_and_b32_e32 v5, 7, v79
	v_lshrrev_b32_e32 v17, 3, v80
	s_mov_b32 s22, exec_lo
	v_cmpx_gt_u32_e32 8, v80
; %bb.718:                              ;   in Loop: Header=BB214_425 Depth=1
	s_delay_alu instid0(VALU_DEP_3) | instskip(NEXT) | instid1(VALU_DEP_1)
	v_clz_i32_u32_e32 v17, v5
	v_min_u32_e32 v17, 32, v17
	s_delay_alu instid0(VALU_DEP_1) | instskip(SKIP_1) | instid1(VALU_DEP_2)
	v_subrev_nc_u32_e32 v18, 28, v17
	v_sub_nc_u32_e32 v17, 29, v17
	v_lshlrev_b64 v[80:81], v18, v[5:6]
	s_delay_alu instid0(VALU_DEP_1)
	v_and_b32_e32 v5, 7, v80
; %bb.719:                              ;   in Loop: Header=BB214_425 Depth=1
	s_or_b32 exec_lo, exec_lo, s22
	v_lshlrev_b32_e32 v18, 24, v79
	s_delay_alu instid0(VALU_DEP_2) | instskip(SKIP_1) | instid1(VALU_DEP_3)
	v_lshlrev_b32_e32 v5, 20, v5
	v_lshl_add_u32 v17, v17, 23, 0x3c000000
	v_and_b32_e32 v18, 0x80000000, v18
	s_delay_alu instid0(VALU_DEP_1) | instskip(NEXT) | instid1(VALU_DEP_1)
	v_or3_b32 v5, v5, v18, v17
	v_dual_mov_b32 v18, v6 :: v_dual_mov_b32 v17, v5
.LBB214_720:                            ;   in Loop: Header=BB214_425 Depth=1
	s_or_b32 exec_lo, exec_lo, s21
.LBB214_721:                            ;   in Loop: Header=BB214_425 Depth=1
	s_delay_alu instid0(SALU_CYCLE_1)
	s_or_b32 exec_lo, exec_lo, s20
.LBB214_722:                            ;   in Loop: Header=BB214_425 Depth=1
	s_delay_alu instid0(SALU_CYCLE_1) | instskip(NEXT) | instid1(SALU_CYCLE_1)
	s_or_b32 exec_lo, exec_lo, s8
	s_mov_b32 s20, exec_lo
	v_cmpx_lt_u32_e32 0xffffff, v78
	s_cbranch_execz .LBB214_730
; %bb.723:                              ;   in Loop: Header=BB214_425 Depth=1
	v_lshrrev_b32_e32 v79, 24, v78
	v_dual_mov_b32 v20, s5 :: v_dual_mov_b32 v19, s4
	s_mov_b32 s21, exec_lo
	s_delay_alu instid0(VALU_DEP_2)
	v_cmpx_ne_u32_e32 0x80, v79
	s_cbranch_execz .LBB214_729
; %bb.724:                              ;   in Loop: Header=BB214_425 Depth=1
	s_mov_b32 s8, s4
	v_bfe_u32 v78, v78, 24, 7
	v_dual_mov_b32 v20, s9 :: v_dual_mov_b32 v19, s8
	s_mov_b32 s8, exec_lo
	s_delay_alu instid0(VALU_DEP_2)
	v_cmpx_ne_u32_e32 0x7f, v78
	s_cbranch_execz .LBB214_728
; %bb.725:                              ;   in Loop: Header=BB214_425 Depth=1
	v_and_b32_e32 v5, 7, v79
	v_lshrrev_b32_e32 v19, 3, v78
	s_mov_b32 s22, exec_lo
	v_cmpx_gt_u32_e32 8, v78
; %bb.726:                              ;   in Loop: Header=BB214_425 Depth=1
	s_delay_alu instid0(VALU_DEP_3) | instskip(NEXT) | instid1(VALU_DEP_1)
	v_clz_i32_u32_e32 v19, v5
	v_min_u32_e32 v19, 32, v19
	s_delay_alu instid0(VALU_DEP_1) | instskip(SKIP_1) | instid1(VALU_DEP_2)
	v_subrev_nc_u32_e32 v20, 28, v19
	v_sub_nc_u32_e32 v19, 29, v19
	v_lshlrev_b64 v[80:81], v20, v[5:6]
	s_delay_alu instid0(VALU_DEP_1)
	v_and_b32_e32 v5, 7, v80
; %bb.727:                              ;   in Loop: Header=BB214_425 Depth=1
	s_or_b32 exec_lo, exec_lo, s22
	v_lshlrev_b32_e32 v20, 24, v79
	s_delay_alu instid0(VALU_DEP_2) | instskip(SKIP_1) | instid1(VALU_DEP_3)
	v_lshlrev_b32_e32 v5, 20, v5
	v_lshl_add_u32 v19, v19, 23, 0x3c000000
	v_and_b32_e32 v20, 0x80000000, v20
	s_delay_alu instid0(VALU_DEP_1)
	v_or3_b32 v20, v5, v20, v19
	v_mov_b32_e32 v19, v6
.LBB214_728:                            ;   in Loop: Header=BB214_425 Depth=1
	s_or_b32 exec_lo, exec_lo, s8
.LBB214_729:                            ;   in Loop: Header=BB214_425 Depth=1
	s_delay_alu instid0(SALU_CYCLE_1)
	s_or_b32 exec_lo, exec_lo, s21
.LBB214_730:                            ;   in Loop: Header=BB214_425 Depth=1
	s_delay_alu instid0(SALU_CYCLE_1) | instskip(SKIP_4) | instid1(VALU_DEP_4)
	s_or_b32 exec_lo, exec_lo, s20
	v_or_b32_e32 v5, v16, v14
	v_or_b32_e32 v13, v15, v13
	;; [unrolled: 1-line block ×4, first 2 shown]
	v_mul_f32_e32 v81, s19, v5
	s_delay_alu instid0(VALU_DEP_4) | instskip(NEXT) | instid1(VALU_DEP_3)
	v_mul_f32_e32 v80, s18, v13
	v_dual_mul_f32 v78, s19, v14 :: v_dual_mul_f32 v79, s18, v15
	s_and_saveexec_b32 s8, vcc_lo
; %bb.731:                              ;   in Loop: Header=BB214_425 Depth=1
	v_cmp_gt_i32_e64 s0, s33, v43
	s_delay_alu instid0(VALU_DEP_1) | instskip(SKIP_1) | instid1(VALU_DEP_1)
	v_cndmask_b32_e64 v80, 0, v80, s0
	v_cmp_gt_i32_e64 s0, s33, v46
	v_cndmask_b32_e64 v81, 0, v81, s0
	v_cmp_gt_i32_e64 s0, s33, v45
	s_delay_alu instid0(VALU_DEP_1) | instskip(SKIP_1) | instid1(VALU_DEP_1)
	v_cndmask_b32_e64 v79, 0, v79, s0
	v_cmp_gt_i32_e64 s0, s33, v44
	v_cndmask_b32_e64 v78, 0, v78, s0
; %bb.732:                              ;   in Loop: Header=BB214_425 Depth=1
	s_or_b32 exec_lo, exec_lo, s8
	global_load_b32 v82, v[11:12], off offset:1152
	v_mov_b32_e32 v15, 0
	v_mov_b32_e32 v16, 0
	s_mov_b32 s8, exec_lo
	s_waitcnt vmcnt(0)
	v_and_b32_e32 v5, 0xff, v82
	s_delay_alu instid0(VALU_DEP_2) | instskip(NEXT) | instid1(VALU_DEP_2)
	v_dual_mov_b32 v13, v15 :: v_dual_mov_b32 v14, v16
	v_cmpx_ne_u16_e32 0, v5
	s_cbranch_execz .LBB214_740
; %bb.733:                              ;   in Loop: Header=BB214_425 Depth=1
	v_bfrev_b32_e32 v13, 1
	v_mov_b32_e32 v14, 0
	s_mov_b32 s20, exec_lo
	v_cmpx_ne_u16_e32 0x80, v5
	s_cbranch_execz .LBB214_739
; %bb.734:                              ;   in Loop: Header=BB214_425 Depth=1
	v_mov_b32_e32 v13, 0x7f800001
	v_dual_mov_b32 v14, 0 :: v_dual_and_b32 v17, 0x7f, v82
	s_mov_b32 s21, exec_lo
	s_delay_alu instid0(VALU_DEP_1)
	v_cmpx_ne_u32_e32 0x7f, v17
	s_cbranch_execz .LBB214_738
; %bb.735:                              ;   in Loop: Header=BB214_425 Depth=1
	v_and_b32_e32 v5, 7, v82
	v_lshrrev_b32_e32 v13, 3, v17
	s_mov_b32 s22, exec_lo
	v_cmpx_gt_u32_e32 8, v17
; %bb.736:                              ;   in Loop: Header=BB214_425 Depth=1
	s_delay_alu instid0(VALU_DEP_3) | instskip(NEXT) | instid1(VALU_DEP_1)
	v_clz_i32_u32_e32 v13, v5
	v_min_u32_e32 v13, 32, v13
	s_delay_alu instid0(VALU_DEP_1) | instskip(SKIP_1) | instid1(VALU_DEP_2)
	v_subrev_nc_u32_e32 v14, 28, v13
	v_sub_nc_u32_e32 v13, 29, v13
	v_lshlrev_b64 v[17:18], v14, v[5:6]
	s_delay_alu instid0(VALU_DEP_1)
	v_and_b32_e32 v5, 7, v17
; %bb.737:                              ;   in Loop: Header=BB214_425 Depth=1
	s_or_b32 exec_lo, exec_lo, s22
	v_lshlrev_b32_e32 v14, 24, v82
	s_delay_alu instid0(VALU_DEP_2) | instskip(SKIP_1) | instid1(VALU_DEP_3)
	v_lshlrev_b32_e32 v5, 20, v5
	v_lshl_add_u32 v13, v13, 23, 0x3c000000
	v_and_b32_e32 v14, 0x80000000, v14
	s_delay_alu instid0(VALU_DEP_1) | instskip(NEXT) | instid1(VALU_DEP_1)
	v_or3_b32 v5, v5, v14, v13
	v_dual_mov_b32 v14, v6 :: v_dual_mov_b32 v13, v5
.LBB214_738:                            ;   in Loop: Header=BB214_425 Depth=1
	s_or_b32 exec_lo, exec_lo, s21
.LBB214_739:                            ;   in Loop: Header=BB214_425 Depth=1
	s_delay_alu instid0(SALU_CYCLE_1)
	s_or_b32 exec_lo, exec_lo, s20
.LBB214_740:                            ;   in Loop: Header=BB214_425 Depth=1
	s_delay_alu instid0(SALU_CYCLE_1) | instskip(SKIP_2) | instid1(VALU_DEP_1)
	s_or_b32 exec_lo, exec_lo, s8
	v_lshrrev_b16 v5, 8, v82
	s_mov_b32 s20, exec_lo
	v_cmpx_ne_u16_e32 0, v5
	s_cbranch_execz .LBB214_748
; %bb.741:                              ;   in Loop: Header=BB214_425 Depth=1
	v_dual_mov_b32 v16, s5 :: v_dual_mov_b32 v15, s4
	s_mov_b32 s21, exec_lo
	v_cmpx_ne_u16_e32 0x80, v5
	s_cbranch_execz .LBB214_747
; %bb.742:                              ;   in Loop: Header=BB214_425 Depth=1
	s_mov_b32 s8, s4
	v_dual_mov_b32 v16, s9 :: v_dual_and_b32 v5, 0xffff, v5
	v_mov_b32_e32 v15, s8
	s_mov_b32 s8, exec_lo
	s_delay_alu instid0(VALU_DEP_2) | instskip(NEXT) | instid1(VALU_DEP_1)
	v_and_b32_e32 v17, 0x7f, v5
	v_cmpx_ne_u32_e32 0x7f, v17
	s_cbranch_execz .LBB214_746
; %bb.743:                              ;   in Loop: Header=BB214_425 Depth=1
	v_and_b32_e32 v5, 7, v5
	v_lshrrev_b32_e32 v15, 3, v17
	s_mov_b32 s22, exec_lo
	v_cmpx_gt_u32_e32 8, v17
; %bb.744:                              ;   in Loop: Header=BB214_425 Depth=1
	s_delay_alu instid0(VALU_DEP_3) | instskip(NEXT) | instid1(VALU_DEP_1)
	v_clz_i32_u32_e32 v15, v5
	v_min_u32_e32 v15, 32, v15
	s_delay_alu instid0(VALU_DEP_1) | instskip(SKIP_1) | instid1(VALU_DEP_2)
	v_subrev_nc_u32_e32 v16, 28, v15
	v_sub_nc_u32_e32 v15, 29, v15
	v_lshlrev_b64 v[16:17], v16, v[5:6]
	s_delay_alu instid0(VALU_DEP_1)
	v_and_b32_e32 v5, 7, v16
; %bb.745:                              ;   in Loop: Header=BB214_425 Depth=1
	s_or_b32 exec_lo, exec_lo, s22
	v_lshlrev_b32_e32 v16, 16, v82
	s_delay_alu instid0(VALU_DEP_2) | instskip(SKIP_1) | instid1(VALU_DEP_3)
	v_lshlrev_b32_e32 v5, 20, v5
	v_lshl_add_u32 v15, v15, 23, 0x3c000000
	v_and_b32_e32 v16, 0x80000000, v16
	s_delay_alu instid0(VALU_DEP_1)
	v_or3_b32 v16, v5, v16, v15
	v_mov_b32_e32 v15, v6
.LBB214_746:                            ;   in Loop: Header=BB214_425 Depth=1
	s_or_b32 exec_lo, exec_lo, s8
.LBB214_747:                            ;   in Loop: Header=BB214_425 Depth=1
	s_delay_alu instid0(SALU_CYCLE_1)
	s_or_b32 exec_lo, exec_lo, s21
.LBB214_748:                            ;   in Loop: Header=BB214_425 Depth=1
	s_delay_alu instid0(SALU_CYCLE_1) | instskip(SKIP_4) | instid1(VALU_DEP_2)
	s_or_b32 exec_lo, exec_lo, s20
	v_mov_b32_e32 v19, 0
	v_lshrrev_b32_e32 v83, 16, v82
	v_mov_b32_e32 v20, 0
	s_mov_b32 s8, exec_lo
	v_and_b32_e32 v5, 0xff, v83
	s_delay_alu instid0(VALU_DEP_2) | instskip(NEXT) | instid1(VALU_DEP_2)
	v_dual_mov_b32 v17, v19 :: v_dual_mov_b32 v18, v20
	v_cmpx_ne_u16_e32 0, v5
	s_cbranch_execz .LBB214_756
; %bb.749:                              ;   in Loop: Header=BB214_425 Depth=1
	v_bfrev_b32_e32 v17, 1
	v_mov_b32_e32 v18, 0
	s_mov_b32 s20, exec_lo
	v_cmpx_ne_u16_e32 0x80, v5
	s_cbranch_execz .LBB214_755
; %bb.750:                              ;   in Loop: Header=BB214_425 Depth=1
	v_mov_b32_e32 v17, 0x7f800001
	v_bfe_u32 v84, v82, 16, 7
	v_mov_b32_e32 v18, 0
	s_mov_b32 s21, exec_lo
	s_delay_alu instid0(VALU_DEP_2)
	v_cmpx_ne_u32_e32 0x7f, v84
	s_cbranch_execz .LBB214_754
; %bb.751:                              ;   in Loop: Header=BB214_425 Depth=1
	v_and_b32_e32 v5, 7, v83
	v_lshrrev_b32_e32 v17, 3, v84
	s_mov_b32 s22, exec_lo
	v_cmpx_gt_u32_e32 8, v84
; %bb.752:                              ;   in Loop: Header=BB214_425 Depth=1
	s_delay_alu instid0(VALU_DEP_3) | instskip(NEXT) | instid1(VALU_DEP_1)
	v_clz_i32_u32_e32 v17, v5
	v_min_u32_e32 v17, 32, v17
	s_delay_alu instid0(VALU_DEP_1) | instskip(SKIP_1) | instid1(VALU_DEP_2)
	v_subrev_nc_u32_e32 v18, 28, v17
	v_sub_nc_u32_e32 v17, 29, v17
	v_lshlrev_b64 v[84:85], v18, v[5:6]
	s_delay_alu instid0(VALU_DEP_1)
	v_and_b32_e32 v5, 7, v84
; %bb.753:                              ;   in Loop: Header=BB214_425 Depth=1
	s_or_b32 exec_lo, exec_lo, s22
	v_lshlrev_b32_e32 v18, 24, v83
	s_delay_alu instid0(VALU_DEP_2) | instskip(SKIP_1) | instid1(VALU_DEP_3)
	v_lshlrev_b32_e32 v5, 20, v5
	v_lshl_add_u32 v17, v17, 23, 0x3c000000
	v_and_b32_e32 v18, 0x80000000, v18
	s_delay_alu instid0(VALU_DEP_1) | instskip(NEXT) | instid1(VALU_DEP_1)
	v_or3_b32 v5, v5, v18, v17
	v_dual_mov_b32 v18, v6 :: v_dual_mov_b32 v17, v5
.LBB214_754:                            ;   in Loop: Header=BB214_425 Depth=1
	s_or_b32 exec_lo, exec_lo, s21
.LBB214_755:                            ;   in Loop: Header=BB214_425 Depth=1
	s_delay_alu instid0(SALU_CYCLE_1)
	s_or_b32 exec_lo, exec_lo, s20
.LBB214_756:                            ;   in Loop: Header=BB214_425 Depth=1
	s_delay_alu instid0(SALU_CYCLE_1) | instskip(NEXT) | instid1(SALU_CYCLE_1)
	s_or_b32 exec_lo, exec_lo, s8
	s_mov_b32 s20, exec_lo
	v_cmpx_lt_u32_e32 0xffffff, v82
	s_cbranch_execz .LBB214_764
; %bb.757:                              ;   in Loop: Header=BB214_425 Depth=1
	v_lshrrev_b32_e32 v83, 24, v82
	v_dual_mov_b32 v20, s5 :: v_dual_mov_b32 v19, s4
	s_mov_b32 s21, exec_lo
	s_delay_alu instid0(VALU_DEP_2)
	v_cmpx_ne_u32_e32 0x80, v83
	s_cbranch_execz .LBB214_763
; %bb.758:                              ;   in Loop: Header=BB214_425 Depth=1
	s_mov_b32 s8, s4
	v_bfe_u32 v82, v82, 24, 7
	v_dual_mov_b32 v20, s9 :: v_dual_mov_b32 v19, s8
	s_mov_b32 s8, exec_lo
	s_delay_alu instid0(VALU_DEP_2)
	v_cmpx_ne_u32_e32 0x7f, v82
	s_cbranch_execz .LBB214_762
; %bb.759:                              ;   in Loop: Header=BB214_425 Depth=1
	v_and_b32_e32 v5, 7, v83
	v_lshrrev_b32_e32 v19, 3, v82
	s_mov_b32 s22, exec_lo
	v_cmpx_gt_u32_e32 8, v82
; %bb.760:                              ;   in Loop: Header=BB214_425 Depth=1
	s_delay_alu instid0(VALU_DEP_3) | instskip(NEXT) | instid1(VALU_DEP_1)
	v_clz_i32_u32_e32 v19, v5
	v_min_u32_e32 v19, 32, v19
	s_delay_alu instid0(VALU_DEP_1) | instskip(SKIP_1) | instid1(VALU_DEP_2)
	v_subrev_nc_u32_e32 v20, 28, v19
	v_sub_nc_u32_e32 v19, 29, v19
	v_lshlrev_b64 v[84:85], v20, v[5:6]
	s_delay_alu instid0(VALU_DEP_1)
	v_and_b32_e32 v5, 7, v84
; %bb.761:                              ;   in Loop: Header=BB214_425 Depth=1
	s_or_b32 exec_lo, exec_lo, s22
	v_lshlrev_b32_e32 v20, 24, v83
	s_delay_alu instid0(VALU_DEP_2) | instskip(SKIP_1) | instid1(VALU_DEP_3)
	v_lshlrev_b32_e32 v5, 20, v5
	v_lshl_add_u32 v19, v19, 23, 0x3c000000
	v_and_b32_e32 v20, 0x80000000, v20
	s_delay_alu instid0(VALU_DEP_1)
	v_or3_b32 v20, v5, v20, v19
	v_mov_b32_e32 v19, v6
.LBB214_762:                            ;   in Loop: Header=BB214_425 Depth=1
	s_or_b32 exec_lo, exec_lo, s8
.LBB214_763:                            ;   in Loop: Header=BB214_425 Depth=1
	s_delay_alu instid0(SALU_CYCLE_1)
	s_or_b32 exec_lo, exec_lo, s21
.LBB214_764:                            ;   in Loop: Header=BB214_425 Depth=1
	s_delay_alu instid0(SALU_CYCLE_1) | instskip(SKIP_4) | instid1(VALU_DEP_4)
	s_or_b32 exec_lo, exec_lo, s20
	v_or_b32_e32 v5, v16, v14
	v_or_b32_e32 v13, v15, v13
	;; [unrolled: 1-line block ×4, first 2 shown]
	v_mul_f32_e32 v85, s19, v5
	s_delay_alu instid0(VALU_DEP_4) | instskip(NEXT) | instid1(VALU_DEP_3)
	v_mul_f32_e32 v84, s18, v13
	v_dual_mul_f32 v82, s19, v14 :: v_dual_mul_f32 v83, s18, v15
	s_and_saveexec_b32 s8, vcc_lo
; %bb.765:                              ;   in Loop: Header=BB214_425 Depth=1
	v_cmp_gt_i32_e64 s0, s33, v43
	s_delay_alu instid0(VALU_DEP_1) | instskip(SKIP_1) | instid1(VALU_DEP_1)
	v_cndmask_b32_e64 v84, 0, v84, s0
	v_cmp_gt_i32_e64 s0, s33, v46
	v_cndmask_b32_e64 v85, 0, v85, s0
	v_cmp_gt_i32_e64 s0, s33, v45
	s_delay_alu instid0(VALU_DEP_1) | instskip(SKIP_1) | instid1(VALU_DEP_1)
	v_cndmask_b32_e64 v83, 0, v83, s0
	v_cmp_gt_i32_e64 s0, s33, v44
	v_cndmask_b32_e64 v82, 0, v82, s0
; %bb.766:                              ;   in Loop: Header=BB214_425 Depth=1
	s_or_b32 exec_lo, exec_lo, s8
	global_load_b32 v86, v[11:12], off offset:1280
	v_mov_b32_e32 v15, 0
	v_mov_b32_e32 v16, 0
	s_mov_b32 s8, exec_lo
	s_waitcnt vmcnt(0)
	v_and_b32_e32 v5, 0xff, v86
	s_delay_alu instid0(VALU_DEP_2) | instskip(NEXT) | instid1(VALU_DEP_2)
	v_dual_mov_b32 v13, v15 :: v_dual_mov_b32 v14, v16
	v_cmpx_ne_u16_e32 0, v5
	s_cbranch_execz .LBB214_774
; %bb.767:                              ;   in Loop: Header=BB214_425 Depth=1
	v_bfrev_b32_e32 v13, 1
	v_mov_b32_e32 v14, 0
	s_mov_b32 s20, exec_lo
	v_cmpx_ne_u16_e32 0x80, v5
	s_cbranch_execz .LBB214_773
; %bb.768:                              ;   in Loop: Header=BB214_425 Depth=1
	v_mov_b32_e32 v13, 0x7f800001
	v_dual_mov_b32 v14, 0 :: v_dual_and_b32 v17, 0x7f, v86
	s_mov_b32 s21, exec_lo
	s_delay_alu instid0(VALU_DEP_1)
	v_cmpx_ne_u32_e32 0x7f, v17
	s_cbranch_execz .LBB214_772
; %bb.769:                              ;   in Loop: Header=BB214_425 Depth=1
	v_and_b32_e32 v5, 7, v86
	v_lshrrev_b32_e32 v13, 3, v17
	s_mov_b32 s22, exec_lo
	v_cmpx_gt_u32_e32 8, v17
; %bb.770:                              ;   in Loop: Header=BB214_425 Depth=1
	s_delay_alu instid0(VALU_DEP_3) | instskip(NEXT) | instid1(VALU_DEP_1)
	v_clz_i32_u32_e32 v13, v5
	v_min_u32_e32 v13, 32, v13
	s_delay_alu instid0(VALU_DEP_1) | instskip(SKIP_1) | instid1(VALU_DEP_2)
	v_subrev_nc_u32_e32 v14, 28, v13
	v_sub_nc_u32_e32 v13, 29, v13
	v_lshlrev_b64 v[17:18], v14, v[5:6]
	s_delay_alu instid0(VALU_DEP_1)
	v_and_b32_e32 v5, 7, v17
; %bb.771:                              ;   in Loop: Header=BB214_425 Depth=1
	s_or_b32 exec_lo, exec_lo, s22
	v_lshlrev_b32_e32 v14, 24, v86
	s_delay_alu instid0(VALU_DEP_2) | instskip(SKIP_1) | instid1(VALU_DEP_3)
	v_lshlrev_b32_e32 v5, 20, v5
	v_lshl_add_u32 v13, v13, 23, 0x3c000000
	v_and_b32_e32 v14, 0x80000000, v14
	s_delay_alu instid0(VALU_DEP_1) | instskip(NEXT) | instid1(VALU_DEP_1)
	v_or3_b32 v5, v5, v14, v13
	v_dual_mov_b32 v14, v6 :: v_dual_mov_b32 v13, v5
.LBB214_772:                            ;   in Loop: Header=BB214_425 Depth=1
	s_or_b32 exec_lo, exec_lo, s21
.LBB214_773:                            ;   in Loop: Header=BB214_425 Depth=1
	s_delay_alu instid0(SALU_CYCLE_1)
	s_or_b32 exec_lo, exec_lo, s20
.LBB214_774:                            ;   in Loop: Header=BB214_425 Depth=1
	s_delay_alu instid0(SALU_CYCLE_1) | instskip(SKIP_2) | instid1(VALU_DEP_1)
	s_or_b32 exec_lo, exec_lo, s8
	v_lshrrev_b16 v5, 8, v86
	s_mov_b32 s20, exec_lo
	v_cmpx_ne_u16_e32 0, v5
	s_cbranch_execz .LBB214_782
; %bb.775:                              ;   in Loop: Header=BB214_425 Depth=1
	v_dual_mov_b32 v16, s5 :: v_dual_mov_b32 v15, s4
	s_mov_b32 s21, exec_lo
	v_cmpx_ne_u16_e32 0x80, v5
	s_cbranch_execz .LBB214_781
; %bb.776:                              ;   in Loop: Header=BB214_425 Depth=1
	s_mov_b32 s8, s4
	v_dual_mov_b32 v16, s9 :: v_dual_and_b32 v5, 0xffff, v5
	v_mov_b32_e32 v15, s8
	s_mov_b32 s8, exec_lo
	s_delay_alu instid0(VALU_DEP_2) | instskip(NEXT) | instid1(VALU_DEP_1)
	v_and_b32_e32 v17, 0x7f, v5
	v_cmpx_ne_u32_e32 0x7f, v17
	s_cbranch_execz .LBB214_780
; %bb.777:                              ;   in Loop: Header=BB214_425 Depth=1
	v_and_b32_e32 v5, 7, v5
	v_lshrrev_b32_e32 v15, 3, v17
	s_mov_b32 s22, exec_lo
	v_cmpx_gt_u32_e32 8, v17
; %bb.778:                              ;   in Loop: Header=BB214_425 Depth=1
	s_delay_alu instid0(VALU_DEP_3) | instskip(NEXT) | instid1(VALU_DEP_1)
	v_clz_i32_u32_e32 v15, v5
	v_min_u32_e32 v15, 32, v15
	s_delay_alu instid0(VALU_DEP_1) | instskip(SKIP_1) | instid1(VALU_DEP_2)
	v_subrev_nc_u32_e32 v16, 28, v15
	v_sub_nc_u32_e32 v15, 29, v15
	v_lshlrev_b64 v[16:17], v16, v[5:6]
	s_delay_alu instid0(VALU_DEP_1)
	v_and_b32_e32 v5, 7, v16
; %bb.779:                              ;   in Loop: Header=BB214_425 Depth=1
	s_or_b32 exec_lo, exec_lo, s22
	v_lshlrev_b32_e32 v16, 16, v86
	s_delay_alu instid0(VALU_DEP_2) | instskip(SKIP_1) | instid1(VALU_DEP_3)
	v_lshlrev_b32_e32 v5, 20, v5
	v_lshl_add_u32 v15, v15, 23, 0x3c000000
	v_and_b32_e32 v16, 0x80000000, v16
	s_delay_alu instid0(VALU_DEP_1)
	v_or3_b32 v16, v5, v16, v15
	v_mov_b32_e32 v15, v6
.LBB214_780:                            ;   in Loop: Header=BB214_425 Depth=1
	s_or_b32 exec_lo, exec_lo, s8
.LBB214_781:                            ;   in Loop: Header=BB214_425 Depth=1
	s_delay_alu instid0(SALU_CYCLE_1)
	s_or_b32 exec_lo, exec_lo, s21
.LBB214_782:                            ;   in Loop: Header=BB214_425 Depth=1
	s_delay_alu instid0(SALU_CYCLE_1) | instskip(SKIP_4) | instid1(VALU_DEP_2)
	s_or_b32 exec_lo, exec_lo, s20
	v_mov_b32_e32 v19, 0
	v_lshrrev_b32_e32 v87, 16, v86
	v_mov_b32_e32 v20, 0
	s_mov_b32 s8, exec_lo
	v_and_b32_e32 v5, 0xff, v87
	s_delay_alu instid0(VALU_DEP_2) | instskip(NEXT) | instid1(VALU_DEP_2)
	v_dual_mov_b32 v17, v19 :: v_dual_mov_b32 v18, v20
	v_cmpx_ne_u16_e32 0, v5
	s_cbranch_execz .LBB214_790
; %bb.783:                              ;   in Loop: Header=BB214_425 Depth=1
	v_bfrev_b32_e32 v17, 1
	v_mov_b32_e32 v18, 0
	s_mov_b32 s20, exec_lo
	v_cmpx_ne_u16_e32 0x80, v5
	s_cbranch_execz .LBB214_789
; %bb.784:                              ;   in Loop: Header=BB214_425 Depth=1
	v_mov_b32_e32 v17, 0x7f800001
	v_bfe_u32 v88, v86, 16, 7
	v_mov_b32_e32 v18, 0
	s_mov_b32 s21, exec_lo
	s_delay_alu instid0(VALU_DEP_2)
	v_cmpx_ne_u32_e32 0x7f, v88
	s_cbranch_execz .LBB214_788
; %bb.785:                              ;   in Loop: Header=BB214_425 Depth=1
	v_and_b32_e32 v5, 7, v87
	v_lshrrev_b32_e32 v17, 3, v88
	s_mov_b32 s22, exec_lo
	v_cmpx_gt_u32_e32 8, v88
; %bb.786:                              ;   in Loop: Header=BB214_425 Depth=1
	s_delay_alu instid0(VALU_DEP_3) | instskip(NEXT) | instid1(VALU_DEP_1)
	v_clz_i32_u32_e32 v17, v5
	v_min_u32_e32 v17, 32, v17
	s_delay_alu instid0(VALU_DEP_1) | instskip(SKIP_1) | instid1(VALU_DEP_2)
	v_subrev_nc_u32_e32 v18, 28, v17
	v_sub_nc_u32_e32 v17, 29, v17
	v_lshlrev_b64 v[88:89], v18, v[5:6]
	s_delay_alu instid0(VALU_DEP_1)
	v_and_b32_e32 v5, 7, v88
; %bb.787:                              ;   in Loop: Header=BB214_425 Depth=1
	s_or_b32 exec_lo, exec_lo, s22
	v_lshlrev_b32_e32 v18, 24, v87
	s_delay_alu instid0(VALU_DEP_2) | instskip(SKIP_1) | instid1(VALU_DEP_3)
	v_lshlrev_b32_e32 v5, 20, v5
	v_lshl_add_u32 v17, v17, 23, 0x3c000000
	v_and_b32_e32 v18, 0x80000000, v18
	s_delay_alu instid0(VALU_DEP_1) | instskip(NEXT) | instid1(VALU_DEP_1)
	v_or3_b32 v5, v5, v18, v17
	v_dual_mov_b32 v18, v6 :: v_dual_mov_b32 v17, v5
.LBB214_788:                            ;   in Loop: Header=BB214_425 Depth=1
	s_or_b32 exec_lo, exec_lo, s21
.LBB214_789:                            ;   in Loop: Header=BB214_425 Depth=1
	s_delay_alu instid0(SALU_CYCLE_1)
	s_or_b32 exec_lo, exec_lo, s20
.LBB214_790:                            ;   in Loop: Header=BB214_425 Depth=1
	s_delay_alu instid0(SALU_CYCLE_1) | instskip(NEXT) | instid1(SALU_CYCLE_1)
	s_or_b32 exec_lo, exec_lo, s8
	s_mov_b32 s20, exec_lo
	v_cmpx_lt_u32_e32 0xffffff, v86
	s_cbranch_execz .LBB214_798
; %bb.791:                              ;   in Loop: Header=BB214_425 Depth=1
	v_lshrrev_b32_e32 v87, 24, v86
	v_dual_mov_b32 v20, s5 :: v_dual_mov_b32 v19, s4
	s_mov_b32 s21, exec_lo
	s_delay_alu instid0(VALU_DEP_2)
	v_cmpx_ne_u32_e32 0x80, v87
	s_cbranch_execz .LBB214_797
; %bb.792:                              ;   in Loop: Header=BB214_425 Depth=1
	s_mov_b32 s8, s4
	v_bfe_u32 v86, v86, 24, 7
	v_dual_mov_b32 v20, s9 :: v_dual_mov_b32 v19, s8
	s_mov_b32 s8, exec_lo
	s_delay_alu instid0(VALU_DEP_2)
	v_cmpx_ne_u32_e32 0x7f, v86
	s_cbranch_execz .LBB214_796
; %bb.793:                              ;   in Loop: Header=BB214_425 Depth=1
	v_and_b32_e32 v5, 7, v87
	v_lshrrev_b32_e32 v19, 3, v86
	s_mov_b32 s22, exec_lo
	v_cmpx_gt_u32_e32 8, v86
; %bb.794:                              ;   in Loop: Header=BB214_425 Depth=1
	s_delay_alu instid0(VALU_DEP_3) | instskip(NEXT) | instid1(VALU_DEP_1)
	v_clz_i32_u32_e32 v19, v5
	v_min_u32_e32 v19, 32, v19
	s_delay_alu instid0(VALU_DEP_1) | instskip(SKIP_1) | instid1(VALU_DEP_2)
	v_subrev_nc_u32_e32 v20, 28, v19
	v_sub_nc_u32_e32 v19, 29, v19
	v_lshlrev_b64 v[88:89], v20, v[5:6]
	s_delay_alu instid0(VALU_DEP_1)
	v_and_b32_e32 v5, 7, v88
; %bb.795:                              ;   in Loop: Header=BB214_425 Depth=1
	s_or_b32 exec_lo, exec_lo, s22
	v_lshlrev_b32_e32 v20, 24, v87
	s_delay_alu instid0(VALU_DEP_2) | instskip(SKIP_1) | instid1(VALU_DEP_3)
	v_lshlrev_b32_e32 v5, 20, v5
	v_lshl_add_u32 v19, v19, 23, 0x3c000000
	v_and_b32_e32 v20, 0x80000000, v20
	s_delay_alu instid0(VALU_DEP_1)
	v_or3_b32 v20, v5, v20, v19
	v_mov_b32_e32 v19, v6
.LBB214_796:                            ;   in Loop: Header=BB214_425 Depth=1
	s_or_b32 exec_lo, exec_lo, s8
.LBB214_797:                            ;   in Loop: Header=BB214_425 Depth=1
	s_delay_alu instid0(SALU_CYCLE_1)
	s_or_b32 exec_lo, exec_lo, s21
.LBB214_798:                            ;   in Loop: Header=BB214_425 Depth=1
	s_delay_alu instid0(SALU_CYCLE_1) | instskip(SKIP_4) | instid1(VALU_DEP_4)
	s_or_b32 exec_lo, exec_lo, s20
	v_or_b32_e32 v5, v16, v14
	v_or_b32_e32 v13, v15, v13
	;; [unrolled: 1-line block ×4, first 2 shown]
	v_mul_f32_e32 v87, s19, v5
	s_delay_alu instid0(VALU_DEP_3) | instskip(NEXT) | instid1(VALU_DEP_3)
	v_dual_mul_f32 v86, s18, v13 :: v_dual_mul_f32 v19, s19, v14
	v_mul_f32_e32 v20, s18, v15
	s_and_saveexec_b32 s8, vcc_lo
; %bb.799:                              ;   in Loop: Header=BB214_425 Depth=1
	v_cmp_gt_i32_e64 s0, s33, v43
	s_delay_alu instid0(VALU_DEP_1) | instskip(SKIP_1) | instid1(VALU_DEP_1)
	v_cndmask_b32_e64 v86, 0, v86, s0
	v_cmp_gt_i32_e64 s0, s33, v46
	v_cndmask_b32_e64 v87, 0, v87, s0
	v_cmp_gt_i32_e64 s0, s33, v45
	s_delay_alu instid0(VALU_DEP_1) | instskip(SKIP_1) | instid1(VALU_DEP_1)
	v_cndmask_b32_e64 v20, 0, v20, s0
	v_cmp_gt_i32_e64 s0, s33, v44
	v_cndmask_b32_e64 v19, 0, v19, s0
; %bb.800:                              ;   in Loop: Header=BB214_425 Depth=1
	s_or_b32 exec_lo, exec_lo, s8
	global_load_b32 v88, v[11:12], off offset:1408
	v_mov_b32_e32 v13, 0
	v_mov_b32_e32 v14, 0
	s_mov_b32 s8, exec_lo
	s_waitcnt vmcnt(0)
	v_and_b32_e32 v5, 0xff, v88
	s_delay_alu instid0(VALU_DEP_2) | instskip(NEXT) | instid1(VALU_DEP_2)
	v_dual_mov_b32 v11, v13 :: v_dual_mov_b32 v12, v14
	v_cmpx_ne_u16_e32 0, v5
	s_cbranch_execz .LBB214_808
; %bb.801:                              ;   in Loop: Header=BB214_425 Depth=1
	v_bfrev_b32_e32 v11, 1
	v_mov_b32_e32 v12, 0
	s_mov_b32 s20, exec_lo
	v_cmpx_ne_u16_e32 0x80, v5
	s_cbranch_execz .LBB214_807
; %bb.802:                              ;   in Loop: Header=BB214_425 Depth=1
	v_mov_b32_e32 v11, 0x7f800001
	v_dual_mov_b32 v12, 0 :: v_dual_and_b32 v15, 0x7f, v88
	s_mov_b32 s21, exec_lo
	s_delay_alu instid0(VALU_DEP_1)
	v_cmpx_ne_u32_e32 0x7f, v15
	s_cbranch_execz .LBB214_806
; %bb.803:                              ;   in Loop: Header=BB214_425 Depth=1
	v_and_b32_e32 v5, 7, v88
	v_lshrrev_b32_e32 v11, 3, v15
	s_mov_b32 s22, exec_lo
	v_cmpx_gt_u32_e32 8, v15
; %bb.804:                              ;   in Loop: Header=BB214_425 Depth=1
	s_delay_alu instid0(VALU_DEP_3) | instskip(NEXT) | instid1(VALU_DEP_1)
	v_clz_i32_u32_e32 v11, v5
	v_min_u32_e32 v11, 32, v11
	s_delay_alu instid0(VALU_DEP_1) | instskip(SKIP_1) | instid1(VALU_DEP_2)
	v_subrev_nc_u32_e32 v12, 28, v11
	v_sub_nc_u32_e32 v11, 29, v11
	v_lshlrev_b64 v[15:16], v12, v[5:6]
	s_delay_alu instid0(VALU_DEP_1)
	v_and_b32_e32 v5, 7, v15
; %bb.805:                              ;   in Loop: Header=BB214_425 Depth=1
	s_or_b32 exec_lo, exec_lo, s22
	v_lshlrev_b32_e32 v12, 24, v88
	s_delay_alu instid0(VALU_DEP_2) | instskip(SKIP_1) | instid1(VALU_DEP_3)
	v_lshlrev_b32_e32 v5, 20, v5
	v_lshl_add_u32 v11, v11, 23, 0x3c000000
	v_and_b32_e32 v12, 0x80000000, v12
	s_delay_alu instid0(VALU_DEP_1) | instskip(NEXT) | instid1(VALU_DEP_1)
	v_or3_b32 v5, v5, v12, v11
	v_dual_mov_b32 v12, v6 :: v_dual_mov_b32 v11, v5
.LBB214_806:                            ;   in Loop: Header=BB214_425 Depth=1
	s_or_b32 exec_lo, exec_lo, s21
.LBB214_807:                            ;   in Loop: Header=BB214_425 Depth=1
	s_delay_alu instid0(SALU_CYCLE_1)
	s_or_b32 exec_lo, exec_lo, s20
.LBB214_808:                            ;   in Loop: Header=BB214_425 Depth=1
	s_delay_alu instid0(SALU_CYCLE_1) | instskip(SKIP_2) | instid1(VALU_DEP_1)
	s_or_b32 exec_lo, exec_lo, s8
	v_lshrrev_b16 v5, 8, v88
	s_mov_b32 s20, exec_lo
	v_cmpx_ne_u16_e32 0, v5
	s_cbranch_execz .LBB214_816
; %bb.809:                              ;   in Loop: Header=BB214_425 Depth=1
	v_dual_mov_b32 v14, s5 :: v_dual_mov_b32 v13, s4
	s_mov_b32 s21, exec_lo
	v_cmpx_ne_u16_e32 0x80, v5
	s_cbranch_execz .LBB214_815
; %bb.810:                              ;   in Loop: Header=BB214_425 Depth=1
	s_mov_b32 s8, s4
	v_dual_mov_b32 v14, s9 :: v_dual_and_b32 v5, 0xffff, v5
	v_mov_b32_e32 v13, s8
	s_mov_b32 s8, exec_lo
	s_delay_alu instid0(VALU_DEP_2) | instskip(NEXT) | instid1(VALU_DEP_1)
	v_and_b32_e32 v15, 0x7f, v5
	v_cmpx_ne_u32_e32 0x7f, v15
	s_cbranch_execz .LBB214_814
; %bb.811:                              ;   in Loop: Header=BB214_425 Depth=1
	v_and_b32_e32 v5, 7, v5
	v_lshrrev_b32_e32 v13, 3, v15
	s_mov_b32 s22, exec_lo
	v_cmpx_gt_u32_e32 8, v15
; %bb.812:                              ;   in Loop: Header=BB214_425 Depth=1
	s_delay_alu instid0(VALU_DEP_3) | instskip(NEXT) | instid1(VALU_DEP_1)
	v_clz_i32_u32_e32 v13, v5
	v_min_u32_e32 v13, 32, v13
	s_delay_alu instid0(VALU_DEP_1) | instskip(SKIP_1) | instid1(VALU_DEP_2)
	v_subrev_nc_u32_e32 v14, 28, v13
	v_sub_nc_u32_e32 v13, 29, v13
	v_lshlrev_b64 v[14:15], v14, v[5:6]
	s_delay_alu instid0(VALU_DEP_1)
	v_and_b32_e32 v5, 7, v14
; %bb.813:                              ;   in Loop: Header=BB214_425 Depth=1
	s_or_b32 exec_lo, exec_lo, s22
	v_lshlrev_b32_e32 v14, 16, v88
	s_delay_alu instid0(VALU_DEP_2) | instskip(SKIP_1) | instid1(VALU_DEP_3)
	v_lshlrev_b32_e32 v5, 20, v5
	v_lshl_add_u32 v13, v13, 23, 0x3c000000
	v_and_b32_e32 v14, 0x80000000, v14
	s_delay_alu instid0(VALU_DEP_1)
	v_or3_b32 v14, v5, v14, v13
	v_mov_b32_e32 v13, v6
.LBB214_814:                            ;   in Loop: Header=BB214_425 Depth=1
	s_or_b32 exec_lo, exec_lo, s8
.LBB214_815:                            ;   in Loop: Header=BB214_425 Depth=1
	s_delay_alu instid0(SALU_CYCLE_1)
	s_or_b32 exec_lo, exec_lo, s21
.LBB214_816:                            ;   in Loop: Header=BB214_425 Depth=1
	s_delay_alu instid0(SALU_CYCLE_1) | instskip(SKIP_4) | instid1(VALU_DEP_2)
	s_or_b32 exec_lo, exec_lo, s20
	v_mov_b32_e32 v17, 0
	v_lshrrev_b32_e32 v89, 16, v88
	v_mov_b32_e32 v18, 0
	s_mov_b32 s8, exec_lo
	v_and_b32_e32 v5, 0xff, v89
	s_delay_alu instid0(VALU_DEP_2) | instskip(NEXT) | instid1(VALU_DEP_2)
	v_dual_mov_b32 v15, v17 :: v_dual_mov_b32 v16, v18
	v_cmpx_ne_u16_e32 0, v5
	s_cbranch_execz .LBB214_824
; %bb.817:                              ;   in Loop: Header=BB214_425 Depth=1
	v_bfrev_b32_e32 v15, 1
	v_mov_b32_e32 v16, 0
	s_mov_b32 s20, exec_lo
	v_cmpx_ne_u16_e32 0x80, v5
	s_cbranch_execz .LBB214_823
; %bb.818:                              ;   in Loop: Header=BB214_425 Depth=1
	v_mov_b32_e32 v15, 0x7f800001
	v_bfe_u32 v90, v88, 16, 7
	v_mov_b32_e32 v16, 0
	s_mov_b32 s21, exec_lo
	s_delay_alu instid0(VALU_DEP_2)
	v_cmpx_ne_u32_e32 0x7f, v90
	s_cbranch_execz .LBB214_822
; %bb.819:                              ;   in Loop: Header=BB214_425 Depth=1
	v_and_b32_e32 v5, 7, v89
	v_lshrrev_b32_e32 v15, 3, v90
	s_mov_b32 s22, exec_lo
	v_cmpx_gt_u32_e32 8, v90
; %bb.820:                              ;   in Loop: Header=BB214_425 Depth=1
	s_delay_alu instid0(VALU_DEP_3) | instskip(NEXT) | instid1(VALU_DEP_1)
	v_clz_i32_u32_e32 v15, v5
	v_min_u32_e32 v15, 32, v15
	s_delay_alu instid0(VALU_DEP_1) | instskip(SKIP_1) | instid1(VALU_DEP_2)
	v_subrev_nc_u32_e32 v16, 28, v15
	v_sub_nc_u32_e32 v15, 29, v15
	v_lshlrev_b64 v[90:91], v16, v[5:6]
	s_delay_alu instid0(VALU_DEP_1)
	v_and_b32_e32 v5, 7, v90
; %bb.821:                              ;   in Loop: Header=BB214_425 Depth=1
	s_or_b32 exec_lo, exec_lo, s22
	v_lshlrev_b32_e32 v16, 24, v89
	s_delay_alu instid0(VALU_DEP_2) | instskip(SKIP_1) | instid1(VALU_DEP_3)
	v_lshlrev_b32_e32 v5, 20, v5
	v_lshl_add_u32 v15, v15, 23, 0x3c000000
	v_and_b32_e32 v16, 0x80000000, v16
	s_delay_alu instid0(VALU_DEP_1) | instskip(NEXT) | instid1(VALU_DEP_1)
	v_or3_b32 v5, v5, v16, v15
	v_dual_mov_b32 v16, v6 :: v_dual_mov_b32 v15, v5
.LBB214_822:                            ;   in Loop: Header=BB214_425 Depth=1
	s_or_b32 exec_lo, exec_lo, s21
.LBB214_823:                            ;   in Loop: Header=BB214_425 Depth=1
	s_delay_alu instid0(SALU_CYCLE_1)
	s_or_b32 exec_lo, exec_lo, s20
.LBB214_824:                            ;   in Loop: Header=BB214_425 Depth=1
	s_delay_alu instid0(SALU_CYCLE_1) | instskip(NEXT) | instid1(SALU_CYCLE_1)
	s_or_b32 exec_lo, exec_lo, s8
	s_mov_b32 s20, exec_lo
	v_cmpx_lt_u32_e32 0xffffff, v88
	s_cbranch_execz .LBB214_832
; %bb.825:                              ;   in Loop: Header=BB214_425 Depth=1
	v_lshrrev_b32_e32 v89, 24, v88
	v_dual_mov_b32 v18, s5 :: v_dual_mov_b32 v17, s4
	s_mov_b32 s21, exec_lo
	s_delay_alu instid0(VALU_DEP_2)
	v_cmpx_ne_u32_e32 0x80, v89
	s_cbranch_execz .LBB214_831
; %bb.826:                              ;   in Loop: Header=BB214_425 Depth=1
	s_mov_b32 s8, s4
	v_bfe_u32 v88, v88, 24, 7
	v_dual_mov_b32 v18, s9 :: v_dual_mov_b32 v17, s8
	s_mov_b32 s8, exec_lo
	s_delay_alu instid0(VALU_DEP_2)
	v_cmpx_ne_u32_e32 0x7f, v88
	s_cbranch_execz .LBB214_830
; %bb.827:                              ;   in Loop: Header=BB214_425 Depth=1
	v_and_b32_e32 v5, 7, v89
	v_lshrrev_b32_e32 v17, 3, v88
	s_mov_b32 s22, exec_lo
	v_cmpx_gt_u32_e32 8, v88
; %bb.828:                              ;   in Loop: Header=BB214_425 Depth=1
	s_delay_alu instid0(VALU_DEP_3) | instskip(NEXT) | instid1(VALU_DEP_1)
	v_clz_i32_u32_e32 v17, v5
	v_min_u32_e32 v17, 32, v17
	s_delay_alu instid0(VALU_DEP_1) | instskip(SKIP_1) | instid1(VALU_DEP_2)
	v_subrev_nc_u32_e32 v18, 28, v17
	v_sub_nc_u32_e32 v17, 29, v17
	v_lshlrev_b64 v[90:91], v18, v[5:6]
	s_delay_alu instid0(VALU_DEP_1)
	v_and_b32_e32 v5, 7, v90
; %bb.829:                              ;   in Loop: Header=BB214_425 Depth=1
	s_or_b32 exec_lo, exec_lo, s22
	v_lshlrev_b32_e32 v18, 24, v89
	s_delay_alu instid0(VALU_DEP_2) | instskip(SKIP_1) | instid1(VALU_DEP_3)
	v_lshlrev_b32_e32 v5, 20, v5
	v_lshl_add_u32 v17, v17, 23, 0x3c000000
	v_and_b32_e32 v18, 0x80000000, v18
	s_delay_alu instid0(VALU_DEP_1)
	v_or3_b32 v18, v5, v18, v17
	v_mov_b32_e32 v17, v6
.LBB214_830:                            ;   in Loop: Header=BB214_425 Depth=1
	s_or_b32 exec_lo, exec_lo, s8
.LBB214_831:                            ;   in Loop: Header=BB214_425 Depth=1
	s_delay_alu instid0(SALU_CYCLE_1)
	s_or_b32 exec_lo, exec_lo, s21
.LBB214_832:                            ;   in Loop: Header=BB214_425 Depth=1
	s_delay_alu instid0(SALU_CYCLE_1) | instskip(SKIP_4) | instid1(VALU_DEP_3)
	s_or_b32 exec_lo, exec_lo, s20
	v_or_b32_e32 v5, v14, v12
	v_or_b32_e32 v11, v13, v11
	;; [unrolled: 1-line block ×4, first 2 shown]
	v_dual_mul_f32 v13, s19, v5 :: v_dual_mul_f32 v12, s18, v11
	s_delay_alu instid0(VALU_DEP_3) | instskip(NEXT) | instid1(VALU_DEP_3)
	v_mul_f32_e32 v5, s19, v14
	v_mul_f32_e32 v11, s18, v15
	s_and_saveexec_b32 s0, vcc_lo
	s_cbranch_execz .LBB214_423
; %bb.833:                              ;   in Loop: Header=BB214_425 Depth=1
	v_cmp_gt_i32_e32 vcc_lo, s33, v43
	v_cndmask_b32_e32 v12, 0, v12, vcc_lo
	v_cmp_gt_i32_e32 vcc_lo, s33, v46
	v_cndmask_b32_e32 v13, 0, v13, vcc_lo
	v_cmp_gt_i32_e32 vcc_lo, s33, v45
	v_cndmask_b32_e32 v11, 0, v11, vcc_lo
	v_cmp_gt_i32_e32 vcc_lo, s33, v44
	v_cndmask_b32_e32 v5, 0, v5, vcc_lo
	s_branch .LBB214_423
.LBB214_834:
	s_or_b32 exec_lo, exec_lo, s16
.LBB214_835:
	s_delay_alu instid0(SALU_CYCLE_1)
	s_or_b32 exec_lo, exec_lo, s1
	ds_bpermute_b32 v1, v22, v35
	ds_bpermute_b32 v2, v22, v34
	ds_bpermute_b32 v3, v22, v33
	ds_bpermute_b32 v4, v22, v32
	ds_bpermute_b32 v5, v22, v31
	ds_bpermute_b32 v6, v22, v30
	ds_bpermute_b32 v7, v22, v29
	ds_bpermute_b32 v8, v22, v28
	ds_bpermute_b32 v9, v22, v27
	ds_bpermute_b32 v10, v22, v26
	ds_bpermute_b32 v11, v22, v25
	ds_bpermute_b32 v12, v22, v24
	v_and_b32_e32 v15, 0x3c1, v0
	v_lshrrev_b32_e32 v13, 1, v21
	s_movk_i32 s0, 0x300
	s_waitcnt lgkmcnt(0)
	s_waitcnt_vscnt null, 0x0
	v_mad_u32_u24 v14, v61, s0, 0x320
	v_cmp_eq_u32_e32 vcc_lo, 64, v15
	v_lshlrev_b32_e32 v15, 2, v13
	s_barrier
	v_dual_add_f32 v1, v35, v1 :: v_dual_add_f32 v2, v34, v2
	v_dual_add_f32 v3, v33, v3 :: v_dual_add_f32 v4, v32, v4
	;; [unrolled: 1-line block ×6, first 2 shown]
	buffer_gl0_inv
	s_and_saveexec_b32 s0, vcc_lo
	s_cbranch_execz .LBB214_837
; %bb.836:
	v_add3_u32 v16, v14, v15, 0xfffffa00
	ds_store_2addr_b32 v16, v1, v2 offset1:16
	ds_store_2addr_b32 v16, v3, v4 offset0:32 offset1:48
	ds_store_2addr_b32 v16, v5, v6 offset0:64 offset1:80
	;; [unrolled: 1-line block ×5, first 2 shown]
.LBB214_837:
	s_or_b32 exec_lo, exec_lo, s0
	v_cmp_eq_u32_e32 vcc_lo, 0, v23
	s_mov_b32 s1, exec_lo
	s_waitcnt lgkmcnt(0)
	s_barrier
	buffer_gl0_inv
	v_cmpx_gt_u32_e32 64, v0
	s_cbranch_execz .LBB214_852
; %bb.838:
	s_and_saveexec_b32 s0, vcc_lo
	s_cbranch_execnz .LBB214_872
; %bb.839:
	s_or_b32 exec_lo, exec_lo, s0
	s_and_saveexec_b32 s0, vcc_lo
	s_cbranch_execnz .LBB214_873
.LBB214_840:
	s_or_b32 exec_lo, exec_lo, s0
	s_and_saveexec_b32 s0, vcc_lo
	s_cbranch_execnz .LBB214_874
.LBB214_841:
	s_or_b32 exec_lo, exec_lo, s0
	s_and_saveexec_b32 s0, vcc_lo
	s_cbranch_execnz .LBB214_875
.LBB214_842:
	s_or_b32 exec_lo, exec_lo, s0
	s_and_saveexec_b32 s0, vcc_lo
	s_cbranch_execnz .LBB214_876
.LBB214_843:
	s_or_b32 exec_lo, exec_lo, s0
	s_and_saveexec_b32 s0, vcc_lo
	s_cbranch_execnz .LBB214_877
.LBB214_844:
	s_or_b32 exec_lo, exec_lo, s0
	s_and_saveexec_b32 s0, vcc_lo
	s_cbranch_execnz .LBB214_878
.LBB214_845:
	s_or_b32 exec_lo, exec_lo, s0
	s_and_saveexec_b32 s0, vcc_lo
	s_cbranch_execnz .LBB214_879
.LBB214_846:
	s_or_b32 exec_lo, exec_lo, s0
	s_and_saveexec_b32 s0, vcc_lo
	s_cbranch_execnz .LBB214_880
.LBB214_847:
	s_or_b32 exec_lo, exec_lo, s0
	s_and_saveexec_b32 s0, vcc_lo
	s_cbranch_execnz .LBB214_881
.LBB214_848:
	s_or_b32 exec_lo, exec_lo, s0
	s_and_saveexec_b32 s0, vcc_lo
	s_cbranch_execnz .LBB214_882
.LBB214_849:
	s_or_b32 exec_lo, exec_lo, s0
	s_and_saveexec_b32 s0, vcc_lo
	s_cbranch_execz .LBB214_851
.LBB214_850:
	v_lshl_add_u32 v16, v13, 2, v14
	ds_load_b32 v16, v16 offset:704
	s_waitcnt lgkmcnt(0)
	v_add_f32_e32 v12, v12, v16
.LBB214_851:
	s_or_b32 exec_lo, exec_lo, s0
.LBB214_852:
	s_delay_alu instid0(SALU_CYCLE_1)
	s_or_b32 exec_lo, exec_lo, s1
	v_and_b32_e32 v16, 0x3e1, v0
	s_mov_b32 s1, exec_lo
	s_barrier
	buffer_gl0_inv
	v_cmpx_eq_u32_e32 32, v16
	s_cbranch_execz .LBB214_854
; %bb.853:
	v_add3_u32 v15, v14, v15, 0xfffffd00
	ds_store_2addr_b32 v15, v1, v2 offset1:16
	ds_store_2addr_b32 v15, v3, v4 offset0:32 offset1:48
	ds_store_2addr_b32 v15, v5, v6 offset0:64 offset1:80
	;; [unrolled: 1-line block ×5, first 2 shown]
.LBB214_854:
	s_or_b32 exec_lo, exec_lo, s1
	s_delay_alu instid0(SALU_CYCLE_1)
	s_mov_b32 s1, exec_lo
	s_waitcnt lgkmcnt(0)
	s_barrier
	buffer_gl0_inv
	v_cmpx_gt_u32_e32 32, v0
	s_cbranch_execz .LBB214_869
; %bb.855:
	v_lshl_add_u32 v13, v13, 2, v14
	s_and_saveexec_b32 s0, vcc_lo
	s_cbranch_execnz .LBB214_883
; %bb.856:
	s_or_b32 exec_lo, exec_lo, s0
	s_and_saveexec_b32 s0, vcc_lo
	s_cbranch_execnz .LBB214_884
.LBB214_857:
	s_or_b32 exec_lo, exec_lo, s0
	s_and_saveexec_b32 s0, vcc_lo
	s_cbranch_execnz .LBB214_885
.LBB214_858:
	s_or_b32 exec_lo, exec_lo, s0
	s_and_saveexec_b32 s0, vcc_lo
	s_cbranch_execnz .LBB214_886
.LBB214_859:
	s_or_b32 exec_lo, exec_lo, s0
	s_and_saveexec_b32 s0, vcc_lo
	s_cbranch_execnz .LBB214_887
.LBB214_860:
	s_or_b32 exec_lo, exec_lo, s0
	s_and_saveexec_b32 s0, vcc_lo
	s_cbranch_execnz .LBB214_888
.LBB214_861:
	s_or_b32 exec_lo, exec_lo, s0
	s_and_saveexec_b32 s0, vcc_lo
	s_cbranch_execnz .LBB214_889
.LBB214_862:
	s_or_b32 exec_lo, exec_lo, s0
	s_and_saveexec_b32 s0, vcc_lo
	s_cbranch_execnz .LBB214_890
.LBB214_863:
	s_or_b32 exec_lo, exec_lo, s0
	s_and_saveexec_b32 s0, vcc_lo
	s_cbranch_execnz .LBB214_891
.LBB214_864:
	s_or_b32 exec_lo, exec_lo, s0
	s_and_saveexec_b32 s0, vcc_lo
	s_cbranch_execnz .LBB214_892
.LBB214_865:
	s_or_b32 exec_lo, exec_lo, s0
	s_and_saveexec_b32 s0, vcc_lo
	s_cbranch_execnz .LBB214_893
.LBB214_866:
	s_or_b32 exec_lo, exec_lo, s0
	s_and_saveexec_b32 s0, vcc_lo
	s_cbranch_execz .LBB214_868
.LBB214_867:
	ds_load_b32 v13, v13 offset:704
	s_waitcnt lgkmcnt(0)
	v_add_f32_e32 v12, v12, v13
.LBB214_868:
	s_or_b32 exec_lo, exec_lo, s0
.LBB214_869:
	s_delay_alu instid0(SALU_CYCLE_1)
	s_or_b32 exec_lo, exec_lo, s1
	s_barrier
	buffer_gl0_inv
	s_mov_b32 s0, exec_lo
	v_cmpx_eq_u32_e32 0, v16
	s_cbranch_execz .LBB214_871
; %bb.870:
	s_mul_i32 s0, s2, 0xc0
	s_mul_i32 s2, s15, s30
	s_ashr_i32 s1, s0, 31
	v_lshlrev_b32_e32 v0, 1, v0
	s_lshl_b64 s[0:1], s[0:1], 2
	s_delay_alu instid0(SALU_CYCLE_1) | instskip(SKIP_2) | instid1(SALU_CYCLE_1)
	s_add_u32 s4, s28, s0
	s_addc_u32 s5, s29, s1
	s_ashr_i32 s3, s2, 31
	s_lshl_b64 s[0:1], s[2:3], 2
	s_mul_i32 s2, s12, 0xc0
	s_add_u32 s4, s4, s0
	s_addc_u32 s5, s5, s1
	s_ashr_i32 s3, s2, 31
	s_delay_alu instid0(SALU_CYCLE_1) | instskip(NEXT) | instid1(SALU_CYCLE_1)
	s_lshl_b64 s[0:1], s[2:3], 2
	s_add_u32 s0, s4, s0
	s_addc_u32 s1, s5, s1
	s_clause 0xb
	global_store_b32 v0, v1, s[0:1]
	global_store_b32 v0, v2, s[0:1] offset:64
	global_store_b32 v0, v3, s[0:1] offset:128
	;; [unrolled: 1-line block ×11, first 2 shown]
.LBB214_871:
	s_nop 0
	s_sendmsg sendmsg(MSG_DEALLOC_VGPRS)
	s_endpgm
.LBB214_872:
	v_lshl_add_u32 v16, v13, 2, v14
	ds_load_b32 v16, v16
	s_waitcnt lgkmcnt(0)
	v_add_f32_e32 v1, v1, v16
	s_or_b32 exec_lo, exec_lo, s0
	s_and_saveexec_b32 s0, vcc_lo
	s_cbranch_execz .LBB214_840
.LBB214_873:
	v_lshl_add_u32 v16, v13, 2, v14
	ds_load_b32 v16, v16 offset:64
	s_waitcnt lgkmcnt(0)
	v_add_f32_e32 v2, v2, v16
	s_or_b32 exec_lo, exec_lo, s0
	s_and_saveexec_b32 s0, vcc_lo
	s_cbranch_execz .LBB214_841
.LBB214_874:
	v_lshl_add_u32 v16, v13, 2, v14
	ds_load_b32 v16, v16 offset:128
	s_waitcnt lgkmcnt(0)
	v_add_f32_e32 v3, v3, v16
	s_or_b32 exec_lo, exec_lo, s0
	s_and_saveexec_b32 s0, vcc_lo
	s_cbranch_execz .LBB214_842
.LBB214_875:
	v_lshl_add_u32 v16, v13, 2, v14
	ds_load_b32 v16, v16 offset:192
	s_waitcnt lgkmcnt(0)
	v_add_f32_e32 v4, v4, v16
	s_or_b32 exec_lo, exec_lo, s0
	s_and_saveexec_b32 s0, vcc_lo
	s_cbranch_execz .LBB214_843
.LBB214_876:
	v_lshl_add_u32 v16, v13, 2, v14
	ds_load_b32 v16, v16 offset:256
	s_waitcnt lgkmcnt(0)
	v_add_f32_e32 v5, v5, v16
	s_or_b32 exec_lo, exec_lo, s0
	s_and_saveexec_b32 s0, vcc_lo
	s_cbranch_execz .LBB214_844
.LBB214_877:
	v_lshl_add_u32 v16, v13, 2, v14
	ds_load_b32 v16, v16 offset:320
	s_waitcnt lgkmcnt(0)
	v_add_f32_e32 v6, v6, v16
	s_or_b32 exec_lo, exec_lo, s0
	s_and_saveexec_b32 s0, vcc_lo
	s_cbranch_execz .LBB214_845
.LBB214_878:
	v_lshl_add_u32 v16, v13, 2, v14
	ds_load_b32 v16, v16 offset:384
	s_waitcnt lgkmcnt(0)
	v_add_f32_e32 v7, v7, v16
	s_or_b32 exec_lo, exec_lo, s0
	s_and_saveexec_b32 s0, vcc_lo
	s_cbranch_execz .LBB214_846
.LBB214_879:
	v_lshl_add_u32 v16, v13, 2, v14
	ds_load_b32 v16, v16 offset:448
	s_waitcnt lgkmcnt(0)
	v_add_f32_e32 v8, v8, v16
	s_or_b32 exec_lo, exec_lo, s0
	s_and_saveexec_b32 s0, vcc_lo
	s_cbranch_execz .LBB214_847
.LBB214_880:
	v_lshl_add_u32 v16, v13, 2, v14
	ds_load_b32 v16, v16 offset:512
	s_waitcnt lgkmcnt(0)
	v_add_f32_e32 v9, v9, v16
	s_or_b32 exec_lo, exec_lo, s0
	s_and_saveexec_b32 s0, vcc_lo
	s_cbranch_execz .LBB214_848
.LBB214_881:
	v_lshl_add_u32 v16, v13, 2, v14
	ds_load_b32 v16, v16 offset:576
	s_waitcnt lgkmcnt(0)
	v_add_f32_e32 v10, v10, v16
	s_or_b32 exec_lo, exec_lo, s0
	s_and_saveexec_b32 s0, vcc_lo
	s_cbranch_execz .LBB214_849
.LBB214_882:
	v_lshl_add_u32 v16, v13, 2, v14
	ds_load_b32 v16, v16 offset:640
	s_waitcnt lgkmcnt(0)
	v_add_f32_e32 v11, v11, v16
	s_or_b32 exec_lo, exec_lo, s0
	s_and_saveexec_b32 s0, vcc_lo
	s_cbranch_execnz .LBB214_850
	s_branch .LBB214_851
.LBB214_883:
	ds_load_b32 v14, v13
	s_waitcnt lgkmcnt(0)
	v_add_f32_e32 v1, v1, v14
	s_or_b32 exec_lo, exec_lo, s0
	s_and_saveexec_b32 s0, vcc_lo
	s_cbranch_execz .LBB214_857
.LBB214_884:
	ds_load_b32 v14, v13 offset:64
	s_waitcnt lgkmcnt(0)
	v_add_f32_e32 v2, v2, v14
	s_or_b32 exec_lo, exec_lo, s0
	s_and_saveexec_b32 s0, vcc_lo
	s_cbranch_execz .LBB214_858
.LBB214_885:
	ds_load_b32 v14, v13 offset:128
	s_waitcnt lgkmcnt(0)
	v_add_f32_e32 v3, v3, v14
	s_or_b32 exec_lo, exec_lo, s0
	s_and_saveexec_b32 s0, vcc_lo
	s_cbranch_execz .LBB214_859
.LBB214_886:
	ds_load_b32 v14, v13 offset:192
	s_waitcnt lgkmcnt(0)
	v_add_f32_e32 v4, v4, v14
	s_or_b32 exec_lo, exec_lo, s0
	s_and_saveexec_b32 s0, vcc_lo
	s_cbranch_execz .LBB214_860
.LBB214_887:
	ds_load_b32 v14, v13 offset:256
	s_waitcnt lgkmcnt(0)
	v_add_f32_e32 v5, v5, v14
	s_or_b32 exec_lo, exec_lo, s0
	s_and_saveexec_b32 s0, vcc_lo
	s_cbranch_execz .LBB214_861
.LBB214_888:
	ds_load_b32 v14, v13 offset:320
	s_waitcnt lgkmcnt(0)
	v_add_f32_e32 v6, v6, v14
	s_or_b32 exec_lo, exec_lo, s0
	s_and_saveexec_b32 s0, vcc_lo
	s_cbranch_execz .LBB214_862
.LBB214_889:
	ds_load_b32 v14, v13 offset:384
	s_waitcnt lgkmcnt(0)
	v_add_f32_e32 v7, v7, v14
	s_or_b32 exec_lo, exec_lo, s0
	s_and_saveexec_b32 s0, vcc_lo
	s_cbranch_execz .LBB214_863
.LBB214_890:
	ds_load_b32 v14, v13 offset:448
	s_waitcnt lgkmcnt(0)
	v_add_f32_e32 v8, v8, v14
	s_or_b32 exec_lo, exec_lo, s0
	s_and_saveexec_b32 s0, vcc_lo
	s_cbranch_execz .LBB214_864
.LBB214_891:
	ds_load_b32 v14, v13 offset:512
	s_waitcnt lgkmcnt(0)
	v_add_f32_e32 v9, v9, v14
	s_or_b32 exec_lo, exec_lo, s0
	s_and_saveexec_b32 s0, vcc_lo
	s_cbranch_execz .LBB214_865
.LBB214_892:
	ds_load_b32 v14, v13 offset:576
	s_waitcnt lgkmcnt(0)
	v_add_f32_e32 v10, v10, v14
	s_or_b32 exec_lo, exec_lo, s0
	s_and_saveexec_b32 s0, vcc_lo
	s_cbranch_execz .LBB214_866
.LBB214_893:
	ds_load_b32 v14, v13 offset:640
	s_waitcnt lgkmcnt(0)
	v_add_f32_e32 v11, v11, v14
	s_or_b32 exec_lo, exec_lo, s0
	s_and_saveexec_b32 s0, vcc_lo
	s_cbranch_execnz .LBB214_867
	s_branch .LBB214_868
	.section	.rodata,"a",@progbits
	.p2align	6, 0x0
	.amdhsa_kernel _ZN4vllm25paged_attention_v2_kernelIfhLi192ELi8ELi128ELNS_18Fp8KVCacheDataTypeE1ELb1ELi512EEEvPfS2_PT_PKS3_PKT0_S9_ifPKiSB_iPKfiiiSD_SD_iiiii
		.amdhsa_group_segment_fixed_size 800
		.amdhsa_private_segment_fixed_size 0
		.amdhsa_kernarg_size 400
		.amdhsa_user_sgpr_count 13
		.amdhsa_user_sgpr_dispatch_ptr 0
		.amdhsa_user_sgpr_queue_ptr 0
		.amdhsa_user_sgpr_kernarg_segment_ptr 1
		.amdhsa_user_sgpr_dispatch_id 0
		.amdhsa_user_sgpr_private_segment_size 0
		.amdhsa_wavefront_size32 1
		.amdhsa_uses_dynamic_stack 0
		.amdhsa_enable_private_segment 0
		.amdhsa_system_sgpr_workgroup_id_x 1
		.amdhsa_system_sgpr_workgroup_id_y 1
		.amdhsa_system_sgpr_workgroup_id_z 1
		.amdhsa_system_sgpr_workgroup_info 0
		.amdhsa_system_vgpr_workitem_id 0
		.amdhsa_next_free_vgpr 123
		.amdhsa_next_free_sgpr 53
		.amdhsa_reserve_vcc 1
		.amdhsa_float_round_mode_32 0
		.amdhsa_float_round_mode_16_64 0
		.amdhsa_float_denorm_mode_32 3
		.amdhsa_float_denorm_mode_16_64 3
		.amdhsa_dx10_clamp 1
		.amdhsa_ieee_mode 1
		.amdhsa_fp16_overflow 0
		.amdhsa_workgroup_processor_mode 1
		.amdhsa_memory_ordered 1
		.amdhsa_forward_progress 0
		.amdhsa_shared_vgpr_count 0
		.amdhsa_exception_fp_ieee_invalid_op 0
		.amdhsa_exception_fp_denorm_src 0
		.amdhsa_exception_fp_ieee_div_zero 0
		.amdhsa_exception_fp_ieee_overflow 0
		.amdhsa_exception_fp_ieee_underflow 0
		.amdhsa_exception_fp_ieee_inexact 0
		.amdhsa_exception_int_div_zero 0
	.end_amdhsa_kernel
	.section	.text._ZN4vllm25paged_attention_v2_kernelIfhLi192ELi8ELi128ELNS_18Fp8KVCacheDataTypeE1ELb1ELi512EEEvPfS2_PT_PKS3_PKT0_S9_ifPKiSB_iPKfiiiSD_SD_iiiii,"axG",@progbits,_ZN4vllm25paged_attention_v2_kernelIfhLi192ELi8ELi128ELNS_18Fp8KVCacheDataTypeE1ELb1ELi512EEEvPfS2_PT_PKS3_PKT0_S9_ifPKiSB_iPKfiiiSD_SD_iiiii,comdat
.Lfunc_end214:
	.size	_ZN4vllm25paged_attention_v2_kernelIfhLi192ELi8ELi128ELNS_18Fp8KVCacheDataTypeE1ELb1ELi512EEEvPfS2_PT_PKS3_PKT0_S9_ifPKiSB_iPKfiiiSD_SD_iiiii, .Lfunc_end214-_ZN4vllm25paged_attention_v2_kernelIfhLi192ELi8ELi128ELNS_18Fp8KVCacheDataTypeE1ELb1ELi512EEEvPfS2_PT_PKS3_PKT0_S9_ifPKiSB_iPKfiiiSD_SD_iiiii
                                        ; -- End function
	.section	.AMDGPU.csdata,"",@progbits
; Kernel info:
; codeLenInByte = 29244
; NumSgprs: 55
; NumVgprs: 123
; ScratchSize: 0
; MemoryBound: 0
; FloatMode: 240
; IeeeMode: 1
; LDSByteSize: 800 bytes/workgroup (compile time only)
; SGPRBlocks: 6
; VGPRBlocks: 15
; NumSGPRsForWavesPerEU: 55
; NumVGPRsForWavesPerEU: 123
; Occupancy: 10
; WaveLimiterHint : 1
; COMPUTE_PGM_RSRC2:SCRATCH_EN: 0
; COMPUTE_PGM_RSRC2:USER_SGPR: 13
; COMPUTE_PGM_RSRC2:TRAP_HANDLER: 0
; COMPUTE_PGM_RSRC2:TGID_X_EN: 1
; COMPUTE_PGM_RSRC2:TGID_Y_EN: 1
; COMPUTE_PGM_RSRC2:TGID_Z_EN: 1
; COMPUTE_PGM_RSRC2:TIDIG_COMP_CNT: 0
	.text
	.p2align	2                               ; -- Begin function _ZN4vllm22paged_attention_kernelIfhLi256ELi8ELi128ELNS_18Fp8KVCacheDataTypeE1ELb1ELi512EEEvPfS2_PT_PKS3_PKT0_S9_ifPKiSB_iPKfiiiSD_SD_iiiii
	.type	_ZN4vllm22paged_attention_kernelIfhLi256ELi8ELi128ELNS_18Fp8KVCacheDataTypeE1ELb1ELi512EEEvPfS2_PT_PKS3_PKT0_S9_ifPKiSB_iPKfiiiSD_SD_iiiii,@function
_ZN4vllm22paged_attention_kernelIfhLi256ELi8ELi128ELNS_18Fp8KVCacheDataTypeE1ELb1ELi512EEEvPfS2_PT_PKS3_PKT0_S9_ifPKiSB_iPKfiiiSD_SD_iiiii: ; @_ZN4vllm22paged_attention_kernelIfhLi256ELi8ELi128ELNS_18Fp8KVCacheDataTypeE1ELb1ELi512EEEvPfS2_PT_PKS3_PKT0_S9_ifPKiSB_iPKfiiiSD_SD_iiiii
; %bb.0:
	s_waitcnt vmcnt(0) expcnt(0) lgkmcnt(0)
	s_clause 0x1f
	scratch_store_b32 off, v40, s32 offset:252
	; meta instruction
	scratch_store_b32 off, v41, s32 offset:248
	; meta instruction
	;; [unrolled: 2-line block ×31, first 2 shown]
	scratch_store_b32 off, v95, s32 offset:128
	s_clause 0x1d
	scratch_store_b32 off, v104, s32 offset:124
	; meta instruction
	scratch_store_b32 off, v105, s32 offset:120
	; meta instruction
	;; [unrolled: 2-line block ×29, first 2 shown]
	scratch_store_b32 off, v157, s32 offset:8
	s_mov_b32 s10, s13
	s_ashr_i32 s11, s13, 31
	s_mov_b32 s6, s15
	s_lshl_b64 s[0:1], s[10:11], 2
	s_lshl_b32 s15, s14, 9
	v_add_co_u32 v16, vcc_lo, v16, s0
	v_add_co_ci_u32_e32 v17, vcc_lo, s1, v17, vcc_lo
	s_mov_b32 s16, exec_lo
	flat_load_b32 v134, v[16:17]
	s_clause 0x1
	scratch_load_b32 v32, off, s32 offset:4
	scratch_load_b32 v33, off, s32
	s_waitcnt vmcnt(2) lgkmcnt(0)
	v_cmpx_lt_i32_e64 s15, v134
	s_cbranch_execz .LBB215_1143
; %bb.1:
	v_sub_nc_u32_e32 v16, 0, v12
	s_clause 0x1
	s_load_b32 s0, s[8:9], 0x10
	s_load_b32 s1, s[8:9], 0x0
	v_mov_b32_e32 v151, 0
	v_max_i32_e32 v16, v12, v16
	s_delay_alu instid0(VALU_DEP_1) | instskip(SKIP_1) | instid1(VALU_DEP_2)
	v_cvt_f32_u32_e32 v17, v16
	v_sub_nc_u32_e32 v34, 0, v16
	v_rcp_iflag_f32_e32 v17, v17
	s_waitcnt lgkmcnt(0)
	s_lshr_b32 s0, s0, 16
	s_delay_alu instid0(SALU_CYCLE_1) | instskip(SKIP_3) | instid1(SALU_CYCLE_1)
	s_cmp_lg_u32 s0, 0
	s_waitcnt_depctr 0xfff
	v_mul_f32_e32 v17, 0x4f7ffffe, v17
	s_cselect_b32 s0, -1, 0
	s_cmp_lg_u32 s0, 0
	s_delay_alu instid0(VALU_DEP_1) | instskip(SKIP_3) | instid1(VALU_DEP_1)
	v_cvt_u32_f32_e32 v17, v17
	s_addc_u32 s11, s1, 0
	s_mov_b32 s1, exec_lo
	s_abs_i32 s0, s11
	v_mul_lo_u32 v34, v34, v17
	s_delay_alu instid0(VALU_DEP_1) | instskip(NEXT) | instid1(VALU_DEP_1)
	v_mul_hi_u32 v34, v17, v34
	v_add_nc_u32_e32 v17, v17, v34
	s_delay_alu instid0(VALU_DEP_1) | instskip(NEXT) | instid1(VALU_DEP_1)
	v_mul_hi_u32 v17, s0, v17
	v_mul_lo_u32 v34, v17, v16
	v_add_nc_u32_e32 v35, 1, v17
	s_delay_alu instid0(VALU_DEP_2) | instskip(SKIP_1) | instid1(VALU_DEP_1)
	v_sub_nc_u32_e32 v34, s0, v34
	s_abs_i32 s0, s12
	v_sub_nc_u32_e32 v36, v34, v16
	v_cmp_ge_u32_e32 vcc_lo, v34, v16
	s_delay_alu instid0(VALU_DEP_2) | instskip(SKIP_1) | instid1(VALU_DEP_2)
	v_dual_cndmask_b32 v17, v17, v35 :: v_dual_cndmask_b32 v34, v34, v36
	v_xor_b32_e32 v35, s11, v12
	v_add_nc_u32_e32 v36, 1, v17
	s_delay_alu instid0(VALU_DEP_3) | instskip(NEXT) | instid1(VALU_DEP_3)
	v_cmp_ge_u32_e32 vcc_lo, v34, v16
	v_ashrrev_i32_e32 v35, 31, v35
	s_delay_alu instid0(VALU_DEP_3) | instskip(NEXT) | instid1(VALU_DEP_1)
	v_cndmask_b32_e32 v16, v17, v36, vcc_lo
	v_xor_b32_e32 v16, v16, v35
	s_delay_alu instid0(VALU_DEP_1) | instskip(NEXT) | instid1(VALU_DEP_1)
	v_sub_nc_u32_e32 v35, v16, v35
	v_sub_nc_u32_e32 v16, 0, v35
	s_delay_alu instid0(VALU_DEP_1) | instskip(NEXT) | instid1(VALU_DEP_1)
	v_max_i32_e32 v34, v35, v16
	v_cvt_f32_u32_e32 v16, v34
	v_sub_nc_u32_e32 v17, 0, v34
	s_delay_alu instid0(VALU_DEP_2) | instskip(SKIP_2) | instid1(VALU_DEP_1)
	v_rcp_iflag_f32_e32 v16, v16
	s_waitcnt_depctr 0xfff
	v_mul_f32_e32 v16, 0x4f7ffffe, v16
	v_cvt_u32_f32_e32 v16, v16
	s_delay_alu instid0(VALU_DEP_1) | instskip(NEXT) | instid1(VALU_DEP_1)
	v_mul_lo_u32 v17, v17, v16
	v_mul_hi_u32 v17, v16, v17
	s_delay_alu instid0(VALU_DEP_1) | instskip(NEXT) | instid1(VALU_DEP_1)
	v_add_nc_u32_e32 v36, v16, v17
	v_mad_u64_u32 v[16:17], null, s0, v36, 0
	v_cmpx_ne_u64_e32 0, v[19:20]
	s_cbranch_execz .LBB215_3
; %bb.2:
	s_ashr_i32 s13, s12, 31
	s_delay_alu instid0(SALU_CYCLE_1) | instskip(NEXT) | instid1(SALU_CYCLE_1)
	s_lshl_b64 s[2:3], s[12:13], 2
	v_add_co_u32 v19, vcc_lo, v19, s2
	v_add_co_ci_u32_e32 v20, vcc_lo, s3, v20, vcc_lo
	flat_load_b32 v151, v[19:20]
.LBB215_3:
	s_or_b32 exec_lo, exec_lo, s1
	s_clause 0x1
	s_load_b32 s1, s[8:9], 0x14
	s_load_b32 s13, s[8:9], 0x8
	v_and_b32_e32 v39, 0x3ff, v31
	s_lshl_b32 s4, s12, 8
	s_mov_b32 s2, exec_lo
	s_ashr_i32 s5, s4, 31
	s_delay_alu instid0(VALU_DEP_1)
	v_and_b32_e32 v160, 3, v39
	v_cmpx_gt_u32_e32 0x100, v39
	s_cbranch_execz .LBB215_6
; %bb.4:
	v_mul_lo_u32 v19, s10, v21
	v_and_b32_e32 v21, 0x3fc, v39
	s_lshl_b64 s[8:9], s[4:5], 2
	v_lshrrev_b32_e32 v31, 2, v39
	s_mov_b32 s3, 0
	s_delay_alu instid0(VALU_DEP_2) | instskip(NEXT) | instid1(VALU_DEP_4)
	v_or_b32_e32 v16, v21, v160
	v_ashrrev_i32_e32 v20, 31, v19
	s_delay_alu instid0(VALU_DEP_2) | instskip(NEXT) | instid1(VALU_DEP_2)
	v_lshlrev_b32_e32 v16, 2, v16
	v_lshlrev_b64 v[19:20], 2, v[19:20]
	s_delay_alu instid0(VALU_DEP_1) | instskip(NEXT) | instid1(VALU_DEP_2)
	v_add_co_u32 v19, vcc_lo, v19, s8
	v_add_co_ci_u32_e32 v20, vcc_lo, s9, v20, vcc_lo
	s_delay_alu instid0(VALU_DEP_2) | instskip(NEXT) | instid1(VALU_DEP_2)
	v_add_co_u32 v19, vcc_lo, v19, v16
	v_add_co_ci_u32_e32 v20, vcc_lo, 0, v20, vcc_lo
	v_subrev_nc_u32_e32 v16, 32, v31
	s_delay_alu instid0(VALU_DEP_3) | instskip(NEXT) | instid1(VALU_DEP_3)
	v_add_co_u32 v6, vcc_lo, v6, v19
	v_add_co_ci_u32_e32 v7, vcc_lo, v7, v20, vcc_lo
	v_lshl_add_u32 v19, v160, 8, v21
	.p2align	6
.LBB215_5:                              ; =>This Inner Loop Header: Depth=1
	flat_load_b32 v20, v[6:7]
	v_add_co_u32 v16, s5, v16, 32
	v_add_co_u32 v6, vcc_lo, 0x200, v6
	s_xor_b32 s5, s5, -1
	v_add_co_ci_u32_e32 v7, vcc_lo, 0, v7, vcc_lo
	s_and_b32 s5, exec_lo, s5
	s_delay_alu instid0(SALU_CYCLE_1)
	s_or_b32 s3, s5, s3
	s_waitcnt vmcnt(0) lgkmcnt(0)
	ds_store_b32 v19, v20
	v_add_nc_u32_e32 v19, 0x80, v19
	s_and_not1_b32 exec_lo, exec_lo, s3
	s_cbranch_execnz .LBB215_5
.LBB215_6:
	s_or_b32 exec_lo, exec_lo, s2
	s_waitcnt vmcnt(0)
	v_sub_nc_u32_e32 v7, 0, v33
	v_mul_lo_u32 v16, v17, v34
	v_ashrrev_i32_e32 v6, 31, v35
	s_waitcnt lgkmcnt(0)
	s_lshr_b32 s5, s1, 16
	s_ashr_i32 s1, s12, 31
	v_max_i32_e32 v135, v33, v7
	s_waitcnt_vscnt null, 0x0
	v_xor_b32_e32 v35, s1, v6
	s_barrier
	v_sub_nc_u32_e32 v16, s0, v16
	v_cvt_f32_u32_e32 v7, v135
	v_sub_nc_u32_e32 v19, 0, v135
	s_mov_b32 s0, exec_lo
	buffer_gl0_inv
	v_sub_nc_u32_e32 v21, v16, v34
	v_rcp_iflag_f32_e32 v7, v7
	v_cmp_ge_u32_e32 vcc_lo, v16, v34
	v_add_nc_u32_e32 v20, 1, v17
	s_delay_alu instid0(VALU_DEP_1) | instskip(SKIP_4) | instid1(VALU_DEP_3)
	v_dual_cndmask_b32 v20, v17, v20 :: v_dual_add_nc_u32 v17, -1, v134
	s_waitcnt_depctr 0xfff
	v_dual_cndmask_b32 v16, v16, v21 :: v_dual_mul_f32 v7, 0x4f7ffffe, v7
	v_add_nc_u32_e32 v21, 1, v20
	v_sub_nc_u32_e32 v31, 0, v17
	v_cmp_ge_u32_e32 vcc_lo, v16, v34
	s_delay_alu instid0(VALU_DEP_4) | instskip(NEXT) | instid1(VALU_DEP_3)
	v_cvt_u32_f32_e32 v7, v7
	v_max_i32_e32 v16, v17, v31
	v_cndmask_b32_e32 v6, v20, v21, vcc_lo
	s_delay_alu instid0(VALU_DEP_3) | instskip(NEXT) | instid1(VALU_DEP_1)
	v_mul_lo_u32 v19, v19, v7
                                        ; implicit-def: $vgpr20
	v_mul_hi_u32 v19, v7, v19
	s_delay_alu instid0(VALU_DEP_1) | instskip(NEXT) | instid1(VALU_DEP_4)
	v_add_nc_u32_e32 v144, v7, v19
	v_xor_b32_e32 v19, v6, v35
	s_delay_alu instid0(VALU_DEP_2) | instskip(NEXT) | instid1(VALU_DEP_2)
	v_mad_u64_u32 v[6:7], null, v16, v144, 0
	v_sub_nc_u32_e32 v6, v19, v35
	v_cmpx_gt_i32_e32 0, v32
	s_xor_b32 s0, exec_lo, s0
; %bb.7:
	s_delay_alu instid0(VALU_DEP_2) | instskip(NEXT) | instid1(VALU_DEP_1)
	v_mad_u64_u32 v[19:20], null, v28, v12, v[6:7]
                                        ; implicit-def: $vgpr28
	v_mul_lo_u32 v12, v19, v32
                                        ; implicit-def: $vgpr32
	s_delay_alu instid0(VALU_DEP_1)
	v_sub_nc_u32_e32 v20, 1, v12
; %bb.8:
	s_or_saveexec_b32 s0, s0
	v_ashrrev_i32_e32 v12, 31, v17
	v_ashrrev_i32_e32 v145, 31, v33
	s_xor_b32 exec_lo, exec_lo, s0
; %bb.9:
	v_mad_u64_u32 v[19:20], null, s11, v28, s[12:13]
	s_delay_alu instid0(VALU_DEP_1)
	v_mad_u64_u32 v[20:21], null, v19, v32, 1
; %bb.10:
	s_or_b32 exec_lo, exec_lo, s0
	v_mul_lo_u32 v17, v7, v135
	v_dual_mov_b32 v162, 0xff7fffff :: v_dual_add_nc_u32 v19, 7, v134
	v_add_nc_u32_e32 v21, 1, v7
	v_xor_b32_e32 v31, v12, v145
	s_lshl_b32 s17, s14, 6
	v_sub_nc_u32_e32 v149, 0, v30
	s_add_i32 s0, s17, 64
	v_sub_nc_u32_e32 v17, v16, v17
	v_mul_lo_u32 v16, s10, v18
	v_ashrrev_i32_e32 v18, 31, v19
	v_mbcnt_lo_u32_b32 v161, -1, 0
	s_delay_alu instid0(VALU_DEP_4) | instskip(SKIP_1) | instid1(VALU_DEP_4)
	v_sub_nc_u32_e32 v28, v17, v135
	v_cmp_ge_u32_e32 vcc_lo, v17, v135
	v_lshrrev_b32_e32 v12, 29, v18
	v_cndmask_b32_e32 v7, v7, v21, vcc_lo
	s_delay_alu instid0(VALU_DEP_4) | instskip(NEXT) | instid1(VALU_DEP_3)
	v_cndmask_b32_e32 v17, v17, v28, vcc_lo
	v_add_nc_u32_e32 v19, v19, v12
	v_lshrrev_b32_e32 v21, 5, v39
	v_mul_lo_u32 v12, v6, v23
	v_add_nc_u32_e32 v18, 1, v7
	v_cmp_ge_u32_e32 vcc_lo, v17, v135
	v_ashrrev_i32_e32 v23, 3, v19
	v_ashrrev_i32_e32 v17, 31, v16
	v_or_b32_e32 v112, s17, v21
	v_lshl_add_u32 v146, v21, 3, s15
	v_cndmask_b32_e32 v7, v7, v18, vcc_lo
	v_min_i32_e32 v147, s0, v23
	v_lshlrev_b64 v[114:115], 2, v[16:17]
	v_ashrrev_i32_e32 v150, 31, v12
	v_ashrrev_i32_e32 v113, 31, v112
	v_xor_b32_e32 v6, v7, v31
	v_cmp_lt_i32_e64 s0, v112, v147
	s_delay_alu instid0(VALU_DEP_2) | instskip(NEXT) | instid1(VALU_DEP_1)
	v_sub_nc_u32_e32 v6, v6, v31
	v_sub_nc_u32_e32 v148, v6, v29
	s_delay_alu instid0(VALU_DEP_3)
	s_and_saveexec_b32 s18, s0
	s_cbranch_execz .LBB215_532
; %bb.11:
	v_max_i32_e32 v163, v30, v149
	s_ashr_i32 s7, s6, 31
	s_getpc_b64 s[2:3]
	s_add_u32 s2, s2, llvm.amdgcn.dynlds.offset.table@rel32@lo+4
	s_addc_u32 s3, s3, llvm.amdgcn.dynlds.offset.table@rel32@hi+12
	s_lshl_b64 s[8:9], s[6:7], 2
	v_bfe_u32 v164, v39, 2, 3
	v_cvt_f32_u32_e32 v6, v163
	v_sub_nc_u32_e32 v17, 0, v163
	s_add_u32 s8, s8, s2
	s_addc_u32 s9, s9, s3
	v_add_co_u32 v8, s1, v8, v12
	v_rcp_iflag_f32_e32 v16, v6
	v_mov_b32_e32 v29, 0
	s_load_b32 s7, s[8:9], 0x0
	v_lshlrev_b64 v[6:7], 2, v[112:113]
	v_dual_mov_b32 v167, 0xff7fffff :: v_dual_lshlrev_b32 v18, 4, v164
	v_add_co_ci_u32_e64 v9, s1, v9, v150, s1
	v_lshlrev_b32_e32 v19, 2, v164
	s_delay_alu instid0(VALU_DEP_4) | instskip(NEXT) | instid1(TRANS32_DEP_1)
	v_add_co_u32 v6, s2, v114, v6
	v_mul_f32_e32 v16, 0x4f7ffffe, v16
	v_add_co_ci_u32_e64 v7, s2, v115, v7, s2
	v_sub_nc_u32_e32 v28, v164, v134
	v_add_co_u32 v116, s2, v8, v18
	s_delay_alu instid0(VALU_DEP_4) | instskip(SKIP_2) | instid1(VALU_DEP_3)
	v_cvt_u32_f32_e32 v16, v16
	v_add_co_ci_u32_e64 v117, s2, 0, v9, s2
	v_add_co_u32 v118, s2, v14, v6
	v_mul_lo_u32 v17, v17, v16
	v_cmp_eq_u32_e32 vcc_lo, 0, v160
	v_dual_mov_b32 v162, 0xff7fffff :: v_dual_lshlrev_b32 v165, 8, v160
	v_cmp_neq_f32_e64 s1, 0, v151
	v_lshl_add_u32 v166, v21, 3, s15
	v_lshl_or_b32 v176, v21, 5, v19
	v_add_nc_u32_e32 v177, 1, v28
	v_mul_hi_u32 v17, v16, v17
	v_add_co_ci_u32_e64 v119, s2, v15, v7, s2
	v_mov_b32_e32 v179, v112
	s_mov_b32 s19, 0
	s_delay_alu instid0(VALU_DEP_3)
	v_add_nc_u32_e32 v178, v16, v17
	s_branch .LBB215_14
.LBB215_12:                             ;   in Loop: Header=BB215_14 Depth=1
	s_or_b32 exec_lo, exec_lo, s20
.LBB215_13:                             ;   in Loop: Header=BB215_14 Depth=1
	s_delay_alu instid0(SALU_CYCLE_1) | instskip(SKIP_2) | instid1(VALU_DEP_1)
	s_or_b32 exec_lo, exec_lo, s3
	v_add_nc_u32_e32 v179, 4, v179
	v_add_co_u32 v118, s3, v118, 16
	v_add_co_ci_u32_e64 v119, s3, 0, v119, s3
	s_delay_alu instid0(VALU_DEP_3) | instskip(SKIP_2) | instid1(VALU_DEP_3)
	v_cmp_ge_i32_e64 s2, v179, v147
	v_add_nc_u32_e32 v166, 32, v166
	v_add_nc_u32_e32 v176, 0x80, v176
	s_or_b32 s19, s2, s19
	s_delay_alu instid0(SALU_CYCLE_1)
	s_and_not1_b32 exec_lo, exec_lo, s19
	s_cbranch_execz .LBB215_531
.LBB215_14:                             ; =>This Inner Loop Header: Depth=1
	v_sub_nc_u32_e32 v6, 0, v166
	s_delay_alu instid0(VALU_DEP_1) | instskip(SKIP_1) | instid1(VALU_DEP_1)
	v_max_i32_e32 v6, v166, v6
	s_waitcnt lgkmcnt(0)
	v_mul_hi_u32 v7, v6, v144
	s_delay_alu instid0(VALU_DEP_1) | instskip(NEXT) | instid1(VALU_DEP_1)
	v_mul_lo_u32 v8, v7, v135
	v_sub_nc_u32_e32 v6, v6, v8
	v_add_nc_u32_e32 v8, 1, v7
	s_delay_alu instid0(VALU_DEP_2) | instskip(SKIP_1) | instid1(VALU_DEP_1)
	v_sub_nc_u32_e32 v9, v6, v135
	v_cmp_ge_u32_e64 s2, v6, v135
	v_cndmask_b32_e64 v7, v7, v8, s2
	s_delay_alu instid0(VALU_DEP_3) | instskip(SKIP_1) | instid1(VALU_DEP_3)
	v_cndmask_b32_e64 v6, v6, v9, s2
	v_ashrrev_i32_e32 v8, 31, v166
	v_add_nc_u32_e32 v9, 1, v7
	s_delay_alu instid0(VALU_DEP_3) | instskip(NEXT) | instid1(VALU_DEP_3)
	v_cmp_ge_u32_e64 s2, v6, v135
	v_xor_b32_e32 v8, v8, v145
	s_delay_alu instid0(VALU_DEP_2) | instskip(NEXT) | instid1(VALU_DEP_1)
	v_cndmask_b32_e64 v6, v7, v9, s2
	v_xor_b32_e32 v6, v6, v8
	s_delay_alu instid0(VALU_DEP_1) | instskip(NEXT) | instid1(VALU_DEP_1)
	v_sub_nc_u32_e32 v6, v6, v8
	v_add_nc_u32_e32 v7, v6, v20
	v_cmp_le_i32_e64 s3, v6, v148
	s_delay_alu instid0(VALU_DEP_2) | instskip(NEXT) | instid1(VALU_DEP_1)
	v_sub_nc_u32_e32 v8, 0, v7
	v_max_i32_e32 v8, v7, v8
	v_ashrrev_i32_e32 v7, 31, v7
	s_delay_alu instid0(VALU_DEP_2) | instskip(NEXT) | instid1(VALU_DEP_1)
	v_mul_hi_u32 v9, v8, v178
	v_mul_lo_u32 v9, v9, v163
	s_delay_alu instid0(VALU_DEP_1) | instskip(NEXT) | instid1(VALU_DEP_1)
	v_sub_nc_u32_e32 v8, v8, v9
	v_sub_nc_u32_e32 v9, v8, v163
	v_cmp_ge_u32_e64 s2, v8, v163
	s_delay_alu instid0(VALU_DEP_1) | instskip(NEXT) | instid1(VALU_DEP_1)
	v_cndmask_b32_e64 v8, v8, v9, s2
	v_sub_nc_u32_e32 v9, v8, v163
	v_cmp_ge_u32_e64 s2, v8, v163
	s_delay_alu instid0(VALU_DEP_1) | instskip(NEXT) | instid1(VALU_DEP_1)
	v_cndmask_b32_e64 v8, v8, v9, s2
	v_xor_b32_e32 v8, v8, v7
	s_delay_alu instid0(VALU_DEP_1) | instskip(NEXT) | instid1(VALU_DEP_1)
	v_sub_nc_u32_e32 v7, v8, v7
	v_cmp_ne_u32_e64 s2, 0, v7
	s_delay_alu instid0(VALU_DEP_1) | instskip(NEXT) | instid1(SALU_CYCLE_1)
	s_and_b32 s2, s2, s3
	s_and_b32 s20, vcc_lo, s2
	s_delay_alu instid0(SALU_CYCLE_1)
	s_and_saveexec_b32 s3, s20
	s_cbranch_execz .LBB215_16
; %bb.15:                               ;   in Loop: Header=BB215_14 Depth=1
	s_waitcnt lgkmcnt(0)
	v_add_nc_u32_e32 v6, s7, v176
	ds_store_b32 v6, v167
.LBB215_16:                             ;   in Loop: Header=BB215_14 Depth=1
	s_or_b32 exec_lo, exec_lo, s3
	s_xor_b32 s2, s2, -1
	s_delay_alu instid0(SALU_CYCLE_1)
	s_and_saveexec_b32 s3, s2
	s_cbranch_execz .LBB215_13
; %bb.17:                               ;   in Loop: Header=BB215_14 Depth=1
	flat_load_b32 v8, v[118:119]
	v_dual_mov_b32 v181, 0 :: v_dual_mov_b32 v182, 0
	s_mov_b32 s20, exec_lo
	s_waitcnt vmcnt(0) lgkmcnt(0)
	v_mad_i64_i32 v[6:7], null, v8, v22, v[116:117]
	s_delay_alu instid0(VALU_DEP_1) | instskip(NEXT) | instid1(VALU_DEP_1)
	v_add_co_u32 v130, s2, v6, v160
	v_add_co_ci_u32_e64 v131, s2, 0, v7, s2
	flat_load_u8 v132, v[130:131]
	flat_load_b32 v180, v[24:25]
	ds_load_b128 v[100:103], v165
	ds_load_b128 v[96:99], v165 offset:16
	ds_load_b128 v[84:87], v165 offset:32
	;; [unrolled: 1-line block ×11, first 2 shown]
	ds_load_b64 v[128:129], v165 offset:192
	s_waitcnt vmcnt(1) lgkmcnt(14)
	v_cmpx_ne_u16_e64 0, v132
	s_cbranch_execz .LBB215_25
; %bb.18:                               ;   in Loop: Header=BB215_14 Depth=1
	v_bfrev_b32_e32 v182, 1
	s_mov_b32 s21, exec_lo
	v_cmpx_ne_u16_e64 0x80, v132
	s_cbranch_execz .LBB215_24
; %bb.19:                               ;   in Loop: Header=BB215_14 Depth=1
	v_and_b32_e32 v28, 0xffff, v132
	v_mov_b32_e32 v182, 0x7f800001
	s_mov_b32 s22, exec_lo
	s_delay_alu instid0(VALU_DEP_2) | instskip(NEXT) | instid1(VALU_DEP_1)
	v_and_b32_e32 v183, 0x7f, v28
	v_cmpx_ne_u32_e32 0x7f, v183
	s_cbranch_execz .LBB215_23
; %bb.20:                               ;   in Loop: Header=BB215_14 Depth=1
	v_and_b32_e32 v28, 7, v28
	v_lshrrev_b32_e32 v133, 3, v183
	s_mov_b32 s23, exec_lo
	v_cmpx_gt_u32_e32 8, v183
; %bb.21:                               ;   in Loop: Header=BB215_14 Depth=1
	s_delay_alu instid0(VALU_DEP_3) | instskip(NEXT) | instid1(VALU_DEP_1)
	v_clz_i32_u32_e32 v133, v28
	v_min_u32_e32 v133, 32, v133
	s_delay_alu instid0(VALU_DEP_1) | instskip(SKIP_1) | instid1(VALU_DEP_2)
	v_subrev_nc_u32_e32 v182, 28, v133
	v_sub_nc_u32_e32 v133, 29, v133
	v_lshlrev_b64 v[182:183], v182, v[28:29]
	s_delay_alu instid0(VALU_DEP_1)
	v_and_b32_e32 v28, 7, v182
; %bb.22:                               ;   in Loop: Header=BB215_14 Depth=1
	s_or_b32 exec_lo, exec_lo, s23
	v_lshlrev_b32_e32 v132, 24, v132
	s_delay_alu instid0(VALU_DEP_2) | instskip(SKIP_1) | instid1(VALU_DEP_3)
	v_lshlrev_b32_e32 v28, 20, v28
	v_lshl_add_u32 v133, v133, 23, 0x3c000000
	v_and_b32_e32 v132, 0x80000000, v132
	s_delay_alu instid0(VALU_DEP_1)
	v_or3_b32 v182, v28, v132, v133
.LBB215_23:                             ;   in Loop: Header=BB215_14 Depth=1
	s_or_b32 exec_lo, exec_lo, s22
.LBB215_24:                             ;   in Loop: Header=BB215_14 Depth=1
	s_delay_alu instid0(SALU_CYCLE_1)
	s_or_b32 exec_lo, exec_lo, s21
.LBB215_25:                             ;   in Loop: Header=BB215_14 Depth=1
	s_delay_alu instid0(SALU_CYCLE_1)
	s_or_b32 exec_lo, exec_lo, s20
	flat_load_u8 v132, v[130:131] offset:4
	s_mov_b32 s20, exec_lo
	s_waitcnt vmcnt(0) lgkmcnt(0)
	v_cmpx_ne_u16_e64 0, v132
	s_cbranch_execz .LBB215_33
; %bb.26:                               ;   in Loop: Header=BB215_14 Depth=1
	v_bfrev_b32_e32 v181, 1
	s_mov_b32 s21, exec_lo
	v_cmpx_ne_u16_e64 0x80, v132
	s_cbranch_execz .LBB215_32
; %bb.27:                               ;   in Loop: Header=BB215_14 Depth=1
	v_and_b32_e32 v28, 0xffff, v132
	v_mov_b32_e32 v181, 0x7f800001
	s_mov_b32 s22, exec_lo
	s_delay_alu instid0(VALU_DEP_2) | instskip(NEXT) | instid1(VALU_DEP_1)
	v_and_b32_e32 v183, 0x7f, v28
	v_cmpx_ne_u32_e32 0x7f, v183
	s_cbranch_execz .LBB215_31
; %bb.28:                               ;   in Loop: Header=BB215_14 Depth=1
	v_and_b32_e32 v28, 7, v28
	v_lshrrev_b32_e32 v133, 3, v183
	s_mov_b32 s23, exec_lo
	v_cmpx_gt_u32_e32 8, v183
; %bb.29:                               ;   in Loop: Header=BB215_14 Depth=1
	s_delay_alu instid0(VALU_DEP_3) | instskip(NEXT) | instid1(VALU_DEP_1)
	v_clz_i32_u32_e32 v133, v28
	v_min_u32_e32 v133, 32, v133
	s_delay_alu instid0(VALU_DEP_1) | instskip(SKIP_1) | instid1(VALU_DEP_2)
	v_subrev_nc_u32_e32 v181, 28, v133
	v_sub_nc_u32_e32 v133, 29, v133
	v_lshlrev_b64 v[40:41], v181, v[28:29]
	s_delay_alu instid0(VALU_DEP_1)
	v_and_b32_e32 v28, 7, v40
; %bb.30:                               ;   in Loop: Header=BB215_14 Depth=1
	s_or_b32 exec_lo, exec_lo, s23
	v_lshlrev_b32_e32 v132, 24, v132
	s_delay_alu instid0(VALU_DEP_2) | instskip(SKIP_1) | instid1(VALU_DEP_3)
	v_lshlrev_b32_e32 v28, 20, v28
	v_lshl_add_u32 v133, v133, 23, 0x3c000000
	v_and_b32_e32 v132, 0x80000000, v132
	s_delay_alu instid0(VALU_DEP_1)
	v_or3_b32 v181, v28, v132, v133
.LBB215_31:                             ;   in Loop: Header=BB215_14 Depth=1
	s_or_b32 exec_lo, exec_lo, s22
.LBB215_32:                             ;   in Loop: Header=BB215_14 Depth=1
	s_delay_alu instid0(SALU_CYCLE_1)
	s_or_b32 exec_lo, exec_lo, s21
.LBB215_33:                             ;   in Loop: Header=BB215_14 Depth=1
	s_delay_alu instid0(SALU_CYCLE_1)
	s_or_b32 exec_lo, exec_lo, s20
	flat_load_u8 v132, v[130:131] offset:8
	v_dual_mov_b32 v183, 0 :: v_dual_mov_b32 v40, 0
	s_mov_b32 s20, exec_lo
	s_waitcnt vmcnt(0) lgkmcnt(0)
	v_cmpx_ne_u16_e64 0, v132
	s_cbranch_execz .LBB215_41
; %bb.34:                               ;   in Loop: Header=BB215_14 Depth=1
	v_bfrev_b32_e32 v40, 1
	s_mov_b32 s21, exec_lo
	v_cmpx_ne_u16_e64 0x80, v132
	s_cbranch_execz .LBB215_40
; %bb.35:                               ;   in Loop: Header=BB215_14 Depth=1
	v_and_b32_e32 v28, 0xffff, v132
	v_mov_b32_e32 v40, 0x7f800001
	s_mov_b32 s22, exec_lo
	s_delay_alu instid0(VALU_DEP_2) | instskip(NEXT) | instid1(VALU_DEP_1)
	v_and_b32_e32 v41, 0x7f, v28
	v_cmpx_ne_u32_e32 0x7f, v41
	s_cbranch_execz .LBB215_39
; %bb.36:                               ;   in Loop: Header=BB215_14 Depth=1
	v_and_b32_e32 v28, 7, v28
	v_lshrrev_b32_e32 v133, 3, v41
	s_mov_b32 s23, exec_lo
	v_cmpx_gt_u32_e32 8, v41
; %bb.37:                               ;   in Loop: Header=BB215_14 Depth=1
	s_delay_alu instid0(VALU_DEP_3) | instskip(NEXT) | instid1(VALU_DEP_1)
	v_clz_i32_u32_e32 v133, v28
	v_min_u32_e32 v133, 32, v133
	s_delay_alu instid0(VALU_DEP_1) | instskip(SKIP_1) | instid1(VALU_DEP_2)
	v_subrev_nc_u32_e32 v40, 28, v133
	v_sub_nc_u32_e32 v133, 29, v133
	v_lshlrev_b64 v[40:41], v40, v[28:29]
	s_delay_alu instid0(VALU_DEP_1)
	v_and_b32_e32 v28, 7, v40
; %bb.38:                               ;   in Loop: Header=BB215_14 Depth=1
	s_or_b32 exec_lo, exec_lo, s23
	v_lshlrev_b32_e32 v132, 24, v132
	s_delay_alu instid0(VALU_DEP_2) | instskip(SKIP_1) | instid1(VALU_DEP_3)
	v_lshlrev_b32_e32 v28, 20, v28
	v_lshl_add_u32 v133, v133, 23, 0x3c000000
	v_and_b32_e32 v132, 0x80000000, v132
	s_delay_alu instid0(VALU_DEP_1)
	v_or3_b32 v40, v28, v132, v133
.LBB215_39:                             ;   in Loop: Header=BB215_14 Depth=1
	s_or_b32 exec_lo, exec_lo, s22
.LBB215_40:                             ;   in Loop: Header=BB215_14 Depth=1
	s_delay_alu instid0(SALU_CYCLE_1)
	s_or_b32 exec_lo, exec_lo, s21
.LBB215_41:                             ;   in Loop: Header=BB215_14 Depth=1
	s_delay_alu instid0(SALU_CYCLE_1)
	s_or_b32 exec_lo, exec_lo, s20
	flat_load_u8 v132, v[130:131] offset:12
	s_mov_b32 s20, exec_lo
	s_waitcnt vmcnt(0) lgkmcnt(0)
	v_cmpx_ne_u16_e64 0, v132
	s_cbranch_execz .LBB215_49
; %bb.42:                               ;   in Loop: Header=BB215_14 Depth=1
	v_bfrev_b32_e32 v183, 1
	s_mov_b32 s21, exec_lo
	v_cmpx_ne_u16_e64 0x80, v132
	s_cbranch_execz .LBB215_48
; %bb.43:                               ;   in Loop: Header=BB215_14 Depth=1
	v_and_b32_e32 v28, 0xffff, v132
	v_mov_b32_e32 v183, 0x7f800001
	s_mov_b32 s22, exec_lo
	s_delay_alu instid0(VALU_DEP_2) | instskip(NEXT) | instid1(VALU_DEP_1)
	v_and_b32_e32 v41, 0x7f, v28
	v_cmpx_ne_u32_e32 0x7f, v41
	s_cbranch_execz .LBB215_47
; %bb.44:                               ;   in Loop: Header=BB215_14 Depth=1
	v_and_b32_e32 v28, 7, v28
	v_lshrrev_b32_e32 v133, 3, v41
	s_mov_b32 s23, exec_lo
	v_cmpx_gt_u32_e32 8, v41
; %bb.45:                               ;   in Loop: Header=BB215_14 Depth=1
	s_delay_alu instid0(VALU_DEP_3) | instskip(NEXT) | instid1(VALU_DEP_1)
	v_clz_i32_u32_e32 v133, v28
	v_min_u32_e32 v133, 32, v133
	s_delay_alu instid0(VALU_DEP_1) | instskip(SKIP_1) | instid1(VALU_DEP_2)
	v_subrev_nc_u32_e32 v183, 28, v133
	v_sub_nc_u32_e32 v133, 29, v133
	v_lshlrev_b64 v[41:42], v183, v[28:29]
	s_delay_alu instid0(VALU_DEP_1)
	v_and_b32_e32 v28, 7, v41
; %bb.46:                               ;   in Loop: Header=BB215_14 Depth=1
	s_or_b32 exec_lo, exec_lo, s23
	v_lshlrev_b32_e32 v132, 24, v132
	s_delay_alu instid0(VALU_DEP_2) | instskip(SKIP_1) | instid1(VALU_DEP_3)
	v_lshlrev_b32_e32 v28, 20, v28
	v_lshl_add_u32 v133, v133, 23, 0x3c000000
	v_and_b32_e32 v132, 0x80000000, v132
	s_delay_alu instid0(VALU_DEP_1)
	v_or3_b32 v183, v28, v132, v133
.LBB215_47:                             ;   in Loop: Header=BB215_14 Depth=1
	s_or_b32 exec_lo, exec_lo, s22
.LBB215_48:                             ;   in Loop: Header=BB215_14 Depth=1
	s_delay_alu instid0(SALU_CYCLE_1)
	s_or_b32 exec_lo, exec_lo, s21
.LBB215_49:                             ;   in Loop: Header=BB215_14 Depth=1
	s_delay_alu instid0(SALU_CYCLE_1)
	s_or_b32 exec_lo, exec_lo, s20
	flat_load_u8 v132, v[130:131] offset:128
	v_dual_mov_b32 v41, 0 :: v_dual_mov_b32 v42, 0
	s_mov_b32 s20, exec_lo
	s_waitcnt vmcnt(0) lgkmcnt(0)
	v_cmpx_ne_u16_e64 0, v132
	s_cbranch_execz .LBB215_57
; %bb.50:                               ;   in Loop: Header=BB215_14 Depth=1
	v_bfrev_b32_e32 v42, 1
	s_mov_b32 s21, exec_lo
	v_cmpx_ne_u16_e64 0x80, v132
	s_cbranch_execz .LBB215_56
; %bb.51:                               ;   in Loop: Header=BB215_14 Depth=1
	v_and_b32_e32 v28, 0xffff, v132
	v_mov_b32_e32 v42, 0x7f800001
	s_mov_b32 s22, exec_lo
	s_delay_alu instid0(VALU_DEP_2) | instskip(NEXT) | instid1(VALU_DEP_1)
	v_and_b32_e32 v43, 0x7f, v28
	v_cmpx_ne_u32_e32 0x7f, v43
	s_cbranch_execz .LBB215_55
; %bb.52:                               ;   in Loop: Header=BB215_14 Depth=1
	v_and_b32_e32 v28, 7, v28
	v_lshrrev_b32_e32 v133, 3, v43
	s_mov_b32 s23, exec_lo
	v_cmpx_gt_u32_e32 8, v43
; %bb.53:                               ;   in Loop: Header=BB215_14 Depth=1
	s_delay_alu instid0(VALU_DEP_3) | instskip(NEXT) | instid1(VALU_DEP_1)
	v_clz_i32_u32_e32 v133, v28
	v_min_u32_e32 v133, 32, v133
	s_delay_alu instid0(VALU_DEP_1) | instskip(SKIP_1) | instid1(VALU_DEP_2)
	v_subrev_nc_u32_e32 v42, 28, v133
	v_sub_nc_u32_e32 v133, 29, v133
	v_lshlrev_b64 v[42:43], v42, v[28:29]
	s_delay_alu instid0(VALU_DEP_1)
	v_and_b32_e32 v28, 7, v42
; %bb.54:                               ;   in Loop: Header=BB215_14 Depth=1
	s_or_b32 exec_lo, exec_lo, s23
	v_lshlrev_b32_e32 v132, 24, v132
	s_delay_alu instid0(VALU_DEP_2) | instskip(SKIP_1) | instid1(VALU_DEP_3)
	v_lshlrev_b32_e32 v28, 20, v28
	v_lshl_add_u32 v133, v133, 23, 0x3c000000
	v_and_b32_e32 v132, 0x80000000, v132
	s_delay_alu instid0(VALU_DEP_1)
	v_or3_b32 v42, v28, v132, v133
.LBB215_55:                             ;   in Loop: Header=BB215_14 Depth=1
	s_or_b32 exec_lo, exec_lo, s22
.LBB215_56:                             ;   in Loop: Header=BB215_14 Depth=1
	s_delay_alu instid0(SALU_CYCLE_1)
	s_or_b32 exec_lo, exec_lo, s21
.LBB215_57:                             ;   in Loop: Header=BB215_14 Depth=1
	s_delay_alu instid0(SALU_CYCLE_1)
	s_or_b32 exec_lo, exec_lo, s20
	flat_load_u8 v132, v[130:131] offset:132
	s_mov_b32 s20, exec_lo
	s_waitcnt vmcnt(0) lgkmcnt(0)
	v_cmpx_ne_u16_e64 0, v132
	s_cbranch_execz .LBB215_65
; %bb.58:                               ;   in Loop: Header=BB215_14 Depth=1
	v_bfrev_b32_e32 v41, 1
	s_mov_b32 s21, exec_lo
	v_cmpx_ne_u16_e64 0x80, v132
	s_cbranch_execz .LBB215_64
; %bb.59:                               ;   in Loop: Header=BB215_14 Depth=1
	v_and_b32_e32 v28, 0xffff, v132
	v_mov_b32_e32 v41, 0x7f800001
	s_mov_b32 s22, exec_lo
	s_delay_alu instid0(VALU_DEP_2) | instskip(NEXT) | instid1(VALU_DEP_1)
	v_and_b32_e32 v43, 0x7f, v28
	v_cmpx_ne_u32_e32 0x7f, v43
	s_cbranch_execz .LBB215_63
; %bb.60:                               ;   in Loop: Header=BB215_14 Depth=1
	v_and_b32_e32 v28, 7, v28
	v_lshrrev_b32_e32 v133, 3, v43
	s_mov_b32 s23, exec_lo
	v_cmpx_gt_u32_e32 8, v43
; %bb.61:                               ;   in Loop: Header=BB215_14 Depth=1
	s_delay_alu instid0(VALU_DEP_3) | instskip(NEXT) | instid1(VALU_DEP_1)
	v_clz_i32_u32_e32 v133, v28
	v_min_u32_e32 v133, 32, v133
	s_delay_alu instid0(VALU_DEP_1) | instskip(SKIP_1) | instid1(VALU_DEP_2)
	v_subrev_nc_u32_e32 v41, 28, v133
	v_sub_nc_u32_e32 v133, 29, v133
	v_lshlrev_b64 v[43:44], v41, v[28:29]
	s_delay_alu instid0(VALU_DEP_1)
	v_and_b32_e32 v28, 7, v43
; %bb.62:                               ;   in Loop: Header=BB215_14 Depth=1
	s_or_b32 exec_lo, exec_lo, s23
	v_lshlrev_b32_e32 v132, 24, v132
	s_delay_alu instid0(VALU_DEP_2) | instskip(SKIP_1) | instid1(VALU_DEP_3)
	v_lshlrev_b32_e32 v28, 20, v28
	v_lshl_add_u32 v133, v133, 23, 0x3c000000
	v_and_b32_e32 v132, 0x80000000, v132
	s_delay_alu instid0(VALU_DEP_1)
	v_or3_b32 v41, v28, v132, v133
.LBB215_63:                             ;   in Loop: Header=BB215_14 Depth=1
	s_or_b32 exec_lo, exec_lo, s22
.LBB215_64:                             ;   in Loop: Header=BB215_14 Depth=1
	s_delay_alu instid0(SALU_CYCLE_1)
	s_or_b32 exec_lo, exec_lo, s21
.LBB215_65:                             ;   in Loop: Header=BB215_14 Depth=1
	s_delay_alu instid0(SALU_CYCLE_1) | instskip(SKIP_1) | instid1(VALU_DEP_1)
	s_or_b32 exec_lo, exec_lo, s20
	v_add_co_u32 v132, s2, 0x80, v130
	v_add_co_ci_u32_e64 v133, s2, 0, v131, s2
	v_dual_mov_b32 v43, 0 :: v_dual_mov_b32 v44, 0
	s_mov_b32 s20, exec_lo
	flat_load_u8 v45, v[132:133] offset:8
	s_waitcnt vmcnt(0) lgkmcnt(0)
	v_cmpx_ne_u16_e32 0, v45
	s_cbranch_execz .LBB215_73
; %bb.66:                               ;   in Loop: Header=BB215_14 Depth=1
	v_bfrev_b32_e32 v44, 1
	s_mov_b32 s21, exec_lo
	v_cmpx_ne_u16_e32 0x80, v45
	s_cbranch_execz .LBB215_72
; %bb.67:                               ;   in Loop: Header=BB215_14 Depth=1
	v_and_b32_e32 v28, 0xffff, v45
	v_mov_b32_e32 v44, 0x7f800001
	s_mov_b32 s22, exec_lo
	s_delay_alu instid0(VALU_DEP_2) | instskip(NEXT) | instid1(VALU_DEP_1)
	v_and_b32_e32 v46, 0x7f, v28
	v_cmpx_ne_u32_e32 0x7f, v46
	s_cbranch_execz .LBB215_71
; %bb.68:                               ;   in Loop: Header=BB215_14 Depth=1
	v_and_b32_e32 v28, 7, v28
	v_lshrrev_b32_e32 v44, 3, v46
	s_mov_b32 s23, exec_lo
	v_cmpx_gt_u32_e32 8, v46
; %bb.69:                               ;   in Loop: Header=BB215_14 Depth=1
	s_delay_alu instid0(VALU_DEP_3) | instskip(NEXT) | instid1(VALU_DEP_1)
	v_clz_i32_u32_e32 v44, v28
	v_min_u32_e32 v44, 32, v44
	s_delay_alu instid0(VALU_DEP_1) | instskip(SKIP_1) | instid1(VALU_DEP_2)
	v_subrev_nc_u32_e32 v46, 28, v44
	v_sub_nc_u32_e32 v44, 29, v44
	v_lshlrev_b64 v[46:47], v46, v[28:29]
	s_delay_alu instid0(VALU_DEP_1)
	v_and_b32_e32 v28, 7, v46
; %bb.70:                               ;   in Loop: Header=BB215_14 Depth=1
	s_or_b32 exec_lo, exec_lo, s23
	v_lshlrev_b32_e32 v45, 24, v45
	s_delay_alu instid0(VALU_DEP_2) | instskip(SKIP_1) | instid1(VALU_DEP_3)
	v_lshlrev_b32_e32 v28, 20, v28
	v_lshl_add_u32 v44, v44, 23, 0x3c000000
	v_and_b32_e32 v45, 0x80000000, v45
	s_delay_alu instid0(VALU_DEP_1)
	v_or3_b32 v44, v28, v45, v44
.LBB215_71:                             ;   in Loop: Header=BB215_14 Depth=1
	s_or_b32 exec_lo, exec_lo, s22
.LBB215_72:                             ;   in Loop: Header=BB215_14 Depth=1
	s_delay_alu instid0(SALU_CYCLE_1)
	s_or_b32 exec_lo, exec_lo, s21
.LBB215_73:                             ;   in Loop: Header=BB215_14 Depth=1
	s_delay_alu instid0(SALU_CYCLE_1)
	s_or_b32 exec_lo, exec_lo, s20
	flat_load_u8 v132, v[132:133] offset:12
	s_mov_b32 s20, exec_lo
	s_waitcnt vmcnt(0) lgkmcnt(0)
	v_cmpx_ne_u16_e64 0, v132
	s_cbranch_execz .LBB215_81
; %bb.74:                               ;   in Loop: Header=BB215_14 Depth=1
	v_bfrev_b32_e32 v43, 1
	s_mov_b32 s21, exec_lo
	v_cmpx_ne_u16_e64 0x80, v132
	s_cbranch_execz .LBB215_80
; %bb.75:                               ;   in Loop: Header=BB215_14 Depth=1
	v_and_b32_e32 v28, 0xffff, v132
	v_mov_b32_e32 v43, 0x7f800001
	s_mov_b32 s22, exec_lo
	s_delay_alu instid0(VALU_DEP_2) | instskip(NEXT) | instid1(VALU_DEP_1)
	v_and_b32_e32 v45, 0x7f, v28
	v_cmpx_ne_u32_e32 0x7f, v45
	s_cbranch_execz .LBB215_79
; %bb.76:                               ;   in Loop: Header=BB215_14 Depth=1
	v_and_b32_e32 v28, 7, v28
	v_lshrrev_b32_e32 v133, 3, v45
	s_mov_b32 s23, exec_lo
	v_cmpx_gt_u32_e32 8, v45
; %bb.77:                               ;   in Loop: Header=BB215_14 Depth=1
	s_delay_alu instid0(VALU_DEP_3) | instskip(NEXT) | instid1(VALU_DEP_1)
	v_clz_i32_u32_e32 v133, v28
	v_min_u32_e32 v133, 32, v133
	s_delay_alu instid0(VALU_DEP_1) | instskip(SKIP_1) | instid1(VALU_DEP_2)
	v_subrev_nc_u32_e32 v43, 28, v133
	v_sub_nc_u32_e32 v133, 29, v133
	v_lshlrev_b64 v[45:46], v43, v[28:29]
	s_delay_alu instid0(VALU_DEP_1)
	v_and_b32_e32 v28, 7, v45
; %bb.78:                               ;   in Loop: Header=BB215_14 Depth=1
	s_or_b32 exec_lo, exec_lo, s23
	v_lshlrev_b32_e32 v132, 24, v132
	s_delay_alu instid0(VALU_DEP_2) | instskip(SKIP_1) | instid1(VALU_DEP_3)
	v_lshlrev_b32_e32 v28, 20, v28
	v_lshl_add_u32 v133, v133, 23, 0x3c000000
	v_and_b32_e32 v132, 0x80000000, v132
	s_delay_alu instid0(VALU_DEP_1)
	v_or3_b32 v43, v28, v132, v133
.LBB215_79:                             ;   in Loop: Header=BB215_14 Depth=1
	s_or_b32 exec_lo, exec_lo, s22
.LBB215_80:                             ;   in Loop: Header=BB215_14 Depth=1
	s_delay_alu instid0(SALU_CYCLE_1)
	s_or_b32 exec_lo, exec_lo, s21
.LBB215_81:                             ;   in Loop: Header=BB215_14 Depth=1
	s_delay_alu instid0(SALU_CYCLE_1)
	s_or_b32 exec_lo, exec_lo, s20
	flat_load_u8 v132, v[130:131] offset:256
	v_dual_mov_b32 v45, 0 :: v_dual_mov_b32 v46, 0
	s_mov_b32 s20, exec_lo
	s_waitcnt vmcnt(0) lgkmcnt(0)
	v_cmpx_ne_u16_e64 0, v132
	s_cbranch_execz .LBB215_89
; %bb.82:                               ;   in Loop: Header=BB215_14 Depth=1
	v_bfrev_b32_e32 v46, 1
	s_mov_b32 s21, exec_lo
	v_cmpx_ne_u16_e64 0x80, v132
	s_cbranch_execz .LBB215_88
; %bb.83:                               ;   in Loop: Header=BB215_14 Depth=1
	v_and_b32_e32 v28, 0xffff, v132
	v_mov_b32_e32 v46, 0x7f800001
	s_mov_b32 s22, exec_lo
	s_delay_alu instid0(VALU_DEP_2) | instskip(NEXT) | instid1(VALU_DEP_1)
	v_and_b32_e32 v47, 0x7f, v28
	v_cmpx_ne_u32_e32 0x7f, v47
	s_cbranch_execz .LBB215_87
; %bb.84:                               ;   in Loop: Header=BB215_14 Depth=1
	v_and_b32_e32 v28, 7, v28
	v_lshrrev_b32_e32 v133, 3, v47
	s_mov_b32 s23, exec_lo
	v_cmpx_gt_u32_e32 8, v47
; %bb.85:                               ;   in Loop: Header=BB215_14 Depth=1
	s_delay_alu instid0(VALU_DEP_3) | instskip(NEXT) | instid1(VALU_DEP_1)
	v_clz_i32_u32_e32 v133, v28
	v_min_u32_e32 v133, 32, v133
	s_delay_alu instid0(VALU_DEP_1) | instskip(SKIP_1) | instid1(VALU_DEP_2)
	v_subrev_nc_u32_e32 v46, 28, v133
	v_sub_nc_u32_e32 v133, 29, v133
	v_lshlrev_b64 v[46:47], v46, v[28:29]
	s_delay_alu instid0(VALU_DEP_1)
	v_and_b32_e32 v28, 7, v46
; %bb.86:                               ;   in Loop: Header=BB215_14 Depth=1
	s_or_b32 exec_lo, exec_lo, s23
	v_lshlrev_b32_e32 v132, 24, v132
	s_delay_alu instid0(VALU_DEP_2) | instskip(SKIP_1) | instid1(VALU_DEP_3)
	v_lshlrev_b32_e32 v28, 20, v28
	v_lshl_add_u32 v133, v133, 23, 0x3c000000
	v_and_b32_e32 v132, 0x80000000, v132
	s_delay_alu instid0(VALU_DEP_1)
	v_or3_b32 v46, v28, v132, v133
.LBB215_87:                             ;   in Loop: Header=BB215_14 Depth=1
	s_or_b32 exec_lo, exec_lo, s22
.LBB215_88:                             ;   in Loop: Header=BB215_14 Depth=1
	s_delay_alu instid0(SALU_CYCLE_1)
	s_or_b32 exec_lo, exec_lo, s21
.LBB215_89:                             ;   in Loop: Header=BB215_14 Depth=1
	s_delay_alu instid0(SALU_CYCLE_1)
	s_or_b32 exec_lo, exec_lo, s20
	flat_load_u8 v132, v[130:131] offset:260
	s_mov_b32 s20, exec_lo
	s_waitcnt vmcnt(0) lgkmcnt(0)
	v_cmpx_ne_u16_e64 0, v132
	s_cbranch_execz .LBB215_97
; %bb.90:                               ;   in Loop: Header=BB215_14 Depth=1
	v_bfrev_b32_e32 v45, 1
	s_mov_b32 s21, exec_lo
	v_cmpx_ne_u16_e64 0x80, v132
	s_cbranch_execz .LBB215_96
; %bb.91:                               ;   in Loop: Header=BB215_14 Depth=1
	v_and_b32_e32 v28, 0xffff, v132
	v_mov_b32_e32 v45, 0x7f800001
	s_mov_b32 s22, exec_lo
	s_delay_alu instid0(VALU_DEP_2) | instskip(NEXT) | instid1(VALU_DEP_1)
	v_and_b32_e32 v47, 0x7f, v28
	v_cmpx_ne_u32_e32 0x7f, v47
	s_cbranch_execz .LBB215_95
; %bb.92:                               ;   in Loop: Header=BB215_14 Depth=1
	v_and_b32_e32 v28, 7, v28
	v_lshrrev_b32_e32 v133, 3, v47
	s_mov_b32 s23, exec_lo
	v_cmpx_gt_u32_e32 8, v47
; %bb.93:                               ;   in Loop: Header=BB215_14 Depth=1
	s_delay_alu instid0(VALU_DEP_3) | instskip(NEXT) | instid1(VALU_DEP_1)
	v_clz_i32_u32_e32 v133, v28
	v_min_u32_e32 v133, 32, v133
	s_delay_alu instid0(VALU_DEP_1) | instskip(SKIP_1) | instid1(VALU_DEP_2)
	v_subrev_nc_u32_e32 v45, 28, v133
	v_sub_nc_u32_e32 v133, 29, v133
	v_lshlrev_b64 v[56:57], v45, v[28:29]
	s_delay_alu instid0(VALU_DEP_1)
	v_and_b32_e32 v28, 7, v56
; %bb.94:                               ;   in Loop: Header=BB215_14 Depth=1
	s_or_b32 exec_lo, exec_lo, s23
	v_lshlrev_b32_e32 v132, 24, v132
	s_delay_alu instid0(VALU_DEP_2) | instskip(SKIP_1) | instid1(VALU_DEP_3)
	v_lshlrev_b32_e32 v28, 20, v28
	v_lshl_add_u32 v133, v133, 23, 0x3c000000
	v_and_b32_e32 v132, 0x80000000, v132
	s_delay_alu instid0(VALU_DEP_1)
	v_or3_b32 v45, v28, v132, v133
.LBB215_95:                             ;   in Loop: Header=BB215_14 Depth=1
	s_or_b32 exec_lo, exec_lo, s22
.LBB215_96:                             ;   in Loop: Header=BB215_14 Depth=1
	s_delay_alu instid0(SALU_CYCLE_1)
	s_or_b32 exec_lo, exec_lo, s21
.LBB215_97:                             ;   in Loop: Header=BB215_14 Depth=1
	s_delay_alu instid0(SALU_CYCLE_1) | instskip(SKIP_1) | instid1(VALU_DEP_1)
	s_or_b32 exec_lo, exec_lo, s20
	v_add_co_u32 v132, s2, 0x100, v130
	v_add_co_ci_u32_e64 v133, s2, 0, v131, s2
	v_dual_mov_b32 v47, 0 :: v_dual_mov_b32 v56, 0
	s_mov_b32 s20, exec_lo
	flat_load_u8 v57, v[132:133] offset:8
	s_waitcnt vmcnt(0) lgkmcnt(0)
	v_cmpx_ne_u16_e32 0, v57
	s_cbranch_execz .LBB215_105
; %bb.98:                               ;   in Loop: Header=BB215_14 Depth=1
	v_bfrev_b32_e32 v56, 1
	s_mov_b32 s21, exec_lo
	v_cmpx_ne_u16_e32 0x80, v57
	s_cbranch_execz .LBB215_104
; %bb.99:                               ;   in Loop: Header=BB215_14 Depth=1
	v_and_b32_e32 v28, 0xffff, v57
	v_mov_b32_e32 v56, 0x7f800001
	s_mov_b32 s22, exec_lo
	s_delay_alu instid0(VALU_DEP_2) | instskip(NEXT) | instid1(VALU_DEP_1)
	v_and_b32_e32 v58, 0x7f, v28
	v_cmpx_ne_u32_e32 0x7f, v58
	s_cbranch_execz .LBB215_103
; %bb.100:                              ;   in Loop: Header=BB215_14 Depth=1
	v_and_b32_e32 v28, 7, v28
	v_lshrrev_b32_e32 v56, 3, v58
	s_mov_b32 s23, exec_lo
	v_cmpx_gt_u32_e32 8, v58
; %bb.101:                              ;   in Loop: Header=BB215_14 Depth=1
	s_delay_alu instid0(VALU_DEP_3) | instskip(NEXT) | instid1(VALU_DEP_1)
	v_clz_i32_u32_e32 v56, v28
	v_min_u32_e32 v56, 32, v56
	s_delay_alu instid0(VALU_DEP_1) | instskip(SKIP_1) | instid1(VALU_DEP_2)
	v_subrev_nc_u32_e32 v58, 28, v56
	v_sub_nc_u32_e32 v56, 29, v56
	v_lshlrev_b64 v[58:59], v58, v[28:29]
	s_delay_alu instid0(VALU_DEP_1)
	v_and_b32_e32 v28, 7, v58
; %bb.102:                              ;   in Loop: Header=BB215_14 Depth=1
	s_or_b32 exec_lo, exec_lo, s23
	v_lshlrev_b32_e32 v57, 24, v57
	s_delay_alu instid0(VALU_DEP_2) | instskip(SKIP_1) | instid1(VALU_DEP_3)
	v_lshlrev_b32_e32 v28, 20, v28
	v_lshl_add_u32 v56, v56, 23, 0x3c000000
	v_and_b32_e32 v57, 0x80000000, v57
	s_delay_alu instid0(VALU_DEP_1)
	v_or3_b32 v56, v28, v57, v56
.LBB215_103:                            ;   in Loop: Header=BB215_14 Depth=1
	s_or_b32 exec_lo, exec_lo, s22
.LBB215_104:                            ;   in Loop: Header=BB215_14 Depth=1
	s_delay_alu instid0(SALU_CYCLE_1)
	s_or_b32 exec_lo, exec_lo, s21
.LBB215_105:                            ;   in Loop: Header=BB215_14 Depth=1
	s_delay_alu instid0(SALU_CYCLE_1)
	s_or_b32 exec_lo, exec_lo, s20
	flat_load_u8 v132, v[132:133] offset:12
	s_mov_b32 s20, exec_lo
	s_waitcnt vmcnt(0) lgkmcnt(0)
	v_cmpx_ne_u16_e64 0, v132
	s_cbranch_execz .LBB215_113
; %bb.106:                              ;   in Loop: Header=BB215_14 Depth=1
	v_bfrev_b32_e32 v47, 1
	s_mov_b32 s21, exec_lo
	v_cmpx_ne_u16_e64 0x80, v132
	s_cbranch_execz .LBB215_112
; %bb.107:                              ;   in Loop: Header=BB215_14 Depth=1
	v_and_b32_e32 v28, 0xffff, v132
	v_mov_b32_e32 v47, 0x7f800001
	s_mov_b32 s22, exec_lo
	s_delay_alu instid0(VALU_DEP_2) | instskip(NEXT) | instid1(VALU_DEP_1)
	v_and_b32_e32 v57, 0x7f, v28
	v_cmpx_ne_u32_e32 0x7f, v57
	s_cbranch_execz .LBB215_111
; %bb.108:                              ;   in Loop: Header=BB215_14 Depth=1
	v_and_b32_e32 v28, 7, v28
	v_lshrrev_b32_e32 v133, 3, v57
	s_mov_b32 s23, exec_lo
	v_cmpx_gt_u32_e32 8, v57
; %bb.109:                              ;   in Loop: Header=BB215_14 Depth=1
	s_delay_alu instid0(VALU_DEP_3) | instskip(NEXT) | instid1(VALU_DEP_1)
	v_clz_i32_u32_e32 v133, v28
	v_min_u32_e32 v133, 32, v133
	s_delay_alu instid0(VALU_DEP_1) | instskip(SKIP_1) | instid1(VALU_DEP_2)
	v_subrev_nc_u32_e32 v47, 28, v133
	v_sub_nc_u32_e32 v133, 29, v133
	v_lshlrev_b64 v[57:58], v47, v[28:29]
	s_delay_alu instid0(VALU_DEP_1)
	v_and_b32_e32 v28, 7, v57
; %bb.110:                              ;   in Loop: Header=BB215_14 Depth=1
	s_or_b32 exec_lo, exec_lo, s23
	v_lshlrev_b32_e32 v132, 24, v132
	s_delay_alu instid0(VALU_DEP_2) | instskip(SKIP_1) | instid1(VALU_DEP_3)
	v_lshlrev_b32_e32 v28, 20, v28
	v_lshl_add_u32 v133, v133, 23, 0x3c000000
	v_and_b32_e32 v132, 0x80000000, v132
	s_delay_alu instid0(VALU_DEP_1)
	v_or3_b32 v47, v28, v132, v133
.LBB215_111:                            ;   in Loop: Header=BB215_14 Depth=1
	s_or_b32 exec_lo, exec_lo, s22
.LBB215_112:                            ;   in Loop: Header=BB215_14 Depth=1
	s_delay_alu instid0(SALU_CYCLE_1)
	s_or_b32 exec_lo, exec_lo, s21
.LBB215_113:                            ;   in Loop: Header=BB215_14 Depth=1
	s_delay_alu instid0(SALU_CYCLE_1)
	s_or_b32 exec_lo, exec_lo, s20
	flat_load_u8 v132, v[130:131] offset:384
	v_dual_mov_b32 v57, 0 :: v_dual_mov_b32 v58, 0
	s_mov_b32 s20, exec_lo
	s_waitcnt vmcnt(0) lgkmcnt(0)
	v_cmpx_ne_u16_e64 0, v132
	s_cbranch_execz .LBB215_121
; %bb.114:                              ;   in Loop: Header=BB215_14 Depth=1
	v_bfrev_b32_e32 v58, 1
	s_mov_b32 s21, exec_lo
	v_cmpx_ne_u16_e64 0x80, v132
	s_cbranch_execz .LBB215_120
; %bb.115:                              ;   in Loop: Header=BB215_14 Depth=1
	v_and_b32_e32 v28, 0xffff, v132
	v_mov_b32_e32 v58, 0x7f800001
	s_mov_b32 s22, exec_lo
	s_delay_alu instid0(VALU_DEP_2) | instskip(NEXT) | instid1(VALU_DEP_1)
	v_and_b32_e32 v59, 0x7f, v28
	v_cmpx_ne_u32_e32 0x7f, v59
	s_cbranch_execz .LBB215_119
; %bb.116:                              ;   in Loop: Header=BB215_14 Depth=1
	v_and_b32_e32 v28, 7, v28
	v_lshrrev_b32_e32 v133, 3, v59
	s_mov_b32 s23, exec_lo
	v_cmpx_gt_u32_e32 8, v59
; %bb.117:                              ;   in Loop: Header=BB215_14 Depth=1
	s_delay_alu instid0(VALU_DEP_3) | instskip(NEXT) | instid1(VALU_DEP_1)
	v_clz_i32_u32_e32 v133, v28
	v_min_u32_e32 v133, 32, v133
	s_delay_alu instid0(VALU_DEP_1) | instskip(SKIP_1) | instid1(VALU_DEP_2)
	v_subrev_nc_u32_e32 v58, 28, v133
	v_sub_nc_u32_e32 v133, 29, v133
	v_lshlrev_b64 v[58:59], v58, v[28:29]
	s_delay_alu instid0(VALU_DEP_1)
	v_and_b32_e32 v28, 7, v58
; %bb.118:                              ;   in Loop: Header=BB215_14 Depth=1
	s_or_b32 exec_lo, exec_lo, s23
	v_lshlrev_b32_e32 v132, 24, v132
	s_delay_alu instid0(VALU_DEP_2) | instskip(SKIP_1) | instid1(VALU_DEP_3)
	v_lshlrev_b32_e32 v28, 20, v28
	v_lshl_add_u32 v133, v133, 23, 0x3c000000
	v_and_b32_e32 v132, 0x80000000, v132
	s_delay_alu instid0(VALU_DEP_1)
	v_or3_b32 v58, v28, v132, v133
.LBB215_119:                            ;   in Loop: Header=BB215_14 Depth=1
	s_or_b32 exec_lo, exec_lo, s22
.LBB215_120:                            ;   in Loop: Header=BB215_14 Depth=1
	s_delay_alu instid0(SALU_CYCLE_1)
	s_or_b32 exec_lo, exec_lo, s21
.LBB215_121:                            ;   in Loop: Header=BB215_14 Depth=1
	s_delay_alu instid0(SALU_CYCLE_1)
	s_or_b32 exec_lo, exec_lo, s20
	flat_load_u8 v132, v[130:131] offset:388
	s_mov_b32 s20, exec_lo
	s_waitcnt vmcnt(0) lgkmcnt(0)
	v_cmpx_ne_u16_e64 0, v132
	s_cbranch_execz .LBB215_129
; %bb.122:                              ;   in Loop: Header=BB215_14 Depth=1
	v_bfrev_b32_e32 v57, 1
	s_mov_b32 s21, exec_lo
	v_cmpx_ne_u16_e64 0x80, v132
	s_cbranch_execz .LBB215_128
; %bb.123:                              ;   in Loop: Header=BB215_14 Depth=1
	v_and_b32_e32 v28, 0xffff, v132
	v_mov_b32_e32 v57, 0x7f800001
	s_mov_b32 s22, exec_lo
	s_delay_alu instid0(VALU_DEP_2) | instskip(NEXT) | instid1(VALU_DEP_1)
	v_and_b32_e32 v59, 0x7f, v28
	v_cmpx_ne_u32_e32 0x7f, v59
	s_cbranch_execz .LBB215_127
; %bb.124:                              ;   in Loop: Header=BB215_14 Depth=1
	v_and_b32_e32 v28, 7, v28
	v_lshrrev_b32_e32 v133, 3, v59
	s_mov_b32 s23, exec_lo
	v_cmpx_gt_u32_e32 8, v59
; %bb.125:                              ;   in Loop: Header=BB215_14 Depth=1
	s_delay_alu instid0(VALU_DEP_3) | instskip(NEXT) | instid1(VALU_DEP_1)
	v_clz_i32_u32_e32 v133, v28
	v_min_u32_e32 v133, 32, v133
	s_delay_alu instid0(VALU_DEP_1) | instskip(SKIP_1) | instid1(VALU_DEP_2)
	v_subrev_nc_u32_e32 v57, 28, v133
	v_sub_nc_u32_e32 v133, 29, v133
	v_lshlrev_b64 v[59:60], v57, v[28:29]
	s_delay_alu instid0(VALU_DEP_1)
	v_and_b32_e32 v28, 7, v59
; %bb.126:                              ;   in Loop: Header=BB215_14 Depth=1
	s_or_b32 exec_lo, exec_lo, s23
	v_lshlrev_b32_e32 v132, 24, v132
	s_delay_alu instid0(VALU_DEP_2) | instskip(SKIP_1) | instid1(VALU_DEP_3)
	v_lshlrev_b32_e32 v28, 20, v28
	v_lshl_add_u32 v133, v133, 23, 0x3c000000
	v_and_b32_e32 v132, 0x80000000, v132
	s_delay_alu instid0(VALU_DEP_1)
	v_or3_b32 v57, v28, v132, v133
.LBB215_127:                            ;   in Loop: Header=BB215_14 Depth=1
	s_or_b32 exec_lo, exec_lo, s22
.LBB215_128:                            ;   in Loop: Header=BB215_14 Depth=1
	s_delay_alu instid0(SALU_CYCLE_1)
	s_or_b32 exec_lo, exec_lo, s21
.LBB215_129:                            ;   in Loop: Header=BB215_14 Depth=1
	s_delay_alu instid0(SALU_CYCLE_1) | instskip(SKIP_1) | instid1(VALU_DEP_1)
	s_or_b32 exec_lo, exec_lo, s20
	v_add_co_u32 v132, s2, 0x180, v130
	v_add_co_ci_u32_e64 v133, s2, 0, v131, s2
	v_dual_mov_b32 v59, 0 :: v_dual_mov_b32 v60, 0
	s_mov_b32 s20, exec_lo
	flat_load_u8 v61, v[132:133] offset:8
	s_waitcnt vmcnt(0) lgkmcnt(0)
	v_cmpx_ne_u16_e32 0, v61
	s_cbranch_execz .LBB215_137
; %bb.130:                              ;   in Loop: Header=BB215_14 Depth=1
	v_bfrev_b32_e32 v60, 1
	s_mov_b32 s21, exec_lo
	v_cmpx_ne_u16_e32 0x80, v61
	s_cbranch_execz .LBB215_136
; %bb.131:                              ;   in Loop: Header=BB215_14 Depth=1
	v_and_b32_e32 v28, 0xffff, v61
	v_mov_b32_e32 v60, 0x7f800001
	s_mov_b32 s22, exec_lo
	s_delay_alu instid0(VALU_DEP_2) | instskip(NEXT) | instid1(VALU_DEP_1)
	v_and_b32_e32 v62, 0x7f, v28
	v_cmpx_ne_u32_e32 0x7f, v62
	s_cbranch_execz .LBB215_135
; %bb.132:                              ;   in Loop: Header=BB215_14 Depth=1
	v_and_b32_e32 v28, 7, v28
	v_lshrrev_b32_e32 v60, 3, v62
	s_mov_b32 s23, exec_lo
	v_cmpx_gt_u32_e32 8, v62
; %bb.133:                              ;   in Loop: Header=BB215_14 Depth=1
	s_delay_alu instid0(VALU_DEP_3) | instskip(NEXT) | instid1(VALU_DEP_1)
	v_clz_i32_u32_e32 v60, v28
	v_min_u32_e32 v60, 32, v60
	s_delay_alu instid0(VALU_DEP_1) | instskip(SKIP_1) | instid1(VALU_DEP_2)
	v_subrev_nc_u32_e32 v62, 28, v60
	v_sub_nc_u32_e32 v60, 29, v60
	v_lshlrev_b64 v[62:63], v62, v[28:29]
	s_delay_alu instid0(VALU_DEP_1)
	v_and_b32_e32 v28, 7, v62
; %bb.134:                              ;   in Loop: Header=BB215_14 Depth=1
	s_or_b32 exec_lo, exec_lo, s23
	v_lshlrev_b32_e32 v61, 24, v61
	s_delay_alu instid0(VALU_DEP_2) | instskip(SKIP_1) | instid1(VALU_DEP_3)
	v_lshlrev_b32_e32 v28, 20, v28
	v_lshl_add_u32 v60, v60, 23, 0x3c000000
	v_and_b32_e32 v61, 0x80000000, v61
	s_delay_alu instid0(VALU_DEP_1)
	v_or3_b32 v60, v28, v61, v60
.LBB215_135:                            ;   in Loop: Header=BB215_14 Depth=1
	s_or_b32 exec_lo, exec_lo, s22
.LBB215_136:                            ;   in Loop: Header=BB215_14 Depth=1
	s_delay_alu instid0(SALU_CYCLE_1)
	s_or_b32 exec_lo, exec_lo, s21
.LBB215_137:                            ;   in Loop: Header=BB215_14 Depth=1
	s_delay_alu instid0(SALU_CYCLE_1)
	s_or_b32 exec_lo, exec_lo, s20
	flat_load_u8 v132, v[132:133] offset:12
	s_mov_b32 s20, exec_lo
	s_waitcnt vmcnt(0) lgkmcnt(0)
	v_cmpx_ne_u16_e64 0, v132
	s_cbranch_execz .LBB215_145
; %bb.138:                              ;   in Loop: Header=BB215_14 Depth=1
	v_bfrev_b32_e32 v59, 1
	s_mov_b32 s21, exec_lo
	v_cmpx_ne_u16_e64 0x80, v132
	s_cbranch_execz .LBB215_144
; %bb.139:                              ;   in Loop: Header=BB215_14 Depth=1
	v_and_b32_e32 v28, 0xffff, v132
	v_mov_b32_e32 v59, 0x7f800001
	s_mov_b32 s22, exec_lo
	s_delay_alu instid0(VALU_DEP_2) | instskip(NEXT) | instid1(VALU_DEP_1)
	v_and_b32_e32 v61, 0x7f, v28
	v_cmpx_ne_u32_e32 0x7f, v61
	s_cbranch_execz .LBB215_143
; %bb.140:                              ;   in Loop: Header=BB215_14 Depth=1
	v_and_b32_e32 v28, 7, v28
	v_lshrrev_b32_e32 v133, 3, v61
	s_mov_b32 s23, exec_lo
	v_cmpx_gt_u32_e32 8, v61
; %bb.141:                              ;   in Loop: Header=BB215_14 Depth=1
	s_delay_alu instid0(VALU_DEP_3) | instskip(NEXT) | instid1(VALU_DEP_1)
	v_clz_i32_u32_e32 v133, v28
	v_min_u32_e32 v133, 32, v133
	s_delay_alu instid0(VALU_DEP_1) | instskip(SKIP_1) | instid1(VALU_DEP_2)
	v_subrev_nc_u32_e32 v59, 28, v133
	v_sub_nc_u32_e32 v133, 29, v133
	v_lshlrev_b64 v[61:62], v59, v[28:29]
	s_delay_alu instid0(VALU_DEP_1)
	v_and_b32_e32 v28, 7, v61
; %bb.142:                              ;   in Loop: Header=BB215_14 Depth=1
	s_or_b32 exec_lo, exec_lo, s23
	v_lshlrev_b32_e32 v132, 24, v132
	s_delay_alu instid0(VALU_DEP_2) | instskip(SKIP_1) | instid1(VALU_DEP_3)
	v_lshlrev_b32_e32 v28, 20, v28
	v_lshl_add_u32 v133, v133, 23, 0x3c000000
	v_and_b32_e32 v132, 0x80000000, v132
	s_delay_alu instid0(VALU_DEP_1)
	v_or3_b32 v59, v28, v132, v133
.LBB215_143:                            ;   in Loop: Header=BB215_14 Depth=1
	s_or_b32 exec_lo, exec_lo, s22
.LBB215_144:                            ;   in Loop: Header=BB215_14 Depth=1
	s_delay_alu instid0(SALU_CYCLE_1)
	s_or_b32 exec_lo, exec_lo, s21
.LBB215_145:                            ;   in Loop: Header=BB215_14 Depth=1
	s_delay_alu instid0(SALU_CYCLE_1)
	s_or_b32 exec_lo, exec_lo, s20
	flat_load_u8 v132, v[130:131] offset:512
	v_dual_mov_b32 v61, 0 :: v_dual_mov_b32 v62, 0
	s_mov_b32 s20, exec_lo
	s_waitcnt vmcnt(0) lgkmcnt(0)
	v_cmpx_ne_u16_e64 0, v132
	s_cbranch_execz .LBB215_153
; %bb.146:                              ;   in Loop: Header=BB215_14 Depth=1
	v_bfrev_b32_e32 v62, 1
	s_mov_b32 s21, exec_lo
	v_cmpx_ne_u16_e64 0x80, v132
	s_cbranch_execz .LBB215_152
; %bb.147:                              ;   in Loop: Header=BB215_14 Depth=1
	v_and_b32_e32 v28, 0xffff, v132
	v_mov_b32_e32 v62, 0x7f800001
	s_mov_b32 s22, exec_lo
	s_delay_alu instid0(VALU_DEP_2) | instskip(NEXT) | instid1(VALU_DEP_1)
	v_and_b32_e32 v63, 0x7f, v28
	v_cmpx_ne_u32_e32 0x7f, v63
	s_cbranch_execz .LBB215_151
; %bb.148:                              ;   in Loop: Header=BB215_14 Depth=1
	v_and_b32_e32 v28, 7, v28
	v_lshrrev_b32_e32 v133, 3, v63
	s_mov_b32 s23, exec_lo
	v_cmpx_gt_u32_e32 8, v63
; %bb.149:                              ;   in Loop: Header=BB215_14 Depth=1
	s_delay_alu instid0(VALU_DEP_3) | instskip(NEXT) | instid1(VALU_DEP_1)
	v_clz_i32_u32_e32 v133, v28
	v_min_u32_e32 v133, 32, v133
	s_delay_alu instid0(VALU_DEP_1) | instskip(SKIP_1) | instid1(VALU_DEP_2)
	v_subrev_nc_u32_e32 v62, 28, v133
	v_sub_nc_u32_e32 v133, 29, v133
	v_lshlrev_b64 v[62:63], v62, v[28:29]
	s_delay_alu instid0(VALU_DEP_1)
	v_and_b32_e32 v28, 7, v62
; %bb.150:                              ;   in Loop: Header=BB215_14 Depth=1
	s_or_b32 exec_lo, exec_lo, s23
	v_lshlrev_b32_e32 v132, 24, v132
	s_delay_alu instid0(VALU_DEP_2) | instskip(SKIP_1) | instid1(VALU_DEP_3)
	v_lshlrev_b32_e32 v28, 20, v28
	v_lshl_add_u32 v133, v133, 23, 0x3c000000
	v_and_b32_e32 v132, 0x80000000, v132
	s_delay_alu instid0(VALU_DEP_1)
	v_or3_b32 v62, v28, v132, v133
.LBB215_151:                            ;   in Loop: Header=BB215_14 Depth=1
	s_or_b32 exec_lo, exec_lo, s22
.LBB215_152:                            ;   in Loop: Header=BB215_14 Depth=1
	s_delay_alu instid0(SALU_CYCLE_1)
	s_or_b32 exec_lo, exec_lo, s21
.LBB215_153:                            ;   in Loop: Header=BB215_14 Depth=1
	s_delay_alu instid0(SALU_CYCLE_1)
	s_or_b32 exec_lo, exec_lo, s20
	flat_load_u8 v132, v[130:131] offset:516
	s_mov_b32 s20, exec_lo
	s_waitcnt vmcnt(0) lgkmcnt(0)
	v_cmpx_ne_u16_e64 0, v132
	s_cbranch_execz .LBB215_161
; %bb.154:                              ;   in Loop: Header=BB215_14 Depth=1
	v_bfrev_b32_e32 v61, 1
	s_mov_b32 s21, exec_lo
	v_cmpx_ne_u16_e64 0x80, v132
	s_cbranch_execz .LBB215_160
; %bb.155:                              ;   in Loop: Header=BB215_14 Depth=1
	v_and_b32_e32 v28, 0xffff, v132
	v_mov_b32_e32 v61, 0x7f800001
	s_mov_b32 s22, exec_lo
	s_delay_alu instid0(VALU_DEP_2) | instskip(NEXT) | instid1(VALU_DEP_1)
	v_and_b32_e32 v63, 0x7f, v28
	v_cmpx_ne_u32_e32 0x7f, v63
	s_cbranch_execz .LBB215_159
; %bb.156:                              ;   in Loop: Header=BB215_14 Depth=1
	v_and_b32_e32 v28, 7, v28
	v_lshrrev_b32_e32 v133, 3, v63
	s_mov_b32 s23, exec_lo
	v_cmpx_gt_u32_e32 8, v63
; %bb.157:                              ;   in Loop: Header=BB215_14 Depth=1
	s_delay_alu instid0(VALU_DEP_3) | instskip(NEXT) | instid1(VALU_DEP_1)
	v_clz_i32_u32_e32 v133, v28
	v_min_u32_e32 v133, 32, v133
	s_delay_alu instid0(VALU_DEP_1) | instskip(SKIP_1) | instid1(VALU_DEP_2)
	v_subrev_nc_u32_e32 v61, 28, v133
	v_sub_nc_u32_e32 v133, 29, v133
	v_lshlrev_b64 v[72:73], v61, v[28:29]
	s_delay_alu instid0(VALU_DEP_1)
	v_and_b32_e32 v28, 7, v72
; %bb.158:                              ;   in Loop: Header=BB215_14 Depth=1
	s_or_b32 exec_lo, exec_lo, s23
	v_lshlrev_b32_e32 v132, 24, v132
	s_delay_alu instid0(VALU_DEP_2) | instskip(SKIP_1) | instid1(VALU_DEP_3)
	v_lshlrev_b32_e32 v28, 20, v28
	v_lshl_add_u32 v133, v133, 23, 0x3c000000
	v_and_b32_e32 v132, 0x80000000, v132
	s_delay_alu instid0(VALU_DEP_1)
	v_or3_b32 v61, v28, v132, v133
.LBB215_159:                            ;   in Loop: Header=BB215_14 Depth=1
	s_or_b32 exec_lo, exec_lo, s22
.LBB215_160:                            ;   in Loop: Header=BB215_14 Depth=1
	s_delay_alu instid0(SALU_CYCLE_1)
	s_or_b32 exec_lo, exec_lo, s21
.LBB215_161:                            ;   in Loop: Header=BB215_14 Depth=1
	s_delay_alu instid0(SALU_CYCLE_1) | instskip(SKIP_1) | instid1(VALU_DEP_1)
	s_or_b32 exec_lo, exec_lo, s20
	v_add_co_u32 v132, s2, 0x200, v130
	v_add_co_ci_u32_e64 v133, s2, 0, v131, s2
	v_dual_mov_b32 v63, 0 :: v_dual_mov_b32 v72, 0
	s_mov_b32 s20, exec_lo
	flat_load_u8 v73, v[132:133] offset:8
	s_waitcnt vmcnt(0) lgkmcnt(0)
	v_cmpx_ne_u16_e32 0, v73
	s_cbranch_execz .LBB215_169
; %bb.162:                              ;   in Loop: Header=BB215_14 Depth=1
	v_bfrev_b32_e32 v72, 1
	s_mov_b32 s21, exec_lo
	v_cmpx_ne_u16_e32 0x80, v73
	s_cbranch_execz .LBB215_168
; %bb.163:                              ;   in Loop: Header=BB215_14 Depth=1
	v_and_b32_e32 v28, 0xffff, v73
	v_mov_b32_e32 v72, 0x7f800001
	s_mov_b32 s22, exec_lo
	s_delay_alu instid0(VALU_DEP_2) | instskip(NEXT) | instid1(VALU_DEP_1)
	v_and_b32_e32 v74, 0x7f, v28
	v_cmpx_ne_u32_e32 0x7f, v74
	s_cbranch_execz .LBB215_167
; %bb.164:                              ;   in Loop: Header=BB215_14 Depth=1
	v_and_b32_e32 v28, 7, v28
	v_lshrrev_b32_e32 v72, 3, v74
	s_mov_b32 s23, exec_lo
	v_cmpx_gt_u32_e32 8, v74
; %bb.165:                              ;   in Loop: Header=BB215_14 Depth=1
	s_delay_alu instid0(VALU_DEP_3) | instskip(NEXT) | instid1(VALU_DEP_1)
	v_clz_i32_u32_e32 v72, v28
	v_min_u32_e32 v72, 32, v72
	s_delay_alu instid0(VALU_DEP_1) | instskip(SKIP_1) | instid1(VALU_DEP_2)
	v_subrev_nc_u32_e32 v74, 28, v72
	v_sub_nc_u32_e32 v72, 29, v72
	v_lshlrev_b64 v[74:75], v74, v[28:29]
	s_delay_alu instid0(VALU_DEP_1)
	v_and_b32_e32 v28, 7, v74
; %bb.166:                              ;   in Loop: Header=BB215_14 Depth=1
	s_or_b32 exec_lo, exec_lo, s23
	v_lshlrev_b32_e32 v73, 24, v73
	s_delay_alu instid0(VALU_DEP_2) | instskip(SKIP_1) | instid1(VALU_DEP_3)
	v_lshlrev_b32_e32 v28, 20, v28
	v_lshl_add_u32 v72, v72, 23, 0x3c000000
	v_and_b32_e32 v73, 0x80000000, v73
	s_delay_alu instid0(VALU_DEP_1)
	v_or3_b32 v72, v28, v73, v72
.LBB215_167:                            ;   in Loop: Header=BB215_14 Depth=1
	s_or_b32 exec_lo, exec_lo, s22
.LBB215_168:                            ;   in Loop: Header=BB215_14 Depth=1
	s_delay_alu instid0(SALU_CYCLE_1)
	s_or_b32 exec_lo, exec_lo, s21
.LBB215_169:                            ;   in Loop: Header=BB215_14 Depth=1
	s_delay_alu instid0(SALU_CYCLE_1)
	s_or_b32 exec_lo, exec_lo, s20
	flat_load_u8 v132, v[132:133] offset:12
	s_mov_b32 s20, exec_lo
	s_waitcnt vmcnt(0) lgkmcnt(0)
	v_cmpx_ne_u16_e64 0, v132
	s_cbranch_execz .LBB215_177
; %bb.170:                              ;   in Loop: Header=BB215_14 Depth=1
	v_bfrev_b32_e32 v63, 1
	s_mov_b32 s21, exec_lo
	v_cmpx_ne_u16_e64 0x80, v132
	s_cbranch_execz .LBB215_176
; %bb.171:                              ;   in Loop: Header=BB215_14 Depth=1
	v_and_b32_e32 v28, 0xffff, v132
	v_mov_b32_e32 v63, 0x7f800001
	s_mov_b32 s22, exec_lo
	s_delay_alu instid0(VALU_DEP_2) | instskip(NEXT) | instid1(VALU_DEP_1)
	v_and_b32_e32 v73, 0x7f, v28
	v_cmpx_ne_u32_e32 0x7f, v73
	s_cbranch_execz .LBB215_175
; %bb.172:                              ;   in Loop: Header=BB215_14 Depth=1
	v_and_b32_e32 v28, 7, v28
	v_lshrrev_b32_e32 v133, 3, v73
	s_mov_b32 s23, exec_lo
	v_cmpx_gt_u32_e32 8, v73
; %bb.173:                              ;   in Loop: Header=BB215_14 Depth=1
	s_delay_alu instid0(VALU_DEP_3) | instskip(NEXT) | instid1(VALU_DEP_1)
	v_clz_i32_u32_e32 v133, v28
	v_min_u32_e32 v133, 32, v133
	s_delay_alu instid0(VALU_DEP_1) | instskip(SKIP_1) | instid1(VALU_DEP_2)
	v_subrev_nc_u32_e32 v63, 28, v133
	v_sub_nc_u32_e32 v133, 29, v133
	v_lshlrev_b64 v[73:74], v63, v[28:29]
	s_delay_alu instid0(VALU_DEP_1)
	v_and_b32_e32 v28, 7, v73
; %bb.174:                              ;   in Loop: Header=BB215_14 Depth=1
	s_or_b32 exec_lo, exec_lo, s23
	v_lshlrev_b32_e32 v132, 24, v132
	s_delay_alu instid0(VALU_DEP_2) | instskip(SKIP_1) | instid1(VALU_DEP_3)
	v_lshlrev_b32_e32 v28, 20, v28
	v_lshl_add_u32 v133, v133, 23, 0x3c000000
	v_and_b32_e32 v132, 0x80000000, v132
	s_delay_alu instid0(VALU_DEP_1)
	v_or3_b32 v63, v28, v132, v133
.LBB215_175:                            ;   in Loop: Header=BB215_14 Depth=1
	s_or_b32 exec_lo, exec_lo, s22
.LBB215_176:                            ;   in Loop: Header=BB215_14 Depth=1
	s_delay_alu instid0(SALU_CYCLE_1)
	s_or_b32 exec_lo, exec_lo, s21
.LBB215_177:                            ;   in Loop: Header=BB215_14 Depth=1
	s_delay_alu instid0(SALU_CYCLE_1)
	s_or_b32 exec_lo, exec_lo, s20
	flat_load_u8 v132, v[130:131] offset:640
	v_dual_mov_b32 v73, 0 :: v_dual_mov_b32 v74, 0
	s_mov_b32 s20, exec_lo
	s_waitcnt vmcnt(0) lgkmcnt(0)
	v_cmpx_ne_u16_e64 0, v132
	s_cbranch_execz .LBB215_185
; %bb.178:                              ;   in Loop: Header=BB215_14 Depth=1
	v_bfrev_b32_e32 v74, 1
	s_mov_b32 s21, exec_lo
	v_cmpx_ne_u16_e64 0x80, v132
	s_cbranch_execz .LBB215_184
; %bb.179:                              ;   in Loop: Header=BB215_14 Depth=1
	v_and_b32_e32 v28, 0xffff, v132
	v_mov_b32_e32 v74, 0x7f800001
	s_mov_b32 s22, exec_lo
	s_delay_alu instid0(VALU_DEP_2) | instskip(NEXT) | instid1(VALU_DEP_1)
	v_and_b32_e32 v75, 0x7f, v28
	v_cmpx_ne_u32_e32 0x7f, v75
	s_cbranch_execz .LBB215_183
; %bb.180:                              ;   in Loop: Header=BB215_14 Depth=1
	v_and_b32_e32 v28, 7, v28
	v_lshrrev_b32_e32 v133, 3, v75
	s_mov_b32 s23, exec_lo
	v_cmpx_gt_u32_e32 8, v75
; %bb.181:                              ;   in Loop: Header=BB215_14 Depth=1
	s_delay_alu instid0(VALU_DEP_3) | instskip(NEXT) | instid1(VALU_DEP_1)
	v_clz_i32_u32_e32 v133, v28
	v_min_u32_e32 v133, 32, v133
	s_delay_alu instid0(VALU_DEP_1) | instskip(SKIP_1) | instid1(VALU_DEP_2)
	v_subrev_nc_u32_e32 v74, 28, v133
	v_sub_nc_u32_e32 v133, 29, v133
	v_lshlrev_b64 v[74:75], v74, v[28:29]
	s_delay_alu instid0(VALU_DEP_1)
	v_and_b32_e32 v28, 7, v74
; %bb.182:                              ;   in Loop: Header=BB215_14 Depth=1
	s_or_b32 exec_lo, exec_lo, s23
	v_lshlrev_b32_e32 v132, 24, v132
	s_delay_alu instid0(VALU_DEP_2) | instskip(SKIP_1) | instid1(VALU_DEP_3)
	v_lshlrev_b32_e32 v28, 20, v28
	v_lshl_add_u32 v133, v133, 23, 0x3c000000
	v_and_b32_e32 v132, 0x80000000, v132
	s_delay_alu instid0(VALU_DEP_1)
	v_or3_b32 v74, v28, v132, v133
.LBB215_183:                            ;   in Loop: Header=BB215_14 Depth=1
	s_or_b32 exec_lo, exec_lo, s22
.LBB215_184:                            ;   in Loop: Header=BB215_14 Depth=1
	s_delay_alu instid0(SALU_CYCLE_1)
	s_or_b32 exec_lo, exec_lo, s21
.LBB215_185:                            ;   in Loop: Header=BB215_14 Depth=1
	s_delay_alu instid0(SALU_CYCLE_1)
	s_or_b32 exec_lo, exec_lo, s20
	flat_load_u8 v132, v[130:131] offset:644
	s_mov_b32 s20, exec_lo
	s_waitcnt vmcnt(0) lgkmcnt(0)
	v_cmpx_ne_u16_e64 0, v132
	s_cbranch_execz .LBB215_193
; %bb.186:                              ;   in Loop: Header=BB215_14 Depth=1
	v_bfrev_b32_e32 v73, 1
	s_mov_b32 s21, exec_lo
	v_cmpx_ne_u16_e64 0x80, v132
	s_cbranch_execz .LBB215_192
; %bb.187:                              ;   in Loop: Header=BB215_14 Depth=1
	v_and_b32_e32 v28, 0xffff, v132
	v_mov_b32_e32 v73, 0x7f800001
	s_mov_b32 s22, exec_lo
	s_delay_alu instid0(VALU_DEP_2) | instskip(NEXT) | instid1(VALU_DEP_1)
	v_and_b32_e32 v75, 0x7f, v28
	v_cmpx_ne_u32_e32 0x7f, v75
	s_cbranch_execz .LBB215_191
; %bb.188:                              ;   in Loop: Header=BB215_14 Depth=1
	v_and_b32_e32 v28, 7, v28
	v_lshrrev_b32_e32 v133, 3, v75
	s_mov_b32 s23, exec_lo
	v_cmpx_gt_u32_e32 8, v75
; %bb.189:                              ;   in Loop: Header=BB215_14 Depth=1
	s_delay_alu instid0(VALU_DEP_3) | instskip(NEXT) | instid1(VALU_DEP_1)
	v_clz_i32_u32_e32 v133, v28
	v_min_u32_e32 v133, 32, v133
	s_delay_alu instid0(VALU_DEP_1) | instskip(SKIP_1) | instid1(VALU_DEP_2)
	v_subrev_nc_u32_e32 v73, 28, v133
	v_sub_nc_u32_e32 v133, 29, v133
	v_lshlrev_b64 v[75:76], v73, v[28:29]
	s_delay_alu instid0(VALU_DEP_1)
	v_and_b32_e32 v28, 7, v75
; %bb.190:                              ;   in Loop: Header=BB215_14 Depth=1
	s_or_b32 exec_lo, exec_lo, s23
	v_lshlrev_b32_e32 v132, 24, v132
	s_delay_alu instid0(VALU_DEP_2) | instskip(SKIP_1) | instid1(VALU_DEP_3)
	v_lshlrev_b32_e32 v28, 20, v28
	v_lshl_add_u32 v133, v133, 23, 0x3c000000
	v_and_b32_e32 v132, 0x80000000, v132
	s_delay_alu instid0(VALU_DEP_1)
	v_or3_b32 v73, v28, v132, v133
.LBB215_191:                            ;   in Loop: Header=BB215_14 Depth=1
	s_or_b32 exec_lo, exec_lo, s22
.LBB215_192:                            ;   in Loop: Header=BB215_14 Depth=1
	s_delay_alu instid0(SALU_CYCLE_1)
	s_or_b32 exec_lo, exec_lo, s21
.LBB215_193:                            ;   in Loop: Header=BB215_14 Depth=1
	s_delay_alu instid0(SALU_CYCLE_1) | instskip(SKIP_1) | instid1(VALU_DEP_1)
	s_or_b32 exec_lo, exec_lo, s20
	v_add_co_u32 v132, s2, 0x280, v130
	v_add_co_ci_u32_e64 v133, s2, 0, v131, s2
	v_dual_mov_b32 v75, 0 :: v_dual_mov_b32 v76, 0
	s_mov_b32 s20, exec_lo
	flat_load_u8 v77, v[132:133] offset:8
	s_waitcnt vmcnt(0) lgkmcnt(0)
	v_cmpx_ne_u16_e32 0, v77
	s_cbranch_execz .LBB215_201
; %bb.194:                              ;   in Loop: Header=BB215_14 Depth=1
	v_bfrev_b32_e32 v76, 1
	s_mov_b32 s21, exec_lo
	v_cmpx_ne_u16_e32 0x80, v77
	s_cbranch_execz .LBB215_200
; %bb.195:                              ;   in Loop: Header=BB215_14 Depth=1
	v_and_b32_e32 v28, 0xffff, v77
	v_mov_b32_e32 v76, 0x7f800001
	s_mov_b32 s22, exec_lo
	s_delay_alu instid0(VALU_DEP_2) | instskip(NEXT) | instid1(VALU_DEP_1)
	v_and_b32_e32 v78, 0x7f, v28
	v_cmpx_ne_u32_e32 0x7f, v78
	s_cbranch_execz .LBB215_199
; %bb.196:                              ;   in Loop: Header=BB215_14 Depth=1
	v_and_b32_e32 v28, 7, v28
	v_lshrrev_b32_e32 v76, 3, v78
	s_mov_b32 s23, exec_lo
	v_cmpx_gt_u32_e32 8, v78
; %bb.197:                              ;   in Loop: Header=BB215_14 Depth=1
	s_delay_alu instid0(VALU_DEP_3) | instskip(NEXT) | instid1(VALU_DEP_1)
	v_clz_i32_u32_e32 v76, v28
	v_min_u32_e32 v76, 32, v76
	s_delay_alu instid0(VALU_DEP_1) | instskip(SKIP_1) | instid1(VALU_DEP_2)
	v_subrev_nc_u32_e32 v78, 28, v76
	v_sub_nc_u32_e32 v76, 29, v76
	v_lshlrev_b64 v[78:79], v78, v[28:29]
	s_delay_alu instid0(VALU_DEP_1)
	v_and_b32_e32 v28, 7, v78
; %bb.198:                              ;   in Loop: Header=BB215_14 Depth=1
	s_or_b32 exec_lo, exec_lo, s23
	v_lshlrev_b32_e32 v77, 24, v77
	s_delay_alu instid0(VALU_DEP_2) | instskip(SKIP_1) | instid1(VALU_DEP_3)
	v_lshlrev_b32_e32 v28, 20, v28
	v_lshl_add_u32 v76, v76, 23, 0x3c000000
	v_and_b32_e32 v77, 0x80000000, v77
	s_delay_alu instid0(VALU_DEP_1)
	v_or3_b32 v76, v28, v77, v76
.LBB215_199:                            ;   in Loop: Header=BB215_14 Depth=1
	s_or_b32 exec_lo, exec_lo, s22
.LBB215_200:                            ;   in Loop: Header=BB215_14 Depth=1
	s_delay_alu instid0(SALU_CYCLE_1)
	s_or_b32 exec_lo, exec_lo, s21
.LBB215_201:                            ;   in Loop: Header=BB215_14 Depth=1
	s_delay_alu instid0(SALU_CYCLE_1)
	s_or_b32 exec_lo, exec_lo, s20
	flat_load_u8 v132, v[132:133] offset:12
	s_mov_b32 s20, exec_lo
	s_waitcnt vmcnt(0) lgkmcnt(0)
	v_cmpx_ne_u16_e64 0, v132
	s_cbranch_execz .LBB215_209
; %bb.202:                              ;   in Loop: Header=BB215_14 Depth=1
	v_bfrev_b32_e32 v75, 1
	s_mov_b32 s21, exec_lo
	v_cmpx_ne_u16_e64 0x80, v132
	s_cbranch_execz .LBB215_208
; %bb.203:                              ;   in Loop: Header=BB215_14 Depth=1
	v_and_b32_e32 v28, 0xffff, v132
	v_mov_b32_e32 v75, 0x7f800001
	s_mov_b32 s22, exec_lo
	s_delay_alu instid0(VALU_DEP_2) | instskip(NEXT) | instid1(VALU_DEP_1)
	v_and_b32_e32 v77, 0x7f, v28
	v_cmpx_ne_u32_e32 0x7f, v77
	s_cbranch_execz .LBB215_207
; %bb.204:                              ;   in Loop: Header=BB215_14 Depth=1
	v_and_b32_e32 v28, 7, v28
	v_lshrrev_b32_e32 v133, 3, v77
	s_mov_b32 s23, exec_lo
	v_cmpx_gt_u32_e32 8, v77
; %bb.205:                              ;   in Loop: Header=BB215_14 Depth=1
	s_delay_alu instid0(VALU_DEP_3) | instskip(NEXT) | instid1(VALU_DEP_1)
	v_clz_i32_u32_e32 v133, v28
	v_min_u32_e32 v133, 32, v133
	s_delay_alu instid0(VALU_DEP_1) | instskip(SKIP_1) | instid1(VALU_DEP_2)
	v_subrev_nc_u32_e32 v75, 28, v133
	v_sub_nc_u32_e32 v133, 29, v133
	v_lshlrev_b64 v[77:78], v75, v[28:29]
	s_delay_alu instid0(VALU_DEP_1)
	v_and_b32_e32 v28, 7, v77
; %bb.206:                              ;   in Loop: Header=BB215_14 Depth=1
	s_or_b32 exec_lo, exec_lo, s23
	v_lshlrev_b32_e32 v132, 24, v132
	s_delay_alu instid0(VALU_DEP_2) | instskip(SKIP_1) | instid1(VALU_DEP_3)
	v_lshlrev_b32_e32 v28, 20, v28
	v_lshl_add_u32 v133, v133, 23, 0x3c000000
	v_and_b32_e32 v132, 0x80000000, v132
	s_delay_alu instid0(VALU_DEP_1)
	v_or3_b32 v75, v28, v132, v133
.LBB215_207:                            ;   in Loop: Header=BB215_14 Depth=1
	s_or_b32 exec_lo, exec_lo, s22
.LBB215_208:                            ;   in Loop: Header=BB215_14 Depth=1
	s_delay_alu instid0(SALU_CYCLE_1)
	s_or_b32 exec_lo, exec_lo, s21
.LBB215_209:                            ;   in Loop: Header=BB215_14 Depth=1
	s_delay_alu instid0(SALU_CYCLE_1)
	s_or_b32 exec_lo, exec_lo, s20
	flat_load_u8 v132, v[130:131] offset:768
	v_dual_mov_b32 v77, 0 :: v_dual_mov_b32 v78, 0
	s_mov_b32 s20, exec_lo
	s_waitcnt vmcnt(0) lgkmcnt(0)
	v_cmpx_ne_u16_e64 0, v132
	s_cbranch_execz .LBB215_217
; %bb.210:                              ;   in Loop: Header=BB215_14 Depth=1
	v_bfrev_b32_e32 v78, 1
	s_mov_b32 s21, exec_lo
	v_cmpx_ne_u16_e64 0x80, v132
	s_cbranch_execz .LBB215_216
; %bb.211:                              ;   in Loop: Header=BB215_14 Depth=1
	v_and_b32_e32 v28, 0xffff, v132
	v_mov_b32_e32 v78, 0x7f800001
	s_mov_b32 s22, exec_lo
	s_delay_alu instid0(VALU_DEP_2) | instskip(NEXT) | instid1(VALU_DEP_1)
	v_and_b32_e32 v79, 0x7f, v28
	v_cmpx_ne_u32_e32 0x7f, v79
	s_cbranch_execz .LBB215_215
; %bb.212:                              ;   in Loop: Header=BB215_14 Depth=1
	v_and_b32_e32 v28, 7, v28
	v_lshrrev_b32_e32 v133, 3, v79
	s_mov_b32 s23, exec_lo
	v_cmpx_gt_u32_e32 8, v79
; %bb.213:                              ;   in Loop: Header=BB215_14 Depth=1
	s_delay_alu instid0(VALU_DEP_3) | instskip(NEXT) | instid1(VALU_DEP_1)
	v_clz_i32_u32_e32 v133, v28
	v_min_u32_e32 v133, 32, v133
	s_delay_alu instid0(VALU_DEP_1) | instskip(SKIP_1) | instid1(VALU_DEP_2)
	v_subrev_nc_u32_e32 v78, 28, v133
	v_sub_nc_u32_e32 v133, 29, v133
	v_lshlrev_b64 v[78:79], v78, v[28:29]
	s_delay_alu instid0(VALU_DEP_1)
	v_and_b32_e32 v28, 7, v78
; %bb.214:                              ;   in Loop: Header=BB215_14 Depth=1
	s_or_b32 exec_lo, exec_lo, s23
	v_lshlrev_b32_e32 v132, 24, v132
	s_delay_alu instid0(VALU_DEP_2) | instskip(SKIP_1) | instid1(VALU_DEP_3)
	v_lshlrev_b32_e32 v28, 20, v28
	v_lshl_add_u32 v133, v133, 23, 0x3c000000
	v_and_b32_e32 v132, 0x80000000, v132
	s_delay_alu instid0(VALU_DEP_1)
	v_or3_b32 v78, v28, v132, v133
.LBB215_215:                            ;   in Loop: Header=BB215_14 Depth=1
	s_or_b32 exec_lo, exec_lo, s22
.LBB215_216:                            ;   in Loop: Header=BB215_14 Depth=1
	s_delay_alu instid0(SALU_CYCLE_1)
	s_or_b32 exec_lo, exec_lo, s21
.LBB215_217:                            ;   in Loop: Header=BB215_14 Depth=1
	s_delay_alu instid0(SALU_CYCLE_1)
	s_or_b32 exec_lo, exec_lo, s20
	flat_load_u8 v132, v[130:131] offset:772
	s_mov_b32 s20, exec_lo
	s_waitcnt vmcnt(0) lgkmcnt(0)
	v_cmpx_ne_u16_e64 0, v132
	s_cbranch_execz .LBB215_225
; %bb.218:                              ;   in Loop: Header=BB215_14 Depth=1
	v_bfrev_b32_e32 v77, 1
	s_mov_b32 s21, exec_lo
	v_cmpx_ne_u16_e64 0x80, v132
	s_cbranch_execz .LBB215_224
; %bb.219:                              ;   in Loop: Header=BB215_14 Depth=1
	v_and_b32_e32 v28, 0xffff, v132
	v_mov_b32_e32 v77, 0x7f800001
	s_mov_b32 s22, exec_lo
	s_delay_alu instid0(VALU_DEP_2) | instskip(NEXT) | instid1(VALU_DEP_1)
	v_and_b32_e32 v79, 0x7f, v28
	v_cmpx_ne_u32_e32 0x7f, v79
	s_cbranch_execz .LBB215_223
; %bb.220:                              ;   in Loop: Header=BB215_14 Depth=1
	v_and_b32_e32 v28, 7, v28
	v_lshrrev_b32_e32 v133, 3, v79
	s_mov_b32 s23, exec_lo
	v_cmpx_gt_u32_e32 8, v79
; %bb.221:                              ;   in Loop: Header=BB215_14 Depth=1
	s_delay_alu instid0(VALU_DEP_3) | instskip(NEXT) | instid1(VALU_DEP_1)
	v_clz_i32_u32_e32 v133, v28
	v_min_u32_e32 v133, 32, v133
	s_delay_alu instid0(VALU_DEP_1) | instskip(SKIP_1) | instid1(VALU_DEP_2)
	v_subrev_nc_u32_e32 v77, 28, v133
	v_sub_nc_u32_e32 v133, 29, v133
	v_lshlrev_b64 v[88:89], v77, v[28:29]
	s_delay_alu instid0(VALU_DEP_1)
	v_and_b32_e32 v28, 7, v88
; %bb.222:                              ;   in Loop: Header=BB215_14 Depth=1
	s_or_b32 exec_lo, exec_lo, s23
	v_lshlrev_b32_e32 v132, 24, v132
	s_delay_alu instid0(VALU_DEP_2) | instskip(SKIP_1) | instid1(VALU_DEP_3)
	v_lshlrev_b32_e32 v28, 20, v28
	v_lshl_add_u32 v133, v133, 23, 0x3c000000
	v_and_b32_e32 v132, 0x80000000, v132
	s_delay_alu instid0(VALU_DEP_1)
	v_or3_b32 v77, v28, v132, v133
.LBB215_223:                            ;   in Loop: Header=BB215_14 Depth=1
	s_or_b32 exec_lo, exec_lo, s22
.LBB215_224:                            ;   in Loop: Header=BB215_14 Depth=1
	s_delay_alu instid0(SALU_CYCLE_1)
	s_or_b32 exec_lo, exec_lo, s21
.LBB215_225:                            ;   in Loop: Header=BB215_14 Depth=1
	s_delay_alu instid0(SALU_CYCLE_1) | instskip(SKIP_1) | instid1(VALU_DEP_1)
	s_or_b32 exec_lo, exec_lo, s20
	v_add_co_u32 v132, s2, 0x300, v130
	v_add_co_ci_u32_e64 v133, s2, 0, v131, s2
	v_dual_mov_b32 v79, 0 :: v_dual_mov_b32 v88, 0
	s_mov_b32 s20, exec_lo
	flat_load_u8 v89, v[132:133] offset:8
	s_waitcnt vmcnt(0) lgkmcnt(0)
	v_cmpx_ne_u16_e32 0, v89
	s_cbranch_execz .LBB215_233
; %bb.226:                              ;   in Loop: Header=BB215_14 Depth=1
	v_bfrev_b32_e32 v88, 1
	s_mov_b32 s21, exec_lo
	v_cmpx_ne_u16_e32 0x80, v89
	s_cbranch_execz .LBB215_232
; %bb.227:                              ;   in Loop: Header=BB215_14 Depth=1
	v_and_b32_e32 v28, 0xffff, v89
	v_mov_b32_e32 v88, 0x7f800001
	s_mov_b32 s22, exec_lo
	s_delay_alu instid0(VALU_DEP_2) | instskip(NEXT) | instid1(VALU_DEP_1)
	v_and_b32_e32 v90, 0x7f, v28
	v_cmpx_ne_u32_e32 0x7f, v90
	s_cbranch_execz .LBB215_231
; %bb.228:                              ;   in Loop: Header=BB215_14 Depth=1
	v_and_b32_e32 v28, 7, v28
	v_lshrrev_b32_e32 v88, 3, v90
	s_mov_b32 s23, exec_lo
	v_cmpx_gt_u32_e32 8, v90
; %bb.229:                              ;   in Loop: Header=BB215_14 Depth=1
	s_delay_alu instid0(VALU_DEP_3) | instskip(NEXT) | instid1(VALU_DEP_1)
	v_clz_i32_u32_e32 v88, v28
	v_min_u32_e32 v88, 32, v88
	s_delay_alu instid0(VALU_DEP_1) | instskip(SKIP_1) | instid1(VALU_DEP_2)
	v_subrev_nc_u32_e32 v90, 28, v88
	v_sub_nc_u32_e32 v88, 29, v88
	v_lshlrev_b64 v[90:91], v90, v[28:29]
	s_delay_alu instid0(VALU_DEP_1)
	v_and_b32_e32 v28, 7, v90
; %bb.230:                              ;   in Loop: Header=BB215_14 Depth=1
	s_or_b32 exec_lo, exec_lo, s23
	v_lshlrev_b32_e32 v89, 24, v89
	s_delay_alu instid0(VALU_DEP_2) | instskip(SKIP_1) | instid1(VALU_DEP_3)
	v_lshlrev_b32_e32 v28, 20, v28
	v_lshl_add_u32 v88, v88, 23, 0x3c000000
	v_and_b32_e32 v89, 0x80000000, v89
	s_delay_alu instid0(VALU_DEP_1)
	v_or3_b32 v88, v28, v89, v88
.LBB215_231:                            ;   in Loop: Header=BB215_14 Depth=1
	s_or_b32 exec_lo, exec_lo, s22
.LBB215_232:                            ;   in Loop: Header=BB215_14 Depth=1
	s_delay_alu instid0(SALU_CYCLE_1)
	s_or_b32 exec_lo, exec_lo, s21
.LBB215_233:                            ;   in Loop: Header=BB215_14 Depth=1
	s_delay_alu instid0(SALU_CYCLE_1)
	s_or_b32 exec_lo, exec_lo, s20
	flat_load_u8 v132, v[132:133] offset:12
	s_mov_b32 s20, exec_lo
	s_waitcnt vmcnt(0) lgkmcnt(0)
	v_cmpx_ne_u16_e64 0, v132
	s_cbranch_execz .LBB215_241
; %bb.234:                              ;   in Loop: Header=BB215_14 Depth=1
	v_bfrev_b32_e32 v79, 1
	s_mov_b32 s21, exec_lo
	v_cmpx_ne_u16_e64 0x80, v132
	s_cbranch_execz .LBB215_240
; %bb.235:                              ;   in Loop: Header=BB215_14 Depth=1
	v_and_b32_e32 v28, 0xffff, v132
	v_mov_b32_e32 v79, 0x7f800001
	s_mov_b32 s22, exec_lo
	s_delay_alu instid0(VALU_DEP_2) | instskip(NEXT) | instid1(VALU_DEP_1)
	v_and_b32_e32 v89, 0x7f, v28
	v_cmpx_ne_u32_e32 0x7f, v89
	s_cbranch_execz .LBB215_239
; %bb.236:                              ;   in Loop: Header=BB215_14 Depth=1
	v_and_b32_e32 v28, 7, v28
	v_lshrrev_b32_e32 v133, 3, v89
	s_mov_b32 s23, exec_lo
	v_cmpx_gt_u32_e32 8, v89
; %bb.237:                              ;   in Loop: Header=BB215_14 Depth=1
	s_delay_alu instid0(VALU_DEP_3) | instskip(NEXT) | instid1(VALU_DEP_1)
	v_clz_i32_u32_e32 v133, v28
	v_min_u32_e32 v133, 32, v133
	s_delay_alu instid0(VALU_DEP_1) | instskip(SKIP_1) | instid1(VALU_DEP_2)
	v_subrev_nc_u32_e32 v79, 28, v133
	v_sub_nc_u32_e32 v133, 29, v133
	v_lshlrev_b64 v[89:90], v79, v[28:29]
	s_delay_alu instid0(VALU_DEP_1)
	v_and_b32_e32 v28, 7, v89
; %bb.238:                              ;   in Loop: Header=BB215_14 Depth=1
	s_or_b32 exec_lo, exec_lo, s23
	v_lshlrev_b32_e32 v132, 24, v132
	s_delay_alu instid0(VALU_DEP_2) | instskip(SKIP_1) | instid1(VALU_DEP_3)
	v_lshlrev_b32_e32 v28, 20, v28
	v_lshl_add_u32 v133, v133, 23, 0x3c000000
	v_and_b32_e32 v132, 0x80000000, v132
	s_delay_alu instid0(VALU_DEP_1)
	v_or3_b32 v79, v28, v132, v133
.LBB215_239:                            ;   in Loop: Header=BB215_14 Depth=1
	s_or_b32 exec_lo, exec_lo, s22
.LBB215_240:                            ;   in Loop: Header=BB215_14 Depth=1
	s_delay_alu instid0(SALU_CYCLE_1)
	s_or_b32 exec_lo, exec_lo, s21
.LBB215_241:                            ;   in Loop: Header=BB215_14 Depth=1
	s_delay_alu instid0(SALU_CYCLE_1)
	s_or_b32 exec_lo, exec_lo, s20
	flat_load_u8 v132, v[130:131] offset:896
	v_dual_mov_b32 v89, 0 :: v_dual_mov_b32 v90, 0
	s_mov_b32 s20, exec_lo
	s_waitcnt vmcnt(0) lgkmcnt(0)
	v_cmpx_ne_u16_e64 0, v132
	s_cbranch_execz .LBB215_249
; %bb.242:                              ;   in Loop: Header=BB215_14 Depth=1
	v_bfrev_b32_e32 v90, 1
	s_mov_b32 s21, exec_lo
	v_cmpx_ne_u16_e64 0x80, v132
	s_cbranch_execz .LBB215_248
; %bb.243:                              ;   in Loop: Header=BB215_14 Depth=1
	v_and_b32_e32 v28, 0xffff, v132
	v_mov_b32_e32 v90, 0x7f800001
	s_mov_b32 s22, exec_lo
	s_delay_alu instid0(VALU_DEP_2) | instskip(NEXT) | instid1(VALU_DEP_1)
	v_and_b32_e32 v91, 0x7f, v28
	v_cmpx_ne_u32_e32 0x7f, v91
	s_cbranch_execz .LBB215_247
; %bb.244:                              ;   in Loop: Header=BB215_14 Depth=1
	v_and_b32_e32 v28, 7, v28
	v_lshrrev_b32_e32 v133, 3, v91
	s_mov_b32 s23, exec_lo
	v_cmpx_gt_u32_e32 8, v91
; %bb.245:                              ;   in Loop: Header=BB215_14 Depth=1
	s_delay_alu instid0(VALU_DEP_3) | instskip(NEXT) | instid1(VALU_DEP_1)
	v_clz_i32_u32_e32 v133, v28
	v_min_u32_e32 v133, 32, v133
	s_delay_alu instid0(VALU_DEP_1) | instskip(SKIP_1) | instid1(VALU_DEP_2)
	v_subrev_nc_u32_e32 v90, 28, v133
	v_sub_nc_u32_e32 v133, 29, v133
	v_lshlrev_b64 v[90:91], v90, v[28:29]
	s_delay_alu instid0(VALU_DEP_1)
	v_and_b32_e32 v28, 7, v90
; %bb.246:                              ;   in Loop: Header=BB215_14 Depth=1
	s_or_b32 exec_lo, exec_lo, s23
	v_lshlrev_b32_e32 v132, 24, v132
	s_delay_alu instid0(VALU_DEP_2) | instskip(SKIP_1) | instid1(VALU_DEP_3)
	v_lshlrev_b32_e32 v28, 20, v28
	v_lshl_add_u32 v133, v133, 23, 0x3c000000
	v_and_b32_e32 v132, 0x80000000, v132
	s_delay_alu instid0(VALU_DEP_1)
	v_or3_b32 v90, v28, v132, v133
.LBB215_247:                            ;   in Loop: Header=BB215_14 Depth=1
	s_or_b32 exec_lo, exec_lo, s22
.LBB215_248:                            ;   in Loop: Header=BB215_14 Depth=1
	s_delay_alu instid0(SALU_CYCLE_1)
	s_or_b32 exec_lo, exec_lo, s21
.LBB215_249:                            ;   in Loop: Header=BB215_14 Depth=1
	s_delay_alu instid0(SALU_CYCLE_1)
	s_or_b32 exec_lo, exec_lo, s20
	flat_load_u8 v132, v[130:131] offset:900
	s_mov_b32 s20, exec_lo
	s_waitcnt vmcnt(0) lgkmcnt(0)
	v_cmpx_ne_u16_e64 0, v132
	s_cbranch_execz .LBB215_257
; %bb.250:                              ;   in Loop: Header=BB215_14 Depth=1
	v_bfrev_b32_e32 v89, 1
	s_mov_b32 s21, exec_lo
	v_cmpx_ne_u16_e64 0x80, v132
	s_cbranch_execz .LBB215_256
; %bb.251:                              ;   in Loop: Header=BB215_14 Depth=1
	v_and_b32_e32 v28, 0xffff, v132
	v_mov_b32_e32 v89, 0x7f800001
	s_mov_b32 s22, exec_lo
	s_delay_alu instid0(VALU_DEP_2) | instskip(NEXT) | instid1(VALU_DEP_1)
	v_and_b32_e32 v91, 0x7f, v28
	v_cmpx_ne_u32_e32 0x7f, v91
	s_cbranch_execz .LBB215_255
; %bb.252:                              ;   in Loop: Header=BB215_14 Depth=1
	v_and_b32_e32 v28, 7, v28
	v_lshrrev_b32_e32 v133, 3, v91
	s_mov_b32 s23, exec_lo
	v_cmpx_gt_u32_e32 8, v91
; %bb.253:                              ;   in Loop: Header=BB215_14 Depth=1
	s_delay_alu instid0(VALU_DEP_3) | instskip(NEXT) | instid1(VALU_DEP_1)
	v_clz_i32_u32_e32 v133, v28
	v_min_u32_e32 v133, 32, v133
	s_delay_alu instid0(VALU_DEP_1) | instskip(SKIP_1) | instid1(VALU_DEP_2)
	v_subrev_nc_u32_e32 v89, 28, v133
	v_sub_nc_u32_e32 v133, 29, v133
	v_lshlrev_b64 v[91:92], v89, v[28:29]
	s_delay_alu instid0(VALU_DEP_1)
	v_and_b32_e32 v28, 7, v91
; %bb.254:                              ;   in Loop: Header=BB215_14 Depth=1
	s_or_b32 exec_lo, exec_lo, s23
	v_lshlrev_b32_e32 v132, 24, v132
	s_delay_alu instid0(VALU_DEP_2) | instskip(SKIP_1) | instid1(VALU_DEP_3)
	v_lshlrev_b32_e32 v28, 20, v28
	v_lshl_add_u32 v133, v133, 23, 0x3c000000
	v_and_b32_e32 v132, 0x80000000, v132
	s_delay_alu instid0(VALU_DEP_1)
	v_or3_b32 v89, v28, v132, v133
.LBB215_255:                            ;   in Loop: Header=BB215_14 Depth=1
	s_or_b32 exec_lo, exec_lo, s22
.LBB215_256:                            ;   in Loop: Header=BB215_14 Depth=1
	s_delay_alu instid0(SALU_CYCLE_1)
	s_or_b32 exec_lo, exec_lo, s21
.LBB215_257:                            ;   in Loop: Header=BB215_14 Depth=1
	s_delay_alu instid0(SALU_CYCLE_1) | instskip(SKIP_1) | instid1(VALU_DEP_1)
	s_or_b32 exec_lo, exec_lo, s20
	v_add_co_u32 v132, s2, 0x380, v130
	v_add_co_ci_u32_e64 v133, s2, 0, v131, s2
	v_dual_mov_b32 v91, 0 :: v_dual_mov_b32 v92, 0
	s_mov_b32 s20, exec_lo
	flat_load_u8 v93, v[132:133] offset:8
	s_waitcnt vmcnt(0) lgkmcnt(0)
	v_cmpx_ne_u16_e32 0, v93
	s_cbranch_execz .LBB215_265
; %bb.258:                              ;   in Loop: Header=BB215_14 Depth=1
	v_bfrev_b32_e32 v92, 1
	s_mov_b32 s21, exec_lo
	v_cmpx_ne_u16_e32 0x80, v93
	s_cbranch_execz .LBB215_264
; %bb.259:                              ;   in Loop: Header=BB215_14 Depth=1
	v_and_b32_e32 v28, 0xffff, v93
	v_mov_b32_e32 v92, 0x7f800001
	s_mov_b32 s22, exec_lo
	s_delay_alu instid0(VALU_DEP_2) | instskip(NEXT) | instid1(VALU_DEP_1)
	v_and_b32_e32 v94, 0x7f, v28
	v_cmpx_ne_u32_e32 0x7f, v94
	s_cbranch_execz .LBB215_263
; %bb.260:                              ;   in Loop: Header=BB215_14 Depth=1
	v_and_b32_e32 v28, 7, v28
	v_lshrrev_b32_e32 v92, 3, v94
	s_mov_b32 s23, exec_lo
	v_cmpx_gt_u32_e32 8, v94
; %bb.261:                              ;   in Loop: Header=BB215_14 Depth=1
	s_delay_alu instid0(VALU_DEP_3) | instskip(NEXT) | instid1(VALU_DEP_1)
	v_clz_i32_u32_e32 v92, v28
	v_min_u32_e32 v92, 32, v92
	s_delay_alu instid0(VALU_DEP_1) | instskip(SKIP_1) | instid1(VALU_DEP_2)
	v_subrev_nc_u32_e32 v94, 28, v92
	v_sub_nc_u32_e32 v92, 29, v92
	v_lshlrev_b64 v[94:95], v94, v[28:29]
	s_delay_alu instid0(VALU_DEP_1)
	v_and_b32_e32 v28, 7, v94
; %bb.262:                              ;   in Loop: Header=BB215_14 Depth=1
	s_or_b32 exec_lo, exec_lo, s23
	v_lshlrev_b32_e32 v93, 24, v93
	s_delay_alu instid0(VALU_DEP_2) | instskip(SKIP_1) | instid1(VALU_DEP_3)
	v_lshlrev_b32_e32 v28, 20, v28
	v_lshl_add_u32 v92, v92, 23, 0x3c000000
	v_and_b32_e32 v93, 0x80000000, v93
	s_delay_alu instid0(VALU_DEP_1)
	v_or3_b32 v92, v28, v93, v92
.LBB215_263:                            ;   in Loop: Header=BB215_14 Depth=1
	s_or_b32 exec_lo, exec_lo, s22
.LBB215_264:                            ;   in Loop: Header=BB215_14 Depth=1
	s_delay_alu instid0(SALU_CYCLE_1)
	s_or_b32 exec_lo, exec_lo, s21
.LBB215_265:                            ;   in Loop: Header=BB215_14 Depth=1
	s_delay_alu instid0(SALU_CYCLE_1)
	s_or_b32 exec_lo, exec_lo, s20
	flat_load_u8 v132, v[132:133] offset:12
	s_mov_b32 s20, exec_lo
	s_waitcnt vmcnt(0) lgkmcnt(0)
	v_cmpx_ne_u16_e64 0, v132
	s_cbranch_execz .LBB215_273
; %bb.266:                              ;   in Loop: Header=BB215_14 Depth=1
	v_bfrev_b32_e32 v91, 1
	s_mov_b32 s21, exec_lo
	v_cmpx_ne_u16_e64 0x80, v132
	s_cbranch_execz .LBB215_272
; %bb.267:                              ;   in Loop: Header=BB215_14 Depth=1
	v_and_b32_e32 v28, 0xffff, v132
	v_mov_b32_e32 v91, 0x7f800001
	s_mov_b32 s22, exec_lo
	s_delay_alu instid0(VALU_DEP_2) | instskip(NEXT) | instid1(VALU_DEP_1)
	v_and_b32_e32 v93, 0x7f, v28
	v_cmpx_ne_u32_e32 0x7f, v93
	s_cbranch_execz .LBB215_271
; %bb.268:                              ;   in Loop: Header=BB215_14 Depth=1
	v_and_b32_e32 v28, 7, v28
	v_lshrrev_b32_e32 v133, 3, v93
	s_mov_b32 s23, exec_lo
	v_cmpx_gt_u32_e32 8, v93
; %bb.269:                              ;   in Loop: Header=BB215_14 Depth=1
	s_delay_alu instid0(VALU_DEP_3) | instskip(NEXT) | instid1(VALU_DEP_1)
	v_clz_i32_u32_e32 v133, v28
	v_min_u32_e32 v133, 32, v133
	s_delay_alu instid0(VALU_DEP_1) | instskip(SKIP_1) | instid1(VALU_DEP_2)
	v_subrev_nc_u32_e32 v91, 28, v133
	v_sub_nc_u32_e32 v133, 29, v133
	v_lshlrev_b64 v[93:94], v91, v[28:29]
	s_delay_alu instid0(VALU_DEP_1)
	v_and_b32_e32 v28, 7, v93
; %bb.270:                              ;   in Loop: Header=BB215_14 Depth=1
	s_or_b32 exec_lo, exec_lo, s23
	v_lshlrev_b32_e32 v132, 24, v132
	s_delay_alu instid0(VALU_DEP_2) | instskip(SKIP_1) | instid1(VALU_DEP_3)
	v_lshlrev_b32_e32 v28, 20, v28
	v_lshl_add_u32 v133, v133, 23, 0x3c000000
	v_and_b32_e32 v132, 0x80000000, v132
	s_delay_alu instid0(VALU_DEP_1)
	v_or3_b32 v91, v28, v132, v133
.LBB215_271:                            ;   in Loop: Header=BB215_14 Depth=1
	s_or_b32 exec_lo, exec_lo, s22
.LBB215_272:                            ;   in Loop: Header=BB215_14 Depth=1
	s_delay_alu instid0(SALU_CYCLE_1)
	s_or_b32 exec_lo, exec_lo, s21
.LBB215_273:                            ;   in Loop: Header=BB215_14 Depth=1
	s_delay_alu instid0(SALU_CYCLE_1)
	s_or_b32 exec_lo, exec_lo, s20
	flat_load_u8 v132, v[130:131] offset:1024
	v_dual_mov_b32 v93, 0 :: v_dual_mov_b32 v94, 0
	s_mov_b32 s20, exec_lo
	s_waitcnt vmcnt(0) lgkmcnt(0)
	v_cmpx_ne_u16_e64 0, v132
	s_cbranch_execz .LBB215_281
; %bb.274:                              ;   in Loop: Header=BB215_14 Depth=1
	v_bfrev_b32_e32 v94, 1
	s_mov_b32 s21, exec_lo
	v_cmpx_ne_u16_e64 0x80, v132
	s_cbranch_execz .LBB215_280
; %bb.275:                              ;   in Loop: Header=BB215_14 Depth=1
	v_and_b32_e32 v28, 0xffff, v132
	v_mov_b32_e32 v94, 0x7f800001
	s_mov_b32 s22, exec_lo
	s_delay_alu instid0(VALU_DEP_2) | instskip(NEXT) | instid1(VALU_DEP_1)
	v_and_b32_e32 v95, 0x7f, v28
	v_cmpx_ne_u32_e32 0x7f, v95
	s_cbranch_execz .LBB215_279
; %bb.276:                              ;   in Loop: Header=BB215_14 Depth=1
	v_and_b32_e32 v28, 7, v28
	v_lshrrev_b32_e32 v133, 3, v95
	s_mov_b32 s23, exec_lo
	v_cmpx_gt_u32_e32 8, v95
; %bb.277:                              ;   in Loop: Header=BB215_14 Depth=1
	s_delay_alu instid0(VALU_DEP_3) | instskip(NEXT) | instid1(VALU_DEP_1)
	v_clz_i32_u32_e32 v133, v28
	v_min_u32_e32 v133, 32, v133
	s_delay_alu instid0(VALU_DEP_1) | instskip(SKIP_1) | instid1(VALU_DEP_2)
	v_subrev_nc_u32_e32 v94, 28, v133
	v_sub_nc_u32_e32 v133, 29, v133
	v_lshlrev_b64 v[94:95], v94, v[28:29]
	s_delay_alu instid0(VALU_DEP_1)
	v_and_b32_e32 v28, 7, v94
; %bb.278:                              ;   in Loop: Header=BB215_14 Depth=1
	s_or_b32 exec_lo, exec_lo, s23
	v_lshlrev_b32_e32 v132, 24, v132
	s_delay_alu instid0(VALU_DEP_2) | instskip(SKIP_1) | instid1(VALU_DEP_3)
	v_lshlrev_b32_e32 v28, 20, v28
	v_lshl_add_u32 v133, v133, 23, 0x3c000000
	v_and_b32_e32 v132, 0x80000000, v132
	s_delay_alu instid0(VALU_DEP_1)
	v_or3_b32 v94, v28, v132, v133
.LBB215_279:                            ;   in Loop: Header=BB215_14 Depth=1
	s_or_b32 exec_lo, exec_lo, s22
.LBB215_280:                            ;   in Loop: Header=BB215_14 Depth=1
	s_delay_alu instid0(SALU_CYCLE_1)
	s_or_b32 exec_lo, exec_lo, s21
.LBB215_281:                            ;   in Loop: Header=BB215_14 Depth=1
	s_delay_alu instid0(SALU_CYCLE_1)
	s_or_b32 exec_lo, exec_lo, s20
	flat_load_u8 v132, v[130:131] offset:1028
	s_mov_b32 s20, exec_lo
	s_waitcnt vmcnt(0) lgkmcnt(0)
	v_cmpx_ne_u16_e64 0, v132
	s_cbranch_execz .LBB215_289
; %bb.282:                              ;   in Loop: Header=BB215_14 Depth=1
	v_bfrev_b32_e32 v93, 1
	s_mov_b32 s21, exec_lo
	v_cmpx_ne_u16_e64 0x80, v132
	s_cbranch_execz .LBB215_288
; %bb.283:                              ;   in Loop: Header=BB215_14 Depth=1
	v_and_b32_e32 v28, 0xffff, v132
	v_mov_b32_e32 v93, 0x7f800001
	s_mov_b32 s22, exec_lo
	s_delay_alu instid0(VALU_DEP_2) | instskip(NEXT) | instid1(VALU_DEP_1)
	v_and_b32_e32 v95, 0x7f, v28
	v_cmpx_ne_u32_e32 0x7f, v95
	s_cbranch_execz .LBB215_287
; %bb.284:                              ;   in Loop: Header=BB215_14 Depth=1
	v_and_b32_e32 v28, 7, v28
	v_lshrrev_b32_e32 v133, 3, v95
	s_mov_b32 s23, exec_lo
	v_cmpx_gt_u32_e32 8, v95
; %bb.285:                              ;   in Loop: Header=BB215_14 Depth=1
	s_delay_alu instid0(VALU_DEP_3) | instskip(NEXT) | instid1(VALU_DEP_1)
	v_clz_i32_u32_e32 v133, v28
	v_min_u32_e32 v133, 32, v133
	s_delay_alu instid0(VALU_DEP_1) | instskip(SKIP_1) | instid1(VALU_DEP_2)
	v_subrev_nc_u32_e32 v93, 28, v133
	v_sub_nc_u32_e32 v133, 29, v133
	v_lshlrev_b64 v[104:105], v93, v[28:29]
	s_delay_alu instid0(VALU_DEP_1)
	v_and_b32_e32 v28, 7, v104
; %bb.286:                              ;   in Loop: Header=BB215_14 Depth=1
	s_or_b32 exec_lo, exec_lo, s23
	v_lshlrev_b32_e32 v132, 24, v132
	s_delay_alu instid0(VALU_DEP_2) | instskip(SKIP_1) | instid1(VALU_DEP_3)
	v_lshlrev_b32_e32 v28, 20, v28
	v_lshl_add_u32 v133, v133, 23, 0x3c000000
	v_and_b32_e32 v132, 0x80000000, v132
	s_delay_alu instid0(VALU_DEP_1)
	v_or3_b32 v93, v28, v132, v133
.LBB215_287:                            ;   in Loop: Header=BB215_14 Depth=1
	s_or_b32 exec_lo, exec_lo, s22
.LBB215_288:                            ;   in Loop: Header=BB215_14 Depth=1
	s_delay_alu instid0(SALU_CYCLE_1)
	s_or_b32 exec_lo, exec_lo, s21
.LBB215_289:                            ;   in Loop: Header=BB215_14 Depth=1
	s_delay_alu instid0(SALU_CYCLE_1) | instskip(SKIP_1) | instid1(VALU_DEP_1)
	s_or_b32 exec_lo, exec_lo, s20
	v_add_co_u32 v132, s2, 0x400, v130
	v_add_co_ci_u32_e64 v133, s2, 0, v131, s2
	v_dual_mov_b32 v95, 0 :: v_dual_mov_b32 v104, 0
	s_mov_b32 s20, exec_lo
	flat_load_u8 v105, v[132:133] offset:8
	s_waitcnt vmcnt(0) lgkmcnt(0)
	v_cmpx_ne_u16_e32 0, v105
	s_cbranch_execz .LBB215_297
; %bb.290:                              ;   in Loop: Header=BB215_14 Depth=1
	v_bfrev_b32_e32 v104, 1
	s_mov_b32 s21, exec_lo
	v_cmpx_ne_u16_e32 0x80, v105
	s_cbranch_execz .LBB215_296
; %bb.291:                              ;   in Loop: Header=BB215_14 Depth=1
	v_and_b32_e32 v28, 0xffff, v105
	v_mov_b32_e32 v104, 0x7f800001
	s_mov_b32 s22, exec_lo
	s_delay_alu instid0(VALU_DEP_2) | instskip(NEXT) | instid1(VALU_DEP_1)
	v_and_b32_e32 v106, 0x7f, v28
	v_cmpx_ne_u32_e32 0x7f, v106
	s_cbranch_execz .LBB215_295
; %bb.292:                              ;   in Loop: Header=BB215_14 Depth=1
	v_and_b32_e32 v28, 7, v28
	v_lshrrev_b32_e32 v104, 3, v106
	s_mov_b32 s23, exec_lo
	v_cmpx_gt_u32_e32 8, v106
; %bb.293:                              ;   in Loop: Header=BB215_14 Depth=1
	s_delay_alu instid0(VALU_DEP_3) | instskip(NEXT) | instid1(VALU_DEP_1)
	v_clz_i32_u32_e32 v104, v28
	v_min_u32_e32 v104, 32, v104
	s_delay_alu instid0(VALU_DEP_1) | instskip(SKIP_1) | instid1(VALU_DEP_2)
	v_subrev_nc_u32_e32 v106, 28, v104
	v_sub_nc_u32_e32 v104, 29, v104
	v_lshlrev_b64 v[106:107], v106, v[28:29]
	s_delay_alu instid0(VALU_DEP_1)
	v_and_b32_e32 v28, 7, v106
; %bb.294:                              ;   in Loop: Header=BB215_14 Depth=1
	s_or_b32 exec_lo, exec_lo, s23
	v_lshlrev_b32_e32 v105, 24, v105
	s_delay_alu instid0(VALU_DEP_2) | instskip(SKIP_1) | instid1(VALU_DEP_3)
	v_lshlrev_b32_e32 v28, 20, v28
	v_lshl_add_u32 v104, v104, 23, 0x3c000000
	v_and_b32_e32 v105, 0x80000000, v105
	s_delay_alu instid0(VALU_DEP_1)
	v_or3_b32 v104, v28, v105, v104
.LBB215_295:                            ;   in Loop: Header=BB215_14 Depth=1
	s_or_b32 exec_lo, exec_lo, s22
.LBB215_296:                            ;   in Loop: Header=BB215_14 Depth=1
	s_delay_alu instid0(SALU_CYCLE_1)
	s_or_b32 exec_lo, exec_lo, s21
.LBB215_297:                            ;   in Loop: Header=BB215_14 Depth=1
	s_delay_alu instid0(SALU_CYCLE_1)
	s_or_b32 exec_lo, exec_lo, s20
	flat_load_u8 v132, v[132:133] offset:12
	s_mov_b32 s20, exec_lo
	s_waitcnt vmcnt(0) lgkmcnt(0)
	v_cmpx_ne_u16_e64 0, v132
	s_cbranch_execz .LBB215_305
; %bb.298:                              ;   in Loop: Header=BB215_14 Depth=1
	v_bfrev_b32_e32 v95, 1
	s_mov_b32 s21, exec_lo
	v_cmpx_ne_u16_e64 0x80, v132
	s_cbranch_execz .LBB215_304
; %bb.299:                              ;   in Loop: Header=BB215_14 Depth=1
	v_and_b32_e32 v28, 0xffff, v132
	v_mov_b32_e32 v95, 0x7f800001
	s_mov_b32 s22, exec_lo
	s_delay_alu instid0(VALU_DEP_2) | instskip(NEXT) | instid1(VALU_DEP_1)
	v_and_b32_e32 v105, 0x7f, v28
	v_cmpx_ne_u32_e32 0x7f, v105
	s_cbranch_execz .LBB215_303
; %bb.300:                              ;   in Loop: Header=BB215_14 Depth=1
	v_and_b32_e32 v28, 7, v28
	v_lshrrev_b32_e32 v133, 3, v105
	s_mov_b32 s23, exec_lo
	v_cmpx_gt_u32_e32 8, v105
; %bb.301:                              ;   in Loop: Header=BB215_14 Depth=1
	s_delay_alu instid0(VALU_DEP_3) | instskip(NEXT) | instid1(VALU_DEP_1)
	v_clz_i32_u32_e32 v133, v28
	v_min_u32_e32 v133, 32, v133
	s_delay_alu instid0(VALU_DEP_1) | instskip(SKIP_1) | instid1(VALU_DEP_2)
	v_subrev_nc_u32_e32 v95, 28, v133
	v_sub_nc_u32_e32 v133, 29, v133
	v_lshlrev_b64 v[105:106], v95, v[28:29]
	s_delay_alu instid0(VALU_DEP_1)
	v_and_b32_e32 v28, 7, v105
; %bb.302:                              ;   in Loop: Header=BB215_14 Depth=1
	s_or_b32 exec_lo, exec_lo, s23
	v_lshlrev_b32_e32 v132, 24, v132
	s_delay_alu instid0(VALU_DEP_2) | instskip(SKIP_1) | instid1(VALU_DEP_3)
	v_lshlrev_b32_e32 v28, 20, v28
	v_lshl_add_u32 v133, v133, 23, 0x3c000000
	v_and_b32_e32 v132, 0x80000000, v132
	s_delay_alu instid0(VALU_DEP_1)
	v_or3_b32 v95, v28, v132, v133
.LBB215_303:                            ;   in Loop: Header=BB215_14 Depth=1
	s_or_b32 exec_lo, exec_lo, s22
.LBB215_304:                            ;   in Loop: Header=BB215_14 Depth=1
	s_delay_alu instid0(SALU_CYCLE_1)
	s_or_b32 exec_lo, exec_lo, s21
.LBB215_305:                            ;   in Loop: Header=BB215_14 Depth=1
	s_delay_alu instid0(SALU_CYCLE_1)
	s_or_b32 exec_lo, exec_lo, s20
	flat_load_u8 v132, v[130:131] offset:1152
	v_dual_mov_b32 v105, 0 :: v_dual_mov_b32 v106, 0
	s_mov_b32 s20, exec_lo
	s_waitcnt vmcnt(0) lgkmcnt(0)
	v_cmpx_ne_u16_e64 0, v132
	s_cbranch_execz .LBB215_313
; %bb.306:                              ;   in Loop: Header=BB215_14 Depth=1
	v_bfrev_b32_e32 v106, 1
	s_mov_b32 s21, exec_lo
	v_cmpx_ne_u16_e64 0x80, v132
	s_cbranch_execz .LBB215_312
; %bb.307:                              ;   in Loop: Header=BB215_14 Depth=1
	v_and_b32_e32 v28, 0xffff, v132
	v_mov_b32_e32 v106, 0x7f800001
	s_mov_b32 s22, exec_lo
	s_delay_alu instid0(VALU_DEP_2) | instskip(NEXT) | instid1(VALU_DEP_1)
	v_and_b32_e32 v107, 0x7f, v28
	v_cmpx_ne_u32_e32 0x7f, v107
	s_cbranch_execz .LBB215_311
; %bb.308:                              ;   in Loop: Header=BB215_14 Depth=1
	v_and_b32_e32 v28, 7, v28
	v_lshrrev_b32_e32 v133, 3, v107
	s_mov_b32 s23, exec_lo
	v_cmpx_gt_u32_e32 8, v107
; %bb.309:                              ;   in Loop: Header=BB215_14 Depth=1
	s_delay_alu instid0(VALU_DEP_3) | instskip(NEXT) | instid1(VALU_DEP_1)
	v_clz_i32_u32_e32 v133, v28
	v_min_u32_e32 v133, 32, v133
	s_delay_alu instid0(VALU_DEP_1) | instskip(SKIP_1) | instid1(VALU_DEP_2)
	v_subrev_nc_u32_e32 v106, 28, v133
	v_sub_nc_u32_e32 v133, 29, v133
	v_lshlrev_b64 v[106:107], v106, v[28:29]
	s_delay_alu instid0(VALU_DEP_1)
	v_and_b32_e32 v28, 7, v106
; %bb.310:                              ;   in Loop: Header=BB215_14 Depth=1
	s_or_b32 exec_lo, exec_lo, s23
	v_lshlrev_b32_e32 v132, 24, v132
	s_delay_alu instid0(VALU_DEP_2) | instskip(SKIP_1) | instid1(VALU_DEP_3)
	v_lshlrev_b32_e32 v28, 20, v28
	v_lshl_add_u32 v133, v133, 23, 0x3c000000
	v_and_b32_e32 v132, 0x80000000, v132
	s_delay_alu instid0(VALU_DEP_1)
	v_or3_b32 v106, v28, v132, v133
.LBB215_311:                            ;   in Loop: Header=BB215_14 Depth=1
	s_or_b32 exec_lo, exec_lo, s22
.LBB215_312:                            ;   in Loop: Header=BB215_14 Depth=1
	s_delay_alu instid0(SALU_CYCLE_1)
	s_or_b32 exec_lo, exec_lo, s21
.LBB215_313:                            ;   in Loop: Header=BB215_14 Depth=1
	s_delay_alu instid0(SALU_CYCLE_1)
	s_or_b32 exec_lo, exec_lo, s20
	flat_load_u8 v132, v[130:131] offset:1156
	s_mov_b32 s20, exec_lo
	s_waitcnt vmcnt(0) lgkmcnt(0)
	v_cmpx_ne_u16_e64 0, v132
	s_cbranch_execz .LBB215_321
; %bb.314:                              ;   in Loop: Header=BB215_14 Depth=1
	v_bfrev_b32_e32 v105, 1
	s_mov_b32 s21, exec_lo
	v_cmpx_ne_u16_e64 0x80, v132
	s_cbranch_execz .LBB215_320
; %bb.315:                              ;   in Loop: Header=BB215_14 Depth=1
	v_and_b32_e32 v28, 0xffff, v132
	v_mov_b32_e32 v105, 0x7f800001
	s_mov_b32 s22, exec_lo
	s_delay_alu instid0(VALU_DEP_2) | instskip(NEXT) | instid1(VALU_DEP_1)
	v_and_b32_e32 v107, 0x7f, v28
	v_cmpx_ne_u32_e32 0x7f, v107
	s_cbranch_execz .LBB215_319
; %bb.316:                              ;   in Loop: Header=BB215_14 Depth=1
	v_and_b32_e32 v28, 7, v28
	v_lshrrev_b32_e32 v133, 3, v107
	s_mov_b32 s23, exec_lo
	v_cmpx_gt_u32_e32 8, v107
; %bb.317:                              ;   in Loop: Header=BB215_14 Depth=1
	s_delay_alu instid0(VALU_DEP_3) | instskip(NEXT) | instid1(VALU_DEP_1)
	v_clz_i32_u32_e32 v133, v28
	v_min_u32_e32 v133, 32, v133
	s_delay_alu instid0(VALU_DEP_1) | instskip(SKIP_1) | instid1(VALU_DEP_2)
	v_subrev_nc_u32_e32 v105, 28, v133
	v_sub_nc_u32_e32 v133, 29, v133
	v_lshlrev_b64 v[107:108], v105, v[28:29]
	s_delay_alu instid0(VALU_DEP_1)
	v_and_b32_e32 v28, 7, v107
; %bb.318:                              ;   in Loop: Header=BB215_14 Depth=1
	s_or_b32 exec_lo, exec_lo, s23
	v_lshlrev_b32_e32 v132, 24, v132
	s_delay_alu instid0(VALU_DEP_2) | instskip(SKIP_1) | instid1(VALU_DEP_3)
	v_lshlrev_b32_e32 v28, 20, v28
	v_lshl_add_u32 v133, v133, 23, 0x3c000000
	v_and_b32_e32 v132, 0x80000000, v132
	s_delay_alu instid0(VALU_DEP_1)
	v_or3_b32 v105, v28, v132, v133
.LBB215_319:                            ;   in Loop: Header=BB215_14 Depth=1
	s_or_b32 exec_lo, exec_lo, s22
.LBB215_320:                            ;   in Loop: Header=BB215_14 Depth=1
	s_delay_alu instid0(SALU_CYCLE_1)
	s_or_b32 exec_lo, exec_lo, s21
.LBB215_321:                            ;   in Loop: Header=BB215_14 Depth=1
	s_delay_alu instid0(SALU_CYCLE_1) | instskip(SKIP_1) | instid1(VALU_DEP_1)
	s_or_b32 exec_lo, exec_lo, s20
	v_add_co_u32 v132, s2, 0x480, v130
	v_add_co_ci_u32_e64 v133, s2, 0, v131, s2
	v_dual_mov_b32 v107, 0 :: v_dual_mov_b32 v108, 0
	s_mov_b32 s20, exec_lo
	flat_load_u8 v109, v[132:133] offset:8
	s_waitcnt vmcnt(0) lgkmcnt(0)
	v_cmpx_ne_u16_e32 0, v109
	s_cbranch_execz .LBB215_329
; %bb.322:                              ;   in Loop: Header=BB215_14 Depth=1
	v_bfrev_b32_e32 v108, 1
	s_mov_b32 s21, exec_lo
	v_cmpx_ne_u16_e32 0x80, v109
	s_cbranch_execz .LBB215_328
; %bb.323:                              ;   in Loop: Header=BB215_14 Depth=1
	v_and_b32_e32 v28, 0xffff, v109
	v_mov_b32_e32 v108, 0x7f800001
	s_mov_b32 s22, exec_lo
	s_delay_alu instid0(VALU_DEP_2) | instskip(NEXT) | instid1(VALU_DEP_1)
	v_and_b32_e32 v110, 0x7f, v28
	v_cmpx_ne_u32_e32 0x7f, v110
	s_cbranch_execz .LBB215_327
; %bb.324:                              ;   in Loop: Header=BB215_14 Depth=1
	v_and_b32_e32 v28, 7, v28
	v_lshrrev_b32_e32 v108, 3, v110
	s_mov_b32 s23, exec_lo
	v_cmpx_gt_u32_e32 8, v110
; %bb.325:                              ;   in Loop: Header=BB215_14 Depth=1
	s_delay_alu instid0(VALU_DEP_3) | instskip(NEXT) | instid1(VALU_DEP_1)
	v_clz_i32_u32_e32 v108, v28
	v_min_u32_e32 v108, 32, v108
	s_delay_alu instid0(VALU_DEP_1) | instskip(SKIP_1) | instid1(VALU_DEP_2)
	v_subrev_nc_u32_e32 v110, 28, v108
	v_sub_nc_u32_e32 v108, 29, v108
	v_lshlrev_b64 v[110:111], v110, v[28:29]
	s_delay_alu instid0(VALU_DEP_1)
	v_and_b32_e32 v28, 7, v110
; %bb.326:                              ;   in Loop: Header=BB215_14 Depth=1
	s_or_b32 exec_lo, exec_lo, s23
	v_lshlrev_b32_e32 v109, 24, v109
	s_delay_alu instid0(VALU_DEP_2) | instskip(SKIP_1) | instid1(VALU_DEP_3)
	v_lshlrev_b32_e32 v28, 20, v28
	v_lshl_add_u32 v108, v108, 23, 0x3c000000
	v_and_b32_e32 v109, 0x80000000, v109
	s_delay_alu instid0(VALU_DEP_1)
	v_or3_b32 v108, v28, v109, v108
.LBB215_327:                            ;   in Loop: Header=BB215_14 Depth=1
	s_or_b32 exec_lo, exec_lo, s22
.LBB215_328:                            ;   in Loop: Header=BB215_14 Depth=1
	s_delay_alu instid0(SALU_CYCLE_1)
	s_or_b32 exec_lo, exec_lo, s21
.LBB215_329:                            ;   in Loop: Header=BB215_14 Depth=1
	s_delay_alu instid0(SALU_CYCLE_1)
	s_or_b32 exec_lo, exec_lo, s20
	flat_load_u8 v132, v[132:133] offset:12
	s_mov_b32 s20, exec_lo
	s_waitcnt vmcnt(0) lgkmcnt(0)
	v_cmpx_ne_u16_e64 0, v132
	s_cbranch_execz .LBB215_337
; %bb.330:                              ;   in Loop: Header=BB215_14 Depth=1
	v_bfrev_b32_e32 v107, 1
	s_mov_b32 s21, exec_lo
	v_cmpx_ne_u16_e64 0x80, v132
	s_cbranch_execz .LBB215_336
; %bb.331:                              ;   in Loop: Header=BB215_14 Depth=1
	v_and_b32_e32 v28, 0xffff, v132
	v_mov_b32_e32 v107, 0x7f800001
	s_mov_b32 s22, exec_lo
	s_delay_alu instid0(VALU_DEP_2) | instskip(NEXT) | instid1(VALU_DEP_1)
	v_and_b32_e32 v109, 0x7f, v28
	v_cmpx_ne_u32_e32 0x7f, v109
	s_cbranch_execz .LBB215_335
; %bb.332:                              ;   in Loop: Header=BB215_14 Depth=1
	v_and_b32_e32 v28, 7, v28
	v_lshrrev_b32_e32 v133, 3, v109
	s_mov_b32 s23, exec_lo
	v_cmpx_gt_u32_e32 8, v109
; %bb.333:                              ;   in Loop: Header=BB215_14 Depth=1
	s_delay_alu instid0(VALU_DEP_3) | instskip(NEXT) | instid1(VALU_DEP_1)
	v_clz_i32_u32_e32 v133, v28
	v_min_u32_e32 v133, 32, v133
	s_delay_alu instid0(VALU_DEP_1) | instskip(SKIP_1) | instid1(VALU_DEP_2)
	v_subrev_nc_u32_e32 v107, 28, v133
	v_sub_nc_u32_e32 v133, 29, v133
	v_lshlrev_b64 v[109:110], v107, v[28:29]
	s_delay_alu instid0(VALU_DEP_1)
	v_and_b32_e32 v28, 7, v109
; %bb.334:                              ;   in Loop: Header=BB215_14 Depth=1
	s_or_b32 exec_lo, exec_lo, s23
	v_lshlrev_b32_e32 v132, 24, v132
	s_delay_alu instid0(VALU_DEP_2) | instskip(SKIP_1) | instid1(VALU_DEP_3)
	v_lshlrev_b32_e32 v28, 20, v28
	v_lshl_add_u32 v133, v133, 23, 0x3c000000
	v_and_b32_e32 v132, 0x80000000, v132
	s_delay_alu instid0(VALU_DEP_1)
	v_or3_b32 v107, v28, v132, v133
.LBB215_335:                            ;   in Loop: Header=BB215_14 Depth=1
	s_or_b32 exec_lo, exec_lo, s22
.LBB215_336:                            ;   in Loop: Header=BB215_14 Depth=1
	s_delay_alu instid0(SALU_CYCLE_1)
	s_or_b32 exec_lo, exec_lo, s21
.LBB215_337:                            ;   in Loop: Header=BB215_14 Depth=1
	s_delay_alu instid0(SALU_CYCLE_1)
	s_or_b32 exec_lo, exec_lo, s20
	flat_load_u8 v132, v[130:131] offset:1280
	v_dual_mov_b32 v109, 0 :: v_dual_mov_b32 v110, 0
	s_mov_b32 s20, exec_lo
	s_waitcnt vmcnt(0) lgkmcnt(0)
	v_cmpx_ne_u16_e64 0, v132
	s_cbranch_execz .LBB215_345
; %bb.338:                              ;   in Loop: Header=BB215_14 Depth=1
	v_bfrev_b32_e32 v110, 1
	s_mov_b32 s21, exec_lo
	v_cmpx_ne_u16_e64 0x80, v132
	s_cbranch_execz .LBB215_344
; %bb.339:                              ;   in Loop: Header=BB215_14 Depth=1
	v_and_b32_e32 v28, 0xffff, v132
	v_mov_b32_e32 v110, 0x7f800001
	s_mov_b32 s22, exec_lo
	s_delay_alu instid0(VALU_DEP_2) | instskip(NEXT) | instid1(VALU_DEP_1)
	v_and_b32_e32 v111, 0x7f, v28
	v_cmpx_ne_u32_e32 0x7f, v111
	s_cbranch_execz .LBB215_343
; %bb.340:                              ;   in Loop: Header=BB215_14 Depth=1
	v_and_b32_e32 v28, 7, v28
	v_lshrrev_b32_e32 v133, 3, v111
	s_mov_b32 s23, exec_lo
	v_cmpx_gt_u32_e32 8, v111
; %bb.341:                              ;   in Loop: Header=BB215_14 Depth=1
	s_delay_alu instid0(VALU_DEP_3) | instskip(NEXT) | instid1(VALU_DEP_1)
	v_clz_i32_u32_e32 v133, v28
	v_min_u32_e32 v133, 32, v133
	s_delay_alu instid0(VALU_DEP_1) | instskip(SKIP_1) | instid1(VALU_DEP_2)
	v_subrev_nc_u32_e32 v110, 28, v133
	v_sub_nc_u32_e32 v133, 29, v133
	v_lshlrev_b64 v[110:111], v110, v[28:29]
	s_delay_alu instid0(VALU_DEP_1)
	v_and_b32_e32 v28, 7, v110
; %bb.342:                              ;   in Loop: Header=BB215_14 Depth=1
	s_or_b32 exec_lo, exec_lo, s23
	v_lshlrev_b32_e32 v132, 24, v132
	s_delay_alu instid0(VALU_DEP_2) | instskip(SKIP_1) | instid1(VALU_DEP_3)
	v_lshlrev_b32_e32 v28, 20, v28
	v_lshl_add_u32 v133, v133, 23, 0x3c000000
	v_and_b32_e32 v132, 0x80000000, v132
	s_delay_alu instid0(VALU_DEP_1)
	v_or3_b32 v110, v28, v132, v133
.LBB215_343:                            ;   in Loop: Header=BB215_14 Depth=1
	s_or_b32 exec_lo, exec_lo, s22
.LBB215_344:                            ;   in Loop: Header=BB215_14 Depth=1
	s_delay_alu instid0(SALU_CYCLE_1)
	s_or_b32 exec_lo, exec_lo, s21
.LBB215_345:                            ;   in Loop: Header=BB215_14 Depth=1
	s_delay_alu instid0(SALU_CYCLE_1)
	s_or_b32 exec_lo, exec_lo, s20
	flat_load_u8 v132, v[130:131] offset:1284
	s_mov_b32 s20, exec_lo
	s_waitcnt vmcnt(0) lgkmcnt(0)
	v_cmpx_ne_u16_e64 0, v132
	s_cbranch_execz .LBB215_353
; %bb.346:                              ;   in Loop: Header=BB215_14 Depth=1
	v_bfrev_b32_e32 v109, 1
	s_mov_b32 s21, exec_lo
	v_cmpx_ne_u16_e64 0x80, v132
	s_cbranch_execz .LBB215_352
; %bb.347:                              ;   in Loop: Header=BB215_14 Depth=1
	v_and_b32_e32 v28, 0xffff, v132
	v_mov_b32_e32 v109, 0x7f800001
	s_mov_b32 s22, exec_lo
	s_delay_alu instid0(VALU_DEP_2) | instskip(NEXT) | instid1(VALU_DEP_1)
	v_and_b32_e32 v111, 0x7f, v28
	v_cmpx_ne_u32_e32 0x7f, v111
	s_cbranch_execz .LBB215_351
; %bb.348:                              ;   in Loop: Header=BB215_14 Depth=1
	v_and_b32_e32 v28, 7, v28
	v_lshrrev_b32_e32 v133, 3, v111
	s_mov_b32 s23, exec_lo
	v_cmpx_gt_u32_e32 8, v111
; %bb.349:                              ;   in Loop: Header=BB215_14 Depth=1
	s_delay_alu instid0(VALU_DEP_3) | instskip(NEXT) | instid1(VALU_DEP_1)
	v_clz_i32_u32_e32 v133, v28
	v_min_u32_e32 v133, 32, v133
	s_delay_alu instid0(VALU_DEP_1) | instskip(SKIP_1) | instid1(VALU_DEP_2)
	v_subrev_nc_u32_e32 v109, 28, v133
	v_sub_nc_u32_e32 v133, 29, v133
	v_lshlrev_b64 v[120:121], v109, v[28:29]
	s_delay_alu instid0(VALU_DEP_1)
	v_and_b32_e32 v28, 7, v120
; %bb.350:                              ;   in Loop: Header=BB215_14 Depth=1
	s_or_b32 exec_lo, exec_lo, s23
	v_lshlrev_b32_e32 v132, 24, v132
	s_delay_alu instid0(VALU_DEP_2) | instskip(SKIP_1) | instid1(VALU_DEP_3)
	v_lshlrev_b32_e32 v28, 20, v28
	v_lshl_add_u32 v133, v133, 23, 0x3c000000
	v_and_b32_e32 v132, 0x80000000, v132
	s_delay_alu instid0(VALU_DEP_1)
	v_or3_b32 v109, v28, v132, v133
.LBB215_351:                            ;   in Loop: Header=BB215_14 Depth=1
	s_or_b32 exec_lo, exec_lo, s22
.LBB215_352:                            ;   in Loop: Header=BB215_14 Depth=1
	s_delay_alu instid0(SALU_CYCLE_1)
	s_or_b32 exec_lo, exec_lo, s21
.LBB215_353:                            ;   in Loop: Header=BB215_14 Depth=1
	s_delay_alu instid0(SALU_CYCLE_1) | instskip(SKIP_1) | instid1(VALU_DEP_1)
	s_or_b32 exec_lo, exec_lo, s20
	v_add_co_u32 v132, s2, 0x500, v130
	v_add_co_ci_u32_e64 v133, s2, 0, v131, s2
	v_dual_mov_b32 v111, 0 :: v_dual_mov_b32 v120, 0
	s_mov_b32 s20, exec_lo
	flat_load_u8 v121, v[132:133] offset:8
	s_waitcnt vmcnt(0) lgkmcnt(0)
	v_cmpx_ne_u16_e32 0, v121
	s_cbranch_execz .LBB215_361
; %bb.354:                              ;   in Loop: Header=BB215_14 Depth=1
	v_bfrev_b32_e32 v120, 1
	s_mov_b32 s21, exec_lo
	v_cmpx_ne_u16_e32 0x80, v121
	s_cbranch_execz .LBB215_360
; %bb.355:                              ;   in Loop: Header=BB215_14 Depth=1
	v_and_b32_e32 v28, 0xffff, v121
	v_mov_b32_e32 v120, 0x7f800001
	s_mov_b32 s22, exec_lo
	s_delay_alu instid0(VALU_DEP_2) | instskip(NEXT) | instid1(VALU_DEP_1)
	v_and_b32_e32 v122, 0x7f, v28
	v_cmpx_ne_u32_e32 0x7f, v122
	s_cbranch_execz .LBB215_359
; %bb.356:                              ;   in Loop: Header=BB215_14 Depth=1
	v_and_b32_e32 v28, 7, v28
	v_lshrrev_b32_e32 v120, 3, v122
	s_mov_b32 s23, exec_lo
	v_cmpx_gt_u32_e32 8, v122
; %bb.357:                              ;   in Loop: Header=BB215_14 Depth=1
	s_delay_alu instid0(VALU_DEP_3) | instskip(NEXT) | instid1(VALU_DEP_1)
	v_clz_i32_u32_e32 v120, v28
	v_min_u32_e32 v120, 32, v120
	s_delay_alu instid0(VALU_DEP_1) | instskip(SKIP_1) | instid1(VALU_DEP_2)
	v_subrev_nc_u32_e32 v122, 28, v120
	v_sub_nc_u32_e32 v120, 29, v120
	v_lshlrev_b64 v[122:123], v122, v[28:29]
	s_delay_alu instid0(VALU_DEP_1)
	v_and_b32_e32 v28, 7, v122
; %bb.358:                              ;   in Loop: Header=BB215_14 Depth=1
	s_or_b32 exec_lo, exec_lo, s23
	v_lshlrev_b32_e32 v121, 24, v121
	s_delay_alu instid0(VALU_DEP_2) | instskip(SKIP_1) | instid1(VALU_DEP_3)
	v_lshlrev_b32_e32 v28, 20, v28
	v_lshl_add_u32 v120, v120, 23, 0x3c000000
	v_and_b32_e32 v121, 0x80000000, v121
	s_delay_alu instid0(VALU_DEP_1)
	v_or3_b32 v120, v28, v121, v120
.LBB215_359:                            ;   in Loop: Header=BB215_14 Depth=1
	s_or_b32 exec_lo, exec_lo, s22
.LBB215_360:                            ;   in Loop: Header=BB215_14 Depth=1
	s_delay_alu instid0(SALU_CYCLE_1)
	s_or_b32 exec_lo, exec_lo, s21
.LBB215_361:                            ;   in Loop: Header=BB215_14 Depth=1
	s_delay_alu instid0(SALU_CYCLE_1)
	s_or_b32 exec_lo, exec_lo, s20
	flat_load_u8 v132, v[132:133] offset:12
	s_mov_b32 s20, exec_lo
	s_waitcnt vmcnt(0) lgkmcnt(0)
	v_cmpx_ne_u16_e64 0, v132
	s_cbranch_execz .LBB215_369
; %bb.362:                              ;   in Loop: Header=BB215_14 Depth=1
	v_bfrev_b32_e32 v111, 1
	s_mov_b32 s21, exec_lo
	v_cmpx_ne_u16_e64 0x80, v132
	s_cbranch_execz .LBB215_368
; %bb.363:                              ;   in Loop: Header=BB215_14 Depth=1
	v_and_b32_e32 v28, 0xffff, v132
	v_mov_b32_e32 v111, 0x7f800001
	s_mov_b32 s22, exec_lo
	s_delay_alu instid0(VALU_DEP_2) | instskip(NEXT) | instid1(VALU_DEP_1)
	v_and_b32_e32 v121, 0x7f, v28
	v_cmpx_ne_u32_e32 0x7f, v121
	s_cbranch_execz .LBB215_367
; %bb.364:                              ;   in Loop: Header=BB215_14 Depth=1
	v_and_b32_e32 v28, 7, v28
	v_lshrrev_b32_e32 v133, 3, v121
	s_mov_b32 s23, exec_lo
	v_cmpx_gt_u32_e32 8, v121
; %bb.365:                              ;   in Loop: Header=BB215_14 Depth=1
	s_delay_alu instid0(VALU_DEP_3) | instskip(NEXT) | instid1(VALU_DEP_1)
	v_clz_i32_u32_e32 v133, v28
	v_min_u32_e32 v133, 32, v133
	s_delay_alu instid0(VALU_DEP_1) | instskip(SKIP_1) | instid1(VALU_DEP_2)
	v_subrev_nc_u32_e32 v111, 28, v133
	v_sub_nc_u32_e32 v133, 29, v133
	v_lshlrev_b64 v[121:122], v111, v[28:29]
	s_delay_alu instid0(VALU_DEP_1)
	v_and_b32_e32 v28, 7, v121
; %bb.366:                              ;   in Loop: Header=BB215_14 Depth=1
	s_or_b32 exec_lo, exec_lo, s23
	v_lshlrev_b32_e32 v132, 24, v132
	s_delay_alu instid0(VALU_DEP_2) | instskip(SKIP_1) | instid1(VALU_DEP_3)
	v_lshlrev_b32_e32 v28, 20, v28
	v_lshl_add_u32 v133, v133, 23, 0x3c000000
	v_and_b32_e32 v132, 0x80000000, v132
	s_delay_alu instid0(VALU_DEP_1)
	v_or3_b32 v111, v28, v132, v133
.LBB215_367:                            ;   in Loop: Header=BB215_14 Depth=1
	s_or_b32 exec_lo, exec_lo, s22
.LBB215_368:                            ;   in Loop: Header=BB215_14 Depth=1
	s_delay_alu instid0(SALU_CYCLE_1)
	s_or_b32 exec_lo, exec_lo, s21
.LBB215_369:                            ;   in Loop: Header=BB215_14 Depth=1
	s_delay_alu instid0(SALU_CYCLE_1)
	s_or_b32 exec_lo, exec_lo, s20
	flat_load_u8 v132, v[130:131] offset:1408
	v_dual_mov_b32 v121, 0 :: v_dual_mov_b32 v122, 0
	s_mov_b32 s20, exec_lo
	s_waitcnt vmcnt(0) lgkmcnt(0)
	v_cmpx_ne_u16_e64 0, v132
	s_cbranch_execz .LBB215_377
; %bb.370:                              ;   in Loop: Header=BB215_14 Depth=1
	v_bfrev_b32_e32 v122, 1
	s_mov_b32 s21, exec_lo
	v_cmpx_ne_u16_e64 0x80, v132
	s_cbranch_execz .LBB215_376
; %bb.371:                              ;   in Loop: Header=BB215_14 Depth=1
	v_and_b32_e32 v28, 0xffff, v132
	v_mov_b32_e32 v122, 0x7f800001
	s_mov_b32 s22, exec_lo
	s_delay_alu instid0(VALU_DEP_2) | instskip(NEXT) | instid1(VALU_DEP_1)
	v_and_b32_e32 v123, 0x7f, v28
	v_cmpx_ne_u32_e32 0x7f, v123
	s_cbranch_execz .LBB215_375
; %bb.372:                              ;   in Loop: Header=BB215_14 Depth=1
	v_and_b32_e32 v28, 7, v28
	v_lshrrev_b32_e32 v133, 3, v123
	s_mov_b32 s23, exec_lo
	v_cmpx_gt_u32_e32 8, v123
; %bb.373:                              ;   in Loop: Header=BB215_14 Depth=1
	s_delay_alu instid0(VALU_DEP_3) | instskip(NEXT) | instid1(VALU_DEP_1)
	v_clz_i32_u32_e32 v133, v28
	v_min_u32_e32 v133, 32, v133
	s_delay_alu instid0(VALU_DEP_1) | instskip(SKIP_1) | instid1(VALU_DEP_2)
	v_subrev_nc_u32_e32 v122, 28, v133
	v_sub_nc_u32_e32 v133, 29, v133
	v_lshlrev_b64 v[122:123], v122, v[28:29]
	s_delay_alu instid0(VALU_DEP_1)
	v_and_b32_e32 v28, 7, v122
; %bb.374:                              ;   in Loop: Header=BB215_14 Depth=1
	s_or_b32 exec_lo, exec_lo, s23
	v_lshlrev_b32_e32 v132, 24, v132
	s_delay_alu instid0(VALU_DEP_2) | instskip(SKIP_1) | instid1(VALU_DEP_3)
	v_lshlrev_b32_e32 v28, 20, v28
	v_lshl_add_u32 v133, v133, 23, 0x3c000000
	v_and_b32_e32 v132, 0x80000000, v132
	s_delay_alu instid0(VALU_DEP_1)
	v_or3_b32 v122, v28, v132, v133
.LBB215_375:                            ;   in Loop: Header=BB215_14 Depth=1
	s_or_b32 exec_lo, exec_lo, s22
.LBB215_376:                            ;   in Loop: Header=BB215_14 Depth=1
	s_delay_alu instid0(SALU_CYCLE_1)
	s_or_b32 exec_lo, exec_lo, s21
.LBB215_377:                            ;   in Loop: Header=BB215_14 Depth=1
	s_delay_alu instid0(SALU_CYCLE_1)
	s_or_b32 exec_lo, exec_lo, s20
	flat_load_u8 v132, v[130:131] offset:1412
	s_mov_b32 s20, exec_lo
	s_waitcnt vmcnt(0) lgkmcnt(0)
	v_cmpx_ne_u16_e64 0, v132
	s_cbranch_execz .LBB215_385
; %bb.378:                              ;   in Loop: Header=BB215_14 Depth=1
	v_bfrev_b32_e32 v121, 1
	s_mov_b32 s21, exec_lo
	v_cmpx_ne_u16_e64 0x80, v132
	s_cbranch_execz .LBB215_384
; %bb.379:                              ;   in Loop: Header=BB215_14 Depth=1
	v_and_b32_e32 v28, 0xffff, v132
	v_mov_b32_e32 v121, 0x7f800001
	s_mov_b32 s22, exec_lo
	s_delay_alu instid0(VALU_DEP_2) | instskip(NEXT) | instid1(VALU_DEP_1)
	v_and_b32_e32 v123, 0x7f, v28
	v_cmpx_ne_u32_e32 0x7f, v123
	s_cbranch_execz .LBB215_383
; %bb.380:                              ;   in Loop: Header=BB215_14 Depth=1
	v_and_b32_e32 v28, 7, v28
	v_lshrrev_b32_e32 v133, 3, v123
	s_mov_b32 s23, exec_lo
	v_cmpx_gt_u32_e32 8, v123
; %bb.381:                              ;   in Loop: Header=BB215_14 Depth=1
	s_delay_alu instid0(VALU_DEP_3) | instskip(NEXT) | instid1(VALU_DEP_1)
	v_clz_i32_u32_e32 v133, v28
	v_min_u32_e32 v133, 32, v133
	s_delay_alu instid0(VALU_DEP_1) | instskip(SKIP_1) | instid1(VALU_DEP_2)
	v_subrev_nc_u32_e32 v121, 28, v133
	v_sub_nc_u32_e32 v133, 29, v133
	v_lshlrev_b64 v[123:124], v121, v[28:29]
	s_delay_alu instid0(VALU_DEP_1)
	v_and_b32_e32 v28, 7, v123
; %bb.382:                              ;   in Loop: Header=BB215_14 Depth=1
	s_or_b32 exec_lo, exec_lo, s23
	v_lshlrev_b32_e32 v132, 24, v132
	s_delay_alu instid0(VALU_DEP_2) | instskip(SKIP_1) | instid1(VALU_DEP_3)
	v_lshlrev_b32_e32 v28, 20, v28
	v_lshl_add_u32 v133, v133, 23, 0x3c000000
	v_and_b32_e32 v132, 0x80000000, v132
	s_delay_alu instid0(VALU_DEP_1)
	v_or3_b32 v121, v28, v132, v133
.LBB215_383:                            ;   in Loop: Header=BB215_14 Depth=1
	s_or_b32 exec_lo, exec_lo, s22
.LBB215_384:                            ;   in Loop: Header=BB215_14 Depth=1
	s_delay_alu instid0(SALU_CYCLE_1)
	s_or_b32 exec_lo, exec_lo, s21
.LBB215_385:                            ;   in Loop: Header=BB215_14 Depth=1
	s_delay_alu instid0(SALU_CYCLE_1) | instskip(SKIP_1) | instid1(VALU_DEP_1)
	s_or_b32 exec_lo, exec_lo, s20
	v_add_co_u32 v132, s2, 0x580, v130
	v_add_co_ci_u32_e64 v133, s2, 0, v131, s2
	v_dual_mov_b32 v123, 0 :: v_dual_mov_b32 v124, 0
	s_mov_b32 s20, exec_lo
	flat_load_u8 v125, v[132:133] offset:8
	s_waitcnt vmcnt(0) lgkmcnt(0)
	v_cmpx_ne_u16_e32 0, v125
	s_cbranch_execz .LBB215_393
; %bb.386:                              ;   in Loop: Header=BB215_14 Depth=1
	v_bfrev_b32_e32 v124, 1
	s_mov_b32 s21, exec_lo
	v_cmpx_ne_u16_e32 0x80, v125
	s_cbranch_execz .LBB215_392
; %bb.387:                              ;   in Loop: Header=BB215_14 Depth=1
	v_and_b32_e32 v28, 0xffff, v125
	v_mov_b32_e32 v124, 0x7f800001
	s_mov_b32 s22, exec_lo
	s_delay_alu instid0(VALU_DEP_2) | instskip(NEXT) | instid1(VALU_DEP_1)
	v_and_b32_e32 v126, 0x7f, v28
	v_cmpx_ne_u32_e32 0x7f, v126
	s_cbranch_execz .LBB215_391
; %bb.388:                              ;   in Loop: Header=BB215_14 Depth=1
	v_and_b32_e32 v28, 7, v28
	v_lshrrev_b32_e32 v124, 3, v126
	s_mov_b32 s23, exec_lo
	v_cmpx_gt_u32_e32 8, v126
; %bb.389:                              ;   in Loop: Header=BB215_14 Depth=1
	s_delay_alu instid0(VALU_DEP_3) | instskip(NEXT) | instid1(VALU_DEP_1)
	v_clz_i32_u32_e32 v124, v28
	v_min_u32_e32 v124, 32, v124
	s_delay_alu instid0(VALU_DEP_1) | instskip(SKIP_1) | instid1(VALU_DEP_2)
	v_subrev_nc_u32_e32 v126, 28, v124
	v_sub_nc_u32_e32 v124, 29, v124
	v_lshlrev_b64 v[126:127], v126, v[28:29]
	s_delay_alu instid0(VALU_DEP_1)
	v_and_b32_e32 v28, 7, v126
; %bb.390:                              ;   in Loop: Header=BB215_14 Depth=1
	s_or_b32 exec_lo, exec_lo, s23
	v_lshlrev_b32_e32 v125, 24, v125
	s_delay_alu instid0(VALU_DEP_2) | instskip(SKIP_1) | instid1(VALU_DEP_3)
	v_lshlrev_b32_e32 v28, 20, v28
	v_lshl_add_u32 v124, v124, 23, 0x3c000000
	v_and_b32_e32 v125, 0x80000000, v125
	s_delay_alu instid0(VALU_DEP_1)
	v_or3_b32 v124, v28, v125, v124
.LBB215_391:                            ;   in Loop: Header=BB215_14 Depth=1
	s_or_b32 exec_lo, exec_lo, s22
.LBB215_392:                            ;   in Loop: Header=BB215_14 Depth=1
	s_delay_alu instid0(SALU_CYCLE_1)
	s_or_b32 exec_lo, exec_lo, s21
.LBB215_393:                            ;   in Loop: Header=BB215_14 Depth=1
	s_delay_alu instid0(SALU_CYCLE_1)
	s_or_b32 exec_lo, exec_lo, s20
	flat_load_u8 v132, v[132:133] offset:12
	s_mov_b32 s20, exec_lo
	s_waitcnt vmcnt(0) lgkmcnt(0)
	v_cmpx_ne_u16_e64 0, v132
	s_cbranch_execz .LBB215_401
; %bb.394:                              ;   in Loop: Header=BB215_14 Depth=1
	v_bfrev_b32_e32 v123, 1
	s_mov_b32 s21, exec_lo
	v_cmpx_ne_u16_e64 0x80, v132
	s_cbranch_execz .LBB215_400
; %bb.395:                              ;   in Loop: Header=BB215_14 Depth=1
	v_and_b32_e32 v28, 0xffff, v132
	v_mov_b32_e32 v123, 0x7f800001
	s_mov_b32 s22, exec_lo
	s_delay_alu instid0(VALU_DEP_2) | instskip(NEXT) | instid1(VALU_DEP_1)
	v_and_b32_e32 v125, 0x7f, v28
	v_cmpx_ne_u32_e32 0x7f, v125
	s_cbranch_execz .LBB215_399
; %bb.396:                              ;   in Loop: Header=BB215_14 Depth=1
	v_and_b32_e32 v28, 7, v28
	v_lshrrev_b32_e32 v133, 3, v125
	s_mov_b32 s23, exec_lo
	v_cmpx_gt_u32_e32 8, v125
; %bb.397:                              ;   in Loop: Header=BB215_14 Depth=1
	s_delay_alu instid0(VALU_DEP_3) | instskip(NEXT) | instid1(VALU_DEP_1)
	v_clz_i32_u32_e32 v133, v28
	v_min_u32_e32 v133, 32, v133
	s_delay_alu instid0(VALU_DEP_1) | instskip(SKIP_1) | instid1(VALU_DEP_2)
	v_subrev_nc_u32_e32 v123, 28, v133
	v_sub_nc_u32_e32 v133, 29, v133
	v_lshlrev_b64 v[125:126], v123, v[28:29]
	s_delay_alu instid0(VALU_DEP_1)
	v_and_b32_e32 v28, 7, v125
; %bb.398:                              ;   in Loop: Header=BB215_14 Depth=1
	s_or_b32 exec_lo, exec_lo, s23
	v_lshlrev_b32_e32 v132, 24, v132
	s_delay_alu instid0(VALU_DEP_2) | instskip(SKIP_1) | instid1(VALU_DEP_3)
	v_lshlrev_b32_e32 v28, 20, v28
	v_lshl_add_u32 v133, v133, 23, 0x3c000000
	v_and_b32_e32 v132, 0x80000000, v132
	s_delay_alu instid0(VALU_DEP_1)
	v_or3_b32 v123, v28, v132, v133
.LBB215_399:                            ;   in Loop: Header=BB215_14 Depth=1
	s_or_b32 exec_lo, exec_lo, s22
.LBB215_400:                            ;   in Loop: Header=BB215_14 Depth=1
	s_delay_alu instid0(SALU_CYCLE_1)
	s_or_b32 exec_lo, exec_lo, s21
.LBB215_401:                            ;   in Loop: Header=BB215_14 Depth=1
	s_delay_alu instid0(SALU_CYCLE_1)
	s_or_b32 exec_lo, exec_lo, s20
	flat_load_u8 v132, v[130:131] offset:1536
	v_dual_mov_b32 v125, 0 :: v_dual_mov_b32 v126, 0
	s_mov_b32 s20, exec_lo
	s_waitcnt vmcnt(0) lgkmcnt(0)
	v_cmpx_ne_u16_e64 0, v132
	s_cbranch_execz .LBB215_409
; %bb.402:                              ;   in Loop: Header=BB215_14 Depth=1
	v_bfrev_b32_e32 v126, 1
	s_mov_b32 s21, exec_lo
	v_cmpx_ne_u16_e64 0x80, v132
	s_cbranch_execz .LBB215_408
; %bb.403:                              ;   in Loop: Header=BB215_14 Depth=1
	v_and_b32_e32 v28, 0xffff, v132
	v_mov_b32_e32 v126, 0x7f800001
	s_mov_b32 s22, exec_lo
	s_delay_alu instid0(VALU_DEP_2) | instskip(NEXT) | instid1(VALU_DEP_1)
	v_and_b32_e32 v127, 0x7f, v28
	v_cmpx_ne_u32_e32 0x7f, v127
	s_cbranch_execz .LBB215_407
; %bb.404:                              ;   in Loop: Header=BB215_14 Depth=1
	v_and_b32_e32 v28, 7, v28
	v_lshrrev_b32_e32 v133, 3, v127
	s_mov_b32 s23, exec_lo
	v_cmpx_gt_u32_e32 8, v127
; %bb.405:                              ;   in Loop: Header=BB215_14 Depth=1
	s_delay_alu instid0(VALU_DEP_3) | instskip(NEXT) | instid1(VALU_DEP_1)
	v_clz_i32_u32_e32 v133, v28
	v_min_u32_e32 v133, 32, v133
	s_delay_alu instid0(VALU_DEP_1) | instskip(SKIP_1) | instid1(VALU_DEP_2)
	v_subrev_nc_u32_e32 v126, 28, v133
	v_sub_nc_u32_e32 v133, 29, v133
	v_lshlrev_b64 v[126:127], v126, v[28:29]
	s_delay_alu instid0(VALU_DEP_1)
	v_and_b32_e32 v28, 7, v126
; %bb.406:                              ;   in Loop: Header=BB215_14 Depth=1
	s_or_b32 exec_lo, exec_lo, s23
	v_lshlrev_b32_e32 v132, 24, v132
	s_delay_alu instid0(VALU_DEP_2) | instskip(SKIP_1) | instid1(VALU_DEP_3)
	v_lshlrev_b32_e32 v28, 20, v28
	v_lshl_add_u32 v133, v133, 23, 0x3c000000
	v_and_b32_e32 v132, 0x80000000, v132
	s_delay_alu instid0(VALU_DEP_1)
	v_or3_b32 v126, v28, v132, v133
.LBB215_407:                            ;   in Loop: Header=BB215_14 Depth=1
	s_or_b32 exec_lo, exec_lo, s22
.LBB215_408:                            ;   in Loop: Header=BB215_14 Depth=1
	s_delay_alu instid0(SALU_CYCLE_1)
	s_or_b32 exec_lo, exec_lo, s21
.LBB215_409:                            ;   in Loop: Header=BB215_14 Depth=1
	s_delay_alu instid0(SALU_CYCLE_1)
	s_or_b32 exec_lo, exec_lo, s20
	flat_load_u8 v132, v[130:131] offset:1540
	s_mov_b32 s20, exec_lo
	s_waitcnt vmcnt(0) lgkmcnt(0)
	v_cmpx_ne_u16_e64 0, v132
	s_cbranch_execz .LBB215_417
; %bb.410:                              ;   in Loop: Header=BB215_14 Depth=1
	v_bfrev_b32_e32 v125, 1
	s_mov_b32 s21, exec_lo
	v_cmpx_ne_u16_e64 0x80, v132
	s_cbranch_execz .LBB215_416
; %bb.411:                              ;   in Loop: Header=BB215_14 Depth=1
	v_and_b32_e32 v28, 0xffff, v132
	v_mov_b32_e32 v125, 0x7f800001
	s_mov_b32 s22, exec_lo
	s_delay_alu instid0(VALU_DEP_2) | instskip(NEXT) | instid1(VALU_DEP_1)
	v_and_b32_e32 v127, 0x7f, v28
	v_cmpx_ne_u32_e32 0x7f, v127
	s_cbranch_execz .LBB215_415
; %bb.412:                              ;   in Loop: Header=BB215_14 Depth=1
	v_and_b32_e32 v28, 7, v28
	v_lshrrev_b32_e32 v133, 3, v127
	s_mov_b32 s23, exec_lo
	v_cmpx_gt_u32_e32 8, v127
; %bb.413:                              ;   in Loop: Header=BB215_14 Depth=1
	s_delay_alu instid0(VALU_DEP_3) | instskip(NEXT) | instid1(VALU_DEP_1)
	v_clz_i32_u32_e32 v133, v28
	v_min_u32_e32 v133, 32, v133
	s_delay_alu instid0(VALU_DEP_1) | instskip(SKIP_1) | instid1(VALU_DEP_2)
	v_subrev_nc_u32_e32 v125, 28, v133
	v_sub_nc_u32_e32 v133, 29, v133
	v_lshlrev_b64 v[136:137], v125, v[28:29]
	s_delay_alu instid0(VALU_DEP_1)
	v_and_b32_e32 v28, 7, v136
; %bb.414:                              ;   in Loop: Header=BB215_14 Depth=1
	s_or_b32 exec_lo, exec_lo, s23
	v_lshlrev_b32_e32 v132, 24, v132
	s_delay_alu instid0(VALU_DEP_2) | instskip(SKIP_1) | instid1(VALU_DEP_3)
	v_lshlrev_b32_e32 v28, 20, v28
	v_lshl_add_u32 v133, v133, 23, 0x3c000000
	v_and_b32_e32 v132, 0x80000000, v132
	s_delay_alu instid0(VALU_DEP_1)
	v_or3_b32 v125, v28, v132, v133
.LBB215_415:                            ;   in Loop: Header=BB215_14 Depth=1
	s_or_b32 exec_lo, exec_lo, s22
.LBB215_416:                            ;   in Loop: Header=BB215_14 Depth=1
	s_delay_alu instid0(SALU_CYCLE_1)
	s_or_b32 exec_lo, exec_lo, s21
.LBB215_417:                            ;   in Loop: Header=BB215_14 Depth=1
	s_delay_alu instid0(SALU_CYCLE_1) | instskip(SKIP_1) | instid1(VALU_DEP_1)
	s_or_b32 exec_lo, exec_lo, s20
	v_add_co_u32 v132, s2, 0x600, v130
	v_add_co_ci_u32_e64 v133, s2, 0, v131, s2
	v_dual_mov_b32 v127, 0 :: v_dual_mov_b32 v136, 0
	s_mov_b32 s20, exec_lo
	flat_load_u8 v137, v[132:133] offset:8
	s_waitcnt vmcnt(0) lgkmcnt(0)
	v_cmpx_ne_u16_e64 0, v137
	s_cbranch_execz .LBB215_425
; %bb.418:                              ;   in Loop: Header=BB215_14 Depth=1
	v_bfrev_b32_e32 v136, 1
	s_mov_b32 s21, exec_lo
	v_cmpx_ne_u16_e64 0x80, v137
	s_cbranch_execz .LBB215_424
; %bb.419:                              ;   in Loop: Header=BB215_14 Depth=1
	v_and_b32_e32 v28, 0xffff, v137
	v_mov_b32_e32 v136, 0x7f800001
	s_mov_b32 s22, exec_lo
	s_delay_alu instid0(VALU_DEP_2) | instskip(NEXT) | instid1(VALU_DEP_1)
	v_and_b32_e32 v138, 0x7f, v28
	v_cmpx_ne_u32_e32 0x7f, v138
	s_cbranch_execz .LBB215_423
; %bb.420:                              ;   in Loop: Header=BB215_14 Depth=1
	v_and_b32_e32 v28, 7, v28
	v_lshrrev_b32_e32 v136, 3, v138
	s_mov_b32 s23, exec_lo
	v_cmpx_gt_u32_e32 8, v138
; %bb.421:                              ;   in Loop: Header=BB215_14 Depth=1
	s_delay_alu instid0(VALU_DEP_3) | instskip(NEXT) | instid1(VALU_DEP_1)
	v_clz_i32_u32_e32 v136, v28
	v_min_u32_e32 v136, 32, v136
	s_delay_alu instid0(VALU_DEP_1) | instskip(SKIP_1) | instid1(VALU_DEP_2)
	v_subrev_nc_u32_e32 v138, 28, v136
	v_sub_nc_u32_e32 v136, 29, v136
	v_lshlrev_b64 v[138:139], v138, v[28:29]
	s_delay_alu instid0(VALU_DEP_1)
	v_and_b32_e32 v28, 7, v138
; %bb.422:                              ;   in Loop: Header=BB215_14 Depth=1
	s_or_b32 exec_lo, exec_lo, s23
	v_lshlrev_b32_e32 v137, 24, v137
	s_delay_alu instid0(VALU_DEP_2) | instskip(SKIP_1) | instid1(VALU_DEP_3)
	v_lshlrev_b32_e32 v28, 20, v28
	v_lshl_add_u32 v136, v136, 23, 0x3c000000
	v_and_b32_e32 v137, 0x80000000, v137
	s_delay_alu instid0(VALU_DEP_1)
	v_or3_b32 v136, v28, v137, v136
.LBB215_423:                            ;   in Loop: Header=BB215_14 Depth=1
	s_or_b32 exec_lo, exec_lo, s22
.LBB215_424:                            ;   in Loop: Header=BB215_14 Depth=1
	s_delay_alu instid0(SALU_CYCLE_1)
	s_or_b32 exec_lo, exec_lo, s21
.LBB215_425:                            ;   in Loop: Header=BB215_14 Depth=1
	s_delay_alu instid0(SALU_CYCLE_1)
	s_or_b32 exec_lo, exec_lo, s20
	flat_load_u8 v132, v[132:133] offset:12
	s_mov_b32 s20, exec_lo
	s_waitcnt vmcnt(0) lgkmcnt(0)
	v_cmpx_ne_u16_e64 0, v132
	s_cbranch_execz .LBB215_433
; %bb.426:                              ;   in Loop: Header=BB215_14 Depth=1
	v_bfrev_b32_e32 v127, 1
	s_mov_b32 s21, exec_lo
	v_cmpx_ne_u16_e64 0x80, v132
	s_cbranch_execz .LBB215_432
; %bb.427:                              ;   in Loop: Header=BB215_14 Depth=1
	v_and_b32_e32 v28, 0xffff, v132
	v_mov_b32_e32 v127, 0x7f800001
	s_mov_b32 s22, exec_lo
	s_delay_alu instid0(VALU_DEP_2) | instskip(NEXT) | instid1(VALU_DEP_1)
	v_and_b32_e32 v137, 0x7f, v28
	v_cmpx_ne_u32_e32 0x7f, v137
	s_cbranch_execz .LBB215_431
; %bb.428:                              ;   in Loop: Header=BB215_14 Depth=1
	v_and_b32_e32 v28, 7, v28
	v_lshrrev_b32_e32 v133, 3, v137
	s_mov_b32 s23, exec_lo
	v_cmpx_gt_u32_e32 8, v137
; %bb.429:                              ;   in Loop: Header=BB215_14 Depth=1
	s_delay_alu instid0(VALU_DEP_3) | instskip(NEXT) | instid1(VALU_DEP_1)
	v_clz_i32_u32_e32 v133, v28
	v_min_u32_e32 v133, 32, v133
	s_delay_alu instid0(VALU_DEP_1) | instskip(SKIP_1) | instid1(VALU_DEP_2)
	v_subrev_nc_u32_e32 v127, 28, v133
	v_sub_nc_u32_e32 v133, 29, v133
	v_lshlrev_b64 v[137:138], v127, v[28:29]
	s_delay_alu instid0(VALU_DEP_1)
	v_and_b32_e32 v28, 7, v137
; %bb.430:                              ;   in Loop: Header=BB215_14 Depth=1
	s_or_b32 exec_lo, exec_lo, s23
	v_lshlrev_b32_e32 v132, 24, v132
	s_delay_alu instid0(VALU_DEP_2) | instskip(SKIP_1) | instid1(VALU_DEP_3)
	v_lshlrev_b32_e32 v28, 20, v28
	v_lshl_add_u32 v133, v133, 23, 0x3c000000
	v_and_b32_e32 v132, 0x80000000, v132
	s_delay_alu instid0(VALU_DEP_1)
	v_or3_b32 v127, v28, v132, v133
.LBB215_431:                            ;   in Loop: Header=BB215_14 Depth=1
	s_or_b32 exec_lo, exec_lo, s22
.LBB215_432:                            ;   in Loop: Header=BB215_14 Depth=1
	s_delay_alu instid0(SALU_CYCLE_1)
	s_or_b32 exec_lo, exec_lo, s21
.LBB215_433:                            ;   in Loop: Header=BB215_14 Depth=1
	s_delay_alu instid0(SALU_CYCLE_1)
	s_or_b32 exec_lo, exec_lo, s20
	flat_load_u8 v132, v[130:131] offset:1664
	v_dual_mov_b32 v137, 0 :: v_dual_mov_b32 v138, 0
	s_mov_b32 s20, exec_lo
	s_waitcnt vmcnt(0) lgkmcnt(0)
	v_cmpx_ne_u16_e64 0, v132
	s_cbranch_execz .LBB215_441
; %bb.434:                              ;   in Loop: Header=BB215_14 Depth=1
	v_bfrev_b32_e32 v138, 1
	s_mov_b32 s21, exec_lo
	v_cmpx_ne_u16_e64 0x80, v132
	s_cbranch_execz .LBB215_440
; %bb.435:                              ;   in Loop: Header=BB215_14 Depth=1
	v_and_b32_e32 v28, 0xffff, v132
	v_mov_b32_e32 v138, 0x7f800001
	s_mov_b32 s22, exec_lo
	s_delay_alu instid0(VALU_DEP_2) | instskip(NEXT) | instid1(VALU_DEP_1)
	v_and_b32_e32 v139, 0x7f, v28
	v_cmpx_ne_u32_e32 0x7f, v139
	s_cbranch_execz .LBB215_439
; %bb.436:                              ;   in Loop: Header=BB215_14 Depth=1
	v_and_b32_e32 v28, 7, v28
	v_lshrrev_b32_e32 v133, 3, v139
	s_mov_b32 s23, exec_lo
	v_cmpx_gt_u32_e32 8, v139
; %bb.437:                              ;   in Loop: Header=BB215_14 Depth=1
	s_delay_alu instid0(VALU_DEP_3) | instskip(NEXT) | instid1(VALU_DEP_1)
	v_clz_i32_u32_e32 v133, v28
	v_min_u32_e32 v133, 32, v133
	s_delay_alu instid0(VALU_DEP_1) | instskip(SKIP_1) | instid1(VALU_DEP_2)
	v_subrev_nc_u32_e32 v138, 28, v133
	v_sub_nc_u32_e32 v133, 29, v133
	v_lshlrev_b64 v[138:139], v138, v[28:29]
	s_delay_alu instid0(VALU_DEP_1)
	v_and_b32_e32 v28, 7, v138
; %bb.438:                              ;   in Loop: Header=BB215_14 Depth=1
	s_or_b32 exec_lo, exec_lo, s23
	v_lshlrev_b32_e32 v132, 24, v132
	s_delay_alu instid0(VALU_DEP_2) | instskip(SKIP_1) | instid1(VALU_DEP_3)
	v_lshlrev_b32_e32 v28, 20, v28
	v_lshl_add_u32 v133, v133, 23, 0x3c000000
	v_and_b32_e32 v132, 0x80000000, v132
	s_delay_alu instid0(VALU_DEP_1)
	v_or3_b32 v138, v28, v132, v133
.LBB215_439:                            ;   in Loop: Header=BB215_14 Depth=1
	s_or_b32 exec_lo, exec_lo, s22
.LBB215_440:                            ;   in Loop: Header=BB215_14 Depth=1
	s_delay_alu instid0(SALU_CYCLE_1)
	s_or_b32 exec_lo, exec_lo, s21
.LBB215_441:                            ;   in Loop: Header=BB215_14 Depth=1
	s_delay_alu instid0(SALU_CYCLE_1)
	s_or_b32 exec_lo, exec_lo, s20
	flat_load_u8 v132, v[130:131] offset:1668
	s_mov_b32 s20, exec_lo
	s_waitcnt vmcnt(0) lgkmcnt(0)
	v_cmpx_ne_u16_e64 0, v132
	s_cbranch_execz .LBB215_449
; %bb.442:                              ;   in Loop: Header=BB215_14 Depth=1
	v_bfrev_b32_e32 v137, 1
	s_mov_b32 s21, exec_lo
	v_cmpx_ne_u16_e64 0x80, v132
	s_cbranch_execz .LBB215_448
; %bb.443:                              ;   in Loop: Header=BB215_14 Depth=1
	v_and_b32_e32 v28, 0xffff, v132
	v_mov_b32_e32 v137, 0x7f800001
	s_mov_b32 s22, exec_lo
	s_delay_alu instid0(VALU_DEP_2) | instskip(NEXT) | instid1(VALU_DEP_1)
	v_and_b32_e32 v139, 0x7f, v28
	v_cmpx_ne_u32_e32 0x7f, v139
	s_cbranch_execz .LBB215_447
; %bb.444:                              ;   in Loop: Header=BB215_14 Depth=1
	v_and_b32_e32 v28, 7, v28
	v_lshrrev_b32_e32 v133, 3, v139
	s_mov_b32 s23, exec_lo
	v_cmpx_gt_u32_e32 8, v139
; %bb.445:                              ;   in Loop: Header=BB215_14 Depth=1
	s_delay_alu instid0(VALU_DEP_3) | instskip(NEXT) | instid1(VALU_DEP_1)
	v_clz_i32_u32_e32 v133, v28
	v_min_u32_e32 v133, 32, v133
	s_delay_alu instid0(VALU_DEP_1) | instskip(SKIP_1) | instid1(VALU_DEP_2)
	v_subrev_nc_u32_e32 v137, 28, v133
	v_sub_nc_u32_e32 v133, 29, v133
	v_lshlrev_b64 v[139:140], v137, v[28:29]
	s_delay_alu instid0(VALU_DEP_1)
	v_and_b32_e32 v28, 7, v139
; %bb.446:                              ;   in Loop: Header=BB215_14 Depth=1
	s_or_b32 exec_lo, exec_lo, s23
	v_lshlrev_b32_e32 v132, 24, v132
	s_delay_alu instid0(VALU_DEP_2) | instskip(SKIP_1) | instid1(VALU_DEP_3)
	v_lshlrev_b32_e32 v28, 20, v28
	v_lshl_add_u32 v133, v133, 23, 0x3c000000
	v_and_b32_e32 v132, 0x80000000, v132
	s_delay_alu instid0(VALU_DEP_1)
	v_or3_b32 v137, v28, v132, v133
.LBB215_447:                            ;   in Loop: Header=BB215_14 Depth=1
	s_or_b32 exec_lo, exec_lo, s22
.LBB215_448:                            ;   in Loop: Header=BB215_14 Depth=1
	s_delay_alu instid0(SALU_CYCLE_1)
	s_or_b32 exec_lo, exec_lo, s21
.LBB215_449:                            ;   in Loop: Header=BB215_14 Depth=1
	s_delay_alu instid0(SALU_CYCLE_1) | instskip(SKIP_1) | instid1(VALU_DEP_1)
	s_or_b32 exec_lo, exec_lo, s20
	v_add_co_u32 v132, s2, 0x680, v130
	v_add_co_ci_u32_e64 v133, s2, 0, v131, s2
	v_dual_mov_b32 v139, 0 :: v_dual_mov_b32 v140, 0
	s_mov_b32 s20, exec_lo
	flat_load_u8 v141, v[132:133] offset:8
	s_waitcnt vmcnt(0) lgkmcnt(0)
	v_cmpx_ne_u16_e64 0, v141
	s_cbranch_execz .LBB215_457
; %bb.450:                              ;   in Loop: Header=BB215_14 Depth=1
	v_bfrev_b32_e32 v140, 1
	s_mov_b32 s21, exec_lo
	v_cmpx_ne_u16_e64 0x80, v141
	s_cbranch_execz .LBB215_456
; %bb.451:                              ;   in Loop: Header=BB215_14 Depth=1
	v_and_b32_e32 v28, 0xffff, v141
	v_mov_b32_e32 v140, 0x7f800001
	s_mov_b32 s22, exec_lo
	s_delay_alu instid0(VALU_DEP_2) | instskip(NEXT) | instid1(VALU_DEP_1)
	v_and_b32_e32 v142, 0x7f, v28
	v_cmpx_ne_u32_e32 0x7f, v142
	s_cbranch_execz .LBB215_455
; %bb.452:                              ;   in Loop: Header=BB215_14 Depth=1
	v_and_b32_e32 v28, 7, v28
	v_lshrrev_b32_e32 v140, 3, v142
	s_mov_b32 s23, exec_lo
	v_cmpx_gt_u32_e32 8, v142
; %bb.453:                              ;   in Loop: Header=BB215_14 Depth=1
	s_delay_alu instid0(VALU_DEP_3) | instskip(NEXT) | instid1(VALU_DEP_1)
	v_clz_i32_u32_e32 v140, v28
	v_min_u32_e32 v140, 32, v140
	s_delay_alu instid0(VALU_DEP_1) | instskip(SKIP_1) | instid1(VALU_DEP_2)
	v_subrev_nc_u32_e32 v142, 28, v140
	v_sub_nc_u32_e32 v140, 29, v140
	v_lshlrev_b64 v[142:143], v142, v[28:29]
	s_delay_alu instid0(VALU_DEP_1)
	v_and_b32_e32 v28, 7, v142
; %bb.454:                              ;   in Loop: Header=BB215_14 Depth=1
	s_or_b32 exec_lo, exec_lo, s23
	v_lshlrev_b32_e32 v141, 24, v141
	s_delay_alu instid0(VALU_DEP_2) | instskip(SKIP_1) | instid1(VALU_DEP_3)
	v_lshlrev_b32_e32 v28, 20, v28
	v_lshl_add_u32 v140, v140, 23, 0x3c000000
	v_and_b32_e32 v141, 0x80000000, v141
	s_delay_alu instid0(VALU_DEP_1)
	v_or3_b32 v140, v28, v141, v140
.LBB215_455:                            ;   in Loop: Header=BB215_14 Depth=1
	s_or_b32 exec_lo, exec_lo, s22
.LBB215_456:                            ;   in Loop: Header=BB215_14 Depth=1
	s_delay_alu instid0(SALU_CYCLE_1)
	s_or_b32 exec_lo, exec_lo, s21
.LBB215_457:                            ;   in Loop: Header=BB215_14 Depth=1
	s_delay_alu instid0(SALU_CYCLE_1)
	s_or_b32 exec_lo, exec_lo, s20
	flat_load_u8 v132, v[132:133] offset:12
	s_mov_b32 s20, exec_lo
	s_waitcnt vmcnt(0) lgkmcnt(0)
	v_cmpx_ne_u16_e64 0, v132
	s_cbranch_execz .LBB215_465
; %bb.458:                              ;   in Loop: Header=BB215_14 Depth=1
	v_bfrev_b32_e32 v139, 1
	s_mov_b32 s21, exec_lo
	v_cmpx_ne_u16_e64 0x80, v132
	s_cbranch_execz .LBB215_464
; %bb.459:                              ;   in Loop: Header=BB215_14 Depth=1
	v_and_b32_e32 v28, 0xffff, v132
	v_mov_b32_e32 v139, 0x7f800001
	s_mov_b32 s22, exec_lo
	s_delay_alu instid0(VALU_DEP_2) | instskip(NEXT) | instid1(VALU_DEP_1)
	v_and_b32_e32 v141, 0x7f, v28
	v_cmpx_ne_u32_e32 0x7f, v141
	s_cbranch_execz .LBB215_463
; %bb.460:                              ;   in Loop: Header=BB215_14 Depth=1
	v_and_b32_e32 v28, 7, v28
	v_lshrrev_b32_e32 v133, 3, v141
	s_mov_b32 s23, exec_lo
	v_cmpx_gt_u32_e32 8, v141
; %bb.461:                              ;   in Loop: Header=BB215_14 Depth=1
	s_delay_alu instid0(VALU_DEP_3) | instskip(NEXT) | instid1(VALU_DEP_1)
	v_clz_i32_u32_e32 v133, v28
	v_min_u32_e32 v133, 32, v133
	s_delay_alu instid0(VALU_DEP_1) | instskip(SKIP_1) | instid1(VALU_DEP_2)
	v_subrev_nc_u32_e32 v139, 28, v133
	v_sub_nc_u32_e32 v133, 29, v133
	v_lshlrev_b64 v[141:142], v139, v[28:29]
	s_delay_alu instid0(VALU_DEP_1)
	v_and_b32_e32 v28, 7, v141
; %bb.462:                              ;   in Loop: Header=BB215_14 Depth=1
	s_or_b32 exec_lo, exec_lo, s23
	v_lshlrev_b32_e32 v132, 24, v132
	s_delay_alu instid0(VALU_DEP_2) | instskip(SKIP_1) | instid1(VALU_DEP_3)
	v_lshlrev_b32_e32 v28, 20, v28
	v_lshl_add_u32 v133, v133, 23, 0x3c000000
	v_and_b32_e32 v132, 0x80000000, v132
	s_delay_alu instid0(VALU_DEP_1)
	v_or3_b32 v139, v28, v132, v133
.LBB215_463:                            ;   in Loop: Header=BB215_14 Depth=1
	s_or_b32 exec_lo, exec_lo, s22
.LBB215_464:                            ;   in Loop: Header=BB215_14 Depth=1
	s_delay_alu instid0(SALU_CYCLE_1)
	s_or_b32 exec_lo, exec_lo, s21
.LBB215_465:                            ;   in Loop: Header=BB215_14 Depth=1
	s_delay_alu instid0(SALU_CYCLE_1)
	s_or_b32 exec_lo, exec_lo, s20
	flat_load_u8 v132, v[130:131] offset:1792
	v_dual_mov_b32 v141, 0 :: v_dual_mov_b32 v142, 0
	s_mov_b32 s20, exec_lo
	s_waitcnt vmcnt(0) lgkmcnt(0)
	v_cmpx_ne_u16_e64 0, v132
	s_cbranch_execz .LBB215_473
; %bb.466:                              ;   in Loop: Header=BB215_14 Depth=1
	v_bfrev_b32_e32 v142, 1
	s_mov_b32 s21, exec_lo
	v_cmpx_ne_u16_e64 0x80, v132
	s_cbranch_execz .LBB215_472
; %bb.467:                              ;   in Loop: Header=BB215_14 Depth=1
	v_and_b32_e32 v28, 0xffff, v132
	v_mov_b32_e32 v142, 0x7f800001
	s_mov_b32 s22, exec_lo
	s_delay_alu instid0(VALU_DEP_2) | instskip(NEXT) | instid1(VALU_DEP_1)
	v_and_b32_e32 v143, 0x7f, v28
	v_cmpx_ne_u32_e32 0x7f, v143
	s_cbranch_execz .LBB215_471
; %bb.468:                              ;   in Loop: Header=BB215_14 Depth=1
	v_and_b32_e32 v28, 7, v28
	v_lshrrev_b32_e32 v133, 3, v143
	s_mov_b32 s23, exec_lo
	v_cmpx_gt_u32_e32 8, v143
; %bb.469:                              ;   in Loop: Header=BB215_14 Depth=1
	s_delay_alu instid0(VALU_DEP_3) | instskip(NEXT) | instid1(VALU_DEP_1)
	v_clz_i32_u32_e32 v133, v28
	v_min_u32_e32 v133, 32, v133
	s_delay_alu instid0(VALU_DEP_1) | instskip(SKIP_1) | instid1(VALU_DEP_2)
	v_subrev_nc_u32_e32 v142, 28, v133
	v_sub_nc_u32_e32 v133, 29, v133
	v_lshlrev_b64 v[142:143], v142, v[28:29]
	s_delay_alu instid0(VALU_DEP_1)
	v_and_b32_e32 v28, 7, v142
; %bb.470:                              ;   in Loop: Header=BB215_14 Depth=1
	s_or_b32 exec_lo, exec_lo, s23
	v_lshlrev_b32_e32 v132, 24, v132
	s_delay_alu instid0(VALU_DEP_2) | instskip(SKIP_1) | instid1(VALU_DEP_3)
	v_lshlrev_b32_e32 v28, 20, v28
	v_lshl_add_u32 v133, v133, 23, 0x3c000000
	v_and_b32_e32 v132, 0x80000000, v132
	s_delay_alu instid0(VALU_DEP_1)
	v_or3_b32 v142, v28, v132, v133
.LBB215_471:                            ;   in Loop: Header=BB215_14 Depth=1
	s_or_b32 exec_lo, exec_lo, s22
.LBB215_472:                            ;   in Loop: Header=BB215_14 Depth=1
	s_delay_alu instid0(SALU_CYCLE_1)
	s_or_b32 exec_lo, exec_lo, s21
.LBB215_473:                            ;   in Loop: Header=BB215_14 Depth=1
	s_delay_alu instid0(SALU_CYCLE_1)
	s_or_b32 exec_lo, exec_lo, s20
	flat_load_u8 v132, v[130:131] offset:1796
	s_mov_b32 s20, exec_lo
	s_waitcnt vmcnt(0) lgkmcnt(0)
	v_cmpx_ne_u16_e64 0, v132
	s_cbranch_execz .LBB215_481
; %bb.474:                              ;   in Loop: Header=BB215_14 Depth=1
	v_bfrev_b32_e32 v141, 1
	s_mov_b32 s21, exec_lo
	v_cmpx_ne_u16_e64 0x80, v132
	s_cbranch_execz .LBB215_480
; %bb.475:                              ;   in Loop: Header=BB215_14 Depth=1
	v_and_b32_e32 v28, 0xffff, v132
	v_mov_b32_e32 v141, 0x7f800001
	s_mov_b32 s22, exec_lo
	s_delay_alu instid0(VALU_DEP_2) | instskip(NEXT) | instid1(VALU_DEP_1)
	v_and_b32_e32 v143, 0x7f, v28
	v_cmpx_ne_u32_e32 0x7f, v143
	s_cbranch_execz .LBB215_479
; %bb.476:                              ;   in Loop: Header=BB215_14 Depth=1
	v_and_b32_e32 v28, 7, v28
	v_lshrrev_b32_e32 v133, 3, v143
	s_mov_b32 s23, exec_lo
	v_cmpx_gt_u32_e32 8, v143
; %bb.477:                              ;   in Loop: Header=BB215_14 Depth=1
	s_delay_alu instid0(VALU_DEP_3) | instskip(NEXT) | instid1(VALU_DEP_1)
	v_clz_i32_u32_e32 v133, v28
	v_min_u32_e32 v133, 32, v133
	s_delay_alu instid0(VALU_DEP_1) | instskip(SKIP_1) | instid1(VALU_DEP_2)
	v_subrev_nc_u32_e32 v141, 28, v133
	v_sub_nc_u32_e32 v133, 29, v133
	v_lshlrev_b64 v[152:153], v141, v[28:29]
	s_delay_alu instid0(VALU_DEP_1)
	v_and_b32_e32 v28, 7, v152
; %bb.478:                              ;   in Loop: Header=BB215_14 Depth=1
	s_or_b32 exec_lo, exec_lo, s23
	v_lshlrev_b32_e32 v132, 24, v132
	s_delay_alu instid0(VALU_DEP_2) | instskip(SKIP_1) | instid1(VALU_DEP_3)
	v_lshlrev_b32_e32 v28, 20, v28
	v_lshl_add_u32 v133, v133, 23, 0x3c000000
	v_and_b32_e32 v132, 0x80000000, v132
	s_delay_alu instid0(VALU_DEP_1)
	v_or3_b32 v141, v28, v132, v133
.LBB215_479:                            ;   in Loop: Header=BB215_14 Depth=1
	s_or_b32 exec_lo, exec_lo, s22
.LBB215_480:                            ;   in Loop: Header=BB215_14 Depth=1
	s_delay_alu instid0(SALU_CYCLE_1)
	s_or_b32 exec_lo, exec_lo, s21
.LBB215_481:                            ;   in Loop: Header=BB215_14 Depth=1
	s_delay_alu instid0(SALU_CYCLE_1) | instskip(SKIP_1) | instid1(VALU_DEP_1)
	s_or_b32 exec_lo, exec_lo, s20
	v_add_co_u32 v132, s2, 0x700, v130
	v_add_co_ci_u32_e64 v133, s2, 0, v131, s2
	v_dual_mov_b32 v143, 0 :: v_dual_mov_b32 v152, 0
	s_mov_b32 s20, exec_lo
	flat_load_u8 v153, v[132:133] offset:8
	s_waitcnt vmcnt(0) lgkmcnt(0)
	v_cmpx_ne_u16_e64 0, v153
	s_cbranch_execz .LBB215_489
; %bb.482:                              ;   in Loop: Header=BB215_14 Depth=1
	v_bfrev_b32_e32 v152, 1
	s_mov_b32 s21, exec_lo
	v_cmpx_ne_u16_e64 0x80, v153
	s_cbranch_execz .LBB215_488
; %bb.483:                              ;   in Loop: Header=BB215_14 Depth=1
	v_and_b32_e32 v28, 0xffff, v153
	v_mov_b32_e32 v152, 0x7f800001
	s_mov_b32 s22, exec_lo
	s_delay_alu instid0(VALU_DEP_2) | instskip(NEXT) | instid1(VALU_DEP_1)
	v_and_b32_e32 v154, 0x7f, v28
	v_cmpx_ne_u32_e32 0x7f, v154
	s_cbranch_execz .LBB215_487
; %bb.484:                              ;   in Loop: Header=BB215_14 Depth=1
	v_and_b32_e32 v28, 7, v28
	v_lshrrev_b32_e32 v152, 3, v154
	s_mov_b32 s23, exec_lo
	v_cmpx_gt_u32_e32 8, v154
; %bb.485:                              ;   in Loop: Header=BB215_14 Depth=1
	s_delay_alu instid0(VALU_DEP_3) | instskip(NEXT) | instid1(VALU_DEP_1)
	v_clz_i32_u32_e32 v152, v28
	v_min_u32_e32 v152, 32, v152
	s_delay_alu instid0(VALU_DEP_1) | instskip(SKIP_1) | instid1(VALU_DEP_2)
	v_subrev_nc_u32_e32 v154, 28, v152
	v_sub_nc_u32_e32 v152, 29, v152
	v_lshlrev_b64 v[154:155], v154, v[28:29]
	s_delay_alu instid0(VALU_DEP_1)
	v_and_b32_e32 v28, 7, v154
; %bb.486:                              ;   in Loop: Header=BB215_14 Depth=1
	s_or_b32 exec_lo, exec_lo, s23
	v_lshlrev_b32_e32 v153, 24, v153
	s_delay_alu instid0(VALU_DEP_2) | instskip(SKIP_1) | instid1(VALU_DEP_3)
	v_lshlrev_b32_e32 v28, 20, v28
	v_lshl_add_u32 v152, v152, 23, 0x3c000000
	v_and_b32_e32 v153, 0x80000000, v153
	s_delay_alu instid0(VALU_DEP_1)
	v_or3_b32 v152, v28, v153, v152
.LBB215_487:                            ;   in Loop: Header=BB215_14 Depth=1
	s_or_b32 exec_lo, exec_lo, s22
.LBB215_488:                            ;   in Loop: Header=BB215_14 Depth=1
	s_delay_alu instid0(SALU_CYCLE_1)
	s_or_b32 exec_lo, exec_lo, s21
.LBB215_489:                            ;   in Loop: Header=BB215_14 Depth=1
	s_delay_alu instid0(SALU_CYCLE_1)
	s_or_b32 exec_lo, exec_lo, s20
	flat_load_u8 v132, v[132:133] offset:12
	s_mov_b32 s20, exec_lo
	s_waitcnt vmcnt(0) lgkmcnt(0)
	v_cmpx_ne_u16_e64 0, v132
	s_cbranch_execz .LBB215_497
; %bb.490:                              ;   in Loop: Header=BB215_14 Depth=1
	v_bfrev_b32_e32 v143, 1
	s_mov_b32 s21, exec_lo
	v_cmpx_ne_u16_e64 0x80, v132
	s_cbranch_execz .LBB215_496
; %bb.491:                              ;   in Loop: Header=BB215_14 Depth=1
	v_and_b32_e32 v28, 0xffff, v132
	v_mov_b32_e32 v143, 0x7f800001
	s_mov_b32 s22, exec_lo
	s_delay_alu instid0(VALU_DEP_2) | instskip(NEXT) | instid1(VALU_DEP_1)
	v_and_b32_e32 v153, 0x7f, v28
	v_cmpx_ne_u32_e32 0x7f, v153
	s_cbranch_execz .LBB215_495
; %bb.492:                              ;   in Loop: Header=BB215_14 Depth=1
	v_and_b32_e32 v28, 7, v28
	v_lshrrev_b32_e32 v133, 3, v153
	s_mov_b32 s23, exec_lo
	v_cmpx_gt_u32_e32 8, v153
; %bb.493:                              ;   in Loop: Header=BB215_14 Depth=1
	s_delay_alu instid0(VALU_DEP_3) | instskip(NEXT) | instid1(VALU_DEP_1)
	v_clz_i32_u32_e32 v133, v28
	v_min_u32_e32 v133, 32, v133
	s_delay_alu instid0(VALU_DEP_1) | instskip(SKIP_1) | instid1(VALU_DEP_2)
	v_subrev_nc_u32_e32 v143, 28, v133
	v_sub_nc_u32_e32 v133, 29, v133
	v_lshlrev_b64 v[153:154], v143, v[28:29]
	s_delay_alu instid0(VALU_DEP_1)
	v_and_b32_e32 v28, 7, v153
; %bb.494:                              ;   in Loop: Header=BB215_14 Depth=1
	s_or_b32 exec_lo, exec_lo, s23
	v_lshlrev_b32_e32 v132, 24, v132
	s_delay_alu instid0(VALU_DEP_2) | instskip(SKIP_1) | instid1(VALU_DEP_3)
	v_lshlrev_b32_e32 v28, 20, v28
	v_lshl_add_u32 v133, v133, 23, 0x3c000000
	v_and_b32_e32 v132, 0x80000000, v132
	s_delay_alu instid0(VALU_DEP_1)
	v_or3_b32 v143, v28, v132, v133
.LBB215_495:                            ;   in Loop: Header=BB215_14 Depth=1
	s_or_b32 exec_lo, exec_lo, s22
.LBB215_496:                            ;   in Loop: Header=BB215_14 Depth=1
	s_delay_alu instid0(SALU_CYCLE_1)
	s_or_b32 exec_lo, exec_lo, s21
.LBB215_497:                            ;   in Loop: Header=BB215_14 Depth=1
	s_delay_alu instid0(SALU_CYCLE_1)
	s_or_b32 exec_lo, exec_lo, s20
	flat_load_u8 v153, v[130:131] offset:1920
	v_dual_mov_b32 v132, 0 :: v_dual_mov_b32 v133, 0
	s_mov_b32 s20, exec_lo
	s_waitcnt vmcnt(0) lgkmcnt(0)
	v_cmpx_ne_u16_e64 0, v153
	s_cbranch_execz .LBB215_505
; %bb.498:                              ;   in Loop: Header=BB215_14 Depth=1
	v_bfrev_b32_e32 v133, 1
	s_mov_b32 s21, exec_lo
	v_cmpx_ne_u16_e64 0x80, v153
	s_cbranch_execz .LBB215_504
; %bb.499:                              ;   in Loop: Header=BB215_14 Depth=1
	v_and_b32_e32 v28, 0xffff, v153
	v_mov_b32_e32 v133, 0x7f800001
	s_mov_b32 s22, exec_lo
	s_delay_alu instid0(VALU_DEP_2) | instskip(NEXT) | instid1(VALU_DEP_1)
	v_and_b32_e32 v154, 0x7f, v28
	v_cmpx_ne_u32_e32 0x7f, v154
	s_cbranch_execz .LBB215_503
; %bb.500:                              ;   in Loop: Header=BB215_14 Depth=1
	v_and_b32_e32 v28, 7, v28
	v_lshrrev_b32_e32 v133, 3, v154
	s_mov_b32 s23, exec_lo
	v_cmpx_gt_u32_e32 8, v154
; %bb.501:                              ;   in Loop: Header=BB215_14 Depth=1
	s_delay_alu instid0(VALU_DEP_3) | instskip(NEXT) | instid1(VALU_DEP_1)
	v_clz_i32_u32_e32 v133, v28
	v_min_u32_e32 v133, 32, v133
	s_delay_alu instid0(VALU_DEP_1) | instskip(SKIP_1) | instid1(VALU_DEP_2)
	v_subrev_nc_u32_e32 v154, 28, v133
	v_sub_nc_u32_e32 v133, 29, v133
	v_lshlrev_b64 v[154:155], v154, v[28:29]
	s_delay_alu instid0(VALU_DEP_1)
	v_and_b32_e32 v28, 7, v154
; %bb.502:                              ;   in Loop: Header=BB215_14 Depth=1
	s_or_b32 exec_lo, exec_lo, s23
	v_lshlrev_b32_e32 v153, 24, v153
	s_delay_alu instid0(VALU_DEP_2) | instskip(SKIP_1) | instid1(VALU_DEP_3)
	v_lshlrev_b32_e32 v28, 20, v28
	v_lshl_add_u32 v133, v133, 23, 0x3c000000
	v_and_b32_e32 v153, 0x80000000, v153
	s_delay_alu instid0(VALU_DEP_1)
	v_or3_b32 v133, v28, v153, v133
.LBB215_503:                            ;   in Loop: Header=BB215_14 Depth=1
	s_or_b32 exec_lo, exec_lo, s22
.LBB215_504:                            ;   in Loop: Header=BB215_14 Depth=1
	s_delay_alu instid0(SALU_CYCLE_1)
	s_or_b32 exec_lo, exec_lo, s21
.LBB215_505:                            ;   in Loop: Header=BB215_14 Depth=1
	s_delay_alu instid0(SALU_CYCLE_1)
	s_or_b32 exec_lo, exec_lo, s20
	flat_load_u8 v153, v[130:131] offset:1924
	s_mov_b32 s20, exec_lo
	s_waitcnt vmcnt(0) lgkmcnt(0)
	v_cmpx_ne_u16_e64 0, v153
	s_cbranch_execz .LBB215_513
; %bb.506:                              ;   in Loop: Header=BB215_14 Depth=1
	v_bfrev_b32_e32 v132, 1
	s_mov_b32 s21, exec_lo
	v_cmpx_ne_u16_e64 0x80, v153
	s_cbranch_execz .LBB215_512
; %bb.507:                              ;   in Loop: Header=BB215_14 Depth=1
	v_and_b32_e32 v28, 0xffff, v153
	v_mov_b32_e32 v132, 0x7f800001
	s_mov_b32 s22, exec_lo
	s_delay_alu instid0(VALU_DEP_2) | instskip(NEXT) | instid1(VALU_DEP_1)
	v_and_b32_e32 v154, 0x7f, v28
	v_cmpx_ne_u32_e32 0x7f, v154
	s_cbranch_execz .LBB215_511
; %bb.508:                              ;   in Loop: Header=BB215_14 Depth=1
	v_and_b32_e32 v28, 7, v28
	v_lshrrev_b32_e32 v132, 3, v154
	s_mov_b32 s23, exec_lo
	v_cmpx_gt_u32_e32 8, v154
; %bb.509:                              ;   in Loop: Header=BB215_14 Depth=1
	s_delay_alu instid0(VALU_DEP_3) | instskip(NEXT) | instid1(VALU_DEP_1)
	v_clz_i32_u32_e32 v132, v28
	v_min_u32_e32 v132, 32, v132
	s_delay_alu instid0(VALU_DEP_1) | instskip(SKIP_1) | instid1(VALU_DEP_2)
	v_subrev_nc_u32_e32 v154, 28, v132
	v_sub_nc_u32_e32 v132, 29, v132
	v_lshlrev_b64 v[154:155], v154, v[28:29]
	s_delay_alu instid0(VALU_DEP_1)
	v_and_b32_e32 v28, 7, v154
; %bb.510:                              ;   in Loop: Header=BB215_14 Depth=1
	s_or_b32 exec_lo, exec_lo, s23
	v_lshlrev_b32_e32 v153, 24, v153
	s_delay_alu instid0(VALU_DEP_2) | instskip(SKIP_1) | instid1(VALU_DEP_3)
	v_lshlrev_b32_e32 v28, 20, v28
	v_lshl_add_u32 v132, v132, 23, 0x3c000000
	v_and_b32_e32 v153, 0x80000000, v153
	s_delay_alu instid0(VALU_DEP_1)
	v_or3_b32 v132, v28, v153, v132
.LBB215_511:                            ;   in Loop: Header=BB215_14 Depth=1
	s_or_b32 exec_lo, exec_lo, s22
.LBB215_512:                            ;   in Loop: Header=BB215_14 Depth=1
	s_delay_alu instid0(SALU_CYCLE_1)
	s_or_b32 exec_lo, exec_lo, s21
.LBB215_513:                            ;   in Loop: Header=BB215_14 Depth=1
	s_delay_alu instid0(SALU_CYCLE_1) | instskip(SKIP_1) | instid1(VALU_DEP_1)
	s_or_b32 exec_lo, exec_lo, s20
	v_add_co_u32 v130, s2, 0x780, v130
	v_add_co_ci_u32_e64 v131, s2, 0, v131, s2
	v_dual_mov_b32 v153, 0 :: v_dual_mov_b32 v154, 0
	s_mov_b32 s20, exec_lo
	flat_load_u8 v155, v[130:131] offset:8
	s_waitcnt vmcnt(0) lgkmcnt(0)
	v_cmpx_ne_u16_e64 0, v155
	s_cbranch_execz .LBB215_521
; %bb.514:                              ;   in Loop: Header=BB215_14 Depth=1
	v_bfrev_b32_e32 v154, 1
	s_mov_b32 s21, exec_lo
	v_cmpx_ne_u16_e64 0x80, v155
	s_cbranch_execz .LBB215_520
; %bb.515:                              ;   in Loop: Header=BB215_14 Depth=1
	v_and_b32_e32 v28, 0xffff, v155
	v_mov_b32_e32 v154, 0x7f800001
	s_mov_b32 s22, exec_lo
	s_delay_alu instid0(VALU_DEP_2) | instskip(NEXT) | instid1(VALU_DEP_1)
	v_and_b32_e32 v156, 0x7f, v28
	v_cmpx_ne_u32_e32 0x7f, v156
	s_cbranch_execz .LBB215_519
; %bb.516:                              ;   in Loop: Header=BB215_14 Depth=1
	v_and_b32_e32 v28, 7, v28
	v_lshrrev_b32_e32 v154, 3, v156
	s_mov_b32 s23, exec_lo
	v_cmpx_gt_u32_e32 8, v156
; %bb.517:                              ;   in Loop: Header=BB215_14 Depth=1
	s_delay_alu instid0(VALU_DEP_3) | instskip(NEXT) | instid1(VALU_DEP_1)
	v_clz_i32_u32_e32 v154, v28
	v_min_u32_e32 v154, 32, v154
	s_delay_alu instid0(VALU_DEP_1) | instskip(SKIP_1) | instid1(VALU_DEP_2)
	v_subrev_nc_u32_e32 v156, 28, v154
	v_sub_nc_u32_e32 v154, 29, v154
	v_lshlrev_b64 v[156:157], v156, v[28:29]
	s_delay_alu instid0(VALU_DEP_1)
	v_and_b32_e32 v28, 7, v156
; %bb.518:                              ;   in Loop: Header=BB215_14 Depth=1
	s_or_b32 exec_lo, exec_lo, s23
	v_lshlrev_b32_e32 v155, 24, v155
	s_delay_alu instid0(VALU_DEP_2) | instskip(SKIP_1) | instid1(VALU_DEP_3)
	v_lshlrev_b32_e32 v28, 20, v28
	v_lshl_add_u32 v154, v154, 23, 0x3c000000
	v_and_b32_e32 v155, 0x80000000, v155
	s_delay_alu instid0(VALU_DEP_1)
	v_or3_b32 v154, v28, v155, v154
.LBB215_519:                            ;   in Loop: Header=BB215_14 Depth=1
	s_or_b32 exec_lo, exec_lo, s22
.LBB215_520:                            ;   in Loop: Header=BB215_14 Depth=1
	s_delay_alu instid0(SALU_CYCLE_1)
	s_or_b32 exec_lo, exec_lo, s21
.LBB215_521:                            ;   in Loop: Header=BB215_14 Depth=1
	s_delay_alu instid0(SALU_CYCLE_1)
	s_or_b32 exec_lo, exec_lo, s20
	flat_load_u8 v130, v[130:131] offset:12
	s_mov_b32 s20, exec_lo
	s_waitcnt vmcnt(0) lgkmcnt(0)
	v_cmpx_ne_u16_e64 0, v130
	s_cbranch_execz .LBB215_529
; %bb.522:                              ;   in Loop: Header=BB215_14 Depth=1
	v_bfrev_b32_e32 v153, 1
	s_mov_b32 s21, exec_lo
	v_cmpx_ne_u16_e64 0x80, v130
	s_cbranch_execz .LBB215_528
; %bb.523:                              ;   in Loop: Header=BB215_14 Depth=1
	v_and_b32_e32 v28, 0xffff, v130
	v_mov_b32_e32 v153, 0x7f800001
	s_mov_b32 s22, exec_lo
	s_delay_alu instid0(VALU_DEP_2) | instskip(NEXT) | instid1(VALU_DEP_1)
	v_and_b32_e32 v155, 0x7f, v28
	v_cmpx_ne_u32_e32 0x7f, v155
	s_cbranch_execz .LBB215_527
; %bb.524:                              ;   in Loop: Header=BB215_14 Depth=1
	v_and_b32_e32 v28, 7, v28
	v_lshrrev_b32_e32 v131, 3, v155
	s_mov_b32 s23, exec_lo
	v_cmpx_gt_u32_e32 8, v155
; %bb.525:                              ;   in Loop: Header=BB215_14 Depth=1
	s_delay_alu instid0(VALU_DEP_3) | instskip(NEXT) | instid1(VALU_DEP_1)
	v_clz_i32_u32_e32 v131, v28
	v_min_u32_e32 v131, 32, v131
	s_delay_alu instid0(VALU_DEP_1) | instskip(SKIP_1) | instid1(VALU_DEP_2)
	v_subrev_nc_u32_e32 v153, 28, v131
	v_sub_nc_u32_e32 v131, 29, v131
	v_lshlrev_b64 v[155:156], v153, v[28:29]
	s_delay_alu instid0(VALU_DEP_1)
	v_and_b32_e32 v28, 7, v155
; %bb.526:                              ;   in Loop: Header=BB215_14 Depth=1
	s_or_b32 exec_lo, exec_lo, s23
	v_lshlrev_b32_e32 v130, 24, v130
	s_delay_alu instid0(VALU_DEP_2) | instskip(SKIP_1) | instid1(VALU_DEP_3)
	v_lshlrev_b32_e32 v28, 20, v28
	v_lshl_add_u32 v131, v131, 23, 0x3c000000
	v_and_b32_e32 v130, 0x80000000, v130
	s_delay_alu instid0(VALU_DEP_1)
	v_or3_b32 v153, v28, v130, v131
.LBB215_527:                            ;   in Loop: Header=BB215_14 Depth=1
	s_or_b32 exec_lo, exec_lo, s22
.LBB215_528:                            ;   in Loop: Header=BB215_14 Depth=1
	s_delay_alu instid0(SALU_CYCLE_1)
	s_or_b32 exec_lo, exec_lo, s21
.LBB215_529:                            ;   in Loop: Header=BB215_14 Depth=1
	s_delay_alu instid0(SALU_CYCLE_1) | instskip(SKIP_2) | instid1(VALU_DEP_2)
	s_or_b32 exec_lo, exec_lo, s20
	v_mul_f32_e32 v28, v180, v181
	v_mul_f32_e32 v130, v180, v182
	;; [unrolled: 1-line block ×4, first 2 shown]
	s_delay_alu instid0(VALU_DEP_2) | instskip(SKIP_1) | instid1(VALU_DEP_2)
	v_fmac_f32_e32 v28, v100, v130
	v_mul_f32_e32 v100, v180, v183
	v_dual_fmac_f32 v28, v102, v101 :: v_dual_mul_f32 v101, v180, v42
	s_delay_alu instid0(VALU_DEP_1) | instskip(SKIP_1) | instid1(VALU_DEP_2)
	v_fmac_f32_e32 v28, v103, v100
	v_mul_f32_e32 v100, v180, v41
	v_fmac_f32_e32 v28, v96, v101
	v_mul_f32_e32 v96, v180, v44
	s_delay_alu instid0(VALU_DEP_2) | instskip(NEXT) | instid1(VALU_DEP_1)
	v_dual_fmac_f32 v28, v97, v100 :: v_dual_mul_f32 v97, v180, v43
	v_fmac_f32_e32 v28, v98, v96
	v_mul_f32_e32 v96, v180, v46
	s_delay_alu instid0(VALU_DEP_2) | instskip(SKIP_1) | instid1(VALU_DEP_2)
	v_fmac_f32_e32 v28, v99, v97
	v_mul_f32_e32 v97, v180, v45
	v_fmac_f32_e32 v28, v84, v96
	v_mul_f32_e32 v84, v180, v56
	s_delay_alu instid0(VALU_DEP_2) | instskip(NEXT) | instid1(VALU_DEP_1)
	v_dual_fmac_f32 v28, v85, v97 :: v_dual_mul_f32 v85, v180, v47
	v_fmac_f32_e32 v28, v86, v84
	v_mul_f32_e32 v84, v180, v58
	s_delay_alu instid0(VALU_DEP_2) | instskip(SKIP_1) | instid1(VALU_DEP_2)
	;; [unrolled: 9-line block ×6, first 2 shown]
	v_fmac_f32_e32 v28, v55, v53
	v_mul_f32_e32 v53, v180, v89
	v_fmac_f32_e32 v28, v48, v52
	v_mul_f32_e32 v48, v180, v92
	s_delay_alu instid0(VALU_DEP_2) | instskip(NEXT) | instid1(VALU_DEP_1)
	v_dual_fmac_f32 v28, v49, v53 :: v_dual_mul_f32 v49, v180, v91
	v_fmac_f32_e32 v28, v50, v48
	v_mul_f32_e32 v48, v180, v94
	s_delay_alu instid0(VALU_DEP_2) | instskip(NEXT) | instid1(VALU_DEP_1)
	v_fmac_f32_e32 v28, v51, v49
	v_dual_mul_f32 v49, v180, v93 :: v_dual_fmac_f32 v28, v35, v48
	v_mul_f32_e32 v35, v180, v104
	s_delay_alu instid0(VALU_DEP_2) | instskip(SKIP_1) | instid1(VALU_DEP_2)
	v_fmac_f32_e32 v28, v36, v49
	v_mul_f32_e32 v36, v180, v95
	v_dual_fmac_f32 v28, v37, v35 :: v_dual_mul_f32 v35, v180, v106
	s_delay_alu instid0(VALU_DEP_1) | instskip(SKIP_1) | instid1(VALU_DEP_2)
	v_fmac_f32_e32 v28, v38, v36
	v_mul_f32_e32 v36, v180, v105
	v_dual_fmac_f32 v28, v31, v35 :: v_dual_mul_f32 v31, v180, v108
	s_delay_alu instid0(VALU_DEP_1) | instskip(SKIP_1) | instid1(VALU_DEP_2)
	;; [unrolled: 4-line block ×3, first 2 shown]
	v_fmac_f32_e32 v28, v34, v32
	v_mul_f32_e32 v32, v180, v109
	v_fmac_f32_e32 v28, v16, v31
	v_mul_f32_e32 v16, v180, v120
	v_mul_f32_e32 v31, v180, v136
	s_delay_alu instid0(VALU_DEP_3) | instskip(SKIP_1) | instid1(VALU_DEP_2)
	v_dual_fmac_f32 v28, v17, v32 :: v_dual_mul_f32 v17, v180, v111
	v_mul_f32_e32 v32, v180, v127
	v_fmac_f32_e32 v28, v18, v16
	v_mul_f32_e32 v16, v180, v122
	s_delay_alu instid0(VALU_DEP_2) | instskip(NEXT) | instid1(VALU_DEP_1)
	v_fmac_f32_e32 v28, v19, v17
	v_dual_mul_f32 v17, v180, v121 :: v_dual_fmac_f32 v28, v6, v16
	v_mul_f32_e32 v6, v180, v124
	s_delay_alu instid0(VALU_DEP_2) | instskip(SKIP_3) | instid1(VALU_DEP_2)
	v_dual_fmac_f32 v28, v7, v17 :: v_dual_mul_f32 v7, v180, v123
	ds_load_2addr_b64 v[16:19], v165 offset0:25 offset1:26
	v_fmac_f32_e32 v28, v8, v6
	v_mul_f32_e32 v6, v180, v126
	v_dual_fmac_f32 v28, v9, v7 :: v_dual_mul_f32 v7, v180, v125
	s_delay_alu instid0(VALU_DEP_1) | instskip(NEXT) | instid1(VALU_DEP_1)
	v_fmac_f32_e32 v28, v128, v6
	v_fmac_f32_e32 v28, v129, v7
	ds_load_2addr_b64 v[6:9], v165 offset0:27 offset1:28
	s_waitcnt lgkmcnt(1)
	v_fmac_f32_e32 v28, v16, v31
	v_mul_f32_e32 v16, v180, v138
	s_delay_alu instid0(VALU_DEP_2) | instskip(NEXT) | instid1(VALU_DEP_1)
	v_dual_mul_f32 v31, v180, v139 :: v_dual_fmac_f32 v28, v17, v32
	v_dual_mul_f32 v17, v180, v137 :: v_dual_fmac_f32 v28, v18, v16
	v_mul_f32_e32 v16, v180, v140
	s_delay_alu instid0(VALU_DEP_2) | instskip(SKIP_1) | instid1(VALU_DEP_1)
	v_fmac_f32_e32 v28, v19, v17
	s_waitcnt lgkmcnt(0)
	v_fmac_f32_e32 v28, v6, v16
	ds_load_2addr_b64 v[16:19], v165 offset0:29 offset1:30
	v_mul_f32_e32 v6, v180, v142
	v_dual_fmac_f32 v28, v7, v31 :: v_dual_mul_f32 v7, v180, v141
	s_delay_alu instid0(VALU_DEP_1) | instskip(SKIP_1) | instid1(VALU_DEP_2)
	v_fmac_f32_e32 v28, v8, v6
	v_mul_f32_e32 v8, v180, v152
	v_fmac_f32_e32 v28, v9, v7
	ds_load_b64 v[6:7], v165 offset:248
	v_mul_f32_e32 v9, v180, v143
	s_waitcnt lgkmcnt(1)
	v_fmac_f32_e32 v28, v16, v8
	v_mul_f32_e32 v8, v180, v133
	v_mul_f32_e32 v16, v180, v154
	s_delay_alu instid0(VALU_DEP_3) | instskip(NEXT) | instid1(VALU_DEP_1)
	v_dual_fmac_f32 v28, v17, v9 :: v_dual_mul_f32 v9, v180, v132
	v_fmac_f32_e32 v28, v18, v8
	v_xor_b32_e32 v8, 2, v161
	s_delay_alu instid0(VALU_DEP_2) | instskip(NEXT) | instid1(VALU_DEP_2)
	v_fmac_f32_e32 v28, v19, v9
	v_cmp_gt_i32_e64 s2, 32, v8
	s_waitcnt lgkmcnt(0)
	s_delay_alu instid0(VALU_DEP_2) | instskip(NEXT) | instid1(VALU_DEP_2)
	v_dual_mul_f32 v9, v180, v153 :: v_dual_fmac_f32 v28, v6, v16
	v_cndmask_b32_e64 v8, v161, v8, s2
	s_delay_alu instid0(VALU_DEP_2) | instskip(NEXT) | instid1(VALU_DEP_2)
	v_fmac_f32_e32 v28, v7, v9
	v_lshlrev_b32_e32 v6, 2, v8
	v_xor_b32_e32 v7, 1, v161
	ds_bpermute_b32 v6, v6, v28
	v_cmp_gt_i32_e64 s2, 32, v7
	s_delay_alu instid0(VALU_DEP_1) | instskip(SKIP_1) | instid1(VALU_DEP_1)
	v_cndmask_b32_e64 v7, v161, v7, s2
	s_waitcnt lgkmcnt(0)
	v_dual_add_f32 v6, v28, v6 :: v_dual_lshlrev_b32 v7, 2, v7
	ds_bpermute_b32 v7, v7, v6
	s_and_saveexec_b32 s20, vcc_lo
	s_cbranch_execz .LBB215_12
; %bb.530:                              ;   in Loop: Header=BB215_14 Depth=1
	s_waitcnt lgkmcnt(0)
	v_add_f32_e32 v6, v6, v7
	v_add_nc_u32_e32 v8, v177, v166
	s_load_b32 s21, s[8:9], 0x0
	s_delay_alu instid0(VALU_DEP_1) | instskip(NEXT) | instid1(VALU_DEP_1)
	v_cvt_f32_i32_e32 v8, v8
	v_mul_f32_e32 v8, v151, v8
	s_delay_alu instid0(VALU_DEP_1) | instskip(SKIP_1) | instid1(VALU_DEP_2)
	v_cndmask_b32_e64 v7, 0, v8, s1
	v_max_f32_e32 v8, v162, v162
	v_dual_fmac_f32 v7, v6, v13 :: v_dual_add_nc_u32 v6, v164, v166
	s_delay_alu instid0(VALU_DEP_1) | instskip(NEXT) | instid1(VALU_DEP_2)
	v_max_f32_e32 v8, v8, v7
	v_cmp_lt_i32_e64 s2, v6, v134
	s_waitcnt lgkmcnt(0)
	v_add_nc_u32_e32 v6, s21, v176
	s_delay_alu instid0(VALU_DEP_2)
	v_cndmask_b32_e64 v7, 0, v7, s2
	v_cndmask_b32_e64 v162, v162, v8, s2
	ds_store_b32 v6, v7
	s_branch .LBB215_12
.LBB215_531:
	s_or_b32 exec_lo, exec_lo, s19
.LBB215_532:
	s_delay_alu instid0(SALU_CYCLE_1)
	s_or_b32 exec_lo, exec_lo, s18
	v_xor_b32_e32 v6, 16, v161
	s_waitcnt lgkmcnt(0)
	v_xor_b32_e32 v7, 8, v161
	v_max_f32_e32 v13, v162, v162
	v_and_b32_e32 v25, 31, v39
	v_cmp_gt_i32_e32 vcc_lo, 32, v6
	v_cndmask_b32_e32 v6, v161, v6, vcc_lo
	v_cmp_gt_i32_e32 vcc_lo, 32, v7
	v_cndmask_b32_e32 v7, v161, v7, vcc_lo
	s_delay_alu instid0(VALU_DEP_1) | instskip(NEXT) | instid1(VALU_DEP_4)
	v_lshlrev_b32_e32 v9, 2, v7
	v_lshlrev_b32_e32 v8, 2, v6
	ds_bpermute_b32 v6, v8, v162
	s_waitcnt lgkmcnt(0)
	v_max_f32_e32 v6, v6, v6
	s_delay_alu instid0(VALU_DEP_1) | instskip(SKIP_1) | instid1(VALU_DEP_1)
	v_max_f32_e32 v6, v13, v6
	v_xor_b32_e32 v13, 4, v161
	v_cmp_gt_i32_e32 vcc_lo, 32, v13
	v_cndmask_b32_e32 v13, v161, v13, vcc_lo
	v_cmp_eq_u32_e32 vcc_lo, 0, v25
	s_delay_alu instid0(VALU_DEP_2) | instskip(SKIP_4) | instid1(VALU_DEP_1)
	v_lshlrev_b32_e32 v17, 2, v13
	ds_bpermute_b32 v7, v9, v6
	v_lshlrev_b32_e32 v13, 2, v21
	s_waitcnt lgkmcnt(0)
	v_max_f32_e32 v7, v7, v7
	v_max_f32_e32 v6, v6, v7
	ds_bpermute_b32 v7, v17, v6
	s_and_saveexec_b32 s1, vcc_lo
	s_cbranch_execz .LBB215_534
; %bb.533:
	s_waitcnt lgkmcnt(0)
	v_dual_max_f32 v7, v7, v7 :: v_dual_max_f32 v6, v6, v6
	s_delay_alu instid0(VALU_DEP_1)
	v_max_f32_e32 v6, v6, v7
	ds_store_b32 v13, v6 offset:1024
.LBB215_534:
	s_or_b32 exec_lo, exec_lo, s1
	v_cmp_gt_u32_e64 s1, 4, v25
	v_mov_b32_e32 v6, 0xff7fffff
	v_lshlrev_b32_e32 v16, 2, v25
	s_waitcnt lgkmcnt(0)
	s_barrier
	buffer_gl0_inv
	s_and_saveexec_b32 s2, s1
	s_cbranch_execz .LBB215_536
; %bb.535:
	ds_load_b32 v6, v16 offset:1024
.LBB215_536:
	s_or_b32 exec_lo, exec_lo, s2
	v_xor_b32_e32 v7, 2, v161
	v_xor_b32_e32 v19, 1, v161
	v_subrev_nc_u32_e32 v24, s17, v147
	s_delay_alu instid0(VALU_DEP_3) | instskip(NEXT) | instid1(VALU_DEP_1)
	v_cmp_gt_i32_e64 s2, 32, v7
	v_cndmask_b32_e64 v7, v161, v7, s2
	s_delay_alu instid0(VALU_DEP_4) | instskip(NEXT) | instid1(VALU_DEP_2)
	v_cmp_gt_i32_e64 s2, 32, v19
	v_lshlrev_b32_e32 v18, 2, v7
	s_delay_alu instid0(VALU_DEP_2) | instskip(NEXT) | instid1(VALU_DEP_1)
	v_cndmask_b32_e64 v19, v161, v19, s2
	v_dual_mov_b32 v19, 0 :: v_dual_lshlrev_b32 v28, 2, v19
	s_waitcnt lgkmcnt(0)
	ds_bpermute_b32 v7, v18, v6
	s_waitcnt lgkmcnt(0)
	v_dual_max_f32 v6, v6, v6 :: v_dual_max_f32 v7, v7, v7
	s_delay_alu instid0(VALU_DEP_1) | instskip(SKIP_3) | instid1(VALU_DEP_1)
	v_max_f32_e32 v6, v6, v7
	ds_bpermute_b32 v7, v28, v6
	s_waitcnt lgkmcnt(0)
	v_max_f32_e32 v7, v7, v7
	v_max_f32_e32 v6, v6, v7
	v_lshl_add_u32 v7, v24, 3, s15
	ds_bpermute_b32 v6, v19, v6
	v_min_i32_e32 v7, v7, v134
	s_delay_alu instid0(VALU_DEP_1) | instskip(NEXT) | instid1(VALU_DEP_1)
	v_subrev_nc_u32_e32 v7, s15, v7
	v_cmp_lt_i32_e64 s2, v39, v7
	s_delay_alu instid0(VALU_DEP_1)
	s_and_saveexec_b32 s8, s2
	s_cbranch_execz .LBB215_540
; %bb.537:
	s_getpc_b64 s[18:19]
	s_add_u32 s18, s18, llvm.amdgcn.dynlds.offset.table@rel32@lo+4
	s_addc_u32 s19, s19, llvm.amdgcn.dynlds.offset.table@rel32@hi+12
	s_ashr_i32 s7, s6, 31
	v_mov_b32_e32 v19, 0
	s_lshl_b64 s[20:21], s[6:7], 2
	v_mov_b32_e32 v29, v39
	s_add_u32 s18, s20, s18
	s_addc_u32 s19, s21, s19
	s_mov_b32 s7, 0
	s_load_b32 s3, s[18:19], 0x0
	s_waitcnt lgkmcnt(0)
	v_lshl_add_u32 v24, v39, 2, s3
	.p2align	6
.LBB215_538:                            ; =>This Inner Loop Header: Depth=1
	ds_load_b32 v31, v24
	v_add_nc_u32_e32 v29, 0x80, v29
	s_delay_alu instid0(VALU_DEP_1) | instskip(NEXT) | instid1(VALU_DEP_1)
	v_cmp_ge_i32_e64 s3, v29, v7
	s_or_b32 s7, s3, s7
	s_waitcnt lgkmcnt(0)
	v_sub_f32_e32 v31, v31, v6
	s_delay_alu instid0(VALU_DEP_1) | instskip(NEXT) | instid1(VALU_DEP_1)
	v_mul_f32_e32 v31, 0x3fb8aa3b, v31
	v_exp_f32_e32 v31, v31
	ds_store_b32 v24, v31
	v_dual_add_f32 v19, v19, v31 :: v_dual_add_nc_u32 v24, 0x200, v24
	s_and_not1_b32 exec_lo, exec_lo, s7
	s_cbranch_execnz .LBB215_538
; %bb.539:
	s_or_b32 exec_lo, exec_lo, s7
.LBB215_540:
	s_delay_alu instid0(SALU_CYCLE_1)
	s_or_b32 exec_lo, exec_lo, s8
	ds_bpermute_b32 v8, v8, v19
	s_waitcnt lgkmcnt(0)
	v_add_f32_e32 v8, v19, v8
	ds_bpermute_b32 v9, v9, v8
	s_waitcnt lgkmcnt(0)
	v_add_f32_e32 v8, v8, v9
	;; [unrolled: 3-line block ×5, first 2 shown]
	s_and_saveexec_b32 s3, vcc_lo
	s_cbranch_execz .LBB215_542
; %bb.541:
	ds_store_b32 v13, v8 offset:1040
.LBB215_542:
	s_or_b32 exec_lo, exec_lo, s3
	s_waitcnt lgkmcnt(0)
	s_barrier
	buffer_gl0_inv
	s_and_saveexec_b32 s3, s1
	s_cbranch_execz .LBB215_544
; %bb.543:
	ds_load_b32 v8, v16 offset:1040
.LBB215_544:
	s_or_b32 exec_lo, exec_lo, s3
	s_waitcnt lgkmcnt(0)
	ds_bpermute_b32 v9, v18, v8
	s_waitcnt lgkmcnt(0)
	v_add_f32_e32 v8, v8, v9
	ds_bpermute_b32 v9, v28, v8
	s_waitcnt lgkmcnt(0)
	v_dual_add_f32 v8, v8, v9 :: v_dual_mov_b32 v9, 0
	ds_bpermute_b32 v8, v9, v8
	s_and_saveexec_b32 s1, s2
	s_cbranch_execz .LBB215_547
; %bb.545:
	s_waitcnt lgkmcnt(0)
	v_add_f32_e32 v13, 0x358637bd, v8
	s_getpc_b64 s[2:3]
	s_add_u32 s2, s2, llvm.amdgcn.dynlds.offset.table@rel32@lo+4
	s_addc_u32 s3, s3, llvm.amdgcn.dynlds.offset.table@rel32@hi+12
	s_ashr_i32 s7, s6, 31
	s_delay_alu instid0(SALU_CYCLE_1) | instskip(SKIP_3) | instid1(VALU_DEP_2)
	s_lshl_b64 s[8:9], s[6:7], 2
	v_div_scale_f32 v9, null, v13, v13, 1.0
	v_div_scale_f32 v18, vcc_lo, 1.0, v13, 1.0
	s_add_u32 s2, s8, s2
	v_rcp_f32_e32 v16, v9
	s_addc_u32 s3, s9, s3
	s_load_b32 s2, s[2:3], 0x0
	s_waitcnt_depctr 0xfff
	v_fma_f32 v17, -v9, v16, 1.0
	s_delay_alu instid0(VALU_DEP_1) | instskip(NEXT) | instid1(VALU_DEP_1)
	v_fmac_f32_e32 v16, v17, v16
	v_mul_f32_e32 v17, v18, v16
	s_delay_alu instid0(VALU_DEP_1) | instskip(NEXT) | instid1(VALU_DEP_1)
	v_fma_f32 v19, -v9, v17, v18
	v_fmac_f32_e32 v17, v19, v16
	s_delay_alu instid0(VALU_DEP_1) | instskip(NEXT) | instid1(VALU_DEP_1)
	v_fma_f32 v9, -v9, v17, v18
	v_div_fmas_f32 v16, v9, v16, v17
	s_waitcnt lgkmcnt(0)
	v_lshl_add_u32 v9, v39, 2, s2
	s_mov_b32 s2, 0
	s_delay_alu instid0(VALU_DEP_2)
	v_div_fixup_f32 v13, v16, v13, 1.0
	v_mov_b32_e32 v16, v39
.LBB215_546:                            ; =>This Inner Loop Header: Depth=1
	ds_load_b32 v17, v9
	s_waitcnt lgkmcnt(0)
	v_dual_mul_f32 v17, v13, v17 :: v_dual_add_nc_u32 v16, 0x80, v16
	s_delay_alu instid0(VALU_DEP_1) | instskip(SKIP_3) | instid1(SALU_CYCLE_1)
	v_cmp_ge_i32_e32 vcc_lo, v16, v7
	ds_store_b32 v9, v17
	v_add_nc_u32_e32 v9, 0x200, v9
	s_or_b32 s2, vcc_lo, s2
	s_and_not1_b32 exec_lo, exec_lo, s2
	s_cbranch_execnz .LBB215_546
.LBB215_547:
	s_or_b32 exec_lo, exec_lo, s1
	v_cmp_ne_u16_e64 s1, s5, 0
	s_mov_b32 s5, exec_lo
	s_waitcnt lgkmcnt(0)
	s_barrier
	buffer_gl0_inv
	s_cmp_lg_u32 s1, 0
	s_addc_u32 s1, s13, 0
	s_delay_alu instid0(SALU_CYCLE_1) | instskip(NEXT) | instid1(SALU_CYCLE_1)
	s_mul_i32 s2, s1, s10
	s_mul_i32 s2, s2, s11
	v_cmpx_eq_u32_e32 0, v39
	s_cbranch_execz .LBB215_549
; %bb.548:
	s_mul_i32 s8, s1, s12
	s_ashr_i32 s15, s14, 31
	s_ashr_i32 s9, s8, 31
	;; [unrolled: 1-line block ×3, first 2 shown]
	s_lshl_b64 s[8:9], s[8:9], 2
	s_lshl_b64 s[10:11], s[14:15], 2
	;; [unrolled: 1-line block ×3, first 2 shown]
	s_add_u32 s3, s10, s8
	s_addc_u32 s7, s11, s9
	s_add_u32 s3, s3, s12
	s_addc_u32 s7, s7, s13
	v_add_co_u32 v2, vcc_lo, s3, v2
	v_add_co_ci_u32_e32 v3, vcc_lo, s7, v3, vcc_lo
	v_add_co_u32 v0, vcc_lo, s3, v0
	v_add_co_ci_u32_e32 v1, vcc_lo, s7, v1, vcc_lo
	flat_store_b32 v[2:3], v6
	flat_store_b32 v[0:1], v8
.LBB215_549:
	s_or_b32 exec_lo, exec_lo, s5
	s_ashr_i32 s7, s6, 31
	s_getpc_b64 s[8:9]
	s_add_u32 s8, s8, llvm.amdgcn.dynlds.offset.table@rel32@lo+4
	s_addc_u32 s9, s9, llvm.amdgcn.dynlds.offset.table@rel32@hi+12
	s_lshl_b64 s[6:7], s[6:7], 2
	v_dual_mov_b32 v54, 0 :: v_dual_and_b32 v29, 1, v39
	v_dual_mov_b32 v55, 0 :: v_dual_mov_b32 v52, 0
	v_dual_mov_b32 v53, 0 :: v_dual_mov_b32 v50, 0
	;; [unrolled: 1-line block ×7, first 2 shown]
	v_mov_b32_e32 v31, 0
	s_add_u32 s6, s6, s8
	s_addc_u32 s7, s7, s9
	s_mov_b32 s8, 0
	s_and_saveexec_b32 s3, s0
	s_cbranch_execz .LBB215_1099
; %bb.550:
	v_max_i32_e32 v30, v30, v149
	v_add_co_u32 v3, vcc_lo, v10, v12
	s_load_b32 s0, s[6:7], 0x0
	v_dual_mov_b32 v7, 0 :: v_dual_lshlrev_b32 v2, 2, v39
	s_delay_alu instid0(VALU_DEP_3) | instskip(SKIP_2) | instid1(VALU_DEP_4)
	v_cvt_f32_u32_e32 v0, v30
	v_sub_nc_u32_e32 v10, 0, v30
	v_dual_mov_b32 v32, 0 :: v_dual_lshlrev_b32 v9, 4, v29
	v_dual_mov_b32 v50, 0 :: v_dual_and_b32 v65, 4, v2
	s_delay_alu instid0(VALU_DEP_4)
	v_rcp_iflag_f32_e32 v8, v0
	v_mov_b32_e32 v35, 0
	v_lshlrev_b64 v[0:1], 2, v[112:113]
	v_dual_mov_b32 v53, 0 :: v_dual_and_b32 v2, 0x7c, v2
	v_add_co_ci_u32_e32 v6, vcc_lo, v11, v150, vcc_lo
	v_lshl_or_b32 v13, v21, 5, v9
	s_delay_alu instid0(VALU_DEP_4) | instskip(NEXT) | instid1(TRANS32_DEP_1)
	v_add_co_u32 v0, vcc_lo, v114, v0
	v_mul_f32_e32 v8, 0x4f7ffffe, v8
	v_add_co_ci_u32_e32 v1, vcc_lo, v115, v1, vcc_lo
	v_dual_mov_b32 v31, 0 :: v_dual_add_nc_u32 v64, -1, v23
	s_delay_alu instid0(VALU_DEP_3) | instskip(SKIP_2) | instid1(VALU_DEP_3)
	v_cvt_u32_f32_e32 v12, v8
	v_dual_mov_b32 v33, 0 :: v_dual_mov_b32 v34, 0
	v_dual_mov_b32 v36, 0 :: v_dual_mov_b32 v37, 0
	v_mul_lo_u32 v8, v10, v12
	v_dual_mov_b32 v38, 0 :: v_dual_mov_b32 v49, 0
	v_dual_mov_b32 v48, 0 :: v_dual_mov_b32 v51, 0
	s_waitcnt lgkmcnt(0)
	v_dual_mov_b32 v55, 0 :: v_dual_add_nc_u32 v66, s0, v13
	v_mov_b32_e32 v54, 0
	v_mul_hi_u32 v16, v12, v8
	v_add_co_u32 v8, vcc_lo, v3, v2
	v_add_co_ci_u32_e32 v9, vcc_lo, 0, v6, vcc_lo
	v_add_co_u32 v10, vcc_lo, v14, v0
	v_add_co_ci_u32_e32 v11, vcc_lo, v15, v1, vcc_lo
	v_dual_mov_b32 v52, 0 :: v_dual_add_nc_u32 v67, v12, v16
	s_brev_b32 s9, 1
	s_mov_b32 s11, 0x7f800001
	s_mov_b32 s5, s8
	s_branch .LBB215_553
.LBB215_551:                            ;   in Loop: Header=BB215_553 Depth=1
	s_or_b32 exec_lo, exec_lo, s0
	v_mul_f32_e32 v16, v1, v56
	v_mul_f32_e32 v15, v1, v58
	;; [unrolled: 1-line block ×5, first 2 shown]
	v_fmac_f32_e32 v16, v0, v47
	v_fmac_f32_e32 v15, v0, v57
	v_dual_mul_f32 v19, v1, v180 :: v_dual_fmac_f32 v18, v0, v183
	s_delay_alu instid0(VALU_DEP_4) | instskip(NEXT) | instid1(VALU_DEP_4)
	v_fmac_f32_e32 v68, v0, v167
	v_fmac_f32_e32 v16, v2, v46
	s_delay_alu instid0(VALU_DEP_4) | instskip(SKIP_1) | instid1(VALU_DEP_3)
	v_fmac_f32_e32 v15, v2, v24
	v_fmac_f32_e32 v17, v0, v43
	v_dual_fmac_f32 v19, v0, v179 :: v_dual_fmac_f32 v16, v3, v45
	s_delay_alu instid0(VALU_DEP_3) | instskip(NEXT) | instid1(VALU_DEP_3)
	v_fmac_f32_e32 v15, v3, v23
	v_fmac_f32_e32 v17, v2, v42
	s_delay_alu instid0(VALU_DEP_2) | instskip(NEXT) | instid1(VALU_DEP_2)
	v_dual_add_f32 v33, v33, v16 :: v_dual_add_f32 v32, v32, v15
	v_dual_fmac_f32 v18, v2, v182 :: v_dual_fmac_f32 v17, v3, v41
	v_dual_fmac_f32 v19, v2, v178 :: v_dual_mul_f32 v16, v1, v160
	s_delay_alu instid0(VALU_DEP_2) | instskip(NEXT) | instid1(VALU_DEP_2)
	v_dual_mul_f32 v15, v1, v164 :: v_dual_fmac_f32 v18, v3, v181
	v_dual_fmac_f32 v68, v2, v166 :: v_dual_fmac_f32 v19, v3, v177
	s_delay_alu instid0(VALU_DEP_4) | instskip(NEXT) | instid1(VALU_DEP_3)
	v_add_f32_e32 v34, v34, v17
	v_dual_fmac_f32 v16, v0, v151 :: v_dual_add_f32 v35, v35, v18
	s_delay_alu instid0(VALU_DEP_3) | instskip(NEXT) | instid1(VALU_DEP_4)
	v_fmac_f32_e32 v68, v3, v165
	v_add_f32_e32 v36, v36, v19
	v_mul_f32_e32 v18, v1, v129
	s_delay_alu instid0(VALU_DEP_4) | instskip(SKIP_2) | instid1(VALU_DEP_4)
	v_dual_mul_f32 v19, v1, v117 :: v_dual_fmac_f32 v16, v2, v150
	v_mul_f32_e32 v17, v1, v133
	v_fmac_f32_e32 v15, v0, v163
	v_fmac_f32_e32 v18, v0, v128
	s_delay_alu instid0(VALU_DEP_4)
	v_fmac_f32_e32 v19, v0, v116
	v_add_f32_e32 v37, v37, v68
	v_fmac_f32_e32 v17, v0, v132
	v_dual_fmac_f32 v15, v2, v162 :: v_dual_fmac_f32 v16, v3, v149
	v_fmac_f32_e32 v18, v2, v119
	v_fmac_f32_e32 v19, v2, v115
	s_delay_alu instid0(VALU_DEP_3) | instskip(NEXT) | instid1(VALU_DEP_3)
	v_dual_fmac_f32 v17, v2, v131 :: v_dual_add_f32 v48, v48, v16
	v_fmac_f32_e32 v18, v3, v118
	s_delay_alu instid0(VALU_DEP_3) | instskip(NEXT) | instid1(VALU_DEP_2)
	v_dual_fmac_f32 v19, v3, v114 :: v_dual_mul_f32 v16, v1, v100
	v_dual_fmac_f32 v15, v3, v161 :: v_dual_add_f32 v50, v50, v18
	s_delay_alu instid0(VALU_DEP_4) | instskip(NEXT) | instid1(VALU_DEP_3)
	v_fmac_f32_e32 v17, v3, v130
	v_dual_add_f32 v51, v51, v19 :: v_dual_mul_f32 v18, v1, v80
	s_delay_alu instid0(VALU_DEP_3) | instskip(NEXT) | instid1(VALU_DEP_3)
	v_dual_add_f32 v38, v38, v15 :: v_dual_mul_f32 v15, v1, v113
	v_dual_add_f32 v49, v49, v17 :: v_dual_fmac_f32 v16, v0, v99
	s_delay_alu instid0(VALU_DEP_3) | instskip(NEXT) | instid1(VALU_DEP_2)
	v_dual_fmac_f32 v18, v0, v71 :: v_dual_mul_f32 v17, v1, v96
	v_dual_fmac_f32 v15, v0, v103 :: v_dual_fmac_f32 v16, v2, v98
	s_delay_alu instid0(VALU_DEP_2) | instskip(SKIP_1) | instid1(VALU_DEP_4)
	v_fmac_f32_e32 v18, v2, v70
	v_mul_f32_e32 v1, v1, v14
	v_fmac_f32_e32 v17, v0, v87
	s_delay_alu instid0(VALU_DEP_4) | instskip(NEXT) | instid1(VALU_DEP_4)
	v_dual_fmac_f32 v15, v2, v102 :: v_dual_fmac_f32 v16, v3, v97
	v_fmac_f32_e32 v18, v3, v69
	s_delay_alu instid0(VALU_DEP_4) | instskip(NEXT) | instid1(VALU_DEP_3)
	v_fmac_f32_e32 v1, v0, v13
	v_fmac_f32_e32 v15, v3, v101
	v_fmac_f32_e32 v17, v2, v86
	s_delay_alu instid0(VALU_DEP_4) | instskip(NEXT) | instid1(VALU_DEP_4)
	v_add_f32_e32 v54, v54, v18
	v_fmac_f32_e32 v1, v2, v12
	s_delay_alu instid0(VALU_DEP_4) | instskip(NEXT) | instid1(VALU_DEP_4)
	v_dual_add_f32 v53, v53, v16 :: v_dual_add_f32 v52, v52, v15
	v_fmac_f32_e32 v17, v3, v85
	s_delay_alu instid0(VALU_DEP_3) | instskip(NEXT) | instid1(VALU_DEP_2)
	v_fmac_f32_e32 v1, v3, v6
	v_add_f32_e32 v55, v55, v17
	s_delay_alu instid0(VALU_DEP_2)
	v_add_f32_e32 v31, v31, v1
.LBB215_552:                            ;   in Loop: Header=BB215_553 Depth=1
	s_or_b32 exec_lo, exec_lo, s12
	v_add_nc_u32_e32 v112, 4, v112
	v_add_co_u32 v10, s0, v10, 16
	s_delay_alu instid0(VALU_DEP_1) | instskip(NEXT) | instid1(VALU_DEP_3)
	v_add_co_ci_u32_e64 v11, s0, 0, v11, s0
	v_cmp_ge_i32_e32 vcc_lo, v112, v147
	v_add_nc_u32_e32 v146, 32, v146
	v_add_nc_u32_e32 v66, 0x80, v66
	s_or_b32 s5, vcc_lo, s5
	s_delay_alu instid0(SALU_CYCLE_1)
	s_and_not1_b32 exec_lo, exec_lo, s5
	s_cbranch_execz .LBB215_1098
.LBB215_553:                            ; =>This Inner Loop Header: Depth=1
	v_sub_nc_u32_e32 v0, 0, v146
	s_delay_alu instid0(VALU_DEP_1) | instskip(NEXT) | instid1(VALU_DEP_1)
	v_max_i32_e32 v0, v146, v0
	v_mul_hi_u32 v1, v0, v144
	s_delay_alu instid0(VALU_DEP_1) | instskip(NEXT) | instid1(VALU_DEP_1)
	v_mul_lo_u32 v2, v1, v135
	v_sub_nc_u32_e32 v0, v0, v2
	v_add_nc_u32_e32 v2, 1, v1
	s_delay_alu instid0(VALU_DEP_2) | instskip(SKIP_1) | instid1(VALU_DEP_2)
	v_sub_nc_u32_e32 v3, v0, v135
	v_cmp_ge_u32_e32 vcc_lo, v0, v135
	v_dual_cndmask_b32 v1, v1, v2 :: v_dual_cndmask_b32 v0, v0, v3
	v_ashrrev_i32_e32 v2, 31, v146
	s_delay_alu instid0(VALU_DEP_2) | instskip(NEXT) | instid1(VALU_DEP_3)
	v_add_nc_u32_e32 v3, 1, v1
	v_cmp_ge_u32_e32 vcc_lo, v0, v135
	s_delay_alu instid0(VALU_DEP_3) | instskip(NEXT) | instid1(VALU_DEP_3)
	v_xor_b32_e32 v2, v2, v145
	v_cndmask_b32_e32 v0, v1, v3, vcc_lo
	s_delay_alu instid0(VALU_DEP_1) | instskip(NEXT) | instid1(VALU_DEP_1)
	v_xor_b32_e32 v0, v0, v2
	v_sub_nc_u32_e32 v0, v0, v2
	s_delay_alu instid0(VALU_DEP_1) | instskip(SKIP_1) | instid1(VALU_DEP_2)
	v_add_nc_u32_e32 v1, v0, v20
	v_cmp_gt_i32_e64 s0, v0, v148
	v_sub_nc_u32_e32 v2, 0, v1
	s_delay_alu instid0(VALU_DEP_1) | instskip(NEXT) | instid1(VALU_DEP_1)
	v_max_i32_e32 v2, v1, v2
	v_mul_hi_u32 v3, v2, v67
	s_delay_alu instid0(VALU_DEP_1) | instskip(NEXT) | instid1(VALU_DEP_1)
	v_mul_lo_u32 v3, v3, v30
	v_sub_nc_u32_e32 v2, v2, v3
	s_delay_alu instid0(VALU_DEP_1) | instskip(SKIP_1) | instid1(VALU_DEP_2)
	v_sub_nc_u32_e32 v3, v2, v30
	v_cmp_ge_u32_e32 vcc_lo, v2, v30
	v_cndmask_b32_e32 v2, v2, v3, vcc_lo
	v_ashrrev_i32_e32 v1, 31, v1
	s_delay_alu instid0(VALU_DEP_2) | instskip(SKIP_1) | instid1(VALU_DEP_2)
	v_sub_nc_u32_e32 v3, v2, v30
	v_cmp_ge_u32_e32 vcc_lo, v2, v30
	v_cndmask_b32_e32 v2, v2, v3, vcc_lo
	s_delay_alu instid0(VALU_DEP_1) | instskip(NEXT) | instid1(VALU_DEP_1)
	v_xor_b32_e32 v2, v2, v1
	v_sub_nc_u32_e32 v1, v2, v1
	s_delay_alu instid0(VALU_DEP_1) | instskip(SKIP_1) | instid1(SALU_CYCLE_1)
	v_cmp_eq_u32_e32 vcc_lo, 0, v1
	s_or_b32 s0, vcc_lo, s0
	s_and_saveexec_b32 s12, s0
	s_cbranch_execz .LBB215_552
; %bb.554:                              ;   in Loop: Header=BB215_553 Depth=1
	flat_load_b32 v0, v[10:11]
	v_mov_b32_e32 v16, 0
	s_mov_b32 s0, exec_lo
	s_waitcnt vmcnt(0) lgkmcnt(0)
	v_mad_i64_i32 v[12:13], null, v0, v22, v[8:9]
	flat_load_b32 v69, v[12:13]
	flat_load_b32 v68, v[26:27]
	ds_load_b128 v[0:3], v66
	s_waitcnt vmcnt(1) lgkmcnt(2)
	v_dual_mov_b32 v17, 0 :: v_dual_and_b32 v6, 0xff, v69
	s_delay_alu instid0(VALU_DEP_1) | instskip(NEXT) | instid1(VALU_DEP_2)
	v_dual_mov_b32 v14, v16 :: v_dual_mov_b32 v15, v17
	v_cmpx_ne_u16_e32 0, v6
	s_cbranch_execz .LBB215_562
; %bb.555:                              ;   in Loop: Header=BB215_553 Depth=1
	v_bfrev_b32_e32 v14, 1
	v_mov_b32_e32 v15, 0
	s_mov_b32 s10, exec_lo
	v_cmpx_ne_u16_e32 0x80, v6
	s_cbranch_execz .LBB215_561
; %bb.556:                              ;   in Loop: Header=BB215_553 Depth=1
	v_mov_b32_e32 v14, 0x7f800001
	v_dual_mov_b32 v15, 0 :: v_dual_and_b32 v18, 0x7f, v69
	s_mov_b32 s13, exec_lo
	s_delay_alu instid0(VALU_DEP_1)
	v_cmpx_ne_u32_e32 0x7f, v18
	s_cbranch_execz .LBB215_560
; %bb.557:                              ;   in Loop: Header=BB215_553 Depth=1
	v_and_b32_e32 v6, 7, v69
	v_lshrrev_b32_e32 v14, 3, v18
	s_mov_b32 s15, exec_lo
	v_cmpx_gt_u32_e32 8, v18
; %bb.558:                              ;   in Loop: Header=BB215_553 Depth=1
	s_delay_alu instid0(VALU_DEP_3) | instskip(NEXT) | instid1(VALU_DEP_1)
	v_clz_i32_u32_e32 v14, v6
	v_min_u32_e32 v14, 32, v14
	s_delay_alu instid0(VALU_DEP_1) | instskip(SKIP_1) | instid1(VALU_DEP_2)
	v_subrev_nc_u32_e32 v15, 28, v14
	v_sub_nc_u32_e32 v14, 29, v14
	v_lshlrev_b64 v[18:19], v15, v[6:7]
	s_delay_alu instid0(VALU_DEP_1)
	v_and_b32_e32 v6, 7, v18
; %bb.559:                              ;   in Loop: Header=BB215_553 Depth=1
	s_or_b32 exec_lo, exec_lo, s15
	v_lshlrev_b32_e32 v15, 24, v69
	s_delay_alu instid0(VALU_DEP_2) | instskip(SKIP_1) | instid1(VALU_DEP_3)
	v_lshlrev_b32_e32 v6, 20, v6
	v_lshl_add_u32 v14, v14, 23, 0x3c000000
	v_and_b32_e32 v15, 0x80000000, v15
	s_delay_alu instid0(VALU_DEP_1) | instskip(NEXT) | instid1(VALU_DEP_1)
	v_or3_b32 v6, v6, v15, v14
	v_dual_mov_b32 v15, v7 :: v_dual_mov_b32 v14, v6
.LBB215_560:                            ;   in Loop: Header=BB215_553 Depth=1
	s_or_b32 exec_lo, exec_lo, s13
.LBB215_561:                            ;   in Loop: Header=BB215_553 Depth=1
	s_delay_alu instid0(SALU_CYCLE_1)
	s_or_b32 exec_lo, exec_lo, s10
.LBB215_562:                            ;   in Loop: Header=BB215_553 Depth=1
	s_delay_alu instid0(SALU_CYCLE_1) | instskip(SKIP_2) | instid1(VALU_DEP_1)
	s_or_b32 exec_lo, exec_lo, s0
	v_lshrrev_b16 v6, 8, v69
	s_mov_b32 s0, exec_lo
	v_cmpx_ne_u16_e32 0, v6
	s_cbranch_execz .LBB215_570
; %bb.563:                              ;   in Loop: Header=BB215_553 Depth=1
	v_dual_mov_b32 v17, s9 :: v_dual_mov_b32 v16, s8
	s_mov_b32 s13, exec_lo
	v_cmpx_ne_u16_e32 0x80, v6
	s_cbranch_execz .LBB215_569
; %bb.564:                              ;   in Loop: Header=BB215_553 Depth=1
	s_mov_b32 s10, s8
	v_dual_mov_b32 v17, s11 :: v_dual_and_b32 v6, 0xffff, v6
	v_mov_b32_e32 v16, s10
	s_mov_b32 s10, exec_lo
	s_delay_alu instid0(VALU_DEP_2) | instskip(NEXT) | instid1(VALU_DEP_1)
	v_and_b32_e32 v18, 0x7f, v6
	v_cmpx_ne_u32_e32 0x7f, v18
	s_cbranch_execz .LBB215_568
; %bb.565:                              ;   in Loop: Header=BB215_553 Depth=1
	v_and_b32_e32 v6, 7, v6
	v_lshrrev_b32_e32 v16, 3, v18
	s_mov_b32 s15, exec_lo
	v_cmpx_gt_u32_e32 8, v18
; %bb.566:                              ;   in Loop: Header=BB215_553 Depth=1
	s_delay_alu instid0(VALU_DEP_3) | instskip(NEXT) | instid1(VALU_DEP_1)
	v_clz_i32_u32_e32 v16, v6
	v_min_u32_e32 v16, 32, v16
	s_delay_alu instid0(VALU_DEP_1) | instskip(SKIP_1) | instid1(VALU_DEP_2)
	v_subrev_nc_u32_e32 v17, 28, v16
	v_sub_nc_u32_e32 v16, 29, v16
	v_lshlrev_b64 v[17:18], v17, v[6:7]
	s_delay_alu instid0(VALU_DEP_1)
	v_and_b32_e32 v6, 7, v17
; %bb.567:                              ;   in Loop: Header=BB215_553 Depth=1
	s_or_b32 exec_lo, exec_lo, s15
	v_lshlrev_b32_e32 v17, 16, v69
	s_delay_alu instid0(VALU_DEP_2) | instskip(SKIP_1) | instid1(VALU_DEP_3)
	v_lshlrev_b32_e32 v6, 20, v6
	v_lshl_add_u32 v16, v16, 23, 0x3c000000
	v_and_b32_e32 v17, 0x80000000, v17
	s_delay_alu instid0(VALU_DEP_1)
	v_or3_b32 v17, v6, v17, v16
	v_mov_b32_e32 v16, v7
.LBB215_568:                            ;   in Loop: Header=BB215_553 Depth=1
	s_or_b32 exec_lo, exec_lo, s10
.LBB215_569:                            ;   in Loop: Header=BB215_553 Depth=1
	s_delay_alu instid0(SALU_CYCLE_1)
	s_or_b32 exec_lo, exec_lo, s13
.LBB215_570:                            ;   in Loop: Header=BB215_553 Depth=1
	s_delay_alu instid0(SALU_CYCLE_1) | instskip(SKIP_3) | instid1(VALU_DEP_2)
	s_or_b32 exec_lo, exec_lo, s0
	v_lshrrev_b32_e32 v70, 16, v69
	v_mov_b32_e32 v23, 0
	v_mov_b32_e32 v24, 0
	;; [unrolled: 1-line block ×3, first 2 shown]
	s_mov_b32 s0, exec_lo
	s_delay_alu instid0(VALU_DEP_2) | instskip(NEXT) | instid1(VALU_DEP_1)
	v_dual_mov_b32 v19, v24 :: v_dual_and_b32 v6, 0xff, v70
	v_cmpx_ne_u16_e32 0, v6
	s_cbranch_execz .LBB215_578
; %bb.571:                              ;   in Loop: Header=BB215_553 Depth=1
	v_bfrev_b32_e32 v18, 1
	v_mov_b32_e32 v19, 0
	s_mov_b32 s10, exec_lo
	v_cmpx_ne_u16_e32 0x80, v6
	s_cbranch_execz .LBB215_577
; %bb.572:                              ;   in Loop: Header=BB215_553 Depth=1
	v_mov_b32_e32 v18, 0x7f800001
	v_bfe_u32 v71, v69, 16, 7
	v_mov_b32_e32 v19, 0
	s_mov_b32 s13, exec_lo
	s_delay_alu instid0(VALU_DEP_2)
	v_cmpx_ne_u32_e32 0x7f, v71
	s_cbranch_execz .LBB215_576
; %bb.573:                              ;   in Loop: Header=BB215_553 Depth=1
	v_and_b32_e32 v6, 7, v70
	v_lshrrev_b32_e32 v18, 3, v71
	s_mov_b32 s15, exec_lo
	v_cmpx_gt_u32_e32 8, v71
; %bb.574:                              ;   in Loop: Header=BB215_553 Depth=1
	s_delay_alu instid0(VALU_DEP_3) | instskip(NEXT) | instid1(VALU_DEP_1)
	v_clz_i32_u32_e32 v18, v6
	v_min_u32_e32 v18, 32, v18
	s_delay_alu instid0(VALU_DEP_1) | instskip(SKIP_1) | instid1(VALU_DEP_2)
	v_subrev_nc_u32_e32 v19, 28, v18
	v_sub_nc_u32_e32 v18, 29, v18
	v_lshlrev_b64 v[80:81], v19, v[6:7]
	s_delay_alu instid0(VALU_DEP_1)
	v_and_b32_e32 v6, 7, v80
; %bb.575:                              ;   in Loop: Header=BB215_553 Depth=1
	s_or_b32 exec_lo, exec_lo, s15
	v_lshlrev_b32_e32 v19, 24, v70
	s_delay_alu instid0(VALU_DEP_2) | instskip(SKIP_1) | instid1(VALU_DEP_3)
	v_lshlrev_b32_e32 v6, 20, v6
	v_lshl_add_u32 v18, v18, 23, 0x3c000000
	v_and_b32_e32 v19, 0x80000000, v19
	s_delay_alu instid0(VALU_DEP_1) | instskip(NEXT) | instid1(VALU_DEP_1)
	v_or3_b32 v6, v6, v19, v18
	v_dual_mov_b32 v19, v7 :: v_dual_mov_b32 v18, v6
.LBB215_576:                            ;   in Loop: Header=BB215_553 Depth=1
	s_or_b32 exec_lo, exec_lo, s13
.LBB215_577:                            ;   in Loop: Header=BB215_553 Depth=1
	s_delay_alu instid0(SALU_CYCLE_1)
	s_or_b32 exec_lo, exec_lo, s10
.LBB215_578:                            ;   in Loop: Header=BB215_553 Depth=1
	s_delay_alu instid0(SALU_CYCLE_1) | instskip(NEXT) | instid1(SALU_CYCLE_1)
	s_or_b32 exec_lo, exec_lo, s0
	s_mov_b32 s0, exec_lo
	v_cmpx_lt_u32_e32 0xffffff, v69
	s_cbranch_execz .LBB215_586
; %bb.579:                              ;   in Loop: Header=BB215_553 Depth=1
	v_lshrrev_b32_e32 v70, 24, v69
	v_dual_mov_b32 v24, s9 :: v_dual_mov_b32 v23, s8
	s_mov_b32 s13, exec_lo
	s_delay_alu instid0(VALU_DEP_2)
	v_cmpx_ne_u32_e32 0x80, v70
	s_cbranch_execz .LBB215_585
; %bb.580:                              ;   in Loop: Header=BB215_553 Depth=1
	s_mov_b32 s10, s8
	v_bfe_u32 v69, v69, 24, 7
	v_dual_mov_b32 v24, s11 :: v_dual_mov_b32 v23, s10
	s_mov_b32 s10, exec_lo
	s_delay_alu instid0(VALU_DEP_2)
	v_cmpx_ne_u32_e32 0x7f, v69
	s_cbranch_execz .LBB215_584
; %bb.581:                              ;   in Loop: Header=BB215_553 Depth=1
	v_and_b32_e32 v6, 7, v70
	v_lshrrev_b32_e32 v23, 3, v69
	s_mov_b32 s15, exec_lo
	v_cmpx_gt_u32_e32 8, v69
; %bb.582:                              ;   in Loop: Header=BB215_553 Depth=1
	s_delay_alu instid0(VALU_DEP_3) | instskip(NEXT) | instid1(VALU_DEP_1)
	v_clz_i32_u32_e32 v23, v6
	v_min_u32_e32 v23, 32, v23
	s_delay_alu instid0(VALU_DEP_1) | instskip(SKIP_1) | instid1(VALU_DEP_2)
	v_subrev_nc_u32_e32 v24, 28, v23
	v_sub_nc_u32_e32 v23, 29, v23
	v_lshlrev_b64 v[80:81], v24, v[6:7]
	s_delay_alu instid0(VALU_DEP_1)
	v_and_b32_e32 v6, 7, v80
; %bb.583:                              ;   in Loop: Header=BB215_553 Depth=1
	s_or_b32 exec_lo, exec_lo, s15
	v_lshlrev_b32_e32 v24, 24, v70
	s_delay_alu instid0(VALU_DEP_2) | instskip(SKIP_1) | instid1(VALU_DEP_3)
	v_lshlrev_b32_e32 v6, 20, v6
	v_lshl_add_u32 v23, v23, 23, 0x3c000000
	v_and_b32_e32 v24, 0x80000000, v24
	s_delay_alu instid0(VALU_DEP_1)
	v_or3_b32 v24, v6, v24, v23
	v_mov_b32_e32 v23, v7
.LBB215_584:                            ;   in Loop: Header=BB215_553 Depth=1
	s_or_b32 exec_lo, exec_lo, s10
.LBB215_585:                            ;   in Loop: Header=BB215_553 Depth=1
	s_delay_alu instid0(SALU_CYCLE_1)
	s_or_b32 exec_lo, exec_lo, s13
.LBB215_586:                            ;   in Loop: Header=BB215_553 Depth=1
	s_delay_alu instid0(SALU_CYCLE_1)
	s_or_b32 exec_lo, exec_lo, s0
	v_or_b32_e32 v6, v17, v15
	v_or_b32_e32 v14, v16, v14
	;; [unrolled: 1-line block ×4, first 2 shown]
	v_add_nc_u32_e32 v81, v65, v146
	v_cmp_eq_u32_e32 vcc_lo, v64, v112
	s_waitcnt vmcnt(0) lgkmcnt(1)
	s_delay_alu instid0(VALU_DEP_3) | instskip(NEXT) | instid1(VALU_DEP_3)
	v_mul_f32_e32 v70, v68, v16
	v_dual_mul_f32 v80, v68, v6 :: v_dual_add_nc_u32 v83, 2, v81
	v_dual_mul_f32 v71, v68, v14 :: v_dual_add_nc_u32 v84, 1, v81
	;; [unrolled: 1-line block ×3, first 2 shown]
	s_and_saveexec_b32 s10, vcc_lo
; %bb.587:                              ;   in Loop: Header=BB215_553 Depth=1
	v_cmp_lt_i32_e64 s0, v81, v134
	s_delay_alu instid0(VALU_DEP_1) | instskip(SKIP_1) | instid1(VALU_DEP_1)
	v_cndmask_b32_e64 v71, 0, v71, s0
	v_cmp_lt_i32_e64 s0, v84, v134
	v_cndmask_b32_e64 v80, 0, v80, s0
	v_cmp_lt_i32_e64 s0, v83, v134
	s_delay_alu instid0(VALU_DEP_1) | instskip(SKIP_1) | instid1(VALU_DEP_1)
	v_cndmask_b32_e64 v70, 0, v70, s0
	v_cmp_lt_i32_e64 s0, v82, v134
	v_cndmask_b32_e64 v69, 0, v69, s0
; %bb.588:                              ;   in Loop: Header=BB215_553 Depth=1
	s_or_b32 exec_lo, exec_lo, s10
	flat_load_b32 v85, v[12:13] offset:128
	v_mov_b32_e32 v16, 0
	v_mov_b32_e32 v17, 0
	s_mov_b32 s10, exec_lo
	s_waitcnt vmcnt(0) lgkmcnt(0)
	v_and_b32_e32 v6, 0xff, v85
	s_delay_alu instid0(VALU_DEP_2) | instskip(NEXT) | instid1(VALU_DEP_2)
	v_dual_mov_b32 v14, v16 :: v_dual_mov_b32 v15, v17
	v_cmpx_ne_u16_e32 0, v6
	s_cbranch_execz .LBB215_596
; %bb.589:                              ;   in Loop: Header=BB215_553 Depth=1
	v_bfrev_b32_e32 v14, 1
	v_mov_b32_e32 v15, 0
	s_mov_b32 s13, exec_lo
	v_cmpx_ne_u16_e32 0x80, v6
	s_cbranch_execz .LBB215_595
; %bb.590:                              ;   in Loop: Header=BB215_553 Depth=1
	v_mov_b32_e32 v14, 0x7f800001
	v_dual_mov_b32 v15, 0 :: v_dual_and_b32 v18, 0x7f, v85
	s_mov_b32 s15, exec_lo
	s_delay_alu instid0(VALU_DEP_1)
	v_cmpx_ne_u32_e32 0x7f, v18
	s_cbranch_execz .LBB215_594
; %bb.591:                              ;   in Loop: Header=BB215_553 Depth=1
	v_and_b32_e32 v6, 7, v85
	v_lshrrev_b32_e32 v14, 3, v18
	s_mov_b32 s17, exec_lo
	v_cmpx_gt_u32_e32 8, v18
; %bb.592:                              ;   in Loop: Header=BB215_553 Depth=1
	s_delay_alu instid0(VALU_DEP_3) | instskip(NEXT) | instid1(VALU_DEP_1)
	v_clz_i32_u32_e32 v14, v6
	v_min_u32_e32 v14, 32, v14
	s_delay_alu instid0(VALU_DEP_1) | instskip(SKIP_1) | instid1(VALU_DEP_2)
	v_subrev_nc_u32_e32 v15, 28, v14
	v_sub_nc_u32_e32 v14, 29, v14
	v_lshlrev_b64 v[18:19], v15, v[6:7]
	s_delay_alu instid0(VALU_DEP_1)
	v_and_b32_e32 v6, 7, v18
; %bb.593:                              ;   in Loop: Header=BB215_553 Depth=1
	s_or_b32 exec_lo, exec_lo, s17
	v_lshlrev_b32_e32 v15, 24, v85
	s_delay_alu instid0(VALU_DEP_2) | instskip(SKIP_1) | instid1(VALU_DEP_3)
	v_lshlrev_b32_e32 v6, 20, v6
	v_lshl_add_u32 v14, v14, 23, 0x3c000000
	v_and_b32_e32 v15, 0x80000000, v15
	s_delay_alu instid0(VALU_DEP_1) | instskip(NEXT) | instid1(VALU_DEP_1)
	v_or3_b32 v6, v6, v15, v14
	v_dual_mov_b32 v15, v7 :: v_dual_mov_b32 v14, v6
.LBB215_594:                            ;   in Loop: Header=BB215_553 Depth=1
	s_or_b32 exec_lo, exec_lo, s15
.LBB215_595:                            ;   in Loop: Header=BB215_553 Depth=1
	s_delay_alu instid0(SALU_CYCLE_1)
	s_or_b32 exec_lo, exec_lo, s13
.LBB215_596:                            ;   in Loop: Header=BB215_553 Depth=1
	s_delay_alu instid0(SALU_CYCLE_1) | instskip(SKIP_2) | instid1(VALU_DEP_1)
	s_or_b32 exec_lo, exec_lo, s10
	v_lshrrev_b16 v6, 8, v85
	s_mov_b32 s13, exec_lo
	v_cmpx_ne_u16_e32 0, v6
	s_cbranch_execz .LBB215_604
; %bb.597:                              ;   in Loop: Header=BB215_553 Depth=1
	v_dual_mov_b32 v17, s9 :: v_dual_mov_b32 v16, s8
	s_mov_b32 s15, exec_lo
	v_cmpx_ne_u16_e32 0x80, v6
	s_cbranch_execz .LBB215_603
; %bb.598:                              ;   in Loop: Header=BB215_553 Depth=1
	s_mov_b32 s10, s8
	v_dual_mov_b32 v17, s11 :: v_dual_and_b32 v6, 0xffff, v6
	v_mov_b32_e32 v16, s10
	s_mov_b32 s10, exec_lo
	s_delay_alu instid0(VALU_DEP_2) | instskip(NEXT) | instid1(VALU_DEP_1)
	v_and_b32_e32 v18, 0x7f, v6
	v_cmpx_ne_u32_e32 0x7f, v18
	s_cbranch_execz .LBB215_602
; %bb.599:                              ;   in Loop: Header=BB215_553 Depth=1
	v_and_b32_e32 v6, 7, v6
	v_lshrrev_b32_e32 v16, 3, v18
	s_mov_b32 s17, exec_lo
	v_cmpx_gt_u32_e32 8, v18
; %bb.600:                              ;   in Loop: Header=BB215_553 Depth=1
	s_delay_alu instid0(VALU_DEP_3) | instskip(NEXT) | instid1(VALU_DEP_1)
	v_clz_i32_u32_e32 v16, v6
	v_min_u32_e32 v16, 32, v16
	s_delay_alu instid0(VALU_DEP_1) | instskip(SKIP_1) | instid1(VALU_DEP_2)
	v_subrev_nc_u32_e32 v17, 28, v16
	v_sub_nc_u32_e32 v16, 29, v16
	v_lshlrev_b64 v[17:18], v17, v[6:7]
	s_delay_alu instid0(VALU_DEP_1)
	v_and_b32_e32 v6, 7, v17
; %bb.601:                              ;   in Loop: Header=BB215_553 Depth=1
	s_or_b32 exec_lo, exec_lo, s17
	v_lshlrev_b32_e32 v17, 16, v85
	s_delay_alu instid0(VALU_DEP_2) | instskip(SKIP_1) | instid1(VALU_DEP_3)
	v_lshlrev_b32_e32 v6, 20, v6
	v_lshl_add_u32 v16, v16, 23, 0x3c000000
	v_and_b32_e32 v17, 0x80000000, v17
	s_delay_alu instid0(VALU_DEP_1)
	v_or3_b32 v17, v6, v17, v16
	v_mov_b32_e32 v16, v7
.LBB215_602:                            ;   in Loop: Header=BB215_553 Depth=1
	s_or_b32 exec_lo, exec_lo, s10
.LBB215_603:                            ;   in Loop: Header=BB215_553 Depth=1
	s_delay_alu instid0(SALU_CYCLE_1)
	s_or_b32 exec_lo, exec_lo, s15
.LBB215_604:                            ;   in Loop: Header=BB215_553 Depth=1
	s_delay_alu instid0(SALU_CYCLE_1) | instskip(SKIP_3) | instid1(VALU_DEP_2)
	s_or_b32 exec_lo, exec_lo, s13
	v_lshrrev_b32_e32 v86, 16, v85
	v_mov_b32_e32 v23, 0
	v_mov_b32_e32 v24, 0
	;; [unrolled: 1-line block ×3, first 2 shown]
	s_mov_b32 s10, exec_lo
	s_delay_alu instid0(VALU_DEP_2) | instskip(NEXT) | instid1(VALU_DEP_1)
	v_dual_mov_b32 v19, v24 :: v_dual_and_b32 v6, 0xff, v86
	v_cmpx_ne_u16_e32 0, v6
	s_cbranch_execz .LBB215_612
; %bb.605:                              ;   in Loop: Header=BB215_553 Depth=1
	v_bfrev_b32_e32 v18, 1
	v_mov_b32_e32 v19, 0
	s_mov_b32 s13, exec_lo
	v_cmpx_ne_u16_e32 0x80, v6
	s_cbranch_execz .LBB215_611
; %bb.606:                              ;   in Loop: Header=BB215_553 Depth=1
	v_mov_b32_e32 v18, 0x7f800001
	v_bfe_u32 v87, v85, 16, 7
	v_mov_b32_e32 v19, 0
	s_mov_b32 s15, exec_lo
	s_delay_alu instid0(VALU_DEP_2)
	v_cmpx_ne_u32_e32 0x7f, v87
	s_cbranch_execz .LBB215_610
; %bb.607:                              ;   in Loop: Header=BB215_553 Depth=1
	v_and_b32_e32 v6, 7, v86
	v_lshrrev_b32_e32 v18, 3, v87
	s_mov_b32 s17, exec_lo
	v_cmpx_gt_u32_e32 8, v87
; %bb.608:                              ;   in Loop: Header=BB215_553 Depth=1
	s_delay_alu instid0(VALU_DEP_3) | instskip(NEXT) | instid1(VALU_DEP_1)
	v_clz_i32_u32_e32 v18, v6
	v_min_u32_e32 v18, 32, v18
	s_delay_alu instid0(VALU_DEP_1) | instskip(SKIP_1) | instid1(VALU_DEP_2)
	v_subrev_nc_u32_e32 v19, 28, v18
	v_sub_nc_u32_e32 v18, 29, v18
	v_lshlrev_b64 v[96:97], v19, v[6:7]
	s_delay_alu instid0(VALU_DEP_1)
	v_and_b32_e32 v6, 7, v96
; %bb.609:                              ;   in Loop: Header=BB215_553 Depth=1
	s_or_b32 exec_lo, exec_lo, s17
	v_lshlrev_b32_e32 v19, 24, v86
	s_delay_alu instid0(VALU_DEP_2) | instskip(SKIP_1) | instid1(VALU_DEP_3)
	v_lshlrev_b32_e32 v6, 20, v6
	v_lshl_add_u32 v18, v18, 23, 0x3c000000
	v_and_b32_e32 v19, 0x80000000, v19
	s_delay_alu instid0(VALU_DEP_1) | instskip(NEXT) | instid1(VALU_DEP_1)
	v_or3_b32 v6, v6, v19, v18
	v_dual_mov_b32 v19, v7 :: v_dual_mov_b32 v18, v6
.LBB215_610:                            ;   in Loop: Header=BB215_553 Depth=1
	s_or_b32 exec_lo, exec_lo, s15
.LBB215_611:                            ;   in Loop: Header=BB215_553 Depth=1
	s_delay_alu instid0(SALU_CYCLE_1)
	s_or_b32 exec_lo, exec_lo, s13
.LBB215_612:                            ;   in Loop: Header=BB215_553 Depth=1
	s_delay_alu instid0(SALU_CYCLE_1) | instskip(NEXT) | instid1(SALU_CYCLE_1)
	s_or_b32 exec_lo, exec_lo, s10
	s_mov_b32 s13, exec_lo
	v_cmpx_lt_u32_e32 0xffffff, v85
	s_cbranch_execz .LBB215_620
; %bb.613:                              ;   in Loop: Header=BB215_553 Depth=1
	v_lshrrev_b32_e32 v86, 24, v85
	v_dual_mov_b32 v24, s9 :: v_dual_mov_b32 v23, s8
	s_mov_b32 s15, exec_lo
	s_delay_alu instid0(VALU_DEP_2)
	v_cmpx_ne_u32_e32 0x80, v86
	s_cbranch_execz .LBB215_619
; %bb.614:                              ;   in Loop: Header=BB215_553 Depth=1
	s_mov_b32 s10, s8
	v_bfe_u32 v85, v85, 24, 7
	v_dual_mov_b32 v24, s11 :: v_dual_mov_b32 v23, s10
	s_mov_b32 s10, exec_lo
	s_delay_alu instid0(VALU_DEP_2)
	v_cmpx_ne_u32_e32 0x7f, v85
	s_cbranch_execz .LBB215_618
; %bb.615:                              ;   in Loop: Header=BB215_553 Depth=1
	v_and_b32_e32 v6, 7, v86
	v_lshrrev_b32_e32 v23, 3, v85
	s_mov_b32 s17, exec_lo
	v_cmpx_gt_u32_e32 8, v85
; %bb.616:                              ;   in Loop: Header=BB215_553 Depth=1
	s_delay_alu instid0(VALU_DEP_3) | instskip(NEXT) | instid1(VALU_DEP_1)
	v_clz_i32_u32_e32 v23, v6
	v_min_u32_e32 v23, 32, v23
	s_delay_alu instid0(VALU_DEP_1) | instskip(SKIP_1) | instid1(VALU_DEP_2)
	v_subrev_nc_u32_e32 v24, 28, v23
	v_sub_nc_u32_e32 v23, 29, v23
	v_lshlrev_b64 v[96:97], v24, v[6:7]
	s_delay_alu instid0(VALU_DEP_1)
	v_and_b32_e32 v6, 7, v96
; %bb.617:                              ;   in Loop: Header=BB215_553 Depth=1
	s_or_b32 exec_lo, exec_lo, s17
	v_lshlrev_b32_e32 v24, 24, v86
	s_delay_alu instid0(VALU_DEP_2) | instskip(SKIP_1) | instid1(VALU_DEP_3)
	v_lshlrev_b32_e32 v6, 20, v6
	v_lshl_add_u32 v23, v23, 23, 0x3c000000
	v_and_b32_e32 v24, 0x80000000, v24
	s_delay_alu instid0(VALU_DEP_1)
	v_or3_b32 v24, v6, v24, v23
	v_mov_b32_e32 v23, v7
.LBB215_618:                            ;   in Loop: Header=BB215_553 Depth=1
	s_or_b32 exec_lo, exec_lo, s10
.LBB215_619:                            ;   in Loop: Header=BB215_553 Depth=1
	s_delay_alu instid0(SALU_CYCLE_1)
	s_or_b32 exec_lo, exec_lo, s15
.LBB215_620:                            ;   in Loop: Header=BB215_553 Depth=1
	s_delay_alu instid0(SALU_CYCLE_1) | instskip(SKIP_4) | instid1(VALU_DEP_4)
	s_or_b32 exec_lo, exec_lo, s13
	v_or_b32_e32 v6, v17, v15
	v_or_b32_e32 v14, v16, v14
	;; [unrolled: 1-line block ×4, first 2 shown]
	v_mul_f32_e32 v96, v68, v6
	s_delay_alu instid0(VALU_DEP_4) | instskip(NEXT) | instid1(VALU_DEP_4)
	v_mul_f32_e32 v87, v68, v14
	v_mul_f32_e32 v85, v68, v15
	s_delay_alu instid0(VALU_DEP_4)
	v_mul_f32_e32 v86, v68, v16
	s_and_saveexec_b32 s10, vcc_lo
; %bb.621:                              ;   in Loop: Header=BB215_553 Depth=1
	v_cmp_lt_i32_e64 s0, v81, v134
	s_delay_alu instid0(VALU_DEP_1) | instskip(SKIP_1) | instid1(VALU_DEP_1)
	v_cndmask_b32_e64 v87, 0, v87, s0
	v_cmp_lt_i32_e64 s0, v84, v134
	v_cndmask_b32_e64 v96, 0, v96, s0
	v_cmp_lt_i32_e64 s0, v83, v134
	s_delay_alu instid0(VALU_DEP_1) | instskip(SKIP_1) | instid1(VALU_DEP_1)
	v_cndmask_b32_e64 v86, 0, v86, s0
	v_cmp_lt_i32_e64 s0, v82, v134
	v_cndmask_b32_e64 v85, 0, v85, s0
; %bb.622:                              ;   in Loop: Header=BB215_553 Depth=1
	s_or_b32 exec_lo, exec_lo, s10
	flat_load_b32 v97, v[12:13] offset:256
	v_mov_b32_e32 v16, 0
	v_mov_b32_e32 v17, 0
	s_mov_b32 s10, exec_lo
	s_waitcnt vmcnt(0) lgkmcnt(0)
	v_and_b32_e32 v6, 0xff, v97
	s_delay_alu instid0(VALU_DEP_2) | instskip(NEXT) | instid1(VALU_DEP_2)
	v_dual_mov_b32 v14, v16 :: v_dual_mov_b32 v15, v17
	v_cmpx_ne_u16_e32 0, v6
	s_cbranch_execz .LBB215_630
; %bb.623:                              ;   in Loop: Header=BB215_553 Depth=1
	v_bfrev_b32_e32 v14, 1
	v_mov_b32_e32 v15, 0
	s_mov_b32 s13, exec_lo
	v_cmpx_ne_u16_e32 0x80, v6
	s_cbranch_execz .LBB215_629
; %bb.624:                              ;   in Loop: Header=BB215_553 Depth=1
	v_mov_b32_e32 v14, 0x7f800001
	v_dual_mov_b32 v15, 0 :: v_dual_and_b32 v18, 0x7f, v97
	s_mov_b32 s15, exec_lo
	s_delay_alu instid0(VALU_DEP_1)
	v_cmpx_ne_u32_e32 0x7f, v18
	s_cbranch_execz .LBB215_628
; %bb.625:                              ;   in Loop: Header=BB215_553 Depth=1
	v_and_b32_e32 v6, 7, v97
	v_lshrrev_b32_e32 v14, 3, v18
	s_mov_b32 s17, exec_lo
	v_cmpx_gt_u32_e32 8, v18
; %bb.626:                              ;   in Loop: Header=BB215_553 Depth=1
	s_delay_alu instid0(VALU_DEP_3) | instskip(NEXT) | instid1(VALU_DEP_1)
	v_clz_i32_u32_e32 v14, v6
	v_min_u32_e32 v14, 32, v14
	s_delay_alu instid0(VALU_DEP_1) | instskip(SKIP_1) | instid1(VALU_DEP_2)
	v_subrev_nc_u32_e32 v15, 28, v14
	v_sub_nc_u32_e32 v14, 29, v14
	v_lshlrev_b64 v[18:19], v15, v[6:7]
	s_delay_alu instid0(VALU_DEP_1)
	v_and_b32_e32 v6, 7, v18
; %bb.627:                              ;   in Loop: Header=BB215_553 Depth=1
	s_or_b32 exec_lo, exec_lo, s17
	v_lshlrev_b32_e32 v15, 24, v97
	s_delay_alu instid0(VALU_DEP_2) | instskip(SKIP_1) | instid1(VALU_DEP_3)
	v_lshlrev_b32_e32 v6, 20, v6
	v_lshl_add_u32 v14, v14, 23, 0x3c000000
	v_and_b32_e32 v15, 0x80000000, v15
	s_delay_alu instid0(VALU_DEP_1) | instskip(NEXT) | instid1(VALU_DEP_1)
	v_or3_b32 v6, v6, v15, v14
	v_dual_mov_b32 v15, v7 :: v_dual_mov_b32 v14, v6
.LBB215_628:                            ;   in Loop: Header=BB215_553 Depth=1
	s_or_b32 exec_lo, exec_lo, s15
.LBB215_629:                            ;   in Loop: Header=BB215_553 Depth=1
	s_delay_alu instid0(SALU_CYCLE_1)
	s_or_b32 exec_lo, exec_lo, s13
.LBB215_630:                            ;   in Loop: Header=BB215_553 Depth=1
	s_delay_alu instid0(SALU_CYCLE_1) | instskip(SKIP_2) | instid1(VALU_DEP_1)
	s_or_b32 exec_lo, exec_lo, s10
	v_lshrrev_b16 v6, 8, v97
	s_mov_b32 s13, exec_lo
	v_cmpx_ne_u16_e32 0, v6
	s_cbranch_execz .LBB215_638
; %bb.631:                              ;   in Loop: Header=BB215_553 Depth=1
	v_dual_mov_b32 v17, s9 :: v_dual_mov_b32 v16, s8
	s_mov_b32 s15, exec_lo
	v_cmpx_ne_u16_e32 0x80, v6
	s_cbranch_execz .LBB215_637
; %bb.632:                              ;   in Loop: Header=BB215_553 Depth=1
	s_mov_b32 s10, s8
	v_dual_mov_b32 v17, s11 :: v_dual_and_b32 v6, 0xffff, v6
	v_mov_b32_e32 v16, s10
	s_mov_b32 s10, exec_lo
	s_delay_alu instid0(VALU_DEP_2) | instskip(NEXT) | instid1(VALU_DEP_1)
	v_and_b32_e32 v18, 0x7f, v6
	v_cmpx_ne_u32_e32 0x7f, v18
	s_cbranch_execz .LBB215_636
; %bb.633:                              ;   in Loop: Header=BB215_553 Depth=1
	v_and_b32_e32 v6, 7, v6
	v_lshrrev_b32_e32 v16, 3, v18
	s_mov_b32 s17, exec_lo
	v_cmpx_gt_u32_e32 8, v18
; %bb.634:                              ;   in Loop: Header=BB215_553 Depth=1
	s_delay_alu instid0(VALU_DEP_3) | instskip(NEXT) | instid1(VALU_DEP_1)
	v_clz_i32_u32_e32 v16, v6
	v_min_u32_e32 v16, 32, v16
	s_delay_alu instid0(VALU_DEP_1) | instskip(SKIP_1) | instid1(VALU_DEP_2)
	v_subrev_nc_u32_e32 v17, 28, v16
	v_sub_nc_u32_e32 v16, 29, v16
	v_lshlrev_b64 v[17:18], v17, v[6:7]
	s_delay_alu instid0(VALU_DEP_1)
	v_and_b32_e32 v6, 7, v17
; %bb.635:                              ;   in Loop: Header=BB215_553 Depth=1
	s_or_b32 exec_lo, exec_lo, s17
	v_lshlrev_b32_e32 v17, 16, v97
	s_delay_alu instid0(VALU_DEP_2) | instskip(SKIP_1) | instid1(VALU_DEP_3)
	v_lshlrev_b32_e32 v6, 20, v6
	v_lshl_add_u32 v16, v16, 23, 0x3c000000
	v_and_b32_e32 v17, 0x80000000, v17
	s_delay_alu instid0(VALU_DEP_1)
	v_or3_b32 v17, v6, v17, v16
	v_mov_b32_e32 v16, v7
.LBB215_636:                            ;   in Loop: Header=BB215_553 Depth=1
	s_or_b32 exec_lo, exec_lo, s10
.LBB215_637:                            ;   in Loop: Header=BB215_553 Depth=1
	s_delay_alu instid0(SALU_CYCLE_1)
	s_or_b32 exec_lo, exec_lo, s15
.LBB215_638:                            ;   in Loop: Header=BB215_553 Depth=1
	s_delay_alu instid0(SALU_CYCLE_1) | instskip(SKIP_3) | instid1(VALU_DEP_2)
	s_or_b32 exec_lo, exec_lo, s13
	v_lshrrev_b32_e32 v98, 16, v97
	v_mov_b32_e32 v23, 0
	v_mov_b32_e32 v24, 0
	;; [unrolled: 1-line block ×3, first 2 shown]
	s_mov_b32 s10, exec_lo
	s_delay_alu instid0(VALU_DEP_2) | instskip(NEXT) | instid1(VALU_DEP_1)
	v_dual_mov_b32 v19, v24 :: v_dual_and_b32 v6, 0xff, v98
	v_cmpx_ne_u16_e32 0, v6
	s_cbranch_execz .LBB215_646
; %bb.639:                              ;   in Loop: Header=BB215_553 Depth=1
	v_bfrev_b32_e32 v18, 1
	v_mov_b32_e32 v19, 0
	s_mov_b32 s13, exec_lo
	v_cmpx_ne_u16_e32 0x80, v6
	s_cbranch_execz .LBB215_645
; %bb.640:                              ;   in Loop: Header=BB215_553 Depth=1
	v_mov_b32_e32 v18, 0x7f800001
	v_bfe_u32 v99, v97, 16, 7
	v_mov_b32_e32 v19, 0
	s_mov_b32 s15, exec_lo
	s_delay_alu instid0(VALU_DEP_2)
	v_cmpx_ne_u32_e32 0x7f, v99
	s_cbranch_execz .LBB215_644
; %bb.641:                              ;   in Loop: Header=BB215_553 Depth=1
	v_and_b32_e32 v6, 7, v98
	v_lshrrev_b32_e32 v18, 3, v99
	s_mov_b32 s17, exec_lo
	v_cmpx_gt_u32_e32 8, v99
; %bb.642:                              ;   in Loop: Header=BB215_553 Depth=1
	s_delay_alu instid0(VALU_DEP_3) | instskip(NEXT) | instid1(VALU_DEP_1)
	v_clz_i32_u32_e32 v18, v6
	v_min_u32_e32 v18, 32, v18
	s_delay_alu instid0(VALU_DEP_1) | instskip(SKIP_1) | instid1(VALU_DEP_2)
	v_subrev_nc_u32_e32 v19, 28, v18
	v_sub_nc_u32_e32 v18, 29, v18
	v_lshlrev_b64 v[99:100], v19, v[6:7]
	s_delay_alu instid0(VALU_DEP_1)
	v_and_b32_e32 v6, 7, v99
; %bb.643:                              ;   in Loop: Header=BB215_553 Depth=1
	s_or_b32 exec_lo, exec_lo, s17
	v_lshlrev_b32_e32 v19, 24, v98
	s_delay_alu instid0(VALU_DEP_2) | instskip(SKIP_1) | instid1(VALU_DEP_3)
	v_lshlrev_b32_e32 v6, 20, v6
	v_lshl_add_u32 v18, v18, 23, 0x3c000000
	v_and_b32_e32 v19, 0x80000000, v19
	s_delay_alu instid0(VALU_DEP_1) | instskip(NEXT) | instid1(VALU_DEP_1)
	v_or3_b32 v6, v6, v19, v18
	v_dual_mov_b32 v19, v7 :: v_dual_mov_b32 v18, v6
.LBB215_644:                            ;   in Loop: Header=BB215_553 Depth=1
	s_or_b32 exec_lo, exec_lo, s15
.LBB215_645:                            ;   in Loop: Header=BB215_553 Depth=1
	s_delay_alu instid0(SALU_CYCLE_1)
	s_or_b32 exec_lo, exec_lo, s13
.LBB215_646:                            ;   in Loop: Header=BB215_553 Depth=1
	s_delay_alu instid0(SALU_CYCLE_1) | instskip(NEXT) | instid1(SALU_CYCLE_1)
	s_or_b32 exec_lo, exec_lo, s10
	s_mov_b32 s13, exec_lo
	v_cmpx_lt_u32_e32 0xffffff, v97
	s_cbranch_execz .LBB215_654
; %bb.647:                              ;   in Loop: Header=BB215_553 Depth=1
	v_lshrrev_b32_e32 v98, 24, v97
	v_dual_mov_b32 v24, s9 :: v_dual_mov_b32 v23, s8
	s_mov_b32 s15, exec_lo
	s_delay_alu instid0(VALU_DEP_2)
	v_cmpx_ne_u32_e32 0x80, v98
	s_cbranch_execz .LBB215_653
; %bb.648:                              ;   in Loop: Header=BB215_553 Depth=1
	s_mov_b32 s10, s8
	v_bfe_u32 v97, v97, 24, 7
	v_dual_mov_b32 v24, s11 :: v_dual_mov_b32 v23, s10
	s_mov_b32 s10, exec_lo
	s_delay_alu instid0(VALU_DEP_2)
	v_cmpx_ne_u32_e32 0x7f, v97
	s_cbranch_execz .LBB215_652
; %bb.649:                              ;   in Loop: Header=BB215_553 Depth=1
	v_and_b32_e32 v6, 7, v98
	v_lshrrev_b32_e32 v23, 3, v97
	s_mov_b32 s17, exec_lo
	v_cmpx_gt_u32_e32 8, v97
; %bb.650:                              ;   in Loop: Header=BB215_553 Depth=1
	s_delay_alu instid0(VALU_DEP_3) | instskip(NEXT) | instid1(VALU_DEP_1)
	v_clz_i32_u32_e32 v23, v6
	v_min_u32_e32 v23, 32, v23
	s_delay_alu instid0(VALU_DEP_1) | instskip(SKIP_1) | instid1(VALU_DEP_2)
	v_subrev_nc_u32_e32 v24, 28, v23
	v_sub_nc_u32_e32 v23, 29, v23
	v_lshlrev_b64 v[99:100], v24, v[6:7]
	s_delay_alu instid0(VALU_DEP_1)
	v_and_b32_e32 v6, 7, v99
; %bb.651:                              ;   in Loop: Header=BB215_553 Depth=1
	s_or_b32 exec_lo, exec_lo, s17
	v_lshlrev_b32_e32 v24, 24, v98
	s_delay_alu instid0(VALU_DEP_2) | instskip(SKIP_1) | instid1(VALU_DEP_3)
	v_lshlrev_b32_e32 v6, 20, v6
	v_lshl_add_u32 v23, v23, 23, 0x3c000000
	v_and_b32_e32 v24, 0x80000000, v24
	s_delay_alu instid0(VALU_DEP_1)
	v_or3_b32 v24, v6, v24, v23
	v_mov_b32_e32 v23, v7
.LBB215_652:                            ;   in Loop: Header=BB215_553 Depth=1
	s_or_b32 exec_lo, exec_lo, s10
.LBB215_653:                            ;   in Loop: Header=BB215_553 Depth=1
	s_delay_alu instid0(SALU_CYCLE_1)
	s_or_b32 exec_lo, exec_lo, s15
.LBB215_654:                            ;   in Loop: Header=BB215_553 Depth=1
	s_delay_alu instid0(SALU_CYCLE_1) | instskip(SKIP_4) | instid1(VALU_DEP_4)
	s_or_b32 exec_lo, exec_lo, s13
	v_or_b32_e32 v6, v17, v15
	v_or_b32_e32 v14, v16, v14
	;; [unrolled: 1-line block ×4, first 2 shown]
	v_mul_f32_e32 v100, v68, v6
	s_delay_alu instid0(VALU_DEP_4) | instskip(NEXT) | instid1(VALU_DEP_4)
	v_mul_f32_e32 v99, v68, v14
	v_mul_f32_e32 v97, v68, v15
	s_delay_alu instid0(VALU_DEP_4)
	v_mul_f32_e32 v98, v68, v16
	s_and_saveexec_b32 s10, vcc_lo
; %bb.655:                              ;   in Loop: Header=BB215_553 Depth=1
	v_cmp_lt_i32_e64 s0, v81, v134
	s_delay_alu instid0(VALU_DEP_1) | instskip(SKIP_1) | instid1(VALU_DEP_1)
	v_cndmask_b32_e64 v99, 0, v99, s0
	v_cmp_lt_i32_e64 s0, v84, v134
	v_cndmask_b32_e64 v100, 0, v100, s0
	v_cmp_lt_i32_e64 s0, v83, v134
	s_delay_alu instid0(VALU_DEP_1) | instskip(SKIP_1) | instid1(VALU_DEP_1)
	v_cndmask_b32_e64 v98, 0, v98, s0
	v_cmp_lt_i32_e64 s0, v82, v134
	v_cndmask_b32_e64 v97, 0, v97, s0
; %bb.656:                              ;   in Loop: Header=BB215_553 Depth=1
	s_or_b32 exec_lo, exec_lo, s10
	flat_load_b32 v101, v[12:13] offset:384
	v_mov_b32_e32 v16, 0
	v_mov_b32_e32 v17, 0
	s_mov_b32 s10, exec_lo
	s_waitcnt vmcnt(0) lgkmcnt(0)
	v_and_b32_e32 v6, 0xff, v101
	s_delay_alu instid0(VALU_DEP_2) | instskip(NEXT) | instid1(VALU_DEP_2)
	v_dual_mov_b32 v14, v16 :: v_dual_mov_b32 v15, v17
	v_cmpx_ne_u16_e32 0, v6
	s_cbranch_execz .LBB215_664
; %bb.657:                              ;   in Loop: Header=BB215_553 Depth=1
	v_bfrev_b32_e32 v14, 1
	v_mov_b32_e32 v15, 0
	s_mov_b32 s13, exec_lo
	v_cmpx_ne_u16_e32 0x80, v6
	s_cbranch_execz .LBB215_663
; %bb.658:                              ;   in Loop: Header=BB215_553 Depth=1
	v_mov_b32_e32 v14, 0x7f800001
	v_dual_mov_b32 v15, 0 :: v_dual_and_b32 v18, 0x7f, v101
	s_mov_b32 s15, exec_lo
	s_delay_alu instid0(VALU_DEP_1)
	v_cmpx_ne_u32_e32 0x7f, v18
	s_cbranch_execz .LBB215_662
; %bb.659:                              ;   in Loop: Header=BB215_553 Depth=1
	v_and_b32_e32 v6, 7, v101
	v_lshrrev_b32_e32 v14, 3, v18
	s_mov_b32 s17, exec_lo
	v_cmpx_gt_u32_e32 8, v18
; %bb.660:                              ;   in Loop: Header=BB215_553 Depth=1
	s_delay_alu instid0(VALU_DEP_3) | instskip(NEXT) | instid1(VALU_DEP_1)
	v_clz_i32_u32_e32 v14, v6
	v_min_u32_e32 v14, 32, v14
	s_delay_alu instid0(VALU_DEP_1) | instskip(SKIP_1) | instid1(VALU_DEP_2)
	v_subrev_nc_u32_e32 v15, 28, v14
	v_sub_nc_u32_e32 v14, 29, v14
	v_lshlrev_b64 v[18:19], v15, v[6:7]
	s_delay_alu instid0(VALU_DEP_1)
	v_and_b32_e32 v6, 7, v18
; %bb.661:                              ;   in Loop: Header=BB215_553 Depth=1
	s_or_b32 exec_lo, exec_lo, s17
	v_lshlrev_b32_e32 v15, 24, v101
	s_delay_alu instid0(VALU_DEP_2) | instskip(SKIP_1) | instid1(VALU_DEP_3)
	v_lshlrev_b32_e32 v6, 20, v6
	v_lshl_add_u32 v14, v14, 23, 0x3c000000
	v_and_b32_e32 v15, 0x80000000, v15
	s_delay_alu instid0(VALU_DEP_1) | instskip(NEXT) | instid1(VALU_DEP_1)
	v_or3_b32 v6, v6, v15, v14
	v_dual_mov_b32 v15, v7 :: v_dual_mov_b32 v14, v6
.LBB215_662:                            ;   in Loop: Header=BB215_553 Depth=1
	s_or_b32 exec_lo, exec_lo, s15
.LBB215_663:                            ;   in Loop: Header=BB215_553 Depth=1
	s_delay_alu instid0(SALU_CYCLE_1)
	s_or_b32 exec_lo, exec_lo, s13
.LBB215_664:                            ;   in Loop: Header=BB215_553 Depth=1
	s_delay_alu instid0(SALU_CYCLE_1) | instskip(SKIP_2) | instid1(VALU_DEP_1)
	s_or_b32 exec_lo, exec_lo, s10
	v_lshrrev_b16 v6, 8, v101
	s_mov_b32 s13, exec_lo
	v_cmpx_ne_u16_e32 0, v6
	s_cbranch_execz .LBB215_672
; %bb.665:                              ;   in Loop: Header=BB215_553 Depth=1
	v_dual_mov_b32 v17, s9 :: v_dual_mov_b32 v16, s8
	s_mov_b32 s15, exec_lo
	v_cmpx_ne_u16_e32 0x80, v6
	s_cbranch_execz .LBB215_671
; %bb.666:                              ;   in Loop: Header=BB215_553 Depth=1
	s_mov_b32 s10, s8
	v_dual_mov_b32 v17, s11 :: v_dual_and_b32 v6, 0xffff, v6
	v_mov_b32_e32 v16, s10
	s_mov_b32 s10, exec_lo
	s_delay_alu instid0(VALU_DEP_2) | instskip(NEXT) | instid1(VALU_DEP_1)
	v_and_b32_e32 v18, 0x7f, v6
	v_cmpx_ne_u32_e32 0x7f, v18
	s_cbranch_execz .LBB215_670
; %bb.667:                              ;   in Loop: Header=BB215_553 Depth=1
	v_and_b32_e32 v6, 7, v6
	v_lshrrev_b32_e32 v16, 3, v18
	s_mov_b32 s17, exec_lo
	v_cmpx_gt_u32_e32 8, v18
; %bb.668:                              ;   in Loop: Header=BB215_553 Depth=1
	s_delay_alu instid0(VALU_DEP_3) | instskip(NEXT) | instid1(VALU_DEP_1)
	v_clz_i32_u32_e32 v16, v6
	v_min_u32_e32 v16, 32, v16
	s_delay_alu instid0(VALU_DEP_1) | instskip(SKIP_1) | instid1(VALU_DEP_2)
	v_subrev_nc_u32_e32 v17, 28, v16
	v_sub_nc_u32_e32 v16, 29, v16
	v_lshlrev_b64 v[17:18], v17, v[6:7]
	s_delay_alu instid0(VALU_DEP_1)
	v_and_b32_e32 v6, 7, v17
; %bb.669:                              ;   in Loop: Header=BB215_553 Depth=1
	s_or_b32 exec_lo, exec_lo, s17
	v_lshlrev_b32_e32 v17, 16, v101
	s_delay_alu instid0(VALU_DEP_2) | instskip(SKIP_1) | instid1(VALU_DEP_3)
	v_lshlrev_b32_e32 v6, 20, v6
	v_lshl_add_u32 v16, v16, 23, 0x3c000000
	v_and_b32_e32 v17, 0x80000000, v17
	s_delay_alu instid0(VALU_DEP_1)
	v_or3_b32 v17, v6, v17, v16
	v_mov_b32_e32 v16, v7
.LBB215_670:                            ;   in Loop: Header=BB215_553 Depth=1
	s_or_b32 exec_lo, exec_lo, s10
.LBB215_671:                            ;   in Loop: Header=BB215_553 Depth=1
	s_delay_alu instid0(SALU_CYCLE_1)
	s_or_b32 exec_lo, exec_lo, s15
.LBB215_672:                            ;   in Loop: Header=BB215_553 Depth=1
	s_delay_alu instid0(SALU_CYCLE_1) | instskip(SKIP_3) | instid1(VALU_DEP_2)
	s_or_b32 exec_lo, exec_lo, s13
	v_lshrrev_b32_e32 v102, 16, v101
	v_mov_b32_e32 v23, 0
	v_mov_b32_e32 v24, 0
	;; [unrolled: 1-line block ×3, first 2 shown]
	s_mov_b32 s10, exec_lo
	s_delay_alu instid0(VALU_DEP_2) | instskip(NEXT) | instid1(VALU_DEP_1)
	v_dual_mov_b32 v19, v24 :: v_dual_and_b32 v6, 0xff, v102
	v_cmpx_ne_u16_e32 0, v6
	s_cbranch_execz .LBB215_680
; %bb.673:                              ;   in Loop: Header=BB215_553 Depth=1
	v_bfrev_b32_e32 v18, 1
	v_mov_b32_e32 v19, 0
	s_mov_b32 s13, exec_lo
	v_cmpx_ne_u16_e32 0x80, v6
	s_cbranch_execz .LBB215_679
; %bb.674:                              ;   in Loop: Header=BB215_553 Depth=1
	v_mov_b32_e32 v18, 0x7f800001
	v_bfe_u32 v103, v101, 16, 7
	v_mov_b32_e32 v19, 0
	s_mov_b32 s15, exec_lo
	s_delay_alu instid0(VALU_DEP_2)
	v_cmpx_ne_u32_e32 0x7f, v103
	s_cbranch_execz .LBB215_678
; %bb.675:                              ;   in Loop: Header=BB215_553 Depth=1
	v_and_b32_e32 v6, 7, v102
	v_lshrrev_b32_e32 v18, 3, v103
	s_mov_b32 s17, exec_lo
	v_cmpx_gt_u32_e32 8, v103
; %bb.676:                              ;   in Loop: Header=BB215_553 Depth=1
	s_delay_alu instid0(VALU_DEP_3) | instskip(NEXT) | instid1(VALU_DEP_1)
	v_clz_i32_u32_e32 v18, v6
	v_min_u32_e32 v18, 32, v18
	s_delay_alu instid0(VALU_DEP_1) | instskip(SKIP_1) | instid1(VALU_DEP_2)
	v_subrev_nc_u32_e32 v19, 28, v18
	v_sub_nc_u32_e32 v18, 29, v18
	v_lshlrev_b64 v[113:114], v19, v[6:7]
	s_delay_alu instid0(VALU_DEP_1)
	v_and_b32_e32 v6, 7, v113
; %bb.677:                              ;   in Loop: Header=BB215_553 Depth=1
	s_or_b32 exec_lo, exec_lo, s17
	v_lshlrev_b32_e32 v19, 24, v102
	s_delay_alu instid0(VALU_DEP_2) | instskip(SKIP_1) | instid1(VALU_DEP_3)
	v_lshlrev_b32_e32 v6, 20, v6
	v_lshl_add_u32 v18, v18, 23, 0x3c000000
	v_and_b32_e32 v19, 0x80000000, v19
	s_delay_alu instid0(VALU_DEP_1) | instskip(NEXT) | instid1(VALU_DEP_1)
	v_or3_b32 v6, v6, v19, v18
	v_dual_mov_b32 v19, v7 :: v_dual_mov_b32 v18, v6
.LBB215_678:                            ;   in Loop: Header=BB215_553 Depth=1
	s_or_b32 exec_lo, exec_lo, s15
.LBB215_679:                            ;   in Loop: Header=BB215_553 Depth=1
	s_delay_alu instid0(SALU_CYCLE_1)
	s_or_b32 exec_lo, exec_lo, s13
.LBB215_680:                            ;   in Loop: Header=BB215_553 Depth=1
	s_delay_alu instid0(SALU_CYCLE_1) | instskip(NEXT) | instid1(SALU_CYCLE_1)
	s_or_b32 exec_lo, exec_lo, s10
	s_mov_b32 s13, exec_lo
	v_cmpx_lt_u32_e32 0xffffff, v101
	s_cbranch_execz .LBB215_688
; %bb.681:                              ;   in Loop: Header=BB215_553 Depth=1
	v_lshrrev_b32_e32 v102, 24, v101
	v_dual_mov_b32 v24, s9 :: v_dual_mov_b32 v23, s8
	s_mov_b32 s15, exec_lo
	s_delay_alu instid0(VALU_DEP_2)
	v_cmpx_ne_u32_e32 0x80, v102
	s_cbranch_execz .LBB215_687
; %bb.682:                              ;   in Loop: Header=BB215_553 Depth=1
	s_mov_b32 s10, s8
	v_bfe_u32 v101, v101, 24, 7
	v_dual_mov_b32 v24, s11 :: v_dual_mov_b32 v23, s10
	s_mov_b32 s10, exec_lo
	s_delay_alu instid0(VALU_DEP_2)
	v_cmpx_ne_u32_e32 0x7f, v101
	s_cbranch_execz .LBB215_686
; %bb.683:                              ;   in Loop: Header=BB215_553 Depth=1
	v_and_b32_e32 v6, 7, v102
	v_lshrrev_b32_e32 v23, 3, v101
	s_mov_b32 s17, exec_lo
	v_cmpx_gt_u32_e32 8, v101
; %bb.684:                              ;   in Loop: Header=BB215_553 Depth=1
	s_delay_alu instid0(VALU_DEP_3) | instskip(NEXT) | instid1(VALU_DEP_1)
	v_clz_i32_u32_e32 v23, v6
	v_min_u32_e32 v23, 32, v23
	s_delay_alu instid0(VALU_DEP_1) | instskip(SKIP_1) | instid1(VALU_DEP_2)
	v_subrev_nc_u32_e32 v24, 28, v23
	v_sub_nc_u32_e32 v23, 29, v23
	v_lshlrev_b64 v[113:114], v24, v[6:7]
	s_delay_alu instid0(VALU_DEP_1)
	v_and_b32_e32 v6, 7, v113
; %bb.685:                              ;   in Loop: Header=BB215_553 Depth=1
	s_or_b32 exec_lo, exec_lo, s17
	v_lshlrev_b32_e32 v24, 24, v102
	s_delay_alu instid0(VALU_DEP_2) | instskip(SKIP_1) | instid1(VALU_DEP_3)
	v_lshlrev_b32_e32 v6, 20, v6
	v_lshl_add_u32 v23, v23, 23, 0x3c000000
	v_and_b32_e32 v24, 0x80000000, v24
	s_delay_alu instid0(VALU_DEP_1)
	v_or3_b32 v24, v6, v24, v23
	v_mov_b32_e32 v23, v7
.LBB215_686:                            ;   in Loop: Header=BB215_553 Depth=1
	s_or_b32 exec_lo, exec_lo, s10
.LBB215_687:                            ;   in Loop: Header=BB215_553 Depth=1
	s_delay_alu instid0(SALU_CYCLE_1)
	s_or_b32 exec_lo, exec_lo, s15
.LBB215_688:                            ;   in Loop: Header=BB215_553 Depth=1
	s_delay_alu instid0(SALU_CYCLE_1) | instskip(SKIP_4) | instid1(VALU_DEP_4)
	s_or_b32 exec_lo, exec_lo, s13
	v_or_b32_e32 v6, v17, v15
	v_or_b32_e32 v14, v16, v14
	;; [unrolled: 1-line block ×4, first 2 shown]
	v_mul_f32_e32 v113, v68, v6
	s_delay_alu instid0(VALU_DEP_4) | instskip(NEXT) | instid1(VALU_DEP_4)
	v_mul_f32_e32 v103, v68, v14
	v_mul_f32_e32 v101, v68, v15
	s_delay_alu instid0(VALU_DEP_4)
	v_mul_f32_e32 v102, v68, v16
	s_and_saveexec_b32 s10, vcc_lo
; %bb.689:                              ;   in Loop: Header=BB215_553 Depth=1
	v_cmp_lt_i32_e64 s0, v81, v134
	s_delay_alu instid0(VALU_DEP_1) | instskip(SKIP_1) | instid1(VALU_DEP_1)
	v_cndmask_b32_e64 v103, 0, v103, s0
	v_cmp_lt_i32_e64 s0, v84, v134
	v_cndmask_b32_e64 v113, 0, v113, s0
	v_cmp_lt_i32_e64 s0, v83, v134
	s_delay_alu instid0(VALU_DEP_1) | instskip(SKIP_1) | instid1(VALU_DEP_1)
	v_cndmask_b32_e64 v102, 0, v102, s0
	v_cmp_lt_i32_e64 s0, v82, v134
	v_cndmask_b32_e64 v101, 0, v101, s0
; %bb.690:                              ;   in Loop: Header=BB215_553 Depth=1
	s_or_b32 exec_lo, exec_lo, s10
	flat_load_b32 v114, v[12:13] offset:512
	v_mov_b32_e32 v16, 0
	v_mov_b32_e32 v17, 0
	s_mov_b32 s10, exec_lo
	s_waitcnt vmcnt(0) lgkmcnt(0)
	v_and_b32_e32 v6, 0xff, v114
	s_delay_alu instid0(VALU_DEP_2) | instskip(NEXT) | instid1(VALU_DEP_2)
	v_dual_mov_b32 v14, v16 :: v_dual_mov_b32 v15, v17
	v_cmpx_ne_u16_e32 0, v6
	s_cbranch_execz .LBB215_698
; %bb.691:                              ;   in Loop: Header=BB215_553 Depth=1
	v_bfrev_b32_e32 v14, 1
	v_mov_b32_e32 v15, 0
	s_mov_b32 s13, exec_lo
	v_cmpx_ne_u16_e32 0x80, v6
	s_cbranch_execz .LBB215_697
; %bb.692:                              ;   in Loop: Header=BB215_553 Depth=1
	v_mov_b32_e32 v14, 0x7f800001
	v_dual_mov_b32 v15, 0 :: v_dual_and_b32 v18, 0x7f, v114
	s_mov_b32 s15, exec_lo
	s_delay_alu instid0(VALU_DEP_1)
	v_cmpx_ne_u32_e32 0x7f, v18
	s_cbranch_execz .LBB215_696
; %bb.693:                              ;   in Loop: Header=BB215_553 Depth=1
	v_and_b32_e32 v6, 7, v114
	v_lshrrev_b32_e32 v14, 3, v18
	s_mov_b32 s17, exec_lo
	v_cmpx_gt_u32_e32 8, v18
; %bb.694:                              ;   in Loop: Header=BB215_553 Depth=1
	s_delay_alu instid0(VALU_DEP_3) | instskip(NEXT) | instid1(VALU_DEP_1)
	v_clz_i32_u32_e32 v14, v6
	v_min_u32_e32 v14, 32, v14
	s_delay_alu instid0(VALU_DEP_1) | instskip(SKIP_1) | instid1(VALU_DEP_2)
	v_subrev_nc_u32_e32 v15, 28, v14
	v_sub_nc_u32_e32 v14, 29, v14
	v_lshlrev_b64 v[18:19], v15, v[6:7]
	s_delay_alu instid0(VALU_DEP_1)
	v_and_b32_e32 v6, 7, v18
; %bb.695:                              ;   in Loop: Header=BB215_553 Depth=1
	s_or_b32 exec_lo, exec_lo, s17
	v_lshlrev_b32_e32 v15, 24, v114
	s_delay_alu instid0(VALU_DEP_2) | instskip(SKIP_1) | instid1(VALU_DEP_3)
	v_lshlrev_b32_e32 v6, 20, v6
	v_lshl_add_u32 v14, v14, 23, 0x3c000000
	v_and_b32_e32 v15, 0x80000000, v15
	s_delay_alu instid0(VALU_DEP_1) | instskip(NEXT) | instid1(VALU_DEP_1)
	v_or3_b32 v6, v6, v15, v14
	v_dual_mov_b32 v15, v7 :: v_dual_mov_b32 v14, v6
.LBB215_696:                            ;   in Loop: Header=BB215_553 Depth=1
	s_or_b32 exec_lo, exec_lo, s15
.LBB215_697:                            ;   in Loop: Header=BB215_553 Depth=1
	s_delay_alu instid0(SALU_CYCLE_1)
	s_or_b32 exec_lo, exec_lo, s13
.LBB215_698:                            ;   in Loop: Header=BB215_553 Depth=1
	s_delay_alu instid0(SALU_CYCLE_1) | instskip(SKIP_2) | instid1(VALU_DEP_1)
	s_or_b32 exec_lo, exec_lo, s10
	v_lshrrev_b16 v6, 8, v114
	s_mov_b32 s13, exec_lo
	v_cmpx_ne_u16_e32 0, v6
	s_cbranch_execz .LBB215_706
; %bb.699:                              ;   in Loop: Header=BB215_553 Depth=1
	v_dual_mov_b32 v17, s9 :: v_dual_mov_b32 v16, s8
	s_mov_b32 s15, exec_lo
	v_cmpx_ne_u16_e32 0x80, v6
	s_cbranch_execz .LBB215_705
; %bb.700:                              ;   in Loop: Header=BB215_553 Depth=1
	s_mov_b32 s10, s8
	v_dual_mov_b32 v17, s11 :: v_dual_and_b32 v6, 0xffff, v6
	v_mov_b32_e32 v16, s10
	s_mov_b32 s10, exec_lo
	s_delay_alu instid0(VALU_DEP_2) | instskip(NEXT) | instid1(VALU_DEP_1)
	v_and_b32_e32 v18, 0x7f, v6
	v_cmpx_ne_u32_e32 0x7f, v18
	s_cbranch_execz .LBB215_704
; %bb.701:                              ;   in Loop: Header=BB215_553 Depth=1
	v_and_b32_e32 v6, 7, v6
	v_lshrrev_b32_e32 v16, 3, v18
	s_mov_b32 s17, exec_lo
	v_cmpx_gt_u32_e32 8, v18
; %bb.702:                              ;   in Loop: Header=BB215_553 Depth=1
	s_delay_alu instid0(VALU_DEP_3) | instskip(NEXT) | instid1(VALU_DEP_1)
	v_clz_i32_u32_e32 v16, v6
	v_min_u32_e32 v16, 32, v16
	s_delay_alu instid0(VALU_DEP_1) | instskip(SKIP_1) | instid1(VALU_DEP_2)
	v_subrev_nc_u32_e32 v17, 28, v16
	v_sub_nc_u32_e32 v16, 29, v16
	v_lshlrev_b64 v[17:18], v17, v[6:7]
	s_delay_alu instid0(VALU_DEP_1)
	v_and_b32_e32 v6, 7, v17
; %bb.703:                              ;   in Loop: Header=BB215_553 Depth=1
	s_or_b32 exec_lo, exec_lo, s17
	v_lshlrev_b32_e32 v17, 16, v114
	s_delay_alu instid0(VALU_DEP_2) | instskip(SKIP_1) | instid1(VALU_DEP_3)
	v_lshlrev_b32_e32 v6, 20, v6
	v_lshl_add_u32 v16, v16, 23, 0x3c000000
	v_and_b32_e32 v17, 0x80000000, v17
	s_delay_alu instid0(VALU_DEP_1)
	v_or3_b32 v17, v6, v17, v16
	v_mov_b32_e32 v16, v7
.LBB215_704:                            ;   in Loop: Header=BB215_553 Depth=1
	s_or_b32 exec_lo, exec_lo, s10
.LBB215_705:                            ;   in Loop: Header=BB215_553 Depth=1
	s_delay_alu instid0(SALU_CYCLE_1)
	s_or_b32 exec_lo, exec_lo, s15
.LBB215_706:                            ;   in Loop: Header=BB215_553 Depth=1
	s_delay_alu instid0(SALU_CYCLE_1) | instskip(SKIP_3) | instid1(VALU_DEP_2)
	s_or_b32 exec_lo, exec_lo, s13
	v_lshrrev_b32_e32 v115, 16, v114
	v_mov_b32_e32 v23, 0
	v_mov_b32_e32 v24, 0
	;; [unrolled: 1-line block ×3, first 2 shown]
	s_mov_b32 s10, exec_lo
	s_delay_alu instid0(VALU_DEP_2) | instskip(NEXT) | instid1(VALU_DEP_1)
	v_dual_mov_b32 v19, v24 :: v_dual_and_b32 v6, 0xff, v115
	v_cmpx_ne_u16_e32 0, v6
	s_cbranch_execz .LBB215_714
; %bb.707:                              ;   in Loop: Header=BB215_553 Depth=1
	v_bfrev_b32_e32 v18, 1
	v_mov_b32_e32 v19, 0
	s_mov_b32 s13, exec_lo
	v_cmpx_ne_u16_e32 0x80, v6
	s_cbranch_execz .LBB215_713
; %bb.708:                              ;   in Loop: Header=BB215_553 Depth=1
	v_mov_b32_e32 v18, 0x7f800001
	v_bfe_u32 v116, v114, 16, 7
	v_mov_b32_e32 v19, 0
	s_mov_b32 s15, exec_lo
	s_delay_alu instid0(VALU_DEP_2)
	v_cmpx_ne_u32_e32 0x7f, v116
	s_cbranch_execz .LBB215_712
; %bb.709:                              ;   in Loop: Header=BB215_553 Depth=1
	v_and_b32_e32 v6, 7, v115
	v_lshrrev_b32_e32 v18, 3, v116
	s_mov_b32 s17, exec_lo
	v_cmpx_gt_u32_e32 8, v116
; %bb.710:                              ;   in Loop: Header=BB215_553 Depth=1
	s_delay_alu instid0(VALU_DEP_3) | instskip(NEXT) | instid1(VALU_DEP_1)
	v_clz_i32_u32_e32 v18, v6
	v_min_u32_e32 v18, 32, v18
	s_delay_alu instid0(VALU_DEP_1) | instskip(SKIP_1) | instid1(VALU_DEP_2)
	v_subrev_nc_u32_e32 v19, 28, v18
	v_sub_nc_u32_e32 v18, 29, v18
	v_lshlrev_b64 v[116:117], v19, v[6:7]
	s_delay_alu instid0(VALU_DEP_1)
	v_and_b32_e32 v6, 7, v116
; %bb.711:                              ;   in Loop: Header=BB215_553 Depth=1
	s_or_b32 exec_lo, exec_lo, s17
	v_lshlrev_b32_e32 v19, 24, v115
	s_delay_alu instid0(VALU_DEP_2) | instskip(SKIP_1) | instid1(VALU_DEP_3)
	v_lshlrev_b32_e32 v6, 20, v6
	v_lshl_add_u32 v18, v18, 23, 0x3c000000
	v_and_b32_e32 v19, 0x80000000, v19
	s_delay_alu instid0(VALU_DEP_1) | instskip(NEXT) | instid1(VALU_DEP_1)
	v_or3_b32 v6, v6, v19, v18
	v_dual_mov_b32 v19, v7 :: v_dual_mov_b32 v18, v6
.LBB215_712:                            ;   in Loop: Header=BB215_553 Depth=1
	s_or_b32 exec_lo, exec_lo, s15
.LBB215_713:                            ;   in Loop: Header=BB215_553 Depth=1
	s_delay_alu instid0(SALU_CYCLE_1)
	s_or_b32 exec_lo, exec_lo, s13
.LBB215_714:                            ;   in Loop: Header=BB215_553 Depth=1
	s_delay_alu instid0(SALU_CYCLE_1) | instskip(NEXT) | instid1(SALU_CYCLE_1)
	s_or_b32 exec_lo, exec_lo, s10
	s_mov_b32 s13, exec_lo
	v_cmpx_lt_u32_e32 0xffffff, v114
	s_cbranch_execz .LBB215_722
; %bb.715:                              ;   in Loop: Header=BB215_553 Depth=1
	v_lshrrev_b32_e32 v115, 24, v114
	v_dual_mov_b32 v24, s9 :: v_dual_mov_b32 v23, s8
	s_mov_b32 s15, exec_lo
	s_delay_alu instid0(VALU_DEP_2)
	v_cmpx_ne_u32_e32 0x80, v115
	s_cbranch_execz .LBB215_721
; %bb.716:                              ;   in Loop: Header=BB215_553 Depth=1
	s_mov_b32 s10, s8
	v_bfe_u32 v114, v114, 24, 7
	v_dual_mov_b32 v24, s11 :: v_dual_mov_b32 v23, s10
	s_mov_b32 s10, exec_lo
	s_delay_alu instid0(VALU_DEP_2)
	v_cmpx_ne_u32_e32 0x7f, v114
	s_cbranch_execz .LBB215_720
; %bb.717:                              ;   in Loop: Header=BB215_553 Depth=1
	v_and_b32_e32 v6, 7, v115
	v_lshrrev_b32_e32 v23, 3, v114
	s_mov_b32 s17, exec_lo
	v_cmpx_gt_u32_e32 8, v114
; %bb.718:                              ;   in Loop: Header=BB215_553 Depth=1
	s_delay_alu instid0(VALU_DEP_3) | instskip(NEXT) | instid1(VALU_DEP_1)
	v_clz_i32_u32_e32 v23, v6
	v_min_u32_e32 v23, 32, v23
	s_delay_alu instid0(VALU_DEP_1) | instskip(SKIP_1) | instid1(VALU_DEP_2)
	v_subrev_nc_u32_e32 v24, 28, v23
	v_sub_nc_u32_e32 v23, 29, v23
	v_lshlrev_b64 v[116:117], v24, v[6:7]
	s_delay_alu instid0(VALU_DEP_1)
	v_and_b32_e32 v6, 7, v116
; %bb.719:                              ;   in Loop: Header=BB215_553 Depth=1
	s_or_b32 exec_lo, exec_lo, s17
	v_lshlrev_b32_e32 v24, 24, v115
	s_delay_alu instid0(VALU_DEP_2) | instskip(SKIP_1) | instid1(VALU_DEP_3)
	v_lshlrev_b32_e32 v6, 20, v6
	v_lshl_add_u32 v23, v23, 23, 0x3c000000
	v_and_b32_e32 v24, 0x80000000, v24
	s_delay_alu instid0(VALU_DEP_1)
	v_or3_b32 v24, v6, v24, v23
	v_mov_b32_e32 v23, v7
.LBB215_720:                            ;   in Loop: Header=BB215_553 Depth=1
	s_or_b32 exec_lo, exec_lo, s10
.LBB215_721:                            ;   in Loop: Header=BB215_553 Depth=1
	s_delay_alu instid0(SALU_CYCLE_1)
	s_or_b32 exec_lo, exec_lo, s15
.LBB215_722:                            ;   in Loop: Header=BB215_553 Depth=1
	s_delay_alu instid0(SALU_CYCLE_1) | instskip(SKIP_4) | instid1(VALU_DEP_4)
	s_or_b32 exec_lo, exec_lo, s13
	v_or_b32_e32 v6, v17, v15
	v_or_b32_e32 v14, v16, v14
	;; [unrolled: 1-line block ×4, first 2 shown]
	v_mul_f32_e32 v117, v68, v6
	s_delay_alu instid0(VALU_DEP_4) | instskip(NEXT) | instid1(VALU_DEP_4)
	v_mul_f32_e32 v116, v68, v14
	v_mul_f32_e32 v114, v68, v15
	s_delay_alu instid0(VALU_DEP_4)
	v_mul_f32_e32 v115, v68, v16
	s_and_saveexec_b32 s10, vcc_lo
; %bb.723:                              ;   in Loop: Header=BB215_553 Depth=1
	v_cmp_lt_i32_e64 s0, v81, v134
	s_delay_alu instid0(VALU_DEP_1) | instskip(SKIP_1) | instid1(VALU_DEP_1)
	v_cndmask_b32_e64 v116, 0, v116, s0
	v_cmp_lt_i32_e64 s0, v84, v134
	v_cndmask_b32_e64 v117, 0, v117, s0
	v_cmp_lt_i32_e64 s0, v83, v134
	s_delay_alu instid0(VALU_DEP_1) | instskip(SKIP_1) | instid1(VALU_DEP_1)
	v_cndmask_b32_e64 v115, 0, v115, s0
	v_cmp_lt_i32_e64 s0, v82, v134
	v_cndmask_b32_e64 v114, 0, v114, s0
; %bb.724:                              ;   in Loop: Header=BB215_553 Depth=1
	s_or_b32 exec_lo, exec_lo, s10
	flat_load_b32 v118, v[12:13] offset:640
	v_mov_b32_e32 v16, 0
	v_mov_b32_e32 v17, 0
	s_mov_b32 s10, exec_lo
	s_waitcnt vmcnt(0) lgkmcnt(0)
	v_and_b32_e32 v6, 0xff, v118
	s_delay_alu instid0(VALU_DEP_2) | instskip(NEXT) | instid1(VALU_DEP_2)
	v_dual_mov_b32 v14, v16 :: v_dual_mov_b32 v15, v17
	v_cmpx_ne_u16_e32 0, v6
	s_cbranch_execz .LBB215_732
; %bb.725:                              ;   in Loop: Header=BB215_553 Depth=1
	v_bfrev_b32_e32 v14, 1
	v_mov_b32_e32 v15, 0
	s_mov_b32 s13, exec_lo
	v_cmpx_ne_u16_e32 0x80, v6
	s_cbranch_execz .LBB215_731
; %bb.726:                              ;   in Loop: Header=BB215_553 Depth=1
	v_mov_b32_e32 v14, 0x7f800001
	v_dual_mov_b32 v15, 0 :: v_dual_and_b32 v18, 0x7f, v118
	s_mov_b32 s15, exec_lo
	s_delay_alu instid0(VALU_DEP_1)
	v_cmpx_ne_u32_e32 0x7f, v18
	s_cbranch_execz .LBB215_730
; %bb.727:                              ;   in Loop: Header=BB215_553 Depth=1
	v_and_b32_e32 v6, 7, v118
	v_lshrrev_b32_e32 v14, 3, v18
	s_mov_b32 s17, exec_lo
	v_cmpx_gt_u32_e32 8, v18
; %bb.728:                              ;   in Loop: Header=BB215_553 Depth=1
	s_delay_alu instid0(VALU_DEP_3) | instskip(NEXT) | instid1(VALU_DEP_1)
	v_clz_i32_u32_e32 v14, v6
	v_min_u32_e32 v14, 32, v14
	s_delay_alu instid0(VALU_DEP_1) | instskip(SKIP_1) | instid1(VALU_DEP_2)
	v_subrev_nc_u32_e32 v15, 28, v14
	v_sub_nc_u32_e32 v14, 29, v14
	v_lshlrev_b64 v[18:19], v15, v[6:7]
	s_delay_alu instid0(VALU_DEP_1)
	v_and_b32_e32 v6, 7, v18
; %bb.729:                              ;   in Loop: Header=BB215_553 Depth=1
	s_or_b32 exec_lo, exec_lo, s17
	v_lshlrev_b32_e32 v15, 24, v118
	s_delay_alu instid0(VALU_DEP_2) | instskip(SKIP_1) | instid1(VALU_DEP_3)
	v_lshlrev_b32_e32 v6, 20, v6
	v_lshl_add_u32 v14, v14, 23, 0x3c000000
	v_and_b32_e32 v15, 0x80000000, v15
	s_delay_alu instid0(VALU_DEP_1) | instskip(NEXT) | instid1(VALU_DEP_1)
	v_or3_b32 v6, v6, v15, v14
	v_dual_mov_b32 v15, v7 :: v_dual_mov_b32 v14, v6
.LBB215_730:                            ;   in Loop: Header=BB215_553 Depth=1
	s_or_b32 exec_lo, exec_lo, s15
.LBB215_731:                            ;   in Loop: Header=BB215_553 Depth=1
	s_delay_alu instid0(SALU_CYCLE_1)
	s_or_b32 exec_lo, exec_lo, s13
.LBB215_732:                            ;   in Loop: Header=BB215_553 Depth=1
	s_delay_alu instid0(SALU_CYCLE_1) | instskip(SKIP_2) | instid1(VALU_DEP_1)
	s_or_b32 exec_lo, exec_lo, s10
	v_lshrrev_b16 v6, 8, v118
	s_mov_b32 s13, exec_lo
	v_cmpx_ne_u16_e32 0, v6
	s_cbranch_execz .LBB215_740
; %bb.733:                              ;   in Loop: Header=BB215_553 Depth=1
	v_dual_mov_b32 v17, s9 :: v_dual_mov_b32 v16, s8
	s_mov_b32 s15, exec_lo
	v_cmpx_ne_u16_e32 0x80, v6
	s_cbranch_execz .LBB215_739
; %bb.734:                              ;   in Loop: Header=BB215_553 Depth=1
	s_mov_b32 s10, s8
	v_dual_mov_b32 v17, s11 :: v_dual_and_b32 v6, 0xffff, v6
	v_mov_b32_e32 v16, s10
	s_mov_b32 s10, exec_lo
	s_delay_alu instid0(VALU_DEP_2) | instskip(NEXT) | instid1(VALU_DEP_1)
	v_and_b32_e32 v18, 0x7f, v6
	v_cmpx_ne_u32_e32 0x7f, v18
	s_cbranch_execz .LBB215_738
; %bb.735:                              ;   in Loop: Header=BB215_553 Depth=1
	v_and_b32_e32 v6, 7, v6
	v_lshrrev_b32_e32 v16, 3, v18
	s_mov_b32 s17, exec_lo
	v_cmpx_gt_u32_e32 8, v18
; %bb.736:                              ;   in Loop: Header=BB215_553 Depth=1
	s_delay_alu instid0(VALU_DEP_3) | instskip(NEXT) | instid1(VALU_DEP_1)
	v_clz_i32_u32_e32 v16, v6
	v_min_u32_e32 v16, 32, v16
	s_delay_alu instid0(VALU_DEP_1) | instskip(SKIP_1) | instid1(VALU_DEP_2)
	v_subrev_nc_u32_e32 v17, 28, v16
	v_sub_nc_u32_e32 v16, 29, v16
	v_lshlrev_b64 v[17:18], v17, v[6:7]
	s_delay_alu instid0(VALU_DEP_1)
	v_and_b32_e32 v6, 7, v17
; %bb.737:                              ;   in Loop: Header=BB215_553 Depth=1
	s_or_b32 exec_lo, exec_lo, s17
	v_lshlrev_b32_e32 v17, 16, v118
	s_delay_alu instid0(VALU_DEP_2) | instskip(SKIP_1) | instid1(VALU_DEP_3)
	v_lshlrev_b32_e32 v6, 20, v6
	v_lshl_add_u32 v16, v16, 23, 0x3c000000
	v_and_b32_e32 v17, 0x80000000, v17
	s_delay_alu instid0(VALU_DEP_1)
	v_or3_b32 v17, v6, v17, v16
	v_mov_b32_e32 v16, v7
.LBB215_738:                            ;   in Loop: Header=BB215_553 Depth=1
	s_or_b32 exec_lo, exec_lo, s10
.LBB215_739:                            ;   in Loop: Header=BB215_553 Depth=1
	s_delay_alu instid0(SALU_CYCLE_1)
	s_or_b32 exec_lo, exec_lo, s15
.LBB215_740:                            ;   in Loop: Header=BB215_553 Depth=1
	s_delay_alu instid0(SALU_CYCLE_1) | instskip(SKIP_3) | instid1(VALU_DEP_2)
	s_or_b32 exec_lo, exec_lo, s13
	v_lshrrev_b32_e32 v119, 16, v118
	v_mov_b32_e32 v23, 0
	v_mov_b32_e32 v24, 0
	;; [unrolled: 1-line block ×3, first 2 shown]
	s_mov_b32 s10, exec_lo
	s_delay_alu instid0(VALU_DEP_2) | instskip(NEXT) | instid1(VALU_DEP_1)
	v_dual_mov_b32 v19, v24 :: v_dual_and_b32 v6, 0xff, v119
	v_cmpx_ne_u16_e32 0, v6
	s_cbranch_execz .LBB215_748
; %bb.741:                              ;   in Loop: Header=BB215_553 Depth=1
	v_bfrev_b32_e32 v18, 1
	v_mov_b32_e32 v19, 0
	s_mov_b32 s13, exec_lo
	v_cmpx_ne_u16_e32 0x80, v6
	s_cbranch_execz .LBB215_747
; %bb.742:                              ;   in Loop: Header=BB215_553 Depth=1
	v_mov_b32_e32 v18, 0x7f800001
	v_bfe_u32 v128, v118, 16, 7
	v_mov_b32_e32 v19, 0
	s_mov_b32 s15, exec_lo
	s_delay_alu instid0(VALU_DEP_2)
	v_cmpx_ne_u32_e32 0x7f, v128
	s_cbranch_execz .LBB215_746
; %bb.743:                              ;   in Loop: Header=BB215_553 Depth=1
	v_and_b32_e32 v6, 7, v119
	v_lshrrev_b32_e32 v18, 3, v128
	s_mov_b32 s17, exec_lo
	v_cmpx_gt_u32_e32 8, v128
; %bb.744:                              ;   in Loop: Header=BB215_553 Depth=1
	s_delay_alu instid0(VALU_DEP_3) | instskip(NEXT) | instid1(VALU_DEP_1)
	v_clz_i32_u32_e32 v18, v6
	v_min_u32_e32 v18, 32, v18
	s_delay_alu instid0(VALU_DEP_1) | instskip(SKIP_1) | instid1(VALU_DEP_2)
	v_subrev_nc_u32_e32 v19, 28, v18
	v_sub_nc_u32_e32 v18, 29, v18
	v_lshlrev_b64 v[128:129], v19, v[6:7]
	s_delay_alu instid0(VALU_DEP_1)
	v_and_b32_e32 v6, 7, v128
; %bb.745:                              ;   in Loop: Header=BB215_553 Depth=1
	s_or_b32 exec_lo, exec_lo, s17
	v_lshlrev_b32_e32 v19, 24, v119
	s_delay_alu instid0(VALU_DEP_2) | instskip(SKIP_1) | instid1(VALU_DEP_3)
	v_lshlrev_b32_e32 v6, 20, v6
	v_lshl_add_u32 v18, v18, 23, 0x3c000000
	v_and_b32_e32 v19, 0x80000000, v19
	s_delay_alu instid0(VALU_DEP_1) | instskip(NEXT) | instid1(VALU_DEP_1)
	v_or3_b32 v6, v6, v19, v18
	v_dual_mov_b32 v19, v7 :: v_dual_mov_b32 v18, v6
.LBB215_746:                            ;   in Loop: Header=BB215_553 Depth=1
	s_or_b32 exec_lo, exec_lo, s15
.LBB215_747:                            ;   in Loop: Header=BB215_553 Depth=1
	s_delay_alu instid0(SALU_CYCLE_1)
	s_or_b32 exec_lo, exec_lo, s13
.LBB215_748:                            ;   in Loop: Header=BB215_553 Depth=1
	s_delay_alu instid0(SALU_CYCLE_1) | instskip(NEXT) | instid1(SALU_CYCLE_1)
	s_or_b32 exec_lo, exec_lo, s10
	s_mov_b32 s13, exec_lo
	v_cmpx_lt_u32_e32 0xffffff, v118
	s_cbranch_execz .LBB215_756
; %bb.749:                              ;   in Loop: Header=BB215_553 Depth=1
	v_lshrrev_b32_e32 v119, 24, v118
	v_dual_mov_b32 v24, s9 :: v_dual_mov_b32 v23, s8
	s_mov_b32 s15, exec_lo
	s_delay_alu instid0(VALU_DEP_2)
	v_cmpx_ne_u32_e32 0x80, v119
	s_cbranch_execz .LBB215_755
; %bb.750:                              ;   in Loop: Header=BB215_553 Depth=1
	s_mov_b32 s10, s8
	v_bfe_u32 v118, v118, 24, 7
	v_dual_mov_b32 v24, s11 :: v_dual_mov_b32 v23, s10
	s_mov_b32 s10, exec_lo
	s_delay_alu instid0(VALU_DEP_2)
	v_cmpx_ne_u32_e32 0x7f, v118
	s_cbranch_execz .LBB215_754
; %bb.751:                              ;   in Loop: Header=BB215_553 Depth=1
	v_and_b32_e32 v6, 7, v119
	v_lshrrev_b32_e32 v23, 3, v118
	s_mov_b32 s17, exec_lo
	v_cmpx_gt_u32_e32 8, v118
; %bb.752:                              ;   in Loop: Header=BB215_553 Depth=1
	s_delay_alu instid0(VALU_DEP_3) | instskip(NEXT) | instid1(VALU_DEP_1)
	v_clz_i32_u32_e32 v23, v6
	v_min_u32_e32 v23, 32, v23
	s_delay_alu instid0(VALU_DEP_1) | instskip(SKIP_1) | instid1(VALU_DEP_2)
	v_subrev_nc_u32_e32 v24, 28, v23
	v_sub_nc_u32_e32 v23, 29, v23
	v_lshlrev_b64 v[128:129], v24, v[6:7]
	s_delay_alu instid0(VALU_DEP_1)
	v_and_b32_e32 v6, 7, v128
; %bb.753:                              ;   in Loop: Header=BB215_553 Depth=1
	s_or_b32 exec_lo, exec_lo, s17
	v_lshlrev_b32_e32 v24, 24, v119
	s_delay_alu instid0(VALU_DEP_2) | instskip(SKIP_1) | instid1(VALU_DEP_3)
	v_lshlrev_b32_e32 v6, 20, v6
	v_lshl_add_u32 v23, v23, 23, 0x3c000000
	v_and_b32_e32 v24, 0x80000000, v24
	s_delay_alu instid0(VALU_DEP_1)
	v_or3_b32 v24, v6, v24, v23
	v_mov_b32_e32 v23, v7
.LBB215_754:                            ;   in Loop: Header=BB215_553 Depth=1
	s_or_b32 exec_lo, exec_lo, s10
.LBB215_755:                            ;   in Loop: Header=BB215_553 Depth=1
	s_delay_alu instid0(SALU_CYCLE_1)
	s_or_b32 exec_lo, exec_lo, s15
.LBB215_756:                            ;   in Loop: Header=BB215_553 Depth=1
	s_delay_alu instid0(SALU_CYCLE_1) | instskip(SKIP_4) | instid1(VALU_DEP_4)
	s_or_b32 exec_lo, exec_lo, s13
	v_or_b32_e32 v6, v17, v15
	v_or_b32_e32 v14, v16, v14
	;; [unrolled: 1-line block ×4, first 2 shown]
	v_mul_f32_e32 v129, v68, v6
	s_delay_alu instid0(VALU_DEP_4) | instskip(NEXT) | instid1(VALU_DEP_4)
	v_mul_f32_e32 v128, v68, v14
	v_mul_f32_e32 v118, v68, v15
	s_delay_alu instid0(VALU_DEP_4)
	v_mul_f32_e32 v119, v68, v16
	s_and_saveexec_b32 s10, vcc_lo
; %bb.757:                              ;   in Loop: Header=BB215_553 Depth=1
	v_cmp_lt_i32_e64 s0, v81, v134
	s_delay_alu instid0(VALU_DEP_1) | instskip(SKIP_1) | instid1(VALU_DEP_1)
	v_cndmask_b32_e64 v128, 0, v128, s0
	v_cmp_lt_i32_e64 s0, v84, v134
	v_cndmask_b32_e64 v129, 0, v129, s0
	v_cmp_lt_i32_e64 s0, v83, v134
	s_delay_alu instid0(VALU_DEP_1) | instskip(SKIP_1) | instid1(VALU_DEP_1)
	v_cndmask_b32_e64 v119, 0, v119, s0
	v_cmp_lt_i32_e64 s0, v82, v134
	v_cndmask_b32_e64 v118, 0, v118, s0
; %bb.758:                              ;   in Loop: Header=BB215_553 Depth=1
	s_or_b32 exec_lo, exec_lo, s10
	flat_load_b32 v130, v[12:13] offset:768
	v_mov_b32_e32 v16, 0
	v_mov_b32_e32 v17, 0
	s_mov_b32 s10, exec_lo
	s_waitcnt vmcnt(0) lgkmcnt(0)
	v_and_b32_e32 v6, 0xff, v130
	s_delay_alu instid0(VALU_DEP_2) | instskip(NEXT) | instid1(VALU_DEP_2)
	v_dual_mov_b32 v14, v16 :: v_dual_mov_b32 v15, v17
	v_cmpx_ne_u16_e32 0, v6
	s_cbranch_execz .LBB215_766
; %bb.759:                              ;   in Loop: Header=BB215_553 Depth=1
	v_bfrev_b32_e32 v14, 1
	v_mov_b32_e32 v15, 0
	s_mov_b32 s13, exec_lo
	v_cmpx_ne_u16_e32 0x80, v6
	s_cbranch_execz .LBB215_765
; %bb.760:                              ;   in Loop: Header=BB215_553 Depth=1
	v_mov_b32_e32 v14, 0x7f800001
	v_dual_mov_b32 v15, 0 :: v_dual_and_b32 v18, 0x7f, v130
	s_mov_b32 s15, exec_lo
	s_delay_alu instid0(VALU_DEP_1)
	v_cmpx_ne_u32_e32 0x7f, v18
	s_cbranch_execz .LBB215_764
; %bb.761:                              ;   in Loop: Header=BB215_553 Depth=1
	v_and_b32_e32 v6, 7, v130
	v_lshrrev_b32_e32 v14, 3, v18
	s_mov_b32 s17, exec_lo
	v_cmpx_gt_u32_e32 8, v18
; %bb.762:                              ;   in Loop: Header=BB215_553 Depth=1
	s_delay_alu instid0(VALU_DEP_3) | instskip(NEXT) | instid1(VALU_DEP_1)
	v_clz_i32_u32_e32 v14, v6
	v_min_u32_e32 v14, 32, v14
	s_delay_alu instid0(VALU_DEP_1) | instskip(SKIP_1) | instid1(VALU_DEP_2)
	v_subrev_nc_u32_e32 v15, 28, v14
	v_sub_nc_u32_e32 v14, 29, v14
	v_lshlrev_b64 v[18:19], v15, v[6:7]
	s_delay_alu instid0(VALU_DEP_1)
	v_and_b32_e32 v6, 7, v18
; %bb.763:                              ;   in Loop: Header=BB215_553 Depth=1
	s_or_b32 exec_lo, exec_lo, s17
	v_lshlrev_b32_e32 v15, 24, v130
	s_delay_alu instid0(VALU_DEP_2) | instskip(SKIP_1) | instid1(VALU_DEP_3)
	v_lshlrev_b32_e32 v6, 20, v6
	v_lshl_add_u32 v14, v14, 23, 0x3c000000
	v_and_b32_e32 v15, 0x80000000, v15
	s_delay_alu instid0(VALU_DEP_1) | instskip(NEXT) | instid1(VALU_DEP_1)
	v_or3_b32 v6, v6, v15, v14
	v_dual_mov_b32 v15, v7 :: v_dual_mov_b32 v14, v6
.LBB215_764:                            ;   in Loop: Header=BB215_553 Depth=1
	s_or_b32 exec_lo, exec_lo, s15
.LBB215_765:                            ;   in Loop: Header=BB215_553 Depth=1
	s_delay_alu instid0(SALU_CYCLE_1)
	s_or_b32 exec_lo, exec_lo, s13
.LBB215_766:                            ;   in Loop: Header=BB215_553 Depth=1
	s_delay_alu instid0(SALU_CYCLE_1) | instskip(SKIP_2) | instid1(VALU_DEP_1)
	s_or_b32 exec_lo, exec_lo, s10
	v_lshrrev_b16 v6, 8, v130
	s_mov_b32 s13, exec_lo
	v_cmpx_ne_u16_e32 0, v6
	s_cbranch_execz .LBB215_774
; %bb.767:                              ;   in Loop: Header=BB215_553 Depth=1
	v_dual_mov_b32 v17, s9 :: v_dual_mov_b32 v16, s8
	s_mov_b32 s15, exec_lo
	v_cmpx_ne_u16_e32 0x80, v6
	s_cbranch_execz .LBB215_773
; %bb.768:                              ;   in Loop: Header=BB215_553 Depth=1
	s_mov_b32 s10, s8
	v_dual_mov_b32 v17, s11 :: v_dual_and_b32 v6, 0xffff, v6
	v_mov_b32_e32 v16, s10
	s_mov_b32 s10, exec_lo
	s_delay_alu instid0(VALU_DEP_2) | instskip(NEXT) | instid1(VALU_DEP_1)
	v_and_b32_e32 v18, 0x7f, v6
	v_cmpx_ne_u32_e32 0x7f, v18
	s_cbranch_execz .LBB215_772
; %bb.769:                              ;   in Loop: Header=BB215_553 Depth=1
	v_and_b32_e32 v6, 7, v6
	v_lshrrev_b32_e32 v16, 3, v18
	s_mov_b32 s17, exec_lo
	v_cmpx_gt_u32_e32 8, v18
; %bb.770:                              ;   in Loop: Header=BB215_553 Depth=1
	s_delay_alu instid0(VALU_DEP_3) | instskip(NEXT) | instid1(VALU_DEP_1)
	v_clz_i32_u32_e32 v16, v6
	v_min_u32_e32 v16, 32, v16
	s_delay_alu instid0(VALU_DEP_1) | instskip(SKIP_1) | instid1(VALU_DEP_2)
	v_subrev_nc_u32_e32 v17, 28, v16
	v_sub_nc_u32_e32 v16, 29, v16
	v_lshlrev_b64 v[17:18], v17, v[6:7]
	s_delay_alu instid0(VALU_DEP_1)
	v_and_b32_e32 v6, 7, v17
; %bb.771:                              ;   in Loop: Header=BB215_553 Depth=1
	s_or_b32 exec_lo, exec_lo, s17
	v_lshlrev_b32_e32 v17, 16, v130
	s_delay_alu instid0(VALU_DEP_2) | instskip(SKIP_1) | instid1(VALU_DEP_3)
	v_lshlrev_b32_e32 v6, 20, v6
	v_lshl_add_u32 v16, v16, 23, 0x3c000000
	v_and_b32_e32 v17, 0x80000000, v17
	s_delay_alu instid0(VALU_DEP_1)
	v_or3_b32 v17, v6, v17, v16
	v_mov_b32_e32 v16, v7
.LBB215_772:                            ;   in Loop: Header=BB215_553 Depth=1
	s_or_b32 exec_lo, exec_lo, s10
.LBB215_773:                            ;   in Loop: Header=BB215_553 Depth=1
	s_delay_alu instid0(SALU_CYCLE_1)
	s_or_b32 exec_lo, exec_lo, s15
.LBB215_774:                            ;   in Loop: Header=BB215_553 Depth=1
	s_delay_alu instid0(SALU_CYCLE_1) | instskip(SKIP_3) | instid1(VALU_DEP_2)
	s_or_b32 exec_lo, exec_lo, s13
	v_lshrrev_b32_e32 v131, 16, v130
	v_mov_b32_e32 v23, 0
	v_mov_b32_e32 v24, 0
	;; [unrolled: 1-line block ×3, first 2 shown]
	s_mov_b32 s10, exec_lo
	s_delay_alu instid0(VALU_DEP_2) | instskip(NEXT) | instid1(VALU_DEP_1)
	v_dual_mov_b32 v19, v24 :: v_dual_and_b32 v6, 0xff, v131
	v_cmpx_ne_u16_e32 0, v6
	s_cbranch_execz .LBB215_782
; %bb.775:                              ;   in Loop: Header=BB215_553 Depth=1
	v_bfrev_b32_e32 v18, 1
	v_mov_b32_e32 v19, 0
	s_mov_b32 s13, exec_lo
	v_cmpx_ne_u16_e32 0x80, v6
	s_cbranch_execz .LBB215_781
; %bb.776:                              ;   in Loop: Header=BB215_553 Depth=1
	v_mov_b32_e32 v18, 0x7f800001
	v_bfe_u32 v132, v130, 16, 7
	v_mov_b32_e32 v19, 0
	s_mov_b32 s15, exec_lo
	s_delay_alu instid0(VALU_DEP_2)
	v_cmpx_ne_u32_e32 0x7f, v132
	s_cbranch_execz .LBB215_780
; %bb.777:                              ;   in Loop: Header=BB215_553 Depth=1
	v_and_b32_e32 v6, 7, v131
	v_lshrrev_b32_e32 v18, 3, v132
	s_mov_b32 s17, exec_lo
	v_cmpx_gt_u32_e32 8, v132
; %bb.778:                              ;   in Loop: Header=BB215_553 Depth=1
	s_delay_alu instid0(VALU_DEP_3) | instskip(NEXT) | instid1(VALU_DEP_1)
	v_clz_i32_u32_e32 v18, v6
	v_min_u32_e32 v18, 32, v18
	s_delay_alu instid0(VALU_DEP_1) | instskip(SKIP_1) | instid1(VALU_DEP_2)
	v_subrev_nc_u32_e32 v19, 28, v18
	v_sub_nc_u32_e32 v18, 29, v18
	v_lshlrev_b64 v[132:133], v19, v[6:7]
	s_delay_alu instid0(VALU_DEP_1)
	v_and_b32_e32 v6, 7, v132
; %bb.779:                              ;   in Loop: Header=BB215_553 Depth=1
	s_or_b32 exec_lo, exec_lo, s17
	v_lshlrev_b32_e32 v19, 24, v131
	s_delay_alu instid0(VALU_DEP_2) | instskip(SKIP_1) | instid1(VALU_DEP_3)
	v_lshlrev_b32_e32 v6, 20, v6
	v_lshl_add_u32 v18, v18, 23, 0x3c000000
	v_and_b32_e32 v19, 0x80000000, v19
	s_delay_alu instid0(VALU_DEP_1) | instskip(NEXT) | instid1(VALU_DEP_1)
	v_or3_b32 v6, v6, v19, v18
	v_dual_mov_b32 v19, v7 :: v_dual_mov_b32 v18, v6
.LBB215_780:                            ;   in Loop: Header=BB215_553 Depth=1
	s_or_b32 exec_lo, exec_lo, s15
.LBB215_781:                            ;   in Loop: Header=BB215_553 Depth=1
	s_delay_alu instid0(SALU_CYCLE_1)
	s_or_b32 exec_lo, exec_lo, s13
.LBB215_782:                            ;   in Loop: Header=BB215_553 Depth=1
	s_delay_alu instid0(SALU_CYCLE_1) | instskip(NEXT) | instid1(SALU_CYCLE_1)
	s_or_b32 exec_lo, exec_lo, s10
	s_mov_b32 s13, exec_lo
	v_cmpx_lt_u32_e32 0xffffff, v130
	s_cbranch_execz .LBB215_790
; %bb.783:                              ;   in Loop: Header=BB215_553 Depth=1
	v_lshrrev_b32_e32 v131, 24, v130
	v_dual_mov_b32 v24, s9 :: v_dual_mov_b32 v23, s8
	s_mov_b32 s15, exec_lo
	s_delay_alu instid0(VALU_DEP_2)
	v_cmpx_ne_u32_e32 0x80, v131
	s_cbranch_execz .LBB215_789
; %bb.784:                              ;   in Loop: Header=BB215_553 Depth=1
	s_mov_b32 s10, s8
	v_bfe_u32 v130, v130, 24, 7
	v_dual_mov_b32 v24, s11 :: v_dual_mov_b32 v23, s10
	s_mov_b32 s10, exec_lo
	s_delay_alu instid0(VALU_DEP_2)
	v_cmpx_ne_u32_e32 0x7f, v130
	s_cbranch_execz .LBB215_788
; %bb.785:                              ;   in Loop: Header=BB215_553 Depth=1
	v_and_b32_e32 v6, 7, v131
	v_lshrrev_b32_e32 v23, 3, v130
	s_mov_b32 s17, exec_lo
	v_cmpx_gt_u32_e32 8, v130
; %bb.786:                              ;   in Loop: Header=BB215_553 Depth=1
	s_delay_alu instid0(VALU_DEP_3) | instskip(NEXT) | instid1(VALU_DEP_1)
	v_clz_i32_u32_e32 v23, v6
	v_min_u32_e32 v23, 32, v23
	s_delay_alu instid0(VALU_DEP_1) | instskip(SKIP_1) | instid1(VALU_DEP_2)
	v_subrev_nc_u32_e32 v24, 28, v23
	v_sub_nc_u32_e32 v23, 29, v23
	v_lshlrev_b64 v[132:133], v24, v[6:7]
	s_delay_alu instid0(VALU_DEP_1)
	v_and_b32_e32 v6, 7, v132
; %bb.787:                              ;   in Loop: Header=BB215_553 Depth=1
	s_or_b32 exec_lo, exec_lo, s17
	v_lshlrev_b32_e32 v24, 24, v131
	s_delay_alu instid0(VALU_DEP_2) | instskip(SKIP_1) | instid1(VALU_DEP_3)
	v_lshlrev_b32_e32 v6, 20, v6
	v_lshl_add_u32 v23, v23, 23, 0x3c000000
	v_and_b32_e32 v24, 0x80000000, v24
	s_delay_alu instid0(VALU_DEP_1)
	v_or3_b32 v24, v6, v24, v23
	v_mov_b32_e32 v23, v7
.LBB215_788:                            ;   in Loop: Header=BB215_553 Depth=1
	s_or_b32 exec_lo, exec_lo, s10
.LBB215_789:                            ;   in Loop: Header=BB215_553 Depth=1
	s_delay_alu instid0(SALU_CYCLE_1)
	s_or_b32 exec_lo, exec_lo, s15
.LBB215_790:                            ;   in Loop: Header=BB215_553 Depth=1
	s_delay_alu instid0(SALU_CYCLE_1) | instskip(SKIP_4) | instid1(VALU_DEP_4)
	s_or_b32 exec_lo, exec_lo, s13
	v_or_b32_e32 v6, v17, v15
	v_or_b32_e32 v14, v16, v14
	;; [unrolled: 1-line block ×4, first 2 shown]
	v_mul_f32_e32 v133, v68, v6
	s_delay_alu instid0(VALU_DEP_4) | instskip(NEXT) | instid1(VALU_DEP_4)
	v_mul_f32_e32 v132, v68, v14
	v_mul_f32_e32 v130, v68, v15
	s_delay_alu instid0(VALU_DEP_4)
	v_mul_f32_e32 v131, v68, v16
	s_and_saveexec_b32 s10, vcc_lo
; %bb.791:                              ;   in Loop: Header=BB215_553 Depth=1
	v_cmp_lt_i32_e64 s0, v81, v134
	s_delay_alu instid0(VALU_DEP_1) | instskip(SKIP_1) | instid1(VALU_DEP_1)
	v_cndmask_b32_e64 v132, 0, v132, s0
	v_cmp_lt_i32_e64 s0, v84, v134
	v_cndmask_b32_e64 v133, 0, v133, s0
	v_cmp_lt_i32_e64 s0, v83, v134
	s_delay_alu instid0(VALU_DEP_1) | instskip(SKIP_1) | instid1(VALU_DEP_1)
	v_cndmask_b32_e64 v131, 0, v131, s0
	v_cmp_lt_i32_e64 s0, v82, v134
	v_cndmask_b32_e64 v130, 0, v130, s0
; %bb.792:                              ;   in Loop: Header=BB215_553 Depth=1
	s_or_b32 exec_lo, exec_lo, s10
	flat_load_b32 v149, v[12:13] offset:896
	v_mov_b32_e32 v16, 0
	v_mov_b32_e32 v17, 0
	s_mov_b32 s10, exec_lo
	s_waitcnt vmcnt(0) lgkmcnt(0)
	v_and_b32_e32 v6, 0xff, v149
	s_delay_alu instid0(VALU_DEP_2) | instskip(NEXT) | instid1(VALU_DEP_2)
	v_dual_mov_b32 v14, v16 :: v_dual_mov_b32 v15, v17
	v_cmpx_ne_u16_e32 0, v6
	s_cbranch_execz .LBB215_800
; %bb.793:                              ;   in Loop: Header=BB215_553 Depth=1
	v_bfrev_b32_e32 v14, 1
	v_mov_b32_e32 v15, 0
	s_mov_b32 s13, exec_lo
	v_cmpx_ne_u16_e32 0x80, v6
	s_cbranch_execz .LBB215_799
; %bb.794:                              ;   in Loop: Header=BB215_553 Depth=1
	v_mov_b32_e32 v14, 0x7f800001
	v_dual_mov_b32 v15, 0 :: v_dual_and_b32 v18, 0x7f, v149
	s_mov_b32 s15, exec_lo
	s_delay_alu instid0(VALU_DEP_1)
	v_cmpx_ne_u32_e32 0x7f, v18
	s_cbranch_execz .LBB215_798
; %bb.795:                              ;   in Loop: Header=BB215_553 Depth=1
	v_and_b32_e32 v6, 7, v149
	v_lshrrev_b32_e32 v14, 3, v18
	s_mov_b32 s17, exec_lo
	v_cmpx_gt_u32_e32 8, v18
; %bb.796:                              ;   in Loop: Header=BB215_553 Depth=1
	s_delay_alu instid0(VALU_DEP_3) | instskip(NEXT) | instid1(VALU_DEP_1)
	v_clz_i32_u32_e32 v14, v6
	v_min_u32_e32 v14, 32, v14
	s_delay_alu instid0(VALU_DEP_1) | instskip(SKIP_1) | instid1(VALU_DEP_2)
	v_subrev_nc_u32_e32 v15, 28, v14
	v_sub_nc_u32_e32 v14, 29, v14
	v_lshlrev_b64 v[18:19], v15, v[6:7]
	s_delay_alu instid0(VALU_DEP_1)
	v_and_b32_e32 v6, 7, v18
; %bb.797:                              ;   in Loop: Header=BB215_553 Depth=1
	s_or_b32 exec_lo, exec_lo, s17
	v_lshlrev_b32_e32 v15, 24, v149
	s_delay_alu instid0(VALU_DEP_2) | instskip(SKIP_1) | instid1(VALU_DEP_3)
	v_lshlrev_b32_e32 v6, 20, v6
	v_lshl_add_u32 v14, v14, 23, 0x3c000000
	v_and_b32_e32 v15, 0x80000000, v15
	s_delay_alu instid0(VALU_DEP_1) | instskip(NEXT) | instid1(VALU_DEP_1)
	v_or3_b32 v6, v6, v15, v14
	v_dual_mov_b32 v15, v7 :: v_dual_mov_b32 v14, v6
.LBB215_798:                            ;   in Loop: Header=BB215_553 Depth=1
	s_or_b32 exec_lo, exec_lo, s15
.LBB215_799:                            ;   in Loop: Header=BB215_553 Depth=1
	s_delay_alu instid0(SALU_CYCLE_1)
	s_or_b32 exec_lo, exec_lo, s13
.LBB215_800:                            ;   in Loop: Header=BB215_553 Depth=1
	s_delay_alu instid0(SALU_CYCLE_1) | instskip(SKIP_2) | instid1(VALU_DEP_1)
	s_or_b32 exec_lo, exec_lo, s10
	v_lshrrev_b16 v6, 8, v149
	s_mov_b32 s13, exec_lo
	v_cmpx_ne_u16_e32 0, v6
	s_cbranch_execz .LBB215_808
; %bb.801:                              ;   in Loop: Header=BB215_553 Depth=1
	v_dual_mov_b32 v17, s9 :: v_dual_mov_b32 v16, s8
	s_mov_b32 s15, exec_lo
	v_cmpx_ne_u16_e32 0x80, v6
	s_cbranch_execz .LBB215_807
; %bb.802:                              ;   in Loop: Header=BB215_553 Depth=1
	s_mov_b32 s10, s8
	v_dual_mov_b32 v17, s11 :: v_dual_and_b32 v6, 0xffff, v6
	v_mov_b32_e32 v16, s10
	s_mov_b32 s10, exec_lo
	s_delay_alu instid0(VALU_DEP_2) | instskip(NEXT) | instid1(VALU_DEP_1)
	v_and_b32_e32 v18, 0x7f, v6
	v_cmpx_ne_u32_e32 0x7f, v18
	s_cbranch_execz .LBB215_806
; %bb.803:                              ;   in Loop: Header=BB215_553 Depth=1
	v_and_b32_e32 v6, 7, v6
	v_lshrrev_b32_e32 v16, 3, v18
	s_mov_b32 s17, exec_lo
	v_cmpx_gt_u32_e32 8, v18
; %bb.804:                              ;   in Loop: Header=BB215_553 Depth=1
	s_delay_alu instid0(VALU_DEP_3) | instskip(NEXT) | instid1(VALU_DEP_1)
	v_clz_i32_u32_e32 v16, v6
	v_min_u32_e32 v16, 32, v16
	s_delay_alu instid0(VALU_DEP_1) | instskip(SKIP_1) | instid1(VALU_DEP_2)
	v_subrev_nc_u32_e32 v17, 28, v16
	v_sub_nc_u32_e32 v16, 29, v16
	v_lshlrev_b64 v[17:18], v17, v[6:7]
	s_delay_alu instid0(VALU_DEP_1)
	v_and_b32_e32 v6, 7, v17
; %bb.805:                              ;   in Loop: Header=BB215_553 Depth=1
	s_or_b32 exec_lo, exec_lo, s17
	v_lshlrev_b32_e32 v17, 16, v149
	s_delay_alu instid0(VALU_DEP_2) | instskip(SKIP_1) | instid1(VALU_DEP_3)
	v_lshlrev_b32_e32 v6, 20, v6
	v_lshl_add_u32 v16, v16, 23, 0x3c000000
	v_and_b32_e32 v17, 0x80000000, v17
	s_delay_alu instid0(VALU_DEP_1)
	v_or3_b32 v17, v6, v17, v16
	v_mov_b32_e32 v16, v7
.LBB215_806:                            ;   in Loop: Header=BB215_553 Depth=1
	s_or_b32 exec_lo, exec_lo, s10
.LBB215_807:                            ;   in Loop: Header=BB215_553 Depth=1
	s_delay_alu instid0(SALU_CYCLE_1)
	s_or_b32 exec_lo, exec_lo, s15
.LBB215_808:                            ;   in Loop: Header=BB215_553 Depth=1
	s_delay_alu instid0(SALU_CYCLE_1) | instskip(SKIP_3) | instid1(VALU_DEP_2)
	s_or_b32 exec_lo, exec_lo, s13
	v_lshrrev_b32_e32 v150, 16, v149
	v_mov_b32_e32 v23, 0
	v_mov_b32_e32 v24, 0
	;; [unrolled: 1-line block ×3, first 2 shown]
	s_mov_b32 s10, exec_lo
	s_delay_alu instid0(VALU_DEP_2) | instskip(NEXT) | instid1(VALU_DEP_1)
	v_dual_mov_b32 v19, v24 :: v_dual_and_b32 v6, 0xff, v150
	v_cmpx_ne_u16_e32 0, v6
	s_cbranch_execz .LBB215_816
; %bb.809:                              ;   in Loop: Header=BB215_553 Depth=1
	v_bfrev_b32_e32 v18, 1
	v_mov_b32_e32 v19, 0
	s_mov_b32 s13, exec_lo
	v_cmpx_ne_u16_e32 0x80, v6
	s_cbranch_execz .LBB215_815
; %bb.810:                              ;   in Loop: Header=BB215_553 Depth=1
	v_mov_b32_e32 v18, 0x7f800001
	v_bfe_u32 v151, v149, 16, 7
	v_mov_b32_e32 v19, 0
	s_mov_b32 s15, exec_lo
	s_delay_alu instid0(VALU_DEP_2)
	v_cmpx_ne_u32_e32 0x7f, v151
	s_cbranch_execz .LBB215_814
; %bb.811:                              ;   in Loop: Header=BB215_553 Depth=1
	v_and_b32_e32 v6, 7, v150
	v_lshrrev_b32_e32 v18, 3, v151
	s_mov_b32 s17, exec_lo
	v_cmpx_gt_u32_e32 8, v151
; %bb.812:                              ;   in Loop: Header=BB215_553 Depth=1
	s_delay_alu instid0(VALU_DEP_3) | instskip(NEXT) | instid1(VALU_DEP_1)
	v_clz_i32_u32_e32 v18, v6
	v_min_u32_e32 v18, 32, v18
	s_delay_alu instid0(VALU_DEP_1) | instskip(SKIP_1) | instid1(VALU_DEP_2)
	v_subrev_nc_u32_e32 v19, 28, v18
	v_sub_nc_u32_e32 v18, 29, v18
	v_lshlrev_b64 v[160:161], v19, v[6:7]
	s_delay_alu instid0(VALU_DEP_1)
	v_and_b32_e32 v6, 7, v160
; %bb.813:                              ;   in Loop: Header=BB215_553 Depth=1
	s_or_b32 exec_lo, exec_lo, s17
	v_lshlrev_b32_e32 v19, 24, v150
	s_delay_alu instid0(VALU_DEP_2) | instskip(SKIP_1) | instid1(VALU_DEP_3)
	v_lshlrev_b32_e32 v6, 20, v6
	v_lshl_add_u32 v18, v18, 23, 0x3c000000
	v_and_b32_e32 v19, 0x80000000, v19
	s_delay_alu instid0(VALU_DEP_1) | instskip(NEXT) | instid1(VALU_DEP_1)
	v_or3_b32 v6, v6, v19, v18
	v_dual_mov_b32 v19, v7 :: v_dual_mov_b32 v18, v6
.LBB215_814:                            ;   in Loop: Header=BB215_553 Depth=1
	s_or_b32 exec_lo, exec_lo, s15
.LBB215_815:                            ;   in Loop: Header=BB215_553 Depth=1
	s_delay_alu instid0(SALU_CYCLE_1)
	s_or_b32 exec_lo, exec_lo, s13
.LBB215_816:                            ;   in Loop: Header=BB215_553 Depth=1
	s_delay_alu instid0(SALU_CYCLE_1) | instskip(NEXT) | instid1(SALU_CYCLE_1)
	s_or_b32 exec_lo, exec_lo, s10
	s_mov_b32 s13, exec_lo
	v_cmpx_lt_u32_e32 0xffffff, v149
	s_cbranch_execz .LBB215_824
; %bb.817:                              ;   in Loop: Header=BB215_553 Depth=1
	v_lshrrev_b32_e32 v150, 24, v149
	v_dual_mov_b32 v24, s9 :: v_dual_mov_b32 v23, s8
	s_mov_b32 s15, exec_lo
	s_delay_alu instid0(VALU_DEP_2)
	v_cmpx_ne_u32_e32 0x80, v150
	s_cbranch_execz .LBB215_823
; %bb.818:                              ;   in Loop: Header=BB215_553 Depth=1
	s_mov_b32 s10, s8
	v_bfe_u32 v149, v149, 24, 7
	v_dual_mov_b32 v24, s11 :: v_dual_mov_b32 v23, s10
	s_mov_b32 s10, exec_lo
	s_delay_alu instid0(VALU_DEP_2)
	v_cmpx_ne_u32_e32 0x7f, v149
	s_cbranch_execz .LBB215_822
; %bb.819:                              ;   in Loop: Header=BB215_553 Depth=1
	v_and_b32_e32 v6, 7, v150
	v_lshrrev_b32_e32 v23, 3, v149
	s_mov_b32 s17, exec_lo
	v_cmpx_gt_u32_e32 8, v149
; %bb.820:                              ;   in Loop: Header=BB215_553 Depth=1
	s_delay_alu instid0(VALU_DEP_3) | instskip(NEXT) | instid1(VALU_DEP_1)
	v_clz_i32_u32_e32 v23, v6
	v_min_u32_e32 v23, 32, v23
	s_delay_alu instid0(VALU_DEP_1) | instskip(SKIP_1) | instid1(VALU_DEP_2)
	v_subrev_nc_u32_e32 v24, 28, v23
	v_sub_nc_u32_e32 v23, 29, v23
	v_lshlrev_b64 v[160:161], v24, v[6:7]
	s_delay_alu instid0(VALU_DEP_1)
	v_and_b32_e32 v6, 7, v160
; %bb.821:                              ;   in Loop: Header=BB215_553 Depth=1
	s_or_b32 exec_lo, exec_lo, s17
	v_lshlrev_b32_e32 v24, 24, v150
	s_delay_alu instid0(VALU_DEP_2) | instskip(SKIP_1) | instid1(VALU_DEP_3)
	v_lshlrev_b32_e32 v6, 20, v6
	v_lshl_add_u32 v23, v23, 23, 0x3c000000
	v_and_b32_e32 v24, 0x80000000, v24
	s_delay_alu instid0(VALU_DEP_1)
	v_or3_b32 v24, v6, v24, v23
	v_mov_b32_e32 v23, v7
.LBB215_822:                            ;   in Loop: Header=BB215_553 Depth=1
	s_or_b32 exec_lo, exec_lo, s10
.LBB215_823:                            ;   in Loop: Header=BB215_553 Depth=1
	s_delay_alu instid0(SALU_CYCLE_1)
	s_or_b32 exec_lo, exec_lo, s15
.LBB215_824:                            ;   in Loop: Header=BB215_553 Depth=1
	s_delay_alu instid0(SALU_CYCLE_1) | instskip(SKIP_4) | instid1(VALU_DEP_4)
	s_or_b32 exec_lo, exec_lo, s13
	v_or_b32_e32 v6, v17, v15
	v_or_b32_e32 v14, v16, v14
	;; [unrolled: 1-line block ×4, first 2 shown]
	v_mul_f32_e32 v160, v68, v6
	s_delay_alu instid0(VALU_DEP_4) | instskip(NEXT) | instid1(VALU_DEP_4)
	v_mul_f32_e32 v151, v68, v14
	v_mul_f32_e32 v149, v68, v15
	s_delay_alu instid0(VALU_DEP_4)
	v_mul_f32_e32 v150, v68, v16
	s_and_saveexec_b32 s10, vcc_lo
; %bb.825:                              ;   in Loop: Header=BB215_553 Depth=1
	v_cmp_lt_i32_e64 s0, v81, v134
	s_delay_alu instid0(VALU_DEP_1) | instskip(SKIP_1) | instid1(VALU_DEP_1)
	v_cndmask_b32_e64 v151, 0, v151, s0
	v_cmp_lt_i32_e64 s0, v84, v134
	v_cndmask_b32_e64 v160, 0, v160, s0
	v_cmp_lt_i32_e64 s0, v83, v134
	s_delay_alu instid0(VALU_DEP_1) | instskip(SKIP_1) | instid1(VALU_DEP_1)
	v_cndmask_b32_e64 v150, 0, v150, s0
	v_cmp_lt_i32_e64 s0, v82, v134
	v_cndmask_b32_e64 v149, 0, v149, s0
; %bb.826:                              ;   in Loop: Header=BB215_553 Depth=1
	s_or_b32 exec_lo, exec_lo, s10
	flat_load_b32 v161, v[12:13] offset:1024
	v_mov_b32_e32 v16, 0
	v_mov_b32_e32 v17, 0
	s_mov_b32 s10, exec_lo
	s_waitcnt vmcnt(0) lgkmcnt(0)
	v_and_b32_e32 v6, 0xff, v161
	s_delay_alu instid0(VALU_DEP_2) | instskip(NEXT) | instid1(VALU_DEP_2)
	v_dual_mov_b32 v14, v16 :: v_dual_mov_b32 v15, v17
	v_cmpx_ne_u16_e32 0, v6
	s_cbranch_execz .LBB215_834
; %bb.827:                              ;   in Loop: Header=BB215_553 Depth=1
	v_bfrev_b32_e32 v14, 1
	v_mov_b32_e32 v15, 0
	s_mov_b32 s13, exec_lo
	v_cmpx_ne_u16_e32 0x80, v6
	s_cbranch_execz .LBB215_833
; %bb.828:                              ;   in Loop: Header=BB215_553 Depth=1
	v_mov_b32_e32 v14, 0x7f800001
	v_dual_mov_b32 v15, 0 :: v_dual_and_b32 v18, 0x7f, v161
	s_mov_b32 s15, exec_lo
	s_delay_alu instid0(VALU_DEP_1)
	v_cmpx_ne_u32_e32 0x7f, v18
	s_cbranch_execz .LBB215_832
; %bb.829:                              ;   in Loop: Header=BB215_553 Depth=1
	v_and_b32_e32 v6, 7, v161
	v_lshrrev_b32_e32 v14, 3, v18
	s_mov_b32 s17, exec_lo
	v_cmpx_gt_u32_e32 8, v18
; %bb.830:                              ;   in Loop: Header=BB215_553 Depth=1
	s_delay_alu instid0(VALU_DEP_3) | instskip(NEXT) | instid1(VALU_DEP_1)
	v_clz_i32_u32_e32 v14, v6
	v_min_u32_e32 v14, 32, v14
	s_delay_alu instid0(VALU_DEP_1) | instskip(SKIP_1) | instid1(VALU_DEP_2)
	v_subrev_nc_u32_e32 v15, 28, v14
	v_sub_nc_u32_e32 v14, 29, v14
	v_lshlrev_b64 v[18:19], v15, v[6:7]
	s_delay_alu instid0(VALU_DEP_1)
	v_and_b32_e32 v6, 7, v18
; %bb.831:                              ;   in Loop: Header=BB215_553 Depth=1
	s_or_b32 exec_lo, exec_lo, s17
	v_lshlrev_b32_e32 v15, 24, v161
	s_delay_alu instid0(VALU_DEP_2) | instskip(SKIP_1) | instid1(VALU_DEP_3)
	v_lshlrev_b32_e32 v6, 20, v6
	v_lshl_add_u32 v14, v14, 23, 0x3c000000
	v_and_b32_e32 v15, 0x80000000, v15
	s_delay_alu instid0(VALU_DEP_1) | instskip(NEXT) | instid1(VALU_DEP_1)
	v_or3_b32 v6, v6, v15, v14
	v_dual_mov_b32 v15, v7 :: v_dual_mov_b32 v14, v6
.LBB215_832:                            ;   in Loop: Header=BB215_553 Depth=1
	s_or_b32 exec_lo, exec_lo, s15
.LBB215_833:                            ;   in Loop: Header=BB215_553 Depth=1
	s_delay_alu instid0(SALU_CYCLE_1)
	s_or_b32 exec_lo, exec_lo, s13
.LBB215_834:                            ;   in Loop: Header=BB215_553 Depth=1
	s_delay_alu instid0(SALU_CYCLE_1) | instskip(SKIP_2) | instid1(VALU_DEP_1)
	s_or_b32 exec_lo, exec_lo, s10
	v_lshrrev_b16 v6, 8, v161
	s_mov_b32 s13, exec_lo
	v_cmpx_ne_u16_e32 0, v6
	s_cbranch_execz .LBB215_842
; %bb.835:                              ;   in Loop: Header=BB215_553 Depth=1
	v_dual_mov_b32 v17, s9 :: v_dual_mov_b32 v16, s8
	s_mov_b32 s15, exec_lo
	v_cmpx_ne_u16_e32 0x80, v6
	s_cbranch_execz .LBB215_841
; %bb.836:                              ;   in Loop: Header=BB215_553 Depth=1
	s_mov_b32 s10, s8
	v_dual_mov_b32 v17, s11 :: v_dual_and_b32 v6, 0xffff, v6
	v_mov_b32_e32 v16, s10
	s_mov_b32 s10, exec_lo
	s_delay_alu instid0(VALU_DEP_2) | instskip(NEXT) | instid1(VALU_DEP_1)
	v_and_b32_e32 v18, 0x7f, v6
	v_cmpx_ne_u32_e32 0x7f, v18
	s_cbranch_execz .LBB215_840
; %bb.837:                              ;   in Loop: Header=BB215_553 Depth=1
	v_and_b32_e32 v6, 7, v6
	v_lshrrev_b32_e32 v16, 3, v18
	s_mov_b32 s17, exec_lo
	v_cmpx_gt_u32_e32 8, v18
; %bb.838:                              ;   in Loop: Header=BB215_553 Depth=1
	s_delay_alu instid0(VALU_DEP_3) | instskip(NEXT) | instid1(VALU_DEP_1)
	v_clz_i32_u32_e32 v16, v6
	v_min_u32_e32 v16, 32, v16
	s_delay_alu instid0(VALU_DEP_1) | instskip(SKIP_1) | instid1(VALU_DEP_2)
	v_subrev_nc_u32_e32 v17, 28, v16
	v_sub_nc_u32_e32 v16, 29, v16
	v_lshlrev_b64 v[17:18], v17, v[6:7]
	s_delay_alu instid0(VALU_DEP_1)
	v_and_b32_e32 v6, 7, v17
; %bb.839:                              ;   in Loop: Header=BB215_553 Depth=1
	s_or_b32 exec_lo, exec_lo, s17
	v_lshlrev_b32_e32 v17, 16, v161
	s_delay_alu instid0(VALU_DEP_2) | instskip(SKIP_1) | instid1(VALU_DEP_3)
	v_lshlrev_b32_e32 v6, 20, v6
	v_lshl_add_u32 v16, v16, 23, 0x3c000000
	v_and_b32_e32 v17, 0x80000000, v17
	s_delay_alu instid0(VALU_DEP_1)
	v_or3_b32 v17, v6, v17, v16
	v_mov_b32_e32 v16, v7
.LBB215_840:                            ;   in Loop: Header=BB215_553 Depth=1
	s_or_b32 exec_lo, exec_lo, s10
.LBB215_841:                            ;   in Loop: Header=BB215_553 Depth=1
	s_delay_alu instid0(SALU_CYCLE_1)
	s_or_b32 exec_lo, exec_lo, s15
.LBB215_842:                            ;   in Loop: Header=BB215_553 Depth=1
	s_delay_alu instid0(SALU_CYCLE_1) | instskip(SKIP_3) | instid1(VALU_DEP_2)
	s_or_b32 exec_lo, exec_lo, s13
	v_lshrrev_b32_e32 v162, 16, v161
	v_mov_b32_e32 v23, 0
	v_mov_b32_e32 v24, 0
	v_mov_b32_e32 v18, v23
	s_mov_b32 s10, exec_lo
	s_delay_alu instid0(VALU_DEP_2) | instskip(NEXT) | instid1(VALU_DEP_1)
	v_dual_mov_b32 v19, v24 :: v_dual_and_b32 v6, 0xff, v162
	v_cmpx_ne_u16_e32 0, v6
	s_cbranch_execz .LBB215_850
; %bb.843:                              ;   in Loop: Header=BB215_553 Depth=1
	v_bfrev_b32_e32 v18, 1
	v_mov_b32_e32 v19, 0
	s_mov_b32 s13, exec_lo
	v_cmpx_ne_u16_e32 0x80, v6
	s_cbranch_execz .LBB215_849
; %bb.844:                              ;   in Loop: Header=BB215_553 Depth=1
	v_mov_b32_e32 v18, 0x7f800001
	v_bfe_u32 v163, v161, 16, 7
	v_mov_b32_e32 v19, 0
	s_mov_b32 s15, exec_lo
	s_delay_alu instid0(VALU_DEP_2)
	v_cmpx_ne_u32_e32 0x7f, v163
	s_cbranch_execz .LBB215_848
; %bb.845:                              ;   in Loop: Header=BB215_553 Depth=1
	v_and_b32_e32 v6, 7, v162
	v_lshrrev_b32_e32 v18, 3, v163
	s_mov_b32 s17, exec_lo
	v_cmpx_gt_u32_e32 8, v163
; %bb.846:                              ;   in Loop: Header=BB215_553 Depth=1
	s_delay_alu instid0(VALU_DEP_3) | instskip(NEXT) | instid1(VALU_DEP_1)
	v_clz_i32_u32_e32 v18, v6
	v_min_u32_e32 v18, 32, v18
	s_delay_alu instid0(VALU_DEP_1) | instskip(SKIP_1) | instid1(VALU_DEP_2)
	v_subrev_nc_u32_e32 v19, 28, v18
	v_sub_nc_u32_e32 v18, 29, v18
	v_lshlrev_b64 v[163:164], v19, v[6:7]
	s_delay_alu instid0(VALU_DEP_1)
	v_and_b32_e32 v6, 7, v163
; %bb.847:                              ;   in Loop: Header=BB215_553 Depth=1
	s_or_b32 exec_lo, exec_lo, s17
	v_lshlrev_b32_e32 v19, 24, v162
	s_delay_alu instid0(VALU_DEP_2) | instskip(SKIP_1) | instid1(VALU_DEP_3)
	v_lshlrev_b32_e32 v6, 20, v6
	v_lshl_add_u32 v18, v18, 23, 0x3c000000
	v_and_b32_e32 v19, 0x80000000, v19
	s_delay_alu instid0(VALU_DEP_1) | instskip(NEXT) | instid1(VALU_DEP_1)
	v_or3_b32 v6, v6, v19, v18
	v_dual_mov_b32 v19, v7 :: v_dual_mov_b32 v18, v6
.LBB215_848:                            ;   in Loop: Header=BB215_553 Depth=1
	s_or_b32 exec_lo, exec_lo, s15
.LBB215_849:                            ;   in Loop: Header=BB215_553 Depth=1
	s_delay_alu instid0(SALU_CYCLE_1)
	s_or_b32 exec_lo, exec_lo, s13
.LBB215_850:                            ;   in Loop: Header=BB215_553 Depth=1
	s_delay_alu instid0(SALU_CYCLE_1) | instskip(NEXT) | instid1(SALU_CYCLE_1)
	s_or_b32 exec_lo, exec_lo, s10
	s_mov_b32 s13, exec_lo
	v_cmpx_lt_u32_e32 0xffffff, v161
	s_cbranch_execz .LBB215_858
; %bb.851:                              ;   in Loop: Header=BB215_553 Depth=1
	v_lshrrev_b32_e32 v162, 24, v161
	v_dual_mov_b32 v24, s9 :: v_dual_mov_b32 v23, s8
	s_mov_b32 s15, exec_lo
	s_delay_alu instid0(VALU_DEP_2)
	v_cmpx_ne_u32_e32 0x80, v162
	s_cbranch_execz .LBB215_857
; %bb.852:                              ;   in Loop: Header=BB215_553 Depth=1
	s_mov_b32 s10, s8
	v_bfe_u32 v161, v161, 24, 7
	v_dual_mov_b32 v24, s11 :: v_dual_mov_b32 v23, s10
	s_mov_b32 s10, exec_lo
	s_delay_alu instid0(VALU_DEP_2)
	v_cmpx_ne_u32_e32 0x7f, v161
	s_cbranch_execz .LBB215_856
; %bb.853:                              ;   in Loop: Header=BB215_553 Depth=1
	v_and_b32_e32 v6, 7, v162
	v_lshrrev_b32_e32 v23, 3, v161
	s_mov_b32 s17, exec_lo
	v_cmpx_gt_u32_e32 8, v161
; %bb.854:                              ;   in Loop: Header=BB215_553 Depth=1
	s_delay_alu instid0(VALU_DEP_3) | instskip(NEXT) | instid1(VALU_DEP_1)
	v_clz_i32_u32_e32 v23, v6
	v_min_u32_e32 v23, 32, v23
	s_delay_alu instid0(VALU_DEP_1) | instskip(SKIP_1) | instid1(VALU_DEP_2)
	v_subrev_nc_u32_e32 v24, 28, v23
	v_sub_nc_u32_e32 v23, 29, v23
	v_lshlrev_b64 v[163:164], v24, v[6:7]
	s_delay_alu instid0(VALU_DEP_1)
	v_and_b32_e32 v6, 7, v163
; %bb.855:                              ;   in Loop: Header=BB215_553 Depth=1
	s_or_b32 exec_lo, exec_lo, s17
	v_lshlrev_b32_e32 v24, 24, v162
	s_delay_alu instid0(VALU_DEP_2) | instskip(SKIP_1) | instid1(VALU_DEP_3)
	v_lshlrev_b32_e32 v6, 20, v6
	v_lshl_add_u32 v23, v23, 23, 0x3c000000
	v_and_b32_e32 v24, 0x80000000, v24
	s_delay_alu instid0(VALU_DEP_1)
	v_or3_b32 v24, v6, v24, v23
	v_mov_b32_e32 v23, v7
.LBB215_856:                            ;   in Loop: Header=BB215_553 Depth=1
	s_or_b32 exec_lo, exec_lo, s10
.LBB215_857:                            ;   in Loop: Header=BB215_553 Depth=1
	s_delay_alu instid0(SALU_CYCLE_1)
	s_or_b32 exec_lo, exec_lo, s15
.LBB215_858:                            ;   in Loop: Header=BB215_553 Depth=1
	s_delay_alu instid0(SALU_CYCLE_1) | instskip(SKIP_4) | instid1(VALU_DEP_4)
	s_or_b32 exec_lo, exec_lo, s13
	v_or_b32_e32 v6, v17, v15
	v_or_b32_e32 v14, v16, v14
	;; [unrolled: 1-line block ×4, first 2 shown]
	v_mul_f32_e32 v164, v68, v6
	s_delay_alu instid0(VALU_DEP_4) | instskip(NEXT) | instid1(VALU_DEP_4)
	v_mul_f32_e32 v163, v68, v14
	v_mul_f32_e32 v161, v68, v15
	s_delay_alu instid0(VALU_DEP_4)
	v_mul_f32_e32 v162, v68, v16
	s_and_saveexec_b32 s10, vcc_lo
; %bb.859:                              ;   in Loop: Header=BB215_553 Depth=1
	v_cmp_lt_i32_e64 s0, v81, v134
	s_delay_alu instid0(VALU_DEP_1) | instskip(SKIP_1) | instid1(VALU_DEP_1)
	v_cndmask_b32_e64 v163, 0, v163, s0
	v_cmp_lt_i32_e64 s0, v84, v134
	v_cndmask_b32_e64 v164, 0, v164, s0
	v_cmp_lt_i32_e64 s0, v83, v134
	s_delay_alu instid0(VALU_DEP_1) | instskip(SKIP_1) | instid1(VALU_DEP_1)
	v_cndmask_b32_e64 v162, 0, v162, s0
	v_cmp_lt_i32_e64 s0, v82, v134
	v_cndmask_b32_e64 v161, 0, v161, s0
; %bb.860:                              ;   in Loop: Header=BB215_553 Depth=1
	s_or_b32 exec_lo, exec_lo, s10
	flat_load_b32 v165, v[12:13] offset:1152
	v_mov_b32_e32 v16, 0
	v_mov_b32_e32 v17, 0
	s_mov_b32 s10, exec_lo
	s_waitcnt vmcnt(0) lgkmcnt(0)
	v_and_b32_e32 v6, 0xff, v165
	s_delay_alu instid0(VALU_DEP_2) | instskip(NEXT) | instid1(VALU_DEP_2)
	v_dual_mov_b32 v14, v16 :: v_dual_mov_b32 v15, v17
	v_cmpx_ne_u16_e32 0, v6
	s_cbranch_execz .LBB215_868
; %bb.861:                              ;   in Loop: Header=BB215_553 Depth=1
	v_bfrev_b32_e32 v14, 1
	v_mov_b32_e32 v15, 0
	s_mov_b32 s13, exec_lo
	v_cmpx_ne_u16_e32 0x80, v6
	s_cbranch_execz .LBB215_867
; %bb.862:                              ;   in Loop: Header=BB215_553 Depth=1
	v_mov_b32_e32 v14, 0x7f800001
	v_dual_mov_b32 v15, 0 :: v_dual_and_b32 v18, 0x7f, v165
	s_mov_b32 s15, exec_lo
	s_delay_alu instid0(VALU_DEP_1)
	v_cmpx_ne_u32_e32 0x7f, v18
	s_cbranch_execz .LBB215_866
; %bb.863:                              ;   in Loop: Header=BB215_553 Depth=1
	v_and_b32_e32 v6, 7, v165
	v_lshrrev_b32_e32 v14, 3, v18
	s_mov_b32 s17, exec_lo
	v_cmpx_gt_u32_e32 8, v18
; %bb.864:                              ;   in Loop: Header=BB215_553 Depth=1
	s_delay_alu instid0(VALU_DEP_3) | instskip(NEXT) | instid1(VALU_DEP_1)
	v_clz_i32_u32_e32 v14, v6
	v_min_u32_e32 v14, 32, v14
	s_delay_alu instid0(VALU_DEP_1) | instskip(SKIP_1) | instid1(VALU_DEP_2)
	v_subrev_nc_u32_e32 v15, 28, v14
	v_sub_nc_u32_e32 v14, 29, v14
	v_lshlrev_b64 v[18:19], v15, v[6:7]
	s_delay_alu instid0(VALU_DEP_1)
	v_and_b32_e32 v6, 7, v18
; %bb.865:                              ;   in Loop: Header=BB215_553 Depth=1
	s_or_b32 exec_lo, exec_lo, s17
	v_lshlrev_b32_e32 v15, 24, v165
	s_delay_alu instid0(VALU_DEP_2) | instskip(SKIP_1) | instid1(VALU_DEP_3)
	v_lshlrev_b32_e32 v6, 20, v6
	v_lshl_add_u32 v14, v14, 23, 0x3c000000
	v_and_b32_e32 v15, 0x80000000, v15
	s_delay_alu instid0(VALU_DEP_1) | instskip(NEXT) | instid1(VALU_DEP_1)
	v_or3_b32 v6, v6, v15, v14
	v_dual_mov_b32 v15, v7 :: v_dual_mov_b32 v14, v6
.LBB215_866:                            ;   in Loop: Header=BB215_553 Depth=1
	s_or_b32 exec_lo, exec_lo, s15
.LBB215_867:                            ;   in Loop: Header=BB215_553 Depth=1
	s_delay_alu instid0(SALU_CYCLE_1)
	s_or_b32 exec_lo, exec_lo, s13
.LBB215_868:                            ;   in Loop: Header=BB215_553 Depth=1
	s_delay_alu instid0(SALU_CYCLE_1) | instskip(SKIP_2) | instid1(VALU_DEP_1)
	s_or_b32 exec_lo, exec_lo, s10
	v_lshrrev_b16 v6, 8, v165
	s_mov_b32 s13, exec_lo
	v_cmpx_ne_u16_e32 0, v6
	s_cbranch_execz .LBB215_876
; %bb.869:                              ;   in Loop: Header=BB215_553 Depth=1
	v_dual_mov_b32 v17, s9 :: v_dual_mov_b32 v16, s8
	s_mov_b32 s15, exec_lo
	v_cmpx_ne_u16_e32 0x80, v6
	s_cbranch_execz .LBB215_875
; %bb.870:                              ;   in Loop: Header=BB215_553 Depth=1
	s_mov_b32 s10, s8
	v_dual_mov_b32 v17, s11 :: v_dual_and_b32 v6, 0xffff, v6
	v_mov_b32_e32 v16, s10
	s_mov_b32 s10, exec_lo
	s_delay_alu instid0(VALU_DEP_2) | instskip(NEXT) | instid1(VALU_DEP_1)
	v_and_b32_e32 v18, 0x7f, v6
	v_cmpx_ne_u32_e32 0x7f, v18
	s_cbranch_execz .LBB215_874
; %bb.871:                              ;   in Loop: Header=BB215_553 Depth=1
	v_and_b32_e32 v6, 7, v6
	v_lshrrev_b32_e32 v16, 3, v18
	s_mov_b32 s17, exec_lo
	v_cmpx_gt_u32_e32 8, v18
; %bb.872:                              ;   in Loop: Header=BB215_553 Depth=1
	s_delay_alu instid0(VALU_DEP_3) | instskip(NEXT) | instid1(VALU_DEP_1)
	v_clz_i32_u32_e32 v16, v6
	v_min_u32_e32 v16, 32, v16
	s_delay_alu instid0(VALU_DEP_1) | instskip(SKIP_1) | instid1(VALU_DEP_2)
	v_subrev_nc_u32_e32 v17, 28, v16
	v_sub_nc_u32_e32 v16, 29, v16
	v_lshlrev_b64 v[17:18], v17, v[6:7]
	s_delay_alu instid0(VALU_DEP_1)
	v_and_b32_e32 v6, 7, v17
; %bb.873:                              ;   in Loop: Header=BB215_553 Depth=1
	s_or_b32 exec_lo, exec_lo, s17
	v_lshlrev_b32_e32 v17, 16, v165
	s_delay_alu instid0(VALU_DEP_2) | instskip(SKIP_1) | instid1(VALU_DEP_3)
	v_lshlrev_b32_e32 v6, 20, v6
	v_lshl_add_u32 v16, v16, 23, 0x3c000000
	v_and_b32_e32 v17, 0x80000000, v17
	s_delay_alu instid0(VALU_DEP_1)
	v_or3_b32 v17, v6, v17, v16
	v_mov_b32_e32 v16, v7
.LBB215_874:                            ;   in Loop: Header=BB215_553 Depth=1
	s_or_b32 exec_lo, exec_lo, s10
.LBB215_875:                            ;   in Loop: Header=BB215_553 Depth=1
	s_delay_alu instid0(SALU_CYCLE_1)
	s_or_b32 exec_lo, exec_lo, s15
.LBB215_876:                            ;   in Loop: Header=BB215_553 Depth=1
	s_delay_alu instid0(SALU_CYCLE_1) | instskip(SKIP_3) | instid1(VALU_DEP_2)
	s_or_b32 exec_lo, exec_lo, s13
	v_lshrrev_b32_e32 v166, 16, v165
	v_mov_b32_e32 v23, 0
	v_mov_b32_e32 v24, 0
	;; [unrolled: 1-line block ×3, first 2 shown]
	s_mov_b32 s10, exec_lo
	s_delay_alu instid0(VALU_DEP_2) | instskip(NEXT) | instid1(VALU_DEP_1)
	v_dual_mov_b32 v19, v24 :: v_dual_and_b32 v6, 0xff, v166
	v_cmpx_ne_u16_e32 0, v6
	s_cbranch_execz .LBB215_884
; %bb.877:                              ;   in Loop: Header=BB215_553 Depth=1
	v_bfrev_b32_e32 v18, 1
	v_mov_b32_e32 v19, 0
	s_mov_b32 s13, exec_lo
	v_cmpx_ne_u16_e32 0x80, v6
	s_cbranch_execz .LBB215_883
; %bb.878:                              ;   in Loop: Header=BB215_553 Depth=1
	v_mov_b32_e32 v18, 0x7f800001
	v_bfe_u32 v167, v165, 16, 7
	v_mov_b32_e32 v19, 0
	s_mov_b32 s15, exec_lo
	s_delay_alu instid0(VALU_DEP_2)
	v_cmpx_ne_u32_e32 0x7f, v167
	s_cbranch_execz .LBB215_882
; %bb.879:                              ;   in Loop: Header=BB215_553 Depth=1
	v_and_b32_e32 v6, 7, v166
	v_lshrrev_b32_e32 v18, 3, v167
	s_mov_b32 s17, exec_lo
	v_cmpx_gt_u32_e32 8, v167
; %bb.880:                              ;   in Loop: Header=BB215_553 Depth=1
	s_delay_alu instid0(VALU_DEP_3) | instskip(NEXT) | instid1(VALU_DEP_1)
	v_clz_i32_u32_e32 v18, v6
	v_min_u32_e32 v18, 32, v18
	s_delay_alu instid0(VALU_DEP_1) | instskip(SKIP_1) | instid1(VALU_DEP_2)
	v_subrev_nc_u32_e32 v19, 28, v18
	v_sub_nc_u32_e32 v18, 29, v18
	v_lshlrev_b64 v[176:177], v19, v[6:7]
	s_delay_alu instid0(VALU_DEP_1)
	v_and_b32_e32 v6, 7, v176
; %bb.881:                              ;   in Loop: Header=BB215_553 Depth=1
	s_or_b32 exec_lo, exec_lo, s17
	v_lshlrev_b32_e32 v19, 24, v166
	s_delay_alu instid0(VALU_DEP_2) | instskip(SKIP_1) | instid1(VALU_DEP_3)
	v_lshlrev_b32_e32 v6, 20, v6
	v_lshl_add_u32 v18, v18, 23, 0x3c000000
	v_and_b32_e32 v19, 0x80000000, v19
	s_delay_alu instid0(VALU_DEP_1) | instskip(NEXT) | instid1(VALU_DEP_1)
	v_or3_b32 v6, v6, v19, v18
	v_dual_mov_b32 v19, v7 :: v_dual_mov_b32 v18, v6
.LBB215_882:                            ;   in Loop: Header=BB215_553 Depth=1
	s_or_b32 exec_lo, exec_lo, s15
.LBB215_883:                            ;   in Loop: Header=BB215_553 Depth=1
	s_delay_alu instid0(SALU_CYCLE_1)
	s_or_b32 exec_lo, exec_lo, s13
.LBB215_884:                            ;   in Loop: Header=BB215_553 Depth=1
	s_delay_alu instid0(SALU_CYCLE_1) | instskip(NEXT) | instid1(SALU_CYCLE_1)
	s_or_b32 exec_lo, exec_lo, s10
	s_mov_b32 s13, exec_lo
	v_cmpx_lt_u32_e32 0xffffff, v165
	s_cbranch_execz .LBB215_892
; %bb.885:                              ;   in Loop: Header=BB215_553 Depth=1
	v_lshrrev_b32_e32 v166, 24, v165
	v_dual_mov_b32 v24, s9 :: v_dual_mov_b32 v23, s8
	s_mov_b32 s15, exec_lo
	s_delay_alu instid0(VALU_DEP_2)
	v_cmpx_ne_u32_e32 0x80, v166
	s_cbranch_execz .LBB215_891
; %bb.886:                              ;   in Loop: Header=BB215_553 Depth=1
	s_mov_b32 s10, s8
	v_bfe_u32 v165, v165, 24, 7
	v_dual_mov_b32 v24, s11 :: v_dual_mov_b32 v23, s10
	s_mov_b32 s10, exec_lo
	s_delay_alu instid0(VALU_DEP_2)
	v_cmpx_ne_u32_e32 0x7f, v165
	s_cbranch_execz .LBB215_890
; %bb.887:                              ;   in Loop: Header=BB215_553 Depth=1
	v_and_b32_e32 v6, 7, v166
	v_lshrrev_b32_e32 v23, 3, v165
	s_mov_b32 s17, exec_lo
	v_cmpx_gt_u32_e32 8, v165
; %bb.888:                              ;   in Loop: Header=BB215_553 Depth=1
	s_delay_alu instid0(VALU_DEP_3) | instskip(NEXT) | instid1(VALU_DEP_1)
	v_clz_i32_u32_e32 v23, v6
	v_min_u32_e32 v23, 32, v23
	s_delay_alu instid0(VALU_DEP_1) | instskip(SKIP_1) | instid1(VALU_DEP_2)
	v_subrev_nc_u32_e32 v24, 28, v23
	v_sub_nc_u32_e32 v23, 29, v23
	v_lshlrev_b64 v[176:177], v24, v[6:7]
	s_delay_alu instid0(VALU_DEP_1)
	v_and_b32_e32 v6, 7, v176
; %bb.889:                              ;   in Loop: Header=BB215_553 Depth=1
	s_or_b32 exec_lo, exec_lo, s17
	v_lshlrev_b32_e32 v24, 24, v166
	s_delay_alu instid0(VALU_DEP_2) | instskip(SKIP_1) | instid1(VALU_DEP_3)
	v_lshlrev_b32_e32 v6, 20, v6
	v_lshl_add_u32 v23, v23, 23, 0x3c000000
	v_and_b32_e32 v24, 0x80000000, v24
	s_delay_alu instid0(VALU_DEP_1)
	v_or3_b32 v24, v6, v24, v23
	v_mov_b32_e32 v23, v7
.LBB215_890:                            ;   in Loop: Header=BB215_553 Depth=1
	s_or_b32 exec_lo, exec_lo, s10
.LBB215_891:                            ;   in Loop: Header=BB215_553 Depth=1
	s_delay_alu instid0(SALU_CYCLE_1)
	s_or_b32 exec_lo, exec_lo, s15
.LBB215_892:                            ;   in Loop: Header=BB215_553 Depth=1
	s_delay_alu instid0(SALU_CYCLE_1) | instskip(SKIP_4) | instid1(VALU_DEP_4)
	s_or_b32 exec_lo, exec_lo, s13
	v_or_b32_e32 v6, v17, v15
	v_or_b32_e32 v14, v16, v14
	;; [unrolled: 1-line block ×4, first 2 shown]
	v_mul_f32_e32 v176, v68, v6
	s_delay_alu instid0(VALU_DEP_4) | instskip(NEXT) | instid1(VALU_DEP_4)
	v_mul_f32_e32 v167, v68, v14
	v_mul_f32_e32 v165, v68, v15
	s_delay_alu instid0(VALU_DEP_4)
	v_mul_f32_e32 v166, v68, v16
	s_and_saveexec_b32 s10, vcc_lo
; %bb.893:                              ;   in Loop: Header=BB215_553 Depth=1
	v_cmp_lt_i32_e64 s0, v81, v134
	s_delay_alu instid0(VALU_DEP_1) | instskip(SKIP_1) | instid1(VALU_DEP_1)
	v_cndmask_b32_e64 v167, 0, v167, s0
	v_cmp_lt_i32_e64 s0, v84, v134
	v_cndmask_b32_e64 v176, 0, v176, s0
	v_cmp_lt_i32_e64 s0, v83, v134
	s_delay_alu instid0(VALU_DEP_1) | instskip(SKIP_1) | instid1(VALU_DEP_1)
	v_cndmask_b32_e64 v166, 0, v166, s0
	v_cmp_lt_i32_e64 s0, v82, v134
	v_cndmask_b32_e64 v165, 0, v165, s0
; %bb.894:                              ;   in Loop: Header=BB215_553 Depth=1
	s_or_b32 exec_lo, exec_lo, s10
	flat_load_b32 v177, v[12:13] offset:1280
	v_mov_b32_e32 v16, 0
	v_mov_b32_e32 v17, 0
	s_mov_b32 s10, exec_lo
	s_waitcnt vmcnt(0) lgkmcnt(0)
	v_and_b32_e32 v6, 0xff, v177
	s_delay_alu instid0(VALU_DEP_2) | instskip(NEXT) | instid1(VALU_DEP_2)
	v_dual_mov_b32 v14, v16 :: v_dual_mov_b32 v15, v17
	v_cmpx_ne_u16_e32 0, v6
	s_cbranch_execz .LBB215_902
; %bb.895:                              ;   in Loop: Header=BB215_553 Depth=1
	v_bfrev_b32_e32 v14, 1
	v_mov_b32_e32 v15, 0
	s_mov_b32 s13, exec_lo
	v_cmpx_ne_u16_e32 0x80, v6
	s_cbranch_execz .LBB215_901
; %bb.896:                              ;   in Loop: Header=BB215_553 Depth=1
	v_mov_b32_e32 v14, 0x7f800001
	v_dual_mov_b32 v15, 0 :: v_dual_and_b32 v18, 0x7f, v177
	s_mov_b32 s15, exec_lo
	s_delay_alu instid0(VALU_DEP_1)
	v_cmpx_ne_u32_e32 0x7f, v18
	s_cbranch_execz .LBB215_900
; %bb.897:                              ;   in Loop: Header=BB215_553 Depth=1
	v_and_b32_e32 v6, 7, v177
	v_lshrrev_b32_e32 v14, 3, v18
	s_mov_b32 s17, exec_lo
	v_cmpx_gt_u32_e32 8, v18
; %bb.898:                              ;   in Loop: Header=BB215_553 Depth=1
	s_delay_alu instid0(VALU_DEP_3) | instskip(NEXT) | instid1(VALU_DEP_1)
	v_clz_i32_u32_e32 v14, v6
	v_min_u32_e32 v14, 32, v14
	s_delay_alu instid0(VALU_DEP_1) | instskip(SKIP_1) | instid1(VALU_DEP_2)
	v_subrev_nc_u32_e32 v15, 28, v14
	v_sub_nc_u32_e32 v14, 29, v14
	v_lshlrev_b64 v[18:19], v15, v[6:7]
	s_delay_alu instid0(VALU_DEP_1)
	v_and_b32_e32 v6, 7, v18
; %bb.899:                              ;   in Loop: Header=BB215_553 Depth=1
	s_or_b32 exec_lo, exec_lo, s17
	v_lshlrev_b32_e32 v15, 24, v177
	s_delay_alu instid0(VALU_DEP_2) | instskip(SKIP_1) | instid1(VALU_DEP_3)
	v_lshlrev_b32_e32 v6, 20, v6
	v_lshl_add_u32 v14, v14, 23, 0x3c000000
	v_and_b32_e32 v15, 0x80000000, v15
	s_delay_alu instid0(VALU_DEP_1) | instskip(NEXT) | instid1(VALU_DEP_1)
	v_or3_b32 v6, v6, v15, v14
	v_dual_mov_b32 v15, v7 :: v_dual_mov_b32 v14, v6
.LBB215_900:                            ;   in Loop: Header=BB215_553 Depth=1
	s_or_b32 exec_lo, exec_lo, s15
.LBB215_901:                            ;   in Loop: Header=BB215_553 Depth=1
	s_delay_alu instid0(SALU_CYCLE_1)
	s_or_b32 exec_lo, exec_lo, s13
.LBB215_902:                            ;   in Loop: Header=BB215_553 Depth=1
	s_delay_alu instid0(SALU_CYCLE_1) | instskip(SKIP_2) | instid1(VALU_DEP_1)
	s_or_b32 exec_lo, exec_lo, s10
	v_lshrrev_b16 v6, 8, v177
	s_mov_b32 s13, exec_lo
	v_cmpx_ne_u16_e32 0, v6
	s_cbranch_execz .LBB215_910
; %bb.903:                              ;   in Loop: Header=BB215_553 Depth=1
	v_dual_mov_b32 v17, s9 :: v_dual_mov_b32 v16, s8
	s_mov_b32 s15, exec_lo
	v_cmpx_ne_u16_e32 0x80, v6
	s_cbranch_execz .LBB215_909
; %bb.904:                              ;   in Loop: Header=BB215_553 Depth=1
	s_mov_b32 s10, s8
	v_dual_mov_b32 v17, s11 :: v_dual_and_b32 v6, 0xffff, v6
	v_mov_b32_e32 v16, s10
	s_mov_b32 s10, exec_lo
	s_delay_alu instid0(VALU_DEP_2) | instskip(NEXT) | instid1(VALU_DEP_1)
	v_and_b32_e32 v18, 0x7f, v6
	v_cmpx_ne_u32_e32 0x7f, v18
	s_cbranch_execz .LBB215_908
; %bb.905:                              ;   in Loop: Header=BB215_553 Depth=1
	v_and_b32_e32 v6, 7, v6
	v_lshrrev_b32_e32 v16, 3, v18
	s_mov_b32 s17, exec_lo
	v_cmpx_gt_u32_e32 8, v18
; %bb.906:                              ;   in Loop: Header=BB215_553 Depth=1
	s_delay_alu instid0(VALU_DEP_3) | instskip(NEXT) | instid1(VALU_DEP_1)
	v_clz_i32_u32_e32 v16, v6
	v_min_u32_e32 v16, 32, v16
	s_delay_alu instid0(VALU_DEP_1) | instskip(SKIP_1) | instid1(VALU_DEP_2)
	v_subrev_nc_u32_e32 v17, 28, v16
	v_sub_nc_u32_e32 v16, 29, v16
	v_lshlrev_b64 v[17:18], v17, v[6:7]
	s_delay_alu instid0(VALU_DEP_1)
	v_and_b32_e32 v6, 7, v17
; %bb.907:                              ;   in Loop: Header=BB215_553 Depth=1
	s_or_b32 exec_lo, exec_lo, s17
	v_lshlrev_b32_e32 v17, 16, v177
	s_delay_alu instid0(VALU_DEP_2) | instskip(SKIP_1) | instid1(VALU_DEP_3)
	v_lshlrev_b32_e32 v6, 20, v6
	v_lshl_add_u32 v16, v16, 23, 0x3c000000
	v_and_b32_e32 v17, 0x80000000, v17
	s_delay_alu instid0(VALU_DEP_1)
	v_or3_b32 v17, v6, v17, v16
	v_mov_b32_e32 v16, v7
.LBB215_908:                            ;   in Loop: Header=BB215_553 Depth=1
	s_or_b32 exec_lo, exec_lo, s10
.LBB215_909:                            ;   in Loop: Header=BB215_553 Depth=1
	s_delay_alu instid0(SALU_CYCLE_1)
	s_or_b32 exec_lo, exec_lo, s15
.LBB215_910:                            ;   in Loop: Header=BB215_553 Depth=1
	s_delay_alu instid0(SALU_CYCLE_1) | instskip(SKIP_3) | instid1(VALU_DEP_2)
	s_or_b32 exec_lo, exec_lo, s13
	v_lshrrev_b32_e32 v178, 16, v177
	v_mov_b32_e32 v23, 0
	v_mov_b32_e32 v24, 0
	;; [unrolled: 1-line block ×3, first 2 shown]
	s_mov_b32 s10, exec_lo
	s_delay_alu instid0(VALU_DEP_2) | instskip(NEXT) | instid1(VALU_DEP_1)
	v_dual_mov_b32 v19, v24 :: v_dual_and_b32 v6, 0xff, v178
	v_cmpx_ne_u16_e32 0, v6
	s_cbranch_execz .LBB215_918
; %bb.911:                              ;   in Loop: Header=BB215_553 Depth=1
	v_bfrev_b32_e32 v18, 1
	v_mov_b32_e32 v19, 0
	s_mov_b32 s13, exec_lo
	v_cmpx_ne_u16_e32 0x80, v6
	s_cbranch_execz .LBB215_917
; %bb.912:                              ;   in Loop: Header=BB215_553 Depth=1
	v_mov_b32_e32 v18, 0x7f800001
	v_bfe_u32 v179, v177, 16, 7
	v_mov_b32_e32 v19, 0
	s_mov_b32 s15, exec_lo
	s_delay_alu instid0(VALU_DEP_2)
	v_cmpx_ne_u32_e32 0x7f, v179
	s_cbranch_execz .LBB215_916
; %bb.913:                              ;   in Loop: Header=BB215_553 Depth=1
	v_and_b32_e32 v6, 7, v178
	v_lshrrev_b32_e32 v18, 3, v179
	s_mov_b32 s17, exec_lo
	v_cmpx_gt_u32_e32 8, v179
; %bb.914:                              ;   in Loop: Header=BB215_553 Depth=1
	s_delay_alu instid0(VALU_DEP_3) | instskip(NEXT) | instid1(VALU_DEP_1)
	v_clz_i32_u32_e32 v18, v6
	v_min_u32_e32 v18, 32, v18
	s_delay_alu instid0(VALU_DEP_1) | instskip(SKIP_1) | instid1(VALU_DEP_2)
	v_subrev_nc_u32_e32 v19, 28, v18
	v_sub_nc_u32_e32 v18, 29, v18
	v_lshlrev_b64 v[179:180], v19, v[6:7]
	s_delay_alu instid0(VALU_DEP_1)
	v_and_b32_e32 v6, 7, v179
; %bb.915:                              ;   in Loop: Header=BB215_553 Depth=1
	s_or_b32 exec_lo, exec_lo, s17
	v_lshlrev_b32_e32 v19, 24, v178
	s_delay_alu instid0(VALU_DEP_2) | instskip(SKIP_1) | instid1(VALU_DEP_3)
	v_lshlrev_b32_e32 v6, 20, v6
	v_lshl_add_u32 v18, v18, 23, 0x3c000000
	v_and_b32_e32 v19, 0x80000000, v19
	s_delay_alu instid0(VALU_DEP_1) | instskip(NEXT) | instid1(VALU_DEP_1)
	v_or3_b32 v6, v6, v19, v18
	v_dual_mov_b32 v19, v7 :: v_dual_mov_b32 v18, v6
.LBB215_916:                            ;   in Loop: Header=BB215_553 Depth=1
	s_or_b32 exec_lo, exec_lo, s15
.LBB215_917:                            ;   in Loop: Header=BB215_553 Depth=1
	s_delay_alu instid0(SALU_CYCLE_1)
	s_or_b32 exec_lo, exec_lo, s13
.LBB215_918:                            ;   in Loop: Header=BB215_553 Depth=1
	s_delay_alu instid0(SALU_CYCLE_1) | instskip(NEXT) | instid1(SALU_CYCLE_1)
	s_or_b32 exec_lo, exec_lo, s10
	s_mov_b32 s13, exec_lo
	v_cmpx_lt_u32_e32 0xffffff, v177
	s_cbranch_execz .LBB215_926
; %bb.919:                              ;   in Loop: Header=BB215_553 Depth=1
	v_lshrrev_b32_e32 v178, 24, v177
	v_dual_mov_b32 v24, s9 :: v_dual_mov_b32 v23, s8
	s_mov_b32 s15, exec_lo
	s_delay_alu instid0(VALU_DEP_2)
	v_cmpx_ne_u32_e32 0x80, v178
	s_cbranch_execz .LBB215_925
; %bb.920:                              ;   in Loop: Header=BB215_553 Depth=1
	s_mov_b32 s10, s8
	v_bfe_u32 v177, v177, 24, 7
	v_dual_mov_b32 v24, s11 :: v_dual_mov_b32 v23, s10
	s_mov_b32 s10, exec_lo
	s_delay_alu instid0(VALU_DEP_2)
	v_cmpx_ne_u32_e32 0x7f, v177
	s_cbranch_execz .LBB215_924
; %bb.921:                              ;   in Loop: Header=BB215_553 Depth=1
	v_and_b32_e32 v6, 7, v178
	v_lshrrev_b32_e32 v23, 3, v177
	s_mov_b32 s17, exec_lo
	v_cmpx_gt_u32_e32 8, v177
; %bb.922:                              ;   in Loop: Header=BB215_553 Depth=1
	s_delay_alu instid0(VALU_DEP_3) | instskip(NEXT) | instid1(VALU_DEP_1)
	v_clz_i32_u32_e32 v23, v6
	v_min_u32_e32 v23, 32, v23
	s_delay_alu instid0(VALU_DEP_1) | instskip(SKIP_1) | instid1(VALU_DEP_2)
	v_subrev_nc_u32_e32 v24, 28, v23
	v_sub_nc_u32_e32 v23, 29, v23
	v_lshlrev_b64 v[179:180], v24, v[6:7]
	s_delay_alu instid0(VALU_DEP_1)
	v_and_b32_e32 v6, 7, v179
; %bb.923:                              ;   in Loop: Header=BB215_553 Depth=1
	s_or_b32 exec_lo, exec_lo, s17
	v_lshlrev_b32_e32 v24, 24, v178
	s_delay_alu instid0(VALU_DEP_2) | instskip(SKIP_1) | instid1(VALU_DEP_3)
	v_lshlrev_b32_e32 v6, 20, v6
	v_lshl_add_u32 v23, v23, 23, 0x3c000000
	v_and_b32_e32 v24, 0x80000000, v24
	s_delay_alu instid0(VALU_DEP_1)
	v_or3_b32 v24, v6, v24, v23
	v_mov_b32_e32 v23, v7
.LBB215_924:                            ;   in Loop: Header=BB215_553 Depth=1
	s_or_b32 exec_lo, exec_lo, s10
.LBB215_925:                            ;   in Loop: Header=BB215_553 Depth=1
	s_delay_alu instid0(SALU_CYCLE_1)
	s_or_b32 exec_lo, exec_lo, s15
.LBB215_926:                            ;   in Loop: Header=BB215_553 Depth=1
	s_delay_alu instid0(SALU_CYCLE_1) | instskip(SKIP_4) | instid1(VALU_DEP_4)
	s_or_b32 exec_lo, exec_lo, s13
	v_or_b32_e32 v6, v17, v15
	v_or_b32_e32 v14, v16, v14
	;; [unrolled: 1-line block ×4, first 2 shown]
	v_mul_f32_e32 v180, v68, v6
	s_delay_alu instid0(VALU_DEP_4) | instskip(NEXT) | instid1(VALU_DEP_4)
	v_mul_f32_e32 v179, v68, v14
	v_mul_f32_e32 v177, v68, v15
	s_delay_alu instid0(VALU_DEP_4)
	v_mul_f32_e32 v178, v68, v16
	s_and_saveexec_b32 s10, vcc_lo
; %bb.927:                              ;   in Loop: Header=BB215_553 Depth=1
	v_cmp_lt_i32_e64 s0, v81, v134
	s_delay_alu instid0(VALU_DEP_1) | instskip(SKIP_1) | instid1(VALU_DEP_1)
	v_cndmask_b32_e64 v179, 0, v179, s0
	v_cmp_lt_i32_e64 s0, v84, v134
	v_cndmask_b32_e64 v180, 0, v180, s0
	v_cmp_lt_i32_e64 s0, v83, v134
	s_delay_alu instid0(VALU_DEP_1) | instskip(SKIP_1) | instid1(VALU_DEP_1)
	v_cndmask_b32_e64 v178, 0, v178, s0
	v_cmp_lt_i32_e64 s0, v82, v134
	v_cndmask_b32_e64 v177, 0, v177, s0
; %bb.928:                              ;   in Loop: Header=BB215_553 Depth=1
	s_or_b32 exec_lo, exec_lo, s10
	flat_load_b32 v181, v[12:13] offset:1408
	v_mov_b32_e32 v16, 0
	v_mov_b32_e32 v17, 0
	s_mov_b32 s10, exec_lo
	s_waitcnt vmcnt(0) lgkmcnt(0)
	v_and_b32_e32 v6, 0xff, v181
	s_delay_alu instid0(VALU_DEP_2) | instskip(NEXT) | instid1(VALU_DEP_2)
	v_dual_mov_b32 v14, v16 :: v_dual_mov_b32 v15, v17
	v_cmpx_ne_u16_e32 0, v6
	s_cbranch_execz .LBB215_936
; %bb.929:                              ;   in Loop: Header=BB215_553 Depth=1
	v_bfrev_b32_e32 v14, 1
	v_mov_b32_e32 v15, 0
	s_mov_b32 s13, exec_lo
	v_cmpx_ne_u16_e32 0x80, v6
	s_cbranch_execz .LBB215_935
; %bb.930:                              ;   in Loop: Header=BB215_553 Depth=1
	v_mov_b32_e32 v14, 0x7f800001
	v_dual_mov_b32 v15, 0 :: v_dual_and_b32 v18, 0x7f, v181
	s_mov_b32 s15, exec_lo
	s_delay_alu instid0(VALU_DEP_1)
	v_cmpx_ne_u32_e32 0x7f, v18
	s_cbranch_execz .LBB215_934
; %bb.931:                              ;   in Loop: Header=BB215_553 Depth=1
	v_and_b32_e32 v6, 7, v181
	v_lshrrev_b32_e32 v14, 3, v18
	s_mov_b32 s17, exec_lo
	v_cmpx_gt_u32_e32 8, v18
; %bb.932:                              ;   in Loop: Header=BB215_553 Depth=1
	s_delay_alu instid0(VALU_DEP_3) | instskip(NEXT) | instid1(VALU_DEP_1)
	v_clz_i32_u32_e32 v14, v6
	v_min_u32_e32 v14, 32, v14
	s_delay_alu instid0(VALU_DEP_1) | instskip(SKIP_1) | instid1(VALU_DEP_2)
	v_subrev_nc_u32_e32 v15, 28, v14
	v_sub_nc_u32_e32 v14, 29, v14
	v_lshlrev_b64 v[18:19], v15, v[6:7]
	s_delay_alu instid0(VALU_DEP_1)
	v_and_b32_e32 v6, 7, v18
; %bb.933:                              ;   in Loop: Header=BB215_553 Depth=1
	s_or_b32 exec_lo, exec_lo, s17
	v_lshlrev_b32_e32 v15, 24, v181
	s_delay_alu instid0(VALU_DEP_2) | instskip(SKIP_1) | instid1(VALU_DEP_3)
	v_lshlrev_b32_e32 v6, 20, v6
	v_lshl_add_u32 v14, v14, 23, 0x3c000000
	v_and_b32_e32 v15, 0x80000000, v15
	s_delay_alu instid0(VALU_DEP_1) | instskip(NEXT) | instid1(VALU_DEP_1)
	v_or3_b32 v6, v6, v15, v14
	v_dual_mov_b32 v15, v7 :: v_dual_mov_b32 v14, v6
.LBB215_934:                            ;   in Loop: Header=BB215_553 Depth=1
	s_or_b32 exec_lo, exec_lo, s15
.LBB215_935:                            ;   in Loop: Header=BB215_553 Depth=1
	s_delay_alu instid0(SALU_CYCLE_1)
	s_or_b32 exec_lo, exec_lo, s13
.LBB215_936:                            ;   in Loop: Header=BB215_553 Depth=1
	s_delay_alu instid0(SALU_CYCLE_1) | instskip(SKIP_2) | instid1(VALU_DEP_1)
	s_or_b32 exec_lo, exec_lo, s10
	v_lshrrev_b16 v6, 8, v181
	s_mov_b32 s13, exec_lo
	v_cmpx_ne_u16_e32 0, v6
	s_cbranch_execz .LBB215_944
; %bb.937:                              ;   in Loop: Header=BB215_553 Depth=1
	v_dual_mov_b32 v17, s9 :: v_dual_mov_b32 v16, s8
	s_mov_b32 s15, exec_lo
	v_cmpx_ne_u16_e32 0x80, v6
	s_cbranch_execz .LBB215_943
; %bb.938:                              ;   in Loop: Header=BB215_553 Depth=1
	s_mov_b32 s10, s8
	v_dual_mov_b32 v17, s11 :: v_dual_and_b32 v6, 0xffff, v6
	v_mov_b32_e32 v16, s10
	s_mov_b32 s10, exec_lo
	s_delay_alu instid0(VALU_DEP_2) | instskip(NEXT) | instid1(VALU_DEP_1)
	v_and_b32_e32 v18, 0x7f, v6
	v_cmpx_ne_u32_e32 0x7f, v18
	s_cbranch_execz .LBB215_942
; %bb.939:                              ;   in Loop: Header=BB215_553 Depth=1
	v_and_b32_e32 v6, 7, v6
	v_lshrrev_b32_e32 v16, 3, v18
	s_mov_b32 s17, exec_lo
	v_cmpx_gt_u32_e32 8, v18
; %bb.940:                              ;   in Loop: Header=BB215_553 Depth=1
	s_delay_alu instid0(VALU_DEP_3) | instskip(NEXT) | instid1(VALU_DEP_1)
	v_clz_i32_u32_e32 v16, v6
	v_min_u32_e32 v16, 32, v16
	s_delay_alu instid0(VALU_DEP_1) | instskip(SKIP_1) | instid1(VALU_DEP_2)
	v_subrev_nc_u32_e32 v17, 28, v16
	v_sub_nc_u32_e32 v16, 29, v16
	v_lshlrev_b64 v[17:18], v17, v[6:7]
	s_delay_alu instid0(VALU_DEP_1)
	v_and_b32_e32 v6, 7, v17
; %bb.941:                              ;   in Loop: Header=BB215_553 Depth=1
	s_or_b32 exec_lo, exec_lo, s17
	v_lshlrev_b32_e32 v17, 16, v181
	s_delay_alu instid0(VALU_DEP_2) | instskip(SKIP_1) | instid1(VALU_DEP_3)
	v_lshlrev_b32_e32 v6, 20, v6
	v_lshl_add_u32 v16, v16, 23, 0x3c000000
	v_and_b32_e32 v17, 0x80000000, v17
	s_delay_alu instid0(VALU_DEP_1)
	v_or3_b32 v17, v6, v17, v16
	v_mov_b32_e32 v16, v7
.LBB215_942:                            ;   in Loop: Header=BB215_553 Depth=1
	s_or_b32 exec_lo, exec_lo, s10
.LBB215_943:                            ;   in Loop: Header=BB215_553 Depth=1
	s_delay_alu instid0(SALU_CYCLE_1)
	s_or_b32 exec_lo, exec_lo, s15
.LBB215_944:                            ;   in Loop: Header=BB215_553 Depth=1
	s_delay_alu instid0(SALU_CYCLE_1) | instskip(SKIP_3) | instid1(VALU_DEP_2)
	s_or_b32 exec_lo, exec_lo, s13
	v_lshrrev_b32_e32 v182, 16, v181
	v_mov_b32_e32 v23, 0
	v_mov_b32_e32 v24, 0
	;; [unrolled: 1-line block ×3, first 2 shown]
	s_mov_b32 s10, exec_lo
	s_delay_alu instid0(VALU_DEP_2) | instskip(NEXT) | instid1(VALU_DEP_1)
	v_dual_mov_b32 v19, v24 :: v_dual_and_b32 v6, 0xff, v182
	v_cmpx_ne_u16_e32 0, v6
	s_cbranch_execz .LBB215_952
; %bb.945:                              ;   in Loop: Header=BB215_553 Depth=1
	v_bfrev_b32_e32 v18, 1
	v_mov_b32_e32 v19, 0
	s_mov_b32 s13, exec_lo
	v_cmpx_ne_u16_e32 0x80, v6
	s_cbranch_execz .LBB215_951
; %bb.946:                              ;   in Loop: Header=BB215_553 Depth=1
	v_mov_b32_e32 v18, 0x7f800001
	v_bfe_u32 v183, v181, 16, 7
	v_mov_b32_e32 v19, 0
	s_mov_b32 s15, exec_lo
	s_delay_alu instid0(VALU_DEP_2)
	v_cmpx_ne_u32_e32 0x7f, v183
	s_cbranch_execz .LBB215_950
; %bb.947:                              ;   in Loop: Header=BB215_553 Depth=1
	v_and_b32_e32 v6, 7, v182
	v_lshrrev_b32_e32 v18, 3, v183
	s_mov_b32 s17, exec_lo
	v_cmpx_gt_u32_e32 8, v183
; %bb.948:                              ;   in Loop: Header=BB215_553 Depth=1
	s_delay_alu instid0(VALU_DEP_3) | instskip(NEXT) | instid1(VALU_DEP_1)
	v_clz_i32_u32_e32 v18, v6
	v_min_u32_e32 v18, 32, v18
	s_delay_alu instid0(VALU_DEP_1) | instskip(SKIP_1) | instid1(VALU_DEP_2)
	v_subrev_nc_u32_e32 v19, 28, v18
	v_sub_nc_u32_e32 v18, 29, v18
	v_lshlrev_b64 v[40:41], v19, v[6:7]
	s_delay_alu instid0(VALU_DEP_1)
	v_and_b32_e32 v6, 7, v40
; %bb.949:                              ;   in Loop: Header=BB215_553 Depth=1
	s_or_b32 exec_lo, exec_lo, s17
	v_lshlrev_b32_e32 v19, 24, v182
	s_delay_alu instid0(VALU_DEP_2) | instskip(SKIP_1) | instid1(VALU_DEP_3)
	v_lshlrev_b32_e32 v6, 20, v6
	v_lshl_add_u32 v18, v18, 23, 0x3c000000
	v_and_b32_e32 v19, 0x80000000, v19
	s_delay_alu instid0(VALU_DEP_1) | instskip(NEXT) | instid1(VALU_DEP_1)
	v_or3_b32 v6, v6, v19, v18
	v_dual_mov_b32 v19, v7 :: v_dual_mov_b32 v18, v6
.LBB215_950:                            ;   in Loop: Header=BB215_553 Depth=1
	s_or_b32 exec_lo, exec_lo, s15
.LBB215_951:                            ;   in Loop: Header=BB215_553 Depth=1
	s_delay_alu instid0(SALU_CYCLE_1)
	s_or_b32 exec_lo, exec_lo, s13
.LBB215_952:                            ;   in Loop: Header=BB215_553 Depth=1
	s_delay_alu instid0(SALU_CYCLE_1) | instskip(NEXT) | instid1(SALU_CYCLE_1)
	s_or_b32 exec_lo, exec_lo, s10
	s_mov_b32 s13, exec_lo
	v_cmpx_lt_u32_e32 0xffffff, v181
	s_cbranch_execz .LBB215_960
; %bb.953:                              ;   in Loop: Header=BB215_553 Depth=1
	v_lshrrev_b32_e32 v182, 24, v181
	v_dual_mov_b32 v24, s9 :: v_dual_mov_b32 v23, s8
	s_mov_b32 s15, exec_lo
	s_delay_alu instid0(VALU_DEP_2)
	v_cmpx_ne_u32_e32 0x80, v182
	s_cbranch_execz .LBB215_959
; %bb.954:                              ;   in Loop: Header=BB215_553 Depth=1
	s_mov_b32 s10, s8
	v_bfe_u32 v181, v181, 24, 7
	v_dual_mov_b32 v24, s11 :: v_dual_mov_b32 v23, s10
	s_mov_b32 s10, exec_lo
	s_delay_alu instid0(VALU_DEP_2)
	v_cmpx_ne_u32_e32 0x7f, v181
	s_cbranch_execz .LBB215_958
; %bb.955:                              ;   in Loop: Header=BB215_553 Depth=1
	v_and_b32_e32 v6, 7, v182
	v_lshrrev_b32_e32 v23, 3, v181
	s_mov_b32 s17, exec_lo
	v_cmpx_gt_u32_e32 8, v181
; %bb.956:                              ;   in Loop: Header=BB215_553 Depth=1
	s_delay_alu instid0(VALU_DEP_3) | instskip(NEXT) | instid1(VALU_DEP_1)
	v_clz_i32_u32_e32 v23, v6
	v_min_u32_e32 v23, 32, v23
	s_delay_alu instid0(VALU_DEP_1) | instskip(SKIP_1) | instid1(VALU_DEP_2)
	v_subrev_nc_u32_e32 v24, 28, v23
	v_sub_nc_u32_e32 v23, 29, v23
	v_lshlrev_b64 v[40:41], v24, v[6:7]
	s_delay_alu instid0(VALU_DEP_1)
	v_and_b32_e32 v6, 7, v40
; %bb.957:                              ;   in Loop: Header=BB215_553 Depth=1
	s_or_b32 exec_lo, exec_lo, s17
	v_lshlrev_b32_e32 v24, 24, v182
	s_delay_alu instid0(VALU_DEP_2) | instskip(SKIP_1) | instid1(VALU_DEP_3)
	v_lshlrev_b32_e32 v6, 20, v6
	v_lshl_add_u32 v23, v23, 23, 0x3c000000
	v_and_b32_e32 v24, 0x80000000, v24
	s_delay_alu instid0(VALU_DEP_1)
	v_or3_b32 v24, v6, v24, v23
	v_mov_b32_e32 v23, v7
.LBB215_958:                            ;   in Loop: Header=BB215_553 Depth=1
	s_or_b32 exec_lo, exec_lo, s10
.LBB215_959:                            ;   in Loop: Header=BB215_553 Depth=1
	s_delay_alu instid0(SALU_CYCLE_1)
	s_or_b32 exec_lo, exec_lo, s15
.LBB215_960:                            ;   in Loop: Header=BB215_553 Depth=1
	s_delay_alu instid0(SALU_CYCLE_1) | instskip(SKIP_4) | instid1(VALU_DEP_4)
	s_or_b32 exec_lo, exec_lo, s13
	v_or_b32_e32 v6, v17, v15
	v_or_b32_e32 v14, v16, v14
	;; [unrolled: 1-line block ×4, first 2 shown]
	v_mul_f32_e32 v40, v68, v6
	s_delay_alu instid0(VALU_DEP_4) | instskip(NEXT) | instid1(VALU_DEP_4)
	v_mul_f32_e32 v183, v68, v14
	v_mul_f32_e32 v181, v68, v15
	s_delay_alu instid0(VALU_DEP_4)
	v_mul_f32_e32 v182, v68, v16
	s_and_saveexec_b32 s10, vcc_lo
; %bb.961:                              ;   in Loop: Header=BB215_553 Depth=1
	v_cmp_lt_i32_e64 s0, v81, v134
	s_delay_alu instid0(VALU_DEP_1) | instskip(SKIP_1) | instid1(VALU_DEP_1)
	v_cndmask_b32_e64 v183, 0, v183, s0
	v_cmp_lt_i32_e64 s0, v84, v134
	v_cndmask_b32_e64 v40, 0, v40, s0
	v_cmp_lt_i32_e64 s0, v83, v134
	s_delay_alu instid0(VALU_DEP_1) | instskip(SKIP_1) | instid1(VALU_DEP_1)
	v_cndmask_b32_e64 v182, 0, v182, s0
	v_cmp_lt_i32_e64 s0, v82, v134
	v_cndmask_b32_e64 v181, 0, v181, s0
; %bb.962:                              ;   in Loop: Header=BB215_553 Depth=1
	s_or_b32 exec_lo, exec_lo, s10
	flat_load_b32 v41, v[12:13] offset:1536
	v_mov_b32_e32 v16, 0
	v_mov_b32_e32 v17, 0
	s_mov_b32 s10, exec_lo
	s_waitcnt vmcnt(0) lgkmcnt(0)
	v_and_b32_e32 v6, 0xff, v41
	s_delay_alu instid0(VALU_DEP_2) | instskip(NEXT) | instid1(VALU_DEP_2)
	v_dual_mov_b32 v14, v16 :: v_dual_mov_b32 v15, v17
	v_cmpx_ne_u16_e32 0, v6
	s_cbranch_execz .LBB215_970
; %bb.963:                              ;   in Loop: Header=BB215_553 Depth=1
	v_bfrev_b32_e32 v14, 1
	v_mov_b32_e32 v15, 0
	s_mov_b32 s13, exec_lo
	v_cmpx_ne_u16_e32 0x80, v6
	s_cbranch_execz .LBB215_969
; %bb.964:                              ;   in Loop: Header=BB215_553 Depth=1
	v_mov_b32_e32 v14, 0x7f800001
	v_dual_mov_b32 v15, 0 :: v_dual_and_b32 v18, 0x7f, v41
	s_mov_b32 s15, exec_lo
	s_delay_alu instid0(VALU_DEP_1)
	v_cmpx_ne_u32_e32 0x7f, v18
	s_cbranch_execz .LBB215_968
; %bb.965:                              ;   in Loop: Header=BB215_553 Depth=1
	v_and_b32_e32 v6, 7, v41
	v_lshrrev_b32_e32 v14, 3, v18
	s_mov_b32 s17, exec_lo
	v_cmpx_gt_u32_e32 8, v18
; %bb.966:                              ;   in Loop: Header=BB215_553 Depth=1
	s_delay_alu instid0(VALU_DEP_3) | instskip(NEXT) | instid1(VALU_DEP_1)
	v_clz_i32_u32_e32 v14, v6
	v_min_u32_e32 v14, 32, v14
	s_delay_alu instid0(VALU_DEP_1) | instskip(SKIP_1) | instid1(VALU_DEP_2)
	v_subrev_nc_u32_e32 v15, 28, v14
	v_sub_nc_u32_e32 v14, 29, v14
	v_lshlrev_b64 v[18:19], v15, v[6:7]
	s_delay_alu instid0(VALU_DEP_1)
	v_and_b32_e32 v6, 7, v18
; %bb.967:                              ;   in Loop: Header=BB215_553 Depth=1
	s_or_b32 exec_lo, exec_lo, s17
	v_lshlrev_b32_e32 v15, 24, v41
	s_delay_alu instid0(VALU_DEP_2) | instskip(SKIP_1) | instid1(VALU_DEP_3)
	v_lshlrev_b32_e32 v6, 20, v6
	v_lshl_add_u32 v14, v14, 23, 0x3c000000
	v_and_b32_e32 v15, 0x80000000, v15
	s_delay_alu instid0(VALU_DEP_1) | instskip(NEXT) | instid1(VALU_DEP_1)
	v_or3_b32 v6, v6, v15, v14
	v_dual_mov_b32 v15, v7 :: v_dual_mov_b32 v14, v6
.LBB215_968:                            ;   in Loop: Header=BB215_553 Depth=1
	s_or_b32 exec_lo, exec_lo, s15
.LBB215_969:                            ;   in Loop: Header=BB215_553 Depth=1
	s_delay_alu instid0(SALU_CYCLE_1)
	s_or_b32 exec_lo, exec_lo, s13
.LBB215_970:                            ;   in Loop: Header=BB215_553 Depth=1
	s_delay_alu instid0(SALU_CYCLE_1) | instskip(SKIP_2) | instid1(VALU_DEP_1)
	s_or_b32 exec_lo, exec_lo, s10
	v_lshrrev_b16 v6, 8, v41
	s_mov_b32 s13, exec_lo
	v_cmpx_ne_u16_e32 0, v6
	s_cbranch_execz .LBB215_978
; %bb.971:                              ;   in Loop: Header=BB215_553 Depth=1
	v_dual_mov_b32 v17, s9 :: v_dual_mov_b32 v16, s8
	s_mov_b32 s15, exec_lo
	v_cmpx_ne_u16_e32 0x80, v6
	s_cbranch_execz .LBB215_977
; %bb.972:                              ;   in Loop: Header=BB215_553 Depth=1
	s_mov_b32 s10, s8
	v_dual_mov_b32 v17, s11 :: v_dual_and_b32 v6, 0xffff, v6
	v_mov_b32_e32 v16, s10
	s_mov_b32 s10, exec_lo
	s_delay_alu instid0(VALU_DEP_2) | instskip(NEXT) | instid1(VALU_DEP_1)
	v_and_b32_e32 v18, 0x7f, v6
	v_cmpx_ne_u32_e32 0x7f, v18
	s_cbranch_execz .LBB215_976
; %bb.973:                              ;   in Loop: Header=BB215_553 Depth=1
	v_and_b32_e32 v6, 7, v6
	v_lshrrev_b32_e32 v16, 3, v18
	s_mov_b32 s17, exec_lo
	v_cmpx_gt_u32_e32 8, v18
; %bb.974:                              ;   in Loop: Header=BB215_553 Depth=1
	s_delay_alu instid0(VALU_DEP_3) | instskip(NEXT) | instid1(VALU_DEP_1)
	v_clz_i32_u32_e32 v16, v6
	v_min_u32_e32 v16, 32, v16
	s_delay_alu instid0(VALU_DEP_1) | instskip(SKIP_1) | instid1(VALU_DEP_2)
	v_subrev_nc_u32_e32 v17, 28, v16
	v_sub_nc_u32_e32 v16, 29, v16
	v_lshlrev_b64 v[17:18], v17, v[6:7]
	s_delay_alu instid0(VALU_DEP_1)
	v_and_b32_e32 v6, 7, v17
; %bb.975:                              ;   in Loop: Header=BB215_553 Depth=1
	s_or_b32 exec_lo, exec_lo, s17
	v_lshlrev_b32_e32 v17, 16, v41
	s_delay_alu instid0(VALU_DEP_2) | instskip(SKIP_1) | instid1(VALU_DEP_3)
	v_lshlrev_b32_e32 v6, 20, v6
	v_lshl_add_u32 v16, v16, 23, 0x3c000000
	v_and_b32_e32 v17, 0x80000000, v17
	s_delay_alu instid0(VALU_DEP_1)
	v_or3_b32 v17, v6, v17, v16
	v_mov_b32_e32 v16, v7
.LBB215_976:                            ;   in Loop: Header=BB215_553 Depth=1
	s_or_b32 exec_lo, exec_lo, s10
.LBB215_977:                            ;   in Loop: Header=BB215_553 Depth=1
	s_delay_alu instid0(SALU_CYCLE_1)
	s_or_b32 exec_lo, exec_lo, s15
.LBB215_978:                            ;   in Loop: Header=BB215_553 Depth=1
	s_delay_alu instid0(SALU_CYCLE_1) | instskip(SKIP_3) | instid1(VALU_DEP_2)
	s_or_b32 exec_lo, exec_lo, s13
	v_lshrrev_b32_e32 v42, 16, v41
	v_mov_b32_e32 v23, 0
	v_mov_b32_e32 v24, 0
	;; [unrolled: 1-line block ×3, first 2 shown]
	s_mov_b32 s10, exec_lo
	s_delay_alu instid0(VALU_DEP_2) | instskip(NEXT) | instid1(VALU_DEP_1)
	v_dual_mov_b32 v19, v24 :: v_dual_and_b32 v6, 0xff, v42
	v_cmpx_ne_u16_e32 0, v6
	s_cbranch_execz .LBB215_986
; %bb.979:                              ;   in Loop: Header=BB215_553 Depth=1
	v_bfrev_b32_e32 v18, 1
	v_mov_b32_e32 v19, 0
	s_mov_b32 s13, exec_lo
	v_cmpx_ne_u16_e32 0x80, v6
	s_cbranch_execz .LBB215_985
; %bb.980:                              ;   in Loop: Header=BB215_553 Depth=1
	v_mov_b32_e32 v18, 0x7f800001
	v_bfe_u32 v43, v41, 16, 7
	v_mov_b32_e32 v19, 0
	s_mov_b32 s15, exec_lo
	s_delay_alu instid0(VALU_DEP_2)
	v_cmpx_ne_u32_e32 0x7f, v43
	s_cbranch_execz .LBB215_984
; %bb.981:                              ;   in Loop: Header=BB215_553 Depth=1
	v_and_b32_e32 v6, 7, v42
	v_lshrrev_b32_e32 v18, 3, v43
	s_mov_b32 s17, exec_lo
	v_cmpx_gt_u32_e32 8, v43
; %bb.982:                              ;   in Loop: Header=BB215_553 Depth=1
	s_delay_alu instid0(VALU_DEP_3) | instskip(NEXT) | instid1(VALU_DEP_1)
	v_clz_i32_u32_e32 v18, v6
	v_min_u32_e32 v18, 32, v18
	s_delay_alu instid0(VALU_DEP_1) | instskip(SKIP_1) | instid1(VALU_DEP_2)
	v_subrev_nc_u32_e32 v19, 28, v18
	v_sub_nc_u32_e32 v18, 29, v18
	v_lshlrev_b64 v[43:44], v19, v[6:7]
	s_delay_alu instid0(VALU_DEP_1)
	v_and_b32_e32 v6, 7, v43
; %bb.983:                              ;   in Loop: Header=BB215_553 Depth=1
	s_or_b32 exec_lo, exec_lo, s17
	v_lshlrev_b32_e32 v19, 24, v42
	s_delay_alu instid0(VALU_DEP_2) | instskip(SKIP_1) | instid1(VALU_DEP_3)
	v_lshlrev_b32_e32 v6, 20, v6
	v_lshl_add_u32 v18, v18, 23, 0x3c000000
	v_and_b32_e32 v19, 0x80000000, v19
	s_delay_alu instid0(VALU_DEP_1) | instskip(NEXT) | instid1(VALU_DEP_1)
	v_or3_b32 v6, v6, v19, v18
	v_dual_mov_b32 v19, v7 :: v_dual_mov_b32 v18, v6
.LBB215_984:                            ;   in Loop: Header=BB215_553 Depth=1
	s_or_b32 exec_lo, exec_lo, s15
.LBB215_985:                            ;   in Loop: Header=BB215_553 Depth=1
	s_delay_alu instid0(SALU_CYCLE_1)
	s_or_b32 exec_lo, exec_lo, s13
.LBB215_986:                            ;   in Loop: Header=BB215_553 Depth=1
	s_delay_alu instid0(SALU_CYCLE_1) | instskip(NEXT) | instid1(SALU_CYCLE_1)
	s_or_b32 exec_lo, exec_lo, s10
	s_mov_b32 s13, exec_lo
	v_cmpx_lt_u32_e32 0xffffff, v41
	s_cbranch_execz .LBB215_994
; %bb.987:                              ;   in Loop: Header=BB215_553 Depth=1
	v_lshrrev_b32_e32 v42, 24, v41
	v_dual_mov_b32 v24, s9 :: v_dual_mov_b32 v23, s8
	s_mov_b32 s15, exec_lo
	s_delay_alu instid0(VALU_DEP_2)
	v_cmpx_ne_u32_e32 0x80, v42
	s_cbranch_execz .LBB215_993
; %bb.988:                              ;   in Loop: Header=BB215_553 Depth=1
	s_mov_b32 s10, s8
	v_bfe_u32 v41, v41, 24, 7
	v_dual_mov_b32 v24, s11 :: v_dual_mov_b32 v23, s10
	s_mov_b32 s10, exec_lo
	s_delay_alu instid0(VALU_DEP_2)
	v_cmpx_ne_u32_e32 0x7f, v41
	s_cbranch_execz .LBB215_992
; %bb.989:                              ;   in Loop: Header=BB215_553 Depth=1
	v_and_b32_e32 v6, 7, v42
	v_lshrrev_b32_e32 v23, 3, v41
	s_mov_b32 s17, exec_lo
	v_cmpx_gt_u32_e32 8, v41
; %bb.990:                              ;   in Loop: Header=BB215_553 Depth=1
	s_delay_alu instid0(VALU_DEP_3) | instskip(NEXT) | instid1(VALU_DEP_1)
	v_clz_i32_u32_e32 v23, v6
	v_min_u32_e32 v23, 32, v23
	s_delay_alu instid0(VALU_DEP_1) | instskip(SKIP_1) | instid1(VALU_DEP_2)
	v_subrev_nc_u32_e32 v24, 28, v23
	v_sub_nc_u32_e32 v23, 29, v23
	v_lshlrev_b64 v[43:44], v24, v[6:7]
	s_delay_alu instid0(VALU_DEP_1)
	v_and_b32_e32 v6, 7, v43
; %bb.991:                              ;   in Loop: Header=BB215_553 Depth=1
	s_or_b32 exec_lo, exec_lo, s17
	v_lshlrev_b32_e32 v24, 24, v42
	s_delay_alu instid0(VALU_DEP_2) | instskip(SKIP_1) | instid1(VALU_DEP_3)
	v_lshlrev_b32_e32 v6, 20, v6
	v_lshl_add_u32 v23, v23, 23, 0x3c000000
	v_and_b32_e32 v24, 0x80000000, v24
	s_delay_alu instid0(VALU_DEP_1)
	v_or3_b32 v24, v6, v24, v23
	v_mov_b32_e32 v23, v7
.LBB215_992:                            ;   in Loop: Header=BB215_553 Depth=1
	s_or_b32 exec_lo, exec_lo, s10
.LBB215_993:                            ;   in Loop: Header=BB215_553 Depth=1
	s_delay_alu instid0(SALU_CYCLE_1)
	s_or_b32 exec_lo, exec_lo, s15
.LBB215_994:                            ;   in Loop: Header=BB215_553 Depth=1
	s_delay_alu instid0(SALU_CYCLE_1) | instskip(SKIP_4) | instid1(VALU_DEP_4)
	s_or_b32 exec_lo, exec_lo, s13
	v_or_b32_e32 v6, v17, v15
	v_or_b32_e32 v14, v16, v14
	v_or_b32_e32 v15, v24, v19
	v_or_b32_e32 v16, v23, v18
	v_mul_f32_e32 v44, v68, v6
	s_delay_alu instid0(VALU_DEP_4) | instskip(NEXT) | instid1(VALU_DEP_4)
	v_mul_f32_e32 v43, v68, v14
	v_mul_f32_e32 v41, v68, v15
	s_delay_alu instid0(VALU_DEP_4)
	v_mul_f32_e32 v42, v68, v16
	s_and_saveexec_b32 s10, vcc_lo
; %bb.995:                              ;   in Loop: Header=BB215_553 Depth=1
	v_cmp_lt_i32_e64 s0, v81, v134
	s_delay_alu instid0(VALU_DEP_1) | instskip(SKIP_1) | instid1(VALU_DEP_1)
	v_cndmask_b32_e64 v43, 0, v43, s0
	v_cmp_lt_i32_e64 s0, v84, v134
	v_cndmask_b32_e64 v44, 0, v44, s0
	v_cmp_lt_i32_e64 s0, v83, v134
	s_delay_alu instid0(VALU_DEP_1) | instskip(SKIP_1) | instid1(VALU_DEP_1)
	v_cndmask_b32_e64 v42, 0, v42, s0
	v_cmp_lt_i32_e64 s0, v82, v134
	v_cndmask_b32_e64 v41, 0, v41, s0
; %bb.996:                              ;   in Loop: Header=BB215_553 Depth=1
	s_or_b32 exec_lo, exec_lo, s10
	flat_load_b32 v45, v[12:13] offset:1664
	v_mov_b32_e32 v16, 0
	v_mov_b32_e32 v17, 0
	s_mov_b32 s10, exec_lo
	s_waitcnt vmcnt(0) lgkmcnt(0)
	v_and_b32_e32 v6, 0xff, v45
	s_delay_alu instid0(VALU_DEP_2) | instskip(NEXT) | instid1(VALU_DEP_2)
	v_dual_mov_b32 v14, v16 :: v_dual_mov_b32 v15, v17
	v_cmpx_ne_u16_e32 0, v6
	s_cbranch_execz .LBB215_1004
; %bb.997:                              ;   in Loop: Header=BB215_553 Depth=1
	v_bfrev_b32_e32 v14, 1
	v_mov_b32_e32 v15, 0
	s_mov_b32 s13, exec_lo
	v_cmpx_ne_u16_e32 0x80, v6
	s_cbranch_execz .LBB215_1003
; %bb.998:                              ;   in Loop: Header=BB215_553 Depth=1
	v_mov_b32_e32 v14, 0x7f800001
	v_dual_mov_b32 v15, 0 :: v_dual_and_b32 v18, 0x7f, v45
	s_mov_b32 s15, exec_lo
	s_delay_alu instid0(VALU_DEP_1)
	v_cmpx_ne_u32_e32 0x7f, v18
	s_cbranch_execz .LBB215_1002
; %bb.999:                              ;   in Loop: Header=BB215_553 Depth=1
	v_and_b32_e32 v6, 7, v45
	v_lshrrev_b32_e32 v14, 3, v18
	s_mov_b32 s17, exec_lo
	v_cmpx_gt_u32_e32 8, v18
; %bb.1000:                             ;   in Loop: Header=BB215_553 Depth=1
	s_delay_alu instid0(VALU_DEP_3) | instskip(NEXT) | instid1(VALU_DEP_1)
	v_clz_i32_u32_e32 v14, v6
	v_min_u32_e32 v14, 32, v14
	s_delay_alu instid0(VALU_DEP_1) | instskip(SKIP_1) | instid1(VALU_DEP_2)
	v_subrev_nc_u32_e32 v15, 28, v14
	v_sub_nc_u32_e32 v14, 29, v14
	v_lshlrev_b64 v[18:19], v15, v[6:7]
	s_delay_alu instid0(VALU_DEP_1)
	v_and_b32_e32 v6, 7, v18
; %bb.1001:                             ;   in Loop: Header=BB215_553 Depth=1
	s_or_b32 exec_lo, exec_lo, s17
	v_lshlrev_b32_e32 v15, 24, v45
	s_delay_alu instid0(VALU_DEP_2) | instskip(SKIP_1) | instid1(VALU_DEP_3)
	v_lshlrev_b32_e32 v6, 20, v6
	v_lshl_add_u32 v14, v14, 23, 0x3c000000
	v_and_b32_e32 v15, 0x80000000, v15
	s_delay_alu instid0(VALU_DEP_1) | instskip(NEXT) | instid1(VALU_DEP_1)
	v_or3_b32 v6, v6, v15, v14
	v_dual_mov_b32 v15, v7 :: v_dual_mov_b32 v14, v6
.LBB215_1002:                           ;   in Loop: Header=BB215_553 Depth=1
	s_or_b32 exec_lo, exec_lo, s15
.LBB215_1003:                           ;   in Loop: Header=BB215_553 Depth=1
	s_delay_alu instid0(SALU_CYCLE_1)
	s_or_b32 exec_lo, exec_lo, s13
.LBB215_1004:                           ;   in Loop: Header=BB215_553 Depth=1
	s_delay_alu instid0(SALU_CYCLE_1) | instskip(SKIP_2) | instid1(VALU_DEP_1)
	s_or_b32 exec_lo, exec_lo, s10
	v_lshrrev_b16 v6, 8, v45
	s_mov_b32 s13, exec_lo
	v_cmpx_ne_u16_e32 0, v6
	s_cbranch_execz .LBB215_1012
; %bb.1005:                             ;   in Loop: Header=BB215_553 Depth=1
	v_dual_mov_b32 v17, s9 :: v_dual_mov_b32 v16, s8
	s_mov_b32 s15, exec_lo
	v_cmpx_ne_u16_e32 0x80, v6
	s_cbranch_execz .LBB215_1011
; %bb.1006:                             ;   in Loop: Header=BB215_553 Depth=1
	s_mov_b32 s10, s8
	v_dual_mov_b32 v17, s11 :: v_dual_and_b32 v6, 0xffff, v6
	v_mov_b32_e32 v16, s10
	s_mov_b32 s10, exec_lo
	s_delay_alu instid0(VALU_DEP_2) | instskip(NEXT) | instid1(VALU_DEP_1)
	v_and_b32_e32 v18, 0x7f, v6
	v_cmpx_ne_u32_e32 0x7f, v18
	s_cbranch_execz .LBB215_1010
; %bb.1007:                             ;   in Loop: Header=BB215_553 Depth=1
	v_and_b32_e32 v6, 7, v6
	v_lshrrev_b32_e32 v16, 3, v18
	s_mov_b32 s17, exec_lo
	v_cmpx_gt_u32_e32 8, v18
; %bb.1008:                             ;   in Loop: Header=BB215_553 Depth=1
	s_delay_alu instid0(VALU_DEP_3) | instskip(NEXT) | instid1(VALU_DEP_1)
	v_clz_i32_u32_e32 v16, v6
	v_min_u32_e32 v16, 32, v16
	s_delay_alu instid0(VALU_DEP_1) | instskip(SKIP_1) | instid1(VALU_DEP_2)
	v_subrev_nc_u32_e32 v17, 28, v16
	v_sub_nc_u32_e32 v16, 29, v16
	v_lshlrev_b64 v[17:18], v17, v[6:7]
	s_delay_alu instid0(VALU_DEP_1)
	v_and_b32_e32 v6, 7, v17
; %bb.1009:                             ;   in Loop: Header=BB215_553 Depth=1
	s_or_b32 exec_lo, exec_lo, s17
	v_lshlrev_b32_e32 v17, 16, v45
	s_delay_alu instid0(VALU_DEP_2) | instskip(SKIP_1) | instid1(VALU_DEP_3)
	v_lshlrev_b32_e32 v6, 20, v6
	v_lshl_add_u32 v16, v16, 23, 0x3c000000
	v_and_b32_e32 v17, 0x80000000, v17
	s_delay_alu instid0(VALU_DEP_1)
	v_or3_b32 v17, v6, v17, v16
	v_mov_b32_e32 v16, v7
.LBB215_1010:                           ;   in Loop: Header=BB215_553 Depth=1
	s_or_b32 exec_lo, exec_lo, s10
.LBB215_1011:                           ;   in Loop: Header=BB215_553 Depth=1
	s_delay_alu instid0(SALU_CYCLE_1)
	s_or_b32 exec_lo, exec_lo, s15
.LBB215_1012:                           ;   in Loop: Header=BB215_553 Depth=1
	s_delay_alu instid0(SALU_CYCLE_1) | instskip(SKIP_3) | instid1(VALU_DEP_2)
	s_or_b32 exec_lo, exec_lo, s13
	v_lshrrev_b32_e32 v46, 16, v45
	v_mov_b32_e32 v23, 0
	v_mov_b32_e32 v24, 0
	;; [unrolled: 1-line block ×3, first 2 shown]
	s_mov_b32 s10, exec_lo
	s_delay_alu instid0(VALU_DEP_2) | instskip(NEXT) | instid1(VALU_DEP_1)
	v_dual_mov_b32 v19, v24 :: v_dual_and_b32 v6, 0xff, v46
	v_cmpx_ne_u16_e32 0, v6
	s_cbranch_execz .LBB215_1020
; %bb.1013:                             ;   in Loop: Header=BB215_553 Depth=1
	v_bfrev_b32_e32 v18, 1
	v_mov_b32_e32 v19, 0
	s_mov_b32 s13, exec_lo
	v_cmpx_ne_u16_e32 0x80, v6
	s_cbranch_execz .LBB215_1019
; %bb.1014:                             ;   in Loop: Header=BB215_553 Depth=1
	v_mov_b32_e32 v18, 0x7f800001
	v_bfe_u32 v47, v45, 16, 7
	v_mov_b32_e32 v19, 0
	s_mov_b32 s15, exec_lo
	s_delay_alu instid0(VALU_DEP_2)
	v_cmpx_ne_u32_e32 0x7f, v47
	s_cbranch_execz .LBB215_1018
; %bb.1015:                             ;   in Loop: Header=BB215_553 Depth=1
	v_and_b32_e32 v6, 7, v46
	v_lshrrev_b32_e32 v18, 3, v47
	s_mov_b32 s17, exec_lo
	v_cmpx_gt_u32_e32 8, v47
; %bb.1016:                             ;   in Loop: Header=BB215_553 Depth=1
	s_delay_alu instid0(VALU_DEP_3) | instskip(NEXT) | instid1(VALU_DEP_1)
	v_clz_i32_u32_e32 v18, v6
	v_min_u32_e32 v18, 32, v18
	s_delay_alu instid0(VALU_DEP_1) | instskip(SKIP_1) | instid1(VALU_DEP_2)
	v_subrev_nc_u32_e32 v19, 28, v18
	v_sub_nc_u32_e32 v18, 29, v18
	v_lshlrev_b64 v[56:57], v19, v[6:7]
	s_delay_alu instid0(VALU_DEP_1)
	v_and_b32_e32 v6, 7, v56
; %bb.1017:                             ;   in Loop: Header=BB215_553 Depth=1
	s_or_b32 exec_lo, exec_lo, s17
	v_lshlrev_b32_e32 v19, 24, v46
	s_delay_alu instid0(VALU_DEP_2) | instskip(SKIP_1) | instid1(VALU_DEP_3)
	v_lshlrev_b32_e32 v6, 20, v6
	v_lshl_add_u32 v18, v18, 23, 0x3c000000
	v_and_b32_e32 v19, 0x80000000, v19
	s_delay_alu instid0(VALU_DEP_1) | instskip(NEXT) | instid1(VALU_DEP_1)
	v_or3_b32 v6, v6, v19, v18
	v_dual_mov_b32 v19, v7 :: v_dual_mov_b32 v18, v6
.LBB215_1018:                           ;   in Loop: Header=BB215_553 Depth=1
	s_or_b32 exec_lo, exec_lo, s15
.LBB215_1019:                           ;   in Loop: Header=BB215_553 Depth=1
	s_delay_alu instid0(SALU_CYCLE_1)
	s_or_b32 exec_lo, exec_lo, s13
.LBB215_1020:                           ;   in Loop: Header=BB215_553 Depth=1
	s_delay_alu instid0(SALU_CYCLE_1) | instskip(NEXT) | instid1(SALU_CYCLE_1)
	s_or_b32 exec_lo, exec_lo, s10
	s_mov_b32 s13, exec_lo
	v_cmpx_lt_u32_e32 0xffffff, v45
	s_cbranch_execz .LBB215_1028
; %bb.1021:                             ;   in Loop: Header=BB215_553 Depth=1
	v_lshrrev_b32_e32 v46, 24, v45
	v_dual_mov_b32 v24, s9 :: v_dual_mov_b32 v23, s8
	s_mov_b32 s15, exec_lo
	s_delay_alu instid0(VALU_DEP_2)
	v_cmpx_ne_u32_e32 0x80, v46
	s_cbranch_execz .LBB215_1027
; %bb.1022:                             ;   in Loop: Header=BB215_553 Depth=1
	s_mov_b32 s10, s8
	v_bfe_u32 v45, v45, 24, 7
	v_dual_mov_b32 v24, s11 :: v_dual_mov_b32 v23, s10
	s_mov_b32 s10, exec_lo
	s_delay_alu instid0(VALU_DEP_2)
	v_cmpx_ne_u32_e32 0x7f, v45
	s_cbranch_execz .LBB215_1026
; %bb.1023:                             ;   in Loop: Header=BB215_553 Depth=1
	v_and_b32_e32 v6, 7, v46
	v_lshrrev_b32_e32 v23, 3, v45
	s_mov_b32 s17, exec_lo
	v_cmpx_gt_u32_e32 8, v45
; %bb.1024:                             ;   in Loop: Header=BB215_553 Depth=1
	s_delay_alu instid0(VALU_DEP_3) | instskip(NEXT) | instid1(VALU_DEP_1)
	v_clz_i32_u32_e32 v23, v6
	v_min_u32_e32 v23, 32, v23
	s_delay_alu instid0(VALU_DEP_1) | instskip(SKIP_1) | instid1(VALU_DEP_2)
	v_subrev_nc_u32_e32 v24, 28, v23
	v_sub_nc_u32_e32 v23, 29, v23
	v_lshlrev_b64 v[56:57], v24, v[6:7]
	s_delay_alu instid0(VALU_DEP_1)
	v_and_b32_e32 v6, 7, v56
; %bb.1025:                             ;   in Loop: Header=BB215_553 Depth=1
	s_or_b32 exec_lo, exec_lo, s17
	v_lshlrev_b32_e32 v24, 24, v46
	s_delay_alu instid0(VALU_DEP_2) | instskip(SKIP_1) | instid1(VALU_DEP_3)
	v_lshlrev_b32_e32 v6, 20, v6
	v_lshl_add_u32 v23, v23, 23, 0x3c000000
	v_and_b32_e32 v24, 0x80000000, v24
	s_delay_alu instid0(VALU_DEP_1)
	v_or3_b32 v24, v6, v24, v23
	v_mov_b32_e32 v23, v7
.LBB215_1026:                           ;   in Loop: Header=BB215_553 Depth=1
	s_or_b32 exec_lo, exec_lo, s10
.LBB215_1027:                           ;   in Loop: Header=BB215_553 Depth=1
	s_delay_alu instid0(SALU_CYCLE_1)
	s_or_b32 exec_lo, exec_lo, s15
.LBB215_1028:                           ;   in Loop: Header=BB215_553 Depth=1
	s_delay_alu instid0(SALU_CYCLE_1) | instskip(SKIP_4) | instid1(VALU_DEP_4)
	s_or_b32 exec_lo, exec_lo, s13
	v_or_b32_e32 v6, v17, v15
	v_or_b32_e32 v14, v16, v14
	;; [unrolled: 1-line block ×4, first 2 shown]
	v_mul_f32_e32 v56, v68, v6
	s_delay_alu instid0(VALU_DEP_4) | instskip(NEXT) | instid1(VALU_DEP_4)
	v_mul_f32_e32 v47, v68, v14
	v_mul_f32_e32 v45, v68, v15
	s_delay_alu instid0(VALU_DEP_4)
	v_mul_f32_e32 v46, v68, v16
	s_and_saveexec_b32 s10, vcc_lo
; %bb.1029:                             ;   in Loop: Header=BB215_553 Depth=1
	v_cmp_lt_i32_e64 s0, v81, v134
	s_delay_alu instid0(VALU_DEP_1) | instskip(SKIP_1) | instid1(VALU_DEP_1)
	v_cndmask_b32_e64 v47, 0, v47, s0
	v_cmp_lt_i32_e64 s0, v84, v134
	v_cndmask_b32_e64 v56, 0, v56, s0
	v_cmp_lt_i32_e64 s0, v83, v134
	s_delay_alu instid0(VALU_DEP_1) | instskip(SKIP_1) | instid1(VALU_DEP_1)
	v_cndmask_b32_e64 v46, 0, v46, s0
	v_cmp_lt_i32_e64 s0, v82, v134
	v_cndmask_b32_e64 v45, 0, v45, s0
; %bb.1030:                             ;   in Loop: Header=BB215_553 Depth=1
	s_or_b32 exec_lo, exec_lo, s10
	flat_load_b32 v57, v[12:13] offset:1792
	v_mov_b32_e32 v16, 0
	v_mov_b32_e32 v17, 0
	s_mov_b32 s10, exec_lo
	s_waitcnt vmcnt(0) lgkmcnt(0)
	v_and_b32_e32 v6, 0xff, v57
	s_delay_alu instid0(VALU_DEP_2) | instskip(NEXT) | instid1(VALU_DEP_2)
	v_dual_mov_b32 v14, v16 :: v_dual_mov_b32 v15, v17
	v_cmpx_ne_u16_e32 0, v6
	s_cbranch_execz .LBB215_1038
; %bb.1031:                             ;   in Loop: Header=BB215_553 Depth=1
	v_bfrev_b32_e32 v14, 1
	v_mov_b32_e32 v15, 0
	s_mov_b32 s13, exec_lo
	v_cmpx_ne_u16_e32 0x80, v6
	s_cbranch_execz .LBB215_1037
; %bb.1032:                             ;   in Loop: Header=BB215_553 Depth=1
	v_mov_b32_e32 v14, 0x7f800001
	v_dual_mov_b32 v15, 0 :: v_dual_and_b32 v18, 0x7f, v57
	s_mov_b32 s15, exec_lo
	s_delay_alu instid0(VALU_DEP_1)
	v_cmpx_ne_u32_e32 0x7f, v18
	s_cbranch_execz .LBB215_1036
; %bb.1033:                             ;   in Loop: Header=BB215_553 Depth=1
	v_and_b32_e32 v6, 7, v57
	v_lshrrev_b32_e32 v14, 3, v18
	s_mov_b32 s17, exec_lo
	v_cmpx_gt_u32_e32 8, v18
; %bb.1034:                             ;   in Loop: Header=BB215_553 Depth=1
	s_delay_alu instid0(VALU_DEP_3) | instskip(NEXT) | instid1(VALU_DEP_1)
	v_clz_i32_u32_e32 v14, v6
	v_min_u32_e32 v14, 32, v14
	s_delay_alu instid0(VALU_DEP_1) | instskip(SKIP_1) | instid1(VALU_DEP_2)
	v_subrev_nc_u32_e32 v15, 28, v14
	v_sub_nc_u32_e32 v14, 29, v14
	v_lshlrev_b64 v[18:19], v15, v[6:7]
	s_delay_alu instid0(VALU_DEP_1)
	v_and_b32_e32 v6, 7, v18
; %bb.1035:                             ;   in Loop: Header=BB215_553 Depth=1
	s_or_b32 exec_lo, exec_lo, s17
	v_lshlrev_b32_e32 v15, 24, v57
	s_delay_alu instid0(VALU_DEP_2) | instskip(SKIP_1) | instid1(VALU_DEP_3)
	v_lshlrev_b32_e32 v6, 20, v6
	v_lshl_add_u32 v14, v14, 23, 0x3c000000
	v_and_b32_e32 v15, 0x80000000, v15
	s_delay_alu instid0(VALU_DEP_1) | instskip(NEXT) | instid1(VALU_DEP_1)
	v_or3_b32 v6, v6, v15, v14
	v_dual_mov_b32 v15, v7 :: v_dual_mov_b32 v14, v6
.LBB215_1036:                           ;   in Loop: Header=BB215_553 Depth=1
	s_or_b32 exec_lo, exec_lo, s15
.LBB215_1037:                           ;   in Loop: Header=BB215_553 Depth=1
	s_delay_alu instid0(SALU_CYCLE_1)
	s_or_b32 exec_lo, exec_lo, s13
.LBB215_1038:                           ;   in Loop: Header=BB215_553 Depth=1
	s_delay_alu instid0(SALU_CYCLE_1) | instskip(SKIP_2) | instid1(VALU_DEP_1)
	s_or_b32 exec_lo, exec_lo, s10
	v_lshrrev_b16 v6, 8, v57
	s_mov_b32 s13, exec_lo
	v_cmpx_ne_u16_e32 0, v6
	s_cbranch_execz .LBB215_1046
; %bb.1039:                             ;   in Loop: Header=BB215_553 Depth=1
	v_dual_mov_b32 v17, s9 :: v_dual_mov_b32 v16, s8
	s_mov_b32 s15, exec_lo
	v_cmpx_ne_u16_e32 0x80, v6
	s_cbranch_execz .LBB215_1045
; %bb.1040:                             ;   in Loop: Header=BB215_553 Depth=1
	s_mov_b32 s10, s8
	v_dual_mov_b32 v17, s11 :: v_dual_and_b32 v6, 0xffff, v6
	v_mov_b32_e32 v16, s10
	s_mov_b32 s10, exec_lo
	s_delay_alu instid0(VALU_DEP_2) | instskip(NEXT) | instid1(VALU_DEP_1)
	v_and_b32_e32 v18, 0x7f, v6
	v_cmpx_ne_u32_e32 0x7f, v18
	s_cbranch_execz .LBB215_1044
; %bb.1041:                             ;   in Loop: Header=BB215_553 Depth=1
	v_and_b32_e32 v6, 7, v6
	v_lshrrev_b32_e32 v16, 3, v18
	s_mov_b32 s17, exec_lo
	v_cmpx_gt_u32_e32 8, v18
; %bb.1042:                             ;   in Loop: Header=BB215_553 Depth=1
	s_delay_alu instid0(VALU_DEP_3) | instskip(NEXT) | instid1(VALU_DEP_1)
	v_clz_i32_u32_e32 v16, v6
	v_min_u32_e32 v16, 32, v16
	s_delay_alu instid0(VALU_DEP_1) | instskip(SKIP_1) | instid1(VALU_DEP_2)
	v_subrev_nc_u32_e32 v17, 28, v16
	v_sub_nc_u32_e32 v16, 29, v16
	v_lshlrev_b64 v[17:18], v17, v[6:7]
	s_delay_alu instid0(VALU_DEP_1)
	v_and_b32_e32 v6, 7, v17
; %bb.1043:                             ;   in Loop: Header=BB215_553 Depth=1
	s_or_b32 exec_lo, exec_lo, s17
	v_lshlrev_b32_e32 v17, 16, v57
	s_delay_alu instid0(VALU_DEP_2) | instskip(SKIP_1) | instid1(VALU_DEP_3)
	v_lshlrev_b32_e32 v6, 20, v6
	v_lshl_add_u32 v16, v16, 23, 0x3c000000
	v_and_b32_e32 v17, 0x80000000, v17
	s_delay_alu instid0(VALU_DEP_1)
	v_or3_b32 v17, v6, v17, v16
	v_mov_b32_e32 v16, v7
.LBB215_1044:                           ;   in Loop: Header=BB215_553 Depth=1
	s_or_b32 exec_lo, exec_lo, s10
.LBB215_1045:                           ;   in Loop: Header=BB215_553 Depth=1
	s_delay_alu instid0(SALU_CYCLE_1)
	s_or_b32 exec_lo, exec_lo, s15
.LBB215_1046:                           ;   in Loop: Header=BB215_553 Depth=1
	s_delay_alu instid0(SALU_CYCLE_1) | instskip(SKIP_3) | instid1(VALU_DEP_2)
	s_or_b32 exec_lo, exec_lo, s13
	v_lshrrev_b32_e32 v58, 16, v57
	v_mov_b32_e32 v23, 0
	v_mov_b32_e32 v24, 0
	;; [unrolled: 1-line block ×3, first 2 shown]
	s_mov_b32 s10, exec_lo
	s_delay_alu instid0(VALU_DEP_2) | instskip(NEXT) | instid1(VALU_DEP_1)
	v_dual_mov_b32 v19, v24 :: v_dual_and_b32 v6, 0xff, v58
	v_cmpx_ne_u16_e32 0, v6
	s_cbranch_execz .LBB215_1054
; %bb.1047:                             ;   in Loop: Header=BB215_553 Depth=1
	v_bfrev_b32_e32 v18, 1
	v_mov_b32_e32 v19, 0
	s_mov_b32 s13, exec_lo
	v_cmpx_ne_u16_e32 0x80, v6
	s_cbranch_execz .LBB215_1053
; %bb.1048:                             ;   in Loop: Header=BB215_553 Depth=1
	v_mov_b32_e32 v18, 0x7f800001
	v_bfe_u32 v59, v57, 16, 7
	v_mov_b32_e32 v19, 0
	s_mov_b32 s15, exec_lo
	s_delay_alu instid0(VALU_DEP_2)
	v_cmpx_ne_u32_e32 0x7f, v59
	s_cbranch_execz .LBB215_1052
; %bb.1049:                             ;   in Loop: Header=BB215_553 Depth=1
	v_and_b32_e32 v6, 7, v58
	v_lshrrev_b32_e32 v18, 3, v59
	s_mov_b32 s17, exec_lo
	v_cmpx_gt_u32_e32 8, v59
; %bb.1050:                             ;   in Loop: Header=BB215_553 Depth=1
	s_delay_alu instid0(VALU_DEP_3) | instskip(NEXT) | instid1(VALU_DEP_1)
	v_clz_i32_u32_e32 v18, v6
	v_min_u32_e32 v18, 32, v18
	s_delay_alu instid0(VALU_DEP_1) | instskip(SKIP_1) | instid1(VALU_DEP_2)
	v_subrev_nc_u32_e32 v19, 28, v18
	v_sub_nc_u32_e32 v18, 29, v18
	v_lshlrev_b64 v[59:60], v19, v[6:7]
	s_delay_alu instid0(VALU_DEP_1)
	v_and_b32_e32 v6, 7, v59
; %bb.1051:                             ;   in Loop: Header=BB215_553 Depth=1
	s_or_b32 exec_lo, exec_lo, s17
	v_lshlrev_b32_e32 v19, 24, v58
	s_delay_alu instid0(VALU_DEP_2) | instskip(SKIP_1) | instid1(VALU_DEP_3)
	v_lshlrev_b32_e32 v6, 20, v6
	v_lshl_add_u32 v18, v18, 23, 0x3c000000
	v_and_b32_e32 v19, 0x80000000, v19
	s_delay_alu instid0(VALU_DEP_1) | instskip(NEXT) | instid1(VALU_DEP_1)
	v_or3_b32 v6, v6, v19, v18
	v_dual_mov_b32 v19, v7 :: v_dual_mov_b32 v18, v6
.LBB215_1052:                           ;   in Loop: Header=BB215_553 Depth=1
	s_or_b32 exec_lo, exec_lo, s15
.LBB215_1053:                           ;   in Loop: Header=BB215_553 Depth=1
	s_delay_alu instid0(SALU_CYCLE_1)
	s_or_b32 exec_lo, exec_lo, s13
.LBB215_1054:                           ;   in Loop: Header=BB215_553 Depth=1
	s_delay_alu instid0(SALU_CYCLE_1) | instskip(NEXT) | instid1(SALU_CYCLE_1)
	s_or_b32 exec_lo, exec_lo, s10
	s_mov_b32 s13, exec_lo
	v_cmpx_lt_u32_e32 0xffffff, v57
	s_cbranch_execz .LBB215_1062
; %bb.1055:                             ;   in Loop: Header=BB215_553 Depth=1
	v_lshrrev_b32_e32 v58, 24, v57
	v_dual_mov_b32 v24, s9 :: v_dual_mov_b32 v23, s8
	s_mov_b32 s15, exec_lo
	s_delay_alu instid0(VALU_DEP_2)
	v_cmpx_ne_u32_e32 0x80, v58
	s_cbranch_execz .LBB215_1061
; %bb.1056:                             ;   in Loop: Header=BB215_553 Depth=1
	s_mov_b32 s10, s8
	v_bfe_u32 v57, v57, 24, 7
	v_dual_mov_b32 v24, s11 :: v_dual_mov_b32 v23, s10
	s_mov_b32 s10, exec_lo
	s_delay_alu instid0(VALU_DEP_2)
	v_cmpx_ne_u32_e32 0x7f, v57
	s_cbranch_execz .LBB215_1060
; %bb.1057:                             ;   in Loop: Header=BB215_553 Depth=1
	v_and_b32_e32 v6, 7, v58
	v_lshrrev_b32_e32 v23, 3, v57
	s_mov_b32 s17, exec_lo
	v_cmpx_gt_u32_e32 8, v57
; %bb.1058:                             ;   in Loop: Header=BB215_553 Depth=1
	s_delay_alu instid0(VALU_DEP_3) | instskip(NEXT) | instid1(VALU_DEP_1)
	v_clz_i32_u32_e32 v23, v6
	v_min_u32_e32 v23, 32, v23
	s_delay_alu instid0(VALU_DEP_1) | instskip(SKIP_1) | instid1(VALU_DEP_2)
	v_subrev_nc_u32_e32 v24, 28, v23
	v_sub_nc_u32_e32 v23, 29, v23
	v_lshlrev_b64 v[59:60], v24, v[6:7]
	s_delay_alu instid0(VALU_DEP_1)
	v_and_b32_e32 v6, 7, v59
; %bb.1059:                             ;   in Loop: Header=BB215_553 Depth=1
	s_or_b32 exec_lo, exec_lo, s17
	v_lshlrev_b32_e32 v24, 24, v58
	s_delay_alu instid0(VALU_DEP_2) | instskip(SKIP_1) | instid1(VALU_DEP_3)
	v_lshlrev_b32_e32 v6, 20, v6
	v_lshl_add_u32 v23, v23, 23, 0x3c000000
	v_and_b32_e32 v24, 0x80000000, v24
	s_delay_alu instid0(VALU_DEP_1)
	v_or3_b32 v24, v6, v24, v23
	v_mov_b32_e32 v23, v7
.LBB215_1060:                           ;   in Loop: Header=BB215_553 Depth=1
	s_or_b32 exec_lo, exec_lo, s10
.LBB215_1061:                           ;   in Loop: Header=BB215_553 Depth=1
	s_delay_alu instid0(SALU_CYCLE_1)
	s_or_b32 exec_lo, exec_lo, s15
.LBB215_1062:                           ;   in Loop: Header=BB215_553 Depth=1
	s_delay_alu instid0(SALU_CYCLE_1) | instskip(SKIP_4) | instid1(VALU_DEP_4)
	s_or_b32 exec_lo, exec_lo, s13
	v_or_b32_e32 v6, v17, v15
	v_or_b32_e32 v14, v16, v14
	;; [unrolled: 1-line block ×4, first 2 shown]
	v_mul_f32_e32 v58, v68, v6
	s_delay_alu instid0(VALU_DEP_4) | instskip(NEXT) | instid1(VALU_DEP_4)
	v_mul_f32_e32 v57, v68, v14
	v_mul_f32_e32 v23, v68, v15
	s_delay_alu instid0(VALU_DEP_4)
	v_mul_f32_e32 v24, v68, v16
	s_and_saveexec_b32 s10, vcc_lo
; %bb.1063:                             ;   in Loop: Header=BB215_553 Depth=1
	v_cmp_lt_i32_e64 s0, v81, v134
	s_delay_alu instid0(VALU_DEP_1) | instskip(SKIP_1) | instid1(VALU_DEP_1)
	v_cndmask_b32_e64 v57, 0, v57, s0
	v_cmp_lt_i32_e64 s0, v84, v134
	v_cndmask_b32_e64 v58, 0, v58, s0
	v_cmp_lt_i32_e64 s0, v83, v134
	s_delay_alu instid0(VALU_DEP_1) | instskip(SKIP_1) | instid1(VALU_DEP_1)
	v_cndmask_b32_e64 v24, 0, v24, s0
	v_cmp_lt_i32_e64 s0, v82, v134
	v_cndmask_b32_e64 v23, 0, v23, s0
; %bb.1064:                             ;   in Loop: Header=BB215_553 Depth=1
	s_or_b32 exec_lo, exec_lo, s10
	flat_load_b32 v59, v[12:13] offset:1920
	v_mov_b32_e32 v14, 0
	v_mov_b32_e32 v15, 0
	s_mov_b32 s10, exec_lo
	s_waitcnt vmcnt(0) lgkmcnt(0)
	v_and_b32_e32 v6, 0xff, v59
	s_delay_alu instid0(VALU_DEP_2) | instskip(NEXT) | instid1(VALU_DEP_2)
	v_dual_mov_b32 v12, v14 :: v_dual_mov_b32 v13, v15
	v_cmpx_ne_u16_e32 0, v6
	s_cbranch_execz .LBB215_1072
; %bb.1065:                             ;   in Loop: Header=BB215_553 Depth=1
	v_bfrev_b32_e32 v12, 1
	v_mov_b32_e32 v13, 0
	s_mov_b32 s13, exec_lo
	v_cmpx_ne_u16_e32 0x80, v6
	s_cbranch_execz .LBB215_1071
; %bb.1066:                             ;   in Loop: Header=BB215_553 Depth=1
	v_mov_b32_e32 v12, 0x7f800001
	v_dual_mov_b32 v13, 0 :: v_dual_and_b32 v16, 0x7f, v59
	s_mov_b32 s15, exec_lo
	s_delay_alu instid0(VALU_DEP_1)
	v_cmpx_ne_u32_e32 0x7f, v16
	s_cbranch_execz .LBB215_1070
; %bb.1067:                             ;   in Loop: Header=BB215_553 Depth=1
	v_and_b32_e32 v6, 7, v59
	v_lshrrev_b32_e32 v12, 3, v16
	s_mov_b32 s17, exec_lo
	v_cmpx_gt_u32_e32 8, v16
; %bb.1068:                             ;   in Loop: Header=BB215_553 Depth=1
	s_delay_alu instid0(VALU_DEP_3) | instskip(NEXT) | instid1(VALU_DEP_1)
	v_clz_i32_u32_e32 v12, v6
	v_min_u32_e32 v12, 32, v12
	s_delay_alu instid0(VALU_DEP_1) | instskip(SKIP_1) | instid1(VALU_DEP_2)
	v_subrev_nc_u32_e32 v13, 28, v12
	v_sub_nc_u32_e32 v12, 29, v12
	v_lshlrev_b64 v[16:17], v13, v[6:7]
	s_delay_alu instid0(VALU_DEP_1)
	v_and_b32_e32 v6, 7, v16
; %bb.1069:                             ;   in Loop: Header=BB215_553 Depth=1
	s_or_b32 exec_lo, exec_lo, s17
	v_lshlrev_b32_e32 v13, 24, v59
	s_delay_alu instid0(VALU_DEP_2) | instskip(SKIP_1) | instid1(VALU_DEP_3)
	v_lshlrev_b32_e32 v6, 20, v6
	v_lshl_add_u32 v12, v12, 23, 0x3c000000
	v_and_b32_e32 v13, 0x80000000, v13
	s_delay_alu instid0(VALU_DEP_1) | instskip(NEXT) | instid1(VALU_DEP_1)
	v_or3_b32 v6, v6, v13, v12
	v_dual_mov_b32 v13, v7 :: v_dual_mov_b32 v12, v6
.LBB215_1070:                           ;   in Loop: Header=BB215_553 Depth=1
	s_or_b32 exec_lo, exec_lo, s15
.LBB215_1071:                           ;   in Loop: Header=BB215_553 Depth=1
	s_delay_alu instid0(SALU_CYCLE_1)
	s_or_b32 exec_lo, exec_lo, s13
.LBB215_1072:                           ;   in Loop: Header=BB215_553 Depth=1
	s_delay_alu instid0(SALU_CYCLE_1) | instskip(SKIP_2) | instid1(VALU_DEP_1)
	s_or_b32 exec_lo, exec_lo, s10
	v_lshrrev_b16 v6, 8, v59
	s_mov_b32 s13, exec_lo
	v_cmpx_ne_u16_e32 0, v6
	s_cbranch_execz .LBB215_1080
; %bb.1073:                             ;   in Loop: Header=BB215_553 Depth=1
	v_dual_mov_b32 v15, s9 :: v_dual_mov_b32 v14, s8
	s_mov_b32 s15, exec_lo
	v_cmpx_ne_u16_e32 0x80, v6
	s_cbranch_execz .LBB215_1079
; %bb.1074:                             ;   in Loop: Header=BB215_553 Depth=1
	s_mov_b32 s10, s8
	v_dual_mov_b32 v15, s11 :: v_dual_and_b32 v6, 0xffff, v6
	v_mov_b32_e32 v14, s10
	s_mov_b32 s10, exec_lo
	s_delay_alu instid0(VALU_DEP_2) | instskip(NEXT) | instid1(VALU_DEP_1)
	v_and_b32_e32 v16, 0x7f, v6
	v_cmpx_ne_u32_e32 0x7f, v16
	s_cbranch_execz .LBB215_1078
; %bb.1075:                             ;   in Loop: Header=BB215_553 Depth=1
	v_and_b32_e32 v6, 7, v6
	v_lshrrev_b32_e32 v14, 3, v16
	s_mov_b32 s17, exec_lo
	v_cmpx_gt_u32_e32 8, v16
; %bb.1076:                             ;   in Loop: Header=BB215_553 Depth=1
	s_delay_alu instid0(VALU_DEP_3) | instskip(NEXT) | instid1(VALU_DEP_1)
	v_clz_i32_u32_e32 v14, v6
	v_min_u32_e32 v14, 32, v14
	s_delay_alu instid0(VALU_DEP_1) | instskip(SKIP_1) | instid1(VALU_DEP_2)
	v_subrev_nc_u32_e32 v15, 28, v14
	v_sub_nc_u32_e32 v14, 29, v14
	v_lshlrev_b64 v[15:16], v15, v[6:7]
	s_delay_alu instid0(VALU_DEP_1)
	v_and_b32_e32 v6, 7, v15
; %bb.1077:                             ;   in Loop: Header=BB215_553 Depth=1
	s_or_b32 exec_lo, exec_lo, s17
	v_lshlrev_b32_e32 v15, 16, v59
	s_delay_alu instid0(VALU_DEP_2) | instskip(SKIP_1) | instid1(VALU_DEP_3)
	v_lshlrev_b32_e32 v6, 20, v6
	v_lshl_add_u32 v14, v14, 23, 0x3c000000
	v_and_b32_e32 v15, 0x80000000, v15
	s_delay_alu instid0(VALU_DEP_1)
	v_or3_b32 v15, v6, v15, v14
	v_mov_b32_e32 v14, v7
.LBB215_1078:                           ;   in Loop: Header=BB215_553 Depth=1
	s_or_b32 exec_lo, exec_lo, s10
.LBB215_1079:                           ;   in Loop: Header=BB215_553 Depth=1
	s_delay_alu instid0(SALU_CYCLE_1)
	s_or_b32 exec_lo, exec_lo, s15
.LBB215_1080:                           ;   in Loop: Header=BB215_553 Depth=1
	s_delay_alu instid0(SALU_CYCLE_1) | instskip(SKIP_4) | instid1(VALU_DEP_2)
	s_or_b32 exec_lo, exec_lo, s13
	v_mov_b32_e32 v18, 0
	v_lshrrev_b32_e32 v60, 16, v59
	v_mov_b32_e32 v19, 0
	s_mov_b32 s10, exec_lo
	v_and_b32_e32 v6, 0xff, v60
	s_delay_alu instid0(VALU_DEP_2) | instskip(NEXT) | instid1(VALU_DEP_2)
	v_dual_mov_b32 v16, v18 :: v_dual_mov_b32 v17, v19
	v_cmpx_ne_u16_e32 0, v6
	s_cbranch_execz .LBB215_1088
; %bb.1081:                             ;   in Loop: Header=BB215_553 Depth=1
	v_bfrev_b32_e32 v16, 1
	v_mov_b32_e32 v17, 0
	s_mov_b32 s13, exec_lo
	v_cmpx_ne_u16_e32 0x80, v6
	s_cbranch_execz .LBB215_1087
; %bb.1082:                             ;   in Loop: Header=BB215_553 Depth=1
	v_mov_b32_e32 v16, 0x7f800001
	v_bfe_u32 v61, v59, 16, 7
	v_mov_b32_e32 v17, 0
	s_mov_b32 s15, exec_lo
	s_delay_alu instid0(VALU_DEP_2)
	v_cmpx_ne_u32_e32 0x7f, v61
	s_cbranch_execz .LBB215_1086
; %bb.1083:                             ;   in Loop: Header=BB215_553 Depth=1
	v_and_b32_e32 v6, 7, v60
	v_lshrrev_b32_e32 v16, 3, v61
	s_mov_b32 s17, exec_lo
	v_cmpx_gt_u32_e32 8, v61
; %bb.1084:                             ;   in Loop: Header=BB215_553 Depth=1
	s_delay_alu instid0(VALU_DEP_3) | instskip(NEXT) | instid1(VALU_DEP_1)
	v_clz_i32_u32_e32 v16, v6
	v_min_u32_e32 v16, 32, v16
	s_delay_alu instid0(VALU_DEP_1) | instskip(SKIP_1) | instid1(VALU_DEP_2)
	v_subrev_nc_u32_e32 v17, 28, v16
	v_sub_nc_u32_e32 v16, 29, v16
	v_lshlrev_b64 v[61:62], v17, v[6:7]
	s_delay_alu instid0(VALU_DEP_1)
	v_and_b32_e32 v6, 7, v61
; %bb.1085:                             ;   in Loop: Header=BB215_553 Depth=1
	s_or_b32 exec_lo, exec_lo, s17
	v_lshlrev_b32_e32 v17, 24, v60
	s_delay_alu instid0(VALU_DEP_2) | instskip(SKIP_1) | instid1(VALU_DEP_3)
	v_lshlrev_b32_e32 v6, 20, v6
	v_lshl_add_u32 v16, v16, 23, 0x3c000000
	v_and_b32_e32 v17, 0x80000000, v17
	s_delay_alu instid0(VALU_DEP_1) | instskip(NEXT) | instid1(VALU_DEP_1)
	v_or3_b32 v6, v6, v17, v16
	v_dual_mov_b32 v17, v7 :: v_dual_mov_b32 v16, v6
.LBB215_1086:                           ;   in Loop: Header=BB215_553 Depth=1
	s_or_b32 exec_lo, exec_lo, s15
.LBB215_1087:                           ;   in Loop: Header=BB215_553 Depth=1
	s_delay_alu instid0(SALU_CYCLE_1)
	s_or_b32 exec_lo, exec_lo, s13
.LBB215_1088:                           ;   in Loop: Header=BB215_553 Depth=1
	s_delay_alu instid0(SALU_CYCLE_1) | instskip(NEXT) | instid1(SALU_CYCLE_1)
	s_or_b32 exec_lo, exec_lo, s10
	s_mov_b32 s13, exec_lo
	v_cmpx_lt_u32_e32 0xffffff, v59
	s_cbranch_execz .LBB215_1096
; %bb.1089:                             ;   in Loop: Header=BB215_553 Depth=1
	v_lshrrev_b32_e32 v60, 24, v59
	v_dual_mov_b32 v19, s9 :: v_dual_mov_b32 v18, s8
	s_mov_b32 s15, exec_lo
	s_delay_alu instid0(VALU_DEP_2)
	v_cmpx_ne_u32_e32 0x80, v60
	s_cbranch_execz .LBB215_1095
; %bb.1090:                             ;   in Loop: Header=BB215_553 Depth=1
	s_mov_b32 s10, s8
	v_bfe_u32 v59, v59, 24, 7
	v_dual_mov_b32 v19, s11 :: v_dual_mov_b32 v18, s10
	s_mov_b32 s10, exec_lo
	s_delay_alu instid0(VALU_DEP_2)
	v_cmpx_ne_u32_e32 0x7f, v59
	s_cbranch_execz .LBB215_1094
; %bb.1091:                             ;   in Loop: Header=BB215_553 Depth=1
	v_and_b32_e32 v6, 7, v60
	v_lshrrev_b32_e32 v18, 3, v59
	s_mov_b32 s17, exec_lo
	v_cmpx_gt_u32_e32 8, v59
; %bb.1092:                             ;   in Loop: Header=BB215_553 Depth=1
	s_delay_alu instid0(VALU_DEP_3) | instskip(NEXT) | instid1(VALU_DEP_1)
	v_clz_i32_u32_e32 v18, v6
	v_min_u32_e32 v18, 32, v18
	s_delay_alu instid0(VALU_DEP_1) | instskip(SKIP_1) | instid1(VALU_DEP_2)
	v_subrev_nc_u32_e32 v19, 28, v18
	v_sub_nc_u32_e32 v18, 29, v18
	v_lshlrev_b64 v[61:62], v19, v[6:7]
	s_delay_alu instid0(VALU_DEP_1)
	v_and_b32_e32 v6, 7, v61
; %bb.1093:                             ;   in Loop: Header=BB215_553 Depth=1
	s_or_b32 exec_lo, exec_lo, s17
	v_lshlrev_b32_e32 v19, 24, v60
	s_delay_alu instid0(VALU_DEP_2) | instskip(SKIP_1) | instid1(VALU_DEP_3)
	v_lshlrev_b32_e32 v6, 20, v6
	v_lshl_add_u32 v18, v18, 23, 0x3c000000
	v_and_b32_e32 v19, 0x80000000, v19
	s_delay_alu instid0(VALU_DEP_1)
	v_or3_b32 v19, v6, v19, v18
	v_mov_b32_e32 v18, v7
.LBB215_1094:                           ;   in Loop: Header=BB215_553 Depth=1
	s_or_b32 exec_lo, exec_lo, s10
.LBB215_1095:                           ;   in Loop: Header=BB215_553 Depth=1
	s_delay_alu instid0(SALU_CYCLE_1)
	s_or_b32 exec_lo, exec_lo, s15
.LBB215_1096:                           ;   in Loop: Header=BB215_553 Depth=1
	s_delay_alu instid0(SALU_CYCLE_1) | instskip(SKIP_4) | instid1(VALU_DEP_4)
	s_or_b32 exec_lo, exec_lo, s13
	v_or_b32_e32 v6, v15, v13
	v_or_b32_e32 v12, v14, v12
	;; [unrolled: 1-line block ×4, first 2 shown]
	v_mul_f32_e32 v14, v68, v6
	s_delay_alu instid0(VALU_DEP_4) | instskip(NEXT) | instid1(VALU_DEP_4)
	v_mul_f32_e32 v13, v68, v12
	v_mul_f32_e32 v6, v68, v15
	s_delay_alu instid0(VALU_DEP_4)
	v_mul_f32_e32 v12, v68, v16
	s_and_saveexec_b32 s0, vcc_lo
	s_cbranch_execz .LBB215_551
; %bb.1097:                             ;   in Loop: Header=BB215_553 Depth=1
	v_cmp_lt_i32_e32 vcc_lo, v81, v134
	v_cndmask_b32_e32 v13, 0, v13, vcc_lo
	v_cmp_lt_i32_e32 vcc_lo, v84, v134
	v_cndmask_b32_e32 v14, 0, v14, vcc_lo
	v_cmp_lt_i32_e32 vcc_lo, v83, v134
	v_cndmask_b32_e32 v12, 0, v12, vcc_lo
	v_cmp_lt_i32_e32 vcc_lo, v82, v134
	v_cndmask_b32_e32 v6, 0, v6, vcc_lo
	s_branch .LBB215_551
.LBB215_1098:
	s_or_b32 exec_lo, exec_lo, s5
.LBB215_1099:
	s_delay_alu instid0(SALU_CYCLE_1)
	s_or_b32 exec_lo, exec_lo, s3
	ds_bpermute_b32 v0, v28, v54
	ds_bpermute_b32 v1, v28, v55
	;; [unrolled: 1-line block ×16, first 2 shown]
	s_waitcnt lgkmcnt(0)
	s_waitcnt_vscnt null, 0x0
	s_barrier
	buffer_gl0_inv
	s_load_b32 s3, s[6:7], 0x0
	v_dual_add_f32 v0, v54, v0 :: v_dual_add_f32 v1, v55, v1
	v_dual_add_f32 v2, v53, v2 :: v_dual_add_f32 v3, v52, v3
	;; [unrolled: 1-line block ×7, first 2 shown]
	v_dual_add_f32 v17, v31, v17 :: v_dual_and_b32 v20, 0x3c1, v39
	v_add_f32_e32 v16, v32, v16
	v_lshrrev_b32_e32 v18, 1, v25
	s_mov_b32 s0, exec_lo
	s_waitcnt lgkmcnt(0)
	v_lshl_add_u32 v19, v21, 10, s3
	v_cmpx_eq_u32_e32 64, v20
	s_cbranch_execz .LBB215_1101
; %bb.1100:
	v_lshlrev_b32_e32 v20, 2, v18
	s_delay_alu instid0(VALU_DEP_1)
	v_add3_u32 v20, v19, v20, 0xfffff800
	ds_store_2addr_b32 v20, v0, v1 offset1:16
	ds_store_2addr_b32 v20, v2, v3 offset0:32 offset1:48
	ds_store_2addr_b32 v20, v6, v7 offset0:64 offset1:80
	ds_store_2addr_b32 v20, v8, v9 offset0:96 offset1:112
	ds_store_2addr_b32 v20, v10, v11 offset0:128 offset1:144
	ds_store_2addr_b32 v20, v12, v13 offset0:160 offset1:176
	ds_store_2addr_b32 v20, v14, v15 offset0:192 offset1:208
	ds_store_2addr_b32 v20, v16, v17 offset0:224 offset1:240
.LBB215_1101:
	s_or_b32 exec_lo, exec_lo, s0
	v_cmp_eq_u32_e32 vcc_lo, 0, v29
	s_mov_b32 s5, exec_lo
	s_waitcnt lgkmcnt(0)
	s_barrier
	buffer_gl0_inv
	v_cmpx_gt_u32_e32 64, v39
	s_cbranch_execz .LBB215_1120
; %bb.1102:
	s_and_saveexec_b32 s0, vcc_lo
	s_cbranch_execnz .LBB215_1144
; %bb.1103:
	s_or_b32 exec_lo, exec_lo, s0
	s_and_saveexec_b32 s0, vcc_lo
	s_cbranch_execnz .LBB215_1145
.LBB215_1104:
	s_or_b32 exec_lo, exec_lo, s0
	s_and_saveexec_b32 s0, vcc_lo
	s_cbranch_execnz .LBB215_1146
.LBB215_1105:
	s_or_b32 exec_lo, exec_lo, s0
	s_and_saveexec_b32 s0, vcc_lo
	s_cbranch_execnz .LBB215_1147
.LBB215_1106:
	s_or_b32 exec_lo, exec_lo, s0
	s_and_saveexec_b32 s0, vcc_lo
	s_cbranch_execnz .LBB215_1148
.LBB215_1107:
	s_or_b32 exec_lo, exec_lo, s0
	s_and_saveexec_b32 s0, vcc_lo
	s_cbranch_execnz .LBB215_1149
.LBB215_1108:
	s_or_b32 exec_lo, exec_lo, s0
	s_and_saveexec_b32 s0, vcc_lo
	s_cbranch_execnz .LBB215_1150
.LBB215_1109:
	s_or_b32 exec_lo, exec_lo, s0
	s_and_saveexec_b32 s0, vcc_lo
	s_cbranch_execnz .LBB215_1151
.LBB215_1110:
	s_or_b32 exec_lo, exec_lo, s0
	s_and_saveexec_b32 s0, vcc_lo
	s_cbranch_execnz .LBB215_1152
.LBB215_1111:
	s_or_b32 exec_lo, exec_lo, s0
	s_and_saveexec_b32 s0, vcc_lo
	s_cbranch_execnz .LBB215_1153
.LBB215_1112:
	s_or_b32 exec_lo, exec_lo, s0
	s_and_saveexec_b32 s0, vcc_lo
	s_cbranch_execnz .LBB215_1154
.LBB215_1113:
	s_or_b32 exec_lo, exec_lo, s0
	s_and_saveexec_b32 s0, vcc_lo
	s_cbranch_execnz .LBB215_1155
.LBB215_1114:
	s_or_b32 exec_lo, exec_lo, s0
	s_and_saveexec_b32 s0, vcc_lo
	s_cbranch_execnz .LBB215_1156
.LBB215_1115:
	s_or_b32 exec_lo, exec_lo, s0
	s_and_saveexec_b32 s0, vcc_lo
	s_cbranch_execnz .LBB215_1157
.LBB215_1116:
	s_or_b32 exec_lo, exec_lo, s0
	s_and_saveexec_b32 s0, vcc_lo
	s_cbranch_execnz .LBB215_1158
.LBB215_1117:
	s_or_b32 exec_lo, exec_lo, s0
	s_and_saveexec_b32 s0, vcc_lo
	s_cbranch_execz .LBB215_1119
.LBB215_1118:
	v_lshl_add_u32 v20, v18, 2, v19
	ds_load_b32 v20, v20 offset:960
	s_waitcnt lgkmcnt(0)
	v_add_f32_e32 v17, v20, v17
.LBB215_1119:
	s_or_b32 exec_lo, exec_lo, s0
.LBB215_1120:
	s_delay_alu instid0(SALU_CYCLE_1)
	s_or_b32 exec_lo, exec_lo, s5
	v_and_b32_e32 v20, 0x3e1, v39
	s_mov_b32 s5, exec_lo
	s_barrier
	buffer_gl0_inv
	v_cmpx_eq_u32_e32 32, v20
	s_cbranch_execz .LBB215_1122
; %bb.1121:
	v_lshl_add_u32 v21, v18, 2, s3
	ds_store_2addr_b32 v21, v0, v1 offset1:16
	ds_store_2addr_b32 v21, v2, v3 offset0:32 offset1:48
	ds_store_2addr_b32 v21, v6, v7 offset0:64 offset1:80
	;; [unrolled: 1-line block ×7, first 2 shown]
.LBB215_1122:
	s_or_b32 exec_lo, exec_lo, s5
	s_delay_alu instid0(SALU_CYCLE_1)
	s_mov_b32 s3, exec_lo
	s_waitcnt lgkmcnt(0)
	s_barrier
	buffer_gl0_inv
	v_cmpx_gt_u32_e32 32, v39
	s_cbranch_execz .LBB215_1141
; %bb.1123:
	v_lshl_add_u32 v18, v18, 2, v19
	s_and_saveexec_b32 s0, vcc_lo
	s_cbranch_execnz .LBB215_1159
; %bb.1124:
	s_or_b32 exec_lo, exec_lo, s0
	s_and_saveexec_b32 s0, vcc_lo
	s_cbranch_execnz .LBB215_1160
.LBB215_1125:
	s_or_b32 exec_lo, exec_lo, s0
	s_and_saveexec_b32 s0, vcc_lo
	s_cbranch_execnz .LBB215_1161
.LBB215_1126:
	s_or_b32 exec_lo, exec_lo, s0
	s_and_saveexec_b32 s0, vcc_lo
	s_cbranch_execnz .LBB215_1162
.LBB215_1127:
	s_or_b32 exec_lo, exec_lo, s0
	s_and_saveexec_b32 s0, vcc_lo
	s_cbranch_execnz .LBB215_1163
.LBB215_1128:
	s_or_b32 exec_lo, exec_lo, s0
	s_and_saveexec_b32 s0, vcc_lo
	s_cbranch_execnz .LBB215_1164
.LBB215_1129:
	s_or_b32 exec_lo, exec_lo, s0
	s_and_saveexec_b32 s0, vcc_lo
	s_cbranch_execnz .LBB215_1165
.LBB215_1130:
	s_or_b32 exec_lo, exec_lo, s0
	s_and_saveexec_b32 s0, vcc_lo
	s_cbranch_execnz .LBB215_1166
.LBB215_1131:
	s_or_b32 exec_lo, exec_lo, s0
	s_and_saveexec_b32 s0, vcc_lo
	s_cbranch_execnz .LBB215_1167
.LBB215_1132:
	s_or_b32 exec_lo, exec_lo, s0
	s_and_saveexec_b32 s0, vcc_lo
	s_cbranch_execnz .LBB215_1168
.LBB215_1133:
	s_or_b32 exec_lo, exec_lo, s0
	s_and_saveexec_b32 s0, vcc_lo
	s_cbranch_execnz .LBB215_1169
.LBB215_1134:
	s_or_b32 exec_lo, exec_lo, s0
	s_and_saveexec_b32 s0, vcc_lo
	s_cbranch_execnz .LBB215_1170
.LBB215_1135:
	s_or_b32 exec_lo, exec_lo, s0
	s_and_saveexec_b32 s0, vcc_lo
	s_cbranch_execnz .LBB215_1171
.LBB215_1136:
	s_or_b32 exec_lo, exec_lo, s0
	s_and_saveexec_b32 s0, vcc_lo
	s_cbranch_execnz .LBB215_1172
.LBB215_1137:
	s_or_b32 exec_lo, exec_lo, s0
	s_and_saveexec_b32 s0, vcc_lo
	s_cbranch_execnz .LBB215_1173
.LBB215_1138:
	s_or_b32 exec_lo, exec_lo, s0
	s_and_saveexec_b32 s0, vcc_lo
	s_cbranch_execz .LBB215_1140
.LBB215_1139:
	ds_load_b32 v18, v18 offset:960
	s_waitcnt lgkmcnt(0)
	v_add_f32_e32 v17, v18, v17
.LBB215_1140:
	s_or_b32 exec_lo, exec_lo, s0
.LBB215_1141:
	s_delay_alu instid0(SALU_CYCLE_1)
	s_or_b32 exec_lo, exec_lo, s3
	v_cmp_eq_u32_e32 vcc_lo, 0, v20
	s_barrier
	buffer_gl0_inv
	s_and_b32 exec_lo, exec_lo, vcc_lo
	s_cbranch_execz .LBB215_1143
; %bb.1142:
	s_lshl_b32 s0, s2, 8
	s_mul_i32 s2, s4, s1
	s_lshl_b32 s4, s14, 8
	s_ashr_i32 s3, s2, 31
	s_ashr_i32 s5, s4, 31
	;; [unrolled: 1-line block ×3, first 2 shown]
	s_lshl_b64 s[2:3], s[2:3], 2
	s_lshl_b64 s[4:5], s[4:5], 2
	;; [unrolled: 1-line block ×3, first 2 shown]
	s_add_u32 s2, s4, s2
	s_addc_u32 s3, s5, s3
	s_add_u32 s0, s2, s0
	s_addc_u32 s1, s3, s1
	v_lshlrev_b32_e32 v18, 1, v39
	v_add_co_u32 v4, vcc_lo, s0, v4
	v_add_co_ci_u32_e32 v5, vcc_lo, s1, v5, vcc_lo
	s_delay_alu instid0(VALU_DEP_2) | instskip(NEXT) | instid1(VALU_DEP_2)
	v_add_co_u32 v4, vcc_lo, v4, v18
	v_add_co_ci_u32_e32 v5, vcc_lo, 0, v5, vcc_lo
	s_clause 0xf
	flat_store_b32 v[4:5], v0
	flat_store_b32 v[4:5], v1 offset:64
	flat_store_b32 v[4:5], v2 offset:128
	;; [unrolled: 1-line block ×15, first 2 shown]
.LBB215_1143:
	s_or_b32 exec_lo, exec_lo, s16
	s_clause 0x1f
	scratch_load_b32 v157, off, s32 offset:8
	scratch_load_b32 v156, off, s32 offset:12
	;; [unrolled: 1-line block ×32, first 2 shown]
	s_clause 0x1d
	scratch_load_b32 v93, off, s32 offset:136
	scratch_load_b32 v92, off, s32 offset:140
	;; [unrolled: 1-line block ×30, first 2 shown]
	s_waitcnt vmcnt(0) lgkmcnt(0)
	s_setpc_b64 s[30:31]
.LBB215_1144:
	v_lshl_add_u32 v20, v18, 2, v19
	ds_load_b32 v20, v20
	s_waitcnt lgkmcnt(0)
	v_add_f32_e32 v0, v20, v0
	s_or_b32 exec_lo, exec_lo, s0
	s_and_saveexec_b32 s0, vcc_lo
	s_cbranch_execz .LBB215_1104
.LBB215_1145:
	v_lshl_add_u32 v20, v18, 2, v19
	ds_load_b32 v20, v20 offset:64
	s_waitcnt lgkmcnt(0)
	v_add_f32_e32 v1, v20, v1
	s_or_b32 exec_lo, exec_lo, s0
	s_and_saveexec_b32 s0, vcc_lo
	s_cbranch_execz .LBB215_1105
.LBB215_1146:
	v_lshl_add_u32 v20, v18, 2, v19
	ds_load_b32 v20, v20 offset:128
	s_waitcnt lgkmcnt(0)
	v_add_f32_e32 v2, v20, v2
	s_or_b32 exec_lo, exec_lo, s0
	s_and_saveexec_b32 s0, vcc_lo
	s_cbranch_execz .LBB215_1106
.LBB215_1147:
	v_lshl_add_u32 v20, v18, 2, v19
	ds_load_b32 v20, v20 offset:192
	s_waitcnt lgkmcnt(0)
	v_add_f32_e32 v3, v20, v3
	s_or_b32 exec_lo, exec_lo, s0
	s_and_saveexec_b32 s0, vcc_lo
	s_cbranch_execz .LBB215_1107
.LBB215_1148:
	v_lshl_add_u32 v20, v18, 2, v19
	ds_load_b32 v20, v20 offset:256
	s_waitcnt lgkmcnt(0)
	v_add_f32_e32 v6, v20, v6
	s_or_b32 exec_lo, exec_lo, s0
	s_and_saveexec_b32 s0, vcc_lo
	s_cbranch_execz .LBB215_1108
.LBB215_1149:
	v_lshl_add_u32 v20, v18, 2, v19
	ds_load_b32 v20, v20 offset:320
	s_waitcnt lgkmcnt(0)
	v_add_f32_e32 v7, v20, v7
	s_or_b32 exec_lo, exec_lo, s0
	s_and_saveexec_b32 s0, vcc_lo
	s_cbranch_execz .LBB215_1109
.LBB215_1150:
	v_lshl_add_u32 v20, v18, 2, v19
	ds_load_b32 v20, v20 offset:384
	s_waitcnt lgkmcnt(0)
	v_add_f32_e32 v8, v20, v8
	s_or_b32 exec_lo, exec_lo, s0
	s_and_saveexec_b32 s0, vcc_lo
	s_cbranch_execz .LBB215_1110
.LBB215_1151:
	v_lshl_add_u32 v20, v18, 2, v19
	ds_load_b32 v20, v20 offset:448
	s_waitcnt lgkmcnt(0)
	v_add_f32_e32 v9, v20, v9
	s_or_b32 exec_lo, exec_lo, s0
	s_and_saveexec_b32 s0, vcc_lo
	s_cbranch_execz .LBB215_1111
.LBB215_1152:
	v_lshl_add_u32 v20, v18, 2, v19
	ds_load_b32 v20, v20 offset:512
	s_waitcnt lgkmcnt(0)
	v_add_f32_e32 v10, v20, v10
	s_or_b32 exec_lo, exec_lo, s0
	s_and_saveexec_b32 s0, vcc_lo
	s_cbranch_execz .LBB215_1112
.LBB215_1153:
	v_lshl_add_u32 v20, v18, 2, v19
	ds_load_b32 v20, v20 offset:576
	s_waitcnt lgkmcnt(0)
	v_add_f32_e32 v11, v20, v11
	s_or_b32 exec_lo, exec_lo, s0
	s_and_saveexec_b32 s0, vcc_lo
	s_cbranch_execz .LBB215_1113
.LBB215_1154:
	v_lshl_add_u32 v20, v18, 2, v19
	ds_load_b32 v20, v20 offset:640
	s_waitcnt lgkmcnt(0)
	v_add_f32_e32 v12, v20, v12
	s_or_b32 exec_lo, exec_lo, s0
	s_and_saveexec_b32 s0, vcc_lo
	s_cbranch_execz .LBB215_1114
.LBB215_1155:
	v_lshl_add_u32 v20, v18, 2, v19
	ds_load_b32 v20, v20 offset:704
	s_waitcnt lgkmcnt(0)
	v_add_f32_e32 v13, v20, v13
	s_or_b32 exec_lo, exec_lo, s0
	s_and_saveexec_b32 s0, vcc_lo
	s_cbranch_execz .LBB215_1115
.LBB215_1156:
	v_lshl_add_u32 v20, v18, 2, v19
	ds_load_b32 v20, v20 offset:768
	s_waitcnt lgkmcnt(0)
	v_add_f32_e32 v14, v20, v14
	s_or_b32 exec_lo, exec_lo, s0
	s_and_saveexec_b32 s0, vcc_lo
	s_cbranch_execz .LBB215_1116
.LBB215_1157:
	v_lshl_add_u32 v20, v18, 2, v19
	ds_load_b32 v20, v20 offset:832
	s_waitcnt lgkmcnt(0)
	v_add_f32_e32 v15, v20, v15
	s_or_b32 exec_lo, exec_lo, s0
	s_and_saveexec_b32 s0, vcc_lo
	s_cbranch_execz .LBB215_1117
.LBB215_1158:
	v_lshl_add_u32 v20, v18, 2, v19
	ds_load_b32 v20, v20 offset:896
	s_waitcnt lgkmcnt(0)
	v_add_f32_e32 v16, v20, v16
	s_or_b32 exec_lo, exec_lo, s0
	s_and_saveexec_b32 s0, vcc_lo
	s_cbranch_execnz .LBB215_1118
	s_branch .LBB215_1119
.LBB215_1159:
	ds_load_b32 v19, v18
	s_waitcnt lgkmcnt(0)
	v_add_f32_e32 v0, v19, v0
	s_or_b32 exec_lo, exec_lo, s0
	s_and_saveexec_b32 s0, vcc_lo
	s_cbranch_execz .LBB215_1125
.LBB215_1160:
	ds_load_b32 v19, v18 offset:64
	s_waitcnt lgkmcnt(0)
	v_add_f32_e32 v1, v19, v1
	s_or_b32 exec_lo, exec_lo, s0
	s_and_saveexec_b32 s0, vcc_lo
	s_cbranch_execz .LBB215_1126
.LBB215_1161:
	ds_load_b32 v19, v18 offset:128
	s_waitcnt lgkmcnt(0)
	v_add_f32_e32 v2, v19, v2
	s_or_b32 exec_lo, exec_lo, s0
	s_and_saveexec_b32 s0, vcc_lo
	s_cbranch_execz .LBB215_1127
.LBB215_1162:
	ds_load_b32 v19, v18 offset:192
	s_waitcnt lgkmcnt(0)
	v_add_f32_e32 v3, v19, v3
	s_or_b32 exec_lo, exec_lo, s0
	s_and_saveexec_b32 s0, vcc_lo
	s_cbranch_execz .LBB215_1128
.LBB215_1163:
	ds_load_b32 v19, v18 offset:256
	s_waitcnt lgkmcnt(0)
	v_add_f32_e32 v6, v19, v6
	s_or_b32 exec_lo, exec_lo, s0
	s_and_saveexec_b32 s0, vcc_lo
	s_cbranch_execz .LBB215_1129
.LBB215_1164:
	ds_load_b32 v19, v18 offset:320
	s_waitcnt lgkmcnt(0)
	v_add_f32_e32 v7, v19, v7
	s_or_b32 exec_lo, exec_lo, s0
	s_and_saveexec_b32 s0, vcc_lo
	s_cbranch_execz .LBB215_1130
.LBB215_1165:
	ds_load_b32 v19, v18 offset:384
	s_waitcnt lgkmcnt(0)
	v_add_f32_e32 v8, v19, v8
	s_or_b32 exec_lo, exec_lo, s0
	s_and_saveexec_b32 s0, vcc_lo
	s_cbranch_execz .LBB215_1131
.LBB215_1166:
	ds_load_b32 v19, v18 offset:448
	s_waitcnt lgkmcnt(0)
	v_add_f32_e32 v9, v19, v9
	s_or_b32 exec_lo, exec_lo, s0
	s_and_saveexec_b32 s0, vcc_lo
	s_cbranch_execz .LBB215_1132
.LBB215_1167:
	ds_load_b32 v19, v18 offset:512
	s_waitcnt lgkmcnt(0)
	v_add_f32_e32 v10, v19, v10
	s_or_b32 exec_lo, exec_lo, s0
	s_and_saveexec_b32 s0, vcc_lo
	s_cbranch_execz .LBB215_1133
.LBB215_1168:
	ds_load_b32 v19, v18 offset:576
	s_waitcnt lgkmcnt(0)
	v_add_f32_e32 v11, v19, v11
	s_or_b32 exec_lo, exec_lo, s0
	s_and_saveexec_b32 s0, vcc_lo
	s_cbranch_execz .LBB215_1134
.LBB215_1169:
	ds_load_b32 v19, v18 offset:640
	s_waitcnt lgkmcnt(0)
	v_add_f32_e32 v12, v19, v12
	s_or_b32 exec_lo, exec_lo, s0
	s_and_saveexec_b32 s0, vcc_lo
	s_cbranch_execz .LBB215_1135
.LBB215_1170:
	ds_load_b32 v19, v18 offset:704
	s_waitcnt lgkmcnt(0)
	v_add_f32_e32 v13, v19, v13
	s_or_b32 exec_lo, exec_lo, s0
	s_and_saveexec_b32 s0, vcc_lo
	s_cbranch_execz .LBB215_1136
.LBB215_1171:
	ds_load_b32 v19, v18 offset:768
	s_waitcnt lgkmcnt(0)
	v_add_f32_e32 v14, v19, v14
	s_or_b32 exec_lo, exec_lo, s0
	s_and_saveexec_b32 s0, vcc_lo
	s_cbranch_execz .LBB215_1137
.LBB215_1172:
	ds_load_b32 v19, v18 offset:832
	s_waitcnt lgkmcnt(0)
	v_add_f32_e32 v15, v19, v15
	s_or_b32 exec_lo, exec_lo, s0
	s_and_saveexec_b32 s0, vcc_lo
	s_cbranch_execz .LBB215_1138
.LBB215_1173:
	ds_load_b32 v19, v18 offset:896
	s_waitcnt lgkmcnt(0)
	v_add_f32_e32 v16, v19, v16
	s_or_b32 exec_lo, exec_lo, s0
	s_and_saveexec_b32 s0, vcc_lo
	s_cbranch_execnz .LBB215_1139
	s_branch .LBB215_1140
.Lfunc_end215:
	.size	_ZN4vllm22paged_attention_kernelIfhLi256ELi8ELi128ELNS_18Fp8KVCacheDataTypeE1ELb1ELi512EEEvPfS2_PT_PKS3_PKT0_S9_ifPKiSB_iPKfiiiSD_SD_iiiii, .Lfunc_end215-_ZN4vllm22paged_attention_kernelIfhLi256ELi8ELi128ELNS_18Fp8KVCacheDataTypeE1ELb1ELi512EEEvPfS2_PT_PKS3_PKT0_S9_ifPKiSB_iPKfiiiSD_SD_iiiii
                                        ; -- End function
	.section	.AMDGPU.csdata,"",@progbits
; Function info:
; codeLenInByte = 39508
; NumSgprs: 35
; NumVgprs: 184
; ScratchSize: 260
; MemoryBound: 0
	.section	.text._ZN4vllm25paged_attention_v2_kernelIfhLi256ELi8ELi128ELNS_18Fp8KVCacheDataTypeE1ELb1ELi512EEEvPfS2_PT_PKS3_PKT0_S9_ifPKiSB_iPKfiiiSD_SD_iiiii,"axG",@progbits,_ZN4vllm25paged_attention_v2_kernelIfhLi256ELi8ELi128ELNS_18Fp8KVCacheDataTypeE1ELb1ELi512EEEvPfS2_PT_PKS3_PKT0_S9_ifPKiSB_iPKfiiiSD_SD_iiiii,comdat
	.protected	_ZN4vllm25paged_attention_v2_kernelIfhLi256ELi8ELi128ELNS_18Fp8KVCacheDataTypeE1ELb1ELi512EEEvPfS2_PT_PKS3_PKT0_S9_ifPKiSB_iPKfiiiSD_SD_iiiii ; -- Begin function _ZN4vllm25paged_attention_v2_kernelIfhLi256ELi8ELi128ELNS_18Fp8KVCacheDataTypeE1ELb1ELi512EEEvPfS2_PT_PKS3_PKT0_S9_ifPKiSB_iPKfiiiSD_SD_iiiii
	.globl	_ZN4vllm25paged_attention_v2_kernelIfhLi256ELi8ELi128ELNS_18Fp8KVCacheDataTypeE1ELb1ELi512EEEvPfS2_PT_PKS3_PKT0_S9_ifPKiSB_iPKfiiiSD_SD_iiiii
	.p2align	8
	.type	_ZN4vllm25paged_attention_v2_kernelIfhLi256ELi8ELi128ELNS_18Fp8KVCacheDataTypeE1ELb1ELi512EEEvPfS2_PT_PKS3_PKT0_S9_ifPKiSB_iPKfiiiSD_SD_iiiii,@function
_ZN4vllm25paged_attention_v2_kernelIfhLi256ELi8ELi128ELNS_18Fp8KVCacheDataTypeE1ELb1ELi512EEEvPfS2_PT_PKS3_PKT0_S9_ifPKiSB_iPKfiiiSD_SD_iiiii: ; @_ZN4vllm25paged_attention_v2_kernelIfhLi256ELi8ELi128ELNS_18Fp8KVCacheDataTypeE1ELb1ELi512EEEvPfS2_PT_PKS3_PKT0_S9_ifPKiSB_iPKfiiiSD_SD_iiiii
; %bb.0:
	s_mov_b32 s12, s13
	s_clause 0x7
	s_load_b128 s[4:7], s[0:1], 0x78
	s_load_b32 s8, s[0:1], 0x88
	s_load_b256 s[24:31], s[0:1], 0x0
	s_load_b256 s[36:43], s[0:1], 0x20
	s_load_b64 s[2:3], s[0:1], 0x40
	s_load_b64 s[10:11], s[0:1], 0x50
	s_load_b32 s13, s[0:1], 0x48
	s_load_b256 s[16:23], s[0:1], 0x58
	s_mov_b32 s32, 0
	v_mov_b32_e32 v31, v0
	s_waitcnt lgkmcnt(0)
	v_dual_mov_b32 v1, s7 :: v_dual_mov_b32 v2, s8
	v_dual_mov_b32 v0, s24 :: v_dual_mov_b32 v3, s27
	;; [unrolled: 1-line block ×3, first 2 shown]
	v_mov_b32_e32 v6, s30
	scratch_store_b64 off, v[1:2], s32
	v_dual_mov_b32 v1, s25 :: v_dual_mov_b32 v2, s26
	v_dual_mov_b32 v7, s31 :: v_dual_mov_b32 v8, s36
	;; [unrolled: 1-line block ×13, first 2 shown]
	s_add_u32 s8, s0, 0x90
	s_addc_u32 s9, s1, 0
	s_mov_b32 s13, s14
	s_mov_b32 s14, s15
	s_movk_i32 s15, 0x4c
	s_getpc_b64 s[0:1]
	s_add_u32 s0, s0, _ZN4vllm22paged_attention_kernelIfhLi256ELi8ELi128ELNS_18Fp8KVCacheDataTypeE1ELb1ELi512EEEvPfS2_PT_PKS3_PKT0_S9_ifPKiSB_iPKfiiiSD_SD_iiiii@rel32@lo+4
	s_addc_u32 s1, s1, _ZN4vllm22paged_attention_kernelIfhLi256ELi8ELi128ELNS_18Fp8KVCacheDataTypeE1ELb1ELi512EEEvPfS2_PT_PKS3_PKT0_S9_ifPKiSB_iPKfiiiSD_SD_iiiii@rel32@hi+12
	s_delay_alu instid0(SALU_CYCLE_1)
	s_swappc_b64 s[30:31], s[0:1]
	s_endpgm
	.section	.rodata,"a",@progbits
	.p2align	6, 0x0
	.amdhsa_kernel _ZN4vllm25paged_attention_v2_kernelIfhLi256ELi8ELi128ELNS_18Fp8KVCacheDataTypeE1ELb1ELi512EEEvPfS2_PT_PKS3_PKT0_S9_ifPKiSB_iPKfiiiSD_SD_iiiii
		.amdhsa_group_segment_fixed_size 1056
		.amdhsa_private_segment_fixed_size 260
		.amdhsa_kernarg_size 400
		.amdhsa_user_sgpr_count 13
		.amdhsa_user_sgpr_dispatch_ptr 0
		.amdhsa_user_sgpr_queue_ptr 0
		.amdhsa_user_sgpr_kernarg_segment_ptr 1
		.amdhsa_user_sgpr_dispatch_id 0
		.amdhsa_user_sgpr_private_segment_size 0
		.amdhsa_wavefront_size32 1
		.amdhsa_uses_dynamic_stack 0
		.amdhsa_enable_private_segment 1
		.amdhsa_system_sgpr_workgroup_id_x 1
		.amdhsa_system_sgpr_workgroup_id_y 1
		.amdhsa_system_sgpr_workgroup_id_z 1
		.amdhsa_system_sgpr_workgroup_info 0
		.amdhsa_system_vgpr_workitem_id 0
		.amdhsa_next_free_vgpr 184
		.amdhsa_next_free_sgpr 44
		.amdhsa_reserve_vcc 1
		.amdhsa_float_round_mode_32 0
		.amdhsa_float_round_mode_16_64 0
		.amdhsa_float_denorm_mode_32 3
		.amdhsa_float_denorm_mode_16_64 3
		.amdhsa_dx10_clamp 1
		.amdhsa_ieee_mode 1
		.amdhsa_fp16_overflow 0
		.amdhsa_workgroup_processor_mode 1
		.amdhsa_memory_ordered 1
		.amdhsa_forward_progress 0
		.amdhsa_shared_vgpr_count 0
		.amdhsa_exception_fp_ieee_invalid_op 0
		.amdhsa_exception_fp_denorm_src 0
		.amdhsa_exception_fp_ieee_div_zero 0
		.amdhsa_exception_fp_ieee_overflow 0
		.amdhsa_exception_fp_ieee_underflow 0
		.amdhsa_exception_fp_ieee_inexact 0
		.amdhsa_exception_int_div_zero 0
	.end_amdhsa_kernel
	.section	.text._ZN4vllm25paged_attention_v2_kernelIfhLi256ELi8ELi128ELNS_18Fp8KVCacheDataTypeE1ELb1ELi512EEEvPfS2_PT_PKS3_PKT0_S9_ifPKiSB_iPKfiiiSD_SD_iiiii,"axG",@progbits,_ZN4vllm25paged_attention_v2_kernelIfhLi256ELi8ELi128ELNS_18Fp8KVCacheDataTypeE1ELb1ELi512EEEvPfS2_PT_PKS3_PKT0_S9_ifPKiSB_iPKfiiiSD_SD_iiiii,comdat
.Lfunc_end216:
	.size	_ZN4vllm25paged_attention_v2_kernelIfhLi256ELi8ELi128ELNS_18Fp8KVCacheDataTypeE1ELb1ELi512EEEvPfS2_PT_PKS3_PKT0_S9_ifPKiSB_iPKfiiiSD_SD_iiiii, .Lfunc_end216-_ZN4vllm25paged_attention_v2_kernelIfhLi256ELi8ELi128ELNS_18Fp8KVCacheDataTypeE1ELb1ELi512EEEvPfS2_PT_PKS3_PKT0_S9_ifPKiSB_iPKfiiiSD_SD_iiiii
                                        ; -- End function
	.section	.AMDGPU.csdata,"",@progbits
; Kernel info:
; codeLenInByte = 280
; NumSgprs: 46
; NumVgprs: 184
; ScratchSize: 260
; MemoryBound: 0
; FloatMode: 240
; IeeeMode: 1
; LDSByteSize: 1056 bytes/workgroup (compile time only)
; SGPRBlocks: 5
; VGPRBlocks: 22
; NumSGPRsForWavesPerEU: 46
; NumVGPRsForWavesPerEU: 184
; Occupancy: 8
; WaveLimiterHint : 1
; COMPUTE_PGM_RSRC2:SCRATCH_EN: 1
; COMPUTE_PGM_RSRC2:USER_SGPR: 13
; COMPUTE_PGM_RSRC2:TRAP_HANDLER: 0
; COMPUTE_PGM_RSRC2:TGID_X_EN: 1
; COMPUTE_PGM_RSRC2:TGID_Y_EN: 1
; COMPUTE_PGM_RSRC2:TGID_Z_EN: 1
; COMPUTE_PGM_RSRC2:TIDIG_COMP_CNT: 0
	.section	.text._ZN4vllm25paged_attention_v2_kernelIfhLi32ELi8ELi128ELNS_18Fp8KVCacheDataTypeE1ELb0ELi512EEEvPfS2_PT_PKS3_PKT0_S9_ifPKiSB_iPKfiiiSD_SD_iiiii,"axG",@progbits,_ZN4vllm25paged_attention_v2_kernelIfhLi32ELi8ELi128ELNS_18Fp8KVCacheDataTypeE1ELb0ELi512EEEvPfS2_PT_PKS3_PKT0_S9_ifPKiSB_iPKfiiiSD_SD_iiiii,comdat
	.protected	_ZN4vllm25paged_attention_v2_kernelIfhLi32ELi8ELi128ELNS_18Fp8KVCacheDataTypeE1ELb0ELi512EEEvPfS2_PT_PKS3_PKT0_S9_ifPKiSB_iPKfiiiSD_SD_iiiii ; -- Begin function _ZN4vllm25paged_attention_v2_kernelIfhLi32ELi8ELi128ELNS_18Fp8KVCacheDataTypeE1ELb0ELi512EEEvPfS2_PT_PKS3_PKT0_S9_ifPKiSB_iPKfiiiSD_SD_iiiii
	.globl	_ZN4vllm25paged_attention_v2_kernelIfhLi32ELi8ELi128ELNS_18Fp8KVCacheDataTypeE1ELb0ELi512EEEvPfS2_PT_PKS3_PKT0_S9_ifPKiSB_iPKfiiiSD_SD_iiiii
	.p2align	8
	.type	_ZN4vllm25paged_attention_v2_kernelIfhLi32ELi8ELi128ELNS_18Fp8KVCacheDataTypeE1ELb0ELi512EEEvPfS2_PT_PKS3_PKT0_S9_ifPKiSB_iPKfiiiSD_SD_iiiii,@function
_ZN4vllm25paged_attention_v2_kernelIfhLi32ELi8ELi128ELNS_18Fp8KVCacheDataTypeE1ELb0ELi512EEEvPfS2_PT_PKS3_PKT0_S9_ifPKiSB_iPKfiiiSD_SD_iiiii: ; @_ZN4vllm25paged_attention_v2_kernelIfhLi32ELi8ELi128ELNS_18Fp8KVCacheDataTypeE1ELb0ELi512EEEvPfS2_PT_PKS3_PKT0_S9_ifPKiSB_iPKfiiiSD_SD_iiiii
; %bb.0:
	s_load_b64 s[2:3], s[0:1], 0x40
	s_mov_b32 s12, s15
	s_ashr_i32 s15, s14, 31
	s_delay_alu instid0(SALU_CYCLE_1)
	s_lshl_b64 s[4:5], s[14:15], 2
	s_waitcnt lgkmcnt(0)
	s_add_u32 s2, s2, s4
	s_addc_u32 s3, s3, s5
	s_lshl_b32 s33, s12, 9
	s_load_b32 s15, s[2:3], 0x0
	s_waitcnt lgkmcnt(0)
	s_cmp_ge_i32 s33, s15
	s_cbranch_scc1 .LBB217_184
; %bb.1:
	s_mov_b32 s24, s13
	s_clause 0x1
	s_load_b32 s13, s[0:1], 0x90
	s_load_b64 s[34:35], s[0:1], 0x30
	s_mov_b32 s37, 0
	s_waitcnt lgkmcnt(0)
	s_abs_i32 s5, s13
	s_abs_i32 s2, s34
	s_delay_alu instid0(SALU_CYCLE_1) | instskip(SKIP_1) | instid1(VALU_DEP_1)
	v_cvt_f32_u32_e32 v1, s2
	s_sub_i32 s4, 0, s2
	v_rcp_iflag_f32_e32 v1, v1
	s_waitcnt_depctr 0xfff
	v_mul_f32_e32 v1, 0x4f7ffffe, v1
	s_delay_alu instid0(VALU_DEP_1) | instskip(NEXT) | instid1(VALU_DEP_1)
	v_cvt_u32_f32_e32 v1, v1
	v_readfirstlane_b32 s3, v1
	s_delay_alu instid0(VALU_DEP_1) | instskip(NEXT) | instid1(SALU_CYCLE_1)
	s_mul_i32 s4, s4, s3
	s_mul_hi_u32 s4, s3, s4
	s_delay_alu instid0(SALU_CYCLE_1) | instskip(SKIP_4) | instid1(SALU_CYCLE_1)
	s_add_i32 s3, s3, s4
	s_xor_b32 s4, s13, s34
	s_mul_hi_u32 s3, s5, s3
	s_ashr_i32 s4, s4, 31
	s_mul_i32 s6, s3, s2
	s_sub_i32 s5, s5, s6
	s_add_i32 s6, s3, 1
	s_sub_i32 s7, s5, s2
	s_cmp_ge_u32 s5, s2
	s_cselect_b32 s3, s6, s3
	s_cselect_b32 s5, s7, s5
	s_add_i32 s6, s3, 1
	s_cmp_ge_u32 s5, s2
	s_cselect_b32 s2, s6, s3
	s_abs_i32 s10, s24
	s_xor_b32 s2, s2, s4
	s_delay_alu instid0(SALU_CYCLE_1) | instskip(SKIP_2) | instid1(SALU_CYCLE_1)
	s_sub_i32 s11, s2, s4
	s_load_b64 s[2:3], s[0:1], 0x50
	s_abs_i32 s8, s11
	v_cvt_f32_u32_e32 v1, s8
	s_sub_i32 s5, 0, s8
	s_delay_alu instid0(VALU_DEP_1) | instskip(SKIP_2) | instid1(VALU_DEP_1)
	v_rcp_iflag_f32_e32 v1, v1
	s_waitcnt_depctr 0xfff
	v_mul_f32_e32 v1, 0x4f7ffffe, v1
	v_cvt_u32_f32_e32 v1, v1
	s_delay_alu instid0(VALU_DEP_1) | instskip(NEXT) | instid1(VALU_DEP_1)
	v_readfirstlane_b32 s4, v1
	s_mul_i32 s5, s5, s4
	s_delay_alu instid0(SALU_CYCLE_1) | instskip(NEXT) | instid1(SALU_CYCLE_1)
	s_mul_hi_u32 s5, s4, s5
	s_add_i32 s4, s4, s5
	s_waitcnt lgkmcnt(0)
	s_cmp_eq_u64 s[2:3], 0
	s_mul_hi_u32 s9, s10, s4
	s_cbranch_scc1 .LBB217_3
; %bb.2:
	s_ashr_i32 s25, s24, 31
	s_delay_alu instid0(SALU_CYCLE_1) | instskip(NEXT) | instid1(SALU_CYCLE_1)
	s_lshl_b64 s[4:5], s[24:25], 2
	s_add_u32 s2, s2, s4
	s_addc_u32 s3, s3, s5
	s_load_b32 s37, s[2:3], 0x0
.LBB217_3:
	s_load_b128 s[4:7], s[0:1], 0x58
	v_and_b32_e32 v21, 3, v0
	v_cmp_gt_u32_e64 s2, 32, v0
	v_lshlrev_b32_e32 v19, 2, v0
	s_ashr_i32 s3, s24, 31
	s_ashr_i32 s11, s11, 31
	s_lshl_b32 s20, s24, 5
	s_waitcnt lgkmcnt(0)
	s_and_saveexec_b32 s7, s2
	s_cbranch_execz .LBB217_5
; %bb.4:
	s_load_b64 s[16:17], s[0:1], 0x18
	s_mul_i32 s18, s14, s4
	v_and_b32_e32 v2, 0x3fc, v0
	s_ashr_i32 s19, s18, 31
	s_delay_alu instid0(SALU_CYCLE_1) | instskip(NEXT) | instid1(VALU_DEP_1)
	s_lshl_b64 s[18:19], s[18:19], 2
	v_lshl_add_u32 v2, v21, 5, v2
	s_waitcnt lgkmcnt(0)
	s_add_u32 s4, s16, s18
	s_addc_u32 s18, s17, s19
	s_ashr_i32 s21, s20, 31
	s_delay_alu instid0(SALU_CYCLE_1) | instskip(NEXT) | instid1(SALU_CYCLE_1)
	s_lshl_b64 s[16:17], s[20:21], 2
	s_add_u32 s16, s4, s16
	s_addc_u32 s17, s18, s17
	global_load_b32 v1, v19, s[16:17]
	s_waitcnt vmcnt(0)
	ds_store_b32 v2, v1
.LBB217_5:
	s_or_b32 exec_lo, exec_lo, s7
	s_add_i32 s4, s15, 7
	s_lshl_b32 s7, s12, 6
	s_ashr_i32 s16, s4, 31
	s_xor_b32 s3, s3, s11
	s_lshr_b32 s16, s16, 29
	s_add_i32 s11, s7, 64
	s_add_i32 s4, s4, s16
	v_lshrrev_b32_e32 v22, 5, v0
	s_ashr_i32 s34, s4, 3
	s_mul_i32 s4, s9, s8
	s_min_i32 s25, s11, s34
	s_clause 0x1
	s_load_b64 s[26:27], s[0:1], 0x38
	s_load_b32 s11, s[0:1], 0x48
	s_sub_i32 s4, s10, s4
	s_add_i32 s10, s9, 1
	s_sub_i32 s16, s4, s8
	s_cmp_ge_u32 s4, s8
	v_or_b32_e32 v9, s7, v22
	s_cselect_b32 s9, s10, s9
	s_cselect_b32 s4, s16, s4
	s_add_i32 s10, s9, 1
	s_cmp_ge_u32 s4, s8
	v_mbcnt_lo_u32_b32 v20, -1, 0
	s_cselect_b32 s4, s10, s9
	s_mov_b32 s8, exec_lo
	s_xor_b32 s4, s4, s3
	s_waitcnt lgkmcnt(0)
	s_sub_i32 s36, s4, s3
	v_cmp_gt_i32_e64 s3, s25, v9
	s_barrier
	buffer_gl0_inv
                                        ; implicit-def: $sgpr4
                                        ; implicit-def: $vgpr24
	s_mul_i32 s28, s14, s11
	s_delay_alu instid0(SALU_CYCLE_1)
	s_ashr_i32 s29, s28, 31
	v_cmpx_le_i32_e64 s25, v9
	s_xor_b32 s8, exec_lo, s8
; %bb.6:
	v_mbcnt_lo_u32_b32 v20, -1, 0
	v_mov_b32_e32 v24, 32
	s_mov_b32 s4, 0xff7fffff
                                        ; implicit-def: $vgpr21
; %bb.7:
	s_or_saveexec_b32 s38, s8
	s_clause 0x4
	s_load_b128 s[16:19], s[0:1], 0x0
	s_load_b64 s[22:23], s[0:1], 0x10
	s_load_b32 s21, s[0:1], 0x98
	s_load_b64 s[30:31], s[0:1], 0x28
	s_load_b128 s[8:11], s[0:1], 0x68
	v_mov_b32_e32 v23, s4
	v_ashrrev_i32_e32 v10, 31, v9
	s_mul_i32 s36, s36, s6
	s_xor_b32 exec_lo, exec_lo, s38
	s_cbranch_execz .LBB217_77
; %bb.8:
	v_xor_b32_e32 v1, 2, v20
	s_load_b64 s[0:1], s[0:1], 0x20
	v_xor_b32_e32 v2, 1, v20
	v_dual_mov_b32 v12, 0 :: v_dual_lshlrev_b32 v5, 5, v21
	s_delay_alu instid0(VALU_DEP_3)
	v_cmp_gt_i32_e32 vcc_lo, 32, v1
	v_bfe_u32 v11, v0, 2, 3
	v_mov_b32_e32 v24, 32
	s_ashr_i32 s4, s36, 31
	s_mov_b32 s39, s5
	v_cndmask_b32_e32 v14, v20, v1, vcc_lo
	v_cmp_gt_i32_e32 vcc_lo, 32, v2
	v_lshlrev_b32_e32 v13, 4, v11
	v_dual_mov_b32 v23, 0xff7fffff :: v_dual_lshlrev_b32 v16, 2, v11
	v_mov_b32_e32 v29, v9
	v_cndmask_b32_e32 v15, v20, v2, vcc_lo
	ds_load_b128 v[1:4], v5
	ds_load_b128 v[5:8], v5 offset:16
	s_waitcnt lgkmcnt(0)
	s_load_b32 s6, s[8:9], 0x0
	v_lshl_or_b32 v17, v22, 5, v16
	v_cmp_eq_u32_e32 vcc_lo, 0, v21
	v_lshlrev_b32_e32 v26, 2, v15
	v_lshlrev_b32_e32 v15, 3, v22
	s_add_u32 s0, s0, s36
	s_addc_u32 s1, s1, s4
	v_add_co_u32 v13, s0, s0, v13
	s_delay_alu instid0(VALU_DEP_2)
	v_add3_u32 v27, s33, v15, v11
	v_lshlrev_b64 v[15:16], 2, v[9:10]
	s_lshl_b64 s[40:41], s[28:29], 2
	s_sub_i32 s8, 1, s15
	v_lshlrev_b32_e32 v25, 2, v14
	v_add_co_ci_u32_e64 v14, null, s1, 0, s0
	s_add_u32 s1, s26, s40
	s_addc_u32 s4, s27, s41
	v_add_co_u32 v15, s1, s1, v15
	v_cmp_neq_f32_e64 s0, s37, 0
	v_add_nc_u32_e32 v28, 0xa0, v17
	v_add_co_ci_u32_e64 v16, s1, s4, v16, s1
	s_mov_b32 s9, 0
	s_branch .LBB217_10
.LBB217_9:                              ;   in Loop: Header=BB217_10 Depth=1
	s_or_b32 exec_lo, exec_lo, s4
	v_add_nc_u32_e32 v29, 4, v29
	v_add_co_u32 v15, s4, v15, 16
	v_add_nc_u32_e32 v27, 32, v27
	v_add_nc_u32_e32 v28, 0x80, v28
	s_delay_alu instid0(VALU_DEP_4) | instskip(SKIP_1) | instid1(VALU_DEP_2)
	v_cmp_le_i32_e64 s1, s25, v29
	v_add_co_ci_u32_e64 v16, s4, 0, v16, s4
	s_or_b32 s9, s1, s9
	s_delay_alu instid0(SALU_CYCLE_1)
	s_and_not1_b32 exec_lo, exec_lo, s9
	s_cbranch_execz .LBB217_76
.LBB217_10:                             ; =>This Inner Loop Header: Depth=1
	global_load_b32 v11, v[15:16], off
	v_mov_b32_e32 v30, 0
	s_mov_b32 s4, exec_lo
	s_waitcnt vmcnt(0) lgkmcnt(0)
	v_mad_i64_i32 v[17:18], null, v11, s39, v[13:14]
	s_delay_alu instid0(VALU_DEP_1) | instskip(NEXT) | instid1(VALU_DEP_1)
	v_add_co_u32 v17, s1, v17, v21
	v_add_co_ci_u32_e64 v18, s1, 0, v18, s1
	global_load_u8 v31, v[17:18], off
	s_waitcnt vmcnt(0)
	v_cmpx_ne_u16_e32 0, v31
	s_cbranch_execz .LBB217_18
; %bb.11:                               ;   in Loop: Header=BB217_10 Depth=1
	v_bfrev_b32_e32 v30, 1
	s_mov_b32 s40, exec_lo
	v_cmpx_ne_u16_e32 0x80, v31
	s_cbranch_execz .LBB217_17
; %bb.12:                               ;   in Loop: Header=BB217_10 Depth=1
	v_and_b32_e32 v11, 0xffff, v31
	v_mov_b32_e32 v30, 0x7f800001
	s_mov_b32 s41, exec_lo
	s_delay_alu instid0(VALU_DEP_2) | instskip(NEXT) | instid1(VALU_DEP_1)
	v_and_b32_e32 v32, 0x7f, v11
	v_cmpx_ne_u32_e32 0x7f, v32
	s_cbranch_execz .LBB217_16
; %bb.13:                               ;   in Loop: Header=BB217_10 Depth=1
	v_and_b32_e32 v11, 7, v11
	v_lshrrev_b32_e32 v30, 3, v32
	s_mov_b32 s42, exec_lo
	v_cmpx_gt_u32_e32 8, v32
; %bb.14:                               ;   in Loop: Header=BB217_10 Depth=1
	s_delay_alu instid0(VALU_DEP_3) | instskip(NEXT) | instid1(VALU_DEP_1)
	v_clz_i32_u32_e32 v30, v11
	v_min_u32_e32 v30, 32, v30
	s_delay_alu instid0(VALU_DEP_1) | instskip(SKIP_1) | instid1(VALU_DEP_2)
	v_subrev_nc_u32_e32 v32, 28, v30
	v_sub_nc_u32_e32 v30, 29, v30
	v_lshlrev_b64 v[32:33], v32, v[11:12]
	s_delay_alu instid0(VALU_DEP_1)
	v_and_b32_e32 v11, 7, v32
; %bb.15:                               ;   in Loop: Header=BB217_10 Depth=1
	s_or_b32 exec_lo, exec_lo, s42
	v_lshlrev_b32_e32 v31, 24, v31
	s_delay_alu instid0(VALU_DEP_2) | instskip(SKIP_1) | instid1(VALU_DEP_3)
	v_lshlrev_b32_e32 v11, 20, v11
	v_lshl_add_u32 v30, v30, 23, 0x3c000000
	v_and_b32_e32 v31, 0x80000000, v31
	s_delay_alu instid0(VALU_DEP_1)
	v_or3_b32 v30, v11, v31, v30
.LBB217_16:                             ;   in Loop: Header=BB217_10 Depth=1
	s_or_b32 exec_lo, exec_lo, s41
.LBB217_17:                             ;   in Loop: Header=BB217_10 Depth=1
	s_delay_alu instid0(SALU_CYCLE_1)
	s_or_b32 exec_lo, exec_lo, s40
.LBB217_18:                             ;   in Loop: Header=BB217_10 Depth=1
	s_delay_alu instid0(SALU_CYCLE_1)
	s_or_b32 exec_lo, exec_lo, s4
	global_load_u8 v33, v[17:18], off offset:4
	v_dual_mov_b32 v31, 0 :: v_dual_mov_b32 v32, 0
	s_mov_b32 s4, exec_lo
	s_waitcnt vmcnt(0)
	v_cmpx_ne_u16_e32 0, v33
	s_cbranch_execz .LBB217_26
; %bb.19:                               ;   in Loop: Header=BB217_10 Depth=1
	v_bfrev_b32_e32 v32, 1
	s_mov_b32 s40, exec_lo
	v_cmpx_ne_u16_e32 0x80, v33
	s_cbranch_execz .LBB217_25
; %bb.20:                               ;   in Loop: Header=BB217_10 Depth=1
	v_and_b32_e32 v11, 0xffff, v33
	v_mov_b32_e32 v32, 0x7f800001
	s_mov_b32 s41, exec_lo
	s_delay_alu instid0(VALU_DEP_2) | instskip(NEXT) | instid1(VALU_DEP_1)
	v_and_b32_e32 v34, 0x7f, v11
	v_cmpx_ne_u32_e32 0x7f, v34
	s_cbranch_execz .LBB217_24
; %bb.21:                               ;   in Loop: Header=BB217_10 Depth=1
	v_and_b32_e32 v11, 7, v11
	v_lshrrev_b32_e32 v32, 3, v34
	s_mov_b32 s42, exec_lo
	v_cmpx_gt_u32_e32 8, v34
; %bb.22:                               ;   in Loop: Header=BB217_10 Depth=1
	s_delay_alu instid0(VALU_DEP_3) | instskip(NEXT) | instid1(VALU_DEP_1)
	v_clz_i32_u32_e32 v32, v11
	v_min_u32_e32 v32, 32, v32
	s_delay_alu instid0(VALU_DEP_1) | instskip(SKIP_1) | instid1(VALU_DEP_2)
	v_subrev_nc_u32_e32 v34, 28, v32
	v_sub_nc_u32_e32 v32, 29, v32
	v_lshlrev_b64 v[34:35], v34, v[11:12]
	s_delay_alu instid0(VALU_DEP_1)
	v_and_b32_e32 v11, 7, v34
; %bb.23:                               ;   in Loop: Header=BB217_10 Depth=1
	s_or_b32 exec_lo, exec_lo, s42
	v_lshlrev_b32_e32 v33, 24, v33
	s_delay_alu instid0(VALU_DEP_2) | instskip(SKIP_1) | instid1(VALU_DEP_3)
	v_lshlrev_b32_e32 v11, 20, v11
	v_lshl_add_u32 v32, v32, 23, 0x3c000000
	v_and_b32_e32 v33, 0x80000000, v33
	s_delay_alu instid0(VALU_DEP_1)
	v_or3_b32 v32, v11, v33, v32
.LBB217_24:                             ;   in Loop: Header=BB217_10 Depth=1
	s_or_b32 exec_lo, exec_lo, s41
.LBB217_25:                             ;   in Loop: Header=BB217_10 Depth=1
	s_delay_alu instid0(SALU_CYCLE_1)
	s_or_b32 exec_lo, exec_lo, s40
.LBB217_26:                             ;   in Loop: Header=BB217_10 Depth=1
	s_delay_alu instid0(SALU_CYCLE_1)
	s_or_b32 exec_lo, exec_lo, s4
	global_load_u8 v33, v[17:18], off offset:8
	s_mov_b32 s4, exec_lo
	s_waitcnt vmcnt(0)
	v_cmpx_ne_u16_e32 0, v33
	s_cbranch_execz .LBB217_34
; %bb.27:                               ;   in Loop: Header=BB217_10 Depth=1
	v_bfrev_b32_e32 v31, 1
	s_mov_b32 s40, exec_lo
	v_cmpx_ne_u16_e32 0x80, v33
	s_cbranch_execz .LBB217_33
; %bb.28:                               ;   in Loop: Header=BB217_10 Depth=1
	v_and_b32_e32 v11, 0xffff, v33
	v_mov_b32_e32 v31, 0x7f800001
	s_mov_b32 s41, exec_lo
	s_delay_alu instid0(VALU_DEP_2) | instskip(NEXT) | instid1(VALU_DEP_1)
	v_and_b32_e32 v34, 0x7f, v11
	v_cmpx_ne_u32_e32 0x7f, v34
	s_cbranch_execz .LBB217_32
; %bb.29:                               ;   in Loop: Header=BB217_10 Depth=1
	v_and_b32_e32 v11, 7, v11
	v_lshrrev_b32_e32 v31, 3, v34
	s_mov_b32 s42, exec_lo
	v_cmpx_gt_u32_e32 8, v34
; %bb.30:                               ;   in Loop: Header=BB217_10 Depth=1
	s_delay_alu instid0(VALU_DEP_3) | instskip(NEXT) | instid1(VALU_DEP_1)
	v_clz_i32_u32_e32 v31, v11
	v_min_u32_e32 v31, 32, v31
	s_delay_alu instid0(VALU_DEP_1) | instskip(SKIP_1) | instid1(VALU_DEP_2)
	v_subrev_nc_u32_e32 v34, 28, v31
	v_sub_nc_u32_e32 v31, 29, v31
	v_lshlrev_b64 v[34:35], v34, v[11:12]
	s_delay_alu instid0(VALU_DEP_1)
	v_and_b32_e32 v11, 7, v34
; %bb.31:                               ;   in Loop: Header=BB217_10 Depth=1
	s_or_b32 exec_lo, exec_lo, s42
	v_lshlrev_b32_e32 v33, 24, v33
	s_delay_alu instid0(VALU_DEP_2) | instskip(SKIP_1) | instid1(VALU_DEP_3)
	v_lshlrev_b32_e32 v11, 20, v11
	v_lshl_add_u32 v31, v31, 23, 0x3c000000
	v_and_b32_e32 v33, 0x80000000, v33
	s_delay_alu instid0(VALU_DEP_1)
	v_or3_b32 v31, v11, v33, v31
.LBB217_32:                             ;   in Loop: Header=BB217_10 Depth=1
	s_or_b32 exec_lo, exec_lo, s41
.LBB217_33:                             ;   in Loop: Header=BB217_10 Depth=1
	s_delay_alu instid0(SALU_CYCLE_1)
	s_or_b32 exec_lo, exec_lo, s40
.LBB217_34:                             ;   in Loop: Header=BB217_10 Depth=1
	s_delay_alu instid0(SALU_CYCLE_1)
	s_or_b32 exec_lo, exec_lo, s4
	global_load_u8 v35, v[17:18], off offset:12
	v_dual_mov_b32 v33, 0 :: v_dual_mov_b32 v34, 0
	s_mov_b32 s4, exec_lo
	s_waitcnt vmcnt(0)
	v_cmpx_ne_u16_e32 0, v35
	s_cbranch_execz .LBB217_42
; %bb.35:                               ;   in Loop: Header=BB217_10 Depth=1
	v_bfrev_b32_e32 v34, 1
	s_mov_b32 s40, exec_lo
	v_cmpx_ne_u16_e32 0x80, v35
	s_cbranch_execz .LBB217_41
; %bb.36:                               ;   in Loop: Header=BB217_10 Depth=1
	v_and_b32_e32 v11, 0xffff, v35
	v_mov_b32_e32 v34, 0x7f800001
	s_mov_b32 s41, exec_lo
	s_delay_alu instid0(VALU_DEP_2) | instskip(NEXT) | instid1(VALU_DEP_1)
	v_and_b32_e32 v36, 0x7f, v11
	v_cmpx_ne_u32_e32 0x7f, v36
	s_cbranch_execz .LBB217_40
; %bb.37:                               ;   in Loop: Header=BB217_10 Depth=1
	v_and_b32_e32 v11, 7, v11
	v_lshrrev_b32_e32 v34, 3, v36
	s_mov_b32 s42, exec_lo
	v_cmpx_gt_u32_e32 8, v36
; %bb.38:                               ;   in Loop: Header=BB217_10 Depth=1
	s_delay_alu instid0(VALU_DEP_3) | instskip(NEXT) | instid1(VALU_DEP_1)
	v_clz_i32_u32_e32 v34, v11
	v_min_u32_e32 v34, 32, v34
	s_delay_alu instid0(VALU_DEP_1) | instskip(SKIP_1) | instid1(VALU_DEP_2)
	v_subrev_nc_u32_e32 v36, 28, v34
	v_sub_nc_u32_e32 v34, 29, v34
	v_lshlrev_b64 v[36:37], v36, v[11:12]
	s_delay_alu instid0(VALU_DEP_1)
	v_and_b32_e32 v11, 7, v36
; %bb.39:                               ;   in Loop: Header=BB217_10 Depth=1
	s_or_b32 exec_lo, exec_lo, s42
	v_lshlrev_b32_e32 v35, 24, v35
	s_delay_alu instid0(VALU_DEP_2) | instskip(SKIP_1) | instid1(VALU_DEP_3)
	v_lshlrev_b32_e32 v11, 20, v11
	v_lshl_add_u32 v34, v34, 23, 0x3c000000
	v_and_b32_e32 v35, 0x80000000, v35
	s_delay_alu instid0(VALU_DEP_1)
	v_or3_b32 v34, v11, v35, v34
.LBB217_40:                             ;   in Loop: Header=BB217_10 Depth=1
	s_or_b32 exec_lo, exec_lo, s41
.LBB217_41:                             ;   in Loop: Header=BB217_10 Depth=1
	s_delay_alu instid0(SALU_CYCLE_1)
	s_or_b32 exec_lo, exec_lo, s40
.LBB217_42:                             ;   in Loop: Header=BB217_10 Depth=1
	s_delay_alu instid0(SALU_CYCLE_1)
	s_or_b32 exec_lo, exec_lo, s4
	global_load_u8 v35, v[17:18], off offset:128
	s_mov_b32 s4, exec_lo
	s_waitcnt vmcnt(0)
	v_cmpx_ne_u16_e32 0, v35
	s_cbranch_execz .LBB217_50
; %bb.43:                               ;   in Loop: Header=BB217_10 Depth=1
	v_bfrev_b32_e32 v33, 1
	s_mov_b32 s40, exec_lo
	v_cmpx_ne_u16_e32 0x80, v35
	s_cbranch_execz .LBB217_49
; %bb.44:                               ;   in Loop: Header=BB217_10 Depth=1
	v_and_b32_e32 v11, 0xffff, v35
	v_mov_b32_e32 v33, 0x7f800001
	s_mov_b32 s41, exec_lo
	s_delay_alu instid0(VALU_DEP_2) | instskip(NEXT) | instid1(VALU_DEP_1)
	v_and_b32_e32 v36, 0x7f, v11
	v_cmpx_ne_u32_e32 0x7f, v36
	s_cbranch_execz .LBB217_48
; %bb.45:                               ;   in Loop: Header=BB217_10 Depth=1
	v_and_b32_e32 v11, 7, v11
	v_lshrrev_b32_e32 v33, 3, v36
	s_mov_b32 s42, exec_lo
	v_cmpx_gt_u32_e32 8, v36
; %bb.46:                               ;   in Loop: Header=BB217_10 Depth=1
	s_delay_alu instid0(VALU_DEP_3) | instskip(NEXT) | instid1(VALU_DEP_1)
	v_clz_i32_u32_e32 v33, v11
	v_min_u32_e32 v33, 32, v33
	s_delay_alu instid0(VALU_DEP_1) | instskip(SKIP_1) | instid1(VALU_DEP_2)
	v_subrev_nc_u32_e32 v36, 28, v33
	v_sub_nc_u32_e32 v33, 29, v33
	v_lshlrev_b64 v[36:37], v36, v[11:12]
	s_delay_alu instid0(VALU_DEP_1)
	v_and_b32_e32 v11, 7, v36
; %bb.47:                               ;   in Loop: Header=BB217_10 Depth=1
	s_or_b32 exec_lo, exec_lo, s42
	v_lshlrev_b32_e32 v35, 24, v35
	s_delay_alu instid0(VALU_DEP_2) | instskip(SKIP_1) | instid1(VALU_DEP_3)
	v_lshlrev_b32_e32 v11, 20, v11
	v_lshl_add_u32 v33, v33, 23, 0x3c000000
	v_and_b32_e32 v35, 0x80000000, v35
	s_delay_alu instid0(VALU_DEP_1)
	v_or3_b32 v33, v11, v35, v33
.LBB217_48:                             ;   in Loop: Header=BB217_10 Depth=1
	s_or_b32 exec_lo, exec_lo, s41
.LBB217_49:                             ;   in Loop: Header=BB217_10 Depth=1
	s_delay_alu instid0(SALU_CYCLE_1)
	s_or_b32 exec_lo, exec_lo, s40
.LBB217_50:                             ;   in Loop: Header=BB217_10 Depth=1
	s_delay_alu instid0(SALU_CYCLE_1)
	s_or_b32 exec_lo, exec_lo, s4
	global_load_u8 v37, v[17:18], off offset:132
	v_dual_mov_b32 v35, 0 :: v_dual_mov_b32 v36, 0
	s_mov_b32 s4, exec_lo
	s_waitcnt vmcnt(0)
	v_cmpx_ne_u16_e32 0, v37
	s_cbranch_execz .LBB217_58
; %bb.51:                               ;   in Loop: Header=BB217_10 Depth=1
	v_bfrev_b32_e32 v36, 1
	s_mov_b32 s40, exec_lo
	v_cmpx_ne_u16_e32 0x80, v37
	s_cbranch_execz .LBB217_57
; %bb.52:                               ;   in Loop: Header=BB217_10 Depth=1
	v_and_b32_e32 v11, 0xffff, v37
	v_mov_b32_e32 v36, 0x7f800001
	s_mov_b32 s41, exec_lo
	s_delay_alu instid0(VALU_DEP_2) | instskip(NEXT) | instid1(VALU_DEP_1)
	v_and_b32_e32 v38, 0x7f, v11
	v_cmpx_ne_u32_e32 0x7f, v38
	s_cbranch_execz .LBB217_56
; %bb.53:                               ;   in Loop: Header=BB217_10 Depth=1
	v_and_b32_e32 v11, 7, v11
	v_lshrrev_b32_e32 v36, 3, v38
	s_mov_b32 s42, exec_lo
	v_cmpx_gt_u32_e32 8, v38
; %bb.54:                               ;   in Loop: Header=BB217_10 Depth=1
	s_delay_alu instid0(VALU_DEP_3) | instskip(NEXT) | instid1(VALU_DEP_1)
	v_clz_i32_u32_e32 v36, v11
	v_min_u32_e32 v36, 32, v36
	s_delay_alu instid0(VALU_DEP_1) | instskip(SKIP_1) | instid1(VALU_DEP_2)
	v_subrev_nc_u32_e32 v38, 28, v36
	v_sub_nc_u32_e32 v36, 29, v36
	v_lshlrev_b64 v[38:39], v38, v[11:12]
	s_delay_alu instid0(VALU_DEP_1)
	v_and_b32_e32 v11, 7, v38
; %bb.55:                               ;   in Loop: Header=BB217_10 Depth=1
	s_or_b32 exec_lo, exec_lo, s42
	v_lshlrev_b32_e32 v37, 24, v37
	s_delay_alu instid0(VALU_DEP_2) | instskip(SKIP_1) | instid1(VALU_DEP_3)
	v_lshlrev_b32_e32 v11, 20, v11
	v_lshl_add_u32 v36, v36, 23, 0x3c000000
	v_and_b32_e32 v37, 0x80000000, v37
	s_delay_alu instid0(VALU_DEP_1)
	v_or3_b32 v36, v11, v37, v36
.LBB217_56:                             ;   in Loop: Header=BB217_10 Depth=1
	s_or_b32 exec_lo, exec_lo, s41
.LBB217_57:                             ;   in Loop: Header=BB217_10 Depth=1
	s_delay_alu instid0(SALU_CYCLE_1)
	s_or_b32 exec_lo, exec_lo, s40
.LBB217_58:                             ;   in Loop: Header=BB217_10 Depth=1
	s_delay_alu instid0(SALU_CYCLE_1) | instskip(SKIP_1) | instid1(VALU_DEP_1)
	s_or_b32 exec_lo, exec_lo, s4
	v_add_co_u32 v17, s1, 0x80, v17
	v_add_co_ci_u32_e64 v18, s1, 0, v18, s1
	s_mov_b32 s4, exec_lo
	global_load_u8 v37, v[17:18], off offset:8
	s_waitcnt vmcnt(0)
	v_cmpx_ne_u16_e32 0, v37
	s_cbranch_execz .LBB217_66
; %bb.59:                               ;   in Loop: Header=BB217_10 Depth=1
	v_bfrev_b32_e32 v35, 1
	s_mov_b32 s40, exec_lo
	v_cmpx_ne_u16_e32 0x80, v37
	s_cbranch_execz .LBB217_65
; %bb.60:                               ;   in Loop: Header=BB217_10 Depth=1
	v_and_b32_e32 v11, 0xffff, v37
	v_mov_b32_e32 v35, 0x7f800001
	s_mov_b32 s41, exec_lo
	s_delay_alu instid0(VALU_DEP_2) | instskip(NEXT) | instid1(VALU_DEP_1)
	v_and_b32_e32 v38, 0x7f, v11
	v_cmpx_ne_u32_e32 0x7f, v38
	s_cbranch_execz .LBB217_64
; %bb.61:                               ;   in Loop: Header=BB217_10 Depth=1
	v_and_b32_e32 v11, 7, v11
	v_lshrrev_b32_e32 v35, 3, v38
	s_mov_b32 s42, exec_lo
	v_cmpx_gt_u32_e32 8, v38
; %bb.62:                               ;   in Loop: Header=BB217_10 Depth=1
	s_delay_alu instid0(VALU_DEP_3) | instskip(NEXT) | instid1(VALU_DEP_1)
	v_clz_i32_u32_e32 v35, v11
	v_min_u32_e32 v35, 32, v35
	s_delay_alu instid0(VALU_DEP_1) | instskip(SKIP_1) | instid1(VALU_DEP_2)
	v_subrev_nc_u32_e32 v38, 28, v35
	v_sub_nc_u32_e32 v35, 29, v35
	v_lshlrev_b64 v[38:39], v38, v[11:12]
	s_delay_alu instid0(VALU_DEP_1)
	v_and_b32_e32 v11, 7, v38
; %bb.63:                               ;   in Loop: Header=BB217_10 Depth=1
	s_or_b32 exec_lo, exec_lo, s42
	v_lshlrev_b32_e32 v37, 24, v37
	s_delay_alu instid0(VALU_DEP_2) | instskip(SKIP_1) | instid1(VALU_DEP_3)
	v_lshlrev_b32_e32 v11, 20, v11
	v_lshl_add_u32 v35, v35, 23, 0x3c000000
	v_and_b32_e32 v37, 0x80000000, v37
	s_delay_alu instid0(VALU_DEP_1)
	v_or3_b32 v35, v11, v37, v35
.LBB217_64:                             ;   in Loop: Header=BB217_10 Depth=1
	s_or_b32 exec_lo, exec_lo, s41
.LBB217_65:                             ;   in Loop: Header=BB217_10 Depth=1
	s_delay_alu instid0(SALU_CYCLE_1)
	s_or_b32 exec_lo, exec_lo, s40
.LBB217_66:                             ;   in Loop: Header=BB217_10 Depth=1
	s_delay_alu instid0(SALU_CYCLE_1)
	s_or_b32 exec_lo, exec_lo, s4
	global_load_u8 v17, v[17:18], off offset:12
	v_mov_b32_e32 v11, 0
	s_mov_b32 s4, exec_lo
	s_waitcnt vmcnt(0)
	v_cmpx_ne_u16_e32 0, v17
	s_cbranch_execz .LBB217_74
; %bb.67:                               ;   in Loop: Header=BB217_10 Depth=1
	v_bfrev_b32_e32 v11, 1
	s_mov_b32 s40, exec_lo
	v_cmpx_ne_u16_e32 0x80, v17
	s_cbranch_execz .LBB217_73
; %bb.68:                               ;   in Loop: Header=BB217_10 Depth=1
	v_and_b32_e32 v18, 0xffff, v17
	v_mov_b32_e32 v11, 0x7f800001
	s_mov_b32 s41, exec_lo
	s_delay_alu instid0(VALU_DEP_2) | instskip(NEXT) | instid1(VALU_DEP_1)
	v_and_b32_e32 v37, 0x7f, v18
	v_cmpx_ne_u32_e32 0x7f, v37
	s_cbranch_execz .LBB217_72
; %bb.69:                               ;   in Loop: Header=BB217_10 Depth=1
	v_and_b32_e32 v11, 7, v18
	v_lshrrev_b32_e32 v18, 3, v37
	s_mov_b32 s42, exec_lo
	v_cmpx_gt_u32_e32 8, v37
; %bb.70:                               ;   in Loop: Header=BB217_10 Depth=1
	s_delay_alu instid0(VALU_DEP_3) | instskip(NEXT) | instid1(VALU_DEP_1)
	v_clz_i32_u32_e32 v18, v11
	v_min_u32_e32 v18, 32, v18
	s_delay_alu instid0(VALU_DEP_1) | instskip(SKIP_1) | instid1(VALU_DEP_2)
	v_subrev_nc_u32_e32 v37, 28, v18
	v_sub_nc_u32_e32 v18, 29, v18
	v_lshlrev_b64 v[37:38], v37, v[11:12]
	s_delay_alu instid0(VALU_DEP_1)
	v_and_b32_e32 v11, 7, v37
; %bb.71:                               ;   in Loop: Header=BB217_10 Depth=1
	s_or_b32 exec_lo, exec_lo, s42
	v_lshlrev_b32_e32 v17, 24, v17
	s_delay_alu instid0(VALU_DEP_2) | instskip(SKIP_1) | instid1(VALU_DEP_3)
	v_lshlrev_b32_e32 v11, 20, v11
	v_lshl_add_u32 v18, v18, 23, 0x3c000000
	v_and_b32_e32 v17, 0x80000000, v17
	s_delay_alu instid0(VALU_DEP_1)
	v_or3_b32 v11, v11, v17, v18
.LBB217_72:                             ;   in Loop: Header=BB217_10 Depth=1
	s_or_b32 exec_lo, exec_lo, s41
.LBB217_73:                             ;   in Loop: Header=BB217_10 Depth=1
	s_delay_alu instid0(SALU_CYCLE_1)
	s_or_b32 exec_lo, exec_lo, s40
.LBB217_74:                             ;   in Loop: Header=BB217_10 Depth=1
	s_delay_alu instid0(SALU_CYCLE_1) | instskip(SKIP_4) | instid1(VALU_DEP_3)
	s_or_b32 exec_lo, exec_lo, s4
	s_waitcnt lgkmcnt(0)
	v_dual_mul_f32 v17, s6, v32 :: v_dual_mul_f32 v18, s6, v30
	v_mul_f32_e32 v30, s6, v31
	v_mul_f32_e32 v11, s6, v11
	;; [unrolled: 1-line block ×3, first 2 shown]
	s_delay_alu instid0(VALU_DEP_1) | instskip(SKIP_1) | instid1(VALU_DEP_2)
	v_fmac_f32_e32 v17, v1, v18
	v_mul_f32_e32 v18, s6, v34
	v_dual_fmac_f32 v17, v3, v30 :: v_dual_mul_f32 v30, s6, v33
	s_delay_alu instid0(VALU_DEP_1) | instskip(NEXT) | instid1(VALU_DEP_1)
	v_dual_fmac_f32 v17, v4, v18 :: v_dual_mul_f32 v18, s6, v36
	v_dual_fmac_f32 v17, v5, v30 :: v_dual_mul_f32 v30, s6, v35
	s_delay_alu instid0(VALU_DEP_1) | instskip(NEXT) | instid1(VALU_DEP_1)
	v_fmac_f32_e32 v17, v6, v18
	v_fmac_f32_e32 v17, v7, v30
	s_delay_alu instid0(VALU_DEP_1)
	v_fmac_f32_e32 v17, v8, v11
	ds_bpermute_b32 v11, v25, v17
	s_waitcnt lgkmcnt(0)
	v_add_f32_e32 v11, v17, v11
	ds_bpermute_b32 v17, v26, v11
	s_and_saveexec_b32 s4, vcc_lo
	s_cbranch_execz .LBB217_9
; %bb.75:                               ;   in Loop: Header=BB217_10 Depth=1
	s_waitcnt lgkmcnt(0)
	v_dual_add_f32 v11, v11, v17 :: v_dual_add_nc_u32 v18, s8, v27
	v_cmp_gt_i32_e64 s1, s15, v27
	s_delay_alu instid0(VALU_DEP_2) | instskip(NEXT) | instid1(VALU_DEP_1)
	v_cvt_f32_i32_e32 v18, v18
	v_mul_f32_e32 v18, s37, v18
	s_delay_alu instid0(VALU_DEP_1) | instskip(SKIP_1) | instid1(VALU_DEP_2)
	v_cndmask_b32_e64 v17, 0, v18, s0
	v_max_f32_e32 v18, v23, v23
	v_fmac_f32_e32 v17, s35, v11
	s_delay_alu instid0(VALU_DEP_1) | instskip(SKIP_1) | instid1(VALU_DEP_2)
	v_max_f32_e32 v11, v18, v17
	v_cndmask_b32_e64 v17, 0, v17, s1
	v_cndmask_b32_e64 v23, v23, v11, s1
	ds_store_b32 v28, v17
	s_branch .LBB217_9
.LBB217_76:
	s_or_b32 exec_lo, exec_lo, s9
.LBB217_77:
	s_delay_alu instid0(SALU_CYCLE_1) | instskip(SKIP_3) | instid1(VALU_DEP_3)
	s_or_b32 exec_lo, exec_lo, s38
	v_xor_b32_e32 v1, 16, v20
	v_xor_b32_e32 v3, 8, v20
	v_max_f32_e32 v5, v23, v23
	v_cmp_lt_i32_e32 vcc_lo, v1, v24
	v_cndmask_b32_e32 v1, v20, v1, vcc_lo
	s_delay_alu instid0(VALU_DEP_4) | instskip(SKIP_1) | instid1(VALU_DEP_1)
	v_cmp_lt_i32_e32 vcc_lo, v3, v24
	v_cndmask_b32_e32 v3, v20, v3, vcc_lo
	v_lshlrev_b32_e32 v4, 2, v3
	s_delay_alu instid0(VALU_DEP_4) | instskip(SKIP_4) | instid1(VALU_DEP_1)
	v_lshlrev_b32_e32 v2, 2, v1
	ds_bpermute_b32 v1, v2, v23
	v_and_b32_e32 v23, 31, v0
	s_waitcnt lgkmcnt(0)
	v_max_f32_e32 v1, v1, v1
	v_max_f32_e32 v1, v5, v1
	v_xor_b32_e32 v5, 4, v20
	ds_bpermute_b32 v3, v4, v1
	v_cmp_lt_i32_e32 vcc_lo, v5, v24
	v_cndmask_b32_e32 v5, v20, v5, vcc_lo
	v_cmp_eq_u32_e32 vcc_lo, 0, v23
	s_delay_alu instid0(VALU_DEP_2) | instskip(SKIP_3) | instid1(VALU_DEP_1)
	v_lshlrev_b32_e32 v7, 2, v5
	v_lshlrev_b32_e32 v5, 2, v22
	s_waitcnt lgkmcnt(0)
	v_max_f32_e32 v3, v3, v3
	v_max_f32_e32 v1, v1, v3
	ds_bpermute_b32 v3, v7, v1
	s_and_saveexec_b32 s0, vcc_lo
	s_cbranch_execz .LBB217_79
; %bb.78:
	s_waitcnt lgkmcnt(0)
	v_max_f32_e32 v3, v3, v3
	v_max_f32_e32 v1, v1, v1
	s_delay_alu instid0(VALU_DEP_1)
	v_max_f32_e32 v1, v1, v3
	ds_store_b32 v5, v1 offset:128
.LBB217_79:
	s_or_b32 exec_lo, exec_lo, s0
	v_cmp_gt_u32_e64 s0, 4, v23
	v_dual_mov_b32 v1, 0xff7fffff :: v_dual_lshlrev_b32 v6, 2, v23
	s_waitcnt lgkmcnt(0)
	s_barrier
	buffer_gl0_inv
	s_and_saveexec_b32 s1, s0
	s_cbranch_execz .LBB217_81
; %bb.80:
	ds_load_b32 v1, v6 offset:128
.LBB217_81:
	s_or_b32 exec_lo, exec_lo, s1
	v_xor_b32_e32 v3, 2, v20
	v_xor_b32_e32 v11, 1, v20
	v_mov_b32_e32 v12, 0
	s_delay_alu instid0(VALU_DEP_3) | instskip(NEXT) | instid1(VALU_DEP_1)
	v_cmp_lt_i32_e64 s1, v3, v24
	v_cndmask_b32_e64 v3, v20, v3, s1
	s_delay_alu instid0(VALU_DEP_4) | instskip(NEXT) | instid1(VALU_DEP_2)
	v_cmp_lt_i32_e64 s1, v11, v24
	v_lshlrev_b32_e32 v8, 2, v3
	s_delay_alu instid0(VALU_DEP_2) | instskip(SKIP_1) | instid1(SALU_CYCLE_1)
	v_cndmask_b32_e64 v11, v20, v11, s1
	s_sub_i32 s1, s25, s7
	s_lshl_b32 s1, s1, 3
	s_waitcnt lgkmcnt(0)
	ds_bpermute_b32 v3, v8, v1
	v_dual_max_f32 v1, v1, v1 :: v_dual_lshlrev_b32 v24, 2, v11
	v_lshlrev_b32_e32 v11, 2, v20
	s_add_i32 s1, s1, s33
	s_delay_alu instid0(SALU_CYCLE_1) | instskip(NEXT) | instid1(VALU_DEP_1)
	s_min_i32 s1, s1, s15
	v_and_b32_e32 v11, 0xffffff80, v11
	s_sub_i32 s6, s1, s33
	s_delay_alu instid0(SALU_CYCLE_1) | instskip(SKIP_2) | instid1(VALU_DEP_1)
	v_cmp_gt_i32_e64 s1, s6, v0
	s_waitcnt lgkmcnt(0)
	v_max_f32_e32 v3, v3, v3
	v_max_f32_e32 v1, v1, v3
	ds_bpermute_b32 v3, v24, v1
	s_waitcnt lgkmcnt(0)
	v_max_f32_e32 v3, v3, v3
	s_delay_alu instid0(VALU_DEP_1)
	v_max_f32_e32 v1, v1, v3
	v_lshl_add_u32 v3, v0, 2, 0xa0
	ds_bpermute_b32 v1, v11, v1
	s_and_saveexec_b32 s7, s1
	s_cbranch_execz .LBB217_85
; %bb.82:
	v_lshl_add_u32 v13, v0, 2, 0xa0
	v_mov_b32_e32 v12, 0
	v_mov_b32_e32 v14, v0
	s_mov_b32 s8, 0
	.p2align	6
.LBB217_83:                             ; =>This Inner Loop Header: Depth=1
	ds_load_b32 v15, v13
	v_add_nc_u32_e32 v14, 0x80, v14
	s_delay_alu instid0(VALU_DEP_1) | instskip(NEXT) | instid1(VALU_DEP_1)
	v_cmp_le_i32_e64 s4, s6, v14
	s_or_b32 s8, s4, s8
	s_waitcnt lgkmcnt(0)
	v_sub_f32_e32 v15, v15, v1
	s_delay_alu instid0(VALU_DEP_1) | instskip(NEXT) | instid1(VALU_DEP_1)
	v_mul_f32_e32 v15, 0x3fb8aa3b, v15
	v_exp_f32_e32 v15, v15
	ds_store_b32 v13, v15
	v_dual_add_f32 v12, v12, v15 :: v_dual_add_nc_u32 v13, 0x200, v13
	s_and_not1_b32 exec_lo, exec_lo, s8
	s_cbranch_execnz .LBB217_83
; %bb.84:
	s_or_b32 exec_lo, exec_lo, s8
.LBB217_85:
	s_delay_alu instid0(SALU_CYCLE_1)
	s_or_b32 exec_lo, exec_lo, s7
	ds_bpermute_b32 v2, v2, v12
	s_waitcnt lgkmcnt(0)
	v_add_f32_e32 v2, v12, v2
	ds_bpermute_b32 v4, v4, v2
	s_waitcnt lgkmcnt(0)
	v_add_f32_e32 v2, v2, v4
	;; [unrolled: 3-line block ×5, first 2 shown]
	s_and_saveexec_b32 s4, vcc_lo
	s_cbranch_execz .LBB217_87
; %bb.86:
	ds_store_b32 v5, v2 offset:144
.LBB217_87:
	s_or_b32 exec_lo, exec_lo, s4
	s_waitcnt lgkmcnt(0)
	s_barrier
	buffer_gl0_inv
	s_and_saveexec_b32 s4, s0
	s_cbranch_execz .LBB217_89
; %bb.88:
	ds_load_b32 v2, v6 offset:144
.LBB217_89:
	s_or_b32 exec_lo, exec_lo, s4
	s_waitcnt lgkmcnt(0)
	ds_bpermute_b32 v4, v8, v2
	s_waitcnt lgkmcnt(0)
	v_add_f32_e32 v2, v2, v4
	ds_bpermute_b32 v4, v24, v2
	s_waitcnt lgkmcnt(0)
	v_add_f32_e32 v2, v2, v4
	ds_bpermute_b32 v2, v11, v2
	s_and_saveexec_b32 s0, s1
	s_cbranch_execz .LBB217_92
; %bb.90:
	s_waitcnt lgkmcnt(0)
	v_add_f32_e32 v4, 0x358637bd, v2
	s_mov_b32 s1, 0
	s_delay_alu instid0(VALU_DEP_1) | instskip(SKIP_1) | instid1(VALU_DEP_2)
	v_div_scale_f32 v5, null, v4, v4, 1.0
	v_div_scale_f32 v8, vcc_lo, 1.0, v4, 1.0
	v_rcp_f32_e32 v6, v5
	s_waitcnt_depctr 0xfff
	v_fma_f32 v7, -v5, v6, 1.0
	s_delay_alu instid0(VALU_DEP_1) | instskip(NEXT) | instid1(VALU_DEP_1)
	v_fmac_f32_e32 v6, v7, v6
	v_mul_f32_e32 v7, v8, v6
	s_delay_alu instid0(VALU_DEP_1) | instskip(NEXT) | instid1(VALU_DEP_1)
	v_fma_f32 v11, -v5, v7, v8
	v_fmac_f32_e32 v7, v11, v6
	s_delay_alu instid0(VALU_DEP_1) | instskip(NEXT) | instid1(VALU_DEP_1)
	v_fma_f32 v5, -v5, v7, v8
	v_div_fmas_f32 v5, v5, v6, v7
	s_delay_alu instid0(VALU_DEP_1)
	v_div_fixup_f32 v4, v5, v4, 1.0
	v_mov_b32_e32 v5, v0
.LBB217_91:                             ; =>This Inner Loop Header: Depth=1
	ds_load_b32 v6, v3
	s_waitcnt lgkmcnt(0)
	v_dual_mul_f32 v6, v4, v6 :: v_dual_add_nc_u32 v5, 0x80, v5
	s_delay_alu instid0(VALU_DEP_1) | instskip(SKIP_3) | instid1(SALU_CYCLE_1)
	v_cmp_le_i32_e32 vcc_lo, s6, v5
	ds_store_b32 v3, v6
	v_add_nc_u32_e32 v3, 0x200, v3
	s_or_b32 s1, vcc_lo, s1
	s_and_not1_b32 exec_lo, exec_lo, s1
	s_cbranch_execnz .LBB217_91
.LBB217_92:
	s_or_b32 exec_lo, exec_lo, s0
	s_mul_i32 s0, s21, s14
	s_waitcnt lgkmcnt(0)
	s_mul_i32 s6, s0, s13
	s_mov_b32 s0, exec_lo
	s_barrier
	buffer_gl0_inv
	v_cmpx_eq_u32_e32 0, v0
	s_cbranch_execz .LBB217_94
; %bb.93:
	s_ashr_i32 s7, s6, 31
	s_mul_i32 s38, s21, s24
	s_lshl_b64 s[8:9], s[6:7], 2
	v_mov_b32_e32 v3, 0
	s_add_u32 s1, s18, s8
	s_addc_u32 s4, s19, s9
	s_ashr_i32 s39, s38, 31
	s_delay_alu instid0(SALU_CYCLE_1) | instskip(NEXT) | instid1(SALU_CYCLE_1)
	s_lshl_b64 s[18:19], s[38:39], 2
	s_add_u32 s1, s1, s18
	s_addc_u32 s4, s4, s19
	s_ashr_i32 s13, s12, 31
	s_delay_alu instid0(SALU_CYCLE_1) | instskip(NEXT) | instid1(SALU_CYCLE_1)
	s_lshl_b64 s[38:39], s[12:13], 2
	s_add_u32 s40, s1, s38
	s_addc_u32 s41, s4, s39
	s_add_u32 s1, s16, s8
	s_addc_u32 s4, s17, s9
	;; [unrolled: 2-line block ×4, first 2 shown]
	s_clause 0x1
	global_store_b32 v3, v1, s[40:41]
	global_store_b32 v3, v2, s[8:9]
.LBB217_94:
	s_or_b32 exec_lo, exec_lo, s0
	v_dual_mov_b32 v26, 0 :: v_dual_and_b32 v25, 1, v0
	v_mov_b32_e32 v27, 0
	s_mov_b32 s4, 0
	s_and_saveexec_b32 s1, s3
	s_cbranch_execz .LBB217_166
; %bb.95:
	s_load_b32 s3, s[10:11], 0x0
	v_dual_mov_b32 v26, 0 :: v_dual_lshlrev_b32 v7, 4, v25
	v_dual_mov_b32 v27, 0 :: v_dual_and_b32 v4, 0x7c, v19
	s_ashr_i32 s0, s36, 31
	s_mov_b32 s7, s5
	v_lshlrev_b64 v[1:2], 2, v[9:10]
	s_add_u32 s5, s30, s36
	v_lshl_or_b32 v10, v22, 5, v7
	s_addc_u32 s0, s31, s0
	s_lshl_b64 s[8:9], s[28:29], 2
	v_add_co_u32 v7, s5, s5, v4
	v_dual_mov_b32 v6, 0 :: v_dual_and_b32 v3, 4, v19
	v_lshl_add_u32 v5, v22, 3, s33
	s_add_i32 s34, s34, -1
	v_add_co_ci_u32_e64 v8, null, s0, 0, s5
	s_add_u32 s0, s26, s8
	v_add_nc_u32_e32 v29, 0xa0, v10
	s_addc_u32 s5, s27, s9
	v_add_co_u32 v10, vcc_lo, s0, v1
	v_add3_u32 v28, v5, v3, 3
	v_add_co_ci_u32_e32 v11, vcc_lo, s5, v2, vcc_lo
	s_waitcnt lgkmcnt(0)
	s_mov_b32 s10, s3
	s_brev_b32 s5, 1
	s_mov_b32 s9, 0x7f800001
	s_mov_b32 s11, s4
	s_branch .LBB217_97
.LBB217_96:                             ;   in Loop: Header=BB217_97 Depth=1
	s_or_b32 exec_lo, exec_lo, s0
	s_waitcnt lgkmcnt(0)
	v_mul_f32_e32 v15, v2, v31
	v_mul_f32_e32 v2, v2, v14
	v_add_co_u32 v10, s0, v10, 16
	v_add_nc_u32_e32 v29, 0x80, v29
	v_add_co_ci_u32_e64 v11, s0, 0, v11, s0
	s_delay_alu instid0(VALU_DEP_4) | instskip(NEXT) | instid1(VALU_DEP_1)
	v_fmac_f32_e32 v2, v1, v13
	v_dual_fmac_f32 v15, v1, v30 :: v_dual_fmac_f32 v2, v3, v12
	s_delay_alu instid0(VALU_DEP_1) | instskip(NEXT) | instid1(VALU_DEP_2)
	v_fmac_f32_e32 v15, v3, v21
	v_fmac_f32_e32 v2, v4, v5
	s_delay_alu instid0(VALU_DEP_2) | instskip(SKIP_1) | instid1(VALU_DEP_3)
	v_fmac_f32_e32 v15, v4, v20
	v_add_nc_u32_e32 v9, 4, v9
	v_dual_add_f32 v27, v27, v2 :: v_dual_add_nc_u32 v28, 32, v28
	s_delay_alu instid0(VALU_DEP_3) | instskip(NEXT) | instid1(VALU_DEP_3)
	v_add_f32_e32 v26, v26, v15
	v_cmp_le_i32_e32 vcc_lo, s25, v9
	s_or_b32 s11, vcc_lo, s11
	s_delay_alu instid0(SALU_CYCLE_1)
	s_and_not1_b32 exec_lo, exec_lo, s11
	s_cbranch_execz .LBB217_165
.LBB217_97:                             ; =>This Inner Loop Header: Depth=1
	global_load_b32 v1, v[10:11], off
	s_mov_b32 s0, exec_lo
	s_waitcnt vmcnt(0)
	v_mad_i64_i32 v[12:13], null, v1, s7, v[7:8]
	ds_load_b128 v[1:4], v29
	global_load_b32 v30, v[12:13], off
	v_mov_b32_e32 v16, 0
	v_mov_b32_e32 v17, 0
	s_delay_alu instid0(VALU_DEP_1) | instskip(SKIP_2) | instid1(VALU_DEP_1)
	v_dual_mov_b32 v14, v16 :: v_dual_mov_b32 v15, v17
	s_waitcnt vmcnt(0)
	v_and_b32_e32 v5, 0xff, v30
	v_cmpx_ne_u16_e32 0, v5
	s_cbranch_execz .LBB217_105
; %bb.98:                               ;   in Loop: Header=BB217_97 Depth=1
	v_bfrev_b32_e32 v14, 1
	v_mov_b32_e32 v15, 0
	s_mov_b32 s8, exec_lo
	v_cmpx_ne_u16_e32 0x80, v5
	s_cbranch_execz .LBB217_104
; %bb.99:                               ;   in Loop: Header=BB217_97 Depth=1
	v_mov_b32_e32 v14, 0x7f800001
	v_dual_mov_b32 v15, 0 :: v_dual_and_b32 v18, 0x7f, v30
	s_mov_b32 s13, exec_lo
	s_delay_alu instid0(VALU_DEP_1)
	v_cmpx_ne_u32_e32 0x7f, v18
	s_cbranch_execz .LBB217_103
; %bb.100:                              ;   in Loop: Header=BB217_97 Depth=1
	v_and_b32_e32 v5, 7, v30
	v_lshrrev_b32_e32 v14, 3, v18
	s_mov_b32 s14, exec_lo
	v_cmpx_gt_u32_e32 8, v18
; %bb.101:                              ;   in Loop: Header=BB217_97 Depth=1
	s_delay_alu instid0(VALU_DEP_3) | instskip(NEXT) | instid1(VALU_DEP_1)
	v_clz_i32_u32_e32 v14, v5
	v_min_u32_e32 v14, 32, v14
	s_delay_alu instid0(VALU_DEP_1) | instskip(SKIP_1) | instid1(VALU_DEP_2)
	v_subrev_nc_u32_e32 v15, 28, v14
	v_sub_nc_u32_e32 v14, 29, v14
	v_lshlrev_b64 v[18:19], v15, v[5:6]
	s_delay_alu instid0(VALU_DEP_1)
	v_and_b32_e32 v5, 7, v18
; %bb.102:                              ;   in Loop: Header=BB217_97 Depth=1
	s_or_b32 exec_lo, exec_lo, s14
	v_lshlrev_b32_e32 v15, 24, v30
	s_delay_alu instid0(VALU_DEP_2) | instskip(SKIP_1) | instid1(VALU_DEP_3)
	v_lshlrev_b32_e32 v5, 20, v5
	v_lshl_add_u32 v14, v14, 23, 0x3c000000
	v_and_b32_e32 v15, 0x80000000, v15
	s_delay_alu instid0(VALU_DEP_1) | instskip(NEXT) | instid1(VALU_DEP_1)
	v_or3_b32 v5, v5, v15, v14
	v_dual_mov_b32 v15, v6 :: v_dual_mov_b32 v14, v5
.LBB217_103:                            ;   in Loop: Header=BB217_97 Depth=1
	s_or_b32 exec_lo, exec_lo, s13
.LBB217_104:                            ;   in Loop: Header=BB217_97 Depth=1
	s_delay_alu instid0(SALU_CYCLE_1)
	s_or_b32 exec_lo, exec_lo, s8
.LBB217_105:                            ;   in Loop: Header=BB217_97 Depth=1
	s_delay_alu instid0(SALU_CYCLE_1) | instskip(SKIP_2) | instid1(VALU_DEP_1)
	s_or_b32 exec_lo, exec_lo, s0
	v_lshrrev_b16 v5, 8, v30
	s_mov_b32 s0, exec_lo
	v_cmpx_ne_u16_e32 0, v5
	s_cbranch_execz .LBB217_113
; %bb.106:                              ;   in Loop: Header=BB217_97 Depth=1
	v_dual_mov_b32 v17, s5 :: v_dual_mov_b32 v16, s4
	s_mov_b32 s13, exec_lo
	v_cmpx_ne_u16_e32 0x80, v5
	s_cbranch_execz .LBB217_112
; %bb.107:                              ;   in Loop: Header=BB217_97 Depth=1
	s_mov_b32 s8, s4
	v_and_b32_e32 v5, 0xffff, v5
	v_dual_mov_b32 v17, s9 :: v_dual_mov_b32 v16, s8
	s_mov_b32 s8, exec_lo
	s_delay_alu instid0(VALU_DEP_2) | instskip(NEXT) | instid1(VALU_DEP_1)
	v_and_b32_e32 v18, 0x7f, v5
	v_cmpx_ne_u32_e32 0x7f, v18
	s_cbranch_execz .LBB217_111
; %bb.108:                              ;   in Loop: Header=BB217_97 Depth=1
	v_and_b32_e32 v5, 7, v5
	v_lshrrev_b32_e32 v16, 3, v18
	s_mov_b32 s14, exec_lo
	v_cmpx_gt_u32_e32 8, v18
; %bb.109:                              ;   in Loop: Header=BB217_97 Depth=1
	s_delay_alu instid0(VALU_DEP_3) | instskip(NEXT) | instid1(VALU_DEP_1)
	v_clz_i32_u32_e32 v16, v5
	v_min_u32_e32 v16, 32, v16
	s_delay_alu instid0(VALU_DEP_1) | instskip(SKIP_1) | instid1(VALU_DEP_2)
	v_subrev_nc_u32_e32 v17, 28, v16
	v_sub_nc_u32_e32 v16, 29, v16
	v_lshlrev_b64 v[17:18], v17, v[5:6]
	s_delay_alu instid0(VALU_DEP_1)
	v_and_b32_e32 v5, 7, v17
; %bb.110:                              ;   in Loop: Header=BB217_97 Depth=1
	s_or_b32 exec_lo, exec_lo, s14
	v_lshlrev_b32_e32 v17, 16, v30
	s_delay_alu instid0(VALU_DEP_2) | instskip(SKIP_1) | instid1(VALU_DEP_3)
	v_lshlrev_b32_e32 v5, 20, v5
	v_lshl_add_u32 v16, v16, 23, 0x3c000000
	v_and_b32_e32 v17, 0x80000000, v17
	s_delay_alu instid0(VALU_DEP_1)
	v_or3_b32 v17, v5, v17, v16
	v_mov_b32_e32 v16, v6
.LBB217_111:                            ;   in Loop: Header=BB217_97 Depth=1
	s_or_b32 exec_lo, exec_lo, s8
.LBB217_112:                            ;   in Loop: Header=BB217_97 Depth=1
	s_delay_alu instid0(SALU_CYCLE_1)
	s_or_b32 exec_lo, exec_lo, s13
.LBB217_113:                            ;   in Loop: Header=BB217_97 Depth=1
	s_delay_alu instid0(SALU_CYCLE_1) | instskip(SKIP_3) | instid1(VALU_DEP_2)
	s_or_b32 exec_lo, exec_lo, s0
	v_lshrrev_b32_e32 v31, 16, v30
	v_mov_b32_e32 v20, 0
	v_mov_b32_e32 v21, 0
	;; [unrolled: 1-line block ×3, first 2 shown]
	s_mov_b32 s0, exec_lo
	v_and_b32_e32 v5, 0xff, v31
	s_delay_alu instid0(VALU_DEP_3) | instskip(NEXT) | instid1(VALU_DEP_2)
	v_mov_b32_e32 v19, v21
	v_cmpx_ne_u16_e32 0, v5
	s_cbranch_execz .LBB217_121
; %bb.114:                              ;   in Loop: Header=BB217_97 Depth=1
	v_bfrev_b32_e32 v18, 1
	v_mov_b32_e32 v19, 0
	s_mov_b32 s8, exec_lo
	v_cmpx_ne_u16_e32 0x80, v5
	s_cbranch_execz .LBB217_120
; %bb.115:                              ;   in Loop: Header=BB217_97 Depth=1
	v_mov_b32_e32 v18, 0x7f800001
	v_bfe_u32 v32, v30, 16, 7
	v_mov_b32_e32 v19, 0
	s_mov_b32 s13, exec_lo
	s_delay_alu instid0(VALU_DEP_2)
	v_cmpx_ne_u32_e32 0x7f, v32
	s_cbranch_execz .LBB217_119
; %bb.116:                              ;   in Loop: Header=BB217_97 Depth=1
	v_and_b32_e32 v5, 7, v31
	v_lshrrev_b32_e32 v18, 3, v32
	s_mov_b32 s14, exec_lo
	v_cmpx_gt_u32_e32 8, v32
; %bb.117:                              ;   in Loop: Header=BB217_97 Depth=1
	s_delay_alu instid0(VALU_DEP_3) | instskip(NEXT) | instid1(VALU_DEP_1)
	v_clz_i32_u32_e32 v18, v5
	v_min_u32_e32 v18, 32, v18
	s_delay_alu instid0(VALU_DEP_1) | instskip(SKIP_1) | instid1(VALU_DEP_2)
	v_subrev_nc_u32_e32 v19, 28, v18
	v_sub_nc_u32_e32 v18, 29, v18
	v_lshlrev_b64 v[32:33], v19, v[5:6]
	s_delay_alu instid0(VALU_DEP_1)
	v_and_b32_e32 v5, 7, v32
; %bb.118:                              ;   in Loop: Header=BB217_97 Depth=1
	s_or_b32 exec_lo, exec_lo, s14
	v_lshlrev_b32_e32 v19, 24, v31
	s_delay_alu instid0(VALU_DEP_2) | instskip(SKIP_1) | instid1(VALU_DEP_3)
	v_lshlrev_b32_e32 v5, 20, v5
	v_lshl_add_u32 v18, v18, 23, 0x3c000000
	v_and_b32_e32 v19, 0x80000000, v19
	s_delay_alu instid0(VALU_DEP_1) | instskip(NEXT) | instid1(VALU_DEP_1)
	v_or3_b32 v5, v5, v19, v18
	v_dual_mov_b32 v19, v6 :: v_dual_mov_b32 v18, v5
.LBB217_119:                            ;   in Loop: Header=BB217_97 Depth=1
	s_or_b32 exec_lo, exec_lo, s13
.LBB217_120:                            ;   in Loop: Header=BB217_97 Depth=1
	s_delay_alu instid0(SALU_CYCLE_1)
	s_or_b32 exec_lo, exec_lo, s8
.LBB217_121:                            ;   in Loop: Header=BB217_97 Depth=1
	s_delay_alu instid0(SALU_CYCLE_1) | instskip(NEXT) | instid1(SALU_CYCLE_1)
	s_or_b32 exec_lo, exec_lo, s0
	s_mov_b32 s0, exec_lo
	v_cmpx_lt_u32_e32 0xffffff, v30
	s_cbranch_execz .LBB217_129
; %bb.122:                              ;   in Loop: Header=BB217_97 Depth=1
	v_lshrrev_b32_e32 v31, 24, v30
	v_dual_mov_b32 v21, s5 :: v_dual_mov_b32 v20, s4
	s_mov_b32 s13, exec_lo
	s_delay_alu instid0(VALU_DEP_2)
	v_cmpx_ne_u32_e32 0x80, v31
	s_cbranch_execz .LBB217_128
; %bb.123:                              ;   in Loop: Header=BB217_97 Depth=1
	s_mov_b32 s8, s4
	v_bfe_u32 v30, v30, 24, 7
	v_dual_mov_b32 v21, s9 :: v_dual_mov_b32 v20, s8
	s_mov_b32 s8, exec_lo
	s_delay_alu instid0(VALU_DEP_2)
	v_cmpx_ne_u32_e32 0x7f, v30
	s_cbranch_execz .LBB217_127
; %bb.124:                              ;   in Loop: Header=BB217_97 Depth=1
	v_and_b32_e32 v5, 7, v31
	v_lshrrev_b32_e32 v20, 3, v30
	s_mov_b32 s14, exec_lo
	v_cmpx_gt_u32_e32 8, v30
; %bb.125:                              ;   in Loop: Header=BB217_97 Depth=1
	s_delay_alu instid0(VALU_DEP_3) | instskip(NEXT) | instid1(VALU_DEP_1)
	v_clz_i32_u32_e32 v20, v5
	v_min_u32_e32 v20, 32, v20
	s_delay_alu instid0(VALU_DEP_1) | instskip(SKIP_1) | instid1(VALU_DEP_2)
	v_subrev_nc_u32_e32 v21, 28, v20
	v_sub_nc_u32_e32 v20, 29, v20
	v_lshlrev_b64 v[32:33], v21, v[5:6]
	s_delay_alu instid0(VALU_DEP_1)
	v_and_b32_e32 v5, 7, v32
; %bb.126:                              ;   in Loop: Header=BB217_97 Depth=1
	s_or_b32 exec_lo, exec_lo, s14
	v_lshlrev_b32_e32 v21, 24, v31
	s_delay_alu instid0(VALU_DEP_2) | instskip(SKIP_1) | instid1(VALU_DEP_3)
	v_lshlrev_b32_e32 v5, 20, v5
	v_lshl_add_u32 v20, v20, 23, 0x3c000000
	v_and_b32_e32 v21, 0x80000000, v21
	s_delay_alu instid0(VALU_DEP_1)
	v_or3_b32 v21, v5, v21, v20
	v_mov_b32_e32 v20, v6
.LBB217_127:                            ;   in Loop: Header=BB217_97 Depth=1
	s_or_b32 exec_lo, exec_lo, s8
.LBB217_128:                            ;   in Loop: Header=BB217_97 Depth=1
	s_delay_alu instid0(SALU_CYCLE_1)
	s_or_b32 exec_lo, exec_lo, s13
.LBB217_129:                            ;   in Loop: Header=BB217_97 Depth=1
	s_delay_alu instid0(SALU_CYCLE_1) | instskip(SKIP_4) | instid1(VALU_DEP_4)
	s_or_b32 exec_lo, exec_lo, s0
	v_or_b32_e32 v5, v17, v15
	v_or_b32_e32 v14, v16, v14
	;; [unrolled: 1-line block ×4, first 2 shown]
	v_dual_mul_f32 v31, s10, v5 :: v_dual_add_nc_u32 v32, -3, v28
	v_cmp_eq_u32_e32 vcc_lo, s34, v9
	s_delay_alu instid0(VALU_DEP_3)
	v_dual_mul_f32 v30, s3, v14 :: v_dual_mul_f32 v21, s3, v16
	v_dual_mul_f32 v20, s10, v15 :: v_dual_add_nc_u32 v33, -1, v28
	v_add_nc_u32_e32 v34, -2, v28
	s_and_saveexec_b32 s8, vcc_lo
; %bb.130:                              ;   in Loop: Header=BB217_97 Depth=1
	v_cmp_gt_i32_e64 s0, s15, v32
	s_delay_alu instid0(VALU_DEP_1) | instskip(NEXT) | instid1(VALU_DEP_3)
	v_cndmask_b32_e64 v30, 0, v30, s0
	v_cmp_gt_i32_e64 s0, s15, v34
	s_delay_alu instid0(VALU_DEP_1) | instskip(SKIP_1) | instid1(VALU_DEP_1)
	v_cndmask_b32_e64 v31, 0, v31, s0
	v_cmp_gt_i32_e64 s0, s15, v33
	v_cndmask_b32_e64 v21, 0, v21, s0
	v_cmp_gt_i32_e64 s0, s15, v28
	s_delay_alu instid0(VALU_DEP_1)
	v_cndmask_b32_e64 v20, 0, v20, s0
; %bb.131:                              ;   in Loop: Header=BB217_97 Depth=1
	s_or_b32 exec_lo, exec_lo, s8
	global_load_b32 v35, v[12:13], off offset:128
	v_mov_b32_e32 v14, 0
	v_mov_b32_e32 v15, 0
	s_delay_alu instid0(VALU_DEP_2) | instskip(SKIP_1) | instid1(VALU_DEP_2)
	v_mov_b32_e32 v12, v14
	s_mov_b32 s8, exec_lo
	v_mov_b32_e32 v13, v15
	s_waitcnt vmcnt(0)
	v_and_b32_e32 v5, 0xff, v35
	s_delay_alu instid0(VALU_DEP_1)
	v_cmpx_ne_u16_e32 0, v5
	s_cbranch_execz .LBB217_139
; %bb.132:                              ;   in Loop: Header=BB217_97 Depth=1
	v_bfrev_b32_e32 v12, 1
	v_mov_b32_e32 v13, 0
	s_mov_b32 s13, exec_lo
	v_cmpx_ne_u16_e32 0x80, v5
	s_cbranch_execz .LBB217_138
; %bb.133:                              ;   in Loop: Header=BB217_97 Depth=1
	v_mov_b32_e32 v12, 0x7f800001
	v_dual_mov_b32 v13, 0 :: v_dual_and_b32 v16, 0x7f, v35
	s_mov_b32 s14, exec_lo
	s_delay_alu instid0(VALU_DEP_1)
	v_cmpx_ne_u32_e32 0x7f, v16
	s_cbranch_execz .LBB217_137
; %bb.134:                              ;   in Loop: Header=BB217_97 Depth=1
	v_and_b32_e32 v5, 7, v35
	v_lshrrev_b32_e32 v12, 3, v16
	s_mov_b32 s16, exec_lo
	v_cmpx_gt_u32_e32 8, v16
; %bb.135:                              ;   in Loop: Header=BB217_97 Depth=1
	s_delay_alu instid0(VALU_DEP_3) | instskip(NEXT) | instid1(VALU_DEP_1)
	v_clz_i32_u32_e32 v12, v5
	v_min_u32_e32 v12, 32, v12
	s_delay_alu instid0(VALU_DEP_1) | instskip(SKIP_1) | instid1(VALU_DEP_2)
	v_subrev_nc_u32_e32 v13, 28, v12
	v_sub_nc_u32_e32 v12, 29, v12
	v_lshlrev_b64 v[16:17], v13, v[5:6]
	s_delay_alu instid0(VALU_DEP_1)
	v_and_b32_e32 v5, 7, v16
; %bb.136:                              ;   in Loop: Header=BB217_97 Depth=1
	s_or_b32 exec_lo, exec_lo, s16
	v_lshlrev_b32_e32 v13, 24, v35
	s_delay_alu instid0(VALU_DEP_2) | instskip(SKIP_1) | instid1(VALU_DEP_3)
	v_lshlrev_b32_e32 v5, 20, v5
	v_lshl_add_u32 v12, v12, 23, 0x3c000000
	v_and_b32_e32 v13, 0x80000000, v13
	s_delay_alu instid0(VALU_DEP_1) | instskip(NEXT) | instid1(VALU_DEP_1)
	v_or3_b32 v5, v5, v13, v12
	v_dual_mov_b32 v13, v6 :: v_dual_mov_b32 v12, v5
.LBB217_137:                            ;   in Loop: Header=BB217_97 Depth=1
	s_or_b32 exec_lo, exec_lo, s14
.LBB217_138:                            ;   in Loop: Header=BB217_97 Depth=1
	s_delay_alu instid0(SALU_CYCLE_1)
	s_or_b32 exec_lo, exec_lo, s13
.LBB217_139:                            ;   in Loop: Header=BB217_97 Depth=1
	s_delay_alu instid0(SALU_CYCLE_1) | instskip(SKIP_2) | instid1(VALU_DEP_1)
	s_or_b32 exec_lo, exec_lo, s8
	v_lshrrev_b16 v5, 8, v35
	s_mov_b32 s13, exec_lo
	v_cmpx_ne_u16_e32 0, v5
	s_cbranch_execz .LBB217_147
; %bb.140:                              ;   in Loop: Header=BB217_97 Depth=1
	v_dual_mov_b32 v15, s5 :: v_dual_mov_b32 v14, s4
	s_mov_b32 s14, exec_lo
	v_cmpx_ne_u16_e32 0x80, v5
	s_cbranch_execz .LBB217_146
; %bb.141:                              ;   in Loop: Header=BB217_97 Depth=1
	s_mov_b32 s8, s4
	v_and_b32_e32 v5, 0xffff, v5
	v_dual_mov_b32 v15, s9 :: v_dual_mov_b32 v14, s8
	s_mov_b32 s8, exec_lo
	s_delay_alu instid0(VALU_DEP_2) | instskip(NEXT) | instid1(VALU_DEP_1)
	v_and_b32_e32 v16, 0x7f, v5
	v_cmpx_ne_u32_e32 0x7f, v16
	s_cbranch_execz .LBB217_145
; %bb.142:                              ;   in Loop: Header=BB217_97 Depth=1
	v_and_b32_e32 v5, 7, v5
	v_lshrrev_b32_e32 v14, 3, v16
	s_mov_b32 s16, exec_lo
	v_cmpx_gt_u32_e32 8, v16
; %bb.143:                              ;   in Loop: Header=BB217_97 Depth=1
	s_delay_alu instid0(VALU_DEP_3) | instskip(NEXT) | instid1(VALU_DEP_1)
	v_clz_i32_u32_e32 v14, v5
	v_min_u32_e32 v14, 32, v14
	s_delay_alu instid0(VALU_DEP_1) | instskip(SKIP_1) | instid1(VALU_DEP_2)
	v_subrev_nc_u32_e32 v15, 28, v14
	v_sub_nc_u32_e32 v14, 29, v14
	v_lshlrev_b64 v[15:16], v15, v[5:6]
	s_delay_alu instid0(VALU_DEP_1)
	v_and_b32_e32 v5, 7, v15
; %bb.144:                              ;   in Loop: Header=BB217_97 Depth=1
	s_or_b32 exec_lo, exec_lo, s16
	v_lshlrev_b32_e32 v15, 16, v35
	s_delay_alu instid0(VALU_DEP_2) | instskip(SKIP_1) | instid1(VALU_DEP_3)
	v_lshlrev_b32_e32 v5, 20, v5
	v_lshl_add_u32 v14, v14, 23, 0x3c000000
	v_and_b32_e32 v15, 0x80000000, v15
	s_delay_alu instid0(VALU_DEP_1)
	v_or3_b32 v15, v5, v15, v14
	v_mov_b32_e32 v14, v6
.LBB217_145:                            ;   in Loop: Header=BB217_97 Depth=1
	s_or_b32 exec_lo, exec_lo, s8
.LBB217_146:                            ;   in Loop: Header=BB217_97 Depth=1
	s_delay_alu instid0(SALU_CYCLE_1)
	s_or_b32 exec_lo, exec_lo, s14
.LBB217_147:                            ;   in Loop: Header=BB217_97 Depth=1
	s_delay_alu instid0(SALU_CYCLE_1) | instskip(SKIP_3) | instid1(VALU_DEP_2)
	s_or_b32 exec_lo, exec_lo, s13
	v_lshrrev_b32_e32 v36, 16, v35
	v_mov_b32_e32 v18, 0
	v_mov_b32_e32 v19, 0
	;; [unrolled: 1-line block ×3, first 2 shown]
	s_mov_b32 s8, exec_lo
	v_and_b32_e32 v5, 0xff, v36
	s_delay_alu instid0(VALU_DEP_3) | instskip(NEXT) | instid1(VALU_DEP_2)
	v_mov_b32_e32 v17, v19
	v_cmpx_ne_u16_e32 0, v5
	s_cbranch_execz .LBB217_155
; %bb.148:                              ;   in Loop: Header=BB217_97 Depth=1
	v_bfrev_b32_e32 v16, 1
	v_mov_b32_e32 v17, 0
	s_mov_b32 s13, exec_lo
	v_cmpx_ne_u16_e32 0x80, v5
	s_cbranch_execz .LBB217_154
; %bb.149:                              ;   in Loop: Header=BB217_97 Depth=1
	v_mov_b32_e32 v16, 0x7f800001
	v_bfe_u32 v37, v35, 16, 7
	v_mov_b32_e32 v17, 0
	s_mov_b32 s14, exec_lo
	s_delay_alu instid0(VALU_DEP_2)
	v_cmpx_ne_u32_e32 0x7f, v37
	s_cbranch_execz .LBB217_153
; %bb.150:                              ;   in Loop: Header=BB217_97 Depth=1
	v_and_b32_e32 v5, 7, v36
	v_lshrrev_b32_e32 v16, 3, v37
	s_mov_b32 s16, exec_lo
	v_cmpx_gt_u32_e32 8, v37
; %bb.151:                              ;   in Loop: Header=BB217_97 Depth=1
	s_delay_alu instid0(VALU_DEP_3) | instskip(NEXT) | instid1(VALU_DEP_1)
	v_clz_i32_u32_e32 v16, v5
	v_min_u32_e32 v16, 32, v16
	s_delay_alu instid0(VALU_DEP_1) | instskip(SKIP_1) | instid1(VALU_DEP_2)
	v_subrev_nc_u32_e32 v17, 28, v16
	v_sub_nc_u32_e32 v16, 29, v16
	v_lshlrev_b64 v[37:38], v17, v[5:6]
	s_delay_alu instid0(VALU_DEP_1)
	v_and_b32_e32 v5, 7, v37
; %bb.152:                              ;   in Loop: Header=BB217_97 Depth=1
	s_or_b32 exec_lo, exec_lo, s16
	v_lshlrev_b32_e32 v17, 24, v36
	s_delay_alu instid0(VALU_DEP_2) | instskip(SKIP_1) | instid1(VALU_DEP_3)
	v_lshlrev_b32_e32 v5, 20, v5
	v_lshl_add_u32 v16, v16, 23, 0x3c000000
	v_and_b32_e32 v17, 0x80000000, v17
	s_delay_alu instid0(VALU_DEP_1) | instskip(NEXT) | instid1(VALU_DEP_1)
	v_or3_b32 v5, v5, v17, v16
	v_dual_mov_b32 v17, v6 :: v_dual_mov_b32 v16, v5
.LBB217_153:                            ;   in Loop: Header=BB217_97 Depth=1
	s_or_b32 exec_lo, exec_lo, s14
.LBB217_154:                            ;   in Loop: Header=BB217_97 Depth=1
	s_delay_alu instid0(SALU_CYCLE_1)
	s_or_b32 exec_lo, exec_lo, s13
.LBB217_155:                            ;   in Loop: Header=BB217_97 Depth=1
	s_delay_alu instid0(SALU_CYCLE_1) | instskip(NEXT) | instid1(SALU_CYCLE_1)
	s_or_b32 exec_lo, exec_lo, s8
	s_mov_b32 s13, exec_lo
	v_cmpx_lt_u32_e32 0xffffff, v35
	s_cbranch_execz .LBB217_163
; %bb.156:                              ;   in Loop: Header=BB217_97 Depth=1
	v_lshrrev_b32_e32 v36, 24, v35
	v_dual_mov_b32 v19, s5 :: v_dual_mov_b32 v18, s4
	s_mov_b32 s14, exec_lo
	s_delay_alu instid0(VALU_DEP_2)
	v_cmpx_ne_u32_e32 0x80, v36
	s_cbranch_execz .LBB217_162
; %bb.157:                              ;   in Loop: Header=BB217_97 Depth=1
	s_mov_b32 s8, s4
	v_bfe_u32 v35, v35, 24, 7
	v_dual_mov_b32 v19, s9 :: v_dual_mov_b32 v18, s8
	s_mov_b32 s8, exec_lo
	s_delay_alu instid0(VALU_DEP_2)
	v_cmpx_ne_u32_e32 0x7f, v35
	s_cbranch_execz .LBB217_161
; %bb.158:                              ;   in Loop: Header=BB217_97 Depth=1
	v_and_b32_e32 v5, 7, v36
	v_lshrrev_b32_e32 v18, 3, v35
	s_mov_b32 s16, exec_lo
	v_cmpx_gt_u32_e32 8, v35
; %bb.159:                              ;   in Loop: Header=BB217_97 Depth=1
	s_delay_alu instid0(VALU_DEP_3) | instskip(NEXT) | instid1(VALU_DEP_1)
	v_clz_i32_u32_e32 v18, v5
	v_min_u32_e32 v18, 32, v18
	s_delay_alu instid0(VALU_DEP_1) | instskip(SKIP_1) | instid1(VALU_DEP_2)
	v_subrev_nc_u32_e32 v19, 28, v18
	v_sub_nc_u32_e32 v18, 29, v18
	v_lshlrev_b64 v[37:38], v19, v[5:6]
	s_delay_alu instid0(VALU_DEP_1)
	v_and_b32_e32 v5, 7, v37
; %bb.160:                              ;   in Loop: Header=BB217_97 Depth=1
	s_or_b32 exec_lo, exec_lo, s16
	v_lshlrev_b32_e32 v19, 24, v36
	s_delay_alu instid0(VALU_DEP_2) | instskip(SKIP_1) | instid1(VALU_DEP_3)
	v_lshlrev_b32_e32 v5, 20, v5
	v_lshl_add_u32 v18, v18, 23, 0x3c000000
	v_and_b32_e32 v19, 0x80000000, v19
	s_delay_alu instid0(VALU_DEP_1)
	v_or3_b32 v19, v5, v19, v18
	v_mov_b32_e32 v18, v6
.LBB217_161:                            ;   in Loop: Header=BB217_97 Depth=1
	s_or_b32 exec_lo, exec_lo, s8
.LBB217_162:                            ;   in Loop: Header=BB217_97 Depth=1
	s_delay_alu instid0(SALU_CYCLE_1)
	s_or_b32 exec_lo, exec_lo, s14
.LBB217_163:                            ;   in Loop: Header=BB217_97 Depth=1
	s_delay_alu instid0(SALU_CYCLE_1) | instskip(SKIP_4) | instid1(VALU_DEP_3)
	s_or_b32 exec_lo, exec_lo, s13
	v_or_b32_e32 v5, v15, v13
	v_or_b32_e32 v12, v14, v12
	;; [unrolled: 1-line block ×4, first 2 shown]
	v_dual_mul_f32 v14, s10, v5 :: v_dual_mul_f32 v13, s3, v12
	s_delay_alu instid0(VALU_DEP_2)
	v_dual_mul_f32 v5, s10, v15 :: v_dual_mul_f32 v12, s3, v16
	s_and_saveexec_b32 s0, vcc_lo
	s_cbranch_execz .LBB217_96
; %bb.164:                              ;   in Loop: Header=BB217_97 Depth=1
	v_cmp_gt_i32_e32 vcc_lo, s15, v32
	v_cndmask_b32_e32 v13, 0, v13, vcc_lo
	v_cmp_gt_i32_e32 vcc_lo, s15, v34
	v_cndmask_b32_e32 v14, 0, v14, vcc_lo
	v_cmp_gt_i32_e32 vcc_lo, s15, v33
	v_cndmask_b32_e32 v12, 0, v12, vcc_lo
	v_cmp_gt_i32_e32 vcc_lo, s15, v28
	v_cndmask_b32_e32 v5, 0, v5, vcc_lo
	s_branch .LBB217_96
.LBB217_165:
	s_or_b32 exec_lo, exec_lo, s11
.LBB217_166:
	s_delay_alu instid0(SALU_CYCLE_1)
	s_or_b32 exec_lo, exec_lo, s1
	ds_bpermute_b32 v1, v24, v26
	ds_bpermute_b32 v2, v24, v27
	v_and_b32_e32 v4, 0x3c1, v0
	v_lshrrev_b32_e32 v3, 1, v23
	s_mov_b32 s0, exec_lo
	s_waitcnt lgkmcnt(0)
	s_waitcnt_vscnt null, 0x0
	s_barrier
	buffer_gl0_inv
	v_dual_add_f32 v1, v26, v1 :: v_dual_add_f32 v2, v27, v2
	v_cmpx_eq_u32_e32 64, v4
	s_cbranch_execz .LBB217_168
; %bb.167:
	v_lshl_add_u32 v4, v22, 7, 0xa0
	v_lshlrev_b32_e32 v5, 2, v3
	s_delay_alu instid0(VALU_DEP_1)
	v_add3_u32 v4, v4, v5, 0xffffff00
	ds_store_2addr_b32 v4, v1, v2 offset1:16
.LBB217_168:
	s_or_b32 exec_lo, exec_lo, s0
	v_and_b32_e32 v4, 0x3e0, v0
	v_cmp_eq_u32_e32 vcc_lo, 0, v25
	s_mov_b32 s1, exec_lo
	s_waitcnt lgkmcnt(0)
	s_barrier
	v_lshl_add_u32 v4, v4, 2, 0xa0
	buffer_gl0_inv
	v_cmpx_gt_u32_e32 64, v0
	s_cbranch_execz .LBB217_174
; %bb.169:
	s_and_saveexec_b32 s0, vcc_lo
	s_cbranch_execz .LBB217_171
; %bb.170:
	v_lshl_add_u32 v5, v3, 2, v4
	ds_load_b32 v5, v5
	s_waitcnt lgkmcnt(0)
	v_add_f32_e32 v1, v1, v5
.LBB217_171:
	s_or_b32 exec_lo, exec_lo, s0
	s_and_saveexec_b32 s0, vcc_lo
	s_cbranch_execz .LBB217_173
; %bb.172:
	v_lshl_add_u32 v5, v3, 2, v4
	ds_load_b32 v5, v5 offset:64
	s_waitcnt lgkmcnt(0)
	v_add_f32_e32 v2, v2, v5
.LBB217_173:
	s_or_b32 exec_lo, exec_lo, s0
.LBB217_174:
	s_delay_alu instid0(SALU_CYCLE_1)
	s_or_b32 exec_lo, exec_lo, s1
	v_and_b32_e32 v5, 0x3e1, v0
	s_mov_b32 s1, exec_lo
	s_barrier
	buffer_gl0_inv
	v_cmpx_eq_u32_e32 32, v5
	s_cbranch_execz .LBB217_176
; %bb.175:
	v_lshl_add_u32 v6, v3, 2, 0xa0
	ds_store_2addr_b32 v6, v1, v2 offset1:16
.LBB217_176:
	s_or_b32 exec_lo, exec_lo, s1
	s_waitcnt lgkmcnt(0)
	s_barrier
	buffer_gl0_inv
	s_and_saveexec_b32 s0, s2
	s_cbranch_execz .LBB217_182
; %bb.177:
	v_lshl_add_u32 v3, v3, 2, v4
	s_and_saveexec_b32 s1, vcc_lo
	s_cbranch_execz .LBB217_179
; %bb.178:
	ds_load_b32 v4, v3
	s_waitcnt lgkmcnt(0)
	v_add_f32_e32 v1, v1, v4
.LBB217_179:
	s_or_b32 exec_lo, exec_lo, s1
	s_and_saveexec_b32 s1, vcc_lo
	s_cbranch_execz .LBB217_181
; %bb.180:
	ds_load_b32 v3, v3 offset:64
	s_waitcnt lgkmcnt(0)
	v_add_f32_e32 v2, v2, v3
.LBB217_181:
	s_or_b32 exec_lo, exec_lo, s1
.LBB217_182:
	s_delay_alu instid0(SALU_CYCLE_1)
	s_or_b32 exec_lo, exec_lo, s0
	s_barrier
	buffer_gl0_inv
	s_mov_b32 s0, exec_lo
	v_cmpx_eq_u32_e32 0, v5
	s_cbranch_execz .LBB217_184
; %bb.183:
	s_lshl_b32 s0, s6, 5
	s_mul_i32 s2, s21, s20
	s_ashr_i32 s1, s0, 31
	v_lshlrev_b32_e32 v0, 1, v0
	s_lshl_b64 s[0:1], s[0:1], 2
	s_delay_alu instid0(SALU_CYCLE_1) | instskip(SKIP_2) | instid1(SALU_CYCLE_1)
	s_add_u32 s4, s22, s0
	s_addc_u32 s5, s23, s1
	s_ashr_i32 s3, s2, 31
	s_lshl_b64 s[0:1], s[2:3], 2
	s_delay_alu instid0(SALU_CYCLE_1) | instskip(SKIP_2) | instid1(SALU_CYCLE_1)
	s_add_u32 s2, s4, s0
	s_addc_u32 s3, s5, s1
	s_lshl_b32 s0, s12, 5
	s_ashr_i32 s1, s0, 31
	s_delay_alu instid0(SALU_CYCLE_1) | instskip(NEXT) | instid1(SALU_CYCLE_1)
	s_lshl_b64 s[0:1], s[0:1], 2
	s_add_u32 s0, s2, s0
	s_addc_u32 s1, s3, s1
	s_clause 0x1
	global_store_b32 v0, v1, s[0:1]
	global_store_b32 v0, v2, s[0:1] offset:64
.LBB217_184:
	s_nop 0
	s_sendmsg sendmsg(MSG_DEALLOC_VGPRS)
	s_endpgm
	.section	.rodata,"a",@progbits
	.p2align	6, 0x0
	.amdhsa_kernel _ZN4vllm25paged_attention_v2_kernelIfhLi32ELi8ELi128ELNS_18Fp8KVCacheDataTypeE1ELb0ELi512EEEvPfS2_PT_PKS3_PKT0_S9_ifPKiSB_iPKfiiiSD_SD_iiiii
		.amdhsa_group_segment_fixed_size 160
		.amdhsa_private_segment_fixed_size 0
		.amdhsa_kernarg_size 400
		.amdhsa_user_sgpr_count 13
		.amdhsa_user_sgpr_dispatch_ptr 0
		.amdhsa_user_sgpr_queue_ptr 0
		.amdhsa_user_sgpr_kernarg_segment_ptr 1
		.amdhsa_user_sgpr_dispatch_id 0
		.amdhsa_user_sgpr_private_segment_size 0
		.amdhsa_wavefront_size32 1
		.amdhsa_uses_dynamic_stack 0
		.amdhsa_enable_private_segment 0
		.amdhsa_system_sgpr_workgroup_id_x 1
		.amdhsa_system_sgpr_workgroup_id_y 1
		.amdhsa_system_sgpr_workgroup_id_z 1
		.amdhsa_system_sgpr_workgroup_info 0
		.amdhsa_system_vgpr_workitem_id 0
		.amdhsa_next_free_vgpr 40
		.amdhsa_next_free_sgpr 43
		.amdhsa_reserve_vcc 1
		.amdhsa_float_round_mode_32 0
		.amdhsa_float_round_mode_16_64 0
		.amdhsa_float_denorm_mode_32 3
		.amdhsa_float_denorm_mode_16_64 3
		.amdhsa_dx10_clamp 1
		.amdhsa_ieee_mode 1
		.amdhsa_fp16_overflow 0
		.amdhsa_workgroup_processor_mode 1
		.amdhsa_memory_ordered 1
		.amdhsa_forward_progress 0
		.amdhsa_shared_vgpr_count 0
		.amdhsa_exception_fp_ieee_invalid_op 0
		.amdhsa_exception_fp_denorm_src 0
		.amdhsa_exception_fp_ieee_div_zero 0
		.amdhsa_exception_fp_ieee_overflow 0
		.amdhsa_exception_fp_ieee_underflow 0
		.amdhsa_exception_fp_ieee_inexact 0
		.amdhsa_exception_int_div_zero 0
	.end_amdhsa_kernel
	.section	.text._ZN4vllm25paged_attention_v2_kernelIfhLi32ELi8ELi128ELNS_18Fp8KVCacheDataTypeE1ELb0ELi512EEEvPfS2_PT_PKS3_PKT0_S9_ifPKiSB_iPKfiiiSD_SD_iiiii,"axG",@progbits,_ZN4vllm25paged_attention_v2_kernelIfhLi32ELi8ELi128ELNS_18Fp8KVCacheDataTypeE1ELb0ELi512EEEvPfS2_PT_PKS3_PKT0_S9_ifPKiSB_iPKfiiiSD_SD_iiiii,comdat
.Lfunc_end217:
	.size	_ZN4vllm25paged_attention_v2_kernelIfhLi32ELi8ELi128ELNS_18Fp8KVCacheDataTypeE1ELb0ELi512EEEvPfS2_PT_PKS3_PKT0_S9_ifPKiSB_iPKfiiiSD_SD_iiiii, .Lfunc_end217-_ZN4vllm25paged_attention_v2_kernelIfhLi32ELi8ELi128ELNS_18Fp8KVCacheDataTypeE1ELb0ELi512EEEvPfS2_PT_PKS3_PKT0_S9_ifPKiSB_iPKfiiiSD_SD_iiiii
                                        ; -- End function
	.section	.AMDGPU.csdata,"",@progbits
; Kernel info:
; codeLenInByte = 7036
; NumSgprs: 45
; NumVgprs: 40
; ScratchSize: 0
; MemoryBound: 0
; FloatMode: 240
; IeeeMode: 1
; LDSByteSize: 160 bytes/workgroup (compile time only)
; SGPRBlocks: 5
; VGPRBlocks: 4
; NumSGPRsForWavesPerEU: 45
; NumVGPRsForWavesPerEU: 40
; Occupancy: 16
; WaveLimiterHint : 1
; COMPUTE_PGM_RSRC2:SCRATCH_EN: 0
; COMPUTE_PGM_RSRC2:USER_SGPR: 13
; COMPUTE_PGM_RSRC2:TRAP_HANDLER: 0
; COMPUTE_PGM_RSRC2:TGID_X_EN: 1
; COMPUTE_PGM_RSRC2:TGID_Y_EN: 1
; COMPUTE_PGM_RSRC2:TGID_Z_EN: 1
; COMPUTE_PGM_RSRC2:TIDIG_COMP_CNT: 0
	.section	.text._ZN4vllm25paged_attention_v2_kernelIfhLi64ELi8ELi128ELNS_18Fp8KVCacheDataTypeE1ELb0ELi512EEEvPfS2_PT_PKS3_PKT0_S9_ifPKiSB_iPKfiiiSD_SD_iiiii,"axG",@progbits,_ZN4vllm25paged_attention_v2_kernelIfhLi64ELi8ELi128ELNS_18Fp8KVCacheDataTypeE1ELb0ELi512EEEvPfS2_PT_PKS3_PKT0_S9_ifPKiSB_iPKfiiiSD_SD_iiiii,comdat
	.protected	_ZN4vllm25paged_attention_v2_kernelIfhLi64ELi8ELi128ELNS_18Fp8KVCacheDataTypeE1ELb0ELi512EEEvPfS2_PT_PKS3_PKT0_S9_ifPKiSB_iPKfiiiSD_SD_iiiii ; -- Begin function _ZN4vllm25paged_attention_v2_kernelIfhLi64ELi8ELi128ELNS_18Fp8KVCacheDataTypeE1ELb0ELi512EEEvPfS2_PT_PKS3_PKT0_S9_ifPKiSB_iPKfiiiSD_SD_iiiii
	.globl	_ZN4vllm25paged_attention_v2_kernelIfhLi64ELi8ELi128ELNS_18Fp8KVCacheDataTypeE1ELb0ELi512EEEvPfS2_PT_PKS3_PKT0_S9_ifPKiSB_iPKfiiiSD_SD_iiiii
	.p2align	8
	.type	_ZN4vllm25paged_attention_v2_kernelIfhLi64ELi8ELi128ELNS_18Fp8KVCacheDataTypeE1ELb0ELi512EEEvPfS2_PT_PKS3_PKT0_S9_ifPKiSB_iPKfiiiSD_SD_iiiii,@function
_ZN4vllm25paged_attention_v2_kernelIfhLi64ELi8ELi128ELNS_18Fp8KVCacheDataTypeE1ELb0ELi512EEEvPfS2_PT_PKS3_PKT0_S9_ifPKiSB_iPKfiiiSD_SD_iiiii: ; @_ZN4vllm25paged_attention_v2_kernelIfhLi64ELi8ELi128ELNS_18Fp8KVCacheDataTypeE1ELb0ELi512EEEvPfS2_PT_PKS3_PKT0_S9_ifPKiSB_iPKfiiiSD_SD_iiiii
; %bb.0:
	s_load_b64 s[2:3], s[0:1], 0x40
	s_mov_b32 s24, s15
	s_ashr_i32 s15, s14, 31
	s_delay_alu instid0(SALU_CYCLE_1)
	s_lshl_b64 s[4:5], s[14:15], 2
	s_waitcnt lgkmcnt(0)
	s_add_u32 s2, s2, s4
	s_addc_u32 s3, s3, s5
	s_lshl_b32 s33, s24, 9
	s_load_b32 s15, s[2:3], 0x0
	s_waitcnt lgkmcnt(0)
	s_cmp_ge_i32 s33, s15
	s_cbranch_scc1 .LBB218_318
; %bb.1:
	s_clause 0x1
	s_load_b32 s25, s[0:1], 0x90
	s_load_b64 s[20:21], s[0:1], 0x30
	s_mov_b32 s26, s13
	s_mov_b32 s38, 0
	s_waitcnt lgkmcnt(0)
	s_abs_i32 s5, s25
	s_abs_i32 s2, s20
	s_delay_alu instid0(SALU_CYCLE_1) | instskip(SKIP_1) | instid1(VALU_DEP_1)
	v_cvt_f32_u32_e32 v1, s2
	s_sub_i32 s4, 0, s2
	v_rcp_iflag_f32_e32 v1, v1
	s_waitcnt_depctr 0xfff
	v_mul_f32_e32 v1, 0x4f7ffffe, v1
	s_delay_alu instid0(VALU_DEP_1) | instskip(NEXT) | instid1(VALU_DEP_1)
	v_cvt_u32_f32_e32 v1, v1
	v_readfirstlane_b32 s3, v1
	s_delay_alu instid0(VALU_DEP_1) | instskip(NEXT) | instid1(SALU_CYCLE_1)
	s_mul_i32 s4, s4, s3
	s_mul_hi_u32 s4, s3, s4
	s_delay_alu instid0(SALU_CYCLE_1) | instskip(SKIP_4) | instid1(SALU_CYCLE_1)
	s_add_i32 s3, s3, s4
	s_xor_b32 s4, s25, s20
	s_mul_hi_u32 s3, s5, s3
	s_ashr_i32 s4, s4, 31
	s_mul_i32 s6, s3, s2
	s_sub_i32 s5, s5, s6
	s_add_i32 s6, s3, 1
	s_sub_i32 s7, s5, s2
	s_cmp_ge_u32 s5, s2
	s_cselect_b32 s3, s6, s3
	s_cselect_b32 s5, s7, s5
	s_add_i32 s6, s3, 1
	s_cmp_ge_u32 s5, s2
	s_cselect_b32 s2, s6, s3
	s_abs_i32 s10, s13
	s_xor_b32 s2, s2, s4
	s_delay_alu instid0(SALU_CYCLE_1) | instskip(SKIP_2) | instid1(SALU_CYCLE_1)
	s_sub_i32 s11, s2, s4
	s_load_b64 s[2:3], s[0:1], 0x50
	s_abs_i32 s8, s11
	v_cvt_f32_u32_e32 v1, s8
	s_sub_i32 s5, 0, s8
	s_delay_alu instid0(VALU_DEP_1) | instskip(SKIP_2) | instid1(VALU_DEP_1)
	v_rcp_iflag_f32_e32 v1, v1
	s_waitcnt_depctr 0xfff
	v_mul_f32_e32 v1, 0x4f7ffffe, v1
	v_cvt_u32_f32_e32 v1, v1
	s_delay_alu instid0(VALU_DEP_1) | instskip(NEXT) | instid1(VALU_DEP_1)
	v_readfirstlane_b32 s4, v1
	s_mul_i32 s5, s5, s4
	s_delay_alu instid0(SALU_CYCLE_1) | instskip(NEXT) | instid1(SALU_CYCLE_1)
	s_mul_hi_u32 s5, s4, s5
	s_add_i32 s4, s4, s5
	s_waitcnt lgkmcnt(0)
	s_cmp_eq_u64 s[2:3], 0
	s_mul_hi_u32 s9, s10, s4
	s_cbranch_scc1 .LBB218_3
; %bb.2:
	s_ashr_i32 s27, s26, 31
	s_delay_alu instid0(SALU_CYCLE_1) | instskip(NEXT) | instid1(SALU_CYCLE_1)
	s_lshl_b64 s[4:5], s[26:27], 2
	s_add_u32 s2, s2, s4
	s_addc_u32 s3, s3, s5
	s_load_b32 s38, s[2:3], 0x0
.LBB218_3:
	s_load_b128 s[4:7], s[0:1], 0x58
	v_and_b32_e32 v32, 3, v0
	v_cmp_gt_u32_e64 s2, 64, v0
	v_lshlrev_b32_e32 v30, 2, v0
	s_ashr_i32 s3, s26, 31
	s_waitcnt lgkmcnt(0)
	s_ashr_i32 s7, s11, 31
	s_lshl_b32 s12, s26, 6
	s_and_saveexec_b32 s11, s2
	s_cbranch_execz .LBB218_5
; %bb.4:
	s_load_b64 s[16:17], s[0:1], 0x18
	s_mul_i32 s18, s14, s4
	v_and_b32_e32 v2, 0x3fc, v0
	s_ashr_i32 s19, s18, 31
	s_delay_alu instid0(SALU_CYCLE_1) | instskip(NEXT) | instid1(VALU_DEP_1)
	s_lshl_b64 s[18:19], s[18:19], 2
	v_lshl_add_u32 v2, v32, 6, v2
	s_waitcnt lgkmcnt(0)
	s_add_u32 s4, s16, s18
	s_addc_u32 s18, s17, s19
	s_ashr_i32 s13, s12, 31
	s_delay_alu instid0(SALU_CYCLE_1) | instskip(NEXT) | instid1(SALU_CYCLE_1)
	s_lshl_b64 s[16:17], s[12:13], 2
	s_add_u32 s16, s4, s16
	s_addc_u32 s17, s18, s17
	global_load_b32 v1, v30, s[16:17]
	s_waitcnt vmcnt(0)
	ds_store_b32 v2, v1
.LBB218_5:
	s_or_b32 exec_lo, exec_lo, s11
	s_add_i32 s4, s15, 7
	s_lshl_b32 s20, s24, 6
	s_ashr_i32 s11, s4, 31
	s_xor_b32 s3, s3, s7
	s_lshr_b32 s11, s11, 29
	s_add_i32 s7, s20, 64
	s_add_i32 s4, s4, s11
	v_lshrrev_b32_e32 v29, 5, v0
	s_ashr_i32 s36, s4, 3
	s_mul_i32 s4, s9, s8
	s_min_i32 s27, s7, s36
	s_clause 0x1
	s_load_b64 s[28:29], s[0:1], 0x38
	s_load_b32 s7, s[0:1], 0x48
	s_sub_i32 s4, s10, s4
	s_add_i32 s10, s9, 1
	s_sub_i32 s11, s4, s8
	s_cmp_ge_u32 s4, s8
	v_or_b32_e32 v17, s20, v29
	s_cselect_b32 s9, s10, s9
	s_cselect_b32 s4, s11, s4
	s_add_i32 s10, s9, 1
	s_cmp_ge_u32 s4, s8
	v_mbcnt_lo_u32_b32 v31, -1, 0
	s_cselect_b32 s4, s10, s9
	s_waitcnt lgkmcnt(0)
	s_xor_b32 s4, s4, s3
	s_barrier
	s_sub_i32 s37, s4, s3
	v_cmp_gt_i32_e64 s3, s27, v17
	buffer_gl0_inv
                                        ; implicit-def: $sgpr4
                                        ; implicit-def: $vgpr33
	s_mul_i32 s30, s14, s7
	s_mov_b32 s7, exec_lo
	s_ashr_i32 s31, s30, 31
	v_cmpx_le_i32_e64 s27, v17
	s_xor_b32 s7, exec_lo, s7
; %bb.6:
	v_mbcnt_lo_u32_b32 v31, -1, 0
	v_mov_b32_e32 v33, 32
	s_mov_b32 s4, 0xff7fffff
                                        ; implicit-def: $vgpr32
; %bb.7:
	s_or_saveexec_b32 s7, s7
	s_clause 0x4
	s_load_b128 s[16:19], s[0:1], 0x0
	s_load_b64 s[22:23], s[0:1], 0x10
	s_load_b32 s13, s[0:1], 0x98
	s_load_b64 s[34:35], s[0:1], 0x28
	s_load_b128 s[8:11], s[0:1], 0x68
	v_mov_b32_e32 v34, s4
	v_ashrrev_i32_e32 v18, 31, v17
	s_mul_i32 s37, s37, s6
	s_xor_b32 exec_lo, exec_lo, s7
	s_cbranch_execz .LBB218_141
; %bb.8:
	v_xor_b32_e32 v9, 2, v31
	s_load_b64 s[0:1], s[0:1], 0x20
	v_xor_b32_e32 v21, 1, v31
	v_dual_mov_b32 v20, 0 :: v_dual_lshlrev_b32 v13, 6, v32
	s_delay_alu instid0(VALU_DEP_3)
	v_cmp_gt_i32_e32 vcc_lo, 32, v9
	v_bfe_u32 v19, v0, 2, 3
	ds_load_b128 v[1:4], v13
	ds_load_b128 v[5:8], v13 offset:16
	v_cndmask_b32_e32 v23, v31, v9, vcc_lo
	v_cmp_gt_i32_e32 vcc_lo, 32, v21
	ds_load_b128 v[9:12], v13 offset:32
	ds_load_b128 v[13:16], v13 offset:48
	s_waitcnt lgkmcnt(0)
	s_load_b32 s6, s[8:9], 0x0
	v_dual_mov_b32 v33, 32 :: v_dual_lshlrev_b32 v22, 4, v19
	v_cndmask_b32_e32 v24, v31, v21, vcc_lo
	s_ashr_i32 s4, s37, 31
	v_cmp_eq_u32_e32 vcc_lo, 0, v32
	s_mov_b32 s39, s5
	v_mov_b32_e32 v34, 0xff7fffff
	v_lshlrev_b32_e32 v36, 2, v24
	v_lshlrev_b32_e32 v35, 2, v23
	;; [unrolled: 1-line block ×3, first 2 shown]
	v_dual_mov_b32 v39, v17 :: v_dual_lshlrev_b32 v24, 3, v29
	s_add_u32 s0, s0, s37
	s_addc_u32 s1, s1, s4
	s_delay_alu instid0(VALU_DEP_2) | instskip(NEXT) | instid1(VALU_DEP_2)
	v_lshl_or_b32 v25, v29, 5, v23
	v_add3_u32 v37, s33, v24, v19
	v_lshlrev_b64 v[23:24], 2, v[17:18]
	v_add_co_u32 v21, s0, s0, v22
	s_lshl_b64 s[40:41], s[30:31], 2
	s_sub_i32 s8, 1, s15
	v_add_co_ci_u32_e64 v22, null, s1, 0, s0
	s_add_u32 s1, s28, s40
	s_addc_u32 s4, s29, s41
	v_add_co_u32 v23, s1, s1, v23
	v_cmp_neq_f32_e64 s0, s38, 0
	v_add_nc_u32_e32 v38, 0x120, v25
	v_add_co_ci_u32_e64 v24, s1, s4, v24, s1
	s_mov_b32 s9, 0
	s_branch .LBB218_10
.LBB218_9:                              ;   in Loop: Header=BB218_10 Depth=1
	s_or_b32 exec_lo, exec_lo, s4
	v_add_nc_u32_e32 v39, 4, v39
	v_add_co_u32 v23, s4, v23, 16
	v_add_nc_u32_e32 v37, 32, v37
	v_add_nc_u32_e32 v38, 0x80, v38
	s_delay_alu instid0(VALU_DEP_4) | instskip(SKIP_1) | instid1(VALU_DEP_2)
	v_cmp_le_i32_e64 s1, s27, v39
	v_add_co_ci_u32_e64 v24, s4, 0, v24, s4
	s_or_b32 s9, s1, s9
	s_delay_alu instid0(SALU_CYCLE_1)
	s_and_not1_b32 exec_lo, exec_lo, s9
	s_cbranch_execz .LBB218_140
.LBB218_10:                             ; =>This Inner Loop Header: Depth=1
	global_load_b32 v19, v[23:24], off
	v_mov_b32_e32 v40, 0
	s_mov_b32 s4, exec_lo
	s_waitcnt vmcnt(0) lgkmcnt(0)
	v_mad_i64_i32 v[25:26], null, v19, s39, v[21:22]
	s_delay_alu instid0(VALU_DEP_1) | instskip(NEXT) | instid1(VALU_DEP_1)
	v_add_co_u32 v25, s1, v25, v32
	v_add_co_ci_u32_e64 v26, s1, 0, v26, s1
	global_load_u8 v27, v[25:26], off
	s_waitcnt vmcnt(0)
	v_cmpx_ne_u16_e32 0, v27
	s_cbranch_execz .LBB218_18
; %bb.11:                               ;   in Loop: Header=BB218_10 Depth=1
	v_bfrev_b32_e32 v40, 1
	s_mov_b32 s40, exec_lo
	v_cmpx_ne_u16_e32 0x80, v27
	s_cbranch_execz .LBB218_17
; %bb.12:                               ;   in Loop: Header=BB218_10 Depth=1
	v_and_b32_e32 v19, 0xffff, v27
	v_mov_b32_e32 v40, 0x7f800001
	s_mov_b32 s41, exec_lo
	s_delay_alu instid0(VALU_DEP_2) | instskip(NEXT) | instid1(VALU_DEP_1)
	v_and_b32_e32 v41, 0x7f, v19
	v_cmpx_ne_u32_e32 0x7f, v41
	s_cbranch_execz .LBB218_16
; %bb.13:                               ;   in Loop: Header=BB218_10 Depth=1
	v_and_b32_e32 v19, 7, v19
	v_lshrrev_b32_e32 v28, 3, v41
	s_mov_b32 s42, exec_lo
	v_cmpx_gt_u32_e32 8, v41
; %bb.14:                               ;   in Loop: Header=BB218_10 Depth=1
	s_delay_alu instid0(VALU_DEP_3) | instskip(NEXT) | instid1(VALU_DEP_1)
	v_clz_i32_u32_e32 v28, v19
	v_min_u32_e32 v28, 32, v28
	s_delay_alu instid0(VALU_DEP_1) | instskip(SKIP_1) | instid1(VALU_DEP_2)
	v_subrev_nc_u32_e32 v40, 28, v28
	v_sub_nc_u32_e32 v28, 29, v28
	v_lshlrev_b64 v[40:41], v40, v[19:20]
	s_delay_alu instid0(VALU_DEP_1)
	v_and_b32_e32 v19, 7, v40
; %bb.15:                               ;   in Loop: Header=BB218_10 Depth=1
	s_or_b32 exec_lo, exec_lo, s42
	v_lshlrev_b32_e32 v27, 24, v27
	s_delay_alu instid0(VALU_DEP_2) | instskip(SKIP_1) | instid1(VALU_DEP_3)
	v_lshlrev_b32_e32 v19, 20, v19
	v_lshl_add_u32 v28, v28, 23, 0x3c000000
	v_and_b32_e32 v27, 0x80000000, v27
	s_delay_alu instid0(VALU_DEP_1)
	v_or3_b32 v40, v19, v27, v28
.LBB218_16:                             ;   in Loop: Header=BB218_10 Depth=1
	s_or_b32 exec_lo, exec_lo, s41
.LBB218_17:                             ;   in Loop: Header=BB218_10 Depth=1
	s_delay_alu instid0(SALU_CYCLE_1)
	s_or_b32 exec_lo, exec_lo, s40
.LBB218_18:                             ;   in Loop: Header=BB218_10 Depth=1
	s_delay_alu instid0(SALU_CYCLE_1)
	s_or_b32 exec_lo, exec_lo, s4
	global_load_u8 v27, v[25:26], off offset:4
	v_dual_mov_b32 v41, 0 :: v_dual_mov_b32 v42, 0
	s_mov_b32 s4, exec_lo
	s_waitcnt vmcnt(0)
	v_cmpx_ne_u16_e32 0, v27
	s_cbranch_execz .LBB218_26
; %bb.19:                               ;   in Loop: Header=BB218_10 Depth=1
	v_bfrev_b32_e32 v42, 1
	s_mov_b32 s40, exec_lo
	v_cmpx_ne_u16_e32 0x80, v27
	s_cbranch_execz .LBB218_25
; %bb.20:                               ;   in Loop: Header=BB218_10 Depth=1
	v_and_b32_e32 v19, 0xffff, v27
	v_mov_b32_e32 v42, 0x7f800001
	s_mov_b32 s41, exec_lo
	s_delay_alu instid0(VALU_DEP_2) | instskip(NEXT) | instid1(VALU_DEP_1)
	v_and_b32_e32 v43, 0x7f, v19
	v_cmpx_ne_u32_e32 0x7f, v43
	s_cbranch_execz .LBB218_24
; %bb.21:                               ;   in Loop: Header=BB218_10 Depth=1
	v_and_b32_e32 v19, 7, v19
	v_lshrrev_b32_e32 v28, 3, v43
	s_mov_b32 s42, exec_lo
	v_cmpx_gt_u32_e32 8, v43
; %bb.22:                               ;   in Loop: Header=BB218_10 Depth=1
	s_delay_alu instid0(VALU_DEP_3) | instskip(NEXT) | instid1(VALU_DEP_1)
	v_clz_i32_u32_e32 v28, v19
	v_min_u32_e32 v28, 32, v28
	s_delay_alu instid0(VALU_DEP_1) | instskip(SKIP_1) | instid1(VALU_DEP_2)
	v_subrev_nc_u32_e32 v42, 28, v28
	v_sub_nc_u32_e32 v28, 29, v28
	v_lshlrev_b64 v[42:43], v42, v[19:20]
	s_delay_alu instid0(VALU_DEP_1)
	v_and_b32_e32 v19, 7, v42
; %bb.23:                               ;   in Loop: Header=BB218_10 Depth=1
	s_or_b32 exec_lo, exec_lo, s42
	v_lshlrev_b32_e32 v27, 24, v27
	s_delay_alu instid0(VALU_DEP_2) | instskip(SKIP_1) | instid1(VALU_DEP_3)
	v_lshlrev_b32_e32 v19, 20, v19
	v_lshl_add_u32 v28, v28, 23, 0x3c000000
	v_and_b32_e32 v27, 0x80000000, v27
	s_delay_alu instid0(VALU_DEP_1)
	v_or3_b32 v42, v19, v27, v28
.LBB218_24:                             ;   in Loop: Header=BB218_10 Depth=1
	s_or_b32 exec_lo, exec_lo, s41
.LBB218_25:                             ;   in Loop: Header=BB218_10 Depth=1
	s_delay_alu instid0(SALU_CYCLE_1)
	s_or_b32 exec_lo, exec_lo, s40
.LBB218_26:                             ;   in Loop: Header=BB218_10 Depth=1
	s_delay_alu instid0(SALU_CYCLE_1)
	s_or_b32 exec_lo, exec_lo, s4
	global_load_u8 v27, v[25:26], off offset:8
	s_mov_b32 s4, exec_lo
	s_waitcnt vmcnt(0)
	v_cmpx_ne_u16_e32 0, v27
	s_cbranch_execz .LBB218_34
; %bb.27:                               ;   in Loop: Header=BB218_10 Depth=1
	v_bfrev_b32_e32 v41, 1
	s_mov_b32 s40, exec_lo
	v_cmpx_ne_u16_e32 0x80, v27
	s_cbranch_execz .LBB218_33
; %bb.28:                               ;   in Loop: Header=BB218_10 Depth=1
	v_and_b32_e32 v19, 0xffff, v27
	v_mov_b32_e32 v41, 0x7f800001
	s_mov_b32 s41, exec_lo
	s_delay_alu instid0(VALU_DEP_2) | instskip(NEXT) | instid1(VALU_DEP_1)
	v_and_b32_e32 v43, 0x7f, v19
	v_cmpx_ne_u32_e32 0x7f, v43
	s_cbranch_execz .LBB218_32
; %bb.29:                               ;   in Loop: Header=BB218_10 Depth=1
	v_and_b32_e32 v19, 7, v19
	v_lshrrev_b32_e32 v28, 3, v43
	s_mov_b32 s42, exec_lo
	v_cmpx_gt_u32_e32 8, v43
; %bb.30:                               ;   in Loop: Header=BB218_10 Depth=1
	s_delay_alu instid0(VALU_DEP_3) | instskip(NEXT) | instid1(VALU_DEP_1)
	v_clz_i32_u32_e32 v28, v19
	v_min_u32_e32 v28, 32, v28
	s_delay_alu instid0(VALU_DEP_1) | instskip(SKIP_1) | instid1(VALU_DEP_2)
	v_subrev_nc_u32_e32 v41, 28, v28
	v_sub_nc_u32_e32 v28, 29, v28
	v_lshlrev_b64 v[43:44], v41, v[19:20]
	s_delay_alu instid0(VALU_DEP_1)
	v_and_b32_e32 v19, 7, v43
; %bb.31:                               ;   in Loop: Header=BB218_10 Depth=1
	s_or_b32 exec_lo, exec_lo, s42
	v_lshlrev_b32_e32 v27, 24, v27
	s_delay_alu instid0(VALU_DEP_2) | instskip(SKIP_1) | instid1(VALU_DEP_3)
	v_lshlrev_b32_e32 v19, 20, v19
	v_lshl_add_u32 v28, v28, 23, 0x3c000000
	v_and_b32_e32 v27, 0x80000000, v27
	s_delay_alu instid0(VALU_DEP_1)
	v_or3_b32 v41, v19, v27, v28
.LBB218_32:                             ;   in Loop: Header=BB218_10 Depth=1
	s_or_b32 exec_lo, exec_lo, s41
.LBB218_33:                             ;   in Loop: Header=BB218_10 Depth=1
	s_delay_alu instid0(SALU_CYCLE_1)
	s_or_b32 exec_lo, exec_lo, s40
.LBB218_34:                             ;   in Loop: Header=BB218_10 Depth=1
	s_delay_alu instid0(SALU_CYCLE_1)
	s_or_b32 exec_lo, exec_lo, s4
	global_load_u8 v27, v[25:26], off offset:12
	v_dual_mov_b32 v43, 0 :: v_dual_mov_b32 v44, 0
	s_mov_b32 s4, exec_lo
	s_waitcnt vmcnt(0)
	v_cmpx_ne_u16_e32 0, v27
	s_cbranch_execz .LBB218_42
; %bb.35:                               ;   in Loop: Header=BB218_10 Depth=1
	v_bfrev_b32_e32 v44, 1
	s_mov_b32 s40, exec_lo
	v_cmpx_ne_u16_e32 0x80, v27
	s_cbranch_execz .LBB218_41
; %bb.36:                               ;   in Loop: Header=BB218_10 Depth=1
	v_and_b32_e32 v19, 0xffff, v27
	v_mov_b32_e32 v44, 0x7f800001
	s_mov_b32 s41, exec_lo
	s_delay_alu instid0(VALU_DEP_2) | instskip(NEXT) | instid1(VALU_DEP_1)
	v_and_b32_e32 v45, 0x7f, v19
	v_cmpx_ne_u32_e32 0x7f, v45
	s_cbranch_execz .LBB218_40
; %bb.37:                               ;   in Loop: Header=BB218_10 Depth=1
	v_and_b32_e32 v19, 7, v19
	v_lshrrev_b32_e32 v28, 3, v45
	s_mov_b32 s42, exec_lo
	v_cmpx_gt_u32_e32 8, v45
; %bb.38:                               ;   in Loop: Header=BB218_10 Depth=1
	s_delay_alu instid0(VALU_DEP_3) | instskip(NEXT) | instid1(VALU_DEP_1)
	v_clz_i32_u32_e32 v28, v19
	v_min_u32_e32 v28, 32, v28
	s_delay_alu instid0(VALU_DEP_1) | instskip(SKIP_1) | instid1(VALU_DEP_2)
	v_subrev_nc_u32_e32 v44, 28, v28
	v_sub_nc_u32_e32 v28, 29, v28
	v_lshlrev_b64 v[44:45], v44, v[19:20]
	s_delay_alu instid0(VALU_DEP_1)
	v_and_b32_e32 v19, 7, v44
; %bb.39:                               ;   in Loop: Header=BB218_10 Depth=1
	s_or_b32 exec_lo, exec_lo, s42
	v_lshlrev_b32_e32 v27, 24, v27
	s_delay_alu instid0(VALU_DEP_2) | instskip(SKIP_1) | instid1(VALU_DEP_3)
	v_lshlrev_b32_e32 v19, 20, v19
	v_lshl_add_u32 v28, v28, 23, 0x3c000000
	v_and_b32_e32 v27, 0x80000000, v27
	s_delay_alu instid0(VALU_DEP_1)
	v_or3_b32 v44, v19, v27, v28
.LBB218_40:                             ;   in Loop: Header=BB218_10 Depth=1
	s_or_b32 exec_lo, exec_lo, s41
.LBB218_41:                             ;   in Loop: Header=BB218_10 Depth=1
	s_delay_alu instid0(SALU_CYCLE_1)
	s_or_b32 exec_lo, exec_lo, s40
.LBB218_42:                             ;   in Loop: Header=BB218_10 Depth=1
	s_delay_alu instid0(SALU_CYCLE_1)
	s_or_b32 exec_lo, exec_lo, s4
	global_load_u8 v27, v[25:26], off offset:128
	s_mov_b32 s4, exec_lo
	s_waitcnt vmcnt(0)
	v_cmpx_ne_u16_e32 0, v27
	s_cbranch_execz .LBB218_50
; %bb.43:                               ;   in Loop: Header=BB218_10 Depth=1
	v_bfrev_b32_e32 v43, 1
	s_mov_b32 s40, exec_lo
	v_cmpx_ne_u16_e32 0x80, v27
	s_cbranch_execz .LBB218_49
; %bb.44:                               ;   in Loop: Header=BB218_10 Depth=1
	v_and_b32_e32 v19, 0xffff, v27
	v_mov_b32_e32 v43, 0x7f800001
	s_mov_b32 s41, exec_lo
	s_delay_alu instid0(VALU_DEP_2) | instskip(NEXT) | instid1(VALU_DEP_1)
	v_and_b32_e32 v45, 0x7f, v19
	v_cmpx_ne_u32_e32 0x7f, v45
	s_cbranch_execz .LBB218_48
; %bb.45:                               ;   in Loop: Header=BB218_10 Depth=1
	v_and_b32_e32 v19, 7, v19
	v_lshrrev_b32_e32 v28, 3, v45
	s_mov_b32 s42, exec_lo
	v_cmpx_gt_u32_e32 8, v45
; %bb.46:                               ;   in Loop: Header=BB218_10 Depth=1
	s_delay_alu instid0(VALU_DEP_3) | instskip(NEXT) | instid1(VALU_DEP_1)
	v_clz_i32_u32_e32 v28, v19
	v_min_u32_e32 v28, 32, v28
	s_delay_alu instid0(VALU_DEP_1) | instskip(SKIP_1) | instid1(VALU_DEP_2)
	v_subrev_nc_u32_e32 v43, 28, v28
	v_sub_nc_u32_e32 v28, 29, v28
	v_lshlrev_b64 v[45:46], v43, v[19:20]
	s_delay_alu instid0(VALU_DEP_1)
	v_and_b32_e32 v19, 7, v45
; %bb.47:                               ;   in Loop: Header=BB218_10 Depth=1
	s_or_b32 exec_lo, exec_lo, s42
	v_lshlrev_b32_e32 v27, 24, v27
	s_delay_alu instid0(VALU_DEP_2) | instskip(SKIP_1) | instid1(VALU_DEP_3)
	v_lshlrev_b32_e32 v19, 20, v19
	v_lshl_add_u32 v28, v28, 23, 0x3c000000
	v_and_b32_e32 v27, 0x80000000, v27
	s_delay_alu instid0(VALU_DEP_1)
	v_or3_b32 v43, v19, v27, v28
.LBB218_48:                             ;   in Loop: Header=BB218_10 Depth=1
	s_or_b32 exec_lo, exec_lo, s41
.LBB218_49:                             ;   in Loop: Header=BB218_10 Depth=1
	s_delay_alu instid0(SALU_CYCLE_1)
	s_or_b32 exec_lo, exec_lo, s40
.LBB218_50:                             ;   in Loop: Header=BB218_10 Depth=1
	s_delay_alu instid0(SALU_CYCLE_1)
	s_or_b32 exec_lo, exec_lo, s4
	global_load_u8 v27, v[25:26], off offset:132
	v_dual_mov_b32 v45, 0 :: v_dual_mov_b32 v46, 0
	s_mov_b32 s4, exec_lo
	s_waitcnt vmcnt(0)
	v_cmpx_ne_u16_e32 0, v27
	s_cbranch_execz .LBB218_58
; %bb.51:                               ;   in Loop: Header=BB218_10 Depth=1
	v_bfrev_b32_e32 v46, 1
	s_mov_b32 s40, exec_lo
	v_cmpx_ne_u16_e32 0x80, v27
	s_cbranch_execz .LBB218_57
; %bb.52:                               ;   in Loop: Header=BB218_10 Depth=1
	v_and_b32_e32 v19, 0xffff, v27
	v_mov_b32_e32 v46, 0x7f800001
	s_mov_b32 s41, exec_lo
	s_delay_alu instid0(VALU_DEP_2) | instskip(NEXT) | instid1(VALU_DEP_1)
	v_and_b32_e32 v47, 0x7f, v19
	v_cmpx_ne_u32_e32 0x7f, v47
	s_cbranch_execz .LBB218_56
; %bb.53:                               ;   in Loop: Header=BB218_10 Depth=1
	v_and_b32_e32 v19, 7, v19
	v_lshrrev_b32_e32 v28, 3, v47
	s_mov_b32 s42, exec_lo
	v_cmpx_gt_u32_e32 8, v47
; %bb.54:                               ;   in Loop: Header=BB218_10 Depth=1
	s_delay_alu instid0(VALU_DEP_3) | instskip(NEXT) | instid1(VALU_DEP_1)
	v_clz_i32_u32_e32 v28, v19
	v_min_u32_e32 v28, 32, v28
	s_delay_alu instid0(VALU_DEP_1) | instskip(SKIP_1) | instid1(VALU_DEP_2)
	v_subrev_nc_u32_e32 v46, 28, v28
	v_sub_nc_u32_e32 v28, 29, v28
	v_lshlrev_b64 v[46:47], v46, v[19:20]
	s_delay_alu instid0(VALU_DEP_1)
	v_and_b32_e32 v19, 7, v46
; %bb.55:                               ;   in Loop: Header=BB218_10 Depth=1
	s_or_b32 exec_lo, exec_lo, s42
	v_lshlrev_b32_e32 v27, 24, v27
	s_delay_alu instid0(VALU_DEP_2) | instskip(SKIP_1) | instid1(VALU_DEP_3)
	v_lshlrev_b32_e32 v19, 20, v19
	v_lshl_add_u32 v28, v28, 23, 0x3c000000
	v_and_b32_e32 v27, 0x80000000, v27
	s_delay_alu instid0(VALU_DEP_1)
	v_or3_b32 v46, v19, v27, v28
.LBB218_56:                             ;   in Loop: Header=BB218_10 Depth=1
	s_or_b32 exec_lo, exec_lo, s41
.LBB218_57:                             ;   in Loop: Header=BB218_10 Depth=1
	s_delay_alu instid0(SALU_CYCLE_1)
	s_or_b32 exec_lo, exec_lo, s40
.LBB218_58:                             ;   in Loop: Header=BB218_10 Depth=1
	s_delay_alu instid0(SALU_CYCLE_1) | instskip(SKIP_1) | instid1(VALU_DEP_1)
	s_or_b32 exec_lo, exec_lo, s4
	v_add_co_u32 v27, s1, 0x80, v25
	v_add_co_ci_u32_e64 v28, s1, 0, v26, s1
	s_mov_b32 s4, exec_lo
	global_load_u8 v47, v[27:28], off offset:8
	s_waitcnt vmcnt(0)
	v_cmpx_ne_u16_e32 0, v47
	s_cbranch_execz .LBB218_66
; %bb.59:                               ;   in Loop: Header=BB218_10 Depth=1
	v_bfrev_b32_e32 v45, 1
	s_mov_b32 s40, exec_lo
	v_cmpx_ne_u16_e32 0x80, v47
	s_cbranch_execz .LBB218_65
; %bb.60:                               ;   in Loop: Header=BB218_10 Depth=1
	v_and_b32_e32 v19, 0xffff, v47
	v_mov_b32_e32 v45, 0x7f800001
	s_mov_b32 s41, exec_lo
	s_delay_alu instid0(VALU_DEP_2) | instskip(NEXT) | instid1(VALU_DEP_1)
	v_and_b32_e32 v48, 0x7f, v19
	v_cmpx_ne_u32_e32 0x7f, v48
	s_cbranch_execz .LBB218_64
; %bb.61:                               ;   in Loop: Header=BB218_10 Depth=1
	v_and_b32_e32 v19, 7, v19
	v_lshrrev_b32_e32 v45, 3, v48
	s_mov_b32 s42, exec_lo
	v_cmpx_gt_u32_e32 8, v48
; %bb.62:                               ;   in Loop: Header=BB218_10 Depth=1
	s_delay_alu instid0(VALU_DEP_3) | instskip(NEXT) | instid1(VALU_DEP_1)
	v_clz_i32_u32_e32 v45, v19
	v_min_u32_e32 v45, 32, v45
	s_delay_alu instid0(VALU_DEP_1) | instskip(SKIP_1) | instid1(VALU_DEP_2)
	v_subrev_nc_u32_e32 v48, 28, v45
	v_sub_nc_u32_e32 v45, 29, v45
	v_lshlrev_b64 v[48:49], v48, v[19:20]
	s_delay_alu instid0(VALU_DEP_1)
	v_and_b32_e32 v19, 7, v48
; %bb.63:                               ;   in Loop: Header=BB218_10 Depth=1
	s_or_b32 exec_lo, exec_lo, s42
	v_lshlrev_b32_e32 v47, 24, v47
	s_delay_alu instid0(VALU_DEP_2) | instskip(SKIP_1) | instid1(VALU_DEP_3)
	v_lshlrev_b32_e32 v19, 20, v19
	v_lshl_add_u32 v45, v45, 23, 0x3c000000
	v_and_b32_e32 v47, 0x80000000, v47
	s_delay_alu instid0(VALU_DEP_1)
	v_or3_b32 v45, v19, v47, v45
.LBB218_64:                             ;   in Loop: Header=BB218_10 Depth=1
	s_or_b32 exec_lo, exec_lo, s41
.LBB218_65:                             ;   in Loop: Header=BB218_10 Depth=1
	s_delay_alu instid0(SALU_CYCLE_1)
	s_or_b32 exec_lo, exec_lo, s40
.LBB218_66:                             ;   in Loop: Header=BB218_10 Depth=1
	s_delay_alu instid0(SALU_CYCLE_1)
	s_or_b32 exec_lo, exec_lo, s4
	global_load_u8 v27, v[27:28], off offset:12
	v_dual_mov_b32 v47, 0 :: v_dual_mov_b32 v48, 0
	s_mov_b32 s4, exec_lo
	s_waitcnt vmcnt(0)
	v_cmpx_ne_u16_e32 0, v27
	s_cbranch_execz .LBB218_74
; %bb.67:                               ;   in Loop: Header=BB218_10 Depth=1
	v_bfrev_b32_e32 v48, 1
	s_mov_b32 s40, exec_lo
	v_cmpx_ne_u16_e32 0x80, v27
	s_cbranch_execz .LBB218_73
; %bb.68:                               ;   in Loop: Header=BB218_10 Depth=1
	v_and_b32_e32 v19, 0xffff, v27
	v_mov_b32_e32 v48, 0x7f800001
	s_mov_b32 s41, exec_lo
	s_delay_alu instid0(VALU_DEP_2) | instskip(NEXT) | instid1(VALU_DEP_1)
	v_and_b32_e32 v49, 0x7f, v19
	v_cmpx_ne_u32_e32 0x7f, v49
	s_cbranch_execz .LBB218_72
; %bb.69:                               ;   in Loop: Header=BB218_10 Depth=1
	v_and_b32_e32 v19, 7, v19
	v_lshrrev_b32_e32 v28, 3, v49
	s_mov_b32 s42, exec_lo
	v_cmpx_gt_u32_e32 8, v49
; %bb.70:                               ;   in Loop: Header=BB218_10 Depth=1
	s_delay_alu instid0(VALU_DEP_3) | instskip(NEXT) | instid1(VALU_DEP_1)
	v_clz_i32_u32_e32 v28, v19
	v_min_u32_e32 v28, 32, v28
	s_delay_alu instid0(VALU_DEP_1) | instskip(SKIP_1) | instid1(VALU_DEP_2)
	v_subrev_nc_u32_e32 v48, 28, v28
	v_sub_nc_u32_e32 v28, 29, v28
	v_lshlrev_b64 v[48:49], v48, v[19:20]
	s_delay_alu instid0(VALU_DEP_1)
	v_and_b32_e32 v19, 7, v48
; %bb.71:                               ;   in Loop: Header=BB218_10 Depth=1
	s_or_b32 exec_lo, exec_lo, s42
	v_lshlrev_b32_e32 v27, 24, v27
	s_delay_alu instid0(VALU_DEP_2) | instskip(SKIP_1) | instid1(VALU_DEP_3)
	v_lshlrev_b32_e32 v19, 20, v19
	v_lshl_add_u32 v28, v28, 23, 0x3c000000
	v_and_b32_e32 v27, 0x80000000, v27
	s_delay_alu instid0(VALU_DEP_1)
	v_or3_b32 v48, v19, v27, v28
.LBB218_72:                             ;   in Loop: Header=BB218_10 Depth=1
	s_or_b32 exec_lo, exec_lo, s41
.LBB218_73:                             ;   in Loop: Header=BB218_10 Depth=1
	s_delay_alu instid0(SALU_CYCLE_1)
	s_or_b32 exec_lo, exec_lo, s40
.LBB218_74:                             ;   in Loop: Header=BB218_10 Depth=1
	s_delay_alu instid0(SALU_CYCLE_1)
	s_or_b32 exec_lo, exec_lo, s4
	global_load_u8 v27, v[25:26], off offset:256
	s_mov_b32 s4, exec_lo
	s_waitcnt vmcnt(0)
	v_cmpx_ne_u16_e32 0, v27
	s_cbranch_execz .LBB218_82
; %bb.75:                               ;   in Loop: Header=BB218_10 Depth=1
	v_bfrev_b32_e32 v47, 1
	s_mov_b32 s40, exec_lo
	v_cmpx_ne_u16_e32 0x80, v27
	s_cbranch_execz .LBB218_81
; %bb.76:                               ;   in Loop: Header=BB218_10 Depth=1
	v_and_b32_e32 v19, 0xffff, v27
	v_mov_b32_e32 v47, 0x7f800001
	s_mov_b32 s41, exec_lo
	s_delay_alu instid0(VALU_DEP_2) | instskip(NEXT) | instid1(VALU_DEP_1)
	v_and_b32_e32 v49, 0x7f, v19
	v_cmpx_ne_u32_e32 0x7f, v49
	s_cbranch_execz .LBB218_80
; %bb.77:                               ;   in Loop: Header=BB218_10 Depth=1
	v_and_b32_e32 v19, 7, v19
	v_lshrrev_b32_e32 v28, 3, v49
	s_mov_b32 s42, exec_lo
	v_cmpx_gt_u32_e32 8, v49
; %bb.78:                               ;   in Loop: Header=BB218_10 Depth=1
	s_delay_alu instid0(VALU_DEP_3) | instskip(NEXT) | instid1(VALU_DEP_1)
	v_clz_i32_u32_e32 v28, v19
	v_min_u32_e32 v28, 32, v28
	s_delay_alu instid0(VALU_DEP_1) | instskip(SKIP_1) | instid1(VALU_DEP_2)
	v_subrev_nc_u32_e32 v47, 28, v28
	v_sub_nc_u32_e32 v28, 29, v28
	v_lshlrev_b64 v[49:50], v47, v[19:20]
	s_delay_alu instid0(VALU_DEP_1)
	v_and_b32_e32 v19, 7, v49
; %bb.79:                               ;   in Loop: Header=BB218_10 Depth=1
	s_or_b32 exec_lo, exec_lo, s42
	v_lshlrev_b32_e32 v27, 24, v27
	s_delay_alu instid0(VALU_DEP_2) | instskip(SKIP_1) | instid1(VALU_DEP_3)
	v_lshlrev_b32_e32 v19, 20, v19
	v_lshl_add_u32 v28, v28, 23, 0x3c000000
	v_and_b32_e32 v27, 0x80000000, v27
	s_delay_alu instid0(VALU_DEP_1)
	v_or3_b32 v47, v19, v27, v28
.LBB218_80:                             ;   in Loop: Header=BB218_10 Depth=1
	s_or_b32 exec_lo, exec_lo, s41
.LBB218_81:                             ;   in Loop: Header=BB218_10 Depth=1
	s_delay_alu instid0(SALU_CYCLE_1)
	s_or_b32 exec_lo, exec_lo, s40
.LBB218_82:                             ;   in Loop: Header=BB218_10 Depth=1
	s_delay_alu instid0(SALU_CYCLE_1)
	s_or_b32 exec_lo, exec_lo, s4
	global_load_u8 v27, v[25:26], off offset:260
	v_dual_mov_b32 v49, 0 :: v_dual_mov_b32 v50, 0
	s_mov_b32 s4, exec_lo
	s_waitcnt vmcnt(0)
	v_cmpx_ne_u16_e32 0, v27
	s_cbranch_execz .LBB218_90
; %bb.83:                               ;   in Loop: Header=BB218_10 Depth=1
	v_bfrev_b32_e32 v50, 1
	s_mov_b32 s40, exec_lo
	v_cmpx_ne_u16_e32 0x80, v27
	s_cbranch_execz .LBB218_89
; %bb.84:                               ;   in Loop: Header=BB218_10 Depth=1
	v_and_b32_e32 v19, 0xffff, v27
	v_mov_b32_e32 v50, 0x7f800001
	s_mov_b32 s41, exec_lo
	s_delay_alu instid0(VALU_DEP_2) | instskip(NEXT) | instid1(VALU_DEP_1)
	v_and_b32_e32 v51, 0x7f, v19
	v_cmpx_ne_u32_e32 0x7f, v51
	s_cbranch_execz .LBB218_88
; %bb.85:                               ;   in Loop: Header=BB218_10 Depth=1
	v_and_b32_e32 v19, 7, v19
	v_lshrrev_b32_e32 v28, 3, v51
	s_mov_b32 s42, exec_lo
	v_cmpx_gt_u32_e32 8, v51
; %bb.86:                               ;   in Loop: Header=BB218_10 Depth=1
	s_delay_alu instid0(VALU_DEP_3) | instskip(NEXT) | instid1(VALU_DEP_1)
	v_clz_i32_u32_e32 v28, v19
	v_min_u32_e32 v28, 32, v28
	s_delay_alu instid0(VALU_DEP_1) | instskip(SKIP_1) | instid1(VALU_DEP_2)
	v_subrev_nc_u32_e32 v50, 28, v28
	v_sub_nc_u32_e32 v28, 29, v28
	v_lshlrev_b64 v[50:51], v50, v[19:20]
	s_delay_alu instid0(VALU_DEP_1)
	v_and_b32_e32 v19, 7, v50
; %bb.87:                               ;   in Loop: Header=BB218_10 Depth=1
	s_or_b32 exec_lo, exec_lo, s42
	v_lshlrev_b32_e32 v27, 24, v27
	s_delay_alu instid0(VALU_DEP_2) | instskip(SKIP_1) | instid1(VALU_DEP_3)
	v_lshlrev_b32_e32 v19, 20, v19
	v_lshl_add_u32 v28, v28, 23, 0x3c000000
	v_and_b32_e32 v27, 0x80000000, v27
	s_delay_alu instid0(VALU_DEP_1)
	v_or3_b32 v50, v19, v27, v28
.LBB218_88:                             ;   in Loop: Header=BB218_10 Depth=1
	s_or_b32 exec_lo, exec_lo, s41
.LBB218_89:                             ;   in Loop: Header=BB218_10 Depth=1
	s_delay_alu instid0(SALU_CYCLE_1)
	s_or_b32 exec_lo, exec_lo, s40
.LBB218_90:                             ;   in Loop: Header=BB218_10 Depth=1
	s_delay_alu instid0(SALU_CYCLE_1) | instskip(SKIP_1) | instid1(VALU_DEP_1)
	s_or_b32 exec_lo, exec_lo, s4
	v_add_co_u32 v27, s1, 0x100, v25
	v_add_co_ci_u32_e64 v28, s1, 0, v26, s1
	s_mov_b32 s4, exec_lo
	global_load_u8 v51, v[27:28], off offset:8
	s_waitcnt vmcnt(0)
	v_cmpx_ne_u16_e32 0, v51
	s_cbranch_execz .LBB218_98
; %bb.91:                               ;   in Loop: Header=BB218_10 Depth=1
	v_bfrev_b32_e32 v49, 1
	s_mov_b32 s40, exec_lo
	v_cmpx_ne_u16_e32 0x80, v51
	s_cbranch_execz .LBB218_97
; %bb.92:                               ;   in Loop: Header=BB218_10 Depth=1
	v_and_b32_e32 v19, 0xffff, v51
	v_mov_b32_e32 v49, 0x7f800001
	s_mov_b32 s41, exec_lo
	s_delay_alu instid0(VALU_DEP_2) | instskip(NEXT) | instid1(VALU_DEP_1)
	v_and_b32_e32 v52, 0x7f, v19
	v_cmpx_ne_u32_e32 0x7f, v52
	s_cbranch_execz .LBB218_96
; %bb.93:                               ;   in Loop: Header=BB218_10 Depth=1
	v_and_b32_e32 v19, 7, v19
	v_lshrrev_b32_e32 v49, 3, v52
	s_mov_b32 s42, exec_lo
	v_cmpx_gt_u32_e32 8, v52
; %bb.94:                               ;   in Loop: Header=BB218_10 Depth=1
	s_delay_alu instid0(VALU_DEP_3) | instskip(NEXT) | instid1(VALU_DEP_1)
	v_clz_i32_u32_e32 v49, v19
	v_min_u32_e32 v49, 32, v49
	s_delay_alu instid0(VALU_DEP_1) | instskip(SKIP_1) | instid1(VALU_DEP_2)
	v_subrev_nc_u32_e32 v52, 28, v49
	v_sub_nc_u32_e32 v49, 29, v49
	v_lshlrev_b64 v[52:53], v52, v[19:20]
	s_delay_alu instid0(VALU_DEP_1)
	v_and_b32_e32 v19, 7, v52
; %bb.95:                               ;   in Loop: Header=BB218_10 Depth=1
	s_or_b32 exec_lo, exec_lo, s42
	v_lshlrev_b32_e32 v51, 24, v51
	s_delay_alu instid0(VALU_DEP_2) | instskip(SKIP_1) | instid1(VALU_DEP_3)
	v_lshlrev_b32_e32 v19, 20, v19
	v_lshl_add_u32 v49, v49, 23, 0x3c000000
	v_and_b32_e32 v51, 0x80000000, v51
	s_delay_alu instid0(VALU_DEP_1)
	v_or3_b32 v49, v19, v51, v49
.LBB218_96:                             ;   in Loop: Header=BB218_10 Depth=1
	s_or_b32 exec_lo, exec_lo, s41
.LBB218_97:                             ;   in Loop: Header=BB218_10 Depth=1
	s_delay_alu instid0(SALU_CYCLE_1)
	s_or_b32 exec_lo, exec_lo, s40
.LBB218_98:                             ;   in Loop: Header=BB218_10 Depth=1
	s_delay_alu instid0(SALU_CYCLE_1)
	s_or_b32 exec_lo, exec_lo, s4
	global_load_u8 v51, v[27:28], off offset:12
	v_dual_mov_b32 v27, 0 :: v_dual_mov_b32 v28, 0
	s_mov_b32 s4, exec_lo
	s_waitcnt vmcnt(0)
	v_cmpx_ne_u16_e32 0, v51
	s_cbranch_execz .LBB218_106
; %bb.99:                               ;   in Loop: Header=BB218_10 Depth=1
	v_bfrev_b32_e32 v28, 1
	s_mov_b32 s40, exec_lo
	v_cmpx_ne_u16_e32 0x80, v51
	s_cbranch_execz .LBB218_105
; %bb.100:                              ;   in Loop: Header=BB218_10 Depth=1
	v_and_b32_e32 v19, 0xffff, v51
	v_mov_b32_e32 v28, 0x7f800001
	s_mov_b32 s41, exec_lo
	s_delay_alu instid0(VALU_DEP_2) | instskip(NEXT) | instid1(VALU_DEP_1)
	v_and_b32_e32 v52, 0x7f, v19
	v_cmpx_ne_u32_e32 0x7f, v52
	s_cbranch_execz .LBB218_104
; %bb.101:                              ;   in Loop: Header=BB218_10 Depth=1
	v_and_b32_e32 v19, 7, v19
	v_lshrrev_b32_e32 v28, 3, v52
	s_mov_b32 s42, exec_lo
	v_cmpx_gt_u32_e32 8, v52
; %bb.102:                              ;   in Loop: Header=BB218_10 Depth=1
	s_delay_alu instid0(VALU_DEP_3) | instskip(NEXT) | instid1(VALU_DEP_1)
	v_clz_i32_u32_e32 v28, v19
	v_min_u32_e32 v28, 32, v28
	s_delay_alu instid0(VALU_DEP_1) | instskip(SKIP_1) | instid1(VALU_DEP_2)
	v_subrev_nc_u32_e32 v52, 28, v28
	v_sub_nc_u32_e32 v28, 29, v28
	v_lshlrev_b64 v[52:53], v52, v[19:20]
	s_delay_alu instid0(VALU_DEP_1)
	v_and_b32_e32 v19, 7, v52
; %bb.103:                              ;   in Loop: Header=BB218_10 Depth=1
	s_or_b32 exec_lo, exec_lo, s42
	v_lshlrev_b32_e32 v51, 24, v51
	s_delay_alu instid0(VALU_DEP_2) | instskip(SKIP_1) | instid1(VALU_DEP_3)
	v_lshlrev_b32_e32 v19, 20, v19
	v_lshl_add_u32 v28, v28, 23, 0x3c000000
	v_and_b32_e32 v51, 0x80000000, v51
	s_delay_alu instid0(VALU_DEP_1)
	v_or3_b32 v28, v19, v51, v28
.LBB218_104:                            ;   in Loop: Header=BB218_10 Depth=1
	s_or_b32 exec_lo, exec_lo, s41
.LBB218_105:                            ;   in Loop: Header=BB218_10 Depth=1
	s_delay_alu instid0(SALU_CYCLE_1)
	s_or_b32 exec_lo, exec_lo, s40
.LBB218_106:                            ;   in Loop: Header=BB218_10 Depth=1
	s_delay_alu instid0(SALU_CYCLE_1)
	s_or_b32 exec_lo, exec_lo, s4
	global_load_u8 v51, v[25:26], off offset:384
	s_mov_b32 s4, exec_lo
	s_waitcnt vmcnt(0)
	v_cmpx_ne_u16_e32 0, v51
	s_cbranch_execz .LBB218_114
; %bb.107:                              ;   in Loop: Header=BB218_10 Depth=1
	v_bfrev_b32_e32 v27, 1
	s_mov_b32 s40, exec_lo
	v_cmpx_ne_u16_e32 0x80, v51
	s_cbranch_execz .LBB218_113
; %bb.108:                              ;   in Loop: Header=BB218_10 Depth=1
	v_and_b32_e32 v19, 0xffff, v51
	v_mov_b32_e32 v27, 0x7f800001
	s_mov_b32 s41, exec_lo
	s_delay_alu instid0(VALU_DEP_2) | instskip(NEXT) | instid1(VALU_DEP_1)
	v_and_b32_e32 v52, 0x7f, v19
	v_cmpx_ne_u32_e32 0x7f, v52
	s_cbranch_execz .LBB218_112
; %bb.109:                              ;   in Loop: Header=BB218_10 Depth=1
	v_and_b32_e32 v19, 7, v19
	v_lshrrev_b32_e32 v27, 3, v52
	s_mov_b32 s42, exec_lo
	v_cmpx_gt_u32_e32 8, v52
; %bb.110:                              ;   in Loop: Header=BB218_10 Depth=1
	s_delay_alu instid0(VALU_DEP_3) | instskip(NEXT) | instid1(VALU_DEP_1)
	v_clz_i32_u32_e32 v27, v19
	v_min_u32_e32 v27, 32, v27
	s_delay_alu instid0(VALU_DEP_1) | instskip(SKIP_1) | instid1(VALU_DEP_2)
	v_subrev_nc_u32_e32 v52, 28, v27
	v_sub_nc_u32_e32 v27, 29, v27
	v_lshlrev_b64 v[52:53], v52, v[19:20]
	s_delay_alu instid0(VALU_DEP_1)
	v_and_b32_e32 v19, 7, v52
; %bb.111:                              ;   in Loop: Header=BB218_10 Depth=1
	s_or_b32 exec_lo, exec_lo, s42
	v_lshlrev_b32_e32 v51, 24, v51
	s_delay_alu instid0(VALU_DEP_2) | instskip(SKIP_1) | instid1(VALU_DEP_3)
	v_lshlrev_b32_e32 v19, 20, v19
	v_lshl_add_u32 v27, v27, 23, 0x3c000000
	v_and_b32_e32 v51, 0x80000000, v51
	s_delay_alu instid0(VALU_DEP_1)
	v_or3_b32 v27, v19, v51, v27
.LBB218_112:                            ;   in Loop: Header=BB218_10 Depth=1
	s_or_b32 exec_lo, exec_lo, s41
.LBB218_113:                            ;   in Loop: Header=BB218_10 Depth=1
	s_delay_alu instid0(SALU_CYCLE_1)
	s_or_b32 exec_lo, exec_lo, s40
.LBB218_114:                            ;   in Loop: Header=BB218_10 Depth=1
	s_delay_alu instid0(SALU_CYCLE_1)
	s_or_b32 exec_lo, exec_lo, s4
	global_load_u8 v53, v[25:26], off offset:388
	v_dual_mov_b32 v51, 0 :: v_dual_mov_b32 v52, 0
	s_mov_b32 s4, exec_lo
	s_waitcnt vmcnt(0)
	v_cmpx_ne_u16_e32 0, v53
	s_cbranch_execz .LBB218_122
; %bb.115:                              ;   in Loop: Header=BB218_10 Depth=1
	v_bfrev_b32_e32 v52, 1
	s_mov_b32 s40, exec_lo
	v_cmpx_ne_u16_e32 0x80, v53
	s_cbranch_execz .LBB218_121
; %bb.116:                              ;   in Loop: Header=BB218_10 Depth=1
	v_and_b32_e32 v19, 0xffff, v53
	v_mov_b32_e32 v52, 0x7f800001
	s_mov_b32 s41, exec_lo
	s_delay_alu instid0(VALU_DEP_2) | instskip(NEXT) | instid1(VALU_DEP_1)
	v_and_b32_e32 v54, 0x7f, v19
	v_cmpx_ne_u32_e32 0x7f, v54
	s_cbranch_execz .LBB218_120
; %bb.117:                              ;   in Loop: Header=BB218_10 Depth=1
	v_and_b32_e32 v19, 7, v19
	v_lshrrev_b32_e32 v52, 3, v54
	s_mov_b32 s42, exec_lo
	v_cmpx_gt_u32_e32 8, v54
; %bb.118:                              ;   in Loop: Header=BB218_10 Depth=1
	s_delay_alu instid0(VALU_DEP_3) | instskip(NEXT) | instid1(VALU_DEP_1)
	v_clz_i32_u32_e32 v52, v19
	v_min_u32_e32 v52, 32, v52
	s_delay_alu instid0(VALU_DEP_1) | instskip(SKIP_1) | instid1(VALU_DEP_2)
	v_subrev_nc_u32_e32 v54, 28, v52
	v_sub_nc_u32_e32 v52, 29, v52
	v_lshlrev_b64 v[54:55], v54, v[19:20]
	s_delay_alu instid0(VALU_DEP_1)
	v_and_b32_e32 v19, 7, v54
; %bb.119:                              ;   in Loop: Header=BB218_10 Depth=1
	s_or_b32 exec_lo, exec_lo, s42
	v_lshlrev_b32_e32 v53, 24, v53
	s_delay_alu instid0(VALU_DEP_2) | instskip(SKIP_1) | instid1(VALU_DEP_3)
	v_lshlrev_b32_e32 v19, 20, v19
	v_lshl_add_u32 v52, v52, 23, 0x3c000000
	v_and_b32_e32 v53, 0x80000000, v53
	s_delay_alu instid0(VALU_DEP_1)
	v_or3_b32 v52, v19, v53, v52
.LBB218_120:                            ;   in Loop: Header=BB218_10 Depth=1
	s_or_b32 exec_lo, exec_lo, s41
.LBB218_121:                            ;   in Loop: Header=BB218_10 Depth=1
	s_delay_alu instid0(SALU_CYCLE_1)
	s_or_b32 exec_lo, exec_lo, s40
.LBB218_122:                            ;   in Loop: Header=BB218_10 Depth=1
	s_delay_alu instid0(SALU_CYCLE_1) | instskip(SKIP_1) | instid1(VALU_DEP_1)
	s_or_b32 exec_lo, exec_lo, s4
	v_add_co_u32 v25, s1, 0x180, v25
	v_add_co_ci_u32_e64 v26, s1, 0, v26, s1
	s_mov_b32 s4, exec_lo
	global_load_u8 v53, v[25:26], off offset:8
	s_waitcnt vmcnt(0)
	v_cmpx_ne_u16_e32 0, v53
	s_cbranch_execz .LBB218_130
; %bb.123:                              ;   in Loop: Header=BB218_10 Depth=1
	v_bfrev_b32_e32 v51, 1
	s_mov_b32 s40, exec_lo
	v_cmpx_ne_u16_e32 0x80, v53
	s_cbranch_execz .LBB218_129
; %bb.124:                              ;   in Loop: Header=BB218_10 Depth=1
	v_and_b32_e32 v19, 0xffff, v53
	v_mov_b32_e32 v51, 0x7f800001
	s_mov_b32 s41, exec_lo
	s_delay_alu instid0(VALU_DEP_2) | instskip(NEXT) | instid1(VALU_DEP_1)
	v_and_b32_e32 v54, 0x7f, v19
	v_cmpx_ne_u32_e32 0x7f, v54
	s_cbranch_execz .LBB218_128
; %bb.125:                              ;   in Loop: Header=BB218_10 Depth=1
	v_and_b32_e32 v19, 7, v19
	v_lshrrev_b32_e32 v51, 3, v54
	s_mov_b32 s42, exec_lo
	v_cmpx_gt_u32_e32 8, v54
; %bb.126:                              ;   in Loop: Header=BB218_10 Depth=1
	s_delay_alu instid0(VALU_DEP_3) | instskip(NEXT) | instid1(VALU_DEP_1)
	v_clz_i32_u32_e32 v51, v19
	v_min_u32_e32 v51, 32, v51
	s_delay_alu instid0(VALU_DEP_1) | instskip(SKIP_1) | instid1(VALU_DEP_2)
	v_subrev_nc_u32_e32 v54, 28, v51
	v_sub_nc_u32_e32 v51, 29, v51
	v_lshlrev_b64 v[54:55], v54, v[19:20]
	s_delay_alu instid0(VALU_DEP_1)
	v_and_b32_e32 v19, 7, v54
; %bb.127:                              ;   in Loop: Header=BB218_10 Depth=1
	s_or_b32 exec_lo, exec_lo, s42
	v_lshlrev_b32_e32 v53, 24, v53
	s_delay_alu instid0(VALU_DEP_2) | instskip(SKIP_1) | instid1(VALU_DEP_3)
	v_lshlrev_b32_e32 v19, 20, v19
	v_lshl_add_u32 v51, v51, 23, 0x3c000000
	v_and_b32_e32 v53, 0x80000000, v53
	s_delay_alu instid0(VALU_DEP_1)
	v_or3_b32 v51, v19, v53, v51
.LBB218_128:                            ;   in Loop: Header=BB218_10 Depth=1
	s_or_b32 exec_lo, exec_lo, s41
.LBB218_129:                            ;   in Loop: Header=BB218_10 Depth=1
	s_delay_alu instid0(SALU_CYCLE_1)
	s_or_b32 exec_lo, exec_lo, s40
.LBB218_130:                            ;   in Loop: Header=BB218_10 Depth=1
	s_delay_alu instid0(SALU_CYCLE_1)
	s_or_b32 exec_lo, exec_lo, s4
	global_load_u8 v25, v[25:26], off offset:12
	v_mov_b32_e32 v19, 0
	s_mov_b32 s4, exec_lo
	s_waitcnt vmcnt(0)
	v_cmpx_ne_u16_e32 0, v25
	s_cbranch_execz .LBB218_138
; %bb.131:                              ;   in Loop: Header=BB218_10 Depth=1
	v_bfrev_b32_e32 v19, 1
	s_mov_b32 s40, exec_lo
	v_cmpx_ne_u16_e32 0x80, v25
	s_cbranch_execz .LBB218_137
; %bb.132:                              ;   in Loop: Header=BB218_10 Depth=1
	v_and_b32_e32 v26, 0xffff, v25
	v_mov_b32_e32 v19, 0x7f800001
	s_mov_b32 s41, exec_lo
	s_delay_alu instid0(VALU_DEP_2) | instskip(NEXT) | instid1(VALU_DEP_1)
	v_and_b32_e32 v53, 0x7f, v26
	v_cmpx_ne_u32_e32 0x7f, v53
	s_cbranch_execz .LBB218_136
; %bb.133:                              ;   in Loop: Header=BB218_10 Depth=1
	v_and_b32_e32 v19, 7, v26
	v_lshrrev_b32_e32 v26, 3, v53
	s_mov_b32 s42, exec_lo
	v_cmpx_gt_u32_e32 8, v53
; %bb.134:                              ;   in Loop: Header=BB218_10 Depth=1
	s_delay_alu instid0(VALU_DEP_3) | instskip(NEXT) | instid1(VALU_DEP_1)
	v_clz_i32_u32_e32 v26, v19
	v_min_u32_e32 v26, 32, v26
	s_delay_alu instid0(VALU_DEP_1) | instskip(SKIP_1) | instid1(VALU_DEP_2)
	v_subrev_nc_u32_e32 v53, 28, v26
	v_sub_nc_u32_e32 v26, 29, v26
	v_lshlrev_b64 v[53:54], v53, v[19:20]
	s_delay_alu instid0(VALU_DEP_1)
	v_and_b32_e32 v19, 7, v53
; %bb.135:                              ;   in Loop: Header=BB218_10 Depth=1
	s_or_b32 exec_lo, exec_lo, s42
	v_lshlrev_b32_e32 v25, 24, v25
	s_delay_alu instid0(VALU_DEP_2) | instskip(SKIP_1) | instid1(VALU_DEP_3)
	v_lshlrev_b32_e32 v19, 20, v19
	v_lshl_add_u32 v26, v26, 23, 0x3c000000
	v_and_b32_e32 v25, 0x80000000, v25
	s_delay_alu instid0(VALU_DEP_1)
	v_or3_b32 v19, v19, v25, v26
.LBB218_136:                            ;   in Loop: Header=BB218_10 Depth=1
	s_or_b32 exec_lo, exec_lo, s41
.LBB218_137:                            ;   in Loop: Header=BB218_10 Depth=1
	s_delay_alu instid0(SALU_CYCLE_1)
	s_or_b32 exec_lo, exec_lo, s40
.LBB218_138:                            ;   in Loop: Header=BB218_10 Depth=1
	s_delay_alu instid0(SALU_CYCLE_1) | instskip(SKIP_4) | instid1(VALU_DEP_3)
	s_or_b32 exec_lo, exec_lo, s4
	s_waitcnt lgkmcnt(0)
	v_dual_mul_f32 v25, s6, v42 :: v_dual_mul_f32 v26, s6, v40
	v_mul_f32_e32 v27, s6, v27
	v_mul_f32_e32 v19, s6, v19
	;; [unrolled: 1-line block ×3, first 2 shown]
	s_delay_alu instid0(VALU_DEP_1) | instskip(SKIP_1) | instid1(VALU_DEP_2)
	v_dual_mul_f32 v40, s6, v41 :: v_dual_fmac_f32 v25, v1, v26
	v_mul_f32_e32 v26, s6, v44
	v_dual_fmac_f32 v25, v3, v40 :: v_dual_mul_f32 v40, s6, v43
	s_delay_alu instid0(VALU_DEP_1) | instskip(NEXT) | instid1(VALU_DEP_1)
	v_fmac_f32_e32 v25, v4, v26
	v_dual_mul_f32 v26, s6, v46 :: v_dual_fmac_f32 v25, v5, v40
	s_delay_alu instid0(VALU_DEP_1) | instskip(SKIP_1) | instid1(VALU_DEP_2)
	v_dual_mul_f32 v40, s6, v45 :: v_dual_fmac_f32 v25, v6, v26
	v_mul_f32_e32 v26, s6, v48
	v_dual_fmac_f32 v25, v7, v40 :: v_dual_mul_f32 v40, s6, v47
	s_delay_alu instid0(VALU_DEP_1) | instskip(NEXT) | instid1(VALU_DEP_1)
	v_fmac_f32_e32 v25, v8, v26
	v_dual_mul_f32 v26, s6, v50 :: v_dual_fmac_f32 v25, v9, v40
	s_delay_alu instid0(VALU_DEP_1) | instskip(SKIP_1) | instid1(VALU_DEP_2)
	v_dual_mul_f32 v40, s6, v49 :: v_dual_fmac_f32 v25, v10, v26
	v_mul_f32_e32 v26, s6, v28
	v_fmac_f32_e32 v25, v11, v40
	s_delay_alu instid0(VALU_DEP_1) | instskip(NEXT) | instid1(VALU_DEP_1)
	v_dual_fmac_f32 v25, v12, v26 :: v_dual_mul_f32 v26, s6, v52
	v_fmac_f32_e32 v25, v13, v27
	v_mul_f32_e32 v27, s6, v51
	s_delay_alu instid0(VALU_DEP_2) | instskip(NEXT) | instid1(VALU_DEP_1)
	v_fmac_f32_e32 v25, v14, v26
	v_fmac_f32_e32 v25, v15, v27
	s_delay_alu instid0(VALU_DEP_1)
	v_fmac_f32_e32 v25, v16, v19
	ds_bpermute_b32 v19, v35, v25
	s_waitcnt lgkmcnt(0)
	v_add_f32_e32 v19, v25, v19
	ds_bpermute_b32 v25, v36, v19
	s_and_saveexec_b32 s4, vcc_lo
	s_cbranch_execz .LBB218_9
; %bb.139:                              ;   in Loop: Header=BB218_10 Depth=1
	s_waitcnt lgkmcnt(0)
	v_add_f32_e32 v19, v19, v25
	v_add_nc_u32_e32 v26, s8, v37
	v_cmp_gt_i32_e64 s1, s15, v37
	s_delay_alu instid0(VALU_DEP_2) | instskip(NEXT) | instid1(VALU_DEP_1)
	v_cvt_f32_i32_e32 v26, v26
	v_mul_f32_e32 v26, s38, v26
	s_delay_alu instid0(VALU_DEP_1) | instskip(NEXT) | instid1(VALU_DEP_1)
	v_cndmask_b32_e64 v25, 0, v26, s0
	v_dual_max_f32 v26, v34, v34 :: v_dual_fmac_f32 v25, s21, v19
	s_delay_alu instid0(VALU_DEP_1) | instskip(SKIP_1) | instid1(VALU_DEP_2)
	v_max_f32_e32 v19, v26, v25
	v_cndmask_b32_e64 v25, 0, v25, s1
	v_cndmask_b32_e64 v34, v34, v19, s1
	ds_store_b32 v38, v25
	s_branch .LBB218_9
.LBB218_140:
	s_or_b32 exec_lo, exec_lo, s9
.LBB218_141:
	s_delay_alu instid0(SALU_CYCLE_1) | instskip(SKIP_3) | instid1(VALU_DEP_3)
	s_or_b32 exec_lo, exec_lo, s7
	v_xor_b32_e32 v1, 16, v31
	v_xor_b32_e32 v3, 8, v31
	v_dual_max_f32 v5, v34, v34 :: v_dual_and_b32 v22, 31, v0
	v_cmp_lt_i32_e32 vcc_lo, v1, v33
	v_cndmask_b32_e32 v1, v31, v1, vcc_lo
	s_delay_alu instid0(VALU_DEP_4) | instskip(SKIP_1) | instid1(VALU_DEP_1)
	v_cmp_lt_i32_e32 vcc_lo, v3, v33
	v_cndmask_b32_e32 v3, v31, v3, vcc_lo
	v_lshlrev_b32_e32 v4, 2, v3
	s_delay_alu instid0(VALU_DEP_4) | instskip(SKIP_3) | instid1(VALU_DEP_1)
	v_lshlrev_b32_e32 v2, 2, v1
	ds_bpermute_b32 v1, v2, v34
	s_waitcnt lgkmcnt(0)
	v_max_f32_e32 v1, v1, v1
	v_max_f32_e32 v1, v5, v1
	v_xor_b32_e32 v5, 4, v31
	ds_bpermute_b32 v3, v4, v1
	v_cmp_lt_i32_e32 vcc_lo, v5, v33
	v_cndmask_b32_e32 v5, v31, v5, vcc_lo
	v_cmp_eq_u32_e32 vcc_lo, 0, v22
	s_delay_alu instid0(VALU_DEP_2) | instskip(SKIP_3) | instid1(VALU_DEP_1)
	v_lshlrev_b32_e32 v7, 2, v5
	v_lshlrev_b32_e32 v5, 2, v29
	s_waitcnt lgkmcnt(0)
	v_max_f32_e32 v3, v3, v3
	v_max_f32_e32 v1, v1, v3
	ds_bpermute_b32 v3, v7, v1
	s_and_saveexec_b32 s0, vcc_lo
	s_cbranch_execz .LBB218_143
; %bb.142:
	s_waitcnt lgkmcnt(0)
	v_max_f32_e32 v3, v3, v3
	v_max_f32_e32 v1, v1, v1
	s_delay_alu instid0(VALU_DEP_1)
	v_max_f32_e32 v1, v1, v3
	ds_store_b32 v5, v1 offset:256
.LBB218_143:
	s_or_b32 exec_lo, exec_lo, s0
	v_cmp_gt_u32_e64 s0, 4, v22
	v_dual_mov_b32 v1, 0xff7fffff :: v_dual_lshlrev_b32 v6, 2, v22
	s_waitcnt lgkmcnt(0)
	s_barrier
	buffer_gl0_inv
	s_and_saveexec_b32 s1, s0
	s_cbranch_execz .LBB218_145
; %bb.144:
	ds_load_b32 v1, v6 offset:256
.LBB218_145:
	s_or_b32 exec_lo, exec_lo, s1
	v_xor_b32_e32 v3, 2, v31
	v_xor_b32_e32 v9, 1, v31
	v_mov_b32_e32 v10, 0
	s_delay_alu instid0(VALU_DEP_3) | instskip(NEXT) | instid1(VALU_DEP_1)
	v_cmp_lt_i32_e64 s1, v3, v33
	v_cndmask_b32_e64 v3, v31, v3, s1
	s_delay_alu instid0(VALU_DEP_4) | instskip(NEXT) | instid1(VALU_DEP_2)
	v_cmp_lt_i32_e64 s1, v9, v33
	v_lshlrev_b32_e32 v8, 2, v3
	s_delay_alu instid0(VALU_DEP_2) | instskip(SKIP_1) | instid1(SALU_CYCLE_1)
	v_cndmask_b32_e64 v9, v31, v9, s1
	s_sub_i32 s1, s27, s20
	s_lshl_b32 s1, s1, 3
	s_waitcnt lgkmcnt(0)
	ds_bpermute_b32 v3, v8, v1
	v_max_f32_e32 v1, v1, v1
	v_lshlrev_b32_e32 v23, 2, v9
	v_lshlrev_b32_e32 v9, 2, v31
	s_add_i32 s1, s1, s33
	s_delay_alu instid0(SALU_CYCLE_1) | instskip(NEXT) | instid1(VALU_DEP_1)
	s_min_i32 s1, s1, s15
	v_and_b32_e32 v9, 0xffffff80, v9
	s_sub_i32 s6, s1, s33
	s_delay_alu instid0(SALU_CYCLE_1) | instskip(SKIP_2) | instid1(VALU_DEP_1)
	v_cmp_gt_i32_e64 s1, s6, v0
	s_waitcnt lgkmcnt(0)
	v_max_f32_e32 v3, v3, v3
	v_max_f32_e32 v1, v1, v3
	ds_bpermute_b32 v3, v23, v1
	s_waitcnt lgkmcnt(0)
	v_max_f32_e32 v3, v3, v3
	s_delay_alu instid0(VALU_DEP_1)
	v_max_f32_e32 v1, v1, v3
	v_lshl_add_u32 v3, v0, 2, 0x120
	ds_bpermute_b32 v1, v9, v1
	s_and_saveexec_b32 s7, s1
	s_cbranch_execz .LBB218_149
; %bb.146:
	v_lshl_add_u32 v11, v0, 2, 0x120
	v_mov_b32_e32 v10, 0
	v_mov_b32_e32 v12, v0
	s_mov_b32 s8, 0
	.p2align	6
.LBB218_147:                            ; =>This Inner Loop Header: Depth=1
	ds_load_b32 v13, v11
	v_add_nc_u32_e32 v12, 0x80, v12
	s_delay_alu instid0(VALU_DEP_1) | instskip(NEXT) | instid1(VALU_DEP_1)
	v_cmp_le_i32_e64 s4, s6, v12
	s_or_b32 s8, s4, s8
	s_waitcnt lgkmcnt(0)
	v_sub_f32_e32 v13, v13, v1
	s_delay_alu instid0(VALU_DEP_1) | instskip(NEXT) | instid1(VALU_DEP_1)
	v_mul_f32_e32 v13, 0x3fb8aa3b, v13
	v_exp_f32_e32 v13, v13
	ds_store_b32 v11, v13
	v_dual_add_f32 v10, v10, v13 :: v_dual_add_nc_u32 v11, 0x200, v11
	s_and_not1_b32 exec_lo, exec_lo, s8
	s_cbranch_execnz .LBB218_147
; %bb.148:
	s_or_b32 exec_lo, exec_lo, s8
.LBB218_149:
	s_delay_alu instid0(SALU_CYCLE_1)
	s_or_b32 exec_lo, exec_lo, s7
	ds_bpermute_b32 v2, v2, v10
	s_waitcnt lgkmcnt(0)
	v_add_f32_e32 v2, v10, v2
	ds_bpermute_b32 v4, v4, v2
	s_waitcnt lgkmcnt(0)
	v_add_f32_e32 v2, v2, v4
	;; [unrolled: 3-line block ×5, first 2 shown]
	s_and_saveexec_b32 s4, vcc_lo
	s_cbranch_execz .LBB218_151
; %bb.150:
	ds_store_b32 v5, v2 offset:272
.LBB218_151:
	s_or_b32 exec_lo, exec_lo, s4
	s_waitcnt lgkmcnt(0)
	s_barrier
	buffer_gl0_inv
	s_and_saveexec_b32 s4, s0
	s_cbranch_execz .LBB218_153
; %bb.152:
	ds_load_b32 v2, v6 offset:272
.LBB218_153:
	s_or_b32 exec_lo, exec_lo, s4
	s_waitcnt lgkmcnt(0)
	ds_bpermute_b32 v4, v8, v2
	s_waitcnt lgkmcnt(0)
	v_add_f32_e32 v2, v2, v4
	ds_bpermute_b32 v4, v23, v2
	s_waitcnt lgkmcnt(0)
	v_add_f32_e32 v2, v2, v4
	ds_bpermute_b32 v2, v9, v2
	s_and_saveexec_b32 s0, s1
	s_cbranch_execz .LBB218_156
; %bb.154:
	s_waitcnt lgkmcnt(0)
	v_add_f32_e32 v4, 0x358637bd, v2
	s_mov_b32 s1, 0
	s_delay_alu instid0(VALU_DEP_1) | instskip(SKIP_1) | instid1(VALU_DEP_2)
	v_div_scale_f32 v5, null, v4, v4, 1.0
	v_div_scale_f32 v8, vcc_lo, 1.0, v4, 1.0
	v_rcp_f32_e32 v6, v5
	s_waitcnt_depctr 0xfff
	v_fma_f32 v7, -v5, v6, 1.0
	s_delay_alu instid0(VALU_DEP_1) | instskip(NEXT) | instid1(VALU_DEP_1)
	v_fmac_f32_e32 v6, v7, v6
	v_mul_f32_e32 v7, v8, v6
	s_delay_alu instid0(VALU_DEP_1) | instskip(NEXT) | instid1(VALU_DEP_1)
	v_fma_f32 v9, -v5, v7, v8
	v_fmac_f32_e32 v7, v9, v6
	s_delay_alu instid0(VALU_DEP_1) | instskip(NEXT) | instid1(VALU_DEP_1)
	v_fma_f32 v5, -v5, v7, v8
	v_div_fmas_f32 v5, v5, v6, v7
	s_delay_alu instid0(VALU_DEP_1)
	v_div_fixup_f32 v4, v5, v4, 1.0
	v_mov_b32_e32 v5, v0
.LBB218_155:                            ; =>This Inner Loop Header: Depth=1
	ds_load_b32 v6, v3
	s_waitcnt lgkmcnt(0)
	v_dual_mul_f32 v6, v4, v6 :: v_dual_add_nc_u32 v5, 0x80, v5
	s_delay_alu instid0(VALU_DEP_1) | instskip(SKIP_3) | instid1(SALU_CYCLE_1)
	v_cmp_le_i32_e32 vcc_lo, s6, v5
	ds_store_b32 v3, v6
	v_add_nc_u32_e32 v3, 0x200, v3
	s_or_b32 s1, vcc_lo, s1
	s_and_not1_b32 exec_lo, exec_lo, s1
	s_cbranch_execnz .LBB218_155
.LBB218_156:
	s_or_b32 exec_lo, exec_lo, s0
	s_mul_i32 s0, s13, s14
	s_waitcnt lgkmcnt(0)
	s_mul_i32 s6, s0, s25
	s_mov_b32 s0, exec_lo
	s_barrier
	buffer_gl0_inv
	v_cmpx_eq_u32_e32 0, v0
	s_cbranch_execz .LBB218_158
; %bb.157:
	s_ashr_i32 s7, s6, 31
	s_mul_i32 s38, s13, s26
	s_lshl_b64 s[8:9], s[6:7], 2
	v_mov_b32_e32 v3, 0
	s_add_u32 s1, s18, s8
	s_addc_u32 s4, s19, s9
	s_ashr_i32 s39, s38, 31
	s_delay_alu instid0(SALU_CYCLE_1) | instskip(NEXT) | instid1(SALU_CYCLE_1)
	s_lshl_b64 s[18:19], s[38:39], 2
	s_add_u32 s1, s1, s18
	s_addc_u32 s4, s4, s19
	s_ashr_i32 s25, s24, 31
	s_delay_alu instid0(SALU_CYCLE_1) | instskip(NEXT) | instid1(SALU_CYCLE_1)
	s_lshl_b64 s[24:25], s[24:25], 2
	s_add_u32 s38, s1, s24
	s_addc_u32 s39, s4, s25
	s_add_u32 s1, s16, s8
	s_addc_u32 s4, s17, s9
	;; [unrolled: 2-line block ×4, first 2 shown]
	s_clause 0x1
	global_store_b32 v3, v1, s[38:39]
	global_store_b32 v3, v2, s[8:9]
.LBB218_158:
	s_or_b32 exec_lo, exec_lo, s0
	v_dual_mov_b32 v25, 0 :: v_dual_and_b32 v24, 1, v0
	v_dual_mov_b32 v26, 0 :: v_dual_mov_b32 v27, 0
	v_mov_b32_e32 v28, 0
	s_mov_b32 s4, 0
	s_and_saveexec_b32 s1, s3
	s_cbranch_execz .LBB218_298
; %bb.159:
	s_load_b32 s3, s[10:11], 0x0
	v_dual_mov_b32 v28, 0 :: v_dual_lshlrev_b32 v7, 4, v24
	v_dual_mov_b32 v27, 0 :: v_dual_and_b32 v4, 0x7c, v30
	s_ashr_i32 s0, s37, 31
	s_mov_b32 s7, s5
	v_lshlrev_b64 v[1:2], 2, v[17:18]
	s_add_u32 s5, s34, s37
	v_lshl_or_b32 v9, v29, 5, v7
	s_addc_u32 s0, s35, s0
	s_lshl_b64 s[8:9], s[30:31], 2
	v_add_co_u32 v7, s5, s5, v4
	v_dual_mov_b32 v6, 0 :: v_dual_and_b32 v3, 4, v30
	v_lshl_add_u32 v5, v29, 3, s33
	s_add_i32 s36, s36, -1
	v_add_co_ci_u32_e64 v8, null, s0, 0, s5
	s_add_u32 s0, s28, s8
	v_dual_mov_b32 v26, 0 :: v_dual_add_nc_u32 v31, 0x120, v9
	s_addc_u32 s5, s29, s9
	v_add_co_u32 v9, vcc_lo, s0, v1
	v_add3_u32 v30, v5, v3, 3
	v_add_co_ci_u32_e32 v10, vcc_lo, s5, v2, vcc_lo
	v_mov_b32_e32 v25, 0
	s_waitcnt lgkmcnt(0)
	s_mov_b32 s10, s3
	s_brev_b32 s5, 1
	s_mov_b32 s9, 0x7f800001
	s_mov_b32 s11, s4
	s_branch .LBB218_161
.LBB218_160:                            ;   in Loop: Header=BB218_161 Depth=1
	s_or_b32 exec_lo, exec_lo, s0
	s_waitcnt lgkmcnt(0)
	v_mul_f32_e32 v16, v2, v44
	v_mul_f32_e32 v15, v2, v42
	v_add_co_u32 v9, s0, v9, 16
	v_add_nc_u32_e32 v30, 32, v30
	s_delay_alu instid0(VALU_DEP_4) | instskip(NEXT) | instid1(VALU_DEP_4)
	v_fmac_f32_e32 v16, v1, v43
	v_dual_mul_f32 v14, v2, v35 :: v_dual_fmac_f32 v15, v1, v41
	v_mul_f32_e32 v2, v2, v13
	v_add_co_ci_u32_e64 v10, s0, 0, v10, s0
	s_delay_alu instid0(VALU_DEP_3) | instskip(NEXT) | instid1(VALU_DEP_4)
	v_dual_fmac_f32 v14, v1, v34 :: v_dual_add_nc_u32 v17, 4, v17
	v_fmac_f32_e32 v15, v3, v40
	v_dual_fmac_f32 v16, v3, v21 :: v_dual_add_nc_u32 v31, 0x80, v31
	s_delay_alu instid0(VALU_DEP_3) | instskip(NEXT) | instid1(VALU_DEP_3)
	v_cmp_le_i32_e32 vcc_lo, s27, v17
	v_dual_fmac_f32 v15, v4, v39 :: v_dual_fmac_f32 v2, v1, v12
	s_delay_alu instid0(VALU_DEP_3) | instskip(SKIP_1) | instid1(VALU_DEP_2)
	v_fmac_f32_e32 v16, v4, v20
	s_or_b32 s11, vcc_lo, s11
	v_add_f32_e32 v27, v27, v15
	s_delay_alu instid0(VALU_DEP_3) | instskip(NEXT) | instid1(VALU_DEP_3)
	v_fmac_f32_e32 v2, v3, v11
	v_add_f32_e32 v26, v26, v16
	s_delay_alu instid0(VALU_DEP_2) | instskip(NEXT) | instid1(VALU_DEP_1)
	v_fmac_f32_e32 v2, v4, v5
	v_dual_fmac_f32 v14, v3, v33 :: v_dual_add_f32 v25, v25, v2
	s_delay_alu instid0(VALU_DEP_1) | instskip(NEXT) | instid1(VALU_DEP_1)
	v_fmac_f32_e32 v14, v4, v32
	v_add_f32_e32 v28, v28, v14
	s_and_not1_b32 exec_lo, exec_lo, s11
	s_cbranch_execz .LBB218_297
.LBB218_161:                            ; =>This Inner Loop Header: Depth=1
	global_load_b32 v1, v[9:10], off
	v_mov_b32_e32 v15, 0
	s_mov_b32 s0, exec_lo
	s_waitcnt vmcnt(0)
	v_mad_i64_i32 v[11:12], null, v1, s7, v[7:8]
	ds_load_b128 v[1:4], v31
	global_load_b32 v32, v[11:12], off
	s_waitcnt vmcnt(0)
	v_dual_mov_b32 v16, 0 :: v_dual_and_b32 v5, 0xff, v32
	s_delay_alu instid0(VALU_DEP_1) | instskip(NEXT) | instid1(VALU_DEP_2)
	v_dual_mov_b32 v13, v15 :: v_dual_mov_b32 v14, v16
	v_cmpx_ne_u16_e32 0, v5
	s_cbranch_execz .LBB218_169
; %bb.162:                              ;   in Loop: Header=BB218_161 Depth=1
	v_bfrev_b32_e32 v13, 1
	v_mov_b32_e32 v14, 0
	s_mov_b32 s8, exec_lo
	v_cmpx_ne_u16_e32 0x80, v5
	s_cbranch_execz .LBB218_168
; %bb.163:                              ;   in Loop: Header=BB218_161 Depth=1
	v_mov_b32_e32 v13, 0x7f800001
	v_and_b32_e32 v18, 0x7f, v32
	v_mov_b32_e32 v14, 0
	s_mov_b32 s14, exec_lo
	s_delay_alu instid0(VALU_DEP_2)
	v_cmpx_ne_u32_e32 0x7f, v18
	s_cbranch_execz .LBB218_167
; %bb.164:                              ;   in Loop: Header=BB218_161 Depth=1
	v_and_b32_e32 v5, 7, v32
	v_lshrrev_b32_e32 v13, 3, v18
	s_mov_b32 s16, exec_lo
	v_cmpx_gt_u32_e32 8, v18
; %bb.165:                              ;   in Loop: Header=BB218_161 Depth=1
	s_delay_alu instid0(VALU_DEP_3) | instskip(NEXT) | instid1(VALU_DEP_1)
	v_clz_i32_u32_e32 v13, v5
	v_min_u32_e32 v13, 32, v13
	s_delay_alu instid0(VALU_DEP_1) | instskip(SKIP_1) | instid1(VALU_DEP_2)
	v_subrev_nc_u32_e32 v14, 28, v13
	v_sub_nc_u32_e32 v13, 29, v13
	v_lshlrev_b64 v[18:19], v14, v[5:6]
	s_delay_alu instid0(VALU_DEP_1)
	v_and_b32_e32 v5, 7, v18
; %bb.166:                              ;   in Loop: Header=BB218_161 Depth=1
	s_or_b32 exec_lo, exec_lo, s16
	v_lshlrev_b32_e32 v14, 24, v32
	s_delay_alu instid0(VALU_DEP_2) | instskip(SKIP_1) | instid1(VALU_DEP_3)
	v_lshlrev_b32_e32 v5, 20, v5
	v_lshl_add_u32 v13, v13, 23, 0x3c000000
	v_and_b32_e32 v14, 0x80000000, v14
	s_delay_alu instid0(VALU_DEP_1) | instskip(NEXT) | instid1(VALU_DEP_1)
	v_or3_b32 v5, v5, v14, v13
	v_dual_mov_b32 v14, v6 :: v_dual_mov_b32 v13, v5
.LBB218_167:                            ;   in Loop: Header=BB218_161 Depth=1
	s_or_b32 exec_lo, exec_lo, s14
.LBB218_168:                            ;   in Loop: Header=BB218_161 Depth=1
	s_delay_alu instid0(SALU_CYCLE_1)
	s_or_b32 exec_lo, exec_lo, s8
.LBB218_169:                            ;   in Loop: Header=BB218_161 Depth=1
	s_delay_alu instid0(SALU_CYCLE_1) | instskip(SKIP_2) | instid1(VALU_DEP_1)
	s_or_b32 exec_lo, exec_lo, s0
	v_lshrrev_b16 v5, 8, v32
	s_mov_b32 s0, exec_lo
	v_cmpx_ne_u16_e32 0, v5
	s_cbranch_execz .LBB218_177
; %bb.170:                              ;   in Loop: Header=BB218_161 Depth=1
	v_dual_mov_b32 v16, s5 :: v_dual_mov_b32 v15, s4
	s_mov_b32 s14, exec_lo
	v_cmpx_ne_u16_e32 0x80, v5
	s_cbranch_execz .LBB218_176
; %bb.171:                              ;   in Loop: Header=BB218_161 Depth=1
	s_mov_b32 s8, s4
	v_dual_mov_b32 v16, s9 :: v_dual_and_b32 v5, 0xffff, v5
	v_mov_b32_e32 v15, s8
	s_mov_b32 s8, exec_lo
	s_delay_alu instid0(VALU_DEP_2) | instskip(NEXT) | instid1(VALU_DEP_1)
	v_and_b32_e32 v18, 0x7f, v5
	v_cmpx_ne_u32_e32 0x7f, v18
	s_cbranch_execz .LBB218_175
; %bb.172:                              ;   in Loop: Header=BB218_161 Depth=1
	v_and_b32_e32 v5, 7, v5
	v_lshrrev_b32_e32 v15, 3, v18
	s_mov_b32 s16, exec_lo
	v_cmpx_gt_u32_e32 8, v18
; %bb.173:                              ;   in Loop: Header=BB218_161 Depth=1
	s_delay_alu instid0(VALU_DEP_3) | instskip(NEXT) | instid1(VALU_DEP_1)
	v_clz_i32_u32_e32 v15, v5
	v_min_u32_e32 v15, 32, v15
	s_delay_alu instid0(VALU_DEP_1) | instskip(SKIP_1) | instid1(VALU_DEP_2)
	v_subrev_nc_u32_e32 v16, 28, v15
	v_sub_nc_u32_e32 v15, 29, v15
	v_lshlrev_b64 v[18:19], v16, v[5:6]
	s_delay_alu instid0(VALU_DEP_1)
	v_and_b32_e32 v5, 7, v18
; %bb.174:                              ;   in Loop: Header=BB218_161 Depth=1
	s_or_b32 exec_lo, exec_lo, s16
	v_lshlrev_b32_e32 v16, 16, v32
	s_delay_alu instid0(VALU_DEP_2) | instskip(SKIP_1) | instid1(VALU_DEP_3)
	v_lshlrev_b32_e32 v5, 20, v5
	v_lshl_add_u32 v15, v15, 23, 0x3c000000
	v_and_b32_e32 v16, 0x80000000, v16
	s_delay_alu instid0(VALU_DEP_1)
	v_or3_b32 v16, v5, v16, v15
	v_mov_b32_e32 v15, v6
.LBB218_175:                            ;   in Loop: Header=BB218_161 Depth=1
	s_or_b32 exec_lo, exec_lo, s8
.LBB218_176:                            ;   in Loop: Header=BB218_161 Depth=1
	s_delay_alu instid0(SALU_CYCLE_1)
	s_or_b32 exec_lo, exec_lo, s14
.LBB218_177:                            ;   in Loop: Header=BB218_161 Depth=1
	s_delay_alu instid0(SALU_CYCLE_1) | instskip(SKIP_3) | instid1(VALU_DEP_2)
	s_or_b32 exec_lo, exec_lo, s0
	v_lshrrev_b32_e32 v33, 16, v32
	v_mov_b32_e32 v20, 0
	v_mov_b32_e32 v21, 0
	;; [unrolled: 1-line block ×3, first 2 shown]
	s_mov_b32 s0, exec_lo
	v_and_b32_e32 v5, 0xff, v33
	s_delay_alu instid0(VALU_DEP_3) | instskip(NEXT) | instid1(VALU_DEP_2)
	v_mov_b32_e32 v19, v21
	v_cmpx_ne_u16_e32 0, v5
	s_cbranch_execz .LBB218_185
; %bb.178:                              ;   in Loop: Header=BB218_161 Depth=1
	v_bfrev_b32_e32 v18, 1
	v_mov_b32_e32 v19, 0
	s_mov_b32 s8, exec_lo
	v_cmpx_ne_u16_e32 0x80, v5
	s_cbranch_execz .LBB218_184
; %bb.179:                              ;   in Loop: Header=BB218_161 Depth=1
	v_mov_b32_e32 v18, 0x7f800001
	v_bfe_u32 v34, v32, 16, 7
	v_mov_b32_e32 v19, 0
	s_mov_b32 s14, exec_lo
	s_delay_alu instid0(VALU_DEP_2)
	v_cmpx_ne_u32_e32 0x7f, v34
	s_cbranch_execz .LBB218_183
; %bb.180:                              ;   in Loop: Header=BB218_161 Depth=1
	v_and_b32_e32 v5, 7, v33
	v_lshrrev_b32_e32 v18, 3, v34
	s_mov_b32 s16, exec_lo
	v_cmpx_gt_u32_e32 8, v34
; %bb.181:                              ;   in Loop: Header=BB218_161 Depth=1
	s_delay_alu instid0(VALU_DEP_3) | instskip(NEXT) | instid1(VALU_DEP_1)
	v_clz_i32_u32_e32 v18, v5
	v_min_u32_e32 v18, 32, v18
	s_delay_alu instid0(VALU_DEP_1) | instskip(SKIP_1) | instid1(VALU_DEP_2)
	v_subrev_nc_u32_e32 v19, 28, v18
	v_sub_nc_u32_e32 v18, 29, v18
	v_lshlrev_b64 v[34:35], v19, v[5:6]
	s_delay_alu instid0(VALU_DEP_1)
	v_and_b32_e32 v5, 7, v34
; %bb.182:                              ;   in Loop: Header=BB218_161 Depth=1
	s_or_b32 exec_lo, exec_lo, s16
	v_lshlrev_b32_e32 v19, 24, v33
	s_delay_alu instid0(VALU_DEP_2) | instskip(SKIP_1) | instid1(VALU_DEP_3)
	v_lshlrev_b32_e32 v5, 20, v5
	v_lshl_add_u32 v18, v18, 23, 0x3c000000
	v_and_b32_e32 v19, 0x80000000, v19
	s_delay_alu instid0(VALU_DEP_1) | instskip(NEXT) | instid1(VALU_DEP_1)
	v_or3_b32 v5, v5, v19, v18
	v_dual_mov_b32 v19, v6 :: v_dual_mov_b32 v18, v5
.LBB218_183:                            ;   in Loop: Header=BB218_161 Depth=1
	s_or_b32 exec_lo, exec_lo, s14
.LBB218_184:                            ;   in Loop: Header=BB218_161 Depth=1
	s_delay_alu instid0(SALU_CYCLE_1)
	s_or_b32 exec_lo, exec_lo, s8
.LBB218_185:                            ;   in Loop: Header=BB218_161 Depth=1
	s_delay_alu instid0(SALU_CYCLE_1) | instskip(NEXT) | instid1(SALU_CYCLE_1)
	s_or_b32 exec_lo, exec_lo, s0
	s_mov_b32 s0, exec_lo
	v_cmpx_lt_u32_e32 0xffffff, v32
	s_cbranch_execz .LBB218_193
; %bb.186:                              ;   in Loop: Header=BB218_161 Depth=1
	v_lshrrev_b32_e32 v33, 24, v32
	v_dual_mov_b32 v21, s5 :: v_dual_mov_b32 v20, s4
	s_mov_b32 s14, exec_lo
	s_delay_alu instid0(VALU_DEP_2)
	v_cmpx_ne_u32_e32 0x80, v33
	s_cbranch_execz .LBB218_192
; %bb.187:                              ;   in Loop: Header=BB218_161 Depth=1
	s_mov_b32 s8, s4
	v_bfe_u32 v32, v32, 24, 7
	v_dual_mov_b32 v21, s9 :: v_dual_mov_b32 v20, s8
	s_mov_b32 s8, exec_lo
	s_delay_alu instid0(VALU_DEP_2)
	v_cmpx_ne_u32_e32 0x7f, v32
	s_cbranch_execz .LBB218_191
; %bb.188:                              ;   in Loop: Header=BB218_161 Depth=1
	v_and_b32_e32 v5, 7, v33
	v_lshrrev_b32_e32 v20, 3, v32
	s_mov_b32 s16, exec_lo
	v_cmpx_gt_u32_e32 8, v32
; %bb.189:                              ;   in Loop: Header=BB218_161 Depth=1
	s_delay_alu instid0(VALU_DEP_3) | instskip(NEXT) | instid1(VALU_DEP_1)
	v_clz_i32_u32_e32 v20, v5
	v_min_u32_e32 v20, 32, v20
	s_delay_alu instid0(VALU_DEP_1) | instskip(SKIP_1) | instid1(VALU_DEP_2)
	v_subrev_nc_u32_e32 v21, 28, v20
	v_sub_nc_u32_e32 v20, 29, v20
	v_lshlrev_b64 v[34:35], v21, v[5:6]
	s_delay_alu instid0(VALU_DEP_1)
	v_and_b32_e32 v5, 7, v34
; %bb.190:                              ;   in Loop: Header=BB218_161 Depth=1
	s_or_b32 exec_lo, exec_lo, s16
	v_lshlrev_b32_e32 v21, 24, v33
	s_delay_alu instid0(VALU_DEP_2) | instskip(SKIP_1) | instid1(VALU_DEP_3)
	v_lshlrev_b32_e32 v5, 20, v5
	v_lshl_add_u32 v20, v20, 23, 0x3c000000
	v_and_b32_e32 v21, 0x80000000, v21
	s_delay_alu instid0(VALU_DEP_1)
	v_or3_b32 v21, v5, v21, v20
	v_mov_b32_e32 v20, v6
.LBB218_191:                            ;   in Loop: Header=BB218_161 Depth=1
	s_or_b32 exec_lo, exec_lo, s8
.LBB218_192:                            ;   in Loop: Header=BB218_161 Depth=1
	s_delay_alu instid0(SALU_CYCLE_1)
	s_or_b32 exec_lo, exec_lo, s14
.LBB218_193:                            ;   in Loop: Header=BB218_161 Depth=1
	s_delay_alu instid0(SALU_CYCLE_1) | instskip(SKIP_4) | instid1(VALU_DEP_4)
	s_or_b32 exec_lo, exec_lo, s0
	v_or_b32_e32 v5, v16, v14
	v_or_b32_e32 v13, v15, v13
	;; [unrolled: 1-line block ×4, first 2 shown]
	v_dual_mul_f32 v35, s10, v5 :: v_dual_add_nc_u32 v36, -3, v30
	v_cmp_eq_u32_e32 vcc_lo, s36, v17
	s_delay_alu instid0(VALU_DEP_3)
	v_dual_mul_f32 v34, s3, v13 :: v_dual_mul_f32 v33, s3, v15
	v_mul_f32_e32 v32, s10, v14
	v_add_nc_u32_e32 v38, -2, v30
	v_add_nc_u32_e32 v37, -1, v30
	s_and_saveexec_b32 s8, vcc_lo
; %bb.194:                              ;   in Loop: Header=BB218_161 Depth=1
	v_cmp_gt_i32_e64 s0, s15, v36
	s_delay_alu instid0(VALU_DEP_1) | instskip(SKIP_1) | instid1(VALU_DEP_1)
	v_cndmask_b32_e64 v34, 0, v34, s0
	v_cmp_gt_i32_e64 s0, s15, v38
	v_cndmask_b32_e64 v35, 0, v35, s0
	v_cmp_gt_i32_e64 s0, s15, v37
	s_delay_alu instid0(VALU_DEP_1) | instskip(SKIP_1) | instid1(VALU_DEP_1)
	v_cndmask_b32_e64 v33, 0, v33, s0
	v_cmp_gt_i32_e64 s0, s15, v30
	v_cndmask_b32_e64 v32, 0, v32, s0
; %bb.195:                              ;   in Loop: Header=BB218_161 Depth=1
	s_or_b32 exec_lo, exec_lo, s8
	global_load_b32 v39, v[11:12], off offset:128
	v_mov_b32_e32 v15, 0
	v_mov_b32_e32 v16, 0
	s_mov_b32 s8, exec_lo
	s_waitcnt vmcnt(0)
	v_and_b32_e32 v5, 0xff, v39
	s_delay_alu instid0(VALU_DEP_2) | instskip(NEXT) | instid1(VALU_DEP_2)
	v_dual_mov_b32 v13, v15 :: v_dual_mov_b32 v14, v16
	v_cmpx_ne_u16_e32 0, v5
	s_cbranch_execz .LBB218_203
; %bb.196:                              ;   in Loop: Header=BB218_161 Depth=1
	v_bfrev_b32_e32 v13, 1
	v_mov_b32_e32 v14, 0
	s_mov_b32 s14, exec_lo
	v_cmpx_ne_u16_e32 0x80, v5
	s_cbranch_execz .LBB218_202
; %bb.197:                              ;   in Loop: Header=BB218_161 Depth=1
	v_mov_b32_e32 v13, 0x7f800001
	v_and_b32_e32 v18, 0x7f, v39
	v_mov_b32_e32 v14, 0
	s_mov_b32 s16, exec_lo
	s_delay_alu instid0(VALU_DEP_2)
	v_cmpx_ne_u32_e32 0x7f, v18
	s_cbranch_execz .LBB218_201
; %bb.198:                              ;   in Loop: Header=BB218_161 Depth=1
	v_and_b32_e32 v5, 7, v39
	v_lshrrev_b32_e32 v13, 3, v18
	s_mov_b32 s17, exec_lo
	v_cmpx_gt_u32_e32 8, v18
; %bb.199:                              ;   in Loop: Header=BB218_161 Depth=1
	s_delay_alu instid0(VALU_DEP_3) | instskip(NEXT) | instid1(VALU_DEP_1)
	v_clz_i32_u32_e32 v13, v5
	v_min_u32_e32 v13, 32, v13
	s_delay_alu instid0(VALU_DEP_1) | instskip(SKIP_1) | instid1(VALU_DEP_2)
	v_subrev_nc_u32_e32 v14, 28, v13
	v_sub_nc_u32_e32 v13, 29, v13
	v_lshlrev_b64 v[18:19], v14, v[5:6]
	s_delay_alu instid0(VALU_DEP_1)
	v_and_b32_e32 v5, 7, v18
; %bb.200:                              ;   in Loop: Header=BB218_161 Depth=1
	s_or_b32 exec_lo, exec_lo, s17
	v_lshlrev_b32_e32 v14, 24, v39
	s_delay_alu instid0(VALU_DEP_2) | instskip(SKIP_1) | instid1(VALU_DEP_3)
	v_lshlrev_b32_e32 v5, 20, v5
	v_lshl_add_u32 v13, v13, 23, 0x3c000000
	v_and_b32_e32 v14, 0x80000000, v14
	s_delay_alu instid0(VALU_DEP_1) | instskip(NEXT) | instid1(VALU_DEP_1)
	v_or3_b32 v5, v5, v14, v13
	v_dual_mov_b32 v14, v6 :: v_dual_mov_b32 v13, v5
.LBB218_201:                            ;   in Loop: Header=BB218_161 Depth=1
	s_or_b32 exec_lo, exec_lo, s16
.LBB218_202:                            ;   in Loop: Header=BB218_161 Depth=1
	s_delay_alu instid0(SALU_CYCLE_1)
	s_or_b32 exec_lo, exec_lo, s14
.LBB218_203:                            ;   in Loop: Header=BB218_161 Depth=1
	s_delay_alu instid0(SALU_CYCLE_1) | instskip(SKIP_2) | instid1(VALU_DEP_1)
	s_or_b32 exec_lo, exec_lo, s8
	v_lshrrev_b16 v5, 8, v39
	s_mov_b32 s14, exec_lo
	v_cmpx_ne_u16_e32 0, v5
	s_cbranch_execz .LBB218_211
; %bb.204:                              ;   in Loop: Header=BB218_161 Depth=1
	v_dual_mov_b32 v16, s5 :: v_dual_mov_b32 v15, s4
	s_mov_b32 s16, exec_lo
	v_cmpx_ne_u16_e32 0x80, v5
	s_cbranch_execz .LBB218_210
; %bb.205:                              ;   in Loop: Header=BB218_161 Depth=1
	s_mov_b32 s8, s4
	v_dual_mov_b32 v16, s9 :: v_dual_and_b32 v5, 0xffff, v5
	v_mov_b32_e32 v15, s8
	s_mov_b32 s8, exec_lo
	s_delay_alu instid0(VALU_DEP_2) | instskip(NEXT) | instid1(VALU_DEP_1)
	v_and_b32_e32 v18, 0x7f, v5
	v_cmpx_ne_u32_e32 0x7f, v18
	s_cbranch_execz .LBB218_209
; %bb.206:                              ;   in Loop: Header=BB218_161 Depth=1
	v_and_b32_e32 v5, 7, v5
	v_lshrrev_b32_e32 v15, 3, v18
	s_mov_b32 s17, exec_lo
	v_cmpx_gt_u32_e32 8, v18
; %bb.207:                              ;   in Loop: Header=BB218_161 Depth=1
	s_delay_alu instid0(VALU_DEP_3) | instskip(NEXT) | instid1(VALU_DEP_1)
	v_clz_i32_u32_e32 v15, v5
	v_min_u32_e32 v15, 32, v15
	s_delay_alu instid0(VALU_DEP_1) | instskip(SKIP_1) | instid1(VALU_DEP_2)
	v_subrev_nc_u32_e32 v16, 28, v15
	v_sub_nc_u32_e32 v15, 29, v15
	v_lshlrev_b64 v[18:19], v16, v[5:6]
	s_delay_alu instid0(VALU_DEP_1)
	v_and_b32_e32 v5, 7, v18
; %bb.208:                              ;   in Loop: Header=BB218_161 Depth=1
	s_or_b32 exec_lo, exec_lo, s17
	v_lshlrev_b32_e32 v16, 16, v39
	s_delay_alu instid0(VALU_DEP_2) | instskip(SKIP_1) | instid1(VALU_DEP_3)
	v_lshlrev_b32_e32 v5, 20, v5
	v_lshl_add_u32 v15, v15, 23, 0x3c000000
	v_and_b32_e32 v16, 0x80000000, v16
	s_delay_alu instid0(VALU_DEP_1)
	v_or3_b32 v16, v5, v16, v15
	v_mov_b32_e32 v15, v6
.LBB218_209:                            ;   in Loop: Header=BB218_161 Depth=1
	s_or_b32 exec_lo, exec_lo, s8
.LBB218_210:                            ;   in Loop: Header=BB218_161 Depth=1
	s_delay_alu instid0(SALU_CYCLE_1)
	s_or_b32 exec_lo, exec_lo, s16
.LBB218_211:                            ;   in Loop: Header=BB218_161 Depth=1
	s_delay_alu instid0(SALU_CYCLE_1) | instskip(SKIP_3) | instid1(VALU_DEP_2)
	s_or_b32 exec_lo, exec_lo, s14
	v_lshrrev_b32_e32 v40, 16, v39
	v_mov_b32_e32 v20, 0
	v_mov_b32_e32 v21, 0
	;; [unrolled: 1-line block ×3, first 2 shown]
	s_mov_b32 s8, exec_lo
	v_and_b32_e32 v5, 0xff, v40
	s_delay_alu instid0(VALU_DEP_3) | instskip(NEXT) | instid1(VALU_DEP_2)
	v_mov_b32_e32 v19, v21
	v_cmpx_ne_u16_e32 0, v5
	s_cbranch_execz .LBB218_219
; %bb.212:                              ;   in Loop: Header=BB218_161 Depth=1
	v_bfrev_b32_e32 v18, 1
	v_mov_b32_e32 v19, 0
	s_mov_b32 s14, exec_lo
	v_cmpx_ne_u16_e32 0x80, v5
	s_cbranch_execz .LBB218_218
; %bb.213:                              ;   in Loop: Header=BB218_161 Depth=1
	v_mov_b32_e32 v18, 0x7f800001
	v_bfe_u32 v41, v39, 16, 7
	v_mov_b32_e32 v19, 0
	s_mov_b32 s16, exec_lo
	s_delay_alu instid0(VALU_DEP_2)
	v_cmpx_ne_u32_e32 0x7f, v41
	s_cbranch_execz .LBB218_217
; %bb.214:                              ;   in Loop: Header=BB218_161 Depth=1
	v_and_b32_e32 v5, 7, v40
	v_lshrrev_b32_e32 v18, 3, v41
	s_mov_b32 s17, exec_lo
	v_cmpx_gt_u32_e32 8, v41
; %bb.215:                              ;   in Loop: Header=BB218_161 Depth=1
	s_delay_alu instid0(VALU_DEP_3) | instskip(NEXT) | instid1(VALU_DEP_1)
	v_clz_i32_u32_e32 v18, v5
	v_min_u32_e32 v18, 32, v18
	s_delay_alu instid0(VALU_DEP_1) | instskip(SKIP_1) | instid1(VALU_DEP_2)
	v_subrev_nc_u32_e32 v19, 28, v18
	v_sub_nc_u32_e32 v18, 29, v18
	v_lshlrev_b64 v[41:42], v19, v[5:6]
	s_delay_alu instid0(VALU_DEP_1)
	v_and_b32_e32 v5, 7, v41
; %bb.216:                              ;   in Loop: Header=BB218_161 Depth=1
	s_or_b32 exec_lo, exec_lo, s17
	v_lshlrev_b32_e32 v19, 24, v40
	s_delay_alu instid0(VALU_DEP_2) | instskip(SKIP_1) | instid1(VALU_DEP_3)
	v_lshlrev_b32_e32 v5, 20, v5
	v_lshl_add_u32 v18, v18, 23, 0x3c000000
	v_and_b32_e32 v19, 0x80000000, v19
	s_delay_alu instid0(VALU_DEP_1) | instskip(NEXT) | instid1(VALU_DEP_1)
	v_or3_b32 v5, v5, v19, v18
	v_dual_mov_b32 v19, v6 :: v_dual_mov_b32 v18, v5
.LBB218_217:                            ;   in Loop: Header=BB218_161 Depth=1
	s_or_b32 exec_lo, exec_lo, s16
.LBB218_218:                            ;   in Loop: Header=BB218_161 Depth=1
	s_delay_alu instid0(SALU_CYCLE_1)
	s_or_b32 exec_lo, exec_lo, s14
.LBB218_219:                            ;   in Loop: Header=BB218_161 Depth=1
	s_delay_alu instid0(SALU_CYCLE_1) | instskip(NEXT) | instid1(SALU_CYCLE_1)
	s_or_b32 exec_lo, exec_lo, s8
	s_mov_b32 s14, exec_lo
	v_cmpx_lt_u32_e32 0xffffff, v39
	s_cbranch_execz .LBB218_227
; %bb.220:                              ;   in Loop: Header=BB218_161 Depth=1
	v_lshrrev_b32_e32 v40, 24, v39
	v_dual_mov_b32 v21, s5 :: v_dual_mov_b32 v20, s4
	s_mov_b32 s16, exec_lo
	s_delay_alu instid0(VALU_DEP_2)
	v_cmpx_ne_u32_e32 0x80, v40
	s_cbranch_execz .LBB218_226
; %bb.221:                              ;   in Loop: Header=BB218_161 Depth=1
	s_mov_b32 s8, s4
	v_bfe_u32 v39, v39, 24, 7
	v_dual_mov_b32 v21, s9 :: v_dual_mov_b32 v20, s8
	s_mov_b32 s8, exec_lo
	s_delay_alu instid0(VALU_DEP_2)
	v_cmpx_ne_u32_e32 0x7f, v39
	s_cbranch_execz .LBB218_225
; %bb.222:                              ;   in Loop: Header=BB218_161 Depth=1
	v_and_b32_e32 v5, 7, v40
	v_lshrrev_b32_e32 v20, 3, v39
	s_mov_b32 s17, exec_lo
	v_cmpx_gt_u32_e32 8, v39
; %bb.223:                              ;   in Loop: Header=BB218_161 Depth=1
	s_delay_alu instid0(VALU_DEP_3) | instskip(NEXT) | instid1(VALU_DEP_1)
	v_clz_i32_u32_e32 v20, v5
	v_min_u32_e32 v20, 32, v20
	s_delay_alu instid0(VALU_DEP_1) | instskip(SKIP_1) | instid1(VALU_DEP_2)
	v_subrev_nc_u32_e32 v21, 28, v20
	v_sub_nc_u32_e32 v20, 29, v20
	v_lshlrev_b64 v[41:42], v21, v[5:6]
	s_delay_alu instid0(VALU_DEP_1)
	v_and_b32_e32 v5, 7, v41
; %bb.224:                              ;   in Loop: Header=BB218_161 Depth=1
	s_or_b32 exec_lo, exec_lo, s17
	v_lshlrev_b32_e32 v21, 24, v40
	s_delay_alu instid0(VALU_DEP_2) | instskip(SKIP_1) | instid1(VALU_DEP_3)
	v_lshlrev_b32_e32 v5, 20, v5
	v_lshl_add_u32 v20, v20, 23, 0x3c000000
	v_and_b32_e32 v21, 0x80000000, v21
	s_delay_alu instid0(VALU_DEP_1)
	v_or3_b32 v21, v5, v21, v20
	v_mov_b32_e32 v20, v6
.LBB218_225:                            ;   in Loop: Header=BB218_161 Depth=1
	s_or_b32 exec_lo, exec_lo, s8
.LBB218_226:                            ;   in Loop: Header=BB218_161 Depth=1
	s_delay_alu instid0(SALU_CYCLE_1)
	s_or_b32 exec_lo, exec_lo, s16
.LBB218_227:                            ;   in Loop: Header=BB218_161 Depth=1
	s_delay_alu instid0(SALU_CYCLE_1) | instskip(SKIP_4) | instid1(VALU_DEP_4)
	s_or_b32 exec_lo, exec_lo, s14
	v_or_b32_e32 v5, v16, v14
	v_or_b32_e32 v13, v15, v13
	;; [unrolled: 1-line block ×4, first 2 shown]
	v_mul_f32_e32 v42, s10, v5
	s_delay_alu instid0(VALU_DEP_4) | instskip(NEXT) | instid1(VALU_DEP_3)
	v_mul_f32_e32 v41, s3, v13
	v_dual_mul_f32 v39, s10, v14 :: v_dual_mul_f32 v40, s3, v15
	s_and_saveexec_b32 s8, vcc_lo
; %bb.228:                              ;   in Loop: Header=BB218_161 Depth=1
	v_cmp_gt_i32_e64 s0, s15, v36
	s_delay_alu instid0(VALU_DEP_1) | instskip(SKIP_1) | instid1(VALU_DEP_1)
	v_cndmask_b32_e64 v41, 0, v41, s0
	v_cmp_gt_i32_e64 s0, s15, v38
	v_cndmask_b32_e64 v42, 0, v42, s0
	v_cmp_gt_i32_e64 s0, s15, v37
	s_delay_alu instid0(VALU_DEP_1) | instskip(SKIP_1) | instid1(VALU_DEP_1)
	v_cndmask_b32_e64 v40, 0, v40, s0
	v_cmp_gt_i32_e64 s0, s15, v30
	v_cndmask_b32_e64 v39, 0, v39, s0
; %bb.229:                              ;   in Loop: Header=BB218_161 Depth=1
	s_or_b32 exec_lo, exec_lo, s8
	global_load_b32 v43, v[11:12], off offset:256
	v_mov_b32_e32 v15, 0
	v_mov_b32_e32 v16, 0
	s_mov_b32 s8, exec_lo
	s_waitcnt vmcnt(0)
	v_and_b32_e32 v5, 0xff, v43
	s_delay_alu instid0(VALU_DEP_2) | instskip(NEXT) | instid1(VALU_DEP_2)
	v_dual_mov_b32 v13, v15 :: v_dual_mov_b32 v14, v16
	v_cmpx_ne_u16_e32 0, v5
	s_cbranch_execz .LBB218_237
; %bb.230:                              ;   in Loop: Header=BB218_161 Depth=1
	v_bfrev_b32_e32 v13, 1
	v_mov_b32_e32 v14, 0
	s_mov_b32 s14, exec_lo
	v_cmpx_ne_u16_e32 0x80, v5
	s_cbranch_execz .LBB218_236
; %bb.231:                              ;   in Loop: Header=BB218_161 Depth=1
	v_mov_b32_e32 v13, 0x7f800001
	v_and_b32_e32 v18, 0x7f, v43
	v_mov_b32_e32 v14, 0
	s_mov_b32 s16, exec_lo
	s_delay_alu instid0(VALU_DEP_2)
	v_cmpx_ne_u32_e32 0x7f, v18
	s_cbranch_execz .LBB218_235
; %bb.232:                              ;   in Loop: Header=BB218_161 Depth=1
	v_and_b32_e32 v5, 7, v43
	v_lshrrev_b32_e32 v13, 3, v18
	s_mov_b32 s17, exec_lo
	v_cmpx_gt_u32_e32 8, v18
; %bb.233:                              ;   in Loop: Header=BB218_161 Depth=1
	s_delay_alu instid0(VALU_DEP_3) | instskip(NEXT) | instid1(VALU_DEP_1)
	v_clz_i32_u32_e32 v13, v5
	v_min_u32_e32 v13, 32, v13
	s_delay_alu instid0(VALU_DEP_1) | instskip(SKIP_1) | instid1(VALU_DEP_2)
	v_subrev_nc_u32_e32 v14, 28, v13
	v_sub_nc_u32_e32 v13, 29, v13
	v_lshlrev_b64 v[18:19], v14, v[5:6]
	s_delay_alu instid0(VALU_DEP_1)
	v_and_b32_e32 v5, 7, v18
; %bb.234:                              ;   in Loop: Header=BB218_161 Depth=1
	s_or_b32 exec_lo, exec_lo, s17
	v_lshlrev_b32_e32 v14, 24, v43
	s_delay_alu instid0(VALU_DEP_2) | instskip(SKIP_1) | instid1(VALU_DEP_3)
	v_lshlrev_b32_e32 v5, 20, v5
	v_lshl_add_u32 v13, v13, 23, 0x3c000000
	v_and_b32_e32 v14, 0x80000000, v14
	s_delay_alu instid0(VALU_DEP_1) | instskip(NEXT) | instid1(VALU_DEP_1)
	v_or3_b32 v5, v5, v14, v13
	v_dual_mov_b32 v14, v6 :: v_dual_mov_b32 v13, v5
.LBB218_235:                            ;   in Loop: Header=BB218_161 Depth=1
	s_or_b32 exec_lo, exec_lo, s16
.LBB218_236:                            ;   in Loop: Header=BB218_161 Depth=1
	s_delay_alu instid0(SALU_CYCLE_1)
	s_or_b32 exec_lo, exec_lo, s14
.LBB218_237:                            ;   in Loop: Header=BB218_161 Depth=1
	s_delay_alu instid0(SALU_CYCLE_1) | instskip(SKIP_2) | instid1(VALU_DEP_1)
	s_or_b32 exec_lo, exec_lo, s8
	v_lshrrev_b16 v5, 8, v43
	s_mov_b32 s14, exec_lo
	v_cmpx_ne_u16_e32 0, v5
	s_cbranch_execz .LBB218_245
; %bb.238:                              ;   in Loop: Header=BB218_161 Depth=1
	v_dual_mov_b32 v16, s5 :: v_dual_mov_b32 v15, s4
	s_mov_b32 s16, exec_lo
	v_cmpx_ne_u16_e32 0x80, v5
	s_cbranch_execz .LBB218_244
; %bb.239:                              ;   in Loop: Header=BB218_161 Depth=1
	s_mov_b32 s8, s4
	v_dual_mov_b32 v16, s9 :: v_dual_and_b32 v5, 0xffff, v5
	v_mov_b32_e32 v15, s8
	s_mov_b32 s8, exec_lo
	s_delay_alu instid0(VALU_DEP_2) | instskip(NEXT) | instid1(VALU_DEP_1)
	v_and_b32_e32 v18, 0x7f, v5
	v_cmpx_ne_u32_e32 0x7f, v18
	s_cbranch_execz .LBB218_243
; %bb.240:                              ;   in Loop: Header=BB218_161 Depth=1
	v_and_b32_e32 v5, 7, v5
	v_lshrrev_b32_e32 v15, 3, v18
	s_mov_b32 s17, exec_lo
	v_cmpx_gt_u32_e32 8, v18
; %bb.241:                              ;   in Loop: Header=BB218_161 Depth=1
	s_delay_alu instid0(VALU_DEP_3) | instskip(NEXT) | instid1(VALU_DEP_1)
	v_clz_i32_u32_e32 v15, v5
	v_min_u32_e32 v15, 32, v15
	s_delay_alu instid0(VALU_DEP_1) | instskip(SKIP_1) | instid1(VALU_DEP_2)
	v_subrev_nc_u32_e32 v16, 28, v15
	v_sub_nc_u32_e32 v15, 29, v15
	v_lshlrev_b64 v[18:19], v16, v[5:6]
	s_delay_alu instid0(VALU_DEP_1)
	v_and_b32_e32 v5, 7, v18
; %bb.242:                              ;   in Loop: Header=BB218_161 Depth=1
	s_or_b32 exec_lo, exec_lo, s17
	v_lshlrev_b32_e32 v16, 16, v43
	s_delay_alu instid0(VALU_DEP_2) | instskip(SKIP_1) | instid1(VALU_DEP_3)
	v_lshlrev_b32_e32 v5, 20, v5
	v_lshl_add_u32 v15, v15, 23, 0x3c000000
	v_and_b32_e32 v16, 0x80000000, v16
	s_delay_alu instid0(VALU_DEP_1)
	v_or3_b32 v16, v5, v16, v15
	v_mov_b32_e32 v15, v6
.LBB218_243:                            ;   in Loop: Header=BB218_161 Depth=1
	s_or_b32 exec_lo, exec_lo, s8
.LBB218_244:                            ;   in Loop: Header=BB218_161 Depth=1
	s_delay_alu instid0(SALU_CYCLE_1)
	s_or_b32 exec_lo, exec_lo, s16
.LBB218_245:                            ;   in Loop: Header=BB218_161 Depth=1
	s_delay_alu instid0(SALU_CYCLE_1) | instskip(SKIP_3) | instid1(VALU_DEP_2)
	s_or_b32 exec_lo, exec_lo, s14
	v_lshrrev_b32_e32 v44, 16, v43
	v_mov_b32_e32 v20, 0
	v_mov_b32_e32 v21, 0
	;; [unrolled: 1-line block ×3, first 2 shown]
	s_mov_b32 s8, exec_lo
	v_and_b32_e32 v5, 0xff, v44
	s_delay_alu instid0(VALU_DEP_3) | instskip(NEXT) | instid1(VALU_DEP_2)
	v_mov_b32_e32 v19, v21
	v_cmpx_ne_u16_e32 0, v5
	s_cbranch_execz .LBB218_253
; %bb.246:                              ;   in Loop: Header=BB218_161 Depth=1
	v_bfrev_b32_e32 v18, 1
	v_mov_b32_e32 v19, 0
	s_mov_b32 s14, exec_lo
	v_cmpx_ne_u16_e32 0x80, v5
	s_cbranch_execz .LBB218_252
; %bb.247:                              ;   in Loop: Header=BB218_161 Depth=1
	v_mov_b32_e32 v18, 0x7f800001
	v_bfe_u32 v45, v43, 16, 7
	v_mov_b32_e32 v19, 0
	s_mov_b32 s16, exec_lo
	s_delay_alu instid0(VALU_DEP_2)
	v_cmpx_ne_u32_e32 0x7f, v45
	s_cbranch_execz .LBB218_251
; %bb.248:                              ;   in Loop: Header=BB218_161 Depth=1
	v_and_b32_e32 v5, 7, v44
	v_lshrrev_b32_e32 v18, 3, v45
	s_mov_b32 s17, exec_lo
	v_cmpx_gt_u32_e32 8, v45
; %bb.249:                              ;   in Loop: Header=BB218_161 Depth=1
	s_delay_alu instid0(VALU_DEP_3) | instskip(NEXT) | instid1(VALU_DEP_1)
	v_clz_i32_u32_e32 v18, v5
	v_min_u32_e32 v18, 32, v18
	s_delay_alu instid0(VALU_DEP_1) | instskip(SKIP_1) | instid1(VALU_DEP_2)
	v_subrev_nc_u32_e32 v19, 28, v18
	v_sub_nc_u32_e32 v18, 29, v18
	v_lshlrev_b64 v[45:46], v19, v[5:6]
	s_delay_alu instid0(VALU_DEP_1)
	v_and_b32_e32 v5, 7, v45
; %bb.250:                              ;   in Loop: Header=BB218_161 Depth=1
	s_or_b32 exec_lo, exec_lo, s17
	v_lshlrev_b32_e32 v19, 24, v44
	s_delay_alu instid0(VALU_DEP_2) | instskip(SKIP_1) | instid1(VALU_DEP_3)
	v_lshlrev_b32_e32 v5, 20, v5
	v_lshl_add_u32 v18, v18, 23, 0x3c000000
	v_and_b32_e32 v19, 0x80000000, v19
	s_delay_alu instid0(VALU_DEP_1) | instskip(NEXT) | instid1(VALU_DEP_1)
	v_or3_b32 v5, v5, v19, v18
	v_dual_mov_b32 v19, v6 :: v_dual_mov_b32 v18, v5
.LBB218_251:                            ;   in Loop: Header=BB218_161 Depth=1
	s_or_b32 exec_lo, exec_lo, s16
.LBB218_252:                            ;   in Loop: Header=BB218_161 Depth=1
	s_delay_alu instid0(SALU_CYCLE_1)
	s_or_b32 exec_lo, exec_lo, s14
.LBB218_253:                            ;   in Loop: Header=BB218_161 Depth=1
	s_delay_alu instid0(SALU_CYCLE_1) | instskip(NEXT) | instid1(SALU_CYCLE_1)
	s_or_b32 exec_lo, exec_lo, s8
	s_mov_b32 s14, exec_lo
	v_cmpx_lt_u32_e32 0xffffff, v43
	s_cbranch_execz .LBB218_261
; %bb.254:                              ;   in Loop: Header=BB218_161 Depth=1
	v_lshrrev_b32_e32 v44, 24, v43
	v_dual_mov_b32 v21, s5 :: v_dual_mov_b32 v20, s4
	s_mov_b32 s16, exec_lo
	s_delay_alu instid0(VALU_DEP_2)
	v_cmpx_ne_u32_e32 0x80, v44
	s_cbranch_execz .LBB218_260
; %bb.255:                              ;   in Loop: Header=BB218_161 Depth=1
	s_mov_b32 s8, s4
	v_bfe_u32 v43, v43, 24, 7
	v_dual_mov_b32 v21, s9 :: v_dual_mov_b32 v20, s8
	s_mov_b32 s8, exec_lo
	s_delay_alu instid0(VALU_DEP_2)
	v_cmpx_ne_u32_e32 0x7f, v43
	s_cbranch_execz .LBB218_259
; %bb.256:                              ;   in Loop: Header=BB218_161 Depth=1
	v_and_b32_e32 v5, 7, v44
	v_lshrrev_b32_e32 v20, 3, v43
	s_mov_b32 s17, exec_lo
	v_cmpx_gt_u32_e32 8, v43
; %bb.257:                              ;   in Loop: Header=BB218_161 Depth=1
	s_delay_alu instid0(VALU_DEP_3) | instskip(NEXT) | instid1(VALU_DEP_1)
	v_clz_i32_u32_e32 v20, v5
	v_min_u32_e32 v20, 32, v20
	s_delay_alu instid0(VALU_DEP_1) | instskip(SKIP_1) | instid1(VALU_DEP_2)
	v_subrev_nc_u32_e32 v21, 28, v20
	v_sub_nc_u32_e32 v20, 29, v20
	v_lshlrev_b64 v[45:46], v21, v[5:6]
	s_delay_alu instid0(VALU_DEP_1)
	v_and_b32_e32 v5, 7, v45
; %bb.258:                              ;   in Loop: Header=BB218_161 Depth=1
	s_or_b32 exec_lo, exec_lo, s17
	v_lshlrev_b32_e32 v21, 24, v44
	s_delay_alu instid0(VALU_DEP_2) | instskip(SKIP_1) | instid1(VALU_DEP_3)
	v_lshlrev_b32_e32 v5, 20, v5
	v_lshl_add_u32 v20, v20, 23, 0x3c000000
	v_and_b32_e32 v21, 0x80000000, v21
	s_delay_alu instid0(VALU_DEP_1)
	v_or3_b32 v21, v5, v21, v20
	v_mov_b32_e32 v20, v6
.LBB218_259:                            ;   in Loop: Header=BB218_161 Depth=1
	s_or_b32 exec_lo, exec_lo, s8
.LBB218_260:                            ;   in Loop: Header=BB218_161 Depth=1
	s_delay_alu instid0(SALU_CYCLE_1)
	s_or_b32 exec_lo, exec_lo, s16
.LBB218_261:                            ;   in Loop: Header=BB218_161 Depth=1
	s_delay_alu instid0(SALU_CYCLE_1) | instskip(SKIP_4) | instid1(VALU_DEP_4)
	s_or_b32 exec_lo, exec_lo, s14
	v_or_b32_e32 v5, v16, v14
	v_or_b32_e32 v13, v15, v13
	;; [unrolled: 1-line block ×4, first 2 shown]
	v_mul_f32_e32 v44, s10, v5
	s_delay_alu instid0(VALU_DEP_3) | instskip(NEXT) | instid1(VALU_DEP_3)
	v_dual_mul_f32 v43, s3, v13 :: v_dual_mul_f32 v20, s10, v14
	v_mul_f32_e32 v21, s3, v15
	s_and_saveexec_b32 s8, vcc_lo
; %bb.262:                              ;   in Loop: Header=BB218_161 Depth=1
	v_cmp_gt_i32_e64 s0, s15, v36
	s_delay_alu instid0(VALU_DEP_1) | instskip(SKIP_1) | instid1(VALU_DEP_1)
	v_cndmask_b32_e64 v43, 0, v43, s0
	v_cmp_gt_i32_e64 s0, s15, v38
	v_cndmask_b32_e64 v44, 0, v44, s0
	v_cmp_gt_i32_e64 s0, s15, v37
	s_delay_alu instid0(VALU_DEP_1) | instskip(SKIP_1) | instid1(VALU_DEP_1)
	v_cndmask_b32_e64 v21, 0, v21, s0
	v_cmp_gt_i32_e64 s0, s15, v30
	v_cndmask_b32_e64 v20, 0, v20, s0
; %bb.263:                              ;   in Loop: Header=BB218_161 Depth=1
	s_or_b32 exec_lo, exec_lo, s8
	global_load_b32 v45, v[11:12], off offset:384
	v_mov_b32_e32 v13, 0
	v_mov_b32_e32 v14, 0
	s_mov_b32 s8, exec_lo
	s_waitcnt vmcnt(0)
	v_and_b32_e32 v5, 0xff, v45
	s_delay_alu instid0(VALU_DEP_2) | instskip(NEXT) | instid1(VALU_DEP_2)
	v_dual_mov_b32 v11, v13 :: v_dual_mov_b32 v12, v14
	v_cmpx_ne_u16_e32 0, v5
	s_cbranch_execz .LBB218_271
; %bb.264:                              ;   in Loop: Header=BB218_161 Depth=1
	v_bfrev_b32_e32 v11, 1
	v_mov_b32_e32 v12, 0
	s_mov_b32 s14, exec_lo
	v_cmpx_ne_u16_e32 0x80, v5
	s_cbranch_execz .LBB218_270
; %bb.265:                              ;   in Loop: Header=BB218_161 Depth=1
	v_mov_b32_e32 v11, 0x7f800001
	v_dual_mov_b32 v12, 0 :: v_dual_and_b32 v15, 0x7f, v45
	s_mov_b32 s16, exec_lo
	s_delay_alu instid0(VALU_DEP_1)
	v_cmpx_ne_u32_e32 0x7f, v15
	s_cbranch_execz .LBB218_269
; %bb.266:                              ;   in Loop: Header=BB218_161 Depth=1
	v_and_b32_e32 v5, 7, v45
	v_lshrrev_b32_e32 v11, 3, v15
	s_mov_b32 s17, exec_lo
	v_cmpx_gt_u32_e32 8, v15
; %bb.267:                              ;   in Loop: Header=BB218_161 Depth=1
	s_delay_alu instid0(VALU_DEP_3) | instskip(NEXT) | instid1(VALU_DEP_1)
	v_clz_i32_u32_e32 v11, v5
	v_min_u32_e32 v11, 32, v11
	s_delay_alu instid0(VALU_DEP_1) | instskip(SKIP_1) | instid1(VALU_DEP_2)
	v_subrev_nc_u32_e32 v12, 28, v11
	v_sub_nc_u32_e32 v11, 29, v11
	v_lshlrev_b64 v[15:16], v12, v[5:6]
	s_delay_alu instid0(VALU_DEP_1)
	v_and_b32_e32 v5, 7, v15
; %bb.268:                              ;   in Loop: Header=BB218_161 Depth=1
	s_or_b32 exec_lo, exec_lo, s17
	v_lshlrev_b32_e32 v12, 24, v45
	s_delay_alu instid0(VALU_DEP_2) | instskip(SKIP_1) | instid1(VALU_DEP_3)
	v_lshlrev_b32_e32 v5, 20, v5
	v_lshl_add_u32 v11, v11, 23, 0x3c000000
	v_and_b32_e32 v12, 0x80000000, v12
	s_delay_alu instid0(VALU_DEP_1) | instskip(NEXT) | instid1(VALU_DEP_1)
	v_or3_b32 v5, v5, v12, v11
	v_dual_mov_b32 v12, v6 :: v_dual_mov_b32 v11, v5
.LBB218_269:                            ;   in Loop: Header=BB218_161 Depth=1
	s_or_b32 exec_lo, exec_lo, s16
.LBB218_270:                            ;   in Loop: Header=BB218_161 Depth=1
	s_delay_alu instid0(SALU_CYCLE_1)
	s_or_b32 exec_lo, exec_lo, s14
.LBB218_271:                            ;   in Loop: Header=BB218_161 Depth=1
	s_delay_alu instid0(SALU_CYCLE_1) | instskip(SKIP_2) | instid1(VALU_DEP_1)
	s_or_b32 exec_lo, exec_lo, s8
	v_lshrrev_b16 v5, 8, v45
	s_mov_b32 s14, exec_lo
	v_cmpx_ne_u16_e32 0, v5
	s_cbranch_execz .LBB218_279
; %bb.272:                              ;   in Loop: Header=BB218_161 Depth=1
	v_dual_mov_b32 v14, s5 :: v_dual_mov_b32 v13, s4
	s_mov_b32 s16, exec_lo
	v_cmpx_ne_u16_e32 0x80, v5
	s_cbranch_execz .LBB218_278
; %bb.273:                              ;   in Loop: Header=BB218_161 Depth=1
	s_mov_b32 s8, s4
	v_dual_mov_b32 v14, s9 :: v_dual_and_b32 v5, 0xffff, v5
	v_mov_b32_e32 v13, s8
	s_mov_b32 s8, exec_lo
	s_delay_alu instid0(VALU_DEP_2) | instskip(NEXT) | instid1(VALU_DEP_1)
	v_and_b32_e32 v15, 0x7f, v5
	v_cmpx_ne_u32_e32 0x7f, v15
	s_cbranch_execz .LBB218_277
; %bb.274:                              ;   in Loop: Header=BB218_161 Depth=1
	v_and_b32_e32 v5, 7, v5
	v_lshrrev_b32_e32 v13, 3, v15
	s_mov_b32 s17, exec_lo
	v_cmpx_gt_u32_e32 8, v15
; %bb.275:                              ;   in Loop: Header=BB218_161 Depth=1
	s_delay_alu instid0(VALU_DEP_3) | instskip(NEXT) | instid1(VALU_DEP_1)
	v_clz_i32_u32_e32 v13, v5
	v_min_u32_e32 v13, 32, v13
	s_delay_alu instid0(VALU_DEP_1) | instskip(SKIP_1) | instid1(VALU_DEP_2)
	v_subrev_nc_u32_e32 v14, 28, v13
	v_sub_nc_u32_e32 v13, 29, v13
	v_lshlrev_b64 v[14:15], v14, v[5:6]
	s_delay_alu instid0(VALU_DEP_1)
	v_and_b32_e32 v5, 7, v14
; %bb.276:                              ;   in Loop: Header=BB218_161 Depth=1
	s_or_b32 exec_lo, exec_lo, s17
	v_lshlrev_b32_e32 v14, 16, v45
	s_delay_alu instid0(VALU_DEP_2) | instskip(SKIP_1) | instid1(VALU_DEP_3)
	v_lshlrev_b32_e32 v5, 20, v5
	v_lshl_add_u32 v13, v13, 23, 0x3c000000
	v_and_b32_e32 v14, 0x80000000, v14
	s_delay_alu instid0(VALU_DEP_1)
	v_or3_b32 v14, v5, v14, v13
	v_mov_b32_e32 v13, v6
.LBB218_277:                            ;   in Loop: Header=BB218_161 Depth=1
	s_or_b32 exec_lo, exec_lo, s8
.LBB218_278:                            ;   in Loop: Header=BB218_161 Depth=1
	s_delay_alu instid0(SALU_CYCLE_1)
	s_or_b32 exec_lo, exec_lo, s16
.LBB218_279:                            ;   in Loop: Header=BB218_161 Depth=1
	s_delay_alu instid0(SALU_CYCLE_1) | instskip(SKIP_3) | instid1(VALU_DEP_2)
	s_or_b32 exec_lo, exec_lo, s14
	v_lshrrev_b32_e32 v46, 16, v45
	v_mov_b32_e32 v18, 0
	v_mov_b32_e32 v19, 0
	;; [unrolled: 1-line block ×3, first 2 shown]
	s_mov_b32 s8, exec_lo
	s_delay_alu instid0(VALU_DEP_2) | instskip(NEXT) | instid1(VALU_DEP_1)
	v_dual_mov_b32 v16, v19 :: v_dual_and_b32 v5, 0xff, v46
	v_cmpx_ne_u16_e32 0, v5
	s_cbranch_execz .LBB218_287
; %bb.280:                              ;   in Loop: Header=BB218_161 Depth=1
	v_bfrev_b32_e32 v15, 1
	v_mov_b32_e32 v16, 0
	s_mov_b32 s14, exec_lo
	v_cmpx_ne_u16_e32 0x80, v5
	s_cbranch_execz .LBB218_286
; %bb.281:                              ;   in Loop: Header=BB218_161 Depth=1
	v_mov_b32_e32 v15, 0x7f800001
	v_bfe_u32 v47, v45, 16, 7
	v_mov_b32_e32 v16, 0
	s_mov_b32 s16, exec_lo
	s_delay_alu instid0(VALU_DEP_2)
	v_cmpx_ne_u32_e32 0x7f, v47
	s_cbranch_execz .LBB218_285
; %bb.282:                              ;   in Loop: Header=BB218_161 Depth=1
	v_and_b32_e32 v5, 7, v46
	v_lshrrev_b32_e32 v15, 3, v47
	s_mov_b32 s17, exec_lo
	v_cmpx_gt_u32_e32 8, v47
; %bb.283:                              ;   in Loop: Header=BB218_161 Depth=1
	s_delay_alu instid0(VALU_DEP_3) | instskip(NEXT) | instid1(VALU_DEP_1)
	v_clz_i32_u32_e32 v15, v5
	v_min_u32_e32 v15, 32, v15
	s_delay_alu instid0(VALU_DEP_1) | instskip(SKIP_1) | instid1(VALU_DEP_2)
	v_subrev_nc_u32_e32 v16, 28, v15
	v_sub_nc_u32_e32 v15, 29, v15
	v_lshlrev_b64 v[47:48], v16, v[5:6]
	s_delay_alu instid0(VALU_DEP_1)
	v_and_b32_e32 v5, 7, v47
; %bb.284:                              ;   in Loop: Header=BB218_161 Depth=1
	s_or_b32 exec_lo, exec_lo, s17
	v_lshlrev_b32_e32 v16, 24, v46
	s_delay_alu instid0(VALU_DEP_2) | instskip(SKIP_1) | instid1(VALU_DEP_3)
	v_lshlrev_b32_e32 v5, 20, v5
	v_lshl_add_u32 v15, v15, 23, 0x3c000000
	v_and_b32_e32 v16, 0x80000000, v16
	s_delay_alu instid0(VALU_DEP_1) | instskip(NEXT) | instid1(VALU_DEP_1)
	v_or3_b32 v5, v5, v16, v15
	v_dual_mov_b32 v16, v6 :: v_dual_mov_b32 v15, v5
.LBB218_285:                            ;   in Loop: Header=BB218_161 Depth=1
	s_or_b32 exec_lo, exec_lo, s16
.LBB218_286:                            ;   in Loop: Header=BB218_161 Depth=1
	s_delay_alu instid0(SALU_CYCLE_1)
	s_or_b32 exec_lo, exec_lo, s14
.LBB218_287:                            ;   in Loop: Header=BB218_161 Depth=1
	s_delay_alu instid0(SALU_CYCLE_1) | instskip(NEXT) | instid1(SALU_CYCLE_1)
	s_or_b32 exec_lo, exec_lo, s8
	s_mov_b32 s14, exec_lo
	v_cmpx_lt_u32_e32 0xffffff, v45
	s_cbranch_execz .LBB218_295
; %bb.288:                              ;   in Loop: Header=BB218_161 Depth=1
	v_lshrrev_b32_e32 v46, 24, v45
	v_dual_mov_b32 v19, s5 :: v_dual_mov_b32 v18, s4
	s_mov_b32 s16, exec_lo
	s_delay_alu instid0(VALU_DEP_2)
	v_cmpx_ne_u32_e32 0x80, v46
	s_cbranch_execz .LBB218_294
; %bb.289:                              ;   in Loop: Header=BB218_161 Depth=1
	s_mov_b32 s8, s4
	v_bfe_u32 v45, v45, 24, 7
	v_dual_mov_b32 v19, s9 :: v_dual_mov_b32 v18, s8
	s_mov_b32 s8, exec_lo
	s_delay_alu instid0(VALU_DEP_2)
	v_cmpx_ne_u32_e32 0x7f, v45
	s_cbranch_execz .LBB218_293
; %bb.290:                              ;   in Loop: Header=BB218_161 Depth=1
	v_and_b32_e32 v5, 7, v46
	v_lshrrev_b32_e32 v18, 3, v45
	s_mov_b32 s17, exec_lo
	v_cmpx_gt_u32_e32 8, v45
; %bb.291:                              ;   in Loop: Header=BB218_161 Depth=1
	s_delay_alu instid0(VALU_DEP_3) | instskip(NEXT) | instid1(VALU_DEP_1)
	v_clz_i32_u32_e32 v18, v5
	v_min_u32_e32 v18, 32, v18
	s_delay_alu instid0(VALU_DEP_1) | instskip(SKIP_1) | instid1(VALU_DEP_2)
	v_subrev_nc_u32_e32 v19, 28, v18
	v_sub_nc_u32_e32 v18, 29, v18
	v_lshlrev_b64 v[47:48], v19, v[5:6]
	s_delay_alu instid0(VALU_DEP_1)
	v_and_b32_e32 v5, 7, v47
; %bb.292:                              ;   in Loop: Header=BB218_161 Depth=1
	s_or_b32 exec_lo, exec_lo, s17
	v_lshlrev_b32_e32 v19, 24, v46
	s_delay_alu instid0(VALU_DEP_2) | instskip(SKIP_1) | instid1(VALU_DEP_3)
	v_lshlrev_b32_e32 v5, 20, v5
	v_lshl_add_u32 v18, v18, 23, 0x3c000000
	v_and_b32_e32 v19, 0x80000000, v19
	s_delay_alu instid0(VALU_DEP_1)
	v_or3_b32 v19, v5, v19, v18
	v_mov_b32_e32 v18, v6
.LBB218_293:                            ;   in Loop: Header=BB218_161 Depth=1
	s_or_b32 exec_lo, exec_lo, s8
.LBB218_294:                            ;   in Loop: Header=BB218_161 Depth=1
	s_delay_alu instid0(SALU_CYCLE_1)
	s_or_b32 exec_lo, exec_lo, s16
.LBB218_295:                            ;   in Loop: Header=BB218_161 Depth=1
	s_delay_alu instid0(SALU_CYCLE_1) | instskip(SKIP_4) | instid1(VALU_DEP_3)
	s_or_b32 exec_lo, exec_lo, s14
	v_or_b32_e32 v5, v14, v12
	v_or_b32_e32 v11, v13, v11
	v_or_b32_e32 v14, v19, v16
	v_or_b32_e32 v15, v18, v15
	v_dual_mul_f32 v13, s10, v5 :: v_dual_mul_f32 v12, s3, v11
	s_delay_alu instid0(VALU_DEP_3) | instskip(NEXT) | instid1(VALU_DEP_3)
	v_mul_f32_e32 v5, s10, v14
	v_mul_f32_e32 v11, s3, v15
	s_and_saveexec_b32 s0, vcc_lo
	s_cbranch_execz .LBB218_160
; %bb.296:                              ;   in Loop: Header=BB218_161 Depth=1
	v_cmp_gt_i32_e32 vcc_lo, s15, v36
	v_cndmask_b32_e32 v12, 0, v12, vcc_lo
	v_cmp_gt_i32_e32 vcc_lo, s15, v38
	v_cndmask_b32_e32 v13, 0, v13, vcc_lo
	;; [unrolled: 2-line block ×4, first 2 shown]
	s_branch .LBB218_160
.LBB218_297:
	s_or_b32 exec_lo, exec_lo, s11
.LBB218_298:
	s_delay_alu instid0(SALU_CYCLE_1)
	s_or_b32 exec_lo, exec_lo, s1
	ds_bpermute_b32 v1, v23, v28
	ds_bpermute_b32 v2, v23, v27
	;; [unrolled: 1-line block ×4, first 2 shown]
	v_lshrrev_b32_e32 v5, 1, v22
	v_lshl_add_u32 v6, v29, 8, 0x120
	v_and_b32_e32 v9, 0x3c1, v0
	s_mov_b32 s0, exec_lo
	s_waitcnt lgkmcnt(0)
	s_waitcnt_vscnt null, 0x0
	s_barrier
	buffer_gl0_inv
	v_dual_add_f32 v4, v28, v1 :: v_dual_add_f32 v3, v27, v2
	v_dual_add_f32 v2, v26, v7 :: v_dual_add_f32 v1, v25, v8
	v_cmpx_eq_u32_e32 64, v9
	s_cbranch_execz .LBB218_300
; %bb.299:
	v_lshlrev_b32_e32 v7, 2, v5
	s_delay_alu instid0(VALU_DEP_1)
	v_add3_u32 v7, v6, v7, 0xfffffe00
	ds_store_2addr_b32 v7, v4, v3 offset1:16
	ds_store_2addr_b32 v7, v2, v1 offset0:32 offset1:48
.LBB218_300:
	s_or_b32 exec_lo, exec_lo, s0
	v_cmp_eq_u32_e32 vcc_lo, 0, v24
	s_waitcnt lgkmcnt(0)
	s_barrier
	buffer_gl0_inv
	s_and_saveexec_b32 s0, s2
	s_cbranch_execz .LBB218_307
; %bb.301:
	s_and_saveexec_b32 s1, vcc_lo
	s_cbranch_execnz .LBB218_319
; %bb.302:
	s_or_b32 exec_lo, exec_lo, s1
	s_and_saveexec_b32 s1, vcc_lo
	s_cbranch_execnz .LBB218_320
.LBB218_303:
	s_or_b32 exec_lo, exec_lo, s1
	s_and_saveexec_b32 s1, vcc_lo
	s_cbranch_execnz .LBB218_321
.LBB218_304:
	s_or_b32 exec_lo, exec_lo, s1
	s_and_saveexec_b32 s1, vcc_lo
	s_cbranch_execz .LBB218_306
.LBB218_305:
	v_lshl_add_u32 v7, v5, 2, v6
	ds_load_b32 v7, v7 offset:192
	s_waitcnt lgkmcnt(0)
	v_add_f32_e32 v1, v1, v7
.LBB218_306:
	s_or_b32 exec_lo, exec_lo, s1
.LBB218_307:
	s_delay_alu instid0(SALU_CYCLE_1)
	s_or_b32 exec_lo, exec_lo, s0
	v_and_b32_e32 v7, 0x3e1, v0
	s_mov_b32 s1, exec_lo
	s_barrier
	buffer_gl0_inv
	v_cmpx_eq_u32_e32 32, v7
	s_cbranch_execz .LBB218_309
; %bb.308:
	v_lshl_add_u32 v8, v5, 2, 0x120
	ds_store_2addr_b32 v8, v4, v3 offset1:16
	ds_store_2addr_b32 v8, v2, v1 offset0:32 offset1:48
.LBB218_309:
	s_or_b32 exec_lo, exec_lo, s1
	s_delay_alu instid0(SALU_CYCLE_1)
	s_mov_b32 s1, exec_lo
	s_waitcnt lgkmcnt(0)
	s_barrier
	buffer_gl0_inv
	v_cmpx_gt_u32_e32 32, v0
	s_cbranch_execz .LBB218_316
; %bb.310:
	v_lshl_add_u32 v5, v5, 2, v6
	s_and_saveexec_b32 s0, vcc_lo
	s_cbranch_execnz .LBB218_322
; %bb.311:
	s_or_b32 exec_lo, exec_lo, s0
	s_and_saveexec_b32 s0, vcc_lo
	s_cbranch_execnz .LBB218_323
.LBB218_312:
	s_or_b32 exec_lo, exec_lo, s0
	s_and_saveexec_b32 s0, vcc_lo
	s_cbranch_execnz .LBB218_324
.LBB218_313:
	s_or_b32 exec_lo, exec_lo, s0
	s_and_saveexec_b32 s0, vcc_lo
	s_cbranch_execz .LBB218_315
.LBB218_314:
	ds_load_b32 v5, v5 offset:192
	s_waitcnt lgkmcnt(0)
	v_add_f32_e32 v1, v1, v5
.LBB218_315:
	s_or_b32 exec_lo, exec_lo, s0
.LBB218_316:
	s_delay_alu instid0(SALU_CYCLE_1)
	s_or_b32 exec_lo, exec_lo, s1
	s_barrier
	buffer_gl0_inv
	s_mov_b32 s0, exec_lo
	v_cmpx_eq_u32_e32 0, v7
	s_cbranch_execz .LBB218_318
; %bb.317:
	s_lshl_b32 s0, s6, 6
	s_mul_i32 s2, s13, s12
	s_ashr_i32 s1, s0, 31
	v_lshlrev_b32_e32 v0, 1, v0
	s_lshl_b64 s[0:1], s[0:1], 2
	s_delay_alu instid0(SALU_CYCLE_1) | instskip(SKIP_2) | instid1(SALU_CYCLE_1)
	s_add_u32 s4, s22, s0
	s_addc_u32 s5, s23, s1
	s_ashr_i32 s3, s2, 31
	s_lshl_b64 s[0:1], s[2:3], 2
	s_delay_alu instid0(SALU_CYCLE_1) | instskip(SKIP_2) | instid1(SALU_CYCLE_1)
	s_add_u32 s2, s4, s0
	s_addc_u32 s3, s5, s1
	s_ashr_i32 s21, s20, 31
	s_lshl_b64 s[0:1], s[20:21], 2
	s_delay_alu instid0(SALU_CYCLE_1)
	s_add_u32 s0, s2, s0
	s_addc_u32 s1, s3, s1
	s_clause 0x3
	global_store_b32 v0, v4, s[0:1]
	global_store_b32 v0, v3, s[0:1] offset:64
	global_store_b32 v0, v2, s[0:1] offset:128
	;; [unrolled: 1-line block ×3, first 2 shown]
.LBB218_318:
	s_nop 0
	s_sendmsg sendmsg(MSG_DEALLOC_VGPRS)
	s_endpgm
.LBB218_319:
	v_lshl_add_u32 v7, v5, 2, v6
	ds_load_b32 v7, v7
	s_waitcnt lgkmcnt(0)
	v_add_f32_e32 v4, v4, v7
	s_or_b32 exec_lo, exec_lo, s1
	s_and_saveexec_b32 s1, vcc_lo
	s_cbranch_execz .LBB218_303
.LBB218_320:
	v_lshl_add_u32 v7, v5, 2, v6
	ds_load_b32 v7, v7 offset:64
	s_waitcnt lgkmcnt(0)
	v_add_f32_e32 v3, v3, v7
	s_or_b32 exec_lo, exec_lo, s1
	s_and_saveexec_b32 s1, vcc_lo
	s_cbranch_execz .LBB218_304
.LBB218_321:
	v_lshl_add_u32 v7, v5, 2, v6
	ds_load_b32 v7, v7 offset:128
	s_waitcnt lgkmcnt(0)
	v_add_f32_e32 v2, v2, v7
	s_or_b32 exec_lo, exec_lo, s1
	s_and_saveexec_b32 s1, vcc_lo
	s_cbranch_execnz .LBB218_305
	s_branch .LBB218_306
.LBB218_322:
	ds_load_b32 v6, v5
	s_waitcnt lgkmcnt(0)
	v_add_f32_e32 v4, v4, v6
	s_or_b32 exec_lo, exec_lo, s0
	s_and_saveexec_b32 s0, vcc_lo
	s_cbranch_execz .LBB218_312
.LBB218_323:
	ds_load_b32 v6, v5 offset:64
	s_waitcnt lgkmcnt(0)
	v_add_f32_e32 v3, v3, v6
	s_or_b32 exec_lo, exec_lo, s0
	s_and_saveexec_b32 s0, vcc_lo
	s_cbranch_execz .LBB218_313
.LBB218_324:
	ds_load_b32 v6, v5 offset:128
	s_waitcnt lgkmcnt(0)
	v_add_f32_e32 v2, v2, v6
	s_or_b32 exec_lo, exec_lo, s0
	s_and_saveexec_b32 s0, vcc_lo
	s_cbranch_execnz .LBB218_314
	s_branch .LBB218_315
	.section	.rodata,"a",@progbits
	.p2align	6, 0x0
	.amdhsa_kernel _ZN4vllm25paged_attention_v2_kernelIfhLi64ELi8ELi128ELNS_18Fp8KVCacheDataTypeE1ELb0ELi512EEEvPfS2_PT_PKS3_PKT0_S9_ifPKiSB_iPKfiiiSD_SD_iiiii
		.amdhsa_group_segment_fixed_size 288
		.amdhsa_private_segment_fixed_size 0
		.amdhsa_kernarg_size 400
		.amdhsa_user_sgpr_count 13
		.amdhsa_user_sgpr_dispatch_ptr 0
		.amdhsa_user_sgpr_queue_ptr 0
		.amdhsa_user_sgpr_kernarg_segment_ptr 1
		.amdhsa_user_sgpr_dispatch_id 0
		.amdhsa_user_sgpr_private_segment_size 0
		.amdhsa_wavefront_size32 1
		.amdhsa_uses_dynamic_stack 0
		.amdhsa_enable_private_segment 0
		.amdhsa_system_sgpr_workgroup_id_x 1
		.amdhsa_system_sgpr_workgroup_id_y 1
		.amdhsa_system_sgpr_workgroup_id_z 1
		.amdhsa_system_sgpr_workgroup_info 0
		.amdhsa_system_vgpr_workitem_id 0
		.amdhsa_next_free_vgpr 56
		.amdhsa_next_free_sgpr 43
		.amdhsa_reserve_vcc 1
		.amdhsa_float_round_mode_32 0
		.amdhsa_float_round_mode_16_64 0
		.amdhsa_float_denorm_mode_32 3
		.amdhsa_float_denorm_mode_16_64 3
		.amdhsa_dx10_clamp 1
		.amdhsa_ieee_mode 1
		.amdhsa_fp16_overflow 0
		.amdhsa_workgroup_processor_mode 1
		.amdhsa_memory_ordered 1
		.amdhsa_forward_progress 0
		.amdhsa_shared_vgpr_count 0
		.amdhsa_exception_fp_ieee_invalid_op 0
		.amdhsa_exception_fp_denorm_src 0
		.amdhsa_exception_fp_ieee_div_zero 0
		.amdhsa_exception_fp_ieee_overflow 0
		.amdhsa_exception_fp_ieee_underflow 0
		.amdhsa_exception_fp_ieee_inexact 0
		.amdhsa_exception_int_div_zero 0
	.end_amdhsa_kernel
	.section	.text._ZN4vllm25paged_attention_v2_kernelIfhLi64ELi8ELi128ELNS_18Fp8KVCacheDataTypeE1ELb0ELi512EEEvPfS2_PT_PKS3_PKT0_S9_ifPKiSB_iPKfiiiSD_SD_iiiii,"axG",@progbits,_ZN4vllm25paged_attention_v2_kernelIfhLi64ELi8ELi128ELNS_18Fp8KVCacheDataTypeE1ELb0ELi512EEEvPfS2_PT_PKS3_PKT0_S9_ifPKiSB_iPKfiiiSD_SD_iiiii,comdat
.Lfunc_end218:
	.size	_ZN4vllm25paged_attention_v2_kernelIfhLi64ELi8ELi128ELNS_18Fp8KVCacheDataTypeE1ELb0ELi512EEEvPfS2_PT_PKS3_PKT0_S9_ifPKiSB_iPKfiiiSD_SD_iiiii, .Lfunc_end218-_ZN4vllm25paged_attention_v2_kernelIfhLi64ELi8ELi128ELNS_18Fp8KVCacheDataTypeE1ELb0ELi512EEEvPfS2_PT_PKS3_PKT0_S9_ifPKiSB_iPKfiiiSD_SD_iiiii
                                        ; -- End function
	.section	.AMDGPU.csdata,"",@progbits
; Kernel info:
; codeLenInByte = 11276
; NumSgprs: 45
; NumVgprs: 56
; ScratchSize: 0
; MemoryBound: 0
; FloatMode: 240
; IeeeMode: 1
; LDSByteSize: 288 bytes/workgroup (compile time only)
; SGPRBlocks: 5
; VGPRBlocks: 6
; NumSGPRsForWavesPerEU: 45
; NumVGPRsForWavesPerEU: 56
; Occupancy: 16
; WaveLimiterHint : 1
; COMPUTE_PGM_RSRC2:SCRATCH_EN: 0
; COMPUTE_PGM_RSRC2:USER_SGPR: 13
; COMPUTE_PGM_RSRC2:TRAP_HANDLER: 0
; COMPUTE_PGM_RSRC2:TGID_X_EN: 1
; COMPUTE_PGM_RSRC2:TGID_Y_EN: 1
; COMPUTE_PGM_RSRC2:TGID_Z_EN: 1
; COMPUTE_PGM_RSRC2:TIDIG_COMP_CNT: 0
	.section	.text._ZN4vllm25paged_attention_v2_kernelIfhLi80ELi8ELi128ELNS_18Fp8KVCacheDataTypeE1ELb0ELi512EEEvPfS2_PT_PKS3_PKT0_S9_ifPKiSB_iPKfiiiSD_SD_iiiii,"axG",@progbits,_ZN4vllm25paged_attention_v2_kernelIfhLi80ELi8ELi128ELNS_18Fp8KVCacheDataTypeE1ELb0ELi512EEEvPfS2_PT_PKS3_PKT0_S9_ifPKiSB_iPKfiiiSD_SD_iiiii,comdat
	.protected	_ZN4vllm25paged_attention_v2_kernelIfhLi80ELi8ELi128ELNS_18Fp8KVCacheDataTypeE1ELb0ELi512EEEvPfS2_PT_PKS3_PKT0_S9_ifPKiSB_iPKfiiiSD_SD_iiiii ; -- Begin function _ZN4vllm25paged_attention_v2_kernelIfhLi80ELi8ELi128ELNS_18Fp8KVCacheDataTypeE1ELb0ELi512EEEvPfS2_PT_PKS3_PKT0_S9_ifPKiSB_iPKfiiiSD_SD_iiiii
	.globl	_ZN4vllm25paged_attention_v2_kernelIfhLi80ELi8ELi128ELNS_18Fp8KVCacheDataTypeE1ELb0ELi512EEEvPfS2_PT_PKS3_PKT0_S9_ifPKiSB_iPKfiiiSD_SD_iiiii
	.p2align	8
	.type	_ZN4vllm25paged_attention_v2_kernelIfhLi80ELi8ELi128ELNS_18Fp8KVCacheDataTypeE1ELb0ELi512EEEvPfS2_PT_PKS3_PKT0_S9_ifPKiSB_iPKfiiiSD_SD_iiiii,@function
_ZN4vllm25paged_attention_v2_kernelIfhLi80ELi8ELi128ELNS_18Fp8KVCacheDataTypeE1ELb0ELi512EEEvPfS2_PT_PKS3_PKT0_S9_ifPKiSB_iPKfiiiSD_SD_iiiii: ; @_ZN4vllm25paged_attention_v2_kernelIfhLi80ELi8ELi128ELNS_18Fp8KVCacheDataTypeE1ELb0ELi512EEEvPfS2_PT_PKS3_PKT0_S9_ifPKiSB_iPKfiiiSD_SD_iiiii
; %bb.0:
	s_load_b64 s[2:3], s[0:1], 0x40
	s_mov_b32 s12, s15
	s_ashr_i32 s15, s14, 31
	s_delay_alu instid0(SALU_CYCLE_1)
	s_lshl_b64 s[4:5], s[14:15], 2
	s_waitcnt lgkmcnt(0)
	s_add_u32 s2, s2, s4
	s_addc_u32 s3, s3, s5
	s_lshl_b32 s36, s12, 9
	s_load_b32 s33, s[2:3], 0x0
	s_waitcnt lgkmcnt(0)
	s_cmp_ge_i32 s36, s33
	s_cbranch_scc1 .LBB219_386
; %bb.1:
	s_mov_b32 s24, s13
	s_clause 0x1
	s_load_b32 s13, s[0:1], 0x90
	s_load_b64 s[34:35], s[0:1], 0x30
	s_mov_b32 s37, 0
	s_waitcnt lgkmcnt(0)
	s_abs_i32 s5, s13
	s_abs_i32 s2, s34
	s_delay_alu instid0(SALU_CYCLE_1) | instskip(SKIP_1) | instid1(VALU_DEP_1)
	v_cvt_f32_u32_e32 v1, s2
	s_sub_i32 s4, 0, s2
	v_rcp_iflag_f32_e32 v1, v1
	s_waitcnt_depctr 0xfff
	v_mul_f32_e32 v1, 0x4f7ffffe, v1
	s_delay_alu instid0(VALU_DEP_1) | instskip(NEXT) | instid1(VALU_DEP_1)
	v_cvt_u32_f32_e32 v1, v1
	v_readfirstlane_b32 s3, v1
	s_delay_alu instid0(VALU_DEP_1) | instskip(NEXT) | instid1(SALU_CYCLE_1)
	s_mul_i32 s4, s4, s3
	s_mul_hi_u32 s4, s3, s4
	s_delay_alu instid0(SALU_CYCLE_1) | instskip(SKIP_4) | instid1(SALU_CYCLE_1)
	s_add_i32 s3, s3, s4
	s_xor_b32 s4, s13, s34
	s_mul_hi_u32 s3, s5, s3
	s_ashr_i32 s4, s4, 31
	s_mul_i32 s6, s3, s2
	s_sub_i32 s5, s5, s6
	s_add_i32 s6, s3, 1
	s_sub_i32 s7, s5, s2
	s_cmp_ge_u32 s5, s2
	s_cselect_b32 s3, s6, s3
	s_cselect_b32 s5, s7, s5
	s_add_i32 s6, s3, 1
	s_cmp_ge_u32 s5, s2
	s_cselect_b32 s2, s6, s3
	s_abs_i32 s10, s24
	s_xor_b32 s2, s2, s4
	s_delay_alu instid0(SALU_CYCLE_1) | instskip(SKIP_2) | instid1(SALU_CYCLE_1)
	s_sub_i32 s11, s2, s4
	s_load_b64 s[2:3], s[0:1], 0x50
	s_abs_i32 s8, s11
	v_cvt_f32_u32_e32 v1, s8
	s_sub_i32 s5, 0, s8
	s_delay_alu instid0(VALU_DEP_1) | instskip(SKIP_2) | instid1(VALU_DEP_1)
	v_rcp_iflag_f32_e32 v1, v1
	s_waitcnt_depctr 0xfff
	v_mul_f32_e32 v1, 0x4f7ffffe, v1
	v_cvt_u32_f32_e32 v1, v1
	s_delay_alu instid0(VALU_DEP_1) | instskip(NEXT) | instid1(VALU_DEP_1)
	v_readfirstlane_b32 s4, v1
	s_mul_i32 s5, s5, s4
	s_delay_alu instid0(SALU_CYCLE_1) | instskip(NEXT) | instid1(SALU_CYCLE_1)
	s_mul_hi_u32 s5, s4, s5
	s_add_i32 s4, s4, s5
	s_waitcnt lgkmcnt(0)
	s_cmp_eq_u64 s[2:3], 0
	s_mul_hi_u32 s9, s10, s4
	s_cbranch_scc1 .LBB219_3
; %bb.2:
	s_ashr_i32 s25, s24, 31
	s_delay_alu instid0(SALU_CYCLE_1) | instskip(NEXT) | instid1(SALU_CYCLE_1)
	s_lshl_b64 s[4:5], s[24:25], 2
	s_add_u32 s2, s2, s4
	s_addc_u32 s3, s3, s5
	s_load_b32 s37, s[2:3], 0x0
.LBB219_3:
	s_load_b128 s[4:7], s[0:1], 0x58
	v_and_b32_e32 v36, 3, v0
	v_lshlrev_b32_e32 v34, 2, v0
	s_ashr_i32 s2, s24, 31
	s_ashr_i32 s3, s11, 31
	s_mul_i32 s20, s24, 0x50
	s_waitcnt lgkmcnt(0)
	s_mov_b32 s7, exec_lo
	v_cmpx_gt_u32_e32 0x50, v0
	s_cbranch_execz .LBB219_5
; %bb.4:
	s_load_b64 s[16:17], s[0:1], 0x18
	s_mul_i32 s18, s14, s4
	v_and_b32_e32 v2, 0x3fc, v0
	s_ashr_i32 s19, s18, 31
	s_delay_alu instid0(SALU_CYCLE_1) | instskip(NEXT) | instid1(VALU_DEP_1)
	s_lshl_b64 s[18:19], s[18:19], 2
	v_mad_u32_u24 v2, 0x50, v36, v2
	s_waitcnt lgkmcnt(0)
	s_add_u32 s4, s16, s18
	s_addc_u32 s11, s17, s19
	s_ashr_i32 s21, s20, 31
	s_delay_alu instid0(SALU_CYCLE_1) | instskip(NEXT) | instid1(SALU_CYCLE_1)
	s_lshl_b64 s[16:17], s[20:21], 2
	s_add_u32 s16, s4, s16
	s_addc_u32 s17, s11, s17
	global_load_b32 v1, v34, s[16:17]
	s_waitcnt vmcnt(0)
	ds_store_b32 v2, v1
.LBB219_5:
	s_or_b32 exec_lo, exec_lo, s7
	s_add_i32 s7, s33, 7
	s_lshl_b32 s4, s12, 6
	s_ashr_i32 s11, s7, 31
	s_xor_b32 s2, s2, s3
	s_lshr_b32 s11, s11, 29
	s_add_i32 s3, s4, 64
	s_add_i32 s7, s7, s11
	v_lshrrev_b32_e32 v33, 5, v0
	s_ashr_i32 s25, s7, 3
	s_mul_i32 s7, s9, s8
	s_min_i32 s21, s3, s25
	s_clause 0x1
	s_load_b64 s[26:27], s[0:1], 0x38
	s_load_b32 s3, s[0:1], 0x48
	s_sub_i32 s7, s10, s7
	s_add_i32 s10, s9, 1
	s_sub_i32 s11, s7, s8
	s_cmp_ge_u32 s7, s8
	v_or_b32_e32 v21, s4, v33
	s_cselect_b32 s9, s10, s9
	s_cselect_b32 s7, s11, s7
	s_add_i32 s10, s9, 1
	s_cmp_ge_u32 s7, s8
	v_mbcnt_lo_u32_b32 v35, -1, 0
	s_cselect_b32 s7, s10, s9
	s_waitcnt lgkmcnt(0)
	s_xor_b32 s7, s7, s2
	s_barrier
	s_sub_i32 s34, s7, s2
	v_cmp_gt_i32_e64 s2, s21, v21
	s_mov_b32 s7, exec_lo
	buffer_gl0_inv
                                        ; implicit-def: $vgpr37
	s_mul_i32 s28, s14, s3
                                        ; implicit-def: $sgpr3
	s_delay_alu instid0(SALU_CYCLE_1)
	s_ashr_i32 s29, s28, 31
	v_cmpx_le_i32_e64 s21, v21
	s_xor_b32 s7, exec_lo, s7
; %bb.6:
	v_mbcnt_lo_u32_b32 v35, -1, 0
	v_mov_b32_e32 v37, 32
	s_mov_b32 s3, 0xff7fffff
                                        ; implicit-def: $vgpr36
; %bb.7:
	s_or_saveexec_b32 s7, s7
	s_clause 0x4
	s_load_b128 s[16:19], s[0:1], 0x0
	s_load_b64 s[22:23], s[0:1], 0x10
	s_load_b32 s15, s[0:1], 0x98
	s_load_b64 s[30:31], s[0:1], 0x28
	s_load_b128 s[8:11], s[0:1], 0x68
	v_mov_b32_e32 v38, s3
	v_ashrrev_i32_e32 v22, 31, v21
	s_mul_i32 s34, s34, s6
	s_xor_b32 exec_lo, exec_lo, s7
	s_cbranch_execz .LBB219_173
; %bb.8:
	s_load_b64 s[0:1], s[0:1], 0x20
	v_xor_b32_e32 v25, 2, v35
	v_bfe_u32 v23, v0, 2, 3
	v_mul_u32_u24_e32 v17, 0x50, v36
	v_xor_b32_e32 v26, 1, v35
	ds_load_b128 v[1:4], v17
	ds_load_b128 v[5:8], v17 offset:16
	ds_load_b128 v[9:12], v17 offset:32
	ds_load_b128 v[13:16], v17 offset:48
	ds_load_b128 v[17:20], v17 offset:64
	v_cmp_gt_i32_e32 vcc_lo, 32, v25
	v_lshlrev_b32_e32 v27, 4, v23
	s_ashr_i32 s3, s34, 31
	s_waitcnt lgkmcnt(0)
	s_load_b32 s6, s[8:9], 0x0
	v_dual_mov_b32 v24, 0 :: v_dual_mov_b32 v37, 32
	v_cndmask_b32_e32 v28, v35, v25, vcc_lo
	v_cmp_gt_i32_e32 vcc_lo, 32, v26
	v_mov_b32_e32 v38, 0xff7fffff
	s_mov_b32 s9, 0
	v_mov_b32_e32 v43, v21
	s_add_u32 s0, s0, s34
	v_cndmask_b32_e32 v29, v35, v26, vcc_lo
	v_add_co_u32 v25, s0, s0, v27
	v_lshlrev_b32_e32 v39, 2, v28
	v_lshlrev_b32_e32 v27, 2, v23
	;; [unrolled: 1-line block ×4, first 2 shown]
	s_addc_u32 s1, s1, s3
	s_lshl_b64 s[38:39], s[28:29], 2
	v_lshl_or_b32 v29, v33, 5, v27
	v_add3_u32 v41, s36, v28, v23
	v_lshlrev_b64 v[27:28], 2, v[21:22]
	s_sub_i32 s8, 1, s33
	v_add_co_ci_u32_e64 v26, null, s1, 0, s0
	s_add_u32 s1, s26, s38
	s_addc_u32 s3, s27, s39
	s_delay_alu instid0(VALU_DEP_2)
	v_add_co_u32 v27, s1, s1, v27
	v_cmp_eq_u32_e32 vcc_lo, 0, v36
	v_cmp_neq_f32_e64 s0, s37, 0
	v_add_nc_u32_e32 v42, 0x160, v29
	v_add_co_ci_u32_e64 v28, s1, s3, v28, s1
	s_mov_b32 s38, s5
	s_branch .LBB219_10
.LBB219_9:                              ;   in Loop: Header=BB219_10 Depth=1
	s_or_b32 exec_lo, exec_lo, s3
	v_add_nc_u32_e32 v43, 4, v43
	v_add_co_u32 v27, s3, v27, 16
	v_add_nc_u32_e32 v41, 32, v41
	v_add_nc_u32_e32 v42, 0x80, v42
	s_delay_alu instid0(VALU_DEP_4) | instskip(SKIP_1) | instid1(VALU_DEP_2)
	v_cmp_le_i32_e64 s1, s21, v43
	v_add_co_ci_u32_e64 v28, s3, 0, v28, s3
	s_or_b32 s9, s1, s9
	s_delay_alu instid0(SALU_CYCLE_1)
	s_and_not1_b32 exec_lo, exec_lo, s9
	s_cbranch_execz .LBB219_172
.LBB219_10:                             ; =>This Inner Loop Header: Depth=1
	global_load_b32 v23, v[27:28], off
	v_mov_b32_e32 v44, 0
	s_mov_b32 s3, exec_lo
	s_waitcnt vmcnt(0) lgkmcnt(0)
	v_mad_i64_i32 v[29:30], null, v23, s38, v[25:26]
	s_delay_alu instid0(VALU_DEP_1) | instskip(NEXT) | instid1(VALU_DEP_1)
	v_add_co_u32 v29, s1, v29, v36
	v_add_co_ci_u32_e64 v30, s1, 0, v30, s1
	global_load_u8 v31, v[29:30], off
	s_waitcnt vmcnt(0)
	v_cmpx_ne_u16_e32 0, v31
	s_cbranch_execz .LBB219_18
; %bb.11:                               ;   in Loop: Header=BB219_10 Depth=1
	v_bfrev_b32_e32 v44, 1
	s_mov_b32 s39, exec_lo
	v_cmpx_ne_u16_e32 0x80, v31
	s_cbranch_execz .LBB219_17
; %bb.12:                               ;   in Loop: Header=BB219_10 Depth=1
	v_and_b32_e32 v23, 0xffff, v31
	v_mov_b32_e32 v44, 0x7f800001
	s_mov_b32 s40, exec_lo
	s_delay_alu instid0(VALU_DEP_2) | instskip(NEXT) | instid1(VALU_DEP_1)
	v_and_b32_e32 v45, 0x7f, v23
	v_cmpx_ne_u32_e32 0x7f, v45
	s_cbranch_execz .LBB219_16
; %bb.13:                               ;   in Loop: Header=BB219_10 Depth=1
	v_and_b32_e32 v23, 7, v23
	v_lshrrev_b32_e32 v32, 3, v45
	s_mov_b32 s41, exec_lo
	v_cmpx_gt_u32_e32 8, v45
; %bb.14:                               ;   in Loop: Header=BB219_10 Depth=1
	s_delay_alu instid0(VALU_DEP_3) | instskip(NEXT) | instid1(VALU_DEP_1)
	v_clz_i32_u32_e32 v32, v23
	v_min_u32_e32 v32, 32, v32
	s_delay_alu instid0(VALU_DEP_1) | instskip(SKIP_1) | instid1(VALU_DEP_2)
	v_subrev_nc_u32_e32 v44, 28, v32
	v_sub_nc_u32_e32 v32, 29, v32
	v_lshlrev_b64 v[44:45], v44, v[23:24]
	s_delay_alu instid0(VALU_DEP_1)
	v_and_b32_e32 v23, 7, v44
; %bb.15:                               ;   in Loop: Header=BB219_10 Depth=1
	s_or_b32 exec_lo, exec_lo, s41
	v_lshlrev_b32_e32 v31, 24, v31
	s_delay_alu instid0(VALU_DEP_2) | instskip(SKIP_1) | instid1(VALU_DEP_3)
	v_lshlrev_b32_e32 v23, 20, v23
	v_lshl_add_u32 v32, v32, 23, 0x3c000000
	v_and_b32_e32 v31, 0x80000000, v31
	s_delay_alu instid0(VALU_DEP_1)
	v_or3_b32 v44, v23, v31, v32
.LBB219_16:                             ;   in Loop: Header=BB219_10 Depth=1
	s_or_b32 exec_lo, exec_lo, s40
.LBB219_17:                             ;   in Loop: Header=BB219_10 Depth=1
	s_delay_alu instid0(SALU_CYCLE_1)
	s_or_b32 exec_lo, exec_lo, s39
.LBB219_18:                             ;   in Loop: Header=BB219_10 Depth=1
	s_delay_alu instid0(SALU_CYCLE_1)
	s_or_b32 exec_lo, exec_lo, s3
	global_load_u8 v31, v[29:30], off offset:4
	v_dual_mov_b32 v45, 0 :: v_dual_mov_b32 v46, 0
	s_mov_b32 s3, exec_lo
	s_waitcnt vmcnt(0)
	v_cmpx_ne_u16_e32 0, v31
	s_cbranch_execz .LBB219_26
; %bb.19:                               ;   in Loop: Header=BB219_10 Depth=1
	v_bfrev_b32_e32 v46, 1
	s_mov_b32 s39, exec_lo
	v_cmpx_ne_u16_e32 0x80, v31
	s_cbranch_execz .LBB219_25
; %bb.20:                               ;   in Loop: Header=BB219_10 Depth=1
	v_and_b32_e32 v23, 0xffff, v31
	v_mov_b32_e32 v46, 0x7f800001
	s_mov_b32 s40, exec_lo
	s_delay_alu instid0(VALU_DEP_2) | instskip(NEXT) | instid1(VALU_DEP_1)
	v_and_b32_e32 v47, 0x7f, v23
	v_cmpx_ne_u32_e32 0x7f, v47
	s_cbranch_execz .LBB219_24
; %bb.21:                               ;   in Loop: Header=BB219_10 Depth=1
	v_and_b32_e32 v23, 7, v23
	v_lshrrev_b32_e32 v32, 3, v47
	s_mov_b32 s41, exec_lo
	v_cmpx_gt_u32_e32 8, v47
; %bb.22:                               ;   in Loop: Header=BB219_10 Depth=1
	s_delay_alu instid0(VALU_DEP_3) | instskip(NEXT) | instid1(VALU_DEP_1)
	v_clz_i32_u32_e32 v32, v23
	v_min_u32_e32 v32, 32, v32
	s_delay_alu instid0(VALU_DEP_1) | instskip(SKIP_1) | instid1(VALU_DEP_2)
	v_subrev_nc_u32_e32 v46, 28, v32
	v_sub_nc_u32_e32 v32, 29, v32
	v_lshlrev_b64 v[46:47], v46, v[23:24]
	s_delay_alu instid0(VALU_DEP_1)
	v_and_b32_e32 v23, 7, v46
; %bb.23:                               ;   in Loop: Header=BB219_10 Depth=1
	s_or_b32 exec_lo, exec_lo, s41
	v_lshlrev_b32_e32 v31, 24, v31
	s_delay_alu instid0(VALU_DEP_2) | instskip(SKIP_1) | instid1(VALU_DEP_3)
	v_lshlrev_b32_e32 v23, 20, v23
	v_lshl_add_u32 v32, v32, 23, 0x3c000000
	v_and_b32_e32 v31, 0x80000000, v31
	s_delay_alu instid0(VALU_DEP_1)
	v_or3_b32 v46, v23, v31, v32
.LBB219_24:                             ;   in Loop: Header=BB219_10 Depth=1
	s_or_b32 exec_lo, exec_lo, s40
.LBB219_25:                             ;   in Loop: Header=BB219_10 Depth=1
	s_delay_alu instid0(SALU_CYCLE_1)
	s_or_b32 exec_lo, exec_lo, s39
.LBB219_26:                             ;   in Loop: Header=BB219_10 Depth=1
	s_delay_alu instid0(SALU_CYCLE_1)
	s_or_b32 exec_lo, exec_lo, s3
	global_load_u8 v31, v[29:30], off offset:8
	s_mov_b32 s3, exec_lo
	s_waitcnt vmcnt(0)
	v_cmpx_ne_u16_e32 0, v31
	s_cbranch_execz .LBB219_34
; %bb.27:                               ;   in Loop: Header=BB219_10 Depth=1
	v_bfrev_b32_e32 v45, 1
	s_mov_b32 s39, exec_lo
	v_cmpx_ne_u16_e32 0x80, v31
	s_cbranch_execz .LBB219_33
; %bb.28:                               ;   in Loop: Header=BB219_10 Depth=1
	v_and_b32_e32 v23, 0xffff, v31
	v_mov_b32_e32 v45, 0x7f800001
	s_mov_b32 s40, exec_lo
	s_delay_alu instid0(VALU_DEP_2) | instskip(NEXT) | instid1(VALU_DEP_1)
	v_and_b32_e32 v47, 0x7f, v23
	v_cmpx_ne_u32_e32 0x7f, v47
	s_cbranch_execz .LBB219_32
; %bb.29:                               ;   in Loop: Header=BB219_10 Depth=1
	v_and_b32_e32 v23, 7, v23
	v_lshrrev_b32_e32 v32, 3, v47
	s_mov_b32 s41, exec_lo
	v_cmpx_gt_u32_e32 8, v47
; %bb.30:                               ;   in Loop: Header=BB219_10 Depth=1
	s_delay_alu instid0(VALU_DEP_3) | instskip(NEXT) | instid1(VALU_DEP_1)
	v_clz_i32_u32_e32 v32, v23
	v_min_u32_e32 v32, 32, v32
	s_delay_alu instid0(VALU_DEP_1) | instskip(SKIP_1) | instid1(VALU_DEP_2)
	v_subrev_nc_u32_e32 v45, 28, v32
	v_sub_nc_u32_e32 v32, 29, v32
	v_lshlrev_b64 v[47:48], v45, v[23:24]
	s_delay_alu instid0(VALU_DEP_1)
	v_and_b32_e32 v23, 7, v47
; %bb.31:                               ;   in Loop: Header=BB219_10 Depth=1
	s_or_b32 exec_lo, exec_lo, s41
	v_lshlrev_b32_e32 v31, 24, v31
	s_delay_alu instid0(VALU_DEP_2) | instskip(SKIP_1) | instid1(VALU_DEP_3)
	v_lshlrev_b32_e32 v23, 20, v23
	v_lshl_add_u32 v32, v32, 23, 0x3c000000
	v_and_b32_e32 v31, 0x80000000, v31
	s_delay_alu instid0(VALU_DEP_1)
	v_or3_b32 v45, v23, v31, v32
.LBB219_32:                             ;   in Loop: Header=BB219_10 Depth=1
	s_or_b32 exec_lo, exec_lo, s40
.LBB219_33:                             ;   in Loop: Header=BB219_10 Depth=1
	s_delay_alu instid0(SALU_CYCLE_1)
	s_or_b32 exec_lo, exec_lo, s39
.LBB219_34:                             ;   in Loop: Header=BB219_10 Depth=1
	s_delay_alu instid0(SALU_CYCLE_1)
	s_or_b32 exec_lo, exec_lo, s3
	global_load_u8 v31, v[29:30], off offset:12
	v_dual_mov_b32 v47, 0 :: v_dual_mov_b32 v48, 0
	s_mov_b32 s3, exec_lo
	s_waitcnt vmcnt(0)
	v_cmpx_ne_u16_e32 0, v31
	s_cbranch_execz .LBB219_42
; %bb.35:                               ;   in Loop: Header=BB219_10 Depth=1
	v_bfrev_b32_e32 v48, 1
	s_mov_b32 s39, exec_lo
	v_cmpx_ne_u16_e32 0x80, v31
	s_cbranch_execz .LBB219_41
; %bb.36:                               ;   in Loop: Header=BB219_10 Depth=1
	v_and_b32_e32 v23, 0xffff, v31
	v_mov_b32_e32 v48, 0x7f800001
	s_mov_b32 s40, exec_lo
	s_delay_alu instid0(VALU_DEP_2) | instskip(NEXT) | instid1(VALU_DEP_1)
	v_and_b32_e32 v49, 0x7f, v23
	v_cmpx_ne_u32_e32 0x7f, v49
	s_cbranch_execz .LBB219_40
; %bb.37:                               ;   in Loop: Header=BB219_10 Depth=1
	v_and_b32_e32 v23, 7, v23
	v_lshrrev_b32_e32 v32, 3, v49
	s_mov_b32 s41, exec_lo
	v_cmpx_gt_u32_e32 8, v49
; %bb.38:                               ;   in Loop: Header=BB219_10 Depth=1
	s_delay_alu instid0(VALU_DEP_3) | instskip(NEXT) | instid1(VALU_DEP_1)
	v_clz_i32_u32_e32 v32, v23
	v_min_u32_e32 v32, 32, v32
	s_delay_alu instid0(VALU_DEP_1) | instskip(SKIP_1) | instid1(VALU_DEP_2)
	v_subrev_nc_u32_e32 v48, 28, v32
	v_sub_nc_u32_e32 v32, 29, v32
	v_lshlrev_b64 v[48:49], v48, v[23:24]
	s_delay_alu instid0(VALU_DEP_1)
	v_and_b32_e32 v23, 7, v48
; %bb.39:                               ;   in Loop: Header=BB219_10 Depth=1
	s_or_b32 exec_lo, exec_lo, s41
	v_lshlrev_b32_e32 v31, 24, v31
	s_delay_alu instid0(VALU_DEP_2) | instskip(SKIP_1) | instid1(VALU_DEP_3)
	v_lshlrev_b32_e32 v23, 20, v23
	v_lshl_add_u32 v32, v32, 23, 0x3c000000
	v_and_b32_e32 v31, 0x80000000, v31
	s_delay_alu instid0(VALU_DEP_1)
	v_or3_b32 v48, v23, v31, v32
.LBB219_40:                             ;   in Loop: Header=BB219_10 Depth=1
	s_or_b32 exec_lo, exec_lo, s40
.LBB219_41:                             ;   in Loop: Header=BB219_10 Depth=1
	s_delay_alu instid0(SALU_CYCLE_1)
	s_or_b32 exec_lo, exec_lo, s39
.LBB219_42:                             ;   in Loop: Header=BB219_10 Depth=1
	s_delay_alu instid0(SALU_CYCLE_1)
	s_or_b32 exec_lo, exec_lo, s3
	global_load_u8 v31, v[29:30], off offset:128
	s_mov_b32 s3, exec_lo
	s_waitcnt vmcnt(0)
	v_cmpx_ne_u16_e32 0, v31
	s_cbranch_execz .LBB219_50
; %bb.43:                               ;   in Loop: Header=BB219_10 Depth=1
	v_bfrev_b32_e32 v47, 1
	s_mov_b32 s39, exec_lo
	v_cmpx_ne_u16_e32 0x80, v31
	s_cbranch_execz .LBB219_49
; %bb.44:                               ;   in Loop: Header=BB219_10 Depth=1
	v_and_b32_e32 v23, 0xffff, v31
	v_mov_b32_e32 v47, 0x7f800001
	s_mov_b32 s40, exec_lo
	s_delay_alu instid0(VALU_DEP_2) | instskip(NEXT) | instid1(VALU_DEP_1)
	v_and_b32_e32 v49, 0x7f, v23
	v_cmpx_ne_u32_e32 0x7f, v49
	s_cbranch_execz .LBB219_48
; %bb.45:                               ;   in Loop: Header=BB219_10 Depth=1
	v_and_b32_e32 v23, 7, v23
	v_lshrrev_b32_e32 v32, 3, v49
	s_mov_b32 s41, exec_lo
	v_cmpx_gt_u32_e32 8, v49
; %bb.46:                               ;   in Loop: Header=BB219_10 Depth=1
	s_delay_alu instid0(VALU_DEP_3) | instskip(NEXT) | instid1(VALU_DEP_1)
	v_clz_i32_u32_e32 v32, v23
	v_min_u32_e32 v32, 32, v32
	s_delay_alu instid0(VALU_DEP_1) | instskip(SKIP_1) | instid1(VALU_DEP_2)
	v_subrev_nc_u32_e32 v47, 28, v32
	v_sub_nc_u32_e32 v32, 29, v32
	v_lshlrev_b64 v[49:50], v47, v[23:24]
	s_delay_alu instid0(VALU_DEP_1)
	v_and_b32_e32 v23, 7, v49
; %bb.47:                               ;   in Loop: Header=BB219_10 Depth=1
	s_or_b32 exec_lo, exec_lo, s41
	v_lshlrev_b32_e32 v31, 24, v31
	s_delay_alu instid0(VALU_DEP_2) | instskip(SKIP_1) | instid1(VALU_DEP_3)
	v_lshlrev_b32_e32 v23, 20, v23
	v_lshl_add_u32 v32, v32, 23, 0x3c000000
	v_and_b32_e32 v31, 0x80000000, v31
	s_delay_alu instid0(VALU_DEP_1)
	v_or3_b32 v47, v23, v31, v32
.LBB219_48:                             ;   in Loop: Header=BB219_10 Depth=1
	s_or_b32 exec_lo, exec_lo, s40
.LBB219_49:                             ;   in Loop: Header=BB219_10 Depth=1
	s_delay_alu instid0(SALU_CYCLE_1)
	s_or_b32 exec_lo, exec_lo, s39
.LBB219_50:                             ;   in Loop: Header=BB219_10 Depth=1
	s_delay_alu instid0(SALU_CYCLE_1)
	s_or_b32 exec_lo, exec_lo, s3
	global_load_u8 v31, v[29:30], off offset:132
	v_dual_mov_b32 v49, 0 :: v_dual_mov_b32 v50, 0
	s_mov_b32 s3, exec_lo
	s_waitcnt vmcnt(0)
	v_cmpx_ne_u16_e32 0, v31
	s_cbranch_execz .LBB219_58
; %bb.51:                               ;   in Loop: Header=BB219_10 Depth=1
	v_bfrev_b32_e32 v50, 1
	s_mov_b32 s39, exec_lo
	v_cmpx_ne_u16_e32 0x80, v31
	s_cbranch_execz .LBB219_57
; %bb.52:                               ;   in Loop: Header=BB219_10 Depth=1
	v_and_b32_e32 v23, 0xffff, v31
	v_mov_b32_e32 v50, 0x7f800001
	s_mov_b32 s40, exec_lo
	s_delay_alu instid0(VALU_DEP_2) | instskip(NEXT) | instid1(VALU_DEP_1)
	v_and_b32_e32 v51, 0x7f, v23
	v_cmpx_ne_u32_e32 0x7f, v51
	s_cbranch_execz .LBB219_56
; %bb.53:                               ;   in Loop: Header=BB219_10 Depth=1
	v_and_b32_e32 v23, 7, v23
	v_lshrrev_b32_e32 v32, 3, v51
	s_mov_b32 s41, exec_lo
	v_cmpx_gt_u32_e32 8, v51
; %bb.54:                               ;   in Loop: Header=BB219_10 Depth=1
	s_delay_alu instid0(VALU_DEP_3) | instskip(NEXT) | instid1(VALU_DEP_1)
	v_clz_i32_u32_e32 v32, v23
	v_min_u32_e32 v32, 32, v32
	s_delay_alu instid0(VALU_DEP_1) | instskip(SKIP_1) | instid1(VALU_DEP_2)
	v_subrev_nc_u32_e32 v50, 28, v32
	v_sub_nc_u32_e32 v32, 29, v32
	v_lshlrev_b64 v[50:51], v50, v[23:24]
	s_delay_alu instid0(VALU_DEP_1)
	v_and_b32_e32 v23, 7, v50
; %bb.55:                               ;   in Loop: Header=BB219_10 Depth=1
	s_or_b32 exec_lo, exec_lo, s41
	v_lshlrev_b32_e32 v31, 24, v31
	s_delay_alu instid0(VALU_DEP_2) | instskip(SKIP_1) | instid1(VALU_DEP_3)
	v_lshlrev_b32_e32 v23, 20, v23
	v_lshl_add_u32 v32, v32, 23, 0x3c000000
	v_and_b32_e32 v31, 0x80000000, v31
	s_delay_alu instid0(VALU_DEP_1)
	v_or3_b32 v50, v23, v31, v32
.LBB219_56:                             ;   in Loop: Header=BB219_10 Depth=1
	s_or_b32 exec_lo, exec_lo, s40
.LBB219_57:                             ;   in Loop: Header=BB219_10 Depth=1
	s_delay_alu instid0(SALU_CYCLE_1)
	s_or_b32 exec_lo, exec_lo, s39
.LBB219_58:                             ;   in Loop: Header=BB219_10 Depth=1
	s_delay_alu instid0(SALU_CYCLE_1) | instskip(SKIP_1) | instid1(VALU_DEP_1)
	s_or_b32 exec_lo, exec_lo, s3
	v_add_co_u32 v31, s1, 0x80, v29
	v_add_co_ci_u32_e64 v32, s1, 0, v30, s1
	s_mov_b32 s3, exec_lo
	global_load_u8 v51, v[31:32], off offset:8
	s_waitcnt vmcnt(0)
	v_cmpx_ne_u16_e32 0, v51
	s_cbranch_execz .LBB219_66
; %bb.59:                               ;   in Loop: Header=BB219_10 Depth=1
	v_bfrev_b32_e32 v49, 1
	s_mov_b32 s39, exec_lo
	v_cmpx_ne_u16_e32 0x80, v51
	s_cbranch_execz .LBB219_65
; %bb.60:                               ;   in Loop: Header=BB219_10 Depth=1
	v_and_b32_e32 v23, 0xffff, v51
	v_mov_b32_e32 v49, 0x7f800001
	s_mov_b32 s40, exec_lo
	s_delay_alu instid0(VALU_DEP_2) | instskip(NEXT) | instid1(VALU_DEP_1)
	v_and_b32_e32 v52, 0x7f, v23
	v_cmpx_ne_u32_e32 0x7f, v52
	s_cbranch_execz .LBB219_64
; %bb.61:                               ;   in Loop: Header=BB219_10 Depth=1
	v_and_b32_e32 v23, 7, v23
	v_lshrrev_b32_e32 v49, 3, v52
	s_mov_b32 s41, exec_lo
	v_cmpx_gt_u32_e32 8, v52
; %bb.62:                               ;   in Loop: Header=BB219_10 Depth=1
	s_delay_alu instid0(VALU_DEP_3) | instskip(NEXT) | instid1(VALU_DEP_1)
	v_clz_i32_u32_e32 v49, v23
	v_min_u32_e32 v49, 32, v49
	s_delay_alu instid0(VALU_DEP_1) | instskip(SKIP_1) | instid1(VALU_DEP_2)
	v_subrev_nc_u32_e32 v52, 28, v49
	v_sub_nc_u32_e32 v49, 29, v49
	v_lshlrev_b64 v[52:53], v52, v[23:24]
	s_delay_alu instid0(VALU_DEP_1)
	v_and_b32_e32 v23, 7, v52
; %bb.63:                               ;   in Loop: Header=BB219_10 Depth=1
	s_or_b32 exec_lo, exec_lo, s41
	v_lshlrev_b32_e32 v51, 24, v51
	s_delay_alu instid0(VALU_DEP_2) | instskip(SKIP_1) | instid1(VALU_DEP_3)
	v_lshlrev_b32_e32 v23, 20, v23
	v_lshl_add_u32 v49, v49, 23, 0x3c000000
	v_and_b32_e32 v51, 0x80000000, v51
	s_delay_alu instid0(VALU_DEP_1)
	v_or3_b32 v49, v23, v51, v49
.LBB219_64:                             ;   in Loop: Header=BB219_10 Depth=1
	s_or_b32 exec_lo, exec_lo, s40
.LBB219_65:                             ;   in Loop: Header=BB219_10 Depth=1
	s_delay_alu instid0(SALU_CYCLE_1)
	s_or_b32 exec_lo, exec_lo, s39
.LBB219_66:                             ;   in Loop: Header=BB219_10 Depth=1
	s_delay_alu instid0(SALU_CYCLE_1)
	s_or_b32 exec_lo, exec_lo, s3
	global_load_u8 v31, v[31:32], off offset:12
	v_dual_mov_b32 v51, 0 :: v_dual_mov_b32 v52, 0
	s_mov_b32 s3, exec_lo
	s_waitcnt vmcnt(0)
	v_cmpx_ne_u16_e32 0, v31
	s_cbranch_execz .LBB219_74
; %bb.67:                               ;   in Loop: Header=BB219_10 Depth=1
	v_bfrev_b32_e32 v52, 1
	s_mov_b32 s39, exec_lo
	v_cmpx_ne_u16_e32 0x80, v31
	s_cbranch_execz .LBB219_73
; %bb.68:                               ;   in Loop: Header=BB219_10 Depth=1
	v_and_b32_e32 v23, 0xffff, v31
	v_mov_b32_e32 v52, 0x7f800001
	s_mov_b32 s40, exec_lo
	s_delay_alu instid0(VALU_DEP_2) | instskip(NEXT) | instid1(VALU_DEP_1)
	v_and_b32_e32 v53, 0x7f, v23
	v_cmpx_ne_u32_e32 0x7f, v53
	s_cbranch_execz .LBB219_72
; %bb.69:                               ;   in Loop: Header=BB219_10 Depth=1
	v_and_b32_e32 v23, 7, v23
	v_lshrrev_b32_e32 v32, 3, v53
	s_mov_b32 s41, exec_lo
	v_cmpx_gt_u32_e32 8, v53
; %bb.70:                               ;   in Loop: Header=BB219_10 Depth=1
	s_delay_alu instid0(VALU_DEP_3) | instskip(NEXT) | instid1(VALU_DEP_1)
	v_clz_i32_u32_e32 v32, v23
	v_min_u32_e32 v32, 32, v32
	s_delay_alu instid0(VALU_DEP_1) | instskip(SKIP_1) | instid1(VALU_DEP_2)
	v_subrev_nc_u32_e32 v52, 28, v32
	v_sub_nc_u32_e32 v32, 29, v32
	v_lshlrev_b64 v[52:53], v52, v[23:24]
	s_delay_alu instid0(VALU_DEP_1)
	v_and_b32_e32 v23, 7, v52
; %bb.71:                               ;   in Loop: Header=BB219_10 Depth=1
	s_or_b32 exec_lo, exec_lo, s41
	v_lshlrev_b32_e32 v31, 24, v31
	s_delay_alu instid0(VALU_DEP_2) | instskip(SKIP_1) | instid1(VALU_DEP_3)
	v_lshlrev_b32_e32 v23, 20, v23
	v_lshl_add_u32 v32, v32, 23, 0x3c000000
	v_and_b32_e32 v31, 0x80000000, v31
	s_delay_alu instid0(VALU_DEP_1)
	v_or3_b32 v52, v23, v31, v32
.LBB219_72:                             ;   in Loop: Header=BB219_10 Depth=1
	s_or_b32 exec_lo, exec_lo, s40
.LBB219_73:                             ;   in Loop: Header=BB219_10 Depth=1
	s_delay_alu instid0(SALU_CYCLE_1)
	s_or_b32 exec_lo, exec_lo, s39
.LBB219_74:                             ;   in Loop: Header=BB219_10 Depth=1
	s_delay_alu instid0(SALU_CYCLE_1)
	s_or_b32 exec_lo, exec_lo, s3
	global_load_u8 v31, v[29:30], off offset:256
	s_mov_b32 s3, exec_lo
	s_waitcnt vmcnt(0)
	v_cmpx_ne_u16_e32 0, v31
	s_cbranch_execz .LBB219_82
; %bb.75:                               ;   in Loop: Header=BB219_10 Depth=1
	v_bfrev_b32_e32 v51, 1
	s_mov_b32 s39, exec_lo
	v_cmpx_ne_u16_e32 0x80, v31
	s_cbranch_execz .LBB219_81
; %bb.76:                               ;   in Loop: Header=BB219_10 Depth=1
	v_and_b32_e32 v23, 0xffff, v31
	v_mov_b32_e32 v51, 0x7f800001
	s_mov_b32 s40, exec_lo
	s_delay_alu instid0(VALU_DEP_2) | instskip(NEXT) | instid1(VALU_DEP_1)
	v_and_b32_e32 v53, 0x7f, v23
	v_cmpx_ne_u32_e32 0x7f, v53
	s_cbranch_execz .LBB219_80
; %bb.77:                               ;   in Loop: Header=BB219_10 Depth=1
	v_and_b32_e32 v23, 7, v23
	v_lshrrev_b32_e32 v32, 3, v53
	s_mov_b32 s41, exec_lo
	v_cmpx_gt_u32_e32 8, v53
; %bb.78:                               ;   in Loop: Header=BB219_10 Depth=1
	s_delay_alu instid0(VALU_DEP_3) | instskip(NEXT) | instid1(VALU_DEP_1)
	v_clz_i32_u32_e32 v32, v23
	v_min_u32_e32 v32, 32, v32
	s_delay_alu instid0(VALU_DEP_1) | instskip(SKIP_1) | instid1(VALU_DEP_2)
	v_subrev_nc_u32_e32 v51, 28, v32
	v_sub_nc_u32_e32 v32, 29, v32
	v_lshlrev_b64 v[53:54], v51, v[23:24]
	s_delay_alu instid0(VALU_DEP_1)
	v_and_b32_e32 v23, 7, v53
; %bb.79:                               ;   in Loop: Header=BB219_10 Depth=1
	s_or_b32 exec_lo, exec_lo, s41
	v_lshlrev_b32_e32 v31, 24, v31
	s_delay_alu instid0(VALU_DEP_2) | instskip(SKIP_1) | instid1(VALU_DEP_3)
	v_lshlrev_b32_e32 v23, 20, v23
	v_lshl_add_u32 v32, v32, 23, 0x3c000000
	v_and_b32_e32 v31, 0x80000000, v31
	s_delay_alu instid0(VALU_DEP_1)
	v_or3_b32 v51, v23, v31, v32
.LBB219_80:                             ;   in Loop: Header=BB219_10 Depth=1
	s_or_b32 exec_lo, exec_lo, s40
.LBB219_81:                             ;   in Loop: Header=BB219_10 Depth=1
	s_delay_alu instid0(SALU_CYCLE_1)
	s_or_b32 exec_lo, exec_lo, s39
.LBB219_82:                             ;   in Loop: Header=BB219_10 Depth=1
	s_delay_alu instid0(SALU_CYCLE_1)
	s_or_b32 exec_lo, exec_lo, s3
	global_load_u8 v31, v[29:30], off offset:260
	v_dual_mov_b32 v53, 0 :: v_dual_mov_b32 v54, 0
	s_mov_b32 s3, exec_lo
	s_waitcnt vmcnt(0)
	v_cmpx_ne_u16_e32 0, v31
	s_cbranch_execz .LBB219_90
; %bb.83:                               ;   in Loop: Header=BB219_10 Depth=1
	v_bfrev_b32_e32 v54, 1
	s_mov_b32 s39, exec_lo
	v_cmpx_ne_u16_e32 0x80, v31
	s_cbranch_execz .LBB219_89
; %bb.84:                               ;   in Loop: Header=BB219_10 Depth=1
	v_and_b32_e32 v23, 0xffff, v31
	v_mov_b32_e32 v54, 0x7f800001
	s_mov_b32 s40, exec_lo
	s_delay_alu instid0(VALU_DEP_2) | instskip(NEXT) | instid1(VALU_DEP_1)
	v_and_b32_e32 v55, 0x7f, v23
	v_cmpx_ne_u32_e32 0x7f, v55
	s_cbranch_execz .LBB219_88
; %bb.85:                               ;   in Loop: Header=BB219_10 Depth=1
	v_and_b32_e32 v23, 7, v23
	v_lshrrev_b32_e32 v32, 3, v55
	s_mov_b32 s41, exec_lo
	v_cmpx_gt_u32_e32 8, v55
; %bb.86:                               ;   in Loop: Header=BB219_10 Depth=1
	s_delay_alu instid0(VALU_DEP_3) | instskip(NEXT) | instid1(VALU_DEP_1)
	v_clz_i32_u32_e32 v32, v23
	v_min_u32_e32 v32, 32, v32
	s_delay_alu instid0(VALU_DEP_1) | instskip(SKIP_1) | instid1(VALU_DEP_2)
	v_subrev_nc_u32_e32 v54, 28, v32
	v_sub_nc_u32_e32 v32, 29, v32
	v_lshlrev_b64 v[54:55], v54, v[23:24]
	s_delay_alu instid0(VALU_DEP_1)
	v_and_b32_e32 v23, 7, v54
; %bb.87:                               ;   in Loop: Header=BB219_10 Depth=1
	s_or_b32 exec_lo, exec_lo, s41
	v_lshlrev_b32_e32 v31, 24, v31
	s_delay_alu instid0(VALU_DEP_2) | instskip(SKIP_1) | instid1(VALU_DEP_3)
	v_lshlrev_b32_e32 v23, 20, v23
	v_lshl_add_u32 v32, v32, 23, 0x3c000000
	v_and_b32_e32 v31, 0x80000000, v31
	s_delay_alu instid0(VALU_DEP_1)
	v_or3_b32 v54, v23, v31, v32
.LBB219_88:                             ;   in Loop: Header=BB219_10 Depth=1
	s_or_b32 exec_lo, exec_lo, s40
.LBB219_89:                             ;   in Loop: Header=BB219_10 Depth=1
	s_delay_alu instid0(SALU_CYCLE_1)
	s_or_b32 exec_lo, exec_lo, s39
.LBB219_90:                             ;   in Loop: Header=BB219_10 Depth=1
	s_delay_alu instid0(SALU_CYCLE_1) | instskip(SKIP_1) | instid1(VALU_DEP_1)
	s_or_b32 exec_lo, exec_lo, s3
	v_add_co_u32 v31, s1, 0x100, v29
	v_add_co_ci_u32_e64 v32, s1, 0, v30, s1
	s_mov_b32 s3, exec_lo
	global_load_u8 v55, v[31:32], off offset:8
	s_waitcnt vmcnt(0)
	v_cmpx_ne_u16_e32 0, v55
	s_cbranch_execz .LBB219_98
; %bb.91:                               ;   in Loop: Header=BB219_10 Depth=1
	v_bfrev_b32_e32 v53, 1
	s_mov_b32 s39, exec_lo
	v_cmpx_ne_u16_e32 0x80, v55
	s_cbranch_execz .LBB219_97
; %bb.92:                               ;   in Loop: Header=BB219_10 Depth=1
	v_and_b32_e32 v23, 0xffff, v55
	v_mov_b32_e32 v53, 0x7f800001
	s_mov_b32 s40, exec_lo
	s_delay_alu instid0(VALU_DEP_2) | instskip(NEXT) | instid1(VALU_DEP_1)
	v_and_b32_e32 v56, 0x7f, v23
	v_cmpx_ne_u32_e32 0x7f, v56
	s_cbranch_execz .LBB219_96
; %bb.93:                               ;   in Loop: Header=BB219_10 Depth=1
	v_and_b32_e32 v23, 7, v23
	v_lshrrev_b32_e32 v53, 3, v56
	s_mov_b32 s41, exec_lo
	v_cmpx_gt_u32_e32 8, v56
; %bb.94:                               ;   in Loop: Header=BB219_10 Depth=1
	s_delay_alu instid0(VALU_DEP_3) | instskip(NEXT) | instid1(VALU_DEP_1)
	v_clz_i32_u32_e32 v53, v23
	v_min_u32_e32 v53, 32, v53
	s_delay_alu instid0(VALU_DEP_1) | instskip(SKIP_1) | instid1(VALU_DEP_2)
	v_subrev_nc_u32_e32 v56, 28, v53
	v_sub_nc_u32_e32 v53, 29, v53
	v_lshlrev_b64 v[56:57], v56, v[23:24]
	s_delay_alu instid0(VALU_DEP_1)
	v_and_b32_e32 v23, 7, v56
; %bb.95:                               ;   in Loop: Header=BB219_10 Depth=1
	s_or_b32 exec_lo, exec_lo, s41
	v_lshlrev_b32_e32 v55, 24, v55
	s_delay_alu instid0(VALU_DEP_2) | instskip(SKIP_1) | instid1(VALU_DEP_3)
	v_lshlrev_b32_e32 v23, 20, v23
	v_lshl_add_u32 v53, v53, 23, 0x3c000000
	v_and_b32_e32 v55, 0x80000000, v55
	s_delay_alu instid0(VALU_DEP_1)
	v_or3_b32 v53, v23, v55, v53
.LBB219_96:                             ;   in Loop: Header=BB219_10 Depth=1
	s_or_b32 exec_lo, exec_lo, s40
.LBB219_97:                             ;   in Loop: Header=BB219_10 Depth=1
	s_delay_alu instid0(SALU_CYCLE_1)
	s_or_b32 exec_lo, exec_lo, s39
.LBB219_98:                             ;   in Loop: Header=BB219_10 Depth=1
	s_delay_alu instid0(SALU_CYCLE_1)
	s_or_b32 exec_lo, exec_lo, s3
	global_load_u8 v31, v[31:32], off offset:12
	v_dual_mov_b32 v55, 0 :: v_dual_mov_b32 v56, 0
	s_mov_b32 s3, exec_lo
	s_waitcnt vmcnt(0)
	v_cmpx_ne_u16_e32 0, v31
	s_cbranch_execz .LBB219_106
; %bb.99:                               ;   in Loop: Header=BB219_10 Depth=1
	v_bfrev_b32_e32 v56, 1
	s_mov_b32 s39, exec_lo
	v_cmpx_ne_u16_e32 0x80, v31
	s_cbranch_execz .LBB219_105
; %bb.100:                              ;   in Loop: Header=BB219_10 Depth=1
	v_and_b32_e32 v23, 0xffff, v31
	v_mov_b32_e32 v56, 0x7f800001
	s_mov_b32 s40, exec_lo
	s_delay_alu instid0(VALU_DEP_2) | instskip(NEXT) | instid1(VALU_DEP_1)
	v_and_b32_e32 v57, 0x7f, v23
	v_cmpx_ne_u32_e32 0x7f, v57
	s_cbranch_execz .LBB219_104
; %bb.101:                              ;   in Loop: Header=BB219_10 Depth=1
	v_and_b32_e32 v23, 7, v23
	v_lshrrev_b32_e32 v32, 3, v57
	s_mov_b32 s41, exec_lo
	v_cmpx_gt_u32_e32 8, v57
; %bb.102:                              ;   in Loop: Header=BB219_10 Depth=1
	s_delay_alu instid0(VALU_DEP_3) | instskip(NEXT) | instid1(VALU_DEP_1)
	v_clz_i32_u32_e32 v32, v23
	v_min_u32_e32 v32, 32, v32
	s_delay_alu instid0(VALU_DEP_1) | instskip(SKIP_1) | instid1(VALU_DEP_2)
	v_subrev_nc_u32_e32 v56, 28, v32
	v_sub_nc_u32_e32 v32, 29, v32
	v_lshlrev_b64 v[56:57], v56, v[23:24]
	s_delay_alu instid0(VALU_DEP_1)
	v_and_b32_e32 v23, 7, v56
; %bb.103:                              ;   in Loop: Header=BB219_10 Depth=1
	s_or_b32 exec_lo, exec_lo, s41
	v_lshlrev_b32_e32 v31, 24, v31
	s_delay_alu instid0(VALU_DEP_2) | instskip(SKIP_1) | instid1(VALU_DEP_3)
	v_lshlrev_b32_e32 v23, 20, v23
	v_lshl_add_u32 v32, v32, 23, 0x3c000000
	v_and_b32_e32 v31, 0x80000000, v31
	s_delay_alu instid0(VALU_DEP_1)
	v_or3_b32 v56, v23, v31, v32
.LBB219_104:                            ;   in Loop: Header=BB219_10 Depth=1
	s_or_b32 exec_lo, exec_lo, s40
.LBB219_105:                            ;   in Loop: Header=BB219_10 Depth=1
	s_delay_alu instid0(SALU_CYCLE_1)
	s_or_b32 exec_lo, exec_lo, s39
.LBB219_106:                            ;   in Loop: Header=BB219_10 Depth=1
	s_delay_alu instid0(SALU_CYCLE_1)
	s_or_b32 exec_lo, exec_lo, s3
	global_load_u8 v31, v[29:30], off offset:384
	s_mov_b32 s3, exec_lo
	s_waitcnt vmcnt(0)
	v_cmpx_ne_u16_e32 0, v31
	s_cbranch_execz .LBB219_114
; %bb.107:                              ;   in Loop: Header=BB219_10 Depth=1
	v_bfrev_b32_e32 v55, 1
	s_mov_b32 s39, exec_lo
	v_cmpx_ne_u16_e32 0x80, v31
	s_cbranch_execz .LBB219_113
; %bb.108:                              ;   in Loop: Header=BB219_10 Depth=1
	v_and_b32_e32 v23, 0xffff, v31
	v_mov_b32_e32 v55, 0x7f800001
	s_mov_b32 s40, exec_lo
	s_delay_alu instid0(VALU_DEP_2) | instskip(NEXT) | instid1(VALU_DEP_1)
	v_and_b32_e32 v57, 0x7f, v23
	v_cmpx_ne_u32_e32 0x7f, v57
	s_cbranch_execz .LBB219_112
; %bb.109:                              ;   in Loop: Header=BB219_10 Depth=1
	v_and_b32_e32 v23, 7, v23
	v_lshrrev_b32_e32 v32, 3, v57
	s_mov_b32 s41, exec_lo
	v_cmpx_gt_u32_e32 8, v57
; %bb.110:                              ;   in Loop: Header=BB219_10 Depth=1
	s_delay_alu instid0(VALU_DEP_3) | instskip(NEXT) | instid1(VALU_DEP_1)
	v_clz_i32_u32_e32 v32, v23
	v_min_u32_e32 v32, 32, v32
	s_delay_alu instid0(VALU_DEP_1) | instskip(SKIP_1) | instid1(VALU_DEP_2)
	v_subrev_nc_u32_e32 v55, 28, v32
	v_sub_nc_u32_e32 v32, 29, v32
	v_lshlrev_b64 v[57:58], v55, v[23:24]
	s_delay_alu instid0(VALU_DEP_1)
	v_and_b32_e32 v23, 7, v57
; %bb.111:                              ;   in Loop: Header=BB219_10 Depth=1
	s_or_b32 exec_lo, exec_lo, s41
	v_lshlrev_b32_e32 v31, 24, v31
	s_delay_alu instid0(VALU_DEP_2) | instskip(SKIP_1) | instid1(VALU_DEP_3)
	v_lshlrev_b32_e32 v23, 20, v23
	v_lshl_add_u32 v32, v32, 23, 0x3c000000
	v_and_b32_e32 v31, 0x80000000, v31
	s_delay_alu instid0(VALU_DEP_1)
	v_or3_b32 v55, v23, v31, v32
.LBB219_112:                            ;   in Loop: Header=BB219_10 Depth=1
	s_or_b32 exec_lo, exec_lo, s40
.LBB219_113:                            ;   in Loop: Header=BB219_10 Depth=1
	s_delay_alu instid0(SALU_CYCLE_1)
	s_or_b32 exec_lo, exec_lo, s39
.LBB219_114:                            ;   in Loop: Header=BB219_10 Depth=1
	s_delay_alu instid0(SALU_CYCLE_1)
	s_or_b32 exec_lo, exec_lo, s3
	global_load_u8 v31, v[29:30], off offset:388
	v_dual_mov_b32 v57, 0 :: v_dual_mov_b32 v58, 0
	s_mov_b32 s3, exec_lo
	s_waitcnt vmcnt(0)
	v_cmpx_ne_u16_e32 0, v31
	s_cbranch_execz .LBB219_122
; %bb.115:                              ;   in Loop: Header=BB219_10 Depth=1
	v_bfrev_b32_e32 v58, 1
	s_mov_b32 s39, exec_lo
	v_cmpx_ne_u16_e32 0x80, v31
	s_cbranch_execz .LBB219_121
; %bb.116:                              ;   in Loop: Header=BB219_10 Depth=1
	v_and_b32_e32 v23, 0xffff, v31
	v_mov_b32_e32 v58, 0x7f800001
	s_mov_b32 s40, exec_lo
	s_delay_alu instid0(VALU_DEP_2) | instskip(NEXT) | instid1(VALU_DEP_1)
	v_and_b32_e32 v59, 0x7f, v23
	v_cmpx_ne_u32_e32 0x7f, v59
	s_cbranch_execz .LBB219_120
; %bb.117:                              ;   in Loop: Header=BB219_10 Depth=1
	v_and_b32_e32 v23, 7, v23
	v_lshrrev_b32_e32 v32, 3, v59
	s_mov_b32 s41, exec_lo
	v_cmpx_gt_u32_e32 8, v59
; %bb.118:                              ;   in Loop: Header=BB219_10 Depth=1
	s_delay_alu instid0(VALU_DEP_3) | instskip(NEXT) | instid1(VALU_DEP_1)
	v_clz_i32_u32_e32 v32, v23
	v_min_u32_e32 v32, 32, v32
	s_delay_alu instid0(VALU_DEP_1) | instskip(SKIP_1) | instid1(VALU_DEP_2)
	v_subrev_nc_u32_e32 v58, 28, v32
	v_sub_nc_u32_e32 v32, 29, v32
	v_lshlrev_b64 v[58:59], v58, v[23:24]
	s_delay_alu instid0(VALU_DEP_1)
	v_and_b32_e32 v23, 7, v58
; %bb.119:                              ;   in Loop: Header=BB219_10 Depth=1
	s_or_b32 exec_lo, exec_lo, s41
	v_lshlrev_b32_e32 v31, 24, v31
	s_delay_alu instid0(VALU_DEP_2) | instskip(SKIP_1) | instid1(VALU_DEP_3)
	v_lshlrev_b32_e32 v23, 20, v23
	v_lshl_add_u32 v32, v32, 23, 0x3c000000
	v_and_b32_e32 v31, 0x80000000, v31
	s_delay_alu instid0(VALU_DEP_1)
	v_or3_b32 v58, v23, v31, v32
.LBB219_120:                            ;   in Loop: Header=BB219_10 Depth=1
	s_or_b32 exec_lo, exec_lo, s40
.LBB219_121:                            ;   in Loop: Header=BB219_10 Depth=1
	s_delay_alu instid0(SALU_CYCLE_1)
	s_or_b32 exec_lo, exec_lo, s39
.LBB219_122:                            ;   in Loop: Header=BB219_10 Depth=1
	s_delay_alu instid0(SALU_CYCLE_1) | instskip(SKIP_1) | instid1(VALU_DEP_1)
	s_or_b32 exec_lo, exec_lo, s3
	v_add_co_u32 v31, s1, 0x180, v29
	v_add_co_ci_u32_e64 v32, s1, 0, v30, s1
	s_mov_b32 s3, exec_lo
	global_load_u8 v59, v[31:32], off offset:8
	s_waitcnt vmcnt(0)
	v_cmpx_ne_u16_e32 0, v59
	s_cbranch_execz .LBB219_130
; %bb.123:                              ;   in Loop: Header=BB219_10 Depth=1
	v_bfrev_b32_e32 v57, 1
	s_mov_b32 s39, exec_lo
	v_cmpx_ne_u16_e32 0x80, v59
	s_cbranch_execz .LBB219_129
; %bb.124:                              ;   in Loop: Header=BB219_10 Depth=1
	v_and_b32_e32 v23, 0xffff, v59
	v_mov_b32_e32 v57, 0x7f800001
	s_mov_b32 s40, exec_lo
	s_delay_alu instid0(VALU_DEP_2) | instskip(NEXT) | instid1(VALU_DEP_1)
	v_and_b32_e32 v60, 0x7f, v23
	v_cmpx_ne_u32_e32 0x7f, v60
	s_cbranch_execz .LBB219_128
; %bb.125:                              ;   in Loop: Header=BB219_10 Depth=1
	v_and_b32_e32 v23, 7, v23
	v_lshrrev_b32_e32 v57, 3, v60
	s_mov_b32 s41, exec_lo
	v_cmpx_gt_u32_e32 8, v60
; %bb.126:                              ;   in Loop: Header=BB219_10 Depth=1
	s_delay_alu instid0(VALU_DEP_3) | instskip(NEXT) | instid1(VALU_DEP_1)
	v_clz_i32_u32_e32 v57, v23
	v_min_u32_e32 v57, 32, v57
	s_delay_alu instid0(VALU_DEP_1) | instskip(SKIP_1) | instid1(VALU_DEP_2)
	v_subrev_nc_u32_e32 v60, 28, v57
	v_sub_nc_u32_e32 v57, 29, v57
	v_lshlrev_b64 v[60:61], v60, v[23:24]
	s_delay_alu instid0(VALU_DEP_1)
	v_and_b32_e32 v23, 7, v60
; %bb.127:                              ;   in Loop: Header=BB219_10 Depth=1
	s_or_b32 exec_lo, exec_lo, s41
	v_lshlrev_b32_e32 v59, 24, v59
	s_delay_alu instid0(VALU_DEP_2) | instskip(SKIP_1) | instid1(VALU_DEP_3)
	v_lshlrev_b32_e32 v23, 20, v23
	v_lshl_add_u32 v57, v57, 23, 0x3c000000
	v_and_b32_e32 v59, 0x80000000, v59
	s_delay_alu instid0(VALU_DEP_1)
	v_or3_b32 v57, v23, v59, v57
.LBB219_128:                            ;   in Loop: Header=BB219_10 Depth=1
	s_or_b32 exec_lo, exec_lo, s40
.LBB219_129:                            ;   in Loop: Header=BB219_10 Depth=1
	s_delay_alu instid0(SALU_CYCLE_1)
	s_or_b32 exec_lo, exec_lo, s39
.LBB219_130:                            ;   in Loop: Header=BB219_10 Depth=1
	s_delay_alu instid0(SALU_CYCLE_1)
	s_or_b32 exec_lo, exec_lo, s3
	global_load_u8 v59, v[31:32], off offset:12
	v_dual_mov_b32 v31, 0 :: v_dual_mov_b32 v32, 0
	s_mov_b32 s3, exec_lo
	s_waitcnt vmcnt(0)
	v_cmpx_ne_u16_e32 0, v59
	s_cbranch_execz .LBB219_138
; %bb.131:                              ;   in Loop: Header=BB219_10 Depth=1
	v_bfrev_b32_e32 v32, 1
	s_mov_b32 s39, exec_lo
	v_cmpx_ne_u16_e32 0x80, v59
	s_cbranch_execz .LBB219_137
; %bb.132:                              ;   in Loop: Header=BB219_10 Depth=1
	v_and_b32_e32 v23, 0xffff, v59
	v_mov_b32_e32 v32, 0x7f800001
	s_mov_b32 s40, exec_lo
	s_delay_alu instid0(VALU_DEP_2) | instskip(NEXT) | instid1(VALU_DEP_1)
	v_and_b32_e32 v60, 0x7f, v23
	v_cmpx_ne_u32_e32 0x7f, v60
	s_cbranch_execz .LBB219_136
; %bb.133:                              ;   in Loop: Header=BB219_10 Depth=1
	v_and_b32_e32 v23, 7, v23
	v_lshrrev_b32_e32 v32, 3, v60
	s_mov_b32 s41, exec_lo
	v_cmpx_gt_u32_e32 8, v60
; %bb.134:                              ;   in Loop: Header=BB219_10 Depth=1
	s_delay_alu instid0(VALU_DEP_3) | instskip(NEXT) | instid1(VALU_DEP_1)
	v_clz_i32_u32_e32 v32, v23
	v_min_u32_e32 v32, 32, v32
	s_delay_alu instid0(VALU_DEP_1) | instskip(SKIP_1) | instid1(VALU_DEP_2)
	v_subrev_nc_u32_e32 v60, 28, v32
	v_sub_nc_u32_e32 v32, 29, v32
	v_lshlrev_b64 v[60:61], v60, v[23:24]
	s_delay_alu instid0(VALU_DEP_1)
	v_and_b32_e32 v23, 7, v60
; %bb.135:                              ;   in Loop: Header=BB219_10 Depth=1
	s_or_b32 exec_lo, exec_lo, s41
	v_lshlrev_b32_e32 v59, 24, v59
	s_delay_alu instid0(VALU_DEP_2) | instskip(SKIP_1) | instid1(VALU_DEP_3)
	v_lshlrev_b32_e32 v23, 20, v23
	v_lshl_add_u32 v32, v32, 23, 0x3c000000
	v_and_b32_e32 v59, 0x80000000, v59
	s_delay_alu instid0(VALU_DEP_1)
	v_or3_b32 v32, v23, v59, v32
.LBB219_136:                            ;   in Loop: Header=BB219_10 Depth=1
	s_or_b32 exec_lo, exec_lo, s40
.LBB219_137:                            ;   in Loop: Header=BB219_10 Depth=1
	s_delay_alu instid0(SALU_CYCLE_1)
	s_or_b32 exec_lo, exec_lo, s39
.LBB219_138:                            ;   in Loop: Header=BB219_10 Depth=1
	s_delay_alu instid0(SALU_CYCLE_1)
	s_or_b32 exec_lo, exec_lo, s3
	global_load_u8 v59, v[29:30], off offset:512
	s_mov_b32 s3, exec_lo
	s_waitcnt vmcnt(0)
	v_cmpx_ne_u16_e32 0, v59
	s_cbranch_execz .LBB219_146
; %bb.139:                              ;   in Loop: Header=BB219_10 Depth=1
	v_bfrev_b32_e32 v31, 1
	s_mov_b32 s39, exec_lo
	v_cmpx_ne_u16_e32 0x80, v59
	s_cbranch_execz .LBB219_145
; %bb.140:                              ;   in Loop: Header=BB219_10 Depth=1
	v_and_b32_e32 v23, 0xffff, v59
	v_mov_b32_e32 v31, 0x7f800001
	s_mov_b32 s40, exec_lo
	s_delay_alu instid0(VALU_DEP_2) | instskip(NEXT) | instid1(VALU_DEP_1)
	v_and_b32_e32 v60, 0x7f, v23
	v_cmpx_ne_u32_e32 0x7f, v60
	s_cbranch_execz .LBB219_144
; %bb.141:                              ;   in Loop: Header=BB219_10 Depth=1
	v_and_b32_e32 v23, 7, v23
	v_lshrrev_b32_e32 v31, 3, v60
	s_mov_b32 s41, exec_lo
	v_cmpx_gt_u32_e32 8, v60
; %bb.142:                              ;   in Loop: Header=BB219_10 Depth=1
	s_delay_alu instid0(VALU_DEP_3) | instskip(NEXT) | instid1(VALU_DEP_1)
	v_clz_i32_u32_e32 v31, v23
	v_min_u32_e32 v31, 32, v31
	s_delay_alu instid0(VALU_DEP_1) | instskip(SKIP_1) | instid1(VALU_DEP_2)
	v_subrev_nc_u32_e32 v60, 28, v31
	v_sub_nc_u32_e32 v31, 29, v31
	v_lshlrev_b64 v[60:61], v60, v[23:24]
	s_delay_alu instid0(VALU_DEP_1)
	v_and_b32_e32 v23, 7, v60
; %bb.143:                              ;   in Loop: Header=BB219_10 Depth=1
	s_or_b32 exec_lo, exec_lo, s41
	v_lshlrev_b32_e32 v59, 24, v59
	s_delay_alu instid0(VALU_DEP_2) | instskip(SKIP_1) | instid1(VALU_DEP_3)
	v_lshlrev_b32_e32 v23, 20, v23
	v_lshl_add_u32 v31, v31, 23, 0x3c000000
	v_and_b32_e32 v59, 0x80000000, v59
	s_delay_alu instid0(VALU_DEP_1)
	v_or3_b32 v31, v23, v59, v31
.LBB219_144:                            ;   in Loop: Header=BB219_10 Depth=1
	s_or_b32 exec_lo, exec_lo, s40
.LBB219_145:                            ;   in Loop: Header=BB219_10 Depth=1
	s_delay_alu instid0(SALU_CYCLE_1)
	s_or_b32 exec_lo, exec_lo, s39
.LBB219_146:                            ;   in Loop: Header=BB219_10 Depth=1
	s_delay_alu instid0(SALU_CYCLE_1)
	s_or_b32 exec_lo, exec_lo, s3
	global_load_u8 v61, v[29:30], off offset:516
	v_dual_mov_b32 v59, 0 :: v_dual_mov_b32 v60, 0
	s_mov_b32 s3, exec_lo
	s_waitcnt vmcnt(0)
	v_cmpx_ne_u16_e32 0, v61
	s_cbranch_execz .LBB219_154
; %bb.147:                              ;   in Loop: Header=BB219_10 Depth=1
	v_bfrev_b32_e32 v60, 1
	s_mov_b32 s39, exec_lo
	v_cmpx_ne_u16_e32 0x80, v61
	s_cbranch_execz .LBB219_153
; %bb.148:                              ;   in Loop: Header=BB219_10 Depth=1
	v_and_b32_e32 v23, 0xffff, v61
	v_mov_b32_e32 v60, 0x7f800001
	s_mov_b32 s40, exec_lo
	s_delay_alu instid0(VALU_DEP_2) | instskip(NEXT) | instid1(VALU_DEP_1)
	v_and_b32_e32 v62, 0x7f, v23
	v_cmpx_ne_u32_e32 0x7f, v62
	s_cbranch_execz .LBB219_152
; %bb.149:                              ;   in Loop: Header=BB219_10 Depth=1
	v_and_b32_e32 v23, 7, v23
	v_lshrrev_b32_e32 v60, 3, v62
	s_mov_b32 s41, exec_lo
	v_cmpx_gt_u32_e32 8, v62
; %bb.150:                              ;   in Loop: Header=BB219_10 Depth=1
	s_delay_alu instid0(VALU_DEP_3) | instskip(NEXT) | instid1(VALU_DEP_1)
	v_clz_i32_u32_e32 v60, v23
	v_min_u32_e32 v60, 32, v60
	s_delay_alu instid0(VALU_DEP_1) | instskip(SKIP_1) | instid1(VALU_DEP_2)
	v_subrev_nc_u32_e32 v62, 28, v60
	v_sub_nc_u32_e32 v60, 29, v60
	v_lshlrev_b64 v[62:63], v62, v[23:24]
	s_delay_alu instid0(VALU_DEP_1)
	v_and_b32_e32 v23, 7, v62
; %bb.151:                              ;   in Loop: Header=BB219_10 Depth=1
	s_or_b32 exec_lo, exec_lo, s41
	v_lshlrev_b32_e32 v61, 24, v61
	s_delay_alu instid0(VALU_DEP_2) | instskip(SKIP_1) | instid1(VALU_DEP_3)
	v_lshlrev_b32_e32 v23, 20, v23
	v_lshl_add_u32 v60, v60, 23, 0x3c000000
	v_and_b32_e32 v61, 0x80000000, v61
	s_delay_alu instid0(VALU_DEP_1)
	v_or3_b32 v60, v23, v61, v60
.LBB219_152:                            ;   in Loop: Header=BB219_10 Depth=1
	s_or_b32 exec_lo, exec_lo, s40
.LBB219_153:                            ;   in Loop: Header=BB219_10 Depth=1
	s_delay_alu instid0(SALU_CYCLE_1)
	s_or_b32 exec_lo, exec_lo, s39
.LBB219_154:                            ;   in Loop: Header=BB219_10 Depth=1
	s_delay_alu instid0(SALU_CYCLE_1) | instskip(SKIP_1) | instid1(VALU_DEP_1)
	s_or_b32 exec_lo, exec_lo, s3
	v_add_co_u32 v29, s1, 0x200, v29
	v_add_co_ci_u32_e64 v30, s1, 0, v30, s1
	s_mov_b32 s3, exec_lo
	global_load_u8 v61, v[29:30], off offset:8
	s_waitcnt vmcnt(0)
	v_cmpx_ne_u16_e32 0, v61
	s_cbranch_execz .LBB219_162
; %bb.155:                              ;   in Loop: Header=BB219_10 Depth=1
	v_bfrev_b32_e32 v59, 1
	s_mov_b32 s39, exec_lo
	v_cmpx_ne_u16_e32 0x80, v61
	s_cbranch_execz .LBB219_161
; %bb.156:                              ;   in Loop: Header=BB219_10 Depth=1
	v_and_b32_e32 v23, 0xffff, v61
	v_mov_b32_e32 v59, 0x7f800001
	s_mov_b32 s40, exec_lo
	s_delay_alu instid0(VALU_DEP_2) | instskip(NEXT) | instid1(VALU_DEP_1)
	v_and_b32_e32 v62, 0x7f, v23
	v_cmpx_ne_u32_e32 0x7f, v62
	s_cbranch_execz .LBB219_160
; %bb.157:                              ;   in Loop: Header=BB219_10 Depth=1
	v_and_b32_e32 v23, 7, v23
	v_lshrrev_b32_e32 v59, 3, v62
	s_mov_b32 s41, exec_lo
	v_cmpx_gt_u32_e32 8, v62
; %bb.158:                              ;   in Loop: Header=BB219_10 Depth=1
	s_delay_alu instid0(VALU_DEP_3) | instskip(NEXT) | instid1(VALU_DEP_1)
	v_clz_i32_u32_e32 v59, v23
	v_min_u32_e32 v59, 32, v59
	s_delay_alu instid0(VALU_DEP_1) | instskip(SKIP_1) | instid1(VALU_DEP_2)
	v_subrev_nc_u32_e32 v62, 28, v59
	v_sub_nc_u32_e32 v59, 29, v59
	v_lshlrev_b64 v[62:63], v62, v[23:24]
	s_delay_alu instid0(VALU_DEP_1)
	v_and_b32_e32 v23, 7, v62
; %bb.159:                              ;   in Loop: Header=BB219_10 Depth=1
	s_or_b32 exec_lo, exec_lo, s41
	v_lshlrev_b32_e32 v61, 24, v61
	s_delay_alu instid0(VALU_DEP_2) | instskip(SKIP_1) | instid1(VALU_DEP_3)
	v_lshlrev_b32_e32 v23, 20, v23
	v_lshl_add_u32 v59, v59, 23, 0x3c000000
	v_and_b32_e32 v61, 0x80000000, v61
	s_delay_alu instid0(VALU_DEP_1)
	v_or3_b32 v59, v23, v61, v59
.LBB219_160:                            ;   in Loop: Header=BB219_10 Depth=1
	s_or_b32 exec_lo, exec_lo, s40
.LBB219_161:                            ;   in Loop: Header=BB219_10 Depth=1
	s_delay_alu instid0(SALU_CYCLE_1)
	s_or_b32 exec_lo, exec_lo, s39
.LBB219_162:                            ;   in Loop: Header=BB219_10 Depth=1
	s_delay_alu instid0(SALU_CYCLE_1)
	s_or_b32 exec_lo, exec_lo, s3
	global_load_u8 v29, v[29:30], off offset:12
	v_mov_b32_e32 v23, 0
	s_mov_b32 s3, exec_lo
	s_waitcnt vmcnt(0)
	v_cmpx_ne_u16_e32 0, v29
	s_cbranch_execz .LBB219_170
; %bb.163:                              ;   in Loop: Header=BB219_10 Depth=1
	v_bfrev_b32_e32 v23, 1
	s_mov_b32 s39, exec_lo
	v_cmpx_ne_u16_e32 0x80, v29
	s_cbranch_execz .LBB219_169
; %bb.164:                              ;   in Loop: Header=BB219_10 Depth=1
	v_and_b32_e32 v30, 0xffff, v29
	v_mov_b32_e32 v23, 0x7f800001
	s_mov_b32 s40, exec_lo
	s_delay_alu instid0(VALU_DEP_2) | instskip(NEXT) | instid1(VALU_DEP_1)
	v_and_b32_e32 v61, 0x7f, v30
	v_cmpx_ne_u32_e32 0x7f, v61
	s_cbranch_execz .LBB219_168
; %bb.165:                              ;   in Loop: Header=BB219_10 Depth=1
	v_and_b32_e32 v23, 7, v30
	v_lshrrev_b32_e32 v30, 3, v61
	s_mov_b32 s41, exec_lo
	v_cmpx_gt_u32_e32 8, v61
; %bb.166:                              ;   in Loop: Header=BB219_10 Depth=1
	s_delay_alu instid0(VALU_DEP_3) | instskip(NEXT) | instid1(VALU_DEP_1)
	v_clz_i32_u32_e32 v30, v23
	v_min_u32_e32 v30, 32, v30
	s_delay_alu instid0(VALU_DEP_1) | instskip(SKIP_1) | instid1(VALU_DEP_2)
	v_subrev_nc_u32_e32 v61, 28, v30
	v_sub_nc_u32_e32 v30, 29, v30
	v_lshlrev_b64 v[61:62], v61, v[23:24]
	s_delay_alu instid0(VALU_DEP_1)
	v_and_b32_e32 v23, 7, v61
; %bb.167:                              ;   in Loop: Header=BB219_10 Depth=1
	s_or_b32 exec_lo, exec_lo, s41
	v_lshlrev_b32_e32 v29, 24, v29
	s_delay_alu instid0(VALU_DEP_2) | instskip(SKIP_1) | instid1(VALU_DEP_3)
	v_lshlrev_b32_e32 v23, 20, v23
	v_lshl_add_u32 v30, v30, 23, 0x3c000000
	v_and_b32_e32 v29, 0x80000000, v29
	s_delay_alu instid0(VALU_DEP_1)
	v_or3_b32 v23, v23, v29, v30
.LBB219_168:                            ;   in Loop: Header=BB219_10 Depth=1
	s_or_b32 exec_lo, exec_lo, s40
.LBB219_169:                            ;   in Loop: Header=BB219_10 Depth=1
	s_delay_alu instid0(SALU_CYCLE_1)
	s_or_b32 exec_lo, exec_lo, s39
.LBB219_170:                            ;   in Loop: Header=BB219_10 Depth=1
	s_delay_alu instid0(SALU_CYCLE_1) | instskip(SKIP_4) | instid1(VALU_DEP_3)
	s_or_b32 exec_lo, exec_lo, s3
	s_waitcnt lgkmcnt(0)
	v_dual_mul_f32 v29, s6, v46 :: v_dual_mul_f32 v30, s6, v44
	v_mul_f32_e32 v31, s6, v31
	v_mul_f32_e32 v23, s6, v23
	;; [unrolled: 1-line block ×3, first 2 shown]
	s_delay_alu instid0(VALU_DEP_1) | instskip(SKIP_1) | instid1(VALU_DEP_2)
	v_dual_mul_f32 v44, s6, v45 :: v_dual_fmac_f32 v29, v1, v30
	v_mul_f32_e32 v30, s6, v48
	v_dual_fmac_f32 v29, v3, v44 :: v_dual_mul_f32 v44, s6, v47
	s_delay_alu instid0(VALU_DEP_1) | instskip(NEXT) | instid1(VALU_DEP_1)
	v_fmac_f32_e32 v29, v4, v30
	v_dual_mul_f32 v30, s6, v50 :: v_dual_fmac_f32 v29, v5, v44
	s_delay_alu instid0(VALU_DEP_1) | instskip(SKIP_1) | instid1(VALU_DEP_2)
	v_dual_mul_f32 v44, s6, v49 :: v_dual_fmac_f32 v29, v6, v30
	v_mul_f32_e32 v30, s6, v52
	v_dual_fmac_f32 v29, v7, v44 :: v_dual_mul_f32 v44, s6, v51
	s_delay_alu instid0(VALU_DEP_1) | instskip(NEXT) | instid1(VALU_DEP_1)
	v_fmac_f32_e32 v29, v8, v30
	v_dual_mul_f32 v30, s6, v54 :: v_dual_fmac_f32 v29, v9, v44
	;; [unrolled: 7-line block ×3, first 2 shown]
	s_delay_alu instid0(VALU_DEP_1) | instskip(SKIP_1) | instid1(VALU_DEP_2)
	v_dual_mul_f32 v44, s6, v57 :: v_dual_fmac_f32 v29, v14, v30
	v_mul_f32_e32 v30, s6, v32
	v_fmac_f32_e32 v29, v15, v44
	s_delay_alu instid0(VALU_DEP_1) | instskip(NEXT) | instid1(VALU_DEP_1)
	v_dual_fmac_f32 v29, v16, v30 :: v_dual_mul_f32 v30, s6, v60
	v_fmac_f32_e32 v29, v17, v31
	v_mul_f32_e32 v31, s6, v59
	s_delay_alu instid0(VALU_DEP_2) | instskip(NEXT) | instid1(VALU_DEP_1)
	v_fmac_f32_e32 v29, v18, v30
	v_fmac_f32_e32 v29, v19, v31
	s_delay_alu instid0(VALU_DEP_1)
	v_fmac_f32_e32 v29, v20, v23
	ds_bpermute_b32 v23, v39, v29
	s_waitcnt lgkmcnt(0)
	v_add_f32_e32 v23, v29, v23
	ds_bpermute_b32 v29, v40, v23
	s_and_saveexec_b32 s3, vcc_lo
	s_cbranch_execz .LBB219_9
; %bb.171:                              ;   in Loop: Header=BB219_10 Depth=1
	s_waitcnt lgkmcnt(0)
	v_add_f32_e32 v23, v23, v29
	v_add_nc_u32_e32 v30, s8, v41
	v_cmp_gt_i32_e64 s1, s33, v41
	s_delay_alu instid0(VALU_DEP_2) | instskip(NEXT) | instid1(VALU_DEP_1)
	v_cvt_f32_i32_e32 v30, v30
	v_mul_f32_e32 v30, s37, v30
	s_delay_alu instid0(VALU_DEP_1) | instskip(NEXT) | instid1(VALU_DEP_1)
	v_cndmask_b32_e64 v29, 0, v30, s0
	v_dual_max_f32 v30, v38, v38 :: v_dual_fmac_f32 v29, s35, v23
	s_delay_alu instid0(VALU_DEP_1) | instskip(SKIP_1) | instid1(VALU_DEP_2)
	v_max_f32_e32 v23, v30, v29
	v_cndmask_b32_e64 v29, 0, v29, s1
	v_cndmask_b32_e64 v38, v38, v23, s1
	ds_store_b32 v42, v29
	s_branch .LBB219_9
.LBB219_172:
	s_or_b32 exec_lo, exec_lo, s9
.LBB219_173:
	s_delay_alu instid0(SALU_CYCLE_1) | instskip(SKIP_4) | instid1(VALU_DEP_4)
	s_or_b32 exec_lo, exec_lo, s7
	v_xor_b32_e32 v1, 16, v35
	v_xor_b32_e32 v3, 8, v35
	v_and_b32_e32 v23, 31, v0
	v_max_f32_e32 v5, v38, v38
	v_cmp_lt_i32_e32 vcc_lo, v1, v37
	v_cndmask_b32_e32 v1, v35, v1, vcc_lo
	v_cmp_lt_i32_e32 vcc_lo, v3, v37
	v_cndmask_b32_e32 v3, v35, v3, vcc_lo
	s_delay_alu instid0(VALU_DEP_1) | instskip(NEXT) | instid1(VALU_DEP_4)
	v_lshlrev_b32_e32 v4, 2, v3
	v_lshlrev_b32_e32 v2, 2, v1
	ds_bpermute_b32 v1, v2, v38
	s_waitcnt lgkmcnt(0)
	v_max_f32_e32 v1, v1, v1
	s_delay_alu instid0(VALU_DEP_1)
	v_max_f32_e32 v1, v5, v1
	v_xor_b32_e32 v5, 4, v35
	ds_bpermute_b32 v3, v4, v1
	v_cmp_lt_i32_e32 vcc_lo, v5, v37
	v_cndmask_b32_e32 v5, v35, v5, vcc_lo
	v_cmp_eq_u32_e32 vcc_lo, 0, v23
	s_delay_alu instid0(VALU_DEP_2) | instskip(SKIP_3) | instid1(VALU_DEP_1)
	v_lshlrev_b32_e32 v7, 2, v5
	v_lshlrev_b32_e32 v5, 2, v33
	s_waitcnt lgkmcnt(0)
	v_max_f32_e32 v3, v3, v3
	v_max_f32_e32 v1, v1, v3
	ds_bpermute_b32 v3, v7, v1
	s_and_saveexec_b32 s0, vcc_lo
	s_cbranch_execz .LBB219_175
; %bb.174:
	s_waitcnt lgkmcnt(0)
	v_max_f32_e32 v3, v3, v3
	v_max_f32_e32 v1, v1, v1
	s_delay_alu instid0(VALU_DEP_1)
	v_max_f32_e32 v1, v1, v3
	ds_store_b32 v5, v1 offset:320
.LBB219_175:
	s_or_b32 exec_lo, exec_lo, s0
	v_cmp_gt_u32_e64 s0, 4, v23
	v_dual_mov_b32 v1, 0xff7fffff :: v_dual_lshlrev_b32 v6, 2, v23
	s_waitcnt lgkmcnt(0)
	s_barrier
	buffer_gl0_inv
	s_and_saveexec_b32 s1, s0
	s_cbranch_execz .LBB219_177
; %bb.176:
	ds_load_b32 v1, v6 offset:320
.LBB219_177:
	s_or_b32 exec_lo, exec_lo, s1
	v_xor_b32_e32 v3, 2, v35
	v_xor_b32_e32 v9, 1, v35
	v_mov_b32_e32 v10, 0
	s_delay_alu instid0(VALU_DEP_3) | instskip(NEXT) | instid1(VALU_DEP_1)
	v_cmp_lt_i32_e64 s1, v3, v37
	v_cndmask_b32_e64 v3, v35, v3, s1
	s_delay_alu instid0(VALU_DEP_4) | instskip(NEXT) | instid1(VALU_DEP_2)
	v_cmp_lt_i32_e64 s1, v9, v37
	v_lshlrev_b32_e32 v8, 2, v3
	s_delay_alu instid0(VALU_DEP_2) | instskip(SKIP_1) | instid1(SALU_CYCLE_1)
	v_cndmask_b32_e64 v9, v35, v9, s1
	s_sub_i32 s1, s21, s4
	s_lshl_b32 s1, s1, 3
	s_waitcnt lgkmcnt(0)
	ds_bpermute_b32 v3, v8, v1
	v_max_f32_e32 v1, v1, v1
	v_lshlrev_b32_e32 v24, 2, v9
	v_lshlrev_b32_e32 v9, 2, v35
	s_add_i32 s1, s1, s36
	s_delay_alu instid0(SALU_CYCLE_1) | instskip(NEXT) | instid1(VALU_DEP_1)
	s_min_i32 s1, s1, s33
	v_and_b32_e32 v9, 0xffffff80, v9
	s_sub_i32 s4, s1, s36
	s_delay_alu instid0(SALU_CYCLE_1) | instskip(SKIP_2) | instid1(VALU_DEP_1)
	v_cmp_gt_i32_e64 s1, s4, v0
	s_waitcnt lgkmcnt(0)
	v_max_f32_e32 v3, v3, v3
	v_max_f32_e32 v1, v1, v3
	ds_bpermute_b32 v3, v24, v1
	s_waitcnt lgkmcnt(0)
	v_max_f32_e32 v3, v3, v3
	s_delay_alu instid0(VALU_DEP_1)
	v_max_f32_e32 v1, v1, v3
	v_lshl_add_u32 v3, v0, 2, 0x160
	ds_bpermute_b32 v1, v9, v1
	s_and_saveexec_b32 s6, s1
	s_cbranch_execz .LBB219_181
; %bb.178:
	v_lshl_add_u32 v11, v0, 2, 0x160
	v_mov_b32_e32 v10, 0
	v_mov_b32_e32 v12, v0
	s_mov_b32 s7, 0
	.p2align	6
.LBB219_179:                            ; =>This Inner Loop Header: Depth=1
	ds_load_b32 v13, v11
	v_add_nc_u32_e32 v12, 0x80, v12
	s_delay_alu instid0(VALU_DEP_1) | instskip(NEXT) | instid1(VALU_DEP_1)
	v_cmp_le_i32_e64 s3, s4, v12
	s_or_b32 s7, s3, s7
	s_waitcnt lgkmcnt(0)
	v_sub_f32_e32 v13, v13, v1
	s_delay_alu instid0(VALU_DEP_1) | instskip(NEXT) | instid1(VALU_DEP_1)
	v_mul_f32_e32 v13, 0x3fb8aa3b, v13
	v_exp_f32_e32 v13, v13
	ds_store_b32 v11, v13
	v_dual_add_f32 v10, v10, v13 :: v_dual_add_nc_u32 v11, 0x200, v11
	s_and_not1_b32 exec_lo, exec_lo, s7
	s_cbranch_execnz .LBB219_179
; %bb.180:
	s_or_b32 exec_lo, exec_lo, s7
.LBB219_181:
	s_delay_alu instid0(SALU_CYCLE_1)
	s_or_b32 exec_lo, exec_lo, s6
	ds_bpermute_b32 v2, v2, v10
	s_waitcnt lgkmcnt(0)
	v_add_f32_e32 v2, v10, v2
	ds_bpermute_b32 v4, v4, v2
	s_waitcnt lgkmcnt(0)
	v_add_f32_e32 v2, v2, v4
	;; [unrolled: 3-line block ×5, first 2 shown]
	s_and_saveexec_b32 s3, vcc_lo
	s_cbranch_execz .LBB219_183
; %bb.182:
	ds_store_b32 v5, v2 offset:336
.LBB219_183:
	s_or_b32 exec_lo, exec_lo, s3
	s_waitcnt lgkmcnt(0)
	s_barrier
	buffer_gl0_inv
	s_and_saveexec_b32 s3, s0
	s_cbranch_execz .LBB219_185
; %bb.184:
	ds_load_b32 v2, v6 offset:336
.LBB219_185:
	s_or_b32 exec_lo, exec_lo, s3
	s_waitcnt lgkmcnt(0)
	ds_bpermute_b32 v4, v8, v2
	s_waitcnt lgkmcnt(0)
	v_add_f32_e32 v2, v2, v4
	ds_bpermute_b32 v4, v24, v2
	s_waitcnt lgkmcnt(0)
	v_add_f32_e32 v2, v2, v4
	ds_bpermute_b32 v2, v9, v2
	s_and_saveexec_b32 s0, s1
	s_cbranch_execz .LBB219_188
; %bb.186:
	s_waitcnt lgkmcnt(0)
	v_add_f32_e32 v4, 0x358637bd, v2
	s_mov_b32 s1, 0
	s_delay_alu instid0(VALU_DEP_1) | instskip(SKIP_1) | instid1(VALU_DEP_2)
	v_div_scale_f32 v5, null, v4, v4, 1.0
	v_div_scale_f32 v8, vcc_lo, 1.0, v4, 1.0
	v_rcp_f32_e32 v6, v5
	s_waitcnt_depctr 0xfff
	v_fma_f32 v7, -v5, v6, 1.0
	s_delay_alu instid0(VALU_DEP_1) | instskip(NEXT) | instid1(VALU_DEP_1)
	v_fmac_f32_e32 v6, v7, v6
	v_mul_f32_e32 v7, v8, v6
	s_delay_alu instid0(VALU_DEP_1) | instskip(NEXT) | instid1(VALU_DEP_1)
	v_fma_f32 v9, -v5, v7, v8
	v_fmac_f32_e32 v7, v9, v6
	s_delay_alu instid0(VALU_DEP_1) | instskip(NEXT) | instid1(VALU_DEP_1)
	v_fma_f32 v5, -v5, v7, v8
	v_div_fmas_f32 v5, v5, v6, v7
	s_delay_alu instid0(VALU_DEP_1)
	v_div_fixup_f32 v4, v5, v4, 1.0
	v_mov_b32_e32 v5, v0
.LBB219_187:                            ; =>This Inner Loop Header: Depth=1
	ds_load_b32 v6, v3
	s_waitcnt lgkmcnt(0)
	v_dual_mul_f32 v6, v4, v6 :: v_dual_add_nc_u32 v5, 0x80, v5
	s_delay_alu instid0(VALU_DEP_1) | instskip(SKIP_3) | instid1(SALU_CYCLE_1)
	v_cmp_le_i32_e32 vcc_lo, s4, v5
	ds_store_b32 v3, v6
	v_add_nc_u32_e32 v3, 0x200, v3
	s_or_b32 s1, vcc_lo, s1
	s_and_not1_b32 exec_lo, exec_lo, s1
	s_cbranch_execnz .LBB219_187
.LBB219_188:
	s_or_b32 exec_lo, exec_lo, s0
	s_mul_i32 s0, s15, s14
	s_waitcnt lgkmcnt(0)
	s_mul_i32 s6, s0, s13
	s_mov_b32 s0, exec_lo
	s_barrier
	buffer_gl0_inv
	v_cmpx_eq_u32_e32 0, v0
	s_cbranch_execz .LBB219_190
; %bb.189:
	s_ashr_i32 s7, s6, 31
	s_mul_i32 s38, s15, s24
	s_lshl_b64 s[8:9], s[6:7], 2
	v_mov_b32_e32 v3, 0
	s_add_u32 s1, s18, s8
	s_addc_u32 s3, s19, s9
	s_ashr_i32 s39, s38, 31
	s_delay_alu instid0(SALU_CYCLE_1) | instskip(NEXT) | instid1(SALU_CYCLE_1)
	s_lshl_b64 s[18:19], s[38:39], 2
	s_add_u32 s1, s1, s18
	s_addc_u32 s3, s3, s19
	s_ashr_i32 s13, s12, 31
	s_delay_alu instid0(SALU_CYCLE_1) | instskip(NEXT) | instid1(SALU_CYCLE_1)
	s_lshl_b64 s[38:39], s[12:13], 2
	s_add_u32 s40, s1, s38
	s_addc_u32 s41, s3, s39
	s_add_u32 s1, s16, s8
	s_addc_u32 s3, s17, s9
	s_add_u32 s1, s1, s18
	s_addc_u32 s3, s3, s19
	s_add_u32 s8, s1, s38
	s_addc_u32 s9, s3, s39
	s_clause 0x1
	global_store_b32 v3, v1, s[40:41]
	global_store_b32 v3, v2, s[8:9]
.LBB219_190:
	s_or_b32 exec_lo, exec_lo, s0
	v_dual_mov_b32 v26, 0 :: v_dual_and_b32 v25, 1, v0
	v_dual_mov_b32 v27, 0 :: v_dual_mov_b32 v28, 0
	v_dual_mov_b32 v29, 0 :: v_dual_mov_b32 v30, 0
	s_mov_b32 s4, 0
	s_and_saveexec_b32 s1, s2
	s_cbranch_execz .LBB219_364
; %bb.191:
	s_load_b32 s7, s[10:11], 0x0
	v_dual_mov_b32 v30, 0 :: v_dual_lshlrev_b32 v7, 4, v25
	v_dual_mov_b32 v29, 0 :: v_dual_and_b32 v4, 0x7c, v34
	s_ashr_i32 s0, s34, 31
	s_mov_b32 s8, s5
	v_lshlrev_b64 v[1:2], 2, v[21:22]
	s_add_u32 s5, s30, s34
	v_lshl_or_b32 v9, v33, 5, v7
	s_addc_u32 s0, s31, s0
	s_lshl_b64 s[2:3], s[28:29], 2
	v_add_co_u32 v7, s5, s5, v4
	v_dual_mov_b32 v6, 0 :: v_dual_and_b32 v3, 4, v34
	v_lshl_add_u32 v5, v33, 3, s36
	s_add_i32 s25, s25, -1
	v_add_co_ci_u32_e64 v8, null, s0, 0, s5
	s_add_u32 s0, s26, s2
	v_dual_mov_b32 v28, 0 :: v_dual_add_nc_u32 v31, 0x160, v9
	s_addc_u32 s2, s27, s3
	v_add_co_u32 v9, vcc_lo, s0, v1
	v_add3_u32 v22, v5, v3, 3
	v_add_co_ci_u32_e32 v10, vcc_lo, s2, v2, vcc_lo
	v_dual_mov_b32 v27, 0 :: v_dual_mov_b32 v26, 0
	s_waitcnt lgkmcnt(0)
	s_mov_b32 s9, s7
	s_brev_b32 s5, 1
	s_mov_b32 s3, 0x7f800001
	s_mov_b32 s10, s4
	s_branch .LBB219_193
.LBB219_192:                            ;   in Loop: Header=BB219_193 Depth=1
	s_or_b32 exec_lo, exec_lo, s0
	s_waitcnt lgkmcnt(0)
	v_mul_f32_e32 v17, v2, v49
	v_mul_f32_e32 v16, v2, v47
	v_add_co_u32 v9, s0, v9, 16
	s_delay_alu instid0(VALU_DEP_3) | instskip(NEXT) | instid1(VALU_DEP_3)
	v_dual_fmac_f32 v17, v1, v48 :: v_dual_add_nc_u32 v22, 32, v22
	v_dual_mul_f32 v15, v2, v43 :: v_dual_fmac_f32 v16, v1, v46
	v_mul_f32_e32 v14, v2, v36
	s_delay_alu instid0(VALU_DEP_3) | instskip(NEXT) | instid1(VALU_DEP_3)
	v_dual_mul_f32 v2, v2, v13 :: v_dual_fmac_f32 v17, v3, v20
	v_dual_fmac_f32 v15, v1, v42 :: v_dual_fmac_f32 v16, v3, v45
	s_delay_alu instid0(VALU_DEP_3) | instskip(NEXT) | instid1(VALU_DEP_3)
	v_fmac_f32_e32 v14, v1, v35
	v_dual_fmac_f32 v2, v1, v12 :: v_dual_add_nc_u32 v21, 4, v21
	s_delay_alu instid0(VALU_DEP_3) | instskip(NEXT) | instid1(VALU_DEP_3)
	v_fmac_f32_e32 v15, v3, v41
	v_dual_fmac_f32 v17, v4, v19 :: v_dual_fmac_f32 v14, v3, v34
	s_delay_alu instid0(VALU_DEP_3) | instskip(SKIP_1) | instid1(VALU_DEP_4)
	v_fmac_f32_e32 v2, v3, v11
	v_fmac_f32_e32 v16, v4, v44
	;; [unrolled: 1-line block ×3, first 2 shown]
	s_delay_alu instid0(VALU_DEP_4) | instskip(NEXT) | instid1(VALU_DEP_4)
	v_dual_add_f32 v27, v27, v17 :: v_dual_fmac_f32 v14, v4, v32
	v_dual_fmac_f32 v2, v4, v5 :: v_dual_add_nc_u32 v31, 0x80, v31
	v_cmp_le_i32_e32 vcc_lo, s21, v21
	s_delay_alu instid0(VALU_DEP_3) | instskip(SKIP_1) | instid1(VALU_DEP_4)
	v_dual_add_f32 v29, v29, v15 :: v_dual_add_f32 v30, v30, v14
	v_add_f32_e32 v28, v28, v16
	v_add_f32_e32 v26, v26, v2
	v_add_co_ci_u32_e64 v10, s0, 0, v10, s0
	s_or_b32 s10, vcc_lo, s10
	s_delay_alu instid0(SALU_CYCLE_1)
	s_and_not1_b32 exec_lo, exec_lo, s10
	s_cbranch_execz .LBB219_363
.LBB219_193:                            ; =>This Inner Loop Header: Depth=1
	global_load_b32 v1, v[9:10], off
	v_mov_b32_e32 v15, 0
	s_mov_b32 s0, exec_lo
	s_waitcnt vmcnt(0)
	v_mad_i64_i32 v[11:12], null, v1, s8, v[7:8]
	ds_load_b128 v[1:4], v31
	global_load_b32 v32, v[11:12], off
	s_waitcnt vmcnt(0)
	v_dual_mov_b32 v16, 0 :: v_dual_and_b32 v5, 0xff, v32
	s_delay_alu instid0(VALU_DEP_1) | instskip(NEXT) | instid1(VALU_DEP_2)
	v_dual_mov_b32 v13, v15 :: v_dual_mov_b32 v14, v16
	v_cmpx_ne_u16_e32 0, v5
	s_cbranch_execz .LBB219_201
; %bb.194:                              ;   in Loop: Header=BB219_193 Depth=1
	v_bfrev_b32_e32 v13, 1
	v_mov_b32_e32 v14, 0
	s_mov_b32 s2, exec_lo
	v_cmpx_ne_u16_e32 0x80, v5
	s_cbranch_execz .LBB219_200
; %bb.195:                              ;   in Loop: Header=BB219_193 Depth=1
	v_mov_b32_e32 v13, 0x7f800001
	v_dual_mov_b32 v14, 0 :: v_dual_and_b32 v17, 0x7f, v32
	s_mov_b32 s11, exec_lo
	s_delay_alu instid0(VALU_DEP_1)
	v_cmpx_ne_u32_e32 0x7f, v17
	s_cbranch_execz .LBB219_199
; %bb.196:                              ;   in Loop: Header=BB219_193 Depth=1
	v_and_b32_e32 v5, 7, v32
	v_lshrrev_b32_e32 v13, 3, v17
	s_mov_b32 s13, exec_lo
	v_cmpx_gt_u32_e32 8, v17
; %bb.197:                              ;   in Loop: Header=BB219_193 Depth=1
	s_delay_alu instid0(VALU_DEP_3) | instskip(NEXT) | instid1(VALU_DEP_1)
	v_clz_i32_u32_e32 v13, v5
	v_min_u32_e32 v13, 32, v13
	s_delay_alu instid0(VALU_DEP_1) | instskip(SKIP_1) | instid1(VALU_DEP_2)
	v_subrev_nc_u32_e32 v14, 28, v13
	v_sub_nc_u32_e32 v13, 29, v13
	v_lshlrev_b64 v[17:18], v14, v[5:6]
	s_delay_alu instid0(VALU_DEP_1)
	v_and_b32_e32 v5, 7, v17
; %bb.198:                              ;   in Loop: Header=BB219_193 Depth=1
	s_or_b32 exec_lo, exec_lo, s13
	v_lshlrev_b32_e32 v14, 24, v32
	s_delay_alu instid0(VALU_DEP_2) | instskip(SKIP_1) | instid1(VALU_DEP_3)
	v_lshlrev_b32_e32 v5, 20, v5
	v_lshl_add_u32 v13, v13, 23, 0x3c000000
	v_and_b32_e32 v14, 0x80000000, v14
	s_delay_alu instid0(VALU_DEP_1) | instskip(NEXT) | instid1(VALU_DEP_1)
	v_or3_b32 v5, v5, v14, v13
	v_dual_mov_b32 v14, v6 :: v_dual_mov_b32 v13, v5
.LBB219_199:                            ;   in Loop: Header=BB219_193 Depth=1
	s_or_b32 exec_lo, exec_lo, s11
.LBB219_200:                            ;   in Loop: Header=BB219_193 Depth=1
	s_delay_alu instid0(SALU_CYCLE_1)
	s_or_b32 exec_lo, exec_lo, s2
.LBB219_201:                            ;   in Loop: Header=BB219_193 Depth=1
	s_delay_alu instid0(SALU_CYCLE_1) | instskip(SKIP_2) | instid1(VALU_DEP_1)
	s_or_b32 exec_lo, exec_lo, s0
	v_lshrrev_b16 v5, 8, v32
	s_mov_b32 s0, exec_lo
	v_cmpx_ne_u16_e32 0, v5
	s_cbranch_execz .LBB219_209
; %bb.202:                              ;   in Loop: Header=BB219_193 Depth=1
	v_dual_mov_b32 v16, s5 :: v_dual_mov_b32 v15, s4
	s_mov_b32 s11, exec_lo
	v_cmpx_ne_u16_e32 0x80, v5
	s_cbranch_execz .LBB219_208
; %bb.203:                              ;   in Loop: Header=BB219_193 Depth=1
	s_mov_b32 s2, s4
	v_dual_mov_b32 v16, s3 :: v_dual_and_b32 v5, 0xffff, v5
	v_mov_b32_e32 v15, s2
	s_mov_b32 s2, exec_lo
	s_delay_alu instid0(VALU_DEP_2) | instskip(NEXT) | instid1(VALU_DEP_1)
	v_and_b32_e32 v17, 0x7f, v5
	v_cmpx_ne_u32_e32 0x7f, v17
	s_cbranch_execz .LBB219_207
; %bb.204:                              ;   in Loop: Header=BB219_193 Depth=1
	v_and_b32_e32 v5, 7, v5
	v_lshrrev_b32_e32 v15, 3, v17
	s_mov_b32 s13, exec_lo
	v_cmpx_gt_u32_e32 8, v17
; %bb.205:                              ;   in Loop: Header=BB219_193 Depth=1
	s_delay_alu instid0(VALU_DEP_3) | instskip(NEXT) | instid1(VALU_DEP_1)
	v_clz_i32_u32_e32 v15, v5
	v_min_u32_e32 v15, 32, v15
	s_delay_alu instid0(VALU_DEP_1) | instskip(SKIP_1) | instid1(VALU_DEP_2)
	v_subrev_nc_u32_e32 v16, 28, v15
	v_sub_nc_u32_e32 v15, 29, v15
	v_lshlrev_b64 v[16:17], v16, v[5:6]
	s_delay_alu instid0(VALU_DEP_1)
	v_and_b32_e32 v5, 7, v16
; %bb.206:                              ;   in Loop: Header=BB219_193 Depth=1
	s_or_b32 exec_lo, exec_lo, s13
	v_lshlrev_b32_e32 v16, 16, v32
	s_delay_alu instid0(VALU_DEP_2) | instskip(SKIP_1) | instid1(VALU_DEP_3)
	v_lshlrev_b32_e32 v5, 20, v5
	v_lshl_add_u32 v15, v15, 23, 0x3c000000
	v_and_b32_e32 v16, 0x80000000, v16
	s_delay_alu instid0(VALU_DEP_1)
	v_or3_b32 v16, v5, v16, v15
	v_mov_b32_e32 v15, v6
.LBB219_207:                            ;   in Loop: Header=BB219_193 Depth=1
	s_or_b32 exec_lo, exec_lo, s2
.LBB219_208:                            ;   in Loop: Header=BB219_193 Depth=1
	s_delay_alu instid0(SALU_CYCLE_1)
	s_or_b32 exec_lo, exec_lo, s11
.LBB219_209:                            ;   in Loop: Header=BB219_193 Depth=1
	s_delay_alu instid0(SALU_CYCLE_1) | instskip(SKIP_4) | instid1(VALU_DEP_2)
	s_or_b32 exec_lo, exec_lo, s0
	v_mov_b32_e32 v19, 0
	v_lshrrev_b32_e32 v34, 16, v32
	v_mov_b32_e32 v20, 0
	s_mov_b32 s0, exec_lo
	v_and_b32_e32 v5, 0xff, v34
	s_delay_alu instid0(VALU_DEP_2) | instskip(NEXT) | instid1(VALU_DEP_2)
	v_dual_mov_b32 v17, v19 :: v_dual_mov_b32 v18, v20
	v_cmpx_ne_u16_e32 0, v5
	s_cbranch_execz .LBB219_217
; %bb.210:                              ;   in Loop: Header=BB219_193 Depth=1
	v_bfrev_b32_e32 v17, 1
	v_mov_b32_e32 v18, 0
	s_mov_b32 s2, exec_lo
	v_cmpx_ne_u16_e32 0x80, v5
	s_cbranch_execz .LBB219_216
; %bb.211:                              ;   in Loop: Header=BB219_193 Depth=1
	v_mov_b32_e32 v17, 0x7f800001
	v_bfe_u32 v35, v32, 16, 7
	v_mov_b32_e32 v18, 0
	s_mov_b32 s11, exec_lo
	s_delay_alu instid0(VALU_DEP_2)
	v_cmpx_ne_u32_e32 0x7f, v35
	s_cbranch_execz .LBB219_215
; %bb.212:                              ;   in Loop: Header=BB219_193 Depth=1
	v_and_b32_e32 v5, 7, v34
	v_lshrrev_b32_e32 v17, 3, v35
	s_mov_b32 s13, exec_lo
	v_cmpx_gt_u32_e32 8, v35
; %bb.213:                              ;   in Loop: Header=BB219_193 Depth=1
	s_delay_alu instid0(VALU_DEP_3) | instskip(NEXT) | instid1(VALU_DEP_1)
	v_clz_i32_u32_e32 v17, v5
	v_min_u32_e32 v17, 32, v17
	s_delay_alu instid0(VALU_DEP_1) | instskip(SKIP_1) | instid1(VALU_DEP_2)
	v_subrev_nc_u32_e32 v18, 28, v17
	v_sub_nc_u32_e32 v17, 29, v17
	v_lshlrev_b64 v[35:36], v18, v[5:6]
	s_delay_alu instid0(VALU_DEP_1)
	v_and_b32_e32 v5, 7, v35
; %bb.214:                              ;   in Loop: Header=BB219_193 Depth=1
	s_or_b32 exec_lo, exec_lo, s13
	v_lshlrev_b32_e32 v18, 24, v34
	s_delay_alu instid0(VALU_DEP_2) | instskip(SKIP_1) | instid1(VALU_DEP_3)
	v_lshlrev_b32_e32 v5, 20, v5
	v_lshl_add_u32 v17, v17, 23, 0x3c000000
	v_and_b32_e32 v18, 0x80000000, v18
	s_delay_alu instid0(VALU_DEP_1) | instskip(NEXT) | instid1(VALU_DEP_1)
	v_or3_b32 v5, v5, v18, v17
	v_dual_mov_b32 v18, v6 :: v_dual_mov_b32 v17, v5
.LBB219_215:                            ;   in Loop: Header=BB219_193 Depth=1
	s_or_b32 exec_lo, exec_lo, s11
.LBB219_216:                            ;   in Loop: Header=BB219_193 Depth=1
	s_delay_alu instid0(SALU_CYCLE_1)
	s_or_b32 exec_lo, exec_lo, s2
.LBB219_217:                            ;   in Loop: Header=BB219_193 Depth=1
	s_delay_alu instid0(SALU_CYCLE_1) | instskip(NEXT) | instid1(SALU_CYCLE_1)
	s_or_b32 exec_lo, exec_lo, s0
	s_mov_b32 s0, exec_lo
	v_cmpx_lt_u32_e32 0xffffff, v32
	s_cbranch_execz .LBB219_225
; %bb.218:                              ;   in Loop: Header=BB219_193 Depth=1
	v_lshrrev_b32_e32 v34, 24, v32
	v_dual_mov_b32 v20, s5 :: v_dual_mov_b32 v19, s4
	s_mov_b32 s11, exec_lo
	s_delay_alu instid0(VALU_DEP_2)
	v_cmpx_ne_u32_e32 0x80, v34
	s_cbranch_execz .LBB219_224
; %bb.219:                              ;   in Loop: Header=BB219_193 Depth=1
	s_mov_b32 s2, s4
	v_bfe_u32 v32, v32, 24, 7
	v_dual_mov_b32 v20, s3 :: v_dual_mov_b32 v19, s2
	s_mov_b32 s2, exec_lo
	s_delay_alu instid0(VALU_DEP_2)
	v_cmpx_ne_u32_e32 0x7f, v32
	s_cbranch_execz .LBB219_223
; %bb.220:                              ;   in Loop: Header=BB219_193 Depth=1
	v_and_b32_e32 v5, 7, v34
	v_lshrrev_b32_e32 v19, 3, v32
	s_mov_b32 s13, exec_lo
	v_cmpx_gt_u32_e32 8, v32
; %bb.221:                              ;   in Loop: Header=BB219_193 Depth=1
	s_delay_alu instid0(VALU_DEP_3) | instskip(NEXT) | instid1(VALU_DEP_1)
	v_clz_i32_u32_e32 v19, v5
	v_min_u32_e32 v19, 32, v19
	s_delay_alu instid0(VALU_DEP_1) | instskip(SKIP_1) | instid1(VALU_DEP_2)
	v_subrev_nc_u32_e32 v20, 28, v19
	v_sub_nc_u32_e32 v19, 29, v19
	v_lshlrev_b64 v[35:36], v20, v[5:6]
	s_delay_alu instid0(VALU_DEP_1)
	v_and_b32_e32 v5, 7, v35
; %bb.222:                              ;   in Loop: Header=BB219_193 Depth=1
	s_or_b32 exec_lo, exec_lo, s13
	v_lshlrev_b32_e32 v20, 24, v34
	s_delay_alu instid0(VALU_DEP_2) | instskip(SKIP_1) | instid1(VALU_DEP_3)
	v_lshlrev_b32_e32 v5, 20, v5
	v_lshl_add_u32 v19, v19, 23, 0x3c000000
	v_and_b32_e32 v20, 0x80000000, v20
	s_delay_alu instid0(VALU_DEP_1)
	v_or3_b32 v20, v5, v20, v19
	v_mov_b32_e32 v19, v6
.LBB219_223:                            ;   in Loop: Header=BB219_193 Depth=1
	s_or_b32 exec_lo, exec_lo, s2
.LBB219_224:                            ;   in Loop: Header=BB219_193 Depth=1
	s_delay_alu instid0(SALU_CYCLE_1)
	s_or_b32 exec_lo, exec_lo, s11
.LBB219_225:                            ;   in Loop: Header=BB219_193 Depth=1
	s_delay_alu instid0(SALU_CYCLE_1) | instskip(SKIP_4) | instid1(VALU_DEP_4)
	s_or_b32 exec_lo, exec_lo, s0
	v_or_b32_e32 v5, v16, v14
	v_or_b32_e32 v13, v15, v13
	;; [unrolled: 1-line block ×4, first 2 shown]
	v_dual_mul_f32 v36, s9, v5 :: v_dual_add_nc_u32 v37, -3, v22
	v_cmp_eq_u32_e32 vcc_lo, s25, v21
	s_delay_alu instid0(VALU_DEP_4) | instskip(NEXT) | instid1(VALU_DEP_4)
	v_dual_mul_f32 v35, s7, v13 :: v_dual_mul_f32 v32, s9, v14
	v_dual_mul_f32 v34, s7, v15 :: v_dual_add_nc_u32 v39, -2, v22
	v_add_nc_u32_e32 v38, -1, v22
	s_and_saveexec_b32 s2, vcc_lo
; %bb.226:                              ;   in Loop: Header=BB219_193 Depth=1
	v_cmp_gt_i32_e64 s0, s33, v37
	s_delay_alu instid0(VALU_DEP_1) | instskip(SKIP_1) | instid1(VALU_DEP_1)
	v_cndmask_b32_e64 v35, 0, v35, s0
	v_cmp_gt_i32_e64 s0, s33, v39
	v_cndmask_b32_e64 v36, 0, v36, s0
	v_cmp_gt_i32_e64 s0, s33, v38
	s_delay_alu instid0(VALU_DEP_1) | instskip(SKIP_1) | instid1(VALU_DEP_1)
	v_cndmask_b32_e64 v34, 0, v34, s0
	v_cmp_gt_i32_e64 s0, s33, v22
	v_cndmask_b32_e64 v32, 0, v32, s0
; %bb.227:                              ;   in Loop: Header=BB219_193 Depth=1
	s_or_b32 exec_lo, exec_lo, s2
	global_load_b32 v40, v[11:12], off offset:128
	v_mov_b32_e32 v15, 0
	v_mov_b32_e32 v16, 0
	s_mov_b32 s2, exec_lo
	s_waitcnt vmcnt(0)
	v_and_b32_e32 v5, 0xff, v40
	s_delay_alu instid0(VALU_DEP_2) | instskip(NEXT) | instid1(VALU_DEP_2)
	v_dual_mov_b32 v13, v15 :: v_dual_mov_b32 v14, v16
	v_cmpx_ne_u16_e32 0, v5
	s_cbranch_execz .LBB219_235
; %bb.228:                              ;   in Loop: Header=BB219_193 Depth=1
	v_bfrev_b32_e32 v13, 1
	v_mov_b32_e32 v14, 0
	s_mov_b32 s11, exec_lo
	v_cmpx_ne_u16_e32 0x80, v5
	s_cbranch_execz .LBB219_234
; %bb.229:                              ;   in Loop: Header=BB219_193 Depth=1
	v_mov_b32_e32 v13, 0x7f800001
	v_dual_mov_b32 v14, 0 :: v_dual_and_b32 v17, 0x7f, v40
	s_mov_b32 s13, exec_lo
	s_delay_alu instid0(VALU_DEP_1)
	v_cmpx_ne_u32_e32 0x7f, v17
	s_cbranch_execz .LBB219_233
; %bb.230:                              ;   in Loop: Header=BB219_193 Depth=1
	v_and_b32_e32 v5, 7, v40
	v_lshrrev_b32_e32 v13, 3, v17
	s_mov_b32 s14, exec_lo
	v_cmpx_gt_u32_e32 8, v17
; %bb.231:                              ;   in Loop: Header=BB219_193 Depth=1
	s_delay_alu instid0(VALU_DEP_3) | instskip(NEXT) | instid1(VALU_DEP_1)
	v_clz_i32_u32_e32 v13, v5
	v_min_u32_e32 v13, 32, v13
	s_delay_alu instid0(VALU_DEP_1) | instskip(SKIP_1) | instid1(VALU_DEP_2)
	v_subrev_nc_u32_e32 v14, 28, v13
	v_sub_nc_u32_e32 v13, 29, v13
	v_lshlrev_b64 v[17:18], v14, v[5:6]
	s_delay_alu instid0(VALU_DEP_1)
	v_and_b32_e32 v5, 7, v17
; %bb.232:                              ;   in Loop: Header=BB219_193 Depth=1
	s_or_b32 exec_lo, exec_lo, s14
	v_lshlrev_b32_e32 v14, 24, v40
	s_delay_alu instid0(VALU_DEP_2) | instskip(SKIP_1) | instid1(VALU_DEP_3)
	v_lshlrev_b32_e32 v5, 20, v5
	v_lshl_add_u32 v13, v13, 23, 0x3c000000
	v_and_b32_e32 v14, 0x80000000, v14
	s_delay_alu instid0(VALU_DEP_1) | instskip(NEXT) | instid1(VALU_DEP_1)
	v_or3_b32 v5, v5, v14, v13
	v_dual_mov_b32 v14, v6 :: v_dual_mov_b32 v13, v5
.LBB219_233:                            ;   in Loop: Header=BB219_193 Depth=1
	s_or_b32 exec_lo, exec_lo, s13
.LBB219_234:                            ;   in Loop: Header=BB219_193 Depth=1
	s_delay_alu instid0(SALU_CYCLE_1)
	s_or_b32 exec_lo, exec_lo, s11
.LBB219_235:                            ;   in Loop: Header=BB219_193 Depth=1
	s_delay_alu instid0(SALU_CYCLE_1) | instskip(SKIP_2) | instid1(VALU_DEP_1)
	s_or_b32 exec_lo, exec_lo, s2
	v_lshrrev_b16 v5, 8, v40
	s_mov_b32 s11, exec_lo
	v_cmpx_ne_u16_e32 0, v5
	s_cbranch_execz .LBB219_243
; %bb.236:                              ;   in Loop: Header=BB219_193 Depth=1
	v_dual_mov_b32 v16, s5 :: v_dual_mov_b32 v15, s4
	s_mov_b32 s13, exec_lo
	v_cmpx_ne_u16_e32 0x80, v5
	s_cbranch_execz .LBB219_242
; %bb.237:                              ;   in Loop: Header=BB219_193 Depth=1
	s_mov_b32 s2, s4
	v_dual_mov_b32 v16, s3 :: v_dual_and_b32 v5, 0xffff, v5
	v_mov_b32_e32 v15, s2
	s_mov_b32 s2, exec_lo
	s_delay_alu instid0(VALU_DEP_2) | instskip(NEXT) | instid1(VALU_DEP_1)
	v_and_b32_e32 v17, 0x7f, v5
	v_cmpx_ne_u32_e32 0x7f, v17
	s_cbranch_execz .LBB219_241
; %bb.238:                              ;   in Loop: Header=BB219_193 Depth=1
	v_and_b32_e32 v5, 7, v5
	v_lshrrev_b32_e32 v15, 3, v17
	s_mov_b32 s14, exec_lo
	v_cmpx_gt_u32_e32 8, v17
; %bb.239:                              ;   in Loop: Header=BB219_193 Depth=1
	s_delay_alu instid0(VALU_DEP_3) | instskip(NEXT) | instid1(VALU_DEP_1)
	v_clz_i32_u32_e32 v15, v5
	v_min_u32_e32 v15, 32, v15
	s_delay_alu instid0(VALU_DEP_1) | instskip(SKIP_1) | instid1(VALU_DEP_2)
	v_subrev_nc_u32_e32 v16, 28, v15
	v_sub_nc_u32_e32 v15, 29, v15
	v_lshlrev_b64 v[16:17], v16, v[5:6]
	s_delay_alu instid0(VALU_DEP_1)
	v_and_b32_e32 v5, 7, v16
; %bb.240:                              ;   in Loop: Header=BB219_193 Depth=1
	s_or_b32 exec_lo, exec_lo, s14
	v_lshlrev_b32_e32 v16, 16, v40
	s_delay_alu instid0(VALU_DEP_2) | instskip(SKIP_1) | instid1(VALU_DEP_3)
	v_lshlrev_b32_e32 v5, 20, v5
	v_lshl_add_u32 v15, v15, 23, 0x3c000000
	v_and_b32_e32 v16, 0x80000000, v16
	s_delay_alu instid0(VALU_DEP_1)
	v_or3_b32 v16, v5, v16, v15
	v_mov_b32_e32 v15, v6
.LBB219_241:                            ;   in Loop: Header=BB219_193 Depth=1
	s_or_b32 exec_lo, exec_lo, s2
.LBB219_242:                            ;   in Loop: Header=BB219_193 Depth=1
	s_delay_alu instid0(SALU_CYCLE_1)
	s_or_b32 exec_lo, exec_lo, s13
.LBB219_243:                            ;   in Loop: Header=BB219_193 Depth=1
	s_delay_alu instid0(SALU_CYCLE_1) | instskip(SKIP_4) | instid1(VALU_DEP_2)
	s_or_b32 exec_lo, exec_lo, s11
	v_mov_b32_e32 v19, 0
	v_lshrrev_b32_e32 v41, 16, v40
	v_mov_b32_e32 v20, 0
	s_mov_b32 s2, exec_lo
	v_and_b32_e32 v5, 0xff, v41
	s_delay_alu instid0(VALU_DEP_2) | instskip(NEXT) | instid1(VALU_DEP_2)
	v_dual_mov_b32 v17, v19 :: v_dual_mov_b32 v18, v20
	v_cmpx_ne_u16_e32 0, v5
	s_cbranch_execz .LBB219_251
; %bb.244:                              ;   in Loop: Header=BB219_193 Depth=1
	v_bfrev_b32_e32 v17, 1
	v_mov_b32_e32 v18, 0
	s_mov_b32 s11, exec_lo
	v_cmpx_ne_u16_e32 0x80, v5
	s_cbranch_execz .LBB219_250
; %bb.245:                              ;   in Loop: Header=BB219_193 Depth=1
	v_mov_b32_e32 v17, 0x7f800001
	v_bfe_u32 v42, v40, 16, 7
	v_mov_b32_e32 v18, 0
	s_mov_b32 s13, exec_lo
	s_delay_alu instid0(VALU_DEP_2)
	v_cmpx_ne_u32_e32 0x7f, v42
	s_cbranch_execz .LBB219_249
; %bb.246:                              ;   in Loop: Header=BB219_193 Depth=1
	v_and_b32_e32 v5, 7, v41
	v_lshrrev_b32_e32 v17, 3, v42
	s_mov_b32 s14, exec_lo
	v_cmpx_gt_u32_e32 8, v42
; %bb.247:                              ;   in Loop: Header=BB219_193 Depth=1
	s_delay_alu instid0(VALU_DEP_3) | instskip(NEXT) | instid1(VALU_DEP_1)
	v_clz_i32_u32_e32 v17, v5
	v_min_u32_e32 v17, 32, v17
	s_delay_alu instid0(VALU_DEP_1) | instskip(SKIP_1) | instid1(VALU_DEP_2)
	v_subrev_nc_u32_e32 v18, 28, v17
	v_sub_nc_u32_e32 v17, 29, v17
	v_lshlrev_b64 v[42:43], v18, v[5:6]
	s_delay_alu instid0(VALU_DEP_1)
	v_and_b32_e32 v5, 7, v42
; %bb.248:                              ;   in Loop: Header=BB219_193 Depth=1
	s_or_b32 exec_lo, exec_lo, s14
	v_lshlrev_b32_e32 v18, 24, v41
	s_delay_alu instid0(VALU_DEP_2) | instskip(SKIP_1) | instid1(VALU_DEP_3)
	v_lshlrev_b32_e32 v5, 20, v5
	v_lshl_add_u32 v17, v17, 23, 0x3c000000
	v_and_b32_e32 v18, 0x80000000, v18
	s_delay_alu instid0(VALU_DEP_1) | instskip(NEXT) | instid1(VALU_DEP_1)
	v_or3_b32 v5, v5, v18, v17
	v_dual_mov_b32 v18, v6 :: v_dual_mov_b32 v17, v5
.LBB219_249:                            ;   in Loop: Header=BB219_193 Depth=1
	s_or_b32 exec_lo, exec_lo, s13
.LBB219_250:                            ;   in Loop: Header=BB219_193 Depth=1
	s_delay_alu instid0(SALU_CYCLE_1)
	s_or_b32 exec_lo, exec_lo, s11
.LBB219_251:                            ;   in Loop: Header=BB219_193 Depth=1
	s_delay_alu instid0(SALU_CYCLE_1) | instskip(NEXT) | instid1(SALU_CYCLE_1)
	s_or_b32 exec_lo, exec_lo, s2
	s_mov_b32 s11, exec_lo
	v_cmpx_lt_u32_e32 0xffffff, v40
	s_cbranch_execz .LBB219_259
; %bb.252:                              ;   in Loop: Header=BB219_193 Depth=1
	v_lshrrev_b32_e32 v41, 24, v40
	v_dual_mov_b32 v20, s5 :: v_dual_mov_b32 v19, s4
	s_mov_b32 s13, exec_lo
	s_delay_alu instid0(VALU_DEP_2)
	v_cmpx_ne_u32_e32 0x80, v41
	s_cbranch_execz .LBB219_258
; %bb.253:                              ;   in Loop: Header=BB219_193 Depth=1
	s_mov_b32 s2, s4
	v_bfe_u32 v40, v40, 24, 7
	v_dual_mov_b32 v20, s3 :: v_dual_mov_b32 v19, s2
	s_mov_b32 s2, exec_lo
	s_delay_alu instid0(VALU_DEP_2)
	v_cmpx_ne_u32_e32 0x7f, v40
	s_cbranch_execz .LBB219_257
; %bb.254:                              ;   in Loop: Header=BB219_193 Depth=1
	v_and_b32_e32 v5, 7, v41
	v_lshrrev_b32_e32 v19, 3, v40
	s_mov_b32 s14, exec_lo
	v_cmpx_gt_u32_e32 8, v40
; %bb.255:                              ;   in Loop: Header=BB219_193 Depth=1
	s_delay_alu instid0(VALU_DEP_3) | instskip(NEXT) | instid1(VALU_DEP_1)
	v_clz_i32_u32_e32 v19, v5
	v_min_u32_e32 v19, 32, v19
	s_delay_alu instid0(VALU_DEP_1) | instskip(SKIP_1) | instid1(VALU_DEP_2)
	v_subrev_nc_u32_e32 v20, 28, v19
	v_sub_nc_u32_e32 v19, 29, v19
	v_lshlrev_b64 v[42:43], v20, v[5:6]
	s_delay_alu instid0(VALU_DEP_1)
	v_and_b32_e32 v5, 7, v42
; %bb.256:                              ;   in Loop: Header=BB219_193 Depth=1
	s_or_b32 exec_lo, exec_lo, s14
	v_lshlrev_b32_e32 v20, 24, v41
	s_delay_alu instid0(VALU_DEP_2) | instskip(SKIP_1) | instid1(VALU_DEP_3)
	v_lshlrev_b32_e32 v5, 20, v5
	v_lshl_add_u32 v19, v19, 23, 0x3c000000
	v_and_b32_e32 v20, 0x80000000, v20
	s_delay_alu instid0(VALU_DEP_1)
	v_or3_b32 v20, v5, v20, v19
	v_mov_b32_e32 v19, v6
.LBB219_257:                            ;   in Loop: Header=BB219_193 Depth=1
	s_or_b32 exec_lo, exec_lo, s2
.LBB219_258:                            ;   in Loop: Header=BB219_193 Depth=1
	s_delay_alu instid0(SALU_CYCLE_1)
	s_or_b32 exec_lo, exec_lo, s13
.LBB219_259:                            ;   in Loop: Header=BB219_193 Depth=1
	s_delay_alu instid0(SALU_CYCLE_1) | instskip(SKIP_4) | instid1(VALU_DEP_4)
	s_or_b32 exec_lo, exec_lo, s11
	v_or_b32_e32 v5, v16, v14
	v_or_b32_e32 v13, v15, v13
	;; [unrolled: 1-line block ×4, first 2 shown]
	v_mul_f32_e32 v43, s9, v5
	s_delay_alu instid0(VALU_DEP_4) | instskip(NEXT) | instid1(VALU_DEP_3)
	v_mul_f32_e32 v42, s7, v13
	v_dual_mul_f32 v40, s9, v14 :: v_dual_mul_f32 v41, s7, v15
	s_and_saveexec_b32 s2, vcc_lo
; %bb.260:                              ;   in Loop: Header=BB219_193 Depth=1
	v_cmp_gt_i32_e64 s0, s33, v37
	s_delay_alu instid0(VALU_DEP_1) | instskip(SKIP_1) | instid1(VALU_DEP_1)
	v_cndmask_b32_e64 v42, 0, v42, s0
	v_cmp_gt_i32_e64 s0, s33, v39
	v_cndmask_b32_e64 v43, 0, v43, s0
	v_cmp_gt_i32_e64 s0, s33, v38
	s_delay_alu instid0(VALU_DEP_1) | instskip(SKIP_1) | instid1(VALU_DEP_1)
	v_cndmask_b32_e64 v41, 0, v41, s0
	v_cmp_gt_i32_e64 s0, s33, v22
	v_cndmask_b32_e64 v40, 0, v40, s0
; %bb.261:                              ;   in Loop: Header=BB219_193 Depth=1
	s_or_b32 exec_lo, exec_lo, s2
	global_load_b32 v44, v[11:12], off offset:256
	v_mov_b32_e32 v15, 0
	v_mov_b32_e32 v16, 0
	s_mov_b32 s2, exec_lo
	s_waitcnt vmcnt(0)
	v_and_b32_e32 v5, 0xff, v44
	s_delay_alu instid0(VALU_DEP_2) | instskip(NEXT) | instid1(VALU_DEP_2)
	v_dual_mov_b32 v13, v15 :: v_dual_mov_b32 v14, v16
	v_cmpx_ne_u16_e32 0, v5
	s_cbranch_execz .LBB219_269
; %bb.262:                              ;   in Loop: Header=BB219_193 Depth=1
	v_bfrev_b32_e32 v13, 1
	v_mov_b32_e32 v14, 0
	s_mov_b32 s11, exec_lo
	v_cmpx_ne_u16_e32 0x80, v5
	s_cbranch_execz .LBB219_268
; %bb.263:                              ;   in Loop: Header=BB219_193 Depth=1
	v_mov_b32_e32 v13, 0x7f800001
	v_dual_mov_b32 v14, 0 :: v_dual_and_b32 v17, 0x7f, v44
	s_mov_b32 s13, exec_lo
	s_delay_alu instid0(VALU_DEP_1)
	v_cmpx_ne_u32_e32 0x7f, v17
	s_cbranch_execz .LBB219_267
; %bb.264:                              ;   in Loop: Header=BB219_193 Depth=1
	v_and_b32_e32 v5, 7, v44
	v_lshrrev_b32_e32 v13, 3, v17
	s_mov_b32 s14, exec_lo
	v_cmpx_gt_u32_e32 8, v17
; %bb.265:                              ;   in Loop: Header=BB219_193 Depth=1
	s_delay_alu instid0(VALU_DEP_3) | instskip(NEXT) | instid1(VALU_DEP_1)
	v_clz_i32_u32_e32 v13, v5
	v_min_u32_e32 v13, 32, v13
	s_delay_alu instid0(VALU_DEP_1) | instskip(SKIP_1) | instid1(VALU_DEP_2)
	v_subrev_nc_u32_e32 v14, 28, v13
	v_sub_nc_u32_e32 v13, 29, v13
	v_lshlrev_b64 v[17:18], v14, v[5:6]
	s_delay_alu instid0(VALU_DEP_1)
	v_and_b32_e32 v5, 7, v17
; %bb.266:                              ;   in Loop: Header=BB219_193 Depth=1
	s_or_b32 exec_lo, exec_lo, s14
	v_lshlrev_b32_e32 v14, 24, v44
	s_delay_alu instid0(VALU_DEP_2) | instskip(SKIP_1) | instid1(VALU_DEP_3)
	v_lshlrev_b32_e32 v5, 20, v5
	v_lshl_add_u32 v13, v13, 23, 0x3c000000
	v_and_b32_e32 v14, 0x80000000, v14
	s_delay_alu instid0(VALU_DEP_1) | instskip(NEXT) | instid1(VALU_DEP_1)
	v_or3_b32 v5, v5, v14, v13
	v_dual_mov_b32 v14, v6 :: v_dual_mov_b32 v13, v5
.LBB219_267:                            ;   in Loop: Header=BB219_193 Depth=1
	s_or_b32 exec_lo, exec_lo, s13
.LBB219_268:                            ;   in Loop: Header=BB219_193 Depth=1
	s_delay_alu instid0(SALU_CYCLE_1)
	s_or_b32 exec_lo, exec_lo, s11
.LBB219_269:                            ;   in Loop: Header=BB219_193 Depth=1
	s_delay_alu instid0(SALU_CYCLE_1) | instskip(SKIP_2) | instid1(VALU_DEP_1)
	s_or_b32 exec_lo, exec_lo, s2
	v_lshrrev_b16 v5, 8, v44
	s_mov_b32 s11, exec_lo
	v_cmpx_ne_u16_e32 0, v5
	s_cbranch_execz .LBB219_277
; %bb.270:                              ;   in Loop: Header=BB219_193 Depth=1
	v_dual_mov_b32 v16, s5 :: v_dual_mov_b32 v15, s4
	s_mov_b32 s13, exec_lo
	v_cmpx_ne_u16_e32 0x80, v5
	s_cbranch_execz .LBB219_276
; %bb.271:                              ;   in Loop: Header=BB219_193 Depth=1
	s_mov_b32 s2, s4
	v_dual_mov_b32 v16, s3 :: v_dual_and_b32 v5, 0xffff, v5
	v_mov_b32_e32 v15, s2
	s_mov_b32 s2, exec_lo
	s_delay_alu instid0(VALU_DEP_2) | instskip(NEXT) | instid1(VALU_DEP_1)
	v_and_b32_e32 v17, 0x7f, v5
	v_cmpx_ne_u32_e32 0x7f, v17
	s_cbranch_execz .LBB219_275
; %bb.272:                              ;   in Loop: Header=BB219_193 Depth=1
	v_and_b32_e32 v5, 7, v5
	v_lshrrev_b32_e32 v15, 3, v17
	s_mov_b32 s14, exec_lo
	v_cmpx_gt_u32_e32 8, v17
; %bb.273:                              ;   in Loop: Header=BB219_193 Depth=1
	s_delay_alu instid0(VALU_DEP_3) | instskip(NEXT) | instid1(VALU_DEP_1)
	v_clz_i32_u32_e32 v15, v5
	v_min_u32_e32 v15, 32, v15
	s_delay_alu instid0(VALU_DEP_1) | instskip(SKIP_1) | instid1(VALU_DEP_2)
	v_subrev_nc_u32_e32 v16, 28, v15
	v_sub_nc_u32_e32 v15, 29, v15
	v_lshlrev_b64 v[16:17], v16, v[5:6]
	s_delay_alu instid0(VALU_DEP_1)
	v_and_b32_e32 v5, 7, v16
; %bb.274:                              ;   in Loop: Header=BB219_193 Depth=1
	s_or_b32 exec_lo, exec_lo, s14
	v_lshlrev_b32_e32 v16, 16, v44
	s_delay_alu instid0(VALU_DEP_2) | instskip(SKIP_1) | instid1(VALU_DEP_3)
	v_lshlrev_b32_e32 v5, 20, v5
	v_lshl_add_u32 v15, v15, 23, 0x3c000000
	v_and_b32_e32 v16, 0x80000000, v16
	s_delay_alu instid0(VALU_DEP_1)
	v_or3_b32 v16, v5, v16, v15
	v_mov_b32_e32 v15, v6
.LBB219_275:                            ;   in Loop: Header=BB219_193 Depth=1
	s_or_b32 exec_lo, exec_lo, s2
.LBB219_276:                            ;   in Loop: Header=BB219_193 Depth=1
	s_delay_alu instid0(SALU_CYCLE_1)
	s_or_b32 exec_lo, exec_lo, s13
.LBB219_277:                            ;   in Loop: Header=BB219_193 Depth=1
	s_delay_alu instid0(SALU_CYCLE_1) | instskip(SKIP_4) | instid1(VALU_DEP_2)
	s_or_b32 exec_lo, exec_lo, s11
	v_mov_b32_e32 v19, 0
	v_lshrrev_b32_e32 v45, 16, v44
	v_mov_b32_e32 v20, 0
	s_mov_b32 s2, exec_lo
	v_and_b32_e32 v5, 0xff, v45
	s_delay_alu instid0(VALU_DEP_2) | instskip(NEXT) | instid1(VALU_DEP_2)
	v_dual_mov_b32 v17, v19 :: v_dual_mov_b32 v18, v20
	v_cmpx_ne_u16_e32 0, v5
	s_cbranch_execz .LBB219_285
; %bb.278:                              ;   in Loop: Header=BB219_193 Depth=1
	v_bfrev_b32_e32 v17, 1
	v_mov_b32_e32 v18, 0
	s_mov_b32 s11, exec_lo
	v_cmpx_ne_u16_e32 0x80, v5
	s_cbranch_execz .LBB219_284
; %bb.279:                              ;   in Loop: Header=BB219_193 Depth=1
	v_mov_b32_e32 v17, 0x7f800001
	v_bfe_u32 v46, v44, 16, 7
	v_mov_b32_e32 v18, 0
	s_mov_b32 s13, exec_lo
	s_delay_alu instid0(VALU_DEP_2)
	v_cmpx_ne_u32_e32 0x7f, v46
	s_cbranch_execz .LBB219_283
; %bb.280:                              ;   in Loop: Header=BB219_193 Depth=1
	v_and_b32_e32 v5, 7, v45
	v_lshrrev_b32_e32 v17, 3, v46
	s_mov_b32 s14, exec_lo
	v_cmpx_gt_u32_e32 8, v46
; %bb.281:                              ;   in Loop: Header=BB219_193 Depth=1
	s_delay_alu instid0(VALU_DEP_3) | instskip(NEXT) | instid1(VALU_DEP_1)
	v_clz_i32_u32_e32 v17, v5
	v_min_u32_e32 v17, 32, v17
	s_delay_alu instid0(VALU_DEP_1) | instskip(SKIP_1) | instid1(VALU_DEP_2)
	v_subrev_nc_u32_e32 v18, 28, v17
	v_sub_nc_u32_e32 v17, 29, v17
	v_lshlrev_b64 v[46:47], v18, v[5:6]
	s_delay_alu instid0(VALU_DEP_1)
	v_and_b32_e32 v5, 7, v46
; %bb.282:                              ;   in Loop: Header=BB219_193 Depth=1
	s_or_b32 exec_lo, exec_lo, s14
	v_lshlrev_b32_e32 v18, 24, v45
	s_delay_alu instid0(VALU_DEP_2) | instskip(SKIP_1) | instid1(VALU_DEP_3)
	v_lshlrev_b32_e32 v5, 20, v5
	v_lshl_add_u32 v17, v17, 23, 0x3c000000
	v_and_b32_e32 v18, 0x80000000, v18
	s_delay_alu instid0(VALU_DEP_1) | instskip(NEXT) | instid1(VALU_DEP_1)
	v_or3_b32 v5, v5, v18, v17
	v_dual_mov_b32 v18, v6 :: v_dual_mov_b32 v17, v5
.LBB219_283:                            ;   in Loop: Header=BB219_193 Depth=1
	s_or_b32 exec_lo, exec_lo, s13
.LBB219_284:                            ;   in Loop: Header=BB219_193 Depth=1
	s_delay_alu instid0(SALU_CYCLE_1)
	s_or_b32 exec_lo, exec_lo, s11
.LBB219_285:                            ;   in Loop: Header=BB219_193 Depth=1
	s_delay_alu instid0(SALU_CYCLE_1) | instskip(NEXT) | instid1(SALU_CYCLE_1)
	s_or_b32 exec_lo, exec_lo, s2
	s_mov_b32 s11, exec_lo
	v_cmpx_lt_u32_e32 0xffffff, v44
	s_cbranch_execz .LBB219_293
; %bb.286:                              ;   in Loop: Header=BB219_193 Depth=1
	v_lshrrev_b32_e32 v45, 24, v44
	v_dual_mov_b32 v20, s5 :: v_dual_mov_b32 v19, s4
	s_mov_b32 s13, exec_lo
	s_delay_alu instid0(VALU_DEP_2)
	v_cmpx_ne_u32_e32 0x80, v45
	s_cbranch_execz .LBB219_292
; %bb.287:                              ;   in Loop: Header=BB219_193 Depth=1
	s_mov_b32 s2, s4
	v_bfe_u32 v44, v44, 24, 7
	v_dual_mov_b32 v20, s3 :: v_dual_mov_b32 v19, s2
	s_mov_b32 s2, exec_lo
	s_delay_alu instid0(VALU_DEP_2)
	v_cmpx_ne_u32_e32 0x7f, v44
	s_cbranch_execz .LBB219_291
; %bb.288:                              ;   in Loop: Header=BB219_193 Depth=1
	v_and_b32_e32 v5, 7, v45
	v_lshrrev_b32_e32 v19, 3, v44
	s_mov_b32 s14, exec_lo
	v_cmpx_gt_u32_e32 8, v44
; %bb.289:                              ;   in Loop: Header=BB219_193 Depth=1
	s_delay_alu instid0(VALU_DEP_3) | instskip(NEXT) | instid1(VALU_DEP_1)
	v_clz_i32_u32_e32 v19, v5
	v_min_u32_e32 v19, 32, v19
	s_delay_alu instid0(VALU_DEP_1) | instskip(SKIP_1) | instid1(VALU_DEP_2)
	v_subrev_nc_u32_e32 v20, 28, v19
	v_sub_nc_u32_e32 v19, 29, v19
	v_lshlrev_b64 v[46:47], v20, v[5:6]
	s_delay_alu instid0(VALU_DEP_1)
	v_and_b32_e32 v5, 7, v46
; %bb.290:                              ;   in Loop: Header=BB219_193 Depth=1
	s_or_b32 exec_lo, exec_lo, s14
	v_lshlrev_b32_e32 v20, 24, v45
	s_delay_alu instid0(VALU_DEP_2) | instskip(SKIP_1) | instid1(VALU_DEP_3)
	v_lshlrev_b32_e32 v5, 20, v5
	v_lshl_add_u32 v19, v19, 23, 0x3c000000
	v_and_b32_e32 v20, 0x80000000, v20
	s_delay_alu instid0(VALU_DEP_1)
	v_or3_b32 v20, v5, v20, v19
	v_mov_b32_e32 v19, v6
.LBB219_291:                            ;   in Loop: Header=BB219_193 Depth=1
	s_or_b32 exec_lo, exec_lo, s2
.LBB219_292:                            ;   in Loop: Header=BB219_193 Depth=1
	s_delay_alu instid0(SALU_CYCLE_1)
	s_or_b32 exec_lo, exec_lo, s13
.LBB219_293:                            ;   in Loop: Header=BB219_193 Depth=1
	s_delay_alu instid0(SALU_CYCLE_1) | instskip(SKIP_4) | instid1(VALU_DEP_4)
	s_or_b32 exec_lo, exec_lo, s11
	v_or_b32_e32 v5, v16, v14
	v_or_b32_e32 v13, v15, v13
	;; [unrolled: 1-line block ×4, first 2 shown]
	v_mul_f32_e32 v47, s9, v5
	s_delay_alu instid0(VALU_DEP_4) | instskip(NEXT) | instid1(VALU_DEP_3)
	v_mul_f32_e32 v46, s7, v13
	v_dual_mul_f32 v44, s9, v14 :: v_dual_mul_f32 v45, s7, v15
	s_and_saveexec_b32 s2, vcc_lo
; %bb.294:                              ;   in Loop: Header=BB219_193 Depth=1
	v_cmp_gt_i32_e64 s0, s33, v37
	s_delay_alu instid0(VALU_DEP_1) | instskip(SKIP_1) | instid1(VALU_DEP_1)
	v_cndmask_b32_e64 v46, 0, v46, s0
	v_cmp_gt_i32_e64 s0, s33, v39
	v_cndmask_b32_e64 v47, 0, v47, s0
	v_cmp_gt_i32_e64 s0, s33, v38
	s_delay_alu instid0(VALU_DEP_1) | instskip(SKIP_1) | instid1(VALU_DEP_1)
	v_cndmask_b32_e64 v45, 0, v45, s0
	v_cmp_gt_i32_e64 s0, s33, v22
	v_cndmask_b32_e64 v44, 0, v44, s0
; %bb.295:                              ;   in Loop: Header=BB219_193 Depth=1
	s_or_b32 exec_lo, exec_lo, s2
	global_load_b32 v48, v[11:12], off offset:384
	v_mov_b32_e32 v15, 0
	v_mov_b32_e32 v16, 0
	s_mov_b32 s2, exec_lo
	s_waitcnt vmcnt(0)
	v_and_b32_e32 v5, 0xff, v48
	s_delay_alu instid0(VALU_DEP_2) | instskip(NEXT) | instid1(VALU_DEP_2)
	v_dual_mov_b32 v13, v15 :: v_dual_mov_b32 v14, v16
	v_cmpx_ne_u16_e32 0, v5
	s_cbranch_execz .LBB219_303
; %bb.296:                              ;   in Loop: Header=BB219_193 Depth=1
	v_bfrev_b32_e32 v13, 1
	v_mov_b32_e32 v14, 0
	s_mov_b32 s11, exec_lo
	v_cmpx_ne_u16_e32 0x80, v5
	s_cbranch_execz .LBB219_302
; %bb.297:                              ;   in Loop: Header=BB219_193 Depth=1
	v_mov_b32_e32 v13, 0x7f800001
	v_dual_mov_b32 v14, 0 :: v_dual_and_b32 v17, 0x7f, v48
	s_mov_b32 s13, exec_lo
	s_delay_alu instid0(VALU_DEP_1)
	v_cmpx_ne_u32_e32 0x7f, v17
	s_cbranch_execz .LBB219_301
; %bb.298:                              ;   in Loop: Header=BB219_193 Depth=1
	v_and_b32_e32 v5, 7, v48
	v_lshrrev_b32_e32 v13, 3, v17
	s_mov_b32 s14, exec_lo
	v_cmpx_gt_u32_e32 8, v17
; %bb.299:                              ;   in Loop: Header=BB219_193 Depth=1
	s_delay_alu instid0(VALU_DEP_3) | instskip(NEXT) | instid1(VALU_DEP_1)
	v_clz_i32_u32_e32 v13, v5
	v_min_u32_e32 v13, 32, v13
	s_delay_alu instid0(VALU_DEP_1) | instskip(SKIP_1) | instid1(VALU_DEP_2)
	v_subrev_nc_u32_e32 v14, 28, v13
	v_sub_nc_u32_e32 v13, 29, v13
	v_lshlrev_b64 v[17:18], v14, v[5:6]
	s_delay_alu instid0(VALU_DEP_1)
	v_and_b32_e32 v5, 7, v17
; %bb.300:                              ;   in Loop: Header=BB219_193 Depth=1
	s_or_b32 exec_lo, exec_lo, s14
	v_lshlrev_b32_e32 v14, 24, v48
	s_delay_alu instid0(VALU_DEP_2) | instskip(SKIP_1) | instid1(VALU_DEP_3)
	v_lshlrev_b32_e32 v5, 20, v5
	v_lshl_add_u32 v13, v13, 23, 0x3c000000
	v_and_b32_e32 v14, 0x80000000, v14
	s_delay_alu instid0(VALU_DEP_1) | instskip(NEXT) | instid1(VALU_DEP_1)
	v_or3_b32 v5, v5, v14, v13
	v_dual_mov_b32 v14, v6 :: v_dual_mov_b32 v13, v5
.LBB219_301:                            ;   in Loop: Header=BB219_193 Depth=1
	s_or_b32 exec_lo, exec_lo, s13
.LBB219_302:                            ;   in Loop: Header=BB219_193 Depth=1
	s_delay_alu instid0(SALU_CYCLE_1)
	s_or_b32 exec_lo, exec_lo, s11
.LBB219_303:                            ;   in Loop: Header=BB219_193 Depth=1
	s_delay_alu instid0(SALU_CYCLE_1) | instskip(SKIP_2) | instid1(VALU_DEP_1)
	s_or_b32 exec_lo, exec_lo, s2
	v_lshrrev_b16 v5, 8, v48
	s_mov_b32 s11, exec_lo
	v_cmpx_ne_u16_e32 0, v5
	s_cbranch_execz .LBB219_311
; %bb.304:                              ;   in Loop: Header=BB219_193 Depth=1
	v_dual_mov_b32 v16, s5 :: v_dual_mov_b32 v15, s4
	s_mov_b32 s13, exec_lo
	v_cmpx_ne_u16_e32 0x80, v5
	s_cbranch_execz .LBB219_310
; %bb.305:                              ;   in Loop: Header=BB219_193 Depth=1
	s_mov_b32 s2, s4
	v_dual_mov_b32 v16, s3 :: v_dual_and_b32 v5, 0xffff, v5
	v_mov_b32_e32 v15, s2
	s_mov_b32 s2, exec_lo
	s_delay_alu instid0(VALU_DEP_2) | instskip(NEXT) | instid1(VALU_DEP_1)
	v_and_b32_e32 v17, 0x7f, v5
	v_cmpx_ne_u32_e32 0x7f, v17
	s_cbranch_execz .LBB219_309
; %bb.306:                              ;   in Loop: Header=BB219_193 Depth=1
	v_and_b32_e32 v5, 7, v5
	v_lshrrev_b32_e32 v15, 3, v17
	s_mov_b32 s14, exec_lo
	v_cmpx_gt_u32_e32 8, v17
; %bb.307:                              ;   in Loop: Header=BB219_193 Depth=1
	s_delay_alu instid0(VALU_DEP_3) | instskip(NEXT) | instid1(VALU_DEP_1)
	v_clz_i32_u32_e32 v15, v5
	v_min_u32_e32 v15, 32, v15
	s_delay_alu instid0(VALU_DEP_1) | instskip(SKIP_1) | instid1(VALU_DEP_2)
	v_subrev_nc_u32_e32 v16, 28, v15
	v_sub_nc_u32_e32 v15, 29, v15
	v_lshlrev_b64 v[16:17], v16, v[5:6]
	s_delay_alu instid0(VALU_DEP_1)
	v_and_b32_e32 v5, 7, v16
; %bb.308:                              ;   in Loop: Header=BB219_193 Depth=1
	s_or_b32 exec_lo, exec_lo, s14
	v_lshlrev_b32_e32 v16, 16, v48
	s_delay_alu instid0(VALU_DEP_2) | instskip(SKIP_1) | instid1(VALU_DEP_3)
	v_lshlrev_b32_e32 v5, 20, v5
	v_lshl_add_u32 v15, v15, 23, 0x3c000000
	v_and_b32_e32 v16, 0x80000000, v16
	s_delay_alu instid0(VALU_DEP_1)
	v_or3_b32 v16, v5, v16, v15
	v_mov_b32_e32 v15, v6
.LBB219_309:                            ;   in Loop: Header=BB219_193 Depth=1
	s_or_b32 exec_lo, exec_lo, s2
.LBB219_310:                            ;   in Loop: Header=BB219_193 Depth=1
	s_delay_alu instid0(SALU_CYCLE_1)
	s_or_b32 exec_lo, exec_lo, s13
.LBB219_311:                            ;   in Loop: Header=BB219_193 Depth=1
	s_delay_alu instid0(SALU_CYCLE_1) | instskip(SKIP_4) | instid1(VALU_DEP_2)
	s_or_b32 exec_lo, exec_lo, s11
	v_mov_b32_e32 v19, 0
	v_lshrrev_b32_e32 v49, 16, v48
	v_mov_b32_e32 v20, 0
	s_mov_b32 s2, exec_lo
	v_and_b32_e32 v5, 0xff, v49
	s_delay_alu instid0(VALU_DEP_2) | instskip(NEXT) | instid1(VALU_DEP_2)
	v_dual_mov_b32 v17, v19 :: v_dual_mov_b32 v18, v20
	v_cmpx_ne_u16_e32 0, v5
	s_cbranch_execz .LBB219_319
; %bb.312:                              ;   in Loop: Header=BB219_193 Depth=1
	v_bfrev_b32_e32 v17, 1
	v_mov_b32_e32 v18, 0
	s_mov_b32 s11, exec_lo
	v_cmpx_ne_u16_e32 0x80, v5
	s_cbranch_execz .LBB219_318
; %bb.313:                              ;   in Loop: Header=BB219_193 Depth=1
	v_mov_b32_e32 v17, 0x7f800001
	v_bfe_u32 v50, v48, 16, 7
	v_mov_b32_e32 v18, 0
	s_mov_b32 s13, exec_lo
	s_delay_alu instid0(VALU_DEP_2)
	v_cmpx_ne_u32_e32 0x7f, v50
	s_cbranch_execz .LBB219_317
; %bb.314:                              ;   in Loop: Header=BB219_193 Depth=1
	v_and_b32_e32 v5, 7, v49
	v_lshrrev_b32_e32 v17, 3, v50
	s_mov_b32 s14, exec_lo
	v_cmpx_gt_u32_e32 8, v50
; %bb.315:                              ;   in Loop: Header=BB219_193 Depth=1
	s_delay_alu instid0(VALU_DEP_3) | instskip(NEXT) | instid1(VALU_DEP_1)
	v_clz_i32_u32_e32 v17, v5
	v_min_u32_e32 v17, 32, v17
	s_delay_alu instid0(VALU_DEP_1) | instskip(SKIP_1) | instid1(VALU_DEP_2)
	v_subrev_nc_u32_e32 v18, 28, v17
	v_sub_nc_u32_e32 v17, 29, v17
	v_lshlrev_b64 v[50:51], v18, v[5:6]
	s_delay_alu instid0(VALU_DEP_1)
	v_and_b32_e32 v5, 7, v50
; %bb.316:                              ;   in Loop: Header=BB219_193 Depth=1
	s_or_b32 exec_lo, exec_lo, s14
	v_lshlrev_b32_e32 v18, 24, v49
	s_delay_alu instid0(VALU_DEP_2) | instskip(SKIP_1) | instid1(VALU_DEP_3)
	v_lshlrev_b32_e32 v5, 20, v5
	v_lshl_add_u32 v17, v17, 23, 0x3c000000
	v_and_b32_e32 v18, 0x80000000, v18
	s_delay_alu instid0(VALU_DEP_1) | instskip(NEXT) | instid1(VALU_DEP_1)
	v_or3_b32 v5, v5, v18, v17
	v_dual_mov_b32 v18, v6 :: v_dual_mov_b32 v17, v5
.LBB219_317:                            ;   in Loop: Header=BB219_193 Depth=1
	s_or_b32 exec_lo, exec_lo, s13
.LBB219_318:                            ;   in Loop: Header=BB219_193 Depth=1
	s_delay_alu instid0(SALU_CYCLE_1)
	s_or_b32 exec_lo, exec_lo, s11
.LBB219_319:                            ;   in Loop: Header=BB219_193 Depth=1
	s_delay_alu instid0(SALU_CYCLE_1) | instskip(NEXT) | instid1(SALU_CYCLE_1)
	s_or_b32 exec_lo, exec_lo, s2
	s_mov_b32 s11, exec_lo
	v_cmpx_lt_u32_e32 0xffffff, v48
	s_cbranch_execz .LBB219_327
; %bb.320:                              ;   in Loop: Header=BB219_193 Depth=1
	v_lshrrev_b32_e32 v49, 24, v48
	v_dual_mov_b32 v20, s5 :: v_dual_mov_b32 v19, s4
	s_mov_b32 s13, exec_lo
	s_delay_alu instid0(VALU_DEP_2)
	v_cmpx_ne_u32_e32 0x80, v49
	s_cbranch_execz .LBB219_326
; %bb.321:                              ;   in Loop: Header=BB219_193 Depth=1
	s_mov_b32 s2, s4
	v_bfe_u32 v48, v48, 24, 7
	v_dual_mov_b32 v20, s3 :: v_dual_mov_b32 v19, s2
	s_mov_b32 s2, exec_lo
	s_delay_alu instid0(VALU_DEP_2)
	v_cmpx_ne_u32_e32 0x7f, v48
	s_cbranch_execz .LBB219_325
; %bb.322:                              ;   in Loop: Header=BB219_193 Depth=1
	v_and_b32_e32 v5, 7, v49
	v_lshrrev_b32_e32 v19, 3, v48
	s_mov_b32 s14, exec_lo
	v_cmpx_gt_u32_e32 8, v48
; %bb.323:                              ;   in Loop: Header=BB219_193 Depth=1
	s_delay_alu instid0(VALU_DEP_3) | instskip(NEXT) | instid1(VALU_DEP_1)
	v_clz_i32_u32_e32 v19, v5
	v_min_u32_e32 v19, 32, v19
	s_delay_alu instid0(VALU_DEP_1) | instskip(SKIP_1) | instid1(VALU_DEP_2)
	v_subrev_nc_u32_e32 v20, 28, v19
	v_sub_nc_u32_e32 v19, 29, v19
	v_lshlrev_b64 v[50:51], v20, v[5:6]
	s_delay_alu instid0(VALU_DEP_1)
	v_and_b32_e32 v5, 7, v50
; %bb.324:                              ;   in Loop: Header=BB219_193 Depth=1
	s_or_b32 exec_lo, exec_lo, s14
	v_lshlrev_b32_e32 v20, 24, v49
	s_delay_alu instid0(VALU_DEP_2) | instskip(SKIP_1) | instid1(VALU_DEP_3)
	v_lshlrev_b32_e32 v5, 20, v5
	v_lshl_add_u32 v19, v19, 23, 0x3c000000
	v_and_b32_e32 v20, 0x80000000, v20
	s_delay_alu instid0(VALU_DEP_1)
	v_or3_b32 v20, v5, v20, v19
	v_mov_b32_e32 v19, v6
.LBB219_325:                            ;   in Loop: Header=BB219_193 Depth=1
	s_or_b32 exec_lo, exec_lo, s2
.LBB219_326:                            ;   in Loop: Header=BB219_193 Depth=1
	s_delay_alu instid0(SALU_CYCLE_1)
	s_or_b32 exec_lo, exec_lo, s13
.LBB219_327:                            ;   in Loop: Header=BB219_193 Depth=1
	s_delay_alu instid0(SALU_CYCLE_1) | instskip(SKIP_4) | instid1(VALU_DEP_4)
	s_or_b32 exec_lo, exec_lo, s11
	v_or_b32_e32 v5, v16, v14
	v_or_b32_e32 v13, v15, v13
	;; [unrolled: 1-line block ×4, first 2 shown]
	v_mul_f32_e32 v49, s9, v5
	s_delay_alu instid0(VALU_DEP_3) | instskip(NEXT) | instid1(VALU_DEP_3)
	v_dual_mul_f32 v48, s7, v13 :: v_dual_mul_f32 v19, s9, v14
	v_mul_f32_e32 v20, s7, v15
	s_and_saveexec_b32 s2, vcc_lo
; %bb.328:                              ;   in Loop: Header=BB219_193 Depth=1
	v_cmp_gt_i32_e64 s0, s33, v37
	s_delay_alu instid0(VALU_DEP_1) | instskip(SKIP_1) | instid1(VALU_DEP_1)
	v_cndmask_b32_e64 v48, 0, v48, s0
	v_cmp_gt_i32_e64 s0, s33, v39
	v_cndmask_b32_e64 v49, 0, v49, s0
	v_cmp_gt_i32_e64 s0, s33, v38
	s_delay_alu instid0(VALU_DEP_1) | instskip(SKIP_1) | instid1(VALU_DEP_1)
	v_cndmask_b32_e64 v20, 0, v20, s0
	v_cmp_gt_i32_e64 s0, s33, v22
	v_cndmask_b32_e64 v19, 0, v19, s0
; %bb.329:                              ;   in Loop: Header=BB219_193 Depth=1
	s_or_b32 exec_lo, exec_lo, s2
	global_load_b32 v50, v[11:12], off offset:512
	v_mov_b32_e32 v13, 0
	v_mov_b32_e32 v14, 0
	s_mov_b32 s2, exec_lo
	s_waitcnt vmcnt(0)
	v_and_b32_e32 v5, 0xff, v50
	s_delay_alu instid0(VALU_DEP_2) | instskip(NEXT) | instid1(VALU_DEP_2)
	v_dual_mov_b32 v11, v13 :: v_dual_mov_b32 v12, v14
	v_cmpx_ne_u16_e32 0, v5
	s_cbranch_execz .LBB219_337
; %bb.330:                              ;   in Loop: Header=BB219_193 Depth=1
	v_bfrev_b32_e32 v11, 1
	v_mov_b32_e32 v12, 0
	s_mov_b32 s11, exec_lo
	v_cmpx_ne_u16_e32 0x80, v5
	s_cbranch_execz .LBB219_336
; %bb.331:                              ;   in Loop: Header=BB219_193 Depth=1
	v_mov_b32_e32 v11, 0x7f800001
	v_dual_mov_b32 v12, 0 :: v_dual_and_b32 v15, 0x7f, v50
	s_mov_b32 s13, exec_lo
	s_delay_alu instid0(VALU_DEP_1)
	v_cmpx_ne_u32_e32 0x7f, v15
	s_cbranch_execz .LBB219_335
; %bb.332:                              ;   in Loop: Header=BB219_193 Depth=1
	v_and_b32_e32 v5, 7, v50
	v_lshrrev_b32_e32 v11, 3, v15
	s_mov_b32 s14, exec_lo
	v_cmpx_gt_u32_e32 8, v15
; %bb.333:                              ;   in Loop: Header=BB219_193 Depth=1
	s_delay_alu instid0(VALU_DEP_3) | instskip(NEXT) | instid1(VALU_DEP_1)
	v_clz_i32_u32_e32 v11, v5
	v_min_u32_e32 v11, 32, v11
	s_delay_alu instid0(VALU_DEP_1) | instskip(SKIP_1) | instid1(VALU_DEP_2)
	v_subrev_nc_u32_e32 v12, 28, v11
	v_sub_nc_u32_e32 v11, 29, v11
	v_lshlrev_b64 v[15:16], v12, v[5:6]
	s_delay_alu instid0(VALU_DEP_1)
	v_and_b32_e32 v5, 7, v15
; %bb.334:                              ;   in Loop: Header=BB219_193 Depth=1
	s_or_b32 exec_lo, exec_lo, s14
	v_lshlrev_b32_e32 v12, 24, v50
	s_delay_alu instid0(VALU_DEP_2) | instskip(SKIP_1) | instid1(VALU_DEP_3)
	v_lshlrev_b32_e32 v5, 20, v5
	v_lshl_add_u32 v11, v11, 23, 0x3c000000
	v_and_b32_e32 v12, 0x80000000, v12
	s_delay_alu instid0(VALU_DEP_1) | instskip(NEXT) | instid1(VALU_DEP_1)
	v_or3_b32 v5, v5, v12, v11
	v_dual_mov_b32 v12, v6 :: v_dual_mov_b32 v11, v5
.LBB219_335:                            ;   in Loop: Header=BB219_193 Depth=1
	s_or_b32 exec_lo, exec_lo, s13
.LBB219_336:                            ;   in Loop: Header=BB219_193 Depth=1
	s_delay_alu instid0(SALU_CYCLE_1)
	s_or_b32 exec_lo, exec_lo, s11
.LBB219_337:                            ;   in Loop: Header=BB219_193 Depth=1
	s_delay_alu instid0(SALU_CYCLE_1) | instskip(SKIP_2) | instid1(VALU_DEP_1)
	s_or_b32 exec_lo, exec_lo, s2
	v_lshrrev_b16 v5, 8, v50
	s_mov_b32 s11, exec_lo
	v_cmpx_ne_u16_e32 0, v5
	s_cbranch_execz .LBB219_345
; %bb.338:                              ;   in Loop: Header=BB219_193 Depth=1
	v_dual_mov_b32 v14, s5 :: v_dual_mov_b32 v13, s4
	s_mov_b32 s13, exec_lo
	v_cmpx_ne_u16_e32 0x80, v5
	s_cbranch_execz .LBB219_344
; %bb.339:                              ;   in Loop: Header=BB219_193 Depth=1
	s_mov_b32 s2, s4
	v_dual_mov_b32 v14, s3 :: v_dual_and_b32 v5, 0xffff, v5
	v_mov_b32_e32 v13, s2
	s_mov_b32 s2, exec_lo
	s_delay_alu instid0(VALU_DEP_2) | instskip(NEXT) | instid1(VALU_DEP_1)
	v_and_b32_e32 v15, 0x7f, v5
	v_cmpx_ne_u32_e32 0x7f, v15
	s_cbranch_execz .LBB219_343
; %bb.340:                              ;   in Loop: Header=BB219_193 Depth=1
	v_and_b32_e32 v5, 7, v5
	v_lshrrev_b32_e32 v13, 3, v15
	s_mov_b32 s14, exec_lo
	v_cmpx_gt_u32_e32 8, v15
; %bb.341:                              ;   in Loop: Header=BB219_193 Depth=1
	s_delay_alu instid0(VALU_DEP_3) | instskip(NEXT) | instid1(VALU_DEP_1)
	v_clz_i32_u32_e32 v13, v5
	v_min_u32_e32 v13, 32, v13
	s_delay_alu instid0(VALU_DEP_1) | instskip(SKIP_1) | instid1(VALU_DEP_2)
	v_subrev_nc_u32_e32 v14, 28, v13
	v_sub_nc_u32_e32 v13, 29, v13
	v_lshlrev_b64 v[14:15], v14, v[5:6]
	s_delay_alu instid0(VALU_DEP_1)
	v_and_b32_e32 v5, 7, v14
; %bb.342:                              ;   in Loop: Header=BB219_193 Depth=1
	s_or_b32 exec_lo, exec_lo, s14
	v_lshlrev_b32_e32 v14, 16, v50
	s_delay_alu instid0(VALU_DEP_2) | instskip(SKIP_1) | instid1(VALU_DEP_3)
	v_lshlrev_b32_e32 v5, 20, v5
	v_lshl_add_u32 v13, v13, 23, 0x3c000000
	v_and_b32_e32 v14, 0x80000000, v14
	s_delay_alu instid0(VALU_DEP_1)
	v_or3_b32 v14, v5, v14, v13
	v_mov_b32_e32 v13, v6
.LBB219_343:                            ;   in Loop: Header=BB219_193 Depth=1
	s_or_b32 exec_lo, exec_lo, s2
.LBB219_344:                            ;   in Loop: Header=BB219_193 Depth=1
	s_delay_alu instid0(SALU_CYCLE_1)
	s_or_b32 exec_lo, exec_lo, s13
.LBB219_345:                            ;   in Loop: Header=BB219_193 Depth=1
	s_delay_alu instid0(SALU_CYCLE_1) | instskip(SKIP_4) | instid1(VALU_DEP_2)
	s_or_b32 exec_lo, exec_lo, s11
	v_mov_b32_e32 v17, 0
	v_lshrrev_b32_e32 v51, 16, v50
	v_mov_b32_e32 v18, 0
	s_mov_b32 s2, exec_lo
	v_and_b32_e32 v5, 0xff, v51
	s_delay_alu instid0(VALU_DEP_2) | instskip(NEXT) | instid1(VALU_DEP_2)
	v_dual_mov_b32 v15, v17 :: v_dual_mov_b32 v16, v18
	v_cmpx_ne_u16_e32 0, v5
	s_cbranch_execz .LBB219_353
; %bb.346:                              ;   in Loop: Header=BB219_193 Depth=1
	v_bfrev_b32_e32 v15, 1
	v_mov_b32_e32 v16, 0
	s_mov_b32 s11, exec_lo
	v_cmpx_ne_u16_e32 0x80, v5
	s_cbranch_execz .LBB219_352
; %bb.347:                              ;   in Loop: Header=BB219_193 Depth=1
	v_mov_b32_e32 v15, 0x7f800001
	v_bfe_u32 v52, v50, 16, 7
	v_mov_b32_e32 v16, 0
	s_mov_b32 s13, exec_lo
	s_delay_alu instid0(VALU_DEP_2)
	v_cmpx_ne_u32_e32 0x7f, v52
	s_cbranch_execz .LBB219_351
; %bb.348:                              ;   in Loop: Header=BB219_193 Depth=1
	v_and_b32_e32 v5, 7, v51
	v_lshrrev_b32_e32 v15, 3, v52
	s_mov_b32 s14, exec_lo
	v_cmpx_gt_u32_e32 8, v52
; %bb.349:                              ;   in Loop: Header=BB219_193 Depth=1
	s_delay_alu instid0(VALU_DEP_3) | instskip(NEXT) | instid1(VALU_DEP_1)
	v_clz_i32_u32_e32 v15, v5
	v_min_u32_e32 v15, 32, v15
	s_delay_alu instid0(VALU_DEP_1) | instskip(SKIP_1) | instid1(VALU_DEP_2)
	v_subrev_nc_u32_e32 v16, 28, v15
	v_sub_nc_u32_e32 v15, 29, v15
	v_lshlrev_b64 v[52:53], v16, v[5:6]
	s_delay_alu instid0(VALU_DEP_1)
	v_and_b32_e32 v5, 7, v52
; %bb.350:                              ;   in Loop: Header=BB219_193 Depth=1
	s_or_b32 exec_lo, exec_lo, s14
	v_lshlrev_b32_e32 v16, 24, v51
	s_delay_alu instid0(VALU_DEP_2) | instskip(SKIP_1) | instid1(VALU_DEP_3)
	v_lshlrev_b32_e32 v5, 20, v5
	v_lshl_add_u32 v15, v15, 23, 0x3c000000
	v_and_b32_e32 v16, 0x80000000, v16
	s_delay_alu instid0(VALU_DEP_1) | instskip(NEXT) | instid1(VALU_DEP_1)
	v_or3_b32 v5, v5, v16, v15
	v_dual_mov_b32 v16, v6 :: v_dual_mov_b32 v15, v5
.LBB219_351:                            ;   in Loop: Header=BB219_193 Depth=1
	s_or_b32 exec_lo, exec_lo, s13
.LBB219_352:                            ;   in Loop: Header=BB219_193 Depth=1
	s_delay_alu instid0(SALU_CYCLE_1)
	s_or_b32 exec_lo, exec_lo, s11
.LBB219_353:                            ;   in Loop: Header=BB219_193 Depth=1
	s_delay_alu instid0(SALU_CYCLE_1) | instskip(NEXT) | instid1(SALU_CYCLE_1)
	s_or_b32 exec_lo, exec_lo, s2
	s_mov_b32 s11, exec_lo
	v_cmpx_lt_u32_e32 0xffffff, v50
	s_cbranch_execz .LBB219_361
; %bb.354:                              ;   in Loop: Header=BB219_193 Depth=1
	v_lshrrev_b32_e32 v51, 24, v50
	v_dual_mov_b32 v18, s5 :: v_dual_mov_b32 v17, s4
	s_mov_b32 s13, exec_lo
	s_delay_alu instid0(VALU_DEP_2)
	v_cmpx_ne_u32_e32 0x80, v51
	s_cbranch_execz .LBB219_360
; %bb.355:                              ;   in Loop: Header=BB219_193 Depth=1
	s_mov_b32 s2, s4
	v_bfe_u32 v50, v50, 24, 7
	v_dual_mov_b32 v18, s3 :: v_dual_mov_b32 v17, s2
	s_mov_b32 s2, exec_lo
	s_delay_alu instid0(VALU_DEP_2)
	v_cmpx_ne_u32_e32 0x7f, v50
	s_cbranch_execz .LBB219_359
; %bb.356:                              ;   in Loop: Header=BB219_193 Depth=1
	v_and_b32_e32 v5, 7, v51
	v_lshrrev_b32_e32 v17, 3, v50
	s_mov_b32 s14, exec_lo
	v_cmpx_gt_u32_e32 8, v50
; %bb.357:                              ;   in Loop: Header=BB219_193 Depth=1
	s_delay_alu instid0(VALU_DEP_3) | instskip(NEXT) | instid1(VALU_DEP_1)
	v_clz_i32_u32_e32 v17, v5
	v_min_u32_e32 v17, 32, v17
	s_delay_alu instid0(VALU_DEP_1) | instskip(SKIP_1) | instid1(VALU_DEP_2)
	v_subrev_nc_u32_e32 v18, 28, v17
	v_sub_nc_u32_e32 v17, 29, v17
	v_lshlrev_b64 v[52:53], v18, v[5:6]
	s_delay_alu instid0(VALU_DEP_1)
	v_and_b32_e32 v5, 7, v52
; %bb.358:                              ;   in Loop: Header=BB219_193 Depth=1
	s_or_b32 exec_lo, exec_lo, s14
	v_lshlrev_b32_e32 v18, 24, v51
	s_delay_alu instid0(VALU_DEP_2) | instskip(SKIP_1) | instid1(VALU_DEP_3)
	v_lshlrev_b32_e32 v5, 20, v5
	v_lshl_add_u32 v17, v17, 23, 0x3c000000
	v_and_b32_e32 v18, 0x80000000, v18
	s_delay_alu instid0(VALU_DEP_1)
	v_or3_b32 v18, v5, v18, v17
	v_mov_b32_e32 v17, v6
.LBB219_359:                            ;   in Loop: Header=BB219_193 Depth=1
	s_or_b32 exec_lo, exec_lo, s2
.LBB219_360:                            ;   in Loop: Header=BB219_193 Depth=1
	s_delay_alu instid0(SALU_CYCLE_1)
	s_or_b32 exec_lo, exec_lo, s13
.LBB219_361:                            ;   in Loop: Header=BB219_193 Depth=1
	s_delay_alu instid0(SALU_CYCLE_1) | instskip(SKIP_4) | instid1(VALU_DEP_3)
	s_or_b32 exec_lo, exec_lo, s11
	v_or_b32_e32 v5, v14, v12
	v_or_b32_e32 v11, v13, v11
	;; [unrolled: 1-line block ×4, first 2 shown]
	v_dual_mul_f32 v13, s9, v5 :: v_dual_mul_f32 v12, s7, v11
	s_delay_alu instid0(VALU_DEP_3) | instskip(NEXT) | instid1(VALU_DEP_3)
	v_mul_f32_e32 v5, s9, v14
	v_mul_f32_e32 v11, s7, v15
	s_and_saveexec_b32 s0, vcc_lo
	s_cbranch_execz .LBB219_192
; %bb.362:                              ;   in Loop: Header=BB219_193 Depth=1
	v_cmp_gt_i32_e32 vcc_lo, s33, v37
	v_cndmask_b32_e32 v12, 0, v12, vcc_lo
	v_cmp_gt_i32_e32 vcc_lo, s33, v39
	v_cndmask_b32_e32 v13, 0, v13, vcc_lo
	;; [unrolled: 2-line block ×4, first 2 shown]
	s_branch .LBB219_192
.LBB219_363:
	s_or_b32 exec_lo, exec_lo, s10
.LBB219_364:
	s_delay_alu instid0(SALU_CYCLE_1)
	s_or_b32 exec_lo, exec_lo, s1
	ds_bpermute_b32 v1, v24, v30
	ds_bpermute_b32 v2, v24, v29
	;; [unrolled: 1-line block ×5, first 2 shown]
	v_and_b32_e32 v4, 0x3c1, v0
	v_lshrrev_b32_e32 v6, 1, v23
	s_movk_i32 s0, 0x140
	s_waitcnt lgkmcnt(0)
	s_waitcnt_vscnt null, 0x0
	v_mad_u32_u24 v7, v33, s0, 0x160
	s_barrier
	buffer_gl0_inv
	v_add_f32_e32 v5, v30, v1
	v_cmp_eq_u32_e32 vcc_lo, 64, v4
	v_dual_add_f32 v4, v29, v2 :: v_dual_add_f32 v3, v28, v3
	v_dual_add_f32 v2, v27, v8 :: v_dual_add_f32 v1, v26, v9
	v_lshlrev_b32_e32 v8, 2, v6
	s_and_saveexec_b32 s0, vcc_lo
	s_cbranch_execz .LBB219_366
; %bb.365:
	s_delay_alu instid0(VALU_DEP_1)
	v_add3_u32 v9, v7, v8, 0xfffffd80
	ds_store_2addr_b32 v9, v5, v4 offset1:16
	ds_store_2addr_b32 v9, v3, v2 offset0:32 offset1:48
	ds_store_b32 v9, v1 offset:256
.LBB219_366:
	s_or_b32 exec_lo, exec_lo, s0
	v_cmp_eq_u32_e32 vcc_lo, 0, v25
	s_mov_b32 s1, exec_lo
	s_waitcnt lgkmcnt(0)
	s_barrier
	buffer_gl0_inv
	v_cmpx_gt_u32_e32 64, v0
	s_cbranch_execz .LBB219_374
; %bb.367:
	s_and_saveexec_b32 s0, vcc_lo
	s_cbranch_execnz .LBB219_387
; %bb.368:
	s_or_b32 exec_lo, exec_lo, s0
	s_and_saveexec_b32 s0, vcc_lo
	s_cbranch_execnz .LBB219_388
.LBB219_369:
	s_or_b32 exec_lo, exec_lo, s0
	s_and_saveexec_b32 s0, vcc_lo
	s_cbranch_execnz .LBB219_389
.LBB219_370:
	s_or_b32 exec_lo, exec_lo, s0
	s_and_saveexec_b32 s0, vcc_lo
	s_cbranch_execnz .LBB219_390
.LBB219_371:
	s_or_b32 exec_lo, exec_lo, s0
	s_and_saveexec_b32 s0, vcc_lo
	s_cbranch_execz .LBB219_373
.LBB219_372:
	v_lshl_add_u32 v9, v6, 2, v7
	ds_load_b32 v9, v9 offset:256
	s_waitcnt lgkmcnt(0)
	v_add_f32_e32 v1, v1, v9
.LBB219_373:
	s_or_b32 exec_lo, exec_lo, s0
.LBB219_374:
	s_delay_alu instid0(SALU_CYCLE_1)
	s_or_b32 exec_lo, exec_lo, s1
	v_and_b32_e32 v9, 0x3e1, v0
	s_mov_b32 s1, exec_lo
	s_barrier
	buffer_gl0_inv
	v_cmpx_eq_u32_e32 32, v9
	s_cbranch_execz .LBB219_376
; %bb.375:
	v_add3_u32 v8, v7, v8, 0xfffffec0
	ds_store_2addr_b32 v8, v5, v4 offset1:16
	ds_store_2addr_b32 v8, v3, v2 offset0:32 offset1:48
	ds_store_b32 v8, v1 offset:256
.LBB219_376:
	s_or_b32 exec_lo, exec_lo, s1
	s_delay_alu instid0(SALU_CYCLE_1)
	s_mov_b32 s1, exec_lo
	s_waitcnt lgkmcnt(0)
	s_barrier
	buffer_gl0_inv
	v_cmpx_gt_u32_e32 32, v0
	s_cbranch_execz .LBB219_384
; %bb.377:
	v_lshl_add_u32 v6, v6, 2, v7
	s_and_saveexec_b32 s0, vcc_lo
	s_cbranch_execnz .LBB219_391
; %bb.378:
	s_or_b32 exec_lo, exec_lo, s0
	s_and_saveexec_b32 s0, vcc_lo
	s_cbranch_execnz .LBB219_392
.LBB219_379:
	s_or_b32 exec_lo, exec_lo, s0
	s_and_saveexec_b32 s0, vcc_lo
	s_cbranch_execnz .LBB219_393
.LBB219_380:
	s_or_b32 exec_lo, exec_lo, s0
	s_and_saveexec_b32 s0, vcc_lo
	s_cbranch_execnz .LBB219_394
.LBB219_381:
	s_or_b32 exec_lo, exec_lo, s0
	s_and_saveexec_b32 s0, vcc_lo
	s_cbranch_execz .LBB219_383
.LBB219_382:
	ds_load_b32 v6, v6 offset:256
	s_waitcnt lgkmcnt(0)
	v_add_f32_e32 v1, v1, v6
.LBB219_383:
	s_or_b32 exec_lo, exec_lo, s0
.LBB219_384:
	s_delay_alu instid0(SALU_CYCLE_1)
	s_or_b32 exec_lo, exec_lo, s1
	s_barrier
	buffer_gl0_inv
	s_mov_b32 s0, exec_lo
	v_cmpx_eq_u32_e32 0, v9
	s_cbranch_execz .LBB219_386
; %bb.385:
	s_mul_i32 s0, s6, 0x50
	s_mul_i32 s2, s15, s20
	s_ashr_i32 s1, s0, 31
	v_lshlrev_b32_e32 v0, 1, v0
	s_lshl_b64 s[0:1], s[0:1], 2
	s_delay_alu instid0(SALU_CYCLE_1) | instskip(SKIP_2) | instid1(SALU_CYCLE_1)
	s_add_u32 s4, s22, s0
	s_addc_u32 s5, s23, s1
	s_ashr_i32 s3, s2, 31
	s_lshl_b64 s[0:1], s[2:3], 2
	s_mul_i32 s2, s12, 0x50
	s_add_u32 s4, s4, s0
	s_addc_u32 s5, s5, s1
	s_ashr_i32 s3, s2, 31
	s_delay_alu instid0(SALU_CYCLE_1) | instskip(NEXT) | instid1(SALU_CYCLE_1)
	s_lshl_b64 s[0:1], s[2:3], 2
	s_add_u32 s0, s4, s0
	s_addc_u32 s1, s5, s1
	s_clause 0x4
	global_store_b32 v0, v5, s[0:1]
	global_store_b32 v0, v4, s[0:1] offset:64
	global_store_b32 v0, v3, s[0:1] offset:128
	;; [unrolled: 1-line block ×4, first 2 shown]
.LBB219_386:
	s_nop 0
	s_sendmsg sendmsg(MSG_DEALLOC_VGPRS)
	s_endpgm
.LBB219_387:
	v_lshl_add_u32 v9, v6, 2, v7
	ds_load_b32 v9, v9
	s_waitcnt lgkmcnt(0)
	v_add_f32_e32 v5, v5, v9
	s_or_b32 exec_lo, exec_lo, s0
	s_and_saveexec_b32 s0, vcc_lo
	s_cbranch_execz .LBB219_369
.LBB219_388:
	v_lshl_add_u32 v9, v6, 2, v7
	ds_load_b32 v9, v9 offset:64
	s_waitcnt lgkmcnt(0)
	v_add_f32_e32 v4, v4, v9
	s_or_b32 exec_lo, exec_lo, s0
	s_and_saveexec_b32 s0, vcc_lo
	s_cbranch_execz .LBB219_370
.LBB219_389:
	v_lshl_add_u32 v9, v6, 2, v7
	ds_load_b32 v9, v9 offset:128
	s_waitcnt lgkmcnt(0)
	v_add_f32_e32 v3, v3, v9
	s_or_b32 exec_lo, exec_lo, s0
	s_and_saveexec_b32 s0, vcc_lo
	s_cbranch_execz .LBB219_371
.LBB219_390:
	v_lshl_add_u32 v9, v6, 2, v7
	ds_load_b32 v9, v9 offset:192
	s_waitcnt lgkmcnt(0)
	v_add_f32_e32 v2, v2, v9
	s_or_b32 exec_lo, exec_lo, s0
	s_and_saveexec_b32 s0, vcc_lo
	s_cbranch_execnz .LBB219_372
	s_branch .LBB219_373
.LBB219_391:
	ds_load_b32 v7, v6
	s_waitcnt lgkmcnt(0)
	v_add_f32_e32 v5, v5, v7
	s_or_b32 exec_lo, exec_lo, s0
	s_and_saveexec_b32 s0, vcc_lo
	s_cbranch_execz .LBB219_379
.LBB219_392:
	ds_load_b32 v7, v6 offset:64
	s_waitcnt lgkmcnt(0)
	v_add_f32_e32 v4, v4, v7
	s_or_b32 exec_lo, exec_lo, s0
	s_and_saveexec_b32 s0, vcc_lo
	s_cbranch_execz .LBB219_380
.LBB219_393:
	ds_load_b32 v7, v6 offset:128
	s_waitcnt lgkmcnt(0)
	v_add_f32_e32 v3, v3, v7
	s_or_b32 exec_lo, exec_lo, s0
	s_and_saveexec_b32 s0, vcc_lo
	s_cbranch_execz .LBB219_381
.LBB219_394:
	ds_load_b32 v7, v6 offset:192
	s_waitcnt lgkmcnt(0)
	v_add_f32_e32 v2, v2, v7
	s_or_b32 exec_lo, exec_lo, s0
	s_and_saveexec_b32 s0, vcc_lo
	s_cbranch_execnz .LBB219_382
	s_branch .LBB219_383
	.section	.rodata,"a",@progbits
	.p2align	6, 0x0
	.amdhsa_kernel _ZN4vllm25paged_attention_v2_kernelIfhLi80ELi8ELi128ELNS_18Fp8KVCacheDataTypeE1ELb0ELi512EEEvPfS2_PT_PKS3_PKT0_S9_ifPKiSB_iPKfiiiSD_SD_iiiii
		.amdhsa_group_segment_fixed_size 352
		.amdhsa_private_segment_fixed_size 0
		.amdhsa_kernarg_size 400
		.amdhsa_user_sgpr_count 13
		.amdhsa_user_sgpr_dispatch_ptr 0
		.amdhsa_user_sgpr_queue_ptr 0
		.amdhsa_user_sgpr_kernarg_segment_ptr 1
		.amdhsa_user_sgpr_dispatch_id 0
		.amdhsa_user_sgpr_private_segment_size 0
		.amdhsa_wavefront_size32 1
		.amdhsa_uses_dynamic_stack 0
		.amdhsa_enable_private_segment 0
		.amdhsa_system_sgpr_workgroup_id_x 1
		.amdhsa_system_sgpr_workgroup_id_y 1
		.amdhsa_system_sgpr_workgroup_id_z 1
		.amdhsa_system_sgpr_workgroup_info 0
		.amdhsa_system_vgpr_workitem_id 0
		.amdhsa_next_free_vgpr 64
		.amdhsa_next_free_sgpr 42
		.amdhsa_reserve_vcc 1
		.amdhsa_float_round_mode_32 0
		.amdhsa_float_round_mode_16_64 0
		.amdhsa_float_denorm_mode_32 3
		.amdhsa_float_denorm_mode_16_64 3
		.amdhsa_dx10_clamp 1
		.amdhsa_ieee_mode 1
		.amdhsa_fp16_overflow 0
		.amdhsa_workgroup_processor_mode 1
		.amdhsa_memory_ordered 1
		.amdhsa_forward_progress 0
		.amdhsa_shared_vgpr_count 0
		.amdhsa_exception_fp_ieee_invalid_op 0
		.amdhsa_exception_fp_denorm_src 0
		.amdhsa_exception_fp_ieee_div_zero 0
		.amdhsa_exception_fp_ieee_overflow 0
		.amdhsa_exception_fp_ieee_underflow 0
		.amdhsa_exception_fp_ieee_inexact 0
		.amdhsa_exception_int_div_zero 0
	.end_amdhsa_kernel
	.section	.text._ZN4vllm25paged_attention_v2_kernelIfhLi80ELi8ELi128ELNS_18Fp8KVCacheDataTypeE1ELb0ELi512EEEvPfS2_PT_PKS3_PKT0_S9_ifPKiSB_iPKfiiiSD_SD_iiiii,"axG",@progbits,_ZN4vllm25paged_attention_v2_kernelIfhLi80ELi8ELi128ELNS_18Fp8KVCacheDataTypeE1ELb0ELi512EEEvPfS2_PT_PKS3_PKT0_S9_ifPKiSB_iPKfiiiSD_SD_iiiii,comdat
.Lfunc_end219:
	.size	_ZN4vllm25paged_attention_v2_kernelIfhLi80ELi8ELi128ELNS_18Fp8KVCacheDataTypeE1ELb0ELi512EEEvPfS2_PT_PKS3_PKT0_S9_ifPKiSB_iPKfiiiSD_SD_iiiii, .Lfunc_end219-_ZN4vllm25paged_attention_v2_kernelIfhLi80ELi8ELi128ELNS_18Fp8KVCacheDataTypeE1ELb0ELi512EEEvPfS2_PT_PKS3_PKT0_S9_ifPKiSB_iPKfiiiSD_SD_iiiii
                                        ; -- End function
	.section	.AMDGPU.csdata,"",@progbits
; Kernel info:
; codeLenInByte = 13432
; NumSgprs: 44
; NumVgprs: 64
; ScratchSize: 0
; MemoryBound: 0
; FloatMode: 240
; IeeeMode: 1
; LDSByteSize: 352 bytes/workgroup (compile time only)
; SGPRBlocks: 5
; VGPRBlocks: 7
; NumSGPRsForWavesPerEU: 44
; NumVGPRsForWavesPerEU: 64
; Occupancy: 16
; WaveLimiterHint : 1
; COMPUTE_PGM_RSRC2:SCRATCH_EN: 0
; COMPUTE_PGM_RSRC2:USER_SGPR: 13
; COMPUTE_PGM_RSRC2:TRAP_HANDLER: 0
; COMPUTE_PGM_RSRC2:TGID_X_EN: 1
; COMPUTE_PGM_RSRC2:TGID_Y_EN: 1
; COMPUTE_PGM_RSRC2:TGID_Z_EN: 1
; COMPUTE_PGM_RSRC2:TIDIG_COMP_CNT: 0
	.section	.text._ZN4vllm25paged_attention_v2_kernelIfhLi96ELi8ELi128ELNS_18Fp8KVCacheDataTypeE1ELb0ELi512EEEvPfS2_PT_PKS3_PKT0_S9_ifPKiSB_iPKfiiiSD_SD_iiiii,"axG",@progbits,_ZN4vllm25paged_attention_v2_kernelIfhLi96ELi8ELi128ELNS_18Fp8KVCacheDataTypeE1ELb0ELi512EEEvPfS2_PT_PKS3_PKT0_S9_ifPKiSB_iPKfiiiSD_SD_iiiii,comdat
	.protected	_ZN4vllm25paged_attention_v2_kernelIfhLi96ELi8ELi128ELNS_18Fp8KVCacheDataTypeE1ELb0ELi512EEEvPfS2_PT_PKS3_PKT0_S9_ifPKiSB_iPKfiiiSD_SD_iiiii ; -- Begin function _ZN4vllm25paged_attention_v2_kernelIfhLi96ELi8ELi128ELNS_18Fp8KVCacheDataTypeE1ELb0ELi512EEEvPfS2_PT_PKS3_PKT0_S9_ifPKiSB_iPKfiiiSD_SD_iiiii
	.globl	_ZN4vllm25paged_attention_v2_kernelIfhLi96ELi8ELi128ELNS_18Fp8KVCacheDataTypeE1ELb0ELi512EEEvPfS2_PT_PKS3_PKT0_S9_ifPKiSB_iPKfiiiSD_SD_iiiii
	.p2align	8
	.type	_ZN4vllm25paged_attention_v2_kernelIfhLi96ELi8ELi128ELNS_18Fp8KVCacheDataTypeE1ELb0ELi512EEEvPfS2_PT_PKS3_PKT0_S9_ifPKiSB_iPKfiiiSD_SD_iiiii,@function
_ZN4vllm25paged_attention_v2_kernelIfhLi96ELi8ELi128ELNS_18Fp8KVCacheDataTypeE1ELb0ELi512EEEvPfS2_PT_PKS3_PKT0_S9_ifPKiSB_iPKfiiiSD_SD_iiiii: ; @_ZN4vllm25paged_attention_v2_kernelIfhLi96ELi8ELi128ELNS_18Fp8KVCacheDataTypeE1ELb0ELi512EEEvPfS2_PT_PKS3_PKT0_S9_ifPKiSB_iPKfiiiSD_SD_iiiii
; %bb.0:
	s_load_b64 s[2:3], s[0:1], 0x40
	s_mov_b32 s12, s15
	s_ashr_i32 s15, s14, 31
	s_delay_alu instid0(SALU_CYCLE_1)
	s_lshl_b64 s[4:5], s[14:15], 2
	s_waitcnt lgkmcnt(0)
	s_add_u32 s2, s2, s4
	s_addc_u32 s3, s3, s5
	s_lshl_b32 s36, s12, 9
	s_load_b32 s33, s[2:3], 0x0
	s_waitcnt lgkmcnt(0)
	s_cmp_ge_i32 s36, s33
	s_cbranch_scc1 .LBB220_454
; %bb.1:
	s_mov_b32 s24, s13
	s_clause 0x1
	s_load_b32 s13, s[0:1], 0x90
	s_load_b64 s[34:35], s[0:1], 0x30
	s_mov_b32 s37, 0
	s_waitcnt lgkmcnt(0)
	s_abs_i32 s5, s13
	s_abs_i32 s2, s34
	s_delay_alu instid0(SALU_CYCLE_1) | instskip(SKIP_1) | instid1(VALU_DEP_1)
	v_cvt_f32_u32_e32 v1, s2
	s_sub_i32 s4, 0, s2
	v_rcp_iflag_f32_e32 v1, v1
	s_waitcnt_depctr 0xfff
	v_mul_f32_e32 v1, 0x4f7ffffe, v1
	s_delay_alu instid0(VALU_DEP_1) | instskip(NEXT) | instid1(VALU_DEP_1)
	v_cvt_u32_f32_e32 v1, v1
	v_readfirstlane_b32 s3, v1
	s_delay_alu instid0(VALU_DEP_1) | instskip(NEXT) | instid1(SALU_CYCLE_1)
	s_mul_i32 s4, s4, s3
	s_mul_hi_u32 s4, s3, s4
	s_delay_alu instid0(SALU_CYCLE_1) | instskip(SKIP_4) | instid1(SALU_CYCLE_1)
	s_add_i32 s3, s3, s4
	s_xor_b32 s4, s13, s34
	s_mul_hi_u32 s3, s5, s3
	s_ashr_i32 s4, s4, 31
	s_mul_i32 s6, s3, s2
	s_sub_i32 s5, s5, s6
	s_add_i32 s6, s3, 1
	s_sub_i32 s7, s5, s2
	s_cmp_ge_u32 s5, s2
	s_cselect_b32 s3, s6, s3
	s_cselect_b32 s5, s7, s5
	s_add_i32 s6, s3, 1
	s_cmp_ge_u32 s5, s2
	s_cselect_b32 s2, s6, s3
	s_abs_i32 s10, s24
	s_xor_b32 s2, s2, s4
	s_delay_alu instid0(SALU_CYCLE_1) | instskip(SKIP_2) | instid1(SALU_CYCLE_1)
	s_sub_i32 s11, s2, s4
	s_load_b64 s[2:3], s[0:1], 0x50
	s_abs_i32 s8, s11
	v_cvt_f32_u32_e32 v1, s8
	s_sub_i32 s5, 0, s8
	s_delay_alu instid0(VALU_DEP_1) | instskip(SKIP_2) | instid1(VALU_DEP_1)
	v_rcp_iflag_f32_e32 v1, v1
	s_waitcnt_depctr 0xfff
	v_mul_f32_e32 v1, 0x4f7ffffe, v1
	v_cvt_u32_f32_e32 v1, v1
	s_delay_alu instid0(VALU_DEP_1) | instskip(NEXT) | instid1(VALU_DEP_1)
	v_readfirstlane_b32 s4, v1
	s_mul_i32 s5, s5, s4
	s_delay_alu instid0(SALU_CYCLE_1) | instskip(NEXT) | instid1(SALU_CYCLE_1)
	s_mul_hi_u32 s5, s4, s5
	s_add_i32 s4, s4, s5
	s_waitcnt lgkmcnt(0)
	s_cmp_eq_u64 s[2:3], 0
	s_mul_hi_u32 s9, s10, s4
	s_cbranch_scc1 .LBB220_3
; %bb.2:
	s_ashr_i32 s25, s24, 31
	s_delay_alu instid0(SALU_CYCLE_1) | instskip(NEXT) | instid1(SALU_CYCLE_1)
	s_lshl_b64 s[4:5], s[24:25], 2
	s_add_u32 s2, s2, s4
	s_addc_u32 s3, s3, s5
	s_load_b32 s37, s[2:3], 0x0
.LBB220_3:
	s_load_b128 s[4:7], s[0:1], 0x58
	v_and_b32_e32 v40, 3, v0
	v_lshlrev_b32_e32 v38, 2, v0
	s_ashr_i32 s2, s24, 31
	s_ashr_i32 s3, s11, 31
	s_mul_i32 s20, s24, 0x60
	s_waitcnt lgkmcnt(0)
	s_mov_b32 s7, exec_lo
	v_cmpx_gt_u32_e32 0x60, v0
	s_cbranch_execz .LBB220_5
; %bb.4:
	s_load_b64 s[16:17], s[0:1], 0x18
	s_mul_i32 s18, s14, s4
	v_and_b32_e32 v2, 0x3fc, v0
	s_ashr_i32 s19, s18, 31
	s_delay_alu instid0(SALU_CYCLE_1) | instskip(NEXT) | instid1(VALU_DEP_1)
	s_lshl_b64 s[18:19], s[18:19], 2
	v_mad_u32_u24 v2, 0x60, v40, v2
	s_waitcnt lgkmcnt(0)
	s_add_u32 s4, s16, s18
	s_addc_u32 s11, s17, s19
	s_ashr_i32 s21, s20, 31
	s_delay_alu instid0(SALU_CYCLE_1) | instskip(NEXT) | instid1(SALU_CYCLE_1)
	s_lshl_b64 s[16:17], s[20:21], 2
	s_add_u32 s16, s4, s16
	s_addc_u32 s17, s11, s17
	global_load_b32 v1, v38, s[16:17]
	s_waitcnt vmcnt(0)
	ds_store_b32 v2, v1
.LBB220_5:
	s_or_b32 exec_lo, exec_lo, s7
	s_add_i32 s7, s33, 7
	s_lshl_b32 s4, s12, 6
	s_ashr_i32 s11, s7, 31
	s_xor_b32 s2, s2, s3
	s_lshr_b32 s11, s11, 29
	s_add_i32 s3, s4, 64
	s_add_i32 s7, s7, s11
	v_lshrrev_b32_e32 v37, 5, v0
	s_ashr_i32 s25, s7, 3
	s_mul_i32 s7, s9, s8
	s_min_i32 s21, s3, s25
	s_clause 0x1
	s_load_b64 s[26:27], s[0:1], 0x38
	s_load_b32 s3, s[0:1], 0x48
	s_sub_i32 s7, s10, s7
	s_add_i32 s10, s9, 1
	s_sub_i32 s11, s7, s8
	s_cmp_ge_u32 s7, s8
	v_or_b32_e32 v25, s4, v37
	s_cselect_b32 s9, s10, s9
	s_cselect_b32 s7, s11, s7
	s_add_i32 s10, s9, 1
	s_cmp_ge_u32 s7, s8
	v_mbcnt_lo_u32_b32 v39, -1, 0
	s_cselect_b32 s7, s10, s9
	s_waitcnt lgkmcnt(0)
	s_xor_b32 s7, s7, s2
	s_barrier
	s_sub_i32 s34, s7, s2
	v_cmp_gt_i32_e64 s2, s21, v25
	s_mov_b32 s7, exec_lo
	buffer_gl0_inv
                                        ; implicit-def: $vgpr41
	s_mul_i32 s28, s14, s3
                                        ; implicit-def: $sgpr3
	s_delay_alu instid0(SALU_CYCLE_1)
	s_ashr_i32 s29, s28, 31
	v_cmpx_le_i32_e64 s21, v25
	s_xor_b32 s7, exec_lo, s7
; %bb.6:
	v_mbcnt_lo_u32_b32 v39, -1, 0
	v_mov_b32_e32 v41, 32
	s_mov_b32 s3, 0xff7fffff
                                        ; implicit-def: $vgpr40
; %bb.7:
	s_or_saveexec_b32 s7, s7
	s_clause 0x4
	s_load_b128 s[16:19], s[0:1], 0x0
	s_load_b64 s[22:23], s[0:1], 0x10
	s_load_b32 s15, s[0:1], 0x98
	s_load_b64 s[30:31], s[0:1], 0x28
	s_load_b128 s[8:11], s[0:1], 0x68
	v_mov_b32_e32 v42, s3
	v_ashrrev_i32_e32 v26, 31, v25
	s_mul_i32 s34, s34, s6
	s_xor_b32 exec_lo, exec_lo, s7
	s_cbranch_execz .LBB220_205
; %bb.8:
	s_load_b64 s[0:1], s[0:1], 0x20
	v_xor_b32_e32 v29, 2, v39
	v_mul_u32_u24_e32 v21, 0x60, v40
	v_bfe_u32 v27, v0, 2, 3
	v_xor_b32_e32 v30, 1, v39
	ds_load_b128 v[1:4], v21
	ds_load_b128 v[5:8], v21 offset:16
	ds_load_b128 v[9:12], v21 offset:32
	;; [unrolled: 1-line block ×5, first 2 shown]
	v_cmp_gt_i32_e32 vcc_lo, 32, v29
	v_dual_mov_b32 v28, 0 :: v_dual_lshlrev_b32 v31, 4, v27
	s_ashr_i32 s3, s34, 31
	s_waitcnt lgkmcnt(0)
	s_load_b32 s6, s[8:9], 0x0
	v_dual_cndmask_b32 v32, v39, v29 :: v_dual_mov_b32 v41, 32
	v_cmp_gt_i32_e32 vcc_lo, 32, v30
	v_mov_b32_e32 v42, 0xff7fffff
	s_mov_b32 s9, 0
	s_delay_alu instid0(VALU_DEP_3)
	v_lshlrev_b32_e32 v43, 2, v32
	v_lshlrev_b32_e32 v32, 3, v37
	s_add_u32 s0, s0, s34
	v_cndmask_b32_e32 v33, v39, v30, vcc_lo
	v_add_co_u32 v29, s0, s0, v31
	v_lshlrev_b32_e32 v31, 2, v27
	v_add3_u32 v45, s36, v32, v27
	s_delay_alu instid0(VALU_DEP_4) | instskip(SKIP_1) | instid1(VALU_DEP_3)
	v_dual_mov_b32 v47, v25 :: v_dual_lshlrev_b32 v44, 2, v33
	s_addc_u32 s1, s1, s3
	v_lshl_or_b32 v33, v37, 5, v31
	v_lshlrev_b64 v[31:32], 2, v[25:26]
	s_lshl_b64 s[38:39], s[28:29], 2
	s_sub_i32 s8, 1, s33
	v_add_co_ci_u32_e64 v30, null, s1, 0, s0
	s_add_u32 s1, s26, s38
	s_addc_u32 s3, s27, s39
	v_add_co_u32 v31, s1, s1, v31
	v_cmp_eq_u32_e32 vcc_lo, 0, v40
	v_cmp_neq_f32_e64 s0, s37, 0
	v_add_nc_u32_e32 v46, 0x1a0, v33
	v_add_co_ci_u32_e64 v32, s1, s3, v32, s1
	s_mov_b32 s38, s5
	s_branch .LBB220_10
.LBB220_9:                              ;   in Loop: Header=BB220_10 Depth=1
	s_or_b32 exec_lo, exec_lo, s3
	v_add_nc_u32_e32 v47, 4, v47
	v_add_co_u32 v31, s3, v31, 16
	v_add_nc_u32_e32 v45, 32, v45
	v_add_nc_u32_e32 v46, 0x80, v46
	s_delay_alu instid0(VALU_DEP_4) | instskip(SKIP_1) | instid1(VALU_DEP_2)
	v_cmp_le_i32_e64 s1, s21, v47
	v_add_co_ci_u32_e64 v32, s3, 0, v32, s3
	s_or_b32 s9, s1, s9
	s_delay_alu instid0(SALU_CYCLE_1)
	s_and_not1_b32 exec_lo, exec_lo, s9
	s_cbranch_execz .LBB220_204
.LBB220_10:                             ; =>This Inner Loop Header: Depth=1
	global_load_b32 v27, v[31:32], off
	v_mov_b32_e32 v48, 0
	s_mov_b32 s3, exec_lo
	s_waitcnt vmcnt(0) lgkmcnt(0)
	v_mad_i64_i32 v[33:34], null, v27, s38, v[29:30]
	s_delay_alu instid0(VALU_DEP_1) | instskip(NEXT) | instid1(VALU_DEP_1)
	v_add_co_u32 v33, s1, v33, v40
	v_add_co_ci_u32_e64 v34, s1, 0, v34, s1
	global_load_u8 v35, v[33:34], off
	s_waitcnt vmcnt(0)
	v_cmpx_ne_u16_e32 0, v35
	s_cbranch_execz .LBB220_18
; %bb.11:                               ;   in Loop: Header=BB220_10 Depth=1
	v_bfrev_b32_e32 v48, 1
	s_mov_b32 s39, exec_lo
	v_cmpx_ne_u16_e32 0x80, v35
	s_cbranch_execz .LBB220_17
; %bb.12:                               ;   in Loop: Header=BB220_10 Depth=1
	v_and_b32_e32 v27, 0xffff, v35
	v_mov_b32_e32 v48, 0x7f800001
	s_mov_b32 s40, exec_lo
	s_delay_alu instid0(VALU_DEP_2) | instskip(NEXT) | instid1(VALU_DEP_1)
	v_and_b32_e32 v49, 0x7f, v27
	v_cmpx_ne_u32_e32 0x7f, v49
	s_cbranch_execz .LBB220_16
; %bb.13:                               ;   in Loop: Header=BB220_10 Depth=1
	v_and_b32_e32 v27, 7, v27
	v_lshrrev_b32_e32 v36, 3, v49
	s_mov_b32 s41, exec_lo
	v_cmpx_gt_u32_e32 8, v49
; %bb.14:                               ;   in Loop: Header=BB220_10 Depth=1
	s_delay_alu instid0(VALU_DEP_3) | instskip(NEXT) | instid1(VALU_DEP_1)
	v_clz_i32_u32_e32 v36, v27
	v_min_u32_e32 v36, 32, v36
	s_delay_alu instid0(VALU_DEP_1) | instskip(SKIP_1) | instid1(VALU_DEP_2)
	v_subrev_nc_u32_e32 v48, 28, v36
	v_sub_nc_u32_e32 v36, 29, v36
	v_lshlrev_b64 v[48:49], v48, v[27:28]
	s_delay_alu instid0(VALU_DEP_1)
	v_and_b32_e32 v27, 7, v48
; %bb.15:                               ;   in Loop: Header=BB220_10 Depth=1
	s_or_b32 exec_lo, exec_lo, s41
	v_lshlrev_b32_e32 v35, 24, v35
	s_delay_alu instid0(VALU_DEP_2) | instskip(SKIP_1) | instid1(VALU_DEP_3)
	v_lshlrev_b32_e32 v27, 20, v27
	v_lshl_add_u32 v36, v36, 23, 0x3c000000
	v_and_b32_e32 v35, 0x80000000, v35
	s_delay_alu instid0(VALU_DEP_1)
	v_or3_b32 v48, v27, v35, v36
.LBB220_16:                             ;   in Loop: Header=BB220_10 Depth=1
	s_or_b32 exec_lo, exec_lo, s40
.LBB220_17:                             ;   in Loop: Header=BB220_10 Depth=1
	s_delay_alu instid0(SALU_CYCLE_1)
	s_or_b32 exec_lo, exec_lo, s39
.LBB220_18:                             ;   in Loop: Header=BB220_10 Depth=1
	s_delay_alu instid0(SALU_CYCLE_1)
	s_or_b32 exec_lo, exec_lo, s3
	global_load_u8 v35, v[33:34], off offset:4
	v_dual_mov_b32 v49, 0 :: v_dual_mov_b32 v50, 0
	s_mov_b32 s3, exec_lo
	s_waitcnt vmcnt(0)
	v_cmpx_ne_u16_e32 0, v35
	s_cbranch_execz .LBB220_26
; %bb.19:                               ;   in Loop: Header=BB220_10 Depth=1
	v_bfrev_b32_e32 v50, 1
	s_mov_b32 s39, exec_lo
	v_cmpx_ne_u16_e32 0x80, v35
	s_cbranch_execz .LBB220_25
; %bb.20:                               ;   in Loop: Header=BB220_10 Depth=1
	v_and_b32_e32 v27, 0xffff, v35
	v_mov_b32_e32 v50, 0x7f800001
	s_mov_b32 s40, exec_lo
	s_delay_alu instid0(VALU_DEP_2) | instskip(NEXT) | instid1(VALU_DEP_1)
	v_and_b32_e32 v51, 0x7f, v27
	v_cmpx_ne_u32_e32 0x7f, v51
	s_cbranch_execz .LBB220_24
; %bb.21:                               ;   in Loop: Header=BB220_10 Depth=1
	v_and_b32_e32 v27, 7, v27
	v_lshrrev_b32_e32 v36, 3, v51
	s_mov_b32 s41, exec_lo
	v_cmpx_gt_u32_e32 8, v51
; %bb.22:                               ;   in Loop: Header=BB220_10 Depth=1
	s_delay_alu instid0(VALU_DEP_3) | instskip(NEXT) | instid1(VALU_DEP_1)
	v_clz_i32_u32_e32 v36, v27
	v_min_u32_e32 v36, 32, v36
	s_delay_alu instid0(VALU_DEP_1) | instskip(SKIP_1) | instid1(VALU_DEP_2)
	v_subrev_nc_u32_e32 v50, 28, v36
	v_sub_nc_u32_e32 v36, 29, v36
	v_lshlrev_b64 v[50:51], v50, v[27:28]
	s_delay_alu instid0(VALU_DEP_1)
	v_and_b32_e32 v27, 7, v50
; %bb.23:                               ;   in Loop: Header=BB220_10 Depth=1
	s_or_b32 exec_lo, exec_lo, s41
	v_lshlrev_b32_e32 v35, 24, v35
	s_delay_alu instid0(VALU_DEP_2) | instskip(SKIP_1) | instid1(VALU_DEP_3)
	v_lshlrev_b32_e32 v27, 20, v27
	v_lshl_add_u32 v36, v36, 23, 0x3c000000
	v_and_b32_e32 v35, 0x80000000, v35
	s_delay_alu instid0(VALU_DEP_1)
	v_or3_b32 v50, v27, v35, v36
.LBB220_24:                             ;   in Loop: Header=BB220_10 Depth=1
	s_or_b32 exec_lo, exec_lo, s40
.LBB220_25:                             ;   in Loop: Header=BB220_10 Depth=1
	s_delay_alu instid0(SALU_CYCLE_1)
	s_or_b32 exec_lo, exec_lo, s39
.LBB220_26:                             ;   in Loop: Header=BB220_10 Depth=1
	s_delay_alu instid0(SALU_CYCLE_1)
	s_or_b32 exec_lo, exec_lo, s3
	global_load_u8 v35, v[33:34], off offset:8
	s_mov_b32 s3, exec_lo
	s_waitcnt vmcnt(0)
	v_cmpx_ne_u16_e32 0, v35
	s_cbranch_execz .LBB220_34
; %bb.27:                               ;   in Loop: Header=BB220_10 Depth=1
	v_bfrev_b32_e32 v49, 1
	s_mov_b32 s39, exec_lo
	v_cmpx_ne_u16_e32 0x80, v35
	s_cbranch_execz .LBB220_33
; %bb.28:                               ;   in Loop: Header=BB220_10 Depth=1
	v_and_b32_e32 v27, 0xffff, v35
	v_mov_b32_e32 v49, 0x7f800001
	s_mov_b32 s40, exec_lo
	s_delay_alu instid0(VALU_DEP_2) | instskip(NEXT) | instid1(VALU_DEP_1)
	v_and_b32_e32 v51, 0x7f, v27
	v_cmpx_ne_u32_e32 0x7f, v51
	s_cbranch_execz .LBB220_32
; %bb.29:                               ;   in Loop: Header=BB220_10 Depth=1
	v_and_b32_e32 v27, 7, v27
	v_lshrrev_b32_e32 v36, 3, v51
	s_mov_b32 s41, exec_lo
	v_cmpx_gt_u32_e32 8, v51
; %bb.30:                               ;   in Loop: Header=BB220_10 Depth=1
	s_delay_alu instid0(VALU_DEP_3) | instskip(NEXT) | instid1(VALU_DEP_1)
	v_clz_i32_u32_e32 v36, v27
	v_min_u32_e32 v36, 32, v36
	s_delay_alu instid0(VALU_DEP_1) | instskip(SKIP_1) | instid1(VALU_DEP_2)
	v_subrev_nc_u32_e32 v49, 28, v36
	v_sub_nc_u32_e32 v36, 29, v36
	v_lshlrev_b64 v[51:52], v49, v[27:28]
	s_delay_alu instid0(VALU_DEP_1)
	v_and_b32_e32 v27, 7, v51
; %bb.31:                               ;   in Loop: Header=BB220_10 Depth=1
	s_or_b32 exec_lo, exec_lo, s41
	v_lshlrev_b32_e32 v35, 24, v35
	s_delay_alu instid0(VALU_DEP_2) | instskip(SKIP_1) | instid1(VALU_DEP_3)
	v_lshlrev_b32_e32 v27, 20, v27
	v_lshl_add_u32 v36, v36, 23, 0x3c000000
	v_and_b32_e32 v35, 0x80000000, v35
	s_delay_alu instid0(VALU_DEP_1)
	v_or3_b32 v49, v27, v35, v36
.LBB220_32:                             ;   in Loop: Header=BB220_10 Depth=1
	s_or_b32 exec_lo, exec_lo, s40
.LBB220_33:                             ;   in Loop: Header=BB220_10 Depth=1
	s_delay_alu instid0(SALU_CYCLE_1)
	s_or_b32 exec_lo, exec_lo, s39
.LBB220_34:                             ;   in Loop: Header=BB220_10 Depth=1
	s_delay_alu instid0(SALU_CYCLE_1)
	s_or_b32 exec_lo, exec_lo, s3
	global_load_u8 v35, v[33:34], off offset:12
	v_dual_mov_b32 v51, 0 :: v_dual_mov_b32 v52, 0
	s_mov_b32 s3, exec_lo
	s_waitcnt vmcnt(0)
	v_cmpx_ne_u16_e32 0, v35
	s_cbranch_execz .LBB220_42
; %bb.35:                               ;   in Loop: Header=BB220_10 Depth=1
	v_bfrev_b32_e32 v52, 1
	s_mov_b32 s39, exec_lo
	v_cmpx_ne_u16_e32 0x80, v35
	s_cbranch_execz .LBB220_41
; %bb.36:                               ;   in Loop: Header=BB220_10 Depth=1
	v_and_b32_e32 v27, 0xffff, v35
	v_mov_b32_e32 v52, 0x7f800001
	s_mov_b32 s40, exec_lo
	s_delay_alu instid0(VALU_DEP_2) | instskip(NEXT) | instid1(VALU_DEP_1)
	v_and_b32_e32 v53, 0x7f, v27
	v_cmpx_ne_u32_e32 0x7f, v53
	s_cbranch_execz .LBB220_40
; %bb.37:                               ;   in Loop: Header=BB220_10 Depth=1
	v_and_b32_e32 v27, 7, v27
	v_lshrrev_b32_e32 v36, 3, v53
	s_mov_b32 s41, exec_lo
	v_cmpx_gt_u32_e32 8, v53
; %bb.38:                               ;   in Loop: Header=BB220_10 Depth=1
	s_delay_alu instid0(VALU_DEP_3) | instskip(NEXT) | instid1(VALU_DEP_1)
	v_clz_i32_u32_e32 v36, v27
	v_min_u32_e32 v36, 32, v36
	s_delay_alu instid0(VALU_DEP_1) | instskip(SKIP_1) | instid1(VALU_DEP_2)
	v_subrev_nc_u32_e32 v52, 28, v36
	v_sub_nc_u32_e32 v36, 29, v36
	v_lshlrev_b64 v[52:53], v52, v[27:28]
	s_delay_alu instid0(VALU_DEP_1)
	v_and_b32_e32 v27, 7, v52
; %bb.39:                               ;   in Loop: Header=BB220_10 Depth=1
	s_or_b32 exec_lo, exec_lo, s41
	v_lshlrev_b32_e32 v35, 24, v35
	s_delay_alu instid0(VALU_DEP_2) | instskip(SKIP_1) | instid1(VALU_DEP_3)
	v_lshlrev_b32_e32 v27, 20, v27
	v_lshl_add_u32 v36, v36, 23, 0x3c000000
	v_and_b32_e32 v35, 0x80000000, v35
	s_delay_alu instid0(VALU_DEP_1)
	v_or3_b32 v52, v27, v35, v36
.LBB220_40:                             ;   in Loop: Header=BB220_10 Depth=1
	s_or_b32 exec_lo, exec_lo, s40
.LBB220_41:                             ;   in Loop: Header=BB220_10 Depth=1
	s_delay_alu instid0(SALU_CYCLE_1)
	s_or_b32 exec_lo, exec_lo, s39
.LBB220_42:                             ;   in Loop: Header=BB220_10 Depth=1
	s_delay_alu instid0(SALU_CYCLE_1)
	s_or_b32 exec_lo, exec_lo, s3
	global_load_u8 v35, v[33:34], off offset:128
	s_mov_b32 s3, exec_lo
	s_waitcnt vmcnt(0)
	v_cmpx_ne_u16_e32 0, v35
	s_cbranch_execz .LBB220_50
; %bb.43:                               ;   in Loop: Header=BB220_10 Depth=1
	v_bfrev_b32_e32 v51, 1
	s_mov_b32 s39, exec_lo
	v_cmpx_ne_u16_e32 0x80, v35
	s_cbranch_execz .LBB220_49
; %bb.44:                               ;   in Loop: Header=BB220_10 Depth=1
	v_and_b32_e32 v27, 0xffff, v35
	v_mov_b32_e32 v51, 0x7f800001
	s_mov_b32 s40, exec_lo
	s_delay_alu instid0(VALU_DEP_2) | instskip(NEXT) | instid1(VALU_DEP_1)
	v_and_b32_e32 v53, 0x7f, v27
	v_cmpx_ne_u32_e32 0x7f, v53
	s_cbranch_execz .LBB220_48
; %bb.45:                               ;   in Loop: Header=BB220_10 Depth=1
	v_and_b32_e32 v27, 7, v27
	v_lshrrev_b32_e32 v36, 3, v53
	s_mov_b32 s41, exec_lo
	v_cmpx_gt_u32_e32 8, v53
; %bb.46:                               ;   in Loop: Header=BB220_10 Depth=1
	s_delay_alu instid0(VALU_DEP_3) | instskip(NEXT) | instid1(VALU_DEP_1)
	v_clz_i32_u32_e32 v36, v27
	v_min_u32_e32 v36, 32, v36
	s_delay_alu instid0(VALU_DEP_1) | instskip(SKIP_1) | instid1(VALU_DEP_2)
	v_subrev_nc_u32_e32 v51, 28, v36
	v_sub_nc_u32_e32 v36, 29, v36
	v_lshlrev_b64 v[53:54], v51, v[27:28]
	s_delay_alu instid0(VALU_DEP_1)
	v_and_b32_e32 v27, 7, v53
; %bb.47:                               ;   in Loop: Header=BB220_10 Depth=1
	s_or_b32 exec_lo, exec_lo, s41
	v_lshlrev_b32_e32 v35, 24, v35
	s_delay_alu instid0(VALU_DEP_2) | instskip(SKIP_1) | instid1(VALU_DEP_3)
	v_lshlrev_b32_e32 v27, 20, v27
	v_lshl_add_u32 v36, v36, 23, 0x3c000000
	v_and_b32_e32 v35, 0x80000000, v35
	s_delay_alu instid0(VALU_DEP_1)
	v_or3_b32 v51, v27, v35, v36
.LBB220_48:                             ;   in Loop: Header=BB220_10 Depth=1
	s_or_b32 exec_lo, exec_lo, s40
.LBB220_49:                             ;   in Loop: Header=BB220_10 Depth=1
	s_delay_alu instid0(SALU_CYCLE_1)
	s_or_b32 exec_lo, exec_lo, s39
.LBB220_50:                             ;   in Loop: Header=BB220_10 Depth=1
	s_delay_alu instid0(SALU_CYCLE_1)
	s_or_b32 exec_lo, exec_lo, s3
	global_load_u8 v35, v[33:34], off offset:132
	v_dual_mov_b32 v53, 0 :: v_dual_mov_b32 v54, 0
	s_mov_b32 s3, exec_lo
	s_waitcnt vmcnt(0)
	v_cmpx_ne_u16_e32 0, v35
	s_cbranch_execz .LBB220_58
; %bb.51:                               ;   in Loop: Header=BB220_10 Depth=1
	v_bfrev_b32_e32 v54, 1
	s_mov_b32 s39, exec_lo
	v_cmpx_ne_u16_e32 0x80, v35
	s_cbranch_execz .LBB220_57
; %bb.52:                               ;   in Loop: Header=BB220_10 Depth=1
	v_and_b32_e32 v27, 0xffff, v35
	v_mov_b32_e32 v54, 0x7f800001
	s_mov_b32 s40, exec_lo
	s_delay_alu instid0(VALU_DEP_2) | instskip(NEXT) | instid1(VALU_DEP_1)
	v_and_b32_e32 v55, 0x7f, v27
	v_cmpx_ne_u32_e32 0x7f, v55
	s_cbranch_execz .LBB220_56
; %bb.53:                               ;   in Loop: Header=BB220_10 Depth=1
	v_and_b32_e32 v27, 7, v27
	v_lshrrev_b32_e32 v36, 3, v55
	s_mov_b32 s41, exec_lo
	v_cmpx_gt_u32_e32 8, v55
; %bb.54:                               ;   in Loop: Header=BB220_10 Depth=1
	s_delay_alu instid0(VALU_DEP_3) | instskip(NEXT) | instid1(VALU_DEP_1)
	v_clz_i32_u32_e32 v36, v27
	v_min_u32_e32 v36, 32, v36
	s_delay_alu instid0(VALU_DEP_1) | instskip(SKIP_1) | instid1(VALU_DEP_2)
	v_subrev_nc_u32_e32 v54, 28, v36
	v_sub_nc_u32_e32 v36, 29, v36
	v_lshlrev_b64 v[54:55], v54, v[27:28]
	s_delay_alu instid0(VALU_DEP_1)
	v_and_b32_e32 v27, 7, v54
; %bb.55:                               ;   in Loop: Header=BB220_10 Depth=1
	s_or_b32 exec_lo, exec_lo, s41
	v_lshlrev_b32_e32 v35, 24, v35
	s_delay_alu instid0(VALU_DEP_2) | instskip(SKIP_1) | instid1(VALU_DEP_3)
	v_lshlrev_b32_e32 v27, 20, v27
	v_lshl_add_u32 v36, v36, 23, 0x3c000000
	v_and_b32_e32 v35, 0x80000000, v35
	s_delay_alu instid0(VALU_DEP_1)
	v_or3_b32 v54, v27, v35, v36
.LBB220_56:                             ;   in Loop: Header=BB220_10 Depth=1
	s_or_b32 exec_lo, exec_lo, s40
.LBB220_57:                             ;   in Loop: Header=BB220_10 Depth=1
	s_delay_alu instid0(SALU_CYCLE_1)
	s_or_b32 exec_lo, exec_lo, s39
.LBB220_58:                             ;   in Loop: Header=BB220_10 Depth=1
	s_delay_alu instid0(SALU_CYCLE_1) | instskip(SKIP_1) | instid1(VALU_DEP_1)
	s_or_b32 exec_lo, exec_lo, s3
	v_add_co_u32 v35, s1, 0x80, v33
	v_add_co_ci_u32_e64 v36, s1, 0, v34, s1
	s_mov_b32 s3, exec_lo
	global_load_u8 v55, v[35:36], off offset:8
	s_waitcnt vmcnt(0)
	v_cmpx_ne_u16_e32 0, v55
	s_cbranch_execz .LBB220_66
; %bb.59:                               ;   in Loop: Header=BB220_10 Depth=1
	v_bfrev_b32_e32 v53, 1
	s_mov_b32 s39, exec_lo
	v_cmpx_ne_u16_e32 0x80, v55
	s_cbranch_execz .LBB220_65
; %bb.60:                               ;   in Loop: Header=BB220_10 Depth=1
	v_and_b32_e32 v27, 0xffff, v55
	v_mov_b32_e32 v53, 0x7f800001
	s_mov_b32 s40, exec_lo
	s_delay_alu instid0(VALU_DEP_2) | instskip(NEXT) | instid1(VALU_DEP_1)
	v_and_b32_e32 v56, 0x7f, v27
	v_cmpx_ne_u32_e32 0x7f, v56
	s_cbranch_execz .LBB220_64
; %bb.61:                               ;   in Loop: Header=BB220_10 Depth=1
	v_and_b32_e32 v27, 7, v27
	v_lshrrev_b32_e32 v53, 3, v56
	s_mov_b32 s41, exec_lo
	v_cmpx_gt_u32_e32 8, v56
; %bb.62:                               ;   in Loop: Header=BB220_10 Depth=1
	s_delay_alu instid0(VALU_DEP_3) | instskip(NEXT) | instid1(VALU_DEP_1)
	v_clz_i32_u32_e32 v53, v27
	v_min_u32_e32 v53, 32, v53
	s_delay_alu instid0(VALU_DEP_1) | instskip(SKIP_1) | instid1(VALU_DEP_2)
	v_subrev_nc_u32_e32 v56, 28, v53
	v_sub_nc_u32_e32 v53, 29, v53
	v_lshlrev_b64 v[56:57], v56, v[27:28]
	s_delay_alu instid0(VALU_DEP_1)
	v_and_b32_e32 v27, 7, v56
; %bb.63:                               ;   in Loop: Header=BB220_10 Depth=1
	s_or_b32 exec_lo, exec_lo, s41
	v_lshlrev_b32_e32 v55, 24, v55
	s_delay_alu instid0(VALU_DEP_2) | instskip(SKIP_1) | instid1(VALU_DEP_3)
	v_lshlrev_b32_e32 v27, 20, v27
	v_lshl_add_u32 v53, v53, 23, 0x3c000000
	v_and_b32_e32 v55, 0x80000000, v55
	s_delay_alu instid0(VALU_DEP_1)
	v_or3_b32 v53, v27, v55, v53
.LBB220_64:                             ;   in Loop: Header=BB220_10 Depth=1
	s_or_b32 exec_lo, exec_lo, s40
.LBB220_65:                             ;   in Loop: Header=BB220_10 Depth=1
	s_delay_alu instid0(SALU_CYCLE_1)
	s_or_b32 exec_lo, exec_lo, s39
.LBB220_66:                             ;   in Loop: Header=BB220_10 Depth=1
	s_delay_alu instid0(SALU_CYCLE_1)
	s_or_b32 exec_lo, exec_lo, s3
	global_load_u8 v35, v[35:36], off offset:12
	v_dual_mov_b32 v55, 0 :: v_dual_mov_b32 v56, 0
	s_mov_b32 s3, exec_lo
	s_waitcnt vmcnt(0)
	v_cmpx_ne_u16_e32 0, v35
	s_cbranch_execz .LBB220_74
; %bb.67:                               ;   in Loop: Header=BB220_10 Depth=1
	v_bfrev_b32_e32 v56, 1
	s_mov_b32 s39, exec_lo
	v_cmpx_ne_u16_e32 0x80, v35
	s_cbranch_execz .LBB220_73
; %bb.68:                               ;   in Loop: Header=BB220_10 Depth=1
	v_and_b32_e32 v27, 0xffff, v35
	v_mov_b32_e32 v56, 0x7f800001
	s_mov_b32 s40, exec_lo
	s_delay_alu instid0(VALU_DEP_2) | instskip(NEXT) | instid1(VALU_DEP_1)
	v_and_b32_e32 v57, 0x7f, v27
	v_cmpx_ne_u32_e32 0x7f, v57
	s_cbranch_execz .LBB220_72
; %bb.69:                               ;   in Loop: Header=BB220_10 Depth=1
	v_and_b32_e32 v27, 7, v27
	v_lshrrev_b32_e32 v36, 3, v57
	s_mov_b32 s41, exec_lo
	v_cmpx_gt_u32_e32 8, v57
; %bb.70:                               ;   in Loop: Header=BB220_10 Depth=1
	s_delay_alu instid0(VALU_DEP_3) | instskip(NEXT) | instid1(VALU_DEP_1)
	v_clz_i32_u32_e32 v36, v27
	v_min_u32_e32 v36, 32, v36
	s_delay_alu instid0(VALU_DEP_1) | instskip(SKIP_1) | instid1(VALU_DEP_2)
	v_subrev_nc_u32_e32 v56, 28, v36
	v_sub_nc_u32_e32 v36, 29, v36
	v_lshlrev_b64 v[56:57], v56, v[27:28]
	s_delay_alu instid0(VALU_DEP_1)
	v_and_b32_e32 v27, 7, v56
; %bb.71:                               ;   in Loop: Header=BB220_10 Depth=1
	s_or_b32 exec_lo, exec_lo, s41
	v_lshlrev_b32_e32 v35, 24, v35
	s_delay_alu instid0(VALU_DEP_2) | instskip(SKIP_1) | instid1(VALU_DEP_3)
	v_lshlrev_b32_e32 v27, 20, v27
	v_lshl_add_u32 v36, v36, 23, 0x3c000000
	v_and_b32_e32 v35, 0x80000000, v35
	s_delay_alu instid0(VALU_DEP_1)
	v_or3_b32 v56, v27, v35, v36
.LBB220_72:                             ;   in Loop: Header=BB220_10 Depth=1
	s_or_b32 exec_lo, exec_lo, s40
.LBB220_73:                             ;   in Loop: Header=BB220_10 Depth=1
	s_delay_alu instid0(SALU_CYCLE_1)
	s_or_b32 exec_lo, exec_lo, s39
.LBB220_74:                             ;   in Loop: Header=BB220_10 Depth=1
	s_delay_alu instid0(SALU_CYCLE_1)
	s_or_b32 exec_lo, exec_lo, s3
	global_load_u8 v35, v[33:34], off offset:256
	s_mov_b32 s3, exec_lo
	s_waitcnt vmcnt(0)
	v_cmpx_ne_u16_e32 0, v35
	s_cbranch_execz .LBB220_82
; %bb.75:                               ;   in Loop: Header=BB220_10 Depth=1
	v_bfrev_b32_e32 v55, 1
	s_mov_b32 s39, exec_lo
	v_cmpx_ne_u16_e32 0x80, v35
	s_cbranch_execz .LBB220_81
; %bb.76:                               ;   in Loop: Header=BB220_10 Depth=1
	v_and_b32_e32 v27, 0xffff, v35
	v_mov_b32_e32 v55, 0x7f800001
	s_mov_b32 s40, exec_lo
	s_delay_alu instid0(VALU_DEP_2) | instskip(NEXT) | instid1(VALU_DEP_1)
	v_and_b32_e32 v57, 0x7f, v27
	v_cmpx_ne_u32_e32 0x7f, v57
	s_cbranch_execz .LBB220_80
; %bb.77:                               ;   in Loop: Header=BB220_10 Depth=1
	v_and_b32_e32 v27, 7, v27
	v_lshrrev_b32_e32 v36, 3, v57
	s_mov_b32 s41, exec_lo
	v_cmpx_gt_u32_e32 8, v57
; %bb.78:                               ;   in Loop: Header=BB220_10 Depth=1
	s_delay_alu instid0(VALU_DEP_3) | instskip(NEXT) | instid1(VALU_DEP_1)
	v_clz_i32_u32_e32 v36, v27
	v_min_u32_e32 v36, 32, v36
	s_delay_alu instid0(VALU_DEP_1) | instskip(SKIP_1) | instid1(VALU_DEP_2)
	v_subrev_nc_u32_e32 v55, 28, v36
	v_sub_nc_u32_e32 v36, 29, v36
	v_lshlrev_b64 v[57:58], v55, v[27:28]
	s_delay_alu instid0(VALU_DEP_1)
	v_and_b32_e32 v27, 7, v57
; %bb.79:                               ;   in Loop: Header=BB220_10 Depth=1
	s_or_b32 exec_lo, exec_lo, s41
	v_lshlrev_b32_e32 v35, 24, v35
	s_delay_alu instid0(VALU_DEP_2) | instskip(SKIP_1) | instid1(VALU_DEP_3)
	v_lshlrev_b32_e32 v27, 20, v27
	v_lshl_add_u32 v36, v36, 23, 0x3c000000
	v_and_b32_e32 v35, 0x80000000, v35
	s_delay_alu instid0(VALU_DEP_1)
	v_or3_b32 v55, v27, v35, v36
.LBB220_80:                             ;   in Loop: Header=BB220_10 Depth=1
	s_or_b32 exec_lo, exec_lo, s40
.LBB220_81:                             ;   in Loop: Header=BB220_10 Depth=1
	s_delay_alu instid0(SALU_CYCLE_1)
	s_or_b32 exec_lo, exec_lo, s39
.LBB220_82:                             ;   in Loop: Header=BB220_10 Depth=1
	s_delay_alu instid0(SALU_CYCLE_1)
	s_or_b32 exec_lo, exec_lo, s3
	global_load_u8 v35, v[33:34], off offset:260
	v_dual_mov_b32 v57, 0 :: v_dual_mov_b32 v58, 0
	s_mov_b32 s3, exec_lo
	s_waitcnt vmcnt(0)
	v_cmpx_ne_u16_e32 0, v35
	s_cbranch_execz .LBB220_90
; %bb.83:                               ;   in Loop: Header=BB220_10 Depth=1
	v_bfrev_b32_e32 v58, 1
	s_mov_b32 s39, exec_lo
	v_cmpx_ne_u16_e32 0x80, v35
	s_cbranch_execz .LBB220_89
; %bb.84:                               ;   in Loop: Header=BB220_10 Depth=1
	v_and_b32_e32 v27, 0xffff, v35
	v_mov_b32_e32 v58, 0x7f800001
	s_mov_b32 s40, exec_lo
	s_delay_alu instid0(VALU_DEP_2) | instskip(NEXT) | instid1(VALU_DEP_1)
	v_and_b32_e32 v59, 0x7f, v27
	v_cmpx_ne_u32_e32 0x7f, v59
	s_cbranch_execz .LBB220_88
; %bb.85:                               ;   in Loop: Header=BB220_10 Depth=1
	v_and_b32_e32 v27, 7, v27
	v_lshrrev_b32_e32 v36, 3, v59
	s_mov_b32 s41, exec_lo
	v_cmpx_gt_u32_e32 8, v59
; %bb.86:                               ;   in Loop: Header=BB220_10 Depth=1
	s_delay_alu instid0(VALU_DEP_3) | instskip(NEXT) | instid1(VALU_DEP_1)
	v_clz_i32_u32_e32 v36, v27
	v_min_u32_e32 v36, 32, v36
	s_delay_alu instid0(VALU_DEP_1) | instskip(SKIP_1) | instid1(VALU_DEP_2)
	v_subrev_nc_u32_e32 v58, 28, v36
	v_sub_nc_u32_e32 v36, 29, v36
	v_lshlrev_b64 v[58:59], v58, v[27:28]
	s_delay_alu instid0(VALU_DEP_1)
	v_and_b32_e32 v27, 7, v58
; %bb.87:                               ;   in Loop: Header=BB220_10 Depth=1
	s_or_b32 exec_lo, exec_lo, s41
	v_lshlrev_b32_e32 v35, 24, v35
	s_delay_alu instid0(VALU_DEP_2) | instskip(SKIP_1) | instid1(VALU_DEP_3)
	v_lshlrev_b32_e32 v27, 20, v27
	v_lshl_add_u32 v36, v36, 23, 0x3c000000
	v_and_b32_e32 v35, 0x80000000, v35
	s_delay_alu instid0(VALU_DEP_1)
	v_or3_b32 v58, v27, v35, v36
.LBB220_88:                             ;   in Loop: Header=BB220_10 Depth=1
	s_or_b32 exec_lo, exec_lo, s40
.LBB220_89:                             ;   in Loop: Header=BB220_10 Depth=1
	s_delay_alu instid0(SALU_CYCLE_1)
	s_or_b32 exec_lo, exec_lo, s39
.LBB220_90:                             ;   in Loop: Header=BB220_10 Depth=1
	s_delay_alu instid0(SALU_CYCLE_1) | instskip(SKIP_1) | instid1(VALU_DEP_1)
	s_or_b32 exec_lo, exec_lo, s3
	v_add_co_u32 v35, s1, 0x100, v33
	v_add_co_ci_u32_e64 v36, s1, 0, v34, s1
	s_mov_b32 s3, exec_lo
	global_load_u8 v59, v[35:36], off offset:8
	s_waitcnt vmcnt(0)
	v_cmpx_ne_u16_e32 0, v59
	s_cbranch_execz .LBB220_98
; %bb.91:                               ;   in Loop: Header=BB220_10 Depth=1
	v_bfrev_b32_e32 v57, 1
	s_mov_b32 s39, exec_lo
	v_cmpx_ne_u16_e32 0x80, v59
	s_cbranch_execz .LBB220_97
; %bb.92:                               ;   in Loop: Header=BB220_10 Depth=1
	v_and_b32_e32 v27, 0xffff, v59
	v_mov_b32_e32 v57, 0x7f800001
	s_mov_b32 s40, exec_lo
	s_delay_alu instid0(VALU_DEP_2) | instskip(NEXT) | instid1(VALU_DEP_1)
	v_and_b32_e32 v60, 0x7f, v27
	v_cmpx_ne_u32_e32 0x7f, v60
	s_cbranch_execz .LBB220_96
; %bb.93:                               ;   in Loop: Header=BB220_10 Depth=1
	v_and_b32_e32 v27, 7, v27
	v_lshrrev_b32_e32 v57, 3, v60
	s_mov_b32 s41, exec_lo
	v_cmpx_gt_u32_e32 8, v60
; %bb.94:                               ;   in Loop: Header=BB220_10 Depth=1
	s_delay_alu instid0(VALU_DEP_3) | instskip(NEXT) | instid1(VALU_DEP_1)
	v_clz_i32_u32_e32 v57, v27
	v_min_u32_e32 v57, 32, v57
	s_delay_alu instid0(VALU_DEP_1) | instskip(SKIP_1) | instid1(VALU_DEP_2)
	v_subrev_nc_u32_e32 v60, 28, v57
	v_sub_nc_u32_e32 v57, 29, v57
	v_lshlrev_b64 v[60:61], v60, v[27:28]
	s_delay_alu instid0(VALU_DEP_1)
	v_and_b32_e32 v27, 7, v60
; %bb.95:                               ;   in Loop: Header=BB220_10 Depth=1
	s_or_b32 exec_lo, exec_lo, s41
	v_lshlrev_b32_e32 v59, 24, v59
	s_delay_alu instid0(VALU_DEP_2) | instskip(SKIP_1) | instid1(VALU_DEP_3)
	v_lshlrev_b32_e32 v27, 20, v27
	v_lshl_add_u32 v57, v57, 23, 0x3c000000
	v_and_b32_e32 v59, 0x80000000, v59
	s_delay_alu instid0(VALU_DEP_1)
	v_or3_b32 v57, v27, v59, v57
.LBB220_96:                             ;   in Loop: Header=BB220_10 Depth=1
	s_or_b32 exec_lo, exec_lo, s40
.LBB220_97:                             ;   in Loop: Header=BB220_10 Depth=1
	s_delay_alu instid0(SALU_CYCLE_1)
	s_or_b32 exec_lo, exec_lo, s39
.LBB220_98:                             ;   in Loop: Header=BB220_10 Depth=1
	s_delay_alu instid0(SALU_CYCLE_1)
	s_or_b32 exec_lo, exec_lo, s3
	global_load_u8 v35, v[35:36], off offset:12
	v_dual_mov_b32 v59, 0 :: v_dual_mov_b32 v60, 0
	s_mov_b32 s3, exec_lo
	s_waitcnt vmcnt(0)
	v_cmpx_ne_u16_e32 0, v35
	s_cbranch_execz .LBB220_106
; %bb.99:                               ;   in Loop: Header=BB220_10 Depth=1
	v_bfrev_b32_e32 v60, 1
	s_mov_b32 s39, exec_lo
	v_cmpx_ne_u16_e32 0x80, v35
	s_cbranch_execz .LBB220_105
; %bb.100:                              ;   in Loop: Header=BB220_10 Depth=1
	v_and_b32_e32 v27, 0xffff, v35
	v_mov_b32_e32 v60, 0x7f800001
	s_mov_b32 s40, exec_lo
	s_delay_alu instid0(VALU_DEP_2) | instskip(NEXT) | instid1(VALU_DEP_1)
	v_and_b32_e32 v61, 0x7f, v27
	v_cmpx_ne_u32_e32 0x7f, v61
	s_cbranch_execz .LBB220_104
; %bb.101:                              ;   in Loop: Header=BB220_10 Depth=1
	v_and_b32_e32 v27, 7, v27
	v_lshrrev_b32_e32 v36, 3, v61
	s_mov_b32 s41, exec_lo
	v_cmpx_gt_u32_e32 8, v61
; %bb.102:                              ;   in Loop: Header=BB220_10 Depth=1
	s_delay_alu instid0(VALU_DEP_3) | instskip(NEXT) | instid1(VALU_DEP_1)
	v_clz_i32_u32_e32 v36, v27
	v_min_u32_e32 v36, 32, v36
	s_delay_alu instid0(VALU_DEP_1) | instskip(SKIP_1) | instid1(VALU_DEP_2)
	v_subrev_nc_u32_e32 v60, 28, v36
	v_sub_nc_u32_e32 v36, 29, v36
	v_lshlrev_b64 v[60:61], v60, v[27:28]
	s_delay_alu instid0(VALU_DEP_1)
	v_and_b32_e32 v27, 7, v60
; %bb.103:                              ;   in Loop: Header=BB220_10 Depth=1
	s_or_b32 exec_lo, exec_lo, s41
	v_lshlrev_b32_e32 v35, 24, v35
	s_delay_alu instid0(VALU_DEP_2) | instskip(SKIP_1) | instid1(VALU_DEP_3)
	v_lshlrev_b32_e32 v27, 20, v27
	v_lshl_add_u32 v36, v36, 23, 0x3c000000
	v_and_b32_e32 v35, 0x80000000, v35
	s_delay_alu instid0(VALU_DEP_1)
	v_or3_b32 v60, v27, v35, v36
.LBB220_104:                            ;   in Loop: Header=BB220_10 Depth=1
	s_or_b32 exec_lo, exec_lo, s40
.LBB220_105:                            ;   in Loop: Header=BB220_10 Depth=1
	s_delay_alu instid0(SALU_CYCLE_1)
	s_or_b32 exec_lo, exec_lo, s39
.LBB220_106:                            ;   in Loop: Header=BB220_10 Depth=1
	s_delay_alu instid0(SALU_CYCLE_1)
	s_or_b32 exec_lo, exec_lo, s3
	global_load_u8 v35, v[33:34], off offset:384
	s_mov_b32 s3, exec_lo
	s_waitcnt vmcnt(0)
	v_cmpx_ne_u16_e32 0, v35
	s_cbranch_execz .LBB220_114
; %bb.107:                              ;   in Loop: Header=BB220_10 Depth=1
	v_bfrev_b32_e32 v59, 1
	s_mov_b32 s39, exec_lo
	v_cmpx_ne_u16_e32 0x80, v35
	s_cbranch_execz .LBB220_113
; %bb.108:                              ;   in Loop: Header=BB220_10 Depth=1
	v_and_b32_e32 v27, 0xffff, v35
	v_mov_b32_e32 v59, 0x7f800001
	s_mov_b32 s40, exec_lo
	s_delay_alu instid0(VALU_DEP_2) | instskip(NEXT) | instid1(VALU_DEP_1)
	v_and_b32_e32 v61, 0x7f, v27
	v_cmpx_ne_u32_e32 0x7f, v61
	s_cbranch_execz .LBB220_112
; %bb.109:                              ;   in Loop: Header=BB220_10 Depth=1
	v_and_b32_e32 v27, 7, v27
	v_lshrrev_b32_e32 v36, 3, v61
	s_mov_b32 s41, exec_lo
	v_cmpx_gt_u32_e32 8, v61
; %bb.110:                              ;   in Loop: Header=BB220_10 Depth=1
	s_delay_alu instid0(VALU_DEP_3) | instskip(NEXT) | instid1(VALU_DEP_1)
	v_clz_i32_u32_e32 v36, v27
	v_min_u32_e32 v36, 32, v36
	s_delay_alu instid0(VALU_DEP_1) | instskip(SKIP_1) | instid1(VALU_DEP_2)
	v_subrev_nc_u32_e32 v59, 28, v36
	v_sub_nc_u32_e32 v36, 29, v36
	v_lshlrev_b64 v[61:62], v59, v[27:28]
	s_delay_alu instid0(VALU_DEP_1)
	v_and_b32_e32 v27, 7, v61
; %bb.111:                              ;   in Loop: Header=BB220_10 Depth=1
	s_or_b32 exec_lo, exec_lo, s41
	v_lshlrev_b32_e32 v35, 24, v35
	s_delay_alu instid0(VALU_DEP_2) | instskip(SKIP_1) | instid1(VALU_DEP_3)
	v_lshlrev_b32_e32 v27, 20, v27
	v_lshl_add_u32 v36, v36, 23, 0x3c000000
	v_and_b32_e32 v35, 0x80000000, v35
	s_delay_alu instid0(VALU_DEP_1)
	v_or3_b32 v59, v27, v35, v36
.LBB220_112:                            ;   in Loop: Header=BB220_10 Depth=1
	s_or_b32 exec_lo, exec_lo, s40
.LBB220_113:                            ;   in Loop: Header=BB220_10 Depth=1
	s_delay_alu instid0(SALU_CYCLE_1)
	s_or_b32 exec_lo, exec_lo, s39
.LBB220_114:                            ;   in Loop: Header=BB220_10 Depth=1
	s_delay_alu instid0(SALU_CYCLE_1)
	s_or_b32 exec_lo, exec_lo, s3
	global_load_u8 v35, v[33:34], off offset:388
	v_dual_mov_b32 v61, 0 :: v_dual_mov_b32 v62, 0
	s_mov_b32 s3, exec_lo
	s_waitcnt vmcnt(0)
	v_cmpx_ne_u16_e32 0, v35
	s_cbranch_execz .LBB220_122
; %bb.115:                              ;   in Loop: Header=BB220_10 Depth=1
	v_bfrev_b32_e32 v62, 1
	s_mov_b32 s39, exec_lo
	v_cmpx_ne_u16_e32 0x80, v35
	s_cbranch_execz .LBB220_121
; %bb.116:                              ;   in Loop: Header=BB220_10 Depth=1
	v_and_b32_e32 v27, 0xffff, v35
	v_mov_b32_e32 v62, 0x7f800001
	s_mov_b32 s40, exec_lo
	s_delay_alu instid0(VALU_DEP_2) | instskip(NEXT) | instid1(VALU_DEP_1)
	v_and_b32_e32 v63, 0x7f, v27
	v_cmpx_ne_u32_e32 0x7f, v63
	s_cbranch_execz .LBB220_120
; %bb.117:                              ;   in Loop: Header=BB220_10 Depth=1
	v_and_b32_e32 v27, 7, v27
	v_lshrrev_b32_e32 v36, 3, v63
	s_mov_b32 s41, exec_lo
	v_cmpx_gt_u32_e32 8, v63
; %bb.118:                              ;   in Loop: Header=BB220_10 Depth=1
	s_delay_alu instid0(VALU_DEP_3) | instskip(NEXT) | instid1(VALU_DEP_1)
	v_clz_i32_u32_e32 v36, v27
	v_min_u32_e32 v36, 32, v36
	s_delay_alu instid0(VALU_DEP_1) | instskip(SKIP_1) | instid1(VALU_DEP_2)
	v_subrev_nc_u32_e32 v62, 28, v36
	v_sub_nc_u32_e32 v36, 29, v36
	v_lshlrev_b64 v[62:63], v62, v[27:28]
	s_delay_alu instid0(VALU_DEP_1)
	v_and_b32_e32 v27, 7, v62
; %bb.119:                              ;   in Loop: Header=BB220_10 Depth=1
	s_or_b32 exec_lo, exec_lo, s41
	v_lshlrev_b32_e32 v35, 24, v35
	s_delay_alu instid0(VALU_DEP_2) | instskip(SKIP_1) | instid1(VALU_DEP_3)
	v_lshlrev_b32_e32 v27, 20, v27
	v_lshl_add_u32 v36, v36, 23, 0x3c000000
	v_and_b32_e32 v35, 0x80000000, v35
	s_delay_alu instid0(VALU_DEP_1)
	v_or3_b32 v62, v27, v35, v36
.LBB220_120:                            ;   in Loop: Header=BB220_10 Depth=1
	s_or_b32 exec_lo, exec_lo, s40
.LBB220_121:                            ;   in Loop: Header=BB220_10 Depth=1
	s_delay_alu instid0(SALU_CYCLE_1)
	s_or_b32 exec_lo, exec_lo, s39
.LBB220_122:                            ;   in Loop: Header=BB220_10 Depth=1
	s_delay_alu instid0(SALU_CYCLE_1) | instskip(SKIP_1) | instid1(VALU_DEP_1)
	s_or_b32 exec_lo, exec_lo, s3
	v_add_co_u32 v35, s1, 0x180, v33
	v_add_co_ci_u32_e64 v36, s1, 0, v34, s1
	s_mov_b32 s3, exec_lo
	global_load_u8 v63, v[35:36], off offset:8
	s_waitcnt vmcnt(0)
	v_cmpx_ne_u16_e32 0, v63
	s_cbranch_execz .LBB220_130
; %bb.123:                              ;   in Loop: Header=BB220_10 Depth=1
	v_bfrev_b32_e32 v61, 1
	s_mov_b32 s39, exec_lo
	v_cmpx_ne_u16_e32 0x80, v63
	s_cbranch_execz .LBB220_129
; %bb.124:                              ;   in Loop: Header=BB220_10 Depth=1
	v_and_b32_e32 v27, 0xffff, v63
	v_mov_b32_e32 v61, 0x7f800001
	s_mov_b32 s40, exec_lo
	s_delay_alu instid0(VALU_DEP_2) | instskip(NEXT) | instid1(VALU_DEP_1)
	v_and_b32_e32 v64, 0x7f, v27
	v_cmpx_ne_u32_e32 0x7f, v64
	s_cbranch_execz .LBB220_128
; %bb.125:                              ;   in Loop: Header=BB220_10 Depth=1
	v_and_b32_e32 v27, 7, v27
	v_lshrrev_b32_e32 v61, 3, v64
	s_mov_b32 s41, exec_lo
	v_cmpx_gt_u32_e32 8, v64
; %bb.126:                              ;   in Loop: Header=BB220_10 Depth=1
	s_delay_alu instid0(VALU_DEP_3) | instskip(NEXT) | instid1(VALU_DEP_1)
	v_clz_i32_u32_e32 v61, v27
	v_min_u32_e32 v61, 32, v61
	s_delay_alu instid0(VALU_DEP_1) | instskip(SKIP_1) | instid1(VALU_DEP_2)
	v_subrev_nc_u32_e32 v64, 28, v61
	v_sub_nc_u32_e32 v61, 29, v61
	v_lshlrev_b64 v[64:65], v64, v[27:28]
	s_delay_alu instid0(VALU_DEP_1)
	v_and_b32_e32 v27, 7, v64
; %bb.127:                              ;   in Loop: Header=BB220_10 Depth=1
	s_or_b32 exec_lo, exec_lo, s41
	v_lshlrev_b32_e32 v63, 24, v63
	s_delay_alu instid0(VALU_DEP_2) | instskip(SKIP_1) | instid1(VALU_DEP_3)
	v_lshlrev_b32_e32 v27, 20, v27
	v_lshl_add_u32 v61, v61, 23, 0x3c000000
	v_and_b32_e32 v63, 0x80000000, v63
	s_delay_alu instid0(VALU_DEP_1)
	v_or3_b32 v61, v27, v63, v61
.LBB220_128:                            ;   in Loop: Header=BB220_10 Depth=1
	s_or_b32 exec_lo, exec_lo, s40
.LBB220_129:                            ;   in Loop: Header=BB220_10 Depth=1
	s_delay_alu instid0(SALU_CYCLE_1)
	s_or_b32 exec_lo, exec_lo, s39
.LBB220_130:                            ;   in Loop: Header=BB220_10 Depth=1
	s_delay_alu instid0(SALU_CYCLE_1)
	s_or_b32 exec_lo, exec_lo, s3
	global_load_u8 v35, v[35:36], off offset:12
	v_dual_mov_b32 v63, 0 :: v_dual_mov_b32 v64, 0
	s_mov_b32 s3, exec_lo
	s_waitcnt vmcnt(0)
	v_cmpx_ne_u16_e32 0, v35
	s_cbranch_execz .LBB220_138
; %bb.131:                              ;   in Loop: Header=BB220_10 Depth=1
	v_bfrev_b32_e32 v64, 1
	s_mov_b32 s39, exec_lo
	v_cmpx_ne_u16_e32 0x80, v35
	s_cbranch_execz .LBB220_137
; %bb.132:                              ;   in Loop: Header=BB220_10 Depth=1
	v_and_b32_e32 v27, 0xffff, v35
	v_mov_b32_e32 v64, 0x7f800001
	s_mov_b32 s40, exec_lo
	s_delay_alu instid0(VALU_DEP_2) | instskip(NEXT) | instid1(VALU_DEP_1)
	v_and_b32_e32 v65, 0x7f, v27
	v_cmpx_ne_u32_e32 0x7f, v65
	s_cbranch_execz .LBB220_136
; %bb.133:                              ;   in Loop: Header=BB220_10 Depth=1
	v_and_b32_e32 v27, 7, v27
	v_lshrrev_b32_e32 v36, 3, v65
	s_mov_b32 s41, exec_lo
	v_cmpx_gt_u32_e32 8, v65
; %bb.134:                              ;   in Loop: Header=BB220_10 Depth=1
	s_delay_alu instid0(VALU_DEP_3) | instskip(NEXT) | instid1(VALU_DEP_1)
	v_clz_i32_u32_e32 v36, v27
	v_min_u32_e32 v36, 32, v36
	s_delay_alu instid0(VALU_DEP_1) | instskip(SKIP_1) | instid1(VALU_DEP_2)
	v_subrev_nc_u32_e32 v64, 28, v36
	v_sub_nc_u32_e32 v36, 29, v36
	v_lshlrev_b64 v[64:65], v64, v[27:28]
	s_delay_alu instid0(VALU_DEP_1)
	v_and_b32_e32 v27, 7, v64
; %bb.135:                              ;   in Loop: Header=BB220_10 Depth=1
	s_or_b32 exec_lo, exec_lo, s41
	v_lshlrev_b32_e32 v35, 24, v35
	s_delay_alu instid0(VALU_DEP_2) | instskip(SKIP_1) | instid1(VALU_DEP_3)
	v_lshlrev_b32_e32 v27, 20, v27
	v_lshl_add_u32 v36, v36, 23, 0x3c000000
	v_and_b32_e32 v35, 0x80000000, v35
	s_delay_alu instid0(VALU_DEP_1)
	v_or3_b32 v64, v27, v35, v36
.LBB220_136:                            ;   in Loop: Header=BB220_10 Depth=1
	s_or_b32 exec_lo, exec_lo, s40
.LBB220_137:                            ;   in Loop: Header=BB220_10 Depth=1
	s_delay_alu instid0(SALU_CYCLE_1)
	s_or_b32 exec_lo, exec_lo, s39
.LBB220_138:                            ;   in Loop: Header=BB220_10 Depth=1
	s_delay_alu instid0(SALU_CYCLE_1)
	s_or_b32 exec_lo, exec_lo, s3
	global_load_u8 v35, v[33:34], off offset:512
	s_mov_b32 s3, exec_lo
	s_waitcnt vmcnt(0)
	v_cmpx_ne_u16_e32 0, v35
	s_cbranch_execz .LBB220_146
; %bb.139:                              ;   in Loop: Header=BB220_10 Depth=1
	v_bfrev_b32_e32 v63, 1
	s_mov_b32 s39, exec_lo
	v_cmpx_ne_u16_e32 0x80, v35
	s_cbranch_execz .LBB220_145
; %bb.140:                              ;   in Loop: Header=BB220_10 Depth=1
	v_and_b32_e32 v27, 0xffff, v35
	v_mov_b32_e32 v63, 0x7f800001
	s_mov_b32 s40, exec_lo
	s_delay_alu instid0(VALU_DEP_2) | instskip(NEXT) | instid1(VALU_DEP_1)
	v_and_b32_e32 v65, 0x7f, v27
	v_cmpx_ne_u32_e32 0x7f, v65
	s_cbranch_execz .LBB220_144
; %bb.141:                              ;   in Loop: Header=BB220_10 Depth=1
	v_and_b32_e32 v27, 7, v27
	v_lshrrev_b32_e32 v36, 3, v65
	s_mov_b32 s41, exec_lo
	v_cmpx_gt_u32_e32 8, v65
; %bb.142:                              ;   in Loop: Header=BB220_10 Depth=1
	s_delay_alu instid0(VALU_DEP_3) | instskip(NEXT) | instid1(VALU_DEP_1)
	v_clz_i32_u32_e32 v36, v27
	v_min_u32_e32 v36, 32, v36
	s_delay_alu instid0(VALU_DEP_1) | instskip(SKIP_1) | instid1(VALU_DEP_2)
	v_subrev_nc_u32_e32 v63, 28, v36
	v_sub_nc_u32_e32 v36, 29, v36
	v_lshlrev_b64 v[65:66], v63, v[27:28]
	s_delay_alu instid0(VALU_DEP_1)
	v_and_b32_e32 v27, 7, v65
; %bb.143:                              ;   in Loop: Header=BB220_10 Depth=1
	s_or_b32 exec_lo, exec_lo, s41
	v_lshlrev_b32_e32 v35, 24, v35
	s_delay_alu instid0(VALU_DEP_2) | instskip(SKIP_1) | instid1(VALU_DEP_3)
	v_lshlrev_b32_e32 v27, 20, v27
	v_lshl_add_u32 v36, v36, 23, 0x3c000000
	v_and_b32_e32 v35, 0x80000000, v35
	s_delay_alu instid0(VALU_DEP_1)
	v_or3_b32 v63, v27, v35, v36
.LBB220_144:                            ;   in Loop: Header=BB220_10 Depth=1
	s_or_b32 exec_lo, exec_lo, s40
.LBB220_145:                            ;   in Loop: Header=BB220_10 Depth=1
	s_delay_alu instid0(SALU_CYCLE_1)
	s_or_b32 exec_lo, exec_lo, s39
.LBB220_146:                            ;   in Loop: Header=BB220_10 Depth=1
	s_delay_alu instid0(SALU_CYCLE_1)
	s_or_b32 exec_lo, exec_lo, s3
	global_load_u8 v35, v[33:34], off offset:516
	v_dual_mov_b32 v65, 0 :: v_dual_mov_b32 v66, 0
	s_mov_b32 s3, exec_lo
	s_waitcnt vmcnt(0)
	v_cmpx_ne_u16_e32 0, v35
	s_cbranch_execz .LBB220_154
; %bb.147:                              ;   in Loop: Header=BB220_10 Depth=1
	v_bfrev_b32_e32 v66, 1
	s_mov_b32 s39, exec_lo
	v_cmpx_ne_u16_e32 0x80, v35
	s_cbranch_execz .LBB220_153
; %bb.148:                              ;   in Loop: Header=BB220_10 Depth=1
	v_and_b32_e32 v27, 0xffff, v35
	v_mov_b32_e32 v66, 0x7f800001
	s_mov_b32 s40, exec_lo
	s_delay_alu instid0(VALU_DEP_2) | instskip(NEXT) | instid1(VALU_DEP_1)
	v_and_b32_e32 v67, 0x7f, v27
	v_cmpx_ne_u32_e32 0x7f, v67
	s_cbranch_execz .LBB220_152
; %bb.149:                              ;   in Loop: Header=BB220_10 Depth=1
	v_and_b32_e32 v27, 7, v27
	v_lshrrev_b32_e32 v36, 3, v67
	s_mov_b32 s41, exec_lo
	v_cmpx_gt_u32_e32 8, v67
; %bb.150:                              ;   in Loop: Header=BB220_10 Depth=1
	s_delay_alu instid0(VALU_DEP_3) | instskip(NEXT) | instid1(VALU_DEP_1)
	v_clz_i32_u32_e32 v36, v27
	v_min_u32_e32 v36, 32, v36
	s_delay_alu instid0(VALU_DEP_1) | instskip(SKIP_1) | instid1(VALU_DEP_2)
	v_subrev_nc_u32_e32 v66, 28, v36
	v_sub_nc_u32_e32 v36, 29, v36
	v_lshlrev_b64 v[66:67], v66, v[27:28]
	s_delay_alu instid0(VALU_DEP_1)
	v_and_b32_e32 v27, 7, v66
; %bb.151:                              ;   in Loop: Header=BB220_10 Depth=1
	s_or_b32 exec_lo, exec_lo, s41
	v_lshlrev_b32_e32 v35, 24, v35
	s_delay_alu instid0(VALU_DEP_2) | instskip(SKIP_1) | instid1(VALU_DEP_3)
	v_lshlrev_b32_e32 v27, 20, v27
	v_lshl_add_u32 v36, v36, 23, 0x3c000000
	v_and_b32_e32 v35, 0x80000000, v35
	s_delay_alu instid0(VALU_DEP_1)
	v_or3_b32 v66, v27, v35, v36
.LBB220_152:                            ;   in Loop: Header=BB220_10 Depth=1
	s_or_b32 exec_lo, exec_lo, s40
.LBB220_153:                            ;   in Loop: Header=BB220_10 Depth=1
	s_delay_alu instid0(SALU_CYCLE_1)
	s_or_b32 exec_lo, exec_lo, s39
.LBB220_154:                            ;   in Loop: Header=BB220_10 Depth=1
	s_delay_alu instid0(SALU_CYCLE_1) | instskip(SKIP_1) | instid1(VALU_DEP_1)
	s_or_b32 exec_lo, exec_lo, s3
	v_add_co_u32 v35, s1, 0x200, v33
	v_add_co_ci_u32_e64 v36, s1, 0, v34, s1
	s_mov_b32 s3, exec_lo
	global_load_u8 v67, v[35:36], off offset:8
	s_waitcnt vmcnt(0)
	v_cmpx_ne_u16_e32 0, v67
	s_cbranch_execz .LBB220_162
; %bb.155:                              ;   in Loop: Header=BB220_10 Depth=1
	v_bfrev_b32_e32 v65, 1
	s_mov_b32 s39, exec_lo
	v_cmpx_ne_u16_e32 0x80, v67
	s_cbranch_execz .LBB220_161
; %bb.156:                              ;   in Loop: Header=BB220_10 Depth=1
	v_and_b32_e32 v27, 0xffff, v67
	v_mov_b32_e32 v65, 0x7f800001
	s_mov_b32 s40, exec_lo
	s_delay_alu instid0(VALU_DEP_2) | instskip(NEXT) | instid1(VALU_DEP_1)
	v_and_b32_e32 v68, 0x7f, v27
	v_cmpx_ne_u32_e32 0x7f, v68
	s_cbranch_execz .LBB220_160
; %bb.157:                              ;   in Loop: Header=BB220_10 Depth=1
	v_and_b32_e32 v27, 7, v27
	v_lshrrev_b32_e32 v65, 3, v68
	s_mov_b32 s41, exec_lo
	v_cmpx_gt_u32_e32 8, v68
; %bb.158:                              ;   in Loop: Header=BB220_10 Depth=1
	s_delay_alu instid0(VALU_DEP_3) | instskip(NEXT) | instid1(VALU_DEP_1)
	v_clz_i32_u32_e32 v65, v27
	v_min_u32_e32 v65, 32, v65
	s_delay_alu instid0(VALU_DEP_1) | instskip(SKIP_1) | instid1(VALU_DEP_2)
	v_subrev_nc_u32_e32 v68, 28, v65
	v_sub_nc_u32_e32 v65, 29, v65
	v_lshlrev_b64 v[68:69], v68, v[27:28]
	s_delay_alu instid0(VALU_DEP_1)
	v_and_b32_e32 v27, 7, v68
; %bb.159:                              ;   in Loop: Header=BB220_10 Depth=1
	s_or_b32 exec_lo, exec_lo, s41
	v_lshlrev_b32_e32 v67, 24, v67
	s_delay_alu instid0(VALU_DEP_2) | instskip(SKIP_1) | instid1(VALU_DEP_3)
	v_lshlrev_b32_e32 v27, 20, v27
	v_lshl_add_u32 v65, v65, 23, 0x3c000000
	v_and_b32_e32 v67, 0x80000000, v67
	s_delay_alu instid0(VALU_DEP_1)
	v_or3_b32 v65, v27, v67, v65
.LBB220_160:                            ;   in Loop: Header=BB220_10 Depth=1
	s_or_b32 exec_lo, exec_lo, s40
.LBB220_161:                            ;   in Loop: Header=BB220_10 Depth=1
	s_delay_alu instid0(SALU_CYCLE_1)
	s_or_b32 exec_lo, exec_lo, s39
.LBB220_162:                            ;   in Loop: Header=BB220_10 Depth=1
	s_delay_alu instid0(SALU_CYCLE_1)
	s_or_b32 exec_lo, exec_lo, s3
	global_load_u8 v67, v[35:36], off offset:12
	v_dual_mov_b32 v35, 0 :: v_dual_mov_b32 v36, 0
	s_mov_b32 s3, exec_lo
	s_waitcnt vmcnt(0)
	v_cmpx_ne_u16_e32 0, v67
	s_cbranch_execz .LBB220_170
; %bb.163:                              ;   in Loop: Header=BB220_10 Depth=1
	v_bfrev_b32_e32 v36, 1
	s_mov_b32 s39, exec_lo
	v_cmpx_ne_u16_e32 0x80, v67
	s_cbranch_execz .LBB220_169
; %bb.164:                              ;   in Loop: Header=BB220_10 Depth=1
	v_and_b32_e32 v27, 0xffff, v67
	v_mov_b32_e32 v36, 0x7f800001
	s_mov_b32 s40, exec_lo
	s_delay_alu instid0(VALU_DEP_2) | instskip(NEXT) | instid1(VALU_DEP_1)
	v_and_b32_e32 v68, 0x7f, v27
	v_cmpx_ne_u32_e32 0x7f, v68
	s_cbranch_execz .LBB220_168
; %bb.165:                              ;   in Loop: Header=BB220_10 Depth=1
	v_and_b32_e32 v27, 7, v27
	v_lshrrev_b32_e32 v36, 3, v68
	s_mov_b32 s41, exec_lo
	v_cmpx_gt_u32_e32 8, v68
; %bb.166:                              ;   in Loop: Header=BB220_10 Depth=1
	s_delay_alu instid0(VALU_DEP_3) | instskip(NEXT) | instid1(VALU_DEP_1)
	v_clz_i32_u32_e32 v36, v27
	v_min_u32_e32 v36, 32, v36
	s_delay_alu instid0(VALU_DEP_1) | instskip(SKIP_1) | instid1(VALU_DEP_2)
	v_subrev_nc_u32_e32 v68, 28, v36
	v_sub_nc_u32_e32 v36, 29, v36
	v_lshlrev_b64 v[68:69], v68, v[27:28]
	s_delay_alu instid0(VALU_DEP_1)
	v_and_b32_e32 v27, 7, v68
; %bb.167:                              ;   in Loop: Header=BB220_10 Depth=1
	s_or_b32 exec_lo, exec_lo, s41
	v_lshlrev_b32_e32 v67, 24, v67
	s_delay_alu instid0(VALU_DEP_2) | instskip(SKIP_1) | instid1(VALU_DEP_3)
	v_lshlrev_b32_e32 v27, 20, v27
	v_lshl_add_u32 v36, v36, 23, 0x3c000000
	v_and_b32_e32 v67, 0x80000000, v67
	s_delay_alu instid0(VALU_DEP_1)
	v_or3_b32 v36, v27, v67, v36
.LBB220_168:                            ;   in Loop: Header=BB220_10 Depth=1
	s_or_b32 exec_lo, exec_lo, s40
.LBB220_169:                            ;   in Loop: Header=BB220_10 Depth=1
	s_delay_alu instid0(SALU_CYCLE_1)
	s_or_b32 exec_lo, exec_lo, s39
.LBB220_170:                            ;   in Loop: Header=BB220_10 Depth=1
	s_delay_alu instid0(SALU_CYCLE_1)
	s_or_b32 exec_lo, exec_lo, s3
	global_load_u8 v67, v[33:34], off offset:640
	s_mov_b32 s3, exec_lo
	s_waitcnt vmcnt(0)
	v_cmpx_ne_u16_e32 0, v67
	s_cbranch_execz .LBB220_178
; %bb.171:                              ;   in Loop: Header=BB220_10 Depth=1
	v_bfrev_b32_e32 v35, 1
	s_mov_b32 s39, exec_lo
	v_cmpx_ne_u16_e32 0x80, v67
	s_cbranch_execz .LBB220_177
; %bb.172:                              ;   in Loop: Header=BB220_10 Depth=1
	v_and_b32_e32 v27, 0xffff, v67
	v_mov_b32_e32 v35, 0x7f800001
	s_mov_b32 s40, exec_lo
	s_delay_alu instid0(VALU_DEP_2) | instskip(NEXT) | instid1(VALU_DEP_1)
	v_and_b32_e32 v68, 0x7f, v27
	v_cmpx_ne_u32_e32 0x7f, v68
	s_cbranch_execz .LBB220_176
; %bb.173:                              ;   in Loop: Header=BB220_10 Depth=1
	v_and_b32_e32 v27, 7, v27
	v_lshrrev_b32_e32 v35, 3, v68
	s_mov_b32 s41, exec_lo
	v_cmpx_gt_u32_e32 8, v68
; %bb.174:                              ;   in Loop: Header=BB220_10 Depth=1
	s_delay_alu instid0(VALU_DEP_3) | instskip(NEXT) | instid1(VALU_DEP_1)
	v_clz_i32_u32_e32 v35, v27
	v_min_u32_e32 v35, 32, v35
	s_delay_alu instid0(VALU_DEP_1) | instskip(SKIP_1) | instid1(VALU_DEP_2)
	v_subrev_nc_u32_e32 v68, 28, v35
	v_sub_nc_u32_e32 v35, 29, v35
	v_lshlrev_b64 v[68:69], v68, v[27:28]
	s_delay_alu instid0(VALU_DEP_1)
	v_and_b32_e32 v27, 7, v68
; %bb.175:                              ;   in Loop: Header=BB220_10 Depth=1
	s_or_b32 exec_lo, exec_lo, s41
	v_lshlrev_b32_e32 v67, 24, v67
	s_delay_alu instid0(VALU_DEP_2) | instskip(SKIP_1) | instid1(VALU_DEP_3)
	v_lshlrev_b32_e32 v27, 20, v27
	v_lshl_add_u32 v35, v35, 23, 0x3c000000
	v_and_b32_e32 v67, 0x80000000, v67
	s_delay_alu instid0(VALU_DEP_1)
	v_or3_b32 v35, v27, v67, v35
.LBB220_176:                            ;   in Loop: Header=BB220_10 Depth=1
	s_or_b32 exec_lo, exec_lo, s40
.LBB220_177:                            ;   in Loop: Header=BB220_10 Depth=1
	s_delay_alu instid0(SALU_CYCLE_1)
	s_or_b32 exec_lo, exec_lo, s39
.LBB220_178:                            ;   in Loop: Header=BB220_10 Depth=1
	s_delay_alu instid0(SALU_CYCLE_1)
	s_or_b32 exec_lo, exec_lo, s3
	global_load_u8 v69, v[33:34], off offset:644
	v_dual_mov_b32 v67, 0 :: v_dual_mov_b32 v68, 0
	s_mov_b32 s3, exec_lo
	s_waitcnt vmcnt(0)
	v_cmpx_ne_u16_e32 0, v69
	s_cbranch_execz .LBB220_186
; %bb.179:                              ;   in Loop: Header=BB220_10 Depth=1
	v_bfrev_b32_e32 v68, 1
	s_mov_b32 s39, exec_lo
	v_cmpx_ne_u16_e32 0x80, v69
	s_cbranch_execz .LBB220_185
; %bb.180:                              ;   in Loop: Header=BB220_10 Depth=1
	v_and_b32_e32 v27, 0xffff, v69
	v_mov_b32_e32 v68, 0x7f800001
	s_mov_b32 s40, exec_lo
	s_delay_alu instid0(VALU_DEP_2) | instskip(NEXT) | instid1(VALU_DEP_1)
	v_and_b32_e32 v70, 0x7f, v27
	v_cmpx_ne_u32_e32 0x7f, v70
	s_cbranch_execz .LBB220_184
; %bb.181:                              ;   in Loop: Header=BB220_10 Depth=1
	v_and_b32_e32 v27, 7, v27
	v_lshrrev_b32_e32 v68, 3, v70
	s_mov_b32 s41, exec_lo
	v_cmpx_gt_u32_e32 8, v70
; %bb.182:                              ;   in Loop: Header=BB220_10 Depth=1
	s_delay_alu instid0(VALU_DEP_3) | instskip(NEXT) | instid1(VALU_DEP_1)
	v_clz_i32_u32_e32 v68, v27
	v_min_u32_e32 v68, 32, v68
	s_delay_alu instid0(VALU_DEP_1) | instskip(SKIP_1) | instid1(VALU_DEP_2)
	v_subrev_nc_u32_e32 v70, 28, v68
	v_sub_nc_u32_e32 v68, 29, v68
	v_lshlrev_b64 v[70:71], v70, v[27:28]
	s_delay_alu instid0(VALU_DEP_1)
	v_and_b32_e32 v27, 7, v70
; %bb.183:                              ;   in Loop: Header=BB220_10 Depth=1
	s_or_b32 exec_lo, exec_lo, s41
	v_lshlrev_b32_e32 v69, 24, v69
	s_delay_alu instid0(VALU_DEP_2) | instskip(SKIP_1) | instid1(VALU_DEP_3)
	v_lshlrev_b32_e32 v27, 20, v27
	v_lshl_add_u32 v68, v68, 23, 0x3c000000
	v_and_b32_e32 v69, 0x80000000, v69
	s_delay_alu instid0(VALU_DEP_1)
	v_or3_b32 v68, v27, v69, v68
.LBB220_184:                            ;   in Loop: Header=BB220_10 Depth=1
	s_or_b32 exec_lo, exec_lo, s40
.LBB220_185:                            ;   in Loop: Header=BB220_10 Depth=1
	s_delay_alu instid0(SALU_CYCLE_1)
	s_or_b32 exec_lo, exec_lo, s39
.LBB220_186:                            ;   in Loop: Header=BB220_10 Depth=1
	s_delay_alu instid0(SALU_CYCLE_1) | instskip(SKIP_1) | instid1(VALU_DEP_1)
	s_or_b32 exec_lo, exec_lo, s3
	v_add_co_u32 v33, s1, 0x280, v33
	v_add_co_ci_u32_e64 v34, s1, 0, v34, s1
	s_mov_b32 s3, exec_lo
	global_load_u8 v69, v[33:34], off offset:8
	s_waitcnt vmcnt(0)
	v_cmpx_ne_u16_e32 0, v69
	s_cbranch_execz .LBB220_194
; %bb.187:                              ;   in Loop: Header=BB220_10 Depth=1
	v_bfrev_b32_e32 v67, 1
	s_mov_b32 s39, exec_lo
	v_cmpx_ne_u16_e32 0x80, v69
	s_cbranch_execz .LBB220_193
; %bb.188:                              ;   in Loop: Header=BB220_10 Depth=1
	v_and_b32_e32 v27, 0xffff, v69
	v_mov_b32_e32 v67, 0x7f800001
	s_mov_b32 s40, exec_lo
	s_delay_alu instid0(VALU_DEP_2) | instskip(NEXT) | instid1(VALU_DEP_1)
	v_and_b32_e32 v70, 0x7f, v27
	v_cmpx_ne_u32_e32 0x7f, v70
	s_cbranch_execz .LBB220_192
; %bb.189:                              ;   in Loop: Header=BB220_10 Depth=1
	v_and_b32_e32 v27, 7, v27
	v_lshrrev_b32_e32 v67, 3, v70
	s_mov_b32 s41, exec_lo
	v_cmpx_gt_u32_e32 8, v70
; %bb.190:                              ;   in Loop: Header=BB220_10 Depth=1
	s_delay_alu instid0(VALU_DEP_3) | instskip(NEXT) | instid1(VALU_DEP_1)
	v_clz_i32_u32_e32 v67, v27
	v_min_u32_e32 v67, 32, v67
	s_delay_alu instid0(VALU_DEP_1) | instskip(SKIP_1) | instid1(VALU_DEP_2)
	v_subrev_nc_u32_e32 v70, 28, v67
	v_sub_nc_u32_e32 v67, 29, v67
	v_lshlrev_b64 v[70:71], v70, v[27:28]
	s_delay_alu instid0(VALU_DEP_1)
	v_and_b32_e32 v27, 7, v70
; %bb.191:                              ;   in Loop: Header=BB220_10 Depth=1
	s_or_b32 exec_lo, exec_lo, s41
	v_lshlrev_b32_e32 v69, 24, v69
	s_delay_alu instid0(VALU_DEP_2) | instskip(SKIP_1) | instid1(VALU_DEP_3)
	v_lshlrev_b32_e32 v27, 20, v27
	v_lshl_add_u32 v67, v67, 23, 0x3c000000
	v_and_b32_e32 v69, 0x80000000, v69
	s_delay_alu instid0(VALU_DEP_1)
	v_or3_b32 v67, v27, v69, v67
.LBB220_192:                            ;   in Loop: Header=BB220_10 Depth=1
	s_or_b32 exec_lo, exec_lo, s40
.LBB220_193:                            ;   in Loop: Header=BB220_10 Depth=1
	s_delay_alu instid0(SALU_CYCLE_1)
	s_or_b32 exec_lo, exec_lo, s39
.LBB220_194:                            ;   in Loop: Header=BB220_10 Depth=1
	s_delay_alu instid0(SALU_CYCLE_1)
	s_or_b32 exec_lo, exec_lo, s3
	global_load_u8 v33, v[33:34], off offset:12
	v_mov_b32_e32 v27, 0
	s_mov_b32 s3, exec_lo
	s_waitcnt vmcnt(0)
	v_cmpx_ne_u16_e32 0, v33
	s_cbranch_execz .LBB220_202
; %bb.195:                              ;   in Loop: Header=BB220_10 Depth=1
	v_bfrev_b32_e32 v27, 1
	s_mov_b32 s39, exec_lo
	v_cmpx_ne_u16_e32 0x80, v33
	s_cbranch_execz .LBB220_201
; %bb.196:                              ;   in Loop: Header=BB220_10 Depth=1
	v_and_b32_e32 v34, 0xffff, v33
	v_mov_b32_e32 v27, 0x7f800001
	s_mov_b32 s40, exec_lo
	s_delay_alu instid0(VALU_DEP_2) | instskip(NEXT) | instid1(VALU_DEP_1)
	v_and_b32_e32 v69, 0x7f, v34
	v_cmpx_ne_u32_e32 0x7f, v69
	s_cbranch_execz .LBB220_200
; %bb.197:                              ;   in Loop: Header=BB220_10 Depth=1
	v_and_b32_e32 v27, 7, v34
	v_lshrrev_b32_e32 v34, 3, v69
	s_mov_b32 s41, exec_lo
	v_cmpx_gt_u32_e32 8, v69
; %bb.198:                              ;   in Loop: Header=BB220_10 Depth=1
	s_delay_alu instid0(VALU_DEP_3) | instskip(NEXT) | instid1(VALU_DEP_1)
	v_clz_i32_u32_e32 v34, v27
	v_min_u32_e32 v34, 32, v34
	s_delay_alu instid0(VALU_DEP_1) | instskip(SKIP_1) | instid1(VALU_DEP_2)
	v_subrev_nc_u32_e32 v69, 28, v34
	v_sub_nc_u32_e32 v34, 29, v34
	v_lshlrev_b64 v[69:70], v69, v[27:28]
	s_delay_alu instid0(VALU_DEP_1)
	v_and_b32_e32 v27, 7, v69
; %bb.199:                              ;   in Loop: Header=BB220_10 Depth=1
	s_or_b32 exec_lo, exec_lo, s41
	v_lshlrev_b32_e32 v33, 24, v33
	s_delay_alu instid0(VALU_DEP_2) | instskip(SKIP_1) | instid1(VALU_DEP_3)
	v_lshlrev_b32_e32 v27, 20, v27
	v_lshl_add_u32 v34, v34, 23, 0x3c000000
	v_and_b32_e32 v33, 0x80000000, v33
	s_delay_alu instid0(VALU_DEP_1)
	v_or3_b32 v27, v27, v33, v34
.LBB220_200:                            ;   in Loop: Header=BB220_10 Depth=1
	s_or_b32 exec_lo, exec_lo, s40
.LBB220_201:                            ;   in Loop: Header=BB220_10 Depth=1
	s_delay_alu instid0(SALU_CYCLE_1)
	s_or_b32 exec_lo, exec_lo, s39
.LBB220_202:                            ;   in Loop: Header=BB220_10 Depth=1
	s_delay_alu instid0(SALU_CYCLE_1) | instskip(SKIP_4) | instid1(VALU_DEP_3)
	s_or_b32 exec_lo, exec_lo, s3
	s_waitcnt lgkmcnt(0)
	v_dual_mul_f32 v33, s6, v50 :: v_dual_mul_f32 v34, s6, v48
	v_mul_f32_e32 v35, s6, v35
	v_mul_f32_e32 v27, s6, v27
	;; [unrolled: 1-line block ×3, first 2 shown]
	s_delay_alu instid0(VALU_DEP_1) | instskip(SKIP_1) | instid1(VALU_DEP_2)
	v_dual_mul_f32 v48, s6, v49 :: v_dual_fmac_f32 v33, v1, v34
	v_mul_f32_e32 v34, s6, v52
	v_dual_fmac_f32 v33, v3, v48 :: v_dual_mul_f32 v48, s6, v51
	s_delay_alu instid0(VALU_DEP_1) | instskip(NEXT) | instid1(VALU_DEP_1)
	v_fmac_f32_e32 v33, v4, v34
	v_dual_mul_f32 v34, s6, v54 :: v_dual_fmac_f32 v33, v5, v48
	s_delay_alu instid0(VALU_DEP_1) | instskip(SKIP_1) | instid1(VALU_DEP_2)
	v_dual_mul_f32 v48, s6, v53 :: v_dual_fmac_f32 v33, v6, v34
	v_mul_f32_e32 v34, s6, v56
	v_dual_fmac_f32 v33, v7, v48 :: v_dual_mul_f32 v48, s6, v55
	s_delay_alu instid0(VALU_DEP_1) | instskip(NEXT) | instid1(VALU_DEP_1)
	v_fmac_f32_e32 v33, v8, v34
	v_dual_mul_f32 v34, s6, v58 :: v_dual_fmac_f32 v33, v9, v48
	;; [unrolled: 7-line block ×4, first 2 shown]
	s_delay_alu instid0(VALU_DEP_1) | instskip(SKIP_1) | instid1(VALU_DEP_2)
	v_dual_mul_f32 v48, s6, v65 :: v_dual_fmac_f32 v33, v18, v34
	v_mul_f32_e32 v34, s6, v36
	v_fmac_f32_e32 v33, v19, v48
	s_delay_alu instid0(VALU_DEP_1) | instskip(NEXT) | instid1(VALU_DEP_1)
	v_dual_fmac_f32 v33, v20, v34 :: v_dual_mul_f32 v34, s6, v68
	v_fmac_f32_e32 v33, v21, v35
	v_mul_f32_e32 v35, s6, v67
	s_delay_alu instid0(VALU_DEP_2) | instskip(NEXT) | instid1(VALU_DEP_1)
	v_fmac_f32_e32 v33, v22, v34
	v_fmac_f32_e32 v33, v23, v35
	s_delay_alu instid0(VALU_DEP_1)
	v_fmac_f32_e32 v33, v24, v27
	ds_bpermute_b32 v27, v43, v33
	s_waitcnt lgkmcnt(0)
	v_add_f32_e32 v27, v33, v27
	ds_bpermute_b32 v33, v44, v27
	s_and_saveexec_b32 s3, vcc_lo
	s_cbranch_execz .LBB220_9
; %bb.203:                              ;   in Loop: Header=BB220_10 Depth=1
	s_waitcnt lgkmcnt(0)
	v_add_f32_e32 v27, v27, v33
	v_add_nc_u32_e32 v34, s8, v45
	v_cmp_gt_i32_e64 s1, s33, v45
	s_delay_alu instid0(VALU_DEP_2) | instskip(NEXT) | instid1(VALU_DEP_1)
	v_cvt_f32_i32_e32 v34, v34
	v_mul_f32_e32 v34, s37, v34
	s_delay_alu instid0(VALU_DEP_1) | instskip(NEXT) | instid1(VALU_DEP_1)
	v_cndmask_b32_e64 v33, 0, v34, s0
	v_dual_max_f32 v34, v42, v42 :: v_dual_fmac_f32 v33, s35, v27
	s_delay_alu instid0(VALU_DEP_1) | instskip(SKIP_1) | instid1(VALU_DEP_2)
	v_max_f32_e32 v27, v34, v33
	v_cndmask_b32_e64 v33, 0, v33, s1
	v_cndmask_b32_e64 v42, v42, v27, s1
	ds_store_b32 v46, v33
	s_branch .LBB220_9
.LBB220_204:
	s_or_b32 exec_lo, exec_lo, s9
.LBB220_205:
	s_delay_alu instid0(SALU_CYCLE_1) | instskip(SKIP_4) | instid1(VALU_DEP_4)
	s_or_b32 exec_lo, exec_lo, s7
	v_xor_b32_e32 v1, 16, v39
	v_xor_b32_e32 v3, 8, v39
	v_and_b32_e32 v21, 31, v0
	v_max_f32_e32 v5, v42, v42
	v_cmp_lt_i32_e32 vcc_lo, v1, v41
	v_cndmask_b32_e32 v1, v39, v1, vcc_lo
	v_cmp_lt_i32_e32 vcc_lo, v3, v41
	v_cndmask_b32_e32 v3, v39, v3, vcc_lo
	s_delay_alu instid0(VALU_DEP_1) | instskip(NEXT) | instid1(VALU_DEP_4)
	v_lshlrev_b32_e32 v4, 2, v3
	v_lshlrev_b32_e32 v2, 2, v1
	ds_bpermute_b32 v1, v2, v42
	s_waitcnt lgkmcnt(0)
	v_max_f32_e32 v1, v1, v1
	s_delay_alu instid0(VALU_DEP_1)
	v_max_f32_e32 v1, v5, v1
	v_xor_b32_e32 v5, 4, v39
	ds_bpermute_b32 v3, v4, v1
	v_cmp_lt_i32_e32 vcc_lo, v5, v41
	v_cndmask_b32_e32 v5, v39, v5, vcc_lo
	v_cmp_eq_u32_e32 vcc_lo, 0, v21
	s_delay_alu instid0(VALU_DEP_2) | instskip(SKIP_3) | instid1(VALU_DEP_1)
	v_lshlrev_b32_e32 v7, 2, v5
	v_lshlrev_b32_e32 v5, 2, v37
	s_waitcnt lgkmcnt(0)
	v_max_f32_e32 v3, v3, v3
	v_max_f32_e32 v1, v1, v3
	ds_bpermute_b32 v3, v7, v1
	s_and_saveexec_b32 s0, vcc_lo
	s_cbranch_execz .LBB220_207
; %bb.206:
	s_waitcnt lgkmcnt(0)
	v_max_f32_e32 v3, v3, v3
	v_max_f32_e32 v1, v1, v1
	s_delay_alu instid0(VALU_DEP_1)
	v_max_f32_e32 v1, v1, v3
	ds_store_b32 v5, v1 offset:384
.LBB220_207:
	s_or_b32 exec_lo, exec_lo, s0
	v_cmp_gt_u32_e64 s0, 4, v21
	v_dual_mov_b32 v1, 0xff7fffff :: v_dual_lshlrev_b32 v6, 2, v21
	s_waitcnt lgkmcnt(0)
	s_barrier
	buffer_gl0_inv
	s_and_saveexec_b32 s1, s0
	s_cbranch_execz .LBB220_209
; %bb.208:
	ds_load_b32 v1, v6 offset:384
.LBB220_209:
	s_or_b32 exec_lo, exec_lo, s1
	v_xor_b32_e32 v3, 2, v39
	v_xor_b32_e32 v9, 1, v39
	v_mov_b32_e32 v10, 0
	s_delay_alu instid0(VALU_DEP_3) | instskip(NEXT) | instid1(VALU_DEP_1)
	v_cmp_lt_i32_e64 s1, v3, v41
	v_cndmask_b32_e64 v3, v39, v3, s1
	s_delay_alu instid0(VALU_DEP_4) | instskip(NEXT) | instid1(VALU_DEP_2)
	v_cmp_lt_i32_e64 s1, v9, v41
	v_lshlrev_b32_e32 v8, 2, v3
	s_delay_alu instid0(VALU_DEP_2) | instskip(SKIP_1) | instid1(SALU_CYCLE_1)
	v_cndmask_b32_e64 v9, v39, v9, s1
	s_sub_i32 s1, s21, s4
	s_lshl_b32 s1, s1, 3
	s_waitcnt lgkmcnt(0)
	ds_bpermute_b32 v3, v8, v1
	v_max_f32_e32 v1, v1, v1
	v_lshlrev_b32_e32 v22, 2, v9
	v_lshlrev_b32_e32 v9, 2, v39
	s_add_i32 s1, s1, s36
	s_delay_alu instid0(SALU_CYCLE_1) | instskip(NEXT) | instid1(VALU_DEP_1)
	s_min_i32 s1, s1, s33
	v_and_b32_e32 v9, 0xffffff80, v9
	s_sub_i32 s4, s1, s36
	s_delay_alu instid0(SALU_CYCLE_1) | instskip(SKIP_2) | instid1(VALU_DEP_1)
	v_cmp_gt_i32_e64 s1, s4, v0
	s_waitcnt lgkmcnt(0)
	v_max_f32_e32 v3, v3, v3
	v_max_f32_e32 v1, v1, v3
	ds_bpermute_b32 v3, v22, v1
	s_waitcnt lgkmcnt(0)
	v_max_f32_e32 v3, v3, v3
	s_delay_alu instid0(VALU_DEP_1)
	v_max_f32_e32 v1, v1, v3
	v_lshl_add_u32 v3, v0, 2, 0x1a0
	ds_bpermute_b32 v1, v9, v1
	s_and_saveexec_b32 s6, s1
	s_cbranch_execz .LBB220_213
; %bb.210:
	v_lshl_add_u32 v11, v0, 2, 0x1a0
	v_mov_b32_e32 v10, 0
	v_mov_b32_e32 v12, v0
	s_mov_b32 s7, 0
	.p2align	6
.LBB220_211:                            ; =>This Inner Loop Header: Depth=1
	ds_load_b32 v13, v11
	v_add_nc_u32_e32 v12, 0x80, v12
	s_delay_alu instid0(VALU_DEP_1) | instskip(NEXT) | instid1(VALU_DEP_1)
	v_cmp_le_i32_e64 s3, s4, v12
	s_or_b32 s7, s3, s7
	s_waitcnt lgkmcnt(0)
	v_sub_f32_e32 v13, v13, v1
	s_delay_alu instid0(VALU_DEP_1) | instskip(NEXT) | instid1(VALU_DEP_1)
	v_mul_f32_e32 v13, 0x3fb8aa3b, v13
	v_exp_f32_e32 v13, v13
	ds_store_b32 v11, v13
	v_dual_add_f32 v10, v10, v13 :: v_dual_add_nc_u32 v11, 0x200, v11
	s_and_not1_b32 exec_lo, exec_lo, s7
	s_cbranch_execnz .LBB220_211
; %bb.212:
	s_or_b32 exec_lo, exec_lo, s7
.LBB220_213:
	s_delay_alu instid0(SALU_CYCLE_1)
	s_or_b32 exec_lo, exec_lo, s6
	ds_bpermute_b32 v2, v2, v10
	s_waitcnt lgkmcnt(0)
	v_add_f32_e32 v2, v10, v2
	ds_bpermute_b32 v4, v4, v2
	s_waitcnt lgkmcnt(0)
	v_add_f32_e32 v2, v2, v4
	;; [unrolled: 3-line block ×5, first 2 shown]
	s_and_saveexec_b32 s3, vcc_lo
	s_cbranch_execz .LBB220_215
; %bb.214:
	ds_store_b32 v5, v2 offset:400
.LBB220_215:
	s_or_b32 exec_lo, exec_lo, s3
	s_waitcnt lgkmcnt(0)
	s_barrier
	buffer_gl0_inv
	s_and_saveexec_b32 s3, s0
	s_cbranch_execz .LBB220_217
; %bb.216:
	ds_load_b32 v2, v6 offset:400
.LBB220_217:
	s_or_b32 exec_lo, exec_lo, s3
	s_waitcnt lgkmcnt(0)
	ds_bpermute_b32 v4, v8, v2
	s_waitcnt lgkmcnt(0)
	v_add_f32_e32 v2, v2, v4
	ds_bpermute_b32 v4, v22, v2
	s_waitcnt lgkmcnt(0)
	v_add_f32_e32 v2, v2, v4
	ds_bpermute_b32 v2, v9, v2
	s_and_saveexec_b32 s0, s1
	s_cbranch_execz .LBB220_220
; %bb.218:
	s_waitcnt lgkmcnt(0)
	v_add_f32_e32 v4, 0x358637bd, v2
	s_mov_b32 s1, 0
	s_delay_alu instid0(VALU_DEP_1) | instskip(SKIP_1) | instid1(VALU_DEP_2)
	v_div_scale_f32 v5, null, v4, v4, 1.0
	v_div_scale_f32 v8, vcc_lo, 1.0, v4, 1.0
	v_rcp_f32_e32 v6, v5
	s_waitcnt_depctr 0xfff
	v_fma_f32 v7, -v5, v6, 1.0
	s_delay_alu instid0(VALU_DEP_1) | instskip(NEXT) | instid1(VALU_DEP_1)
	v_fmac_f32_e32 v6, v7, v6
	v_mul_f32_e32 v7, v8, v6
	s_delay_alu instid0(VALU_DEP_1) | instskip(NEXT) | instid1(VALU_DEP_1)
	v_fma_f32 v9, -v5, v7, v8
	v_fmac_f32_e32 v7, v9, v6
	s_delay_alu instid0(VALU_DEP_1) | instskip(NEXT) | instid1(VALU_DEP_1)
	v_fma_f32 v5, -v5, v7, v8
	v_div_fmas_f32 v5, v5, v6, v7
	s_delay_alu instid0(VALU_DEP_1)
	v_div_fixup_f32 v4, v5, v4, 1.0
	v_mov_b32_e32 v5, v0
.LBB220_219:                            ; =>This Inner Loop Header: Depth=1
	ds_load_b32 v6, v3
	s_waitcnt lgkmcnt(0)
	v_dual_mul_f32 v6, v4, v6 :: v_dual_add_nc_u32 v5, 0x80, v5
	s_delay_alu instid0(VALU_DEP_1) | instskip(SKIP_3) | instid1(SALU_CYCLE_1)
	v_cmp_le_i32_e32 vcc_lo, s4, v5
	ds_store_b32 v3, v6
	v_add_nc_u32_e32 v3, 0x200, v3
	s_or_b32 s1, vcc_lo, s1
	s_and_not1_b32 exec_lo, exec_lo, s1
	s_cbranch_execnz .LBB220_219
.LBB220_220:
	s_or_b32 exec_lo, exec_lo, s0
	s_mul_i32 s0, s15, s14
	s_waitcnt lgkmcnt(0)
	s_mul_i32 s6, s0, s13
	s_mov_b32 s0, exec_lo
	s_barrier
	buffer_gl0_inv
	v_cmpx_eq_u32_e32 0, v0
	s_cbranch_execz .LBB220_222
; %bb.221:
	s_ashr_i32 s7, s6, 31
	s_mul_i32 s38, s15, s24
	s_lshl_b64 s[8:9], s[6:7], 2
	v_mov_b32_e32 v3, 0
	s_add_u32 s1, s18, s8
	s_addc_u32 s3, s19, s9
	s_ashr_i32 s39, s38, 31
	s_delay_alu instid0(SALU_CYCLE_1) | instskip(NEXT) | instid1(SALU_CYCLE_1)
	s_lshl_b64 s[18:19], s[38:39], 2
	s_add_u32 s1, s1, s18
	s_addc_u32 s3, s3, s19
	s_ashr_i32 s13, s12, 31
	s_delay_alu instid0(SALU_CYCLE_1) | instskip(NEXT) | instid1(SALU_CYCLE_1)
	s_lshl_b64 s[38:39], s[12:13], 2
	s_add_u32 s40, s1, s38
	s_addc_u32 s41, s3, s39
	s_add_u32 s1, s16, s8
	s_addc_u32 s3, s17, s9
	;; [unrolled: 2-line block ×4, first 2 shown]
	s_clause 0x1
	global_store_b32 v3, v1, s[40:41]
	global_store_b32 v3, v2, s[8:9]
.LBB220_222:
	s_or_b32 exec_lo, exec_lo, s0
	v_dual_mov_b32 v24, 0 :: v_dual_and_b32 v23, 1, v0
	v_dual_mov_b32 v27, 0 :: v_dual_mov_b32 v28, 0
	v_dual_mov_b32 v29, 0 :: v_dual_mov_b32 v30, 0
	v_mov_b32_e32 v31, 0
	s_mov_b32 s4, 0
	s_and_saveexec_b32 s1, s2
	s_cbranch_execz .LBB220_430
; %bb.223:
	s_load_b32 s7, s[10:11], 0x0
	v_dual_mov_b32 v30, 0 :: v_dual_lshlrev_b32 v7, 4, v23
	v_dual_mov_b32 v31, 0 :: v_dual_and_b32 v4, 0x7c, v38
	s_ashr_i32 s0, s34, 31
	s_mov_b32 s8, s5
	v_lshlrev_b64 v[1:2], 2, v[25:26]
	s_add_u32 s5, s30, s34
	v_lshl_or_b32 v9, v37, 5, v7
	s_addc_u32 s0, s31, s0
	s_lshl_b64 s[2:3], s[28:29], 2
	v_add_co_u32 v7, s5, s5, v4
	v_dual_mov_b32 v6, 0 :: v_dual_and_b32 v3, 4, v38
	v_lshl_add_u32 v5, v37, 3, s36
	s_add_i32 s25, s25, -1
	v_add_co_ci_u32_e64 v8, null, s0, 0, s5
	s_add_u32 s0, s26, s2
	v_dual_mov_b32 v29, 0 :: v_dual_add_nc_u32 v32, 0x1a0, v9
	s_addc_u32 s2, s27, s3
	v_add_co_u32 v9, vcc_lo, s0, v1
	v_add3_u32 v26, v5, v3, 3
	v_add_co_ci_u32_e32 v10, vcc_lo, s2, v2, vcc_lo
	v_dual_mov_b32 v28, 0 :: v_dual_mov_b32 v27, 0
	v_mov_b32_e32 v24, 0
	s_waitcnt lgkmcnt(0)
	s_mov_b32 s9, s7
	s_brev_b32 s5, 1
	s_mov_b32 s3, 0x7f800001
	s_mov_b32 s10, s4
	s_branch .LBB220_225
.LBB220_224:                            ;   in Loop: Header=BB220_225 Depth=1
	s_or_b32 exec_lo, exec_lo, s0
	s_waitcnt lgkmcnt(0)
	v_mul_f32_e32 v15, v2, v44
	v_mul_f32_e32 v14, v2, v36
	;; [unrolled: 1-line block ×4, first 2 shown]
	v_add_co_u32 v9, s0, v9, 16
	v_fmac_f32_e32 v15, v1, v43
	s_delay_alu instid0(VALU_DEP_4)
	v_fmac_f32_e32 v17, v1, v51
	v_fmac_f32_e32 v14, v1, v35
	;; [unrolled: 1-line block ×3, first 2 shown]
	v_add_nc_u32_e32 v26, 32, v26
	v_fmac_f32_e32 v15, v3, v42
	v_mul_f32_e32 v18, v2, v54
	v_dual_mul_f32 v2, v2, v13 :: v_dual_fmac_f32 v17, v3, v50
	v_fmac_f32_e32 v14, v3, v34
	v_dual_fmac_f32 v16, v3, v46 :: v_dual_add_nc_u32 v25, 4, v25
	s_delay_alu instid0(VALU_DEP_3) | instskip(NEXT) | instid1(VALU_DEP_3)
	v_dual_fmac_f32 v2, v1, v12 :: v_dual_fmac_f32 v17, v4, v49
	v_fmac_f32_e32 v14, v4, v33
	v_fmac_f32_e32 v15, v4, v41
	;; [unrolled: 1-line block ×3, first 2 shown]
	v_cmp_le_i32_e32 vcc_lo, s21, v25
	s_delay_alu instid0(VALU_DEP_4) | instskip(NEXT) | instid1(VALU_DEP_4)
	v_dual_add_f32 v28, v28, v17 :: v_dual_add_f32 v31, v31, v14
	v_add_f32_e32 v30, v30, v15
	s_delay_alu instid0(VALU_DEP_4) | instskip(SKIP_3) | instid1(VALU_DEP_3)
	v_fmac_f32_e32 v18, v3, v20
	v_add_nc_u32_e32 v32, 0x80, v32
	v_add_co_ci_u32_e64 v10, s0, 0, v10, s0
	s_or_b32 s10, vcc_lo, s10
	v_fmac_f32_e32 v18, v4, v19
	s_delay_alu instid0(VALU_DEP_1) | instskip(NEXT) | instid1(VALU_DEP_1)
	v_dual_fmac_f32 v16, v4, v45 :: v_dual_add_f32 v27, v27, v18
	v_dual_fmac_f32 v2, v3, v11 :: v_dual_add_f32 v29, v29, v16
	s_delay_alu instid0(VALU_DEP_1) | instskip(NEXT) | instid1(VALU_DEP_1)
	v_fmac_f32_e32 v2, v4, v5
	v_add_f32_e32 v24, v24, v2
	s_and_not1_b32 exec_lo, exec_lo, s10
	s_cbranch_execz .LBB220_429
.LBB220_225:                            ; =>This Inner Loop Header: Depth=1
	global_load_b32 v1, v[9:10], off
	v_mov_b32_e32 v15, 0
	s_mov_b32 s0, exec_lo
	s_waitcnt vmcnt(0)
	v_mad_i64_i32 v[11:12], null, v1, s8, v[7:8]
	ds_load_b128 v[1:4], v32
	global_load_b32 v33, v[11:12], off
	s_waitcnt vmcnt(0)
	v_dual_mov_b32 v16, 0 :: v_dual_and_b32 v5, 0xff, v33
	s_delay_alu instid0(VALU_DEP_1) | instskip(NEXT) | instid1(VALU_DEP_2)
	v_dual_mov_b32 v13, v15 :: v_dual_mov_b32 v14, v16
	v_cmpx_ne_u16_e32 0, v5
	s_cbranch_execz .LBB220_233
; %bb.226:                              ;   in Loop: Header=BB220_225 Depth=1
	v_bfrev_b32_e32 v13, 1
	v_mov_b32_e32 v14, 0
	s_mov_b32 s2, exec_lo
	v_cmpx_ne_u16_e32 0x80, v5
	s_cbranch_execz .LBB220_232
; %bb.227:                              ;   in Loop: Header=BB220_225 Depth=1
	v_mov_b32_e32 v13, 0x7f800001
	v_dual_mov_b32 v14, 0 :: v_dual_and_b32 v17, 0x7f, v33
	s_mov_b32 s11, exec_lo
	s_delay_alu instid0(VALU_DEP_1)
	v_cmpx_ne_u32_e32 0x7f, v17
	s_cbranch_execz .LBB220_231
; %bb.228:                              ;   in Loop: Header=BB220_225 Depth=1
	v_and_b32_e32 v5, 7, v33
	v_lshrrev_b32_e32 v13, 3, v17
	s_mov_b32 s13, exec_lo
	v_cmpx_gt_u32_e32 8, v17
; %bb.229:                              ;   in Loop: Header=BB220_225 Depth=1
	s_delay_alu instid0(VALU_DEP_3) | instskip(NEXT) | instid1(VALU_DEP_1)
	v_clz_i32_u32_e32 v13, v5
	v_min_u32_e32 v13, 32, v13
	s_delay_alu instid0(VALU_DEP_1) | instskip(SKIP_1) | instid1(VALU_DEP_2)
	v_subrev_nc_u32_e32 v14, 28, v13
	v_sub_nc_u32_e32 v13, 29, v13
	v_lshlrev_b64 v[17:18], v14, v[5:6]
	s_delay_alu instid0(VALU_DEP_1)
	v_and_b32_e32 v5, 7, v17
; %bb.230:                              ;   in Loop: Header=BB220_225 Depth=1
	s_or_b32 exec_lo, exec_lo, s13
	v_lshlrev_b32_e32 v14, 24, v33
	s_delay_alu instid0(VALU_DEP_2) | instskip(SKIP_1) | instid1(VALU_DEP_3)
	v_lshlrev_b32_e32 v5, 20, v5
	v_lshl_add_u32 v13, v13, 23, 0x3c000000
	v_and_b32_e32 v14, 0x80000000, v14
	s_delay_alu instid0(VALU_DEP_1) | instskip(NEXT) | instid1(VALU_DEP_1)
	v_or3_b32 v5, v5, v14, v13
	v_dual_mov_b32 v14, v6 :: v_dual_mov_b32 v13, v5
.LBB220_231:                            ;   in Loop: Header=BB220_225 Depth=1
	s_or_b32 exec_lo, exec_lo, s11
.LBB220_232:                            ;   in Loop: Header=BB220_225 Depth=1
	s_delay_alu instid0(SALU_CYCLE_1)
	s_or_b32 exec_lo, exec_lo, s2
.LBB220_233:                            ;   in Loop: Header=BB220_225 Depth=1
	s_delay_alu instid0(SALU_CYCLE_1) | instskip(SKIP_2) | instid1(VALU_DEP_1)
	s_or_b32 exec_lo, exec_lo, s0
	v_lshrrev_b16 v5, 8, v33
	s_mov_b32 s0, exec_lo
	v_cmpx_ne_u16_e32 0, v5
	s_cbranch_execz .LBB220_241
; %bb.234:                              ;   in Loop: Header=BB220_225 Depth=1
	v_dual_mov_b32 v16, s5 :: v_dual_mov_b32 v15, s4
	s_mov_b32 s11, exec_lo
	v_cmpx_ne_u16_e32 0x80, v5
	s_cbranch_execz .LBB220_240
; %bb.235:                              ;   in Loop: Header=BB220_225 Depth=1
	s_mov_b32 s2, s4
	v_dual_mov_b32 v16, s3 :: v_dual_and_b32 v5, 0xffff, v5
	v_mov_b32_e32 v15, s2
	s_mov_b32 s2, exec_lo
	s_delay_alu instid0(VALU_DEP_2) | instskip(NEXT) | instid1(VALU_DEP_1)
	v_and_b32_e32 v17, 0x7f, v5
	v_cmpx_ne_u32_e32 0x7f, v17
	s_cbranch_execz .LBB220_239
; %bb.236:                              ;   in Loop: Header=BB220_225 Depth=1
	v_and_b32_e32 v5, 7, v5
	v_lshrrev_b32_e32 v15, 3, v17
	s_mov_b32 s13, exec_lo
	v_cmpx_gt_u32_e32 8, v17
; %bb.237:                              ;   in Loop: Header=BB220_225 Depth=1
	s_delay_alu instid0(VALU_DEP_3) | instskip(NEXT) | instid1(VALU_DEP_1)
	v_clz_i32_u32_e32 v15, v5
	v_min_u32_e32 v15, 32, v15
	s_delay_alu instid0(VALU_DEP_1) | instskip(SKIP_1) | instid1(VALU_DEP_2)
	v_subrev_nc_u32_e32 v16, 28, v15
	v_sub_nc_u32_e32 v15, 29, v15
	v_lshlrev_b64 v[16:17], v16, v[5:6]
	s_delay_alu instid0(VALU_DEP_1)
	v_and_b32_e32 v5, 7, v16
; %bb.238:                              ;   in Loop: Header=BB220_225 Depth=1
	s_or_b32 exec_lo, exec_lo, s13
	v_lshlrev_b32_e32 v16, 16, v33
	s_delay_alu instid0(VALU_DEP_2) | instskip(SKIP_1) | instid1(VALU_DEP_3)
	v_lshlrev_b32_e32 v5, 20, v5
	v_lshl_add_u32 v15, v15, 23, 0x3c000000
	v_and_b32_e32 v16, 0x80000000, v16
	s_delay_alu instid0(VALU_DEP_1)
	v_or3_b32 v16, v5, v16, v15
	v_mov_b32_e32 v15, v6
.LBB220_239:                            ;   in Loop: Header=BB220_225 Depth=1
	s_or_b32 exec_lo, exec_lo, s2
.LBB220_240:                            ;   in Loop: Header=BB220_225 Depth=1
	s_delay_alu instid0(SALU_CYCLE_1)
	s_or_b32 exec_lo, exec_lo, s11
.LBB220_241:                            ;   in Loop: Header=BB220_225 Depth=1
	s_delay_alu instid0(SALU_CYCLE_1) | instskip(SKIP_4) | instid1(VALU_DEP_2)
	s_or_b32 exec_lo, exec_lo, s0
	v_mov_b32_e32 v19, 0
	v_lshrrev_b32_e32 v34, 16, v33
	v_mov_b32_e32 v20, 0
	s_mov_b32 s0, exec_lo
	v_and_b32_e32 v5, 0xff, v34
	s_delay_alu instid0(VALU_DEP_2) | instskip(NEXT) | instid1(VALU_DEP_2)
	v_dual_mov_b32 v17, v19 :: v_dual_mov_b32 v18, v20
	v_cmpx_ne_u16_e32 0, v5
	s_cbranch_execz .LBB220_249
; %bb.242:                              ;   in Loop: Header=BB220_225 Depth=1
	v_bfrev_b32_e32 v17, 1
	v_mov_b32_e32 v18, 0
	s_mov_b32 s2, exec_lo
	v_cmpx_ne_u16_e32 0x80, v5
	s_cbranch_execz .LBB220_248
; %bb.243:                              ;   in Loop: Header=BB220_225 Depth=1
	v_mov_b32_e32 v17, 0x7f800001
	v_bfe_u32 v35, v33, 16, 7
	v_mov_b32_e32 v18, 0
	s_mov_b32 s11, exec_lo
	s_delay_alu instid0(VALU_DEP_2)
	v_cmpx_ne_u32_e32 0x7f, v35
	s_cbranch_execz .LBB220_247
; %bb.244:                              ;   in Loop: Header=BB220_225 Depth=1
	v_and_b32_e32 v5, 7, v34
	v_lshrrev_b32_e32 v17, 3, v35
	s_mov_b32 s13, exec_lo
	v_cmpx_gt_u32_e32 8, v35
; %bb.245:                              ;   in Loop: Header=BB220_225 Depth=1
	s_delay_alu instid0(VALU_DEP_3) | instskip(NEXT) | instid1(VALU_DEP_1)
	v_clz_i32_u32_e32 v17, v5
	v_min_u32_e32 v17, 32, v17
	s_delay_alu instid0(VALU_DEP_1) | instskip(SKIP_1) | instid1(VALU_DEP_2)
	v_subrev_nc_u32_e32 v18, 28, v17
	v_sub_nc_u32_e32 v17, 29, v17
	v_lshlrev_b64 v[35:36], v18, v[5:6]
	s_delay_alu instid0(VALU_DEP_1)
	v_and_b32_e32 v5, 7, v35
; %bb.246:                              ;   in Loop: Header=BB220_225 Depth=1
	s_or_b32 exec_lo, exec_lo, s13
	v_lshlrev_b32_e32 v18, 24, v34
	s_delay_alu instid0(VALU_DEP_2) | instskip(SKIP_1) | instid1(VALU_DEP_3)
	v_lshlrev_b32_e32 v5, 20, v5
	v_lshl_add_u32 v17, v17, 23, 0x3c000000
	v_and_b32_e32 v18, 0x80000000, v18
	s_delay_alu instid0(VALU_DEP_1) | instskip(NEXT) | instid1(VALU_DEP_1)
	v_or3_b32 v5, v5, v18, v17
	v_dual_mov_b32 v18, v6 :: v_dual_mov_b32 v17, v5
.LBB220_247:                            ;   in Loop: Header=BB220_225 Depth=1
	s_or_b32 exec_lo, exec_lo, s11
.LBB220_248:                            ;   in Loop: Header=BB220_225 Depth=1
	s_delay_alu instid0(SALU_CYCLE_1)
	s_or_b32 exec_lo, exec_lo, s2
.LBB220_249:                            ;   in Loop: Header=BB220_225 Depth=1
	s_delay_alu instid0(SALU_CYCLE_1) | instskip(NEXT) | instid1(SALU_CYCLE_1)
	s_or_b32 exec_lo, exec_lo, s0
	s_mov_b32 s0, exec_lo
	v_cmpx_lt_u32_e32 0xffffff, v33
	s_cbranch_execz .LBB220_257
; %bb.250:                              ;   in Loop: Header=BB220_225 Depth=1
	v_lshrrev_b32_e32 v34, 24, v33
	v_dual_mov_b32 v20, s5 :: v_dual_mov_b32 v19, s4
	s_mov_b32 s11, exec_lo
	s_delay_alu instid0(VALU_DEP_2)
	v_cmpx_ne_u32_e32 0x80, v34
	s_cbranch_execz .LBB220_256
; %bb.251:                              ;   in Loop: Header=BB220_225 Depth=1
	s_mov_b32 s2, s4
	v_bfe_u32 v33, v33, 24, 7
	v_dual_mov_b32 v20, s3 :: v_dual_mov_b32 v19, s2
	s_mov_b32 s2, exec_lo
	s_delay_alu instid0(VALU_DEP_2)
	v_cmpx_ne_u32_e32 0x7f, v33
	s_cbranch_execz .LBB220_255
; %bb.252:                              ;   in Loop: Header=BB220_225 Depth=1
	v_and_b32_e32 v5, 7, v34
	v_lshrrev_b32_e32 v19, 3, v33
	s_mov_b32 s13, exec_lo
	v_cmpx_gt_u32_e32 8, v33
; %bb.253:                              ;   in Loop: Header=BB220_225 Depth=1
	s_delay_alu instid0(VALU_DEP_3) | instskip(NEXT) | instid1(VALU_DEP_1)
	v_clz_i32_u32_e32 v19, v5
	v_min_u32_e32 v19, 32, v19
	s_delay_alu instid0(VALU_DEP_1) | instskip(SKIP_1) | instid1(VALU_DEP_2)
	v_subrev_nc_u32_e32 v20, 28, v19
	v_sub_nc_u32_e32 v19, 29, v19
	v_lshlrev_b64 v[35:36], v20, v[5:6]
	s_delay_alu instid0(VALU_DEP_1)
	v_and_b32_e32 v5, 7, v35
; %bb.254:                              ;   in Loop: Header=BB220_225 Depth=1
	s_or_b32 exec_lo, exec_lo, s13
	v_lshlrev_b32_e32 v20, 24, v34
	s_delay_alu instid0(VALU_DEP_2) | instskip(SKIP_1) | instid1(VALU_DEP_3)
	v_lshlrev_b32_e32 v5, 20, v5
	v_lshl_add_u32 v19, v19, 23, 0x3c000000
	v_and_b32_e32 v20, 0x80000000, v20
	s_delay_alu instid0(VALU_DEP_1)
	v_or3_b32 v20, v5, v20, v19
	v_mov_b32_e32 v19, v6
.LBB220_255:                            ;   in Loop: Header=BB220_225 Depth=1
	s_or_b32 exec_lo, exec_lo, s2
.LBB220_256:                            ;   in Loop: Header=BB220_225 Depth=1
	s_delay_alu instid0(SALU_CYCLE_1)
	s_or_b32 exec_lo, exec_lo, s11
.LBB220_257:                            ;   in Loop: Header=BB220_225 Depth=1
	s_delay_alu instid0(SALU_CYCLE_1)
	s_or_b32 exec_lo, exec_lo, s0
	v_or_b32_e32 v5, v16, v14
	v_or_b32_e32 v13, v15, v13
	v_or_b32_e32 v14, v20, v18
	v_or_b32_e32 v15, v19, v17
	v_add_nc_u32_e32 v38, -3, v26
	v_cmp_eq_u32_e32 vcc_lo, s25, v25
	v_mul_f32_e32 v35, s7, v13
	v_dual_mul_f32 v36, s9, v5 :: v_dual_mul_f32 v33, s9, v14
	v_dual_mul_f32 v34, s7, v15 :: v_dual_add_nc_u32 v39, -1, v26
	v_add_nc_u32_e32 v40, -2, v26
	s_and_saveexec_b32 s2, vcc_lo
; %bb.258:                              ;   in Loop: Header=BB220_225 Depth=1
	v_cmp_gt_i32_e64 s0, s33, v38
	s_delay_alu instid0(VALU_DEP_1) | instskip(NEXT) | instid1(VALU_DEP_3)
	v_cndmask_b32_e64 v35, 0, v35, s0
	v_cmp_gt_i32_e64 s0, s33, v40
	s_delay_alu instid0(VALU_DEP_1) | instskip(SKIP_1) | instid1(VALU_DEP_1)
	v_cndmask_b32_e64 v36, 0, v36, s0
	v_cmp_gt_i32_e64 s0, s33, v39
	v_cndmask_b32_e64 v34, 0, v34, s0
	v_cmp_gt_i32_e64 s0, s33, v26
	s_delay_alu instid0(VALU_DEP_1)
	v_cndmask_b32_e64 v33, 0, v33, s0
; %bb.259:                              ;   in Loop: Header=BB220_225 Depth=1
	s_or_b32 exec_lo, exec_lo, s2
	global_load_b32 v41, v[11:12], off offset:128
	v_mov_b32_e32 v15, 0
	v_mov_b32_e32 v16, 0
	s_mov_b32 s2, exec_lo
	s_waitcnt vmcnt(0)
	v_and_b32_e32 v5, 0xff, v41
	s_delay_alu instid0(VALU_DEP_2) | instskip(NEXT) | instid1(VALU_DEP_2)
	v_dual_mov_b32 v13, v15 :: v_dual_mov_b32 v14, v16
	v_cmpx_ne_u16_e32 0, v5
	s_cbranch_execz .LBB220_267
; %bb.260:                              ;   in Loop: Header=BB220_225 Depth=1
	v_bfrev_b32_e32 v13, 1
	v_mov_b32_e32 v14, 0
	s_mov_b32 s11, exec_lo
	v_cmpx_ne_u16_e32 0x80, v5
	s_cbranch_execz .LBB220_266
; %bb.261:                              ;   in Loop: Header=BB220_225 Depth=1
	v_mov_b32_e32 v13, 0x7f800001
	v_dual_mov_b32 v14, 0 :: v_dual_and_b32 v17, 0x7f, v41
	s_mov_b32 s13, exec_lo
	s_delay_alu instid0(VALU_DEP_1)
	v_cmpx_ne_u32_e32 0x7f, v17
	s_cbranch_execz .LBB220_265
; %bb.262:                              ;   in Loop: Header=BB220_225 Depth=1
	v_and_b32_e32 v5, 7, v41
	v_lshrrev_b32_e32 v13, 3, v17
	s_mov_b32 s14, exec_lo
	v_cmpx_gt_u32_e32 8, v17
; %bb.263:                              ;   in Loop: Header=BB220_225 Depth=1
	s_delay_alu instid0(VALU_DEP_3) | instskip(NEXT) | instid1(VALU_DEP_1)
	v_clz_i32_u32_e32 v13, v5
	v_min_u32_e32 v13, 32, v13
	s_delay_alu instid0(VALU_DEP_1) | instskip(SKIP_1) | instid1(VALU_DEP_2)
	v_subrev_nc_u32_e32 v14, 28, v13
	v_sub_nc_u32_e32 v13, 29, v13
	v_lshlrev_b64 v[17:18], v14, v[5:6]
	s_delay_alu instid0(VALU_DEP_1)
	v_and_b32_e32 v5, 7, v17
; %bb.264:                              ;   in Loop: Header=BB220_225 Depth=1
	s_or_b32 exec_lo, exec_lo, s14
	v_lshlrev_b32_e32 v14, 24, v41
	s_delay_alu instid0(VALU_DEP_2) | instskip(SKIP_1) | instid1(VALU_DEP_3)
	v_lshlrev_b32_e32 v5, 20, v5
	v_lshl_add_u32 v13, v13, 23, 0x3c000000
	v_and_b32_e32 v14, 0x80000000, v14
	s_delay_alu instid0(VALU_DEP_1) | instskip(NEXT) | instid1(VALU_DEP_1)
	v_or3_b32 v5, v5, v14, v13
	v_dual_mov_b32 v14, v6 :: v_dual_mov_b32 v13, v5
.LBB220_265:                            ;   in Loop: Header=BB220_225 Depth=1
	s_or_b32 exec_lo, exec_lo, s13
.LBB220_266:                            ;   in Loop: Header=BB220_225 Depth=1
	s_delay_alu instid0(SALU_CYCLE_1)
	s_or_b32 exec_lo, exec_lo, s11
.LBB220_267:                            ;   in Loop: Header=BB220_225 Depth=1
	s_delay_alu instid0(SALU_CYCLE_1) | instskip(SKIP_2) | instid1(VALU_DEP_1)
	s_or_b32 exec_lo, exec_lo, s2
	v_lshrrev_b16 v5, 8, v41
	s_mov_b32 s11, exec_lo
	v_cmpx_ne_u16_e32 0, v5
	s_cbranch_execz .LBB220_275
; %bb.268:                              ;   in Loop: Header=BB220_225 Depth=1
	v_dual_mov_b32 v16, s5 :: v_dual_mov_b32 v15, s4
	s_mov_b32 s13, exec_lo
	v_cmpx_ne_u16_e32 0x80, v5
	s_cbranch_execz .LBB220_274
; %bb.269:                              ;   in Loop: Header=BB220_225 Depth=1
	s_mov_b32 s2, s4
	v_dual_mov_b32 v16, s3 :: v_dual_and_b32 v5, 0xffff, v5
	v_mov_b32_e32 v15, s2
	s_mov_b32 s2, exec_lo
	s_delay_alu instid0(VALU_DEP_2) | instskip(NEXT) | instid1(VALU_DEP_1)
	v_and_b32_e32 v17, 0x7f, v5
	v_cmpx_ne_u32_e32 0x7f, v17
	s_cbranch_execz .LBB220_273
; %bb.270:                              ;   in Loop: Header=BB220_225 Depth=1
	v_and_b32_e32 v5, 7, v5
	v_lshrrev_b32_e32 v15, 3, v17
	s_mov_b32 s14, exec_lo
	v_cmpx_gt_u32_e32 8, v17
; %bb.271:                              ;   in Loop: Header=BB220_225 Depth=1
	s_delay_alu instid0(VALU_DEP_3) | instskip(NEXT) | instid1(VALU_DEP_1)
	v_clz_i32_u32_e32 v15, v5
	v_min_u32_e32 v15, 32, v15
	s_delay_alu instid0(VALU_DEP_1) | instskip(SKIP_1) | instid1(VALU_DEP_2)
	v_subrev_nc_u32_e32 v16, 28, v15
	v_sub_nc_u32_e32 v15, 29, v15
	v_lshlrev_b64 v[16:17], v16, v[5:6]
	s_delay_alu instid0(VALU_DEP_1)
	v_and_b32_e32 v5, 7, v16
; %bb.272:                              ;   in Loop: Header=BB220_225 Depth=1
	s_or_b32 exec_lo, exec_lo, s14
	v_lshlrev_b32_e32 v16, 16, v41
	s_delay_alu instid0(VALU_DEP_2) | instskip(SKIP_1) | instid1(VALU_DEP_3)
	v_lshlrev_b32_e32 v5, 20, v5
	v_lshl_add_u32 v15, v15, 23, 0x3c000000
	v_and_b32_e32 v16, 0x80000000, v16
	s_delay_alu instid0(VALU_DEP_1)
	v_or3_b32 v16, v5, v16, v15
	v_mov_b32_e32 v15, v6
.LBB220_273:                            ;   in Loop: Header=BB220_225 Depth=1
	s_or_b32 exec_lo, exec_lo, s2
.LBB220_274:                            ;   in Loop: Header=BB220_225 Depth=1
	s_delay_alu instid0(SALU_CYCLE_1)
	s_or_b32 exec_lo, exec_lo, s13
.LBB220_275:                            ;   in Loop: Header=BB220_225 Depth=1
	s_delay_alu instid0(SALU_CYCLE_1) | instskip(SKIP_4) | instid1(VALU_DEP_2)
	s_or_b32 exec_lo, exec_lo, s11
	v_mov_b32_e32 v19, 0
	v_lshrrev_b32_e32 v42, 16, v41
	v_mov_b32_e32 v20, 0
	s_mov_b32 s2, exec_lo
	v_and_b32_e32 v5, 0xff, v42
	s_delay_alu instid0(VALU_DEP_2) | instskip(NEXT) | instid1(VALU_DEP_2)
	v_dual_mov_b32 v17, v19 :: v_dual_mov_b32 v18, v20
	v_cmpx_ne_u16_e32 0, v5
	s_cbranch_execz .LBB220_283
; %bb.276:                              ;   in Loop: Header=BB220_225 Depth=1
	v_bfrev_b32_e32 v17, 1
	v_mov_b32_e32 v18, 0
	s_mov_b32 s11, exec_lo
	v_cmpx_ne_u16_e32 0x80, v5
	s_cbranch_execz .LBB220_282
; %bb.277:                              ;   in Loop: Header=BB220_225 Depth=1
	v_mov_b32_e32 v17, 0x7f800001
	v_bfe_u32 v43, v41, 16, 7
	v_mov_b32_e32 v18, 0
	s_mov_b32 s13, exec_lo
	s_delay_alu instid0(VALU_DEP_2)
	v_cmpx_ne_u32_e32 0x7f, v43
	s_cbranch_execz .LBB220_281
; %bb.278:                              ;   in Loop: Header=BB220_225 Depth=1
	v_and_b32_e32 v5, 7, v42
	v_lshrrev_b32_e32 v17, 3, v43
	s_mov_b32 s14, exec_lo
	v_cmpx_gt_u32_e32 8, v43
; %bb.279:                              ;   in Loop: Header=BB220_225 Depth=1
	s_delay_alu instid0(VALU_DEP_3) | instskip(NEXT) | instid1(VALU_DEP_1)
	v_clz_i32_u32_e32 v17, v5
	v_min_u32_e32 v17, 32, v17
	s_delay_alu instid0(VALU_DEP_1) | instskip(SKIP_1) | instid1(VALU_DEP_2)
	v_subrev_nc_u32_e32 v18, 28, v17
	v_sub_nc_u32_e32 v17, 29, v17
	v_lshlrev_b64 v[43:44], v18, v[5:6]
	s_delay_alu instid0(VALU_DEP_1)
	v_and_b32_e32 v5, 7, v43
; %bb.280:                              ;   in Loop: Header=BB220_225 Depth=1
	s_or_b32 exec_lo, exec_lo, s14
	v_lshlrev_b32_e32 v18, 24, v42
	s_delay_alu instid0(VALU_DEP_2) | instskip(SKIP_1) | instid1(VALU_DEP_3)
	v_lshlrev_b32_e32 v5, 20, v5
	v_lshl_add_u32 v17, v17, 23, 0x3c000000
	v_and_b32_e32 v18, 0x80000000, v18
	s_delay_alu instid0(VALU_DEP_1) | instskip(NEXT) | instid1(VALU_DEP_1)
	v_or3_b32 v5, v5, v18, v17
	v_dual_mov_b32 v18, v6 :: v_dual_mov_b32 v17, v5
.LBB220_281:                            ;   in Loop: Header=BB220_225 Depth=1
	s_or_b32 exec_lo, exec_lo, s13
.LBB220_282:                            ;   in Loop: Header=BB220_225 Depth=1
	s_delay_alu instid0(SALU_CYCLE_1)
	s_or_b32 exec_lo, exec_lo, s11
.LBB220_283:                            ;   in Loop: Header=BB220_225 Depth=1
	s_delay_alu instid0(SALU_CYCLE_1) | instskip(NEXT) | instid1(SALU_CYCLE_1)
	s_or_b32 exec_lo, exec_lo, s2
	s_mov_b32 s11, exec_lo
	v_cmpx_lt_u32_e32 0xffffff, v41
	s_cbranch_execz .LBB220_291
; %bb.284:                              ;   in Loop: Header=BB220_225 Depth=1
	v_lshrrev_b32_e32 v42, 24, v41
	v_dual_mov_b32 v20, s5 :: v_dual_mov_b32 v19, s4
	s_mov_b32 s13, exec_lo
	s_delay_alu instid0(VALU_DEP_2)
	v_cmpx_ne_u32_e32 0x80, v42
	s_cbranch_execz .LBB220_290
; %bb.285:                              ;   in Loop: Header=BB220_225 Depth=1
	s_mov_b32 s2, s4
	v_bfe_u32 v41, v41, 24, 7
	v_dual_mov_b32 v20, s3 :: v_dual_mov_b32 v19, s2
	s_mov_b32 s2, exec_lo
	s_delay_alu instid0(VALU_DEP_2)
	v_cmpx_ne_u32_e32 0x7f, v41
	s_cbranch_execz .LBB220_289
; %bb.286:                              ;   in Loop: Header=BB220_225 Depth=1
	v_and_b32_e32 v5, 7, v42
	v_lshrrev_b32_e32 v19, 3, v41
	s_mov_b32 s14, exec_lo
	v_cmpx_gt_u32_e32 8, v41
; %bb.287:                              ;   in Loop: Header=BB220_225 Depth=1
	s_delay_alu instid0(VALU_DEP_3) | instskip(NEXT) | instid1(VALU_DEP_1)
	v_clz_i32_u32_e32 v19, v5
	v_min_u32_e32 v19, 32, v19
	s_delay_alu instid0(VALU_DEP_1) | instskip(SKIP_1) | instid1(VALU_DEP_2)
	v_subrev_nc_u32_e32 v20, 28, v19
	v_sub_nc_u32_e32 v19, 29, v19
	v_lshlrev_b64 v[43:44], v20, v[5:6]
	s_delay_alu instid0(VALU_DEP_1)
	v_and_b32_e32 v5, 7, v43
; %bb.288:                              ;   in Loop: Header=BB220_225 Depth=1
	s_or_b32 exec_lo, exec_lo, s14
	v_lshlrev_b32_e32 v20, 24, v42
	s_delay_alu instid0(VALU_DEP_2) | instskip(SKIP_1) | instid1(VALU_DEP_3)
	v_lshlrev_b32_e32 v5, 20, v5
	v_lshl_add_u32 v19, v19, 23, 0x3c000000
	v_and_b32_e32 v20, 0x80000000, v20
	s_delay_alu instid0(VALU_DEP_1)
	v_or3_b32 v20, v5, v20, v19
	v_mov_b32_e32 v19, v6
.LBB220_289:                            ;   in Loop: Header=BB220_225 Depth=1
	s_or_b32 exec_lo, exec_lo, s2
.LBB220_290:                            ;   in Loop: Header=BB220_225 Depth=1
	s_delay_alu instid0(SALU_CYCLE_1)
	s_or_b32 exec_lo, exec_lo, s13
.LBB220_291:                            ;   in Loop: Header=BB220_225 Depth=1
	s_delay_alu instid0(SALU_CYCLE_1) | instskip(SKIP_4) | instid1(VALU_DEP_4)
	s_or_b32 exec_lo, exec_lo, s11
	v_or_b32_e32 v5, v16, v14
	v_or_b32_e32 v13, v15, v13
	;; [unrolled: 1-line block ×4, first 2 shown]
	v_mul_f32_e32 v44, s9, v5
	s_delay_alu instid0(VALU_DEP_4) | instskip(NEXT) | instid1(VALU_DEP_3)
	v_mul_f32_e32 v43, s7, v13
	v_dual_mul_f32 v41, s9, v14 :: v_dual_mul_f32 v42, s7, v15
	s_and_saveexec_b32 s2, vcc_lo
; %bb.292:                              ;   in Loop: Header=BB220_225 Depth=1
	v_cmp_gt_i32_e64 s0, s33, v38
	s_delay_alu instid0(VALU_DEP_1) | instskip(SKIP_1) | instid1(VALU_DEP_1)
	v_cndmask_b32_e64 v43, 0, v43, s0
	v_cmp_gt_i32_e64 s0, s33, v40
	v_cndmask_b32_e64 v44, 0, v44, s0
	v_cmp_gt_i32_e64 s0, s33, v39
	s_delay_alu instid0(VALU_DEP_1) | instskip(SKIP_1) | instid1(VALU_DEP_1)
	v_cndmask_b32_e64 v42, 0, v42, s0
	v_cmp_gt_i32_e64 s0, s33, v26
	v_cndmask_b32_e64 v41, 0, v41, s0
; %bb.293:                              ;   in Loop: Header=BB220_225 Depth=1
	s_or_b32 exec_lo, exec_lo, s2
	global_load_b32 v45, v[11:12], off offset:256
	v_mov_b32_e32 v15, 0
	v_mov_b32_e32 v16, 0
	s_mov_b32 s2, exec_lo
	s_waitcnt vmcnt(0)
	v_and_b32_e32 v5, 0xff, v45
	s_delay_alu instid0(VALU_DEP_2) | instskip(NEXT) | instid1(VALU_DEP_2)
	v_dual_mov_b32 v13, v15 :: v_dual_mov_b32 v14, v16
	v_cmpx_ne_u16_e32 0, v5
	s_cbranch_execz .LBB220_301
; %bb.294:                              ;   in Loop: Header=BB220_225 Depth=1
	v_bfrev_b32_e32 v13, 1
	v_mov_b32_e32 v14, 0
	s_mov_b32 s11, exec_lo
	v_cmpx_ne_u16_e32 0x80, v5
	s_cbranch_execz .LBB220_300
; %bb.295:                              ;   in Loop: Header=BB220_225 Depth=1
	v_mov_b32_e32 v13, 0x7f800001
	v_dual_mov_b32 v14, 0 :: v_dual_and_b32 v17, 0x7f, v45
	s_mov_b32 s13, exec_lo
	s_delay_alu instid0(VALU_DEP_1)
	v_cmpx_ne_u32_e32 0x7f, v17
	s_cbranch_execz .LBB220_299
; %bb.296:                              ;   in Loop: Header=BB220_225 Depth=1
	v_and_b32_e32 v5, 7, v45
	v_lshrrev_b32_e32 v13, 3, v17
	s_mov_b32 s14, exec_lo
	v_cmpx_gt_u32_e32 8, v17
; %bb.297:                              ;   in Loop: Header=BB220_225 Depth=1
	s_delay_alu instid0(VALU_DEP_3) | instskip(NEXT) | instid1(VALU_DEP_1)
	v_clz_i32_u32_e32 v13, v5
	v_min_u32_e32 v13, 32, v13
	s_delay_alu instid0(VALU_DEP_1) | instskip(SKIP_1) | instid1(VALU_DEP_2)
	v_subrev_nc_u32_e32 v14, 28, v13
	v_sub_nc_u32_e32 v13, 29, v13
	v_lshlrev_b64 v[17:18], v14, v[5:6]
	s_delay_alu instid0(VALU_DEP_1)
	v_and_b32_e32 v5, 7, v17
; %bb.298:                              ;   in Loop: Header=BB220_225 Depth=1
	s_or_b32 exec_lo, exec_lo, s14
	v_lshlrev_b32_e32 v14, 24, v45
	s_delay_alu instid0(VALU_DEP_2) | instskip(SKIP_1) | instid1(VALU_DEP_3)
	v_lshlrev_b32_e32 v5, 20, v5
	v_lshl_add_u32 v13, v13, 23, 0x3c000000
	v_and_b32_e32 v14, 0x80000000, v14
	s_delay_alu instid0(VALU_DEP_1) | instskip(NEXT) | instid1(VALU_DEP_1)
	v_or3_b32 v5, v5, v14, v13
	v_dual_mov_b32 v14, v6 :: v_dual_mov_b32 v13, v5
.LBB220_299:                            ;   in Loop: Header=BB220_225 Depth=1
	s_or_b32 exec_lo, exec_lo, s13
.LBB220_300:                            ;   in Loop: Header=BB220_225 Depth=1
	s_delay_alu instid0(SALU_CYCLE_1)
	s_or_b32 exec_lo, exec_lo, s11
.LBB220_301:                            ;   in Loop: Header=BB220_225 Depth=1
	s_delay_alu instid0(SALU_CYCLE_1) | instskip(SKIP_2) | instid1(VALU_DEP_1)
	s_or_b32 exec_lo, exec_lo, s2
	v_lshrrev_b16 v5, 8, v45
	s_mov_b32 s11, exec_lo
	v_cmpx_ne_u16_e32 0, v5
	s_cbranch_execz .LBB220_309
; %bb.302:                              ;   in Loop: Header=BB220_225 Depth=1
	v_dual_mov_b32 v16, s5 :: v_dual_mov_b32 v15, s4
	s_mov_b32 s13, exec_lo
	v_cmpx_ne_u16_e32 0x80, v5
	s_cbranch_execz .LBB220_308
; %bb.303:                              ;   in Loop: Header=BB220_225 Depth=1
	s_mov_b32 s2, s4
	v_dual_mov_b32 v16, s3 :: v_dual_and_b32 v5, 0xffff, v5
	v_mov_b32_e32 v15, s2
	s_mov_b32 s2, exec_lo
	s_delay_alu instid0(VALU_DEP_2) | instskip(NEXT) | instid1(VALU_DEP_1)
	v_and_b32_e32 v17, 0x7f, v5
	v_cmpx_ne_u32_e32 0x7f, v17
	s_cbranch_execz .LBB220_307
; %bb.304:                              ;   in Loop: Header=BB220_225 Depth=1
	v_and_b32_e32 v5, 7, v5
	v_lshrrev_b32_e32 v15, 3, v17
	s_mov_b32 s14, exec_lo
	v_cmpx_gt_u32_e32 8, v17
; %bb.305:                              ;   in Loop: Header=BB220_225 Depth=1
	s_delay_alu instid0(VALU_DEP_3) | instskip(NEXT) | instid1(VALU_DEP_1)
	v_clz_i32_u32_e32 v15, v5
	v_min_u32_e32 v15, 32, v15
	s_delay_alu instid0(VALU_DEP_1) | instskip(SKIP_1) | instid1(VALU_DEP_2)
	v_subrev_nc_u32_e32 v16, 28, v15
	v_sub_nc_u32_e32 v15, 29, v15
	v_lshlrev_b64 v[16:17], v16, v[5:6]
	s_delay_alu instid0(VALU_DEP_1)
	v_and_b32_e32 v5, 7, v16
; %bb.306:                              ;   in Loop: Header=BB220_225 Depth=1
	s_or_b32 exec_lo, exec_lo, s14
	v_lshlrev_b32_e32 v16, 16, v45
	s_delay_alu instid0(VALU_DEP_2) | instskip(SKIP_1) | instid1(VALU_DEP_3)
	v_lshlrev_b32_e32 v5, 20, v5
	v_lshl_add_u32 v15, v15, 23, 0x3c000000
	v_and_b32_e32 v16, 0x80000000, v16
	s_delay_alu instid0(VALU_DEP_1)
	v_or3_b32 v16, v5, v16, v15
	v_mov_b32_e32 v15, v6
.LBB220_307:                            ;   in Loop: Header=BB220_225 Depth=1
	s_or_b32 exec_lo, exec_lo, s2
.LBB220_308:                            ;   in Loop: Header=BB220_225 Depth=1
	s_delay_alu instid0(SALU_CYCLE_1)
	s_or_b32 exec_lo, exec_lo, s13
.LBB220_309:                            ;   in Loop: Header=BB220_225 Depth=1
	s_delay_alu instid0(SALU_CYCLE_1) | instskip(SKIP_4) | instid1(VALU_DEP_2)
	s_or_b32 exec_lo, exec_lo, s11
	v_mov_b32_e32 v19, 0
	v_lshrrev_b32_e32 v46, 16, v45
	v_mov_b32_e32 v20, 0
	s_mov_b32 s2, exec_lo
	v_and_b32_e32 v5, 0xff, v46
	s_delay_alu instid0(VALU_DEP_2) | instskip(NEXT) | instid1(VALU_DEP_2)
	v_dual_mov_b32 v17, v19 :: v_dual_mov_b32 v18, v20
	v_cmpx_ne_u16_e32 0, v5
	s_cbranch_execz .LBB220_317
; %bb.310:                              ;   in Loop: Header=BB220_225 Depth=1
	v_bfrev_b32_e32 v17, 1
	v_mov_b32_e32 v18, 0
	s_mov_b32 s11, exec_lo
	v_cmpx_ne_u16_e32 0x80, v5
	s_cbranch_execz .LBB220_316
; %bb.311:                              ;   in Loop: Header=BB220_225 Depth=1
	v_mov_b32_e32 v17, 0x7f800001
	v_bfe_u32 v47, v45, 16, 7
	v_mov_b32_e32 v18, 0
	s_mov_b32 s13, exec_lo
	s_delay_alu instid0(VALU_DEP_2)
	v_cmpx_ne_u32_e32 0x7f, v47
	s_cbranch_execz .LBB220_315
; %bb.312:                              ;   in Loop: Header=BB220_225 Depth=1
	v_and_b32_e32 v5, 7, v46
	v_lshrrev_b32_e32 v17, 3, v47
	s_mov_b32 s14, exec_lo
	v_cmpx_gt_u32_e32 8, v47
; %bb.313:                              ;   in Loop: Header=BB220_225 Depth=1
	s_delay_alu instid0(VALU_DEP_3) | instskip(NEXT) | instid1(VALU_DEP_1)
	v_clz_i32_u32_e32 v17, v5
	v_min_u32_e32 v17, 32, v17
	s_delay_alu instid0(VALU_DEP_1) | instskip(SKIP_1) | instid1(VALU_DEP_2)
	v_subrev_nc_u32_e32 v18, 28, v17
	v_sub_nc_u32_e32 v17, 29, v17
	v_lshlrev_b64 v[47:48], v18, v[5:6]
	s_delay_alu instid0(VALU_DEP_1)
	v_and_b32_e32 v5, 7, v47
; %bb.314:                              ;   in Loop: Header=BB220_225 Depth=1
	s_or_b32 exec_lo, exec_lo, s14
	v_lshlrev_b32_e32 v18, 24, v46
	s_delay_alu instid0(VALU_DEP_2) | instskip(SKIP_1) | instid1(VALU_DEP_3)
	v_lshlrev_b32_e32 v5, 20, v5
	v_lshl_add_u32 v17, v17, 23, 0x3c000000
	v_and_b32_e32 v18, 0x80000000, v18
	s_delay_alu instid0(VALU_DEP_1) | instskip(NEXT) | instid1(VALU_DEP_1)
	v_or3_b32 v5, v5, v18, v17
	v_dual_mov_b32 v18, v6 :: v_dual_mov_b32 v17, v5
.LBB220_315:                            ;   in Loop: Header=BB220_225 Depth=1
	s_or_b32 exec_lo, exec_lo, s13
.LBB220_316:                            ;   in Loop: Header=BB220_225 Depth=1
	s_delay_alu instid0(SALU_CYCLE_1)
	s_or_b32 exec_lo, exec_lo, s11
.LBB220_317:                            ;   in Loop: Header=BB220_225 Depth=1
	s_delay_alu instid0(SALU_CYCLE_1) | instskip(NEXT) | instid1(SALU_CYCLE_1)
	s_or_b32 exec_lo, exec_lo, s2
	s_mov_b32 s11, exec_lo
	v_cmpx_lt_u32_e32 0xffffff, v45
	s_cbranch_execz .LBB220_325
; %bb.318:                              ;   in Loop: Header=BB220_225 Depth=1
	v_lshrrev_b32_e32 v46, 24, v45
	v_dual_mov_b32 v20, s5 :: v_dual_mov_b32 v19, s4
	s_mov_b32 s13, exec_lo
	s_delay_alu instid0(VALU_DEP_2)
	v_cmpx_ne_u32_e32 0x80, v46
	s_cbranch_execz .LBB220_324
; %bb.319:                              ;   in Loop: Header=BB220_225 Depth=1
	s_mov_b32 s2, s4
	v_bfe_u32 v45, v45, 24, 7
	v_dual_mov_b32 v20, s3 :: v_dual_mov_b32 v19, s2
	s_mov_b32 s2, exec_lo
	s_delay_alu instid0(VALU_DEP_2)
	v_cmpx_ne_u32_e32 0x7f, v45
	s_cbranch_execz .LBB220_323
; %bb.320:                              ;   in Loop: Header=BB220_225 Depth=1
	v_and_b32_e32 v5, 7, v46
	v_lshrrev_b32_e32 v19, 3, v45
	s_mov_b32 s14, exec_lo
	v_cmpx_gt_u32_e32 8, v45
; %bb.321:                              ;   in Loop: Header=BB220_225 Depth=1
	s_delay_alu instid0(VALU_DEP_3) | instskip(NEXT) | instid1(VALU_DEP_1)
	v_clz_i32_u32_e32 v19, v5
	v_min_u32_e32 v19, 32, v19
	s_delay_alu instid0(VALU_DEP_1) | instskip(SKIP_1) | instid1(VALU_DEP_2)
	v_subrev_nc_u32_e32 v20, 28, v19
	v_sub_nc_u32_e32 v19, 29, v19
	v_lshlrev_b64 v[47:48], v20, v[5:6]
	s_delay_alu instid0(VALU_DEP_1)
	v_and_b32_e32 v5, 7, v47
; %bb.322:                              ;   in Loop: Header=BB220_225 Depth=1
	s_or_b32 exec_lo, exec_lo, s14
	v_lshlrev_b32_e32 v20, 24, v46
	s_delay_alu instid0(VALU_DEP_2) | instskip(SKIP_1) | instid1(VALU_DEP_3)
	v_lshlrev_b32_e32 v5, 20, v5
	v_lshl_add_u32 v19, v19, 23, 0x3c000000
	v_and_b32_e32 v20, 0x80000000, v20
	s_delay_alu instid0(VALU_DEP_1)
	v_or3_b32 v20, v5, v20, v19
	v_mov_b32_e32 v19, v6
.LBB220_323:                            ;   in Loop: Header=BB220_225 Depth=1
	s_or_b32 exec_lo, exec_lo, s2
.LBB220_324:                            ;   in Loop: Header=BB220_225 Depth=1
	s_delay_alu instid0(SALU_CYCLE_1)
	s_or_b32 exec_lo, exec_lo, s13
.LBB220_325:                            ;   in Loop: Header=BB220_225 Depth=1
	s_delay_alu instid0(SALU_CYCLE_1) | instskip(SKIP_4) | instid1(VALU_DEP_4)
	s_or_b32 exec_lo, exec_lo, s11
	v_or_b32_e32 v5, v16, v14
	v_or_b32_e32 v13, v15, v13
	;; [unrolled: 1-line block ×4, first 2 shown]
	v_mul_f32_e32 v48, s9, v5
	s_delay_alu instid0(VALU_DEP_4) | instskip(NEXT) | instid1(VALU_DEP_3)
	v_mul_f32_e32 v47, s7, v13
	v_dual_mul_f32 v45, s9, v14 :: v_dual_mul_f32 v46, s7, v15
	s_and_saveexec_b32 s2, vcc_lo
; %bb.326:                              ;   in Loop: Header=BB220_225 Depth=1
	v_cmp_gt_i32_e64 s0, s33, v38
	s_delay_alu instid0(VALU_DEP_1) | instskip(SKIP_1) | instid1(VALU_DEP_1)
	v_cndmask_b32_e64 v47, 0, v47, s0
	v_cmp_gt_i32_e64 s0, s33, v40
	v_cndmask_b32_e64 v48, 0, v48, s0
	v_cmp_gt_i32_e64 s0, s33, v39
	s_delay_alu instid0(VALU_DEP_1) | instskip(SKIP_1) | instid1(VALU_DEP_1)
	v_cndmask_b32_e64 v46, 0, v46, s0
	v_cmp_gt_i32_e64 s0, s33, v26
	v_cndmask_b32_e64 v45, 0, v45, s0
; %bb.327:                              ;   in Loop: Header=BB220_225 Depth=1
	s_or_b32 exec_lo, exec_lo, s2
	global_load_b32 v49, v[11:12], off offset:384
	v_mov_b32_e32 v15, 0
	v_mov_b32_e32 v16, 0
	s_mov_b32 s2, exec_lo
	s_waitcnt vmcnt(0)
	v_and_b32_e32 v5, 0xff, v49
	s_delay_alu instid0(VALU_DEP_2) | instskip(NEXT) | instid1(VALU_DEP_2)
	v_dual_mov_b32 v13, v15 :: v_dual_mov_b32 v14, v16
	v_cmpx_ne_u16_e32 0, v5
	s_cbranch_execz .LBB220_335
; %bb.328:                              ;   in Loop: Header=BB220_225 Depth=1
	v_bfrev_b32_e32 v13, 1
	v_mov_b32_e32 v14, 0
	s_mov_b32 s11, exec_lo
	v_cmpx_ne_u16_e32 0x80, v5
	s_cbranch_execz .LBB220_334
; %bb.329:                              ;   in Loop: Header=BB220_225 Depth=1
	v_mov_b32_e32 v13, 0x7f800001
	v_dual_mov_b32 v14, 0 :: v_dual_and_b32 v17, 0x7f, v49
	s_mov_b32 s13, exec_lo
	s_delay_alu instid0(VALU_DEP_1)
	v_cmpx_ne_u32_e32 0x7f, v17
	s_cbranch_execz .LBB220_333
; %bb.330:                              ;   in Loop: Header=BB220_225 Depth=1
	v_and_b32_e32 v5, 7, v49
	v_lshrrev_b32_e32 v13, 3, v17
	s_mov_b32 s14, exec_lo
	v_cmpx_gt_u32_e32 8, v17
; %bb.331:                              ;   in Loop: Header=BB220_225 Depth=1
	s_delay_alu instid0(VALU_DEP_3) | instskip(NEXT) | instid1(VALU_DEP_1)
	v_clz_i32_u32_e32 v13, v5
	v_min_u32_e32 v13, 32, v13
	s_delay_alu instid0(VALU_DEP_1) | instskip(SKIP_1) | instid1(VALU_DEP_2)
	v_subrev_nc_u32_e32 v14, 28, v13
	v_sub_nc_u32_e32 v13, 29, v13
	v_lshlrev_b64 v[17:18], v14, v[5:6]
	s_delay_alu instid0(VALU_DEP_1)
	v_and_b32_e32 v5, 7, v17
; %bb.332:                              ;   in Loop: Header=BB220_225 Depth=1
	s_or_b32 exec_lo, exec_lo, s14
	v_lshlrev_b32_e32 v14, 24, v49
	s_delay_alu instid0(VALU_DEP_2) | instskip(SKIP_1) | instid1(VALU_DEP_3)
	v_lshlrev_b32_e32 v5, 20, v5
	v_lshl_add_u32 v13, v13, 23, 0x3c000000
	v_and_b32_e32 v14, 0x80000000, v14
	s_delay_alu instid0(VALU_DEP_1) | instskip(NEXT) | instid1(VALU_DEP_1)
	v_or3_b32 v5, v5, v14, v13
	v_dual_mov_b32 v14, v6 :: v_dual_mov_b32 v13, v5
.LBB220_333:                            ;   in Loop: Header=BB220_225 Depth=1
	s_or_b32 exec_lo, exec_lo, s13
.LBB220_334:                            ;   in Loop: Header=BB220_225 Depth=1
	s_delay_alu instid0(SALU_CYCLE_1)
	s_or_b32 exec_lo, exec_lo, s11
.LBB220_335:                            ;   in Loop: Header=BB220_225 Depth=1
	s_delay_alu instid0(SALU_CYCLE_1) | instskip(SKIP_2) | instid1(VALU_DEP_1)
	s_or_b32 exec_lo, exec_lo, s2
	v_lshrrev_b16 v5, 8, v49
	s_mov_b32 s11, exec_lo
	v_cmpx_ne_u16_e32 0, v5
	s_cbranch_execz .LBB220_343
; %bb.336:                              ;   in Loop: Header=BB220_225 Depth=1
	v_dual_mov_b32 v16, s5 :: v_dual_mov_b32 v15, s4
	s_mov_b32 s13, exec_lo
	v_cmpx_ne_u16_e32 0x80, v5
	s_cbranch_execz .LBB220_342
; %bb.337:                              ;   in Loop: Header=BB220_225 Depth=1
	s_mov_b32 s2, s4
	v_dual_mov_b32 v16, s3 :: v_dual_and_b32 v5, 0xffff, v5
	v_mov_b32_e32 v15, s2
	s_mov_b32 s2, exec_lo
	s_delay_alu instid0(VALU_DEP_2) | instskip(NEXT) | instid1(VALU_DEP_1)
	v_and_b32_e32 v17, 0x7f, v5
	v_cmpx_ne_u32_e32 0x7f, v17
	s_cbranch_execz .LBB220_341
; %bb.338:                              ;   in Loop: Header=BB220_225 Depth=1
	v_and_b32_e32 v5, 7, v5
	v_lshrrev_b32_e32 v15, 3, v17
	s_mov_b32 s14, exec_lo
	v_cmpx_gt_u32_e32 8, v17
; %bb.339:                              ;   in Loop: Header=BB220_225 Depth=1
	s_delay_alu instid0(VALU_DEP_3) | instskip(NEXT) | instid1(VALU_DEP_1)
	v_clz_i32_u32_e32 v15, v5
	v_min_u32_e32 v15, 32, v15
	s_delay_alu instid0(VALU_DEP_1) | instskip(SKIP_1) | instid1(VALU_DEP_2)
	v_subrev_nc_u32_e32 v16, 28, v15
	v_sub_nc_u32_e32 v15, 29, v15
	v_lshlrev_b64 v[16:17], v16, v[5:6]
	s_delay_alu instid0(VALU_DEP_1)
	v_and_b32_e32 v5, 7, v16
; %bb.340:                              ;   in Loop: Header=BB220_225 Depth=1
	s_or_b32 exec_lo, exec_lo, s14
	v_lshlrev_b32_e32 v16, 16, v49
	s_delay_alu instid0(VALU_DEP_2) | instskip(SKIP_1) | instid1(VALU_DEP_3)
	v_lshlrev_b32_e32 v5, 20, v5
	v_lshl_add_u32 v15, v15, 23, 0x3c000000
	v_and_b32_e32 v16, 0x80000000, v16
	s_delay_alu instid0(VALU_DEP_1)
	v_or3_b32 v16, v5, v16, v15
	v_mov_b32_e32 v15, v6
.LBB220_341:                            ;   in Loop: Header=BB220_225 Depth=1
	s_or_b32 exec_lo, exec_lo, s2
.LBB220_342:                            ;   in Loop: Header=BB220_225 Depth=1
	s_delay_alu instid0(SALU_CYCLE_1)
	s_or_b32 exec_lo, exec_lo, s13
.LBB220_343:                            ;   in Loop: Header=BB220_225 Depth=1
	s_delay_alu instid0(SALU_CYCLE_1) | instskip(SKIP_4) | instid1(VALU_DEP_2)
	s_or_b32 exec_lo, exec_lo, s11
	v_mov_b32_e32 v19, 0
	v_lshrrev_b32_e32 v50, 16, v49
	v_mov_b32_e32 v20, 0
	s_mov_b32 s2, exec_lo
	v_and_b32_e32 v5, 0xff, v50
	s_delay_alu instid0(VALU_DEP_2) | instskip(NEXT) | instid1(VALU_DEP_2)
	v_dual_mov_b32 v17, v19 :: v_dual_mov_b32 v18, v20
	v_cmpx_ne_u16_e32 0, v5
	s_cbranch_execz .LBB220_351
; %bb.344:                              ;   in Loop: Header=BB220_225 Depth=1
	v_bfrev_b32_e32 v17, 1
	v_mov_b32_e32 v18, 0
	s_mov_b32 s11, exec_lo
	v_cmpx_ne_u16_e32 0x80, v5
	s_cbranch_execz .LBB220_350
; %bb.345:                              ;   in Loop: Header=BB220_225 Depth=1
	v_mov_b32_e32 v17, 0x7f800001
	v_bfe_u32 v51, v49, 16, 7
	v_mov_b32_e32 v18, 0
	s_mov_b32 s13, exec_lo
	s_delay_alu instid0(VALU_DEP_2)
	v_cmpx_ne_u32_e32 0x7f, v51
	s_cbranch_execz .LBB220_349
; %bb.346:                              ;   in Loop: Header=BB220_225 Depth=1
	v_and_b32_e32 v5, 7, v50
	v_lshrrev_b32_e32 v17, 3, v51
	s_mov_b32 s14, exec_lo
	v_cmpx_gt_u32_e32 8, v51
; %bb.347:                              ;   in Loop: Header=BB220_225 Depth=1
	s_delay_alu instid0(VALU_DEP_3) | instskip(NEXT) | instid1(VALU_DEP_1)
	v_clz_i32_u32_e32 v17, v5
	v_min_u32_e32 v17, 32, v17
	s_delay_alu instid0(VALU_DEP_1) | instskip(SKIP_1) | instid1(VALU_DEP_2)
	v_subrev_nc_u32_e32 v18, 28, v17
	v_sub_nc_u32_e32 v17, 29, v17
	v_lshlrev_b64 v[51:52], v18, v[5:6]
	s_delay_alu instid0(VALU_DEP_1)
	v_and_b32_e32 v5, 7, v51
; %bb.348:                              ;   in Loop: Header=BB220_225 Depth=1
	s_or_b32 exec_lo, exec_lo, s14
	v_lshlrev_b32_e32 v18, 24, v50
	s_delay_alu instid0(VALU_DEP_2) | instskip(SKIP_1) | instid1(VALU_DEP_3)
	v_lshlrev_b32_e32 v5, 20, v5
	v_lshl_add_u32 v17, v17, 23, 0x3c000000
	v_and_b32_e32 v18, 0x80000000, v18
	s_delay_alu instid0(VALU_DEP_1) | instskip(NEXT) | instid1(VALU_DEP_1)
	v_or3_b32 v5, v5, v18, v17
	v_dual_mov_b32 v18, v6 :: v_dual_mov_b32 v17, v5
.LBB220_349:                            ;   in Loop: Header=BB220_225 Depth=1
	s_or_b32 exec_lo, exec_lo, s13
.LBB220_350:                            ;   in Loop: Header=BB220_225 Depth=1
	s_delay_alu instid0(SALU_CYCLE_1)
	s_or_b32 exec_lo, exec_lo, s11
.LBB220_351:                            ;   in Loop: Header=BB220_225 Depth=1
	s_delay_alu instid0(SALU_CYCLE_1) | instskip(NEXT) | instid1(SALU_CYCLE_1)
	s_or_b32 exec_lo, exec_lo, s2
	s_mov_b32 s11, exec_lo
	v_cmpx_lt_u32_e32 0xffffff, v49
	s_cbranch_execz .LBB220_359
; %bb.352:                              ;   in Loop: Header=BB220_225 Depth=1
	v_lshrrev_b32_e32 v50, 24, v49
	v_dual_mov_b32 v20, s5 :: v_dual_mov_b32 v19, s4
	s_mov_b32 s13, exec_lo
	s_delay_alu instid0(VALU_DEP_2)
	v_cmpx_ne_u32_e32 0x80, v50
	s_cbranch_execz .LBB220_358
; %bb.353:                              ;   in Loop: Header=BB220_225 Depth=1
	s_mov_b32 s2, s4
	v_bfe_u32 v49, v49, 24, 7
	v_dual_mov_b32 v20, s3 :: v_dual_mov_b32 v19, s2
	s_mov_b32 s2, exec_lo
	s_delay_alu instid0(VALU_DEP_2)
	v_cmpx_ne_u32_e32 0x7f, v49
	s_cbranch_execz .LBB220_357
; %bb.354:                              ;   in Loop: Header=BB220_225 Depth=1
	v_and_b32_e32 v5, 7, v50
	v_lshrrev_b32_e32 v19, 3, v49
	s_mov_b32 s14, exec_lo
	v_cmpx_gt_u32_e32 8, v49
; %bb.355:                              ;   in Loop: Header=BB220_225 Depth=1
	s_delay_alu instid0(VALU_DEP_3) | instskip(NEXT) | instid1(VALU_DEP_1)
	v_clz_i32_u32_e32 v19, v5
	v_min_u32_e32 v19, 32, v19
	s_delay_alu instid0(VALU_DEP_1) | instskip(SKIP_1) | instid1(VALU_DEP_2)
	v_subrev_nc_u32_e32 v20, 28, v19
	v_sub_nc_u32_e32 v19, 29, v19
	v_lshlrev_b64 v[51:52], v20, v[5:6]
	s_delay_alu instid0(VALU_DEP_1)
	v_and_b32_e32 v5, 7, v51
; %bb.356:                              ;   in Loop: Header=BB220_225 Depth=1
	s_or_b32 exec_lo, exec_lo, s14
	v_lshlrev_b32_e32 v20, 24, v50
	s_delay_alu instid0(VALU_DEP_2) | instskip(SKIP_1) | instid1(VALU_DEP_3)
	v_lshlrev_b32_e32 v5, 20, v5
	v_lshl_add_u32 v19, v19, 23, 0x3c000000
	v_and_b32_e32 v20, 0x80000000, v20
	s_delay_alu instid0(VALU_DEP_1)
	v_or3_b32 v20, v5, v20, v19
	v_mov_b32_e32 v19, v6
.LBB220_357:                            ;   in Loop: Header=BB220_225 Depth=1
	s_or_b32 exec_lo, exec_lo, s2
.LBB220_358:                            ;   in Loop: Header=BB220_225 Depth=1
	s_delay_alu instid0(SALU_CYCLE_1)
	s_or_b32 exec_lo, exec_lo, s13
.LBB220_359:                            ;   in Loop: Header=BB220_225 Depth=1
	s_delay_alu instid0(SALU_CYCLE_1) | instskip(SKIP_4) | instid1(VALU_DEP_4)
	s_or_b32 exec_lo, exec_lo, s11
	v_or_b32_e32 v5, v16, v14
	v_or_b32_e32 v13, v15, v13
	;; [unrolled: 1-line block ×4, first 2 shown]
	v_mul_f32_e32 v52, s9, v5
	s_delay_alu instid0(VALU_DEP_4) | instskip(NEXT) | instid1(VALU_DEP_3)
	v_mul_f32_e32 v51, s7, v13
	v_dual_mul_f32 v49, s9, v14 :: v_dual_mul_f32 v50, s7, v15
	s_and_saveexec_b32 s2, vcc_lo
; %bb.360:                              ;   in Loop: Header=BB220_225 Depth=1
	v_cmp_gt_i32_e64 s0, s33, v38
	s_delay_alu instid0(VALU_DEP_1) | instskip(SKIP_1) | instid1(VALU_DEP_1)
	v_cndmask_b32_e64 v51, 0, v51, s0
	v_cmp_gt_i32_e64 s0, s33, v40
	v_cndmask_b32_e64 v52, 0, v52, s0
	v_cmp_gt_i32_e64 s0, s33, v39
	s_delay_alu instid0(VALU_DEP_1) | instskip(SKIP_1) | instid1(VALU_DEP_1)
	v_cndmask_b32_e64 v50, 0, v50, s0
	v_cmp_gt_i32_e64 s0, s33, v26
	v_cndmask_b32_e64 v49, 0, v49, s0
; %bb.361:                              ;   in Loop: Header=BB220_225 Depth=1
	s_or_b32 exec_lo, exec_lo, s2
	global_load_b32 v53, v[11:12], off offset:512
	v_mov_b32_e32 v15, 0
	v_mov_b32_e32 v16, 0
	s_mov_b32 s2, exec_lo
	s_waitcnt vmcnt(0)
	v_and_b32_e32 v5, 0xff, v53
	s_delay_alu instid0(VALU_DEP_2) | instskip(NEXT) | instid1(VALU_DEP_2)
	v_dual_mov_b32 v13, v15 :: v_dual_mov_b32 v14, v16
	v_cmpx_ne_u16_e32 0, v5
	s_cbranch_execz .LBB220_369
; %bb.362:                              ;   in Loop: Header=BB220_225 Depth=1
	v_bfrev_b32_e32 v13, 1
	v_mov_b32_e32 v14, 0
	s_mov_b32 s11, exec_lo
	v_cmpx_ne_u16_e32 0x80, v5
	s_cbranch_execz .LBB220_368
; %bb.363:                              ;   in Loop: Header=BB220_225 Depth=1
	v_mov_b32_e32 v13, 0x7f800001
	v_dual_mov_b32 v14, 0 :: v_dual_and_b32 v17, 0x7f, v53
	s_mov_b32 s13, exec_lo
	s_delay_alu instid0(VALU_DEP_1)
	v_cmpx_ne_u32_e32 0x7f, v17
	s_cbranch_execz .LBB220_367
; %bb.364:                              ;   in Loop: Header=BB220_225 Depth=1
	v_and_b32_e32 v5, 7, v53
	v_lshrrev_b32_e32 v13, 3, v17
	s_mov_b32 s14, exec_lo
	v_cmpx_gt_u32_e32 8, v17
; %bb.365:                              ;   in Loop: Header=BB220_225 Depth=1
	s_delay_alu instid0(VALU_DEP_3) | instskip(NEXT) | instid1(VALU_DEP_1)
	v_clz_i32_u32_e32 v13, v5
	v_min_u32_e32 v13, 32, v13
	s_delay_alu instid0(VALU_DEP_1) | instskip(SKIP_1) | instid1(VALU_DEP_2)
	v_subrev_nc_u32_e32 v14, 28, v13
	v_sub_nc_u32_e32 v13, 29, v13
	v_lshlrev_b64 v[17:18], v14, v[5:6]
	s_delay_alu instid0(VALU_DEP_1)
	v_and_b32_e32 v5, 7, v17
; %bb.366:                              ;   in Loop: Header=BB220_225 Depth=1
	s_or_b32 exec_lo, exec_lo, s14
	v_lshlrev_b32_e32 v14, 24, v53
	s_delay_alu instid0(VALU_DEP_2) | instskip(SKIP_1) | instid1(VALU_DEP_3)
	v_lshlrev_b32_e32 v5, 20, v5
	v_lshl_add_u32 v13, v13, 23, 0x3c000000
	v_and_b32_e32 v14, 0x80000000, v14
	s_delay_alu instid0(VALU_DEP_1) | instskip(NEXT) | instid1(VALU_DEP_1)
	v_or3_b32 v5, v5, v14, v13
	v_dual_mov_b32 v14, v6 :: v_dual_mov_b32 v13, v5
.LBB220_367:                            ;   in Loop: Header=BB220_225 Depth=1
	s_or_b32 exec_lo, exec_lo, s13
.LBB220_368:                            ;   in Loop: Header=BB220_225 Depth=1
	s_delay_alu instid0(SALU_CYCLE_1)
	s_or_b32 exec_lo, exec_lo, s11
.LBB220_369:                            ;   in Loop: Header=BB220_225 Depth=1
	s_delay_alu instid0(SALU_CYCLE_1) | instskip(SKIP_2) | instid1(VALU_DEP_1)
	s_or_b32 exec_lo, exec_lo, s2
	v_lshrrev_b16 v5, 8, v53
	s_mov_b32 s11, exec_lo
	v_cmpx_ne_u16_e32 0, v5
	s_cbranch_execz .LBB220_377
; %bb.370:                              ;   in Loop: Header=BB220_225 Depth=1
	v_dual_mov_b32 v16, s5 :: v_dual_mov_b32 v15, s4
	s_mov_b32 s13, exec_lo
	v_cmpx_ne_u16_e32 0x80, v5
	s_cbranch_execz .LBB220_376
; %bb.371:                              ;   in Loop: Header=BB220_225 Depth=1
	s_mov_b32 s2, s4
	v_dual_mov_b32 v16, s3 :: v_dual_and_b32 v5, 0xffff, v5
	v_mov_b32_e32 v15, s2
	s_mov_b32 s2, exec_lo
	s_delay_alu instid0(VALU_DEP_2) | instskip(NEXT) | instid1(VALU_DEP_1)
	v_and_b32_e32 v17, 0x7f, v5
	v_cmpx_ne_u32_e32 0x7f, v17
	s_cbranch_execz .LBB220_375
; %bb.372:                              ;   in Loop: Header=BB220_225 Depth=1
	v_and_b32_e32 v5, 7, v5
	v_lshrrev_b32_e32 v15, 3, v17
	s_mov_b32 s14, exec_lo
	v_cmpx_gt_u32_e32 8, v17
; %bb.373:                              ;   in Loop: Header=BB220_225 Depth=1
	s_delay_alu instid0(VALU_DEP_3) | instskip(NEXT) | instid1(VALU_DEP_1)
	v_clz_i32_u32_e32 v15, v5
	v_min_u32_e32 v15, 32, v15
	s_delay_alu instid0(VALU_DEP_1) | instskip(SKIP_1) | instid1(VALU_DEP_2)
	v_subrev_nc_u32_e32 v16, 28, v15
	v_sub_nc_u32_e32 v15, 29, v15
	v_lshlrev_b64 v[16:17], v16, v[5:6]
	s_delay_alu instid0(VALU_DEP_1)
	v_and_b32_e32 v5, 7, v16
; %bb.374:                              ;   in Loop: Header=BB220_225 Depth=1
	s_or_b32 exec_lo, exec_lo, s14
	v_lshlrev_b32_e32 v16, 16, v53
	s_delay_alu instid0(VALU_DEP_2) | instskip(SKIP_1) | instid1(VALU_DEP_3)
	v_lshlrev_b32_e32 v5, 20, v5
	v_lshl_add_u32 v15, v15, 23, 0x3c000000
	v_and_b32_e32 v16, 0x80000000, v16
	s_delay_alu instid0(VALU_DEP_1)
	v_or3_b32 v16, v5, v16, v15
	v_mov_b32_e32 v15, v6
.LBB220_375:                            ;   in Loop: Header=BB220_225 Depth=1
	s_or_b32 exec_lo, exec_lo, s2
.LBB220_376:                            ;   in Loop: Header=BB220_225 Depth=1
	s_delay_alu instid0(SALU_CYCLE_1)
	s_or_b32 exec_lo, exec_lo, s13
.LBB220_377:                            ;   in Loop: Header=BB220_225 Depth=1
	s_delay_alu instid0(SALU_CYCLE_1) | instskip(SKIP_4) | instid1(VALU_DEP_2)
	s_or_b32 exec_lo, exec_lo, s11
	v_mov_b32_e32 v19, 0
	v_lshrrev_b32_e32 v54, 16, v53
	v_mov_b32_e32 v20, 0
	s_mov_b32 s2, exec_lo
	v_and_b32_e32 v5, 0xff, v54
	s_delay_alu instid0(VALU_DEP_2) | instskip(NEXT) | instid1(VALU_DEP_2)
	v_dual_mov_b32 v17, v19 :: v_dual_mov_b32 v18, v20
	v_cmpx_ne_u16_e32 0, v5
	s_cbranch_execz .LBB220_385
; %bb.378:                              ;   in Loop: Header=BB220_225 Depth=1
	v_bfrev_b32_e32 v17, 1
	v_mov_b32_e32 v18, 0
	s_mov_b32 s11, exec_lo
	v_cmpx_ne_u16_e32 0x80, v5
	s_cbranch_execz .LBB220_384
; %bb.379:                              ;   in Loop: Header=BB220_225 Depth=1
	v_mov_b32_e32 v17, 0x7f800001
	v_bfe_u32 v55, v53, 16, 7
	v_mov_b32_e32 v18, 0
	s_mov_b32 s13, exec_lo
	s_delay_alu instid0(VALU_DEP_2)
	v_cmpx_ne_u32_e32 0x7f, v55
	s_cbranch_execz .LBB220_383
; %bb.380:                              ;   in Loop: Header=BB220_225 Depth=1
	v_and_b32_e32 v5, 7, v54
	v_lshrrev_b32_e32 v17, 3, v55
	s_mov_b32 s14, exec_lo
	v_cmpx_gt_u32_e32 8, v55
; %bb.381:                              ;   in Loop: Header=BB220_225 Depth=1
	s_delay_alu instid0(VALU_DEP_3) | instskip(NEXT) | instid1(VALU_DEP_1)
	v_clz_i32_u32_e32 v17, v5
	v_min_u32_e32 v17, 32, v17
	s_delay_alu instid0(VALU_DEP_1) | instskip(SKIP_1) | instid1(VALU_DEP_2)
	v_subrev_nc_u32_e32 v18, 28, v17
	v_sub_nc_u32_e32 v17, 29, v17
	v_lshlrev_b64 v[55:56], v18, v[5:6]
	s_delay_alu instid0(VALU_DEP_1)
	v_and_b32_e32 v5, 7, v55
; %bb.382:                              ;   in Loop: Header=BB220_225 Depth=1
	s_or_b32 exec_lo, exec_lo, s14
	v_lshlrev_b32_e32 v18, 24, v54
	s_delay_alu instid0(VALU_DEP_2) | instskip(SKIP_1) | instid1(VALU_DEP_3)
	v_lshlrev_b32_e32 v5, 20, v5
	v_lshl_add_u32 v17, v17, 23, 0x3c000000
	v_and_b32_e32 v18, 0x80000000, v18
	s_delay_alu instid0(VALU_DEP_1) | instskip(NEXT) | instid1(VALU_DEP_1)
	v_or3_b32 v5, v5, v18, v17
	v_dual_mov_b32 v18, v6 :: v_dual_mov_b32 v17, v5
.LBB220_383:                            ;   in Loop: Header=BB220_225 Depth=1
	s_or_b32 exec_lo, exec_lo, s13
.LBB220_384:                            ;   in Loop: Header=BB220_225 Depth=1
	s_delay_alu instid0(SALU_CYCLE_1)
	s_or_b32 exec_lo, exec_lo, s11
.LBB220_385:                            ;   in Loop: Header=BB220_225 Depth=1
	s_delay_alu instid0(SALU_CYCLE_1) | instskip(NEXT) | instid1(SALU_CYCLE_1)
	s_or_b32 exec_lo, exec_lo, s2
	s_mov_b32 s11, exec_lo
	v_cmpx_lt_u32_e32 0xffffff, v53
	s_cbranch_execz .LBB220_393
; %bb.386:                              ;   in Loop: Header=BB220_225 Depth=1
	v_lshrrev_b32_e32 v54, 24, v53
	v_dual_mov_b32 v20, s5 :: v_dual_mov_b32 v19, s4
	s_mov_b32 s13, exec_lo
	s_delay_alu instid0(VALU_DEP_2)
	v_cmpx_ne_u32_e32 0x80, v54
	s_cbranch_execz .LBB220_392
; %bb.387:                              ;   in Loop: Header=BB220_225 Depth=1
	s_mov_b32 s2, s4
	v_bfe_u32 v53, v53, 24, 7
	v_dual_mov_b32 v20, s3 :: v_dual_mov_b32 v19, s2
	s_mov_b32 s2, exec_lo
	s_delay_alu instid0(VALU_DEP_2)
	v_cmpx_ne_u32_e32 0x7f, v53
	s_cbranch_execz .LBB220_391
; %bb.388:                              ;   in Loop: Header=BB220_225 Depth=1
	v_and_b32_e32 v5, 7, v54
	v_lshrrev_b32_e32 v19, 3, v53
	s_mov_b32 s14, exec_lo
	v_cmpx_gt_u32_e32 8, v53
; %bb.389:                              ;   in Loop: Header=BB220_225 Depth=1
	s_delay_alu instid0(VALU_DEP_3) | instskip(NEXT) | instid1(VALU_DEP_1)
	v_clz_i32_u32_e32 v19, v5
	v_min_u32_e32 v19, 32, v19
	s_delay_alu instid0(VALU_DEP_1) | instskip(SKIP_1) | instid1(VALU_DEP_2)
	v_subrev_nc_u32_e32 v20, 28, v19
	v_sub_nc_u32_e32 v19, 29, v19
	v_lshlrev_b64 v[55:56], v20, v[5:6]
	s_delay_alu instid0(VALU_DEP_1)
	v_and_b32_e32 v5, 7, v55
; %bb.390:                              ;   in Loop: Header=BB220_225 Depth=1
	s_or_b32 exec_lo, exec_lo, s14
	v_lshlrev_b32_e32 v20, 24, v54
	s_delay_alu instid0(VALU_DEP_2) | instskip(SKIP_1) | instid1(VALU_DEP_3)
	v_lshlrev_b32_e32 v5, 20, v5
	v_lshl_add_u32 v19, v19, 23, 0x3c000000
	v_and_b32_e32 v20, 0x80000000, v20
	s_delay_alu instid0(VALU_DEP_1)
	v_or3_b32 v20, v5, v20, v19
	v_mov_b32_e32 v19, v6
.LBB220_391:                            ;   in Loop: Header=BB220_225 Depth=1
	s_or_b32 exec_lo, exec_lo, s2
.LBB220_392:                            ;   in Loop: Header=BB220_225 Depth=1
	s_delay_alu instid0(SALU_CYCLE_1)
	s_or_b32 exec_lo, exec_lo, s13
.LBB220_393:                            ;   in Loop: Header=BB220_225 Depth=1
	s_delay_alu instid0(SALU_CYCLE_1) | instskip(SKIP_4) | instid1(VALU_DEP_4)
	s_or_b32 exec_lo, exec_lo, s11
	v_or_b32_e32 v5, v16, v14
	v_or_b32_e32 v13, v15, v13
	v_or_b32_e32 v14, v20, v18
	v_or_b32_e32 v15, v19, v17
	v_mul_f32_e32 v54, s9, v5
	s_delay_alu instid0(VALU_DEP_4) | instskip(NEXT) | instid1(VALU_DEP_3)
	v_mul_f32_e32 v53, s7, v13
	v_dual_mul_f32 v19, s9, v14 :: v_dual_mul_f32 v20, s7, v15
	s_and_saveexec_b32 s2, vcc_lo
; %bb.394:                              ;   in Loop: Header=BB220_225 Depth=1
	v_cmp_gt_i32_e64 s0, s33, v38
	s_delay_alu instid0(VALU_DEP_1) | instskip(SKIP_1) | instid1(VALU_DEP_1)
	v_cndmask_b32_e64 v53, 0, v53, s0
	v_cmp_gt_i32_e64 s0, s33, v40
	v_cndmask_b32_e64 v54, 0, v54, s0
	v_cmp_gt_i32_e64 s0, s33, v39
	s_delay_alu instid0(VALU_DEP_1) | instskip(SKIP_1) | instid1(VALU_DEP_1)
	v_cndmask_b32_e64 v20, 0, v20, s0
	v_cmp_gt_i32_e64 s0, s33, v26
	v_cndmask_b32_e64 v19, 0, v19, s0
; %bb.395:                              ;   in Loop: Header=BB220_225 Depth=1
	s_or_b32 exec_lo, exec_lo, s2
	global_load_b32 v55, v[11:12], off offset:640
	v_mov_b32_e32 v13, 0
	v_mov_b32_e32 v14, 0
	s_mov_b32 s2, exec_lo
	s_waitcnt vmcnt(0)
	v_and_b32_e32 v5, 0xff, v55
	s_delay_alu instid0(VALU_DEP_2) | instskip(NEXT) | instid1(VALU_DEP_2)
	v_dual_mov_b32 v11, v13 :: v_dual_mov_b32 v12, v14
	v_cmpx_ne_u16_e32 0, v5
	s_cbranch_execz .LBB220_403
; %bb.396:                              ;   in Loop: Header=BB220_225 Depth=1
	v_bfrev_b32_e32 v11, 1
	v_mov_b32_e32 v12, 0
	s_mov_b32 s11, exec_lo
	v_cmpx_ne_u16_e32 0x80, v5
	s_cbranch_execz .LBB220_402
; %bb.397:                              ;   in Loop: Header=BB220_225 Depth=1
	v_mov_b32_e32 v11, 0x7f800001
	v_dual_mov_b32 v12, 0 :: v_dual_and_b32 v15, 0x7f, v55
	s_mov_b32 s13, exec_lo
	s_delay_alu instid0(VALU_DEP_1)
	v_cmpx_ne_u32_e32 0x7f, v15
	s_cbranch_execz .LBB220_401
; %bb.398:                              ;   in Loop: Header=BB220_225 Depth=1
	v_and_b32_e32 v5, 7, v55
	v_lshrrev_b32_e32 v11, 3, v15
	s_mov_b32 s14, exec_lo
	v_cmpx_gt_u32_e32 8, v15
; %bb.399:                              ;   in Loop: Header=BB220_225 Depth=1
	s_delay_alu instid0(VALU_DEP_3) | instskip(NEXT) | instid1(VALU_DEP_1)
	v_clz_i32_u32_e32 v11, v5
	v_min_u32_e32 v11, 32, v11
	s_delay_alu instid0(VALU_DEP_1) | instskip(SKIP_1) | instid1(VALU_DEP_2)
	v_subrev_nc_u32_e32 v12, 28, v11
	v_sub_nc_u32_e32 v11, 29, v11
	v_lshlrev_b64 v[15:16], v12, v[5:6]
	s_delay_alu instid0(VALU_DEP_1)
	v_and_b32_e32 v5, 7, v15
; %bb.400:                              ;   in Loop: Header=BB220_225 Depth=1
	s_or_b32 exec_lo, exec_lo, s14
	v_lshlrev_b32_e32 v12, 24, v55
	s_delay_alu instid0(VALU_DEP_2) | instskip(SKIP_1) | instid1(VALU_DEP_3)
	v_lshlrev_b32_e32 v5, 20, v5
	v_lshl_add_u32 v11, v11, 23, 0x3c000000
	v_and_b32_e32 v12, 0x80000000, v12
	s_delay_alu instid0(VALU_DEP_1) | instskip(NEXT) | instid1(VALU_DEP_1)
	v_or3_b32 v5, v5, v12, v11
	v_dual_mov_b32 v12, v6 :: v_dual_mov_b32 v11, v5
.LBB220_401:                            ;   in Loop: Header=BB220_225 Depth=1
	s_or_b32 exec_lo, exec_lo, s13
.LBB220_402:                            ;   in Loop: Header=BB220_225 Depth=1
	s_delay_alu instid0(SALU_CYCLE_1)
	s_or_b32 exec_lo, exec_lo, s11
.LBB220_403:                            ;   in Loop: Header=BB220_225 Depth=1
	s_delay_alu instid0(SALU_CYCLE_1) | instskip(SKIP_2) | instid1(VALU_DEP_1)
	s_or_b32 exec_lo, exec_lo, s2
	v_lshrrev_b16 v5, 8, v55
	s_mov_b32 s11, exec_lo
	v_cmpx_ne_u16_e32 0, v5
	s_cbranch_execz .LBB220_411
; %bb.404:                              ;   in Loop: Header=BB220_225 Depth=1
	v_dual_mov_b32 v14, s5 :: v_dual_mov_b32 v13, s4
	s_mov_b32 s13, exec_lo
	v_cmpx_ne_u16_e32 0x80, v5
	s_cbranch_execz .LBB220_410
; %bb.405:                              ;   in Loop: Header=BB220_225 Depth=1
	s_mov_b32 s2, s4
	v_dual_mov_b32 v14, s3 :: v_dual_and_b32 v5, 0xffff, v5
	v_mov_b32_e32 v13, s2
	s_mov_b32 s2, exec_lo
	s_delay_alu instid0(VALU_DEP_2) | instskip(NEXT) | instid1(VALU_DEP_1)
	v_and_b32_e32 v15, 0x7f, v5
	v_cmpx_ne_u32_e32 0x7f, v15
	s_cbranch_execz .LBB220_409
; %bb.406:                              ;   in Loop: Header=BB220_225 Depth=1
	v_and_b32_e32 v5, 7, v5
	v_lshrrev_b32_e32 v13, 3, v15
	s_mov_b32 s14, exec_lo
	v_cmpx_gt_u32_e32 8, v15
; %bb.407:                              ;   in Loop: Header=BB220_225 Depth=1
	s_delay_alu instid0(VALU_DEP_3) | instskip(NEXT) | instid1(VALU_DEP_1)
	v_clz_i32_u32_e32 v13, v5
	v_min_u32_e32 v13, 32, v13
	s_delay_alu instid0(VALU_DEP_1) | instskip(SKIP_1) | instid1(VALU_DEP_2)
	v_subrev_nc_u32_e32 v14, 28, v13
	v_sub_nc_u32_e32 v13, 29, v13
	v_lshlrev_b64 v[14:15], v14, v[5:6]
	s_delay_alu instid0(VALU_DEP_1)
	v_and_b32_e32 v5, 7, v14
; %bb.408:                              ;   in Loop: Header=BB220_225 Depth=1
	s_or_b32 exec_lo, exec_lo, s14
	v_lshlrev_b32_e32 v14, 16, v55
	s_delay_alu instid0(VALU_DEP_2) | instskip(SKIP_1) | instid1(VALU_DEP_3)
	v_lshlrev_b32_e32 v5, 20, v5
	v_lshl_add_u32 v13, v13, 23, 0x3c000000
	v_and_b32_e32 v14, 0x80000000, v14
	s_delay_alu instid0(VALU_DEP_1)
	v_or3_b32 v14, v5, v14, v13
	v_mov_b32_e32 v13, v6
.LBB220_409:                            ;   in Loop: Header=BB220_225 Depth=1
	s_or_b32 exec_lo, exec_lo, s2
.LBB220_410:                            ;   in Loop: Header=BB220_225 Depth=1
	s_delay_alu instid0(SALU_CYCLE_1)
	s_or_b32 exec_lo, exec_lo, s13
.LBB220_411:                            ;   in Loop: Header=BB220_225 Depth=1
	s_delay_alu instid0(SALU_CYCLE_1) | instskip(SKIP_4) | instid1(VALU_DEP_2)
	s_or_b32 exec_lo, exec_lo, s11
	v_mov_b32_e32 v17, 0
	v_lshrrev_b32_e32 v56, 16, v55
	v_mov_b32_e32 v18, 0
	s_mov_b32 s2, exec_lo
	v_and_b32_e32 v5, 0xff, v56
	s_delay_alu instid0(VALU_DEP_2) | instskip(NEXT) | instid1(VALU_DEP_2)
	v_dual_mov_b32 v15, v17 :: v_dual_mov_b32 v16, v18
	v_cmpx_ne_u16_e32 0, v5
	s_cbranch_execz .LBB220_419
; %bb.412:                              ;   in Loop: Header=BB220_225 Depth=1
	v_bfrev_b32_e32 v15, 1
	v_mov_b32_e32 v16, 0
	s_mov_b32 s11, exec_lo
	v_cmpx_ne_u16_e32 0x80, v5
	s_cbranch_execz .LBB220_418
; %bb.413:                              ;   in Loop: Header=BB220_225 Depth=1
	v_mov_b32_e32 v15, 0x7f800001
	v_bfe_u32 v57, v55, 16, 7
	v_mov_b32_e32 v16, 0
	s_mov_b32 s13, exec_lo
	s_delay_alu instid0(VALU_DEP_2)
	v_cmpx_ne_u32_e32 0x7f, v57
	s_cbranch_execz .LBB220_417
; %bb.414:                              ;   in Loop: Header=BB220_225 Depth=1
	v_and_b32_e32 v5, 7, v56
	v_lshrrev_b32_e32 v15, 3, v57
	s_mov_b32 s14, exec_lo
	v_cmpx_gt_u32_e32 8, v57
; %bb.415:                              ;   in Loop: Header=BB220_225 Depth=1
	s_delay_alu instid0(VALU_DEP_3) | instskip(NEXT) | instid1(VALU_DEP_1)
	v_clz_i32_u32_e32 v15, v5
	v_min_u32_e32 v15, 32, v15
	s_delay_alu instid0(VALU_DEP_1) | instskip(SKIP_1) | instid1(VALU_DEP_2)
	v_subrev_nc_u32_e32 v16, 28, v15
	v_sub_nc_u32_e32 v15, 29, v15
	v_lshlrev_b64 v[57:58], v16, v[5:6]
	s_delay_alu instid0(VALU_DEP_1)
	v_and_b32_e32 v5, 7, v57
; %bb.416:                              ;   in Loop: Header=BB220_225 Depth=1
	s_or_b32 exec_lo, exec_lo, s14
	v_lshlrev_b32_e32 v16, 24, v56
	s_delay_alu instid0(VALU_DEP_2) | instskip(SKIP_1) | instid1(VALU_DEP_3)
	v_lshlrev_b32_e32 v5, 20, v5
	v_lshl_add_u32 v15, v15, 23, 0x3c000000
	v_and_b32_e32 v16, 0x80000000, v16
	s_delay_alu instid0(VALU_DEP_1) | instskip(NEXT) | instid1(VALU_DEP_1)
	v_or3_b32 v5, v5, v16, v15
	v_dual_mov_b32 v16, v6 :: v_dual_mov_b32 v15, v5
.LBB220_417:                            ;   in Loop: Header=BB220_225 Depth=1
	s_or_b32 exec_lo, exec_lo, s13
.LBB220_418:                            ;   in Loop: Header=BB220_225 Depth=1
	s_delay_alu instid0(SALU_CYCLE_1)
	s_or_b32 exec_lo, exec_lo, s11
.LBB220_419:                            ;   in Loop: Header=BB220_225 Depth=1
	s_delay_alu instid0(SALU_CYCLE_1) | instskip(NEXT) | instid1(SALU_CYCLE_1)
	s_or_b32 exec_lo, exec_lo, s2
	s_mov_b32 s11, exec_lo
	v_cmpx_lt_u32_e32 0xffffff, v55
	s_cbranch_execz .LBB220_427
; %bb.420:                              ;   in Loop: Header=BB220_225 Depth=1
	v_lshrrev_b32_e32 v56, 24, v55
	v_dual_mov_b32 v18, s5 :: v_dual_mov_b32 v17, s4
	s_mov_b32 s13, exec_lo
	s_delay_alu instid0(VALU_DEP_2)
	v_cmpx_ne_u32_e32 0x80, v56
	s_cbranch_execz .LBB220_426
; %bb.421:                              ;   in Loop: Header=BB220_225 Depth=1
	s_mov_b32 s2, s4
	v_bfe_u32 v55, v55, 24, 7
	v_dual_mov_b32 v18, s3 :: v_dual_mov_b32 v17, s2
	s_mov_b32 s2, exec_lo
	s_delay_alu instid0(VALU_DEP_2)
	v_cmpx_ne_u32_e32 0x7f, v55
	s_cbranch_execz .LBB220_425
; %bb.422:                              ;   in Loop: Header=BB220_225 Depth=1
	v_and_b32_e32 v5, 7, v56
	v_lshrrev_b32_e32 v17, 3, v55
	s_mov_b32 s14, exec_lo
	v_cmpx_gt_u32_e32 8, v55
; %bb.423:                              ;   in Loop: Header=BB220_225 Depth=1
	s_delay_alu instid0(VALU_DEP_3) | instskip(NEXT) | instid1(VALU_DEP_1)
	v_clz_i32_u32_e32 v17, v5
	v_min_u32_e32 v17, 32, v17
	s_delay_alu instid0(VALU_DEP_1) | instskip(SKIP_1) | instid1(VALU_DEP_2)
	v_subrev_nc_u32_e32 v18, 28, v17
	v_sub_nc_u32_e32 v17, 29, v17
	v_lshlrev_b64 v[57:58], v18, v[5:6]
	s_delay_alu instid0(VALU_DEP_1)
	v_and_b32_e32 v5, 7, v57
; %bb.424:                              ;   in Loop: Header=BB220_225 Depth=1
	s_or_b32 exec_lo, exec_lo, s14
	v_lshlrev_b32_e32 v18, 24, v56
	s_delay_alu instid0(VALU_DEP_2) | instskip(SKIP_1) | instid1(VALU_DEP_3)
	v_lshlrev_b32_e32 v5, 20, v5
	v_lshl_add_u32 v17, v17, 23, 0x3c000000
	v_and_b32_e32 v18, 0x80000000, v18
	s_delay_alu instid0(VALU_DEP_1)
	v_or3_b32 v18, v5, v18, v17
	v_mov_b32_e32 v17, v6
.LBB220_425:                            ;   in Loop: Header=BB220_225 Depth=1
	s_or_b32 exec_lo, exec_lo, s2
.LBB220_426:                            ;   in Loop: Header=BB220_225 Depth=1
	s_delay_alu instid0(SALU_CYCLE_1)
	s_or_b32 exec_lo, exec_lo, s13
.LBB220_427:                            ;   in Loop: Header=BB220_225 Depth=1
	s_delay_alu instid0(SALU_CYCLE_1) | instskip(SKIP_4) | instid1(VALU_DEP_3)
	s_or_b32 exec_lo, exec_lo, s11
	v_or_b32_e32 v5, v14, v12
	v_or_b32_e32 v11, v13, v11
	;; [unrolled: 1-line block ×4, first 2 shown]
	v_dual_mul_f32 v13, s9, v5 :: v_dual_mul_f32 v12, s7, v11
	s_delay_alu instid0(VALU_DEP_3) | instskip(NEXT) | instid1(VALU_DEP_3)
	v_mul_f32_e32 v5, s9, v14
	v_mul_f32_e32 v11, s7, v15
	s_and_saveexec_b32 s0, vcc_lo
	s_cbranch_execz .LBB220_224
; %bb.428:                              ;   in Loop: Header=BB220_225 Depth=1
	v_cmp_gt_i32_e32 vcc_lo, s33, v38
	v_cndmask_b32_e32 v12, 0, v12, vcc_lo
	v_cmp_gt_i32_e32 vcc_lo, s33, v40
	v_cndmask_b32_e32 v13, 0, v13, vcc_lo
	;; [unrolled: 2-line block ×4, first 2 shown]
	s_branch .LBB220_224
.LBB220_429:
	s_or_b32 exec_lo, exec_lo, s10
.LBB220_430:
	s_delay_alu instid0(SALU_CYCLE_1)
	s_or_b32 exec_lo, exec_lo, s1
	ds_bpermute_b32 v1, v22, v31
	ds_bpermute_b32 v2, v22, v30
	;; [unrolled: 1-line block ×6, first 2 shown]
	v_and_b32_e32 v4, 0x3c1, v0
	v_lshrrev_b32_e32 v7, 1, v21
	s_movk_i32 s0, 0x180
	s_waitcnt lgkmcnt(0)
	s_waitcnt_vscnt null, 0x0
	v_mad_u32_u24 v8, v37, s0, 0x1a0
	s_barrier
	buffer_gl0_inv
	v_dual_add_f32 v6, v31, v1 :: v_dual_add_f32 v5, v30, v2
	v_cmp_eq_u32_e32 vcc_lo, 64, v4
	v_dual_add_f32 v4, v29, v3 :: v_dual_add_f32 v3, v28, v9
	v_dual_add_f32 v2, v27, v10 :: v_dual_lshlrev_b32 v9, 2, v7
	v_add_f32_e32 v1, v24, v11
	s_and_saveexec_b32 s0, vcc_lo
	s_cbranch_execz .LBB220_432
; %bb.431:
	s_delay_alu instid0(VALU_DEP_2)
	v_add3_u32 v10, v8, v9, 0xfffffd00
	ds_store_2addr_b32 v10, v6, v5 offset1:16
	ds_store_2addr_b32 v10, v4, v3 offset0:32 offset1:48
	ds_store_2addr_b32 v10, v2, v1 offset0:64 offset1:80
.LBB220_432:
	s_or_b32 exec_lo, exec_lo, s0
	v_cmp_eq_u32_e32 vcc_lo, 0, v23
	s_mov_b32 s1, exec_lo
	s_waitcnt lgkmcnt(0)
	s_barrier
	buffer_gl0_inv
	v_cmpx_gt_u32_e32 64, v0
	s_cbranch_execz .LBB220_441
; %bb.433:
	s_and_saveexec_b32 s0, vcc_lo
	s_cbranch_execnz .LBB220_455
; %bb.434:
	s_or_b32 exec_lo, exec_lo, s0
	s_and_saveexec_b32 s0, vcc_lo
	s_cbranch_execnz .LBB220_456
.LBB220_435:
	s_or_b32 exec_lo, exec_lo, s0
	s_and_saveexec_b32 s0, vcc_lo
	s_cbranch_execnz .LBB220_457
.LBB220_436:
	s_or_b32 exec_lo, exec_lo, s0
	s_and_saveexec_b32 s0, vcc_lo
	s_cbranch_execnz .LBB220_458
.LBB220_437:
	s_or_b32 exec_lo, exec_lo, s0
	s_and_saveexec_b32 s0, vcc_lo
	s_cbranch_execnz .LBB220_459
.LBB220_438:
	s_or_b32 exec_lo, exec_lo, s0
	s_and_saveexec_b32 s0, vcc_lo
	s_cbranch_execz .LBB220_440
.LBB220_439:
	v_lshl_add_u32 v10, v7, 2, v8
	ds_load_b32 v10, v10 offset:320
	s_waitcnt lgkmcnt(0)
	v_add_f32_e32 v1, v1, v10
.LBB220_440:
	s_or_b32 exec_lo, exec_lo, s0
.LBB220_441:
	s_delay_alu instid0(SALU_CYCLE_1)
	s_or_b32 exec_lo, exec_lo, s1
	v_and_b32_e32 v10, 0x3e1, v0
	s_mov_b32 s1, exec_lo
	s_barrier
	buffer_gl0_inv
	v_cmpx_eq_u32_e32 32, v10
	s_cbranch_execz .LBB220_443
; %bb.442:
	v_add3_u32 v9, v8, v9, 0xfffffe80
	ds_store_2addr_b32 v9, v6, v5 offset1:16
	ds_store_2addr_b32 v9, v4, v3 offset0:32 offset1:48
	ds_store_2addr_b32 v9, v2, v1 offset0:64 offset1:80
.LBB220_443:
	s_or_b32 exec_lo, exec_lo, s1
	s_delay_alu instid0(SALU_CYCLE_1)
	s_mov_b32 s1, exec_lo
	s_waitcnt lgkmcnt(0)
	s_barrier
	buffer_gl0_inv
	v_cmpx_gt_u32_e32 32, v0
	s_cbranch_execz .LBB220_452
; %bb.444:
	v_lshl_add_u32 v7, v7, 2, v8
	s_and_saveexec_b32 s0, vcc_lo
	s_cbranch_execnz .LBB220_460
; %bb.445:
	s_or_b32 exec_lo, exec_lo, s0
	s_and_saveexec_b32 s0, vcc_lo
	s_cbranch_execnz .LBB220_461
.LBB220_446:
	s_or_b32 exec_lo, exec_lo, s0
	s_and_saveexec_b32 s0, vcc_lo
	s_cbranch_execnz .LBB220_462
.LBB220_447:
	s_or_b32 exec_lo, exec_lo, s0
	s_and_saveexec_b32 s0, vcc_lo
	s_cbranch_execnz .LBB220_463
.LBB220_448:
	s_or_b32 exec_lo, exec_lo, s0
	s_and_saveexec_b32 s0, vcc_lo
	s_cbranch_execnz .LBB220_464
.LBB220_449:
	s_or_b32 exec_lo, exec_lo, s0
	s_and_saveexec_b32 s0, vcc_lo
	s_cbranch_execz .LBB220_451
.LBB220_450:
	ds_load_b32 v7, v7 offset:320
	s_waitcnt lgkmcnt(0)
	v_add_f32_e32 v1, v1, v7
.LBB220_451:
	s_or_b32 exec_lo, exec_lo, s0
.LBB220_452:
	s_delay_alu instid0(SALU_CYCLE_1)
	s_or_b32 exec_lo, exec_lo, s1
	s_barrier
	buffer_gl0_inv
	s_mov_b32 s0, exec_lo
	v_cmpx_eq_u32_e32 0, v10
	s_cbranch_execz .LBB220_454
; %bb.453:
	s_mul_i32 s0, s6, 0x60
	s_mul_i32 s2, s15, s20
	s_ashr_i32 s1, s0, 31
	v_lshlrev_b32_e32 v0, 1, v0
	s_lshl_b64 s[0:1], s[0:1], 2
	s_delay_alu instid0(SALU_CYCLE_1) | instskip(SKIP_2) | instid1(SALU_CYCLE_1)
	s_add_u32 s4, s22, s0
	s_addc_u32 s5, s23, s1
	s_ashr_i32 s3, s2, 31
	s_lshl_b64 s[0:1], s[2:3], 2
	s_mul_i32 s2, s12, 0x60
	s_add_u32 s4, s4, s0
	s_addc_u32 s5, s5, s1
	s_ashr_i32 s3, s2, 31
	s_delay_alu instid0(SALU_CYCLE_1) | instskip(NEXT) | instid1(SALU_CYCLE_1)
	s_lshl_b64 s[0:1], s[2:3], 2
	s_add_u32 s0, s4, s0
	s_addc_u32 s1, s5, s1
	s_clause 0x5
	global_store_b32 v0, v6, s[0:1]
	global_store_b32 v0, v5, s[0:1] offset:64
	global_store_b32 v0, v4, s[0:1] offset:128
	;; [unrolled: 1-line block ×5, first 2 shown]
.LBB220_454:
	s_nop 0
	s_sendmsg sendmsg(MSG_DEALLOC_VGPRS)
	s_endpgm
.LBB220_455:
	v_lshl_add_u32 v10, v7, 2, v8
	ds_load_b32 v10, v10
	s_waitcnt lgkmcnt(0)
	v_add_f32_e32 v6, v6, v10
	s_or_b32 exec_lo, exec_lo, s0
	s_and_saveexec_b32 s0, vcc_lo
	s_cbranch_execz .LBB220_435
.LBB220_456:
	v_lshl_add_u32 v10, v7, 2, v8
	ds_load_b32 v10, v10 offset:64
	s_waitcnt lgkmcnt(0)
	v_add_f32_e32 v5, v5, v10
	s_or_b32 exec_lo, exec_lo, s0
	s_and_saveexec_b32 s0, vcc_lo
	s_cbranch_execz .LBB220_436
.LBB220_457:
	v_lshl_add_u32 v10, v7, 2, v8
	ds_load_b32 v10, v10 offset:128
	s_waitcnt lgkmcnt(0)
	v_add_f32_e32 v4, v4, v10
	s_or_b32 exec_lo, exec_lo, s0
	s_and_saveexec_b32 s0, vcc_lo
	s_cbranch_execz .LBB220_437
.LBB220_458:
	v_lshl_add_u32 v10, v7, 2, v8
	ds_load_b32 v10, v10 offset:192
	s_waitcnt lgkmcnt(0)
	v_add_f32_e32 v3, v3, v10
	s_or_b32 exec_lo, exec_lo, s0
	s_and_saveexec_b32 s0, vcc_lo
	s_cbranch_execz .LBB220_438
.LBB220_459:
	v_lshl_add_u32 v10, v7, 2, v8
	ds_load_b32 v10, v10 offset:256
	s_waitcnt lgkmcnt(0)
	v_add_f32_e32 v2, v2, v10
	s_or_b32 exec_lo, exec_lo, s0
	s_and_saveexec_b32 s0, vcc_lo
	s_cbranch_execnz .LBB220_439
	s_branch .LBB220_440
.LBB220_460:
	ds_load_b32 v8, v7
	s_waitcnt lgkmcnt(0)
	v_add_f32_e32 v6, v6, v8
	s_or_b32 exec_lo, exec_lo, s0
	s_and_saveexec_b32 s0, vcc_lo
	s_cbranch_execz .LBB220_446
.LBB220_461:
	ds_load_b32 v8, v7 offset:64
	s_waitcnt lgkmcnt(0)
	v_add_f32_e32 v5, v5, v8
	s_or_b32 exec_lo, exec_lo, s0
	s_and_saveexec_b32 s0, vcc_lo
	s_cbranch_execz .LBB220_447
.LBB220_462:
	ds_load_b32 v8, v7 offset:128
	s_waitcnt lgkmcnt(0)
	v_add_f32_e32 v4, v4, v8
	s_or_b32 exec_lo, exec_lo, s0
	s_and_saveexec_b32 s0, vcc_lo
	s_cbranch_execz .LBB220_448
.LBB220_463:
	ds_load_b32 v8, v7 offset:192
	s_waitcnt lgkmcnt(0)
	v_add_f32_e32 v3, v3, v8
	s_or_b32 exec_lo, exec_lo, s0
	s_and_saveexec_b32 s0, vcc_lo
	s_cbranch_execz .LBB220_449
.LBB220_464:
	ds_load_b32 v8, v7 offset:256
	s_waitcnt lgkmcnt(0)
	v_add_f32_e32 v2, v2, v8
	s_or_b32 exec_lo, exec_lo, s0
	s_and_saveexec_b32 s0, vcc_lo
	s_cbranch_execnz .LBB220_450
	s_branch .LBB220_451
	.section	.rodata,"a",@progbits
	.p2align	6, 0x0
	.amdhsa_kernel _ZN4vllm25paged_attention_v2_kernelIfhLi96ELi8ELi128ELNS_18Fp8KVCacheDataTypeE1ELb0ELi512EEEvPfS2_PT_PKS3_PKT0_S9_ifPKiSB_iPKfiiiSD_SD_iiiii
		.amdhsa_group_segment_fixed_size 416
		.amdhsa_private_segment_fixed_size 0
		.amdhsa_kernarg_size 400
		.amdhsa_user_sgpr_count 13
		.amdhsa_user_sgpr_dispatch_ptr 0
		.amdhsa_user_sgpr_queue_ptr 0
		.amdhsa_user_sgpr_kernarg_segment_ptr 1
		.amdhsa_user_sgpr_dispatch_id 0
		.amdhsa_user_sgpr_private_segment_size 0
		.amdhsa_wavefront_size32 1
		.amdhsa_uses_dynamic_stack 0
		.amdhsa_enable_private_segment 0
		.amdhsa_system_sgpr_workgroup_id_x 1
		.amdhsa_system_sgpr_workgroup_id_y 1
		.amdhsa_system_sgpr_workgroup_id_z 1
		.amdhsa_system_sgpr_workgroup_info 0
		.amdhsa_system_vgpr_workitem_id 0
		.amdhsa_next_free_vgpr 72
		.amdhsa_next_free_sgpr 42
		.amdhsa_reserve_vcc 1
		.amdhsa_float_round_mode_32 0
		.amdhsa_float_round_mode_16_64 0
		.amdhsa_float_denorm_mode_32 3
		.amdhsa_float_denorm_mode_16_64 3
		.amdhsa_dx10_clamp 1
		.amdhsa_ieee_mode 1
		.amdhsa_fp16_overflow 0
		.amdhsa_workgroup_processor_mode 1
		.amdhsa_memory_ordered 1
		.amdhsa_forward_progress 0
		.amdhsa_shared_vgpr_count 0
		.amdhsa_exception_fp_ieee_invalid_op 0
		.amdhsa_exception_fp_denorm_src 0
		.amdhsa_exception_fp_ieee_div_zero 0
		.amdhsa_exception_fp_ieee_overflow 0
		.amdhsa_exception_fp_ieee_underflow 0
		.amdhsa_exception_fp_ieee_inexact 0
		.amdhsa_exception_int_div_zero 0
	.end_amdhsa_kernel
	.section	.text._ZN4vllm25paged_attention_v2_kernelIfhLi96ELi8ELi128ELNS_18Fp8KVCacheDataTypeE1ELb0ELi512EEEvPfS2_PT_PKS3_PKT0_S9_ifPKiSB_iPKfiiiSD_SD_iiiii,"axG",@progbits,_ZN4vllm25paged_attention_v2_kernelIfhLi96ELi8ELi128ELNS_18Fp8KVCacheDataTypeE1ELb0ELi512EEEvPfS2_PT_PKS3_PKT0_S9_ifPKiSB_iPKfiiiSD_SD_iiiii,comdat
.Lfunc_end220:
	.size	_ZN4vllm25paged_attention_v2_kernelIfhLi96ELi8ELi128ELNS_18Fp8KVCacheDataTypeE1ELb0ELi512EEEvPfS2_PT_PKS3_PKT0_S9_ifPKiSB_iPKfiiiSD_SD_iiiii, .Lfunc_end220-_ZN4vllm25paged_attention_v2_kernelIfhLi96ELi8ELi128ELNS_18Fp8KVCacheDataTypeE1ELb0ELi512EEEvPfS2_PT_PKS3_PKT0_S9_ifPKiSB_iPKfiiiSD_SD_iiiii
                                        ; -- End function
	.section	.AMDGPU.csdata,"",@progbits
; Kernel info:
; codeLenInByte = 15536
; NumSgprs: 44
; NumVgprs: 72
; ScratchSize: 0
; MemoryBound: 0
; FloatMode: 240
; IeeeMode: 1
; LDSByteSize: 416 bytes/workgroup (compile time only)
; SGPRBlocks: 5
; VGPRBlocks: 8
; NumSGPRsForWavesPerEU: 44
; NumVGPRsForWavesPerEU: 72
; Occupancy: 16
; WaveLimiterHint : 1
; COMPUTE_PGM_RSRC2:SCRATCH_EN: 0
; COMPUTE_PGM_RSRC2:USER_SGPR: 13
; COMPUTE_PGM_RSRC2:TRAP_HANDLER: 0
; COMPUTE_PGM_RSRC2:TGID_X_EN: 1
; COMPUTE_PGM_RSRC2:TGID_Y_EN: 1
; COMPUTE_PGM_RSRC2:TGID_Z_EN: 1
; COMPUTE_PGM_RSRC2:TIDIG_COMP_CNT: 0
	.section	.text._ZN4vllm25paged_attention_v2_kernelIfhLi112ELi8ELi128ELNS_18Fp8KVCacheDataTypeE1ELb0ELi512EEEvPfS2_PT_PKS3_PKT0_S9_ifPKiSB_iPKfiiiSD_SD_iiiii,"axG",@progbits,_ZN4vllm25paged_attention_v2_kernelIfhLi112ELi8ELi128ELNS_18Fp8KVCacheDataTypeE1ELb0ELi512EEEvPfS2_PT_PKS3_PKT0_S9_ifPKiSB_iPKfiiiSD_SD_iiiii,comdat
	.protected	_ZN4vllm25paged_attention_v2_kernelIfhLi112ELi8ELi128ELNS_18Fp8KVCacheDataTypeE1ELb0ELi512EEEvPfS2_PT_PKS3_PKT0_S9_ifPKiSB_iPKfiiiSD_SD_iiiii ; -- Begin function _ZN4vllm25paged_attention_v2_kernelIfhLi112ELi8ELi128ELNS_18Fp8KVCacheDataTypeE1ELb0ELi512EEEvPfS2_PT_PKS3_PKT0_S9_ifPKiSB_iPKfiiiSD_SD_iiiii
	.globl	_ZN4vllm25paged_attention_v2_kernelIfhLi112ELi8ELi128ELNS_18Fp8KVCacheDataTypeE1ELb0ELi512EEEvPfS2_PT_PKS3_PKT0_S9_ifPKiSB_iPKfiiiSD_SD_iiiii
	.p2align	8
	.type	_ZN4vllm25paged_attention_v2_kernelIfhLi112ELi8ELi128ELNS_18Fp8KVCacheDataTypeE1ELb0ELi512EEEvPfS2_PT_PKS3_PKT0_S9_ifPKiSB_iPKfiiiSD_SD_iiiii,@function
_ZN4vllm25paged_attention_v2_kernelIfhLi112ELi8ELi128ELNS_18Fp8KVCacheDataTypeE1ELb0ELi512EEEvPfS2_PT_PKS3_PKT0_S9_ifPKiSB_iPKfiiiSD_SD_iiiii: ; @_ZN4vllm25paged_attention_v2_kernelIfhLi112ELi8ELi128ELNS_18Fp8KVCacheDataTypeE1ELb0ELi512EEEvPfS2_PT_PKS3_PKT0_S9_ifPKiSB_iPKfiiiSD_SD_iiiii
; %bb.0:
	s_load_b64 s[2:3], s[0:1], 0x40
	s_mov_b32 s12, s15
	s_ashr_i32 s15, s14, 31
	s_delay_alu instid0(SALU_CYCLE_1)
	s_lshl_b64 s[4:5], s[14:15], 2
	s_waitcnt lgkmcnt(0)
	s_add_u32 s2, s2, s4
	s_addc_u32 s3, s3, s5
	s_lshl_b32 s36, s12, 9
	s_load_b32 s33, s[2:3], 0x0
	s_waitcnt lgkmcnt(0)
	s_cmp_ge_i32 s36, s33
	s_cbranch_scc1 .LBB221_522
; %bb.1:
	s_mov_b32 s24, s13
	s_clause 0x1
	s_load_b32 s13, s[0:1], 0x90
	s_load_b64 s[34:35], s[0:1], 0x30
	s_mov_b32 s37, 0
	s_waitcnt lgkmcnt(0)
	s_abs_i32 s5, s13
	s_abs_i32 s2, s34
	s_delay_alu instid0(SALU_CYCLE_1) | instskip(SKIP_1) | instid1(VALU_DEP_1)
	v_cvt_f32_u32_e32 v1, s2
	s_sub_i32 s4, 0, s2
	v_rcp_iflag_f32_e32 v1, v1
	s_waitcnt_depctr 0xfff
	v_mul_f32_e32 v1, 0x4f7ffffe, v1
	s_delay_alu instid0(VALU_DEP_1) | instskip(NEXT) | instid1(VALU_DEP_1)
	v_cvt_u32_f32_e32 v1, v1
	v_readfirstlane_b32 s3, v1
	s_delay_alu instid0(VALU_DEP_1) | instskip(NEXT) | instid1(SALU_CYCLE_1)
	s_mul_i32 s4, s4, s3
	s_mul_hi_u32 s4, s3, s4
	s_delay_alu instid0(SALU_CYCLE_1) | instskip(SKIP_4) | instid1(SALU_CYCLE_1)
	s_add_i32 s3, s3, s4
	s_xor_b32 s4, s13, s34
	s_mul_hi_u32 s3, s5, s3
	s_ashr_i32 s4, s4, 31
	s_mul_i32 s6, s3, s2
	s_sub_i32 s5, s5, s6
	s_add_i32 s6, s3, 1
	s_sub_i32 s7, s5, s2
	s_cmp_ge_u32 s5, s2
	s_cselect_b32 s3, s6, s3
	s_cselect_b32 s5, s7, s5
	s_add_i32 s6, s3, 1
	s_cmp_ge_u32 s5, s2
	s_cselect_b32 s2, s6, s3
	s_abs_i32 s10, s24
	s_xor_b32 s2, s2, s4
	s_delay_alu instid0(SALU_CYCLE_1) | instskip(SKIP_2) | instid1(SALU_CYCLE_1)
	s_sub_i32 s11, s2, s4
	s_load_b64 s[2:3], s[0:1], 0x50
	s_abs_i32 s8, s11
	v_cvt_f32_u32_e32 v1, s8
	s_sub_i32 s5, 0, s8
	s_delay_alu instid0(VALU_DEP_1) | instskip(SKIP_2) | instid1(VALU_DEP_1)
	v_rcp_iflag_f32_e32 v1, v1
	s_waitcnt_depctr 0xfff
	v_mul_f32_e32 v1, 0x4f7ffffe, v1
	v_cvt_u32_f32_e32 v1, v1
	s_delay_alu instid0(VALU_DEP_1) | instskip(NEXT) | instid1(VALU_DEP_1)
	v_readfirstlane_b32 s4, v1
	s_mul_i32 s5, s5, s4
	s_delay_alu instid0(SALU_CYCLE_1) | instskip(NEXT) | instid1(SALU_CYCLE_1)
	s_mul_hi_u32 s5, s4, s5
	s_add_i32 s4, s4, s5
	s_waitcnt lgkmcnt(0)
	s_cmp_eq_u64 s[2:3], 0
	s_mul_hi_u32 s9, s10, s4
	s_cbranch_scc1 .LBB221_3
; %bb.2:
	s_ashr_i32 s25, s24, 31
	s_delay_alu instid0(SALU_CYCLE_1) | instskip(NEXT) | instid1(SALU_CYCLE_1)
	s_lshl_b64 s[4:5], s[24:25], 2
	s_add_u32 s2, s2, s4
	s_addc_u32 s3, s3, s5
	s_load_b32 s37, s[2:3], 0x0
.LBB221_3:
	s_load_b128 s[4:7], s[0:1], 0x58
	v_and_b32_e32 v44, 3, v0
	v_lshlrev_b32_e32 v42, 2, v0
	s_ashr_i32 s2, s24, 31
	s_ashr_i32 s3, s11, 31
	s_mul_i32 s20, s24, 0x70
	s_waitcnt lgkmcnt(0)
	s_mov_b32 s7, exec_lo
	v_cmpx_gt_u32_e32 0x70, v0
	s_cbranch_execz .LBB221_5
; %bb.4:
	s_load_b64 s[16:17], s[0:1], 0x18
	s_mul_i32 s18, s14, s4
	v_and_b32_e32 v2, 0x3fc, v0
	s_ashr_i32 s19, s18, 31
	s_delay_alu instid0(SALU_CYCLE_1) | instskip(NEXT) | instid1(VALU_DEP_1)
	s_lshl_b64 s[18:19], s[18:19], 2
	v_mad_u32_u24 v2, 0x70, v44, v2
	s_waitcnt lgkmcnt(0)
	s_add_u32 s4, s16, s18
	s_addc_u32 s11, s17, s19
	s_ashr_i32 s21, s20, 31
	s_delay_alu instid0(SALU_CYCLE_1) | instskip(NEXT) | instid1(SALU_CYCLE_1)
	s_lshl_b64 s[16:17], s[20:21], 2
	s_add_u32 s16, s4, s16
	s_addc_u32 s17, s11, s17
	global_load_b32 v1, v42, s[16:17]
	s_waitcnt vmcnt(0)
	ds_store_b32 v2, v1
.LBB221_5:
	s_or_b32 exec_lo, exec_lo, s7
	s_add_i32 s7, s33, 7
	s_lshl_b32 s4, s12, 6
	s_ashr_i32 s11, s7, 31
	s_xor_b32 s2, s2, s3
	s_lshr_b32 s11, s11, 29
	s_add_i32 s3, s4, 64
	s_add_i32 s7, s7, s11
	v_lshrrev_b32_e32 v41, 5, v0
	s_ashr_i32 s25, s7, 3
	s_mul_i32 s7, s9, s8
	s_min_i32 s21, s3, s25
	s_clause 0x1
	s_load_b64 s[26:27], s[0:1], 0x38
	s_load_b32 s3, s[0:1], 0x48
	s_sub_i32 s7, s10, s7
	s_add_i32 s10, s9, 1
	s_sub_i32 s11, s7, s8
	s_cmp_ge_u32 s7, s8
	v_or_b32_e32 v29, s4, v41
	s_cselect_b32 s9, s10, s9
	s_cselect_b32 s7, s11, s7
	s_add_i32 s10, s9, 1
	s_cmp_ge_u32 s7, s8
	v_mbcnt_lo_u32_b32 v43, -1, 0
	s_cselect_b32 s7, s10, s9
	s_waitcnt lgkmcnt(0)
	s_xor_b32 s7, s7, s2
	s_barrier
	s_sub_i32 s34, s7, s2
	v_cmp_gt_i32_e64 s2, s21, v29
	s_mov_b32 s7, exec_lo
	buffer_gl0_inv
                                        ; implicit-def: $vgpr45
	s_mul_i32 s28, s14, s3
                                        ; implicit-def: $sgpr3
	s_delay_alu instid0(SALU_CYCLE_1)
	s_ashr_i32 s29, s28, 31
	v_cmpx_le_i32_e64 s21, v29
	s_xor_b32 s7, exec_lo, s7
; %bb.6:
	v_mbcnt_lo_u32_b32 v43, -1, 0
	v_mov_b32_e32 v45, 32
	s_mov_b32 s3, 0xff7fffff
                                        ; implicit-def: $vgpr44
; %bb.7:
	s_or_saveexec_b32 s7, s7
	s_clause 0x4
	s_load_b128 s[16:19], s[0:1], 0x0
	s_load_b64 s[22:23], s[0:1], 0x10
	s_load_b32 s15, s[0:1], 0x98
	s_load_b64 s[30:31], s[0:1], 0x28
	s_load_b128 s[8:11], s[0:1], 0x68
	v_mov_b32_e32 v46, s3
	v_ashrrev_i32_e32 v30, 31, v29
	s_mul_i32 s34, s34, s6
	s_xor_b32 exec_lo, exec_lo, s7
	s_cbranch_execz .LBB221_237
; %bb.8:
	s_load_b64 s[0:1], s[0:1], 0x20
	v_xor_b32_e32 v26, 2, v43
	v_xor_b32_e32 v27, 1, v43
	v_bfe_u32 v31, v0, 2, 3
	v_mul_u32_u24_e32 v25, 0x70, v44
	ds_load_b128 v[1:4], v25
	ds_load_b128 v[5:8], v25 offset:16
	ds_load_b128 v[9:12], v25 offset:32
	;; [unrolled: 1-line block ×5, first 2 shown]
	v_cmp_gt_i32_e32 vcc_lo, 32, v26
	v_mov_b32_e32 v32, 0
	v_dual_mov_b32 v45, 32 :: v_dual_lshlrev_b32 v28, 4, v31
	s_ashr_i32 s3, s34, 31
	v_cndmask_b32_e32 v35, v43, v26, vcc_lo
	v_cmp_gt_i32_e32 vcc_lo, 32, v27
	s_waitcnt lgkmcnt(0)
	s_load_b32 s6, s[8:9], 0x0
	v_dual_mov_b32 v51, v29 :: v_dual_mov_b32 v46, 0xff7fffff
	s_add_u32 s0, s0, s34
	v_cndmask_b32_e32 v36, v43, v27, vcc_lo
	v_add_co_u32 v33, s0, s0, v28
	ds_load_b128 v[25:28], v25 offset:96
	v_lshlrev_b32_e32 v47, 2, v35
	v_lshlrev_b32_e32 v48, 2, v36
	;; [unrolled: 1-line block ×4, first 2 shown]
	s_addc_u32 s1, s1, s3
	s_lshl_b64 s[38:39], s[28:29], 2
	s_sub_i32 s8, 1, s33
	v_lshl_or_b32 v37, v41, 5, v35
	v_add3_u32 v49, s36, v36, v31
	v_lshlrev_b64 v[35:36], 2, v[29:30]
	v_add_co_ci_u32_e64 v34, null, s1, 0, s0
	s_add_u32 s1, s26, s38
	s_addc_u32 s3, s27, s39
	v_cmp_eq_u32_e32 vcc_lo, 0, v44
	s_delay_alu instid0(VALU_DEP_3)
	v_add_co_u32 v35, s1, s1, v35
	v_cmp_neq_f32_e64 s0, s37, 0
	v_add_nc_u32_e32 v50, 0x1e0, v37
	v_add_co_ci_u32_e64 v36, s1, s3, v36, s1
	s_mov_b32 s38, s5
	s_mov_b32 s9, 0
	s_branch .LBB221_10
.LBB221_9:                              ;   in Loop: Header=BB221_10 Depth=1
	s_or_b32 exec_lo, exec_lo, s3
	v_add_nc_u32_e32 v51, 4, v51
	v_add_co_u32 v35, s3, v35, 16
	v_add_nc_u32_e32 v49, 32, v49
	v_add_nc_u32_e32 v50, 0x80, v50
	s_delay_alu instid0(VALU_DEP_4) | instskip(SKIP_1) | instid1(VALU_DEP_2)
	v_cmp_le_i32_e64 s1, s21, v51
	v_add_co_ci_u32_e64 v36, s3, 0, v36, s3
	s_or_b32 s9, s1, s9
	s_delay_alu instid0(SALU_CYCLE_1)
	s_and_not1_b32 exec_lo, exec_lo, s9
	s_cbranch_execz .LBB221_236
.LBB221_10:                             ; =>This Inner Loop Header: Depth=1
	global_load_b32 v31, v[35:36], off
	v_mov_b32_e32 v52, 0
	s_mov_b32 s3, exec_lo
	s_waitcnt vmcnt(0) lgkmcnt(0)
	v_mad_i64_i32 v[37:38], null, v31, s38, v[33:34]
	s_delay_alu instid0(VALU_DEP_1) | instskip(NEXT) | instid1(VALU_DEP_1)
	v_add_co_u32 v37, s1, v37, v44
	v_add_co_ci_u32_e64 v38, s1, 0, v38, s1
	global_load_u8 v39, v[37:38], off
	s_waitcnt vmcnt(0)
	v_cmpx_ne_u16_e32 0, v39
	s_cbranch_execz .LBB221_18
; %bb.11:                               ;   in Loop: Header=BB221_10 Depth=1
	v_bfrev_b32_e32 v52, 1
	s_mov_b32 s39, exec_lo
	v_cmpx_ne_u16_e32 0x80, v39
	s_cbranch_execz .LBB221_17
; %bb.12:                               ;   in Loop: Header=BB221_10 Depth=1
	v_and_b32_e32 v31, 0xffff, v39
	v_mov_b32_e32 v52, 0x7f800001
	s_mov_b32 s40, exec_lo
	s_delay_alu instid0(VALU_DEP_2) | instskip(NEXT) | instid1(VALU_DEP_1)
	v_and_b32_e32 v53, 0x7f, v31
	v_cmpx_ne_u32_e32 0x7f, v53
	s_cbranch_execz .LBB221_16
; %bb.13:                               ;   in Loop: Header=BB221_10 Depth=1
	v_and_b32_e32 v31, 7, v31
	v_lshrrev_b32_e32 v40, 3, v53
	s_mov_b32 s41, exec_lo
	v_cmpx_gt_u32_e32 8, v53
; %bb.14:                               ;   in Loop: Header=BB221_10 Depth=1
	s_delay_alu instid0(VALU_DEP_3) | instskip(NEXT) | instid1(VALU_DEP_1)
	v_clz_i32_u32_e32 v40, v31
	v_min_u32_e32 v40, 32, v40
	s_delay_alu instid0(VALU_DEP_1) | instskip(SKIP_1) | instid1(VALU_DEP_2)
	v_subrev_nc_u32_e32 v52, 28, v40
	v_sub_nc_u32_e32 v40, 29, v40
	v_lshlrev_b64 v[52:53], v52, v[31:32]
	s_delay_alu instid0(VALU_DEP_1)
	v_and_b32_e32 v31, 7, v52
; %bb.15:                               ;   in Loop: Header=BB221_10 Depth=1
	s_or_b32 exec_lo, exec_lo, s41
	v_lshlrev_b32_e32 v39, 24, v39
	s_delay_alu instid0(VALU_DEP_2) | instskip(SKIP_1) | instid1(VALU_DEP_3)
	v_lshlrev_b32_e32 v31, 20, v31
	v_lshl_add_u32 v40, v40, 23, 0x3c000000
	v_and_b32_e32 v39, 0x80000000, v39
	s_delay_alu instid0(VALU_DEP_1)
	v_or3_b32 v52, v31, v39, v40
.LBB221_16:                             ;   in Loop: Header=BB221_10 Depth=1
	s_or_b32 exec_lo, exec_lo, s40
.LBB221_17:                             ;   in Loop: Header=BB221_10 Depth=1
	s_delay_alu instid0(SALU_CYCLE_1)
	s_or_b32 exec_lo, exec_lo, s39
.LBB221_18:                             ;   in Loop: Header=BB221_10 Depth=1
	s_delay_alu instid0(SALU_CYCLE_1)
	s_or_b32 exec_lo, exec_lo, s3
	global_load_u8 v39, v[37:38], off offset:4
	v_dual_mov_b32 v53, 0 :: v_dual_mov_b32 v54, 0
	s_mov_b32 s3, exec_lo
	s_waitcnt vmcnt(0)
	v_cmpx_ne_u16_e32 0, v39
	s_cbranch_execz .LBB221_26
; %bb.19:                               ;   in Loop: Header=BB221_10 Depth=1
	v_bfrev_b32_e32 v54, 1
	s_mov_b32 s39, exec_lo
	v_cmpx_ne_u16_e32 0x80, v39
	s_cbranch_execz .LBB221_25
; %bb.20:                               ;   in Loop: Header=BB221_10 Depth=1
	v_and_b32_e32 v31, 0xffff, v39
	v_mov_b32_e32 v54, 0x7f800001
	s_mov_b32 s40, exec_lo
	s_delay_alu instid0(VALU_DEP_2) | instskip(NEXT) | instid1(VALU_DEP_1)
	v_and_b32_e32 v55, 0x7f, v31
	v_cmpx_ne_u32_e32 0x7f, v55
	s_cbranch_execz .LBB221_24
; %bb.21:                               ;   in Loop: Header=BB221_10 Depth=1
	v_and_b32_e32 v31, 7, v31
	v_lshrrev_b32_e32 v40, 3, v55
	s_mov_b32 s41, exec_lo
	v_cmpx_gt_u32_e32 8, v55
; %bb.22:                               ;   in Loop: Header=BB221_10 Depth=1
	s_delay_alu instid0(VALU_DEP_3) | instskip(NEXT) | instid1(VALU_DEP_1)
	v_clz_i32_u32_e32 v40, v31
	v_min_u32_e32 v40, 32, v40
	s_delay_alu instid0(VALU_DEP_1) | instskip(SKIP_1) | instid1(VALU_DEP_2)
	v_subrev_nc_u32_e32 v54, 28, v40
	v_sub_nc_u32_e32 v40, 29, v40
	v_lshlrev_b64 v[54:55], v54, v[31:32]
	s_delay_alu instid0(VALU_DEP_1)
	v_and_b32_e32 v31, 7, v54
; %bb.23:                               ;   in Loop: Header=BB221_10 Depth=1
	s_or_b32 exec_lo, exec_lo, s41
	v_lshlrev_b32_e32 v39, 24, v39
	s_delay_alu instid0(VALU_DEP_2) | instskip(SKIP_1) | instid1(VALU_DEP_3)
	v_lshlrev_b32_e32 v31, 20, v31
	v_lshl_add_u32 v40, v40, 23, 0x3c000000
	v_and_b32_e32 v39, 0x80000000, v39
	s_delay_alu instid0(VALU_DEP_1)
	v_or3_b32 v54, v31, v39, v40
.LBB221_24:                             ;   in Loop: Header=BB221_10 Depth=1
	s_or_b32 exec_lo, exec_lo, s40
.LBB221_25:                             ;   in Loop: Header=BB221_10 Depth=1
	s_delay_alu instid0(SALU_CYCLE_1)
	s_or_b32 exec_lo, exec_lo, s39
.LBB221_26:                             ;   in Loop: Header=BB221_10 Depth=1
	s_delay_alu instid0(SALU_CYCLE_1)
	s_or_b32 exec_lo, exec_lo, s3
	global_load_u8 v39, v[37:38], off offset:8
	s_mov_b32 s3, exec_lo
	s_waitcnt vmcnt(0)
	v_cmpx_ne_u16_e32 0, v39
	s_cbranch_execz .LBB221_34
; %bb.27:                               ;   in Loop: Header=BB221_10 Depth=1
	v_bfrev_b32_e32 v53, 1
	s_mov_b32 s39, exec_lo
	v_cmpx_ne_u16_e32 0x80, v39
	s_cbranch_execz .LBB221_33
; %bb.28:                               ;   in Loop: Header=BB221_10 Depth=1
	v_and_b32_e32 v31, 0xffff, v39
	v_mov_b32_e32 v53, 0x7f800001
	s_mov_b32 s40, exec_lo
	s_delay_alu instid0(VALU_DEP_2) | instskip(NEXT) | instid1(VALU_DEP_1)
	v_and_b32_e32 v55, 0x7f, v31
	v_cmpx_ne_u32_e32 0x7f, v55
	s_cbranch_execz .LBB221_32
; %bb.29:                               ;   in Loop: Header=BB221_10 Depth=1
	v_and_b32_e32 v31, 7, v31
	v_lshrrev_b32_e32 v40, 3, v55
	s_mov_b32 s41, exec_lo
	v_cmpx_gt_u32_e32 8, v55
; %bb.30:                               ;   in Loop: Header=BB221_10 Depth=1
	s_delay_alu instid0(VALU_DEP_3) | instskip(NEXT) | instid1(VALU_DEP_1)
	v_clz_i32_u32_e32 v40, v31
	v_min_u32_e32 v40, 32, v40
	s_delay_alu instid0(VALU_DEP_1) | instskip(SKIP_1) | instid1(VALU_DEP_2)
	v_subrev_nc_u32_e32 v53, 28, v40
	v_sub_nc_u32_e32 v40, 29, v40
	v_lshlrev_b64 v[55:56], v53, v[31:32]
	s_delay_alu instid0(VALU_DEP_1)
	v_and_b32_e32 v31, 7, v55
; %bb.31:                               ;   in Loop: Header=BB221_10 Depth=1
	s_or_b32 exec_lo, exec_lo, s41
	v_lshlrev_b32_e32 v39, 24, v39
	s_delay_alu instid0(VALU_DEP_2) | instskip(SKIP_1) | instid1(VALU_DEP_3)
	v_lshlrev_b32_e32 v31, 20, v31
	v_lshl_add_u32 v40, v40, 23, 0x3c000000
	v_and_b32_e32 v39, 0x80000000, v39
	s_delay_alu instid0(VALU_DEP_1)
	v_or3_b32 v53, v31, v39, v40
.LBB221_32:                             ;   in Loop: Header=BB221_10 Depth=1
	s_or_b32 exec_lo, exec_lo, s40
.LBB221_33:                             ;   in Loop: Header=BB221_10 Depth=1
	s_delay_alu instid0(SALU_CYCLE_1)
	s_or_b32 exec_lo, exec_lo, s39
.LBB221_34:                             ;   in Loop: Header=BB221_10 Depth=1
	s_delay_alu instid0(SALU_CYCLE_1)
	s_or_b32 exec_lo, exec_lo, s3
	global_load_u8 v39, v[37:38], off offset:12
	v_dual_mov_b32 v55, 0 :: v_dual_mov_b32 v56, 0
	s_mov_b32 s3, exec_lo
	s_waitcnt vmcnt(0)
	v_cmpx_ne_u16_e32 0, v39
	s_cbranch_execz .LBB221_42
; %bb.35:                               ;   in Loop: Header=BB221_10 Depth=1
	v_bfrev_b32_e32 v56, 1
	s_mov_b32 s39, exec_lo
	v_cmpx_ne_u16_e32 0x80, v39
	s_cbranch_execz .LBB221_41
; %bb.36:                               ;   in Loop: Header=BB221_10 Depth=1
	v_and_b32_e32 v31, 0xffff, v39
	v_mov_b32_e32 v56, 0x7f800001
	s_mov_b32 s40, exec_lo
	s_delay_alu instid0(VALU_DEP_2) | instskip(NEXT) | instid1(VALU_DEP_1)
	v_and_b32_e32 v57, 0x7f, v31
	v_cmpx_ne_u32_e32 0x7f, v57
	s_cbranch_execz .LBB221_40
; %bb.37:                               ;   in Loop: Header=BB221_10 Depth=1
	v_and_b32_e32 v31, 7, v31
	v_lshrrev_b32_e32 v40, 3, v57
	s_mov_b32 s41, exec_lo
	v_cmpx_gt_u32_e32 8, v57
; %bb.38:                               ;   in Loop: Header=BB221_10 Depth=1
	s_delay_alu instid0(VALU_DEP_3) | instskip(NEXT) | instid1(VALU_DEP_1)
	v_clz_i32_u32_e32 v40, v31
	v_min_u32_e32 v40, 32, v40
	s_delay_alu instid0(VALU_DEP_1) | instskip(SKIP_1) | instid1(VALU_DEP_2)
	v_subrev_nc_u32_e32 v56, 28, v40
	v_sub_nc_u32_e32 v40, 29, v40
	v_lshlrev_b64 v[56:57], v56, v[31:32]
	s_delay_alu instid0(VALU_DEP_1)
	v_and_b32_e32 v31, 7, v56
; %bb.39:                               ;   in Loop: Header=BB221_10 Depth=1
	s_or_b32 exec_lo, exec_lo, s41
	v_lshlrev_b32_e32 v39, 24, v39
	s_delay_alu instid0(VALU_DEP_2) | instskip(SKIP_1) | instid1(VALU_DEP_3)
	v_lshlrev_b32_e32 v31, 20, v31
	v_lshl_add_u32 v40, v40, 23, 0x3c000000
	v_and_b32_e32 v39, 0x80000000, v39
	s_delay_alu instid0(VALU_DEP_1)
	v_or3_b32 v56, v31, v39, v40
.LBB221_40:                             ;   in Loop: Header=BB221_10 Depth=1
	s_or_b32 exec_lo, exec_lo, s40
.LBB221_41:                             ;   in Loop: Header=BB221_10 Depth=1
	s_delay_alu instid0(SALU_CYCLE_1)
	s_or_b32 exec_lo, exec_lo, s39
.LBB221_42:                             ;   in Loop: Header=BB221_10 Depth=1
	s_delay_alu instid0(SALU_CYCLE_1)
	s_or_b32 exec_lo, exec_lo, s3
	global_load_u8 v39, v[37:38], off offset:128
	s_mov_b32 s3, exec_lo
	s_waitcnt vmcnt(0)
	v_cmpx_ne_u16_e32 0, v39
	s_cbranch_execz .LBB221_50
; %bb.43:                               ;   in Loop: Header=BB221_10 Depth=1
	v_bfrev_b32_e32 v55, 1
	s_mov_b32 s39, exec_lo
	v_cmpx_ne_u16_e32 0x80, v39
	s_cbranch_execz .LBB221_49
; %bb.44:                               ;   in Loop: Header=BB221_10 Depth=1
	v_and_b32_e32 v31, 0xffff, v39
	v_mov_b32_e32 v55, 0x7f800001
	s_mov_b32 s40, exec_lo
	s_delay_alu instid0(VALU_DEP_2) | instskip(NEXT) | instid1(VALU_DEP_1)
	v_and_b32_e32 v57, 0x7f, v31
	v_cmpx_ne_u32_e32 0x7f, v57
	s_cbranch_execz .LBB221_48
; %bb.45:                               ;   in Loop: Header=BB221_10 Depth=1
	v_and_b32_e32 v31, 7, v31
	v_lshrrev_b32_e32 v40, 3, v57
	s_mov_b32 s41, exec_lo
	v_cmpx_gt_u32_e32 8, v57
; %bb.46:                               ;   in Loop: Header=BB221_10 Depth=1
	s_delay_alu instid0(VALU_DEP_3) | instskip(NEXT) | instid1(VALU_DEP_1)
	v_clz_i32_u32_e32 v40, v31
	v_min_u32_e32 v40, 32, v40
	s_delay_alu instid0(VALU_DEP_1) | instskip(SKIP_1) | instid1(VALU_DEP_2)
	v_subrev_nc_u32_e32 v55, 28, v40
	v_sub_nc_u32_e32 v40, 29, v40
	v_lshlrev_b64 v[57:58], v55, v[31:32]
	s_delay_alu instid0(VALU_DEP_1)
	v_and_b32_e32 v31, 7, v57
; %bb.47:                               ;   in Loop: Header=BB221_10 Depth=1
	s_or_b32 exec_lo, exec_lo, s41
	v_lshlrev_b32_e32 v39, 24, v39
	s_delay_alu instid0(VALU_DEP_2) | instskip(SKIP_1) | instid1(VALU_DEP_3)
	v_lshlrev_b32_e32 v31, 20, v31
	v_lshl_add_u32 v40, v40, 23, 0x3c000000
	v_and_b32_e32 v39, 0x80000000, v39
	s_delay_alu instid0(VALU_DEP_1)
	v_or3_b32 v55, v31, v39, v40
.LBB221_48:                             ;   in Loop: Header=BB221_10 Depth=1
	s_or_b32 exec_lo, exec_lo, s40
.LBB221_49:                             ;   in Loop: Header=BB221_10 Depth=1
	s_delay_alu instid0(SALU_CYCLE_1)
	s_or_b32 exec_lo, exec_lo, s39
.LBB221_50:                             ;   in Loop: Header=BB221_10 Depth=1
	s_delay_alu instid0(SALU_CYCLE_1)
	s_or_b32 exec_lo, exec_lo, s3
	global_load_u8 v39, v[37:38], off offset:132
	v_dual_mov_b32 v57, 0 :: v_dual_mov_b32 v58, 0
	s_mov_b32 s3, exec_lo
	s_waitcnt vmcnt(0)
	v_cmpx_ne_u16_e32 0, v39
	s_cbranch_execz .LBB221_58
; %bb.51:                               ;   in Loop: Header=BB221_10 Depth=1
	v_bfrev_b32_e32 v58, 1
	s_mov_b32 s39, exec_lo
	v_cmpx_ne_u16_e32 0x80, v39
	s_cbranch_execz .LBB221_57
; %bb.52:                               ;   in Loop: Header=BB221_10 Depth=1
	v_and_b32_e32 v31, 0xffff, v39
	v_mov_b32_e32 v58, 0x7f800001
	s_mov_b32 s40, exec_lo
	s_delay_alu instid0(VALU_DEP_2) | instskip(NEXT) | instid1(VALU_DEP_1)
	v_and_b32_e32 v59, 0x7f, v31
	v_cmpx_ne_u32_e32 0x7f, v59
	s_cbranch_execz .LBB221_56
; %bb.53:                               ;   in Loop: Header=BB221_10 Depth=1
	v_and_b32_e32 v31, 7, v31
	v_lshrrev_b32_e32 v40, 3, v59
	s_mov_b32 s41, exec_lo
	v_cmpx_gt_u32_e32 8, v59
; %bb.54:                               ;   in Loop: Header=BB221_10 Depth=1
	s_delay_alu instid0(VALU_DEP_3) | instskip(NEXT) | instid1(VALU_DEP_1)
	v_clz_i32_u32_e32 v40, v31
	v_min_u32_e32 v40, 32, v40
	s_delay_alu instid0(VALU_DEP_1) | instskip(SKIP_1) | instid1(VALU_DEP_2)
	v_subrev_nc_u32_e32 v58, 28, v40
	v_sub_nc_u32_e32 v40, 29, v40
	v_lshlrev_b64 v[58:59], v58, v[31:32]
	s_delay_alu instid0(VALU_DEP_1)
	v_and_b32_e32 v31, 7, v58
; %bb.55:                               ;   in Loop: Header=BB221_10 Depth=1
	s_or_b32 exec_lo, exec_lo, s41
	v_lshlrev_b32_e32 v39, 24, v39
	s_delay_alu instid0(VALU_DEP_2) | instskip(SKIP_1) | instid1(VALU_DEP_3)
	v_lshlrev_b32_e32 v31, 20, v31
	v_lshl_add_u32 v40, v40, 23, 0x3c000000
	v_and_b32_e32 v39, 0x80000000, v39
	s_delay_alu instid0(VALU_DEP_1)
	v_or3_b32 v58, v31, v39, v40
.LBB221_56:                             ;   in Loop: Header=BB221_10 Depth=1
	s_or_b32 exec_lo, exec_lo, s40
.LBB221_57:                             ;   in Loop: Header=BB221_10 Depth=1
	s_delay_alu instid0(SALU_CYCLE_1)
	s_or_b32 exec_lo, exec_lo, s39
.LBB221_58:                             ;   in Loop: Header=BB221_10 Depth=1
	s_delay_alu instid0(SALU_CYCLE_1) | instskip(SKIP_1) | instid1(VALU_DEP_1)
	s_or_b32 exec_lo, exec_lo, s3
	v_add_co_u32 v39, s1, 0x80, v37
	v_add_co_ci_u32_e64 v40, s1, 0, v38, s1
	s_mov_b32 s3, exec_lo
	global_load_u8 v59, v[39:40], off offset:8
	s_waitcnt vmcnt(0)
	v_cmpx_ne_u16_e32 0, v59
	s_cbranch_execz .LBB221_66
; %bb.59:                               ;   in Loop: Header=BB221_10 Depth=1
	v_bfrev_b32_e32 v57, 1
	s_mov_b32 s39, exec_lo
	v_cmpx_ne_u16_e32 0x80, v59
	s_cbranch_execz .LBB221_65
; %bb.60:                               ;   in Loop: Header=BB221_10 Depth=1
	v_and_b32_e32 v31, 0xffff, v59
	v_mov_b32_e32 v57, 0x7f800001
	s_mov_b32 s40, exec_lo
	s_delay_alu instid0(VALU_DEP_2) | instskip(NEXT) | instid1(VALU_DEP_1)
	v_and_b32_e32 v60, 0x7f, v31
	v_cmpx_ne_u32_e32 0x7f, v60
	s_cbranch_execz .LBB221_64
; %bb.61:                               ;   in Loop: Header=BB221_10 Depth=1
	v_and_b32_e32 v31, 7, v31
	v_lshrrev_b32_e32 v57, 3, v60
	s_mov_b32 s41, exec_lo
	v_cmpx_gt_u32_e32 8, v60
; %bb.62:                               ;   in Loop: Header=BB221_10 Depth=1
	s_delay_alu instid0(VALU_DEP_3) | instskip(NEXT) | instid1(VALU_DEP_1)
	v_clz_i32_u32_e32 v57, v31
	v_min_u32_e32 v57, 32, v57
	s_delay_alu instid0(VALU_DEP_1) | instskip(SKIP_1) | instid1(VALU_DEP_2)
	v_subrev_nc_u32_e32 v60, 28, v57
	v_sub_nc_u32_e32 v57, 29, v57
	v_lshlrev_b64 v[60:61], v60, v[31:32]
	s_delay_alu instid0(VALU_DEP_1)
	v_and_b32_e32 v31, 7, v60
; %bb.63:                               ;   in Loop: Header=BB221_10 Depth=1
	s_or_b32 exec_lo, exec_lo, s41
	v_lshlrev_b32_e32 v59, 24, v59
	s_delay_alu instid0(VALU_DEP_2) | instskip(SKIP_1) | instid1(VALU_DEP_3)
	v_lshlrev_b32_e32 v31, 20, v31
	v_lshl_add_u32 v57, v57, 23, 0x3c000000
	v_and_b32_e32 v59, 0x80000000, v59
	s_delay_alu instid0(VALU_DEP_1)
	v_or3_b32 v57, v31, v59, v57
.LBB221_64:                             ;   in Loop: Header=BB221_10 Depth=1
	s_or_b32 exec_lo, exec_lo, s40
.LBB221_65:                             ;   in Loop: Header=BB221_10 Depth=1
	s_delay_alu instid0(SALU_CYCLE_1)
	s_or_b32 exec_lo, exec_lo, s39
.LBB221_66:                             ;   in Loop: Header=BB221_10 Depth=1
	s_delay_alu instid0(SALU_CYCLE_1)
	s_or_b32 exec_lo, exec_lo, s3
	global_load_u8 v39, v[39:40], off offset:12
	v_dual_mov_b32 v59, 0 :: v_dual_mov_b32 v60, 0
	s_mov_b32 s3, exec_lo
	s_waitcnt vmcnt(0)
	v_cmpx_ne_u16_e32 0, v39
	s_cbranch_execz .LBB221_74
; %bb.67:                               ;   in Loop: Header=BB221_10 Depth=1
	v_bfrev_b32_e32 v60, 1
	s_mov_b32 s39, exec_lo
	v_cmpx_ne_u16_e32 0x80, v39
	s_cbranch_execz .LBB221_73
; %bb.68:                               ;   in Loop: Header=BB221_10 Depth=1
	v_and_b32_e32 v31, 0xffff, v39
	v_mov_b32_e32 v60, 0x7f800001
	s_mov_b32 s40, exec_lo
	s_delay_alu instid0(VALU_DEP_2) | instskip(NEXT) | instid1(VALU_DEP_1)
	v_and_b32_e32 v61, 0x7f, v31
	v_cmpx_ne_u32_e32 0x7f, v61
	s_cbranch_execz .LBB221_72
; %bb.69:                               ;   in Loop: Header=BB221_10 Depth=1
	v_and_b32_e32 v31, 7, v31
	v_lshrrev_b32_e32 v40, 3, v61
	s_mov_b32 s41, exec_lo
	v_cmpx_gt_u32_e32 8, v61
; %bb.70:                               ;   in Loop: Header=BB221_10 Depth=1
	s_delay_alu instid0(VALU_DEP_3) | instskip(NEXT) | instid1(VALU_DEP_1)
	v_clz_i32_u32_e32 v40, v31
	v_min_u32_e32 v40, 32, v40
	s_delay_alu instid0(VALU_DEP_1) | instskip(SKIP_1) | instid1(VALU_DEP_2)
	v_subrev_nc_u32_e32 v60, 28, v40
	v_sub_nc_u32_e32 v40, 29, v40
	v_lshlrev_b64 v[60:61], v60, v[31:32]
	s_delay_alu instid0(VALU_DEP_1)
	v_and_b32_e32 v31, 7, v60
; %bb.71:                               ;   in Loop: Header=BB221_10 Depth=1
	s_or_b32 exec_lo, exec_lo, s41
	v_lshlrev_b32_e32 v39, 24, v39
	s_delay_alu instid0(VALU_DEP_2) | instskip(SKIP_1) | instid1(VALU_DEP_3)
	v_lshlrev_b32_e32 v31, 20, v31
	v_lshl_add_u32 v40, v40, 23, 0x3c000000
	v_and_b32_e32 v39, 0x80000000, v39
	s_delay_alu instid0(VALU_DEP_1)
	v_or3_b32 v60, v31, v39, v40
.LBB221_72:                             ;   in Loop: Header=BB221_10 Depth=1
	s_or_b32 exec_lo, exec_lo, s40
.LBB221_73:                             ;   in Loop: Header=BB221_10 Depth=1
	s_delay_alu instid0(SALU_CYCLE_1)
	s_or_b32 exec_lo, exec_lo, s39
.LBB221_74:                             ;   in Loop: Header=BB221_10 Depth=1
	s_delay_alu instid0(SALU_CYCLE_1)
	s_or_b32 exec_lo, exec_lo, s3
	global_load_u8 v39, v[37:38], off offset:256
	s_mov_b32 s3, exec_lo
	s_waitcnt vmcnt(0)
	v_cmpx_ne_u16_e32 0, v39
	s_cbranch_execz .LBB221_82
; %bb.75:                               ;   in Loop: Header=BB221_10 Depth=1
	v_bfrev_b32_e32 v59, 1
	s_mov_b32 s39, exec_lo
	v_cmpx_ne_u16_e32 0x80, v39
	s_cbranch_execz .LBB221_81
; %bb.76:                               ;   in Loop: Header=BB221_10 Depth=1
	v_and_b32_e32 v31, 0xffff, v39
	v_mov_b32_e32 v59, 0x7f800001
	s_mov_b32 s40, exec_lo
	s_delay_alu instid0(VALU_DEP_2) | instskip(NEXT) | instid1(VALU_DEP_1)
	v_and_b32_e32 v61, 0x7f, v31
	v_cmpx_ne_u32_e32 0x7f, v61
	s_cbranch_execz .LBB221_80
; %bb.77:                               ;   in Loop: Header=BB221_10 Depth=1
	v_and_b32_e32 v31, 7, v31
	v_lshrrev_b32_e32 v40, 3, v61
	s_mov_b32 s41, exec_lo
	v_cmpx_gt_u32_e32 8, v61
; %bb.78:                               ;   in Loop: Header=BB221_10 Depth=1
	s_delay_alu instid0(VALU_DEP_3) | instskip(NEXT) | instid1(VALU_DEP_1)
	v_clz_i32_u32_e32 v40, v31
	v_min_u32_e32 v40, 32, v40
	s_delay_alu instid0(VALU_DEP_1) | instskip(SKIP_1) | instid1(VALU_DEP_2)
	v_subrev_nc_u32_e32 v59, 28, v40
	v_sub_nc_u32_e32 v40, 29, v40
	v_lshlrev_b64 v[61:62], v59, v[31:32]
	s_delay_alu instid0(VALU_DEP_1)
	v_and_b32_e32 v31, 7, v61
; %bb.79:                               ;   in Loop: Header=BB221_10 Depth=1
	s_or_b32 exec_lo, exec_lo, s41
	v_lshlrev_b32_e32 v39, 24, v39
	s_delay_alu instid0(VALU_DEP_2) | instskip(SKIP_1) | instid1(VALU_DEP_3)
	v_lshlrev_b32_e32 v31, 20, v31
	v_lshl_add_u32 v40, v40, 23, 0x3c000000
	v_and_b32_e32 v39, 0x80000000, v39
	s_delay_alu instid0(VALU_DEP_1)
	v_or3_b32 v59, v31, v39, v40
.LBB221_80:                             ;   in Loop: Header=BB221_10 Depth=1
	s_or_b32 exec_lo, exec_lo, s40
.LBB221_81:                             ;   in Loop: Header=BB221_10 Depth=1
	s_delay_alu instid0(SALU_CYCLE_1)
	s_or_b32 exec_lo, exec_lo, s39
.LBB221_82:                             ;   in Loop: Header=BB221_10 Depth=1
	s_delay_alu instid0(SALU_CYCLE_1)
	s_or_b32 exec_lo, exec_lo, s3
	global_load_u8 v39, v[37:38], off offset:260
	v_dual_mov_b32 v61, 0 :: v_dual_mov_b32 v62, 0
	s_mov_b32 s3, exec_lo
	s_waitcnt vmcnt(0)
	v_cmpx_ne_u16_e32 0, v39
	s_cbranch_execz .LBB221_90
; %bb.83:                               ;   in Loop: Header=BB221_10 Depth=1
	v_bfrev_b32_e32 v62, 1
	s_mov_b32 s39, exec_lo
	v_cmpx_ne_u16_e32 0x80, v39
	s_cbranch_execz .LBB221_89
; %bb.84:                               ;   in Loop: Header=BB221_10 Depth=1
	v_and_b32_e32 v31, 0xffff, v39
	v_mov_b32_e32 v62, 0x7f800001
	s_mov_b32 s40, exec_lo
	s_delay_alu instid0(VALU_DEP_2) | instskip(NEXT) | instid1(VALU_DEP_1)
	v_and_b32_e32 v63, 0x7f, v31
	v_cmpx_ne_u32_e32 0x7f, v63
	s_cbranch_execz .LBB221_88
; %bb.85:                               ;   in Loop: Header=BB221_10 Depth=1
	v_and_b32_e32 v31, 7, v31
	v_lshrrev_b32_e32 v40, 3, v63
	s_mov_b32 s41, exec_lo
	v_cmpx_gt_u32_e32 8, v63
; %bb.86:                               ;   in Loop: Header=BB221_10 Depth=1
	s_delay_alu instid0(VALU_DEP_3) | instskip(NEXT) | instid1(VALU_DEP_1)
	v_clz_i32_u32_e32 v40, v31
	v_min_u32_e32 v40, 32, v40
	s_delay_alu instid0(VALU_DEP_1) | instskip(SKIP_1) | instid1(VALU_DEP_2)
	v_subrev_nc_u32_e32 v62, 28, v40
	v_sub_nc_u32_e32 v40, 29, v40
	v_lshlrev_b64 v[62:63], v62, v[31:32]
	s_delay_alu instid0(VALU_DEP_1)
	v_and_b32_e32 v31, 7, v62
; %bb.87:                               ;   in Loop: Header=BB221_10 Depth=1
	s_or_b32 exec_lo, exec_lo, s41
	v_lshlrev_b32_e32 v39, 24, v39
	s_delay_alu instid0(VALU_DEP_2) | instskip(SKIP_1) | instid1(VALU_DEP_3)
	v_lshlrev_b32_e32 v31, 20, v31
	v_lshl_add_u32 v40, v40, 23, 0x3c000000
	v_and_b32_e32 v39, 0x80000000, v39
	s_delay_alu instid0(VALU_DEP_1)
	v_or3_b32 v62, v31, v39, v40
.LBB221_88:                             ;   in Loop: Header=BB221_10 Depth=1
	s_or_b32 exec_lo, exec_lo, s40
.LBB221_89:                             ;   in Loop: Header=BB221_10 Depth=1
	s_delay_alu instid0(SALU_CYCLE_1)
	s_or_b32 exec_lo, exec_lo, s39
.LBB221_90:                             ;   in Loop: Header=BB221_10 Depth=1
	s_delay_alu instid0(SALU_CYCLE_1) | instskip(SKIP_1) | instid1(VALU_DEP_1)
	s_or_b32 exec_lo, exec_lo, s3
	v_add_co_u32 v39, s1, 0x100, v37
	v_add_co_ci_u32_e64 v40, s1, 0, v38, s1
	s_mov_b32 s3, exec_lo
	global_load_u8 v63, v[39:40], off offset:8
	s_waitcnt vmcnt(0)
	v_cmpx_ne_u16_e32 0, v63
	s_cbranch_execz .LBB221_98
; %bb.91:                               ;   in Loop: Header=BB221_10 Depth=1
	v_bfrev_b32_e32 v61, 1
	s_mov_b32 s39, exec_lo
	v_cmpx_ne_u16_e32 0x80, v63
	s_cbranch_execz .LBB221_97
; %bb.92:                               ;   in Loop: Header=BB221_10 Depth=1
	v_and_b32_e32 v31, 0xffff, v63
	v_mov_b32_e32 v61, 0x7f800001
	s_mov_b32 s40, exec_lo
	s_delay_alu instid0(VALU_DEP_2) | instskip(NEXT) | instid1(VALU_DEP_1)
	v_and_b32_e32 v64, 0x7f, v31
	v_cmpx_ne_u32_e32 0x7f, v64
	s_cbranch_execz .LBB221_96
; %bb.93:                               ;   in Loop: Header=BB221_10 Depth=1
	v_and_b32_e32 v31, 7, v31
	v_lshrrev_b32_e32 v61, 3, v64
	s_mov_b32 s41, exec_lo
	v_cmpx_gt_u32_e32 8, v64
; %bb.94:                               ;   in Loop: Header=BB221_10 Depth=1
	s_delay_alu instid0(VALU_DEP_3) | instskip(NEXT) | instid1(VALU_DEP_1)
	v_clz_i32_u32_e32 v61, v31
	v_min_u32_e32 v61, 32, v61
	s_delay_alu instid0(VALU_DEP_1) | instskip(SKIP_1) | instid1(VALU_DEP_2)
	v_subrev_nc_u32_e32 v64, 28, v61
	v_sub_nc_u32_e32 v61, 29, v61
	v_lshlrev_b64 v[64:65], v64, v[31:32]
	s_delay_alu instid0(VALU_DEP_1)
	v_and_b32_e32 v31, 7, v64
; %bb.95:                               ;   in Loop: Header=BB221_10 Depth=1
	s_or_b32 exec_lo, exec_lo, s41
	v_lshlrev_b32_e32 v63, 24, v63
	s_delay_alu instid0(VALU_DEP_2) | instskip(SKIP_1) | instid1(VALU_DEP_3)
	v_lshlrev_b32_e32 v31, 20, v31
	v_lshl_add_u32 v61, v61, 23, 0x3c000000
	v_and_b32_e32 v63, 0x80000000, v63
	s_delay_alu instid0(VALU_DEP_1)
	v_or3_b32 v61, v31, v63, v61
.LBB221_96:                             ;   in Loop: Header=BB221_10 Depth=1
	s_or_b32 exec_lo, exec_lo, s40
.LBB221_97:                             ;   in Loop: Header=BB221_10 Depth=1
	s_delay_alu instid0(SALU_CYCLE_1)
	s_or_b32 exec_lo, exec_lo, s39
.LBB221_98:                             ;   in Loop: Header=BB221_10 Depth=1
	s_delay_alu instid0(SALU_CYCLE_1)
	s_or_b32 exec_lo, exec_lo, s3
	global_load_u8 v39, v[39:40], off offset:12
	v_dual_mov_b32 v63, 0 :: v_dual_mov_b32 v64, 0
	s_mov_b32 s3, exec_lo
	s_waitcnt vmcnt(0)
	v_cmpx_ne_u16_e32 0, v39
	s_cbranch_execz .LBB221_106
; %bb.99:                               ;   in Loop: Header=BB221_10 Depth=1
	v_bfrev_b32_e32 v64, 1
	s_mov_b32 s39, exec_lo
	v_cmpx_ne_u16_e32 0x80, v39
	s_cbranch_execz .LBB221_105
; %bb.100:                              ;   in Loop: Header=BB221_10 Depth=1
	v_and_b32_e32 v31, 0xffff, v39
	v_mov_b32_e32 v64, 0x7f800001
	s_mov_b32 s40, exec_lo
	s_delay_alu instid0(VALU_DEP_2) | instskip(NEXT) | instid1(VALU_DEP_1)
	v_and_b32_e32 v65, 0x7f, v31
	v_cmpx_ne_u32_e32 0x7f, v65
	s_cbranch_execz .LBB221_104
; %bb.101:                              ;   in Loop: Header=BB221_10 Depth=1
	v_and_b32_e32 v31, 7, v31
	v_lshrrev_b32_e32 v40, 3, v65
	s_mov_b32 s41, exec_lo
	v_cmpx_gt_u32_e32 8, v65
; %bb.102:                              ;   in Loop: Header=BB221_10 Depth=1
	s_delay_alu instid0(VALU_DEP_3) | instskip(NEXT) | instid1(VALU_DEP_1)
	v_clz_i32_u32_e32 v40, v31
	v_min_u32_e32 v40, 32, v40
	s_delay_alu instid0(VALU_DEP_1) | instskip(SKIP_1) | instid1(VALU_DEP_2)
	v_subrev_nc_u32_e32 v64, 28, v40
	v_sub_nc_u32_e32 v40, 29, v40
	v_lshlrev_b64 v[64:65], v64, v[31:32]
	s_delay_alu instid0(VALU_DEP_1)
	v_and_b32_e32 v31, 7, v64
; %bb.103:                              ;   in Loop: Header=BB221_10 Depth=1
	s_or_b32 exec_lo, exec_lo, s41
	v_lshlrev_b32_e32 v39, 24, v39
	s_delay_alu instid0(VALU_DEP_2) | instskip(SKIP_1) | instid1(VALU_DEP_3)
	v_lshlrev_b32_e32 v31, 20, v31
	v_lshl_add_u32 v40, v40, 23, 0x3c000000
	v_and_b32_e32 v39, 0x80000000, v39
	s_delay_alu instid0(VALU_DEP_1)
	v_or3_b32 v64, v31, v39, v40
.LBB221_104:                            ;   in Loop: Header=BB221_10 Depth=1
	s_or_b32 exec_lo, exec_lo, s40
.LBB221_105:                            ;   in Loop: Header=BB221_10 Depth=1
	s_delay_alu instid0(SALU_CYCLE_1)
	s_or_b32 exec_lo, exec_lo, s39
.LBB221_106:                            ;   in Loop: Header=BB221_10 Depth=1
	s_delay_alu instid0(SALU_CYCLE_1)
	s_or_b32 exec_lo, exec_lo, s3
	global_load_u8 v39, v[37:38], off offset:384
	s_mov_b32 s3, exec_lo
	s_waitcnt vmcnt(0)
	v_cmpx_ne_u16_e32 0, v39
	s_cbranch_execz .LBB221_114
; %bb.107:                              ;   in Loop: Header=BB221_10 Depth=1
	v_bfrev_b32_e32 v63, 1
	s_mov_b32 s39, exec_lo
	v_cmpx_ne_u16_e32 0x80, v39
	s_cbranch_execz .LBB221_113
; %bb.108:                              ;   in Loop: Header=BB221_10 Depth=1
	v_and_b32_e32 v31, 0xffff, v39
	v_mov_b32_e32 v63, 0x7f800001
	s_mov_b32 s40, exec_lo
	s_delay_alu instid0(VALU_DEP_2) | instskip(NEXT) | instid1(VALU_DEP_1)
	v_and_b32_e32 v65, 0x7f, v31
	v_cmpx_ne_u32_e32 0x7f, v65
	s_cbranch_execz .LBB221_112
; %bb.109:                              ;   in Loop: Header=BB221_10 Depth=1
	v_and_b32_e32 v31, 7, v31
	v_lshrrev_b32_e32 v40, 3, v65
	s_mov_b32 s41, exec_lo
	v_cmpx_gt_u32_e32 8, v65
; %bb.110:                              ;   in Loop: Header=BB221_10 Depth=1
	s_delay_alu instid0(VALU_DEP_3) | instskip(NEXT) | instid1(VALU_DEP_1)
	v_clz_i32_u32_e32 v40, v31
	v_min_u32_e32 v40, 32, v40
	s_delay_alu instid0(VALU_DEP_1) | instskip(SKIP_1) | instid1(VALU_DEP_2)
	v_subrev_nc_u32_e32 v63, 28, v40
	v_sub_nc_u32_e32 v40, 29, v40
	v_lshlrev_b64 v[65:66], v63, v[31:32]
	s_delay_alu instid0(VALU_DEP_1)
	v_and_b32_e32 v31, 7, v65
; %bb.111:                              ;   in Loop: Header=BB221_10 Depth=1
	s_or_b32 exec_lo, exec_lo, s41
	v_lshlrev_b32_e32 v39, 24, v39
	s_delay_alu instid0(VALU_DEP_2) | instskip(SKIP_1) | instid1(VALU_DEP_3)
	v_lshlrev_b32_e32 v31, 20, v31
	v_lshl_add_u32 v40, v40, 23, 0x3c000000
	v_and_b32_e32 v39, 0x80000000, v39
	s_delay_alu instid0(VALU_DEP_1)
	v_or3_b32 v63, v31, v39, v40
.LBB221_112:                            ;   in Loop: Header=BB221_10 Depth=1
	s_or_b32 exec_lo, exec_lo, s40
.LBB221_113:                            ;   in Loop: Header=BB221_10 Depth=1
	s_delay_alu instid0(SALU_CYCLE_1)
	s_or_b32 exec_lo, exec_lo, s39
.LBB221_114:                            ;   in Loop: Header=BB221_10 Depth=1
	s_delay_alu instid0(SALU_CYCLE_1)
	s_or_b32 exec_lo, exec_lo, s3
	global_load_u8 v39, v[37:38], off offset:388
	v_dual_mov_b32 v65, 0 :: v_dual_mov_b32 v66, 0
	s_mov_b32 s3, exec_lo
	s_waitcnt vmcnt(0)
	v_cmpx_ne_u16_e32 0, v39
	s_cbranch_execz .LBB221_122
; %bb.115:                              ;   in Loop: Header=BB221_10 Depth=1
	v_bfrev_b32_e32 v66, 1
	s_mov_b32 s39, exec_lo
	v_cmpx_ne_u16_e32 0x80, v39
	s_cbranch_execz .LBB221_121
; %bb.116:                              ;   in Loop: Header=BB221_10 Depth=1
	v_and_b32_e32 v31, 0xffff, v39
	v_mov_b32_e32 v66, 0x7f800001
	s_mov_b32 s40, exec_lo
	s_delay_alu instid0(VALU_DEP_2) | instskip(NEXT) | instid1(VALU_DEP_1)
	v_and_b32_e32 v67, 0x7f, v31
	v_cmpx_ne_u32_e32 0x7f, v67
	s_cbranch_execz .LBB221_120
; %bb.117:                              ;   in Loop: Header=BB221_10 Depth=1
	v_and_b32_e32 v31, 7, v31
	v_lshrrev_b32_e32 v40, 3, v67
	s_mov_b32 s41, exec_lo
	v_cmpx_gt_u32_e32 8, v67
; %bb.118:                              ;   in Loop: Header=BB221_10 Depth=1
	s_delay_alu instid0(VALU_DEP_3) | instskip(NEXT) | instid1(VALU_DEP_1)
	v_clz_i32_u32_e32 v40, v31
	v_min_u32_e32 v40, 32, v40
	s_delay_alu instid0(VALU_DEP_1) | instskip(SKIP_1) | instid1(VALU_DEP_2)
	v_subrev_nc_u32_e32 v66, 28, v40
	v_sub_nc_u32_e32 v40, 29, v40
	v_lshlrev_b64 v[66:67], v66, v[31:32]
	s_delay_alu instid0(VALU_DEP_1)
	v_and_b32_e32 v31, 7, v66
; %bb.119:                              ;   in Loop: Header=BB221_10 Depth=1
	s_or_b32 exec_lo, exec_lo, s41
	v_lshlrev_b32_e32 v39, 24, v39
	s_delay_alu instid0(VALU_DEP_2) | instskip(SKIP_1) | instid1(VALU_DEP_3)
	v_lshlrev_b32_e32 v31, 20, v31
	v_lshl_add_u32 v40, v40, 23, 0x3c000000
	v_and_b32_e32 v39, 0x80000000, v39
	s_delay_alu instid0(VALU_DEP_1)
	v_or3_b32 v66, v31, v39, v40
.LBB221_120:                            ;   in Loop: Header=BB221_10 Depth=1
	s_or_b32 exec_lo, exec_lo, s40
.LBB221_121:                            ;   in Loop: Header=BB221_10 Depth=1
	s_delay_alu instid0(SALU_CYCLE_1)
	s_or_b32 exec_lo, exec_lo, s39
.LBB221_122:                            ;   in Loop: Header=BB221_10 Depth=1
	s_delay_alu instid0(SALU_CYCLE_1) | instskip(SKIP_1) | instid1(VALU_DEP_1)
	s_or_b32 exec_lo, exec_lo, s3
	v_add_co_u32 v39, s1, 0x180, v37
	v_add_co_ci_u32_e64 v40, s1, 0, v38, s1
	s_mov_b32 s3, exec_lo
	global_load_u8 v67, v[39:40], off offset:8
	s_waitcnt vmcnt(0)
	v_cmpx_ne_u16_e32 0, v67
	s_cbranch_execz .LBB221_130
; %bb.123:                              ;   in Loop: Header=BB221_10 Depth=1
	v_bfrev_b32_e32 v65, 1
	s_mov_b32 s39, exec_lo
	v_cmpx_ne_u16_e32 0x80, v67
	s_cbranch_execz .LBB221_129
; %bb.124:                              ;   in Loop: Header=BB221_10 Depth=1
	v_and_b32_e32 v31, 0xffff, v67
	v_mov_b32_e32 v65, 0x7f800001
	s_mov_b32 s40, exec_lo
	s_delay_alu instid0(VALU_DEP_2) | instskip(NEXT) | instid1(VALU_DEP_1)
	v_and_b32_e32 v68, 0x7f, v31
	v_cmpx_ne_u32_e32 0x7f, v68
	s_cbranch_execz .LBB221_128
; %bb.125:                              ;   in Loop: Header=BB221_10 Depth=1
	v_and_b32_e32 v31, 7, v31
	v_lshrrev_b32_e32 v65, 3, v68
	s_mov_b32 s41, exec_lo
	v_cmpx_gt_u32_e32 8, v68
; %bb.126:                              ;   in Loop: Header=BB221_10 Depth=1
	s_delay_alu instid0(VALU_DEP_3) | instskip(NEXT) | instid1(VALU_DEP_1)
	v_clz_i32_u32_e32 v65, v31
	v_min_u32_e32 v65, 32, v65
	s_delay_alu instid0(VALU_DEP_1) | instskip(SKIP_1) | instid1(VALU_DEP_2)
	v_subrev_nc_u32_e32 v68, 28, v65
	v_sub_nc_u32_e32 v65, 29, v65
	v_lshlrev_b64 v[68:69], v68, v[31:32]
	s_delay_alu instid0(VALU_DEP_1)
	v_and_b32_e32 v31, 7, v68
; %bb.127:                              ;   in Loop: Header=BB221_10 Depth=1
	s_or_b32 exec_lo, exec_lo, s41
	v_lshlrev_b32_e32 v67, 24, v67
	s_delay_alu instid0(VALU_DEP_2) | instskip(SKIP_1) | instid1(VALU_DEP_3)
	v_lshlrev_b32_e32 v31, 20, v31
	v_lshl_add_u32 v65, v65, 23, 0x3c000000
	v_and_b32_e32 v67, 0x80000000, v67
	s_delay_alu instid0(VALU_DEP_1)
	v_or3_b32 v65, v31, v67, v65
.LBB221_128:                            ;   in Loop: Header=BB221_10 Depth=1
	s_or_b32 exec_lo, exec_lo, s40
.LBB221_129:                            ;   in Loop: Header=BB221_10 Depth=1
	s_delay_alu instid0(SALU_CYCLE_1)
	s_or_b32 exec_lo, exec_lo, s39
.LBB221_130:                            ;   in Loop: Header=BB221_10 Depth=1
	s_delay_alu instid0(SALU_CYCLE_1)
	s_or_b32 exec_lo, exec_lo, s3
	global_load_u8 v39, v[39:40], off offset:12
	v_dual_mov_b32 v67, 0 :: v_dual_mov_b32 v68, 0
	s_mov_b32 s3, exec_lo
	s_waitcnt vmcnt(0)
	v_cmpx_ne_u16_e32 0, v39
	s_cbranch_execz .LBB221_138
; %bb.131:                              ;   in Loop: Header=BB221_10 Depth=1
	v_bfrev_b32_e32 v68, 1
	s_mov_b32 s39, exec_lo
	v_cmpx_ne_u16_e32 0x80, v39
	s_cbranch_execz .LBB221_137
; %bb.132:                              ;   in Loop: Header=BB221_10 Depth=1
	v_and_b32_e32 v31, 0xffff, v39
	v_mov_b32_e32 v68, 0x7f800001
	s_mov_b32 s40, exec_lo
	s_delay_alu instid0(VALU_DEP_2) | instskip(NEXT) | instid1(VALU_DEP_1)
	v_and_b32_e32 v69, 0x7f, v31
	v_cmpx_ne_u32_e32 0x7f, v69
	s_cbranch_execz .LBB221_136
; %bb.133:                              ;   in Loop: Header=BB221_10 Depth=1
	v_and_b32_e32 v31, 7, v31
	v_lshrrev_b32_e32 v40, 3, v69
	s_mov_b32 s41, exec_lo
	v_cmpx_gt_u32_e32 8, v69
; %bb.134:                              ;   in Loop: Header=BB221_10 Depth=1
	s_delay_alu instid0(VALU_DEP_3) | instskip(NEXT) | instid1(VALU_DEP_1)
	v_clz_i32_u32_e32 v40, v31
	v_min_u32_e32 v40, 32, v40
	s_delay_alu instid0(VALU_DEP_1) | instskip(SKIP_1) | instid1(VALU_DEP_2)
	v_subrev_nc_u32_e32 v68, 28, v40
	v_sub_nc_u32_e32 v40, 29, v40
	v_lshlrev_b64 v[68:69], v68, v[31:32]
	s_delay_alu instid0(VALU_DEP_1)
	v_and_b32_e32 v31, 7, v68
; %bb.135:                              ;   in Loop: Header=BB221_10 Depth=1
	s_or_b32 exec_lo, exec_lo, s41
	v_lshlrev_b32_e32 v39, 24, v39
	s_delay_alu instid0(VALU_DEP_2) | instskip(SKIP_1) | instid1(VALU_DEP_3)
	v_lshlrev_b32_e32 v31, 20, v31
	v_lshl_add_u32 v40, v40, 23, 0x3c000000
	v_and_b32_e32 v39, 0x80000000, v39
	s_delay_alu instid0(VALU_DEP_1)
	v_or3_b32 v68, v31, v39, v40
.LBB221_136:                            ;   in Loop: Header=BB221_10 Depth=1
	s_or_b32 exec_lo, exec_lo, s40
.LBB221_137:                            ;   in Loop: Header=BB221_10 Depth=1
	s_delay_alu instid0(SALU_CYCLE_1)
	s_or_b32 exec_lo, exec_lo, s39
.LBB221_138:                            ;   in Loop: Header=BB221_10 Depth=1
	s_delay_alu instid0(SALU_CYCLE_1)
	s_or_b32 exec_lo, exec_lo, s3
	global_load_u8 v39, v[37:38], off offset:512
	s_mov_b32 s3, exec_lo
	s_waitcnt vmcnt(0)
	v_cmpx_ne_u16_e32 0, v39
	s_cbranch_execz .LBB221_146
; %bb.139:                              ;   in Loop: Header=BB221_10 Depth=1
	v_bfrev_b32_e32 v67, 1
	s_mov_b32 s39, exec_lo
	v_cmpx_ne_u16_e32 0x80, v39
	s_cbranch_execz .LBB221_145
; %bb.140:                              ;   in Loop: Header=BB221_10 Depth=1
	v_and_b32_e32 v31, 0xffff, v39
	v_mov_b32_e32 v67, 0x7f800001
	s_mov_b32 s40, exec_lo
	s_delay_alu instid0(VALU_DEP_2) | instskip(NEXT) | instid1(VALU_DEP_1)
	v_and_b32_e32 v69, 0x7f, v31
	v_cmpx_ne_u32_e32 0x7f, v69
	s_cbranch_execz .LBB221_144
; %bb.141:                              ;   in Loop: Header=BB221_10 Depth=1
	v_and_b32_e32 v31, 7, v31
	v_lshrrev_b32_e32 v40, 3, v69
	s_mov_b32 s41, exec_lo
	v_cmpx_gt_u32_e32 8, v69
; %bb.142:                              ;   in Loop: Header=BB221_10 Depth=1
	s_delay_alu instid0(VALU_DEP_3) | instskip(NEXT) | instid1(VALU_DEP_1)
	v_clz_i32_u32_e32 v40, v31
	v_min_u32_e32 v40, 32, v40
	s_delay_alu instid0(VALU_DEP_1) | instskip(SKIP_1) | instid1(VALU_DEP_2)
	v_subrev_nc_u32_e32 v67, 28, v40
	v_sub_nc_u32_e32 v40, 29, v40
	v_lshlrev_b64 v[69:70], v67, v[31:32]
	s_delay_alu instid0(VALU_DEP_1)
	v_and_b32_e32 v31, 7, v69
; %bb.143:                              ;   in Loop: Header=BB221_10 Depth=1
	s_or_b32 exec_lo, exec_lo, s41
	v_lshlrev_b32_e32 v39, 24, v39
	s_delay_alu instid0(VALU_DEP_2) | instskip(SKIP_1) | instid1(VALU_DEP_3)
	v_lshlrev_b32_e32 v31, 20, v31
	v_lshl_add_u32 v40, v40, 23, 0x3c000000
	v_and_b32_e32 v39, 0x80000000, v39
	s_delay_alu instid0(VALU_DEP_1)
	v_or3_b32 v67, v31, v39, v40
.LBB221_144:                            ;   in Loop: Header=BB221_10 Depth=1
	s_or_b32 exec_lo, exec_lo, s40
.LBB221_145:                            ;   in Loop: Header=BB221_10 Depth=1
	s_delay_alu instid0(SALU_CYCLE_1)
	s_or_b32 exec_lo, exec_lo, s39
.LBB221_146:                            ;   in Loop: Header=BB221_10 Depth=1
	s_delay_alu instid0(SALU_CYCLE_1)
	s_or_b32 exec_lo, exec_lo, s3
	global_load_u8 v39, v[37:38], off offset:516
	v_dual_mov_b32 v69, 0 :: v_dual_mov_b32 v70, 0
	s_mov_b32 s3, exec_lo
	s_waitcnt vmcnt(0)
	v_cmpx_ne_u16_e32 0, v39
	s_cbranch_execz .LBB221_154
; %bb.147:                              ;   in Loop: Header=BB221_10 Depth=1
	v_bfrev_b32_e32 v70, 1
	s_mov_b32 s39, exec_lo
	v_cmpx_ne_u16_e32 0x80, v39
	s_cbranch_execz .LBB221_153
; %bb.148:                              ;   in Loop: Header=BB221_10 Depth=1
	v_and_b32_e32 v31, 0xffff, v39
	v_mov_b32_e32 v70, 0x7f800001
	s_mov_b32 s40, exec_lo
	s_delay_alu instid0(VALU_DEP_2) | instskip(NEXT) | instid1(VALU_DEP_1)
	v_and_b32_e32 v71, 0x7f, v31
	v_cmpx_ne_u32_e32 0x7f, v71
	s_cbranch_execz .LBB221_152
; %bb.149:                              ;   in Loop: Header=BB221_10 Depth=1
	v_and_b32_e32 v31, 7, v31
	v_lshrrev_b32_e32 v40, 3, v71
	s_mov_b32 s41, exec_lo
	v_cmpx_gt_u32_e32 8, v71
; %bb.150:                              ;   in Loop: Header=BB221_10 Depth=1
	s_delay_alu instid0(VALU_DEP_3) | instskip(NEXT) | instid1(VALU_DEP_1)
	v_clz_i32_u32_e32 v40, v31
	v_min_u32_e32 v40, 32, v40
	s_delay_alu instid0(VALU_DEP_1) | instskip(SKIP_1) | instid1(VALU_DEP_2)
	v_subrev_nc_u32_e32 v70, 28, v40
	v_sub_nc_u32_e32 v40, 29, v40
	v_lshlrev_b64 v[70:71], v70, v[31:32]
	s_delay_alu instid0(VALU_DEP_1)
	v_and_b32_e32 v31, 7, v70
; %bb.151:                              ;   in Loop: Header=BB221_10 Depth=1
	s_or_b32 exec_lo, exec_lo, s41
	v_lshlrev_b32_e32 v39, 24, v39
	s_delay_alu instid0(VALU_DEP_2) | instskip(SKIP_1) | instid1(VALU_DEP_3)
	v_lshlrev_b32_e32 v31, 20, v31
	v_lshl_add_u32 v40, v40, 23, 0x3c000000
	v_and_b32_e32 v39, 0x80000000, v39
	s_delay_alu instid0(VALU_DEP_1)
	v_or3_b32 v70, v31, v39, v40
.LBB221_152:                            ;   in Loop: Header=BB221_10 Depth=1
	s_or_b32 exec_lo, exec_lo, s40
.LBB221_153:                            ;   in Loop: Header=BB221_10 Depth=1
	s_delay_alu instid0(SALU_CYCLE_1)
	s_or_b32 exec_lo, exec_lo, s39
.LBB221_154:                            ;   in Loop: Header=BB221_10 Depth=1
	s_delay_alu instid0(SALU_CYCLE_1) | instskip(SKIP_1) | instid1(VALU_DEP_1)
	s_or_b32 exec_lo, exec_lo, s3
	v_add_co_u32 v39, s1, 0x200, v37
	v_add_co_ci_u32_e64 v40, s1, 0, v38, s1
	s_mov_b32 s3, exec_lo
	global_load_u8 v71, v[39:40], off offset:8
	s_waitcnt vmcnt(0)
	v_cmpx_ne_u16_e32 0, v71
	s_cbranch_execz .LBB221_162
; %bb.155:                              ;   in Loop: Header=BB221_10 Depth=1
	v_bfrev_b32_e32 v69, 1
	s_mov_b32 s39, exec_lo
	v_cmpx_ne_u16_e32 0x80, v71
	s_cbranch_execz .LBB221_161
; %bb.156:                              ;   in Loop: Header=BB221_10 Depth=1
	v_and_b32_e32 v31, 0xffff, v71
	v_mov_b32_e32 v69, 0x7f800001
	s_mov_b32 s40, exec_lo
	s_delay_alu instid0(VALU_DEP_2) | instskip(NEXT) | instid1(VALU_DEP_1)
	v_and_b32_e32 v72, 0x7f, v31
	v_cmpx_ne_u32_e32 0x7f, v72
	s_cbranch_execz .LBB221_160
; %bb.157:                              ;   in Loop: Header=BB221_10 Depth=1
	v_and_b32_e32 v31, 7, v31
	v_lshrrev_b32_e32 v69, 3, v72
	s_mov_b32 s41, exec_lo
	v_cmpx_gt_u32_e32 8, v72
; %bb.158:                              ;   in Loop: Header=BB221_10 Depth=1
	s_delay_alu instid0(VALU_DEP_3) | instskip(NEXT) | instid1(VALU_DEP_1)
	v_clz_i32_u32_e32 v69, v31
	v_min_u32_e32 v69, 32, v69
	s_delay_alu instid0(VALU_DEP_1) | instskip(SKIP_1) | instid1(VALU_DEP_2)
	v_subrev_nc_u32_e32 v72, 28, v69
	v_sub_nc_u32_e32 v69, 29, v69
	v_lshlrev_b64 v[72:73], v72, v[31:32]
	s_delay_alu instid0(VALU_DEP_1)
	v_and_b32_e32 v31, 7, v72
; %bb.159:                              ;   in Loop: Header=BB221_10 Depth=1
	s_or_b32 exec_lo, exec_lo, s41
	v_lshlrev_b32_e32 v71, 24, v71
	s_delay_alu instid0(VALU_DEP_2) | instskip(SKIP_1) | instid1(VALU_DEP_3)
	v_lshlrev_b32_e32 v31, 20, v31
	v_lshl_add_u32 v69, v69, 23, 0x3c000000
	v_and_b32_e32 v71, 0x80000000, v71
	s_delay_alu instid0(VALU_DEP_1)
	v_or3_b32 v69, v31, v71, v69
.LBB221_160:                            ;   in Loop: Header=BB221_10 Depth=1
	s_or_b32 exec_lo, exec_lo, s40
.LBB221_161:                            ;   in Loop: Header=BB221_10 Depth=1
	s_delay_alu instid0(SALU_CYCLE_1)
	s_or_b32 exec_lo, exec_lo, s39
.LBB221_162:                            ;   in Loop: Header=BB221_10 Depth=1
	s_delay_alu instid0(SALU_CYCLE_1)
	s_or_b32 exec_lo, exec_lo, s3
	global_load_u8 v39, v[39:40], off offset:12
	v_dual_mov_b32 v71, 0 :: v_dual_mov_b32 v72, 0
	s_mov_b32 s3, exec_lo
	s_waitcnt vmcnt(0)
	v_cmpx_ne_u16_e32 0, v39
	s_cbranch_execz .LBB221_170
; %bb.163:                              ;   in Loop: Header=BB221_10 Depth=1
	v_bfrev_b32_e32 v72, 1
	s_mov_b32 s39, exec_lo
	v_cmpx_ne_u16_e32 0x80, v39
	s_cbranch_execz .LBB221_169
; %bb.164:                              ;   in Loop: Header=BB221_10 Depth=1
	v_and_b32_e32 v31, 0xffff, v39
	v_mov_b32_e32 v72, 0x7f800001
	s_mov_b32 s40, exec_lo
	s_delay_alu instid0(VALU_DEP_2) | instskip(NEXT) | instid1(VALU_DEP_1)
	v_and_b32_e32 v73, 0x7f, v31
	v_cmpx_ne_u32_e32 0x7f, v73
	s_cbranch_execz .LBB221_168
; %bb.165:                              ;   in Loop: Header=BB221_10 Depth=1
	v_and_b32_e32 v31, 7, v31
	v_lshrrev_b32_e32 v40, 3, v73
	s_mov_b32 s41, exec_lo
	v_cmpx_gt_u32_e32 8, v73
; %bb.166:                              ;   in Loop: Header=BB221_10 Depth=1
	s_delay_alu instid0(VALU_DEP_3) | instskip(NEXT) | instid1(VALU_DEP_1)
	v_clz_i32_u32_e32 v40, v31
	v_min_u32_e32 v40, 32, v40
	s_delay_alu instid0(VALU_DEP_1) | instskip(SKIP_1) | instid1(VALU_DEP_2)
	v_subrev_nc_u32_e32 v72, 28, v40
	v_sub_nc_u32_e32 v40, 29, v40
	v_lshlrev_b64 v[72:73], v72, v[31:32]
	s_delay_alu instid0(VALU_DEP_1)
	v_and_b32_e32 v31, 7, v72
; %bb.167:                              ;   in Loop: Header=BB221_10 Depth=1
	s_or_b32 exec_lo, exec_lo, s41
	v_lshlrev_b32_e32 v39, 24, v39
	s_delay_alu instid0(VALU_DEP_2) | instskip(SKIP_1) | instid1(VALU_DEP_3)
	v_lshlrev_b32_e32 v31, 20, v31
	v_lshl_add_u32 v40, v40, 23, 0x3c000000
	v_and_b32_e32 v39, 0x80000000, v39
	s_delay_alu instid0(VALU_DEP_1)
	v_or3_b32 v72, v31, v39, v40
.LBB221_168:                            ;   in Loop: Header=BB221_10 Depth=1
	s_or_b32 exec_lo, exec_lo, s40
.LBB221_169:                            ;   in Loop: Header=BB221_10 Depth=1
	s_delay_alu instid0(SALU_CYCLE_1)
	s_or_b32 exec_lo, exec_lo, s39
.LBB221_170:                            ;   in Loop: Header=BB221_10 Depth=1
	s_delay_alu instid0(SALU_CYCLE_1)
	s_or_b32 exec_lo, exec_lo, s3
	global_load_u8 v39, v[37:38], off offset:640
	s_mov_b32 s3, exec_lo
	s_waitcnt vmcnt(0)
	v_cmpx_ne_u16_e32 0, v39
	s_cbranch_execz .LBB221_178
; %bb.171:                              ;   in Loop: Header=BB221_10 Depth=1
	v_bfrev_b32_e32 v71, 1
	s_mov_b32 s39, exec_lo
	v_cmpx_ne_u16_e32 0x80, v39
	s_cbranch_execz .LBB221_177
; %bb.172:                              ;   in Loop: Header=BB221_10 Depth=1
	v_and_b32_e32 v31, 0xffff, v39
	v_mov_b32_e32 v71, 0x7f800001
	s_mov_b32 s40, exec_lo
	s_delay_alu instid0(VALU_DEP_2) | instskip(NEXT) | instid1(VALU_DEP_1)
	v_and_b32_e32 v73, 0x7f, v31
	v_cmpx_ne_u32_e32 0x7f, v73
	s_cbranch_execz .LBB221_176
; %bb.173:                              ;   in Loop: Header=BB221_10 Depth=1
	v_and_b32_e32 v31, 7, v31
	v_lshrrev_b32_e32 v40, 3, v73
	s_mov_b32 s41, exec_lo
	v_cmpx_gt_u32_e32 8, v73
; %bb.174:                              ;   in Loop: Header=BB221_10 Depth=1
	s_delay_alu instid0(VALU_DEP_3) | instskip(NEXT) | instid1(VALU_DEP_1)
	v_clz_i32_u32_e32 v40, v31
	v_min_u32_e32 v40, 32, v40
	s_delay_alu instid0(VALU_DEP_1) | instskip(SKIP_1) | instid1(VALU_DEP_2)
	v_subrev_nc_u32_e32 v71, 28, v40
	v_sub_nc_u32_e32 v40, 29, v40
	v_lshlrev_b64 v[73:74], v71, v[31:32]
	s_delay_alu instid0(VALU_DEP_1)
	v_and_b32_e32 v31, 7, v73
; %bb.175:                              ;   in Loop: Header=BB221_10 Depth=1
	s_or_b32 exec_lo, exec_lo, s41
	v_lshlrev_b32_e32 v39, 24, v39
	s_delay_alu instid0(VALU_DEP_2) | instskip(SKIP_1) | instid1(VALU_DEP_3)
	v_lshlrev_b32_e32 v31, 20, v31
	v_lshl_add_u32 v40, v40, 23, 0x3c000000
	v_and_b32_e32 v39, 0x80000000, v39
	s_delay_alu instid0(VALU_DEP_1)
	v_or3_b32 v71, v31, v39, v40
.LBB221_176:                            ;   in Loop: Header=BB221_10 Depth=1
	s_or_b32 exec_lo, exec_lo, s40
.LBB221_177:                            ;   in Loop: Header=BB221_10 Depth=1
	s_delay_alu instid0(SALU_CYCLE_1)
	s_or_b32 exec_lo, exec_lo, s39
.LBB221_178:                            ;   in Loop: Header=BB221_10 Depth=1
	s_delay_alu instid0(SALU_CYCLE_1)
	s_or_b32 exec_lo, exec_lo, s3
	global_load_u8 v39, v[37:38], off offset:644
	v_dual_mov_b32 v73, 0 :: v_dual_mov_b32 v74, 0
	s_mov_b32 s3, exec_lo
	s_waitcnt vmcnt(0)
	v_cmpx_ne_u16_e32 0, v39
	s_cbranch_execz .LBB221_186
; %bb.179:                              ;   in Loop: Header=BB221_10 Depth=1
	v_bfrev_b32_e32 v74, 1
	s_mov_b32 s39, exec_lo
	v_cmpx_ne_u16_e32 0x80, v39
	s_cbranch_execz .LBB221_185
; %bb.180:                              ;   in Loop: Header=BB221_10 Depth=1
	v_and_b32_e32 v31, 0xffff, v39
	v_mov_b32_e32 v74, 0x7f800001
	s_mov_b32 s40, exec_lo
	s_delay_alu instid0(VALU_DEP_2) | instskip(NEXT) | instid1(VALU_DEP_1)
	v_and_b32_e32 v75, 0x7f, v31
	v_cmpx_ne_u32_e32 0x7f, v75
	s_cbranch_execz .LBB221_184
; %bb.181:                              ;   in Loop: Header=BB221_10 Depth=1
	v_and_b32_e32 v31, 7, v31
	v_lshrrev_b32_e32 v40, 3, v75
	s_mov_b32 s41, exec_lo
	v_cmpx_gt_u32_e32 8, v75
; %bb.182:                              ;   in Loop: Header=BB221_10 Depth=1
	s_delay_alu instid0(VALU_DEP_3) | instskip(NEXT) | instid1(VALU_DEP_1)
	v_clz_i32_u32_e32 v40, v31
	v_min_u32_e32 v40, 32, v40
	s_delay_alu instid0(VALU_DEP_1) | instskip(SKIP_1) | instid1(VALU_DEP_2)
	v_subrev_nc_u32_e32 v74, 28, v40
	v_sub_nc_u32_e32 v40, 29, v40
	v_lshlrev_b64 v[74:75], v74, v[31:32]
	s_delay_alu instid0(VALU_DEP_1)
	v_and_b32_e32 v31, 7, v74
; %bb.183:                              ;   in Loop: Header=BB221_10 Depth=1
	s_or_b32 exec_lo, exec_lo, s41
	v_lshlrev_b32_e32 v39, 24, v39
	s_delay_alu instid0(VALU_DEP_2) | instskip(SKIP_1) | instid1(VALU_DEP_3)
	v_lshlrev_b32_e32 v31, 20, v31
	v_lshl_add_u32 v40, v40, 23, 0x3c000000
	v_and_b32_e32 v39, 0x80000000, v39
	s_delay_alu instid0(VALU_DEP_1)
	v_or3_b32 v74, v31, v39, v40
.LBB221_184:                            ;   in Loop: Header=BB221_10 Depth=1
	s_or_b32 exec_lo, exec_lo, s40
.LBB221_185:                            ;   in Loop: Header=BB221_10 Depth=1
	s_delay_alu instid0(SALU_CYCLE_1)
	s_or_b32 exec_lo, exec_lo, s39
.LBB221_186:                            ;   in Loop: Header=BB221_10 Depth=1
	s_delay_alu instid0(SALU_CYCLE_1) | instskip(SKIP_1) | instid1(VALU_DEP_1)
	s_or_b32 exec_lo, exec_lo, s3
	v_add_co_u32 v39, s1, 0x280, v37
	v_add_co_ci_u32_e64 v40, s1, 0, v38, s1
	s_mov_b32 s3, exec_lo
	global_load_u8 v75, v[39:40], off offset:8
	s_waitcnt vmcnt(0)
	v_cmpx_ne_u16_e32 0, v75
	s_cbranch_execz .LBB221_194
; %bb.187:                              ;   in Loop: Header=BB221_10 Depth=1
	v_bfrev_b32_e32 v73, 1
	s_mov_b32 s39, exec_lo
	v_cmpx_ne_u16_e32 0x80, v75
	s_cbranch_execz .LBB221_193
; %bb.188:                              ;   in Loop: Header=BB221_10 Depth=1
	v_and_b32_e32 v31, 0xffff, v75
	v_mov_b32_e32 v73, 0x7f800001
	s_mov_b32 s40, exec_lo
	s_delay_alu instid0(VALU_DEP_2) | instskip(NEXT) | instid1(VALU_DEP_1)
	v_and_b32_e32 v76, 0x7f, v31
	v_cmpx_ne_u32_e32 0x7f, v76
	s_cbranch_execz .LBB221_192
; %bb.189:                              ;   in Loop: Header=BB221_10 Depth=1
	v_and_b32_e32 v31, 7, v31
	v_lshrrev_b32_e32 v73, 3, v76
	s_mov_b32 s41, exec_lo
	v_cmpx_gt_u32_e32 8, v76
; %bb.190:                              ;   in Loop: Header=BB221_10 Depth=1
	s_delay_alu instid0(VALU_DEP_3) | instskip(NEXT) | instid1(VALU_DEP_1)
	v_clz_i32_u32_e32 v73, v31
	v_min_u32_e32 v73, 32, v73
	s_delay_alu instid0(VALU_DEP_1) | instskip(SKIP_1) | instid1(VALU_DEP_2)
	v_subrev_nc_u32_e32 v76, 28, v73
	v_sub_nc_u32_e32 v73, 29, v73
	v_lshlrev_b64 v[76:77], v76, v[31:32]
	s_delay_alu instid0(VALU_DEP_1)
	v_and_b32_e32 v31, 7, v76
; %bb.191:                              ;   in Loop: Header=BB221_10 Depth=1
	s_or_b32 exec_lo, exec_lo, s41
	v_lshlrev_b32_e32 v75, 24, v75
	s_delay_alu instid0(VALU_DEP_2) | instskip(SKIP_1) | instid1(VALU_DEP_3)
	v_lshlrev_b32_e32 v31, 20, v31
	v_lshl_add_u32 v73, v73, 23, 0x3c000000
	v_and_b32_e32 v75, 0x80000000, v75
	s_delay_alu instid0(VALU_DEP_1)
	v_or3_b32 v73, v31, v75, v73
.LBB221_192:                            ;   in Loop: Header=BB221_10 Depth=1
	s_or_b32 exec_lo, exec_lo, s40
.LBB221_193:                            ;   in Loop: Header=BB221_10 Depth=1
	s_delay_alu instid0(SALU_CYCLE_1)
	s_or_b32 exec_lo, exec_lo, s39
.LBB221_194:                            ;   in Loop: Header=BB221_10 Depth=1
	s_delay_alu instid0(SALU_CYCLE_1)
	s_or_b32 exec_lo, exec_lo, s3
	global_load_u8 v75, v[39:40], off offset:12
	v_dual_mov_b32 v39, 0 :: v_dual_mov_b32 v40, 0
	s_mov_b32 s3, exec_lo
	s_waitcnt vmcnt(0)
	v_cmpx_ne_u16_e32 0, v75
	s_cbranch_execz .LBB221_202
; %bb.195:                              ;   in Loop: Header=BB221_10 Depth=1
	v_bfrev_b32_e32 v40, 1
	s_mov_b32 s39, exec_lo
	v_cmpx_ne_u16_e32 0x80, v75
	s_cbranch_execz .LBB221_201
; %bb.196:                              ;   in Loop: Header=BB221_10 Depth=1
	v_and_b32_e32 v31, 0xffff, v75
	v_mov_b32_e32 v40, 0x7f800001
	s_mov_b32 s40, exec_lo
	s_delay_alu instid0(VALU_DEP_2) | instskip(NEXT) | instid1(VALU_DEP_1)
	v_and_b32_e32 v76, 0x7f, v31
	v_cmpx_ne_u32_e32 0x7f, v76
	s_cbranch_execz .LBB221_200
; %bb.197:                              ;   in Loop: Header=BB221_10 Depth=1
	v_and_b32_e32 v31, 7, v31
	v_lshrrev_b32_e32 v40, 3, v76
	s_mov_b32 s41, exec_lo
	v_cmpx_gt_u32_e32 8, v76
; %bb.198:                              ;   in Loop: Header=BB221_10 Depth=1
	s_delay_alu instid0(VALU_DEP_3) | instskip(NEXT) | instid1(VALU_DEP_1)
	v_clz_i32_u32_e32 v40, v31
	v_min_u32_e32 v40, 32, v40
	s_delay_alu instid0(VALU_DEP_1) | instskip(SKIP_1) | instid1(VALU_DEP_2)
	v_subrev_nc_u32_e32 v76, 28, v40
	v_sub_nc_u32_e32 v40, 29, v40
	v_lshlrev_b64 v[76:77], v76, v[31:32]
	s_delay_alu instid0(VALU_DEP_1)
	v_and_b32_e32 v31, 7, v76
; %bb.199:                              ;   in Loop: Header=BB221_10 Depth=1
	s_or_b32 exec_lo, exec_lo, s41
	v_lshlrev_b32_e32 v75, 24, v75
	s_delay_alu instid0(VALU_DEP_2) | instskip(SKIP_1) | instid1(VALU_DEP_3)
	v_lshlrev_b32_e32 v31, 20, v31
	v_lshl_add_u32 v40, v40, 23, 0x3c000000
	v_and_b32_e32 v75, 0x80000000, v75
	s_delay_alu instid0(VALU_DEP_1)
	v_or3_b32 v40, v31, v75, v40
.LBB221_200:                            ;   in Loop: Header=BB221_10 Depth=1
	s_or_b32 exec_lo, exec_lo, s40
.LBB221_201:                            ;   in Loop: Header=BB221_10 Depth=1
	s_delay_alu instid0(SALU_CYCLE_1)
	s_or_b32 exec_lo, exec_lo, s39
.LBB221_202:                            ;   in Loop: Header=BB221_10 Depth=1
	s_delay_alu instid0(SALU_CYCLE_1)
	s_or_b32 exec_lo, exec_lo, s3
	global_load_u8 v75, v[37:38], off offset:768
	s_mov_b32 s3, exec_lo
	s_waitcnt vmcnt(0)
	v_cmpx_ne_u16_e32 0, v75
	s_cbranch_execz .LBB221_210
; %bb.203:                              ;   in Loop: Header=BB221_10 Depth=1
	v_bfrev_b32_e32 v39, 1
	s_mov_b32 s39, exec_lo
	v_cmpx_ne_u16_e32 0x80, v75
	s_cbranch_execz .LBB221_209
; %bb.204:                              ;   in Loop: Header=BB221_10 Depth=1
	v_and_b32_e32 v31, 0xffff, v75
	v_mov_b32_e32 v39, 0x7f800001
	s_mov_b32 s40, exec_lo
	s_delay_alu instid0(VALU_DEP_2) | instskip(NEXT) | instid1(VALU_DEP_1)
	v_and_b32_e32 v76, 0x7f, v31
	v_cmpx_ne_u32_e32 0x7f, v76
	s_cbranch_execz .LBB221_208
; %bb.205:                              ;   in Loop: Header=BB221_10 Depth=1
	v_and_b32_e32 v31, 7, v31
	v_lshrrev_b32_e32 v39, 3, v76
	s_mov_b32 s41, exec_lo
	v_cmpx_gt_u32_e32 8, v76
; %bb.206:                              ;   in Loop: Header=BB221_10 Depth=1
	s_delay_alu instid0(VALU_DEP_3) | instskip(NEXT) | instid1(VALU_DEP_1)
	v_clz_i32_u32_e32 v39, v31
	v_min_u32_e32 v39, 32, v39
	s_delay_alu instid0(VALU_DEP_1) | instskip(SKIP_1) | instid1(VALU_DEP_2)
	v_subrev_nc_u32_e32 v76, 28, v39
	v_sub_nc_u32_e32 v39, 29, v39
	v_lshlrev_b64 v[76:77], v76, v[31:32]
	s_delay_alu instid0(VALU_DEP_1)
	v_and_b32_e32 v31, 7, v76
; %bb.207:                              ;   in Loop: Header=BB221_10 Depth=1
	s_or_b32 exec_lo, exec_lo, s41
	v_lshlrev_b32_e32 v75, 24, v75
	s_delay_alu instid0(VALU_DEP_2) | instskip(SKIP_1) | instid1(VALU_DEP_3)
	v_lshlrev_b32_e32 v31, 20, v31
	v_lshl_add_u32 v39, v39, 23, 0x3c000000
	v_and_b32_e32 v75, 0x80000000, v75
	s_delay_alu instid0(VALU_DEP_1)
	v_or3_b32 v39, v31, v75, v39
.LBB221_208:                            ;   in Loop: Header=BB221_10 Depth=1
	s_or_b32 exec_lo, exec_lo, s40
.LBB221_209:                            ;   in Loop: Header=BB221_10 Depth=1
	s_delay_alu instid0(SALU_CYCLE_1)
	s_or_b32 exec_lo, exec_lo, s39
.LBB221_210:                            ;   in Loop: Header=BB221_10 Depth=1
	s_delay_alu instid0(SALU_CYCLE_1)
	s_or_b32 exec_lo, exec_lo, s3
	global_load_u8 v77, v[37:38], off offset:772
	v_dual_mov_b32 v75, 0 :: v_dual_mov_b32 v76, 0
	s_mov_b32 s3, exec_lo
	s_waitcnt vmcnt(0)
	v_cmpx_ne_u16_e32 0, v77
	s_cbranch_execz .LBB221_218
; %bb.211:                              ;   in Loop: Header=BB221_10 Depth=1
	v_bfrev_b32_e32 v76, 1
	s_mov_b32 s39, exec_lo
	v_cmpx_ne_u16_e32 0x80, v77
	s_cbranch_execz .LBB221_217
; %bb.212:                              ;   in Loop: Header=BB221_10 Depth=1
	v_and_b32_e32 v31, 0xffff, v77
	v_mov_b32_e32 v76, 0x7f800001
	s_mov_b32 s40, exec_lo
	s_delay_alu instid0(VALU_DEP_2) | instskip(NEXT) | instid1(VALU_DEP_1)
	v_and_b32_e32 v78, 0x7f, v31
	v_cmpx_ne_u32_e32 0x7f, v78
	s_cbranch_execz .LBB221_216
; %bb.213:                              ;   in Loop: Header=BB221_10 Depth=1
	v_and_b32_e32 v31, 7, v31
	v_lshrrev_b32_e32 v76, 3, v78
	s_mov_b32 s41, exec_lo
	v_cmpx_gt_u32_e32 8, v78
; %bb.214:                              ;   in Loop: Header=BB221_10 Depth=1
	s_delay_alu instid0(VALU_DEP_3) | instskip(NEXT) | instid1(VALU_DEP_1)
	v_clz_i32_u32_e32 v76, v31
	v_min_u32_e32 v76, 32, v76
	s_delay_alu instid0(VALU_DEP_1) | instskip(SKIP_1) | instid1(VALU_DEP_2)
	v_subrev_nc_u32_e32 v78, 28, v76
	v_sub_nc_u32_e32 v76, 29, v76
	v_lshlrev_b64 v[78:79], v78, v[31:32]
	s_delay_alu instid0(VALU_DEP_1)
	v_and_b32_e32 v31, 7, v78
; %bb.215:                              ;   in Loop: Header=BB221_10 Depth=1
	s_or_b32 exec_lo, exec_lo, s41
	v_lshlrev_b32_e32 v77, 24, v77
	s_delay_alu instid0(VALU_DEP_2) | instskip(SKIP_1) | instid1(VALU_DEP_3)
	v_lshlrev_b32_e32 v31, 20, v31
	v_lshl_add_u32 v76, v76, 23, 0x3c000000
	v_and_b32_e32 v77, 0x80000000, v77
	s_delay_alu instid0(VALU_DEP_1)
	v_or3_b32 v76, v31, v77, v76
.LBB221_216:                            ;   in Loop: Header=BB221_10 Depth=1
	s_or_b32 exec_lo, exec_lo, s40
.LBB221_217:                            ;   in Loop: Header=BB221_10 Depth=1
	s_delay_alu instid0(SALU_CYCLE_1)
	s_or_b32 exec_lo, exec_lo, s39
.LBB221_218:                            ;   in Loop: Header=BB221_10 Depth=1
	s_delay_alu instid0(SALU_CYCLE_1) | instskip(SKIP_1) | instid1(VALU_DEP_1)
	s_or_b32 exec_lo, exec_lo, s3
	v_add_co_u32 v37, s1, 0x300, v37
	v_add_co_ci_u32_e64 v38, s1, 0, v38, s1
	s_mov_b32 s3, exec_lo
	global_load_u8 v77, v[37:38], off offset:8
	s_waitcnt vmcnt(0)
	v_cmpx_ne_u16_e32 0, v77
	s_cbranch_execz .LBB221_226
; %bb.219:                              ;   in Loop: Header=BB221_10 Depth=1
	v_bfrev_b32_e32 v75, 1
	s_mov_b32 s39, exec_lo
	v_cmpx_ne_u16_e32 0x80, v77
	s_cbranch_execz .LBB221_225
; %bb.220:                              ;   in Loop: Header=BB221_10 Depth=1
	v_and_b32_e32 v31, 0xffff, v77
	v_mov_b32_e32 v75, 0x7f800001
	s_mov_b32 s40, exec_lo
	s_delay_alu instid0(VALU_DEP_2) | instskip(NEXT) | instid1(VALU_DEP_1)
	v_and_b32_e32 v78, 0x7f, v31
	v_cmpx_ne_u32_e32 0x7f, v78
	s_cbranch_execz .LBB221_224
; %bb.221:                              ;   in Loop: Header=BB221_10 Depth=1
	v_and_b32_e32 v31, 7, v31
	v_lshrrev_b32_e32 v75, 3, v78
	s_mov_b32 s41, exec_lo
	v_cmpx_gt_u32_e32 8, v78
; %bb.222:                              ;   in Loop: Header=BB221_10 Depth=1
	s_delay_alu instid0(VALU_DEP_3) | instskip(NEXT) | instid1(VALU_DEP_1)
	v_clz_i32_u32_e32 v75, v31
	v_min_u32_e32 v75, 32, v75
	s_delay_alu instid0(VALU_DEP_1) | instskip(SKIP_1) | instid1(VALU_DEP_2)
	v_subrev_nc_u32_e32 v78, 28, v75
	v_sub_nc_u32_e32 v75, 29, v75
	v_lshlrev_b64 v[78:79], v78, v[31:32]
	s_delay_alu instid0(VALU_DEP_1)
	v_and_b32_e32 v31, 7, v78
; %bb.223:                              ;   in Loop: Header=BB221_10 Depth=1
	s_or_b32 exec_lo, exec_lo, s41
	v_lshlrev_b32_e32 v77, 24, v77
	s_delay_alu instid0(VALU_DEP_2) | instskip(SKIP_1) | instid1(VALU_DEP_3)
	v_lshlrev_b32_e32 v31, 20, v31
	v_lshl_add_u32 v75, v75, 23, 0x3c000000
	v_and_b32_e32 v77, 0x80000000, v77
	s_delay_alu instid0(VALU_DEP_1)
	v_or3_b32 v75, v31, v77, v75
.LBB221_224:                            ;   in Loop: Header=BB221_10 Depth=1
	s_or_b32 exec_lo, exec_lo, s40
.LBB221_225:                            ;   in Loop: Header=BB221_10 Depth=1
	s_delay_alu instid0(SALU_CYCLE_1)
	s_or_b32 exec_lo, exec_lo, s39
.LBB221_226:                            ;   in Loop: Header=BB221_10 Depth=1
	s_delay_alu instid0(SALU_CYCLE_1)
	s_or_b32 exec_lo, exec_lo, s3
	global_load_u8 v37, v[37:38], off offset:12
	v_mov_b32_e32 v31, 0
	s_mov_b32 s3, exec_lo
	s_waitcnt vmcnt(0)
	v_cmpx_ne_u16_e32 0, v37
	s_cbranch_execz .LBB221_234
; %bb.227:                              ;   in Loop: Header=BB221_10 Depth=1
	v_bfrev_b32_e32 v31, 1
	s_mov_b32 s39, exec_lo
	v_cmpx_ne_u16_e32 0x80, v37
	s_cbranch_execz .LBB221_233
; %bb.228:                              ;   in Loop: Header=BB221_10 Depth=1
	v_and_b32_e32 v38, 0xffff, v37
	v_mov_b32_e32 v31, 0x7f800001
	s_mov_b32 s40, exec_lo
	s_delay_alu instid0(VALU_DEP_2) | instskip(NEXT) | instid1(VALU_DEP_1)
	v_and_b32_e32 v77, 0x7f, v38
	v_cmpx_ne_u32_e32 0x7f, v77
	s_cbranch_execz .LBB221_232
; %bb.229:                              ;   in Loop: Header=BB221_10 Depth=1
	v_and_b32_e32 v31, 7, v38
	v_lshrrev_b32_e32 v38, 3, v77
	s_mov_b32 s41, exec_lo
	v_cmpx_gt_u32_e32 8, v77
; %bb.230:                              ;   in Loop: Header=BB221_10 Depth=1
	s_delay_alu instid0(VALU_DEP_3) | instskip(NEXT) | instid1(VALU_DEP_1)
	v_clz_i32_u32_e32 v38, v31
	v_min_u32_e32 v38, 32, v38
	s_delay_alu instid0(VALU_DEP_1) | instskip(SKIP_1) | instid1(VALU_DEP_2)
	v_subrev_nc_u32_e32 v77, 28, v38
	v_sub_nc_u32_e32 v38, 29, v38
	v_lshlrev_b64 v[77:78], v77, v[31:32]
	s_delay_alu instid0(VALU_DEP_1)
	v_and_b32_e32 v31, 7, v77
; %bb.231:                              ;   in Loop: Header=BB221_10 Depth=1
	s_or_b32 exec_lo, exec_lo, s41
	v_lshlrev_b32_e32 v37, 24, v37
	s_delay_alu instid0(VALU_DEP_2) | instskip(SKIP_1) | instid1(VALU_DEP_3)
	v_lshlrev_b32_e32 v31, 20, v31
	v_lshl_add_u32 v38, v38, 23, 0x3c000000
	v_and_b32_e32 v37, 0x80000000, v37
	s_delay_alu instid0(VALU_DEP_1)
	v_or3_b32 v31, v31, v37, v38
.LBB221_232:                            ;   in Loop: Header=BB221_10 Depth=1
	s_or_b32 exec_lo, exec_lo, s40
.LBB221_233:                            ;   in Loop: Header=BB221_10 Depth=1
	s_delay_alu instid0(SALU_CYCLE_1)
	s_or_b32 exec_lo, exec_lo, s39
.LBB221_234:                            ;   in Loop: Header=BB221_10 Depth=1
	s_delay_alu instid0(SALU_CYCLE_1) | instskip(SKIP_4) | instid1(VALU_DEP_3)
	s_or_b32 exec_lo, exec_lo, s3
	s_waitcnt lgkmcnt(0)
	v_dual_mul_f32 v37, s6, v54 :: v_dual_mul_f32 v38, s6, v52
	v_mul_f32_e32 v39, s6, v39
	v_mul_f32_e32 v31, s6, v31
	;; [unrolled: 1-line block ×3, first 2 shown]
	s_delay_alu instid0(VALU_DEP_1) | instskip(SKIP_1) | instid1(VALU_DEP_2)
	v_dual_mul_f32 v52, s6, v53 :: v_dual_fmac_f32 v37, v1, v38
	v_mul_f32_e32 v38, s6, v56
	v_dual_fmac_f32 v37, v3, v52 :: v_dual_mul_f32 v52, s6, v55
	s_delay_alu instid0(VALU_DEP_1) | instskip(NEXT) | instid1(VALU_DEP_1)
	v_fmac_f32_e32 v37, v4, v38
	v_dual_mul_f32 v38, s6, v58 :: v_dual_fmac_f32 v37, v5, v52
	s_delay_alu instid0(VALU_DEP_1) | instskip(SKIP_1) | instid1(VALU_DEP_2)
	v_dual_mul_f32 v52, s6, v57 :: v_dual_fmac_f32 v37, v6, v38
	v_mul_f32_e32 v38, s6, v60
	v_dual_fmac_f32 v37, v7, v52 :: v_dual_mul_f32 v52, s6, v59
	s_delay_alu instid0(VALU_DEP_1) | instskip(NEXT) | instid1(VALU_DEP_1)
	v_fmac_f32_e32 v37, v8, v38
	v_dual_mul_f32 v38, s6, v62 :: v_dual_fmac_f32 v37, v9, v52
	;; [unrolled: 7-line block ×5, first 2 shown]
	s_delay_alu instid0(VALU_DEP_1) | instskip(SKIP_1) | instid1(VALU_DEP_2)
	v_dual_mul_f32 v52, s6, v73 :: v_dual_fmac_f32 v37, v22, v38
	v_mul_f32_e32 v38, s6, v40
	v_fmac_f32_e32 v37, v23, v52
	s_delay_alu instid0(VALU_DEP_1) | instskip(NEXT) | instid1(VALU_DEP_1)
	v_dual_fmac_f32 v37, v24, v38 :: v_dual_mul_f32 v38, s6, v76
	v_fmac_f32_e32 v37, v25, v39
	v_mul_f32_e32 v39, s6, v75
	s_delay_alu instid0(VALU_DEP_2) | instskip(NEXT) | instid1(VALU_DEP_1)
	v_fmac_f32_e32 v37, v26, v38
	v_fmac_f32_e32 v37, v27, v39
	s_delay_alu instid0(VALU_DEP_1)
	v_fmac_f32_e32 v37, v28, v31
	ds_bpermute_b32 v31, v47, v37
	s_waitcnt lgkmcnt(0)
	v_add_f32_e32 v31, v37, v31
	ds_bpermute_b32 v37, v48, v31
	s_and_saveexec_b32 s3, vcc_lo
	s_cbranch_execz .LBB221_9
; %bb.235:                              ;   in Loop: Header=BB221_10 Depth=1
	s_waitcnt lgkmcnt(0)
	v_add_f32_e32 v31, v31, v37
	v_add_nc_u32_e32 v38, s8, v49
	v_cmp_gt_i32_e64 s1, s33, v49
	s_delay_alu instid0(VALU_DEP_2) | instskip(NEXT) | instid1(VALU_DEP_1)
	v_cvt_f32_i32_e32 v38, v38
	v_mul_f32_e32 v38, s37, v38
	s_delay_alu instid0(VALU_DEP_1) | instskip(NEXT) | instid1(VALU_DEP_1)
	v_cndmask_b32_e64 v37, 0, v38, s0
	v_dual_max_f32 v38, v46, v46 :: v_dual_fmac_f32 v37, s35, v31
	s_delay_alu instid0(VALU_DEP_1) | instskip(SKIP_1) | instid1(VALU_DEP_2)
	v_max_f32_e32 v31, v38, v37
	v_cndmask_b32_e64 v37, 0, v37, s1
	v_cndmask_b32_e64 v46, v46, v31, s1
	ds_store_b32 v50, v37
	s_branch .LBB221_9
.LBB221_236:
	s_or_b32 exec_lo, exec_lo, s9
.LBB221_237:
	s_delay_alu instid0(SALU_CYCLE_1) | instskip(SKIP_4) | instid1(VALU_DEP_4)
	s_or_b32 exec_lo, exec_lo, s7
	v_xor_b32_e32 v1, 16, v43
	v_xor_b32_e32 v3, 8, v43
	v_and_b32_e32 v21, 31, v0
	v_max_f32_e32 v5, v46, v46
	v_cmp_lt_i32_e32 vcc_lo, v1, v45
	v_cndmask_b32_e32 v1, v43, v1, vcc_lo
	v_cmp_lt_i32_e32 vcc_lo, v3, v45
	v_cndmask_b32_e32 v3, v43, v3, vcc_lo
	s_delay_alu instid0(VALU_DEP_1) | instskip(NEXT) | instid1(VALU_DEP_4)
	v_lshlrev_b32_e32 v4, 2, v3
	v_lshlrev_b32_e32 v2, 2, v1
	ds_bpermute_b32 v1, v2, v46
	s_waitcnt lgkmcnt(0)
	v_max_f32_e32 v1, v1, v1
	s_delay_alu instid0(VALU_DEP_1)
	v_max_f32_e32 v1, v5, v1
	v_xor_b32_e32 v5, 4, v43
	ds_bpermute_b32 v3, v4, v1
	v_cmp_lt_i32_e32 vcc_lo, v5, v45
	v_cndmask_b32_e32 v5, v43, v5, vcc_lo
	v_cmp_eq_u32_e32 vcc_lo, 0, v21
	s_delay_alu instid0(VALU_DEP_2) | instskip(SKIP_3) | instid1(VALU_DEP_1)
	v_lshlrev_b32_e32 v7, 2, v5
	v_lshlrev_b32_e32 v5, 2, v41
	s_waitcnt lgkmcnt(0)
	v_max_f32_e32 v3, v3, v3
	v_max_f32_e32 v1, v1, v3
	ds_bpermute_b32 v3, v7, v1
	s_and_saveexec_b32 s0, vcc_lo
	s_cbranch_execz .LBB221_239
; %bb.238:
	s_waitcnt lgkmcnt(0)
	v_max_f32_e32 v3, v3, v3
	v_max_f32_e32 v1, v1, v1
	s_delay_alu instid0(VALU_DEP_1)
	v_max_f32_e32 v1, v1, v3
	ds_store_b32 v5, v1 offset:448
.LBB221_239:
	s_or_b32 exec_lo, exec_lo, s0
	v_cmp_gt_u32_e64 s0, 4, v21
	v_dual_mov_b32 v1, 0xff7fffff :: v_dual_lshlrev_b32 v6, 2, v21
	s_waitcnt lgkmcnt(0)
	s_barrier
	buffer_gl0_inv
	s_and_saveexec_b32 s1, s0
	s_cbranch_execz .LBB221_241
; %bb.240:
	ds_load_b32 v1, v6 offset:448
.LBB221_241:
	s_or_b32 exec_lo, exec_lo, s1
	v_xor_b32_e32 v3, 2, v43
	v_xor_b32_e32 v9, 1, v43
	v_mov_b32_e32 v10, 0
	s_delay_alu instid0(VALU_DEP_3) | instskip(NEXT) | instid1(VALU_DEP_1)
	v_cmp_lt_i32_e64 s1, v3, v45
	v_cndmask_b32_e64 v3, v43, v3, s1
	s_delay_alu instid0(VALU_DEP_4) | instskip(NEXT) | instid1(VALU_DEP_2)
	v_cmp_lt_i32_e64 s1, v9, v45
	v_lshlrev_b32_e32 v8, 2, v3
	s_delay_alu instid0(VALU_DEP_2) | instskip(SKIP_1) | instid1(SALU_CYCLE_1)
	v_cndmask_b32_e64 v9, v43, v9, s1
	s_sub_i32 s1, s21, s4
	s_lshl_b32 s1, s1, 3
	s_waitcnt lgkmcnt(0)
	ds_bpermute_b32 v3, v8, v1
	v_max_f32_e32 v1, v1, v1
	v_lshlrev_b32_e32 v22, 2, v9
	v_lshlrev_b32_e32 v9, 2, v43
	s_add_i32 s1, s1, s36
	s_delay_alu instid0(SALU_CYCLE_1) | instskip(NEXT) | instid1(VALU_DEP_1)
	s_min_i32 s1, s1, s33
	v_and_b32_e32 v9, 0xffffff80, v9
	s_sub_i32 s4, s1, s36
	s_delay_alu instid0(SALU_CYCLE_1) | instskip(SKIP_2) | instid1(VALU_DEP_1)
	v_cmp_gt_i32_e64 s1, s4, v0
	s_waitcnt lgkmcnt(0)
	v_max_f32_e32 v3, v3, v3
	v_max_f32_e32 v1, v1, v3
	ds_bpermute_b32 v3, v22, v1
	s_waitcnt lgkmcnt(0)
	v_max_f32_e32 v3, v3, v3
	s_delay_alu instid0(VALU_DEP_1)
	v_max_f32_e32 v1, v1, v3
	v_lshl_add_u32 v3, v0, 2, 0x1e0
	ds_bpermute_b32 v1, v9, v1
	s_and_saveexec_b32 s6, s1
	s_cbranch_execz .LBB221_245
; %bb.242:
	v_lshl_add_u32 v11, v0, 2, 0x1e0
	v_mov_b32_e32 v10, 0
	v_mov_b32_e32 v12, v0
	s_mov_b32 s7, 0
	.p2align	6
.LBB221_243:                            ; =>This Inner Loop Header: Depth=1
	ds_load_b32 v13, v11
	v_add_nc_u32_e32 v12, 0x80, v12
	s_delay_alu instid0(VALU_DEP_1) | instskip(NEXT) | instid1(VALU_DEP_1)
	v_cmp_le_i32_e64 s3, s4, v12
	s_or_b32 s7, s3, s7
	s_waitcnt lgkmcnt(0)
	v_sub_f32_e32 v13, v13, v1
	s_delay_alu instid0(VALU_DEP_1) | instskip(NEXT) | instid1(VALU_DEP_1)
	v_mul_f32_e32 v13, 0x3fb8aa3b, v13
	v_exp_f32_e32 v13, v13
	ds_store_b32 v11, v13
	v_dual_add_f32 v10, v10, v13 :: v_dual_add_nc_u32 v11, 0x200, v11
	s_and_not1_b32 exec_lo, exec_lo, s7
	s_cbranch_execnz .LBB221_243
; %bb.244:
	s_or_b32 exec_lo, exec_lo, s7
.LBB221_245:
	s_delay_alu instid0(SALU_CYCLE_1)
	s_or_b32 exec_lo, exec_lo, s6
	ds_bpermute_b32 v2, v2, v10
	s_waitcnt lgkmcnt(0)
	v_add_f32_e32 v2, v10, v2
	ds_bpermute_b32 v4, v4, v2
	s_waitcnt lgkmcnt(0)
	v_add_f32_e32 v2, v2, v4
	;; [unrolled: 3-line block ×5, first 2 shown]
	s_and_saveexec_b32 s3, vcc_lo
	s_cbranch_execz .LBB221_247
; %bb.246:
	ds_store_b32 v5, v2 offset:464
.LBB221_247:
	s_or_b32 exec_lo, exec_lo, s3
	s_waitcnt lgkmcnt(0)
	s_barrier
	buffer_gl0_inv
	s_and_saveexec_b32 s3, s0
	s_cbranch_execz .LBB221_249
; %bb.248:
	ds_load_b32 v2, v6 offset:464
.LBB221_249:
	s_or_b32 exec_lo, exec_lo, s3
	s_waitcnt lgkmcnt(0)
	ds_bpermute_b32 v4, v8, v2
	s_waitcnt lgkmcnt(0)
	v_add_f32_e32 v2, v2, v4
	ds_bpermute_b32 v4, v22, v2
	s_waitcnt lgkmcnt(0)
	v_add_f32_e32 v2, v2, v4
	ds_bpermute_b32 v2, v9, v2
	s_and_saveexec_b32 s0, s1
	s_cbranch_execz .LBB221_252
; %bb.250:
	s_waitcnt lgkmcnt(0)
	v_add_f32_e32 v4, 0x358637bd, v2
	s_mov_b32 s1, 0
	s_delay_alu instid0(VALU_DEP_1) | instskip(SKIP_1) | instid1(VALU_DEP_2)
	v_div_scale_f32 v5, null, v4, v4, 1.0
	v_div_scale_f32 v8, vcc_lo, 1.0, v4, 1.0
	v_rcp_f32_e32 v6, v5
	s_waitcnt_depctr 0xfff
	v_fma_f32 v7, -v5, v6, 1.0
	s_delay_alu instid0(VALU_DEP_1) | instskip(NEXT) | instid1(VALU_DEP_1)
	v_fmac_f32_e32 v6, v7, v6
	v_mul_f32_e32 v7, v8, v6
	s_delay_alu instid0(VALU_DEP_1) | instskip(NEXT) | instid1(VALU_DEP_1)
	v_fma_f32 v9, -v5, v7, v8
	v_fmac_f32_e32 v7, v9, v6
	s_delay_alu instid0(VALU_DEP_1) | instskip(NEXT) | instid1(VALU_DEP_1)
	v_fma_f32 v5, -v5, v7, v8
	v_div_fmas_f32 v5, v5, v6, v7
	s_delay_alu instid0(VALU_DEP_1)
	v_div_fixup_f32 v4, v5, v4, 1.0
	v_mov_b32_e32 v5, v0
.LBB221_251:                            ; =>This Inner Loop Header: Depth=1
	ds_load_b32 v6, v3
	s_waitcnt lgkmcnt(0)
	v_dual_mul_f32 v6, v4, v6 :: v_dual_add_nc_u32 v5, 0x80, v5
	s_delay_alu instid0(VALU_DEP_1) | instskip(SKIP_3) | instid1(SALU_CYCLE_1)
	v_cmp_le_i32_e32 vcc_lo, s4, v5
	ds_store_b32 v3, v6
	v_add_nc_u32_e32 v3, 0x200, v3
	s_or_b32 s1, vcc_lo, s1
	s_and_not1_b32 exec_lo, exec_lo, s1
	s_cbranch_execnz .LBB221_251
.LBB221_252:
	s_or_b32 exec_lo, exec_lo, s0
	s_mul_i32 s0, s15, s14
	s_waitcnt lgkmcnt(0)
	s_mul_i32 s6, s0, s13
	s_mov_b32 s0, exec_lo
	s_barrier
	buffer_gl0_inv
	v_cmpx_eq_u32_e32 0, v0
	s_cbranch_execz .LBB221_254
; %bb.253:
	s_ashr_i32 s7, s6, 31
	s_mul_i32 s38, s15, s24
	s_lshl_b64 s[8:9], s[6:7], 2
	v_mov_b32_e32 v3, 0
	s_add_u32 s1, s18, s8
	s_addc_u32 s3, s19, s9
	s_ashr_i32 s39, s38, 31
	s_delay_alu instid0(SALU_CYCLE_1) | instskip(NEXT) | instid1(SALU_CYCLE_1)
	s_lshl_b64 s[18:19], s[38:39], 2
	s_add_u32 s1, s1, s18
	s_addc_u32 s3, s3, s19
	s_ashr_i32 s13, s12, 31
	s_delay_alu instid0(SALU_CYCLE_1) | instskip(NEXT) | instid1(SALU_CYCLE_1)
	s_lshl_b64 s[38:39], s[12:13], 2
	s_add_u32 s40, s1, s38
	s_addc_u32 s41, s3, s39
	s_add_u32 s1, s16, s8
	s_addc_u32 s3, s17, s9
	;; [unrolled: 2-line block ×4, first 2 shown]
	s_clause 0x1
	global_store_b32 v3, v1, s[40:41]
	global_store_b32 v3, v2, s[8:9]
.LBB221_254:
	s_or_b32 exec_lo, exec_lo, s0
	v_dual_mov_b32 v24, 0 :: v_dual_and_b32 v23, 1, v0
	v_dual_mov_b32 v25, 0 :: v_dual_mov_b32 v26, 0
	v_dual_mov_b32 v27, 0 :: v_dual_mov_b32 v28, 0
	;; [unrolled: 1-line block ×3, first 2 shown]
	s_mov_b32 s4, 0
	s_and_saveexec_b32 s1, s2
	s_cbranch_execz .LBB221_496
; %bb.255:
	s_load_b32 s7, s[10:11], 0x0
	v_dual_mov_b32 v32, 0 :: v_dual_lshlrev_b32 v7, 4, v23
	v_dual_mov_b32 v31, 0 :: v_dual_and_b32 v4, 0x7c, v42
	s_ashr_i32 s0, s34, 31
	s_mov_b32 s8, s5
	v_lshlrev_b64 v[1:2], 2, v[29:30]
	s_add_u32 s5, s30, s34
	v_lshl_or_b32 v9, v41, 5, v7
	s_addc_u32 s0, s31, s0
	s_lshl_b64 s[2:3], s[28:29], 2
	v_add_co_u32 v7, s5, s5, v4
	v_dual_mov_b32 v6, 0 :: v_dual_and_b32 v3, 4, v42
	v_lshl_add_u32 v5, v41, 3, s36
	s_add_i32 s25, s25, -1
	v_add_co_ci_u32_e64 v8, null, s0, 0, s5
	s_add_u32 s0, s26, s2
	v_dual_mov_b32 v28, 0 :: v_dual_add_nc_u32 v33, 0x1e0, v9
	s_addc_u32 s2, s27, s3
	v_add_co_u32 v9, vcc_lo, s0, v1
	v_add3_u32 v30, v5, v3, 3
	v_add_co_ci_u32_e32 v10, vcc_lo, s2, v2, vcc_lo
	v_dual_mov_b32 v27, 0 :: v_dual_mov_b32 v26, 0
	v_dual_mov_b32 v25, 0 :: v_dual_mov_b32 v24, 0
	s_waitcnt lgkmcnt(0)
	s_mov_b32 s9, s7
	s_brev_b32 s5, 1
	s_mov_b32 s3, 0x7f800001
	s_mov_b32 s10, s4
	s_branch .LBB221_257
.LBB221_256:                            ;   in Loop: Header=BB221_257 Depth=1
	s_or_b32 exec_lo, exec_lo, s0
	s_waitcnt lgkmcnt(0)
	v_mul_f32_e32 v15, v2, v45
	v_mul_f32_e32 v14, v2, v37
	v_add_co_u32 v9, s0, v9, 16
	s_delay_alu instid0(VALU_DEP_3) | instskip(SKIP_1) | instid1(VALU_DEP_4)
	v_dual_fmac_f32 v15, v1, v44 :: v_dual_add_nc_u32 v30, 32, v30
	v_mul_f32_e32 v16, v2, v49
	v_dual_fmac_f32 v14, v1, v36 :: v_dual_mul_f32 v17, v2, v53
	v_add_co_ci_u32_e64 v10, s0, 0, v10, s0
	s_delay_alu instid0(VALU_DEP_4) | instskip(NEXT) | instid1(VALU_DEP_3)
	v_fmac_f32_e32 v15, v3, v43
	v_fmac_f32_e32 v14, v3, v35
	v_mul_f32_e32 v36, v2, v59
	v_dual_mul_f32 v18, v2, v57 :: v_dual_fmac_f32 v17, v1, v52
	s_delay_alu instid0(VALU_DEP_4) | instskip(NEXT) | instid1(VALU_DEP_3)
	v_dual_fmac_f32 v15, v4, v42 :: v_dual_mul_f32 v2, v2, v13
	v_dual_fmac_f32 v36, v1, v58 :: v_dual_add_nc_u32 v29, 4, v29
	s_delay_alu instid0(VALU_DEP_3) | instskip(NEXT) | instid1(VALU_DEP_3)
	v_dual_fmac_f32 v16, v1, v48 :: v_dual_fmac_f32 v17, v3, v51
	v_dual_fmac_f32 v18, v1, v56 :: v_dual_add_f32 v31, v31, v15
	s_delay_alu instid0(VALU_DEP_4) | instskip(NEXT) | instid1(VALU_DEP_3)
	v_dual_fmac_f32 v2, v1, v12 :: v_dual_add_nc_u32 v33, 0x80, v33
	v_dual_fmac_f32 v36, v3, v20 :: v_dual_fmac_f32 v17, v4, v50
	s_delay_alu instid0(VALU_DEP_3) | instskip(NEXT) | instid1(VALU_DEP_3)
	v_fmac_f32_e32 v18, v3, v55
	v_fmac_f32_e32 v2, v3, v11
	;; [unrolled: 1-line block ×3, first 2 shown]
	s_delay_alu instid0(VALU_DEP_4) | instskip(SKIP_2) | instid1(VALU_DEP_3)
	v_dual_fmac_f32 v36, v4, v19 :: v_dual_add_f32 v27, v27, v17
	v_fmac_f32_e32 v16, v3, v47
	v_fmac_f32_e32 v18, v4, v54
	v_dual_fmac_f32 v2, v4, v5 :: v_dual_add_f32 v25, v25, v36
	v_cmp_le_i32_e32 vcc_lo, s21, v29
	s_delay_alu instid0(VALU_DEP_4)
	v_fmac_f32_e32 v16, v4, v46
	v_add_f32_e32 v32, v32, v14
	v_add_f32_e32 v26, v26, v18
	;; [unrolled: 1-line block ×3, first 2 shown]
	s_or_b32 s10, vcc_lo, s10
	v_add_f32_e32 v28, v28, v16
	s_and_not1_b32 exec_lo, exec_lo, s10
	s_cbranch_execz .LBB221_495
.LBB221_257:                            ; =>This Inner Loop Header: Depth=1
	global_load_b32 v1, v[9:10], off
	v_mov_b32_e32 v15, 0
	s_mov_b32 s0, exec_lo
	s_waitcnt vmcnt(0)
	v_mad_i64_i32 v[11:12], null, v1, s8, v[7:8]
	ds_load_b128 v[1:4], v33
	global_load_b32 v34, v[11:12], off
	s_waitcnt vmcnt(0)
	v_dual_mov_b32 v16, 0 :: v_dual_and_b32 v5, 0xff, v34
	s_delay_alu instid0(VALU_DEP_1) | instskip(NEXT) | instid1(VALU_DEP_2)
	v_dual_mov_b32 v13, v15 :: v_dual_mov_b32 v14, v16
	v_cmpx_ne_u16_e32 0, v5
	s_cbranch_execz .LBB221_265
; %bb.258:                              ;   in Loop: Header=BB221_257 Depth=1
	v_bfrev_b32_e32 v13, 1
	v_mov_b32_e32 v14, 0
	s_mov_b32 s2, exec_lo
	v_cmpx_ne_u16_e32 0x80, v5
	s_cbranch_execz .LBB221_264
; %bb.259:                              ;   in Loop: Header=BB221_257 Depth=1
	v_mov_b32_e32 v13, 0x7f800001
	v_dual_mov_b32 v14, 0 :: v_dual_and_b32 v17, 0x7f, v34
	s_mov_b32 s11, exec_lo
	s_delay_alu instid0(VALU_DEP_1)
	v_cmpx_ne_u32_e32 0x7f, v17
	s_cbranch_execz .LBB221_263
; %bb.260:                              ;   in Loop: Header=BB221_257 Depth=1
	v_and_b32_e32 v5, 7, v34
	v_lshrrev_b32_e32 v13, 3, v17
	s_mov_b32 s13, exec_lo
	v_cmpx_gt_u32_e32 8, v17
; %bb.261:                              ;   in Loop: Header=BB221_257 Depth=1
	s_delay_alu instid0(VALU_DEP_3) | instskip(NEXT) | instid1(VALU_DEP_1)
	v_clz_i32_u32_e32 v13, v5
	v_min_u32_e32 v13, 32, v13
	s_delay_alu instid0(VALU_DEP_1) | instskip(SKIP_1) | instid1(VALU_DEP_2)
	v_subrev_nc_u32_e32 v14, 28, v13
	v_sub_nc_u32_e32 v13, 29, v13
	v_lshlrev_b64 v[17:18], v14, v[5:6]
	s_delay_alu instid0(VALU_DEP_1)
	v_and_b32_e32 v5, 7, v17
; %bb.262:                              ;   in Loop: Header=BB221_257 Depth=1
	s_or_b32 exec_lo, exec_lo, s13
	v_lshlrev_b32_e32 v14, 24, v34
	s_delay_alu instid0(VALU_DEP_2) | instskip(SKIP_1) | instid1(VALU_DEP_3)
	v_lshlrev_b32_e32 v5, 20, v5
	v_lshl_add_u32 v13, v13, 23, 0x3c000000
	v_and_b32_e32 v14, 0x80000000, v14
	s_delay_alu instid0(VALU_DEP_1) | instskip(NEXT) | instid1(VALU_DEP_1)
	v_or3_b32 v5, v5, v14, v13
	v_dual_mov_b32 v14, v6 :: v_dual_mov_b32 v13, v5
.LBB221_263:                            ;   in Loop: Header=BB221_257 Depth=1
	s_or_b32 exec_lo, exec_lo, s11
.LBB221_264:                            ;   in Loop: Header=BB221_257 Depth=1
	s_delay_alu instid0(SALU_CYCLE_1)
	s_or_b32 exec_lo, exec_lo, s2
.LBB221_265:                            ;   in Loop: Header=BB221_257 Depth=1
	s_delay_alu instid0(SALU_CYCLE_1) | instskip(SKIP_2) | instid1(VALU_DEP_1)
	s_or_b32 exec_lo, exec_lo, s0
	v_lshrrev_b16 v5, 8, v34
	s_mov_b32 s0, exec_lo
	v_cmpx_ne_u16_e32 0, v5
	s_cbranch_execz .LBB221_273
; %bb.266:                              ;   in Loop: Header=BB221_257 Depth=1
	v_dual_mov_b32 v16, s5 :: v_dual_mov_b32 v15, s4
	s_mov_b32 s11, exec_lo
	v_cmpx_ne_u16_e32 0x80, v5
	s_cbranch_execz .LBB221_272
; %bb.267:                              ;   in Loop: Header=BB221_257 Depth=1
	s_mov_b32 s2, s4
	v_dual_mov_b32 v16, s3 :: v_dual_and_b32 v5, 0xffff, v5
	v_mov_b32_e32 v15, s2
	s_mov_b32 s2, exec_lo
	s_delay_alu instid0(VALU_DEP_2) | instskip(NEXT) | instid1(VALU_DEP_1)
	v_and_b32_e32 v17, 0x7f, v5
	v_cmpx_ne_u32_e32 0x7f, v17
	s_cbranch_execz .LBB221_271
; %bb.268:                              ;   in Loop: Header=BB221_257 Depth=1
	v_and_b32_e32 v5, 7, v5
	v_lshrrev_b32_e32 v15, 3, v17
	s_mov_b32 s13, exec_lo
	v_cmpx_gt_u32_e32 8, v17
; %bb.269:                              ;   in Loop: Header=BB221_257 Depth=1
	s_delay_alu instid0(VALU_DEP_3) | instskip(NEXT) | instid1(VALU_DEP_1)
	v_clz_i32_u32_e32 v15, v5
	v_min_u32_e32 v15, 32, v15
	s_delay_alu instid0(VALU_DEP_1) | instskip(SKIP_1) | instid1(VALU_DEP_2)
	v_subrev_nc_u32_e32 v16, 28, v15
	v_sub_nc_u32_e32 v15, 29, v15
	v_lshlrev_b64 v[16:17], v16, v[5:6]
	s_delay_alu instid0(VALU_DEP_1)
	v_and_b32_e32 v5, 7, v16
; %bb.270:                              ;   in Loop: Header=BB221_257 Depth=1
	s_or_b32 exec_lo, exec_lo, s13
	v_lshlrev_b32_e32 v16, 16, v34
	s_delay_alu instid0(VALU_DEP_2) | instskip(SKIP_1) | instid1(VALU_DEP_3)
	v_lshlrev_b32_e32 v5, 20, v5
	v_lshl_add_u32 v15, v15, 23, 0x3c000000
	v_and_b32_e32 v16, 0x80000000, v16
	s_delay_alu instid0(VALU_DEP_1)
	v_or3_b32 v16, v5, v16, v15
	v_mov_b32_e32 v15, v6
.LBB221_271:                            ;   in Loop: Header=BB221_257 Depth=1
	s_or_b32 exec_lo, exec_lo, s2
.LBB221_272:                            ;   in Loop: Header=BB221_257 Depth=1
	s_delay_alu instid0(SALU_CYCLE_1)
	s_or_b32 exec_lo, exec_lo, s11
.LBB221_273:                            ;   in Loop: Header=BB221_257 Depth=1
	s_delay_alu instid0(SALU_CYCLE_1) | instskip(SKIP_4) | instid1(VALU_DEP_2)
	s_or_b32 exec_lo, exec_lo, s0
	v_mov_b32_e32 v19, 0
	v_lshrrev_b32_e32 v35, 16, v34
	v_mov_b32_e32 v20, 0
	s_mov_b32 s0, exec_lo
	v_and_b32_e32 v5, 0xff, v35
	s_delay_alu instid0(VALU_DEP_2) | instskip(NEXT) | instid1(VALU_DEP_2)
	v_dual_mov_b32 v17, v19 :: v_dual_mov_b32 v18, v20
	v_cmpx_ne_u16_e32 0, v5
	s_cbranch_execz .LBB221_281
; %bb.274:                              ;   in Loop: Header=BB221_257 Depth=1
	v_bfrev_b32_e32 v17, 1
	v_mov_b32_e32 v18, 0
	s_mov_b32 s2, exec_lo
	v_cmpx_ne_u16_e32 0x80, v5
	s_cbranch_execz .LBB221_280
; %bb.275:                              ;   in Loop: Header=BB221_257 Depth=1
	v_mov_b32_e32 v17, 0x7f800001
	v_bfe_u32 v36, v34, 16, 7
	v_mov_b32_e32 v18, 0
	s_mov_b32 s11, exec_lo
	s_delay_alu instid0(VALU_DEP_2)
	v_cmpx_ne_u32_e32 0x7f, v36
	s_cbranch_execz .LBB221_279
; %bb.276:                              ;   in Loop: Header=BB221_257 Depth=1
	v_and_b32_e32 v5, 7, v35
	v_lshrrev_b32_e32 v17, 3, v36
	s_mov_b32 s13, exec_lo
	v_cmpx_gt_u32_e32 8, v36
; %bb.277:                              ;   in Loop: Header=BB221_257 Depth=1
	s_delay_alu instid0(VALU_DEP_3) | instskip(NEXT) | instid1(VALU_DEP_1)
	v_clz_i32_u32_e32 v17, v5
	v_min_u32_e32 v17, 32, v17
	s_delay_alu instid0(VALU_DEP_1) | instskip(SKIP_1) | instid1(VALU_DEP_2)
	v_subrev_nc_u32_e32 v18, 28, v17
	v_sub_nc_u32_e32 v17, 29, v17
	v_lshlrev_b64 v[36:37], v18, v[5:6]
	s_delay_alu instid0(VALU_DEP_1)
	v_and_b32_e32 v5, 7, v36
; %bb.278:                              ;   in Loop: Header=BB221_257 Depth=1
	s_or_b32 exec_lo, exec_lo, s13
	v_lshlrev_b32_e32 v18, 24, v35
	s_delay_alu instid0(VALU_DEP_2) | instskip(SKIP_1) | instid1(VALU_DEP_3)
	v_lshlrev_b32_e32 v5, 20, v5
	v_lshl_add_u32 v17, v17, 23, 0x3c000000
	v_and_b32_e32 v18, 0x80000000, v18
	s_delay_alu instid0(VALU_DEP_1) | instskip(NEXT) | instid1(VALU_DEP_1)
	v_or3_b32 v5, v5, v18, v17
	v_dual_mov_b32 v18, v6 :: v_dual_mov_b32 v17, v5
.LBB221_279:                            ;   in Loop: Header=BB221_257 Depth=1
	s_or_b32 exec_lo, exec_lo, s11
.LBB221_280:                            ;   in Loop: Header=BB221_257 Depth=1
	s_delay_alu instid0(SALU_CYCLE_1)
	s_or_b32 exec_lo, exec_lo, s2
.LBB221_281:                            ;   in Loop: Header=BB221_257 Depth=1
	s_delay_alu instid0(SALU_CYCLE_1) | instskip(NEXT) | instid1(SALU_CYCLE_1)
	s_or_b32 exec_lo, exec_lo, s0
	s_mov_b32 s0, exec_lo
	v_cmpx_lt_u32_e32 0xffffff, v34
	s_cbranch_execz .LBB221_289
; %bb.282:                              ;   in Loop: Header=BB221_257 Depth=1
	v_lshrrev_b32_e32 v35, 24, v34
	v_dual_mov_b32 v20, s5 :: v_dual_mov_b32 v19, s4
	s_mov_b32 s11, exec_lo
	s_delay_alu instid0(VALU_DEP_2)
	v_cmpx_ne_u32_e32 0x80, v35
	s_cbranch_execz .LBB221_288
; %bb.283:                              ;   in Loop: Header=BB221_257 Depth=1
	s_mov_b32 s2, s4
	v_bfe_u32 v34, v34, 24, 7
	v_dual_mov_b32 v20, s3 :: v_dual_mov_b32 v19, s2
	s_mov_b32 s2, exec_lo
	s_delay_alu instid0(VALU_DEP_2)
	v_cmpx_ne_u32_e32 0x7f, v34
	s_cbranch_execz .LBB221_287
; %bb.284:                              ;   in Loop: Header=BB221_257 Depth=1
	v_and_b32_e32 v5, 7, v35
	v_lshrrev_b32_e32 v19, 3, v34
	s_mov_b32 s13, exec_lo
	v_cmpx_gt_u32_e32 8, v34
; %bb.285:                              ;   in Loop: Header=BB221_257 Depth=1
	s_delay_alu instid0(VALU_DEP_3) | instskip(NEXT) | instid1(VALU_DEP_1)
	v_clz_i32_u32_e32 v19, v5
	v_min_u32_e32 v19, 32, v19
	s_delay_alu instid0(VALU_DEP_1) | instskip(SKIP_1) | instid1(VALU_DEP_2)
	v_subrev_nc_u32_e32 v20, 28, v19
	v_sub_nc_u32_e32 v19, 29, v19
	v_lshlrev_b64 v[36:37], v20, v[5:6]
	s_delay_alu instid0(VALU_DEP_1)
	v_and_b32_e32 v5, 7, v36
; %bb.286:                              ;   in Loop: Header=BB221_257 Depth=1
	s_or_b32 exec_lo, exec_lo, s13
	v_lshlrev_b32_e32 v20, 24, v35
	s_delay_alu instid0(VALU_DEP_2) | instskip(SKIP_1) | instid1(VALU_DEP_3)
	v_lshlrev_b32_e32 v5, 20, v5
	v_lshl_add_u32 v19, v19, 23, 0x3c000000
	v_and_b32_e32 v20, 0x80000000, v20
	s_delay_alu instid0(VALU_DEP_1)
	v_or3_b32 v20, v5, v20, v19
	v_mov_b32_e32 v19, v6
.LBB221_287:                            ;   in Loop: Header=BB221_257 Depth=1
	s_or_b32 exec_lo, exec_lo, s2
.LBB221_288:                            ;   in Loop: Header=BB221_257 Depth=1
	s_delay_alu instid0(SALU_CYCLE_1)
	s_or_b32 exec_lo, exec_lo, s11
.LBB221_289:                            ;   in Loop: Header=BB221_257 Depth=1
	s_delay_alu instid0(SALU_CYCLE_1) | instskip(SKIP_4) | instid1(VALU_DEP_4)
	s_or_b32 exec_lo, exec_lo, s0
	v_or_b32_e32 v5, v16, v14
	v_or_b32_e32 v13, v15, v13
	v_or_b32_e32 v14, v20, v18
	v_or_b32_e32 v15, v19, v17
	v_dual_mul_f32 v37, s9, v5 :: v_dual_add_nc_u32 v38, -3, v30
	v_cmp_eq_u32_e32 vcc_lo, s25, v29
	s_delay_alu instid0(VALU_DEP_3)
	v_dual_mul_f32 v36, s7, v13 :: v_dual_mul_f32 v35, s7, v15
	v_mul_f32_e32 v34, s9, v14
	v_add_nc_u32_e32 v40, -2, v30
	v_add_nc_u32_e32 v39, -1, v30
	s_and_saveexec_b32 s2, vcc_lo
; %bb.290:                              ;   in Loop: Header=BB221_257 Depth=1
	v_cmp_gt_i32_e64 s0, s33, v38
	s_delay_alu instid0(VALU_DEP_1) | instskip(SKIP_1) | instid1(VALU_DEP_1)
	v_cndmask_b32_e64 v36, 0, v36, s0
	v_cmp_gt_i32_e64 s0, s33, v40
	v_cndmask_b32_e64 v37, 0, v37, s0
	v_cmp_gt_i32_e64 s0, s33, v39
	s_delay_alu instid0(VALU_DEP_1) | instskip(SKIP_1) | instid1(VALU_DEP_1)
	v_cndmask_b32_e64 v35, 0, v35, s0
	v_cmp_gt_i32_e64 s0, s33, v30
	v_cndmask_b32_e64 v34, 0, v34, s0
; %bb.291:                              ;   in Loop: Header=BB221_257 Depth=1
	s_or_b32 exec_lo, exec_lo, s2
	global_load_b32 v42, v[11:12], off offset:128
	v_mov_b32_e32 v15, 0
	v_mov_b32_e32 v16, 0
	s_mov_b32 s2, exec_lo
	s_waitcnt vmcnt(0)
	v_and_b32_e32 v5, 0xff, v42
	s_delay_alu instid0(VALU_DEP_2) | instskip(NEXT) | instid1(VALU_DEP_2)
	v_dual_mov_b32 v13, v15 :: v_dual_mov_b32 v14, v16
	v_cmpx_ne_u16_e32 0, v5
	s_cbranch_execz .LBB221_299
; %bb.292:                              ;   in Loop: Header=BB221_257 Depth=1
	v_bfrev_b32_e32 v13, 1
	v_mov_b32_e32 v14, 0
	s_mov_b32 s11, exec_lo
	v_cmpx_ne_u16_e32 0x80, v5
	s_cbranch_execz .LBB221_298
; %bb.293:                              ;   in Loop: Header=BB221_257 Depth=1
	v_mov_b32_e32 v13, 0x7f800001
	v_dual_mov_b32 v14, 0 :: v_dual_and_b32 v17, 0x7f, v42
	s_mov_b32 s13, exec_lo
	s_delay_alu instid0(VALU_DEP_1)
	v_cmpx_ne_u32_e32 0x7f, v17
	s_cbranch_execz .LBB221_297
; %bb.294:                              ;   in Loop: Header=BB221_257 Depth=1
	v_and_b32_e32 v5, 7, v42
	v_lshrrev_b32_e32 v13, 3, v17
	s_mov_b32 s14, exec_lo
	v_cmpx_gt_u32_e32 8, v17
; %bb.295:                              ;   in Loop: Header=BB221_257 Depth=1
	s_delay_alu instid0(VALU_DEP_3) | instskip(NEXT) | instid1(VALU_DEP_1)
	v_clz_i32_u32_e32 v13, v5
	v_min_u32_e32 v13, 32, v13
	s_delay_alu instid0(VALU_DEP_1) | instskip(SKIP_1) | instid1(VALU_DEP_2)
	v_subrev_nc_u32_e32 v14, 28, v13
	v_sub_nc_u32_e32 v13, 29, v13
	v_lshlrev_b64 v[17:18], v14, v[5:6]
	s_delay_alu instid0(VALU_DEP_1)
	v_and_b32_e32 v5, 7, v17
; %bb.296:                              ;   in Loop: Header=BB221_257 Depth=1
	s_or_b32 exec_lo, exec_lo, s14
	v_lshlrev_b32_e32 v14, 24, v42
	s_delay_alu instid0(VALU_DEP_2) | instskip(SKIP_1) | instid1(VALU_DEP_3)
	v_lshlrev_b32_e32 v5, 20, v5
	v_lshl_add_u32 v13, v13, 23, 0x3c000000
	v_and_b32_e32 v14, 0x80000000, v14
	s_delay_alu instid0(VALU_DEP_1) | instskip(NEXT) | instid1(VALU_DEP_1)
	v_or3_b32 v5, v5, v14, v13
	v_dual_mov_b32 v14, v6 :: v_dual_mov_b32 v13, v5
.LBB221_297:                            ;   in Loop: Header=BB221_257 Depth=1
	s_or_b32 exec_lo, exec_lo, s13
.LBB221_298:                            ;   in Loop: Header=BB221_257 Depth=1
	s_delay_alu instid0(SALU_CYCLE_1)
	s_or_b32 exec_lo, exec_lo, s11
.LBB221_299:                            ;   in Loop: Header=BB221_257 Depth=1
	s_delay_alu instid0(SALU_CYCLE_1) | instskip(SKIP_2) | instid1(VALU_DEP_1)
	s_or_b32 exec_lo, exec_lo, s2
	v_lshrrev_b16 v5, 8, v42
	s_mov_b32 s11, exec_lo
	v_cmpx_ne_u16_e32 0, v5
	s_cbranch_execz .LBB221_307
; %bb.300:                              ;   in Loop: Header=BB221_257 Depth=1
	v_dual_mov_b32 v16, s5 :: v_dual_mov_b32 v15, s4
	s_mov_b32 s13, exec_lo
	v_cmpx_ne_u16_e32 0x80, v5
	s_cbranch_execz .LBB221_306
; %bb.301:                              ;   in Loop: Header=BB221_257 Depth=1
	s_mov_b32 s2, s4
	v_dual_mov_b32 v16, s3 :: v_dual_and_b32 v5, 0xffff, v5
	v_mov_b32_e32 v15, s2
	s_mov_b32 s2, exec_lo
	s_delay_alu instid0(VALU_DEP_2) | instskip(NEXT) | instid1(VALU_DEP_1)
	v_and_b32_e32 v17, 0x7f, v5
	v_cmpx_ne_u32_e32 0x7f, v17
	s_cbranch_execz .LBB221_305
; %bb.302:                              ;   in Loop: Header=BB221_257 Depth=1
	v_and_b32_e32 v5, 7, v5
	v_lshrrev_b32_e32 v15, 3, v17
	s_mov_b32 s14, exec_lo
	v_cmpx_gt_u32_e32 8, v17
; %bb.303:                              ;   in Loop: Header=BB221_257 Depth=1
	s_delay_alu instid0(VALU_DEP_3) | instskip(NEXT) | instid1(VALU_DEP_1)
	v_clz_i32_u32_e32 v15, v5
	v_min_u32_e32 v15, 32, v15
	s_delay_alu instid0(VALU_DEP_1) | instskip(SKIP_1) | instid1(VALU_DEP_2)
	v_subrev_nc_u32_e32 v16, 28, v15
	v_sub_nc_u32_e32 v15, 29, v15
	v_lshlrev_b64 v[16:17], v16, v[5:6]
	s_delay_alu instid0(VALU_DEP_1)
	v_and_b32_e32 v5, 7, v16
; %bb.304:                              ;   in Loop: Header=BB221_257 Depth=1
	s_or_b32 exec_lo, exec_lo, s14
	v_lshlrev_b32_e32 v16, 16, v42
	s_delay_alu instid0(VALU_DEP_2) | instskip(SKIP_1) | instid1(VALU_DEP_3)
	v_lshlrev_b32_e32 v5, 20, v5
	v_lshl_add_u32 v15, v15, 23, 0x3c000000
	v_and_b32_e32 v16, 0x80000000, v16
	s_delay_alu instid0(VALU_DEP_1)
	v_or3_b32 v16, v5, v16, v15
	v_mov_b32_e32 v15, v6
.LBB221_305:                            ;   in Loop: Header=BB221_257 Depth=1
	s_or_b32 exec_lo, exec_lo, s2
.LBB221_306:                            ;   in Loop: Header=BB221_257 Depth=1
	s_delay_alu instid0(SALU_CYCLE_1)
	s_or_b32 exec_lo, exec_lo, s13
.LBB221_307:                            ;   in Loop: Header=BB221_257 Depth=1
	s_delay_alu instid0(SALU_CYCLE_1) | instskip(SKIP_4) | instid1(VALU_DEP_2)
	s_or_b32 exec_lo, exec_lo, s11
	v_mov_b32_e32 v19, 0
	v_lshrrev_b32_e32 v43, 16, v42
	v_mov_b32_e32 v20, 0
	s_mov_b32 s2, exec_lo
	v_and_b32_e32 v5, 0xff, v43
	s_delay_alu instid0(VALU_DEP_2) | instskip(NEXT) | instid1(VALU_DEP_2)
	v_dual_mov_b32 v17, v19 :: v_dual_mov_b32 v18, v20
	v_cmpx_ne_u16_e32 0, v5
	s_cbranch_execz .LBB221_315
; %bb.308:                              ;   in Loop: Header=BB221_257 Depth=1
	v_bfrev_b32_e32 v17, 1
	v_mov_b32_e32 v18, 0
	s_mov_b32 s11, exec_lo
	v_cmpx_ne_u16_e32 0x80, v5
	s_cbranch_execz .LBB221_314
; %bb.309:                              ;   in Loop: Header=BB221_257 Depth=1
	v_mov_b32_e32 v17, 0x7f800001
	v_bfe_u32 v44, v42, 16, 7
	v_mov_b32_e32 v18, 0
	s_mov_b32 s13, exec_lo
	s_delay_alu instid0(VALU_DEP_2)
	v_cmpx_ne_u32_e32 0x7f, v44
	s_cbranch_execz .LBB221_313
; %bb.310:                              ;   in Loop: Header=BB221_257 Depth=1
	v_and_b32_e32 v5, 7, v43
	v_lshrrev_b32_e32 v17, 3, v44
	s_mov_b32 s14, exec_lo
	v_cmpx_gt_u32_e32 8, v44
; %bb.311:                              ;   in Loop: Header=BB221_257 Depth=1
	s_delay_alu instid0(VALU_DEP_3) | instskip(NEXT) | instid1(VALU_DEP_1)
	v_clz_i32_u32_e32 v17, v5
	v_min_u32_e32 v17, 32, v17
	s_delay_alu instid0(VALU_DEP_1) | instskip(SKIP_1) | instid1(VALU_DEP_2)
	v_subrev_nc_u32_e32 v18, 28, v17
	v_sub_nc_u32_e32 v17, 29, v17
	v_lshlrev_b64 v[44:45], v18, v[5:6]
	s_delay_alu instid0(VALU_DEP_1)
	v_and_b32_e32 v5, 7, v44
; %bb.312:                              ;   in Loop: Header=BB221_257 Depth=1
	s_or_b32 exec_lo, exec_lo, s14
	v_lshlrev_b32_e32 v18, 24, v43
	s_delay_alu instid0(VALU_DEP_2) | instskip(SKIP_1) | instid1(VALU_DEP_3)
	v_lshlrev_b32_e32 v5, 20, v5
	v_lshl_add_u32 v17, v17, 23, 0x3c000000
	v_and_b32_e32 v18, 0x80000000, v18
	s_delay_alu instid0(VALU_DEP_1) | instskip(NEXT) | instid1(VALU_DEP_1)
	v_or3_b32 v5, v5, v18, v17
	v_dual_mov_b32 v18, v6 :: v_dual_mov_b32 v17, v5
.LBB221_313:                            ;   in Loop: Header=BB221_257 Depth=1
	s_or_b32 exec_lo, exec_lo, s13
.LBB221_314:                            ;   in Loop: Header=BB221_257 Depth=1
	s_delay_alu instid0(SALU_CYCLE_1)
	s_or_b32 exec_lo, exec_lo, s11
.LBB221_315:                            ;   in Loop: Header=BB221_257 Depth=1
	s_delay_alu instid0(SALU_CYCLE_1) | instskip(NEXT) | instid1(SALU_CYCLE_1)
	s_or_b32 exec_lo, exec_lo, s2
	s_mov_b32 s11, exec_lo
	v_cmpx_lt_u32_e32 0xffffff, v42
	s_cbranch_execz .LBB221_323
; %bb.316:                              ;   in Loop: Header=BB221_257 Depth=1
	v_lshrrev_b32_e32 v43, 24, v42
	v_dual_mov_b32 v20, s5 :: v_dual_mov_b32 v19, s4
	s_mov_b32 s13, exec_lo
	s_delay_alu instid0(VALU_DEP_2)
	v_cmpx_ne_u32_e32 0x80, v43
	s_cbranch_execz .LBB221_322
; %bb.317:                              ;   in Loop: Header=BB221_257 Depth=1
	s_mov_b32 s2, s4
	v_bfe_u32 v42, v42, 24, 7
	v_dual_mov_b32 v20, s3 :: v_dual_mov_b32 v19, s2
	s_mov_b32 s2, exec_lo
	s_delay_alu instid0(VALU_DEP_2)
	v_cmpx_ne_u32_e32 0x7f, v42
	s_cbranch_execz .LBB221_321
; %bb.318:                              ;   in Loop: Header=BB221_257 Depth=1
	v_and_b32_e32 v5, 7, v43
	v_lshrrev_b32_e32 v19, 3, v42
	s_mov_b32 s14, exec_lo
	v_cmpx_gt_u32_e32 8, v42
; %bb.319:                              ;   in Loop: Header=BB221_257 Depth=1
	s_delay_alu instid0(VALU_DEP_3) | instskip(NEXT) | instid1(VALU_DEP_1)
	v_clz_i32_u32_e32 v19, v5
	v_min_u32_e32 v19, 32, v19
	s_delay_alu instid0(VALU_DEP_1) | instskip(SKIP_1) | instid1(VALU_DEP_2)
	v_subrev_nc_u32_e32 v20, 28, v19
	v_sub_nc_u32_e32 v19, 29, v19
	v_lshlrev_b64 v[44:45], v20, v[5:6]
	s_delay_alu instid0(VALU_DEP_1)
	v_and_b32_e32 v5, 7, v44
; %bb.320:                              ;   in Loop: Header=BB221_257 Depth=1
	s_or_b32 exec_lo, exec_lo, s14
	v_lshlrev_b32_e32 v20, 24, v43
	s_delay_alu instid0(VALU_DEP_2) | instskip(SKIP_1) | instid1(VALU_DEP_3)
	v_lshlrev_b32_e32 v5, 20, v5
	v_lshl_add_u32 v19, v19, 23, 0x3c000000
	v_and_b32_e32 v20, 0x80000000, v20
	s_delay_alu instid0(VALU_DEP_1)
	v_or3_b32 v20, v5, v20, v19
	v_mov_b32_e32 v19, v6
.LBB221_321:                            ;   in Loop: Header=BB221_257 Depth=1
	s_or_b32 exec_lo, exec_lo, s2
.LBB221_322:                            ;   in Loop: Header=BB221_257 Depth=1
	s_delay_alu instid0(SALU_CYCLE_1)
	s_or_b32 exec_lo, exec_lo, s13
.LBB221_323:                            ;   in Loop: Header=BB221_257 Depth=1
	s_delay_alu instid0(SALU_CYCLE_1) | instskip(SKIP_4) | instid1(VALU_DEP_4)
	s_or_b32 exec_lo, exec_lo, s11
	v_or_b32_e32 v5, v16, v14
	v_or_b32_e32 v13, v15, v13
	;; [unrolled: 1-line block ×4, first 2 shown]
	v_mul_f32_e32 v45, s9, v5
	s_delay_alu instid0(VALU_DEP_4) | instskip(NEXT) | instid1(VALU_DEP_3)
	v_mul_f32_e32 v44, s7, v13
	v_dual_mul_f32 v42, s9, v14 :: v_dual_mul_f32 v43, s7, v15
	s_and_saveexec_b32 s2, vcc_lo
; %bb.324:                              ;   in Loop: Header=BB221_257 Depth=1
	v_cmp_gt_i32_e64 s0, s33, v38
	s_delay_alu instid0(VALU_DEP_1) | instskip(SKIP_1) | instid1(VALU_DEP_1)
	v_cndmask_b32_e64 v44, 0, v44, s0
	v_cmp_gt_i32_e64 s0, s33, v40
	v_cndmask_b32_e64 v45, 0, v45, s0
	v_cmp_gt_i32_e64 s0, s33, v39
	s_delay_alu instid0(VALU_DEP_1) | instskip(SKIP_1) | instid1(VALU_DEP_1)
	v_cndmask_b32_e64 v43, 0, v43, s0
	v_cmp_gt_i32_e64 s0, s33, v30
	v_cndmask_b32_e64 v42, 0, v42, s0
; %bb.325:                              ;   in Loop: Header=BB221_257 Depth=1
	s_or_b32 exec_lo, exec_lo, s2
	global_load_b32 v46, v[11:12], off offset:256
	v_mov_b32_e32 v15, 0
	v_mov_b32_e32 v16, 0
	s_mov_b32 s2, exec_lo
	s_waitcnt vmcnt(0)
	v_and_b32_e32 v5, 0xff, v46
	s_delay_alu instid0(VALU_DEP_2) | instskip(NEXT) | instid1(VALU_DEP_2)
	v_dual_mov_b32 v13, v15 :: v_dual_mov_b32 v14, v16
	v_cmpx_ne_u16_e32 0, v5
	s_cbranch_execz .LBB221_333
; %bb.326:                              ;   in Loop: Header=BB221_257 Depth=1
	v_bfrev_b32_e32 v13, 1
	v_mov_b32_e32 v14, 0
	s_mov_b32 s11, exec_lo
	v_cmpx_ne_u16_e32 0x80, v5
	s_cbranch_execz .LBB221_332
; %bb.327:                              ;   in Loop: Header=BB221_257 Depth=1
	v_mov_b32_e32 v13, 0x7f800001
	v_dual_mov_b32 v14, 0 :: v_dual_and_b32 v17, 0x7f, v46
	s_mov_b32 s13, exec_lo
	s_delay_alu instid0(VALU_DEP_1)
	v_cmpx_ne_u32_e32 0x7f, v17
	s_cbranch_execz .LBB221_331
; %bb.328:                              ;   in Loop: Header=BB221_257 Depth=1
	v_and_b32_e32 v5, 7, v46
	v_lshrrev_b32_e32 v13, 3, v17
	s_mov_b32 s14, exec_lo
	v_cmpx_gt_u32_e32 8, v17
; %bb.329:                              ;   in Loop: Header=BB221_257 Depth=1
	s_delay_alu instid0(VALU_DEP_3) | instskip(NEXT) | instid1(VALU_DEP_1)
	v_clz_i32_u32_e32 v13, v5
	v_min_u32_e32 v13, 32, v13
	s_delay_alu instid0(VALU_DEP_1) | instskip(SKIP_1) | instid1(VALU_DEP_2)
	v_subrev_nc_u32_e32 v14, 28, v13
	v_sub_nc_u32_e32 v13, 29, v13
	v_lshlrev_b64 v[17:18], v14, v[5:6]
	s_delay_alu instid0(VALU_DEP_1)
	v_and_b32_e32 v5, 7, v17
; %bb.330:                              ;   in Loop: Header=BB221_257 Depth=1
	s_or_b32 exec_lo, exec_lo, s14
	v_lshlrev_b32_e32 v14, 24, v46
	s_delay_alu instid0(VALU_DEP_2) | instskip(SKIP_1) | instid1(VALU_DEP_3)
	v_lshlrev_b32_e32 v5, 20, v5
	v_lshl_add_u32 v13, v13, 23, 0x3c000000
	v_and_b32_e32 v14, 0x80000000, v14
	s_delay_alu instid0(VALU_DEP_1) | instskip(NEXT) | instid1(VALU_DEP_1)
	v_or3_b32 v5, v5, v14, v13
	v_dual_mov_b32 v14, v6 :: v_dual_mov_b32 v13, v5
.LBB221_331:                            ;   in Loop: Header=BB221_257 Depth=1
	s_or_b32 exec_lo, exec_lo, s13
.LBB221_332:                            ;   in Loop: Header=BB221_257 Depth=1
	s_delay_alu instid0(SALU_CYCLE_1)
	s_or_b32 exec_lo, exec_lo, s11
.LBB221_333:                            ;   in Loop: Header=BB221_257 Depth=1
	s_delay_alu instid0(SALU_CYCLE_1) | instskip(SKIP_2) | instid1(VALU_DEP_1)
	s_or_b32 exec_lo, exec_lo, s2
	v_lshrrev_b16 v5, 8, v46
	s_mov_b32 s11, exec_lo
	v_cmpx_ne_u16_e32 0, v5
	s_cbranch_execz .LBB221_341
; %bb.334:                              ;   in Loop: Header=BB221_257 Depth=1
	v_dual_mov_b32 v16, s5 :: v_dual_mov_b32 v15, s4
	s_mov_b32 s13, exec_lo
	v_cmpx_ne_u16_e32 0x80, v5
	s_cbranch_execz .LBB221_340
; %bb.335:                              ;   in Loop: Header=BB221_257 Depth=1
	s_mov_b32 s2, s4
	v_dual_mov_b32 v16, s3 :: v_dual_and_b32 v5, 0xffff, v5
	v_mov_b32_e32 v15, s2
	s_mov_b32 s2, exec_lo
	s_delay_alu instid0(VALU_DEP_2) | instskip(NEXT) | instid1(VALU_DEP_1)
	v_and_b32_e32 v17, 0x7f, v5
	v_cmpx_ne_u32_e32 0x7f, v17
	s_cbranch_execz .LBB221_339
; %bb.336:                              ;   in Loop: Header=BB221_257 Depth=1
	v_and_b32_e32 v5, 7, v5
	v_lshrrev_b32_e32 v15, 3, v17
	s_mov_b32 s14, exec_lo
	v_cmpx_gt_u32_e32 8, v17
; %bb.337:                              ;   in Loop: Header=BB221_257 Depth=1
	s_delay_alu instid0(VALU_DEP_3) | instskip(NEXT) | instid1(VALU_DEP_1)
	v_clz_i32_u32_e32 v15, v5
	v_min_u32_e32 v15, 32, v15
	s_delay_alu instid0(VALU_DEP_1) | instskip(SKIP_1) | instid1(VALU_DEP_2)
	v_subrev_nc_u32_e32 v16, 28, v15
	v_sub_nc_u32_e32 v15, 29, v15
	v_lshlrev_b64 v[16:17], v16, v[5:6]
	s_delay_alu instid0(VALU_DEP_1)
	v_and_b32_e32 v5, 7, v16
; %bb.338:                              ;   in Loop: Header=BB221_257 Depth=1
	s_or_b32 exec_lo, exec_lo, s14
	v_lshlrev_b32_e32 v16, 16, v46
	s_delay_alu instid0(VALU_DEP_2) | instskip(SKIP_1) | instid1(VALU_DEP_3)
	v_lshlrev_b32_e32 v5, 20, v5
	v_lshl_add_u32 v15, v15, 23, 0x3c000000
	v_and_b32_e32 v16, 0x80000000, v16
	s_delay_alu instid0(VALU_DEP_1)
	v_or3_b32 v16, v5, v16, v15
	v_mov_b32_e32 v15, v6
.LBB221_339:                            ;   in Loop: Header=BB221_257 Depth=1
	s_or_b32 exec_lo, exec_lo, s2
.LBB221_340:                            ;   in Loop: Header=BB221_257 Depth=1
	s_delay_alu instid0(SALU_CYCLE_1)
	s_or_b32 exec_lo, exec_lo, s13
.LBB221_341:                            ;   in Loop: Header=BB221_257 Depth=1
	s_delay_alu instid0(SALU_CYCLE_1) | instskip(SKIP_4) | instid1(VALU_DEP_2)
	s_or_b32 exec_lo, exec_lo, s11
	v_mov_b32_e32 v19, 0
	v_lshrrev_b32_e32 v47, 16, v46
	v_mov_b32_e32 v20, 0
	s_mov_b32 s2, exec_lo
	v_and_b32_e32 v5, 0xff, v47
	s_delay_alu instid0(VALU_DEP_2) | instskip(NEXT) | instid1(VALU_DEP_2)
	v_dual_mov_b32 v17, v19 :: v_dual_mov_b32 v18, v20
	v_cmpx_ne_u16_e32 0, v5
	s_cbranch_execz .LBB221_349
; %bb.342:                              ;   in Loop: Header=BB221_257 Depth=1
	v_bfrev_b32_e32 v17, 1
	v_mov_b32_e32 v18, 0
	s_mov_b32 s11, exec_lo
	v_cmpx_ne_u16_e32 0x80, v5
	s_cbranch_execz .LBB221_348
; %bb.343:                              ;   in Loop: Header=BB221_257 Depth=1
	v_mov_b32_e32 v17, 0x7f800001
	v_bfe_u32 v48, v46, 16, 7
	v_mov_b32_e32 v18, 0
	s_mov_b32 s13, exec_lo
	s_delay_alu instid0(VALU_DEP_2)
	v_cmpx_ne_u32_e32 0x7f, v48
	s_cbranch_execz .LBB221_347
; %bb.344:                              ;   in Loop: Header=BB221_257 Depth=1
	v_and_b32_e32 v5, 7, v47
	v_lshrrev_b32_e32 v17, 3, v48
	s_mov_b32 s14, exec_lo
	v_cmpx_gt_u32_e32 8, v48
; %bb.345:                              ;   in Loop: Header=BB221_257 Depth=1
	s_delay_alu instid0(VALU_DEP_3) | instskip(NEXT) | instid1(VALU_DEP_1)
	v_clz_i32_u32_e32 v17, v5
	v_min_u32_e32 v17, 32, v17
	s_delay_alu instid0(VALU_DEP_1) | instskip(SKIP_1) | instid1(VALU_DEP_2)
	v_subrev_nc_u32_e32 v18, 28, v17
	v_sub_nc_u32_e32 v17, 29, v17
	v_lshlrev_b64 v[48:49], v18, v[5:6]
	s_delay_alu instid0(VALU_DEP_1)
	v_and_b32_e32 v5, 7, v48
; %bb.346:                              ;   in Loop: Header=BB221_257 Depth=1
	s_or_b32 exec_lo, exec_lo, s14
	v_lshlrev_b32_e32 v18, 24, v47
	s_delay_alu instid0(VALU_DEP_2) | instskip(SKIP_1) | instid1(VALU_DEP_3)
	v_lshlrev_b32_e32 v5, 20, v5
	v_lshl_add_u32 v17, v17, 23, 0x3c000000
	v_and_b32_e32 v18, 0x80000000, v18
	s_delay_alu instid0(VALU_DEP_1) | instskip(NEXT) | instid1(VALU_DEP_1)
	v_or3_b32 v5, v5, v18, v17
	v_dual_mov_b32 v18, v6 :: v_dual_mov_b32 v17, v5
.LBB221_347:                            ;   in Loop: Header=BB221_257 Depth=1
	s_or_b32 exec_lo, exec_lo, s13
.LBB221_348:                            ;   in Loop: Header=BB221_257 Depth=1
	s_delay_alu instid0(SALU_CYCLE_1)
	s_or_b32 exec_lo, exec_lo, s11
.LBB221_349:                            ;   in Loop: Header=BB221_257 Depth=1
	s_delay_alu instid0(SALU_CYCLE_1) | instskip(NEXT) | instid1(SALU_CYCLE_1)
	s_or_b32 exec_lo, exec_lo, s2
	s_mov_b32 s11, exec_lo
	v_cmpx_lt_u32_e32 0xffffff, v46
	s_cbranch_execz .LBB221_357
; %bb.350:                              ;   in Loop: Header=BB221_257 Depth=1
	v_lshrrev_b32_e32 v47, 24, v46
	v_dual_mov_b32 v20, s5 :: v_dual_mov_b32 v19, s4
	s_mov_b32 s13, exec_lo
	s_delay_alu instid0(VALU_DEP_2)
	v_cmpx_ne_u32_e32 0x80, v47
	s_cbranch_execz .LBB221_356
; %bb.351:                              ;   in Loop: Header=BB221_257 Depth=1
	s_mov_b32 s2, s4
	v_bfe_u32 v46, v46, 24, 7
	v_dual_mov_b32 v20, s3 :: v_dual_mov_b32 v19, s2
	s_mov_b32 s2, exec_lo
	s_delay_alu instid0(VALU_DEP_2)
	v_cmpx_ne_u32_e32 0x7f, v46
	s_cbranch_execz .LBB221_355
; %bb.352:                              ;   in Loop: Header=BB221_257 Depth=1
	v_and_b32_e32 v5, 7, v47
	v_lshrrev_b32_e32 v19, 3, v46
	s_mov_b32 s14, exec_lo
	v_cmpx_gt_u32_e32 8, v46
; %bb.353:                              ;   in Loop: Header=BB221_257 Depth=1
	s_delay_alu instid0(VALU_DEP_3) | instskip(NEXT) | instid1(VALU_DEP_1)
	v_clz_i32_u32_e32 v19, v5
	v_min_u32_e32 v19, 32, v19
	s_delay_alu instid0(VALU_DEP_1) | instskip(SKIP_1) | instid1(VALU_DEP_2)
	v_subrev_nc_u32_e32 v20, 28, v19
	v_sub_nc_u32_e32 v19, 29, v19
	v_lshlrev_b64 v[48:49], v20, v[5:6]
	s_delay_alu instid0(VALU_DEP_1)
	v_and_b32_e32 v5, 7, v48
; %bb.354:                              ;   in Loop: Header=BB221_257 Depth=1
	s_or_b32 exec_lo, exec_lo, s14
	v_lshlrev_b32_e32 v20, 24, v47
	s_delay_alu instid0(VALU_DEP_2) | instskip(SKIP_1) | instid1(VALU_DEP_3)
	v_lshlrev_b32_e32 v5, 20, v5
	v_lshl_add_u32 v19, v19, 23, 0x3c000000
	v_and_b32_e32 v20, 0x80000000, v20
	s_delay_alu instid0(VALU_DEP_1)
	v_or3_b32 v20, v5, v20, v19
	v_mov_b32_e32 v19, v6
.LBB221_355:                            ;   in Loop: Header=BB221_257 Depth=1
	s_or_b32 exec_lo, exec_lo, s2
.LBB221_356:                            ;   in Loop: Header=BB221_257 Depth=1
	s_delay_alu instid0(SALU_CYCLE_1)
	s_or_b32 exec_lo, exec_lo, s13
.LBB221_357:                            ;   in Loop: Header=BB221_257 Depth=1
	s_delay_alu instid0(SALU_CYCLE_1) | instskip(SKIP_4) | instid1(VALU_DEP_4)
	s_or_b32 exec_lo, exec_lo, s11
	v_or_b32_e32 v5, v16, v14
	v_or_b32_e32 v13, v15, v13
	;; [unrolled: 1-line block ×4, first 2 shown]
	v_mul_f32_e32 v49, s9, v5
	s_delay_alu instid0(VALU_DEP_4) | instskip(NEXT) | instid1(VALU_DEP_3)
	v_mul_f32_e32 v48, s7, v13
	v_dual_mul_f32 v46, s9, v14 :: v_dual_mul_f32 v47, s7, v15
	s_and_saveexec_b32 s2, vcc_lo
; %bb.358:                              ;   in Loop: Header=BB221_257 Depth=1
	v_cmp_gt_i32_e64 s0, s33, v38
	s_delay_alu instid0(VALU_DEP_1) | instskip(SKIP_1) | instid1(VALU_DEP_1)
	v_cndmask_b32_e64 v48, 0, v48, s0
	v_cmp_gt_i32_e64 s0, s33, v40
	v_cndmask_b32_e64 v49, 0, v49, s0
	v_cmp_gt_i32_e64 s0, s33, v39
	s_delay_alu instid0(VALU_DEP_1) | instskip(SKIP_1) | instid1(VALU_DEP_1)
	v_cndmask_b32_e64 v47, 0, v47, s0
	v_cmp_gt_i32_e64 s0, s33, v30
	v_cndmask_b32_e64 v46, 0, v46, s0
; %bb.359:                              ;   in Loop: Header=BB221_257 Depth=1
	s_or_b32 exec_lo, exec_lo, s2
	global_load_b32 v50, v[11:12], off offset:384
	v_mov_b32_e32 v15, 0
	v_mov_b32_e32 v16, 0
	s_mov_b32 s2, exec_lo
	s_waitcnt vmcnt(0)
	v_and_b32_e32 v5, 0xff, v50
	s_delay_alu instid0(VALU_DEP_2) | instskip(NEXT) | instid1(VALU_DEP_2)
	v_dual_mov_b32 v13, v15 :: v_dual_mov_b32 v14, v16
	v_cmpx_ne_u16_e32 0, v5
	s_cbranch_execz .LBB221_367
; %bb.360:                              ;   in Loop: Header=BB221_257 Depth=1
	v_bfrev_b32_e32 v13, 1
	v_mov_b32_e32 v14, 0
	s_mov_b32 s11, exec_lo
	v_cmpx_ne_u16_e32 0x80, v5
	s_cbranch_execz .LBB221_366
; %bb.361:                              ;   in Loop: Header=BB221_257 Depth=1
	v_mov_b32_e32 v13, 0x7f800001
	v_dual_mov_b32 v14, 0 :: v_dual_and_b32 v17, 0x7f, v50
	s_mov_b32 s13, exec_lo
	s_delay_alu instid0(VALU_DEP_1)
	v_cmpx_ne_u32_e32 0x7f, v17
	s_cbranch_execz .LBB221_365
; %bb.362:                              ;   in Loop: Header=BB221_257 Depth=1
	v_and_b32_e32 v5, 7, v50
	v_lshrrev_b32_e32 v13, 3, v17
	s_mov_b32 s14, exec_lo
	v_cmpx_gt_u32_e32 8, v17
; %bb.363:                              ;   in Loop: Header=BB221_257 Depth=1
	s_delay_alu instid0(VALU_DEP_3) | instskip(NEXT) | instid1(VALU_DEP_1)
	v_clz_i32_u32_e32 v13, v5
	v_min_u32_e32 v13, 32, v13
	s_delay_alu instid0(VALU_DEP_1) | instskip(SKIP_1) | instid1(VALU_DEP_2)
	v_subrev_nc_u32_e32 v14, 28, v13
	v_sub_nc_u32_e32 v13, 29, v13
	v_lshlrev_b64 v[17:18], v14, v[5:6]
	s_delay_alu instid0(VALU_DEP_1)
	v_and_b32_e32 v5, 7, v17
; %bb.364:                              ;   in Loop: Header=BB221_257 Depth=1
	s_or_b32 exec_lo, exec_lo, s14
	v_lshlrev_b32_e32 v14, 24, v50
	s_delay_alu instid0(VALU_DEP_2) | instskip(SKIP_1) | instid1(VALU_DEP_3)
	v_lshlrev_b32_e32 v5, 20, v5
	v_lshl_add_u32 v13, v13, 23, 0x3c000000
	v_and_b32_e32 v14, 0x80000000, v14
	s_delay_alu instid0(VALU_DEP_1) | instskip(NEXT) | instid1(VALU_DEP_1)
	v_or3_b32 v5, v5, v14, v13
	v_dual_mov_b32 v14, v6 :: v_dual_mov_b32 v13, v5
.LBB221_365:                            ;   in Loop: Header=BB221_257 Depth=1
	s_or_b32 exec_lo, exec_lo, s13
.LBB221_366:                            ;   in Loop: Header=BB221_257 Depth=1
	s_delay_alu instid0(SALU_CYCLE_1)
	s_or_b32 exec_lo, exec_lo, s11
.LBB221_367:                            ;   in Loop: Header=BB221_257 Depth=1
	s_delay_alu instid0(SALU_CYCLE_1) | instskip(SKIP_2) | instid1(VALU_DEP_1)
	s_or_b32 exec_lo, exec_lo, s2
	v_lshrrev_b16 v5, 8, v50
	s_mov_b32 s11, exec_lo
	v_cmpx_ne_u16_e32 0, v5
	s_cbranch_execz .LBB221_375
; %bb.368:                              ;   in Loop: Header=BB221_257 Depth=1
	v_dual_mov_b32 v16, s5 :: v_dual_mov_b32 v15, s4
	s_mov_b32 s13, exec_lo
	v_cmpx_ne_u16_e32 0x80, v5
	s_cbranch_execz .LBB221_374
; %bb.369:                              ;   in Loop: Header=BB221_257 Depth=1
	s_mov_b32 s2, s4
	v_dual_mov_b32 v16, s3 :: v_dual_and_b32 v5, 0xffff, v5
	v_mov_b32_e32 v15, s2
	s_mov_b32 s2, exec_lo
	s_delay_alu instid0(VALU_DEP_2) | instskip(NEXT) | instid1(VALU_DEP_1)
	v_and_b32_e32 v17, 0x7f, v5
	v_cmpx_ne_u32_e32 0x7f, v17
	s_cbranch_execz .LBB221_373
; %bb.370:                              ;   in Loop: Header=BB221_257 Depth=1
	v_and_b32_e32 v5, 7, v5
	v_lshrrev_b32_e32 v15, 3, v17
	s_mov_b32 s14, exec_lo
	v_cmpx_gt_u32_e32 8, v17
; %bb.371:                              ;   in Loop: Header=BB221_257 Depth=1
	s_delay_alu instid0(VALU_DEP_3) | instskip(NEXT) | instid1(VALU_DEP_1)
	v_clz_i32_u32_e32 v15, v5
	v_min_u32_e32 v15, 32, v15
	s_delay_alu instid0(VALU_DEP_1) | instskip(SKIP_1) | instid1(VALU_DEP_2)
	v_subrev_nc_u32_e32 v16, 28, v15
	v_sub_nc_u32_e32 v15, 29, v15
	v_lshlrev_b64 v[16:17], v16, v[5:6]
	s_delay_alu instid0(VALU_DEP_1)
	v_and_b32_e32 v5, 7, v16
; %bb.372:                              ;   in Loop: Header=BB221_257 Depth=1
	s_or_b32 exec_lo, exec_lo, s14
	v_lshlrev_b32_e32 v16, 16, v50
	s_delay_alu instid0(VALU_DEP_2) | instskip(SKIP_1) | instid1(VALU_DEP_3)
	v_lshlrev_b32_e32 v5, 20, v5
	v_lshl_add_u32 v15, v15, 23, 0x3c000000
	v_and_b32_e32 v16, 0x80000000, v16
	s_delay_alu instid0(VALU_DEP_1)
	v_or3_b32 v16, v5, v16, v15
	v_mov_b32_e32 v15, v6
.LBB221_373:                            ;   in Loop: Header=BB221_257 Depth=1
	s_or_b32 exec_lo, exec_lo, s2
.LBB221_374:                            ;   in Loop: Header=BB221_257 Depth=1
	s_delay_alu instid0(SALU_CYCLE_1)
	s_or_b32 exec_lo, exec_lo, s13
.LBB221_375:                            ;   in Loop: Header=BB221_257 Depth=1
	s_delay_alu instid0(SALU_CYCLE_1) | instskip(SKIP_4) | instid1(VALU_DEP_2)
	s_or_b32 exec_lo, exec_lo, s11
	v_mov_b32_e32 v19, 0
	v_lshrrev_b32_e32 v51, 16, v50
	v_mov_b32_e32 v20, 0
	s_mov_b32 s2, exec_lo
	v_and_b32_e32 v5, 0xff, v51
	s_delay_alu instid0(VALU_DEP_2) | instskip(NEXT) | instid1(VALU_DEP_2)
	v_dual_mov_b32 v17, v19 :: v_dual_mov_b32 v18, v20
	v_cmpx_ne_u16_e32 0, v5
	s_cbranch_execz .LBB221_383
; %bb.376:                              ;   in Loop: Header=BB221_257 Depth=1
	v_bfrev_b32_e32 v17, 1
	v_mov_b32_e32 v18, 0
	s_mov_b32 s11, exec_lo
	v_cmpx_ne_u16_e32 0x80, v5
	s_cbranch_execz .LBB221_382
; %bb.377:                              ;   in Loop: Header=BB221_257 Depth=1
	v_mov_b32_e32 v17, 0x7f800001
	v_bfe_u32 v52, v50, 16, 7
	v_mov_b32_e32 v18, 0
	s_mov_b32 s13, exec_lo
	s_delay_alu instid0(VALU_DEP_2)
	v_cmpx_ne_u32_e32 0x7f, v52
	s_cbranch_execz .LBB221_381
; %bb.378:                              ;   in Loop: Header=BB221_257 Depth=1
	v_and_b32_e32 v5, 7, v51
	v_lshrrev_b32_e32 v17, 3, v52
	s_mov_b32 s14, exec_lo
	v_cmpx_gt_u32_e32 8, v52
; %bb.379:                              ;   in Loop: Header=BB221_257 Depth=1
	s_delay_alu instid0(VALU_DEP_3) | instskip(NEXT) | instid1(VALU_DEP_1)
	v_clz_i32_u32_e32 v17, v5
	v_min_u32_e32 v17, 32, v17
	s_delay_alu instid0(VALU_DEP_1) | instskip(SKIP_1) | instid1(VALU_DEP_2)
	v_subrev_nc_u32_e32 v18, 28, v17
	v_sub_nc_u32_e32 v17, 29, v17
	v_lshlrev_b64 v[52:53], v18, v[5:6]
	s_delay_alu instid0(VALU_DEP_1)
	v_and_b32_e32 v5, 7, v52
; %bb.380:                              ;   in Loop: Header=BB221_257 Depth=1
	s_or_b32 exec_lo, exec_lo, s14
	v_lshlrev_b32_e32 v18, 24, v51
	s_delay_alu instid0(VALU_DEP_2) | instskip(SKIP_1) | instid1(VALU_DEP_3)
	v_lshlrev_b32_e32 v5, 20, v5
	v_lshl_add_u32 v17, v17, 23, 0x3c000000
	v_and_b32_e32 v18, 0x80000000, v18
	s_delay_alu instid0(VALU_DEP_1) | instskip(NEXT) | instid1(VALU_DEP_1)
	v_or3_b32 v5, v5, v18, v17
	v_dual_mov_b32 v18, v6 :: v_dual_mov_b32 v17, v5
.LBB221_381:                            ;   in Loop: Header=BB221_257 Depth=1
	s_or_b32 exec_lo, exec_lo, s13
.LBB221_382:                            ;   in Loop: Header=BB221_257 Depth=1
	s_delay_alu instid0(SALU_CYCLE_1)
	s_or_b32 exec_lo, exec_lo, s11
.LBB221_383:                            ;   in Loop: Header=BB221_257 Depth=1
	s_delay_alu instid0(SALU_CYCLE_1) | instskip(NEXT) | instid1(SALU_CYCLE_1)
	s_or_b32 exec_lo, exec_lo, s2
	s_mov_b32 s11, exec_lo
	v_cmpx_lt_u32_e32 0xffffff, v50
	s_cbranch_execz .LBB221_391
; %bb.384:                              ;   in Loop: Header=BB221_257 Depth=1
	v_lshrrev_b32_e32 v51, 24, v50
	v_dual_mov_b32 v20, s5 :: v_dual_mov_b32 v19, s4
	s_mov_b32 s13, exec_lo
	s_delay_alu instid0(VALU_DEP_2)
	v_cmpx_ne_u32_e32 0x80, v51
	s_cbranch_execz .LBB221_390
; %bb.385:                              ;   in Loop: Header=BB221_257 Depth=1
	s_mov_b32 s2, s4
	v_bfe_u32 v50, v50, 24, 7
	v_dual_mov_b32 v20, s3 :: v_dual_mov_b32 v19, s2
	s_mov_b32 s2, exec_lo
	s_delay_alu instid0(VALU_DEP_2)
	v_cmpx_ne_u32_e32 0x7f, v50
	s_cbranch_execz .LBB221_389
; %bb.386:                              ;   in Loop: Header=BB221_257 Depth=1
	v_and_b32_e32 v5, 7, v51
	v_lshrrev_b32_e32 v19, 3, v50
	s_mov_b32 s14, exec_lo
	v_cmpx_gt_u32_e32 8, v50
; %bb.387:                              ;   in Loop: Header=BB221_257 Depth=1
	s_delay_alu instid0(VALU_DEP_3) | instskip(NEXT) | instid1(VALU_DEP_1)
	v_clz_i32_u32_e32 v19, v5
	v_min_u32_e32 v19, 32, v19
	s_delay_alu instid0(VALU_DEP_1) | instskip(SKIP_1) | instid1(VALU_DEP_2)
	v_subrev_nc_u32_e32 v20, 28, v19
	v_sub_nc_u32_e32 v19, 29, v19
	v_lshlrev_b64 v[52:53], v20, v[5:6]
	s_delay_alu instid0(VALU_DEP_1)
	v_and_b32_e32 v5, 7, v52
; %bb.388:                              ;   in Loop: Header=BB221_257 Depth=1
	s_or_b32 exec_lo, exec_lo, s14
	v_lshlrev_b32_e32 v20, 24, v51
	s_delay_alu instid0(VALU_DEP_2) | instskip(SKIP_1) | instid1(VALU_DEP_3)
	v_lshlrev_b32_e32 v5, 20, v5
	v_lshl_add_u32 v19, v19, 23, 0x3c000000
	v_and_b32_e32 v20, 0x80000000, v20
	s_delay_alu instid0(VALU_DEP_1)
	v_or3_b32 v20, v5, v20, v19
	v_mov_b32_e32 v19, v6
.LBB221_389:                            ;   in Loop: Header=BB221_257 Depth=1
	s_or_b32 exec_lo, exec_lo, s2
.LBB221_390:                            ;   in Loop: Header=BB221_257 Depth=1
	s_delay_alu instid0(SALU_CYCLE_1)
	s_or_b32 exec_lo, exec_lo, s13
.LBB221_391:                            ;   in Loop: Header=BB221_257 Depth=1
	s_delay_alu instid0(SALU_CYCLE_1) | instskip(SKIP_4) | instid1(VALU_DEP_4)
	s_or_b32 exec_lo, exec_lo, s11
	v_or_b32_e32 v5, v16, v14
	v_or_b32_e32 v13, v15, v13
	;; [unrolled: 1-line block ×4, first 2 shown]
	v_mul_f32_e32 v53, s9, v5
	s_delay_alu instid0(VALU_DEP_4) | instskip(NEXT) | instid1(VALU_DEP_3)
	v_mul_f32_e32 v52, s7, v13
	v_dual_mul_f32 v50, s9, v14 :: v_dual_mul_f32 v51, s7, v15
	s_and_saveexec_b32 s2, vcc_lo
; %bb.392:                              ;   in Loop: Header=BB221_257 Depth=1
	v_cmp_gt_i32_e64 s0, s33, v38
	s_delay_alu instid0(VALU_DEP_1) | instskip(SKIP_1) | instid1(VALU_DEP_1)
	v_cndmask_b32_e64 v52, 0, v52, s0
	v_cmp_gt_i32_e64 s0, s33, v40
	v_cndmask_b32_e64 v53, 0, v53, s0
	v_cmp_gt_i32_e64 s0, s33, v39
	s_delay_alu instid0(VALU_DEP_1) | instskip(SKIP_1) | instid1(VALU_DEP_1)
	v_cndmask_b32_e64 v51, 0, v51, s0
	v_cmp_gt_i32_e64 s0, s33, v30
	v_cndmask_b32_e64 v50, 0, v50, s0
; %bb.393:                              ;   in Loop: Header=BB221_257 Depth=1
	s_or_b32 exec_lo, exec_lo, s2
	global_load_b32 v54, v[11:12], off offset:512
	v_mov_b32_e32 v15, 0
	v_mov_b32_e32 v16, 0
	s_mov_b32 s2, exec_lo
	s_waitcnt vmcnt(0)
	v_and_b32_e32 v5, 0xff, v54
	s_delay_alu instid0(VALU_DEP_2) | instskip(NEXT) | instid1(VALU_DEP_2)
	v_dual_mov_b32 v13, v15 :: v_dual_mov_b32 v14, v16
	v_cmpx_ne_u16_e32 0, v5
	s_cbranch_execz .LBB221_401
; %bb.394:                              ;   in Loop: Header=BB221_257 Depth=1
	v_bfrev_b32_e32 v13, 1
	v_mov_b32_e32 v14, 0
	s_mov_b32 s11, exec_lo
	v_cmpx_ne_u16_e32 0x80, v5
	s_cbranch_execz .LBB221_400
; %bb.395:                              ;   in Loop: Header=BB221_257 Depth=1
	v_mov_b32_e32 v13, 0x7f800001
	v_dual_mov_b32 v14, 0 :: v_dual_and_b32 v17, 0x7f, v54
	s_mov_b32 s13, exec_lo
	s_delay_alu instid0(VALU_DEP_1)
	v_cmpx_ne_u32_e32 0x7f, v17
	s_cbranch_execz .LBB221_399
; %bb.396:                              ;   in Loop: Header=BB221_257 Depth=1
	v_and_b32_e32 v5, 7, v54
	v_lshrrev_b32_e32 v13, 3, v17
	s_mov_b32 s14, exec_lo
	v_cmpx_gt_u32_e32 8, v17
; %bb.397:                              ;   in Loop: Header=BB221_257 Depth=1
	s_delay_alu instid0(VALU_DEP_3) | instskip(NEXT) | instid1(VALU_DEP_1)
	v_clz_i32_u32_e32 v13, v5
	v_min_u32_e32 v13, 32, v13
	s_delay_alu instid0(VALU_DEP_1) | instskip(SKIP_1) | instid1(VALU_DEP_2)
	v_subrev_nc_u32_e32 v14, 28, v13
	v_sub_nc_u32_e32 v13, 29, v13
	v_lshlrev_b64 v[17:18], v14, v[5:6]
	s_delay_alu instid0(VALU_DEP_1)
	v_and_b32_e32 v5, 7, v17
; %bb.398:                              ;   in Loop: Header=BB221_257 Depth=1
	s_or_b32 exec_lo, exec_lo, s14
	v_lshlrev_b32_e32 v14, 24, v54
	s_delay_alu instid0(VALU_DEP_2) | instskip(SKIP_1) | instid1(VALU_DEP_3)
	v_lshlrev_b32_e32 v5, 20, v5
	v_lshl_add_u32 v13, v13, 23, 0x3c000000
	v_and_b32_e32 v14, 0x80000000, v14
	s_delay_alu instid0(VALU_DEP_1) | instskip(NEXT) | instid1(VALU_DEP_1)
	v_or3_b32 v5, v5, v14, v13
	v_dual_mov_b32 v14, v6 :: v_dual_mov_b32 v13, v5
.LBB221_399:                            ;   in Loop: Header=BB221_257 Depth=1
	s_or_b32 exec_lo, exec_lo, s13
.LBB221_400:                            ;   in Loop: Header=BB221_257 Depth=1
	s_delay_alu instid0(SALU_CYCLE_1)
	s_or_b32 exec_lo, exec_lo, s11
.LBB221_401:                            ;   in Loop: Header=BB221_257 Depth=1
	s_delay_alu instid0(SALU_CYCLE_1) | instskip(SKIP_2) | instid1(VALU_DEP_1)
	s_or_b32 exec_lo, exec_lo, s2
	v_lshrrev_b16 v5, 8, v54
	s_mov_b32 s11, exec_lo
	v_cmpx_ne_u16_e32 0, v5
	s_cbranch_execz .LBB221_409
; %bb.402:                              ;   in Loop: Header=BB221_257 Depth=1
	v_dual_mov_b32 v16, s5 :: v_dual_mov_b32 v15, s4
	s_mov_b32 s13, exec_lo
	v_cmpx_ne_u16_e32 0x80, v5
	s_cbranch_execz .LBB221_408
; %bb.403:                              ;   in Loop: Header=BB221_257 Depth=1
	s_mov_b32 s2, s4
	v_dual_mov_b32 v16, s3 :: v_dual_and_b32 v5, 0xffff, v5
	v_mov_b32_e32 v15, s2
	s_mov_b32 s2, exec_lo
	s_delay_alu instid0(VALU_DEP_2) | instskip(NEXT) | instid1(VALU_DEP_1)
	v_and_b32_e32 v17, 0x7f, v5
	v_cmpx_ne_u32_e32 0x7f, v17
	s_cbranch_execz .LBB221_407
; %bb.404:                              ;   in Loop: Header=BB221_257 Depth=1
	v_and_b32_e32 v5, 7, v5
	v_lshrrev_b32_e32 v15, 3, v17
	s_mov_b32 s14, exec_lo
	v_cmpx_gt_u32_e32 8, v17
; %bb.405:                              ;   in Loop: Header=BB221_257 Depth=1
	s_delay_alu instid0(VALU_DEP_3) | instskip(NEXT) | instid1(VALU_DEP_1)
	v_clz_i32_u32_e32 v15, v5
	v_min_u32_e32 v15, 32, v15
	s_delay_alu instid0(VALU_DEP_1) | instskip(SKIP_1) | instid1(VALU_DEP_2)
	v_subrev_nc_u32_e32 v16, 28, v15
	v_sub_nc_u32_e32 v15, 29, v15
	v_lshlrev_b64 v[16:17], v16, v[5:6]
	s_delay_alu instid0(VALU_DEP_1)
	v_and_b32_e32 v5, 7, v16
; %bb.406:                              ;   in Loop: Header=BB221_257 Depth=1
	s_or_b32 exec_lo, exec_lo, s14
	v_lshlrev_b32_e32 v16, 16, v54
	s_delay_alu instid0(VALU_DEP_2) | instskip(SKIP_1) | instid1(VALU_DEP_3)
	v_lshlrev_b32_e32 v5, 20, v5
	v_lshl_add_u32 v15, v15, 23, 0x3c000000
	v_and_b32_e32 v16, 0x80000000, v16
	s_delay_alu instid0(VALU_DEP_1)
	v_or3_b32 v16, v5, v16, v15
	v_mov_b32_e32 v15, v6
.LBB221_407:                            ;   in Loop: Header=BB221_257 Depth=1
	s_or_b32 exec_lo, exec_lo, s2
.LBB221_408:                            ;   in Loop: Header=BB221_257 Depth=1
	s_delay_alu instid0(SALU_CYCLE_1)
	s_or_b32 exec_lo, exec_lo, s13
.LBB221_409:                            ;   in Loop: Header=BB221_257 Depth=1
	s_delay_alu instid0(SALU_CYCLE_1) | instskip(SKIP_4) | instid1(VALU_DEP_2)
	s_or_b32 exec_lo, exec_lo, s11
	v_mov_b32_e32 v19, 0
	v_lshrrev_b32_e32 v55, 16, v54
	v_mov_b32_e32 v20, 0
	s_mov_b32 s2, exec_lo
	v_and_b32_e32 v5, 0xff, v55
	s_delay_alu instid0(VALU_DEP_2) | instskip(NEXT) | instid1(VALU_DEP_2)
	v_dual_mov_b32 v17, v19 :: v_dual_mov_b32 v18, v20
	v_cmpx_ne_u16_e32 0, v5
	s_cbranch_execz .LBB221_417
; %bb.410:                              ;   in Loop: Header=BB221_257 Depth=1
	v_bfrev_b32_e32 v17, 1
	v_mov_b32_e32 v18, 0
	s_mov_b32 s11, exec_lo
	v_cmpx_ne_u16_e32 0x80, v5
	s_cbranch_execz .LBB221_416
; %bb.411:                              ;   in Loop: Header=BB221_257 Depth=1
	v_mov_b32_e32 v17, 0x7f800001
	v_bfe_u32 v56, v54, 16, 7
	v_mov_b32_e32 v18, 0
	s_mov_b32 s13, exec_lo
	s_delay_alu instid0(VALU_DEP_2)
	v_cmpx_ne_u32_e32 0x7f, v56
	s_cbranch_execz .LBB221_415
; %bb.412:                              ;   in Loop: Header=BB221_257 Depth=1
	v_and_b32_e32 v5, 7, v55
	v_lshrrev_b32_e32 v17, 3, v56
	s_mov_b32 s14, exec_lo
	v_cmpx_gt_u32_e32 8, v56
; %bb.413:                              ;   in Loop: Header=BB221_257 Depth=1
	s_delay_alu instid0(VALU_DEP_3) | instskip(NEXT) | instid1(VALU_DEP_1)
	v_clz_i32_u32_e32 v17, v5
	v_min_u32_e32 v17, 32, v17
	s_delay_alu instid0(VALU_DEP_1) | instskip(SKIP_1) | instid1(VALU_DEP_2)
	v_subrev_nc_u32_e32 v18, 28, v17
	v_sub_nc_u32_e32 v17, 29, v17
	v_lshlrev_b64 v[56:57], v18, v[5:6]
	s_delay_alu instid0(VALU_DEP_1)
	v_and_b32_e32 v5, 7, v56
; %bb.414:                              ;   in Loop: Header=BB221_257 Depth=1
	s_or_b32 exec_lo, exec_lo, s14
	v_lshlrev_b32_e32 v18, 24, v55
	s_delay_alu instid0(VALU_DEP_2) | instskip(SKIP_1) | instid1(VALU_DEP_3)
	v_lshlrev_b32_e32 v5, 20, v5
	v_lshl_add_u32 v17, v17, 23, 0x3c000000
	v_and_b32_e32 v18, 0x80000000, v18
	s_delay_alu instid0(VALU_DEP_1) | instskip(NEXT) | instid1(VALU_DEP_1)
	v_or3_b32 v5, v5, v18, v17
	v_dual_mov_b32 v18, v6 :: v_dual_mov_b32 v17, v5
.LBB221_415:                            ;   in Loop: Header=BB221_257 Depth=1
	s_or_b32 exec_lo, exec_lo, s13
.LBB221_416:                            ;   in Loop: Header=BB221_257 Depth=1
	s_delay_alu instid0(SALU_CYCLE_1)
	s_or_b32 exec_lo, exec_lo, s11
.LBB221_417:                            ;   in Loop: Header=BB221_257 Depth=1
	s_delay_alu instid0(SALU_CYCLE_1) | instskip(NEXT) | instid1(SALU_CYCLE_1)
	s_or_b32 exec_lo, exec_lo, s2
	s_mov_b32 s11, exec_lo
	v_cmpx_lt_u32_e32 0xffffff, v54
	s_cbranch_execz .LBB221_425
; %bb.418:                              ;   in Loop: Header=BB221_257 Depth=1
	v_lshrrev_b32_e32 v55, 24, v54
	v_dual_mov_b32 v20, s5 :: v_dual_mov_b32 v19, s4
	s_mov_b32 s13, exec_lo
	s_delay_alu instid0(VALU_DEP_2)
	v_cmpx_ne_u32_e32 0x80, v55
	s_cbranch_execz .LBB221_424
; %bb.419:                              ;   in Loop: Header=BB221_257 Depth=1
	s_mov_b32 s2, s4
	v_bfe_u32 v54, v54, 24, 7
	v_dual_mov_b32 v20, s3 :: v_dual_mov_b32 v19, s2
	s_mov_b32 s2, exec_lo
	s_delay_alu instid0(VALU_DEP_2)
	v_cmpx_ne_u32_e32 0x7f, v54
	s_cbranch_execz .LBB221_423
; %bb.420:                              ;   in Loop: Header=BB221_257 Depth=1
	v_and_b32_e32 v5, 7, v55
	v_lshrrev_b32_e32 v19, 3, v54
	s_mov_b32 s14, exec_lo
	v_cmpx_gt_u32_e32 8, v54
; %bb.421:                              ;   in Loop: Header=BB221_257 Depth=1
	s_delay_alu instid0(VALU_DEP_3) | instskip(NEXT) | instid1(VALU_DEP_1)
	v_clz_i32_u32_e32 v19, v5
	v_min_u32_e32 v19, 32, v19
	s_delay_alu instid0(VALU_DEP_1) | instskip(SKIP_1) | instid1(VALU_DEP_2)
	v_subrev_nc_u32_e32 v20, 28, v19
	v_sub_nc_u32_e32 v19, 29, v19
	v_lshlrev_b64 v[56:57], v20, v[5:6]
	s_delay_alu instid0(VALU_DEP_1)
	v_and_b32_e32 v5, 7, v56
; %bb.422:                              ;   in Loop: Header=BB221_257 Depth=1
	s_or_b32 exec_lo, exec_lo, s14
	v_lshlrev_b32_e32 v20, 24, v55
	s_delay_alu instid0(VALU_DEP_2) | instskip(SKIP_1) | instid1(VALU_DEP_3)
	v_lshlrev_b32_e32 v5, 20, v5
	v_lshl_add_u32 v19, v19, 23, 0x3c000000
	v_and_b32_e32 v20, 0x80000000, v20
	s_delay_alu instid0(VALU_DEP_1)
	v_or3_b32 v20, v5, v20, v19
	v_mov_b32_e32 v19, v6
.LBB221_423:                            ;   in Loop: Header=BB221_257 Depth=1
	s_or_b32 exec_lo, exec_lo, s2
.LBB221_424:                            ;   in Loop: Header=BB221_257 Depth=1
	s_delay_alu instid0(SALU_CYCLE_1)
	s_or_b32 exec_lo, exec_lo, s13
.LBB221_425:                            ;   in Loop: Header=BB221_257 Depth=1
	s_delay_alu instid0(SALU_CYCLE_1) | instskip(SKIP_4) | instid1(VALU_DEP_4)
	s_or_b32 exec_lo, exec_lo, s11
	v_or_b32_e32 v5, v16, v14
	v_or_b32_e32 v13, v15, v13
	;; [unrolled: 1-line block ×4, first 2 shown]
	v_mul_f32_e32 v57, s9, v5
	s_delay_alu instid0(VALU_DEP_4) | instskip(NEXT) | instid1(VALU_DEP_3)
	v_mul_f32_e32 v56, s7, v13
	v_dual_mul_f32 v54, s9, v14 :: v_dual_mul_f32 v55, s7, v15
	s_and_saveexec_b32 s2, vcc_lo
; %bb.426:                              ;   in Loop: Header=BB221_257 Depth=1
	v_cmp_gt_i32_e64 s0, s33, v38
	s_delay_alu instid0(VALU_DEP_1) | instskip(SKIP_1) | instid1(VALU_DEP_1)
	v_cndmask_b32_e64 v56, 0, v56, s0
	v_cmp_gt_i32_e64 s0, s33, v40
	v_cndmask_b32_e64 v57, 0, v57, s0
	v_cmp_gt_i32_e64 s0, s33, v39
	s_delay_alu instid0(VALU_DEP_1) | instskip(SKIP_1) | instid1(VALU_DEP_1)
	v_cndmask_b32_e64 v55, 0, v55, s0
	v_cmp_gt_i32_e64 s0, s33, v30
	v_cndmask_b32_e64 v54, 0, v54, s0
; %bb.427:                              ;   in Loop: Header=BB221_257 Depth=1
	s_or_b32 exec_lo, exec_lo, s2
	global_load_b32 v58, v[11:12], off offset:640
	v_mov_b32_e32 v15, 0
	v_mov_b32_e32 v16, 0
	s_mov_b32 s2, exec_lo
	s_waitcnt vmcnt(0)
	v_and_b32_e32 v5, 0xff, v58
	s_delay_alu instid0(VALU_DEP_2) | instskip(NEXT) | instid1(VALU_DEP_2)
	v_dual_mov_b32 v13, v15 :: v_dual_mov_b32 v14, v16
	v_cmpx_ne_u16_e32 0, v5
	s_cbranch_execz .LBB221_435
; %bb.428:                              ;   in Loop: Header=BB221_257 Depth=1
	v_bfrev_b32_e32 v13, 1
	v_mov_b32_e32 v14, 0
	s_mov_b32 s11, exec_lo
	v_cmpx_ne_u16_e32 0x80, v5
	s_cbranch_execz .LBB221_434
; %bb.429:                              ;   in Loop: Header=BB221_257 Depth=1
	v_mov_b32_e32 v13, 0x7f800001
	v_dual_mov_b32 v14, 0 :: v_dual_and_b32 v17, 0x7f, v58
	s_mov_b32 s13, exec_lo
	s_delay_alu instid0(VALU_DEP_1)
	v_cmpx_ne_u32_e32 0x7f, v17
	s_cbranch_execz .LBB221_433
; %bb.430:                              ;   in Loop: Header=BB221_257 Depth=1
	v_and_b32_e32 v5, 7, v58
	v_lshrrev_b32_e32 v13, 3, v17
	s_mov_b32 s14, exec_lo
	v_cmpx_gt_u32_e32 8, v17
; %bb.431:                              ;   in Loop: Header=BB221_257 Depth=1
	s_delay_alu instid0(VALU_DEP_3) | instskip(NEXT) | instid1(VALU_DEP_1)
	v_clz_i32_u32_e32 v13, v5
	v_min_u32_e32 v13, 32, v13
	s_delay_alu instid0(VALU_DEP_1) | instskip(SKIP_1) | instid1(VALU_DEP_2)
	v_subrev_nc_u32_e32 v14, 28, v13
	v_sub_nc_u32_e32 v13, 29, v13
	v_lshlrev_b64 v[17:18], v14, v[5:6]
	s_delay_alu instid0(VALU_DEP_1)
	v_and_b32_e32 v5, 7, v17
; %bb.432:                              ;   in Loop: Header=BB221_257 Depth=1
	s_or_b32 exec_lo, exec_lo, s14
	v_lshlrev_b32_e32 v14, 24, v58
	s_delay_alu instid0(VALU_DEP_2) | instskip(SKIP_1) | instid1(VALU_DEP_3)
	v_lshlrev_b32_e32 v5, 20, v5
	v_lshl_add_u32 v13, v13, 23, 0x3c000000
	v_and_b32_e32 v14, 0x80000000, v14
	s_delay_alu instid0(VALU_DEP_1) | instskip(NEXT) | instid1(VALU_DEP_1)
	v_or3_b32 v5, v5, v14, v13
	v_dual_mov_b32 v14, v6 :: v_dual_mov_b32 v13, v5
.LBB221_433:                            ;   in Loop: Header=BB221_257 Depth=1
	s_or_b32 exec_lo, exec_lo, s13
.LBB221_434:                            ;   in Loop: Header=BB221_257 Depth=1
	s_delay_alu instid0(SALU_CYCLE_1)
	s_or_b32 exec_lo, exec_lo, s11
.LBB221_435:                            ;   in Loop: Header=BB221_257 Depth=1
	s_delay_alu instid0(SALU_CYCLE_1) | instskip(SKIP_2) | instid1(VALU_DEP_1)
	s_or_b32 exec_lo, exec_lo, s2
	v_lshrrev_b16 v5, 8, v58
	s_mov_b32 s11, exec_lo
	v_cmpx_ne_u16_e32 0, v5
	s_cbranch_execz .LBB221_443
; %bb.436:                              ;   in Loop: Header=BB221_257 Depth=1
	v_dual_mov_b32 v16, s5 :: v_dual_mov_b32 v15, s4
	s_mov_b32 s13, exec_lo
	v_cmpx_ne_u16_e32 0x80, v5
	s_cbranch_execz .LBB221_442
; %bb.437:                              ;   in Loop: Header=BB221_257 Depth=1
	s_mov_b32 s2, s4
	v_dual_mov_b32 v16, s3 :: v_dual_and_b32 v5, 0xffff, v5
	v_mov_b32_e32 v15, s2
	s_mov_b32 s2, exec_lo
	s_delay_alu instid0(VALU_DEP_2) | instskip(NEXT) | instid1(VALU_DEP_1)
	v_and_b32_e32 v17, 0x7f, v5
	v_cmpx_ne_u32_e32 0x7f, v17
	s_cbranch_execz .LBB221_441
; %bb.438:                              ;   in Loop: Header=BB221_257 Depth=1
	v_and_b32_e32 v5, 7, v5
	v_lshrrev_b32_e32 v15, 3, v17
	s_mov_b32 s14, exec_lo
	v_cmpx_gt_u32_e32 8, v17
; %bb.439:                              ;   in Loop: Header=BB221_257 Depth=1
	s_delay_alu instid0(VALU_DEP_3) | instskip(NEXT) | instid1(VALU_DEP_1)
	v_clz_i32_u32_e32 v15, v5
	v_min_u32_e32 v15, 32, v15
	s_delay_alu instid0(VALU_DEP_1) | instskip(SKIP_1) | instid1(VALU_DEP_2)
	v_subrev_nc_u32_e32 v16, 28, v15
	v_sub_nc_u32_e32 v15, 29, v15
	v_lshlrev_b64 v[16:17], v16, v[5:6]
	s_delay_alu instid0(VALU_DEP_1)
	v_and_b32_e32 v5, 7, v16
; %bb.440:                              ;   in Loop: Header=BB221_257 Depth=1
	s_or_b32 exec_lo, exec_lo, s14
	v_lshlrev_b32_e32 v16, 16, v58
	s_delay_alu instid0(VALU_DEP_2) | instskip(SKIP_1) | instid1(VALU_DEP_3)
	v_lshlrev_b32_e32 v5, 20, v5
	v_lshl_add_u32 v15, v15, 23, 0x3c000000
	v_and_b32_e32 v16, 0x80000000, v16
	s_delay_alu instid0(VALU_DEP_1)
	v_or3_b32 v16, v5, v16, v15
	v_mov_b32_e32 v15, v6
.LBB221_441:                            ;   in Loop: Header=BB221_257 Depth=1
	s_or_b32 exec_lo, exec_lo, s2
.LBB221_442:                            ;   in Loop: Header=BB221_257 Depth=1
	s_delay_alu instid0(SALU_CYCLE_1)
	s_or_b32 exec_lo, exec_lo, s13
.LBB221_443:                            ;   in Loop: Header=BB221_257 Depth=1
	s_delay_alu instid0(SALU_CYCLE_1) | instskip(SKIP_4) | instid1(VALU_DEP_2)
	s_or_b32 exec_lo, exec_lo, s11
	v_mov_b32_e32 v19, 0
	v_lshrrev_b32_e32 v59, 16, v58
	v_mov_b32_e32 v20, 0
	s_mov_b32 s2, exec_lo
	v_and_b32_e32 v5, 0xff, v59
	s_delay_alu instid0(VALU_DEP_2) | instskip(NEXT) | instid1(VALU_DEP_2)
	v_dual_mov_b32 v17, v19 :: v_dual_mov_b32 v18, v20
	v_cmpx_ne_u16_e32 0, v5
	s_cbranch_execz .LBB221_451
; %bb.444:                              ;   in Loop: Header=BB221_257 Depth=1
	v_bfrev_b32_e32 v17, 1
	v_mov_b32_e32 v18, 0
	s_mov_b32 s11, exec_lo
	v_cmpx_ne_u16_e32 0x80, v5
	s_cbranch_execz .LBB221_450
; %bb.445:                              ;   in Loop: Header=BB221_257 Depth=1
	v_mov_b32_e32 v17, 0x7f800001
	v_bfe_u32 v60, v58, 16, 7
	v_mov_b32_e32 v18, 0
	s_mov_b32 s13, exec_lo
	s_delay_alu instid0(VALU_DEP_2)
	v_cmpx_ne_u32_e32 0x7f, v60
	s_cbranch_execz .LBB221_449
; %bb.446:                              ;   in Loop: Header=BB221_257 Depth=1
	v_and_b32_e32 v5, 7, v59
	v_lshrrev_b32_e32 v17, 3, v60
	s_mov_b32 s14, exec_lo
	v_cmpx_gt_u32_e32 8, v60
; %bb.447:                              ;   in Loop: Header=BB221_257 Depth=1
	s_delay_alu instid0(VALU_DEP_3) | instskip(NEXT) | instid1(VALU_DEP_1)
	v_clz_i32_u32_e32 v17, v5
	v_min_u32_e32 v17, 32, v17
	s_delay_alu instid0(VALU_DEP_1) | instskip(SKIP_1) | instid1(VALU_DEP_2)
	v_subrev_nc_u32_e32 v18, 28, v17
	v_sub_nc_u32_e32 v17, 29, v17
	v_lshlrev_b64 v[60:61], v18, v[5:6]
	s_delay_alu instid0(VALU_DEP_1)
	v_and_b32_e32 v5, 7, v60
; %bb.448:                              ;   in Loop: Header=BB221_257 Depth=1
	s_or_b32 exec_lo, exec_lo, s14
	v_lshlrev_b32_e32 v18, 24, v59
	s_delay_alu instid0(VALU_DEP_2) | instskip(SKIP_1) | instid1(VALU_DEP_3)
	v_lshlrev_b32_e32 v5, 20, v5
	v_lshl_add_u32 v17, v17, 23, 0x3c000000
	v_and_b32_e32 v18, 0x80000000, v18
	s_delay_alu instid0(VALU_DEP_1) | instskip(NEXT) | instid1(VALU_DEP_1)
	v_or3_b32 v5, v5, v18, v17
	v_dual_mov_b32 v18, v6 :: v_dual_mov_b32 v17, v5
.LBB221_449:                            ;   in Loop: Header=BB221_257 Depth=1
	s_or_b32 exec_lo, exec_lo, s13
.LBB221_450:                            ;   in Loop: Header=BB221_257 Depth=1
	s_delay_alu instid0(SALU_CYCLE_1)
	s_or_b32 exec_lo, exec_lo, s11
.LBB221_451:                            ;   in Loop: Header=BB221_257 Depth=1
	s_delay_alu instid0(SALU_CYCLE_1) | instskip(NEXT) | instid1(SALU_CYCLE_1)
	s_or_b32 exec_lo, exec_lo, s2
	s_mov_b32 s11, exec_lo
	v_cmpx_lt_u32_e32 0xffffff, v58
	s_cbranch_execz .LBB221_459
; %bb.452:                              ;   in Loop: Header=BB221_257 Depth=1
	v_lshrrev_b32_e32 v59, 24, v58
	v_dual_mov_b32 v20, s5 :: v_dual_mov_b32 v19, s4
	s_mov_b32 s13, exec_lo
	s_delay_alu instid0(VALU_DEP_2)
	v_cmpx_ne_u32_e32 0x80, v59
	s_cbranch_execz .LBB221_458
; %bb.453:                              ;   in Loop: Header=BB221_257 Depth=1
	s_mov_b32 s2, s4
	v_bfe_u32 v58, v58, 24, 7
	v_dual_mov_b32 v20, s3 :: v_dual_mov_b32 v19, s2
	s_mov_b32 s2, exec_lo
	s_delay_alu instid0(VALU_DEP_2)
	v_cmpx_ne_u32_e32 0x7f, v58
	s_cbranch_execz .LBB221_457
; %bb.454:                              ;   in Loop: Header=BB221_257 Depth=1
	v_and_b32_e32 v5, 7, v59
	v_lshrrev_b32_e32 v19, 3, v58
	s_mov_b32 s14, exec_lo
	v_cmpx_gt_u32_e32 8, v58
; %bb.455:                              ;   in Loop: Header=BB221_257 Depth=1
	s_delay_alu instid0(VALU_DEP_3) | instskip(NEXT) | instid1(VALU_DEP_1)
	v_clz_i32_u32_e32 v19, v5
	v_min_u32_e32 v19, 32, v19
	s_delay_alu instid0(VALU_DEP_1) | instskip(SKIP_1) | instid1(VALU_DEP_2)
	v_subrev_nc_u32_e32 v20, 28, v19
	v_sub_nc_u32_e32 v19, 29, v19
	v_lshlrev_b64 v[60:61], v20, v[5:6]
	s_delay_alu instid0(VALU_DEP_1)
	v_and_b32_e32 v5, 7, v60
; %bb.456:                              ;   in Loop: Header=BB221_257 Depth=1
	s_or_b32 exec_lo, exec_lo, s14
	v_lshlrev_b32_e32 v20, 24, v59
	s_delay_alu instid0(VALU_DEP_2) | instskip(SKIP_1) | instid1(VALU_DEP_3)
	v_lshlrev_b32_e32 v5, 20, v5
	v_lshl_add_u32 v19, v19, 23, 0x3c000000
	v_and_b32_e32 v20, 0x80000000, v20
	s_delay_alu instid0(VALU_DEP_1)
	v_or3_b32 v20, v5, v20, v19
	v_mov_b32_e32 v19, v6
.LBB221_457:                            ;   in Loop: Header=BB221_257 Depth=1
	s_or_b32 exec_lo, exec_lo, s2
.LBB221_458:                            ;   in Loop: Header=BB221_257 Depth=1
	s_delay_alu instid0(SALU_CYCLE_1)
	s_or_b32 exec_lo, exec_lo, s13
.LBB221_459:                            ;   in Loop: Header=BB221_257 Depth=1
	s_delay_alu instid0(SALU_CYCLE_1) | instskip(SKIP_4) | instid1(VALU_DEP_4)
	s_or_b32 exec_lo, exec_lo, s11
	v_or_b32_e32 v5, v16, v14
	v_or_b32_e32 v13, v15, v13
	;; [unrolled: 1-line block ×4, first 2 shown]
	v_mul_f32_e32 v59, s9, v5
	s_delay_alu instid0(VALU_DEP_3) | instskip(NEXT) | instid1(VALU_DEP_3)
	v_dual_mul_f32 v58, s7, v13 :: v_dual_mul_f32 v19, s9, v14
	v_mul_f32_e32 v20, s7, v15
	s_and_saveexec_b32 s2, vcc_lo
; %bb.460:                              ;   in Loop: Header=BB221_257 Depth=1
	v_cmp_gt_i32_e64 s0, s33, v38
	s_delay_alu instid0(VALU_DEP_1) | instskip(SKIP_1) | instid1(VALU_DEP_1)
	v_cndmask_b32_e64 v58, 0, v58, s0
	v_cmp_gt_i32_e64 s0, s33, v40
	v_cndmask_b32_e64 v59, 0, v59, s0
	v_cmp_gt_i32_e64 s0, s33, v39
	s_delay_alu instid0(VALU_DEP_1) | instskip(SKIP_1) | instid1(VALU_DEP_1)
	v_cndmask_b32_e64 v20, 0, v20, s0
	v_cmp_gt_i32_e64 s0, s33, v30
	v_cndmask_b32_e64 v19, 0, v19, s0
; %bb.461:                              ;   in Loop: Header=BB221_257 Depth=1
	s_or_b32 exec_lo, exec_lo, s2
	global_load_b32 v60, v[11:12], off offset:768
	v_mov_b32_e32 v13, 0
	v_mov_b32_e32 v14, 0
	s_mov_b32 s2, exec_lo
	s_waitcnt vmcnt(0)
	v_and_b32_e32 v5, 0xff, v60
	s_delay_alu instid0(VALU_DEP_2) | instskip(NEXT) | instid1(VALU_DEP_2)
	v_dual_mov_b32 v11, v13 :: v_dual_mov_b32 v12, v14
	v_cmpx_ne_u16_e32 0, v5
	s_cbranch_execz .LBB221_469
; %bb.462:                              ;   in Loop: Header=BB221_257 Depth=1
	v_bfrev_b32_e32 v11, 1
	v_mov_b32_e32 v12, 0
	s_mov_b32 s11, exec_lo
	v_cmpx_ne_u16_e32 0x80, v5
	s_cbranch_execz .LBB221_468
; %bb.463:                              ;   in Loop: Header=BB221_257 Depth=1
	v_mov_b32_e32 v11, 0x7f800001
	v_dual_mov_b32 v12, 0 :: v_dual_and_b32 v15, 0x7f, v60
	s_mov_b32 s13, exec_lo
	s_delay_alu instid0(VALU_DEP_1)
	v_cmpx_ne_u32_e32 0x7f, v15
	s_cbranch_execz .LBB221_467
; %bb.464:                              ;   in Loop: Header=BB221_257 Depth=1
	v_and_b32_e32 v5, 7, v60
	v_lshrrev_b32_e32 v11, 3, v15
	s_mov_b32 s14, exec_lo
	v_cmpx_gt_u32_e32 8, v15
; %bb.465:                              ;   in Loop: Header=BB221_257 Depth=1
	s_delay_alu instid0(VALU_DEP_3) | instskip(NEXT) | instid1(VALU_DEP_1)
	v_clz_i32_u32_e32 v11, v5
	v_min_u32_e32 v11, 32, v11
	s_delay_alu instid0(VALU_DEP_1) | instskip(SKIP_1) | instid1(VALU_DEP_2)
	v_subrev_nc_u32_e32 v12, 28, v11
	v_sub_nc_u32_e32 v11, 29, v11
	v_lshlrev_b64 v[15:16], v12, v[5:6]
	s_delay_alu instid0(VALU_DEP_1)
	v_and_b32_e32 v5, 7, v15
; %bb.466:                              ;   in Loop: Header=BB221_257 Depth=1
	s_or_b32 exec_lo, exec_lo, s14
	v_lshlrev_b32_e32 v12, 24, v60
	s_delay_alu instid0(VALU_DEP_2) | instskip(SKIP_1) | instid1(VALU_DEP_3)
	v_lshlrev_b32_e32 v5, 20, v5
	v_lshl_add_u32 v11, v11, 23, 0x3c000000
	v_and_b32_e32 v12, 0x80000000, v12
	s_delay_alu instid0(VALU_DEP_1) | instskip(NEXT) | instid1(VALU_DEP_1)
	v_or3_b32 v5, v5, v12, v11
	v_dual_mov_b32 v12, v6 :: v_dual_mov_b32 v11, v5
.LBB221_467:                            ;   in Loop: Header=BB221_257 Depth=1
	s_or_b32 exec_lo, exec_lo, s13
.LBB221_468:                            ;   in Loop: Header=BB221_257 Depth=1
	s_delay_alu instid0(SALU_CYCLE_1)
	s_or_b32 exec_lo, exec_lo, s11
.LBB221_469:                            ;   in Loop: Header=BB221_257 Depth=1
	s_delay_alu instid0(SALU_CYCLE_1) | instskip(SKIP_2) | instid1(VALU_DEP_1)
	s_or_b32 exec_lo, exec_lo, s2
	v_lshrrev_b16 v5, 8, v60
	s_mov_b32 s11, exec_lo
	v_cmpx_ne_u16_e32 0, v5
	s_cbranch_execz .LBB221_477
; %bb.470:                              ;   in Loop: Header=BB221_257 Depth=1
	v_dual_mov_b32 v14, s5 :: v_dual_mov_b32 v13, s4
	s_mov_b32 s13, exec_lo
	v_cmpx_ne_u16_e32 0x80, v5
	s_cbranch_execz .LBB221_476
; %bb.471:                              ;   in Loop: Header=BB221_257 Depth=1
	s_mov_b32 s2, s4
	v_dual_mov_b32 v14, s3 :: v_dual_and_b32 v5, 0xffff, v5
	v_mov_b32_e32 v13, s2
	s_mov_b32 s2, exec_lo
	s_delay_alu instid0(VALU_DEP_2) | instskip(NEXT) | instid1(VALU_DEP_1)
	v_and_b32_e32 v15, 0x7f, v5
	v_cmpx_ne_u32_e32 0x7f, v15
	s_cbranch_execz .LBB221_475
; %bb.472:                              ;   in Loop: Header=BB221_257 Depth=1
	v_and_b32_e32 v5, 7, v5
	v_lshrrev_b32_e32 v13, 3, v15
	s_mov_b32 s14, exec_lo
	v_cmpx_gt_u32_e32 8, v15
; %bb.473:                              ;   in Loop: Header=BB221_257 Depth=1
	s_delay_alu instid0(VALU_DEP_3) | instskip(NEXT) | instid1(VALU_DEP_1)
	v_clz_i32_u32_e32 v13, v5
	v_min_u32_e32 v13, 32, v13
	s_delay_alu instid0(VALU_DEP_1) | instskip(SKIP_1) | instid1(VALU_DEP_2)
	v_subrev_nc_u32_e32 v14, 28, v13
	v_sub_nc_u32_e32 v13, 29, v13
	v_lshlrev_b64 v[14:15], v14, v[5:6]
	s_delay_alu instid0(VALU_DEP_1)
	v_and_b32_e32 v5, 7, v14
; %bb.474:                              ;   in Loop: Header=BB221_257 Depth=1
	s_or_b32 exec_lo, exec_lo, s14
	v_lshlrev_b32_e32 v14, 16, v60
	s_delay_alu instid0(VALU_DEP_2) | instskip(SKIP_1) | instid1(VALU_DEP_3)
	v_lshlrev_b32_e32 v5, 20, v5
	v_lshl_add_u32 v13, v13, 23, 0x3c000000
	v_and_b32_e32 v14, 0x80000000, v14
	s_delay_alu instid0(VALU_DEP_1)
	v_or3_b32 v14, v5, v14, v13
	v_mov_b32_e32 v13, v6
.LBB221_475:                            ;   in Loop: Header=BB221_257 Depth=1
	s_or_b32 exec_lo, exec_lo, s2
.LBB221_476:                            ;   in Loop: Header=BB221_257 Depth=1
	s_delay_alu instid0(SALU_CYCLE_1)
	s_or_b32 exec_lo, exec_lo, s13
.LBB221_477:                            ;   in Loop: Header=BB221_257 Depth=1
	s_delay_alu instid0(SALU_CYCLE_1) | instskip(SKIP_4) | instid1(VALU_DEP_2)
	s_or_b32 exec_lo, exec_lo, s11
	v_mov_b32_e32 v17, 0
	v_lshrrev_b32_e32 v61, 16, v60
	v_mov_b32_e32 v18, 0
	s_mov_b32 s2, exec_lo
	v_and_b32_e32 v5, 0xff, v61
	s_delay_alu instid0(VALU_DEP_2) | instskip(NEXT) | instid1(VALU_DEP_2)
	v_dual_mov_b32 v15, v17 :: v_dual_mov_b32 v16, v18
	v_cmpx_ne_u16_e32 0, v5
	s_cbranch_execz .LBB221_485
; %bb.478:                              ;   in Loop: Header=BB221_257 Depth=1
	v_bfrev_b32_e32 v15, 1
	v_mov_b32_e32 v16, 0
	s_mov_b32 s11, exec_lo
	v_cmpx_ne_u16_e32 0x80, v5
	s_cbranch_execz .LBB221_484
; %bb.479:                              ;   in Loop: Header=BB221_257 Depth=1
	v_mov_b32_e32 v15, 0x7f800001
	v_bfe_u32 v62, v60, 16, 7
	v_mov_b32_e32 v16, 0
	s_mov_b32 s13, exec_lo
	s_delay_alu instid0(VALU_DEP_2)
	v_cmpx_ne_u32_e32 0x7f, v62
	s_cbranch_execz .LBB221_483
; %bb.480:                              ;   in Loop: Header=BB221_257 Depth=1
	v_and_b32_e32 v5, 7, v61
	v_lshrrev_b32_e32 v15, 3, v62
	s_mov_b32 s14, exec_lo
	v_cmpx_gt_u32_e32 8, v62
; %bb.481:                              ;   in Loop: Header=BB221_257 Depth=1
	s_delay_alu instid0(VALU_DEP_3) | instskip(NEXT) | instid1(VALU_DEP_1)
	v_clz_i32_u32_e32 v15, v5
	v_min_u32_e32 v15, 32, v15
	s_delay_alu instid0(VALU_DEP_1) | instskip(SKIP_1) | instid1(VALU_DEP_2)
	v_subrev_nc_u32_e32 v16, 28, v15
	v_sub_nc_u32_e32 v15, 29, v15
	v_lshlrev_b64 v[62:63], v16, v[5:6]
	s_delay_alu instid0(VALU_DEP_1)
	v_and_b32_e32 v5, 7, v62
; %bb.482:                              ;   in Loop: Header=BB221_257 Depth=1
	s_or_b32 exec_lo, exec_lo, s14
	v_lshlrev_b32_e32 v16, 24, v61
	s_delay_alu instid0(VALU_DEP_2) | instskip(SKIP_1) | instid1(VALU_DEP_3)
	v_lshlrev_b32_e32 v5, 20, v5
	v_lshl_add_u32 v15, v15, 23, 0x3c000000
	v_and_b32_e32 v16, 0x80000000, v16
	s_delay_alu instid0(VALU_DEP_1) | instskip(NEXT) | instid1(VALU_DEP_1)
	v_or3_b32 v5, v5, v16, v15
	v_dual_mov_b32 v16, v6 :: v_dual_mov_b32 v15, v5
.LBB221_483:                            ;   in Loop: Header=BB221_257 Depth=1
	s_or_b32 exec_lo, exec_lo, s13
.LBB221_484:                            ;   in Loop: Header=BB221_257 Depth=1
	s_delay_alu instid0(SALU_CYCLE_1)
	s_or_b32 exec_lo, exec_lo, s11
.LBB221_485:                            ;   in Loop: Header=BB221_257 Depth=1
	s_delay_alu instid0(SALU_CYCLE_1) | instskip(NEXT) | instid1(SALU_CYCLE_1)
	s_or_b32 exec_lo, exec_lo, s2
	s_mov_b32 s11, exec_lo
	v_cmpx_lt_u32_e32 0xffffff, v60
	s_cbranch_execz .LBB221_493
; %bb.486:                              ;   in Loop: Header=BB221_257 Depth=1
	v_lshrrev_b32_e32 v61, 24, v60
	v_dual_mov_b32 v18, s5 :: v_dual_mov_b32 v17, s4
	s_mov_b32 s13, exec_lo
	s_delay_alu instid0(VALU_DEP_2)
	v_cmpx_ne_u32_e32 0x80, v61
	s_cbranch_execz .LBB221_492
; %bb.487:                              ;   in Loop: Header=BB221_257 Depth=1
	s_mov_b32 s2, s4
	v_bfe_u32 v60, v60, 24, 7
	v_dual_mov_b32 v18, s3 :: v_dual_mov_b32 v17, s2
	s_mov_b32 s2, exec_lo
	s_delay_alu instid0(VALU_DEP_2)
	v_cmpx_ne_u32_e32 0x7f, v60
	s_cbranch_execz .LBB221_491
; %bb.488:                              ;   in Loop: Header=BB221_257 Depth=1
	v_and_b32_e32 v5, 7, v61
	v_lshrrev_b32_e32 v17, 3, v60
	s_mov_b32 s14, exec_lo
	v_cmpx_gt_u32_e32 8, v60
; %bb.489:                              ;   in Loop: Header=BB221_257 Depth=1
	s_delay_alu instid0(VALU_DEP_3) | instskip(NEXT) | instid1(VALU_DEP_1)
	v_clz_i32_u32_e32 v17, v5
	v_min_u32_e32 v17, 32, v17
	s_delay_alu instid0(VALU_DEP_1) | instskip(SKIP_1) | instid1(VALU_DEP_2)
	v_subrev_nc_u32_e32 v18, 28, v17
	v_sub_nc_u32_e32 v17, 29, v17
	v_lshlrev_b64 v[62:63], v18, v[5:6]
	s_delay_alu instid0(VALU_DEP_1)
	v_and_b32_e32 v5, 7, v62
; %bb.490:                              ;   in Loop: Header=BB221_257 Depth=1
	s_or_b32 exec_lo, exec_lo, s14
	v_lshlrev_b32_e32 v18, 24, v61
	s_delay_alu instid0(VALU_DEP_2) | instskip(SKIP_1) | instid1(VALU_DEP_3)
	v_lshlrev_b32_e32 v5, 20, v5
	v_lshl_add_u32 v17, v17, 23, 0x3c000000
	v_and_b32_e32 v18, 0x80000000, v18
	s_delay_alu instid0(VALU_DEP_1)
	v_or3_b32 v18, v5, v18, v17
	v_mov_b32_e32 v17, v6
.LBB221_491:                            ;   in Loop: Header=BB221_257 Depth=1
	s_or_b32 exec_lo, exec_lo, s2
.LBB221_492:                            ;   in Loop: Header=BB221_257 Depth=1
	s_delay_alu instid0(SALU_CYCLE_1)
	s_or_b32 exec_lo, exec_lo, s13
.LBB221_493:                            ;   in Loop: Header=BB221_257 Depth=1
	s_delay_alu instid0(SALU_CYCLE_1) | instskip(SKIP_4) | instid1(VALU_DEP_3)
	s_or_b32 exec_lo, exec_lo, s11
	v_or_b32_e32 v5, v14, v12
	v_or_b32_e32 v11, v13, v11
	;; [unrolled: 1-line block ×4, first 2 shown]
	v_dual_mul_f32 v13, s9, v5 :: v_dual_mul_f32 v12, s7, v11
	s_delay_alu instid0(VALU_DEP_3) | instskip(NEXT) | instid1(VALU_DEP_3)
	v_mul_f32_e32 v5, s9, v14
	v_mul_f32_e32 v11, s7, v15
	s_and_saveexec_b32 s0, vcc_lo
	s_cbranch_execz .LBB221_256
; %bb.494:                              ;   in Loop: Header=BB221_257 Depth=1
	v_cmp_gt_i32_e32 vcc_lo, s33, v38
	v_cndmask_b32_e32 v12, 0, v12, vcc_lo
	v_cmp_gt_i32_e32 vcc_lo, s33, v40
	v_cndmask_b32_e32 v13, 0, v13, vcc_lo
	;; [unrolled: 2-line block ×4, first 2 shown]
	s_branch .LBB221_256
.LBB221_495:
	s_or_b32 exec_lo, exec_lo, s10
.LBB221_496:
	s_delay_alu instid0(SALU_CYCLE_1)
	s_or_b32 exec_lo, exec_lo, s1
	ds_bpermute_b32 v1, v22, v32
	ds_bpermute_b32 v2, v22, v31
	ds_bpermute_b32 v3, v22, v28
	ds_bpermute_b32 v4, v22, v27
	ds_bpermute_b32 v10, v22, v26
	ds_bpermute_b32 v11, v22, v25
	ds_bpermute_b32 v12, v22, v24
	v_and_b32_e32 v5, 0x3c1, v0
	v_lshrrev_b32_e32 v8, 1, v21
	s_movk_i32 s0, 0x1c0
	s_waitcnt lgkmcnt(0)
	s_waitcnt_vscnt null, 0x0
	v_mad_u32_u24 v9, v41, s0, 0x1e0
	s_barrier
	buffer_gl0_inv
	v_dual_add_f32 v7, v32, v1 :: v_dual_add_f32 v6, v31, v2
	v_cmp_eq_u32_e32 vcc_lo, 64, v5
	v_dual_add_f32 v4, v27, v4 :: v_dual_add_f32 v5, v28, v3
	v_dual_add_f32 v3, v26, v10 :: v_dual_add_f32 v2, v25, v11
	v_add_f32_e32 v1, v24, v12
	v_lshlrev_b32_e32 v10, 2, v8
	s_and_saveexec_b32 s0, vcc_lo
	s_cbranch_execz .LBB221_498
; %bb.497:
	s_delay_alu instid0(VALU_DEP_1)
	v_add3_u32 v11, v9, v10, 0xfffffc80
	ds_store_2addr_b32 v11, v7, v6 offset1:16
	ds_store_2addr_b32 v11, v5, v4 offset0:32 offset1:48
	ds_store_2addr_b32 v11, v3, v2 offset0:64 offset1:80
	ds_store_b32 v11, v1 offset:384
.LBB221_498:
	s_or_b32 exec_lo, exec_lo, s0
	v_cmp_eq_u32_e32 vcc_lo, 0, v23
	s_mov_b32 s1, exec_lo
	s_waitcnt lgkmcnt(0)
	s_barrier
	buffer_gl0_inv
	v_cmpx_gt_u32_e32 64, v0
	s_cbranch_execz .LBB221_508
; %bb.499:
	s_and_saveexec_b32 s0, vcc_lo
	s_cbranch_execnz .LBB221_523
; %bb.500:
	s_or_b32 exec_lo, exec_lo, s0
	s_and_saveexec_b32 s0, vcc_lo
	s_cbranch_execnz .LBB221_524
.LBB221_501:
	s_or_b32 exec_lo, exec_lo, s0
	s_and_saveexec_b32 s0, vcc_lo
	s_cbranch_execnz .LBB221_525
.LBB221_502:
	s_or_b32 exec_lo, exec_lo, s0
	s_and_saveexec_b32 s0, vcc_lo
	s_cbranch_execnz .LBB221_526
.LBB221_503:
	s_or_b32 exec_lo, exec_lo, s0
	s_and_saveexec_b32 s0, vcc_lo
	s_cbranch_execnz .LBB221_527
.LBB221_504:
	s_or_b32 exec_lo, exec_lo, s0
	s_and_saveexec_b32 s0, vcc_lo
	s_cbranch_execnz .LBB221_528
.LBB221_505:
	s_or_b32 exec_lo, exec_lo, s0
	s_and_saveexec_b32 s0, vcc_lo
	s_cbranch_execz .LBB221_507
.LBB221_506:
	v_lshl_add_u32 v11, v8, 2, v9
	ds_load_b32 v11, v11 offset:384
	s_waitcnt lgkmcnt(0)
	v_add_f32_e32 v1, v1, v11
.LBB221_507:
	s_or_b32 exec_lo, exec_lo, s0
.LBB221_508:
	s_delay_alu instid0(SALU_CYCLE_1)
	s_or_b32 exec_lo, exec_lo, s1
	v_and_b32_e32 v11, 0x3e1, v0
	s_mov_b32 s1, exec_lo
	s_barrier
	buffer_gl0_inv
	v_cmpx_eq_u32_e32 32, v11
	s_cbranch_execz .LBB221_510
; %bb.509:
	v_add3_u32 v10, v9, v10, 0xfffffe40
	ds_store_2addr_b32 v10, v7, v6 offset1:16
	ds_store_2addr_b32 v10, v5, v4 offset0:32 offset1:48
	ds_store_2addr_b32 v10, v3, v2 offset0:64 offset1:80
	ds_store_b32 v10, v1 offset:384
.LBB221_510:
	s_or_b32 exec_lo, exec_lo, s1
	s_delay_alu instid0(SALU_CYCLE_1)
	s_mov_b32 s1, exec_lo
	s_waitcnt lgkmcnt(0)
	s_barrier
	buffer_gl0_inv
	v_cmpx_gt_u32_e32 32, v0
	s_cbranch_execz .LBB221_520
; %bb.511:
	v_lshl_add_u32 v8, v8, 2, v9
	s_and_saveexec_b32 s0, vcc_lo
	s_cbranch_execnz .LBB221_529
; %bb.512:
	s_or_b32 exec_lo, exec_lo, s0
	s_and_saveexec_b32 s0, vcc_lo
	s_cbranch_execnz .LBB221_530
.LBB221_513:
	s_or_b32 exec_lo, exec_lo, s0
	s_and_saveexec_b32 s0, vcc_lo
	s_cbranch_execnz .LBB221_531
.LBB221_514:
	s_or_b32 exec_lo, exec_lo, s0
	s_and_saveexec_b32 s0, vcc_lo
	s_cbranch_execnz .LBB221_532
.LBB221_515:
	s_or_b32 exec_lo, exec_lo, s0
	s_and_saveexec_b32 s0, vcc_lo
	s_cbranch_execnz .LBB221_533
.LBB221_516:
	s_or_b32 exec_lo, exec_lo, s0
	s_and_saveexec_b32 s0, vcc_lo
	s_cbranch_execnz .LBB221_534
.LBB221_517:
	s_or_b32 exec_lo, exec_lo, s0
	s_and_saveexec_b32 s0, vcc_lo
	s_cbranch_execz .LBB221_519
.LBB221_518:
	ds_load_b32 v8, v8 offset:384
	s_waitcnt lgkmcnt(0)
	v_add_f32_e32 v1, v1, v8
.LBB221_519:
	s_or_b32 exec_lo, exec_lo, s0
.LBB221_520:
	s_delay_alu instid0(SALU_CYCLE_1)
	s_or_b32 exec_lo, exec_lo, s1
	s_barrier
	buffer_gl0_inv
	s_mov_b32 s0, exec_lo
	v_cmpx_eq_u32_e32 0, v11
	s_cbranch_execz .LBB221_522
; %bb.521:
	s_mul_i32 s0, s6, 0x70
	s_mul_i32 s2, s15, s20
	s_ashr_i32 s1, s0, 31
	v_lshlrev_b32_e32 v0, 1, v0
	s_lshl_b64 s[0:1], s[0:1], 2
	s_delay_alu instid0(SALU_CYCLE_1) | instskip(SKIP_2) | instid1(SALU_CYCLE_1)
	s_add_u32 s4, s22, s0
	s_addc_u32 s5, s23, s1
	s_ashr_i32 s3, s2, 31
	s_lshl_b64 s[0:1], s[2:3], 2
	s_mul_i32 s2, s12, 0x70
	s_add_u32 s4, s4, s0
	s_addc_u32 s5, s5, s1
	s_ashr_i32 s3, s2, 31
	s_delay_alu instid0(SALU_CYCLE_1) | instskip(NEXT) | instid1(SALU_CYCLE_1)
	s_lshl_b64 s[0:1], s[2:3], 2
	s_add_u32 s0, s4, s0
	s_addc_u32 s1, s5, s1
	s_clause 0x6
	global_store_b32 v0, v7, s[0:1]
	global_store_b32 v0, v6, s[0:1] offset:64
	global_store_b32 v0, v5, s[0:1] offset:128
	;; [unrolled: 1-line block ×6, first 2 shown]
.LBB221_522:
	s_nop 0
	s_sendmsg sendmsg(MSG_DEALLOC_VGPRS)
	s_endpgm
.LBB221_523:
	v_lshl_add_u32 v11, v8, 2, v9
	ds_load_b32 v11, v11
	s_waitcnt lgkmcnt(0)
	v_add_f32_e32 v7, v7, v11
	s_or_b32 exec_lo, exec_lo, s0
	s_and_saveexec_b32 s0, vcc_lo
	s_cbranch_execz .LBB221_501
.LBB221_524:
	v_lshl_add_u32 v11, v8, 2, v9
	ds_load_b32 v11, v11 offset:64
	s_waitcnt lgkmcnt(0)
	v_add_f32_e32 v6, v6, v11
	s_or_b32 exec_lo, exec_lo, s0
	s_and_saveexec_b32 s0, vcc_lo
	s_cbranch_execz .LBB221_502
.LBB221_525:
	v_lshl_add_u32 v11, v8, 2, v9
	ds_load_b32 v11, v11 offset:128
	s_waitcnt lgkmcnt(0)
	v_add_f32_e32 v5, v5, v11
	s_or_b32 exec_lo, exec_lo, s0
	s_and_saveexec_b32 s0, vcc_lo
	s_cbranch_execz .LBB221_503
.LBB221_526:
	v_lshl_add_u32 v11, v8, 2, v9
	ds_load_b32 v11, v11 offset:192
	s_waitcnt lgkmcnt(0)
	v_add_f32_e32 v4, v4, v11
	s_or_b32 exec_lo, exec_lo, s0
	s_and_saveexec_b32 s0, vcc_lo
	s_cbranch_execz .LBB221_504
.LBB221_527:
	v_lshl_add_u32 v11, v8, 2, v9
	ds_load_b32 v11, v11 offset:256
	s_waitcnt lgkmcnt(0)
	v_add_f32_e32 v3, v3, v11
	s_or_b32 exec_lo, exec_lo, s0
	s_and_saveexec_b32 s0, vcc_lo
	s_cbranch_execz .LBB221_505
.LBB221_528:
	v_lshl_add_u32 v11, v8, 2, v9
	ds_load_b32 v11, v11 offset:320
	s_waitcnt lgkmcnt(0)
	v_add_f32_e32 v2, v2, v11
	s_or_b32 exec_lo, exec_lo, s0
	s_and_saveexec_b32 s0, vcc_lo
	s_cbranch_execnz .LBB221_506
	s_branch .LBB221_507
.LBB221_529:
	ds_load_b32 v9, v8
	s_waitcnt lgkmcnt(0)
	v_add_f32_e32 v7, v7, v9
	s_or_b32 exec_lo, exec_lo, s0
	s_and_saveexec_b32 s0, vcc_lo
	s_cbranch_execz .LBB221_513
.LBB221_530:
	ds_load_b32 v9, v8 offset:64
	s_waitcnt lgkmcnt(0)
	v_add_f32_e32 v6, v6, v9
	s_or_b32 exec_lo, exec_lo, s0
	s_and_saveexec_b32 s0, vcc_lo
	s_cbranch_execz .LBB221_514
.LBB221_531:
	ds_load_b32 v9, v8 offset:128
	s_waitcnt lgkmcnt(0)
	v_add_f32_e32 v5, v5, v9
	s_or_b32 exec_lo, exec_lo, s0
	s_and_saveexec_b32 s0, vcc_lo
	s_cbranch_execz .LBB221_515
.LBB221_532:
	ds_load_b32 v9, v8 offset:192
	s_waitcnt lgkmcnt(0)
	v_add_f32_e32 v4, v4, v9
	s_or_b32 exec_lo, exec_lo, s0
	s_and_saveexec_b32 s0, vcc_lo
	s_cbranch_execz .LBB221_516
.LBB221_533:
	ds_load_b32 v9, v8 offset:256
	s_waitcnt lgkmcnt(0)
	v_add_f32_e32 v3, v3, v9
	s_or_b32 exec_lo, exec_lo, s0
	s_and_saveexec_b32 s0, vcc_lo
	s_cbranch_execz .LBB221_517
.LBB221_534:
	ds_load_b32 v9, v8 offset:320
	s_waitcnt lgkmcnt(0)
	v_add_f32_e32 v2, v2, v9
	s_or_b32 exec_lo, exec_lo, s0
	s_and_saveexec_b32 s0, vcc_lo
	s_cbranch_execnz .LBB221_518
	s_branch .LBB221_519
	.section	.rodata,"a",@progbits
	.p2align	6, 0x0
	.amdhsa_kernel _ZN4vllm25paged_attention_v2_kernelIfhLi112ELi8ELi128ELNS_18Fp8KVCacheDataTypeE1ELb0ELi512EEEvPfS2_PT_PKS3_PKT0_S9_ifPKiSB_iPKfiiiSD_SD_iiiii
		.amdhsa_group_segment_fixed_size 480
		.amdhsa_private_segment_fixed_size 0
		.amdhsa_kernarg_size 400
		.amdhsa_user_sgpr_count 13
		.amdhsa_user_sgpr_dispatch_ptr 0
		.amdhsa_user_sgpr_queue_ptr 0
		.amdhsa_user_sgpr_kernarg_segment_ptr 1
		.amdhsa_user_sgpr_dispatch_id 0
		.amdhsa_user_sgpr_private_segment_size 0
		.amdhsa_wavefront_size32 1
		.amdhsa_uses_dynamic_stack 0
		.amdhsa_enable_private_segment 0
		.amdhsa_system_sgpr_workgroup_id_x 1
		.amdhsa_system_sgpr_workgroup_id_y 1
		.amdhsa_system_sgpr_workgroup_id_z 1
		.amdhsa_system_sgpr_workgroup_info 0
		.amdhsa_system_vgpr_workitem_id 0
		.amdhsa_next_free_vgpr 80
		.amdhsa_next_free_sgpr 42
		.amdhsa_reserve_vcc 1
		.amdhsa_float_round_mode_32 0
		.amdhsa_float_round_mode_16_64 0
		.amdhsa_float_denorm_mode_32 3
		.amdhsa_float_denorm_mode_16_64 3
		.amdhsa_dx10_clamp 1
		.amdhsa_ieee_mode 1
		.amdhsa_fp16_overflow 0
		.amdhsa_workgroup_processor_mode 1
		.amdhsa_memory_ordered 1
		.amdhsa_forward_progress 0
		.amdhsa_shared_vgpr_count 0
		.amdhsa_exception_fp_ieee_invalid_op 0
		.amdhsa_exception_fp_denorm_src 0
		.amdhsa_exception_fp_ieee_div_zero 0
		.amdhsa_exception_fp_ieee_overflow 0
		.amdhsa_exception_fp_ieee_underflow 0
		.amdhsa_exception_fp_ieee_inexact 0
		.amdhsa_exception_int_div_zero 0
	.end_amdhsa_kernel
	.section	.text._ZN4vllm25paged_attention_v2_kernelIfhLi112ELi8ELi128ELNS_18Fp8KVCacheDataTypeE1ELb0ELi512EEEvPfS2_PT_PKS3_PKT0_S9_ifPKiSB_iPKfiiiSD_SD_iiiii,"axG",@progbits,_ZN4vllm25paged_attention_v2_kernelIfhLi112ELi8ELi128ELNS_18Fp8KVCacheDataTypeE1ELb0ELi512EEEvPfS2_PT_PKS3_PKT0_S9_ifPKiSB_iPKfiiiSD_SD_iiiii,comdat
.Lfunc_end221:
	.size	_ZN4vllm25paged_attention_v2_kernelIfhLi112ELi8ELi128ELNS_18Fp8KVCacheDataTypeE1ELb0ELi512EEEvPfS2_PT_PKS3_PKT0_S9_ifPKiSB_iPKfiiiSD_SD_iiiii, .Lfunc_end221-_ZN4vllm25paged_attention_v2_kernelIfhLi112ELi8ELi128ELNS_18Fp8KVCacheDataTypeE1ELb0ELi512EEEvPfS2_PT_PKS3_PKT0_S9_ifPKiSB_iPKfiiiSD_SD_iiiii
                                        ; -- End function
	.section	.AMDGPU.csdata,"",@progbits
; Kernel info:
; codeLenInByte = 17664
; NumSgprs: 44
; NumVgprs: 80
; ScratchSize: 0
; MemoryBound: 0
; FloatMode: 240
; IeeeMode: 1
; LDSByteSize: 480 bytes/workgroup (compile time only)
; SGPRBlocks: 5
; VGPRBlocks: 9
; NumSGPRsForWavesPerEU: 44
; NumVGPRsForWavesPerEU: 80
; Occupancy: 16
; WaveLimiterHint : 1
; COMPUTE_PGM_RSRC2:SCRATCH_EN: 0
; COMPUTE_PGM_RSRC2:USER_SGPR: 13
; COMPUTE_PGM_RSRC2:TRAP_HANDLER: 0
; COMPUTE_PGM_RSRC2:TGID_X_EN: 1
; COMPUTE_PGM_RSRC2:TGID_Y_EN: 1
; COMPUTE_PGM_RSRC2:TGID_Z_EN: 1
; COMPUTE_PGM_RSRC2:TIDIG_COMP_CNT: 0
	.section	.text._ZN4vllm25paged_attention_v2_kernelIfhLi120ELi8ELi128ELNS_18Fp8KVCacheDataTypeE1ELb0ELi512EEEvPfS2_PT_PKS3_PKT0_S9_ifPKiSB_iPKfiiiSD_SD_iiiii,"axG",@progbits,_ZN4vllm25paged_attention_v2_kernelIfhLi120ELi8ELi128ELNS_18Fp8KVCacheDataTypeE1ELb0ELi512EEEvPfS2_PT_PKS3_PKT0_S9_ifPKiSB_iPKfiiiSD_SD_iiiii,comdat
	.protected	_ZN4vllm25paged_attention_v2_kernelIfhLi120ELi8ELi128ELNS_18Fp8KVCacheDataTypeE1ELb0ELi512EEEvPfS2_PT_PKS3_PKT0_S9_ifPKiSB_iPKfiiiSD_SD_iiiii ; -- Begin function _ZN4vllm25paged_attention_v2_kernelIfhLi120ELi8ELi128ELNS_18Fp8KVCacheDataTypeE1ELb0ELi512EEEvPfS2_PT_PKS3_PKT0_S9_ifPKiSB_iPKfiiiSD_SD_iiiii
	.globl	_ZN4vllm25paged_attention_v2_kernelIfhLi120ELi8ELi128ELNS_18Fp8KVCacheDataTypeE1ELb0ELi512EEEvPfS2_PT_PKS3_PKT0_S9_ifPKiSB_iPKfiiiSD_SD_iiiii
	.p2align	8
	.type	_ZN4vllm25paged_attention_v2_kernelIfhLi120ELi8ELi128ELNS_18Fp8KVCacheDataTypeE1ELb0ELi512EEEvPfS2_PT_PKS3_PKT0_S9_ifPKiSB_iPKfiiiSD_SD_iiiii,@function
_ZN4vllm25paged_attention_v2_kernelIfhLi120ELi8ELi128ELNS_18Fp8KVCacheDataTypeE1ELb0ELi512EEEvPfS2_PT_PKS3_PKT0_S9_ifPKiSB_iPKfiiiSD_SD_iiiii: ; @_ZN4vllm25paged_attention_v2_kernelIfhLi120ELi8ELi128ELNS_18Fp8KVCacheDataTypeE1ELb0ELi512EEEvPfS2_PT_PKS3_PKT0_S9_ifPKiSB_iPKfiiiSD_SD_iiiii
; %bb.0:
	s_load_b64 s[2:3], s[0:1], 0x40
	s_mov_b32 s12, s15
	s_ashr_i32 s15, s14, 31
	s_delay_alu instid0(SALU_CYCLE_1)
	s_lshl_b64 s[4:5], s[14:15], 2
	s_waitcnt lgkmcnt(0)
	s_add_u32 s2, s2, s4
	s_addc_u32 s3, s3, s5
	s_lshl_b32 s36, s12, 9
	s_load_b32 s33, s[2:3], 0x0
	s_waitcnt lgkmcnt(0)
	s_cmp_ge_i32 s36, s33
	s_cbranch_scc1 .LBB222_589
; %bb.1:
	s_mov_b32 s24, s13
	s_clause 0x1
	s_load_b32 s13, s[0:1], 0x90
	s_load_b64 s[34:35], s[0:1], 0x30
	s_waitcnt lgkmcnt(0)
	s_abs_i32 s5, s13
	s_abs_i32 s2, s34
	s_delay_alu instid0(SALU_CYCLE_1) | instskip(SKIP_1) | instid1(VALU_DEP_1)
	v_cvt_f32_u32_e32 v1, s2
	s_sub_i32 s4, 0, s2
	v_rcp_iflag_f32_e32 v1, v1
	s_waitcnt_depctr 0xfff
	v_mul_f32_e32 v1, 0x4f7ffffe, v1
	s_delay_alu instid0(VALU_DEP_1) | instskip(NEXT) | instid1(VALU_DEP_1)
	v_cvt_u32_f32_e32 v1, v1
	v_readfirstlane_b32 s3, v1
	s_delay_alu instid0(VALU_DEP_1) | instskip(NEXT) | instid1(SALU_CYCLE_1)
	s_mul_i32 s4, s4, s3
	s_mul_hi_u32 s4, s3, s4
	s_delay_alu instid0(SALU_CYCLE_1)
	s_add_i32 s3, s3, s4
	s_xor_b32 s4, s13, s34
	s_mul_hi_u32 s3, s5, s3
	s_ashr_i32 s4, s4, 31
	s_mul_i32 s6, s3, s2
	s_mov_b32 s34, 0
	s_sub_i32 s5, s5, s6
	s_add_i32 s6, s3, 1
	s_sub_i32 s7, s5, s2
	s_cmp_ge_u32 s5, s2
	s_cselect_b32 s3, s6, s3
	s_cselect_b32 s5, s7, s5
	s_add_i32 s6, s3, 1
	s_cmp_ge_u32 s5, s2
	s_cselect_b32 s2, s6, s3
	s_abs_i32 s10, s24
	s_xor_b32 s2, s2, s4
	s_delay_alu instid0(SALU_CYCLE_1) | instskip(SKIP_2) | instid1(SALU_CYCLE_1)
	s_sub_i32 s11, s2, s4
	s_load_b64 s[2:3], s[0:1], 0x50
	s_abs_i32 s8, s11
	v_cvt_f32_u32_e32 v1, s8
	s_sub_i32 s5, 0, s8
	s_delay_alu instid0(VALU_DEP_1) | instskip(SKIP_2) | instid1(VALU_DEP_1)
	v_rcp_iflag_f32_e32 v1, v1
	s_waitcnt_depctr 0xfff
	v_mul_f32_e32 v1, 0x4f7ffffe, v1
	v_cvt_u32_f32_e32 v1, v1
	s_delay_alu instid0(VALU_DEP_1) | instskip(NEXT) | instid1(VALU_DEP_1)
	v_readfirstlane_b32 s4, v1
	s_mul_i32 s5, s5, s4
	s_delay_alu instid0(SALU_CYCLE_1) | instskip(NEXT) | instid1(SALU_CYCLE_1)
	s_mul_hi_u32 s5, s4, s5
	s_add_i32 s4, s4, s5
	s_waitcnt lgkmcnt(0)
	s_cmp_eq_u64 s[2:3], 0
	s_mul_hi_u32 s9, s10, s4
	s_cbranch_scc1 .LBB222_3
; %bb.2:
	s_ashr_i32 s25, s24, 31
	s_delay_alu instid0(SALU_CYCLE_1) | instskip(NEXT) | instid1(SALU_CYCLE_1)
	s_lshl_b64 s[4:5], s[24:25], 2
	s_add_u32 s2, s2, s4
	s_addc_u32 s3, s3, s5
	s_load_b32 s34, s[2:3], 0x0
.LBB222_3:
	s_load_b128 s[4:7], s[0:1], 0x58
	v_and_b32_e32 v46, 3, v0
	v_lshlrev_b32_e32 v44, 2, v0
	s_ashr_i32 s2, s24, 31
	s_ashr_i32 s3, s11, 31
	s_mul_i32 s20, s24, 0x78
	s_waitcnt lgkmcnt(0)
	s_mov_b32 s7, exec_lo
	v_cmpx_gt_u32_e32 0x78, v0
	s_cbranch_execz .LBB222_5
; %bb.4:
	s_load_b64 s[16:17], s[0:1], 0x18
	s_mul_i32 s18, s14, s4
	v_and_b32_e32 v2, 0x3fc, v0
	s_ashr_i32 s19, s18, 31
	s_delay_alu instid0(SALU_CYCLE_1) | instskip(NEXT) | instid1(VALU_DEP_1)
	s_lshl_b64 s[18:19], s[18:19], 2
	v_mad_u32_u24 v2, 0x78, v46, v2
	s_waitcnt lgkmcnt(0)
	s_add_u32 s4, s16, s18
	s_addc_u32 s11, s17, s19
	s_ashr_i32 s21, s20, 31
	s_delay_alu instid0(SALU_CYCLE_1) | instskip(NEXT) | instid1(SALU_CYCLE_1)
	s_lshl_b64 s[16:17], s[20:21], 2
	s_add_u32 s16, s4, s16
	s_addc_u32 s17, s11, s17
	global_load_b32 v1, v44, s[16:17]
	s_waitcnt vmcnt(0)
	ds_store_b32 v2, v1
.LBB222_5:
	s_or_b32 exec_lo, exec_lo, s7
	s_add_i32 s4, s33, 7
	s_clause 0x1
	s_load_b64 s[26:27], s[0:1], 0x38
	s_load_b32 s16, s[0:1], 0x48
	s_ashr_i32 s11, s4, 31
	s_lshl_b32 s7, s12, 6
	s_lshr_b32 s11, s11, 29
	s_mul_i32 s15, s9, s8
	s_add_i32 s4, s4, s11
	s_add_i32 s11, s7, 64
	s_ashr_i32 s4, s4, 3
	s_xor_b32 s2, s2, s3
	s_sub_i32 s3, s10, s15
	s_min_i32 s21, s11, s4
	s_add_i32 s10, s9, 1
	s_sub_i32 s11, s3, s8
	s_cmp_ge_u32 s3, s8
	v_lshrrev_b32_e32 v43, 5, v0
	s_cselect_b32 s9, s10, s9
	s_cselect_b32 s3, s11, s3
	s_add_i32 s10, s9, 1
	s_cmp_ge_u32 s3, s8
	v_or_b32_e32 v29, s7, v43
	s_cselect_b32 s3, s10, s9
	v_mbcnt_lo_u32_b32 v45, -1, 0
	s_xor_b32 s3, s3, s2
	s_waitcnt lgkmcnt(0)
	s_mul_i32 s28, s14, s16
	s_sub_i32 s25, s3, s2
	v_cmp_le_i32_e64 s2, s21, v29
	s_ashr_i32 s29, s28, 31
	s_barrier
	buffer_gl0_inv
                                        ; implicit-def: $sgpr3
                                        ; implicit-def: $vgpr47
	s_and_saveexec_b32 s8, s2
	s_delay_alu instid0(SALU_CYCLE_1)
	s_xor_b32 s8, exec_lo, s8
; %bb.6:
	v_mbcnt_lo_u32_b32 v45, -1, 0
	v_mov_b32_e32 v47, 32
	s_mov_b32 s3, 0xff7fffff
                                        ; implicit-def: $vgpr46
; %bb.7:
	s_or_saveexec_b32 s37, s8
	s_clause 0x4
	s_load_b128 s[16:19], s[0:1], 0x0
	s_load_b64 s[22:23], s[0:1], 0x10
	s_load_b32 s15, s[0:1], 0x98
	s_load_b64 s[30:31], s[0:1], 0x28
	s_load_b128 s[8:11], s[0:1], 0x68
	v_mov_b32_e32 v48, s3
	v_ashrrev_i32_e32 v30, 31, v29
	s_mul_i32 s25, s25, s6
	s_xor_b32 exec_lo, exec_lo, s37
	s_cbranch_execz .LBB222_253
; %bb.8:
	s_load_b64 s[0:1], s[0:1], 0x20
	v_xor_b32_e32 v25, 2, v45
	v_xor_b32_e32 v26, 1, v45
	v_bfe_u32 v31, v0, 2, 3
	v_mul_u32_u24_e32 v35, 0x78, v46
	v_mov_b32_e32 v32, 0
	v_cmp_gt_i32_e32 vcc_lo, 32, v25
	ds_load_2addr_b64 v[1:4], v35 offset1:1
	ds_load_2addr_b64 v[5:8], v35 offset0:2 offset1:3
	ds_load_2addr_b64 v[9:12], v35 offset0:4 offset1:5
	;; [unrolled: 1-line block ×5, first 2 shown]
	v_lshlrev_b32_e32 v27, 4, v31
	v_cndmask_b32_e32 v37, v45, v25, vcc_lo
	v_cmp_gt_i32_e32 vcc_lo, 32, v26
	s_ashr_i32 s3, s25, 31
	v_mov_b32_e32 v47, 32
	v_dual_mov_b32 v53, v29 :: v_dual_mov_b32 v48, 0xff7fffff
	v_cndmask_b32_e32 v38, v45, v26, vcc_lo
	v_cmp_eq_u32_e32 vcc_lo, 0, v46
	s_waitcnt lgkmcnt(0)
	s_add_u32 s0, s0, s25
	s_addc_u32 s1, s1, s3
	v_add_co_u32 v33, s0, s0, v27
	ds_load_2addr_b64 v[25:28], v35 offset0:12 offset1:13
	ds_load_b64 v[35:36], v35 offset:112
	s_load_b32 s6, s[8:9], 0x0
	v_lshlrev_b32_e32 v50, 2, v38
	v_lshlrev_b32_e32 v49, 2, v37
	;; [unrolled: 1-line block ×4, first 2 shown]
	s_lshl_b64 s[38:39], s[28:29], 2
	s_sub_i32 s8, 1, s33
	v_add_co_ci_u32_e64 v34, null, s1, 0, s0
	v_lshl_or_b32 v39, v43, 5, v37
	v_add3_u32 v51, s36, v38, v31
	v_lshlrev_b64 v[37:38], 2, v[29:30]
	s_add_u32 s1, s26, s38
	s_addc_u32 s3, s27, s39
	v_cmp_neq_f32_e64 s0, s34, 0
	v_add_nc_u32_e32 v52, 0x200, v39
	s_mov_b32 s38, s5
	v_add_co_u32 v37, s1, s1, v37
	s_delay_alu instid0(VALU_DEP_1)
	v_add_co_ci_u32_e64 v38, s1, s3, v38, s1
	s_mov_b32 s9, 0
	s_branch .LBB222_10
.LBB222_9:                              ;   in Loop: Header=BB222_10 Depth=1
	s_or_b32 exec_lo, exec_lo, s3
	v_add_nc_u32_e32 v53, 4, v53
	v_add_co_u32 v37, s3, v37, 16
	v_add_nc_u32_e32 v51, 32, v51
	v_add_nc_u32_e32 v52, 0x80, v52
	s_delay_alu instid0(VALU_DEP_4) | instskip(SKIP_1) | instid1(VALU_DEP_2)
	v_cmp_le_i32_e64 s1, s21, v53
	v_add_co_ci_u32_e64 v38, s3, 0, v38, s3
	s_or_b32 s9, s1, s9
	s_delay_alu instid0(SALU_CYCLE_1)
	s_and_not1_b32 exec_lo, exec_lo, s9
	s_cbranch_execz .LBB222_252
.LBB222_10:                             ; =>This Inner Loop Header: Depth=1
	global_load_b32 v31, v[37:38], off
	v_mov_b32_e32 v54, 0
	s_mov_b32 s3, exec_lo
	s_waitcnt vmcnt(0) lgkmcnt(0)
	v_mad_i64_i32 v[39:40], null, v31, s38, v[33:34]
	s_delay_alu instid0(VALU_DEP_1) | instskip(NEXT) | instid1(VALU_DEP_1)
	v_add_co_u32 v39, s1, v39, v46
	v_add_co_ci_u32_e64 v40, s1, 0, v40, s1
	global_load_u8 v41, v[39:40], off
	s_waitcnt vmcnt(0)
	v_cmpx_ne_u16_e32 0, v41
	s_cbranch_execz .LBB222_18
; %bb.11:                               ;   in Loop: Header=BB222_10 Depth=1
	v_bfrev_b32_e32 v54, 1
	s_mov_b32 s39, exec_lo
	v_cmpx_ne_u16_e32 0x80, v41
	s_cbranch_execz .LBB222_17
; %bb.12:                               ;   in Loop: Header=BB222_10 Depth=1
	v_and_b32_e32 v31, 0xffff, v41
	v_mov_b32_e32 v54, 0x7f800001
	s_mov_b32 s40, exec_lo
	s_delay_alu instid0(VALU_DEP_2) | instskip(NEXT) | instid1(VALU_DEP_1)
	v_and_b32_e32 v55, 0x7f, v31
	v_cmpx_ne_u32_e32 0x7f, v55
	s_cbranch_execz .LBB222_16
; %bb.13:                               ;   in Loop: Header=BB222_10 Depth=1
	v_and_b32_e32 v31, 7, v31
	v_lshrrev_b32_e32 v42, 3, v55
	s_mov_b32 s41, exec_lo
	v_cmpx_gt_u32_e32 8, v55
; %bb.14:                               ;   in Loop: Header=BB222_10 Depth=1
	s_delay_alu instid0(VALU_DEP_3) | instskip(NEXT) | instid1(VALU_DEP_1)
	v_clz_i32_u32_e32 v42, v31
	v_min_u32_e32 v42, 32, v42
	s_delay_alu instid0(VALU_DEP_1) | instskip(SKIP_1) | instid1(VALU_DEP_2)
	v_subrev_nc_u32_e32 v54, 28, v42
	v_sub_nc_u32_e32 v42, 29, v42
	v_lshlrev_b64 v[54:55], v54, v[31:32]
	s_delay_alu instid0(VALU_DEP_1)
	v_and_b32_e32 v31, 7, v54
; %bb.15:                               ;   in Loop: Header=BB222_10 Depth=1
	s_or_b32 exec_lo, exec_lo, s41
	v_lshlrev_b32_e32 v41, 24, v41
	s_delay_alu instid0(VALU_DEP_2) | instskip(SKIP_1) | instid1(VALU_DEP_3)
	v_lshlrev_b32_e32 v31, 20, v31
	v_lshl_add_u32 v42, v42, 23, 0x3c000000
	v_and_b32_e32 v41, 0x80000000, v41
	s_delay_alu instid0(VALU_DEP_1)
	v_or3_b32 v54, v31, v41, v42
.LBB222_16:                             ;   in Loop: Header=BB222_10 Depth=1
	s_or_b32 exec_lo, exec_lo, s40
.LBB222_17:                             ;   in Loop: Header=BB222_10 Depth=1
	s_delay_alu instid0(SALU_CYCLE_1)
	s_or_b32 exec_lo, exec_lo, s39
.LBB222_18:                             ;   in Loop: Header=BB222_10 Depth=1
	s_delay_alu instid0(SALU_CYCLE_1)
	s_or_b32 exec_lo, exec_lo, s3
	global_load_u8 v41, v[39:40], off offset:4
	v_dual_mov_b32 v55, 0 :: v_dual_mov_b32 v56, 0
	s_mov_b32 s3, exec_lo
	s_waitcnt vmcnt(0)
	v_cmpx_ne_u16_e32 0, v41
	s_cbranch_execz .LBB222_26
; %bb.19:                               ;   in Loop: Header=BB222_10 Depth=1
	v_bfrev_b32_e32 v56, 1
	s_mov_b32 s39, exec_lo
	v_cmpx_ne_u16_e32 0x80, v41
	s_cbranch_execz .LBB222_25
; %bb.20:                               ;   in Loop: Header=BB222_10 Depth=1
	v_and_b32_e32 v31, 0xffff, v41
	v_mov_b32_e32 v56, 0x7f800001
	s_mov_b32 s40, exec_lo
	s_delay_alu instid0(VALU_DEP_2) | instskip(NEXT) | instid1(VALU_DEP_1)
	v_and_b32_e32 v57, 0x7f, v31
	v_cmpx_ne_u32_e32 0x7f, v57
	s_cbranch_execz .LBB222_24
; %bb.21:                               ;   in Loop: Header=BB222_10 Depth=1
	v_and_b32_e32 v31, 7, v31
	v_lshrrev_b32_e32 v42, 3, v57
	s_mov_b32 s41, exec_lo
	v_cmpx_gt_u32_e32 8, v57
; %bb.22:                               ;   in Loop: Header=BB222_10 Depth=1
	s_delay_alu instid0(VALU_DEP_3) | instskip(NEXT) | instid1(VALU_DEP_1)
	v_clz_i32_u32_e32 v42, v31
	v_min_u32_e32 v42, 32, v42
	s_delay_alu instid0(VALU_DEP_1) | instskip(SKIP_1) | instid1(VALU_DEP_2)
	v_subrev_nc_u32_e32 v56, 28, v42
	v_sub_nc_u32_e32 v42, 29, v42
	v_lshlrev_b64 v[56:57], v56, v[31:32]
	s_delay_alu instid0(VALU_DEP_1)
	v_and_b32_e32 v31, 7, v56
; %bb.23:                               ;   in Loop: Header=BB222_10 Depth=1
	s_or_b32 exec_lo, exec_lo, s41
	v_lshlrev_b32_e32 v41, 24, v41
	s_delay_alu instid0(VALU_DEP_2) | instskip(SKIP_1) | instid1(VALU_DEP_3)
	v_lshlrev_b32_e32 v31, 20, v31
	v_lshl_add_u32 v42, v42, 23, 0x3c000000
	v_and_b32_e32 v41, 0x80000000, v41
	s_delay_alu instid0(VALU_DEP_1)
	v_or3_b32 v56, v31, v41, v42
.LBB222_24:                             ;   in Loop: Header=BB222_10 Depth=1
	s_or_b32 exec_lo, exec_lo, s40
.LBB222_25:                             ;   in Loop: Header=BB222_10 Depth=1
	s_delay_alu instid0(SALU_CYCLE_1)
	s_or_b32 exec_lo, exec_lo, s39
.LBB222_26:                             ;   in Loop: Header=BB222_10 Depth=1
	s_delay_alu instid0(SALU_CYCLE_1)
	s_or_b32 exec_lo, exec_lo, s3
	global_load_u8 v41, v[39:40], off offset:8
	s_mov_b32 s3, exec_lo
	s_waitcnt vmcnt(0)
	v_cmpx_ne_u16_e32 0, v41
	s_cbranch_execz .LBB222_34
; %bb.27:                               ;   in Loop: Header=BB222_10 Depth=1
	v_bfrev_b32_e32 v55, 1
	s_mov_b32 s39, exec_lo
	v_cmpx_ne_u16_e32 0x80, v41
	s_cbranch_execz .LBB222_33
; %bb.28:                               ;   in Loop: Header=BB222_10 Depth=1
	v_and_b32_e32 v31, 0xffff, v41
	v_mov_b32_e32 v55, 0x7f800001
	s_mov_b32 s40, exec_lo
	s_delay_alu instid0(VALU_DEP_2) | instskip(NEXT) | instid1(VALU_DEP_1)
	v_and_b32_e32 v57, 0x7f, v31
	v_cmpx_ne_u32_e32 0x7f, v57
	s_cbranch_execz .LBB222_32
; %bb.29:                               ;   in Loop: Header=BB222_10 Depth=1
	v_and_b32_e32 v31, 7, v31
	v_lshrrev_b32_e32 v42, 3, v57
	s_mov_b32 s41, exec_lo
	v_cmpx_gt_u32_e32 8, v57
; %bb.30:                               ;   in Loop: Header=BB222_10 Depth=1
	s_delay_alu instid0(VALU_DEP_3) | instskip(NEXT) | instid1(VALU_DEP_1)
	v_clz_i32_u32_e32 v42, v31
	v_min_u32_e32 v42, 32, v42
	s_delay_alu instid0(VALU_DEP_1) | instskip(SKIP_1) | instid1(VALU_DEP_2)
	v_subrev_nc_u32_e32 v55, 28, v42
	v_sub_nc_u32_e32 v42, 29, v42
	v_lshlrev_b64 v[57:58], v55, v[31:32]
	s_delay_alu instid0(VALU_DEP_1)
	v_and_b32_e32 v31, 7, v57
; %bb.31:                               ;   in Loop: Header=BB222_10 Depth=1
	s_or_b32 exec_lo, exec_lo, s41
	v_lshlrev_b32_e32 v41, 24, v41
	s_delay_alu instid0(VALU_DEP_2) | instskip(SKIP_1) | instid1(VALU_DEP_3)
	v_lshlrev_b32_e32 v31, 20, v31
	v_lshl_add_u32 v42, v42, 23, 0x3c000000
	v_and_b32_e32 v41, 0x80000000, v41
	s_delay_alu instid0(VALU_DEP_1)
	v_or3_b32 v55, v31, v41, v42
.LBB222_32:                             ;   in Loop: Header=BB222_10 Depth=1
	s_or_b32 exec_lo, exec_lo, s40
.LBB222_33:                             ;   in Loop: Header=BB222_10 Depth=1
	s_delay_alu instid0(SALU_CYCLE_1)
	s_or_b32 exec_lo, exec_lo, s39
.LBB222_34:                             ;   in Loop: Header=BB222_10 Depth=1
	s_delay_alu instid0(SALU_CYCLE_1)
	s_or_b32 exec_lo, exec_lo, s3
	global_load_u8 v41, v[39:40], off offset:12
	v_dual_mov_b32 v57, 0 :: v_dual_mov_b32 v58, 0
	s_mov_b32 s3, exec_lo
	s_waitcnt vmcnt(0)
	v_cmpx_ne_u16_e32 0, v41
	s_cbranch_execz .LBB222_42
; %bb.35:                               ;   in Loop: Header=BB222_10 Depth=1
	v_bfrev_b32_e32 v58, 1
	s_mov_b32 s39, exec_lo
	v_cmpx_ne_u16_e32 0x80, v41
	s_cbranch_execz .LBB222_41
; %bb.36:                               ;   in Loop: Header=BB222_10 Depth=1
	v_and_b32_e32 v31, 0xffff, v41
	v_mov_b32_e32 v58, 0x7f800001
	s_mov_b32 s40, exec_lo
	s_delay_alu instid0(VALU_DEP_2) | instskip(NEXT) | instid1(VALU_DEP_1)
	v_and_b32_e32 v59, 0x7f, v31
	v_cmpx_ne_u32_e32 0x7f, v59
	s_cbranch_execz .LBB222_40
; %bb.37:                               ;   in Loop: Header=BB222_10 Depth=1
	v_and_b32_e32 v31, 7, v31
	v_lshrrev_b32_e32 v42, 3, v59
	s_mov_b32 s41, exec_lo
	v_cmpx_gt_u32_e32 8, v59
; %bb.38:                               ;   in Loop: Header=BB222_10 Depth=1
	s_delay_alu instid0(VALU_DEP_3) | instskip(NEXT) | instid1(VALU_DEP_1)
	v_clz_i32_u32_e32 v42, v31
	v_min_u32_e32 v42, 32, v42
	s_delay_alu instid0(VALU_DEP_1) | instskip(SKIP_1) | instid1(VALU_DEP_2)
	v_subrev_nc_u32_e32 v58, 28, v42
	v_sub_nc_u32_e32 v42, 29, v42
	v_lshlrev_b64 v[58:59], v58, v[31:32]
	s_delay_alu instid0(VALU_DEP_1)
	v_and_b32_e32 v31, 7, v58
; %bb.39:                               ;   in Loop: Header=BB222_10 Depth=1
	s_or_b32 exec_lo, exec_lo, s41
	v_lshlrev_b32_e32 v41, 24, v41
	s_delay_alu instid0(VALU_DEP_2) | instskip(SKIP_1) | instid1(VALU_DEP_3)
	v_lshlrev_b32_e32 v31, 20, v31
	v_lshl_add_u32 v42, v42, 23, 0x3c000000
	v_and_b32_e32 v41, 0x80000000, v41
	s_delay_alu instid0(VALU_DEP_1)
	v_or3_b32 v58, v31, v41, v42
.LBB222_40:                             ;   in Loop: Header=BB222_10 Depth=1
	s_or_b32 exec_lo, exec_lo, s40
.LBB222_41:                             ;   in Loop: Header=BB222_10 Depth=1
	s_delay_alu instid0(SALU_CYCLE_1)
	s_or_b32 exec_lo, exec_lo, s39
.LBB222_42:                             ;   in Loop: Header=BB222_10 Depth=1
	s_delay_alu instid0(SALU_CYCLE_1)
	s_or_b32 exec_lo, exec_lo, s3
	global_load_u8 v41, v[39:40], off offset:128
	s_mov_b32 s3, exec_lo
	s_waitcnt vmcnt(0)
	v_cmpx_ne_u16_e32 0, v41
	s_cbranch_execz .LBB222_50
; %bb.43:                               ;   in Loop: Header=BB222_10 Depth=1
	v_bfrev_b32_e32 v57, 1
	s_mov_b32 s39, exec_lo
	v_cmpx_ne_u16_e32 0x80, v41
	s_cbranch_execz .LBB222_49
; %bb.44:                               ;   in Loop: Header=BB222_10 Depth=1
	v_and_b32_e32 v31, 0xffff, v41
	v_mov_b32_e32 v57, 0x7f800001
	s_mov_b32 s40, exec_lo
	s_delay_alu instid0(VALU_DEP_2) | instskip(NEXT) | instid1(VALU_DEP_1)
	v_and_b32_e32 v59, 0x7f, v31
	v_cmpx_ne_u32_e32 0x7f, v59
	s_cbranch_execz .LBB222_48
; %bb.45:                               ;   in Loop: Header=BB222_10 Depth=1
	v_and_b32_e32 v31, 7, v31
	v_lshrrev_b32_e32 v42, 3, v59
	s_mov_b32 s41, exec_lo
	v_cmpx_gt_u32_e32 8, v59
; %bb.46:                               ;   in Loop: Header=BB222_10 Depth=1
	s_delay_alu instid0(VALU_DEP_3) | instskip(NEXT) | instid1(VALU_DEP_1)
	v_clz_i32_u32_e32 v42, v31
	v_min_u32_e32 v42, 32, v42
	s_delay_alu instid0(VALU_DEP_1) | instskip(SKIP_1) | instid1(VALU_DEP_2)
	v_subrev_nc_u32_e32 v57, 28, v42
	v_sub_nc_u32_e32 v42, 29, v42
	v_lshlrev_b64 v[59:60], v57, v[31:32]
	s_delay_alu instid0(VALU_DEP_1)
	v_and_b32_e32 v31, 7, v59
; %bb.47:                               ;   in Loop: Header=BB222_10 Depth=1
	s_or_b32 exec_lo, exec_lo, s41
	v_lshlrev_b32_e32 v41, 24, v41
	s_delay_alu instid0(VALU_DEP_2) | instskip(SKIP_1) | instid1(VALU_DEP_3)
	v_lshlrev_b32_e32 v31, 20, v31
	v_lshl_add_u32 v42, v42, 23, 0x3c000000
	v_and_b32_e32 v41, 0x80000000, v41
	s_delay_alu instid0(VALU_DEP_1)
	v_or3_b32 v57, v31, v41, v42
.LBB222_48:                             ;   in Loop: Header=BB222_10 Depth=1
	s_or_b32 exec_lo, exec_lo, s40
.LBB222_49:                             ;   in Loop: Header=BB222_10 Depth=1
	s_delay_alu instid0(SALU_CYCLE_1)
	s_or_b32 exec_lo, exec_lo, s39
.LBB222_50:                             ;   in Loop: Header=BB222_10 Depth=1
	s_delay_alu instid0(SALU_CYCLE_1)
	s_or_b32 exec_lo, exec_lo, s3
	global_load_u8 v41, v[39:40], off offset:132
	v_dual_mov_b32 v59, 0 :: v_dual_mov_b32 v60, 0
	s_mov_b32 s3, exec_lo
	s_waitcnt vmcnt(0)
	v_cmpx_ne_u16_e32 0, v41
	s_cbranch_execz .LBB222_58
; %bb.51:                               ;   in Loop: Header=BB222_10 Depth=1
	v_bfrev_b32_e32 v60, 1
	s_mov_b32 s39, exec_lo
	v_cmpx_ne_u16_e32 0x80, v41
	s_cbranch_execz .LBB222_57
; %bb.52:                               ;   in Loop: Header=BB222_10 Depth=1
	v_and_b32_e32 v31, 0xffff, v41
	v_mov_b32_e32 v60, 0x7f800001
	s_mov_b32 s40, exec_lo
	s_delay_alu instid0(VALU_DEP_2) | instskip(NEXT) | instid1(VALU_DEP_1)
	v_and_b32_e32 v61, 0x7f, v31
	v_cmpx_ne_u32_e32 0x7f, v61
	s_cbranch_execz .LBB222_56
; %bb.53:                               ;   in Loop: Header=BB222_10 Depth=1
	v_and_b32_e32 v31, 7, v31
	v_lshrrev_b32_e32 v42, 3, v61
	s_mov_b32 s41, exec_lo
	v_cmpx_gt_u32_e32 8, v61
; %bb.54:                               ;   in Loop: Header=BB222_10 Depth=1
	s_delay_alu instid0(VALU_DEP_3) | instskip(NEXT) | instid1(VALU_DEP_1)
	v_clz_i32_u32_e32 v42, v31
	v_min_u32_e32 v42, 32, v42
	s_delay_alu instid0(VALU_DEP_1) | instskip(SKIP_1) | instid1(VALU_DEP_2)
	v_subrev_nc_u32_e32 v60, 28, v42
	v_sub_nc_u32_e32 v42, 29, v42
	v_lshlrev_b64 v[60:61], v60, v[31:32]
	s_delay_alu instid0(VALU_DEP_1)
	v_and_b32_e32 v31, 7, v60
; %bb.55:                               ;   in Loop: Header=BB222_10 Depth=1
	s_or_b32 exec_lo, exec_lo, s41
	v_lshlrev_b32_e32 v41, 24, v41
	s_delay_alu instid0(VALU_DEP_2) | instskip(SKIP_1) | instid1(VALU_DEP_3)
	v_lshlrev_b32_e32 v31, 20, v31
	v_lshl_add_u32 v42, v42, 23, 0x3c000000
	v_and_b32_e32 v41, 0x80000000, v41
	s_delay_alu instid0(VALU_DEP_1)
	v_or3_b32 v60, v31, v41, v42
.LBB222_56:                             ;   in Loop: Header=BB222_10 Depth=1
	s_or_b32 exec_lo, exec_lo, s40
.LBB222_57:                             ;   in Loop: Header=BB222_10 Depth=1
	s_delay_alu instid0(SALU_CYCLE_1)
	s_or_b32 exec_lo, exec_lo, s39
.LBB222_58:                             ;   in Loop: Header=BB222_10 Depth=1
	s_delay_alu instid0(SALU_CYCLE_1) | instskip(SKIP_1) | instid1(VALU_DEP_1)
	s_or_b32 exec_lo, exec_lo, s3
	v_add_co_u32 v41, s1, 0x80, v39
	v_add_co_ci_u32_e64 v42, s1, 0, v40, s1
	s_mov_b32 s3, exec_lo
	global_load_u8 v61, v[41:42], off offset:8
	s_waitcnt vmcnt(0)
	v_cmpx_ne_u16_e32 0, v61
	s_cbranch_execz .LBB222_66
; %bb.59:                               ;   in Loop: Header=BB222_10 Depth=1
	v_bfrev_b32_e32 v59, 1
	s_mov_b32 s39, exec_lo
	v_cmpx_ne_u16_e32 0x80, v61
	s_cbranch_execz .LBB222_65
; %bb.60:                               ;   in Loop: Header=BB222_10 Depth=1
	v_and_b32_e32 v31, 0xffff, v61
	v_mov_b32_e32 v59, 0x7f800001
	s_mov_b32 s40, exec_lo
	s_delay_alu instid0(VALU_DEP_2) | instskip(NEXT) | instid1(VALU_DEP_1)
	v_and_b32_e32 v62, 0x7f, v31
	v_cmpx_ne_u32_e32 0x7f, v62
	s_cbranch_execz .LBB222_64
; %bb.61:                               ;   in Loop: Header=BB222_10 Depth=1
	v_and_b32_e32 v31, 7, v31
	v_lshrrev_b32_e32 v59, 3, v62
	s_mov_b32 s41, exec_lo
	v_cmpx_gt_u32_e32 8, v62
; %bb.62:                               ;   in Loop: Header=BB222_10 Depth=1
	s_delay_alu instid0(VALU_DEP_3) | instskip(NEXT) | instid1(VALU_DEP_1)
	v_clz_i32_u32_e32 v59, v31
	v_min_u32_e32 v59, 32, v59
	s_delay_alu instid0(VALU_DEP_1) | instskip(SKIP_1) | instid1(VALU_DEP_2)
	v_subrev_nc_u32_e32 v62, 28, v59
	v_sub_nc_u32_e32 v59, 29, v59
	v_lshlrev_b64 v[62:63], v62, v[31:32]
	s_delay_alu instid0(VALU_DEP_1)
	v_and_b32_e32 v31, 7, v62
; %bb.63:                               ;   in Loop: Header=BB222_10 Depth=1
	s_or_b32 exec_lo, exec_lo, s41
	v_lshlrev_b32_e32 v61, 24, v61
	s_delay_alu instid0(VALU_DEP_2) | instskip(SKIP_1) | instid1(VALU_DEP_3)
	v_lshlrev_b32_e32 v31, 20, v31
	v_lshl_add_u32 v59, v59, 23, 0x3c000000
	v_and_b32_e32 v61, 0x80000000, v61
	s_delay_alu instid0(VALU_DEP_1)
	v_or3_b32 v59, v31, v61, v59
.LBB222_64:                             ;   in Loop: Header=BB222_10 Depth=1
	s_or_b32 exec_lo, exec_lo, s40
.LBB222_65:                             ;   in Loop: Header=BB222_10 Depth=1
	s_delay_alu instid0(SALU_CYCLE_1)
	s_or_b32 exec_lo, exec_lo, s39
.LBB222_66:                             ;   in Loop: Header=BB222_10 Depth=1
	s_delay_alu instid0(SALU_CYCLE_1)
	s_or_b32 exec_lo, exec_lo, s3
	global_load_u8 v41, v[41:42], off offset:12
	v_dual_mov_b32 v61, 0 :: v_dual_mov_b32 v62, 0
	s_mov_b32 s3, exec_lo
	s_waitcnt vmcnt(0)
	v_cmpx_ne_u16_e32 0, v41
	s_cbranch_execz .LBB222_74
; %bb.67:                               ;   in Loop: Header=BB222_10 Depth=1
	v_bfrev_b32_e32 v62, 1
	s_mov_b32 s39, exec_lo
	v_cmpx_ne_u16_e32 0x80, v41
	s_cbranch_execz .LBB222_73
; %bb.68:                               ;   in Loop: Header=BB222_10 Depth=1
	v_and_b32_e32 v31, 0xffff, v41
	v_mov_b32_e32 v62, 0x7f800001
	s_mov_b32 s40, exec_lo
	s_delay_alu instid0(VALU_DEP_2) | instskip(NEXT) | instid1(VALU_DEP_1)
	v_and_b32_e32 v63, 0x7f, v31
	v_cmpx_ne_u32_e32 0x7f, v63
	s_cbranch_execz .LBB222_72
; %bb.69:                               ;   in Loop: Header=BB222_10 Depth=1
	v_and_b32_e32 v31, 7, v31
	v_lshrrev_b32_e32 v42, 3, v63
	s_mov_b32 s41, exec_lo
	v_cmpx_gt_u32_e32 8, v63
; %bb.70:                               ;   in Loop: Header=BB222_10 Depth=1
	s_delay_alu instid0(VALU_DEP_3) | instskip(NEXT) | instid1(VALU_DEP_1)
	v_clz_i32_u32_e32 v42, v31
	v_min_u32_e32 v42, 32, v42
	s_delay_alu instid0(VALU_DEP_1) | instskip(SKIP_1) | instid1(VALU_DEP_2)
	v_subrev_nc_u32_e32 v62, 28, v42
	v_sub_nc_u32_e32 v42, 29, v42
	v_lshlrev_b64 v[62:63], v62, v[31:32]
	s_delay_alu instid0(VALU_DEP_1)
	v_and_b32_e32 v31, 7, v62
; %bb.71:                               ;   in Loop: Header=BB222_10 Depth=1
	s_or_b32 exec_lo, exec_lo, s41
	v_lshlrev_b32_e32 v41, 24, v41
	s_delay_alu instid0(VALU_DEP_2) | instskip(SKIP_1) | instid1(VALU_DEP_3)
	v_lshlrev_b32_e32 v31, 20, v31
	v_lshl_add_u32 v42, v42, 23, 0x3c000000
	v_and_b32_e32 v41, 0x80000000, v41
	s_delay_alu instid0(VALU_DEP_1)
	v_or3_b32 v62, v31, v41, v42
.LBB222_72:                             ;   in Loop: Header=BB222_10 Depth=1
	s_or_b32 exec_lo, exec_lo, s40
.LBB222_73:                             ;   in Loop: Header=BB222_10 Depth=1
	s_delay_alu instid0(SALU_CYCLE_1)
	s_or_b32 exec_lo, exec_lo, s39
.LBB222_74:                             ;   in Loop: Header=BB222_10 Depth=1
	s_delay_alu instid0(SALU_CYCLE_1)
	s_or_b32 exec_lo, exec_lo, s3
	global_load_u8 v41, v[39:40], off offset:256
	s_mov_b32 s3, exec_lo
	s_waitcnt vmcnt(0)
	v_cmpx_ne_u16_e32 0, v41
	s_cbranch_execz .LBB222_82
; %bb.75:                               ;   in Loop: Header=BB222_10 Depth=1
	v_bfrev_b32_e32 v61, 1
	s_mov_b32 s39, exec_lo
	v_cmpx_ne_u16_e32 0x80, v41
	s_cbranch_execz .LBB222_81
; %bb.76:                               ;   in Loop: Header=BB222_10 Depth=1
	v_and_b32_e32 v31, 0xffff, v41
	v_mov_b32_e32 v61, 0x7f800001
	s_mov_b32 s40, exec_lo
	s_delay_alu instid0(VALU_DEP_2) | instskip(NEXT) | instid1(VALU_DEP_1)
	v_and_b32_e32 v63, 0x7f, v31
	v_cmpx_ne_u32_e32 0x7f, v63
	s_cbranch_execz .LBB222_80
; %bb.77:                               ;   in Loop: Header=BB222_10 Depth=1
	v_and_b32_e32 v31, 7, v31
	v_lshrrev_b32_e32 v42, 3, v63
	s_mov_b32 s41, exec_lo
	v_cmpx_gt_u32_e32 8, v63
; %bb.78:                               ;   in Loop: Header=BB222_10 Depth=1
	s_delay_alu instid0(VALU_DEP_3) | instskip(NEXT) | instid1(VALU_DEP_1)
	v_clz_i32_u32_e32 v42, v31
	v_min_u32_e32 v42, 32, v42
	s_delay_alu instid0(VALU_DEP_1) | instskip(SKIP_1) | instid1(VALU_DEP_2)
	v_subrev_nc_u32_e32 v61, 28, v42
	v_sub_nc_u32_e32 v42, 29, v42
	v_lshlrev_b64 v[63:64], v61, v[31:32]
	s_delay_alu instid0(VALU_DEP_1)
	v_and_b32_e32 v31, 7, v63
; %bb.79:                               ;   in Loop: Header=BB222_10 Depth=1
	s_or_b32 exec_lo, exec_lo, s41
	v_lshlrev_b32_e32 v41, 24, v41
	s_delay_alu instid0(VALU_DEP_2) | instskip(SKIP_1) | instid1(VALU_DEP_3)
	v_lshlrev_b32_e32 v31, 20, v31
	v_lshl_add_u32 v42, v42, 23, 0x3c000000
	v_and_b32_e32 v41, 0x80000000, v41
	s_delay_alu instid0(VALU_DEP_1)
	v_or3_b32 v61, v31, v41, v42
.LBB222_80:                             ;   in Loop: Header=BB222_10 Depth=1
	s_or_b32 exec_lo, exec_lo, s40
.LBB222_81:                             ;   in Loop: Header=BB222_10 Depth=1
	s_delay_alu instid0(SALU_CYCLE_1)
	s_or_b32 exec_lo, exec_lo, s39
.LBB222_82:                             ;   in Loop: Header=BB222_10 Depth=1
	s_delay_alu instid0(SALU_CYCLE_1)
	s_or_b32 exec_lo, exec_lo, s3
	global_load_u8 v41, v[39:40], off offset:260
	v_dual_mov_b32 v63, 0 :: v_dual_mov_b32 v64, 0
	s_mov_b32 s3, exec_lo
	s_waitcnt vmcnt(0)
	v_cmpx_ne_u16_e32 0, v41
	s_cbranch_execz .LBB222_90
; %bb.83:                               ;   in Loop: Header=BB222_10 Depth=1
	v_bfrev_b32_e32 v64, 1
	s_mov_b32 s39, exec_lo
	v_cmpx_ne_u16_e32 0x80, v41
	s_cbranch_execz .LBB222_89
; %bb.84:                               ;   in Loop: Header=BB222_10 Depth=1
	v_and_b32_e32 v31, 0xffff, v41
	v_mov_b32_e32 v64, 0x7f800001
	s_mov_b32 s40, exec_lo
	s_delay_alu instid0(VALU_DEP_2) | instskip(NEXT) | instid1(VALU_DEP_1)
	v_and_b32_e32 v65, 0x7f, v31
	v_cmpx_ne_u32_e32 0x7f, v65
	s_cbranch_execz .LBB222_88
; %bb.85:                               ;   in Loop: Header=BB222_10 Depth=1
	v_and_b32_e32 v31, 7, v31
	v_lshrrev_b32_e32 v42, 3, v65
	s_mov_b32 s41, exec_lo
	v_cmpx_gt_u32_e32 8, v65
; %bb.86:                               ;   in Loop: Header=BB222_10 Depth=1
	s_delay_alu instid0(VALU_DEP_3) | instskip(NEXT) | instid1(VALU_DEP_1)
	v_clz_i32_u32_e32 v42, v31
	v_min_u32_e32 v42, 32, v42
	s_delay_alu instid0(VALU_DEP_1) | instskip(SKIP_1) | instid1(VALU_DEP_2)
	v_subrev_nc_u32_e32 v64, 28, v42
	v_sub_nc_u32_e32 v42, 29, v42
	v_lshlrev_b64 v[64:65], v64, v[31:32]
	s_delay_alu instid0(VALU_DEP_1)
	v_and_b32_e32 v31, 7, v64
; %bb.87:                               ;   in Loop: Header=BB222_10 Depth=1
	s_or_b32 exec_lo, exec_lo, s41
	v_lshlrev_b32_e32 v41, 24, v41
	s_delay_alu instid0(VALU_DEP_2) | instskip(SKIP_1) | instid1(VALU_DEP_3)
	v_lshlrev_b32_e32 v31, 20, v31
	v_lshl_add_u32 v42, v42, 23, 0x3c000000
	v_and_b32_e32 v41, 0x80000000, v41
	s_delay_alu instid0(VALU_DEP_1)
	v_or3_b32 v64, v31, v41, v42
.LBB222_88:                             ;   in Loop: Header=BB222_10 Depth=1
	s_or_b32 exec_lo, exec_lo, s40
.LBB222_89:                             ;   in Loop: Header=BB222_10 Depth=1
	s_delay_alu instid0(SALU_CYCLE_1)
	s_or_b32 exec_lo, exec_lo, s39
.LBB222_90:                             ;   in Loop: Header=BB222_10 Depth=1
	s_delay_alu instid0(SALU_CYCLE_1) | instskip(SKIP_1) | instid1(VALU_DEP_1)
	s_or_b32 exec_lo, exec_lo, s3
	v_add_co_u32 v41, s1, 0x100, v39
	v_add_co_ci_u32_e64 v42, s1, 0, v40, s1
	s_mov_b32 s3, exec_lo
	global_load_u8 v65, v[41:42], off offset:8
	s_waitcnt vmcnt(0)
	v_cmpx_ne_u16_e32 0, v65
	s_cbranch_execz .LBB222_98
; %bb.91:                               ;   in Loop: Header=BB222_10 Depth=1
	v_bfrev_b32_e32 v63, 1
	s_mov_b32 s39, exec_lo
	v_cmpx_ne_u16_e32 0x80, v65
	s_cbranch_execz .LBB222_97
; %bb.92:                               ;   in Loop: Header=BB222_10 Depth=1
	v_and_b32_e32 v31, 0xffff, v65
	v_mov_b32_e32 v63, 0x7f800001
	s_mov_b32 s40, exec_lo
	s_delay_alu instid0(VALU_DEP_2) | instskip(NEXT) | instid1(VALU_DEP_1)
	v_and_b32_e32 v66, 0x7f, v31
	v_cmpx_ne_u32_e32 0x7f, v66
	s_cbranch_execz .LBB222_96
; %bb.93:                               ;   in Loop: Header=BB222_10 Depth=1
	v_and_b32_e32 v31, 7, v31
	v_lshrrev_b32_e32 v63, 3, v66
	s_mov_b32 s41, exec_lo
	v_cmpx_gt_u32_e32 8, v66
; %bb.94:                               ;   in Loop: Header=BB222_10 Depth=1
	s_delay_alu instid0(VALU_DEP_3) | instskip(NEXT) | instid1(VALU_DEP_1)
	v_clz_i32_u32_e32 v63, v31
	v_min_u32_e32 v63, 32, v63
	s_delay_alu instid0(VALU_DEP_1) | instskip(SKIP_1) | instid1(VALU_DEP_2)
	v_subrev_nc_u32_e32 v66, 28, v63
	v_sub_nc_u32_e32 v63, 29, v63
	v_lshlrev_b64 v[66:67], v66, v[31:32]
	s_delay_alu instid0(VALU_DEP_1)
	v_and_b32_e32 v31, 7, v66
; %bb.95:                               ;   in Loop: Header=BB222_10 Depth=1
	s_or_b32 exec_lo, exec_lo, s41
	v_lshlrev_b32_e32 v65, 24, v65
	s_delay_alu instid0(VALU_DEP_2) | instskip(SKIP_1) | instid1(VALU_DEP_3)
	v_lshlrev_b32_e32 v31, 20, v31
	v_lshl_add_u32 v63, v63, 23, 0x3c000000
	v_and_b32_e32 v65, 0x80000000, v65
	s_delay_alu instid0(VALU_DEP_1)
	v_or3_b32 v63, v31, v65, v63
.LBB222_96:                             ;   in Loop: Header=BB222_10 Depth=1
	s_or_b32 exec_lo, exec_lo, s40
.LBB222_97:                             ;   in Loop: Header=BB222_10 Depth=1
	s_delay_alu instid0(SALU_CYCLE_1)
	s_or_b32 exec_lo, exec_lo, s39
.LBB222_98:                             ;   in Loop: Header=BB222_10 Depth=1
	s_delay_alu instid0(SALU_CYCLE_1)
	s_or_b32 exec_lo, exec_lo, s3
	global_load_u8 v41, v[41:42], off offset:12
	v_dual_mov_b32 v65, 0 :: v_dual_mov_b32 v66, 0
	s_mov_b32 s3, exec_lo
	s_waitcnt vmcnt(0)
	v_cmpx_ne_u16_e32 0, v41
	s_cbranch_execz .LBB222_106
; %bb.99:                               ;   in Loop: Header=BB222_10 Depth=1
	v_bfrev_b32_e32 v66, 1
	s_mov_b32 s39, exec_lo
	v_cmpx_ne_u16_e32 0x80, v41
	s_cbranch_execz .LBB222_105
; %bb.100:                              ;   in Loop: Header=BB222_10 Depth=1
	v_and_b32_e32 v31, 0xffff, v41
	v_mov_b32_e32 v66, 0x7f800001
	s_mov_b32 s40, exec_lo
	s_delay_alu instid0(VALU_DEP_2) | instskip(NEXT) | instid1(VALU_DEP_1)
	v_and_b32_e32 v67, 0x7f, v31
	v_cmpx_ne_u32_e32 0x7f, v67
	s_cbranch_execz .LBB222_104
; %bb.101:                              ;   in Loop: Header=BB222_10 Depth=1
	v_and_b32_e32 v31, 7, v31
	v_lshrrev_b32_e32 v42, 3, v67
	s_mov_b32 s41, exec_lo
	v_cmpx_gt_u32_e32 8, v67
; %bb.102:                              ;   in Loop: Header=BB222_10 Depth=1
	s_delay_alu instid0(VALU_DEP_3) | instskip(NEXT) | instid1(VALU_DEP_1)
	v_clz_i32_u32_e32 v42, v31
	v_min_u32_e32 v42, 32, v42
	s_delay_alu instid0(VALU_DEP_1) | instskip(SKIP_1) | instid1(VALU_DEP_2)
	v_subrev_nc_u32_e32 v66, 28, v42
	v_sub_nc_u32_e32 v42, 29, v42
	v_lshlrev_b64 v[66:67], v66, v[31:32]
	s_delay_alu instid0(VALU_DEP_1)
	v_and_b32_e32 v31, 7, v66
; %bb.103:                              ;   in Loop: Header=BB222_10 Depth=1
	s_or_b32 exec_lo, exec_lo, s41
	v_lshlrev_b32_e32 v41, 24, v41
	s_delay_alu instid0(VALU_DEP_2) | instskip(SKIP_1) | instid1(VALU_DEP_3)
	v_lshlrev_b32_e32 v31, 20, v31
	v_lshl_add_u32 v42, v42, 23, 0x3c000000
	v_and_b32_e32 v41, 0x80000000, v41
	s_delay_alu instid0(VALU_DEP_1)
	v_or3_b32 v66, v31, v41, v42
.LBB222_104:                            ;   in Loop: Header=BB222_10 Depth=1
	s_or_b32 exec_lo, exec_lo, s40
.LBB222_105:                            ;   in Loop: Header=BB222_10 Depth=1
	s_delay_alu instid0(SALU_CYCLE_1)
	s_or_b32 exec_lo, exec_lo, s39
.LBB222_106:                            ;   in Loop: Header=BB222_10 Depth=1
	s_delay_alu instid0(SALU_CYCLE_1)
	s_or_b32 exec_lo, exec_lo, s3
	global_load_u8 v41, v[39:40], off offset:384
	s_mov_b32 s3, exec_lo
	s_waitcnt vmcnt(0)
	v_cmpx_ne_u16_e32 0, v41
	s_cbranch_execz .LBB222_114
; %bb.107:                              ;   in Loop: Header=BB222_10 Depth=1
	v_bfrev_b32_e32 v65, 1
	s_mov_b32 s39, exec_lo
	v_cmpx_ne_u16_e32 0x80, v41
	s_cbranch_execz .LBB222_113
; %bb.108:                              ;   in Loop: Header=BB222_10 Depth=1
	v_and_b32_e32 v31, 0xffff, v41
	v_mov_b32_e32 v65, 0x7f800001
	s_mov_b32 s40, exec_lo
	s_delay_alu instid0(VALU_DEP_2) | instskip(NEXT) | instid1(VALU_DEP_1)
	v_and_b32_e32 v67, 0x7f, v31
	v_cmpx_ne_u32_e32 0x7f, v67
	s_cbranch_execz .LBB222_112
; %bb.109:                              ;   in Loop: Header=BB222_10 Depth=1
	v_and_b32_e32 v31, 7, v31
	v_lshrrev_b32_e32 v42, 3, v67
	s_mov_b32 s41, exec_lo
	v_cmpx_gt_u32_e32 8, v67
; %bb.110:                              ;   in Loop: Header=BB222_10 Depth=1
	s_delay_alu instid0(VALU_DEP_3) | instskip(NEXT) | instid1(VALU_DEP_1)
	v_clz_i32_u32_e32 v42, v31
	v_min_u32_e32 v42, 32, v42
	s_delay_alu instid0(VALU_DEP_1) | instskip(SKIP_1) | instid1(VALU_DEP_2)
	v_subrev_nc_u32_e32 v65, 28, v42
	v_sub_nc_u32_e32 v42, 29, v42
	v_lshlrev_b64 v[67:68], v65, v[31:32]
	s_delay_alu instid0(VALU_DEP_1)
	v_and_b32_e32 v31, 7, v67
; %bb.111:                              ;   in Loop: Header=BB222_10 Depth=1
	s_or_b32 exec_lo, exec_lo, s41
	v_lshlrev_b32_e32 v41, 24, v41
	s_delay_alu instid0(VALU_DEP_2) | instskip(SKIP_1) | instid1(VALU_DEP_3)
	v_lshlrev_b32_e32 v31, 20, v31
	v_lshl_add_u32 v42, v42, 23, 0x3c000000
	v_and_b32_e32 v41, 0x80000000, v41
	s_delay_alu instid0(VALU_DEP_1)
	v_or3_b32 v65, v31, v41, v42
.LBB222_112:                            ;   in Loop: Header=BB222_10 Depth=1
	s_or_b32 exec_lo, exec_lo, s40
.LBB222_113:                            ;   in Loop: Header=BB222_10 Depth=1
	s_delay_alu instid0(SALU_CYCLE_1)
	s_or_b32 exec_lo, exec_lo, s39
.LBB222_114:                            ;   in Loop: Header=BB222_10 Depth=1
	s_delay_alu instid0(SALU_CYCLE_1)
	s_or_b32 exec_lo, exec_lo, s3
	global_load_u8 v41, v[39:40], off offset:388
	v_dual_mov_b32 v67, 0 :: v_dual_mov_b32 v68, 0
	s_mov_b32 s3, exec_lo
	s_waitcnt vmcnt(0)
	v_cmpx_ne_u16_e32 0, v41
	s_cbranch_execz .LBB222_122
; %bb.115:                              ;   in Loop: Header=BB222_10 Depth=1
	v_bfrev_b32_e32 v68, 1
	s_mov_b32 s39, exec_lo
	v_cmpx_ne_u16_e32 0x80, v41
	s_cbranch_execz .LBB222_121
; %bb.116:                              ;   in Loop: Header=BB222_10 Depth=1
	v_and_b32_e32 v31, 0xffff, v41
	v_mov_b32_e32 v68, 0x7f800001
	s_mov_b32 s40, exec_lo
	s_delay_alu instid0(VALU_DEP_2) | instskip(NEXT) | instid1(VALU_DEP_1)
	v_and_b32_e32 v69, 0x7f, v31
	v_cmpx_ne_u32_e32 0x7f, v69
	s_cbranch_execz .LBB222_120
; %bb.117:                              ;   in Loop: Header=BB222_10 Depth=1
	v_and_b32_e32 v31, 7, v31
	v_lshrrev_b32_e32 v42, 3, v69
	s_mov_b32 s41, exec_lo
	v_cmpx_gt_u32_e32 8, v69
; %bb.118:                              ;   in Loop: Header=BB222_10 Depth=1
	s_delay_alu instid0(VALU_DEP_3) | instskip(NEXT) | instid1(VALU_DEP_1)
	v_clz_i32_u32_e32 v42, v31
	v_min_u32_e32 v42, 32, v42
	s_delay_alu instid0(VALU_DEP_1) | instskip(SKIP_1) | instid1(VALU_DEP_2)
	v_subrev_nc_u32_e32 v68, 28, v42
	v_sub_nc_u32_e32 v42, 29, v42
	v_lshlrev_b64 v[68:69], v68, v[31:32]
	s_delay_alu instid0(VALU_DEP_1)
	v_and_b32_e32 v31, 7, v68
; %bb.119:                              ;   in Loop: Header=BB222_10 Depth=1
	s_or_b32 exec_lo, exec_lo, s41
	v_lshlrev_b32_e32 v41, 24, v41
	s_delay_alu instid0(VALU_DEP_2) | instskip(SKIP_1) | instid1(VALU_DEP_3)
	v_lshlrev_b32_e32 v31, 20, v31
	v_lshl_add_u32 v42, v42, 23, 0x3c000000
	v_and_b32_e32 v41, 0x80000000, v41
	s_delay_alu instid0(VALU_DEP_1)
	v_or3_b32 v68, v31, v41, v42
.LBB222_120:                            ;   in Loop: Header=BB222_10 Depth=1
	s_or_b32 exec_lo, exec_lo, s40
.LBB222_121:                            ;   in Loop: Header=BB222_10 Depth=1
	s_delay_alu instid0(SALU_CYCLE_1)
	s_or_b32 exec_lo, exec_lo, s39
.LBB222_122:                            ;   in Loop: Header=BB222_10 Depth=1
	s_delay_alu instid0(SALU_CYCLE_1) | instskip(SKIP_1) | instid1(VALU_DEP_1)
	s_or_b32 exec_lo, exec_lo, s3
	v_add_co_u32 v41, s1, 0x180, v39
	v_add_co_ci_u32_e64 v42, s1, 0, v40, s1
	s_mov_b32 s3, exec_lo
	global_load_u8 v69, v[41:42], off offset:8
	s_waitcnt vmcnt(0)
	v_cmpx_ne_u16_e32 0, v69
	s_cbranch_execz .LBB222_130
; %bb.123:                              ;   in Loop: Header=BB222_10 Depth=1
	v_bfrev_b32_e32 v67, 1
	s_mov_b32 s39, exec_lo
	v_cmpx_ne_u16_e32 0x80, v69
	s_cbranch_execz .LBB222_129
; %bb.124:                              ;   in Loop: Header=BB222_10 Depth=1
	v_and_b32_e32 v31, 0xffff, v69
	v_mov_b32_e32 v67, 0x7f800001
	s_mov_b32 s40, exec_lo
	s_delay_alu instid0(VALU_DEP_2) | instskip(NEXT) | instid1(VALU_DEP_1)
	v_and_b32_e32 v70, 0x7f, v31
	v_cmpx_ne_u32_e32 0x7f, v70
	s_cbranch_execz .LBB222_128
; %bb.125:                              ;   in Loop: Header=BB222_10 Depth=1
	v_and_b32_e32 v31, 7, v31
	v_lshrrev_b32_e32 v67, 3, v70
	s_mov_b32 s41, exec_lo
	v_cmpx_gt_u32_e32 8, v70
; %bb.126:                              ;   in Loop: Header=BB222_10 Depth=1
	s_delay_alu instid0(VALU_DEP_3) | instskip(NEXT) | instid1(VALU_DEP_1)
	v_clz_i32_u32_e32 v67, v31
	v_min_u32_e32 v67, 32, v67
	s_delay_alu instid0(VALU_DEP_1) | instskip(SKIP_1) | instid1(VALU_DEP_2)
	v_subrev_nc_u32_e32 v70, 28, v67
	v_sub_nc_u32_e32 v67, 29, v67
	v_lshlrev_b64 v[70:71], v70, v[31:32]
	s_delay_alu instid0(VALU_DEP_1)
	v_and_b32_e32 v31, 7, v70
; %bb.127:                              ;   in Loop: Header=BB222_10 Depth=1
	s_or_b32 exec_lo, exec_lo, s41
	v_lshlrev_b32_e32 v69, 24, v69
	s_delay_alu instid0(VALU_DEP_2) | instskip(SKIP_1) | instid1(VALU_DEP_3)
	v_lshlrev_b32_e32 v31, 20, v31
	v_lshl_add_u32 v67, v67, 23, 0x3c000000
	v_and_b32_e32 v69, 0x80000000, v69
	s_delay_alu instid0(VALU_DEP_1)
	v_or3_b32 v67, v31, v69, v67
.LBB222_128:                            ;   in Loop: Header=BB222_10 Depth=1
	s_or_b32 exec_lo, exec_lo, s40
.LBB222_129:                            ;   in Loop: Header=BB222_10 Depth=1
	s_delay_alu instid0(SALU_CYCLE_1)
	s_or_b32 exec_lo, exec_lo, s39
.LBB222_130:                            ;   in Loop: Header=BB222_10 Depth=1
	s_delay_alu instid0(SALU_CYCLE_1)
	s_or_b32 exec_lo, exec_lo, s3
	global_load_u8 v41, v[41:42], off offset:12
	v_dual_mov_b32 v69, 0 :: v_dual_mov_b32 v70, 0
	s_mov_b32 s3, exec_lo
	s_waitcnt vmcnt(0)
	v_cmpx_ne_u16_e32 0, v41
	s_cbranch_execz .LBB222_138
; %bb.131:                              ;   in Loop: Header=BB222_10 Depth=1
	v_bfrev_b32_e32 v70, 1
	s_mov_b32 s39, exec_lo
	v_cmpx_ne_u16_e32 0x80, v41
	s_cbranch_execz .LBB222_137
; %bb.132:                              ;   in Loop: Header=BB222_10 Depth=1
	v_and_b32_e32 v31, 0xffff, v41
	v_mov_b32_e32 v70, 0x7f800001
	s_mov_b32 s40, exec_lo
	s_delay_alu instid0(VALU_DEP_2) | instskip(NEXT) | instid1(VALU_DEP_1)
	v_and_b32_e32 v71, 0x7f, v31
	v_cmpx_ne_u32_e32 0x7f, v71
	s_cbranch_execz .LBB222_136
; %bb.133:                              ;   in Loop: Header=BB222_10 Depth=1
	v_and_b32_e32 v31, 7, v31
	v_lshrrev_b32_e32 v42, 3, v71
	s_mov_b32 s41, exec_lo
	v_cmpx_gt_u32_e32 8, v71
; %bb.134:                              ;   in Loop: Header=BB222_10 Depth=1
	s_delay_alu instid0(VALU_DEP_3) | instskip(NEXT) | instid1(VALU_DEP_1)
	v_clz_i32_u32_e32 v42, v31
	v_min_u32_e32 v42, 32, v42
	s_delay_alu instid0(VALU_DEP_1) | instskip(SKIP_1) | instid1(VALU_DEP_2)
	v_subrev_nc_u32_e32 v70, 28, v42
	v_sub_nc_u32_e32 v42, 29, v42
	v_lshlrev_b64 v[70:71], v70, v[31:32]
	s_delay_alu instid0(VALU_DEP_1)
	v_and_b32_e32 v31, 7, v70
; %bb.135:                              ;   in Loop: Header=BB222_10 Depth=1
	s_or_b32 exec_lo, exec_lo, s41
	v_lshlrev_b32_e32 v41, 24, v41
	s_delay_alu instid0(VALU_DEP_2) | instskip(SKIP_1) | instid1(VALU_DEP_3)
	v_lshlrev_b32_e32 v31, 20, v31
	v_lshl_add_u32 v42, v42, 23, 0x3c000000
	v_and_b32_e32 v41, 0x80000000, v41
	s_delay_alu instid0(VALU_DEP_1)
	v_or3_b32 v70, v31, v41, v42
.LBB222_136:                            ;   in Loop: Header=BB222_10 Depth=1
	s_or_b32 exec_lo, exec_lo, s40
.LBB222_137:                            ;   in Loop: Header=BB222_10 Depth=1
	s_delay_alu instid0(SALU_CYCLE_1)
	s_or_b32 exec_lo, exec_lo, s39
.LBB222_138:                            ;   in Loop: Header=BB222_10 Depth=1
	s_delay_alu instid0(SALU_CYCLE_1)
	s_or_b32 exec_lo, exec_lo, s3
	global_load_u8 v41, v[39:40], off offset:512
	s_mov_b32 s3, exec_lo
	s_waitcnt vmcnt(0)
	v_cmpx_ne_u16_e32 0, v41
	s_cbranch_execz .LBB222_146
; %bb.139:                              ;   in Loop: Header=BB222_10 Depth=1
	v_bfrev_b32_e32 v69, 1
	s_mov_b32 s39, exec_lo
	v_cmpx_ne_u16_e32 0x80, v41
	s_cbranch_execz .LBB222_145
; %bb.140:                              ;   in Loop: Header=BB222_10 Depth=1
	v_and_b32_e32 v31, 0xffff, v41
	v_mov_b32_e32 v69, 0x7f800001
	s_mov_b32 s40, exec_lo
	s_delay_alu instid0(VALU_DEP_2) | instskip(NEXT) | instid1(VALU_DEP_1)
	v_and_b32_e32 v71, 0x7f, v31
	v_cmpx_ne_u32_e32 0x7f, v71
	s_cbranch_execz .LBB222_144
; %bb.141:                              ;   in Loop: Header=BB222_10 Depth=1
	v_and_b32_e32 v31, 7, v31
	v_lshrrev_b32_e32 v42, 3, v71
	s_mov_b32 s41, exec_lo
	v_cmpx_gt_u32_e32 8, v71
; %bb.142:                              ;   in Loop: Header=BB222_10 Depth=1
	s_delay_alu instid0(VALU_DEP_3) | instskip(NEXT) | instid1(VALU_DEP_1)
	v_clz_i32_u32_e32 v42, v31
	v_min_u32_e32 v42, 32, v42
	s_delay_alu instid0(VALU_DEP_1) | instskip(SKIP_1) | instid1(VALU_DEP_2)
	v_subrev_nc_u32_e32 v69, 28, v42
	v_sub_nc_u32_e32 v42, 29, v42
	v_lshlrev_b64 v[71:72], v69, v[31:32]
	s_delay_alu instid0(VALU_DEP_1)
	v_and_b32_e32 v31, 7, v71
; %bb.143:                              ;   in Loop: Header=BB222_10 Depth=1
	s_or_b32 exec_lo, exec_lo, s41
	v_lshlrev_b32_e32 v41, 24, v41
	s_delay_alu instid0(VALU_DEP_2) | instskip(SKIP_1) | instid1(VALU_DEP_3)
	v_lshlrev_b32_e32 v31, 20, v31
	v_lshl_add_u32 v42, v42, 23, 0x3c000000
	v_and_b32_e32 v41, 0x80000000, v41
	s_delay_alu instid0(VALU_DEP_1)
	v_or3_b32 v69, v31, v41, v42
.LBB222_144:                            ;   in Loop: Header=BB222_10 Depth=1
	s_or_b32 exec_lo, exec_lo, s40
.LBB222_145:                            ;   in Loop: Header=BB222_10 Depth=1
	s_delay_alu instid0(SALU_CYCLE_1)
	s_or_b32 exec_lo, exec_lo, s39
.LBB222_146:                            ;   in Loop: Header=BB222_10 Depth=1
	s_delay_alu instid0(SALU_CYCLE_1)
	s_or_b32 exec_lo, exec_lo, s3
	global_load_u8 v41, v[39:40], off offset:516
	v_dual_mov_b32 v71, 0 :: v_dual_mov_b32 v72, 0
	s_mov_b32 s3, exec_lo
	s_waitcnt vmcnt(0)
	v_cmpx_ne_u16_e32 0, v41
	s_cbranch_execz .LBB222_154
; %bb.147:                              ;   in Loop: Header=BB222_10 Depth=1
	v_bfrev_b32_e32 v72, 1
	s_mov_b32 s39, exec_lo
	v_cmpx_ne_u16_e32 0x80, v41
	s_cbranch_execz .LBB222_153
; %bb.148:                              ;   in Loop: Header=BB222_10 Depth=1
	v_and_b32_e32 v31, 0xffff, v41
	v_mov_b32_e32 v72, 0x7f800001
	s_mov_b32 s40, exec_lo
	s_delay_alu instid0(VALU_DEP_2) | instskip(NEXT) | instid1(VALU_DEP_1)
	v_and_b32_e32 v73, 0x7f, v31
	v_cmpx_ne_u32_e32 0x7f, v73
	s_cbranch_execz .LBB222_152
; %bb.149:                              ;   in Loop: Header=BB222_10 Depth=1
	v_and_b32_e32 v31, 7, v31
	v_lshrrev_b32_e32 v42, 3, v73
	s_mov_b32 s41, exec_lo
	v_cmpx_gt_u32_e32 8, v73
; %bb.150:                              ;   in Loop: Header=BB222_10 Depth=1
	s_delay_alu instid0(VALU_DEP_3) | instskip(NEXT) | instid1(VALU_DEP_1)
	v_clz_i32_u32_e32 v42, v31
	v_min_u32_e32 v42, 32, v42
	s_delay_alu instid0(VALU_DEP_1) | instskip(SKIP_1) | instid1(VALU_DEP_2)
	v_subrev_nc_u32_e32 v72, 28, v42
	v_sub_nc_u32_e32 v42, 29, v42
	v_lshlrev_b64 v[72:73], v72, v[31:32]
	s_delay_alu instid0(VALU_DEP_1)
	v_and_b32_e32 v31, 7, v72
; %bb.151:                              ;   in Loop: Header=BB222_10 Depth=1
	s_or_b32 exec_lo, exec_lo, s41
	v_lshlrev_b32_e32 v41, 24, v41
	s_delay_alu instid0(VALU_DEP_2) | instskip(SKIP_1) | instid1(VALU_DEP_3)
	v_lshlrev_b32_e32 v31, 20, v31
	v_lshl_add_u32 v42, v42, 23, 0x3c000000
	v_and_b32_e32 v41, 0x80000000, v41
	s_delay_alu instid0(VALU_DEP_1)
	v_or3_b32 v72, v31, v41, v42
.LBB222_152:                            ;   in Loop: Header=BB222_10 Depth=1
	s_or_b32 exec_lo, exec_lo, s40
.LBB222_153:                            ;   in Loop: Header=BB222_10 Depth=1
	s_delay_alu instid0(SALU_CYCLE_1)
	s_or_b32 exec_lo, exec_lo, s39
.LBB222_154:                            ;   in Loop: Header=BB222_10 Depth=1
	s_delay_alu instid0(SALU_CYCLE_1) | instskip(SKIP_1) | instid1(VALU_DEP_1)
	s_or_b32 exec_lo, exec_lo, s3
	v_add_co_u32 v41, s1, 0x200, v39
	v_add_co_ci_u32_e64 v42, s1, 0, v40, s1
	s_mov_b32 s3, exec_lo
	global_load_u8 v73, v[41:42], off offset:8
	s_waitcnt vmcnt(0)
	v_cmpx_ne_u16_e32 0, v73
	s_cbranch_execz .LBB222_162
; %bb.155:                              ;   in Loop: Header=BB222_10 Depth=1
	v_bfrev_b32_e32 v71, 1
	s_mov_b32 s39, exec_lo
	v_cmpx_ne_u16_e32 0x80, v73
	s_cbranch_execz .LBB222_161
; %bb.156:                              ;   in Loop: Header=BB222_10 Depth=1
	v_and_b32_e32 v31, 0xffff, v73
	v_mov_b32_e32 v71, 0x7f800001
	s_mov_b32 s40, exec_lo
	s_delay_alu instid0(VALU_DEP_2) | instskip(NEXT) | instid1(VALU_DEP_1)
	v_and_b32_e32 v74, 0x7f, v31
	v_cmpx_ne_u32_e32 0x7f, v74
	s_cbranch_execz .LBB222_160
; %bb.157:                              ;   in Loop: Header=BB222_10 Depth=1
	v_and_b32_e32 v31, 7, v31
	v_lshrrev_b32_e32 v71, 3, v74
	s_mov_b32 s41, exec_lo
	v_cmpx_gt_u32_e32 8, v74
; %bb.158:                              ;   in Loop: Header=BB222_10 Depth=1
	s_delay_alu instid0(VALU_DEP_3) | instskip(NEXT) | instid1(VALU_DEP_1)
	v_clz_i32_u32_e32 v71, v31
	v_min_u32_e32 v71, 32, v71
	s_delay_alu instid0(VALU_DEP_1) | instskip(SKIP_1) | instid1(VALU_DEP_2)
	v_subrev_nc_u32_e32 v74, 28, v71
	v_sub_nc_u32_e32 v71, 29, v71
	v_lshlrev_b64 v[74:75], v74, v[31:32]
	s_delay_alu instid0(VALU_DEP_1)
	v_and_b32_e32 v31, 7, v74
; %bb.159:                              ;   in Loop: Header=BB222_10 Depth=1
	s_or_b32 exec_lo, exec_lo, s41
	v_lshlrev_b32_e32 v73, 24, v73
	s_delay_alu instid0(VALU_DEP_2) | instskip(SKIP_1) | instid1(VALU_DEP_3)
	v_lshlrev_b32_e32 v31, 20, v31
	v_lshl_add_u32 v71, v71, 23, 0x3c000000
	v_and_b32_e32 v73, 0x80000000, v73
	s_delay_alu instid0(VALU_DEP_1)
	v_or3_b32 v71, v31, v73, v71
.LBB222_160:                            ;   in Loop: Header=BB222_10 Depth=1
	s_or_b32 exec_lo, exec_lo, s40
.LBB222_161:                            ;   in Loop: Header=BB222_10 Depth=1
	s_delay_alu instid0(SALU_CYCLE_1)
	s_or_b32 exec_lo, exec_lo, s39
.LBB222_162:                            ;   in Loop: Header=BB222_10 Depth=1
	s_delay_alu instid0(SALU_CYCLE_1)
	s_or_b32 exec_lo, exec_lo, s3
	global_load_u8 v41, v[41:42], off offset:12
	v_dual_mov_b32 v73, 0 :: v_dual_mov_b32 v74, 0
	s_mov_b32 s3, exec_lo
	s_waitcnt vmcnt(0)
	v_cmpx_ne_u16_e32 0, v41
	s_cbranch_execz .LBB222_170
; %bb.163:                              ;   in Loop: Header=BB222_10 Depth=1
	v_bfrev_b32_e32 v74, 1
	s_mov_b32 s39, exec_lo
	v_cmpx_ne_u16_e32 0x80, v41
	s_cbranch_execz .LBB222_169
; %bb.164:                              ;   in Loop: Header=BB222_10 Depth=1
	v_and_b32_e32 v31, 0xffff, v41
	v_mov_b32_e32 v74, 0x7f800001
	s_mov_b32 s40, exec_lo
	s_delay_alu instid0(VALU_DEP_2) | instskip(NEXT) | instid1(VALU_DEP_1)
	v_and_b32_e32 v75, 0x7f, v31
	v_cmpx_ne_u32_e32 0x7f, v75
	s_cbranch_execz .LBB222_168
; %bb.165:                              ;   in Loop: Header=BB222_10 Depth=1
	v_and_b32_e32 v31, 7, v31
	v_lshrrev_b32_e32 v42, 3, v75
	s_mov_b32 s41, exec_lo
	v_cmpx_gt_u32_e32 8, v75
; %bb.166:                              ;   in Loop: Header=BB222_10 Depth=1
	s_delay_alu instid0(VALU_DEP_3) | instskip(NEXT) | instid1(VALU_DEP_1)
	v_clz_i32_u32_e32 v42, v31
	v_min_u32_e32 v42, 32, v42
	s_delay_alu instid0(VALU_DEP_1) | instskip(SKIP_1) | instid1(VALU_DEP_2)
	v_subrev_nc_u32_e32 v74, 28, v42
	v_sub_nc_u32_e32 v42, 29, v42
	v_lshlrev_b64 v[74:75], v74, v[31:32]
	s_delay_alu instid0(VALU_DEP_1)
	v_and_b32_e32 v31, 7, v74
; %bb.167:                              ;   in Loop: Header=BB222_10 Depth=1
	s_or_b32 exec_lo, exec_lo, s41
	v_lshlrev_b32_e32 v41, 24, v41
	s_delay_alu instid0(VALU_DEP_2) | instskip(SKIP_1) | instid1(VALU_DEP_3)
	v_lshlrev_b32_e32 v31, 20, v31
	v_lshl_add_u32 v42, v42, 23, 0x3c000000
	v_and_b32_e32 v41, 0x80000000, v41
	s_delay_alu instid0(VALU_DEP_1)
	v_or3_b32 v74, v31, v41, v42
.LBB222_168:                            ;   in Loop: Header=BB222_10 Depth=1
	s_or_b32 exec_lo, exec_lo, s40
.LBB222_169:                            ;   in Loop: Header=BB222_10 Depth=1
	s_delay_alu instid0(SALU_CYCLE_1)
	s_or_b32 exec_lo, exec_lo, s39
.LBB222_170:                            ;   in Loop: Header=BB222_10 Depth=1
	s_delay_alu instid0(SALU_CYCLE_1)
	s_or_b32 exec_lo, exec_lo, s3
	global_load_u8 v41, v[39:40], off offset:640
	s_mov_b32 s3, exec_lo
	s_waitcnt vmcnt(0)
	v_cmpx_ne_u16_e32 0, v41
	s_cbranch_execz .LBB222_178
; %bb.171:                              ;   in Loop: Header=BB222_10 Depth=1
	v_bfrev_b32_e32 v73, 1
	s_mov_b32 s39, exec_lo
	v_cmpx_ne_u16_e32 0x80, v41
	s_cbranch_execz .LBB222_177
; %bb.172:                              ;   in Loop: Header=BB222_10 Depth=1
	v_and_b32_e32 v31, 0xffff, v41
	v_mov_b32_e32 v73, 0x7f800001
	s_mov_b32 s40, exec_lo
	s_delay_alu instid0(VALU_DEP_2) | instskip(NEXT) | instid1(VALU_DEP_1)
	v_and_b32_e32 v75, 0x7f, v31
	v_cmpx_ne_u32_e32 0x7f, v75
	s_cbranch_execz .LBB222_176
; %bb.173:                              ;   in Loop: Header=BB222_10 Depth=1
	v_and_b32_e32 v31, 7, v31
	v_lshrrev_b32_e32 v42, 3, v75
	s_mov_b32 s41, exec_lo
	v_cmpx_gt_u32_e32 8, v75
; %bb.174:                              ;   in Loop: Header=BB222_10 Depth=1
	s_delay_alu instid0(VALU_DEP_3) | instskip(NEXT) | instid1(VALU_DEP_1)
	v_clz_i32_u32_e32 v42, v31
	v_min_u32_e32 v42, 32, v42
	s_delay_alu instid0(VALU_DEP_1) | instskip(SKIP_1) | instid1(VALU_DEP_2)
	v_subrev_nc_u32_e32 v73, 28, v42
	v_sub_nc_u32_e32 v42, 29, v42
	v_lshlrev_b64 v[75:76], v73, v[31:32]
	s_delay_alu instid0(VALU_DEP_1)
	v_and_b32_e32 v31, 7, v75
; %bb.175:                              ;   in Loop: Header=BB222_10 Depth=1
	s_or_b32 exec_lo, exec_lo, s41
	v_lshlrev_b32_e32 v41, 24, v41
	s_delay_alu instid0(VALU_DEP_2) | instskip(SKIP_1) | instid1(VALU_DEP_3)
	v_lshlrev_b32_e32 v31, 20, v31
	v_lshl_add_u32 v42, v42, 23, 0x3c000000
	v_and_b32_e32 v41, 0x80000000, v41
	s_delay_alu instid0(VALU_DEP_1)
	v_or3_b32 v73, v31, v41, v42
.LBB222_176:                            ;   in Loop: Header=BB222_10 Depth=1
	s_or_b32 exec_lo, exec_lo, s40
.LBB222_177:                            ;   in Loop: Header=BB222_10 Depth=1
	s_delay_alu instid0(SALU_CYCLE_1)
	s_or_b32 exec_lo, exec_lo, s39
.LBB222_178:                            ;   in Loop: Header=BB222_10 Depth=1
	s_delay_alu instid0(SALU_CYCLE_1)
	s_or_b32 exec_lo, exec_lo, s3
	global_load_u8 v41, v[39:40], off offset:644
	v_dual_mov_b32 v75, 0 :: v_dual_mov_b32 v76, 0
	s_mov_b32 s3, exec_lo
	s_waitcnt vmcnt(0)
	v_cmpx_ne_u16_e32 0, v41
	s_cbranch_execz .LBB222_186
; %bb.179:                              ;   in Loop: Header=BB222_10 Depth=1
	v_bfrev_b32_e32 v76, 1
	s_mov_b32 s39, exec_lo
	v_cmpx_ne_u16_e32 0x80, v41
	s_cbranch_execz .LBB222_185
; %bb.180:                              ;   in Loop: Header=BB222_10 Depth=1
	v_and_b32_e32 v31, 0xffff, v41
	v_mov_b32_e32 v76, 0x7f800001
	s_mov_b32 s40, exec_lo
	s_delay_alu instid0(VALU_DEP_2) | instskip(NEXT) | instid1(VALU_DEP_1)
	v_and_b32_e32 v77, 0x7f, v31
	v_cmpx_ne_u32_e32 0x7f, v77
	s_cbranch_execz .LBB222_184
; %bb.181:                              ;   in Loop: Header=BB222_10 Depth=1
	v_and_b32_e32 v31, 7, v31
	v_lshrrev_b32_e32 v42, 3, v77
	s_mov_b32 s41, exec_lo
	v_cmpx_gt_u32_e32 8, v77
; %bb.182:                              ;   in Loop: Header=BB222_10 Depth=1
	s_delay_alu instid0(VALU_DEP_3) | instskip(NEXT) | instid1(VALU_DEP_1)
	v_clz_i32_u32_e32 v42, v31
	v_min_u32_e32 v42, 32, v42
	s_delay_alu instid0(VALU_DEP_1) | instskip(SKIP_1) | instid1(VALU_DEP_2)
	v_subrev_nc_u32_e32 v76, 28, v42
	v_sub_nc_u32_e32 v42, 29, v42
	v_lshlrev_b64 v[76:77], v76, v[31:32]
	s_delay_alu instid0(VALU_DEP_1)
	v_and_b32_e32 v31, 7, v76
; %bb.183:                              ;   in Loop: Header=BB222_10 Depth=1
	s_or_b32 exec_lo, exec_lo, s41
	v_lshlrev_b32_e32 v41, 24, v41
	s_delay_alu instid0(VALU_DEP_2) | instskip(SKIP_1) | instid1(VALU_DEP_3)
	v_lshlrev_b32_e32 v31, 20, v31
	v_lshl_add_u32 v42, v42, 23, 0x3c000000
	v_and_b32_e32 v41, 0x80000000, v41
	s_delay_alu instid0(VALU_DEP_1)
	v_or3_b32 v76, v31, v41, v42
.LBB222_184:                            ;   in Loop: Header=BB222_10 Depth=1
	s_or_b32 exec_lo, exec_lo, s40
.LBB222_185:                            ;   in Loop: Header=BB222_10 Depth=1
	s_delay_alu instid0(SALU_CYCLE_1)
	s_or_b32 exec_lo, exec_lo, s39
.LBB222_186:                            ;   in Loop: Header=BB222_10 Depth=1
	s_delay_alu instid0(SALU_CYCLE_1) | instskip(SKIP_1) | instid1(VALU_DEP_1)
	s_or_b32 exec_lo, exec_lo, s3
	v_add_co_u32 v41, s1, 0x280, v39
	v_add_co_ci_u32_e64 v42, s1, 0, v40, s1
	s_mov_b32 s3, exec_lo
	global_load_u8 v77, v[41:42], off offset:8
	s_waitcnt vmcnt(0)
	v_cmpx_ne_u16_e32 0, v77
	s_cbranch_execz .LBB222_194
; %bb.187:                              ;   in Loop: Header=BB222_10 Depth=1
	v_bfrev_b32_e32 v75, 1
	s_mov_b32 s39, exec_lo
	v_cmpx_ne_u16_e32 0x80, v77
	s_cbranch_execz .LBB222_193
; %bb.188:                              ;   in Loop: Header=BB222_10 Depth=1
	v_and_b32_e32 v31, 0xffff, v77
	v_mov_b32_e32 v75, 0x7f800001
	s_mov_b32 s40, exec_lo
	s_delay_alu instid0(VALU_DEP_2) | instskip(NEXT) | instid1(VALU_DEP_1)
	v_and_b32_e32 v78, 0x7f, v31
	v_cmpx_ne_u32_e32 0x7f, v78
	s_cbranch_execz .LBB222_192
; %bb.189:                              ;   in Loop: Header=BB222_10 Depth=1
	v_and_b32_e32 v31, 7, v31
	v_lshrrev_b32_e32 v75, 3, v78
	s_mov_b32 s41, exec_lo
	v_cmpx_gt_u32_e32 8, v78
; %bb.190:                              ;   in Loop: Header=BB222_10 Depth=1
	s_delay_alu instid0(VALU_DEP_3) | instskip(NEXT) | instid1(VALU_DEP_1)
	v_clz_i32_u32_e32 v75, v31
	v_min_u32_e32 v75, 32, v75
	s_delay_alu instid0(VALU_DEP_1) | instskip(SKIP_1) | instid1(VALU_DEP_2)
	v_subrev_nc_u32_e32 v78, 28, v75
	v_sub_nc_u32_e32 v75, 29, v75
	v_lshlrev_b64 v[78:79], v78, v[31:32]
	s_delay_alu instid0(VALU_DEP_1)
	v_and_b32_e32 v31, 7, v78
; %bb.191:                              ;   in Loop: Header=BB222_10 Depth=1
	s_or_b32 exec_lo, exec_lo, s41
	v_lshlrev_b32_e32 v77, 24, v77
	s_delay_alu instid0(VALU_DEP_2) | instskip(SKIP_1) | instid1(VALU_DEP_3)
	v_lshlrev_b32_e32 v31, 20, v31
	v_lshl_add_u32 v75, v75, 23, 0x3c000000
	v_and_b32_e32 v77, 0x80000000, v77
	s_delay_alu instid0(VALU_DEP_1)
	v_or3_b32 v75, v31, v77, v75
.LBB222_192:                            ;   in Loop: Header=BB222_10 Depth=1
	s_or_b32 exec_lo, exec_lo, s40
.LBB222_193:                            ;   in Loop: Header=BB222_10 Depth=1
	s_delay_alu instid0(SALU_CYCLE_1)
	s_or_b32 exec_lo, exec_lo, s39
.LBB222_194:                            ;   in Loop: Header=BB222_10 Depth=1
	s_delay_alu instid0(SALU_CYCLE_1)
	s_or_b32 exec_lo, exec_lo, s3
	global_load_u8 v41, v[41:42], off offset:12
	v_dual_mov_b32 v77, 0 :: v_dual_mov_b32 v78, 0
	s_mov_b32 s3, exec_lo
	s_waitcnt vmcnt(0)
	v_cmpx_ne_u16_e32 0, v41
	s_cbranch_execz .LBB222_202
; %bb.195:                              ;   in Loop: Header=BB222_10 Depth=1
	v_bfrev_b32_e32 v78, 1
	s_mov_b32 s39, exec_lo
	v_cmpx_ne_u16_e32 0x80, v41
	s_cbranch_execz .LBB222_201
; %bb.196:                              ;   in Loop: Header=BB222_10 Depth=1
	v_and_b32_e32 v31, 0xffff, v41
	v_mov_b32_e32 v78, 0x7f800001
	s_mov_b32 s40, exec_lo
	s_delay_alu instid0(VALU_DEP_2) | instskip(NEXT) | instid1(VALU_DEP_1)
	v_and_b32_e32 v79, 0x7f, v31
	v_cmpx_ne_u32_e32 0x7f, v79
	s_cbranch_execz .LBB222_200
; %bb.197:                              ;   in Loop: Header=BB222_10 Depth=1
	v_and_b32_e32 v31, 7, v31
	v_lshrrev_b32_e32 v42, 3, v79
	s_mov_b32 s41, exec_lo
	v_cmpx_gt_u32_e32 8, v79
; %bb.198:                              ;   in Loop: Header=BB222_10 Depth=1
	s_delay_alu instid0(VALU_DEP_3) | instskip(NEXT) | instid1(VALU_DEP_1)
	v_clz_i32_u32_e32 v42, v31
	v_min_u32_e32 v42, 32, v42
	s_delay_alu instid0(VALU_DEP_1) | instskip(SKIP_1) | instid1(VALU_DEP_2)
	v_subrev_nc_u32_e32 v78, 28, v42
	v_sub_nc_u32_e32 v42, 29, v42
	v_lshlrev_b64 v[78:79], v78, v[31:32]
	s_delay_alu instid0(VALU_DEP_1)
	v_and_b32_e32 v31, 7, v78
; %bb.199:                              ;   in Loop: Header=BB222_10 Depth=1
	s_or_b32 exec_lo, exec_lo, s41
	v_lshlrev_b32_e32 v41, 24, v41
	s_delay_alu instid0(VALU_DEP_2) | instskip(SKIP_1) | instid1(VALU_DEP_3)
	v_lshlrev_b32_e32 v31, 20, v31
	v_lshl_add_u32 v42, v42, 23, 0x3c000000
	v_and_b32_e32 v41, 0x80000000, v41
	s_delay_alu instid0(VALU_DEP_1)
	v_or3_b32 v78, v31, v41, v42
.LBB222_200:                            ;   in Loop: Header=BB222_10 Depth=1
	s_or_b32 exec_lo, exec_lo, s40
.LBB222_201:                            ;   in Loop: Header=BB222_10 Depth=1
	s_delay_alu instid0(SALU_CYCLE_1)
	s_or_b32 exec_lo, exec_lo, s39
.LBB222_202:                            ;   in Loop: Header=BB222_10 Depth=1
	s_delay_alu instid0(SALU_CYCLE_1)
	s_or_b32 exec_lo, exec_lo, s3
	global_load_u8 v41, v[39:40], off offset:768
	s_mov_b32 s3, exec_lo
	s_waitcnt vmcnt(0)
	v_cmpx_ne_u16_e32 0, v41
	s_cbranch_execz .LBB222_210
; %bb.203:                              ;   in Loop: Header=BB222_10 Depth=1
	v_bfrev_b32_e32 v77, 1
	s_mov_b32 s39, exec_lo
	v_cmpx_ne_u16_e32 0x80, v41
	s_cbranch_execz .LBB222_209
; %bb.204:                              ;   in Loop: Header=BB222_10 Depth=1
	v_and_b32_e32 v31, 0xffff, v41
	v_mov_b32_e32 v77, 0x7f800001
	s_mov_b32 s40, exec_lo
	s_delay_alu instid0(VALU_DEP_2) | instskip(NEXT) | instid1(VALU_DEP_1)
	v_and_b32_e32 v79, 0x7f, v31
	v_cmpx_ne_u32_e32 0x7f, v79
	s_cbranch_execz .LBB222_208
; %bb.205:                              ;   in Loop: Header=BB222_10 Depth=1
	v_and_b32_e32 v31, 7, v31
	v_lshrrev_b32_e32 v42, 3, v79
	s_mov_b32 s41, exec_lo
	v_cmpx_gt_u32_e32 8, v79
; %bb.206:                              ;   in Loop: Header=BB222_10 Depth=1
	s_delay_alu instid0(VALU_DEP_3) | instskip(NEXT) | instid1(VALU_DEP_1)
	v_clz_i32_u32_e32 v42, v31
	v_min_u32_e32 v42, 32, v42
	s_delay_alu instid0(VALU_DEP_1) | instskip(SKIP_1) | instid1(VALU_DEP_2)
	v_subrev_nc_u32_e32 v77, 28, v42
	v_sub_nc_u32_e32 v42, 29, v42
	v_lshlrev_b64 v[79:80], v77, v[31:32]
	s_delay_alu instid0(VALU_DEP_1)
	v_and_b32_e32 v31, 7, v79
; %bb.207:                              ;   in Loop: Header=BB222_10 Depth=1
	s_or_b32 exec_lo, exec_lo, s41
	v_lshlrev_b32_e32 v41, 24, v41
	s_delay_alu instid0(VALU_DEP_2) | instskip(SKIP_1) | instid1(VALU_DEP_3)
	v_lshlrev_b32_e32 v31, 20, v31
	v_lshl_add_u32 v42, v42, 23, 0x3c000000
	v_and_b32_e32 v41, 0x80000000, v41
	s_delay_alu instid0(VALU_DEP_1)
	v_or3_b32 v77, v31, v41, v42
.LBB222_208:                            ;   in Loop: Header=BB222_10 Depth=1
	s_or_b32 exec_lo, exec_lo, s40
.LBB222_209:                            ;   in Loop: Header=BB222_10 Depth=1
	s_delay_alu instid0(SALU_CYCLE_1)
	s_or_b32 exec_lo, exec_lo, s39
.LBB222_210:                            ;   in Loop: Header=BB222_10 Depth=1
	s_delay_alu instid0(SALU_CYCLE_1)
	s_or_b32 exec_lo, exec_lo, s3
	global_load_u8 v41, v[39:40], off offset:772
	v_dual_mov_b32 v79, 0 :: v_dual_mov_b32 v80, 0
	s_mov_b32 s3, exec_lo
	s_waitcnt vmcnt(0)
	v_cmpx_ne_u16_e32 0, v41
	s_cbranch_execz .LBB222_218
; %bb.211:                              ;   in Loop: Header=BB222_10 Depth=1
	v_bfrev_b32_e32 v80, 1
	s_mov_b32 s39, exec_lo
	v_cmpx_ne_u16_e32 0x80, v41
	s_cbranch_execz .LBB222_217
; %bb.212:                              ;   in Loop: Header=BB222_10 Depth=1
	v_and_b32_e32 v31, 0xffff, v41
	v_mov_b32_e32 v80, 0x7f800001
	s_mov_b32 s40, exec_lo
	s_delay_alu instid0(VALU_DEP_2) | instskip(NEXT) | instid1(VALU_DEP_1)
	v_and_b32_e32 v81, 0x7f, v31
	v_cmpx_ne_u32_e32 0x7f, v81
	s_cbranch_execz .LBB222_216
; %bb.213:                              ;   in Loop: Header=BB222_10 Depth=1
	v_and_b32_e32 v31, 7, v31
	v_lshrrev_b32_e32 v42, 3, v81
	s_mov_b32 s41, exec_lo
	v_cmpx_gt_u32_e32 8, v81
; %bb.214:                              ;   in Loop: Header=BB222_10 Depth=1
	s_delay_alu instid0(VALU_DEP_3) | instskip(NEXT) | instid1(VALU_DEP_1)
	v_clz_i32_u32_e32 v42, v31
	v_min_u32_e32 v42, 32, v42
	s_delay_alu instid0(VALU_DEP_1) | instskip(SKIP_1) | instid1(VALU_DEP_2)
	v_subrev_nc_u32_e32 v80, 28, v42
	v_sub_nc_u32_e32 v42, 29, v42
	v_lshlrev_b64 v[80:81], v80, v[31:32]
	s_delay_alu instid0(VALU_DEP_1)
	v_and_b32_e32 v31, 7, v80
; %bb.215:                              ;   in Loop: Header=BB222_10 Depth=1
	s_or_b32 exec_lo, exec_lo, s41
	v_lshlrev_b32_e32 v41, 24, v41
	s_delay_alu instid0(VALU_DEP_2) | instskip(SKIP_1) | instid1(VALU_DEP_3)
	v_lshlrev_b32_e32 v31, 20, v31
	v_lshl_add_u32 v42, v42, 23, 0x3c000000
	v_and_b32_e32 v41, 0x80000000, v41
	s_delay_alu instid0(VALU_DEP_1)
	v_or3_b32 v80, v31, v41, v42
.LBB222_216:                            ;   in Loop: Header=BB222_10 Depth=1
	s_or_b32 exec_lo, exec_lo, s40
.LBB222_217:                            ;   in Loop: Header=BB222_10 Depth=1
	s_delay_alu instid0(SALU_CYCLE_1)
	s_or_b32 exec_lo, exec_lo, s39
.LBB222_218:                            ;   in Loop: Header=BB222_10 Depth=1
	s_delay_alu instid0(SALU_CYCLE_1) | instskip(SKIP_1) | instid1(VALU_DEP_1)
	s_or_b32 exec_lo, exec_lo, s3
	v_add_co_u32 v41, s1, 0x300, v39
	v_add_co_ci_u32_e64 v42, s1, 0, v40, s1
	s_mov_b32 s3, exec_lo
	global_load_u8 v81, v[41:42], off offset:8
	s_waitcnt vmcnt(0)
	v_cmpx_ne_u16_e32 0, v81
	s_cbranch_execz .LBB222_226
; %bb.219:                              ;   in Loop: Header=BB222_10 Depth=1
	v_bfrev_b32_e32 v79, 1
	s_mov_b32 s39, exec_lo
	v_cmpx_ne_u16_e32 0x80, v81
	s_cbranch_execz .LBB222_225
; %bb.220:                              ;   in Loop: Header=BB222_10 Depth=1
	v_and_b32_e32 v31, 0xffff, v81
	v_mov_b32_e32 v79, 0x7f800001
	s_mov_b32 s40, exec_lo
	s_delay_alu instid0(VALU_DEP_2) | instskip(NEXT) | instid1(VALU_DEP_1)
	v_and_b32_e32 v82, 0x7f, v31
	v_cmpx_ne_u32_e32 0x7f, v82
	s_cbranch_execz .LBB222_224
; %bb.221:                              ;   in Loop: Header=BB222_10 Depth=1
	v_and_b32_e32 v31, 7, v31
	v_lshrrev_b32_e32 v79, 3, v82
	s_mov_b32 s41, exec_lo
	v_cmpx_gt_u32_e32 8, v82
; %bb.222:                              ;   in Loop: Header=BB222_10 Depth=1
	s_delay_alu instid0(VALU_DEP_3) | instskip(NEXT) | instid1(VALU_DEP_1)
	v_clz_i32_u32_e32 v79, v31
	v_min_u32_e32 v79, 32, v79
	s_delay_alu instid0(VALU_DEP_1) | instskip(SKIP_1) | instid1(VALU_DEP_2)
	v_subrev_nc_u32_e32 v82, 28, v79
	v_sub_nc_u32_e32 v79, 29, v79
	v_lshlrev_b64 v[82:83], v82, v[31:32]
	s_delay_alu instid0(VALU_DEP_1)
	v_and_b32_e32 v31, 7, v82
; %bb.223:                              ;   in Loop: Header=BB222_10 Depth=1
	s_or_b32 exec_lo, exec_lo, s41
	v_lshlrev_b32_e32 v81, 24, v81
	s_delay_alu instid0(VALU_DEP_2) | instskip(SKIP_1) | instid1(VALU_DEP_3)
	v_lshlrev_b32_e32 v31, 20, v31
	v_lshl_add_u32 v79, v79, 23, 0x3c000000
	v_and_b32_e32 v81, 0x80000000, v81
	s_delay_alu instid0(VALU_DEP_1)
	v_or3_b32 v79, v31, v81, v79
.LBB222_224:                            ;   in Loop: Header=BB222_10 Depth=1
	s_or_b32 exec_lo, exec_lo, s40
.LBB222_225:                            ;   in Loop: Header=BB222_10 Depth=1
	s_delay_alu instid0(SALU_CYCLE_1)
	s_or_b32 exec_lo, exec_lo, s39
.LBB222_226:                            ;   in Loop: Header=BB222_10 Depth=1
	s_delay_alu instid0(SALU_CYCLE_1)
	s_or_b32 exec_lo, exec_lo, s3
	global_load_u8 v81, v[41:42], off offset:12
	v_dual_mov_b32 v41, 0 :: v_dual_mov_b32 v42, 0
	s_mov_b32 s3, exec_lo
	s_waitcnt vmcnt(0)
	v_cmpx_ne_u16_e32 0, v81
	s_cbranch_execz .LBB222_234
; %bb.227:                              ;   in Loop: Header=BB222_10 Depth=1
	v_bfrev_b32_e32 v42, 1
	s_mov_b32 s39, exec_lo
	v_cmpx_ne_u16_e32 0x80, v81
	s_cbranch_execz .LBB222_233
; %bb.228:                              ;   in Loop: Header=BB222_10 Depth=1
	v_and_b32_e32 v31, 0xffff, v81
	v_mov_b32_e32 v42, 0x7f800001
	s_mov_b32 s40, exec_lo
	s_delay_alu instid0(VALU_DEP_2) | instskip(NEXT) | instid1(VALU_DEP_1)
	v_and_b32_e32 v82, 0x7f, v31
	v_cmpx_ne_u32_e32 0x7f, v82
	s_cbranch_execz .LBB222_232
; %bb.229:                              ;   in Loop: Header=BB222_10 Depth=1
	v_and_b32_e32 v31, 7, v31
	v_lshrrev_b32_e32 v42, 3, v82
	s_mov_b32 s41, exec_lo
	v_cmpx_gt_u32_e32 8, v82
; %bb.230:                              ;   in Loop: Header=BB222_10 Depth=1
	s_delay_alu instid0(VALU_DEP_3) | instskip(NEXT) | instid1(VALU_DEP_1)
	v_clz_i32_u32_e32 v42, v31
	v_min_u32_e32 v42, 32, v42
	s_delay_alu instid0(VALU_DEP_1) | instskip(SKIP_1) | instid1(VALU_DEP_2)
	v_subrev_nc_u32_e32 v82, 28, v42
	v_sub_nc_u32_e32 v42, 29, v42
	v_lshlrev_b64 v[82:83], v82, v[31:32]
	s_delay_alu instid0(VALU_DEP_1)
	v_and_b32_e32 v31, 7, v82
; %bb.231:                              ;   in Loop: Header=BB222_10 Depth=1
	s_or_b32 exec_lo, exec_lo, s41
	v_lshlrev_b32_e32 v81, 24, v81
	s_delay_alu instid0(VALU_DEP_2) | instskip(SKIP_1) | instid1(VALU_DEP_3)
	v_lshlrev_b32_e32 v31, 20, v31
	v_lshl_add_u32 v42, v42, 23, 0x3c000000
	v_and_b32_e32 v81, 0x80000000, v81
	s_delay_alu instid0(VALU_DEP_1)
	v_or3_b32 v42, v31, v81, v42
.LBB222_232:                            ;   in Loop: Header=BB222_10 Depth=1
	s_or_b32 exec_lo, exec_lo, s40
.LBB222_233:                            ;   in Loop: Header=BB222_10 Depth=1
	s_delay_alu instid0(SALU_CYCLE_1)
	s_or_b32 exec_lo, exec_lo, s39
.LBB222_234:                            ;   in Loop: Header=BB222_10 Depth=1
	s_delay_alu instid0(SALU_CYCLE_1)
	s_or_b32 exec_lo, exec_lo, s3
	global_load_u8 v81, v[39:40], off offset:896
	s_mov_b32 s3, exec_lo
	s_waitcnt vmcnt(0)
	v_cmpx_ne_u16_e32 0, v81
	s_cbranch_execz .LBB222_242
; %bb.235:                              ;   in Loop: Header=BB222_10 Depth=1
	v_bfrev_b32_e32 v41, 1
	s_mov_b32 s39, exec_lo
	v_cmpx_ne_u16_e32 0x80, v81
	s_cbranch_execz .LBB222_241
; %bb.236:                              ;   in Loop: Header=BB222_10 Depth=1
	v_and_b32_e32 v31, 0xffff, v81
	v_mov_b32_e32 v41, 0x7f800001
	s_mov_b32 s40, exec_lo
	s_delay_alu instid0(VALU_DEP_2) | instskip(NEXT) | instid1(VALU_DEP_1)
	v_and_b32_e32 v82, 0x7f, v31
	v_cmpx_ne_u32_e32 0x7f, v82
	s_cbranch_execz .LBB222_240
; %bb.237:                              ;   in Loop: Header=BB222_10 Depth=1
	v_and_b32_e32 v31, 7, v31
	v_lshrrev_b32_e32 v41, 3, v82
	s_mov_b32 s41, exec_lo
	v_cmpx_gt_u32_e32 8, v82
; %bb.238:                              ;   in Loop: Header=BB222_10 Depth=1
	s_delay_alu instid0(VALU_DEP_3) | instskip(NEXT) | instid1(VALU_DEP_1)
	v_clz_i32_u32_e32 v41, v31
	v_min_u32_e32 v41, 32, v41
	s_delay_alu instid0(VALU_DEP_1) | instskip(SKIP_1) | instid1(VALU_DEP_2)
	v_subrev_nc_u32_e32 v82, 28, v41
	v_sub_nc_u32_e32 v41, 29, v41
	v_lshlrev_b64 v[82:83], v82, v[31:32]
	s_delay_alu instid0(VALU_DEP_1)
	v_and_b32_e32 v31, 7, v82
; %bb.239:                              ;   in Loop: Header=BB222_10 Depth=1
	s_or_b32 exec_lo, exec_lo, s41
	v_lshlrev_b32_e32 v81, 24, v81
	s_delay_alu instid0(VALU_DEP_2) | instskip(SKIP_1) | instid1(VALU_DEP_3)
	v_lshlrev_b32_e32 v31, 20, v31
	v_lshl_add_u32 v41, v41, 23, 0x3c000000
	v_and_b32_e32 v81, 0x80000000, v81
	s_delay_alu instid0(VALU_DEP_1)
	v_or3_b32 v41, v31, v81, v41
.LBB222_240:                            ;   in Loop: Header=BB222_10 Depth=1
	s_or_b32 exec_lo, exec_lo, s40
.LBB222_241:                            ;   in Loop: Header=BB222_10 Depth=1
	s_delay_alu instid0(SALU_CYCLE_1)
	s_or_b32 exec_lo, exec_lo, s39
.LBB222_242:                            ;   in Loop: Header=BB222_10 Depth=1
	s_delay_alu instid0(SALU_CYCLE_1)
	s_or_b32 exec_lo, exec_lo, s3
	global_load_u8 v39, v[39:40], off offset:900
	v_mov_b32_e32 v31, 0
	s_mov_b32 s3, exec_lo
	s_waitcnt vmcnt(0)
	v_cmpx_ne_u16_e32 0, v39
	s_cbranch_execz .LBB222_250
; %bb.243:                              ;   in Loop: Header=BB222_10 Depth=1
	v_bfrev_b32_e32 v31, 1
	s_mov_b32 s39, exec_lo
	v_cmpx_ne_u16_e32 0x80, v39
	s_cbranch_execz .LBB222_249
; %bb.244:                              ;   in Loop: Header=BB222_10 Depth=1
	v_and_b32_e32 v40, 0xffff, v39
	v_mov_b32_e32 v31, 0x7f800001
	s_mov_b32 s40, exec_lo
	s_delay_alu instid0(VALU_DEP_2) | instskip(NEXT) | instid1(VALU_DEP_1)
	v_and_b32_e32 v81, 0x7f, v40
	v_cmpx_ne_u32_e32 0x7f, v81
	s_cbranch_execz .LBB222_248
; %bb.245:                              ;   in Loop: Header=BB222_10 Depth=1
	v_and_b32_e32 v31, 7, v40
	v_lshrrev_b32_e32 v40, 3, v81
	s_mov_b32 s41, exec_lo
	v_cmpx_gt_u32_e32 8, v81
; %bb.246:                              ;   in Loop: Header=BB222_10 Depth=1
	s_delay_alu instid0(VALU_DEP_3) | instskip(NEXT) | instid1(VALU_DEP_1)
	v_clz_i32_u32_e32 v40, v31
	v_min_u32_e32 v40, 32, v40
	s_delay_alu instid0(VALU_DEP_1) | instskip(SKIP_1) | instid1(VALU_DEP_2)
	v_subrev_nc_u32_e32 v81, 28, v40
	v_sub_nc_u32_e32 v40, 29, v40
	v_lshlrev_b64 v[81:82], v81, v[31:32]
	s_delay_alu instid0(VALU_DEP_1)
	v_and_b32_e32 v31, 7, v81
; %bb.247:                              ;   in Loop: Header=BB222_10 Depth=1
	s_or_b32 exec_lo, exec_lo, s41
	v_lshlrev_b32_e32 v39, 24, v39
	s_delay_alu instid0(VALU_DEP_2) | instskip(SKIP_1) | instid1(VALU_DEP_3)
	v_lshlrev_b32_e32 v31, 20, v31
	v_lshl_add_u32 v40, v40, 23, 0x3c000000
	v_and_b32_e32 v39, 0x80000000, v39
	s_delay_alu instid0(VALU_DEP_1)
	v_or3_b32 v31, v31, v39, v40
.LBB222_248:                            ;   in Loop: Header=BB222_10 Depth=1
	s_or_b32 exec_lo, exec_lo, s40
.LBB222_249:                            ;   in Loop: Header=BB222_10 Depth=1
	s_delay_alu instid0(SALU_CYCLE_1)
	s_or_b32 exec_lo, exec_lo, s39
.LBB222_250:                            ;   in Loop: Header=BB222_10 Depth=1
	s_delay_alu instid0(SALU_CYCLE_1) | instskip(SKIP_4) | instid1(VALU_DEP_3)
	s_or_b32 exec_lo, exec_lo, s3
	s_waitcnt lgkmcnt(0)
	v_dual_mul_f32 v39, s6, v56 :: v_dual_mul_f32 v40, s6, v54
	v_mul_f32_e32 v41, s6, v41
	v_mul_f32_e32 v31, s6, v31
	;; [unrolled: 1-line block ×3, first 2 shown]
	s_delay_alu instid0(VALU_DEP_1) | instskip(SKIP_1) | instid1(VALU_DEP_2)
	v_dual_mul_f32 v54, s6, v55 :: v_dual_fmac_f32 v39, v1, v40
	v_mul_f32_e32 v40, s6, v58
	v_dual_fmac_f32 v39, v3, v54 :: v_dual_mul_f32 v54, s6, v57
	s_delay_alu instid0(VALU_DEP_1) | instskip(NEXT) | instid1(VALU_DEP_1)
	v_fmac_f32_e32 v39, v4, v40
	v_dual_mul_f32 v40, s6, v60 :: v_dual_fmac_f32 v39, v5, v54
	s_delay_alu instid0(VALU_DEP_1) | instskip(SKIP_1) | instid1(VALU_DEP_2)
	v_dual_mul_f32 v54, s6, v59 :: v_dual_fmac_f32 v39, v6, v40
	v_mul_f32_e32 v40, s6, v62
	v_dual_fmac_f32 v39, v7, v54 :: v_dual_mul_f32 v54, s6, v61
	s_delay_alu instid0(VALU_DEP_1) | instskip(NEXT) | instid1(VALU_DEP_1)
	v_fmac_f32_e32 v39, v8, v40
	v_dual_mul_f32 v40, s6, v64 :: v_dual_fmac_f32 v39, v9, v54
	;; [unrolled: 7-line block ×6, first 2 shown]
	s_delay_alu instid0(VALU_DEP_1) | instskip(SKIP_1) | instid1(VALU_DEP_2)
	v_dual_mul_f32 v54, s6, v79 :: v_dual_fmac_f32 v39, v26, v40
	v_mul_f32_e32 v40, s6, v42
	v_fmac_f32_e32 v39, v27, v54
	s_delay_alu instid0(VALU_DEP_1) | instskip(NEXT) | instid1(VALU_DEP_1)
	v_fmac_f32_e32 v39, v28, v40
	v_fmac_f32_e32 v39, v35, v41
	s_delay_alu instid0(VALU_DEP_1)
	v_fmac_f32_e32 v39, v36, v31
	ds_bpermute_b32 v31, v49, v39
	s_waitcnt lgkmcnt(0)
	v_add_f32_e32 v31, v39, v31
	ds_bpermute_b32 v39, v50, v31
	s_and_saveexec_b32 s3, vcc_lo
	s_cbranch_execz .LBB222_9
; %bb.251:                              ;   in Loop: Header=BB222_10 Depth=1
	v_add_nc_u32_e32 v40, s8, v51
	v_cmp_gt_i32_e64 s1, s33, v51
	s_waitcnt lgkmcnt(0)
	v_add_f32_e32 v31, v31, v39
	s_delay_alu instid0(VALU_DEP_3) | instskip(NEXT) | instid1(VALU_DEP_1)
	v_cvt_f32_i32_e32 v40, v40
	v_mul_f32_e32 v40, s34, v40
	s_delay_alu instid0(VALU_DEP_1) | instskip(NEXT) | instid1(VALU_DEP_1)
	v_cndmask_b32_e64 v39, 0, v40, s0
	v_dual_max_f32 v40, v48, v48 :: v_dual_fmac_f32 v39, s35, v31
	s_delay_alu instid0(VALU_DEP_1) | instskip(SKIP_1) | instid1(VALU_DEP_2)
	v_max_f32_e32 v31, v40, v39
	v_cndmask_b32_e64 v39, 0, v39, s1
	v_cndmask_b32_e64 v48, v48, v31, s1
	ds_store_b32 v52, v39
	s_branch .LBB222_9
.LBB222_252:
	s_or_b32 exec_lo, exec_lo, s9
.LBB222_253:
	s_delay_alu instid0(SALU_CYCLE_1) | instskip(SKIP_4) | instid1(VALU_DEP_4)
	s_or_b32 exec_lo, exec_lo, s37
	v_xor_b32_e32 v1, 16, v45
	v_xor_b32_e32 v2, 8, v45
	v_lshlrev_b32_e32 v6, 2, v43
	v_max_f32_e32 v4, v48, v48
	v_cmp_lt_i32_e32 vcc_lo, v1, v47
	v_cndmask_b32_e32 v1, v45, v1, vcc_lo
	v_cmp_lt_i32_e32 vcc_lo, v2, v47
	s_delay_alu instid0(VALU_DEP_2) | instskip(SKIP_3) | instid1(VALU_DEP_1)
	v_dual_cndmask_b32 v2, v45, v2 :: v_dual_lshlrev_b32 v3, 2, v1
	ds_bpermute_b32 v1, v3, v48
	s_waitcnt lgkmcnt(0)
	v_max_f32_e32 v1, v1, v1
	v_max_f32_e32 v1, v4, v1
	v_xor_b32_e32 v4, 4, v45
	s_delay_alu instid0(VALU_DEP_1) | instskip(SKIP_1) | instid1(VALU_DEP_1)
	v_cmp_lt_i32_e32 vcc_lo, v4, v47
	v_dual_cndmask_b32 v4, v45, v4 :: v_dual_lshlrev_b32 v5, 2, v2
	v_lshlrev_b32_e32 v8, 2, v4
	ds_bpermute_b32 v2, v5, v1
	s_waitcnt lgkmcnt(0)
	v_max_f32_e32 v2, v2, v2
	s_delay_alu instid0(VALU_DEP_1)
	v_dual_max_f32 v2, v1, v2 :: v_dual_and_b32 v1, 31, v0
	ds_bpermute_b32 v4, v8, v2
	v_cmp_eq_u32_e32 vcc_lo, 0, v1
	s_and_saveexec_b32 s0, vcc_lo
	s_cbranch_execz .LBB222_255
; %bb.254:
	s_waitcnt lgkmcnt(0)
	v_max_f32_e32 v4, v4, v4
	v_max_f32_e32 v2, v2, v2
	s_delay_alu instid0(VALU_DEP_1)
	v_max_f32_e32 v2, v2, v4
	ds_store_b32 v6, v2 offset:480
.LBB222_255:
	s_or_b32 exec_lo, exec_lo, s0
	v_cmp_gt_u32_e64 s0, 4, v1
	v_dual_mov_b32 v2, 0xff7fffff :: v_dual_lshlrev_b32 v7, 2, v1
	s_waitcnt lgkmcnt(0)
	s_barrier
	buffer_gl0_inv
	s_and_saveexec_b32 s1, s0
	s_cbranch_execz .LBB222_257
; %bb.256:
	ds_load_b32 v2, v7 offset:480
.LBB222_257:
	s_or_b32 exec_lo, exec_lo, s1
	v_xor_b32_e32 v4, 2, v45
	v_xor_b32_e32 v10, 1, v45
	v_mov_b32_e32 v11, 0
	s_delay_alu instid0(VALU_DEP_3) | instskip(NEXT) | instid1(VALU_DEP_1)
	v_cmp_lt_i32_e64 s1, v4, v47
	v_cndmask_b32_e64 v4, v45, v4, s1
	s_delay_alu instid0(VALU_DEP_4) | instskip(NEXT) | instid1(VALU_DEP_2)
	v_cmp_lt_i32_e64 s1, v10, v47
	v_lshlrev_b32_e32 v9, 2, v4
	s_delay_alu instid0(VALU_DEP_2) | instskip(SKIP_1) | instid1(SALU_CYCLE_1)
	v_cndmask_b32_e64 v10, v45, v10, s1
	s_sub_i32 s1, s21, s7
	s_lshl_b32 s1, s1, 3
	s_waitcnt lgkmcnt(0)
	ds_bpermute_b32 v4, v9, v2
	v_max_f32_e32 v2, v2, v2
	v_lshlrev_b32_e32 v22, 2, v10
	v_lshlrev_b32_e32 v10, 2, v45
	s_add_i32 s1, s1, s36
	s_delay_alu instid0(SALU_CYCLE_1) | instskip(NEXT) | instid1(VALU_DEP_1)
	s_min_i32 s1, s1, s33
	v_and_b32_e32 v10, 0xffffff80, v10
	s_sub_i32 s6, s1, s36
	s_delay_alu instid0(SALU_CYCLE_1) | instskip(SKIP_2) | instid1(VALU_DEP_1)
	v_cmp_gt_i32_e64 s1, s6, v0
	s_waitcnt lgkmcnt(0)
	v_max_f32_e32 v4, v4, v4
	v_max_f32_e32 v2, v2, v4
	ds_bpermute_b32 v4, v22, v2
	s_waitcnt lgkmcnt(0)
	v_max_f32_e32 v4, v4, v4
	s_delay_alu instid0(VALU_DEP_1)
	v_max_f32_e32 v2, v2, v4
	v_lshl_add_u32 v4, v0, 2, 0x200
	ds_bpermute_b32 v2, v10, v2
	s_and_saveexec_b32 s7, s1
	s_cbranch_execz .LBB222_261
; %bb.258:
	v_lshl_add_u32 v12, v0, 2, 0x200
	v_mov_b32_e32 v11, 0
	v_mov_b32_e32 v13, v0
	s_mov_b32 s8, 0
	.p2align	6
.LBB222_259:                            ; =>This Inner Loop Header: Depth=1
	ds_load_b32 v14, v12
	v_add_nc_u32_e32 v13, 0x80, v13
	s_delay_alu instid0(VALU_DEP_1) | instskip(NEXT) | instid1(VALU_DEP_1)
	v_cmp_le_i32_e64 s3, s6, v13
	s_or_b32 s8, s3, s8
	s_waitcnt lgkmcnt(0)
	v_sub_f32_e32 v14, v14, v2
	s_delay_alu instid0(VALU_DEP_1) | instskip(NEXT) | instid1(VALU_DEP_1)
	v_mul_f32_e32 v14, 0x3fb8aa3b, v14
	v_exp_f32_e32 v14, v14
	ds_store_b32 v12, v14
	v_dual_add_f32 v11, v11, v14 :: v_dual_add_nc_u32 v12, 0x200, v12
	s_and_not1_b32 exec_lo, exec_lo, s8
	s_cbranch_execnz .LBB222_259
; %bb.260:
	s_or_b32 exec_lo, exec_lo, s8
.LBB222_261:
	s_delay_alu instid0(SALU_CYCLE_1)
	s_or_b32 exec_lo, exec_lo, s7
	ds_bpermute_b32 v3, v3, v11
	s_waitcnt lgkmcnt(0)
	v_add_f32_e32 v3, v11, v3
	ds_bpermute_b32 v5, v5, v3
	s_waitcnt lgkmcnt(0)
	v_add_f32_e32 v3, v3, v5
	;; [unrolled: 3-line block ×5, first 2 shown]
	s_and_saveexec_b32 s3, vcc_lo
	s_cbranch_execz .LBB222_263
; %bb.262:
	ds_store_b32 v6, v3 offset:496
.LBB222_263:
	s_or_b32 exec_lo, exec_lo, s3
	s_waitcnt lgkmcnt(0)
	s_barrier
	buffer_gl0_inv
	s_and_saveexec_b32 s3, s0
	s_cbranch_execz .LBB222_265
; %bb.264:
	ds_load_b32 v3, v7 offset:496
.LBB222_265:
	s_or_b32 exec_lo, exec_lo, s3
	s_waitcnt lgkmcnt(0)
	ds_bpermute_b32 v5, v9, v3
	s_waitcnt lgkmcnt(0)
	v_add_f32_e32 v3, v3, v5
	ds_bpermute_b32 v5, v22, v3
	s_waitcnt lgkmcnt(0)
	v_add_f32_e32 v3, v3, v5
	ds_bpermute_b32 v3, v10, v3
	s_and_saveexec_b32 s0, s1
	s_cbranch_execz .LBB222_268
; %bb.266:
	s_waitcnt lgkmcnt(0)
	v_add_f32_e32 v5, 0x358637bd, v3
	s_mov_b32 s1, 0
	s_delay_alu instid0(VALU_DEP_1) | instskip(SKIP_1) | instid1(VALU_DEP_2)
	v_div_scale_f32 v6, null, v5, v5, 1.0
	v_div_scale_f32 v9, vcc_lo, 1.0, v5, 1.0
	v_rcp_f32_e32 v7, v6
	s_waitcnt_depctr 0xfff
	v_fma_f32 v8, -v6, v7, 1.0
	s_delay_alu instid0(VALU_DEP_1) | instskip(NEXT) | instid1(VALU_DEP_1)
	v_fmac_f32_e32 v7, v8, v7
	v_mul_f32_e32 v8, v9, v7
	s_delay_alu instid0(VALU_DEP_1) | instskip(NEXT) | instid1(VALU_DEP_1)
	v_fma_f32 v10, -v6, v8, v9
	v_fmac_f32_e32 v8, v10, v7
	s_delay_alu instid0(VALU_DEP_1) | instskip(NEXT) | instid1(VALU_DEP_1)
	v_fma_f32 v6, -v6, v8, v9
	v_div_fmas_f32 v6, v6, v7, v8
	s_delay_alu instid0(VALU_DEP_1)
	v_div_fixup_f32 v5, v6, v5, 1.0
	v_mov_b32_e32 v6, v0
.LBB222_267:                            ; =>This Inner Loop Header: Depth=1
	ds_load_b32 v7, v4
	s_waitcnt lgkmcnt(0)
	v_dual_mul_f32 v7, v5, v7 :: v_dual_add_nc_u32 v6, 0x80, v6
	s_delay_alu instid0(VALU_DEP_1) | instskip(SKIP_3) | instid1(SALU_CYCLE_1)
	v_cmp_le_i32_e32 vcc_lo, s6, v6
	ds_store_b32 v4, v7
	v_add_nc_u32_e32 v4, 0x200, v4
	s_or_b32 s1, vcc_lo, s1
	s_and_not1_b32 exec_lo, exec_lo, s1
	s_cbranch_execnz .LBB222_267
.LBB222_268:
	s_or_b32 exec_lo, exec_lo, s0
	s_mul_i32 s0, s15, s14
	s_waitcnt lgkmcnt(0)
	s_mul_i32 s6, s0, s13
	s_mov_b32 s0, exec_lo
	s_barrier
	buffer_gl0_inv
	v_cmpx_eq_u32_e32 0, v0
	s_cbranch_execz .LBB222_270
; %bb.269:
	s_ashr_i32 s7, s6, 31
	s_mul_i32 s34, s15, s24
	s_lshl_b64 s[8:9], s[6:7], 2
	v_mov_b32_e32 v4, 0
	s_add_u32 s1, s18, s8
	s_addc_u32 s3, s19, s9
	s_ashr_i32 s35, s34, 31
	s_delay_alu instid0(SALU_CYCLE_1) | instskip(NEXT) | instid1(SALU_CYCLE_1)
	s_lshl_b64 s[18:19], s[34:35], 2
	s_add_u32 s1, s1, s18
	s_addc_u32 s3, s3, s19
	s_ashr_i32 s13, s12, 31
	s_delay_alu instid0(SALU_CYCLE_1) | instskip(NEXT) | instid1(SALU_CYCLE_1)
	s_lshl_b64 s[34:35], s[12:13], 2
	s_add_u32 s38, s1, s34
	s_addc_u32 s39, s3, s35
	s_add_u32 s1, s16, s8
	s_addc_u32 s3, s17, s9
	;; [unrolled: 2-line block ×4, first 2 shown]
	s_clause 0x1
	global_store_b32 v4, v2, s[38:39]
	global_store_b32 v4, v3, s[8:9]
.LBB222_270:
	s_or_b32 exec_lo, exec_lo, s0
	v_lshrrev_b32_e32 v21, 1, v1
                                        ; implicit-def: $sgpr0
	s_and_saveexec_b32 s1, s2
	s_delay_alu instid0(SALU_CYCLE_1)
	s_xor_b32 s1, exec_lo, s1
; %bb.271:
	v_lshrrev_b32_e32 v21, 1, v1
	s_mov_b32 s0, 0
                                        ; implicit-def: $vgpr29
                                        ; implicit-def: $vgpr44
; %bb.272:
	s_or_saveexec_b32 s7, s1
	v_dual_mov_b32 v24, s0 :: v_dual_and_b32 v23, 1, v0
	v_dual_mov_b32 v25, s0 :: v_dual_mov_b32 v26, s0
	v_dual_mov_b32 v27, s0 :: v_dual_mov_b32 v28, s0
	;; [unrolled: 1-line block ×3, first 2 shown]
	v_mov_b32_e32 v33, s0
	s_xor_b32 exec_lo, exec_lo, s7
	s_cbranch_execz .LBB222_550
; %bb.273:
	s_load_b32 s10, s[10:11], 0x0
	v_dual_mov_b32 v6, 0 :: v_dual_and_b32 v1, 4, v44
	v_or_b32_e32 v2, 0x70, v21
	v_lshl_add_u32 v4, v43, 3, s36
	v_dual_mov_b32 v32, 0 :: v_dual_lshlrev_b32 v3, 4, v23
	s_ashr_i32 s0, s25, 31
	v_lshl_or_b32 v34, v21, 3, v1
	v_cmp_gt_u32_e32 vcc_lo, 0x78, v2
	v_lshl_or_b32 v35, v2, 3, v1
	v_add3_u32 v36, v4, v1, 3
	v_lshlrev_b64 v[1:2], 2, v[29:30]
	s_add_u32 s2, s30, s25
	s_addc_u32 s3, s31, s0
	s_lshl_b64 s[0:1], s[28:29], 2
	s_add_i32 s14, s4, -1
	v_lshl_or_b32 v3, v43, 5, v3
	s_add_u32 s0, s26, s0
	s_addc_u32 s1, s27, s1
	v_add_co_u32 v7, s0, s0, v1
	s_delay_alu instid0(VALU_DEP_2)
	v_dual_mov_b32 v33, 0 :: v_dual_add_nc_u32 v30, 0x200, v3
	v_add_co_ci_u32_e64 v8, s0, s1, v2, s0
	v_dual_mov_b32 v31, 0 :: v_dual_mov_b32 v28, 0
	v_dual_mov_b32 v27, 0 :: v_dual_mov_b32 v26, 0
	;; [unrolled: 1-line block ×3, first 2 shown]
	s_mov_b32 s13, s5
	s_mov_b32 s4, 0
	s_brev_b32 s5, 1
	s_waitcnt lgkmcnt(0)
	s_mov_b32 s11, s10
	s_mov_b32 s9, 0x7f800001
	;; [unrolled: 1-line block ×3, first 2 shown]
	s_branch .LBB222_276
.LBB222_274:                            ;   in Loop: Header=BB222_276 Depth=1
	s_or_b32 exec_lo, exec_lo, s1
	s_waitcnt lgkmcnt(0)
	v_mul_f32_e32 v11, v2, v11
	s_delay_alu instid0(VALU_DEP_1) | instskip(NEXT) | instid1(VALU_DEP_1)
	v_fmac_f32_e32 v11, v1, v9
	v_fmac_f32_e32 v11, v3, v10
	s_delay_alu instid0(VALU_DEP_1) | instskip(NEXT) | instid1(VALU_DEP_1)
	v_fmac_f32_e32 v11, v4, v5
	v_add_f32_e32 v24, v24, v11
.LBB222_275:                            ;   in Loop: Header=BB222_276 Depth=1
	s_or_b32 exec_lo, exec_lo, s17
	s_waitcnt lgkmcnt(0)
	v_mul_f32_e32 v12, v2, v58
	v_mul_f32_e32 v9, v2, v46
	;; [unrolled: 1-line block ×4, first 2 shown]
	s_delay_alu instid0(VALU_DEP_4) | instskip(NEXT) | instid1(VALU_DEP_4)
	v_dual_mul_f32 v11, v2, v54 :: v_dual_fmac_f32 v12, v1, v57
	v_fmac_f32_e32 v9, v1, v45
	v_mul_f32_e32 v13, v2, v60
	v_mul_f32_e32 v2, v2, v62
	v_fmac_f32_e32 v10, v1, v49
	v_fmac_f32_e32 v5, v1, v39
	;; [unrolled: 1-line block ×3, first 2 shown]
	v_add_nc_u32_e32 v29, 4, v29
	v_fmac_f32_e32 v2, v1, v61
	v_dual_fmac_f32 v11, v1, v53 :: v_dual_fmac_f32 v10, v3, v48
	s_delay_alu instid0(VALU_DEP_4)
	v_fmac_f32_e32 v9, v4, v42
	v_fmac_f32_e32 v5, v3, v38
	;; [unrolled: 1-line block ×3, first 2 shown]
	v_cmp_le_i32_e64 s0, s21, v29
	v_fmac_f32_e32 v10, v4, v47
	v_dual_add_f32 v32, v32, v9 :: v_dual_fmac_f32 v13, v1, v59
	v_fmac_f32_e32 v2, v3, v18
	v_fmac_f32_e32 v11, v3, v52
	v_dual_fmac_f32 v5, v4, v37 :: v_dual_add_nc_u32 v36, 32, v36
	v_fmac_f32_e32 v12, v4, v55
	s_delay_alu instid0(VALU_DEP_4) | instskip(NEXT) | instid1(VALU_DEP_4)
	v_fmac_f32_e32 v2, v4, v17
	v_fmac_f32_e32 v11, v4, v51
	;; [unrolled: 1-line block ×3, first 2 shown]
	v_add_f32_e32 v33, v33, v5
	v_add_co_u32 v7, s1, v7, 16
	s_delay_alu instid0(VALU_DEP_4) | instskip(NEXT) | instid1(VALU_DEP_4)
	v_add_f32_e32 v28, v28, v11
	v_dual_fmac_f32 v13, v4, v19 :: v_dual_add_nc_u32 v30, 0x80, v30
	v_add_f32_e32 v31, v31, v10
	v_add_f32_e32 v27, v27, v12
	s_delay_alu instid0(VALU_DEP_3) | instskip(SKIP_2) | instid1(SALU_CYCLE_1)
	v_dual_add_f32 v25, v25, v2 :: v_dual_add_f32 v26, v26, v13
	v_add_co_ci_u32_e64 v8, s1, 0, v8, s1
	s_or_b32 s16, s0, s16
	s_and_not1_b32 exec_lo, exec_lo, s16
	s_cbranch_execz .LBB222_549
.LBB222_276:                            ; =>This Inner Loop Header: Depth=1
	global_load_b32 v1, v[7:8], off
	v_mov_b32_e32 v15, 0
	s_mov_b32 s1, exec_lo
	s_waitcnt vmcnt(0)
	v_mad_i64_i32 v[9:10], null, v1, s13, s[2:3]
	ds_load_b128 v[1:4], v30
	v_add_co_u32 v11, s0, v9, v34
	s_delay_alu instid0(VALU_DEP_1) | instskip(SKIP_3) | instid1(VALU_DEP_1)
	v_add_co_ci_u32_e64 v12, s0, 0, v10, s0
	global_load_b32 v37, v[11:12], off
	s_waitcnt vmcnt(0)
	v_dual_mov_b32 v16, 0 :: v_dual_and_b32 v5, 0xff, v37
	v_dual_mov_b32 v13, v15 :: v_dual_mov_b32 v14, v16
	s_delay_alu instid0(VALU_DEP_2)
	v_cmpx_ne_u16_e32 0, v5
	s_cbranch_execz .LBB222_284
; %bb.277:                              ;   in Loop: Header=BB222_276 Depth=1
	v_bfrev_b32_e32 v13, 1
	v_mov_b32_e32 v14, 0
	s_mov_b32 s8, exec_lo
	v_cmpx_ne_u16_e32 0x80, v5
	s_cbranch_execz .LBB222_283
; %bb.278:                              ;   in Loop: Header=BB222_276 Depth=1
	v_mov_b32_e32 v13, 0x7f800001
	v_dual_mov_b32 v14, 0 :: v_dual_and_b32 v17, 0x7f, v37
	s_mov_b32 s17, exec_lo
	s_delay_alu instid0(VALU_DEP_1)
	v_cmpx_ne_u32_e32 0x7f, v17
	s_cbranch_execz .LBB222_282
; %bb.279:                              ;   in Loop: Header=BB222_276 Depth=1
	v_and_b32_e32 v5, 7, v37
	v_lshrrev_b32_e32 v13, 3, v17
	s_mov_b32 s18, exec_lo
	v_cmpx_gt_u32_e32 8, v17
; %bb.280:                              ;   in Loop: Header=BB222_276 Depth=1
	s_delay_alu instid0(VALU_DEP_3) | instskip(NEXT) | instid1(VALU_DEP_1)
	v_clz_i32_u32_e32 v13, v5
	v_min_u32_e32 v13, 32, v13
	s_delay_alu instid0(VALU_DEP_1) | instskip(SKIP_1) | instid1(VALU_DEP_2)
	v_subrev_nc_u32_e32 v14, 28, v13
	v_sub_nc_u32_e32 v13, 29, v13
	v_lshlrev_b64 v[17:18], v14, v[5:6]
	s_delay_alu instid0(VALU_DEP_1)
	v_and_b32_e32 v5, 7, v17
; %bb.281:                              ;   in Loop: Header=BB222_276 Depth=1
	s_or_b32 exec_lo, exec_lo, s18
	v_lshlrev_b32_e32 v14, 24, v37
	s_delay_alu instid0(VALU_DEP_2) | instskip(SKIP_1) | instid1(VALU_DEP_3)
	v_lshlrev_b32_e32 v5, 20, v5
	v_lshl_add_u32 v13, v13, 23, 0x3c000000
	v_and_b32_e32 v14, 0x80000000, v14
	s_delay_alu instid0(VALU_DEP_1) | instskip(NEXT) | instid1(VALU_DEP_1)
	v_or3_b32 v5, v5, v14, v13
	v_dual_mov_b32 v14, v6 :: v_dual_mov_b32 v13, v5
.LBB222_282:                            ;   in Loop: Header=BB222_276 Depth=1
	s_or_b32 exec_lo, exec_lo, s17
.LBB222_283:                            ;   in Loop: Header=BB222_276 Depth=1
	s_delay_alu instid0(SALU_CYCLE_1)
	s_or_b32 exec_lo, exec_lo, s8
.LBB222_284:                            ;   in Loop: Header=BB222_276 Depth=1
	s_delay_alu instid0(SALU_CYCLE_1) | instskip(SKIP_2) | instid1(VALU_DEP_1)
	s_or_b32 exec_lo, exec_lo, s1
	v_lshrrev_b16 v5, 8, v37
	s_mov_b32 s1, exec_lo
	v_cmpx_ne_u16_e32 0, v5
	s_cbranch_execz .LBB222_292
; %bb.285:                              ;   in Loop: Header=BB222_276 Depth=1
	v_dual_mov_b32 v16, s5 :: v_dual_mov_b32 v15, s4
	s_mov_b32 s17, exec_lo
	v_cmpx_ne_u16_e32 0x80, v5
	s_cbranch_execz .LBB222_291
; %bb.286:                              ;   in Loop: Header=BB222_276 Depth=1
	s_mov_b32 s8, s4
	v_dual_mov_b32 v16, s9 :: v_dual_and_b32 v5, 0xffff, v5
	v_mov_b32_e32 v15, s8
	s_mov_b32 s8, exec_lo
	s_delay_alu instid0(VALU_DEP_2) | instskip(NEXT) | instid1(VALU_DEP_1)
	v_and_b32_e32 v17, 0x7f, v5
	v_cmpx_ne_u32_e32 0x7f, v17
	s_cbranch_execz .LBB222_290
; %bb.287:                              ;   in Loop: Header=BB222_276 Depth=1
	v_and_b32_e32 v5, 7, v5
	v_lshrrev_b32_e32 v15, 3, v17
	s_mov_b32 s18, exec_lo
	v_cmpx_gt_u32_e32 8, v17
; %bb.288:                              ;   in Loop: Header=BB222_276 Depth=1
	s_delay_alu instid0(VALU_DEP_3) | instskip(NEXT) | instid1(VALU_DEP_1)
	v_clz_i32_u32_e32 v15, v5
	v_min_u32_e32 v15, 32, v15
	s_delay_alu instid0(VALU_DEP_1) | instskip(SKIP_1) | instid1(VALU_DEP_2)
	v_subrev_nc_u32_e32 v16, 28, v15
	v_sub_nc_u32_e32 v15, 29, v15
	v_lshlrev_b64 v[16:17], v16, v[5:6]
	s_delay_alu instid0(VALU_DEP_1)
	v_and_b32_e32 v5, 7, v16
; %bb.289:                              ;   in Loop: Header=BB222_276 Depth=1
	s_or_b32 exec_lo, exec_lo, s18
	v_lshlrev_b32_e32 v16, 16, v37
	s_delay_alu instid0(VALU_DEP_2) | instskip(SKIP_1) | instid1(VALU_DEP_3)
	v_lshlrev_b32_e32 v5, 20, v5
	v_lshl_add_u32 v15, v15, 23, 0x3c000000
	v_and_b32_e32 v16, 0x80000000, v16
	s_delay_alu instid0(VALU_DEP_1)
	v_or3_b32 v16, v5, v16, v15
	v_mov_b32_e32 v15, v6
.LBB222_290:                            ;   in Loop: Header=BB222_276 Depth=1
	s_or_b32 exec_lo, exec_lo, s8
.LBB222_291:                            ;   in Loop: Header=BB222_276 Depth=1
	s_delay_alu instid0(SALU_CYCLE_1)
	s_or_b32 exec_lo, exec_lo, s17
.LBB222_292:                            ;   in Loop: Header=BB222_276 Depth=1
	s_delay_alu instid0(SALU_CYCLE_1) | instskip(SKIP_4) | instid1(VALU_DEP_2)
	s_or_b32 exec_lo, exec_lo, s1
	v_mov_b32_e32 v19, 0
	v_lshrrev_b32_e32 v38, 16, v37
	v_mov_b32_e32 v20, 0
	s_mov_b32 s1, exec_lo
	v_and_b32_e32 v5, 0xff, v38
	s_delay_alu instid0(VALU_DEP_2) | instskip(NEXT) | instid1(VALU_DEP_2)
	v_dual_mov_b32 v17, v19 :: v_dual_mov_b32 v18, v20
	v_cmpx_ne_u16_e32 0, v5
	s_cbranch_execz .LBB222_300
; %bb.293:                              ;   in Loop: Header=BB222_276 Depth=1
	v_bfrev_b32_e32 v17, 1
	v_mov_b32_e32 v18, 0
	s_mov_b32 s8, exec_lo
	v_cmpx_ne_u16_e32 0x80, v5
	s_cbranch_execz .LBB222_299
; %bb.294:                              ;   in Loop: Header=BB222_276 Depth=1
	v_mov_b32_e32 v17, 0x7f800001
	v_bfe_u32 v39, v37, 16, 7
	v_mov_b32_e32 v18, 0
	s_mov_b32 s17, exec_lo
	s_delay_alu instid0(VALU_DEP_2)
	v_cmpx_ne_u32_e32 0x7f, v39
	s_cbranch_execz .LBB222_298
; %bb.295:                              ;   in Loop: Header=BB222_276 Depth=1
	v_and_b32_e32 v5, 7, v38
	v_lshrrev_b32_e32 v17, 3, v39
	s_mov_b32 s18, exec_lo
	v_cmpx_gt_u32_e32 8, v39
; %bb.296:                              ;   in Loop: Header=BB222_276 Depth=1
	s_delay_alu instid0(VALU_DEP_3) | instskip(NEXT) | instid1(VALU_DEP_1)
	v_clz_i32_u32_e32 v17, v5
	v_min_u32_e32 v17, 32, v17
	s_delay_alu instid0(VALU_DEP_1) | instskip(SKIP_1) | instid1(VALU_DEP_2)
	v_subrev_nc_u32_e32 v18, 28, v17
	v_sub_nc_u32_e32 v17, 29, v17
	v_lshlrev_b64 v[39:40], v18, v[5:6]
	s_delay_alu instid0(VALU_DEP_1)
	v_and_b32_e32 v5, 7, v39
; %bb.297:                              ;   in Loop: Header=BB222_276 Depth=1
	s_or_b32 exec_lo, exec_lo, s18
	v_lshlrev_b32_e32 v18, 24, v38
	s_delay_alu instid0(VALU_DEP_2) | instskip(SKIP_1) | instid1(VALU_DEP_3)
	v_lshlrev_b32_e32 v5, 20, v5
	v_lshl_add_u32 v17, v17, 23, 0x3c000000
	v_and_b32_e32 v18, 0x80000000, v18
	s_delay_alu instid0(VALU_DEP_1) | instskip(NEXT) | instid1(VALU_DEP_1)
	v_or3_b32 v5, v5, v18, v17
	v_dual_mov_b32 v18, v6 :: v_dual_mov_b32 v17, v5
.LBB222_298:                            ;   in Loop: Header=BB222_276 Depth=1
	s_or_b32 exec_lo, exec_lo, s17
.LBB222_299:                            ;   in Loop: Header=BB222_276 Depth=1
	s_delay_alu instid0(SALU_CYCLE_1)
	s_or_b32 exec_lo, exec_lo, s8
.LBB222_300:                            ;   in Loop: Header=BB222_276 Depth=1
	s_delay_alu instid0(SALU_CYCLE_1) | instskip(NEXT) | instid1(SALU_CYCLE_1)
	s_or_b32 exec_lo, exec_lo, s1
	s_mov_b32 s1, exec_lo
	v_cmpx_lt_u32_e32 0xffffff, v37
	s_cbranch_execz .LBB222_308
; %bb.301:                              ;   in Loop: Header=BB222_276 Depth=1
	v_lshrrev_b32_e32 v38, 24, v37
	v_dual_mov_b32 v20, s5 :: v_dual_mov_b32 v19, s4
	s_mov_b32 s17, exec_lo
	s_delay_alu instid0(VALU_DEP_2)
	v_cmpx_ne_u32_e32 0x80, v38
	s_cbranch_execz .LBB222_307
; %bb.302:                              ;   in Loop: Header=BB222_276 Depth=1
	s_mov_b32 s8, s4
	v_bfe_u32 v37, v37, 24, 7
	v_dual_mov_b32 v20, s9 :: v_dual_mov_b32 v19, s8
	s_mov_b32 s8, exec_lo
	s_delay_alu instid0(VALU_DEP_2)
	v_cmpx_ne_u32_e32 0x7f, v37
	s_cbranch_execz .LBB222_306
; %bb.303:                              ;   in Loop: Header=BB222_276 Depth=1
	v_and_b32_e32 v5, 7, v38
	v_lshrrev_b32_e32 v19, 3, v37
	s_mov_b32 s18, exec_lo
	v_cmpx_gt_u32_e32 8, v37
; %bb.304:                              ;   in Loop: Header=BB222_276 Depth=1
	s_delay_alu instid0(VALU_DEP_3) | instskip(NEXT) | instid1(VALU_DEP_1)
	v_clz_i32_u32_e32 v19, v5
	v_min_u32_e32 v19, 32, v19
	s_delay_alu instid0(VALU_DEP_1) | instskip(SKIP_1) | instid1(VALU_DEP_2)
	v_subrev_nc_u32_e32 v20, 28, v19
	v_sub_nc_u32_e32 v19, 29, v19
	v_lshlrev_b64 v[39:40], v20, v[5:6]
	s_delay_alu instid0(VALU_DEP_1)
	v_and_b32_e32 v5, 7, v39
; %bb.305:                              ;   in Loop: Header=BB222_276 Depth=1
	s_or_b32 exec_lo, exec_lo, s18
	v_lshlrev_b32_e32 v20, 24, v38
	s_delay_alu instid0(VALU_DEP_2) | instskip(SKIP_1) | instid1(VALU_DEP_3)
	v_lshlrev_b32_e32 v5, 20, v5
	v_lshl_add_u32 v19, v19, 23, 0x3c000000
	v_and_b32_e32 v20, 0x80000000, v20
	s_delay_alu instid0(VALU_DEP_1)
	v_or3_b32 v20, v5, v20, v19
	v_mov_b32_e32 v19, v6
.LBB222_306:                            ;   in Loop: Header=BB222_276 Depth=1
	s_or_b32 exec_lo, exec_lo, s8
.LBB222_307:                            ;   in Loop: Header=BB222_276 Depth=1
	s_delay_alu instid0(SALU_CYCLE_1)
	s_or_b32 exec_lo, exec_lo, s17
.LBB222_308:                            ;   in Loop: Header=BB222_276 Depth=1
	s_delay_alu instid0(SALU_CYCLE_1) | instskip(SKIP_4) | instid1(VALU_DEP_4)
	s_or_b32 exec_lo, exec_lo, s1
	v_or_b32_e32 v5, v16, v14
	v_or_b32_e32 v13, v15, v13
	;; [unrolled: 1-line block ×4, first 2 shown]
	v_dual_mul_f32 v40, s11, v5 :: v_dual_add_nc_u32 v41, -3, v36
	v_cmp_eq_u32_e64 s0, s14, v29
	s_delay_alu instid0(VALU_DEP_3) | instskip(SKIP_1) | instid1(VALU_DEP_3)
	v_dual_mul_f32 v39, s10, v13 :: v_dual_mul_f32 v38, s10, v15
	v_mul_f32_e32 v37, s11, v14
	s_and_saveexec_b32 s8, s0
; %bb.309:                              ;   in Loop: Header=BB222_276 Depth=1
	v_add_nc_u32_e32 v5, -2, v36
	v_cmp_gt_i32_e64 s1, s33, v41
	v_add_nc_u32_e32 v13, -1, v36
	s_delay_alu instid0(VALU_DEP_2) | instskip(NEXT) | instid1(VALU_DEP_4)
	v_cndmask_b32_e64 v39, 0, v39, s1
	v_cmp_gt_i32_e64 s1, s33, v5
	s_delay_alu instid0(VALU_DEP_1) | instskip(NEXT) | instid1(VALU_DEP_4)
	v_cndmask_b32_e64 v40, 0, v40, s1
	v_cmp_gt_i32_e64 s1, s33, v13
	s_delay_alu instid0(VALU_DEP_1) | instskip(SKIP_1) | instid1(VALU_DEP_1)
	v_cndmask_b32_e64 v38, 0, v38, s1
	v_cmp_gt_i32_e64 s1, s33, v36
	v_cndmask_b32_e64 v37, 0, v37, s1
; %bb.310:                              ;   in Loop: Header=BB222_276 Depth=1
	s_or_b32 exec_lo, exec_lo, s8
	global_load_b32 v42, v[11:12], off offset:128
	v_mov_b32_e32 v15, 0
	v_mov_b32_e32 v16, 0
	s_mov_b32 s8, exec_lo
	s_waitcnt vmcnt(0)
	v_and_b32_e32 v5, 0xff, v42
	s_delay_alu instid0(VALU_DEP_2) | instskip(NEXT) | instid1(VALU_DEP_2)
	v_dual_mov_b32 v13, v15 :: v_dual_mov_b32 v14, v16
	v_cmpx_ne_u16_e32 0, v5
	s_cbranch_execz .LBB222_318
; %bb.311:                              ;   in Loop: Header=BB222_276 Depth=1
	v_bfrev_b32_e32 v13, 1
	v_mov_b32_e32 v14, 0
	s_mov_b32 s17, exec_lo
	v_cmpx_ne_u16_e32 0x80, v5
	s_cbranch_execz .LBB222_317
; %bb.312:                              ;   in Loop: Header=BB222_276 Depth=1
	v_mov_b32_e32 v13, 0x7f800001
	v_dual_mov_b32 v14, 0 :: v_dual_and_b32 v17, 0x7f, v42
	s_mov_b32 s18, exec_lo
	s_delay_alu instid0(VALU_DEP_1)
	v_cmpx_ne_u32_e32 0x7f, v17
	s_cbranch_execz .LBB222_316
; %bb.313:                              ;   in Loop: Header=BB222_276 Depth=1
	v_and_b32_e32 v5, 7, v42
	v_lshrrev_b32_e32 v13, 3, v17
	s_mov_b32 s19, exec_lo
	v_cmpx_gt_u32_e32 8, v17
; %bb.314:                              ;   in Loop: Header=BB222_276 Depth=1
	s_delay_alu instid0(VALU_DEP_3) | instskip(NEXT) | instid1(VALU_DEP_1)
	v_clz_i32_u32_e32 v13, v5
	v_min_u32_e32 v13, 32, v13
	s_delay_alu instid0(VALU_DEP_1) | instskip(SKIP_1) | instid1(VALU_DEP_2)
	v_subrev_nc_u32_e32 v14, 28, v13
	v_sub_nc_u32_e32 v13, 29, v13
	v_lshlrev_b64 v[17:18], v14, v[5:6]
	s_delay_alu instid0(VALU_DEP_1)
	v_and_b32_e32 v5, 7, v17
; %bb.315:                              ;   in Loop: Header=BB222_276 Depth=1
	s_or_b32 exec_lo, exec_lo, s19
	v_lshlrev_b32_e32 v14, 24, v42
	s_delay_alu instid0(VALU_DEP_2) | instskip(SKIP_1) | instid1(VALU_DEP_3)
	v_lshlrev_b32_e32 v5, 20, v5
	v_lshl_add_u32 v13, v13, 23, 0x3c000000
	v_and_b32_e32 v14, 0x80000000, v14
	s_delay_alu instid0(VALU_DEP_1) | instskip(NEXT) | instid1(VALU_DEP_1)
	v_or3_b32 v5, v5, v14, v13
	v_dual_mov_b32 v14, v6 :: v_dual_mov_b32 v13, v5
.LBB222_316:                            ;   in Loop: Header=BB222_276 Depth=1
	s_or_b32 exec_lo, exec_lo, s18
.LBB222_317:                            ;   in Loop: Header=BB222_276 Depth=1
	s_delay_alu instid0(SALU_CYCLE_1)
	s_or_b32 exec_lo, exec_lo, s17
.LBB222_318:                            ;   in Loop: Header=BB222_276 Depth=1
	s_delay_alu instid0(SALU_CYCLE_1) | instskip(SKIP_2) | instid1(VALU_DEP_1)
	s_or_b32 exec_lo, exec_lo, s8
	v_lshrrev_b16 v5, 8, v42
	s_mov_b32 s17, exec_lo
	v_cmpx_ne_u16_e32 0, v5
	s_cbranch_execz .LBB222_326
; %bb.319:                              ;   in Loop: Header=BB222_276 Depth=1
	v_dual_mov_b32 v16, s5 :: v_dual_mov_b32 v15, s4
	s_mov_b32 s18, exec_lo
	v_cmpx_ne_u16_e32 0x80, v5
	s_cbranch_execz .LBB222_325
; %bb.320:                              ;   in Loop: Header=BB222_276 Depth=1
	s_mov_b32 s8, s4
	v_dual_mov_b32 v16, s9 :: v_dual_and_b32 v5, 0xffff, v5
	v_mov_b32_e32 v15, s8
	s_mov_b32 s8, exec_lo
	s_delay_alu instid0(VALU_DEP_2) | instskip(NEXT) | instid1(VALU_DEP_1)
	v_and_b32_e32 v17, 0x7f, v5
	v_cmpx_ne_u32_e32 0x7f, v17
	s_cbranch_execz .LBB222_324
; %bb.321:                              ;   in Loop: Header=BB222_276 Depth=1
	v_and_b32_e32 v5, 7, v5
	v_lshrrev_b32_e32 v15, 3, v17
	s_mov_b32 s19, exec_lo
	v_cmpx_gt_u32_e32 8, v17
; %bb.322:                              ;   in Loop: Header=BB222_276 Depth=1
	s_delay_alu instid0(VALU_DEP_3) | instskip(NEXT) | instid1(VALU_DEP_1)
	v_clz_i32_u32_e32 v15, v5
	v_min_u32_e32 v15, 32, v15
	s_delay_alu instid0(VALU_DEP_1) | instskip(SKIP_1) | instid1(VALU_DEP_2)
	v_subrev_nc_u32_e32 v16, 28, v15
	v_sub_nc_u32_e32 v15, 29, v15
	v_lshlrev_b64 v[16:17], v16, v[5:6]
	s_delay_alu instid0(VALU_DEP_1)
	v_and_b32_e32 v5, 7, v16
; %bb.323:                              ;   in Loop: Header=BB222_276 Depth=1
	s_or_b32 exec_lo, exec_lo, s19
	v_lshlrev_b32_e32 v16, 16, v42
	s_delay_alu instid0(VALU_DEP_2) | instskip(SKIP_1) | instid1(VALU_DEP_3)
	v_lshlrev_b32_e32 v5, 20, v5
	v_lshl_add_u32 v15, v15, 23, 0x3c000000
	v_and_b32_e32 v16, 0x80000000, v16
	s_delay_alu instid0(VALU_DEP_1)
	v_or3_b32 v16, v5, v16, v15
	v_mov_b32_e32 v15, v6
.LBB222_324:                            ;   in Loop: Header=BB222_276 Depth=1
	s_or_b32 exec_lo, exec_lo, s8
.LBB222_325:                            ;   in Loop: Header=BB222_276 Depth=1
	s_delay_alu instid0(SALU_CYCLE_1)
	s_or_b32 exec_lo, exec_lo, s18
.LBB222_326:                            ;   in Loop: Header=BB222_276 Depth=1
	s_delay_alu instid0(SALU_CYCLE_1) | instskip(SKIP_4) | instid1(VALU_DEP_2)
	s_or_b32 exec_lo, exec_lo, s17
	v_mov_b32_e32 v19, 0
	v_lshrrev_b32_e32 v44, 16, v42
	v_mov_b32_e32 v20, 0
	s_mov_b32 s8, exec_lo
	v_and_b32_e32 v5, 0xff, v44
	s_delay_alu instid0(VALU_DEP_2) | instskip(NEXT) | instid1(VALU_DEP_2)
	v_dual_mov_b32 v17, v19 :: v_dual_mov_b32 v18, v20
	v_cmpx_ne_u16_e32 0, v5
	s_cbranch_execz .LBB222_334
; %bb.327:                              ;   in Loop: Header=BB222_276 Depth=1
	v_bfrev_b32_e32 v17, 1
	v_mov_b32_e32 v18, 0
	s_mov_b32 s17, exec_lo
	v_cmpx_ne_u16_e32 0x80, v5
	s_cbranch_execz .LBB222_333
; %bb.328:                              ;   in Loop: Header=BB222_276 Depth=1
	v_mov_b32_e32 v17, 0x7f800001
	v_bfe_u32 v45, v42, 16, 7
	v_mov_b32_e32 v18, 0
	s_mov_b32 s18, exec_lo
	s_delay_alu instid0(VALU_DEP_2)
	v_cmpx_ne_u32_e32 0x7f, v45
	s_cbranch_execz .LBB222_332
; %bb.329:                              ;   in Loop: Header=BB222_276 Depth=1
	v_and_b32_e32 v5, 7, v44
	v_lshrrev_b32_e32 v17, 3, v45
	s_mov_b32 s19, exec_lo
	v_cmpx_gt_u32_e32 8, v45
; %bb.330:                              ;   in Loop: Header=BB222_276 Depth=1
	s_delay_alu instid0(VALU_DEP_3) | instskip(NEXT) | instid1(VALU_DEP_1)
	v_clz_i32_u32_e32 v17, v5
	v_min_u32_e32 v17, 32, v17
	s_delay_alu instid0(VALU_DEP_1) | instskip(SKIP_1) | instid1(VALU_DEP_2)
	v_subrev_nc_u32_e32 v18, 28, v17
	v_sub_nc_u32_e32 v17, 29, v17
	v_lshlrev_b64 v[45:46], v18, v[5:6]
	s_delay_alu instid0(VALU_DEP_1)
	v_and_b32_e32 v5, 7, v45
; %bb.331:                              ;   in Loop: Header=BB222_276 Depth=1
	s_or_b32 exec_lo, exec_lo, s19
	v_lshlrev_b32_e32 v18, 24, v44
	s_delay_alu instid0(VALU_DEP_2) | instskip(SKIP_1) | instid1(VALU_DEP_3)
	v_lshlrev_b32_e32 v5, 20, v5
	v_lshl_add_u32 v17, v17, 23, 0x3c000000
	v_and_b32_e32 v18, 0x80000000, v18
	s_delay_alu instid0(VALU_DEP_1) | instskip(NEXT) | instid1(VALU_DEP_1)
	v_or3_b32 v5, v5, v18, v17
	v_dual_mov_b32 v18, v6 :: v_dual_mov_b32 v17, v5
.LBB222_332:                            ;   in Loop: Header=BB222_276 Depth=1
	s_or_b32 exec_lo, exec_lo, s18
.LBB222_333:                            ;   in Loop: Header=BB222_276 Depth=1
	s_delay_alu instid0(SALU_CYCLE_1)
	s_or_b32 exec_lo, exec_lo, s17
.LBB222_334:                            ;   in Loop: Header=BB222_276 Depth=1
	s_delay_alu instid0(SALU_CYCLE_1) | instskip(NEXT) | instid1(SALU_CYCLE_1)
	s_or_b32 exec_lo, exec_lo, s8
	s_mov_b32 s17, exec_lo
	v_cmpx_lt_u32_e32 0xffffff, v42
	s_cbranch_execz .LBB222_342
; %bb.335:                              ;   in Loop: Header=BB222_276 Depth=1
	v_lshrrev_b32_e32 v44, 24, v42
	v_dual_mov_b32 v20, s5 :: v_dual_mov_b32 v19, s4
	s_mov_b32 s18, exec_lo
	s_delay_alu instid0(VALU_DEP_2)
	v_cmpx_ne_u32_e32 0x80, v44
	s_cbranch_execz .LBB222_341
; %bb.336:                              ;   in Loop: Header=BB222_276 Depth=1
	s_mov_b32 s8, s4
	v_bfe_u32 v42, v42, 24, 7
	v_dual_mov_b32 v20, s9 :: v_dual_mov_b32 v19, s8
	s_mov_b32 s8, exec_lo
	s_delay_alu instid0(VALU_DEP_2)
	v_cmpx_ne_u32_e32 0x7f, v42
	s_cbranch_execz .LBB222_340
; %bb.337:                              ;   in Loop: Header=BB222_276 Depth=1
	v_and_b32_e32 v5, 7, v44
	v_lshrrev_b32_e32 v19, 3, v42
	s_mov_b32 s19, exec_lo
	v_cmpx_gt_u32_e32 8, v42
; %bb.338:                              ;   in Loop: Header=BB222_276 Depth=1
	s_delay_alu instid0(VALU_DEP_3) | instskip(NEXT) | instid1(VALU_DEP_1)
	v_clz_i32_u32_e32 v19, v5
	v_min_u32_e32 v19, 32, v19
	s_delay_alu instid0(VALU_DEP_1) | instskip(SKIP_1) | instid1(VALU_DEP_2)
	v_subrev_nc_u32_e32 v20, 28, v19
	v_sub_nc_u32_e32 v19, 29, v19
	v_lshlrev_b64 v[45:46], v20, v[5:6]
	s_delay_alu instid0(VALU_DEP_1)
	v_and_b32_e32 v5, 7, v45
; %bb.339:                              ;   in Loop: Header=BB222_276 Depth=1
	s_or_b32 exec_lo, exec_lo, s19
	v_lshlrev_b32_e32 v20, 24, v44
	s_delay_alu instid0(VALU_DEP_2) | instskip(SKIP_1) | instid1(VALU_DEP_3)
	v_lshlrev_b32_e32 v5, 20, v5
	v_lshl_add_u32 v19, v19, 23, 0x3c000000
	v_and_b32_e32 v20, 0x80000000, v20
	s_delay_alu instid0(VALU_DEP_1)
	v_or3_b32 v20, v5, v20, v19
	v_mov_b32_e32 v19, v6
.LBB222_340:                            ;   in Loop: Header=BB222_276 Depth=1
	s_or_b32 exec_lo, exec_lo, s8
.LBB222_341:                            ;   in Loop: Header=BB222_276 Depth=1
	s_delay_alu instid0(SALU_CYCLE_1)
	s_or_b32 exec_lo, exec_lo, s18
.LBB222_342:                            ;   in Loop: Header=BB222_276 Depth=1
	s_delay_alu instid0(SALU_CYCLE_1) | instskip(SKIP_4) | instid1(VALU_DEP_4)
	s_or_b32 exec_lo, exec_lo, s17
	v_or_b32_e32 v5, v16, v14
	v_or_b32_e32 v13, v15, v13
	v_or_b32_e32 v14, v20, v18
	v_or_b32_e32 v15, v19, v17
	v_mul_f32_e32 v46, s11, v5
	s_delay_alu instid0(VALU_DEP_3) | instskip(NEXT) | instid1(VALU_DEP_3)
	v_dual_mul_f32 v45, s10, v13 :: v_dual_mul_f32 v42, s11, v14
	v_mul_f32_e32 v44, s10, v15
	s_and_saveexec_b32 s8, s0
; %bb.343:                              ;   in Loop: Header=BB222_276 Depth=1
	v_add_nc_u32_e32 v5, -2, v36
	v_cmp_gt_i32_e64 s1, s33, v41
	v_add_nc_u32_e32 v13, -1, v36
	s_delay_alu instid0(VALU_DEP_2) | instskip(NEXT) | instid1(VALU_DEP_4)
	v_cndmask_b32_e64 v45, 0, v45, s1
	v_cmp_gt_i32_e64 s1, s33, v5
	s_delay_alu instid0(VALU_DEP_1) | instskip(NEXT) | instid1(VALU_DEP_4)
	v_cndmask_b32_e64 v46, 0, v46, s1
	v_cmp_gt_i32_e64 s1, s33, v13
	s_delay_alu instid0(VALU_DEP_1) | instskip(SKIP_1) | instid1(VALU_DEP_1)
	v_cndmask_b32_e64 v44, 0, v44, s1
	v_cmp_gt_i32_e64 s1, s33, v36
	v_cndmask_b32_e64 v42, 0, v42, s1
; %bb.344:                              ;   in Loop: Header=BB222_276 Depth=1
	s_or_b32 exec_lo, exec_lo, s8
	global_load_b32 v47, v[11:12], off offset:256
	v_mov_b32_e32 v15, 0
	v_mov_b32_e32 v16, 0
	s_mov_b32 s8, exec_lo
	s_waitcnt vmcnt(0)
	v_and_b32_e32 v5, 0xff, v47
	s_delay_alu instid0(VALU_DEP_2) | instskip(NEXT) | instid1(VALU_DEP_2)
	v_dual_mov_b32 v13, v15 :: v_dual_mov_b32 v14, v16
	v_cmpx_ne_u16_e32 0, v5
	s_cbranch_execz .LBB222_352
; %bb.345:                              ;   in Loop: Header=BB222_276 Depth=1
	v_bfrev_b32_e32 v13, 1
	v_mov_b32_e32 v14, 0
	s_mov_b32 s17, exec_lo
	v_cmpx_ne_u16_e32 0x80, v5
	s_cbranch_execz .LBB222_351
; %bb.346:                              ;   in Loop: Header=BB222_276 Depth=1
	v_mov_b32_e32 v13, 0x7f800001
	v_dual_mov_b32 v14, 0 :: v_dual_and_b32 v17, 0x7f, v47
	s_mov_b32 s18, exec_lo
	s_delay_alu instid0(VALU_DEP_1)
	v_cmpx_ne_u32_e32 0x7f, v17
	s_cbranch_execz .LBB222_350
; %bb.347:                              ;   in Loop: Header=BB222_276 Depth=1
	v_and_b32_e32 v5, 7, v47
	v_lshrrev_b32_e32 v13, 3, v17
	s_mov_b32 s19, exec_lo
	v_cmpx_gt_u32_e32 8, v17
; %bb.348:                              ;   in Loop: Header=BB222_276 Depth=1
	s_delay_alu instid0(VALU_DEP_3) | instskip(NEXT) | instid1(VALU_DEP_1)
	v_clz_i32_u32_e32 v13, v5
	v_min_u32_e32 v13, 32, v13
	s_delay_alu instid0(VALU_DEP_1) | instskip(SKIP_1) | instid1(VALU_DEP_2)
	v_subrev_nc_u32_e32 v14, 28, v13
	v_sub_nc_u32_e32 v13, 29, v13
	v_lshlrev_b64 v[17:18], v14, v[5:6]
	s_delay_alu instid0(VALU_DEP_1)
	v_and_b32_e32 v5, 7, v17
; %bb.349:                              ;   in Loop: Header=BB222_276 Depth=1
	s_or_b32 exec_lo, exec_lo, s19
	v_lshlrev_b32_e32 v14, 24, v47
	s_delay_alu instid0(VALU_DEP_2) | instskip(SKIP_1) | instid1(VALU_DEP_3)
	v_lshlrev_b32_e32 v5, 20, v5
	v_lshl_add_u32 v13, v13, 23, 0x3c000000
	v_and_b32_e32 v14, 0x80000000, v14
	s_delay_alu instid0(VALU_DEP_1) | instskip(NEXT) | instid1(VALU_DEP_1)
	v_or3_b32 v5, v5, v14, v13
	v_dual_mov_b32 v14, v6 :: v_dual_mov_b32 v13, v5
.LBB222_350:                            ;   in Loop: Header=BB222_276 Depth=1
	s_or_b32 exec_lo, exec_lo, s18
.LBB222_351:                            ;   in Loop: Header=BB222_276 Depth=1
	s_delay_alu instid0(SALU_CYCLE_1)
	s_or_b32 exec_lo, exec_lo, s17
.LBB222_352:                            ;   in Loop: Header=BB222_276 Depth=1
	s_delay_alu instid0(SALU_CYCLE_1) | instskip(SKIP_2) | instid1(VALU_DEP_1)
	s_or_b32 exec_lo, exec_lo, s8
	v_lshrrev_b16 v5, 8, v47
	s_mov_b32 s17, exec_lo
	v_cmpx_ne_u16_e32 0, v5
	s_cbranch_execz .LBB222_360
; %bb.353:                              ;   in Loop: Header=BB222_276 Depth=1
	v_dual_mov_b32 v16, s5 :: v_dual_mov_b32 v15, s4
	s_mov_b32 s18, exec_lo
	v_cmpx_ne_u16_e32 0x80, v5
	s_cbranch_execz .LBB222_359
; %bb.354:                              ;   in Loop: Header=BB222_276 Depth=1
	s_mov_b32 s8, s4
	v_dual_mov_b32 v16, s9 :: v_dual_and_b32 v5, 0xffff, v5
	v_mov_b32_e32 v15, s8
	s_mov_b32 s8, exec_lo
	s_delay_alu instid0(VALU_DEP_2) | instskip(NEXT) | instid1(VALU_DEP_1)
	v_and_b32_e32 v17, 0x7f, v5
	v_cmpx_ne_u32_e32 0x7f, v17
	s_cbranch_execz .LBB222_358
; %bb.355:                              ;   in Loop: Header=BB222_276 Depth=1
	v_and_b32_e32 v5, 7, v5
	v_lshrrev_b32_e32 v15, 3, v17
	s_mov_b32 s19, exec_lo
	v_cmpx_gt_u32_e32 8, v17
; %bb.356:                              ;   in Loop: Header=BB222_276 Depth=1
	s_delay_alu instid0(VALU_DEP_3) | instskip(NEXT) | instid1(VALU_DEP_1)
	v_clz_i32_u32_e32 v15, v5
	v_min_u32_e32 v15, 32, v15
	s_delay_alu instid0(VALU_DEP_1) | instskip(SKIP_1) | instid1(VALU_DEP_2)
	v_subrev_nc_u32_e32 v16, 28, v15
	v_sub_nc_u32_e32 v15, 29, v15
	v_lshlrev_b64 v[16:17], v16, v[5:6]
	s_delay_alu instid0(VALU_DEP_1)
	v_and_b32_e32 v5, 7, v16
; %bb.357:                              ;   in Loop: Header=BB222_276 Depth=1
	s_or_b32 exec_lo, exec_lo, s19
	v_lshlrev_b32_e32 v16, 16, v47
	s_delay_alu instid0(VALU_DEP_2) | instskip(SKIP_1) | instid1(VALU_DEP_3)
	v_lshlrev_b32_e32 v5, 20, v5
	v_lshl_add_u32 v15, v15, 23, 0x3c000000
	v_and_b32_e32 v16, 0x80000000, v16
	s_delay_alu instid0(VALU_DEP_1)
	v_or3_b32 v16, v5, v16, v15
	v_mov_b32_e32 v15, v6
.LBB222_358:                            ;   in Loop: Header=BB222_276 Depth=1
	s_or_b32 exec_lo, exec_lo, s8
.LBB222_359:                            ;   in Loop: Header=BB222_276 Depth=1
	s_delay_alu instid0(SALU_CYCLE_1)
	s_or_b32 exec_lo, exec_lo, s18
.LBB222_360:                            ;   in Loop: Header=BB222_276 Depth=1
	s_delay_alu instid0(SALU_CYCLE_1) | instskip(SKIP_4) | instid1(VALU_DEP_2)
	s_or_b32 exec_lo, exec_lo, s17
	v_mov_b32_e32 v19, 0
	v_lshrrev_b32_e32 v48, 16, v47
	v_mov_b32_e32 v20, 0
	s_mov_b32 s8, exec_lo
	v_and_b32_e32 v5, 0xff, v48
	s_delay_alu instid0(VALU_DEP_2) | instskip(NEXT) | instid1(VALU_DEP_2)
	v_dual_mov_b32 v17, v19 :: v_dual_mov_b32 v18, v20
	v_cmpx_ne_u16_e32 0, v5
	s_cbranch_execz .LBB222_368
; %bb.361:                              ;   in Loop: Header=BB222_276 Depth=1
	v_bfrev_b32_e32 v17, 1
	v_mov_b32_e32 v18, 0
	s_mov_b32 s17, exec_lo
	v_cmpx_ne_u16_e32 0x80, v5
	s_cbranch_execz .LBB222_367
; %bb.362:                              ;   in Loop: Header=BB222_276 Depth=1
	v_mov_b32_e32 v17, 0x7f800001
	v_bfe_u32 v49, v47, 16, 7
	v_mov_b32_e32 v18, 0
	s_mov_b32 s18, exec_lo
	s_delay_alu instid0(VALU_DEP_2)
	v_cmpx_ne_u32_e32 0x7f, v49
	s_cbranch_execz .LBB222_366
; %bb.363:                              ;   in Loop: Header=BB222_276 Depth=1
	v_and_b32_e32 v5, 7, v48
	v_lshrrev_b32_e32 v17, 3, v49
	s_mov_b32 s19, exec_lo
	v_cmpx_gt_u32_e32 8, v49
; %bb.364:                              ;   in Loop: Header=BB222_276 Depth=1
	s_delay_alu instid0(VALU_DEP_3) | instskip(NEXT) | instid1(VALU_DEP_1)
	v_clz_i32_u32_e32 v17, v5
	v_min_u32_e32 v17, 32, v17
	s_delay_alu instid0(VALU_DEP_1) | instskip(SKIP_1) | instid1(VALU_DEP_2)
	v_subrev_nc_u32_e32 v18, 28, v17
	v_sub_nc_u32_e32 v17, 29, v17
	v_lshlrev_b64 v[49:50], v18, v[5:6]
	s_delay_alu instid0(VALU_DEP_1)
	v_and_b32_e32 v5, 7, v49
; %bb.365:                              ;   in Loop: Header=BB222_276 Depth=1
	s_or_b32 exec_lo, exec_lo, s19
	v_lshlrev_b32_e32 v18, 24, v48
	s_delay_alu instid0(VALU_DEP_2) | instskip(SKIP_1) | instid1(VALU_DEP_3)
	v_lshlrev_b32_e32 v5, 20, v5
	v_lshl_add_u32 v17, v17, 23, 0x3c000000
	v_and_b32_e32 v18, 0x80000000, v18
	s_delay_alu instid0(VALU_DEP_1) | instskip(NEXT) | instid1(VALU_DEP_1)
	v_or3_b32 v5, v5, v18, v17
	v_dual_mov_b32 v18, v6 :: v_dual_mov_b32 v17, v5
.LBB222_366:                            ;   in Loop: Header=BB222_276 Depth=1
	s_or_b32 exec_lo, exec_lo, s18
.LBB222_367:                            ;   in Loop: Header=BB222_276 Depth=1
	s_delay_alu instid0(SALU_CYCLE_1)
	s_or_b32 exec_lo, exec_lo, s17
.LBB222_368:                            ;   in Loop: Header=BB222_276 Depth=1
	s_delay_alu instid0(SALU_CYCLE_1) | instskip(NEXT) | instid1(SALU_CYCLE_1)
	s_or_b32 exec_lo, exec_lo, s8
	s_mov_b32 s17, exec_lo
	v_cmpx_lt_u32_e32 0xffffff, v47
	s_cbranch_execz .LBB222_376
; %bb.369:                              ;   in Loop: Header=BB222_276 Depth=1
	v_lshrrev_b32_e32 v48, 24, v47
	v_dual_mov_b32 v20, s5 :: v_dual_mov_b32 v19, s4
	s_mov_b32 s18, exec_lo
	s_delay_alu instid0(VALU_DEP_2)
	v_cmpx_ne_u32_e32 0x80, v48
	s_cbranch_execz .LBB222_375
; %bb.370:                              ;   in Loop: Header=BB222_276 Depth=1
	s_mov_b32 s8, s4
	v_bfe_u32 v47, v47, 24, 7
	v_dual_mov_b32 v20, s9 :: v_dual_mov_b32 v19, s8
	s_mov_b32 s8, exec_lo
	s_delay_alu instid0(VALU_DEP_2)
	v_cmpx_ne_u32_e32 0x7f, v47
	s_cbranch_execz .LBB222_374
; %bb.371:                              ;   in Loop: Header=BB222_276 Depth=1
	v_and_b32_e32 v5, 7, v48
	v_lshrrev_b32_e32 v19, 3, v47
	s_mov_b32 s19, exec_lo
	v_cmpx_gt_u32_e32 8, v47
; %bb.372:                              ;   in Loop: Header=BB222_276 Depth=1
	s_delay_alu instid0(VALU_DEP_3) | instskip(NEXT) | instid1(VALU_DEP_1)
	v_clz_i32_u32_e32 v19, v5
	v_min_u32_e32 v19, 32, v19
	s_delay_alu instid0(VALU_DEP_1) | instskip(SKIP_1) | instid1(VALU_DEP_2)
	v_subrev_nc_u32_e32 v20, 28, v19
	v_sub_nc_u32_e32 v19, 29, v19
	v_lshlrev_b64 v[49:50], v20, v[5:6]
	s_delay_alu instid0(VALU_DEP_1)
	v_and_b32_e32 v5, 7, v49
; %bb.373:                              ;   in Loop: Header=BB222_276 Depth=1
	s_or_b32 exec_lo, exec_lo, s19
	v_lshlrev_b32_e32 v20, 24, v48
	s_delay_alu instid0(VALU_DEP_2) | instskip(SKIP_1) | instid1(VALU_DEP_3)
	v_lshlrev_b32_e32 v5, 20, v5
	v_lshl_add_u32 v19, v19, 23, 0x3c000000
	v_and_b32_e32 v20, 0x80000000, v20
	s_delay_alu instid0(VALU_DEP_1)
	v_or3_b32 v20, v5, v20, v19
	v_mov_b32_e32 v19, v6
.LBB222_374:                            ;   in Loop: Header=BB222_276 Depth=1
	s_or_b32 exec_lo, exec_lo, s8
.LBB222_375:                            ;   in Loop: Header=BB222_276 Depth=1
	s_delay_alu instid0(SALU_CYCLE_1)
	s_or_b32 exec_lo, exec_lo, s18
.LBB222_376:                            ;   in Loop: Header=BB222_276 Depth=1
	s_delay_alu instid0(SALU_CYCLE_1) | instskip(SKIP_4) | instid1(VALU_DEP_4)
	s_or_b32 exec_lo, exec_lo, s17
	v_or_b32_e32 v5, v16, v14
	v_or_b32_e32 v13, v15, v13
	;; [unrolled: 1-line block ×4, first 2 shown]
	v_mul_f32_e32 v50, s11, v5
	s_delay_alu instid0(VALU_DEP_4) | instskip(NEXT) | instid1(VALU_DEP_3)
	v_mul_f32_e32 v49, s10, v13
	v_dual_mul_f32 v47, s11, v14 :: v_dual_mul_f32 v48, s10, v15
	s_and_saveexec_b32 s8, s0
; %bb.377:                              ;   in Loop: Header=BB222_276 Depth=1
	v_add_nc_u32_e32 v5, -2, v36
	v_cmp_gt_i32_e64 s1, s33, v41
	v_add_nc_u32_e32 v13, -1, v36
	s_delay_alu instid0(VALU_DEP_2) | instskip(NEXT) | instid1(VALU_DEP_4)
	v_cndmask_b32_e64 v49, 0, v49, s1
	v_cmp_gt_i32_e64 s1, s33, v5
	s_delay_alu instid0(VALU_DEP_1) | instskip(NEXT) | instid1(VALU_DEP_4)
	v_cndmask_b32_e64 v50, 0, v50, s1
	v_cmp_gt_i32_e64 s1, s33, v13
	s_delay_alu instid0(VALU_DEP_1) | instskip(SKIP_1) | instid1(VALU_DEP_1)
	v_cndmask_b32_e64 v48, 0, v48, s1
	v_cmp_gt_i32_e64 s1, s33, v36
	v_cndmask_b32_e64 v47, 0, v47, s1
; %bb.378:                              ;   in Loop: Header=BB222_276 Depth=1
	s_or_b32 exec_lo, exec_lo, s8
	global_load_b32 v51, v[11:12], off offset:384
	v_mov_b32_e32 v15, 0
	v_mov_b32_e32 v16, 0
	s_mov_b32 s8, exec_lo
	s_waitcnt vmcnt(0)
	v_and_b32_e32 v5, 0xff, v51
	s_delay_alu instid0(VALU_DEP_2) | instskip(NEXT) | instid1(VALU_DEP_2)
	v_dual_mov_b32 v13, v15 :: v_dual_mov_b32 v14, v16
	v_cmpx_ne_u16_e32 0, v5
	s_cbranch_execz .LBB222_386
; %bb.379:                              ;   in Loop: Header=BB222_276 Depth=1
	v_bfrev_b32_e32 v13, 1
	v_mov_b32_e32 v14, 0
	s_mov_b32 s17, exec_lo
	v_cmpx_ne_u16_e32 0x80, v5
	s_cbranch_execz .LBB222_385
; %bb.380:                              ;   in Loop: Header=BB222_276 Depth=1
	v_mov_b32_e32 v13, 0x7f800001
	v_dual_mov_b32 v14, 0 :: v_dual_and_b32 v17, 0x7f, v51
	s_mov_b32 s18, exec_lo
	s_delay_alu instid0(VALU_DEP_1)
	v_cmpx_ne_u32_e32 0x7f, v17
	s_cbranch_execz .LBB222_384
; %bb.381:                              ;   in Loop: Header=BB222_276 Depth=1
	v_and_b32_e32 v5, 7, v51
	v_lshrrev_b32_e32 v13, 3, v17
	s_mov_b32 s19, exec_lo
	v_cmpx_gt_u32_e32 8, v17
; %bb.382:                              ;   in Loop: Header=BB222_276 Depth=1
	s_delay_alu instid0(VALU_DEP_3) | instskip(NEXT) | instid1(VALU_DEP_1)
	v_clz_i32_u32_e32 v13, v5
	v_min_u32_e32 v13, 32, v13
	s_delay_alu instid0(VALU_DEP_1) | instskip(SKIP_1) | instid1(VALU_DEP_2)
	v_subrev_nc_u32_e32 v14, 28, v13
	v_sub_nc_u32_e32 v13, 29, v13
	v_lshlrev_b64 v[17:18], v14, v[5:6]
	s_delay_alu instid0(VALU_DEP_1)
	v_and_b32_e32 v5, 7, v17
; %bb.383:                              ;   in Loop: Header=BB222_276 Depth=1
	s_or_b32 exec_lo, exec_lo, s19
	v_lshlrev_b32_e32 v14, 24, v51
	s_delay_alu instid0(VALU_DEP_2) | instskip(SKIP_1) | instid1(VALU_DEP_3)
	v_lshlrev_b32_e32 v5, 20, v5
	v_lshl_add_u32 v13, v13, 23, 0x3c000000
	v_and_b32_e32 v14, 0x80000000, v14
	s_delay_alu instid0(VALU_DEP_1) | instskip(NEXT) | instid1(VALU_DEP_1)
	v_or3_b32 v5, v5, v14, v13
	v_dual_mov_b32 v14, v6 :: v_dual_mov_b32 v13, v5
.LBB222_384:                            ;   in Loop: Header=BB222_276 Depth=1
	s_or_b32 exec_lo, exec_lo, s18
.LBB222_385:                            ;   in Loop: Header=BB222_276 Depth=1
	s_delay_alu instid0(SALU_CYCLE_1)
	s_or_b32 exec_lo, exec_lo, s17
.LBB222_386:                            ;   in Loop: Header=BB222_276 Depth=1
	s_delay_alu instid0(SALU_CYCLE_1) | instskip(SKIP_2) | instid1(VALU_DEP_1)
	s_or_b32 exec_lo, exec_lo, s8
	v_lshrrev_b16 v5, 8, v51
	s_mov_b32 s17, exec_lo
	v_cmpx_ne_u16_e32 0, v5
	s_cbranch_execz .LBB222_394
; %bb.387:                              ;   in Loop: Header=BB222_276 Depth=1
	v_dual_mov_b32 v16, s5 :: v_dual_mov_b32 v15, s4
	s_mov_b32 s18, exec_lo
	v_cmpx_ne_u16_e32 0x80, v5
	s_cbranch_execz .LBB222_393
; %bb.388:                              ;   in Loop: Header=BB222_276 Depth=1
	s_mov_b32 s8, s4
	v_dual_mov_b32 v16, s9 :: v_dual_and_b32 v5, 0xffff, v5
	v_mov_b32_e32 v15, s8
	s_mov_b32 s8, exec_lo
	s_delay_alu instid0(VALU_DEP_2) | instskip(NEXT) | instid1(VALU_DEP_1)
	v_and_b32_e32 v17, 0x7f, v5
	v_cmpx_ne_u32_e32 0x7f, v17
	s_cbranch_execz .LBB222_392
; %bb.389:                              ;   in Loop: Header=BB222_276 Depth=1
	v_and_b32_e32 v5, 7, v5
	v_lshrrev_b32_e32 v15, 3, v17
	s_mov_b32 s19, exec_lo
	v_cmpx_gt_u32_e32 8, v17
; %bb.390:                              ;   in Loop: Header=BB222_276 Depth=1
	s_delay_alu instid0(VALU_DEP_3) | instskip(NEXT) | instid1(VALU_DEP_1)
	v_clz_i32_u32_e32 v15, v5
	v_min_u32_e32 v15, 32, v15
	s_delay_alu instid0(VALU_DEP_1) | instskip(SKIP_1) | instid1(VALU_DEP_2)
	v_subrev_nc_u32_e32 v16, 28, v15
	v_sub_nc_u32_e32 v15, 29, v15
	v_lshlrev_b64 v[16:17], v16, v[5:6]
	s_delay_alu instid0(VALU_DEP_1)
	v_and_b32_e32 v5, 7, v16
; %bb.391:                              ;   in Loop: Header=BB222_276 Depth=1
	s_or_b32 exec_lo, exec_lo, s19
	v_lshlrev_b32_e32 v16, 16, v51
	s_delay_alu instid0(VALU_DEP_2) | instskip(SKIP_1) | instid1(VALU_DEP_3)
	v_lshlrev_b32_e32 v5, 20, v5
	v_lshl_add_u32 v15, v15, 23, 0x3c000000
	v_and_b32_e32 v16, 0x80000000, v16
	s_delay_alu instid0(VALU_DEP_1)
	v_or3_b32 v16, v5, v16, v15
	v_mov_b32_e32 v15, v6
.LBB222_392:                            ;   in Loop: Header=BB222_276 Depth=1
	s_or_b32 exec_lo, exec_lo, s8
.LBB222_393:                            ;   in Loop: Header=BB222_276 Depth=1
	s_delay_alu instid0(SALU_CYCLE_1)
	s_or_b32 exec_lo, exec_lo, s18
.LBB222_394:                            ;   in Loop: Header=BB222_276 Depth=1
	s_delay_alu instid0(SALU_CYCLE_1) | instskip(SKIP_4) | instid1(VALU_DEP_2)
	s_or_b32 exec_lo, exec_lo, s17
	v_mov_b32_e32 v19, 0
	v_lshrrev_b32_e32 v52, 16, v51
	v_mov_b32_e32 v20, 0
	s_mov_b32 s8, exec_lo
	v_and_b32_e32 v5, 0xff, v52
	s_delay_alu instid0(VALU_DEP_2) | instskip(NEXT) | instid1(VALU_DEP_2)
	v_dual_mov_b32 v17, v19 :: v_dual_mov_b32 v18, v20
	v_cmpx_ne_u16_e32 0, v5
	s_cbranch_execz .LBB222_402
; %bb.395:                              ;   in Loop: Header=BB222_276 Depth=1
	v_bfrev_b32_e32 v17, 1
	v_mov_b32_e32 v18, 0
	s_mov_b32 s17, exec_lo
	v_cmpx_ne_u16_e32 0x80, v5
	s_cbranch_execz .LBB222_401
; %bb.396:                              ;   in Loop: Header=BB222_276 Depth=1
	v_mov_b32_e32 v17, 0x7f800001
	v_bfe_u32 v53, v51, 16, 7
	v_mov_b32_e32 v18, 0
	s_mov_b32 s18, exec_lo
	s_delay_alu instid0(VALU_DEP_2)
	v_cmpx_ne_u32_e32 0x7f, v53
	s_cbranch_execz .LBB222_400
; %bb.397:                              ;   in Loop: Header=BB222_276 Depth=1
	v_and_b32_e32 v5, 7, v52
	v_lshrrev_b32_e32 v17, 3, v53
	s_mov_b32 s19, exec_lo
	v_cmpx_gt_u32_e32 8, v53
; %bb.398:                              ;   in Loop: Header=BB222_276 Depth=1
	s_delay_alu instid0(VALU_DEP_3) | instskip(NEXT) | instid1(VALU_DEP_1)
	v_clz_i32_u32_e32 v17, v5
	v_min_u32_e32 v17, 32, v17
	s_delay_alu instid0(VALU_DEP_1) | instskip(SKIP_1) | instid1(VALU_DEP_2)
	v_subrev_nc_u32_e32 v18, 28, v17
	v_sub_nc_u32_e32 v17, 29, v17
	v_lshlrev_b64 v[53:54], v18, v[5:6]
	s_delay_alu instid0(VALU_DEP_1)
	v_and_b32_e32 v5, 7, v53
; %bb.399:                              ;   in Loop: Header=BB222_276 Depth=1
	s_or_b32 exec_lo, exec_lo, s19
	v_lshlrev_b32_e32 v18, 24, v52
	s_delay_alu instid0(VALU_DEP_2) | instskip(SKIP_1) | instid1(VALU_DEP_3)
	v_lshlrev_b32_e32 v5, 20, v5
	v_lshl_add_u32 v17, v17, 23, 0x3c000000
	v_and_b32_e32 v18, 0x80000000, v18
	s_delay_alu instid0(VALU_DEP_1) | instskip(NEXT) | instid1(VALU_DEP_1)
	v_or3_b32 v5, v5, v18, v17
	v_dual_mov_b32 v18, v6 :: v_dual_mov_b32 v17, v5
.LBB222_400:                            ;   in Loop: Header=BB222_276 Depth=1
	s_or_b32 exec_lo, exec_lo, s18
.LBB222_401:                            ;   in Loop: Header=BB222_276 Depth=1
	s_delay_alu instid0(SALU_CYCLE_1)
	s_or_b32 exec_lo, exec_lo, s17
.LBB222_402:                            ;   in Loop: Header=BB222_276 Depth=1
	s_delay_alu instid0(SALU_CYCLE_1) | instskip(NEXT) | instid1(SALU_CYCLE_1)
	s_or_b32 exec_lo, exec_lo, s8
	s_mov_b32 s17, exec_lo
	v_cmpx_lt_u32_e32 0xffffff, v51
	s_cbranch_execz .LBB222_410
; %bb.403:                              ;   in Loop: Header=BB222_276 Depth=1
	v_lshrrev_b32_e32 v52, 24, v51
	v_dual_mov_b32 v20, s5 :: v_dual_mov_b32 v19, s4
	s_mov_b32 s18, exec_lo
	s_delay_alu instid0(VALU_DEP_2)
	v_cmpx_ne_u32_e32 0x80, v52
	s_cbranch_execz .LBB222_409
; %bb.404:                              ;   in Loop: Header=BB222_276 Depth=1
	s_mov_b32 s8, s4
	v_bfe_u32 v51, v51, 24, 7
	v_dual_mov_b32 v20, s9 :: v_dual_mov_b32 v19, s8
	s_mov_b32 s8, exec_lo
	s_delay_alu instid0(VALU_DEP_2)
	v_cmpx_ne_u32_e32 0x7f, v51
	s_cbranch_execz .LBB222_408
; %bb.405:                              ;   in Loop: Header=BB222_276 Depth=1
	v_and_b32_e32 v5, 7, v52
	v_lshrrev_b32_e32 v19, 3, v51
	s_mov_b32 s19, exec_lo
	v_cmpx_gt_u32_e32 8, v51
; %bb.406:                              ;   in Loop: Header=BB222_276 Depth=1
	s_delay_alu instid0(VALU_DEP_3) | instskip(NEXT) | instid1(VALU_DEP_1)
	v_clz_i32_u32_e32 v19, v5
	v_min_u32_e32 v19, 32, v19
	s_delay_alu instid0(VALU_DEP_1) | instskip(SKIP_1) | instid1(VALU_DEP_2)
	v_subrev_nc_u32_e32 v20, 28, v19
	v_sub_nc_u32_e32 v19, 29, v19
	v_lshlrev_b64 v[53:54], v20, v[5:6]
	s_delay_alu instid0(VALU_DEP_1)
	v_and_b32_e32 v5, 7, v53
; %bb.407:                              ;   in Loop: Header=BB222_276 Depth=1
	s_or_b32 exec_lo, exec_lo, s19
	v_lshlrev_b32_e32 v20, 24, v52
	s_delay_alu instid0(VALU_DEP_2) | instskip(SKIP_1) | instid1(VALU_DEP_3)
	v_lshlrev_b32_e32 v5, 20, v5
	v_lshl_add_u32 v19, v19, 23, 0x3c000000
	v_and_b32_e32 v20, 0x80000000, v20
	s_delay_alu instid0(VALU_DEP_1)
	v_or3_b32 v20, v5, v20, v19
	v_mov_b32_e32 v19, v6
.LBB222_408:                            ;   in Loop: Header=BB222_276 Depth=1
	s_or_b32 exec_lo, exec_lo, s8
.LBB222_409:                            ;   in Loop: Header=BB222_276 Depth=1
	s_delay_alu instid0(SALU_CYCLE_1)
	s_or_b32 exec_lo, exec_lo, s18
.LBB222_410:                            ;   in Loop: Header=BB222_276 Depth=1
	s_delay_alu instid0(SALU_CYCLE_1) | instskip(SKIP_4) | instid1(VALU_DEP_4)
	s_or_b32 exec_lo, exec_lo, s17
	v_or_b32_e32 v5, v16, v14
	v_or_b32_e32 v13, v15, v13
	;; [unrolled: 1-line block ×4, first 2 shown]
	v_mul_f32_e32 v54, s11, v5
	s_delay_alu instid0(VALU_DEP_4) | instskip(NEXT) | instid1(VALU_DEP_3)
	v_mul_f32_e32 v53, s10, v13
	v_dual_mul_f32 v51, s11, v14 :: v_dual_mul_f32 v52, s10, v15
	s_and_saveexec_b32 s8, s0
; %bb.411:                              ;   in Loop: Header=BB222_276 Depth=1
	v_add_nc_u32_e32 v5, -2, v36
	v_cmp_gt_i32_e64 s1, s33, v41
	v_add_nc_u32_e32 v13, -1, v36
	s_delay_alu instid0(VALU_DEP_2) | instskip(NEXT) | instid1(VALU_DEP_4)
	v_cndmask_b32_e64 v53, 0, v53, s1
	v_cmp_gt_i32_e64 s1, s33, v5
	s_delay_alu instid0(VALU_DEP_1) | instskip(NEXT) | instid1(VALU_DEP_4)
	v_cndmask_b32_e64 v54, 0, v54, s1
	v_cmp_gt_i32_e64 s1, s33, v13
	s_delay_alu instid0(VALU_DEP_1) | instskip(SKIP_1) | instid1(VALU_DEP_1)
	v_cndmask_b32_e64 v52, 0, v52, s1
	v_cmp_gt_i32_e64 s1, s33, v36
	v_cndmask_b32_e64 v51, 0, v51, s1
; %bb.412:                              ;   in Loop: Header=BB222_276 Depth=1
	s_or_b32 exec_lo, exec_lo, s8
	global_load_b32 v55, v[11:12], off offset:512
	v_mov_b32_e32 v15, 0
	v_mov_b32_e32 v16, 0
	s_mov_b32 s8, exec_lo
	s_waitcnt vmcnt(0)
	v_and_b32_e32 v5, 0xff, v55
	s_delay_alu instid0(VALU_DEP_2) | instskip(NEXT) | instid1(VALU_DEP_2)
	v_dual_mov_b32 v13, v15 :: v_dual_mov_b32 v14, v16
	v_cmpx_ne_u16_e32 0, v5
	s_cbranch_execz .LBB222_420
; %bb.413:                              ;   in Loop: Header=BB222_276 Depth=1
	v_bfrev_b32_e32 v13, 1
	v_mov_b32_e32 v14, 0
	s_mov_b32 s17, exec_lo
	v_cmpx_ne_u16_e32 0x80, v5
	s_cbranch_execz .LBB222_419
; %bb.414:                              ;   in Loop: Header=BB222_276 Depth=1
	v_mov_b32_e32 v13, 0x7f800001
	v_dual_mov_b32 v14, 0 :: v_dual_and_b32 v17, 0x7f, v55
	s_mov_b32 s18, exec_lo
	s_delay_alu instid0(VALU_DEP_1)
	v_cmpx_ne_u32_e32 0x7f, v17
	s_cbranch_execz .LBB222_418
; %bb.415:                              ;   in Loop: Header=BB222_276 Depth=1
	v_and_b32_e32 v5, 7, v55
	v_lshrrev_b32_e32 v13, 3, v17
	s_mov_b32 s19, exec_lo
	v_cmpx_gt_u32_e32 8, v17
; %bb.416:                              ;   in Loop: Header=BB222_276 Depth=1
	s_delay_alu instid0(VALU_DEP_3) | instskip(NEXT) | instid1(VALU_DEP_1)
	v_clz_i32_u32_e32 v13, v5
	v_min_u32_e32 v13, 32, v13
	s_delay_alu instid0(VALU_DEP_1) | instskip(SKIP_1) | instid1(VALU_DEP_2)
	v_subrev_nc_u32_e32 v14, 28, v13
	v_sub_nc_u32_e32 v13, 29, v13
	v_lshlrev_b64 v[17:18], v14, v[5:6]
	s_delay_alu instid0(VALU_DEP_1)
	v_and_b32_e32 v5, 7, v17
; %bb.417:                              ;   in Loop: Header=BB222_276 Depth=1
	s_or_b32 exec_lo, exec_lo, s19
	v_lshlrev_b32_e32 v14, 24, v55
	s_delay_alu instid0(VALU_DEP_2) | instskip(SKIP_1) | instid1(VALU_DEP_3)
	v_lshlrev_b32_e32 v5, 20, v5
	v_lshl_add_u32 v13, v13, 23, 0x3c000000
	v_and_b32_e32 v14, 0x80000000, v14
	s_delay_alu instid0(VALU_DEP_1) | instskip(NEXT) | instid1(VALU_DEP_1)
	v_or3_b32 v5, v5, v14, v13
	v_dual_mov_b32 v14, v6 :: v_dual_mov_b32 v13, v5
.LBB222_418:                            ;   in Loop: Header=BB222_276 Depth=1
	s_or_b32 exec_lo, exec_lo, s18
.LBB222_419:                            ;   in Loop: Header=BB222_276 Depth=1
	s_delay_alu instid0(SALU_CYCLE_1)
	s_or_b32 exec_lo, exec_lo, s17
.LBB222_420:                            ;   in Loop: Header=BB222_276 Depth=1
	s_delay_alu instid0(SALU_CYCLE_1) | instskip(SKIP_2) | instid1(VALU_DEP_1)
	s_or_b32 exec_lo, exec_lo, s8
	v_lshrrev_b16 v5, 8, v55
	s_mov_b32 s17, exec_lo
	v_cmpx_ne_u16_e32 0, v5
	s_cbranch_execz .LBB222_428
; %bb.421:                              ;   in Loop: Header=BB222_276 Depth=1
	v_dual_mov_b32 v16, s5 :: v_dual_mov_b32 v15, s4
	s_mov_b32 s18, exec_lo
	v_cmpx_ne_u16_e32 0x80, v5
	s_cbranch_execz .LBB222_427
; %bb.422:                              ;   in Loop: Header=BB222_276 Depth=1
	s_mov_b32 s8, s4
	v_dual_mov_b32 v16, s9 :: v_dual_and_b32 v5, 0xffff, v5
	v_mov_b32_e32 v15, s8
	s_mov_b32 s8, exec_lo
	s_delay_alu instid0(VALU_DEP_2) | instskip(NEXT) | instid1(VALU_DEP_1)
	v_and_b32_e32 v17, 0x7f, v5
	v_cmpx_ne_u32_e32 0x7f, v17
	s_cbranch_execz .LBB222_426
; %bb.423:                              ;   in Loop: Header=BB222_276 Depth=1
	v_and_b32_e32 v5, 7, v5
	v_lshrrev_b32_e32 v15, 3, v17
	s_mov_b32 s19, exec_lo
	v_cmpx_gt_u32_e32 8, v17
; %bb.424:                              ;   in Loop: Header=BB222_276 Depth=1
	s_delay_alu instid0(VALU_DEP_3) | instskip(NEXT) | instid1(VALU_DEP_1)
	v_clz_i32_u32_e32 v15, v5
	v_min_u32_e32 v15, 32, v15
	s_delay_alu instid0(VALU_DEP_1) | instskip(SKIP_1) | instid1(VALU_DEP_2)
	v_subrev_nc_u32_e32 v16, 28, v15
	v_sub_nc_u32_e32 v15, 29, v15
	v_lshlrev_b64 v[16:17], v16, v[5:6]
	s_delay_alu instid0(VALU_DEP_1)
	v_and_b32_e32 v5, 7, v16
; %bb.425:                              ;   in Loop: Header=BB222_276 Depth=1
	s_or_b32 exec_lo, exec_lo, s19
	v_lshlrev_b32_e32 v16, 16, v55
	s_delay_alu instid0(VALU_DEP_2) | instskip(SKIP_1) | instid1(VALU_DEP_3)
	v_lshlrev_b32_e32 v5, 20, v5
	v_lshl_add_u32 v15, v15, 23, 0x3c000000
	v_and_b32_e32 v16, 0x80000000, v16
	s_delay_alu instid0(VALU_DEP_1)
	v_or3_b32 v16, v5, v16, v15
	v_mov_b32_e32 v15, v6
.LBB222_426:                            ;   in Loop: Header=BB222_276 Depth=1
	s_or_b32 exec_lo, exec_lo, s8
.LBB222_427:                            ;   in Loop: Header=BB222_276 Depth=1
	s_delay_alu instid0(SALU_CYCLE_1)
	s_or_b32 exec_lo, exec_lo, s18
.LBB222_428:                            ;   in Loop: Header=BB222_276 Depth=1
	s_delay_alu instid0(SALU_CYCLE_1) | instskip(SKIP_4) | instid1(VALU_DEP_2)
	s_or_b32 exec_lo, exec_lo, s17
	v_mov_b32_e32 v19, 0
	v_lshrrev_b32_e32 v56, 16, v55
	v_mov_b32_e32 v20, 0
	s_mov_b32 s8, exec_lo
	v_and_b32_e32 v5, 0xff, v56
	s_delay_alu instid0(VALU_DEP_2) | instskip(NEXT) | instid1(VALU_DEP_2)
	v_dual_mov_b32 v17, v19 :: v_dual_mov_b32 v18, v20
	v_cmpx_ne_u16_e32 0, v5
	s_cbranch_execz .LBB222_436
; %bb.429:                              ;   in Loop: Header=BB222_276 Depth=1
	v_bfrev_b32_e32 v17, 1
	v_mov_b32_e32 v18, 0
	s_mov_b32 s17, exec_lo
	v_cmpx_ne_u16_e32 0x80, v5
	s_cbranch_execz .LBB222_435
; %bb.430:                              ;   in Loop: Header=BB222_276 Depth=1
	v_mov_b32_e32 v17, 0x7f800001
	v_bfe_u32 v57, v55, 16, 7
	v_mov_b32_e32 v18, 0
	s_mov_b32 s18, exec_lo
	s_delay_alu instid0(VALU_DEP_2)
	v_cmpx_ne_u32_e32 0x7f, v57
	s_cbranch_execz .LBB222_434
; %bb.431:                              ;   in Loop: Header=BB222_276 Depth=1
	v_and_b32_e32 v5, 7, v56
	v_lshrrev_b32_e32 v17, 3, v57
	s_mov_b32 s19, exec_lo
	v_cmpx_gt_u32_e32 8, v57
; %bb.432:                              ;   in Loop: Header=BB222_276 Depth=1
	s_delay_alu instid0(VALU_DEP_3) | instskip(NEXT) | instid1(VALU_DEP_1)
	v_clz_i32_u32_e32 v17, v5
	v_min_u32_e32 v17, 32, v17
	s_delay_alu instid0(VALU_DEP_1) | instskip(SKIP_1) | instid1(VALU_DEP_2)
	v_subrev_nc_u32_e32 v18, 28, v17
	v_sub_nc_u32_e32 v17, 29, v17
	v_lshlrev_b64 v[57:58], v18, v[5:6]
	s_delay_alu instid0(VALU_DEP_1)
	v_and_b32_e32 v5, 7, v57
; %bb.433:                              ;   in Loop: Header=BB222_276 Depth=1
	s_or_b32 exec_lo, exec_lo, s19
	v_lshlrev_b32_e32 v18, 24, v56
	s_delay_alu instid0(VALU_DEP_2) | instskip(SKIP_1) | instid1(VALU_DEP_3)
	v_lshlrev_b32_e32 v5, 20, v5
	v_lshl_add_u32 v17, v17, 23, 0x3c000000
	v_and_b32_e32 v18, 0x80000000, v18
	s_delay_alu instid0(VALU_DEP_1) | instskip(NEXT) | instid1(VALU_DEP_1)
	v_or3_b32 v5, v5, v18, v17
	v_dual_mov_b32 v18, v6 :: v_dual_mov_b32 v17, v5
.LBB222_434:                            ;   in Loop: Header=BB222_276 Depth=1
	s_or_b32 exec_lo, exec_lo, s18
.LBB222_435:                            ;   in Loop: Header=BB222_276 Depth=1
	s_delay_alu instid0(SALU_CYCLE_1)
	s_or_b32 exec_lo, exec_lo, s17
.LBB222_436:                            ;   in Loop: Header=BB222_276 Depth=1
	s_delay_alu instid0(SALU_CYCLE_1) | instskip(NEXT) | instid1(SALU_CYCLE_1)
	s_or_b32 exec_lo, exec_lo, s8
	s_mov_b32 s17, exec_lo
	v_cmpx_lt_u32_e32 0xffffff, v55
	s_cbranch_execz .LBB222_444
; %bb.437:                              ;   in Loop: Header=BB222_276 Depth=1
	v_lshrrev_b32_e32 v56, 24, v55
	v_dual_mov_b32 v20, s5 :: v_dual_mov_b32 v19, s4
	s_mov_b32 s18, exec_lo
	s_delay_alu instid0(VALU_DEP_2)
	v_cmpx_ne_u32_e32 0x80, v56
	s_cbranch_execz .LBB222_443
; %bb.438:                              ;   in Loop: Header=BB222_276 Depth=1
	s_mov_b32 s8, s4
	v_bfe_u32 v55, v55, 24, 7
	v_dual_mov_b32 v20, s9 :: v_dual_mov_b32 v19, s8
	s_mov_b32 s8, exec_lo
	s_delay_alu instid0(VALU_DEP_2)
	v_cmpx_ne_u32_e32 0x7f, v55
	s_cbranch_execz .LBB222_442
; %bb.439:                              ;   in Loop: Header=BB222_276 Depth=1
	v_and_b32_e32 v5, 7, v56
	v_lshrrev_b32_e32 v19, 3, v55
	s_mov_b32 s19, exec_lo
	v_cmpx_gt_u32_e32 8, v55
; %bb.440:                              ;   in Loop: Header=BB222_276 Depth=1
	s_delay_alu instid0(VALU_DEP_3) | instskip(NEXT) | instid1(VALU_DEP_1)
	v_clz_i32_u32_e32 v19, v5
	v_min_u32_e32 v19, 32, v19
	s_delay_alu instid0(VALU_DEP_1) | instskip(SKIP_1) | instid1(VALU_DEP_2)
	v_subrev_nc_u32_e32 v20, 28, v19
	v_sub_nc_u32_e32 v19, 29, v19
	v_lshlrev_b64 v[57:58], v20, v[5:6]
	s_delay_alu instid0(VALU_DEP_1)
	v_and_b32_e32 v5, 7, v57
; %bb.441:                              ;   in Loop: Header=BB222_276 Depth=1
	s_or_b32 exec_lo, exec_lo, s19
	v_lshlrev_b32_e32 v20, 24, v56
	s_delay_alu instid0(VALU_DEP_2) | instskip(SKIP_1) | instid1(VALU_DEP_3)
	v_lshlrev_b32_e32 v5, 20, v5
	v_lshl_add_u32 v19, v19, 23, 0x3c000000
	v_and_b32_e32 v20, 0x80000000, v20
	s_delay_alu instid0(VALU_DEP_1)
	v_or3_b32 v20, v5, v20, v19
	v_mov_b32_e32 v19, v6
.LBB222_442:                            ;   in Loop: Header=BB222_276 Depth=1
	s_or_b32 exec_lo, exec_lo, s8
.LBB222_443:                            ;   in Loop: Header=BB222_276 Depth=1
	s_delay_alu instid0(SALU_CYCLE_1)
	s_or_b32 exec_lo, exec_lo, s18
.LBB222_444:                            ;   in Loop: Header=BB222_276 Depth=1
	s_delay_alu instid0(SALU_CYCLE_1) | instskip(SKIP_4) | instid1(VALU_DEP_4)
	s_or_b32 exec_lo, exec_lo, s17
	v_or_b32_e32 v5, v16, v14
	v_or_b32_e32 v13, v15, v13
	;; [unrolled: 1-line block ×4, first 2 shown]
	v_mul_f32_e32 v58, s11, v5
	s_delay_alu instid0(VALU_DEP_4) | instskip(NEXT) | instid1(VALU_DEP_3)
	v_mul_f32_e32 v57, s10, v13
	v_dual_mul_f32 v55, s11, v14 :: v_dual_mul_f32 v56, s10, v15
	s_and_saveexec_b32 s8, s0
; %bb.445:                              ;   in Loop: Header=BB222_276 Depth=1
	v_add_nc_u32_e32 v5, -2, v36
	v_cmp_gt_i32_e64 s1, s33, v41
	v_add_nc_u32_e32 v13, -1, v36
	s_delay_alu instid0(VALU_DEP_2) | instskip(NEXT) | instid1(VALU_DEP_4)
	v_cndmask_b32_e64 v57, 0, v57, s1
	v_cmp_gt_i32_e64 s1, s33, v5
	s_delay_alu instid0(VALU_DEP_1) | instskip(NEXT) | instid1(VALU_DEP_4)
	v_cndmask_b32_e64 v58, 0, v58, s1
	v_cmp_gt_i32_e64 s1, s33, v13
	s_delay_alu instid0(VALU_DEP_1) | instskip(SKIP_1) | instid1(VALU_DEP_1)
	v_cndmask_b32_e64 v56, 0, v56, s1
	v_cmp_gt_i32_e64 s1, s33, v36
	v_cndmask_b32_e64 v55, 0, v55, s1
; %bb.446:                              ;   in Loop: Header=BB222_276 Depth=1
	s_or_b32 exec_lo, exec_lo, s8
	global_load_b32 v59, v[11:12], off offset:640
	v_mov_b32_e32 v15, 0
	v_mov_b32_e32 v16, 0
	s_mov_b32 s8, exec_lo
	s_waitcnt vmcnt(0)
	v_and_b32_e32 v5, 0xff, v59
	s_delay_alu instid0(VALU_DEP_2) | instskip(NEXT) | instid1(VALU_DEP_2)
	v_dual_mov_b32 v13, v15 :: v_dual_mov_b32 v14, v16
	v_cmpx_ne_u16_e32 0, v5
	s_cbranch_execz .LBB222_454
; %bb.447:                              ;   in Loop: Header=BB222_276 Depth=1
	v_bfrev_b32_e32 v13, 1
	v_mov_b32_e32 v14, 0
	s_mov_b32 s17, exec_lo
	v_cmpx_ne_u16_e32 0x80, v5
	s_cbranch_execz .LBB222_453
; %bb.448:                              ;   in Loop: Header=BB222_276 Depth=1
	v_mov_b32_e32 v13, 0x7f800001
	v_dual_mov_b32 v14, 0 :: v_dual_and_b32 v17, 0x7f, v59
	s_mov_b32 s18, exec_lo
	s_delay_alu instid0(VALU_DEP_1)
	v_cmpx_ne_u32_e32 0x7f, v17
	s_cbranch_execz .LBB222_452
; %bb.449:                              ;   in Loop: Header=BB222_276 Depth=1
	v_and_b32_e32 v5, 7, v59
	v_lshrrev_b32_e32 v13, 3, v17
	s_mov_b32 s19, exec_lo
	v_cmpx_gt_u32_e32 8, v17
; %bb.450:                              ;   in Loop: Header=BB222_276 Depth=1
	s_delay_alu instid0(VALU_DEP_3) | instskip(NEXT) | instid1(VALU_DEP_1)
	v_clz_i32_u32_e32 v13, v5
	v_min_u32_e32 v13, 32, v13
	s_delay_alu instid0(VALU_DEP_1) | instskip(SKIP_1) | instid1(VALU_DEP_2)
	v_subrev_nc_u32_e32 v14, 28, v13
	v_sub_nc_u32_e32 v13, 29, v13
	v_lshlrev_b64 v[17:18], v14, v[5:6]
	s_delay_alu instid0(VALU_DEP_1)
	v_and_b32_e32 v5, 7, v17
; %bb.451:                              ;   in Loop: Header=BB222_276 Depth=1
	s_or_b32 exec_lo, exec_lo, s19
	v_lshlrev_b32_e32 v14, 24, v59
	s_delay_alu instid0(VALU_DEP_2) | instskip(SKIP_1) | instid1(VALU_DEP_3)
	v_lshlrev_b32_e32 v5, 20, v5
	v_lshl_add_u32 v13, v13, 23, 0x3c000000
	v_and_b32_e32 v14, 0x80000000, v14
	s_delay_alu instid0(VALU_DEP_1) | instskip(NEXT) | instid1(VALU_DEP_1)
	v_or3_b32 v5, v5, v14, v13
	v_dual_mov_b32 v14, v6 :: v_dual_mov_b32 v13, v5
.LBB222_452:                            ;   in Loop: Header=BB222_276 Depth=1
	s_or_b32 exec_lo, exec_lo, s18
.LBB222_453:                            ;   in Loop: Header=BB222_276 Depth=1
	s_delay_alu instid0(SALU_CYCLE_1)
	s_or_b32 exec_lo, exec_lo, s17
.LBB222_454:                            ;   in Loop: Header=BB222_276 Depth=1
	s_delay_alu instid0(SALU_CYCLE_1) | instskip(SKIP_2) | instid1(VALU_DEP_1)
	s_or_b32 exec_lo, exec_lo, s8
	v_lshrrev_b16 v5, 8, v59
	s_mov_b32 s17, exec_lo
	v_cmpx_ne_u16_e32 0, v5
	s_cbranch_execz .LBB222_462
; %bb.455:                              ;   in Loop: Header=BB222_276 Depth=1
	v_dual_mov_b32 v16, s5 :: v_dual_mov_b32 v15, s4
	s_mov_b32 s18, exec_lo
	v_cmpx_ne_u16_e32 0x80, v5
	s_cbranch_execz .LBB222_461
; %bb.456:                              ;   in Loop: Header=BB222_276 Depth=1
	s_mov_b32 s8, s4
	v_dual_mov_b32 v16, s9 :: v_dual_and_b32 v5, 0xffff, v5
	v_mov_b32_e32 v15, s8
	s_mov_b32 s8, exec_lo
	s_delay_alu instid0(VALU_DEP_2) | instskip(NEXT) | instid1(VALU_DEP_1)
	v_and_b32_e32 v17, 0x7f, v5
	v_cmpx_ne_u32_e32 0x7f, v17
	s_cbranch_execz .LBB222_460
; %bb.457:                              ;   in Loop: Header=BB222_276 Depth=1
	v_and_b32_e32 v5, 7, v5
	v_lshrrev_b32_e32 v15, 3, v17
	s_mov_b32 s19, exec_lo
	v_cmpx_gt_u32_e32 8, v17
; %bb.458:                              ;   in Loop: Header=BB222_276 Depth=1
	s_delay_alu instid0(VALU_DEP_3) | instskip(NEXT) | instid1(VALU_DEP_1)
	v_clz_i32_u32_e32 v15, v5
	v_min_u32_e32 v15, 32, v15
	s_delay_alu instid0(VALU_DEP_1) | instskip(SKIP_1) | instid1(VALU_DEP_2)
	v_subrev_nc_u32_e32 v16, 28, v15
	v_sub_nc_u32_e32 v15, 29, v15
	v_lshlrev_b64 v[16:17], v16, v[5:6]
	s_delay_alu instid0(VALU_DEP_1)
	v_and_b32_e32 v5, 7, v16
; %bb.459:                              ;   in Loop: Header=BB222_276 Depth=1
	s_or_b32 exec_lo, exec_lo, s19
	v_lshlrev_b32_e32 v16, 16, v59
	s_delay_alu instid0(VALU_DEP_2) | instskip(SKIP_1) | instid1(VALU_DEP_3)
	v_lshlrev_b32_e32 v5, 20, v5
	v_lshl_add_u32 v15, v15, 23, 0x3c000000
	v_and_b32_e32 v16, 0x80000000, v16
	s_delay_alu instid0(VALU_DEP_1)
	v_or3_b32 v16, v5, v16, v15
	v_mov_b32_e32 v15, v6
.LBB222_460:                            ;   in Loop: Header=BB222_276 Depth=1
	s_or_b32 exec_lo, exec_lo, s8
.LBB222_461:                            ;   in Loop: Header=BB222_276 Depth=1
	s_delay_alu instid0(SALU_CYCLE_1)
	s_or_b32 exec_lo, exec_lo, s18
.LBB222_462:                            ;   in Loop: Header=BB222_276 Depth=1
	s_delay_alu instid0(SALU_CYCLE_1) | instskip(SKIP_4) | instid1(VALU_DEP_2)
	s_or_b32 exec_lo, exec_lo, s17
	v_mov_b32_e32 v19, 0
	v_lshrrev_b32_e32 v60, 16, v59
	v_mov_b32_e32 v20, 0
	s_mov_b32 s8, exec_lo
	v_and_b32_e32 v5, 0xff, v60
	s_delay_alu instid0(VALU_DEP_2) | instskip(NEXT) | instid1(VALU_DEP_2)
	v_dual_mov_b32 v17, v19 :: v_dual_mov_b32 v18, v20
	v_cmpx_ne_u16_e32 0, v5
	s_cbranch_execz .LBB222_470
; %bb.463:                              ;   in Loop: Header=BB222_276 Depth=1
	v_bfrev_b32_e32 v17, 1
	v_mov_b32_e32 v18, 0
	s_mov_b32 s17, exec_lo
	v_cmpx_ne_u16_e32 0x80, v5
	s_cbranch_execz .LBB222_469
; %bb.464:                              ;   in Loop: Header=BB222_276 Depth=1
	v_mov_b32_e32 v17, 0x7f800001
	v_bfe_u32 v61, v59, 16, 7
	v_mov_b32_e32 v18, 0
	s_mov_b32 s18, exec_lo
	s_delay_alu instid0(VALU_DEP_2)
	v_cmpx_ne_u32_e32 0x7f, v61
	s_cbranch_execz .LBB222_468
; %bb.465:                              ;   in Loop: Header=BB222_276 Depth=1
	v_and_b32_e32 v5, 7, v60
	v_lshrrev_b32_e32 v17, 3, v61
	s_mov_b32 s19, exec_lo
	v_cmpx_gt_u32_e32 8, v61
; %bb.466:                              ;   in Loop: Header=BB222_276 Depth=1
	s_delay_alu instid0(VALU_DEP_3) | instskip(NEXT) | instid1(VALU_DEP_1)
	v_clz_i32_u32_e32 v17, v5
	v_min_u32_e32 v17, 32, v17
	s_delay_alu instid0(VALU_DEP_1) | instskip(SKIP_1) | instid1(VALU_DEP_2)
	v_subrev_nc_u32_e32 v18, 28, v17
	v_sub_nc_u32_e32 v17, 29, v17
	v_lshlrev_b64 v[61:62], v18, v[5:6]
	s_delay_alu instid0(VALU_DEP_1)
	v_and_b32_e32 v5, 7, v61
; %bb.467:                              ;   in Loop: Header=BB222_276 Depth=1
	s_or_b32 exec_lo, exec_lo, s19
	v_lshlrev_b32_e32 v18, 24, v60
	s_delay_alu instid0(VALU_DEP_2) | instskip(SKIP_1) | instid1(VALU_DEP_3)
	v_lshlrev_b32_e32 v5, 20, v5
	v_lshl_add_u32 v17, v17, 23, 0x3c000000
	v_and_b32_e32 v18, 0x80000000, v18
	s_delay_alu instid0(VALU_DEP_1) | instskip(NEXT) | instid1(VALU_DEP_1)
	v_or3_b32 v5, v5, v18, v17
	v_dual_mov_b32 v18, v6 :: v_dual_mov_b32 v17, v5
.LBB222_468:                            ;   in Loop: Header=BB222_276 Depth=1
	s_or_b32 exec_lo, exec_lo, s18
.LBB222_469:                            ;   in Loop: Header=BB222_276 Depth=1
	s_delay_alu instid0(SALU_CYCLE_1)
	s_or_b32 exec_lo, exec_lo, s17
.LBB222_470:                            ;   in Loop: Header=BB222_276 Depth=1
	s_delay_alu instid0(SALU_CYCLE_1) | instskip(NEXT) | instid1(SALU_CYCLE_1)
	s_or_b32 exec_lo, exec_lo, s8
	s_mov_b32 s17, exec_lo
	v_cmpx_lt_u32_e32 0xffffff, v59
	s_cbranch_execz .LBB222_478
; %bb.471:                              ;   in Loop: Header=BB222_276 Depth=1
	v_lshrrev_b32_e32 v60, 24, v59
	v_dual_mov_b32 v20, s5 :: v_dual_mov_b32 v19, s4
	s_mov_b32 s18, exec_lo
	s_delay_alu instid0(VALU_DEP_2)
	v_cmpx_ne_u32_e32 0x80, v60
	s_cbranch_execz .LBB222_477
; %bb.472:                              ;   in Loop: Header=BB222_276 Depth=1
	s_mov_b32 s8, s4
	v_bfe_u32 v59, v59, 24, 7
	v_dual_mov_b32 v20, s9 :: v_dual_mov_b32 v19, s8
	s_mov_b32 s8, exec_lo
	s_delay_alu instid0(VALU_DEP_2)
	v_cmpx_ne_u32_e32 0x7f, v59
	s_cbranch_execz .LBB222_476
; %bb.473:                              ;   in Loop: Header=BB222_276 Depth=1
	v_and_b32_e32 v5, 7, v60
	v_lshrrev_b32_e32 v19, 3, v59
	s_mov_b32 s19, exec_lo
	v_cmpx_gt_u32_e32 8, v59
; %bb.474:                              ;   in Loop: Header=BB222_276 Depth=1
	s_delay_alu instid0(VALU_DEP_3) | instskip(NEXT) | instid1(VALU_DEP_1)
	v_clz_i32_u32_e32 v19, v5
	v_min_u32_e32 v19, 32, v19
	s_delay_alu instid0(VALU_DEP_1) | instskip(SKIP_1) | instid1(VALU_DEP_2)
	v_subrev_nc_u32_e32 v20, 28, v19
	v_sub_nc_u32_e32 v19, 29, v19
	v_lshlrev_b64 v[61:62], v20, v[5:6]
	s_delay_alu instid0(VALU_DEP_1)
	v_and_b32_e32 v5, 7, v61
; %bb.475:                              ;   in Loop: Header=BB222_276 Depth=1
	s_or_b32 exec_lo, exec_lo, s19
	v_lshlrev_b32_e32 v20, 24, v60
	s_delay_alu instid0(VALU_DEP_2) | instskip(SKIP_1) | instid1(VALU_DEP_3)
	v_lshlrev_b32_e32 v5, 20, v5
	v_lshl_add_u32 v19, v19, 23, 0x3c000000
	v_and_b32_e32 v20, 0x80000000, v20
	s_delay_alu instid0(VALU_DEP_1)
	v_or3_b32 v20, v5, v20, v19
	v_mov_b32_e32 v19, v6
.LBB222_476:                            ;   in Loop: Header=BB222_276 Depth=1
	s_or_b32 exec_lo, exec_lo, s8
.LBB222_477:                            ;   in Loop: Header=BB222_276 Depth=1
	s_delay_alu instid0(SALU_CYCLE_1)
	s_or_b32 exec_lo, exec_lo, s18
.LBB222_478:                            ;   in Loop: Header=BB222_276 Depth=1
	s_delay_alu instid0(SALU_CYCLE_1) | instskip(SKIP_4) | instid1(VALU_DEP_4)
	s_or_b32 exec_lo, exec_lo, s17
	v_or_b32_e32 v5, v16, v14
	v_or_b32_e32 v13, v15, v13
	v_or_b32_e32 v14, v20, v18
	v_or_b32_e32 v15, v19, v17
	v_mul_f32_e32 v60, s11, v5
	s_delay_alu instid0(VALU_DEP_4) | instskip(NEXT) | instid1(VALU_DEP_3)
	v_mul_f32_e32 v59, s10, v13
	v_dual_mul_f32 v19, s11, v14 :: v_dual_mul_f32 v20, s10, v15
	s_and_saveexec_b32 s8, s0
; %bb.479:                              ;   in Loop: Header=BB222_276 Depth=1
	v_add_nc_u32_e32 v5, -2, v36
	v_cmp_gt_i32_e64 s1, s33, v41
	v_add_nc_u32_e32 v13, -1, v36
	s_delay_alu instid0(VALU_DEP_2) | instskip(NEXT) | instid1(VALU_DEP_4)
	v_cndmask_b32_e64 v59, 0, v59, s1
	v_cmp_gt_i32_e64 s1, s33, v5
	s_delay_alu instid0(VALU_DEP_1) | instskip(NEXT) | instid1(VALU_DEP_4)
	v_cndmask_b32_e64 v60, 0, v60, s1
	v_cmp_gt_i32_e64 s1, s33, v13
	s_delay_alu instid0(VALU_DEP_1) | instskip(SKIP_1) | instid1(VALU_DEP_1)
	v_cndmask_b32_e64 v20, 0, v20, s1
	v_cmp_gt_i32_e64 s1, s33, v36
	v_cndmask_b32_e64 v19, 0, v19, s1
; %bb.480:                              ;   in Loop: Header=BB222_276 Depth=1
	s_or_b32 exec_lo, exec_lo, s8
	global_load_b32 v61, v[11:12], off offset:768
	v_mov_b32_e32 v13, 0
	v_mov_b32_e32 v14, 0
	s_mov_b32 s8, exec_lo
	s_waitcnt vmcnt(0)
	v_and_b32_e32 v5, 0xff, v61
	s_delay_alu instid0(VALU_DEP_2) | instskip(NEXT) | instid1(VALU_DEP_2)
	v_dual_mov_b32 v11, v13 :: v_dual_mov_b32 v12, v14
	v_cmpx_ne_u16_e32 0, v5
	s_cbranch_execz .LBB222_488
; %bb.481:                              ;   in Loop: Header=BB222_276 Depth=1
	v_bfrev_b32_e32 v11, 1
	v_mov_b32_e32 v12, 0
	s_mov_b32 s17, exec_lo
	v_cmpx_ne_u16_e32 0x80, v5
	s_cbranch_execz .LBB222_487
; %bb.482:                              ;   in Loop: Header=BB222_276 Depth=1
	v_mov_b32_e32 v11, 0x7f800001
	v_dual_mov_b32 v12, 0 :: v_dual_and_b32 v15, 0x7f, v61
	s_mov_b32 s18, exec_lo
	s_delay_alu instid0(VALU_DEP_1)
	v_cmpx_ne_u32_e32 0x7f, v15
	s_cbranch_execz .LBB222_486
; %bb.483:                              ;   in Loop: Header=BB222_276 Depth=1
	v_and_b32_e32 v5, 7, v61
	v_lshrrev_b32_e32 v11, 3, v15
	s_mov_b32 s19, exec_lo
	v_cmpx_gt_u32_e32 8, v15
; %bb.484:                              ;   in Loop: Header=BB222_276 Depth=1
	s_delay_alu instid0(VALU_DEP_3) | instskip(NEXT) | instid1(VALU_DEP_1)
	v_clz_i32_u32_e32 v11, v5
	v_min_u32_e32 v11, 32, v11
	s_delay_alu instid0(VALU_DEP_1) | instskip(SKIP_1) | instid1(VALU_DEP_2)
	v_subrev_nc_u32_e32 v12, 28, v11
	v_sub_nc_u32_e32 v11, 29, v11
	v_lshlrev_b64 v[15:16], v12, v[5:6]
	s_delay_alu instid0(VALU_DEP_1)
	v_and_b32_e32 v5, 7, v15
; %bb.485:                              ;   in Loop: Header=BB222_276 Depth=1
	s_or_b32 exec_lo, exec_lo, s19
	v_lshlrev_b32_e32 v12, 24, v61
	s_delay_alu instid0(VALU_DEP_2) | instskip(SKIP_1) | instid1(VALU_DEP_3)
	v_lshlrev_b32_e32 v5, 20, v5
	v_lshl_add_u32 v11, v11, 23, 0x3c000000
	v_and_b32_e32 v12, 0x80000000, v12
	s_delay_alu instid0(VALU_DEP_1) | instskip(NEXT) | instid1(VALU_DEP_1)
	v_or3_b32 v5, v5, v12, v11
	v_dual_mov_b32 v12, v6 :: v_dual_mov_b32 v11, v5
.LBB222_486:                            ;   in Loop: Header=BB222_276 Depth=1
	s_or_b32 exec_lo, exec_lo, s18
.LBB222_487:                            ;   in Loop: Header=BB222_276 Depth=1
	s_delay_alu instid0(SALU_CYCLE_1)
	s_or_b32 exec_lo, exec_lo, s17
.LBB222_488:                            ;   in Loop: Header=BB222_276 Depth=1
	s_delay_alu instid0(SALU_CYCLE_1) | instskip(SKIP_2) | instid1(VALU_DEP_1)
	s_or_b32 exec_lo, exec_lo, s8
	v_lshrrev_b16 v5, 8, v61
	s_mov_b32 s17, exec_lo
	v_cmpx_ne_u16_e32 0, v5
	s_cbranch_execz .LBB222_496
; %bb.489:                              ;   in Loop: Header=BB222_276 Depth=1
	v_dual_mov_b32 v14, s5 :: v_dual_mov_b32 v13, s4
	s_mov_b32 s18, exec_lo
	v_cmpx_ne_u16_e32 0x80, v5
	s_cbranch_execz .LBB222_495
; %bb.490:                              ;   in Loop: Header=BB222_276 Depth=1
	s_mov_b32 s8, s4
	v_dual_mov_b32 v14, s9 :: v_dual_and_b32 v5, 0xffff, v5
	v_mov_b32_e32 v13, s8
	s_mov_b32 s8, exec_lo
	s_delay_alu instid0(VALU_DEP_2) | instskip(NEXT) | instid1(VALU_DEP_1)
	v_and_b32_e32 v15, 0x7f, v5
	v_cmpx_ne_u32_e32 0x7f, v15
	s_cbranch_execz .LBB222_494
; %bb.491:                              ;   in Loop: Header=BB222_276 Depth=1
	v_and_b32_e32 v5, 7, v5
	v_lshrrev_b32_e32 v13, 3, v15
	s_mov_b32 s19, exec_lo
	v_cmpx_gt_u32_e32 8, v15
; %bb.492:                              ;   in Loop: Header=BB222_276 Depth=1
	s_delay_alu instid0(VALU_DEP_3) | instskip(NEXT) | instid1(VALU_DEP_1)
	v_clz_i32_u32_e32 v13, v5
	v_min_u32_e32 v13, 32, v13
	s_delay_alu instid0(VALU_DEP_1) | instskip(SKIP_1) | instid1(VALU_DEP_2)
	v_subrev_nc_u32_e32 v14, 28, v13
	v_sub_nc_u32_e32 v13, 29, v13
	v_lshlrev_b64 v[14:15], v14, v[5:6]
	s_delay_alu instid0(VALU_DEP_1)
	v_and_b32_e32 v5, 7, v14
; %bb.493:                              ;   in Loop: Header=BB222_276 Depth=1
	s_or_b32 exec_lo, exec_lo, s19
	v_lshlrev_b32_e32 v14, 16, v61
	s_delay_alu instid0(VALU_DEP_2) | instskip(SKIP_1) | instid1(VALU_DEP_3)
	v_lshlrev_b32_e32 v5, 20, v5
	v_lshl_add_u32 v13, v13, 23, 0x3c000000
	v_and_b32_e32 v14, 0x80000000, v14
	s_delay_alu instid0(VALU_DEP_1)
	v_or3_b32 v14, v5, v14, v13
	v_mov_b32_e32 v13, v6
.LBB222_494:                            ;   in Loop: Header=BB222_276 Depth=1
	s_or_b32 exec_lo, exec_lo, s8
.LBB222_495:                            ;   in Loop: Header=BB222_276 Depth=1
	s_delay_alu instid0(SALU_CYCLE_1)
	s_or_b32 exec_lo, exec_lo, s18
.LBB222_496:                            ;   in Loop: Header=BB222_276 Depth=1
	s_delay_alu instid0(SALU_CYCLE_1) | instskip(SKIP_4) | instid1(VALU_DEP_2)
	s_or_b32 exec_lo, exec_lo, s17
	v_mov_b32_e32 v17, 0
	v_lshrrev_b32_e32 v62, 16, v61
	v_mov_b32_e32 v18, 0
	s_mov_b32 s8, exec_lo
	v_and_b32_e32 v5, 0xff, v62
	s_delay_alu instid0(VALU_DEP_2) | instskip(NEXT) | instid1(VALU_DEP_2)
	v_dual_mov_b32 v15, v17 :: v_dual_mov_b32 v16, v18
	v_cmpx_ne_u16_e32 0, v5
	s_cbranch_execz .LBB222_504
; %bb.497:                              ;   in Loop: Header=BB222_276 Depth=1
	v_bfrev_b32_e32 v15, 1
	v_mov_b32_e32 v16, 0
	s_mov_b32 s17, exec_lo
	v_cmpx_ne_u16_e32 0x80, v5
	s_cbranch_execz .LBB222_503
; %bb.498:                              ;   in Loop: Header=BB222_276 Depth=1
	v_mov_b32_e32 v15, 0x7f800001
	v_bfe_u32 v63, v61, 16, 7
	v_mov_b32_e32 v16, 0
	s_mov_b32 s18, exec_lo
	s_delay_alu instid0(VALU_DEP_2)
	v_cmpx_ne_u32_e32 0x7f, v63
	s_cbranch_execz .LBB222_502
; %bb.499:                              ;   in Loop: Header=BB222_276 Depth=1
	v_and_b32_e32 v5, 7, v62
	v_lshrrev_b32_e32 v15, 3, v63
	s_mov_b32 s19, exec_lo
	v_cmpx_gt_u32_e32 8, v63
; %bb.500:                              ;   in Loop: Header=BB222_276 Depth=1
	s_delay_alu instid0(VALU_DEP_3) | instskip(NEXT) | instid1(VALU_DEP_1)
	v_clz_i32_u32_e32 v15, v5
	v_min_u32_e32 v15, 32, v15
	s_delay_alu instid0(VALU_DEP_1) | instskip(SKIP_1) | instid1(VALU_DEP_2)
	v_subrev_nc_u32_e32 v16, 28, v15
	v_sub_nc_u32_e32 v15, 29, v15
	v_lshlrev_b64 v[63:64], v16, v[5:6]
	s_delay_alu instid0(VALU_DEP_1)
	v_and_b32_e32 v5, 7, v63
; %bb.501:                              ;   in Loop: Header=BB222_276 Depth=1
	s_or_b32 exec_lo, exec_lo, s19
	v_lshlrev_b32_e32 v16, 24, v62
	s_delay_alu instid0(VALU_DEP_2) | instskip(SKIP_1) | instid1(VALU_DEP_3)
	v_lshlrev_b32_e32 v5, 20, v5
	v_lshl_add_u32 v15, v15, 23, 0x3c000000
	v_and_b32_e32 v16, 0x80000000, v16
	s_delay_alu instid0(VALU_DEP_1) | instskip(NEXT) | instid1(VALU_DEP_1)
	v_or3_b32 v5, v5, v16, v15
	v_dual_mov_b32 v16, v6 :: v_dual_mov_b32 v15, v5
.LBB222_502:                            ;   in Loop: Header=BB222_276 Depth=1
	s_or_b32 exec_lo, exec_lo, s18
.LBB222_503:                            ;   in Loop: Header=BB222_276 Depth=1
	s_delay_alu instid0(SALU_CYCLE_1)
	s_or_b32 exec_lo, exec_lo, s17
.LBB222_504:                            ;   in Loop: Header=BB222_276 Depth=1
	s_delay_alu instid0(SALU_CYCLE_1) | instskip(NEXT) | instid1(SALU_CYCLE_1)
	s_or_b32 exec_lo, exec_lo, s8
	s_mov_b32 s17, exec_lo
	v_cmpx_lt_u32_e32 0xffffff, v61
	s_cbranch_execz .LBB222_512
; %bb.505:                              ;   in Loop: Header=BB222_276 Depth=1
	v_lshrrev_b32_e32 v62, 24, v61
	v_dual_mov_b32 v18, s5 :: v_dual_mov_b32 v17, s4
	s_mov_b32 s18, exec_lo
	s_delay_alu instid0(VALU_DEP_2)
	v_cmpx_ne_u32_e32 0x80, v62
	s_cbranch_execz .LBB222_511
; %bb.506:                              ;   in Loop: Header=BB222_276 Depth=1
	s_mov_b32 s8, s4
	v_bfe_u32 v61, v61, 24, 7
	v_dual_mov_b32 v18, s9 :: v_dual_mov_b32 v17, s8
	s_mov_b32 s8, exec_lo
	s_delay_alu instid0(VALU_DEP_2)
	v_cmpx_ne_u32_e32 0x7f, v61
	s_cbranch_execz .LBB222_510
; %bb.507:                              ;   in Loop: Header=BB222_276 Depth=1
	v_and_b32_e32 v5, 7, v62
	v_lshrrev_b32_e32 v17, 3, v61
	s_mov_b32 s19, exec_lo
	v_cmpx_gt_u32_e32 8, v61
; %bb.508:                              ;   in Loop: Header=BB222_276 Depth=1
	s_delay_alu instid0(VALU_DEP_3) | instskip(NEXT) | instid1(VALU_DEP_1)
	v_clz_i32_u32_e32 v17, v5
	v_min_u32_e32 v17, 32, v17
	s_delay_alu instid0(VALU_DEP_1) | instskip(SKIP_1) | instid1(VALU_DEP_2)
	v_subrev_nc_u32_e32 v18, 28, v17
	v_sub_nc_u32_e32 v17, 29, v17
	v_lshlrev_b64 v[63:64], v18, v[5:6]
	s_delay_alu instid0(VALU_DEP_1)
	v_and_b32_e32 v5, 7, v63
; %bb.509:                              ;   in Loop: Header=BB222_276 Depth=1
	s_or_b32 exec_lo, exec_lo, s19
	v_lshlrev_b32_e32 v18, 24, v62
	s_delay_alu instid0(VALU_DEP_2) | instskip(SKIP_1) | instid1(VALU_DEP_3)
	v_lshlrev_b32_e32 v5, 20, v5
	v_lshl_add_u32 v17, v17, 23, 0x3c000000
	v_and_b32_e32 v18, 0x80000000, v18
	s_delay_alu instid0(VALU_DEP_1)
	v_or3_b32 v18, v5, v18, v17
	v_mov_b32_e32 v17, v6
.LBB222_510:                            ;   in Loop: Header=BB222_276 Depth=1
	s_or_b32 exec_lo, exec_lo, s8
.LBB222_511:                            ;   in Loop: Header=BB222_276 Depth=1
	s_delay_alu instid0(SALU_CYCLE_1)
	s_or_b32 exec_lo, exec_lo, s18
.LBB222_512:                            ;   in Loop: Header=BB222_276 Depth=1
	s_delay_alu instid0(SALU_CYCLE_1) | instskip(SKIP_4) | instid1(VALU_DEP_3)
	s_or_b32 exec_lo, exec_lo, s17
	v_or_b32_e32 v5, v14, v12
	v_or_b32_e32 v11, v13, v11
	;; [unrolled: 1-line block ×4, first 2 shown]
	v_dual_mul_f32 v62, s11, v5 :: v_dual_mul_f32 v61, s10, v11
	s_delay_alu instid0(VALU_DEP_2)
	v_dual_mul_f32 v17, s11, v12 :: v_dual_mul_f32 v18, s10, v13
	s_and_saveexec_b32 s8, s0
; %bb.513:                              ;   in Loop: Header=BB222_276 Depth=1
	v_add_nc_u32_e32 v5, -2, v36
	v_cmp_gt_i32_e64 s1, s33, v41
	v_add_nc_u32_e32 v11, -1, v36
	s_delay_alu instid0(VALU_DEP_2) | instskip(NEXT) | instid1(VALU_DEP_4)
	v_cndmask_b32_e64 v61, 0, v61, s1
	v_cmp_gt_i32_e64 s1, s33, v5
	s_delay_alu instid0(VALU_DEP_1) | instskip(NEXT) | instid1(VALU_DEP_4)
	v_cndmask_b32_e64 v62, 0, v62, s1
	v_cmp_gt_i32_e64 s1, s33, v11
	s_delay_alu instid0(VALU_DEP_1) | instskip(SKIP_1) | instid1(VALU_DEP_1)
	v_cndmask_b32_e64 v18, 0, v18, s1
	v_cmp_gt_i32_e64 s1, s33, v36
	v_cndmask_b32_e64 v17, 0, v17, s1
; %bb.514:                              ;   in Loop: Header=BB222_276 Depth=1
	s_or_b32 exec_lo, exec_lo, s8
	s_and_saveexec_b32 s17, vcc_lo
	s_cbranch_execz .LBB222_275
; %bb.515:                              ;   in Loop: Header=BB222_276 Depth=1
	v_add_co_u32 v9, s1, v9, v35
	s_delay_alu instid0(VALU_DEP_1)
	v_add_co_ci_u32_e64 v10, s1, 0, v10, s1
	v_mov_b32_e32 v11, 0
	s_mov_b32 s8, exec_lo
	global_load_b32 v63, v[9:10], off
	s_waitcnt vmcnt(0)
	v_dual_mov_b32 v12, 0 :: v_dual_and_b32 v5, 0xff, v63
	s_delay_alu instid0(VALU_DEP_1) | instskip(NEXT) | instid1(VALU_DEP_2)
	v_dual_mov_b32 v9, v11 :: v_dual_mov_b32 v10, v12
	v_cmpx_ne_u16_e32 0, v5
	s_cbranch_execz .LBB222_523
; %bb.516:                              ;   in Loop: Header=BB222_276 Depth=1
	v_bfrev_b32_e32 v9, 1
	v_mov_b32_e32 v10, 0
	s_mov_b32 s18, exec_lo
	v_cmpx_ne_u16_e32 0x80, v5
	s_cbranch_execz .LBB222_522
; %bb.517:                              ;   in Loop: Header=BB222_276 Depth=1
	v_mov_b32_e32 v9, 0x7f800001
	v_dual_mov_b32 v10, 0 :: v_dual_and_b32 v13, 0x7f, v63
	s_mov_b32 s19, exec_lo
	s_delay_alu instid0(VALU_DEP_1)
	v_cmpx_ne_u32_e32 0x7f, v13
	s_cbranch_execz .LBB222_521
; %bb.518:                              ;   in Loop: Header=BB222_276 Depth=1
	v_and_b32_e32 v5, 7, v63
	v_lshrrev_b32_e32 v9, 3, v13
	s_mov_b32 s24, exec_lo
	v_cmpx_gt_u32_e32 8, v13
; %bb.519:                              ;   in Loop: Header=BB222_276 Depth=1
	s_delay_alu instid0(VALU_DEP_3) | instskip(NEXT) | instid1(VALU_DEP_1)
	v_clz_i32_u32_e32 v9, v5
	v_min_u32_e32 v9, 32, v9
	s_delay_alu instid0(VALU_DEP_1) | instskip(SKIP_1) | instid1(VALU_DEP_2)
	v_subrev_nc_u32_e32 v10, 28, v9
	v_sub_nc_u32_e32 v9, 29, v9
	v_lshlrev_b64 v[13:14], v10, v[5:6]
	s_delay_alu instid0(VALU_DEP_1)
	v_and_b32_e32 v5, 7, v13
; %bb.520:                              ;   in Loop: Header=BB222_276 Depth=1
	s_or_b32 exec_lo, exec_lo, s24
	v_lshlrev_b32_e32 v10, 24, v63
	s_delay_alu instid0(VALU_DEP_2) | instskip(SKIP_1) | instid1(VALU_DEP_3)
	v_lshlrev_b32_e32 v5, 20, v5
	v_lshl_add_u32 v9, v9, 23, 0x3c000000
	v_and_b32_e32 v10, 0x80000000, v10
	s_delay_alu instid0(VALU_DEP_1) | instskip(NEXT) | instid1(VALU_DEP_1)
	v_or3_b32 v5, v5, v10, v9
	v_dual_mov_b32 v10, v6 :: v_dual_mov_b32 v9, v5
.LBB222_521:                            ;   in Loop: Header=BB222_276 Depth=1
	s_or_b32 exec_lo, exec_lo, s19
.LBB222_522:                            ;   in Loop: Header=BB222_276 Depth=1
	s_delay_alu instid0(SALU_CYCLE_1)
	s_or_b32 exec_lo, exec_lo, s18
.LBB222_523:                            ;   in Loop: Header=BB222_276 Depth=1
	s_delay_alu instid0(SALU_CYCLE_1) | instskip(SKIP_2) | instid1(VALU_DEP_1)
	s_or_b32 exec_lo, exec_lo, s8
	v_lshrrev_b16 v5, 8, v63
	s_mov_b32 s18, exec_lo
	v_cmpx_ne_u16_e32 0, v5
	s_cbranch_execz .LBB222_531
; %bb.524:                              ;   in Loop: Header=BB222_276 Depth=1
	v_dual_mov_b32 v12, s5 :: v_dual_mov_b32 v11, s4
	s_mov_b32 s19, exec_lo
	v_cmpx_ne_u16_e32 0x80, v5
	s_cbranch_execz .LBB222_530
; %bb.525:                              ;   in Loop: Header=BB222_276 Depth=1
	s_mov_b32 s8, s4
	v_dual_mov_b32 v12, s9 :: v_dual_and_b32 v5, 0xffff, v5
	v_mov_b32_e32 v11, s8
	s_mov_b32 s8, exec_lo
	s_delay_alu instid0(VALU_DEP_2) | instskip(NEXT) | instid1(VALU_DEP_1)
	v_and_b32_e32 v13, 0x7f, v5
	v_cmpx_ne_u32_e32 0x7f, v13
	s_cbranch_execz .LBB222_529
; %bb.526:                              ;   in Loop: Header=BB222_276 Depth=1
	v_and_b32_e32 v5, 7, v5
	v_lshrrev_b32_e32 v11, 3, v13
	s_mov_b32 s24, exec_lo
	v_cmpx_gt_u32_e32 8, v13
; %bb.527:                              ;   in Loop: Header=BB222_276 Depth=1
	s_delay_alu instid0(VALU_DEP_3) | instskip(NEXT) | instid1(VALU_DEP_1)
	v_clz_i32_u32_e32 v11, v5
	v_min_u32_e32 v11, 32, v11
	s_delay_alu instid0(VALU_DEP_1) | instskip(SKIP_1) | instid1(VALU_DEP_2)
	v_subrev_nc_u32_e32 v12, 28, v11
	v_sub_nc_u32_e32 v11, 29, v11
	v_lshlrev_b64 v[12:13], v12, v[5:6]
	s_delay_alu instid0(VALU_DEP_1)
	v_and_b32_e32 v5, 7, v12
; %bb.528:                              ;   in Loop: Header=BB222_276 Depth=1
	s_or_b32 exec_lo, exec_lo, s24
	v_lshlrev_b32_e32 v12, 16, v63
	s_delay_alu instid0(VALU_DEP_2) | instskip(SKIP_1) | instid1(VALU_DEP_3)
	v_lshlrev_b32_e32 v5, 20, v5
	v_lshl_add_u32 v11, v11, 23, 0x3c000000
	v_and_b32_e32 v12, 0x80000000, v12
	s_delay_alu instid0(VALU_DEP_1)
	v_or3_b32 v12, v5, v12, v11
	v_mov_b32_e32 v11, v6
.LBB222_529:                            ;   in Loop: Header=BB222_276 Depth=1
	s_or_b32 exec_lo, exec_lo, s8
.LBB222_530:                            ;   in Loop: Header=BB222_276 Depth=1
	s_delay_alu instid0(SALU_CYCLE_1)
	s_or_b32 exec_lo, exec_lo, s19
.LBB222_531:                            ;   in Loop: Header=BB222_276 Depth=1
	s_delay_alu instid0(SALU_CYCLE_1) | instskip(SKIP_4) | instid1(VALU_DEP_2)
	s_or_b32 exec_lo, exec_lo, s18
	v_mov_b32_e32 v15, 0
	v_lshrrev_b32_e32 v64, 16, v63
	v_mov_b32_e32 v16, 0
	s_mov_b32 s8, exec_lo
	v_and_b32_e32 v5, 0xff, v64
	s_delay_alu instid0(VALU_DEP_2) | instskip(NEXT) | instid1(VALU_DEP_2)
	v_dual_mov_b32 v13, v15 :: v_dual_mov_b32 v14, v16
	v_cmpx_ne_u16_e32 0, v5
	s_cbranch_execz .LBB222_539
; %bb.532:                              ;   in Loop: Header=BB222_276 Depth=1
	v_bfrev_b32_e32 v13, 1
	v_mov_b32_e32 v14, 0
	s_mov_b32 s18, exec_lo
	v_cmpx_ne_u16_e32 0x80, v5
	s_cbranch_execz .LBB222_538
; %bb.533:                              ;   in Loop: Header=BB222_276 Depth=1
	v_mov_b32_e32 v13, 0x7f800001
	v_bfe_u32 v65, v63, 16, 7
	v_mov_b32_e32 v14, 0
	s_mov_b32 s19, exec_lo
	s_delay_alu instid0(VALU_DEP_2)
	v_cmpx_ne_u32_e32 0x7f, v65
	s_cbranch_execz .LBB222_537
; %bb.534:                              ;   in Loop: Header=BB222_276 Depth=1
	v_and_b32_e32 v5, 7, v64
	v_lshrrev_b32_e32 v13, 3, v65
	s_mov_b32 s24, exec_lo
	v_cmpx_gt_u32_e32 8, v65
; %bb.535:                              ;   in Loop: Header=BB222_276 Depth=1
	s_delay_alu instid0(VALU_DEP_3) | instskip(NEXT) | instid1(VALU_DEP_1)
	v_clz_i32_u32_e32 v13, v5
	v_min_u32_e32 v13, 32, v13
	s_delay_alu instid0(VALU_DEP_1) | instskip(SKIP_1) | instid1(VALU_DEP_2)
	v_subrev_nc_u32_e32 v14, 28, v13
	v_sub_nc_u32_e32 v13, 29, v13
	v_lshlrev_b64 v[65:66], v14, v[5:6]
	s_delay_alu instid0(VALU_DEP_1)
	v_and_b32_e32 v5, 7, v65
; %bb.536:                              ;   in Loop: Header=BB222_276 Depth=1
	s_or_b32 exec_lo, exec_lo, s24
	v_lshlrev_b32_e32 v14, 24, v64
	s_delay_alu instid0(VALU_DEP_2) | instskip(SKIP_1) | instid1(VALU_DEP_3)
	v_lshlrev_b32_e32 v5, 20, v5
	v_lshl_add_u32 v13, v13, 23, 0x3c000000
	v_and_b32_e32 v14, 0x80000000, v14
	s_delay_alu instid0(VALU_DEP_1) | instskip(NEXT) | instid1(VALU_DEP_1)
	v_or3_b32 v5, v5, v14, v13
	v_dual_mov_b32 v14, v6 :: v_dual_mov_b32 v13, v5
.LBB222_537:                            ;   in Loop: Header=BB222_276 Depth=1
	s_or_b32 exec_lo, exec_lo, s19
.LBB222_538:                            ;   in Loop: Header=BB222_276 Depth=1
	s_delay_alu instid0(SALU_CYCLE_1)
	s_or_b32 exec_lo, exec_lo, s18
.LBB222_539:                            ;   in Loop: Header=BB222_276 Depth=1
	s_delay_alu instid0(SALU_CYCLE_1) | instskip(NEXT) | instid1(SALU_CYCLE_1)
	s_or_b32 exec_lo, exec_lo, s8
	s_mov_b32 s18, exec_lo
	v_cmpx_lt_u32_e32 0xffffff, v63
	s_cbranch_execz .LBB222_547
; %bb.540:                              ;   in Loop: Header=BB222_276 Depth=1
	v_lshrrev_b32_e32 v64, 24, v63
	v_dual_mov_b32 v16, s5 :: v_dual_mov_b32 v15, s4
	s_mov_b32 s19, exec_lo
	s_delay_alu instid0(VALU_DEP_2)
	v_cmpx_ne_u32_e32 0x80, v64
	s_cbranch_execz .LBB222_546
; %bb.541:                              ;   in Loop: Header=BB222_276 Depth=1
	s_mov_b32 s8, s4
	v_bfe_u32 v63, v63, 24, 7
	v_dual_mov_b32 v16, s9 :: v_dual_mov_b32 v15, s8
	s_mov_b32 s8, exec_lo
	s_delay_alu instid0(VALU_DEP_2)
	v_cmpx_ne_u32_e32 0x7f, v63
	s_cbranch_execz .LBB222_545
; %bb.542:                              ;   in Loop: Header=BB222_276 Depth=1
	v_and_b32_e32 v5, 7, v64
	v_lshrrev_b32_e32 v15, 3, v63
	s_mov_b32 s24, exec_lo
	v_cmpx_gt_u32_e32 8, v63
; %bb.543:                              ;   in Loop: Header=BB222_276 Depth=1
	s_delay_alu instid0(VALU_DEP_3) | instskip(NEXT) | instid1(VALU_DEP_1)
	v_clz_i32_u32_e32 v15, v5
	v_min_u32_e32 v15, 32, v15
	s_delay_alu instid0(VALU_DEP_1) | instskip(SKIP_1) | instid1(VALU_DEP_2)
	v_subrev_nc_u32_e32 v16, 28, v15
	v_sub_nc_u32_e32 v15, 29, v15
	v_lshlrev_b64 v[65:66], v16, v[5:6]
	s_delay_alu instid0(VALU_DEP_1)
	v_and_b32_e32 v5, 7, v65
; %bb.544:                              ;   in Loop: Header=BB222_276 Depth=1
	s_or_b32 exec_lo, exec_lo, s24
	v_lshlrev_b32_e32 v16, 24, v64
	s_delay_alu instid0(VALU_DEP_2) | instskip(SKIP_1) | instid1(VALU_DEP_3)
	v_lshlrev_b32_e32 v5, 20, v5
	v_lshl_add_u32 v15, v15, 23, 0x3c000000
	v_and_b32_e32 v16, 0x80000000, v16
	s_delay_alu instid0(VALU_DEP_1)
	v_or3_b32 v16, v5, v16, v15
	v_mov_b32_e32 v15, v6
.LBB222_545:                            ;   in Loop: Header=BB222_276 Depth=1
	s_or_b32 exec_lo, exec_lo, s8
.LBB222_546:                            ;   in Loop: Header=BB222_276 Depth=1
	s_delay_alu instid0(SALU_CYCLE_1)
	s_or_b32 exec_lo, exec_lo, s19
.LBB222_547:                            ;   in Loop: Header=BB222_276 Depth=1
	s_delay_alu instid0(SALU_CYCLE_1) | instskip(SKIP_4) | instid1(VALU_DEP_4)
	s_or_b32 exec_lo, exec_lo, s18
	v_or_b32_e32 v5, v12, v10
	v_or_b32_e32 v9, v11, v9
	;; [unrolled: 1-line block ×4, first 2 shown]
	v_mul_f32_e32 v11, s11, v5
	s_delay_alu instid0(VALU_DEP_4) | instskip(NEXT) | instid1(VALU_DEP_3)
	v_mul_f32_e32 v9, s10, v9
	v_dual_mul_f32 v5, s11, v10 :: v_dual_mul_f32 v10, s10, v12
	s_and_saveexec_b32 s1, s0
	s_cbranch_execz .LBB222_274
; %bb.548:                              ;   in Loop: Header=BB222_276 Depth=1
	v_add_nc_u32_e32 v12, -2, v36
	v_cmp_gt_i32_e64 s0, s33, v41
	v_add_nc_u32_e32 v13, -1, v36
	s_delay_alu instid0(VALU_DEP_2) | instskip(NEXT) | instid1(VALU_DEP_4)
	v_cndmask_b32_e64 v9, 0, v9, s0
	v_cmp_gt_i32_e64 s0, s33, v12
	s_delay_alu instid0(VALU_DEP_1) | instskip(NEXT) | instid1(VALU_DEP_4)
	v_cndmask_b32_e64 v11, 0, v11, s0
	v_cmp_gt_i32_e64 s0, s33, v13
	s_delay_alu instid0(VALU_DEP_1) | instskip(SKIP_1) | instid1(VALU_DEP_1)
	v_cndmask_b32_e64 v10, 0, v10, s0
	v_cmp_gt_i32_e64 s0, s33, v36
	v_cndmask_b32_e64 v5, 0, v5, s0
	s_branch .LBB222_274
.LBB222_549:
	s_or_b32 exec_lo, exec_lo, s16
.LBB222_550:
	s_delay_alu instid0(SALU_CYCLE_1)
	s_or_b32 exec_lo, exec_lo, s7
	ds_bpermute_b32 v1, v22, v33
	ds_bpermute_b32 v2, v22, v32
	;; [unrolled: 1-line block ×8, first 2 shown]
	s_movk_i32 s0, 0x1e0
	v_cmp_eq_u32_e32 vcc_lo, 0, v23
	v_and_b32_e32 v14, 0x3c0, v0
	v_mad_u32_u24 v9, v43, s0, 0x200
	s_mov_b32 s1, exec_lo
	s_waitcnt lgkmcnt(0)
	s_waitcnt_vscnt null, 0x0
	s_barrier
	buffer_gl0_inv
	v_dual_add_f32 v8, v33, v1 :: v_dual_add_f32 v7, v32, v2
	v_dual_add_f32 v6, v31, v3 :: v_dual_add_f32 v5, v28, v4
	;; [unrolled: 1-line block ×4, first 2 shown]
	v_cmpx_eq_u32_e32 64, v14
	s_cbranch_execz .LBB222_555
; %bb.551:
	v_add_nc_u32_e32 v10, 0xfffffc40, v9
	s_delay_alu instid0(VALU_DEP_1)
	v_lshl_add_u32 v10, v21, 2, v10
	s_and_saveexec_b32 s0, vcc_lo
	s_cbranch_execz .LBB222_553
; %bb.552:
	ds_store_2addr_b32 v10, v8, v7 offset1:16
	ds_store_2addr_b32 v10, v6, v5 offset0:32 offset1:48
	ds_store_2addr_b32 v10, v4, v3 offset0:64 offset1:80
	ds_store_b32 v10, v2 offset:384
.LBB222_553:
	s_or_b32 exec_lo, exec_lo, s0
	v_or_b32_e32 v11, 0x70, v21
	s_delay_alu instid0(VALU_DEP_1) | instskip(NEXT) | instid1(VALU_DEP_1)
	v_cmp_gt_u32_e64 s0, 0x78, v11
	s_and_b32 s0, vcc_lo, s0
	s_delay_alu instid0(SALU_CYCLE_1)
	s_and_b32 exec_lo, exec_lo, s0
	s_cbranch_execz .LBB222_555
; %bb.554:
	ds_store_b32 v10, v1 offset:448
.LBB222_555:
	s_or_b32 exec_lo, exec_lo, s1
	s_delay_alu instid0(SALU_CYCLE_1)
	s_mov_b32 s1, exec_lo
	s_waitcnt lgkmcnt(0)
	s_barrier
	buffer_gl0_inv
	v_cmpx_gt_u32_e32 64, v0
	s_cbranch_execz .LBB222_567
; %bb.556:
	s_and_saveexec_b32 s0, vcc_lo
	s_cbranch_execnz .LBB222_590
; %bb.557:
	s_or_b32 exec_lo, exec_lo, s0
	s_and_saveexec_b32 s0, vcc_lo
	s_cbranch_execnz .LBB222_591
.LBB222_558:
	s_or_b32 exec_lo, exec_lo, s0
	s_and_saveexec_b32 s0, vcc_lo
	s_cbranch_execnz .LBB222_592
.LBB222_559:
	s_or_b32 exec_lo, exec_lo, s0
	s_and_saveexec_b32 s0, vcc_lo
	s_cbranch_execnz .LBB222_593
.LBB222_560:
	s_or_b32 exec_lo, exec_lo, s0
	s_and_saveexec_b32 s0, vcc_lo
	s_cbranch_execnz .LBB222_594
.LBB222_561:
	s_or_b32 exec_lo, exec_lo, s0
	s_and_saveexec_b32 s0, vcc_lo
	s_cbranch_execnz .LBB222_595
.LBB222_562:
	s_or_b32 exec_lo, exec_lo, s0
	s_and_saveexec_b32 s0, vcc_lo
	s_cbranch_execz .LBB222_564
.LBB222_563:
	v_lshl_add_u32 v10, v21, 2, v9
	ds_load_b32 v10, v10 offset:384
	s_waitcnt lgkmcnt(0)
	v_add_f32_e32 v2, v2, v10
.LBB222_564:
	s_or_b32 exec_lo, exec_lo, s0
	v_or_b32_e32 v10, 0x70, v21
	s_delay_alu instid0(VALU_DEP_1) | instskip(NEXT) | instid1(VALU_DEP_1)
	v_cmp_gt_u32_e64 s0, 0x78, v10
	s_and_b32 s2, vcc_lo, s0
	s_delay_alu instid0(SALU_CYCLE_1)
	s_and_saveexec_b32 s0, s2
	s_cbranch_execz .LBB222_566
; %bb.565:
	v_lshl_add_u32 v10, v21, 2, v9
	ds_load_b32 v10, v10 offset:448
	s_waitcnt lgkmcnt(0)
	v_add_f32_e32 v1, v1, v10
.LBB222_566:
	s_or_b32 exec_lo, exec_lo, s0
.LBB222_567:
	s_delay_alu instid0(SALU_CYCLE_1)
	s_or_b32 exec_lo, exec_lo, s1
	v_and_b32_e32 v10, 0x3e0, v0
	s_mov_b32 s1, exec_lo
	s_barrier
	buffer_gl0_inv
	v_cmpx_eq_u32_e32 32, v10
	s_cbranch_execz .LBB222_572
; %bb.568:
	v_add_nc_u32_e32 v10, 0xfffffe20, v9
	s_delay_alu instid0(VALU_DEP_1)
	v_lshl_add_u32 v10, v21, 2, v10
	s_and_saveexec_b32 s0, vcc_lo
	s_cbranch_execz .LBB222_570
; %bb.569:
	ds_store_2addr_b32 v10, v8, v7 offset1:16
	ds_store_2addr_b32 v10, v6, v5 offset0:32 offset1:48
	ds_store_2addr_b32 v10, v4, v3 offset0:64 offset1:80
	ds_store_b32 v10, v2 offset:384
.LBB222_570:
	s_or_b32 exec_lo, exec_lo, s0
	v_or_b32_e32 v11, 0x70, v21
	s_delay_alu instid0(VALU_DEP_1) | instskip(NEXT) | instid1(VALU_DEP_1)
	v_cmp_gt_u32_e64 s0, 0x78, v11
	s_and_b32 s0, vcc_lo, s0
	s_delay_alu instid0(SALU_CYCLE_1)
	s_and_b32 exec_lo, exec_lo, s0
	s_cbranch_execz .LBB222_572
; %bb.571:
	ds_store_b32 v10, v1 offset:448
.LBB222_572:
	s_or_b32 exec_lo, exec_lo, s1
	v_cmp_gt_u32_e64 s0, 32, v0
	s_waitcnt lgkmcnt(0)
	s_barrier
	buffer_gl0_inv
	s_and_saveexec_b32 s2, s0
	s_cbranch_execz .LBB222_584
; %bb.573:
	v_lshl_add_u32 v9, v21, 2, v9
	s_and_saveexec_b32 s1, vcc_lo
	s_cbranch_execnz .LBB222_596
; %bb.574:
	s_or_b32 exec_lo, exec_lo, s1
	s_and_saveexec_b32 s1, vcc_lo
	s_cbranch_execnz .LBB222_597
.LBB222_575:
	s_or_b32 exec_lo, exec_lo, s1
	s_and_saveexec_b32 s1, vcc_lo
	s_cbranch_execnz .LBB222_598
.LBB222_576:
	s_or_b32 exec_lo, exec_lo, s1
	s_and_saveexec_b32 s1, vcc_lo
	s_cbranch_execnz .LBB222_599
.LBB222_577:
	s_or_b32 exec_lo, exec_lo, s1
	s_and_saveexec_b32 s1, vcc_lo
	s_cbranch_execnz .LBB222_600
.LBB222_578:
	s_or_b32 exec_lo, exec_lo, s1
	s_and_saveexec_b32 s1, vcc_lo
	s_cbranch_execnz .LBB222_601
.LBB222_579:
	s_or_b32 exec_lo, exec_lo, s1
	s_and_saveexec_b32 s1, vcc_lo
	s_cbranch_execz .LBB222_581
.LBB222_580:
	ds_load_b32 v10, v9 offset:384
	s_waitcnt lgkmcnt(0)
	v_add_f32_e32 v2, v2, v10
.LBB222_581:
	s_or_b32 exec_lo, exec_lo, s1
	v_or_b32_e32 v10, 0x70, v21
	s_delay_alu instid0(VALU_DEP_1) | instskip(NEXT) | instid1(VALU_DEP_1)
	v_cmp_gt_u32_e64 s1, 0x78, v10
	s_and_b32 s3, vcc_lo, s1
	s_delay_alu instid0(SALU_CYCLE_1)
	s_and_saveexec_b32 s1, s3
	s_cbranch_execz .LBB222_583
; %bb.582:
	ds_load_b32 v9, v9 offset:448
	s_waitcnt lgkmcnt(0)
	v_add_f32_e32 v1, v1, v9
.LBB222_583:
	s_or_b32 exec_lo, exec_lo, s1
.LBB222_584:
	s_delay_alu instid0(SALU_CYCLE_1)
	s_or_b32 exec_lo, exec_lo, s2
	s_barrier
	buffer_gl0_inv
	s_and_saveexec_b32 s1, s0
	s_cbranch_execz .LBB222_589
; %bb.585:
	s_mul_i32 s0, s6, 0x78
	s_mul_i32 s2, s15, s20
	s_ashr_i32 s1, s0, 31
	v_lshrrev_b32_e32 v9, 1, v0
	s_lshl_b64 s[0:1], s[0:1], 2
	s_delay_alu instid0(SALU_CYCLE_1)
	s_add_u32 s4, s22, s0
	s_addc_u32 s1, s23, s1
	s_ashr_i32 s3, s2, 31
	s_mul_i32 s0, s12, 0x78
	s_lshl_b64 s[2:3], s[2:3], 2
	v_lshlrev_b32_e32 v0, 2, v9
	s_add_u32 s2, s4, s2
	s_addc_u32 s3, s1, s3
	s_ashr_i32 s1, s0, 31
	s_delay_alu instid0(SALU_CYCLE_1) | instskip(NEXT) | instid1(SALU_CYCLE_1)
	s_lshl_b64 s[0:1], s[0:1], 2
	s_add_u32 s2, s2, s0
	s_addc_u32 s3, s3, s1
	s_and_saveexec_b32 s0, vcc_lo
; %bb.586:
	s_clause 0x6
	global_store_b32 v0, v8, s[2:3]
	global_store_b32 v0, v7, s[2:3] offset:64
	global_store_b32 v0, v6, s[2:3] offset:128
	;; [unrolled: 1-line block ×6, first 2 shown]
; %bb.587:
	s_or_b32 exec_lo, exec_lo, s0
	v_or_b32_e32 v2, 0x70, v9
	s_delay_alu instid0(VALU_DEP_1) | instskip(NEXT) | instid1(VALU_DEP_1)
	v_cmp_gt_u32_e64 s0, 0x78, v2
	s_and_b32 s0, vcc_lo, s0
	s_delay_alu instid0(SALU_CYCLE_1)
	s_and_b32 exec_lo, exec_lo, s0
	s_cbranch_execz .LBB222_589
; %bb.588:
	global_store_b32 v0, v1, s[2:3] offset:448
.LBB222_589:
	s_nop 0
	s_sendmsg sendmsg(MSG_DEALLOC_VGPRS)
	s_endpgm
.LBB222_590:
	v_lshl_add_u32 v10, v21, 2, v9
	ds_load_b32 v10, v10
	s_waitcnt lgkmcnt(0)
	v_add_f32_e32 v8, v8, v10
	s_or_b32 exec_lo, exec_lo, s0
	s_and_saveexec_b32 s0, vcc_lo
	s_cbranch_execz .LBB222_558
.LBB222_591:
	v_lshl_add_u32 v10, v21, 2, v9
	ds_load_b32 v10, v10 offset:64
	s_waitcnt lgkmcnt(0)
	v_add_f32_e32 v7, v7, v10
	s_or_b32 exec_lo, exec_lo, s0
	s_and_saveexec_b32 s0, vcc_lo
	s_cbranch_execz .LBB222_559
.LBB222_592:
	v_lshl_add_u32 v10, v21, 2, v9
	ds_load_b32 v10, v10 offset:128
	s_waitcnt lgkmcnt(0)
	v_add_f32_e32 v6, v6, v10
	s_or_b32 exec_lo, exec_lo, s0
	s_and_saveexec_b32 s0, vcc_lo
	s_cbranch_execz .LBB222_560
.LBB222_593:
	v_lshl_add_u32 v10, v21, 2, v9
	ds_load_b32 v10, v10 offset:192
	s_waitcnt lgkmcnt(0)
	v_add_f32_e32 v5, v5, v10
	s_or_b32 exec_lo, exec_lo, s0
	s_and_saveexec_b32 s0, vcc_lo
	s_cbranch_execz .LBB222_561
.LBB222_594:
	v_lshl_add_u32 v10, v21, 2, v9
	ds_load_b32 v10, v10 offset:256
	s_waitcnt lgkmcnt(0)
	v_add_f32_e32 v4, v4, v10
	s_or_b32 exec_lo, exec_lo, s0
	s_and_saveexec_b32 s0, vcc_lo
	s_cbranch_execz .LBB222_562
.LBB222_595:
	v_lshl_add_u32 v10, v21, 2, v9
	ds_load_b32 v10, v10 offset:320
	s_waitcnt lgkmcnt(0)
	v_add_f32_e32 v3, v3, v10
	s_or_b32 exec_lo, exec_lo, s0
	s_and_saveexec_b32 s0, vcc_lo
	s_cbranch_execnz .LBB222_563
	s_branch .LBB222_564
.LBB222_596:
	ds_load_b32 v10, v9
	s_waitcnt lgkmcnt(0)
	v_add_f32_e32 v8, v8, v10
	s_or_b32 exec_lo, exec_lo, s1
	s_and_saveexec_b32 s1, vcc_lo
	s_cbranch_execz .LBB222_575
.LBB222_597:
	ds_load_b32 v10, v9 offset:64
	s_waitcnt lgkmcnt(0)
	v_add_f32_e32 v7, v7, v10
	s_or_b32 exec_lo, exec_lo, s1
	s_and_saveexec_b32 s1, vcc_lo
	s_cbranch_execz .LBB222_576
.LBB222_598:
	ds_load_b32 v10, v9 offset:128
	s_waitcnt lgkmcnt(0)
	v_add_f32_e32 v6, v6, v10
	s_or_b32 exec_lo, exec_lo, s1
	s_and_saveexec_b32 s1, vcc_lo
	s_cbranch_execz .LBB222_577
.LBB222_599:
	ds_load_b32 v10, v9 offset:192
	s_waitcnt lgkmcnt(0)
	v_add_f32_e32 v5, v5, v10
	s_or_b32 exec_lo, exec_lo, s1
	s_and_saveexec_b32 s1, vcc_lo
	s_cbranch_execz .LBB222_578
.LBB222_600:
	ds_load_b32 v10, v9 offset:256
	s_waitcnt lgkmcnt(0)
	v_add_f32_e32 v4, v4, v10
	s_or_b32 exec_lo, exec_lo, s1
	s_and_saveexec_b32 s1, vcc_lo
	s_cbranch_execz .LBB222_579
.LBB222_601:
	ds_load_b32 v10, v9 offset:320
	s_waitcnt lgkmcnt(0)
	v_add_f32_e32 v3, v3, v10
	s_or_b32 exec_lo, exec_lo, s1
	s_and_saveexec_b32 s1, vcc_lo
	s_cbranch_execnz .LBB222_580
	s_branch .LBB222_581
	.section	.rodata,"a",@progbits
	.p2align	6, 0x0
	.amdhsa_kernel _ZN4vllm25paged_attention_v2_kernelIfhLi120ELi8ELi128ELNS_18Fp8KVCacheDataTypeE1ELb0ELi512EEEvPfS2_PT_PKS3_PKT0_S9_ifPKiSB_iPKfiiiSD_SD_iiiii
		.amdhsa_group_segment_fixed_size 512
		.amdhsa_private_segment_fixed_size 0
		.amdhsa_kernarg_size 400
		.amdhsa_user_sgpr_count 13
		.amdhsa_user_sgpr_dispatch_ptr 0
		.amdhsa_user_sgpr_queue_ptr 0
		.amdhsa_user_sgpr_kernarg_segment_ptr 1
		.amdhsa_user_sgpr_dispatch_id 0
		.amdhsa_user_sgpr_private_segment_size 0
		.amdhsa_wavefront_size32 1
		.amdhsa_uses_dynamic_stack 0
		.amdhsa_enable_private_segment 0
		.amdhsa_system_sgpr_workgroup_id_x 1
		.amdhsa_system_sgpr_workgroup_id_y 1
		.amdhsa_system_sgpr_workgroup_id_z 1
		.amdhsa_system_sgpr_workgroup_info 0
		.amdhsa_system_vgpr_workitem_id 0
		.amdhsa_next_free_vgpr 84
		.amdhsa_next_free_sgpr 42
		.amdhsa_reserve_vcc 1
		.amdhsa_float_round_mode_32 0
		.amdhsa_float_round_mode_16_64 0
		.amdhsa_float_denorm_mode_32 3
		.amdhsa_float_denorm_mode_16_64 3
		.amdhsa_dx10_clamp 1
		.amdhsa_ieee_mode 1
		.amdhsa_fp16_overflow 0
		.amdhsa_workgroup_processor_mode 1
		.amdhsa_memory_ordered 1
		.amdhsa_forward_progress 0
		.amdhsa_shared_vgpr_count 0
		.amdhsa_exception_fp_ieee_invalid_op 0
		.amdhsa_exception_fp_denorm_src 0
		.amdhsa_exception_fp_ieee_div_zero 0
		.amdhsa_exception_fp_ieee_overflow 0
		.amdhsa_exception_fp_ieee_underflow 0
		.amdhsa_exception_fp_ieee_inexact 0
		.amdhsa_exception_int_div_zero 0
	.end_amdhsa_kernel
	.section	.text._ZN4vllm25paged_attention_v2_kernelIfhLi120ELi8ELi128ELNS_18Fp8KVCacheDataTypeE1ELb0ELi512EEEvPfS2_PT_PKS3_PKT0_S9_ifPKiSB_iPKfiiiSD_SD_iiiii,"axG",@progbits,_ZN4vllm25paged_attention_v2_kernelIfhLi120ELi8ELi128ELNS_18Fp8KVCacheDataTypeE1ELb0ELi512EEEvPfS2_PT_PKS3_PKT0_S9_ifPKiSB_iPKfiiiSD_SD_iiiii,comdat
.Lfunc_end222:
	.size	_ZN4vllm25paged_attention_v2_kernelIfhLi120ELi8ELi128ELNS_18Fp8KVCacheDataTypeE1ELb0ELi512EEEvPfS2_PT_PKS3_PKT0_S9_ifPKiSB_iPKfiiiSD_SD_iiiii, .Lfunc_end222-_ZN4vllm25paged_attention_v2_kernelIfhLi120ELi8ELi128ELNS_18Fp8KVCacheDataTypeE1ELb0ELi512EEEvPfS2_PT_PKS3_PKT0_S9_ifPKiSB_iPKfiiiSD_SD_iiiii
                                        ; -- End function
	.section	.AMDGPU.csdata,"",@progbits
; Kernel info:
; codeLenInByte = 19740
; NumSgprs: 44
; NumVgprs: 84
; ScratchSize: 0
; MemoryBound: 0
; FloatMode: 240
; IeeeMode: 1
; LDSByteSize: 512 bytes/workgroup (compile time only)
; SGPRBlocks: 5
; VGPRBlocks: 10
; NumSGPRsForWavesPerEU: 44
; NumVGPRsForWavesPerEU: 84
; Occupancy: 16
; WaveLimiterHint : 1
; COMPUTE_PGM_RSRC2:SCRATCH_EN: 0
; COMPUTE_PGM_RSRC2:USER_SGPR: 13
; COMPUTE_PGM_RSRC2:TRAP_HANDLER: 0
; COMPUTE_PGM_RSRC2:TGID_X_EN: 1
; COMPUTE_PGM_RSRC2:TGID_Y_EN: 1
; COMPUTE_PGM_RSRC2:TGID_Z_EN: 1
; COMPUTE_PGM_RSRC2:TIDIG_COMP_CNT: 0
	.section	.text._ZN4vllm25paged_attention_v2_kernelIfhLi128ELi8ELi128ELNS_18Fp8KVCacheDataTypeE1ELb0ELi512EEEvPfS2_PT_PKS3_PKT0_S9_ifPKiSB_iPKfiiiSD_SD_iiiii,"axG",@progbits,_ZN4vllm25paged_attention_v2_kernelIfhLi128ELi8ELi128ELNS_18Fp8KVCacheDataTypeE1ELb0ELi512EEEvPfS2_PT_PKS3_PKT0_S9_ifPKiSB_iPKfiiiSD_SD_iiiii,comdat
	.protected	_ZN4vllm25paged_attention_v2_kernelIfhLi128ELi8ELi128ELNS_18Fp8KVCacheDataTypeE1ELb0ELi512EEEvPfS2_PT_PKS3_PKT0_S9_ifPKiSB_iPKfiiiSD_SD_iiiii ; -- Begin function _ZN4vllm25paged_attention_v2_kernelIfhLi128ELi8ELi128ELNS_18Fp8KVCacheDataTypeE1ELb0ELi512EEEvPfS2_PT_PKS3_PKT0_S9_ifPKiSB_iPKfiiiSD_SD_iiiii
	.globl	_ZN4vllm25paged_attention_v2_kernelIfhLi128ELi8ELi128ELNS_18Fp8KVCacheDataTypeE1ELb0ELi512EEEvPfS2_PT_PKS3_PKT0_S9_ifPKiSB_iPKfiiiSD_SD_iiiii
	.p2align	8
	.type	_ZN4vllm25paged_attention_v2_kernelIfhLi128ELi8ELi128ELNS_18Fp8KVCacheDataTypeE1ELb0ELi512EEEvPfS2_PT_PKS3_PKT0_S9_ifPKiSB_iPKfiiiSD_SD_iiiii,@function
_ZN4vllm25paged_attention_v2_kernelIfhLi128ELi8ELi128ELNS_18Fp8KVCacheDataTypeE1ELb0ELi512EEEvPfS2_PT_PKS3_PKT0_S9_ifPKiSB_iPKfiiiSD_SD_iiiii: ; @_ZN4vllm25paged_attention_v2_kernelIfhLi128ELi8ELi128ELNS_18Fp8KVCacheDataTypeE1ELb0ELi512EEEvPfS2_PT_PKS3_PKT0_S9_ifPKiSB_iPKfiiiSD_SD_iiiii
; %bb.0:
	s_load_b64 s[2:3], s[0:1], 0x40
	s_mov_b32 s12, s15
	s_ashr_i32 s15, s14, 31
	s_delay_alu instid0(SALU_CYCLE_1)
	s_lshl_b64 s[4:5], s[14:15], 2
	s_waitcnt lgkmcnt(0)
	s_add_u32 s2, s2, s4
	s_addc_u32 s3, s3, s5
	s_lshl_b32 s36, s12, 9
	s_load_b32 s33, s[2:3], 0x0
	s_waitcnt lgkmcnt(0)
	s_cmp_ge_i32 s36, s33
	s_cbranch_scc1 .LBB223_590
; %bb.1:
	s_mov_b32 s24, s13
	s_clause 0x1
	s_load_b32 s13, s[0:1], 0x90
	s_load_b64 s[34:35], s[0:1], 0x30
	s_mov_b32 s37, 0
	s_waitcnt lgkmcnt(0)
	s_abs_i32 s5, s13
	s_abs_i32 s2, s34
	s_delay_alu instid0(SALU_CYCLE_1) | instskip(SKIP_1) | instid1(VALU_DEP_1)
	v_cvt_f32_u32_e32 v1, s2
	s_sub_i32 s4, 0, s2
	v_rcp_iflag_f32_e32 v1, v1
	s_waitcnt_depctr 0xfff
	v_mul_f32_e32 v1, 0x4f7ffffe, v1
	s_delay_alu instid0(VALU_DEP_1) | instskip(NEXT) | instid1(VALU_DEP_1)
	v_cvt_u32_f32_e32 v1, v1
	v_readfirstlane_b32 s3, v1
	s_delay_alu instid0(VALU_DEP_1) | instskip(NEXT) | instid1(SALU_CYCLE_1)
	s_mul_i32 s4, s4, s3
	s_mul_hi_u32 s4, s3, s4
	s_delay_alu instid0(SALU_CYCLE_1) | instskip(SKIP_4) | instid1(SALU_CYCLE_1)
	s_add_i32 s3, s3, s4
	s_xor_b32 s4, s13, s34
	s_mul_hi_u32 s3, s5, s3
	s_ashr_i32 s4, s4, 31
	s_mul_i32 s6, s3, s2
	s_sub_i32 s5, s5, s6
	s_add_i32 s6, s3, 1
	s_sub_i32 s7, s5, s2
	s_cmp_ge_u32 s5, s2
	s_cselect_b32 s3, s6, s3
	s_cselect_b32 s5, s7, s5
	s_add_i32 s6, s3, 1
	s_cmp_ge_u32 s5, s2
	s_cselect_b32 s2, s6, s3
	s_abs_i32 s10, s24
	s_xor_b32 s2, s2, s4
	s_delay_alu instid0(SALU_CYCLE_1) | instskip(SKIP_2) | instid1(SALU_CYCLE_1)
	s_sub_i32 s11, s2, s4
	s_load_b64 s[2:3], s[0:1], 0x50
	s_abs_i32 s8, s11
	v_cvt_f32_u32_e32 v1, s8
	s_sub_i32 s5, 0, s8
	s_delay_alu instid0(VALU_DEP_1) | instskip(SKIP_2) | instid1(VALU_DEP_1)
	v_rcp_iflag_f32_e32 v1, v1
	s_waitcnt_depctr 0xfff
	v_mul_f32_e32 v1, 0x4f7ffffe, v1
	v_cvt_u32_f32_e32 v1, v1
	s_delay_alu instid0(VALU_DEP_1) | instskip(NEXT) | instid1(VALU_DEP_1)
	v_readfirstlane_b32 s4, v1
	s_mul_i32 s5, s5, s4
	s_delay_alu instid0(SALU_CYCLE_1) | instskip(NEXT) | instid1(SALU_CYCLE_1)
	s_mul_hi_u32 s5, s4, s5
	s_add_i32 s4, s4, s5
	s_waitcnt lgkmcnt(0)
	s_cmp_eq_u64 s[2:3], 0
	s_mul_hi_u32 s9, s10, s4
	s_cbranch_scc1 .LBB223_3
; %bb.2:
	s_ashr_i32 s25, s24, 31
	s_delay_alu instid0(SALU_CYCLE_1) | instskip(NEXT) | instid1(SALU_CYCLE_1)
	s_lshl_b64 s[4:5], s[24:25], 2
	s_add_u32 s2, s2, s4
	s_addc_u32 s3, s3, s5
	s_load_b32 s37, s[2:3], 0x0
.LBB223_3:
	s_load_b128 s[4:7], s[0:1], 0x58
	v_and_b32_e32 v48, 3, v0
	v_lshlrev_b32_e32 v46, 2, v0
	s_ashr_i32 s2, s24, 31
	s_ashr_i32 s3, s11, 31
	s_lshl_b32 s20, s24, 7
	s_waitcnt lgkmcnt(0)
	s_mov_b32 s7, exec_lo
	v_cmpx_gt_u32_e32 0x80, v0
	s_cbranch_execz .LBB223_5
; %bb.4:
	s_load_b64 s[16:17], s[0:1], 0x18
	s_mul_i32 s18, s14, s4
	v_and_b32_e32 v2, 0x3fc, v0
	s_ashr_i32 s19, s18, 31
	s_delay_alu instid0(SALU_CYCLE_1) | instskip(NEXT) | instid1(VALU_DEP_1)
	s_lshl_b64 s[18:19], s[18:19], 2
	v_lshl_add_u32 v2, v48, 7, v2
	s_waitcnt lgkmcnt(0)
	s_add_u32 s4, s16, s18
	s_addc_u32 s11, s17, s19
	s_ashr_i32 s21, s20, 31
	s_delay_alu instid0(SALU_CYCLE_1) | instskip(NEXT) | instid1(SALU_CYCLE_1)
	s_lshl_b64 s[16:17], s[20:21], 2
	s_add_u32 s16, s4, s16
	s_addc_u32 s17, s11, s17
	global_load_b32 v1, v46, s[16:17]
	s_waitcnt vmcnt(0)
	ds_store_b32 v2, v1
.LBB223_5:
	s_or_b32 exec_lo, exec_lo, s7
	s_add_i32 s7, s33, 7
	s_lshl_b32 s4, s12, 6
	s_ashr_i32 s11, s7, 31
	s_xor_b32 s2, s2, s3
	s_lshr_b32 s11, s11, 29
	s_add_i32 s3, s4, 64
	s_add_i32 s7, s7, s11
	v_lshrrev_b32_e32 v45, 5, v0
	s_ashr_i32 s25, s7, 3
	s_mul_i32 s7, s9, s8
	s_min_i32 s21, s3, s25
	s_clause 0x1
	s_load_b64 s[26:27], s[0:1], 0x38
	s_load_b32 s3, s[0:1], 0x48
	s_sub_i32 s7, s10, s7
	s_add_i32 s10, s9, 1
	s_sub_i32 s11, s7, s8
	s_cmp_ge_u32 s7, s8
	v_or_b32_e32 v33, s4, v45
	s_cselect_b32 s9, s10, s9
	s_cselect_b32 s7, s11, s7
	s_add_i32 s10, s9, 1
	s_cmp_ge_u32 s7, s8
	v_mbcnt_lo_u32_b32 v47, -1, 0
	s_cselect_b32 s7, s10, s9
	s_waitcnt lgkmcnt(0)
	s_xor_b32 s7, s7, s2
	s_barrier
	s_sub_i32 s34, s7, s2
	v_cmp_gt_i32_e64 s2, s21, v33
	s_mov_b32 s7, exec_lo
	buffer_gl0_inv
                                        ; implicit-def: $vgpr49
	s_mul_i32 s28, s14, s3
                                        ; implicit-def: $sgpr3
	s_delay_alu instid0(SALU_CYCLE_1)
	s_ashr_i32 s29, s28, 31
	v_cmpx_le_i32_e64 s21, v33
	s_xor_b32 s7, exec_lo, s7
; %bb.6:
	v_mbcnt_lo_u32_b32 v47, -1, 0
	v_mov_b32_e32 v49, 32
	s_mov_b32 s3, 0xff7fffff
                                        ; implicit-def: $vgpr48
; %bb.7:
	s_or_saveexec_b32 s7, s7
	s_clause 0x4
	s_load_b128 s[16:19], s[0:1], 0x0
	s_load_b64 s[22:23], s[0:1], 0x10
	s_load_b32 s15, s[0:1], 0x98
	s_load_b64 s[30:31], s[0:1], 0x28
	s_load_b128 s[8:11], s[0:1], 0x68
	v_mov_b32_e32 v50, s3
	v_ashrrev_i32_e32 v34, 31, v33
	s_mul_i32 s34, s34, s6
	s_xor_b32 exec_lo, exec_lo, s7
	s_cbranch_execz .LBB223_269
; %bb.8:
	s_load_b64 s[0:1], s[0:1], 0x20
	v_xor_b32_e32 v25, 2, v47
	v_xor_b32_e32 v26, 1, v47
	v_bfe_u32 v35, v0, 2, 3
	v_dual_mov_b32 v36, 0 :: v_dual_lshlrev_b32 v29, 7, v48
	s_delay_alu instid0(VALU_DEP_4)
	v_cmp_gt_i32_e32 vcc_lo, 32, v25
	ds_load_b128 v[1:4], v29
	ds_load_b128 v[5:8], v29 offset:16
	ds_load_b128 v[9:12], v29 offset:32
	;; [unrolled: 1-line block ×5, first 2 shown]
	s_ashr_i32 s3, s34, 31
	v_cndmask_b32_e32 v39, v47, v25, vcc_lo
	v_cmp_gt_i32_e32 vcc_lo, 32, v26
	v_lshlrev_b32_e32 v27, 4, v35
	v_dual_mov_b32 v49, 32 :: v_dual_mov_b32 v50, 0xff7fffff
	v_dual_mov_b32 v55, v33 :: v_dual_cndmask_b32 v40, v47, v26
	v_cmp_eq_u32_e32 vcc_lo, 0, v48
	s_waitcnt lgkmcnt(0)
	s_add_u32 s0, s0, s34
	s_addc_u32 s1, s1, s3
	v_add_co_u32 v37, s0, s0, v27
	ds_load_b128 v[25:28], v29 offset:96
	ds_load_b128 v[29:32], v29 offset:112
	s_load_b32 s6, s[8:9], 0x0
	v_lshlrev_b32_e32 v52, 2, v40
	v_lshlrev_b32_e32 v40, 3, v45
	;; [unrolled: 1-line block ×4, first 2 shown]
	s_lshl_b64 s[38:39], s[28:29], 2
	s_sub_i32 s8, 1, s33
	v_add3_u32 v53, s36, v40, v35
	v_add_co_ci_u32_e64 v38, null, s1, 0, s0
	v_lshl_or_b32 v41, v45, 5, v39
	v_lshlrev_b64 v[39:40], 2, v[33:34]
	s_add_u32 s1, s26, s38
	s_addc_u32 s3, s27, s39
	v_cmp_neq_f32_e64 s0, s37, 0
	v_add_nc_u32_e32 v54, 0x220, v41
	s_mov_b32 s38, s5
	v_add_co_u32 v39, s1, s1, v39
	s_delay_alu instid0(VALU_DEP_1)
	v_add_co_ci_u32_e64 v40, s1, s3, v40, s1
	s_mov_b32 s9, 0
	s_branch .LBB223_10
.LBB223_9:                              ;   in Loop: Header=BB223_10 Depth=1
	s_or_b32 exec_lo, exec_lo, s3
	v_add_nc_u32_e32 v55, 4, v55
	v_add_co_u32 v39, s3, v39, 16
	v_add_nc_u32_e32 v53, 32, v53
	v_add_nc_u32_e32 v54, 0x80, v54
	s_delay_alu instid0(VALU_DEP_4) | instskip(SKIP_1) | instid1(VALU_DEP_2)
	v_cmp_le_i32_e64 s1, s21, v55
	v_add_co_ci_u32_e64 v40, s3, 0, v40, s3
	s_or_b32 s9, s1, s9
	s_delay_alu instid0(SALU_CYCLE_1)
	s_and_not1_b32 exec_lo, exec_lo, s9
	s_cbranch_execz .LBB223_268
.LBB223_10:                             ; =>This Inner Loop Header: Depth=1
	global_load_b32 v35, v[39:40], off
	v_mov_b32_e32 v56, 0
	s_mov_b32 s3, exec_lo
	s_waitcnt vmcnt(0) lgkmcnt(0)
	v_mad_i64_i32 v[41:42], null, v35, s38, v[37:38]
	s_delay_alu instid0(VALU_DEP_1) | instskip(NEXT) | instid1(VALU_DEP_1)
	v_add_co_u32 v41, s1, v41, v48
	v_add_co_ci_u32_e64 v42, s1, 0, v42, s1
	global_load_u8 v43, v[41:42], off
	s_waitcnt vmcnt(0)
	v_cmpx_ne_u16_e32 0, v43
	s_cbranch_execz .LBB223_18
; %bb.11:                               ;   in Loop: Header=BB223_10 Depth=1
	v_bfrev_b32_e32 v56, 1
	s_mov_b32 s39, exec_lo
	v_cmpx_ne_u16_e32 0x80, v43
	s_cbranch_execz .LBB223_17
; %bb.12:                               ;   in Loop: Header=BB223_10 Depth=1
	v_and_b32_e32 v35, 0xffff, v43
	v_mov_b32_e32 v56, 0x7f800001
	s_mov_b32 s40, exec_lo
	s_delay_alu instid0(VALU_DEP_2) | instskip(NEXT) | instid1(VALU_DEP_1)
	v_and_b32_e32 v57, 0x7f, v35
	v_cmpx_ne_u32_e32 0x7f, v57
	s_cbranch_execz .LBB223_16
; %bb.13:                               ;   in Loop: Header=BB223_10 Depth=1
	v_and_b32_e32 v35, 7, v35
	v_lshrrev_b32_e32 v44, 3, v57
	s_mov_b32 s41, exec_lo
	v_cmpx_gt_u32_e32 8, v57
; %bb.14:                               ;   in Loop: Header=BB223_10 Depth=1
	s_delay_alu instid0(VALU_DEP_3) | instskip(NEXT) | instid1(VALU_DEP_1)
	v_clz_i32_u32_e32 v44, v35
	v_min_u32_e32 v44, 32, v44
	s_delay_alu instid0(VALU_DEP_1) | instskip(SKIP_1) | instid1(VALU_DEP_2)
	v_subrev_nc_u32_e32 v56, 28, v44
	v_sub_nc_u32_e32 v44, 29, v44
	v_lshlrev_b64 v[56:57], v56, v[35:36]
	s_delay_alu instid0(VALU_DEP_1)
	v_and_b32_e32 v35, 7, v56
; %bb.15:                               ;   in Loop: Header=BB223_10 Depth=1
	s_or_b32 exec_lo, exec_lo, s41
	v_lshlrev_b32_e32 v43, 24, v43
	s_delay_alu instid0(VALU_DEP_2) | instskip(SKIP_1) | instid1(VALU_DEP_3)
	v_lshlrev_b32_e32 v35, 20, v35
	v_lshl_add_u32 v44, v44, 23, 0x3c000000
	v_and_b32_e32 v43, 0x80000000, v43
	s_delay_alu instid0(VALU_DEP_1)
	v_or3_b32 v56, v35, v43, v44
.LBB223_16:                             ;   in Loop: Header=BB223_10 Depth=1
	s_or_b32 exec_lo, exec_lo, s40
.LBB223_17:                             ;   in Loop: Header=BB223_10 Depth=1
	s_delay_alu instid0(SALU_CYCLE_1)
	s_or_b32 exec_lo, exec_lo, s39
.LBB223_18:                             ;   in Loop: Header=BB223_10 Depth=1
	s_delay_alu instid0(SALU_CYCLE_1)
	s_or_b32 exec_lo, exec_lo, s3
	global_load_u8 v43, v[41:42], off offset:4
	v_dual_mov_b32 v57, 0 :: v_dual_mov_b32 v58, 0
	s_mov_b32 s3, exec_lo
	s_waitcnt vmcnt(0)
	v_cmpx_ne_u16_e32 0, v43
	s_cbranch_execz .LBB223_26
; %bb.19:                               ;   in Loop: Header=BB223_10 Depth=1
	v_bfrev_b32_e32 v58, 1
	s_mov_b32 s39, exec_lo
	v_cmpx_ne_u16_e32 0x80, v43
	s_cbranch_execz .LBB223_25
; %bb.20:                               ;   in Loop: Header=BB223_10 Depth=1
	v_and_b32_e32 v35, 0xffff, v43
	v_mov_b32_e32 v58, 0x7f800001
	s_mov_b32 s40, exec_lo
	s_delay_alu instid0(VALU_DEP_2) | instskip(NEXT) | instid1(VALU_DEP_1)
	v_and_b32_e32 v59, 0x7f, v35
	v_cmpx_ne_u32_e32 0x7f, v59
	s_cbranch_execz .LBB223_24
; %bb.21:                               ;   in Loop: Header=BB223_10 Depth=1
	v_and_b32_e32 v35, 7, v35
	v_lshrrev_b32_e32 v44, 3, v59
	s_mov_b32 s41, exec_lo
	v_cmpx_gt_u32_e32 8, v59
; %bb.22:                               ;   in Loop: Header=BB223_10 Depth=1
	s_delay_alu instid0(VALU_DEP_3) | instskip(NEXT) | instid1(VALU_DEP_1)
	v_clz_i32_u32_e32 v44, v35
	v_min_u32_e32 v44, 32, v44
	s_delay_alu instid0(VALU_DEP_1) | instskip(SKIP_1) | instid1(VALU_DEP_2)
	v_subrev_nc_u32_e32 v58, 28, v44
	v_sub_nc_u32_e32 v44, 29, v44
	v_lshlrev_b64 v[58:59], v58, v[35:36]
	s_delay_alu instid0(VALU_DEP_1)
	v_and_b32_e32 v35, 7, v58
; %bb.23:                               ;   in Loop: Header=BB223_10 Depth=1
	s_or_b32 exec_lo, exec_lo, s41
	v_lshlrev_b32_e32 v43, 24, v43
	s_delay_alu instid0(VALU_DEP_2) | instskip(SKIP_1) | instid1(VALU_DEP_3)
	v_lshlrev_b32_e32 v35, 20, v35
	v_lshl_add_u32 v44, v44, 23, 0x3c000000
	v_and_b32_e32 v43, 0x80000000, v43
	s_delay_alu instid0(VALU_DEP_1)
	v_or3_b32 v58, v35, v43, v44
.LBB223_24:                             ;   in Loop: Header=BB223_10 Depth=1
	s_or_b32 exec_lo, exec_lo, s40
.LBB223_25:                             ;   in Loop: Header=BB223_10 Depth=1
	s_delay_alu instid0(SALU_CYCLE_1)
	s_or_b32 exec_lo, exec_lo, s39
.LBB223_26:                             ;   in Loop: Header=BB223_10 Depth=1
	s_delay_alu instid0(SALU_CYCLE_1)
	s_or_b32 exec_lo, exec_lo, s3
	global_load_u8 v43, v[41:42], off offset:8
	s_mov_b32 s3, exec_lo
	s_waitcnt vmcnt(0)
	v_cmpx_ne_u16_e32 0, v43
	s_cbranch_execz .LBB223_34
; %bb.27:                               ;   in Loop: Header=BB223_10 Depth=1
	v_bfrev_b32_e32 v57, 1
	s_mov_b32 s39, exec_lo
	v_cmpx_ne_u16_e32 0x80, v43
	s_cbranch_execz .LBB223_33
; %bb.28:                               ;   in Loop: Header=BB223_10 Depth=1
	v_and_b32_e32 v35, 0xffff, v43
	v_mov_b32_e32 v57, 0x7f800001
	s_mov_b32 s40, exec_lo
	s_delay_alu instid0(VALU_DEP_2) | instskip(NEXT) | instid1(VALU_DEP_1)
	v_and_b32_e32 v59, 0x7f, v35
	v_cmpx_ne_u32_e32 0x7f, v59
	s_cbranch_execz .LBB223_32
; %bb.29:                               ;   in Loop: Header=BB223_10 Depth=1
	v_and_b32_e32 v35, 7, v35
	v_lshrrev_b32_e32 v44, 3, v59
	s_mov_b32 s41, exec_lo
	v_cmpx_gt_u32_e32 8, v59
; %bb.30:                               ;   in Loop: Header=BB223_10 Depth=1
	s_delay_alu instid0(VALU_DEP_3) | instskip(NEXT) | instid1(VALU_DEP_1)
	v_clz_i32_u32_e32 v44, v35
	v_min_u32_e32 v44, 32, v44
	s_delay_alu instid0(VALU_DEP_1) | instskip(SKIP_1) | instid1(VALU_DEP_2)
	v_subrev_nc_u32_e32 v57, 28, v44
	v_sub_nc_u32_e32 v44, 29, v44
	v_lshlrev_b64 v[59:60], v57, v[35:36]
	s_delay_alu instid0(VALU_DEP_1)
	v_and_b32_e32 v35, 7, v59
; %bb.31:                               ;   in Loop: Header=BB223_10 Depth=1
	s_or_b32 exec_lo, exec_lo, s41
	v_lshlrev_b32_e32 v43, 24, v43
	s_delay_alu instid0(VALU_DEP_2) | instskip(SKIP_1) | instid1(VALU_DEP_3)
	v_lshlrev_b32_e32 v35, 20, v35
	v_lshl_add_u32 v44, v44, 23, 0x3c000000
	v_and_b32_e32 v43, 0x80000000, v43
	s_delay_alu instid0(VALU_DEP_1)
	v_or3_b32 v57, v35, v43, v44
.LBB223_32:                             ;   in Loop: Header=BB223_10 Depth=1
	s_or_b32 exec_lo, exec_lo, s40
.LBB223_33:                             ;   in Loop: Header=BB223_10 Depth=1
	s_delay_alu instid0(SALU_CYCLE_1)
	s_or_b32 exec_lo, exec_lo, s39
.LBB223_34:                             ;   in Loop: Header=BB223_10 Depth=1
	s_delay_alu instid0(SALU_CYCLE_1)
	s_or_b32 exec_lo, exec_lo, s3
	global_load_u8 v43, v[41:42], off offset:12
	v_dual_mov_b32 v59, 0 :: v_dual_mov_b32 v60, 0
	s_mov_b32 s3, exec_lo
	s_waitcnt vmcnt(0)
	v_cmpx_ne_u16_e32 0, v43
	s_cbranch_execz .LBB223_42
; %bb.35:                               ;   in Loop: Header=BB223_10 Depth=1
	v_bfrev_b32_e32 v60, 1
	s_mov_b32 s39, exec_lo
	v_cmpx_ne_u16_e32 0x80, v43
	s_cbranch_execz .LBB223_41
; %bb.36:                               ;   in Loop: Header=BB223_10 Depth=1
	v_and_b32_e32 v35, 0xffff, v43
	v_mov_b32_e32 v60, 0x7f800001
	s_mov_b32 s40, exec_lo
	s_delay_alu instid0(VALU_DEP_2) | instskip(NEXT) | instid1(VALU_DEP_1)
	v_and_b32_e32 v61, 0x7f, v35
	v_cmpx_ne_u32_e32 0x7f, v61
	s_cbranch_execz .LBB223_40
; %bb.37:                               ;   in Loop: Header=BB223_10 Depth=1
	v_and_b32_e32 v35, 7, v35
	v_lshrrev_b32_e32 v44, 3, v61
	s_mov_b32 s41, exec_lo
	v_cmpx_gt_u32_e32 8, v61
; %bb.38:                               ;   in Loop: Header=BB223_10 Depth=1
	s_delay_alu instid0(VALU_DEP_3) | instskip(NEXT) | instid1(VALU_DEP_1)
	v_clz_i32_u32_e32 v44, v35
	v_min_u32_e32 v44, 32, v44
	s_delay_alu instid0(VALU_DEP_1) | instskip(SKIP_1) | instid1(VALU_DEP_2)
	v_subrev_nc_u32_e32 v60, 28, v44
	v_sub_nc_u32_e32 v44, 29, v44
	v_lshlrev_b64 v[60:61], v60, v[35:36]
	s_delay_alu instid0(VALU_DEP_1)
	v_and_b32_e32 v35, 7, v60
; %bb.39:                               ;   in Loop: Header=BB223_10 Depth=1
	s_or_b32 exec_lo, exec_lo, s41
	v_lshlrev_b32_e32 v43, 24, v43
	s_delay_alu instid0(VALU_DEP_2) | instskip(SKIP_1) | instid1(VALU_DEP_3)
	v_lshlrev_b32_e32 v35, 20, v35
	v_lshl_add_u32 v44, v44, 23, 0x3c000000
	v_and_b32_e32 v43, 0x80000000, v43
	s_delay_alu instid0(VALU_DEP_1)
	v_or3_b32 v60, v35, v43, v44
.LBB223_40:                             ;   in Loop: Header=BB223_10 Depth=1
	s_or_b32 exec_lo, exec_lo, s40
.LBB223_41:                             ;   in Loop: Header=BB223_10 Depth=1
	s_delay_alu instid0(SALU_CYCLE_1)
	s_or_b32 exec_lo, exec_lo, s39
.LBB223_42:                             ;   in Loop: Header=BB223_10 Depth=1
	s_delay_alu instid0(SALU_CYCLE_1)
	s_or_b32 exec_lo, exec_lo, s3
	global_load_u8 v43, v[41:42], off offset:128
	s_mov_b32 s3, exec_lo
	s_waitcnt vmcnt(0)
	v_cmpx_ne_u16_e32 0, v43
	s_cbranch_execz .LBB223_50
; %bb.43:                               ;   in Loop: Header=BB223_10 Depth=1
	v_bfrev_b32_e32 v59, 1
	s_mov_b32 s39, exec_lo
	v_cmpx_ne_u16_e32 0x80, v43
	s_cbranch_execz .LBB223_49
; %bb.44:                               ;   in Loop: Header=BB223_10 Depth=1
	v_and_b32_e32 v35, 0xffff, v43
	v_mov_b32_e32 v59, 0x7f800001
	s_mov_b32 s40, exec_lo
	s_delay_alu instid0(VALU_DEP_2) | instskip(NEXT) | instid1(VALU_DEP_1)
	v_and_b32_e32 v61, 0x7f, v35
	v_cmpx_ne_u32_e32 0x7f, v61
	s_cbranch_execz .LBB223_48
; %bb.45:                               ;   in Loop: Header=BB223_10 Depth=1
	v_and_b32_e32 v35, 7, v35
	v_lshrrev_b32_e32 v44, 3, v61
	s_mov_b32 s41, exec_lo
	v_cmpx_gt_u32_e32 8, v61
; %bb.46:                               ;   in Loop: Header=BB223_10 Depth=1
	s_delay_alu instid0(VALU_DEP_3) | instskip(NEXT) | instid1(VALU_DEP_1)
	v_clz_i32_u32_e32 v44, v35
	v_min_u32_e32 v44, 32, v44
	s_delay_alu instid0(VALU_DEP_1) | instskip(SKIP_1) | instid1(VALU_DEP_2)
	v_subrev_nc_u32_e32 v59, 28, v44
	v_sub_nc_u32_e32 v44, 29, v44
	v_lshlrev_b64 v[61:62], v59, v[35:36]
	s_delay_alu instid0(VALU_DEP_1)
	v_and_b32_e32 v35, 7, v61
; %bb.47:                               ;   in Loop: Header=BB223_10 Depth=1
	s_or_b32 exec_lo, exec_lo, s41
	v_lshlrev_b32_e32 v43, 24, v43
	s_delay_alu instid0(VALU_DEP_2) | instskip(SKIP_1) | instid1(VALU_DEP_3)
	v_lshlrev_b32_e32 v35, 20, v35
	v_lshl_add_u32 v44, v44, 23, 0x3c000000
	v_and_b32_e32 v43, 0x80000000, v43
	s_delay_alu instid0(VALU_DEP_1)
	v_or3_b32 v59, v35, v43, v44
.LBB223_48:                             ;   in Loop: Header=BB223_10 Depth=1
	s_or_b32 exec_lo, exec_lo, s40
.LBB223_49:                             ;   in Loop: Header=BB223_10 Depth=1
	s_delay_alu instid0(SALU_CYCLE_1)
	s_or_b32 exec_lo, exec_lo, s39
.LBB223_50:                             ;   in Loop: Header=BB223_10 Depth=1
	s_delay_alu instid0(SALU_CYCLE_1)
	s_or_b32 exec_lo, exec_lo, s3
	global_load_u8 v43, v[41:42], off offset:132
	v_dual_mov_b32 v61, 0 :: v_dual_mov_b32 v62, 0
	s_mov_b32 s3, exec_lo
	s_waitcnt vmcnt(0)
	v_cmpx_ne_u16_e32 0, v43
	s_cbranch_execz .LBB223_58
; %bb.51:                               ;   in Loop: Header=BB223_10 Depth=1
	v_bfrev_b32_e32 v62, 1
	s_mov_b32 s39, exec_lo
	v_cmpx_ne_u16_e32 0x80, v43
	s_cbranch_execz .LBB223_57
; %bb.52:                               ;   in Loop: Header=BB223_10 Depth=1
	v_and_b32_e32 v35, 0xffff, v43
	v_mov_b32_e32 v62, 0x7f800001
	s_mov_b32 s40, exec_lo
	s_delay_alu instid0(VALU_DEP_2) | instskip(NEXT) | instid1(VALU_DEP_1)
	v_and_b32_e32 v63, 0x7f, v35
	v_cmpx_ne_u32_e32 0x7f, v63
	s_cbranch_execz .LBB223_56
; %bb.53:                               ;   in Loop: Header=BB223_10 Depth=1
	v_and_b32_e32 v35, 7, v35
	v_lshrrev_b32_e32 v44, 3, v63
	s_mov_b32 s41, exec_lo
	v_cmpx_gt_u32_e32 8, v63
; %bb.54:                               ;   in Loop: Header=BB223_10 Depth=1
	s_delay_alu instid0(VALU_DEP_3) | instskip(NEXT) | instid1(VALU_DEP_1)
	v_clz_i32_u32_e32 v44, v35
	v_min_u32_e32 v44, 32, v44
	s_delay_alu instid0(VALU_DEP_1) | instskip(SKIP_1) | instid1(VALU_DEP_2)
	v_subrev_nc_u32_e32 v62, 28, v44
	v_sub_nc_u32_e32 v44, 29, v44
	v_lshlrev_b64 v[62:63], v62, v[35:36]
	s_delay_alu instid0(VALU_DEP_1)
	v_and_b32_e32 v35, 7, v62
; %bb.55:                               ;   in Loop: Header=BB223_10 Depth=1
	s_or_b32 exec_lo, exec_lo, s41
	v_lshlrev_b32_e32 v43, 24, v43
	s_delay_alu instid0(VALU_DEP_2) | instskip(SKIP_1) | instid1(VALU_DEP_3)
	v_lshlrev_b32_e32 v35, 20, v35
	v_lshl_add_u32 v44, v44, 23, 0x3c000000
	v_and_b32_e32 v43, 0x80000000, v43
	s_delay_alu instid0(VALU_DEP_1)
	v_or3_b32 v62, v35, v43, v44
.LBB223_56:                             ;   in Loop: Header=BB223_10 Depth=1
	s_or_b32 exec_lo, exec_lo, s40
.LBB223_57:                             ;   in Loop: Header=BB223_10 Depth=1
	s_delay_alu instid0(SALU_CYCLE_1)
	s_or_b32 exec_lo, exec_lo, s39
.LBB223_58:                             ;   in Loop: Header=BB223_10 Depth=1
	s_delay_alu instid0(SALU_CYCLE_1) | instskip(SKIP_1) | instid1(VALU_DEP_1)
	s_or_b32 exec_lo, exec_lo, s3
	v_add_co_u32 v43, s1, 0x80, v41
	v_add_co_ci_u32_e64 v44, s1, 0, v42, s1
	s_mov_b32 s3, exec_lo
	global_load_u8 v63, v[43:44], off offset:8
	s_waitcnt vmcnt(0)
	v_cmpx_ne_u16_e32 0, v63
	s_cbranch_execz .LBB223_66
; %bb.59:                               ;   in Loop: Header=BB223_10 Depth=1
	v_bfrev_b32_e32 v61, 1
	s_mov_b32 s39, exec_lo
	v_cmpx_ne_u16_e32 0x80, v63
	s_cbranch_execz .LBB223_65
; %bb.60:                               ;   in Loop: Header=BB223_10 Depth=1
	v_and_b32_e32 v35, 0xffff, v63
	v_mov_b32_e32 v61, 0x7f800001
	s_mov_b32 s40, exec_lo
	s_delay_alu instid0(VALU_DEP_2) | instskip(NEXT) | instid1(VALU_DEP_1)
	v_and_b32_e32 v64, 0x7f, v35
	v_cmpx_ne_u32_e32 0x7f, v64
	s_cbranch_execz .LBB223_64
; %bb.61:                               ;   in Loop: Header=BB223_10 Depth=1
	v_and_b32_e32 v35, 7, v35
	v_lshrrev_b32_e32 v61, 3, v64
	s_mov_b32 s41, exec_lo
	v_cmpx_gt_u32_e32 8, v64
; %bb.62:                               ;   in Loop: Header=BB223_10 Depth=1
	s_delay_alu instid0(VALU_DEP_3) | instskip(NEXT) | instid1(VALU_DEP_1)
	v_clz_i32_u32_e32 v61, v35
	v_min_u32_e32 v61, 32, v61
	s_delay_alu instid0(VALU_DEP_1) | instskip(SKIP_1) | instid1(VALU_DEP_2)
	v_subrev_nc_u32_e32 v64, 28, v61
	v_sub_nc_u32_e32 v61, 29, v61
	v_lshlrev_b64 v[64:65], v64, v[35:36]
	s_delay_alu instid0(VALU_DEP_1)
	v_and_b32_e32 v35, 7, v64
; %bb.63:                               ;   in Loop: Header=BB223_10 Depth=1
	s_or_b32 exec_lo, exec_lo, s41
	v_lshlrev_b32_e32 v63, 24, v63
	s_delay_alu instid0(VALU_DEP_2) | instskip(SKIP_1) | instid1(VALU_DEP_3)
	v_lshlrev_b32_e32 v35, 20, v35
	v_lshl_add_u32 v61, v61, 23, 0x3c000000
	v_and_b32_e32 v63, 0x80000000, v63
	s_delay_alu instid0(VALU_DEP_1)
	v_or3_b32 v61, v35, v63, v61
.LBB223_64:                             ;   in Loop: Header=BB223_10 Depth=1
	s_or_b32 exec_lo, exec_lo, s40
.LBB223_65:                             ;   in Loop: Header=BB223_10 Depth=1
	s_delay_alu instid0(SALU_CYCLE_1)
	s_or_b32 exec_lo, exec_lo, s39
.LBB223_66:                             ;   in Loop: Header=BB223_10 Depth=1
	s_delay_alu instid0(SALU_CYCLE_1)
	s_or_b32 exec_lo, exec_lo, s3
	global_load_u8 v43, v[43:44], off offset:12
	v_dual_mov_b32 v63, 0 :: v_dual_mov_b32 v64, 0
	s_mov_b32 s3, exec_lo
	s_waitcnt vmcnt(0)
	v_cmpx_ne_u16_e32 0, v43
	s_cbranch_execz .LBB223_74
; %bb.67:                               ;   in Loop: Header=BB223_10 Depth=1
	v_bfrev_b32_e32 v64, 1
	s_mov_b32 s39, exec_lo
	v_cmpx_ne_u16_e32 0x80, v43
	s_cbranch_execz .LBB223_73
; %bb.68:                               ;   in Loop: Header=BB223_10 Depth=1
	v_and_b32_e32 v35, 0xffff, v43
	v_mov_b32_e32 v64, 0x7f800001
	s_mov_b32 s40, exec_lo
	s_delay_alu instid0(VALU_DEP_2) | instskip(NEXT) | instid1(VALU_DEP_1)
	v_and_b32_e32 v65, 0x7f, v35
	v_cmpx_ne_u32_e32 0x7f, v65
	s_cbranch_execz .LBB223_72
; %bb.69:                               ;   in Loop: Header=BB223_10 Depth=1
	v_and_b32_e32 v35, 7, v35
	v_lshrrev_b32_e32 v44, 3, v65
	s_mov_b32 s41, exec_lo
	v_cmpx_gt_u32_e32 8, v65
; %bb.70:                               ;   in Loop: Header=BB223_10 Depth=1
	s_delay_alu instid0(VALU_DEP_3) | instskip(NEXT) | instid1(VALU_DEP_1)
	v_clz_i32_u32_e32 v44, v35
	v_min_u32_e32 v44, 32, v44
	s_delay_alu instid0(VALU_DEP_1) | instskip(SKIP_1) | instid1(VALU_DEP_2)
	v_subrev_nc_u32_e32 v64, 28, v44
	v_sub_nc_u32_e32 v44, 29, v44
	v_lshlrev_b64 v[64:65], v64, v[35:36]
	s_delay_alu instid0(VALU_DEP_1)
	v_and_b32_e32 v35, 7, v64
; %bb.71:                               ;   in Loop: Header=BB223_10 Depth=1
	s_or_b32 exec_lo, exec_lo, s41
	v_lshlrev_b32_e32 v43, 24, v43
	s_delay_alu instid0(VALU_DEP_2) | instskip(SKIP_1) | instid1(VALU_DEP_3)
	v_lshlrev_b32_e32 v35, 20, v35
	v_lshl_add_u32 v44, v44, 23, 0x3c000000
	v_and_b32_e32 v43, 0x80000000, v43
	s_delay_alu instid0(VALU_DEP_1)
	v_or3_b32 v64, v35, v43, v44
.LBB223_72:                             ;   in Loop: Header=BB223_10 Depth=1
	s_or_b32 exec_lo, exec_lo, s40
.LBB223_73:                             ;   in Loop: Header=BB223_10 Depth=1
	s_delay_alu instid0(SALU_CYCLE_1)
	s_or_b32 exec_lo, exec_lo, s39
.LBB223_74:                             ;   in Loop: Header=BB223_10 Depth=1
	s_delay_alu instid0(SALU_CYCLE_1)
	s_or_b32 exec_lo, exec_lo, s3
	global_load_u8 v43, v[41:42], off offset:256
	s_mov_b32 s3, exec_lo
	s_waitcnt vmcnt(0)
	v_cmpx_ne_u16_e32 0, v43
	s_cbranch_execz .LBB223_82
; %bb.75:                               ;   in Loop: Header=BB223_10 Depth=1
	v_bfrev_b32_e32 v63, 1
	s_mov_b32 s39, exec_lo
	v_cmpx_ne_u16_e32 0x80, v43
	s_cbranch_execz .LBB223_81
; %bb.76:                               ;   in Loop: Header=BB223_10 Depth=1
	v_and_b32_e32 v35, 0xffff, v43
	v_mov_b32_e32 v63, 0x7f800001
	s_mov_b32 s40, exec_lo
	s_delay_alu instid0(VALU_DEP_2) | instskip(NEXT) | instid1(VALU_DEP_1)
	v_and_b32_e32 v65, 0x7f, v35
	v_cmpx_ne_u32_e32 0x7f, v65
	s_cbranch_execz .LBB223_80
; %bb.77:                               ;   in Loop: Header=BB223_10 Depth=1
	v_and_b32_e32 v35, 7, v35
	v_lshrrev_b32_e32 v44, 3, v65
	s_mov_b32 s41, exec_lo
	v_cmpx_gt_u32_e32 8, v65
; %bb.78:                               ;   in Loop: Header=BB223_10 Depth=1
	s_delay_alu instid0(VALU_DEP_3) | instskip(NEXT) | instid1(VALU_DEP_1)
	v_clz_i32_u32_e32 v44, v35
	v_min_u32_e32 v44, 32, v44
	s_delay_alu instid0(VALU_DEP_1) | instskip(SKIP_1) | instid1(VALU_DEP_2)
	v_subrev_nc_u32_e32 v63, 28, v44
	v_sub_nc_u32_e32 v44, 29, v44
	v_lshlrev_b64 v[65:66], v63, v[35:36]
	s_delay_alu instid0(VALU_DEP_1)
	v_and_b32_e32 v35, 7, v65
; %bb.79:                               ;   in Loop: Header=BB223_10 Depth=1
	s_or_b32 exec_lo, exec_lo, s41
	v_lshlrev_b32_e32 v43, 24, v43
	s_delay_alu instid0(VALU_DEP_2) | instskip(SKIP_1) | instid1(VALU_DEP_3)
	v_lshlrev_b32_e32 v35, 20, v35
	v_lshl_add_u32 v44, v44, 23, 0x3c000000
	v_and_b32_e32 v43, 0x80000000, v43
	s_delay_alu instid0(VALU_DEP_1)
	v_or3_b32 v63, v35, v43, v44
.LBB223_80:                             ;   in Loop: Header=BB223_10 Depth=1
	s_or_b32 exec_lo, exec_lo, s40
.LBB223_81:                             ;   in Loop: Header=BB223_10 Depth=1
	s_delay_alu instid0(SALU_CYCLE_1)
	s_or_b32 exec_lo, exec_lo, s39
.LBB223_82:                             ;   in Loop: Header=BB223_10 Depth=1
	s_delay_alu instid0(SALU_CYCLE_1)
	s_or_b32 exec_lo, exec_lo, s3
	global_load_u8 v43, v[41:42], off offset:260
	v_dual_mov_b32 v65, 0 :: v_dual_mov_b32 v66, 0
	s_mov_b32 s3, exec_lo
	s_waitcnt vmcnt(0)
	v_cmpx_ne_u16_e32 0, v43
	s_cbranch_execz .LBB223_90
; %bb.83:                               ;   in Loop: Header=BB223_10 Depth=1
	v_bfrev_b32_e32 v66, 1
	s_mov_b32 s39, exec_lo
	v_cmpx_ne_u16_e32 0x80, v43
	s_cbranch_execz .LBB223_89
; %bb.84:                               ;   in Loop: Header=BB223_10 Depth=1
	v_and_b32_e32 v35, 0xffff, v43
	v_mov_b32_e32 v66, 0x7f800001
	s_mov_b32 s40, exec_lo
	s_delay_alu instid0(VALU_DEP_2) | instskip(NEXT) | instid1(VALU_DEP_1)
	v_and_b32_e32 v67, 0x7f, v35
	v_cmpx_ne_u32_e32 0x7f, v67
	s_cbranch_execz .LBB223_88
; %bb.85:                               ;   in Loop: Header=BB223_10 Depth=1
	v_and_b32_e32 v35, 7, v35
	v_lshrrev_b32_e32 v44, 3, v67
	s_mov_b32 s41, exec_lo
	v_cmpx_gt_u32_e32 8, v67
; %bb.86:                               ;   in Loop: Header=BB223_10 Depth=1
	s_delay_alu instid0(VALU_DEP_3) | instskip(NEXT) | instid1(VALU_DEP_1)
	v_clz_i32_u32_e32 v44, v35
	v_min_u32_e32 v44, 32, v44
	s_delay_alu instid0(VALU_DEP_1) | instskip(SKIP_1) | instid1(VALU_DEP_2)
	v_subrev_nc_u32_e32 v66, 28, v44
	v_sub_nc_u32_e32 v44, 29, v44
	v_lshlrev_b64 v[66:67], v66, v[35:36]
	s_delay_alu instid0(VALU_DEP_1)
	v_and_b32_e32 v35, 7, v66
; %bb.87:                               ;   in Loop: Header=BB223_10 Depth=1
	s_or_b32 exec_lo, exec_lo, s41
	v_lshlrev_b32_e32 v43, 24, v43
	s_delay_alu instid0(VALU_DEP_2) | instskip(SKIP_1) | instid1(VALU_DEP_3)
	v_lshlrev_b32_e32 v35, 20, v35
	v_lshl_add_u32 v44, v44, 23, 0x3c000000
	v_and_b32_e32 v43, 0x80000000, v43
	s_delay_alu instid0(VALU_DEP_1)
	v_or3_b32 v66, v35, v43, v44
.LBB223_88:                             ;   in Loop: Header=BB223_10 Depth=1
	s_or_b32 exec_lo, exec_lo, s40
.LBB223_89:                             ;   in Loop: Header=BB223_10 Depth=1
	s_delay_alu instid0(SALU_CYCLE_1)
	s_or_b32 exec_lo, exec_lo, s39
.LBB223_90:                             ;   in Loop: Header=BB223_10 Depth=1
	s_delay_alu instid0(SALU_CYCLE_1) | instskip(SKIP_1) | instid1(VALU_DEP_1)
	s_or_b32 exec_lo, exec_lo, s3
	v_add_co_u32 v43, s1, 0x100, v41
	v_add_co_ci_u32_e64 v44, s1, 0, v42, s1
	s_mov_b32 s3, exec_lo
	global_load_u8 v67, v[43:44], off offset:8
	s_waitcnt vmcnt(0)
	v_cmpx_ne_u16_e32 0, v67
	s_cbranch_execz .LBB223_98
; %bb.91:                               ;   in Loop: Header=BB223_10 Depth=1
	v_bfrev_b32_e32 v65, 1
	s_mov_b32 s39, exec_lo
	v_cmpx_ne_u16_e32 0x80, v67
	s_cbranch_execz .LBB223_97
; %bb.92:                               ;   in Loop: Header=BB223_10 Depth=1
	v_and_b32_e32 v35, 0xffff, v67
	v_mov_b32_e32 v65, 0x7f800001
	s_mov_b32 s40, exec_lo
	s_delay_alu instid0(VALU_DEP_2) | instskip(NEXT) | instid1(VALU_DEP_1)
	v_and_b32_e32 v68, 0x7f, v35
	v_cmpx_ne_u32_e32 0x7f, v68
	s_cbranch_execz .LBB223_96
; %bb.93:                               ;   in Loop: Header=BB223_10 Depth=1
	v_and_b32_e32 v35, 7, v35
	v_lshrrev_b32_e32 v65, 3, v68
	s_mov_b32 s41, exec_lo
	v_cmpx_gt_u32_e32 8, v68
; %bb.94:                               ;   in Loop: Header=BB223_10 Depth=1
	s_delay_alu instid0(VALU_DEP_3) | instskip(NEXT) | instid1(VALU_DEP_1)
	v_clz_i32_u32_e32 v65, v35
	v_min_u32_e32 v65, 32, v65
	s_delay_alu instid0(VALU_DEP_1) | instskip(SKIP_1) | instid1(VALU_DEP_2)
	v_subrev_nc_u32_e32 v68, 28, v65
	v_sub_nc_u32_e32 v65, 29, v65
	v_lshlrev_b64 v[68:69], v68, v[35:36]
	s_delay_alu instid0(VALU_DEP_1)
	v_and_b32_e32 v35, 7, v68
; %bb.95:                               ;   in Loop: Header=BB223_10 Depth=1
	s_or_b32 exec_lo, exec_lo, s41
	v_lshlrev_b32_e32 v67, 24, v67
	s_delay_alu instid0(VALU_DEP_2) | instskip(SKIP_1) | instid1(VALU_DEP_3)
	v_lshlrev_b32_e32 v35, 20, v35
	v_lshl_add_u32 v65, v65, 23, 0x3c000000
	v_and_b32_e32 v67, 0x80000000, v67
	s_delay_alu instid0(VALU_DEP_1)
	v_or3_b32 v65, v35, v67, v65
.LBB223_96:                             ;   in Loop: Header=BB223_10 Depth=1
	s_or_b32 exec_lo, exec_lo, s40
.LBB223_97:                             ;   in Loop: Header=BB223_10 Depth=1
	s_delay_alu instid0(SALU_CYCLE_1)
	s_or_b32 exec_lo, exec_lo, s39
.LBB223_98:                             ;   in Loop: Header=BB223_10 Depth=1
	s_delay_alu instid0(SALU_CYCLE_1)
	s_or_b32 exec_lo, exec_lo, s3
	global_load_u8 v43, v[43:44], off offset:12
	v_dual_mov_b32 v67, 0 :: v_dual_mov_b32 v68, 0
	s_mov_b32 s3, exec_lo
	s_waitcnt vmcnt(0)
	v_cmpx_ne_u16_e32 0, v43
	s_cbranch_execz .LBB223_106
; %bb.99:                               ;   in Loop: Header=BB223_10 Depth=1
	v_bfrev_b32_e32 v68, 1
	s_mov_b32 s39, exec_lo
	v_cmpx_ne_u16_e32 0x80, v43
	s_cbranch_execz .LBB223_105
; %bb.100:                              ;   in Loop: Header=BB223_10 Depth=1
	v_and_b32_e32 v35, 0xffff, v43
	v_mov_b32_e32 v68, 0x7f800001
	s_mov_b32 s40, exec_lo
	s_delay_alu instid0(VALU_DEP_2) | instskip(NEXT) | instid1(VALU_DEP_1)
	v_and_b32_e32 v69, 0x7f, v35
	v_cmpx_ne_u32_e32 0x7f, v69
	s_cbranch_execz .LBB223_104
; %bb.101:                              ;   in Loop: Header=BB223_10 Depth=1
	v_and_b32_e32 v35, 7, v35
	v_lshrrev_b32_e32 v44, 3, v69
	s_mov_b32 s41, exec_lo
	v_cmpx_gt_u32_e32 8, v69
; %bb.102:                              ;   in Loop: Header=BB223_10 Depth=1
	s_delay_alu instid0(VALU_DEP_3) | instskip(NEXT) | instid1(VALU_DEP_1)
	v_clz_i32_u32_e32 v44, v35
	v_min_u32_e32 v44, 32, v44
	s_delay_alu instid0(VALU_DEP_1) | instskip(SKIP_1) | instid1(VALU_DEP_2)
	v_subrev_nc_u32_e32 v68, 28, v44
	v_sub_nc_u32_e32 v44, 29, v44
	v_lshlrev_b64 v[68:69], v68, v[35:36]
	s_delay_alu instid0(VALU_DEP_1)
	v_and_b32_e32 v35, 7, v68
; %bb.103:                              ;   in Loop: Header=BB223_10 Depth=1
	s_or_b32 exec_lo, exec_lo, s41
	v_lshlrev_b32_e32 v43, 24, v43
	s_delay_alu instid0(VALU_DEP_2) | instskip(SKIP_1) | instid1(VALU_DEP_3)
	v_lshlrev_b32_e32 v35, 20, v35
	v_lshl_add_u32 v44, v44, 23, 0x3c000000
	v_and_b32_e32 v43, 0x80000000, v43
	s_delay_alu instid0(VALU_DEP_1)
	v_or3_b32 v68, v35, v43, v44
.LBB223_104:                            ;   in Loop: Header=BB223_10 Depth=1
	s_or_b32 exec_lo, exec_lo, s40
.LBB223_105:                            ;   in Loop: Header=BB223_10 Depth=1
	s_delay_alu instid0(SALU_CYCLE_1)
	s_or_b32 exec_lo, exec_lo, s39
.LBB223_106:                            ;   in Loop: Header=BB223_10 Depth=1
	s_delay_alu instid0(SALU_CYCLE_1)
	s_or_b32 exec_lo, exec_lo, s3
	global_load_u8 v43, v[41:42], off offset:384
	s_mov_b32 s3, exec_lo
	s_waitcnt vmcnt(0)
	v_cmpx_ne_u16_e32 0, v43
	s_cbranch_execz .LBB223_114
; %bb.107:                              ;   in Loop: Header=BB223_10 Depth=1
	v_bfrev_b32_e32 v67, 1
	s_mov_b32 s39, exec_lo
	v_cmpx_ne_u16_e32 0x80, v43
	s_cbranch_execz .LBB223_113
; %bb.108:                              ;   in Loop: Header=BB223_10 Depth=1
	v_and_b32_e32 v35, 0xffff, v43
	v_mov_b32_e32 v67, 0x7f800001
	s_mov_b32 s40, exec_lo
	s_delay_alu instid0(VALU_DEP_2) | instskip(NEXT) | instid1(VALU_DEP_1)
	v_and_b32_e32 v69, 0x7f, v35
	v_cmpx_ne_u32_e32 0x7f, v69
	s_cbranch_execz .LBB223_112
; %bb.109:                              ;   in Loop: Header=BB223_10 Depth=1
	v_and_b32_e32 v35, 7, v35
	v_lshrrev_b32_e32 v44, 3, v69
	s_mov_b32 s41, exec_lo
	v_cmpx_gt_u32_e32 8, v69
; %bb.110:                              ;   in Loop: Header=BB223_10 Depth=1
	s_delay_alu instid0(VALU_DEP_3) | instskip(NEXT) | instid1(VALU_DEP_1)
	v_clz_i32_u32_e32 v44, v35
	v_min_u32_e32 v44, 32, v44
	s_delay_alu instid0(VALU_DEP_1) | instskip(SKIP_1) | instid1(VALU_DEP_2)
	v_subrev_nc_u32_e32 v67, 28, v44
	v_sub_nc_u32_e32 v44, 29, v44
	v_lshlrev_b64 v[69:70], v67, v[35:36]
	s_delay_alu instid0(VALU_DEP_1)
	v_and_b32_e32 v35, 7, v69
; %bb.111:                              ;   in Loop: Header=BB223_10 Depth=1
	s_or_b32 exec_lo, exec_lo, s41
	v_lshlrev_b32_e32 v43, 24, v43
	s_delay_alu instid0(VALU_DEP_2) | instskip(SKIP_1) | instid1(VALU_DEP_3)
	v_lshlrev_b32_e32 v35, 20, v35
	v_lshl_add_u32 v44, v44, 23, 0x3c000000
	v_and_b32_e32 v43, 0x80000000, v43
	s_delay_alu instid0(VALU_DEP_1)
	v_or3_b32 v67, v35, v43, v44
.LBB223_112:                            ;   in Loop: Header=BB223_10 Depth=1
	s_or_b32 exec_lo, exec_lo, s40
.LBB223_113:                            ;   in Loop: Header=BB223_10 Depth=1
	s_delay_alu instid0(SALU_CYCLE_1)
	s_or_b32 exec_lo, exec_lo, s39
.LBB223_114:                            ;   in Loop: Header=BB223_10 Depth=1
	s_delay_alu instid0(SALU_CYCLE_1)
	s_or_b32 exec_lo, exec_lo, s3
	global_load_u8 v43, v[41:42], off offset:388
	v_dual_mov_b32 v69, 0 :: v_dual_mov_b32 v70, 0
	s_mov_b32 s3, exec_lo
	s_waitcnt vmcnt(0)
	v_cmpx_ne_u16_e32 0, v43
	s_cbranch_execz .LBB223_122
; %bb.115:                              ;   in Loop: Header=BB223_10 Depth=1
	v_bfrev_b32_e32 v70, 1
	s_mov_b32 s39, exec_lo
	v_cmpx_ne_u16_e32 0x80, v43
	s_cbranch_execz .LBB223_121
; %bb.116:                              ;   in Loop: Header=BB223_10 Depth=1
	v_and_b32_e32 v35, 0xffff, v43
	v_mov_b32_e32 v70, 0x7f800001
	s_mov_b32 s40, exec_lo
	s_delay_alu instid0(VALU_DEP_2) | instskip(NEXT) | instid1(VALU_DEP_1)
	v_and_b32_e32 v71, 0x7f, v35
	v_cmpx_ne_u32_e32 0x7f, v71
	s_cbranch_execz .LBB223_120
; %bb.117:                              ;   in Loop: Header=BB223_10 Depth=1
	v_and_b32_e32 v35, 7, v35
	v_lshrrev_b32_e32 v44, 3, v71
	s_mov_b32 s41, exec_lo
	v_cmpx_gt_u32_e32 8, v71
; %bb.118:                              ;   in Loop: Header=BB223_10 Depth=1
	s_delay_alu instid0(VALU_DEP_3) | instskip(NEXT) | instid1(VALU_DEP_1)
	v_clz_i32_u32_e32 v44, v35
	v_min_u32_e32 v44, 32, v44
	s_delay_alu instid0(VALU_DEP_1) | instskip(SKIP_1) | instid1(VALU_DEP_2)
	v_subrev_nc_u32_e32 v70, 28, v44
	v_sub_nc_u32_e32 v44, 29, v44
	v_lshlrev_b64 v[70:71], v70, v[35:36]
	s_delay_alu instid0(VALU_DEP_1)
	v_and_b32_e32 v35, 7, v70
; %bb.119:                              ;   in Loop: Header=BB223_10 Depth=1
	s_or_b32 exec_lo, exec_lo, s41
	v_lshlrev_b32_e32 v43, 24, v43
	s_delay_alu instid0(VALU_DEP_2) | instskip(SKIP_1) | instid1(VALU_DEP_3)
	v_lshlrev_b32_e32 v35, 20, v35
	v_lshl_add_u32 v44, v44, 23, 0x3c000000
	v_and_b32_e32 v43, 0x80000000, v43
	s_delay_alu instid0(VALU_DEP_1)
	v_or3_b32 v70, v35, v43, v44
.LBB223_120:                            ;   in Loop: Header=BB223_10 Depth=1
	s_or_b32 exec_lo, exec_lo, s40
.LBB223_121:                            ;   in Loop: Header=BB223_10 Depth=1
	s_delay_alu instid0(SALU_CYCLE_1)
	s_or_b32 exec_lo, exec_lo, s39
.LBB223_122:                            ;   in Loop: Header=BB223_10 Depth=1
	s_delay_alu instid0(SALU_CYCLE_1) | instskip(SKIP_1) | instid1(VALU_DEP_1)
	s_or_b32 exec_lo, exec_lo, s3
	v_add_co_u32 v43, s1, 0x180, v41
	v_add_co_ci_u32_e64 v44, s1, 0, v42, s1
	s_mov_b32 s3, exec_lo
	global_load_u8 v71, v[43:44], off offset:8
	s_waitcnt vmcnt(0)
	v_cmpx_ne_u16_e32 0, v71
	s_cbranch_execz .LBB223_130
; %bb.123:                              ;   in Loop: Header=BB223_10 Depth=1
	v_bfrev_b32_e32 v69, 1
	s_mov_b32 s39, exec_lo
	v_cmpx_ne_u16_e32 0x80, v71
	s_cbranch_execz .LBB223_129
; %bb.124:                              ;   in Loop: Header=BB223_10 Depth=1
	v_and_b32_e32 v35, 0xffff, v71
	v_mov_b32_e32 v69, 0x7f800001
	s_mov_b32 s40, exec_lo
	s_delay_alu instid0(VALU_DEP_2) | instskip(NEXT) | instid1(VALU_DEP_1)
	v_and_b32_e32 v72, 0x7f, v35
	v_cmpx_ne_u32_e32 0x7f, v72
	s_cbranch_execz .LBB223_128
; %bb.125:                              ;   in Loop: Header=BB223_10 Depth=1
	v_and_b32_e32 v35, 7, v35
	v_lshrrev_b32_e32 v69, 3, v72
	s_mov_b32 s41, exec_lo
	v_cmpx_gt_u32_e32 8, v72
; %bb.126:                              ;   in Loop: Header=BB223_10 Depth=1
	s_delay_alu instid0(VALU_DEP_3) | instskip(NEXT) | instid1(VALU_DEP_1)
	v_clz_i32_u32_e32 v69, v35
	v_min_u32_e32 v69, 32, v69
	s_delay_alu instid0(VALU_DEP_1) | instskip(SKIP_1) | instid1(VALU_DEP_2)
	v_subrev_nc_u32_e32 v72, 28, v69
	v_sub_nc_u32_e32 v69, 29, v69
	v_lshlrev_b64 v[72:73], v72, v[35:36]
	s_delay_alu instid0(VALU_DEP_1)
	v_and_b32_e32 v35, 7, v72
; %bb.127:                              ;   in Loop: Header=BB223_10 Depth=1
	s_or_b32 exec_lo, exec_lo, s41
	v_lshlrev_b32_e32 v71, 24, v71
	s_delay_alu instid0(VALU_DEP_2) | instskip(SKIP_1) | instid1(VALU_DEP_3)
	v_lshlrev_b32_e32 v35, 20, v35
	v_lshl_add_u32 v69, v69, 23, 0x3c000000
	v_and_b32_e32 v71, 0x80000000, v71
	s_delay_alu instid0(VALU_DEP_1)
	v_or3_b32 v69, v35, v71, v69
.LBB223_128:                            ;   in Loop: Header=BB223_10 Depth=1
	s_or_b32 exec_lo, exec_lo, s40
.LBB223_129:                            ;   in Loop: Header=BB223_10 Depth=1
	s_delay_alu instid0(SALU_CYCLE_1)
	s_or_b32 exec_lo, exec_lo, s39
.LBB223_130:                            ;   in Loop: Header=BB223_10 Depth=1
	s_delay_alu instid0(SALU_CYCLE_1)
	s_or_b32 exec_lo, exec_lo, s3
	global_load_u8 v43, v[43:44], off offset:12
	v_dual_mov_b32 v71, 0 :: v_dual_mov_b32 v72, 0
	s_mov_b32 s3, exec_lo
	s_waitcnt vmcnt(0)
	v_cmpx_ne_u16_e32 0, v43
	s_cbranch_execz .LBB223_138
; %bb.131:                              ;   in Loop: Header=BB223_10 Depth=1
	v_bfrev_b32_e32 v72, 1
	s_mov_b32 s39, exec_lo
	v_cmpx_ne_u16_e32 0x80, v43
	s_cbranch_execz .LBB223_137
; %bb.132:                              ;   in Loop: Header=BB223_10 Depth=1
	v_and_b32_e32 v35, 0xffff, v43
	v_mov_b32_e32 v72, 0x7f800001
	s_mov_b32 s40, exec_lo
	s_delay_alu instid0(VALU_DEP_2) | instskip(NEXT) | instid1(VALU_DEP_1)
	v_and_b32_e32 v73, 0x7f, v35
	v_cmpx_ne_u32_e32 0x7f, v73
	s_cbranch_execz .LBB223_136
; %bb.133:                              ;   in Loop: Header=BB223_10 Depth=1
	v_and_b32_e32 v35, 7, v35
	v_lshrrev_b32_e32 v44, 3, v73
	s_mov_b32 s41, exec_lo
	v_cmpx_gt_u32_e32 8, v73
; %bb.134:                              ;   in Loop: Header=BB223_10 Depth=1
	s_delay_alu instid0(VALU_DEP_3) | instskip(NEXT) | instid1(VALU_DEP_1)
	v_clz_i32_u32_e32 v44, v35
	v_min_u32_e32 v44, 32, v44
	s_delay_alu instid0(VALU_DEP_1) | instskip(SKIP_1) | instid1(VALU_DEP_2)
	v_subrev_nc_u32_e32 v72, 28, v44
	v_sub_nc_u32_e32 v44, 29, v44
	v_lshlrev_b64 v[72:73], v72, v[35:36]
	s_delay_alu instid0(VALU_DEP_1)
	v_and_b32_e32 v35, 7, v72
; %bb.135:                              ;   in Loop: Header=BB223_10 Depth=1
	s_or_b32 exec_lo, exec_lo, s41
	v_lshlrev_b32_e32 v43, 24, v43
	s_delay_alu instid0(VALU_DEP_2) | instskip(SKIP_1) | instid1(VALU_DEP_3)
	v_lshlrev_b32_e32 v35, 20, v35
	v_lshl_add_u32 v44, v44, 23, 0x3c000000
	v_and_b32_e32 v43, 0x80000000, v43
	s_delay_alu instid0(VALU_DEP_1)
	v_or3_b32 v72, v35, v43, v44
.LBB223_136:                            ;   in Loop: Header=BB223_10 Depth=1
	s_or_b32 exec_lo, exec_lo, s40
.LBB223_137:                            ;   in Loop: Header=BB223_10 Depth=1
	s_delay_alu instid0(SALU_CYCLE_1)
	s_or_b32 exec_lo, exec_lo, s39
.LBB223_138:                            ;   in Loop: Header=BB223_10 Depth=1
	s_delay_alu instid0(SALU_CYCLE_1)
	s_or_b32 exec_lo, exec_lo, s3
	global_load_u8 v43, v[41:42], off offset:512
	s_mov_b32 s3, exec_lo
	s_waitcnt vmcnt(0)
	v_cmpx_ne_u16_e32 0, v43
	s_cbranch_execz .LBB223_146
; %bb.139:                              ;   in Loop: Header=BB223_10 Depth=1
	v_bfrev_b32_e32 v71, 1
	s_mov_b32 s39, exec_lo
	v_cmpx_ne_u16_e32 0x80, v43
	s_cbranch_execz .LBB223_145
; %bb.140:                              ;   in Loop: Header=BB223_10 Depth=1
	v_and_b32_e32 v35, 0xffff, v43
	v_mov_b32_e32 v71, 0x7f800001
	s_mov_b32 s40, exec_lo
	s_delay_alu instid0(VALU_DEP_2) | instskip(NEXT) | instid1(VALU_DEP_1)
	v_and_b32_e32 v73, 0x7f, v35
	v_cmpx_ne_u32_e32 0x7f, v73
	s_cbranch_execz .LBB223_144
; %bb.141:                              ;   in Loop: Header=BB223_10 Depth=1
	v_and_b32_e32 v35, 7, v35
	v_lshrrev_b32_e32 v44, 3, v73
	s_mov_b32 s41, exec_lo
	v_cmpx_gt_u32_e32 8, v73
; %bb.142:                              ;   in Loop: Header=BB223_10 Depth=1
	s_delay_alu instid0(VALU_DEP_3) | instskip(NEXT) | instid1(VALU_DEP_1)
	v_clz_i32_u32_e32 v44, v35
	v_min_u32_e32 v44, 32, v44
	s_delay_alu instid0(VALU_DEP_1) | instskip(SKIP_1) | instid1(VALU_DEP_2)
	v_subrev_nc_u32_e32 v71, 28, v44
	v_sub_nc_u32_e32 v44, 29, v44
	v_lshlrev_b64 v[73:74], v71, v[35:36]
	s_delay_alu instid0(VALU_DEP_1)
	v_and_b32_e32 v35, 7, v73
; %bb.143:                              ;   in Loop: Header=BB223_10 Depth=1
	s_or_b32 exec_lo, exec_lo, s41
	v_lshlrev_b32_e32 v43, 24, v43
	s_delay_alu instid0(VALU_DEP_2) | instskip(SKIP_1) | instid1(VALU_DEP_3)
	v_lshlrev_b32_e32 v35, 20, v35
	v_lshl_add_u32 v44, v44, 23, 0x3c000000
	v_and_b32_e32 v43, 0x80000000, v43
	s_delay_alu instid0(VALU_DEP_1)
	v_or3_b32 v71, v35, v43, v44
.LBB223_144:                            ;   in Loop: Header=BB223_10 Depth=1
	s_or_b32 exec_lo, exec_lo, s40
.LBB223_145:                            ;   in Loop: Header=BB223_10 Depth=1
	s_delay_alu instid0(SALU_CYCLE_1)
	s_or_b32 exec_lo, exec_lo, s39
.LBB223_146:                            ;   in Loop: Header=BB223_10 Depth=1
	s_delay_alu instid0(SALU_CYCLE_1)
	s_or_b32 exec_lo, exec_lo, s3
	global_load_u8 v43, v[41:42], off offset:516
	v_dual_mov_b32 v73, 0 :: v_dual_mov_b32 v74, 0
	s_mov_b32 s3, exec_lo
	s_waitcnt vmcnt(0)
	v_cmpx_ne_u16_e32 0, v43
	s_cbranch_execz .LBB223_154
; %bb.147:                              ;   in Loop: Header=BB223_10 Depth=1
	v_bfrev_b32_e32 v74, 1
	s_mov_b32 s39, exec_lo
	v_cmpx_ne_u16_e32 0x80, v43
	s_cbranch_execz .LBB223_153
; %bb.148:                              ;   in Loop: Header=BB223_10 Depth=1
	v_and_b32_e32 v35, 0xffff, v43
	v_mov_b32_e32 v74, 0x7f800001
	s_mov_b32 s40, exec_lo
	s_delay_alu instid0(VALU_DEP_2) | instskip(NEXT) | instid1(VALU_DEP_1)
	v_and_b32_e32 v75, 0x7f, v35
	v_cmpx_ne_u32_e32 0x7f, v75
	s_cbranch_execz .LBB223_152
; %bb.149:                              ;   in Loop: Header=BB223_10 Depth=1
	v_and_b32_e32 v35, 7, v35
	v_lshrrev_b32_e32 v44, 3, v75
	s_mov_b32 s41, exec_lo
	v_cmpx_gt_u32_e32 8, v75
; %bb.150:                              ;   in Loop: Header=BB223_10 Depth=1
	s_delay_alu instid0(VALU_DEP_3) | instskip(NEXT) | instid1(VALU_DEP_1)
	v_clz_i32_u32_e32 v44, v35
	v_min_u32_e32 v44, 32, v44
	s_delay_alu instid0(VALU_DEP_1) | instskip(SKIP_1) | instid1(VALU_DEP_2)
	v_subrev_nc_u32_e32 v74, 28, v44
	v_sub_nc_u32_e32 v44, 29, v44
	v_lshlrev_b64 v[74:75], v74, v[35:36]
	s_delay_alu instid0(VALU_DEP_1)
	v_and_b32_e32 v35, 7, v74
; %bb.151:                              ;   in Loop: Header=BB223_10 Depth=1
	s_or_b32 exec_lo, exec_lo, s41
	v_lshlrev_b32_e32 v43, 24, v43
	s_delay_alu instid0(VALU_DEP_2) | instskip(SKIP_1) | instid1(VALU_DEP_3)
	v_lshlrev_b32_e32 v35, 20, v35
	v_lshl_add_u32 v44, v44, 23, 0x3c000000
	v_and_b32_e32 v43, 0x80000000, v43
	s_delay_alu instid0(VALU_DEP_1)
	v_or3_b32 v74, v35, v43, v44
.LBB223_152:                            ;   in Loop: Header=BB223_10 Depth=1
	s_or_b32 exec_lo, exec_lo, s40
.LBB223_153:                            ;   in Loop: Header=BB223_10 Depth=1
	s_delay_alu instid0(SALU_CYCLE_1)
	s_or_b32 exec_lo, exec_lo, s39
.LBB223_154:                            ;   in Loop: Header=BB223_10 Depth=1
	s_delay_alu instid0(SALU_CYCLE_1) | instskip(SKIP_1) | instid1(VALU_DEP_1)
	s_or_b32 exec_lo, exec_lo, s3
	v_add_co_u32 v43, s1, 0x200, v41
	v_add_co_ci_u32_e64 v44, s1, 0, v42, s1
	s_mov_b32 s3, exec_lo
	global_load_u8 v75, v[43:44], off offset:8
	s_waitcnt vmcnt(0)
	v_cmpx_ne_u16_e32 0, v75
	s_cbranch_execz .LBB223_162
; %bb.155:                              ;   in Loop: Header=BB223_10 Depth=1
	v_bfrev_b32_e32 v73, 1
	s_mov_b32 s39, exec_lo
	v_cmpx_ne_u16_e32 0x80, v75
	s_cbranch_execz .LBB223_161
; %bb.156:                              ;   in Loop: Header=BB223_10 Depth=1
	v_and_b32_e32 v35, 0xffff, v75
	v_mov_b32_e32 v73, 0x7f800001
	s_mov_b32 s40, exec_lo
	s_delay_alu instid0(VALU_DEP_2) | instskip(NEXT) | instid1(VALU_DEP_1)
	v_and_b32_e32 v76, 0x7f, v35
	v_cmpx_ne_u32_e32 0x7f, v76
	s_cbranch_execz .LBB223_160
; %bb.157:                              ;   in Loop: Header=BB223_10 Depth=1
	v_and_b32_e32 v35, 7, v35
	v_lshrrev_b32_e32 v73, 3, v76
	s_mov_b32 s41, exec_lo
	v_cmpx_gt_u32_e32 8, v76
; %bb.158:                              ;   in Loop: Header=BB223_10 Depth=1
	s_delay_alu instid0(VALU_DEP_3) | instskip(NEXT) | instid1(VALU_DEP_1)
	v_clz_i32_u32_e32 v73, v35
	v_min_u32_e32 v73, 32, v73
	s_delay_alu instid0(VALU_DEP_1) | instskip(SKIP_1) | instid1(VALU_DEP_2)
	v_subrev_nc_u32_e32 v76, 28, v73
	v_sub_nc_u32_e32 v73, 29, v73
	v_lshlrev_b64 v[76:77], v76, v[35:36]
	s_delay_alu instid0(VALU_DEP_1)
	v_and_b32_e32 v35, 7, v76
; %bb.159:                              ;   in Loop: Header=BB223_10 Depth=1
	s_or_b32 exec_lo, exec_lo, s41
	v_lshlrev_b32_e32 v75, 24, v75
	s_delay_alu instid0(VALU_DEP_2) | instskip(SKIP_1) | instid1(VALU_DEP_3)
	v_lshlrev_b32_e32 v35, 20, v35
	v_lshl_add_u32 v73, v73, 23, 0x3c000000
	v_and_b32_e32 v75, 0x80000000, v75
	s_delay_alu instid0(VALU_DEP_1)
	v_or3_b32 v73, v35, v75, v73
.LBB223_160:                            ;   in Loop: Header=BB223_10 Depth=1
	s_or_b32 exec_lo, exec_lo, s40
.LBB223_161:                            ;   in Loop: Header=BB223_10 Depth=1
	s_delay_alu instid0(SALU_CYCLE_1)
	s_or_b32 exec_lo, exec_lo, s39
.LBB223_162:                            ;   in Loop: Header=BB223_10 Depth=1
	s_delay_alu instid0(SALU_CYCLE_1)
	s_or_b32 exec_lo, exec_lo, s3
	global_load_u8 v43, v[43:44], off offset:12
	v_dual_mov_b32 v75, 0 :: v_dual_mov_b32 v76, 0
	s_mov_b32 s3, exec_lo
	s_waitcnt vmcnt(0)
	v_cmpx_ne_u16_e32 0, v43
	s_cbranch_execz .LBB223_170
; %bb.163:                              ;   in Loop: Header=BB223_10 Depth=1
	v_bfrev_b32_e32 v76, 1
	s_mov_b32 s39, exec_lo
	v_cmpx_ne_u16_e32 0x80, v43
	s_cbranch_execz .LBB223_169
; %bb.164:                              ;   in Loop: Header=BB223_10 Depth=1
	v_and_b32_e32 v35, 0xffff, v43
	v_mov_b32_e32 v76, 0x7f800001
	s_mov_b32 s40, exec_lo
	s_delay_alu instid0(VALU_DEP_2) | instskip(NEXT) | instid1(VALU_DEP_1)
	v_and_b32_e32 v77, 0x7f, v35
	v_cmpx_ne_u32_e32 0x7f, v77
	s_cbranch_execz .LBB223_168
; %bb.165:                              ;   in Loop: Header=BB223_10 Depth=1
	v_and_b32_e32 v35, 7, v35
	v_lshrrev_b32_e32 v44, 3, v77
	s_mov_b32 s41, exec_lo
	v_cmpx_gt_u32_e32 8, v77
; %bb.166:                              ;   in Loop: Header=BB223_10 Depth=1
	s_delay_alu instid0(VALU_DEP_3) | instskip(NEXT) | instid1(VALU_DEP_1)
	v_clz_i32_u32_e32 v44, v35
	v_min_u32_e32 v44, 32, v44
	s_delay_alu instid0(VALU_DEP_1) | instskip(SKIP_1) | instid1(VALU_DEP_2)
	v_subrev_nc_u32_e32 v76, 28, v44
	v_sub_nc_u32_e32 v44, 29, v44
	v_lshlrev_b64 v[76:77], v76, v[35:36]
	s_delay_alu instid0(VALU_DEP_1)
	v_and_b32_e32 v35, 7, v76
; %bb.167:                              ;   in Loop: Header=BB223_10 Depth=1
	s_or_b32 exec_lo, exec_lo, s41
	v_lshlrev_b32_e32 v43, 24, v43
	s_delay_alu instid0(VALU_DEP_2) | instskip(SKIP_1) | instid1(VALU_DEP_3)
	v_lshlrev_b32_e32 v35, 20, v35
	v_lshl_add_u32 v44, v44, 23, 0x3c000000
	v_and_b32_e32 v43, 0x80000000, v43
	s_delay_alu instid0(VALU_DEP_1)
	v_or3_b32 v76, v35, v43, v44
.LBB223_168:                            ;   in Loop: Header=BB223_10 Depth=1
	s_or_b32 exec_lo, exec_lo, s40
.LBB223_169:                            ;   in Loop: Header=BB223_10 Depth=1
	s_delay_alu instid0(SALU_CYCLE_1)
	s_or_b32 exec_lo, exec_lo, s39
.LBB223_170:                            ;   in Loop: Header=BB223_10 Depth=1
	s_delay_alu instid0(SALU_CYCLE_1)
	s_or_b32 exec_lo, exec_lo, s3
	global_load_u8 v43, v[41:42], off offset:640
	s_mov_b32 s3, exec_lo
	s_waitcnt vmcnt(0)
	v_cmpx_ne_u16_e32 0, v43
	s_cbranch_execz .LBB223_178
; %bb.171:                              ;   in Loop: Header=BB223_10 Depth=1
	v_bfrev_b32_e32 v75, 1
	s_mov_b32 s39, exec_lo
	v_cmpx_ne_u16_e32 0x80, v43
	s_cbranch_execz .LBB223_177
; %bb.172:                              ;   in Loop: Header=BB223_10 Depth=1
	v_and_b32_e32 v35, 0xffff, v43
	v_mov_b32_e32 v75, 0x7f800001
	s_mov_b32 s40, exec_lo
	s_delay_alu instid0(VALU_DEP_2) | instskip(NEXT) | instid1(VALU_DEP_1)
	v_and_b32_e32 v77, 0x7f, v35
	v_cmpx_ne_u32_e32 0x7f, v77
	s_cbranch_execz .LBB223_176
; %bb.173:                              ;   in Loop: Header=BB223_10 Depth=1
	v_and_b32_e32 v35, 7, v35
	v_lshrrev_b32_e32 v44, 3, v77
	s_mov_b32 s41, exec_lo
	v_cmpx_gt_u32_e32 8, v77
; %bb.174:                              ;   in Loop: Header=BB223_10 Depth=1
	s_delay_alu instid0(VALU_DEP_3) | instskip(NEXT) | instid1(VALU_DEP_1)
	v_clz_i32_u32_e32 v44, v35
	v_min_u32_e32 v44, 32, v44
	s_delay_alu instid0(VALU_DEP_1) | instskip(SKIP_1) | instid1(VALU_DEP_2)
	v_subrev_nc_u32_e32 v75, 28, v44
	v_sub_nc_u32_e32 v44, 29, v44
	v_lshlrev_b64 v[77:78], v75, v[35:36]
	s_delay_alu instid0(VALU_DEP_1)
	v_and_b32_e32 v35, 7, v77
; %bb.175:                              ;   in Loop: Header=BB223_10 Depth=1
	s_or_b32 exec_lo, exec_lo, s41
	v_lshlrev_b32_e32 v43, 24, v43
	s_delay_alu instid0(VALU_DEP_2) | instskip(SKIP_1) | instid1(VALU_DEP_3)
	v_lshlrev_b32_e32 v35, 20, v35
	v_lshl_add_u32 v44, v44, 23, 0x3c000000
	v_and_b32_e32 v43, 0x80000000, v43
	s_delay_alu instid0(VALU_DEP_1)
	v_or3_b32 v75, v35, v43, v44
.LBB223_176:                            ;   in Loop: Header=BB223_10 Depth=1
	s_or_b32 exec_lo, exec_lo, s40
.LBB223_177:                            ;   in Loop: Header=BB223_10 Depth=1
	s_delay_alu instid0(SALU_CYCLE_1)
	s_or_b32 exec_lo, exec_lo, s39
.LBB223_178:                            ;   in Loop: Header=BB223_10 Depth=1
	s_delay_alu instid0(SALU_CYCLE_1)
	s_or_b32 exec_lo, exec_lo, s3
	global_load_u8 v43, v[41:42], off offset:644
	v_dual_mov_b32 v77, 0 :: v_dual_mov_b32 v78, 0
	s_mov_b32 s3, exec_lo
	s_waitcnt vmcnt(0)
	v_cmpx_ne_u16_e32 0, v43
	s_cbranch_execz .LBB223_186
; %bb.179:                              ;   in Loop: Header=BB223_10 Depth=1
	v_bfrev_b32_e32 v78, 1
	s_mov_b32 s39, exec_lo
	v_cmpx_ne_u16_e32 0x80, v43
	s_cbranch_execz .LBB223_185
; %bb.180:                              ;   in Loop: Header=BB223_10 Depth=1
	v_and_b32_e32 v35, 0xffff, v43
	v_mov_b32_e32 v78, 0x7f800001
	s_mov_b32 s40, exec_lo
	s_delay_alu instid0(VALU_DEP_2) | instskip(NEXT) | instid1(VALU_DEP_1)
	v_and_b32_e32 v79, 0x7f, v35
	v_cmpx_ne_u32_e32 0x7f, v79
	s_cbranch_execz .LBB223_184
; %bb.181:                              ;   in Loop: Header=BB223_10 Depth=1
	v_and_b32_e32 v35, 7, v35
	v_lshrrev_b32_e32 v44, 3, v79
	s_mov_b32 s41, exec_lo
	v_cmpx_gt_u32_e32 8, v79
; %bb.182:                              ;   in Loop: Header=BB223_10 Depth=1
	s_delay_alu instid0(VALU_DEP_3) | instskip(NEXT) | instid1(VALU_DEP_1)
	v_clz_i32_u32_e32 v44, v35
	v_min_u32_e32 v44, 32, v44
	s_delay_alu instid0(VALU_DEP_1) | instskip(SKIP_1) | instid1(VALU_DEP_2)
	v_subrev_nc_u32_e32 v78, 28, v44
	v_sub_nc_u32_e32 v44, 29, v44
	v_lshlrev_b64 v[78:79], v78, v[35:36]
	s_delay_alu instid0(VALU_DEP_1)
	v_and_b32_e32 v35, 7, v78
; %bb.183:                              ;   in Loop: Header=BB223_10 Depth=1
	s_or_b32 exec_lo, exec_lo, s41
	v_lshlrev_b32_e32 v43, 24, v43
	s_delay_alu instid0(VALU_DEP_2) | instskip(SKIP_1) | instid1(VALU_DEP_3)
	v_lshlrev_b32_e32 v35, 20, v35
	v_lshl_add_u32 v44, v44, 23, 0x3c000000
	v_and_b32_e32 v43, 0x80000000, v43
	s_delay_alu instid0(VALU_DEP_1)
	v_or3_b32 v78, v35, v43, v44
.LBB223_184:                            ;   in Loop: Header=BB223_10 Depth=1
	s_or_b32 exec_lo, exec_lo, s40
.LBB223_185:                            ;   in Loop: Header=BB223_10 Depth=1
	s_delay_alu instid0(SALU_CYCLE_1)
	s_or_b32 exec_lo, exec_lo, s39
.LBB223_186:                            ;   in Loop: Header=BB223_10 Depth=1
	s_delay_alu instid0(SALU_CYCLE_1) | instskip(SKIP_1) | instid1(VALU_DEP_1)
	s_or_b32 exec_lo, exec_lo, s3
	v_add_co_u32 v43, s1, 0x280, v41
	v_add_co_ci_u32_e64 v44, s1, 0, v42, s1
	s_mov_b32 s3, exec_lo
	global_load_u8 v79, v[43:44], off offset:8
	s_waitcnt vmcnt(0)
	v_cmpx_ne_u16_e32 0, v79
	s_cbranch_execz .LBB223_194
; %bb.187:                              ;   in Loop: Header=BB223_10 Depth=1
	v_bfrev_b32_e32 v77, 1
	s_mov_b32 s39, exec_lo
	v_cmpx_ne_u16_e32 0x80, v79
	s_cbranch_execz .LBB223_193
; %bb.188:                              ;   in Loop: Header=BB223_10 Depth=1
	v_and_b32_e32 v35, 0xffff, v79
	v_mov_b32_e32 v77, 0x7f800001
	s_mov_b32 s40, exec_lo
	s_delay_alu instid0(VALU_DEP_2) | instskip(NEXT) | instid1(VALU_DEP_1)
	v_and_b32_e32 v80, 0x7f, v35
	v_cmpx_ne_u32_e32 0x7f, v80
	s_cbranch_execz .LBB223_192
; %bb.189:                              ;   in Loop: Header=BB223_10 Depth=1
	v_and_b32_e32 v35, 7, v35
	v_lshrrev_b32_e32 v77, 3, v80
	s_mov_b32 s41, exec_lo
	v_cmpx_gt_u32_e32 8, v80
; %bb.190:                              ;   in Loop: Header=BB223_10 Depth=1
	s_delay_alu instid0(VALU_DEP_3) | instskip(NEXT) | instid1(VALU_DEP_1)
	v_clz_i32_u32_e32 v77, v35
	v_min_u32_e32 v77, 32, v77
	s_delay_alu instid0(VALU_DEP_1) | instskip(SKIP_1) | instid1(VALU_DEP_2)
	v_subrev_nc_u32_e32 v80, 28, v77
	v_sub_nc_u32_e32 v77, 29, v77
	v_lshlrev_b64 v[80:81], v80, v[35:36]
	s_delay_alu instid0(VALU_DEP_1)
	v_and_b32_e32 v35, 7, v80
; %bb.191:                              ;   in Loop: Header=BB223_10 Depth=1
	s_or_b32 exec_lo, exec_lo, s41
	v_lshlrev_b32_e32 v79, 24, v79
	s_delay_alu instid0(VALU_DEP_2) | instskip(SKIP_1) | instid1(VALU_DEP_3)
	v_lshlrev_b32_e32 v35, 20, v35
	v_lshl_add_u32 v77, v77, 23, 0x3c000000
	v_and_b32_e32 v79, 0x80000000, v79
	s_delay_alu instid0(VALU_DEP_1)
	v_or3_b32 v77, v35, v79, v77
.LBB223_192:                            ;   in Loop: Header=BB223_10 Depth=1
	s_or_b32 exec_lo, exec_lo, s40
.LBB223_193:                            ;   in Loop: Header=BB223_10 Depth=1
	s_delay_alu instid0(SALU_CYCLE_1)
	s_or_b32 exec_lo, exec_lo, s39
.LBB223_194:                            ;   in Loop: Header=BB223_10 Depth=1
	s_delay_alu instid0(SALU_CYCLE_1)
	s_or_b32 exec_lo, exec_lo, s3
	global_load_u8 v43, v[43:44], off offset:12
	v_dual_mov_b32 v79, 0 :: v_dual_mov_b32 v80, 0
	s_mov_b32 s3, exec_lo
	s_waitcnt vmcnt(0)
	v_cmpx_ne_u16_e32 0, v43
	s_cbranch_execz .LBB223_202
; %bb.195:                              ;   in Loop: Header=BB223_10 Depth=1
	v_bfrev_b32_e32 v80, 1
	s_mov_b32 s39, exec_lo
	v_cmpx_ne_u16_e32 0x80, v43
	s_cbranch_execz .LBB223_201
; %bb.196:                              ;   in Loop: Header=BB223_10 Depth=1
	v_and_b32_e32 v35, 0xffff, v43
	v_mov_b32_e32 v80, 0x7f800001
	s_mov_b32 s40, exec_lo
	s_delay_alu instid0(VALU_DEP_2) | instskip(NEXT) | instid1(VALU_DEP_1)
	v_and_b32_e32 v81, 0x7f, v35
	v_cmpx_ne_u32_e32 0x7f, v81
	s_cbranch_execz .LBB223_200
; %bb.197:                              ;   in Loop: Header=BB223_10 Depth=1
	v_and_b32_e32 v35, 7, v35
	v_lshrrev_b32_e32 v44, 3, v81
	s_mov_b32 s41, exec_lo
	v_cmpx_gt_u32_e32 8, v81
; %bb.198:                              ;   in Loop: Header=BB223_10 Depth=1
	s_delay_alu instid0(VALU_DEP_3) | instskip(NEXT) | instid1(VALU_DEP_1)
	v_clz_i32_u32_e32 v44, v35
	v_min_u32_e32 v44, 32, v44
	s_delay_alu instid0(VALU_DEP_1) | instskip(SKIP_1) | instid1(VALU_DEP_2)
	v_subrev_nc_u32_e32 v80, 28, v44
	v_sub_nc_u32_e32 v44, 29, v44
	v_lshlrev_b64 v[80:81], v80, v[35:36]
	s_delay_alu instid0(VALU_DEP_1)
	v_and_b32_e32 v35, 7, v80
; %bb.199:                              ;   in Loop: Header=BB223_10 Depth=1
	s_or_b32 exec_lo, exec_lo, s41
	v_lshlrev_b32_e32 v43, 24, v43
	s_delay_alu instid0(VALU_DEP_2) | instskip(SKIP_1) | instid1(VALU_DEP_3)
	v_lshlrev_b32_e32 v35, 20, v35
	v_lshl_add_u32 v44, v44, 23, 0x3c000000
	v_and_b32_e32 v43, 0x80000000, v43
	s_delay_alu instid0(VALU_DEP_1)
	v_or3_b32 v80, v35, v43, v44
.LBB223_200:                            ;   in Loop: Header=BB223_10 Depth=1
	s_or_b32 exec_lo, exec_lo, s40
.LBB223_201:                            ;   in Loop: Header=BB223_10 Depth=1
	s_delay_alu instid0(SALU_CYCLE_1)
	s_or_b32 exec_lo, exec_lo, s39
.LBB223_202:                            ;   in Loop: Header=BB223_10 Depth=1
	s_delay_alu instid0(SALU_CYCLE_1)
	s_or_b32 exec_lo, exec_lo, s3
	global_load_u8 v43, v[41:42], off offset:768
	s_mov_b32 s3, exec_lo
	s_waitcnt vmcnt(0)
	v_cmpx_ne_u16_e32 0, v43
	s_cbranch_execz .LBB223_210
; %bb.203:                              ;   in Loop: Header=BB223_10 Depth=1
	v_bfrev_b32_e32 v79, 1
	s_mov_b32 s39, exec_lo
	v_cmpx_ne_u16_e32 0x80, v43
	s_cbranch_execz .LBB223_209
; %bb.204:                              ;   in Loop: Header=BB223_10 Depth=1
	v_and_b32_e32 v35, 0xffff, v43
	v_mov_b32_e32 v79, 0x7f800001
	s_mov_b32 s40, exec_lo
	s_delay_alu instid0(VALU_DEP_2) | instskip(NEXT) | instid1(VALU_DEP_1)
	v_and_b32_e32 v81, 0x7f, v35
	v_cmpx_ne_u32_e32 0x7f, v81
	s_cbranch_execz .LBB223_208
; %bb.205:                              ;   in Loop: Header=BB223_10 Depth=1
	v_and_b32_e32 v35, 7, v35
	v_lshrrev_b32_e32 v44, 3, v81
	s_mov_b32 s41, exec_lo
	v_cmpx_gt_u32_e32 8, v81
; %bb.206:                              ;   in Loop: Header=BB223_10 Depth=1
	s_delay_alu instid0(VALU_DEP_3) | instskip(NEXT) | instid1(VALU_DEP_1)
	v_clz_i32_u32_e32 v44, v35
	v_min_u32_e32 v44, 32, v44
	s_delay_alu instid0(VALU_DEP_1) | instskip(SKIP_1) | instid1(VALU_DEP_2)
	v_subrev_nc_u32_e32 v79, 28, v44
	v_sub_nc_u32_e32 v44, 29, v44
	v_lshlrev_b64 v[81:82], v79, v[35:36]
	s_delay_alu instid0(VALU_DEP_1)
	v_and_b32_e32 v35, 7, v81
; %bb.207:                              ;   in Loop: Header=BB223_10 Depth=1
	s_or_b32 exec_lo, exec_lo, s41
	v_lshlrev_b32_e32 v43, 24, v43
	s_delay_alu instid0(VALU_DEP_2) | instskip(SKIP_1) | instid1(VALU_DEP_3)
	v_lshlrev_b32_e32 v35, 20, v35
	v_lshl_add_u32 v44, v44, 23, 0x3c000000
	v_and_b32_e32 v43, 0x80000000, v43
	s_delay_alu instid0(VALU_DEP_1)
	v_or3_b32 v79, v35, v43, v44
.LBB223_208:                            ;   in Loop: Header=BB223_10 Depth=1
	s_or_b32 exec_lo, exec_lo, s40
.LBB223_209:                            ;   in Loop: Header=BB223_10 Depth=1
	s_delay_alu instid0(SALU_CYCLE_1)
	s_or_b32 exec_lo, exec_lo, s39
.LBB223_210:                            ;   in Loop: Header=BB223_10 Depth=1
	s_delay_alu instid0(SALU_CYCLE_1)
	s_or_b32 exec_lo, exec_lo, s3
	global_load_u8 v43, v[41:42], off offset:772
	v_dual_mov_b32 v81, 0 :: v_dual_mov_b32 v82, 0
	s_mov_b32 s3, exec_lo
	s_waitcnt vmcnt(0)
	v_cmpx_ne_u16_e32 0, v43
	s_cbranch_execz .LBB223_218
; %bb.211:                              ;   in Loop: Header=BB223_10 Depth=1
	v_bfrev_b32_e32 v82, 1
	s_mov_b32 s39, exec_lo
	v_cmpx_ne_u16_e32 0x80, v43
	s_cbranch_execz .LBB223_217
; %bb.212:                              ;   in Loop: Header=BB223_10 Depth=1
	v_and_b32_e32 v35, 0xffff, v43
	v_mov_b32_e32 v82, 0x7f800001
	s_mov_b32 s40, exec_lo
	s_delay_alu instid0(VALU_DEP_2) | instskip(NEXT) | instid1(VALU_DEP_1)
	v_and_b32_e32 v83, 0x7f, v35
	v_cmpx_ne_u32_e32 0x7f, v83
	s_cbranch_execz .LBB223_216
; %bb.213:                              ;   in Loop: Header=BB223_10 Depth=1
	v_and_b32_e32 v35, 7, v35
	v_lshrrev_b32_e32 v44, 3, v83
	s_mov_b32 s41, exec_lo
	v_cmpx_gt_u32_e32 8, v83
; %bb.214:                              ;   in Loop: Header=BB223_10 Depth=1
	s_delay_alu instid0(VALU_DEP_3) | instskip(NEXT) | instid1(VALU_DEP_1)
	v_clz_i32_u32_e32 v44, v35
	v_min_u32_e32 v44, 32, v44
	s_delay_alu instid0(VALU_DEP_1) | instskip(SKIP_1) | instid1(VALU_DEP_2)
	v_subrev_nc_u32_e32 v82, 28, v44
	v_sub_nc_u32_e32 v44, 29, v44
	v_lshlrev_b64 v[82:83], v82, v[35:36]
	s_delay_alu instid0(VALU_DEP_1)
	v_and_b32_e32 v35, 7, v82
; %bb.215:                              ;   in Loop: Header=BB223_10 Depth=1
	s_or_b32 exec_lo, exec_lo, s41
	v_lshlrev_b32_e32 v43, 24, v43
	s_delay_alu instid0(VALU_DEP_2) | instskip(SKIP_1) | instid1(VALU_DEP_3)
	v_lshlrev_b32_e32 v35, 20, v35
	v_lshl_add_u32 v44, v44, 23, 0x3c000000
	v_and_b32_e32 v43, 0x80000000, v43
	s_delay_alu instid0(VALU_DEP_1)
	v_or3_b32 v82, v35, v43, v44
.LBB223_216:                            ;   in Loop: Header=BB223_10 Depth=1
	s_or_b32 exec_lo, exec_lo, s40
.LBB223_217:                            ;   in Loop: Header=BB223_10 Depth=1
	s_delay_alu instid0(SALU_CYCLE_1)
	s_or_b32 exec_lo, exec_lo, s39
.LBB223_218:                            ;   in Loop: Header=BB223_10 Depth=1
	s_delay_alu instid0(SALU_CYCLE_1) | instskip(SKIP_1) | instid1(VALU_DEP_1)
	s_or_b32 exec_lo, exec_lo, s3
	v_add_co_u32 v43, s1, 0x300, v41
	v_add_co_ci_u32_e64 v44, s1, 0, v42, s1
	s_mov_b32 s3, exec_lo
	global_load_u8 v83, v[43:44], off offset:8
	s_waitcnt vmcnt(0)
	v_cmpx_ne_u16_e32 0, v83
	s_cbranch_execz .LBB223_226
; %bb.219:                              ;   in Loop: Header=BB223_10 Depth=1
	v_bfrev_b32_e32 v81, 1
	s_mov_b32 s39, exec_lo
	v_cmpx_ne_u16_e32 0x80, v83
	s_cbranch_execz .LBB223_225
; %bb.220:                              ;   in Loop: Header=BB223_10 Depth=1
	v_and_b32_e32 v35, 0xffff, v83
	v_mov_b32_e32 v81, 0x7f800001
	s_mov_b32 s40, exec_lo
	s_delay_alu instid0(VALU_DEP_2) | instskip(NEXT) | instid1(VALU_DEP_1)
	v_and_b32_e32 v84, 0x7f, v35
	v_cmpx_ne_u32_e32 0x7f, v84
	s_cbranch_execz .LBB223_224
; %bb.221:                              ;   in Loop: Header=BB223_10 Depth=1
	v_and_b32_e32 v35, 7, v35
	v_lshrrev_b32_e32 v81, 3, v84
	s_mov_b32 s41, exec_lo
	v_cmpx_gt_u32_e32 8, v84
; %bb.222:                              ;   in Loop: Header=BB223_10 Depth=1
	s_delay_alu instid0(VALU_DEP_3) | instskip(NEXT) | instid1(VALU_DEP_1)
	v_clz_i32_u32_e32 v81, v35
	v_min_u32_e32 v81, 32, v81
	s_delay_alu instid0(VALU_DEP_1) | instskip(SKIP_1) | instid1(VALU_DEP_2)
	v_subrev_nc_u32_e32 v84, 28, v81
	v_sub_nc_u32_e32 v81, 29, v81
	v_lshlrev_b64 v[84:85], v84, v[35:36]
	s_delay_alu instid0(VALU_DEP_1)
	v_and_b32_e32 v35, 7, v84
; %bb.223:                              ;   in Loop: Header=BB223_10 Depth=1
	s_or_b32 exec_lo, exec_lo, s41
	v_lshlrev_b32_e32 v83, 24, v83
	s_delay_alu instid0(VALU_DEP_2) | instskip(SKIP_1) | instid1(VALU_DEP_3)
	v_lshlrev_b32_e32 v35, 20, v35
	v_lshl_add_u32 v81, v81, 23, 0x3c000000
	v_and_b32_e32 v83, 0x80000000, v83
	s_delay_alu instid0(VALU_DEP_1)
	v_or3_b32 v81, v35, v83, v81
.LBB223_224:                            ;   in Loop: Header=BB223_10 Depth=1
	s_or_b32 exec_lo, exec_lo, s40
.LBB223_225:                            ;   in Loop: Header=BB223_10 Depth=1
	s_delay_alu instid0(SALU_CYCLE_1)
	s_or_b32 exec_lo, exec_lo, s39
.LBB223_226:                            ;   in Loop: Header=BB223_10 Depth=1
	s_delay_alu instid0(SALU_CYCLE_1)
	s_or_b32 exec_lo, exec_lo, s3
	global_load_u8 v83, v[43:44], off offset:12
	v_dual_mov_b32 v43, 0 :: v_dual_mov_b32 v44, 0
	s_mov_b32 s3, exec_lo
	s_waitcnt vmcnt(0)
	v_cmpx_ne_u16_e32 0, v83
	s_cbranch_execz .LBB223_234
; %bb.227:                              ;   in Loop: Header=BB223_10 Depth=1
	v_bfrev_b32_e32 v44, 1
	s_mov_b32 s39, exec_lo
	v_cmpx_ne_u16_e32 0x80, v83
	s_cbranch_execz .LBB223_233
; %bb.228:                              ;   in Loop: Header=BB223_10 Depth=1
	v_and_b32_e32 v35, 0xffff, v83
	v_mov_b32_e32 v44, 0x7f800001
	s_mov_b32 s40, exec_lo
	s_delay_alu instid0(VALU_DEP_2) | instskip(NEXT) | instid1(VALU_DEP_1)
	v_and_b32_e32 v84, 0x7f, v35
	v_cmpx_ne_u32_e32 0x7f, v84
	s_cbranch_execz .LBB223_232
; %bb.229:                              ;   in Loop: Header=BB223_10 Depth=1
	v_and_b32_e32 v35, 7, v35
	v_lshrrev_b32_e32 v44, 3, v84
	s_mov_b32 s41, exec_lo
	v_cmpx_gt_u32_e32 8, v84
; %bb.230:                              ;   in Loop: Header=BB223_10 Depth=1
	s_delay_alu instid0(VALU_DEP_3) | instskip(NEXT) | instid1(VALU_DEP_1)
	v_clz_i32_u32_e32 v44, v35
	v_min_u32_e32 v44, 32, v44
	s_delay_alu instid0(VALU_DEP_1) | instskip(SKIP_1) | instid1(VALU_DEP_2)
	v_subrev_nc_u32_e32 v84, 28, v44
	v_sub_nc_u32_e32 v44, 29, v44
	v_lshlrev_b64 v[84:85], v84, v[35:36]
	s_delay_alu instid0(VALU_DEP_1)
	v_and_b32_e32 v35, 7, v84
; %bb.231:                              ;   in Loop: Header=BB223_10 Depth=1
	s_or_b32 exec_lo, exec_lo, s41
	v_lshlrev_b32_e32 v83, 24, v83
	s_delay_alu instid0(VALU_DEP_2) | instskip(SKIP_1) | instid1(VALU_DEP_3)
	v_lshlrev_b32_e32 v35, 20, v35
	v_lshl_add_u32 v44, v44, 23, 0x3c000000
	v_and_b32_e32 v83, 0x80000000, v83
	s_delay_alu instid0(VALU_DEP_1)
	v_or3_b32 v44, v35, v83, v44
.LBB223_232:                            ;   in Loop: Header=BB223_10 Depth=1
	s_or_b32 exec_lo, exec_lo, s40
.LBB223_233:                            ;   in Loop: Header=BB223_10 Depth=1
	s_delay_alu instid0(SALU_CYCLE_1)
	s_or_b32 exec_lo, exec_lo, s39
.LBB223_234:                            ;   in Loop: Header=BB223_10 Depth=1
	s_delay_alu instid0(SALU_CYCLE_1)
	s_or_b32 exec_lo, exec_lo, s3
	global_load_u8 v83, v[41:42], off offset:896
	s_mov_b32 s3, exec_lo
	s_waitcnt vmcnt(0)
	v_cmpx_ne_u16_e32 0, v83
	s_cbranch_execz .LBB223_242
; %bb.235:                              ;   in Loop: Header=BB223_10 Depth=1
	v_bfrev_b32_e32 v43, 1
	s_mov_b32 s39, exec_lo
	v_cmpx_ne_u16_e32 0x80, v83
	s_cbranch_execz .LBB223_241
; %bb.236:                              ;   in Loop: Header=BB223_10 Depth=1
	v_and_b32_e32 v35, 0xffff, v83
	v_mov_b32_e32 v43, 0x7f800001
	s_mov_b32 s40, exec_lo
	s_delay_alu instid0(VALU_DEP_2) | instskip(NEXT) | instid1(VALU_DEP_1)
	v_and_b32_e32 v84, 0x7f, v35
	v_cmpx_ne_u32_e32 0x7f, v84
	s_cbranch_execz .LBB223_240
; %bb.237:                              ;   in Loop: Header=BB223_10 Depth=1
	v_and_b32_e32 v35, 7, v35
	v_lshrrev_b32_e32 v43, 3, v84
	s_mov_b32 s41, exec_lo
	v_cmpx_gt_u32_e32 8, v84
; %bb.238:                              ;   in Loop: Header=BB223_10 Depth=1
	s_delay_alu instid0(VALU_DEP_3) | instskip(NEXT) | instid1(VALU_DEP_1)
	v_clz_i32_u32_e32 v43, v35
	v_min_u32_e32 v43, 32, v43
	s_delay_alu instid0(VALU_DEP_1) | instskip(SKIP_1) | instid1(VALU_DEP_2)
	v_subrev_nc_u32_e32 v84, 28, v43
	v_sub_nc_u32_e32 v43, 29, v43
	v_lshlrev_b64 v[84:85], v84, v[35:36]
	s_delay_alu instid0(VALU_DEP_1)
	v_and_b32_e32 v35, 7, v84
; %bb.239:                              ;   in Loop: Header=BB223_10 Depth=1
	s_or_b32 exec_lo, exec_lo, s41
	v_lshlrev_b32_e32 v83, 24, v83
	s_delay_alu instid0(VALU_DEP_2) | instskip(SKIP_1) | instid1(VALU_DEP_3)
	v_lshlrev_b32_e32 v35, 20, v35
	v_lshl_add_u32 v43, v43, 23, 0x3c000000
	v_and_b32_e32 v83, 0x80000000, v83
	s_delay_alu instid0(VALU_DEP_1)
	v_or3_b32 v43, v35, v83, v43
.LBB223_240:                            ;   in Loop: Header=BB223_10 Depth=1
	s_or_b32 exec_lo, exec_lo, s40
.LBB223_241:                            ;   in Loop: Header=BB223_10 Depth=1
	s_delay_alu instid0(SALU_CYCLE_1)
	s_or_b32 exec_lo, exec_lo, s39
.LBB223_242:                            ;   in Loop: Header=BB223_10 Depth=1
	s_delay_alu instid0(SALU_CYCLE_1)
	s_or_b32 exec_lo, exec_lo, s3
	global_load_u8 v85, v[41:42], off offset:900
	v_dual_mov_b32 v83, 0 :: v_dual_mov_b32 v84, 0
	s_mov_b32 s3, exec_lo
	s_waitcnt vmcnt(0)
	v_cmpx_ne_u16_e32 0, v85
	s_cbranch_execz .LBB223_250
; %bb.243:                              ;   in Loop: Header=BB223_10 Depth=1
	v_bfrev_b32_e32 v84, 1
	s_mov_b32 s39, exec_lo
	v_cmpx_ne_u16_e32 0x80, v85
	s_cbranch_execz .LBB223_249
; %bb.244:                              ;   in Loop: Header=BB223_10 Depth=1
	v_and_b32_e32 v35, 0xffff, v85
	v_mov_b32_e32 v84, 0x7f800001
	s_mov_b32 s40, exec_lo
	s_delay_alu instid0(VALU_DEP_2) | instskip(NEXT) | instid1(VALU_DEP_1)
	v_and_b32_e32 v86, 0x7f, v35
	v_cmpx_ne_u32_e32 0x7f, v86
	s_cbranch_execz .LBB223_248
; %bb.245:                              ;   in Loop: Header=BB223_10 Depth=1
	v_and_b32_e32 v35, 7, v35
	v_lshrrev_b32_e32 v84, 3, v86
	s_mov_b32 s41, exec_lo
	v_cmpx_gt_u32_e32 8, v86
; %bb.246:                              ;   in Loop: Header=BB223_10 Depth=1
	s_delay_alu instid0(VALU_DEP_3) | instskip(NEXT) | instid1(VALU_DEP_1)
	v_clz_i32_u32_e32 v84, v35
	v_min_u32_e32 v84, 32, v84
	s_delay_alu instid0(VALU_DEP_1) | instskip(SKIP_1) | instid1(VALU_DEP_2)
	v_subrev_nc_u32_e32 v86, 28, v84
	v_sub_nc_u32_e32 v84, 29, v84
	v_lshlrev_b64 v[86:87], v86, v[35:36]
	s_delay_alu instid0(VALU_DEP_1)
	v_and_b32_e32 v35, 7, v86
; %bb.247:                              ;   in Loop: Header=BB223_10 Depth=1
	s_or_b32 exec_lo, exec_lo, s41
	v_lshlrev_b32_e32 v85, 24, v85
	s_delay_alu instid0(VALU_DEP_2) | instskip(SKIP_1) | instid1(VALU_DEP_3)
	v_lshlrev_b32_e32 v35, 20, v35
	v_lshl_add_u32 v84, v84, 23, 0x3c000000
	v_and_b32_e32 v85, 0x80000000, v85
	s_delay_alu instid0(VALU_DEP_1)
	v_or3_b32 v84, v35, v85, v84
.LBB223_248:                            ;   in Loop: Header=BB223_10 Depth=1
	s_or_b32 exec_lo, exec_lo, s40
.LBB223_249:                            ;   in Loop: Header=BB223_10 Depth=1
	s_delay_alu instid0(SALU_CYCLE_1)
	s_or_b32 exec_lo, exec_lo, s39
.LBB223_250:                            ;   in Loop: Header=BB223_10 Depth=1
	s_delay_alu instid0(SALU_CYCLE_1) | instskip(SKIP_1) | instid1(VALU_DEP_1)
	s_or_b32 exec_lo, exec_lo, s3
	v_add_co_u32 v41, s1, 0x380, v41
	v_add_co_ci_u32_e64 v42, s1, 0, v42, s1
	s_mov_b32 s3, exec_lo
	global_load_u8 v85, v[41:42], off offset:8
	s_waitcnt vmcnt(0)
	v_cmpx_ne_u16_e32 0, v85
	s_cbranch_execz .LBB223_258
; %bb.251:                              ;   in Loop: Header=BB223_10 Depth=1
	v_bfrev_b32_e32 v83, 1
	s_mov_b32 s39, exec_lo
	v_cmpx_ne_u16_e32 0x80, v85
	s_cbranch_execz .LBB223_257
; %bb.252:                              ;   in Loop: Header=BB223_10 Depth=1
	v_and_b32_e32 v35, 0xffff, v85
	v_mov_b32_e32 v83, 0x7f800001
	s_mov_b32 s40, exec_lo
	s_delay_alu instid0(VALU_DEP_2) | instskip(NEXT) | instid1(VALU_DEP_1)
	v_and_b32_e32 v86, 0x7f, v35
	v_cmpx_ne_u32_e32 0x7f, v86
	s_cbranch_execz .LBB223_256
; %bb.253:                              ;   in Loop: Header=BB223_10 Depth=1
	v_and_b32_e32 v35, 7, v35
	v_lshrrev_b32_e32 v83, 3, v86
	s_mov_b32 s41, exec_lo
	v_cmpx_gt_u32_e32 8, v86
; %bb.254:                              ;   in Loop: Header=BB223_10 Depth=1
	s_delay_alu instid0(VALU_DEP_3) | instskip(NEXT) | instid1(VALU_DEP_1)
	v_clz_i32_u32_e32 v83, v35
	v_min_u32_e32 v83, 32, v83
	s_delay_alu instid0(VALU_DEP_1) | instskip(SKIP_1) | instid1(VALU_DEP_2)
	v_subrev_nc_u32_e32 v86, 28, v83
	v_sub_nc_u32_e32 v83, 29, v83
	v_lshlrev_b64 v[86:87], v86, v[35:36]
	s_delay_alu instid0(VALU_DEP_1)
	v_and_b32_e32 v35, 7, v86
; %bb.255:                              ;   in Loop: Header=BB223_10 Depth=1
	s_or_b32 exec_lo, exec_lo, s41
	v_lshlrev_b32_e32 v85, 24, v85
	s_delay_alu instid0(VALU_DEP_2) | instskip(SKIP_1) | instid1(VALU_DEP_3)
	v_lshlrev_b32_e32 v35, 20, v35
	v_lshl_add_u32 v83, v83, 23, 0x3c000000
	v_and_b32_e32 v85, 0x80000000, v85
	s_delay_alu instid0(VALU_DEP_1)
	v_or3_b32 v83, v35, v85, v83
.LBB223_256:                            ;   in Loop: Header=BB223_10 Depth=1
	s_or_b32 exec_lo, exec_lo, s40
.LBB223_257:                            ;   in Loop: Header=BB223_10 Depth=1
	s_delay_alu instid0(SALU_CYCLE_1)
	s_or_b32 exec_lo, exec_lo, s39
.LBB223_258:                            ;   in Loop: Header=BB223_10 Depth=1
	s_delay_alu instid0(SALU_CYCLE_1)
	s_or_b32 exec_lo, exec_lo, s3
	global_load_u8 v41, v[41:42], off offset:12
	v_mov_b32_e32 v35, 0
	s_mov_b32 s3, exec_lo
	s_waitcnt vmcnt(0)
	v_cmpx_ne_u16_e32 0, v41
	s_cbranch_execz .LBB223_266
; %bb.259:                              ;   in Loop: Header=BB223_10 Depth=1
	v_bfrev_b32_e32 v35, 1
	s_mov_b32 s39, exec_lo
	v_cmpx_ne_u16_e32 0x80, v41
	s_cbranch_execz .LBB223_265
; %bb.260:                              ;   in Loop: Header=BB223_10 Depth=1
	v_and_b32_e32 v42, 0xffff, v41
	v_mov_b32_e32 v35, 0x7f800001
	s_mov_b32 s40, exec_lo
	s_delay_alu instid0(VALU_DEP_2) | instskip(NEXT) | instid1(VALU_DEP_1)
	v_and_b32_e32 v85, 0x7f, v42
	v_cmpx_ne_u32_e32 0x7f, v85
	s_cbranch_execz .LBB223_264
; %bb.261:                              ;   in Loop: Header=BB223_10 Depth=1
	v_and_b32_e32 v35, 7, v42
	v_lshrrev_b32_e32 v42, 3, v85
	s_mov_b32 s41, exec_lo
	v_cmpx_gt_u32_e32 8, v85
; %bb.262:                              ;   in Loop: Header=BB223_10 Depth=1
	s_delay_alu instid0(VALU_DEP_3) | instskip(NEXT) | instid1(VALU_DEP_1)
	v_clz_i32_u32_e32 v42, v35
	v_min_u32_e32 v42, 32, v42
	s_delay_alu instid0(VALU_DEP_1) | instskip(SKIP_1) | instid1(VALU_DEP_2)
	v_subrev_nc_u32_e32 v85, 28, v42
	v_sub_nc_u32_e32 v42, 29, v42
	v_lshlrev_b64 v[85:86], v85, v[35:36]
	s_delay_alu instid0(VALU_DEP_1)
	v_and_b32_e32 v35, 7, v85
; %bb.263:                              ;   in Loop: Header=BB223_10 Depth=1
	s_or_b32 exec_lo, exec_lo, s41
	v_lshlrev_b32_e32 v41, 24, v41
	s_delay_alu instid0(VALU_DEP_2) | instskip(SKIP_1) | instid1(VALU_DEP_3)
	v_lshlrev_b32_e32 v35, 20, v35
	v_lshl_add_u32 v42, v42, 23, 0x3c000000
	v_and_b32_e32 v41, 0x80000000, v41
	s_delay_alu instid0(VALU_DEP_1)
	v_or3_b32 v35, v35, v41, v42
.LBB223_264:                            ;   in Loop: Header=BB223_10 Depth=1
	s_or_b32 exec_lo, exec_lo, s40
.LBB223_265:                            ;   in Loop: Header=BB223_10 Depth=1
	s_delay_alu instid0(SALU_CYCLE_1)
	s_or_b32 exec_lo, exec_lo, s39
.LBB223_266:                            ;   in Loop: Header=BB223_10 Depth=1
	s_delay_alu instid0(SALU_CYCLE_1) | instskip(SKIP_4) | instid1(VALU_DEP_3)
	s_or_b32 exec_lo, exec_lo, s3
	s_waitcnt lgkmcnt(0)
	v_dual_mul_f32 v41, s6, v58 :: v_dual_mul_f32 v42, s6, v56
	v_mul_f32_e32 v43, s6, v43
	v_mul_f32_e32 v35, s6, v35
	;; [unrolled: 1-line block ×3, first 2 shown]
	s_delay_alu instid0(VALU_DEP_1) | instskip(SKIP_1) | instid1(VALU_DEP_2)
	v_dual_mul_f32 v56, s6, v57 :: v_dual_fmac_f32 v41, v1, v42
	v_mul_f32_e32 v42, s6, v60
	v_dual_fmac_f32 v41, v3, v56 :: v_dual_mul_f32 v56, s6, v59
	s_delay_alu instid0(VALU_DEP_1) | instskip(NEXT) | instid1(VALU_DEP_1)
	v_fmac_f32_e32 v41, v4, v42
	v_dual_mul_f32 v42, s6, v62 :: v_dual_fmac_f32 v41, v5, v56
	s_delay_alu instid0(VALU_DEP_1) | instskip(SKIP_1) | instid1(VALU_DEP_2)
	v_dual_mul_f32 v56, s6, v61 :: v_dual_fmac_f32 v41, v6, v42
	v_mul_f32_e32 v42, s6, v64
	v_dual_fmac_f32 v41, v7, v56 :: v_dual_mul_f32 v56, s6, v63
	s_delay_alu instid0(VALU_DEP_1) | instskip(NEXT) | instid1(VALU_DEP_1)
	v_fmac_f32_e32 v41, v8, v42
	v_dual_mul_f32 v42, s6, v66 :: v_dual_fmac_f32 v41, v9, v56
	;; [unrolled: 7-line block ×6, first 2 shown]
	s_delay_alu instid0(VALU_DEP_1) | instskip(SKIP_1) | instid1(VALU_DEP_2)
	v_dual_mul_f32 v56, s6, v81 :: v_dual_fmac_f32 v41, v26, v42
	v_mul_f32_e32 v42, s6, v44
	v_fmac_f32_e32 v41, v27, v56
	s_delay_alu instid0(VALU_DEP_1) | instskip(NEXT) | instid1(VALU_DEP_1)
	v_dual_fmac_f32 v41, v28, v42 :: v_dual_mul_f32 v42, s6, v84
	v_fmac_f32_e32 v41, v29, v43
	v_mul_f32_e32 v43, s6, v83
	s_delay_alu instid0(VALU_DEP_2) | instskip(NEXT) | instid1(VALU_DEP_1)
	v_fmac_f32_e32 v41, v30, v42
	v_fmac_f32_e32 v41, v31, v43
	s_delay_alu instid0(VALU_DEP_1)
	v_fmac_f32_e32 v41, v32, v35
	ds_bpermute_b32 v35, v51, v41
	s_waitcnt lgkmcnt(0)
	v_add_f32_e32 v35, v41, v35
	ds_bpermute_b32 v41, v52, v35
	s_and_saveexec_b32 s3, vcc_lo
	s_cbranch_execz .LBB223_9
; %bb.267:                              ;   in Loop: Header=BB223_10 Depth=1
	s_waitcnt lgkmcnt(0)
	v_add_f32_e32 v35, v35, v41
	v_add_nc_u32_e32 v42, s8, v53
	v_cmp_gt_i32_e64 s1, s33, v53
	s_delay_alu instid0(VALU_DEP_2) | instskip(NEXT) | instid1(VALU_DEP_1)
	v_cvt_f32_i32_e32 v42, v42
	v_mul_f32_e32 v42, s37, v42
	s_delay_alu instid0(VALU_DEP_1) | instskip(NEXT) | instid1(VALU_DEP_1)
	v_cndmask_b32_e64 v41, 0, v42, s0
	v_dual_max_f32 v42, v50, v50 :: v_dual_fmac_f32 v41, s35, v35
	s_delay_alu instid0(VALU_DEP_1) | instskip(SKIP_1) | instid1(VALU_DEP_2)
	v_max_f32_e32 v35, v42, v41
	v_cndmask_b32_e64 v41, 0, v41, s1
	v_cndmask_b32_e64 v50, v50, v35, s1
	ds_store_b32 v54, v41
	s_branch .LBB223_9
.LBB223_268:
	s_or_b32 exec_lo, exec_lo, s9
.LBB223_269:
	s_delay_alu instid0(SALU_CYCLE_1) | instskip(SKIP_4) | instid1(VALU_DEP_4)
	s_or_b32 exec_lo, exec_lo, s7
	v_xor_b32_e32 v1, 16, v47
	v_xor_b32_e32 v3, 8, v47
	v_and_b32_e32 v21, 31, v0
	v_max_f32_e32 v5, v50, v50
	v_cmp_lt_i32_e32 vcc_lo, v1, v49
	v_cndmask_b32_e32 v1, v47, v1, vcc_lo
	v_cmp_lt_i32_e32 vcc_lo, v3, v49
	v_cndmask_b32_e32 v3, v47, v3, vcc_lo
	s_delay_alu instid0(VALU_DEP_1) | instskip(NEXT) | instid1(VALU_DEP_4)
	v_lshlrev_b32_e32 v4, 2, v3
	v_lshlrev_b32_e32 v2, 2, v1
	ds_bpermute_b32 v1, v2, v50
	s_waitcnt lgkmcnt(0)
	v_max_f32_e32 v1, v1, v1
	s_delay_alu instid0(VALU_DEP_1)
	v_max_f32_e32 v1, v5, v1
	v_xor_b32_e32 v5, 4, v47
	ds_bpermute_b32 v3, v4, v1
	v_cmp_lt_i32_e32 vcc_lo, v5, v49
	v_cndmask_b32_e32 v5, v47, v5, vcc_lo
	v_cmp_eq_u32_e32 vcc_lo, 0, v21
	s_delay_alu instid0(VALU_DEP_2) | instskip(SKIP_3) | instid1(VALU_DEP_1)
	v_lshlrev_b32_e32 v7, 2, v5
	v_lshlrev_b32_e32 v5, 2, v45
	s_waitcnt lgkmcnt(0)
	v_max_f32_e32 v3, v3, v3
	v_max_f32_e32 v1, v1, v3
	ds_bpermute_b32 v3, v7, v1
	s_and_saveexec_b32 s0, vcc_lo
	s_cbranch_execz .LBB223_271
; %bb.270:
	s_waitcnt lgkmcnt(0)
	v_max_f32_e32 v3, v3, v3
	v_max_f32_e32 v1, v1, v1
	s_delay_alu instid0(VALU_DEP_1)
	v_max_f32_e32 v1, v1, v3
	ds_store_b32 v5, v1 offset:512
.LBB223_271:
	s_or_b32 exec_lo, exec_lo, s0
	v_cmp_gt_u32_e64 s0, 4, v21
	v_dual_mov_b32 v1, 0xff7fffff :: v_dual_lshlrev_b32 v6, 2, v21
	s_waitcnt lgkmcnt(0)
	s_barrier
	buffer_gl0_inv
	s_and_saveexec_b32 s1, s0
	s_cbranch_execz .LBB223_273
; %bb.272:
	ds_load_b32 v1, v6 offset:512
.LBB223_273:
	s_or_b32 exec_lo, exec_lo, s1
	v_xor_b32_e32 v3, 2, v47
	v_xor_b32_e32 v9, 1, v47
	v_mov_b32_e32 v10, 0
	s_delay_alu instid0(VALU_DEP_3) | instskip(NEXT) | instid1(VALU_DEP_1)
	v_cmp_lt_i32_e64 s1, v3, v49
	v_cndmask_b32_e64 v3, v47, v3, s1
	s_delay_alu instid0(VALU_DEP_4) | instskip(NEXT) | instid1(VALU_DEP_2)
	v_cmp_lt_i32_e64 s1, v9, v49
	v_lshlrev_b32_e32 v8, 2, v3
	s_delay_alu instid0(VALU_DEP_2) | instskip(SKIP_1) | instid1(SALU_CYCLE_1)
	v_cndmask_b32_e64 v9, v47, v9, s1
	s_sub_i32 s1, s21, s4
	s_lshl_b32 s1, s1, 3
	s_waitcnt lgkmcnt(0)
	ds_bpermute_b32 v3, v8, v1
	v_max_f32_e32 v1, v1, v1
	v_lshlrev_b32_e32 v22, 2, v9
	v_lshlrev_b32_e32 v9, 2, v47
	s_add_i32 s1, s1, s36
	s_delay_alu instid0(SALU_CYCLE_1) | instskip(NEXT) | instid1(VALU_DEP_1)
	s_min_i32 s1, s1, s33
	v_and_b32_e32 v9, 0xffffff80, v9
	s_sub_i32 s4, s1, s36
	s_delay_alu instid0(SALU_CYCLE_1) | instskip(SKIP_2) | instid1(VALU_DEP_1)
	v_cmp_gt_i32_e64 s1, s4, v0
	s_waitcnt lgkmcnt(0)
	v_max_f32_e32 v3, v3, v3
	v_max_f32_e32 v1, v1, v3
	ds_bpermute_b32 v3, v22, v1
	s_waitcnt lgkmcnt(0)
	v_max_f32_e32 v3, v3, v3
	s_delay_alu instid0(VALU_DEP_1)
	v_max_f32_e32 v1, v1, v3
	v_lshl_add_u32 v3, v0, 2, 0x220
	ds_bpermute_b32 v1, v9, v1
	s_and_saveexec_b32 s6, s1
	s_cbranch_execz .LBB223_277
; %bb.274:
	v_lshl_add_u32 v11, v0, 2, 0x220
	v_mov_b32_e32 v10, 0
	v_mov_b32_e32 v12, v0
	s_mov_b32 s7, 0
	.p2align	6
.LBB223_275:                            ; =>This Inner Loop Header: Depth=1
	ds_load_b32 v13, v11
	v_add_nc_u32_e32 v12, 0x80, v12
	s_delay_alu instid0(VALU_DEP_1) | instskip(NEXT) | instid1(VALU_DEP_1)
	v_cmp_le_i32_e64 s3, s4, v12
	s_or_b32 s7, s3, s7
	s_waitcnt lgkmcnt(0)
	v_sub_f32_e32 v13, v13, v1
	s_delay_alu instid0(VALU_DEP_1) | instskip(NEXT) | instid1(VALU_DEP_1)
	v_mul_f32_e32 v13, 0x3fb8aa3b, v13
	v_exp_f32_e32 v13, v13
	ds_store_b32 v11, v13
	v_dual_add_f32 v10, v10, v13 :: v_dual_add_nc_u32 v11, 0x200, v11
	s_and_not1_b32 exec_lo, exec_lo, s7
	s_cbranch_execnz .LBB223_275
; %bb.276:
	s_or_b32 exec_lo, exec_lo, s7
.LBB223_277:
	s_delay_alu instid0(SALU_CYCLE_1)
	s_or_b32 exec_lo, exec_lo, s6
	ds_bpermute_b32 v2, v2, v10
	s_waitcnt lgkmcnt(0)
	v_add_f32_e32 v2, v10, v2
	ds_bpermute_b32 v4, v4, v2
	s_waitcnt lgkmcnt(0)
	v_add_f32_e32 v2, v2, v4
	;; [unrolled: 3-line block ×5, first 2 shown]
	s_and_saveexec_b32 s3, vcc_lo
	s_cbranch_execz .LBB223_279
; %bb.278:
	ds_store_b32 v5, v2 offset:528
.LBB223_279:
	s_or_b32 exec_lo, exec_lo, s3
	s_waitcnt lgkmcnt(0)
	s_barrier
	buffer_gl0_inv
	s_and_saveexec_b32 s3, s0
	s_cbranch_execz .LBB223_281
; %bb.280:
	ds_load_b32 v2, v6 offset:528
.LBB223_281:
	s_or_b32 exec_lo, exec_lo, s3
	s_waitcnt lgkmcnt(0)
	ds_bpermute_b32 v4, v8, v2
	s_waitcnt lgkmcnt(0)
	v_add_f32_e32 v2, v2, v4
	ds_bpermute_b32 v4, v22, v2
	s_waitcnt lgkmcnt(0)
	v_add_f32_e32 v2, v2, v4
	ds_bpermute_b32 v2, v9, v2
	s_and_saveexec_b32 s0, s1
	s_cbranch_execz .LBB223_284
; %bb.282:
	s_waitcnt lgkmcnt(0)
	v_add_f32_e32 v4, 0x358637bd, v2
	s_mov_b32 s1, 0
	s_delay_alu instid0(VALU_DEP_1) | instskip(SKIP_1) | instid1(VALU_DEP_2)
	v_div_scale_f32 v5, null, v4, v4, 1.0
	v_div_scale_f32 v8, vcc_lo, 1.0, v4, 1.0
	v_rcp_f32_e32 v6, v5
	s_waitcnt_depctr 0xfff
	v_fma_f32 v7, -v5, v6, 1.0
	s_delay_alu instid0(VALU_DEP_1) | instskip(NEXT) | instid1(VALU_DEP_1)
	v_fmac_f32_e32 v6, v7, v6
	v_mul_f32_e32 v7, v8, v6
	s_delay_alu instid0(VALU_DEP_1) | instskip(NEXT) | instid1(VALU_DEP_1)
	v_fma_f32 v9, -v5, v7, v8
	v_fmac_f32_e32 v7, v9, v6
	s_delay_alu instid0(VALU_DEP_1) | instskip(NEXT) | instid1(VALU_DEP_1)
	v_fma_f32 v5, -v5, v7, v8
	v_div_fmas_f32 v5, v5, v6, v7
	s_delay_alu instid0(VALU_DEP_1)
	v_div_fixup_f32 v4, v5, v4, 1.0
	v_mov_b32_e32 v5, v0
.LBB223_283:                            ; =>This Inner Loop Header: Depth=1
	ds_load_b32 v6, v3
	s_waitcnt lgkmcnt(0)
	v_dual_mul_f32 v6, v4, v6 :: v_dual_add_nc_u32 v5, 0x80, v5
	s_delay_alu instid0(VALU_DEP_1) | instskip(SKIP_3) | instid1(SALU_CYCLE_1)
	v_cmp_le_i32_e32 vcc_lo, s4, v5
	ds_store_b32 v3, v6
	v_add_nc_u32_e32 v3, 0x200, v3
	s_or_b32 s1, vcc_lo, s1
	s_and_not1_b32 exec_lo, exec_lo, s1
	s_cbranch_execnz .LBB223_283
.LBB223_284:
	s_or_b32 exec_lo, exec_lo, s0
	s_mul_i32 s0, s15, s14
	s_waitcnt lgkmcnt(0)
	s_mul_i32 s6, s0, s13
	s_mov_b32 s0, exec_lo
	s_barrier
	buffer_gl0_inv
	v_cmpx_eq_u32_e32 0, v0
	s_cbranch_execz .LBB223_286
; %bb.285:
	s_ashr_i32 s7, s6, 31
	s_mul_i32 s38, s15, s24
	s_lshl_b64 s[8:9], s[6:7], 2
	v_mov_b32_e32 v3, 0
	s_add_u32 s1, s18, s8
	s_addc_u32 s3, s19, s9
	s_ashr_i32 s39, s38, 31
	s_delay_alu instid0(SALU_CYCLE_1) | instskip(NEXT) | instid1(SALU_CYCLE_1)
	s_lshl_b64 s[18:19], s[38:39], 2
	s_add_u32 s1, s1, s18
	s_addc_u32 s3, s3, s19
	s_ashr_i32 s13, s12, 31
	s_delay_alu instid0(SALU_CYCLE_1) | instskip(NEXT) | instid1(SALU_CYCLE_1)
	s_lshl_b64 s[38:39], s[12:13], 2
	s_add_u32 s40, s1, s38
	s_addc_u32 s41, s3, s39
	s_add_u32 s1, s16, s8
	s_addc_u32 s3, s17, s9
	s_add_u32 s1, s1, s18
	s_addc_u32 s3, s3, s19
	s_add_u32 s8, s1, s38
	s_addc_u32 s9, s3, s39
	s_clause 0x1
	global_store_b32 v3, v1, s[40:41]
	global_store_b32 v3, v2, s[8:9]
.LBB223_286:
	s_or_b32 exec_lo, exec_lo, s0
	v_dual_mov_b32 v24, 0 :: v_dual_and_b32 v23, 1, v0
	v_dual_mov_b32 v25, 0 :: v_dual_mov_b32 v26, 0
	v_dual_mov_b32 v27, 0 :: v_dual_mov_b32 v28, 0
	;; [unrolled: 1-line block ×3, first 2 shown]
	v_mov_b32_e32 v31, 0
	s_mov_b32 s4, 0
	s_and_saveexec_b32 s1, s2
	s_cbranch_execz .LBB223_562
; %bb.287:
	s_load_b32 s7, s[10:11], 0x0
	v_dual_mov_b32 v30, 0 :: v_dual_lshlrev_b32 v7, 4, v23
	v_dual_mov_b32 v31, 0 :: v_dual_and_b32 v4, 0x7c, v46
	s_ashr_i32 s0, s34, 31
	s_mov_b32 s8, s5
	v_lshlrev_b64 v[1:2], 2, v[33:34]
	s_add_u32 s5, s30, s34
	v_lshl_or_b32 v9, v45, 5, v7
	s_addc_u32 s0, s31, s0
	s_lshl_b64 s[2:3], s[28:29], 2
	v_add_co_u32 v7, s5, s5, v4
	v_dual_mov_b32 v6, 0 :: v_dual_and_b32 v3, 4, v46
	v_lshl_add_u32 v5, v45, 3, s36
	s_add_i32 s25, s25, -1
	v_add_co_ci_u32_e64 v8, null, s0, 0, s5
	s_add_u32 s0, s26, s2
	v_dual_mov_b32 v29, 0 :: v_dual_add_nc_u32 v34, 0x220, v9
	s_addc_u32 s2, s27, s3
	v_add_co_u32 v9, vcc_lo, s0, v1
	v_add3_u32 v32, v5, v3, 3
	v_add_co_ci_u32_e32 v10, vcc_lo, s2, v2, vcc_lo
	v_dual_mov_b32 v28, 0 :: v_dual_mov_b32 v27, 0
	v_dual_mov_b32 v26, 0 :: v_dual_mov_b32 v25, 0
	v_mov_b32_e32 v24, 0
	s_waitcnt lgkmcnt(0)
	s_mov_b32 s9, s7
	s_brev_b32 s5, 1
	s_mov_b32 s3, 0x7f800001
	s_mov_b32 s10, s4
	s_branch .LBB223_289
.LBB223_288:                            ;   in Loop: Header=BB223_289 Depth=1
	s_or_b32 exec_lo, exec_lo, s0
	s_waitcnt lgkmcnt(0)
	v_mul_f32_e32 v15, v2, v46
	v_mul_f32_e32 v14, v2, v38
	v_add_co_u32 v9, s0, v9, 16
	v_add_nc_u32_e32 v32, 32, v32
	s_delay_alu instid0(VALU_DEP_4) | instskip(NEXT) | instid1(VALU_DEP_4)
	v_dual_fmac_f32 v15, v1, v44 :: v_dual_mul_f32 v16, v2, v50
	v_fmac_f32_e32 v14, v1, v37
	v_add_nc_u32_e32 v34, 0x80, v34
	v_add_co_ci_u32_e64 v10, s0, 0, v10, s0
	s_delay_alu instid0(VALU_DEP_4) | instskip(NEXT) | instid1(VALU_DEP_4)
	v_dual_fmac_f32 v15, v3, v43 :: v_dual_fmac_f32 v16, v1, v49
	v_dual_mul_f32 v17, v2, v54 :: v_dual_fmac_f32 v14, v3, v36
	v_mul_f32_e32 v18, v2, v58
	s_delay_alu instid0(VALU_DEP_3) | instskip(SKIP_1) | instid1(VALU_DEP_4)
	v_fmac_f32_e32 v15, v4, v42
	v_mul_f32_e32 v37, v2, v64
	v_dual_fmac_f32 v17, v1, v53 :: v_dual_fmac_f32 v14, v4, v35
	v_dual_fmac_f32 v16, v3, v48 :: v_dual_add_nc_u32 v33, 4, v33
	s_delay_alu instid0(VALU_DEP_3) | instskip(NEXT) | instid1(VALU_DEP_3)
	v_fmac_f32_e32 v37, v1, v63
	v_fmac_f32_e32 v17, v3, v52
	s_delay_alu instid0(VALU_DEP_3) | instskip(SKIP_2) | instid1(VALU_DEP_4)
	v_dual_add_f32 v31, v31, v14 :: v_dual_fmac_f32 v16, v4, v47
	v_mul_f32_e32 v36, v2, v62
	v_mul_f32_e32 v2, v2, v13
	v_dual_fmac_f32 v18, v1, v57 :: v_dual_fmac_f32 v17, v4, v51
	v_dual_add_f32 v30, v30, v15 :: v_dual_fmac_f32 v37, v3, v20
	v_add_f32_e32 v29, v29, v16
	s_delay_alu instid0(VALU_DEP_3)
	v_fmac_f32_e32 v18, v3, v56
	v_fmac_f32_e32 v36, v1, v61
	v_cmp_le_i32_e32 vcc_lo, s21, v33
	v_fmac_f32_e32 v37, v4, v19
	v_add_f32_e32 v28, v28, v17
	v_fmac_f32_e32 v18, v4, v55
	v_fmac_f32_e32 v2, v1, v12
	s_delay_alu instid0(VALU_DEP_4) | instskip(SKIP_1) | instid1(VALU_DEP_3)
	v_dual_fmac_f32 v36, v3, v60 :: v_dual_add_f32 v25, v25, v37
	s_or_b32 s10, vcc_lo, s10
	v_add_f32_e32 v27, v27, v18
	s_delay_alu instid0(VALU_DEP_3) | instskip(NEXT) | instid1(VALU_DEP_3)
	v_fmac_f32_e32 v2, v3, v11
	v_fmac_f32_e32 v36, v4, v59
	s_delay_alu instid0(VALU_DEP_2) | instskip(NEXT) | instid1(VALU_DEP_2)
	v_fmac_f32_e32 v2, v4, v5
	v_add_f32_e32 v26, v26, v36
	s_delay_alu instid0(VALU_DEP_2)
	v_add_f32_e32 v24, v24, v2
	s_and_not1_b32 exec_lo, exec_lo, s10
	s_cbranch_execz .LBB223_561
.LBB223_289:                            ; =>This Inner Loop Header: Depth=1
	global_load_b32 v1, v[9:10], off
	v_mov_b32_e32 v15, 0
	s_mov_b32 s0, exec_lo
	s_waitcnt vmcnt(0)
	v_mad_i64_i32 v[11:12], null, v1, s8, v[7:8]
	ds_load_b128 v[1:4], v34
	global_load_b32 v35, v[11:12], off
	s_waitcnt vmcnt(0)
	v_dual_mov_b32 v16, 0 :: v_dual_and_b32 v5, 0xff, v35
	s_delay_alu instid0(VALU_DEP_1) | instskip(NEXT) | instid1(VALU_DEP_2)
	v_dual_mov_b32 v13, v15 :: v_dual_mov_b32 v14, v16
	v_cmpx_ne_u16_e32 0, v5
	s_cbranch_execz .LBB223_297
; %bb.290:                              ;   in Loop: Header=BB223_289 Depth=1
	v_bfrev_b32_e32 v13, 1
	v_mov_b32_e32 v14, 0
	s_mov_b32 s2, exec_lo
	v_cmpx_ne_u16_e32 0x80, v5
	s_cbranch_execz .LBB223_296
; %bb.291:                              ;   in Loop: Header=BB223_289 Depth=1
	v_mov_b32_e32 v13, 0x7f800001
	v_dual_mov_b32 v14, 0 :: v_dual_and_b32 v17, 0x7f, v35
	s_mov_b32 s11, exec_lo
	s_delay_alu instid0(VALU_DEP_1)
	v_cmpx_ne_u32_e32 0x7f, v17
	s_cbranch_execz .LBB223_295
; %bb.292:                              ;   in Loop: Header=BB223_289 Depth=1
	v_and_b32_e32 v5, 7, v35
	v_lshrrev_b32_e32 v13, 3, v17
	s_mov_b32 s13, exec_lo
	v_cmpx_gt_u32_e32 8, v17
; %bb.293:                              ;   in Loop: Header=BB223_289 Depth=1
	s_delay_alu instid0(VALU_DEP_3) | instskip(NEXT) | instid1(VALU_DEP_1)
	v_clz_i32_u32_e32 v13, v5
	v_min_u32_e32 v13, 32, v13
	s_delay_alu instid0(VALU_DEP_1) | instskip(SKIP_1) | instid1(VALU_DEP_2)
	v_subrev_nc_u32_e32 v14, 28, v13
	v_sub_nc_u32_e32 v13, 29, v13
	v_lshlrev_b64 v[17:18], v14, v[5:6]
	s_delay_alu instid0(VALU_DEP_1)
	v_and_b32_e32 v5, 7, v17
; %bb.294:                              ;   in Loop: Header=BB223_289 Depth=1
	s_or_b32 exec_lo, exec_lo, s13
	v_lshlrev_b32_e32 v14, 24, v35
	s_delay_alu instid0(VALU_DEP_2) | instskip(SKIP_1) | instid1(VALU_DEP_3)
	v_lshlrev_b32_e32 v5, 20, v5
	v_lshl_add_u32 v13, v13, 23, 0x3c000000
	v_and_b32_e32 v14, 0x80000000, v14
	s_delay_alu instid0(VALU_DEP_1) | instskip(NEXT) | instid1(VALU_DEP_1)
	v_or3_b32 v5, v5, v14, v13
	v_dual_mov_b32 v14, v6 :: v_dual_mov_b32 v13, v5
.LBB223_295:                            ;   in Loop: Header=BB223_289 Depth=1
	s_or_b32 exec_lo, exec_lo, s11
.LBB223_296:                            ;   in Loop: Header=BB223_289 Depth=1
	s_delay_alu instid0(SALU_CYCLE_1)
	s_or_b32 exec_lo, exec_lo, s2
.LBB223_297:                            ;   in Loop: Header=BB223_289 Depth=1
	s_delay_alu instid0(SALU_CYCLE_1) | instskip(SKIP_2) | instid1(VALU_DEP_1)
	s_or_b32 exec_lo, exec_lo, s0
	v_lshrrev_b16 v5, 8, v35
	s_mov_b32 s0, exec_lo
	v_cmpx_ne_u16_e32 0, v5
	s_cbranch_execz .LBB223_305
; %bb.298:                              ;   in Loop: Header=BB223_289 Depth=1
	v_dual_mov_b32 v16, s5 :: v_dual_mov_b32 v15, s4
	s_mov_b32 s11, exec_lo
	v_cmpx_ne_u16_e32 0x80, v5
	s_cbranch_execz .LBB223_304
; %bb.299:                              ;   in Loop: Header=BB223_289 Depth=1
	s_mov_b32 s2, s4
	v_dual_mov_b32 v16, s3 :: v_dual_and_b32 v5, 0xffff, v5
	v_mov_b32_e32 v15, s2
	s_mov_b32 s2, exec_lo
	s_delay_alu instid0(VALU_DEP_2) | instskip(NEXT) | instid1(VALU_DEP_1)
	v_and_b32_e32 v17, 0x7f, v5
	v_cmpx_ne_u32_e32 0x7f, v17
	s_cbranch_execz .LBB223_303
; %bb.300:                              ;   in Loop: Header=BB223_289 Depth=1
	v_and_b32_e32 v5, 7, v5
	v_lshrrev_b32_e32 v15, 3, v17
	s_mov_b32 s13, exec_lo
	v_cmpx_gt_u32_e32 8, v17
; %bb.301:                              ;   in Loop: Header=BB223_289 Depth=1
	s_delay_alu instid0(VALU_DEP_3) | instskip(NEXT) | instid1(VALU_DEP_1)
	v_clz_i32_u32_e32 v15, v5
	v_min_u32_e32 v15, 32, v15
	s_delay_alu instid0(VALU_DEP_1) | instskip(SKIP_1) | instid1(VALU_DEP_2)
	v_subrev_nc_u32_e32 v16, 28, v15
	v_sub_nc_u32_e32 v15, 29, v15
	v_lshlrev_b64 v[16:17], v16, v[5:6]
	s_delay_alu instid0(VALU_DEP_1)
	v_and_b32_e32 v5, 7, v16
; %bb.302:                              ;   in Loop: Header=BB223_289 Depth=1
	s_or_b32 exec_lo, exec_lo, s13
	v_lshlrev_b32_e32 v16, 16, v35
	s_delay_alu instid0(VALU_DEP_2) | instskip(SKIP_1) | instid1(VALU_DEP_3)
	v_lshlrev_b32_e32 v5, 20, v5
	v_lshl_add_u32 v15, v15, 23, 0x3c000000
	v_and_b32_e32 v16, 0x80000000, v16
	s_delay_alu instid0(VALU_DEP_1)
	v_or3_b32 v16, v5, v16, v15
	v_mov_b32_e32 v15, v6
.LBB223_303:                            ;   in Loop: Header=BB223_289 Depth=1
	s_or_b32 exec_lo, exec_lo, s2
.LBB223_304:                            ;   in Loop: Header=BB223_289 Depth=1
	s_delay_alu instid0(SALU_CYCLE_1)
	s_or_b32 exec_lo, exec_lo, s11
.LBB223_305:                            ;   in Loop: Header=BB223_289 Depth=1
	s_delay_alu instid0(SALU_CYCLE_1) | instskip(SKIP_4) | instid1(VALU_DEP_2)
	s_or_b32 exec_lo, exec_lo, s0
	v_mov_b32_e32 v19, 0
	v_lshrrev_b32_e32 v36, 16, v35
	v_mov_b32_e32 v20, 0
	s_mov_b32 s0, exec_lo
	v_and_b32_e32 v5, 0xff, v36
	s_delay_alu instid0(VALU_DEP_2) | instskip(NEXT) | instid1(VALU_DEP_2)
	v_dual_mov_b32 v17, v19 :: v_dual_mov_b32 v18, v20
	v_cmpx_ne_u16_e32 0, v5
	s_cbranch_execz .LBB223_313
; %bb.306:                              ;   in Loop: Header=BB223_289 Depth=1
	v_bfrev_b32_e32 v17, 1
	v_mov_b32_e32 v18, 0
	s_mov_b32 s2, exec_lo
	v_cmpx_ne_u16_e32 0x80, v5
	s_cbranch_execz .LBB223_312
; %bb.307:                              ;   in Loop: Header=BB223_289 Depth=1
	v_mov_b32_e32 v17, 0x7f800001
	v_bfe_u32 v37, v35, 16, 7
	v_mov_b32_e32 v18, 0
	s_mov_b32 s11, exec_lo
	s_delay_alu instid0(VALU_DEP_2)
	v_cmpx_ne_u32_e32 0x7f, v37
	s_cbranch_execz .LBB223_311
; %bb.308:                              ;   in Loop: Header=BB223_289 Depth=1
	v_and_b32_e32 v5, 7, v36
	v_lshrrev_b32_e32 v17, 3, v37
	s_mov_b32 s13, exec_lo
	v_cmpx_gt_u32_e32 8, v37
; %bb.309:                              ;   in Loop: Header=BB223_289 Depth=1
	s_delay_alu instid0(VALU_DEP_3) | instskip(NEXT) | instid1(VALU_DEP_1)
	v_clz_i32_u32_e32 v17, v5
	v_min_u32_e32 v17, 32, v17
	s_delay_alu instid0(VALU_DEP_1) | instskip(SKIP_1) | instid1(VALU_DEP_2)
	v_subrev_nc_u32_e32 v18, 28, v17
	v_sub_nc_u32_e32 v17, 29, v17
	v_lshlrev_b64 v[37:38], v18, v[5:6]
	s_delay_alu instid0(VALU_DEP_1)
	v_and_b32_e32 v5, 7, v37
; %bb.310:                              ;   in Loop: Header=BB223_289 Depth=1
	s_or_b32 exec_lo, exec_lo, s13
	v_lshlrev_b32_e32 v18, 24, v36
	s_delay_alu instid0(VALU_DEP_2) | instskip(SKIP_1) | instid1(VALU_DEP_3)
	v_lshlrev_b32_e32 v5, 20, v5
	v_lshl_add_u32 v17, v17, 23, 0x3c000000
	v_and_b32_e32 v18, 0x80000000, v18
	s_delay_alu instid0(VALU_DEP_1) | instskip(NEXT) | instid1(VALU_DEP_1)
	v_or3_b32 v5, v5, v18, v17
	v_dual_mov_b32 v18, v6 :: v_dual_mov_b32 v17, v5
.LBB223_311:                            ;   in Loop: Header=BB223_289 Depth=1
	s_or_b32 exec_lo, exec_lo, s11
.LBB223_312:                            ;   in Loop: Header=BB223_289 Depth=1
	s_delay_alu instid0(SALU_CYCLE_1)
	s_or_b32 exec_lo, exec_lo, s2
.LBB223_313:                            ;   in Loop: Header=BB223_289 Depth=1
	s_delay_alu instid0(SALU_CYCLE_1) | instskip(NEXT) | instid1(SALU_CYCLE_1)
	s_or_b32 exec_lo, exec_lo, s0
	s_mov_b32 s0, exec_lo
	v_cmpx_lt_u32_e32 0xffffff, v35
	s_cbranch_execz .LBB223_321
; %bb.314:                              ;   in Loop: Header=BB223_289 Depth=1
	v_lshrrev_b32_e32 v36, 24, v35
	v_dual_mov_b32 v20, s5 :: v_dual_mov_b32 v19, s4
	s_mov_b32 s11, exec_lo
	s_delay_alu instid0(VALU_DEP_2)
	v_cmpx_ne_u32_e32 0x80, v36
	s_cbranch_execz .LBB223_320
; %bb.315:                              ;   in Loop: Header=BB223_289 Depth=1
	s_mov_b32 s2, s4
	v_bfe_u32 v35, v35, 24, 7
	v_dual_mov_b32 v20, s3 :: v_dual_mov_b32 v19, s2
	s_mov_b32 s2, exec_lo
	s_delay_alu instid0(VALU_DEP_2)
	v_cmpx_ne_u32_e32 0x7f, v35
	s_cbranch_execz .LBB223_319
; %bb.316:                              ;   in Loop: Header=BB223_289 Depth=1
	v_and_b32_e32 v5, 7, v36
	v_lshrrev_b32_e32 v19, 3, v35
	s_mov_b32 s13, exec_lo
	v_cmpx_gt_u32_e32 8, v35
; %bb.317:                              ;   in Loop: Header=BB223_289 Depth=1
	s_delay_alu instid0(VALU_DEP_3) | instskip(NEXT) | instid1(VALU_DEP_1)
	v_clz_i32_u32_e32 v19, v5
	v_min_u32_e32 v19, 32, v19
	s_delay_alu instid0(VALU_DEP_1) | instskip(SKIP_1) | instid1(VALU_DEP_2)
	v_subrev_nc_u32_e32 v20, 28, v19
	v_sub_nc_u32_e32 v19, 29, v19
	v_lshlrev_b64 v[37:38], v20, v[5:6]
	s_delay_alu instid0(VALU_DEP_1)
	v_and_b32_e32 v5, 7, v37
; %bb.318:                              ;   in Loop: Header=BB223_289 Depth=1
	s_or_b32 exec_lo, exec_lo, s13
	v_lshlrev_b32_e32 v20, 24, v36
	s_delay_alu instid0(VALU_DEP_2) | instskip(SKIP_1) | instid1(VALU_DEP_3)
	v_lshlrev_b32_e32 v5, 20, v5
	v_lshl_add_u32 v19, v19, 23, 0x3c000000
	v_and_b32_e32 v20, 0x80000000, v20
	s_delay_alu instid0(VALU_DEP_1)
	v_or3_b32 v20, v5, v20, v19
	v_mov_b32_e32 v19, v6
.LBB223_319:                            ;   in Loop: Header=BB223_289 Depth=1
	s_or_b32 exec_lo, exec_lo, s2
.LBB223_320:                            ;   in Loop: Header=BB223_289 Depth=1
	s_delay_alu instid0(SALU_CYCLE_1)
	s_or_b32 exec_lo, exec_lo, s11
.LBB223_321:                            ;   in Loop: Header=BB223_289 Depth=1
	s_delay_alu instid0(SALU_CYCLE_1) | instskip(SKIP_4) | instid1(VALU_DEP_4)
	s_or_b32 exec_lo, exec_lo, s0
	v_or_b32_e32 v5, v16, v14
	v_or_b32_e32 v13, v15, v13
	;; [unrolled: 1-line block ×4, first 2 shown]
	v_dual_mul_f32 v38, s9, v5 :: v_dual_add_nc_u32 v39, -3, v32
	v_cmp_eq_u32_e32 vcc_lo, s25, v33
	s_delay_alu instid0(VALU_DEP_3)
	v_dual_mul_f32 v37, s7, v13 :: v_dual_mul_f32 v36, s7, v15
	v_dual_mul_f32 v35, s9, v14 :: v_dual_add_nc_u32 v40, -1, v32
	v_add_nc_u32_e32 v41, -2, v32
	s_and_saveexec_b32 s2, vcc_lo
; %bb.322:                              ;   in Loop: Header=BB223_289 Depth=1
	v_cmp_gt_i32_e64 s0, s33, v39
	s_delay_alu instid0(VALU_DEP_1) | instskip(NEXT) | instid1(VALU_DEP_3)
	v_cndmask_b32_e64 v37, 0, v37, s0
	v_cmp_gt_i32_e64 s0, s33, v41
	s_delay_alu instid0(VALU_DEP_1) | instskip(SKIP_1) | instid1(VALU_DEP_1)
	v_cndmask_b32_e64 v38, 0, v38, s0
	v_cmp_gt_i32_e64 s0, s33, v40
	v_cndmask_b32_e64 v36, 0, v36, s0
	v_cmp_gt_i32_e64 s0, s33, v32
	s_delay_alu instid0(VALU_DEP_1)
	v_cndmask_b32_e64 v35, 0, v35, s0
; %bb.323:                              ;   in Loop: Header=BB223_289 Depth=1
	s_or_b32 exec_lo, exec_lo, s2
	global_load_b32 v42, v[11:12], off offset:128
	v_mov_b32_e32 v15, 0
	v_mov_b32_e32 v16, 0
	s_mov_b32 s2, exec_lo
	s_waitcnt vmcnt(0)
	v_and_b32_e32 v5, 0xff, v42
	s_delay_alu instid0(VALU_DEP_2) | instskip(NEXT) | instid1(VALU_DEP_2)
	v_dual_mov_b32 v13, v15 :: v_dual_mov_b32 v14, v16
	v_cmpx_ne_u16_e32 0, v5
	s_cbranch_execz .LBB223_331
; %bb.324:                              ;   in Loop: Header=BB223_289 Depth=1
	v_bfrev_b32_e32 v13, 1
	v_mov_b32_e32 v14, 0
	s_mov_b32 s11, exec_lo
	v_cmpx_ne_u16_e32 0x80, v5
	s_cbranch_execz .LBB223_330
; %bb.325:                              ;   in Loop: Header=BB223_289 Depth=1
	v_mov_b32_e32 v13, 0x7f800001
	v_dual_mov_b32 v14, 0 :: v_dual_and_b32 v17, 0x7f, v42
	s_mov_b32 s13, exec_lo
	s_delay_alu instid0(VALU_DEP_1)
	v_cmpx_ne_u32_e32 0x7f, v17
	s_cbranch_execz .LBB223_329
; %bb.326:                              ;   in Loop: Header=BB223_289 Depth=1
	v_and_b32_e32 v5, 7, v42
	v_lshrrev_b32_e32 v13, 3, v17
	s_mov_b32 s14, exec_lo
	v_cmpx_gt_u32_e32 8, v17
; %bb.327:                              ;   in Loop: Header=BB223_289 Depth=1
	s_delay_alu instid0(VALU_DEP_3) | instskip(NEXT) | instid1(VALU_DEP_1)
	v_clz_i32_u32_e32 v13, v5
	v_min_u32_e32 v13, 32, v13
	s_delay_alu instid0(VALU_DEP_1) | instskip(SKIP_1) | instid1(VALU_DEP_2)
	v_subrev_nc_u32_e32 v14, 28, v13
	v_sub_nc_u32_e32 v13, 29, v13
	v_lshlrev_b64 v[17:18], v14, v[5:6]
	s_delay_alu instid0(VALU_DEP_1)
	v_and_b32_e32 v5, 7, v17
; %bb.328:                              ;   in Loop: Header=BB223_289 Depth=1
	s_or_b32 exec_lo, exec_lo, s14
	v_lshlrev_b32_e32 v14, 24, v42
	s_delay_alu instid0(VALU_DEP_2) | instskip(SKIP_1) | instid1(VALU_DEP_3)
	v_lshlrev_b32_e32 v5, 20, v5
	v_lshl_add_u32 v13, v13, 23, 0x3c000000
	v_and_b32_e32 v14, 0x80000000, v14
	s_delay_alu instid0(VALU_DEP_1) | instskip(NEXT) | instid1(VALU_DEP_1)
	v_or3_b32 v5, v5, v14, v13
	v_dual_mov_b32 v14, v6 :: v_dual_mov_b32 v13, v5
.LBB223_329:                            ;   in Loop: Header=BB223_289 Depth=1
	s_or_b32 exec_lo, exec_lo, s13
.LBB223_330:                            ;   in Loop: Header=BB223_289 Depth=1
	s_delay_alu instid0(SALU_CYCLE_1)
	s_or_b32 exec_lo, exec_lo, s11
.LBB223_331:                            ;   in Loop: Header=BB223_289 Depth=1
	s_delay_alu instid0(SALU_CYCLE_1) | instskip(SKIP_2) | instid1(VALU_DEP_1)
	s_or_b32 exec_lo, exec_lo, s2
	v_lshrrev_b16 v5, 8, v42
	s_mov_b32 s11, exec_lo
	v_cmpx_ne_u16_e32 0, v5
	s_cbranch_execz .LBB223_339
; %bb.332:                              ;   in Loop: Header=BB223_289 Depth=1
	v_dual_mov_b32 v16, s5 :: v_dual_mov_b32 v15, s4
	s_mov_b32 s13, exec_lo
	v_cmpx_ne_u16_e32 0x80, v5
	s_cbranch_execz .LBB223_338
; %bb.333:                              ;   in Loop: Header=BB223_289 Depth=1
	s_mov_b32 s2, s4
	v_dual_mov_b32 v16, s3 :: v_dual_and_b32 v5, 0xffff, v5
	v_mov_b32_e32 v15, s2
	s_mov_b32 s2, exec_lo
	s_delay_alu instid0(VALU_DEP_2) | instskip(NEXT) | instid1(VALU_DEP_1)
	v_and_b32_e32 v17, 0x7f, v5
	v_cmpx_ne_u32_e32 0x7f, v17
	s_cbranch_execz .LBB223_337
; %bb.334:                              ;   in Loop: Header=BB223_289 Depth=1
	v_and_b32_e32 v5, 7, v5
	v_lshrrev_b32_e32 v15, 3, v17
	s_mov_b32 s14, exec_lo
	v_cmpx_gt_u32_e32 8, v17
; %bb.335:                              ;   in Loop: Header=BB223_289 Depth=1
	s_delay_alu instid0(VALU_DEP_3) | instskip(NEXT) | instid1(VALU_DEP_1)
	v_clz_i32_u32_e32 v15, v5
	v_min_u32_e32 v15, 32, v15
	s_delay_alu instid0(VALU_DEP_1) | instskip(SKIP_1) | instid1(VALU_DEP_2)
	v_subrev_nc_u32_e32 v16, 28, v15
	v_sub_nc_u32_e32 v15, 29, v15
	v_lshlrev_b64 v[16:17], v16, v[5:6]
	s_delay_alu instid0(VALU_DEP_1)
	v_and_b32_e32 v5, 7, v16
; %bb.336:                              ;   in Loop: Header=BB223_289 Depth=1
	s_or_b32 exec_lo, exec_lo, s14
	v_lshlrev_b32_e32 v16, 16, v42
	s_delay_alu instid0(VALU_DEP_2) | instskip(SKIP_1) | instid1(VALU_DEP_3)
	v_lshlrev_b32_e32 v5, 20, v5
	v_lshl_add_u32 v15, v15, 23, 0x3c000000
	v_and_b32_e32 v16, 0x80000000, v16
	s_delay_alu instid0(VALU_DEP_1)
	v_or3_b32 v16, v5, v16, v15
	v_mov_b32_e32 v15, v6
.LBB223_337:                            ;   in Loop: Header=BB223_289 Depth=1
	s_or_b32 exec_lo, exec_lo, s2
.LBB223_338:                            ;   in Loop: Header=BB223_289 Depth=1
	s_delay_alu instid0(SALU_CYCLE_1)
	s_or_b32 exec_lo, exec_lo, s13
.LBB223_339:                            ;   in Loop: Header=BB223_289 Depth=1
	s_delay_alu instid0(SALU_CYCLE_1) | instskip(SKIP_4) | instid1(VALU_DEP_2)
	s_or_b32 exec_lo, exec_lo, s11
	v_mov_b32_e32 v19, 0
	v_lshrrev_b32_e32 v43, 16, v42
	v_mov_b32_e32 v20, 0
	s_mov_b32 s2, exec_lo
	v_and_b32_e32 v5, 0xff, v43
	s_delay_alu instid0(VALU_DEP_2) | instskip(NEXT) | instid1(VALU_DEP_2)
	v_dual_mov_b32 v17, v19 :: v_dual_mov_b32 v18, v20
	v_cmpx_ne_u16_e32 0, v5
	s_cbranch_execz .LBB223_347
; %bb.340:                              ;   in Loop: Header=BB223_289 Depth=1
	v_bfrev_b32_e32 v17, 1
	v_mov_b32_e32 v18, 0
	s_mov_b32 s11, exec_lo
	v_cmpx_ne_u16_e32 0x80, v5
	s_cbranch_execz .LBB223_346
; %bb.341:                              ;   in Loop: Header=BB223_289 Depth=1
	v_mov_b32_e32 v17, 0x7f800001
	v_bfe_u32 v44, v42, 16, 7
	v_mov_b32_e32 v18, 0
	s_mov_b32 s13, exec_lo
	s_delay_alu instid0(VALU_DEP_2)
	v_cmpx_ne_u32_e32 0x7f, v44
	s_cbranch_execz .LBB223_345
; %bb.342:                              ;   in Loop: Header=BB223_289 Depth=1
	v_and_b32_e32 v5, 7, v43
	v_lshrrev_b32_e32 v17, 3, v44
	s_mov_b32 s14, exec_lo
	v_cmpx_gt_u32_e32 8, v44
; %bb.343:                              ;   in Loop: Header=BB223_289 Depth=1
	s_delay_alu instid0(VALU_DEP_3) | instskip(NEXT) | instid1(VALU_DEP_1)
	v_clz_i32_u32_e32 v17, v5
	v_min_u32_e32 v17, 32, v17
	s_delay_alu instid0(VALU_DEP_1) | instskip(SKIP_1) | instid1(VALU_DEP_2)
	v_subrev_nc_u32_e32 v18, 28, v17
	v_sub_nc_u32_e32 v17, 29, v17
	v_lshlrev_b64 v[46:47], v18, v[5:6]
	s_delay_alu instid0(VALU_DEP_1)
	v_and_b32_e32 v5, 7, v46
; %bb.344:                              ;   in Loop: Header=BB223_289 Depth=1
	s_or_b32 exec_lo, exec_lo, s14
	v_lshlrev_b32_e32 v18, 24, v43
	s_delay_alu instid0(VALU_DEP_2) | instskip(SKIP_1) | instid1(VALU_DEP_3)
	v_lshlrev_b32_e32 v5, 20, v5
	v_lshl_add_u32 v17, v17, 23, 0x3c000000
	v_and_b32_e32 v18, 0x80000000, v18
	s_delay_alu instid0(VALU_DEP_1) | instskip(NEXT) | instid1(VALU_DEP_1)
	v_or3_b32 v5, v5, v18, v17
	v_dual_mov_b32 v18, v6 :: v_dual_mov_b32 v17, v5
.LBB223_345:                            ;   in Loop: Header=BB223_289 Depth=1
	s_or_b32 exec_lo, exec_lo, s13
.LBB223_346:                            ;   in Loop: Header=BB223_289 Depth=1
	s_delay_alu instid0(SALU_CYCLE_1)
	s_or_b32 exec_lo, exec_lo, s11
.LBB223_347:                            ;   in Loop: Header=BB223_289 Depth=1
	s_delay_alu instid0(SALU_CYCLE_1) | instskip(NEXT) | instid1(SALU_CYCLE_1)
	s_or_b32 exec_lo, exec_lo, s2
	s_mov_b32 s11, exec_lo
	v_cmpx_lt_u32_e32 0xffffff, v42
	s_cbranch_execz .LBB223_355
; %bb.348:                              ;   in Loop: Header=BB223_289 Depth=1
	v_lshrrev_b32_e32 v43, 24, v42
	v_dual_mov_b32 v20, s5 :: v_dual_mov_b32 v19, s4
	s_mov_b32 s13, exec_lo
	s_delay_alu instid0(VALU_DEP_2)
	v_cmpx_ne_u32_e32 0x80, v43
	s_cbranch_execz .LBB223_354
; %bb.349:                              ;   in Loop: Header=BB223_289 Depth=1
	s_mov_b32 s2, s4
	v_bfe_u32 v42, v42, 24, 7
	v_dual_mov_b32 v20, s3 :: v_dual_mov_b32 v19, s2
	s_mov_b32 s2, exec_lo
	s_delay_alu instid0(VALU_DEP_2)
	v_cmpx_ne_u32_e32 0x7f, v42
	s_cbranch_execz .LBB223_353
; %bb.350:                              ;   in Loop: Header=BB223_289 Depth=1
	v_and_b32_e32 v5, 7, v43
	v_lshrrev_b32_e32 v19, 3, v42
	s_mov_b32 s14, exec_lo
	v_cmpx_gt_u32_e32 8, v42
; %bb.351:                              ;   in Loop: Header=BB223_289 Depth=1
	s_delay_alu instid0(VALU_DEP_3) | instskip(NEXT) | instid1(VALU_DEP_1)
	v_clz_i32_u32_e32 v19, v5
	v_min_u32_e32 v19, 32, v19
	s_delay_alu instid0(VALU_DEP_1) | instskip(SKIP_1) | instid1(VALU_DEP_2)
	v_subrev_nc_u32_e32 v20, 28, v19
	v_sub_nc_u32_e32 v19, 29, v19
	v_lshlrev_b64 v[46:47], v20, v[5:6]
	s_delay_alu instid0(VALU_DEP_1)
	v_and_b32_e32 v5, 7, v46
; %bb.352:                              ;   in Loop: Header=BB223_289 Depth=1
	s_or_b32 exec_lo, exec_lo, s14
	v_lshlrev_b32_e32 v20, 24, v43
	s_delay_alu instid0(VALU_DEP_2) | instskip(SKIP_1) | instid1(VALU_DEP_3)
	v_lshlrev_b32_e32 v5, 20, v5
	v_lshl_add_u32 v19, v19, 23, 0x3c000000
	v_and_b32_e32 v20, 0x80000000, v20
	s_delay_alu instid0(VALU_DEP_1)
	v_or3_b32 v20, v5, v20, v19
	v_mov_b32_e32 v19, v6
.LBB223_353:                            ;   in Loop: Header=BB223_289 Depth=1
	s_or_b32 exec_lo, exec_lo, s2
.LBB223_354:                            ;   in Loop: Header=BB223_289 Depth=1
	s_delay_alu instid0(SALU_CYCLE_1)
	s_or_b32 exec_lo, exec_lo, s13
.LBB223_355:                            ;   in Loop: Header=BB223_289 Depth=1
	s_delay_alu instid0(SALU_CYCLE_1) | instskip(SKIP_4) | instid1(VALU_DEP_4)
	s_or_b32 exec_lo, exec_lo, s11
	v_or_b32_e32 v5, v16, v14
	v_or_b32_e32 v13, v15, v13
	;; [unrolled: 1-line block ×4, first 2 shown]
	v_mul_f32_e32 v46, s9, v5
	s_delay_alu instid0(VALU_DEP_4) | instskip(NEXT) | instid1(VALU_DEP_3)
	v_mul_f32_e32 v44, s7, v13
	v_dual_mul_f32 v42, s9, v14 :: v_dual_mul_f32 v43, s7, v15
	s_and_saveexec_b32 s2, vcc_lo
; %bb.356:                              ;   in Loop: Header=BB223_289 Depth=1
	v_cmp_gt_i32_e64 s0, s33, v39
	s_delay_alu instid0(VALU_DEP_1) | instskip(SKIP_1) | instid1(VALU_DEP_1)
	v_cndmask_b32_e64 v44, 0, v44, s0
	v_cmp_gt_i32_e64 s0, s33, v41
	v_cndmask_b32_e64 v46, 0, v46, s0
	v_cmp_gt_i32_e64 s0, s33, v40
	s_delay_alu instid0(VALU_DEP_1) | instskip(SKIP_1) | instid1(VALU_DEP_1)
	v_cndmask_b32_e64 v43, 0, v43, s0
	v_cmp_gt_i32_e64 s0, s33, v32
	v_cndmask_b32_e64 v42, 0, v42, s0
; %bb.357:                              ;   in Loop: Header=BB223_289 Depth=1
	s_or_b32 exec_lo, exec_lo, s2
	global_load_b32 v47, v[11:12], off offset:256
	v_mov_b32_e32 v15, 0
	v_mov_b32_e32 v16, 0
	s_mov_b32 s2, exec_lo
	s_waitcnt vmcnt(0)
	v_and_b32_e32 v5, 0xff, v47
	s_delay_alu instid0(VALU_DEP_2) | instskip(NEXT) | instid1(VALU_DEP_2)
	v_dual_mov_b32 v13, v15 :: v_dual_mov_b32 v14, v16
	v_cmpx_ne_u16_e32 0, v5
	s_cbranch_execz .LBB223_365
; %bb.358:                              ;   in Loop: Header=BB223_289 Depth=1
	v_bfrev_b32_e32 v13, 1
	v_mov_b32_e32 v14, 0
	s_mov_b32 s11, exec_lo
	v_cmpx_ne_u16_e32 0x80, v5
	s_cbranch_execz .LBB223_364
; %bb.359:                              ;   in Loop: Header=BB223_289 Depth=1
	v_mov_b32_e32 v13, 0x7f800001
	v_dual_mov_b32 v14, 0 :: v_dual_and_b32 v17, 0x7f, v47
	s_mov_b32 s13, exec_lo
	s_delay_alu instid0(VALU_DEP_1)
	v_cmpx_ne_u32_e32 0x7f, v17
	s_cbranch_execz .LBB223_363
; %bb.360:                              ;   in Loop: Header=BB223_289 Depth=1
	v_and_b32_e32 v5, 7, v47
	v_lshrrev_b32_e32 v13, 3, v17
	s_mov_b32 s14, exec_lo
	v_cmpx_gt_u32_e32 8, v17
; %bb.361:                              ;   in Loop: Header=BB223_289 Depth=1
	s_delay_alu instid0(VALU_DEP_3) | instskip(NEXT) | instid1(VALU_DEP_1)
	v_clz_i32_u32_e32 v13, v5
	v_min_u32_e32 v13, 32, v13
	s_delay_alu instid0(VALU_DEP_1) | instskip(SKIP_1) | instid1(VALU_DEP_2)
	v_subrev_nc_u32_e32 v14, 28, v13
	v_sub_nc_u32_e32 v13, 29, v13
	v_lshlrev_b64 v[17:18], v14, v[5:6]
	s_delay_alu instid0(VALU_DEP_1)
	v_and_b32_e32 v5, 7, v17
; %bb.362:                              ;   in Loop: Header=BB223_289 Depth=1
	s_or_b32 exec_lo, exec_lo, s14
	v_lshlrev_b32_e32 v14, 24, v47
	s_delay_alu instid0(VALU_DEP_2) | instskip(SKIP_1) | instid1(VALU_DEP_3)
	v_lshlrev_b32_e32 v5, 20, v5
	v_lshl_add_u32 v13, v13, 23, 0x3c000000
	v_and_b32_e32 v14, 0x80000000, v14
	s_delay_alu instid0(VALU_DEP_1) | instskip(NEXT) | instid1(VALU_DEP_1)
	v_or3_b32 v5, v5, v14, v13
	v_dual_mov_b32 v14, v6 :: v_dual_mov_b32 v13, v5
.LBB223_363:                            ;   in Loop: Header=BB223_289 Depth=1
	s_or_b32 exec_lo, exec_lo, s13
.LBB223_364:                            ;   in Loop: Header=BB223_289 Depth=1
	s_delay_alu instid0(SALU_CYCLE_1)
	s_or_b32 exec_lo, exec_lo, s11
.LBB223_365:                            ;   in Loop: Header=BB223_289 Depth=1
	s_delay_alu instid0(SALU_CYCLE_1) | instskip(SKIP_2) | instid1(VALU_DEP_1)
	s_or_b32 exec_lo, exec_lo, s2
	v_lshrrev_b16 v5, 8, v47
	s_mov_b32 s11, exec_lo
	v_cmpx_ne_u16_e32 0, v5
	s_cbranch_execz .LBB223_373
; %bb.366:                              ;   in Loop: Header=BB223_289 Depth=1
	v_dual_mov_b32 v16, s5 :: v_dual_mov_b32 v15, s4
	s_mov_b32 s13, exec_lo
	v_cmpx_ne_u16_e32 0x80, v5
	s_cbranch_execz .LBB223_372
; %bb.367:                              ;   in Loop: Header=BB223_289 Depth=1
	s_mov_b32 s2, s4
	v_dual_mov_b32 v16, s3 :: v_dual_and_b32 v5, 0xffff, v5
	v_mov_b32_e32 v15, s2
	s_mov_b32 s2, exec_lo
	s_delay_alu instid0(VALU_DEP_2) | instskip(NEXT) | instid1(VALU_DEP_1)
	v_and_b32_e32 v17, 0x7f, v5
	v_cmpx_ne_u32_e32 0x7f, v17
	s_cbranch_execz .LBB223_371
; %bb.368:                              ;   in Loop: Header=BB223_289 Depth=1
	v_and_b32_e32 v5, 7, v5
	v_lshrrev_b32_e32 v15, 3, v17
	s_mov_b32 s14, exec_lo
	v_cmpx_gt_u32_e32 8, v17
; %bb.369:                              ;   in Loop: Header=BB223_289 Depth=1
	s_delay_alu instid0(VALU_DEP_3) | instskip(NEXT) | instid1(VALU_DEP_1)
	v_clz_i32_u32_e32 v15, v5
	v_min_u32_e32 v15, 32, v15
	s_delay_alu instid0(VALU_DEP_1) | instskip(SKIP_1) | instid1(VALU_DEP_2)
	v_subrev_nc_u32_e32 v16, 28, v15
	v_sub_nc_u32_e32 v15, 29, v15
	v_lshlrev_b64 v[16:17], v16, v[5:6]
	s_delay_alu instid0(VALU_DEP_1)
	v_and_b32_e32 v5, 7, v16
; %bb.370:                              ;   in Loop: Header=BB223_289 Depth=1
	s_or_b32 exec_lo, exec_lo, s14
	v_lshlrev_b32_e32 v16, 16, v47
	s_delay_alu instid0(VALU_DEP_2) | instskip(SKIP_1) | instid1(VALU_DEP_3)
	v_lshlrev_b32_e32 v5, 20, v5
	v_lshl_add_u32 v15, v15, 23, 0x3c000000
	v_and_b32_e32 v16, 0x80000000, v16
	s_delay_alu instid0(VALU_DEP_1)
	v_or3_b32 v16, v5, v16, v15
	v_mov_b32_e32 v15, v6
.LBB223_371:                            ;   in Loop: Header=BB223_289 Depth=1
	s_or_b32 exec_lo, exec_lo, s2
.LBB223_372:                            ;   in Loop: Header=BB223_289 Depth=1
	s_delay_alu instid0(SALU_CYCLE_1)
	s_or_b32 exec_lo, exec_lo, s13
.LBB223_373:                            ;   in Loop: Header=BB223_289 Depth=1
	s_delay_alu instid0(SALU_CYCLE_1) | instskip(SKIP_4) | instid1(VALU_DEP_2)
	s_or_b32 exec_lo, exec_lo, s11
	v_mov_b32_e32 v19, 0
	v_lshrrev_b32_e32 v48, 16, v47
	v_mov_b32_e32 v20, 0
	s_mov_b32 s2, exec_lo
	v_and_b32_e32 v5, 0xff, v48
	s_delay_alu instid0(VALU_DEP_2) | instskip(NEXT) | instid1(VALU_DEP_2)
	v_dual_mov_b32 v17, v19 :: v_dual_mov_b32 v18, v20
	v_cmpx_ne_u16_e32 0, v5
	s_cbranch_execz .LBB223_381
; %bb.374:                              ;   in Loop: Header=BB223_289 Depth=1
	v_bfrev_b32_e32 v17, 1
	v_mov_b32_e32 v18, 0
	s_mov_b32 s11, exec_lo
	v_cmpx_ne_u16_e32 0x80, v5
	s_cbranch_execz .LBB223_380
; %bb.375:                              ;   in Loop: Header=BB223_289 Depth=1
	v_mov_b32_e32 v17, 0x7f800001
	v_bfe_u32 v49, v47, 16, 7
	v_mov_b32_e32 v18, 0
	s_mov_b32 s13, exec_lo
	s_delay_alu instid0(VALU_DEP_2)
	v_cmpx_ne_u32_e32 0x7f, v49
	s_cbranch_execz .LBB223_379
; %bb.376:                              ;   in Loop: Header=BB223_289 Depth=1
	v_and_b32_e32 v5, 7, v48
	v_lshrrev_b32_e32 v17, 3, v49
	s_mov_b32 s14, exec_lo
	v_cmpx_gt_u32_e32 8, v49
; %bb.377:                              ;   in Loop: Header=BB223_289 Depth=1
	s_delay_alu instid0(VALU_DEP_3) | instskip(NEXT) | instid1(VALU_DEP_1)
	v_clz_i32_u32_e32 v17, v5
	v_min_u32_e32 v17, 32, v17
	s_delay_alu instid0(VALU_DEP_1) | instskip(SKIP_1) | instid1(VALU_DEP_2)
	v_subrev_nc_u32_e32 v18, 28, v17
	v_sub_nc_u32_e32 v17, 29, v17
	v_lshlrev_b64 v[49:50], v18, v[5:6]
	s_delay_alu instid0(VALU_DEP_1)
	v_and_b32_e32 v5, 7, v49
; %bb.378:                              ;   in Loop: Header=BB223_289 Depth=1
	s_or_b32 exec_lo, exec_lo, s14
	v_lshlrev_b32_e32 v18, 24, v48
	s_delay_alu instid0(VALU_DEP_2) | instskip(SKIP_1) | instid1(VALU_DEP_3)
	v_lshlrev_b32_e32 v5, 20, v5
	v_lshl_add_u32 v17, v17, 23, 0x3c000000
	v_and_b32_e32 v18, 0x80000000, v18
	s_delay_alu instid0(VALU_DEP_1) | instskip(NEXT) | instid1(VALU_DEP_1)
	v_or3_b32 v5, v5, v18, v17
	v_dual_mov_b32 v18, v6 :: v_dual_mov_b32 v17, v5
.LBB223_379:                            ;   in Loop: Header=BB223_289 Depth=1
	s_or_b32 exec_lo, exec_lo, s13
.LBB223_380:                            ;   in Loop: Header=BB223_289 Depth=1
	s_delay_alu instid0(SALU_CYCLE_1)
	s_or_b32 exec_lo, exec_lo, s11
.LBB223_381:                            ;   in Loop: Header=BB223_289 Depth=1
	s_delay_alu instid0(SALU_CYCLE_1) | instskip(NEXT) | instid1(SALU_CYCLE_1)
	s_or_b32 exec_lo, exec_lo, s2
	s_mov_b32 s11, exec_lo
	v_cmpx_lt_u32_e32 0xffffff, v47
	s_cbranch_execz .LBB223_389
; %bb.382:                              ;   in Loop: Header=BB223_289 Depth=1
	v_lshrrev_b32_e32 v48, 24, v47
	v_dual_mov_b32 v20, s5 :: v_dual_mov_b32 v19, s4
	s_mov_b32 s13, exec_lo
	s_delay_alu instid0(VALU_DEP_2)
	v_cmpx_ne_u32_e32 0x80, v48
	s_cbranch_execz .LBB223_388
; %bb.383:                              ;   in Loop: Header=BB223_289 Depth=1
	s_mov_b32 s2, s4
	v_bfe_u32 v47, v47, 24, 7
	v_dual_mov_b32 v20, s3 :: v_dual_mov_b32 v19, s2
	s_mov_b32 s2, exec_lo
	s_delay_alu instid0(VALU_DEP_2)
	v_cmpx_ne_u32_e32 0x7f, v47
	s_cbranch_execz .LBB223_387
; %bb.384:                              ;   in Loop: Header=BB223_289 Depth=1
	v_and_b32_e32 v5, 7, v48
	v_lshrrev_b32_e32 v19, 3, v47
	s_mov_b32 s14, exec_lo
	v_cmpx_gt_u32_e32 8, v47
; %bb.385:                              ;   in Loop: Header=BB223_289 Depth=1
	s_delay_alu instid0(VALU_DEP_3) | instskip(NEXT) | instid1(VALU_DEP_1)
	v_clz_i32_u32_e32 v19, v5
	v_min_u32_e32 v19, 32, v19
	s_delay_alu instid0(VALU_DEP_1) | instskip(SKIP_1) | instid1(VALU_DEP_2)
	v_subrev_nc_u32_e32 v20, 28, v19
	v_sub_nc_u32_e32 v19, 29, v19
	v_lshlrev_b64 v[49:50], v20, v[5:6]
	s_delay_alu instid0(VALU_DEP_1)
	v_and_b32_e32 v5, 7, v49
; %bb.386:                              ;   in Loop: Header=BB223_289 Depth=1
	s_or_b32 exec_lo, exec_lo, s14
	v_lshlrev_b32_e32 v20, 24, v48
	s_delay_alu instid0(VALU_DEP_2) | instskip(SKIP_1) | instid1(VALU_DEP_3)
	v_lshlrev_b32_e32 v5, 20, v5
	v_lshl_add_u32 v19, v19, 23, 0x3c000000
	v_and_b32_e32 v20, 0x80000000, v20
	s_delay_alu instid0(VALU_DEP_1)
	v_or3_b32 v20, v5, v20, v19
	v_mov_b32_e32 v19, v6
.LBB223_387:                            ;   in Loop: Header=BB223_289 Depth=1
	s_or_b32 exec_lo, exec_lo, s2
.LBB223_388:                            ;   in Loop: Header=BB223_289 Depth=1
	s_delay_alu instid0(SALU_CYCLE_1)
	s_or_b32 exec_lo, exec_lo, s13
.LBB223_389:                            ;   in Loop: Header=BB223_289 Depth=1
	s_delay_alu instid0(SALU_CYCLE_1) | instskip(SKIP_4) | instid1(VALU_DEP_4)
	s_or_b32 exec_lo, exec_lo, s11
	v_or_b32_e32 v5, v16, v14
	v_or_b32_e32 v13, v15, v13
	;; [unrolled: 1-line block ×4, first 2 shown]
	v_mul_f32_e32 v50, s9, v5
	s_delay_alu instid0(VALU_DEP_4) | instskip(NEXT) | instid1(VALU_DEP_3)
	v_mul_f32_e32 v49, s7, v13
	v_dual_mul_f32 v47, s9, v14 :: v_dual_mul_f32 v48, s7, v15
	s_and_saveexec_b32 s2, vcc_lo
; %bb.390:                              ;   in Loop: Header=BB223_289 Depth=1
	v_cmp_gt_i32_e64 s0, s33, v39
	s_delay_alu instid0(VALU_DEP_1) | instskip(SKIP_1) | instid1(VALU_DEP_1)
	v_cndmask_b32_e64 v49, 0, v49, s0
	v_cmp_gt_i32_e64 s0, s33, v41
	v_cndmask_b32_e64 v50, 0, v50, s0
	v_cmp_gt_i32_e64 s0, s33, v40
	s_delay_alu instid0(VALU_DEP_1) | instskip(SKIP_1) | instid1(VALU_DEP_1)
	v_cndmask_b32_e64 v48, 0, v48, s0
	v_cmp_gt_i32_e64 s0, s33, v32
	v_cndmask_b32_e64 v47, 0, v47, s0
; %bb.391:                              ;   in Loop: Header=BB223_289 Depth=1
	s_or_b32 exec_lo, exec_lo, s2
	global_load_b32 v51, v[11:12], off offset:384
	v_mov_b32_e32 v15, 0
	v_mov_b32_e32 v16, 0
	s_mov_b32 s2, exec_lo
	s_waitcnt vmcnt(0)
	v_and_b32_e32 v5, 0xff, v51
	s_delay_alu instid0(VALU_DEP_2) | instskip(NEXT) | instid1(VALU_DEP_2)
	v_dual_mov_b32 v13, v15 :: v_dual_mov_b32 v14, v16
	v_cmpx_ne_u16_e32 0, v5
	s_cbranch_execz .LBB223_399
; %bb.392:                              ;   in Loop: Header=BB223_289 Depth=1
	v_bfrev_b32_e32 v13, 1
	v_mov_b32_e32 v14, 0
	s_mov_b32 s11, exec_lo
	v_cmpx_ne_u16_e32 0x80, v5
	s_cbranch_execz .LBB223_398
; %bb.393:                              ;   in Loop: Header=BB223_289 Depth=1
	v_mov_b32_e32 v13, 0x7f800001
	v_dual_mov_b32 v14, 0 :: v_dual_and_b32 v17, 0x7f, v51
	s_mov_b32 s13, exec_lo
	s_delay_alu instid0(VALU_DEP_1)
	v_cmpx_ne_u32_e32 0x7f, v17
	s_cbranch_execz .LBB223_397
; %bb.394:                              ;   in Loop: Header=BB223_289 Depth=1
	v_and_b32_e32 v5, 7, v51
	v_lshrrev_b32_e32 v13, 3, v17
	s_mov_b32 s14, exec_lo
	v_cmpx_gt_u32_e32 8, v17
; %bb.395:                              ;   in Loop: Header=BB223_289 Depth=1
	s_delay_alu instid0(VALU_DEP_3) | instskip(NEXT) | instid1(VALU_DEP_1)
	v_clz_i32_u32_e32 v13, v5
	v_min_u32_e32 v13, 32, v13
	s_delay_alu instid0(VALU_DEP_1) | instskip(SKIP_1) | instid1(VALU_DEP_2)
	v_subrev_nc_u32_e32 v14, 28, v13
	v_sub_nc_u32_e32 v13, 29, v13
	v_lshlrev_b64 v[17:18], v14, v[5:6]
	s_delay_alu instid0(VALU_DEP_1)
	v_and_b32_e32 v5, 7, v17
; %bb.396:                              ;   in Loop: Header=BB223_289 Depth=1
	s_or_b32 exec_lo, exec_lo, s14
	v_lshlrev_b32_e32 v14, 24, v51
	s_delay_alu instid0(VALU_DEP_2) | instskip(SKIP_1) | instid1(VALU_DEP_3)
	v_lshlrev_b32_e32 v5, 20, v5
	v_lshl_add_u32 v13, v13, 23, 0x3c000000
	v_and_b32_e32 v14, 0x80000000, v14
	s_delay_alu instid0(VALU_DEP_1) | instskip(NEXT) | instid1(VALU_DEP_1)
	v_or3_b32 v5, v5, v14, v13
	v_dual_mov_b32 v14, v6 :: v_dual_mov_b32 v13, v5
.LBB223_397:                            ;   in Loop: Header=BB223_289 Depth=1
	s_or_b32 exec_lo, exec_lo, s13
.LBB223_398:                            ;   in Loop: Header=BB223_289 Depth=1
	s_delay_alu instid0(SALU_CYCLE_1)
	s_or_b32 exec_lo, exec_lo, s11
.LBB223_399:                            ;   in Loop: Header=BB223_289 Depth=1
	s_delay_alu instid0(SALU_CYCLE_1) | instskip(SKIP_2) | instid1(VALU_DEP_1)
	s_or_b32 exec_lo, exec_lo, s2
	v_lshrrev_b16 v5, 8, v51
	s_mov_b32 s11, exec_lo
	v_cmpx_ne_u16_e32 0, v5
	s_cbranch_execz .LBB223_407
; %bb.400:                              ;   in Loop: Header=BB223_289 Depth=1
	v_dual_mov_b32 v16, s5 :: v_dual_mov_b32 v15, s4
	s_mov_b32 s13, exec_lo
	v_cmpx_ne_u16_e32 0x80, v5
	s_cbranch_execz .LBB223_406
; %bb.401:                              ;   in Loop: Header=BB223_289 Depth=1
	s_mov_b32 s2, s4
	v_dual_mov_b32 v16, s3 :: v_dual_and_b32 v5, 0xffff, v5
	v_mov_b32_e32 v15, s2
	s_mov_b32 s2, exec_lo
	s_delay_alu instid0(VALU_DEP_2) | instskip(NEXT) | instid1(VALU_DEP_1)
	v_and_b32_e32 v17, 0x7f, v5
	v_cmpx_ne_u32_e32 0x7f, v17
	s_cbranch_execz .LBB223_405
; %bb.402:                              ;   in Loop: Header=BB223_289 Depth=1
	v_and_b32_e32 v5, 7, v5
	v_lshrrev_b32_e32 v15, 3, v17
	s_mov_b32 s14, exec_lo
	v_cmpx_gt_u32_e32 8, v17
; %bb.403:                              ;   in Loop: Header=BB223_289 Depth=1
	s_delay_alu instid0(VALU_DEP_3) | instskip(NEXT) | instid1(VALU_DEP_1)
	v_clz_i32_u32_e32 v15, v5
	v_min_u32_e32 v15, 32, v15
	s_delay_alu instid0(VALU_DEP_1) | instskip(SKIP_1) | instid1(VALU_DEP_2)
	v_subrev_nc_u32_e32 v16, 28, v15
	v_sub_nc_u32_e32 v15, 29, v15
	v_lshlrev_b64 v[16:17], v16, v[5:6]
	s_delay_alu instid0(VALU_DEP_1)
	v_and_b32_e32 v5, 7, v16
; %bb.404:                              ;   in Loop: Header=BB223_289 Depth=1
	s_or_b32 exec_lo, exec_lo, s14
	v_lshlrev_b32_e32 v16, 16, v51
	s_delay_alu instid0(VALU_DEP_2) | instskip(SKIP_1) | instid1(VALU_DEP_3)
	v_lshlrev_b32_e32 v5, 20, v5
	v_lshl_add_u32 v15, v15, 23, 0x3c000000
	v_and_b32_e32 v16, 0x80000000, v16
	s_delay_alu instid0(VALU_DEP_1)
	v_or3_b32 v16, v5, v16, v15
	v_mov_b32_e32 v15, v6
.LBB223_405:                            ;   in Loop: Header=BB223_289 Depth=1
	s_or_b32 exec_lo, exec_lo, s2
.LBB223_406:                            ;   in Loop: Header=BB223_289 Depth=1
	s_delay_alu instid0(SALU_CYCLE_1)
	s_or_b32 exec_lo, exec_lo, s13
.LBB223_407:                            ;   in Loop: Header=BB223_289 Depth=1
	s_delay_alu instid0(SALU_CYCLE_1) | instskip(SKIP_4) | instid1(VALU_DEP_2)
	s_or_b32 exec_lo, exec_lo, s11
	v_mov_b32_e32 v19, 0
	v_lshrrev_b32_e32 v52, 16, v51
	v_mov_b32_e32 v20, 0
	s_mov_b32 s2, exec_lo
	v_and_b32_e32 v5, 0xff, v52
	s_delay_alu instid0(VALU_DEP_2) | instskip(NEXT) | instid1(VALU_DEP_2)
	v_dual_mov_b32 v17, v19 :: v_dual_mov_b32 v18, v20
	v_cmpx_ne_u16_e32 0, v5
	s_cbranch_execz .LBB223_415
; %bb.408:                              ;   in Loop: Header=BB223_289 Depth=1
	v_bfrev_b32_e32 v17, 1
	v_mov_b32_e32 v18, 0
	s_mov_b32 s11, exec_lo
	v_cmpx_ne_u16_e32 0x80, v5
	s_cbranch_execz .LBB223_414
; %bb.409:                              ;   in Loop: Header=BB223_289 Depth=1
	v_mov_b32_e32 v17, 0x7f800001
	v_bfe_u32 v53, v51, 16, 7
	v_mov_b32_e32 v18, 0
	s_mov_b32 s13, exec_lo
	s_delay_alu instid0(VALU_DEP_2)
	v_cmpx_ne_u32_e32 0x7f, v53
	s_cbranch_execz .LBB223_413
; %bb.410:                              ;   in Loop: Header=BB223_289 Depth=1
	v_and_b32_e32 v5, 7, v52
	v_lshrrev_b32_e32 v17, 3, v53
	s_mov_b32 s14, exec_lo
	v_cmpx_gt_u32_e32 8, v53
; %bb.411:                              ;   in Loop: Header=BB223_289 Depth=1
	s_delay_alu instid0(VALU_DEP_3) | instskip(NEXT) | instid1(VALU_DEP_1)
	v_clz_i32_u32_e32 v17, v5
	v_min_u32_e32 v17, 32, v17
	s_delay_alu instid0(VALU_DEP_1) | instskip(SKIP_1) | instid1(VALU_DEP_2)
	v_subrev_nc_u32_e32 v18, 28, v17
	v_sub_nc_u32_e32 v17, 29, v17
	v_lshlrev_b64 v[53:54], v18, v[5:6]
	s_delay_alu instid0(VALU_DEP_1)
	v_and_b32_e32 v5, 7, v53
; %bb.412:                              ;   in Loop: Header=BB223_289 Depth=1
	s_or_b32 exec_lo, exec_lo, s14
	v_lshlrev_b32_e32 v18, 24, v52
	s_delay_alu instid0(VALU_DEP_2) | instskip(SKIP_1) | instid1(VALU_DEP_3)
	v_lshlrev_b32_e32 v5, 20, v5
	v_lshl_add_u32 v17, v17, 23, 0x3c000000
	v_and_b32_e32 v18, 0x80000000, v18
	s_delay_alu instid0(VALU_DEP_1) | instskip(NEXT) | instid1(VALU_DEP_1)
	v_or3_b32 v5, v5, v18, v17
	v_dual_mov_b32 v18, v6 :: v_dual_mov_b32 v17, v5
.LBB223_413:                            ;   in Loop: Header=BB223_289 Depth=1
	s_or_b32 exec_lo, exec_lo, s13
.LBB223_414:                            ;   in Loop: Header=BB223_289 Depth=1
	s_delay_alu instid0(SALU_CYCLE_1)
	s_or_b32 exec_lo, exec_lo, s11
.LBB223_415:                            ;   in Loop: Header=BB223_289 Depth=1
	s_delay_alu instid0(SALU_CYCLE_1) | instskip(NEXT) | instid1(SALU_CYCLE_1)
	s_or_b32 exec_lo, exec_lo, s2
	s_mov_b32 s11, exec_lo
	v_cmpx_lt_u32_e32 0xffffff, v51
	s_cbranch_execz .LBB223_423
; %bb.416:                              ;   in Loop: Header=BB223_289 Depth=1
	v_lshrrev_b32_e32 v52, 24, v51
	v_dual_mov_b32 v20, s5 :: v_dual_mov_b32 v19, s4
	s_mov_b32 s13, exec_lo
	s_delay_alu instid0(VALU_DEP_2)
	v_cmpx_ne_u32_e32 0x80, v52
	s_cbranch_execz .LBB223_422
; %bb.417:                              ;   in Loop: Header=BB223_289 Depth=1
	s_mov_b32 s2, s4
	v_bfe_u32 v51, v51, 24, 7
	v_dual_mov_b32 v20, s3 :: v_dual_mov_b32 v19, s2
	s_mov_b32 s2, exec_lo
	s_delay_alu instid0(VALU_DEP_2)
	v_cmpx_ne_u32_e32 0x7f, v51
	s_cbranch_execz .LBB223_421
; %bb.418:                              ;   in Loop: Header=BB223_289 Depth=1
	v_and_b32_e32 v5, 7, v52
	v_lshrrev_b32_e32 v19, 3, v51
	s_mov_b32 s14, exec_lo
	v_cmpx_gt_u32_e32 8, v51
; %bb.419:                              ;   in Loop: Header=BB223_289 Depth=1
	s_delay_alu instid0(VALU_DEP_3) | instskip(NEXT) | instid1(VALU_DEP_1)
	v_clz_i32_u32_e32 v19, v5
	v_min_u32_e32 v19, 32, v19
	s_delay_alu instid0(VALU_DEP_1) | instskip(SKIP_1) | instid1(VALU_DEP_2)
	v_subrev_nc_u32_e32 v20, 28, v19
	v_sub_nc_u32_e32 v19, 29, v19
	v_lshlrev_b64 v[53:54], v20, v[5:6]
	s_delay_alu instid0(VALU_DEP_1)
	v_and_b32_e32 v5, 7, v53
; %bb.420:                              ;   in Loop: Header=BB223_289 Depth=1
	s_or_b32 exec_lo, exec_lo, s14
	v_lshlrev_b32_e32 v20, 24, v52
	s_delay_alu instid0(VALU_DEP_2) | instskip(SKIP_1) | instid1(VALU_DEP_3)
	v_lshlrev_b32_e32 v5, 20, v5
	v_lshl_add_u32 v19, v19, 23, 0x3c000000
	v_and_b32_e32 v20, 0x80000000, v20
	s_delay_alu instid0(VALU_DEP_1)
	v_or3_b32 v20, v5, v20, v19
	v_mov_b32_e32 v19, v6
.LBB223_421:                            ;   in Loop: Header=BB223_289 Depth=1
	s_or_b32 exec_lo, exec_lo, s2
.LBB223_422:                            ;   in Loop: Header=BB223_289 Depth=1
	s_delay_alu instid0(SALU_CYCLE_1)
	s_or_b32 exec_lo, exec_lo, s13
.LBB223_423:                            ;   in Loop: Header=BB223_289 Depth=1
	s_delay_alu instid0(SALU_CYCLE_1) | instskip(SKIP_4) | instid1(VALU_DEP_4)
	s_or_b32 exec_lo, exec_lo, s11
	v_or_b32_e32 v5, v16, v14
	v_or_b32_e32 v13, v15, v13
	;; [unrolled: 1-line block ×4, first 2 shown]
	v_mul_f32_e32 v54, s9, v5
	s_delay_alu instid0(VALU_DEP_4) | instskip(NEXT) | instid1(VALU_DEP_3)
	v_mul_f32_e32 v53, s7, v13
	v_dual_mul_f32 v51, s9, v14 :: v_dual_mul_f32 v52, s7, v15
	s_and_saveexec_b32 s2, vcc_lo
; %bb.424:                              ;   in Loop: Header=BB223_289 Depth=1
	v_cmp_gt_i32_e64 s0, s33, v39
	s_delay_alu instid0(VALU_DEP_1) | instskip(SKIP_1) | instid1(VALU_DEP_1)
	v_cndmask_b32_e64 v53, 0, v53, s0
	v_cmp_gt_i32_e64 s0, s33, v41
	v_cndmask_b32_e64 v54, 0, v54, s0
	v_cmp_gt_i32_e64 s0, s33, v40
	s_delay_alu instid0(VALU_DEP_1) | instskip(SKIP_1) | instid1(VALU_DEP_1)
	v_cndmask_b32_e64 v52, 0, v52, s0
	v_cmp_gt_i32_e64 s0, s33, v32
	v_cndmask_b32_e64 v51, 0, v51, s0
; %bb.425:                              ;   in Loop: Header=BB223_289 Depth=1
	s_or_b32 exec_lo, exec_lo, s2
	global_load_b32 v55, v[11:12], off offset:512
	v_mov_b32_e32 v15, 0
	v_mov_b32_e32 v16, 0
	s_mov_b32 s2, exec_lo
	s_waitcnt vmcnt(0)
	v_and_b32_e32 v5, 0xff, v55
	s_delay_alu instid0(VALU_DEP_2) | instskip(NEXT) | instid1(VALU_DEP_2)
	v_dual_mov_b32 v13, v15 :: v_dual_mov_b32 v14, v16
	v_cmpx_ne_u16_e32 0, v5
	s_cbranch_execz .LBB223_433
; %bb.426:                              ;   in Loop: Header=BB223_289 Depth=1
	v_bfrev_b32_e32 v13, 1
	v_mov_b32_e32 v14, 0
	s_mov_b32 s11, exec_lo
	v_cmpx_ne_u16_e32 0x80, v5
	s_cbranch_execz .LBB223_432
; %bb.427:                              ;   in Loop: Header=BB223_289 Depth=1
	v_mov_b32_e32 v13, 0x7f800001
	v_dual_mov_b32 v14, 0 :: v_dual_and_b32 v17, 0x7f, v55
	s_mov_b32 s13, exec_lo
	s_delay_alu instid0(VALU_DEP_1)
	v_cmpx_ne_u32_e32 0x7f, v17
	s_cbranch_execz .LBB223_431
; %bb.428:                              ;   in Loop: Header=BB223_289 Depth=1
	v_and_b32_e32 v5, 7, v55
	v_lshrrev_b32_e32 v13, 3, v17
	s_mov_b32 s14, exec_lo
	v_cmpx_gt_u32_e32 8, v17
; %bb.429:                              ;   in Loop: Header=BB223_289 Depth=1
	s_delay_alu instid0(VALU_DEP_3) | instskip(NEXT) | instid1(VALU_DEP_1)
	v_clz_i32_u32_e32 v13, v5
	v_min_u32_e32 v13, 32, v13
	s_delay_alu instid0(VALU_DEP_1) | instskip(SKIP_1) | instid1(VALU_DEP_2)
	v_subrev_nc_u32_e32 v14, 28, v13
	v_sub_nc_u32_e32 v13, 29, v13
	v_lshlrev_b64 v[17:18], v14, v[5:6]
	s_delay_alu instid0(VALU_DEP_1)
	v_and_b32_e32 v5, 7, v17
; %bb.430:                              ;   in Loop: Header=BB223_289 Depth=1
	s_or_b32 exec_lo, exec_lo, s14
	v_lshlrev_b32_e32 v14, 24, v55
	s_delay_alu instid0(VALU_DEP_2) | instskip(SKIP_1) | instid1(VALU_DEP_3)
	v_lshlrev_b32_e32 v5, 20, v5
	v_lshl_add_u32 v13, v13, 23, 0x3c000000
	v_and_b32_e32 v14, 0x80000000, v14
	s_delay_alu instid0(VALU_DEP_1) | instskip(NEXT) | instid1(VALU_DEP_1)
	v_or3_b32 v5, v5, v14, v13
	v_dual_mov_b32 v14, v6 :: v_dual_mov_b32 v13, v5
.LBB223_431:                            ;   in Loop: Header=BB223_289 Depth=1
	s_or_b32 exec_lo, exec_lo, s13
.LBB223_432:                            ;   in Loop: Header=BB223_289 Depth=1
	s_delay_alu instid0(SALU_CYCLE_1)
	s_or_b32 exec_lo, exec_lo, s11
.LBB223_433:                            ;   in Loop: Header=BB223_289 Depth=1
	s_delay_alu instid0(SALU_CYCLE_1) | instskip(SKIP_2) | instid1(VALU_DEP_1)
	s_or_b32 exec_lo, exec_lo, s2
	v_lshrrev_b16 v5, 8, v55
	s_mov_b32 s11, exec_lo
	v_cmpx_ne_u16_e32 0, v5
	s_cbranch_execz .LBB223_441
; %bb.434:                              ;   in Loop: Header=BB223_289 Depth=1
	v_dual_mov_b32 v16, s5 :: v_dual_mov_b32 v15, s4
	s_mov_b32 s13, exec_lo
	v_cmpx_ne_u16_e32 0x80, v5
	s_cbranch_execz .LBB223_440
; %bb.435:                              ;   in Loop: Header=BB223_289 Depth=1
	s_mov_b32 s2, s4
	v_dual_mov_b32 v16, s3 :: v_dual_and_b32 v5, 0xffff, v5
	v_mov_b32_e32 v15, s2
	s_mov_b32 s2, exec_lo
	s_delay_alu instid0(VALU_DEP_2) | instskip(NEXT) | instid1(VALU_DEP_1)
	v_and_b32_e32 v17, 0x7f, v5
	v_cmpx_ne_u32_e32 0x7f, v17
	s_cbranch_execz .LBB223_439
; %bb.436:                              ;   in Loop: Header=BB223_289 Depth=1
	v_and_b32_e32 v5, 7, v5
	v_lshrrev_b32_e32 v15, 3, v17
	s_mov_b32 s14, exec_lo
	v_cmpx_gt_u32_e32 8, v17
; %bb.437:                              ;   in Loop: Header=BB223_289 Depth=1
	s_delay_alu instid0(VALU_DEP_3) | instskip(NEXT) | instid1(VALU_DEP_1)
	v_clz_i32_u32_e32 v15, v5
	v_min_u32_e32 v15, 32, v15
	s_delay_alu instid0(VALU_DEP_1) | instskip(SKIP_1) | instid1(VALU_DEP_2)
	v_subrev_nc_u32_e32 v16, 28, v15
	v_sub_nc_u32_e32 v15, 29, v15
	v_lshlrev_b64 v[16:17], v16, v[5:6]
	s_delay_alu instid0(VALU_DEP_1)
	v_and_b32_e32 v5, 7, v16
; %bb.438:                              ;   in Loop: Header=BB223_289 Depth=1
	s_or_b32 exec_lo, exec_lo, s14
	v_lshlrev_b32_e32 v16, 16, v55
	s_delay_alu instid0(VALU_DEP_2) | instskip(SKIP_1) | instid1(VALU_DEP_3)
	v_lshlrev_b32_e32 v5, 20, v5
	v_lshl_add_u32 v15, v15, 23, 0x3c000000
	v_and_b32_e32 v16, 0x80000000, v16
	s_delay_alu instid0(VALU_DEP_1)
	v_or3_b32 v16, v5, v16, v15
	v_mov_b32_e32 v15, v6
.LBB223_439:                            ;   in Loop: Header=BB223_289 Depth=1
	s_or_b32 exec_lo, exec_lo, s2
.LBB223_440:                            ;   in Loop: Header=BB223_289 Depth=1
	s_delay_alu instid0(SALU_CYCLE_1)
	s_or_b32 exec_lo, exec_lo, s13
.LBB223_441:                            ;   in Loop: Header=BB223_289 Depth=1
	s_delay_alu instid0(SALU_CYCLE_1) | instskip(SKIP_4) | instid1(VALU_DEP_2)
	s_or_b32 exec_lo, exec_lo, s11
	v_mov_b32_e32 v19, 0
	v_lshrrev_b32_e32 v56, 16, v55
	v_mov_b32_e32 v20, 0
	s_mov_b32 s2, exec_lo
	v_and_b32_e32 v5, 0xff, v56
	s_delay_alu instid0(VALU_DEP_2) | instskip(NEXT) | instid1(VALU_DEP_2)
	v_dual_mov_b32 v17, v19 :: v_dual_mov_b32 v18, v20
	v_cmpx_ne_u16_e32 0, v5
	s_cbranch_execz .LBB223_449
; %bb.442:                              ;   in Loop: Header=BB223_289 Depth=1
	v_bfrev_b32_e32 v17, 1
	v_mov_b32_e32 v18, 0
	s_mov_b32 s11, exec_lo
	v_cmpx_ne_u16_e32 0x80, v5
	s_cbranch_execz .LBB223_448
; %bb.443:                              ;   in Loop: Header=BB223_289 Depth=1
	v_mov_b32_e32 v17, 0x7f800001
	v_bfe_u32 v57, v55, 16, 7
	v_mov_b32_e32 v18, 0
	s_mov_b32 s13, exec_lo
	s_delay_alu instid0(VALU_DEP_2)
	v_cmpx_ne_u32_e32 0x7f, v57
	s_cbranch_execz .LBB223_447
; %bb.444:                              ;   in Loop: Header=BB223_289 Depth=1
	v_and_b32_e32 v5, 7, v56
	v_lshrrev_b32_e32 v17, 3, v57
	s_mov_b32 s14, exec_lo
	v_cmpx_gt_u32_e32 8, v57
; %bb.445:                              ;   in Loop: Header=BB223_289 Depth=1
	s_delay_alu instid0(VALU_DEP_3) | instskip(NEXT) | instid1(VALU_DEP_1)
	v_clz_i32_u32_e32 v17, v5
	v_min_u32_e32 v17, 32, v17
	s_delay_alu instid0(VALU_DEP_1) | instskip(SKIP_1) | instid1(VALU_DEP_2)
	v_subrev_nc_u32_e32 v18, 28, v17
	v_sub_nc_u32_e32 v17, 29, v17
	v_lshlrev_b64 v[57:58], v18, v[5:6]
	s_delay_alu instid0(VALU_DEP_1)
	v_and_b32_e32 v5, 7, v57
; %bb.446:                              ;   in Loop: Header=BB223_289 Depth=1
	s_or_b32 exec_lo, exec_lo, s14
	v_lshlrev_b32_e32 v18, 24, v56
	s_delay_alu instid0(VALU_DEP_2) | instskip(SKIP_1) | instid1(VALU_DEP_3)
	v_lshlrev_b32_e32 v5, 20, v5
	v_lshl_add_u32 v17, v17, 23, 0x3c000000
	v_and_b32_e32 v18, 0x80000000, v18
	s_delay_alu instid0(VALU_DEP_1) | instskip(NEXT) | instid1(VALU_DEP_1)
	v_or3_b32 v5, v5, v18, v17
	v_dual_mov_b32 v18, v6 :: v_dual_mov_b32 v17, v5
.LBB223_447:                            ;   in Loop: Header=BB223_289 Depth=1
	s_or_b32 exec_lo, exec_lo, s13
.LBB223_448:                            ;   in Loop: Header=BB223_289 Depth=1
	s_delay_alu instid0(SALU_CYCLE_1)
	s_or_b32 exec_lo, exec_lo, s11
.LBB223_449:                            ;   in Loop: Header=BB223_289 Depth=1
	s_delay_alu instid0(SALU_CYCLE_1) | instskip(NEXT) | instid1(SALU_CYCLE_1)
	s_or_b32 exec_lo, exec_lo, s2
	s_mov_b32 s11, exec_lo
	v_cmpx_lt_u32_e32 0xffffff, v55
	s_cbranch_execz .LBB223_457
; %bb.450:                              ;   in Loop: Header=BB223_289 Depth=1
	v_lshrrev_b32_e32 v56, 24, v55
	v_dual_mov_b32 v20, s5 :: v_dual_mov_b32 v19, s4
	s_mov_b32 s13, exec_lo
	s_delay_alu instid0(VALU_DEP_2)
	v_cmpx_ne_u32_e32 0x80, v56
	s_cbranch_execz .LBB223_456
; %bb.451:                              ;   in Loop: Header=BB223_289 Depth=1
	s_mov_b32 s2, s4
	v_bfe_u32 v55, v55, 24, 7
	v_dual_mov_b32 v20, s3 :: v_dual_mov_b32 v19, s2
	s_mov_b32 s2, exec_lo
	s_delay_alu instid0(VALU_DEP_2)
	v_cmpx_ne_u32_e32 0x7f, v55
	s_cbranch_execz .LBB223_455
; %bb.452:                              ;   in Loop: Header=BB223_289 Depth=1
	v_and_b32_e32 v5, 7, v56
	v_lshrrev_b32_e32 v19, 3, v55
	s_mov_b32 s14, exec_lo
	v_cmpx_gt_u32_e32 8, v55
; %bb.453:                              ;   in Loop: Header=BB223_289 Depth=1
	s_delay_alu instid0(VALU_DEP_3) | instskip(NEXT) | instid1(VALU_DEP_1)
	v_clz_i32_u32_e32 v19, v5
	v_min_u32_e32 v19, 32, v19
	s_delay_alu instid0(VALU_DEP_1) | instskip(SKIP_1) | instid1(VALU_DEP_2)
	v_subrev_nc_u32_e32 v20, 28, v19
	v_sub_nc_u32_e32 v19, 29, v19
	v_lshlrev_b64 v[57:58], v20, v[5:6]
	s_delay_alu instid0(VALU_DEP_1)
	v_and_b32_e32 v5, 7, v57
; %bb.454:                              ;   in Loop: Header=BB223_289 Depth=1
	s_or_b32 exec_lo, exec_lo, s14
	v_lshlrev_b32_e32 v20, 24, v56
	s_delay_alu instid0(VALU_DEP_2) | instskip(SKIP_1) | instid1(VALU_DEP_3)
	v_lshlrev_b32_e32 v5, 20, v5
	v_lshl_add_u32 v19, v19, 23, 0x3c000000
	v_and_b32_e32 v20, 0x80000000, v20
	s_delay_alu instid0(VALU_DEP_1)
	v_or3_b32 v20, v5, v20, v19
	v_mov_b32_e32 v19, v6
.LBB223_455:                            ;   in Loop: Header=BB223_289 Depth=1
	s_or_b32 exec_lo, exec_lo, s2
.LBB223_456:                            ;   in Loop: Header=BB223_289 Depth=1
	s_delay_alu instid0(SALU_CYCLE_1)
	s_or_b32 exec_lo, exec_lo, s13
.LBB223_457:                            ;   in Loop: Header=BB223_289 Depth=1
	s_delay_alu instid0(SALU_CYCLE_1) | instskip(SKIP_4) | instid1(VALU_DEP_4)
	s_or_b32 exec_lo, exec_lo, s11
	v_or_b32_e32 v5, v16, v14
	v_or_b32_e32 v13, v15, v13
	;; [unrolled: 1-line block ×4, first 2 shown]
	v_mul_f32_e32 v58, s9, v5
	s_delay_alu instid0(VALU_DEP_4) | instskip(NEXT) | instid1(VALU_DEP_3)
	v_mul_f32_e32 v57, s7, v13
	v_dual_mul_f32 v55, s9, v14 :: v_dual_mul_f32 v56, s7, v15
	s_and_saveexec_b32 s2, vcc_lo
; %bb.458:                              ;   in Loop: Header=BB223_289 Depth=1
	v_cmp_gt_i32_e64 s0, s33, v39
	s_delay_alu instid0(VALU_DEP_1) | instskip(SKIP_1) | instid1(VALU_DEP_1)
	v_cndmask_b32_e64 v57, 0, v57, s0
	v_cmp_gt_i32_e64 s0, s33, v41
	v_cndmask_b32_e64 v58, 0, v58, s0
	v_cmp_gt_i32_e64 s0, s33, v40
	s_delay_alu instid0(VALU_DEP_1) | instskip(SKIP_1) | instid1(VALU_DEP_1)
	v_cndmask_b32_e64 v56, 0, v56, s0
	v_cmp_gt_i32_e64 s0, s33, v32
	v_cndmask_b32_e64 v55, 0, v55, s0
; %bb.459:                              ;   in Loop: Header=BB223_289 Depth=1
	s_or_b32 exec_lo, exec_lo, s2
	global_load_b32 v59, v[11:12], off offset:640
	v_mov_b32_e32 v15, 0
	v_mov_b32_e32 v16, 0
	s_mov_b32 s2, exec_lo
	s_waitcnt vmcnt(0)
	v_and_b32_e32 v5, 0xff, v59
	s_delay_alu instid0(VALU_DEP_2) | instskip(NEXT) | instid1(VALU_DEP_2)
	v_dual_mov_b32 v13, v15 :: v_dual_mov_b32 v14, v16
	v_cmpx_ne_u16_e32 0, v5
	s_cbranch_execz .LBB223_467
; %bb.460:                              ;   in Loop: Header=BB223_289 Depth=1
	v_bfrev_b32_e32 v13, 1
	v_mov_b32_e32 v14, 0
	s_mov_b32 s11, exec_lo
	v_cmpx_ne_u16_e32 0x80, v5
	s_cbranch_execz .LBB223_466
; %bb.461:                              ;   in Loop: Header=BB223_289 Depth=1
	v_mov_b32_e32 v13, 0x7f800001
	v_dual_mov_b32 v14, 0 :: v_dual_and_b32 v17, 0x7f, v59
	s_mov_b32 s13, exec_lo
	s_delay_alu instid0(VALU_DEP_1)
	v_cmpx_ne_u32_e32 0x7f, v17
	s_cbranch_execz .LBB223_465
; %bb.462:                              ;   in Loop: Header=BB223_289 Depth=1
	v_and_b32_e32 v5, 7, v59
	v_lshrrev_b32_e32 v13, 3, v17
	s_mov_b32 s14, exec_lo
	v_cmpx_gt_u32_e32 8, v17
; %bb.463:                              ;   in Loop: Header=BB223_289 Depth=1
	s_delay_alu instid0(VALU_DEP_3) | instskip(NEXT) | instid1(VALU_DEP_1)
	v_clz_i32_u32_e32 v13, v5
	v_min_u32_e32 v13, 32, v13
	s_delay_alu instid0(VALU_DEP_1) | instskip(SKIP_1) | instid1(VALU_DEP_2)
	v_subrev_nc_u32_e32 v14, 28, v13
	v_sub_nc_u32_e32 v13, 29, v13
	v_lshlrev_b64 v[17:18], v14, v[5:6]
	s_delay_alu instid0(VALU_DEP_1)
	v_and_b32_e32 v5, 7, v17
; %bb.464:                              ;   in Loop: Header=BB223_289 Depth=1
	s_or_b32 exec_lo, exec_lo, s14
	v_lshlrev_b32_e32 v14, 24, v59
	s_delay_alu instid0(VALU_DEP_2) | instskip(SKIP_1) | instid1(VALU_DEP_3)
	v_lshlrev_b32_e32 v5, 20, v5
	v_lshl_add_u32 v13, v13, 23, 0x3c000000
	v_and_b32_e32 v14, 0x80000000, v14
	s_delay_alu instid0(VALU_DEP_1) | instskip(NEXT) | instid1(VALU_DEP_1)
	v_or3_b32 v5, v5, v14, v13
	v_dual_mov_b32 v14, v6 :: v_dual_mov_b32 v13, v5
.LBB223_465:                            ;   in Loop: Header=BB223_289 Depth=1
	s_or_b32 exec_lo, exec_lo, s13
.LBB223_466:                            ;   in Loop: Header=BB223_289 Depth=1
	s_delay_alu instid0(SALU_CYCLE_1)
	s_or_b32 exec_lo, exec_lo, s11
.LBB223_467:                            ;   in Loop: Header=BB223_289 Depth=1
	s_delay_alu instid0(SALU_CYCLE_1) | instskip(SKIP_2) | instid1(VALU_DEP_1)
	s_or_b32 exec_lo, exec_lo, s2
	v_lshrrev_b16 v5, 8, v59
	s_mov_b32 s11, exec_lo
	v_cmpx_ne_u16_e32 0, v5
	s_cbranch_execz .LBB223_475
; %bb.468:                              ;   in Loop: Header=BB223_289 Depth=1
	v_dual_mov_b32 v16, s5 :: v_dual_mov_b32 v15, s4
	s_mov_b32 s13, exec_lo
	v_cmpx_ne_u16_e32 0x80, v5
	s_cbranch_execz .LBB223_474
; %bb.469:                              ;   in Loop: Header=BB223_289 Depth=1
	s_mov_b32 s2, s4
	v_dual_mov_b32 v16, s3 :: v_dual_and_b32 v5, 0xffff, v5
	v_mov_b32_e32 v15, s2
	s_mov_b32 s2, exec_lo
	s_delay_alu instid0(VALU_DEP_2) | instskip(NEXT) | instid1(VALU_DEP_1)
	v_and_b32_e32 v17, 0x7f, v5
	v_cmpx_ne_u32_e32 0x7f, v17
	s_cbranch_execz .LBB223_473
; %bb.470:                              ;   in Loop: Header=BB223_289 Depth=1
	v_and_b32_e32 v5, 7, v5
	v_lshrrev_b32_e32 v15, 3, v17
	s_mov_b32 s14, exec_lo
	v_cmpx_gt_u32_e32 8, v17
; %bb.471:                              ;   in Loop: Header=BB223_289 Depth=1
	s_delay_alu instid0(VALU_DEP_3) | instskip(NEXT) | instid1(VALU_DEP_1)
	v_clz_i32_u32_e32 v15, v5
	v_min_u32_e32 v15, 32, v15
	s_delay_alu instid0(VALU_DEP_1) | instskip(SKIP_1) | instid1(VALU_DEP_2)
	v_subrev_nc_u32_e32 v16, 28, v15
	v_sub_nc_u32_e32 v15, 29, v15
	v_lshlrev_b64 v[16:17], v16, v[5:6]
	s_delay_alu instid0(VALU_DEP_1)
	v_and_b32_e32 v5, 7, v16
; %bb.472:                              ;   in Loop: Header=BB223_289 Depth=1
	s_or_b32 exec_lo, exec_lo, s14
	v_lshlrev_b32_e32 v16, 16, v59
	s_delay_alu instid0(VALU_DEP_2) | instskip(SKIP_1) | instid1(VALU_DEP_3)
	v_lshlrev_b32_e32 v5, 20, v5
	v_lshl_add_u32 v15, v15, 23, 0x3c000000
	v_and_b32_e32 v16, 0x80000000, v16
	s_delay_alu instid0(VALU_DEP_1)
	v_or3_b32 v16, v5, v16, v15
	v_mov_b32_e32 v15, v6
.LBB223_473:                            ;   in Loop: Header=BB223_289 Depth=1
	s_or_b32 exec_lo, exec_lo, s2
.LBB223_474:                            ;   in Loop: Header=BB223_289 Depth=1
	s_delay_alu instid0(SALU_CYCLE_1)
	s_or_b32 exec_lo, exec_lo, s13
.LBB223_475:                            ;   in Loop: Header=BB223_289 Depth=1
	s_delay_alu instid0(SALU_CYCLE_1) | instskip(SKIP_4) | instid1(VALU_DEP_2)
	s_or_b32 exec_lo, exec_lo, s11
	v_mov_b32_e32 v19, 0
	v_lshrrev_b32_e32 v60, 16, v59
	v_mov_b32_e32 v20, 0
	s_mov_b32 s2, exec_lo
	v_and_b32_e32 v5, 0xff, v60
	s_delay_alu instid0(VALU_DEP_2) | instskip(NEXT) | instid1(VALU_DEP_2)
	v_dual_mov_b32 v17, v19 :: v_dual_mov_b32 v18, v20
	v_cmpx_ne_u16_e32 0, v5
	s_cbranch_execz .LBB223_483
; %bb.476:                              ;   in Loop: Header=BB223_289 Depth=1
	v_bfrev_b32_e32 v17, 1
	v_mov_b32_e32 v18, 0
	s_mov_b32 s11, exec_lo
	v_cmpx_ne_u16_e32 0x80, v5
	s_cbranch_execz .LBB223_482
; %bb.477:                              ;   in Loop: Header=BB223_289 Depth=1
	v_mov_b32_e32 v17, 0x7f800001
	v_bfe_u32 v61, v59, 16, 7
	v_mov_b32_e32 v18, 0
	s_mov_b32 s13, exec_lo
	s_delay_alu instid0(VALU_DEP_2)
	v_cmpx_ne_u32_e32 0x7f, v61
	s_cbranch_execz .LBB223_481
; %bb.478:                              ;   in Loop: Header=BB223_289 Depth=1
	v_and_b32_e32 v5, 7, v60
	v_lshrrev_b32_e32 v17, 3, v61
	s_mov_b32 s14, exec_lo
	v_cmpx_gt_u32_e32 8, v61
; %bb.479:                              ;   in Loop: Header=BB223_289 Depth=1
	s_delay_alu instid0(VALU_DEP_3) | instskip(NEXT) | instid1(VALU_DEP_1)
	v_clz_i32_u32_e32 v17, v5
	v_min_u32_e32 v17, 32, v17
	s_delay_alu instid0(VALU_DEP_1) | instskip(SKIP_1) | instid1(VALU_DEP_2)
	v_subrev_nc_u32_e32 v18, 28, v17
	v_sub_nc_u32_e32 v17, 29, v17
	v_lshlrev_b64 v[61:62], v18, v[5:6]
	s_delay_alu instid0(VALU_DEP_1)
	v_and_b32_e32 v5, 7, v61
; %bb.480:                              ;   in Loop: Header=BB223_289 Depth=1
	s_or_b32 exec_lo, exec_lo, s14
	v_lshlrev_b32_e32 v18, 24, v60
	s_delay_alu instid0(VALU_DEP_2) | instskip(SKIP_1) | instid1(VALU_DEP_3)
	v_lshlrev_b32_e32 v5, 20, v5
	v_lshl_add_u32 v17, v17, 23, 0x3c000000
	v_and_b32_e32 v18, 0x80000000, v18
	s_delay_alu instid0(VALU_DEP_1) | instskip(NEXT) | instid1(VALU_DEP_1)
	v_or3_b32 v5, v5, v18, v17
	v_dual_mov_b32 v18, v6 :: v_dual_mov_b32 v17, v5
.LBB223_481:                            ;   in Loop: Header=BB223_289 Depth=1
	s_or_b32 exec_lo, exec_lo, s13
.LBB223_482:                            ;   in Loop: Header=BB223_289 Depth=1
	s_delay_alu instid0(SALU_CYCLE_1)
	s_or_b32 exec_lo, exec_lo, s11
.LBB223_483:                            ;   in Loop: Header=BB223_289 Depth=1
	s_delay_alu instid0(SALU_CYCLE_1) | instskip(NEXT) | instid1(SALU_CYCLE_1)
	s_or_b32 exec_lo, exec_lo, s2
	s_mov_b32 s11, exec_lo
	v_cmpx_lt_u32_e32 0xffffff, v59
	s_cbranch_execz .LBB223_491
; %bb.484:                              ;   in Loop: Header=BB223_289 Depth=1
	v_lshrrev_b32_e32 v60, 24, v59
	v_dual_mov_b32 v20, s5 :: v_dual_mov_b32 v19, s4
	s_mov_b32 s13, exec_lo
	s_delay_alu instid0(VALU_DEP_2)
	v_cmpx_ne_u32_e32 0x80, v60
	s_cbranch_execz .LBB223_490
; %bb.485:                              ;   in Loop: Header=BB223_289 Depth=1
	s_mov_b32 s2, s4
	v_bfe_u32 v59, v59, 24, 7
	v_dual_mov_b32 v20, s3 :: v_dual_mov_b32 v19, s2
	s_mov_b32 s2, exec_lo
	s_delay_alu instid0(VALU_DEP_2)
	v_cmpx_ne_u32_e32 0x7f, v59
	s_cbranch_execz .LBB223_489
; %bb.486:                              ;   in Loop: Header=BB223_289 Depth=1
	v_and_b32_e32 v5, 7, v60
	v_lshrrev_b32_e32 v19, 3, v59
	s_mov_b32 s14, exec_lo
	v_cmpx_gt_u32_e32 8, v59
; %bb.487:                              ;   in Loop: Header=BB223_289 Depth=1
	s_delay_alu instid0(VALU_DEP_3) | instskip(NEXT) | instid1(VALU_DEP_1)
	v_clz_i32_u32_e32 v19, v5
	v_min_u32_e32 v19, 32, v19
	s_delay_alu instid0(VALU_DEP_1) | instskip(SKIP_1) | instid1(VALU_DEP_2)
	v_subrev_nc_u32_e32 v20, 28, v19
	v_sub_nc_u32_e32 v19, 29, v19
	v_lshlrev_b64 v[61:62], v20, v[5:6]
	s_delay_alu instid0(VALU_DEP_1)
	v_and_b32_e32 v5, 7, v61
; %bb.488:                              ;   in Loop: Header=BB223_289 Depth=1
	s_or_b32 exec_lo, exec_lo, s14
	v_lshlrev_b32_e32 v20, 24, v60
	s_delay_alu instid0(VALU_DEP_2) | instskip(SKIP_1) | instid1(VALU_DEP_3)
	v_lshlrev_b32_e32 v5, 20, v5
	v_lshl_add_u32 v19, v19, 23, 0x3c000000
	v_and_b32_e32 v20, 0x80000000, v20
	s_delay_alu instid0(VALU_DEP_1)
	v_or3_b32 v20, v5, v20, v19
	v_mov_b32_e32 v19, v6
.LBB223_489:                            ;   in Loop: Header=BB223_289 Depth=1
	s_or_b32 exec_lo, exec_lo, s2
.LBB223_490:                            ;   in Loop: Header=BB223_289 Depth=1
	s_delay_alu instid0(SALU_CYCLE_1)
	s_or_b32 exec_lo, exec_lo, s13
.LBB223_491:                            ;   in Loop: Header=BB223_289 Depth=1
	s_delay_alu instid0(SALU_CYCLE_1) | instskip(SKIP_4) | instid1(VALU_DEP_4)
	s_or_b32 exec_lo, exec_lo, s11
	v_or_b32_e32 v5, v16, v14
	v_or_b32_e32 v13, v15, v13
	;; [unrolled: 1-line block ×4, first 2 shown]
	v_mul_f32_e32 v62, s9, v5
	s_delay_alu instid0(VALU_DEP_4) | instskip(NEXT) | instid1(VALU_DEP_3)
	v_mul_f32_e32 v61, s7, v13
	v_dual_mul_f32 v59, s9, v14 :: v_dual_mul_f32 v60, s7, v15
	s_and_saveexec_b32 s2, vcc_lo
; %bb.492:                              ;   in Loop: Header=BB223_289 Depth=1
	v_cmp_gt_i32_e64 s0, s33, v39
	s_delay_alu instid0(VALU_DEP_1) | instskip(SKIP_1) | instid1(VALU_DEP_1)
	v_cndmask_b32_e64 v61, 0, v61, s0
	v_cmp_gt_i32_e64 s0, s33, v41
	v_cndmask_b32_e64 v62, 0, v62, s0
	v_cmp_gt_i32_e64 s0, s33, v40
	s_delay_alu instid0(VALU_DEP_1) | instskip(SKIP_1) | instid1(VALU_DEP_1)
	v_cndmask_b32_e64 v60, 0, v60, s0
	v_cmp_gt_i32_e64 s0, s33, v32
	v_cndmask_b32_e64 v59, 0, v59, s0
; %bb.493:                              ;   in Loop: Header=BB223_289 Depth=1
	s_or_b32 exec_lo, exec_lo, s2
	global_load_b32 v63, v[11:12], off offset:768
	v_mov_b32_e32 v15, 0
	v_mov_b32_e32 v16, 0
	s_mov_b32 s2, exec_lo
	s_waitcnt vmcnt(0)
	v_and_b32_e32 v5, 0xff, v63
	s_delay_alu instid0(VALU_DEP_2) | instskip(NEXT) | instid1(VALU_DEP_2)
	v_dual_mov_b32 v13, v15 :: v_dual_mov_b32 v14, v16
	v_cmpx_ne_u16_e32 0, v5
	s_cbranch_execz .LBB223_501
; %bb.494:                              ;   in Loop: Header=BB223_289 Depth=1
	v_bfrev_b32_e32 v13, 1
	v_mov_b32_e32 v14, 0
	s_mov_b32 s11, exec_lo
	v_cmpx_ne_u16_e32 0x80, v5
	s_cbranch_execz .LBB223_500
; %bb.495:                              ;   in Loop: Header=BB223_289 Depth=1
	v_mov_b32_e32 v13, 0x7f800001
	v_dual_mov_b32 v14, 0 :: v_dual_and_b32 v17, 0x7f, v63
	s_mov_b32 s13, exec_lo
	s_delay_alu instid0(VALU_DEP_1)
	v_cmpx_ne_u32_e32 0x7f, v17
	s_cbranch_execz .LBB223_499
; %bb.496:                              ;   in Loop: Header=BB223_289 Depth=1
	v_and_b32_e32 v5, 7, v63
	v_lshrrev_b32_e32 v13, 3, v17
	s_mov_b32 s14, exec_lo
	v_cmpx_gt_u32_e32 8, v17
; %bb.497:                              ;   in Loop: Header=BB223_289 Depth=1
	s_delay_alu instid0(VALU_DEP_3) | instskip(NEXT) | instid1(VALU_DEP_1)
	v_clz_i32_u32_e32 v13, v5
	v_min_u32_e32 v13, 32, v13
	s_delay_alu instid0(VALU_DEP_1) | instskip(SKIP_1) | instid1(VALU_DEP_2)
	v_subrev_nc_u32_e32 v14, 28, v13
	v_sub_nc_u32_e32 v13, 29, v13
	v_lshlrev_b64 v[17:18], v14, v[5:6]
	s_delay_alu instid0(VALU_DEP_1)
	v_and_b32_e32 v5, 7, v17
; %bb.498:                              ;   in Loop: Header=BB223_289 Depth=1
	s_or_b32 exec_lo, exec_lo, s14
	v_lshlrev_b32_e32 v14, 24, v63
	s_delay_alu instid0(VALU_DEP_2) | instskip(SKIP_1) | instid1(VALU_DEP_3)
	v_lshlrev_b32_e32 v5, 20, v5
	v_lshl_add_u32 v13, v13, 23, 0x3c000000
	v_and_b32_e32 v14, 0x80000000, v14
	s_delay_alu instid0(VALU_DEP_1) | instskip(NEXT) | instid1(VALU_DEP_1)
	v_or3_b32 v5, v5, v14, v13
	v_dual_mov_b32 v14, v6 :: v_dual_mov_b32 v13, v5
.LBB223_499:                            ;   in Loop: Header=BB223_289 Depth=1
	s_or_b32 exec_lo, exec_lo, s13
.LBB223_500:                            ;   in Loop: Header=BB223_289 Depth=1
	s_delay_alu instid0(SALU_CYCLE_1)
	s_or_b32 exec_lo, exec_lo, s11
.LBB223_501:                            ;   in Loop: Header=BB223_289 Depth=1
	s_delay_alu instid0(SALU_CYCLE_1) | instskip(SKIP_2) | instid1(VALU_DEP_1)
	s_or_b32 exec_lo, exec_lo, s2
	v_lshrrev_b16 v5, 8, v63
	s_mov_b32 s11, exec_lo
	v_cmpx_ne_u16_e32 0, v5
	s_cbranch_execz .LBB223_509
; %bb.502:                              ;   in Loop: Header=BB223_289 Depth=1
	v_dual_mov_b32 v16, s5 :: v_dual_mov_b32 v15, s4
	s_mov_b32 s13, exec_lo
	v_cmpx_ne_u16_e32 0x80, v5
	s_cbranch_execz .LBB223_508
; %bb.503:                              ;   in Loop: Header=BB223_289 Depth=1
	s_mov_b32 s2, s4
	v_dual_mov_b32 v16, s3 :: v_dual_and_b32 v5, 0xffff, v5
	v_mov_b32_e32 v15, s2
	s_mov_b32 s2, exec_lo
	s_delay_alu instid0(VALU_DEP_2) | instskip(NEXT) | instid1(VALU_DEP_1)
	v_and_b32_e32 v17, 0x7f, v5
	v_cmpx_ne_u32_e32 0x7f, v17
	s_cbranch_execz .LBB223_507
; %bb.504:                              ;   in Loop: Header=BB223_289 Depth=1
	v_and_b32_e32 v5, 7, v5
	v_lshrrev_b32_e32 v15, 3, v17
	s_mov_b32 s14, exec_lo
	v_cmpx_gt_u32_e32 8, v17
; %bb.505:                              ;   in Loop: Header=BB223_289 Depth=1
	s_delay_alu instid0(VALU_DEP_3) | instskip(NEXT) | instid1(VALU_DEP_1)
	v_clz_i32_u32_e32 v15, v5
	v_min_u32_e32 v15, 32, v15
	s_delay_alu instid0(VALU_DEP_1) | instskip(SKIP_1) | instid1(VALU_DEP_2)
	v_subrev_nc_u32_e32 v16, 28, v15
	v_sub_nc_u32_e32 v15, 29, v15
	v_lshlrev_b64 v[16:17], v16, v[5:6]
	s_delay_alu instid0(VALU_DEP_1)
	v_and_b32_e32 v5, 7, v16
; %bb.506:                              ;   in Loop: Header=BB223_289 Depth=1
	s_or_b32 exec_lo, exec_lo, s14
	v_lshlrev_b32_e32 v16, 16, v63
	s_delay_alu instid0(VALU_DEP_2) | instskip(SKIP_1) | instid1(VALU_DEP_3)
	v_lshlrev_b32_e32 v5, 20, v5
	v_lshl_add_u32 v15, v15, 23, 0x3c000000
	v_and_b32_e32 v16, 0x80000000, v16
	s_delay_alu instid0(VALU_DEP_1)
	v_or3_b32 v16, v5, v16, v15
	v_mov_b32_e32 v15, v6
.LBB223_507:                            ;   in Loop: Header=BB223_289 Depth=1
	s_or_b32 exec_lo, exec_lo, s2
.LBB223_508:                            ;   in Loop: Header=BB223_289 Depth=1
	s_delay_alu instid0(SALU_CYCLE_1)
	s_or_b32 exec_lo, exec_lo, s13
.LBB223_509:                            ;   in Loop: Header=BB223_289 Depth=1
	s_delay_alu instid0(SALU_CYCLE_1) | instskip(SKIP_4) | instid1(VALU_DEP_2)
	s_or_b32 exec_lo, exec_lo, s11
	v_mov_b32_e32 v19, 0
	v_lshrrev_b32_e32 v64, 16, v63
	v_mov_b32_e32 v20, 0
	s_mov_b32 s2, exec_lo
	v_and_b32_e32 v5, 0xff, v64
	s_delay_alu instid0(VALU_DEP_2) | instskip(NEXT) | instid1(VALU_DEP_2)
	v_dual_mov_b32 v17, v19 :: v_dual_mov_b32 v18, v20
	v_cmpx_ne_u16_e32 0, v5
	s_cbranch_execz .LBB223_517
; %bb.510:                              ;   in Loop: Header=BB223_289 Depth=1
	v_bfrev_b32_e32 v17, 1
	v_mov_b32_e32 v18, 0
	s_mov_b32 s11, exec_lo
	v_cmpx_ne_u16_e32 0x80, v5
	s_cbranch_execz .LBB223_516
; %bb.511:                              ;   in Loop: Header=BB223_289 Depth=1
	v_mov_b32_e32 v17, 0x7f800001
	v_bfe_u32 v65, v63, 16, 7
	v_mov_b32_e32 v18, 0
	s_mov_b32 s13, exec_lo
	s_delay_alu instid0(VALU_DEP_2)
	v_cmpx_ne_u32_e32 0x7f, v65
	s_cbranch_execz .LBB223_515
; %bb.512:                              ;   in Loop: Header=BB223_289 Depth=1
	v_and_b32_e32 v5, 7, v64
	v_lshrrev_b32_e32 v17, 3, v65
	s_mov_b32 s14, exec_lo
	v_cmpx_gt_u32_e32 8, v65
; %bb.513:                              ;   in Loop: Header=BB223_289 Depth=1
	s_delay_alu instid0(VALU_DEP_3) | instskip(NEXT) | instid1(VALU_DEP_1)
	v_clz_i32_u32_e32 v17, v5
	v_min_u32_e32 v17, 32, v17
	s_delay_alu instid0(VALU_DEP_1) | instskip(SKIP_1) | instid1(VALU_DEP_2)
	v_subrev_nc_u32_e32 v18, 28, v17
	v_sub_nc_u32_e32 v17, 29, v17
	v_lshlrev_b64 v[65:66], v18, v[5:6]
	s_delay_alu instid0(VALU_DEP_1)
	v_and_b32_e32 v5, 7, v65
; %bb.514:                              ;   in Loop: Header=BB223_289 Depth=1
	s_or_b32 exec_lo, exec_lo, s14
	v_lshlrev_b32_e32 v18, 24, v64
	s_delay_alu instid0(VALU_DEP_2) | instskip(SKIP_1) | instid1(VALU_DEP_3)
	v_lshlrev_b32_e32 v5, 20, v5
	v_lshl_add_u32 v17, v17, 23, 0x3c000000
	v_and_b32_e32 v18, 0x80000000, v18
	s_delay_alu instid0(VALU_DEP_1) | instskip(NEXT) | instid1(VALU_DEP_1)
	v_or3_b32 v5, v5, v18, v17
	v_dual_mov_b32 v18, v6 :: v_dual_mov_b32 v17, v5
.LBB223_515:                            ;   in Loop: Header=BB223_289 Depth=1
	s_or_b32 exec_lo, exec_lo, s13
.LBB223_516:                            ;   in Loop: Header=BB223_289 Depth=1
	s_delay_alu instid0(SALU_CYCLE_1)
	s_or_b32 exec_lo, exec_lo, s11
.LBB223_517:                            ;   in Loop: Header=BB223_289 Depth=1
	s_delay_alu instid0(SALU_CYCLE_1) | instskip(NEXT) | instid1(SALU_CYCLE_1)
	s_or_b32 exec_lo, exec_lo, s2
	s_mov_b32 s11, exec_lo
	v_cmpx_lt_u32_e32 0xffffff, v63
	s_cbranch_execz .LBB223_525
; %bb.518:                              ;   in Loop: Header=BB223_289 Depth=1
	v_lshrrev_b32_e32 v64, 24, v63
	v_dual_mov_b32 v20, s5 :: v_dual_mov_b32 v19, s4
	s_mov_b32 s13, exec_lo
	s_delay_alu instid0(VALU_DEP_2)
	v_cmpx_ne_u32_e32 0x80, v64
	s_cbranch_execz .LBB223_524
; %bb.519:                              ;   in Loop: Header=BB223_289 Depth=1
	s_mov_b32 s2, s4
	v_bfe_u32 v63, v63, 24, 7
	v_dual_mov_b32 v20, s3 :: v_dual_mov_b32 v19, s2
	s_mov_b32 s2, exec_lo
	s_delay_alu instid0(VALU_DEP_2)
	v_cmpx_ne_u32_e32 0x7f, v63
	s_cbranch_execz .LBB223_523
; %bb.520:                              ;   in Loop: Header=BB223_289 Depth=1
	v_and_b32_e32 v5, 7, v64
	v_lshrrev_b32_e32 v19, 3, v63
	s_mov_b32 s14, exec_lo
	v_cmpx_gt_u32_e32 8, v63
; %bb.521:                              ;   in Loop: Header=BB223_289 Depth=1
	s_delay_alu instid0(VALU_DEP_3) | instskip(NEXT) | instid1(VALU_DEP_1)
	v_clz_i32_u32_e32 v19, v5
	v_min_u32_e32 v19, 32, v19
	s_delay_alu instid0(VALU_DEP_1) | instskip(SKIP_1) | instid1(VALU_DEP_2)
	v_subrev_nc_u32_e32 v20, 28, v19
	v_sub_nc_u32_e32 v19, 29, v19
	v_lshlrev_b64 v[65:66], v20, v[5:6]
	s_delay_alu instid0(VALU_DEP_1)
	v_and_b32_e32 v5, 7, v65
; %bb.522:                              ;   in Loop: Header=BB223_289 Depth=1
	s_or_b32 exec_lo, exec_lo, s14
	v_lshlrev_b32_e32 v20, 24, v64
	s_delay_alu instid0(VALU_DEP_2) | instskip(SKIP_1) | instid1(VALU_DEP_3)
	v_lshlrev_b32_e32 v5, 20, v5
	v_lshl_add_u32 v19, v19, 23, 0x3c000000
	v_and_b32_e32 v20, 0x80000000, v20
	s_delay_alu instid0(VALU_DEP_1)
	v_or3_b32 v20, v5, v20, v19
	v_mov_b32_e32 v19, v6
.LBB223_523:                            ;   in Loop: Header=BB223_289 Depth=1
	s_or_b32 exec_lo, exec_lo, s2
.LBB223_524:                            ;   in Loop: Header=BB223_289 Depth=1
	s_delay_alu instid0(SALU_CYCLE_1)
	s_or_b32 exec_lo, exec_lo, s13
.LBB223_525:                            ;   in Loop: Header=BB223_289 Depth=1
	s_delay_alu instid0(SALU_CYCLE_1) | instskip(SKIP_4) | instid1(VALU_DEP_4)
	s_or_b32 exec_lo, exec_lo, s11
	v_or_b32_e32 v5, v16, v14
	v_or_b32_e32 v13, v15, v13
	;; [unrolled: 1-line block ×4, first 2 shown]
	v_mul_f32_e32 v64, s9, v5
	s_delay_alu instid0(VALU_DEP_4) | instskip(NEXT) | instid1(VALU_DEP_3)
	v_mul_f32_e32 v63, s7, v13
	v_dual_mul_f32 v19, s9, v14 :: v_dual_mul_f32 v20, s7, v15
	s_and_saveexec_b32 s2, vcc_lo
; %bb.526:                              ;   in Loop: Header=BB223_289 Depth=1
	v_cmp_gt_i32_e64 s0, s33, v39
	s_delay_alu instid0(VALU_DEP_1) | instskip(SKIP_1) | instid1(VALU_DEP_1)
	v_cndmask_b32_e64 v63, 0, v63, s0
	v_cmp_gt_i32_e64 s0, s33, v41
	v_cndmask_b32_e64 v64, 0, v64, s0
	v_cmp_gt_i32_e64 s0, s33, v40
	s_delay_alu instid0(VALU_DEP_1) | instskip(SKIP_1) | instid1(VALU_DEP_1)
	v_cndmask_b32_e64 v20, 0, v20, s0
	v_cmp_gt_i32_e64 s0, s33, v32
	v_cndmask_b32_e64 v19, 0, v19, s0
; %bb.527:                              ;   in Loop: Header=BB223_289 Depth=1
	s_or_b32 exec_lo, exec_lo, s2
	global_load_b32 v65, v[11:12], off offset:896
	v_mov_b32_e32 v13, 0
	v_mov_b32_e32 v14, 0
	s_mov_b32 s2, exec_lo
	s_waitcnt vmcnt(0)
	v_and_b32_e32 v5, 0xff, v65
	s_delay_alu instid0(VALU_DEP_2) | instskip(NEXT) | instid1(VALU_DEP_2)
	v_dual_mov_b32 v11, v13 :: v_dual_mov_b32 v12, v14
	v_cmpx_ne_u16_e32 0, v5
	s_cbranch_execz .LBB223_535
; %bb.528:                              ;   in Loop: Header=BB223_289 Depth=1
	v_bfrev_b32_e32 v11, 1
	v_mov_b32_e32 v12, 0
	s_mov_b32 s11, exec_lo
	v_cmpx_ne_u16_e32 0x80, v5
	s_cbranch_execz .LBB223_534
; %bb.529:                              ;   in Loop: Header=BB223_289 Depth=1
	v_mov_b32_e32 v11, 0x7f800001
	v_dual_mov_b32 v12, 0 :: v_dual_and_b32 v15, 0x7f, v65
	s_mov_b32 s13, exec_lo
	s_delay_alu instid0(VALU_DEP_1)
	v_cmpx_ne_u32_e32 0x7f, v15
	s_cbranch_execz .LBB223_533
; %bb.530:                              ;   in Loop: Header=BB223_289 Depth=1
	v_and_b32_e32 v5, 7, v65
	v_lshrrev_b32_e32 v11, 3, v15
	s_mov_b32 s14, exec_lo
	v_cmpx_gt_u32_e32 8, v15
; %bb.531:                              ;   in Loop: Header=BB223_289 Depth=1
	s_delay_alu instid0(VALU_DEP_3) | instskip(NEXT) | instid1(VALU_DEP_1)
	v_clz_i32_u32_e32 v11, v5
	v_min_u32_e32 v11, 32, v11
	s_delay_alu instid0(VALU_DEP_1) | instskip(SKIP_1) | instid1(VALU_DEP_2)
	v_subrev_nc_u32_e32 v12, 28, v11
	v_sub_nc_u32_e32 v11, 29, v11
	v_lshlrev_b64 v[15:16], v12, v[5:6]
	s_delay_alu instid0(VALU_DEP_1)
	v_and_b32_e32 v5, 7, v15
; %bb.532:                              ;   in Loop: Header=BB223_289 Depth=1
	s_or_b32 exec_lo, exec_lo, s14
	v_lshlrev_b32_e32 v12, 24, v65
	s_delay_alu instid0(VALU_DEP_2) | instskip(SKIP_1) | instid1(VALU_DEP_3)
	v_lshlrev_b32_e32 v5, 20, v5
	v_lshl_add_u32 v11, v11, 23, 0x3c000000
	v_and_b32_e32 v12, 0x80000000, v12
	s_delay_alu instid0(VALU_DEP_1) | instskip(NEXT) | instid1(VALU_DEP_1)
	v_or3_b32 v5, v5, v12, v11
	v_dual_mov_b32 v12, v6 :: v_dual_mov_b32 v11, v5
.LBB223_533:                            ;   in Loop: Header=BB223_289 Depth=1
	s_or_b32 exec_lo, exec_lo, s13
.LBB223_534:                            ;   in Loop: Header=BB223_289 Depth=1
	s_delay_alu instid0(SALU_CYCLE_1)
	s_or_b32 exec_lo, exec_lo, s11
.LBB223_535:                            ;   in Loop: Header=BB223_289 Depth=1
	s_delay_alu instid0(SALU_CYCLE_1) | instskip(SKIP_2) | instid1(VALU_DEP_1)
	s_or_b32 exec_lo, exec_lo, s2
	v_lshrrev_b16 v5, 8, v65
	s_mov_b32 s11, exec_lo
	v_cmpx_ne_u16_e32 0, v5
	s_cbranch_execz .LBB223_543
; %bb.536:                              ;   in Loop: Header=BB223_289 Depth=1
	v_dual_mov_b32 v14, s5 :: v_dual_mov_b32 v13, s4
	s_mov_b32 s13, exec_lo
	v_cmpx_ne_u16_e32 0x80, v5
	s_cbranch_execz .LBB223_542
; %bb.537:                              ;   in Loop: Header=BB223_289 Depth=1
	s_mov_b32 s2, s4
	v_dual_mov_b32 v14, s3 :: v_dual_and_b32 v5, 0xffff, v5
	v_mov_b32_e32 v13, s2
	s_mov_b32 s2, exec_lo
	s_delay_alu instid0(VALU_DEP_2) | instskip(NEXT) | instid1(VALU_DEP_1)
	v_and_b32_e32 v15, 0x7f, v5
	v_cmpx_ne_u32_e32 0x7f, v15
	s_cbranch_execz .LBB223_541
; %bb.538:                              ;   in Loop: Header=BB223_289 Depth=1
	v_and_b32_e32 v5, 7, v5
	v_lshrrev_b32_e32 v13, 3, v15
	s_mov_b32 s14, exec_lo
	v_cmpx_gt_u32_e32 8, v15
; %bb.539:                              ;   in Loop: Header=BB223_289 Depth=1
	s_delay_alu instid0(VALU_DEP_3) | instskip(NEXT) | instid1(VALU_DEP_1)
	v_clz_i32_u32_e32 v13, v5
	v_min_u32_e32 v13, 32, v13
	s_delay_alu instid0(VALU_DEP_1) | instskip(SKIP_1) | instid1(VALU_DEP_2)
	v_subrev_nc_u32_e32 v14, 28, v13
	v_sub_nc_u32_e32 v13, 29, v13
	v_lshlrev_b64 v[14:15], v14, v[5:6]
	s_delay_alu instid0(VALU_DEP_1)
	v_and_b32_e32 v5, 7, v14
; %bb.540:                              ;   in Loop: Header=BB223_289 Depth=1
	s_or_b32 exec_lo, exec_lo, s14
	v_lshlrev_b32_e32 v14, 16, v65
	s_delay_alu instid0(VALU_DEP_2) | instskip(SKIP_1) | instid1(VALU_DEP_3)
	v_lshlrev_b32_e32 v5, 20, v5
	v_lshl_add_u32 v13, v13, 23, 0x3c000000
	v_and_b32_e32 v14, 0x80000000, v14
	s_delay_alu instid0(VALU_DEP_1)
	v_or3_b32 v14, v5, v14, v13
	v_mov_b32_e32 v13, v6
.LBB223_541:                            ;   in Loop: Header=BB223_289 Depth=1
	s_or_b32 exec_lo, exec_lo, s2
.LBB223_542:                            ;   in Loop: Header=BB223_289 Depth=1
	s_delay_alu instid0(SALU_CYCLE_1)
	s_or_b32 exec_lo, exec_lo, s13
.LBB223_543:                            ;   in Loop: Header=BB223_289 Depth=1
	s_delay_alu instid0(SALU_CYCLE_1) | instskip(SKIP_4) | instid1(VALU_DEP_2)
	s_or_b32 exec_lo, exec_lo, s11
	v_mov_b32_e32 v17, 0
	v_lshrrev_b32_e32 v66, 16, v65
	v_mov_b32_e32 v18, 0
	s_mov_b32 s2, exec_lo
	v_and_b32_e32 v5, 0xff, v66
	s_delay_alu instid0(VALU_DEP_2) | instskip(NEXT) | instid1(VALU_DEP_2)
	v_dual_mov_b32 v15, v17 :: v_dual_mov_b32 v16, v18
	v_cmpx_ne_u16_e32 0, v5
	s_cbranch_execz .LBB223_551
; %bb.544:                              ;   in Loop: Header=BB223_289 Depth=1
	v_bfrev_b32_e32 v15, 1
	v_mov_b32_e32 v16, 0
	s_mov_b32 s11, exec_lo
	v_cmpx_ne_u16_e32 0x80, v5
	s_cbranch_execz .LBB223_550
; %bb.545:                              ;   in Loop: Header=BB223_289 Depth=1
	v_mov_b32_e32 v15, 0x7f800001
	v_bfe_u32 v67, v65, 16, 7
	v_mov_b32_e32 v16, 0
	s_mov_b32 s13, exec_lo
	s_delay_alu instid0(VALU_DEP_2)
	v_cmpx_ne_u32_e32 0x7f, v67
	s_cbranch_execz .LBB223_549
; %bb.546:                              ;   in Loop: Header=BB223_289 Depth=1
	v_and_b32_e32 v5, 7, v66
	v_lshrrev_b32_e32 v15, 3, v67
	s_mov_b32 s14, exec_lo
	v_cmpx_gt_u32_e32 8, v67
; %bb.547:                              ;   in Loop: Header=BB223_289 Depth=1
	s_delay_alu instid0(VALU_DEP_3) | instskip(NEXT) | instid1(VALU_DEP_1)
	v_clz_i32_u32_e32 v15, v5
	v_min_u32_e32 v15, 32, v15
	s_delay_alu instid0(VALU_DEP_1) | instskip(SKIP_1) | instid1(VALU_DEP_2)
	v_subrev_nc_u32_e32 v16, 28, v15
	v_sub_nc_u32_e32 v15, 29, v15
	v_lshlrev_b64 v[67:68], v16, v[5:6]
	s_delay_alu instid0(VALU_DEP_1)
	v_and_b32_e32 v5, 7, v67
; %bb.548:                              ;   in Loop: Header=BB223_289 Depth=1
	s_or_b32 exec_lo, exec_lo, s14
	v_lshlrev_b32_e32 v16, 24, v66
	s_delay_alu instid0(VALU_DEP_2) | instskip(SKIP_1) | instid1(VALU_DEP_3)
	v_lshlrev_b32_e32 v5, 20, v5
	v_lshl_add_u32 v15, v15, 23, 0x3c000000
	v_and_b32_e32 v16, 0x80000000, v16
	s_delay_alu instid0(VALU_DEP_1) | instskip(NEXT) | instid1(VALU_DEP_1)
	v_or3_b32 v5, v5, v16, v15
	v_dual_mov_b32 v16, v6 :: v_dual_mov_b32 v15, v5
.LBB223_549:                            ;   in Loop: Header=BB223_289 Depth=1
	s_or_b32 exec_lo, exec_lo, s13
.LBB223_550:                            ;   in Loop: Header=BB223_289 Depth=1
	s_delay_alu instid0(SALU_CYCLE_1)
	s_or_b32 exec_lo, exec_lo, s11
.LBB223_551:                            ;   in Loop: Header=BB223_289 Depth=1
	s_delay_alu instid0(SALU_CYCLE_1) | instskip(NEXT) | instid1(SALU_CYCLE_1)
	s_or_b32 exec_lo, exec_lo, s2
	s_mov_b32 s11, exec_lo
	v_cmpx_lt_u32_e32 0xffffff, v65
	s_cbranch_execz .LBB223_559
; %bb.552:                              ;   in Loop: Header=BB223_289 Depth=1
	v_lshrrev_b32_e32 v66, 24, v65
	v_dual_mov_b32 v18, s5 :: v_dual_mov_b32 v17, s4
	s_mov_b32 s13, exec_lo
	s_delay_alu instid0(VALU_DEP_2)
	v_cmpx_ne_u32_e32 0x80, v66
	s_cbranch_execz .LBB223_558
; %bb.553:                              ;   in Loop: Header=BB223_289 Depth=1
	s_mov_b32 s2, s4
	v_bfe_u32 v65, v65, 24, 7
	v_dual_mov_b32 v18, s3 :: v_dual_mov_b32 v17, s2
	s_mov_b32 s2, exec_lo
	s_delay_alu instid0(VALU_DEP_2)
	v_cmpx_ne_u32_e32 0x7f, v65
	s_cbranch_execz .LBB223_557
; %bb.554:                              ;   in Loop: Header=BB223_289 Depth=1
	v_and_b32_e32 v5, 7, v66
	v_lshrrev_b32_e32 v17, 3, v65
	s_mov_b32 s14, exec_lo
	v_cmpx_gt_u32_e32 8, v65
; %bb.555:                              ;   in Loop: Header=BB223_289 Depth=1
	s_delay_alu instid0(VALU_DEP_3) | instskip(NEXT) | instid1(VALU_DEP_1)
	v_clz_i32_u32_e32 v17, v5
	v_min_u32_e32 v17, 32, v17
	s_delay_alu instid0(VALU_DEP_1) | instskip(SKIP_1) | instid1(VALU_DEP_2)
	v_subrev_nc_u32_e32 v18, 28, v17
	v_sub_nc_u32_e32 v17, 29, v17
	v_lshlrev_b64 v[67:68], v18, v[5:6]
	s_delay_alu instid0(VALU_DEP_1)
	v_and_b32_e32 v5, 7, v67
; %bb.556:                              ;   in Loop: Header=BB223_289 Depth=1
	s_or_b32 exec_lo, exec_lo, s14
	v_lshlrev_b32_e32 v18, 24, v66
	s_delay_alu instid0(VALU_DEP_2) | instskip(SKIP_1) | instid1(VALU_DEP_3)
	v_lshlrev_b32_e32 v5, 20, v5
	v_lshl_add_u32 v17, v17, 23, 0x3c000000
	v_and_b32_e32 v18, 0x80000000, v18
	s_delay_alu instid0(VALU_DEP_1)
	v_or3_b32 v18, v5, v18, v17
	v_mov_b32_e32 v17, v6
.LBB223_557:                            ;   in Loop: Header=BB223_289 Depth=1
	s_or_b32 exec_lo, exec_lo, s2
.LBB223_558:                            ;   in Loop: Header=BB223_289 Depth=1
	s_delay_alu instid0(SALU_CYCLE_1)
	s_or_b32 exec_lo, exec_lo, s13
.LBB223_559:                            ;   in Loop: Header=BB223_289 Depth=1
	s_delay_alu instid0(SALU_CYCLE_1) | instskip(SKIP_4) | instid1(VALU_DEP_3)
	s_or_b32 exec_lo, exec_lo, s11
	v_or_b32_e32 v5, v14, v12
	v_or_b32_e32 v11, v13, v11
	;; [unrolled: 1-line block ×4, first 2 shown]
	v_dual_mul_f32 v13, s9, v5 :: v_dual_mul_f32 v12, s7, v11
	s_delay_alu instid0(VALU_DEP_3) | instskip(NEXT) | instid1(VALU_DEP_3)
	v_mul_f32_e32 v5, s9, v14
	v_mul_f32_e32 v11, s7, v15
	s_and_saveexec_b32 s0, vcc_lo
	s_cbranch_execz .LBB223_288
; %bb.560:                              ;   in Loop: Header=BB223_289 Depth=1
	v_cmp_gt_i32_e32 vcc_lo, s33, v39
	v_cndmask_b32_e32 v12, 0, v12, vcc_lo
	v_cmp_gt_i32_e32 vcc_lo, s33, v41
	v_cndmask_b32_e32 v13, 0, v13, vcc_lo
	;; [unrolled: 2-line block ×4, first 2 shown]
	s_branch .LBB223_288
.LBB223_561:
	s_or_b32 exec_lo, exec_lo, s10
.LBB223_562:
	s_delay_alu instid0(SALU_CYCLE_1)
	s_or_b32 exec_lo, exec_lo, s1
	ds_bpermute_b32 v1, v22, v31
	ds_bpermute_b32 v2, v22, v30
	;; [unrolled: 1-line block ×8, first 2 shown]
	v_lshrrev_b32_e32 v9, 1, v21
	v_lshl_add_u32 v10, v45, 9, 0x220
	v_and_b32_e32 v15, 0x3c1, v0
	s_mov_b32 s0, exec_lo
	s_waitcnt lgkmcnt(0)
	s_waitcnt_vscnt null, 0x0
	s_barrier
	buffer_gl0_inv
	v_dual_add_f32 v8, v31, v1 :: v_dual_add_f32 v7, v30, v2
	v_dual_add_f32 v6, v29, v3 :: v_dual_add_f32 v5, v28, v4
	v_dual_add_f32 v4, v27, v11 :: v_dual_add_f32 v3, v26, v12
	v_dual_add_f32 v2, v25, v13 :: v_dual_add_f32 v1, v24, v14
	v_cmpx_eq_u32_e32 64, v15
	s_cbranch_execz .LBB223_564
; %bb.563:
	v_lshlrev_b32_e32 v11, 2, v9
	s_delay_alu instid0(VALU_DEP_1)
	v_add3_u32 v11, v10, v11, 0xfffffc00
	ds_store_2addr_b32 v11, v8, v7 offset1:16
	ds_store_2addr_b32 v11, v6, v5 offset0:32 offset1:48
	ds_store_2addr_b32 v11, v4, v3 offset0:64 offset1:80
	;; [unrolled: 1-line block ×3, first 2 shown]
.LBB223_564:
	s_or_b32 exec_lo, exec_lo, s0
	v_cmp_eq_u32_e32 vcc_lo, 0, v23
	s_mov_b32 s1, exec_lo
	s_waitcnt lgkmcnt(0)
	s_barrier
	buffer_gl0_inv
	v_cmpx_gt_u32_e32 64, v0
	s_cbranch_execz .LBB223_575
; %bb.565:
	s_and_saveexec_b32 s0, vcc_lo
	s_cbranch_execnz .LBB223_591
; %bb.566:
	s_or_b32 exec_lo, exec_lo, s0
	s_and_saveexec_b32 s0, vcc_lo
	s_cbranch_execnz .LBB223_592
.LBB223_567:
	s_or_b32 exec_lo, exec_lo, s0
	s_and_saveexec_b32 s0, vcc_lo
	s_cbranch_execnz .LBB223_593
.LBB223_568:
	s_or_b32 exec_lo, exec_lo, s0
	s_and_saveexec_b32 s0, vcc_lo
	s_cbranch_execnz .LBB223_594
.LBB223_569:
	s_or_b32 exec_lo, exec_lo, s0
	s_and_saveexec_b32 s0, vcc_lo
	s_cbranch_execnz .LBB223_595
.LBB223_570:
	s_or_b32 exec_lo, exec_lo, s0
	s_and_saveexec_b32 s0, vcc_lo
	s_cbranch_execnz .LBB223_596
.LBB223_571:
	s_or_b32 exec_lo, exec_lo, s0
	s_and_saveexec_b32 s0, vcc_lo
	s_cbranch_execnz .LBB223_597
.LBB223_572:
	s_or_b32 exec_lo, exec_lo, s0
	s_and_saveexec_b32 s0, vcc_lo
	s_cbranch_execz .LBB223_574
.LBB223_573:
	v_lshl_add_u32 v11, v9, 2, v10
	ds_load_b32 v11, v11 offset:448
	s_waitcnt lgkmcnt(0)
	v_add_f32_e32 v1, v1, v11
.LBB223_574:
	s_or_b32 exec_lo, exec_lo, s0
.LBB223_575:
	s_delay_alu instid0(SALU_CYCLE_1)
	s_or_b32 exec_lo, exec_lo, s1
	v_and_b32_e32 v11, 0x3e1, v0
	s_mov_b32 s1, exec_lo
	s_barrier
	buffer_gl0_inv
	v_cmpx_eq_u32_e32 32, v11
	s_cbranch_execz .LBB223_577
; %bb.576:
	v_lshl_add_u32 v12, v9, 2, 0x220
	ds_store_2addr_b32 v12, v8, v7 offset1:16
	ds_store_2addr_b32 v12, v6, v5 offset0:32 offset1:48
	ds_store_2addr_b32 v12, v4, v3 offset0:64 offset1:80
	;; [unrolled: 1-line block ×3, first 2 shown]
.LBB223_577:
	s_or_b32 exec_lo, exec_lo, s1
	s_delay_alu instid0(SALU_CYCLE_1)
	s_mov_b32 s1, exec_lo
	s_waitcnt lgkmcnt(0)
	s_barrier
	buffer_gl0_inv
	v_cmpx_gt_u32_e32 32, v0
	s_cbranch_execz .LBB223_588
; %bb.578:
	v_lshl_add_u32 v9, v9, 2, v10
	s_and_saveexec_b32 s0, vcc_lo
	s_cbranch_execnz .LBB223_598
; %bb.579:
	s_or_b32 exec_lo, exec_lo, s0
	s_and_saveexec_b32 s0, vcc_lo
	s_cbranch_execnz .LBB223_599
.LBB223_580:
	s_or_b32 exec_lo, exec_lo, s0
	s_and_saveexec_b32 s0, vcc_lo
	s_cbranch_execnz .LBB223_600
.LBB223_581:
	s_or_b32 exec_lo, exec_lo, s0
	s_and_saveexec_b32 s0, vcc_lo
	s_cbranch_execnz .LBB223_601
.LBB223_582:
	s_or_b32 exec_lo, exec_lo, s0
	s_and_saveexec_b32 s0, vcc_lo
	s_cbranch_execnz .LBB223_602
.LBB223_583:
	s_or_b32 exec_lo, exec_lo, s0
	s_and_saveexec_b32 s0, vcc_lo
	s_cbranch_execnz .LBB223_603
.LBB223_584:
	s_or_b32 exec_lo, exec_lo, s0
	s_and_saveexec_b32 s0, vcc_lo
	s_cbranch_execnz .LBB223_604
.LBB223_585:
	s_or_b32 exec_lo, exec_lo, s0
	s_and_saveexec_b32 s0, vcc_lo
	s_cbranch_execz .LBB223_587
.LBB223_586:
	ds_load_b32 v9, v9 offset:448
	s_waitcnt lgkmcnt(0)
	v_add_f32_e32 v1, v1, v9
.LBB223_587:
	s_or_b32 exec_lo, exec_lo, s0
.LBB223_588:
	s_delay_alu instid0(SALU_CYCLE_1)
	s_or_b32 exec_lo, exec_lo, s1
	s_barrier
	buffer_gl0_inv
	s_mov_b32 s0, exec_lo
	v_cmpx_eq_u32_e32 0, v11
	s_cbranch_execz .LBB223_590
; %bb.589:
	s_lshl_b32 s0, s6, 7
	s_mul_i32 s2, s15, s20
	s_ashr_i32 s1, s0, 31
	v_lshlrev_b32_e32 v0, 1, v0
	s_lshl_b64 s[0:1], s[0:1], 2
	s_delay_alu instid0(SALU_CYCLE_1) | instskip(SKIP_2) | instid1(SALU_CYCLE_1)
	s_add_u32 s4, s22, s0
	s_addc_u32 s5, s23, s1
	s_ashr_i32 s3, s2, 31
	s_lshl_b64 s[0:1], s[2:3], 2
	s_delay_alu instid0(SALU_CYCLE_1) | instskip(SKIP_2) | instid1(SALU_CYCLE_1)
	s_add_u32 s2, s4, s0
	s_addc_u32 s3, s5, s1
	s_lshl_b32 s0, s12, 7
	s_ashr_i32 s1, s0, 31
	s_delay_alu instid0(SALU_CYCLE_1) | instskip(NEXT) | instid1(SALU_CYCLE_1)
	s_lshl_b64 s[0:1], s[0:1], 2
	s_add_u32 s0, s2, s0
	s_addc_u32 s1, s3, s1
	s_clause 0x7
	global_store_b32 v0, v8, s[0:1]
	global_store_b32 v0, v7, s[0:1] offset:64
	global_store_b32 v0, v6, s[0:1] offset:128
	;; [unrolled: 1-line block ×7, first 2 shown]
.LBB223_590:
	s_nop 0
	s_sendmsg sendmsg(MSG_DEALLOC_VGPRS)
	s_endpgm
.LBB223_591:
	v_lshl_add_u32 v11, v9, 2, v10
	ds_load_b32 v11, v11
	s_waitcnt lgkmcnt(0)
	v_add_f32_e32 v8, v8, v11
	s_or_b32 exec_lo, exec_lo, s0
	s_and_saveexec_b32 s0, vcc_lo
	s_cbranch_execz .LBB223_567
.LBB223_592:
	v_lshl_add_u32 v11, v9, 2, v10
	ds_load_b32 v11, v11 offset:64
	s_waitcnt lgkmcnt(0)
	v_add_f32_e32 v7, v7, v11
	s_or_b32 exec_lo, exec_lo, s0
	s_and_saveexec_b32 s0, vcc_lo
	s_cbranch_execz .LBB223_568
.LBB223_593:
	v_lshl_add_u32 v11, v9, 2, v10
	ds_load_b32 v11, v11 offset:128
	s_waitcnt lgkmcnt(0)
	v_add_f32_e32 v6, v6, v11
	s_or_b32 exec_lo, exec_lo, s0
	s_and_saveexec_b32 s0, vcc_lo
	s_cbranch_execz .LBB223_569
.LBB223_594:
	v_lshl_add_u32 v11, v9, 2, v10
	ds_load_b32 v11, v11 offset:192
	s_waitcnt lgkmcnt(0)
	v_add_f32_e32 v5, v5, v11
	s_or_b32 exec_lo, exec_lo, s0
	s_and_saveexec_b32 s0, vcc_lo
	s_cbranch_execz .LBB223_570
.LBB223_595:
	v_lshl_add_u32 v11, v9, 2, v10
	ds_load_b32 v11, v11 offset:256
	s_waitcnt lgkmcnt(0)
	v_add_f32_e32 v4, v4, v11
	s_or_b32 exec_lo, exec_lo, s0
	s_and_saveexec_b32 s0, vcc_lo
	s_cbranch_execz .LBB223_571
.LBB223_596:
	v_lshl_add_u32 v11, v9, 2, v10
	ds_load_b32 v11, v11 offset:320
	s_waitcnt lgkmcnt(0)
	v_add_f32_e32 v3, v3, v11
	s_or_b32 exec_lo, exec_lo, s0
	s_and_saveexec_b32 s0, vcc_lo
	s_cbranch_execz .LBB223_572
.LBB223_597:
	v_lshl_add_u32 v11, v9, 2, v10
	ds_load_b32 v11, v11 offset:384
	s_waitcnt lgkmcnt(0)
	v_add_f32_e32 v2, v2, v11
	s_or_b32 exec_lo, exec_lo, s0
	s_and_saveexec_b32 s0, vcc_lo
	s_cbranch_execnz .LBB223_573
	s_branch .LBB223_574
.LBB223_598:
	ds_load_b32 v10, v9
	s_waitcnt lgkmcnt(0)
	v_add_f32_e32 v8, v8, v10
	s_or_b32 exec_lo, exec_lo, s0
	s_and_saveexec_b32 s0, vcc_lo
	s_cbranch_execz .LBB223_580
.LBB223_599:
	ds_load_b32 v10, v9 offset:64
	s_waitcnt lgkmcnt(0)
	v_add_f32_e32 v7, v7, v10
	s_or_b32 exec_lo, exec_lo, s0
	s_and_saveexec_b32 s0, vcc_lo
	s_cbranch_execz .LBB223_581
.LBB223_600:
	ds_load_b32 v10, v9 offset:128
	s_waitcnt lgkmcnt(0)
	v_add_f32_e32 v6, v6, v10
	s_or_b32 exec_lo, exec_lo, s0
	s_and_saveexec_b32 s0, vcc_lo
	s_cbranch_execz .LBB223_582
.LBB223_601:
	ds_load_b32 v10, v9 offset:192
	s_waitcnt lgkmcnt(0)
	v_add_f32_e32 v5, v5, v10
	s_or_b32 exec_lo, exec_lo, s0
	s_and_saveexec_b32 s0, vcc_lo
	s_cbranch_execz .LBB223_583
.LBB223_602:
	ds_load_b32 v10, v9 offset:256
	s_waitcnt lgkmcnt(0)
	v_add_f32_e32 v4, v4, v10
	s_or_b32 exec_lo, exec_lo, s0
	s_and_saveexec_b32 s0, vcc_lo
	s_cbranch_execz .LBB223_584
.LBB223_603:
	ds_load_b32 v10, v9 offset:320
	s_waitcnt lgkmcnt(0)
	v_add_f32_e32 v3, v3, v10
	s_or_b32 exec_lo, exec_lo, s0
	s_and_saveexec_b32 s0, vcc_lo
	s_cbranch_execz .LBB223_585
.LBB223_604:
	ds_load_b32 v10, v9 offset:384
	s_waitcnt lgkmcnt(0)
	v_add_f32_e32 v2, v2, v10
	s_or_b32 exec_lo, exec_lo, s0
	s_and_saveexec_b32 s0, vcc_lo
	s_cbranch_execnz .LBB223_586
	s_branch .LBB223_587
	.section	.rodata,"a",@progbits
	.p2align	6, 0x0
	.amdhsa_kernel _ZN4vllm25paged_attention_v2_kernelIfhLi128ELi8ELi128ELNS_18Fp8KVCacheDataTypeE1ELb0ELi512EEEvPfS2_PT_PKS3_PKT0_S9_ifPKiSB_iPKfiiiSD_SD_iiiii
		.amdhsa_group_segment_fixed_size 544
		.amdhsa_private_segment_fixed_size 0
		.amdhsa_kernarg_size 400
		.amdhsa_user_sgpr_count 13
		.amdhsa_user_sgpr_dispatch_ptr 0
		.amdhsa_user_sgpr_queue_ptr 0
		.amdhsa_user_sgpr_kernarg_segment_ptr 1
		.amdhsa_user_sgpr_dispatch_id 0
		.amdhsa_user_sgpr_private_segment_size 0
		.amdhsa_wavefront_size32 1
		.amdhsa_uses_dynamic_stack 0
		.amdhsa_enable_private_segment 0
		.amdhsa_system_sgpr_workgroup_id_x 1
		.amdhsa_system_sgpr_workgroup_id_y 1
		.amdhsa_system_sgpr_workgroup_id_z 1
		.amdhsa_system_sgpr_workgroup_info 0
		.amdhsa_system_vgpr_workitem_id 0
		.amdhsa_next_free_vgpr 88
		.amdhsa_next_free_sgpr 42
		.amdhsa_reserve_vcc 1
		.amdhsa_float_round_mode_32 0
		.amdhsa_float_round_mode_16_64 0
		.amdhsa_float_denorm_mode_32 3
		.amdhsa_float_denorm_mode_16_64 3
		.amdhsa_dx10_clamp 1
		.amdhsa_ieee_mode 1
		.amdhsa_fp16_overflow 0
		.amdhsa_workgroup_processor_mode 1
		.amdhsa_memory_ordered 1
		.amdhsa_forward_progress 0
		.amdhsa_shared_vgpr_count 0
		.amdhsa_exception_fp_ieee_invalid_op 0
		.amdhsa_exception_fp_denorm_src 0
		.amdhsa_exception_fp_ieee_div_zero 0
		.amdhsa_exception_fp_ieee_overflow 0
		.amdhsa_exception_fp_ieee_underflow 0
		.amdhsa_exception_fp_ieee_inexact 0
		.amdhsa_exception_int_div_zero 0
	.end_amdhsa_kernel
	.section	.text._ZN4vllm25paged_attention_v2_kernelIfhLi128ELi8ELi128ELNS_18Fp8KVCacheDataTypeE1ELb0ELi512EEEvPfS2_PT_PKS3_PKT0_S9_ifPKiSB_iPKfiiiSD_SD_iiiii,"axG",@progbits,_ZN4vllm25paged_attention_v2_kernelIfhLi128ELi8ELi128ELNS_18Fp8KVCacheDataTypeE1ELb0ELi512EEEvPfS2_PT_PKS3_PKT0_S9_ifPKiSB_iPKfiiiSD_SD_iiiii,comdat
.Lfunc_end223:
	.size	_ZN4vllm25paged_attention_v2_kernelIfhLi128ELi8ELi128ELNS_18Fp8KVCacheDataTypeE1ELb0ELi512EEEvPfS2_PT_PKS3_PKT0_S9_ifPKiSB_iPKfiiiSD_SD_iiiii, .Lfunc_end223-_ZN4vllm25paged_attention_v2_kernelIfhLi128ELi8ELi128ELNS_18Fp8KVCacheDataTypeE1ELb0ELi512EEEvPfS2_PT_PKS3_PKT0_S9_ifPKiSB_iPKfiiiSD_SD_iiiii
                                        ; -- End function
	.section	.AMDGPU.csdata,"",@progbits
; Kernel info:
; codeLenInByte = 19768
; NumSgprs: 44
; NumVgprs: 88
; ScratchSize: 0
; MemoryBound: 0
; FloatMode: 240
; IeeeMode: 1
; LDSByteSize: 544 bytes/workgroup (compile time only)
; SGPRBlocks: 5
; VGPRBlocks: 10
; NumSGPRsForWavesPerEU: 44
; NumVGPRsForWavesPerEU: 88
; Occupancy: 16
; WaveLimiterHint : 1
; COMPUTE_PGM_RSRC2:SCRATCH_EN: 0
; COMPUTE_PGM_RSRC2:USER_SGPR: 13
; COMPUTE_PGM_RSRC2:TRAP_HANDLER: 0
; COMPUTE_PGM_RSRC2:TGID_X_EN: 1
; COMPUTE_PGM_RSRC2:TGID_Y_EN: 1
; COMPUTE_PGM_RSRC2:TGID_Z_EN: 1
; COMPUTE_PGM_RSRC2:TIDIG_COMP_CNT: 0
	.section	.text._ZN4vllm25paged_attention_v2_kernelIfhLi192ELi8ELi128ELNS_18Fp8KVCacheDataTypeE1ELb0ELi512EEEvPfS2_PT_PKS3_PKT0_S9_ifPKiSB_iPKfiiiSD_SD_iiiii,"axG",@progbits,_ZN4vllm25paged_attention_v2_kernelIfhLi192ELi8ELi128ELNS_18Fp8KVCacheDataTypeE1ELb0ELi512EEEvPfS2_PT_PKS3_PKT0_S9_ifPKiSB_iPKfiiiSD_SD_iiiii,comdat
	.protected	_ZN4vllm25paged_attention_v2_kernelIfhLi192ELi8ELi128ELNS_18Fp8KVCacheDataTypeE1ELb0ELi512EEEvPfS2_PT_PKS3_PKT0_S9_ifPKiSB_iPKfiiiSD_SD_iiiii ; -- Begin function _ZN4vllm25paged_attention_v2_kernelIfhLi192ELi8ELi128ELNS_18Fp8KVCacheDataTypeE1ELb0ELi512EEEvPfS2_PT_PKS3_PKT0_S9_ifPKiSB_iPKfiiiSD_SD_iiiii
	.globl	_ZN4vllm25paged_attention_v2_kernelIfhLi192ELi8ELi128ELNS_18Fp8KVCacheDataTypeE1ELb0ELi512EEEvPfS2_PT_PKS3_PKT0_S9_ifPKiSB_iPKfiiiSD_SD_iiiii
	.p2align	8
	.type	_ZN4vllm25paged_attention_v2_kernelIfhLi192ELi8ELi128ELNS_18Fp8KVCacheDataTypeE1ELb0ELi512EEEvPfS2_PT_PKS3_PKT0_S9_ifPKiSB_iPKfiiiSD_SD_iiiii,@function
_ZN4vllm25paged_attention_v2_kernelIfhLi192ELi8ELi128ELNS_18Fp8KVCacheDataTypeE1ELb0ELi512EEEvPfS2_PT_PKS3_PKT0_S9_ifPKiSB_iPKfiiiSD_SD_iiiii: ; @_ZN4vllm25paged_attention_v2_kernelIfhLi192ELi8ELi128ELNS_18Fp8KVCacheDataTypeE1ELb0ELi512EEEvPfS2_PT_PKS3_PKT0_S9_ifPKiSB_iPKfiiiSD_SD_iiiii
; %bb.0:
	s_load_b64 s[2:3], s[0:1], 0x40
	s_mov_b32 s12, s15
	s_ashr_i32 s15, s14, 31
	s_delay_alu instid0(SALU_CYCLE_1)
	s_lshl_b64 s[4:5], s[14:15], 2
	s_waitcnt lgkmcnt(0)
	s_add_u32 s2, s2, s4
	s_addc_u32 s3, s3, s5
	s_lshl_b32 s38, s12, 9
	s_load_b32 s33, s[2:3], 0x0
	s_waitcnt lgkmcnt(0)
	s_cmp_ge_i32 s38, s33
	s_cbranch_scc1 .LBB224_863
; %bb.1:
	s_mov_b32 s30, s13
	s_clause 0x1
	s_load_b32 s13, s[0:1], 0x90
	s_load_b64 s[36:37], s[0:1], 0x30
	s_waitcnt lgkmcnt(0)
	s_abs_i32 s5, s13
	s_abs_i32 s2, s36
	s_delay_alu instid0(SALU_CYCLE_1) | instskip(SKIP_1) | instid1(VALU_DEP_1)
	v_cvt_f32_u32_e32 v1, s2
	s_sub_i32 s4, 0, s2
	v_rcp_iflag_f32_e32 v1, v1
	s_waitcnt_depctr 0xfff
	v_mul_f32_e32 v1, 0x4f7ffffe, v1
	s_delay_alu instid0(VALU_DEP_1) | instskip(NEXT) | instid1(VALU_DEP_1)
	v_cvt_u32_f32_e32 v1, v1
	v_readfirstlane_b32 s3, v1
	s_delay_alu instid0(VALU_DEP_1) | instskip(NEXT) | instid1(SALU_CYCLE_1)
	s_mul_i32 s4, s4, s3
	s_mul_hi_u32 s4, s3, s4
	s_delay_alu instid0(SALU_CYCLE_1)
	s_add_i32 s3, s3, s4
	s_xor_b32 s4, s13, s36
	s_mul_hi_u32 s3, s5, s3
	s_ashr_i32 s4, s4, 31
	s_mul_i32 s6, s3, s2
	s_mov_b32 s36, 0
	s_sub_i32 s5, s5, s6
	s_add_i32 s6, s3, 1
	s_sub_i32 s7, s5, s2
	s_cmp_ge_u32 s5, s2
	s_cselect_b32 s3, s6, s3
	s_cselect_b32 s5, s7, s5
	s_add_i32 s6, s3, 1
	s_cmp_ge_u32 s5, s2
	s_cselect_b32 s2, s6, s3
	s_abs_i32 s21, s30
	s_xor_b32 s2, s2, s4
	s_delay_alu instid0(SALU_CYCLE_1) | instskip(SKIP_2) | instid1(SALU_CYCLE_1)
	s_sub_i32 s22, s2, s4
	s_load_b64 s[2:3], s[0:1], 0x50
	s_abs_i32 s20, s22
	v_cvt_f32_u32_e32 v1, s20
	s_sub_i32 s4, 0, s20
	s_delay_alu instid0(VALU_DEP_1) | instskip(SKIP_2) | instid1(VALU_DEP_1)
	v_rcp_iflag_f32_e32 v1, v1
	s_waitcnt_depctr 0xfff
	v_mul_f32_e32 v1, 0x4f7ffffe, v1
	v_cvt_u32_f32_e32 v1, v1
	s_delay_alu instid0(VALU_DEP_1) | instskip(NEXT) | instid1(VALU_DEP_1)
	v_readfirstlane_b32 s23, v1
	s_mul_i32 s4, s4, s23
	s_delay_alu instid0(SALU_CYCLE_1) | instskip(NEXT) | instid1(SALU_CYCLE_1)
	s_mul_hi_u32 s4, s23, s4
	s_add_i32 s23, s23, s4
	s_waitcnt lgkmcnt(0)
	s_cmp_eq_u64 s[2:3], 0
	s_cbranch_scc1 .LBB224_3
; %bb.2:
	s_ashr_i32 s31, s30, 31
	s_delay_alu instid0(SALU_CYCLE_1) | instskip(NEXT) | instid1(SALU_CYCLE_1)
	s_lshl_b64 s[4:5], s[30:31], 2
	s_add_u32 s2, s2, s4
	s_addc_u32 s3, s3, s5
	s_load_b32 s36, s[2:3], 0x0
.LBB224_3:
	s_clause 0x5
	s_load_b128 s[16:19], s[0:1], 0x0
	s_load_b64 s[24:25], s[0:1], 0x10
	s_load_b128 s[4:7], s[0:1], 0x20
	s_load_b64 s[28:29], s[0:1], 0x38
	s_load_b32 s15, s[0:1], 0x98
	s_load_b128 s[8:11], s[0:1], 0x58
	v_and_b32_e32 v62, 3, v0
	s_mul_i32 s26, s30, 0xc0
	s_mul_hi_u32 s3, s21, s23
	s_ashr_i32 s27, s26, 31
	s_waitcnt lgkmcnt(0)
	s_mov_b32 s11, exec_lo
	v_cmpx_gt_u32_e32 0xc0, v0
	s_cbranch_execz .LBB224_6
; %bb.4:
	s_load_b64 s[34:35], s[0:1], 0x18
	v_and_b32_e32 v1, 0x3fc, v0
	s_mul_i32 s40, s14, s8
	s_lshl_b64 s[42:43], s[26:27], 2
	s_ashr_i32 s41, s40, 31
	v_lshrrev_b32_e32 v2, 2, v0
	v_or_b32_e32 v5, v1, v62
	s_lshl_b64 s[40:41], s[40:41], 2
	v_mad_u32_u24 v4, 0xc0, v62, v1
	s_add_u32 s2, s40, s42
	s_addc_u32 s8, s41, s43
	v_lshlrev_b32_e32 v1, 2, v5
	v_subrev_nc_u32_e32 v3, 32, v2
	s_waitcnt lgkmcnt(0)
	s_add_u32 s2, s34, s2
	s_addc_u32 s8, s35, s8
	v_add_co_u32 v1, s2, s2, v1
	s_delay_alu instid0(VALU_DEP_1)
	v_add_co_ci_u32_e64 v2, null, s8, 0, s2
	s_mov_b32 s8, 0
.LBB224_5:                              ; =>This Inner Loop Header: Depth=1
	global_load_b32 v5, v[1:2], off
	v_add_nc_u32_e32 v3, 32, v3
	v_add_co_u32 v1, vcc_lo, 0x200, v1
	v_add_co_ci_u32_e32 v2, vcc_lo, 0, v2, vcc_lo
	s_delay_alu instid0(VALU_DEP_3) | instskip(NEXT) | instid1(VALU_DEP_1)
	v_cmp_lt_u32_e64 s2, 15, v3
	s_or_b32 s8, s2, s8
	s_waitcnt vmcnt(0)
	ds_store_b32 v4, v5
	v_add_nc_u32_e32 v4, 0x80, v4
	s_and_not1_b32 exec_lo, exec_lo, s8
	s_cbranch_execnz .LBB224_5
.LBB224_6:
	s_or_b32 exec_lo, exec_lo, s11
	s_ashr_i32 s11, s22, 31
	s_add_i32 s22, s33, 7
	s_ashr_i32 s2, s30, 31
	s_ashr_i32 s23, s22, 31
	s_xor_b32 s2, s2, s11
	s_lshr_b32 s11, s23, 29
	s_lshl_b32 s8, s12, 6
	s_add_i32 s22, s22, s11
	s_mul_i32 s23, s3, s20
	s_ashr_i32 s27, s22, 3
	s_load_b32 s22, s[0:1], 0x48
	s_add_i32 s11, s8, 64
	s_sub_i32 s21, s21, s23
	s_min_i32 s11, s11, s27
	s_add_i32 s23, s3, 1
	s_sub_i32 s31, s21, s20
	s_cmp_ge_u32 s21, s20
	v_lshrrev_b32_e32 v61, 5, v0
	s_cselect_b32 s3, s23, s3
	s_cselect_b32 s21, s31, s21
	s_add_i32 s23, s3, 1
	s_cmp_ge_u32 s21, s20
	v_or_b32_e32 v49, s8, v61
	s_cselect_b32 s3, s23, s3
	v_mbcnt_lo_u32_b32 v63, -1, 0
	s_xor_b32 s3, s3, s2
	s_mov_b32 s20, exec_lo
	s_sub_i32 s31, s3, s2
	v_cmp_gt_i32_e64 s2, s11, v49
	s_waitcnt lgkmcnt(0)
	s_mul_i32 s34, s14, s22
	s_barrier
	s_ashr_i32 s35, s34, 31
	buffer_gl0_inv
                                        ; implicit-def: $sgpr3
                                        ; implicit-def: $vgpr64
	v_cmpx_le_i32_e64 s11, v49
	s_xor_b32 s20, exec_lo, s20
; %bb.7:
	v_mbcnt_lo_u32_b32 v63, -1, 0
	v_mov_b32_e32 v64, 32
	s_mov_b32 s3, 0xff7fffff
                                        ; implicit-def: $vgpr62
; %bb.8:
	s_or_saveexec_b32 s39, s20
	s_load_b128 s[20:23], s[0:1], 0x68
	v_mov_b32_e32 v65, s3
	v_ashrrev_i32_e32 v50, 31, v49
	s_mul_i32 s31, s31, s10
	s_xor_b32 exec_lo, exec_lo, s39
	s_cbranch_execz .LBB224_398
; %bb.9:
	v_xor_b32_e32 v41, 2, v63
	v_bfe_u32 v51, v0, 2, 3
	v_xor_b32_e32 v42, 1, v63
	v_mov_b32_e32 v52, 0
	v_mul_u32_u24_e32 v45, 0xc0, v62
	v_cmp_gt_i32_e32 vcc_lo, 32, v41
	v_lshlrev_b32_e32 v1, 4, v51
	s_ashr_i32 s0, s31, 31
	s_add_u32 s1, s4, s31
	s_addc_u32 s0, s5, s0
	v_dual_cndmask_b32 v55, v63, v41 :: v_dual_mov_b32 v64, 32
	v_cmp_gt_i32_e32 vcc_lo, 32, v42
	v_add_co_u32 v53, s1, s1, v1
	ds_load_b128 v[1:4], v45
	ds_load_b128 v[5:8], v45 offset:16
	ds_load_b128 v[9:12], v45 offset:32
	;; [unrolled: 1-line block ×7, first 2 shown]
	v_cndmask_b32_e32 v56, v63, v42, vcc_lo
	ds_load_b128 v[33:36], v45 offset:128
	ds_load_b128 v[37:40], v45 offset:144
	ds_load_b128 v[41:44], v45 offset:160
	ds_load_b128 v[45:48], v45 offset:176
	s_waitcnt lgkmcnt(0)
	s_load_b32 s4, s[20:21], 0x0
	v_dual_mov_b32 v65, 0xff7fffff :: v_dual_lshlrev_b32 v66, 2, v55
	v_lshlrev_b32_e32 v55, 2, v51
	v_dual_mov_b32 v70, v49 :: v_dual_lshlrev_b32 v67, 2, v56
	v_lshlrev_b32_e32 v56, 3, v61
	s_lshl_b64 s[20:21], s[34:35], 2
	s_delay_alu instid0(VALU_DEP_3)
	v_lshl_or_b32 v57, v61, 5, v55
	s_sub_i32 s5, 1, s33
	v_add_co_ci_u32_e64 v54, null, s0, 0, s1
	v_add3_u32 v68, s38, v56, v51
	v_lshlrev_b64 v[55:56], 2, v[49:50]
	s_add_u32 s1, s28, s20
	s_addc_u32 s3, s29, s21
	v_cmp_eq_u32_e32 vcc_lo, 0, v62
	v_cmp_neq_f32_e64 s0, s36, 0
	v_add_nc_u32_e32 v69, 0x320, v57
	v_add_co_u32 v55, s1, s1, v55
	s_delay_alu instid0(VALU_DEP_1)
	v_add_co_ci_u32_e64 v56, s1, s3, v56, s1
	s_mov_b32 s20, s9
	s_mov_b32 s10, 0
	s_branch .LBB224_11
.LBB224_10:                             ;   in Loop: Header=BB224_11 Depth=1
	s_or_b32 exec_lo, exec_lo, s3
	v_add_nc_u32_e32 v70, 4, v70
	v_add_co_u32 v55, s3, v55, 16
	v_add_nc_u32_e32 v68, 32, v68
	v_add_nc_u32_e32 v69, 0x80, v69
	s_delay_alu instid0(VALU_DEP_4) | instskip(SKIP_1) | instid1(VALU_DEP_2)
	v_cmp_le_i32_e64 s1, s11, v70
	v_add_co_ci_u32_e64 v56, s3, 0, v56, s3
	s_or_b32 s10, s1, s10
	s_delay_alu instid0(SALU_CYCLE_1)
	s_and_not1_b32 exec_lo, exec_lo, s10
	s_cbranch_execz .LBB224_397
.LBB224_11:                             ; =>This Inner Loop Header: Depth=1
	global_load_b32 v51, v[55:56], off
	v_mov_b32_e32 v71, 0
	s_mov_b32 s3, exec_lo
	s_waitcnt vmcnt(0) lgkmcnt(0)
	v_mad_i64_i32 v[57:58], null, v51, s20, v[53:54]
	s_delay_alu instid0(VALU_DEP_1) | instskip(NEXT) | instid1(VALU_DEP_1)
	v_add_co_u32 v57, s1, v57, v62
	v_add_co_ci_u32_e64 v58, s1, 0, v58, s1
	global_load_u8 v59, v[57:58], off
	s_waitcnt vmcnt(0)
	v_cmpx_ne_u16_e32 0, v59
	s_cbranch_execz .LBB224_19
; %bb.12:                               ;   in Loop: Header=BB224_11 Depth=1
	v_bfrev_b32_e32 v71, 1
	s_mov_b32 s21, exec_lo
	v_cmpx_ne_u16_e32 0x80, v59
	s_cbranch_execz .LBB224_18
; %bb.13:                               ;   in Loop: Header=BB224_11 Depth=1
	v_and_b32_e32 v51, 0xffff, v59
	v_mov_b32_e32 v71, 0x7f800001
	s_mov_b32 s40, exec_lo
	s_delay_alu instid0(VALU_DEP_2) | instskip(NEXT) | instid1(VALU_DEP_1)
	v_and_b32_e32 v72, 0x7f, v51
	v_cmpx_ne_u32_e32 0x7f, v72
	s_cbranch_execz .LBB224_17
; %bb.14:                               ;   in Loop: Header=BB224_11 Depth=1
	v_and_b32_e32 v51, 7, v51
	v_lshrrev_b32_e32 v60, 3, v72
	s_mov_b32 s41, exec_lo
	v_cmpx_gt_u32_e32 8, v72
; %bb.15:                               ;   in Loop: Header=BB224_11 Depth=1
	s_delay_alu instid0(VALU_DEP_3) | instskip(NEXT) | instid1(VALU_DEP_1)
	v_clz_i32_u32_e32 v60, v51
	v_min_u32_e32 v60, 32, v60
	s_delay_alu instid0(VALU_DEP_1) | instskip(SKIP_1) | instid1(VALU_DEP_2)
	v_subrev_nc_u32_e32 v71, 28, v60
	v_sub_nc_u32_e32 v60, 29, v60
	v_lshlrev_b64 v[71:72], v71, v[51:52]
	s_delay_alu instid0(VALU_DEP_1)
	v_and_b32_e32 v51, 7, v71
; %bb.16:                               ;   in Loop: Header=BB224_11 Depth=1
	s_or_b32 exec_lo, exec_lo, s41
	v_lshlrev_b32_e32 v59, 24, v59
	s_delay_alu instid0(VALU_DEP_2) | instskip(SKIP_1) | instid1(VALU_DEP_3)
	v_lshlrev_b32_e32 v51, 20, v51
	v_lshl_add_u32 v60, v60, 23, 0x3c000000
	v_and_b32_e32 v59, 0x80000000, v59
	s_delay_alu instid0(VALU_DEP_1)
	v_or3_b32 v71, v51, v59, v60
.LBB224_17:                             ;   in Loop: Header=BB224_11 Depth=1
	s_or_b32 exec_lo, exec_lo, s40
.LBB224_18:                             ;   in Loop: Header=BB224_11 Depth=1
	s_delay_alu instid0(SALU_CYCLE_1)
	s_or_b32 exec_lo, exec_lo, s21
.LBB224_19:                             ;   in Loop: Header=BB224_11 Depth=1
	s_delay_alu instid0(SALU_CYCLE_1)
	s_or_b32 exec_lo, exec_lo, s3
	global_load_u8 v59, v[57:58], off offset:4
	v_dual_mov_b32 v72, 0 :: v_dual_mov_b32 v73, 0
	s_mov_b32 s3, exec_lo
	s_waitcnt vmcnt(0)
	v_cmpx_ne_u16_e32 0, v59
	s_cbranch_execz .LBB224_27
; %bb.20:                               ;   in Loop: Header=BB224_11 Depth=1
	v_bfrev_b32_e32 v73, 1
	s_mov_b32 s21, exec_lo
	v_cmpx_ne_u16_e32 0x80, v59
	s_cbranch_execz .LBB224_26
; %bb.21:                               ;   in Loop: Header=BB224_11 Depth=1
	v_and_b32_e32 v51, 0xffff, v59
	v_mov_b32_e32 v73, 0x7f800001
	s_mov_b32 s40, exec_lo
	s_delay_alu instid0(VALU_DEP_2) | instskip(NEXT) | instid1(VALU_DEP_1)
	v_and_b32_e32 v74, 0x7f, v51
	v_cmpx_ne_u32_e32 0x7f, v74
	s_cbranch_execz .LBB224_25
; %bb.22:                               ;   in Loop: Header=BB224_11 Depth=1
	v_and_b32_e32 v51, 7, v51
	v_lshrrev_b32_e32 v60, 3, v74
	s_mov_b32 s41, exec_lo
	v_cmpx_gt_u32_e32 8, v74
; %bb.23:                               ;   in Loop: Header=BB224_11 Depth=1
	s_delay_alu instid0(VALU_DEP_3) | instskip(NEXT) | instid1(VALU_DEP_1)
	v_clz_i32_u32_e32 v60, v51
	v_min_u32_e32 v60, 32, v60
	s_delay_alu instid0(VALU_DEP_1) | instskip(SKIP_1) | instid1(VALU_DEP_2)
	v_subrev_nc_u32_e32 v73, 28, v60
	v_sub_nc_u32_e32 v60, 29, v60
	v_lshlrev_b64 v[73:74], v73, v[51:52]
	s_delay_alu instid0(VALU_DEP_1)
	v_and_b32_e32 v51, 7, v73
; %bb.24:                               ;   in Loop: Header=BB224_11 Depth=1
	s_or_b32 exec_lo, exec_lo, s41
	v_lshlrev_b32_e32 v59, 24, v59
	s_delay_alu instid0(VALU_DEP_2) | instskip(SKIP_1) | instid1(VALU_DEP_3)
	v_lshlrev_b32_e32 v51, 20, v51
	v_lshl_add_u32 v60, v60, 23, 0x3c000000
	v_and_b32_e32 v59, 0x80000000, v59
	s_delay_alu instid0(VALU_DEP_1)
	v_or3_b32 v73, v51, v59, v60
.LBB224_25:                             ;   in Loop: Header=BB224_11 Depth=1
	s_or_b32 exec_lo, exec_lo, s40
.LBB224_26:                             ;   in Loop: Header=BB224_11 Depth=1
	s_delay_alu instid0(SALU_CYCLE_1)
	s_or_b32 exec_lo, exec_lo, s21
.LBB224_27:                             ;   in Loop: Header=BB224_11 Depth=1
	s_delay_alu instid0(SALU_CYCLE_1)
	s_or_b32 exec_lo, exec_lo, s3
	global_load_u8 v59, v[57:58], off offset:8
	s_mov_b32 s3, exec_lo
	s_waitcnt vmcnt(0)
	v_cmpx_ne_u16_e32 0, v59
	s_cbranch_execz .LBB224_35
; %bb.28:                               ;   in Loop: Header=BB224_11 Depth=1
	v_bfrev_b32_e32 v72, 1
	s_mov_b32 s21, exec_lo
	v_cmpx_ne_u16_e32 0x80, v59
	s_cbranch_execz .LBB224_34
; %bb.29:                               ;   in Loop: Header=BB224_11 Depth=1
	v_and_b32_e32 v51, 0xffff, v59
	v_mov_b32_e32 v72, 0x7f800001
	s_mov_b32 s40, exec_lo
	s_delay_alu instid0(VALU_DEP_2) | instskip(NEXT) | instid1(VALU_DEP_1)
	v_and_b32_e32 v74, 0x7f, v51
	v_cmpx_ne_u32_e32 0x7f, v74
	s_cbranch_execz .LBB224_33
; %bb.30:                               ;   in Loop: Header=BB224_11 Depth=1
	v_and_b32_e32 v51, 7, v51
	v_lshrrev_b32_e32 v60, 3, v74
	s_mov_b32 s41, exec_lo
	v_cmpx_gt_u32_e32 8, v74
; %bb.31:                               ;   in Loop: Header=BB224_11 Depth=1
	s_delay_alu instid0(VALU_DEP_3) | instskip(NEXT) | instid1(VALU_DEP_1)
	v_clz_i32_u32_e32 v60, v51
	v_min_u32_e32 v60, 32, v60
	s_delay_alu instid0(VALU_DEP_1) | instskip(SKIP_1) | instid1(VALU_DEP_2)
	v_subrev_nc_u32_e32 v72, 28, v60
	v_sub_nc_u32_e32 v60, 29, v60
	v_lshlrev_b64 v[74:75], v72, v[51:52]
	s_delay_alu instid0(VALU_DEP_1)
	v_and_b32_e32 v51, 7, v74
; %bb.32:                               ;   in Loop: Header=BB224_11 Depth=1
	s_or_b32 exec_lo, exec_lo, s41
	v_lshlrev_b32_e32 v59, 24, v59
	s_delay_alu instid0(VALU_DEP_2) | instskip(SKIP_1) | instid1(VALU_DEP_3)
	v_lshlrev_b32_e32 v51, 20, v51
	v_lshl_add_u32 v60, v60, 23, 0x3c000000
	v_and_b32_e32 v59, 0x80000000, v59
	s_delay_alu instid0(VALU_DEP_1)
	v_or3_b32 v72, v51, v59, v60
.LBB224_33:                             ;   in Loop: Header=BB224_11 Depth=1
	s_or_b32 exec_lo, exec_lo, s40
.LBB224_34:                             ;   in Loop: Header=BB224_11 Depth=1
	s_delay_alu instid0(SALU_CYCLE_1)
	s_or_b32 exec_lo, exec_lo, s21
.LBB224_35:                             ;   in Loop: Header=BB224_11 Depth=1
	s_delay_alu instid0(SALU_CYCLE_1)
	s_or_b32 exec_lo, exec_lo, s3
	global_load_u8 v59, v[57:58], off offset:12
	v_dual_mov_b32 v74, 0 :: v_dual_mov_b32 v75, 0
	s_mov_b32 s3, exec_lo
	s_waitcnt vmcnt(0)
	v_cmpx_ne_u16_e32 0, v59
	s_cbranch_execz .LBB224_43
; %bb.36:                               ;   in Loop: Header=BB224_11 Depth=1
	v_bfrev_b32_e32 v75, 1
	s_mov_b32 s21, exec_lo
	v_cmpx_ne_u16_e32 0x80, v59
	s_cbranch_execz .LBB224_42
; %bb.37:                               ;   in Loop: Header=BB224_11 Depth=1
	v_and_b32_e32 v51, 0xffff, v59
	v_mov_b32_e32 v75, 0x7f800001
	s_mov_b32 s40, exec_lo
	s_delay_alu instid0(VALU_DEP_2) | instskip(NEXT) | instid1(VALU_DEP_1)
	v_and_b32_e32 v76, 0x7f, v51
	v_cmpx_ne_u32_e32 0x7f, v76
	s_cbranch_execz .LBB224_41
; %bb.38:                               ;   in Loop: Header=BB224_11 Depth=1
	v_and_b32_e32 v51, 7, v51
	v_lshrrev_b32_e32 v60, 3, v76
	s_mov_b32 s41, exec_lo
	v_cmpx_gt_u32_e32 8, v76
; %bb.39:                               ;   in Loop: Header=BB224_11 Depth=1
	s_delay_alu instid0(VALU_DEP_3) | instskip(NEXT) | instid1(VALU_DEP_1)
	v_clz_i32_u32_e32 v60, v51
	v_min_u32_e32 v60, 32, v60
	s_delay_alu instid0(VALU_DEP_1) | instskip(SKIP_1) | instid1(VALU_DEP_2)
	v_subrev_nc_u32_e32 v75, 28, v60
	v_sub_nc_u32_e32 v60, 29, v60
	v_lshlrev_b64 v[75:76], v75, v[51:52]
	s_delay_alu instid0(VALU_DEP_1)
	v_and_b32_e32 v51, 7, v75
; %bb.40:                               ;   in Loop: Header=BB224_11 Depth=1
	s_or_b32 exec_lo, exec_lo, s41
	v_lshlrev_b32_e32 v59, 24, v59
	s_delay_alu instid0(VALU_DEP_2) | instskip(SKIP_1) | instid1(VALU_DEP_3)
	v_lshlrev_b32_e32 v51, 20, v51
	v_lshl_add_u32 v60, v60, 23, 0x3c000000
	v_and_b32_e32 v59, 0x80000000, v59
	s_delay_alu instid0(VALU_DEP_1)
	v_or3_b32 v75, v51, v59, v60
.LBB224_41:                             ;   in Loop: Header=BB224_11 Depth=1
	s_or_b32 exec_lo, exec_lo, s40
.LBB224_42:                             ;   in Loop: Header=BB224_11 Depth=1
	s_delay_alu instid0(SALU_CYCLE_1)
	s_or_b32 exec_lo, exec_lo, s21
.LBB224_43:                             ;   in Loop: Header=BB224_11 Depth=1
	s_delay_alu instid0(SALU_CYCLE_1)
	s_or_b32 exec_lo, exec_lo, s3
	global_load_u8 v59, v[57:58], off offset:128
	s_mov_b32 s3, exec_lo
	s_waitcnt vmcnt(0)
	v_cmpx_ne_u16_e32 0, v59
	s_cbranch_execz .LBB224_51
; %bb.44:                               ;   in Loop: Header=BB224_11 Depth=1
	v_bfrev_b32_e32 v74, 1
	s_mov_b32 s21, exec_lo
	v_cmpx_ne_u16_e32 0x80, v59
	s_cbranch_execz .LBB224_50
; %bb.45:                               ;   in Loop: Header=BB224_11 Depth=1
	v_and_b32_e32 v51, 0xffff, v59
	v_mov_b32_e32 v74, 0x7f800001
	s_mov_b32 s40, exec_lo
	s_delay_alu instid0(VALU_DEP_2) | instskip(NEXT) | instid1(VALU_DEP_1)
	v_and_b32_e32 v76, 0x7f, v51
	v_cmpx_ne_u32_e32 0x7f, v76
	s_cbranch_execz .LBB224_49
; %bb.46:                               ;   in Loop: Header=BB224_11 Depth=1
	v_and_b32_e32 v51, 7, v51
	v_lshrrev_b32_e32 v60, 3, v76
	s_mov_b32 s41, exec_lo
	v_cmpx_gt_u32_e32 8, v76
; %bb.47:                               ;   in Loop: Header=BB224_11 Depth=1
	s_delay_alu instid0(VALU_DEP_3) | instskip(NEXT) | instid1(VALU_DEP_1)
	v_clz_i32_u32_e32 v60, v51
	v_min_u32_e32 v60, 32, v60
	s_delay_alu instid0(VALU_DEP_1) | instskip(SKIP_1) | instid1(VALU_DEP_2)
	v_subrev_nc_u32_e32 v74, 28, v60
	v_sub_nc_u32_e32 v60, 29, v60
	v_lshlrev_b64 v[76:77], v74, v[51:52]
	s_delay_alu instid0(VALU_DEP_1)
	v_and_b32_e32 v51, 7, v76
; %bb.48:                               ;   in Loop: Header=BB224_11 Depth=1
	s_or_b32 exec_lo, exec_lo, s41
	v_lshlrev_b32_e32 v59, 24, v59
	s_delay_alu instid0(VALU_DEP_2) | instskip(SKIP_1) | instid1(VALU_DEP_3)
	v_lshlrev_b32_e32 v51, 20, v51
	v_lshl_add_u32 v60, v60, 23, 0x3c000000
	v_and_b32_e32 v59, 0x80000000, v59
	s_delay_alu instid0(VALU_DEP_1)
	v_or3_b32 v74, v51, v59, v60
.LBB224_49:                             ;   in Loop: Header=BB224_11 Depth=1
	s_or_b32 exec_lo, exec_lo, s40
.LBB224_50:                             ;   in Loop: Header=BB224_11 Depth=1
	s_delay_alu instid0(SALU_CYCLE_1)
	s_or_b32 exec_lo, exec_lo, s21
.LBB224_51:                             ;   in Loop: Header=BB224_11 Depth=1
	s_delay_alu instid0(SALU_CYCLE_1)
	s_or_b32 exec_lo, exec_lo, s3
	global_load_u8 v59, v[57:58], off offset:132
	v_dual_mov_b32 v76, 0 :: v_dual_mov_b32 v77, 0
	s_mov_b32 s3, exec_lo
	s_waitcnt vmcnt(0)
	v_cmpx_ne_u16_e32 0, v59
	s_cbranch_execz .LBB224_59
; %bb.52:                               ;   in Loop: Header=BB224_11 Depth=1
	v_bfrev_b32_e32 v77, 1
	s_mov_b32 s21, exec_lo
	v_cmpx_ne_u16_e32 0x80, v59
	s_cbranch_execz .LBB224_58
; %bb.53:                               ;   in Loop: Header=BB224_11 Depth=1
	v_and_b32_e32 v51, 0xffff, v59
	v_mov_b32_e32 v77, 0x7f800001
	s_mov_b32 s40, exec_lo
	s_delay_alu instid0(VALU_DEP_2) | instskip(NEXT) | instid1(VALU_DEP_1)
	v_and_b32_e32 v78, 0x7f, v51
	v_cmpx_ne_u32_e32 0x7f, v78
	s_cbranch_execz .LBB224_57
; %bb.54:                               ;   in Loop: Header=BB224_11 Depth=1
	v_and_b32_e32 v51, 7, v51
	v_lshrrev_b32_e32 v60, 3, v78
	s_mov_b32 s41, exec_lo
	v_cmpx_gt_u32_e32 8, v78
; %bb.55:                               ;   in Loop: Header=BB224_11 Depth=1
	s_delay_alu instid0(VALU_DEP_3) | instskip(NEXT) | instid1(VALU_DEP_1)
	v_clz_i32_u32_e32 v60, v51
	v_min_u32_e32 v60, 32, v60
	s_delay_alu instid0(VALU_DEP_1) | instskip(SKIP_1) | instid1(VALU_DEP_2)
	v_subrev_nc_u32_e32 v77, 28, v60
	v_sub_nc_u32_e32 v60, 29, v60
	v_lshlrev_b64 v[77:78], v77, v[51:52]
	s_delay_alu instid0(VALU_DEP_1)
	v_and_b32_e32 v51, 7, v77
; %bb.56:                               ;   in Loop: Header=BB224_11 Depth=1
	s_or_b32 exec_lo, exec_lo, s41
	v_lshlrev_b32_e32 v59, 24, v59
	s_delay_alu instid0(VALU_DEP_2) | instskip(SKIP_1) | instid1(VALU_DEP_3)
	v_lshlrev_b32_e32 v51, 20, v51
	v_lshl_add_u32 v60, v60, 23, 0x3c000000
	v_and_b32_e32 v59, 0x80000000, v59
	s_delay_alu instid0(VALU_DEP_1)
	v_or3_b32 v77, v51, v59, v60
.LBB224_57:                             ;   in Loop: Header=BB224_11 Depth=1
	s_or_b32 exec_lo, exec_lo, s40
.LBB224_58:                             ;   in Loop: Header=BB224_11 Depth=1
	s_delay_alu instid0(SALU_CYCLE_1)
	s_or_b32 exec_lo, exec_lo, s21
.LBB224_59:                             ;   in Loop: Header=BB224_11 Depth=1
	s_delay_alu instid0(SALU_CYCLE_1) | instskip(SKIP_1) | instid1(VALU_DEP_1)
	s_or_b32 exec_lo, exec_lo, s3
	v_add_co_u32 v59, s1, 0x80, v57
	v_add_co_ci_u32_e64 v60, s1, 0, v58, s1
	s_mov_b32 s3, exec_lo
	global_load_u8 v78, v[59:60], off offset:8
	s_waitcnt vmcnt(0)
	v_cmpx_ne_u16_e32 0, v78
	s_cbranch_execz .LBB224_67
; %bb.60:                               ;   in Loop: Header=BB224_11 Depth=1
	v_bfrev_b32_e32 v76, 1
	s_mov_b32 s21, exec_lo
	v_cmpx_ne_u16_e32 0x80, v78
	s_cbranch_execz .LBB224_66
; %bb.61:                               ;   in Loop: Header=BB224_11 Depth=1
	v_and_b32_e32 v51, 0xffff, v78
	v_mov_b32_e32 v76, 0x7f800001
	s_mov_b32 s40, exec_lo
	s_delay_alu instid0(VALU_DEP_2) | instskip(NEXT) | instid1(VALU_DEP_1)
	v_and_b32_e32 v79, 0x7f, v51
	v_cmpx_ne_u32_e32 0x7f, v79
	s_cbranch_execz .LBB224_65
; %bb.62:                               ;   in Loop: Header=BB224_11 Depth=1
	v_and_b32_e32 v51, 7, v51
	v_lshrrev_b32_e32 v76, 3, v79
	s_mov_b32 s41, exec_lo
	v_cmpx_gt_u32_e32 8, v79
; %bb.63:                               ;   in Loop: Header=BB224_11 Depth=1
	s_delay_alu instid0(VALU_DEP_3) | instskip(NEXT) | instid1(VALU_DEP_1)
	v_clz_i32_u32_e32 v76, v51
	v_min_u32_e32 v76, 32, v76
	s_delay_alu instid0(VALU_DEP_1) | instskip(SKIP_1) | instid1(VALU_DEP_2)
	v_subrev_nc_u32_e32 v79, 28, v76
	v_sub_nc_u32_e32 v76, 29, v76
	v_lshlrev_b64 v[79:80], v79, v[51:52]
	s_delay_alu instid0(VALU_DEP_1)
	v_and_b32_e32 v51, 7, v79
; %bb.64:                               ;   in Loop: Header=BB224_11 Depth=1
	s_or_b32 exec_lo, exec_lo, s41
	v_lshlrev_b32_e32 v78, 24, v78
	s_delay_alu instid0(VALU_DEP_2) | instskip(SKIP_1) | instid1(VALU_DEP_3)
	v_lshlrev_b32_e32 v51, 20, v51
	v_lshl_add_u32 v76, v76, 23, 0x3c000000
	v_and_b32_e32 v78, 0x80000000, v78
	s_delay_alu instid0(VALU_DEP_1)
	v_or3_b32 v76, v51, v78, v76
.LBB224_65:                             ;   in Loop: Header=BB224_11 Depth=1
	s_or_b32 exec_lo, exec_lo, s40
.LBB224_66:                             ;   in Loop: Header=BB224_11 Depth=1
	s_delay_alu instid0(SALU_CYCLE_1)
	s_or_b32 exec_lo, exec_lo, s21
.LBB224_67:                             ;   in Loop: Header=BB224_11 Depth=1
	s_delay_alu instid0(SALU_CYCLE_1)
	s_or_b32 exec_lo, exec_lo, s3
	global_load_u8 v59, v[59:60], off offset:12
	v_dual_mov_b32 v78, 0 :: v_dual_mov_b32 v79, 0
	s_mov_b32 s3, exec_lo
	s_waitcnt vmcnt(0)
	v_cmpx_ne_u16_e32 0, v59
	s_cbranch_execz .LBB224_75
; %bb.68:                               ;   in Loop: Header=BB224_11 Depth=1
	v_bfrev_b32_e32 v79, 1
	s_mov_b32 s21, exec_lo
	v_cmpx_ne_u16_e32 0x80, v59
	s_cbranch_execz .LBB224_74
; %bb.69:                               ;   in Loop: Header=BB224_11 Depth=1
	v_and_b32_e32 v51, 0xffff, v59
	v_mov_b32_e32 v79, 0x7f800001
	s_mov_b32 s40, exec_lo
	s_delay_alu instid0(VALU_DEP_2) | instskip(NEXT) | instid1(VALU_DEP_1)
	v_and_b32_e32 v80, 0x7f, v51
	v_cmpx_ne_u32_e32 0x7f, v80
	s_cbranch_execz .LBB224_73
; %bb.70:                               ;   in Loop: Header=BB224_11 Depth=1
	v_and_b32_e32 v51, 7, v51
	v_lshrrev_b32_e32 v60, 3, v80
	s_mov_b32 s41, exec_lo
	v_cmpx_gt_u32_e32 8, v80
; %bb.71:                               ;   in Loop: Header=BB224_11 Depth=1
	s_delay_alu instid0(VALU_DEP_3) | instskip(NEXT) | instid1(VALU_DEP_1)
	v_clz_i32_u32_e32 v60, v51
	v_min_u32_e32 v60, 32, v60
	s_delay_alu instid0(VALU_DEP_1) | instskip(SKIP_1) | instid1(VALU_DEP_2)
	v_subrev_nc_u32_e32 v79, 28, v60
	v_sub_nc_u32_e32 v60, 29, v60
	v_lshlrev_b64 v[79:80], v79, v[51:52]
	s_delay_alu instid0(VALU_DEP_1)
	v_and_b32_e32 v51, 7, v79
; %bb.72:                               ;   in Loop: Header=BB224_11 Depth=1
	s_or_b32 exec_lo, exec_lo, s41
	v_lshlrev_b32_e32 v59, 24, v59
	s_delay_alu instid0(VALU_DEP_2) | instskip(SKIP_1) | instid1(VALU_DEP_3)
	v_lshlrev_b32_e32 v51, 20, v51
	v_lshl_add_u32 v60, v60, 23, 0x3c000000
	v_and_b32_e32 v59, 0x80000000, v59
	s_delay_alu instid0(VALU_DEP_1)
	v_or3_b32 v79, v51, v59, v60
.LBB224_73:                             ;   in Loop: Header=BB224_11 Depth=1
	s_or_b32 exec_lo, exec_lo, s40
.LBB224_74:                             ;   in Loop: Header=BB224_11 Depth=1
	s_delay_alu instid0(SALU_CYCLE_1)
	s_or_b32 exec_lo, exec_lo, s21
.LBB224_75:                             ;   in Loop: Header=BB224_11 Depth=1
	s_delay_alu instid0(SALU_CYCLE_1)
	s_or_b32 exec_lo, exec_lo, s3
	global_load_u8 v59, v[57:58], off offset:256
	s_mov_b32 s3, exec_lo
	s_waitcnt vmcnt(0)
	v_cmpx_ne_u16_e32 0, v59
	s_cbranch_execz .LBB224_83
; %bb.76:                               ;   in Loop: Header=BB224_11 Depth=1
	v_bfrev_b32_e32 v78, 1
	s_mov_b32 s21, exec_lo
	v_cmpx_ne_u16_e32 0x80, v59
	s_cbranch_execz .LBB224_82
; %bb.77:                               ;   in Loop: Header=BB224_11 Depth=1
	v_and_b32_e32 v51, 0xffff, v59
	v_mov_b32_e32 v78, 0x7f800001
	s_mov_b32 s40, exec_lo
	s_delay_alu instid0(VALU_DEP_2) | instskip(NEXT) | instid1(VALU_DEP_1)
	v_and_b32_e32 v80, 0x7f, v51
	v_cmpx_ne_u32_e32 0x7f, v80
	s_cbranch_execz .LBB224_81
; %bb.78:                               ;   in Loop: Header=BB224_11 Depth=1
	v_and_b32_e32 v51, 7, v51
	v_lshrrev_b32_e32 v60, 3, v80
	s_mov_b32 s41, exec_lo
	v_cmpx_gt_u32_e32 8, v80
; %bb.79:                               ;   in Loop: Header=BB224_11 Depth=1
	s_delay_alu instid0(VALU_DEP_3) | instskip(NEXT) | instid1(VALU_DEP_1)
	v_clz_i32_u32_e32 v60, v51
	v_min_u32_e32 v60, 32, v60
	s_delay_alu instid0(VALU_DEP_1) | instskip(SKIP_1) | instid1(VALU_DEP_2)
	v_subrev_nc_u32_e32 v78, 28, v60
	v_sub_nc_u32_e32 v60, 29, v60
	v_lshlrev_b64 v[80:81], v78, v[51:52]
	s_delay_alu instid0(VALU_DEP_1)
	v_and_b32_e32 v51, 7, v80
; %bb.80:                               ;   in Loop: Header=BB224_11 Depth=1
	s_or_b32 exec_lo, exec_lo, s41
	v_lshlrev_b32_e32 v59, 24, v59
	s_delay_alu instid0(VALU_DEP_2) | instskip(SKIP_1) | instid1(VALU_DEP_3)
	v_lshlrev_b32_e32 v51, 20, v51
	v_lshl_add_u32 v60, v60, 23, 0x3c000000
	v_and_b32_e32 v59, 0x80000000, v59
	s_delay_alu instid0(VALU_DEP_1)
	v_or3_b32 v78, v51, v59, v60
.LBB224_81:                             ;   in Loop: Header=BB224_11 Depth=1
	s_or_b32 exec_lo, exec_lo, s40
.LBB224_82:                             ;   in Loop: Header=BB224_11 Depth=1
	s_delay_alu instid0(SALU_CYCLE_1)
	s_or_b32 exec_lo, exec_lo, s21
.LBB224_83:                             ;   in Loop: Header=BB224_11 Depth=1
	s_delay_alu instid0(SALU_CYCLE_1)
	s_or_b32 exec_lo, exec_lo, s3
	global_load_u8 v59, v[57:58], off offset:260
	v_dual_mov_b32 v80, 0 :: v_dual_mov_b32 v81, 0
	s_mov_b32 s3, exec_lo
	s_waitcnt vmcnt(0)
	v_cmpx_ne_u16_e32 0, v59
	s_cbranch_execz .LBB224_91
; %bb.84:                               ;   in Loop: Header=BB224_11 Depth=1
	v_bfrev_b32_e32 v81, 1
	s_mov_b32 s21, exec_lo
	v_cmpx_ne_u16_e32 0x80, v59
	s_cbranch_execz .LBB224_90
; %bb.85:                               ;   in Loop: Header=BB224_11 Depth=1
	v_and_b32_e32 v51, 0xffff, v59
	v_mov_b32_e32 v81, 0x7f800001
	s_mov_b32 s40, exec_lo
	s_delay_alu instid0(VALU_DEP_2) | instskip(NEXT) | instid1(VALU_DEP_1)
	v_and_b32_e32 v82, 0x7f, v51
	v_cmpx_ne_u32_e32 0x7f, v82
	s_cbranch_execz .LBB224_89
; %bb.86:                               ;   in Loop: Header=BB224_11 Depth=1
	v_and_b32_e32 v51, 7, v51
	v_lshrrev_b32_e32 v60, 3, v82
	s_mov_b32 s41, exec_lo
	v_cmpx_gt_u32_e32 8, v82
; %bb.87:                               ;   in Loop: Header=BB224_11 Depth=1
	s_delay_alu instid0(VALU_DEP_3) | instskip(NEXT) | instid1(VALU_DEP_1)
	v_clz_i32_u32_e32 v60, v51
	v_min_u32_e32 v60, 32, v60
	s_delay_alu instid0(VALU_DEP_1) | instskip(SKIP_1) | instid1(VALU_DEP_2)
	v_subrev_nc_u32_e32 v81, 28, v60
	v_sub_nc_u32_e32 v60, 29, v60
	v_lshlrev_b64 v[81:82], v81, v[51:52]
	s_delay_alu instid0(VALU_DEP_1)
	v_and_b32_e32 v51, 7, v81
; %bb.88:                               ;   in Loop: Header=BB224_11 Depth=1
	s_or_b32 exec_lo, exec_lo, s41
	v_lshlrev_b32_e32 v59, 24, v59
	s_delay_alu instid0(VALU_DEP_2) | instskip(SKIP_1) | instid1(VALU_DEP_3)
	v_lshlrev_b32_e32 v51, 20, v51
	v_lshl_add_u32 v60, v60, 23, 0x3c000000
	v_and_b32_e32 v59, 0x80000000, v59
	s_delay_alu instid0(VALU_DEP_1)
	v_or3_b32 v81, v51, v59, v60
.LBB224_89:                             ;   in Loop: Header=BB224_11 Depth=1
	s_or_b32 exec_lo, exec_lo, s40
.LBB224_90:                             ;   in Loop: Header=BB224_11 Depth=1
	s_delay_alu instid0(SALU_CYCLE_1)
	s_or_b32 exec_lo, exec_lo, s21
.LBB224_91:                             ;   in Loop: Header=BB224_11 Depth=1
	s_delay_alu instid0(SALU_CYCLE_1) | instskip(SKIP_1) | instid1(VALU_DEP_1)
	s_or_b32 exec_lo, exec_lo, s3
	v_add_co_u32 v59, s1, 0x100, v57
	v_add_co_ci_u32_e64 v60, s1, 0, v58, s1
	s_mov_b32 s3, exec_lo
	global_load_u8 v82, v[59:60], off offset:8
	s_waitcnt vmcnt(0)
	v_cmpx_ne_u16_e32 0, v82
	s_cbranch_execz .LBB224_99
; %bb.92:                               ;   in Loop: Header=BB224_11 Depth=1
	v_bfrev_b32_e32 v80, 1
	s_mov_b32 s21, exec_lo
	v_cmpx_ne_u16_e32 0x80, v82
	s_cbranch_execz .LBB224_98
; %bb.93:                               ;   in Loop: Header=BB224_11 Depth=1
	v_and_b32_e32 v51, 0xffff, v82
	v_mov_b32_e32 v80, 0x7f800001
	s_mov_b32 s40, exec_lo
	s_delay_alu instid0(VALU_DEP_2) | instskip(NEXT) | instid1(VALU_DEP_1)
	v_and_b32_e32 v83, 0x7f, v51
	v_cmpx_ne_u32_e32 0x7f, v83
	s_cbranch_execz .LBB224_97
; %bb.94:                               ;   in Loop: Header=BB224_11 Depth=1
	v_and_b32_e32 v51, 7, v51
	v_lshrrev_b32_e32 v80, 3, v83
	s_mov_b32 s41, exec_lo
	v_cmpx_gt_u32_e32 8, v83
; %bb.95:                               ;   in Loop: Header=BB224_11 Depth=1
	s_delay_alu instid0(VALU_DEP_3) | instskip(NEXT) | instid1(VALU_DEP_1)
	v_clz_i32_u32_e32 v80, v51
	v_min_u32_e32 v80, 32, v80
	s_delay_alu instid0(VALU_DEP_1) | instskip(SKIP_1) | instid1(VALU_DEP_2)
	v_subrev_nc_u32_e32 v83, 28, v80
	v_sub_nc_u32_e32 v80, 29, v80
	v_lshlrev_b64 v[83:84], v83, v[51:52]
	s_delay_alu instid0(VALU_DEP_1)
	v_and_b32_e32 v51, 7, v83
; %bb.96:                               ;   in Loop: Header=BB224_11 Depth=1
	s_or_b32 exec_lo, exec_lo, s41
	v_lshlrev_b32_e32 v82, 24, v82
	s_delay_alu instid0(VALU_DEP_2) | instskip(SKIP_1) | instid1(VALU_DEP_3)
	v_lshlrev_b32_e32 v51, 20, v51
	v_lshl_add_u32 v80, v80, 23, 0x3c000000
	v_and_b32_e32 v82, 0x80000000, v82
	s_delay_alu instid0(VALU_DEP_1)
	v_or3_b32 v80, v51, v82, v80
.LBB224_97:                             ;   in Loop: Header=BB224_11 Depth=1
	s_or_b32 exec_lo, exec_lo, s40
.LBB224_98:                             ;   in Loop: Header=BB224_11 Depth=1
	s_delay_alu instid0(SALU_CYCLE_1)
	s_or_b32 exec_lo, exec_lo, s21
.LBB224_99:                             ;   in Loop: Header=BB224_11 Depth=1
	s_delay_alu instid0(SALU_CYCLE_1)
	s_or_b32 exec_lo, exec_lo, s3
	global_load_u8 v59, v[59:60], off offset:12
	v_dual_mov_b32 v82, 0 :: v_dual_mov_b32 v83, 0
	s_mov_b32 s3, exec_lo
	s_waitcnt vmcnt(0)
	v_cmpx_ne_u16_e32 0, v59
	s_cbranch_execz .LBB224_107
; %bb.100:                              ;   in Loop: Header=BB224_11 Depth=1
	v_bfrev_b32_e32 v83, 1
	s_mov_b32 s21, exec_lo
	v_cmpx_ne_u16_e32 0x80, v59
	s_cbranch_execz .LBB224_106
; %bb.101:                              ;   in Loop: Header=BB224_11 Depth=1
	v_and_b32_e32 v51, 0xffff, v59
	v_mov_b32_e32 v83, 0x7f800001
	s_mov_b32 s40, exec_lo
	s_delay_alu instid0(VALU_DEP_2) | instskip(NEXT) | instid1(VALU_DEP_1)
	v_and_b32_e32 v84, 0x7f, v51
	v_cmpx_ne_u32_e32 0x7f, v84
	s_cbranch_execz .LBB224_105
; %bb.102:                              ;   in Loop: Header=BB224_11 Depth=1
	v_and_b32_e32 v51, 7, v51
	v_lshrrev_b32_e32 v60, 3, v84
	s_mov_b32 s41, exec_lo
	v_cmpx_gt_u32_e32 8, v84
; %bb.103:                              ;   in Loop: Header=BB224_11 Depth=1
	s_delay_alu instid0(VALU_DEP_3) | instskip(NEXT) | instid1(VALU_DEP_1)
	v_clz_i32_u32_e32 v60, v51
	v_min_u32_e32 v60, 32, v60
	s_delay_alu instid0(VALU_DEP_1) | instskip(SKIP_1) | instid1(VALU_DEP_2)
	v_subrev_nc_u32_e32 v83, 28, v60
	v_sub_nc_u32_e32 v60, 29, v60
	v_lshlrev_b64 v[83:84], v83, v[51:52]
	s_delay_alu instid0(VALU_DEP_1)
	v_and_b32_e32 v51, 7, v83
; %bb.104:                              ;   in Loop: Header=BB224_11 Depth=1
	s_or_b32 exec_lo, exec_lo, s41
	v_lshlrev_b32_e32 v59, 24, v59
	s_delay_alu instid0(VALU_DEP_2) | instskip(SKIP_1) | instid1(VALU_DEP_3)
	v_lshlrev_b32_e32 v51, 20, v51
	v_lshl_add_u32 v60, v60, 23, 0x3c000000
	v_and_b32_e32 v59, 0x80000000, v59
	s_delay_alu instid0(VALU_DEP_1)
	v_or3_b32 v83, v51, v59, v60
.LBB224_105:                            ;   in Loop: Header=BB224_11 Depth=1
	s_or_b32 exec_lo, exec_lo, s40
.LBB224_106:                            ;   in Loop: Header=BB224_11 Depth=1
	s_delay_alu instid0(SALU_CYCLE_1)
	s_or_b32 exec_lo, exec_lo, s21
.LBB224_107:                            ;   in Loop: Header=BB224_11 Depth=1
	s_delay_alu instid0(SALU_CYCLE_1)
	s_or_b32 exec_lo, exec_lo, s3
	global_load_u8 v59, v[57:58], off offset:384
	s_mov_b32 s3, exec_lo
	s_waitcnt vmcnt(0)
	v_cmpx_ne_u16_e32 0, v59
	s_cbranch_execz .LBB224_115
; %bb.108:                              ;   in Loop: Header=BB224_11 Depth=1
	v_bfrev_b32_e32 v82, 1
	s_mov_b32 s21, exec_lo
	v_cmpx_ne_u16_e32 0x80, v59
	s_cbranch_execz .LBB224_114
; %bb.109:                              ;   in Loop: Header=BB224_11 Depth=1
	v_and_b32_e32 v51, 0xffff, v59
	v_mov_b32_e32 v82, 0x7f800001
	s_mov_b32 s40, exec_lo
	s_delay_alu instid0(VALU_DEP_2) | instskip(NEXT) | instid1(VALU_DEP_1)
	v_and_b32_e32 v84, 0x7f, v51
	v_cmpx_ne_u32_e32 0x7f, v84
	s_cbranch_execz .LBB224_113
; %bb.110:                              ;   in Loop: Header=BB224_11 Depth=1
	v_and_b32_e32 v51, 7, v51
	v_lshrrev_b32_e32 v60, 3, v84
	s_mov_b32 s41, exec_lo
	v_cmpx_gt_u32_e32 8, v84
; %bb.111:                              ;   in Loop: Header=BB224_11 Depth=1
	s_delay_alu instid0(VALU_DEP_3) | instskip(NEXT) | instid1(VALU_DEP_1)
	v_clz_i32_u32_e32 v60, v51
	v_min_u32_e32 v60, 32, v60
	s_delay_alu instid0(VALU_DEP_1) | instskip(SKIP_1) | instid1(VALU_DEP_2)
	v_subrev_nc_u32_e32 v82, 28, v60
	v_sub_nc_u32_e32 v60, 29, v60
	v_lshlrev_b64 v[84:85], v82, v[51:52]
	s_delay_alu instid0(VALU_DEP_1)
	v_and_b32_e32 v51, 7, v84
; %bb.112:                              ;   in Loop: Header=BB224_11 Depth=1
	s_or_b32 exec_lo, exec_lo, s41
	v_lshlrev_b32_e32 v59, 24, v59
	s_delay_alu instid0(VALU_DEP_2) | instskip(SKIP_1) | instid1(VALU_DEP_3)
	v_lshlrev_b32_e32 v51, 20, v51
	v_lshl_add_u32 v60, v60, 23, 0x3c000000
	v_and_b32_e32 v59, 0x80000000, v59
	s_delay_alu instid0(VALU_DEP_1)
	v_or3_b32 v82, v51, v59, v60
.LBB224_113:                            ;   in Loop: Header=BB224_11 Depth=1
	s_or_b32 exec_lo, exec_lo, s40
.LBB224_114:                            ;   in Loop: Header=BB224_11 Depth=1
	s_delay_alu instid0(SALU_CYCLE_1)
	s_or_b32 exec_lo, exec_lo, s21
.LBB224_115:                            ;   in Loop: Header=BB224_11 Depth=1
	s_delay_alu instid0(SALU_CYCLE_1)
	s_or_b32 exec_lo, exec_lo, s3
	global_load_u8 v59, v[57:58], off offset:388
	v_dual_mov_b32 v84, 0 :: v_dual_mov_b32 v85, 0
	s_mov_b32 s3, exec_lo
	s_waitcnt vmcnt(0)
	v_cmpx_ne_u16_e32 0, v59
	s_cbranch_execz .LBB224_123
; %bb.116:                              ;   in Loop: Header=BB224_11 Depth=1
	v_bfrev_b32_e32 v85, 1
	s_mov_b32 s21, exec_lo
	v_cmpx_ne_u16_e32 0x80, v59
	s_cbranch_execz .LBB224_122
; %bb.117:                              ;   in Loop: Header=BB224_11 Depth=1
	v_and_b32_e32 v51, 0xffff, v59
	v_mov_b32_e32 v85, 0x7f800001
	s_mov_b32 s40, exec_lo
	s_delay_alu instid0(VALU_DEP_2) | instskip(NEXT) | instid1(VALU_DEP_1)
	v_and_b32_e32 v86, 0x7f, v51
	v_cmpx_ne_u32_e32 0x7f, v86
	s_cbranch_execz .LBB224_121
; %bb.118:                              ;   in Loop: Header=BB224_11 Depth=1
	v_and_b32_e32 v51, 7, v51
	v_lshrrev_b32_e32 v60, 3, v86
	s_mov_b32 s41, exec_lo
	v_cmpx_gt_u32_e32 8, v86
; %bb.119:                              ;   in Loop: Header=BB224_11 Depth=1
	s_delay_alu instid0(VALU_DEP_3) | instskip(NEXT) | instid1(VALU_DEP_1)
	v_clz_i32_u32_e32 v60, v51
	v_min_u32_e32 v60, 32, v60
	s_delay_alu instid0(VALU_DEP_1) | instskip(SKIP_1) | instid1(VALU_DEP_2)
	v_subrev_nc_u32_e32 v85, 28, v60
	v_sub_nc_u32_e32 v60, 29, v60
	v_lshlrev_b64 v[85:86], v85, v[51:52]
	s_delay_alu instid0(VALU_DEP_1)
	v_and_b32_e32 v51, 7, v85
; %bb.120:                              ;   in Loop: Header=BB224_11 Depth=1
	s_or_b32 exec_lo, exec_lo, s41
	v_lshlrev_b32_e32 v59, 24, v59
	s_delay_alu instid0(VALU_DEP_2) | instskip(SKIP_1) | instid1(VALU_DEP_3)
	v_lshlrev_b32_e32 v51, 20, v51
	v_lshl_add_u32 v60, v60, 23, 0x3c000000
	v_and_b32_e32 v59, 0x80000000, v59
	s_delay_alu instid0(VALU_DEP_1)
	v_or3_b32 v85, v51, v59, v60
.LBB224_121:                            ;   in Loop: Header=BB224_11 Depth=1
	s_or_b32 exec_lo, exec_lo, s40
.LBB224_122:                            ;   in Loop: Header=BB224_11 Depth=1
	s_delay_alu instid0(SALU_CYCLE_1)
	s_or_b32 exec_lo, exec_lo, s21
.LBB224_123:                            ;   in Loop: Header=BB224_11 Depth=1
	s_delay_alu instid0(SALU_CYCLE_1) | instskip(SKIP_1) | instid1(VALU_DEP_1)
	s_or_b32 exec_lo, exec_lo, s3
	v_add_co_u32 v59, s1, 0x180, v57
	v_add_co_ci_u32_e64 v60, s1, 0, v58, s1
	s_mov_b32 s3, exec_lo
	global_load_u8 v86, v[59:60], off offset:8
	s_waitcnt vmcnt(0)
	v_cmpx_ne_u16_e32 0, v86
	s_cbranch_execz .LBB224_131
; %bb.124:                              ;   in Loop: Header=BB224_11 Depth=1
	v_bfrev_b32_e32 v84, 1
	s_mov_b32 s21, exec_lo
	v_cmpx_ne_u16_e32 0x80, v86
	s_cbranch_execz .LBB224_130
; %bb.125:                              ;   in Loop: Header=BB224_11 Depth=1
	v_and_b32_e32 v51, 0xffff, v86
	v_mov_b32_e32 v84, 0x7f800001
	s_mov_b32 s40, exec_lo
	s_delay_alu instid0(VALU_DEP_2) | instskip(NEXT) | instid1(VALU_DEP_1)
	v_and_b32_e32 v87, 0x7f, v51
	v_cmpx_ne_u32_e32 0x7f, v87
	s_cbranch_execz .LBB224_129
; %bb.126:                              ;   in Loop: Header=BB224_11 Depth=1
	v_and_b32_e32 v51, 7, v51
	v_lshrrev_b32_e32 v84, 3, v87
	s_mov_b32 s41, exec_lo
	v_cmpx_gt_u32_e32 8, v87
; %bb.127:                              ;   in Loop: Header=BB224_11 Depth=1
	s_delay_alu instid0(VALU_DEP_3) | instskip(NEXT) | instid1(VALU_DEP_1)
	v_clz_i32_u32_e32 v84, v51
	v_min_u32_e32 v84, 32, v84
	s_delay_alu instid0(VALU_DEP_1) | instskip(SKIP_1) | instid1(VALU_DEP_2)
	v_subrev_nc_u32_e32 v87, 28, v84
	v_sub_nc_u32_e32 v84, 29, v84
	v_lshlrev_b64 v[87:88], v87, v[51:52]
	s_delay_alu instid0(VALU_DEP_1)
	v_and_b32_e32 v51, 7, v87
; %bb.128:                              ;   in Loop: Header=BB224_11 Depth=1
	s_or_b32 exec_lo, exec_lo, s41
	v_lshlrev_b32_e32 v86, 24, v86
	s_delay_alu instid0(VALU_DEP_2) | instskip(SKIP_1) | instid1(VALU_DEP_3)
	v_lshlrev_b32_e32 v51, 20, v51
	v_lshl_add_u32 v84, v84, 23, 0x3c000000
	v_and_b32_e32 v86, 0x80000000, v86
	s_delay_alu instid0(VALU_DEP_1)
	v_or3_b32 v84, v51, v86, v84
.LBB224_129:                            ;   in Loop: Header=BB224_11 Depth=1
	s_or_b32 exec_lo, exec_lo, s40
.LBB224_130:                            ;   in Loop: Header=BB224_11 Depth=1
	s_delay_alu instid0(SALU_CYCLE_1)
	s_or_b32 exec_lo, exec_lo, s21
.LBB224_131:                            ;   in Loop: Header=BB224_11 Depth=1
	s_delay_alu instid0(SALU_CYCLE_1)
	s_or_b32 exec_lo, exec_lo, s3
	global_load_u8 v59, v[59:60], off offset:12
	v_dual_mov_b32 v86, 0 :: v_dual_mov_b32 v87, 0
	s_mov_b32 s3, exec_lo
	s_waitcnt vmcnt(0)
	v_cmpx_ne_u16_e32 0, v59
	s_cbranch_execz .LBB224_139
; %bb.132:                              ;   in Loop: Header=BB224_11 Depth=1
	v_bfrev_b32_e32 v87, 1
	s_mov_b32 s21, exec_lo
	v_cmpx_ne_u16_e32 0x80, v59
	s_cbranch_execz .LBB224_138
; %bb.133:                              ;   in Loop: Header=BB224_11 Depth=1
	v_and_b32_e32 v51, 0xffff, v59
	v_mov_b32_e32 v87, 0x7f800001
	s_mov_b32 s40, exec_lo
	s_delay_alu instid0(VALU_DEP_2) | instskip(NEXT) | instid1(VALU_DEP_1)
	v_and_b32_e32 v88, 0x7f, v51
	v_cmpx_ne_u32_e32 0x7f, v88
	s_cbranch_execz .LBB224_137
; %bb.134:                              ;   in Loop: Header=BB224_11 Depth=1
	v_and_b32_e32 v51, 7, v51
	v_lshrrev_b32_e32 v60, 3, v88
	s_mov_b32 s41, exec_lo
	v_cmpx_gt_u32_e32 8, v88
; %bb.135:                              ;   in Loop: Header=BB224_11 Depth=1
	s_delay_alu instid0(VALU_DEP_3) | instskip(NEXT) | instid1(VALU_DEP_1)
	v_clz_i32_u32_e32 v60, v51
	v_min_u32_e32 v60, 32, v60
	s_delay_alu instid0(VALU_DEP_1) | instskip(SKIP_1) | instid1(VALU_DEP_2)
	v_subrev_nc_u32_e32 v87, 28, v60
	v_sub_nc_u32_e32 v60, 29, v60
	v_lshlrev_b64 v[87:88], v87, v[51:52]
	s_delay_alu instid0(VALU_DEP_1)
	v_and_b32_e32 v51, 7, v87
; %bb.136:                              ;   in Loop: Header=BB224_11 Depth=1
	s_or_b32 exec_lo, exec_lo, s41
	v_lshlrev_b32_e32 v59, 24, v59
	s_delay_alu instid0(VALU_DEP_2) | instskip(SKIP_1) | instid1(VALU_DEP_3)
	v_lshlrev_b32_e32 v51, 20, v51
	v_lshl_add_u32 v60, v60, 23, 0x3c000000
	v_and_b32_e32 v59, 0x80000000, v59
	s_delay_alu instid0(VALU_DEP_1)
	v_or3_b32 v87, v51, v59, v60
.LBB224_137:                            ;   in Loop: Header=BB224_11 Depth=1
	s_or_b32 exec_lo, exec_lo, s40
.LBB224_138:                            ;   in Loop: Header=BB224_11 Depth=1
	s_delay_alu instid0(SALU_CYCLE_1)
	s_or_b32 exec_lo, exec_lo, s21
.LBB224_139:                            ;   in Loop: Header=BB224_11 Depth=1
	s_delay_alu instid0(SALU_CYCLE_1)
	s_or_b32 exec_lo, exec_lo, s3
	global_load_u8 v59, v[57:58], off offset:512
	s_mov_b32 s3, exec_lo
	s_waitcnt vmcnt(0)
	v_cmpx_ne_u16_e32 0, v59
	s_cbranch_execz .LBB224_147
; %bb.140:                              ;   in Loop: Header=BB224_11 Depth=1
	v_bfrev_b32_e32 v86, 1
	s_mov_b32 s21, exec_lo
	v_cmpx_ne_u16_e32 0x80, v59
	s_cbranch_execz .LBB224_146
; %bb.141:                              ;   in Loop: Header=BB224_11 Depth=1
	v_and_b32_e32 v51, 0xffff, v59
	v_mov_b32_e32 v86, 0x7f800001
	s_mov_b32 s40, exec_lo
	s_delay_alu instid0(VALU_DEP_2) | instskip(NEXT) | instid1(VALU_DEP_1)
	v_and_b32_e32 v88, 0x7f, v51
	v_cmpx_ne_u32_e32 0x7f, v88
	s_cbranch_execz .LBB224_145
; %bb.142:                              ;   in Loop: Header=BB224_11 Depth=1
	v_and_b32_e32 v51, 7, v51
	v_lshrrev_b32_e32 v60, 3, v88
	s_mov_b32 s41, exec_lo
	v_cmpx_gt_u32_e32 8, v88
; %bb.143:                              ;   in Loop: Header=BB224_11 Depth=1
	s_delay_alu instid0(VALU_DEP_3) | instskip(NEXT) | instid1(VALU_DEP_1)
	v_clz_i32_u32_e32 v60, v51
	v_min_u32_e32 v60, 32, v60
	s_delay_alu instid0(VALU_DEP_1) | instskip(SKIP_1) | instid1(VALU_DEP_2)
	v_subrev_nc_u32_e32 v86, 28, v60
	v_sub_nc_u32_e32 v60, 29, v60
	v_lshlrev_b64 v[88:89], v86, v[51:52]
	s_delay_alu instid0(VALU_DEP_1)
	v_and_b32_e32 v51, 7, v88
; %bb.144:                              ;   in Loop: Header=BB224_11 Depth=1
	s_or_b32 exec_lo, exec_lo, s41
	v_lshlrev_b32_e32 v59, 24, v59
	s_delay_alu instid0(VALU_DEP_2) | instskip(SKIP_1) | instid1(VALU_DEP_3)
	v_lshlrev_b32_e32 v51, 20, v51
	v_lshl_add_u32 v60, v60, 23, 0x3c000000
	v_and_b32_e32 v59, 0x80000000, v59
	s_delay_alu instid0(VALU_DEP_1)
	v_or3_b32 v86, v51, v59, v60
.LBB224_145:                            ;   in Loop: Header=BB224_11 Depth=1
	s_or_b32 exec_lo, exec_lo, s40
.LBB224_146:                            ;   in Loop: Header=BB224_11 Depth=1
	s_delay_alu instid0(SALU_CYCLE_1)
	s_or_b32 exec_lo, exec_lo, s21
.LBB224_147:                            ;   in Loop: Header=BB224_11 Depth=1
	s_delay_alu instid0(SALU_CYCLE_1)
	s_or_b32 exec_lo, exec_lo, s3
	global_load_u8 v59, v[57:58], off offset:516
	v_dual_mov_b32 v88, 0 :: v_dual_mov_b32 v89, 0
	s_mov_b32 s3, exec_lo
	s_waitcnt vmcnt(0)
	v_cmpx_ne_u16_e32 0, v59
	s_cbranch_execz .LBB224_155
; %bb.148:                              ;   in Loop: Header=BB224_11 Depth=1
	v_bfrev_b32_e32 v89, 1
	s_mov_b32 s21, exec_lo
	v_cmpx_ne_u16_e32 0x80, v59
	s_cbranch_execz .LBB224_154
; %bb.149:                              ;   in Loop: Header=BB224_11 Depth=1
	v_and_b32_e32 v51, 0xffff, v59
	v_mov_b32_e32 v89, 0x7f800001
	s_mov_b32 s40, exec_lo
	s_delay_alu instid0(VALU_DEP_2) | instskip(NEXT) | instid1(VALU_DEP_1)
	v_and_b32_e32 v90, 0x7f, v51
	v_cmpx_ne_u32_e32 0x7f, v90
	s_cbranch_execz .LBB224_153
; %bb.150:                              ;   in Loop: Header=BB224_11 Depth=1
	v_and_b32_e32 v51, 7, v51
	v_lshrrev_b32_e32 v60, 3, v90
	s_mov_b32 s41, exec_lo
	v_cmpx_gt_u32_e32 8, v90
; %bb.151:                              ;   in Loop: Header=BB224_11 Depth=1
	s_delay_alu instid0(VALU_DEP_3) | instskip(NEXT) | instid1(VALU_DEP_1)
	v_clz_i32_u32_e32 v60, v51
	v_min_u32_e32 v60, 32, v60
	s_delay_alu instid0(VALU_DEP_1) | instskip(SKIP_1) | instid1(VALU_DEP_2)
	v_subrev_nc_u32_e32 v89, 28, v60
	v_sub_nc_u32_e32 v60, 29, v60
	v_lshlrev_b64 v[89:90], v89, v[51:52]
	s_delay_alu instid0(VALU_DEP_1)
	v_and_b32_e32 v51, 7, v89
; %bb.152:                              ;   in Loop: Header=BB224_11 Depth=1
	s_or_b32 exec_lo, exec_lo, s41
	v_lshlrev_b32_e32 v59, 24, v59
	s_delay_alu instid0(VALU_DEP_2) | instskip(SKIP_1) | instid1(VALU_DEP_3)
	v_lshlrev_b32_e32 v51, 20, v51
	v_lshl_add_u32 v60, v60, 23, 0x3c000000
	v_and_b32_e32 v59, 0x80000000, v59
	s_delay_alu instid0(VALU_DEP_1)
	v_or3_b32 v89, v51, v59, v60
.LBB224_153:                            ;   in Loop: Header=BB224_11 Depth=1
	s_or_b32 exec_lo, exec_lo, s40
.LBB224_154:                            ;   in Loop: Header=BB224_11 Depth=1
	s_delay_alu instid0(SALU_CYCLE_1)
	s_or_b32 exec_lo, exec_lo, s21
.LBB224_155:                            ;   in Loop: Header=BB224_11 Depth=1
	s_delay_alu instid0(SALU_CYCLE_1) | instskip(SKIP_1) | instid1(VALU_DEP_1)
	s_or_b32 exec_lo, exec_lo, s3
	v_add_co_u32 v59, s1, 0x200, v57
	v_add_co_ci_u32_e64 v60, s1, 0, v58, s1
	s_mov_b32 s3, exec_lo
	global_load_u8 v90, v[59:60], off offset:8
	s_waitcnt vmcnt(0)
	v_cmpx_ne_u16_e32 0, v90
	s_cbranch_execz .LBB224_163
; %bb.156:                              ;   in Loop: Header=BB224_11 Depth=1
	v_bfrev_b32_e32 v88, 1
	s_mov_b32 s21, exec_lo
	v_cmpx_ne_u16_e32 0x80, v90
	s_cbranch_execz .LBB224_162
; %bb.157:                              ;   in Loop: Header=BB224_11 Depth=1
	v_and_b32_e32 v51, 0xffff, v90
	v_mov_b32_e32 v88, 0x7f800001
	s_mov_b32 s40, exec_lo
	s_delay_alu instid0(VALU_DEP_2) | instskip(NEXT) | instid1(VALU_DEP_1)
	v_and_b32_e32 v91, 0x7f, v51
	v_cmpx_ne_u32_e32 0x7f, v91
	s_cbranch_execz .LBB224_161
; %bb.158:                              ;   in Loop: Header=BB224_11 Depth=1
	v_and_b32_e32 v51, 7, v51
	v_lshrrev_b32_e32 v88, 3, v91
	s_mov_b32 s41, exec_lo
	v_cmpx_gt_u32_e32 8, v91
; %bb.159:                              ;   in Loop: Header=BB224_11 Depth=1
	s_delay_alu instid0(VALU_DEP_3) | instskip(NEXT) | instid1(VALU_DEP_1)
	v_clz_i32_u32_e32 v88, v51
	v_min_u32_e32 v88, 32, v88
	s_delay_alu instid0(VALU_DEP_1) | instskip(SKIP_1) | instid1(VALU_DEP_2)
	v_subrev_nc_u32_e32 v91, 28, v88
	v_sub_nc_u32_e32 v88, 29, v88
	v_lshlrev_b64 v[91:92], v91, v[51:52]
	s_delay_alu instid0(VALU_DEP_1)
	v_and_b32_e32 v51, 7, v91
; %bb.160:                              ;   in Loop: Header=BB224_11 Depth=1
	s_or_b32 exec_lo, exec_lo, s41
	v_lshlrev_b32_e32 v90, 24, v90
	s_delay_alu instid0(VALU_DEP_2) | instskip(SKIP_1) | instid1(VALU_DEP_3)
	v_lshlrev_b32_e32 v51, 20, v51
	v_lshl_add_u32 v88, v88, 23, 0x3c000000
	v_and_b32_e32 v90, 0x80000000, v90
	s_delay_alu instid0(VALU_DEP_1)
	v_or3_b32 v88, v51, v90, v88
.LBB224_161:                            ;   in Loop: Header=BB224_11 Depth=1
	s_or_b32 exec_lo, exec_lo, s40
.LBB224_162:                            ;   in Loop: Header=BB224_11 Depth=1
	s_delay_alu instid0(SALU_CYCLE_1)
	s_or_b32 exec_lo, exec_lo, s21
.LBB224_163:                            ;   in Loop: Header=BB224_11 Depth=1
	s_delay_alu instid0(SALU_CYCLE_1)
	s_or_b32 exec_lo, exec_lo, s3
	global_load_u8 v59, v[59:60], off offset:12
	v_dual_mov_b32 v90, 0 :: v_dual_mov_b32 v91, 0
	s_mov_b32 s3, exec_lo
	s_waitcnt vmcnt(0)
	v_cmpx_ne_u16_e32 0, v59
	s_cbranch_execz .LBB224_171
; %bb.164:                              ;   in Loop: Header=BB224_11 Depth=1
	v_bfrev_b32_e32 v91, 1
	s_mov_b32 s21, exec_lo
	v_cmpx_ne_u16_e32 0x80, v59
	s_cbranch_execz .LBB224_170
; %bb.165:                              ;   in Loop: Header=BB224_11 Depth=1
	v_and_b32_e32 v51, 0xffff, v59
	v_mov_b32_e32 v91, 0x7f800001
	s_mov_b32 s40, exec_lo
	s_delay_alu instid0(VALU_DEP_2) | instskip(NEXT) | instid1(VALU_DEP_1)
	v_and_b32_e32 v92, 0x7f, v51
	v_cmpx_ne_u32_e32 0x7f, v92
	s_cbranch_execz .LBB224_169
; %bb.166:                              ;   in Loop: Header=BB224_11 Depth=1
	v_and_b32_e32 v51, 7, v51
	v_lshrrev_b32_e32 v60, 3, v92
	s_mov_b32 s41, exec_lo
	v_cmpx_gt_u32_e32 8, v92
; %bb.167:                              ;   in Loop: Header=BB224_11 Depth=1
	s_delay_alu instid0(VALU_DEP_3) | instskip(NEXT) | instid1(VALU_DEP_1)
	v_clz_i32_u32_e32 v60, v51
	v_min_u32_e32 v60, 32, v60
	s_delay_alu instid0(VALU_DEP_1) | instskip(SKIP_1) | instid1(VALU_DEP_2)
	v_subrev_nc_u32_e32 v91, 28, v60
	v_sub_nc_u32_e32 v60, 29, v60
	v_lshlrev_b64 v[91:92], v91, v[51:52]
	s_delay_alu instid0(VALU_DEP_1)
	v_and_b32_e32 v51, 7, v91
; %bb.168:                              ;   in Loop: Header=BB224_11 Depth=1
	s_or_b32 exec_lo, exec_lo, s41
	v_lshlrev_b32_e32 v59, 24, v59
	s_delay_alu instid0(VALU_DEP_2) | instskip(SKIP_1) | instid1(VALU_DEP_3)
	v_lshlrev_b32_e32 v51, 20, v51
	v_lshl_add_u32 v60, v60, 23, 0x3c000000
	v_and_b32_e32 v59, 0x80000000, v59
	s_delay_alu instid0(VALU_DEP_1)
	v_or3_b32 v91, v51, v59, v60
.LBB224_169:                            ;   in Loop: Header=BB224_11 Depth=1
	s_or_b32 exec_lo, exec_lo, s40
.LBB224_170:                            ;   in Loop: Header=BB224_11 Depth=1
	s_delay_alu instid0(SALU_CYCLE_1)
	s_or_b32 exec_lo, exec_lo, s21
.LBB224_171:                            ;   in Loop: Header=BB224_11 Depth=1
	s_delay_alu instid0(SALU_CYCLE_1)
	s_or_b32 exec_lo, exec_lo, s3
	global_load_u8 v59, v[57:58], off offset:640
	s_mov_b32 s3, exec_lo
	s_waitcnt vmcnt(0)
	v_cmpx_ne_u16_e32 0, v59
	s_cbranch_execz .LBB224_179
; %bb.172:                              ;   in Loop: Header=BB224_11 Depth=1
	v_bfrev_b32_e32 v90, 1
	s_mov_b32 s21, exec_lo
	v_cmpx_ne_u16_e32 0x80, v59
	s_cbranch_execz .LBB224_178
; %bb.173:                              ;   in Loop: Header=BB224_11 Depth=1
	v_and_b32_e32 v51, 0xffff, v59
	v_mov_b32_e32 v90, 0x7f800001
	s_mov_b32 s40, exec_lo
	s_delay_alu instid0(VALU_DEP_2) | instskip(NEXT) | instid1(VALU_DEP_1)
	v_and_b32_e32 v92, 0x7f, v51
	v_cmpx_ne_u32_e32 0x7f, v92
	s_cbranch_execz .LBB224_177
; %bb.174:                              ;   in Loop: Header=BB224_11 Depth=1
	v_and_b32_e32 v51, 7, v51
	v_lshrrev_b32_e32 v60, 3, v92
	s_mov_b32 s41, exec_lo
	v_cmpx_gt_u32_e32 8, v92
; %bb.175:                              ;   in Loop: Header=BB224_11 Depth=1
	s_delay_alu instid0(VALU_DEP_3) | instskip(NEXT) | instid1(VALU_DEP_1)
	v_clz_i32_u32_e32 v60, v51
	v_min_u32_e32 v60, 32, v60
	s_delay_alu instid0(VALU_DEP_1) | instskip(SKIP_1) | instid1(VALU_DEP_2)
	v_subrev_nc_u32_e32 v90, 28, v60
	v_sub_nc_u32_e32 v60, 29, v60
	v_lshlrev_b64 v[92:93], v90, v[51:52]
	s_delay_alu instid0(VALU_DEP_1)
	v_and_b32_e32 v51, 7, v92
; %bb.176:                              ;   in Loop: Header=BB224_11 Depth=1
	s_or_b32 exec_lo, exec_lo, s41
	v_lshlrev_b32_e32 v59, 24, v59
	s_delay_alu instid0(VALU_DEP_2) | instskip(SKIP_1) | instid1(VALU_DEP_3)
	v_lshlrev_b32_e32 v51, 20, v51
	v_lshl_add_u32 v60, v60, 23, 0x3c000000
	v_and_b32_e32 v59, 0x80000000, v59
	s_delay_alu instid0(VALU_DEP_1)
	v_or3_b32 v90, v51, v59, v60
.LBB224_177:                            ;   in Loop: Header=BB224_11 Depth=1
	s_or_b32 exec_lo, exec_lo, s40
.LBB224_178:                            ;   in Loop: Header=BB224_11 Depth=1
	s_delay_alu instid0(SALU_CYCLE_1)
	s_or_b32 exec_lo, exec_lo, s21
.LBB224_179:                            ;   in Loop: Header=BB224_11 Depth=1
	s_delay_alu instid0(SALU_CYCLE_1)
	s_or_b32 exec_lo, exec_lo, s3
	global_load_u8 v59, v[57:58], off offset:644
	v_dual_mov_b32 v92, 0 :: v_dual_mov_b32 v93, 0
	s_mov_b32 s3, exec_lo
	s_waitcnt vmcnt(0)
	v_cmpx_ne_u16_e32 0, v59
	s_cbranch_execz .LBB224_187
; %bb.180:                              ;   in Loop: Header=BB224_11 Depth=1
	v_bfrev_b32_e32 v93, 1
	s_mov_b32 s21, exec_lo
	v_cmpx_ne_u16_e32 0x80, v59
	s_cbranch_execz .LBB224_186
; %bb.181:                              ;   in Loop: Header=BB224_11 Depth=1
	v_and_b32_e32 v51, 0xffff, v59
	v_mov_b32_e32 v93, 0x7f800001
	s_mov_b32 s40, exec_lo
	s_delay_alu instid0(VALU_DEP_2) | instskip(NEXT) | instid1(VALU_DEP_1)
	v_and_b32_e32 v94, 0x7f, v51
	v_cmpx_ne_u32_e32 0x7f, v94
	s_cbranch_execz .LBB224_185
; %bb.182:                              ;   in Loop: Header=BB224_11 Depth=1
	v_and_b32_e32 v51, 7, v51
	v_lshrrev_b32_e32 v60, 3, v94
	s_mov_b32 s41, exec_lo
	v_cmpx_gt_u32_e32 8, v94
; %bb.183:                              ;   in Loop: Header=BB224_11 Depth=1
	s_delay_alu instid0(VALU_DEP_3) | instskip(NEXT) | instid1(VALU_DEP_1)
	v_clz_i32_u32_e32 v60, v51
	v_min_u32_e32 v60, 32, v60
	s_delay_alu instid0(VALU_DEP_1) | instskip(SKIP_1) | instid1(VALU_DEP_2)
	v_subrev_nc_u32_e32 v93, 28, v60
	v_sub_nc_u32_e32 v60, 29, v60
	v_lshlrev_b64 v[93:94], v93, v[51:52]
	s_delay_alu instid0(VALU_DEP_1)
	v_and_b32_e32 v51, 7, v93
; %bb.184:                              ;   in Loop: Header=BB224_11 Depth=1
	s_or_b32 exec_lo, exec_lo, s41
	v_lshlrev_b32_e32 v59, 24, v59
	s_delay_alu instid0(VALU_DEP_2) | instskip(SKIP_1) | instid1(VALU_DEP_3)
	v_lshlrev_b32_e32 v51, 20, v51
	v_lshl_add_u32 v60, v60, 23, 0x3c000000
	v_and_b32_e32 v59, 0x80000000, v59
	s_delay_alu instid0(VALU_DEP_1)
	v_or3_b32 v93, v51, v59, v60
.LBB224_185:                            ;   in Loop: Header=BB224_11 Depth=1
	s_or_b32 exec_lo, exec_lo, s40
.LBB224_186:                            ;   in Loop: Header=BB224_11 Depth=1
	s_delay_alu instid0(SALU_CYCLE_1)
	s_or_b32 exec_lo, exec_lo, s21
.LBB224_187:                            ;   in Loop: Header=BB224_11 Depth=1
	s_delay_alu instid0(SALU_CYCLE_1) | instskip(SKIP_1) | instid1(VALU_DEP_1)
	s_or_b32 exec_lo, exec_lo, s3
	v_add_co_u32 v59, s1, 0x280, v57
	v_add_co_ci_u32_e64 v60, s1, 0, v58, s1
	s_mov_b32 s3, exec_lo
	global_load_u8 v94, v[59:60], off offset:8
	s_waitcnt vmcnt(0)
	v_cmpx_ne_u16_e32 0, v94
	s_cbranch_execz .LBB224_195
; %bb.188:                              ;   in Loop: Header=BB224_11 Depth=1
	v_bfrev_b32_e32 v92, 1
	s_mov_b32 s21, exec_lo
	v_cmpx_ne_u16_e32 0x80, v94
	s_cbranch_execz .LBB224_194
; %bb.189:                              ;   in Loop: Header=BB224_11 Depth=1
	v_and_b32_e32 v51, 0xffff, v94
	v_mov_b32_e32 v92, 0x7f800001
	s_mov_b32 s40, exec_lo
	s_delay_alu instid0(VALU_DEP_2) | instskip(NEXT) | instid1(VALU_DEP_1)
	v_and_b32_e32 v95, 0x7f, v51
	v_cmpx_ne_u32_e32 0x7f, v95
	s_cbranch_execz .LBB224_193
; %bb.190:                              ;   in Loop: Header=BB224_11 Depth=1
	v_and_b32_e32 v51, 7, v51
	v_lshrrev_b32_e32 v92, 3, v95
	s_mov_b32 s41, exec_lo
	v_cmpx_gt_u32_e32 8, v95
; %bb.191:                              ;   in Loop: Header=BB224_11 Depth=1
	s_delay_alu instid0(VALU_DEP_3) | instskip(NEXT) | instid1(VALU_DEP_1)
	v_clz_i32_u32_e32 v92, v51
	v_min_u32_e32 v92, 32, v92
	s_delay_alu instid0(VALU_DEP_1) | instskip(SKIP_1) | instid1(VALU_DEP_2)
	v_subrev_nc_u32_e32 v95, 28, v92
	v_sub_nc_u32_e32 v92, 29, v92
	v_lshlrev_b64 v[95:96], v95, v[51:52]
	s_delay_alu instid0(VALU_DEP_1)
	v_and_b32_e32 v51, 7, v95
; %bb.192:                              ;   in Loop: Header=BB224_11 Depth=1
	s_or_b32 exec_lo, exec_lo, s41
	v_lshlrev_b32_e32 v94, 24, v94
	s_delay_alu instid0(VALU_DEP_2) | instskip(SKIP_1) | instid1(VALU_DEP_3)
	v_lshlrev_b32_e32 v51, 20, v51
	v_lshl_add_u32 v92, v92, 23, 0x3c000000
	v_and_b32_e32 v94, 0x80000000, v94
	s_delay_alu instid0(VALU_DEP_1)
	v_or3_b32 v92, v51, v94, v92
.LBB224_193:                            ;   in Loop: Header=BB224_11 Depth=1
	s_or_b32 exec_lo, exec_lo, s40
.LBB224_194:                            ;   in Loop: Header=BB224_11 Depth=1
	s_delay_alu instid0(SALU_CYCLE_1)
	s_or_b32 exec_lo, exec_lo, s21
.LBB224_195:                            ;   in Loop: Header=BB224_11 Depth=1
	s_delay_alu instid0(SALU_CYCLE_1)
	s_or_b32 exec_lo, exec_lo, s3
	global_load_u8 v59, v[59:60], off offset:12
	v_dual_mov_b32 v94, 0 :: v_dual_mov_b32 v95, 0
	s_mov_b32 s3, exec_lo
	s_waitcnt vmcnt(0)
	v_cmpx_ne_u16_e32 0, v59
	s_cbranch_execz .LBB224_203
; %bb.196:                              ;   in Loop: Header=BB224_11 Depth=1
	v_bfrev_b32_e32 v95, 1
	s_mov_b32 s21, exec_lo
	v_cmpx_ne_u16_e32 0x80, v59
	s_cbranch_execz .LBB224_202
; %bb.197:                              ;   in Loop: Header=BB224_11 Depth=1
	v_and_b32_e32 v51, 0xffff, v59
	v_mov_b32_e32 v95, 0x7f800001
	s_mov_b32 s40, exec_lo
	s_delay_alu instid0(VALU_DEP_2) | instskip(NEXT) | instid1(VALU_DEP_1)
	v_and_b32_e32 v96, 0x7f, v51
	v_cmpx_ne_u32_e32 0x7f, v96
	s_cbranch_execz .LBB224_201
; %bb.198:                              ;   in Loop: Header=BB224_11 Depth=1
	v_and_b32_e32 v51, 7, v51
	v_lshrrev_b32_e32 v60, 3, v96
	s_mov_b32 s41, exec_lo
	v_cmpx_gt_u32_e32 8, v96
; %bb.199:                              ;   in Loop: Header=BB224_11 Depth=1
	s_delay_alu instid0(VALU_DEP_3) | instskip(NEXT) | instid1(VALU_DEP_1)
	v_clz_i32_u32_e32 v60, v51
	v_min_u32_e32 v60, 32, v60
	s_delay_alu instid0(VALU_DEP_1) | instskip(SKIP_1) | instid1(VALU_DEP_2)
	v_subrev_nc_u32_e32 v95, 28, v60
	v_sub_nc_u32_e32 v60, 29, v60
	v_lshlrev_b64 v[95:96], v95, v[51:52]
	s_delay_alu instid0(VALU_DEP_1)
	v_and_b32_e32 v51, 7, v95
; %bb.200:                              ;   in Loop: Header=BB224_11 Depth=1
	s_or_b32 exec_lo, exec_lo, s41
	v_lshlrev_b32_e32 v59, 24, v59
	s_delay_alu instid0(VALU_DEP_2) | instskip(SKIP_1) | instid1(VALU_DEP_3)
	v_lshlrev_b32_e32 v51, 20, v51
	v_lshl_add_u32 v60, v60, 23, 0x3c000000
	v_and_b32_e32 v59, 0x80000000, v59
	s_delay_alu instid0(VALU_DEP_1)
	v_or3_b32 v95, v51, v59, v60
.LBB224_201:                            ;   in Loop: Header=BB224_11 Depth=1
	s_or_b32 exec_lo, exec_lo, s40
.LBB224_202:                            ;   in Loop: Header=BB224_11 Depth=1
	s_delay_alu instid0(SALU_CYCLE_1)
	s_or_b32 exec_lo, exec_lo, s21
.LBB224_203:                            ;   in Loop: Header=BB224_11 Depth=1
	s_delay_alu instid0(SALU_CYCLE_1)
	s_or_b32 exec_lo, exec_lo, s3
	global_load_u8 v59, v[57:58], off offset:768
	s_mov_b32 s3, exec_lo
	s_waitcnt vmcnt(0)
	v_cmpx_ne_u16_e32 0, v59
	s_cbranch_execz .LBB224_211
; %bb.204:                              ;   in Loop: Header=BB224_11 Depth=1
	v_bfrev_b32_e32 v94, 1
	s_mov_b32 s21, exec_lo
	v_cmpx_ne_u16_e32 0x80, v59
	s_cbranch_execz .LBB224_210
; %bb.205:                              ;   in Loop: Header=BB224_11 Depth=1
	v_and_b32_e32 v51, 0xffff, v59
	v_mov_b32_e32 v94, 0x7f800001
	s_mov_b32 s40, exec_lo
	s_delay_alu instid0(VALU_DEP_2) | instskip(NEXT) | instid1(VALU_DEP_1)
	v_and_b32_e32 v96, 0x7f, v51
	v_cmpx_ne_u32_e32 0x7f, v96
	s_cbranch_execz .LBB224_209
; %bb.206:                              ;   in Loop: Header=BB224_11 Depth=1
	v_and_b32_e32 v51, 7, v51
	v_lshrrev_b32_e32 v60, 3, v96
	s_mov_b32 s41, exec_lo
	v_cmpx_gt_u32_e32 8, v96
; %bb.207:                              ;   in Loop: Header=BB224_11 Depth=1
	s_delay_alu instid0(VALU_DEP_3) | instskip(NEXT) | instid1(VALU_DEP_1)
	v_clz_i32_u32_e32 v60, v51
	v_min_u32_e32 v60, 32, v60
	s_delay_alu instid0(VALU_DEP_1) | instskip(SKIP_1) | instid1(VALU_DEP_2)
	v_subrev_nc_u32_e32 v94, 28, v60
	v_sub_nc_u32_e32 v60, 29, v60
	v_lshlrev_b64 v[96:97], v94, v[51:52]
	s_delay_alu instid0(VALU_DEP_1)
	v_and_b32_e32 v51, 7, v96
; %bb.208:                              ;   in Loop: Header=BB224_11 Depth=1
	s_or_b32 exec_lo, exec_lo, s41
	v_lshlrev_b32_e32 v59, 24, v59
	s_delay_alu instid0(VALU_DEP_2) | instskip(SKIP_1) | instid1(VALU_DEP_3)
	v_lshlrev_b32_e32 v51, 20, v51
	v_lshl_add_u32 v60, v60, 23, 0x3c000000
	v_and_b32_e32 v59, 0x80000000, v59
	s_delay_alu instid0(VALU_DEP_1)
	v_or3_b32 v94, v51, v59, v60
.LBB224_209:                            ;   in Loop: Header=BB224_11 Depth=1
	s_or_b32 exec_lo, exec_lo, s40
.LBB224_210:                            ;   in Loop: Header=BB224_11 Depth=1
	s_delay_alu instid0(SALU_CYCLE_1)
	s_or_b32 exec_lo, exec_lo, s21
.LBB224_211:                            ;   in Loop: Header=BB224_11 Depth=1
	s_delay_alu instid0(SALU_CYCLE_1)
	s_or_b32 exec_lo, exec_lo, s3
	global_load_u8 v59, v[57:58], off offset:772
	v_dual_mov_b32 v96, 0 :: v_dual_mov_b32 v97, 0
	s_mov_b32 s3, exec_lo
	s_waitcnt vmcnt(0)
	v_cmpx_ne_u16_e32 0, v59
	s_cbranch_execz .LBB224_219
; %bb.212:                              ;   in Loop: Header=BB224_11 Depth=1
	v_bfrev_b32_e32 v97, 1
	s_mov_b32 s21, exec_lo
	v_cmpx_ne_u16_e32 0x80, v59
	s_cbranch_execz .LBB224_218
; %bb.213:                              ;   in Loop: Header=BB224_11 Depth=1
	v_and_b32_e32 v51, 0xffff, v59
	v_mov_b32_e32 v97, 0x7f800001
	s_mov_b32 s40, exec_lo
	s_delay_alu instid0(VALU_DEP_2) | instskip(NEXT) | instid1(VALU_DEP_1)
	v_and_b32_e32 v98, 0x7f, v51
	v_cmpx_ne_u32_e32 0x7f, v98
	s_cbranch_execz .LBB224_217
; %bb.214:                              ;   in Loop: Header=BB224_11 Depth=1
	v_and_b32_e32 v51, 7, v51
	v_lshrrev_b32_e32 v60, 3, v98
	s_mov_b32 s41, exec_lo
	v_cmpx_gt_u32_e32 8, v98
; %bb.215:                              ;   in Loop: Header=BB224_11 Depth=1
	s_delay_alu instid0(VALU_DEP_3) | instskip(NEXT) | instid1(VALU_DEP_1)
	v_clz_i32_u32_e32 v60, v51
	v_min_u32_e32 v60, 32, v60
	s_delay_alu instid0(VALU_DEP_1) | instskip(SKIP_1) | instid1(VALU_DEP_2)
	v_subrev_nc_u32_e32 v97, 28, v60
	v_sub_nc_u32_e32 v60, 29, v60
	v_lshlrev_b64 v[97:98], v97, v[51:52]
	s_delay_alu instid0(VALU_DEP_1)
	v_and_b32_e32 v51, 7, v97
; %bb.216:                              ;   in Loop: Header=BB224_11 Depth=1
	s_or_b32 exec_lo, exec_lo, s41
	v_lshlrev_b32_e32 v59, 24, v59
	s_delay_alu instid0(VALU_DEP_2) | instskip(SKIP_1) | instid1(VALU_DEP_3)
	v_lshlrev_b32_e32 v51, 20, v51
	v_lshl_add_u32 v60, v60, 23, 0x3c000000
	v_and_b32_e32 v59, 0x80000000, v59
	s_delay_alu instid0(VALU_DEP_1)
	v_or3_b32 v97, v51, v59, v60
.LBB224_217:                            ;   in Loop: Header=BB224_11 Depth=1
	s_or_b32 exec_lo, exec_lo, s40
.LBB224_218:                            ;   in Loop: Header=BB224_11 Depth=1
	s_delay_alu instid0(SALU_CYCLE_1)
	s_or_b32 exec_lo, exec_lo, s21
.LBB224_219:                            ;   in Loop: Header=BB224_11 Depth=1
	s_delay_alu instid0(SALU_CYCLE_1) | instskip(SKIP_1) | instid1(VALU_DEP_1)
	s_or_b32 exec_lo, exec_lo, s3
	v_add_co_u32 v59, s1, 0x300, v57
	v_add_co_ci_u32_e64 v60, s1, 0, v58, s1
	s_mov_b32 s3, exec_lo
	global_load_u8 v98, v[59:60], off offset:8
	s_waitcnt vmcnt(0)
	v_cmpx_ne_u16_e32 0, v98
	s_cbranch_execz .LBB224_227
; %bb.220:                              ;   in Loop: Header=BB224_11 Depth=1
	v_bfrev_b32_e32 v96, 1
	s_mov_b32 s21, exec_lo
	v_cmpx_ne_u16_e32 0x80, v98
	s_cbranch_execz .LBB224_226
; %bb.221:                              ;   in Loop: Header=BB224_11 Depth=1
	v_and_b32_e32 v51, 0xffff, v98
	v_mov_b32_e32 v96, 0x7f800001
	s_mov_b32 s40, exec_lo
	s_delay_alu instid0(VALU_DEP_2) | instskip(NEXT) | instid1(VALU_DEP_1)
	v_and_b32_e32 v99, 0x7f, v51
	v_cmpx_ne_u32_e32 0x7f, v99
	s_cbranch_execz .LBB224_225
; %bb.222:                              ;   in Loop: Header=BB224_11 Depth=1
	v_and_b32_e32 v51, 7, v51
	v_lshrrev_b32_e32 v96, 3, v99
	s_mov_b32 s41, exec_lo
	v_cmpx_gt_u32_e32 8, v99
; %bb.223:                              ;   in Loop: Header=BB224_11 Depth=1
	s_delay_alu instid0(VALU_DEP_3) | instskip(NEXT) | instid1(VALU_DEP_1)
	v_clz_i32_u32_e32 v96, v51
	v_min_u32_e32 v96, 32, v96
	s_delay_alu instid0(VALU_DEP_1) | instskip(SKIP_1) | instid1(VALU_DEP_2)
	v_subrev_nc_u32_e32 v99, 28, v96
	v_sub_nc_u32_e32 v96, 29, v96
	v_lshlrev_b64 v[99:100], v99, v[51:52]
	s_delay_alu instid0(VALU_DEP_1)
	v_and_b32_e32 v51, 7, v99
; %bb.224:                              ;   in Loop: Header=BB224_11 Depth=1
	s_or_b32 exec_lo, exec_lo, s41
	v_lshlrev_b32_e32 v98, 24, v98
	s_delay_alu instid0(VALU_DEP_2) | instskip(SKIP_1) | instid1(VALU_DEP_3)
	v_lshlrev_b32_e32 v51, 20, v51
	v_lshl_add_u32 v96, v96, 23, 0x3c000000
	v_and_b32_e32 v98, 0x80000000, v98
	s_delay_alu instid0(VALU_DEP_1)
	v_or3_b32 v96, v51, v98, v96
.LBB224_225:                            ;   in Loop: Header=BB224_11 Depth=1
	s_or_b32 exec_lo, exec_lo, s40
.LBB224_226:                            ;   in Loop: Header=BB224_11 Depth=1
	s_delay_alu instid0(SALU_CYCLE_1)
	s_or_b32 exec_lo, exec_lo, s21
.LBB224_227:                            ;   in Loop: Header=BB224_11 Depth=1
	s_delay_alu instid0(SALU_CYCLE_1)
	s_or_b32 exec_lo, exec_lo, s3
	global_load_u8 v59, v[59:60], off offset:12
	v_dual_mov_b32 v98, 0 :: v_dual_mov_b32 v99, 0
	s_mov_b32 s3, exec_lo
	s_waitcnt vmcnt(0)
	v_cmpx_ne_u16_e32 0, v59
	s_cbranch_execz .LBB224_235
; %bb.228:                              ;   in Loop: Header=BB224_11 Depth=1
	v_bfrev_b32_e32 v99, 1
	s_mov_b32 s21, exec_lo
	v_cmpx_ne_u16_e32 0x80, v59
	s_cbranch_execz .LBB224_234
; %bb.229:                              ;   in Loop: Header=BB224_11 Depth=1
	v_and_b32_e32 v51, 0xffff, v59
	v_mov_b32_e32 v99, 0x7f800001
	s_mov_b32 s40, exec_lo
	s_delay_alu instid0(VALU_DEP_2) | instskip(NEXT) | instid1(VALU_DEP_1)
	v_and_b32_e32 v100, 0x7f, v51
	v_cmpx_ne_u32_e32 0x7f, v100
	s_cbranch_execz .LBB224_233
; %bb.230:                              ;   in Loop: Header=BB224_11 Depth=1
	v_and_b32_e32 v51, 7, v51
	v_lshrrev_b32_e32 v60, 3, v100
	s_mov_b32 s41, exec_lo
	v_cmpx_gt_u32_e32 8, v100
; %bb.231:                              ;   in Loop: Header=BB224_11 Depth=1
	s_delay_alu instid0(VALU_DEP_3) | instskip(NEXT) | instid1(VALU_DEP_1)
	v_clz_i32_u32_e32 v60, v51
	v_min_u32_e32 v60, 32, v60
	s_delay_alu instid0(VALU_DEP_1) | instskip(SKIP_1) | instid1(VALU_DEP_2)
	v_subrev_nc_u32_e32 v99, 28, v60
	v_sub_nc_u32_e32 v60, 29, v60
	v_lshlrev_b64 v[99:100], v99, v[51:52]
	s_delay_alu instid0(VALU_DEP_1)
	v_and_b32_e32 v51, 7, v99
; %bb.232:                              ;   in Loop: Header=BB224_11 Depth=1
	s_or_b32 exec_lo, exec_lo, s41
	v_lshlrev_b32_e32 v59, 24, v59
	s_delay_alu instid0(VALU_DEP_2) | instskip(SKIP_1) | instid1(VALU_DEP_3)
	v_lshlrev_b32_e32 v51, 20, v51
	v_lshl_add_u32 v60, v60, 23, 0x3c000000
	v_and_b32_e32 v59, 0x80000000, v59
	s_delay_alu instid0(VALU_DEP_1)
	v_or3_b32 v99, v51, v59, v60
.LBB224_233:                            ;   in Loop: Header=BB224_11 Depth=1
	s_or_b32 exec_lo, exec_lo, s40
.LBB224_234:                            ;   in Loop: Header=BB224_11 Depth=1
	s_delay_alu instid0(SALU_CYCLE_1)
	s_or_b32 exec_lo, exec_lo, s21
.LBB224_235:                            ;   in Loop: Header=BB224_11 Depth=1
	s_delay_alu instid0(SALU_CYCLE_1)
	s_or_b32 exec_lo, exec_lo, s3
	global_load_u8 v59, v[57:58], off offset:896
	s_mov_b32 s3, exec_lo
	s_waitcnt vmcnt(0)
	v_cmpx_ne_u16_e32 0, v59
	s_cbranch_execz .LBB224_243
; %bb.236:                              ;   in Loop: Header=BB224_11 Depth=1
	v_bfrev_b32_e32 v98, 1
	s_mov_b32 s21, exec_lo
	v_cmpx_ne_u16_e32 0x80, v59
	s_cbranch_execz .LBB224_242
; %bb.237:                              ;   in Loop: Header=BB224_11 Depth=1
	v_and_b32_e32 v51, 0xffff, v59
	v_mov_b32_e32 v98, 0x7f800001
	s_mov_b32 s40, exec_lo
	s_delay_alu instid0(VALU_DEP_2) | instskip(NEXT) | instid1(VALU_DEP_1)
	v_and_b32_e32 v100, 0x7f, v51
	v_cmpx_ne_u32_e32 0x7f, v100
	s_cbranch_execz .LBB224_241
; %bb.238:                              ;   in Loop: Header=BB224_11 Depth=1
	v_and_b32_e32 v51, 7, v51
	v_lshrrev_b32_e32 v60, 3, v100
	s_mov_b32 s41, exec_lo
	v_cmpx_gt_u32_e32 8, v100
; %bb.239:                              ;   in Loop: Header=BB224_11 Depth=1
	s_delay_alu instid0(VALU_DEP_3) | instskip(NEXT) | instid1(VALU_DEP_1)
	v_clz_i32_u32_e32 v60, v51
	v_min_u32_e32 v60, 32, v60
	s_delay_alu instid0(VALU_DEP_1) | instskip(SKIP_1) | instid1(VALU_DEP_2)
	v_subrev_nc_u32_e32 v98, 28, v60
	v_sub_nc_u32_e32 v60, 29, v60
	v_lshlrev_b64 v[100:101], v98, v[51:52]
	s_delay_alu instid0(VALU_DEP_1)
	v_and_b32_e32 v51, 7, v100
; %bb.240:                              ;   in Loop: Header=BB224_11 Depth=1
	s_or_b32 exec_lo, exec_lo, s41
	v_lshlrev_b32_e32 v59, 24, v59
	s_delay_alu instid0(VALU_DEP_2) | instskip(SKIP_1) | instid1(VALU_DEP_3)
	v_lshlrev_b32_e32 v51, 20, v51
	v_lshl_add_u32 v60, v60, 23, 0x3c000000
	v_and_b32_e32 v59, 0x80000000, v59
	s_delay_alu instid0(VALU_DEP_1)
	v_or3_b32 v98, v51, v59, v60
.LBB224_241:                            ;   in Loop: Header=BB224_11 Depth=1
	s_or_b32 exec_lo, exec_lo, s40
.LBB224_242:                            ;   in Loop: Header=BB224_11 Depth=1
	s_delay_alu instid0(SALU_CYCLE_1)
	s_or_b32 exec_lo, exec_lo, s21
.LBB224_243:                            ;   in Loop: Header=BB224_11 Depth=1
	s_delay_alu instid0(SALU_CYCLE_1)
	s_or_b32 exec_lo, exec_lo, s3
	global_load_u8 v59, v[57:58], off offset:900
	v_dual_mov_b32 v100, 0 :: v_dual_mov_b32 v101, 0
	s_mov_b32 s3, exec_lo
	s_waitcnt vmcnt(0)
	v_cmpx_ne_u16_e32 0, v59
	s_cbranch_execz .LBB224_251
; %bb.244:                              ;   in Loop: Header=BB224_11 Depth=1
	v_bfrev_b32_e32 v101, 1
	s_mov_b32 s21, exec_lo
	v_cmpx_ne_u16_e32 0x80, v59
	s_cbranch_execz .LBB224_250
; %bb.245:                              ;   in Loop: Header=BB224_11 Depth=1
	v_and_b32_e32 v51, 0xffff, v59
	v_mov_b32_e32 v101, 0x7f800001
	s_mov_b32 s40, exec_lo
	s_delay_alu instid0(VALU_DEP_2) | instskip(NEXT) | instid1(VALU_DEP_1)
	v_and_b32_e32 v102, 0x7f, v51
	v_cmpx_ne_u32_e32 0x7f, v102
	s_cbranch_execz .LBB224_249
; %bb.246:                              ;   in Loop: Header=BB224_11 Depth=1
	v_and_b32_e32 v51, 7, v51
	v_lshrrev_b32_e32 v60, 3, v102
	s_mov_b32 s41, exec_lo
	v_cmpx_gt_u32_e32 8, v102
; %bb.247:                              ;   in Loop: Header=BB224_11 Depth=1
	s_delay_alu instid0(VALU_DEP_3) | instskip(NEXT) | instid1(VALU_DEP_1)
	v_clz_i32_u32_e32 v60, v51
	v_min_u32_e32 v60, 32, v60
	s_delay_alu instid0(VALU_DEP_1) | instskip(SKIP_1) | instid1(VALU_DEP_2)
	v_subrev_nc_u32_e32 v101, 28, v60
	v_sub_nc_u32_e32 v60, 29, v60
	v_lshlrev_b64 v[101:102], v101, v[51:52]
	s_delay_alu instid0(VALU_DEP_1)
	v_and_b32_e32 v51, 7, v101
; %bb.248:                              ;   in Loop: Header=BB224_11 Depth=1
	s_or_b32 exec_lo, exec_lo, s41
	v_lshlrev_b32_e32 v59, 24, v59
	s_delay_alu instid0(VALU_DEP_2) | instskip(SKIP_1) | instid1(VALU_DEP_3)
	v_lshlrev_b32_e32 v51, 20, v51
	v_lshl_add_u32 v60, v60, 23, 0x3c000000
	v_and_b32_e32 v59, 0x80000000, v59
	s_delay_alu instid0(VALU_DEP_1)
	v_or3_b32 v101, v51, v59, v60
.LBB224_249:                            ;   in Loop: Header=BB224_11 Depth=1
	s_or_b32 exec_lo, exec_lo, s40
.LBB224_250:                            ;   in Loop: Header=BB224_11 Depth=1
	s_delay_alu instid0(SALU_CYCLE_1)
	s_or_b32 exec_lo, exec_lo, s21
.LBB224_251:                            ;   in Loop: Header=BB224_11 Depth=1
	s_delay_alu instid0(SALU_CYCLE_1) | instskip(SKIP_1) | instid1(VALU_DEP_1)
	s_or_b32 exec_lo, exec_lo, s3
	v_add_co_u32 v59, s1, 0x380, v57
	v_add_co_ci_u32_e64 v60, s1, 0, v58, s1
	s_mov_b32 s3, exec_lo
	global_load_u8 v102, v[59:60], off offset:8
	s_waitcnt vmcnt(0)
	v_cmpx_ne_u16_e32 0, v102
	s_cbranch_execz .LBB224_259
; %bb.252:                              ;   in Loop: Header=BB224_11 Depth=1
	v_bfrev_b32_e32 v100, 1
	s_mov_b32 s21, exec_lo
	v_cmpx_ne_u16_e32 0x80, v102
	s_cbranch_execz .LBB224_258
; %bb.253:                              ;   in Loop: Header=BB224_11 Depth=1
	v_and_b32_e32 v51, 0xffff, v102
	v_mov_b32_e32 v100, 0x7f800001
	s_mov_b32 s40, exec_lo
	s_delay_alu instid0(VALU_DEP_2) | instskip(NEXT) | instid1(VALU_DEP_1)
	v_and_b32_e32 v103, 0x7f, v51
	v_cmpx_ne_u32_e32 0x7f, v103
	s_cbranch_execz .LBB224_257
; %bb.254:                              ;   in Loop: Header=BB224_11 Depth=1
	v_and_b32_e32 v51, 7, v51
	v_lshrrev_b32_e32 v100, 3, v103
	s_mov_b32 s41, exec_lo
	v_cmpx_gt_u32_e32 8, v103
; %bb.255:                              ;   in Loop: Header=BB224_11 Depth=1
	s_delay_alu instid0(VALU_DEP_3) | instskip(NEXT) | instid1(VALU_DEP_1)
	v_clz_i32_u32_e32 v100, v51
	v_min_u32_e32 v100, 32, v100
	s_delay_alu instid0(VALU_DEP_1) | instskip(SKIP_1) | instid1(VALU_DEP_2)
	v_subrev_nc_u32_e32 v103, 28, v100
	v_sub_nc_u32_e32 v100, 29, v100
	v_lshlrev_b64 v[103:104], v103, v[51:52]
	s_delay_alu instid0(VALU_DEP_1)
	v_and_b32_e32 v51, 7, v103
; %bb.256:                              ;   in Loop: Header=BB224_11 Depth=1
	s_or_b32 exec_lo, exec_lo, s41
	v_lshlrev_b32_e32 v102, 24, v102
	s_delay_alu instid0(VALU_DEP_2) | instskip(SKIP_1) | instid1(VALU_DEP_3)
	v_lshlrev_b32_e32 v51, 20, v51
	v_lshl_add_u32 v100, v100, 23, 0x3c000000
	v_and_b32_e32 v102, 0x80000000, v102
	s_delay_alu instid0(VALU_DEP_1)
	v_or3_b32 v100, v51, v102, v100
.LBB224_257:                            ;   in Loop: Header=BB224_11 Depth=1
	s_or_b32 exec_lo, exec_lo, s40
.LBB224_258:                            ;   in Loop: Header=BB224_11 Depth=1
	s_delay_alu instid0(SALU_CYCLE_1)
	s_or_b32 exec_lo, exec_lo, s21
.LBB224_259:                            ;   in Loop: Header=BB224_11 Depth=1
	s_delay_alu instid0(SALU_CYCLE_1)
	s_or_b32 exec_lo, exec_lo, s3
	global_load_u8 v59, v[59:60], off offset:12
	v_dual_mov_b32 v102, 0 :: v_dual_mov_b32 v103, 0
	s_mov_b32 s3, exec_lo
	s_waitcnt vmcnt(0)
	v_cmpx_ne_u16_e32 0, v59
	s_cbranch_execz .LBB224_267
; %bb.260:                              ;   in Loop: Header=BB224_11 Depth=1
	v_bfrev_b32_e32 v103, 1
	s_mov_b32 s21, exec_lo
	v_cmpx_ne_u16_e32 0x80, v59
	s_cbranch_execz .LBB224_266
; %bb.261:                              ;   in Loop: Header=BB224_11 Depth=1
	v_and_b32_e32 v51, 0xffff, v59
	v_mov_b32_e32 v103, 0x7f800001
	s_mov_b32 s40, exec_lo
	s_delay_alu instid0(VALU_DEP_2) | instskip(NEXT) | instid1(VALU_DEP_1)
	v_and_b32_e32 v104, 0x7f, v51
	v_cmpx_ne_u32_e32 0x7f, v104
	s_cbranch_execz .LBB224_265
; %bb.262:                              ;   in Loop: Header=BB224_11 Depth=1
	v_and_b32_e32 v51, 7, v51
	v_lshrrev_b32_e32 v60, 3, v104
	s_mov_b32 s41, exec_lo
	v_cmpx_gt_u32_e32 8, v104
; %bb.263:                              ;   in Loop: Header=BB224_11 Depth=1
	s_delay_alu instid0(VALU_DEP_3) | instskip(NEXT) | instid1(VALU_DEP_1)
	v_clz_i32_u32_e32 v60, v51
	v_min_u32_e32 v60, 32, v60
	s_delay_alu instid0(VALU_DEP_1) | instskip(SKIP_1) | instid1(VALU_DEP_2)
	v_subrev_nc_u32_e32 v103, 28, v60
	v_sub_nc_u32_e32 v60, 29, v60
	v_lshlrev_b64 v[103:104], v103, v[51:52]
	s_delay_alu instid0(VALU_DEP_1)
	v_and_b32_e32 v51, 7, v103
; %bb.264:                              ;   in Loop: Header=BB224_11 Depth=1
	s_or_b32 exec_lo, exec_lo, s41
	v_lshlrev_b32_e32 v59, 24, v59
	s_delay_alu instid0(VALU_DEP_2) | instskip(SKIP_1) | instid1(VALU_DEP_3)
	v_lshlrev_b32_e32 v51, 20, v51
	v_lshl_add_u32 v60, v60, 23, 0x3c000000
	v_and_b32_e32 v59, 0x80000000, v59
	s_delay_alu instid0(VALU_DEP_1)
	v_or3_b32 v103, v51, v59, v60
.LBB224_265:                            ;   in Loop: Header=BB224_11 Depth=1
	s_or_b32 exec_lo, exec_lo, s40
.LBB224_266:                            ;   in Loop: Header=BB224_11 Depth=1
	s_delay_alu instid0(SALU_CYCLE_1)
	s_or_b32 exec_lo, exec_lo, s21
.LBB224_267:                            ;   in Loop: Header=BB224_11 Depth=1
	s_delay_alu instid0(SALU_CYCLE_1)
	s_or_b32 exec_lo, exec_lo, s3
	global_load_u8 v59, v[57:58], off offset:1024
	s_mov_b32 s3, exec_lo
	s_waitcnt vmcnt(0)
	v_cmpx_ne_u16_e32 0, v59
	s_cbranch_execz .LBB224_275
; %bb.268:                              ;   in Loop: Header=BB224_11 Depth=1
	v_bfrev_b32_e32 v102, 1
	s_mov_b32 s21, exec_lo
	v_cmpx_ne_u16_e32 0x80, v59
	s_cbranch_execz .LBB224_274
; %bb.269:                              ;   in Loop: Header=BB224_11 Depth=1
	v_and_b32_e32 v51, 0xffff, v59
	v_mov_b32_e32 v102, 0x7f800001
	s_mov_b32 s40, exec_lo
	s_delay_alu instid0(VALU_DEP_2) | instskip(NEXT) | instid1(VALU_DEP_1)
	v_and_b32_e32 v104, 0x7f, v51
	v_cmpx_ne_u32_e32 0x7f, v104
	s_cbranch_execz .LBB224_273
; %bb.270:                              ;   in Loop: Header=BB224_11 Depth=1
	v_and_b32_e32 v51, 7, v51
	v_lshrrev_b32_e32 v60, 3, v104
	s_mov_b32 s41, exec_lo
	v_cmpx_gt_u32_e32 8, v104
; %bb.271:                              ;   in Loop: Header=BB224_11 Depth=1
	s_delay_alu instid0(VALU_DEP_3) | instskip(NEXT) | instid1(VALU_DEP_1)
	v_clz_i32_u32_e32 v60, v51
	v_min_u32_e32 v60, 32, v60
	s_delay_alu instid0(VALU_DEP_1) | instskip(SKIP_1) | instid1(VALU_DEP_2)
	v_subrev_nc_u32_e32 v102, 28, v60
	v_sub_nc_u32_e32 v60, 29, v60
	v_lshlrev_b64 v[104:105], v102, v[51:52]
	s_delay_alu instid0(VALU_DEP_1)
	v_and_b32_e32 v51, 7, v104
; %bb.272:                              ;   in Loop: Header=BB224_11 Depth=1
	s_or_b32 exec_lo, exec_lo, s41
	v_lshlrev_b32_e32 v59, 24, v59
	s_delay_alu instid0(VALU_DEP_2) | instskip(SKIP_1) | instid1(VALU_DEP_3)
	v_lshlrev_b32_e32 v51, 20, v51
	v_lshl_add_u32 v60, v60, 23, 0x3c000000
	v_and_b32_e32 v59, 0x80000000, v59
	s_delay_alu instid0(VALU_DEP_1)
	v_or3_b32 v102, v51, v59, v60
.LBB224_273:                            ;   in Loop: Header=BB224_11 Depth=1
	s_or_b32 exec_lo, exec_lo, s40
.LBB224_274:                            ;   in Loop: Header=BB224_11 Depth=1
	s_delay_alu instid0(SALU_CYCLE_1)
	s_or_b32 exec_lo, exec_lo, s21
.LBB224_275:                            ;   in Loop: Header=BB224_11 Depth=1
	s_delay_alu instid0(SALU_CYCLE_1)
	s_or_b32 exec_lo, exec_lo, s3
	global_load_u8 v59, v[57:58], off offset:1028
	v_dual_mov_b32 v104, 0 :: v_dual_mov_b32 v105, 0
	s_mov_b32 s3, exec_lo
	s_waitcnt vmcnt(0)
	v_cmpx_ne_u16_e32 0, v59
	s_cbranch_execz .LBB224_283
; %bb.276:                              ;   in Loop: Header=BB224_11 Depth=1
	v_bfrev_b32_e32 v105, 1
	s_mov_b32 s21, exec_lo
	v_cmpx_ne_u16_e32 0x80, v59
	s_cbranch_execz .LBB224_282
; %bb.277:                              ;   in Loop: Header=BB224_11 Depth=1
	v_and_b32_e32 v51, 0xffff, v59
	v_mov_b32_e32 v105, 0x7f800001
	s_mov_b32 s40, exec_lo
	s_delay_alu instid0(VALU_DEP_2) | instskip(NEXT) | instid1(VALU_DEP_1)
	v_and_b32_e32 v106, 0x7f, v51
	v_cmpx_ne_u32_e32 0x7f, v106
	s_cbranch_execz .LBB224_281
; %bb.278:                              ;   in Loop: Header=BB224_11 Depth=1
	v_and_b32_e32 v51, 7, v51
	v_lshrrev_b32_e32 v60, 3, v106
	s_mov_b32 s41, exec_lo
	v_cmpx_gt_u32_e32 8, v106
; %bb.279:                              ;   in Loop: Header=BB224_11 Depth=1
	s_delay_alu instid0(VALU_DEP_3) | instskip(NEXT) | instid1(VALU_DEP_1)
	v_clz_i32_u32_e32 v60, v51
	v_min_u32_e32 v60, 32, v60
	s_delay_alu instid0(VALU_DEP_1) | instskip(SKIP_1) | instid1(VALU_DEP_2)
	v_subrev_nc_u32_e32 v105, 28, v60
	v_sub_nc_u32_e32 v60, 29, v60
	v_lshlrev_b64 v[105:106], v105, v[51:52]
	s_delay_alu instid0(VALU_DEP_1)
	v_and_b32_e32 v51, 7, v105
; %bb.280:                              ;   in Loop: Header=BB224_11 Depth=1
	s_or_b32 exec_lo, exec_lo, s41
	v_lshlrev_b32_e32 v59, 24, v59
	s_delay_alu instid0(VALU_DEP_2) | instskip(SKIP_1) | instid1(VALU_DEP_3)
	v_lshlrev_b32_e32 v51, 20, v51
	v_lshl_add_u32 v60, v60, 23, 0x3c000000
	v_and_b32_e32 v59, 0x80000000, v59
	s_delay_alu instid0(VALU_DEP_1)
	v_or3_b32 v105, v51, v59, v60
.LBB224_281:                            ;   in Loop: Header=BB224_11 Depth=1
	s_or_b32 exec_lo, exec_lo, s40
.LBB224_282:                            ;   in Loop: Header=BB224_11 Depth=1
	s_delay_alu instid0(SALU_CYCLE_1)
	s_or_b32 exec_lo, exec_lo, s21
.LBB224_283:                            ;   in Loop: Header=BB224_11 Depth=1
	s_delay_alu instid0(SALU_CYCLE_1) | instskip(SKIP_1) | instid1(VALU_DEP_1)
	s_or_b32 exec_lo, exec_lo, s3
	v_add_co_u32 v59, s1, 0x400, v57
	v_add_co_ci_u32_e64 v60, s1, 0, v58, s1
	s_mov_b32 s3, exec_lo
	global_load_u8 v106, v[59:60], off offset:8
	s_waitcnt vmcnt(0)
	v_cmpx_ne_u16_e32 0, v106
	s_cbranch_execz .LBB224_291
; %bb.284:                              ;   in Loop: Header=BB224_11 Depth=1
	v_bfrev_b32_e32 v104, 1
	s_mov_b32 s21, exec_lo
	v_cmpx_ne_u16_e32 0x80, v106
	s_cbranch_execz .LBB224_290
; %bb.285:                              ;   in Loop: Header=BB224_11 Depth=1
	v_and_b32_e32 v51, 0xffff, v106
	v_mov_b32_e32 v104, 0x7f800001
	s_mov_b32 s40, exec_lo
	s_delay_alu instid0(VALU_DEP_2) | instskip(NEXT) | instid1(VALU_DEP_1)
	v_and_b32_e32 v107, 0x7f, v51
	v_cmpx_ne_u32_e32 0x7f, v107
	s_cbranch_execz .LBB224_289
; %bb.286:                              ;   in Loop: Header=BB224_11 Depth=1
	v_and_b32_e32 v51, 7, v51
	v_lshrrev_b32_e32 v104, 3, v107
	s_mov_b32 s41, exec_lo
	v_cmpx_gt_u32_e32 8, v107
; %bb.287:                              ;   in Loop: Header=BB224_11 Depth=1
	s_delay_alu instid0(VALU_DEP_3) | instskip(NEXT) | instid1(VALU_DEP_1)
	v_clz_i32_u32_e32 v104, v51
	v_min_u32_e32 v104, 32, v104
	s_delay_alu instid0(VALU_DEP_1) | instskip(SKIP_1) | instid1(VALU_DEP_2)
	v_subrev_nc_u32_e32 v107, 28, v104
	v_sub_nc_u32_e32 v104, 29, v104
	v_lshlrev_b64 v[107:108], v107, v[51:52]
	s_delay_alu instid0(VALU_DEP_1)
	v_and_b32_e32 v51, 7, v107
; %bb.288:                              ;   in Loop: Header=BB224_11 Depth=1
	s_or_b32 exec_lo, exec_lo, s41
	v_lshlrev_b32_e32 v106, 24, v106
	s_delay_alu instid0(VALU_DEP_2) | instskip(SKIP_1) | instid1(VALU_DEP_3)
	v_lshlrev_b32_e32 v51, 20, v51
	v_lshl_add_u32 v104, v104, 23, 0x3c000000
	v_and_b32_e32 v106, 0x80000000, v106
	s_delay_alu instid0(VALU_DEP_1)
	v_or3_b32 v104, v51, v106, v104
.LBB224_289:                            ;   in Loop: Header=BB224_11 Depth=1
	s_or_b32 exec_lo, exec_lo, s40
.LBB224_290:                            ;   in Loop: Header=BB224_11 Depth=1
	s_delay_alu instid0(SALU_CYCLE_1)
	s_or_b32 exec_lo, exec_lo, s21
.LBB224_291:                            ;   in Loop: Header=BB224_11 Depth=1
	s_delay_alu instid0(SALU_CYCLE_1)
	s_or_b32 exec_lo, exec_lo, s3
	global_load_u8 v59, v[59:60], off offset:12
	v_dual_mov_b32 v106, 0 :: v_dual_mov_b32 v107, 0
	s_mov_b32 s3, exec_lo
	s_waitcnt vmcnt(0)
	v_cmpx_ne_u16_e32 0, v59
	s_cbranch_execz .LBB224_299
; %bb.292:                              ;   in Loop: Header=BB224_11 Depth=1
	v_bfrev_b32_e32 v107, 1
	s_mov_b32 s21, exec_lo
	v_cmpx_ne_u16_e32 0x80, v59
	s_cbranch_execz .LBB224_298
; %bb.293:                              ;   in Loop: Header=BB224_11 Depth=1
	v_and_b32_e32 v51, 0xffff, v59
	v_mov_b32_e32 v107, 0x7f800001
	s_mov_b32 s40, exec_lo
	s_delay_alu instid0(VALU_DEP_2) | instskip(NEXT) | instid1(VALU_DEP_1)
	v_and_b32_e32 v108, 0x7f, v51
	v_cmpx_ne_u32_e32 0x7f, v108
	s_cbranch_execz .LBB224_297
; %bb.294:                              ;   in Loop: Header=BB224_11 Depth=1
	v_and_b32_e32 v51, 7, v51
	v_lshrrev_b32_e32 v60, 3, v108
	s_mov_b32 s41, exec_lo
	v_cmpx_gt_u32_e32 8, v108
; %bb.295:                              ;   in Loop: Header=BB224_11 Depth=1
	s_delay_alu instid0(VALU_DEP_3) | instskip(NEXT) | instid1(VALU_DEP_1)
	v_clz_i32_u32_e32 v60, v51
	v_min_u32_e32 v60, 32, v60
	s_delay_alu instid0(VALU_DEP_1) | instskip(SKIP_1) | instid1(VALU_DEP_2)
	v_subrev_nc_u32_e32 v107, 28, v60
	v_sub_nc_u32_e32 v60, 29, v60
	v_lshlrev_b64 v[107:108], v107, v[51:52]
	s_delay_alu instid0(VALU_DEP_1)
	v_and_b32_e32 v51, 7, v107
; %bb.296:                              ;   in Loop: Header=BB224_11 Depth=1
	s_or_b32 exec_lo, exec_lo, s41
	v_lshlrev_b32_e32 v59, 24, v59
	s_delay_alu instid0(VALU_DEP_2) | instskip(SKIP_1) | instid1(VALU_DEP_3)
	v_lshlrev_b32_e32 v51, 20, v51
	v_lshl_add_u32 v60, v60, 23, 0x3c000000
	v_and_b32_e32 v59, 0x80000000, v59
	s_delay_alu instid0(VALU_DEP_1)
	v_or3_b32 v107, v51, v59, v60
.LBB224_297:                            ;   in Loop: Header=BB224_11 Depth=1
	s_or_b32 exec_lo, exec_lo, s40
.LBB224_298:                            ;   in Loop: Header=BB224_11 Depth=1
	s_delay_alu instid0(SALU_CYCLE_1)
	s_or_b32 exec_lo, exec_lo, s21
.LBB224_299:                            ;   in Loop: Header=BB224_11 Depth=1
	s_delay_alu instid0(SALU_CYCLE_1)
	s_or_b32 exec_lo, exec_lo, s3
	global_load_u8 v59, v[57:58], off offset:1152
	s_mov_b32 s3, exec_lo
	s_waitcnt vmcnt(0)
	v_cmpx_ne_u16_e32 0, v59
	s_cbranch_execz .LBB224_307
; %bb.300:                              ;   in Loop: Header=BB224_11 Depth=1
	v_bfrev_b32_e32 v106, 1
	s_mov_b32 s21, exec_lo
	v_cmpx_ne_u16_e32 0x80, v59
	s_cbranch_execz .LBB224_306
; %bb.301:                              ;   in Loop: Header=BB224_11 Depth=1
	v_and_b32_e32 v51, 0xffff, v59
	v_mov_b32_e32 v106, 0x7f800001
	s_mov_b32 s40, exec_lo
	s_delay_alu instid0(VALU_DEP_2) | instskip(NEXT) | instid1(VALU_DEP_1)
	v_and_b32_e32 v108, 0x7f, v51
	v_cmpx_ne_u32_e32 0x7f, v108
	s_cbranch_execz .LBB224_305
; %bb.302:                              ;   in Loop: Header=BB224_11 Depth=1
	v_and_b32_e32 v51, 7, v51
	v_lshrrev_b32_e32 v60, 3, v108
	s_mov_b32 s41, exec_lo
	v_cmpx_gt_u32_e32 8, v108
; %bb.303:                              ;   in Loop: Header=BB224_11 Depth=1
	s_delay_alu instid0(VALU_DEP_3) | instskip(NEXT) | instid1(VALU_DEP_1)
	v_clz_i32_u32_e32 v60, v51
	v_min_u32_e32 v60, 32, v60
	s_delay_alu instid0(VALU_DEP_1) | instskip(SKIP_1) | instid1(VALU_DEP_2)
	v_subrev_nc_u32_e32 v106, 28, v60
	v_sub_nc_u32_e32 v60, 29, v60
	v_lshlrev_b64 v[108:109], v106, v[51:52]
	s_delay_alu instid0(VALU_DEP_1)
	v_and_b32_e32 v51, 7, v108
; %bb.304:                              ;   in Loop: Header=BB224_11 Depth=1
	s_or_b32 exec_lo, exec_lo, s41
	v_lshlrev_b32_e32 v59, 24, v59
	s_delay_alu instid0(VALU_DEP_2) | instskip(SKIP_1) | instid1(VALU_DEP_3)
	v_lshlrev_b32_e32 v51, 20, v51
	v_lshl_add_u32 v60, v60, 23, 0x3c000000
	v_and_b32_e32 v59, 0x80000000, v59
	s_delay_alu instid0(VALU_DEP_1)
	v_or3_b32 v106, v51, v59, v60
.LBB224_305:                            ;   in Loop: Header=BB224_11 Depth=1
	s_or_b32 exec_lo, exec_lo, s40
.LBB224_306:                            ;   in Loop: Header=BB224_11 Depth=1
	s_delay_alu instid0(SALU_CYCLE_1)
	s_or_b32 exec_lo, exec_lo, s21
.LBB224_307:                            ;   in Loop: Header=BB224_11 Depth=1
	s_delay_alu instid0(SALU_CYCLE_1)
	s_or_b32 exec_lo, exec_lo, s3
	global_load_u8 v59, v[57:58], off offset:1156
	v_dual_mov_b32 v108, 0 :: v_dual_mov_b32 v109, 0
	s_mov_b32 s3, exec_lo
	s_waitcnt vmcnt(0)
	v_cmpx_ne_u16_e32 0, v59
	s_cbranch_execz .LBB224_315
; %bb.308:                              ;   in Loop: Header=BB224_11 Depth=1
	v_bfrev_b32_e32 v109, 1
	s_mov_b32 s21, exec_lo
	v_cmpx_ne_u16_e32 0x80, v59
	s_cbranch_execz .LBB224_314
; %bb.309:                              ;   in Loop: Header=BB224_11 Depth=1
	v_and_b32_e32 v51, 0xffff, v59
	v_mov_b32_e32 v109, 0x7f800001
	s_mov_b32 s40, exec_lo
	s_delay_alu instid0(VALU_DEP_2) | instskip(NEXT) | instid1(VALU_DEP_1)
	v_and_b32_e32 v110, 0x7f, v51
	v_cmpx_ne_u32_e32 0x7f, v110
	s_cbranch_execz .LBB224_313
; %bb.310:                              ;   in Loop: Header=BB224_11 Depth=1
	v_and_b32_e32 v51, 7, v51
	v_lshrrev_b32_e32 v60, 3, v110
	s_mov_b32 s41, exec_lo
	v_cmpx_gt_u32_e32 8, v110
; %bb.311:                              ;   in Loop: Header=BB224_11 Depth=1
	s_delay_alu instid0(VALU_DEP_3) | instskip(NEXT) | instid1(VALU_DEP_1)
	v_clz_i32_u32_e32 v60, v51
	v_min_u32_e32 v60, 32, v60
	s_delay_alu instid0(VALU_DEP_1) | instskip(SKIP_1) | instid1(VALU_DEP_2)
	v_subrev_nc_u32_e32 v109, 28, v60
	v_sub_nc_u32_e32 v60, 29, v60
	v_lshlrev_b64 v[109:110], v109, v[51:52]
	s_delay_alu instid0(VALU_DEP_1)
	v_and_b32_e32 v51, 7, v109
; %bb.312:                              ;   in Loop: Header=BB224_11 Depth=1
	s_or_b32 exec_lo, exec_lo, s41
	v_lshlrev_b32_e32 v59, 24, v59
	s_delay_alu instid0(VALU_DEP_2) | instskip(SKIP_1) | instid1(VALU_DEP_3)
	v_lshlrev_b32_e32 v51, 20, v51
	v_lshl_add_u32 v60, v60, 23, 0x3c000000
	v_and_b32_e32 v59, 0x80000000, v59
	s_delay_alu instid0(VALU_DEP_1)
	v_or3_b32 v109, v51, v59, v60
.LBB224_313:                            ;   in Loop: Header=BB224_11 Depth=1
	s_or_b32 exec_lo, exec_lo, s40
.LBB224_314:                            ;   in Loop: Header=BB224_11 Depth=1
	s_delay_alu instid0(SALU_CYCLE_1)
	s_or_b32 exec_lo, exec_lo, s21
.LBB224_315:                            ;   in Loop: Header=BB224_11 Depth=1
	s_delay_alu instid0(SALU_CYCLE_1) | instskip(SKIP_1) | instid1(VALU_DEP_1)
	s_or_b32 exec_lo, exec_lo, s3
	v_add_co_u32 v59, s1, 0x480, v57
	v_add_co_ci_u32_e64 v60, s1, 0, v58, s1
	s_mov_b32 s3, exec_lo
	global_load_u8 v110, v[59:60], off offset:8
	s_waitcnt vmcnt(0)
	v_cmpx_ne_u16_e32 0, v110
	s_cbranch_execz .LBB224_323
; %bb.316:                              ;   in Loop: Header=BB224_11 Depth=1
	v_bfrev_b32_e32 v108, 1
	s_mov_b32 s21, exec_lo
	v_cmpx_ne_u16_e32 0x80, v110
	s_cbranch_execz .LBB224_322
; %bb.317:                              ;   in Loop: Header=BB224_11 Depth=1
	v_and_b32_e32 v51, 0xffff, v110
	v_mov_b32_e32 v108, 0x7f800001
	s_mov_b32 s40, exec_lo
	s_delay_alu instid0(VALU_DEP_2) | instskip(NEXT) | instid1(VALU_DEP_1)
	v_and_b32_e32 v111, 0x7f, v51
	v_cmpx_ne_u32_e32 0x7f, v111
	s_cbranch_execz .LBB224_321
; %bb.318:                              ;   in Loop: Header=BB224_11 Depth=1
	v_and_b32_e32 v51, 7, v51
	v_lshrrev_b32_e32 v108, 3, v111
	s_mov_b32 s41, exec_lo
	v_cmpx_gt_u32_e32 8, v111
; %bb.319:                              ;   in Loop: Header=BB224_11 Depth=1
	s_delay_alu instid0(VALU_DEP_3) | instskip(NEXT) | instid1(VALU_DEP_1)
	v_clz_i32_u32_e32 v108, v51
	v_min_u32_e32 v108, 32, v108
	s_delay_alu instid0(VALU_DEP_1) | instskip(SKIP_1) | instid1(VALU_DEP_2)
	v_subrev_nc_u32_e32 v111, 28, v108
	v_sub_nc_u32_e32 v108, 29, v108
	v_lshlrev_b64 v[111:112], v111, v[51:52]
	s_delay_alu instid0(VALU_DEP_1)
	v_and_b32_e32 v51, 7, v111
; %bb.320:                              ;   in Loop: Header=BB224_11 Depth=1
	s_or_b32 exec_lo, exec_lo, s41
	v_lshlrev_b32_e32 v110, 24, v110
	s_delay_alu instid0(VALU_DEP_2) | instskip(SKIP_1) | instid1(VALU_DEP_3)
	v_lshlrev_b32_e32 v51, 20, v51
	v_lshl_add_u32 v108, v108, 23, 0x3c000000
	v_and_b32_e32 v110, 0x80000000, v110
	s_delay_alu instid0(VALU_DEP_1)
	v_or3_b32 v108, v51, v110, v108
.LBB224_321:                            ;   in Loop: Header=BB224_11 Depth=1
	s_or_b32 exec_lo, exec_lo, s40
.LBB224_322:                            ;   in Loop: Header=BB224_11 Depth=1
	s_delay_alu instid0(SALU_CYCLE_1)
	s_or_b32 exec_lo, exec_lo, s21
.LBB224_323:                            ;   in Loop: Header=BB224_11 Depth=1
	s_delay_alu instid0(SALU_CYCLE_1)
	s_or_b32 exec_lo, exec_lo, s3
	global_load_u8 v59, v[59:60], off offset:12
	v_dual_mov_b32 v110, 0 :: v_dual_mov_b32 v111, 0
	s_mov_b32 s3, exec_lo
	s_waitcnt vmcnt(0)
	v_cmpx_ne_u16_e32 0, v59
	s_cbranch_execz .LBB224_331
; %bb.324:                              ;   in Loop: Header=BB224_11 Depth=1
	v_bfrev_b32_e32 v111, 1
	s_mov_b32 s21, exec_lo
	v_cmpx_ne_u16_e32 0x80, v59
	s_cbranch_execz .LBB224_330
; %bb.325:                              ;   in Loop: Header=BB224_11 Depth=1
	v_and_b32_e32 v51, 0xffff, v59
	v_mov_b32_e32 v111, 0x7f800001
	s_mov_b32 s40, exec_lo
	s_delay_alu instid0(VALU_DEP_2) | instskip(NEXT) | instid1(VALU_DEP_1)
	v_and_b32_e32 v112, 0x7f, v51
	v_cmpx_ne_u32_e32 0x7f, v112
	s_cbranch_execz .LBB224_329
; %bb.326:                              ;   in Loop: Header=BB224_11 Depth=1
	v_and_b32_e32 v51, 7, v51
	v_lshrrev_b32_e32 v60, 3, v112
	s_mov_b32 s41, exec_lo
	v_cmpx_gt_u32_e32 8, v112
; %bb.327:                              ;   in Loop: Header=BB224_11 Depth=1
	s_delay_alu instid0(VALU_DEP_3) | instskip(NEXT) | instid1(VALU_DEP_1)
	v_clz_i32_u32_e32 v60, v51
	v_min_u32_e32 v60, 32, v60
	s_delay_alu instid0(VALU_DEP_1) | instskip(SKIP_1) | instid1(VALU_DEP_2)
	v_subrev_nc_u32_e32 v111, 28, v60
	v_sub_nc_u32_e32 v60, 29, v60
	v_lshlrev_b64 v[111:112], v111, v[51:52]
	s_delay_alu instid0(VALU_DEP_1)
	v_and_b32_e32 v51, 7, v111
; %bb.328:                              ;   in Loop: Header=BB224_11 Depth=1
	s_or_b32 exec_lo, exec_lo, s41
	v_lshlrev_b32_e32 v59, 24, v59
	s_delay_alu instid0(VALU_DEP_2) | instskip(SKIP_1) | instid1(VALU_DEP_3)
	v_lshlrev_b32_e32 v51, 20, v51
	v_lshl_add_u32 v60, v60, 23, 0x3c000000
	v_and_b32_e32 v59, 0x80000000, v59
	s_delay_alu instid0(VALU_DEP_1)
	v_or3_b32 v111, v51, v59, v60
.LBB224_329:                            ;   in Loop: Header=BB224_11 Depth=1
	s_or_b32 exec_lo, exec_lo, s40
.LBB224_330:                            ;   in Loop: Header=BB224_11 Depth=1
	s_delay_alu instid0(SALU_CYCLE_1)
	s_or_b32 exec_lo, exec_lo, s21
.LBB224_331:                            ;   in Loop: Header=BB224_11 Depth=1
	s_delay_alu instid0(SALU_CYCLE_1)
	s_or_b32 exec_lo, exec_lo, s3
	global_load_u8 v59, v[57:58], off offset:1280
	s_mov_b32 s3, exec_lo
	s_waitcnt vmcnt(0)
	v_cmpx_ne_u16_e32 0, v59
	s_cbranch_execz .LBB224_339
; %bb.332:                              ;   in Loop: Header=BB224_11 Depth=1
	v_bfrev_b32_e32 v110, 1
	s_mov_b32 s21, exec_lo
	v_cmpx_ne_u16_e32 0x80, v59
	s_cbranch_execz .LBB224_338
; %bb.333:                              ;   in Loop: Header=BB224_11 Depth=1
	v_and_b32_e32 v51, 0xffff, v59
	v_mov_b32_e32 v110, 0x7f800001
	s_mov_b32 s40, exec_lo
	s_delay_alu instid0(VALU_DEP_2) | instskip(NEXT) | instid1(VALU_DEP_1)
	v_and_b32_e32 v112, 0x7f, v51
	v_cmpx_ne_u32_e32 0x7f, v112
	s_cbranch_execz .LBB224_337
; %bb.334:                              ;   in Loop: Header=BB224_11 Depth=1
	v_and_b32_e32 v51, 7, v51
	v_lshrrev_b32_e32 v60, 3, v112
	s_mov_b32 s41, exec_lo
	v_cmpx_gt_u32_e32 8, v112
; %bb.335:                              ;   in Loop: Header=BB224_11 Depth=1
	s_delay_alu instid0(VALU_DEP_3) | instskip(NEXT) | instid1(VALU_DEP_1)
	v_clz_i32_u32_e32 v60, v51
	v_min_u32_e32 v60, 32, v60
	s_delay_alu instid0(VALU_DEP_1) | instskip(SKIP_1) | instid1(VALU_DEP_2)
	v_subrev_nc_u32_e32 v110, 28, v60
	v_sub_nc_u32_e32 v60, 29, v60
	v_lshlrev_b64 v[112:113], v110, v[51:52]
	s_delay_alu instid0(VALU_DEP_1)
	v_and_b32_e32 v51, 7, v112
; %bb.336:                              ;   in Loop: Header=BB224_11 Depth=1
	s_or_b32 exec_lo, exec_lo, s41
	v_lshlrev_b32_e32 v59, 24, v59
	s_delay_alu instid0(VALU_DEP_2) | instskip(SKIP_1) | instid1(VALU_DEP_3)
	v_lshlrev_b32_e32 v51, 20, v51
	v_lshl_add_u32 v60, v60, 23, 0x3c000000
	v_and_b32_e32 v59, 0x80000000, v59
	s_delay_alu instid0(VALU_DEP_1)
	v_or3_b32 v110, v51, v59, v60
.LBB224_337:                            ;   in Loop: Header=BB224_11 Depth=1
	s_or_b32 exec_lo, exec_lo, s40
.LBB224_338:                            ;   in Loop: Header=BB224_11 Depth=1
	s_delay_alu instid0(SALU_CYCLE_1)
	s_or_b32 exec_lo, exec_lo, s21
.LBB224_339:                            ;   in Loop: Header=BB224_11 Depth=1
	s_delay_alu instid0(SALU_CYCLE_1)
	s_or_b32 exec_lo, exec_lo, s3
	global_load_u8 v59, v[57:58], off offset:1284
	v_dual_mov_b32 v112, 0 :: v_dual_mov_b32 v113, 0
	s_mov_b32 s3, exec_lo
	s_waitcnt vmcnt(0)
	v_cmpx_ne_u16_e32 0, v59
	s_cbranch_execz .LBB224_347
; %bb.340:                              ;   in Loop: Header=BB224_11 Depth=1
	v_bfrev_b32_e32 v113, 1
	s_mov_b32 s21, exec_lo
	v_cmpx_ne_u16_e32 0x80, v59
	s_cbranch_execz .LBB224_346
; %bb.341:                              ;   in Loop: Header=BB224_11 Depth=1
	v_and_b32_e32 v51, 0xffff, v59
	v_mov_b32_e32 v113, 0x7f800001
	s_mov_b32 s40, exec_lo
	s_delay_alu instid0(VALU_DEP_2) | instskip(NEXT) | instid1(VALU_DEP_1)
	v_and_b32_e32 v114, 0x7f, v51
	v_cmpx_ne_u32_e32 0x7f, v114
	s_cbranch_execz .LBB224_345
; %bb.342:                              ;   in Loop: Header=BB224_11 Depth=1
	v_and_b32_e32 v51, 7, v51
	v_lshrrev_b32_e32 v60, 3, v114
	s_mov_b32 s41, exec_lo
	v_cmpx_gt_u32_e32 8, v114
; %bb.343:                              ;   in Loop: Header=BB224_11 Depth=1
	s_delay_alu instid0(VALU_DEP_3) | instskip(NEXT) | instid1(VALU_DEP_1)
	v_clz_i32_u32_e32 v60, v51
	v_min_u32_e32 v60, 32, v60
	s_delay_alu instid0(VALU_DEP_1) | instskip(SKIP_1) | instid1(VALU_DEP_2)
	v_subrev_nc_u32_e32 v113, 28, v60
	v_sub_nc_u32_e32 v60, 29, v60
	v_lshlrev_b64 v[113:114], v113, v[51:52]
	s_delay_alu instid0(VALU_DEP_1)
	v_and_b32_e32 v51, 7, v113
; %bb.344:                              ;   in Loop: Header=BB224_11 Depth=1
	s_or_b32 exec_lo, exec_lo, s41
	v_lshlrev_b32_e32 v59, 24, v59
	s_delay_alu instid0(VALU_DEP_2) | instskip(SKIP_1) | instid1(VALU_DEP_3)
	v_lshlrev_b32_e32 v51, 20, v51
	v_lshl_add_u32 v60, v60, 23, 0x3c000000
	v_and_b32_e32 v59, 0x80000000, v59
	s_delay_alu instid0(VALU_DEP_1)
	v_or3_b32 v113, v51, v59, v60
.LBB224_345:                            ;   in Loop: Header=BB224_11 Depth=1
	s_or_b32 exec_lo, exec_lo, s40
.LBB224_346:                            ;   in Loop: Header=BB224_11 Depth=1
	s_delay_alu instid0(SALU_CYCLE_1)
	s_or_b32 exec_lo, exec_lo, s21
.LBB224_347:                            ;   in Loop: Header=BB224_11 Depth=1
	s_delay_alu instid0(SALU_CYCLE_1) | instskip(SKIP_1) | instid1(VALU_DEP_1)
	s_or_b32 exec_lo, exec_lo, s3
	v_add_co_u32 v59, s1, 0x500, v57
	v_add_co_ci_u32_e64 v60, s1, 0, v58, s1
	s_mov_b32 s3, exec_lo
	global_load_u8 v114, v[59:60], off offset:8
	s_waitcnt vmcnt(0)
	v_cmpx_ne_u16_e32 0, v114
	s_cbranch_execz .LBB224_355
; %bb.348:                              ;   in Loop: Header=BB224_11 Depth=1
	v_bfrev_b32_e32 v112, 1
	s_mov_b32 s21, exec_lo
	v_cmpx_ne_u16_e32 0x80, v114
	s_cbranch_execz .LBB224_354
; %bb.349:                              ;   in Loop: Header=BB224_11 Depth=1
	v_and_b32_e32 v51, 0xffff, v114
	v_mov_b32_e32 v112, 0x7f800001
	s_mov_b32 s40, exec_lo
	s_delay_alu instid0(VALU_DEP_2) | instskip(NEXT) | instid1(VALU_DEP_1)
	v_and_b32_e32 v115, 0x7f, v51
	v_cmpx_ne_u32_e32 0x7f, v115
	s_cbranch_execz .LBB224_353
; %bb.350:                              ;   in Loop: Header=BB224_11 Depth=1
	v_and_b32_e32 v51, 7, v51
	v_lshrrev_b32_e32 v112, 3, v115
	s_mov_b32 s41, exec_lo
	v_cmpx_gt_u32_e32 8, v115
; %bb.351:                              ;   in Loop: Header=BB224_11 Depth=1
	s_delay_alu instid0(VALU_DEP_3) | instskip(NEXT) | instid1(VALU_DEP_1)
	v_clz_i32_u32_e32 v112, v51
	v_min_u32_e32 v112, 32, v112
	s_delay_alu instid0(VALU_DEP_1) | instskip(SKIP_1) | instid1(VALU_DEP_2)
	v_subrev_nc_u32_e32 v115, 28, v112
	v_sub_nc_u32_e32 v112, 29, v112
	v_lshlrev_b64 v[115:116], v115, v[51:52]
	s_delay_alu instid0(VALU_DEP_1)
	v_and_b32_e32 v51, 7, v115
; %bb.352:                              ;   in Loop: Header=BB224_11 Depth=1
	s_or_b32 exec_lo, exec_lo, s41
	v_lshlrev_b32_e32 v114, 24, v114
	s_delay_alu instid0(VALU_DEP_2) | instskip(SKIP_1) | instid1(VALU_DEP_3)
	v_lshlrev_b32_e32 v51, 20, v51
	v_lshl_add_u32 v112, v112, 23, 0x3c000000
	v_and_b32_e32 v114, 0x80000000, v114
	s_delay_alu instid0(VALU_DEP_1)
	v_or3_b32 v112, v51, v114, v112
.LBB224_353:                            ;   in Loop: Header=BB224_11 Depth=1
	s_or_b32 exec_lo, exec_lo, s40
.LBB224_354:                            ;   in Loop: Header=BB224_11 Depth=1
	s_delay_alu instid0(SALU_CYCLE_1)
	s_or_b32 exec_lo, exec_lo, s21
.LBB224_355:                            ;   in Loop: Header=BB224_11 Depth=1
	s_delay_alu instid0(SALU_CYCLE_1)
	s_or_b32 exec_lo, exec_lo, s3
	global_load_u8 v114, v[59:60], off offset:12
	v_dual_mov_b32 v59, 0 :: v_dual_mov_b32 v60, 0
	s_mov_b32 s3, exec_lo
	s_waitcnt vmcnt(0)
	v_cmpx_ne_u16_e32 0, v114
	s_cbranch_execz .LBB224_363
; %bb.356:                              ;   in Loop: Header=BB224_11 Depth=1
	v_bfrev_b32_e32 v60, 1
	s_mov_b32 s21, exec_lo
	v_cmpx_ne_u16_e32 0x80, v114
	s_cbranch_execz .LBB224_362
; %bb.357:                              ;   in Loop: Header=BB224_11 Depth=1
	v_and_b32_e32 v51, 0xffff, v114
	v_mov_b32_e32 v60, 0x7f800001
	s_mov_b32 s40, exec_lo
	s_delay_alu instid0(VALU_DEP_2) | instskip(NEXT) | instid1(VALU_DEP_1)
	v_and_b32_e32 v115, 0x7f, v51
	v_cmpx_ne_u32_e32 0x7f, v115
	s_cbranch_execz .LBB224_361
; %bb.358:                              ;   in Loop: Header=BB224_11 Depth=1
	v_and_b32_e32 v51, 7, v51
	v_lshrrev_b32_e32 v60, 3, v115
	s_mov_b32 s41, exec_lo
	v_cmpx_gt_u32_e32 8, v115
; %bb.359:                              ;   in Loop: Header=BB224_11 Depth=1
	s_delay_alu instid0(VALU_DEP_3) | instskip(NEXT) | instid1(VALU_DEP_1)
	v_clz_i32_u32_e32 v60, v51
	v_min_u32_e32 v60, 32, v60
	s_delay_alu instid0(VALU_DEP_1) | instskip(SKIP_1) | instid1(VALU_DEP_2)
	v_subrev_nc_u32_e32 v115, 28, v60
	v_sub_nc_u32_e32 v60, 29, v60
	v_lshlrev_b64 v[115:116], v115, v[51:52]
	s_delay_alu instid0(VALU_DEP_1)
	v_and_b32_e32 v51, 7, v115
; %bb.360:                              ;   in Loop: Header=BB224_11 Depth=1
	s_or_b32 exec_lo, exec_lo, s41
	v_lshlrev_b32_e32 v114, 24, v114
	s_delay_alu instid0(VALU_DEP_2) | instskip(SKIP_1) | instid1(VALU_DEP_3)
	v_lshlrev_b32_e32 v51, 20, v51
	v_lshl_add_u32 v60, v60, 23, 0x3c000000
	v_and_b32_e32 v114, 0x80000000, v114
	s_delay_alu instid0(VALU_DEP_1)
	v_or3_b32 v60, v51, v114, v60
.LBB224_361:                            ;   in Loop: Header=BB224_11 Depth=1
	s_or_b32 exec_lo, exec_lo, s40
.LBB224_362:                            ;   in Loop: Header=BB224_11 Depth=1
	s_delay_alu instid0(SALU_CYCLE_1)
	s_or_b32 exec_lo, exec_lo, s21
.LBB224_363:                            ;   in Loop: Header=BB224_11 Depth=1
	s_delay_alu instid0(SALU_CYCLE_1)
	s_or_b32 exec_lo, exec_lo, s3
	global_load_u8 v114, v[57:58], off offset:1408
	s_mov_b32 s3, exec_lo
	s_waitcnt vmcnt(0)
	v_cmpx_ne_u16_e32 0, v114
	s_cbranch_execz .LBB224_371
; %bb.364:                              ;   in Loop: Header=BB224_11 Depth=1
	v_bfrev_b32_e32 v59, 1
	s_mov_b32 s21, exec_lo
	v_cmpx_ne_u16_e32 0x80, v114
	s_cbranch_execz .LBB224_370
; %bb.365:                              ;   in Loop: Header=BB224_11 Depth=1
	v_and_b32_e32 v51, 0xffff, v114
	v_mov_b32_e32 v59, 0x7f800001
	s_mov_b32 s40, exec_lo
	s_delay_alu instid0(VALU_DEP_2) | instskip(NEXT) | instid1(VALU_DEP_1)
	v_and_b32_e32 v115, 0x7f, v51
	v_cmpx_ne_u32_e32 0x7f, v115
	s_cbranch_execz .LBB224_369
; %bb.366:                              ;   in Loop: Header=BB224_11 Depth=1
	v_and_b32_e32 v51, 7, v51
	v_lshrrev_b32_e32 v59, 3, v115
	s_mov_b32 s41, exec_lo
	v_cmpx_gt_u32_e32 8, v115
; %bb.367:                              ;   in Loop: Header=BB224_11 Depth=1
	s_delay_alu instid0(VALU_DEP_3) | instskip(NEXT) | instid1(VALU_DEP_1)
	v_clz_i32_u32_e32 v59, v51
	v_min_u32_e32 v59, 32, v59
	s_delay_alu instid0(VALU_DEP_1) | instskip(SKIP_1) | instid1(VALU_DEP_2)
	v_subrev_nc_u32_e32 v115, 28, v59
	v_sub_nc_u32_e32 v59, 29, v59
	v_lshlrev_b64 v[115:116], v115, v[51:52]
	s_delay_alu instid0(VALU_DEP_1)
	v_and_b32_e32 v51, 7, v115
; %bb.368:                              ;   in Loop: Header=BB224_11 Depth=1
	s_or_b32 exec_lo, exec_lo, s41
	v_lshlrev_b32_e32 v114, 24, v114
	s_delay_alu instid0(VALU_DEP_2) | instskip(SKIP_1) | instid1(VALU_DEP_3)
	v_lshlrev_b32_e32 v51, 20, v51
	v_lshl_add_u32 v59, v59, 23, 0x3c000000
	v_and_b32_e32 v114, 0x80000000, v114
	s_delay_alu instid0(VALU_DEP_1)
	v_or3_b32 v59, v51, v114, v59
.LBB224_369:                            ;   in Loop: Header=BB224_11 Depth=1
	s_or_b32 exec_lo, exec_lo, s40
.LBB224_370:                            ;   in Loop: Header=BB224_11 Depth=1
	s_delay_alu instid0(SALU_CYCLE_1)
	s_or_b32 exec_lo, exec_lo, s21
.LBB224_371:                            ;   in Loop: Header=BB224_11 Depth=1
	s_delay_alu instid0(SALU_CYCLE_1)
	s_or_b32 exec_lo, exec_lo, s3
	global_load_u8 v116, v[57:58], off offset:1412
	v_dual_mov_b32 v114, 0 :: v_dual_mov_b32 v115, 0
	s_mov_b32 s3, exec_lo
	s_waitcnt vmcnt(0)
	v_cmpx_ne_u16_e32 0, v116
	s_cbranch_execz .LBB224_379
; %bb.372:                              ;   in Loop: Header=BB224_11 Depth=1
	v_bfrev_b32_e32 v115, 1
	s_mov_b32 s21, exec_lo
	v_cmpx_ne_u16_e32 0x80, v116
	s_cbranch_execz .LBB224_378
; %bb.373:                              ;   in Loop: Header=BB224_11 Depth=1
	v_and_b32_e32 v51, 0xffff, v116
	v_mov_b32_e32 v115, 0x7f800001
	s_mov_b32 s40, exec_lo
	s_delay_alu instid0(VALU_DEP_2) | instskip(NEXT) | instid1(VALU_DEP_1)
	v_and_b32_e32 v117, 0x7f, v51
	v_cmpx_ne_u32_e32 0x7f, v117
	s_cbranch_execz .LBB224_377
; %bb.374:                              ;   in Loop: Header=BB224_11 Depth=1
	v_and_b32_e32 v51, 7, v51
	v_lshrrev_b32_e32 v115, 3, v117
	s_mov_b32 s41, exec_lo
	v_cmpx_gt_u32_e32 8, v117
; %bb.375:                              ;   in Loop: Header=BB224_11 Depth=1
	s_delay_alu instid0(VALU_DEP_3) | instskip(NEXT) | instid1(VALU_DEP_1)
	v_clz_i32_u32_e32 v115, v51
	v_min_u32_e32 v115, 32, v115
	s_delay_alu instid0(VALU_DEP_1) | instskip(SKIP_1) | instid1(VALU_DEP_2)
	v_subrev_nc_u32_e32 v117, 28, v115
	v_sub_nc_u32_e32 v115, 29, v115
	v_lshlrev_b64 v[117:118], v117, v[51:52]
	s_delay_alu instid0(VALU_DEP_1)
	v_and_b32_e32 v51, 7, v117
; %bb.376:                              ;   in Loop: Header=BB224_11 Depth=1
	s_or_b32 exec_lo, exec_lo, s41
	v_lshlrev_b32_e32 v116, 24, v116
	s_delay_alu instid0(VALU_DEP_2) | instskip(SKIP_1) | instid1(VALU_DEP_3)
	v_lshlrev_b32_e32 v51, 20, v51
	v_lshl_add_u32 v115, v115, 23, 0x3c000000
	v_and_b32_e32 v116, 0x80000000, v116
	s_delay_alu instid0(VALU_DEP_1)
	v_or3_b32 v115, v51, v116, v115
.LBB224_377:                            ;   in Loop: Header=BB224_11 Depth=1
	s_or_b32 exec_lo, exec_lo, s40
.LBB224_378:                            ;   in Loop: Header=BB224_11 Depth=1
	s_delay_alu instid0(SALU_CYCLE_1)
	s_or_b32 exec_lo, exec_lo, s21
.LBB224_379:                            ;   in Loop: Header=BB224_11 Depth=1
	s_delay_alu instid0(SALU_CYCLE_1) | instskip(SKIP_1) | instid1(VALU_DEP_1)
	s_or_b32 exec_lo, exec_lo, s3
	v_add_co_u32 v57, s1, 0x580, v57
	v_add_co_ci_u32_e64 v58, s1, 0, v58, s1
	s_mov_b32 s3, exec_lo
	global_load_u8 v116, v[57:58], off offset:8
	s_waitcnt vmcnt(0)
	v_cmpx_ne_u16_e32 0, v116
	s_cbranch_execz .LBB224_387
; %bb.380:                              ;   in Loop: Header=BB224_11 Depth=1
	v_bfrev_b32_e32 v114, 1
	s_mov_b32 s21, exec_lo
	v_cmpx_ne_u16_e32 0x80, v116
	s_cbranch_execz .LBB224_386
; %bb.381:                              ;   in Loop: Header=BB224_11 Depth=1
	v_and_b32_e32 v51, 0xffff, v116
	v_mov_b32_e32 v114, 0x7f800001
	s_mov_b32 s40, exec_lo
	s_delay_alu instid0(VALU_DEP_2) | instskip(NEXT) | instid1(VALU_DEP_1)
	v_and_b32_e32 v117, 0x7f, v51
	v_cmpx_ne_u32_e32 0x7f, v117
	s_cbranch_execz .LBB224_385
; %bb.382:                              ;   in Loop: Header=BB224_11 Depth=1
	v_and_b32_e32 v51, 7, v51
	v_lshrrev_b32_e32 v114, 3, v117
	s_mov_b32 s41, exec_lo
	v_cmpx_gt_u32_e32 8, v117
; %bb.383:                              ;   in Loop: Header=BB224_11 Depth=1
	s_delay_alu instid0(VALU_DEP_3) | instskip(NEXT) | instid1(VALU_DEP_1)
	v_clz_i32_u32_e32 v114, v51
	v_min_u32_e32 v114, 32, v114
	s_delay_alu instid0(VALU_DEP_1) | instskip(SKIP_1) | instid1(VALU_DEP_2)
	v_subrev_nc_u32_e32 v117, 28, v114
	v_sub_nc_u32_e32 v114, 29, v114
	v_lshlrev_b64 v[117:118], v117, v[51:52]
	s_delay_alu instid0(VALU_DEP_1)
	v_and_b32_e32 v51, 7, v117
; %bb.384:                              ;   in Loop: Header=BB224_11 Depth=1
	s_or_b32 exec_lo, exec_lo, s41
	v_lshlrev_b32_e32 v116, 24, v116
	s_delay_alu instid0(VALU_DEP_2) | instskip(SKIP_1) | instid1(VALU_DEP_3)
	v_lshlrev_b32_e32 v51, 20, v51
	v_lshl_add_u32 v114, v114, 23, 0x3c000000
	v_and_b32_e32 v116, 0x80000000, v116
	s_delay_alu instid0(VALU_DEP_1)
	v_or3_b32 v114, v51, v116, v114
.LBB224_385:                            ;   in Loop: Header=BB224_11 Depth=1
	s_or_b32 exec_lo, exec_lo, s40
.LBB224_386:                            ;   in Loop: Header=BB224_11 Depth=1
	s_delay_alu instid0(SALU_CYCLE_1)
	s_or_b32 exec_lo, exec_lo, s21
.LBB224_387:                            ;   in Loop: Header=BB224_11 Depth=1
	s_delay_alu instid0(SALU_CYCLE_1)
	s_or_b32 exec_lo, exec_lo, s3
	global_load_u8 v57, v[57:58], off offset:12
	v_mov_b32_e32 v51, 0
	s_mov_b32 s3, exec_lo
	s_waitcnt vmcnt(0)
	v_cmpx_ne_u16_e32 0, v57
	s_cbranch_execz .LBB224_395
; %bb.388:                              ;   in Loop: Header=BB224_11 Depth=1
	v_bfrev_b32_e32 v51, 1
	s_mov_b32 s21, exec_lo
	v_cmpx_ne_u16_e32 0x80, v57
	s_cbranch_execz .LBB224_394
; %bb.389:                              ;   in Loop: Header=BB224_11 Depth=1
	v_and_b32_e32 v58, 0xffff, v57
	v_mov_b32_e32 v51, 0x7f800001
	s_mov_b32 s40, exec_lo
	s_delay_alu instid0(VALU_DEP_2) | instskip(NEXT) | instid1(VALU_DEP_1)
	v_and_b32_e32 v116, 0x7f, v58
	v_cmpx_ne_u32_e32 0x7f, v116
	s_cbranch_execz .LBB224_393
; %bb.390:                              ;   in Loop: Header=BB224_11 Depth=1
	v_and_b32_e32 v51, 7, v58
	v_lshrrev_b32_e32 v58, 3, v116
	s_mov_b32 s41, exec_lo
	v_cmpx_gt_u32_e32 8, v116
; %bb.391:                              ;   in Loop: Header=BB224_11 Depth=1
	s_delay_alu instid0(VALU_DEP_3) | instskip(NEXT) | instid1(VALU_DEP_1)
	v_clz_i32_u32_e32 v58, v51
	v_min_u32_e32 v58, 32, v58
	s_delay_alu instid0(VALU_DEP_1) | instskip(SKIP_1) | instid1(VALU_DEP_2)
	v_subrev_nc_u32_e32 v116, 28, v58
	v_sub_nc_u32_e32 v58, 29, v58
	v_lshlrev_b64 v[116:117], v116, v[51:52]
	s_delay_alu instid0(VALU_DEP_1)
	v_and_b32_e32 v51, 7, v116
; %bb.392:                              ;   in Loop: Header=BB224_11 Depth=1
	s_or_b32 exec_lo, exec_lo, s41
	v_lshlrev_b32_e32 v57, 24, v57
	s_delay_alu instid0(VALU_DEP_2) | instskip(SKIP_1) | instid1(VALU_DEP_3)
	v_lshlrev_b32_e32 v51, 20, v51
	v_lshl_add_u32 v58, v58, 23, 0x3c000000
	v_and_b32_e32 v57, 0x80000000, v57
	s_delay_alu instid0(VALU_DEP_1)
	v_or3_b32 v51, v51, v57, v58
.LBB224_393:                            ;   in Loop: Header=BB224_11 Depth=1
	s_or_b32 exec_lo, exec_lo, s40
.LBB224_394:                            ;   in Loop: Header=BB224_11 Depth=1
	s_delay_alu instid0(SALU_CYCLE_1)
	s_or_b32 exec_lo, exec_lo, s21
.LBB224_395:                            ;   in Loop: Header=BB224_11 Depth=1
	s_delay_alu instid0(SALU_CYCLE_1)
	s_or_b32 exec_lo, exec_lo, s3
	s_waitcnt lgkmcnt(0)
	v_dual_mul_f32 v57, s4, v73 :: v_dual_mul_f32 v58, s4, v71
	v_mul_f32_e32 v71, s4, v72
	v_mul_f32_e32 v59, s4, v59
	;; [unrolled: 1-line block ×3, first 2 shown]
	s_delay_alu instid0(VALU_DEP_4) | instskip(NEXT) | instid1(VALU_DEP_1)
	v_mul_f32_e32 v57, v2, v57
	v_dual_fmac_f32 v57, v1, v58 :: v_dual_mul_f32 v58, s4, v75
	s_delay_alu instid0(VALU_DEP_1) | instskip(SKIP_1) | instid1(VALU_DEP_2)
	v_fmac_f32_e32 v57, v3, v71
	v_mul_f32_e32 v71, s4, v74
	v_dual_fmac_f32 v57, v4, v58 :: v_dual_mul_f32 v58, s4, v77
	s_delay_alu instid0(VALU_DEP_1) | instskip(SKIP_1) | instid1(VALU_DEP_2)
	v_fmac_f32_e32 v57, v5, v71
	;; [unrolled: 4-line block ×20, first 2 shown]
	v_mul_f32_e32 v71, s4, v112
	v_dual_fmac_f32 v57, v42, v58 :: v_dual_mul_f32 v58, s4, v60
	s_delay_alu instid0(VALU_DEP_1) | instskip(NEXT) | instid1(VALU_DEP_1)
	v_fmac_f32_e32 v57, v43, v71
	v_dual_fmac_f32 v57, v44, v58 :: v_dual_mul_f32 v58, s4, v115
	s_delay_alu instid0(VALU_DEP_1) | instskip(SKIP_1) | instid1(VALU_DEP_2)
	v_fmac_f32_e32 v57, v45, v59
	v_mul_f32_e32 v59, s4, v114
	v_fmac_f32_e32 v57, v46, v58
	s_delay_alu instid0(VALU_DEP_1) | instskip(NEXT) | instid1(VALU_DEP_1)
	v_fmac_f32_e32 v57, v47, v59
	v_fmac_f32_e32 v57, v48, v51
	ds_bpermute_b32 v51, v66, v57
	s_waitcnt lgkmcnt(0)
	v_add_f32_e32 v51, v57, v51
	ds_bpermute_b32 v57, v67, v51
	s_and_saveexec_b32 s3, vcc_lo
	s_cbranch_execz .LBB224_10
; %bb.396:                              ;   in Loop: Header=BB224_11 Depth=1
	s_waitcnt lgkmcnt(0)
	v_dual_add_f32 v51, v51, v57 :: v_dual_add_nc_u32 v58, s5, v68
	v_cmp_gt_i32_e64 s1, s33, v68
	s_delay_alu instid0(VALU_DEP_2) | instskip(NEXT) | instid1(VALU_DEP_1)
	v_cvt_f32_i32_e32 v58, v58
	v_mul_f32_e32 v58, s36, v58
	s_delay_alu instid0(VALU_DEP_1) | instskip(NEXT) | instid1(VALU_DEP_1)
	v_cndmask_b32_e64 v57, 0, v58, s0
	v_dual_max_f32 v58, v65, v65 :: v_dual_fmac_f32 v57, s37, v51
	s_delay_alu instid0(VALU_DEP_1) | instskip(SKIP_1) | instid1(VALU_DEP_2)
	v_max_f32_e32 v51, v58, v57
	v_cndmask_b32_e64 v57, 0, v57, s1
	v_cndmask_b32_e64 v65, v65, v51, s1
	ds_store_b32 v69, v57
	s_branch .LBB224_10
.LBB224_397:
	s_or_b32 exec_lo, exec_lo, s10
.LBB224_398:
	s_delay_alu instid0(SALU_CYCLE_1) | instskip(SKIP_4) | instid1(VALU_DEP_4)
	s_or_b32 exec_lo, exec_lo, s39
	v_xor_b32_e32 v1, 16, v63
	v_xor_b32_e32 v3, 8, v63
	v_max_f32_e32 v5, v65, v65
	v_and_b32_e32 v21, 31, v0
	v_cmp_lt_i32_e32 vcc_lo, v1, v64
	v_cndmask_b32_e32 v1, v63, v1, vcc_lo
	v_cmp_lt_i32_e32 vcc_lo, v3, v64
	v_cndmask_b32_e32 v3, v63, v3, vcc_lo
	s_delay_alu instid0(VALU_DEP_1) | instskip(NEXT) | instid1(VALU_DEP_4)
	v_lshlrev_b32_e32 v4, 2, v3
	v_lshlrev_b32_e32 v2, 2, v1
	ds_bpermute_b32 v1, v2, v65
	s_waitcnt lgkmcnt(0)
	v_max_f32_e32 v1, v1, v1
	s_delay_alu instid0(VALU_DEP_1)
	v_max_f32_e32 v1, v5, v1
	v_xor_b32_e32 v5, 4, v63
	ds_bpermute_b32 v3, v4, v1
	v_cmp_lt_i32_e32 vcc_lo, v5, v64
	v_cndmask_b32_e32 v5, v63, v5, vcc_lo
	v_cmp_eq_u32_e32 vcc_lo, 0, v21
	s_delay_alu instid0(VALU_DEP_2) | instskip(SKIP_3) | instid1(VALU_DEP_1)
	v_lshlrev_b32_e32 v7, 2, v5
	v_lshlrev_b32_e32 v5, 2, v61
	s_waitcnt lgkmcnt(0)
	v_max_f32_e32 v3, v3, v3
	v_max_f32_e32 v1, v1, v3
	ds_bpermute_b32 v3, v7, v1
	s_and_saveexec_b32 s0, vcc_lo
	s_cbranch_execz .LBB224_400
; %bb.399:
	s_waitcnt lgkmcnt(0)
	v_max_f32_e32 v3, v3, v3
	v_max_f32_e32 v1, v1, v1
	s_delay_alu instid0(VALU_DEP_1)
	v_max_f32_e32 v1, v1, v3
	ds_store_b32 v5, v1 offset:768
.LBB224_400:
	s_or_b32 exec_lo, exec_lo, s0
	v_cmp_gt_u32_e64 s0, 4, v21
	v_dual_mov_b32 v1, 0xff7fffff :: v_dual_lshlrev_b32 v6, 2, v21
	s_waitcnt lgkmcnt(0)
	s_barrier
	buffer_gl0_inv
	s_and_saveexec_b32 s1, s0
	s_cbranch_execz .LBB224_402
; %bb.401:
	ds_load_b32 v1, v6 offset:768
.LBB224_402:
	s_or_b32 exec_lo, exec_lo, s1
	v_xor_b32_e32 v3, 2, v63
	v_xor_b32_e32 v9, 1, v63
	v_mov_b32_e32 v10, 0
	s_delay_alu instid0(VALU_DEP_3) | instskip(NEXT) | instid1(VALU_DEP_1)
	v_cmp_lt_i32_e64 s1, v3, v64
	v_cndmask_b32_e64 v3, v63, v3, s1
	s_delay_alu instid0(VALU_DEP_4) | instskip(NEXT) | instid1(VALU_DEP_2)
	v_cmp_lt_i32_e64 s1, v9, v64
	v_lshlrev_b32_e32 v8, 2, v3
	s_delay_alu instid0(VALU_DEP_2) | instskip(SKIP_1) | instid1(SALU_CYCLE_1)
	v_cndmask_b32_e64 v9, v63, v9, s1
	s_sub_i32 s1, s11, s8
	s_lshl_b32 s1, s1, 3
	s_waitcnt lgkmcnt(0)
	ds_bpermute_b32 v3, v8, v1
	v_max_f32_e32 v1, v1, v1
	v_lshlrev_b32_e32 v22, 2, v9
	v_lshlrev_b32_e32 v9, 2, v63
	s_add_i32 s1, s1, s38
	s_delay_alu instid0(SALU_CYCLE_1) | instskip(NEXT) | instid1(VALU_DEP_1)
	s_min_i32 s1, s1, s33
	v_and_b32_e32 v9, 0xffffff80, v9
	s_sub_i32 s4, s1, s38
	s_delay_alu instid0(SALU_CYCLE_1) | instskip(SKIP_2) | instid1(VALU_DEP_1)
	v_cmp_gt_i32_e64 s1, s4, v0
	s_waitcnt lgkmcnt(0)
	v_max_f32_e32 v3, v3, v3
	v_max_f32_e32 v1, v1, v3
	ds_bpermute_b32 v3, v22, v1
	s_waitcnt lgkmcnt(0)
	v_max_f32_e32 v3, v3, v3
	s_delay_alu instid0(VALU_DEP_1)
	v_max_f32_e32 v1, v1, v3
	v_lshl_add_u32 v3, v0, 2, 0x320
	ds_bpermute_b32 v1, v9, v1
	s_and_saveexec_b32 s5, s1
	s_cbranch_execz .LBB224_406
; %bb.403:
	v_lshl_add_u32 v11, v0, 2, 0x320
	v_mov_b32_e32 v10, 0
	v_mov_b32_e32 v12, v0
	s_mov_b32 s8, 0
	.p2align	6
.LBB224_404:                            ; =>This Inner Loop Header: Depth=1
	ds_load_b32 v13, v11
	v_add_nc_u32_e32 v12, 0x80, v12
	s_delay_alu instid0(VALU_DEP_1) | instskip(NEXT) | instid1(VALU_DEP_1)
	v_cmp_le_i32_e64 s3, s4, v12
	s_or_b32 s8, s3, s8
	s_waitcnt lgkmcnt(0)
	v_sub_f32_e32 v13, v13, v1
	s_delay_alu instid0(VALU_DEP_1) | instskip(NEXT) | instid1(VALU_DEP_1)
	v_mul_f32_e32 v13, 0x3fb8aa3b, v13
	v_exp_f32_e32 v13, v13
	ds_store_b32 v11, v13
	v_dual_add_f32 v10, v10, v13 :: v_dual_add_nc_u32 v11, 0x200, v11
	s_and_not1_b32 exec_lo, exec_lo, s8
	s_cbranch_execnz .LBB224_404
; %bb.405:
	s_or_b32 exec_lo, exec_lo, s8
.LBB224_406:
	s_delay_alu instid0(SALU_CYCLE_1)
	s_or_b32 exec_lo, exec_lo, s5
	ds_bpermute_b32 v2, v2, v10
	s_waitcnt lgkmcnt(0)
	v_add_f32_e32 v2, v10, v2
	ds_bpermute_b32 v4, v4, v2
	s_waitcnt lgkmcnt(0)
	v_add_f32_e32 v2, v2, v4
	;; [unrolled: 3-line block ×5, first 2 shown]
	s_and_saveexec_b32 s3, vcc_lo
	s_cbranch_execz .LBB224_408
; %bb.407:
	ds_store_b32 v5, v2 offset:784
.LBB224_408:
	s_or_b32 exec_lo, exec_lo, s3
	s_waitcnt lgkmcnt(0)
	s_barrier
	buffer_gl0_inv
	s_and_saveexec_b32 s3, s0
	s_cbranch_execz .LBB224_410
; %bb.409:
	ds_load_b32 v2, v6 offset:784
.LBB224_410:
	s_or_b32 exec_lo, exec_lo, s3
	s_waitcnt lgkmcnt(0)
	ds_bpermute_b32 v4, v8, v2
	s_waitcnt lgkmcnt(0)
	v_add_f32_e32 v2, v2, v4
	ds_bpermute_b32 v4, v22, v2
	s_waitcnt lgkmcnt(0)
	v_add_f32_e32 v2, v2, v4
	ds_bpermute_b32 v2, v9, v2
	s_and_saveexec_b32 s0, s1
	s_cbranch_execz .LBB224_413
; %bb.411:
	s_waitcnt lgkmcnt(0)
	v_add_f32_e32 v4, 0x358637bd, v2
	s_mov_b32 s1, 0
	s_delay_alu instid0(VALU_DEP_1) | instskip(SKIP_1) | instid1(VALU_DEP_2)
	v_div_scale_f32 v5, null, v4, v4, 1.0
	v_div_scale_f32 v8, vcc_lo, 1.0, v4, 1.0
	v_rcp_f32_e32 v6, v5
	s_waitcnt_depctr 0xfff
	v_fma_f32 v7, -v5, v6, 1.0
	s_delay_alu instid0(VALU_DEP_1) | instskip(NEXT) | instid1(VALU_DEP_1)
	v_fmac_f32_e32 v6, v7, v6
	v_mul_f32_e32 v7, v8, v6
	s_delay_alu instid0(VALU_DEP_1) | instskip(NEXT) | instid1(VALU_DEP_1)
	v_fma_f32 v9, -v5, v7, v8
	v_fmac_f32_e32 v7, v9, v6
	s_delay_alu instid0(VALU_DEP_1) | instskip(NEXT) | instid1(VALU_DEP_1)
	v_fma_f32 v5, -v5, v7, v8
	v_div_fmas_f32 v5, v5, v6, v7
	s_delay_alu instid0(VALU_DEP_1)
	v_div_fixup_f32 v4, v5, v4, 1.0
	v_mov_b32_e32 v5, v0
.LBB224_412:                            ; =>This Inner Loop Header: Depth=1
	ds_load_b32 v6, v3
	s_waitcnt lgkmcnt(0)
	v_dual_mul_f32 v6, v4, v6 :: v_dual_add_nc_u32 v5, 0x80, v5
	s_delay_alu instid0(VALU_DEP_1) | instskip(SKIP_3) | instid1(SALU_CYCLE_1)
	v_cmp_le_i32_e32 vcc_lo, s4, v5
	ds_store_b32 v3, v6
	v_add_nc_u32_e32 v3, 0x200, v3
	s_or_b32 s1, vcc_lo, s1
	s_and_not1_b32 exec_lo, exec_lo, s1
	s_cbranch_execnz .LBB224_412
.LBB224_413:
	s_or_b32 exec_lo, exec_lo, s0
	s_mul_i32 s0, s15, s14
	s_waitcnt lgkmcnt(0)
	s_mul_i32 s4, s0, s13
	s_mov_b32 s0, exec_lo
	s_barrier
	buffer_gl0_inv
	v_cmpx_eq_u32_e32 0, v0
	s_cbranch_execz .LBB224_415
; %bb.414:
	s_ashr_i32 s5, s4, 31
	s_mul_i32 s36, s15, s30
	s_lshl_b64 s[20:21], s[4:5], 2
	v_mov_b32_e32 v3, 0
	s_add_u32 s1, s18, s20
	s_addc_u32 s3, s19, s21
	s_ashr_i32 s37, s36, 31
	s_delay_alu instid0(SALU_CYCLE_1) | instskip(NEXT) | instid1(SALU_CYCLE_1)
	s_lshl_b64 s[18:19], s[36:37], 2
	s_add_u32 s1, s1, s18
	s_addc_u32 s3, s3, s19
	s_ashr_i32 s13, s12, 31
	s_delay_alu instid0(SALU_CYCLE_1) | instskip(NEXT) | instid1(SALU_CYCLE_1)
	s_lshl_b64 s[36:37], s[12:13], 2
	s_add_u32 s40, s1, s36
	s_addc_u32 s41, s3, s37
	s_add_u32 s1, s16, s20
	s_addc_u32 s3, s17, s21
	;; [unrolled: 2-line block ×4, first 2 shown]
	s_clause 0x1
	global_store_b32 v3, v1, s[40:41]
	global_store_b32 v3, v2, s[16:17]
.LBB224_415:
	s_or_b32 exec_lo, exec_lo, s0
	v_dual_mov_b32 v33, 0 :: v_dual_mov_b32 v34, 0
	v_dual_mov_b32 v32, 0 :: v_dual_and_b32 v23, 1, v0
	v_dual_mov_b32 v35, 0 :: v_dual_mov_b32 v30, 0
	v_dual_mov_b32 v31, 0 :: v_dual_mov_b32 v28, 0
	;; [unrolled: 1-line block ×4, first 2 shown]
	v_mov_b32_e32 v25, 0
	s_mov_b32 s8, 0
	s_and_saveexec_b32 s1, s2
	s_cbranch_execz .LBB224_827
; %bb.416:
	s_load_b32 s5, s[22:23], 0x0
	v_dual_mov_b32 v6, 0 :: v_dual_lshlrev_b32 v3, 2, v0
	v_dual_mov_b32 v24, 0 :: v_dual_lshlrev_b32 v5, 4, v23
	s_ashr_i32 s0, s31, 31
	s_delay_alu instid0(VALU_DEP_2)
	v_dual_mov_b32 v26, 0 :: v_dual_and_b32 v7, 0x7c, v3
	s_mov_b32 s10, s9
	v_lshlrev_b64 v[1:2], 2, v[49:50]
	s_add_u32 s9, s6, s31
	s_addc_u32 s0, s7, s0
	s_lshl_b64 s[2:3], s[34:35], 2
	v_add_co_u32 v7, s7, s9, v7
	v_lshl_add_u32 v4, v61, 3, s38
	s_add_i32 s6, s27, -1
	v_dual_mov_b32 v28, 0 :: v_dual_and_b32 v3, 4, v3
	v_lshl_or_b32 v5, v61, 5, v5
	v_add_co_ci_u32_e64 v8, null, s0, 0, s7
	s_add_u32 s0, s28, s2
	s_addc_u32 s2, s29, s3
	v_add_co_u32 v9, vcc_lo, s0, v1
	v_add3_u32 v36, v4, v3, 3
	v_dual_mov_b32 v30, 0 :: v_dual_add_nc_u32 v37, 0x320, v5
	v_add_co_ci_u32_e32 v10, vcc_lo, s2, v2, vcc_lo
	v_dual_mov_b32 v25, 0 :: v_dual_mov_b32 v32, 0
	v_dual_mov_b32 v27, 0 :: v_dual_mov_b32 v34, 0
	v_mov_b32_e32 v29, 0
	v_mov_b32_e32 v31, 0
	;; [unrolled: 1-line block ×4, first 2 shown]
	s_waitcnt lgkmcnt(0)
	s_mov_b32 s7, s5
	s_brev_b32 s9, 1
	s_mov_b32 s3, 0x7f800001
	s_mov_b32 s13, s8
	s_branch .LBB224_418
.LBB224_417:                            ;   in Loop: Header=BB224_418 Depth=1
	s_or_b32 exec_lo, exec_lo, s0
	s_waitcnt lgkmcnt(0)
	v_mul_f32_e32 v15, v2, v82
	v_mul_f32_e32 v14, v2, v84
	v_add_co_u32 v9, s0, v9, 16
	s_delay_alu instid0(VALU_DEP_3) | instskip(NEXT) | instid1(VALU_DEP_3)
	v_dual_fmac_f32 v15, v1, v81 :: v_dual_add_nc_u32 v36, 32, v36
	v_dual_fmac_f32 v14, v1, v83 :: v_dual_mul_f32 v17, v2, v74
	v_mul_f32_e32 v16, v2, v78
	v_add_co_ci_u32_e64 v10, s0, 0, v10, s0
	s_delay_alu instid0(VALU_DEP_4) | instskip(NEXT) | instid1(VALU_DEP_4)
	v_fmac_f32_e32 v15, v3, v80
	v_fmac_f32_e32 v14, v3, v20
	v_dual_mul_f32 v18, v2, v70 :: v_dual_fmac_f32 v17, v1, v73
	s_delay_alu instid0(VALU_DEP_3) | instskip(SKIP_1) | instid1(VALU_DEP_3)
	v_dual_mul_f32 v42, v2, v66 :: v_dual_fmac_f32 v15, v4, v79
	v_dual_mul_f32 v43, v2, v62 :: v_dual_fmac_f32 v16, v1, v77
	v_dual_fmac_f32 v18, v1, v69 :: v_dual_fmac_f32 v17, v3, v72
	s_delay_alu instid0(VALU_DEP_2) | instskip(NEXT) | instid1(VALU_DEP_4)
	v_dual_fmac_f32 v14, v4, v19 :: v_dual_fmac_f32 v43, v1, v60
	v_fmac_f32_e32 v42, v1, v65
	s_delay_alu instid0(VALU_DEP_3) | instskip(NEXT) | instid1(VALU_DEP_3)
	v_dual_fmac_f32 v18, v3, v68 :: v_dual_fmac_f32 v17, v4, v71
	v_dual_fmac_f32 v16, v3, v76 :: v_dual_add_f32 v25, v25, v14
	s_delay_alu instid0(VALU_DEP_4) | instskip(NEXT) | instid1(VALU_DEP_3)
	v_fmac_f32_e32 v43, v3, v59
	v_fmac_f32_e32 v18, v4, v67
	v_fmac_f32_e32 v42, v3, v64
	s_delay_alu instid0(VALU_DEP_4) | instskip(NEXT) | instid1(VALU_DEP_4)
	v_dual_fmac_f32 v16, v4, v75 :: v_dual_add_nc_u32 v49, 4, v49
	v_fmac_f32_e32 v43, v4, v58
	s_delay_alu instid0(VALU_DEP_4) | instskip(NEXT) | instid1(VALU_DEP_3)
	v_dual_add_f32 v29, v29, v18 :: v_dual_add_f32 v26, v26, v15
	v_add_f32_e32 v27, v27, v16
	v_dual_mul_f32 v15, v2, v53 :: v_dual_fmac_f32 v42, v4, v63
	s_delay_alu instid0(VALU_DEP_4) | instskip(NEXT) | instid1(VALU_DEP_2)
	v_dual_add_f32 v28, v28, v17 :: v_dual_add_f32 v31, v31, v43
	v_dual_mul_f32 v14, v2, v57 :: v_dual_fmac_f32 v15, v1, v52
	v_mul_f32_e32 v17, v2, v41
	s_delay_alu instid0(VALU_DEP_4) | instskip(SKIP_1) | instid1(VALU_DEP_4)
	v_add_f32_e32 v30, v30, v42
	v_dual_mul_f32 v16, v2, v48 :: v_dual_add_nc_u32 v37, 0x80, v37
	v_dual_fmac_f32 v15, v3, v51 :: v_dual_mul_f32 v2, v2, v13
	s_delay_alu instid0(VALU_DEP_4) | instskip(SKIP_2) | instid1(VALU_DEP_4)
	v_fmac_f32_e32 v17, v1, v40
	v_fmac_f32_e32 v14, v1, v56
	v_cmp_le_i32_e32 vcc_lo, s11, v49
	v_dual_fmac_f32 v15, v4, v50 :: v_dual_fmac_f32 v2, v1, v12
	s_delay_alu instid0(VALU_DEP_4) | instskip(SKIP_2) | instid1(VALU_DEP_4)
	v_fmac_f32_e32 v17, v3, v39
	v_fmac_f32_e32 v16, v1, v47
	;; [unrolled: 1-line block ×3, first 2 shown]
	v_add_f32_e32 v34, v34, v15
	s_delay_alu instid0(VALU_DEP_4) | instskip(NEXT) | instid1(VALU_DEP_4)
	v_dual_fmac_f32 v2, v3, v11 :: v_dual_fmac_f32 v17, v4, v38
	v_fmac_f32_e32 v16, v3, v46
	s_or_b32 s13, vcc_lo, s13
	s_delay_alu instid0(VALU_DEP_2) | instskip(NEXT) | instid1(VALU_DEP_3)
	v_fmac_f32_e32 v2, v4, v5
	v_add_f32_e32 v33, v33, v17
	s_delay_alu instid0(VALU_DEP_3) | instskip(SKIP_1) | instid1(VALU_DEP_2)
	v_fmac_f32_e32 v16, v4, v45
	v_fmac_f32_e32 v14, v4, v54
	v_dual_add_f32 v24, v24, v2 :: v_dual_add_f32 v35, v35, v16
	s_delay_alu instid0(VALU_DEP_2)
	v_add_f32_e32 v32, v32, v14
	s_and_not1_b32 exec_lo, exec_lo, s13
	s_cbranch_execz .LBB224_826
.LBB224_418:                            ; =>This Inner Loop Header: Depth=1
	global_load_b32 v1, v[9:10], off
	v_mov_b32_e32 v15, 0
	s_mov_b32 s0, exec_lo
	s_waitcnt vmcnt(0)
	v_mad_i64_i32 v[11:12], null, v1, s10, v[7:8]
	ds_load_b128 v[1:4], v37
	global_load_b32 v38, v[11:12], off
	s_waitcnt vmcnt(0)
	v_dual_mov_b32 v16, 0 :: v_dual_and_b32 v5, 0xff, v38
	s_delay_alu instid0(VALU_DEP_1) | instskip(NEXT) | instid1(VALU_DEP_2)
	v_dual_mov_b32 v13, v15 :: v_dual_mov_b32 v14, v16
	v_cmpx_ne_u16_e32 0, v5
	s_cbranch_execz .LBB224_426
; %bb.419:                              ;   in Loop: Header=BB224_418 Depth=1
	v_bfrev_b32_e32 v13, 1
	v_mov_b32_e32 v14, 0
	s_mov_b32 s2, exec_lo
	v_cmpx_ne_u16_e32 0x80, v5
	s_cbranch_execz .LBB224_425
; %bb.420:                              ;   in Loop: Header=BB224_418 Depth=1
	v_mov_b32_e32 v13, 0x7f800001
	v_dual_mov_b32 v14, 0 :: v_dual_and_b32 v17, 0x7f, v38
	s_mov_b32 s14, exec_lo
	s_delay_alu instid0(VALU_DEP_1)
	v_cmpx_ne_u32_e32 0x7f, v17
	s_cbranch_execz .LBB224_424
; %bb.421:                              ;   in Loop: Header=BB224_418 Depth=1
	v_and_b32_e32 v5, 7, v38
	v_lshrrev_b32_e32 v13, 3, v17
	s_mov_b32 s16, exec_lo
	v_cmpx_gt_u32_e32 8, v17
; %bb.422:                              ;   in Loop: Header=BB224_418 Depth=1
	s_delay_alu instid0(VALU_DEP_3) | instskip(NEXT) | instid1(VALU_DEP_1)
	v_clz_i32_u32_e32 v13, v5
	v_min_u32_e32 v13, 32, v13
	s_delay_alu instid0(VALU_DEP_1) | instskip(SKIP_1) | instid1(VALU_DEP_2)
	v_subrev_nc_u32_e32 v14, 28, v13
	v_sub_nc_u32_e32 v13, 29, v13
	v_lshlrev_b64 v[17:18], v14, v[5:6]
	s_delay_alu instid0(VALU_DEP_1)
	v_and_b32_e32 v5, 7, v17
; %bb.423:                              ;   in Loop: Header=BB224_418 Depth=1
	s_or_b32 exec_lo, exec_lo, s16
	v_lshlrev_b32_e32 v14, 24, v38
	s_delay_alu instid0(VALU_DEP_2) | instskip(SKIP_1) | instid1(VALU_DEP_3)
	v_lshlrev_b32_e32 v5, 20, v5
	v_lshl_add_u32 v13, v13, 23, 0x3c000000
	v_and_b32_e32 v14, 0x80000000, v14
	s_delay_alu instid0(VALU_DEP_1) | instskip(NEXT) | instid1(VALU_DEP_1)
	v_or3_b32 v5, v5, v14, v13
	v_dual_mov_b32 v14, v6 :: v_dual_mov_b32 v13, v5
.LBB224_424:                            ;   in Loop: Header=BB224_418 Depth=1
	s_or_b32 exec_lo, exec_lo, s14
.LBB224_425:                            ;   in Loop: Header=BB224_418 Depth=1
	s_delay_alu instid0(SALU_CYCLE_1)
	s_or_b32 exec_lo, exec_lo, s2
.LBB224_426:                            ;   in Loop: Header=BB224_418 Depth=1
	s_delay_alu instid0(SALU_CYCLE_1) | instskip(SKIP_2) | instid1(VALU_DEP_1)
	s_or_b32 exec_lo, exec_lo, s0
	v_lshrrev_b16 v5, 8, v38
	s_mov_b32 s0, exec_lo
	v_cmpx_ne_u16_e32 0, v5
	s_cbranch_execz .LBB224_434
; %bb.427:                              ;   in Loop: Header=BB224_418 Depth=1
	v_dual_mov_b32 v16, s9 :: v_dual_mov_b32 v15, s8
	s_mov_b32 s14, exec_lo
	v_cmpx_ne_u16_e32 0x80, v5
	s_cbranch_execz .LBB224_433
; %bb.428:                              ;   in Loop: Header=BB224_418 Depth=1
	s_mov_b32 s2, s8
	v_dual_mov_b32 v16, s3 :: v_dual_and_b32 v5, 0xffff, v5
	v_mov_b32_e32 v15, s2
	s_mov_b32 s2, exec_lo
	s_delay_alu instid0(VALU_DEP_2) | instskip(NEXT) | instid1(VALU_DEP_1)
	v_and_b32_e32 v17, 0x7f, v5
	v_cmpx_ne_u32_e32 0x7f, v17
	s_cbranch_execz .LBB224_432
; %bb.429:                              ;   in Loop: Header=BB224_418 Depth=1
	v_and_b32_e32 v5, 7, v5
	v_lshrrev_b32_e32 v15, 3, v17
	s_mov_b32 s16, exec_lo
	v_cmpx_gt_u32_e32 8, v17
; %bb.430:                              ;   in Loop: Header=BB224_418 Depth=1
	s_delay_alu instid0(VALU_DEP_3) | instskip(NEXT) | instid1(VALU_DEP_1)
	v_clz_i32_u32_e32 v15, v5
	v_min_u32_e32 v15, 32, v15
	s_delay_alu instid0(VALU_DEP_1) | instskip(SKIP_1) | instid1(VALU_DEP_2)
	v_subrev_nc_u32_e32 v16, 28, v15
	v_sub_nc_u32_e32 v15, 29, v15
	v_lshlrev_b64 v[16:17], v16, v[5:6]
	s_delay_alu instid0(VALU_DEP_1)
	v_and_b32_e32 v5, 7, v16
; %bb.431:                              ;   in Loop: Header=BB224_418 Depth=1
	s_or_b32 exec_lo, exec_lo, s16
	v_lshlrev_b32_e32 v16, 16, v38
	s_delay_alu instid0(VALU_DEP_2) | instskip(SKIP_1) | instid1(VALU_DEP_3)
	v_lshlrev_b32_e32 v5, 20, v5
	v_lshl_add_u32 v15, v15, 23, 0x3c000000
	v_and_b32_e32 v16, 0x80000000, v16
	s_delay_alu instid0(VALU_DEP_1)
	v_or3_b32 v16, v5, v16, v15
	v_mov_b32_e32 v15, v6
.LBB224_432:                            ;   in Loop: Header=BB224_418 Depth=1
	s_or_b32 exec_lo, exec_lo, s2
.LBB224_433:                            ;   in Loop: Header=BB224_418 Depth=1
	s_delay_alu instid0(SALU_CYCLE_1)
	s_or_b32 exec_lo, exec_lo, s14
.LBB224_434:                            ;   in Loop: Header=BB224_418 Depth=1
	s_delay_alu instid0(SALU_CYCLE_1) | instskip(SKIP_4) | instid1(VALU_DEP_2)
	s_or_b32 exec_lo, exec_lo, s0
	v_mov_b32_e32 v19, 0
	v_lshrrev_b32_e32 v39, 16, v38
	v_mov_b32_e32 v20, 0
	s_mov_b32 s0, exec_lo
	v_and_b32_e32 v5, 0xff, v39
	s_delay_alu instid0(VALU_DEP_2) | instskip(NEXT) | instid1(VALU_DEP_2)
	v_dual_mov_b32 v17, v19 :: v_dual_mov_b32 v18, v20
	v_cmpx_ne_u16_e32 0, v5
	s_cbranch_execz .LBB224_442
; %bb.435:                              ;   in Loop: Header=BB224_418 Depth=1
	v_bfrev_b32_e32 v17, 1
	v_mov_b32_e32 v18, 0
	s_mov_b32 s2, exec_lo
	v_cmpx_ne_u16_e32 0x80, v5
	s_cbranch_execz .LBB224_441
; %bb.436:                              ;   in Loop: Header=BB224_418 Depth=1
	v_mov_b32_e32 v17, 0x7f800001
	v_bfe_u32 v40, v38, 16, 7
	v_mov_b32_e32 v18, 0
	s_mov_b32 s14, exec_lo
	s_delay_alu instid0(VALU_DEP_2)
	v_cmpx_ne_u32_e32 0x7f, v40
	s_cbranch_execz .LBB224_440
; %bb.437:                              ;   in Loop: Header=BB224_418 Depth=1
	v_and_b32_e32 v5, 7, v39
	v_lshrrev_b32_e32 v17, 3, v40
	s_mov_b32 s16, exec_lo
	v_cmpx_gt_u32_e32 8, v40
; %bb.438:                              ;   in Loop: Header=BB224_418 Depth=1
	s_delay_alu instid0(VALU_DEP_3) | instskip(NEXT) | instid1(VALU_DEP_1)
	v_clz_i32_u32_e32 v17, v5
	v_min_u32_e32 v17, 32, v17
	s_delay_alu instid0(VALU_DEP_1) | instskip(SKIP_1) | instid1(VALU_DEP_2)
	v_subrev_nc_u32_e32 v18, 28, v17
	v_sub_nc_u32_e32 v17, 29, v17
	v_lshlrev_b64 v[40:41], v18, v[5:6]
	s_delay_alu instid0(VALU_DEP_1)
	v_and_b32_e32 v5, 7, v40
; %bb.439:                              ;   in Loop: Header=BB224_418 Depth=1
	s_or_b32 exec_lo, exec_lo, s16
	v_lshlrev_b32_e32 v18, 24, v39
	s_delay_alu instid0(VALU_DEP_2) | instskip(SKIP_1) | instid1(VALU_DEP_3)
	v_lshlrev_b32_e32 v5, 20, v5
	v_lshl_add_u32 v17, v17, 23, 0x3c000000
	v_and_b32_e32 v18, 0x80000000, v18
	s_delay_alu instid0(VALU_DEP_1) | instskip(NEXT) | instid1(VALU_DEP_1)
	v_or3_b32 v5, v5, v18, v17
	v_dual_mov_b32 v18, v6 :: v_dual_mov_b32 v17, v5
.LBB224_440:                            ;   in Loop: Header=BB224_418 Depth=1
	s_or_b32 exec_lo, exec_lo, s14
.LBB224_441:                            ;   in Loop: Header=BB224_418 Depth=1
	s_delay_alu instid0(SALU_CYCLE_1)
	s_or_b32 exec_lo, exec_lo, s2
.LBB224_442:                            ;   in Loop: Header=BB224_418 Depth=1
	s_delay_alu instid0(SALU_CYCLE_1) | instskip(NEXT) | instid1(SALU_CYCLE_1)
	s_or_b32 exec_lo, exec_lo, s0
	s_mov_b32 s0, exec_lo
	v_cmpx_lt_u32_e32 0xffffff, v38
	s_cbranch_execz .LBB224_450
; %bb.443:                              ;   in Loop: Header=BB224_418 Depth=1
	v_lshrrev_b32_e32 v39, 24, v38
	v_dual_mov_b32 v20, s9 :: v_dual_mov_b32 v19, s8
	s_mov_b32 s14, exec_lo
	s_delay_alu instid0(VALU_DEP_2)
	v_cmpx_ne_u32_e32 0x80, v39
	s_cbranch_execz .LBB224_449
; %bb.444:                              ;   in Loop: Header=BB224_418 Depth=1
	s_mov_b32 s2, s8
	v_bfe_u32 v38, v38, 24, 7
	v_dual_mov_b32 v20, s3 :: v_dual_mov_b32 v19, s2
	s_mov_b32 s2, exec_lo
	s_delay_alu instid0(VALU_DEP_2)
	v_cmpx_ne_u32_e32 0x7f, v38
	s_cbranch_execz .LBB224_448
; %bb.445:                              ;   in Loop: Header=BB224_418 Depth=1
	v_and_b32_e32 v5, 7, v39
	v_lshrrev_b32_e32 v19, 3, v38
	s_mov_b32 s16, exec_lo
	v_cmpx_gt_u32_e32 8, v38
; %bb.446:                              ;   in Loop: Header=BB224_418 Depth=1
	s_delay_alu instid0(VALU_DEP_3) | instskip(NEXT) | instid1(VALU_DEP_1)
	v_clz_i32_u32_e32 v19, v5
	v_min_u32_e32 v19, 32, v19
	s_delay_alu instid0(VALU_DEP_1) | instskip(SKIP_1) | instid1(VALU_DEP_2)
	v_subrev_nc_u32_e32 v20, 28, v19
	v_sub_nc_u32_e32 v19, 29, v19
	v_lshlrev_b64 v[40:41], v20, v[5:6]
	s_delay_alu instid0(VALU_DEP_1)
	v_and_b32_e32 v5, 7, v40
; %bb.447:                              ;   in Loop: Header=BB224_418 Depth=1
	s_or_b32 exec_lo, exec_lo, s16
	v_lshlrev_b32_e32 v20, 24, v39
	s_delay_alu instid0(VALU_DEP_2) | instskip(SKIP_1) | instid1(VALU_DEP_3)
	v_lshlrev_b32_e32 v5, 20, v5
	v_lshl_add_u32 v19, v19, 23, 0x3c000000
	v_and_b32_e32 v20, 0x80000000, v20
	s_delay_alu instid0(VALU_DEP_1)
	v_or3_b32 v20, v5, v20, v19
	v_mov_b32_e32 v19, v6
.LBB224_448:                            ;   in Loop: Header=BB224_418 Depth=1
	s_or_b32 exec_lo, exec_lo, s2
.LBB224_449:                            ;   in Loop: Header=BB224_418 Depth=1
	s_delay_alu instid0(SALU_CYCLE_1)
	s_or_b32 exec_lo, exec_lo, s14
.LBB224_450:                            ;   in Loop: Header=BB224_418 Depth=1
	s_delay_alu instid0(SALU_CYCLE_1) | instskip(SKIP_4) | instid1(VALU_DEP_4)
	s_or_b32 exec_lo, exec_lo, s0
	v_or_b32_e32 v5, v16, v14
	v_or_b32_e32 v13, v15, v13
	;; [unrolled: 1-line block ×4, first 2 shown]
	v_dual_mul_f32 v41, s7, v5 :: v_dual_add_nc_u32 v42, -3, v36
	v_cmp_eq_u32_e32 vcc_lo, s6, v49
	s_delay_alu instid0(VALU_DEP_3)
	v_dual_mul_f32 v40, s5, v13 :: v_dual_mul_f32 v39, s5, v15
	v_dual_mul_f32 v38, s7, v14 :: v_dual_add_nc_u32 v43, -1, v36
	v_add_nc_u32_e32 v44, -2, v36
	s_and_saveexec_b32 s2, vcc_lo
; %bb.451:                              ;   in Loop: Header=BB224_418 Depth=1
	v_cmp_gt_i32_e64 s0, s33, v42
	s_delay_alu instid0(VALU_DEP_1) | instskip(NEXT) | instid1(VALU_DEP_3)
	v_cndmask_b32_e64 v40, 0, v40, s0
	v_cmp_gt_i32_e64 s0, s33, v44
	s_delay_alu instid0(VALU_DEP_1) | instskip(SKIP_1) | instid1(VALU_DEP_1)
	v_cndmask_b32_e64 v41, 0, v41, s0
	v_cmp_gt_i32_e64 s0, s33, v43
	v_cndmask_b32_e64 v39, 0, v39, s0
	v_cmp_gt_i32_e64 s0, s33, v36
	s_delay_alu instid0(VALU_DEP_1)
	v_cndmask_b32_e64 v38, 0, v38, s0
; %bb.452:                              ;   in Loop: Header=BB224_418 Depth=1
	s_or_b32 exec_lo, exec_lo, s2
	global_load_b32 v45, v[11:12], off offset:128
	v_mov_b32_e32 v15, 0
	v_mov_b32_e32 v16, 0
	s_mov_b32 s2, exec_lo
	s_waitcnt vmcnt(0)
	v_and_b32_e32 v5, 0xff, v45
	s_delay_alu instid0(VALU_DEP_2) | instskip(NEXT) | instid1(VALU_DEP_2)
	v_dual_mov_b32 v13, v15 :: v_dual_mov_b32 v14, v16
	v_cmpx_ne_u16_e32 0, v5
	s_cbranch_execz .LBB224_460
; %bb.453:                              ;   in Loop: Header=BB224_418 Depth=1
	v_bfrev_b32_e32 v13, 1
	v_mov_b32_e32 v14, 0
	s_mov_b32 s14, exec_lo
	v_cmpx_ne_u16_e32 0x80, v5
	s_cbranch_execz .LBB224_459
; %bb.454:                              ;   in Loop: Header=BB224_418 Depth=1
	v_mov_b32_e32 v13, 0x7f800001
	v_dual_mov_b32 v14, 0 :: v_dual_and_b32 v17, 0x7f, v45
	s_mov_b32 s16, exec_lo
	s_delay_alu instid0(VALU_DEP_1)
	v_cmpx_ne_u32_e32 0x7f, v17
	s_cbranch_execz .LBB224_458
; %bb.455:                              ;   in Loop: Header=BB224_418 Depth=1
	v_and_b32_e32 v5, 7, v45
	v_lshrrev_b32_e32 v13, 3, v17
	s_mov_b32 s17, exec_lo
	v_cmpx_gt_u32_e32 8, v17
; %bb.456:                              ;   in Loop: Header=BB224_418 Depth=1
	s_delay_alu instid0(VALU_DEP_3) | instskip(NEXT) | instid1(VALU_DEP_1)
	v_clz_i32_u32_e32 v13, v5
	v_min_u32_e32 v13, 32, v13
	s_delay_alu instid0(VALU_DEP_1) | instskip(SKIP_1) | instid1(VALU_DEP_2)
	v_subrev_nc_u32_e32 v14, 28, v13
	v_sub_nc_u32_e32 v13, 29, v13
	v_lshlrev_b64 v[17:18], v14, v[5:6]
	s_delay_alu instid0(VALU_DEP_1)
	v_and_b32_e32 v5, 7, v17
; %bb.457:                              ;   in Loop: Header=BB224_418 Depth=1
	s_or_b32 exec_lo, exec_lo, s17
	v_lshlrev_b32_e32 v14, 24, v45
	s_delay_alu instid0(VALU_DEP_2) | instskip(SKIP_1) | instid1(VALU_DEP_3)
	v_lshlrev_b32_e32 v5, 20, v5
	v_lshl_add_u32 v13, v13, 23, 0x3c000000
	v_and_b32_e32 v14, 0x80000000, v14
	s_delay_alu instid0(VALU_DEP_1) | instskip(NEXT) | instid1(VALU_DEP_1)
	v_or3_b32 v5, v5, v14, v13
	v_dual_mov_b32 v14, v6 :: v_dual_mov_b32 v13, v5
.LBB224_458:                            ;   in Loop: Header=BB224_418 Depth=1
	s_or_b32 exec_lo, exec_lo, s16
.LBB224_459:                            ;   in Loop: Header=BB224_418 Depth=1
	s_delay_alu instid0(SALU_CYCLE_1)
	s_or_b32 exec_lo, exec_lo, s14
.LBB224_460:                            ;   in Loop: Header=BB224_418 Depth=1
	s_delay_alu instid0(SALU_CYCLE_1) | instskip(SKIP_2) | instid1(VALU_DEP_1)
	s_or_b32 exec_lo, exec_lo, s2
	v_lshrrev_b16 v5, 8, v45
	s_mov_b32 s14, exec_lo
	v_cmpx_ne_u16_e32 0, v5
	s_cbranch_execz .LBB224_468
; %bb.461:                              ;   in Loop: Header=BB224_418 Depth=1
	v_dual_mov_b32 v16, s9 :: v_dual_mov_b32 v15, s8
	s_mov_b32 s16, exec_lo
	v_cmpx_ne_u16_e32 0x80, v5
	s_cbranch_execz .LBB224_467
; %bb.462:                              ;   in Loop: Header=BB224_418 Depth=1
	s_mov_b32 s2, s8
	v_dual_mov_b32 v16, s3 :: v_dual_and_b32 v5, 0xffff, v5
	v_mov_b32_e32 v15, s2
	s_mov_b32 s2, exec_lo
	s_delay_alu instid0(VALU_DEP_2) | instskip(NEXT) | instid1(VALU_DEP_1)
	v_and_b32_e32 v17, 0x7f, v5
	v_cmpx_ne_u32_e32 0x7f, v17
	s_cbranch_execz .LBB224_466
; %bb.463:                              ;   in Loop: Header=BB224_418 Depth=1
	v_and_b32_e32 v5, 7, v5
	v_lshrrev_b32_e32 v15, 3, v17
	s_mov_b32 s17, exec_lo
	v_cmpx_gt_u32_e32 8, v17
; %bb.464:                              ;   in Loop: Header=BB224_418 Depth=1
	s_delay_alu instid0(VALU_DEP_3) | instskip(NEXT) | instid1(VALU_DEP_1)
	v_clz_i32_u32_e32 v15, v5
	v_min_u32_e32 v15, 32, v15
	s_delay_alu instid0(VALU_DEP_1) | instskip(SKIP_1) | instid1(VALU_DEP_2)
	v_subrev_nc_u32_e32 v16, 28, v15
	v_sub_nc_u32_e32 v15, 29, v15
	v_lshlrev_b64 v[16:17], v16, v[5:6]
	s_delay_alu instid0(VALU_DEP_1)
	v_and_b32_e32 v5, 7, v16
; %bb.465:                              ;   in Loop: Header=BB224_418 Depth=1
	s_or_b32 exec_lo, exec_lo, s17
	v_lshlrev_b32_e32 v16, 16, v45
	s_delay_alu instid0(VALU_DEP_2) | instskip(SKIP_1) | instid1(VALU_DEP_3)
	v_lshlrev_b32_e32 v5, 20, v5
	v_lshl_add_u32 v15, v15, 23, 0x3c000000
	v_and_b32_e32 v16, 0x80000000, v16
	s_delay_alu instid0(VALU_DEP_1)
	v_or3_b32 v16, v5, v16, v15
	v_mov_b32_e32 v15, v6
.LBB224_466:                            ;   in Loop: Header=BB224_418 Depth=1
	s_or_b32 exec_lo, exec_lo, s2
.LBB224_467:                            ;   in Loop: Header=BB224_418 Depth=1
	s_delay_alu instid0(SALU_CYCLE_1)
	s_or_b32 exec_lo, exec_lo, s16
.LBB224_468:                            ;   in Loop: Header=BB224_418 Depth=1
	s_delay_alu instid0(SALU_CYCLE_1) | instskip(SKIP_4) | instid1(VALU_DEP_2)
	s_or_b32 exec_lo, exec_lo, s14
	v_mov_b32_e32 v19, 0
	v_lshrrev_b32_e32 v46, 16, v45
	v_mov_b32_e32 v20, 0
	s_mov_b32 s2, exec_lo
	v_and_b32_e32 v5, 0xff, v46
	s_delay_alu instid0(VALU_DEP_2) | instskip(NEXT) | instid1(VALU_DEP_2)
	v_dual_mov_b32 v17, v19 :: v_dual_mov_b32 v18, v20
	v_cmpx_ne_u16_e32 0, v5
	s_cbranch_execz .LBB224_476
; %bb.469:                              ;   in Loop: Header=BB224_418 Depth=1
	v_bfrev_b32_e32 v17, 1
	v_mov_b32_e32 v18, 0
	s_mov_b32 s14, exec_lo
	v_cmpx_ne_u16_e32 0x80, v5
	s_cbranch_execz .LBB224_475
; %bb.470:                              ;   in Loop: Header=BB224_418 Depth=1
	v_mov_b32_e32 v17, 0x7f800001
	v_bfe_u32 v47, v45, 16, 7
	v_mov_b32_e32 v18, 0
	s_mov_b32 s16, exec_lo
	s_delay_alu instid0(VALU_DEP_2)
	v_cmpx_ne_u32_e32 0x7f, v47
	s_cbranch_execz .LBB224_474
; %bb.471:                              ;   in Loop: Header=BB224_418 Depth=1
	v_and_b32_e32 v5, 7, v46
	v_lshrrev_b32_e32 v17, 3, v47
	s_mov_b32 s17, exec_lo
	v_cmpx_gt_u32_e32 8, v47
; %bb.472:                              ;   in Loop: Header=BB224_418 Depth=1
	s_delay_alu instid0(VALU_DEP_3) | instskip(NEXT) | instid1(VALU_DEP_1)
	v_clz_i32_u32_e32 v17, v5
	v_min_u32_e32 v17, 32, v17
	s_delay_alu instid0(VALU_DEP_1) | instskip(SKIP_1) | instid1(VALU_DEP_2)
	v_subrev_nc_u32_e32 v18, 28, v17
	v_sub_nc_u32_e32 v17, 29, v17
	v_lshlrev_b64 v[47:48], v18, v[5:6]
	s_delay_alu instid0(VALU_DEP_1)
	v_and_b32_e32 v5, 7, v47
; %bb.473:                              ;   in Loop: Header=BB224_418 Depth=1
	s_or_b32 exec_lo, exec_lo, s17
	v_lshlrev_b32_e32 v18, 24, v46
	s_delay_alu instid0(VALU_DEP_2) | instskip(SKIP_1) | instid1(VALU_DEP_3)
	v_lshlrev_b32_e32 v5, 20, v5
	v_lshl_add_u32 v17, v17, 23, 0x3c000000
	v_and_b32_e32 v18, 0x80000000, v18
	s_delay_alu instid0(VALU_DEP_1) | instskip(NEXT) | instid1(VALU_DEP_1)
	v_or3_b32 v5, v5, v18, v17
	v_dual_mov_b32 v18, v6 :: v_dual_mov_b32 v17, v5
.LBB224_474:                            ;   in Loop: Header=BB224_418 Depth=1
	s_or_b32 exec_lo, exec_lo, s16
.LBB224_475:                            ;   in Loop: Header=BB224_418 Depth=1
	s_delay_alu instid0(SALU_CYCLE_1)
	s_or_b32 exec_lo, exec_lo, s14
.LBB224_476:                            ;   in Loop: Header=BB224_418 Depth=1
	s_delay_alu instid0(SALU_CYCLE_1) | instskip(NEXT) | instid1(SALU_CYCLE_1)
	s_or_b32 exec_lo, exec_lo, s2
	s_mov_b32 s14, exec_lo
	v_cmpx_lt_u32_e32 0xffffff, v45
	s_cbranch_execz .LBB224_484
; %bb.477:                              ;   in Loop: Header=BB224_418 Depth=1
	v_lshrrev_b32_e32 v46, 24, v45
	v_dual_mov_b32 v20, s9 :: v_dual_mov_b32 v19, s8
	s_mov_b32 s16, exec_lo
	s_delay_alu instid0(VALU_DEP_2)
	v_cmpx_ne_u32_e32 0x80, v46
	s_cbranch_execz .LBB224_483
; %bb.478:                              ;   in Loop: Header=BB224_418 Depth=1
	s_mov_b32 s2, s8
	v_bfe_u32 v45, v45, 24, 7
	v_dual_mov_b32 v20, s3 :: v_dual_mov_b32 v19, s2
	s_mov_b32 s2, exec_lo
	s_delay_alu instid0(VALU_DEP_2)
	v_cmpx_ne_u32_e32 0x7f, v45
	s_cbranch_execz .LBB224_482
; %bb.479:                              ;   in Loop: Header=BB224_418 Depth=1
	v_and_b32_e32 v5, 7, v46
	v_lshrrev_b32_e32 v19, 3, v45
	s_mov_b32 s17, exec_lo
	v_cmpx_gt_u32_e32 8, v45
; %bb.480:                              ;   in Loop: Header=BB224_418 Depth=1
	s_delay_alu instid0(VALU_DEP_3) | instskip(NEXT) | instid1(VALU_DEP_1)
	v_clz_i32_u32_e32 v19, v5
	v_min_u32_e32 v19, 32, v19
	s_delay_alu instid0(VALU_DEP_1) | instskip(SKIP_1) | instid1(VALU_DEP_2)
	v_subrev_nc_u32_e32 v20, 28, v19
	v_sub_nc_u32_e32 v19, 29, v19
	v_lshlrev_b64 v[47:48], v20, v[5:6]
	s_delay_alu instid0(VALU_DEP_1)
	v_and_b32_e32 v5, 7, v47
; %bb.481:                              ;   in Loop: Header=BB224_418 Depth=1
	s_or_b32 exec_lo, exec_lo, s17
	v_lshlrev_b32_e32 v20, 24, v46
	s_delay_alu instid0(VALU_DEP_2) | instskip(SKIP_1) | instid1(VALU_DEP_3)
	v_lshlrev_b32_e32 v5, 20, v5
	v_lshl_add_u32 v19, v19, 23, 0x3c000000
	v_and_b32_e32 v20, 0x80000000, v20
	s_delay_alu instid0(VALU_DEP_1)
	v_or3_b32 v20, v5, v20, v19
	v_mov_b32_e32 v19, v6
.LBB224_482:                            ;   in Loop: Header=BB224_418 Depth=1
	s_or_b32 exec_lo, exec_lo, s2
.LBB224_483:                            ;   in Loop: Header=BB224_418 Depth=1
	s_delay_alu instid0(SALU_CYCLE_1)
	s_or_b32 exec_lo, exec_lo, s16
.LBB224_484:                            ;   in Loop: Header=BB224_418 Depth=1
	s_delay_alu instid0(SALU_CYCLE_1) | instskip(SKIP_4) | instid1(VALU_DEP_4)
	s_or_b32 exec_lo, exec_lo, s14
	v_or_b32_e32 v5, v16, v14
	v_or_b32_e32 v13, v15, v13
	;; [unrolled: 1-line block ×4, first 2 shown]
	v_mul_f32_e32 v48, s7, v5
	s_delay_alu instid0(VALU_DEP_4) | instskip(NEXT) | instid1(VALU_DEP_3)
	v_mul_f32_e32 v47, s5, v13
	v_dual_mul_f32 v45, s7, v14 :: v_dual_mul_f32 v46, s5, v15
	s_and_saveexec_b32 s2, vcc_lo
; %bb.485:                              ;   in Loop: Header=BB224_418 Depth=1
	v_cmp_gt_i32_e64 s0, s33, v42
	s_delay_alu instid0(VALU_DEP_1) | instskip(SKIP_1) | instid1(VALU_DEP_1)
	v_cndmask_b32_e64 v47, 0, v47, s0
	v_cmp_gt_i32_e64 s0, s33, v44
	v_cndmask_b32_e64 v48, 0, v48, s0
	v_cmp_gt_i32_e64 s0, s33, v43
	s_delay_alu instid0(VALU_DEP_1) | instskip(SKIP_1) | instid1(VALU_DEP_1)
	v_cndmask_b32_e64 v46, 0, v46, s0
	v_cmp_gt_i32_e64 s0, s33, v36
	v_cndmask_b32_e64 v45, 0, v45, s0
; %bb.486:                              ;   in Loop: Header=BB224_418 Depth=1
	s_or_b32 exec_lo, exec_lo, s2
	global_load_b32 v50, v[11:12], off offset:256
	v_mov_b32_e32 v15, 0
	v_mov_b32_e32 v16, 0
	s_mov_b32 s2, exec_lo
	s_waitcnt vmcnt(0)
	v_and_b32_e32 v5, 0xff, v50
	s_delay_alu instid0(VALU_DEP_2) | instskip(NEXT) | instid1(VALU_DEP_2)
	v_dual_mov_b32 v13, v15 :: v_dual_mov_b32 v14, v16
	v_cmpx_ne_u16_e32 0, v5
	s_cbranch_execz .LBB224_494
; %bb.487:                              ;   in Loop: Header=BB224_418 Depth=1
	v_bfrev_b32_e32 v13, 1
	v_mov_b32_e32 v14, 0
	s_mov_b32 s14, exec_lo
	v_cmpx_ne_u16_e32 0x80, v5
	s_cbranch_execz .LBB224_493
; %bb.488:                              ;   in Loop: Header=BB224_418 Depth=1
	v_mov_b32_e32 v13, 0x7f800001
	v_dual_mov_b32 v14, 0 :: v_dual_and_b32 v17, 0x7f, v50
	s_mov_b32 s16, exec_lo
	s_delay_alu instid0(VALU_DEP_1)
	v_cmpx_ne_u32_e32 0x7f, v17
	s_cbranch_execz .LBB224_492
; %bb.489:                              ;   in Loop: Header=BB224_418 Depth=1
	v_and_b32_e32 v5, 7, v50
	v_lshrrev_b32_e32 v13, 3, v17
	s_mov_b32 s17, exec_lo
	v_cmpx_gt_u32_e32 8, v17
; %bb.490:                              ;   in Loop: Header=BB224_418 Depth=1
	s_delay_alu instid0(VALU_DEP_3) | instskip(NEXT) | instid1(VALU_DEP_1)
	v_clz_i32_u32_e32 v13, v5
	v_min_u32_e32 v13, 32, v13
	s_delay_alu instid0(VALU_DEP_1) | instskip(SKIP_1) | instid1(VALU_DEP_2)
	v_subrev_nc_u32_e32 v14, 28, v13
	v_sub_nc_u32_e32 v13, 29, v13
	v_lshlrev_b64 v[17:18], v14, v[5:6]
	s_delay_alu instid0(VALU_DEP_1)
	v_and_b32_e32 v5, 7, v17
; %bb.491:                              ;   in Loop: Header=BB224_418 Depth=1
	s_or_b32 exec_lo, exec_lo, s17
	v_lshlrev_b32_e32 v14, 24, v50
	s_delay_alu instid0(VALU_DEP_2) | instskip(SKIP_1) | instid1(VALU_DEP_3)
	v_lshlrev_b32_e32 v5, 20, v5
	v_lshl_add_u32 v13, v13, 23, 0x3c000000
	v_and_b32_e32 v14, 0x80000000, v14
	s_delay_alu instid0(VALU_DEP_1) | instskip(NEXT) | instid1(VALU_DEP_1)
	v_or3_b32 v5, v5, v14, v13
	v_dual_mov_b32 v14, v6 :: v_dual_mov_b32 v13, v5
.LBB224_492:                            ;   in Loop: Header=BB224_418 Depth=1
	s_or_b32 exec_lo, exec_lo, s16
.LBB224_493:                            ;   in Loop: Header=BB224_418 Depth=1
	s_delay_alu instid0(SALU_CYCLE_1)
	s_or_b32 exec_lo, exec_lo, s14
.LBB224_494:                            ;   in Loop: Header=BB224_418 Depth=1
	s_delay_alu instid0(SALU_CYCLE_1) | instskip(SKIP_2) | instid1(VALU_DEP_1)
	s_or_b32 exec_lo, exec_lo, s2
	v_lshrrev_b16 v5, 8, v50
	s_mov_b32 s14, exec_lo
	v_cmpx_ne_u16_e32 0, v5
	s_cbranch_execz .LBB224_502
; %bb.495:                              ;   in Loop: Header=BB224_418 Depth=1
	v_dual_mov_b32 v16, s9 :: v_dual_mov_b32 v15, s8
	s_mov_b32 s16, exec_lo
	v_cmpx_ne_u16_e32 0x80, v5
	s_cbranch_execz .LBB224_501
; %bb.496:                              ;   in Loop: Header=BB224_418 Depth=1
	s_mov_b32 s2, s8
	v_dual_mov_b32 v16, s3 :: v_dual_and_b32 v5, 0xffff, v5
	v_mov_b32_e32 v15, s2
	s_mov_b32 s2, exec_lo
	s_delay_alu instid0(VALU_DEP_2) | instskip(NEXT) | instid1(VALU_DEP_1)
	v_and_b32_e32 v17, 0x7f, v5
	v_cmpx_ne_u32_e32 0x7f, v17
	s_cbranch_execz .LBB224_500
; %bb.497:                              ;   in Loop: Header=BB224_418 Depth=1
	v_and_b32_e32 v5, 7, v5
	v_lshrrev_b32_e32 v15, 3, v17
	s_mov_b32 s17, exec_lo
	v_cmpx_gt_u32_e32 8, v17
; %bb.498:                              ;   in Loop: Header=BB224_418 Depth=1
	s_delay_alu instid0(VALU_DEP_3) | instskip(NEXT) | instid1(VALU_DEP_1)
	v_clz_i32_u32_e32 v15, v5
	v_min_u32_e32 v15, 32, v15
	s_delay_alu instid0(VALU_DEP_1) | instskip(SKIP_1) | instid1(VALU_DEP_2)
	v_subrev_nc_u32_e32 v16, 28, v15
	v_sub_nc_u32_e32 v15, 29, v15
	v_lshlrev_b64 v[16:17], v16, v[5:6]
	s_delay_alu instid0(VALU_DEP_1)
	v_and_b32_e32 v5, 7, v16
; %bb.499:                              ;   in Loop: Header=BB224_418 Depth=1
	s_or_b32 exec_lo, exec_lo, s17
	v_lshlrev_b32_e32 v16, 16, v50
	s_delay_alu instid0(VALU_DEP_2) | instskip(SKIP_1) | instid1(VALU_DEP_3)
	v_lshlrev_b32_e32 v5, 20, v5
	v_lshl_add_u32 v15, v15, 23, 0x3c000000
	v_and_b32_e32 v16, 0x80000000, v16
	s_delay_alu instid0(VALU_DEP_1)
	v_or3_b32 v16, v5, v16, v15
	v_mov_b32_e32 v15, v6
.LBB224_500:                            ;   in Loop: Header=BB224_418 Depth=1
	s_or_b32 exec_lo, exec_lo, s2
.LBB224_501:                            ;   in Loop: Header=BB224_418 Depth=1
	s_delay_alu instid0(SALU_CYCLE_1)
	s_or_b32 exec_lo, exec_lo, s16
.LBB224_502:                            ;   in Loop: Header=BB224_418 Depth=1
	s_delay_alu instid0(SALU_CYCLE_1) | instskip(SKIP_4) | instid1(VALU_DEP_2)
	s_or_b32 exec_lo, exec_lo, s14
	v_mov_b32_e32 v19, 0
	v_lshrrev_b32_e32 v51, 16, v50
	v_mov_b32_e32 v20, 0
	s_mov_b32 s2, exec_lo
	v_and_b32_e32 v5, 0xff, v51
	s_delay_alu instid0(VALU_DEP_2) | instskip(NEXT) | instid1(VALU_DEP_2)
	v_dual_mov_b32 v17, v19 :: v_dual_mov_b32 v18, v20
	v_cmpx_ne_u16_e32 0, v5
	s_cbranch_execz .LBB224_510
; %bb.503:                              ;   in Loop: Header=BB224_418 Depth=1
	v_bfrev_b32_e32 v17, 1
	v_mov_b32_e32 v18, 0
	s_mov_b32 s14, exec_lo
	v_cmpx_ne_u16_e32 0x80, v5
	s_cbranch_execz .LBB224_509
; %bb.504:                              ;   in Loop: Header=BB224_418 Depth=1
	v_mov_b32_e32 v17, 0x7f800001
	v_bfe_u32 v52, v50, 16, 7
	v_mov_b32_e32 v18, 0
	s_mov_b32 s16, exec_lo
	s_delay_alu instid0(VALU_DEP_2)
	v_cmpx_ne_u32_e32 0x7f, v52
	s_cbranch_execz .LBB224_508
; %bb.505:                              ;   in Loop: Header=BB224_418 Depth=1
	v_and_b32_e32 v5, 7, v51
	v_lshrrev_b32_e32 v17, 3, v52
	s_mov_b32 s17, exec_lo
	v_cmpx_gt_u32_e32 8, v52
; %bb.506:                              ;   in Loop: Header=BB224_418 Depth=1
	s_delay_alu instid0(VALU_DEP_3) | instskip(NEXT) | instid1(VALU_DEP_1)
	v_clz_i32_u32_e32 v17, v5
	v_min_u32_e32 v17, 32, v17
	s_delay_alu instid0(VALU_DEP_1) | instskip(SKIP_1) | instid1(VALU_DEP_2)
	v_subrev_nc_u32_e32 v18, 28, v17
	v_sub_nc_u32_e32 v17, 29, v17
	v_lshlrev_b64 v[52:53], v18, v[5:6]
	s_delay_alu instid0(VALU_DEP_1)
	v_and_b32_e32 v5, 7, v52
; %bb.507:                              ;   in Loop: Header=BB224_418 Depth=1
	s_or_b32 exec_lo, exec_lo, s17
	v_lshlrev_b32_e32 v18, 24, v51
	s_delay_alu instid0(VALU_DEP_2) | instskip(SKIP_1) | instid1(VALU_DEP_3)
	v_lshlrev_b32_e32 v5, 20, v5
	v_lshl_add_u32 v17, v17, 23, 0x3c000000
	v_and_b32_e32 v18, 0x80000000, v18
	s_delay_alu instid0(VALU_DEP_1) | instskip(NEXT) | instid1(VALU_DEP_1)
	v_or3_b32 v5, v5, v18, v17
	v_dual_mov_b32 v18, v6 :: v_dual_mov_b32 v17, v5
.LBB224_508:                            ;   in Loop: Header=BB224_418 Depth=1
	s_or_b32 exec_lo, exec_lo, s16
.LBB224_509:                            ;   in Loop: Header=BB224_418 Depth=1
	s_delay_alu instid0(SALU_CYCLE_1)
	s_or_b32 exec_lo, exec_lo, s14
.LBB224_510:                            ;   in Loop: Header=BB224_418 Depth=1
	s_delay_alu instid0(SALU_CYCLE_1) | instskip(NEXT) | instid1(SALU_CYCLE_1)
	s_or_b32 exec_lo, exec_lo, s2
	s_mov_b32 s14, exec_lo
	v_cmpx_lt_u32_e32 0xffffff, v50
	s_cbranch_execz .LBB224_518
; %bb.511:                              ;   in Loop: Header=BB224_418 Depth=1
	v_lshrrev_b32_e32 v51, 24, v50
	v_dual_mov_b32 v20, s9 :: v_dual_mov_b32 v19, s8
	s_mov_b32 s16, exec_lo
	s_delay_alu instid0(VALU_DEP_2)
	v_cmpx_ne_u32_e32 0x80, v51
	s_cbranch_execz .LBB224_517
; %bb.512:                              ;   in Loop: Header=BB224_418 Depth=1
	s_mov_b32 s2, s8
	v_bfe_u32 v50, v50, 24, 7
	v_dual_mov_b32 v20, s3 :: v_dual_mov_b32 v19, s2
	s_mov_b32 s2, exec_lo
	s_delay_alu instid0(VALU_DEP_2)
	v_cmpx_ne_u32_e32 0x7f, v50
	s_cbranch_execz .LBB224_516
; %bb.513:                              ;   in Loop: Header=BB224_418 Depth=1
	v_and_b32_e32 v5, 7, v51
	v_lshrrev_b32_e32 v19, 3, v50
	s_mov_b32 s17, exec_lo
	v_cmpx_gt_u32_e32 8, v50
; %bb.514:                              ;   in Loop: Header=BB224_418 Depth=1
	s_delay_alu instid0(VALU_DEP_3) | instskip(NEXT) | instid1(VALU_DEP_1)
	v_clz_i32_u32_e32 v19, v5
	v_min_u32_e32 v19, 32, v19
	s_delay_alu instid0(VALU_DEP_1) | instskip(SKIP_1) | instid1(VALU_DEP_2)
	v_subrev_nc_u32_e32 v20, 28, v19
	v_sub_nc_u32_e32 v19, 29, v19
	v_lshlrev_b64 v[52:53], v20, v[5:6]
	s_delay_alu instid0(VALU_DEP_1)
	v_and_b32_e32 v5, 7, v52
; %bb.515:                              ;   in Loop: Header=BB224_418 Depth=1
	s_or_b32 exec_lo, exec_lo, s17
	v_lshlrev_b32_e32 v20, 24, v51
	s_delay_alu instid0(VALU_DEP_2) | instskip(SKIP_1) | instid1(VALU_DEP_3)
	v_lshlrev_b32_e32 v5, 20, v5
	v_lshl_add_u32 v19, v19, 23, 0x3c000000
	v_and_b32_e32 v20, 0x80000000, v20
	s_delay_alu instid0(VALU_DEP_1)
	v_or3_b32 v20, v5, v20, v19
	v_mov_b32_e32 v19, v6
.LBB224_516:                            ;   in Loop: Header=BB224_418 Depth=1
	s_or_b32 exec_lo, exec_lo, s2
.LBB224_517:                            ;   in Loop: Header=BB224_418 Depth=1
	s_delay_alu instid0(SALU_CYCLE_1)
	s_or_b32 exec_lo, exec_lo, s16
.LBB224_518:                            ;   in Loop: Header=BB224_418 Depth=1
	s_delay_alu instid0(SALU_CYCLE_1) | instskip(SKIP_4) | instid1(VALU_DEP_4)
	s_or_b32 exec_lo, exec_lo, s14
	v_or_b32_e32 v5, v16, v14
	v_or_b32_e32 v13, v15, v13
	;; [unrolled: 1-line block ×4, first 2 shown]
	v_mul_f32_e32 v53, s7, v5
	s_delay_alu instid0(VALU_DEP_4) | instskip(NEXT) | instid1(VALU_DEP_3)
	v_mul_f32_e32 v52, s5, v13
	v_dual_mul_f32 v50, s7, v14 :: v_dual_mul_f32 v51, s5, v15
	s_and_saveexec_b32 s2, vcc_lo
; %bb.519:                              ;   in Loop: Header=BB224_418 Depth=1
	v_cmp_gt_i32_e64 s0, s33, v42
	s_delay_alu instid0(VALU_DEP_1) | instskip(SKIP_1) | instid1(VALU_DEP_1)
	v_cndmask_b32_e64 v52, 0, v52, s0
	v_cmp_gt_i32_e64 s0, s33, v44
	v_cndmask_b32_e64 v53, 0, v53, s0
	v_cmp_gt_i32_e64 s0, s33, v43
	s_delay_alu instid0(VALU_DEP_1) | instskip(SKIP_1) | instid1(VALU_DEP_1)
	v_cndmask_b32_e64 v51, 0, v51, s0
	v_cmp_gt_i32_e64 s0, s33, v36
	v_cndmask_b32_e64 v50, 0, v50, s0
; %bb.520:                              ;   in Loop: Header=BB224_418 Depth=1
	s_or_b32 exec_lo, exec_lo, s2
	global_load_b32 v54, v[11:12], off offset:384
	v_mov_b32_e32 v15, 0
	v_mov_b32_e32 v16, 0
	s_mov_b32 s2, exec_lo
	s_waitcnt vmcnt(0)
	v_and_b32_e32 v5, 0xff, v54
	s_delay_alu instid0(VALU_DEP_2) | instskip(NEXT) | instid1(VALU_DEP_2)
	v_dual_mov_b32 v13, v15 :: v_dual_mov_b32 v14, v16
	v_cmpx_ne_u16_e32 0, v5
	s_cbranch_execz .LBB224_528
; %bb.521:                              ;   in Loop: Header=BB224_418 Depth=1
	v_bfrev_b32_e32 v13, 1
	v_mov_b32_e32 v14, 0
	s_mov_b32 s14, exec_lo
	v_cmpx_ne_u16_e32 0x80, v5
	s_cbranch_execz .LBB224_527
; %bb.522:                              ;   in Loop: Header=BB224_418 Depth=1
	v_mov_b32_e32 v13, 0x7f800001
	v_dual_mov_b32 v14, 0 :: v_dual_and_b32 v17, 0x7f, v54
	s_mov_b32 s16, exec_lo
	s_delay_alu instid0(VALU_DEP_1)
	v_cmpx_ne_u32_e32 0x7f, v17
	s_cbranch_execz .LBB224_526
; %bb.523:                              ;   in Loop: Header=BB224_418 Depth=1
	v_and_b32_e32 v5, 7, v54
	v_lshrrev_b32_e32 v13, 3, v17
	s_mov_b32 s17, exec_lo
	v_cmpx_gt_u32_e32 8, v17
; %bb.524:                              ;   in Loop: Header=BB224_418 Depth=1
	s_delay_alu instid0(VALU_DEP_3) | instskip(NEXT) | instid1(VALU_DEP_1)
	v_clz_i32_u32_e32 v13, v5
	v_min_u32_e32 v13, 32, v13
	s_delay_alu instid0(VALU_DEP_1) | instskip(SKIP_1) | instid1(VALU_DEP_2)
	v_subrev_nc_u32_e32 v14, 28, v13
	v_sub_nc_u32_e32 v13, 29, v13
	v_lshlrev_b64 v[17:18], v14, v[5:6]
	s_delay_alu instid0(VALU_DEP_1)
	v_and_b32_e32 v5, 7, v17
; %bb.525:                              ;   in Loop: Header=BB224_418 Depth=1
	s_or_b32 exec_lo, exec_lo, s17
	v_lshlrev_b32_e32 v14, 24, v54
	s_delay_alu instid0(VALU_DEP_2) | instskip(SKIP_1) | instid1(VALU_DEP_3)
	v_lshlrev_b32_e32 v5, 20, v5
	v_lshl_add_u32 v13, v13, 23, 0x3c000000
	v_and_b32_e32 v14, 0x80000000, v14
	s_delay_alu instid0(VALU_DEP_1) | instskip(NEXT) | instid1(VALU_DEP_1)
	v_or3_b32 v5, v5, v14, v13
	v_dual_mov_b32 v14, v6 :: v_dual_mov_b32 v13, v5
.LBB224_526:                            ;   in Loop: Header=BB224_418 Depth=1
	s_or_b32 exec_lo, exec_lo, s16
.LBB224_527:                            ;   in Loop: Header=BB224_418 Depth=1
	s_delay_alu instid0(SALU_CYCLE_1)
	s_or_b32 exec_lo, exec_lo, s14
.LBB224_528:                            ;   in Loop: Header=BB224_418 Depth=1
	s_delay_alu instid0(SALU_CYCLE_1) | instskip(SKIP_2) | instid1(VALU_DEP_1)
	s_or_b32 exec_lo, exec_lo, s2
	v_lshrrev_b16 v5, 8, v54
	s_mov_b32 s14, exec_lo
	v_cmpx_ne_u16_e32 0, v5
	s_cbranch_execz .LBB224_536
; %bb.529:                              ;   in Loop: Header=BB224_418 Depth=1
	v_dual_mov_b32 v16, s9 :: v_dual_mov_b32 v15, s8
	s_mov_b32 s16, exec_lo
	v_cmpx_ne_u16_e32 0x80, v5
	s_cbranch_execz .LBB224_535
; %bb.530:                              ;   in Loop: Header=BB224_418 Depth=1
	s_mov_b32 s2, s8
	v_dual_mov_b32 v16, s3 :: v_dual_and_b32 v5, 0xffff, v5
	v_mov_b32_e32 v15, s2
	s_mov_b32 s2, exec_lo
	s_delay_alu instid0(VALU_DEP_2) | instskip(NEXT) | instid1(VALU_DEP_1)
	v_and_b32_e32 v17, 0x7f, v5
	v_cmpx_ne_u32_e32 0x7f, v17
	s_cbranch_execz .LBB224_534
; %bb.531:                              ;   in Loop: Header=BB224_418 Depth=1
	v_and_b32_e32 v5, 7, v5
	v_lshrrev_b32_e32 v15, 3, v17
	s_mov_b32 s17, exec_lo
	v_cmpx_gt_u32_e32 8, v17
; %bb.532:                              ;   in Loop: Header=BB224_418 Depth=1
	s_delay_alu instid0(VALU_DEP_3) | instskip(NEXT) | instid1(VALU_DEP_1)
	v_clz_i32_u32_e32 v15, v5
	v_min_u32_e32 v15, 32, v15
	s_delay_alu instid0(VALU_DEP_1) | instskip(SKIP_1) | instid1(VALU_DEP_2)
	v_subrev_nc_u32_e32 v16, 28, v15
	v_sub_nc_u32_e32 v15, 29, v15
	v_lshlrev_b64 v[16:17], v16, v[5:6]
	s_delay_alu instid0(VALU_DEP_1)
	v_and_b32_e32 v5, 7, v16
; %bb.533:                              ;   in Loop: Header=BB224_418 Depth=1
	s_or_b32 exec_lo, exec_lo, s17
	v_lshlrev_b32_e32 v16, 16, v54
	s_delay_alu instid0(VALU_DEP_2) | instskip(SKIP_1) | instid1(VALU_DEP_3)
	v_lshlrev_b32_e32 v5, 20, v5
	v_lshl_add_u32 v15, v15, 23, 0x3c000000
	v_and_b32_e32 v16, 0x80000000, v16
	s_delay_alu instid0(VALU_DEP_1)
	v_or3_b32 v16, v5, v16, v15
	v_mov_b32_e32 v15, v6
.LBB224_534:                            ;   in Loop: Header=BB224_418 Depth=1
	s_or_b32 exec_lo, exec_lo, s2
.LBB224_535:                            ;   in Loop: Header=BB224_418 Depth=1
	s_delay_alu instid0(SALU_CYCLE_1)
	s_or_b32 exec_lo, exec_lo, s16
.LBB224_536:                            ;   in Loop: Header=BB224_418 Depth=1
	s_delay_alu instid0(SALU_CYCLE_1) | instskip(SKIP_4) | instid1(VALU_DEP_2)
	s_or_b32 exec_lo, exec_lo, s14
	v_mov_b32_e32 v19, 0
	v_lshrrev_b32_e32 v55, 16, v54
	v_mov_b32_e32 v20, 0
	s_mov_b32 s2, exec_lo
	v_and_b32_e32 v5, 0xff, v55
	s_delay_alu instid0(VALU_DEP_2) | instskip(NEXT) | instid1(VALU_DEP_2)
	v_dual_mov_b32 v17, v19 :: v_dual_mov_b32 v18, v20
	v_cmpx_ne_u16_e32 0, v5
	s_cbranch_execz .LBB224_544
; %bb.537:                              ;   in Loop: Header=BB224_418 Depth=1
	v_bfrev_b32_e32 v17, 1
	v_mov_b32_e32 v18, 0
	s_mov_b32 s14, exec_lo
	v_cmpx_ne_u16_e32 0x80, v5
	s_cbranch_execz .LBB224_543
; %bb.538:                              ;   in Loop: Header=BB224_418 Depth=1
	v_mov_b32_e32 v17, 0x7f800001
	v_bfe_u32 v56, v54, 16, 7
	v_mov_b32_e32 v18, 0
	s_mov_b32 s16, exec_lo
	s_delay_alu instid0(VALU_DEP_2)
	v_cmpx_ne_u32_e32 0x7f, v56
	s_cbranch_execz .LBB224_542
; %bb.539:                              ;   in Loop: Header=BB224_418 Depth=1
	v_and_b32_e32 v5, 7, v55
	v_lshrrev_b32_e32 v17, 3, v56
	s_mov_b32 s17, exec_lo
	v_cmpx_gt_u32_e32 8, v56
; %bb.540:                              ;   in Loop: Header=BB224_418 Depth=1
	s_delay_alu instid0(VALU_DEP_3) | instskip(NEXT) | instid1(VALU_DEP_1)
	v_clz_i32_u32_e32 v17, v5
	v_min_u32_e32 v17, 32, v17
	s_delay_alu instid0(VALU_DEP_1) | instskip(SKIP_1) | instid1(VALU_DEP_2)
	v_subrev_nc_u32_e32 v18, 28, v17
	v_sub_nc_u32_e32 v17, 29, v17
	v_lshlrev_b64 v[56:57], v18, v[5:6]
	s_delay_alu instid0(VALU_DEP_1)
	v_and_b32_e32 v5, 7, v56
; %bb.541:                              ;   in Loop: Header=BB224_418 Depth=1
	s_or_b32 exec_lo, exec_lo, s17
	v_lshlrev_b32_e32 v18, 24, v55
	s_delay_alu instid0(VALU_DEP_2) | instskip(SKIP_1) | instid1(VALU_DEP_3)
	v_lshlrev_b32_e32 v5, 20, v5
	v_lshl_add_u32 v17, v17, 23, 0x3c000000
	v_and_b32_e32 v18, 0x80000000, v18
	s_delay_alu instid0(VALU_DEP_1) | instskip(NEXT) | instid1(VALU_DEP_1)
	v_or3_b32 v5, v5, v18, v17
	v_dual_mov_b32 v18, v6 :: v_dual_mov_b32 v17, v5
.LBB224_542:                            ;   in Loop: Header=BB224_418 Depth=1
	s_or_b32 exec_lo, exec_lo, s16
.LBB224_543:                            ;   in Loop: Header=BB224_418 Depth=1
	s_delay_alu instid0(SALU_CYCLE_1)
	s_or_b32 exec_lo, exec_lo, s14
.LBB224_544:                            ;   in Loop: Header=BB224_418 Depth=1
	s_delay_alu instid0(SALU_CYCLE_1) | instskip(NEXT) | instid1(SALU_CYCLE_1)
	s_or_b32 exec_lo, exec_lo, s2
	s_mov_b32 s14, exec_lo
	v_cmpx_lt_u32_e32 0xffffff, v54
	s_cbranch_execz .LBB224_552
; %bb.545:                              ;   in Loop: Header=BB224_418 Depth=1
	v_lshrrev_b32_e32 v55, 24, v54
	v_dual_mov_b32 v20, s9 :: v_dual_mov_b32 v19, s8
	s_mov_b32 s16, exec_lo
	s_delay_alu instid0(VALU_DEP_2)
	v_cmpx_ne_u32_e32 0x80, v55
	s_cbranch_execz .LBB224_551
; %bb.546:                              ;   in Loop: Header=BB224_418 Depth=1
	s_mov_b32 s2, s8
	v_bfe_u32 v54, v54, 24, 7
	v_dual_mov_b32 v20, s3 :: v_dual_mov_b32 v19, s2
	s_mov_b32 s2, exec_lo
	s_delay_alu instid0(VALU_DEP_2)
	v_cmpx_ne_u32_e32 0x7f, v54
	s_cbranch_execz .LBB224_550
; %bb.547:                              ;   in Loop: Header=BB224_418 Depth=1
	v_and_b32_e32 v5, 7, v55
	v_lshrrev_b32_e32 v19, 3, v54
	s_mov_b32 s17, exec_lo
	v_cmpx_gt_u32_e32 8, v54
; %bb.548:                              ;   in Loop: Header=BB224_418 Depth=1
	s_delay_alu instid0(VALU_DEP_3) | instskip(NEXT) | instid1(VALU_DEP_1)
	v_clz_i32_u32_e32 v19, v5
	v_min_u32_e32 v19, 32, v19
	s_delay_alu instid0(VALU_DEP_1) | instskip(SKIP_1) | instid1(VALU_DEP_2)
	v_subrev_nc_u32_e32 v20, 28, v19
	v_sub_nc_u32_e32 v19, 29, v19
	v_lshlrev_b64 v[56:57], v20, v[5:6]
	s_delay_alu instid0(VALU_DEP_1)
	v_and_b32_e32 v5, 7, v56
; %bb.549:                              ;   in Loop: Header=BB224_418 Depth=1
	s_or_b32 exec_lo, exec_lo, s17
	v_lshlrev_b32_e32 v20, 24, v55
	s_delay_alu instid0(VALU_DEP_2) | instskip(SKIP_1) | instid1(VALU_DEP_3)
	v_lshlrev_b32_e32 v5, 20, v5
	v_lshl_add_u32 v19, v19, 23, 0x3c000000
	v_and_b32_e32 v20, 0x80000000, v20
	s_delay_alu instid0(VALU_DEP_1)
	v_or3_b32 v20, v5, v20, v19
	v_mov_b32_e32 v19, v6
.LBB224_550:                            ;   in Loop: Header=BB224_418 Depth=1
	s_or_b32 exec_lo, exec_lo, s2
.LBB224_551:                            ;   in Loop: Header=BB224_418 Depth=1
	s_delay_alu instid0(SALU_CYCLE_1)
	s_or_b32 exec_lo, exec_lo, s16
.LBB224_552:                            ;   in Loop: Header=BB224_418 Depth=1
	s_delay_alu instid0(SALU_CYCLE_1) | instskip(SKIP_4) | instid1(VALU_DEP_4)
	s_or_b32 exec_lo, exec_lo, s14
	v_or_b32_e32 v5, v16, v14
	v_or_b32_e32 v13, v15, v13
	;; [unrolled: 1-line block ×4, first 2 shown]
	v_mul_f32_e32 v57, s7, v5
	s_delay_alu instid0(VALU_DEP_4) | instskip(NEXT) | instid1(VALU_DEP_3)
	v_mul_f32_e32 v56, s5, v13
	v_dual_mul_f32 v54, s7, v14 :: v_dual_mul_f32 v55, s5, v15
	s_and_saveexec_b32 s2, vcc_lo
; %bb.553:                              ;   in Loop: Header=BB224_418 Depth=1
	v_cmp_gt_i32_e64 s0, s33, v42
	s_delay_alu instid0(VALU_DEP_1) | instskip(SKIP_1) | instid1(VALU_DEP_1)
	v_cndmask_b32_e64 v56, 0, v56, s0
	v_cmp_gt_i32_e64 s0, s33, v44
	v_cndmask_b32_e64 v57, 0, v57, s0
	v_cmp_gt_i32_e64 s0, s33, v43
	s_delay_alu instid0(VALU_DEP_1) | instskip(SKIP_1) | instid1(VALU_DEP_1)
	v_cndmask_b32_e64 v55, 0, v55, s0
	v_cmp_gt_i32_e64 s0, s33, v36
	v_cndmask_b32_e64 v54, 0, v54, s0
; %bb.554:                              ;   in Loop: Header=BB224_418 Depth=1
	s_or_b32 exec_lo, exec_lo, s2
	global_load_b32 v58, v[11:12], off offset:512
	v_mov_b32_e32 v15, 0
	v_mov_b32_e32 v16, 0
	s_mov_b32 s2, exec_lo
	s_waitcnt vmcnt(0)
	v_and_b32_e32 v5, 0xff, v58
	s_delay_alu instid0(VALU_DEP_2) | instskip(NEXT) | instid1(VALU_DEP_2)
	v_dual_mov_b32 v13, v15 :: v_dual_mov_b32 v14, v16
	v_cmpx_ne_u16_e32 0, v5
	s_cbranch_execz .LBB224_562
; %bb.555:                              ;   in Loop: Header=BB224_418 Depth=1
	v_bfrev_b32_e32 v13, 1
	v_mov_b32_e32 v14, 0
	s_mov_b32 s14, exec_lo
	v_cmpx_ne_u16_e32 0x80, v5
	s_cbranch_execz .LBB224_561
; %bb.556:                              ;   in Loop: Header=BB224_418 Depth=1
	v_mov_b32_e32 v13, 0x7f800001
	v_dual_mov_b32 v14, 0 :: v_dual_and_b32 v17, 0x7f, v58
	s_mov_b32 s16, exec_lo
	s_delay_alu instid0(VALU_DEP_1)
	v_cmpx_ne_u32_e32 0x7f, v17
	s_cbranch_execz .LBB224_560
; %bb.557:                              ;   in Loop: Header=BB224_418 Depth=1
	v_and_b32_e32 v5, 7, v58
	v_lshrrev_b32_e32 v13, 3, v17
	s_mov_b32 s17, exec_lo
	v_cmpx_gt_u32_e32 8, v17
; %bb.558:                              ;   in Loop: Header=BB224_418 Depth=1
	s_delay_alu instid0(VALU_DEP_3) | instskip(NEXT) | instid1(VALU_DEP_1)
	v_clz_i32_u32_e32 v13, v5
	v_min_u32_e32 v13, 32, v13
	s_delay_alu instid0(VALU_DEP_1) | instskip(SKIP_1) | instid1(VALU_DEP_2)
	v_subrev_nc_u32_e32 v14, 28, v13
	v_sub_nc_u32_e32 v13, 29, v13
	v_lshlrev_b64 v[17:18], v14, v[5:6]
	s_delay_alu instid0(VALU_DEP_1)
	v_and_b32_e32 v5, 7, v17
; %bb.559:                              ;   in Loop: Header=BB224_418 Depth=1
	s_or_b32 exec_lo, exec_lo, s17
	v_lshlrev_b32_e32 v14, 24, v58
	s_delay_alu instid0(VALU_DEP_2) | instskip(SKIP_1) | instid1(VALU_DEP_3)
	v_lshlrev_b32_e32 v5, 20, v5
	v_lshl_add_u32 v13, v13, 23, 0x3c000000
	v_and_b32_e32 v14, 0x80000000, v14
	s_delay_alu instid0(VALU_DEP_1) | instskip(NEXT) | instid1(VALU_DEP_1)
	v_or3_b32 v5, v5, v14, v13
	v_dual_mov_b32 v14, v6 :: v_dual_mov_b32 v13, v5
.LBB224_560:                            ;   in Loop: Header=BB224_418 Depth=1
	s_or_b32 exec_lo, exec_lo, s16
.LBB224_561:                            ;   in Loop: Header=BB224_418 Depth=1
	s_delay_alu instid0(SALU_CYCLE_1)
	s_or_b32 exec_lo, exec_lo, s14
.LBB224_562:                            ;   in Loop: Header=BB224_418 Depth=1
	s_delay_alu instid0(SALU_CYCLE_1) | instskip(SKIP_2) | instid1(VALU_DEP_1)
	s_or_b32 exec_lo, exec_lo, s2
	v_lshrrev_b16 v5, 8, v58
	s_mov_b32 s14, exec_lo
	v_cmpx_ne_u16_e32 0, v5
	s_cbranch_execz .LBB224_570
; %bb.563:                              ;   in Loop: Header=BB224_418 Depth=1
	v_dual_mov_b32 v16, s9 :: v_dual_mov_b32 v15, s8
	s_mov_b32 s16, exec_lo
	v_cmpx_ne_u16_e32 0x80, v5
	s_cbranch_execz .LBB224_569
; %bb.564:                              ;   in Loop: Header=BB224_418 Depth=1
	s_mov_b32 s2, s8
	v_dual_mov_b32 v16, s3 :: v_dual_and_b32 v5, 0xffff, v5
	v_mov_b32_e32 v15, s2
	s_mov_b32 s2, exec_lo
	s_delay_alu instid0(VALU_DEP_2) | instskip(NEXT) | instid1(VALU_DEP_1)
	v_and_b32_e32 v17, 0x7f, v5
	v_cmpx_ne_u32_e32 0x7f, v17
	s_cbranch_execz .LBB224_568
; %bb.565:                              ;   in Loop: Header=BB224_418 Depth=1
	v_and_b32_e32 v5, 7, v5
	v_lshrrev_b32_e32 v15, 3, v17
	s_mov_b32 s17, exec_lo
	v_cmpx_gt_u32_e32 8, v17
; %bb.566:                              ;   in Loop: Header=BB224_418 Depth=1
	s_delay_alu instid0(VALU_DEP_3) | instskip(NEXT) | instid1(VALU_DEP_1)
	v_clz_i32_u32_e32 v15, v5
	v_min_u32_e32 v15, 32, v15
	s_delay_alu instid0(VALU_DEP_1) | instskip(SKIP_1) | instid1(VALU_DEP_2)
	v_subrev_nc_u32_e32 v16, 28, v15
	v_sub_nc_u32_e32 v15, 29, v15
	v_lshlrev_b64 v[16:17], v16, v[5:6]
	s_delay_alu instid0(VALU_DEP_1)
	v_and_b32_e32 v5, 7, v16
; %bb.567:                              ;   in Loop: Header=BB224_418 Depth=1
	s_or_b32 exec_lo, exec_lo, s17
	v_lshlrev_b32_e32 v16, 16, v58
	s_delay_alu instid0(VALU_DEP_2) | instskip(SKIP_1) | instid1(VALU_DEP_3)
	v_lshlrev_b32_e32 v5, 20, v5
	v_lshl_add_u32 v15, v15, 23, 0x3c000000
	v_and_b32_e32 v16, 0x80000000, v16
	s_delay_alu instid0(VALU_DEP_1)
	v_or3_b32 v16, v5, v16, v15
	v_mov_b32_e32 v15, v6
.LBB224_568:                            ;   in Loop: Header=BB224_418 Depth=1
	s_or_b32 exec_lo, exec_lo, s2
.LBB224_569:                            ;   in Loop: Header=BB224_418 Depth=1
	s_delay_alu instid0(SALU_CYCLE_1)
	s_or_b32 exec_lo, exec_lo, s16
.LBB224_570:                            ;   in Loop: Header=BB224_418 Depth=1
	s_delay_alu instid0(SALU_CYCLE_1) | instskip(SKIP_4) | instid1(VALU_DEP_2)
	s_or_b32 exec_lo, exec_lo, s14
	v_mov_b32_e32 v19, 0
	v_lshrrev_b32_e32 v59, 16, v58
	v_mov_b32_e32 v20, 0
	s_mov_b32 s2, exec_lo
	v_and_b32_e32 v5, 0xff, v59
	s_delay_alu instid0(VALU_DEP_2) | instskip(NEXT) | instid1(VALU_DEP_2)
	v_dual_mov_b32 v17, v19 :: v_dual_mov_b32 v18, v20
	v_cmpx_ne_u16_e32 0, v5
	s_cbranch_execz .LBB224_578
; %bb.571:                              ;   in Loop: Header=BB224_418 Depth=1
	v_bfrev_b32_e32 v17, 1
	v_mov_b32_e32 v18, 0
	s_mov_b32 s14, exec_lo
	v_cmpx_ne_u16_e32 0x80, v5
	s_cbranch_execz .LBB224_577
; %bb.572:                              ;   in Loop: Header=BB224_418 Depth=1
	v_mov_b32_e32 v17, 0x7f800001
	v_bfe_u32 v60, v58, 16, 7
	v_mov_b32_e32 v18, 0
	s_mov_b32 s16, exec_lo
	s_delay_alu instid0(VALU_DEP_2)
	v_cmpx_ne_u32_e32 0x7f, v60
	s_cbranch_execz .LBB224_576
; %bb.573:                              ;   in Loop: Header=BB224_418 Depth=1
	v_and_b32_e32 v5, 7, v59
	v_lshrrev_b32_e32 v17, 3, v60
	s_mov_b32 s17, exec_lo
	v_cmpx_gt_u32_e32 8, v60
; %bb.574:                              ;   in Loop: Header=BB224_418 Depth=1
	s_delay_alu instid0(VALU_DEP_3) | instskip(NEXT) | instid1(VALU_DEP_1)
	v_clz_i32_u32_e32 v17, v5
	v_min_u32_e32 v17, 32, v17
	s_delay_alu instid0(VALU_DEP_1) | instskip(SKIP_1) | instid1(VALU_DEP_2)
	v_subrev_nc_u32_e32 v18, 28, v17
	v_sub_nc_u32_e32 v17, 29, v17
	v_lshlrev_b64 v[62:63], v18, v[5:6]
	s_delay_alu instid0(VALU_DEP_1)
	v_and_b32_e32 v5, 7, v62
; %bb.575:                              ;   in Loop: Header=BB224_418 Depth=1
	s_or_b32 exec_lo, exec_lo, s17
	v_lshlrev_b32_e32 v18, 24, v59
	s_delay_alu instid0(VALU_DEP_2) | instskip(SKIP_1) | instid1(VALU_DEP_3)
	v_lshlrev_b32_e32 v5, 20, v5
	v_lshl_add_u32 v17, v17, 23, 0x3c000000
	v_and_b32_e32 v18, 0x80000000, v18
	s_delay_alu instid0(VALU_DEP_1) | instskip(NEXT) | instid1(VALU_DEP_1)
	v_or3_b32 v5, v5, v18, v17
	v_dual_mov_b32 v18, v6 :: v_dual_mov_b32 v17, v5
.LBB224_576:                            ;   in Loop: Header=BB224_418 Depth=1
	s_or_b32 exec_lo, exec_lo, s16
.LBB224_577:                            ;   in Loop: Header=BB224_418 Depth=1
	s_delay_alu instid0(SALU_CYCLE_1)
	s_or_b32 exec_lo, exec_lo, s14
.LBB224_578:                            ;   in Loop: Header=BB224_418 Depth=1
	s_delay_alu instid0(SALU_CYCLE_1) | instskip(NEXT) | instid1(SALU_CYCLE_1)
	s_or_b32 exec_lo, exec_lo, s2
	s_mov_b32 s14, exec_lo
	v_cmpx_lt_u32_e32 0xffffff, v58
	s_cbranch_execz .LBB224_586
; %bb.579:                              ;   in Loop: Header=BB224_418 Depth=1
	v_lshrrev_b32_e32 v59, 24, v58
	v_dual_mov_b32 v20, s9 :: v_dual_mov_b32 v19, s8
	s_mov_b32 s16, exec_lo
	s_delay_alu instid0(VALU_DEP_2)
	v_cmpx_ne_u32_e32 0x80, v59
	s_cbranch_execz .LBB224_585
; %bb.580:                              ;   in Loop: Header=BB224_418 Depth=1
	s_mov_b32 s2, s8
	v_bfe_u32 v58, v58, 24, 7
	v_dual_mov_b32 v20, s3 :: v_dual_mov_b32 v19, s2
	s_mov_b32 s2, exec_lo
	s_delay_alu instid0(VALU_DEP_2)
	v_cmpx_ne_u32_e32 0x7f, v58
	s_cbranch_execz .LBB224_584
; %bb.581:                              ;   in Loop: Header=BB224_418 Depth=1
	v_and_b32_e32 v5, 7, v59
	v_lshrrev_b32_e32 v19, 3, v58
	s_mov_b32 s17, exec_lo
	v_cmpx_gt_u32_e32 8, v58
; %bb.582:                              ;   in Loop: Header=BB224_418 Depth=1
	s_delay_alu instid0(VALU_DEP_3) | instskip(NEXT) | instid1(VALU_DEP_1)
	v_clz_i32_u32_e32 v19, v5
	v_min_u32_e32 v19, 32, v19
	s_delay_alu instid0(VALU_DEP_1) | instskip(SKIP_1) | instid1(VALU_DEP_2)
	v_subrev_nc_u32_e32 v20, 28, v19
	v_sub_nc_u32_e32 v19, 29, v19
	v_lshlrev_b64 v[62:63], v20, v[5:6]
	s_delay_alu instid0(VALU_DEP_1)
	v_and_b32_e32 v5, 7, v62
; %bb.583:                              ;   in Loop: Header=BB224_418 Depth=1
	s_or_b32 exec_lo, exec_lo, s17
	v_lshlrev_b32_e32 v20, 24, v59
	s_delay_alu instid0(VALU_DEP_2) | instskip(SKIP_1) | instid1(VALU_DEP_3)
	v_lshlrev_b32_e32 v5, 20, v5
	v_lshl_add_u32 v19, v19, 23, 0x3c000000
	v_and_b32_e32 v20, 0x80000000, v20
	s_delay_alu instid0(VALU_DEP_1)
	v_or3_b32 v20, v5, v20, v19
	v_mov_b32_e32 v19, v6
.LBB224_584:                            ;   in Loop: Header=BB224_418 Depth=1
	s_or_b32 exec_lo, exec_lo, s2
.LBB224_585:                            ;   in Loop: Header=BB224_418 Depth=1
	s_delay_alu instid0(SALU_CYCLE_1)
	s_or_b32 exec_lo, exec_lo, s16
.LBB224_586:                            ;   in Loop: Header=BB224_418 Depth=1
	s_delay_alu instid0(SALU_CYCLE_1) | instskip(SKIP_4) | instid1(VALU_DEP_4)
	s_or_b32 exec_lo, exec_lo, s14
	v_or_b32_e32 v5, v16, v14
	v_or_b32_e32 v13, v15, v13
	;; [unrolled: 1-line block ×4, first 2 shown]
	v_mul_f32_e32 v62, s7, v5
	s_delay_alu instid0(VALU_DEP_4) | instskip(NEXT) | instid1(VALU_DEP_3)
	v_mul_f32_e32 v60, s5, v13
	v_dual_mul_f32 v58, s7, v14 :: v_dual_mul_f32 v59, s5, v15
	s_and_saveexec_b32 s2, vcc_lo
; %bb.587:                              ;   in Loop: Header=BB224_418 Depth=1
	v_cmp_gt_i32_e64 s0, s33, v42
	s_delay_alu instid0(VALU_DEP_1) | instskip(SKIP_1) | instid1(VALU_DEP_1)
	v_cndmask_b32_e64 v60, 0, v60, s0
	v_cmp_gt_i32_e64 s0, s33, v44
	v_cndmask_b32_e64 v62, 0, v62, s0
	v_cmp_gt_i32_e64 s0, s33, v43
	s_delay_alu instid0(VALU_DEP_1) | instskip(SKIP_1) | instid1(VALU_DEP_1)
	v_cndmask_b32_e64 v59, 0, v59, s0
	v_cmp_gt_i32_e64 s0, s33, v36
	v_cndmask_b32_e64 v58, 0, v58, s0
; %bb.588:                              ;   in Loop: Header=BB224_418 Depth=1
	s_or_b32 exec_lo, exec_lo, s2
	global_load_b32 v63, v[11:12], off offset:640
	v_mov_b32_e32 v15, 0
	v_mov_b32_e32 v16, 0
	s_mov_b32 s2, exec_lo
	s_waitcnt vmcnt(0)
	v_and_b32_e32 v5, 0xff, v63
	s_delay_alu instid0(VALU_DEP_2) | instskip(NEXT) | instid1(VALU_DEP_2)
	v_dual_mov_b32 v13, v15 :: v_dual_mov_b32 v14, v16
	v_cmpx_ne_u16_e32 0, v5
	s_cbranch_execz .LBB224_596
; %bb.589:                              ;   in Loop: Header=BB224_418 Depth=1
	v_bfrev_b32_e32 v13, 1
	v_mov_b32_e32 v14, 0
	s_mov_b32 s14, exec_lo
	v_cmpx_ne_u16_e32 0x80, v5
	s_cbranch_execz .LBB224_595
; %bb.590:                              ;   in Loop: Header=BB224_418 Depth=1
	v_mov_b32_e32 v13, 0x7f800001
	v_dual_mov_b32 v14, 0 :: v_dual_and_b32 v17, 0x7f, v63
	s_mov_b32 s16, exec_lo
	s_delay_alu instid0(VALU_DEP_1)
	v_cmpx_ne_u32_e32 0x7f, v17
	s_cbranch_execz .LBB224_594
; %bb.591:                              ;   in Loop: Header=BB224_418 Depth=1
	v_and_b32_e32 v5, 7, v63
	v_lshrrev_b32_e32 v13, 3, v17
	s_mov_b32 s17, exec_lo
	v_cmpx_gt_u32_e32 8, v17
; %bb.592:                              ;   in Loop: Header=BB224_418 Depth=1
	s_delay_alu instid0(VALU_DEP_3) | instskip(NEXT) | instid1(VALU_DEP_1)
	v_clz_i32_u32_e32 v13, v5
	v_min_u32_e32 v13, 32, v13
	s_delay_alu instid0(VALU_DEP_1) | instskip(SKIP_1) | instid1(VALU_DEP_2)
	v_subrev_nc_u32_e32 v14, 28, v13
	v_sub_nc_u32_e32 v13, 29, v13
	v_lshlrev_b64 v[17:18], v14, v[5:6]
	s_delay_alu instid0(VALU_DEP_1)
	v_and_b32_e32 v5, 7, v17
; %bb.593:                              ;   in Loop: Header=BB224_418 Depth=1
	s_or_b32 exec_lo, exec_lo, s17
	v_lshlrev_b32_e32 v14, 24, v63
	s_delay_alu instid0(VALU_DEP_2) | instskip(SKIP_1) | instid1(VALU_DEP_3)
	v_lshlrev_b32_e32 v5, 20, v5
	v_lshl_add_u32 v13, v13, 23, 0x3c000000
	v_and_b32_e32 v14, 0x80000000, v14
	s_delay_alu instid0(VALU_DEP_1) | instskip(NEXT) | instid1(VALU_DEP_1)
	v_or3_b32 v5, v5, v14, v13
	v_dual_mov_b32 v14, v6 :: v_dual_mov_b32 v13, v5
.LBB224_594:                            ;   in Loop: Header=BB224_418 Depth=1
	s_or_b32 exec_lo, exec_lo, s16
.LBB224_595:                            ;   in Loop: Header=BB224_418 Depth=1
	s_delay_alu instid0(SALU_CYCLE_1)
	s_or_b32 exec_lo, exec_lo, s14
.LBB224_596:                            ;   in Loop: Header=BB224_418 Depth=1
	s_delay_alu instid0(SALU_CYCLE_1) | instskip(SKIP_2) | instid1(VALU_DEP_1)
	s_or_b32 exec_lo, exec_lo, s2
	v_lshrrev_b16 v5, 8, v63
	s_mov_b32 s14, exec_lo
	v_cmpx_ne_u16_e32 0, v5
	s_cbranch_execz .LBB224_604
; %bb.597:                              ;   in Loop: Header=BB224_418 Depth=1
	v_dual_mov_b32 v16, s9 :: v_dual_mov_b32 v15, s8
	s_mov_b32 s16, exec_lo
	v_cmpx_ne_u16_e32 0x80, v5
	s_cbranch_execz .LBB224_603
; %bb.598:                              ;   in Loop: Header=BB224_418 Depth=1
	s_mov_b32 s2, s8
	v_dual_mov_b32 v16, s3 :: v_dual_and_b32 v5, 0xffff, v5
	v_mov_b32_e32 v15, s2
	s_mov_b32 s2, exec_lo
	s_delay_alu instid0(VALU_DEP_2) | instskip(NEXT) | instid1(VALU_DEP_1)
	v_and_b32_e32 v17, 0x7f, v5
	v_cmpx_ne_u32_e32 0x7f, v17
	s_cbranch_execz .LBB224_602
; %bb.599:                              ;   in Loop: Header=BB224_418 Depth=1
	v_and_b32_e32 v5, 7, v5
	v_lshrrev_b32_e32 v15, 3, v17
	s_mov_b32 s17, exec_lo
	v_cmpx_gt_u32_e32 8, v17
; %bb.600:                              ;   in Loop: Header=BB224_418 Depth=1
	s_delay_alu instid0(VALU_DEP_3) | instskip(NEXT) | instid1(VALU_DEP_1)
	v_clz_i32_u32_e32 v15, v5
	v_min_u32_e32 v15, 32, v15
	s_delay_alu instid0(VALU_DEP_1) | instskip(SKIP_1) | instid1(VALU_DEP_2)
	v_subrev_nc_u32_e32 v16, 28, v15
	v_sub_nc_u32_e32 v15, 29, v15
	v_lshlrev_b64 v[16:17], v16, v[5:6]
	s_delay_alu instid0(VALU_DEP_1)
	v_and_b32_e32 v5, 7, v16
; %bb.601:                              ;   in Loop: Header=BB224_418 Depth=1
	s_or_b32 exec_lo, exec_lo, s17
	v_lshlrev_b32_e32 v16, 16, v63
	s_delay_alu instid0(VALU_DEP_2) | instskip(SKIP_1) | instid1(VALU_DEP_3)
	v_lshlrev_b32_e32 v5, 20, v5
	v_lshl_add_u32 v15, v15, 23, 0x3c000000
	v_and_b32_e32 v16, 0x80000000, v16
	s_delay_alu instid0(VALU_DEP_1)
	v_or3_b32 v16, v5, v16, v15
	v_mov_b32_e32 v15, v6
.LBB224_602:                            ;   in Loop: Header=BB224_418 Depth=1
	s_or_b32 exec_lo, exec_lo, s2
.LBB224_603:                            ;   in Loop: Header=BB224_418 Depth=1
	s_delay_alu instid0(SALU_CYCLE_1)
	s_or_b32 exec_lo, exec_lo, s16
.LBB224_604:                            ;   in Loop: Header=BB224_418 Depth=1
	s_delay_alu instid0(SALU_CYCLE_1) | instskip(SKIP_4) | instid1(VALU_DEP_2)
	s_or_b32 exec_lo, exec_lo, s14
	v_mov_b32_e32 v19, 0
	v_lshrrev_b32_e32 v64, 16, v63
	v_mov_b32_e32 v20, 0
	s_mov_b32 s2, exec_lo
	v_and_b32_e32 v5, 0xff, v64
	s_delay_alu instid0(VALU_DEP_2) | instskip(NEXT) | instid1(VALU_DEP_2)
	v_dual_mov_b32 v17, v19 :: v_dual_mov_b32 v18, v20
	v_cmpx_ne_u16_e32 0, v5
	s_cbranch_execz .LBB224_612
; %bb.605:                              ;   in Loop: Header=BB224_418 Depth=1
	v_bfrev_b32_e32 v17, 1
	v_mov_b32_e32 v18, 0
	s_mov_b32 s14, exec_lo
	v_cmpx_ne_u16_e32 0x80, v5
	s_cbranch_execz .LBB224_611
; %bb.606:                              ;   in Loop: Header=BB224_418 Depth=1
	v_mov_b32_e32 v17, 0x7f800001
	v_bfe_u32 v65, v63, 16, 7
	v_mov_b32_e32 v18, 0
	s_mov_b32 s16, exec_lo
	s_delay_alu instid0(VALU_DEP_2)
	v_cmpx_ne_u32_e32 0x7f, v65
	s_cbranch_execz .LBB224_610
; %bb.607:                              ;   in Loop: Header=BB224_418 Depth=1
	v_and_b32_e32 v5, 7, v64
	v_lshrrev_b32_e32 v17, 3, v65
	s_mov_b32 s17, exec_lo
	v_cmpx_gt_u32_e32 8, v65
; %bb.608:                              ;   in Loop: Header=BB224_418 Depth=1
	s_delay_alu instid0(VALU_DEP_3) | instskip(NEXT) | instid1(VALU_DEP_1)
	v_clz_i32_u32_e32 v17, v5
	v_min_u32_e32 v17, 32, v17
	s_delay_alu instid0(VALU_DEP_1) | instskip(SKIP_1) | instid1(VALU_DEP_2)
	v_subrev_nc_u32_e32 v18, 28, v17
	v_sub_nc_u32_e32 v17, 29, v17
	v_lshlrev_b64 v[65:66], v18, v[5:6]
	s_delay_alu instid0(VALU_DEP_1)
	v_and_b32_e32 v5, 7, v65
; %bb.609:                              ;   in Loop: Header=BB224_418 Depth=1
	s_or_b32 exec_lo, exec_lo, s17
	v_lshlrev_b32_e32 v18, 24, v64
	s_delay_alu instid0(VALU_DEP_2) | instskip(SKIP_1) | instid1(VALU_DEP_3)
	v_lshlrev_b32_e32 v5, 20, v5
	v_lshl_add_u32 v17, v17, 23, 0x3c000000
	v_and_b32_e32 v18, 0x80000000, v18
	s_delay_alu instid0(VALU_DEP_1) | instskip(NEXT) | instid1(VALU_DEP_1)
	v_or3_b32 v5, v5, v18, v17
	v_dual_mov_b32 v18, v6 :: v_dual_mov_b32 v17, v5
.LBB224_610:                            ;   in Loop: Header=BB224_418 Depth=1
	s_or_b32 exec_lo, exec_lo, s16
.LBB224_611:                            ;   in Loop: Header=BB224_418 Depth=1
	s_delay_alu instid0(SALU_CYCLE_1)
	s_or_b32 exec_lo, exec_lo, s14
.LBB224_612:                            ;   in Loop: Header=BB224_418 Depth=1
	s_delay_alu instid0(SALU_CYCLE_1) | instskip(NEXT) | instid1(SALU_CYCLE_1)
	s_or_b32 exec_lo, exec_lo, s2
	s_mov_b32 s14, exec_lo
	v_cmpx_lt_u32_e32 0xffffff, v63
	s_cbranch_execz .LBB224_620
; %bb.613:                              ;   in Loop: Header=BB224_418 Depth=1
	v_lshrrev_b32_e32 v64, 24, v63
	v_dual_mov_b32 v20, s9 :: v_dual_mov_b32 v19, s8
	s_mov_b32 s16, exec_lo
	s_delay_alu instid0(VALU_DEP_2)
	v_cmpx_ne_u32_e32 0x80, v64
	s_cbranch_execz .LBB224_619
; %bb.614:                              ;   in Loop: Header=BB224_418 Depth=1
	s_mov_b32 s2, s8
	v_bfe_u32 v63, v63, 24, 7
	v_dual_mov_b32 v20, s3 :: v_dual_mov_b32 v19, s2
	s_mov_b32 s2, exec_lo
	s_delay_alu instid0(VALU_DEP_2)
	v_cmpx_ne_u32_e32 0x7f, v63
	s_cbranch_execz .LBB224_618
; %bb.615:                              ;   in Loop: Header=BB224_418 Depth=1
	v_and_b32_e32 v5, 7, v64
	v_lshrrev_b32_e32 v19, 3, v63
	s_mov_b32 s17, exec_lo
	v_cmpx_gt_u32_e32 8, v63
; %bb.616:                              ;   in Loop: Header=BB224_418 Depth=1
	s_delay_alu instid0(VALU_DEP_3) | instskip(NEXT) | instid1(VALU_DEP_1)
	v_clz_i32_u32_e32 v19, v5
	v_min_u32_e32 v19, 32, v19
	s_delay_alu instid0(VALU_DEP_1) | instskip(SKIP_1) | instid1(VALU_DEP_2)
	v_subrev_nc_u32_e32 v20, 28, v19
	v_sub_nc_u32_e32 v19, 29, v19
	v_lshlrev_b64 v[65:66], v20, v[5:6]
	s_delay_alu instid0(VALU_DEP_1)
	v_and_b32_e32 v5, 7, v65
; %bb.617:                              ;   in Loop: Header=BB224_418 Depth=1
	s_or_b32 exec_lo, exec_lo, s17
	v_lshlrev_b32_e32 v20, 24, v64
	s_delay_alu instid0(VALU_DEP_2) | instskip(SKIP_1) | instid1(VALU_DEP_3)
	v_lshlrev_b32_e32 v5, 20, v5
	v_lshl_add_u32 v19, v19, 23, 0x3c000000
	v_and_b32_e32 v20, 0x80000000, v20
	s_delay_alu instid0(VALU_DEP_1)
	v_or3_b32 v20, v5, v20, v19
	v_mov_b32_e32 v19, v6
.LBB224_618:                            ;   in Loop: Header=BB224_418 Depth=1
	s_or_b32 exec_lo, exec_lo, s2
.LBB224_619:                            ;   in Loop: Header=BB224_418 Depth=1
	s_delay_alu instid0(SALU_CYCLE_1)
	s_or_b32 exec_lo, exec_lo, s16
.LBB224_620:                            ;   in Loop: Header=BB224_418 Depth=1
	s_delay_alu instid0(SALU_CYCLE_1) | instskip(SKIP_4) | instid1(VALU_DEP_4)
	s_or_b32 exec_lo, exec_lo, s14
	v_or_b32_e32 v5, v16, v14
	v_or_b32_e32 v13, v15, v13
	;; [unrolled: 1-line block ×4, first 2 shown]
	v_mul_f32_e32 v66, s7, v5
	s_delay_alu instid0(VALU_DEP_4) | instskip(NEXT) | instid1(VALU_DEP_3)
	v_mul_f32_e32 v65, s5, v13
	v_dual_mul_f32 v63, s7, v14 :: v_dual_mul_f32 v64, s5, v15
	s_and_saveexec_b32 s2, vcc_lo
; %bb.621:                              ;   in Loop: Header=BB224_418 Depth=1
	v_cmp_gt_i32_e64 s0, s33, v42
	s_delay_alu instid0(VALU_DEP_1) | instskip(SKIP_1) | instid1(VALU_DEP_1)
	v_cndmask_b32_e64 v65, 0, v65, s0
	v_cmp_gt_i32_e64 s0, s33, v44
	v_cndmask_b32_e64 v66, 0, v66, s0
	v_cmp_gt_i32_e64 s0, s33, v43
	s_delay_alu instid0(VALU_DEP_1) | instskip(SKIP_1) | instid1(VALU_DEP_1)
	v_cndmask_b32_e64 v64, 0, v64, s0
	v_cmp_gt_i32_e64 s0, s33, v36
	v_cndmask_b32_e64 v63, 0, v63, s0
; %bb.622:                              ;   in Loop: Header=BB224_418 Depth=1
	s_or_b32 exec_lo, exec_lo, s2
	global_load_b32 v67, v[11:12], off offset:768
	v_mov_b32_e32 v15, 0
	v_mov_b32_e32 v16, 0
	s_mov_b32 s2, exec_lo
	s_waitcnt vmcnt(0)
	v_and_b32_e32 v5, 0xff, v67
	s_delay_alu instid0(VALU_DEP_2) | instskip(NEXT) | instid1(VALU_DEP_2)
	v_dual_mov_b32 v13, v15 :: v_dual_mov_b32 v14, v16
	v_cmpx_ne_u16_e32 0, v5
	s_cbranch_execz .LBB224_630
; %bb.623:                              ;   in Loop: Header=BB224_418 Depth=1
	v_bfrev_b32_e32 v13, 1
	v_mov_b32_e32 v14, 0
	s_mov_b32 s14, exec_lo
	v_cmpx_ne_u16_e32 0x80, v5
	s_cbranch_execz .LBB224_629
; %bb.624:                              ;   in Loop: Header=BB224_418 Depth=1
	v_mov_b32_e32 v13, 0x7f800001
	v_dual_mov_b32 v14, 0 :: v_dual_and_b32 v17, 0x7f, v67
	s_mov_b32 s16, exec_lo
	s_delay_alu instid0(VALU_DEP_1)
	v_cmpx_ne_u32_e32 0x7f, v17
	s_cbranch_execz .LBB224_628
; %bb.625:                              ;   in Loop: Header=BB224_418 Depth=1
	v_and_b32_e32 v5, 7, v67
	v_lshrrev_b32_e32 v13, 3, v17
	s_mov_b32 s17, exec_lo
	v_cmpx_gt_u32_e32 8, v17
; %bb.626:                              ;   in Loop: Header=BB224_418 Depth=1
	s_delay_alu instid0(VALU_DEP_3) | instskip(NEXT) | instid1(VALU_DEP_1)
	v_clz_i32_u32_e32 v13, v5
	v_min_u32_e32 v13, 32, v13
	s_delay_alu instid0(VALU_DEP_1) | instskip(SKIP_1) | instid1(VALU_DEP_2)
	v_subrev_nc_u32_e32 v14, 28, v13
	v_sub_nc_u32_e32 v13, 29, v13
	v_lshlrev_b64 v[17:18], v14, v[5:6]
	s_delay_alu instid0(VALU_DEP_1)
	v_and_b32_e32 v5, 7, v17
; %bb.627:                              ;   in Loop: Header=BB224_418 Depth=1
	s_or_b32 exec_lo, exec_lo, s17
	v_lshlrev_b32_e32 v14, 24, v67
	s_delay_alu instid0(VALU_DEP_2) | instskip(SKIP_1) | instid1(VALU_DEP_3)
	v_lshlrev_b32_e32 v5, 20, v5
	v_lshl_add_u32 v13, v13, 23, 0x3c000000
	v_and_b32_e32 v14, 0x80000000, v14
	s_delay_alu instid0(VALU_DEP_1) | instskip(NEXT) | instid1(VALU_DEP_1)
	v_or3_b32 v5, v5, v14, v13
	v_dual_mov_b32 v14, v6 :: v_dual_mov_b32 v13, v5
.LBB224_628:                            ;   in Loop: Header=BB224_418 Depth=1
	s_or_b32 exec_lo, exec_lo, s16
.LBB224_629:                            ;   in Loop: Header=BB224_418 Depth=1
	s_delay_alu instid0(SALU_CYCLE_1)
	s_or_b32 exec_lo, exec_lo, s14
.LBB224_630:                            ;   in Loop: Header=BB224_418 Depth=1
	s_delay_alu instid0(SALU_CYCLE_1) | instskip(SKIP_2) | instid1(VALU_DEP_1)
	s_or_b32 exec_lo, exec_lo, s2
	v_lshrrev_b16 v5, 8, v67
	s_mov_b32 s14, exec_lo
	v_cmpx_ne_u16_e32 0, v5
	s_cbranch_execz .LBB224_638
; %bb.631:                              ;   in Loop: Header=BB224_418 Depth=1
	v_dual_mov_b32 v16, s9 :: v_dual_mov_b32 v15, s8
	s_mov_b32 s16, exec_lo
	v_cmpx_ne_u16_e32 0x80, v5
	s_cbranch_execz .LBB224_637
; %bb.632:                              ;   in Loop: Header=BB224_418 Depth=1
	s_mov_b32 s2, s8
	v_dual_mov_b32 v16, s3 :: v_dual_and_b32 v5, 0xffff, v5
	v_mov_b32_e32 v15, s2
	s_mov_b32 s2, exec_lo
	s_delay_alu instid0(VALU_DEP_2) | instskip(NEXT) | instid1(VALU_DEP_1)
	v_and_b32_e32 v17, 0x7f, v5
	v_cmpx_ne_u32_e32 0x7f, v17
	s_cbranch_execz .LBB224_636
; %bb.633:                              ;   in Loop: Header=BB224_418 Depth=1
	v_and_b32_e32 v5, 7, v5
	v_lshrrev_b32_e32 v15, 3, v17
	s_mov_b32 s17, exec_lo
	v_cmpx_gt_u32_e32 8, v17
; %bb.634:                              ;   in Loop: Header=BB224_418 Depth=1
	s_delay_alu instid0(VALU_DEP_3) | instskip(NEXT) | instid1(VALU_DEP_1)
	v_clz_i32_u32_e32 v15, v5
	v_min_u32_e32 v15, 32, v15
	s_delay_alu instid0(VALU_DEP_1) | instskip(SKIP_1) | instid1(VALU_DEP_2)
	v_subrev_nc_u32_e32 v16, 28, v15
	v_sub_nc_u32_e32 v15, 29, v15
	v_lshlrev_b64 v[16:17], v16, v[5:6]
	s_delay_alu instid0(VALU_DEP_1)
	v_and_b32_e32 v5, 7, v16
; %bb.635:                              ;   in Loop: Header=BB224_418 Depth=1
	s_or_b32 exec_lo, exec_lo, s17
	v_lshlrev_b32_e32 v16, 16, v67
	s_delay_alu instid0(VALU_DEP_2) | instskip(SKIP_1) | instid1(VALU_DEP_3)
	v_lshlrev_b32_e32 v5, 20, v5
	v_lshl_add_u32 v15, v15, 23, 0x3c000000
	v_and_b32_e32 v16, 0x80000000, v16
	s_delay_alu instid0(VALU_DEP_1)
	v_or3_b32 v16, v5, v16, v15
	v_mov_b32_e32 v15, v6
.LBB224_636:                            ;   in Loop: Header=BB224_418 Depth=1
	s_or_b32 exec_lo, exec_lo, s2
.LBB224_637:                            ;   in Loop: Header=BB224_418 Depth=1
	s_delay_alu instid0(SALU_CYCLE_1)
	s_or_b32 exec_lo, exec_lo, s16
.LBB224_638:                            ;   in Loop: Header=BB224_418 Depth=1
	s_delay_alu instid0(SALU_CYCLE_1) | instskip(SKIP_4) | instid1(VALU_DEP_2)
	s_or_b32 exec_lo, exec_lo, s14
	v_mov_b32_e32 v19, 0
	v_lshrrev_b32_e32 v68, 16, v67
	v_mov_b32_e32 v20, 0
	s_mov_b32 s2, exec_lo
	v_and_b32_e32 v5, 0xff, v68
	s_delay_alu instid0(VALU_DEP_2) | instskip(NEXT) | instid1(VALU_DEP_2)
	v_dual_mov_b32 v17, v19 :: v_dual_mov_b32 v18, v20
	v_cmpx_ne_u16_e32 0, v5
	s_cbranch_execz .LBB224_646
; %bb.639:                              ;   in Loop: Header=BB224_418 Depth=1
	v_bfrev_b32_e32 v17, 1
	v_mov_b32_e32 v18, 0
	s_mov_b32 s14, exec_lo
	v_cmpx_ne_u16_e32 0x80, v5
	s_cbranch_execz .LBB224_645
; %bb.640:                              ;   in Loop: Header=BB224_418 Depth=1
	v_mov_b32_e32 v17, 0x7f800001
	v_bfe_u32 v69, v67, 16, 7
	v_mov_b32_e32 v18, 0
	s_mov_b32 s16, exec_lo
	s_delay_alu instid0(VALU_DEP_2)
	v_cmpx_ne_u32_e32 0x7f, v69
	s_cbranch_execz .LBB224_644
; %bb.641:                              ;   in Loop: Header=BB224_418 Depth=1
	v_and_b32_e32 v5, 7, v68
	v_lshrrev_b32_e32 v17, 3, v69
	s_mov_b32 s17, exec_lo
	v_cmpx_gt_u32_e32 8, v69
; %bb.642:                              ;   in Loop: Header=BB224_418 Depth=1
	s_delay_alu instid0(VALU_DEP_3) | instskip(NEXT) | instid1(VALU_DEP_1)
	v_clz_i32_u32_e32 v17, v5
	v_min_u32_e32 v17, 32, v17
	s_delay_alu instid0(VALU_DEP_1) | instskip(SKIP_1) | instid1(VALU_DEP_2)
	v_subrev_nc_u32_e32 v18, 28, v17
	v_sub_nc_u32_e32 v17, 29, v17
	v_lshlrev_b64 v[69:70], v18, v[5:6]
	s_delay_alu instid0(VALU_DEP_1)
	v_and_b32_e32 v5, 7, v69
; %bb.643:                              ;   in Loop: Header=BB224_418 Depth=1
	s_or_b32 exec_lo, exec_lo, s17
	v_lshlrev_b32_e32 v18, 24, v68
	s_delay_alu instid0(VALU_DEP_2) | instskip(SKIP_1) | instid1(VALU_DEP_3)
	v_lshlrev_b32_e32 v5, 20, v5
	v_lshl_add_u32 v17, v17, 23, 0x3c000000
	v_and_b32_e32 v18, 0x80000000, v18
	s_delay_alu instid0(VALU_DEP_1) | instskip(NEXT) | instid1(VALU_DEP_1)
	v_or3_b32 v5, v5, v18, v17
	v_dual_mov_b32 v18, v6 :: v_dual_mov_b32 v17, v5
.LBB224_644:                            ;   in Loop: Header=BB224_418 Depth=1
	s_or_b32 exec_lo, exec_lo, s16
.LBB224_645:                            ;   in Loop: Header=BB224_418 Depth=1
	s_delay_alu instid0(SALU_CYCLE_1)
	s_or_b32 exec_lo, exec_lo, s14
.LBB224_646:                            ;   in Loop: Header=BB224_418 Depth=1
	s_delay_alu instid0(SALU_CYCLE_1) | instskip(NEXT) | instid1(SALU_CYCLE_1)
	s_or_b32 exec_lo, exec_lo, s2
	s_mov_b32 s14, exec_lo
	v_cmpx_lt_u32_e32 0xffffff, v67
	s_cbranch_execz .LBB224_654
; %bb.647:                              ;   in Loop: Header=BB224_418 Depth=1
	v_lshrrev_b32_e32 v68, 24, v67
	v_dual_mov_b32 v20, s9 :: v_dual_mov_b32 v19, s8
	s_mov_b32 s16, exec_lo
	s_delay_alu instid0(VALU_DEP_2)
	v_cmpx_ne_u32_e32 0x80, v68
	s_cbranch_execz .LBB224_653
; %bb.648:                              ;   in Loop: Header=BB224_418 Depth=1
	s_mov_b32 s2, s8
	v_bfe_u32 v67, v67, 24, 7
	v_dual_mov_b32 v20, s3 :: v_dual_mov_b32 v19, s2
	s_mov_b32 s2, exec_lo
	s_delay_alu instid0(VALU_DEP_2)
	v_cmpx_ne_u32_e32 0x7f, v67
	s_cbranch_execz .LBB224_652
; %bb.649:                              ;   in Loop: Header=BB224_418 Depth=1
	v_and_b32_e32 v5, 7, v68
	v_lshrrev_b32_e32 v19, 3, v67
	s_mov_b32 s17, exec_lo
	v_cmpx_gt_u32_e32 8, v67
; %bb.650:                              ;   in Loop: Header=BB224_418 Depth=1
	s_delay_alu instid0(VALU_DEP_3) | instskip(NEXT) | instid1(VALU_DEP_1)
	v_clz_i32_u32_e32 v19, v5
	v_min_u32_e32 v19, 32, v19
	s_delay_alu instid0(VALU_DEP_1) | instskip(SKIP_1) | instid1(VALU_DEP_2)
	v_subrev_nc_u32_e32 v20, 28, v19
	v_sub_nc_u32_e32 v19, 29, v19
	v_lshlrev_b64 v[69:70], v20, v[5:6]
	s_delay_alu instid0(VALU_DEP_1)
	v_and_b32_e32 v5, 7, v69
; %bb.651:                              ;   in Loop: Header=BB224_418 Depth=1
	s_or_b32 exec_lo, exec_lo, s17
	v_lshlrev_b32_e32 v20, 24, v68
	s_delay_alu instid0(VALU_DEP_2) | instskip(SKIP_1) | instid1(VALU_DEP_3)
	v_lshlrev_b32_e32 v5, 20, v5
	v_lshl_add_u32 v19, v19, 23, 0x3c000000
	v_and_b32_e32 v20, 0x80000000, v20
	s_delay_alu instid0(VALU_DEP_1)
	v_or3_b32 v20, v5, v20, v19
	v_mov_b32_e32 v19, v6
.LBB224_652:                            ;   in Loop: Header=BB224_418 Depth=1
	s_or_b32 exec_lo, exec_lo, s2
.LBB224_653:                            ;   in Loop: Header=BB224_418 Depth=1
	s_delay_alu instid0(SALU_CYCLE_1)
	s_or_b32 exec_lo, exec_lo, s16
.LBB224_654:                            ;   in Loop: Header=BB224_418 Depth=1
	s_delay_alu instid0(SALU_CYCLE_1) | instskip(SKIP_4) | instid1(VALU_DEP_4)
	s_or_b32 exec_lo, exec_lo, s14
	v_or_b32_e32 v5, v16, v14
	v_or_b32_e32 v13, v15, v13
	;; [unrolled: 1-line block ×4, first 2 shown]
	v_mul_f32_e32 v70, s7, v5
	s_delay_alu instid0(VALU_DEP_4) | instskip(NEXT) | instid1(VALU_DEP_3)
	v_mul_f32_e32 v69, s5, v13
	v_dual_mul_f32 v67, s7, v14 :: v_dual_mul_f32 v68, s5, v15
	s_and_saveexec_b32 s2, vcc_lo
; %bb.655:                              ;   in Loop: Header=BB224_418 Depth=1
	v_cmp_gt_i32_e64 s0, s33, v42
	s_delay_alu instid0(VALU_DEP_1) | instskip(SKIP_1) | instid1(VALU_DEP_1)
	v_cndmask_b32_e64 v69, 0, v69, s0
	v_cmp_gt_i32_e64 s0, s33, v44
	v_cndmask_b32_e64 v70, 0, v70, s0
	v_cmp_gt_i32_e64 s0, s33, v43
	s_delay_alu instid0(VALU_DEP_1) | instskip(SKIP_1) | instid1(VALU_DEP_1)
	v_cndmask_b32_e64 v68, 0, v68, s0
	v_cmp_gt_i32_e64 s0, s33, v36
	v_cndmask_b32_e64 v67, 0, v67, s0
; %bb.656:                              ;   in Loop: Header=BB224_418 Depth=1
	s_or_b32 exec_lo, exec_lo, s2
	global_load_b32 v71, v[11:12], off offset:896
	v_mov_b32_e32 v15, 0
	v_mov_b32_e32 v16, 0
	s_mov_b32 s2, exec_lo
	s_waitcnt vmcnt(0)
	v_and_b32_e32 v5, 0xff, v71
	s_delay_alu instid0(VALU_DEP_2) | instskip(NEXT) | instid1(VALU_DEP_2)
	v_dual_mov_b32 v13, v15 :: v_dual_mov_b32 v14, v16
	v_cmpx_ne_u16_e32 0, v5
	s_cbranch_execz .LBB224_664
; %bb.657:                              ;   in Loop: Header=BB224_418 Depth=1
	v_bfrev_b32_e32 v13, 1
	v_mov_b32_e32 v14, 0
	s_mov_b32 s14, exec_lo
	v_cmpx_ne_u16_e32 0x80, v5
	s_cbranch_execz .LBB224_663
; %bb.658:                              ;   in Loop: Header=BB224_418 Depth=1
	v_mov_b32_e32 v13, 0x7f800001
	v_dual_mov_b32 v14, 0 :: v_dual_and_b32 v17, 0x7f, v71
	s_mov_b32 s16, exec_lo
	s_delay_alu instid0(VALU_DEP_1)
	v_cmpx_ne_u32_e32 0x7f, v17
	s_cbranch_execz .LBB224_662
; %bb.659:                              ;   in Loop: Header=BB224_418 Depth=1
	v_and_b32_e32 v5, 7, v71
	v_lshrrev_b32_e32 v13, 3, v17
	s_mov_b32 s17, exec_lo
	v_cmpx_gt_u32_e32 8, v17
; %bb.660:                              ;   in Loop: Header=BB224_418 Depth=1
	s_delay_alu instid0(VALU_DEP_3) | instskip(NEXT) | instid1(VALU_DEP_1)
	v_clz_i32_u32_e32 v13, v5
	v_min_u32_e32 v13, 32, v13
	s_delay_alu instid0(VALU_DEP_1) | instskip(SKIP_1) | instid1(VALU_DEP_2)
	v_subrev_nc_u32_e32 v14, 28, v13
	v_sub_nc_u32_e32 v13, 29, v13
	v_lshlrev_b64 v[17:18], v14, v[5:6]
	s_delay_alu instid0(VALU_DEP_1)
	v_and_b32_e32 v5, 7, v17
; %bb.661:                              ;   in Loop: Header=BB224_418 Depth=1
	s_or_b32 exec_lo, exec_lo, s17
	v_lshlrev_b32_e32 v14, 24, v71
	s_delay_alu instid0(VALU_DEP_2) | instskip(SKIP_1) | instid1(VALU_DEP_3)
	v_lshlrev_b32_e32 v5, 20, v5
	v_lshl_add_u32 v13, v13, 23, 0x3c000000
	v_and_b32_e32 v14, 0x80000000, v14
	s_delay_alu instid0(VALU_DEP_1) | instskip(NEXT) | instid1(VALU_DEP_1)
	v_or3_b32 v5, v5, v14, v13
	v_dual_mov_b32 v14, v6 :: v_dual_mov_b32 v13, v5
.LBB224_662:                            ;   in Loop: Header=BB224_418 Depth=1
	s_or_b32 exec_lo, exec_lo, s16
.LBB224_663:                            ;   in Loop: Header=BB224_418 Depth=1
	s_delay_alu instid0(SALU_CYCLE_1)
	s_or_b32 exec_lo, exec_lo, s14
.LBB224_664:                            ;   in Loop: Header=BB224_418 Depth=1
	s_delay_alu instid0(SALU_CYCLE_1) | instskip(SKIP_2) | instid1(VALU_DEP_1)
	s_or_b32 exec_lo, exec_lo, s2
	v_lshrrev_b16 v5, 8, v71
	s_mov_b32 s14, exec_lo
	v_cmpx_ne_u16_e32 0, v5
	s_cbranch_execz .LBB224_672
; %bb.665:                              ;   in Loop: Header=BB224_418 Depth=1
	v_dual_mov_b32 v16, s9 :: v_dual_mov_b32 v15, s8
	s_mov_b32 s16, exec_lo
	v_cmpx_ne_u16_e32 0x80, v5
	s_cbranch_execz .LBB224_671
; %bb.666:                              ;   in Loop: Header=BB224_418 Depth=1
	s_mov_b32 s2, s8
	v_dual_mov_b32 v16, s3 :: v_dual_and_b32 v5, 0xffff, v5
	v_mov_b32_e32 v15, s2
	s_mov_b32 s2, exec_lo
	s_delay_alu instid0(VALU_DEP_2) | instskip(NEXT) | instid1(VALU_DEP_1)
	v_and_b32_e32 v17, 0x7f, v5
	v_cmpx_ne_u32_e32 0x7f, v17
	s_cbranch_execz .LBB224_670
; %bb.667:                              ;   in Loop: Header=BB224_418 Depth=1
	v_and_b32_e32 v5, 7, v5
	v_lshrrev_b32_e32 v15, 3, v17
	s_mov_b32 s17, exec_lo
	v_cmpx_gt_u32_e32 8, v17
; %bb.668:                              ;   in Loop: Header=BB224_418 Depth=1
	s_delay_alu instid0(VALU_DEP_3) | instskip(NEXT) | instid1(VALU_DEP_1)
	v_clz_i32_u32_e32 v15, v5
	v_min_u32_e32 v15, 32, v15
	s_delay_alu instid0(VALU_DEP_1) | instskip(SKIP_1) | instid1(VALU_DEP_2)
	v_subrev_nc_u32_e32 v16, 28, v15
	v_sub_nc_u32_e32 v15, 29, v15
	v_lshlrev_b64 v[16:17], v16, v[5:6]
	s_delay_alu instid0(VALU_DEP_1)
	v_and_b32_e32 v5, 7, v16
; %bb.669:                              ;   in Loop: Header=BB224_418 Depth=1
	s_or_b32 exec_lo, exec_lo, s17
	v_lshlrev_b32_e32 v16, 16, v71
	s_delay_alu instid0(VALU_DEP_2) | instskip(SKIP_1) | instid1(VALU_DEP_3)
	v_lshlrev_b32_e32 v5, 20, v5
	v_lshl_add_u32 v15, v15, 23, 0x3c000000
	v_and_b32_e32 v16, 0x80000000, v16
	s_delay_alu instid0(VALU_DEP_1)
	v_or3_b32 v16, v5, v16, v15
	v_mov_b32_e32 v15, v6
.LBB224_670:                            ;   in Loop: Header=BB224_418 Depth=1
	s_or_b32 exec_lo, exec_lo, s2
.LBB224_671:                            ;   in Loop: Header=BB224_418 Depth=1
	s_delay_alu instid0(SALU_CYCLE_1)
	s_or_b32 exec_lo, exec_lo, s16
.LBB224_672:                            ;   in Loop: Header=BB224_418 Depth=1
	s_delay_alu instid0(SALU_CYCLE_1) | instskip(SKIP_4) | instid1(VALU_DEP_2)
	s_or_b32 exec_lo, exec_lo, s14
	v_mov_b32_e32 v19, 0
	v_lshrrev_b32_e32 v72, 16, v71
	v_mov_b32_e32 v20, 0
	s_mov_b32 s2, exec_lo
	v_and_b32_e32 v5, 0xff, v72
	s_delay_alu instid0(VALU_DEP_2) | instskip(NEXT) | instid1(VALU_DEP_2)
	v_dual_mov_b32 v17, v19 :: v_dual_mov_b32 v18, v20
	v_cmpx_ne_u16_e32 0, v5
	s_cbranch_execz .LBB224_680
; %bb.673:                              ;   in Loop: Header=BB224_418 Depth=1
	v_bfrev_b32_e32 v17, 1
	v_mov_b32_e32 v18, 0
	s_mov_b32 s14, exec_lo
	v_cmpx_ne_u16_e32 0x80, v5
	s_cbranch_execz .LBB224_679
; %bb.674:                              ;   in Loop: Header=BB224_418 Depth=1
	v_mov_b32_e32 v17, 0x7f800001
	v_bfe_u32 v73, v71, 16, 7
	v_mov_b32_e32 v18, 0
	s_mov_b32 s16, exec_lo
	s_delay_alu instid0(VALU_DEP_2)
	v_cmpx_ne_u32_e32 0x7f, v73
	s_cbranch_execz .LBB224_678
; %bb.675:                              ;   in Loop: Header=BB224_418 Depth=1
	v_and_b32_e32 v5, 7, v72
	v_lshrrev_b32_e32 v17, 3, v73
	s_mov_b32 s17, exec_lo
	v_cmpx_gt_u32_e32 8, v73
; %bb.676:                              ;   in Loop: Header=BB224_418 Depth=1
	s_delay_alu instid0(VALU_DEP_3) | instskip(NEXT) | instid1(VALU_DEP_1)
	v_clz_i32_u32_e32 v17, v5
	v_min_u32_e32 v17, 32, v17
	s_delay_alu instid0(VALU_DEP_1) | instskip(SKIP_1) | instid1(VALU_DEP_2)
	v_subrev_nc_u32_e32 v18, 28, v17
	v_sub_nc_u32_e32 v17, 29, v17
	v_lshlrev_b64 v[73:74], v18, v[5:6]
	s_delay_alu instid0(VALU_DEP_1)
	v_and_b32_e32 v5, 7, v73
; %bb.677:                              ;   in Loop: Header=BB224_418 Depth=1
	s_or_b32 exec_lo, exec_lo, s17
	v_lshlrev_b32_e32 v18, 24, v72
	s_delay_alu instid0(VALU_DEP_2) | instskip(SKIP_1) | instid1(VALU_DEP_3)
	v_lshlrev_b32_e32 v5, 20, v5
	v_lshl_add_u32 v17, v17, 23, 0x3c000000
	v_and_b32_e32 v18, 0x80000000, v18
	s_delay_alu instid0(VALU_DEP_1) | instskip(NEXT) | instid1(VALU_DEP_1)
	v_or3_b32 v5, v5, v18, v17
	v_dual_mov_b32 v18, v6 :: v_dual_mov_b32 v17, v5
.LBB224_678:                            ;   in Loop: Header=BB224_418 Depth=1
	s_or_b32 exec_lo, exec_lo, s16
.LBB224_679:                            ;   in Loop: Header=BB224_418 Depth=1
	s_delay_alu instid0(SALU_CYCLE_1)
	s_or_b32 exec_lo, exec_lo, s14
.LBB224_680:                            ;   in Loop: Header=BB224_418 Depth=1
	s_delay_alu instid0(SALU_CYCLE_1) | instskip(NEXT) | instid1(SALU_CYCLE_1)
	s_or_b32 exec_lo, exec_lo, s2
	s_mov_b32 s14, exec_lo
	v_cmpx_lt_u32_e32 0xffffff, v71
	s_cbranch_execz .LBB224_688
; %bb.681:                              ;   in Loop: Header=BB224_418 Depth=1
	v_lshrrev_b32_e32 v72, 24, v71
	v_dual_mov_b32 v20, s9 :: v_dual_mov_b32 v19, s8
	s_mov_b32 s16, exec_lo
	s_delay_alu instid0(VALU_DEP_2)
	v_cmpx_ne_u32_e32 0x80, v72
	s_cbranch_execz .LBB224_687
; %bb.682:                              ;   in Loop: Header=BB224_418 Depth=1
	s_mov_b32 s2, s8
	v_bfe_u32 v71, v71, 24, 7
	v_dual_mov_b32 v20, s3 :: v_dual_mov_b32 v19, s2
	s_mov_b32 s2, exec_lo
	s_delay_alu instid0(VALU_DEP_2)
	v_cmpx_ne_u32_e32 0x7f, v71
	s_cbranch_execz .LBB224_686
; %bb.683:                              ;   in Loop: Header=BB224_418 Depth=1
	v_and_b32_e32 v5, 7, v72
	v_lshrrev_b32_e32 v19, 3, v71
	s_mov_b32 s17, exec_lo
	v_cmpx_gt_u32_e32 8, v71
; %bb.684:                              ;   in Loop: Header=BB224_418 Depth=1
	s_delay_alu instid0(VALU_DEP_3) | instskip(NEXT) | instid1(VALU_DEP_1)
	v_clz_i32_u32_e32 v19, v5
	v_min_u32_e32 v19, 32, v19
	s_delay_alu instid0(VALU_DEP_1) | instskip(SKIP_1) | instid1(VALU_DEP_2)
	v_subrev_nc_u32_e32 v20, 28, v19
	v_sub_nc_u32_e32 v19, 29, v19
	v_lshlrev_b64 v[73:74], v20, v[5:6]
	s_delay_alu instid0(VALU_DEP_1)
	v_and_b32_e32 v5, 7, v73
; %bb.685:                              ;   in Loop: Header=BB224_418 Depth=1
	s_or_b32 exec_lo, exec_lo, s17
	v_lshlrev_b32_e32 v20, 24, v72
	s_delay_alu instid0(VALU_DEP_2) | instskip(SKIP_1) | instid1(VALU_DEP_3)
	v_lshlrev_b32_e32 v5, 20, v5
	v_lshl_add_u32 v19, v19, 23, 0x3c000000
	v_and_b32_e32 v20, 0x80000000, v20
	s_delay_alu instid0(VALU_DEP_1)
	v_or3_b32 v20, v5, v20, v19
	v_mov_b32_e32 v19, v6
.LBB224_686:                            ;   in Loop: Header=BB224_418 Depth=1
	s_or_b32 exec_lo, exec_lo, s2
.LBB224_687:                            ;   in Loop: Header=BB224_418 Depth=1
	s_delay_alu instid0(SALU_CYCLE_1)
	s_or_b32 exec_lo, exec_lo, s16
.LBB224_688:                            ;   in Loop: Header=BB224_418 Depth=1
	s_delay_alu instid0(SALU_CYCLE_1) | instskip(SKIP_4) | instid1(VALU_DEP_4)
	s_or_b32 exec_lo, exec_lo, s14
	v_or_b32_e32 v5, v16, v14
	v_or_b32_e32 v13, v15, v13
	v_or_b32_e32 v14, v20, v18
	v_or_b32_e32 v15, v19, v17
	v_mul_f32_e32 v74, s7, v5
	s_delay_alu instid0(VALU_DEP_4) | instskip(NEXT) | instid1(VALU_DEP_3)
	v_mul_f32_e32 v73, s5, v13
	v_dual_mul_f32 v71, s7, v14 :: v_dual_mul_f32 v72, s5, v15
	s_and_saveexec_b32 s2, vcc_lo
; %bb.689:                              ;   in Loop: Header=BB224_418 Depth=1
	v_cmp_gt_i32_e64 s0, s33, v42
	s_delay_alu instid0(VALU_DEP_1) | instskip(SKIP_1) | instid1(VALU_DEP_1)
	v_cndmask_b32_e64 v73, 0, v73, s0
	v_cmp_gt_i32_e64 s0, s33, v44
	v_cndmask_b32_e64 v74, 0, v74, s0
	v_cmp_gt_i32_e64 s0, s33, v43
	s_delay_alu instid0(VALU_DEP_1) | instskip(SKIP_1) | instid1(VALU_DEP_1)
	v_cndmask_b32_e64 v72, 0, v72, s0
	v_cmp_gt_i32_e64 s0, s33, v36
	v_cndmask_b32_e64 v71, 0, v71, s0
; %bb.690:                              ;   in Loop: Header=BB224_418 Depth=1
	s_or_b32 exec_lo, exec_lo, s2
	global_load_b32 v75, v[11:12], off offset:1024
	v_mov_b32_e32 v15, 0
	v_mov_b32_e32 v16, 0
	s_mov_b32 s2, exec_lo
	s_waitcnt vmcnt(0)
	v_and_b32_e32 v5, 0xff, v75
	s_delay_alu instid0(VALU_DEP_2) | instskip(NEXT) | instid1(VALU_DEP_2)
	v_dual_mov_b32 v13, v15 :: v_dual_mov_b32 v14, v16
	v_cmpx_ne_u16_e32 0, v5
	s_cbranch_execz .LBB224_698
; %bb.691:                              ;   in Loop: Header=BB224_418 Depth=1
	v_bfrev_b32_e32 v13, 1
	v_mov_b32_e32 v14, 0
	s_mov_b32 s14, exec_lo
	v_cmpx_ne_u16_e32 0x80, v5
	s_cbranch_execz .LBB224_697
; %bb.692:                              ;   in Loop: Header=BB224_418 Depth=1
	v_mov_b32_e32 v13, 0x7f800001
	v_dual_mov_b32 v14, 0 :: v_dual_and_b32 v17, 0x7f, v75
	s_mov_b32 s16, exec_lo
	s_delay_alu instid0(VALU_DEP_1)
	v_cmpx_ne_u32_e32 0x7f, v17
	s_cbranch_execz .LBB224_696
; %bb.693:                              ;   in Loop: Header=BB224_418 Depth=1
	v_and_b32_e32 v5, 7, v75
	v_lshrrev_b32_e32 v13, 3, v17
	s_mov_b32 s17, exec_lo
	v_cmpx_gt_u32_e32 8, v17
; %bb.694:                              ;   in Loop: Header=BB224_418 Depth=1
	s_delay_alu instid0(VALU_DEP_3) | instskip(NEXT) | instid1(VALU_DEP_1)
	v_clz_i32_u32_e32 v13, v5
	v_min_u32_e32 v13, 32, v13
	s_delay_alu instid0(VALU_DEP_1) | instskip(SKIP_1) | instid1(VALU_DEP_2)
	v_subrev_nc_u32_e32 v14, 28, v13
	v_sub_nc_u32_e32 v13, 29, v13
	v_lshlrev_b64 v[17:18], v14, v[5:6]
	s_delay_alu instid0(VALU_DEP_1)
	v_and_b32_e32 v5, 7, v17
; %bb.695:                              ;   in Loop: Header=BB224_418 Depth=1
	s_or_b32 exec_lo, exec_lo, s17
	v_lshlrev_b32_e32 v14, 24, v75
	s_delay_alu instid0(VALU_DEP_2) | instskip(SKIP_1) | instid1(VALU_DEP_3)
	v_lshlrev_b32_e32 v5, 20, v5
	v_lshl_add_u32 v13, v13, 23, 0x3c000000
	v_and_b32_e32 v14, 0x80000000, v14
	s_delay_alu instid0(VALU_DEP_1) | instskip(NEXT) | instid1(VALU_DEP_1)
	v_or3_b32 v5, v5, v14, v13
	v_dual_mov_b32 v14, v6 :: v_dual_mov_b32 v13, v5
.LBB224_696:                            ;   in Loop: Header=BB224_418 Depth=1
	s_or_b32 exec_lo, exec_lo, s16
.LBB224_697:                            ;   in Loop: Header=BB224_418 Depth=1
	s_delay_alu instid0(SALU_CYCLE_1)
	s_or_b32 exec_lo, exec_lo, s14
.LBB224_698:                            ;   in Loop: Header=BB224_418 Depth=1
	s_delay_alu instid0(SALU_CYCLE_1) | instskip(SKIP_2) | instid1(VALU_DEP_1)
	s_or_b32 exec_lo, exec_lo, s2
	v_lshrrev_b16 v5, 8, v75
	s_mov_b32 s14, exec_lo
	v_cmpx_ne_u16_e32 0, v5
	s_cbranch_execz .LBB224_706
; %bb.699:                              ;   in Loop: Header=BB224_418 Depth=1
	v_dual_mov_b32 v16, s9 :: v_dual_mov_b32 v15, s8
	s_mov_b32 s16, exec_lo
	v_cmpx_ne_u16_e32 0x80, v5
	s_cbranch_execz .LBB224_705
; %bb.700:                              ;   in Loop: Header=BB224_418 Depth=1
	s_mov_b32 s2, s8
	v_dual_mov_b32 v16, s3 :: v_dual_and_b32 v5, 0xffff, v5
	v_mov_b32_e32 v15, s2
	s_mov_b32 s2, exec_lo
	s_delay_alu instid0(VALU_DEP_2) | instskip(NEXT) | instid1(VALU_DEP_1)
	v_and_b32_e32 v17, 0x7f, v5
	v_cmpx_ne_u32_e32 0x7f, v17
	s_cbranch_execz .LBB224_704
; %bb.701:                              ;   in Loop: Header=BB224_418 Depth=1
	v_and_b32_e32 v5, 7, v5
	v_lshrrev_b32_e32 v15, 3, v17
	s_mov_b32 s17, exec_lo
	v_cmpx_gt_u32_e32 8, v17
; %bb.702:                              ;   in Loop: Header=BB224_418 Depth=1
	s_delay_alu instid0(VALU_DEP_3) | instskip(NEXT) | instid1(VALU_DEP_1)
	v_clz_i32_u32_e32 v15, v5
	v_min_u32_e32 v15, 32, v15
	s_delay_alu instid0(VALU_DEP_1) | instskip(SKIP_1) | instid1(VALU_DEP_2)
	v_subrev_nc_u32_e32 v16, 28, v15
	v_sub_nc_u32_e32 v15, 29, v15
	v_lshlrev_b64 v[16:17], v16, v[5:6]
	s_delay_alu instid0(VALU_DEP_1)
	v_and_b32_e32 v5, 7, v16
; %bb.703:                              ;   in Loop: Header=BB224_418 Depth=1
	s_or_b32 exec_lo, exec_lo, s17
	v_lshlrev_b32_e32 v16, 16, v75
	s_delay_alu instid0(VALU_DEP_2) | instskip(SKIP_1) | instid1(VALU_DEP_3)
	v_lshlrev_b32_e32 v5, 20, v5
	v_lshl_add_u32 v15, v15, 23, 0x3c000000
	v_and_b32_e32 v16, 0x80000000, v16
	s_delay_alu instid0(VALU_DEP_1)
	v_or3_b32 v16, v5, v16, v15
	v_mov_b32_e32 v15, v6
.LBB224_704:                            ;   in Loop: Header=BB224_418 Depth=1
	s_or_b32 exec_lo, exec_lo, s2
.LBB224_705:                            ;   in Loop: Header=BB224_418 Depth=1
	s_delay_alu instid0(SALU_CYCLE_1)
	s_or_b32 exec_lo, exec_lo, s16
.LBB224_706:                            ;   in Loop: Header=BB224_418 Depth=1
	s_delay_alu instid0(SALU_CYCLE_1) | instskip(SKIP_4) | instid1(VALU_DEP_2)
	s_or_b32 exec_lo, exec_lo, s14
	v_mov_b32_e32 v19, 0
	v_lshrrev_b32_e32 v76, 16, v75
	v_mov_b32_e32 v20, 0
	s_mov_b32 s2, exec_lo
	v_and_b32_e32 v5, 0xff, v76
	s_delay_alu instid0(VALU_DEP_2) | instskip(NEXT) | instid1(VALU_DEP_2)
	v_dual_mov_b32 v17, v19 :: v_dual_mov_b32 v18, v20
	v_cmpx_ne_u16_e32 0, v5
	s_cbranch_execz .LBB224_714
; %bb.707:                              ;   in Loop: Header=BB224_418 Depth=1
	v_bfrev_b32_e32 v17, 1
	v_mov_b32_e32 v18, 0
	s_mov_b32 s14, exec_lo
	v_cmpx_ne_u16_e32 0x80, v5
	s_cbranch_execz .LBB224_713
; %bb.708:                              ;   in Loop: Header=BB224_418 Depth=1
	v_mov_b32_e32 v17, 0x7f800001
	v_bfe_u32 v77, v75, 16, 7
	v_mov_b32_e32 v18, 0
	s_mov_b32 s16, exec_lo
	s_delay_alu instid0(VALU_DEP_2)
	v_cmpx_ne_u32_e32 0x7f, v77
	s_cbranch_execz .LBB224_712
; %bb.709:                              ;   in Loop: Header=BB224_418 Depth=1
	v_and_b32_e32 v5, 7, v76
	v_lshrrev_b32_e32 v17, 3, v77
	s_mov_b32 s17, exec_lo
	v_cmpx_gt_u32_e32 8, v77
; %bb.710:                              ;   in Loop: Header=BB224_418 Depth=1
	s_delay_alu instid0(VALU_DEP_3) | instskip(NEXT) | instid1(VALU_DEP_1)
	v_clz_i32_u32_e32 v17, v5
	v_min_u32_e32 v17, 32, v17
	s_delay_alu instid0(VALU_DEP_1) | instskip(SKIP_1) | instid1(VALU_DEP_2)
	v_subrev_nc_u32_e32 v18, 28, v17
	v_sub_nc_u32_e32 v17, 29, v17
	v_lshlrev_b64 v[77:78], v18, v[5:6]
	s_delay_alu instid0(VALU_DEP_1)
	v_and_b32_e32 v5, 7, v77
; %bb.711:                              ;   in Loop: Header=BB224_418 Depth=1
	s_or_b32 exec_lo, exec_lo, s17
	v_lshlrev_b32_e32 v18, 24, v76
	s_delay_alu instid0(VALU_DEP_2) | instskip(SKIP_1) | instid1(VALU_DEP_3)
	v_lshlrev_b32_e32 v5, 20, v5
	v_lshl_add_u32 v17, v17, 23, 0x3c000000
	v_and_b32_e32 v18, 0x80000000, v18
	s_delay_alu instid0(VALU_DEP_1) | instskip(NEXT) | instid1(VALU_DEP_1)
	v_or3_b32 v5, v5, v18, v17
	v_dual_mov_b32 v18, v6 :: v_dual_mov_b32 v17, v5
.LBB224_712:                            ;   in Loop: Header=BB224_418 Depth=1
	s_or_b32 exec_lo, exec_lo, s16
.LBB224_713:                            ;   in Loop: Header=BB224_418 Depth=1
	s_delay_alu instid0(SALU_CYCLE_1)
	s_or_b32 exec_lo, exec_lo, s14
.LBB224_714:                            ;   in Loop: Header=BB224_418 Depth=1
	s_delay_alu instid0(SALU_CYCLE_1) | instskip(NEXT) | instid1(SALU_CYCLE_1)
	s_or_b32 exec_lo, exec_lo, s2
	s_mov_b32 s14, exec_lo
	v_cmpx_lt_u32_e32 0xffffff, v75
	s_cbranch_execz .LBB224_722
; %bb.715:                              ;   in Loop: Header=BB224_418 Depth=1
	v_lshrrev_b32_e32 v76, 24, v75
	v_dual_mov_b32 v20, s9 :: v_dual_mov_b32 v19, s8
	s_mov_b32 s16, exec_lo
	s_delay_alu instid0(VALU_DEP_2)
	v_cmpx_ne_u32_e32 0x80, v76
	s_cbranch_execz .LBB224_721
; %bb.716:                              ;   in Loop: Header=BB224_418 Depth=1
	s_mov_b32 s2, s8
	v_bfe_u32 v75, v75, 24, 7
	v_dual_mov_b32 v20, s3 :: v_dual_mov_b32 v19, s2
	s_mov_b32 s2, exec_lo
	s_delay_alu instid0(VALU_DEP_2)
	v_cmpx_ne_u32_e32 0x7f, v75
	s_cbranch_execz .LBB224_720
; %bb.717:                              ;   in Loop: Header=BB224_418 Depth=1
	v_and_b32_e32 v5, 7, v76
	v_lshrrev_b32_e32 v19, 3, v75
	s_mov_b32 s17, exec_lo
	v_cmpx_gt_u32_e32 8, v75
; %bb.718:                              ;   in Loop: Header=BB224_418 Depth=1
	s_delay_alu instid0(VALU_DEP_3) | instskip(NEXT) | instid1(VALU_DEP_1)
	v_clz_i32_u32_e32 v19, v5
	v_min_u32_e32 v19, 32, v19
	s_delay_alu instid0(VALU_DEP_1) | instskip(SKIP_1) | instid1(VALU_DEP_2)
	v_subrev_nc_u32_e32 v20, 28, v19
	v_sub_nc_u32_e32 v19, 29, v19
	v_lshlrev_b64 v[77:78], v20, v[5:6]
	s_delay_alu instid0(VALU_DEP_1)
	v_and_b32_e32 v5, 7, v77
; %bb.719:                              ;   in Loop: Header=BB224_418 Depth=1
	s_or_b32 exec_lo, exec_lo, s17
	v_lshlrev_b32_e32 v20, 24, v76
	s_delay_alu instid0(VALU_DEP_2) | instskip(SKIP_1) | instid1(VALU_DEP_3)
	v_lshlrev_b32_e32 v5, 20, v5
	v_lshl_add_u32 v19, v19, 23, 0x3c000000
	v_and_b32_e32 v20, 0x80000000, v20
	s_delay_alu instid0(VALU_DEP_1)
	v_or3_b32 v20, v5, v20, v19
	v_mov_b32_e32 v19, v6
.LBB224_720:                            ;   in Loop: Header=BB224_418 Depth=1
	s_or_b32 exec_lo, exec_lo, s2
.LBB224_721:                            ;   in Loop: Header=BB224_418 Depth=1
	s_delay_alu instid0(SALU_CYCLE_1)
	s_or_b32 exec_lo, exec_lo, s16
.LBB224_722:                            ;   in Loop: Header=BB224_418 Depth=1
	s_delay_alu instid0(SALU_CYCLE_1) | instskip(SKIP_4) | instid1(VALU_DEP_4)
	s_or_b32 exec_lo, exec_lo, s14
	v_or_b32_e32 v5, v16, v14
	v_or_b32_e32 v13, v15, v13
	;; [unrolled: 1-line block ×4, first 2 shown]
	v_mul_f32_e32 v78, s7, v5
	s_delay_alu instid0(VALU_DEP_4) | instskip(NEXT) | instid1(VALU_DEP_3)
	v_mul_f32_e32 v77, s5, v13
	v_dual_mul_f32 v75, s7, v14 :: v_dual_mul_f32 v76, s5, v15
	s_and_saveexec_b32 s2, vcc_lo
; %bb.723:                              ;   in Loop: Header=BB224_418 Depth=1
	v_cmp_gt_i32_e64 s0, s33, v42
	s_delay_alu instid0(VALU_DEP_1) | instskip(SKIP_1) | instid1(VALU_DEP_1)
	v_cndmask_b32_e64 v77, 0, v77, s0
	v_cmp_gt_i32_e64 s0, s33, v44
	v_cndmask_b32_e64 v78, 0, v78, s0
	v_cmp_gt_i32_e64 s0, s33, v43
	s_delay_alu instid0(VALU_DEP_1) | instskip(SKIP_1) | instid1(VALU_DEP_1)
	v_cndmask_b32_e64 v76, 0, v76, s0
	v_cmp_gt_i32_e64 s0, s33, v36
	v_cndmask_b32_e64 v75, 0, v75, s0
; %bb.724:                              ;   in Loop: Header=BB224_418 Depth=1
	s_or_b32 exec_lo, exec_lo, s2
	global_load_b32 v79, v[11:12], off offset:1152
	v_mov_b32_e32 v15, 0
	v_mov_b32_e32 v16, 0
	s_mov_b32 s2, exec_lo
	s_waitcnt vmcnt(0)
	v_and_b32_e32 v5, 0xff, v79
	s_delay_alu instid0(VALU_DEP_2) | instskip(NEXT) | instid1(VALU_DEP_2)
	v_dual_mov_b32 v13, v15 :: v_dual_mov_b32 v14, v16
	v_cmpx_ne_u16_e32 0, v5
	s_cbranch_execz .LBB224_732
; %bb.725:                              ;   in Loop: Header=BB224_418 Depth=1
	v_bfrev_b32_e32 v13, 1
	v_mov_b32_e32 v14, 0
	s_mov_b32 s14, exec_lo
	v_cmpx_ne_u16_e32 0x80, v5
	s_cbranch_execz .LBB224_731
; %bb.726:                              ;   in Loop: Header=BB224_418 Depth=1
	v_mov_b32_e32 v13, 0x7f800001
	v_dual_mov_b32 v14, 0 :: v_dual_and_b32 v17, 0x7f, v79
	s_mov_b32 s16, exec_lo
	s_delay_alu instid0(VALU_DEP_1)
	v_cmpx_ne_u32_e32 0x7f, v17
	s_cbranch_execz .LBB224_730
; %bb.727:                              ;   in Loop: Header=BB224_418 Depth=1
	v_and_b32_e32 v5, 7, v79
	v_lshrrev_b32_e32 v13, 3, v17
	s_mov_b32 s17, exec_lo
	v_cmpx_gt_u32_e32 8, v17
; %bb.728:                              ;   in Loop: Header=BB224_418 Depth=1
	s_delay_alu instid0(VALU_DEP_3) | instskip(NEXT) | instid1(VALU_DEP_1)
	v_clz_i32_u32_e32 v13, v5
	v_min_u32_e32 v13, 32, v13
	s_delay_alu instid0(VALU_DEP_1) | instskip(SKIP_1) | instid1(VALU_DEP_2)
	v_subrev_nc_u32_e32 v14, 28, v13
	v_sub_nc_u32_e32 v13, 29, v13
	v_lshlrev_b64 v[17:18], v14, v[5:6]
	s_delay_alu instid0(VALU_DEP_1)
	v_and_b32_e32 v5, 7, v17
; %bb.729:                              ;   in Loop: Header=BB224_418 Depth=1
	s_or_b32 exec_lo, exec_lo, s17
	v_lshlrev_b32_e32 v14, 24, v79
	s_delay_alu instid0(VALU_DEP_2) | instskip(SKIP_1) | instid1(VALU_DEP_3)
	v_lshlrev_b32_e32 v5, 20, v5
	v_lshl_add_u32 v13, v13, 23, 0x3c000000
	v_and_b32_e32 v14, 0x80000000, v14
	s_delay_alu instid0(VALU_DEP_1) | instskip(NEXT) | instid1(VALU_DEP_1)
	v_or3_b32 v5, v5, v14, v13
	v_dual_mov_b32 v14, v6 :: v_dual_mov_b32 v13, v5
.LBB224_730:                            ;   in Loop: Header=BB224_418 Depth=1
	s_or_b32 exec_lo, exec_lo, s16
.LBB224_731:                            ;   in Loop: Header=BB224_418 Depth=1
	s_delay_alu instid0(SALU_CYCLE_1)
	s_or_b32 exec_lo, exec_lo, s14
.LBB224_732:                            ;   in Loop: Header=BB224_418 Depth=1
	s_delay_alu instid0(SALU_CYCLE_1) | instskip(SKIP_2) | instid1(VALU_DEP_1)
	s_or_b32 exec_lo, exec_lo, s2
	v_lshrrev_b16 v5, 8, v79
	s_mov_b32 s14, exec_lo
	v_cmpx_ne_u16_e32 0, v5
	s_cbranch_execz .LBB224_740
; %bb.733:                              ;   in Loop: Header=BB224_418 Depth=1
	v_dual_mov_b32 v16, s9 :: v_dual_mov_b32 v15, s8
	s_mov_b32 s16, exec_lo
	v_cmpx_ne_u16_e32 0x80, v5
	s_cbranch_execz .LBB224_739
; %bb.734:                              ;   in Loop: Header=BB224_418 Depth=1
	s_mov_b32 s2, s8
	v_dual_mov_b32 v16, s3 :: v_dual_and_b32 v5, 0xffff, v5
	v_mov_b32_e32 v15, s2
	s_mov_b32 s2, exec_lo
	s_delay_alu instid0(VALU_DEP_2) | instskip(NEXT) | instid1(VALU_DEP_1)
	v_and_b32_e32 v17, 0x7f, v5
	v_cmpx_ne_u32_e32 0x7f, v17
	s_cbranch_execz .LBB224_738
; %bb.735:                              ;   in Loop: Header=BB224_418 Depth=1
	v_and_b32_e32 v5, 7, v5
	v_lshrrev_b32_e32 v15, 3, v17
	s_mov_b32 s17, exec_lo
	v_cmpx_gt_u32_e32 8, v17
; %bb.736:                              ;   in Loop: Header=BB224_418 Depth=1
	s_delay_alu instid0(VALU_DEP_3) | instskip(NEXT) | instid1(VALU_DEP_1)
	v_clz_i32_u32_e32 v15, v5
	v_min_u32_e32 v15, 32, v15
	s_delay_alu instid0(VALU_DEP_1) | instskip(SKIP_1) | instid1(VALU_DEP_2)
	v_subrev_nc_u32_e32 v16, 28, v15
	v_sub_nc_u32_e32 v15, 29, v15
	v_lshlrev_b64 v[16:17], v16, v[5:6]
	s_delay_alu instid0(VALU_DEP_1)
	v_and_b32_e32 v5, 7, v16
; %bb.737:                              ;   in Loop: Header=BB224_418 Depth=1
	s_or_b32 exec_lo, exec_lo, s17
	v_lshlrev_b32_e32 v16, 16, v79
	s_delay_alu instid0(VALU_DEP_2) | instskip(SKIP_1) | instid1(VALU_DEP_3)
	v_lshlrev_b32_e32 v5, 20, v5
	v_lshl_add_u32 v15, v15, 23, 0x3c000000
	v_and_b32_e32 v16, 0x80000000, v16
	s_delay_alu instid0(VALU_DEP_1)
	v_or3_b32 v16, v5, v16, v15
	v_mov_b32_e32 v15, v6
.LBB224_738:                            ;   in Loop: Header=BB224_418 Depth=1
	s_or_b32 exec_lo, exec_lo, s2
.LBB224_739:                            ;   in Loop: Header=BB224_418 Depth=1
	s_delay_alu instid0(SALU_CYCLE_1)
	s_or_b32 exec_lo, exec_lo, s16
.LBB224_740:                            ;   in Loop: Header=BB224_418 Depth=1
	s_delay_alu instid0(SALU_CYCLE_1) | instskip(SKIP_4) | instid1(VALU_DEP_2)
	s_or_b32 exec_lo, exec_lo, s14
	v_mov_b32_e32 v19, 0
	v_lshrrev_b32_e32 v80, 16, v79
	v_mov_b32_e32 v20, 0
	s_mov_b32 s2, exec_lo
	v_and_b32_e32 v5, 0xff, v80
	s_delay_alu instid0(VALU_DEP_2) | instskip(NEXT) | instid1(VALU_DEP_2)
	v_dual_mov_b32 v17, v19 :: v_dual_mov_b32 v18, v20
	v_cmpx_ne_u16_e32 0, v5
	s_cbranch_execz .LBB224_748
; %bb.741:                              ;   in Loop: Header=BB224_418 Depth=1
	v_bfrev_b32_e32 v17, 1
	v_mov_b32_e32 v18, 0
	s_mov_b32 s14, exec_lo
	v_cmpx_ne_u16_e32 0x80, v5
	s_cbranch_execz .LBB224_747
; %bb.742:                              ;   in Loop: Header=BB224_418 Depth=1
	v_mov_b32_e32 v17, 0x7f800001
	v_bfe_u32 v81, v79, 16, 7
	v_mov_b32_e32 v18, 0
	s_mov_b32 s16, exec_lo
	s_delay_alu instid0(VALU_DEP_2)
	v_cmpx_ne_u32_e32 0x7f, v81
	s_cbranch_execz .LBB224_746
; %bb.743:                              ;   in Loop: Header=BB224_418 Depth=1
	v_and_b32_e32 v5, 7, v80
	v_lshrrev_b32_e32 v17, 3, v81
	s_mov_b32 s17, exec_lo
	v_cmpx_gt_u32_e32 8, v81
; %bb.744:                              ;   in Loop: Header=BB224_418 Depth=1
	s_delay_alu instid0(VALU_DEP_3) | instskip(NEXT) | instid1(VALU_DEP_1)
	v_clz_i32_u32_e32 v17, v5
	v_min_u32_e32 v17, 32, v17
	s_delay_alu instid0(VALU_DEP_1) | instskip(SKIP_1) | instid1(VALU_DEP_2)
	v_subrev_nc_u32_e32 v18, 28, v17
	v_sub_nc_u32_e32 v17, 29, v17
	v_lshlrev_b64 v[81:82], v18, v[5:6]
	s_delay_alu instid0(VALU_DEP_1)
	v_and_b32_e32 v5, 7, v81
; %bb.745:                              ;   in Loop: Header=BB224_418 Depth=1
	s_or_b32 exec_lo, exec_lo, s17
	v_lshlrev_b32_e32 v18, 24, v80
	s_delay_alu instid0(VALU_DEP_2) | instskip(SKIP_1) | instid1(VALU_DEP_3)
	v_lshlrev_b32_e32 v5, 20, v5
	v_lshl_add_u32 v17, v17, 23, 0x3c000000
	v_and_b32_e32 v18, 0x80000000, v18
	s_delay_alu instid0(VALU_DEP_1) | instskip(NEXT) | instid1(VALU_DEP_1)
	v_or3_b32 v5, v5, v18, v17
	v_dual_mov_b32 v18, v6 :: v_dual_mov_b32 v17, v5
.LBB224_746:                            ;   in Loop: Header=BB224_418 Depth=1
	s_or_b32 exec_lo, exec_lo, s16
.LBB224_747:                            ;   in Loop: Header=BB224_418 Depth=1
	s_delay_alu instid0(SALU_CYCLE_1)
	s_or_b32 exec_lo, exec_lo, s14
.LBB224_748:                            ;   in Loop: Header=BB224_418 Depth=1
	s_delay_alu instid0(SALU_CYCLE_1) | instskip(NEXT) | instid1(SALU_CYCLE_1)
	s_or_b32 exec_lo, exec_lo, s2
	s_mov_b32 s14, exec_lo
	v_cmpx_lt_u32_e32 0xffffff, v79
	s_cbranch_execz .LBB224_756
; %bb.749:                              ;   in Loop: Header=BB224_418 Depth=1
	v_lshrrev_b32_e32 v80, 24, v79
	v_dual_mov_b32 v20, s9 :: v_dual_mov_b32 v19, s8
	s_mov_b32 s16, exec_lo
	s_delay_alu instid0(VALU_DEP_2)
	v_cmpx_ne_u32_e32 0x80, v80
	s_cbranch_execz .LBB224_755
; %bb.750:                              ;   in Loop: Header=BB224_418 Depth=1
	s_mov_b32 s2, s8
	v_bfe_u32 v79, v79, 24, 7
	v_dual_mov_b32 v20, s3 :: v_dual_mov_b32 v19, s2
	s_mov_b32 s2, exec_lo
	s_delay_alu instid0(VALU_DEP_2)
	v_cmpx_ne_u32_e32 0x7f, v79
	s_cbranch_execz .LBB224_754
; %bb.751:                              ;   in Loop: Header=BB224_418 Depth=1
	v_and_b32_e32 v5, 7, v80
	v_lshrrev_b32_e32 v19, 3, v79
	s_mov_b32 s17, exec_lo
	v_cmpx_gt_u32_e32 8, v79
; %bb.752:                              ;   in Loop: Header=BB224_418 Depth=1
	s_delay_alu instid0(VALU_DEP_3) | instskip(NEXT) | instid1(VALU_DEP_1)
	v_clz_i32_u32_e32 v19, v5
	v_min_u32_e32 v19, 32, v19
	s_delay_alu instid0(VALU_DEP_1) | instskip(SKIP_1) | instid1(VALU_DEP_2)
	v_subrev_nc_u32_e32 v20, 28, v19
	v_sub_nc_u32_e32 v19, 29, v19
	v_lshlrev_b64 v[81:82], v20, v[5:6]
	s_delay_alu instid0(VALU_DEP_1)
	v_and_b32_e32 v5, 7, v81
; %bb.753:                              ;   in Loop: Header=BB224_418 Depth=1
	s_or_b32 exec_lo, exec_lo, s17
	v_lshlrev_b32_e32 v20, 24, v80
	s_delay_alu instid0(VALU_DEP_2) | instskip(SKIP_1) | instid1(VALU_DEP_3)
	v_lshlrev_b32_e32 v5, 20, v5
	v_lshl_add_u32 v19, v19, 23, 0x3c000000
	v_and_b32_e32 v20, 0x80000000, v20
	s_delay_alu instid0(VALU_DEP_1)
	v_or3_b32 v20, v5, v20, v19
	v_mov_b32_e32 v19, v6
.LBB224_754:                            ;   in Loop: Header=BB224_418 Depth=1
	s_or_b32 exec_lo, exec_lo, s2
.LBB224_755:                            ;   in Loop: Header=BB224_418 Depth=1
	s_delay_alu instid0(SALU_CYCLE_1)
	s_or_b32 exec_lo, exec_lo, s16
.LBB224_756:                            ;   in Loop: Header=BB224_418 Depth=1
	s_delay_alu instid0(SALU_CYCLE_1) | instskip(SKIP_4) | instid1(VALU_DEP_4)
	s_or_b32 exec_lo, exec_lo, s14
	v_or_b32_e32 v5, v16, v14
	v_or_b32_e32 v13, v15, v13
	;; [unrolled: 1-line block ×4, first 2 shown]
	v_mul_f32_e32 v82, s7, v5
	s_delay_alu instid0(VALU_DEP_4) | instskip(NEXT) | instid1(VALU_DEP_3)
	v_mul_f32_e32 v81, s5, v13
	v_dual_mul_f32 v79, s7, v14 :: v_dual_mul_f32 v80, s5, v15
	s_and_saveexec_b32 s2, vcc_lo
; %bb.757:                              ;   in Loop: Header=BB224_418 Depth=1
	v_cmp_gt_i32_e64 s0, s33, v42
	s_delay_alu instid0(VALU_DEP_1) | instskip(SKIP_1) | instid1(VALU_DEP_1)
	v_cndmask_b32_e64 v81, 0, v81, s0
	v_cmp_gt_i32_e64 s0, s33, v44
	v_cndmask_b32_e64 v82, 0, v82, s0
	v_cmp_gt_i32_e64 s0, s33, v43
	s_delay_alu instid0(VALU_DEP_1) | instskip(SKIP_1) | instid1(VALU_DEP_1)
	v_cndmask_b32_e64 v80, 0, v80, s0
	v_cmp_gt_i32_e64 s0, s33, v36
	v_cndmask_b32_e64 v79, 0, v79, s0
; %bb.758:                              ;   in Loop: Header=BB224_418 Depth=1
	s_or_b32 exec_lo, exec_lo, s2
	global_load_b32 v83, v[11:12], off offset:1280
	v_mov_b32_e32 v15, 0
	v_mov_b32_e32 v16, 0
	s_mov_b32 s2, exec_lo
	s_waitcnt vmcnt(0)
	v_and_b32_e32 v5, 0xff, v83
	s_delay_alu instid0(VALU_DEP_2) | instskip(NEXT) | instid1(VALU_DEP_2)
	v_dual_mov_b32 v13, v15 :: v_dual_mov_b32 v14, v16
	v_cmpx_ne_u16_e32 0, v5
	s_cbranch_execz .LBB224_766
; %bb.759:                              ;   in Loop: Header=BB224_418 Depth=1
	v_bfrev_b32_e32 v13, 1
	v_mov_b32_e32 v14, 0
	s_mov_b32 s14, exec_lo
	v_cmpx_ne_u16_e32 0x80, v5
	s_cbranch_execz .LBB224_765
; %bb.760:                              ;   in Loop: Header=BB224_418 Depth=1
	v_mov_b32_e32 v13, 0x7f800001
	v_dual_mov_b32 v14, 0 :: v_dual_and_b32 v17, 0x7f, v83
	s_mov_b32 s16, exec_lo
	s_delay_alu instid0(VALU_DEP_1)
	v_cmpx_ne_u32_e32 0x7f, v17
	s_cbranch_execz .LBB224_764
; %bb.761:                              ;   in Loop: Header=BB224_418 Depth=1
	v_and_b32_e32 v5, 7, v83
	v_lshrrev_b32_e32 v13, 3, v17
	s_mov_b32 s17, exec_lo
	v_cmpx_gt_u32_e32 8, v17
; %bb.762:                              ;   in Loop: Header=BB224_418 Depth=1
	s_delay_alu instid0(VALU_DEP_3) | instskip(NEXT) | instid1(VALU_DEP_1)
	v_clz_i32_u32_e32 v13, v5
	v_min_u32_e32 v13, 32, v13
	s_delay_alu instid0(VALU_DEP_1) | instskip(SKIP_1) | instid1(VALU_DEP_2)
	v_subrev_nc_u32_e32 v14, 28, v13
	v_sub_nc_u32_e32 v13, 29, v13
	v_lshlrev_b64 v[17:18], v14, v[5:6]
	s_delay_alu instid0(VALU_DEP_1)
	v_and_b32_e32 v5, 7, v17
; %bb.763:                              ;   in Loop: Header=BB224_418 Depth=1
	s_or_b32 exec_lo, exec_lo, s17
	v_lshlrev_b32_e32 v14, 24, v83
	s_delay_alu instid0(VALU_DEP_2) | instskip(SKIP_1) | instid1(VALU_DEP_3)
	v_lshlrev_b32_e32 v5, 20, v5
	v_lshl_add_u32 v13, v13, 23, 0x3c000000
	v_and_b32_e32 v14, 0x80000000, v14
	s_delay_alu instid0(VALU_DEP_1) | instskip(NEXT) | instid1(VALU_DEP_1)
	v_or3_b32 v5, v5, v14, v13
	v_dual_mov_b32 v14, v6 :: v_dual_mov_b32 v13, v5
.LBB224_764:                            ;   in Loop: Header=BB224_418 Depth=1
	s_or_b32 exec_lo, exec_lo, s16
.LBB224_765:                            ;   in Loop: Header=BB224_418 Depth=1
	s_delay_alu instid0(SALU_CYCLE_1)
	s_or_b32 exec_lo, exec_lo, s14
.LBB224_766:                            ;   in Loop: Header=BB224_418 Depth=1
	s_delay_alu instid0(SALU_CYCLE_1) | instskip(SKIP_2) | instid1(VALU_DEP_1)
	s_or_b32 exec_lo, exec_lo, s2
	v_lshrrev_b16 v5, 8, v83
	s_mov_b32 s14, exec_lo
	v_cmpx_ne_u16_e32 0, v5
	s_cbranch_execz .LBB224_774
; %bb.767:                              ;   in Loop: Header=BB224_418 Depth=1
	v_dual_mov_b32 v16, s9 :: v_dual_mov_b32 v15, s8
	s_mov_b32 s16, exec_lo
	v_cmpx_ne_u16_e32 0x80, v5
	s_cbranch_execz .LBB224_773
; %bb.768:                              ;   in Loop: Header=BB224_418 Depth=1
	s_mov_b32 s2, s8
	v_dual_mov_b32 v16, s3 :: v_dual_and_b32 v5, 0xffff, v5
	v_mov_b32_e32 v15, s2
	s_mov_b32 s2, exec_lo
	s_delay_alu instid0(VALU_DEP_2) | instskip(NEXT) | instid1(VALU_DEP_1)
	v_and_b32_e32 v17, 0x7f, v5
	v_cmpx_ne_u32_e32 0x7f, v17
	s_cbranch_execz .LBB224_772
; %bb.769:                              ;   in Loop: Header=BB224_418 Depth=1
	v_and_b32_e32 v5, 7, v5
	v_lshrrev_b32_e32 v15, 3, v17
	s_mov_b32 s17, exec_lo
	v_cmpx_gt_u32_e32 8, v17
; %bb.770:                              ;   in Loop: Header=BB224_418 Depth=1
	s_delay_alu instid0(VALU_DEP_3) | instskip(NEXT) | instid1(VALU_DEP_1)
	v_clz_i32_u32_e32 v15, v5
	v_min_u32_e32 v15, 32, v15
	s_delay_alu instid0(VALU_DEP_1) | instskip(SKIP_1) | instid1(VALU_DEP_2)
	v_subrev_nc_u32_e32 v16, 28, v15
	v_sub_nc_u32_e32 v15, 29, v15
	v_lshlrev_b64 v[16:17], v16, v[5:6]
	s_delay_alu instid0(VALU_DEP_1)
	v_and_b32_e32 v5, 7, v16
; %bb.771:                              ;   in Loop: Header=BB224_418 Depth=1
	s_or_b32 exec_lo, exec_lo, s17
	v_lshlrev_b32_e32 v16, 16, v83
	s_delay_alu instid0(VALU_DEP_2) | instskip(SKIP_1) | instid1(VALU_DEP_3)
	v_lshlrev_b32_e32 v5, 20, v5
	v_lshl_add_u32 v15, v15, 23, 0x3c000000
	v_and_b32_e32 v16, 0x80000000, v16
	s_delay_alu instid0(VALU_DEP_1)
	v_or3_b32 v16, v5, v16, v15
	v_mov_b32_e32 v15, v6
.LBB224_772:                            ;   in Loop: Header=BB224_418 Depth=1
	s_or_b32 exec_lo, exec_lo, s2
.LBB224_773:                            ;   in Loop: Header=BB224_418 Depth=1
	s_delay_alu instid0(SALU_CYCLE_1)
	s_or_b32 exec_lo, exec_lo, s16
.LBB224_774:                            ;   in Loop: Header=BB224_418 Depth=1
	s_delay_alu instid0(SALU_CYCLE_1) | instskip(SKIP_4) | instid1(VALU_DEP_2)
	s_or_b32 exec_lo, exec_lo, s14
	v_mov_b32_e32 v19, 0
	v_lshrrev_b32_e32 v84, 16, v83
	v_mov_b32_e32 v20, 0
	s_mov_b32 s2, exec_lo
	v_and_b32_e32 v5, 0xff, v84
	s_delay_alu instid0(VALU_DEP_2) | instskip(NEXT) | instid1(VALU_DEP_2)
	v_dual_mov_b32 v17, v19 :: v_dual_mov_b32 v18, v20
	v_cmpx_ne_u16_e32 0, v5
	s_cbranch_execz .LBB224_782
; %bb.775:                              ;   in Loop: Header=BB224_418 Depth=1
	v_bfrev_b32_e32 v17, 1
	v_mov_b32_e32 v18, 0
	s_mov_b32 s14, exec_lo
	v_cmpx_ne_u16_e32 0x80, v5
	s_cbranch_execz .LBB224_781
; %bb.776:                              ;   in Loop: Header=BB224_418 Depth=1
	v_mov_b32_e32 v17, 0x7f800001
	v_bfe_u32 v85, v83, 16, 7
	v_mov_b32_e32 v18, 0
	s_mov_b32 s16, exec_lo
	s_delay_alu instid0(VALU_DEP_2)
	v_cmpx_ne_u32_e32 0x7f, v85
	s_cbranch_execz .LBB224_780
; %bb.777:                              ;   in Loop: Header=BB224_418 Depth=1
	v_and_b32_e32 v5, 7, v84
	v_lshrrev_b32_e32 v17, 3, v85
	s_mov_b32 s17, exec_lo
	v_cmpx_gt_u32_e32 8, v85
; %bb.778:                              ;   in Loop: Header=BB224_418 Depth=1
	s_delay_alu instid0(VALU_DEP_3) | instskip(NEXT) | instid1(VALU_DEP_1)
	v_clz_i32_u32_e32 v17, v5
	v_min_u32_e32 v17, 32, v17
	s_delay_alu instid0(VALU_DEP_1) | instskip(SKIP_1) | instid1(VALU_DEP_2)
	v_subrev_nc_u32_e32 v18, 28, v17
	v_sub_nc_u32_e32 v17, 29, v17
	v_lshlrev_b64 v[85:86], v18, v[5:6]
	s_delay_alu instid0(VALU_DEP_1)
	v_and_b32_e32 v5, 7, v85
; %bb.779:                              ;   in Loop: Header=BB224_418 Depth=1
	s_or_b32 exec_lo, exec_lo, s17
	v_lshlrev_b32_e32 v18, 24, v84
	s_delay_alu instid0(VALU_DEP_2) | instskip(SKIP_1) | instid1(VALU_DEP_3)
	v_lshlrev_b32_e32 v5, 20, v5
	v_lshl_add_u32 v17, v17, 23, 0x3c000000
	v_and_b32_e32 v18, 0x80000000, v18
	s_delay_alu instid0(VALU_DEP_1) | instskip(NEXT) | instid1(VALU_DEP_1)
	v_or3_b32 v5, v5, v18, v17
	v_dual_mov_b32 v18, v6 :: v_dual_mov_b32 v17, v5
.LBB224_780:                            ;   in Loop: Header=BB224_418 Depth=1
	s_or_b32 exec_lo, exec_lo, s16
.LBB224_781:                            ;   in Loop: Header=BB224_418 Depth=1
	s_delay_alu instid0(SALU_CYCLE_1)
	s_or_b32 exec_lo, exec_lo, s14
.LBB224_782:                            ;   in Loop: Header=BB224_418 Depth=1
	s_delay_alu instid0(SALU_CYCLE_1) | instskip(NEXT) | instid1(SALU_CYCLE_1)
	s_or_b32 exec_lo, exec_lo, s2
	s_mov_b32 s14, exec_lo
	v_cmpx_lt_u32_e32 0xffffff, v83
	s_cbranch_execz .LBB224_790
; %bb.783:                              ;   in Loop: Header=BB224_418 Depth=1
	v_lshrrev_b32_e32 v84, 24, v83
	v_dual_mov_b32 v20, s9 :: v_dual_mov_b32 v19, s8
	s_mov_b32 s16, exec_lo
	s_delay_alu instid0(VALU_DEP_2)
	v_cmpx_ne_u32_e32 0x80, v84
	s_cbranch_execz .LBB224_789
; %bb.784:                              ;   in Loop: Header=BB224_418 Depth=1
	s_mov_b32 s2, s8
	v_bfe_u32 v83, v83, 24, 7
	v_dual_mov_b32 v20, s3 :: v_dual_mov_b32 v19, s2
	s_mov_b32 s2, exec_lo
	s_delay_alu instid0(VALU_DEP_2)
	v_cmpx_ne_u32_e32 0x7f, v83
	s_cbranch_execz .LBB224_788
; %bb.785:                              ;   in Loop: Header=BB224_418 Depth=1
	v_and_b32_e32 v5, 7, v84
	v_lshrrev_b32_e32 v19, 3, v83
	s_mov_b32 s17, exec_lo
	v_cmpx_gt_u32_e32 8, v83
; %bb.786:                              ;   in Loop: Header=BB224_418 Depth=1
	s_delay_alu instid0(VALU_DEP_3) | instskip(NEXT) | instid1(VALU_DEP_1)
	v_clz_i32_u32_e32 v19, v5
	v_min_u32_e32 v19, 32, v19
	s_delay_alu instid0(VALU_DEP_1) | instskip(SKIP_1) | instid1(VALU_DEP_2)
	v_subrev_nc_u32_e32 v20, 28, v19
	v_sub_nc_u32_e32 v19, 29, v19
	v_lshlrev_b64 v[85:86], v20, v[5:6]
	s_delay_alu instid0(VALU_DEP_1)
	v_and_b32_e32 v5, 7, v85
; %bb.787:                              ;   in Loop: Header=BB224_418 Depth=1
	s_or_b32 exec_lo, exec_lo, s17
	v_lshlrev_b32_e32 v20, 24, v84
	s_delay_alu instid0(VALU_DEP_2) | instskip(SKIP_1) | instid1(VALU_DEP_3)
	v_lshlrev_b32_e32 v5, 20, v5
	v_lshl_add_u32 v19, v19, 23, 0x3c000000
	v_and_b32_e32 v20, 0x80000000, v20
	s_delay_alu instid0(VALU_DEP_1)
	v_or3_b32 v20, v5, v20, v19
	v_mov_b32_e32 v19, v6
.LBB224_788:                            ;   in Loop: Header=BB224_418 Depth=1
	s_or_b32 exec_lo, exec_lo, s2
.LBB224_789:                            ;   in Loop: Header=BB224_418 Depth=1
	s_delay_alu instid0(SALU_CYCLE_1)
	s_or_b32 exec_lo, exec_lo, s16
.LBB224_790:                            ;   in Loop: Header=BB224_418 Depth=1
	s_delay_alu instid0(SALU_CYCLE_1) | instskip(SKIP_4) | instid1(VALU_DEP_4)
	s_or_b32 exec_lo, exec_lo, s14
	v_or_b32_e32 v5, v16, v14
	v_or_b32_e32 v13, v15, v13
	;; [unrolled: 1-line block ×4, first 2 shown]
	v_mul_f32_e32 v84, s7, v5
	s_delay_alu instid0(VALU_DEP_4) | instskip(NEXT) | instid1(VALU_DEP_3)
	v_mul_f32_e32 v83, s5, v13
	v_dual_mul_f32 v19, s7, v14 :: v_dual_mul_f32 v20, s5, v15
	s_and_saveexec_b32 s2, vcc_lo
; %bb.791:                              ;   in Loop: Header=BB224_418 Depth=1
	v_cmp_gt_i32_e64 s0, s33, v42
	s_delay_alu instid0(VALU_DEP_1) | instskip(SKIP_1) | instid1(VALU_DEP_1)
	v_cndmask_b32_e64 v83, 0, v83, s0
	v_cmp_gt_i32_e64 s0, s33, v44
	v_cndmask_b32_e64 v84, 0, v84, s0
	v_cmp_gt_i32_e64 s0, s33, v43
	s_delay_alu instid0(VALU_DEP_1) | instskip(SKIP_1) | instid1(VALU_DEP_1)
	v_cndmask_b32_e64 v20, 0, v20, s0
	v_cmp_gt_i32_e64 s0, s33, v36
	v_cndmask_b32_e64 v19, 0, v19, s0
; %bb.792:                              ;   in Loop: Header=BB224_418 Depth=1
	s_or_b32 exec_lo, exec_lo, s2
	global_load_b32 v85, v[11:12], off offset:1408
	v_mov_b32_e32 v13, 0
	v_mov_b32_e32 v14, 0
	s_mov_b32 s2, exec_lo
	s_waitcnt vmcnt(0)
	v_and_b32_e32 v5, 0xff, v85
	s_delay_alu instid0(VALU_DEP_2) | instskip(NEXT) | instid1(VALU_DEP_2)
	v_dual_mov_b32 v11, v13 :: v_dual_mov_b32 v12, v14
	v_cmpx_ne_u16_e32 0, v5
	s_cbranch_execz .LBB224_800
; %bb.793:                              ;   in Loop: Header=BB224_418 Depth=1
	v_bfrev_b32_e32 v11, 1
	v_mov_b32_e32 v12, 0
	s_mov_b32 s14, exec_lo
	v_cmpx_ne_u16_e32 0x80, v5
	s_cbranch_execz .LBB224_799
; %bb.794:                              ;   in Loop: Header=BB224_418 Depth=1
	v_mov_b32_e32 v11, 0x7f800001
	v_dual_mov_b32 v12, 0 :: v_dual_and_b32 v15, 0x7f, v85
	s_mov_b32 s16, exec_lo
	s_delay_alu instid0(VALU_DEP_1)
	v_cmpx_ne_u32_e32 0x7f, v15
	s_cbranch_execz .LBB224_798
; %bb.795:                              ;   in Loop: Header=BB224_418 Depth=1
	v_and_b32_e32 v5, 7, v85
	v_lshrrev_b32_e32 v11, 3, v15
	s_mov_b32 s17, exec_lo
	v_cmpx_gt_u32_e32 8, v15
; %bb.796:                              ;   in Loop: Header=BB224_418 Depth=1
	s_delay_alu instid0(VALU_DEP_3) | instskip(NEXT) | instid1(VALU_DEP_1)
	v_clz_i32_u32_e32 v11, v5
	v_min_u32_e32 v11, 32, v11
	s_delay_alu instid0(VALU_DEP_1) | instskip(SKIP_1) | instid1(VALU_DEP_2)
	v_subrev_nc_u32_e32 v12, 28, v11
	v_sub_nc_u32_e32 v11, 29, v11
	v_lshlrev_b64 v[15:16], v12, v[5:6]
	s_delay_alu instid0(VALU_DEP_1)
	v_and_b32_e32 v5, 7, v15
; %bb.797:                              ;   in Loop: Header=BB224_418 Depth=1
	s_or_b32 exec_lo, exec_lo, s17
	v_lshlrev_b32_e32 v12, 24, v85
	s_delay_alu instid0(VALU_DEP_2) | instskip(SKIP_1) | instid1(VALU_DEP_3)
	v_lshlrev_b32_e32 v5, 20, v5
	v_lshl_add_u32 v11, v11, 23, 0x3c000000
	v_and_b32_e32 v12, 0x80000000, v12
	s_delay_alu instid0(VALU_DEP_1) | instskip(NEXT) | instid1(VALU_DEP_1)
	v_or3_b32 v5, v5, v12, v11
	v_dual_mov_b32 v12, v6 :: v_dual_mov_b32 v11, v5
.LBB224_798:                            ;   in Loop: Header=BB224_418 Depth=1
	s_or_b32 exec_lo, exec_lo, s16
.LBB224_799:                            ;   in Loop: Header=BB224_418 Depth=1
	s_delay_alu instid0(SALU_CYCLE_1)
	s_or_b32 exec_lo, exec_lo, s14
.LBB224_800:                            ;   in Loop: Header=BB224_418 Depth=1
	s_delay_alu instid0(SALU_CYCLE_1) | instskip(SKIP_2) | instid1(VALU_DEP_1)
	s_or_b32 exec_lo, exec_lo, s2
	v_lshrrev_b16 v5, 8, v85
	s_mov_b32 s14, exec_lo
	v_cmpx_ne_u16_e32 0, v5
	s_cbranch_execz .LBB224_808
; %bb.801:                              ;   in Loop: Header=BB224_418 Depth=1
	v_dual_mov_b32 v14, s9 :: v_dual_mov_b32 v13, s8
	s_mov_b32 s16, exec_lo
	v_cmpx_ne_u16_e32 0x80, v5
	s_cbranch_execz .LBB224_807
; %bb.802:                              ;   in Loop: Header=BB224_418 Depth=1
	s_mov_b32 s2, s8
	v_dual_mov_b32 v14, s3 :: v_dual_and_b32 v5, 0xffff, v5
	v_mov_b32_e32 v13, s2
	s_mov_b32 s2, exec_lo
	s_delay_alu instid0(VALU_DEP_2) | instskip(NEXT) | instid1(VALU_DEP_1)
	v_and_b32_e32 v15, 0x7f, v5
	v_cmpx_ne_u32_e32 0x7f, v15
	s_cbranch_execz .LBB224_806
; %bb.803:                              ;   in Loop: Header=BB224_418 Depth=1
	v_and_b32_e32 v5, 7, v5
	v_lshrrev_b32_e32 v13, 3, v15
	s_mov_b32 s17, exec_lo
	v_cmpx_gt_u32_e32 8, v15
; %bb.804:                              ;   in Loop: Header=BB224_418 Depth=1
	s_delay_alu instid0(VALU_DEP_3) | instskip(NEXT) | instid1(VALU_DEP_1)
	v_clz_i32_u32_e32 v13, v5
	v_min_u32_e32 v13, 32, v13
	s_delay_alu instid0(VALU_DEP_1) | instskip(SKIP_1) | instid1(VALU_DEP_2)
	v_subrev_nc_u32_e32 v14, 28, v13
	v_sub_nc_u32_e32 v13, 29, v13
	v_lshlrev_b64 v[14:15], v14, v[5:6]
	s_delay_alu instid0(VALU_DEP_1)
	v_and_b32_e32 v5, 7, v14
; %bb.805:                              ;   in Loop: Header=BB224_418 Depth=1
	s_or_b32 exec_lo, exec_lo, s17
	v_lshlrev_b32_e32 v14, 16, v85
	s_delay_alu instid0(VALU_DEP_2) | instskip(SKIP_1) | instid1(VALU_DEP_3)
	v_lshlrev_b32_e32 v5, 20, v5
	v_lshl_add_u32 v13, v13, 23, 0x3c000000
	v_and_b32_e32 v14, 0x80000000, v14
	s_delay_alu instid0(VALU_DEP_1)
	v_or3_b32 v14, v5, v14, v13
	v_mov_b32_e32 v13, v6
.LBB224_806:                            ;   in Loop: Header=BB224_418 Depth=1
	s_or_b32 exec_lo, exec_lo, s2
.LBB224_807:                            ;   in Loop: Header=BB224_418 Depth=1
	s_delay_alu instid0(SALU_CYCLE_1)
	s_or_b32 exec_lo, exec_lo, s16
.LBB224_808:                            ;   in Loop: Header=BB224_418 Depth=1
	s_delay_alu instid0(SALU_CYCLE_1) | instskip(SKIP_4) | instid1(VALU_DEP_2)
	s_or_b32 exec_lo, exec_lo, s14
	v_mov_b32_e32 v17, 0
	v_lshrrev_b32_e32 v86, 16, v85
	v_mov_b32_e32 v18, 0
	s_mov_b32 s2, exec_lo
	v_and_b32_e32 v5, 0xff, v86
	s_delay_alu instid0(VALU_DEP_2) | instskip(NEXT) | instid1(VALU_DEP_2)
	v_dual_mov_b32 v15, v17 :: v_dual_mov_b32 v16, v18
	v_cmpx_ne_u16_e32 0, v5
	s_cbranch_execz .LBB224_816
; %bb.809:                              ;   in Loop: Header=BB224_418 Depth=1
	v_bfrev_b32_e32 v15, 1
	v_mov_b32_e32 v16, 0
	s_mov_b32 s14, exec_lo
	v_cmpx_ne_u16_e32 0x80, v5
	s_cbranch_execz .LBB224_815
; %bb.810:                              ;   in Loop: Header=BB224_418 Depth=1
	v_mov_b32_e32 v15, 0x7f800001
	v_bfe_u32 v87, v85, 16, 7
	v_mov_b32_e32 v16, 0
	s_mov_b32 s16, exec_lo
	s_delay_alu instid0(VALU_DEP_2)
	v_cmpx_ne_u32_e32 0x7f, v87
	s_cbranch_execz .LBB224_814
; %bb.811:                              ;   in Loop: Header=BB224_418 Depth=1
	v_and_b32_e32 v5, 7, v86
	v_lshrrev_b32_e32 v15, 3, v87
	s_mov_b32 s17, exec_lo
	v_cmpx_gt_u32_e32 8, v87
; %bb.812:                              ;   in Loop: Header=BB224_418 Depth=1
	s_delay_alu instid0(VALU_DEP_3) | instskip(NEXT) | instid1(VALU_DEP_1)
	v_clz_i32_u32_e32 v15, v5
	v_min_u32_e32 v15, 32, v15
	s_delay_alu instid0(VALU_DEP_1) | instskip(SKIP_1) | instid1(VALU_DEP_2)
	v_subrev_nc_u32_e32 v16, 28, v15
	v_sub_nc_u32_e32 v15, 29, v15
	v_lshlrev_b64 v[87:88], v16, v[5:6]
	s_delay_alu instid0(VALU_DEP_1)
	v_and_b32_e32 v5, 7, v87
; %bb.813:                              ;   in Loop: Header=BB224_418 Depth=1
	s_or_b32 exec_lo, exec_lo, s17
	v_lshlrev_b32_e32 v16, 24, v86
	s_delay_alu instid0(VALU_DEP_2) | instskip(SKIP_1) | instid1(VALU_DEP_3)
	v_lshlrev_b32_e32 v5, 20, v5
	v_lshl_add_u32 v15, v15, 23, 0x3c000000
	v_and_b32_e32 v16, 0x80000000, v16
	s_delay_alu instid0(VALU_DEP_1) | instskip(NEXT) | instid1(VALU_DEP_1)
	v_or3_b32 v5, v5, v16, v15
	v_dual_mov_b32 v16, v6 :: v_dual_mov_b32 v15, v5
.LBB224_814:                            ;   in Loop: Header=BB224_418 Depth=1
	s_or_b32 exec_lo, exec_lo, s16
.LBB224_815:                            ;   in Loop: Header=BB224_418 Depth=1
	s_delay_alu instid0(SALU_CYCLE_1)
	s_or_b32 exec_lo, exec_lo, s14
.LBB224_816:                            ;   in Loop: Header=BB224_418 Depth=1
	s_delay_alu instid0(SALU_CYCLE_1) | instskip(NEXT) | instid1(SALU_CYCLE_1)
	s_or_b32 exec_lo, exec_lo, s2
	s_mov_b32 s14, exec_lo
	v_cmpx_lt_u32_e32 0xffffff, v85
	s_cbranch_execz .LBB224_824
; %bb.817:                              ;   in Loop: Header=BB224_418 Depth=1
	v_lshrrev_b32_e32 v86, 24, v85
	v_dual_mov_b32 v18, s9 :: v_dual_mov_b32 v17, s8
	s_mov_b32 s16, exec_lo
	s_delay_alu instid0(VALU_DEP_2)
	v_cmpx_ne_u32_e32 0x80, v86
	s_cbranch_execz .LBB224_823
; %bb.818:                              ;   in Loop: Header=BB224_418 Depth=1
	s_mov_b32 s2, s8
	v_bfe_u32 v85, v85, 24, 7
	v_dual_mov_b32 v18, s3 :: v_dual_mov_b32 v17, s2
	s_mov_b32 s2, exec_lo
	s_delay_alu instid0(VALU_DEP_2)
	v_cmpx_ne_u32_e32 0x7f, v85
	s_cbranch_execz .LBB224_822
; %bb.819:                              ;   in Loop: Header=BB224_418 Depth=1
	v_and_b32_e32 v5, 7, v86
	v_lshrrev_b32_e32 v17, 3, v85
	s_mov_b32 s17, exec_lo
	v_cmpx_gt_u32_e32 8, v85
; %bb.820:                              ;   in Loop: Header=BB224_418 Depth=1
	s_delay_alu instid0(VALU_DEP_3) | instskip(NEXT) | instid1(VALU_DEP_1)
	v_clz_i32_u32_e32 v17, v5
	v_min_u32_e32 v17, 32, v17
	s_delay_alu instid0(VALU_DEP_1) | instskip(SKIP_1) | instid1(VALU_DEP_2)
	v_subrev_nc_u32_e32 v18, 28, v17
	v_sub_nc_u32_e32 v17, 29, v17
	v_lshlrev_b64 v[87:88], v18, v[5:6]
	s_delay_alu instid0(VALU_DEP_1)
	v_and_b32_e32 v5, 7, v87
; %bb.821:                              ;   in Loop: Header=BB224_418 Depth=1
	s_or_b32 exec_lo, exec_lo, s17
	v_lshlrev_b32_e32 v18, 24, v86
	s_delay_alu instid0(VALU_DEP_2) | instskip(SKIP_1) | instid1(VALU_DEP_3)
	v_lshlrev_b32_e32 v5, 20, v5
	v_lshl_add_u32 v17, v17, 23, 0x3c000000
	v_and_b32_e32 v18, 0x80000000, v18
	s_delay_alu instid0(VALU_DEP_1)
	v_or3_b32 v18, v5, v18, v17
	v_mov_b32_e32 v17, v6
.LBB224_822:                            ;   in Loop: Header=BB224_418 Depth=1
	s_or_b32 exec_lo, exec_lo, s2
.LBB224_823:                            ;   in Loop: Header=BB224_418 Depth=1
	s_delay_alu instid0(SALU_CYCLE_1)
	s_or_b32 exec_lo, exec_lo, s16
.LBB224_824:                            ;   in Loop: Header=BB224_418 Depth=1
	s_delay_alu instid0(SALU_CYCLE_1) | instskip(SKIP_4) | instid1(VALU_DEP_3)
	s_or_b32 exec_lo, exec_lo, s14
	v_or_b32_e32 v5, v14, v12
	v_or_b32_e32 v11, v13, v11
	;; [unrolled: 1-line block ×4, first 2 shown]
	v_dual_mul_f32 v13, s7, v5 :: v_dual_mul_f32 v12, s5, v11
	s_delay_alu instid0(VALU_DEP_3) | instskip(NEXT) | instid1(VALU_DEP_3)
	v_mul_f32_e32 v5, s7, v14
	v_mul_f32_e32 v11, s5, v15
	s_and_saveexec_b32 s0, vcc_lo
	s_cbranch_execz .LBB224_417
; %bb.825:                              ;   in Loop: Header=BB224_418 Depth=1
	v_cmp_gt_i32_e32 vcc_lo, s33, v42
	v_cndmask_b32_e32 v12, 0, v12, vcc_lo
	v_cmp_gt_i32_e32 vcc_lo, s33, v44
	v_cndmask_b32_e32 v13, 0, v13, vcc_lo
	v_cmp_gt_i32_e32 vcc_lo, s33, v43
	v_cndmask_b32_e32 v11, 0, v11, vcc_lo
	v_cmp_gt_i32_e32 vcc_lo, s33, v36
	v_cndmask_b32_e32 v5, 0, v5, vcc_lo
	s_branch .LBB224_417
.LBB224_826:
	s_or_b32 exec_lo, exec_lo, s13
.LBB224_827:
	s_delay_alu instid0(SALU_CYCLE_1)
	s_or_b32 exec_lo, exec_lo, s1
	ds_bpermute_b32 v1, v22, v33
	ds_bpermute_b32 v2, v22, v35
	;; [unrolled: 1-line block ×12, first 2 shown]
	v_and_b32_e32 v15, 0x3c1, v0
	v_lshrrev_b32_e32 v13, 1, v21
	s_movk_i32 s0, 0x300
	s_waitcnt lgkmcnt(0)
	s_waitcnt_vscnt null, 0x0
	v_mad_u32_u24 v14, v61, s0, 0x320
	v_cmp_eq_u32_e32 vcc_lo, 64, v15
	v_lshlrev_b32_e32 v15, 2, v13
	s_barrier
	v_dual_add_f32 v1, v33, v1 :: v_dual_add_f32 v2, v35, v2
	v_dual_add_f32 v3, v34, v3 :: v_dual_add_f32 v4, v32, v4
	;; [unrolled: 1-line block ×6, first 2 shown]
	buffer_gl0_inv
	s_and_saveexec_b32 s0, vcc_lo
	s_cbranch_execz .LBB224_829
; %bb.828:
	v_add3_u32 v16, v14, v15, 0xfffffa00
	ds_store_2addr_b32 v16, v1, v2 offset1:16
	ds_store_2addr_b32 v16, v3, v4 offset0:32 offset1:48
	ds_store_2addr_b32 v16, v5, v6 offset0:64 offset1:80
	;; [unrolled: 1-line block ×5, first 2 shown]
.LBB224_829:
	s_or_b32 exec_lo, exec_lo, s0
	v_cmp_eq_u32_e32 vcc_lo, 0, v23
	s_mov_b32 s1, exec_lo
	s_waitcnt lgkmcnt(0)
	s_barrier
	buffer_gl0_inv
	v_cmpx_gt_u32_e32 64, v0
	s_cbranch_execz .LBB224_844
; %bb.830:
	s_and_saveexec_b32 s0, vcc_lo
	s_cbranch_execnz .LBB224_864
; %bb.831:
	s_or_b32 exec_lo, exec_lo, s0
	s_and_saveexec_b32 s0, vcc_lo
	s_cbranch_execnz .LBB224_865
.LBB224_832:
	s_or_b32 exec_lo, exec_lo, s0
	s_and_saveexec_b32 s0, vcc_lo
	s_cbranch_execnz .LBB224_866
.LBB224_833:
	s_or_b32 exec_lo, exec_lo, s0
	s_and_saveexec_b32 s0, vcc_lo
	s_cbranch_execnz .LBB224_867
.LBB224_834:
	s_or_b32 exec_lo, exec_lo, s0
	s_and_saveexec_b32 s0, vcc_lo
	s_cbranch_execnz .LBB224_868
.LBB224_835:
	s_or_b32 exec_lo, exec_lo, s0
	s_and_saveexec_b32 s0, vcc_lo
	s_cbranch_execnz .LBB224_869
.LBB224_836:
	s_or_b32 exec_lo, exec_lo, s0
	s_and_saveexec_b32 s0, vcc_lo
	s_cbranch_execnz .LBB224_870
.LBB224_837:
	s_or_b32 exec_lo, exec_lo, s0
	s_and_saveexec_b32 s0, vcc_lo
	s_cbranch_execnz .LBB224_871
.LBB224_838:
	s_or_b32 exec_lo, exec_lo, s0
	s_and_saveexec_b32 s0, vcc_lo
	s_cbranch_execnz .LBB224_872
.LBB224_839:
	s_or_b32 exec_lo, exec_lo, s0
	s_and_saveexec_b32 s0, vcc_lo
	s_cbranch_execnz .LBB224_873
.LBB224_840:
	s_or_b32 exec_lo, exec_lo, s0
	s_and_saveexec_b32 s0, vcc_lo
	s_cbranch_execnz .LBB224_874
.LBB224_841:
	s_or_b32 exec_lo, exec_lo, s0
	s_and_saveexec_b32 s0, vcc_lo
	s_cbranch_execz .LBB224_843
.LBB224_842:
	v_lshl_add_u32 v16, v13, 2, v14
	ds_load_b32 v16, v16 offset:704
	s_waitcnt lgkmcnt(0)
	v_add_f32_e32 v12, v12, v16
.LBB224_843:
	s_or_b32 exec_lo, exec_lo, s0
.LBB224_844:
	s_delay_alu instid0(SALU_CYCLE_1)
	s_or_b32 exec_lo, exec_lo, s1
	v_and_b32_e32 v16, 0x3e1, v0
	s_mov_b32 s1, exec_lo
	s_barrier
	buffer_gl0_inv
	v_cmpx_eq_u32_e32 32, v16
	s_cbranch_execz .LBB224_846
; %bb.845:
	v_add3_u32 v15, v14, v15, 0xfffffd00
	ds_store_2addr_b32 v15, v1, v2 offset1:16
	ds_store_2addr_b32 v15, v3, v4 offset0:32 offset1:48
	ds_store_2addr_b32 v15, v5, v6 offset0:64 offset1:80
	;; [unrolled: 1-line block ×5, first 2 shown]
.LBB224_846:
	s_or_b32 exec_lo, exec_lo, s1
	s_delay_alu instid0(SALU_CYCLE_1)
	s_mov_b32 s1, exec_lo
	s_waitcnt lgkmcnt(0)
	s_barrier
	buffer_gl0_inv
	v_cmpx_gt_u32_e32 32, v0
	s_cbranch_execz .LBB224_861
; %bb.847:
	v_lshl_add_u32 v13, v13, 2, v14
	s_and_saveexec_b32 s0, vcc_lo
	s_cbranch_execnz .LBB224_875
; %bb.848:
	s_or_b32 exec_lo, exec_lo, s0
	s_and_saveexec_b32 s0, vcc_lo
	s_cbranch_execnz .LBB224_876
.LBB224_849:
	s_or_b32 exec_lo, exec_lo, s0
	s_and_saveexec_b32 s0, vcc_lo
	s_cbranch_execnz .LBB224_877
.LBB224_850:
	s_or_b32 exec_lo, exec_lo, s0
	s_and_saveexec_b32 s0, vcc_lo
	s_cbranch_execnz .LBB224_878
.LBB224_851:
	s_or_b32 exec_lo, exec_lo, s0
	s_and_saveexec_b32 s0, vcc_lo
	s_cbranch_execnz .LBB224_879
.LBB224_852:
	s_or_b32 exec_lo, exec_lo, s0
	s_and_saveexec_b32 s0, vcc_lo
	s_cbranch_execnz .LBB224_880
.LBB224_853:
	s_or_b32 exec_lo, exec_lo, s0
	s_and_saveexec_b32 s0, vcc_lo
	s_cbranch_execnz .LBB224_881
.LBB224_854:
	s_or_b32 exec_lo, exec_lo, s0
	s_and_saveexec_b32 s0, vcc_lo
	s_cbranch_execnz .LBB224_882
.LBB224_855:
	s_or_b32 exec_lo, exec_lo, s0
	s_and_saveexec_b32 s0, vcc_lo
	s_cbranch_execnz .LBB224_883
.LBB224_856:
	s_or_b32 exec_lo, exec_lo, s0
	s_and_saveexec_b32 s0, vcc_lo
	s_cbranch_execnz .LBB224_884
.LBB224_857:
	s_or_b32 exec_lo, exec_lo, s0
	s_and_saveexec_b32 s0, vcc_lo
	s_cbranch_execnz .LBB224_885
.LBB224_858:
	s_or_b32 exec_lo, exec_lo, s0
	s_and_saveexec_b32 s0, vcc_lo
	s_cbranch_execz .LBB224_860
.LBB224_859:
	ds_load_b32 v13, v13 offset:704
	s_waitcnt lgkmcnt(0)
	v_add_f32_e32 v12, v12, v13
.LBB224_860:
	s_or_b32 exec_lo, exec_lo, s0
.LBB224_861:
	s_delay_alu instid0(SALU_CYCLE_1)
	s_or_b32 exec_lo, exec_lo, s1
	s_barrier
	buffer_gl0_inv
	s_mov_b32 s0, exec_lo
	v_cmpx_eq_u32_e32 0, v16
	s_cbranch_execz .LBB224_863
; %bb.862:
	s_mul_i32 s0, s4, 0xc0
	s_mul_i32 s2, s15, s26
	s_ashr_i32 s1, s0, 31
	v_lshlrev_b32_e32 v0, 1, v0
	s_lshl_b64 s[0:1], s[0:1], 2
	s_delay_alu instid0(SALU_CYCLE_1) | instskip(SKIP_2) | instid1(SALU_CYCLE_1)
	s_add_u32 s4, s24, s0
	s_addc_u32 s5, s25, s1
	s_ashr_i32 s3, s2, 31
	s_lshl_b64 s[0:1], s[2:3], 2
	s_mul_i32 s2, s12, 0xc0
	s_add_u32 s4, s4, s0
	s_addc_u32 s5, s5, s1
	s_ashr_i32 s3, s2, 31
	s_delay_alu instid0(SALU_CYCLE_1) | instskip(NEXT) | instid1(SALU_CYCLE_1)
	s_lshl_b64 s[0:1], s[2:3], 2
	s_add_u32 s0, s4, s0
	s_addc_u32 s1, s5, s1
	s_clause 0xb
	global_store_b32 v0, v1, s[0:1]
	global_store_b32 v0, v2, s[0:1] offset:64
	global_store_b32 v0, v3, s[0:1] offset:128
	global_store_b32 v0, v4, s[0:1] offset:192
	global_store_b32 v0, v5, s[0:1] offset:256
	global_store_b32 v0, v6, s[0:1] offset:320
	global_store_b32 v0, v7, s[0:1] offset:384
	global_store_b32 v0, v8, s[0:1] offset:448
	global_store_b32 v0, v9, s[0:1] offset:512
	global_store_b32 v0, v10, s[0:1] offset:576
	global_store_b32 v0, v11, s[0:1] offset:640
	global_store_b32 v0, v12, s[0:1] offset:704
.LBB224_863:
	s_nop 0
	s_sendmsg sendmsg(MSG_DEALLOC_VGPRS)
	s_endpgm
.LBB224_864:
	v_lshl_add_u32 v16, v13, 2, v14
	ds_load_b32 v16, v16
	s_waitcnt lgkmcnt(0)
	v_add_f32_e32 v1, v1, v16
	s_or_b32 exec_lo, exec_lo, s0
	s_and_saveexec_b32 s0, vcc_lo
	s_cbranch_execz .LBB224_832
.LBB224_865:
	v_lshl_add_u32 v16, v13, 2, v14
	ds_load_b32 v16, v16 offset:64
	s_waitcnt lgkmcnt(0)
	v_add_f32_e32 v2, v2, v16
	s_or_b32 exec_lo, exec_lo, s0
	s_and_saveexec_b32 s0, vcc_lo
	s_cbranch_execz .LBB224_833
.LBB224_866:
	v_lshl_add_u32 v16, v13, 2, v14
	ds_load_b32 v16, v16 offset:128
	s_waitcnt lgkmcnt(0)
	v_add_f32_e32 v3, v3, v16
	s_or_b32 exec_lo, exec_lo, s0
	s_and_saveexec_b32 s0, vcc_lo
	s_cbranch_execz .LBB224_834
.LBB224_867:
	v_lshl_add_u32 v16, v13, 2, v14
	ds_load_b32 v16, v16 offset:192
	s_waitcnt lgkmcnt(0)
	v_add_f32_e32 v4, v4, v16
	s_or_b32 exec_lo, exec_lo, s0
	s_and_saveexec_b32 s0, vcc_lo
	s_cbranch_execz .LBB224_835
.LBB224_868:
	v_lshl_add_u32 v16, v13, 2, v14
	ds_load_b32 v16, v16 offset:256
	s_waitcnt lgkmcnt(0)
	v_add_f32_e32 v5, v5, v16
	s_or_b32 exec_lo, exec_lo, s0
	s_and_saveexec_b32 s0, vcc_lo
	s_cbranch_execz .LBB224_836
.LBB224_869:
	v_lshl_add_u32 v16, v13, 2, v14
	ds_load_b32 v16, v16 offset:320
	s_waitcnt lgkmcnt(0)
	v_add_f32_e32 v6, v6, v16
	s_or_b32 exec_lo, exec_lo, s0
	s_and_saveexec_b32 s0, vcc_lo
	s_cbranch_execz .LBB224_837
.LBB224_870:
	v_lshl_add_u32 v16, v13, 2, v14
	ds_load_b32 v16, v16 offset:384
	s_waitcnt lgkmcnt(0)
	v_add_f32_e32 v7, v7, v16
	s_or_b32 exec_lo, exec_lo, s0
	s_and_saveexec_b32 s0, vcc_lo
	s_cbranch_execz .LBB224_838
.LBB224_871:
	v_lshl_add_u32 v16, v13, 2, v14
	ds_load_b32 v16, v16 offset:448
	s_waitcnt lgkmcnt(0)
	v_add_f32_e32 v8, v8, v16
	s_or_b32 exec_lo, exec_lo, s0
	s_and_saveexec_b32 s0, vcc_lo
	s_cbranch_execz .LBB224_839
.LBB224_872:
	v_lshl_add_u32 v16, v13, 2, v14
	ds_load_b32 v16, v16 offset:512
	s_waitcnt lgkmcnt(0)
	v_add_f32_e32 v9, v9, v16
	s_or_b32 exec_lo, exec_lo, s0
	s_and_saveexec_b32 s0, vcc_lo
	s_cbranch_execz .LBB224_840
.LBB224_873:
	v_lshl_add_u32 v16, v13, 2, v14
	ds_load_b32 v16, v16 offset:576
	s_waitcnt lgkmcnt(0)
	v_add_f32_e32 v10, v10, v16
	s_or_b32 exec_lo, exec_lo, s0
	s_and_saveexec_b32 s0, vcc_lo
	s_cbranch_execz .LBB224_841
.LBB224_874:
	v_lshl_add_u32 v16, v13, 2, v14
	ds_load_b32 v16, v16 offset:640
	s_waitcnt lgkmcnt(0)
	v_add_f32_e32 v11, v11, v16
	s_or_b32 exec_lo, exec_lo, s0
	s_and_saveexec_b32 s0, vcc_lo
	s_cbranch_execnz .LBB224_842
	s_branch .LBB224_843
.LBB224_875:
	ds_load_b32 v14, v13
	s_waitcnt lgkmcnt(0)
	v_add_f32_e32 v1, v1, v14
	s_or_b32 exec_lo, exec_lo, s0
	s_and_saveexec_b32 s0, vcc_lo
	s_cbranch_execz .LBB224_849
.LBB224_876:
	ds_load_b32 v14, v13 offset:64
	s_waitcnt lgkmcnt(0)
	v_add_f32_e32 v2, v2, v14
	s_or_b32 exec_lo, exec_lo, s0
	s_and_saveexec_b32 s0, vcc_lo
	s_cbranch_execz .LBB224_850
.LBB224_877:
	ds_load_b32 v14, v13 offset:128
	s_waitcnt lgkmcnt(0)
	v_add_f32_e32 v3, v3, v14
	s_or_b32 exec_lo, exec_lo, s0
	s_and_saveexec_b32 s0, vcc_lo
	s_cbranch_execz .LBB224_851
.LBB224_878:
	ds_load_b32 v14, v13 offset:192
	s_waitcnt lgkmcnt(0)
	v_add_f32_e32 v4, v4, v14
	s_or_b32 exec_lo, exec_lo, s0
	s_and_saveexec_b32 s0, vcc_lo
	s_cbranch_execz .LBB224_852
.LBB224_879:
	ds_load_b32 v14, v13 offset:256
	s_waitcnt lgkmcnt(0)
	v_add_f32_e32 v5, v5, v14
	s_or_b32 exec_lo, exec_lo, s0
	s_and_saveexec_b32 s0, vcc_lo
	s_cbranch_execz .LBB224_853
.LBB224_880:
	ds_load_b32 v14, v13 offset:320
	s_waitcnt lgkmcnt(0)
	v_add_f32_e32 v6, v6, v14
	s_or_b32 exec_lo, exec_lo, s0
	s_and_saveexec_b32 s0, vcc_lo
	s_cbranch_execz .LBB224_854
.LBB224_881:
	ds_load_b32 v14, v13 offset:384
	s_waitcnt lgkmcnt(0)
	v_add_f32_e32 v7, v7, v14
	s_or_b32 exec_lo, exec_lo, s0
	s_and_saveexec_b32 s0, vcc_lo
	s_cbranch_execz .LBB224_855
.LBB224_882:
	ds_load_b32 v14, v13 offset:448
	s_waitcnt lgkmcnt(0)
	v_add_f32_e32 v8, v8, v14
	s_or_b32 exec_lo, exec_lo, s0
	s_and_saveexec_b32 s0, vcc_lo
	s_cbranch_execz .LBB224_856
.LBB224_883:
	ds_load_b32 v14, v13 offset:512
	s_waitcnt lgkmcnt(0)
	v_add_f32_e32 v9, v9, v14
	s_or_b32 exec_lo, exec_lo, s0
	s_and_saveexec_b32 s0, vcc_lo
	s_cbranch_execz .LBB224_857
.LBB224_884:
	ds_load_b32 v14, v13 offset:576
	s_waitcnt lgkmcnt(0)
	v_add_f32_e32 v10, v10, v14
	s_or_b32 exec_lo, exec_lo, s0
	s_and_saveexec_b32 s0, vcc_lo
	s_cbranch_execz .LBB224_858
.LBB224_885:
	ds_load_b32 v14, v13 offset:640
	s_waitcnt lgkmcnt(0)
	v_add_f32_e32 v11, v11, v14
	s_or_b32 exec_lo, exec_lo, s0
	s_and_saveexec_b32 s0, vcc_lo
	s_cbranch_execnz .LBB224_859
	s_branch .LBB224_860
	.section	.rodata,"a",@progbits
	.p2align	6, 0x0
	.amdhsa_kernel _ZN4vllm25paged_attention_v2_kernelIfhLi192ELi8ELi128ELNS_18Fp8KVCacheDataTypeE1ELb0ELi512EEEvPfS2_PT_PKS3_PKT0_S9_ifPKiSB_iPKfiiiSD_SD_iiiii
		.amdhsa_group_segment_fixed_size 800
		.amdhsa_private_segment_fixed_size 0
		.amdhsa_kernarg_size 400
		.amdhsa_user_sgpr_count 13
		.amdhsa_user_sgpr_dispatch_ptr 0
		.amdhsa_user_sgpr_queue_ptr 0
		.amdhsa_user_sgpr_kernarg_segment_ptr 1
		.amdhsa_user_sgpr_dispatch_id 0
		.amdhsa_user_sgpr_private_segment_size 0
		.amdhsa_wavefront_size32 1
		.amdhsa_uses_dynamic_stack 0
		.amdhsa_enable_private_segment 0
		.amdhsa_system_sgpr_workgroup_id_x 1
		.amdhsa_system_sgpr_workgroup_id_y 1
		.amdhsa_system_sgpr_workgroup_id_z 1
		.amdhsa_system_sgpr_workgroup_info 0
		.amdhsa_system_vgpr_workitem_id 0
		.amdhsa_next_free_vgpr 119
		.amdhsa_next_free_sgpr 44
		.amdhsa_reserve_vcc 1
		.amdhsa_float_round_mode_32 0
		.amdhsa_float_round_mode_16_64 0
		.amdhsa_float_denorm_mode_32 3
		.amdhsa_float_denorm_mode_16_64 3
		.amdhsa_dx10_clamp 1
		.amdhsa_ieee_mode 1
		.amdhsa_fp16_overflow 0
		.amdhsa_workgroup_processor_mode 1
		.amdhsa_memory_ordered 1
		.amdhsa_forward_progress 0
		.amdhsa_shared_vgpr_count 0
		.amdhsa_exception_fp_ieee_invalid_op 0
		.amdhsa_exception_fp_denorm_src 0
		.amdhsa_exception_fp_ieee_div_zero 0
		.amdhsa_exception_fp_ieee_overflow 0
		.amdhsa_exception_fp_ieee_underflow 0
		.amdhsa_exception_fp_ieee_inexact 0
		.amdhsa_exception_int_div_zero 0
	.end_amdhsa_kernel
	.section	.text._ZN4vllm25paged_attention_v2_kernelIfhLi192ELi8ELi128ELNS_18Fp8KVCacheDataTypeE1ELb0ELi512EEEvPfS2_PT_PKS3_PKT0_S9_ifPKiSB_iPKfiiiSD_SD_iiiii,"axG",@progbits,_ZN4vllm25paged_attention_v2_kernelIfhLi192ELi8ELi128ELNS_18Fp8KVCacheDataTypeE1ELb0ELi512EEEvPfS2_PT_PKS3_PKT0_S9_ifPKiSB_iPKfiiiSD_SD_iiiii,comdat
.Lfunc_end224:
	.size	_ZN4vllm25paged_attention_v2_kernelIfhLi192ELi8ELi128ELNS_18Fp8KVCacheDataTypeE1ELb0ELi512EEEvPfS2_PT_PKS3_PKT0_S9_ifPKiSB_iPKfiiiSD_SD_iiiii, .Lfunc_end224-_ZN4vllm25paged_attention_v2_kernelIfhLi192ELi8ELi128ELNS_18Fp8KVCacheDataTypeE1ELb0ELi512EEEvPfS2_PT_PKS3_PKT0_S9_ifPKiSB_iPKfiiiSD_SD_iiiii
                                        ; -- End function
	.section	.AMDGPU.csdata,"",@progbits
; Kernel info:
; codeLenInByte = 28344
; NumSgprs: 46
; NumVgprs: 119
; ScratchSize: 0
; MemoryBound: 0
; FloatMode: 240
; IeeeMode: 1
; LDSByteSize: 800 bytes/workgroup (compile time only)
; SGPRBlocks: 5
; VGPRBlocks: 14
; NumSGPRsForWavesPerEU: 46
; NumVGPRsForWavesPerEU: 119
; Occupancy: 12
; WaveLimiterHint : 1
; COMPUTE_PGM_RSRC2:SCRATCH_EN: 0
; COMPUTE_PGM_RSRC2:USER_SGPR: 13
; COMPUTE_PGM_RSRC2:TRAP_HANDLER: 0
; COMPUTE_PGM_RSRC2:TGID_X_EN: 1
; COMPUTE_PGM_RSRC2:TGID_Y_EN: 1
; COMPUTE_PGM_RSRC2:TGID_Z_EN: 1
; COMPUTE_PGM_RSRC2:TIDIG_COMP_CNT: 0
	.text
	.p2align	2                               ; -- Begin function _ZN4vllm22paged_attention_kernelIfhLi256ELi8ELi128ELNS_18Fp8KVCacheDataTypeE1ELb0ELi512EEEvPfS2_PT_PKS3_PKT0_S9_ifPKiSB_iPKfiiiSD_SD_iiiii
	.type	_ZN4vllm22paged_attention_kernelIfhLi256ELi8ELi128ELNS_18Fp8KVCacheDataTypeE1ELb0ELi512EEEvPfS2_PT_PKS3_PKT0_S9_ifPKiSB_iPKfiiiSD_SD_iiiii,@function
_ZN4vllm22paged_attention_kernelIfhLi256ELi8ELi128ELNS_18Fp8KVCacheDataTypeE1ELb0ELi512EEEvPfS2_PT_PKS3_PKT0_S9_ifPKiSB_iPKfiiiSD_SD_iiiii: ; @_ZN4vllm22paged_attention_kernelIfhLi256ELi8ELi128ELNS_18Fp8KVCacheDataTypeE1ELb0ELi512EEEvPfS2_PT_PKS3_PKT0_S9_ifPKiSB_iPKfiiiSD_SD_iiiii
; %bb.0:
	s_waitcnt vmcnt(0) expcnt(0) lgkmcnt(0)
	s_clause 0x1f
	scratch_store_b32 off, v40, s32 offset:260
	; meta instruction
	scratch_store_b32 off, v41, s32 offset:256
	; meta instruction
	scratch_store_b32 off, v42, s32 offset:252
	; meta instruction
	scratch_store_b32 off, v43, s32 offset:248
	; meta instruction
	scratch_store_b32 off, v44, s32 offset:244
	; meta instruction
	scratch_store_b32 off, v45, s32 offset:240
	; meta instruction
	scratch_store_b32 off, v46, s32 offset:236
	; meta instruction
	scratch_store_b32 off, v47, s32 offset:232
	; meta instruction
	scratch_store_b32 off, v56, s32 offset:228
	; meta instruction
	scratch_store_b32 off, v57, s32 offset:224
	; meta instruction
	scratch_store_b32 off, v58, s32 offset:220
	; meta instruction
	scratch_store_b32 off, v59, s32 offset:216
	; meta instruction
	scratch_store_b32 off, v60, s32 offset:212
	; meta instruction
	scratch_store_b32 off, v61, s32 offset:208
	; meta instruction
	scratch_store_b32 off, v62, s32 offset:204
	; meta instruction
	scratch_store_b32 off, v63, s32 offset:200
	; meta instruction
	scratch_store_b32 off, v72, s32 offset:196
	; meta instruction
	scratch_store_b32 off, v73, s32 offset:192
	; meta instruction
	scratch_store_b32 off, v74, s32 offset:188
	; meta instruction
	scratch_store_b32 off, v75, s32 offset:184
	; meta instruction
	scratch_store_b32 off, v76, s32 offset:180
	; meta instruction
	scratch_store_b32 off, v77, s32 offset:176
	; meta instruction
	scratch_store_b32 off, v78, s32 offset:172
	; meta instruction
	scratch_store_b32 off, v79, s32 offset:168
	; meta instruction
	scratch_store_b32 off, v88, s32 offset:164
	; meta instruction
	scratch_store_b32 off, v89, s32 offset:160
	; meta instruction
	scratch_store_b32 off, v90, s32 offset:156
	; meta instruction
	scratch_store_b32 off, v91, s32 offset:152
	; meta instruction
	scratch_store_b32 off, v92, s32 offset:148
	; meta instruction
	scratch_store_b32 off, v93, s32 offset:144
	; meta instruction
	scratch_store_b32 off, v94, s32 offset:140
	; meta instruction
	scratch_store_b32 off, v95, s32 offset:136
	s_clause 0x1f
	scratch_store_b32 off, v104, s32 offset:132
	; meta instruction
	scratch_store_b32 off, v105, s32 offset:128
	; meta instruction
	;; [unrolled: 2-line block ×31, first 2 shown]
	scratch_store_b32 off, v159, s32 offset:8
	s_clause 0x1
	scratch_store_b32 off, v168, s32 offset:4
	; meta instruction
	scratch_store_b32 off, v169, s32
	s_mov_b32 s10, s13
	s_ashr_i32 s11, s13, 31
	s_mov_b32 s16, exec_lo
	s_lshl_b64 s[0:1], s[10:11], 2
	s_lshl_b32 s11, s14, 9
	v_add_co_u32 v16, vcc_lo, v16, s0
	v_add_co_ci_u32_e32 v17, vcc_lo, s1, v17, vcc_lo
	flat_load_b32 v161, v[16:17]
	s_waitcnt vmcnt(0) lgkmcnt(0)
	v_cmpx_lt_i32_e64 s11, v161
	s_cbranch_execz .LBB225_1137
; %bb.1:
	v_sub_nc_u32_e32 v16, 0, v12
	s_clause 0x1
	s_load_b32 s0, s[8:9], 0x10
	s_load_b32 s1, s[8:9], 0x0
	s_mov_b32 s6, s15
	v_mov_b32_e32 v165, 0
	v_max_i32_e32 v16, v12, v16
	s_delay_alu instid0(VALU_DEP_1) | instskip(SKIP_1) | instid1(VALU_DEP_2)
	v_cvt_f32_u32_e32 v17, v16
	v_sub_nc_u32_e32 v28, 0, v16
	v_rcp_iflag_f32_e32 v17, v17
	s_waitcnt lgkmcnt(0)
	s_lshr_b32 s0, s0, 16
	s_delay_alu instid0(SALU_CYCLE_1) | instskip(SKIP_3) | instid1(SALU_CYCLE_1)
	s_cmp_lg_u32 s0, 0
	s_waitcnt_depctr 0xfff
	v_mul_f32_e32 v17, 0x4f7ffffe, v17
	s_cselect_b32 s0, -1, 0
	s_cmp_lg_u32 s0, 0
	s_delay_alu instid0(VALU_DEP_1)
	v_cvt_u32_f32_e32 v17, v17
	s_addc_u32 s15, s1, 0
	s_mov_b32 s1, exec_lo
	s_abs_i32 s0, s15
	v_xor_b32_e32 v12, s15, v12
	v_mul_lo_u32 v28, v28, v17
	s_delay_alu instid0(VALU_DEP_2) | instskip(NEXT) | instid1(VALU_DEP_2)
	v_ashrrev_i32_e32 v12, 31, v12
	v_mul_hi_u32 v28, v17, v28
	s_delay_alu instid0(VALU_DEP_1) | instskip(NEXT) | instid1(VALU_DEP_1)
	v_add_nc_u32_e32 v17, v17, v28
	v_mul_hi_u32 v17, s0, v17
	s_delay_alu instid0(VALU_DEP_1) | instskip(SKIP_1) | instid1(VALU_DEP_2)
	v_mul_lo_u32 v28, v17, v16
	v_add_nc_u32_e32 v29, 1, v17
	v_sub_nc_u32_e32 v28, s0, v28
	s_abs_i32 s0, s12
	s_delay_alu instid0(VALU_DEP_1) | instskip(SKIP_1) | instid1(VALU_DEP_2)
	v_sub_nc_u32_e32 v30, v28, v16
	v_cmp_ge_u32_e32 vcc_lo, v28, v16
	v_dual_cndmask_b32 v17, v17, v29 :: v_dual_cndmask_b32 v28, v28, v30
	s_delay_alu instid0(VALU_DEP_1) | instskip(NEXT) | instid1(VALU_DEP_2)
	v_add_nc_u32_e32 v29, 1, v17
	v_cmp_ge_u32_e32 vcc_lo, v28, v16
	s_delay_alu instid0(VALU_DEP_2) | instskip(NEXT) | instid1(VALU_DEP_1)
	v_cndmask_b32_e32 v16, v17, v29, vcc_lo
	v_xor_b32_e32 v16, v16, v12
	s_delay_alu instid0(VALU_DEP_1) | instskip(NEXT) | instid1(VALU_DEP_1)
	v_sub_nc_u32_e32 v12, v16, v12
	v_sub_nc_u32_e32 v16, 0, v12
	s_delay_alu instid0(VALU_DEP_1) | instskip(NEXT) | instid1(VALU_DEP_1)
	v_max_i32_e32 v28, v12, v16
	v_cvt_f32_u32_e32 v16, v28
	v_sub_nc_u32_e32 v17, 0, v28
	s_delay_alu instid0(VALU_DEP_2) | instskip(SKIP_2) | instid1(VALU_DEP_1)
	v_rcp_iflag_f32_e32 v16, v16
	s_waitcnt_depctr 0xfff
	v_mul_f32_e32 v16, 0x4f7ffffe, v16
	v_cvt_u32_f32_e32 v16, v16
	s_delay_alu instid0(VALU_DEP_1) | instskip(NEXT) | instid1(VALU_DEP_1)
	v_mul_lo_u32 v17, v17, v16
	v_mul_hi_u32 v17, v16, v17
	s_delay_alu instid0(VALU_DEP_1) | instskip(NEXT) | instid1(VALU_DEP_1)
	v_add_nc_u32_e32 v29, v16, v17
	v_mad_u64_u32 v[16:17], null, s0, v29, 0
	v_cmpx_ne_u64_e32 0, v[19:20]
	s_cbranch_execz .LBB225_3
; %bb.2:
	s_ashr_i32 s13, s12, 31
	s_delay_alu instid0(SALU_CYCLE_1) | instskip(NEXT) | instid1(SALU_CYCLE_1)
	s_lshl_b64 s[2:3], s[12:13], 2
	v_add_co_u32 v19, vcc_lo, v19, s2
	v_add_co_ci_u32_e32 v20, vcc_lo, s3, v20, vcc_lo
	flat_load_b32 v165, v[19:20]
.LBB225_3:
	s_or_b32 exec_lo, exec_lo, s1
	s_clause 0x1
	s_load_b32 s1, s[8:9], 0x14
	s_load_b32 s13, s[8:9], 0x8
	v_and_b32_e32 v160, 0x3ff, v31
	s_lshl_b32 s4, s12, 8
	s_mov_b32 s2, exec_lo
	s_ashr_i32 s5, s4, 31
	s_delay_alu instid0(VALU_DEP_1)
	v_and_b32_e32 v166, 3, v160
	v_cmpx_gt_u32_e32 0x100, v160
	s_cbranch_execz .LBB225_6
; %bb.4:
	v_mul_lo_u32 v19, s10, v21
	v_and_b32_e32 v21, 0x3fc, v160
	s_lshl_b64 s[8:9], s[4:5], 2
	v_lshrrev_b32_e32 v29, 2, v160
	s_mov_b32 s3, 0
	s_delay_alu instid0(VALU_DEP_2) | instskip(NEXT) | instid1(VALU_DEP_4)
	v_or_b32_e32 v16, v21, v166
	v_ashrrev_i32_e32 v20, 31, v19
	s_delay_alu instid0(VALU_DEP_2) | instskip(NEXT) | instid1(VALU_DEP_2)
	v_lshlrev_b32_e32 v16, 2, v16
	v_lshlrev_b64 v[19:20], 2, v[19:20]
	s_delay_alu instid0(VALU_DEP_1) | instskip(NEXT) | instid1(VALU_DEP_2)
	v_add_co_u32 v19, vcc_lo, v19, s8
	v_add_co_ci_u32_e32 v20, vcc_lo, s9, v20, vcc_lo
	s_delay_alu instid0(VALU_DEP_2) | instskip(NEXT) | instid1(VALU_DEP_2)
	v_add_co_u32 v19, vcc_lo, v19, v16
	v_add_co_ci_u32_e32 v20, vcc_lo, 0, v20, vcc_lo
	v_subrev_nc_u32_e32 v16, 32, v29
	s_delay_alu instid0(VALU_DEP_3) | instskip(NEXT) | instid1(VALU_DEP_3)
	v_add_co_u32 v6, vcc_lo, v6, v19
	v_add_co_ci_u32_e32 v7, vcc_lo, v7, v20, vcc_lo
	v_lshl_add_u32 v19, v166, 8, v21
	.p2align	6
.LBB225_5:                              ; =>This Inner Loop Header: Depth=1
	flat_load_b32 v20, v[6:7]
	v_add_co_u32 v16, s5, v16, 32
	v_add_co_u32 v6, vcc_lo, 0x200, v6
	s_xor_b32 s5, s5, -1
	v_add_co_ci_u32_e32 v7, vcc_lo, 0, v7, vcc_lo
	s_and_b32 s5, exec_lo, s5
	s_delay_alu instid0(SALU_CYCLE_1)
	s_or_b32 s3, s5, s3
	s_waitcnt vmcnt(0) lgkmcnt(0)
	ds_store_b32 v19, v20
	v_add_nc_u32_e32 v19, 0x80, v19
	s_and_not1_b32 exec_lo, exec_lo, s3
	s_cbranch_execnz .LBB225_5
.LBB225_6:
	s_or_b32 exec_lo, exec_lo, s2
	v_mul_lo_u32 v7, v17, v28
	v_ashrrev_i32_e32 v6, 31, v12
	v_add_nc_u32_e32 v19, 1, v17
	s_waitcnt lgkmcnt(0)
	s_lshr_b32 s5, s1, 16
	s_ashr_i32 s1, s12, 31
	v_lshrrev_b32_e32 v162, 5, v160
	s_lshl_b32 s17, s14, 6
	v_mbcnt_lo_u32_b32 v167, -1, 0
	v_sub_nc_u32_e32 v7, s0, v7
	s_add_i32 s0, s17, 64
	s_waitcnt vmcnt(0)
	s_waitcnt_vscnt null, 0x0
	s_barrier
	buffer_gl0_inv
	v_cmp_ge_u32_e32 vcc_lo, v7, v28
	v_add_nc_u32_e32 v12, 7, v161
	v_sub_nc_u32_e32 v20, v7, v28
                                        ; implicit-def: $vgpr176
	v_cndmask_b32_e32 v17, v17, v19, vcc_lo
	s_delay_alu instid0(VALU_DEP_3) | instskip(NEXT) | instid1(VALU_DEP_3)
	v_ashrrev_i32_e32 v16, 31, v12
	v_cndmask_b32_e32 v7, v7, v20, vcc_lo
	v_xor_b32_e32 v19, s1, v6
	v_mul_lo_u32 v6, s10, v18
	v_or_b32_e32 v20, s17, v162
	v_lshrrev_b32_e32 v16, 29, v16
                                        ; implicit-def: $sgpr1
	s_delay_alu instid0(VALU_DEP_1) | instskip(SKIP_2) | instid1(VALU_DEP_3)
	v_add_nc_u32_e32 v12, v12, v16
	v_add_nc_u32_e32 v16, 1, v17
	v_cmp_ge_u32_e32 vcc_lo, v7, v28
	v_ashrrev_i32_e32 v12, 3, v12
	s_delay_alu instid0(VALU_DEP_3) | instskip(NEXT) | instid1(VALU_DEP_2)
	v_cndmask_b32_e32 v7, v17, v16, vcc_lo
	v_min_i32_e32 v163, s0, v12
	s_delay_alu instid0(VALU_DEP_2) | instskip(SKIP_1) | instid1(VALU_DEP_3)
	v_xor_b32_e32 v16, v7, v19
	v_ashrrev_i32_e32 v7, 31, v6
	v_cmp_ge_i32_e64 s0, v20, v163
	s_delay_alu instid0(VALU_DEP_3) | instskip(NEXT) | instid1(VALU_DEP_2)
	v_sub_nc_u32_e32 v16, v16, v19
	s_and_saveexec_b32 s2, s0
	s_delay_alu instid0(SALU_CYCLE_1)
	s_xor_b32 s2, exec_lo, s2
; %bb.7:
	v_mbcnt_lo_u32_b32 v167, -1, 0
	v_mov_b32_e32 v176, 32
	s_mov_b32 s1, 0xff7fffff
                                        ; implicit-def: $vgpr165
                                        ; implicit-def: $vgpr13
                                        ; implicit-def: $vgpr24_vgpr25
                                        ; implicit-def: $vgpr8
                                        ; implicit-def: $vgpr9
                                        ; implicit-def: $vgpr166
; %bb.8:
	s_or_saveexec_b32 s18, s2
	v_mul_lo_u32 v23, v16, v23
	v_lshlrev_b64 v[132:133], 2, v[6:7]
	v_mov_b32_e32 v179, s1
	v_ashrrev_i32_e32 v21, 31, v20
	s_delay_alu instid0(VALU_DEP_4)
	v_ashrrev_i32_e32 v164, 31, v23
	s_xor_b32 exec_lo, exec_lo, s18
	s_cbranch_execz .LBB225_526
; %bb.9:
	v_bfe_u32 v134, v160, 2, 3
	v_add_co_u32 v7, vcc_lo, v8, v23
	v_add_co_ci_u32_e32 v8, vcc_lo, v9, v164, vcc_lo
	s_delay_alu instid0(VALU_DEP_3) | instskip(SKIP_3) | instid1(VALU_DEP_4)
	v_dual_mov_b32 v135, 0 :: v_dual_lshlrev_b32 v6, 4, v134
	v_xor_b32_e32 v84, 2, v167
	v_xor_b32_e32 v85, 1, v167
	v_lshlrev_b64 v[146:147], 2, v[20:21]
	v_add_co_u32 v144, vcc_lo, v7, v6
	v_add_co_ci_u32_e32 v145, vcc_lo, 0, v8, vcc_lo
	v_cmp_gt_i32_e32 vcc_lo, 32, v84
	s_delay_alu instid0(VALU_DEP_4) | instskip(NEXT) | instid1(VALU_DEP_1)
	v_add_co_u32 v146, s2, v132, v146
	v_add_co_ci_u32_e64 v147, s2, v133, v147, s2
	v_dual_cndmask_b32 v100, v167, v84 :: v_dual_lshlrev_b32 v149, 2, v134
	v_cmp_gt_i32_e32 vcc_lo, 32, v85
	v_lshlrev_b32_e32 v128, 8, v166
	s_delay_alu instid0(VALU_DEP_3)
	v_dual_mov_b32 v176, 32 :: v_dual_lshlrev_b32 v177, 2, v100
	v_dual_mov_b32 v183, v20 :: v_dual_lshlrev_b32 v148, 3, v162
	v_cndmask_b32_e32 v101, v167, v85, vcc_lo
	ds_load_b128 v[6:9], v128
	ds_load_b128 v[16:19], v128 offset:16
	ds_load_b128 v[28:31], v128 offset:32
	;; [unrolled: 1-line block ×11, first 2 shown]
	v_dual_mov_b32 v179, 0xff7fffff :: v_dual_lshlrev_b32 v178, 2, v101
	ds_load_b128 v[100:103], v128 offset:192
	ds_load_b128 v[112:115], v128 offset:208
	;; [unrolled: 1-line block ×4, first 2 shown]
	s_ashr_i32 s7, s6, 31
	v_add_co_u32 v146, s2, v14, v146
	v_cmp_eq_u32_e32 vcc_lo, 0, v166
	v_cmp_neq_f32_e64 s1, 0, v165
	s_lshl_b64 s[8:9], s[6:7], 2
	v_add_co_ci_u32_e64 v147, s2, v15, v147, s2
	v_sub_nc_u32_e32 v180, 1, v161
	v_add3_u32 v181, s11, v148, v134
	v_lshl_or_b32 v182, v162, 5, v149
	s_getpc_b64 s[20:21]
	s_add_u32 s20, s20, llvm.amdgcn.dynlds.offset.table@rel32@lo+4
	s_addc_u32 s21, s21, llvm.amdgcn.dynlds.offset.table@rel32@hi+12
	s_add_u32 s8, s8, s20
	s_mov_b32 s7, 0
	s_addc_u32 s9, s9, s21
	s_branch .LBB225_11
.LBB225_10:                             ;   in Loop: Header=BB225_11 Depth=1
	s_or_b32 exec_lo, exec_lo, s3
	v_add_nc_u32_e32 v183, 4, v183
	v_add_co_u32 v146, s3, v146, 16
	s_delay_alu instid0(VALU_DEP_1) | instskip(NEXT) | instid1(VALU_DEP_3)
	v_add_co_ci_u32_e64 v147, s3, 0, v147, s3
	v_cmp_ge_i32_e64 s2, v183, v163
	v_add_nc_u32_e32 v181, 32, v181
	v_add_nc_u32_e32 v182, 0x80, v182
	s_delay_alu instid0(VALU_DEP_3) | instskip(NEXT) | instid1(SALU_CYCLE_1)
	s_or_b32 s7, s2, s7
	s_and_not1_b32 exec_lo, exec_lo, s7
	s_cbranch_execz .LBB225_525
.LBB225_11:                             ; =>This Inner Loop Header: Depth=1
	flat_load_b32 v134, v[146:147]
	v_mov_b32_e32 v41, 0
	s_mov_b32 s3, exec_lo
	s_waitcnt vmcnt(0) lgkmcnt(0)
	v_mad_i64_i32 v[148:149], null, v134, v22, v[144:145]
	s_delay_alu instid0(VALU_DEP_1) | instskip(NEXT) | instid1(VALU_DEP_1)
	v_add_co_u32 v148, s2, v148, v166
	v_add_co_ci_u32_e64 v149, s2, 0, v149, s2
	flat_load_u8 v150, v[148:149]
	flat_load_b32 v40, v[24:25]
	s_waitcnt vmcnt(1) lgkmcnt(1)
	v_cmpx_ne_u16_e64 0, v150
	s_cbranch_execz .LBB225_19
; %bb.12:                               ;   in Loop: Header=BB225_11 Depth=1
	v_bfrev_b32_e32 v41, 1
	s_mov_b32 s19, exec_lo
	v_cmpx_ne_u16_e64 0x80, v150
	s_cbranch_execz .LBB225_18
; %bb.13:                               ;   in Loop: Header=BB225_11 Depth=1
	v_and_b32_e32 v134, 0xffff, v150
	v_mov_b32_e32 v41, 0x7f800001
	s_mov_b32 s20, exec_lo
	s_delay_alu instid0(VALU_DEP_2) | instskip(NEXT) | instid1(VALU_DEP_1)
	v_and_b32_e32 v42, 0x7f, v134
	v_cmpx_ne_u32_e32 0x7f, v42
	s_cbranch_execz .LBB225_17
; %bb.14:                               ;   in Loop: Header=BB225_11 Depth=1
	v_and_b32_e32 v134, 7, v134
	v_lshrrev_b32_e32 v151, 3, v42
	s_mov_b32 s21, exec_lo
	v_cmpx_gt_u32_e32 8, v42
; %bb.15:                               ;   in Loop: Header=BB225_11 Depth=1
	s_delay_alu instid0(VALU_DEP_3) | instskip(NEXT) | instid1(VALU_DEP_1)
	v_clz_i32_u32_e32 v151, v134
	v_min_u32_e32 v151, 32, v151
	s_delay_alu instid0(VALU_DEP_1) | instskip(SKIP_1) | instid1(VALU_DEP_2)
	v_subrev_nc_u32_e32 v41, 28, v151
	v_sub_nc_u32_e32 v151, 29, v151
	v_lshlrev_b64 v[41:42], v41, v[134:135]
	s_delay_alu instid0(VALU_DEP_1)
	v_and_b32_e32 v134, 7, v41
; %bb.16:                               ;   in Loop: Header=BB225_11 Depth=1
	s_or_b32 exec_lo, exec_lo, s21
	v_lshlrev_b32_e32 v150, 24, v150
	s_delay_alu instid0(VALU_DEP_2) | instskip(SKIP_1) | instid1(VALU_DEP_3)
	v_lshlrev_b32_e32 v134, 20, v134
	v_lshl_add_u32 v151, v151, 23, 0x3c000000
	v_and_b32_e32 v150, 0x80000000, v150
	s_delay_alu instid0(VALU_DEP_1)
	v_or3_b32 v41, v134, v150, v151
.LBB225_17:                             ;   in Loop: Header=BB225_11 Depth=1
	s_or_b32 exec_lo, exec_lo, s20
.LBB225_18:                             ;   in Loop: Header=BB225_11 Depth=1
	s_delay_alu instid0(SALU_CYCLE_1)
	s_or_b32 exec_lo, exec_lo, s19
.LBB225_19:                             ;   in Loop: Header=BB225_11 Depth=1
	s_delay_alu instid0(SALU_CYCLE_1)
	s_or_b32 exec_lo, exec_lo, s3
	flat_load_u8 v150, v[148:149] offset:4
	v_dual_mov_b32 v42, 0 :: v_dual_mov_b32 v43, 0
	s_mov_b32 s3, exec_lo
	s_waitcnt vmcnt(0) lgkmcnt(0)
	v_cmpx_ne_u16_e64 0, v150
	s_cbranch_execz .LBB225_27
; %bb.20:                               ;   in Loop: Header=BB225_11 Depth=1
	v_bfrev_b32_e32 v43, 1
	s_mov_b32 s19, exec_lo
	v_cmpx_ne_u16_e64 0x80, v150
	s_cbranch_execz .LBB225_26
; %bb.21:                               ;   in Loop: Header=BB225_11 Depth=1
	v_and_b32_e32 v134, 0xffff, v150
	v_mov_b32_e32 v43, 0x7f800001
	s_mov_b32 s20, exec_lo
	s_delay_alu instid0(VALU_DEP_2) | instskip(NEXT) | instid1(VALU_DEP_1)
	v_and_b32_e32 v44, 0x7f, v134
	v_cmpx_ne_u32_e32 0x7f, v44
	s_cbranch_execz .LBB225_25
; %bb.22:                               ;   in Loop: Header=BB225_11 Depth=1
	v_and_b32_e32 v134, 7, v134
	v_lshrrev_b32_e32 v151, 3, v44
	s_mov_b32 s21, exec_lo
	v_cmpx_gt_u32_e32 8, v44
; %bb.23:                               ;   in Loop: Header=BB225_11 Depth=1
	s_delay_alu instid0(VALU_DEP_3) | instskip(NEXT) | instid1(VALU_DEP_1)
	v_clz_i32_u32_e32 v151, v134
	v_min_u32_e32 v151, 32, v151
	s_delay_alu instid0(VALU_DEP_1) | instskip(SKIP_1) | instid1(VALU_DEP_2)
	v_subrev_nc_u32_e32 v43, 28, v151
	v_sub_nc_u32_e32 v151, 29, v151
	v_lshlrev_b64 v[43:44], v43, v[134:135]
	s_delay_alu instid0(VALU_DEP_1)
	v_and_b32_e32 v134, 7, v43
; %bb.24:                               ;   in Loop: Header=BB225_11 Depth=1
	s_or_b32 exec_lo, exec_lo, s21
	v_lshlrev_b32_e32 v150, 24, v150
	s_delay_alu instid0(VALU_DEP_2) | instskip(SKIP_1) | instid1(VALU_DEP_3)
	v_lshlrev_b32_e32 v134, 20, v134
	v_lshl_add_u32 v151, v151, 23, 0x3c000000
	v_and_b32_e32 v150, 0x80000000, v150
	s_delay_alu instid0(VALU_DEP_1)
	v_or3_b32 v43, v134, v150, v151
.LBB225_25:                             ;   in Loop: Header=BB225_11 Depth=1
	s_or_b32 exec_lo, exec_lo, s20
.LBB225_26:                             ;   in Loop: Header=BB225_11 Depth=1
	s_delay_alu instid0(SALU_CYCLE_1)
	s_or_b32 exec_lo, exec_lo, s19
.LBB225_27:                             ;   in Loop: Header=BB225_11 Depth=1
	s_delay_alu instid0(SALU_CYCLE_1)
	s_or_b32 exec_lo, exec_lo, s3
	flat_load_u8 v150, v[148:149] offset:8
	s_mov_b32 s3, exec_lo
	s_waitcnt vmcnt(0) lgkmcnt(0)
	v_cmpx_ne_u16_e64 0, v150
	s_cbranch_execz .LBB225_35
; %bb.28:                               ;   in Loop: Header=BB225_11 Depth=1
	v_bfrev_b32_e32 v42, 1
	s_mov_b32 s19, exec_lo
	v_cmpx_ne_u16_e64 0x80, v150
	s_cbranch_execz .LBB225_34
; %bb.29:                               ;   in Loop: Header=BB225_11 Depth=1
	v_and_b32_e32 v134, 0xffff, v150
	v_mov_b32_e32 v42, 0x7f800001
	s_mov_b32 s20, exec_lo
	s_delay_alu instid0(VALU_DEP_2) | instskip(NEXT) | instid1(VALU_DEP_1)
	v_and_b32_e32 v44, 0x7f, v134
	v_cmpx_ne_u32_e32 0x7f, v44
	s_cbranch_execz .LBB225_33
; %bb.30:                               ;   in Loop: Header=BB225_11 Depth=1
	v_and_b32_e32 v134, 7, v134
	v_lshrrev_b32_e32 v151, 3, v44
	s_mov_b32 s21, exec_lo
	v_cmpx_gt_u32_e32 8, v44
; %bb.31:                               ;   in Loop: Header=BB225_11 Depth=1
	s_delay_alu instid0(VALU_DEP_3) | instskip(NEXT) | instid1(VALU_DEP_1)
	v_clz_i32_u32_e32 v151, v134
	v_min_u32_e32 v151, 32, v151
	s_delay_alu instid0(VALU_DEP_1) | instskip(SKIP_1) | instid1(VALU_DEP_2)
	v_subrev_nc_u32_e32 v42, 28, v151
	v_sub_nc_u32_e32 v151, 29, v151
	v_lshlrev_b64 v[44:45], v42, v[134:135]
	s_delay_alu instid0(VALU_DEP_1)
	v_and_b32_e32 v134, 7, v44
; %bb.32:                               ;   in Loop: Header=BB225_11 Depth=1
	s_or_b32 exec_lo, exec_lo, s21
	v_lshlrev_b32_e32 v150, 24, v150
	s_delay_alu instid0(VALU_DEP_2) | instskip(SKIP_1) | instid1(VALU_DEP_3)
	v_lshlrev_b32_e32 v134, 20, v134
	v_lshl_add_u32 v151, v151, 23, 0x3c000000
	v_and_b32_e32 v150, 0x80000000, v150
	s_delay_alu instid0(VALU_DEP_1)
	v_or3_b32 v42, v134, v150, v151
.LBB225_33:                             ;   in Loop: Header=BB225_11 Depth=1
	s_or_b32 exec_lo, exec_lo, s20
.LBB225_34:                             ;   in Loop: Header=BB225_11 Depth=1
	s_delay_alu instid0(SALU_CYCLE_1)
	s_or_b32 exec_lo, exec_lo, s19
.LBB225_35:                             ;   in Loop: Header=BB225_11 Depth=1
	s_delay_alu instid0(SALU_CYCLE_1)
	s_or_b32 exec_lo, exec_lo, s3
	flat_load_u8 v150, v[148:149] offset:12
	v_dual_mov_b32 v44, 0 :: v_dual_mov_b32 v45, 0
	s_mov_b32 s3, exec_lo
	s_waitcnt vmcnt(0) lgkmcnt(0)
	v_cmpx_ne_u16_e64 0, v150
	s_cbranch_execz .LBB225_43
; %bb.36:                               ;   in Loop: Header=BB225_11 Depth=1
	v_bfrev_b32_e32 v45, 1
	s_mov_b32 s19, exec_lo
	v_cmpx_ne_u16_e64 0x80, v150
	s_cbranch_execz .LBB225_42
; %bb.37:                               ;   in Loop: Header=BB225_11 Depth=1
	v_and_b32_e32 v134, 0xffff, v150
	v_mov_b32_e32 v45, 0x7f800001
	s_mov_b32 s20, exec_lo
	s_delay_alu instid0(VALU_DEP_2) | instskip(NEXT) | instid1(VALU_DEP_1)
	v_and_b32_e32 v46, 0x7f, v134
	v_cmpx_ne_u32_e32 0x7f, v46
	s_cbranch_execz .LBB225_41
; %bb.38:                               ;   in Loop: Header=BB225_11 Depth=1
	v_and_b32_e32 v134, 7, v134
	v_lshrrev_b32_e32 v151, 3, v46
	s_mov_b32 s21, exec_lo
	v_cmpx_gt_u32_e32 8, v46
; %bb.39:                               ;   in Loop: Header=BB225_11 Depth=1
	s_delay_alu instid0(VALU_DEP_3) | instskip(NEXT) | instid1(VALU_DEP_1)
	v_clz_i32_u32_e32 v151, v134
	v_min_u32_e32 v151, 32, v151
	s_delay_alu instid0(VALU_DEP_1) | instskip(SKIP_1) | instid1(VALU_DEP_2)
	v_subrev_nc_u32_e32 v45, 28, v151
	v_sub_nc_u32_e32 v151, 29, v151
	v_lshlrev_b64 v[45:46], v45, v[134:135]
	s_delay_alu instid0(VALU_DEP_1)
	v_and_b32_e32 v134, 7, v45
; %bb.40:                               ;   in Loop: Header=BB225_11 Depth=1
	s_or_b32 exec_lo, exec_lo, s21
	v_lshlrev_b32_e32 v150, 24, v150
	s_delay_alu instid0(VALU_DEP_2) | instskip(SKIP_1) | instid1(VALU_DEP_3)
	v_lshlrev_b32_e32 v134, 20, v134
	v_lshl_add_u32 v151, v151, 23, 0x3c000000
	v_and_b32_e32 v150, 0x80000000, v150
	s_delay_alu instid0(VALU_DEP_1)
	v_or3_b32 v45, v134, v150, v151
.LBB225_41:                             ;   in Loop: Header=BB225_11 Depth=1
	s_or_b32 exec_lo, exec_lo, s20
.LBB225_42:                             ;   in Loop: Header=BB225_11 Depth=1
	s_delay_alu instid0(SALU_CYCLE_1)
	s_or_b32 exec_lo, exec_lo, s19
.LBB225_43:                             ;   in Loop: Header=BB225_11 Depth=1
	s_delay_alu instid0(SALU_CYCLE_1)
	s_or_b32 exec_lo, exec_lo, s3
	flat_load_u8 v150, v[148:149] offset:128
	s_mov_b32 s3, exec_lo
	s_waitcnt vmcnt(0) lgkmcnt(0)
	v_cmpx_ne_u16_e64 0, v150
	s_cbranch_execz .LBB225_51
; %bb.44:                               ;   in Loop: Header=BB225_11 Depth=1
	v_bfrev_b32_e32 v44, 1
	s_mov_b32 s19, exec_lo
	v_cmpx_ne_u16_e64 0x80, v150
	s_cbranch_execz .LBB225_50
; %bb.45:                               ;   in Loop: Header=BB225_11 Depth=1
	v_and_b32_e32 v134, 0xffff, v150
	v_mov_b32_e32 v44, 0x7f800001
	s_mov_b32 s20, exec_lo
	s_delay_alu instid0(VALU_DEP_2) | instskip(NEXT) | instid1(VALU_DEP_1)
	v_and_b32_e32 v46, 0x7f, v134
	v_cmpx_ne_u32_e32 0x7f, v46
	s_cbranch_execz .LBB225_49
; %bb.46:                               ;   in Loop: Header=BB225_11 Depth=1
	v_and_b32_e32 v134, 7, v134
	v_lshrrev_b32_e32 v151, 3, v46
	s_mov_b32 s21, exec_lo
	v_cmpx_gt_u32_e32 8, v46
; %bb.47:                               ;   in Loop: Header=BB225_11 Depth=1
	s_delay_alu instid0(VALU_DEP_3) | instskip(NEXT) | instid1(VALU_DEP_1)
	v_clz_i32_u32_e32 v151, v134
	v_min_u32_e32 v151, 32, v151
	s_delay_alu instid0(VALU_DEP_1) | instskip(SKIP_1) | instid1(VALU_DEP_2)
	v_subrev_nc_u32_e32 v44, 28, v151
	v_sub_nc_u32_e32 v151, 29, v151
	v_lshlrev_b64 v[46:47], v44, v[134:135]
	s_delay_alu instid0(VALU_DEP_1)
	v_and_b32_e32 v134, 7, v46
; %bb.48:                               ;   in Loop: Header=BB225_11 Depth=1
	s_or_b32 exec_lo, exec_lo, s21
	v_lshlrev_b32_e32 v150, 24, v150
	s_delay_alu instid0(VALU_DEP_2) | instskip(SKIP_1) | instid1(VALU_DEP_3)
	v_lshlrev_b32_e32 v134, 20, v134
	v_lshl_add_u32 v151, v151, 23, 0x3c000000
	v_and_b32_e32 v150, 0x80000000, v150
	s_delay_alu instid0(VALU_DEP_1)
	v_or3_b32 v44, v134, v150, v151
.LBB225_49:                             ;   in Loop: Header=BB225_11 Depth=1
	s_or_b32 exec_lo, exec_lo, s20
.LBB225_50:                             ;   in Loop: Header=BB225_11 Depth=1
	s_delay_alu instid0(SALU_CYCLE_1)
	s_or_b32 exec_lo, exec_lo, s19
.LBB225_51:                             ;   in Loop: Header=BB225_11 Depth=1
	s_delay_alu instid0(SALU_CYCLE_1)
	s_or_b32 exec_lo, exec_lo, s3
	flat_load_u8 v150, v[148:149] offset:132
	v_dual_mov_b32 v46, 0 :: v_dual_mov_b32 v47, 0
	s_mov_b32 s3, exec_lo
	s_waitcnt vmcnt(0) lgkmcnt(0)
	v_cmpx_ne_u16_e64 0, v150
	s_cbranch_execz .LBB225_59
; %bb.52:                               ;   in Loop: Header=BB225_11 Depth=1
	v_bfrev_b32_e32 v47, 1
	s_mov_b32 s19, exec_lo
	v_cmpx_ne_u16_e64 0x80, v150
	s_cbranch_execz .LBB225_58
; %bb.53:                               ;   in Loop: Header=BB225_11 Depth=1
	v_and_b32_e32 v134, 0xffff, v150
	v_mov_b32_e32 v47, 0x7f800001
	s_mov_b32 s20, exec_lo
	s_delay_alu instid0(VALU_DEP_2) | instskip(NEXT) | instid1(VALU_DEP_1)
	v_and_b32_e32 v56, 0x7f, v134
	v_cmpx_ne_u32_e32 0x7f, v56
	s_cbranch_execz .LBB225_57
; %bb.54:                               ;   in Loop: Header=BB225_11 Depth=1
	v_and_b32_e32 v134, 7, v134
	v_lshrrev_b32_e32 v151, 3, v56
	s_mov_b32 s21, exec_lo
	v_cmpx_gt_u32_e32 8, v56
; %bb.55:                               ;   in Loop: Header=BB225_11 Depth=1
	s_delay_alu instid0(VALU_DEP_3) | instskip(NEXT) | instid1(VALU_DEP_1)
	v_clz_i32_u32_e32 v151, v134
	v_min_u32_e32 v151, 32, v151
	s_delay_alu instid0(VALU_DEP_1) | instskip(SKIP_1) | instid1(VALU_DEP_2)
	v_subrev_nc_u32_e32 v47, 28, v151
	v_sub_nc_u32_e32 v151, 29, v151
	v_lshlrev_b64 v[56:57], v47, v[134:135]
	s_delay_alu instid0(VALU_DEP_1)
	v_and_b32_e32 v134, 7, v56
; %bb.56:                               ;   in Loop: Header=BB225_11 Depth=1
	s_or_b32 exec_lo, exec_lo, s21
	v_lshlrev_b32_e32 v150, 24, v150
	s_delay_alu instid0(VALU_DEP_2) | instskip(SKIP_1) | instid1(VALU_DEP_3)
	v_lshlrev_b32_e32 v134, 20, v134
	v_lshl_add_u32 v151, v151, 23, 0x3c000000
	v_and_b32_e32 v150, 0x80000000, v150
	s_delay_alu instid0(VALU_DEP_1)
	v_or3_b32 v47, v134, v150, v151
.LBB225_57:                             ;   in Loop: Header=BB225_11 Depth=1
	s_or_b32 exec_lo, exec_lo, s20
.LBB225_58:                             ;   in Loop: Header=BB225_11 Depth=1
	s_delay_alu instid0(SALU_CYCLE_1)
	s_or_b32 exec_lo, exec_lo, s19
.LBB225_59:                             ;   in Loop: Header=BB225_11 Depth=1
	s_delay_alu instid0(SALU_CYCLE_1) | instskip(SKIP_1) | instid1(VALU_DEP_1)
	s_or_b32 exec_lo, exec_lo, s3
	v_add_co_u32 v150, s2, 0x80, v148
	v_add_co_ci_u32_e64 v151, s2, 0, v149, s2
	s_mov_b32 s3, exec_lo
	flat_load_u8 v56, v[150:151] offset:8
	s_waitcnt vmcnt(0) lgkmcnt(0)
	v_cmpx_ne_u16_e32 0, v56
	s_cbranch_execz .LBB225_67
; %bb.60:                               ;   in Loop: Header=BB225_11 Depth=1
	v_bfrev_b32_e32 v46, 1
	s_mov_b32 s19, exec_lo
	v_cmpx_ne_u16_e32 0x80, v56
	s_cbranch_execz .LBB225_66
; %bb.61:                               ;   in Loop: Header=BB225_11 Depth=1
	v_and_b32_e32 v134, 0xffff, v56
	v_mov_b32_e32 v46, 0x7f800001
	s_mov_b32 s20, exec_lo
	s_delay_alu instid0(VALU_DEP_2) | instskip(NEXT) | instid1(VALU_DEP_1)
	v_and_b32_e32 v57, 0x7f, v134
	v_cmpx_ne_u32_e32 0x7f, v57
	s_cbranch_execz .LBB225_65
; %bb.62:                               ;   in Loop: Header=BB225_11 Depth=1
	v_and_b32_e32 v134, 7, v134
	v_lshrrev_b32_e32 v46, 3, v57
	s_mov_b32 s21, exec_lo
	v_cmpx_gt_u32_e32 8, v57
; %bb.63:                               ;   in Loop: Header=BB225_11 Depth=1
	s_delay_alu instid0(VALU_DEP_3) | instskip(NEXT) | instid1(VALU_DEP_1)
	v_clz_i32_u32_e32 v46, v134
	v_min_u32_e32 v46, 32, v46
	s_delay_alu instid0(VALU_DEP_1) | instskip(SKIP_1) | instid1(VALU_DEP_2)
	v_subrev_nc_u32_e32 v57, 28, v46
	v_sub_nc_u32_e32 v46, 29, v46
	v_lshlrev_b64 v[57:58], v57, v[134:135]
	s_delay_alu instid0(VALU_DEP_1)
	v_and_b32_e32 v134, 7, v57
; %bb.64:                               ;   in Loop: Header=BB225_11 Depth=1
	s_or_b32 exec_lo, exec_lo, s21
	v_lshlrev_b32_e32 v56, 24, v56
	s_delay_alu instid0(VALU_DEP_2) | instskip(SKIP_1) | instid1(VALU_DEP_3)
	v_lshlrev_b32_e32 v134, 20, v134
	v_lshl_add_u32 v46, v46, 23, 0x3c000000
	v_and_b32_e32 v56, 0x80000000, v56
	s_delay_alu instid0(VALU_DEP_1)
	v_or3_b32 v46, v134, v56, v46
.LBB225_65:                             ;   in Loop: Header=BB225_11 Depth=1
	s_or_b32 exec_lo, exec_lo, s20
.LBB225_66:                             ;   in Loop: Header=BB225_11 Depth=1
	s_delay_alu instid0(SALU_CYCLE_1)
	s_or_b32 exec_lo, exec_lo, s19
.LBB225_67:                             ;   in Loop: Header=BB225_11 Depth=1
	s_delay_alu instid0(SALU_CYCLE_1)
	s_or_b32 exec_lo, exec_lo, s3
	flat_load_u8 v150, v[150:151] offset:12
	v_dual_mov_b32 v56, 0 :: v_dual_mov_b32 v57, 0
	s_mov_b32 s3, exec_lo
	s_waitcnt vmcnt(0) lgkmcnt(0)
	v_cmpx_ne_u16_e64 0, v150
	s_cbranch_execz .LBB225_75
; %bb.68:                               ;   in Loop: Header=BB225_11 Depth=1
	v_bfrev_b32_e32 v57, 1
	s_mov_b32 s19, exec_lo
	v_cmpx_ne_u16_e64 0x80, v150
	s_cbranch_execz .LBB225_74
; %bb.69:                               ;   in Loop: Header=BB225_11 Depth=1
	v_and_b32_e32 v134, 0xffff, v150
	v_mov_b32_e32 v57, 0x7f800001
	s_mov_b32 s20, exec_lo
	s_delay_alu instid0(VALU_DEP_2) | instskip(NEXT) | instid1(VALU_DEP_1)
	v_and_b32_e32 v58, 0x7f, v134
	v_cmpx_ne_u32_e32 0x7f, v58
	s_cbranch_execz .LBB225_73
; %bb.70:                               ;   in Loop: Header=BB225_11 Depth=1
	v_and_b32_e32 v134, 7, v134
	v_lshrrev_b32_e32 v151, 3, v58
	s_mov_b32 s21, exec_lo
	v_cmpx_gt_u32_e32 8, v58
; %bb.71:                               ;   in Loop: Header=BB225_11 Depth=1
	s_delay_alu instid0(VALU_DEP_3) | instskip(NEXT) | instid1(VALU_DEP_1)
	v_clz_i32_u32_e32 v151, v134
	v_min_u32_e32 v151, 32, v151
	s_delay_alu instid0(VALU_DEP_1) | instskip(SKIP_1) | instid1(VALU_DEP_2)
	v_subrev_nc_u32_e32 v57, 28, v151
	v_sub_nc_u32_e32 v151, 29, v151
	v_lshlrev_b64 v[57:58], v57, v[134:135]
	s_delay_alu instid0(VALU_DEP_1)
	v_and_b32_e32 v134, 7, v57
; %bb.72:                               ;   in Loop: Header=BB225_11 Depth=1
	s_or_b32 exec_lo, exec_lo, s21
	v_lshlrev_b32_e32 v150, 24, v150
	s_delay_alu instid0(VALU_DEP_2) | instskip(SKIP_1) | instid1(VALU_DEP_3)
	v_lshlrev_b32_e32 v134, 20, v134
	v_lshl_add_u32 v151, v151, 23, 0x3c000000
	v_and_b32_e32 v150, 0x80000000, v150
	s_delay_alu instid0(VALU_DEP_1)
	v_or3_b32 v57, v134, v150, v151
.LBB225_73:                             ;   in Loop: Header=BB225_11 Depth=1
	s_or_b32 exec_lo, exec_lo, s20
.LBB225_74:                             ;   in Loop: Header=BB225_11 Depth=1
	s_delay_alu instid0(SALU_CYCLE_1)
	s_or_b32 exec_lo, exec_lo, s19
.LBB225_75:                             ;   in Loop: Header=BB225_11 Depth=1
	s_delay_alu instid0(SALU_CYCLE_1)
	s_or_b32 exec_lo, exec_lo, s3
	flat_load_u8 v150, v[148:149] offset:256
	s_mov_b32 s3, exec_lo
	s_waitcnt vmcnt(0) lgkmcnt(0)
	v_cmpx_ne_u16_e64 0, v150
	s_cbranch_execz .LBB225_83
; %bb.76:                               ;   in Loop: Header=BB225_11 Depth=1
	v_bfrev_b32_e32 v56, 1
	s_mov_b32 s19, exec_lo
	v_cmpx_ne_u16_e64 0x80, v150
	s_cbranch_execz .LBB225_82
; %bb.77:                               ;   in Loop: Header=BB225_11 Depth=1
	v_and_b32_e32 v134, 0xffff, v150
	v_mov_b32_e32 v56, 0x7f800001
	s_mov_b32 s20, exec_lo
	s_delay_alu instid0(VALU_DEP_2) | instskip(NEXT) | instid1(VALU_DEP_1)
	v_and_b32_e32 v58, 0x7f, v134
	v_cmpx_ne_u32_e32 0x7f, v58
	s_cbranch_execz .LBB225_81
; %bb.78:                               ;   in Loop: Header=BB225_11 Depth=1
	v_and_b32_e32 v134, 7, v134
	v_lshrrev_b32_e32 v151, 3, v58
	s_mov_b32 s21, exec_lo
	v_cmpx_gt_u32_e32 8, v58
; %bb.79:                               ;   in Loop: Header=BB225_11 Depth=1
	s_delay_alu instid0(VALU_DEP_3) | instskip(NEXT) | instid1(VALU_DEP_1)
	v_clz_i32_u32_e32 v151, v134
	v_min_u32_e32 v151, 32, v151
	s_delay_alu instid0(VALU_DEP_1) | instskip(SKIP_1) | instid1(VALU_DEP_2)
	v_subrev_nc_u32_e32 v56, 28, v151
	v_sub_nc_u32_e32 v151, 29, v151
	v_lshlrev_b64 v[58:59], v56, v[134:135]
	s_delay_alu instid0(VALU_DEP_1)
	v_and_b32_e32 v134, 7, v58
; %bb.80:                               ;   in Loop: Header=BB225_11 Depth=1
	s_or_b32 exec_lo, exec_lo, s21
	v_lshlrev_b32_e32 v150, 24, v150
	s_delay_alu instid0(VALU_DEP_2) | instskip(SKIP_1) | instid1(VALU_DEP_3)
	v_lshlrev_b32_e32 v134, 20, v134
	v_lshl_add_u32 v151, v151, 23, 0x3c000000
	v_and_b32_e32 v150, 0x80000000, v150
	s_delay_alu instid0(VALU_DEP_1)
	v_or3_b32 v56, v134, v150, v151
.LBB225_81:                             ;   in Loop: Header=BB225_11 Depth=1
	s_or_b32 exec_lo, exec_lo, s20
.LBB225_82:                             ;   in Loop: Header=BB225_11 Depth=1
	s_delay_alu instid0(SALU_CYCLE_1)
	s_or_b32 exec_lo, exec_lo, s19
.LBB225_83:                             ;   in Loop: Header=BB225_11 Depth=1
	s_delay_alu instid0(SALU_CYCLE_1)
	s_or_b32 exec_lo, exec_lo, s3
	flat_load_u8 v150, v[148:149] offset:260
	v_dual_mov_b32 v58, 0 :: v_dual_mov_b32 v59, 0
	s_mov_b32 s3, exec_lo
	s_waitcnt vmcnt(0) lgkmcnt(0)
	v_cmpx_ne_u16_e64 0, v150
	s_cbranch_execz .LBB225_91
; %bb.84:                               ;   in Loop: Header=BB225_11 Depth=1
	v_bfrev_b32_e32 v59, 1
	s_mov_b32 s19, exec_lo
	v_cmpx_ne_u16_e64 0x80, v150
	s_cbranch_execz .LBB225_90
; %bb.85:                               ;   in Loop: Header=BB225_11 Depth=1
	v_and_b32_e32 v134, 0xffff, v150
	v_mov_b32_e32 v59, 0x7f800001
	s_mov_b32 s20, exec_lo
	s_delay_alu instid0(VALU_DEP_2) | instskip(NEXT) | instid1(VALU_DEP_1)
	v_and_b32_e32 v60, 0x7f, v134
	v_cmpx_ne_u32_e32 0x7f, v60
	s_cbranch_execz .LBB225_89
; %bb.86:                               ;   in Loop: Header=BB225_11 Depth=1
	v_and_b32_e32 v134, 7, v134
	v_lshrrev_b32_e32 v151, 3, v60
	s_mov_b32 s21, exec_lo
	v_cmpx_gt_u32_e32 8, v60
; %bb.87:                               ;   in Loop: Header=BB225_11 Depth=1
	s_delay_alu instid0(VALU_DEP_3) | instskip(NEXT) | instid1(VALU_DEP_1)
	v_clz_i32_u32_e32 v151, v134
	v_min_u32_e32 v151, 32, v151
	s_delay_alu instid0(VALU_DEP_1) | instskip(SKIP_1) | instid1(VALU_DEP_2)
	v_subrev_nc_u32_e32 v59, 28, v151
	v_sub_nc_u32_e32 v151, 29, v151
	v_lshlrev_b64 v[59:60], v59, v[134:135]
	s_delay_alu instid0(VALU_DEP_1)
	v_and_b32_e32 v134, 7, v59
; %bb.88:                               ;   in Loop: Header=BB225_11 Depth=1
	s_or_b32 exec_lo, exec_lo, s21
	v_lshlrev_b32_e32 v150, 24, v150
	s_delay_alu instid0(VALU_DEP_2) | instskip(SKIP_1) | instid1(VALU_DEP_3)
	v_lshlrev_b32_e32 v134, 20, v134
	v_lshl_add_u32 v151, v151, 23, 0x3c000000
	v_and_b32_e32 v150, 0x80000000, v150
	s_delay_alu instid0(VALU_DEP_1)
	v_or3_b32 v59, v134, v150, v151
.LBB225_89:                             ;   in Loop: Header=BB225_11 Depth=1
	s_or_b32 exec_lo, exec_lo, s20
.LBB225_90:                             ;   in Loop: Header=BB225_11 Depth=1
	s_delay_alu instid0(SALU_CYCLE_1)
	s_or_b32 exec_lo, exec_lo, s19
.LBB225_91:                             ;   in Loop: Header=BB225_11 Depth=1
	s_delay_alu instid0(SALU_CYCLE_1) | instskip(SKIP_1) | instid1(VALU_DEP_1)
	s_or_b32 exec_lo, exec_lo, s3
	v_add_co_u32 v150, s2, 0x100, v148
	v_add_co_ci_u32_e64 v151, s2, 0, v149, s2
	s_mov_b32 s3, exec_lo
	flat_load_u8 v60, v[150:151] offset:8
	s_waitcnt vmcnt(0) lgkmcnt(0)
	v_cmpx_ne_u16_e32 0, v60
	s_cbranch_execz .LBB225_99
; %bb.92:                               ;   in Loop: Header=BB225_11 Depth=1
	v_bfrev_b32_e32 v58, 1
	s_mov_b32 s19, exec_lo
	v_cmpx_ne_u16_e32 0x80, v60
	s_cbranch_execz .LBB225_98
; %bb.93:                               ;   in Loop: Header=BB225_11 Depth=1
	v_and_b32_e32 v134, 0xffff, v60
	v_mov_b32_e32 v58, 0x7f800001
	s_mov_b32 s20, exec_lo
	s_delay_alu instid0(VALU_DEP_2) | instskip(NEXT) | instid1(VALU_DEP_1)
	v_and_b32_e32 v61, 0x7f, v134
	v_cmpx_ne_u32_e32 0x7f, v61
	s_cbranch_execz .LBB225_97
; %bb.94:                               ;   in Loop: Header=BB225_11 Depth=1
	v_and_b32_e32 v134, 7, v134
	v_lshrrev_b32_e32 v58, 3, v61
	s_mov_b32 s21, exec_lo
	v_cmpx_gt_u32_e32 8, v61
; %bb.95:                               ;   in Loop: Header=BB225_11 Depth=1
	s_delay_alu instid0(VALU_DEP_3) | instskip(NEXT) | instid1(VALU_DEP_1)
	v_clz_i32_u32_e32 v58, v134
	v_min_u32_e32 v58, 32, v58
	s_delay_alu instid0(VALU_DEP_1) | instskip(SKIP_1) | instid1(VALU_DEP_2)
	v_subrev_nc_u32_e32 v61, 28, v58
	v_sub_nc_u32_e32 v58, 29, v58
	v_lshlrev_b64 v[61:62], v61, v[134:135]
	s_delay_alu instid0(VALU_DEP_1)
	v_and_b32_e32 v134, 7, v61
; %bb.96:                               ;   in Loop: Header=BB225_11 Depth=1
	s_or_b32 exec_lo, exec_lo, s21
	v_lshlrev_b32_e32 v60, 24, v60
	s_delay_alu instid0(VALU_DEP_2) | instskip(SKIP_1) | instid1(VALU_DEP_3)
	v_lshlrev_b32_e32 v134, 20, v134
	v_lshl_add_u32 v58, v58, 23, 0x3c000000
	v_and_b32_e32 v60, 0x80000000, v60
	s_delay_alu instid0(VALU_DEP_1)
	v_or3_b32 v58, v134, v60, v58
.LBB225_97:                             ;   in Loop: Header=BB225_11 Depth=1
	s_or_b32 exec_lo, exec_lo, s20
.LBB225_98:                             ;   in Loop: Header=BB225_11 Depth=1
	s_delay_alu instid0(SALU_CYCLE_1)
	s_or_b32 exec_lo, exec_lo, s19
.LBB225_99:                             ;   in Loop: Header=BB225_11 Depth=1
	s_delay_alu instid0(SALU_CYCLE_1)
	s_or_b32 exec_lo, exec_lo, s3
	flat_load_u8 v150, v[150:151] offset:12
	v_dual_mov_b32 v60, 0 :: v_dual_mov_b32 v61, 0
	s_mov_b32 s3, exec_lo
	s_waitcnt vmcnt(0) lgkmcnt(0)
	v_cmpx_ne_u16_e64 0, v150
	s_cbranch_execz .LBB225_107
; %bb.100:                              ;   in Loop: Header=BB225_11 Depth=1
	v_bfrev_b32_e32 v61, 1
	s_mov_b32 s19, exec_lo
	v_cmpx_ne_u16_e64 0x80, v150
	s_cbranch_execz .LBB225_106
; %bb.101:                              ;   in Loop: Header=BB225_11 Depth=1
	v_and_b32_e32 v134, 0xffff, v150
	v_mov_b32_e32 v61, 0x7f800001
	s_mov_b32 s20, exec_lo
	s_delay_alu instid0(VALU_DEP_2) | instskip(NEXT) | instid1(VALU_DEP_1)
	v_and_b32_e32 v62, 0x7f, v134
	v_cmpx_ne_u32_e32 0x7f, v62
	s_cbranch_execz .LBB225_105
; %bb.102:                              ;   in Loop: Header=BB225_11 Depth=1
	v_and_b32_e32 v134, 7, v134
	v_lshrrev_b32_e32 v151, 3, v62
	s_mov_b32 s21, exec_lo
	v_cmpx_gt_u32_e32 8, v62
; %bb.103:                              ;   in Loop: Header=BB225_11 Depth=1
	s_delay_alu instid0(VALU_DEP_3) | instskip(NEXT) | instid1(VALU_DEP_1)
	v_clz_i32_u32_e32 v151, v134
	v_min_u32_e32 v151, 32, v151
	s_delay_alu instid0(VALU_DEP_1) | instskip(SKIP_1) | instid1(VALU_DEP_2)
	v_subrev_nc_u32_e32 v61, 28, v151
	v_sub_nc_u32_e32 v151, 29, v151
	v_lshlrev_b64 v[61:62], v61, v[134:135]
	s_delay_alu instid0(VALU_DEP_1)
	v_and_b32_e32 v134, 7, v61
; %bb.104:                              ;   in Loop: Header=BB225_11 Depth=1
	s_or_b32 exec_lo, exec_lo, s21
	v_lshlrev_b32_e32 v150, 24, v150
	s_delay_alu instid0(VALU_DEP_2) | instskip(SKIP_1) | instid1(VALU_DEP_3)
	v_lshlrev_b32_e32 v134, 20, v134
	v_lshl_add_u32 v151, v151, 23, 0x3c000000
	v_and_b32_e32 v150, 0x80000000, v150
	s_delay_alu instid0(VALU_DEP_1)
	v_or3_b32 v61, v134, v150, v151
.LBB225_105:                            ;   in Loop: Header=BB225_11 Depth=1
	s_or_b32 exec_lo, exec_lo, s20
.LBB225_106:                            ;   in Loop: Header=BB225_11 Depth=1
	s_delay_alu instid0(SALU_CYCLE_1)
	s_or_b32 exec_lo, exec_lo, s19
.LBB225_107:                            ;   in Loop: Header=BB225_11 Depth=1
	s_delay_alu instid0(SALU_CYCLE_1)
	s_or_b32 exec_lo, exec_lo, s3
	flat_load_u8 v150, v[148:149] offset:384
	s_mov_b32 s3, exec_lo
	s_waitcnt vmcnt(0) lgkmcnt(0)
	v_cmpx_ne_u16_e64 0, v150
	s_cbranch_execz .LBB225_115
; %bb.108:                              ;   in Loop: Header=BB225_11 Depth=1
	v_bfrev_b32_e32 v60, 1
	s_mov_b32 s19, exec_lo
	v_cmpx_ne_u16_e64 0x80, v150
	s_cbranch_execz .LBB225_114
; %bb.109:                              ;   in Loop: Header=BB225_11 Depth=1
	v_and_b32_e32 v134, 0xffff, v150
	v_mov_b32_e32 v60, 0x7f800001
	s_mov_b32 s20, exec_lo
	s_delay_alu instid0(VALU_DEP_2) | instskip(NEXT) | instid1(VALU_DEP_1)
	v_and_b32_e32 v62, 0x7f, v134
	v_cmpx_ne_u32_e32 0x7f, v62
	s_cbranch_execz .LBB225_113
; %bb.110:                              ;   in Loop: Header=BB225_11 Depth=1
	v_and_b32_e32 v134, 7, v134
	v_lshrrev_b32_e32 v151, 3, v62
	s_mov_b32 s21, exec_lo
	v_cmpx_gt_u32_e32 8, v62
; %bb.111:                              ;   in Loop: Header=BB225_11 Depth=1
	s_delay_alu instid0(VALU_DEP_3) | instskip(NEXT) | instid1(VALU_DEP_1)
	v_clz_i32_u32_e32 v151, v134
	v_min_u32_e32 v151, 32, v151
	s_delay_alu instid0(VALU_DEP_1) | instskip(SKIP_1) | instid1(VALU_DEP_2)
	v_subrev_nc_u32_e32 v60, 28, v151
	v_sub_nc_u32_e32 v151, 29, v151
	v_lshlrev_b64 v[62:63], v60, v[134:135]
	s_delay_alu instid0(VALU_DEP_1)
	v_and_b32_e32 v134, 7, v62
; %bb.112:                              ;   in Loop: Header=BB225_11 Depth=1
	s_or_b32 exec_lo, exec_lo, s21
	v_lshlrev_b32_e32 v150, 24, v150
	s_delay_alu instid0(VALU_DEP_2) | instskip(SKIP_1) | instid1(VALU_DEP_3)
	v_lshlrev_b32_e32 v134, 20, v134
	v_lshl_add_u32 v151, v151, 23, 0x3c000000
	v_and_b32_e32 v150, 0x80000000, v150
	s_delay_alu instid0(VALU_DEP_1)
	v_or3_b32 v60, v134, v150, v151
.LBB225_113:                            ;   in Loop: Header=BB225_11 Depth=1
	s_or_b32 exec_lo, exec_lo, s20
.LBB225_114:                            ;   in Loop: Header=BB225_11 Depth=1
	s_delay_alu instid0(SALU_CYCLE_1)
	s_or_b32 exec_lo, exec_lo, s19
.LBB225_115:                            ;   in Loop: Header=BB225_11 Depth=1
	s_delay_alu instid0(SALU_CYCLE_1)
	s_or_b32 exec_lo, exec_lo, s3
	flat_load_u8 v150, v[148:149] offset:388
	v_dual_mov_b32 v62, 0 :: v_dual_mov_b32 v63, 0
	s_mov_b32 s3, exec_lo
	s_waitcnt vmcnt(0) lgkmcnt(0)
	v_cmpx_ne_u16_e64 0, v150
	s_cbranch_execz .LBB225_123
; %bb.116:                              ;   in Loop: Header=BB225_11 Depth=1
	v_bfrev_b32_e32 v63, 1
	s_mov_b32 s19, exec_lo
	v_cmpx_ne_u16_e64 0x80, v150
	s_cbranch_execz .LBB225_122
; %bb.117:                              ;   in Loop: Header=BB225_11 Depth=1
	v_and_b32_e32 v134, 0xffff, v150
	v_mov_b32_e32 v63, 0x7f800001
	s_mov_b32 s20, exec_lo
	s_delay_alu instid0(VALU_DEP_2) | instskip(NEXT) | instid1(VALU_DEP_1)
	v_and_b32_e32 v72, 0x7f, v134
	v_cmpx_ne_u32_e32 0x7f, v72
	s_cbranch_execz .LBB225_121
; %bb.118:                              ;   in Loop: Header=BB225_11 Depth=1
	v_and_b32_e32 v134, 7, v134
	v_lshrrev_b32_e32 v151, 3, v72
	s_mov_b32 s21, exec_lo
	v_cmpx_gt_u32_e32 8, v72
; %bb.119:                              ;   in Loop: Header=BB225_11 Depth=1
	s_delay_alu instid0(VALU_DEP_3) | instskip(NEXT) | instid1(VALU_DEP_1)
	v_clz_i32_u32_e32 v151, v134
	v_min_u32_e32 v151, 32, v151
	s_delay_alu instid0(VALU_DEP_1) | instskip(SKIP_1) | instid1(VALU_DEP_2)
	v_subrev_nc_u32_e32 v63, 28, v151
	v_sub_nc_u32_e32 v151, 29, v151
	v_lshlrev_b64 v[72:73], v63, v[134:135]
	s_delay_alu instid0(VALU_DEP_1)
	v_and_b32_e32 v134, 7, v72
; %bb.120:                              ;   in Loop: Header=BB225_11 Depth=1
	s_or_b32 exec_lo, exec_lo, s21
	v_lshlrev_b32_e32 v150, 24, v150
	s_delay_alu instid0(VALU_DEP_2) | instskip(SKIP_1) | instid1(VALU_DEP_3)
	v_lshlrev_b32_e32 v134, 20, v134
	v_lshl_add_u32 v151, v151, 23, 0x3c000000
	v_and_b32_e32 v150, 0x80000000, v150
	s_delay_alu instid0(VALU_DEP_1)
	v_or3_b32 v63, v134, v150, v151
.LBB225_121:                            ;   in Loop: Header=BB225_11 Depth=1
	s_or_b32 exec_lo, exec_lo, s20
.LBB225_122:                            ;   in Loop: Header=BB225_11 Depth=1
	s_delay_alu instid0(SALU_CYCLE_1)
	s_or_b32 exec_lo, exec_lo, s19
.LBB225_123:                            ;   in Loop: Header=BB225_11 Depth=1
	s_delay_alu instid0(SALU_CYCLE_1) | instskip(SKIP_1) | instid1(VALU_DEP_1)
	s_or_b32 exec_lo, exec_lo, s3
	v_add_co_u32 v150, s2, 0x180, v148
	v_add_co_ci_u32_e64 v151, s2, 0, v149, s2
	s_mov_b32 s3, exec_lo
	flat_load_u8 v72, v[150:151] offset:8
	s_waitcnt vmcnt(0) lgkmcnt(0)
	v_cmpx_ne_u16_e32 0, v72
	s_cbranch_execz .LBB225_131
; %bb.124:                              ;   in Loop: Header=BB225_11 Depth=1
	v_bfrev_b32_e32 v62, 1
	s_mov_b32 s19, exec_lo
	v_cmpx_ne_u16_e32 0x80, v72
	s_cbranch_execz .LBB225_130
; %bb.125:                              ;   in Loop: Header=BB225_11 Depth=1
	v_and_b32_e32 v134, 0xffff, v72
	v_mov_b32_e32 v62, 0x7f800001
	s_mov_b32 s20, exec_lo
	s_delay_alu instid0(VALU_DEP_2) | instskip(NEXT) | instid1(VALU_DEP_1)
	v_and_b32_e32 v73, 0x7f, v134
	v_cmpx_ne_u32_e32 0x7f, v73
	s_cbranch_execz .LBB225_129
; %bb.126:                              ;   in Loop: Header=BB225_11 Depth=1
	v_and_b32_e32 v134, 7, v134
	v_lshrrev_b32_e32 v62, 3, v73
	s_mov_b32 s21, exec_lo
	v_cmpx_gt_u32_e32 8, v73
; %bb.127:                              ;   in Loop: Header=BB225_11 Depth=1
	s_delay_alu instid0(VALU_DEP_3) | instskip(NEXT) | instid1(VALU_DEP_1)
	v_clz_i32_u32_e32 v62, v134
	v_min_u32_e32 v62, 32, v62
	s_delay_alu instid0(VALU_DEP_1) | instskip(SKIP_1) | instid1(VALU_DEP_2)
	v_subrev_nc_u32_e32 v73, 28, v62
	v_sub_nc_u32_e32 v62, 29, v62
	v_lshlrev_b64 v[73:74], v73, v[134:135]
	s_delay_alu instid0(VALU_DEP_1)
	v_and_b32_e32 v134, 7, v73
; %bb.128:                              ;   in Loop: Header=BB225_11 Depth=1
	s_or_b32 exec_lo, exec_lo, s21
	v_lshlrev_b32_e32 v72, 24, v72
	s_delay_alu instid0(VALU_DEP_2) | instskip(SKIP_1) | instid1(VALU_DEP_3)
	v_lshlrev_b32_e32 v134, 20, v134
	v_lshl_add_u32 v62, v62, 23, 0x3c000000
	v_and_b32_e32 v72, 0x80000000, v72
	s_delay_alu instid0(VALU_DEP_1)
	v_or3_b32 v62, v134, v72, v62
.LBB225_129:                            ;   in Loop: Header=BB225_11 Depth=1
	s_or_b32 exec_lo, exec_lo, s20
.LBB225_130:                            ;   in Loop: Header=BB225_11 Depth=1
	s_delay_alu instid0(SALU_CYCLE_1)
	s_or_b32 exec_lo, exec_lo, s19
.LBB225_131:                            ;   in Loop: Header=BB225_11 Depth=1
	s_delay_alu instid0(SALU_CYCLE_1)
	s_or_b32 exec_lo, exec_lo, s3
	flat_load_u8 v150, v[150:151] offset:12
	v_dual_mov_b32 v72, 0 :: v_dual_mov_b32 v73, 0
	s_mov_b32 s3, exec_lo
	s_waitcnt vmcnt(0) lgkmcnt(0)
	v_cmpx_ne_u16_e64 0, v150
	s_cbranch_execz .LBB225_139
; %bb.132:                              ;   in Loop: Header=BB225_11 Depth=1
	v_bfrev_b32_e32 v73, 1
	s_mov_b32 s19, exec_lo
	v_cmpx_ne_u16_e64 0x80, v150
	s_cbranch_execz .LBB225_138
; %bb.133:                              ;   in Loop: Header=BB225_11 Depth=1
	v_and_b32_e32 v134, 0xffff, v150
	v_mov_b32_e32 v73, 0x7f800001
	s_mov_b32 s20, exec_lo
	s_delay_alu instid0(VALU_DEP_2) | instskip(NEXT) | instid1(VALU_DEP_1)
	v_and_b32_e32 v74, 0x7f, v134
	v_cmpx_ne_u32_e32 0x7f, v74
	s_cbranch_execz .LBB225_137
; %bb.134:                              ;   in Loop: Header=BB225_11 Depth=1
	v_and_b32_e32 v134, 7, v134
	v_lshrrev_b32_e32 v151, 3, v74
	s_mov_b32 s21, exec_lo
	v_cmpx_gt_u32_e32 8, v74
; %bb.135:                              ;   in Loop: Header=BB225_11 Depth=1
	s_delay_alu instid0(VALU_DEP_3) | instskip(NEXT) | instid1(VALU_DEP_1)
	v_clz_i32_u32_e32 v151, v134
	v_min_u32_e32 v151, 32, v151
	s_delay_alu instid0(VALU_DEP_1) | instskip(SKIP_1) | instid1(VALU_DEP_2)
	v_subrev_nc_u32_e32 v73, 28, v151
	v_sub_nc_u32_e32 v151, 29, v151
	v_lshlrev_b64 v[73:74], v73, v[134:135]
	s_delay_alu instid0(VALU_DEP_1)
	v_and_b32_e32 v134, 7, v73
; %bb.136:                              ;   in Loop: Header=BB225_11 Depth=1
	s_or_b32 exec_lo, exec_lo, s21
	v_lshlrev_b32_e32 v150, 24, v150
	s_delay_alu instid0(VALU_DEP_2) | instskip(SKIP_1) | instid1(VALU_DEP_3)
	v_lshlrev_b32_e32 v134, 20, v134
	v_lshl_add_u32 v151, v151, 23, 0x3c000000
	v_and_b32_e32 v150, 0x80000000, v150
	s_delay_alu instid0(VALU_DEP_1)
	v_or3_b32 v73, v134, v150, v151
.LBB225_137:                            ;   in Loop: Header=BB225_11 Depth=1
	s_or_b32 exec_lo, exec_lo, s20
.LBB225_138:                            ;   in Loop: Header=BB225_11 Depth=1
	s_delay_alu instid0(SALU_CYCLE_1)
	s_or_b32 exec_lo, exec_lo, s19
.LBB225_139:                            ;   in Loop: Header=BB225_11 Depth=1
	s_delay_alu instid0(SALU_CYCLE_1)
	s_or_b32 exec_lo, exec_lo, s3
	flat_load_u8 v150, v[148:149] offset:512
	s_mov_b32 s3, exec_lo
	s_waitcnt vmcnt(0) lgkmcnt(0)
	v_cmpx_ne_u16_e64 0, v150
	s_cbranch_execz .LBB225_147
; %bb.140:                              ;   in Loop: Header=BB225_11 Depth=1
	v_bfrev_b32_e32 v72, 1
	s_mov_b32 s19, exec_lo
	v_cmpx_ne_u16_e64 0x80, v150
	s_cbranch_execz .LBB225_146
; %bb.141:                              ;   in Loop: Header=BB225_11 Depth=1
	v_and_b32_e32 v134, 0xffff, v150
	v_mov_b32_e32 v72, 0x7f800001
	s_mov_b32 s20, exec_lo
	s_delay_alu instid0(VALU_DEP_2) | instskip(NEXT) | instid1(VALU_DEP_1)
	v_and_b32_e32 v74, 0x7f, v134
	v_cmpx_ne_u32_e32 0x7f, v74
	s_cbranch_execz .LBB225_145
; %bb.142:                              ;   in Loop: Header=BB225_11 Depth=1
	v_and_b32_e32 v134, 7, v134
	v_lshrrev_b32_e32 v151, 3, v74
	s_mov_b32 s21, exec_lo
	v_cmpx_gt_u32_e32 8, v74
; %bb.143:                              ;   in Loop: Header=BB225_11 Depth=1
	s_delay_alu instid0(VALU_DEP_3) | instskip(NEXT) | instid1(VALU_DEP_1)
	v_clz_i32_u32_e32 v151, v134
	v_min_u32_e32 v151, 32, v151
	s_delay_alu instid0(VALU_DEP_1) | instskip(SKIP_1) | instid1(VALU_DEP_2)
	v_subrev_nc_u32_e32 v72, 28, v151
	v_sub_nc_u32_e32 v151, 29, v151
	v_lshlrev_b64 v[74:75], v72, v[134:135]
	s_delay_alu instid0(VALU_DEP_1)
	v_and_b32_e32 v134, 7, v74
; %bb.144:                              ;   in Loop: Header=BB225_11 Depth=1
	s_or_b32 exec_lo, exec_lo, s21
	v_lshlrev_b32_e32 v150, 24, v150
	s_delay_alu instid0(VALU_DEP_2) | instskip(SKIP_1) | instid1(VALU_DEP_3)
	v_lshlrev_b32_e32 v134, 20, v134
	v_lshl_add_u32 v151, v151, 23, 0x3c000000
	v_and_b32_e32 v150, 0x80000000, v150
	s_delay_alu instid0(VALU_DEP_1)
	v_or3_b32 v72, v134, v150, v151
.LBB225_145:                            ;   in Loop: Header=BB225_11 Depth=1
	s_or_b32 exec_lo, exec_lo, s20
.LBB225_146:                            ;   in Loop: Header=BB225_11 Depth=1
	s_delay_alu instid0(SALU_CYCLE_1)
	s_or_b32 exec_lo, exec_lo, s19
.LBB225_147:                            ;   in Loop: Header=BB225_11 Depth=1
	s_delay_alu instid0(SALU_CYCLE_1)
	s_or_b32 exec_lo, exec_lo, s3
	flat_load_u8 v150, v[148:149] offset:516
	v_dual_mov_b32 v74, 0 :: v_dual_mov_b32 v75, 0
	s_mov_b32 s3, exec_lo
	s_waitcnt vmcnt(0) lgkmcnt(0)
	v_cmpx_ne_u16_e64 0, v150
	s_cbranch_execz .LBB225_155
; %bb.148:                              ;   in Loop: Header=BB225_11 Depth=1
	v_bfrev_b32_e32 v75, 1
	s_mov_b32 s19, exec_lo
	v_cmpx_ne_u16_e64 0x80, v150
	s_cbranch_execz .LBB225_154
; %bb.149:                              ;   in Loop: Header=BB225_11 Depth=1
	v_and_b32_e32 v134, 0xffff, v150
	v_mov_b32_e32 v75, 0x7f800001
	s_mov_b32 s20, exec_lo
	s_delay_alu instid0(VALU_DEP_2) | instskip(NEXT) | instid1(VALU_DEP_1)
	v_and_b32_e32 v76, 0x7f, v134
	v_cmpx_ne_u32_e32 0x7f, v76
	s_cbranch_execz .LBB225_153
; %bb.150:                              ;   in Loop: Header=BB225_11 Depth=1
	v_and_b32_e32 v134, 7, v134
	v_lshrrev_b32_e32 v151, 3, v76
	s_mov_b32 s21, exec_lo
	v_cmpx_gt_u32_e32 8, v76
; %bb.151:                              ;   in Loop: Header=BB225_11 Depth=1
	s_delay_alu instid0(VALU_DEP_3) | instskip(NEXT) | instid1(VALU_DEP_1)
	v_clz_i32_u32_e32 v151, v134
	v_min_u32_e32 v151, 32, v151
	s_delay_alu instid0(VALU_DEP_1) | instskip(SKIP_1) | instid1(VALU_DEP_2)
	v_subrev_nc_u32_e32 v75, 28, v151
	v_sub_nc_u32_e32 v151, 29, v151
	v_lshlrev_b64 v[75:76], v75, v[134:135]
	s_delay_alu instid0(VALU_DEP_1)
	v_and_b32_e32 v134, 7, v75
; %bb.152:                              ;   in Loop: Header=BB225_11 Depth=1
	s_or_b32 exec_lo, exec_lo, s21
	v_lshlrev_b32_e32 v150, 24, v150
	s_delay_alu instid0(VALU_DEP_2) | instskip(SKIP_1) | instid1(VALU_DEP_3)
	v_lshlrev_b32_e32 v134, 20, v134
	v_lshl_add_u32 v151, v151, 23, 0x3c000000
	v_and_b32_e32 v150, 0x80000000, v150
	s_delay_alu instid0(VALU_DEP_1)
	v_or3_b32 v75, v134, v150, v151
.LBB225_153:                            ;   in Loop: Header=BB225_11 Depth=1
	s_or_b32 exec_lo, exec_lo, s20
.LBB225_154:                            ;   in Loop: Header=BB225_11 Depth=1
	s_delay_alu instid0(SALU_CYCLE_1)
	s_or_b32 exec_lo, exec_lo, s19
.LBB225_155:                            ;   in Loop: Header=BB225_11 Depth=1
	s_delay_alu instid0(SALU_CYCLE_1) | instskip(SKIP_1) | instid1(VALU_DEP_1)
	s_or_b32 exec_lo, exec_lo, s3
	v_add_co_u32 v150, s2, 0x200, v148
	v_add_co_ci_u32_e64 v151, s2, 0, v149, s2
	s_mov_b32 s3, exec_lo
	flat_load_u8 v76, v[150:151] offset:8
	s_waitcnt vmcnt(0) lgkmcnt(0)
	v_cmpx_ne_u16_e32 0, v76
	s_cbranch_execz .LBB225_163
; %bb.156:                              ;   in Loop: Header=BB225_11 Depth=1
	v_bfrev_b32_e32 v74, 1
	s_mov_b32 s19, exec_lo
	v_cmpx_ne_u16_e32 0x80, v76
	s_cbranch_execz .LBB225_162
; %bb.157:                              ;   in Loop: Header=BB225_11 Depth=1
	v_and_b32_e32 v134, 0xffff, v76
	v_mov_b32_e32 v74, 0x7f800001
	s_mov_b32 s20, exec_lo
	s_delay_alu instid0(VALU_DEP_2) | instskip(NEXT) | instid1(VALU_DEP_1)
	v_and_b32_e32 v77, 0x7f, v134
	v_cmpx_ne_u32_e32 0x7f, v77
	s_cbranch_execz .LBB225_161
; %bb.158:                              ;   in Loop: Header=BB225_11 Depth=1
	v_and_b32_e32 v134, 7, v134
	v_lshrrev_b32_e32 v74, 3, v77
	s_mov_b32 s21, exec_lo
	v_cmpx_gt_u32_e32 8, v77
; %bb.159:                              ;   in Loop: Header=BB225_11 Depth=1
	s_delay_alu instid0(VALU_DEP_3) | instskip(NEXT) | instid1(VALU_DEP_1)
	v_clz_i32_u32_e32 v74, v134
	v_min_u32_e32 v74, 32, v74
	s_delay_alu instid0(VALU_DEP_1) | instskip(SKIP_1) | instid1(VALU_DEP_2)
	v_subrev_nc_u32_e32 v77, 28, v74
	v_sub_nc_u32_e32 v74, 29, v74
	v_lshlrev_b64 v[77:78], v77, v[134:135]
	s_delay_alu instid0(VALU_DEP_1)
	v_and_b32_e32 v134, 7, v77
; %bb.160:                              ;   in Loop: Header=BB225_11 Depth=1
	s_or_b32 exec_lo, exec_lo, s21
	v_lshlrev_b32_e32 v76, 24, v76
	s_delay_alu instid0(VALU_DEP_2) | instskip(SKIP_1) | instid1(VALU_DEP_3)
	v_lshlrev_b32_e32 v134, 20, v134
	v_lshl_add_u32 v74, v74, 23, 0x3c000000
	v_and_b32_e32 v76, 0x80000000, v76
	s_delay_alu instid0(VALU_DEP_1)
	v_or3_b32 v74, v134, v76, v74
.LBB225_161:                            ;   in Loop: Header=BB225_11 Depth=1
	s_or_b32 exec_lo, exec_lo, s20
.LBB225_162:                            ;   in Loop: Header=BB225_11 Depth=1
	s_delay_alu instid0(SALU_CYCLE_1)
	s_or_b32 exec_lo, exec_lo, s19
.LBB225_163:                            ;   in Loop: Header=BB225_11 Depth=1
	s_delay_alu instid0(SALU_CYCLE_1)
	s_or_b32 exec_lo, exec_lo, s3
	flat_load_u8 v150, v[150:151] offset:12
	v_dual_mov_b32 v76, 0 :: v_dual_mov_b32 v77, 0
	s_mov_b32 s3, exec_lo
	s_waitcnt vmcnt(0) lgkmcnt(0)
	v_cmpx_ne_u16_e64 0, v150
	s_cbranch_execz .LBB225_171
; %bb.164:                              ;   in Loop: Header=BB225_11 Depth=1
	v_bfrev_b32_e32 v77, 1
	s_mov_b32 s19, exec_lo
	v_cmpx_ne_u16_e64 0x80, v150
	s_cbranch_execz .LBB225_170
; %bb.165:                              ;   in Loop: Header=BB225_11 Depth=1
	v_and_b32_e32 v134, 0xffff, v150
	v_mov_b32_e32 v77, 0x7f800001
	s_mov_b32 s20, exec_lo
	s_delay_alu instid0(VALU_DEP_2) | instskip(NEXT) | instid1(VALU_DEP_1)
	v_and_b32_e32 v78, 0x7f, v134
	v_cmpx_ne_u32_e32 0x7f, v78
	s_cbranch_execz .LBB225_169
; %bb.166:                              ;   in Loop: Header=BB225_11 Depth=1
	v_and_b32_e32 v134, 7, v134
	v_lshrrev_b32_e32 v151, 3, v78
	s_mov_b32 s21, exec_lo
	v_cmpx_gt_u32_e32 8, v78
; %bb.167:                              ;   in Loop: Header=BB225_11 Depth=1
	s_delay_alu instid0(VALU_DEP_3) | instskip(NEXT) | instid1(VALU_DEP_1)
	v_clz_i32_u32_e32 v151, v134
	v_min_u32_e32 v151, 32, v151
	s_delay_alu instid0(VALU_DEP_1) | instskip(SKIP_1) | instid1(VALU_DEP_2)
	v_subrev_nc_u32_e32 v77, 28, v151
	v_sub_nc_u32_e32 v151, 29, v151
	v_lshlrev_b64 v[77:78], v77, v[134:135]
	s_delay_alu instid0(VALU_DEP_1)
	v_and_b32_e32 v134, 7, v77
; %bb.168:                              ;   in Loop: Header=BB225_11 Depth=1
	s_or_b32 exec_lo, exec_lo, s21
	v_lshlrev_b32_e32 v150, 24, v150
	s_delay_alu instid0(VALU_DEP_2) | instskip(SKIP_1) | instid1(VALU_DEP_3)
	v_lshlrev_b32_e32 v134, 20, v134
	v_lshl_add_u32 v151, v151, 23, 0x3c000000
	v_and_b32_e32 v150, 0x80000000, v150
	s_delay_alu instid0(VALU_DEP_1)
	v_or3_b32 v77, v134, v150, v151
.LBB225_169:                            ;   in Loop: Header=BB225_11 Depth=1
	s_or_b32 exec_lo, exec_lo, s20
.LBB225_170:                            ;   in Loop: Header=BB225_11 Depth=1
	s_delay_alu instid0(SALU_CYCLE_1)
	s_or_b32 exec_lo, exec_lo, s19
.LBB225_171:                            ;   in Loop: Header=BB225_11 Depth=1
	s_delay_alu instid0(SALU_CYCLE_1)
	s_or_b32 exec_lo, exec_lo, s3
	flat_load_u8 v150, v[148:149] offset:640
	s_mov_b32 s3, exec_lo
	s_waitcnt vmcnt(0) lgkmcnt(0)
	v_cmpx_ne_u16_e64 0, v150
	s_cbranch_execz .LBB225_179
; %bb.172:                              ;   in Loop: Header=BB225_11 Depth=1
	v_bfrev_b32_e32 v76, 1
	s_mov_b32 s19, exec_lo
	v_cmpx_ne_u16_e64 0x80, v150
	s_cbranch_execz .LBB225_178
; %bb.173:                              ;   in Loop: Header=BB225_11 Depth=1
	v_and_b32_e32 v134, 0xffff, v150
	v_mov_b32_e32 v76, 0x7f800001
	s_mov_b32 s20, exec_lo
	s_delay_alu instid0(VALU_DEP_2) | instskip(NEXT) | instid1(VALU_DEP_1)
	v_and_b32_e32 v78, 0x7f, v134
	v_cmpx_ne_u32_e32 0x7f, v78
	s_cbranch_execz .LBB225_177
; %bb.174:                              ;   in Loop: Header=BB225_11 Depth=1
	v_and_b32_e32 v134, 7, v134
	v_lshrrev_b32_e32 v151, 3, v78
	s_mov_b32 s21, exec_lo
	v_cmpx_gt_u32_e32 8, v78
; %bb.175:                              ;   in Loop: Header=BB225_11 Depth=1
	s_delay_alu instid0(VALU_DEP_3) | instskip(NEXT) | instid1(VALU_DEP_1)
	v_clz_i32_u32_e32 v151, v134
	v_min_u32_e32 v151, 32, v151
	s_delay_alu instid0(VALU_DEP_1) | instskip(SKIP_1) | instid1(VALU_DEP_2)
	v_subrev_nc_u32_e32 v76, 28, v151
	v_sub_nc_u32_e32 v151, 29, v151
	v_lshlrev_b64 v[78:79], v76, v[134:135]
	s_delay_alu instid0(VALU_DEP_1)
	v_and_b32_e32 v134, 7, v78
; %bb.176:                              ;   in Loop: Header=BB225_11 Depth=1
	s_or_b32 exec_lo, exec_lo, s21
	v_lshlrev_b32_e32 v150, 24, v150
	s_delay_alu instid0(VALU_DEP_2) | instskip(SKIP_1) | instid1(VALU_DEP_3)
	v_lshlrev_b32_e32 v134, 20, v134
	v_lshl_add_u32 v151, v151, 23, 0x3c000000
	v_and_b32_e32 v150, 0x80000000, v150
	s_delay_alu instid0(VALU_DEP_1)
	v_or3_b32 v76, v134, v150, v151
.LBB225_177:                            ;   in Loop: Header=BB225_11 Depth=1
	s_or_b32 exec_lo, exec_lo, s20
.LBB225_178:                            ;   in Loop: Header=BB225_11 Depth=1
	s_delay_alu instid0(SALU_CYCLE_1)
	s_or_b32 exec_lo, exec_lo, s19
.LBB225_179:                            ;   in Loop: Header=BB225_11 Depth=1
	s_delay_alu instid0(SALU_CYCLE_1)
	s_or_b32 exec_lo, exec_lo, s3
	flat_load_u8 v150, v[148:149] offset:644
	v_dual_mov_b32 v78, 0 :: v_dual_mov_b32 v79, 0
	s_mov_b32 s3, exec_lo
	s_waitcnt vmcnt(0) lgkmcnt(0)
	v_cmpx_ne_u16_e64 0, v150
	s_cbranch_execz .LBB225_187
; %bb.180:                              ;   in Loop: Header=BB225_11 Depth=1
	v_bfrev_b32_e32 v79, 1
	s_mov_b32 s19, exec_lo
	v_cmpx_ne_u16_e64 0x80, v150
	s_cbranch_execz .LBB225_186
; %bb.181:                              ;   in Loop: Header=BB225_11 Depth=1
	v_and_b32_e32 v134, 0xffff, v150
	v_mov_b32_e32 v79, 0x7f800001
	s_mov_b32 s20, exec_lo
	s_delay_alu instid0(VALU_DEP_2) | instskip(NEXT) | instid1(VALU_DEP_1)
	v_and_b32_e32 v88, 0x7f, v134
	v_cmpx_ne_u32_e32 0x7f, v88
	s_cbranch_execz .LBB225_185
; %bb.182:                              ;   in Loop: Header=BB225_11 Depth=1
	v_and_b32_e32 v134, 7, v134
	v_lshrrev_b32_e32 v151, 3, v88
	s_mov_b32 s21, exec_lo
	v_cmpx_gt_u32_e32 8, v88
; %bb.183:                              ;   in Loop: Header=BB225_11 Depth=1
	s_delay_alu instid0(VALU_DEP_3) | instskip(NEXT) | instid1(VALU_DEP_1)
	v_clz_i32_u32_e32 v151, v134
	v_min_u32_e32 v151, 32, v151
	s_delay_alu instid0(VALU_DEP_1) | instskip(SKIP_1) | instid1(VALU_DEP_2)
	v_subrev_nc_u32_e32 v79, 28, v151
	v_sub_nc_u32_e32 v151, 29, v151
	v_lshlrev_b64 v[88:89], v79, v[134:135]
	s_delay_alu instid0(VALU_DEP_1)
	v_and_b32_e32 v134, 7, v88
; %bb.184:                              ;   in Loop: Header=BB225_11 Depth=1
	s_or_b32 exec_lo, exec_lo, s21
	v_lshlrev_b32_e32 v150, 24, v150
	s_delay_alu instid0(VALU_DEP_2) | instskip(SKIP_1) | instid1(VALU_DEP_3)
	v_lshlrev_b32_e32 v134, 20, v134
	v_lshl_add_u32 v151, v151, 23, 0x3c000000
	v_and_b32_e32 v150, 0x80000000, v150
	s_delay_alu instid0(VALU_DEP_1)
	v_or3_b32 v79, v134, v150, v151
.LBB225_185:                            ;   in Loop: Header=BB225_11 Depth=1
	s_or_b32 exec_lo, exec_lo, s20
.LBB225_186:                            ;   in Loop: Header=BB225_11 Depth=1
	s_delay_alu instid0(SALU_CYCLE_1)
	s_or_b32 exec_lo, exec_lo, s19
.LBB225_187:                            ;   in Loop: Header=BB225_11 Depth=1
	s_delay_alu instid0(SALU_CYCLE_1) | instskip(SKIP_1) | instid1(VALU_DEP_1)
	s_or_b32 exec_lo, exec_lo, s3
	v_add_co_u32 v150, s2, 0x280, v148
	v_add_co_ci_u32_e64 v151, s2, 0, v149, s2
	s_mov_b32 s3, exec_lo
	flat_load_u8 v88, v[150:151] offset:8
	s_waitcnt vmcnt(0) lgkmcnt(0)
	v_cmpx_ne_u16_e32 0, v88
	s_cbranch_execz .LBB225_195
; %bb.188:                              ;   in Loop: Header=BB225_11 Depth=1
	v_bfrev_b32_e32 v78, 1
	s_mov_b32 s19, exec_lo
	v_cmpx_ne_u16_e32 0x80, v88
	s_cbranch_execz .LBB225_194
; %bb.189:                              ;   in Loop: Header=BB225_11 Depth=1
	v_and_b32_e32 v134, 0xffff, v88
	v_mov_b32_e32 v78, 0x7f800001
	s_mov_b32 s20, exec_lo
	s_delay_alu instid0(VALU_DEP_2) | instskip(NEXT) | instid1(VALU_DEP_1)
	v_and_b32_e32 v89, 0x7f, v134
	v_cmpx_ne_u32_e32 0x7f, v89
	s_cbranch_execz .LBB225_193
; %bb.190:                              ;   in Loop: Header=BB225_11 Depth=1
	v_and_b32_e32 v134, 7, v134
	v_lshrrev_b32_e32 v78, 3, v89
	s_mov_b32 s21, exec_lo
	v_cmpx_gt_u32_e32 8, v89
; %bb.191:                              ;   in Loop: Header=BB225_11 Depth=1
	s_delay_alu instid0(VALU_DEP_3) | instskip(NEXT) | instid1(VALU_DEP_1)
	v_clz_i32_u32_e32 v78, v134
	v_min_u32_e32 v78, 32, v78
	s_delay_alu instid0(VALU_DEP_1) | instskip(SKIP_1) | instid1(VALU_DEP_2)
	v_subrev_nc_u32_e32 v89, 28, v78
	v_sub_nc_u32_e32 v78, 29, v78
	v_lshlrev_b64 v[89:90], v89, v[134:135]
	s_delay_alu instid0(VALU_DEP_1)
	v_and_b32_e32 v134, 7, v89
; %bb.192:                              ;   in Loop: Header=BB225_11 Depth=1
	s_or_b32 exec_lo, exec_lo, s21
	v_lshlrev_b32_e32 v88, 24, v88
	s_delay_alu instid0(VALU_DEP_2) | instskip(SKIP_1) | instid1(VALU_DEP_3)
	v_lshlrev_b32_e32 v134, 20, v134
	v_lshl_add_u32 v78, v78, 23, 0x3c000000
	v_and_b32_e32 v88, 0x80000000, v88
	s_delay_alu instid0(VALU_DEP_1)
	v_or3_b32 v78, v134, v88, v78
.LBB225_193:                            ;   in Loop: Header=BB225_11 Depth=1
	s_or_b32 exec_lo, exec_lo, s20
.LBB225_194:                            ;   in Loop: Header=BB225_11 Depth=1
	s_delay_alu instid0(SALU_CYCLE_1)
	s_or_b32 exec_lo, exec_lo, s19
.LBB225_195:                            ;   in Loop: Header=BB225_11 Depth=1
	s_delay_alu instid0(SALU_CYCLE_1)
	s_or_b32 exec_lo, exec_lo, s3
	flat_load_u8 v150, v[150:151] offset:12
	v_dual_mov_b32 v88, 0 :: v_dual_mov_b32 v89, 0
	s_mov_b32 s3, exec_lo
	s_waitcnt vmcnt(0) lgkmcnt(0)
	v_cmpx_ne_u16_e64 0, v150
	s_cbranch_execz .LBB225_203
; %bb.196:                              ;   in Loop: Header=BB225_11 Depth=1
	v_bfrev_b32_e32 v89, 1
	s_mov_b32 s19, exec_lo
	v_cmpx_ne_u16_e64 0x80, v150
	s_cbranch_execz .LBB225_202
; %bb.197:                              ;   in Loop: Header=BB225_11 Depth=1
	v_and_b32_e32 v134, 0xffff, v150
	v_mov_b32_e32 v89, 0x7f800001
	s_mov_b32 s20, exec_lo
	s_delay_alu instid0(VALU_DEP_2) | instskip(NEXT) | instid1(VALU_DEP_1)
	v_and_b32_e32 v90, 0x7f, v134
	v_cmpx_ne_u32_e32 0x7f, v90
	s_cbranch_execz .LBB225_201
; %bb.198:                              ;   in Loop: Header=BB225_11 Depth=1
	v_and_b32_e32 v134, 7, v134
	v_lshrrev_b32_e32 v151, 3, v90
	s_mov_b32 s21, exec_lo
	v_cmpx_gt_u32_e32 8, v90
; %bb.199:                              ;   in Loop: Header=BB225_11 Depth=1
	s_delay_alu instid0(VALU_DEP_3) | instskip(NEXT) | instid1(VALU_DEP_1)
	v_clz_i32_u32_e32 v151, v134
	v_min_u32_e32 v151, 32, v151
	s_delay_alu instid0(VALU_DEP_1) | instskip(SKIP_1) | instid1(VALU_DEP_2)
	v_subrev_nc_u32_e32 v89, 28, v151
	v_sub_nc_u32_e32 v151, 29, v151
	v_lshlrev_b64 v[89:90], v89, v[134:135]
	s_delay_alu instid0(VALU_DEP_1)
	v_and_b32_e32 v134, 7, v89
; %bb.200:                              ;   in Loop: Header=BB225_11 Depth=1
	s_or_b32 exec_lo, exec_lo, s21
	v_lshlrev_b32_e32 v150, 24, v150
	s_delay_alu instid0(VALU_DEP_2) | instskip(SKIP_1) | instid1(VALU_DEP_3)
	v_lshlrev_b32_e32 v134, 20, v134
	v_lshl_add_u32 v151, v151, 23, 0x3c000000
	v_and_b32_e32 v150, 0x80000000, v150
	s_delay_alu instid0(VALU_DEP_1)
	v_or3_b32 v89, v134, v150, v151
.LBB225_201:                            ;   in Loop: Header=BB225_11 Depth=1
	s_or_b32 exec_lo, exec_lo, s20
.LBB225_202:                            ;   in Loop: Header=BB225_11 Depth=1
	s_delay_alu instid0(SALU_CYCLE_1)
	s_or_b32 exec_lo, exec_lo, s19
.LBB225_203:                            ;   in Loop: Header=BB225_11 Depth=1
	s_delay_alu instid0(SALU_CYCLE_1)
	s_or_b32 exec_lo, exec_lo, s3
	flat_load_u8 v150, v[148:149] offset:768
	s_mov_b32 s3, exec_lo
	s_waitcnt vmcnt(0) lgkmcnt(0)
	v_cmpx_ne_u16_e64 0, v150
	s_cbranch_execz .LBB225_211
; %bb.204:                              ;   in Loop: Header=BB225_11 Depth=1
	v_bfrev_b32_e32 v88, 1
	s_mov_b32 s19, exec_lo
	v_cmpx_ne_u16_e64 0x80, v150
	s_cbranch_execz .LBB225_210
; %bb.205:                              ;   in Loop: Header=BB225_11 Depth=1
	v_and_b32_e32 v134, 0xffff, v150
	v_mov_b32_e32 v88, 0x7f800001
	s_mov_b32 s20, exec_lo
	s_delay_alu instid0(VALU_DEP_2) | instskip(NEXT) | instid1(VALU_DEP_1)
	v_and_b32_e32 v90, 0x7f, v134
	v_cmpx_ne_u32_e32 0x7f, v90
	s_cbranch_execz .LBB225_209
; %bb.206:                              ;   in Loop: Header=BB225_11 Depth=1
	v_and_b32_e32 v134, 7, v134
	v_lshrrev_b32_e32 v151, 3, v90
	s_mov_b32 s21, exec_lo
	v_cmpx_gt_u32_e32 8, v90
; %bb.207:                              ;   in Loop: Header=BB225_11 Depth=1
	s_delay_alu instid0(VALU_DEP_3) | instskip(NEXT) | instid1(VALU_DEP_1)
	v_clz_i32_u32_e32 v151, v134
	v_min_u32_e32 v151, 32, v151
	s_delay_alu instid0(VALU_DEP_1) | instskip(SKIP_1) | instid1(VALU_DEP_2)
	v_subrev_nc_u32_e32 v88, 28, v151
	v_sub_nc_u32_e32 v151, 29, v151
	v_lshlrev_b64 v[90:91], v88, v[134:135]
	s_delay_alu instid0(VALU_DEP_1)
	v_and_b32_e32 v134, 7, v90
; %bb.208:                              ;   in Loop: Header=BB225_11 Depth=1
	s_or_b32 exec_lo, exec_lo, s21
	v_lshlrev_b32_e32 v150, 24, v150
	s_delay_alu instid0(VALU_DEP_2) | instskip(SKIP_1) | instid1(VALU_DEP_3)
	v_lshlrev_b32_e32 v134, 20, v134
	v_lshl_add_u32 v151, v151, 23, 0x3c000000
	v_and_b32_e32 v150, 0x80000000, v150
	s_delay_alu instid0(VALU_DEP_1)
	v_or3_b32 v88, v134, v150, v151
.LBB225_209:                            ;   in Loop: Header=BB225_11 Depth=1
	s_or_b32 exec_lo, exec_lo, s20
.LBB225_210:                            ;   in Loop: Header=BB225_11 Depth=1
	s_delay_alu instid0(SALU_CYCLE_1)
	s_or_b32 exec_lo, exec_lo, s19
.LBB225_211:                            ;   in Loop: Header=BB225_11 Depth=1
	s_delay_alu instid0(SALU_CYCLE_1)
	s_or_b32 exec_lo, exec_lo, s3
	flat_load_u8 v150, v[148:149] offset:772
	v_dual_mov_b32 v90, 0 :: v_dual_mov_b32 v91, 0
	s_mov_b32 s3, exec_lo
	s_waitcnt vmcnt(0) lgkmcnt(0)
	v_cmpx_ne_u16_e64 0, v150
	s_cbranch_execz .LBB225_219
; %bb.212:                              ;   in Loop: Header=BB225_11 Depth=1
	v_bfrev_b32_e32 v91, 1
	s_mov_b32 s19, exec_lo
	v_cmpx_ne_u16_e64 0x80, v150
	s_cbranch_execz .LBB225_218
; %bb.213:                              ;   in Loop: Header=BB225_11 Depth=1
	v_and_b32_e32 v134, 0xffff, v150
	v_mov_b32_e32 v91, 0x7f800001
	s_mov_b32 s20, exec_lo
	s_delay_alu instid0(VALU_DEP_2) | instskip(NEXT) | instid1(VALU_DEP_1)
	v_and_b32_e32 v92, 0x7f, v134
	v_cmpx_ne_u32_e32 0x7f, v92
	s_cbranch_execz .LBB225_217
; %bb.214:                              ;   in Loop: Header=BB225_11 Depth=1
	v_and_b32_e32 v134, 7, v134
	v_lshrrev_b32_e32 v151, 3, v92
	s_mov_b32 s21, exec_lo
	v_cmpx_gt_u32_e32 8, v92
; %bb.215:                              ;   in Loop: Header=BB225_11 Depth=1
	s_delay_alu instid0(VALU_DEP_3) | instskip(NEXT) | instid1(VALU_DEP_1)
	v_clz_i32_u32_e32 v151, v134
	v_min_u32_e32 v151, 32, v151
	s_delay_alu instid0(VALU_DEP_1) | instskip(SKIP_1) | instid1(VALU_DEP_2)
	v_subrev_nc_u32_e32 v91, 28, v151
	v_sub_nc_u32_e32 v151, 29, v151
	v_lshlrev_b64 v[91:92], v91, v[134:135]
	s_delay_alu instid0(VALU_DEP_1)
	v_and_b32_e32 v134, 7, v91
; %bb.216:                              ;   in Loop: Header=BB225_11 Depth=1
	s_or_b32 exec_lo, exec_lo, s21
	v_lshlrev_b32_e32 v150, 24, v150
	s_delay_alu instid0(VALU_DEP_2) | instskip(SKIP_1) | instid1(VALU_DEP_3)
	v_lshlrev_b32_e32 v134, 20, v134
	v_lshl_add_u32 v151, v151, 23, 0x3c000000
	v_and_b32_e32 v150, 0x80000000, v150
	s_delay_alu instid0(VALU_DEP_1)
	v_or3_b32 v91, v134, v150, v151
.LBB225_217:                            ;   in Loop: Header=BB225_11 Depth=1
	s_or_b32 exec_lo, exec_lo, s20
.LBB225_218:                            ;   in Loop: Header=BB225_11 Depth=1
	s_delay_alu instid0(SALU_CYCLE_1)
	s_or_b32 exec_lo, exec_lo, s19
.LBB225_219:                            ;   in Loop: Header=BB225_11 Depth=1
	s_delay_alu instid0(SALU_CYCLE_1) | instskip(SKIP_1) | instid1(VALU_DEP_1)
	s_or_b32 exec_lo, exec_lo, s3
	v_add_co_u32 v150, s2, 0x300, v148
	v_add_co_ci_u32_e64 v151, s2, 0, v149, s2
	s_mov_b32 s3, exec_lo
	flat_load_u8 v92, v[150:151] offset:8
	s_waitcnt vmcnt(0) lgkmcnt(0)
	v_cmpx_ne_u16_e32 0, v92
	s_cbranch_execz .LBB225_227
; %bb.220:                              ;   in Loop: Header=BB225_11 Depth=1
	v_bfrev_b32_e32 v90, 1
	s_mov_b32 s19, exec_lo
	v_cmpx_ne_u16_e32 0x80, v92
	s_cbranch_execz .LBB225_226
; %bb.221:                              ;   in Loop: Header=BB225_11 Depth=1
	v_and_b32_e32 v134, 0xffff, v92
	v_mov_b32_e32 v90, 0x7f800001
	s_mov_b32 s20, exec_lo
	s_delay_alu instid0(VALU_DEP_2) | instskip(NEXT) | instid1(VALU_DEP_1)
	v_and_b32_e32 v93, 0x7f, v134
	v_cmpx_ne_u32_e32 0x7f, v93
	s_cbranch_execz .LBB225_225
; %bb.222:                              ;   in Loop: Header=BB225_11 Depth=1
	v_and_b32_e32 v134, 7, v134
	v_lshrrev_b32_e32 v90, 3, v93
	s_mov_b32 s21, exec_lo
	v_cmpx_gt_u32_e32 8, v93
; %bb.223:                              ;   in Loop: Header=BB225_11 Depth=1
	s_delay_alu instid0(VALU_DEP_3) | instskip(NEXT) | instid1(VALU_DEP_1)
	v_clz_i32_u32_e32 v90, v134
	v_min_u32_e32 v90, 32, v90
	s_delay_alu instid0(VALU_DEP_1) | instskip(SKIP_1) | instid1(VALU_DEP_2)
	v_subrev_nc_u32_e32 v93, 28, v90
	v_sub_nc_u32_e32 v90, 29, v90
	v_lshlrev_b64 v[93:94], v93, v[134:135]
	s_delay_alu instid0(VALU_DEP_1)
	v_and_b32_e32 v134, 7, v93
; %bb.224:                              ;   in Loop: Header=BB225_11 Depth=1
	s_or_b32 exec_lo, exec_lo, s21
	v_lshlrev_b32_e32 v92, 24, v92
	s_delay_alu instid0(VALU_DEP_2) | instskip(SKIP_1) | instid1(VALU_DEP_3)
	v_lshlrev_b32_e32 v134, 20, v134
	v_lshl_add_u32 v90, v90, 23, 0x3c000000
	v_and_b32_e32 v92, 0x80000000, v92
	s_delay_alu instid0(VALU_DEP_1)
	v_or3_b32 v90, v134, v92, v90
.LBB225_225:                            ;   in Loop: Header=BB225_11 Depth=1
	s_or_b32 exec_lo, exec_lo, s20
.LBB225_226:                            ;   in Loop: Header=BB225_11 Depth=1
	s_delay_alu instid0(SALU_CYCLE_1)
	s_or_b32 exec_lo, exec_lo, s19
.LBB225_227:                            ;   in Loop: Header=BB225_11 Depth=1
	s_delay_alu instid0(SALU_CYCLE_1)
	s_or_b32 exec_lo, exec_lo, s3
	flat_load_u8 v150, v[150:151] offset:12
	v_dual_mov_b32 v92, 0 :: v_dual_mov_b32 v93, 0
	s_mov_b32 s3, exec_lo
	s_waitcnt vmcnt(0) lgkmcnt(0)
	v_cmpx_ne_u16_e64 0, v150
	s_cbranch_execz .LBB225_235
; %bb.228:                              ;   in Loop: Header=BB225_11 Depth=1
	v_bfrev_b32_e32 v93, 1
	s_mov_b32 s19, exec_lo
	v_cmpx_ne_u16_e64 0x80, v150
	s_cbranch_execz .LBB225_234
; %bb.229:                              ;   in Loop: Header=BB225_11 Depth=1
	v_and_b32_e32 v134, 0xffff, v150
	v_mov_b32_e32 v93, 0x7f800001
	s_mov_b32 s20, exec_lo
	s_delay_alu instid0(VALU_DEP_2) | instskip(NEXT) | instid1(VALU_DEP_1)
	v_and_b32_e32 v94, 0x7f, v134
	v_cmpx_ne_u32_e32 0x7f, v94
	s_cbranch_execz .LBB225_233
; %bb.230:                              ;   in Loop: Header=BB225_11 Depth=1
	v_and_b32_e32 v134, 7, v134
	v_lshrrev_b32_e32 v151, 3, v94
	s_mov_b32 s21, exec_lo
	v_cmpx_gt_u32_e32 8, v94
; %bb.231:                              ;   in Loop: Header=BB225_11 Depth=1
	s_delay_alu instid0(VALU_DEP_3) | instskip(NEXT) | instid1(VALU_DEP_1)
	v_clz_i32_u32_e32 v151, v134
	v_min_u32_e32 v151, 32, v151
	s_delay_alu instid0(VALU_DEP_1) | instskip(SKIP_1) | instid1(VALU_DEP_2)
	v_subrev_nc_u32_e32 v93, 28, v151
	v_sub_nc_u32_e32 v151, 29, v151
	v_lshlrev_b64 v[93:94], v93, v[134:135]
	s_delay_alu instid0(VALU_DEP_1)
	v_and_b32_e32 v134, 7, v93
; %bb.232:                              ;   in Loop: Header=BB225_11 Depth=1
	s_or_b32 exec_lo, exec_lo, s21
	v_lshlrev_b32_e32 v150, 24, v150
	s_delay_alu instid0(VALU_DEP_2) | instskip(SKIP_1) | instid1(VALU_DEP_3)
	v_lshlrev_b32_e32 v134, 20, v134
	v_lshl_add_u32 v151, v151, 23, 0x3c000000
	v_and_b32_e32 v150, 0x80000000, v150
	s_delay_alu instid0(VALU_DEP_1)
	v_or3_b32 v93, v134, v150, v151
.LBB225_233:                            ;   in Loop: Header=BB225_11 Depth=1
	s_or_b32 exec_lo, exec_lo, s20
.LBB225_234:                            ;   in Loop: Header=BB225_11 Depth=1
	s_delay_alu instid0(SALU_CYCLE_1)
	s_or_b32 exec_lo, exec_lo, s19
.LBB225_235:                            ;   in Loop: Header=BB225_11 Depth=1
	s_delay_alu instid0(SALU_CYCLE_1)
	s_or_b32 exec_lo, exec_lo, s3
	flat_load_u8 v150, v[148:149] offset:896
	s_mov_b32 s3, exec_lo
	s_waitcnt vmcnt(0) lgkmcnt(0)
	v_cmpx_ne_u16_e64 0, v150
	s_cbranch_execz .LBB225_243
; %bb.236:                              ;   in Loop: Header=BB225_11 Depth=1
	v_bfrev_b32_e32 v92, 1
	s_mov_b32 s19, exec_lo
	v_cmpx_ne_u16_e64 0x80, v150
	s_cbranch_execz .LBB225_242
; %bb.237:                              ;   in Loop: Header=BB225_11 Depth=1
	v_and_b32_e32 v134, 0xffff, v150
	v_mov_b32_e32 v92, 0x7f800001
	s_mov_b32 s20, exec_lo
	s_delay_alu instid0(VALU_DEP_2) | instskip(NEXT) | instid1(VALU_DEP_1)
	v_and_b32_e32 v94, 0x7f, v134
	v_cmpx_ne_u32_e32 0x7f, v94
	s_cbranch_execz .LBB225_241
; %bb.238:                              ;   in Loop: Header=BB225_11 Depth=1
	v_and_b32_e32 v134, 7, v134
	v_lshrrev_b32_e32 v151, 3, v94
	s_mov_b32 s21, exec_lo
	v_cmpx_gt_u32_e32 8, v94
; %bb.239:                              ;   in Loop: Header=BB225_11 Depth=1
	s_delay_alu instid0(VALU_DEP_3) | instskip(NEXT) | instid1(VALU_DEP_1)
	v_clz_i32_u32_e32 v151, v134
	v_min_u32_e32 v151, 32, v151
	s_delay_alu instid0(VALU_DEP_1) | instskip(SKIP_1) | instid1(VALU_DEP_2)
	v_subrev_nc_u32_e32 v92, 28, v151
	v_sub_nc_u32_e32 v151, 29, v151
	v_lshlrev_b64 v[94:95], v92, v[134:135]
	s_delay_alu instid0(VALU_DEP_1)
	v_and_b32_e32 v134, 7, v94
; %bb.240:                              ;   in Loop: Header=BB225_11 Depth=1
	s_or_b32 exec_lo, exec_lo, s21
	v_lshlrev_b32_e32 v150, 24, v150
	s_delay_alu instid0(VALU_DEP_2) | instskip(SKIP_1) | instid1(VALU_DEP_3)
	v_lshlrev_b32_e32 v134, 20, v134
	v_lshl_add_u32 v151, v151, 23, 0x3c000000
	v_and_b32_e32 v150, 0x80000000, v150
	s_delay_alu instid0(VALU_DEP_1)
	v_or3_b32 v92, v134, v150, v151
.LBB225_241:                            ;   in Loop: Header=BB225_11 Depth=1
	s_or_b32 exec_lo, exec_lo, s20
.LBB225_242:                            ;   in Loop: Header=BB225_11 Depth=1
	s_delay_alu instid0(SALU_CYCLE_1)
	s_or_b32 exec_lo, exec_lo, s19
.LBB225_243:                            ;   in Loop: Header=BB225_11 Depth=1
	s_delay_alu instid0(SALU_CYCLE_1)
	s_or_b32 exec_lo, exec_lo, s3
	flat_load_u8 v150, v[148:149] offset:900
	v_dual_mov_b32 v94, 0 :: v_dual_mov_b32 v95, 0
	s_mov_b32 s3, exec_lo
	s_waitcnt vmcnt(0) lgkmcnt(0)
	v_cmpx_ne_u16_e64 0, v150
	s_cbranch_execz .LBB225_251
; %bb.244:                              ;   in Loop: Header=BB225_11 Depth=1
	v_bfrev_b32_e32 v95, 1
	s_mov_b32 s19, exec_lo
	v_cmpx_ne_u16_e64 0x80, v150
	s_cbranch_execz .LBB225_250
; %bb.245:                              ;   in Loop: Header=BB225_11 Depth=1
	v_and_b32_e32 v134, 0xffff, v150
	v_mov_b32_e32 v95, 0x7f800001
	s_mov_b32 s20, exec_lo
	s_delay_alu instid0(VALU_DEP_2) | instskip(NEXT) | instid1(VALU_DEP_1)
	v_and_b32_e32 v104, 0x7f, v134
	v_cmpx_ne_u32_e32 0x7f, v104
	s_cbranch_execz .LBB225_249
; %bb.246:                              ;   in Loop: Header=BB225_11 Depth=1
	v_and_b32_e32 v134, 7, v134
	v_lshrrev_b32_e32 v151, 3, v104
	s_mov_b32 s21, exec_lo
	v_cmpx_gt_u32_e32 8, v104
; %bb.247:                              ;   in Loop: Header=BB225_11 Depth=1
	s_delay_alu instid0(VALU_DEP_3) | instskip(NEXT) | instid1(VALU_DEP_1)
	v_clz_i32_u32_e32 v151, v134
	v_min_u32_e32 v151, 32, v151
	s_delay_alu instid0(VALU_DEP_1) | instskip(SKIP_1) | instid1(VALU_DEP_2)
	v_subrev_nc_u32_e32 v95, 28, v151
	v_sub_nc_u32_e32 v151, 29, v151
	v_lshlrev_b64 v[104:105], v95, v[134:135]
	s_delay_alu instid0(VALU_DEP_1)
	v_and_b32_e32 v134, 7, v104
; %bb.248:                              ;   in Loop: Header=BB225_11 Depth=1
	s_or_b32 exec_lo, exec_lo, s21
	v_lshlrev_b32_e32 v150, 24, v150
	s_delay_alu instid0(VALU_DEP_2) | instskip(SKIP_1) | instid1(VALU_DEP_3)
	v_lshlrev_b32_e32 v134, 20, v134
	v_lshl_add_u32 v151, v151, 23, 0x3c000000
	v_and_b32_e32 v150, 0x80000000, v150
	s_delay_alu instid0(VALU_DEP_1)
	v_or3_b32 v95, v134, v150, v151
.LBB225_249:                            ;   in Loop: Header=BB225_11 Depth=1
	s_or_b32 exec_lo, exec_lo, s20
.LBB225_250:                            ;   in Loop: Header=BB225_11 Depth=1
	s_delay_alu instid0(SALU_CYCLE_1)
	s_or_b32 exec_lo, exec_lo, s19
.LBB225_251:                            ;   in Loop: Header=BB225_11 Depth=1
	s_delay_alu instid0(SALU_CYCLE_1) | instskip(SKIP_1) | instid1(VALU_DEP_1)
	s_or_b32 exec_lo, exec_lo, s3
	v_add_co_u32 v150, s2, 0x380, v148
	v_add_co_ci_u32_e64 v151, s2, 0, v149, s2
	s_mov_b32 s3, exec_lo
	flat_load_u8 v104, v[150:151] offset:8
	s_waitcnt vmcnt(0) lgkmcnt(0)
	v_cmpx_ne_u16_e32 0, v104
	s_cbranch_execz .LBB225_259
; %bb.252:                              ;   in Loop: Header=BB225_11 Depth=1
	v_bfrev_b32_e32 v94, 1
	s_mov_b32 s19, exec_lo
	v_cmpx_ne_u16_e32 0x80, v104
	s_cbranch_execz .LBB225_258
; %bb.253:                              ;   in Loop: Header=BB225_11 Depth=1
	v_and_b32_e32 v134, 0xffff, v104
	v_mov_b32_e32 v94, 0x7f800001
	s_mov_b32 s20, exec_lo
	s_delay_alu instid0(VALU_DEP_2) | instskip(NEXT) | instid1(VALU_DEP_1)
	v_and_b32_e32 v105, 0x7f, v134
	v_cmpx_ne_u32_e32 0x7f, v105
	s_cbranch_execz .LBB225_257
; %bb.254:                              ;   in Loop: Header=BB225_11 Depth=1
	v_and_b32_e32 v134, 7, v134
	v_lshrrev_b32_e32 v94, 3, v105
	s_mov_b32 s21, exec_lo
	v_cmpx_gt_u32_e32 8, v105
; %bb.255:                              ;   in Loop: Header=BB225_11 Depth=1
	s_delay_alu instid0(VALU_DEP_3) | instskip(NEXT) | instid1(VALU_DEP_1)
	v_clz_i32_u32_e32 v94, v134
	v_min_u32_e32 v94, 32, v94
	s_delay_alu instid0(VALU_DEP_1) | instskip(SKIP_1) | instid1(VALU_DEP_2)
	v_subrev_nc_u32_e32 v105, 28, v94
	v_sub_nc_u32_e32 v94, 29, v94
	v_lshlrev_b64 v[105:106], v105, v[134:135]
	s_delay_alu instid0(VALU_DEP_1)
	v_and_b32_e32 v134, 7, v105
; %bb.256:                              ;   in Loop: Header=BB225_11 Depth=1
	s_or_b32 exec_lo, exec_lo, s21
	v_lshlrev_b32_e32 v104, 24, v104
	s_delay_alu instid0(VALU_DEP_2) | instskip(SKIP_1) | instid1(VALU_DEP_3)
	v_lshlrev_b32_e32 v134, 20, v134
	v_lshl_add_u32 v94, v94, 23, 0x3c000000
	v_and_b32_e32 v104, 0x80000000, v104
	s_delay_alu instid0(VALU_DEP_1)
	v_or3_b32 v94, v134, v104, v94
.LBB225_257:                            ;   in Loop: Header=BB225_11 Depth=1
	s_or_b32 exec_lo, exec_lo, s20
.LBB225_258:                            ;   in Loop: Header=BB225_11 Depth=1
	s_delay_alu instid0(SALU_CYCLE_1)
	s_or_b32 exec_lo, exec_lo, s19
.LBB225_259:                            ;   in Loop: Header=BB225_11 Depth=1
	s_delay_alu instid0(SALU_CYCLE_1)
	s_or_b32 exec_lo, exec_lo, s3
	flat_load_u8 v150, v[150:151] offset:12
	v_dual_mov_b32 v104, 0 :: v_dual_mov_b32 v105, 0
	s_mov_b32 s3, exec_lo
	s_waitcnt vmcnt(0) lgkmcnt(0)
	v_cmpx_ne_u16_e64 0, v150
	s_cbranch_execz .LBB225_267
; %bb.260:                              ;   in Loop: Header=BB225_11 Depth=1
	v_bfrev_b32_e32 v105, 1
	s_mov_b32 s19, exec_lo
	v_cmpx_ne_u16_e64 0x80, v150
	s_cbranch_execz .LBB225_266
; %bb.261:                              ;   in Loop: Header=BB225_11 Depth=1
	v_and_b32_e32 v134, 0xffff, v150
	v_mov_b32_e32 v105, 0x7f800001
	s_mov_b32 s20, exec_lo
	s_delay_alu instid0(VALU_DEP_2) | instskip(NEXT) | instid1(VALU_DEP_1)
	v_and_b32_e32 v106, 0x7f, v134
	v_cmpx_ne_u32_e32 0x7f, v106
	s_cbranch_execz .LBB225_265
; %bb.262:                              ;   in Loop: Header=BB225_11 Depth=1
	v_and_b32_e32 v134, 7, v134
	v_lshrrev_b32_e32 v151, 3, v106
	s_mov_b32 s21, exec_lo
	v_cmpx_gt_u32_e32 8, v106
; %bb.263:                              ;   in Loop: Header=BB225_11 Depth=1
	s_delay_alu instid0(VALU_DEP_3) | instskip(NEXT) | instid1(VALU_DEP_1)
	v_clz_i32_u32_e32 v151, v134
	v_min_u32_e32 v151, 32, v151
	s_delay_alu instid0(VALU_DEP_1) | instskip(SKIP_1) | instid1(VALU_DEP_2)
	v_subrev_nc_u32_e32 v105, 28, v151
	v_sub_nc_u32_e32 v151, 29, v151
	v_lshlrev_b64 v[105:106], v105, v[134:135]
	s_delay_alu instid0(VALU_DEP_1)
	v_and_b32_e32 v134, 7, v105
; %bb.264:                              ;   in Loop: Header=BB225_11 Depth=1
	s_or_b32 exec_lo, exec_lo, s21
	v_lshlrev_b32_e32 v150, 24, v150
	s_delay_alu instid0(VALU_DEP_2) | instskip(SKIP_1) | instid1(VALU_DEP_3)
	v_lshlrev_b32_e32 v134, 20, v134
	v_lshl_add_u32 v151, v151, 23, 0x3c000000
	v_and_b32_e32 v150, 0x80000000, v150
	s_delay_alu instid0(VALU_DEP_1)
	v_or3_b32 v105, v134, v150, v151
.LBB225_265:                            ;   in Loop: Header=BB225_11 Depth=1
	s_or_b32 exec_lo, exec_lo, s20
.LBB225_266:                            ;   in Loop: Header=BB225_11 Depth=1
	s_delay_alu instid0(SALU_CYCLE_1)
	s_or_b32 exec_lo, exec_lo, s19
.LBB225_267:                            ;   in Loop: Header=BB225_11 Depth=1
	s_delay_alu instid0(SALU_CYCLE_1)
	s_or_b32 exec_lo, exec_lo, s3
	flat_load_u8 v150, v[148:149] offset:1024
	s_mov_b32 s3, exec_lo
	s_waitcnt vmcnt(0) lgkmcnt(0)
	v_cmpx_ne_u16_e64 0, v150
	s_cbranch_execz .LBB225_275
; %bb.268:                              ;   in Loop: Header=BB225_11 Depth=1
	v_bfrev_b32_e32 v104, 1
	s_mov_b32 s19, exec_lo
	v_cmpx_ne_u16_e64 0x80, v150
	s_cbranch_execz .LBB225_274
; %bb.269:                              ;   in Loop: Header=BB225_11 Depth=1
	v_and_b32_e32 v134, 0xffff, v150
	v_mov_b32_e32 v104, 0x7f800001
	s_mov_b32 s20, exec_lo
	s_delay_alu instid0(VALU_DEP_2) | instskip(NEXT) | instid1(VALU_DEP_1)
	v_and_b32_e32 v106, 0x7f, v134
	v_cmpx_ne_u32_e32 0x7f, v106
	s_cbranch_execz .LBB225_273
; %bb.270:                              ;   in Loop: Header=BB225_11 Depth=1
	v_and_b32_e32 v134, 7, v134
	v_lshrrev_b32_e32 v151, 3, v106
	s_mov_b32 s21, exec_lo
	v_cmpx_gt_u32_e32 8, v106
; %bb.271:                              ;   in Loop: Header=BB225_11 Depth=1
	s_delay_alu instid0(VALU_DEP_3) | instskip(NEXT) | instid1(VALU_DEP_1)
	v_clz_i32_u32_e32 v151, v134
	v_min_u32_e32 v151, 32, v151
	s_delay_alu instid0(VALU_DEP_1) | instskip(SKIP_1) | instid1(VALU_DEP_2)
	v_subrev_nc_u32_e32 v104, 28, v151
	v_sub_nc_u32_e32 v151, 29, v151
	v_lshlrev_b64 v[106:107], v104, v[134:135]
	s_delay_alu instid0(VALU_DEP_1)
	v_and_b32_e32 v134, 7, v106
; %bb.272:                              ;   in Loop: Header=BB225_11 Depth=1
	s_or_b32 exec_lo, exec_lo, s21
	v_lshlrev_b32_e32 v150, 24, v150
	s_delay_alu instid0(VALU_DEP_2) | instskip(SKIP_1) | instid1(VALU_DEP_3)
	v_lshlrev_b32_e32 v134, 20, v134
	v_lshl_add_u32 v151, v151, 23, 0x3c000000
	v_and_b32_e32 v150, 0x80000000, v150
	s_delay_alu instid0(VALU_DEP_1)
	v_or3_b32 v104, v134, v150, v151
.LBB225_273:                            ;   in Loop: Header=BB225_11 Depth=1
	s_or_b32 exec_lo, exec_lo, s20
.LBB225_274:                            ;   in Loop: Header=BB225_11 Depth=1
	s_delay_alu instid0(SALU_CYCLE_1)
	s_or_b32 exec_lo, exec_lo, s19
.LBB225_275:                            ;   in Loop: Header=BB225_11 Depth=1
	s_delay_alu instid0(SALU_CYCLE_1)
	s_or_b32 exec_lo, exec_lo, s3
	flat_load_u8 v150, v[148:149] offset:1028
	v_dual_mov_b32 v106, 0 :: v_dual_mov_b32 v107, 0
	s_mov_b32 s3, exec_lo
	s_waitcnt vmcnt(0) lgkmcnt(0)
	v_cmpx_ne_u16_e64 0, v150
	s_cbranch_execz .LBB225_283
; %bb.276:                              ;   in Loop: Header=BB225_11 Depth=1
	v_bfrev_b32_e32 v107, 1
	s_mov_b32 s19, exec_lo
	v_cmpx_ne_u16_e64 0x80, v150
	s_cbranch_execz .LBB225_282
; %bb.277:                              ;   in Loop: Header=BB225_11 Depth=1
	v_and_b32_e32 v134, 0xffff, v150
	v_mov_b32_e32 v107, 0x7f800001
	s_mov_b32 s20, exec_lo
	s_delay_alu instid0(VALU_DEP_2) | instskip(NEXT) | instid1(VALU_DEP_1)
	v_and_b32_e32 v108, 0x7f, v134
	v_cmpx_ne_u32_e32 0x7f, v108
	s_cbranch_execz .LBB225_281
; %bb.278:                              ;   in Loop: Header=BB225_11 Depth=1
	v_and_b32_e32 v134, 7, v134
	v_lshrrev_b32_e32 v151, 3, v108
	s_mov_b32 s21, exec_lo
	v_cmpx_gt_u32_e32 8, v108
; %bb.279:                              ;   in Loop: Header=BB225_11 Depth=1
	s_delay_alu instid0(VALU_DEP_3) | instskip(NEXT) | instid1(VALU_DEP_1)
	v_clz_i32_u32_e32 v151, v134
	v_min_u32_e32 v151, 32, v151
	s_delay_alu instid0(VALU_DEP_1) | instskip(SKIP_1) | instid1(VALU_DEP_2)
	v_subrev_nc_u32_e32 v107, 28, v151
	v_sub_nc_u32_e32 v151, 29, v151
	v_lshlrev_b64 v[107:108], v107, v[134:135]
	s_delay_alu instid0(VALU_DEP_1)
	v_and_b32_e32 v134, 7, v107
; %bb.280:                              ;   in Loop: Header=BB225_11 Depth=1
	s_or_b32 exec_lo, exec_lo, s21
	v_lshlrev_b32_e32 v150, 24, v150
	s_delay_alu instid0(VALU_DEP_2) | instskip(SKIP_1) | instid1(VALU_DEP_3)
	v_lshlrev_b32_e32 v134, 20, v134
	v_lshl_add_u32 v151, v151, 23, 0x3c000000
	v_and_b32_e32 v150, 0x80000000, v150
	s_delay_alu instid0(VALU_DEP_1)
	v_or3_b32 v107, v134, v150, v151
.LBB225_281:                            ;   in Loop: Header=BB225_11 Depth=1
	s_or_b32 exec_lo, exec_lo, s20
.LBB225_282:                            ;   in Loop: Header=BB225_11 Depth=1
	s_delay_alu instid0(SALU_CYCLE_1)
	s_or_b32 exec_lo, exec_lo, s19
.LBB225_283:                            ;   in Loop: Header=BB225_11 Depth=1
	s_delay_alu instid0(SALU_CYCLE_1) | instskip(SKIP_1) | instid1(VALU_DEP_1)
	s_or_b32 exec_lo, exec_lo, s3
	v_add_co_u32 v150, s2, 0x400, v148
	v_add_co_ci_u32_e64 v151, s2, 0, v149, s2
	s_mov_b32 s3, exec_lo
	flat_load_u8 v108, v[150:151] offset:8
	s_waitcnt vmcnt(0) lgkmcnt(0)
	v_cmpx_ne_u16_e32 0, v108
	s_cbranch_execz .LBB225_291
; %bb.284:                              ;   in Loop: Header=BB225_11 Depth=1
	v_bfrev_b32_e32 v106, 1
	s_mov_b32 s19, exec_lo
	v_cmpx_ne_u16_e32 0x80, v108
	s_cbranch_execz .LBB225_290
; %bb.285:                              ;   in Loop: Header=BB225_11 Depth=1
	v_and_b32_e32 v134, 0xffff, v108
	v_mov_b32_e32 v106, 0x7f800001
	s_mov_b32 s20, exec_lo
	s_delay_alu instid0(VALU_DEP_2) | instskip(NEXT) | instid1(VALU_DEP_1)
	v_and_b32_e32 v109, 0x7f, v134
	v_cmpx_ne_u32_e32 0x7f, v109
	s_cbranch_execz .LBB225_289
; %bb.286:                              ;   in Loop: Header=BB225_11 Depth=1
	v_and_b32_e32 v134, 7, v134
	v_lshrrev_b32_e32 v106, 3, v109
	s_mov_b32 s21, exec_lo
	v_cmpx_gt_u32_e32 8, v109
; %bb.287:                              ;   in Loop: Header=BB225_11 Depth=1
	s_delay_alu instid0(VALU_DEP_3) | instskip(NEXT) | instid1(VALU_DEP_1)
	v_clz_i32_u32_e32 v106, v134
	v_min_u32_e32 v106, 32, v106
	s_delay_alu instid0(VALU_DEP_1) | instskip(SKIP_1) | instid1(VALU_DEP_2)
	v_subrev_nc_u32_e32 v109, 28, v106
	v_sub_nc_u32_e32 v106, 29, v106
	v_lshlrev_b64 v[109:110], v109, v[134:135]
	s_delay_alu instid0(VALU_DEP_1)
	v_and_b32_e32 v134, 7, v109
; %bb.288:                              ;   in Loop: Header=BB225_11 Depth=1
	s_or_b32 exec_lo, exec_lo, s21
	v_lshlrev_b32_e32 v108, 24, v108
	s_delay_alu instid0(VALU_DEP_2) | instskip(SKIP_1) | instid1(VALU_DEP_3)
	v_lshlrev_b32_e32 v134, 20, v134
	v_lshl_add_u32 v106, v106, 23, 0x3c000000
	v_and_b32_e32 v108, 0x80000000, v108
	s_delay_alu instid0(VALU_DEP_1)
	v_or3_b32 v106, v134, v108, v106
.LBB225_289:                            ;   in Loop: Header=BB225_11 Depth=1
	s_or_b32 exec_lo, exec_lo, s20
.LBB225_290:                            ;   in Loop: Header=BB225_11 Depth=1
	s_delay_alu instid0(SALU_CYCLE_1)
	s_or_b32 exec_lo, exec_lo, s19
.LBB225_291:                            ;   in Loop: Header=BB225_11 Depth=1
	s_delay_alu instid0(SALU_CYCLE_1)
	s_or_b32 exec_lo, exec_lo, s3
	flat_load_u8 v150, v[150:151] offset:12
	v_dual_mov_b32 v108, 0 :: v_dual_mov_b32 v109, 0
	s_mov_b32 s3, exec_lo
	s_waitcnt vmcnt(0) lgkmcnt(0)
	v_cmpx_ne_u16_e64 0, v150
	s_cbranch_execz .LBB225_299
; %bb.292:                              ;   in Loop: Header=BB225_11 Depth=1
	v_bfrev_b32_e32 v109, 1
	s_mov_b32 s19, exec_lo
	v_cmpx_ne_u16_e64 0x80, v150
	s_cbranch_execz .LBB225_298
; %bb.293:                              ;   in Loop: Header=BB225_11 Depth=1
	v_and_b32_e32 v134, 0xffff, v150
	v_mov_b32_e32 v109, 0x7f800001
	s_mov_b32 s20, exec_lo
	s_delay_alu instid0(VALU_DEP_2) | instskip(NEXT) | instid1(VALU_DEP_1)
	v_and_b32_e32 v110, 0x7f, v134
	v_cmpx_ne_u32_e32 0x7f, v110
	s_cbranch_execz .LBB225_297
; %bb.294:                              ;   in Loop: Header=BB225_11 Depth=1
	v_and_b32_e32 v134, 7, v134
	v_lshrrev_b32_e32 v151, 3, v110
	s_mov_b32 s21, exec_lo
	v_cmpx_gt_u32_e32 8, v110
; %bb.295:                              ;   in Loop: Header=BB225_11 Depth=1
	s_delay_alu instid0(VALU_DEP_3) | instskip(NEXT) | instid1(VALU_DEP_1)
	v_clz_i32_u32_e32 v151, v134
	v_min_u32_e32 v151, 32, v151
	s_delay_alu instid0(VALU_DEP_1) | instskip(SKIP_1) | instid1(VALU_DEP_2)
	v_subrev_nc_u32_e32 v109, 28, v151
	v_sub_nc_u32_e32 v151, 29, v151
	v_lshlrev_b64 v[109:110], v109, v[134:135]
	s_delay_alu instid0(VALU_DEP_1)
	v_and_b32_e32 v134, 7, v109
; %bb.296:                              ;   in Loop: Header=BB225_11 Depth=1
	s_or_b32 exec_lo, exec_lo, s21
	v_lshlrev_b32_e32 v150, 24, v150
	s_delay_alu instid0(VALU_DEP_2) | instskip(SKIP_1) | instid1(VALU_DEP_3)
	v_lshlrev_b32_e32 v134, 20, v134
	v_lshl_add_u32 v151, v151, 23, 0x3c000000
	v_and_b32_e32 v150, 0x80000000, v150
	s_delay_alu instid0(VALU_DEP_1)
	v_or3_b32 v109, v134, v150, v151
.LBB225_297:                            ;   in Loop: Header=BB225_11 Depth=1
	s_or_b32 exec_lo, exec_lo, s20
.LBB225_298:                            ;   in Loop: Header=BB225_11 Depth=1
	s_delay_alu instid0(SALU_CYCLE_1)
	s_or_b32 exec_lo, exec_lo, s19
.LBB225_299:                            ;   in Loop: Header=BB225_11 Depth=1
	s_delay_alu instid0(SALU_CYCLE_1)
	s_or_b32 exec_lo, exec_lo, s3
	flat_load_u8 v150, v[148:149] offset:1152
	s_mov_b32 s3, exec_lo
	s_waitcnt vmcnt(0) lgkmcnt(0)
	v_cmpx_ne_u16_e64 0, v150
	s_cbranch_execz .LBB225_307
; %bb.300:                              ;   in Loop: Header=BB225_11 Depth=1
	v_bfrev_b32_e32 v108, 1
	s_mov_b32 s19, exec_lo
	v_cmpx_ne_u16_e64 0x80, v150
	s_cbranch_execz .LBB225_306
; %bb.301:                              ;   in Loop: Header=BB225_11 Depth=1
	v_and_b32_e32 v134, 0xffff, v150
	v_mov_b32_e32 v108, 0x7f800001
	s_mov_b32 s20, exec_lo
	s_delay_alu instid0(VALU_DEP_2) | instskip(NEXT) | instid1(VALU_DEP_1)
	v_and_b32_e32 v110, 0x7f, v134
	v_cmpx_ne_u32_e32 0x7f, v110
	s_cbranch_execz .LBB225_305
; %bb.302:                              ;   in Loop: Header=BB225_11 Depth=1
	v_and_b32_e32 v134, 7, v134
	v_lshrrev_b32_e32 v151, 3, v110
	s_mov_b32 s21, exec_lo
	v_cmpx_gt_u32_e32 8, v110
; %bb.303:                              ;   in Loop: Header=BB225_11 Depth=1
	s_delay_alu instid0(VALU_DEP_3) | instskip(NEXT) | instid1(VALU_DEP_1)
	v_clz_i32_u32_e32 v151, v134
	v_min_u32_e32 v151, 32, v151
	s_delay_alu instid0(VALU_DEP_1) | instskip(SKIP_1) | instid1(VALU_DEP_2)
	v_subrev_nc_u32_e32 v108, 28, v151
	v_sub_nc_u32_e32 v151, 29, v151
	v_lshlrev_b64 v[110:111], v108, v[134:135]
	s_delay_alu instid0(VALU_DEP_1)
	v_and_b32_e32 v134, 7, v110
; %bb.304:                              ;   in Loop: Header=BB225_11 Depth=1
	s_or_b32 exec_lo, exec_lo, s21
	v_lshlrev_b32_e32 v150, 24, v150
	s_delay_alu instid0(VALU_DEP_2) | instskip(SKIP_1) | instid1(VALU_DEP_3)
	v_lshlrev_b32_e32 v134, 20, v134
	v_lshl_add_u32 v151, v151, 23, 0x3c000000
	v_and_b32_e32 v150, 0x80000000, v150
	s_delay_alu instid0(VALU_DEP_1)
	v_or3_b32 v108, v134, v150, v151
.LBB225_305:                            ;   in Loop: Header=BB225_11 Depth=1
	s_or_b32 exec_lo, exec_lo, s20
.LBB225_306:                            ;   in Loop: Header=BB225_11 Depth=1
	s_delay_alu instid0(SALU_CYCLE_1)
	s_or_b32 exec_lo, exec_lo, s19
.LBB225_307:                            ;   in Loop: Header=BB225_11 Depth=1
	s_delay_alu instid0(SALU_CYCLE_1)
	s_or_b32 exec_lo, exec_lo, s3
	flat_load_u8 v150, v[148:149] offset:1156
	v_dual_mov_b32 v110, 0 :: v_dual_mov_b32 v111, 0
	s_mov_b32 s3, exec_lo
	s_waitcnt vmcnt(0) lgkmcnt(0)
	v_cmpx_ne_u16_e64 0, v150
	s_cbranch_execz .LBB225_315
; %bb.308:                              ;   in Loop: Header=BB225_11 Depth=1
	v_bfrev_b32_e32 v111, 1
	s_mov_b32 s19, exec_lo
	v_cmpx_ne_u16_e64 0x80, v150
	s_cbranch_execz .LBB225_314
; %bb.309:                              ;   in Loop: Header=BB225_11 Depth=1
	v_and_b32_e32 v134, 0xffff, v150
	v_mov_b32_e32 v111, 0x7f800001
	s_mov_b32 s20, exec_lo
	s_delay_alu instid0(VALU_DEP_2) | instskip(NEXT) | instid1(VALU_DEP_1)
	v_and_b32_e32 v120, 0x7f, v134
	v_cmpx_ne_u32_e32 0x7f, v120
	s_cbranch_execz .LBB225_313
; %bb.310:                              ;   in Loop: Header=BB225_11 Depth=1
	v_and_b32_e32 v134, 7, v134
	v_lshrrev_b32_e32 v151, 3, v120
	s_mov_b32 s21, exec_lo
	v_cmpx_gt_u32_e32 8, v120
; %bb.311:                              ;   in Loop: Header=BB225_11 Depth=1
	s_delay_alu instid0(VALU_DEP_3) | instskip(NEXT) | instid1(VALU_DEP_1)
	v_clz_i32_u32_e32 v151, v134
	v_min_u32_e32 v151, 32, v151
	s_delay_alu instid0(VALU_DEP_1) | instskip(SKIP_1) | instid1(VALU_DEP_2)
	v_subrev_nc_u32_e32 v111, 28, v151
	v_sub_nc_u32_e32 v151, 29, v151
	v_lshlrev_b64 v[120:121], v111, v[134:135]
	s_delay_alu instid0(VALU_DEP_1)
	v_and_b32_e32 v134, 7, v120
; %bb.312:                              ;   in Loop: Header=BB225_11 Depth=1
	s_or_b32 exec_lo, exec_lo, s21
	v_lshlrev_b32_e32 v150, 24, v150
	s_delay_alu instid0(VALU_DEP_2) | instskip(SKIP_1) | instid1(VALU_DEP_3)
	v_lshlrev_b32_e32 v134, 20, v134
	v_lshl_add_u32 v151, v151, 23, 0x3c000000
	v_and_b32_e32 v150, 0x80000000, v150
	s_delay_alu instid0(VALU_DEP_1)
	v_or3_b32 v111, v134, v150, v151
.LBB225_313:                            ;   in Loop: Header=BB225_11 Depth=1
	s_or_b32 exec_lo, exec_lo, s20
.LBB225_314:                            ;   in Loop: Header=BB225_11 Depth=1
	s_delay_alu instid0(SALU_CYCLE_1)
	s_or_b32 exec_lo, exec_lo, s19
.LBB225_315:                            ;   in Loop: Header=BB225_11 Depth=1
	s_delay_alu instid0(SALU_CYCLE_1) | instskip(SKIP_1) | instid1(VALU_DEP_1)
	s_or_b32 exec_lo, exec_lo, s3
	v_add_co_u32 v150, s2, 0x480, v148
	v_add_co_ci_u32_e64 v151, s2, 0, v149, s2
	s_mov_b32 s3, exec_lo
	flat_load_u8 v120, v[150:151] offset:8
	s_waitcnt vmcnt(0) lgkmcnt(0)
	v_cmpx_ne_u16_e32 0, v120
	s_cbranch_execz .LBB225_323
; %bb.316:                              ;   in Loop: Header=BB225_11 Depth=1
	v_bfrev_b32_e32 v110, 1
	s_mov_b32 s19, exec_lo
	v_cmpx_ne_u16_e32 0x80, v120
	s_cbranch_execz .LBB225_322
; %bb.317:                              ;   in Loop: Header=BB225_11 Depth=1
	v_and_b32_e32 v134, 0xffff, v120
	v_mov_b32_e32 v110, 0x7f800001
	s_mov_b32 s20, exec_lo
	s_delay_alu instid0(VALU_DEP_2) | instskip(NEXT) | instid1(VALU_DEP_1)
	v_and_b32_e32 v121, 0x7f, v134
	v_cmpx_ne_u32_e32 0x7f, v121
	s_cbranch_execz .LBB225_321
; %bb.318:                              ;   in Loop: Header=BB225_11 Depth=1
	v_and_b32_e32 v134, 7, v134
	v_lshrrev_b32_e32 v110, 3, v121
	s_mov_b32 s21, exec_lo
	v_cmpx_gt_u32_e32 8, v121
; %bb.319:                              ;   in Loop: Header=BB225_11 Depth=1
	s_delay_alu instid0(VALU_DEP_3) | instskip(NEXT) | instid1(VALU_DEP_1)
	v_clz_i32_u32_e32 v110, v134
	v_min_u32_e32 v110, 32, v110
	s_delay_alu instid0(VALU_DEP_1) | instskip(SKIP_1) | instid1(VALU_DEP_2)
	v_subrev_nc_u32_e32 v121, 28, v110
	v_sub_nc_u32_e32 v110, 29, v110
	v_lshlrev_b64 v[121:122], v121, v[134:135]
	s_delay_alu instid0(VALU_DEP_1)
	v_and_b32_e32 v134, 7, v121
; %bb.320:                              ;   in Loop: Header=BB225_11 Depth=1
	s_or_b32 exec_lo, exec_lo, s21
	v_lshlrev_b32_e32 v120, 24, v120
	s_delay_alu instid0(VALU_DEP_2) | instskip(SKIP_1) | instid1(VALU_DEP_3)
	v_lshlrev_b32_e32 v134, 20, v134
	v_lshl_add_u32 v110, v110, 23, 0x3c000000
	v_and_b32_e32 v120, 0x80000000, v120
	s_delay_alu instid0(VALU_DEP_1)
	v_or3_b32 v110, v134, v120, v110
.LBB225_321:                            ;   in Loop: Header=BB225_11 Depth=1
	s_or_b32 exec_lo, exec_lo, s20
.LBB225_322:                            ;   in Loop: Header=BB225_11 Depth=1
	s_delay_alu instid0(SALU_CYCLE_1)
	s_or_b32 exec_lo, exec_lo, s19
.LBB225_323:                            ;   in Loop: Header=BB225_11 Depth=1
	s_delay_alu instid0(SALU_CYCLE_1)
	s_or_b32 exec_lo, exec_lo, s3
	flat_load_u8 v150, v[150:151] offset:12
	v_dual_mov_b32 v120, 0 :: v_dual_mov_b32 v121, 0
	s_mov_b32 s3, exec_lo
	s_waitcnt vmcnt(0) lgkmcnt(0)
	v_cmpx_ne_u16_e64 0, v150
	s_cbranch_execz .LBB225_331
; %bb.324:                              ;   in Loop: Header=BB225_11 Depth=1
	v_bfrev_b32_e32 v121, 1
	s_mov_b32 s19, exec_lo
	v_cmpx_ne_u16_e64 0x80, v150
	s_cbranch_execz .LBB225_330
; %bb.325:                              ;   in Loop: Header=BB225_11 Depth=1
	v_and_b32_e32 v134, 0xffff, v150
	v_mov_b32_e32 v121, 0x7f800001
	s_mov_b32 s20, exec_lo
	s_delay_alu instid0(VALU_DEP_2) | instskip(NEXT) | instid1(VALU_DEP_1)
	v_and_b32_e32 v122, 0x7f, v134
	v_cmpx_ne_u32_e32 0x7f, v122
	s_cbranch_execz .LBB225_329
; %bb.326:                              ;   in Loop: Header=BB225_11 Depth=1
	v_and_b32_e32 v134, 7, v134
	v_lshrrev_b32_e32 v151, 3, v122
	s_mov_b32 s21, exec_lo
	v_cmpx_gt_u32_e32 8, v122
; %bb.327:                              ;   in Loop: Header=BB225_11 Depth=1
	s_delay_alu instid0(VALU_DEP_3) | instskip(NEXT) | instid1(VALU_DEP_1)
	v_clz_i32_u32_e32 v151, v134
	v_min_u32_e32 v151, 32, v151
	s_delay_alu instid0(VALU_DEP_1) | instskip(SKIP_1) | instid1(VALU_DEP_2)
	v_subrev_nc_u32_e32 v121, 28, v151
	v_sub_nc_u32_e32 v151, 29, v151
	v_lshlrev_b64 v[121:122], v121, v[134:135]
	s_delay_alu instid0(VALU_DEP_1)
	v_and_b32_e32 v134, 7, v121
; %bb.328:                              ;   in Loop: Header=BB225_11 Depth=1
	s_or_b32 exec_lo, exec_lo, s21
	v_lshlrev_b32_e32 v150, 24, v150
	s_delay_alu instid0(VALU_DEP_2) | instskip(SKIP_1) | instid1(VALU_DEP_3)
	v_lshlrev_b32_e32 v134, 20, v134
	v_lshl_add_u32 v151, v151, 23, 0x3c000000
	v_and_b32_e32 v150, 0x80000000, v150
	s_delay_alu instid0(VALU_DEP_1)
	v_or3_b32 v121, v134, v150, v151
.LBB225_329:                            ;   in Loop: Header=BB225_11 Depth=1
	s_or_b32 exec_lo, exec_lo, s20
.LBB225_330:                            ;   in Loop: Header=BB225_11 Depth=1
	s_delay_alu instid0(SALU_CYCLE_1)
	s_or_b32 exec_lo, exec_lo, s19
.LBB225_331:                            ;   in Loop: Header=BB225_11 Depth=1
	s_delay_alu instid0(SALU_CYCLE_1)
	s_or_b32 exec_lo, exec_lo, s3
	flat_load_u8 v150, v[148:149] offset:1280
	s_mov_b32 s3, exec_lo
	s_waitcnt vmcnt(0) lgkmcnt(0)
	v_cmpx_ne_u16_e64 0, v150
	s_cbranch_execz .LBB225_339
; %bb.332:                              ;   in Loop: Header=BB225_11 Depth=1
	v_bfrev_b32_e32 v120, 1
	s_mov_b32 s19, exec_lo
	v_cmpx_ne_u16_e64 0x80, v150
	s_cbranch_execz .LBB225_338
; %bb.333:                              ;   in Loop: Header=BB225_11 Depth=1
	v_and_b32_e32 v134, 0xffff, v150
	v_mov_b32_e32 v120, 0x7f800001
	s_mov_b32 s20, exec_lo
	s_delay_alu instid0(VALU_DEP_2) | instskip(NEXT) | instid1(VALU_DEP_1)
	v_and_b32_e32 v122, 0x7f, v134
	v_cmpx_ne_u32_e32 0x7f, v122
	s_cbranch_execz .LBB225_337
; %bb.334:                              ;   in Loop: Header=BB225_11 Depth=1
	v_and_b32_e32 v134, 7, v134
	v_lshrrev_b32_e32 v151, 3, v122
	s_mov_b32 s21, exec_lo
	v_cmpx_gt_u32_e32 8, v122
; %bb.335:                              ;   in Loop: Header=BB225_11 Depth=1
	s_delay_alu instid0(VALU_DEP_3) | instskip(NEXT) | instid1(VALU_DEP_1)
	v_clz_i32_u32_e32 v151, v134
	v_min_u32_e32 v151, 32, v151
	s_delay_alu instid0(VALU_DEP_1) | instskip(SKIP_1) | instid1(VALU_DEP_2)
	v_subrev_nc_u32_e32 v120, 28, v151
	v_sub_nc_u32_e32 v151, 29, v151
	v_lshlrev_b64 v[122:123], v120, v[134:135]
	s_delay_alu instid0(VALU_DEP_1)
	v_and_b32_e32 v134, 7, v122
; %bb.336:                              ;   in Loop: Header=BB225_11 Depth=1
	s_or_b32 exec_lo, exec_lo, s21
	v_lshlrev_b32_e32 v150, 24, v150
	s_delay_alu instid0(VALU_DEP_2) | instskip(SKIP_1) | instid1(VALU_DEP_3)
	v_lshlrev_b32_e32 v134, 20, v134
	v_lshl_add_u32 v151, v151, 23, 0x3c000000
	v_and_b32_e32 v150, 0x80000000, v150
	s_delay_alu instid0(VALU_DEP_1)
	v_or3_b32 v120, v134, v150, v151
.LBB225_337:                            ;   in Loop: Header=BB225_11 Depth=1
	s_or_b32 exec_lo, exec_lo, s20
.LBB225_338:                            ;   in Loop: Header=BB225_11 Depth=1
	s_delay_alu instid0(SALU_CYCLE_1)
	s_or_b32 exec_lo, exec_lo, s19
.LBB225_339:                            ;   in Loop: Header=BB225_11 Depth=1
	s_delay_alu instid0(SALU_CYCLE_1)
	s_or_b32 exec_lo, exec_lo, s3
	flat_load_u8 v150, v[148:149] offset:1284
	v_dual_mov_b32 v122, 0 :: v_dual_mov_b32 v123, 0
	s_mov_b32 s3, exec_lo
	s_waitcnt vmcnt(0) lgkmcnt(0)
	v_cmpx_ne_u16_e64 0, v150
	s_cbranch_execz .LBB225_347
; %bb.340:                              ;   in Loop: Header=BB225_11 Depth=1
	v_bfrev_b32_e32 v123, 1
	s_mov_b32 s19, exec_lo
	v_cmpx_ne_u16_e64 0x80, v150
	s_cbranch_execz .LBB225_346
; %bb.341:                              ;   in Loop: Header=BB225_11 Depth=1
	v_and_b32_e32 v134, 0xffff, v150
	v_mov_b32_e32 v123, 0x7f800001
	s_mov_b32 s20, exec_lo
	s_delay_alu instid0(VALU_DEP_2) | instskip(NEXT) | instid1(VALU_DEP_1)
	v_and_b32_e32 v124, 0x7f, v134
	v_cmpx_ne_u32_e32 0x7f, v124
	s_cbranch_execz .LBB225_345
; %bb.342:                              ;   in Loop: Header=BB225_11 Depth=1
	v_and_b32_e32 v134, 7, v134
	v_lshrrev_b32_e32 v151, 3, v124
	s_mov_b32 s21, exec_lo
	v_cmpx_gt_u32_e32 8, v124
; %bb.343:                              ;   in Loop: Header=BB225_11 Depth=1
	s_delay_alu instid0(VALU_DEP_3) | instskip(NEXT) | instid1(VALU_DEP_1)
	v_clz_i32_u32_e32 v151, v134
	v_min_u32_e32 v151, 32, v151
	s_delay_alu instid0(VALU_DEP_1) | instskip(SKIP_1) | instid1(VALU_DEP_2)
	v_subrev_nc_u32_e32 v123, 28, v151
	v_sub_nc_u32_e32 v151, 29, v151
	v_lshlrev_b64 v[123:124], v123, v[134:135]
	s_delay_alu instid0(VALU_DEP_1)
	v_and_b32_e32 v134, 7, v123
; %bb.344:                              ;   in Loop: Header=BB225_11 Depth=1
	s_or_b32 exec_lo, exec_lo, s21
	v_lshlrev_b32_e32 v150, 24, v150
	s_delay_alu instid0(VALU_DEP_2) | instskip(SKIP_1) | instid1(VALU_DEP_3)
	v_lshlrev_b32_e32 v134, 20, v134
	v_lshl_add_u32 v151, v151, 23, 0x3c000000
	v_and_b32_e32 v150, 0x80000000, v150
	s_delay_alu instid0(VALU_DEP_1)
	v_or3_b32 v123, v134, v150, v151
.LBB225_345:                            ;   in Loop: Header=BB225_11 Depth=1
	s_or_b32 exec_lo, exec_lo, s20
.LBB225_346:                            ;   in Loop: Header=BB225_11 Depth=1
	s_delay_alu instid0(SALU_CYCLE_1)
	s_or_b32 exec_lo, exec_lo, s19
.LBB225_347:                            ;   in Loop: Header=BB225_11 Depth=1
	s_delay_alu instid0(SALU_CYCLE_1) | instskip(SKIP_1) | instid1(VALU_DEP_1)
	s_or_b32 exec_lo, exec_lo, s3
	v_add_co_u32 v150, s2, 0x500, v148
	v_add_co_ci_u32_e64 v151, s2, 0, v149, s2
	s_mov_b32 s3, exec_lo
	flat_load_u8 v124, v[150:151] offset:8
	s_waitcnt vmcnt(0) lgkmcnt(0)
	v_cmpx_ne_u16_e32 0, v124
	s_cbranch_execz .LBB225_355
; %bb.348:                              ;   in Loop: Header=BB225_11 Depth=1
	v_bfrev_b32_e32 v122, 1
	s_mov_b32 s19, exec_lo
	v_cmpx_ne_u16_e32 0x80, v124
	s_cbranch_execz .LBB225_354
; %bb.349:                              ;   in Loop: Header=BB225_11 Depth=1
	v_and_b32_e32 v134, 0xffff, v124
	v_mov_b32_e32 v122, 0x7f800001
	s_mov_b32 s20, exec_lo
	s_delay_alu instid0(VALU_DEP_2) | instskip(NEXT) | instid1(VALU_DEP_1)
	v_and_b32_e32 v125, 0x7f, v134
	v_cmpx_ne_u32_e32 0x7f, v125
	s_cbranch_execz .LBB225_353
; %bb.350:                              ;   in Loop: Header=BB225_11 Depth=1
	v_and_b32_e32 v134, 7, v134
	v_lshrrev_b32_e32 v122, 3, v125
	s_mov_b32 s21, exec_lo
	v_cmpx_gt_u32_e32 8, v125
; %bb.351:                              ;   in Loop: Header=BB225_11 Depth=1
	s_delay_alu instid0(VALU_DEP_3) | instskip(NEXT) | instid1(VALU_DEP_1)
	v_clz_i32_u32_e32 v122, v134
	v_min_u32_e32 v122, 32, v122
	s_delay_alu instid0(VALU_DEP_1) | instskip(SKIP_1) | instid1(VALU_DEP_2)
	v_subrev_nc_u32_e32 v125, 28, v122
	v_sub_nc_u32_e32 v122, 29, v122
	v_lshlrev_b64 v[125:126], v125, v[134:135]
	s_delay_alu instid0(VALU_DEP_1)
	v_and_b32_e32 v134, 7, v125
; %bb.352:                              ;   in Loop: Header=BB225_11 Depth=1
	s_or_b32 exec_lo, exec_lo, s21
	v_lshlrev_b32_e32 v124, 24, v124
	s_delay_alu instid0(VALU_DEP_2) | instskip(SKIP_1) | instid1(VALU_DEP_3)
	v_lshlrev_b32_e32 v134, 20, v134
	v_lshl_add_u32 v122, v122, 23, 0x3c000000
	v_and_b32_e32 v124, 0x80000000, v124
	s_delay_alu instid0(VALU_DEP_1)
	v_or3_b32 v122, v134, v124, v122
.LBB225_353:                            ;   in Loop: Header=BB225_11 Depth=1
	s_or_b32 exec_lo, exec_lo, s20
.LBB225_354:                            ;   in Loop: Header=BB225_11 Depth=1
	s_delay_alu instid0(SALU_CYCLE_1)
	s_or_b32 exec_lo, exec_lo, s19
.LBB225_355:                            ;   in Loop: Header=BB225_11 Depth=1
	s_delay_alu instid0(SALU_CYCLE_1)
	s_or_b32 exec_lo, exec_lo, s3
	flat_load_u8 v150, v[150:151] offset:12
	v_dual_mov_b32 v124, 0 :: v_dual_mov_b32 v125, 0
	s_mov_b32 s3, exec_lo
	s_waitcnt vmcnt(0) lgkmcnt(0)
	v_cmpx_ne_u16_e64 0, v150
	s_cbranch_execz .LBB225_363
; %bb.356:                              ;   in Loop: Header=BB225_11 Depth=1
	v_bfrev_b32_e32 v125, 1
	s_mov_b32 s19, exec_lo
	v_cmpx_ne_u16_e64 0x80, v150
	s_cbranch_execz .LBB225_362
; %bb.357:                              ;   in Loop: Header=BB225_11 Depth=1
	v_and_b32_e32 v134, 0xffff, v150
	v_mov_b32_e32 v125, 0x7f800001
	s_mov_b32 s20, exec_lo
	s_delay_alu instid0(VALU_DEP_2) | instskip(NEXT) | instid1(VALU_DEP_1)
	v_and_b32_e32 v126, 0x7f, v134
	v_cmpx_ne_u32_e32 0x7f, v126
	s_cbranch_execz .LBB225_361
; %bb.358:                              ;   in Loop: Header=BB225_11 Depth=1
	v_and_b32_e32 v134, 7, v134
	v_lshrrev_b32_e32 v151, 3, v126
	s_mov_b32 s21, exec_lo
	v_cmpx_gt_u32_e32 8, v126
; %bb.359:                              ;   in Loop: Header=BB225_11 Depth=1
	s_delay_alu instid0(VALU_DEP_3) | instskip(NEXT) | instid1(VALU_DEP_1)
	v_clz_i32_u32_e32 v151, v134
	v_min_u32_e32 v151, 32, v151
	s_delay_alu instid0(VALU_DEP_1) | instskip(SKIP_1) | instid1(VALU_DEP_2)
	v_subrev_nc_u32_e32 v125, 28, v151
	v_sub_nc_u32_e32 v151, 29, v151
	v_lshlrev_b64 v[125:126], v125, v[134:135]
	s_delay_alu instid0(VALU_DEP_1)
	v_and_b32_e32 v134, 7, v125
; %bb.360:                              ;   in Loop: Header=BB225_11 Depth=1
	s_or_b32 exec_lo, exec_lo, s21
	v_lshlrev_b32_e32 v150, 24, v150
	s_delay_alu instid0(VALU_DEP_2) | instskip(SKIP_1) | instid1(VALU_DEP_3)
	v_lshlrev_b32_e32 v134, 20, v134
	v_lshl_add_u32 v151, v151, 23, 0x3c000000
	v_and_b32_e32 v150, 0x80000000, v150
	s_delay_alu instid0(VALU_DEP_1)
	v_or3_b32 v125, v134, v150, v151
.LBB225_361:                            ;   in Loop: Header=BB225_11 Depth=1
	s_or_b32 exec_lo, exec_lo, s20
.LBB225_362:                            ;   in Loop: Header=BB225_11 Depth=1
	s_delay_alu instid0(SALU_CYCLE_1)
	s_or_b32 exec_lo, exec_lo, s19
.LBB225_363:                            ;   in Loop: Header=BB225_11 Depth=1
	s_delay_alu instid0(SALU_CYCLE_1)
	s_or_b32 exec_lo, exec_lo, s3
	flat_load_u8 v150, v[148:149] offset:1408
	s_mov_b32 s3, exec_lo
	s_waitcnt vmcnt(0) lgkmcnt(0)
	v_cmpx_ne_u16_e64 0, v150
	s_cbranch_execz .LBB225_371
; %bb.364:                              ;   in Loop: Header=BB225_11 Depth=1
	v_bfrev_b32_e32 v124, 1
	s_mov_b32 s19, exec_lo
	v_cmpx_ne_u16_e64 0x80, v150
	s_cbranch_execz .LBB225_370
; %bb.365:                              ;   in Loop: Header=BB225_11 Depth=1
	v_and_b32_e32 v134, 0xffff, v150
	v_mov_b32_e32 v124, 0x7f800001
	s_mov_b32 s20, exec_lo
	s_delay_alu instid0(VALU_DEP_2) | instskip(NEXT) | instid1(VALU_DEP_1)
	v_and_b32_e32 v126, 0x7f, v134
	v_cmpx_ne_u32_e32 0x7f, v126
	s_cbranch_execz .LBB225_369
; %bb.366:                              ;   in Loop: Header=BB225_11 Depth=1
	v_and_b32_e32 v134, 7, v134
	v_lshrrev_b32_e32 v151, 3, v126
	s_mov_b32 s21, exec_lo
	v_cmpx_gt_u32_e32 8, v126
; %bb.367:                              ;   in Loop: Header=BB225_11 Depth=1
	s_delay_alu instid0(VALU_DEP_3) | instskip(NEXT) | instid1(VALU_DEP_1)
	v_clz_i32_u32_e32 v151, v134
	v_min_u32_e32 v151, 32, v151
	s_delay_alu instid0(VALU_DEP_1) | instskip(SKIP_1) | instid1(VALU_DEP_2)
	v_subrev_nc_u32_e32 v124, 28, v151
	v_sub_nc_u32_e32 v151, 29, v151
	v_lshlrev_b64 v[126:127], v124, v[134:135]
	s_delay_alu instid0(VALU_DEP_1)
	v_and_b32_e32 v134, 7, v126
; %bb.368:                              ;   in Loop: Header=BB225_11 Depth=1
	s_or_b32 exec_lo, exec_lo, s21
	v_lshlrev_b32_e32 v150, 24, v150
	s_delay_alu instid0(VALU_DEP_2) | instskip(SKIP_1) | instid1(VALU_DEP_3)
	v_lshlrev_b32_e32 v134, 20, v134
	v_lshl_add_u32 v151, v151, 23, 0x3c000000
	v_and_b32_e32 v150, 0x80000000, v150
	s_delay_alu instid0(VALU_DEP_1)
	v_or3_b32 v124, v134, v150, v151
.LBB225_369:                            ;   in Loop: Header=BB225_11 Depth=1
	s_or_b32 exec_lo, exec_lo, s20
.LBB225_370:                            ;   in Loop: Header=BB225_11 Depth=1
	s_delay_alu instid0(SALU_CYCLE_1)
	s_or_b32 exec_lo, exec_lo, s19
.LBB225_371:                            ;   in Loop: Header=BB225_11 Depth=1
	s_delay_alu instid0(SALU_CYCLE_1)
	s_or_b32 exec_lo, exec_lo, s3
	flat_load_u8 v150, v[148:149] offset:1412
	v_dual_mov_b32 v126, 0 :: v_dual_mov_b32 v127, 0
	s_mov_b32 s3, exec_lo
	s_waitcnt vmcnt(0) lgkmcnt(0)
	v_cmpx_ne_u16_e64 0, v150
	s_cbranch_execz .LBB225_379
; %bb.372:                              ;   in Loop: Header=BB225_11 Depth=1
	v_bfrev_b32_e32 v127, 1
	s_mov_b32 s19, exec_lo
	v_cmpx_ne_u16_e64 0x80, v150
	s_cbranch_execz .LBB225_378
; %bb.373:                              ;   in Loop: Header=BB225_11 Depth=1
	v_and_b32_e32 v134, 0xffff, v150
	v_mov_b32_e32 v127, 0x7f800001
	s_mov_b32 s20, exec_lo
	s_delay_alu instid0(VALU_DEP_2) | instskip(NEXT) | instid1(VALU_DEP_1)
	v_and_b32_e32 v136, 0x7f, v134
	v_cmpx_ne_u32_e32 0x7f, v136
	s_cbranch_execz .LBB225_377
; %bb.374:                              ;   in Loop: Header=BB225_11 Depth=1
	v_and_b32_e32 v134, 7, v134
	v_lshrrev_b32_e32 v151, 3, v136
	s_mov_b32 s21, exec_lo
	v_cmpx_gt_u32_e32 8, v136
; %bb.375:                              ;   in Loop: Header=BB225_11 Depth=1
	s_delay_alu instid0(VALU_DEP_3) | instskip(NEXT) | instid1(VALU_DEP_1)
	v_clz_i32_u32_e32 v151, v134
	v_min_u32_e32 v151, 32, v151
	s_delay_alu instid0(VALU_DEP_1) | instskip(SKIP_1) | instid1(VALU_DEP_2)
	v_subrev_nc_u32_e32 v127, 28, v151
	v_sub_nc_u32_e32 v151, 29, v151
	v_lshlrev_b64 v[136:137], v127, v[134:135]
	s_delay_alu instid0(VALU_DEP_1)
	v_and_b32_e32 v134, 7, v136
; %bb.376:                              ;   in Loop: Header=BB225_11 Depth=1
	s_or_b32 exec_lo, exec_lo, s21
	v_lshlrev_b32_e32 v150, 24, v150
	s_delay_alu instid0(VALU_DEP_2) | instskip(SKIP_1) | instid1(VALU_DEP_3)
	v_lshlrev_b32_e32 v134, 20, v134
	v_lshl_add_u32 v151, v151, 23, 0x3c000000
	v_and_b32_e32 v150, 0x80000000, v150
	s_delay_alu instid0(VALU_DEP_1)
	v_or3_b32 v127, v134, v150, v151
.LBB225_377:                            ;   in Loop: Header=BB225_11 Depth=1
	s_or_b32 exec_lo, exec_lo, s20
.LBB225_378:                            ;   in Loop: Header=BB225_11 Depth=1
	s_delay_alu instid0(SALU_CYCLE_1)
	s_or_b32 exec_lo, exec_lo, s19
.LBB225_379:                            ;   in Loop: Header=BB225_11 Depth=1
	s_delay_alu instid0(SALU_CYCLE_1) | instskip(SKIP_1) | instid1(VALU_DEP_1)
	s_or_b32 exec_lo, exec_lo, s3
	v_add_co_u32 v150, s2, 0x580, v148
	v_add_co_ci_u32_e64 v151, s2, 0, v149, s2
	s_mov_b32 s3, exec_lo
	flat_load_u8 v136, v[150:151] offset:8
	s_waitcnt vmcnt(0) lgkmcnt(0)
	v_cmpx_ne_u16_e64 0, v136
	s_cbranch_execz .LBB225_387
; %bb.380:                              ;   in Loop: Header=BB225_11 Depth=1
	v_bfrev_b32_e32 v126, 1
	s_mov_b32 s19, exec_lo
	v_cmpx_ne_u16_e64 0x80, v136
	s_cbranch_execz .LBB225_386
; %bb.381:                              ;   in Loop: Header=BB225_11 Depth=1
	v_and_b32_e32 v134, 0xffff, v136
	v_mov_b32_e32 v126, 0x7f800001
	s_mov_b32 s20, exec_lo
	s_delay_alu instid0(VALU_DEP_2) | instskip(NEXT) | instid1(VALU_DEP_1)
	v_and_b32_e32 v137, 0x7f, v134
	v_cmpx_ne_u32_e32 0x7f, v137
	s_cbranch_execz .LBB225_385
; %bb.382:                              ;   in Loop: Header=BB225_11 Depth=1
	v_and_b32_e32 v134, 7, v134
	v_lshrrev_b32_e32 v126, 3, v137
	s_mov_b32 s21, exec_lo
	v_cmpx_gt_u32_e32 8, v137
; %bb.383:                              ;   in Loop: Header=BB225_11 Depth=1
	s_delay_alu instid0(VALU_DEP_3) | instskip(NEXT) | instid1(VALU_DEP_1)
	v_clz_i32_u32_e32 v126, v134
	v_min_u32_e32 v126, 32, v126
	s_delay_alu instid0(VALU_DEP_1) | instskip(SKIP_1) | instid1(VALU_DEP_2)
	v_subrev_nc_u32_e32 v137, 28, v126
	v_sub_nc_u32_e32 v126, 29, v126
	v_lshlrev_b64 v[137:138], v137, v[134:135]
	s_delay_alu instid0(VALU_DEP_1)
	v_and_b32_e32 v134, 7, v137
; %bb.384:                              ;   in Loop: Header=BB225_11 Depth=1
	s_or_b32 exec_lo, exec_lo, s21
	v_lshlrev_b32_e32 v136, 24, v136
	s_delay_alu instid0(VALU_DEP_2) | instskip(SKIP_1) | instid1(VALU_DEP_3)
	v_lshlrev_b32_e32 v134, 20, v134
	v_lshl_add_u32 v126, v126, 23, 0x3c000000
	v_and_b32_e32 v136, 0x80000000, v136
	s_delay_alu instid0(VALU_DEP_1)
	v_or3_b32 v126, v134, v136, v126
.LBB225_385:                            ;   in Loop: Header=BB225_11 Depth=1
	s_or_b32 exec_lo, exec_lo, s20
.LBB225_386:                            ;   in Loop: Header=BB225_11 Depth=1
	s_delay_alu instid0(SALU_CYCLE_1)
	s_or_b32 exec_lo, exec_lo, s19
.LBB225_387:                            ;   in Loop: Header=BB225_11 Depth=1
	s_delay_alu instid0(SALU_CYCLE_1)
	s_or_b32 exec_lo, exec_lo, s3
	flat_load_u8 v150, v[150:151] offset:12
	v_dual_mov_b32 v136, 0 :: v_dual_mov_b32 v137, 0
	s_mov_b32 s3, exec_lo
	s_waitcnt vmcnt(0) lgkmcnt(0)
	v_cmpx_ne_u16_e64 0, v150
	s_cbranch_execz .LBB225_395
; %bb.388:                              ;   in Loop: Header=BB225_11 Depth=1
	v_bfrev_b32_e32 v137, 1
	s_mov_b32 s19, exec_lo
	v_cmpx_ne_u16_e64 0x80, v150
	s_cbranch_execz .LBB225_394
; %bb.389:                              ;   in Loop: Header=BB225_11 Depth=1
	v_and_b32_e32 v134, 0xffff, v150
	v_mov_b32_e32 v137, 0x7f800001
	s_mov_b32 s20, exec_lo
	s_delay_alu instid0(VALU_DEP_2) | instskip(NEXT) | instid1(VALU_DEP_1)
	v_and_b32_e32 v138, 0x7f, v134
	v_cmpx_ne_u32_e32 0x7f, v138
	s_cbranch_execz .LBB225_393
; %bb.390:                              ;   in Loop: Header=BB225_11 Depth=1
	v_and_b32_e32 v134, 7, v134
	v_lshrrev_b32_e32 v151, 3, v138
	s_mov_b32 s21, exec_lo
	v_cmpx_gt_u32_e32 8, v138
; %bb.391:                              ;   in Loop: Header=BB225_11 Depth=1
	s_delay_alu instid0(VALU_DEP_3) | instskip(NEXT) | instid1(VALU_DEP_1)
	v_clz_i32_u32_e32 v151, v134
	v_min_u32_e32 v151, 32, v151
	s_delay_alu instid0(VALU_DEP_1) | instskip(SKIP_1) | instid1(VALU_DEP_2)
	v_subrev_nc_u32_e32 v137, 28, v151
	v_sub_nc_u32_e32 v151, 29, v151
	v_lshlrev_b64 v[137:138], v137, v[134:135]
	s_delay_alu instid0(VALU_DEP_1)
	v_and_b32_e32 v134, 7, v137
; %bb.392:                              ;   in Loop: Header=BB225_11 Depth=1
	s_or_b32 exec_lo, exec_lo, s21
	v_lshlrev_b32_e32 v150, 24, v150
	s_delay_alu instid0(VALU_DEP_2) | instskip(SKIP_1) | instid1(VALU_DEP_3)
	v_lshlrev_b32_e32 v134, 20, v134
	v_lshl_add_u32 v151, v151, 23, 0x3c000000
	v_and_b32_e32 v150, 0x80000000, v150
	s_delay_alu instid0(VALU_DEP_1)
	v_or3_b32 v137, v134, v150, v151
.LBB225_393:                            ;   in Loop: Header=BB225_11 Depth=1
	s_or_b32 exec_lo, exec_lo, s20
.LBB225_394:                            ;   in Loop: Header=BB225_11 Depth=1
	s_delay_alu instid0(SALU_CYCLE_1)
	s_or_b32 exec_lo, exec_lo, s19
.LBB225_395:                            ;   in Loop: Header=BB225_11 Depth=1
	s_delay_alu instid0(SALU_CYCLE_1)
	s_or_b32 exec_lo, exec_lo, s3
	flat_load_u8 v150, v[148:149] offset:1536
	s_mov_b32 s3, exec_lo
	s_waitcnt vmcnt(0) lgkmcnt(0)
	v_cmpx_ne_u16_e64 0, v150
	s_cbranch_execz .LBB225_403
; %bb.396:                              ;   in Loop: Header=BB225_11 Depth=1
	v_bfrev_b32_e32 v136, 1
	s_mov_b32 s19, exec_lo
	v_cmpx_ne_u16_e64 0x80, v150
	s_cbranch_execz .LBB225_402
; %bb.397:                              ;   in Loop: Header=BB225_11 Depth=1
	v_and_b32_e32 v134, 0xffff, v150
	v_mov_b32_e32 v136, 0x7f800001
	s_mov_b32 s20, exec_lo
	s_delay_alu instid0(VALU_DEP_2) | instskip(NEXT) | instid1(VALU_DEP_1)
	v_and_b32_e32 v138, 0x7f, v134
	v_cmpx_ne_u32_e32 0x7f, v138
	s_cbranch_execz .LBB225_401
; %bb.398:                              ;   in Loop: Header=BB225_11 Depth=1
	v_and_b32_e32 v134, 7, v134
	v_lshrrev_b32_e32 v151, 3, v138
	s_mov_b32 s21, exec_lo
	v_cmpx_gt_u32_e32 8, v138
; %bb.399:                              ;   in Loop: Header=BB225_11 Depth=1
	s_delay_alu instid0(VALU_DEP_3) | instskip(NEXT) | instid1(VALU_DEP_1)
	v_clz_i32_u32_e32 v151, v134
	v_min_u32_e32 v151, 32, v151
	s_delay_alu instid0(VALU_DEP_1) | instskip(SKIP_1) | instid1(VALU_DEP_2)
	v_subrev_nc_u32_e32 v136, 28, v151
	v_sub_nc_u32_e32 v151, 29, v151
	v_lshlrev_b64 v[138:139], v136, v[134:135]
	s_delay_alu instid0(VALU_DEP_1)
	v_and_b32_e32 v134, 7, v138
; %bb.400:                              ;   in Loop: Header=BB225_11 Depth=1
	s_or_b32 exec_lo, exec_lo, s21
	v_lshlrev_b32_e32 v150, 24, v150
	s_delay_alu instid0(VALU_DEP_2) | instskip(SKIP_1) | instid1(VALU_DEP_3)
	v_lshlrev_b32_e32 v134, 20, v134
	v_lshl_add_u32 v151, v151, 23, 0x3c000000
	v_and_b32_e32 v150, 0x80000000, v150
	s_delay_alu instid0(VALU_DEP_1)
	v_or3_b32 v136, v134, v150, v151
.LBB225_401:                            ;   in Loop: Header=BB225_11 Depth=1
	s_or_b32 exec_lo, exec_lo, s20
.LBB225_402:                            ;   in Loop: Header=BB225_11 Depth=1
	s_delay_alu instid0(SALU_CYCLE_1)
	s_or_b32 exec_lo, exec_lo, s19
.LBB225_403:                            ;   in Loop: Header=BB225_11 Depth=1
	s_delay_alu instid0(SALU_CYCLE_1)
	s_or_b32 exec_lo, exec_lo, s3
	flat_load_u8 v150, v[148:149] offset:1540
	v_dual_mov_b32 v138, 0 :: v_dual_mov_b32 v139, 0
	s_mov_b32 s3, exec_lo
	s_waitcnt vmcnt(0) lgkmcnt(0)
	v_cmpx_ne_u16_e64 0, v150
	s_cbranch_execz .LBB225_411
; %bb.404:                              ;   in Loop: Header=BB225_11 Depth=1
	v_bfrev_b32_e32 v139, 1
	s_mov_b32 s19, exec_lo
	v_cmpx_ne_u16_e64 0x80, v150
	s_cbranch_execz .LBB225_410
; %bb.405:                              ;   in Loop: Header=BB225_11 Depth=1
	v_and_b32_e32 v134, 0xffff, v150
	v_mov_b32_e32 v139, 0x7f800001
	s_mov_b32 s20, exec_lo
	s_delay_alu instid0(VALU_DEP_2) | instskip(NEXT) | instid1(VALU_DEP_1)
	v_and_b32_e32 v140, 0x7f, v134
	v_cmpx_ne_u32_e32 0x7f, v140
	s_cbranch_execz .LBB225_409
; %bb.406:                              ;   in Loop: Header=BB225_11 Depth=1
	v_and_b32_e32 v134, 7, v134
	v_lshrrev_b32_e32 v151, 3, v140
	s_mov_b32 s21, exec_lo
	v_cmpx_gt_u32_e32 8, v140
; %bb.407:                              ;   in Loop: Header=BB225_11 Depth=1
	s_delay_alu instid0(VALU_DEP_3) | instskip(NEXT) | instid1(VALU_DEP_1)
	v_clz_i32_u32_e32 v151, v134
	v_min_u32_e32 v151, 32, v151
	s_delay_alu instid0(VALU_DEP_1) | instskip(SKIP_1) | instid1(VALU_DEP_2)
	v_subrev_nc_u32_e32 v139, 28, v151
	v_sub_nc_u32_e32 v151, 29, v151
	v_lshlrev_b64 v[139:140], v139, v[134:135]
	s_delay_alu instid0(VALU_DEP_1)
	v_and_b32_e32 v134, 7, v139
; %bb.408:                              ;   in Loop: Header=BB225_11 Depth=1
	s_or_b32 exec_lo, exec_lo, s21
	v_lshlrev_b32_e32 v150, 24, v150
	s_delay_alu instid0(VALU_DEP_2) | instskip(SKIP_1) | instid1(VALU_DEP_3)
	v_lshlrev_b32_e32 v134, 20, v134
	v_lshl_add_u32 v151, v151, 23, 0x3c000000
	v_and_b32_e32 v150, 0x80000000, v150
	s_delay_alu instid0(VALU_DEP_1)
	v_or3_b32 v139, v134, v150, v151
.LBB225_409:                            ;   in Loop: Header=BB225_11 Depth=1
	s_or_b32 exec_lo, exec_lo, s20
.LBB225_410:                            ;   in Loop: Header=BB225_11 Depth=1
	s_delay_alu instid0(SALU_CYCLE_1)
	s_or_b32 exec_lo, exec_lo, s19
.LBB225_411:                            ;   in Loop: Header=BB225_11 Depth=1
	s_delay_alu instid0(SALU_CYCLE_1) | instskip(SKIP_1) | instid1(VALU_DEP_1)
	s_or_b32 exec_lo, exec_lo, s3
	v_add_co_u32 v150, s2, 0x600, v148
	v_add_co_ci_u32_e64 v151, s2, 0, v149, s2
	s_mov_b32 s3, exec_lo
	flat_load_u8 v140, v[150:151] offset:8
	s_waitcnt vmcnt(0) lgkmcnt(0)
	v_cmpx_ne_u16_e64 0, v140
	s_cbranch_execz .LBB225_419
; %bb.412:                              ;   in Loop: Header=BB225_11 Depth=1
	v_bfrev_b32_e32 v138, 1
	s_mov_b32 s19, exec_lo
	v_cmpx_ne_u16_e64 0x80, v140
	s_cbranch_execz .LBB225_418
; %bb.413:                              ;   in Loop: Header=BB225_11 Depth=1
	v_and_b32_e32 v134, 0xffff, v140
	v_mov_b32_e32 v138, 0x7f800001
	s_mov_b32 s20, exec_lo
	s_delay_alu instid0(VALU_DEP_2) | instskip(NEXT) | instid1(VALU_DEP_1)
	v_and_b32_e32 v141, 0x7f, v134
	v_cmpx_ne_u32_e32 0x7f, v141
	s_cbranch_execz .LBB225_417
; %bb.414:                              ;   in Loop: Header=BB225_11 Depth=1
	v_and_b32_e32 v134, 7, v134
	v_lshrrev_b32_e32 v138, 3, v141
	s_mov_b32 s21, exec_lo
	v_cmpx_gt_u32_e32 8, v141
; %bb.415:                              ;   in Loop: Header=BB225_11 Depth=1
	s_delay_alu instid0(VALU_DEP_3) | instskip(NEXT) | instid1(VALU_DEP_1)
	v_clz_i32_u32_e32 v138, v134
	v_min_u32_e32 v138, 32, v138
	s_delay_alu instid0(VALU_DEP_1) | instskip(SKIP_1) | instid1(VALU_DEP_2)
	v_subrev_nc_u32_e32 v141, 28, v138
	v_sub_nc_u32_e32 v138, 29, v138
	v_lshlrev_b64 v[141:142], v141, v[134:135]
	s_delay_alu instid0(VALU_DEP_1)
	v_and_b32_e32 v134, 7, v141
; %bb.416:                              ;   in Loop: Header=BB225_11 Depth=1
	s_or_b32 exec_lo, exec_lo, s21
	v_lshlrev_b32_e32 v140, 24, v140
	s_delay_alu instid0(VALU_DEP_2) | instskip(SKIP_1) | instid1(VALU_DEP_3)
	v_lshlrev_b32_e32 v134, 20, v134
	v_lshl_add_u32 v138, v138, 23, 0x3c000000
	v_and_b32_e32 v140, 0x80000000, v140
	s_delay_alu instid0(VALU_DEP_1)
	v_or3_b32 v138, v134, v140, v138
.LBB225_417:                            ;   in Loop: Header=BB225_11 Depth=1
	s_or_b32 exec_lo, exec_lo, s20
.LBB225_418:                            ;   in Loop: Header=BB225_11 Depth=1
	s_delay_alu instid0(SALU_CYCLE_1)
	s_or_b32 exec_lo, exec_lo, s19
.LBB225_419:                            ;   in Loop: Header=BB225_11 Depth=1
	s_delay_alu instid0(SALU_CYCLE_1)
	s_or_b32 exec_lo, exec_lo, s3
	flat_load_u8 v150, v[150:151] offset:12
	v_dual_mov_b32 v140, 0 :: v_dual_mov_b32 v141, 0
	s_mov_b32 s3, exec_lo
	s_waitcnt vmcnt(0) lgkmcnt(0)
	v_cmpx_ne_u16_e64 0, v150
	s_cbranch_execz .LBB225_427
; %bb.420:                              ;   in Loop: Header=BB225_11 Depth=1
	v_bfrev_b32_e32 v141, 1
	s_mov_b32 s19, exec_lo
	v_cmpx_ne_u16_e64 0x80, v150
	s_cbranch_execz .LBB225_426
; %bb.421:                              ;   in Loop: Header=BB225_11 Depth=1
	v_and_b32_e32 v134, 0xffff, v150
	v_mov_b32_e32 v141, 0x7f800001
	s_mov_b32 s20, exec_lo
	s_delay_alu instid0(VALU_DEP_2) | instskip(NEXT) | instid1(VALU_DEP_1)
	v_and_b32_e32 v142, 0x7f, v134
	v_cmpx_ne_u32_e32 0x7f, v142
	s_cbranch_execz .LBB225_425
; %bb.422:                              ;   in Loop: Header=BB225_11 Depth=1
	v_and_b32_e32 v134, 7, v134
	v_lshrrev_b32_e32 v151, 3, v142
	s_mov_b32 s21, exec_lo
	v_cmpx_gt_u32_e32 8, v142
; %bb.423:                              ;   in Loop: Header=BB225_11 Depth=1
	s_delay_alu instid0(VALU_DEP_3) | instskip(NEXT) | instid1(VALU_DEP_1)
	v_clz_i32_u32_e32 v151, v134
	v_min_u32_e32 v151, 32, v151
	s_delay_alu instid0(VALU_DEP_1) | instskip(SKIP_1) | instid1(VALU_DEP_2)
	v_subrev_nc_u32_e32 v141, 28, v151
	v_sub_nc_u32_e32 v151, 29, v151
	v_lshlrev_b64 v[141:142], v141, v[134:135]
	s_delay_alu instid0(VALU_DEP_1)
	v_and_b32_e32 v134, 7, v141
; %bb.424:                              ;   in Loop: Header=BB225_11 Depth=1
	s_or_b32 exec_lo, exec_lo, s21
	v_lshlrev_b32_e32 v150, 24, v150
	s_delay_alu instid0(VALU_DEP_2) | instskip(SKIP_1) | instid1(VALU_DEP_3)
	v_lshlrev_b32_e32 v134, 20, v134
	v_lshl_add_u32 v151, v151, 23, 0x3c000000
	v_and_b32_e32 v150, 0x80000000, v150
	s_delay_alu instid0(VALU_DEP_1)
	v_or3_b32 v141, v134, v150, v151
.LBB225_425:                            ;   in Loop: Header=BB225_11 Depth=1
	s_or_b32 exec_lo, exec_lo, s20
.LBB225_426:                            ;   in Loop: Header=BB225_11 Depth=1
	s_delay_alu instid0(SALU_CYCLE_1)
	s_or_b32 exec_lo, exec_lo, s19
.LBB225_427:                            ;   in Loop: Header=BB225_11 Depth=1
	s_delay_alu instid0(SALU_CYCLE_1)
	s_or_b32 exec_lo, exec_lo, s3
	flat_load_u8 v150, v[148:149] offset:1664
	s_mov_b32 s3, exec_lo
	s_waitcnt vmcnt(0) lgkmcnt(0)
	v_cmpx_ne_u16_e64 0, v150
	s_cbranch_execz .LBB225_435
; %bb.428:                              ;   in Loop: Header=BB225_11 Depth=1
	v_bfrev_b32_e32 v140, 1
	s_mov_b32 s19, exec_lo
	v_cmpx_ne_u16_e64 0x80, v150
	s_cbranch_execz .LBB225_434
; %bb.429:                              ;   in Loop: Header=BB225_11 Depth=1
	v_and_b32_e32 v134, 0xffff, v150
	v_mov_b32_e32 v140, 0x7f800001
	s_mov_b32 s20, exec_lo
	s_delay_alu instid0(VALU_DEP_2) | instskip(NEXT) | instid1(VALU_DEP_1)
	v_and_b32_e32 v142, 0x7f, v134
	v_cmpx_ne_u32_e32 0x7f, v142
	s_cbranch_execz .LBB225_433
; %bb.430:                              ;   in Loop: Header=BB225_11 Depth=1
	v_and_b32_e32 v134, 7, v134
	v_lshrrev_b32_e32 v151, 3, v142
	s_mov_b32 s21, exec_lo
	v_cmpx_gt_u32_e32 8, v142
; %bb.431:                              ;   in Loop: Header=BB225_11 Depth=1
	s_delay_alu instid0(VALU_DEP_3) | instskip(NEXT) | instid1(VALU_DEP_1)
	v_clz_i32_u32_e32 v151, v134
	v_min_u32_e32 v151, 32, v151
	s_delay_alu instid0(VALU_DEP_1) | instskip(SKIP_1) | instid1(VALU_DEP_2)
	v_subrev_nc_u32_e32 v140, 28, v151
	v_sub_nc_u32_e32 v151, 29, v151
	v_lshlrev_b64 v[142:143], v140, v[134:135]
	s_delay_alu instid0(VALU_DEP_1)
	v_and_b32_e32 v134, 7, v142
; %bb.432:                              ;   in Loop: Header=BB225_11 Depth=1
	s_or_b32 exec_lo, exec_lo, s21
	v_lshlrev_b32_e32 v150, 24, v150
	s_delay_alu instid0(VALU_DEP_2) | instskip(SKIP_1) | instid1(VALU_DEP_3)
	v_lshlrev_b32_e32 v134, 20, v134
	v_lshl_add_u32 v151, v151, 23, 0x3c000000
	v_and_b32_e32 v150, 0x80000000, v150
	s_delay_alu instid0(VALU_DEP_1)
	v_or3_b32 v140, v134, v150, v151
.LBB225_433:                            ;   in Loop: Header=BB225_11 Depth=1
	s_or_b32 exec_lo, exec_lo, s20
.LBB225_434:                            ;   in Loop: Header=BB225_11 Depth=1
	s_delay_alu instid0(SALU_CYCLE_1)
	s_or_b32 exec_lo, exec_lo, s19
.LBB225_435:                            ;   in Loop: Header=BB225_11 Depth=1
	s_delay_alu instid0(SALU_CYCLE_1)
	s_or_b32 exec_lo, exec_lo, s3
	flat_load_u8 v150, v[148:149] offset:1668
	v_dual_mov_b32 v142, 0 :: v_dual_mov_b32 v143, 0
	s_mov_b32 s3, exec_lo
	s_waitcnt vmcnt(0) lgkmcnt(0)
	v_cmpx_ne_u16_e64 0, v150
	s_cbranch_execz .LBB225_443
; %bb.436:                              ;   in Loop: Header=BB225_11 Depth=1
	v_bfrev_b32_e32 v143, 1
	s_mov_b32 s19, exec_lo
	v_cmpx_ne_u16_e64 0x80, v150
	s_cbranch_execz .LBB225_442
; %bb.437:                              ;   in Loop: Header=BB225_11 Depth=1
	v_and_b32_e32 v134, 0xffff, v150
	v_mov_b32_e32 v143, 0x7f800001
	s_mov_b32 s20, exec_lo
	s_delay_alu instid0(VALU_DEP_2) | instskip(NEXT) | instid1(VALU_DEP_1)
	v_and_b32_e32 v152, 0x7f, v134
	v_cmpx_ne_u32_e32 0x7f, v152
	s_cbranch_execz .LBB225_441
; %bb.438:                              ;   in Loop: Header=BB225_11 Depth=1
	v_and_b32_e32 v134, 7, v134
	v_lshrrev_b32_e32 v151, 3, v152
	s_mov_b32 s21, exec_lo
	v_cmpx_gt_u32_e32 8, v152
; %bb.439:                              ;   in Loop: Header=BB225_11 Depth=1
	s_delay_alu instid0(VALU_DEP_3) | instskip(NEXT) | instid1(VALU_DEP_1)
	v_clz_i32_u32_e32 v151, v134
	v_min_u32_e32 v151, 32, v151
	s_delay_alu instid0(VALU_DEP_1) | instskip(SKIP_1) | instid1(VALU_DEP_2)
	v_subrev_nc_u32_e32 v143, 28, v151
	v_sub_nc_u32_e32 v151, 29, v151
	v_lshlrev_b64 v[152:153], v143, v[134:135]
	s_delay_alu instid0(VALU_DEP_1)
	v_and_b32_e32 v134, 7, v152
; %bb.440:                              ;   in Loop: Header=BB225_11 Depth=1
	s_or_b32 exec_lo, exec_lo, s21
	v_lshlrev_b32_e32 v150, 24, v150
	s_delay_alu instid0(VALU_DEP_2) | instskip(SKIP_1) | instid1(VALU_DEP_3)
	v_lshlrev_b32_e32 v134, 20, v134
	v_lshl_add_u32 v151, v151, 23, 0x3c000000
	v_and_b32_e32 v150, 0x80000000, v150
	s_delay_alu instid0(VALU_DEP_1)
	v_or3_b32 v143, v134, v150, v151
.LBB225_441:                            ;   in Loop: Header=BB225_11 Depth=1
	s_or_b32 exec_lo, exec_lo, s20
.LBB225_442:                            ;   in Loop: Header=BB225_11 Depth=1
	s_delay_alu instid0(SALU_CYCLE_1)
	s_or_b32 exec_lo, exec_lo, s19
.LBB225_443:                            ;   in Loop: Header=BB225_11 Depth=1
	s_delay_alu instid0(SALU_CYCLE_1) | instskip(SKIP_1) | instid1(VALU_DEP_1)
	s_or_b32 exec_lo, exec_lo, s3
	v_add_co_u32 v150, s2, 0x680, v148
	v_add_co_ci_u32_e64 v151, s2, 0, v149, s2
	s_mov_b32 s3, exec_lo
	flat_load_u8 v152, v[150:151] offset:8
	s_waitcnt vmcnt(0) lgkmcnt(0)
	v_cmpx_ne_u16_e64 0, v152
	s_cbranch_execz .LBB225_451
; %bb.444:                              ;   in Loop: Header=BB225_11 Depth=1
	v_bfrev_b32_e32 v142, 1
	s_mov_b32 s19, exec_lo
	v_cmpx_ne_u16_e64 0x80, v152
	s_cbranch_execz .LBB225_450
; %bb.445:                              ;   in Loop: Header=BB225_11 Depth=1
	v_and_b32_e32 v134, 0xffff, v152
	v_mov_b32_e32 v142, 0x7f800001
	s_mov_b32 s20, exec_lo
	s_delay_alu instid0(VALU_DEP_2) | instskip(NEXT) | instid1(VALU_DEP_1)
	v_and_b32_e32 v153, 0x7f, v134
	v_cmpx_ne_u32_e32 0x7f, v153
	s_cbranch_execz .LBB225_449
; %bb.446:                              ;   in Loop: Header=BB225_11 Depth=1
	v_and_b32_e32 v134, 7, v134
	v_lshrrev_b32_e32 v142, 3, v153
	s_mov_b32 s21, exec_lo
	v_cmpx_gt_u32_e32 8, v153
; %bb.447:                              ;   in Loop: Header=BB225_11 Depth=1
	s_delay_alu instid0(VALU_DEP_3) | instskip(NEXT) | instid1(VALU_DEP_1)
	v_clz_i32_u32_e32 v142, v134
	v_min_u32_e32 v142, 32, v142
	s_delay_alu instid0(VALU_DEP_1) | instskip(SKIP_1) | instid1(VALU_DEP_2)
	v_subrev_nc_u32_e32 v153, 28, v142
	v_sub_nc_u32_e32 v142, 29, v142
	v_lshlrev_b64 v[153:154], v153, v[134:135]
	s_delay_alu instid0(VALU_DEP_1)
	v_and_b32_e32 v134, 7, v153
; %bb.448:                              ;   in Loop: Header=BB225_11 Depth=1
	s_or_b32 exec_lo, exec_lo, s21
	v_lshlrev_b32_e32 v152, 24, v152
	s_delay_alu instid0(VALU_DEP_2) | instskip(SKIP_1) | instid1(VALU_DEP_3)
	v_lshlrev_b32_e32 v134, 20, v134
	v_lshl_add_u32 v142, v142, 23, 0x3c000000
	v_and_b32_e32 v152, 0x80000000, v152
	s_delay_alu instid0(VALU_DEP_1)
	v_or3_b32 v142, v134, v152, v142
.LBB225_449:                            ;   in Loop: Header=BB225_11 Depth=1
	s_or_b32 exec_lo, exec_lo, s20
.LBB225_450:                            ;   in Loop: Header=BB225_11 Depth=1
	s_delay_alu instid0(SALU_CYCLE_1)
	s_or_b32 exec_lo, exec_lo, s19
.LBB225_451:                            ;   in Loop: Header=BB225_11 Depth=1
	s_delay_alu instid0(SALU_CYCLE_1)
	s_or_b32 exec_lo, exec_lo, s3
	flat_load_u8 v150, v[150:151] offset:12
	v_dual_mov_b32 v152, 0 :: v_dual_mov_b32 v153, 0
	s_mov_b32 s3, exec_lo
	s_waitcnt vmcnt(0) lgkmcnt(0)
	v_cmpx_ne_u16_e64 0, v150
	s_cbranch_execz .LBB225_459
; %bb.452:                              ;   in Loop: Header=BB225_11 Depth=1
	v_bfrev_b32_e32 v153, 1
	s_mov_b32 s19, exec_lo
	v_cmpx_ne_u16_e64 0x80, v150
	s_cbranch_execz .LBB225_458
; %bb.453:                              ;   in Loop: Header=BB225_11 Depth=1
	v_and_b32_e32 v134, 0xffff, v150
	v_mov_b32_e32 v153, 0x7f800001
	s_mov_b32 s20, exec_lo
	s_delay_alu instid0(VALU_DEP_2) | instskip(NEXT) | instid1(VALU_DEP_1)
	v_and_b32_e32 v154, 0x7f, v134
	v_cmpx_ne_u32_e32 0x7f, v154
	s_cbranch_execz .LBB225_457
; %bb.454:                              ;   in Loop: Header=BB225_11 Depth=1
	v_and_b32_e32 v134, 7, v134
	v_lshrrev_b32_e32 v151, 3, v154
	s_mov_b32 s21, exec_lo
	v_cmpx_gt_u32_e32 8, v154
; %bb.455:                              ;   in Loop: Header=BB225_11 Depth=1
	s_delay_alu instid0(VALU_DEP_3) | instskip(NEXT) | instid1(VALU_DEP_1)
	v_clz_i32_u32_e32 v151, v134
	v_min_u32_e32 v151, 32, v151
	s_delay_alu instid0(VALU_DEP_1) | instskip(SKIP_1) | instid1(VALU_DEP_2)
	v_subrev_nc_u32_e32 v153, 28, v151
	v_sub_nc_u32_e32 v151, 29, v151
	v_lshlrev_b64 v[153:154], v153, v[134:135]
	s_delay_alu instid0(VALU_DEP_1)
	v_and_b32_e32 v134, 7, v153
; %bb.456:                              ;   in Loop: Header=BB225_11 Depth=1
	s_or_b32 exec_lo, exec_lo, s21
	v_lshlrev_b32_e32 v150, 24, v150
	s_delay_alu instid0(VALU_DEP_2) | instskip(SKIP_1) | instid1(VALU_DEP_3)
	v_lshlrev_b32_e32 v134, 20, v134
	v_lshl_add_u32 v151, v151, 23, 0x3c000000
	v_and_b32_e32 v150, 0x80000000, v150
	s_delay_alu instid0(VALU_DEP_1)
	v_or3_b32 v153, v134, v150, v151
.LBB225_457:                            ;   in Loop: Header=BB225_11 Depth=1
	s_or_b32 exec_lo, exec_lo, s20
.LBB225_458:                            ;   in Loop: Header=BB225_11 Depth=1
	s_delay_alu instid0(SALU_CYCLE_1)
	s_or_b32 exec_lo, exec_lo, s19
.LBB225_459:                            ;   in Loop: Header=BB225_11 Depth=1
	s_delay_alu instid0(SALU_CYCLE_1)
	s_or_b32 exec_lo, exec_lo, s3
	flat_load_u8 v150, v[148:149] offset:1792
	s_mov_b32 s3, exec_lo
	s_waitcnt vmcnt(0) lgkmcnt(0)
	v_cmpx_ne_u16_e64 0, v150
	s_cbranch_execz .LBB225_467
; %bb.460:                              ;   in Loop: Header=BB225_11 Depth=1
	v_bfrev_b32_e32 v152, 1
	s_mov_b32 s19, exec_lo
	v_cmpx_ne_u16_e64 0x80, v150
	s_cbranch_execz .LBB225_466
; %bb.461:                              ;   in Loop: Header=BB225_11 Depth=1
	v_and_b32_e32 v134, 0xffff, v150
	v_mov_b32_e32 v152, 0x7f800001
	s_mov_b32 s20, exec_lo
	s_delay_alu instid0(VALU_DEP_2) | instskip(NEXT) | instid1(VALU_DEP_1)
	v_and_b32_e32 v154, 0x7f, v134
	v_cmpx_ne_u32_e32 0x7f, v154
	s_cbranch_execz .LBB225_465
; %bb.462:                              ;   in Loop: Header=BB225_11 Depth=1
	v_and_b32_e32 v134, 7, v134
	v_lshrrev_b32_e32 v151, 3, v154
	s_mov_b32 s21, exec_lo
	v_cmpx_gt_u32_e32 8, v154
; %bb.463:                              ;   in Loop: Header=BB225_11 Depth=1
	s_delay_alu instid0(VALU_DEP_3) | instskip(NEXT) | instid1(VALU_DEP_1)
	v_clz_i32_u32_e32 v151, v134
	v_min_u32_e32 v151, 32, v151
	s_delay_alu instid0(VALU_DEP_1) | instskip(SKIP_1) | instid1(VALU_DEP_2)
	v_subrev_nc_u32_e32 v152, 28, v151
	v_sub_nc_u32_e32 v151, 29, v151
	v_lshlrev_b64 v[154:155], v152, v[134:135]
	s_delay_alu instid0(VALU_DEP_1)
	v_and_b32_e32 v134, 7, v154
; %bb.464:                              ;   in Loop: Header=BB225_11 Depth=1
	s_or_b32 exec_lo, exec_lo, s21
	v_lshlrev_b32_e32 v150, 24, v150
	s_delay_alu instid0(VALU_DEP_2) | instskip(SKIP_1) | instid1(VALU_DEP_3)
	v_lshlrev_b32_e32 v134, 20, v134
	v_lshl_add_u32 v151, v151, 23, 0x3c000000
	v_and_b32_e32 v150, 0x80000000, v150
	s_delay_alu instid0(VALU_DEP_1)
	v_or3_b32 v152, v134, v150, v151
.LBB225_465:                            ;   in Loop: Header=BB225_11 Depth=1
	s_or_b32 exec_lo, exec_lo, s20
.LBB225_466:                            ;   in Loop: Header=BB225_11 Depth=1
	s_delay_alu instid0(SALU_CYCLE_1)
	s_or_b32 exec_lo, exec_lo, s19
.LBB225_467:                            ;   in Loop: Header=BB225_11 Depth=1
	s_delay_alu instid0(SALU_CYCLE_1)
	s_or_b32 exec_lo, exec_lo, s3
	flat_load_u8 v150, v[148:149] offset:1796
	v_dual_mov_b32 v154, 0 :: v_dual_mov_b32 v155, 0
	s_mov_b32 s3, exec_lo
	s_waitcnt vmcnt(0) lgkmcnt(0)
	v_cmpx_ne_u16_e64 0, v150
	s_cbranch_execz .LBB225_475
; %bb.468:                              ;   in Loop: Header=BB225_11 Depth=1
	v_bfrev_b32_e32 v155, 1
	s_mov_b32 s19, exec_lo
	v_cmpx_ne_u16_e64 0x80, v150
	s_cbranch_execz .LBB225_474
; %bb.469:                              ;   in Loop: Header=BB225_11 Depth=1
	v_and_b32_e32 v134, 0xffff, v150
	v_mov_b32_e32 v155, 0x7f800001
	s_mov_b32 s20, exec_lo
	s_delay_alu instid0(VALU_DEP_2) | instskip(NEXT) | instid1(VALU_DEP_1)
	v_and_b32_e32 v156, 0x7f, v134
	v_cmpx_ne_u32_e32 0x7f, v156
	s_cbranch_execz .LBB225_473
; %bb.470:                              ;   in Loop: Header=BB225_11 Depth=1
	v_and_b32_e32 v134, 7, v134
	v_lshrrev_b32_e32 v151, 3, v156
	s_mov_b32 s21, exec_lo
	v_cmpx_gt_u32_e32 8, v156
; %bb.471:                              ;   in Loop: Header=BB225_11 Depth=1
	s_delay_alu instid0(VALU_DEP_3) | instskip(NEXT) | instid1(VALU_DEP_1)
	v_clz_i32_u32_e32 v151, v134
	v_min_u32_e32 v151, 32, v151
	s_delay_alu instid0(VALU_DEP_1) | instskip(SKIP_1) | instid1(VALU_DEP_2)
	v_subrev_nc_u32_e32 v155, 28, v151
	v_sub_nc_u32_e32 v151, 29, v151
	v_lshlrev_b64 v[155:156], v155, v[134:135]
	s_delay_alu instid0(VALU_DEP_1)
	v_and_b32_e32 v134, 7, v155
; %bb.472:                              ;   in Loop: Header=BB225_11 Depth=1
	s_or_b32 exec_lo, exec_lo, s21
	v_lshlrev_b32_e32 v150, 24, v150
	s_delay_alu instid0(VALU_DEP_2) | instskip(SKIP_1) | instid1(VALU_DEP_3)
	v_lshlrev_b32_e32 v134, 20, v134
	v_lshl_add_u32 v151, v151, 23, 0x3c000000
	v_and_b32_e32 v150, 0x80000000, v150
	s_delay_alu instid0(VALU_DEP_1)
	v_or3_b32 v155, v134, v150, v151
.LBB225_473:                            ;   in Loop: Header=BB225_11 Depth=1
	s_or_b32 exec_lo, exec_lo, s20
.LBB225_474:                            ;   in Loop: Header=BB225_11 Depth=1
	s_delay_alu instid0(SALU_CYCLE_1)
	s_or_b32 exec_lo, exec_lo, s19
.LBB225_475:                            ;   in Loop: Header=BB225_11 Depth=1
	s_delay_alu instid0(SALU_CYCLE_1) | instskip(SKIP_1) | instid1(VALU_DEP_1)
	s_or_b32 exec_lo, exec_lo, s3
	v_add_co_u32 v150, s2, 0x700, v148
	v_add_co_ci_u32_e64 v151, s2, 0, v149, s2
	s_mov_b32 s3, exec_lo
	flat_load_u8 v156, v[150:151] offset:8
	s_waitcnt vmcnt(0) lgkmcnt(0)
	v_cmpx_ne_u16_e64 0, v156
	s_cbranch_execz .LBB225_483
; %bb.476:                              ;   in Loop: Header=BB225_11 Depth=1
	v_bfrev_b32_e32 v154, 1
	s_mov_b32 s19, exec_lo
	v_cmpx_ne_u16_e64 0x80, v156
	s_cbranch_execz .LBB225_482
; %bb.477:                              ;   in Loop: Header=BB225_11 Depth=1
	v_and_b32_e32 v134, 0xffff, v156
	v_mov_b32_e32 v154, 0x7f800001
	s_mov_b32 s20, exec_lo
	s_delay_alu instid0(VALU_DEP_2) | instskip(NEXT) | instid1(VALU_DEP_1)
	v_and_b32_e32 v157, 0x7f, v134
	v_cmpx_ne_u32_e32 0x7f, v157
	s_cbranch_execz .LBB225_481
; %bb.478:                              ;   in Loop: Header=BB225_11 Depth=1
	v_and_b32_e32 v134, 7, v134
	v_lshrrev_b32_e32 v154, 3, v157
	s_mov_b32 s21, exec_lo
	v_cmpx_gt_u32_e32 8, v157
; %bb.479:                              ;   in Loop: Header=BB225_11 Depth=1
	s_delay_alu instid0(VALU_DEP_3) | instskip(NEXT) | instid1(VALU_DEP_1)
	v_clz_i32_u32_e32 v154, v134
	v_min_u32_e32 v154, 32, v154
	s_delay_alu instid0(VALU_DEP_1) | instskip(SKIP_1) | instid1(VALU_DEP_2)
	v_subrev_nc_u32_e32 v157, 28, v154
	v_sub_nc_u32_e32 v154, 29, v154
	v_lshlrev_b64 v[157:158], v157, v[134:135]
	s_delay_alu instid0(VALU_DEP_1)
	v_and_b32_e32 v134, 7, v157
; %bb.480:                              ;   in Loop: Header=BB225_11 Depth=1
	s_or_b32 exec_lo, exec_lo, s21
	v_lshlrev_b32_e32 v156, 24, v156
	s_delay_alu instid0(VALU_DEP_2) | instskip(SKIP_1) | instid1(VALU_DEP_3)
	v_lshlrev_b32_e32 v134, 20, v134
	v_lshl_add_u32 v154, v154, 23, 0x3c000000
	v_and_b32_e32 v156, 0x80000000, v156
	s_delay_alu instid0(VALU_DEP_1)
	v_or3_b32 v154, v134, v156, v154
.LBB225_481:                            ;   in Loop: Header=BB225_11 Depth=1
	s_or_b32 exec_lo, exec_lo, s20
.LBB225_482:                            ;   in Loop: Header=BB225_11 Depth=1
	s_delay_alu instid0(SALU_CYCLE_1)
	s_or_b32 exec_lo, exec_lo, s19
.LBB225_483:                            ;   in Loop: Header=BB225_11 Depth=1
	s_delay_alu instid0(SALU_CYCLE_1)
	s_or_b32 exec_lo, exec_lo, s3
	flat_load_u8 v156, v[150:151] offset:12
	v_dual_mov_b32 v150, 0 :: v_dual_mov_b32 v151, 0
	s_mov_b32 s3, exec_lo
	s_waitcnt vmcnt(0) lgkmcnt(0)
	v_cmpx_ne_u16_e64 0, v156
	s_cbranch_execz .LBB225_491
; %bb.484:                              ;   in Loop: Header=BB225_11 Depth=1
	v_bfrev_b32_e32 v151, 1
	s_mov_b32 s19, exec_lo
	v_cmpx_ne_u16_e64 0x80, v156
	s_cbranch_execz .LBB225_490
; %bb.485:                              ;   in Loop: Header=BB225_11 Depth=1
	v_and_b32_e32 v134, 0xffff, v156
	v_mov_b32_e32 v151, 0x7f800001
	s_mov_b32 s20, exec_lo
	s_delay_alu instid0(VALU_DEP_2) | instskip(NEXT) | instid1(VALU_DEP_1)
	v_and_b32_e32 v157, 0x7f, v134
	v_cmpx_ne_u32_e32 0x7f, v157
	s_cbranch_execz .LBB225_489
; %bb.486:                              ;   in Loop: Header=BB225_11 Depth=1
	v_and_b32_e32 v134, 7, v134
	v_lshrrev_b32_e32 v151, 3, v157
	s_mov_b32 s21, exec_lo
	v_cmpx_gt_u32_e32 8, v157
; %bb.487:                              ;   in Loop: Header=BB225_11 Depth=1
	s_delay_alu instid0(VALU_DEP_3) | instskip(NEXT) | instid1(VALU_DEP_1)
	v_clz_i32_u32_e32 v151, v134
	v_min_u32_e32 v151, 32, v151
	s_delay_alu instid0(VALU_DEP_1) | instskip(SKIP_1) | instid1(VALU_DEP_2)
	v_subrev_nc_u32_e32 v157, 28, v151
	v_sub_nc_u32_e32 v151, 29, v151
	v_lshlrev_b64 v[157:158], v157, v[134:135]
	s_delay_alu instid0(VALU_DEP_1)
	v_and_b32_e32 v134, 7, v157
; %bb.488:                              ;   in Loop: Header=BB225_11 Depth=1
	s_or_b32 exec_lo, exec_lo, s21
	v_lshlrev_b32_e32 v156, 24, v156
	s_delay_alu instid0(VALU_DEP_2) | instskip(SKIP_1) | instid1(VALU_DEP_3)
	v_lshlrev_b32_e32 v134, 20, v134
	v_lshl_add_u32 v151, v151, 23, 0x3c000000
	v_and_b32_e32 v156, 0x80000000, v156
	s_delay_alu instid0(VALU_DEP_1)
	v_or3_b32 v151, v134, v156, v151
.LBB225_489:                            ;   in Loop: Header=BB225_11 Depth=1
	s_or_b32 exec_lo, exec_lo, s20
.LBB225_490:                            ;   in Loop: Header=BB225_11 Depth=1
	s_delay_alu instid0(SALU_CYCLE_1)
	s_or_b32 exec_lo, exec_lo, s19
.LBB225_491:                            ;   in Loop: Header=BB225_11 Depth=1
	s_delay_alu instid0(SALU_CYCLE_1)
	s_or_b32 exec_lo, exec_lo, s3
	flat_load_u8 v156, v[148:149] offset:1920
	s_mov_b32 s3, exec_lo
	s_waitcnt vmcnt(0) lgkmcnt(0)
	v_cmpx_ne_u16_e64 0, v156
	s_cbranch_execz .LBB225_499
; %bb.492:                              ;   in Loop: Header=BB225_11 Depth=1
	v_bfrev_b32_e32 v150, 1
	s_mov_b32 s19, exec_lo
	v_cmpx_ne_u16_e64 0x80, v156
	s_cbranch_execz .LBB225_498
; %bb.493:                              ;   in Loop: Header=BB225_11 Depth=1
	v_and_b32_e32 v134, 0xffff, v156
	v_mov_b32_e32 v150, 0x7f800001
	s_mov_b32 s20, exec_lo
	s_delay_alu instid0(VALU_DEP_2) | instskip(NEXT) | instid1(VALU_DEP_1)
	v_and_b32_e32 v157, 0x7f, v134
	v_cmpx_ne_u32_e32 0x7f, v157
	s_cbranch_execz .LBB225_497
; %bb.494:                              ;   in Loop: Header=BB225_11 Depth=1
	v_and_b32_e32 v134, 7, v134
	v_lshrrev_b32_e32 v150, 3, v157
	s_mov_b32 s21, exec_lo
	v_cmpx_gt_u32_e32 8, v157
; %bb.495:                              ;   in Loop: Header=BB225_11 Depth=1
	s_delay_alu instid0(VALU_DEP_3) | instskip(NEXT) | instid1(VALU_DEP_1)
	v_clz_i32_u32_e32 v150, v134
	v_min_u32_e32 v150, 32, v150
	s_delay_alu instid0(VALU_DEP_1) | instskip(SKIP_1) | instid1(VALU_DEP_2)
	v_subrev_nc_u32_e32 v157, 28, v150
	v_sub_nc_u32_e32 v150, 29, v150
	v_lshlrev_b64 v[157:158], v157, v[134:135]
	s_delay_alu instid0(VALU_DEP_1)
	v_and_b32_e32 v134, 7, v157
; %bb.496:                              ;   in Loop: Header=BB225_11 Depth=1
	s_or_b32 exec_lo, exec_lo, s21
	v_lshlrev_b32_e32 v156, 24, v156
	s_delay_alu instid0(VALU_DEP_2) | instskip(SKIP_1) | instid1(VALU_DEP_3)
	v_lshlrev_b32_e32 v134, 20, v134
	v_lshl_add_u32 v150, v150, 23, 0x3c000000
	v_and_b32_e32 v156, 0x80000000, v156
	s_delay_alu instid0(VALU_DEP_1)
	v_or3_b32 v150, v134, v156, v150
.LBB225_497:                            ;   in Loop: Header=BB225_11 Depth=1
	s_or_b32 exec_lo, exec_lo, s20
.LBB225_498:                            ;   in Loop: Header=BB225_11 Depth=1
	s_delay_alu instid0(SALU_CYCLE_1)
	s_or_b32 exec_lo, exec_lo, s19
.LBB225_499:                            ;   in Loop: Header=BB225_11 Depth=1
	s_delay_alu instid0(SALU_CYCLE_1)
	s_or_b32 exec_lo, exec_lo, s3
	flat_load_u8 v158, v[148:149] offset:1924
	v_dual_mov_b32 v156, 0 :: v_dual_mov_b32 v157, 0
	s_mov_b32 s3, exec_lo
	s_waitcnt vmcnt(0) lgkmcnt(0)
	v_cmpx_ne_u16_e64 0, v158
	s_cbranch_execz .LBB225_507
; %bb.500:                              ;   in Loop: Header=BB225_11 Depth=1
	v_bfrev_b32_e32 v157, 1
	s_mov_b32 s19, exec_lo
	v_cmpx_ne_u16_e64 0x80, v158
	s_cbranch_execz .LBB225_506
; %bb.501:                              ;   in Loop: Header=BB225_11 Depth=1
	v_and_b32_e32 v134, 0xffff, v158
	v_mov_b32_e32 v157, 0x7f800001
	s_mov_b32 s20, exec_lo
	s_delay_alu instid0(VALU_DEP_2) | instskip(NEXT) | instid1(VALU_DEP_1)
	v_and_b32_e32 v159, 0x7f, v134
	v_cmpx_ne_u32_e32 0x7f, v159
	s_cbranch_execz .LBB225_505
; %bb.502:                              ;   in Loop: Header=BB225_11 Depth=1
	v_and_b32_e32 v134, 7, v134
	v_lshrrev_b32_e32 v157, 3, v159
	s_mov_b32 s21, exec_lo
	v_cmpx_gt_u32_e32 8, v159
; %bb.503:                              ;   in Loop: Header=BB225_11 Depth=1
	s_delay_alu instid0(VALU_DEP_3) | instskip(NEXT) | instid1(VALU_DEP_1)
	v_clz_i32_u32_e32 v157, v134
	v_min_u32_e32 v157, 32, v157
	s_delay_alu instid0(VALU_DEP_1) | instskip(SKIP_1) | instid1(VALU_DEP_2)
	v_subrev_nc_u32_e32 v159, 28, v157
	v_sub_nc_u32_e32 v157, 29, v157
	v_lshlrev_b64 v[168:169], v159, v[134:135]
	s_delay_alu instid0(VALU_DEP_1)
	v_and_b32_e32 v134, 7, v168
; %bb.504:                              ;   in Loop: Header=BB225_11 Depth=1
	s_or_b32 exec_lo, exec_lo, s21
	v_lshlrev_b32_e32 v158, 24, v158
	s_delay_alu instid0(VALU_DEP_2) | instskip(SKIP_1) | instid1(VALU_DEP_3)
	v_lshlrev_b32_e32 v134, 20, v134
	v_lshl_add_u32 v157, v157, 23, 0x3c000000
	v_and_b32_e32 v158, 0x80000000, v158
	s_delay_alu instid0(VALU_DEP_1)
	v_or3_b32 v157, v134, v158, v157
.LBB225_505:                            ;   in Loop: Header=BB225_11 Depth=1
	s_or_b32 exec_lo, exec_lo, s20
.LBB225_506:                            ;   in Loop: Header=BB225_11 Depth=1
	s_delay_alu instid0(SALU_CYCLE_1)
	s_or_b32 exec_lo, exec_lo, s19
.LBB225_507:                            ;   in Loop: Header=BB225_11 Depth=1
	s_delay_alu instid0(SALU_CYCLE_1) | instskip(SKIP_1) | instid1(VALU_DEP_1)
	s_or_b32 exec_lo, exec_lo, s3
	v_add_co_u32 v148, s2, 0x780, v148
	v_add_co_ci_u32_e64 v149, s2, 0, v149, s2
	s_mov_b32 s3, exec_lo
	flat_load_u8 v158, v[148:149] offset:8
	s_waitcnt vmcnt(0) lgkmcnt(0)
	v_cmpx_ne_u16_e64 0, v158
	s_cbranch_execz .LBB225_515
; %bb.508:                              ;   in Loop: Header=BB225_11 Depth=1
	v_bfrev_b32_e32 v156, 1
	s_mov_b32 s19, exec_lo
	v_cmpx_ne_u16_e64 0x80, v158
	s_cbranch_execz .LBB225_514
; %bb.509:                              ;   in Loop: Header=BB225_11 Depth=1
	v_and_b32_e32 v134, 0xffff, v158
	v_mov_b32_e32 v156, 0x7f800001
	s_mov_b32 s20, exec_lo
	s_delay_alu instid0(VALU_DEP_2) | instskip(NEXT) | instid1(VALU_DEP_1)
	v_and_b32_e32 v159, 0x7f, v134
	v_cmpx_ne_u32_e32 0x7f, v159
	s_cbranch_execz .LBB225_513
; %bb.510:                              ;   in Loop: Header=BB225_11 Depth=1
	v_and_b32_e32 v134, 7, v134
	v_lshrrev_b32_e32 v156, 3, v159
	s_mov_b32 s21, exec_lo
	v_cmpx_gt_u32_e32 8, v159
; %bb.511:                              ;   in Loop: Header=BB225_11 Depth=1
	s_delay_alu instid0(VALU_DEP_3) | instskip(NEXT) | instid1(VALU_DEP_1)
	v_clz_i32_u32_e32 v156, v134
	v_min_u32_e32 v156, 32, v156
	s_delay_alu instid0(VALU_DEP_1) | instskip(SKIP_1) | instid1(VALU_DEP_2)
	v_subrev_nc_u32_e32 v159, 28, v156
	v_sub_nc_u32_e32 v156, 29, v156
	v_lshlrev_b64 v[168:169], v159, v[134:135]
	s_delay_alu instid0(VALU_DEP_1)
	v_and_b32_e32 v134, 7, v168
; %bb.512:                              ;   in Loop: Header=BB225_11 Depth=1
	s_or_b32 exec_lo, exec_lo, s21
	v_lshlrev_b32_e32 v158, 24, v158
	s_delay_alu instid0(VALU_DEP_2) | instskip(SKIP_1) | instid1(VALU_DEP_3)
	v_lshlrev_b32_e32 v134, 20, v134
	v_lshl_add_u32 v156, v156, 23, 0x3c000000
	v_and_b32_e32 v158, 0x80000000, v158
	s_delay_alu instid0(VALU_DEP_1)
	v_or3_b32 v156, v134, v158, v156
.LBB225_513:                            ;   in Loop: Header=BB225_11 Depth=1
	s_or_b32 exec_lo, exec_lo, s20
.LBB225_514:                            ;   in Loop: Header=BB225_11 Depth=1
	s_delay_alu instid0(SALU_CYCLE_1)
	s_or_b32 exec_lo, exec_lo, s19
.LBB225_515:                            ;   in Loop: Header=BB225_11 Depth=1
	s_delay_alu instid0(SALU_CYCLE_1)
	s_or_b32 exec_lo, exec_lo, s3
	flat_load_u8 v148, v[148:149] offset:12
	v_mov_b32_e32 v134, 0
	s_mov_b32 s3, exec_lo
	s_waitcnt vmcnt(0) lgkmcnt(0)
	v_cmpx_ne_u16_e64 0, v148
	s_cbranch_execz .LBB225_523
; %bb.516:                              ;   in Loop: Header=BB225_11 Depth=1
	v_bfrev_b32_e32 v134, 1
	s_mov_b32 s19, exec_lo
	v_cmpx_ne_u16_e64 0x80, v148
	s_cbranch_execz .LBB225_522
; %bb.517:                              ;   in Loop: Header=BB225_11 Depth=1
	v_and_b32_e32 v149, 0xffff, v148
	v_mov_b32_e32 v134, 0x7f800001
	s_mov_b32 s20, exec_lo
	s_delay_alu instid0(VALU_DEP_2) | instskip(NEXT) | instid1(VALU_DEP_1)
	v_and_b32_e32 v158, 0x7f, v149
	v_cmpx_ne_u32_e32 0x7f, v158
	s_cbranch_execz .LBB225_521
; %bb.518:                              ;   in Loop: Header=BB225_11 Depth=1
	v_and_b32_e32 v134, 7, v149
	v_lshrrev_b32_e32 v149, 3, v158
	s_mov_b32 s21, exec_lo
	v_cmpx_gt_u32_e32 8, v158
; %bb.519:                              ;   in Loop: Header=BB225_11 Depth=1
	s_delay_alu instid0(VALU_DEP_3) | instskip(NEXT) | instid1(VALU_DEP_1)
	v_clz_i32_u32_e32 v149, v134
	v_min_u32_e32 v149, 32, v149
	s_delay_alu instid0(VALU_DEP_1) | instskip(SKIP_1) | instid1(VALU_DEP_2)
	v_subrev_nc_u32_e32 v158, 28, v149
	v_sub_nc_u32_e32 v149, 29, v149
	v_lshlrev_b64 v[158:159], v158, v[134:135]
	s_delay_alu instid0(VALU_DEP_1)
	v_and_b32_e32 v134, 7, v158
; %bb.520:                              ;   in Loop: Header=BB225_11 Depth=1
	s_or_b32 exec_lo, exec_lo, s21
	v_lshlrev_b32_e32 v148, 24, v148
	s_delay_alu instid0(VALU_DEP_2) | instskip(SKIP_1) | instid1(VALU_DEP_3)
	v_lshlrev_b32_e32 v134, 20, v134
	v_lshl_add_u32 v149, v149, 23, 0x3c000000
	v_and_b32_e32 v148, 0x80000000, v148
	s_delay_alu instid0(VALU_DEP_1)
	v_or3_b32 v134, v134, v148, v149
.LBB225_521:                            ;   in Loop: Header=BB225_11 Depth=1
	s_or_b32 exec_lo, exec_lo, s20
.LBB225_522:                            ;   in Loop: Header=BB225_11 Depth=1
	s_delay_alu instid0(SALU_CYCLE_1)
	s_or_b32 exec_lo, exec_lo, s19
.LBB225_523:                            ;   in Loop: Header=BB225_11 Depth=1
	s_delay_alu instid0(SALU_CYCLE_1) | instskip(SKIP_4) | instid1(VALU_DEP_4)
	s_or_b32 exec_lo, exec_lo, s3
	v_mul_f32_e32 v148, v40, v43
	v_mul_f32_e32 v149, v40, v41
	;; [unrolled: 1-line block ×4, first 2 shown]
	v_dual_mul_f32 v148, v7, v148 :: v_dual_mul_f32 v41, v40, v42
	s_delay_alu instid0(VALU_DEP_1) | instskip(SKIP_1) | instid1(VALU_DEP_2)
	v_fmac_f32_e32 v148, v6, v149
	v_mul_f32_e32 v149, v40, v45
	v_fmac_f32_e32 v148, v8, v41
	s_delay_alu instid0(VALU_DEP_1) | instskip(NEXT) | instid1(VALU_DEP_1)
	v_dual_mul_f32 v41, v40, v44 :: v_dual_fmac_f32 v148, v9, v149
	v_fmac_f32_e32 v148, v16, v41
	v_mul_f32_e32 v41, v40, v46
	v_mul_f32_e32 v149, v40, v47
	s_delay_alu instid0(VALU_DEP_1) | instskip(SKIP_1) | instid1(VALU_DEP_2)
	v_fmac_f32_e32 v148, v17, v149
	v_mul_f32_e32 v149, v40, v57
	v_dual_fmac_f32 v148, v18, v41 :: v_dual_mul_f32 v41, v40, v56
	s_delay_alu instid0(VALU_DEP_1) | instskip(NEXT) | instid1(VALU_DEP_1)
	v_fmac_f32_e32 v148, v19, v149
	v_fmac_f32_e32 v148, v28, v41
	v_mul_f32_e32 v41, v40, v58
	v_mul_f32_e32 v149, v40, v59
	s_delay_alu instid0(VALU_DEP_1) | instskip(SKIP_1) | instid1(VALU_DEP_2)
	v_fmac_f32_e32 v148, v29, v149
	v_mul_f32_e32 v149, v40, v61
	v_dual_fmac_f32 v148, v30, v41 :: v_dual_mul_f32 v41, v40, v60
	s_delay_alu instid0(VALU_DEP_1) | instskip(NEXT) | instid1(VALU_DEP_1)
	v_fmac_f32_e32 v148, v31, v149
	;; [unrolled: 9-line block ×13, first 2 shown]
	v_fmac_f32_e32 v148, v116, v41
	v_mul_f32_e32 v41, v40, v154
	v_mul_f32_e32 v149, v40, v155
	s_delay_alu instid0(VALU_DEP_1) | instskip(NEXT) | instid1(VALU_DEP_1)
	v_dual_fmac_f32 v148, v117, v149 :: v_dual_mul_f32 v149, v40, v151
	v_fmac_f32_e32 v148, v118, v41
	s_delay_alu instid0(VALU_DEP_1) | instskip(SKIP_1) | instid1(VALU_DEP_2)
	v_fmac_f32_e32 v148, v119, v149
	v_mul_f32_e32 v149, v40, v157
	v_fmac_f32_e32 v148, v128, v150
	v_mul_f32_e32 v150, v40, v156
	s_delay_alu instid0(VALU_DEP_2) | instskip(NEXT) | instid1(VALU_DEP_1)
	v_fmac_f32_e32 v148, v129, v149
	v_fmac_f32_e32 v148, v130, v150
	s_delay_alu instid0(VALU_DEP_1)
	v_fmac_f32_e32 v148, v131, v134
	ds_bpermute_b32 v134, v177, v148
	s_waitcnt lgkmcnt(0)
	v_add_f32_e32 v134, v148, v134
	ds_bpermute_b32 v148, v178, v134
	s_and_saveexec_b32 s3, vcc_lo
	s_cbranch_execz .LBB225_10
; %bb.524:                              ;   in Loop: Header=BB225_11 Depth=1
	s_waitcnt lgkmcnt(0)
	v_dual_add_f32 v134, v134, v148 :: v_dual_add_nc_u32 v149, v180, v181
	s_load_b32 s19, s[8:9], 0x0
	v_cmp_lt_i32_e64 s2, v181, v161
	s_delay_alu instid0(VALU_DEP_2) | instskip(NEXT) | instid1(VALU_DEP_1)
	v_cvt_f32_i32_e32 v149, v149
	v_mul_f32_e32 v149, v165, v149
	s_delay_alu instid0(VALU_DEP_1) | instskip(NEXT) | instid1(VALU_DEP_1)
	v_cndmask_b32_e64 v148, 0, v149, s1
	v_dual_max_f32 v149, v179, v179 :: v_dual_fmac_f32 v148, v134, v13
	s_waitcnt lgkmcnt(0)
	s_delay_alu instid0(VALU_DEP_1) | instskip(SKIP_1) | instid1(VALU_DEP_2)
	v_dual_max_f32 v134, v149, v148 :: v_dual_add_nc_u32 v149, s19, v182
	v_cndmask_b32_e64 v148, 0, v148, s2
	v_cndmask_b32_e64 v179, v179, v134, s2
	ds_store_b32 v149, v148
	s_branch .LBB225_10
.LBB225_525:
	s_or_b32 exec_lo, exec_lo, s7
.LBB225_526:
	s_delay_alu instid0(SALU_CYCLE_1) | instskip(SKIP_4) | instid1(VALU_DEP_4)
	s_or_b32 exec_lo, exec_lo, s18
	v_xor_b32_e32 v6, 16, v167
	v_xor_b32_e32 v7, 8, v167
	v_and_b32_e32 v25, 31, v160
	v_max_f32_e32 v13, v179, v179
	v_cmp_lt_i32_e32 vcc_lo, v6, v176
	v_cndmask_b32_e32 v6, v167, v6, vcc_lo
	v_cmp_lt_i32_e32 vcc_lo, v7, v176
	v_cndmask_b32_e32 v7, v167, v7, vcc_lo
	s_delay_alu instid0(VALU_DEP_1) | instskip(NEXT) | instid1(VALU_DEP_4)
	v_lshlrev_b32_e32 v9, 2, v7
	v_lshlrev_b32_e32 v8, 2, v6
	ds_bpermute_b32 v6, v8, v179
	s_waitcnt lgkmcnt(0)
	v_max_f32_e32 v6, v6, v6
	s_delay_alu instid0(VALU_DEP_1)
	v_max_f32_e32 v6, v13, v6
	v_xor_b32_e32 v13, 4, v167
	ds_bpermute_b32 v7, v9, v6
	v_cmp_lt_i32_e32 vcc_lo, v13, v176
	s_waitcnt lgkmcnt(0)
	v_max_f32_e32 v7, v7, v7
	v_cndmask_b32_e32 v13, v167, v13, vcc_lo
	v_cmp_eq_u32_e32 vcc_lo, 0, v25
	s_delay_alu instid0(VALU_DEP_2)
	v_dual_max_f32 v6, v6, v7 :: v_dual_lshlrev_b32 v17, 2, v13
	v_lshlrev_b32_e32 v13, 2, v162
	ds_bpermute_b32 v7, v17, v6
	s_and_saveexec_b32 s1, vcc_lo
	s_cbranch_execz .LBB225_528
; %bb.527:
	s_waitcnt lgkmcnt(0)
	v_dual_max_f32 v7, v7, v7 :: v_dual_max_f32 v6, v6, v6
	s_delay_alu instid0(VALU_DEP_1)
	v_max_f32_e32 v6, v6, v7
	ds_store_b32 v13, v6 offset:1024
.LBB225_528:
	s_or_b32 exec_lo, exec_lo, s1
	v_cmp_gt_u32_e64 s1, 4, v25
	v_mov_b32_e32 v6, 0xff7fffff
	v_lshlrev_b32_e32 v16, 2, v25
	s_waitcnt lgkmcnt(0)
	s_barrier
	buffer_gl0_inv
	s_and_saveexec_b32 s2, s1
	s_cbranch_execz .LBB225_530
; %bb.529:
	ds_load_b32 v6, v16 offset:1024
.LBB225_530:
	s_or_b32 exec_lo, exec_lo, s2
	v_xor_b32_e32 v7, 2, v167
	v_xor_b32_e32 v19, 1, v167
	v_subrev_nc_u32_e32 v24, s17, v163
	s_delay_alu instid0(VALU_DEP_3) | instskip(NEXT) | instid1(VALU_DEP_1)
	v_cmp_lt_i32_e64 s2, v7, v176
	v_cndmask_b32_e64 v7, v167, v7, s2
	s_delay_alu instid0(VALU_DEP_4) | instskip(NEXT) | instid1(VALU_DEP_2)
	v_cmp_lt_i32_e64 s2, v19, v176
	v_lshlrev_b32_e32 v18, 2, v7
	s_delay_alu instid0(VALU_DEP_2)
	v_cndmask_b32_e64 v19, v167, v19, s2
	s_waitcnt lgkmcnt(0)
	ds_bpermute_b32 v7, v18, v6
	v_max_f32_e32 v6, v6, v6
	v_lshlrev_b32_e32 v28, 2, v19
	v_lshlrev_b32_e32 v19, 2, v167
	s_delay_alu instid0(VALU_DEP_1) | instskip(SKIP_2) | instid1(VALU_DEP_1)
	v_and_b32_e32 v19, 0xffffff80, v19
	s_waitcnt lgkmcnt(0)
	v_max_f32_e32 v7, v7, v7
	v_max_f32_e32 v6, v6, v7
	ds_bpermute_b32 v7, v28, v6
	s_waitcnt lgkmcnt(0)
	v_max_f32_e32 v7, v7, v7
	s_delay_alu instid0(VALU_DEP_1) | instskip(SKIP_4) | instid1(VALU_DEP_1)
	v_max_f32_e32 v6, v6, v7
	v_lshl_add_u32 v7, v24, 3, s11
	v_mov_b32_e32 v24, 0
	ds_bpermute_b32 v6, v19, v6
	v_min_i32_e32 v7, v7, v161
	v_subrev_nc_u32_e32 v7, s11, v7
	s_delay_alu instid0(VALU_DEP_1) | instskip(NEXT) | instid1(VALU_DEP_1)
	v_cmp_lt_i32_e64 s2, v160, v7
	s_and_saveexec_b32 s8, s2
	s_cbranch_execz .LBB225_534
; %bb.531:
	s_getpc_b64 s[18:19]
	s_add_u32 s18, s18, llvm.amdgcn.dynlds.offset.table@rel32@lo+4
	s_addc_u32 s19, s19, llvm.amdgcn.dynlds.offset.table@rel32@hi+12
	s_ashr_i32 s7, s6, 31
	v_mov_b32_e32 v24, 0
	s_lshl_b64 s[20:21], s[6:7], 2
	v_mov_b32_e32 v30, v160
	s_add_u32 s18, s20, s18
	s_addc_u32 s19, s21, s19
	s_mov_b32 s7, 0
	s_load_b32 s3, s[18:19], 0x0
	s_waitcnt lgkmcnt(0)
	v_lshl_add_u32 v29, v160, 2, s3
	.p2align	6
.LBB225_532:                            ; =>This Inner Loop Header: Depth=1
	ds_load_b32 v31, v29
	v_add_nc_u32_e32 v30, 0x80, v30
	s_delay_alu instid0(VALU_DEP_1) | instskip(NEXT) | instid1(VALU_DEP_1)
	v_cmp_ge_i32_e64 s3, v30, v7
	s_or_b32 s7, s3, s7
	s_waitcnt lgkmcnt(0)
	v_sub_f32_e32 v31, v31, v6
	s_delay_alu instid0(VALU_DEP_1) | instskip(NEXT) | instid1(VALU_DEP_1)
	v_mul_f32_e32 v31, 0x3fb8aa3b, v31
	v_exp_f32_e32 v31, v31
	ds_store_b32 v29, v31
	v_dual_add_f32 v24, v24, v31 :: v_dual_add_nc_u32 v29, 0x200, v29
	s_and_not1_b32 exec_lo, exec_lo, s7
	s_cbranch_execnz .LBB225_532
; %bb.533:
	s_or_b32 exec_lo, exec_lo, s7
.LBB225_534:
	s_delay_alu instid0(SALU_CYCLE_1)
	s_or_b32 exec_lo, exec_lo, s8
	ds_bpermute_b32 v8, v8, v24
	s_waitcnt lgkmcnt(0)
	v_add_f32_e32 v8, v24, v8
	ds_bpermute_b32 v9, v9, v8
	s_waitcnt lgkmcnt(0)
	v_add_f32_e32 v8, v8, v9
	;; [unrolled: 3-line block ×5, first 2 shown]
	s_and_saveexec_b32 s3, vcc_lo
	s_cbranch_execz .LBB225_536
; %bb.535:
	ds_store_b32 v13, v8 offset:1040
.LBB225_536:
	s_or_b32 exec_lo, exec_lo, s3
	s_waitcnt lgkmcnt(0)
	s_barrier
	buffer_gl0_inv
	s_and_saveexec_b32 s3, s1
	s_cbranch_execz .LBB225_538
; %bb.537:
	ds_load_b32 v8, v16 offset:1040
.LBB225_538:
	s_or_b32 exec_lo, exec_lo, s3
	s_waitcnt lgkmcnt(0)
	ds_bpermute_b32 v9, v18, v8
	s_waitcnt lgkmcnt(0)
	v_add_f32_e32 v8, v8, v9
	ds_bpermute_b32 v9, v28, v8
	s_waitcnt lgkmcnt(0)
	v_add_f32_e32 v8, v8, v9
	ds_bpermute_b32 v8, v19, v8
	s_and_saveexec_b32 s1, s2
	s_cbranch_execz .LBB225_541
; %bb.539:
	s_waitcnt lgkmcnt(0)
	v_add_f32_e32 v13, 0x358637bd, v8
	s_getpc_b64 s[2:3]
	s_add_u32 s2, s2, llvm.amdgcn.dynlds.offset.table@rel32@lo+4
	s_addc_u32 s3, s3, llvm.amdgcn.dynlds.offset.table@rel32@hi+12
	s_ashr_i32 s7, s6, 31
	s_delay_alu instid0(SALU_CYCLE_1) | instskip(SKIP_3) | instid1(VALU_DEP_2)
	s_lshl_b64 s[8:9], s[6:7], 2
	v_div_scale_f32 v9, null, v13, v13, 1.0
	v_div_scale_f32 v18, vcc_lo, 1.0, v13, 1.0
	s_add_u32 s2, s8, s2
	v_rcp_f32_e32 v16, v9
	s_addc_u32 s3, s9, s3
	s_load_b32 s2, s[2:3], 0x0
	s_waitcnt_depctr 0xfff
	v_fma_f32 v17, -v9, v16, 1.0
	s_delay_alu instid0(VALU_DEP_1) | instskip(NEXT) | instid1(VALU_DEP_1)
	v_fmac_f32_e32 v16, v17, v16
	v_mul_f32_e32 v17, v18, v16
	s_delay_alu instid0(VALU_DEP_1) | instskip(NEXT) | instid1(VALU_DEP_1)
	v_fma_f32 v19, -v9, v17, v18
	v_fmac_f32_e32 v17, v19, v16
	s_delay_alu instid0(VALU_DEP_1) | instskip(NEXT) | instid1(VALU_DEP_1)
	v_fma_f32 v9, -v9, v17, v18
	v_div_fmas_f32 v16, v9, v16, v17
	s_waitcnt lgkmcnt(0)
	v_lshl_add_u32 v9, v160, 2, s2
	s_mov_b32 s2, 0
	s_delay_alu instid0(VALU_DEP_2)
	v_div_fixup_f32 v13, v16, v13, 1.0
	v_mov_b32_e32 v16, v160
.LBB225_540:                            ; =>This Inner Loop Header: Depth=1
	ds_load_b32 v17, v9
	s_waitcnt lgkmcnt(0)
	v_dual_mul_f32 v17, v13, v17 :: v_dual_add_nc_u32 v16, 0x80, v16
	s_delay_alu instid0(VALU_DEP_1) | instskip(SKIP_3) | instid1(SALU_CYCLE_1)
	v_cmp_ge_i32_e32 vcc_lo, v16, v7
	ds_store_b32 v9, v17
	v_add_nc_u32_e32 v9, 0x200, v9
	s_or_b32 s2, vcc_lo, s2
	s_and_not1_b32 exec_lo, exec_lo, s2
	s_cbranch_execnz .LBB225_540
.LBB225_541:
	s_or_b32 exec_lo, exec_lo, s1
	v_cmp_ne_u16_e64 s1, s5, 0
	s_mov_b32 s5, exec_lo
	s_waitcnt lgkmcnt(0)
	s_barrier
	buffer_gl0_inv
	s_cmp_lg_u32 s1, 0
	s_addc_u32 s1, s13, 0
	s_delay_alu instid0(SALU_CYCLE_1) | instskip(NEXT) | instid1(SALU_CYCLE_1)
	s_mul_i32 s2, s1, s10
	s_mul_i32 s2, s2, s15
	v_cmpx_eq_u32_e32 0, v160
	s_cbranch_execz .LBB225_543
; %bb.542:
	s_mul_i32 s8, s1, s12
	s_ashr_i32 s15, s14, 31
	s_ashr_i32 s9, s8, 31
	;; [unrolled: 1-line block ×3, first 2 shown]
	s_lshl_b64 s[8:9], s[8:9], 2
	s_lshl_b64 s[12:13], s[14:15], 2
	;; [unrolled: 1-line block ×3, first 2 shown]
	s_add_u32 s3, s12, s8
	s_addc_u32 s7, s13, s9
	s_add_u32 s3, s3, s18
	s_addc_u32 s7, s7, s19
	v_add_co_u32 v2, vcc_lo, s3, v2
	v_add_co_ci_u32_e32 v3, vcc_lo, s7, v3, vcc_lo
	v_add_co_u32 v0, vcc_lo, s3, v0
	v_add_co_ci_u32_e32 v1, vcc_lo, s7, v1, vcc_lo
	flat_store_b32 v[2:3], v6
	flat_store_b32 v[0:1], v8
.LBB225_543:
	s_or_b32 exec_lo, exec_lo, s5
                                        ; implicit-def: $sgpr5
	s_and_saveexec_b32 s3, s0
	s_delay_alu instid0(SALU_CYCLE_1)
	s_xor_b32 s0, exec_lo, s3
; %bb.544:
	s_ashr_i32 s7, s6, 31
	s_mov_b32 s5, 0
                                        ; implicit-def: $vgpr161
                                        ; implicit-def: $vgpr12
                                        ; implicit-def: $vgpr163
                                        ; implicit-def: $vgpr20
                                        ; implicit-def: $vgpr10
                                        ; implicit-def: $vgpr11
                                        ; implicit-def: $vgpr14
                                        ; implicit-def: $vgpr15
                                        ; implicit-def: $vgpr22
                                        ; implicit-def: $vgpr26_vgpr27
                                        ; implicit-def: $vgpr23
                                        ; implicit-def: $vgpr164
                                        ; implicit-def: $vgpr132_vgpr133
; %bb.545:
	s_or_saveexec_b32 s3, s0
	v_dual_mov_b32 v51, s5 :: v_dual_mov_b32 v0, s6
	v_dual_mov_b32 v1, s7 :: v_dual_mov_b32 v52, s5
	v_dual_mov_b32 v50, s5 :: v_dual_and_b32 v29, 1, v160
	v_dual_mov_b32 v53, s5 :: v_dual_mov_b32 v48, s5
	v_dual_mov_b32 v49, s5 :: v_dual_mov_b32 v38, s5
	;; [unrolled: 1-line block ×6, first 2 shown]
	v_mov_b32_e32 v31, s5
	s_xor_b32 exec_lo, exec_lo, s3
	s_cbranch_execz .LBB225_1093
; %bb.546:
	flat_load_b32 v26, v[26:27]
	s_ashr_i32 s7, s6, 31
	s_getpc_b64 s[8:9]
	s_add_u32 s8, s8, llvm.amdgcn.dynlds.offset.table@rel32@lo+4
	s_addc_u32 s9, s9, llvm.amdgcn.dynlds.offset.table@rel32@hi+12
	v_add_co_u32 v3, vcc_lo, v10, v23
	v_lshl_add_u32 v10, v162, 3, s11
	s_lshl_b64 s[10:11], s[6:7], 2
	v_dual_mov_b32 v7, 0 :: v_dual_lshlrev_b32 v2, 2, v160
	s_add_u32 s8, s10, s8
	s_addc_u32 s9, s11, s9
	v_lshlrev_b64 v[0:1], 2, v[20:21]
	s_load_b32 s0, s[8:9], 0x0
	v_add_co_ci_u32_e32 v6, vcc_lo, v11, v164, vcc_lo
	v_dual_mov_b32 v31, 0 :: v_dual_lshlrev_b32 v8, 4, v29
	v_and_b32_e32 v11, 4, v2
	v_and_b32_e32 v2, 0x7c, v2
	v_add_co_u32 v0, vcc_lo, v132, v0
	v_add_co_ci_u32_e32 v1, vcc_lo, v133, v1, vcc_lo
	v_dual_mov_b32 v30, 0 :: v_dual_add_nc_u32 v27, -1, v12
	v_lshl_or_b32 v12, v162, 5, v8
	v_add3_u32 v21, v10, v11, 3
	v_dual_mov_b32 v32, 0 :: v_dual_mov_b32 v33, 0
	v_dual_mov_b32 v34, 0 :: v_dual_mov_b32 v35, 0
	;; [unrolled: 1-line block ×7, first 2 shown]
	s_waitcnt lgkmcnt(0)
	v_add_nc_u32_e32 v54, s0, v12
	s_mov_b32 s8, 0
	s_brev_b32 s9, 1
	s_mov_b32 s11, 0x7f800001
	s_mov_b32 s5, s8
	s_waitcnt vmcnt(0)
	v_mov_b32_e32 v55, v26
	v_add_co_u32 v8, vcc_lo, v3, v2
	v_add_co_ci_u32_e32 v9, vcc_lo, 0, v6, vcc_lo
	v_add_co_u32 v10, vcc_lo, v14, v0
	v_add_co_ci_u32_e32 v11, vcc_lo, v15, v1, vcc_lo
	s_branch .LBB225_548
.LBB225_547:                            ;   in Loop: Header=BB225_548 Depth=1
	s_or_b32 exec_lo, exec_lo, s0
	v_mul_f32_e32 v16, v1, v182
	v_mul_f32_e32 v15, v1, v40
	;; [unrolled: 1-line block ×4, first 2 shown]
	v_add_co_u32 v10, s0, v10, 16
	v_fmac_f32_e32 v16, v0, v181
	s_delay_alu instid0(VALU_DEP_4) | instskip(SKIP_1) | instid1(VALU_DEP_3)
	v_dual_fmac_f32 v18, v0, v165 :: v_dual_mul_f32 v19, v1, v150
	v_dual_fmac_f32 v15, v0, v183 :: v_dual_mul_f32 v68, v1, v146
	v_dual_fmac_f32 v16, v2, v180 :: v_dual_fmac_f32 v17, v0, v177
	s_delay_alu instid0(VALU_DEP_3) | instskip(NEXT) | instid1(VALU_DEP_3)
	v_fmac_f32_e32 v19, v0, v149
	v_dual_fmac_f32 v15, v2, v24 :: v_dual_fmac_f32 v68, v0, v145
	s_delay_alu instid0(VALU_DEP_3) | instskip(NEXT) | instid1(VALU_DEP_2)
	v_dual_fmac_f32 v16, v3, v179 :: v_dual_fmac_f32 v17, v2, v176
	v_dual_fmac_f32 v18, v2, v164 :: v_dual_fmac_f32 v15, v3, v23
	s_delay_alu instid0(VALU_DEP_4) | instskip(NEXT) | instid1(VALU_DEP_4)
	v_fmac_f32_e32 v19, v2, v148
	v_fmac_f32_e32 v68, v2, v144
	s_delay_alu instid0(VALU_DEP_4) | instskip(NEXT) | instid1(VALU_DEP_4)
	v_dual_add_f32 v32, v32, v16 :: v_dual_fmac_f32 v17, v3, v167
	v_fmac_f32_e32 v18, v3, v151
	s_delay_alu instid0(VALU_DEP_4) | instskip(SKIP_2) | instid1(VALU_DEP_3)
	v_fmac_f32_e32 v19, v3, v147
	v_add_f32_e32 v31, v31, v15
	v_dual_fmac_f32 v68, v3, v135 :: v_dual_mul_f32 v15, v1, v134
	v_dual_add_f32 v34, v34, v18 :: v_dual_add_f32 v35, v35, v19
	v_mul_f32_e32 v16, v1, v130
	s_delay_alu instid0(VALU_DEP_3) | instskip(NEXT) | instid1(VALU_DEP_4)
	v_dual_add_f32 v33, v33, v17 :: v_dual_add_f32 v36, v36, v68
	v_dual_fmac_f32 v15, v0, v133 :: v_dual_mul_f32 v18, v1, v114
	s_delay_alu instid0(VALU_DEP_3) | instskip(SKIP_2) | instid1(VALU_DEP_4)
	v_dual_mul_f32 v17, v1, v118 :: v_dual_fmac_f32 v16, v0, v129
	v_mul_f32_e32 v19, v1, v102
	v_add_co_ci_u32_e64 v11, s0, 0, v11, s0
	v_fmac_f32_e32 v18, v0, v113
	s_delay_alu instid0(VALU_DEP_4) | instskip(SKIP_1) | instid1(VALU_DEP_3)
	v_dual_fmac_f32 v17, v0, v117 :: v_dual_fmac_f32 v16, v2, v128
	v_fmac_f32_e32 v15, v2, v132
	v_dual_fmac_f32 v19, v0, v101 :: v_dual_fmac_f32 v18, v2, v112
	s_delay_alu instid0(VALU_DEP_3) | instskip(NEXT) | instid1(VALU_DEP_3)
	v_dual_fmac_f32 v17, v2, v116 :: v_dual_fmac_f32 v16, v3, v119
	v_fmac_f32_e32 v15, v3, v131
	s_delay_alu instid0(VALU_DEP_3) | instskip(NEXT) | instid1(VALU_DEP_3)
	v_dual_fmac_f32 v18, v3, v103 :: v_dual_add_nc_u32 v21, 32, v21
	v_dual_fmac_f32 v17, v3, v115 :: v_dual_add_f32 v38, v38, v16
	v_mul_f32_e32 v16, v1, v86
	s_delay_alu instid0(VALU_DEP_4) | instskip(NEXT) | instid1(VALU_DEP_4)
	v_add_f32_e32 v37, v37, v15
	v_dual_fmac_f32 v19, v2, v100 :: v_dual_add_f32 v48, v48, v18
	s_delay_alu instid0(VALU_DEP_4) | instskip(NEXT) | instid1(VALU_DEP_4)
	v_dual_add_f32 v39, v39, v17 :: v_dual_mul_f32 v18, v1, v67
	v_dual_fmac_f32 v16, v0, v85 :: v_dual_mul_f32 v15, v1, v98
	s_delay_alu instid0(VALU_DEP_3) | instskip(NEXT) | instid1(VALU_DEP_3)
	v_dual_fmac_f32 v19, v3, v99 :: v_dual_add_nc_u32 v54, 0x80, v54
	v_fmac_f32_e32 v18, v0, v66
	s_delay_alu instid0(VALU_DEP_3) | instskip(NEXT) | instid1(VALU_DEP_3)
	v_dual_fmac_f32 v16, v2, v84 :: v_dual_fmac_f32 v15, v0, v97
	v_dual_add_f32 v49, v49, v19 :: v_dual_add_nc_u32 v20, 4, v20
	s_delay_alu instid0(VALU_DEP_3) | instskip(NEXT) | instid1(VALU_DEP_3)
	v_fmac_f32_e32 v18, v2, v65
	v_dual_fmac_f32 v16, v3, v83 :: v_dual_fmac_f32 v15, v2, v96
	s_delay_alu instid0(VALU_DEP_3) | instskip(NEXT) | instid1(VALU_DEP_3)
	v_cmp_ge_i32_e32 vcc_lo, v20, v163
	v_fmac_f32_e32 v18, v3, v64
	s_delay_alu instid0(VALU_DEP_3) | instskip(SKIP_2) | instid1(VALU_DEP_4)
	v_dual_add_f32 v52, v52, v16 :: v_dual_fmac_f32 v15, v3, v87
	v_mul_f32_e32 v17, v1, v82
	v_mul_f32_e32 v1, v1, v14
	v_add_f32_e32 v51, v51, v18
	s_or_b32 s5, vcc_lo, s5
	s_delay_alu instid0(VALU_DEP_3) | instskip(NEXT) | instid1(VALU_DEP_3)
	v_dual_add_f32 v50, v50, v15 :: v_dual_fmac_f32 v17, v0, v81
	v_fmac_f32_e32 v1, v0, v13
	s_delay_alu instid0(VALU_DEP_2) | instskip(NEXT) | instid1(VALU_DEP_2)
	v_fmac_f32_e32 v17, v2, v80
	v_fmac_f32_e32 v1, v2, v12
	s_delay_alu instid0(VALU_DEP_1) | instskip(NEXT) | instid1(VALU_DEP_1)
	v_fmac_f32_e32 v1, v3, v6
	v_dual_fmac_f32 v17, v3, v71 :: v_dual_add_f32 v30, v30, v1
	s_delay_alu instid0(VALU_DEP_1)
	v_add_f32_e32 v53, v53, v17
	s_and_not1_b32 exec_lo, exec_lo, s5
	s_cbranch_execz .LBB225_1092
.LBB225_548:                            ; =>This Inner Loop Header: Depth=1
	flat_load_b32 v0, v[10:11]
	v_mov_b32_e32 v16, 0
	s_mov_b32 s0, exec_lo
	s_waitcnt vmcnt(0) lgkmcnt(0)
	v_mad_i64_i32 v[12:13], null, v0, v22, v[8:9]
	ds_load_b128 v[0:3], v54
	flat_load_b32 v64, v[12:13]
	s_waitcnt vmcnt(0) lgkmcnt(0)
	v_dual_mov_b32 v17, 0 :: v_dual_and_b32 v6, 0xff, v64
	s_delay_alu instid0(VALU_DEP_1) | instskip(NEXT) | instid1(VALU_DEP_2)
	v_dual_mov_b32 v14, v16 :: v_dual_mov_b32 v15, v17
	v_cmpx_ne_u16_e32 0, v6
	s_cbranch_execz .LBB225_556
; %bb.549:                              ;   in Loop: Header=BB225_548 Depth=1
	v_bfrev_b32_e32 v14, 1
	v_mov_b32_e32 v15, 0
	s_mov_b32 s10, exec_lo
	v_cmpx_ne_u16_e32 0x80, v6
	s_cbranch_execz .LBB225_555
; %bb.550:                              ;   in Loop: Header=BB225_548 Depth=1
	v_mov_b32_e32 v14, 0x7f800001
	v_dual_mov_b32 v15, 0 :: v_dual_and_b32 v18, 0x7f, v64
	s_mov_b32 s12, exec_lo
	s_delay_alu instid0(VALU_DEP_1)
	v_cmpx_ne_u32_e32 0x7f, v18
	s_cbranch_execz .LBB225_554
; %bb.551:                              ;   in Loop: Header=BB225_548 Depth=1
	v_and_b32_e32 v6, 7, v64
	v_lshrrev_b32_e32 v14, 3, v18
	s_mov_b32 s13, exec_lo
	v_cmpx_gt_u32_e32 8, v18
; %bb.552:                              ;   in Loop: Header=BB225_548 Depth=1
	s_delay_alu instid0(VALU_DEP_3) | instskip(NEXT) | instid1(VALU_DEP_1)
	v_clz_i32_u32_e32 v14, v6
	v_min_u32_e32 v14, 32, v14
	s_delay_alu instid0(VALU_DEP_1) | instskip(SKIP_1) | instid1(VALU_DEP_2)
	v_subrev_nc_u32_e32 v15, 28, v14
	v_sub_nc_u32_e32 v14, 29, v14
	v_lshlrev_b64 v[18:19], v15, v[6:7]
	s_delay_alu instid0(VALU_DEP_1)
	v_and_b32_e32 v6, 7, v18
; %bb.553:                              ;   in Loop: Header=BB225_548 Depth=1
	s_or_b32 exec_lo, exec_lo, s13
	v_lshlrev_b32_e32 v15, 24, v64
	s_delay_alu instid0(VALU_DEP_2) | instskip(SKIP_1) | instid1(VALU_DEP_3)
	v_lshlrev_b32_e32 v6, 20, v6
	v_lshl_add_u32 v14, v14, 23, 0x3c000000
	v_and_b32_e32 v15, 0x80000000, v15
	s_delay_alu instid0(VALU_DEP_1) | instskip(NEXT) | instid1(VALU_DEP_1)
	v_or3_b32 v6, v6, v15, v14
	v_dual_mov_b32 v15, v7 :: v_dual_mov_b32 v14, v6
.LBB225_554:                            ;   in Loop: Header=BB225_548 Depth=1
	s_or_b32 exec_lo, exec_lo, s12
.LBB225_555:                            ;   in Loop: Header=BB225_548 Depth=1
	s_delay_alu instid0(SALU_CYCLE_1)
	s_or_b32 exec_lo, exec_lo, s10
.LBB225_556:                            ;   in Loop: Header=BB225_548 Depth=1
	s_delay_alu instid0(SALU_CYCLE_1) | instskip(SKIP_2) | instid1(VALU_DEP_1)
	s_or_b32 exec_lo, exec_lo, s0
	v_lshrrev_b16 v6, 8, v64
	s_mov_b32 s0, exec_lo
	v_cmpx_ne_u16_e32 0, v6
	s_cbranch_execz .LBB225_564
; %bb.557:                              ;   in Loop: Header=BB225_548 Depth=1
	v_dual_mov_b32 v17, s9 :: v_dual_mov_b32 v16, s8
	s_mov_b32 s12, exec_lo
	v_cmpx_ne_u16_e32 0x80, v6
	s_cbranch_execz .LBB225_563
; %bb.558:                              ;   in Loop: Header=BB225_548 Depth=1
	s_mov_b32 s10, s8
	v_dual_mov_b32 v17, s11 :: v_dual_and_b32 v6, 0xffff, v6
	v_mov_b32_e32 v16, s10
	s_mov_b32 s10, exec_lo
	s_delay_alu instid0(VALU_DEP_2) | instskip(NEXT) | instid1(VALU_DEP_1)
	v_and_b32_e32 v18, 0x7f, v6
	v_cmpx_ne_u32_e32 0x7f, v18
	s_cbranch_execz .LBB225_562
; %bb.559:                              ;   in Loop: Header=BB225_548 Depth=1
	v_and_b32_e32 v6, 7, v6
	v_lshrrev_b32_e32 v16, 3, v18
	s_mov_b32 s13, exec_lo
	v_cmpx_gt_u32_e32 8, v18
; %bb.560:                              ;   in Loop: Header=BB225_548 Depth=1
	s_delay_alu instid0(VALU_DEP_3) | instskip(NEXT) | instid1(VALU_DEP_1)
	v_clz_i32_u32_e32 v16, v6
	v_min_u32_e32 v16, 32, v16
	s_delay_alu instid0(VALU_DEP_1) | instskip(SKIP_1) | instid1(VALU_DEP_2)
	v_subrev_nc_u32_e32 v17, 28, v16
	v_sub_nc_u32_e32 v16, 29, v16
	v_lshlrev_b64 v[17:18], v17, v[6:7]
	s_delay_alu instid0(VALU_DEP_1)
	v_and_b32_e32 v6, 7, v17
; %bb.561:                              ;   in Loop: Header=BB225_548 Depth=1
	s_or_b32 exec_lo, exec_lo, s13
	v_lshlrev_b32_e32 v17, 16, v64
	s_delay_alu instid0(VALU_DEP_2) | instskip(SKIP_1) | instid1(VALU_DEP_3)
	v_lshlrev_b32_e32 v6, 20, v6
	v_lshl_add_u32 v16, v16, 23, 0x3c000000
	v_and_b32_e32 v17, 0x80000000, v17
	s_delay_alu instid0(VALU_DEP_1)
	v_or3_b32 v17, v6, v17, v16
	v_mov_b32_e32 v16, v7
.LBB225_562:                            ;   in Loop: Header=BB225_548 Depth=1
	s_or_b32 exec_lo, exec_lo, s10
.LBB225_563:                            ;   in Loop: Header=BB225_548 Depth=1
	s_delay_alu instid0(SALU_CYCLE_1)
	s_or_b32 exec_lo, exec_lo, s12
.LBB225_564:                            ;   in Loop: Header=BB225_548 Depth=1
	s_delay_alu instid0(SALU_CYCLE_1) | instskip(SKIP_3) | instid1(VALU_DEP_2)
	s_or_b32 exec_lo, exec_lo, s0
	v_lshrrev_b32_e32 v65, 16, v64
	v_mov_b32_e32 v23, 0
	v_mov_b32_e32 v24, 0
	;; [unrolled: 1-line block ×3, first 2 shown]
	s_mov_b32 s0, exec_lo
	s_delay_alu instid0(VALU_DEP_2) | instskip(NEXT) | instid1(VALU_DEP_1)
	v_dual_mov_b32 v19, v24 :: v_dual_and_b32 v6, 0xff, v65
	v_cmpx_ne_u16_e32 0, v6
	s_cbranch_execz .LBB225_572
; %bb.565:                              ;   in Loop: Header=BB225_548 Depth=1
	v_bfrev_b32_e32 v18, 1
	v_mov_b32_e32 v19, 0
	s_mov_b32 s10, exec_lo
	v_cmpx_ne_u16_e32 0x80, v6
	s_cbranch_execz .LBB225_571
; %bb.566:                              ;   in Loop: Header=BB225_548 Depth=1
	v_mov_b32_e32 v18, 0x7f800001
	v_bfe_u32 v66, v64, 16, 7
	v_mov_b32_e32 v19, 0
	s_mov_b32 s12, exec_lo
	s_delay_alu instid0(VALU_DEP_2)
	v_cmpx_ne_u32_e32 0x7f, v66
	s_cbranch_execz .LBB225_570
; %bb.567:                              ;   in Loop: Header=BB225_548 Depth=1
	v_and_b32_e32 v6, 7, v65
	v_lshrrev_b32_e32 v18, 3, v66
	s_mov_b32 s13, exec_lo
	v_cmpx_gt_u32_e32 8, v66
; %bb.568:                              ;   in Loop: Header=BB225_548 Depth=1
	s_delay_alu instid0(VALU_DEP_3) | instskip(NEXT) | instid1(VALU_DEP_1)
	v_clz_i32_u32_e32 v18, v6
	v_min_u32_e32 v18, 32, v18
	s_delay_alu instid0(VALU_DEP_1) | instskip(SKIP_1) | instid1(VALU_DEP_2)
	v_subrev_nc_u32_e32 v19, 28, v18
	v_sub_nc_u32_e32 v18, 29, v18
	v_lshlrev_b64 v[66:67], v19, v[6:7]
	s_delay_alu instid0(VALU_DEP_1)
	v_and_b32_e32 v6, 7, v66
; %bb.569:                              ;   in Loop: Header=BB225_548 Depth=1
	s_or_b32 exec_lo, exec_lo, s13
	v_lshlrev_b32_e32 v19, 24, v65
	s_delay_alu instid0(VALU_DEP_2) | instskip(SKIP_1) | instid1(VALU_DEP_3)
	v_lshlrev_b32_e32 v6, 20, v6
	v_lshl_add_u32 v18, v18, 23, 0x3c000000
	v_and_b32_e32 v19, 0x80000000, v19
	s_delay_alu instid0(VALU_DEP_1) | instskip(NEXT) | instid1(VALU_DEP_1)
	v_or3_b32 v6, v6, v19, v18
	v_dual_mov_b32 v19, v7 :: v_dual_mov_b32 v18, v6
.LBB225_570:                            ;   in Loop: Header=BB225_548 Depth=1
	s_or_b32 exec_lo, exec_lo, s12
.LBB225_571:                            ;   in Loop: Header=BB225_548 Depth=1
	s_delay_alu instid0(SALU_CYCLE_1)
	s_or_b32 exec_lo, exec_lo, s10
.LBB225_572:                            ;   in Loop: Header=BB225_548 Depth=1
	s_delay_alu instid0(SALU_CYCLE_1) | instskip(NEXT) | instid1(SALU_CYCLE_1)
	s_or_b32 exec_lo, exec_lo, s0
	s_mov_b32 s0, exec_lo
	v_cmpx_lt_u32_e32 0xffffff, v64
	s_cbranch_execz .LBB225_580
; %bb.573:                              ;   in Loop: Header=BB225_548 Depth=1
	v_lshrrev_b32_e32 v65, 24, v64
	v_dual_mov_b32 v24, s9 :: v_dual_mov_b32 v23, s8
	s_mov_b32 s12, exec_lo
	s_delay_alu instid0(VALU_DEP_2)
	v_cmpx_ne_u32_e32 0x80, v65
	s_cbranch_execz .LBB225_579
; %bb.574:                              ;   in Loop: Header=BB225_548 Depth=1
	s_mov_b32 s10, s8
	v_bfe_u32 v64, v64, 24, 7
	v_dual_mov_b32 v24, s11 :: v_dual_mov_b32 v23, s10
	s_mov_b32 s10, exec_lo
	s_delay_alu instid0(VALU_DEP_2)
	v_cmpx_ne_u32_e32 0x7f, v64
	s_cbranch_execz .LBB225_578
; %bb.575:                              ;   in Loop: Header=BB225_548 Depth=1
	v_and_b32_e32 v6, 7, v65
	v_lshrrev_b32_e32 v23, 3, v64
	s_mov_b32 s13, exec_lo
	v_cmpx_gt_u32_e32 8, v64
; %bb.576:                              ;   in Loop: Header=BB225_548 Depth=1
	s_delay_alu instid0(VALU_DEP_3) | instskip(NEXT) | instid1(VALU_DEP_1)
	v_clz_i32_u32_e32 v23, v6
	v_min_u32_e32 v23, 32, v23
	s_delay_alu instid0(VALU_DEP_1) | instskip(SKIP_1) | instid1(VALU_DEP_2)
	v_subrev_nc_u32_e32 v24, 28, v23
	v_sub_nc_u32_e32 v23, 29, v23
	v_lshlrev_b64 v[66:67], v24, v[6:7]
	s_delay_alu instid0(VALU_DEP_1)
	v_and_b32_e32 v6, 7, v66
; %bb.577:                              ;   in Loop: Header=BB225_548 Depth=1
	s_or_b32 exec_lo, exec_lo, s13
	v_lshlrev_b32_e32 v24, 24, v65
	s_delay_alu instid0(VALU_DEP_2) | instskip(SKIP_1) | instid1(VALU_DEP_3)
	v_lshlrev_b32_e32 v6, 20, v6
	v_lshl_add_u32 v23, v23, 23, 0x3c000000
	v_and_b32_e32 v24, 0x80000000, v24
	s_delay_alu instid0(VALU_DEP_1)
	v_or3_b32 v24, v6, v24, v23
	v_mov_b32_e32 v23, v7
.LBB225_578:                            ;   in Loop: Header=BB225_548 Depth=1
	s_or_b32 exec_lo, exec_lo, s10
.LBB225_579:                            ;   in Loop: Header=BB225_548 Depth=1
	s_delay_alu instid0(SALU_CYCLE_1)
	s_or_b32 exec_lo, exec_lo, s12
.LBB225_580:                            ;   in Loop: Header=BB225_548 Depth=1
	s_delay_alu instid0(SALU_CYCLE_1) | instskip(SKIP_4) | instid1(VALU_DEP_4)
	s_or_b32 exec_lo, exec_lo, s0
	v_or_b32_e32 v6, v17, v15
	v_or_b32_e32 v14, v16, v14
	;; [unrolled: 1-line block ×4, first 2 shown]
	v_dual_mul_f32 v67, v55, v6 :: v_dual_add_nc_u32 v68, -3, v21
	v_cmp_eq_u32_e32 vcc_lo, v27, v20
	v_dual_mul_f32 v66, v26, v14 :: v_dual_add_nc_u32 v69, -1, v21
	s_delay_alu instid0(VALU_DEP_4)
	v_dual_mul_f32 v64, v55, v15 :: v_dual_mul_f32 v65, v26, v16
	v_add_nc_u32_e32 v70, -2, v21
	s_and_saveexec_b32 s10, vcc_lo
; %bb.581:                              ;   in Loop: Header=BB225_548 Depth=1
	v_cmp_lt_i32_e64 s0, v68, v161
	s_delay_alu instid0(VALU_DEP_1) | instskip(NEXT) | instid1(VALU_DEP_3)
	v_cndmask_b32_e64 v66, 0, v66, s0
	v_cmp_lt_i32_e64 s0, v70, v161
	s_delay_alu instid0(VALU_DEP_1) | instskip(SKIP_1) | instid1(VALU_DEP_1)
	v_cndmask_b32_e64 v67, 0, v67, s0
	v_cmp_lt_i32_e64 s0, v69, v161
	v_cndmask_b32_e64 v65, 0, v65, s0
	v_cmp_lt_i32_e64 s0, v21, v161
	s_delay_alu instid0(VALU_DEP_1)
	v_cndmask_b32_e64 v64, 0, v64, s0
; %bb.582:                              ;   in Loop: Header=BB225_548 Depth=1
	s_or_b32 exec_lo, exec_lo, s10
	flat_load_b32 v71, v[12:13] offset:128
	v_mov_b32_e32 v16, 0
	v_mov_b32_e32 v17, 0
	s_mov_b32 s10, exec_lo
	s_waitcnt vmcnt(0) lgkmcnt(0)
	v_and_b32_e32 v6, 0xff, v71
	s_delay_alu instid0(VALU_DEP_2) | instskip(NEXT) | instid1(VALU_DEP_2)
	v_dual_mov_b32 v14, v16 :: v_dual_mov_b32 v15, v17
	v_cmpx_ne_u16_e32 0, v6
	s_cbranch_execz .LBB225_590
; %bb.583:                              ;   in Loop: Header=BB225_548 Depth=1
	v_bfrev_b32_e32 v14, 1
	v_mov_b32_e32 v15, 0
	s_mov_b32 s12, exec_lo
	v_cmpx_ne_u16_e32 0x80, v6
	s_cbranch_execz .LBB225_589
; %bb.584:                              ;   in Loop: Header=BB225_548 Depth=1
	v_mov_b32_e32 v14, 0x7f800001
	v_dual_mov_b32 v15, 0 :: v_dual_and_b32 v18, 0x7f, v71
	s_mov_b32 s13, exec_lo
	s_delay_alu instid0(VALU_DEP_1)
	v_cmpx_ne_u32_e32 0x7f, v18
	s_cbranch_execz .LBB225_588
; %bb.585:                              ;   in Loop: Header=BB225_548 Depth=1
	v_and_b32_e32 v6, 7, v71
	v_lshrrev_b32_e32 v14, 3, v18
	s_mov_b32 s15, exec_lo
	v_cmpx_gt_u32_e32 8, v18
; %bb.586:                              ;   in Loop: Header=BB225_548 Depth=1
	s_delay_alu instid0(VALU_DEP_3) | instskip(NEXT) | instid1(VALU_DEP_1)
	v_clz_i32_u32_e32 v14, v6
	v_min_u32_e32 v14, 32, v14
	s_delay_alu instid0(VALU_DEP_1) | instskip(SKIP_1) | instid1(VALU_DEP_2)
	v_subrev_nc_u32_e32 v15, 28, v14
	v_sub_nc_u32_e32 v14, 29, v14
	v_lshlrev_b64 v[18:19], v15, v[6:7]
	s_delay_alu instid0(VALU_DEP_1)
	v_and_b32_e32 v6, 7, v18
; %bb.587:                              ;   in Loop: Header=BB225_548 Depth=1
	s_or_b32 exec_lo, exec_lo, s15
	v_lshlrev_b32_e32 v15, 24, v71
	s_delay_alu instid0(VALU_DEP_2) | instskip(SKIP_1) | instid1(VALU_DEP_3)
	v_lshlrev_b32_e32 v6, 20, v6
	v_lshl_add_u32 v14, v14, 23, 0x3c000000
	v_and_b32_e32 v15, 0x80000000, v15
	s_delay_alu instid0(VALU_DEP_1) | instskip(NEXT) | instid1(VALU_DEP_1)
	v_or3_b32 v6, v6, v15, v14
	v_dual_mov_b32 v15, v7 :: v_dual_mov_b32 v14, v6
.LBB225_588:                            ;   in Loop: Header=BB225_548 Depth=1
	s_or_b32 exec_lo, exec_lo, s13
.LBB225_589:                            ;   in Loop: Header=BB225_548 Depth=1
	s_delay_alu instid0(SALU_CYCLE_1)
	s_or_b32 exec_lo, exec_lo, s12
.LBB225_590:                            ;   in Loop: Header=BB225_548 Depth=1
	s_delay_alu instid0(SALU_CYCLE_1) | instskip(SKIP_2) | instid1(VALU_DEP_1)
	s_or_b32 exec_lo, exec_lo, s10
	v_lshrrev_b16 v6, 8, v71
	s_mov_b32 s12, exec_lo
	v_cmpx_ne_u16_e32 0, v6
	s_cbranch_execz .LBB225_598
; %bb.591:                              ;   in Loop: Header=BB225_548 Depth=1
	v_dual_mov_b32 v17, s9 :: v_dual_mov_b32 v16, s8
	s_mov_b32 s13, exec_lo
	v_cmpx_ne_u16_e32 0x80, v6
	s_cbranch_execz .LBB225_597
; %bb.592:                              ;   in Loop: Header=BB225_548 Depth=1
	s_mov_b32 s10, s8
	v_dual_mov_b32 v17, s11 :: v_dual_and_b32 v6, 0xffff, v6
	v_mov_b32_e32 v16, s10
	s_mov_b32 s10, exec_lo
	s_delay_alu instid0(VALU_DEP_2) | instskip(NEXT) | instid1(VALU_DEP_1)
	v_and_b32_e32 v18, 0x7f, v6
	v_cmpx_ne_u32_e32 0x7f, v18
	s_cbranch_execz .LBB225_596
; %bb.593:                              ;   in Loop: Header=BB225_548 Depth=1
	v_and_b32_e32 v6, 7, v6
	v_lshrrev_b32_e32 v16, 3, v18
	s_mov_b32 s15, exec_lo
	v_cmpx_gt_u32_e32 8, v18
; %bb.594:                              ;   in Loop: Header=BB225_548 Depth=1
	s_delay_alu instid0(VALU_DEP_3) | instskip(NEXT) | instid1(VALU_DEP_1)
	v_clz_i32_u32_e32 v16, v6
	v_min_u32_e32 v16, 32, v16
	s_delay_alu instid0(VALU_DEP_1) | instskip(SKIP_1) | instid1(VALU_DEP_2)
	v_subrev_nc_u32_e32 v17, 28, v16
	v_sub_nc_u32_e32 v16, 29, v16
	v_lshlrev_b64 v[17:18], v17, v[6:7]
	s_delay_alu instid0(VALU_DEP_1)
	v_and_b32_e32 v6, 7, v17
; %bb.595:                              ;   in Loop: Header=BB225_548 Depth=1
	s_or_b32 exec_lo, exec_lo, s15
	v_lshlrev_b32_e32 v17, 16, v71
	s_delay_alu instid0(VALU_DEP_2) | instskip(SKIP_1) | instid1(VALU_DEP_3)
	v_lshlrev_b32_e32 v6, 20, v6
	v_lshl_add_u32 v16, v16, 23, 0x3c000000
	v_and_b32_e32 v17, 0x80000000, v17
	s_delay_alu instid0(VALU_DEP_1)
	v_or3_b32 v17, v6, v17, v16
	v_mov_b32_e32 v16, v7
.LBB225_596:                            ;   in Loop: Header=BB225_548 Depth=1
	s_or_b32 exec_lo, exec_lo, s10
.LBB225_597:                            ;   in Loop: Header=BB225_548 Depth=1
	s_delay_alu instid0(SALU_CYCLE_1)
	s_or_b32 exec_lo, exec_lo, s13
.LBB225_598:                            ;   in Loop: Header=BB225_548 Depth=1
	s_delay_alu instid0(SALU_CYCLE_1) | instskip(SKIP_3) | instid1(VALU_DEP_2)
	s_or_b32 exec_lo, exec_lo, s12
	v_lshrrev_b32_e32 v80, 16, v71
	v_mov_b32_e32 v23, 0
	v_mov_b32_e32 v24, 0
	;; [unrolled: 1-line block ×3, first 2 shown]
	s_mov_b32 s10, exec_lo
	s_delay_alu instid0(VALU_DEP_2) | instskip(NEXT) | instid1(VALU_DEP_1)
	v_dual_mov_b32 v19, v24 :: v_dual_and_b32 v6, 0xff, v80
	v_cmpx_ne_u16_e32 0, v6
	s_cbranch_execz .LBB225_606
; %bb.599:                              ;   in Loop: Header=BB225_548 Depth=1
	v_bfrev_b32_e32 v18, 1
	v_mov_b32_e32 v19, 0
	s_mov_b32 s12, exec_lo
	v_cmpx_ne_u16_e32 0x80, v6
	s_cbranch_execz .LBB225_605
; %bb.600:                              ;   in Loop: Header=BB225_548 Depth=1
	v_mov_b32_e32 v18, 0x7f800001
	v_bfe_u32 v81, v71, 16, 7
	v_mov_b32_e32 v19, 0
	s_mov_b32 s13, exec_lo
	s_delay_alu instid0(VALU_DEP_2)
	v_cmpx_ne_u32_e32 0x7f, v81
	s_cbranch_execz .LBB225_604
; %bb.601:                              ;   in Loop: Header=BB225_548 Depth=1
	v_and_b32_e32 v6, 7, v80
	v_lshrrev_b32_e32 v18, 3, v81
	s_mov_b32 s15, exec_lo
	v_cmpx_gt_u32_e32 8, v81
; %bb.602:                              ;   in Loop: Header=BB225_548 Depth=1
	s_delay_alu instid0(VALU_DEP_3) | instskip(NEXT) | instid1(VALU_DEP_1)
	v_clz_i32_u32_e32 v18, v6
	v_min_u32_e32 v18, 32, v18
	s_delay_alu instid0(VALU_DEP_1) | instskip(SKIP_1) | instid1(VALU_DEP_2)
	v_subrev_nc_u32_e32 v19, 28, v18
	v_sub_nc_u32_e32 v18, 29, v18
	v_lshlrev_b64 v[81:82], v19, v[6:7]
	s_delay_alu instid0(VALU_DEP_1)
	v_and_b32_e32 v6, 7, v81
; %bb.603:                              ;   in Loop: Header=BB225_548 Depth=1
	s_or_b32 exec_lo, exec_lo, s15
	v_lshlrev_b32_e32 v19, 24, v80
	s_delay_alu instid0(VALU_DEP_2) | instskip(SKIP_1) | instid1(VALU_DEP_3)
	v_lshlrev_b32_e32 v6, 20, v6
	v_lshl_add_u32 v18, v18, 23, 0x3c000000
	v_and_b32_e32 v19, 0x80000000, v19
	s_delay_alu instid0(VALU_DEP_1) | instskip(NEXT) | instid1(VALU_DEP_1)
	v_or3_b32 v6, v6, v19, v18
	v_dual_mov_b32 v19, v7 :: v_dual_mov_b32 v18, v6
.LBB225_604:                            ;   in Loop: Header=BB225_548 Depth=1
	s_or_b32 exec_lo, exec_lo, s13
.LBB225_605:                            ;   in Loop: Header=BB225_548 Depth=1
	s_delay_alu instid0(SALU_CYCLE_1)
	s_or_b32 exec_lo, exec_lo, s12
.LBB225_606:                            ;   in Loop: Header=BB225_548 Depth=1
	s_delay_alu instid0(SALU_CYCLE_1) | instskip(NEXT) | instid1(SALU_CYCLE_1)
	s_or_b32 exec_lo, exec_lo, s10
	s_mov_b32 s12, exec_lo
	v_cmpx_lt_u32_e32 0xffffff, v71
	s_cbranch_execz .LBB225_614
; %bb.607:                              ;   in Loop: Header=BB225_548 Depth=1
	v_lshrrev_b32_e32 v80, 24, v71
	v_dual_mov_b32 v24, s9 :: v_dual_mov_b32 v23, s8
	s_mov_b32 s13, exec_lo
	s_delay_alu instid0(VALU_DEP_2)
	v_cmpx_ne_u32_e32 0x80, v80
	s_cbranch_execz .LBB225_613
; %bb.608:                              ;   in Loop: Header=BB225_548 Depth=1
	s_mov_b32 s10, s8
	v_bfe_u32 v71, v71, 24, 7
	v_dual_mov_b32 v24, s11 :: v_dual_mov_b32 v23, s10
	s_mov_b32 s10, exec_lo
	s_delay_alu instid0(VALU_DEP_2)
	v_cmpx_ne_u32_e32 0x7f, v71
	s_cbranch_execz .LBB225_612
; %bb.609:                              ;   in Loop: Header=BB225_548 Depth=1
	v_and_b32_e32 v6, 7, v80
	v_lshrrev_b32_e32 v23, 3, v71
	s_mov_b32 s15, exec_lo
	v_cmpx_gt_u32_e32 8, v71
; %bb.610:                              ;   in Loop: Header=BB225_548 Depth=1
	s_delay_alu instid0(VALU_DEP_3) | instskip(NEXT) | instid1(VALU_DEP_1)
	v_clz_i32_u32_e32 v23, v6
	v_min_u32_e32 v23, 32, v23
	s_delay_alu instid0(VALU_DEP_1) | instskip(SKIP_1) | instid1(VALU_DEP_2)
	v_subrev_nc_u32_e32 v24, 28, v23
	v_sub_nc_u32_e32 v23, 29, v23
	v_lshlrev_b64 v[81:82], v24, v[6:7]
	s_delay_alu instid0(VALU_DEP_1)
	v_and_b32_e32 v6, 7, v81
; %bb.611:                              ;   in Loop: Header=BB225_548 Depth=1
	s_or_b32 exec_lo, exec_lo, s15
	v_lshlrev_b32_e32 v24, 24, v80
	s_delay_alu instid0(VALU_DEP_2) | instskip(SKIP_1) | instid1(VALU_DEP_3)
	v_lshlrev_b32_e32 v6, 20, v6
	v_lshl_add_u32 v23, v23, 23, 0x3c000000
	v_and_b32_e32 v24, 0x80000000, v24
	s_delay_alu instid0(VALU_DEP_1)
	v_or3_b32 v24, v6, v24, v23
	v_mov_b32_e32 v23, v7
.LBB225_612:                            ;   in Loop: Header=BB225_548 Depth=1
	s_or_b32 exec_lo, exec_lo, s10
.LBB225_613:                            ;   in Loop: Header=BB225_548 Depth=1
	s_delay_alu instid0(SALU_CYCLE_1)
	s_or_b32 exec_lo, exec_lo, s13
.LBB225_614:                            ;   in Loop: Header=BB225_548 Depth=1
	s_delay_alu instid0(SALU_CYCLE_1) | instskip(SKIP_4) | instid1(VALU_DEP_4)
	s_or_b32 exec_lo, exec_lo, s12
	v_or_b32_e32 v6, v17, v15
	v_or_b32_e32 v14, v16, v14
	;; [unrolled: 1-line block ×4, first 2 shown]
	v_mul_f32_e32 v82, v55, v6
	s_delay_alu instid0(VALU_DEP_4) | instskip(NEXT) | instid1(VALU_DEP_3)
	v_mul_f32_e32 v81, v26, v14
	v_dual_mul_f32 v71, v55, v15 :: v_dual_mul_f32 v80, v26, v16
	s_and_saveexec_b32 s10, vcc_lo
; %bb.615:                              ;   in Loop: Header=BB225_548 Depth=1
	v_cmp_lt_i32_e64 s0, v68, v161
	s_delay_alu instid0(VALU_DEP_1) | instskip(SKIP_1) | instid1(VALU_DEP_1)
	v_cndmask_b32_e64 v81, 0, v81, s0
	v_cmp_lt_i32_e64 s0, v70, v161
	v_cndmask_b32_e64 v82, 0, v82, s0
	v_cmp_lt_i32_e64 s0, v69, v161
	s_delay_alu instid0(VALU_DEP_1) | instskip(SKIP_1) | instid1(VALU_DEP_1)
	v_cndmask_b32_e64 v80, 0, v80, s0
	v_cmp_lt_i32_e64 s0, v21, v161
	v_cndmask_b32_e64 v71, 0, v71, s0
; %bb.616:                              ;   in Loop: Header=BB225_548 Depth=1
	s_or_b32 exec_lo, exec_lo, s10
	flat_load_b32 v83, v[12:13] offset:256
	v_mov_b32_e32 v16, 0
	v_mov_b32_e32 v17, 0
	s_mov_b32 s10, exec_lo
	s_waitcnt vmcnt(0) lgkmcnt(0)
	v_and_b32_e32 v6, 0xff, v83
	s_delay_alu instid0(VALU_DEP_2) | instskip(NEXT) | instid1(VALU_DEP_2)
	v_dual_mov_b32 v14, v16 :: v_dual_mov_b32 v15, v17
	v_cmpx_ne_u16_e32 0, v6
	s_cbranch_execz .LBB225_624
; %bb.617:                              ;   in Loop: Header=BB225_548 Depth=1
	v_bfrev_b32_e32 v14, 1
	v_mov_b32_e32 v15, 0
	s_mov_b32 s12, exec_lo
	v_cmpx_ne_u16_e32 0x80, v6
	s_cbranch_execz .LBB225_623
; %bb.618:                              ;   in Loop: Header=BB225_548 Depth=1
	v_mov_b32_e32 v14, 0x7f800001
	v_dual_mov_b32 v15, 0 :: v_dual_and_b32 v18, 0x7f, v83
	s_mov_b32 s13, exec_lo
	s_delay_alu instid0(VALU_DEP_1)
	v_cmpx_ne_u32_e32 0x7f, v18
	s_cbranch_execz .LBB225_622
; %bb.619:                              ;   in Loop: Header=BB225_548 Depth=1
	v_and_b32_e32 v6, 7, v83
	v_lshrrev_b32_e32 v14, 3, v18
	s_mov_b32 s15, exec_lo
	v_cmpx_gt_u32_e32 8, v18
; %bb.620:                              ;   in Loop: Header=BB225_548 Depth=1
	s_delay_alu instid0(VALU_DEP_3) | instskip(NEXT) | instid1(VALU_DEP_1)
	v_clz_i32_u32_e32 v14, v6
	v_min_u32_e32 v14, 32, v14
	s_delay_alu instid0(VALU_DEP_1) | instskip(SKIP_1) | instid1(VALU_DEP_2)
	v_subrev_nc_u32_e32 v15, 28, v14
	v_sub_nc_u32_e32 v14, 29, v14
	v_lshlrev_b64 v[18:19], v15, v[6:7]
	s_delay_alu instid0(VALU_DEP_1)
	v_and_b32_e32 v6, 7, v18
; %bb.621:                              ;   in Loop: Header=BB225_548 Depth=1
	s_or_b32 exec_lo, exec_lo, s15
	v_lshlrev_b32_e32 v15, 24, v83
	s_delay_alu instid0(VALU_DEP_2) | instskip(SKIP_1) | instid1(VALU_DEP_3)
	v_lshlrev_b32_e32 v6, 20, v6
	v_lshl_add_u32 v14, v14, 23, 0x3c000000
	v_and_b32_e32 v15, 0x80000000, v15
	s_delay_alu instid0(VALU_DEP_1) | instskip(NEXT) | instid1(VALU_DEP_1)
	v_or3_b32 v6, v6, v15, v14
	v_dual_mov_b32 v15, v7 :: v_dual_mov_b32 v14, v6
.LBB225_622:                            ;   in Loop: Header=BB225_548 Depth=1
	s_or_b32 exec_lo, exec_lo, s13
.LBB225_623:                            ;   in Loop: Header=BB225_548 Depth=1
	s_delay_alu instid0(SALU_CYCLE_1)
	s_or_b32 exec_lo, exec_lo, s12
.LBB225_624:                            ;   in Loop: Header=BB225_548 Depth=1
	s_delay_alu instid0(SALU_CYCLE_1) | instskip(SKIP_2) | instid1(VALU_DEP_1)
	s_or_b32 exec_lo, exec_lo, s10
	v_lshrrev_b16 v6, 8, v83
	s_mov_b32 s12, exec_lo
	v_cmpx_ne_u16_e32 0, v6
	s_cbranch_execz .LBB225_632
; %bb.625:                              ;   in Loop: Header=BB225_548 Depth=1
	v_dual_mov_b32 v17, s9 :: v_dual_mov_b32 v16, s8
	s_mov_b32 s13, exec_lo
	v_cmpx_ne_u16_e32 0x80, v6
	s_cbranch_execz .LBB225_631
; %bb.626:                              ;   in Loop: Header=BB225_548 Depth=1
	s_mov_b32 s10, s8
	v_dual_mov_b32 v17, s11 :: v_dual_and_b32 v6, 0xffff, v6
	v_mov_b32_e32 v16, s10
	s_mov_b32 s10, exec_lo
	s_delay_alu instid0(VALU_DEP_2) | instskip(NEXT) | instid1(VALU_DEP_1)
	v_and_b32_e32 v18, 0x7f, v6
	v_cmpx_ne_u32_e32 0x7f, v18
	s_cbranch_execz .LBB225_630
; %bb.627:                              ;   in Loop: Header=BB225_548 Depth=1
	v_and_b32_e32 v6, 7, v6
	v_lshrrev_b32_e32 v16, 3, v18
	s_mov_b32 s15, exec_lo
	v_cmpx_gt_u32_e32 8, v18
; %bb.628:                              ;   in Loop: Header=BB225_548 Depth=1
	s_delay_alu instid0(VALU_DEP_3) | instskip(NEXT) | instid1(VALU_DEP_1)
	v_clz_i32_u32_e32 v16, v6
	v_min_u32_e32 v16, 32, v16
	s_delay_alu instid0(VALU_DEP_1) | instskip(SKIP_1) | instid1(VALU_DEP_2)
	v_subrev_nc_u32_e32 v17, 28, v16
	v_sub_nc_u32_e32 v16, 29, v16
	v_lshlrev_b64 v[17:18], v17, v[6:7]
	s_delay_alu instid0(VALU_DEP_1)
	v_and_b32_e32 v6, 7, v17
; %bb.629:                              ;   in Loop: Header=BB225_548 Depth=1
	s_or_b32 exec_lo, exec_lo, s15
	v_lshlrev_b32_e32 v17, 16, v83
	s_delay_alu instid0(VALU_DEP_2) | instskip(SKIP_1) | instid1(VALU_DEP_3)
	v_lshlrev_b32_e32 v6, 20, v6
	v_lshl_add_u32 v16, v16, 23, 0x3c000000
	v_and_b32_e32 v17, 0x80000000, v17
	s_delay_alu instid0(VALU_DEP_1)
	v_or3_b32 v17, v6, v17, v16
	v_mov_b32_e32 v16, v7
.LBB225_630:                            ;   in Loop: Header=BB225_548 Depth=1
	s_or_b32 exec_lo, exec_lo, s10
.LBB225_631:                            ;   in Loop: Header=BB225_548 Depth=1
	s_delay_alu instid0(SALU_CYCLE_1)
	s_or_b32 exec_lo, exec_lo, s13
.LBB225_632:                            ;   in Loop: Header=BB225_548 Depth=1
	s_delay_alu instid0(SALU_CYCLE_1) | instskip(SKIP_3) | instid1(VALU_DEP_2)
	s_or_b32 exec_lo, exec_lo, s12
	v_lshrrev_b32_e32 v84, 16, v83
	v_mov_b32_e32 v23, 0
	v_mov_b32_e32 v24, 0
	;; [unrolled: 1-line block ×3, first 2 shown]
	s_mov_b32 s10, exec_lo
	s_delay_alu instid0(VALU_DEP_2) | instskip(NEXT) | instid1(VALU_DEP_1)
	v_dual_mov_b32 v19, v24 :: v_dual_and_b32 v6, 0xff, v84
	v_cmpx_ne_u16_e32 0, v6
	s_cbranch_execz .LBB225_640
; %bb.633:                              ;   in Loop: Header=BB225_548 Depth=1
	v_bfrev_b32_e32 v18, 1
	v_mov_b32_e32 v19, 0
	s_mov_b32 s12, exec_lo
	v_cmpx_ne_u16_e32 0x80, v6
	s_cbranch_execz .LBB225_639
; %bb.634:                              ;   in Loop: Header=BB225_548 Depth=1
	v_mov_b32_e32 v18, 0x7f800001
	v_bfe_u32 v85, v83, 16, 7
	v_mov_b32_e32 v19, 0
	s_mov_b32 s13, exec_lo
	s_delay_alu instid0(VALU_DEP_2)
	v_cmpx_ne_u32_e32 0x7f, v85
	s_cbranch_execz .LBB225_638
; %bb.635:                              ;   in Loop: Header=BB225_548 Depth=1
	v_and_b32_e32 v6, 7, v84
	v_lshrrev_b32_e32 v18, 3, v85
	s_mov_b32 s15, exec_lo
	v_cmpx_gt_u32_e32 8, v85
; %bb.636:                              ;   in Loop: Header=BB225_548 Depth=1
	s_delay_alu instid0(VALU_DEP_3) | instskip(NEXT) | instid1(VALU_DEP_1)
	v_clz_i32_u32_e32 v18, v6
	v_min_u32_e32 v18, 32, v18
	s_delay_alu instid0(VALU_DEP_1) | instskip(SKIP_1) | instid1(VALU_DEP_2)
	v_subrev_nc_u32_e32 v19, 28, v18
	v_sub_nc_u32_e32 v18, 29, v18
	v_lshlrev_b64 v[85:86], v19, v[6:7]
	s_delay_alu instid0(VALU_DEP_1)
	v_and_b32_e32 v6, 7, v85
; %bb.637:                              ;   in Loop: Header=BB225_548 Depth=1
	s_or_b32 exec_lo, exec_lo, s15
	v_lshlrev_b32_e32 v19, 24, v84
	s_delay_alu instid0(VALU_DEP_2) | instskip(SKIP_1) | instid1(VALU_DEP_3)
	v_lshlrev_b32_e32 v6, 20, v6
	v_lshl_add_u32 v18, v18, 23, 0x3c000000
	v_and_b32_e32 v19, 0x80000000, v19
	s_delay_alu instid0(VALU_DEP_1) | instskip(NEXT) | instid1(VALU_DEP_1)
	v_or3_b32 v6, v6, v19, v18
	v_dual_mov_b32 v19, v7 :: v_dual_mov_b32 v18, v6
.LBB225_638:                            ;   in Loop: Header=BB225_548 Depth=1
	s_or_b32 exec_lo, exec_lo, s13
.LBB225_639:                            ;   in Loop: Header=BB225_548 Depth=1
	s_delay_alu instid0(SALU_CYCLE_1)
	s_or_b32 exec_lo, exec_lo, s12
.LBB225_640:                            ;   in Loop: Header=BB225_548 Depth=1
	s_delay_alu instid0(SALU_CYCLE_1) | instskip(NEXT) | instid1(SALU_CYCLE_1)
	s_or_b32 exec_lo, exec_lo, s10
	s_mov_b32 s12, exec_lo
	v_cmpx_lt_u32_e32 0xffffff, v83
	s_cbranch_execz .LBB225_648
; %bb.641:                              ;   in Loop: Header=BB225_548 Depth=1
	v_lshrrev_b32_e32 v84, 24, v83
	v_dual_mov_b32 v24, s9 :: v_dual_mov_b32 v23, s8
	s_mov_b32 s13, exec_lo
	s_delay_alu instid0(VALU_DEP_2)
	v_cmpx_ne_u32_e32 0x80, v84
	s_cbranch_execz .LBB225_647
; %bb.642:                              ;   in Loop: Header=BB225_548 Depth=1
	s_mov_b32 s10, s8
	v_bfe_u32 v83, v83, 24, 7
	v_dual_mov_b32 v24, s11 :: v_dual_mov_b32 v23, s10
	s_mov_b32 s10, exec_lo
	s_delay_alu instid0(VALU_DEP_2)
	v_cmpx_ne_u32_e32 0x7f, v83
	s_cbranch_execz .LBB225_646
; %bb.643:                              ;   in Loop: Header=BB225_548 Depth=1
	v_and_b32_e32 v6, 7, v84
	v_lshrrev_b32_e32 v23, 3, v83
	s_mov_b32 s15, exec_lo
	v_cmpx_gt_u32_e32 8, v83
; %bb.644:                              ;   in Loop: Header=BB225_548 Depth=1
	s_delay_alu instid0(VALU_DEP_3) | instskip(NEXT) | instid1(VALU_DEP_1)
	v_clz_i32_u32_e32 v23, v6
	v_min_u32_e32 v23, 32, v23
	s_delay_alu instid0(VALU_DEP_1) | instskip(SKIP_1) | instid1(VALU_DEP_2)
	v_subrev_nc_u32_e32 v24, 28, v23
	v_sub_nc_u32_e32 v23, 29, v23
	v_lshlrev_b64 v[85:86], v24, v[6:7]
	s_delay_alu instid0(VALU_DEP_1)
	v_and_b32_e32 v6, 7, v85
; %bb.645:                              ;   in Loop: Header=BB225_548 Depth=1
	s_or_b32 exec_lo, exec_lo, s15
	v_lshlrev_b32_e32 v24, 24, v84
	s_delay_alu instid0(VALU_DEP_2) | instskip(SKIP_1) | instid1(VALU_DEP_3)
	v_lshlrev_b32_e32 v6, 20, v6
	v_lshl_add_u32 v23, v23, 23, 0x3c000000
	v_and_b32_e32 v24, 0x80000000, v24
	s_delay_alu instid0(VALU_DEP_1)
	v_or3_b32 v24, v6, v24, v23
	v_mov_b32_e32 v23, v7
.LBB225_646:                            ;   in Loop: Header=BB225_548 Depth=1
	s_or_b32 exec_lo, exec_lo, s10
.LBB225_647:                            ;   in Loop: Header=BB225_548 Depth=1
	s_delay_alu instid0(SALU_CYCLE_1)
	s_or_b32 exec_lo, exec_lo, s13
.LBB225_648:                            ;   in Loop: Header=BB225_548 Depth=1
	s_delay_alu instid0(SALU_CYCLE_1) | instskip(SKIP_4) | instid1(VALU_DEP_4)
	s_or_b32 exec_lo, exec_lo, s12
	v_or_b32_e32 v6, v17, v15
	v_or_b32_e32 v14, v16, v14
	;; [unrolled: 1-line block ×4, first 2 shown]
	v_mul_f32_e32 v86, v55, v6
	s_delay_alu instid0(VALU_DEP_4) | instskip(NEXT) | instid1(VALU_DEP_3)
	v_mul_f32_e32 v85, v26, v14
	v_dual_mul_f32 v83, v55, v15 :: v_dual_mul_f32 v84, v26, v16
	s_and_saveexec_b32 s10, vcc_lo
; %bb.649:                              ;   in Loop: Header=BB225_548 Depth=1
	v_cmp_lt_i32_e64 s0, v68, v161
	s_delay_alu instid0(VALU_DEP_1) | instskip(SKIP_1) | instid1(VALU_DEP_1)
	v_cndmask_b32_e64 v85, 0, v85, s0
	v_cmp_lt_i32_e64 s0, v70, v161
	v_cndmask_b32_e64 v86, 0, v86, s0
	v_cmp_lt_i32_e64 s0, v69, v161
	s_delay_alu instid0(VALU_DEP_1) | instskip(SKIP_1) | instid1(VALU_DEP_1)
	v_cndmask_b32_e64 v84, 0, v84, s0
	v_cmp_lt_i32_e64 s0, v21, v161
	v_cndmask_b32_e64 v83, 0, v83, s0
; %bb.650:                              ;   in Loop: Header=BB225_548 Depth=1
	s_or_b32 exec_lo, exec_lo, s10
	flat_load_b32 v87, v[12:13] offset:384
	v_mov_b32_e32 v16, 0
	v_mov_b32_e32 v17, 0
	s_mov_b32 s10, exec_lo
	s_waitcnt vmcnt(0) lgkmcnt(0)
	v_and_b32_e32 v6, 0xff, v87
	s_delay_alu instid0(VALU_DEP_2) | instskip(NEXT) | instid1(VALU_DEP_2)
	v_dual_mov_b32 v14, v16 :: v_dual_mov_b32 v15, v17
	v_cmpx_ne_u16_e32 0, v6
	s_cbranch_execz .LBB225_658
; %bb.651:                              ;   in Loop: Header=BB225_548 Depth=1
	v_bfrev_b32_e32 v14, 1
	v_mov_b32_e32 v15, 0
	s_mov_b32 s12, exec_lo
	v_cmpx_ne_u16_e32 0x80, v6
	s_cbranch_execz .LBB225_657
; %bb.652:                              ;   in Loop: Header=BB225_548 Depth=1
	v_mov_b32_e32 v14, 0x7f800001
	v_dual_mov_b32 v15, 0 :: v_dual_and_b32 v18, 0x7f, v87
	s_mov_b32 s13, exec_lo
	s_delay_alu instid0(VALU_DEP_1)
	v_cmpx_ne_u32_e32 0x7f, v18
	s_cbranch_execz .LBB225_656
; %bb.653:                              ;   in Loop: Header=BB225_548 Depth=1
	v_and_b32_e32 v6, 7, v87
	v_lshrrev_b32_e32 v14, 3, v18
	s_mov_b32 s15, exec_lo
	v_cmpx_gt_u32_e32 8, v18
; %bb.654:                              ;   in Loop: Header=BB225_548 Depth=1
	s_delay_alu instid0(VALU_DEP_3) | instskip(NEXT) | instid1(VALU_DEP_1)
	v_clz_i32_u32_e32 v14, v6
	v_min_u32_e32 v14, 32, v14
	s_delay_alu instid0(VALU_DEP_1) | instskip(SKIP_1) | instid1(VALU_DEP_2)
	v_subrev_nc_u32_e32 v15, 28, v14
	v_sub_nc_u32_e32 v14, 29, v14
	v_lshlrev_b64 v[18:19], v15, v[6:7]
	s_delay_alu instid0(VALU_DEP_1)
	v_and_b32_e32 v6, 7, v18
; %bb.655:                              ;   in Loop: Header=BB225_548 Depth=1
	s_or_b32 exec_lo, exec_lo, s15
	v_lshlrev_b32_e32 v15, 24, v87
	s_delay_alu instid0(VALU_DEP_2) | instskip(SKIP_1) | instid1(VALU_DEP_3)
	v_lshlrev_b32_e32 v6, 20, v6
	v_lshl_add_u32 v14, v14, 23, 0x3c000000
	v_and_b32_e32 v15, 0x80000000, v15
	s_delay_alu instid0(VALU_DEP_1) | instskip(NEXT) | instid1(VALU_DEP_1)
	v_or3_b32 v6, v6, v15, v14
	v_dual_mov_b32 v15, v7 :: v_dual_mov_b32 v14, v6
.LBB225_656:                            ;   in Loop: Header=BB225_548 Depth=1
	s_or_b32 exec_lo, exec_lo, s13
.LBB225_657:                            ;   in Loop: Header=BB225_548 Depth=1
	s_delay_alu instid0(SALU_CYCLE_1)
	s_or_b32 exec_lo, exec_lo, s12
.LBB225_658:                            ;   in Loop: Header=BB225_548 Depth=1
	s_delay_alu instid0(SALU_CYCLE_1) | instskip(SKIP_2) | instid1(VALU_DEP_1)
	s_or_b32 exec_lo, exec_lo, s10
	v_lshrrev_b16 v6, 8, v87
	s_mov_b32 s12, exec_lo
	v_cmpx_ne_u16_e32 0, v6
	s_cbranch_execz .LBB225_666
; %bb.659:                              ;   in Loop: Header=BB225_548 Depth=1
	v_dual_mov_b32 v17, s9 :: v_dual_mov_b32 v16, s8
	s_mov_b32 s13, exec_lo
	v_cmpx_ne_u16_e32 0x80, v6
	s_cbranch_execz .LBB225_665
; %bb.660:                              ;   in Loop: Header=BB225_548 Depth=1
	s_mov_b32 s10, s8
	v_dual_mov_b32 v17, s11 :: v_dual_and_b32 v6, 0xffff, v6
	v_mov_b32_e32 v16, s10
	s_mov_b32 s10, exec_lo
	s_delay_alu instid0(VALU_DEP_2) | instskip(NEXT) | instid1(VALU_DEP_1)
	v_and_b32_e32 v18, 0x7f, v6
	v_cmpx_ne_u32_e32 0x7f, v18
	s_cbranch_execz .LBB225_664
; %bb.661:                              ;   in Loop: Header=BB225_548 Depth=1
	v_and_b32_e32 v6, 7, v6
	v_lshrrev_b32_e32 v16, 3, v18
	s_mov_b32 s15, exec_lo
	v_cmpx_gt_u32_e32 8, v18
; %bb.662:                              ;   in Loop: Header=BB225_548 Depth=1
	s_delay_alu instid0(VALU_DEP_3) | instskip(NEXT) | instid1(VALU_DEP_1)
	v_clz_i32_u32_e32 v16, v6
	v_min_u32_e32 v16, 32, v16
	s_delay_alu instid0(VALU_DEP_1) | instskip(SKIP_1) | instid1(VALU_DEP_2)
	v_subrev_nc_u32_e32 v17, 28, v16
	v_sub_nc_u32_e32 v16, 29, v16
	v_lshlrev_b64 v[17:18], v17, v[6:7]
	s_delay_alu instid0(VALU_DEP_1)
	v_and_b32_e32 v6, 7, v17
; %bb.663:                              ;   in Loop: Header=BB225_548 Depth=1
	s_or_b32 exec_lo, exec_lo, s15
	v_lshlrev_b32_e32 v17, 16, v87
	s_delay_alu instid0(VALU_DEP_2) | instskip(SKIP_1) | instid1(VALU_DEP_3)
	v_lshlrev_b32_e32 v6, 20, v6
	v_lshl_add_u32 v16, v16, 23, 0x3c000000
	v_and_b32_e32 v17, 0x80000000, v17
	s_delay_alu instid0(VALU_DEP_1)
	v_or3_b32 v17, v6, v17, v16
	v_mov_b32_e32 v16, v7
.LBB225_664:                            ;   in Loop: Header=BB225_548 Depth=1
	s_or_b32 exec_lo, exec_lo, s10
.LBB225_665:                            ;   in Loop: Header=BB225_548 Depth=1
	s_delay_alu instid0(SALU_CYCLE_1)
	s_or_b32 exec_lo, exec_lo, s13
.LBB225_666:                            ;   in Loop: Header=BB225_548 Depth=1
	s_delay_alu instid0(SALU_CYCLE_1) | instskip(SKIP_3) | instid1(VALU_DEP_2)
	s_or_b32 exec_lo, exec_lo, s12
	v_lshrrev_b32_e32 v96, 16, v87
	v_mov_b32_e32 v23, 0
	v_mov_b32_e32 v24, 0
	;; [unrolled: 1-line block ×3, first 2 shown]
	s_mov_b32 s10, exec_lo
	s_delay_alu instid0(VALU_DEP_2) | instskip(NEXT) | instid1(VALU_DEP_1)
	v_dual_mov_b32 v19, v24 :: v_dual_and_b32 v6, 0xff, v96
	v_cmpx_ne_u16_e32 0, v6
	s_cbranch_execz .LBB225_674
; %bb.667:                              ;   in Loop: Header=BB225_548 Depth=1
	v_bfrev_b32_e32 v18, 1
	v_mov_b32_e32 v19, 0
	s_mov_b32 s12, exec_lo
	v_cmpx_ne_u16_e32 0x80, v6
	s_cbranch_execz .LBB225_673
; %bb.668:                              ;   in Loop: Header=BB225_548 Depth=1
	v_mov_b32_e32 v18, 0x7f800001
	v_bfe_u32 v97, v87, 16, 7
	v_mov_b32_e32 v19, 0
	s_mov_b32 s13, exec_lo
	s_delay_alu instid0(VALU_DEP_2)
	v_cmpx_ne_u32_e32 0x7f, v97
	s_cbranch_execz .LBB225_672
; %bb.669:                              ;   in Loop: Header=BB225_548 Depth=1
	v_and_b32_e32 v6, 7, v96
	v_lshrrev_b32_e32 v18, 3, v97
	s_mov_b32 s15, exec_lo
	v_cmpx_gt_u32_e32 8, v97
; %bb.670:                              ;   in Loop: Header=BB225_548 Depth=1
	s_delay_alu instid0(VALU_DEP_3) | instskip(NEXT) | instid1(VALU_DEP_1)
	v_clz_i32_u32_e32 v18, v6
	v_min_u32_e32 v18, 32, v18
	s_delay_alu instid0(VALU_DEP_1) | instskip(SKIP_1) | instid1(VALU_DEP_2)
	v_subrev_nc_u32_e32 v19, 28, v18
	v_sub_nc_u32_e32 v18, 29, v18
	v_lshlrev_b64 v[97:98], v19, v[6:7]
	s_delay_alu instid0(VALU_DEP_1)
	v_and_b32_e32 v6, 7, v97
; %bb.671:                              ;   in Loop: Header=BB225_548 Depth=1
	s_or_b32 exec_lo, exec_lo, s15
	v_lshlrev_b32_e32 v19, 24, v96
	s_delay_alu instid0(VALU_DEP_2) | instskip(SKIP_1) | instid1(VALU_DEP_3)
	v_lshlrev_b32_e32 v6, 20, v6
	v_lshl_add_u32 v18, v18, 23, 0x3c000000
	v_and_b32_e32 v19, 0x80000000, v19
	s_delay_alu instid0(VALU_DEP_1) | instskip(NEXT) | instid1(VALU_DEP_1)
	v_or3_b32 v6, v6, v19, v18
	v_dual_mov_b32 v19, v7 :: v_dual_mov_b32 v18, v6
.LBB225_672:                            ;   in Loop: Header=BB225_548 Depth=1
	s_or_b32 exec_lo, exec_lo, s13
.LBB225_673:                            ;   in Loop: Header=BB225_548 Depth=1
	s_delay_alu instid0(SALU_CYCLE_1)
	s_or_b32 exec_lo, exec_lo, s12
.LBB225_674:                            ;   in Loop: Header=BB225_548 Depth=1
	s_delay_alu instid0(SALU_CYCLE_1) | instskip(NEXT) | instid1(SALU_CYCLE_1)
	s_or_b32 exec_lo, exec_lo, s10
	s_mov_b32 s12, exec_lo
	v_cmpx_lt_u32_e32 0xffffff, v87
	s_cbranch_execz .LBB225_682
; %bb.675:                              ;   in Loop: Header=BB225_548 Depth=1
	v_lshrrev_b32_e32 v96, 24, v87
	v_dual_mov_b32 v24, s9 :: v_dual_mov_b32 v23, s8
	s_mov_b32 s13, exec_lo
	s_delay_alu instid0(VALU_DEP_2)
	v_cmpx_ne_u32_e32 0x80, v96
	s_cbranch_execz .LBB225_681
; %bb.676:                              ;   in Loop: Header=BB225_548 Depth=1
	s_mov_b32 s10, s8
	v_bfe_u32 v87, v87, 24, 7
	v_dual_mov_b32 v24, s11 :: v_dual_mov_b32 v23, s10
	s_mov_b32 s10, exec_lo
	s_delay_alu instid0(VALU_DEP_2)
	v_cmpx_ne_u32_e32 0x7f, v87
	s_cbranch_execz .LBB225_680
; %bb.677:                              ;   in Loop: Header=BB225_548 Depth=1
	v_and_b32_e32 v6, 7, v96
	v_lshrrev_b32_e32 v23, 3, v87
	s_mov_b32 s15, exec_lo
	v_cmpx_gt_u32_e32 8, v87
; %bb.678:                              ;   in Loop: Header=BB225_548 Depth=1
	s_delay_alu instid0(VALU_DEP_3) | instskip(NEXT) | instid1(VALU_DEP_1)
	v_clz_i32_u32_e32 v23, v6
	v_min_u32_e32 v23, 32, v23
	s_delay_alu instid0(VALU_DEP_1) | instskip(SKIP_1) | instid1(VALU_DEP_2)
	v_subrev_nc_u32_e32 v24, 28, v23
	v_sub_nc_u32_e32 v23, 29, v23
	v_lshlrev_b64 v[97:98], v24, v[6:7]
	s_delay_alu instid0(VALU_DEP_1)
	v_and_b32_e32 v6, 7, v97
; %bb.679:                              ;   in Loop: Header=BB225_548 Depth=1
	s_or_b32 exec_lo, exec_lo, s15
	v_lshlrev_b32_e32 v24, 24, v96
	s_delay_alu instid0(VALU_DEP_2) | instskip(SKIP_1) | instid1(VALU_DEP_3)
	v_lshlrev_b32_e32 v6, 20, v6
	v_lshl_add_u32 v23, v23, 23, 0x3c000000
	v_and_b32_e32 v24, 0x80000000, v24
	s_delay_alu instid0(VALU_DEP_1)
	v_or3_b32 v24, v6, v24, v23
	v_mov_b32_e32 v23, v7
.LBB225_680:                            ;   in Loop: Header=BB225_548 Depth=1
	s_or_b32 exec_lo, exec_lo, s10
.LBB225_681:                            ;   in Loop: Header=BB225_548 Depth=1
	s_delay_alu instid0(SALU_CYCLE_1)
	s_or_b32 exec_lo, exec_lo, s13
.LBB225_682:                            ;   in Loop: Header=BB225_548 Depth=1
	s_delay_alu instid0(SALU_CYCLE_1) | instskip(SKIP_4) | instid1(VALU_DEP_4)
	s_or_b32 exec_lo, exec_lo, s12
	v_or_b32_e32 v6, v17, v15
	v_or_b32_e32 v14, v16, v14
	;; [unrolled: 1-line block ×4, first 2 shown]
	v_mul_f32_e32 v98, v55, v6
	s_delay_alu instid0(VALU_DEP_4) | instskip(NEXT) | instid1(VALU_DEP_3)
	v_mul_f32_e32 v97, v26, v14
	v_dual_mul_f32 v87, v55, v15 :: v_dual_mul_f32 v96, v26, v16
	s_and_saveexec_b32 s10, vcc_lo
; %bb.683:                              ;   in Loop: Header=BB225_548 Depth=1
	v_cmp_lt_i32_e64 s0, v68, v161
	s_delay_alu instid0(VALU_DEP_1) | instskip(SKIP_1) | instid1(VALU_DEP_1)
	v_cndmask_b32_e64 v97, 0, v97, s0
	v_cmp_lt_i32_e64 s0, v70, v161
	v_cndmask_b32_e64 v98, 0, v98, s0
	v_cmp_lt_i32_e64 s0, v69, v161
	s_delay_alu instid0(VALU_DEP_1) | instskip(SKIP_1) | instid1(VALU_DEP_1)
	v_cndmask_b32_e64 v96, 0, v96, s0
	v_cmp_lt_i32_e64 s0, v21, v161
	v_cndmask_b32_e64 v87, 0, v87, s0
; %bb.684:                              ;   in Loop: Header=BB225_548 Depth=1
	s_or_b32 exec_lo, exec_lo, s10
	flat_load_b32 v99, v[12:13] offset:512
	v_mov_b32_e32 v16, 0
	v_mov_b32_e32 v17, 0
	s_mov_b32 s10, exec_lo
	s_waitcnt vmcnt(0) lgkmcnt(0)
	v_and_b32_e32 v6, 0xff, v99
	s_delay_alu instid0(VALU_DEP_2) | instskip(NEXT) | instid1(VALU_DEP_2)
	v_dual_mov_b32 v14, v16 :: v_dual_mov_b32 v15, v17
	v_cmpx_ne_u16_e32 0, v6
	s_cbranch_execz .LBB225_692
; %bb.685:                              ;   in Loop: Header=BB225_548 Depth=1
	v_bfrev_b32_e32 v14, 1
	v_mov_b32_e32 v15, 0
	s_mov_b32 s12, exec_lo
	v_cmpx_ne_u16_e32 0x80, v6
	s_cbranch_execz .LBB225_691
; %bb.686:                              ;   in Loop: Header=BB225_548 Depth=1
	v_mov_b32_e32 v14, 0x7f800001
	v_dual_mov_b32 v15, 0 :: v_dual_and_b32 v18, 0x7f, v99
	s_mov_b32 s13, exec_lo
	s_delay_alu instid0(VALU_DEP_1)
	v_cmpx_ne_u32_e32 0x7f, v18
	s_cbranch_execz .LBB225_690
; %bb.687:                              ;   in Loop: Header=BB225_548 Depth=1
	v_and_b32_e32 v6, 7, v99
	v_lshrrev_b32_e32 v14, 3, v18
	s_mov_b32 s15, exec_lo
	v_cmpx_gt_u32_e32 8, v18
; %bb.688:                              ;   in Loop: Header=BB225_548 Depth=1
	s_delay_alu instid0(VALU_DEP_3) | instskip(NEXT) | instid1(VALU_DEP_1)
	v_clz_i32_u32_e32 v14, v6
	v_min_u32_e32 v14, 32, v14
	s_delay_alu instid0(VALU_DEP_1) | instskip(SKIP_1) | instid1(VALU_DEP_2)
	v_subrev_nc_u32_e32 v15, 28, v14
	v_sub_nc_u32_e32 v14, 29, v14
	v_lshlrev_b64 v[18:19], v15, v[6:7]
	s_delay_alu instid0(VALU_DEP_1)
	v_and_b32_e32 v6, 7, v18
; %bb.689:                              ;   in Loop: Header=BB225_548 Depth=1
	s_or_b32 exec_lo, exec_lo, s15
	v_lshlrev_b32_e32 v15, 24, v99
	s_delay_alu instid0(VALU_DEP_2) | instskip(SKIP_1) | instid1(VALU_DEP_3)
	v_lshlrev_b32_e32 v6, 20, v6
	v_lshl_add_u32 v14, v14, 23, 0x3c000000
	v_and_b32_e32 v15, 0x80000000, v15
	s_delay_alu instid0(VALU_DEP_1) | instskip(NEXT) | instid1(VALU_DEP_1)
	v_or3_b32 v6, v6, v15, v14
	v_dual_mov_b32 v15, v7 :: v_dual_mov_b32 v14, v6
.LBB225_690:                            ;   in Loop: Header=BB225_548 Depth=1
	s_or_b32 exec_lo, exec_lo, s13
.LBB225_691:                            ;   in Loop: Header=BB225_548 Depth=1
	s_delay_alu instid0(SALU_CYCLE_1)
	s_or_b32 exec_lo, exec_lo, s12
.LBB225_692:                            ;   in Loop: Header=BB225_548 Depth=1
	s_delay_alu instid0(SALU_CYCLE_1) | instskip(SKIP_2) | instid1(VALU_DEP_1)
	s_or_b32 exec_lo, exec_lo, s10
	v_lshrrev_b16 v6, 8, v99
	s_mov_b32 s12, exec_lo
	v_cmpx_ne_u16_e32 0, v6
	s_cbranch_execz .LBB225_700
; %bb.693:                              ;   in Loop: Header=BB225_548 Depth=1
	v_dual_mov_b32 v17, s9 :: v_dual_mov_b32 v16, s8
	s_mov_b32 s13, exec_lo
	v_cmpx_ne_u16_e32 0x80, v6
	s_cbranch_execz .LBB225_699
; %bb.694:                              ;   in Loop: Header=BB225_548 Depth=1
	s_mov_b32 s10, s8
	v_dual_mov_b32 v17, s11 :: v_dual_and_b32 v6, 0xffff, v6
	v_mov_b32_e32 v16, s10
	s_mov_b32 s10, exec_lo
	s_delay_alu instid0(VALU_DEP_2) | instskip(NEXT) | instid1(VALU_DEP_1)
	v_and_b32_e32 v18, 0x7f, v6
	v_cmpx_ne_u32_e32 0x7f, v18
	s_cbranch_execz .LBB225_698
; %bb.695:                              ;   in Loop: Header=BB225_548 Depth=1
	v_and_b32_e32 v6, 7, v6
	v_lshrrev_b32_e32 v16, 3, v18
	s_mov_b32 s15, exec_lo
	v_cmpx_gt_u32_e32 8, v18
; %bb.696:                              ;   in Loop: Header=BB225_548 Depth=1
	s_delay_alu instid0(VALU_DEP_3) | instskip(NEXT) | instid1(VALU_DEP_1)
	v_clz_i32_u32_e32 v16, v6
	v_min_u32_e32 v16, 32, v16
	s_delay_alu instid0(VALU_DEP_1) | instskip(SKIP_1) | instid1(VALU_DEP_2)
	v_subrev_nc_u32_e32 v17, 28, v16
	v_sub_nc_u32_e32 v16, 29, v16
	v_lshlrev_b64 v[17:18], v17, v[6:7]
	s_delay_alu instid0(VALU_DEP_1)
	v_and_b32_e32 v6, 7, v17
; %bb.697:                              ;   in Loop: Header=BB225_548 Depth=1
	s_or_b32 exec_lo, exec_lo, s15
	v_lshlrev_b32_e32 v17, 16, v99
	s_delay_alu instid0(VALU_DEP_2) | instskip(SKIP_1) | instid1(VALU_DEP_3)
	v_lshlrev_b32_e32 v6, 20, v6
	v_lshl_add_u32 v16, v16, 23, 0x3c000000
	v_and_b32_e32 v17, 0x80000000, v17
	s_delay_alu instid0(VALU_DEP_1)
	v_or3_b32 v17, v6, v17, v16
	v_mov_b32_e32 v16, v7
.LBB225_698:                            ;   in Loop: Header=BB225_548 Depth=1
	s_or_b32 exec_lo, exec_lo, s10
.LBB225_699:                            ;   in Loop: Header=BB225_548 Depth=1
	s_delay_alu instid0(SALU_CYCLE_1)
	s_or_b32 exec_lo, exec_lo, s13
.LBB225_700:                            ;   in Loop: Header=BB225_548 Depth=1
	s_delay_alu instid0(SALU_CYCLE_1) | instskip(SKIP_3) | instid1(VALU_DEP_2)
	s_or_b32 exec_lo, exec_lo, s12
	v_lshrrev_b32_e32 v100, 16, v99
	v_mov_b32_e32 v23, 0
	v_mov_b32_e32 v24, 0
	;; [unrolled: 1-line block ×3, first 2 shown]
	s_mov_b32 s10, exec_lo
	s_delay_alu instid0(VALU_DEP_2) | instskip(NEXT) | instid1(VALU_DEP_1)
	v_dual_mov_b32 v19, v24 :: v_dual_and_b32 v6, 0xff, v100
	v_cmpx_ne_u16_e32 0, v6
	s_cbranch_execz .LBB225_708
; %bb.701:                              ;   in Loop: Header=BB225_548 Depth=1
	v_bfrev_b32_e32 v18, 1
	v_mov_b32_e32 v19, 0
	s_mov_b32 s12, exec_lo
	v_cmpx_ne_u16_e32 0x80, v6
	s_cbranch_execz .LBB225_707
; %bb.702:                              ;   in Loop: Header=BB225_548 Depth=1
	v_mov_b32_e32 v18, 0x7f800001
	v_bfe_u32 v101, v99, 16, 7
	v_mov_b32_e32 v19, 0
	s_mov_b32 s13, exec_lo
	s_delay_alu instid0(VALU_DEP_2)
	v_cmpx_ne_u32_e32 0x7f, v101
	s_cbranch_execz .LBB225_706
; %bb.703:                              ;   in Loop: Header=BB225_548 Depth=1
	v_and_b32_e32 v6, 7, v100
	v_lshrrev_b32_e32 v18, 3, v101
	s_mov_b32 s15, exec_lo
	v_cmpx_gt_u32_e32 8, v101
; %bb.704:                              ;   in Loop: Header=BB225_548 Depth=1
	s_delay_alu instid0(VALU_DEP_3) | instskip(NEXT) | instid1(VALU_DEP_1)
	v_clz_i32_u32_e32 v18, v6
	v_min_u32_e32 v18, 32, v18
	s_delay_alu instid0(VALU_DEP_1) | instskip(SKIP_1) | instid1(VALU_DEP_2)
	v_subrev_nc_u32_e32 v19, 28, v18
	v_sub_nc_u32_e32 v18, 29, v18
	v_lshlrev_b64 v[101:102], v19, v[6:7]
	s_delay_alu instid0(VALU_DEP_1)
	v_and_b32_e32 v6, 7, v101
; %bb.705:                              ;   in Loop: Header=BB225_548 Depth=1
	s_or_b32 exec_lo, exec_lo, s15
	v_lshlrev_b32_e32 v19, 24, v100
	s_delay_alu instid0(VALU_DEP_2) | instskip(SKIP_1) | instid1(VALU_DEP_3)
	v_lshlrev_b32_e32 v6, 20, v6
	v_lshl_add_u32 v18, v18, 23, 0x3c000000
	v_and_b32_e32 v19, 0x80000000, v19
	s_delay_alu instid0(VALU_DEP_1) | instskip(NEXT) | instid1(VALU_DEP_1)
	v_or3_b32 v6, v6, v19, v18
	v_dual_mov_b32 v19, v7 :: v_dual_mov_b32 v18, v6
.LBB225_706:                            ;   in Loop: Header=BB225_548 Depth=1
	s_or_b32 exec_lo, exec_lo, s13
.LBB225_707:                            ;   in Loop: Header=BB225_548 Depth=1
	s_delay_alu instid0(SALU_CYCLE_1)
	s_or_b32 exec_lo, exec_lo, s12
.LBB225_708:                            ;   in Loop: Header=BB225_548 Depth=1
	s_delay_alu instid0(SALU_CYCLE_1) | instskip(NEXT) | instid1(SALU_CYCLE_1)
	s_or_b32 exec_lo, exec_lo, s10
	s_mov_b32 s12, exec_lo
	v_cmpx_lt_u32_e32 0xffffff, v99
	s_cbranch_execz .LBB225_716
; %bb.709:                              ;   in Loop: Header=BB225_548 Depth=1
	v_lshrrev_b32_e32 v100, 24, v99
	v_dual_mov_b32 v24, s9 :: v_dual_mov_b32 v23, s8
	s_mov_b32 s13, exec_lo
	s_delay_alu instid0(VALU_DEP_2)
	v_cmpx_ne_u32_e32 0x80, v100
	s_cbranch_execz .LBB225_715
; %bb.710:                              ;   in Loop: Header=BB225_548 Depth=1
	s_mov_b32 s10, s8
	v_bfe_u32 v99, v99, 24, 7
	v_dual_mov_b32 v24, s11 :: v_dual_mov_b32 v23, s10
	s_mov_b32 s10, exec_lo
	s_delay_alu instid0(VALU_DEP_2)
	v_cmpx_ne_u32_e32 0x7f, v99
	s_cbranch_execz .LBB225_714
; %bb.711:                              ;   in Loop: Header=BB225_548 Depth=1
	v_and_b32_e32 v6, 7, v100
	v_lshrrev_b32_e32 v23, 3, v99
	s_mov_b32 s15, exec_lo
	v_cmpx_gt_u32_e32 8, v99
; %bb.712:                              ;   in Loop: Header=BB225_548 Depth=1
	s_delay_alu instid0(VALU_DEP_3) | instskip(NEXT) | instid1(VALU_DEP_1)
	v_clz_i32_u32_e32 v23, v6
	v_min_u32_e32 v23, 32, v23
	s_delay_alu instid0(VALU_DEP_1) | instskip(SKIP_1) | instid1(VALU_DEP_2)
	v_subrev_nc_u32_e32 v24, 28, v23
	v_sub_nc_u32_e32 v23, 29, v23
	v_lshlrev_b64 v[101:102], v24, v[6:7]
	s_delay_alu instid0(VALU_DEP_1)
	v_and_b32_e32 v6, 7, v101
; %bb.713:                              ;   in Loop: Header=BB225_548 Depth=1
	s_or_b32 exec_lo, exec_lo, s15
	v_lshlrev_b32_e32 v24, 24, v100
	s_delay_alu instid0(VALU_DEP_2) | instskip(SKIP_1) | instid1(VALU_DEP_3)
	v_lshlrev_b32_e32 v6, 20, v6
	v_lshl_add_u32 v23, v23, 23, 0x3c000000
	v_and_b32_e32 v24, 0x80000000, v24
	s_delay_alu instid0(VALU_DEP_1)
	v_or3_b32 v24, v6, v24, v23
	v_mov_b32_e32 v23, v7
.LBB225_714:                            ;   in Loop: Header=BB225_548 Depth=1
	s_or_b32 exec_lo, exec_lo, s10
.LBB225_715:                            ;   in Loop: Header=BB225_548 Depth=1
	s_delay_alu instid0(SALU_CYCLE_1)
	s_or_b32 exec_lo, exec_lo, s13
.LBB225_716:                            ;   in Loop: Header=BB225_548 Depth=1
	s_delay_alu instid0(SALU_CYCLE_1) | instskip(SKIP_4) | instid1(VALU_DEP_4)
	s_or_b32 exec_lo, exec_lo, s12
	v_or_b32_e32 v6, v17, v15
	v_or_b32_e32 v14, v16, v14
	;; [unrolled: 1-line block ×4, first 2 shown]
	v_mul_f32_e32 v102, v55, v6
	s_delay_alu instid0(VALU_DEP_4) | instskip(NEXT) | instid1(VALU_DEP_3)
	v_mul_f32_e32 v101, v26, v14
	v_dual_mul_f32 v99, v55, v15 :: v_dual_mul_f32 v100, v26, v16
	s_and_saveexec_b32 s10, vcc_lo
; %bb.717:                              ;   in Loop: Header=BB225_548 Depth=1
	v_cmp_lt_i32_e64 s0, v68, v161
	s_delay_alu instid0(VALU_DEP_1) | instskip(SKIP_1) | instid1(VALU_DEP_1)
	v_cndmask_b32_e64 v101, 0, v101, s0
	v_cmp_lt_i32_e64 s0, v70, v161
	v_cndmask_b32_e64 v102, 0, v102, s0
	v_cmp_lt_i32_e64 s0, v69, v161
	s_delay_alu instid0(VALU_DEP_1) | instskip(SKIP_1) | instid1(VALU_DEP_1)
	v_cndmask_b32_e64 v100, 0, v100, s0
	v_cmp_lt_i32_e64 s0, v21, v161
	v_cndmask_b32_e64 v99, 0, v99, s0
; %bb.718:                              ;   in Loop: Header=BB225_548 Depth=1
	s_or_b32 exec_lo, exec_lo, s10
	flat_load_b32 v103, v[12:13] offset:640
	v_mov_b32_e32 v16, 0
	v_mov_b32_e32 v17, 0
	s_mov_b32 s10, exec_lo
	s_waitcnt vmcnt(0) lgkmcnt(0)
	v_and_b32_e32 v6, 0xff, v103
	s_delay_alu instid0(VALU_DEP_2) | instskip(NEXT) | instid1(VALU_DEP_2)
	v_dual_mov_b32 v14, v16 :: v_dual_mov_b32 v15, v17
	v_cmpx_ne_u16_e32 0, v6
	s_cbranch_execz .LBB225_726
; %bb.719:                              ;   in Loop: Header=BB225_548 Depth=1
	v_bfrev_b32_e32 v14, 1
	v_mov_b32_e32 v15, 0
	s_mov_b32 s12, exec_lo
	v_cmpx_ne_u16_e32 0x80, v6
	s_cbranch_execz .LBB225_725
; %bb.720:                              ;   in Loop: Header=BB225_548 Depth=1
	v_mov_b32_e32 v14, 0x7f800001
	v_dual_mov_b32 v15, 0 :: v_dual_and_b32 v18, 0x7f, v103
	s_mov_b32 s13, exec_lo
	s_delay_alu instid0(VALU_DEP_1)
	v_cmpx_ne_u32_e32 0x7f, v18
	s_cbranch_execz .LBB225_724
; %bb.721:                              ;   in Loop: Header=BB225_548 Depth=1
	v_and_b32_e32 v6, 7, v103
	v_lshrrev_b32_e32 v14, 3, v18
	s_mov_b32 s15, exec_lo
	v_cmpx_gt_u32_e32 8, v18
; %bb.722:                              ;   in Loop: Header=BB225_548 Depth=1
	s_delay_alu instid0(VALU_DEP_3) | instskip(NEXT) | instid1(VALU_DEP_1)
	v_clz_i32_u32_e32 v14, v6
	v_min_u32_e32 v14, 32, v14
	s_delay_alu instid0(VALU_DEP_1) | instskip(SKIP_1) | instid1(VALU_DEP_2)
	v_subrev_nc_u32_e32 v15, 28, v14
	v_sub_nc_u32_e32 v14, 29, v14
	v_lshlrev_b64 v[18:19], v15, v[6:7]
	s_delay_alu instid0(VALU_DEP_1)
	v_and_b32_e32 v6, 7, v18
; %bb.723:                              ;   in Loop: Header=BB225_548 Depth=1
	s_or_b32 exec_lo, exec_lo, s15
	v_lshlrev_b32_e32 v15, 24, v103
	s_delay_alu instid0(VALU_DEP_2) | instskip(SKIP_1) | instid1(VALU_DEP_3)
	v_lshlrev_b32_e32 v6, 20, v6
	v_lshl_add_u32 v14, v14, 23, 0x3c000000
	v_and_b32_e32 v15, 0x80000000, v15
	s_delay_alu instid0(VALU_DEP_1) | instskip(NEXT) | instid1(VALU_DEP_1)
	v_or3_b32 v6, v6, v15, v14
	v_dual_mov_b32 v15, v7 :: v_dual_mov_b32 v14, v6
.LBB225_724:                            ;   in Loop: Header=BB225_548 Depth=1
	s_or_b32 exec_lo, exec_lo, s13
.LBB225_725:                            ;   in Loop: Header=BB225_548 Depth=1
	s_delay_alu instid0(SALU_CYCLE_1)
	s_or_b32 exec_lo, exec_lo, s12
.LBB225_726:                            ;   in Loop: Header=BB225_548 Depth=1
	s_delay_alu instid0(SALU_CYCLE_1) | instskip(SKIP_2) | instid1(VALU_DEP_1)
	s_or_b32 exec_lo, exec_lo, s10
	v_lshrrev_b16 v6, 8, v103
	s_mov_b32 s12, exec_lo
	v_cmpx_ne_u16_e32 0, v6
	s_cbranch_execz .LBB225_734
; %bb.727:                              ;   in Loop: Header=BB225_548 Depth=1
	v_dual_mov_b32 v17, s9 :: v_dual_mov_b32 v16, s8
	s_mov_b32 s13, exec_lo
	v_cmpx_ne_u16_e32 0x80, v6
	s_cbranch_execz .LBB225_733
; %bb.728:                              ;   in Loop: Header=BB225_548 Depth=1
	s_mov_b32 s10, s8
	v_dual_mov_b32 v17, s11 :: v_dual_and_b32 v6, 0xffff, v6
	v_mov_b32_e32 v16, s10
	s_mov_b32 s10, exec_lo
	s_delay_alu instid0(VALU_DEP_2) | instskip(NEXT) | instid1(VALU_DEP_1)
	v_and_b32_e32 v18, 0x7f, v6
	v_cmpx_ne_u32_e32 0x7f, v18
	s_cbranch_execz .LBB225_732
; %bb.729:                              ;   in Loop: Header=BB225_548 Depth=1
	v_and_b32_e32 v6, 7, v6
	v_lshrrev_b32_e32 v16, 3, v18
	s_mov_b32 s15, exec_lo
	v_cmpx_gt_u32_e32 8, v18
; %bb.730:                              ;   in Loop: Header=BB225_548 Depth=1
	s_delay_alu instid0(VALU_DEP_3) | instskip(NEXT) | instid1(VALU_DEP_1)
	v_clz_i32_u32_e32 v16, v6
	v_min_u32_e32 v16, 32, v16
	s_delay_alu instid0(VALU_DEP_1) | instskip(SKIP_1) | instid1(VALU_DEP_2)
	v_subrev_nc_u32_e32 v17, 28, v16
	v_sub_nc_u32_e32 v16, 29, v16
	v_lshlrev_b64 v[17:18], v17, v[6:7]
	s_delay_alu instid0(VALU_DEP_1)
	v_and_b32_e32 v6, 7, v17
; %bb.731:                              ;   in Loop: Header=BB225_548 Depth=1
	s_or_b32 exec_lo, exec_lo, s15
	v_lshlrev_b32_e32 v17, 16, v103
	s_delay_alu instid0(VALU_DEP_2) | instskip(SKIP_1) | instid1(VALU_DEP_3)
	v_lshlrev_b32_e32 v6, 20, v6
	v_lshl_add_u32 v16, v16, 23, 0x3c000000
	v_and_b32_e32 v17, 0x80000000, v17
	s_delay_alu instid0(VALU_DEP_1)
	v_or3_b32 v17, v6, v17, v16
	v_mov_b32_e32 v16, v7
.LBB225_732:                            ;   in Loop: Header=BB225_548 Depth=1
	s_or_b32 exec_lo, exec_lo, s10
.LBB225_733:                            ;   in Loop: Header=BB225_548 Depth=1
	s_delay_alu instid0(SALU_CYCLE_1)
	s_or_b32 exec_lo, exec_lo, s13
.LBB225_734:                            ;   in Loop: Header=BB225_548 Depth=1
	s_delay_alu instid0(SALU_CYCLE_1) | instskip(SKIP_3) | instid1(VALU_DEP_2)
	s_or_b32 exec_lo, exec_lo, s12
	v_lshrrev_b32_e32 v112, 16, v103
	v_mov_b32_e32 v23, 0
	v_mov_b32_e32 v24, 0
	;; [unrolled: 1-line block ×3, first 2 shown]
	s_mov_b32 s10, exec_lo
	s_delay_alu instid0(VALU_DEP_2) | instskip(NEXT) | instid1(VALU_DEP_1)
	v_dual_mov_b32 v19, v24 :: v_dual_and_b32 v6, 0xff, v112
	v_cmpx_ne_u16_e32 0, v6
	s_cbranch_execz .LBB225_742
; %bb.735:                              ;   in Loop: Header=BB225_548 Depth=1
	v_bfrev_b32_e32 v18, 1
	v_mov_b32_e32 v19, 0
	s_mov_b32 s12, exec_lo
	v_cmpx_ne_u16_e32 0x80, v6
	s_cbranch_execz .LBB225_741
; %bb.736:                              ;   in Loop: Header=BB225_548 Depth=1
	v_mov_b32_e32 v18, 0x7f800001
	v_bfe_u32 v113, v103, 16, 7
	v_mov_b32_e32 v19, 0
	s_mov_b32 s13, exec_lo
	s_delay_alu instid0(VALU_DEP_2)
	v_cmpx_ne_u32_e32 0x7f, v113
	s_cbranch_execz .LBB225_740
; %bb.737:                              ;   in Loop: Header=BB225_548 Depth=1
	v_and_b32_e32 v6, 7, v112
	v_lshrrev_b32_e32 v18, 3, v113
	s_mov_b32 s15, exec_lo
	v_cmpx_gt_u32_e32 8, v113
; %bb.738:                              ;   in Loop: Header=BB225_548 Depth=1
	s_delay_alu instid0(VALU_DEP_3) | instskip(NEXT) | instid1(VALU_DEP_1)
	v_clz_i32_u32_e32 v18, v6
	v_min_u32_e32 v18, 32, v18
	s_delay_alu instid0(VALU_DEP_1) | instskip(SKIP_1) | instid1(VALU_DEP_2)
	v_subrev_nc_u32_e32 v19, 28, v18
	v_sub_nc_u32_e32 v18, 29, v18
	v_lshlrev_b64 v[113:114], v19, v[6:7]
	s_delay_alu instid0(VALU_DEP_1)
	v_and_b32_e32 v6, 7, v113
; %bb.739:                              ;   in Loop: Header=BB225_548 Depth=1
	s_or_b32 exec_lo, exec_lo, s15
	v_lshlrev_b32_e32 v19, 24, v112
	s_delay_alu instid0(VALU_DEP_2) | instskip(SKIP_1) | instid1(VALU_DEP_3)
	v_lshlrev_b32_e32 v6, 20, v6
	v_lshl_add_u32 v18, v18, 23, 0x3c000000
	v_and_b32_e32 v19, 0x80000000, v19
	s_delay_alu instid0(VALU_DEP_1) | instskip(NEXT) | instid1(VALU_DEP_1)
	v_or3_b32 v6, v6, v19, v18
	v_dual_mov_b32 v19, v7 :: v_dual_mov_b32 v18, v6
.LBB225_740:                            ;   in Loop: Header=BB225_548 Depth=1
	s_or_b32 exec_lo, exec_lo, s13
.LBB225_741:                            ;   in Loop: Header=BB225_548 Depth=1
	s_delay_alu instid0(SALU_CYCLE_1)
	s_or_b32 exec_lo, exec_lo, s12
.LBB225_742:                            ;   in Loop: Header=BB225_548 Depth=1
	s_delay_alu instid0(SALU_CYCLE_1) | instskip(NEXT) | instid1(SALU_CYCLE_1)
	s_or_b32 exec_lo, exec_lo, s10
	s_mov_b32 s12, exec_lo
	v_cmpx_lt_u32_e32 0xffffff, v103
	s_cbranch_execz .LBB225_750
; %bb.743:                              ;   in Loop: Header=BB225_548 Depth=1
	v_lshrrev_b32_e32 v112, 24, v103
	v_dual_mov_b32 v24, s9 :: v_dual_mov_b32 v23, s8
	s_mov_b32 s13, exec_lo
	s_delay_alu instid0(VALU_DEP_2)
	v_cmpx_ne_u32_e32 0x80, v112
	s_cbranch_execz .LBB225_749
; %bb.744:                              ;   in Loop: Header=BB225_548 Depth=1
	s_mov_b32 s10, s8
	v_bfe_u32 v103, v103, 24, 7
	v_dual_mov_b32 v24, s11 :: v_dual_mov_b32 v23, s10
	s_mov_b32 s10, exec_lo
	s_delay_alu instid0(VALU_DEP_2)
	v_cmpx_ne_u32_e32 0x7f, v103
	s_cbranch_execz .LBB225_748
; %bb.745:                              ;   in Loop: Header=BB225_548 Depth=1
	v_and_b32_e32 v6, 7, v112
	v_lshrrev_b32_e32 v23, 3, v103
	s_mov_b32 s15, exec_lo
	v_cmpx_gt_u32_e32 8, v103
; %bb.746:                              ;   in Loop: Header=BB225_548 Depth=1
	s_delay_alu instid0(VALU_DEP_3) | instskip(NEXT) | instid1(VALU_DEP_1)
	v_clz_i32_u32_e32 v23, v6
	v_min_u32_e32 v23, 32, v23
	s_delay_alu instid0(VALU_DEP_1) | instskip(SKIP_1) | instid1(VALU_DEP_2)
	v_subrev_nc_u32_e32 v24, 28, v23
	v_sub_nc_u32_e32 v23, 29, v23
	v_lshlrev_b64 v[113:114], v24, v[6:7]
	s_delay_alu instid0(VALU_DEP_1)
	v_and_b32_e32 v6, 7, v113
; %bb.747:                              ;   in Loop: Header=BB225_548 Depth=1
	s_or_b32 exec_lo, exec_lo, s15
	v_lshlrev_b32_e32 v24, 24, v112
	s_delay_alu instid0(VALU_DEP_2) | instskip(SKIP_1) | instid1(VALU_DEP_3)
	v_lshlrev_b32_e32 v6, 20, v6
	v_lshl_add_u32 v23, v23, 23, 0x3c000000
	v_and_b32_e32 v24, 0x80000000, v24
	s_delay_alu instid0(VALU_DEP_1)
	v_or3_b32 v24, v6, v24, v23
	v_mov_b32_e32 v23, v7
.LBB225_748:                            ;   in Loop: Header=BB225_548 Depth=1
	s_or_b32 exec_lo, exec_lo, s10
.LBB225_749:                            ;   in Loop: Header=BB225_548 Depth=1
	s_delay_alu instid0(SALU_CYCLE_1)
	s_or_b32 exec_lo, exec_lo, s13
.LBB225_750:                            ;   in Loop: Header=BB225_548 Depth=1
	s_delay_alu instid0(SALU_CYCLE_1) | instskip(SKIP_4) | instid1(VALU_DEP_4)
	s_or_b32 exec_lo, exec_lo, s12
	v_or_b32_e32 v6, v17, v15
	v_or_b32_e32 v14, v16, v14
	;; [unrolled: 1-line block ×4, first 2 shown]
	v_mul_f32_e32 v114, v55, v6
	s_delay_alu instid0(VALU_DEP_4) | instskip(NEXT) | instid1(VALU_DEP_3)
	v_mul_f32_e32 v113, v26, v14
	v_dual_mul_f32 v103, v55, v15 :: v_dual_mul_f32 v112, v26, v16
	s_and_saveexec_b32 s10, vcc_lo
; %bb.751:                              ;   in Loop: Header=BB225_548 Depth=1
	v_cmp_lt_i32_e64 s0, v68, v161
	s_delay_alu instid0(VALU_DEP_1) | instskip(SKIP_1) | instid1(VALU_DEP_1)
	v_cndmask_b32_e64 v113, 0, v113, s0
	v_cmp_lt_i32_e64 s0, v70, v161
	v_cndmask_b32_e64 v114, 0, v114, s0
	v_cmp_lt_i32_e64 s0, v69, v161
	s_delay_alu instid0(VALU_DEP_1) | instskip(SKIP_1) | instid1(VALU_DEP_1)
	v_cndmask_b32_e64 v112, 0, v112, s0
	v_cmp_lt_i32_e64 s0, v21, v161
	v_cndmask_b32_e64 v103, 0, v103, s0
; %bb.752:                              ;   in Loop: Header=BB225_548 Depth=1
	s_or_b32 exec_lo, exec_lo, s10
	flat_load_b32 v115, v[12:13] offset:768
	v_mov_b32_e32 v16, 0
	v_mov_b32_e32 v17, 0
	s_mov_b32 s10, exec_lo
	s_waitcnt vmcnt(0) lgkmcnt(0)
	v_and_b32_e32 v6, 0xff, v115
	s_delay_alu instid0(VALU_DEP_2) | instskip(NEXT) | instid1(VALU_DEP_2)
	v_dual_mov_b32 v14, v16 :: v_dual_mov_b32 v15, v17
	v_cmpx_ne_u16_e32 0, v6
	s_cbranch_execz .LBB225_760
; %bb.753:                              ;   in Loop: Header=BB225_548 Depth=1
	v_bfrev_b32_e32 v14, 1
	v_mov_b32_e32 v15, 0
	s_mov_b32 s12, exec_lo
	v_cmpx_ne_u16_e32 0x80, v6
	s_cbranch_execz .LBB225_759
; %bb.754:                              ;   in Loop: Header=BB225_548 Depth=1
	v_mov_b32_e32 v14, 0x7f800001
	v_dual_mov_b32 v15, 0 :: v_dual_and_b32 v18, 0x7f, v115
	s_mov_b32 s13, exec_lo
	s_delay_alu instid0(VALU_DEP_1)
	v_cmpx_ne_u32_e32 0x7f, v18
	s_cbranch_execz .LBB225_758
; %bb.755:                              ;   in Loop: Header=BB225_548 Depth=1
	v_and_b32_e32 v6, 7, v115
	v_lshrrev_b32_e32 v14, 3, v18
	s_mov_b32 s15, exec_lo
	v_cmpx_gt_u32_e32 8, v18
; %bb.756:                              ;   in Loop: Header=BB225_548 Depth=1
	s_delay_alu instid0(VALU_DEP_3) | instskip(NEXT) | instid1(VALU_DEP_1)
	v_clz_i32_u32_e32 v14, v6
	v_min_u32_e32 v14, 32, v14
	s_delay_alu instid0(VALU_DEP_1) | instskip(SKIP_1) | instid1(VALU_DEP_2)
	v_subrev_nc_u32_e32 v15, 28, v14
	v_sub_nc_u32_e32 v14, 29, v14
	v_lshlrev_b64 v[18:19], v15, v[6:7]
	s_delay_alu instid0(VALU_DEP_1)
	v_and_b32_e32 v6, 7, v18
; %bb.757:                              ;   in Loop: Header=BB225_548 Depth=1
	s_or_b32 exec_lo, exec_lo, s15
	v_lshlrev_b32_e32 v15, 24, v115
	s_delay_alu instid0(VALU_DEP_2) | instskip(SKIP_1) | instid1(VALU_DEP_3)
	v_lshlrev_b32_e32 v6, 20, v6
	v_lshl_add_u32 v14, v14, 23, 0x3c000000
	v_and_b32_e32 v15, 0x80000000, v15
	s_delay_alu instid0(VALU_DEP_1) | instskip(NEXT) | instid1(VALU_DEP_1)
	v_or3_b32 v6, v6, v15, v14
	v_dual_mov_b32 v15, v7 :: v_dual_mov_b32 v14, v6
.LBB225_758:                            ;   in Loop: Header=BB225_548 Depth=1
	s_or_b32 exec_lo, exec_lo, s13
.LBB225_759:                            ;   in Loop: Header=BB225_548 Depth=1
	s_delay_alu instid0(SALU_CYCLE_1)
	s_or_b32 exec_lo, exec_lo, s12
.LBB225_760:                            ;   in Loop: Header=BB225_548 Depth=1
	s_delay_alu instid0(SALU_CYCLE_1) | instskip(SKIP_2) | instid1(VALU_DEP_1)
	s_or_b32 exec_lo, exec_lo, s10
	v_lshrrev_b16 v6, 8, v115
	s_mov_b32 s12, exec_lo
	v_cmpx_ne_u16_e32 0, v6
	s_cbranch_execz .LBB225_768
; %bb.761:                              ;   in Loop: Header=BB225_548 Depth=1
	v_dual_mov_b32 v17, s9 :: v_dual_mov_b32 v16, s8
	s_mov_b32 s13, exec_lo
	v_cmpx_ne_u16_e32 0x80, v6
	s_cbranch_execz .LBB225_767
; %bb.762:                              ;   in Loop: Header=BB225_548 Depth=1
	s_mov_b32 s10, s8
	v_dual_mov_b32 v17, s11 :: v_dual_and_b32 v6, 0xffff, v6
	v_mov_b32_e32 v16, s10
	s_mov_b32 s10, exec_lo
	s_delay_alu instid0(VALU_DEP_2) | instskip(NEXT) | instid1(VALU_DEP_1)
	v_and_b32_e32 v18, 0x7f, v6
	v_cmpx_ne_u32_e32 0x7f, v18
	s_cbranch_execz .LBB225_766
; %bb.763:                              ;   in Loop: Header=BB225_548 Depth=1
	v_and_b32_e32 v6, 7, v6
	v_lshrrev_b32_e32 v16, 3, v18
	s_mov_b32 s15, exec_lo
	v_cmpx_gt_u32_e32 8, v18
; %bb.764:                              ;   in Loop: Header=BB225_548 Depth=1
	s_delay_alu instid0(VALU_DEP_3) | instskip(NEXT) | instid1(VALU_DEP_1)
	v_clz_i32_u32_e32 v16, v6
	v_min_u32_e32 v16, 32, v16
	s_delay_alu instid0(VALU_DEP_1) | instskip(SKIP_1) | instid1(VALU_DEP_2)
	v_subrev_nc_u32_e32 v17, 28, v16
	v_sub_nc_u32_e32 v16, 29, v16
	v_lshlrev_b64 v[17:18], v17, v[6:7]
	s_delay_alu instid0(VALU_DEP_1)
	v_and_b32_e32 v6, 7, v17
; %bb.765:                              ;   in Loop: Header=BB225_548 Depth=1
	s_or_b32 exec_lo, exec_lo, s15
	v_lshlrev_b32_e32 v17, 16, v115
	s_delay_alu instid0(VALU_DEP_2) | instskip(SKIP_1) | instid1(VALU_DEP_3)
	v_lshlrev_b32_e32 v6, 20, v6
	v_lshl_add_u32 v16, v16, 23, 0x3c000000
	v_and_b32_e32 v17, 0x80000000, v17
	s_delay_alu instid0(VALU_DEP_1)
	v_or3_b32 v17, v6, v17, v16
	v_mov_b32_e32 v16, v7
.LBB225_766:                            ;   in Loop: Header=BB225_548 Depth=1
	s_or_b32 exec_lo, exec_lo, s10
.LBB225_767:                            ;   in Loop: Header=BB225_548 Depth=1
	s_delay_alu instid0(SALU_CYCLE_1)
	s_or_b32 exec_lo, exec_lo, s13
.LBB225_768:                            ;   in Loop: Header=BB225_548 Depth=1
	s_delay_alu instid0(SALU_CYCLE_1) | instskip(SKIP_3) | instid1(VALU_DEP_2)
	s_or_b32 exec_lo, exec_lo, s12
	v_lshrrev_b32_e32 v116, 16, v115
	v_mov_b32_e32 v23, 0
	v_mov_b32_e32 v24, 0
	;; [unrolled: 1-line block ×3, first 2 shown]
	s_mov_b32 s10, exec_lo
	s_delay_alu instid0(VALU_DEP_2) | instskip(NEXT) | instid1(VALU_DEP_1)
	v_dual_mov_b32 v19, v24 :: v_dual_and_b32 v6, 0xff, v116
	v_cmpx_ne_u16_e32 0, v6
	s_cbranch_execz .LBB225_776
; %bb.769:                              ;   in Loop: Header=BB225_548 Depth=1
	v_bfrev_b32_e32 v18, 1
	v_mov_b32_e32 v19, 0
	s_mov_b32 s12, exec_lo
	v_cmpx_ne_u16_e32 0x80, v6
	s_cbranch_execz .LBB225_775
; %bb.770:                              ;   in Loop: Header=BB225_548 Depth=1
	v_mov_b32_e32 v18, 0x7f800001
	v_bfe_u32 v117, v115, 16, 7
	v_mov_b32_e32 v19, 0
	s_mov_b32 s13, exec_lo
	s_delay_alu instid0(VALU_DEP_2)
	v_cmpx_ne_u32_e32 0x7f, v117
	s_cbranch_execz .LBB225_774
; %bb.771:                              ;   in Loop: Header=BB225_548 Depth=1
	v_and_b32_e32 v6, 7, v116
	v_lshrrev_b32_e32 v18, 3, v117
	s_mov_b32 s15, exec_lo
	v_cmpx_gt_u32_e32 8, v117
; %bb.772:                              ;   in Loop: Header=BB225_548 Depth=1
	s_delay_alu instid0(VALU_DEP_3) | instskip(NEXT) | instid1(VALU_DEP_1)
	v_clz_i32_u32_e32 v18, v6
	v_min_u32_e32 v18, 32, v18
	s_delay_alu instid0(VALU_DEP_1) | instskip(SKIP_1) | instid1(VALU_DEP_2)
	v_subrev_nc_u32_e32 v19, 28, v18
	v_sub_nc_u32_e32 v18, 29, v18
	v_lshlrev_b64 v[117:118], v19, v[6:7]
	s_delay_alu instid0(VALU_DEP_1)
	v_and_b32_e32 v6, 7, v117
; %bb.773:                              ;   in Loop: Header=BB225_548 Depth=1
	s_or_b32 exec_lo, exec_lo, s15
	v_lshlrev_b32_e32 v19, 24, v116
	s_delay_alu instid0(VALU_DEP_2) | instskip(SKIP_1) | instid1(VALU_DEP_3)
	v_lshlrev_b32_e32 v6, 20, v6
	v_lshl_add_u32 v18, v18, 23, 0x3c000000
	v_and_b32_e32 v19, 0x80000000, v19
	s_delay_alu instid0(VALU_DEP_1) | instskip(NEXT) | instid1(VALU_DEP_1)
	v_or3_b32 v6, v6, v19, v18
	v_dual_mov_b32 v19, v7 :: v_dual_mov_b32 v18, v6
.LBB225_774:                            ;   in Loop: Header=BB225_548 Depth=1
	s_or_b32 exec_lo, exec_lo, s13
.LBB225_775:                            ;   in Loop: Header=BB225_548 Depth=1
	s_delay_alu instid0(SALU_CYCLE_1)
	s_or_b32 exec_lo, exec_lo, s12
.LBB225_776:                            ;   in Loop: Header=BB225_548 Depth=1
	s_delay_alu instid0(SALU_CYCLE_1) | instskip(NEXT) | instid1(SALU_CYCLE_1)
	s_or_b32 exec_lo, exec_lo, s10
	s_mov_b32 s12, exec_lo
	v_cmpx_lt_u32_e32 0xffffff, v115
	s_cbranch_execz .LBB225_784
; %bb.777:                              ;   in Loop: Header=BB225_548 Depth=1
	v_lshrrev_b32_e32 v116, 24, v115
	v_dual_mov_b32 v24, s9 :: v_dual_mov_b32 v23, s8
	s_mov_b32 s13, exec_lo
	s_delay_alu instid0(VALU_DEP_2)
	v_cmpx_ne_u32_e32 0x80, v116
	s_cbranch_execz .LBB225_783
; %bb.778:                              ;   in Loop: Header=BB225_548 Depth=1
	s_mov_b32 s10, s8
	v_bfe_u32 v115, v115, 24, 7
	v_dual_mov_b32 v24, s11 :: v_dual_mov_b32 v23, s10
	s_mov_b32 s10, exec_lo
	s_delay_alu instid0(VALU_DEP_2)
	v_cmpx_ne_u32_e32 0x7f, v115
	s_cbranch_execz .LBB225_782
; %bb.779:                              ;   in Loop: Header=BB225_548 Depth=1
	v_and_b32_e32 v6, 7, v116
	v_lshrrev_b32_e32 v23, 3, v115
	s_mov_b32 s15, exec_lo
	v_cmpx_gt_u32_e32 8, v115
; %bb.780:                              ;   in Loop: Header=BB225_548 Depth=1
	s_delay_alu instid0(VALU_DEP_3) | instskip(NEXT) | instid1(VALU_DEP_1)
	v_clz_i32_u32_e32 v23, v6
	v_min_u32_e32 v23, 32, v23
	s_delay_alu instid0(VALU_DEP_1) | instskip(SKIP_1) | instid1(VALU_DEP_2)
	v_subrev_nc_u32_e32 v24, 28, v23
	v_sub_nc_u32_e32 v23, 29, v23
	v_lshlrev_b64 v[117:118], v24, v[6:7]
	s_delay_alu instid0(VALU_DEP_1)
	v_and_b32_e32 v6, 7, v117
; %bb.781:                              ;   in Loop: Header=BB225_548 Depth=1
	s_or_b32 exec_lo, exec_lo, s15
	v_lshlrev_b32_e32 v24, 24, v116
	s_delay_alu instid0(VALU_DEP_2) | instskip(SKIP_1) | instid1(VALU_DEP_3)
	v_lshlrev_b32_e32 v6, 20, v6
	v_lshl_add_u32 v23, v23, 23, 0x3c000000
	v_and_b32_e32 v24, 0x80000000, v24
	s_delay_alu instid0(VALU_DEP_1)
	v_or3_b32 v24, v6, v24, v23
	v_mov_b32_e32 v23, v7
.LBB225_782:                            ;   in Loop: Header=BB225_548 Depth=1
	s_or_b32 exec_lo, exec_lo, s10
.LBB225_783:                            ;   in Loop: Header=BB225_548 Depth=1
	s_delay_alu instid0(SALU_CYCLE_1)
	s_or_b32 exec_lo, exec_lo, s13
.LBB225_784:                            ;   in Loop: Header=BB225_548 Depth=1
	s_delay_alu instid0(SALU_CYCLE_1) | instskip(SKIP_4) | instid1(VALU_DEP_4)
	s_or_b32 exec_lo, exec_lo, s12
	v_or_b32_e32 v6, v17, v15
	v_or_b32_e32 v14, v16, v14
	;; [unrolled: 1-line block ×4, first 2 shown]
	v_mul_f32_e32 v118, v55, v6
	s_delay_alu instid0(VALU_DEP_4) | instskip(NEXT) | instid1(VALU_DEP_3)
	v_mul_f32_e32 v117, v26, v14
	v_dual_mul_f32 v115, v55, v15 :: v_dual_mul_f32 v116, v26, v16
	s_and_saveexec_b32 s10, vcc_lo
; %bb.785:                              ;   in Loop: Header=BB225_548 Depth=1
	v_cmp_lt_i32_e64 s0, v68, v161
	s_delay_alu instid0(VALU_DEP_1) | instskip(SKIP_1) | instid1(VALU_DEP_1)
	v_cndmask_b32_e64 v117, 0, v117, s0
	v_cmp_lt_i32_e64 s0, v70, v161
	v_cndmask_b32_e64 v118, 0, v118, s0
	v_cmp_lt_i32_e64 s0, v69, v161
	s_delay_alu instid0(VALU_DEP_1) | instskip(SKIP_1) | instid1(VALU_DEP_1)
	v_cndmask_b32_e64 v116, 0, v116, s0
	v_cmp_lt_i32_e64 s0, v21, v161
	v_cndmask_b32_e64 v115, 0, v115, s0
; %bb.786:                              ;   in Loop: Header=BB225_548 Depth=1
	s_or_b32 exec_lo, exec_lo, s10
	flat_load_b32 v119, v[12:13] offset:896
	v_mov_b32_e32 v16, 0
	v_mov_b32_e32 v17, 0
	s_mov_b32 s10, exec_lo
	s_waitcnt vmcnt(0) lgkmcnt(0)
	v_and_b32_e32 v6, 0xff, v119
	s_delay_alu instid0(VALU_DEP_2) | instskip(NEXT) | instid1(VALU_DEP_2)
	v_dual_mov_b32 v14, v16 :: v_dual_mov_b32 v15, v17
	v_cmpx_ne_u16_e32 0, v6
	s_cbranch_execz .LBB225_794
; %bb.787:                              ;   in Loop: Header=BB225_548 Depth=1
	v_bfrev_b32_e32 v14, 1
	v_mov_b32_e32 v15, 0
	s_mov_b32 s12, exec_lo
	v_cmpx_ne_u16_e32 0x80, v6
	s_cbranch_execz .LBB225_793
; %bb.788:                              ;   in Loop: Header=BB225_548 Depth=1
	v_mov_b32_e32 v14, 0x7f800001
	v_dual_mov_b32 v15, 0 :: v_dual_and_b32 v18, 0x7f, v119
	s_mov_b32 s13, exec_lo
	s_delay_alu instid0(VALU_DEP_1)
	v_cmpx_ne_u32_e32 0x7f, v18
	s_cbranch_execz .LBB225_792
; %bb.789:                              ;   in Loop: Header=BB225_548 Depth=1
	v_and_b32_e32 v6, 7, v119
	v_lshrrev_b32_e32 v14, 3, v18
	s_mov_b32 s15, exec_lo
	v_cmpx_gt_u32_e32 8, v18
; %bb.790:                              ;   in Loop: Header=BB225_548 Depth=1
	s_delay_alu instid0(VALU_DEP_3) | instskip(NEXT) | instid1(VALU_DEP_1)
	v_clz_i32_u32_e32 v14, v6
	v_min_u32_e32 v14, 32, v14
	s_delay_alu instid0(VALU_DEP_1) | instskip(SKIP_1) | instid1(VALU_DEP_2)
	v_subrev_nc_u32_e32 v15, 28, v14
	v_sub_nc_u32_e32 v14, 29, v14
	v_lshlrev_b64 v[18:19], v15, v[6:7]
	s_delay_alu instid0(VALU_DEP_1)
	v_and_b32_e32 v6, 7, v18
; %bb.791:                              ;   in Loop: Header=BB225_548 Depth=1
	s_or_b32 exec_lo, exec_lo, s15
	v_lshlrev_b32_e32 v15, 24, v119
	s_delay_alu instid0(VALU_DEP_2) | instskip(SKIP_1) | instid1(VALU_DEP_3)
	v_lshlrev_b32_e32 v6, 20, v6
	v_lshl_add_u32 v14, v14, 23, 0x3c000000
	v_and_b32_e32 v15, 0x80000000, v15
	s_delay_alu instid0(VALU_DEP_1) | instskip(NEXT) | instid1(VALU_DEP_1)
	v_or3_b32 v6, v6, v15, v14
	v_dual_mov_b32 v15, v7 :: v_dual_mov_b32 v14, v6
.LBB225_792:                            ;   in Loop: Header=BB225_548 Depth=1
	s_or_b32 exec_lo, exec_lo, s13
.LBB225_793:                            ;   in Loop: Header=BB225_548 Depth=1
	s_delay_alu instid0(SALU_CYCLE_1)
	s_or_b32 exec_lo, exec_lo, s12
.LBB225_794:                            ;   in Loop: Header=BB225_548 Depth=1
	s_delay_alu instid0(SALU_CYCLE_1) | instskip(SKIP_2) | instid1(VALU_DEP_1)
	s_or_b32 exec_lo, exec_lo, s10
	v_lshrrev_b16 v6, 8, v119
	s_mov_b32 s12, exec_lo
	v_cmpx_ne_u16_e32 0, v6
	s_cbranch_execz .LBB225_802
; %bb.795:                              ;   in Loop: Header=BB225_548 Depth=1
	v_dual_mov_b32 v17, s9 :: v_dual_mov_b32 v16, s8
	s_mov_b32 s13, exec_lo
	v_cmpx_ne_u16_e32 0x80, v6
	s_cbranch_execz .LBB225_801
; %bb.796:                              ;   in Loop: Header=BB225_548 Depth=1
	s_mov_b32 s10, s8
	v_dual_mov_b32 v17, s11 :: v_dual_and_b32 v6, 0xffff, v6
	v_mov_b32_e32 v16, s10
	s_mov_b32 s10, exec_lo
	s_delay_alu instid0(VALU_DEP_2) | instskip(NEXT) | instid1(VALU_DEP_1)
	v_and_b32_e32 v18, 0x7f, v6
	v_cmpx_ne_u32_e32 0x7f, v18
	s_cbranch_execz .LBB225_800
; %bb.797:                              ;   in Loop: Header=BB225_548 Depth=1
	v_and_b32_e32 v6, 7, v6
	v_lshrrev_b32_e32 v16, 3, v18
	s_mov_b32 s15, exec_lo
	v_cmpx_gt_u32_e32 8, v18
; %bb.798:                              ;   in Loop: Header=BB225_548 Depth=1
	s_delay_alu instid0(VALU_DEP_3) | instskip(NEXT) | instid1(VALU_DEP_1)
	v_clz_i32_u32_e32 v16, v6
	v_min_u32_e32 v16, 32, v16
	s_delay_alu instid0(VALU_DEP_1) | instskip(SKIP_1) | instid1(VALU_DEP_2)
	v_subrev_nc_u32_e32 v17, 28, v16
	v_sub_nc_u32_e32 v16, 29, v16
	v_lshlrev_b64 v[17:18], v17, v[6:7]
	s_delay_alu instid0(VALU_DEP_1)
	v_and_b32_e32 v6, 7, v17
; %bb.799:                              ;   in Loop: Header=BB225_548 Depth=1
	s_or_b32 exec_lo, exec_lo, s15
	v_lshlrev_b32_e32 v17, 16, v119
	s_delay_alu instid0(VALU_DEP_2) | instskip(SKIP_1) | instid1(VALU_DEP_3)
	v_lshlrev_b32_e32 v6, 20, v6
	v_lshl_add_u32 v16, v16, 23, 0x3c000000
	v_and_b32_e32 v17, 0x80000000, v17
	s_delay_alu instid0(VALU_DEP_1)
	v_or3_b32 v17, v6, v17, v16
	v_mov_b32_e32 v16, v7
.LBB225_800:                            ;   in Loop: Header=BB225_548 Depth=1
	s_or_b32 exec_lo, exec_lo, s10
.LBB225_801:                            ;   in Loop: Header=BB225_548 Depth=1
	s_delay_alu instid0(SALU_CYCLE_1)
	s_or_b32 exec_lo, exec_lo, s13
.LBB225_802:                            ;   in Loop: Header=BB225_548 Depth=1
	s_delay_alu instid0(SALU_CYCLE_1) | instskip(SKIP_3) | instid1(VALU_DEP_2)
	s_or_b32 exec_lo, exec_lo, s12
	v_lshrrev_b32_e32 v128, 16, v119
	v_mov_b32_e32 v23, 0
	v_mov_b32_e32 v24, 0
	;; [unrolled: 1-line block ×3, first 2 shown]
	s_mov_b32 s10, exec_lo
	s_delay_alu instid0(VALU_DEP_2) | instskip(NEXT) | instid1(VALU_DEP_1)
	v_dual_mov_b32 v19, v24 :: v_dual_and_b32 v6, 0xff, v128
	v_cmpx_ne_u16_e32 0, v6
	s_cbranch_execz .LBB225_810
; %bb.803:                              ;   in Loop: Header=BB225_548 Depth=1
	v_bfrev_b32_e32 v18, 1
	v_mov_b32_e32 v19, 0
	s_mov_b32 s12, exec_lo
	v_cmpx_ne_u16_e32 0x80, v6
	s_cbranch_execz .LBB225_809
; %bb.804:                              ;   in Loop: Header=BB225_548 Depth=1
	v_mov_b32_e32 v18, 0x7f800001
	v_bfe_u32 v129, v119, 16, 7
	v_mov_b32_e32 v19, 0
	s_mov_b32 s13, exec_lo
	s_delay_alu instid0(VALU_DEP_2)
	v_cmpx_ne_u32_e32 0x7f, v129
	s_cbranch_execz .LBB225_808
; %bb.805:                              ;   in Loop: Header=BB225_548 Depth=1
	v_and_b32_e32 v6, 7, v128
	v_lshrrev_b32_e32 v18, 3, v129
	s_mov_b32 s15, exec_lo
	v_cmpx_gt_u32_e32 8, v129
; %bb.806:                              ;   in Loop: Header=BB225_548 Depth=1
	s_delay_alu instid0(VALU_DEP_3) | instskip(NEXT) | instid1(VALU_DEP_1)
	v_clz_i32_u32_e32 v18, v6
	v_min_u32_e32 v18, 32, v18
	s_delay_alu instid0(VALU_DEP_1) | instskip(SKIP_1) | instid1(VALU_DEP_2)
	v_subrev_nc_u32_e32 v19, 28, v18
	v_sub_nc_u32_e32 v18, 29, v18
	v_lshlrev_b64 v[129:130], v19, v[6:7]
	s_delay_alu instid0(VALU_DEP_1)
	v_and_b32_e32 v6, 7, v129
; %bb.807:                              ;   in Loop: Header=BB225_548 Depth=1
	s_or_b32 exec_lo, exec_lo, s15
	v_lshlrev_b32_e32 v19, 24, v128
	s_delay_alu instid0(VALU_DEP_2) | instskip(SKIP_1) | instid1(VALU_DEP_3)
	v_lshlrev_b32_e32 v6, 20, v6
	v_lshl_add_u32 v18, v18, 23, 0x3c000000
	v_and_b32_e32 v19, 0x80000000, v19
	s_delay_alu instid0(VALU_DEP_1) | instskip(NEXT) | instid1(VALU_DEP_1)
	v_or3_b32 v6, v6, v19, v18
	v_dual_mov_b32 v19, v7 :: v_dual_mov_b32 v18, v6
.LBB225_808:                            ;   in Loop: Header=BB225_548 Depth=1
	s_or_b32 exec_lo, exec_lo, s13
.LBB225_809:                            ;   in Loop: Header=BB225_548 Depth=1
	s_delay_alu instid0(SALU_CYCLE_1)
	s_or_b32 exec_lo, exec_lo, s12
.LBB225_810:                            ;   in Loop: Header=BB225_548 Depth=1
	s_delay_alu instid0(SALU_CYCLE_1) | instskip(NEXT) | instid1(SALU_CYCLE_1)
	s_or_b32 exec_lo, exec_lo, s10
	s_mov_b32 s12, exec_lo
	v_cmpx_lt_u32_e32 0xffffff, v119
	s_cbranch_execz .LBB225_818
; %bb.811:                              ;   in Loop: Header=BB225_548 Depth=1
	v_lshrrev_b32_e32 v128, 24, v119
	v_dual_mov_b32 v24, s9 :: v_dual_mov_b32 v23, s8
	s_mov_b32 s13, exec_lo
	s_delay_alu instid0(VALU_DEP_2)
	v_cmpx_ne_u32_e32 0x80, v128
	s_cbranch_execz .LBB225_817
; %bb.812:                              ;   in Loop: Header=BB225_548 Depth=1
	s_mov_b32 s10, s8
	v_bfe_u32 v119, v119, 24, 7
	v_dual_mov_b32 v24, s11 :: v_dual_mov_b32 v23, s10
	s_mov_b32 s10, exec_lo
	s_delay_alu instid0(VALU_DEP_2)
	v_cmpx_ne_u32_e32 0x7f, v119
	s_cbranch_execz .LBB225_816
; %bb.813:                              ;   in Loop: Header=BB225_548 Depth=1
	v_and_b32_e32 v6, 7, v128
	v_lshrrev_b32_e32 v23, 3, v119
	s_mov_b32 s15, exec_lo
	v_cmpx_gt_u32_e32 8, v119
; %bb.814:                              ;   in Loop: Header=BB225_548 Depth=1
	s_delay_alu instid0(VALU_DEP_3) | instskip(NEXT) | instid1(VALU_DEP_1)
	v_clz_i32_u32_e32 v23, v6
	v_min_u32_e32 v23, 32, v23
	s_delay_alu instid0(VALU_DEP_1) | instskip(SKIP_1) | instid1(VALU_DEP_2)
	v_subrev_nc_u32_e32 v24, 28, v23
	v_sub_nc_u32_e32 v23, 29, v23
	v_lshlrev_b64 v[129:130], v24, v[6:7]
	s_delay_alu instid0(VALU_DEP_1)
	v_and_b32_e32 v6, 7, v129
; %bb.815:                              ;   in Loop: Header=BB225_548 Depth=1
	s_or_b32 exec_lo, exec_lo, s15
	v_lshlrev_b32_e32 v24, 24, v128
	s_delay_alu instid0(VALU_DEP_2) | instskip(SKIP_1) | instid1(VALU_DEP_3)
	v_lshlrev_b32_e32 v6, 20, v6
	v_lshl_add_u32 v23, v23, 23, 0x3c000000
	v_and_b32_e32 v24, 0x80000000, v24
	s_delay_alu instid0(VALU_DEP_1)
	v_or3_b32 v24, v6, v24, v23
	v_mov_b32_e32 v23, v7
.LBB225_816:                            ;   in Loop: Header=BB225_548 Depth=1
	s_or_b32 exec_lo, exec_lo, s10
.LBB225_817:                            ;   in Loop: Header=BB225_548 Depth=1
	s_delay_alu instid0(SALU_CYCLE_1)
	s_or_b32 exec_lo, exec_lo, s13
.LBB225_818:                            ;   in Loop: Header=BB225_548 Depth=1
	s_delay_alu instid0(SALU_CYCLE_1) | instskip(SKIP_4) | instid1(VALU_DEP_4)
	s_or_b32 exec_lo, exec_lo, s12
	v_or_b32_e32 v6, v17, v15
	v_or_b32_e32 v14, v16, v14
	;; [unrolled: 1-line block ×4, first 2 shown]
	v_mul_f32_e32 v130, v55, v6
	s_delay_alu instid0(VALU_DEP_4) | instskip(NEXT) | instid1(VALU_DEP_3)
	v_mul_f32_e32 v129, v26, v14
	v_dual_mul_f32 v119, v55, v15 :: v_dual_mul_f32 v128, v26, v16
	s_and_saveexec_b32 s10, vcc_lo
; %bb.819:                              ;   in Loop: Header=BB225_548 Depth=1
	v_cmp_lt_i32_e64 s0, v68, v161
	s_delay_alu instid0(VALU_DEP_1) | instskip(SKIP_1) | instid1(VALU_DEP_1)
	v_cndmask_b32_e64 v129, 0, v129, s0
	v_cmp_lt_i32_e64 s0, v70, v161
	v_cndmask_b32_e64 v130, 0, v130, s0
	v_cmp_lt_i32_e64 s0, v69, v161
	s_delay_alu instid0(VALU_DEP_1) | instskip(SKIP_1) | instid1(VALU_DEP_1)
	v_cndmask_b32_e64 v128, 0, v128, s0
	v_cmp_lt_i32_e64 s0, v21, v161
	v_cndmask_b32_e64 v119, 0, v119, s0
; %bb.820:                              ;   in Loop: Header=BB225_548 Depth=1
	s_or_b32 exec_lo, exec_lo, s10
	flat_load_b32 v131, v[12:13] offset:1024
	v_mov_b32_e32 v16, 0
	v_mov_b32_e32 v17, 0
	s_mov_b32 s10, exec_lo
	s_waitcnt vmcnt(0) lgkmcnt(0)
	v_and_b32_e32 v6, 0xff, v131
	s_delay_alu instid0(VALU_DEP_2) | instskip(NEXT) | instid1(VALU_DEP_2)
	v_dual_mov_b32 v14, v16 :: v_dual_mov_b32 v15, v17
	v_cmpx_ne_u16_e32 0, v6
	s_cbranch_execz .LBB225_828
; %bb.821:                              ;   in Loop: Header=BB225_548 Depth=1
	v_bfrev_b32_e32 v14, 1
	v_mov_b32_e32 v15, 0
	s_mov_b32 s12, exec_lo
	v_cmpx_ne_u16_e32 0x80, v6
	s_cbranch_execz .LBB225_827
; %bb.822:                              ;   in Loop: Header=BB225_548 Depth=1
	v_mov_b32_e32 v14, 0x7f800001
	v_dual_mov_b32 v15, 0 :: v_dual_and_b32 v18, 0x7f, v131
	s_mov_b32 s13, exec_lo
	s_delay_alu instid0(VALU_DEP_1)
	v_cmpx_ne_u32_e32 0x7f, v18
	s_cbranch_execz .LBB225_826
; %bb.823:                              ;   in Loop: Header=BB225_548 Depth=1
	v_and_b32_e32 v6, 7, v131
	v_lshrrev_b32_e32 v14, 3, v18
	s_mov_b32 s15, exec_lo
	v_cmpx_gt_u32_e32 8, v18
; %bb.824:                              ;   in Loop: Header=BB225_548 Depth=1
	s_delay_alu instid0(VALU_DEP_3) | instskip(NEXT) | instid1(VALU_DEP_1)
	v_clz_i32_u32_e32 v14, v6
	v_min_u32_e32 v14, 32, v14
	s_delay_alu instid0(VALU_DEP_1) | instskip(SKIP_1) | instid1(VALU_DEP_2)
	v_subrev_nc_u32_e32 v15, 28, v14
	v_sub_nc_u32_e32 v14, 29, v14
	v_lshlrev_b64 v[18:19], v15, v[6:7]
	s_delay_alu instid0(VALU_DEP_1)
	v_and_b32_e32 v6, 7, v18
; %bb.825:                              ;   in Loop: Header=BB225_548 Depth=1
	s_or_b32 exec_lo, exec_lo, s15
	v_lshlrev_b32_e32 v15, 24, v131
	s_delay_alu instid0(VALU_DEP_2) | instskip(SKIP_1) | instid1(VALU_DEP_3)
	v_lshlrev_b32_e32 v6, 20, v6
	v_lshl_add_u32 v14, v14, 23, 0x3c000000
	v_and_b32_e32 v15, 0x80000000, v15
	s_delay_alu instid0(VALU_DEP_1) | instskip(NEXT) | instid1(VALU_DEP_1)
	v_or3_b32 v6, v6, v15, v14
	v_dual_mov_b32 v15, v7 :: v_dual_mov_b32 v14, v6
.LBB225_826:                            ;   in Loop: Header=BB225_548 Depth=1
	s_or_b32 exec_lo, exec_lo, s13
.LBB225_827:                            ;   in Loop: Header=BB225_548 Depth=1
	s_delay_alu instid0(SALU_CYCLE_1)
	s_or_b32 exec_lo, exec_lo, s12
.LBB225_828:                            ;   in Loop: Header=BB225_548 Depth=1
	s_delay_alu instid0(SALU_CYCLE_1) | instskip(SKIP_2) | instid1(VALU_DEP_1)
	s_or_b32 exec_lo, exec_lo, s10
	v_lshrrev_b16 v6, 8, v131
	s_mov_b32 s12, exec_lo
	v_cmpx_ne_u16_e32 0, v6
	s_cbranch_execz .LBB225_836
; %bb.829:                              ;   in Loop: Header=BB225_548 Depth=1
	v_dual_mov_b32 v17, s9 :: v_dual_mov_b32 v16, s8
	s_mov_b32 s13, exec_lo
	v_cmpx_ne_u16_e32 0x80, v6
	s_cbranch_execz .LBB225_835
; %bb.830:                              ;   in Loop: Header=BB225_548 Depth=1
	s_mov_b32 s10, s8
	v_dual_mov_b32 v17, s11 :: v_dual_and_b32 v6, 0xffff, v6
	v_mov_b32_e32 v16, s10
	s_mov_b32 s10, exec_lo
	s_delay_alu instid0(VALU_DEP_2) | instskip(NEXT) | instid1(VALU_DEP_1)
	v_and_b32_e32 v18, 0x7f, v6
	v_cmpx_ne_u32_e32 0x7f, v18
	s_cbranch_execz .LBB225_834
; %bb.831:                              ;   in Loop: Header=BB225_548 Depth=1
	v_and_b32_e32 v6, 7, v6
	v_lshrrev_b32_e32 v16, 3, v18
	s_mov_b32 s15, exec_lo
	v_cmpx_gt_u32_e32 8, v18
; %bb.832:                              ;   in Loop: Header=BB225_548 Depth=1
	s_delay_alu instid0(VALU_DEP_3) | instskip(NEXT) | instid1(VALU_DEP_1)
	v_clz_i32_u32_e32 v16, v6
	v_min_u32_e32 v16, 32, v16
	s_delay_alu instid0(VALU_DEP_1) | instskip(SKIP_1) | instid1(VALU_DEP_2)
	v_subrev_nc_u32_e32 v17, 28, v16
	v_sub_nc_u32_e32 v16, 29, v16
	v_lshlrev_b64 v[17:18], v17, v[6:7]
	s_delay_alu instid0(VALU_DEP_1)
	v_and_b32_e32 v6, 7, v17
; %bb.833:                              ;   in Loop: Header=BB225_548 Depth=1
	s_or_b32 exec_lo, exec_lo, s15
	v_lshlrev_b32_e32 v17, 16, v131
	s_delay_alu instid0(VALU_DEP_2) | instskip(SKIP_1) | instid1(VALU_DEP_3)
	v_lshlrev_b32_e32 v6, 20, v6
	v_lshl_add_u32 v16, v16, 23, 0x3c000000
	v_and_b32_e32 v17, 0x80000000, v17
	s_delay_alu instid0(VALU_DEP_1)
	v_or3_b32 v17, v6, v17, v16
	v_mov_b32_e32 v16, v7
.LBB225_834:                            ;   in Loop: Header=BB225_548 Depth=1
	s_or_b32 exec_lo, exec_lo, s10
.LBB225_835:                            ;   in Loop: Header=BB225_548 Depth=1
	s_delay_alu instid0(SALU_CYCLE_1)
	s_or_b32 exec_lo, exec_lo, s13
.LBB225_836:                            ;   in Loop: Header=BB225_548 Depth=1
	s_delay_alu instid0(SALU_CYCLE_1) | instskip(SKIP_3) | instid1(VALU_DEP_2)
	s_or_b32 exec_lo, exec_lo, s12
	v_lshrrev_b32_e32 v132, 16, v131
	v_mov_b32_e32 v23, 0
	v_mov_b32_e32 v24, 0
	;; [unrolled: 1-line block ×3, first 2 shown]
	s_mov_b32 s10, exec_lo
	s_delay_alu instid0(VALU_DEP_2) | instskip(NEXT) | instid1(VALU_DEP_1)
	v_dual_mov_b32 v19, v24 :: v_dual_and_b32 v6, 0xff, v132
	v_cmpx_ne_u16_e32 0, v6
	s_cbranch_execz .LBB225_844
; %bb.837:                              ;   in Loop: Header=BB225_548 Depth=1
	v_bfrev_b32_e32 v18, 1
	v_mov_b32_e32 v19, 0
	s_mov_b32 s12, exec_lo
	v_cmpx_ne_u16_e32 0x80, v6
	s_cbranch_execz .LBB225_843
; %bb.838:                              ;   in Loop: Header=BB225_548 Depth=1
	v_mov_b32_e32 v18, 0x7f800001
	v_bfe_u32 v133, v131, 16, 7
	v_mov_b32_e32 v19, 0
	s_mov_b32 s13, exec_lo
	s_delay_alu instid0(VALU_DEP_2)
	v_cmpx_ne_u32_e32 0x7f, v133
	s_cbranch_execz .LBB225_842
; %bb.839:                              ;   in Loop: Header=BB225_548 Depth=1
	v_and_b32_e32 v6, 7, v132
	v_lshrrev_b32_e32 v18, 3, v133
	s_mov_b32 s15, exec_lo
	v_cmpx_gt_u32_e32 8, v133
; %bb.840:                              ;   in Loop: Header=BB225_548 Depth=1
	s_delay_alu instid0(VALU_DEP_3) | instskip(NEXT) | instid1(VALU_DEP_1)
	v_clz_i32_u32_e32 v18, v6
	v_min_u32_e32 v18, 32, v18
	s_delay_alu instid0(VALU_DEP_1) | instskip(SKIP_1) | instid1(VALU_DEP_2)
	v_subrev_nc_u32_e32 v19, 28, v18
	v_sub_nc_u32_e32 v18, 29, v18
	v_lshlrev_b64 v[133:134], v19, v[6:7]
	s_delay_alu instid0(VALU_DEP_1)
	v_and_b32_e32 v6, 7, v133
; %bb.841:                              ;   in Loop: Header=BB225_548 Depth=1
	s_or_b32 exec_lo, exec_lo, s15
	v_lshlrev_b32_e32 v19, 24, v132
	s_delay_alu instid0(VALU_DEP_2) | instskip(SKIP_1) | instid1(VALU_DEP_3)
	v_lshlrev_b32_e32 v6, 20, v6
	v_lshl_add_u32 v18, v18, 23, 0x3c000000
	v_and_b32_e32 v19, 0x80000000, v19
	s_delay_alu instid0(VALU_DEP_1) | instskip(NEXT) | instid1(VALU_DEP_1)
	v_or3_b32 v6, v6, v19, v18
	v_dual_mov_b32 v19, v7 :: v_dual_mov_b32 v18, v6
.LBB225_842:                            ;   in Loop: Header=BB225_548 Depth=1
	s_or_b32 exec_lo, exec_lo, s13
.LBB225_843:                            ;   in Loop: Header=BB225_548 Depth=1
	s_delay_alu instid0(SALU_CYCLE_1)
	s_or_b32 exec_lo, exec_lo, s12
.LBB225_844:                            ;   in Loop: Header=BB225_548 Depth=1
	s_delay_alu instid0(SALU_CYCLE_1) | instskip(NEXT) | instid1(SALU_CYCLE_1)
	s_or_b32 exec_lo, exec_lo, s10
	s_mov_b32 s12, exec_lo
	v_cmpx_lt_u32_e32 0xffffff, v131
	s_cbranch_execz .LBB225_852
; %bb.845:                              ;   in Loop: Header=BB225_548 Depth=1
	v_lshrrev_b32_e32 v132, 24, v131
	v_dual_mov_b32 v24, s9 :: v_dual_mov_b32 v23, s8
	s_mov_b32 s13, exec_lo
	s_delay_alu instid0(VALU_DEP_2)
	v_cmpx_ne_u32_e32 0x80, v132
	s_cbranch_execz .LBB225_851
; %bb.846:                              ;   in Loop: Header=BB225_548 Depth=1
	s_mov_b32 s10, s8
	v_bfe_u32 v131, v131, 24, 7
	v_dual_mov_b32 v24, s11 :: v_dual_mov_b32 v23, s10
	s_mov_b32 s10, exec_lo
	s_delay_alu instid0(VALU_DEP_2)
	v_cmpx_ne_u32_e32 0x7f, v131
	s_cbranch_execz .LBB225_850
; %bb.847:                              ;   in Loop: Header=BB225_548 Depth=1
	v_and_b32_e32 v6, 7, v132
	v_lshrrev_b32_e32 v23, 3, v131
	s_mov_b32 s15, exec_lo
	v_cmpx_gt_u32_e32 8, v131
; %bb.848:                              ;   in Loop: Header=BB225_548 Depth=1
	s_delay_alu instid0(VALU_DEP_3) | instskip(NEXT) | instid1(VALU_DEP_1)
	v_clz_i32_u32_e32 v23, v6
	v_min_u32_e32 v23, 32, v23
	s_delay_alu instid0(VALU_DEP_1) | instskip(SKIP_1) | instid1(VALU_DEP_2)
	v_subrev_nc_u32_e32 v24, 28, v23
	v_sub_nc_u32_e32 v23, 29, v23
	v_lshlrev_b64 v[133:134], v24, v[6:7]
	s_delay_alu instid0(VALU_DEP_1)
	v_and_b32_e32 v6, 7, v133
; %bb.849:                              ;   in Loop: Header=BB225_548 Depth=1
	s_or_b32 exec_lo, exec_lo, s15
	v_lshlrev_b32_e32 v24, 24, v132
	s_delay_alu instid0(VALU_DEP_2) | instskip(SKIP_1) | instid1(VALU_DEP_3)
	v_lshlrev_b32_e32 v6, 20, v6
	v_lshl_add_u32 v23, v23, 23, 0x3c000000
	v_and_b32_e32 v24, 0x80000000, v24
	s_delay_alu instid0(VALU_DEP_1)
	v_or3_b32 v24, v6, v24, v23
	v_mov_b32_e32 v23, v7
.LBB225_850:                            ;   in Loop: Header=BB225_548 Depth=1
	s_or_b32 exec_lo, exec_lo, s10
.LBB225_851:                            ;   in Loop: Header=BB225_548 Depth=1
	s_delay_alu instid0(SALU_CYCLE_1)
	s_or_b32 exec_lo, exec_lo, s13
.LBB225_852:                            ;   in Loop: Header=BB225_548 Depth=1
	s_delay_alu instid0(SALU_CYCLE_1) | instskip(SKIP_4) | instid1(VALU_DEP_4)
	s_or_b32 exec_lo, exec_lo, s12
	v_or_b32_e32 v6, v17, v15
	v_or_b32_e32 v14, v16, v14
	;; [unrolled: 1-line block ×4, first 2 shown]
	v_mul_f32_e32 v134, v55, v6
	s_delay_alu instid0(VALU_DEP_4) | instskip(NEXT) | instid1(VALU_DEP_3)
	v_mul_f32_e32 v133, v26, v14
	v_dual_mul_f32 v131, v55, v15 :: v_dual_mul_f32 v132, v26, v16
	s_and_saveexec_b32 s10, vcc_lo
; %bb.853:                              ;   in Loop: Header=BB225_548 Depth=1
	v_cmp_lt_i32_e64 s0, v68, v161
	s_delay_alu instid0(VALU_DEP_1) | instskip(SKIP_1) | instid1(VALU_DEP_1)
	v_cndmask_b32_e64 v133, 0, v133, s0
	v_cmp_lt_i32_e64 s0, v70, v161
	v_cndmask_b32_e64 v134, 0, v134, s0
	v_cmp_lt_i32_e64 s0, v69, v161
	s_delay_alu instid0(VALU_DEP_1) | instskip(SKIP_1) | instid1(VALU_DEP_1)
	v_cndmask_b32_e64 v132, 0, v132, s0
	v_cmp_lt_i32_e64 s0, v21, v161
	v_cndmask_b32_e64 v131, 0, v131, s0
; %bb.854:                              ;   in Loop: Header=BB225_548 Depth=1
	s_or_b32 exec_lo, exec_lo, s10
	flat_load_b32 v135, v[12:13] offset:1152
	v_mov_b32_e32 v16, 0
	v_mov_b32_e32 v17, 0
	s_mov_b32 s10, exec_lo
	s_waitcnt vmcnt(0) lgkmcnt(0)
	v_and_b32_e32 v6, 0xff, v135
	s_delay_alu instid0(VALU_DEP_2) | instskip(NEXT) | instid1(VALU_DEP_2)
	v_dual_mov_b32 v14, v16 :: v_dual_mov_b32 v15, v17
	v_cmpx_ne_u16_e32 0, v6
	s_cbranch_execz .LBB225_862
; %bb.855:                              ;   in Loop: Header=BB225_548 Depth=1
	v_bfrev_b32_e32 v14, 1
	v_mov_b32_e32 v15, 0
	s_mov_b32 s12, exec_lo
	v_cmpx_ne_u16_e32 0x80, v6
	s_cbranch_execz .LBB225_861
; %bb.856:                              ;   in Loop: Header=BB225_548 Depth=1
	v_mov_b32_e32 v14, 0x7f800001
	v_dual_mov_b32 v15, 0 :: v_dual_and_b32 v18, 0x7f, v135
	s_mov_b32 s13, exec_lo
	s_delay_alu instid0(VALU_DEP_1)
	v_cmpx_ne_u32_e32 0x7f, v18
	s_cbranch_execz .LBB225_860
; %bb.857:                              ;   in Loop: Header=BB225_548 Depth=1
	v_and_b32_e32 v6, 7, v135
	v_lshrrev_b32_e32 v14, 3, v18
	s_mov_b32 s15, exec_lo
	v_cmpx_gt_u32_e32 8, v18
; %bb.858:                              ;   in Loop: Header=BB225_548 Depth=1
	s_delay_alu instid0(VALU_DEP_3) | instskip(NEXT) | instid1(VALU_DEP_1)
	v_clz_i32_u32_e32 v14, v6
	v_min_u32_e32 v14, 32, v14
	s_delay_alu instid0(VALU_DEP_1) | instskip(SKIP_1) | instid1(VALU_DEP_2)
	v_subrev_nc_u32_e32 v15, 28, v14
	v_sub_nc_u32_e32 v14, 29, v14
	v_lshlrev_b64 v[18:19], v15, v[6:7]
	s_delay_alu instid0(VALU_DEP_1)
	v_and_b32_e32 v6, 7, v18
; %bb.859:                              ;   in Loop: Header=BB225_548 Depth=1
	s_or_b32 exec_lo, exec_lo, s15
	v_lshlrev_b32_e32 v15, 24, v135
	s_delay_alu instid0(VALU_DEP_2) | instskip(SKIP_1) | instid1(VALU_DEP_3)
	v_lshlrev_b32_e32 v6, 20, v6
	v_lshl_add_u32 v14, v14, 23, 0x3c000000
	v_and_b32_e32 v15, 0x80000000, v15
	s_delay_alu instid0(VALU_DEP_1) | instskip(NEXT) | instid1(VALU_DEP_1)
	v_or3_b32 v6, v6, v15, v14
	v_dual_mov_b32 v15, v7 :: v_dual_mov_b32 v14, v6
.LBB225_860:                            ;   in Loop: Header=BB225_548 Depth=1
	s_or_b32 exec_lo, exec_lo, s13
.LBB225_861:                            ;   in Loop: Header=BB225_548 Depth=1
	s_delay_alu instid0(SALU_CYCLE_1)
	s_or_b32 exec_lo, exec_lo, s12
.LBB225_862:                            ;   in Loop: Header=BB225_548 Depth=1
	s_delay_alu instid0(SALU_CYCLE_1) | instskip(SKIP_2) | instid1(VALU_DEP_1)
	s_or_b32 exec_lo, exec_lo, s10
	v_lshrrev_b16 v6, 8, v135
	s_mov_b32 s12, exec_lo
	v_cmpx_ne_u16_e32 0, v6
	s_cbranch_execz .LBB225_870
; %bb.863:                              ;   in Loop: Header=BB225_548 Depth=1
	v_dual_mov_b32 v17, s9 :: v_dual_mov_b32 v16, s8
	s_mov_b32 s13, exec_lo
	v_cmpx_ne_u16_e32 0x80, v6
	s_cbranch_execz .LBB225_869
; %bb.864:                              ;   in Loop: Header=BB225_548 Depth=1
	s_mov_b32 s10, s8
	v_dual_mov_b32 v17, s11 :: v_dual_and_b32 v6, 0xffff, v6
	v_mov_b32_e32 v16, s10
	s_mov_b32 s10, exec_lo
	s_delay_alu instid0(VALU_DEP_2) | instskip(NEXT) | instid1(VALU_DEP_1)
	v_and_b32_e32 v18, 0x7f, v6
	v_cmpx_ne_u32_e32 0x7f, v18
	s_cbranch_execz .LBB225_868
; %bb.865:                              ;   in Loop: Header=BB225_548 Depth=1
	v_and_b32_e32 v6, 7, v6
	v_lshrrev_b32_e32 v16, 3, v18
	s_mov_b32 s15, exec_lo
	v_cmpx_gt_u32_e32 8, v18
; %bb.866:                              ;   in Loop: Header=BB225_548 Depth=1
	s_delay_alu instid0(VALU_DEP_3) | instskip(NEXT) | instid1(VALU_DEP_1)
	v_clz_i32_u32_e32 v16, v6
	v_min_u32_e32 v16, 32, v16
	s_delay_alu instid0(VALU_DEP_1) | instskip(SKIP_1) | instid1(VALU_DEP_2)
	v_subrev_nc_u32_e32 v17, 28, v16
	v_sub_nc_u32_e32 v16, 29, v16
	v_lshlrev_b64 v[17:18], v17, v[6:7]
	s_delay_alu instid0(VALU_DEP_1)
	v_and_b32_e32 v6, 7, v17
; %bb.867:                              ;   in Loop: Header=BB225_548 Depth=1
	s_or_b32 exec_lo, exec_lo, s15
	v_lshlrev_b32_e32 v17, 16, v135
	s_delay_alu instid0(VALU_DEP_2) | instskip(SKIP_1) | instid1(VALU_DEP_3)
	v_lshlrev_b32_e32 v6, 20, v6
	v_lshl_add_u32 v16, v16, 23, 0x3c000000
	v_and_b32_e32 v17, 0x80000000, v17
	s_delay_alu instid0(VALU_DEP_1)
	v_or3_b32 v17, v6, v17, v16
	v_mov_b32_e32 v16, v7
.LBB225_868:                            ;   in Loop: Header=BB225_548 Depth=1
	s_or_b32 exec_lo, exec_lo, s10
.LBB225_869:                            ;   in Loop: Header=BB225_548 Depth=1
	s_delay_alu instid0(SALU_CYCLE_1)
	s_or_b32 exec_lo, exec_lo, s13
.LBB225_870:                            ;   in Loop: Header=BB225_548 Depth=1
	s_delay_alu instid0(SALU_CYCLE_1) | instskip(SKIP_3) | instid1(VALU_DEP_2)
	s_or_b32 exec_lo, exec_lo, s12
	v_lshrrev_b32_e32 v144, 16, v135
	v_mov_b32_e32 v23, 0
	v_mov_b32_e32 v24, 0
	;; [unrolled: 1-line block ×3, first 2 shown]
	s_mov_b32 s10, exec_lo
	s_delay_alu instid0(VALU_DEP_2) | instskip(NEXT) | instid1(VALU_DEP_1)
	v_dual_mov_b32 v19, v24 :: v_dual_and_b32 v6, 0xff, v144
	v_cmpx_ne_u16_e32 0, v6
	s_cbranch_execz .LBB225_878
; %bb.871:                              ;   in Loop: Header=BB225_548 Depth=1
	v_bfrev_b32_e32 v18, 1
	v_mov_b32_e32 v19, 0
	s_mov_b32 s12, exec_lo
	v_cmpx_ne_u16_e32 0x80, v6
	s_cbranch_execz .LBB225_877
; %bb.872:                              ;   in Loop: Header=BB225_548 Depth=1
	v_mov_b32_e32 v18, 0x7f800001
	v_bfe_u32 v145, v135, 16, 7
	v_mov_b32_e32 v19, 0
	s_mov_b32 s13, exec_lo
	s_delay_alu instid0(VALU_DEP_2)
	v_cmpx_ne_u32_e32 0x7f, v145
	s_cbranch_execz .LBB225_876
; %bb.873:                              ;   in Loop: Header=BB225_548 Depth=1
	v_and_b32_e32 v6, 7, v144
	v_lshrrev_b32_e32 v18, 3, v145
	s_mov_b32 s15, exec_lo
	v_cmpx_gt_u32_e32 8, v145
; %bb.874:                              ;   in Loop: Header=BB225_548 Depth=1
	s_delay_alu instid0(VALU_DEP_3) | instskip(NEXT) | instid1(VALU_DEP_1)
	v_clz_i32_u32_e32 v18, v6
	v_min_u32_e32 v18, 32, v18
	s_delay_alu instid0(VALU_DEP_1) | instskip(SKIP_1) | instid1(VALU_DEP_2)
	v_subrev_nc_u32_e32 v19, 28, v18
	v_sub_nc_u32_e32 v18, 29, v18
	v_lshlrev_b64 v[145:146], v19, v[6:7]
	s_delay_alu instid0(VALU_DEP_1)
	v_and_b32_e32 v6, 7, v145
; %bb.875:                              ;   in Loop: Header=BB225_548 Depth=1
	s_or_b32 exec_lo, exec_lo, s15
	v_lshlrev_b32_e32 v19, 24, v144
	s_delay_alu instid0(VALU_DEP_2) | instskip(SKIP_1) | instid1(VALU_DEP_3)
	v_lshlrev_b32_e32 v6, 20, v6
	v_lshl_add_u32 v18, v18, 23, 0x3c000000
	v_and_b32_e32 v19, 0x80000000, v19
	s_delay_alu instid0(VALU_DEP_1) | instskip(NEXT) | instid1(VALU_DEP_1)
	v_or3_b32 v6, v6, v19, v18
	v_dual_mov_b32 v19, v7 :: v_dual_mov_b32 v18, v6
.LBB225_876:                            ;   in Loop: Header=BB225_548 Depth=1
	s_or_b32 exec_lo, exec_lo, s13
.LBB225_877:                            ;   in Loop: Header=BB225_548 Depth=1
	s_delay_alu instid0(SALU_CYCLE_1)
	s_or_b32 exec_lo, exec_lo, s12
.LBB225_878:                            ;   in Loop: Header=BB225_548 Depth=1
	s_delay_alu instid0(SALU_CYCLE_1) | instskip(NEXT) | instid1(SALU_CYCLE_1)
	s_or_b32 exec_lo, exec_lo, s10
	s_mov_b32 s12, exec_lo
	v_cmpx_lt_u32_e32 0xffffff, v135
	s_cbranch_execz .LBB225_886
; %bb.879:                              ;   in Loop: Header=BB225_548 Depth=1
	v_lshrrev_b32_e32 v144, 24, v135
	v_dual_mov_b32 v24, s9 :: v_dual_mov_b32 v23, s8
	s_mov_b32 s13, exec_lo
	s_delay_alu instid0(VALU_DEP_2)
	v_cmpx_ne_u32_e32 0x80, v144
	s_cbranch_execz .LBB225_885
; %bb.880:                              ;   in Loop: Header=BB225_548 Depth=1
	s_mov_b32 s10, s8
	v_bfe_u32 v135, v135, 24, 7
	v_dual_mov_b32 v24, s11 :: v_dual_mov_b32 v23, s10
	s_mov_b32 s10, exec_lo
	s_delay_alu instid0(VALU_DEP_2)
	v_cmpx_ne_u32_e32 0x7f, v135
	s_cbranch_execz .LBB225_884
; %bb.881:                              ;   in Loop: Header=BB225_548 Depth=1
	v_and_b32_e32 v6, 7, v144
	v_lshrrev_b32_e32 v23, 3, v135
	s_mov_b32 s15, exec_lo
	v_cmpx_gt_u32_e32 8, v135
; %bb.882:                              ;   in Loop: Header=BB225_548 Depth=1
	s_delay_alu instid0(VALU_DEP_3) | instskip(NEXT) | instid1(VALU_DEP_1)
	v_clz_i32_u32_e32 v23, v6
	v_min_u32_e32 v23, 32, v23
	s_delay_alu instid0(VALU_DEP_1) | instskip(SKIP_1) | instid1(VALU_DEP_2)
	v_subrev_nc_u32_e32 v24, 28, v23
	v_sub_nc_u32_e32 v23, 29, v23
	v_lshlrev_b64 v[145:146], v24, v[6:7]
	s_delay_alu instid0(VALU_DEP_1)
	v_and_b32_e32 v6, 7, v145
; %bb.883:                              ;   in Loop: Header=BB225_548 Depth=1
	s_or_b32 exec_lo, exec_lo, s15
	v_lshlrev_b32_e32 v24, 24, v144
	s_delay_alu instid0(VALU_DEP_2) | instskip(SKIP_1) | instid1(VALU_DEP_3)
	v_lshlrev_b32_e32 v6, 20, v6
	v_lshl_add_u32 v23, v23, 23, 0x3c000000
	v_and_b32_e32 v24, 0x80000000, v24
	s_delay_alu instid0(VALU_DEP_1)
	v_or3_b32 v24, v6, v24, v23
	v_mov_b32_e32 v23, v7
.LBB225_884:                            ;   in Loop: Header=BB225_548 Depth=1
	s_or_b32 exec_lo, exec_lo, s10
.LBB225_885:                            ;   in Loop: Header=BB225_548 Depth=1
	s_delay_alu instid0(SALU_CYCLE_1)
	s_or_b32 exec_lo, exec_lo, s13
.LBB225_886:                            ;   in Loop: Header=BB225_548 Depth=1
	s_delay_alu instid0(SALU_CYCLE_1) | instskip(SKIP_4) | instid1(VALU_DEP_4)
	s_or_b32 exec_lo, exec_lo, s12
	v_or_b32_e32 v6, v17, v15
	v_or_b32_e32 v14, v16, v14
	;; [unrolled: 1-line block ×4, first 2 shown]
	v_mul_f32_e32 v146, v55, v6
	s_delay_alu instid0(VALU_DEP_4) | instskip(NEXT) | instid1(VALU_DEP_3)
	v_mul_f32_e32 v145, v26, v14
	v_dual_mul_f32 v135, v55, v15 :: v_dual_mul_f32 v144, v26, v16
	s_and_saveexec_b32 s10, vcc_lo
; %bb.887:                              ;   in Loop: Header=BB225_548 Depth=1
	v_cmp_lt_i32_e64 s0, v68, v161
	s_delay_alu instid0(VALU_DEP_1) | instskip(SKIP_1) | instid1(VALU_DEP_1)
	v_cndmask_b32_e64 v145, 0, v145, s0
	v_cmp_lt_i32_e64 s0, v70, v161
	v_cndmask_b32_e64 v146, 0, v146, s0
	v_cmp_lt_i32_e64 s0, v69, v161
	s_delay_alu instid0(VALU_DEP_1) | instskip(SKIP_1) | instid1(VALU_DEP_1)
	v_cndmask_b32_e64 v144, 0, v144, s0
	v_cmp_lt_i32_e64 s0, v21, v161
	v_cndmask_b32_e64 v135, 0, v135, s0
; %bb.888:                              ;   in Loop: Header=BB225_548 Depth=1
	s_or_b32 exec_lo, exec_lo, s10
	flat_load_b32 v147, v[12:13] offset:1280
	v_mov_b32_e32 v16, 0
	v_mov_b32_e32 v17, 0
	s_mov_b32 s10, exec_lo
	s_waitcnt vmcnt(0) lgkmcnt(0)
	v_and_b32_e32 v6, 0xff, v147
	s_delay_alu instid0(VALU_DEP_2) | instskip(NEXT) | instid1(VALU_DEP_2)
	v_dual_mov_b32 v14, v16 :: v_dual_mov_b32 v15, v17
	v_cmpx_ne_u16_e32 0, v6
	s_cbranch_execz .LBB225_896
; %bb.889:                              ;   in Loop: Header=BB225_548 Depth=1
	v_bfrev_b32_e32 v14, 1
	v_mov_b32_e32 v15, 0
	s_mov_b32 s12, exec_lo
	v_cmpx_ne_u16_e32 0x80, v6
	s_cbranch_execz .LBB225_895
; %bb.890:                              ;   in Loop: Header=BB225_548 Depth=1
	v_mov_b32_e32 v14, 0x7f800001
	v_dual_mov_b32 v15, 0 :: v_dual_and_b32 v18, 0x7f, v147
	s_mov_b32 s13, exec_lo
	s_delay_alu instid0(VALU_DEP_1)
	v_cmpx_ne_u32_e32 0x7f, v18
	s_cbranch_execz .LBB225_894
; %bb.891:                              ;   in Loop: Header=BB225_548 Depth=1
	v_and_b32_e32 v6, 7, v147
	v_lshrrev_b32_e32 v14, 3, v18
	s_mov_b32 s15, exec_lo
	v_cmpx_gt_u32_e32 8, v18
; %bb.892:                              ;   in Loop: Header=BB225_548 Depth=1
	s_delay_alu instid0(VALU_DEP_3) | instskip(NEXT) | instid1(VALU_DEP_1)
	v_clz_i32_u32_e32 v14, v6
	v_min_u32_e32 v14, 32, v14
	s_delay_alu instid0(VALU_DEP_1) | instskip(SKIP_1) | instid1(VALU_DEP_2)
	v_subrev_nc_u32_e32 v15, 28, v14
	v_sub_nc_u32_e32 v14, 29, v14
	v_lshlrev_b64 v[18:19], v15, v[6:7]
	s_delay_alu instid0(VALU_DEP_1)
	v_and_b32_e32 v6, 7, v18
; %bb.893:                              ;   in Loop: Header=BB225_548 Depth=1
	s_or_b32 exec_lo, exec_lo, s15
	v_lshlrev_b32_e32 v15, 24, v147
	s_delay_alu instid0(VALU_DEP_2) | instskip(SKIP_1) | instid1(VALU_DEP_3)
	v_lshlrev_b32_e32 v6, 20, v6
	v_lshl_add_u32 v14, v14, 23, 0x3c000000
	v_and_b32_e32 v15, 0x80000000, v15
	s_delay_alu instid0(VALU_DEP_1) | instskip(NEXT) | instid1(VALU_DEP_1)
	v_or3_b32 v6, v6, v15, v14
	v_dual_mov_b32 v15, v7 :: v_dual_mov_b32 v14, v6
.LBB225_894:                            ;   in Loop: Header=BB225_548 Depth=1
	s_or_b32 exec_lo, exec_lo, s13
.LBB225_895:                            ;   in Loop: Header=BB225_548 Depth=1
	s_delay_alu instid0(SALU_CYCLE_1)
	s_or_b32 exec_lo, exec_lo, s12
.LBB225_896:                            ;   in Loop: Header=BB225_548 Depth=1
	s_delay_alu instid0(SALU_CYCLE_1) | instskip(SKIP_2) | instid1(VALU_DEP_1)
	s_or_b32 exec_lo, exec_lo, s10
	v_lshrrev_b16 v6, 8, v147
	s_mov_b32 s12, exec_lo
	v_cmpx_ne_u16_e32 0, v6
	s_cbranch_execz .LBB225_904
; %bb.897:                              ;   in Loop: Header=BB225_548 Depth=1
	v_dual_mov_b32 v17, s9 :: v_dual_mov_b32 v16, s8
	s_mov_b32 s13, exec_lo
	v_cmpx_ne_u16_e32 0x80, v6
	s_cbranch_execz .LBB225_903
; %bb.898:                              ;   in Loop: Header=BB225_548 Depth=1
	s_mov_b32 s10, s8
	v_dual_mov_b32 v17, s11 :: v_dual_and_b32 v6, 0xffff, v6
	v_mov_b32_e32 v16, s10
	s_mov_b32 s10, exec_lo
	s_delay_alu instid0(VALU_DEP_2) | instskip(NEXT) | instid1(VALU_DEP_1)
	v_and_b32_e32 v18, 0x7f, v6
	v_cmpx_ne_u32_e32 0x7f, v18
	s_cbranch_execz .LBB225_902
; %bb.899:                              ;   in Loop: Header=BB225_548 Depth=1
	v_and_b32_e32 v6, 7, v6
	v_lshrrev_b32_e32 v16, 3, v18
	s_mov_b32 s15, exec_lo
	v_cmpx_gt_u32_e32 8, v18
; %bb.900:                              ;   in Loop: Header=BB225_548 Depth=1
	s_delay_alu instid0(VALU_DEP_3) | instskip(NEXT) | instid1(VALU_DEP_1)
	v_clz_i32_u32_e32 v16, v6
	v_min_u32_e32 v16, 32, v16
	s_delay_alu instid0(VALU_DEP_1) | instskip(SKIP_1) | instid1(VALU_DEP_2)
	v_subrev_nc_u32_e32 v17, 28, v16
	v_sub_nc_u32_e32 v16, 29, v16
	v_lshlrev_b64 v[17:18], v17, v[6:7]
	s_delay_alu instid0(VALU_DEP_1)
	v_and_b32_e32 v6, 7, v17
; %bb.901:                              ;   in Loop: Header=BB225_548 Depth=1
	s_or_b32 exec_lo, exec_lo, s15
	v_lshlrev_b32_e32 v17, 16, v147
	s_delay_alu instid0(VALU_DEP_2) | instskip(SKIP_1) | instid1(VALU_DEP_3)
	v_lshlrev_b32_e32 v6, 20, v6
	v_lshl_add_u32 v16, v16, 23, 0x3c000000
	v_and_b32_e32 v17, 0x80000000, v17
	s_delay_alu instid0(VALU_DEP_1)
	v_or3_b32 v17, v6, v17, v16
	v_mov_b32_e32 v16, v7
.LBB225_902:                            ;   in Loop: Header=BB225_548 Depth=1
	s_or_b32 exec_lo, exec_lo, s10
.LBB225_903:                            ;   in Loop: Header=BB225_548 Depth=1
	s_delay_alu instid0(SALU_CYCLE_1)
	s_or_b32 exec_lo, exec_lo, s13
.LBB225_904:                            ;   in Loop: Header=BB225_548 Depth=1
	s_delay_alu instid0(SALU_CYCLE_1) | instskip(SKIP_3) | instid1(VALU_DEP_2)
	s_or_b32 exec_lo, exec_lo, s12
	v_lshrrev_b32_e32 v148, 16, v147
	v_mov_b32_e32 v23, 0
	v_mov_b32_e32 v24, 0
	;; [unrolled: 1-line block ×3, first 2 shown]
	s_mov_b32 s10, exec_lo
	s_delay_alu instid0(VALU_DEP_2) | instskip(NEXT) | instid1(VALU_DEP_1)
	v_dual_mov_b32 v19, v24 :: v_dual_and_b32 v6, 0xff, v148
	v_cmpx_ne_u16_e32 0, v6
	s_cbranch_execz .LBB225_912
; %bb.905:                              ;   in Loop: Header=BB225_548 Depth=1
	v_bfrev_b32_e32 v18, 1
	v_mov_b32_e32 v19, 0
	s_mov_b32 s12, exec_lo
	v_cmpx_ne_u16_e32 0x80, v6
	s_cbranch_execz .LBB225_911
; %bb.906:                              ;   in Loop: Header=BB225_548 Depth=1
	v_mov_b32_e32 v18, 0x7f800001
	v_bfe_u32 v149, v147, 16, 7
	v_mov_b32_e32 v19, 0
	s_mov_b32 s13, exec_lo
	s_delay_alu instid0(VALU_DEP_2)
	v_cmpx_ne_u32_e32 0x7f, v149
	s_cbranch_execz .LBB225_910
; %bb.907:                              ;   in Loop: Header=BB225_548 Depth=1
	v_and_b32_e32 v6, 7, v148
	v_lshrrev_b32_e32 v18, 3, v149
	s_mov_b32 s15, exec_lo
	v_cmpx_gt_u32_e32 8, v149
; %bb.908:                              ;   in Loop: Header=BB225_548 Depth=1
	s_delay_alu instid0(VALU_DEP_3) | instskip(NEXT) | instid1(VALU_DEP_1)
	v_clz_i32_u32_e32 v18, v6
	v_min_u32_e32 v18, 32, v18
	s_delay_alu instid0(VALU_DEP_1) | instskip(SKIP_1) | instid1(VALU_DEP_2)
	v_subrev_nc_u32_e32 v19, 28, v18
	v_sub_nc_u32_e32 v18, 29, v18
	v_lshlrev_b64 v[149:150], v19, v[6:7]
	s_delay_alu instid0(VALU_DEP_1)
	v_and_b32_e32 v6, 7, v149
; %bb.909:                              ;   in Loop: Header=BB225_548 Depth=1
	s_or_b32 exec_lo, exec_lo, s15
	v_lshlrev_b32_e32 v19, 24, v148
	s_delay_alu instid0(VALU_DEP_2) | instskip(SKIP_1) | instid1(VALU_DEP_3)
	v_lshlrev_b32_e32 v6, 20, v6
	v_lshl_add_u32 v18, v18, 23, 0x3c000000
	v_and_b32_e32 v19, 0x80000000, v19
	s_delay_alu instid0(VALU_DEP_1) | instskip(NEXT) | instid1(VALU_DEP_1)
	v_or3_b32 v6, v6, v19, v18
	v_dual_mov_b32 v19, v7 :: v_dual_mov_b32 v18, v6
.LBB225_910:                            ;   in Loop: Header=BB225_548 Depth=1
	s_or_b32 exec_lo, exec_lo, s13
.LBB225_911:                            ;   in Loop: Header=BB225_548 Depth=1
	s_delay_alu instid0(SALU_CYCLE_1)
	s_or_b32 exec_lo, exec_lo, s12
.LBB225_912:                            ;   in Loop: Header=BB225_548 Depth=1
	s_delay_alu instid0(SALU_CYCLE_1) | instskip(NEXT) | instid1(SALU_CYCLE_1)
	s_or_b32 exec_lo, exec_lo, s10
	s_mov_b32 s12, exec_lo
	v_cmpx_lt_u32_e32 0xffffff, v147
	s_cbranch_execz .LBB225_920
; %bb.913:                              ;   in Loop: Header=BB225_548 Depth=1
	v_lshrrev_b32_e32 v148, 24, v147
	v_dual_mov_b32 v24, s9 :: v_dual_mov_b32 v23, s8
	s_mov_b32 s13, exec_lo
	s_delay_alu instid0(VALU_DEP_2)
	v_cmpx_ne_u32_e32 0x80, v148
	s_cbranch_execz .LBB225_919
; %bb.914:                              ;   in Loop: Header=BB225_548 Depth=1
	s_mov_b32 s10, s8
	v_bfe_u32 v147, v147, 24, 7
	v_dual_mov_b32 v24, s11 :: v_dual_mov_b32 v23, s10
	s_mov_b32 s10, exec_lo
	s_delay_alu instid0(VALU_DEP_2)
	v_cmpx_ne_u32_e32 0x7f, v147
	s_cbranch_execz .LBB225_918
; %bb.915:                              ;   in Loop: Header=BB225_548 Depth=1
	v_and_b32_e32 v6, 7, v148
	v_lshrrev_b32_e32 v23, 3, v147
	s_mov_b32 s15, exec_lo
	v_cmpx_gt_u32_e32 8, v147
; %bb.916:                              ;   in Loop: Header=BB225_548 Depth=1
	s_delay_alu instid0(VALU_DEP_3) | instskip(NEXT) | instid1(VALU_DEP_1)
	v_clz_i32_u32_e32 v23, v6
	v_min_u32_e32 v23, 32, v23
	s_delay_alu instid0(VALU_DEP_1) | instskip(SKIP_1) | instid1(VALU_DEP_2)
	v_subrev_nc_u32_e32 v24, 28, v23
	v_sub_nc_u32_e32 v23, 29, v23
	v_lshlrev_b64 v[149:150], v24, v[6:7]
	s_delay_alu instid0(VALU_DEP_1)
	v_and_b32_e32 v6, 7, v149
; %bb.917:                              ;   in Loop: Header=BB225_548 Depth=1
	s_or_b32 exec_lo, exec_lo, s15
	v_lshlrev_b32_e32 v24, 24, v148
	s_delay_alu instid0(VALU_DEP_2) | instskip(SKIP_1) | instid1(VALU_DEP_3)
	v_lshlrev_b32_e32 v6, 20, v6
	v_lshl_add_u32 v23, v23, 23, 0x3c000000
	v_and_b32_e32 v24, 0x80000000, v24
	s_delay_alu instid0(VALU_DEP_1)
	v_or3_b32 v24, v6, v24, v23
	v_mov_b32_e32 v23, v7
.LBB225_918:                            ;   in Loop: Header=BB225_548 Depth=1
	s_or_b32 exec_lo, exec_lo, s10
.LBB225_919:                            ;   in Loop: Header=BB225_548 Depth=1
	s_delay_alu instid0(SALU_CYCLE_1)
	s_or_b32 exec_lo, exec_lo, s13
.LBB225_920:                            ;   in Loop: Header=BB225_548 Depth=1
	s_delay_alu instid0(SALU_CYCLE_1) | instskip(SKIP_4) | instid1(VALU_DEP_4)
	s_or_b32 exec_lo, exec_lo, s12
	v_or_b32_e32 v6, v17, v15
	v_or_b32_e32 v14, v16, v14
	;; [unrolled: 1-line block ×4, first 2 shown]
	v_mul_f32_e32 v150, v55, v6
	s_delay_alu instid0(VALU_DEP_4) | instskip(NEXT) | instid1(VALU_DEP_3)
	v_mul_f32_e32 v149, v26, v14
	v_dual_mul_f32 v147, v55, v15 :: v_dual_mul_f32 v148, v26, v16
	s_and_saveexec_b32 s10, vcc_lo
; %bb.921:                              ;   in Loop: Header=BB225_548 Depth=1
	v_cmp_lt_i32_e64 s0, v68, v161
	s_delay_alu instid0(VALU_DEP_1) | instskip(SKIP_1) | instid1(VALU_DEP_1)
	v_cndmask_b32_e64 v149, 0, v149, s0
	v_cmp_lt_i32_e64 s0, v70, v161
	v_cndmask_b32_e64 v150, 0, v150, s0
	v_cmp_lt_i32_e64 s0, v69, v161
	s_delay_alu instid0(VALU_DEP_1) | instskip(SKIP_1) | instid1(VALU_DEP_1)
	v_cndmask_b32_e64 v148, 0, v148, s0
	v_cmp_lt_i32_e64 s0, v21, v161
	v_cndmask_b32_e64 v147, 0, v147, s0
; %bb.922:                              ;   in Loop: Header=BB225_548 Depth=1
	s_or_b32 exec_lo, exec_lo, s10
	flat_load_b32 v151, v[12:13] offset:1408
	v_mov_b32_e32 v16, 0
	v_mov_b32_e32 v17, 0
	s_mov_b32 s10, exec_lo
	s_waitcnt vmcnt(0) lgkmcnt(0)
	v_and_b32_e32 v6, 0xff, v151
	s_delay_alu instid0(VALU_DEP_2) | instskip(NEXT) | instid1(VALU_DEP_2)
	v_dual_mov_b32 v14, v16 :: v_dual_mov_b32 v15, v17
	v_cmpx_ne_u16_e32 0, v6
	s_cbranch_execz .LBB225_930
; %bb.923:                              ;   in Loop: Header=BB225_548 Depth=1
	v_bfrev_b32_e32 v14, 1
	v_mov_b32_e32 v15, 0
	s_mov_b32 s12, exec_lo
	v_cmpx_ne_u16_e32 0x80, v6
	s_cbranch_execz .LBB225_929
; %bb.924:                              ;   in Loop: Header=BB225_548 Depth=1
	v_mov_b32_e32 v14, 0x7f800001
	v_dual_mov_b32 v15, 0 :: v_dual_and_b32 v18, 0x7f, v151
	s_mov_b32 s13, exec_lo
	s_delay_alu instid0(VALU_DEP_1)
	v_cmpx_ne_u32_e32 0x7f, v18
	s_cbranch_execz .LBB225_928
; %bb.925:                              ;   in Loop: Header=BB225_548 Depth=1
	v_and_b32_e32 v6, 7, v151
	v_lshrrev_b32_e32 v14, 3, v18
	s_mov_b32 s15, exec_lo
	v_cmpx_gt_u32_e32 8, v18
; %bb.926:                              ;   in Loop: Header=BB225_548 Depth=1
	s_delay_alu instid0(VALU_DEP_3) | instskip(NEXT) | instid1(VALU_DEP_1)
	v_clz_i32_u32_e32 v14, v6
	v_min_u32_e32 v14, 32, v14
	s_delay_alu instid0(VALU_DEP_1) | instskip(SKIP_1) | instid1(VALU_DEP_2)
	v_subrev_nc_u32_e32 v15, 28, v14
	v_sub_nc_u32_e32 v14, 29, v14
	v_lshlrev_b64 v[18:19], v15, v[6:7]
	s_delay_alu instid0(VALU_DEP_1)
	v_and_b32_e32 v6, 7, v18
; %bb.927:                              ;   in Loop: Header=BB225_548 Depth=1
	s_or_b32 exec_lo, exec_lo, s15
	v_lshlrev_b32_e32 v15, 24, v151
	s_delay_alu instid0(VALU_DEP_2) | instskip(SKIP_1) | instid1(VALU_DEP_3)
	v_lshlrev_b32_e32 v6, 20, v6
	v_lshl_add_u32 v14, v14, 23, 0x3c000000
	v_and_b32_e32 v15, 0x80000000, v15
	s_delay_alu instid0(VALU_DEP_1) | instskip(NEXT) | instid1(VALU_DEP_1)
	v_or3_b32 v6, v6, v15, v14
	v_dual_mov_b32 v15, v7 :: v_dual_mov_b32 v14, v6
.LBB225_928:                            ;   in Loop: Header=BB225_548 Depth=1
	s_or_b32 exec_lo, exec_lo, s13
.LBB225_929:                            ;   in Loop: Header=BB225_548 Depth=1
	s_delay_alu instid0(SALU_CYCLE_1)
	s_or_b32 exec_lo, exec_lo, s12
.LBB225_930:                            ;   in Loop: Header=BB225_548 Depth=1
	s_delay_alu instid0(SALU_CYCLE_1) | instskip(SKIP_2) | instid1(VALU_DEP_1)
	s_or_b32 exec_lo, exec_lo, s10
	v_lshrrev_b16 v6, 8, v151
	s_mov_b32 s12, exec_lo
	v_cmpx_ne_u16_e32 0, v6
	s_cbranch_execz .LBB225_938
; %bb.931:                              ;   in Loop: Header=BB225_548 Depth=1
	v_dual_mov_b32 v17, s9 :: v_dual_mov_b32 v16, s8
	s_mov_b32 s13, exec_lo
	v_cmpx_ne_u16_e32 0x80, v6
	s_cbranch_execz .LBB225_937
; %bb.932:                              ;   in Loop: Header=BB225_548 Depth=1
	s_mov_b32 s10, s8
	v_dual_mov_b32 v17, s11 :: v_dual_and_b32 v6, 0xffff, v6
	v_mov_b32_e32 v16, s10
	s_mov_b32 s10, exec_lo
	s_delay_alu instid0(VALU_DEP_2) | instskip(NEXT) | instid1(VALU_DEP_1)
	v_and_b32_e32 v18, 0x7f, v6
	v_cmpx_ne_u32_e32 0x7f, v18
	s_cbranch_execz .LBB225_936
; %bb.933:                              ;   in Loop: Header=BB225_548 Depth=1
	v_and_b32_e32 v6, 7, v6
	v_lshrrev_b32_e32 v16, 3, v18
	s_mov_b32 s15, exec_lo
	v_cmpx_gt_u32_e32 8, v18
; %bb.934:                              ;   in Loop: Header=BB225_548 Depth=1
	s_delay_alu instid0(VALU_DEP_3) | instskip(NEXT) | instid1(VALU_DEP_1)
	v_clz_i32_u32_e32 v16, v6
	v_min_u32_e32 v16, 32, v16
	s_delay_alu instid0(VALU_DEP_1) | instskip(SKIP_1) | instid1(VALU_DEP_2)
	v_subrev_nc_u32_e32 v17, 28, v16
	v_sub_nc_u32_e32 v16, 29, v16
	v_lshlrev_b64 v[17:18], v17, v[6:7]
	s_delay_alu instid0(VALU_DEP_1)
	v_and_b32_e32 v6, 7, v17
; %bb.935:                              ;   in Loop: Header=BB225_548 Depth=1
	s_or_b32 exec_lo, exec_lo, s15
	v_lshlrev_b32_e32 v17, 16, v151
	s_delay_alu instid0(VALU_DEP_2) | instskip(SKIP_1) | instid1(VALU_DEP_3)
	v_lshlrev_b32_e32 v6, 20, v6
	v_lshl_add_u32 v16, v16, 23, 0x3c000000
	v_and_b32_e32 v17, 0x80000000, v17
	s_delay_alu instid0(VALU_DEP_1)
	v_or3_b32 v17, v6, v17, v16
	v_mov_b32_e32 v16, v7
.LBB225_936:                            ;   in Loop: Header=BB225_548 Depth=1
	s_or_b32 exec_lo, exec_lo, s10
.LBB225_937:                            ;   in Loop: Header=BB225_548 Depth=1
	s_delay_alu instid0(SALU_CYCLE_1)
	s_or_b32 exec_lo, exec_lo, s13
.LBB225_938:                            ;   in Loop: Header=BB225_548 Depth=1
	s_delay_alu instid0(SALU_CYCLE_1) | instskip(SKIP_3) | instid1(VALU_DEP_2)
	s_or_b32 exec_lo, exec_lo, s12
	v_lshrrev_b32_e32 v164, 16, v151
	v_mov_b32_e32 v23, 0
	v_mov_b32_e32 v24, 0
	;; [unrolled: 1-line block ×3, first 2 shown]
	s_mov_b32 s10, exec_lo
	s_delay_alu instid0(VALU_DEP_2) | instskip(NEXT) | instid1(VALU_DEP_1)
	v_dual_mov_b32 v19, v24 :: v_dual_and_b32 v6, 0xff, v164
	v_cmpx_ne_u16_e32 0, v6
	s_cbranch_execz .LBB225_946
; %bb.939:                              ;   in Loop: Header=BB225_548 Depth=1
	v_bfrev_b32_e32 v18, 1
	v_mov_b32_e32 v19, 0
	s_mov_b32 s12, exec_lo
	v_cmpx_ne_u16_e32 0x80, v6
	s_cbranch_execz .LBB225_945
; %bb.940:                              ;   in Loop: Header=BB225_548 Depth=1
	v_mov_b32_e32 v18, 0x7f800001
	v_bfe_u32 v165, v151, 16, 7
	v_mov_b32_e32 v19, 0
	s_mov_b32 s13, exec_lo
	s_delay_alu instid0(VALU_DEP_2)
	v_cmpx_ne_u32_e32 0x7f, v165
	s_cbranch_execz .LBB225_944
; %bb.941:                              ;   in Loop: Header=BB225_548 Depth=1
	v_and_b32_e32 v6, 7, v164
	v_lshrrev_b32_e32 v18, 3, v165
	s_mov_b32 s15, exec_lo
	v_cmpx_gt_u32_e32 8, v165
; %bb.942:                              ;   in Loop: Header=BB225_548 Depth=1
	s_delay_alu instid0(VALU_DEP_3) | instskip(NEXT) | instid1(VALU_DEP_1)
	v_clz_i32_u32_e32 v18, v6
	v_min_u32_e32 v18, 32, v18
	s_delay_alu instid0(VALU_DEP_1) | instskip(SKIP_1) | instid1(VALU_DEP_2)
	v_subrev_nc_u32_e32 v19, 28, v18
	v_sub_nc_u32_e32 v18, 29, v18
	v_lshlrev_b64 v[165:166], v19, v[6:7]
	s_delay_alu instid0(VALU_DEP_1)
	v_and_b32_e32 v6, 7, v165
; %bb.943:                              ;   in Loop: Header=BB225_548 Depth=1
	s_or_b32 exec_lo, exec_lo, s15
	v_lshlrev_b32_e32 v19, 24, v164
	s_delay_alu instid0(VALU_DEP_2) | instskip(SKIP_1) | instid1(VALU_DEP_3)
	v_lshlrev_b32_e32 v6, 20, v6
	v_lshl_add_u32 v18, v18, 23, 0x3c000000
	v_and_b32_e32 v19, 0x80000000, v19
	s_delay_alu instid0(VALU_DEP_1) | instskip(NEXT) | instid1(VALU_DEP_1)
	v_or3_b32 v6, v6, v19, v18
	v_dual_mov_b32 v19, v7 :: v_dual_mov_b32 v18, v6
.LBB225_944:                            ;   in Loop: Header=BB225_548 Depth=1
	s_or_b32 exec_lo, exec_lo, s13
.LBB225_945:                            ;   in Loop: Header=BB225_548 Depth=1
	s_delay_alu instid0(SALU_CYCLE_1)
	s_or_b32 exec_lo, exec_lo, s12
.LBB225_946:                            ;   in Loop: Header=BB225_548 Depth=1
	s_delay_alu instid0(SALU_CYCLE_1) | instskip(NEXT) | instid1(SALU_CYCLE_1)
	s_or_b32 exec_lo, exec_lo, s10
	s_mov_b32 s12, exec_lo
	v_cmpx_lt_u32_e32 0xffffff, v151
	s_cbranch_execz .LBB225_954
; %bb.947:                              ;   in Loop: Header=BB225_548 Depth=1
	v_lshrrev_b32_e32 v164, 24, v151
	v_dual_mov_b32 v24, s9 :: v_dual_mov_b32 v23, s8
	s_mov_b32 s13, exec_lo
	s_delay_alu instid0(VALU_DEP_2)
	v_cmpx_ne_u32_e32 0x80, v164
	s_cbranch_execz .LBB225_953
; %bb.948:                              ;   in Loop: Header=BB225_548 Depth=1
	s_mov_b32 s10, s8
	v_bfe_u32 v151, v151, 24, 7
	v_dual_mov_b32 v24, s11 :: v_dual_mov_b32 v23, s10
	s_mov_b32 s10, exec_lo
	s_delay_alu instid0(VALU_DEP_2)
	v_cmpx_ne_u32_e32 0x7f, v151
	s_cbranch_execz .LBB225_952
; %bb.949:                              ;   in Loop: Header=BB225_548 Depth=1
	v_and_b32_e32 v6, 7, v164
	v_lshrrev_b32_e32 v23, 3, v151
	s_mov_b32 s15, exec_lo
	v_cmpx_gt_u32_e32 8, v151
; %bb.950:                              ;   in Loop: Header=BB225_548 Depth=1
	s_delay_alu instid0(VALU_DEP_3) | instskip(NEXT) | instid1(VALU_DEP_1)
	v_clz_i32_u32_e32 v23, v6
	v_min_u32_e32 v23, 32, v23
	s_delay_alu instid0(VALU_DEP_1) | instskip(SKIP_1) | instid1(VALU_DEP_2)
	v_subrev_nc_u32_e32 v24, 28, v23
	v_sub_nc_u32_e32 v23, 29, v23
	v_lshlrev_b64 v[165:166], v24, v[6:7]
	s_delay_alu instid0(VALU_DEP_1)
	v_and_b32_e32 v6, 7, v165
; %bb.951:                              ;   in Loop: Header=BB225_548 Depth=1
	s_or_b32 exec_lo, exec_lo, s15
	v_lshlrev_b32_e32 v24, 24, v164
	s_delay_alu instid0(VALU_DEP_2) | instskip(SKIP_1) | instid1(VALU_DEP_3)
	v_lshlrev_b32_e32 v6, 20, v6
	v_lshl_add_u32 v23, v23, 23, 0x3c000000
	v_and_b32_e32 v24, 0x80000000, v24
	s_delay_alu instid0(VALU_DEP_1)
	v_or3_b32 v24, v6, v24, v23
	v_mov_b32_e32 v23, v7
.LBB225_952:                            ;   in Loop: Header=BB225_548 Depth=1
	s_or_b32 exec_lo, exec_lo, s10
.LBB225_953:                            ;   in Loop: Header=BB225_548 Depth=1
	s_delay_alu instid0(SALU_CYCLE_1)
	s_or_b32 exec_lo, exec_lo, s13
.LBB225_954:                            ;   in Loop: Header=BB225_548 Depth=1
	s_delay_alu instid0(SALU_CYCLE_1) | instskip(SKIP_4) | instid1(VALU_DEP_4)
	s_or_b32 exec_lo, exec_lo, s12
	v_or_b32_e32 v6, v17, v15
	v_or_b32_e32 v14, v16, v14
	;; [unrolled: 1-line block ×4, first 2 shown]
	v_mul_f32_e32 v166, v55, v6
	s_delay_alu instid0(VALU_DEP_4) | instskip(NEXT) | instid1(VALU_DEP_3)
	v_mul_f32_e32 v165, v26, v14
	v_dual_mul_f32 v151, v55, v15 :: v_dual_mul_f32 v164, v26, v16
	s_and_saveexec_b32 s10, vcc_lo
; %bb.955:                              ;   in Loop: Header=BB225_548 Depth=1
	v_cmp_lt_i32_e64 s0, v68, v161
	s_delay_alu instid0(VALU_DEP_1) | instskip(SKIP_1) | instid1(VALU_DEP_1)
	v_cndmask_b32_e64 v165, 0, v165, s0
	v_cmp_lt_i32_e64 s0, v70, v161
	v_cndmask_b32_e64 v166, 0, v166, s0
	v_cmp_lt_i32_e64 s0, v69, v161
	s_delay_alu instid0(VALU_DEP_1) | instskip(SKIP_1) | instid1(VALU_DEP_1)
	v_cndmask_b32_e64 v164, 0, v164, s0
	v_cmp_lt_i32_e64 s0, v21, v161
	v_cndmask_b32_e64 v151, 0, v151, s0
; %bb.956:                              ;   in Loop: Header=BB225_548 Depth=1
	s_or_b32 exec_lo, exec_lo, s10
	flat_load_b32 v167, v[12:13] offset:1536
	v_mov_b32_e32 v16, 0
	v_mov_b32_e32 v17, 0
	s_mov_b32 s10, exec_lo
	s_waitcnt vmcnt(0) lgkmcnt(0)
	v_and_b32_e32 v6, 0xff, v167
	s_delay_alu instid0(VALU_DEP_2) | instskip(NEXT) | instid1(VALU_DEP_2)
	v_dual_mov_b32 v14, v16 :: v_dual_mov_b32 v15, v17
	v_cmpx_ne_u16_e32 0, v6
	s_cbranch_execz .LBB225_964
; %bb.957:                              ;   in Loop: Header=BB225_548 Depth=1
	v_bfrev_b32_e32 v14, 1
	v_mov_b32_e32 v15, 0
	s_mov_b32 s12, exec_lo
	v_cmpx_ne_u16_e32 0x80, v6
	s_cbranch_execz .LBB225_963
; %bb.958:                              ;   in Loop: Header=BB225_548 Depth=1
	v_mov_b32_e32 v14, 0x7f800001
	v_dual_mov_b32 v15, 0 :: v_dual_and_b32 v18, 0x7f, v167
	s_mov_b32 s13, exec_lo
	s_delay_alu instid0(VALU_DEP_1)
	v_cmpx_ne_u32_e32 0x7f, v18
	s_cbranch_execz .LBB225_962
; %bb.959:                              ;   in Loop: Header=BB225_548 Depth=1
	v_and_b32_e32 v6, 7, v167
	v_lshrrev_b32_e32 v14, 3, v18
	s_mov_b32 s15, exec_lo
	v_cmpx_gt_u32_e32 8, v18
; %bb.960:                              ;   in Loop: Header=BB225_548 Depth=1
	s_delay_alu instid0(VALU_DEP_3) | instskip(NEXT) | instid1(VALU_DEP_1)
	v_clz_i32_u32_e32 v14, v6
	v_min_u32_e32 v14, 32, v14
	s_delay_alu instid0(VALU_DEP_1) | instskip(SKIP_1) | instid1(VALU_DEP_2)
	v_subrev_nc_u32_e32 v15, 28, v14
	v_sub_nc_u32_e32 v14, 29, v14
	v_lshlrev_b64 v[18:19], v15, v[6:7]
	s_delay_alu instid0(VALU_DEP_1)
	v_and_b32_e32 v6, 7, v18
; %bb.961:                              ;   in Loop: Header=BB225_548 Depth=1
	s_or_b32 exec_lo, exec_lo, s15
	v_lshlrev_b32_e32 v15, 24, v167
	s_delay_alu instid0(VALU_DEP_2) | instskip(SKIP_1) | instid1(VALU_DEP_3)
	v_lshlrev_b32_e32 v6, 20, v6
	v_lshl_add_u32 v14, v14, 23, 0x3c000000
	v_and_b32_e32 v15, 0x80000000, v15
	s_delay_alu instid0(VALU_DEP_1) | instskip(NEXT) | instid1(VALU_DEP_1)
	v_or3_b32 v6, v6, v15, v14
	v_dual_mov_b32 v15, v7 :: v_dual_mov_b32 v14, v6
.LBB225_962:                            ;   in Loop: Header=BB225_548 Depth=1
	s_or_b32 exec_lo, exec_lo, s13
.LBB225_963:                            ;   in Loop: Header=BB225_548 Depth=1
	s_delay_alu instid0(SALU_CYCLE_1)
	s_or_b32 exec_lo, exec_lo, s12
.LBB225_964:                            ;   in Loop: Header=BB225_548 Depth=1
	s_delay_alu instid0(SALU_CYCLE_1) | instskip(SKIP_2) | instid1(VALU_DEP_1)
	s_or_b32 exec_lo, exec_lo, s10
	v_lshrrev_b16 v6, 8, v167
	s_mov_b32 s12, exec_lo
	v_cmpx_ne_u16_e32 0, v6
	s_cbranch_execz .LBB225_972
; %bb.965:                              ;   in Loop: Header=BB225_548 Depth=1
	v_dual_mov_b32 v17, s9 :: v_dual_mov_b32 v16, s8
	s_mov_b32 s13, exec_lo
	v_cmpx_ne_u16_e32 0x80, v6
	s_cbranch_execz .LBB225_971
; %bb.966:                              ;   in Loop: Header=BB225_548 Depth=1
	s_mov_b32 s10, s8
	v_dual_mov_b32 v17, s11 :: v_dual_and_b32 v6, 0xffff, v6
	v_mov_b32_e32 v16, s10
	s_mov_b32 s10, exec_lo
	s_delay_alu instid0(VALU_DEP_2) | instskip(NEXT) | instid1(VALU_DEP_1)
	v_and_b32_e32 v18, 0x7f, v6
	v_cmpx_ne_u32_e32 0x7f, v18
	s_cbranch_execz .LBB225_970
; %bb.967:                              ;   in Loop: Header=BB225_548 Depth=1
	v_and_b32_e32 v6, 7, v6
	v_lshrrev_b32_e32 v16, 3, v18
	s_mov_b32 s15, exec_lo
	v_cmpx_gt_u32_e32 8, v18
; %bb.968:                              ;   in Loop: Header=BB225_548 Depth=1
	s_delay_alu instid0(VALU_DEP_3) | instskip(NEXT) | instid1(VALU_DEP_1)
	v_clz_i32_u32_e32 v16, v6
	v_min_u32_e32 v16, 32, v16
	s_delay_alu instid0(VALU_DEP_1) | instskip(SKIP_1) | instid1(VALU_DEP_2)
	v_subrev_nc_u32_e32 v17, 28, v16
	v_sub_nc_u32_e32 v16, 29, v16
	v_lshlrev_b64 v[17:18], v17, v[6:7]
	s_delay_alu instid0(VALU_DEP_1)
	v_and_b32_e32 v6, 7, v17
; %bb.969:                              ;   in Loop: Header=BB225_548 Depth=1
	s_or_b32 exec_lo, exec_lo, s15
	v_lshlrev_b32_e32 v17, 16, v167
	s_delay_alu instid0(VALU_DEP_2) | instskip(SKIP_1) | instid1(VALU_DEP_3)
	v_lshlrev_b32_e32 v6, 20, v6
	v_lshl_add_u32 v16, v16, 23, 0x3c000000
	v_and_b32_e32 v17, 0x80000000, v17
	s_delay_alu instid0(VALU_DEP_1)
	v_or3_b32 v17, v6, v17, v16
	v_mov_b32_e32 v16, v7
.LBB225_970:                            ;   in Loop: Header=BB225_548 Depth=1
	s_or_b32 exec_lo, exec_lo, s10
.LBB225_971:                            ;   in Loop: Header=BB225_548 Depth=1
	s_delay_alu instid0(SALU_CYCLE_1)
	s_or_b32 exec_lo, exec_lo, s13
.LBB225_972:                            ;   in Loop: Header=BB225_548 Depth=1
	s_delay_alu instid0(SALU_CYCLE_1) | instskip(SKIP_3) | instid1(VALU_DEP_2)
	s_or_b32 exec_lo, exec_lo, s12
	v_lshrrev_b32_e32 v176, 16, v167
	v_mov_b32_e32 v23, 0
	v_mov_b32_e32 v24, 0
	;; [unrolled: 1-line block ×3, first 2 shown]
	s_mov_b32 s10, exec_lo
	s_delay_alu instid0(VALU_DEP_2) | instskip(NEXT) | instid1(VALU_DEP_1)
	v_dual_mov_b32 v19, v24 :: v_dual_and_b32 v6, 0xff, v176
	v_cmpx_ne_u16_e32 0, v6
	s_cbranch_execz .LBB225_980
; %bb.973:                              ;   in Loop: Header=BB225_548 Depth=1
	v_bfrev_b32_e32 v18, 1
	v_mov_b32_e32 v19, 0
	s_mov_b32 s12, exec_lo
	v_cmpx_ne_u16_e32 0x80, v6
	s_cbranch_execz .LBB225_979
; %bb.974:                              ;   in Loop: Header=BB225_548 Depth=1
	v_mov_b32_e32 v18, 0x7f800001
	v_bfe_u32 v177, v167, 16, 7
	v_mov_b32_e32 v19, 0
	s_mov_b32 s13, exec_lo
	s_delay_alu instid0(VALU_DEP_2)
	v_cmpx_ne_u32_e32 0x7f, v177
	s_cbranch_execz .LBB225_978
; %bb.975:                              ;   in Loop: Header=BB225_548 Depth=1
	v_and_b32_e32 v6, 7, v176
	v_lshrrev_b32_e32 v18, 3, v177
	s_mov_b32 s15, exec_lo
	v_cmpx_gt_u32_e32 8, v177
; %bb.976:                              ;   in Loop: Header=BB225_548 Depth=1
	s_delay_alu instid0(VALU_DEP_3) | instskip(NEXT) | instid1(VALU_DEP_1)
	v_clz_i32_u32_e32 v18, v6
	v_min_u32_e32 v18, 32, v18
	s_delay_alu instid0(VALU_DEP_1) | instskip(SKIP_1) | instid1(VALU_DEP_2)
	v_subrev_nc_u32_e32 v19, 28, v18
	v_sub_nc_u32_e32 v18, 29, v18
	v_lshlrev_b64 v[177:178], v19, v[6:7]
	s_delay_alu instid0(VALU_DEP_1)
	v_and_b32_e32 v6, 7, v177
; %bb.977:                              ;   in Loop: Header=BB225_548 Depth=1
	s_or_b32 exec_lo, exec_lo, s15
	v_lshlrev_b32_e32 v19, 24, v176
	s_delay_alu instid0(VALU_DEP_2) | instskip(SKIP_1) | instid1(VALU_DEP_3)
	v_lshlrev_b32_e32 v6, 20, v6
	v_lshl_add_u32 v18, v18, 23, 0x3c000000
	v_and_b32_e32 v19, 0x80000000, v19
	s_delay_alu instid0(VALU_DEP_1) | instskip(NEXT) | instid1(VALU_DEP_1)
	v_or3_b32 v6, v6, v19, v18
	v_dual_mov_b32 v19, v7 :: v_dual_mov_b32 v18, v6
.LBB225_978:                            ;   in Loop: Header=BB225_548 Depth=1
	s_or_b32 exec_lo, exec_lo, s13
.LBB225_979:                            ;   in Loop: Header=BB225_548 Depth=1
	s_delay_alu instid0(SALU_CYCLE_1)
	s_or_b32 exec_lo, exec_lo, s12
.LBB225_980:                            ;   in Loop: Header=BB225_548 Depth=1
	s_delay_alu instid0(SALU_CYCLE_1) | instskip(NEXT) | instid1(SALU_CYCLE_1)
	s_or_b32 exec_lo, exec_lo, s10
	s_mov_b32 s12, exec_lo
	v_cmpx_lt_u32_e32 0xffffff, v167
	s_cbranch_execz .LBB225_988
; %bb.981:                              ;   in Loop: Header=BB225_548 Depth=1
	v_lshrrev_b32_e32 v176, 24, v167
	v_dual_mov_b32 v24, s9 :: v_dual_mov_b32 v23, s8
	s_mov_b32 s13, exec_lo
	s_delay_alu instid0(VALU_DEP_2)
	v_cmpx_ne_u32_e32 0x80, v176
	s_cbranch_execz .LBB225_987
; %bb.982:                              ;   in Loop: Header=BB225_548 Depth=1
	s_mov_b32 s10, s8
	v_bfe_u32 v167, v167, 24, 7
	v_dual_mov_b32 v24, s11 :: v_dual_mov_b32 v23, s10
	s_mov_b32 s10, exec_lo
	s_delay_alu instid0(VALU_DEP_2)
	v_cmpx_ne_u32_e32 0x7f, v167
	s_cbranch_execz .LBB225_986
; %bb.983:                              ;   in Loop: Header=BB225_548 Depth=1
	v_and_b32_e32 v6, 7, v176
	v_lshrrev_b32_e32 v23, 3, v167
	s_mov_b32 s15, exec_lo
	v_cmpx_gt_u32_e32 8, v167
; %bb.984:                              ;   in Loop: Header=BB225_548 Depth=1
	s_delay_alu instid0(VALU_DEP_3) | instskip(NEXT) | instid1(VALU_DEP_1)
	v_clz_i32_u32_e32 v23, v6
	v_min_u32_e32 v23, 32, v23
	s_delay_alu instid0(VALU_DEP_1) | instskip(SKIP_1) | instid1(VALU_DEP_2)
	v_subrev_nc_u32_e32 v24, 28, v23
	v_sub_nc_u32_e32 v23, 29, v23
	v_lshlrev_b64 v[177:178], v24, v[6:7]
	s_delay_alu instid0(VALU_DEP_1)
	v_and_b32_e32 v6, 7, v177
; %bb.985:                              ;   in Loop: Header=BB225_548 Depth=1
	s_or_b32 exec_lo, exec_lo, s15
	v_lshlrev_b32_e32 v24, 24, v176
	s_delay_alu instid0(VALU_DEP_2) | instskip(SKIP_1) | instid1(VALU_DEP_3)
	v_lshlrev_b32_e32 v6, 20, v6
	v_lshl_add_u32 v23, v23, 23, 0x3c000000
	v_and_b32_e32 v24, 0x80000000, v24
	s_delay_alu instid0(VALU_DEP_1)
	v_or3_b32 v24, v6, v24, v23
	v_mov_b32_e32 v23, v7
.LBB225_986:                            ;   in Loop: Header=BB225_548 Depth=1
	s_or_b32 exec_lo, exec_lo, s10
.LBB225_987:                            ;   in Loop: Header=BB225_548 Depth=1
	s_delay_alu instid0(SALU_CYCLE_1)
	s_or_b32 exec_lo, exec_lo, s13
.LBB225_988:                            ;   in Loop: Header=BB225_548 Depth=1
	s_delay_alu instid0(SALU_CYCLE_1) | instskip(SKIP_4) | instid1(VALU_DEP_4)
	s_or_b32 exec_lo, exec_lo, s12
	v_or_b32_e32 v6, v17, v15
	v_or_b32_e32 v14, v16, v14
	;; [unrolled: 1-line block ×4, first 2 shown]
	v_mul_f32_e32 v178, v55, v6
	s_delay_alu instid0(VALU_DEP_4) | instskip(NEXT) | instid1(VALU_DEP_3)
	v_mul_f32_e32 v177, v26, v14
	v_dual_mul_f32 v167, v55, v15 :: v_dual_mul_f32 v176, v26, v16
	s_and_saveexec_b32 s10, vcc_lo
; %bb.989:                              ;   in Loop: Header=BB225_548 Depth=1
	v_cmp_lt_i32_e64 s0, v68, v161
	s_delay_alu instid0(VALU_DEP_1) | instskip(SKIP_1) | instid1(VALU_DEP_1)
	v_cndmask_b32_e64 v177, 0, v177, s0
	v_cmp_lt_i32_e64 s0, v70, v161
	v_cndmask_b32_e64 v178, 0, v178, s0
	v_cmp_lt_i32_e64 s0, v69, v161
	s_delay_alu instid0(VALU_DEP_1) | instskip(SKIP_1) | instid1(VALU_DEP_1)
	v_cndmask_b32_e64 v176, 0, v176, s0
	v_cmp_lt_i32_e64 s0, v21, v161
	v_cndmask_b32_e64 v167, 0, v167, s0
; %bb.990:                              ;   in Loop: Header=BB225_548 Depth=1
	s_or_b32 exec_lo, exec_lo, s10
	flat_load_b32 v179, v[12:13] offset:1664
	v_mov_b32_e32 v16, 0
	v_mov_b32_e32 v17, 0
	s_mov_b32 s10, exec_lo
	s_waitcnt vmcnt(0) lgkmcnt(0)
	v_and_b32_e32 v6, 0xff, v179
	s_delay_alu instid0(VALU_DEP_2) | instskip(NEXT) | instid1(VALU_DEP_2)
	v_dual_mov_b32 v14, v16 :: v_dual_mov_b32 v15, v17
	v_cmpx_ne_u16_e32 0, v6
	s_cbranch_execz .LBB225_998
; %bb.991:                              ;   in Loop: Header=BB225_548 Depth=1
	v_bfrev_b32_e32 v14, 1
	v_mov_b32_e32 v15, 0
	s_mov_b32 s12, exec_lo
	v_cmpx_ne_u16_e32 0x80, v6
	s_cbranch_execz .LBB225_997
; %bb.992:                              ;   in Loop: Header=BB225_548 Depth=1
	v_mov_b32_e32 v14, 0x7f800001
	v_dual_mov_b32 v15, 0 :: v_dual_and_b32 v18, 0x7f, v179
	s_mov_b32 s13, exec_lo
	s_delay_alu instid0(VALU_DEP_1)
	v_cmpx_ne_u32_e32 0x7f, v18
	s_cbranch_execz .LBB225_996
; %bb.993:                              ;   in Loop: Header=BB225_548 Depth=1
	v_and_b32_e32 v6, 7, v179
	v_lshrrev_b32_e32 v14, 3, v18
	s_mov_b32 s15, exec_lo
	v_cmpx_gt_u32_e32 8, v18
; %bb.994:                              ;   in Loop: Header=BB225_548 Depth=1
	s_delay_alu instid0(VALU_DEP_3) | instskip(NEXT) | instid1(VALU_DEP_1)
	v_clz_i32_u32_e32 v14, v6
	v_min_u32_e32 v14, 32, v14
	s_delay_alu instid0(VALU_DEP_1) | instskip(SKIP_1) | instid1(VALU_DEP_2)
	v_subrev_nc_u32_e32 v15, 28, v14
	v_sub_nc_u32_e32 v14, 29, v14
	v_lshlrev_b64 v[18:19], v15, v[6:7]
	s_delay_alu instid0(VALU_DEP_1)
	v_and_b32_e32 v6, 7, v18
; %bb.995:                              ;   in Loop: Header=BB225_548 Depth=1
	s_or_b32 exec_lo, exec_lo, s15
	v_lshlrev_b32_e32 v15, 24, v179
	s_delay_alu instid0(VALU_DEP_2) | instskip(SKIP_1) | instid1(VALU_DEP_3)
	v_lshlrev_b32_e32 v6, 20, v6
	v_lshl_add_u32 v14, v14, 23, 0x3c000000
	v_and_b32_e32 v15, 0x80000000, v15
	s_delay_alu instid0(VALU_DEP_1) | instskip(NEXT) | instid1(VALU_DEP_1)
	v_or3_b32 v6, v6, v15, v14
	v_dual_mov_b32 v15, v7 :: v_dual_mov_b32 v14, v6
.LBB225_996:                            ;   in Loop: Header=BB225_548 Depth=1
	s_or_b32 exec_lo, exec_lo, s13
.LBB225_997:                            ;   in Loop: Header=BB225_548 Depth=1
	s_delay_alu instid0(SALU_CYCLE_1)
	s_or_b32 exec_lo, exec_lo, s12
.LBB225_998:                            ;   in Loop: Header=BB225_548 Depth=1
	s_delay_alu instid0(SALU_CYCLE_1) | instskip(SKIP_2) | instid1(VALU_DEP_1)
	s_or_b32 exec_lo, exec_lo, s10
	v_lshrrev_b16 v6, 8, v179
	s_mov_b32 s12, exec_lo
	v_cmpx_ne_u16_e32 0, v6
	s_cbranch_execz .LBB225_1006
; %bb.999:                              ;   in Loop: Header=BB225_548 Depth=1
	v_dual_mov_b32 v17, s9 :: v_dual_mov_b32 v16, s8
	s_mov_b32 s13, exec_lo
	v_cmpx_ne_u16_e32 0x80, v6
	s_cbranch_execz .LBB225_1005
; %bb.1000:                             ;   in Loop: Header=BB225_548 Depth=1
	s_mov_b32 s10, s8
	v_dual_mov_b32 v17, s11 :: v_dual_and_b32 v6, 0xffff, v6
	v_mov_b32_e32 v16, s10
	s_mov_b32 s10, exec_lo
	s_delay_alu instid0(VALU_DEP_2) | instskip(NEXT) | instid1(VALU_DEP_1)
	v_and_b32_e32 v18, 0x7f, v6
	v_cmpx_ne_u32_e32 0x7f, v18
	s_cbranch_execz .LBB225_1004
; %bb.1001:                             ;   in Loop: Header=BB225_548 Depth=1
	v_and_b32_e32 v6, 7, v6
	v_lshrrev_b32_e32 v16, 3, v18
	s_mov_b32 s15, exec_lo
	v_cmpx_gt_u32_e32 8, v18
; %bb.1002:                             ;   in Loop: Header=BB225_548 Depth=1
	s_delay_alu instid0(VALU_DEP_3) | instskip(NEXT) | instid1(VALU_DEP_1)
	v_clz_i32_u32_e32 v16, v6
	v_min_u32_e32 v16, 32, v16
	s_delay_alu instid0(VALU_DEP_1) | instskip(SKIP_1) | instid1(VALU_DEP_2)
	v_subrev_nc_u32_e32 v17, 28, v16
	v_sub_nc_u32_e32 v16, 29, v16
	v_lshlrev_b64 v[17:18], v17, v[6:7]
	s_delay_alu instid0(VALU_DEP_1)
	v_and_b32_e32 v6, 7, v17
; %bb.1003:                             ;   in Loop: Header=BB225_548 Depth=1
	s_or_b32 exec_lo, exec_lo, s15
	v_lshlrev_b32_e32 v17, 16, v179
	s_delay_alu instid0(VALU_DEP_2) | instskip(SKIP_1) | instid1(VALU_DEP_3)
	v_lshlrev_b32_e32 v6, 20, v6
	v_lshl_add_u32 v16, v16, 23, 0x3c000000
	v_and_b32_e32 v17, 0x80000000, v17
	s_delay_alu instid0(VALU_DEP_1)
	v_or3_b32 v17, v6, v17, v16
	v_mov_b32_e32 v16, v7
.LBB225_1004:                           ;   in Loop: Header=BB225_548 Depth=1
	s_or_b32 exec_lo, exec_lo, s10
.LBB225_1005:                           ;   in Loop: Header=BB225_548 Depth=1
	s_delay_alu instid0(SALU_CYCLE_1)
	s_or_b32 exec_lo, exec_lo, s13
.LBB225_1006:                           ;   in Loop: Header=BB225_548 Depth=1
	s_delay_alu instid0(SALU_CYCLE_1) | instskip(SKIP_3) | instid1(VALU_DEP_2)
	s_or_b32 exec_lo, exec_lo, s12
	v_lshrrev_b32_e32 v180, 16, v179
	v_mov_b32_e32 v23, 0
	v_mov_b32_e32 v24, 0
	;; [unrolled: 1-line block ×3, first 2 shown]
	s_mov_b32 s10, exec_lo
	s_delay_alu instid0(VALU_DEP_2) | instskip(NEXT) | instid1(VALU_DEP_1)
	v_dual_mov_b32 v19, v24 :: v_dual_and_b32 v6, 0xff, v180
	v_cmpx_ne_u16_e32 0, v6
	s_cbranch_execz .LBB225_1014
; %bb.1007:                             ;   in Loop: Header=BB225_548 Depth=1
	v_bfrev_b32_e32 v18, 1
	v_mov_b32_e32 v19, 0
	s_mov_b32 s12, exec_lo
	v_cmpx_ne_u16_e32 0x80, v6
	s_cbranch_execz .LBB225_1013
; %bb.1008:                             ;   in Loop: Header=BB225_548 Depth=1
	v_mov_b32_e32 v18, 0x7f800001
	v_bfe_u32 v181, v179, 16, 7
	v_mov_b32_e32 v19, 0
	s_mov_b32 s13, exec_lo
	s_delay_alu instid0(VALU_DEP_2)
	v_cmpx_ne_u32_e32 0x7f, v181
	s_cbranch_execz .LBB225_1012
; %bb.1009:                             ;   in Loop: Header=BB225_548 Depth=1
	v_and_b32_e32 v6, 7, v180
	v_lshrrev_b32_e32 v18, 3, v181
	s_mov_b32 s15, exec_lo
	v_cmpx_gt_u32_e32 8, v181
; %bb.1010:                             ;   in Loop: Header=BB225_548 Depth=1
	s_delay_alu instid0(VALU_DEP_3) | instskip(NEXT) | instid1(VALU_DEP_1)
	v_clz_i32_u32_e32 v18, v6
	v_min_u32_e32 v18, 32, v18
	s_delay_alu instid0(VALU_DEP_1) | instskip(SKIP_1) | instid1(VALU_DEP_2)
	v_subrev_nc_u32_e32 v19, 28, v18
	v_sub_nc_u32_e32 v18, 29, v18
	v_lshlrev_b64 v[181:182], v19, v[6:7]
	s_delay_alu instid0(VALU_DEP_1)
	v_and_b32_e32 v6, 7, v181
; %bb.1011:                             ;   in Loop: Header=BB225_548 Depth=1
	s_or_b32 exec_lo, exec_lo, s15
	v_lshlrev_b32_e32 v19, 24, v180
	s_delay_alu instid0(VALU_DEP_2) | instskip(SKIP_1) | instid1(VALU_DEP_3)
	v_lshlrev_b32_e32 v6, 20, v6
	v_lshl_add_u32 v18, v18, 23, 0x3c000000
	v_and_b32_e32 v19, 0x80000000, v19
	s_delay_alu instid0(VALU_DEP_1) | instskip(NEXT) | instid1(VALU_DEP_1)
	v_or3_b32 v6, v6, v19, v18
	v_dual_mov_b32 v19, v7 :: v_dual_mov_b32 v18, v6
.LBB225_1012:                           ;   in Loop: Header=BB225_548 Depth=1
	s_or_b32 exec_lo, exec_lo, s13
.LBB225_1013:                           ;   in Loop: Header=BB225_548 Depth=1
	s_delay_alu instid0(SALU_CYCLE_1)
	s_or_b32 exec_lo, exec_lo, s12
.LBB225_1014:                           ;   in Loop: Header=BB225_548 Depth=1
	s_delay_alu instid0(SALU_CYCLE_1) | instskip(NEXT) | instid1(SALU_CYCLE_1)
	s_or_b32 exec_lo, exec_lo, s10
	s_mov_b32 s12, exec_lo
	v_cmpx_lt_u32_e32 0xffffff, v179
	s_cbranch_execz .LBB225_1022
; %bb.1015:                             ;   in Loop: Header=BB225_548 Depth=1
	v_lshrrev_b32_e32 v180, 24, v179
	v_dual_mov_b32 v24, s9 :: v_dual_mov_b32 v23, s8
	s_mov_b32 s13, exec_lo
	s_delay_alu instid0(VALU_DEP_2)
	v_cmpx_ne_u32_e32 0x80, v180
	s_cbranch_execz .LBB225_1021
; %bb.1016:                             ;   in Loop: Header=BB225_548 Depth=1
	s_mov_b32 s10, s8
	v_bfe_u32 v179, v179, 24, 7
	v_dual_mov_b32 v24, s11 :: v_dual_mov_b32 v23, s10
	s_mov_b32 s10, exec_lo
	s_delay_alu instid0(VALU_DEP_2)
	v_cmpx_ne_u32_e32 0x7f, v179
	s_cbranch_execz .LBB225_1020
; %bb.1017:                             ;   in Loop: Header=BB225_548 Depth=1
	v_and_b32_e32 v6, 7, v180
	v_lshrrev_b32_e32 v23, 3, v179
	s_mov_b32 s15, exec_lo
	v_cmpx_gt_u32_e32 8, v179
; %bb.1018:                             ;   in Loop: Header=BB225_548 Depth=1
	s_delay_alu instid0(VALU_DEP_3) | instskip(NEXT) | instid1(VALU_DEP_1)
	v_clz_i32_u32_e32 v23, v6
	v_min_u32_e32 v23, 32, v23
	s_delay_alu instid0(VALU_DEP_1) | instskip(SKIP_1) | instid1(VALU_DEP_2)
	v_subrev_nc_u32_e32 v24, 28, v23
	v_sub_nc_u32_e32 v23, 29, v23
	v_lshlrev_b64 v[181:182], v24, v[6:7]
	s_delay_alu instid0(VALU_DEP_1)
	v_and_b32_e32 v6, 7, v181
; %bb.1019:                             ;   in Loop: Header=BB225_548 Depth=1
	s_or_b32 exec_lo, exec_lo, s15
	v_lshlrev_b32_e32 v24, 24, v180
	s_delay_alu instid0(VALU_DEP_2) | instskip(SKIP_1) | instid1(VALU_DEP_3)
	v_lshlrev_b32_e32 v6, 20, v6
	v_lshl_add_u32 v23, v23, 23, 0x3c000000
	v_and_b32_e32 v24, 0x80000000, v24
	s_delay_alu instid0(VALU_DEP_1)
	v_or3_b32 v24, v6, v24, v23
	v_mov_b32_e32 v23, v7
.LBB225_1020:                           ;   in Loop: Header=BB225_548 Depth=1
	s_or_b32 exec_lo, exec_lo, s10
.LBB225_1021:                           ;   in Loop: Header=BB225_548 Depth=1
	s_delay_alu instid0(SALU_CYCLE_1)
	s_or_b32 exec_lo, exec_lo, s13
.LBB225_1022:                           ;   in Loop: Header=BB225_548 Depth=1
	s_delay_alu instid0(SALU_CYCLE_1) | instskip(SKIP_4) | instid1(VALU_DEP_4)
	s_or_b32 exec_lo, exec_lo, s12
	v_or_b32_e32 v6, v17, v15
	v_or_b32_e32 v14, v16, v14
	v_or_b32_e32 v15, v24, v19
	v_or_b32_e32 v16, v23, v18
	v_mul_f32_e32 v182, v55, v6
	s_delay_alu instid0(VALU_DEP_4) | instskip(NEXT) | instid1(VALU_DEP_3)
	v_mul_f32_e32 v181, v26, v14
	v_dual_mul_f32 v179, v55, v15 :: v_dual_mul_f32 v180, v26, v16
	s_and_saveexec_b32 s10, vcc_lo
; %bb.1023:                             ;   in Loop: Header=BB225_548 Depth=1
	v_cmp_lt_i32_e64 s0, v68, v161
	s_delay_alu instid0(VALU_DEP_1) | instskip(SKIP_1) | instid1(VALU_DEP_1)
	v_cndmask_b32_e64 v181, 0, v181, s0
	v_cmp_lt_i32_e64 s0, v70, v161
	v_cndmask_b32_e64 v182, 0, v182, s0
	v_cmp_lt_i32_e64 s0, v69, v161
	s_delay_alu instid0(VALU_DEP_1) | instskip(SKIP_1) | instid1(VALU_DEP_1)
	v_cndmask_b32_e64 v180, 0, v180, s0
	v_cmp_lt_i32_e64 s0, v21, v161
	v_cndmask_b32_e64 v179, 0, v179, s0
; %bb.1024:                             ;   in Loop: Header=BB225_548 Depth=1
	s_or_b32 exec_lo, exec_lo, s10
	flat_load_b32 v183, v[12:13] offset:1792
	v_mov_b32_e32 v16, 0
	v_mov_b32_e32 v17, 0
	s_mov_b32 s10, exec_lo
	s_waitcnt vmcnt(0) lgkmcnt(0)
	v_and_b32_e32 v6, 0xff, v183
	s_delay_alu instid0(VALU_DEP_2) | instskip(NEXT) | instid1(VALU_DEP_2)
	v_dual_mov_b32 v14, v16 :: v_dual_mov_b32 v15, v17
	v_cmpx_ne_u16_e32 0, v6
	s_cbranch_execz .LBB225_1032
; %bb.1025:                             ;   in Loop: Header=BB225_548 Depth=1
	v_bfrev_b32_e32 v14, 1
	v_mov_b32_e32 v15, 0
	s_mov_b32 s12, exec_lo
	v_cmpx_ne_u16_e32 0x80, v6
	s_cbranch_execz .LBB225_1031
; %bb.1026:                             ;   in Loop: Header=BB225_548 Depth=1
	v_mov_b32_e32 v14, 0x7f800001
	v_dual_mov_b32 v15, 0 :: v_dual_and_b32 v18, 0x7f, v183
	s_mov_b32 s13, exec_lo
	s_delay_alu instid0(VALU_DEP_1)
	v_cmpx_ne_u32_e32 0x7f, v18
	s_cbranch_execz .LBB225_1030
; %bb.1027:                             ;   in Loop: Header=BB225_548 Depth=1
	v_and_b32_e32 v6, 7, v183
	v_lshrrev_b32_e32 v14, 3, v18
	s_mov_b32 s15, exec_lo
	v_cmpx_gt_u32_e32 8, v18
; %bb.1028:                             ;   in Loop: Header=BB225_548 Depth=1
	s_delay_alu instid0(VALU_DEP_3) | instskip(NEXT) | instid1(VALU_DEP_1)
	v_clz_i32_u32_e32 v14, v6
	v_min_u32_e32 v14, 32, v14
	s_delay_alu instid0(VALU_DEP_1) | instskip(SKIP_1) | instid1(VALU_DEP_2)
	v_subrev_nc_u32_e32 v15, 28, v14
	v_sub_nc_u32_e32 v14, 29, v14
	v_lshlrev_b64 v[18:19], v15, v[6:7]
	s_delay_alu instid0(VALU_DEP_1)
	v_and_b32_e32 v6, 7, v18
; %bb.1029:                             ;   in Loop: Header=BB225_548 Depth=1
	s_or_b32 exec_lo, exec_lo, s15
	v_lshlrev_b32_e32 v15, 24, v183
	s_delay_alu instid0(VALU_DEP_2) | instskip(SKIP_1) | instid1(VALU_DEP_3)
	v_lshlrev_b32_e32 v6, 20, v6
	v_lshl_add_u32 v14, v14, 23, 0x3c000000
	v_and_b32_e32 v15, 0x80000000, v15
	s_delay_alu instid0(VALU_DEP_1) | instskip(NEXT) | instid1(VALU_DEP_1)
	v_or3_b32 v6, v6, v15, v14
	v_dual_mov_b32 v15, v7 :: v_dual_mov_b32 v14, v6
.LBB225_1030:                           ;   in Loop: Header=BB225_548 Depth=1
	s_or_b32 exec_lo, exec_lo, s13
.LBB225_1031:                           ;   in Loop: Header=BB225_548 Depth=1
	s_delay_alu instid0(SALU_CYCLE_1)
	s_or_b32 exec_lo, exec_lo, s12
.LBB225_1032:                           ;   in Loop: Header=BB225_548 Depth=1
	s_delay_alu instid0(SALU_CYCLE_1) | instskip(SKIP_2) | instid1(VALU_DEP_1)
	s_or_b32 exec_lo, exec_lo, s10
	v_lshrrev_b16 v6, 8, v183
	s_mov_b32 s12, exec_lo
	v_cmpx_ne_u16_e32 0, v6
	s_cbranch_execz .LBB225_1040
; %bb.1033:                             ;   in Loop: Header=BB225_548 Depth=1
	v_dual_mov_b32 v17, s9 :: v_dual_mov_b32 v16, s8
	s_mov_b32 s13, exec_lo
	v_cmpx_ne_u16_e32 0x80, v6
	s_cbranch_execz .LBB225_1039
; %bb.1034:                             ;   in Loop: Header=BB225_548 Depth=1
	s_mov_b32 s10, s8
	v_dual_mov_b32 v17, s11 :: v_dual_and_b32 v6, 0xffff, v6
	v_mov_b32_e32 v16, s10
	s_mov_b32 s10, exec_lo
	s_delay_alu instid0(VALU_DEP_2) | instskip(NEXT) | instid1(VALU_DEP_1)
	v_and_b32_e32 v18, 0x7f, v6
	v_cmpx_ne_u32_e32 0x7f, v18
	s_cbranch_execz .LBB225_1038
; %bb.1035:                             ;   in Loop: Header=BB225_548 Depth=1
	v_and_b32_e32 v6, 7, v6
	v_lshrrev_b32_e32 v16, 3, v18
	s_mov_b32 s15, exec_lo
	v_cmpx_gt_u32_e32 8, v18
; %bb.1036:                             ;   in Loop: Header=BB225_548 Depth=1
	s_delay_alu instid0(VALU_DEP_3) | instskip(NEXT) | instid1(VALU_DEP_1)
	v_clz_i32_u32_e32 v16, v6
	v_min_u32_e32 v16, 32, v16
	s_delay_alu instid0(VALU_DEP_1) | instskip(SKIP_1) | instid1(VALU_DEP_2)
	v_subrev_nc_u32_e32 v17, 28, v16
	v_sub_nc_u32_e32 v16, 29, v16
	v_lshlrev_b64 v[17:18], v17, v[6:7]
	s_delay_alu instid0(VALU_DEP_1)
	v_and_b32_e32 v6, 7, v17
; %bb.1037:                             ;   in Loop: Header=BB225_548 Depth=1
	s_or_b32 exec_lo, exec_lo, s15
	v_lshlrev_b32_e32 v17, 16, v183
	s_delay_alu instid0(VALU_DEP_2) | instskip(SKIP_1) | instid1(VALU_DEP_3)
	v_lshlrev_b32_e32 v6, 20, v6
	v_lshl_add_u32 v16, v16, 23, 0x3c000000
	v_and_b32_e32 v17, 0x80000000, v17
	s_delay_alu instid0(VALU_DEP_1)
	v_or3_b32 v17, v6, v17, v16
	v_mov_b32_e32 v16, v7
.LBB225_1038:                           ;   in Loop: Header=BB225_548 Depth=1
	s_or_b32 exec_lo, exec_lo, s10
.LBB225_1039:                           ;   in Loop: Header=BB225_548 Depth=1
	s_delay_alu instid0(SALU_CYCLE_1)
	s_or_b32 exec_lo, exec_lo, s13
.LBB225_1040:                           ;   in Loop: Header=BB225_548 Depth=1
	s_delay_alu instid0(SALU_CYCLE_1) | instskip(SKIP_3) | instid1(VALU_DEP_2)
	s_or_b32 exec_lo, exec_lo, s12
	v_lshrrev_b32_e32 v40, 16, v183
	v_mov_b32_e32 v23, 0
	v_mov_b32_e32 v24, 0
	;; [unrolled: 1-line block ×3, first 2 shown]
	s_mov_b32 s10, exec_lo
	s_delay_alu instid0(VALU_DEP_2) | instskip(NEXT) | instid1(VALU_DEP_1)
	v_dual_mov_b32 v19, v24 :: v_dual_and_b32 v6, 0xff, v40
	v_cmpx_ne_u16_e32 0, v6
	s_cbranch_execz .LBB225_1048
; %bb.1041:                             ;   in Loop: Header=BB225_548 Depth=1
	v_bfrev_b32_e32 v18, 1
	v_mov_b32_e32 v19, 0
	s_mov_b32 s12, exec_lo
	v_cmpx_ne_u16_e32 0x80, v6
	s_cbranch_execz .LBB225_1047
; %bb.1042:                             ;   in Loop: Header=BB225_548 Depth=1
	v_mov_b32_e32 v18, 0x7f800001
	v_bfe_u32 v41, v183, 16, 7
	v_mov_b32_e32 v19, 0
	s_mov_b32 s13, exec_lo
	s_delay_alu instid0(VALU_DEP_2)
	v_cmpx_ne_u32_e32 0x7f, v41
	s_cbranch_execz .LBB225_1046
; %bb.1043:                             ;   in Loop: Header=BB225_548 Depth=1
	v_and_b32_e32 v6, 7, v40
	v_lshrrev_b32_e32 v18, 3, v41
	s_mov_b32 s15, exec_lo
	v_cmpx_gt_u32_e32 8, v41
; %bb.1044:                             ;   in Loop: Header=BB225_548 Depth=1
	s_delay_alu instid0(VALU_DEP_3) | instskip(NEXT) | instid1(VALU_DEP_1)
	v_clz_i32_u32_e32 v18, v6
	v_min_u32_e32 v18, 32, v18
	s_delay_alu instid0(VALU_DEP_1) | instskip(SKIP_1) | instid1(VALU_DEP_2)
	v_subrev_nc_u32_e32 v19, 28, v18
	v_sub_nc_u32_e32 v18, 29, v18
	v_lshlrev_b64 v[41:42], v19, v[6:7]
	s_delay_alu instid0(VALU_DEP_1)
	v_and_b32_e32 v6, 7, v41
; %bb.1045:                             ;   in Loop: Header=BB225_548 Depth=1
	s_or_b32 exec_lo, exec_lo, s15
	v_lshlrev_b32_e32 v19, 24, v40
	s_delay_alu instid0(VALU_DEP_2) | instskip(SKIP_1) | instid1(VALU_DEP_3)
	v_lshlrev_b32_e32 v6, 20, v6
	v_lshl_add_u32 v18, v18, 23, 0x3c000000
	v_and_b32_e32 v19, 0x80000000, v19
	s_delay_alu instid0(VALU_DEP_1) | instskip(NEXT) | instid1(VALU_DEP_1)
	v_or3_b32 v6, v6, v19, v18
	v_dual_mov_b32 v19, v7 :: v_dual_mov_b32 v18, v6
.LBB225_1046:                           ;   in Loop: Header=BB225_548 Depth=1
	s_or_b32 exec_lo, exec_lo, s13
.LBB225_1047:                           ;   in Loop: Header=BB225_548 Depth=1
	s_delay_alu instid0(SALU_CYCLE_1)
	s_or_b32 exec_lo, exec_lo, s12
.LBB225_1048:                           ;   in Loop: Header=BB225_548 Depth=1
	s_delay_alu instid0(SALU_CYCLE_1) | instskip(NEXT) | instid1(SALU_CYCLE_1)
	s_or_b32 exec_lo, exec_lo, s10
	s_mov_b32 s12, exec_lo
	v_cmpx_lt_u32_e32 0xffffff, v183
	s_cbranch_execz .LBB225_1056
; %bb.1049:                             ;   in Loop: Header=BB225_548 Depth=1
	v_lshrrev_b32_e32 v40, 24, v183
	v_dual_mov_b32 v24, s9 :: v_dual_mov_b32 v23, s8
	s_mov_b32 s13, exec_lo
	s_delay_alu instid0(VALU_DEP_2)
	v_cmpx_ne_u32_e32 0x80, v40
	s_cbranch_execz .LBB225_1055
; %bb.1050:                             ;   in Loop: Header=BB225_548 Depth=1
	s_mov_b32 s10, s8
	v_bfe_u32 v183, v183, 24, 7
	v_dual_mov_b32 v24, s11 :: v_dual_mov_b32 v23, s10
	s_mov_b32 s10, exec_lo
	s_delay_alu instid0(VALU_DEP_2)
	v_cmpx_ne_u32_e32 0x7f, v183
	s_cbranch_execz .LBB225_1054
; %bb.1051:                             ;   in Loop: Header=BB225_548 Depth=1
	v_and_b32_e32 v6, 7, v40
	v_lshrrev_b32_e32 v23, 3, v183
	s_mov_b32 s15, exec_lo
	v_cmpx_gt_u32_e32 8, v183
; %bb.1052:                             ;   in Loop: Header=BB225_548 Depth=1
	s_delay_alu instid0(VALU_DEP_3) | instskip(NEXT) | instid1(VALU_DEP_1)
	v_clz_i32_u32_e32 v23, v6
	v_min_u32_e32 v23, 32, v23
	s_delay_alu instid0(VALU_DEP_1) | instskip(SKIP_1) | instid1(VALU_DEP_2)
	v_subrev_nc_u32_e32 v24, 28, v23
	v_sub_nc_u32_e32 v23, 29, v23
	v_lshlrev_b64 v[41:42], v24, v[6:7]
	s_delay_alu instid0(VALU_DEP_1)
	v_and_b32_e32 v6, 7, v41
; %bb.1053:                             ;   in Loop: Header=BB225_548 Depth=1
	s_or_b32 exec_lo, exec_lo, s15
	v_lshlrev_b32_e32 v24, 24, v40
	s_delay_alu instid0(VALU_DEP_2) | instskip(SKIP_1) | instid1(VALU_DEP_3)
	v_lshlrev_b32_e32 v6, 20, v6
	v_lshl_add_u32 v23, v23, 23, 0x3c000000
	v_and_b32_e32 v24, 0x80000000, v24
	s_delay_alu instid0(VALU_DEP_1)
	v_or3_b32 v24, v6, v24, v23
	v_mov_b32_e32 v23, v7
.LBB225_1054:                           ;   in Loop: Header=BB225_548 Depth=1
	s_or_b32 exec_lo, exec_lo, s10
.LBB225_1055:                           ;   in Loop: Header=BB225_548 Depth=1
	s_delay_alu instid0(SALU_CYCLE_1)
	s_or_b32 exec_lo, exec_lo, s13
.LBB225_1056:                           ;   in Loop: Header=BB225_548 Depth=1
	s_delay_alu instid0(SALU_CYCLE_1) | instskip(SKIP_4) | instid1(VALU_DEP_4)
	s_or_b32 exec_lo, exec_lo, s12
	v_or_b32_e32 v6, v17, v15
	v_or_b32_e32 v14, v16, v14
	;; [unrolled: 1-line block ×4, first 2 shown]
	v_mul_f32_e32 v40, v55, v6
	s_delay_alu instid0(VALU_DEP_4) | instskip(NEXT) | instid1(VALU_DEP_3)
	v_mul_f32_e32 v183, v26, v14
	v_dual_mul_f32 v23, v55, v15 :: v_dual_mul_f32 v24, v26, v16
	s_and_saveexec_b32 s10, vcc_lo
; %bb.1057:                             ;   in Loop: Header=BB225_548 Depth=1
	v_cmp_lt_i32_e64 s0, v68, v161
	s_delay_alu instid0(VALU_DEP_1) | instskip(SKIP_1) | instid1(VALU_DEP_1)
	v_cndmask_b32_e64 v183, 0, v183, s0
	v_cmp_lt_i32_e64 s0, v70, v161
	v_cndmask_b32_e64 v40, 0, v40, s0
	v_cmp_lt_i32_e64 s0, v69, v161
	s_delay_alu instid0(VALU_DEP_1) | instskip(SKIP_1) | instid1(VALU_DEP_1)
	v_cndmask_b32_e64 v24, 0, v24, s0
	v_cmp_lt_i32_e64 s0, v21, v161
	v_cndmask_b32_e64 v23, 0, v23, s0
; %bb.1058:                             ;   in Loop: Header=BB225_548 Depth=1
	s_or_b32 exec_lo, exec_lo, s10
	flat_load_b32 v41, v[12:13] offset:1920
	v_mov_b32_e32 v14, 0
	v_mov_b32_e32 v15, 0
	s_mov_b32 s10, exec_lo
	s_waitcnt vmcnt(0) lgkmcnt(0)
	v_and_b32_e32 v6, 0xff, v41
	s_delay_alu instid0(VALU_DEP_2) | instskip(NEXT) | instid1(VALU_DEP_2)
	v_dual_mov_b32 v12, v14 :: v_dual_mov_b32 v13, v15
	v_cmpx_ne_u16_e32 0, v6
	s_cbranch_execz .LBB225_1066
; %bb.1059:                             ;   in Loop: Header=BB225_548 Depth=1
	v_bfrev_b32_e32 v12, 1
	v_mov_b32_e32 v13, 0
	s_mov_b32 s12, exec_lo
	v_cmpx_ne_u16_e32 0x80, v6
	s_cbranch_execz .LBB225_1065
; %bb.1060:                             ;   in Loop: Header=BB225_548 Depth=1
	v_mov_b32_e32 v12, 0x7f800001
	v_dual_mov_b32 v13, 0 :: v_dual_and_b32 v16, 0x7f, v41
	s_mov_b32 s13, exec_lo
	s_delay_alu instid0(VALU_DEP_1)
	v_cmpx_ne_u32_e32 0x7f, v16
	s_cbranch_execz .LBB225_1064
; %bb.1061:                             ;   in Loop: Header=BB225_548 Depth=1
	v_and_b32_e32 v6, 7, v41
	v_lshrrev_b32_e32 v12, 3, v16
	s_mov_b32 s15, exec_lo
	v_cmpx_gt_u32_e32 8, v16
; %bb.1062:                             ;   in Loop: Header=BB225_548 Depth=1
	s_delay_alu instid0(VALU_DEP_3) | instskip(NEXT) | instid1(VALU_DEP_1)
	v_clz_i32_u32_e32 v12, v6
	v_min_u32_e32 v12, 32, v12
	s_delay_alu instid0(VALU_DEP_1) | instskip(SKIP_1) | instid1(VALU_DEP_2)
	v_subrev_nc_u32_e32 v13, 28, v12
	v_sub_nc_u32_e32 v12, 29, v12
	v_lshlrev_b64 v[16:17], v13, v[6:7]
	s_delay_alu instid0(VALU_DEP_1)
	v_and_b32_e32 v6, 7, v16
; %bb.1063:                             ;   in Loop: Header=BB225_548 Depth=1
	s_or_b32 exec_lo, exec_lo, s15
	v_lshlrev_b32_e32 v13, 24, v41
	s_delay_alu instid0(VALU_DEP_2) | instskip(SKIP_1) | instid1(VALU_DEP_3)
	v_lshlrev_b32_e32 v6, 20, v6
	v_lshl_add_u32 v12, v12, 23, 0x3c000000
	v_and_b32_e32 v13, 0x80000000, v13
	s_delay_alu instid0(VALU_DEP_1) | instskip(NEXT) | instid1(VALU_DEP_1)
	v_or3_b32 v6, v6, v13, v12
	v_dual_mov_b32 v13, v7 :: v_dual_mov_b32 v12, v6
.LBB225_1064:                           ;   in Loop: Header=BB225_548 Depth=1
	s_or_b32 exec_lo, exec_lo, s13
.LBB225_1065:                           ;   in Loop: Header=BB225_548 Depth=1
	s_delay_alu instid0(SALU_CYCLE_1)
	s_or_b32 exec_lo, exec_lo, s12
.LBB225_1066:                           ;   in Loop: Header=BB225_548 Depth=1
	s_delay_alu instid0(SALU_CYCLE_1) | instskip(SKIP_2) | instid1(VALU_DEP_1)
	s_or_b32 exec_lo, exec_lo, s10
	v_lshrrev_b16 v6, 8, v41
	s_mov_b32 s12, exec_lo
	v_cmpx_ne_u16_e32 0, v6
	s_cbranch_execz .LBB225_1074
; %bb.1067:                             ;   in Loop: Header=BB225_548 Depth=1
	v_dual_mov_b32 v15, s9 :: v_dual_mov_b32 v14, s8
	s_mov_b32 s13, exec_lo
	v_cmpx_ne_u16_e32 0x80, v6
	s_cbranch_execz .LBB225_1073
; %bb.1068:                             ;   in Loop: Header=BB225_548 Depth=1
	s_mov_b32 s10, s8
	v_dual_mov_b32 v15, s11 :: v_dual_and_b32 v6, 0xffff, v6
	v_mov_b32_e32 v14, s10
	s_mov_b32 s10, exec_lo
	s_delay_alu instid0(VALU_DEP_2) | instskip(NEXT) | instid1(VALU_DEP_1)
	v_and_b32_e32 v16, 0x7f, v6
	v_cmpx_ne_u32_e32 0x7f, v16
	s_cbranch_execz .LBB225_1072
; %bb.1069:                             ;   in Loop: Header=BB225_548 Depth=1
	v_and_b32_e32 v6, 7, v6
	v_lshrrev_b32_e32 v14, 3, v16
	s_mov_b32 s15, exec_lo
	v_cmpx_gt_u32_e32 8, v16
; %bb.1070:                             ;   in Loop: Header=BB225_548 Depth=1
	s_delay_alu instid0(VALU_DEP_3) | instskip(NEXT) | instid1(VALU_DEP_1)
	v_clz_i32_u32_e32 v14, v6
	v_min_u32_e32 v14, 32, v14
	s_delay_alu instid0(VALU_DEP_1) | instskip(SKIP_1) | instid1(VALU_DEP_2)
	v_subrev_nc_u32_e32 v15, 28, v14
	v_sub_nc_u32_e32 v14, 29, v14
	v_lshlrev_b64 v[15:16], v15, v[6:7]
	s_delay_alu instid0(VALU_DEP_1)
	v_and_b32_e32 v6, 7, v15
; %bb.1071:                             ;   in Loop: Header=BB225_548 Depth=1
	s_or_b32 exec_lo, exec_lo, s15
	v_lshlrev_b32_e32 v15, 16, v41
	s_delay_alu instid0(VALU_DEP_2) | instskip(SKIP_1) | instid1(VALU_DEP_3)
	v_lshlrev_b32_e32 v6, 20, v6
	v_lshl_add_u32 v14, v14, 23, 0x3c000000
	v_and_b32_e32 v15, 0x80000000, v15
	s_delay_alu instid0(VALU_DEP_1)
	v_or3_b32 v15, v6, v15, v14
	v_mov_b32_e32 v14, v7
.LBB225_1072:                           ;   in Loop: Header=BB225_548 Depth=1
	s_or_b32 exec_lo, exec_lo, s10
.LBB225_1073:                           ;   in Loop: Header=BB225_548 Depth=1
	s_delay_alu instid0(SALU_CYCLE_1)
	s_or_b32 exec_lo, exec_lo, s13
.LBB225_1074:                           ;   in Loop: Header=BB225_548 Depth=1
	s_delay_alu instid0(SALU_CYCLE_1) | instskip(SKIP_4) | instid1(VALU_DEP_2)
	s_or_b32 exec_lo, exec_lo, s12
	v_mov_b32_e32 v18, 0
	v_lshrrev_b32_e32 v42, 16, v41
	v_mov_b32_e32 v19, 0
	s_mov_b32 s10, exec_lo
	v_and_b32_e32 v6, 0xff, v42
	s_delay_alu instid0(VALU_DEP_2) | instskip(NEXT) | instid1(VALU_DEP_2)
	v_dual_mov_b32 v16, v18 :: v_dual_mov_b32 v17, v19
	v_cmpx_ne_u16_e32 0, v6
	s_cbranch_execz .LBB225_1082
; %bb.1075:                             ;   in Loop: Header=BB225_548 Depth=1
	v_bfrev_b32_e32 v16, 1
	v_mov_b32_e32 v17, 0
	s_mov_b32 s12, exec_lo
	v_cmpx_ne_u16_e32 0x80, v6
	s_cbranch_execz .LBB225_1081
; %bb.1076:                             ;   in Loop: Header=BB225_548 Depth=1
	v_mov_b32_e32 v16, 0x7f800001
	v_bfe_u32 v43, v41, 16, 7
	v_mov_b32_e32 v17, 0
	s_mov_b32 s13, exec_lo
	s_delay_alu instid0(VALU_DEP_2)
	v_cmpx_ne_u32_e32 0x7f, v43
	s_cbranch_execz .LBB225_1080
; %bb.1077:                             ;   in Loop: Header=BB225_548 Depth=1
	v_and_b32_e32 v6, 7, v42
	v_lshrrev_b32_e32 v16, 3, v43
	s_mov_b32 s15, exec_lo
	v_cmpx_gt_u32_e32 8, v43
; %bb.1078:                             ;   in Loop: Header=BB225_548 Depth=1
	s_delay_alu instid0(VALU_DEP_3) | instskip(NEXT) | instid1(VALU_DEP_1)
	v_clz_i32_u32_e32 v16, v6
	v_min_u32_e32 v16, 32, v16
	s_delay_alu instid0(VALU_DEP_1) | instskip(SKIP_1) | instid1(VALU_DEP_2)
	v_subrev_nc_u32_e32 v17, 28, v16
	v_sub_nc_u32_e32 v16, 29, v16
	v_lshlrev_b64 v[43:44], v17, v[6:7]
	s_delay_alu instid0(VALU_DEP_1)
	v_and_b32_e32 v6, 7, v43
; %bb.1079:                             ;   in Loop: Header=BB225_548 Depth=1
	s_or_b32 exec_lo, exec_lo, s15
	v_lshlrev_b32_e32 v17, 24, v42
	s_delay_alu instid0(VALU_DEP_2) | instskip(SKIP_1) | instid1(VALU_DEP_3)
	v_lshlrev_b32_e32 v6, 20, v6
	v_lshl_add_u32 v16, v16, 23, 0x3c000000
	v_and_b32_e32 v17, 0x80000000, v17
	s_delay_alu instid0(VALU_DEP_1) | instskip(NEXT) | instid1(VALU_DEP_1)
	v_or3_b32 v6, v6, v17, v16
	v_dual_mov_b32 v17, v7 :: v_dual_mov_b32 v16, v6
.LBB225_1080:                           ;   in Loop: Header=BB225_548 Depth=1
	s_or_b32 exec_lo, exec_lo, s13
.LBB225_1081:                           ;   in Loop: Header=BB225_548 Depth=1
	s_delay_alu instid0(SALU_CYCLE_1)
	s_or_b32 exec_lo, exec_lo, s12
.LBB225_1082:                           ;   in Loop: Header=BB225_548 Depth=1
	s_delay_alu instid0(SALU_CYCLE_1) | instskip(NEXT) | instid1(SALU_CYCLE_1)
	s_or_b32 exec_lo, exec_lo, s10
	s_mov_b32 s12, exec_lo
	v_cmpx_lt_u32_e32 0xffffff, v41
	s_cbranch_execz .LBB225_1090
; %bb.1083:                             ;   in Loop: Header=BB225_548 Depth=1
	v_lshrrev_b32_e32 v42, 24, v41
	v_dual_mov_b32 v19, s9 :: v_dual_mov_b32 v18, s8
	s_mov_b32 s13, exec_lo
	s_delay_alu instid0(VALU_DEP_2)
	v_cmpx_ne_u32_e32 0x80, v42
	s_cbranch_execz .LBB225_1089
; %bb.1084:                             ;   in Loop: Header=BB225_548 Depth=1
	s_mov_b32 s10, s8
	v_bfe_u32 v41, v41, 24, 7
	v_dual_mov_b32 v19, s11 :: v_dual_mov_b32 v18, s10
	s_mov_b32 s10, exec_lo
	s_delay_alu instid0(VALU_DEP_2)
	v_cmpx_ne_u32_e32 0x7f, v41
	s_cbranch_execz .LBB225_1088
; %bb.1085:                             ;   in Loop: Header=BB225_548 Depth=1
	v_and_b32_e32 v6, 7, v42
	v_lshrrev_b32_e32 v18, 3, v41
	s_mov_b32 s15, exec_lo
	v_cmpx_gt_u32_e32 8, v41
; %bb.1086:                             ;   in Loop: Header=BB225_548 Depth=1
	s_delay_alu instid0(VALU_DEP_3) | instskip(NEXT) | instid1(VALU_DEP_1)
	v_clz_i32_u32_e32 v18, v6
	v_min_u32_e32 v18, 32, v18
	s_delay_alu instid0(VALU_DEP_1) | instskip(SKIP_1) | instid1(VALU_DEP_2)
	v_subrev_nc_u32_e32 v19, 28, v18
	v_sub_nc_u32_e32 v18, 29, v18
	v_lshlrev_b64 v[43:44], v19, v[6:7]
	s_delay_alu instid0(VALU_DEP_1)
	v_and_b32_e32 v6, 7, v43
; %bb.1087:                             ;   in Loop: Header=BB225_548 Depth=1
	s_or_b32 exec_lo, exec_lo, s15
	v_lshlrev_b32_e32 v19, 24, v42
	s_delay_alu instid0(VALU_DEP_2) | instskip(SKIP_1) | instid1(VALU_DEP_3)
	v_lshlrev_b32_e32 v6, 20, v6
	v_lshl_add_u32 v18, v18, 23, 0x3c000000
	v_and_b32_e32 v19, 0x80000000, v19
	s_delay_alu instid0(VALU_DEP_1)
	v_or3_b32 v19, v6, v19, v18
	v_mov_b32_e32 v18, v7
.LBB225_1088:                           ;   in Loop: Header=BB225_548 Depth=1
	s_or_b32 exec_lo, exec_lo, s10
.LBB225_1089:                           ;   in Loop: Header=BB225_548 Depth=1
	s_delay_alu instid0(SALU_CYCLE_1)
	s_or_b32 exec_lo, exec_lo, s13
.LBB225_1090:                           ;   in Loop: Header=BB225_548 Depth=1
	s_delay_alu instid0(SALU_CYCLE_1) | instskip(SKIP_4) | instid1(VALU_DEP_3)
	s_or_b32 exec_lo, exec_lo, s12
	v_or_b32_e32 v6, v15, v13
	v_or_b32_e32 v12, v14, v12
	;; [unrolled: 1-line block ×4, first 2 shown]
	v_dual_mul_f32 v14, v55, v6 :: v_dual_mul_f32 v13, v26, v12
	s_delay_alu instid0(VALU_DEP_3) | instskip(NEXT) | instid1(VALU_DEP_3)
	v_mul_f32_e32 v6, v55, v15
	v_mul_f32_e32 v12, v26, v16
	s_and_saveexec_b32 s0, vcc_lo
	s_cbranch_execz .LBB225_547
; %bb.1091:                             ;   in Loop: Header=BB225_548 Depth=1
	v_cmp_lt_i32_e32 vcc_lo, v68, v161
	v_cndmask_b32_e32 v13, 0, v13, vcc_lo
	v_cmp_lt_i32_e32 vcc_lo, v70, v161
	v_cndmask_b32_e32 v14, 0, v14, vcc_lo
	;; [unrolled: 2-line block ×4, first 2 shown]
	s_branch .LBB225_547
.LBB225_1092:
	s_or_b32 exec_lo, exec_lo, s5
	v_dual_mov_b32 v0, s6 :: v_dual_mov_b32 v1, s7
.LBB225_1093:
	s_or_b32 exec_lo, exec_lo, s3
	s_delay_alu instid0(VALU_DEP_1)
	v_lshlrev_b64 v[0:1], 2, v[0:1]
	s_getpc_b64 s[6:7]
	s_add_u32 s6, s6, llvm.amdgcn.dynlds.offset.table@rel32@lo+4
	s_addc_u32 s7, s7, llvm.amdgcn.dynlds.offset.table@rel32@hi+12
	s_waitcnt lgkmcnt(0)
	s_waitcnt_vscnt null, 0x0
	s_barrier
	buffer_gl0_inv
	ds_bpermute_b32 v2, v28, v52
	v_add_co_u32 v0, vcc_lo, v0, s6
	v_add_co_ci_u32_e32 v1, vcc_lo, s7, v1, vcc_lo
	ds_bpermute_b32 v3, v28, v50
	ds_bpermute_b32 v6, v28, v49
	;; [unrolled: 1-line block ×3, first 2 shown]
	global_load_b32 v20, v[0:1], off
	ds_bpermute_b32 v0, v28, v51
	ds_bpermute_b32 v1, v28, v53
	;; [unrolled: 1-line block ×12, first 2 shown]
	v_lshrrev_b32_e32 v18, 1, v25
	s_waitcnt lgkmcnt(15)
	v_dual_add_f32 v2, v52, v2 :: v_dual_and_b32 v21, 0x3c1, v160
	s_mov_b32 s0, exec_lo
	s_waitcnt lgkmcnt(13)
	v_dual_add_f32 v3, v50, v3 :: v_dual_add_f32 v6, v49, v6
	s_waitcnt lgkmcnt(11)
	v_dual_add_f32 v7, v48, v7 :: v_dual_add_f32 v0, v51, v0
	;; [unrolled: 2-line block ×7, first 2 shown]
	s_waitcnt lgkmcnt(0)
	v_add_f32_e32 v17, v30, v17
	s_waitcnt vmcnt(0)
	v_lshl_add_u32 v19, v162, 10, v20
	v_cmpx_eq_u32_e32 64, v21
	s_cbranch_execz .LBB225_1095
; %bb.1094:
	v_lshlrev_b32_e32 v21, 2, v18
	s_delay_alu instid0(VALU_DEP_1)
	v_add3_u32 v21, v19, v21, 0xfffff800
	ds_store_2addr_b32 v21, v0, v1 offset1:16
	ds_store_2addr_b32 v21, v2, v3 offset0:32 offset1:48
	ds_store_2addr_b32 v21, v6, v7 offset0:64 offset1:80
	ds_store_2addr_b32 v21, v8, v9 offset0:96 offset1:112
	ds_store_2addr_b32 v21, v10, v11 offset0:128 offset1:144
	ds_store_2addr_b32 v21, v12, v13 offset0:160 offset1:176
	ds_store_2addr_b32 v21, v14, v15 offset0:192 offset1:208
	ds_store_2addr_b32 v21, v16, v17 offset0:224 offset1:240
.LBB225_1095:
	s_or_b32 exec_lo, exec_lo, s0
	v_cmp_eq_u32_e32 vcc_lo, 0, v29
	s_mov_b32 s3, exec_lo
	s_waitcnt lgkmcnt(0)
	s_barrier
	buffer_gl0_inv
	v_cmpx_gt_u32_e32 64, v160
	s_cbranch_execz .LBB225_1114
; %bb.1096:
	s_and_saveexec_b32 s0, vcc_lo
	s_cbranch_execnz .LBB225_1138
; %bb.1097:
	s_or_b32 exec_lo, exec_lo, s0
	s_and_saveexec_b32 s0, vcc_lo
	s_cbranch_execnz .LBB225_1139
.LBB225_1098:
	s_or_b32 exec_lo, exec_lo, s0
	s_and_saveexec_b32 s0, vcc_lo
	s_cbranch_execnz .LBB225_1140
.LBB225_1099:
	s_or_b32 exec_lo, exec_lo, s0
	s_and_saveexec_b32 s0, vcc_lo
	s_cbranch_execnz .LBB225_1141
.LBB225_1100:
	s_or_b32 exec_lo, exec_lo, s0
	s_and_saveexec_b32 s0, vcc_lo
	s_cbranch_execnz .LBB225_1142
.LBB225_1101:
	s_or_b32 exec_lo, exec_lo, s0
	s_and_saveexec_b32 s0, vcc_lo
	s_cbranch_execnz .LBB225_1143
.LBB225_1102:
	s_or_b32 exec_lo, exec_lo, s0
	s_and_saveexec_b32 s0, vcc_lo
	s_cbranch_execnz .LBB225_1144
.LBB225_1103:
	s_or_b32 exec_lo, exec_lo, s0
	s_and_saveexec_b32 s0, vcc_lo
	s_cbranch_execnz .LBB225_1145
.LBB225_1104:
	s_or_b32 exec_lo, exec_lo, s0
	s_and_saveexec_b32 s0, vcc_lo
	s_cbranch_execnz .LBB225_1146
.LBB225_1105:
	s_or_b32 exec_lo, exec_lo, s0
	s_and_saveexec_b32 s0, vcc_lo
	s_cbranch_execnz .LBB225_1147
.LBB225_1106:
	s_or_b32 exec_lo, exec_lo, s0
	s_and_saveexec_b32 s0, vcc_lo
	s_cbranch_execnz .LBB225_1148
.LBB225_1107:
	s_or_b32 exec_lo, exec_lo, s0
	s_and_saveexec_b32 s0, vcc_lo
	s_cbranch_execnz .LBB225_1149
.LBB225_1108:
	s_or_b32 exec_lo, exec_lo, s0
	s_and_saveexec_b32 s0, vcc_lo
	s_cbranch_execnz .LBB225_1150
.LBB225_1109:
	s_or_b32 exec_lo, exec_lo, s0
	s_and_saveexec_b32 s0, vcc_lo
	s_cbranch_execnz .LBB225_1151
.LBB225_1110:
	s_or_b32 exec_lo, exec_lo, s0
	s_and_saveexec_b32 s0, vcc_lo
	s_cbranch_execnz .LBB225_1152
.LBB225_1111:
	s_or_b32 exec_lo, exec_lo, s0
	s_and_saveexec_b32 s0, vcc_lo
	s_cbranch_execz .LBB225_1113
.LBB225_1112:
	v_lshl_add_u32 v21, v18, 2, v19
	ds_load_b32 v21, v21 offset:960
	s_waitcnt lgkmcnt(0)
	v_add_f32_e32 v17, v21, v17
.LBB225_1113:
	s_or_b32 exec_lo, exec_lo, s0
.LBB225_1114:
	s_delay_alu instid0(SALU_CYCLE_1)
	s_or_b32 exec_lo, exec_lo, s3
	v_and_b32_e32 v21, 0x3e1, v160
	s_mov_b32 s3, exec_lo
	s_barrier
	buffer_gl0_inv
	v_cmpx_eq_u32_e32 32, v21
	s_cbranch_execz .LBB225_1116
; %bb.1115:
	v_lshl_add_u32 v20, v18, 2, v20
	ds_store_2addr_b32 v20, v0, v1 offset1:16
	ds_store_2addr_b32 v20, v2, v3 offset0:32 offset1:48
	ds_store_2addr_b32 v20, v6, v7 offset0:64 offset1:80
	;; [unrolled: 1-line block ×7, first 2 shown]
.LBB225_1116:
	s_or_b32 exec_lo, exec_lo, s3
	s_delay_alu instid0(SALU_CYCLE_1)
	s_mov_b32 s3, exec_lo
	s_waitcnt lgkmcnt(0)
	s_barrier
	buffer_gl0_inv
	v_cmpx_gt_u32_e32 32, v160
	s_cbranch_execz .LBB225_1135
; %bb.1117:
	v_lshl_add_u32 v18, v18, 2, v19
	s_and_saveexec_b32 s0, vcc_lo
	s_cbranch_execnz .LBB225_1153
; %bb.1118:
	s_or_b32 exec_lo, exec_lo, s0
	s_and_saveexec_b32 s0, vcc_lo
	s_cbranch_execnz .LBB225_1154
.LBB225_1119:
	s_or_b32 exec_lo, exec_lo, s0
	s_and_saveexec_b32 s0, vcc_lo
	s_cbranch_execnz .LBB225_1155
.LBB225_1120:
	s_or_b32 exec_lo, exec_lo, s0
	s_and_saveexec_b32 s0, vcc_lo
	s_cbranch_execnz .LBB225_1156
.LBB225_1121:
	s_or_b32 exec_lo, exec_lo, s0
	s_and_saveexec_b32 s0, vcc_lo
	s_cbranch_execnz .LBB225_1157
.LBB225_1122:
	s_or_b32 exec_lo, exec_lo, s0
	s_and_saveexec_b32 s0, vcc_lo
	s_cbranch_execnz .LBB225_1158
.LBB225_1123:
	s_or_b32 exec_lo, exec_lo, s0
	s_and_saveexec_b32 s0, vcc_lo
	s_cbranch_execnz .LBB225_1159
.LBB225_1124:
	s_or_b32 exec_lo, exec_lo, s0
	s_and_saveexec_b32 s0, vcc_lo
	s_cbranch_execnz .LBB225_1160
.LBB225_1125:
	s_or_b32 exec_lo, exec_lo, s0
	s_and_saveexec_b32 s0, vcc_lo
	s_cbranch_execnz .LBB225_1161
.LBB225_1126:
	s_or_b32 exec_lo, exec_lo, s0
	s_and_saveexec_b32 s0, vcc_lo
	s_cbranch_execnz .LBB225_1162
.LBB225_1127:
	s_or_b32 exec_lo, exec_lo, s0
	s_and_saveexec_b32 s0, vcc_lo
	s_cbranch_execnz .LBB225_1163
.LBB225_1128:
	s_or_b32 exec_lo, exec_lo, s0
	s_and_saveexec_b32 s0, vcc_lo
	s_cbranch_execnz .LBB225_1164
.LBB225_1129:
	s_or_b32 exec_lo, exec_lo, s0
	s_and_saveexec_b32 s0, vcc_lo
	s_cbranch_execnz .LBB225_1165
.LBB225_1130:
	s_or_b32 exec_lo, exec_lo, s0
	s_and_saveexec_b32 s0, vcc_lo
	s_cbranch_execnz .LBB225_1166
.LBB225_1131:
	s_or_b32 exec_lo, exec_lo, s0
	s_and_saveexec_b32 s0, vcc_lo
	s_cbranch_execnz .LBB225_1167
.LBB225_1132:
	s_or_b32 exec_lo, exec_lo, s0
	s_and_saveexec_b32 s0, vcc_lo
	s_cbranch_execz .LBB225_1134
.LBB225_1133:
	ds_load_b32 v18, v18 offset:960
	s_waitcnt lgkmcnt(0)
	v_add_f32_e32 v17, v18, v17
.LBB225_1134:
	s_or_b32 exec_lo, exec_lo, s0
.LBB225_1135:
	s_delay_alu instid0(SALU_CYCLE_1)
	s_or_b32 exec_lo, exec_lo, s3
	v_cmp_eq_u32_e32 vcc_lo, 0, v21
	s_barrier
	buffer_gl0_inv
	s_and_b32 exec_lo, exec_lo, vcc_lo
	s_cbranch_execz .LBB225_1137
; %bb.1136:
	s_lshl_b32 s0, s2, 8
	s_mul_i32 s2, s4, s1
	s_lshl_b32 s4, s14, 8
	s_ashr_i32 s3, s2, 31
	s_ashr_i32 s5, s4, 31
	s_ashr_i32 s1, s0, 31
	s_lshl_b64 s[2:3], s[2:3], 2
	s_lshl_b64 s[4:5], s[4:5], 2
	s_lshl_b64 s[0:1], s[0:1], 2
	s_add_u32 s2, s4, s2
	s_addc_u32 s3, s5, s3
	s_add_u32 s0, s2, s0
	s_addc_u32 s1, s3, s1
	v_lshlrev_b32_e32 v18, 1, v160
	v_add_co_u32 v4, vcc_lo, s0, v4
	v_add_co_ci_u32_e32 v5, vcc_lo, s1, v5, vcc_lo
	s_delay_alu instid0(VALU_DEP_2) | instskip(NEXT) | instid1(VALU_DEP_2)
	v_add_co_u32 v4, vcc_lo, v4, v18
	v_add_co_ci_u32_e32 v5, vcc_lo, 0, v5, vcc_lo
	s_clause 0xf
	flat_store_b32 v[4:5], v0
	flat_store_b32 v[4:5], v1 offset:64
	flat_store_b32 v[4:5], v2 offset:128
	;; [unrolled: 1-line block ×15, first 2 shown]
.LBB225_1137:
	s_or_b32 exec_lo, exec_lo, s16
	s_clause 0x1f
	scratch_load_b32 v169, off, s32
	scratch_load_b32 v168, off, s32 offset:4
	scratch_load_b32 v159, off, s32 offset:8
	;; [unrolled: 1-line block ×31, first 2 shown]
	s_clause 0x1f
	scratch_load_b32 v105, off, s32 offset:128
	scratch_load_b32 v104, off, s32 offset:132
	;; [unrolled: 1-line block ×32, first 2 shown]
	s_clause 0x1
	scratch_load_b32 v41, off, s32 offset:256
	scratch_load_b32 v40, off, s32 offset:260
	s_waitcnt vmcnt(0) lgkmcnt(0)
	s_setpc_b64 s[30:31]
.LBB225_1138:
	v_lshl_add_u32 v21, v18, 2, v19
	ds_load_b32 v21, v21
	s_waitcnt lgkmcnt(0)
	v_add_f32_e32 v0, v21, v0
	s_or_b32 exec_lo, exec_lo, s0
	s_and_saveexec_b32 s0, vcc_lo
	s_cbranch_execz .LBB225_1098
.LBB225_1139:
	v_lshl_add_u32 v21, v18, 2, v19
	ds_load_b32 v21, v21 offset:64
	s_waitcnt lgkmcnt(0)
	v_add_f32_e32 v1, v21, v1
	s_or_b32 exec_lo, exec_lo, s0
	s_and_saveexec_b32 s0, vcc_lo
	s_cbranch_execz .LBB225_1099
.LBB225_1140:
	v_lshl_add_u32 v21, v18, 2, v19
	ds_load_b32 v21, v21 offset:128
	s_waitcnt lgkmcnt(0)
	v_add_f32_e32 v2, v21, v2
	s_or_b32 exec_lo, exec_lo, s0
	s_and_saveexec_b32 s0, vcc_lo
	s_cbranch_execz .LBB225_1100
.LBB225_1141:
	v_lshl_add_u32 v21, v18, 2, v19
	ds_load_b32 v21, v21 offset:192
	s_waitcnt lgkmcnt(0)
	v_add_f32_e32 v3, v21, v3
	s_or_b32 exec_lo, exec_lo, s0
	s_and_saveexec_b32 s0, vcc_lo
	s_cbranch_execz .LBB225_1101
.LBB225_1142:
	v_lshl_add_u32 v21, v18, 2, v19
	ds_load_b32 v21, v21 offset:256
	s_waitcnt lgkmcnt(0)
	v_add_f32_e32 v6, v21, v6
	s_or_b32 exec_lo, exec_lo, s0
	s_and_saveexec_b32 s0, vcc_lo
	s_cbranch_execz .LBB225_1102
.LBB225_1143:
	v_lshl_add_u32 v21, v18, 2, v19
	ds_load_b32 v21, v21 offset:320
	s_waitcnt lgkmcnt(0)
	v_add_f32_e32 v7, v21, v7
	s_or_b32 exec_lo, exec_lo, s0
	s_and_saveexec_b32 s0, vcc_lo
	s_cbranch_execz .LBB225_1103
.LBB225_1144:
	v_lshl_add_u32 v21, v18, 2, v19
	ds_load_b32 v21, v21 offset:384
	s_waitcnt lgkmcnt(0)
	v_add_f32_e32 v8, v21, v8
	s_or_b32 exec_lo, exec_lo, s0
	s_and_saveexec_b32 s0, vcc_lo
	s_cbranch_execz .LBB225_1104
.LBB225_1145:
	v_lshl_add_u32 v21, v18, 2, v19
	ds_load_b32 v21, v21 offset:448
	s_waitcnt lgkmcnt(0)
	v_add_f32_e32 v9, v21, v9
	s_or_b32 exec_lo, exec_lo, s0
	s_and_saveexec_b32 s0, vcc_lo
	s_cbranch_execz .LBB225_1105
.LBB225_1146:
	v_lshl_add_u32 v21, v18, 2, v19
	ds_load_b32 v21, v21 offset:512
	s_waitcnt lgkmcnt(0)
	v_add_f32_e32 v10, v21, v10
	s_or_b32 exec_lo, exec_lo, s0
	s_and_saveexec_b32 s0, vcc_lo
	s_cbranch_execz .LBB225_1106
.LBB225_1147:
	v_lshl_add_u32 v21, v18, 2, v19
	ds_load_b32 v21, v21 offset:576
	s_waitcnt lgkmcnt(0)
	v_add_f32_e32 v11, v21, v11
	s_or_b32 exec_lo, exec_lo, s0
	s_and_saveexec_b32 s0, vcc_lo
	s_cbranch_execz .LBB225_1107
.LBB225_1148:
	v_lshl_add_u32 v21, v18, 2, v19
	ds_load_b32 v21, v21 offset:640
	s_waitcnt lgkmcnt(0)
	v_add_f32_e32 v12, v21, v12
	s_or_b32 exec_lo, exec_lo, s0
	s_and_saveexec_b32 s0, vcc_lo
	s_cbranch_execz .LBB225_1108
.LBB225_1149:
	v_lshl_add_u32 v21, v18, 2, v19
	ds_load_b32 v21, v21 offset:704
	s_waitcnt lgkmcnt(0)
	v_add_f32_e32 v13, v21, v13
	s_or_b32 exec_lo, exec_lo, s0
	s_and_saveexec_b32 s0, vcc_lo
	s_cbranch_execz .LBB225_1109
.LBB225_1150:
	v_lshl_add_u32 v21, v18, 2, v19
	ds_load_b32 v21, v21 offset:768
	s_waitcnt lgkmcnt(0)
	v_add_f32_e32 v14, v21, v14
	s_or_b32 exec_lo, exec_lo, s0
	s_and_saveexec_b32 s0, vcc_lo
	s_cbranch_execz .LBB225_1110
.LBB225_1151:
	v_lshl_add_u32 v21, v18, 2, v19
	ds_load_b32 v21, v21 offset:832
	s_waitcnt lgkmcnt(0)
	v_add_f32_e32 v15, v21, v15
	s_or_b32 exec_lo, exec_lo, s0
	s_and_saveexec_b32 s0, vcc_lo
	s_cbranch_execz .LBB225_1111
.LBB225_1152:
	v_lshl_add_u32 v21, v18, 2, v19
	ds_load_b32 v21, v21 offset:896
	s_waitcnt lgkmcnt(0)
	v_add_f32_e32 v16, v21, v16
	s_or_b32 exec_lo, exec_lo, s0
	s_and_saveexec_b32 s0, vcc_lo
	s_cbranch_execnz .LBB225_1112
	s_branch .LBB225_1113
.LBB225_1153:
	ds_load_b32 v19, v18
	s_waitcnt lgkmcnt(0)
	v_add_f32_e32 v0, v19, v0
	s_or_b32 exec_lo, exec_lo, s0
	s_and_saveexec_b32 s0, vcc_lo
	s_cbranch_execz .LBB225_1119
.LBB225_1154:
	ds_load_b32 v19, v18 offset:64
	s_waitcnt lgkmcnt(0)
	v_add_f32_e32 v1, v19, v1
	s_or_b32 exec_lo, exec_lo, s0
	s_and_saveexec_b32 s0, vcc_lo
	s_cbranch_execz .LBB225_1120
.LBB225_1155:
	ds_load_b32 v19, v18 offset:128
	s_waitcnt lgkmcnt(0)
	v_add_f32_e32 v2, v19, v2
	s_or_b32 exec_lo, exec_lo, s0
	s_and_saveexec_b32 s0, vcc_lo
	s_cbranch_execz .LBB225_1121
.LBB225_1156:
	ds_load_b32 v19, v18 offset:192
	s_waitcnt lgkmcnt(0)
	v_add_f32_e32 v3, v19, v3
	s_or_b32 exec_lo, exec_lo, s0
	s_and_saveexec_b32 s0, vcc_lo
	s_cbranch_execz .LBB225_1122
.LBB225_1157:
	ds_load_b32 v19, v18 offset:256
	s_waitcnt lgkmcnt(0)
	v_add_f32_e32 v6, v19, v6
	s_or_b32 exec_lo, exec_lo, s0
	s_and_saveexec_b32 s0, vcc_lo
	s_cbranch_execz .LBB225_1123
.LBB225_1158:
	ds_load_b32 v19, v18 offset:320
	s_waitcnt lgkmcnt(0)
	v_add_f32_e32 v7, v19, v7
	s_or_b32 exec_lo, exec_lo, s0
	s_and_saveexec_b32 s0, vcc_lo
	s_cbranch_execz .LBB225_1124
.LBB225_1159:
	ds_load_b32 v19, v18 offset:384
	s_waitcnt lgkmcnt(0)
	v_add_f32_e32 v8, v19, v8
	s_or_b32 exec_lo, exec_lo, s0
	s_and_saveexec_b32 s0, vcc_lo
	s_cbranch_execz .LBB225_1125
.LBB225_1160:
	ds_load_b32 v19, v18 offset:448
	s_waitcnt lgkmcnt(0)
	v_add_f32_e32 v9, v19, v9
	s_or_b32 exec_lo, exec_lo, s0
	s_and_saveexec_b32 s0, vcc_lo
	s_cbranch_execz .LBB225_1126
.LBB225_1161:
	ds_load_b32 v19, v18 offset:512
	s_waitcnt lgkmcnt(0)
	v_add_f32_e32 v10, v19, v10
	s_or_b32 exec_lo, exec_lo, s0
	s_and_saveexec_b32 s0, vcc_lo
	s_cbranch_execz .LBB225_1127
.LBB225_1162:
	ds_load_b32 v19, v18 offset:576
	s_waitcnt lgkmcnt(0)
	v_add_f32_e32 v11, v19, v11
	s_or_b32 exec_lo, exec_lo, s0
	s_and_saveexec_b32 s0, vcc_lo
	s_cbranch_execz .LBB225_1128
.LBB225_1163:
	ds_load_b32 v19, v18 offset:640
	s_waitcnt lgkmcnt(0)
	v_add_f32_e32 v12, v19, v12
	s_or_b32 exec_lo, exec_lo, s0
	s_and_saveexec_b32 s0, vcc_lo
	s_cbranch_execz .LBB225_1129
.LBB225_1164:
	ds_load_b32 v19, v18 offset:704
	s_waitcnt lgkmcnt(0)
	v_add_f32_e32 v13, v19, v13
	s_or_b32 exec_lo, exec_lo, s0
	s_and_saveexec_b32 s0, vcc_lo
	s_cbranch_execz .LBB225_1130
.LBB225_1165:
	ds_load_b32 v19, v18 offset:768
	s_waitcnt lgkmcnt(0)
	v_add_f32_e32 v14, v19, v14
	s_or_b32 exec_lo, exec_lo, s0
	s_and_saveexec_b32 s0, vcc_lo
	s_cbranch_execz .LBB225_1131
.LBB225_1166:
	ds_load_b32 v19, v18 offset:832
	s_waitcnt lgkmcnt(0)
	v_add_f32_e32 v15, v19, v15
	s_or_b32 exec_lo, exec_lo, s0
	s_and_saveexec_b32 s0, vcc_lo
	s_cbranch_execz .LBB225_1132
.LBB225_1167:
	ds_load_b32 v19, v18 offset:896
	s_waitcnt lgkmcnt(0)
	v_add_f32_e32 v16, v19, v16
	s_or_b32 exec_lo, exec_lo, s0
	s_and_saveexec_b32 s0, vcc_lo
	s_cbranch_execnz .LBB225_1133
	s_branch .LBB225_1134
.Lfunc_end225:
	.size	_ZN4vllm22paged_attention_kernelIfhLi256ELi8ELi128ELNS_18Fp8KVCacheDataTypeE1ELb0ELi512EEEvPfS2_PT_PKS3_PKT0_S9_ifPKiSB_iPKfiiiSD_SD_iiiii, .Lfunc_end225-_ZN4vllm22paged_attention_kernelIfhLi256ELi8ELi128ELNS_18Fp8KVCacheDataTypeE1ELb0ELi512EEEvPfS2_PT_PKS3_PKT0_S9_ifPKiSB_iPKfiiiSD_SD_iiiii
                                        ; -- End function
	.section	.AMDGPU.csdata,"",@progbits
; Function info:
; codeLenInByte = 38712
; NumSgprs: 35
; NumVgprs: 184
; ScratchSize: 268
; MemoryBound: 0
	.section	.text._ZN4vllm25paged_attention_v2_kernelIfhLi256ELi8ELi128ELNS_18Fp8KVCacheDataTypeE1ELb0ELi512EEEvPfS2_PT_PKS3_PKT0_S9_ifPKiSB_iPKfiiiSD_SD_iiiii,"axG",@progbits,_ZN4vllm25paged_attention_v2_kernelIfhLi256ELi8ELi128ELNS_18Fp8KVCacheDataTypeE1ELb0ELi512EEEvPfS2_PT_PKS3_PKT0_S9_ifPKiSB_iPKfiiiSD_SD_iiiii,comdat
	.protected	_ZN4vllm25paged_attention_v2_kernelIfhLi256ELi8ELi128ELNS_18Fp8KVCacheDataTypeE1ELb0ELi512EEEvPfS2_PT_PKS3_PKT0_S9_ifPKiSB_iPKfiiiSD_SD_iiiii ; -- Begin function _ZN4vllm25paged_attention_v2_kernelIfhLi256ELi8ELi128ELNS_18Fp8KVCacheDataTypeE1ELb0ELi512EEEvPfS2_PT_PKS3_PKT0_S9_ifPKiSB_iPKfiiiSD_SD_iiiii
	.globl	_ZN4vllm25paged_attention_v2_kernelIfhLi256ELi8ELi128ELNS_18Fp8KVCacheDataTypeE1ELb0ELi512EEEvPfS2_PT_PKS3_PKT0_S9_ifPKiSB_iPKfiiiSD_SD_iiiii
	.p2align	8
	.type	_ZN4vllm25paged_attention_v2_kernelIfhLi256ELi8ELi128ELNS_18Fp8KVCacheDataTypeE1ELb0ELi512EEEvPfS2_PT_PKS3_PKT0_S9_ifPKiSB_iPKfiiiSD_SD_iiiii,@function
_ZN4vllm25paged_attention_v2_kernelIfhLi256ELi8ELi128ELNS_18Fp8KVCacheDataTypeE1ELb0ELi512EEEvPfS2_PT_PKS3_PKT0_S9_ifPKiSB_iPKfiiiSD_SD_iiiii: ; @_ZN4vllm25paged_attention_v2_kernelIfhLi256ELi8ELi128ELNS_18Fp8KVCacheDataTypeE1ELb0ELi512EEEvPfS2_PT_PKS3_PKT0_S9_ifPKiSB_iPKfiiiSD_SD_iiiii
; %bb.0:
	s_clause 0x5
	s_load_b256 s[24:31], s[0:1], 0x0
	s_load_b256 s[16:23], s[0:1], 0x20
	s_load_b64 s[2:3], s[0:1], 0x40
	s_load_b64 s[4:5], s[0:1], 0x50
	s_load_b32 s6, s[0:1], 0x48
	s_load_b256 s[36:43], s[0:1], 0x58
	v_mov_b32_e32 v31, v0
	s_add_u32 s8, s0, 0x90
	s_mov_b32 s12, s13
	s_addc_u32 s9, s1, 0
	s_mov_b32 s13, s14
	s_mov_b32 s14, s15
	s_movk_i32 s15, 0x4b
	s_mov_b32 s32, 0
	s_getpc_b64 s[0:1]
	s_add_u32 s0, s0, _ZN4vllm22paged_attention_kernelIfhLi256ELi8ELi128ELNS_18Fp8KVCacheDataTypeE1ELb0ELi512EEEvPfS2_PT_PKS3_PKT0_S9_ifPKiSB_iPKfiiiSD_SD_iiiii@rel32@lo+4
	s_addc_u32 s1, s1, _ZN4vllm22paged_attention_kernelIfhLi256ELi8ELi128ELNS_18Fp8KVCacheDataTypeE1ELb0ELi512EEEvPfS2_PT_PKS3_PKT0_S9_ifPKiSB_iPKfiiiSD_SD_iiiii@rel32@hi+12
	s_waitcnt lgkmcnt(0)
	v_dual_mov_b32 v0, s24 :: v_dual_mov_b32 v1, s25
	v_dual_mov_b32 v2, s26 :: v_dual_mov_b32 v3, s27
	;; [unrolled: 1-line block ×14, first 2 shown]
	s_swappc_b64 s[30:31], s[0:1]
	s_endpgm
	.section	.rodata,"a",@progbits
	.p2align	6, 0x0
	.amdhsa_kernel _ZN4vllm25paged_attention_v2_kernelIfhLi256ELi8ELi128ELNS_18Fp8KVCacheDataTypeE1ELb0ELi512EEEvPfS2_PT_PKS3_PKT0_S9_ifPKiSB_iPKfiiiSD_SD_iiiii
		.amdhsa_group_segment_fixed_size 1056
		.amdhsa_private_segment_fixed_size 268
		.amdhsa_kernarg_size 400
		.amdhsa_user_sgpr_count 13
		.amdhsa_user_sgpr_dispatch_ptr 0
		.amdhsa_user_sgpr_queue_ptr 0
		.amdhsa_user_sgpr_kernarg_segment_ptr 1
		.amdhsa_user_sgpr_dispatch_id 0
		.amdhsa_user_sgpr_private_segment_size 0
		.amdhsa_wavefront_size32 1
		.amdhsa_uses_dynamic_stack 0
		.amdhsa_enable_private_segment 1
		.amdhsa_system_sgpr_workgroup_id_x 1
		.amdhsa_system_sgpr_workgroup_id_y 1
		.amdhsa_system_sgpr_workgroup_id_z 1
		.amdhsa_system_sgpr_workgroup_info 0
		.amdhsa_system_vgpr_workitem_id 0
		.amdhsa_next_free_vgpr 184
		.amdhsa_next_free_sgpr 44
		.amdhsa_reserve_vcc 1
		.amdhsa_float_round_mode_32 0
		.amdhsa_float_round_mode_16_64 0
		.amdhsa_float_denorm_mode_32 3
		.amdhsa_float_denorm_mode_16_64 3
		.amdhsa_dx10_clamp 1
		.amdhsa_ieee_mode 1
		.amdhsa_fp16_overflow 0
		.amdhsa_workgroup_processor_mode 1
		.amdhsa_memory_ordered 1
		.amdhsa_forward_progress 0
		.amdhsa_shared_vgpr_count 0
		.amdhsa_exception_fp_ieee_invalid_op 0
		.amdhsa_exception_fp_denorm_src 0
		.amdhsa_exception_fp_ieee_div_zero 0
		.amdhsa_exception_fp_ieee_overflow 0
		.amdhsa_exception_fp_ieee_underflow 0
		.amdhsa_exception_fp_ieee_inexact 0
		.amdhsa_exception_int_div_zero 0
	.end_amdhsa_kernel
	.section	.text._ZN4vllm25paged_attention_v2_kernelIfhLi256ELi8ELi128ELNS_18Fp8KVCacheDataTypeE1ELb0ELi512EEEvPfS2_PT_PKS3_PKT0_S9_ifPKiSB_iPKfiiiSD_SD_iiiii,"axG",@progbits,_ZN4vllm25paged_attention_v2_kernelIfhLi256ELi8ELi128ELNS_18Fp8KVCacheDataTypeE1ELb0ELi512EEEvPfS2_PT_PKS3_PKT0_S9_ifPKiSB_iPKfiiiSD_SD_iiiii,comdat
.Lfunc_end226:
	.size	_ZN4vllm25paged_attention_v2_kernelIfhLi256ELi8ELi128ELNS_18Fp8KVCacheDataTypeE1ELb0ELi512EEEvPfS2_PT_PKS3_PKT0_S9_ifPKiSB_iPKfiiiSD_SD_iiiii, .Lfunc_end226-_ZN4vllm25paged_attention_v2_kernelIfhLi256ELi8ELi128ELNS_18Fp8KVCacheDataTypeE1ELb0ELi512EEEvPfS2_PT_PKS3_PKT0_S9_ifPKiSB_iPKfiiiSD_SD_iiiii
                                        ; -- End function
	.section	.AMDGPU.csdata,"",@progbits
; Kernel info:
; codeLenInByte = 232
; NumSgprs: 46
; NumVgprs: 184
; ScratchSize: 268
; MemoryBound: 0
; FloatMode: 240
; IeeeMode: 1
; LDSByteSize: 1056 bytes/workgroup (compile time only)
; SGPRBlocks: 5
; VGPRBlocks: 22
; NumSGPRsForWavesPerEU: 46
; NumVGPRsForWavesPerEU: 184
; Occupancy: 8
; WaveLimiterHint : 1
; COMPUTE_PGM_RSRC2:SCRATCH_EN: 1
; COMPUTE_PGM_RSRC2:USER_SGPR: 13
; COMPUTE_PGM_RSRC2:TRAP_HANDLER: 0
; COMPUTE_PGM_RSRC2:TGID_X_EN: 1
; COMPUTE_PGM_RSRC2:TGID_Y_EN: 1
; COMPUTE_PGM_RSRC2:TGID_Z_EN: 1
; COMPUTE_PGM_RSRC2:TIDIG_COMP_CNT: 0
	.section	.text._ZN4vllm25paged_attention_v2_kernelIfhLi32ELi16ELi128ELNS_18Fp8KVCacheDataTypeE1ELb1ELi512EEEvPfS2_PT_PKS3_PKT0_S9_ifPKiSB_iPKfiiiSD_SD_iiiii,"axG",@progbits,_ZN4vllm25paged_attention_v2_kernelIfhLi32ELi16ELi128ELNS_18Fp8KVCacheDataTypeE1ELb1ELi512EEEvPfS2_PT_PKS3_PKT0_S9_ifPKiSB_iPKfiiiSD_SD_iiiii,comdat
	.protected	_ZN4vllm25paged_attention_v2_kernelIfhLi32ELi16ELi128ELNS_18Fp8KVCacheDataTypeE1ELb1ELi512EEEvPfS2_PT_PKS3_PKT0_S9_ifPKiSB_iPKfiiiSD_SD_iiiii ; -- Begin function _ZN4vllm25paged_attention_v2_kernelIfhLi32ELi16ELi128ELNS_18Fp8KVCacheDataTypeE1ELb1ELi512EEEvPfS2_PT_PKS3_PKT0_S9_ifPKiSB_iPKfiiiSD_SD_iiiii
	.globl	_ZN4vllm25paged_attention_v2_kernelIfhLi32ELi16ELi128ELNS_18Fp8KVCacheDataTypeE1ELb1ELi512EEEvPfS2_PT_PKS3_PKT0_S9_ifPKiSB_iPKfiiiSD_SD_iiiii
	.p2align	8
	.type	_ZN4vllm25paged_attention_v2_kernelIfhLi32ELi16ELi128ELNS_18Fp8KVCacheDataTypeE1ELb1ELi512EEEvPfS2_PT_PKS3_PKT0_S9_ifPKiSB_iPKfiiiSD_SD_iiiii,@function
_ZN4vllm25paged_attention_v2_kernelIfhLi32ELi16ELi128ELNS_18Fp8KVCacheDataTypeE1ELb1ELi512EEEvPfS2_PT_PKS3_PKT0_S9_ifPKiSB_iPKfiiiSD_SD_iiiii: ; @_ZN4vllm25paged_attention_v2_kernelIfhLi32ELi16ELi128ELNS_18Fp8KVCacheDataTypeE1ELb1ELi512EEEvPfS2_PT_PKS3_PKT0_S9_ifPKiSB_iPKfiiiSD_SD_iiiii
; %bb.0:
	s_load_b64 s[2:3], s[0:1], 0x40
	s_mov_b32 s26, s15
	s_ashr_i32 s15, s14, 31
	s_delay_alu instid0(SALU_CYCLE_1)
	s_lshl_b64 s[4:5], s[14:15], 2
	s_waitcnt lgkmcnt(0)
	s_add_u32 s2, s2, s4
	s_addc_u32 s3, s3, s5
	s_lshl_b32 s43, s26, 9
	s_load_b32 s15, s[2:3], 0x0
	s_waitcnt lgkmcnt(0)
	s_cmp_ge_i32 s43, s15
	s_cbranch_scc1 .LBB227_326
; %bb.1:
	s_clause 0x1
	s_load_b32 s27, s[0:1], 0x90
	s_load_b64 s[38:39], s[0:1], 0x30
	s_mov_b32 s28, s13
	s_mov_b32 s47, 0
	s_waitcnt lgkmcnt(0)
	s_abs_i32 s5, s27
	s_abs_i32 s2, s38
	s_delay_alu instid0(SALU_CYCLE_1) | instskip(SKIP_1) | instid1(VALU_DEP_1)
	v_cvt_f32_u32_e32 v1, s2
	s_sub_i32 s4, 0, s2
	v_rcp_iflag_f32_e32 v1, v1
	s_waitcnt_depctr 0xfff
	v_mul_f32_e32 v1, 0x4f7ffffe, v1
	s_delay_alu instid0(VALU_DEP_1) | instskip(NEXT) | instid1(VALU_DEP_1)
	v_cvt_u32_f32_e32 v1, v1
	v_readfirstlane_b32 s3, v1
	s_delay_alu instid0(VALU_DEP_1) | instskip(NEXT) | instid1(SALU_CYCLE_1)
	s_mul_i32 s4, s4, s3
	s_mul_hi_u32 s4, s3, s4
	s_delay_alu instid0(SALU_CYCLE_1) | instskip(SKIP_4) | instid1(SALU_CYCLE_1)
	s_add_i32 s3, s3, s4
	s_xor_b32 s4, s27, s38
	s_mul_hi_u32 s3, s5, s3
	s_ashr_i32 s4, s4, 31
	s_mul_i32 s6, s3, s2
	s_sub_i32 s5, s5, s6
	s_add_i32 s6, s3, 1
	s_sub_i32 s7, s5, s2
	s_cmp_ge_u32 s5, s2
	s_cselect_b32 s3, s6, s3
	s_cselect_b32 s5, s7, s5
	s_add_i32 s6, s3, 1
	s_cmp_ge_u32 s5, s2
	s_cselect_b32 s2, s6, s3
	s_delay_alu instid0(SALU_CYCLE_1) | instskip(NEXT) | instid1(SALU_CYCLE_1)
	s_xor_b32 s2, s2, s4
	s_sub_i32 s7, s2, s4
	s_load_b64 s[2:3], s[0:1], 0x50
	s_abs_i32 s4, s7
	s_delay_alu instid0(SALU_CYCLE_1) | instskip(SKIP_1) | instid1(VALU_DEP_1)
	v_cvt_f32_u32_e32 v1, s4
	s_sub_i32 s5, 0, s4
	v_rcp_iflag_f32_e32 v1, v1
	s_waitcnt_depctr 0xfff
	v_mul_f32_e32 v1, 0x4f7ffffe, v1
	s_delay_alu instid0(VALU_DEP_1) | instskip(NEXT) | instid1(VALU_DEP_1)
	v_cvt_u32_f32_e32 v1, v1
	v_readfirstlane_b32 s6, v1
	s_delay_alu instid0(VALU_DEP_1) | instskip(NEXT) | instid1(SALU_CYCLE_1)
	s_mul_i32 s5, s5, s6
	s_mul_hi_u32 s8, s6, s5
	s_abs_i32 s5, s13
	s_add_i32 s6, s6, s8
	s_waitcnt lgkmcnt(0)
	s_cmp_eq_u64 s[2:3], 0
	s_mul_hi_u32 s6, s5, s6
	s_cbranch_scc1 .LBB227_3
; %bb.2:
	s_ashr_i32 s29, s28, 31
	s_delay_alu instid0(SALU_CYCLE_1) | instskip(NEXT) | instid1(SALU_CYCLE_1)
	s_lshl_b64 s[8:9], s[28:29], 2
	s_add_u32 s2, s2, s8
	s_addc_u32 s3, s3, s9
	s_load_b32 s47, s[2:3], 0x0
.LBB227_3:
	s_load_b128 s[8:11], s[0:1], 0x58
	v_and_b32_e32 v1, 1, v0
	v_lshlrev_b32_e32 v59, 2, v0
	s_ashr_i32 s2, s28, 31
	s_ashr_i32 s3, s7, 31
	s_lshl_b32 s12, s28, 5
	s_mov_b32 s7, exec_lo
	v_cmpx_gt_u32_e32 16, v0
	s_cbranch_execz .LBB227_5
; %bb.4:
	s_load_b64 s[16:17], s[0:1], 0x18
	s_waitcnt lgkmcnt(0)
	s_mul_i32 s18, s14, s8
	v_lshlrev_b32_e32 v2, 3, v0
	s_ashr_i32 s19, s18, 31
	v_and_b32_e32 v4, 0xff8, v59
	s_lshl_b64 s[18:19], s[18:19], 2
	s_delay_alu instid0(VALU_DEP_1) | instskip(SKIP_3) | instid1(SALU_CYCLE_1)
	v_lshl_add_u32 v4, v1, 6, v4
	s_add_u32 s8, s16, s18
	s_addc_u32 s11, s17, s19
	s_ashr_i32 s13, s12, 31
	s_lshl_b64 s[16:17], s[12:13], 2
	s_delay_alu instid0(SALU_CYCLE_1)
	s_add_u32 s16, s8, s16
	s_addc_u32 s17, s11, s17
	global_load_b64 v[2:3], v2, s[16:17]
	s_waitcnt vmcnt(0)
	ds_store_b64 v4, v[2:3]
.LBB227_5:
	s_or_b32 exec_lo, exec_lo, s7
	s_load_b128 s[16:19], s[0:1], 0x78
	s_mul_i32 s7, s6, s4
	s_xor_b32 s2, s2, s3
	s_sub_i32 s3, s5, s7
	s_add_i32 s5, s6, 1
	s_sub_i32 s7, s3, s4
	s_cmp_ge_u32 s3, s4
	s_waitcnt lgkmcnt(0)
	s_cselect_b32 s5, s5, s6
	s_cselect_b32 s3, s7, s3
	s_add_i32 s6, s5, 1
	s_cmp_ge_u32 s3, s4
	s_load_b32 s4, s[0:1], 0x88
	s_cselect_b32 s3, s6, s5
	s_add_i32 s5, s15, -1
	s_xor_b32 s3, s3, s2
	s_mov_b32 s6, -1
	s_sub_i32 s45, s3, s2
	s_abs_i32 s3, s5
	s_waitcnt lgkmcnt(0)
	s_barrier
	s_abs_i32 s29, s19
	buffer_gl0_inv
	v_cvt_f32_u32_e32 v2, s29
	s_sub_i32 s2, 0, s29
                                        ; implicit-def: $sgpr42
	s_delay_alu instid0(VALU_DEP_1) | instskip(SKIP_2) | instid1(VALU_DEP_1)
	v_rcp_iflag_f32_e32 v2, v2
	s_waitcnt_depctr 0xfff
	v_mul_f32_e32 v2, 0x4f7ffffe, v2
	v_cvt_u32_f32_e32 v2, v2
	s_delay_alu instid0(VALU_DEP_1) | instskip(NEXT) | instid1(VALU_DEP_1)
	v_readfirstlane_b32 s33, v2
	s_mul_i32 s2, s2, s33
	s_delay_alu instid0(SALU_CYCLE_1) | instskip(NEXT) | instid1(SALU_CYCLE_1)
	s_mul_hi_u32 s2, s33, s2
	s_add_i32 s33, s33, s2
	s_cmp_lt_i32 s4, 0
	s_mul_hi_u32 s2, s3, s33
	s_cbranch_scc0 .LBB227_7
; %bb.6:
	s_mul_i32 s6, s16, s38
	s_delay_alu instid0(SALU_CYCLE_1) | instskip(NEXT) | instid1(SALU_CYCLE_1)
	s_add_i32 s6, s45, s6
	s_mul_i32 s6, s6, s4
	s_delay_alu instid0(SALU_CYCLE_1)
	s_sub_i32 s42, 1, s6
	s_mov_b32 s6, 0
.LBB227_7:
	s_load_b64 s[30:31], s[0:1], 0x38
	s_ashr_i32 s8, s5, 31
	s_and_not1_b32 vcc_lo, exec_lo, s6
	s_ashr_i32 s19, s19, 31
	s_cbranch_vccnz .LBB227_9
; %bb.8:
	s_mul_i32 s5, s27, s16
	s_delay_alu instid0(SALU_CYCLE_1) | instskip(NEXT) | instid1(SALU_CYCLE_1)
	s_add_i32 s5, s5, s28
	s_mul_i32 s4, s5, s4
	s_delay_alu instid0(SALU_CYCLE_1)
	s_add_i32 s42, s4, 1
.LBB227_9:
	s_clause 0x5
	s_load_b32 s11, s[0:1], 0x48
	s_load_b64 s[36:37], s[0:1], 0x28
	s_load_b128 s[20:23], s[0:1], 0x0
	s_load_b64 s[24:25], s[0:1], 0x10
	s_load_b32 s13, s[0:1], 0x98
	s_load_b128 s[4:7], s[0:1], 0x68
	s_mul_i32 s16, s2, s29
	s_xor_b32 s8, s8, s19
	s_sub_i32 s3, s3, s16
	s_add_i32 s38, s2, 1
	v_lshrrev_b32_e32 v57, 5, v0
	v_mov_b32_e32 v61, 0xff7fffff
	v_mbcnt_lo_u32_b32 v60, -1, 0
	s_mul_i32 s45, s45, s10
	s_delay_alu instid0(VALU_DEP_3)
	v_lshl_add_u32 v58, v57, 4, s43
	s_waitcnt lgkmcnt(0)
	s_mul_i32 s34, s14, s11
	s_sub_i32 s11, s3, s29
	s_ashr_i32 s35, s34, 31
	s_cmp_ge_u32 s3, s29
	s_cselect_b32 s2, s38, s2
	s_cselect_b32 s3, s11, s3
	s_add_i32 s11, s2, 1
	s_cmp_ge_u32 s3, s29
	s_cselect_b32 s2, s11, s2
	s_add_i32 s3, s15, 15
	s_lshl_b32 s16, s26, 5
	s_ashr_i32 s11, s3, 31
	v_or_b32_e32 v17, s16, v57
	s_lshr_b32 s11, s11, 28
	s_delay_alu instid0(SALU_CYCLE_1)
	s_add_i32 s3, s3, s11
	s_add_i32 s11, s16, 32
	s_ashr_i32 s44, s3, 4
	s_xor_b32 s3, s2, s8
	s_min_i32 s38, s11, s44
	v_ashrrev_i32_e32 v18, 31, v17
	v_cmp_gt_i32_e64 s2, s38, v17
	s_sub_i32 s46, s3, s8
	s_delay_alu instid0(VALU_DEP_1)
	s_and_saveexec_b32 s8, s2
	s_cbranch_execz .LBB227_147
; %bb.10:
	s_load_b64 s[0:1], s[0:1], 0x20
	s_sub_i32 s48, s46, s17
	s_ashr_i32 s3, s45, 31
	v_bfe_u32 v62, v0, 1, 4
	v_cmp_eq_u32_e32 vcc_lo, 0, v1
	v_dual_mov_b32 v66, 0xff7fffff :: v_dual_lshlrev_b32 v63, 1, v1
	v_dual_mov_b32 v61, 0xff7fffff :: v_dual_lshlrev_b32 v64, 6, v1
	s_delay_alu instid0(VALU_DEP_4) | instskip(SKIP_3) | instid1(VALU_DEP_4)
	v_lshlrev_b32_e32 v4, 2, v62
	v_dual_mov_b32 v70, v17 :: v_dual_lshlrev_b32 v7, 4, v62
	v_subrev_nc_u32_e32 v5, s15, v62
	v_lshl_add_u32 v65, v57, 4, s43
	v_lshl_or_b32 v4, v57, 6, v4
	s_mov_b32 s10, 0
	s_brev_b32 s11, 1
	v_add_nc_u32_e32 v67, 1, v5
	s_mov_b32 s51, s10
	v_add_nc_u32_e32 v68, 0xa0, v4
	s_waitcnt lgkmcnt(0)
	s_add_u32 s50, s0, s45
	s_addc_u32 s1, s1, s3
	s_abs_i32 s49, s18
	s_lshl_b64 s[40:41], s[34:35], 2
	v_cvt_f32_u32_e32 v2, s49
	s_sub_i32 s3, 0, s49
	v_cmp_neq_f32_e64 s0, s47, 0
	s_delay_alu instid0(VALU_DEP_2) | instskip(SKIP_3) | instid1(VALU_DEP_2)
	v_rcp_iflag_f32_e32 v2, v2
	s_waitcnt_depctr 0xfff
	v_dual_mov_b32 v20, 0 :: v_dual_mul_f32 v3, 0x4f7ffffe, v2
	v_lshlrev_b64 v[1:2], 2, v[17:18]
	v_cvt_u32_f32_e32 v3, v3
	s_delay_alu instid0(VALU_DEP_1) | instskip(SKIP_1) | instid1(VALU_DEP_1)
	v_mul_lo_u32 v6, s3, v3
	v_add_co_u32 v21, s3, s50, v7
	v_add_co_ci_u32_e64 v22, null, s1, 0, s3
	s_add_u32 s1, s30, s40
	s_addc_u32 s3, s31, s41
	v_add_co_u32 v23, s1, s1, v1
	s_delay_alu instid0(VALU_DEP_4) | instskip(SKIP_3) | instid1(VALU_DEP_2)
	v_mul_hi_u32 v4, v3, v6
	v_add_co_ci_u32_e64 v24, s1, s3, v2, s1
	s_mov_b32 s50, s9
	s_mov_b32 s41, 0x7f800001
	v_add_nc_u32_e32 v69, v3, v4
	s_branch .LBB227_13
.LBB227_11:                             ;   in Loop: Header=BB227_13 Depth=1
	s_or_b32 exec_lo, exec_lo, s40
.LBB227_12:                             ;   in Loop: Header=BB227_13 Depth=1
	s_delay_alu instid0(SALU_CYCLE_1) | instskip(SKIP_2) | instid1(VALU_DEP_1)
	s_or_b32 exec_lo, exec_lo, s3
	v_add_nc_u32_e32 v70, 4, v70
	v_add_co_u32 v23, s3, v23, 16
	v_add_co_ci_u32_e64 v24, s3, 0, v24, s3
	s_delay_alu instid0(VALU_DEP_3) | instskip(SKIP_2) | instid1(VALU_DEP_3)
	v_cmp_le_i32_e64 s1, s38, v70
	v_add_nc_u32_e32 v65, 64, v65
	v_add_nc_u32_e32 v68, 0x100, v68
	s_or_b32 s51, s1, s51
	s_delay_alu instid0(SALU_CYCLE_1)
	s_and_not1_b32 exec_lo, exec_lo, s51
	s_cbranch_execz .LBB227_146
.LBB227_13:                             ; =>This Inner Loop Header: Depth=1
	v_sub_nc_u32_e32 v1, 0, v65
	s_delay_alu instid0(VALU_DEP_1) | instskip(SKIP_1) | instid1(VALU_DEP_1)
	v_max_i32_e32 v1, v65, v1
	s_waitcnt lgkmcnt(0)
	v_mul_hi_u32 v2, v1, s33
	s_delay_alu instid0(VALU_DEP_1) | instskip(NEXT) | instid1(VALU_DEP_1)
	v_mul_lo_u32 v3, v2, s29
	v_sub_nc_u32_e32 v1, v1, v3
	v_add_nc_u32_e32 v3, 1, v2
	s_delay_alu instid0(VALU_DEP_2) | instskip(SKIP_1) | instid1(VALU_DEP_1)
	v_subrev_nc_u32_e32 v4, s29, v1
	v_cmp_le_u32_e64 s1, s29, v1
	v_cndmask_b32_e64 v2, v2, v3, s1
	s_delay_alu instid0(VALU_DEP_3) | instskip(SKIP_1) | instid1(VALU_DEP_3)
	v_cndmask_b32_e64 v1, v1, v4, s1
	v_ashrrev_i32_e32 v3, 31, v65
	v_add_nc_u32_e32 v4, 1, v2
	s_delay_alu instid0(VALU_DEP_3) | instskip(NEXT) | instid1(VALU_DEP_3)
	v_cmp_le_u32_e64 s1, s29, v1
	v_xor_b32_e32 v3, s19, v3
	s_delay_alu instid0(VALU_DEP_2) | instskip(NEXT) | instid1(VALU_DEP_1)
	v_cndmask_b32_e64 v1, v2, v4, s1
	v_xor_b32_e32 v1, v1, v3
	s_delay_alu instid0(VALU_DEP_1) | instskip(NEXT) | instid1(VALU_DEP_1)
	v_sub_nc_u32_e32 v1, v1, v3
	v_add_nc_u32_e32 v2, s42, v1
	v_cmp_ge_i32_e64 s3, s48, v1
	s_delay_alu instid0(VALU_DEP_2) | instskip(NEXT) | instid1(VALU_DEP_1)
	v_sub_nc_u32_e32 v3, 0, v2
	v_max_i32_e32 v3, v2, v3
	v_ashrrev_i32_e32 v2, 31, v2
	s_delay_alu instid0(VALU_DEP_2) | instskip(NEXT) | instid1(VALU_DEP_1)
	v_mul_hi_u32 v4, v3, v69
	v_mul_lo_u32 v4, v4, s49
	s_delay_alu instid0(VALU_DEP_1) | instskip(NEXT) | instid1(VALU_DEP_1)
	v_sub_nc_u32_e32 v3, v3, v4
	v_subrev_nc_u32_e32 v4, s49, v3
	v_cmp_le_u32_e64 s1, s49, v3
	s_delay_alu instid0(VALU_DEP_1) | instskip(NEXT) | instid1(VALU_DEP_1)
	v_cndmask_b32_e64 v3, v3, v4, s1
	v_subrev_nc_u32_e32 v4, s49, v3
	v_cmp_le_u32_e64 s1, s49, v3
	s_delay_alu instid0(VALU_DEP_1) | instskip(NEXT) | instid1(VALU_DEP_1)
	v_cndmask_b32_e64 v3, v3, v4, s1
	v_xor_b32_e32 v3, v3, v2
	s_delay_alu instid0(VALU_DEP_1) | instskip(NEXT) | instid1(VALU_DEP_1)
	v_sub_nc_u32_e32 v2, v3, v2
	v_cmp_ne_u32_e64 s1, 0, v2
	s_delay_alu instid0(VALU_DEP_1) | instskip(NEXT) | instid1(SALU_CYCLE_1)
	s_and_b32 s1, s1, s3
	s_and_b32 s40, vcc_lo, s1
	s_delay_alu instid0(SALU_CYCLE_1)
	s_and_saveexec_b32 s3, s40
	s_cbranch_execz .LBB227_15
; %bb.14:                               ;   in Loop: Header=BB227_13 Depth=1
	ds_store_b32 v68, v66
.LBB227_15:                             ;   in Loop: Header=BB227_13 Depth=1
	s_or_b32 exec_lo, exec_lo, s3
	s_xor_b32 s1, s1, -1
	s_delay_alu instid0(SALU_CYCLE_1)
	s_and_saveexec_b32 s3, s1
	s_cbranch_execz .LBB227_12
; %bb.16:                               ;   in Loop: Header=BB227_13 Depth=1
	global_load_b32 v3, v[23:24], off
	v_mov_b32_e32 v25, 0
	s_waitcnt vmcnt(0)
	v_mad_i64_i32 v[1:2], null, v3, s50, v[21:22]
	s_delay_alu instid0(VALU_DEP_1) | instskip(NEXT) | instid1(VALU_DEP_1)
	v_add_co_u32 v33, s1, v1, v63
	v_add_co_ci_u32_e64 v34, s1, 0, v2, s1
	global_load_u16 v19, v[33:34], off
	ds_load_b128 v[13:16], v64
	ds_load_b128 v[9:12], v64 offset:16
	ds_load_b128 v[5:8], v64 offset:32
	;; [unrolled: 1-line block ×3, first 2 shown]
	s_load_b32 s52, s[4:5], 0x0
	s_waitcnt vmcnt(0)
	v_dual_mov_b32 v26, 0 :: v_dual_and_b32 v27, 0xff, v19
	v_and_b32_e32 v29, 0xffff, v19
	s_delay_alu instid0(VALU_DEP_2) | instskip(NEXT) | instid1(VALU_DEP_3)
	v_cmp_ne_u16_e64 s1, 0, v27
	v_dual_mov_b32 v28, v26 :: v_dual_mov_b32 v27, v25
	s_delay_alu instid0(VALU_DEP_2)
	s_and_saveexec_b32 s40, s1
	s_cbranch_execz .LBB227_24
; %bb.17:                               ;   in Loop: Header=BB227_13 Depth=1
	v_bfrev_b32_e32 v27, 1
	v_dual_mov_b32 v28, 0 :: v_dual_and_b32 v19, 0xff, v29
	s_mov_b32 s53, exec_lo
	s_delay_alu instid0(VALU_DEP_1)
	v_cmpx_ne_u16_e32 0x80, v19
	s_cbranch_execz .LBB227_23
; %bb.18:                               ;   in Loop: Header=BB227_13 Depth=1
	v_mov_b32_e32 v27, 0x7f800001
	v_and_b32_e32 v30, 0x7f, v29
	v_mov_b32_e32 v28, 0
	s_mov_b32 s54, exec_lo
	s_delay_alu instid0(VALU_DEP_2)
	v_cmpx_ne_u32_e32 0x7f, v30
	s_cbranch_execz .LBB227_22
; %bb.19:                               ;   in Loop: Header=BB227_13 Depth=1
	v_and_b32_e32 v19, 7, v29
	v_lshrrev_b32_e32 v27, 3, v30
	s_mov_b32 s55, exec_lo
	v_cmpx_gt_u32_e32 8, v30
; %bb.20:                               ;   in Loop: Header=BB227_13 Depth=1
	s_delay_alu instid0(VALU_DEP_3) | instskip(NEXT) | instid1(VALU_DEP_1)
	v_clz_i32_u32_e32 v27, v19
	v_min_u32_e32 v27, 32, v27
	s_delay_alu instid0(VALU_DEP_1) | instskip(SKIP_1) | instid1(VALU_DEP_2)
	v_subrev_nc_u32_e32 v28, 28, v27
	v_sub_nc_u32_e32 v27, 29, v27
	v_lshlrev_b64 v[30:31], v28, v[19:20]
	s_delay_alu instid0(VALU_DEP_1)
	v_and_b32_e32 v19, 7, v30
; %bb.21:                               ;   in Loop: Header=BB227_13 Depth=1
	s_or_b32 exec_lo, exec_lo, s55
	v_lshlrev_b32_e32 v28, 24, v29
	s_delay_alu instid0(VALU_DEP_2) | instskip(SKIP_1) | instid1(VALU_DEP_3)
	v_lshlrev_b32_e32 v19, 20, v19
	v_lshl_add_u32 v27, v27, 23, 0x3c000000
	v_and_b32_e32 v28, 0x80000000, v28
	s_delay_alu instid0(VALU_DEP_1) | instskip(NEXT) | instid1(VALU_DEP_1)
	v_or3_b32 v19, v19, v28, v27
	v_dual_mov_b32 v28, v20 :: v_dual_mov_b32 v27, v19
.LBB227_22:                             ;   in Loop: Header=BB227_13 Depth=1
	s_or_b32 exec_lo, exec_lo, s54
.LBB227_23:                             ;   in Loop: Header=BB227_13 Depth=1
	s_delay_alu instid0(SALU_CYCLE_1)
	s_or_b32 exec_lo, exec_lo, s53
.LBB227_24:                             ;   in Loop: Header=BB227_13 Depth=1
	s_delay_alu instid0(SALU_CYCLE_1) | instskip(SKIP_2) | instid1(VALU_DEP_1)
	s_or_b32 exec_lo, exec_lo, s40
	v_lshrrev_b16 v19, 8, v29
	s_mov_b32 s53, exec_lo
	v_cmpx_ne_u16_e32 0, v19
	s_cbranch_execz .LBB227_32
; %bb.25:                               ;   in Loop: Header=BB227_13 Depth=1
	v_dual_mov_b32 v26, s11 :: v_dual_mov_b32 v25, s10
	s_mov_b32 s54, exec_lo
	v_cmpx_ne_u16_e32 0x80, v19
	s_cbranch_execz .LBB227_31
; %bb.26:                               ;   in Loop: Header=BB227_13 Depth=1
	s_mov_b32 s40, s10
	v_and_b32_e32 v19, 0xffff, v19
	v_dual_mov_b32 v25, s40 :: v_dual_mov_b32 v26, s41
	s_mov_b32 s40, exec_lo
	s_delay_alu instid0(VALU_DEP_2) | instskip(NEXT) | instid1(VALU_DEP_1)
	v_and_b32_e32 v30, 0x7f, v19
	v_cmpx_ne_u32_e32 0x7f, v30
	s_cbranch_execz .LBB227_30
; %bb.27:                               ;   in Loop: Header=BB227_13 Depth=1
	v_and_b32_e32 v19, 7, v19
	v_lshrrev_b32_e32 v25, 3, v30
	s_mov_b32 s55, exec_lo
	v_cmpx_gt_u32_e32 8, v30
; %bb.28:                               ;   in Loop: Header=BB227_13 Depth=1
	s_delay_alu instid0(VALU_DEP_3) | instskip(NEXT) | instid1(VALU_DEP_1)
	v_clz_i32_u32_e32 v25, v19
	v_min_u32_e32 v25, 32, v25
	s_delay_alu instid0(VALU_DEP_1) | instskip(SKIP_1) | instid1(VALU_DEP_2)
	v_subrev_nc_u32_e32 v26, 28, v25
	v_sub_nc_u32_e32 v25, 29, v25
	v_lshlrev_b64 v[30:31], v26, v[19:20]
	s_delay_alu instid0(VALU_DEP_1)
	v_and_b32_e32 v19, 7, v30
; %bb.29:                               ;   in Loop: Header=BB227_13 Depth=1
	s_or_b32 exec_lo, exec_lo, s55
	v_lshlrev_b32_e32 v26, 16, v29
	s_delay_alu instid0(VALU_DEP_2) | instskip(SKIP_1) | instid1(VALU_DEP_3)
	v_lshlrev_b32_e32 v19, 20, v19
	v_lshl_add_u32 v25, v25, 23, 0x3c000000
	v_and_b32_e32 v26, 0x80000000, v26
	s_delay_alu instid0(VALU_DEP_1)
	v_or3_b32 v26, v19, v26, v25
	v_mov_b32_e32 v25, v20
.LBB227_30:                             ;   in Loop: Header=BB227_13 Depth=1
	s_or_b32 exec_lo, exec_lo, s40
.LBB227_31:                             ;   in Loop: Header=BB227_13 Depth=1
	s_delay_alu instid0(SALU_CYCLE_1)
	s_or_b32 exec_lo, exec_lo, s54
.LBB227_32:                             ;   in Loop: Header=BB227_13 Depth=1
	s_delay_alu instid0(SALU_CYCLE_1)
	s_or_b32 exec_lo, exec_lo, s53
	global_load_u16 v19, v[33:34], off offset:4
	v_mov_b32_e32 v29, 0
	s_waitcnt vmcnt(0)
	v_dual_mov_b32 v30, 0 :: v_dual_and_b32 v31, 0xff, v19
	v_and_b32_e32 v35, 0xffff, v19
	s_delay_alu instid0(VALU_DEP_2) | instskip(NEXT) | instid1(VALU_DEP_3)
	v_cmp_ne_u16_e64 s1, 0, v31
	v_dual_mov_b32 v32, v30 :: v_dual_mov_b32 v31, v29
	s_delay_alu instid0(VALU_DEP_2)
	s_and_saveexec_b32 s40, s1
	s_cbranch_execz .LBB227_40
; %bb.33:                               ;   in Loop: Header=BB227_13 Depth=1
	v_bfrev_b32_e32 v31, 1
	v_dual_mov_b32 v32, 0 :: v_dual_and_b32 v19, 0xff, v35
	s_mov_b32 s53, exec_lo
	s_delay_alu instid0(VALU_DEP_1)
	v_cmpx_ne_u16_e32 0x80, v19
	s_cbranch_execz .LBB227_39
; %bb.34:                               ;   in Loop: Header=BB227_13 Depth=1
	v_mov_b32_e32 v31, 0x7f800001
	v_and_b32_e32 v36, 0x7f, v35
	v_mov_b32_e32 v32, 0
	s_mov_b32 s54, exec_lo
	s_delay_alu instid0(VALU_DEP_2)
	v_cmpx_ne_u32_e32 0x7f, v36
	s_cbranch_execz .LBB227_38
; %bb.35:                               ;   in Loop: Header=BB227_13 Depth=1
	v_and_b32_e32 v19, 7, v35
	v_lshrrev_b32_e32 v31, 3, v36
	s_mov_b32 s55, exec_lo
	v_cmpx_gt_u32_e32 8, v36
; %bb.36:                               ;   in Loop: Header=BB227_13 Depth=1
	s_delay_alu instid0(VALU_DEP_3) | instskip(NEXT) | instid1(VALU_DEP_1)
	v_clz_i32_u32_e32 v31, v19
	v_min_u32_e32 v31, 32, v31
	s_delay_alu instid0(VALU_DEP_1) | instskip(SKIP_1) | instid1(VALU_DEP_2)
	v_subrev_nc_u32_e32 v32, 28, v31
	v_sub_nc_u32_e32 v31, 29, v31
	v_lshlrev_b64 v[36:37], v32, v[19:20]
	s_delay_alu instid0(VALU_DEP_1)
	v_and_b32_e32 v19, 7, v36
; %bb.37:                               ;   in Loop: Header=BB227_13 Depth=1
	s_or_b32 exec_lo, exec_lo, s55
	v_lshlrev_b32_e32 v32, 24, v35
	s_delay_alu instid0(VALU_DEP_2) | instskip(SKIP_1) | instid1(VALU_DEP_3)
	v_lshlrev_b32_e32 v19, 20, v19
	v_lshl_add_u32 v31, v31, 23, 0x3c000000
	v_and_b32_e32 v32, 0x80000000, v32
	s_delay_alu instid0(VALU_DEP_1) | instskip(NEXT) | instid1(VALU_DEP_1)
	v_or3_b32 v19, v19, v32, v31
	v_dual_mov_b32 v32, v20 :: v_dual_mov_b32 v31, v19
.LBB227_38:                             ;   in Loop: Header=BB227_13 Depth=1
	s_or_b32 exec_lo, exec_lo, s54
.LBB227_39:                             ;   in Loop: Header=BB227_13 Depth=1
	s_delay_alu instid0(SALU_CYCLE_1)
	s_or_b32 exec_lo, exec_lo, s53
.LBB227_40:                             ;   in Loop: Header=BB227_13 Depth=1
	s_delay_alu instid0(SALU_CYCLE_1) | instskip(SKIP_2) | instid1(VALU_DEP_1)
	s_or_b32 exec_lo, exec_lo, s40
	v_lshrrev_b16 v19, 8, v35
	s_mov_b32 s53, exec_lo
	v_cmpx_ne_u16_e32 0, v19
	s_cbranch_execz .LBB227_48
; %bb.41:                               ;   in Loop: Header=BB227_13 Depth=1
	v_dual_mov_b32 v30, s11 :: v_dual_mov_b32 v29, s10
	s_mov_b32 s54, exec_lo
	v_cmpx_ne_u16_e32 0x80, v19
	s_cbranch_execz .LBB227_47
; %bb.42:                               ;   in Loop: Header=BB227_13 Depth=1
	s_mov_b32 s40, s10
	v_and_b32_e32 v19, 0xffff, v19
	v_dual_mov_b32 v29, s40 :: v_dual_mov_b32 v30, s41
	s_mov_b32 s40, exec_lo
	s_delay_alu instid0(VALU_DEP_2) | instskip(NEXT) | instid1(VALU_DEP_1)
	v_and_b32_e32 v36, 0x7f, v19
	v_cmpx_ne_u32_e32 0x7f, v36
	s_cbranch_execz .LBB227_46
; %bb.43:                               ;   in Loop: Header=BB227_13 Depth=1
	v_and_b32_e32 v19, 7, v19
	v_lshrrev_b32_e32 v29, 3, v36
	s_mov_b32 s55, exec_lo
	v_cmpx_gt_u32_e32 8, v36
; %bb.44:                               ;   in Loop: Header=BB227_13 Depth=1
	s_delay_alu instid0(VALU_DEP_3) | instskip(NEXT) | instid1(VALU_DEP_1)
	v_clz_i32_u32_e32 v29, v19
	v_min_u32_e32 v29, 32, v29
	s_delay_alu instid0(VALU_DEP_1) | instskip(SKIP_1) | instid1(VALU_DEP_2)
	v_subrev_nc_u32_e32 v30, 28, v29
	v_sub_nc_u32_e32 v29, 29, v29
	v_lshlrev_b64 v[36:37], v30, v[19:20]
	s_delay_alu instid0(VALU_DEP_1)
	v_and_b32_e32 v19, 7, v36
; %bb.45:                               ;   in Loop: Header=BB227_13 Depth=1
	s_or_b32 exec_lo, exec_lo, s55
	v_lshlrev_b32_e32 v30, 16, v35
	s_delay_alu instid0(VALU_DEP_2) | instskip(SKIP_1) | instid1(VALU_DEP_3)
	v_lshlrev_b32_e32 v19, 20, v19
	v_lshl_add_u32 v29, v29, 23, 0x3c000000
	v_and_b32_e32 v30, 0x80000000, v30
	s_delay_alu instid0(VALU_DEP_1)
	v_or3_b32 v30, v19, v30, v29
	v_mov_b32_e32 v29, v20
.LBB227_46:                             ;   in Loop: Header=BB227_13 Depth=1
	s_or_b32 exec_lo, exec_lo, s40
.LBB227_47:                             ;   in Loop: Header=BB227_13 Depth=1
	s_delay_alu instid0(SALU_CYCLE_1)
	s_or_b32 exec_lo, exec_lo, s54
.LBB227_48:                             ;   in Loop: Header=BB227_13 Depth=1
	s_delay_alu instid0(SALU_CYCLE_1)
	s_or_b32 exec_lo, exec_lo, s53
	global_load_u16 v19, v[33:34], off offset:8
	v_mov_b32_e32 v35, 0
	s_waitcnt vmcnt(0)
	v_dual_mov_b32 v36, 0 :: v_dual_and_b32 v37, 0xff, v19
	v_and_b32_e32 v39, 0xffff, v19
	s_delay_alu instid0(VALU_DEP_2) | instskip(NEXT) | instid1(VALU_DEP_3)
	v_cmp_ne_u16_e64 s1, 0, v37
	v_dual_mov_b32 v38, v36 :: v_dual_mov_b32 v37, v35
	s_delay_alu instid0(VALU_DEP_2)
	s_and_saveexec_b32 s40, s1
	s_cbranch_execz .LBB227_56
; %bb.49:                               ;   in Loop: Header=BB227_13 Depth=1
	v_bfrev_b32_e32 v37, 1
	v_dual_mov_b32 v38, 0 :: v_dual_and_b32 v19, 0xff, v39
	s_mov_b32 s53, exec_lo
	s_delay_alu instid0(VALU_DEP_1)
	v_cmpx_ne_u16_e32 0x80, v19
	s_cbranch_execz .LBB227_55
; %bb.50:                               ;   in Loop: Header=BB227_13 Depth=1
	v_mov_b32_e32 v37, 0x7f800001
	v_and_b32_e32 v40, 0x7f, v39
	v_mov_b32_e32 v38, 0
	s_mov_b32 s54, exec_lo
	s_delay_alu instid0(VALU_DEP_2)
	v_cmpx_ne_u32_e32 0x7f, v40
	s_cbranch_execz .LBB227_54
; %bb.51:                               ;   in Loop: Header=BB227_13 Depth=1
	v_and_b32_e32 v19, 7, v39
	v_lshrrev_b32_e32 v37, 3, v40
	s_mov_b32 s55, exec_lo
	v_cmpx_gt_u32_e32 8, v40
; %bb.52:                               ;   in Loop: Header=BB227_13 Depth=1
	s_delay_alu instid0(VALU_DEP_3) | instskip(NEXT) | instid1(VALU_DEP_1)
	v_clz_i32_u32_e32 v37, v19
	v_min_u32_e32 v37, 32, v37
	s_delay_alu instid0(VALU_DEP_1) | instskip(SKIP_1) | instid1(VALU_DEP_2)
	v_subrev_nc_u32_e32 v38, 28, v37
	v_sub_nc_u32_e32 v37, 29, v37
	v_lshlrev_b64 v[40:41], v38, v[19:20]
	s_delay_alu instid0(VALU_DEP_1)
	v_and_b32_e32 v19, 7, v40
; %bb.53:                               ;   in Loop: Header=BB227_13 Depth=1
	s_or_b32 exec_lo, exec_lo, s55
	v_lshlrev_b32_e32 v38, 24, v39
	s_delay_alu instid0(VALU_DEP_2) | instskip(SKIP_1) | instid1(VALU_DEP_3)
	v_lshlrev_b32_e32 v19, 20, v19
	v_lshl_add_u32 v37, v37, 23, 0x3c000000
	v_and_b32_e32 v38, 0x80000000, v38
	s_delay_alu instid0(VALU_DEP_1) | instskip(NEXT) | instid1(VALU_DEP_1)
	v_or3_b32 v19, v19, v38, v37
	v_dual_mov_b32 v38, v20 :: v_dual_mov_b32 v37, v19
.LBB227_54:                             ;   in Loop: Header=BB227_13 Depth=1
	s_or_b32 exec_lo, exec_lo, s54
.LBB227_55:                             ;   in Loop: Header=BB227_13 Depth=1
	s_delay_alu instid0(SALU_CYCLE_1)
	s_or_b32 exec_lo, exec_lo, s53
.LBB227_56:                             ;   in Loop: Header=BB227_13 Depth=1
	s_delay_alu instid0(SALU_CYCLE_1) | instskip(SKIP_2) | instid1(VALU_DEP_1)
	s_or_b32 exec_lo, exec_lo, s40
	v_lshrrev_b16 v19, 8, v39
	s_mov_b32 s53, exec_lo
	v_cmpx_ne_u16_e32 0, v19
	s_cbranch_execz .LBB227_64
; %bb.57:                               ;   in Loop: Header=BB227_13 Depth=1
	v_dual_mov_b32 v36, s11 :: v_dual_mov_b32 v35, s10
	s_mov_b32 s54, exec_lo
	v_cmpx_ne_u16_e32 0x80, v19
	s_cbranch_execz .LBB227_63
; %bb.58:                               ;   in Loop: Header=BB227_13 Depth=1
	s_mov_b32 s40, s10
	v_and_b32_e32 v19, 0xffff, v19
	v_dual_mov_b32 v35, s40 :: v_dual_mov_b32 v36, s41
	s_mov_b32 s40, exec_lo
	s_delay_alu instid0(VALU_DEP_2) | instskip(NEXT) | instid1(VALU_DEP_1)
	v_and_b32_e32 v40, 0x7f, v19
	v_cmpx_ne_u32_e32 0x7f, v40
	s_cbranch_execz .LBB227_62
; %bb.59:                               ;   in Loop: Header=BB227_13 Depth=1
	v_and_b32_e32 v19, 7, v19
	v_lshrrev_b32_e32 v35, 3, v40
	s_mov_b32 s55, exec_lo
	v_cmpx_gt_u32_e32 8, v40
; %bb.60:                               ;   in Loop: Header=BB227_13 Depth=1
	s_delay_alu instid0(VALU_DEP_3) | instskip(NEXT) | instid1(VALU_DEP_1)
	v_clz_i32_u32_e32 v35, v19
	v_min_u32_e32 v35, 32, v35
	s_delay_alu instid0(VALU_DEP_1) | instskip(SKIP_1) | instid1(VALU_DEP_2)
	v_subrev_nc_u32_e32 v36, 28, v35
	v_sub_nc_u32_e32 v35, 29, v35
	v_lshlrev_b64 v[40:41], v36, v[19:20]
	s_delay_alu instid0(VALU_DEP_1)
	v_and_b32_e32 v19, 7, v40
; %bb.61:                               ;   in Loop: Header=BB227_13 Depth=1
	s_or_b32 exec_lo, exec_lo, s55
	v_lshlrev_b32_e32 v36, 16, v39
	s_delay_alu instid0(VALU_DEP_2) | instskip(SKIP_1) | instid1(VALU_DEP_3)
	v_lshlrev_b32_e32 v19, 20, v19
	v_lshl_add_u32 v35, v35, 23, 0x3c000000
	v_and_b32_e32 v36, 0x80000000, v36
	s_delay_alu instid0(VALU_DEP_1)
	v_or3_b32 v36, v19, v36, v35
	v_mov_b32_e32 v35, v20
.LBB227_62:                             ;   in Loop: Header=BB227_13 Depth=1
	s_or_b32 exec_lo, exec_lo, s40
.LBB227_63:                             ;   in Loop: Header=BB227_13 Depth=1
	s_delay_alu instid0(SALU_CYCLE_1)
	s_or_b32 exec_lo, exec_lo, s54
.LBB227_64:                             ;   in Loop: Header=BB227_13 Depth=1
	s_delay_alu instid0(SALU_CYCLE_1)
	s_or_b32 exec_lo, exec_lo, s53
	global_load_u16 v19, v[33:34], off offset:12
	v_mov_b32_e32 v39, 0
	s_waitcnt vmcnt(0)
	v_dual_mov_b32 v40, 0 :: v_dual_and_b32 v41, 0xff, v19
	v_and_b32_e32 v43, 0xffff, v19
	s_delay_alu instid0(VALU_DEP_2) | instskip(NEXT) | instid1(VALU_DEP_3)
	v_cmp_ne_u16_e64 s1, 0, v41
	v_dual_mov_b32 v42, v40 :: v_dual_mov_b32 v41, v39
	s_delay_alu instid0(VALU_DEP_2)
	s_and_saveexec_b32 s40, s1
	s_cbranch_execz .LBB227_72
; %bb.65:                               ;   in Loop: Header=BB227_13 Depth=1
	v_bfrev_b32_e32 v41, 1
	v_dual_mov_b32 v42, 0 :: v_dual_and_b32 v19, 0xff, v43
	s_mov_b32 s53, exec_lo
	s_delay_alu instid0(VALU_DEP_1)
	v_cmpx_ne_u16_e32 0x80, v19
	s_cbranch_execz .LBB227_71
; %bb.66:                               ;   in Loop: Header=BB227_13 Depth=1
	v_mov_b32_e32 v41, 0x7f800001
	v_and_b32_e32 v44, 0x7f, v43
	v_mov_b32_e32 v42, 0
	s_mov_b32 s54, exec_lo
	s_delay_alu instid0(VALU_DEP_2)
	v_cmpx_ne_u32_e32 0x7f, v44
	s_cbranch_execz .LBB227_70
; %bb.67:                               ;   in Loop: Header=BB227_13 Depth=1
	v_and_b32_e32 v19, 7, v43
	v_lshrrev_b32_e32 v41, 3, v44
	s_mov_b32 s55, exec_lo
	v_cmpx_gt_u32_e32 8, v44
; %bb.68:                               ;   in Loop: Header=BB227_13 Depth=1
	s_delay_alu instid0(VALU_DEP_3) | instskip(NEXT) | instid1(VALU_DEP_1)
	v_clz_i32_u32_e32 v41, v19
	v_min_u32_e32 v41, 32, v41
	s_delay_alu instid0(VALU_DEP_1) | instskip(SKIP_1) | instid1(VALU_DEP_2)
	v_subrev_nc_u32_e32 v42, 28, v41
	v_sub_nc_u32_e32 v41, 29, v41
	v_lshlrev_b64 v[44:45], v42, v[19:20]
	s_delay_alu instid0(VALU_DEP_1)
	v_and_b32_e32 v19, 7, v44
; %bb.69:                               ;   in Loop: Header=BB227_13 Depth=1
	s_or_b32 exec_lo, exec_lo, s55
	v_lshlrev_b32_e32 v42, 24, v43
	s_delay_alu instid0(VALU_DEP_2) | instskip(SKIP_1) | instid1(VALU_DEP_3)
	v_lshlrev_b32_e32 v19, 20, v19
	v_lshl_add_u32 v41, v41, 23, 0x3c000000
	v_and_b32_e32 v42, 0x80000000, v42
	s_delay_alu instid0(VALU_DEP_1) | instskip(NEXT) | instid1(VALU_DEP_1)
	v_or3_b32 v19, v19, v42, v41
	v_dual_mov_b32 v42, v20 :: v_dual_mov_b32 v41, v19
.LBB227_70:                             ;   in Loop: Header=BB227_13 Depth=1
	s_or_b32 exec_lo, exec_lo, s54
.LBB227_71:                             ;   in Loop: Header=BB227_13 Depth=1
	s_delay_alu instid0(SALU_CYCLE_1)
	s_or_b32 exec_lo, exec_lo, s53
.LBB227_72:                             ;   in Loop: Header=BB227_13 Depth=1
	s_delay_alu instid0(SALU_CYCLE_1) | instskip(SKIP_2) | instid1(VALU_DEP_1)
	s_or_b32 exec_lo, exec_lo, s40
	v_lshrrev_b16 v19, 8, v43
	s_mov_b32 s53, exec_lo
	v_cmpx_ne_u16_e32 0, v19
	s_cbranch_execz .LBB227_80
; %bb.73:                               ;   in Loop: Header=BB227_13 Depth=1
	v_dual_mov_b32 v40, s11 :: v_dual_mov_b32 v39, s10
	s_mov_b32 s54, exec_lo
	v_cmpx_ne_u16_e32 0x80, v19
	s_cbranch_execz .LBB227_79
; %bb.74:                               ;   in Loop: Header=BB227_13 Depth=1
	s_mov_b32 s40, s10
	v_and_b32_e32 v19, 0xffff, v19
	v_dual_mov_b32 v39, s40 :: v_dual_mov_b32 v40, s41
	s_mov_b32 s40, exec_lo
	s_delay_alu instid0(VALU_DEP_2) | instskip(NEXT) | instid1(VALU_DEP_1)
	v_and_b32_e32 v44, 0x7f, v19
	v_cmpx_ne_u32_e32 0x7f, v44
	s_cbranch_execz .LBB227_78
; %bb.75:                               ;   in Loop: Header=BB227_13 Depth=1
	v_and_b32_e32 v19, 7, v19
	v_lshrrev_b32_e32 v39, 3, v44
	s_mov_b32 s55, exec_lo
	v_cmpx_gt_u32_e32 8, v44
; %bb.76:                               ;   in Loop: Header=BB227_13 Depth=1
	s_delay_alu instid0(VALU_DEP_3) | instskip(NEXT) | instid1(VALU_DEP_1)
	v_clz_i32_u32_e32 v39, v19
	v_min_u32_e32 v39, 32, v39
	s_delay_alu instid0(VALU_DEP_1) | instskip(SKIP_1) | instid1(VALU_DEP_2)
	v_subrev_nc_u32_e32 v40, 28, v39
	v_sub_nc_u32_e32 v39, 29, v39
	v_lshlrev_b64 v[44:45], v40, v[19:20]
	s_delay_alu instid0(VALU_DEP_1)
	v_and_b32_e32 v19, 7, v44
; %bb.77:                               ;   in Loop: Header=BB227_13 Depth=1
	s_or_b32 exec_lo, exec_lo, s55
	v_lshlrev_b32_e32 v40, 16, v43
	s_delay_alu instid0(VALU_DEP_2) | instskip(SKIP_1) | instid1(VALU_DEP_3)
	v_lshlrev_b32_e32 v19, 20, v19
	v_lshl_add_u32 v39, v39, 23, 0x3c000000
	v_and_b32_e32 v40, 0x80000000, v40
	s_delay_alu instid0(VALU_DEP_1)
	v_or3_b32 v40, v19, v40, v39
	v_mov_b32_e32 v39, v20
.LBB227_78:                             ;   in Loop: Header=BB227_13 Depth=1
	s_or_b32 exec_lo, exec_lo, s40
.LBB227_79:                             ;   in Loop: Header=BB227_13 Depth=1
	s_delay_alu instid0(SALU_CYCLE_1)
	s_or_b32 exec_lo, exec_lo, s54
.LBB227_80:                             ;   in Loop: Header=BB227_13 Depth=1
	s_delay_alu instid0(SALU_CYCLE_1)
	s_or_b32 exec_lo, exec_lo, s53
	global_load_u16 v19, v[33:34], off offset:256
	v_mov_b32_e32 v43, 0
	s_waitcnt vmcnt(0)
	v_dual_mov_b32 v44, 0 :: v_dual_and_b32 v45, 0xff, v19
	v_and_b32_e32 v47, 0xffff, v19
	s_delay_alu instid0(VALU_DEP_2) | instskip(NEXT) | instid1(VALU_DEP_3)
	v_cmp_ne_u16_e64 s1, 0, v45
	v_dual_mov_b32 v46, v44 :: v_dual_mov_b32 v45, v43
	s_delay_alu instid0(VALU_DEP_2)
	s_and_saveexec_b32 s40, s1
	s_cbranch_execz .LBB227_88
; %bb.81:                               ;   in Loop: Header=BB227_13 Depth=1
	v_bfrev_b32_e32 v45, 1
	v_dual_mov_b32 v46, 0 :: v_dual_and_b32 v19, 0xff, v47
	s_mov_b32 s53, exec_lo
	s_delay_alu instid0(VALU_DEP_1)
	v_cmpx_ne_u16_e32 0x80, v19
	s_cbranch_execz .LBB227_87
; %bb.82:                               ;   in Loop: Header=BB227_13 Depth=1
	v_mov_b32_e32 v45, 0x7f800001
	v_and_b32_e32 v48, 0x7f, v47
	v_mov_b32_e32 v46, 0
	s_mov_b32 s54, exec_lo
	s_delay_alu instid0(VALU_DEP_2)
	v_cmpx_ne_u32_e32 0x7f, v48
	s_cbranch_execz .LBB227_86
; %bb.83:                               ;   in Loop: Header=BB227_13 Depth=1
	v_and_b32_e32 v19, 7, v47
	v_lshrrev_b32_e32 v45, 3, v48
	s_mov_b32 s55, exec_lo
	v_cmpx_gt_u32_e32 8, v48
; %bb.84:                               ;   in Loop: Header=BB227_13 Depth=1
	s_delay_alu instid0(VALU_DEP_3) | instskip(NEXT) | instid1(VALU_DEP_1)
	v_clz_i32_u32_e32 v45, v19
	v_min_u32_e32 v45, 32, v45
	s_delay_alu instid0(VALU_DEP_1) | instskip(SKIP_1) | instid1(VALU_DEP_2)
	v_subrev_nc_u32_e32 v46, 28, v45
	v_sub_nc_u32_e32 v45, 29, v45
	v_lshlrev_b64 v[48:49], v46, v[19:20]
	s_delay_alu instid0(VALU_DEP_1)
	v_and_b32_e32 v19, 7, v48
; %bb.85:                               ;   in Loop: Header=BB227_13 Depth=1
	s_or_b32 exec_lo, exec_lo, s55
	v_lshlrev_b32_e32 v46, 24, v47
	s_delay_alu instid0(VALU_DEP_2) | instskip(SKIP_1) | instid1(VALU_DEP_3)
	v_lshlrev_b32_e32 v19, 20, v19
	v_lshl_add_u32 v45, v45, 23, 0x3c000000
	v_and_b32_e32 v46, 0x80000000, v46
	s_delay_alu instid0(VALU_DEP_1) | instskip(NEXT) | instid1(VALU_DEP_1)
	v_or3_b32 v19, v19, v46, v45
	v_dual_mov_b32 v46, v20 :: v_dual_mov_b32 v45, v19
.LBB227_86:                             ;   in Loop: Header=BB227_13 Depth=1
	s_or_b32 exec_lo, exec_lo, s54
.LBB227_87:                             ;   in Loop: Header=BB227_13 Depth=1
	s_delay_alu instid0(SALU_CYCLE_1)
	s_or_b32 exec_lo, exec_lo, s53
.LBB227_88:                             ;   in Loop: Header=BB227_13 Depth=1
	s_delay_alu instid0(SALU_CYCLE_1) | instskip(SKIP_2) | instid1(VALU_DEP_1)
	s_or_b32 exec_lo, exec_lo, s40
	v_lshrrev_b16 v19, 8, v47
	s_mov_b32 s53, exec_lo
	v_cmpx_ne_u16_e32 0, v19
	s_cbranch_execz .LBB227_96
; %bb.89:                               ;   in Loop: Header=BB227_13 Depth=1
	v_dual_mov_b32 v44, s11 :: v_dual_mov_b32 v43, s10
	s_mov_b32 s54, exec_lo
	v_cmpx_ne_u16_e32 0x80, v19
	s_cbranch_execz .LBB227_95
; %bb.90:                               ;   in Loop: Header=BB227_13 Depth=1
	s_mov_b32 s40, s10
	v_dual_mov_b32 v44, s41 :: v_dual_and_b32 v19, 0xffff, v19
	v_mov_b32_e32 v43, s40
	s_mov_b32 s40, exec_lo
	s_delay_alu instid0(VALU_DEP_2) | instskip(NEXT) | instid1(VALU_DEP_1)
	v_and_b32_e32 v48, 0x7f, v19
	v_cmpx_ne_u32_e32 0x7f, v48
	s_cbranch_execz .LBB227_94
; %bb.91:                               ;   in Loop: Header=BB227_13 Depth=1
	v_and_b32_e32 v19, 7, v19
	v_lshrrev_b32_e32 v43, 3, v48
	s_mov_b32 s55, exec_lo
	v_cmpx_gt_u32_e32 8, v48
; %bb.92:                               ;   in Loop: Header=BB227_13 Depth=1
	s_delay_alu instid0(VALU_DEP_3) | instskip(NEXT) | instid1(VALU_DEP_1)
	v_clz_i32_u32_e32 v43, v19
	v_min_u32_e32 v43, 32, v43
	s_delay_alu instid0(VALU_DEP_1) | instskip(SKIP_1) | instid1(VALU_DEP_2)
	v_subrev_nc_u32_e32 v44, 28, v43
	v_sub_nc_u32_e32 v43, 29, v43
	v_lshlrev_b64 v[48:49], v44, v[19:20]
	s_delay_alu instid0(VALU_DEP_1)
	v_and_b32_e32 v19, 7, v48
; %bb.93:                               ;   in Loop: Header=BB227_13 Depth=1
	s_or_b32 exec_lo, exec_lo, s55
	v_lshlrev_b32_e32 v44, 16, v47
	s_delay_alu instid0(VALU_DEP_2) | instskip(SKIP_1) | instid1(VALU_DEP_3)
	v_lshlrev_b32_e32 v19, 20, v19
	v_lshl_add_u32 v43, v43, 23, 0x3c000000
	v_and_b32_e32 v44, 0x80000000, v44
	s_delay_alu instid0(VALU_DEP_1)
	v_or3_b32 v44, v19, v44, v43
	v_mov_b32_e32 v43, v20
.LBB227_94:                             ;   in Loop: Header=BB227_13 Depth=1
	s_or_b32 exec_lo, exec_lo, s40
.LBB227_95:                             ;   in Loop: Header=BB227_13 Depth=1
	s_delay_alu instid0(SALU_CYCLE_1)
	s_or_b32 exec_lo, exec_lo, s54
.LBB227_96:                             ;   in Loop: Header=BB227_13 Depth=1
	s_delay_alu instid0(SALU_CYCLE_1)
	s_or_b32 exec_lo, exec_lo, s53
	global_load_u16 v19, v[33:34], off offset:260
	v_mov_b32_e32 v47, 0
	s_waitcnt vmcnt(0)
	v_dual_mov_b32 v48, 0 :: v_dual_and_b32 v49, 0xff, v19
	v_and_b32_e32 v51, 0xffff, v19
	s_delay_alu instid0(VALU_DEP_2) | instskip(NEXT) | instid1(VALU_DEP_3)
	v_cmp_ne_u16_e64 s1, 0, v49
	v_dual_mov_b32 v50, v48 :: v_dual_mov_b32 v49, v47
	s_delay_alu instid0(VALU_DEP_2)
	s_and_saveexec_b32 s40, s1
	s_cbranch_execz .LBB227_104
; %bb.97:                               ;   in Loop: Header=BB227_13 Depth=1
	v_bfrev_b32_e32 v49, 1
	v_dual_mov_b32 v50, 0 :: v_dual_and_b32 v19, 0xff, v51
	s_mov_b32 s53, exec_lo
	s_delay_alu instid0(VALU_DEP_1)
	v_cmpx_ne_u16_e32 0x80, v19
	s_cbranch_execz .LBB227_103
; %bb.98:                               ;   in Loop: Header=BB227_13 Depth=1
	v_mov_b32_e32 v49, 0x7f800001
	v_and_b32_e32 v52, 0x7f, v51
	v_mov_b32_e32 v50, 0
	s_mov_b32 s54, exec_lo
	s_delay_alu instid0(VALU_DEP_2)
	v_cmpx_ne_u32_e32 0x7f, v52
	s_cbranch_execz .LBB227_102
; %bb.99:                               ;   in Loop: Header=BB227_13 Depth=1
	v_and_b32_e32 v19, 7, v51
	v_lshrrev_b32_e32 v49, 3, v52
	s_mov_b32 s55, exec_lo
	v_cmpx_gt_u32_e32 8, v52
; %bb.100:                              ;   in Loop: Header=BB227_13 Depth=1
	s_delay_alu instid0(VALU_DEP_3) | instskip(NEXT) | instid1(VALU_DEP_1)
	v_clz_i32_u32_e32 v49, v19
	v_min_u32_e32 v49, 32, v49
	s_delay_alu instid0(VALU_DEP_1) | instskip(SKIP_1) | instid1(VALU_DEP_2)
	v_subrev_nc_u32_e32 v50, 28, v49
	v_sub_nc_u32_e32 v49, 29, v49
	v_lshlrev_b64 v[52:53], v50, v[19:20]
	s_delay_alu instid0(VALU_DEP_1)
	v_and_b32_e32 v19, 7, v52
; %bb.101:                              ;   in Loop: Header=BB227_13 Depth=1
	s_or_b32 exec_lo, exec_lo, s55
	v_lshlrev_b32_e32 v50, 24, v51
	s_delay_alu instid0(VALU_DEP_2) | instskip(SKIP_1) | instid1(VALU_DEP_3)
	v_lshlrev_b32_e32 v19, 20, v19
	v_lshl_add_u32 v49, v49, 23, 0x3c000000
	v_and_b32_e32 v50, 0x80000000, v50
	s_delay_alu instid0(VALU_DEP_1) | instskip(NEXT) | instid1(VALU_DEP_1)
	v_or3_b32 v19, v19, v50, v49
	v_dual_mov_b32 v50, v20 :: v_dual_mov_b32 v49, v19
.LBB227_102:                            ;   in Loop: Header=BB227_13 Depth=1
	s_or_b32 exec_lo, exec_lo, s54
.LBB227_103:                            ;   in Loop: Header=BB227_13 Depth=1
	s_delay_alu instid0(SALU_CYCLE_1)
	s_or_b32 exec_lo, exec_lo, s53
.LBB227_104:                            ;   in Loop: Header=BB227_13 Depth=1
	s_delay_alu instid0(SALU_CYCLE_1) | instskip(SKIP_2) | instid1(VALU_DEP_1)
	s_or_b32 exec_lo, exec_lo, s40
	v_lshrrev_b16 v19, 8, v51
	s_mov_b32 s53, exec_lo
	v_cmpx_ne_u16_e32 0, v19
	s_cbranch_execz .LBB227_112
; %bb.105:                              ;   in Loop: Header=BB227_13 Depth=1
	v_dual_mov_b32 v48, s11 :: v_dual_mov_b32 v47, s10
	s_mov_b32 s54, exec_lo
	v_cmpx_ne_u16_e32 0x80, v19
	s_cbranch_execz .LBB227_111
; %bb.106:                              ;   in Loop: Header=BB227_13 Depth=1
	s_mov_b32 s40, s10
	v_dual_mov_b32 v48, s41 :: v_dual_and_b32 v19, 0xffff, v19
	v_mov_b32_e32 v47, s40
	s_mov_b32 s40, exec_lo
	s_delay_alu instid0(VALU_DEP_2) | instskip(NEXT) | instid1(VALU_DEP_1)
	v_and_b32_e32 v52, 0x7f, v19
	v_cmpx_ne_u32_e32 0x7f, v52
	s_cbranch_execz .LBB227_110
; %bb.107:                              ;   in Loop: Header=BB227_13 Depth=1
	v_and_b32_e32 v19, 7, v19
	v_lshrrev_b32_e32 v47, 3, v52
	s_mov_b32 s55, exec_lo
	v_cmpx_gt_u32_e32 8, v52
; %bb.108:                              ;   in Loop: Header=BB227_13 Depth=1
	s_delay_alu instid0(VALU_DEP_3) | instskip(NEXT) | instid1(VALU_DEP_1)
	v_clz_i32_u32_e32 v47, v19
	v_min_u32_e32 v47, 32, v47
	s_delay_alu instid0(VALU_DEP_1) | instskip(SKIP_1) | instid1(VALU_DEP_2)
	v_subrev_nc_u32_e32 v48, 28, v47
	v_sub_nc_u32_e32 v47, 29, v47
	v_lshlrev_b64 v[52:53], v48, v[19:20]
	s_delay_alu instid0(VALU_DEP_1)
	v_and_b32_e32 v19, 7, v52
; %bb.109:                              ;   in Loop: Header=BB227_13 Depth=1
	s_or_b32 exec_lo, exec_lo, s55
	v_lshlrev_b32_e32 v48, 16, v51
	s_delay_alu instid0(VALU_DEP_2) | instskip(SKIP_1) | instid1(VALU_DEP_3)
	v_lshlrev_b32_e32 v19, 20, v19
	v_lshl_add_u32 v47, v47, 23, 0x3c000000
	v_and_b32_e32 v48, 0x80000000, v48
	s_delay_alu instid0(VALU_DEP_1)
	v_or3_b32 v48, v19, v48, v47
	v_mov_b32_e32 v47, v20
.LBB227_110:                            ;   in Loop: Header=BB227_13 Depth=1
	s_or_b32 exec_lo, exec_lo, s40
.LBB227_111:                            ;   in Loop: Header=BB227_13 Depth=1
	s_delay_alu instid0(SALU_CYCLE_1)
	s_or_b32 exec_lo, exec_lo, s54
.LBB227_112:                            ;   in Loop: Header=BB227_13 Depth=1
	s_delay_alu instid0(SALU_CYCLE_1) | instskip(SKIP_1) | instid1(VALU_DEP_1)
	s_or_b32 exec_lo, exec_lo, s53
	v_add_co_u32 v53, s1, 0x100, v33
	v_add_co_ci_u32_e64 v54, s1, 0, v34, s1
	v_mov_b32_e32 v33, 0
	global_load_u16 v19, v[53:54], off offset:8
	s_waitcnt vmcnt(0)
	v_dual_mov_b32 v34, 0 :: v_dual_and_b32 v51, 0xff, v19
	v_and_b32_e32 v55, 0xffff, v19
	s_delay_alu instid0(VALU_DEP_2) | instskip(NEXT) | instid1(VALU_DEP_3)
	v_cmp_ne_u16_e64 s1, 0, v51
	v_dual_mov_b32 v52, v34 :: v_dual_mov_b32 v51, v33
	s_delay_alu instid0(VALU_DEP_2)
	s_and_saveexec_b32 s40, s1
	s_cbranch_execz .LBB227_120
; %bb.113:                              ;   in Loop: Header=BB227_13 Depth=1
	v_bfrev_b32_e32 v51, 1
	v_dual_mov_b32 v52, 0 :: v_dual_and_b32 v19, 0xff, v55
	s_mov_b32 s53, exec_lo
	s_delay_alu instid0(VALU_DEP_1)
	v_cmpx_ne_u16_e32 0x80, v19
	s_cbranch_execz .LBB227_119
; %bb.114:                              ;   in Loop: Header=BB227_13 Depth=1
	v_mov_b32_e32 v51, 0x7f800001
	v_and_b32_e32 v56, 0x7f, v55
	v_mov_b32_e32 v52, 0
	s_mov_b32 s54, exec_lo
	s_delay_alu instid0(VALU_DEP_2)
	v_cmpx_ne_u32_e32 0x7f, v56
	s_cbranch_execz .LBB227_118
; %bb.115:                              ;   in Loop: Header=BB227_13 Depth=1
	v_and_b32_e32 v19, 7, v55
	v_lshrrev_b32_e32 v51, 3, v56
	s_mov_b32 s55, exec_lo
	v_cmpx_gt_u32_e32 8, v56
; %bb.116:                              ;   in Loop: Header=BB227_13 Depth=1
	s_delay_alu instid0(VALU_DEP_3) | instskip(NEXT) | instid1(VALU_DEP_1)
	v_clz_i32_u32_e32 v51, v19
	v_min_u32_e32 v51, 32, v51
	s_delay_alu instid0(VALU_DEP_1) | instskip(SKIP_1) | instid1(VALU_DEP_2)
	v_subrev_nc_u32_e32 v52, 28, v51
	v_sub_nc_u32_e32 v51, 29, v51
	v_lshlrev_b64 v[71:72], v52, v[19:20]
	s_delay_alu instid0(VALU_DEP_1)
	v_and_b32_e32 v19, 7, v71
; %bb.117:                              ;   in Loop: Header=BB227_13 Depth=1
	s_or_b32 exec_lo, exec_lo, s55
	v_lshlrev_b32_e32 v52, 24, v55
	s_delay_alu instid0(VALU_DEP_2) | instskip(SKIP_1) | instid1(VALU_DEP_3)
	v_lshlrev_b32_e32 v19, 20, v19
	v_lshl_add_u32 v51, v51, 23, 0x3c000000
	v_and_b32_e32 v52, 0x80000000, v52
	s_delay_alu instid0(VALU_DEP_1) | instskip(NEXT) | instid1(VALU_DEP_1)
	v_or3_b32 v19, v19, v52, v51
	v_dual_mov_b32 v52, v20 :: v_dual_mov_b32 v51, v19
.LBB227_118:                            ;   in Loop: Header=BB227_13 Depth=1
	s_or_b32 exec_lo, exec_lo, s54
.LBB227_119:                            ;   in Loop: Header=BB227_13 Depth=1
	s_delay_alu instid0(SALU_CYCLE_1)
	s_or_b32 exec_lo, exec_lo, s53
.LBB227_120:                            ;   in Loop: Header=BB227_13 Depth=1
	s_delay_alu instid0(SALU_CYCLE_1) | instskip(SKIP_2) | instid1(VALU_DEP_1)
	s_or_b32 exec_lo, exec_lo, s40
	v_lshrrev_b16 v19, 8, v55
	s_mov_b32 s53, exec_lo
	v_cmpx_ne_u16_e32 0, v19
	s_cbranch_execz .LBB227_128
; %bb.121:                              ;   in Loop: Header=BB227_13 Depth=1
	v_dual_mov_b32 v34, s11 :: v_dual_mov_b32 v33, s10
	s_mov_b32 s54, exec_lo
	v_cmpx_ne_u16_e32 0x80, v19
	s_cbranch_execz .LBB227_127
; %bb.122:                              ;   in Loop: Header=BB227_13 Depth=1
	s_mov_b32 s40, s10
	v_and_b32_e32 v19, 0xffff, v19
	v_dual_mov_b32 v33, s40 :: v_dual_mov_b32 v34, s41
	s_mov_b32 s40, exec_lo
	s_delay_alu instid0(VALU_DEP_2) | instskip(NEXT) | instid1(VALU_DEP_1)
	v_and_b32_e32 v56, 0x7f, v19
	v_cmpx_ne_u32_e32 0x7f, v56
	s_cbranch_execz .LBB227_126
; %bb.123:                              ;   in Loop: Header=BB227_13 Depth=1
	v_and_b32_e32 v19, 7, v19
	v_lshrrev_b32_e32 v33, 3, v56
	s_mov_b32 s55, exec_lo
	v_cmpx_gt_u32_e32 8, v56
; %bb.124:                              ;   in Loop: Header=BB227_13 Depth=1
	s_delay_alu instid0(VALU_DEP_3) | instskip(NEXT) | instid1(VALU_DEP_1)
	v_clz_i32_u32_e32 v33, v19
	v_min_u32_e32 v33, 32, v33
	s_delay_alu instid0(VALU_DEP_1) | instskip(SKIP_1) | instid1(VALU_DEP_2)
	v_subrev_nc_u32_e32 v34, 28, v33
	v_sub_nc_u32_e32 v33, 29, v33
	v_lshlrev_b64 v[71:72], v34, v[19:20]
	s_delay_alu instid0(VALU_DEP_1)
	v_and_b32_e32 v19, 7, v71
; %bb.125:                              ;   in Loop: Header=BB227_13 Depth=1
	s_or_b32 exec_lo, exec_lo, s55
	v_lshlrev_b32_e32 v34, 16, v55
	s_delay_alu instid0(VALU_DEP_2) | instskip(SKIP_1) | instid1(VALU_DEP_3)
	v_lshlrev_b32_e32 v19, 20, v19
	v_lshl_add_u32 v33, v33, 23, 0x3c000000
	v_and_b32_e32 v34, 0x80000000, v34
	s_delay_alu instid0(VALU_DEP_1)
	v_or3_b32 v34, v19, v34, v33
	v_mov_b32_e32 v33, v20
.LBB227_126:                            ;   in Loop: Header=BB227_13 Depth=1
	s_or_b32 exec_lo, exec_lo, s40
.LBB227_127:                            ;   in Loop: Header=BB227_13 Depth=1
	s_delay_alu instid0(SALU_CYCLE_1)
	s_or_b32 exec_lo, exec_lo, s54
.LBB227_128:                            ;   in Loop: Header=BB227_13 Depth=1
	s_delay_alu instid0(SALU_CYCLE_1)
	s_or_b32 exec_lo, exec_lo, s53
	global_load_u16 v19, v[53:54], off offset:12
	v_mov_b32_e32 v53, 0
	s_waitcnt vmcnt(0)
	v_dual_mov_b32 v54, 0 :: v_dual_and_b32 v55, 0xff, v19
	v_and_b32_e32 v71, 0xffff, v19
	s_delay_alu instid0(VALU_DEP_2) | instskip(NEXT) | instid1(VALU_DEP_3)
	v_cmp_ne_u16_e64 s1, 0, v55
	v_dual_mov_b32 v56, v54 :: v_dual_mov_b32 v55, v53
	s_delay_alu instid0(VALU_DEP_2)
	s_and_saveexec_b32 s40, s1
	s_cbranch_execz .LBB227_136
; %bb.129:                              ;   in Loop: Header=BB227_13 Depth=1
	v_bfrev_b32_e32 v55, 1
	v_dual_mov_b32 v56, 0 :: v_dual_and_b32 v19, 0xff, v71
	s_mov_b32 s53, exec_lo
	s_delay_alu instid0(VALU_DEP_1)
	v_cmpx_ne_u16_e32 0x80, v19
	s_cbranch_execz .LBB227_135
; %bb.130:                              ;   in Loop: Header=BB227_13 Depth=1
	v_mov_b32_e32 v55, 0x7f800001
	v_and_b32_e32 v72, 0x7f, v71
	v_mov_b32_e32 v56, 0
	s_mov_b32 s54, exec_lo
	s_delay_alu instid0(VALU_DEP_2)
	v_cmpx_ne_u32_e32 0x7f, v72
	s_cbranch_execz .LBB227_134
; %bb.131:                              ;   in Loop: Header=BB227_13 Depth=1
	v_and_b32_e32 v19, 7, v71
	v_lshrrev_b32_e32 v55, 3, v72
	s_mov_b32 s55, exec_lo
	v_cmpx_gt_u32_e32 8, v72
; %bb.132:                              ;   in Loop: Header=BB227_13 Depth=1
	s_delay_alu instid0(VALU_DEP_3) | instskip(NEXT) | instid1(VALU_DEP_1)
	v_clz_i32_u32_e32 v55, v19
	v_min_u32_e32 v55, 32, v55
	s_delay_alu instid0(VALU_DEP_1) | instskip(SKIP_1) | instid1(VALU_DEP_2)
	v_subrev_nc_u32_e32 v56, 28, v55
	v_sub_nc_u32_e32 v55, 29, v55
	v_lshlrev_b64 v[72:73], v56, v[19:20]
	s_delay_alu instid0(VALU_DEP_1)
	v_and_b32_e32 v19, 7, v72
; %bb.133:                              ;   in Loop: Header=BB227_13 Depth=1
	s_or_b32 exec_lo, exec_lo, s55
	v_lshlrev_b32_e32 v56, 24, v71
	s_delay_alu instid0(VALU_DEP_2) | instskip(SKIP_1) | instid1(VALU_DEP_3)
	v_lshlrev_b32_e32 v19, 20, v19
	v_lshl_add_u32 v55, v55, 23, 0x3c000000
	v_and_b32_e32 v56, 0x80000000, v56
	s_delay_alu instid0(VALU_DEP_1) | instskip(NEXT) | instid1(VALU_DEP_1)
	v_or3_b32 v19, v19, v56, v55
	v_dual_mov_b32 v56, v20 :: v_dual_mov_b32 v55, v19
.LBB227_134:                            ;   in Loop: Header=BB227_13 Depth=1
	s_or_b32 exec_lo, exec_lo, s54
.LBB227_135:                            ;   in Loop: Header=BB227_13 Depth=1
	s_delay_alu instid0(SALU_CYCLE_1)
	s_or_b32 exec_lo, exec_lo, s53
.LBB227_136:                            ;   in Loop: Header=BB227_13 Depth=1
	s_delay_alu instid0(SALU_CYCLE_1) | instskip(SKIP_2) | instid1(VALU_DEP_1)
	s_or_b32 exec_lo, exec_lo, s40
	v_lshrrev_b16 v19, 8, v71
	s_mov_b32 s53, exec_lo
	v_cmpx_ne_u16_e32 0, v19
	s_cbranch_execz .LBB227_144
; %bb.137:                              ;   in Loop: Header=BB227_13 Depth=1
	v_dual_mov_b32 v54, s11 :: v_dual_mov_b32 v53, s10
	s_mov_b32 s54, exec_lo
	v_cmpx_ne_u16_e32 0x80, v19
	s_cbranch_execz .LBB227_143
; %bb.138:                              ;   in Loop: Header=BB227_13 Depth=1
	s_mov_b32 s40, s10
	v_dual_mov_b32 v54, s41 :: v_dual_and_b32 v19, 0xffff, v19
	v_mov_b32_e32 v53, s40
	s_mov_b32 s40, exec_lo
	s_delay_alu instid0(VALU_DEP_2) | instskip(NEXT) | instid1(VALU_DEP_1)
	v_and_b32_e32 v72, 0x7f, v19
	v_cmpx_ne_u32_e32 0x7f, v72
	s_cbranch_execz .LBB227_142
; %bb.139:                              ;   in Loop: Header=BB227_13 Depth=1
	v_and_b32_e32 v19, 7, v19
	v_lshrrev_b32_e32 v53, 3, v72
	s_mov_b32 s55, exec_lo
	v_cmpx_gt_u32_e32 8, v72
; %bb.140:                              ;   in Loop: Header=BB227_13 Depth=1
	s_delay_alu instid0(VALU_DEP_3) | instskip(NEXT) | instid1(VALU_DEP_1)
	v_clz_i32_u32_e32 v53, v19
	v_min_u32_e32 v53, 32, v53
	s_delay_alu instid0(VALU_DEP_1) | instskip(SKIP_1) | instid1(VALU_DEP_2)
	v_subrev_nc_u32_e32 v54, 28, v53
	v_sub_nc_u32_e32 v53, 29, v53
	v_lshlrev_b64 v[72:73], v54, v[19:20]
	s_delay_alu instid0(VALU_DEP_1)
	v_and_b32_e32 v19, 7, v72
; %bb.141:                              ;   in Loop: Header=BB227_13 Depth=1
	s_or_b32 exec_lo, exec_lo, s55
	v_lshlrev_b32_e32 v54, 16, v71
	s_delay_alu instid0(VALU_DEP_2) | instskip(SKIP_1) | instid1(VALU_DEP_3)
	v_lshlrev_b32_e32 v19, 20, v19
	v_lshl_add_u32 v53, v53, 23, 0x3c000000
	v_and_b32_e32 v54, 0x80000000, v54
	s_delay_alu instid0(VALU_DEP_1)
	v_or3_b32 v54, v19, v54, v53
	v_mov_b32_e32 v53, v20
.LBB227_142:                            ;   in Loop: Header=BB227_13 Depth=1
	s_or_b32 exec_lo, exec_lo, s40
.LBB227_143:                            ;   in Loop: Header=BB227_13 Depth=1
	s_delay_alu instid0(SALU_CYCLE_1)
	s_or_b32 exec_lo, exec_lo, s54
.LBB227_144:                            ;   in Loop: Header=BB227_13 Depth=1
	s_delay_alu instid0(SALU_CYCLE_1)
	s_or_b32 exec_lo, exec_lo, s53
	v_or_b32_e32 v29, v29, v31
	v_or_b32_e32 v30, v30, v32
	;; [unrolled: 1-line block ×5, first 2 shown]
	s_waitcnt lgkmcnt(0)
	v_dual_mul_f32 v27, s52, v29 :: v_dual_mul_f32 v28, s52, v30
	v_or_b32_e32 v29, v35, v37
	v_dual_mul_f32 v26, s52, v26 :: v_dual_mul_f32 v25, s52, v25
	s_delay_alu instid0(VALU_DEP_3) | instskip(SKIP_3) | instid1(VALU_DEP_4)
	v_dual_mul_f32 v15, v15, v27 :: v_dual_mul_f32 v16, v16, v28
	v_or_b32_e32 v40, v40, v42
	v_or_b32_e32 v27, v39, v41
	v_dual_mul_f32 v28, s52, v31 :: v_dual_mul_f32 v29, s52, v29
	v_dual_fmac_f32 v15, v13, v25 :: v_dual_fmac_f32 v16, v14, v26
	v_or_b32_e32 v44, v44, v46
	v_or_b32_e32 v13, v43, v45
	v_dual_mul_f32 v14, s52, v40 :: v_dual_mul_f32 v25, s52, v27
	s_delay_alu instid0(VALU_DEP_4)
	v_dual_fmac_f32 v15, v9, v29 :: v_dual_fmac_f32 v16, v10, v28
	v_or_b32_e32 v19, v34, v52
	v_or_b32_e32 v34, v48, v50
	;; [unrolled: 1-line block ×3, first 2 shown]
	v_dual_mul_f32 v10, s52, v44 :: v_dual_mul_f32 v13, s52, v13
	v_dual_fmac_f32 v15, v11, v25 :: v_dual_fmac_f32 v16, v12, v14
	v_or_b32_e32 v33, v33, v51
	v_dual_mul_f32 v11, s52, v19 :: v_dual_mul_f32 v12, s52, v34
	s_delay_alu instid0(VALU_DEP_3) | instskip(NEXT) | instid1(VALU_DEP_4)
	v_dual_mul_f32 v9, s52, v9 :: v_dual_fmac_f32 v16, v6, v10
	v_fmac_f32_e32 v15, v5, v13
	v_or_b32_e32 v6, v54, v56
	v_mul_f32_e32 v5, s52, v33
	v_or_b32_e32 v10, v53, v55
	s_delay_alu instid0(VALU_DEP_4) | instskip(SKIP_2) | instid1(VALU_DEP_4)
	v_dual_fmac_f32 v16, v8, v12 :: v_dual_fmac_f32 v15, v7, v9
	v_xor_b32_e32 v7, 1, v60
	v_mul_f32_e32 v6, s52, v6
	v_mul_f32_e32 v8, s52, v10
	s_delay_alu instid0(VALU_DEP_4) | instskip(NEXT) | instid1(VALU_DEP_4)
	v_dual_fmac_f32 v16, v2, v11 :: v_dual_fmac_f32 v15, v1, v5
	v_cmp_gt_i32_e64 s1, 32, v7
	s_delay_alu instid0(VALU_DEP_2) | instskip(NEXT) | instid1(VALU_DEP_2)
	v_dual_fmac_f32 v16, v4, v6 :: v_dual_fmac_f32 v15, v3, v8
	v_cndmask_b32_e64 v1, v60, v7, s1
	s_delay_alu instid0(VALU_DEP_1)
	v_dual_add_f32 v1, v15, v16 :: v_dual_lshlrev_b32 v2, 2, v1
	ds_bpermute_b32 v2, v2, v1
	s_and_saveexec_b32 s40, vcc_lo
	s_cbranch_execz .LBB227_11
; %bb.145:                              ;   in Loop: Header=BB227_13 Depth=1
	v_add_nc_u32_e32 v3, v67, v65
	s_waitcnt lgkmcnt(0)
	v_add_f32_e32 v1, v1, v2
	s_delay_alu instid0(VALU_DEP_2) | instskip(NEXT) | instid1(VALU_DEP_1)
	v_cvt_f32_i32_e32 v3, v3
	v_mul_f32_e32 v3, s47, v3
	s_delay_alu instid0(VALU_DEP_1) | instskip(SKIP_1) | instid1(VALU_DEP_2)
	v_cndmask_b32_e64 v2, 0, v3, s0
	v_max_f32_e32 v3, v61, v61
	v_fmac_f32_e32 v2, s39, v1
	v_add_nc_u32_e32 v1, v62, v65
	s_delay_alu instid0(VALU_DEP_2) | instskip(NEXT) | instid1(VALU_DEP_2)
	v_max_f32_e32 v3, v3, v2
	v_cmp_gt_i32_e64 s1, s15, v1
	s_delay_alu instid0(VALU_DEP_1) | instskip(NEXT) | instid1(VALU_DEP_3)
	v_cndmask_b32_e64 v1, 0, v2, s1
	v_cndmask_b32_e64 v61, v61, v3, s1
	ds_store_b32 v68, v1
	s_branch .LBB227_11
.LBB227_146:
	s_or_b32 exec_lo, exec_lo, s51
.LBB227_147:
	s_delay_alu instid0(SALU_CYCLE_1) | instskip(SKIP_4) | instid1(VALU_DEP_4)
	s_or_b32 exec_lo, exec_lo, s8
	v_xor_b32_e32 v1, 16, v60
	v_xor_b32_e32 v3, 8, v60
	;; [unrolled: 1-line block ×3, first 2 shown]
	v_dual_max_f32 v5, v61, v61 :: v_dual_and_b32 v26, 31, v0
	v_cmp_gt_i32_e32 vcc_lo, 32, v1
	v_cndmask_b32_e32 v1, v60, v1, vcc_lo
	v_cmp_gt_i32_e32 vcc_lo, 32, v3
	v_cndmask_b32_e32 v3, v60, v3, vcc_lo
	s_delay_alu instid0(VALU_DEP_1)
	v_lshlrev_b32_e32 v4, 2, v3
	s_waitcnt lgkmcnt(0)
	v_lshlrev_b32_e32 v2, 2, v1
	ds_bpermute_b32 v1, v2, v61
	s_waitcnt lgkmcnt(0)
	v_max_f32_e32 v1, v1, v1
	s_delay_alu instid0(VALU_DEP_1)
	v_max_f32_e32 v1, v5, v1
	v_xor_b32_e32 v5, 4, v60
	ds_bpermute_b32 v3, v4, v1
	v_cmp_gt_i32_e32 vcc_lo, 32, v5
	v_cndmask_b32_e32 v5, v60, v5, vcc_lo
	v_cmp_gt_i32_e32 vcc_lo, 32, v6
	s_delay_alu instid0(VALU_DEP_2) | instskip(SKIP_1) | instid1(VALU_DEP_2)
	v_dual_cndmask_b32 v6, v60, v6 :: v_dual_lshlrev_b32 v5, 2, v5
	v_cmp_eq_u32_e32 vcc_lo, 0, v26
	v_lshlrev_b32_e32 v27, 2, v6
	s_waitcnt lgkmcnt(0)
	v_dual_max_f32 v3, v3, v3 :: v_dual_lshlrev_b32 v6, 2, v57
	s_delay_alu instid0(VALU_DEP_1) | instskip(SKIP_3) | instid1(VALU_DEP_1)
	v_max_f32_e32 v1, v1, v3
	ds_bpermute_b32 v3, v5, v1
	s_waitcnt lgkmcnt(0)
	v_max_f32_e32 v3, v3, v3
	v_max_f32_e32 v1, v1, v3
	ds_bpermute_b32 v3, v27, v1
	s_and_saveexec_b32 s0, vcc_lo
	s_cbranch_execz .LBB227_149
; %bb.148:
	s_waitcnt lgkmcnt(0)
	v_max_f32_e32 v3, v3, v3
	v_max_f32_e32 v1, v1, v1
	s_delay_alu instid0(VALU_DEP_1)
	v_max_f32_e32 v1, v1, v3
	ds_store_b32 v6, v1 offset:128
.LBB227_149:
	s_or_b32 exec_lo, exec_lo, s0
	v_cmp_gt_u32_e64 s0, 4, v26
	v_mov_b32_e32 v1, 0xff7fffff
	v_lshlrev_b32_e32 v7, 2, v26
	s_waitcnt lgkmcnt(0)
	s_barrier
	buffer_gl0_inv
	s_and_saveexec_b32 s1, s0
	s_cbranch_execz .LBB227_151
; %bb.150:
	ds_load_b32 v1, v7 offset:128
.LBB227_151:
	s_or_b32 exec_lo, exec_lo, s1
	s_waitcnt lgkmcnt(0)
	ds_bpermute_b32 v3, v27, v1
	v_xor_b32_e32 v8, 1, v60
	s_delay_alu instid0(VALU_DEP_1) | instskip(NEXT) | instid1(VALU_DEP_1)
	v_cmp_gt_i32_e64 s1, 32, v8
	v_cndmask_b32_e64 v8, v60, v8, s1
	v_max_f32_e32 v1, v1, v1
	s_sub_i32 s1, s38, s16
	s_delay_alu instid0(SALU_CYCLE_1) | instskip(NEXT) | instid1(VALU_DEP_2)
	s_lshl_b32 s1, s1, 4
	v_lshlrev_b32_e32 v28, 2, v8
	s_add_i32 s1, s1, s43
	v_mov_b32_e32 v8, 0
	s_min_i32 s1, s1, s15
	s_waitcnt lgkmcnt(0)
	v_max_f32_e32 v3, v3, v3
	s_sub_i32 s4, s1, s43
	s_delay_alu instid0(SALU_CYCLE_1) | instskip(NEXT) | instid1(VALU_DEP_2)
	v_cmp_gt_i32_e64 s1, s4, v0
	v_max_f32_e32 v1, v1, v3
	ds_bpermute_b32 v3, v28, v1
	s_waitcnt lgkmcnt(0)
	v_max_f32_e32 v3, v3, v3
	s_delay_alu instid0(VALU_DEP_1)
	v_max_f32_e32 v1, v1, v3
	v_lshl_add_u32 v3, v0, 2, 0xa0
	ds_bpermute_b32 v1, v8, v1
	s_and_saveexec_b32 s5, s1
	s_cbranch_execz .LBB227_155
; %bb.152:
	v_lshl_add_u32 v9, v0, 2, 0xa0
	v_mov_b32_e32 v8, 0
	v_mov_b32_e32 v10, v0
	s_mov_b32 s8, 0
	.p2align	6
.LBB227_153:                            ; =>This Inner Loop Header: Depth=1
	ds_load_b32 v11, v9
	v_add_nc_u32_e32 v10, 0x80, v10
	s_delay_alu instid0(VALU_DEP_1) | instskip(NEXT) | instid1(VALU_DEP_1)
	v_cmp_le_i32_e64 s3, s4, v10
	s_or_b32 s8, s3, s8
	s_waitcnt lgkmcnt(0)
	v_sub_f32_e32 v11, v11, v1
	s_delay_alu instid0(VALU_DEP_1) | instskip(NEXT) | instid1(VALU_DEP_1)
	v_mul_f32_e32 v11, 0x3fb8aa3b, v11
	v_exp_f32_e32 v11, v11
	ds_store_b32 v9, v11
	v_dual_add_f32 v8, v8, v11 :: v_dual_add_nc_u32 v9, 0x200, v9
	s_and_not1_b32 exec_lo, exec_lo, s8
	s_cbranch_execnz .LBB227_153
; %bb.154:
	s_or_b32 exec_lo, exec_lo, s8
.LBB227_155:
	s_delay_alu instid0(SALU_CYCLE_1)
	s_or_b32 exec_lo, exec_lo, s5
	ds_bpermute_b32 v2, v2, v8
	s_waitcnt lgkmcnt(0)
	v_add_f32_e32 v2, v8, v2
	ds_bpermute_b32 v4, v4, v2
	s_waitcnt lgkmcnt(0)
	v_add_f32_e32 v2, v2, v4
	;; [unrolled: 3-line block ×5, first 2 shown]
	s_and_saveexec_b32 s3, vcc_lo
	s_cbranch_execz .LBB227_157
; %bb.156:
	ds_store_b32 v6, v2 offset:144
.LBB227_157:
	s_or_b32 exec_lo, exec_lo, s3
	s_waitcnt lgkmcnt(0)
	s_barrier
	buffer_gl0_inv
	s_and_saveexec_b32 s3, s0
	s_cbranch_execz .LBB227_159
; %bb.158:
	ds_load_b32 v2, v7 offset:144
.LBB227_159:
	s_or_b32 exec_lo, exec_lo, s3
	s_waitcnt lgkmcnt(0)
	ds_bpermute_b32 v4, v27, v2
	s_waitcnt lgkmcnt(0)
	v_add_f32_e32 v2, v2, v4
	ds_bpermute_b32 v4, v28, v2
	s_waitcnt lgkmcnt(0)
	v_add_f32_e32 v2, v2, v4
	v_mov_b32_e32 v4, 0
	ds_bpermute_b32 v2, v4, v2
	s_and_saveexec_b32 s0, s1
	s_cbranch_execz .LBB227_162
; %bb.160:
	s_waitcnt lgkmcnt(0)
	v_add_f32_e32 v4, 0x358637bd, v2
	s_mov_b32 s1, 0
	s_delay_alu instid0(VALU_DEP_1) | instskip(SKIP_1) | instid1(VALU_DEP_2)
	v_div_scale_f32 v5, null, v4, v4, 1.0
	v_div_scale_f32 v8, vcc_lo, 1.0, v4, 1.0
	v_rcp_f32_e32 v6, v5
	s_waitcnt_depctr 0xfff
	v_fma_f32 v7, -v5, v6, 1.0
	s_delay_alu instid0(VALU_DEP_1) | instskip(NEXT) | instid1(VALU_DEP_1)
	v_fmac_f32_e32 v6, v7, v6
	v_mul_f32_e32 v7, v8, v6
	s_delay_alu instid0(VALU_DEP_1) | instskip(NEXT) | instid1(VALU_DEP_1)
	v_fma_f32 v9, -v5, v7, v8
	v_fmac_f32_e32 v7, v9, v6
	s_delay_alu instid0(VALU_DEP_1) | instskip(NEXT) | instid1(VALU_DEP_1)
	v_fma_f32 v5, -v5, v7, v8
	v_div_fmas_f32 v5, v5, v6, v7
	s_delay_alu instid0(VALU_DEP_1)
	v_div_fixup_f32 v4, v5, v4, 1.0
	v_mov_b32_e32 v5, v0
.LBB227_161:                            ; =>This Inner Loop Header: Depth=1
	ds_load_b32 v6, v3
	s_waitcnt lgkmcnt(0)
	v_dual_mul_f32 v6, v4, v6 :: v_dual_add_nc_u32 v5, 0x80, v5
	s_delay_alu instid0(VALU_DEP_1) | instskip(SKIP_3) | instid1(SALU_CYCLE_1)
	v_cmp_le_i32_e32 vcc_lo, s4, v5
	ds_store_b32 v3, v6
	v_add_nc_u32_e32 v3, 0x200, v3
	s_or_b32 s1, vcc_lo, s1
	s_and_not1_b32 exec_lo, exec_lo, s1
	s_cbranch_execnz .LBB227_161
.LBB227_162:
	s_or_b32 exec_lo, exec_lo, s0
	s_mul_i32 s0, s13, s14
	s_waitcnt lgkmcnt(0)
	s_mul_i32 s4, s0, s27
	s_mov_b32 s0, exec_lo
	s_barrier
	buffer_gl0_inv
	v_cmpx_eq_u32_e32 0, v0
	s_cbranch_execz .LBB227_164
; %bb.163:
	s_ashr_i32 s5, s4, 31
	s_mul_i32 s40, s13, s28
	s_lshl_b64 s[10:11], s[4:5], 2
	v_mov_b32_e32 v3, 0
	s_add_u32 s1, s22, s10
	s_addc_u32 s3, s23, s11
	s_ashr_i32 s41, s40, 31
	s_delay_alu instid0(SALU_CYCLE_1) | instskip(NEXT) | instid1(SALU_CYCLE_1)
	s_lshl_b64 s[22:23], s[40:41], 2
	s_add_u32 s1, s1, s22
	s_addc_u32 s3, s3, s23
	s_ashr_i32 s27, s26, 31
	s_delay_alu instid0(SALU_CYCLE_1) | instskip(NEXT) | instid1(SALU_CYCLE_1)
	s_lshl_b64 s[26:27], s[26:27], 2
	s_add_u32 s40, s1, s26
	s_addc_u32 s41, s3, s27
	s_add_u32 s1, s20, s10
	s_addc_u32 s3, s21, s11
	;; [unrolled: 2-line block ×4, first 2 shown]
	s_clause 0x1
	global_store_b32 v3, v1, s[40:41]
	global_store_b32 v3, v2, s[10:11]
.LBB227_164:
	s_or_b32 exec_lo, exec_lo, s0
	v_dual_mov_b32 v4, 0 :: v_dual_and_b32 v29, 3, v0
	v_dual_mov_b32 v3, 0 :: v_dual_mov_b32 v2, 0
	v_mov_b32_e32 v1, 0
	s_mov_b32 s8, 0
	s_and_saveexec_b32 s1, s2
	s_cbranch_execz .LBB227_306
; %bb.165:
	s_sub_i32 s5, s46, s17
	s_ashr_i32 s0, s45, 31
	s_add_u32 s20, s36, s45
	s_addc_u32 s0, s37, s0
	s_abs_i32 s14, s18
	s_mov_b32 s17, s9
	v_cvt_f32_u32_e32 v1, s14
	s_sub_i32 s2, 0, s14
	s_mov_b32 s9, s8
	s_mov_b32 s10, s8
	;; [unrolled: 1-line block ×3, first 2 shown]
	v_rcp_iflag_f32_e32 v1, v1
	v_and_b32_e32 v30, 12, v59
	v_and_b32_e32 v7, 0x7c, v59
	v_lshlrev_b32_e32 v8, 4, v29
	v_lshlrev_b64 v[5:6], 2, v[17:18]
	s_add_i32 s44, s44, -1
	s_waitcnt_depctr 0xfff
	v_dual_mov_b32 v14, 0 :: v_dual_mul_f32 v1, 0x4f7ffffe, v1
	s_delay_alu instid0(VALU_DEP_1) | instskip(SKIP_2) | instid1(VALU_DEP_3)
	v_cvt_u32_f32_e32 v13, v1
	v_dual_mov_b32 v1, s8 :: v_dual_mov_b32 v2, s9
	v_dual_mov_b32 v3, s10 :: v_dual_mov_b32 v4, s11
	v_mul_lo_u32 v11, s2, v13
	v_add_co_u32 v9, s9, s20, v7
	s_lshl_b64 s[2:3], s[34:35], 2
	v_lshl_or_b32 v8, v57, 6, v8
	v_add_co_ci_u32_e64 v10, null, s0, 0, s9
	s_add_u32 s0, s30, s2
	s_delay_alu instid0(VALU_DEP_4)
	v_mul_hi_u32 v7, v13, v11
	s_addc_u32 s2, s31, s3
	v_add_co_u32 v11, vcc_lo, s0, v5
	v_add_co_ci_u32_e32 v12, vcc_lo, s2, v6, vcc_lo
	v_add_nc_u32_e32 v31, 0xa0, v8
	s_brev_b32 s9, 1
	s_delay_alu instid0(VALU_DEP_4)
	v_add_nc_u32_e32 v32, v13, v7
	s_mov_b32 s3, 0x7f800001
	s_branch .LBB227_168
.LBB227_166:                            ;   in Loop: Header=BB227_168 Depth=1
	s_or_b32 exec_lo, exec_lo, s0
	v_mul_f32_e32 v20, v6, v44
	v_mul_f32_e32 v19, v6, v36
	;; [unrolled: 1-line block ×4, first 2 shown]
	s_delay_alu instid0(VALU_DEP_4) | instskip(NEXT) | instid1(VALU_DEP_4)
	v_fmac_f32_e32 v20, v5, v43
	v_fmac_f32_e32 v19, v5, v35
	s_delay_alu instid0(VALU_DEP_3) | instskip(NEXT) | instid1(VALU_DEP_3)
	v_fmac_f32_e32 v6, v5, v16
	v_dual_fmac_f32 v21, v5, v45 :: v_dual_fmac_f32 v20, v7, v42
	s_delay_alu instid0(VALU_DEP_1) | instskip(NEXT) | instid1(VALU_DEP_2)
	v_dual_fmac_f32 v19, v7, v34 :: v_dual_fmac_f32 v20, v8, v41
	v_fmac_f32_e32 v21, v7, v25
	s_delay_alu instid0(VALU_DEP_2) | instskip(NEXT) | instid1(VALU_DEP_2)
	v_dual_fmac_f32 v19, v8, v33 :: v_dual_add_f32 v2, v2, v20
	v_dual_fmac_f32 v6, v7, v15 :: v_dual_fmac_f32 v21, v8, v24
	s_delay_alu instid0(VALU_DEP_1) | instskip(NEXT) | instid1(VALU_DEP_1)
	v_dual_add_f32 v1, v1, v19 :: v_dual_fmac_f32 v6, v8, v13
	v_dual_add_f32 v3, v3, v21 :: v_dual_add_f32 v4, v4, v6
.LBB227_167:                            ;   in Loop: Header=BB227_168 Depth=1
	s_or_b32 exec_lo, exec_lo, s11
	v_add_nc_u32_e32 v17, 4, v17
	v_add_co_u32 v11, s0, v11, 16
	s_delay_alu instid0(VALU_DEP_1) | instskip(NEXT) | instid1(VALU_DEP_3)
	v_add_co_ci_u32_e64 v12, s0, 0, v12, s0
	v_cmp_le_i32_e32 vcc_lo, s38, v17
	v_add_nc_u32_e32 v58, 64, v58
	v_add_nc_u32_e32 v31, 0x100, v31
	s_or_b32 s10, vcc_lo, s10
	s_delay_alu instid0(SALU_CYCLE_1)
	s_and_not1_b32 exec_lo, exec_lo, s10
	s_cbranch_execz .LBB227_305
.LBB227_168:                            ; =>This Inner Loop Header: Depth=1
	v_sub_nc_u32_e32 v5, 0, v58
	s_delay_alu instid0(VALU_DEP_1) | instskip(NEXT) | instid1(VALU_DEP_1)
	v_max_i32_e32 v5, v58, v5
	v_mul_hi_u32 v6, v5, s33
	s_delay_alu instid0(VALU_DEP_1) | instskip(NEXT) | instid1(VALU_DEP_1)
	v_mul_lo_u32 v7, v6, s29
	v_sub_nc_u32_e32 v5, v5, v7
	v_add_nc_u32_e32 v7, 1, v6
	s_delay_alu instid0(VALU_DEP_2) | instskip(SKIP_1) | instid1(VALU_DEP_2)
	v_subrev_nc_u32_e32 v8, s29, v5
	v_cmp_le_u32_e32 vcc_lo, s29, v5
	v_dual_cndmask_b32 v6, v6, v7 :: v_dual_cndmask_b32 v5, v5, v8
	v_ashrrev_i32_e32 v7, 31, v58
	s_delay_alu instid0(VALU_DEP_2) | instskip(NEXT) | instid1(VALU_DEP_3)
	v_add_nc_u32_e32 v8, 1, v6
	v_cmp_le_u32_e32 vcc_lo, s29, v5
	s_delay_alu instid0(VALU_DEP_3) | instskip(NEXT) | instid1(VALU_DEP_3)
	v_xor_b32_e32 v7, s19, v7
	v_cndmask_b32_e32 v5, v6, v8, vcc_lo
	s_delay_alu instid0(VALU_DEP_1) | instskip(NEXT) | instid1(VALU_DEP_1)
	v_xor_b32_e32 v5, v5, v7
	v_sub_nc_u32_e32 v5, v5, v7
	s_delay_alu instid0(VALU_DEP_1) | instskip(SKIP_1) | instid1(VALU_DEP_2)
	v_add_nc_u32_e32 v6, s42, v5
	v_cmp_lt_i32_e64 s0, s5, v5
	v_sub_nc_u32_e32 v7, 0, v6
	s_delay_alu instid0(VALU_DEP_1) | instskip(NEXT) | instid1(VALU_DEP_1)
	v_max_i32_e32 v7, v6, v7
	v_mul_hi_u32 v8, v7, v32
	s_delay_alu instid0(VALU_DEP_1) | instskip(NEXT) | instid1(VALU_DEP_1)
	v_mul_lo_u32 v8, v8, s14
	v_sub_nc_u32_e32 v7, v7, v8
	s_delay_alu instid0(VALU_DEP_1) | instskip(SKIP_1) | instid1(VALU_DEP_2)
	v_subrev_nc_u32_e32 v8, s14, v7
	v_cmp_le_u32_e32 vcc_lo, s14, v7
	v_cndmask_b32_e32 v7, v7, v8, vcc_lo
	v_ashrrev_i32_e32 v6, 31, v6
	s_delay_alu instid0(VALU_DEP_2) | instskip(SKIP_1) | instid1(VALU_DEP_2)
	v_subrev_nc_u32_e32 v8, s14, v7
	v_cmp_le_u32_e32 vcc_lo, s14, v7
	v_cndmask_b32_e32 v7, v7, v8, vcc_lo
	s_delay_alu instid0(VALU_DEP_1) | instskip(NEXT) | instid1(VALU_DEP_1)
	v_xor_b32_e32 v7, v7, v6
	v_sub_nc_u32_e32 v6, v7, v6
	s_delay_alu instid0(VALU_DEP_1) | instskip(SKIP_1) | instid1(SALU_CYCLE_1)
	v_cmp_eq_u32_e32 vcc_lo, 0, v6
	s_or_b32 s0, vcc_lo, s0
	s_and_saveexec_b32 s11, s0
	s_cbranch_execz .LBB227_167
; %bb.169:                              ;   in Loop: Header=BB227_168 Depth=1
	global_load_b32 v5, v[11:12], off
	s_load_b32 s18, s[6:7], 0x0
	s_mov_b32 s0, exec_lo
	s_waitcnt vmcnt(0)
	v_mad_i64_i32 v[15:16], null, v5, s17, v[9:10]
	ds_load_b128 v[5:8], v31
	global_load_b32 v33, v[15:16], off
	v_mov_b32_e32 v20, 0
	v_mov_b32_e32 v21, 0
	s_delay_alu instid0(VALU_DEP_1) | instskip(SKIP_2) | instid1(VALU_DEP_1)
	v_dual_mov_b32 v18, v20 :: v_dual_mov_b32 v19, v21
	s_waitcnt vmcnt(0)
	v_and_b32_e32 v13, 0xff, v33
	v_cmpx_ne_u16_e32 0, v13
	s_cbranch_execz .LBB227_177
; %bb.170:                              ;   in Loop: Header=BB227_168 Depth=1
	v_bfrev_b32_e32 v18, 1
	v_mov_b32_e32 v19, 0
	s_mov_b32 s2, exec_lo
	v_cmpx_ne_u16_e32 0x80, v13
	s_cbranch_execz .LBB227_176
; %bb.171:                              ;   in Loop: Header=BB227_168 Depth=1
	v_mov_b32_e32 v18, 0x7f800001
	v_dual_mov_b32 v19, 0 :: v_dual_and_b32 v22, 0x7f, v33
	s_mov_b32 s20, exec_lo
	s_delay_alu instid0(VALU_DEP_1)
	v_cmpx_ne_u32_e32 0x7f, v22
	s_cbranch_execz .LBB227_175
; %bb.172:                              ;   in Loop: Header=BB227_168 Depth=1
	v_and_b32_e32 v13, 7, v33
	v_lshrrev_b32_e32 v18, 3, v22
	s_mov_b32 s21, exec_lo
	v_cmpx_gt_u32_e32 8, v22
; %bb.173:                              ;   in Loop: Header=BB227_168 Depth=1
	s_delay_alu instid0(VALU_DEP_3) | instskip(NEXT) | instid1(VALU_DEP_1)
	v_clz_i32_u32_e32 v18, v13
	v_min_u32_e32 v18, 32, v18
	s_delay_alu instid0(VALU_DEP_1) | instskip(SKIP_1) | instid1(VALU_DEP_2)
	v_subrev_nc_u32_e32 v19, 28, v18
	v_sub_nc_u32_e32 v18, 29, v18
	v_lshlrev_b64 v[22:23], v19, v[13:14]
	s_delay_alu instid0(VALU_DEP_1)
	v_and_b32_e32 v13, 7, v22
; %bb.174:                              ;   in Loop: Header=BB227_168 Depth=1
	s_or_b32 exec_lo, exec_lo, s21
	v_lshlrev_b32_e32 v19, 24, v33
	s_delay_alu instid0(VALU_DEP_2) | instskip(SKIP_1) | instid1(VALU_DEP_3)
	v_lshlrev_b32_e32 v13, 20, v13
	v_lshl_add_u32 v18, v18, 23, 0x3c000000
	v_and_b32_e32 v19, 0x80000000, v19
	s_delay_alu instid0(VALU_DEP_1) | instskip(NEXT) | instid1(VALU_DEP_1)
	v_or3_b32 v13, v13, v19, v18
	v_dual_mov_b32 v19, v14 :: v_dual_mov_b32 v18, v13
.LBB227_175:                            ;   in Loop: Header=BB227_168 Depth=1
	s_or_b32 exec_lo, exec_lo, s20
.LBB227_176:                            ;   in Loop: Header=BB227_168 Depth=1
	s_delay_alu instid0(SALU_CYCLE_1)
	s_or_b32 exec_lo, exec_lo, s2
.LBB227_177:                            ;   in Loop: Header=BB227_168 Depth=1
	s_delay_alu instid0(SALU_CYCLE_1) | instskip(SKIP_2) | instid1(VALU_DEP_1)
	s_or_b32 exec_lo, exec_lo, s0
	v_lshrrev_b16 v13, 8, v33
	s_mov_b32 s0, exec_lo
	v_cmpx_ne_u16_e32 0, v13
	s_cbranch_execz .LBB227_185
; %bb.178:                              ;   in Loop: Header=BB227_168 Depth=1
	v_dual_mov_b32 v21, s9 :: v_dual_mov_b32 v20, s8
	s_mov_b32 s20, exec_lo
	v_cmpx_ne_u16_e32 0x80, v13
	s_cbranch_execz .LBB227_184
; %bb.179:                              ;   in Loop: Header=BB227_168 Depth=1
	s_mov_b32 s2, s8
	v_and_b32_e32 v13, 0xffff, v13
	v_dual_mov_b32 v21, s3 :: v_dual_mov_b32 v20, s2
	s_mov_b32 s2, exec_lo
	s_delay_alu instid0(VALU_DEP_2) | instskip(NEXT) | instid1(VALU_DEP_1)
	v_and_b32_e32 v22, 0x7f, v13
	v_cmpx_ne_u32_e32 0x7f, v22
	s_cbranch_execz .LBB227_183
; %bb.180:                              ;   in Loop: Header=BB227_168 Depth=1
	v_and_b32_e32 v13, 7, v13
	v_lshrrev_b32_e32 v20, 3, v22
	s_mov_b32 s21, exec_lo
	v_cmpx_gt_u32_e32 8, v22
; %bb.181:                              ;   in Loop: Header=BB227_168 Depth=1
	s_delay_alu instid0(VALU_DEP_3) | instskip(NEXT) | instid1(VALU_DEP_1)
	v_clz_i32_u32_e32 v20, v13
	v_min_u32_e32 v20, 32, v20
	s_delay_alu instid0(VALU_DEP_1) | instskip(SKIP_1) | instid1(VALU_DEP_2)
	v_subrev_nc_u32_e32 v21, 28, v20
	v_sub_nc_u32_e32 v20, 29, v20
	v_lshlrev_b64 v[21:22], v21, v[13:14]
	s_delay_alu instid0(VALU_DEP_1)
	v_and_b32_e32 v13, 7, v21
; %bb.182:                              ;   in Loop: Header=BB227_168 Depth=1
	s_or_b32 exec_lo, exec_lo, s21
	v_lshlrev_b32_e32 v21, 16, v33
	s_delay_alu instid0(VALU_DEP_2) | instskip(SKIP_1) | instid1(VALU_DEP_3)
	v_lshlrev_b32_e32 v13, 20, v13
	v_lshl_add_u32 v20, v20, 23, 0x3c000000
	v_and_b32_e32 v21, 0x80000000, v21
	s_delay_alu instid0(VALU_DEP_1)
	v_or3_b32 v21, v13, v21, v20
	v_mov_b32_e32 v20, v14
.LBB227_183:                            ;   in Loop: Header=BB227_168 Depth=1
	s_or_b32 exec_lo, exec_lo, s2
.LBB227_184:                            ;   in Loop: Header=BB227_168 Depth=1
	s_delay_alu instid0(SALU_CYCLE_1)
	s_or_b32 exec_lo, exec_lo, s20
.LBB227_185:                            ;   in Loop: Header=BB227_168 Depth=1
	s_delay_alu instid0(SALU_CYCLE_1) | instskip(SKIP_3) | instid1(VALU_DEP_2)
	s_or_b32 exec_lo, exec_lo, s0
	v_lshrrev_b32_e32 v34, 16, v33
	v_mov_b32_e32 v24, 0
	v_mov_b32_e32 v25, 0
	;; [unrolled: 1-line block ×3, first 2 shown]
	s_mov_b32 s0, exec_lo
	v_and_b32_e32 v13, 0xff, v34
	s_delay_alu instid0(VALU_DEP_3) | instskip(NEXT) | instid1(VALU_DEP_2)
	v_mov_b32_e32 v23, v25
	v_cmpx_ne_u16_e32 0, v13
	s_cbranch_execz .LBB227_193
; %bb.186:                              ;   in Loop: Header=BB227_168 Depth=1
	v_bfrev_b32_e32 v22, 1
	v_mov_b32_e32 v23, 0
	s_mov_b32 s2, exec_lo
	v_cmpx_ne_u16_e32 0x80, v13
	s_cbranch_execz .LBB227_192
; %bb.187:                              ;   in Loop: Header=BB227_168 Depth=1
	v_mov_b32_e32 v22, 0x7f800001
	v_bfe_u32 v35, v33, 16, 7
	v_mov_b32_e32 v23, 0
	s_mov_b32 s20, exec_lo
	s_delay_alu instid0(VALU_DEP_2)
	v_cmpx_ne_u32_e32 0x7f, v35
	s_cbranch_execz .LBB227_191
; %bb.188:                              ;   in Loop: Header=BB227_168 Depth=1
	v_and_b32_e32 v13, 7, v34
	v_lshrrev_b32_e32 v22, 3, v35
	s_mov_b32 s21, exec_lo
	v_cmpx_gt_u32_e32 8, v35
; %bb.189:                              ;   in Loop: Header=BB227_168 Depth=1
	s_delay_alu instid0(VALU_DEP_3) | instskip(NEXT) | instid1(VALU_DEP_1)
	v_clz_i32_u32_e32 v22, v13
	v_min_u32_e32 v22, 32, v22
	s_delay_alu instid0(VALU_DEP_1) | instskip(SKIP_1) | instid1(VALU_DEP_2)
	v_subrev_nc_u32_e32 v23, 28, v22
	v_sub_nc_u32_e32 v22, 29, v22
	v_lshlrev_b64 v[35:36], v23, v[13:14]
	s_delay_alu instid0(VALU_DEP_1)
	v_and_b32_e32 v13, 7, v35
; %bb.190:                              ;   in Loop: Header=BB227_168 Depth=1
	s_or_b32 exec_lo, exec_lo, s21
	v_lshlrev_b32_e32 v23, 24, v34
	s_delay_alu instid0(VALU_DEP_2) | instskip(SKIP_1) | instid1(VALU_DEP_3)
	v_lshlrev_b32_e32 v13, 20, v13
	v_lshl_add_u32 v22, v22, 23, 0x3c000000
	v_and_b32_e32 v23, 0x80000000, v23
	s_delay_alu instid0(VALU_DEP_1) | instskip(NEXT) | instid1(VALU_DEP_1)
	v_or3_b32 v13, v13, v23, v22
	v_dual_mov_b32 v23, v14 :: v_dual_mov_b32 v22, v13
.LBB227_191:                            ;   in Loop: Header=BB227_168 Depth=1
	s_or_b32 exec_lo, exec_lo, s20
.LBB227_192:                            ;   in Loop: Header=BB227_168 Depth=1
	s_delay_alu instid0(SALU_CYCLE_1)
	s_or_b32 exec_lo, exec_lo, s2
.LBB227_193:                            ;   in Loop: Header=BB227_168 Depth=1
	s_delay_alu instid0(SALU_CYCLE_1) | instskip(NEXT) | instid1(SALU_CYCLE_1)
	s_or_b32 exec_lo, exec_lo, s0
	s_mov_b32 s0, exec_lo
	v_cmpx_lt_u32_e32 0xffffff, v33
	s_cbranch_execz .LBB227_201
; %bb.194:                              ;   in Loop: Header=BB227_168 Depth=1
	v_lshrrev_b32_e32 v34, 24, v33
	v_dual_mov_b32 v25, s9 :: v_dual_mov_b32 v24, s8
	s_mov_b32 s20, exec_lo
	s_delay_alu instid0(VALU_DEP_2)
	v_cmpx_ne_u32_e32 0x80, v34
	s_cbranch_execz .LBB227_200
; %bb.195:                              ;   in Loop: Header=BB227_168 Depth=1
	s_mov_b32 s2, s8
	v_bfe_u32 v33, v33, 24, 7
	v_dual_mov_b32 v25, s3 :: v_dual_mov_b32 v24, s2
	s_mov_b32 s2, exec_lo
	s_delay_alu instid0(VALU_DEP_2)
	v_cmpx_ne_u32_e32 0x7f, v33
	s_cbranch_execz .LBB227_199
; %bb.196:                              ;   in Loop: Header=BB227_168 Depth=1
	v_and_b32_e32 v13, 7, v34
	v_lshrrev_b32_e32 v24, 3, v33
	s_mov_b32 s21, exec_lo
	v_cmpx_gt_u32_e32 8, v33
; %bb.197:                              ;   in Loop: Header=BB227_168 Depth=1
	s_delay_alu instid0(VALU_DEP_3) | instskip(NEXT) | instid1(VALU_DEP_1)
	v_clz_i32_u32_e32 v24, v13
	v_min_u32_e32 v24, 32, v24
	s_delay_alu instid0(VALU_DEP_1) | instskip(SKIP_1) | instid1(VALU_DEP_2)
	v_subrev_nc_u32_e32 v25, 28, v24
	v_sub_nc_u32_e32 v24, 29, v24
	v_lshlrev_b64 v[35:36], v25, v[13:14]
	s_delay_alu instid0(VALU_DEP_1)
	v_and_b32_e32 v13, 7, v35
; %bb.198:                              ;   in Loop: Header=BB227_168 Depth=1
	s_or_b32 exec_lo, exec_lo, s21
	v_lshlrev_b32_e32 v25, 24, v34
	s_delay_alu instid0(VALU_DEP_2) | instskip(SKIP_1) | instid1(VALU_DEP_3)
	v_lshlrev_b32_e32 v13, 20, v13
	v_lshl_add_u32 v24, v24, 23, 0x3c000000
	v_and_b32_e32 v25, 0x80000000, v25
	s_delay_alu instid0(VALU_DEP_1)
	v_or3_b32 v25, v13, v25, v24
	v_mov_b32_e32 v24, v14
.LBB227_199:                            ;   in Loop: Header=BB227_168 Depth=1
	s_or_b32 exec_lo, exec_lo, s2
.LBB227_200:                            ;   in Loop: Header=BB227_168 Depth=1
	s_delay_alu instid0(SALU_CYCLE_1)
	s_or_b32 exec_lo, exec_lo, s20
.LBB227_201:                            ;   in Loop: Header=BB227_168 Depth=1
	s_delay_alu instid0(SALU_CYCLE_1)
	s_or_b32 exec_lo, exec_lo, s0
	v_or_b32_e32 v13, v21, v19
	v_add_nc_u32_e32 v37, v30, v58
	v_or_b32_e32 v18, v20, v18
	v_or_b32_e32 v19, v25, v23
	;; [unrolled: 1-line block ×3, first 2 shown]
	s_waitcnt lgkmcnt(0)
	v_mul_f32_e32 v36, s18, v13
	v_cmp_eq_u32_e32 vcc_lo, s44, v17
	v_mul_f32_e32 v35, s18, v18
	v_dual_mul_f32 v33, s18, v19 :: v_dual_add_nc_u32 v40, 1, v37
	v_dual_mul_f32 v34, s18, v20 :: v_dual_add_nc_u32 v39, 2, v37
	v_add_nc_u32_e32 v38, 3, v37
	s_and_saveexec_b32 s2, vcc_lo
; %bb.202:                              ;   in Loop: Header=BB227_168 Depth=1
	v_cmp_gt_i32_e64 s0, s15, v37
	s_delay_alu instid0(VALU_DEP_1) | instskip(SKIP_1) | instid1(VALU_DEP_1)
	v_cndmask_b32_e64 v35, 0, v35, s0
	v_cmp_gt_i32_e64 s0, s15, v40
	v_cndmask_b32_e64 v36, 0, v36, s0
	v_cmp_gt_i32_e64 s0, s15, v39
	s_delay_alu instid0(VALU_DEP_1) | instskip(SKIP_1) | instid1(VALU_DEP_1)
	v_cndmask_b32_e64 v34, 0, v34, s0
	v_cmp_gt_i32_e64 s0, s15, v38
	v_cndmask_b32_e64 v33, 0, v33, s0
; %bb.203:                              ;   in Loop: Header=BB227_168 Depth=1
	s_or_b32 exec_lo, exec_lo, s2
	global_load_b32 v41, v[15:16], off offset:128
	v_mov_b32_e32 v20, 0
	v_mov_b32_e32 v21, 0
	s_delay_alu instid0(VALU_DEP_2) | instskip(SKIP_1) | instid1(VALU_DEP_2)
	v_mov_b32_e32 v18, v20
	s_mov_b32 s2, exec_lo
	v_mov_b32_e32 v19, v21
	s_waitcnt vmcnt(0)
	v_and_b32_e32 v13, 0xff, v41
	s_delay_alu instid0(VALU_DEP_1)
	v_cmpx_ne_u16_e32 0, v13
	s_cbranch_execz .LBB227_211
; %bb.204:                              ;   in Loop: Header=BB227_168 Depth=1
	v_bfrev_b32_e32 v18, 1
	v_mov_b32_e32 v19, 0
	s_mov_b32 s20, exec_lo
	v_cmpx_ne_u16_e32 0x80, v13
	s_cbranch_execz .LBB227_210
; %bb.205:                              ;   in Loop: Header=BB227_168 Depth=1
	v_mov_b32_e32 v18, 0x7f800001
	v_dual_mov_b32 v19, 0 :: v_dual_and_b32 v22, 0x7f, v41
	s_mov_b32 s21, exec_lo
	s_delay_alu instid0(VALU_DEP_1)
	v_cmpx_ne_u32_e32 0x7f, v22
	s_cbranch_execz .LBB227_209
; %bb.206:                              ;   in Loop: Header=BB227_168 Depth=1
	v_and_b32_e32 v13, 7, v41
	v_lshrrev_b32_e32 v18, 3, v22
	s_mov_b32 s22, exec_lo
	v_cmpx_gt_u32_e32 8, v22
; %bb.207:                              ;   in Loop: Header=BB227_168 Depth=1
	s_delay_alu instid0(VALU_DEP_3) | instskip(NEXT) | instid1(VALU_DEP_1)
	v_clz_i32_u32_e32 v18, v13
	v_min_u32_e32 v18, 32, v18
	s_delay_alu instid0(VALU_DEP_1) | instskip(SKIP_1) | instid1(VALU_DEP_2)
	v_subrev_nc_u32_e32 v19, 28, v18
	v_sub_nc_u32_e32 v18, 29, v18
	v_lshlrev_b64 v[22:23], v19, v[13:14]
	s_delay_alu instid0(VALU_DEP_1)
	v_and_b32_e32 v13, 7, v22
; %bb.208:                              ;   in Loop: Header=BB227_168 Depth=1
	s_or_b32 exec_lo, exec_lo, s22
	v_lshlrev_b32_e32 v19, 24, v41
	s_delay_alu instid0(VALU_DEP_2) | instskip(SKIP_1) | instid1(VALU_DEP_3)
	v_lshlrev_b32_e32 v13, 20, v13
	v_lshl_add_u32 v18, v18, 23, 0x3c000000
	v_and_b32_e32 v19, 0x80000000, v19
	s_delay_alu instid0(VALU_DEP_1) | instskip(NEXT) | instid1(VALU_DEP_1)
	v_or3_b32 v13, v13, v19, v18
	v_dual_mov_b32 v19, v14 :: v_dual_mov_b32 v18, v13
.LBB227_209:                            ;   in Loop: Header=BB227_168 Depth=1
	s_or_b32 exec_lo, exec_lo, s21
.LBB227_210:                            ;   in Loop: Header=BB227_168 Depth=1
	s_delay_alu instid0(SALU_CYCLE_1)
	s_or_b32 exec_lo, exec_lo, s20
.LBB227_211:                            ;   in Loop: Header=BB227_168 Depth=1
	s_delay_alu instid0(SALU_CYCLE_1) | instskip(SKIP_2) | instid1(VALU_DEP_1)
	s_or_b32 exec_lo, exec_lo, s2
	v_lshrrev_b16 v13, 8, v41
	s_mov_b32 s20, exec_lo
	v_cmpx_ne_u16_e32 0, v13
	s_cbranch_execz .LBB227_219
; %bb.212:                              ;   in Loop: Header=BB227_168 Depth=1
	v_dual_mov_b32 v21, s9 :: v_dual_mov_b32 v20, s8
	s_mov_b32 s21, exec_lo
	v_cmpx_ne_u16_e32 0x80, v13
	s_cbranch_execz .LBB227_218
; %bb.213:                              ;   in Loop: Header=BB227_168 Depth=1
	s_mov_b32 s2, s8
	v_and_b32_e32 v13, 0xffff, v13
	v_dual_mov_b32 v21, s3 :: v_dual_mov_b32 v20, s2
	s_mov_b32 s2, exec_lo
	s_delay_alu instid0(VALU_DEP_2) | instskip(NEXT) | instid1(VALU_DEP_1)
	v_and_b32_e32 v22, 0x7f, v13
	v_cmpx_ne_u32_e32 0x7f, v22
	s_cbranch_execz .LBB227_217
; %bb.214:                              ;   in Loop: Header=BB227_168 Depth=1
	v_and_b32_e32 v13, 7, v13
	v_lshrrev_b32_e32 v20, 3, v22
	s_mov_b32 s22, exec_lo
	v_cmpx_gt_u32_e32 8, v22
; %bb.215:                              ;   in Loop: Header=BB227_168 Depth=1
	s_delay_alu instid0(VALU_DEP_3) | instskip(NEXT) | instid1(VALU_DEP_1)
	v_clz_i32_u32_e32 v20, v13
	v_min_u32_e32 v20, 32, v20
	s_delay_alu instid0(VALU_DEP_1) | instskip(SKIP_1) | instid1(VALU_DEP_2)
	v_subrev_nc_u32_e32 v21, 28, v20
	v_sub_nc_u32_e32 v20, 29, v20
	v_lshlrev_b64 v[21:22], v21, v[13:14]
	s_delay_alu instid0(VALU_DEP_1)
	v_and_b32_e32 v13, 7, v21
; %bb.216:                              ;   in Loop: Header=BB227_168 Depth=1
	s_or_b32 exec_lo, exec_lo, s22
	v_lshlrev_b32_e32 v21, 16, v41
	s_delay_alu instid0(VALU_DEP_2) | instskip(SKIP_1) | instid1(VALU_DEP_3)
	v_lshlrev_b32_e32 v13, 20, v13
	v_lshl_add_u32 v20, v20, 23, 0x3c000000
	v_and_b32_e32 v21, 0x80000000, v21
	s_delay_alu instid0(VALU_DEP_1)
	v_or3_b32 v21, v13, v21, v20
	v_mov_b32_e32 v20, v14
.LBB227_217:                            ;   in Loop: Header=BB227_168 Depth=1
	s_or_b32 exec_lo, exec_lo, s2
.LBB227_218:                            ;   in Loop: Header=BB227_168 Depth=1
	s_delay_alu instid0(SALU_CYCLE_1)
	s_or_b32 exec_lo, exec_lo, s21
.LBB227_219:                            ;   in Loop: Header=BB227_168 Depth=1
	s_delay_alu instid0(SALU_CYCLE_1) | instskip(SKIP_3) | instid1(VALU_DEP_2)
	s_or_b32 exec_lo, exec_lo, s20
	v_lshrrev_b32_e32 v42, 16, v41
	v_mov_b32_e32 v24, 0
	v_mov_b32_e32 v25, 0
	v_mov_b32_e32 v22, v24
	s_mov_b32 s2, exec_lo
	v_and_b32_e32 v13, 0xff, v42
	s_delay_alu instid0(VALU_DEP_3) | instskip(NEXT) | instid1(VALU_DEP_2)
	v_mov_b32_e32 v23, v25
	v_cmpx_ne_u16_e32 0, v13
	s_cbranch_execz .LBB227_227
; %bb.220:                              ;   in Loop: Header=BB227_168 Depth=1
	v_bfrev_b32_e32 v22, 1
	v_mov_b32_e32 v23, 0
	s_mov_b32 s20, exec_lo
	v_cmpx_ne_u16_e32 0x80, v13
	s_cbranch_execz .LBB227_226
; %bb.221:                              ;   in Loop: Header=BB227_168 Depth=1
	v_mov_b32_e32 v22, 0x7f800001
	v_bfe_u32 v43, v41, 16, 7
	v_mov_b32_e32 v23, 0
	s_mov_b32 s21, exec_lo
	s_delay_alu instid0(VALU_DEP_2)
	v_cmpx_ne_u32_e32 0x7f, v43
	s_cbranch_execz .LBB227_225
; %bb.222:                              ;   in Loop: Header=BB227_168 Depth=1
	v_and_b32_e32 v13, 7, v42
	v_lshrrev_b32_e32 v22, 3, v43
	s_mov_b32 s22, exec_lo
	v_cmpx_gt_u32_e32 8, v43
; %bb.223:                              ;   in Loop: Header=BB227_168 Depth=1
	s_delay_alu instid0(VALU_DEP_3) | instskip(NEXT) | instid1(VALU_DEP_1)
	v_clz_i32_u32_e32 v22, v13
	v_min_u32_e32 v22, 32, v22
	s_delay_alu instid0(VALU_DEP_1) | instskip(SKIP_1) | instid1(VALU_DEP_2)
	v_subrev_nc_u32_e32 v23, 28, v22
	v_sub_nc_u32_e32 v22, 29, v22
	v_lshlrev_b64 v[43:44], v23, v[13:14]
	s_delay_alu instid0(VALU_DEP_1)
	v_and_b32_e32 v13, 7, v43
; %bb.224:                              ;   in Loop: Header=BB227_168 Depth=1
	s_or_b32 exec_lo, exec_lo, s22
	v_lshlrev_b32_e32 v23, 24, v42
	s_delay_alu instid0(VALU_DEP_2) | instskip(SKIP_1) | instid1(VALU_DEP_3)
	v_lshlrev_b32_e32 v13, 20, v13
	v_lshl_add_u32 v22, v22, 23, 0x3c000000
	v_and_b32_e32 v23, 0x80000000, v23
	s_delay_alu instid0(VALU_DEP_1) | instskip(NEXT) | instid1(VALU_DEP_1)
	v_or3_b32 v13, v13, v23, v22
	v_dual_mov_b32 v23, v14 :: v_dual_mov_b32 v22, v13
.LBB227_225:                            ;   in Loop: Header=BB227_168 Depth=1
	s_or_b32 exec_lo, exec_lo, s21
.LBB227_226:                            ;   in Loop: Header=BB227_168 Depth=1
	s_delay_alu instid0(SALU_CYCLE_1)
	s_or_b32 exec_lo, exec_lo, s20
.LBB227_227:                            ;   in Loop: Header=BB227_168 Depth=1
	s_delay_alu instid0(SALU_CYCLE_1) | instskip(NEXT) | instid1(SALU_CYCLE_1)
	s_or_b32 exec_lo, exec_lo, s2
	s_mov_b32 s20, exec_lo
	v_cmpx_lt_u32_e32 0xffffff, v41
	s_cbranch_execz .LBB227_235
; %bb.228:                              ;   in Loop: Header=BB227_168 Depth=1
	v_lshrrev_b32_e32 v42, 24, v41
	v_dual_mov_b32 v25, s9 :: v_dual_mov_b32 v24, s8
	s_mov_b32 s21, exec_lo
	s_delay_alu instid0(VALU_DEP_2)
	v_cmpx_ne_u32_e32 0x80, v42
	s_cbranch_execz .LBB227_234
; %bb.229:                              ;   in Loop: Header=BB227_168 Depth=1
	s_mov_b32 s2, s8
	v_bfe_u32 v41, v41, 24, 7
	v_dual_mov_b32 v25, s3 :: v_dual_mov_b32 v24, s2
	s_mov_b32 s2, exec_lo
	s_delay_alu instid0(VALU_DEP_2)
	v_cmpx_ne_u32_e32 0x7f, v41
	s_cbranch_execz .LBB227_233
; %bb.230:                              ;   in Loop: Header=BB227_168 Depth=1
	v_and_b32_e32 v13, 7, v42
	v_lshrrev_b32_e32 v24, 3, v41
	s_mov_b32 s22, exec_lo
	v_cmpx_gt_u32_e32 8, v41
; %bb.231:                              ;   in Loop: Header=BB227_168 Depth=1
	s_delay_alu instid0(VALU_DEP_3) | instskip(NEXT) | instid1(VALU_DEP_1)
	v_clz_i32_u32_e32 v24, v13
	v_min_u32_e32 v24, 32, v24
	s_delay_alu instid0(VALU_DEP_1) | instskip(SKIP_1) | instid1(VALU_DEP_2)
	v_subrev_nc_u32_e32 v25, 28, v24
	v_sub_nc_u32_e32 v24, 29, v24
	v_lshlrev_b64 v[43:44], v25, v[13:14]
	s_delay_alu instid0(VALU_DEP_1)
	v_and_b32_e32 v13, 7, v43
; %bb.232:                              ;   in Loop: Header=BB227_168 Depth=1
	s_or_b32 exec_lo, exec_lo, s22
	v_lshlrev_b32_e32 v25, 24, v42
	s_delay_alu instid0(VALU_DEP_2) | instskip(SKIP_1) | instid1(VALU_DEP_3)
	v_lshlrev_b32_e32 v13, 20, v13
	v_lshl_add_u32 v24, v24, 23, 0x3c000000
	v_and_b32_e32 v25, 0x80000000, v25
	s_delay_alu instid0(VALU_DEP_1)
	v_or3_b32 v25, v13, v25, v24
	v_mov_b32_e32 v24, v14
.LBB227_233:                            ;   in Loop: Header=BB227_168 Depth=1
	s_or_b32 exec_lo, exec_lo, s2
.LBB227_234:                            ;   in Loop: Header=BB227_168 Depth=1
	s_delay_alu instid0(SALU_CYCLE_1)
	s_or_b32 exec_lo, exec_lo, s21
.LBB227_235:                            ;   in Loop: Header=BB227_168 Depth=1
	s_delay_alu instid0(SALU_CYCLE_1)
	s_or_b32 exec_lo, exec_lo, s20
	v_or_b32_e32 v13, v21, v19
	v_or_b32_e32 v18, v20, v18
	;; [unrolled: 1-line block ×4, first 2 shown]
	s_mov_b32 s20, s18
	s_delay_alu instid0(VALU_DEP_3) | instid1(SALU_CYCLE_1)
	v_dual_mul_f32 v44, s20, v13 :: v_dual_mul_f32 v43, s18, v18
	s_delay_alu instid0(VALU_DEP_2)
	v_dual_mul_f32 v41, s20, v19 :: v_dual_mul_f32 v42, s18, v20
	s_and_saveexec_b32 s2, vcc_lo
; %bb.236:                              ;   in Loop: Header=BB227_168 Depth=1
	v_cmp_gt_i32_e64 s0, s15, v37
	s_delay_alu instid0(VALU_DEP_1) | instskip(SKIP_1) | instid1(VALU_DEP_1)
	v_cndmask_b32_e64 v43, 0, v43, s0
	v_cmp_gt_i32_e64 s0, s15, v40
	v_cndmask_b32_e64 v44, 0, v44, s0
	v_cmp_gt_i32_e64 s0, s15, v39
	s_delay_alu instid0(VALU_DEP_1) | instskip(SKIP_1) | instid1(VALU_DEP_1)
	v_cndmask_b32_e64 v42, 0, v42, s0
	v_cmp_gt_i32_e64 s0, s15, v38
	v_cndmask_b32_e64 v41, 0, v41, s0
; %bb.237:                              ;   in Loop: Header=BB227_168 Depth=1
	s_or_b32 exec_lo, exec_lo, s2
	global_load_b32 v45, v[15:16], off offset:256
	v_mov_b32_e32 v20, 0
	v_mov_b32_e32 v21, 0
	s_delay_alu instid0(VALU_DEP_2) | instskip(SKIP_1) | instid1(VALU_DEP_2)
	v_mov_b32_e32 v18, v20
	s_mov_b32 s2, exec_lo
	v_mov_b32_e32 v19, v21
	s_waitcnt vmcnt(0)
	v_and_b32_e32 v13, 0xff, v45
	s_delay_alu instid0(VALU_DEP_1)
	v_cmpx_ne_u16_e32 0, v13
	s_cbranch_execz .LBB227_245
; %bb.238:                              ;   in Loop: Header=BB227_168 Depth=1
	v_bfrev_b32_e32 v18, 1
	v_mov_b32_e32 v19, 0
	s_mov_b32 s21, exec_lo
	v_cmpx_ne_u16_e32 0x80, v13
	s_cbranch_execz .LBB227_244
; %bb.239:                              ;   in Loop: Header=BB227_168 Depth=1
	v_mov_b32_e32 v18, 0x7f800001
	v_dual_mov_b32 v19, 0 :: v_dual_and_b32 v22, 0x7f, v45
	s_mov_b32 s22, exec_lo
	s_delay_alu instid0(VALU_DEP_1)
	v_cmpx_ne_u32_e32 0x7f, v22
	s_cbranch_execz .LBB227_243
; %bb.240:                              ;   in Loop: Header=BB227_168 Depth=1
	v_and_b32_e32 v13, 7, v45
	v_lshrrev_b32_e32 v18, 3, v22
	s_mov_b32 s23, exec_lo
	v_cmpx_gt_u32_e32 8, v22
; %bb.241:                              ;   in Loop: Header=BB227_168 Depth=1
	s_delay_alu instid0(VALU_DEP_3) | instskip(NEXT) | instid1(VALU_DEP_1)
	v_clz_i32_u32_e32 v18, v13
	v_min_u32_e32 v18, 32, v18
	s_delay_alu instid0(VALU_DEP_1) | instskip(SKIP_1) | instid1(VALU_DEP_2)
	v_subrev_nc_u32_e32 v19, 28, v18
	v_sub_nc_u32_e32 v18, 29, v18
	v_lshlrev_b64 v[22:23], v19, v[13:14]
	s_delay_alu instid0(VALU_DEP_1)
	v_and_b32_e32 v13, 7, v22
; %bb.242:                              ;   in Loop: Header=BB227_168 Depth=1
	s_or_b32 exec_lo, exec_lo, s23
	v_lshlrev_b32_e32 v19, 24, v45
	s_delay_alu instid0(VALU_DEP_2) | instskip(SKIP_1) | instid1(VALU_DEP_3)
	v_lshlrev_b32_e32 v13, 20, v13
	v_lshl_add_u32 v18, v18, 23, 0x3c000000
	v_and_b32_e32 v19, 0x80000000, v19
	s_delay_alu instid0(VALU_DEP_1) | instskip(NEXT) | instid1(VALU_DEP_1)
	v_or3_b32 v13, v13, v19, v18
	v_dual_mov_b32 v19, v14 :: v_dual_mov_b32 v18, v13
.LBB227_243:                            ;   in Loop: Header=BB227_168 Depth=1
	s_or_b32 exec_lo, exec_lo, s22
.LBB227_244:                            ;   in Loop: Header=BB227_168 Depth=1
	s_delay_alu instid0(SALU_CYCLE_1)
	s_or_b32 exec_lo, exec_lo, s21
.LBB227_245:                            ;   in Loop: Header=BB227_168 Depth=1
	s_delay_alu instid0(SALU_CYCLE_1) | instskip(SKIP_2) | instid1(VALU_DEP_1)
	s_or_b32 exec_lo, exec_lo, s2
	v_lshrrev_b16 v13, 8, v45
	s_mov_b32 s21, exec_lo
	v_cmpx_ne_u16_e32 0, v13
	s_cbranch_execz .LBB227_253
; %bb.246:                              ;   in Loop: Header=BB227_168 Depth=1
	v_dual_mov_b32 v21, s9 :: v_dual_mov_b32 v20, s8
	s_mov_b32 s22, exec_lo
	v_cmpx_ne_u16_e32 0x80, v13
	s_cbranch_execz .LBB227_252
; %bb.247:                              ;   in Loop: Header=BB227_168 Depth=1
	s_mov_b32 s2, s8
	v_and_b32_e32 v13, 0xffff, v13
	v_dual_mov_b32 v21, s3 :: v_dual_mov_b32 v20, s2
	s_mov_b32 s2, exec_lo
	s_delay_alu instid0(VALU_DEP_2) | instskip(NEXT) | instid1(VALU_DEP_1)
	v_and_b32_e32 v22, 0x7f, v13
	v_cmpx_ne_u32_e32 0x7f, v22
	s_cbranch_execz .LBB227_251
; %bb.248:                              ;   in Loop: Header=BB227_168 Depth=1
	v_and_b32_e32 v13, 7, v13
	v_lshrrev_b32_e32 v20, 3, v22
	s_mov_b32 s23, exec_lo
	v_cmpx_gt_u32_e32 8, v22
; %bb.249:                              ;   in Loop: Header=BB227_168 Depth=1
	s_delay_alu instid0(VALU_DEP_3) | instskip(NEXT) | instid1(VALU_DEP_1)
	v_clz_i32_u32_e32 v20, v13
	v_min_u32_e32 v20, 32, v20
	s_delay_alu instid0(VALU_DEP_1) | instskip(SKIP_1) | instid1(VALU_DEP_2)
	v_subrev_nc_u32_e32 v21, 28, v20
	v_sub_nc_u32_e32 v20, 29, v20
	v_lshlrev_b64 v[21:22], v21, v[13:14]
	s_delay_alu instid0(VALU_DEP_1)
	v_and_b32_e32 v13, 7, v21
; %bb.250:                              ;   in Loop: Header=BB227_168 Depth=1
	s_or_b32 exec_lo, exec_lo, s23
	v_lshlrev_b32_e32 v21, 16, v45
	s_delay_alu instid0(VALU_DEP_2) | instskip(SKIP_1) | instid1(VALU_DEP_3)
	v_lshlrev_b32_e32 v13, 20, v13
	v_lshl_add_u32 v20, v20, 23, 0x3c000000
	v_and_b32_e32 v21, 0x80000000, v21
	s_delay_alu instid0(VALU_DEP_1)
	v_or3_b32 v21, v13, v21, v20
	v_mov_b32_e32 v20, v14
.LBB227_251:                            ;   in Loop: Header=BB227_168 Depth=1
	s_or_b32 exec_lo, exec_lo, s2
.LBB227_252:                            ;   in Loop: Header=BB227_168 Depth=1
	s_delay_alu instid0(SALU_CYCLE_1)
	s_or_b32 exec_lo, exec_lo, s22
.LBB227_253:                            ;   in Loop: Header=BB227_168 Depth=1
	s_delay_alu instid0(SALU_CYCLE_1) | instskip(SKIP_3) | instid1(VALU_DEP_2)
	s_or_b32 exec_lo, exec_lo, s21
	v_lshrrev_b32_e32 v46, 16, v45
	v_mov_b32_e32 v24, 0
	v_mov_b32_e32 v25, 0
	;; [unrolled: 1-line block ×3, first 2 shown]
	s_mov_b32 s2, exec_lo
	v_and_b32_e32 v13, 0xff, v46
	s_delay_alu instid0(VALU_DEP_3) | instskip(NEXT) | instid1(VALU_DEP_2)
	v_mov_b32_e32 v23, v25
	v_cmpx_ne_u16_e32 0, v13
	s_cbranch_execz .LBB227_261
; %bb.254:                              ;   in Loop: Header=BB227_168 Depth=1
	v_bfrev_b32_e32 v22, 1
	v_mov_b32_e32 v23, 0
	s_mov_b32 s21, exec_lo
	v_cmpx_ne_u16_e32 0x80, v13
	s_cbranch_execz .LBB227_260
; %bb.255:                              ;   in Loop: Header=BB227_168 Depth=1
	v_mov_b32_e32 v22, 0x7f800001
	v_bfe_u32 v47, v45, 16, 7
	v_mov_b32_e32 v23, 0
	s_mov_b32 s22, exec_lo
	s_delay_alu instid0(VALU_DEP_2)
	v_cmpx_ne_u32_e32 0x7f, v47
	s_cbranch_execz .LBB227_259
; %bb.256:                              ;   in Loop: Header=BB227_168 Depth=1
	v_and_b32_e32 v13, 7, v46
	v_lshrrev_b32_e32 v22, 3, v47
	s_mov_b32 s23, exec_lo
	v_cmpx_gt_u32_e32 8, v47
; %bb.257:                              ;   in Loop: Header=BB227_168 Depth=1
	s_delay_alu instid0(VALU_DEP_3) | instskip(NEXT) | instid1(VALU_DEP_1)
	v_clz_i32_u32_e32 v22, v13
	v_min_u32_e32 v22, 32, v22
	s_delay_alu instid0(VALU_DEP_1) | instskip(SKIP_1) | instid1(VALU_DEP_2)
	v_subrev_nc_u32_e32 v23, 28, v22
	v_sub_nc_u32_e32 v22, 29, v22
	v_lshlrev_b64 v[47:48], v23, v[13:14]
	s_delay_alu instid0(VALU_DEP_1)
	v_and_b32_e32 v13, 7, v47
; %bb.258:                              ;   in Loop: Header=BB227_168 Depth=1
	s_or_b32 exec_lo, exec_lo, s23
	v_lshlrev_b32_e32 v23, 24, v46
	s_delay_alu instid0(VALU_DEP_2) | instskip(SKIP_1) | instid1(VALU_DEP_3)
	v_lshlrev_b32_e32 v13, 20, v13
	v_lshl_add_u32 v22, v22, 23, 0x3c000000
	v_and_b32_e32 v23, 0x80000000, v23
	s_delay_alu instid0(VALU_DEP_1) | instskip(NEXT) | instid1(VALU_DEP_1)
	v_or3_b32 v13, v13, v23, v22
	v_dual_mov_b32 v23, v14 :: v_dual_mov_b32 v22, v13
.LBB227_259:                            ;   in Loop: Header=BB227_168 Depth=1
	s_or_b32 exec_lo, exec_lo, s22
.LBB227_260:                            ;   in Loop: Header=BB227_168 Depth=1
	s_delay_alu instid0(SALU_CYCLE_1)
	s_or_b32 exec_lo, exec_lo, s21
.LBB227_261:                            ;   in Loop: Header=BB227_168 Depth=1
	s_delay_alu instid0(SALU_CYCLE_1) | instskip(NEXT) | instid1(SALU_CYCLE_1)
	s_or_b32 exec_lo, exec_lo, s2
	s_mov_b32 s21, exec_lo
	v_cmpx_lt_u32_e32 0xffffff, v45
	s_cbranch_execz .LBB227_269
; %bb.262:                              ;   in Loop: Header=BB227_168 Depth=1
	v_lshrrev_b32_e32 v46, 24, v45
	v_dual_mov_b32 v25, s9 :: v_dual_mov_b32 v24, s8
	s_mov_b32 s22, exec_lo
	s_delay_alu instid0(VALU_DEP_2)
	v_cmpx_ne_u32_e32 0x80, v46
	s_cbranch_execz .LBB227_268
; %bb.263:                              ;   in Loop: Header=BB227_168 Depth=1
	s_mov_b32 s2, s8
	v_bfe_u32 v45, v45, 24, 7
	v_dual_mov_b32 v25, s3 :: v_dual_mov_b32 v24, s2
	s_mov_b32 s2, exec_lo
	s_delay_alu instid0(VALU_DEP_2)
	v_cmpx_ne_u32_e32 0x7f, v45
	s_cbranch_execz .LBB227_267
; %bb.264:                              ;   in Loop: Header=BB227_168 Depth=1
	v_and_b32_e32 v13, 7, v46
	v_lshrrev_b32_e32 v24, 3, v45
	s_mov_b32 s23, exec_lo
	v_cmpx_gt_u32_e32 8, v45
; %bb.265:                              ;   in Loop: Header=BB227_168 Depth=1
	s_delay_alu instid0(VALU_DEP_3) | instskip(NEXT) | instid1(VALU_DEP_1)
	v_clz_i32_u32_e32 v24, v13
	v_min_u32_e32 v24, 32, v24
	s_delay_alu instid0(VALU_DEP_1) | instskip(SKIP_1) | instid1(VALU_DEP_2)
	v_subrev_nc_u32_e32 v25, 28, v24
	v_sub_nc_u32_e32 v24, 29, v24
	v_lshlrev_b64 v[47:48], v25, v[13:14]
	s_delay_alu instid0(VALU_DEP_1)
	v_and_b32_e32 v13, 7, v47
; %bb.266:                              ;   in Loop: Header=BB227_168 Depth=1
	s_or_b32 exec_lo, exec_lo, s23
	v_lshlrev_b32_e32 v25, 24, v46
	s_delay_alu instid0(VALU_DEP_2) | instskip(SKIP_1) | instid1(VALU_DEP_3)
	v_lshlrev_b32_e32 v13, 20, v13
	v_lshl_add_u32 v24, v24, 23, 0x3c000000
	v_and_b32_e32 v25, 0x80000000, v25
	s_delay_alu instid0(VALU_DEP_1)
	v_or3_b32 v25, v13, v25, v24
	v_mov_b32_e32 v24, v14
.LBB227_267:                            ;   in Loop: Header=BB227_168 Depth=1
	s_or_b32 exec_lo, exec_lo, s2
.LBB227_268:                            ;   in Loop: Header=BB227_168 Depth=1
	s_delay_alu instid0(SALU_CYCLE_1)
	s_or_b32 exec_lo, exec_lo, s22
.LBB227_269:                            ;   in Loop: Header=BB227_168 Depth=1
	s_delay_alu instid0(SALU_CYCLE_1) | instskip(SKIP_4) | instid1(VALU_DEP_3)
	s_or_b32 exec_lo, exec_lo, s21
	v_or_b32_e32 v13, v21, v19
	v_or_b32_e32 v18, v20, v18
	;; [unrolled: 1-line block ×4, first 2 shown]
	v_dual_mul_f32 v46, s20, v13 :: v_dual_mul_f32 v45, s18, v18
	s_delay_alu instid0(VALU_DEP_2)
	v_dual_mul_f32 v24, s20, v19 :: v_dual_mul_f32 v25, s18, v20
	s_and_saveexec_b32 s2, vcc_lo
; %bb.270:                              ;   in Loop: Header=BB227_168 Depth=1
	v_cmp_gt_i32_e64 s0, s15, v37
	s_delay_alu instid0(VALU_DEP_1) | instskip(SKIP_1) | instid1(VALU_DEP_1)
	v_cndmask_b32_e64 v45, 0, v45, s0
	v_cmp_gt_i32_e64 s0, s15, v40
	v_cndmask_b32_e64 v46, 0, v46, s0
	v_cmp_gt_i32_e64 s0, s15, v39
	s_delay_alu instid0(VALU_DEP_1) | instskip(SKIP_1) | instid1(VALU_DEP_1)
	v_cndmask_b32_e64 v25, 0, v25, s0
	v_cmp_gt_i32_e64 s0, s15, v38
	v_cndmask_b32_e64 v24, 0, v24, s0
; %bb.271:                              ;   in Loop: Header=BB227_168 Depth=1
	s_or_b32 exec_lo, exec_lo, s2
	global_load_b32 v47, v[15:16], off offset:384
	v_mov_b32_e32 v18, 0
	v_mov_b32_e32 v19, 0
	s_delay_alu instid0(VALU_DEP_2) | instskip(SKIP_2) | instid1(VALU_DEP_2)
	v_mov_b32_e32 v15, v18
	s_mov_b32 s2, exec_lo
	s_waitcnt vmcnt(0)
	v_dual_mov_b32 v16, v19 :: v_dual_and_b32 v13, 0xff, v47
	s_delay_alu instid0(VALU_DEP_1)
	v_cmpx_ne_u16_e32 0, v13
	s_cbranch_execz .LBB227_279
; %bb.272:                              ;   in Loop: Header=BB227_168 Depth=1
	v_bfrev_b32_e32 v15, 1
	v_mov_b32_e32 v16, 0
	s_mov_b32 s21, exec_lo
	v_cmpx_ne_u16_e32 0x80, v13
	s_cbranch_execz .LBB227_278
; %bb.273:                              ;   in Loop: Header=BB227_168 Depth=1
	v_mov_b32_e32 v15, 0x7f800001
	v_and_b32_e32 v20, 0x7f, v47
	v_mov_b32_e32 v16, 0
	s_mov_b32 s22, exec_lo
	s_delay_alu instid0(VALU_DEP_2)
	v_cmpx_ne_u32_e32 0x7f, v20
	s_cbranch_execz .LBB227_277
; %bb.274:                              ;   in Loop: Header=BB227_168 Depth=1
	v_and_b32_e32 v13, 7, v47
	v_lshrrev_b32_e32 v15, 3, v20
	s_mov_b32 s23, exec_lo
	v_cmpx_gt_u32_e32 8, v20
; %bb.275:                              ;   in Loop: Header=BB227_168 Depth=1
	s_delay_alu instid0(VALU_DEP_3) | instskip(NEXT) | instid1(VALU_DEP_1)
	v_clz_i32_u32_e32 v15, v13
	v_min_u32_e32 v15, 32, v15
	s_delay_alu instid0(VALU_DEP_1) | instskip(SKIP_1) | instid1(VALU_DEP_2)
	v_subrev_nc_u32_e32 v16, 28, v15
	v_sub_nc_u32_e32 v15, 29, v15
	v_lshlrev_b64 v[20:21], v16, v[13:14]
	s_delay_alu instid0(VALU_DEP_1)
	v_and_b32_e32 v13, 7, v20
; %bb.276:                              ;   in Loop: Header=BB227_168 Depth=1
	s_or_b32 exec_lo, exec_lo, s23
	v_lshlrev_b32_e32 v16, 24, v47
	s_delay_alu instid0(VALU_DEP_2) | instskip(SKIP_1) | instid1(VALU_DEP_3)
	v_lshlrev_b32_e32 v13, 20, v13
	v_lshl_add_u32 v15, v15, 23, 0x3c000000
	v_and_b32_e32 v16, 0x80000000, v16
	s_delay_alu instid0(VALU_DEP_1) | instskip(NEXT) | instid1(VALU_DEP_1)
	v_or3_b32 v13, v13, v16, v15
	v_dual_mov_b32 v16, v14 :: v_dual_mov_b32 v15, v13
.LBB227_277:                            ;   in Loop: Header=BB227_168 Depth=1
	s_or_b32 exec_lo, exec_lo, s22
.LBB227_278:                            ;   in Loop: Header=BB227_168 Depth=1
	s_delay_alu instid0(SALU_CYCLE_1)
	s_or_b32 exec_lo, exec_lo, s21
.LBB227_279:                            ;   in Loop: Header=BB227_168 Depth=1
	s_delay_alu instid0(SALU_CYCLE_1) | instskip(SKIP_2) | instid1(VALU_DEP_1)
	s_or_b32 exec_lo, exec_lo, s2
	v_lshrrev_b16 v13, 8, v47
	s_mov_b32 s21, exec_lo
	v_cmpx_ne_u16_e32 0, v13
	s_cbranch_execz .LBB227_287
; %bb.280:                              ;   in Loop: Header=BB227_168 Depth=1
	v_dual_mov_b32 v19, s9 :: v_dual_mov_b32 v18, s8
	s_mov_b32 s22, exec_lo
	v_cmpx_ne_u16_e32 0x80, v13
	s_cbranch_execz .LBB227_286
; %bb.281:                              ;   in Loop: Header=BB227_168 Depth=1
	s_mov_b32 s2, s8
	v_and_b32_e32 v13, 0xffff, v13
	v_dual_mov_b32 v19, s3 :: v_dual_mov_b32 v18, s2
	s_mov_b32 s2, exec_lo
	s_delay_alu instid0(VALU_DEP_2) | instskip(NEXT) | instid1(VALU_DEP_1)
	v_and_b32_e32 v20, 0x7f, v13
	v_cmpx_ne_u32_e32 0x7f, v20
	s_cbranch_execz .LBB227_285
; %bb.282:                              ;   in Loop: Header=BB227_168 Depth=1
	v_and_b32_e32 v13, 7, v13
	v_lshrrev_b32_e32 v18, 3, v20
	s_mov_b32 s23, exec_lo
	v_cmpx_gt_u32_e32 8, v20
; %bb.283:                              ;   in Loop: Header=BB227_168 Depth=1
	s_delay_alu instid0(VALU_DEP_3) | instskip(NEXT) | instid1(VALU_DEP_1)
	v_clz_i32_u32_e32 v18, v13
	v_min_u32_e32 v18, 32, v18
	s_delay_alu instid0(VALU_DEP_1) | instskip(SKIP_1) | instid1(VALU_DEP_2)
	v_subrev_nc_u32_e32 v19, 28, v18
	v_sub_nc_u32_e32 v18, 29, v18
	v_lshlrev_b64 v[19:20], v19, v[13:14]
	s_delay_alu instid0(VALU_DEP_1)
	v_and_b32_e32 v13, 7, v19
; %bb.284:                              ;   in Loop: Header=BB227_168 Depth=1
	s_or_b32 exec_lo, exec_lo, s23
	v_lshlrev_b32_e32 v19, 16, v47
	s_delay_alu instid0(VALU_DEP_2) | instskip(SKIP_1) | instid1(VALU_DEP_3)
	v_lshlrev_b32_e32 v13, 20, v13
	v_lshl_add_u32 v18, v18, 23, 0x3c000000
	v_and_b32_e32 v19, 0x80000000, v19
	s_delay_alu instid0(VALU_DEP_1)
	v_or3_b32 v19, v13, v19, v18
	v_mov_b32_e32 v18, v14
.LBB227_285:                            ;   in Loop: Header=BB227_168 Depth=1
	s_or_b32 exec_lo, exec_lo, s2
.LBB227_286:                            ;   in Loop: Header=BB227_168 Depth=1
	s_delay_alu instid0(SALU_CYCLE_1)
	s_or_b32 exec_lo, exec_lo, s22
.LBB227_287:                            ;   in Loop: Header=BB227_168 Depth=1
	s_delay_alu instid0(SALU_CYCLE_1) | instskip(SKIP_3) | instid1(VALU_DEP_2)
	s_or_b32 exec_lo, exec_lo, s21
	v_lshrrev_b32_e32 v48, 16, v47
	v_mov_b32_e32 v22, 0
	v_mov_b32_e32 v23, 0
	;; [unrolled: 1-line block ×3, first 2 shown]
	s_mov_b32 s2, exec_lo
	v_and_b32_e32 v13, 0xff, v48
	s_delay_alu instid0(VALU_DEP_3) | instskip(NEXT) | instid1(VALU_DEP_2)
	v_mov_b32_e32 v21, v23
	v_cmpx_ne_u16_e32 0, v13
	s_cbranch_execz .LBB227_295
; %bb.288:                              ;   in Loop: Header=BB227_168 Depth=1
	v_bfrev_b32_e32 v20, 1
	v_mov_b32_e32 v21, 0
	s_mov_b32 s21, exec_lo
	v_cmpx_ne_u16_e32 0x80, v13
	s_cbranch_execz .LBB227_294
; %bb.289:                              ;   in Loop: Header=BB227_168 Depth=1
	v_mov_b32_e32 v20, 0x7f800001
	v_bfe_u32 v49, v47, 16, 7
	v_mov_b32_e32 v21, 0
	s_mov_b32 s22, exec_lo
	s_delay_alu instid0(VALU_DEP_2)
	v_cmpx_ne_u32_e32 0x7f, v49
	s_cbranch_execz .LBB227_293
; %bb.290:                              ;   in Loop: Header=BB227_168 Depth=1
	v_and_b32_e32 v13, 7, v48
	v_lshrrev_b32_e32 v20, 3, v49
	s_mov_b32 s23, exec_lo
	v_cmpx_gt_u32_e32 8, v49
; %bb.291:                              ;   in Loop: Header=BB227_168 Depth=1
	s_delay_alu instid0(VALU_DEP_3) | instskip(NEXT) | instid1(VALU_DEP_1)
	v_clz_i32_u32_e32 v20, v13
	v_min_u32_e32 v20, 32, v20
	s_delay_alu instid0(VALU_DEP_1) | instskip(SKIP_1) | instid1(VALU_DEP_2)
	v_subrev_nc_u32_e32 v21, 28, v20
	v_sub_nc_u32_e32 v20, 29, v20
	v_lshlrev_b64 v[49:50], v21, v[13:14]
	s_delay_alu instid0(VALU_DEP_1)
	v_and_b32_e32 v13, 7, v49
; %bb.292:                              ;   in Loop: Header=BB227_168 Depth=1
	s_or_b32 exec_lo, exec_lo, s23
	v_lshlrev_b32_e32 v21, 24, v48
	s_delay_alu instid0(VALU_DEP_2) | instskip(SKIP_1) | instid1(VALU_DEP_3)
	v_lshlrev_b32_e32 v13, 20, v13
	v_lshl_add_u32 v20, v20, 23, 0x3c000000
	v_and_b32_e32 v21, 0x80000000, v21
	s_delay_alu instid0(VALU_DEP_1) | instskip(NEXT) | instid1(VALU_DEP_1)
	v_or3_b32 v13, v13, v21, v20
	v_dual_mov_b32 v21, v14 :: v_dual_mov_b32 v20, v13
.LBB227_293:                            ;   in Loop: Header=BB227_168 Depth=1
	s_or_b32 exec_lo, exec_lo, s22
.LBB227_294:                            ;   in Loop: Header=BB227_168 Depth=1
	s_delay_alu instid0(SALU_CYCLE_1)
	s_or_b32 exec_lo, exec_lo, s21
.LBB227_295:                            ;   in Loop: Header=BB227_168 Depth=1
	s_delay_alu instid0(SALU_CYCLE_1) | instskip(NEXT) | instid1(SALU_CYCLE_1)
	s_or_b32 exec_lo, exec_lo, s2
	s_mov_b32 s21, exec_lo
	v_cmpx_lt_u32_e32 0xffffff, v47
	s_cbranch_execz .LBB227_303
; %bb.296:                              ;   in Loop: Header=BB227_168 Depth=1
	v_lshrrev_b32_e32 v48, 24, v47
	v_dual_mov_b32 v23, s9 :: v_dual_mov_b32 v22, s8
	s_mov_b32 s22, exec_lo
	s_delay_alu instid0(VALU_DEP_2)
	v_cmpx_ne_u32_e32 0x80, v48
	s_cbranch_execz .LBB227_302
; %bb.297:                              ;   in Loop: Header=BB227_168 Depth=1
	s_mov_b32 s2, s8
	v_bfe_u32 v47, v47, 24, 7
	v_dual_mov_b32 v23, s3 :: v_dual_mov_b32 v22, s2
	s_mov_b32 s2, exec_lo
	s_delay_alu instid0(VALU_DEP_2)
	v_cmpx_ne_u32_e32 0x7f, v47
	s_cbranch_execz .LBB227_301
; %bb.298:                              ;   in Loop: Header=BB227_168 Depth=1
	v_and_b32_e32 v13, 7, v48
	v_lshrrev_b32_e32 v22, 3, v47
	s_mov_b32 s23, exec_lo
	v_cmpx_gt_u32_e32 8, v47
; %bb.299:                              ;   in Loop: Header=BB227_168 Depth=1
	s_delay_alu instid0(VALU_DEP_3) | instskip(NEXT) | instid1(VALU_DEP_1)
	v_clz_i32_u32_e32 v22, v13
	v_min_u32_e32 v22, 32, v22
	s_delay_alu instid0(VALU_DEP_1) | instskip(SKIP_1) | instid1(VALU_DEP_2)
	v_subrev_nc_u32_e32 v23, 28, v22
	v_sub_nc_u32_e32 v22, 29, v22
	v_lshlrev_b64 v[49:50], v23, v[13:14]
	s_delay_alu instid0(VALU_DEP_1)
	v_and_b32_e32 v13, 7, v49
; %bb.300:                              ;   in Loop: Header=BB227_168 Depth=1
	s_or_b32 exec_lo, exec_lo, s23
	v_lshlrev_b32_e32 v23, 24, v48
	s_delay_alu instid0(VALU_DEP_2) | instskip(SKIP_1) | instid1(VALU_DEP_3)
	v_lshlrev_b32_e32 v13, 20, v13
	v_lshl_add_u32 v22, v22, 23, 0x3c000000
	v_and_b32_e32 v23, 0x80000000, v23
	s_delay_alu instid0(VALU_DEP_1)
	v_or3_b32 v23, v13, v23, v22
	v_mov_b32_e32 v22, v14
.LBB227_301:                            ;   in Loop: Header=BB227_168 Depth=1
	s_or_b32 exec_lo, exec_lo, s2
.LBB227_302:                            ;   in Loop: Header=BB227_168 Depth=1
	s_delay_alu instid0(SALU_CYCLE_1)
	s_or_b32 exec_lo, exec_lo, s22
.LBB227_303:                            ;   in Loop: Header=BB227_168 Depth=1
	s_delay_alu instid0(SALU_CYCLE_1) | instskip(SKIP_4) | instid1(VALU_DEP_4)
	s_or_b32 exec_lo, exec_lo, s21
	v_or_b32_e32 v13, v19, v16
	v_or_b32_e32 v15, v18, v15
	;; [unrolled: 1-line block ×4, first 2 shown]
	v_mul_f32_e32 v18, s20, v13
	s_delay_alu instid0(VALU_DEP_4) | instskip(NEXT) | instid1(VALU_DEP_4)
	v_mul_f32_e32 v16, s18, v15
	v_mul_f32_e32 v13, s20, v19
	s_delay_alu instid0(VALU_DEP_4)
	v_mul_f32_e32 v15, s18, v20
	s_and_saveexec_b32 s0, vcc_lo
	s_cbranch_execz .LBB227_166
; %bb.304:                              ;   in Loop: Header=BB227_168 Depth=1
	v_cmp_gt_i32_e32 vcc_lo, s15, v37
	v_cndmask_b32_e32 v16, 0, v16, vcc_lo
	v_cmp_gt_i32_e32 vcc_lo, s15, v40
	v_cndmask_b32_e32 v18, 0, v18, vcc_lo
	;; [unrolled: 2-line block ×4, first 2 shown]
	s_branch .LBB227_166
.LBB227_305:
	s_or_b32 exec_lo, exec_lo, s10
.LBB227_306:
	s_delay_alu instid0(SALU_CYCLE_1)
	s_or_b32 exec_lo, exec_lo, s1
	ds_bpermute_b32 v5, v27, v1
	ds_bpermute_b32 v6, v27, v2
	;; [unrolled: 1-line block ×4, first 2 shown]
	s_mov_b32 s0, exec_lo
	s_waitcnt lgkmcnt(0)
	s_waitcnt_vscnt null, 0x0
	s_barrier
	buffer_gl0_inv
	v_dual_add_f32 v1, v1, v5 :: v_dual_add_f32 v2, v2, v6
	v_dual_add_f32 v6, v3, v7 :: v_dual_add_f32 v7, v4, v8
	v_lshrrev_b32_e32 v5, 2, v26
	ds_bpermute_b32 v3, v28, v1
	ds_bpermute_b32 v8, v28, v2
	;; [unrolled: 1-line block ×4, first 2 shown]
	s_waitcnt lgkmcnt(3)
	v_dual_add_f32 v4, v1, v3 :: v_dual_and_b32 v11, 0x3c3, v0
	s_waitcnt lgkmcnt(2)
	v_add_f32_e32 v3, v2, v8
	s_waitcnt lgkmcnt(0)
	v_dual_add_f32 v2, v6, v9 :: v_dual_add_f32 v1, v7, v10
	v_cmpx_eq_u32_e32 64, v11
	s_cbranch_execz .LBB227_308
; %bb.307:
	v_lshl_add_u32 v6, v57, 7, 0xa0
	v_lshlrev_b32_e32 v7, 2, v5
	s_delay_alu instid0(VALU_DEP_1)
	v_add3_u32 v6, v6, v7, 0xffffff00
	ds_store_2addr_b32 v6, v4, v3 offset1:8
	ds_store_2addr_b32 v6, v2, v1 offset0:16 offset1:24
.LBB227_308:
	s_or_b32 exec_lo, exec_lo, s0
	v_and_b32_e32 v6, 0x3e0, v0
	v_cmp_eq_u32_e32 vcc_lo, 0, v29
	s_mov_b32 s1, exec_lo
	s_waitcnt lgkmcnt(0)
	s_barrier
	v_lshl_add_u32 v6, v6, 2, 0xa0
	buffer_gl0_inv
	v_cmpx_gt_u32_e32 64, v0
	s_cbranch_execz .LBB227_315
; %bb.309:
	s_and_saveexec_b32 s0, vcc_lo
	s_cbranch_execnz .LBB227_327
; %bb.310:
	s_or_b32 exec_lo, exec_lo, s0
	s_and_saveexec_b32 s0, vcc_lo
	s_cbranch_execnz .LBB227_328
.LBB227_311:
	s_or_b32 exec_lo, exec_lo, s0
	s_and_saveexec_b32 s0, vcc_lo
	s_cbranch_execnz .LBB227_329
.LBB227_312:
	s_or_b32 exec_lo, exec_lo, s0
	s_and_saveexec_b32 s0, vcc_lo
	s_cbranch_execz .LBB227_314
.LBB227_313:
	v_lshl_add_u32 v7, v5, 2, v6
	ds_load_b32 v7, v7 offset:96
	s_waitcnt lgkmcnt(0)
	v_add_f32_e32 v1, v1, v7
.LBB227_314:
	s_or_b32 exec_lo, exec_lo, s0
.LBB227_315:
	s_delay_alu instid0(SALU_CYCLE_1)
	s_or_b32 exec_lo, exec_lo, s1
	v_and_b32_e32 v7, 0x3e3, v0
	s_mov_b32 s1, exec_lo
	s_barrier
	buffer_gl0_inv
	v_cmpx_eq_u32_e32 32, v7
	s_cbranch_execz .LBB227_317
; %bb.316:
	v_lshl_add_u32 v8, v5, 2, 0xa0
	ds_store_2addr_b32 v8, v4, v3 offset1:8
	ds_store_2addr_b32 v8, v2, v1 offset0:16 offset1:24
.LBB227_317:
	s_or_b32 exec_lo, exec_lo, s1
	s_delay_alu instid0(SALU_CYCLE_1)
	s_mov_b32 s1, exec_lo
	s_waitcnt lgkmcnt(0)
	s_barrier
	buffer_gl0_inv
	v_cmpx_gt_u32_e32 32, v0
	s_cbranch_execz .LBB227_324
; %bb.318:
	v_lshl_add_u32 v5, v5, 2, v6
	s_and_saveexec_b32 s0, vcc_lo
	s_cbranch_execnz .LBB227_330
; %bb.319:
	s_or_b32 exec_lo, exec_lo, s0
	s_and_saveexec_b32 s0, vcc_lo
	s_cbranch_execnz .LBB227_331
.LBB227_320:
	s_or_b32 exec_lo, exec_lo, s0
	s_and_saveexec_b32 s0, vcc_lo
	s_cbranch_execnz .LBB227_332
.LBB227_321:
	s_or_b32 exec_lo, exec_lo, s0
	s_and_saveexec_b32 s0, vcc_lo
	s_cbranch_execz .LBB227_323
.LBB227_322:
	ds_load_b32 v5, v5 offset:96
	s_waitcnt lgkmcnt(0)
	v_add_f32_e32 v1, v1, v5
.LBB227_323:
	s_or_b32 exec_lo, exec_lo, s0
.LBB227_324:
	s_delay_alu instid0(SALU_CYCLE_1)
	s_or_b32 exec_lo, exec_lo, s1
	s_barrier
	buffer_gl0_inv
	s_mov_b32 s0, exec_lo
	v_cmpx_eq_u32_e32 0, v7
	s_cbranch_execz .LBB227_326
; %bb.325:
	s_lshl_b32 s0, s4, 5
	s_mul_i32 s2, s13, s12
	s_ashr_i32 s1, s0, 31
	s_delay_alu instid0(SALU_CYCLE_1) | instskip(NEXT) | instid1(SALU_CYCLE_1)
	s_lshl_b64 s[0:1], s[0:1], 2
	s_add_u32 s4, s24, s0
	s_addc_u32 s5, s25, s1
	s_ashr_i32 s3, s2, 31
	s_delay_alu instid0(SALU_CYCLE_1) | instskip(NEXT) | instid1(SALU_CYCLE_1)
	s_lshl_b64 s[0:1], s[2:3], 2
	s_add_u32 s2, s4, s0
	s_addc_u32 s3, s5, s1
	;; [unrolled: 5-line block ×3, first 2 shown]
	s_clause 0x3
	global_store_b32 v0, v4, s[0:1]
	global_store_b32 v0, v3, s[0:1] offset:32
	global_store_b32 v0, v2, s[0:1] offset:64
	;; [unrolled: 1-line block ×3, first 2 shown]
.LBB227_326:
	s_nop 0
	s_sendmsg sendmsg(MSG_DEALLOC_VGPRS)
	s_endpgm
.LBB227_327:
	v_lshl_add_u32 v7, v5, 2, v6
	ds_load_b32 v7, v7
	s_waitcnt lgkmcnt(0)
	v_add_f32_e32 v4, v4, v7
	s_or_b32 exec_lo, exec_lo, s0
	s_and_saveexec_b32 s0, vcc_lo
	s_cbranch_execz .LBB227_311
.LBB227_328:
	v_lshl_add_u32 v7, v5, 2, v6
	ds_load_b32 v7, v7 offset:32
	s_waitcnt lgkmcnt(0)
	v_add_f32_e32 v3, v3, v7
	s_or_b32 exec_lo, exec_lo, s0
	s_and_saveexec_b32 s0, vcc_lo
	s_cbranch_execz .LBB227_312
.LBB227_329:
	v_lshl_add_u32 v7, v5, 2, v6
	ds_load_b32 v7, v7 offset:64
	s_waitcnt lgkmcnt(0)
	v_add_f32_e32 v2, v2, v7
	s_or_b32 exec_lo, exec_lo, s0
	s_and_saveexec_b32 s0, vcc_lo
	s_cbranch_execnz .LBB227_313
	s_branch .LBB227_314
.LBB227_330:
	ds_load_b32 v6, v5
	s_waitcnt lgkmcnt(0)
	v_add_f32_e32 v4, v4, v6
	s_or_b32 exec_lo, exec_lo, s0
	s_and_saveexec_b32 s0, vcc_lo
	s_cbranch_execz .LBB227_320
.LBB227_331:
	ds_load_b32 v6, v5 offset:32
	s_waitcnt lgkmcnt(0)
	v_add_f32_e32 v3, v3, v6
	s_or_b32 exec_lo, exec_lo, s0
	s_and_saveexec_b32 s0, vcc_lo
	s_cbranch_execz .LBB227_321
.LBB227_332:
	ds_load_b32 v6, v5 offset:64
	s_waitcnt lgkmcnt(0)
	v_add_f32_e32 v2, v2, v6
	s_or_b32 exec_lo, exec_lo, s0
	s_and_saveexec_b32 s0, vcc_lo
	s_cbranch_execnz .LBB227_322
	s_branch .LBB227_323
	.section	.rodata,"a",@progbits
	.p2align	6, 0x0
	.amdhsa_kernel _ZN4vllm25paged_attention_v2_kernelIfhLi32ELi16ELi128ELNS_18Fp8KVCacheDataTypeE1ELb1ELi512EEEvPfS2_PT_PKS3_PKT0_S9_ifPKiSB_iPKfiiiSD_SD_iiiii
		.amdhsa_group_segment_fixed_size 160
		.amdhsa_private_segment_fixed_size 0
		.amdhsa_kernarg_size 400
		.amdhsa_user_sgpr_count 13
		.amdhsa_user_sgpr_dispatch_ptr 0
		.amdhsa_user_sgpr_queue_ptr 0
		.amdhsa_user_sgpr_kernarg_segment_ptr 1
		.amdhsa_user_sgpr_dispatch_id 0
		.amdhsa_user_sgpr_private_segment_size 0
		.amdhsa_wavefront_size32 1
		.amdhsa_uses_dynamic_stack 0
		.amdhsa_enable_private_segment 0
		.amdhsa_system_sgpr_workgroup_id_x 1
		.amdhsa_system_sgpr_workgroup_id_y 1
		.amdhsa_system_sgpr_workgroup_id_z 1
		.amdhsa_system_sgpr_workgroup_info 0
		.amdhsa_system_vgpr_workitem_id 0
		.amdhsa_next_free_vgpr 74
		.amdhsa_next_free_sgpr 56
		.amdhsa_reserve_vcc 1
		.amdhsa_float_round_mode_32 0
		.amdhsa_float_round_mode_16_64 0
		.amdhsa_float_denorm_mode_32 3
		.amdhsa_float_denorm_mode_16_64 3
		.amdhsa_dx10_clamp 1
		.amdhsa_ieee_mode 1
		.amdhsa_fp16_overflow 0
		.amdhsa_workgroup_processor_mode 1
		.amdhsa_memory_ordered 1
		.amdhsa_forward_progress 0
		.amdhsa_shared_vgpr_count 0
		.amdhsa_exception_fp_ieee_invalid_op 0
		.amdhsa_exception_fp_denorm_src 0
		.amdhsa_exception_fp_ieee_div_zero 0
		.amdhsa_exception_fp_ieee_overflow 0
		.amdhsa_exception_fp_ieee_underflow 0
		.amdhsa_exception_fp_ieee_inexact 0
		.amdhsa_exception_int_div_zero 0
	.end_amdhsa_kernel
	.section	.text._ZN4vllm25paged_attention_v2_kernelIfhLi32ELi16ELi128ELNS_18Fp8KVCacheDataTypeE1ELb1ELi512EEEvPfS2_PT_PKS3_PKT0_S9_ifPKiSB_iPKfiiiSD_SD_iiiii,"axG",@progbits,_ZN4vllm25paged_attention_v2_kernelIfhLi32ELi16ELi128ELNS_18Fp8KVCacheDataTypeE1ELb1ELi512EEEvPfS2_PT_PKS3_PKT0_S9_ifPKiSB_iPKfiiiSD_SD_iiiii,comdat
.Lfunc_end227:
	.size	_ZN4vllm25paged_attention_v2_kernelIfhLi32ELi16ELi128ELNS_18Fp8KVCacheDataTypeE1ELb1ELi512EEEvPfS2_PT_PKS3_PKT0_S9_ifPKiSB_iPKfiiiSD_SD_iiiii, .Lfunc_end227-_ZN4vllm25paged_attention_v2_kernelIfhLi32ELi16ELi128ELNS_18Fp8KVCacheDataTypeE1ELb1ELi512EEEvPfS2_PT_PKS3_PKT0_S9_ifPKiSB_iPKfiiiSD_SD_iiiii
                                        ; -- End function
	.section	.AMDGPU.csdata,"",@progbits
; Kernel info:
; codeLenInByte = 12784
; NumSgprs: 58
; NumVgprs: 74
; ScratchSize: 0
; MemoryBound: 0
; FloatMode: 240
; IeeeMode: 1
; LDSByteSize: 160 bytes/workgroup (compile time only)
; SGPRBlocks: 7
; VGPRBlocks: 9
; NumSGPRsForWavesPerEU: 58
; NumVGPRsForWavesPerEU: 74
; Occupancy: 16
; WaveLimiterHint : 1
; COMPUTE_PGM_RSRC2:SCRATCH_EN: 0
; COMPUTE_PGM_RSRC2:USER_SGPR: 13
; COMPUTE_PGM_RSRC2:TRAP_HANDLER: 0
; COMPUTE_PGM_RSRC2:TGID_X_EN: 1
; COMPUTE_PGM_RSRC2:TGID_Y_EN: 1
; COMPUTE_PGM_RSRC2:TGID_Z_EN: 1
; COMPUTE_PGM_RSRC2:TIDIG_COMP_CNT: 0
	.section	.text._ZN4vllm25paged_attention_v2_kernelIfhLi64ELi16ELi128ELNS_18Fp8KVCacheDataTypeE1ELb1ELi512EEEvPfS2_PT_PKS3_PKT0_S9_ifPKiSB_iPKfiiiSD_SD_iiiii,"axG",@progbits,_ZN4vllm25paged_attention_v2_kernelIfhLi64ELi16ELi128ELNS_18Fp8KVCacheDataTypeE1ELb1ELi512EEEvPfS2_PT_PKS3_PKT0_S9_ifPKiSB_iPKfiiiSD_SD_iiiii,comdat
	.protected	_ZN4vllm25paged_attention_v2_kernelIfhLi64ELi16ELi128ELNS_18Fp8KVCacheDataTypeE1ELb1ELi512EEEvPfS2_PT_PKS3_PKT0_S9_ifPKiSB_iPKfiiiSD_SD_iiiii ; -- Begin function _ZN4vllm25paged_attention_v2_kernelIfhLi64ELi16ELi128ELNS_18Fp8KVCacheDataTypeE1ELb1ELi512EEEvPfS2_PT_PKS3_PKT0_S9_ifPKiSB_iPKfiiiSD_SD_iiiii
	.globl	_ZN4vllm25paged_attention_v2_kernelIfhLi64ELi16ELi128ELNS_18Fp8KVCacheDataTypeE1ELb1ELi512EEEvPfS2_PT_PKS3_PKT0_S9_ifPKiSB_iPKfiiiSD_SD_iiiii
	.p2align	8
	.type	_ZN4vllm25paged_attention_v2_kernelIfhLi64ELi16ELi128ELNS_18Fp8KVCacheDataTypeE1ELb1ELi512EEEvPfS2_PT_PKS3_PKT0_S9_ifPKiSB_iPKfiiiSD_SD_iiiii,@function
_ZN4vllm25paged_attention_v2_kernelIfhLi64ELi16ELi128ELNS_18Fp8KVCacheDataTypeE1ELb1ELi512EEEvPfS2_PT_PKS3_PKT0_S9_ifPKiSB_iPKfiiiSD_SD_iiiii: ; @_ZN4vllm25paged_attention_v2_kernelIfhLi64ELi16ELi128ELNS_18Fp8KVCacheDataTypeE1ELb1ELi512EEEvPfS2_PT_PKS3_PKT0_S9_ifPKiSB_iPKfiiiSD_SD_iiiii
; %bb.0:
	s_load_b64 s[2:3], s[0:1], 0x40
	s_mov_b32 s12, s15
	s_ashr_i32 s15, s14, 31
	s_delay_alu instid0(SALU_CYCLE_1)
	s_lshl_b64 s[4:5], s[14:15], 2
	s_waitcnt lgkmcnt(0)
	s_add_u32 s2, s2, s4
	s_addc_u32 s3, s3, s5
	s_lshl_b32 s43, s12, 9
	s_load_b32 s33, s[2:3], 0x0
	s_waitcnt lgkmcnt(0)
	s_cmp_ge_i32 s43, s33
	s_cbranch_scc1 .LBB228_598
; %bb.1:
	s_mov_b32 s28, s13
	s_clause 0x1
	s_load_b32 s13, s[0:1], 0x90
	s_load_b64 s[38:39], s[0:1], 0x30
	s_mov_b32 s46, 0
	s_waitcnt lgkmcnt(0)
	s_abs_i32 s5, s13
	s_abs_i32 s2, s38
	s_delay_alu instid0(SALU_CYCLE_1) | instskip(SKIP_1) | instid1(VALU_DEP_1)
	v_cvt_f32_u32_e32 v1, s2
	s_sub_i32 s4, 0, s2
	v_rcp_iflag_f32_e32 v1, v1
	s_waitcnt_depctr 0xfff
	v_mul_f32_e32 v1, 0x4f7ffffe, v1
	s_delay_alu instid0(VALU_DEP_1) | instskip(NEXT) | instid1(VALU_DEP_1)
	v_cvt_u32_f32_e32 v1, v1
	v_readfirstlane_b32 s3, v1
	s_delay_alu instid0(VALU_DEP_1) | instskip(NEXT) | instid1(SALU_CYCLE_1)
	s_mul_i32 s4, s4, s3
	s_mul_hi_u32 s4, s3, s4
	s_delay_alu instid0(SALU_CYCLE_1) | instskip(SKIP_4) | instid1(SALU_CYCLE_1)
	s_add_i32 s3, s3, s4
	s_xor_b32 s4, s13, s38
	s_mul_hi_u32 s3, s5, s3
	s_ashr_i32 s4, s4, 31
	s_mul_i32 s6, s3, s2
	s_sub_i32 s5, s5, s6
	s_add_i32 s6, s3, 1
	s_sub_i32 s7, s5, s2
	s_cmp_ge_u32 s5, s2
	s_cselect_b32 s3, s6, s3
	s_cselect_b32 s5, s7, s5
	s_add_i32 s6, s3, 1
	s_cmp_ge_u32 s5, s2
	s_cselect_b32 s2, s6, s3
	s_abs_i32 s9, s28
	s_xor_b32 s2, s2, s4
	s_delay_alu instid0(SALU_CYCLE_1) | instskip(SKIP_2) | instid1(SALU_CYCLE_1)
	s_sub_i32 s11, s2, s4
	s_load_b64 s[2:3], s[0:1], 0x50
	s_abs_i32 s8, s11
	v_cvt_f32_u32_e32 v1, s8
	s_sub_i32 s5, 0, s8
	s_delay_alu instid0(VALU_DEP_1) | instskip(SKIP_2) | instid1(VALU_DEP_1)
	v_rcp_iflag_f32_e32 v1, v1
	s_waitcnt_depctr 0xfff
	v_mul_f32_e32 v1, 0x4f7ffffe, v1
	v_cvt_u32_f32_e32 v1, v1
	s_delay_alu instid0(VALU_DEP_1) | instskip(NEXT) | instid1(VALU_DEP_1)
	v_readfirstlane_b32 s4, v1
	s_mul_i32 s5, s5, s4
	s_delay_alu instid0(SALU_CYCLE_1) | instskip(NEXT) | instid1(SALU_CYCLE_1)
	s_mul_hi_u32 s5, s4, s5
	s_add_i32 s4, s4, s5
	s_waitcnt lgkmcnt(0)
	s_cmp_eq_u64 s[2:3], 0
	s_mul_hi_u32 s10, s9, s4
	s_cbranch_scc1 .LBB228_3
; %bb.2:
	s_ashr_i32 s29, s28, 31
	s_delay_alu instid0(SALU_CYCLE_1) | instskip(NEXT) | instid1(SALU_CYCLE_1)
	s_lshl_b64 s[4:5], s[28:29], 2
	s_add_u32 s2, s2, s4
	s_addc_u32 s3, s3, s5
	s_load_b32 s46, s[2:3], 0x0
.LBB228_3:
	s_load_b128 s[4:7], s[0:1], 0x58
	v_and_b32_e32 v1, 1, v0
	v_cmp_gt_u32_e64 s2, 32, v0
	v_lshlrev_b32_e32 v107, 2, v0
	s_ashr_i32 s3, s28, 31
	s_waitcnt lgkmcnt(0)
	s_ashr_i32 s7, s11, 31
	s_lshl_b32 s24, s28, 6
	s_and_saveexec_b32 s11, s2
	s_cbranch_execz .LBB228_5
; %bb.4:
	s_load_b64 s[16:17], s[0:1], 0x18
	s_mul_i32 s18, s14, s4
	v_lshlrev_b32_e32 v2, 3, v0
	s_ashr_i32 s19, s18, 31
	v_and_b32_e32 v4, 0xff8, v107
	s_lshl_b64 s[18:19], s[18:19], 2
	s_delay_alu instid0(VALU_DEP_1) | instskip(SKIP_4) | instid1(SALU_CYCLE_1)
	v_lshl_add_u32 v4, v1, 7, v4
	s_waitcnt lgkmcnt(0)
	s_add_u32 s4, s16, s18
	s_addc_u32 s15, s17, s19
	s_ashr_i32 s25, s24, 31
	s_lshl_b64 s[16:17], s[24:25], 2
	s_delay_alu instid0(SALU_CYCLE_1)
	s_add_u32 s16, s4, s16
	s_addc_u32 s17, s15, s17
	global_load_b64 v[2:3], v2, s[16:17]
	s_waitcnt vmcnt(0)
	ds_store_b64 v4, v[2:3]
.LBB228_5:
	s_or_b32 exec_lo, exec_lo, s11
	s_load_b128 s[16:19], s[0:1], 0x78
	s_mul_i32 s4, s10, s8
	s_xor_b32 s3, s3, s7
	s_sub_i32 s4, s9, s4
	s_add_i32 s7, s10, 1
	s_sub_i32 s9, s4, s8
	s_cmp_ge_u32 s4, s8
	s_waitcnt lgkmcnt(0)
	s_cselect_b32 s7, s7, s10
	s_cselect_b32 s4, s9, s4
	s_add_i32 s9, s7, 1
	s_cmp_ge_u32 s4, s8
	s_barrier
	s_cselect_b32 s4, s9, s7
	s_load_b32 s7, s[0:1], 0x88
	s_xor_b32 s4, s4, s3
	s_add_i32 s8, s33, -1
	s_sub_i32 s44, s4, s3
	s_abs_i32 s4, s8
	s_mov_b32 s9, -1
	s_abs_i32 s25, s19
	s_waitcnt lgkmcnt(0)
	buffer_gl0_inv
	v_cvt_f32_u32_e32 v2, s25
	s_sub_i32 s3, 0, s25
                                        ; implicit-def: $sgpr42
	s_delay_alu instid0(VALU_DEP_1) | instskip(SKIP_2) | instid1(VALU_DEP_1)
	v_rcp_iflag_f32_e32 v2, v2
	s_waitcnt_depctr 0xfff
	v_mul_f32_e32 v2, 0x4f7ffffe, v2
	v_cvt_u32_f32_e32 v2, v2
	s_delay_alu instid0(VALU_DEP_1) | instskip(NEXT) | instid1(VALU_DEP_1)
	v_readfirstlane_b32 s29, v2
	s_mul_i32 s3, s3, s29
	s_delay_alu instid0(SALU_CYCLE_1) | instskip(NEXT) | instid1(SALU_CYCLE_1)
	s_mul_hi_u32 s3, s29, s3
	s_add_i32 s29, s29, s3
	s_cmp_lt_i32 s7, 0
	s_mul_hi_u32 s3, s4, s29
	s_cbranch_scc0 .LBB228_7
; %bb.6:
	s_mul_i32 s9, s16, s38
	s_delay_alu instid0(SALU_CYCLE_1) | instskip(NEXT) | instid1(SALU_CYCLE_1)
	s_add_i32 s9, s44, s9
	s_mul_i32 s9, s9, s7
	s_delay_alu instid0(SALU_CYCLE_1)
	s_sub_i32 s42, 1, s9
	s_mov_b32 s9, 0
.LBB228_7:
	s_load_b64 s[30:31], s[0:1], 0x38
	s_ashr_i32 s34, s8, 31
	s_and_not1_b32 vcc_lo, exec_lo, s9
	s_ashr_i32 s19, s19, 31
	s_cbranch_vccnz .LBB228_9
; %bb.8:
	s_mul_i32 s8, s13, s16
	s_delay_alu instid0(SALU_CYCLE_1) | instskip(NEXT) | instid1(SALU_CYCLE_1)
	s_add_i32 s8, s8, s28
	s_mul_i32 s7, s8, s7
	s_delay_alu instid0(SALU_CYCLE_1)
	s_add_i32 s42, s7, 1
.LBB228_9:
	s_clause 0x5
	s_load_b32 s7, s[0:1], 0x48
	s_load_b64 s[36:37], s[0:1], 0x28
	s_load_b128 s[20:23], s[0:1], 0x0
	s_load_b64 s[26:27], s[0:1], 0x10
	s_load_b32 s15, s[0:1], 0x98
	s_load_b128 s[8:11], s[0:1], 0x68
	s_mul_i32 s16, s3, s25
	s_xor_b32 s40, s34, s19
	s_sub_i32 s4, s4, s16
	s_add_i32 s38, s3, 1
	v_lshrrev_b32_e32 v105, 5, v0
	v_mov_b32_e32 v109, 0xff7fffff
	v_mbcnt_lo_u32_b32 v108, -1, 0
	s_mul_i32 s44, s44, s6
	s_delay_alu instid0(VALU_DEP_3)
	v_lshl_add_u32 v106, v105, 4, s43
	s_waitcnt lgkmcnt(0)
	s_mul_i32 s34, s14, s7
	s_sub_i32 s7, s4, s25
	s_ashr_i32 s35, s34, 31
	s_cmp_ge_u32 s4, s25
	s_cselect_b32 s3, s38, s3
	s_cselect_b32 s4, s7, s4
	s_add_i32 s7, s3, 1
	s_cmp_ge_u32 s4, s25
	s_cselect_b32 s3, s7, s3
	s_add_i32 s4, s33, 15
	s_lshl_b32 s47, s12, 5
	s_ashr_i32 s7, s4, 31
	v_or_b32_e32 v33, s47, v105
	s_lshr_b32 s7, s7, 28
	s_delay_alu instid0(SALU_CYCLE_1)
	s_add_i32 s4, s4, s7
	s_add_i32 s7, s47, 32
	s_ashr_i32 s38, s4, 4
	s_xor_b32 s4, s3, s40
	s_min_i32 s16, s7, s38
	v_ashrrev_i32_e32 v34, 31, v33
	v_cmp_gt_i32_e64 s3, s16, v33
	s_sub_i32 s45, s4, s40
	s_delay_alu instid0(VALU_DEP_1)
	s_and_saveexec_b32 s48, s3
	s_cbranch_execz .LBB228_275
; %bb.10:
	s_load_b64 s[0:1], s[0:1], 0x20
	s_sub_i32 s49, s45, s17
	s_ashr_i32 s4, s44, 31
	v_bfe_u32 v110, v0, 1, 4
	v_cmp_eq_u32_e32 vcc_lo, 0, v1
	v_dual_mov_b32 v114, 0xff7fffff :: v_dual_lshlrev_b32 v111, 1, v1
	v_dual_mov_b32 v109, 0xff7fffff :: v_dual_lshlrev_b32 v112, 7, v1
	s_delay_alu instid0(VALU_DEP_4) | instskip(SKIP_3) | instid1(VALU_DEP_4)
	v_lshlrev_b32_e32 v4, 2, v110
	v_dual_mov_b32 v118, v33 :: v_dual_lshlrev_b32 v7, 4, v110
	v_subrev_nc_u32_e32 v5, s33, v110
	v_lshl_add_u32 v113, v105, 4, s43
	v_lshl_or_b32 v4, v105, 6, v4
	s_mov_b32 s6, 0
	s_brev_b32 s7, 1
	v_add_nc_u32_e32 v115, 1, v5
	s_mov_b32 s52, s6
	v_add_nc_u32_e32 v116, 0x120, v4
	s_waitcnt lgkmcnt(0)
	s_add_u32 s51, s0, s44
	s_addc_u32 s1, s1, s4
	s_abs_i32 s50, s18
	s_lshl_b64 s[40:41], s[34:35], 2
	v_cvt_f32_u32_e32 v2, s50
	s_sub_i32 s4, 0, s50
	v_cmp_neq_f32_e64 s0, s46, 0
	s_delay_alu instid0(VALU_DEP_2) | instskip(SKIP_3) | instid1(VALU_DEP_2)
	v_rcp_iflag_f32_e32 v2, v2
	s_waitcnt_depctr 0xfff
	v_dual_mov_b32 v36, 0 :: v_dual_mul_f32 v3, 0x4f7ffffe, v2
	v_lshlrev_b64 v[1:2], 2, v[33:34]
	v_cvt_u32_f32_e32 v3, v3
	s_delay_alu instid0(VALU_DEP_1) | instskip(SKIP_1) | instid1(VALU_DEP_1)
	v_mul_lo_u32 v6, s4, v3
	v_add_co_u32 v37, s4, s51, v7
	v_add_co_ci_u32_e64 v38, null, s1, 0, s4
	s_add_u32 s1, s30, s40
	s_addc_u32 s4, s31, s41
	v_add_co_u32 v39, s1, s1, v1
	s_delay_alu instid0(VALU_DEP_4) | instskip(SKIP_3) | instid1(VALU_DEP_2)
	v_mul_hi_u32 v4, v3, v6
	v_add_co_ci_u32_e64 v40, s1, s4, v2, s1
	s_mov_b32 s51, s5
	s_mov_b32 s41, 0x7f800001
	v_add_nc_u32_e32 v117, v3, v4
	s_branch .LBB228_13
.LBB228_11:                             ;   in Loop: Header=BB228_13 Depth=1
	s_or_b32 exec_lo, exec_lo, s40
.LBB228_12:                             ;   in Loop: Header=BB228_13 Depth=1
	s_delay_alu instid0(SALU_CYCLE_1) | instskip(SKIP_2) | instid1(VALU_DEP_1)
	s_or_b32 exec_lo, exec_lo, s4
	v_add_nc_u32_e32 v118, 4, v118
	v_add_co_u32 v39, s4, v39, 16
	v_add_co_ci_u32_e64 v40, s4, 0, v40, s4
	s_delay_alu instid0(VALU_DEP_3) | instskip(SKIP_2) | instid1(VALU_DEP_3)
	v_cmp_le_i32_e64 s1, s16, v118
	v_add_nc_u32_e32 v113, 64, v113
	v_add_nc_u32_e32 v116, 0x100, v116
	s_or_b32 s52, s1, s52
	s_delay_alu instid0(SALU_CYCLE_1)
	s_and_not1_b32 exec_lo, exec_lo, s52
	s_cbranch_execz .LBB228_274
.LBB228_13:                             ; =>This Inner Loop Header: Depth=1
	v_sub_nc_u32_e32 v1, 0, v113
	s_delay_alu instid0(VALU_DEP_1) | instskip(SKIP_1) | instid1(VALU_DEP_1)
	v_max_i32_e32 v1, v113, v1
	s_waitcnt lgkmcnt(0)
	v_mul_hi_u32 v2, v1, s29
	s_delay_alu instid0(VALU_DEP_1) | instskip(NEXT) | instid1(VALU_DEP_1)
	v_mul_lo_u32 v3, v2, s25
	v_sub_nc_u32_e32 v1, v1, v3
	v_add_nc_u32_e32 v3, 1, v2
	s_delay_alu instid0(VALU_DEP_2) | instskip(SKIP_1) | instid1(VALU_DEP_1)
	v_subrev_nc_u32_e32 v4, s25, v1
	v_cmp_le_u32_e64 s1, s25, v1
	v_cndmask_b32_e64 v2, v2, v3, s1
	s_delay_alu instid0(VALU_DEP_3) | instskip(SKIP_1) | instid1(VALU_DEP_3)
	v_cndmask_b32_e64 v1, v1, v4, s1
	v_ashrrev_i32_e32 v3, 31, v113
	v_add_nc_u32_e32 v4, 1, v2
	s_delay_alu instid0(VALU_DEP_3) | instskip(NEXT) | instid1(VALU_DEP_3)
	v_cmp_le_u32_e64 s1, s25, v1
	v_xor_b32_e32 v3, s19, v3
	s_delay_alu instid0(VALU_DEP_2) | instskip(NEXT) | instid1(VALU_DEP_1)
	v_cndmask_b32_e64 v1, v2, v4, s1
	v_xor_b32_e32 v1, v1, v3
	s_delay_alu instid0(VALU_DEP_1) | instskip(NEXT) | instid1(VALU_DEP_1)
	v_sub_nc_u32_e32 v1, v1, v3
	v_add_nc_u32_e32 v2, s42, v1
	v_cmp_ge_i32_e64 s4, s49, v1
	s_delay_alu instid0(VALU_DEP_2) | instskip(NEXT) | instid1(VALU_DEP_1)
	v_sub_nc_u32_e32 v3, 0, v2
	v_max_i32_e32 v3, v2, v3
	v_ashrrev_i32_e32 v2, 31, v2
	s_delay_alu instid0(VALU_DEP_2) | instskip(NEXT) | instid1(VALU_DEP_1)
	v_mul_hi_u32 v4, v3, v117
	v_mul_lo_u32 v4, v4, s50
	s_delay_alu instid0(VALU_DEP_1) | instskip(NEXT) | instid1(VALU_DEP_1)
	v_sub_nc_u32_e32 v3, v3, v4
	v_subrev_nc_u32_e32 v4, s50, v3
	v_cmp_le_u32_e64 s1, s50, v3
	s_delay_alu instid0(VALU_DEP_1) | instskip(NEXT) | instid1(VALU_DEP_1)
	v_cndmask_b32_e64 v3, v3, v4, s1
	v_subrev_nc_u32_e32 v4, s50, v3
	v_cmp_le_u32_e64 s1, s50, v3
	s_delay_alu instid0(VALU_DEP_1) | instskip(NEXT) | instid1(VALU_DEP_1)
	v_cndmask_b32_e64 v3, v3, v4, s1
	v_xor_b32_e32 v3, v3, v2
	s_delay_alu instid0(VALU_DEP_1) | instskip(NEXT) | instid1(VALU_DEP_1)
	v_sub_nc_u32_e32 v2, v3, v2
	v_cmp_ne_u32_e64 s1, 0, v2
	s_delay_alu instid0(VALU_DEP_1) | instskip(NEXT) | instid1(SALU_CYCLE_1)
	s_and_b32 s1, s1, s4
	s_and_b32 s40, vcc_lo, s1
	s_delay_alu instid0(SALU_CYCLE_1)
	s_and_saveexec_b32 s4, s40
	s_cbranch_execz .LBB228_15
; %bb.14:                               ;   in Loop: Header=BB228_13 Depth=1
	ds_store_b32 v116, v114
.LBB228_15:                             ;   in Loop: Header=BB228_13 Depth=1
	s_or_b32 exec_lo, exec_lo, s4
	s_xor_b32 s1, s1, -1
	s_delay_alu instid0(SALU_CYCLE_1)
	s_and_saveexec_b32 s4, s1
	s_cbranch_execz .LBB228_12
; %bb.16:                               ;   in Loop: Header=BB228_13 Depth=1
	global_load_b32 v3, v[39:40], off
	v_mov_b32_e32 v41, 0
	s_waitcnt vmcnt(0)
	v_mad_i64_i32 v[1:2], null, v3, s51, v[37:38]
	s_delay_alu instid0(VALU_DEP_1) | instskip(NEXT) | instid1(VALU_DEP_1)
	v_add_co_u32 v49, s1, v1, v111
	v_add_co_ci_u32_e64 v50, s1, 0, v2, s1
	global_load_u16 v35, v[49:50], off
	ds_load_b128 v[29:32], v112
	ds_load_b128 v[25:28], v112 offset:16
	ds_load_b128 v[21:24], v112 offset:32
	;; [unrolled: 1-line block ×7, first 2 shown]
	s_load_b32 s53, s[8:9], 0x0
	s_waitcnt vmcnt(0)
	v_dual_mov_b32 v42, 0 :: v_dual_and_b32 v43, 0xff, v35
	v_and_b32_e32 v45, 0xffff, v35
	s_delay_alu instid0(VALU_DEP_2) | instskip(NEXT) | instid1(VALU_DEP_3)
	v_cmp_ne_u16_e64 s1, 0, v43
	v_dual_mov_b32 v44, v42 :: v_dual_mov_b32 v43, v41
	s_delay_alu instid0(VALU_DEP_2)
	s_and_saveexec_b32 s40, s1
	s_cbranch_execz .LBB228_24
; %bb.17:                               ;   in Loop: Header=BB228_13 Depth=1
	v_bfrev_b32_e32 v43, 1
	v_dual_mov_b32 v44, 0 :: v_dual_and_b32 v35, 0xff, v45
	s_mov_b32 s54, exec_lo
	s_delay_alu instid0(VALU_DEP_1)
	v_cmpx_ne_u16_e32 0x80, v35
	s_cbranch_execz .LBB228_23
; %bb.18:                               ;   in Loop: Header=BB228_13 Depth=1
	v_mov_b32_e32 v43, 0x7f800001
	v_and_b32_e32 v46, 0x7f, v45
	v_mov_b32_e32 v44, 0
	s_mov_b32 s55, exec_lo
	s_delay_alu instid0(VALU_DEP_2)
	v_cmpx_ne_u32_e32 0x7f, v46
	s_cbranch_execz .LBB228_22
; %bb.19:                               ;   in Loop: Header=BB228_13 Depth=1
	v_and_b32_e32 v35, 7, v45
	v_lshrrev_b32_e32 v43, 3, v46
	s_mov_b32 s56, exec_lo
	v_cmpx_gt_u32_e32 8, v46
; %bb.20:                               ;   in Loop: Header=BB228_13 Depth=1
	s_delay_alu instid0(VALU_DEP_3) | instskip(NEXT) | instid1(VALU_DEP_1)
	v_clz_i32_u32_e32 v43, v35
	v_min_u32_e32 v43, 32, v43
	s_delay_alu instid0(VALU_DEP_1) | instskip(SKIP_1) | instid1(VALU_DEP_2)
	v_subrev_nc_u32_e32 v44, 28, v43
	v_sub_nc_u32_e32 v43, 29, v43
	v_lshlrev_b64 v[46:47], v44, v[35:36]
	s_delay_alu instid0(VALU_DEP_1)
	v_and_b32_e32 v35, 7, v46
; %bb.21:                               ;   in Loop: Header=BB228_13 Depth=1
	s_or_b32 exec_lo, exec_lo, s56
	v_lshlrev_b32_e32 v44, 24, v45
	s_delay_alu instid0(VALU_DEP_2) | instskip(SKIP_1) | instid1(VALU_DEP_3)
	v_lshlrev_b32_e32 v35, 20, v35
	v_lshl_add_u32 v43, v43, 23, 0x3c000000
	v_and_b32_e32 v44, 0x80000000, v44
	s_delay_alu instid0(VALU_DEP_1) | instskip(NEXT) | instid1(VALU_DEP_1)
	v_or3_b32 v35, v35, v44, v43
	v_dual_mov_b32 v44, v36 :: v_dual_mov_b32 v43, v35
.LBB228_22:                             ;   in Loop: Header=BB228_13 Depth=1
	s_or_b32 exec_lo, exec_lo, s55
.LBB228_23:                             ;   in Loop: Header=BB228_13 Depth=1
	s_delay_alu instid0(SALU_CYCLE_1)
	s_or_b32 exec_lo, exec_lo, s54
.LBB228_24:                             ;   in Loop: Header=BB228_13 Depth=1
	s_delay_alu instid0(SALU_CYCLE_1) | instskip(SKIP_2) | instid1(VALU_DEP_1)
	s_or_b32 exec_lo, exec_lo, s40
	v_lshrrev_b16 v35, 8, v45
	s_mov_b32 s54, exec_lo
	v_cmpx_ne_u16_e32 0, v35
	s_cbranch_execz .LBB228_32
; %bb.25:                               ;   in Loop: Header=BB228_13 Depth=1
	v_dual_mov_b32 v42, s7 :: v_dual_mov_b32 v41, s6
	s_mov_b32 s55, exec_lo
	v_cmpx_ne_u16_e32 0x80, v35
	s_cbranch_execz .LBB228_31
; %bb.26:                               ;   in Loop: Header=BB228_13 Depth=1
	s_mov_b32 s40, s6
	v_dual_mov_b32 v42, s41 :: v_dual_and_b32 v35, 0xffff, v35
	v_mov_b32_e32 v41, s40
	s_mov_b32 s40, exec_lo
	s_delay_alu instid0(VALU_DEP_2) | instskip(NEXT) | instid1(VALU_DEP_1)
	v_and_b32_e32 v46, 0x7f, v35
	v_cmpx_ne_u32_e32 0x7f, v46
	s_cbranch_execz .LBB228_30
; %bb.27:                               ;   in Loop: Header=BB228_13 Depth=1
	v_and_b32_e32 v35, 7, v35
	v_lshrrev_b32_e32 v41, 3, v46
	s_mov_b32 s56, exec_lo
	v_cmpx_gt_u32_e32 8, v46
; %bb.28:                               ;   in Loop: Header=BB228_13 Depth=1
	s_delay_alu instid0(VALU_DEP_3) | instskip(NEXT) | instid1(VALU_DEP_1)
	v_clz_i32_u32_e32 v41, v35
	v_min_u32_e32 v41, 32, v41
	s_delay_alu instid0(VALU_DEP_1) | instskip(SKIP_1) | instid1(VALU_DEP_2)
	v_subrev_nc_u32_e32 v42, 28, v41
	v_sub_nc_u32_e32 v41, 29, v41
	v_lshlrev_b64 v[46:47], v42, v[35:36]
	s_delay_alu instid0(VALU_DEP_1)
	v_and_b32_e32 v35, 7, v46
; %bb.29:                               ;   in Loop: Header=BB228_13 Depth=1
	s_or_b32 exec_lo, exec_lo, s56
	v_lshlrev_b32_e32 v42, 16, v45
	s_delay_alu instid0(VALU_DEP_2) | instskip(SKIP_1) | instid1(VALU_DEP_3)
	v_lshlrev_b32_e32 v35, 20, v35
	v_lshl_add_u32 v41, v41, 23, 0x3c000000
	v_and_b32_e32 v42, 0x80000000, v42
	s_delay_alu instid0(VALU_DEP_1)
	v_or3_b32 v42, v35, v42, v41
	v_mov_b32_e32 v41, v36
.LBB228_30:                             ;   in Loop: Header=BB228_13 Depth=1
	s_or_b32 exec_lo, exec_lo, s40
.LBB228_31:                             ;   in Loop: Header=BB228_13 Depth=1
	s_delay_alu instid0(SALU_CYCLE_1)
	s_or_b32 exec_lo, exec_lo, s55
.LBB228_32:                             ;   in Loop: Header=BB228_13 Depth=1
	s_delay_alu instid0(SALU_CYCLE_1)
	s_or_b32 exec_lo, exec_lo, s54
	global_load_u16 v35, v[49:50], off offset:4
	v_mov_b32_e32 v45, 0
	s_waitcnt vmcnt(0)
	v_dual_mov_b32 v46, 0 :: v_dual_and_b32 v47, 0xff, v35
	v_and_b32_e32 v51, 0xffff, v35
	s_delay_alu instid0(VALU_DEP_2) | instskip(NEXT) | instid1(VALU_DEP_3)
	v_cmp_ne_u16_e64 s1, 0, v47
	v_dual_mov_b32 v48, v46 :: v_dual_mov_b32 v47, v45
	s_delay_alu instid0(VALU_DEP_2)
	s_and_saveexec_b32 s40, s1
	s_cbranch_execz .LBB228_40
; %bb.33:                               ;   in Loop: Header=BB228_13 Depth=1
	v_bfrev_b32_e32 v47, 1
	v_dual_mov_b32 v48, 0 :: v_dual_and_b32 v35, 0xff, v51
	s_mov_b32 s54, exec_lo
	s_delay_alu instid0(VALU_DEP_1)
	v_cmpx_ne_u16_e32 0x80, v35
	s_cbranch_execz .LBB228_39
; %bb.34:                               ;   in Loop: Header=BB228_13 Depth=1
	v_mov_b32_e32 v47, 0x7f800001
	v_and_b32_e32 v52, 0x7f, v51
	v_mov_b32_e32 v48, 0
	s_mov_b32 s55, exec_lo
	s_delay_alu instid0(VALU_DEP_2)
	v_cmpx_ne_u32_e32 0x7f, v52
	s_cbranch_execz .LBB228_38
; %bb.35:                               ;   in Loop: Header=BB228_13 Depth=1
	v_and_b32_e32 v35, 7, v51
	v_lshrrev_b32_e32 v47, 3, v52
	s_mov_b32 s56, exec_lo
	v_cmpx_gt_u32_e32 8, v52
; %bb.36:                               ;   in Loop: Header=BB228_13 Depth=1
	s_delay_alu instid0(VALU_DEP_3) | instskip(NEXT) | instid1(VALU_DEP_1)
	v_clz_i32_u32_e32 v47, v35
	v_min_u32_e32 v47, 32, v47
	s_delay_alu instid0(VALU_DEP_1) | instskip(SKIP_1) | instid1(VALU_DEP_2)
	v_subrev_nc_u32_e32 v48, 28, v47
	v_sub_nc_u32_e32 v47, 29, v47
	v_lshlrev_b64 v[52:53], v48, v[35:36]
	s_delay_alu instid0(VALU_DEP_1)
	v_and_b32_e32 v35, 7, v52
; %bb.37:                               ;   in Loop: Header=BB228_13 Depth=1
	s_or_b32 exec_lo, exec_lo, s56
	v_lshlrev_b32_e32 v48, 24, v51
	s_delay_alu instid0(VALU_DEP_2) | instskip(SKIP_1) | instid1(VALU_DEP_3)
	v_lshlrev_b32_e32 v35, 20, v35
	v_lshl_add_u32 v47, v47, 23, 0x3c000000
	v_and_b32_e32 v48, 0x80000000, v48
	s_delay_alu instid0(VALU_DEP_1) | instskip(NEXT) | instid1(VALU_DEP_1)
	v_or3_b32 v35, v35, v48, v47
	v_dual_mov_b32 v48, v36 :: v_dual_mov_b32 v47, v35
.LBB228_38:                             ;   in Loop: Header=BB228_13 Depth=1
	s_or_b32 exec_lo, exec_lo, s55
.LBB228_39:                             ;   in Loop: Header=BB228_13 Depth=1
	s_delay_alu instid0(SALU_CYCLE_1)
	s_or_b32 exec_lo, exec_lo, s54
.LBB228_40:                             ;   in Loop: Header=BB228_13 Depth=1
	s_delay_alu instid0(SALU_CYCLE_1) | instskip(SKIP_2) | instid1(VALU_DEP_1)
	s_or_b32 exec_lo, exec_lo, s40
	v_lshrrev_b16 v35, 8, v51
	s_mov_b32 s54, exec_lo
	v_cmpx_ne_u16_e32 0, v35
	s_cbranch_execz .LBB228_48
; %bb.41:                               ;   in Loop: Header=BB228_13 Depth=1
	v_dual_mov_b32 v46, s7 :: v_dual_mov_b32 v45, s6
	s_mov_b32 s55, exec_lo
	v_cmpx_ne_u16_e32 0x80, v35
	s_cbranch_execz .LBB228_47
; %bb.42:                               ;   in Loop: Header=BB228_13 Depth=1
	s_mov_b32 s40, s6
	v_dual_mov_b32 v46, s41 :: v_dual_and_b32 v35, 0xffff, v35
	v_mov_b32_e32 v45, s40
	s_mov_b32 s40, exec_lo
	s_delay_alu instid0(VALU_DEP_2) | instskip(NEXT) | instid1(VALU_DEP_1)
	v_and_b32_e32 v52, 0x7f, v35
	v_cmpx_ne_u32_e32 0x7f, v52
	s_cbranch_execz .LBB228_46
; %bb.43:                               ;   in Loop: Header=BB228_13 Depth=1
	v_and_b32_e32 v35, 7, v35
	v_lshrrev_b32_e32 v45, 3, v52
	s_mov_b32 s56, exec_lo
	v_cmpx_gt_u32_e32 8, v52
; %bb.44:                               ;   in Loop: Header=BB228_13 Depth=1
	s_delay_alu instid0(VALU_DEP_3) | instskip(NEXT) | instid1(VALU_DEP_1)
	v_clz_i32_u32_e32 v45, v35
	v_min_u32_e32 v45, 32, v45
	s_delay_alu instid0(VALU_DEP_1) | instskip(SKIP_1) | instid1(VALU_DEP_2)
	v_subrev_nc_u32_e32 v46, 28, v45
	v_sub_nc_u32_e32 v45, 29, v45
	v_lshlrev_b64 v[52:53], v46, v[35:36]
	s_delay_alu instid0(VALU_DEP_1)
	v_and_b32_e32 v35, 7, v52
; %bb.45:                               ;   in Loop: Header=BB228_13 Depth=1
	s_or_b32 exec_lo, exec_lo, s56
	v_lshlrev_b32_e32 v46, 16, v51
	s_delay_alu instid0(VALU_DEP_2) | instskip(SKIP_1) | instid1(VALU_DEP_3)
	v_lshlrev_b32_e32 v35, 20, v35
	v_lshl_add_u32 v45, v45, 23, 0x3c000000
	v_and_b32_e32 v46, 0x80000000, v46
	s_delay_alu instid0(VALU_DEP_1)
	v_or3_b32 v46, v35, v46, v45
	v_mov_b32_e32 v45, v36
.LBB228_46:                             ;   in Loop: Header=BB228_13 Depth=1
	s_or_b32 exec_lo, exec_lo, s40
.LBB228_47:                             ;   in Loop: Header=BB228_13 Depth=1
	s_delay_alu instid0(SALU_CYCLE_1)
	s_or_b32 exec_lo, exec_lo, s55
.LBB228_48:                             ;   in Loop: Header=BB228_13 Depth=1
	s_delay_alu instid0(SALU_CYCLE_1)
	s_or_b32 exec_lo, exec_lo, s54
	global_load_u16 v35, v[49:50], off offset:8
	v_mov_b32_e32 v51, 0
	s_waitcnt vmcnt(0)
	v_dual_mov_b32 v52, 0 :: v_dual_and_b32 v53, 0xff, v35
	v_and_b32_e32 v55, 0xffff, v35
	s_delay_alu instid0(VALU_DEP_2) | instskip(NEXT) | instid1(VALU_DEP_3)
	v_cmp_ne_u16_e64 s1, 0, v53
	v_dual_mov_b32 v54, v52 :: v_dual_mov_b32 v53, v51
	s_delay_alu instid0(VALU_DEP_2)
	s_and_saveexec_b32 s40, s1
	s_cbranch_execz .LBB228_56
; %bb.49:                               ;   in Loop: Header=BB228_13 Depth=1
	v_bfrev_b32_e32 v53, 1
	v_dual_mov_b32 v54, 0 :: v_dual_and_b32 v35, 0xff, v55
	s_mov_b32 s54, exec_lo
	s_delay_alu instid0(VALU_DEP_1)
	v_cmpx_ne_u16_e32 0x80, v35
	s_cbranch_execz .LBB228_55
; %bb.50:                               ;   in Loop: Header=BB228_13 Depth=1
	v_mov_b32_e32 v53, 0x7f800001
	v_and_b32_e32 v56, 0x7f, v55
	v_mov_b32_e32 v54, 0
	s_mov_b32 s55, exec_lo
	s_delay_alu instid0(VALU_DEP_2)
	v_cmpx_ne_u32_e32 0x7f, v56
	s_cbranch_execz .LBB228_54
; %bb.51:                               ;   in Loop: Header=BB228_13 Depth=1
	v_and_b32_e32 v35, 7, v55
	v_lshrrev_b32_e32 v53, 3, v56
	s_mov_b32 s56, exec_lo
	v_cmpx_gt_u32_e32 8, v56
; %bb.52:                               ;   in Loop: Header=BB228_13 Depth=1
	s_delay_alu instid0(VALU_DEP_3) | instskip(NEXT) | instid1(VALU_DEP_1)
	v_clz_i32_u32_e32 v53, v35
	v_min_u32_e32 v53, 32, v53
	s_delay_alu instid0(VALU_DEP_1) | instskip(SKIP_1) | instid1(VALU_DEP_2)
	v_subrev_nc_u32_e32 v54, 28, v53
	v_sub_nc_u32_e32 v53, 29, v53
	v_lshlrev_b64 v[56:57], v54, v[35:36]
	s_delay_alu instid0(VALU_DEP_1)
	v_and_b32_e32 v35, 7, v56
; %bb.53:                               ;   in Loop: Header=BB228_13 Depth=1
	s_or_b32 exec_lo, exec_lo, s56
	v_lshlrev_b32_e32 v54, 24, v55
	s_delay_alu instid0(VALU_DEP_2) | instskip(SKIP_1) | instid1(VALU_DEP_3)
	v_lshlrev_b32_e32 v35, 20, v35
	v_lshl_add_u32 v53, v53, 23, 0x3c000000
	v_and_b32_e32 v54, 0x80000000, v54
	s_delay_alu instid0(VALU_DEP_1) | instskip(NEXT) | instid1(VALU_DEP_1)
	v_or3_b32 v35, v35, v54, v53
	v_dual_mov_b32 v54, v36 :: v_dual_mov_b32 v53, v35
.LBB228_54:                             ;   in Loop: Header=BB228_13 Depth=1
	s_or_b32 exec_lo, exec_lo, s55
.LBB228_55:                             ;   in Loop: Header=BB228_13 Depth=1
	s_delay_alu instid0(SALU_CYCLE_1)
	s_or_b32 exec_lo, exec_lo, s54
.LBB228_56:                             ;   in Loop: Header=BB228_13 Depth=1
	s_delay_alu instid0(SALU_CYCLE_1) | instskip(SKIP_2) | instid1(VALU_DEP_1)
	s_or_b32 exec_lo, exec_lo, s40
	v_lshrrev_b16 v35, 8, v55
	s_mov_b32 s54, exec_lo
	v_cmpx_ne_u16_e32 0, v35
	s_cbranch_execz .LBB228_64
; %bb.57:                               ;   in Loop: Header=BB228_13 Depth=1
	v_dual_mov_b32 v52, s7 :: v_dual_mov_b32 v51, s6
	s_mov_b32 s55, exec_lo
	v_cmpx_ne_u16_e32 0x80, v35
	s_cbranch_execz .LBB228_63
; %bb.58:                               ;   in Loop: Header=BB228_13 Depth=1
	s_mov_b32 s40, s6
	v_dual_mov_b32 v52, s41 :: v_dual_and_b32 v35, 0xffff, v35
	v_mov_b32_e32 v51, s40
	s_mov_b32 s40, exec_lo
	s_delay_alu instid0(VALU_DEP_2) | instskip(NEXT) | instid1(VALU_DEP_1)
	v_and_b32_e32 v56, 0x7f, v35
	v_cmpx_ne_u32_e32 0x7f, v56
	s_cbranch_execz .LBB228_62
; %bb.59:                               ;   in Loop: Header=BB228_13 Depth=1
	v_and_b32_e32 v35, 7, v35
	v_lshrrev_b32_e32 v51, 3, v56
	s_mov_b32 s56, exec_lo
	v_cmpx_gt_u32_e32 8, v56
; %bb.60:                               ;   in Loop: Header=BB228_13 Depth=1
	s_delay_alu instid0(VALU_DEP_3) | instskip(NEXT) | instid1(VALU_DEP_1)
	v_clz_i32_u32_e32 v51, v35
	v_min_u32_e32 v51, 32, v51
	s_delay_alu instid0(VALU_DEP_1) | instskip(SKIP_1) | instid1(VALU_DEP_2)
	v_subrev_nc_u32_e32 v52, 28, v51
	v_sub_nc_u32_e32 v51, 29, v51
	v_lshlrev_b64 v[56:57], v52, v[35:36]
	s_delay_alu instid0(VALU_DEP_1)
	v_and_b32_e32 v35, 7, v56
; %bb.61:                               ;   in Loop: Header=BB228_13 Depth=1
	s_or_b32 exec_lo, exec_lo, s56
	v_lshlrev_b32_e32 v52, 16, v55
	s_delay_alu instid0(VALU_DEP_2) | instskip(SKIP_1) | instid1(VALU_DEP_3)
	v_lshlrev_b32_e32 v35, 20, v35
	v_lshl_add_u32 v51, v51, 23, 0x3c000000
	v_and_b32_e32 v52, 0x80000000, v52
	s_delay_alu instid0(VALU_DEP_1)
	v_or3_b32 v52, v35, v52, v51
	v_mov_b32_e32 v51, v36
.LBB228_62:                             ;   in Loop: Header=BB228_13 Depth=1
	s_or_b32 exec_lo, exec_lo, s40
.LBB228_63:                             ;   in Loop: Header=BB228_13 Depth=1
	s_delay_alu instid0(SALU_CYCLE_1)
	s_or_b32 exec_lo, exec_lo, s55
.LBB228_64:                             ;   in Loop: Header=BB228_13 Depth=1
	s_delay_alu instid0(SALU_CYCLE_1)
	s_or_b32 exec_lo, exec_lo, s54
	global_load_u16 v35, v[49:50], off offset:12
	v_mov_b32_e32 v55, 0
	s_waitcnt vmcnt(0)
	v_dual_mov_b32 v56, 0 :: v_dual_and_b32 v57, 0xff, v35
	v_and_b32_e32 v59, 0xffff, v35
	s_delay_alu instid0(VALU_DEP_2) | instskip(NEXT) | instid1(VALU_DEP_3)
	v_cmp_ne_u16_e64 s1, 0, v57
	v_dual_mov_b32 v58, v56 :: v_dual_mov_b32 v57, v55
	s_delay_alu instid0(VALU_DEP_2)
	s_and_saveexec_b32 s40, s1
	s_cbranch_execz .LBB228_72
; %bb.65:                               ;   in Loop: Header=BB228_13 Depth=1
	v_bfrev_b32_e32 v57, 1
	v_dual_mov_b32 v58, 0 :: v_dual_and_b32 v35, 0xff, v59
	s_mov_b32 s54, exec_lo
	s_delay_alu instid0(VALU_DEP_1)
	v_cmpx_ne_u16_e32 0x80, v35
	s_cbranch_execz .LBB228_71
; %bb.66:                               ;   in Loop: Header=BB228_13 Depth=1
	v_mov_b32_e32 v57, 0x7f800001
	v_and_b32_e32 v60, 0x7f, v59
	v_mov_b32_e32 v58, 0
	s_mov_b32 s55, exec_lo
	s_delay_alu instid0(VALU_DEP_2)
	v_cmpx_ne_u32_e32 0x7f, v60
	s_cbranch_execz .LBB228_70
; %bb.67:                               ;   in Loop: Header=BB228_13 Depth=1
	v_and_b32_e32 v35, 7, v59
	v_lshrrev_b32_e32 v57, 3, v60
	s_mov_b32 s56, exec_lo
	v_cmpx_gt_u32_e32 8, v60
; %bb.68:                               ;   in Loop: Header=BB228_13 Depth=1
	s_delay_alu instid0(VALU_DEP_3) | instskip(NEXT) | instid1(VALU_DEP_1)
	v_clz_i32_u32_e32 v57, v35
	v_min_u32_e32 v57, 32, v57
	s_delay_alu instid0(VALU_DEP_1) | instskip(SKIP_1) | instid1(VALU_DEP_2)
	v_subrev_nc_u32_e32 v58, 28, v57
	v_sub_nc_u32_e32 v57, 29, v57
	v_lshlrev_b64 v[60:61], v58, v[35:36]
	s_delay_alu instid0(VALU_DEP_1)
	v_and_b32_e32 v35, 7, v60
; %bb.69:                               ;   in Loop: Header=BB228_13 Depth=1
	s_or_b32 exec_lo, exec_lo, s56
	v_lshlrev_b32_e32 v58, 24, v59
	s_delay_alu instid0(VALU_DEP_2) | instskip(SKIP_1) | instid1(VALU_DEP_3)
	v_lshlrev_b32_e32 v35, 20, v35
	v_lshl_add_u32 v57, v57, 23, 0x3c000000
	v_and_b32_e32 v58, 0x80000000, v58
	s_delay_alu instid0(VALU_DEP_1) | instskip(NEXT) | instid1(VALU_DEP_1)
	v_or3_b32 v35, v35, v58, v57
	v_dual_mov_b32 v58, v36 :: v_dual_mov_b32 v57, v35
.LBB228_70:                             ;   in Loop: Header=BB228_13 Depth=1
	s_or_b32 exec_lo, exec_lo, s55
.LBB228_71:                             ;   in Loop: Header=BB228_13 Depth=1
	s_delay_alu instid0(SALU_CYCLE_1)
	s_or_b32 exec_lo, exec_lo, s54
.LBB228_72:                             ;   in Loop: Header=BB228_13 Depth=1
	s_delay_alu instid0(SALU_CYCLE_1) | instskip(SKIP_2) | instid1(VALU_DEP_1)
	s_or_b32 exec_lo, exec_lo, s40
	v_lshrrev_b16 v35, 8, v59
	s_mov_b32 s54, exec_lo
	v_cmpx_ne_u16_e32 0, v35
	s_cbranch_execz .LBB228_80
; %bb.73:                               ;   in Loop: Header=BB228_13 Depth=1
	v_dual_mov_b32 v56, s7 :: v_dual_mov_b32 v55, s6
	s_mov_b32 s55, exec_lo
	v_cmpx_ne_u16_e32 0x80, v35
	s_cbranch_execz .LBB228_79
; %bb.74:                               ;   in Loop: Header=BB228_13 Depth=1
	s_mov_b32 s40, s6
	v_dual_mov_b32 v56, s41 :: v_dual_and_b32 v35, 0xffff, v35
	v_mov_b32_e32 v55, s40
	s_mov_b32 s40, exec_lo
	s_delay_alu instid0(VALU_DEP_2) | instskip(NEXT) | instid1(VALU_DEP_1)
	v_and_b32_e32 v60, 0x7f, v35
	v_cmpx_ne_u32_e32 0x7f, v60
	s_cbranch_execz .LBB228_78
; %bb.75:                               ;   in Loop: Header=BB228_13 Depth=1
	v_and_b32_e32 v35, 7, v35
	v_lshrrev_b32_e32 v55, 3, v60
	s_mov_b32 s56, exec_lo
	v_cmpx_gt_u32_e32 8, v60
; %bb.76:                               ;   in Loop: Header=BB228_13 Depth=1
	s_delay_alu instid0(VALU_DEP_3) | instskip(NEXT) | instid1(VALU_DEP_1)
	v_clz_i32_u32_e32 v55, v35
	v_min_u32_e32 v55, 32, v55
	s_delay_alu instid0(VALU_DEP_1) | instskip(SKIP_1) | instid1(VALU_DEP_2)
	v_subrev_nc_u32_e32 v56, 28, v55
	v_sub_nc_u32_e32 v55, 29, v55
	v_lshlrev_b64 v[60:61], v56, v[35:36]
	s_delay_alu instid0(VALU_DEP_1)
	v_and_b32_e32 v35, 7, v60
; %bb.77:                               ;   in Loop: Header=BB228_13 Depth=1
	s_or_b32 exec_lo, exec_lo, s56
	v_lshlrev_b32_e32 v56, 16, v59
	s_delay_alu instid0(VALU_DEP_2) | instskip(SKIP_1) | instid1(VALU_DEP_3)
	v_lshlrev_b32_e32 v35, 20, v35
	v_lshl_add_u32 v55, v55, 23, 0x3c000000
	v_and_b32_e32 v56, 0x80000000, v56
	s_delay_alu instid0(VALU_DEP_1)
	v_or3_b32 v56, v35, v56, v55
	v_mov_b32_e32 v55, v36
.LBB228_78:                             ;   in Loop: Header=BB228_13 Depth=1
	s_or_b32 exec_lo, exec_lo, s40
.LBB228_79:                             ;   in Loop: Header=BB228_13 Depth=1
	s_delay_alu instid0(SALU_CYCLE_1)
	s_or_b32 exec_lo, exec_lo, s55
.LBB228_80:                             ;   in Loop: Header=BB228_13 Depth=1
	s_delay_alu instid0(SALU_CYCLE_1)
	s_or_b32 exec_lo, exec_lo, s54
	global_load_u16 v35, v[49:50], off offset:256
	v_mov_b32_e32 v59, 0
	s_waitcnt vmcnt(0)
	v_dual_mov_b32 v60, 0 :: v_dual_and_b32 v61, 0xff, v35
	v_and_b32_e32 v63, 0xffff, v35
	s_delay_alu instid0(VALU_DEP_2) | instskip(NEXT) | instid1(VALU_DEP_3)
	v_cmp_ne_u16_e64 s1, 0, v61
	v_dual_mov_b32 v62, v60 :: v_dual_mov_b32 v61, v59
	s_delay_alu instid0(VALU_DEP_2)
	s_and_saveexec_b32 s40, s1
	s_cbranch_execz .LBB228_88
; %bb.81:                               ;   in Loop: Header=BB228_13 Depth=1
	v_bfrev_b32_e32 v61, 1
	v_dual_mov_b32 v62, 0 :: v_dual_and_b32 v35, 0xff, v63
	s_mov_b32 s54, exec_lo
	s_delay_alu instid0(VALU_DEP_1)
	v_cmpx_ne_u16_e32 0x80, v35
	s_cbranch_execz .LBB228_87
; %bb.82:                               ;   in Loop: Header=BB228_13 Depth=1
	v_mov_b32_e32 v61, 0x7f800001
	v_and_b32_e32 v64, 0x7f, v63
	v_mov_b32_e32 v62, 0
	s_mov_b32 s55, exec_lo
	s_delay_alu instid0(VALU_DEP_2)
	v_cmpx_ne_u32_e32 0x7f, v64
	s_cbranch_execz .LBB228_86
; %bb.83:                               ;   in Loop: Header=BB228_13 Depth=1
	v_and_b32_e32 v35, 7, v63
	v_lshrrev_b32_e32 v61, 3, v64
	s_mov_b32 s56, exec_lo
	v_cmpx_gt_u32_e32 8, v64
; %bb.84:                               ;   in Loop: Header=BB228_13 Depth=1
	s_delay_alu instid0(VALU_DEP_3) | instskip(NEXT) | instid1(VALU_DEP_1)
	v_clz_i32_u32_e32 v61, v35
	v_min_u32_e32 v61, 32, v61
	s_delay_alu instid0(VALU_DEP_1) | instskip(SKIP_1) | instid1(VALU_DEP_2)
	v_subrev_nc_u32_e32 v62, 28, v61
	v_sub_nc_u32_e32 v61, 29, v61
	v_lshlrev_b64 v[64:65], v62, v[35:36]
	s_delay_alu instid0(VALU_DEP_1)
	v_and_b32_e32 v35, 7, v64
; %bb.85:                               ;   in Loop: Header=BB228_13 Depth=1
	s_or_b32 exec_lo, exec_lo, s56
	v_lshlrev_b32_e32 v62, 24, v63
	s_delay_alu instid0(VALU_DEP_2) | instskip(SKIP_1) | instid1(VALU_DEP_3)
	v_lshlrev_b32_e32 v35, 20, v35
	v_lshl_add_u32 v61, v61, 23, 0x3c000000
	v_and_b32_e32 v62, 0x80000000, v62
	s_delay_alu instid0(VALU_DEP_1) | instskip(NEXT) | instid1(VALU_DEP_1)
	v_or3_b32 v35, v35, v62, v61
	v_dual_mov_b32 v62, v36 :: v_dual_mov_b32 v61, v35
.LBB228_86:                             ;   in Loop: Header=BB228_13 Depth=1
	s_or_b32 exec_lo, exec_lo, s55
.LBB228_87:                             ;   in Loop: Header=BB228_13 Depth=1
	s_delay_alu instid0(SALU_CYCLE_1)
	s_or_b32 exec_lo, exec_lo, s54
.LBB228_88:                             ;   in Loop: Header=BB228_13 Depth=1
	s_delay_alu instid0(SALU_CYCLE_1) | instskip(SKIP_2) | instid1(VALU_DEP_1)
	s_or_b32 exec_lo, exec_lo, s40
	v_lshrrev_b16 v35, 8, v63
	s_mov_b32 s54, exec_lo
	v_cmpx_ne_u16_e32 0, v35
	s_cbranch_execz .LBB228_96
; %bb.89:                               ;   in Loop: Header=BB228_13 Depth=1
	v_dual_mov_b32 v60, s7 :: v_dual_mov_b32 v59, s6
	s_mov_b32 s55, exec_lo
	v_cmpx_ne_u16_e32 0x80, v35
	s_cbranch_execz .LBB228_95
; %bb.90:                               ;   in Loop: Header=BB228_13 Depth=1
	s_mov_b32 s40, s6
	v_dual_mov_b32 v60, s41 :: v_dual_and_b32 v35, 0xffff, v35
	v_mov_b32_e32 v59, s40
	s_mov_b32 s40, exec_lo
	s_delay_alu instid0(VALU_DEP_2) | instskip(NEXT) | instid1(VALU_DEP_1)
	v_and_b32_e32 v64, 0x7f, v35
	v_cmpx_ne_u32_e32 0x7f, v64
	s_cbranch_execz .LBB228_94
; %bb.91:                               ;   in Loop: Header=BB228_13 Depth=1
	v_and_b32_e32 v35, 7, v35
	v_lshrrev_b32_e32 v59, 3, v64
	s_mov_b32 s56, exec_lo
	v_cmpx_gt_u32_e32 8, v64
; %bb.92:                               ;   in Loop: Header=BB228_13 Depth=1
	s_delay_alu instid0(VALU_DEP_3) | instskip(NEXT) | instid1(VALU_DEP_1)
	v_clz_i32_u32_e32 v59, v35
	v_min_u32_e32 v59, 32, v59
	s_delay_alu instid0(VALU_DEP_1) | instskip(SKIP_1) | instid1(VALU_DEP_2)
	v_subrev_nc_u32_e32 v60, 28, v59
	v_sub_nc_u32_e32 v59, 29, v59
	v_lshlrev_b64 v[64:65], v60, v[35:36]
	s_delay_alu instid0(VALU_DEP_1)
	v_and_b32_e32 v35, 7, v64
; %bb.93:                               ;   in Loop: Header=BB228_13 Depth=1
	s_or_b32 exec_lo, exec_lo, s56
	v_lshlrev_b32_e32 v60, 16, v63
	s_delay_alu instid0(VALU_DEP_2) | instskip(SKIP_1) | instid1(VALU_DEP_3)
	v_lshlrev_b32_e32 v35, 20, v35
	v_lshl_add_u32 v59, v59, 23, 0x3c000000
	v_and_b32_e32 v60, 0x80000000, v60
	s_delay_alu instid0(VALU_DEP_1)
	v_or3_b32 v60, v35, v60, v59
	v_mov_b32_e32 v59, v36
.LBB228_94:                             ;   in Loop: Header=BB228_13 Depth=1
	s_or_b32 exec_lo, exec_lo, s40
.LBB228_95:                             ;   in Loop: Header=BB228_13 Depth=1
	s_delay_alu instid0(SALU_CYCLE_1)
	s_or_b32 exec_lo, exec_lo, s55
.LBB228_96:                             ;   in Loop: Header=BB228_13 Depth=1
	s_delay_alu instid0(SALU_CYCLE_1)
	s_or_b32 exec_lo, exec_lo, s54
	global_load_u16 v35, v[49:50], off offset:260
	v_mov_b32_e32 v63, 0
	s_waitcnt vmcnt(0)
	v_dual_mov_b32 v64, 0 :: v_dual_and_b32 v65, 0xff, v35
	v_and_b32_e32 v67, 0xffff, v35
	s_delay_alu instid0(VALU_DEP_2) | instskip(NEXT) | instid1(VALU_DEP_3)
	v_cmp_ne_u16_e64 s1, 0, v65
	v_dual_mov_b32 v66, v64 :: v_dual_mov_b32 v65, v63
	s_delay_alu instid0(VALU_DEP_2)
	s_and_saveexec_b32 s40, s1
	s_cbranch_execz .LBB228_104
; %bb.97:                               ;   in Loop: Header=BB228_13 Depth=1
	v_bfrev_b32_e32 v65, 1
	v_dual_mov_b32 v66, 0 :: v_dual_and_b32 v35, 0xff, v67
	s_mov_b32 s54, exec_lo
	s_delay_alu instid0(VALU_DEP_1)
	v_cmpx_ne_u16_e32 0x80, v35
	s_cbranch_execz .LBB228_103
; %bb.98:                               ;   in Loop: Header=BB228_13 Depth=1
	v_mov_b32_e32 v65, 0x7f800001
	v_and_b32_e32 v68, 0x7f, v67
	v_mov_b32_e32 v66, 0
	s_mov_b32 s55, exec_lo
	s_delay_alu instid0(VALU_DEP_2)
	v_cmpx_ne_u32_e32 0x7f, v68
	s_cbranch_execz .LBB228_102
; %bb.99:                               ;   in Loop: Header=BB228_13 Depth=1
	v_and_b32_e32 v35, 7, v67
	v_lshrrev_b32_e32 v65, 3, v68
	s_mov_b32 s56, exec_lo
	v_cmpx_gt_u32_e32 8, v68
; %bb.100:                              ;   in Loop: Header=BB228_13 Depth=1
	s_delay_alu instid0(VALU_DEP_3) | instskip(NEXT) | instid1(VALU_DEP_1)
	v_clz_i32_u32_e32 v65, v35
	v_min_u32_e32 v65, 32, v65
	s_delay_alu instid0(VALU_DEP_1) | instskip(SKIP_1) | instid1(VALU_DEP_2)
	v_subrev_nc_u32_e32 v66, 28, v65
	v_sub_nc_u32_e32 v65, 29, v65
	v_lshlrev_b64 v[68:69], v66, v[35:36]
	s_delay_alu instid0(VALU_DEP_1)
	v_and_b32_e32 v35, 7, v68
; %bb.101:                              ;   in Loop: Header=BB228_13 Depth=1
	s_or_b32 exec_lo, exec_lo, s56
	v_lshlrev_b32_e32 v66, 24, v67
	s_delay_alu instid0(VALU_DEP_2) | instskip(SKIP_1) | instid1(VALU_DEP_3)
	v_lshlrev_b32_e32 v35, 20, v35
	v_lshl_add_u32 v65, v65, 23, 0x3c000000
	v_and_b32_e32 v66, 0x80000000, v66
	s_delay_alu instid0(VALU_DEP_1) | instskip(NEXT) | instid1(VALU_DEP_1)
	v_or3_b32 v35, v35, v66, v65
	v_dual_mov_b32 v66, v36 :: v_dual_mov_b32 v65, v35
.LBB228_102:                            ;   in Loop: Header=BB228_13 Depth=1
	s_or_b32 exec_lo, exec_lo, s55
.LBB228_103:                            ;   in Loop: Header=BB228_13 Depth=1
	s_delay_alu instid0(SALU_CYCLE_1)
	s_or_b32 exec_lo, exec_lo, s54
.LBB228_104:                            ;   in Loop: Header=BB228_13 Depth=1
	s_delay_alu instid0(SALU_CYCLE_1) | instskip(SKIP_2) | instid1(VALU_DEP_1)
	s_or_b32 exec_lo, exec_lo, s40
	v_lshrrev_b16 v35, 8, v67
	s_mov_b32 s54, exec_lo
	v_cmpx_ne_u16_e32 0, v35
	s_cbranch_execz .LBB228_112
; %bb.105:                              ;   in Loop: Header=BB228_13 Depth=1
	v_dual_mov_b32 v64, s7 :: v_dual_mov_b32 v63, s6
	s_mov_b32 s55, exec_lo
	v_cmpx_ne_u16_e32 0x80, v35
	s_cbranch_execz .LBB228_111
; %bb.106:                              ;   in Loop: Header=BB228_13 Depth=1
	s_mov_b32 s40, s6
	v_dual_mov_b32 v64, s41 :: v_dual_and_b32 v35, 0xffff, v35
	v_mov_b32_e32 v63, s40
	s_mov_b32 s40, exec_lo
	s_delay_alu instid0(VALU_DEP_2) | instskip(NEXT) | instid1(VALU_DEP_1)
	v_and_b32_e32 v68, 0x7f, v35
	v_cmpx_ne_u32_e32 0x7f, v68
	s_cbranch_execz .LBB228_110
; %bb.107:                              ;   in Loop: Header=BB228_13 Depth=1
	v_and_b32_e32 v35, 7, v35
	v_lshrrev_b32_e32 v63, 3, v68
	s_mov_b32 s56, exec_lo
	v_cmpx_gt_u32_e32 8, v68
; %bb.108:                              ;   in Loop: Header=BB228_13 Depth=1
	s_delay_alu instid0(VALU_DEP_3) | instskip(NEXT) | instid1(VALU_DEP_1)
	v_clz_i32_u32_e32 v63, v35
	v_min_u32_e32 v63, 32, v63
	s_delay_alu instid0(VALU_DEP_1) | instskip(SKIP_1) | instid1(VALU_DEP_2)
	v_subrev_nc_u32_e32 v64, 28, v63
	v_sub_nc_u32_e32 v63, 29, v63
	v_lshlrev_b64 v[68:69], v64, v[35:36]
	s_delay_alu instid0(VALU_DEP_1)
	v_and_b32_e32 v35, 7, v68
; %bb.109:                              ;   in Loop: Header=BB228_13 Depth=1
	s_or_b32 exec_lo, exec_lo, s56
	v_lshlrev_b32_e32 v64, 16, v67
	s_delay_alu instid0(VALU_DEP_2) | instskip(SKIP_1) | instid1(VALU_DEP_3)
	v_lshlrev_b32_e32 v35, 20, v35
	v_lshl_add_u32 v63, v63, 23, 0x3c000000
	v_and_b32_e32 v64, 0x80000000, v64
	s_delay_alu instid0(VALU_DEP_1)
	v_or3_b32 v64, v35, v64, v63
	v_mov_b32_e32 v63, v36
.LBB228_110:                            ;   in Loop: Header=BB228_13 Depth=1
	s_or_b32 exec_lo, exec_lo, s40
.LBB228_111:                            ;   in Loop: Header=BB228_13 Depth=1
	s_delay_alu instid0(SALU_CYCLE_1)
	s_or_b32 exec_lo, exec_lo, s55
.LBB228_112:                            ;   in Loop: Header=BB228_13 Depth=1
	s_delay_alu instid0(SALU_CYCLE_1) | instskip(SKIP_1) | instid1(VALU_DEP_1)
	s_or_b32 exec_lo, exec_lo, s54
	v_add_co_u32 v71, s1, 0x100, v49
	v_add_co_ci_u32_e64 v72, s1, 0, v50, s1
	v_mov_b32_e32 v67, 0
	global_load_u16 v35, v[71:72], off offset:8
	s_waitcnt vmcnt(0)
	v_dual_mov_b32 v68, 0 :: v_dual_and_b32 v69, 0xff, v35
	v_and_b32_e32 v73, 0xffff, v35
	s_delay_alu instid0(VALU_DEP_2) | instskip(NEXT) | instid1(VALU_DEP_3)
	v_cmp_ne_u16_e64 s1, 0, v69
	v_dual_mov_b32 v70, v68 :: v_dual_mov_b32 v69, v67
	s_delay_alu instid0(VALU_DEP_2)
	s_and_saveexec_b32 s40, s1
	s_cbranch_execz .LBB228_120
; %bb.113:                              ;   in Loop: Header=BB228_13 Depth=1
	v_bfrev_b32_e32 v69, 1
	v_dual_mov_b32 v70, 0 :: v_dual_and_b32 v35, 0xff, v73
	s_mov_b32 s54, exec_lo
	s_delay_alu instid0(VALU_DEP_1)
	v_cmpx_ne_u16_e32 0x80, v35
	s_cbranch_execz .LBB228_119
; %bb.114:                              ;   in Loop: Header=BB228_13 Depth=1
	v_mov_b32_e32 v69, 0x7f800001
	v_and_b32_e32 v74, 0x7f, v73
	v_mov_b32_e32 v70, 0
	s_mov_b32 s55, exec_lo
	s_delay_alu instid0(VALU_DEP_2)
	v_cmpx_ne_u32_e32 0x7f, v74
	s_cbranch_execz .LBB228_118
; %bb.115:                              ;   in Loop: Header=BB228_13 Depth=1
	v_and_b32_e32 v35, 7, v73
	v_lshrrev_b32_e32 v69, 3, v74
	s_mov_b32 s56, exec_lo
	v_cmpx_gt_u32_e32 8, v74
; %bb.116:                              ;   in Loop: Header=BB228_13 Depth=1
	s_delay_alu instid0(VALU_DEP_3) | instskip(NEXT) | instid1(VALU_DEP_1)
	v_clz_i32_u32_e32 v69, v35
	v_min_u32_e32 v69, 32, v69
	s_delay_alu instid0(VALU_DEP_1) | instskip(SKIP_1) | instid1(VALU_DEP_2)
	v_subrev_nc_u32_e32 v70, 28, v69
	v_sub_nc_u32_e32 v69, 29, v69
	v_lshlrev_b64 v[74:75], v70, v[35:36]
	s_delay_alu instid0(VALU_DEP_1)
	v_and_b32_e32 v35, 7, v74
; %bb.117:                              ;   in Loop: Header=BB228_13 Depth=1
	s_or_b32 exec_lo, exec_lo, s56
	v_lshlrev_b32_e32 v70, 24, v73
	s_delay_alu instid0(VALU_DEP_2) | instskip(SKIP_1) | instid1(VALU_DEP_3)
	v_lshlrev_b32_e32 v35, 20, v35
	v_lshl_add_u32 v69, v69, 23, 0x3c000000
	v_and_b32_e32 v70, 0x80000000, v70
	s_delay_alu instid0(VALU_DEP_1) | instskip(NEXT) | instid1(VALU_DEP_1)
	v_or3_b32 v35, v35, v70, v69
	v_dual_mov_b32 v70, v36 :: v_dual_mov_b32 v69, v35
.LBB228_118:                            ;   in Loop: Header=BB228_13 Depth=1
	s_or_b32 exec_lo, exec_lo, s55
.LBB228_119:                            ;   in Loop: Header=BB228_13 Depth=1
	s_delay_alu instid0(SALU_CYCLE_1)
	s_or_b32 exec_lo, exec_lo, s54
.LBB228_120:                            ;   in Loop: Header=BB228_13 Depth=1
	s_delay_alu instid0(SALU_CYCLE_1) | instskip(SKIP_2) | instid1(VALU_DEP_1)
	s_or_b32 exec_lo, exec_lo, s40
	v_lshrrev_b16 v35, 8, v73
	s_mov_b32 s54, exec_lo
	v_cmpx_ne_u16_e32 0, v35
	s_cbranch_execz .LBB228_128
; %bb.121:                              ;   in Loop: Header=BB228_13 Depth=1
	v_dual_mov_b32 v68, s7 :: v_dual_mov_b32 v67, s6
	s_mov_b32 s55, exec_lo
	v_cmpx_ne_u16_e32 0x80, v35
	s_cbranch_execz .LBB228_127
; %bb.122:                              ;   in Loop: Header=BB228_13 Depth=1
	s_mov_b32 s40, s6
	v_dual_mov_b32 v68, s41 :: v_dual_and_b32 v35, 0xffff, v35
	v_mov_b32_e32 v67, s40
	s_mov_b32 s40, exec_lo
	s_delay_alu instid0(VALU_DEP_2) | instskip(NEXT) | instid1(VALU_DEP_1)
	v_and_b32_e32 v74, 0x7f, v35
	v_cmpx_ne_u32_e32 0x7f, v74
	s_cbranch_execz .LBB228_126
; %bb.123:                              ;   in Loop: Header=BB228_13 Depth=1
	v_and_b32_e32 v35, 7, v35
	v_lshrrev_b32_e32 v67, 3, v74
	s_mov_b32 s56, exec_lo
	v_cmpx_gt_u32_e32 8, v74
; %bb.124:                              ;   in Loop: Header=BB228_13 Depth=1
	s_delay_alu instid0(VALU_DEP_3) | instskip(NEXT) | instid1(VALU_DEP_1)
	v_clz_i32_u32_e32 v67, v35
	v_min_u32_e32 v67, 32, v67
	s_delay_alu instid0(VALU_DEP_1) | instskip(SKIP_1) | instid1(VALU_DEP_2)
	v_subrev_nc_u32_e32 v68, 28, v67
	v_sub_nc_u32_e32 v67, 29, v67
	v_lshlrev_b64 v[74:75], v68, v[35:36]
	s_delay_alu instid0(VALU_DEP_1)
	v_and_b32_e32 v35, 7, v74
; %bb.125:                              ;   in Loop: Header=BB228_13 Depth=1
	s_or_b32 exec_lo, exec_lo, s56
	v_lshlrev_b32_e32 v68, 16, v73
	s_delay_alu instid0(VALU_DEP_2) | instskip(SKIP_1) | instid1(VALU_DEP_3)
	v_lshlrev_b32_e32 v35, 20, v35
	v_lshl_add_u32 v67, v67, 23, 0x3c000000
	v_and_b32_e32 v68, 0x80000000, v68
	s_delay_alu instid0(VALU_DEP_1)
	v_or3_b32 v68, v35, v68, v67
	v_mov_b32_e32 v67, v36
.LBB228_126:                            ;   in Loop: Header=BB228_13 Depth=1
	s_or_b32 exec_lo, exec_lo, s40
.LBB228_127:                            ;   in Loop: Header=BB228_13 Depth=1
	s_delay_alu instid0(SALU_CYCLE_1)
	s_or_b32 exec_lo, exec_lo, s55
.LBB228_128:                            ;   in Loop: Header=BB228_13 Depth=1
	s_delay_alu instid0(SALU_CYCLE_1)
	s_or_b32 exec_lo, exec_lo, s54
	global_load_u16 v35, v[71:72], off offset:12
	v_mov_b32_e32 v71, 0
	s_waitcnt vmcnt(0)
	v_dual_mov_b32 v72, 0 :: v_dual_and_b32 v73, 0xff, v35
	v_and_b32_e32 v75, 0xffff, v35
	s_delay_alu instid0(VALU_DEP_2) | instskip(NEXT) | instid1(VALU_DEP_3)
	v_cmp_ne_u16_e64 s1, 0, v73
	v_dual_mov_b32 v74, v72 :: v_dual_mov_b32 v73, v71
	s_delay_alu instid0(VALU_DEP_2)
	s_and_saveexec_b32 s40, s1
	s_cbranch_execz .LBB228_136
; %bb.129:                              ;   in Loop: Header=BB228_13 Depth=1
	v_bfrev_b32_e32 v73, 1
	v_dual_mov_b32 v74, 0 :: v_dual_and_b32 v35, 0xff, v75
	s_mov_b32 s54, exec_lo
	s_delay_alu instid0(VALU_DEP_1)
	v_cmpx_ne_u16_e32 0x80, v35
	s_cbranch_execz .LBB228_135
; %bb.130:                              ;   in Loop: Header=BB228_13 Depth=1
	v_mov_b32_e32 v73, 0x7f800001
	v_and_b32_e32 v76, 0x7f, v75
	v_mov_b32_e32 v74, 0
	s_mov_b32 s55, exec_lo
	s_delay_alu instid0(VALU_DEP_2)
	v_cmpx_ne_u32_e32 0x7f, v76
	s_cbranch_execz .LBB228_134
; %bb.131:                              ;   in Loop: Header=BB228_13 Depth=1
	v_and_b32_e32 v35, 7, v75
	v_lshrrev_b32_e32 v73, 3, v76
	s_mov_b32 s56, exec_lo
	v_cmpx_gt_u32_e32 8, v76
; %bb.132:                              ;   in Loop: Header=BB228_13 Depth=1
	s_delay_alu instid0(VALU_DEP_3) | instskip(NEXT) | instid1(VALU_DEP_1)
	v_clz_i32_u32_e32 v73, v35
	v_min_u32_e32 v73, 32, v73
	s_delay_alu instid0(VALU_DEP_1) | instskip(SKIP_1) | instid1(VALU_DEP_2)
	v_subrev_nc_u32_e32 v74, 28, v73
	v_sub_nc_u32_e32 v73, 29, v73
	v_lshlrev_b64 v[76:77], v74, v[35:36]
	s_delay_alu instid0(VALU_DEP_1)
	v_and_b32_e32 v35, 7, v76
; %bb.133:                              ;   in Loop: Header=BB228_13 Depth=1
	s_or_b32 exec_lo, exec_lo, s56
	v_lshlrev_b32_e32 v74, 24, v75
	s_delay_alu instid0(VALU_DEP_2) | instskip(SKIP_1) | instid1(VALU_DEP_3)
	v_lshlrev_b32_e32 v35, 20, v35
	v_lshl_add_u32 v73, v73, 23, 0x3c000000
	v_and_b32_e32 v74, 0x80000000, v74
	s_delay_alu instid0(VALU_DEP_1) | instskip(NEXT) | instid1(VALU_DEP_1)
	v_or3_b32 v35, v35, v74, v73
	v_dual_mov_b32 v74, v36 :: v_dual_mov_b32 v73, v35
.LBB228_134:                            ;   in Loop: Header=BB228_13 Depth=1
	s_or_b32 exec_lo, exec_lo, s55
.LBB228_135:                            ;   in Loop: Header=BB228_13 Depth=1
	s_delay_alu instid0(SALU_CYCLE_1)
	s_or_b32 exec_lo, exec_lo, s54
.LBB228_136:                            ;   in Loop: Header=BB228_13 Depth=1
	s_delay_alu instid0(SALU_CYCLE_1) | instskip(SKIP_2) | instid1(VALU_DEP_1)
	s_or_b32 exec_lo, exec_lo, s40
	v_lshrrev_b16 v35, 8, v75
	s_mov_b32 s54, exec_lo
	v_cmpx_ne_u16_e32 0, v35
	s_cbranch_execz .LBB228_144
; %bb.137:                              ;   in Loop: Header=BB228_13 Depth=1
	v_dual_mov_b32 v72, s7 :: v_dual_mov_b32 v71, s6
	s_mov_b32 s55, exec_lo
	v_cmpx_ne_u16_e32 0x80, v35
	s_cbranch_execz .LBB228_143
; %bb.138:                              ;   in Loop: Header=BB228_13 Depth=1
	s_mov_b32 s40, s6
	v_dual_mov_b32 v72, s41 :: v_dual_and_b32 v35, 0xffff, v35
	v_mov_b32_e32 v71, s40
	s_mov_b32 s40, exec_lo
	s_delay_alu instid0(VALU_DEP_2) | instskip(NEXT) | instid1(VALU_DEP_1)
	v_and_b32_e32 v76, 0x7f, v35
	v_cmpx_ne_u32_e32 0x7f, v76
	s_cbranch_execz .LBB228_142
; %bb.139:                              ;   in Loop: Header=BB228_13 Depth=1
	v_and_b32_e32 v35, 7, v35
	v_lshrrev_b32_e32 v71, 3, v76
	s_mov_b32 s56, exec_lo
	v_cmpx_gt_u32_e32 8, v76
; %bb.140:                              ;   in Loop: Header=BB228_13 Depth=1
	s_delay_alu instid0(VALU_DEP_3) | instskip(NEXT) | instid1(VALU_DEP_1)
	v_clz_i32_u32_e32 v71, v35
	v_min_u32_e32 v71, 32, v71
	s_delay_alu instid0(VALU_DEP_1) | instskip(SKIP_1) | instid1(VALU_DEP_2)
	v_subrev_nc_u32_e32 v72, 28, v71
	v_sub_nc_u32_e32 v71, 29, v71
	v_lshlrev_b64 v[76:77], v72, v[35:36]
	s_delay_alu instid0(VALU_DEP_1)
	v_and_b32_e32 v35, 7, v76
; %bb.141:                              ;   in Loop: Header=BB228_13 Depth=1
	s_or_b32 exec_lo, exec_lo, s56
	v_lshlrev_b32_e32 v72, 16, v75
	s_delay_alu instid0(VALU_DEP_2) | instskip(SKIP_1) | instid1(VALU_DEP_3)
	v_lshlrev_b32_e32 v35, 20, v35
	v_lshl_add_u32 v71, v71, 23, 0x3c000000
	v_and_b32_e32 v72, 0x80000000, v72
	s_delay_alu instid0(VALU_DEP_1)
	v_or3_b32 v72, v35, v72, v71
	v_mov_b32_e32 v71, v36
.LBB228_142:                            ;   in Loop: Header=BB228_13 Depth=1
	s_or_b32 exec_lo, exec_lo, s40
.LBB228_143:                            ;   in Loop: Header=BB228_13 Depth=1
	s_delay_alu instid0(SALU_CYCLE_1)
	s_or_b32 exec_lo, exec_lo, s55
.LBB228_144:                            ;   in Loop: Header=BB228_13 Depth=1
	s_delay_alu instid0(SALU_CYCLE_1)
	s_or_b32 exec_lo, exec_lo, s54
	global_load_u16 v35, v[49:50], off offset:512
	v_mov_b32_e32 v75, 0
	s_waitcnt vmcnt(0)
	v_dual_mov_b32 v76, 0 :: v_dual_and_b32 v77, 0xff, v35
	v_and_b32_e32 v79, 0xffff, v35
	s_delay_alu instid0(VALU_DEP_2) | instskip(NEXT) | instid1(VALU_DEP_3)
	v_cmp_ne_u16_e64 s1, 0, v77
	v_dual_mov_b32 v78, v76 :: v_dual_mov_b32 v77, v75
	s_delay_alu instid0(VALU_DEP_2)
	s_and_saveexec_b32 s40, s1
	s_cbranch_execz .LBB228_152
; %bb.145:                              ;   in Loop: Header=BB228_13 Depth=1
	v_bfrev_b32_e32 v77, 1
	v_dual_mov_b32 v78, 0 :: v_dual_and_b32 v35, 0xff, v79
	s_mov_b32 s54, exec_lo
	s_delay_alu instid0(VALU_DEP_1)
	v_cmpx_ne_u16_e32 0x80, v35
	s_cbranch_execz .LBB228_151
; %bb.146:                              ;   in Loop: Header=BB228_13 Depth=1
	v_mov_b32_e32 v77, 0x7f800001
	v_and_b32_e32 v80, 0x7f, v79
	v_mov_b32_e32 v78, 0
	s_mov_b32 s55, exec_lo
	s_delay_alu instid0(VALU_DEP_2)
	v_cmpx_ne_u32_e32 0x7f, v80
	s_cbranch_execz .LBB228_150
; %bb.147:                              ;   in Loop: Header=BB228_13 Depth=1
	v_and_b32_e32 v35, 7, v79
	v_lshrrev_b32_e32 v77, 3, v80
	s_mov_b32 s56, exec_lo
	v_cmpx_gt_u32_e32 8, v80
; %bb.148:                              ;   in Loop: Header=BB228_13 Depth=1
	s_delay_alu instid0(VALU_DEP_3) | instskip(NEXT) | instid1(VALU_DEP_1)
	v_clz_i32_u32_e32 v77, v35
	v_min_u32_e32 v77, 32, v77
	s_delay_alu instid0(VALU_DEP_1) | instskip(SKIP_1) | instid1(VALU_DEP_2)
	v_subrev_nc_u32_e32 v78, 28, v77
	v_sub_nc_u32_e32 v77, 29, v77
	v_lshlrev_b64 v[80:81], v78, v[35:36]
	s_delay_alu instid0(VALU_DEP_1)
	v_and_b32_e32 v35, 7, v80
; %bb.149:                              ;   in Loop: Header=BB228_13 Depth=1
	s_or_b32 exec_lo, exec_lo, s56
	v_lshlrev_b32_e32 v78, 24, v79
	s_delay_alu instid0(VALU_DEP_2) | instskip(SKIP_1) | instid1(VALU_DEP_3)
	v_lshlrev_b32_e32 v35, 20, v35
	v_lshl_add_u32 v77, v77, 23, 0x3c000000
	v_and_b32_e32 v78, 0x80000000, v78
	s_delay_alu instid0(VALU_DEP_1) | instskip(NEXT) | instid1(VALU_DEP_1)
	v_or3_b32 v35, v35, v78, v77
	v_dual_mov_b32 v78, v36 :: v_dual_mov_b32 v77, v35
.LBB228_150:                            ;   in Loop: Header=BB228_13 Depth=1
	s_or_b32 exec_lo, exec_lo, s55
.LBB228_151:                            ;   in Loop: Header=BB228_13 Depth=1
	s_delay_alu instid0(SALU_CYCLE_1)
	s_or_b32 exec_lo, exec_lo, s54
.LBB228_152:                            ;   in Loop: Header=BB228_13 Depth=1
	s_delay_alu instid0(SALU_CYCLE_1) | instskip(SKIP_2) | instid1(VALU_DEP_1)
	s_or_b32 exec_lo, exec_lo, s40
	v_lshrrev_b16 v35, 8, v79
	s_mov_b32 s54, exec_lo
	v_cmpx_ne_u16_e32 0, v35
	s_cbranch_execz .LBB228_160
; %bb.153:                              ;   in Loop: Header=BB228_13 Depth=1
	v_dual_mov_b32 v76, s7 :: v_dual_mov_b32 v75, s6
	s_mov_b32 s55, exec_lo
	v_cmpx_ne_u16_e32 0x80, v35
	s_cbranch_execz .LBB228_159
; %bb.154:                              ;   in Loop: Header=BB228_13 Depth=1
	s_mov_b32 s40, s6
	v_dual_mov_b32 v76, s41 :: v_dual_and_b32 v35, 0xffff, v35
	v_mov_b32_e32 v75, s40
	s_mov_b32 s40, exec_lo
	s_delay_alu instid0(VALU_DEP_2) | instskip(NEXT) | instid1(VALU_DEP_1)
	v_and_b32_e32 v80, 0x7f, v35
	v_cmpx_ne_u32_e32 0x7f, v80
	s_cbranch_execz .LBB228_158
; %bb.155:                              ;   in Loop: Header=BB228_13 Depth=1
	v_and_b32_e32 v35, 7, v35
	v_lshrrev_b32_e32 v75, 3, v80
	s_mov_b32 s56, exec_lo
	v_cmpx_gt_u32_e32 8, v80
; %bb.156:                              ;   in Loop: Header=BB228_13 Depth=1
	s_delay_alu instid0(VALU_DEP_3) | instskip(NEXT) | instid1(VALU_DEP_1)
	v_clz_i32_u32_e32 v75, v35
	v_min_u32_e32 v75, 32, v75
	s_delay_alu instid0(VALU_DEP_1) | instskip(SKIP_1) | instid1(VALU_DEP_2)
	v_subrev_nc_u32_e32 v76, 28, v75
	v_sub_nc_u32_e32 v75, 29, v75
	v_lshlrev_b64 v[80:81], v76, v[35:36]
	s_delay_alu instid0(VALU_DEP_1)
	v_and_b32_e32 v35, 7, v80
; %bb.157:                              ;   in Loop: Header=BB228_13 Depth=1
	s_or_b32 exec_lo, exec_lo, s56
	v_lshlrev_b32_e32 v76, 16, v79
	s_delay_alu instid0(VALU_DEP_2) | instskip(SKIP_1) | instid1(VALU_DEP_3)
	v_lshlrev_b32_e32 v35, 20, v35
	v_lshl_add_u32 v75, v75, 23, 0x3c000000
	v_and_b32_e32 v76, 0x80000000, v76
	s_delay_alu instid0(VALU_DEP_1)
	v_or3_b32 v76, v35, v76, v75
	v_mov_b32_e32 v75, v36
.LBB228_158:                            ;   in Loop: Header=BB228_13 Depth=1
	s_or_b32 exec_lo, exec_lo, s40
.LBB228_159:                            ;   in Loop: Header=BB228_13 Depth=1
	s_delay_alu instid0(SALU_CYCLE_1)
	s_or_b32 exec_lo, exec_lo, s55
.LBB228_160:                            ;   in Loop: Header=BB228_13 Depth=1
	s_delay_alu instid0(SALU_CYCLE_1)
	s_or_b32 exec_lo, exec_lo, s54
	global_load_u16 v35, v[49:50], off offset:516
	v_mov_b32_e32 v79, 0
	s_waitcnt vmcnt(0)
	v_dual_mov_b32 v80, 0 :: v_dual_and_b32 v81, 0xff, v35
	v_and_b32_e32 v83, 0xffff, v35
	s_delay_alu instid0(VALU_DEP_2) | instskip(NEXT) | instid1(VALU_DEP_3)
	v_cmp_ne_u16_e64 s1, 0, v81
	v_dual_mov_b32 v82, v80 :: v_dual_mov_b32 v81, v79
	s_delay_alu instid0(VALU_DEP_2)
	s_and_saveexec_b32 s40, s1
	s_cbranch_execz .LBB228_168
; %bb.161:                              ;   in Loop: Header=BB228_13 Depth=1
	v_bfrev_b32_e32 v81, 1
	v_dual_mov_b32 v82, 0 :: v_dual_and_b32 v35, 0xff, v83
	s_mov_b32 s54, exec_lo
	s_delay_alu instid0(VALU_DEP_1)
	v_cmpx_ne_u16_e32 0x80, v35
	s_cbranch_execz .LBB228_167
; %bb.162:                              ;   in Loop: Header=BB228_13 Depth=1
	v_mov_b32_e32 v81, 0x7f800001
	v_and_b32_e32 v84, 0x7f, v83
	v_mov_b32_e32 v82, 0
	s_mov_b32 s55, exec_lo
	s_delay_alu instid0(VALU_DEP_2)
	v_cmpx_ne_u32_e32 0x7f, v84
	s_cbranch_execz .LBB228_166
; %bb.163:                              ;   in Loop: Header=BB228_13 Depth=1
	v_and_b32_e32 v35, 7, v83
	v_lshrrev_b32_e32 v81, 3, v84
	s_mov_b32 s56, exec_lo
	v_cmpx_gt_u32_e32 8, v84
; %bb.164:                              ;   in Loop: Header=BB228_13 Depth=1
	s_delay_alu instid0(VALU_DEP_3) | instskip(NEXT) | instid1(VALU_DEP_1)
	v_clz_i32_u32_e32 v81, v35
	v_min_u32_e32 v81, 32, v81
	s_delay_alu instid0(VALU_DEP_1) | instskip(SKIP_1) | instid1(VALU_DEP_2)
	v_subrev_nc_u32_e32 v82, 28, v81
	v_sub_nc_u32_e32 v81, 29, v81
	v_lshlrev_b64 v[84:85], v82, v[35:36]
	s_delay_alu instid0(VALU_DEP_1)
	v_and_b32_e32 v35, 7, v84
; %bb.165:                              ;   in Loop: Header=BB228_13 Depth=1
	s_or_b32 exec_lo, exec_lo, s56
	v_lshlrev_b32_e32 v82, 24, v83
	s_delay_alu instid0(VALU_DEP_2) | instskip(SKIP_1) | instid1(VALU_DEP_3)
	v_lshlrev_b32_e32 v35, 20, v35
	v_lshl_add_u32 v81, v81, 23, 0x3c000000
	v_and_b32_e32 v82, 0x80000000, v82
	s_delay_alu instid0(VALU_DEP_1) | instskip(NEXT) | instid1(VALU_DEP_1)
	v_or3_b32 v35, v35, v82, v81
	v_dual_mov_b32 v82, v36 :: v_dual_mov_b32 v81, v35
.LBB228_166:                            ;   in Loop: Header=BB228_13 Depth=1
	s_or_b32 exec_lo, exec_lo, s55
.LBB228_167:                            ;   in Loop: Header=BB228_13 Depth=1
	s_delay_alu instid0(SALU_CYCLE_1)
	s_or_b32 exec_lo, exec_lo, s54
.LBB228_168:                            ;   in Loop: Header=BB228_13 Depth=1
	s_delay_alu instid0(SALU_CYCLE_1) | instskip(SKIP_2) | instid1(VALU_DEP_1)
	s_or_b32 exec_lo, exec_lo, s40
	v_lshrrev_b16 v35, 8, v83
	s_mov_b32 s54, exec_lo
	v_cmpx_ne_u16_e32 0, v35
	s_cbranch_execz .LBB228_176
; %bb.169:                              ;   in Loop: Header=BB228_13 Depth=1
	v_dual_mov_b32 v80, s7 :: v_dual_mov_b32 v79, s6
	s_mov_b32 s55, exec_lo
	v_cmpx_ne_u16_e32 0x80, v35
	s_cbranch_execz .LBB228_175
; %bb.170:                              ;   in Loop: Header=BB228_13 Depth=1
	s_mov_b32 s40, s6
	v_dual_mov_b32 v80, s41 :: v_dual_and_b32 v35, 0xffff, v35
	v_mov_b32_e32 v79, s40
	s_mov_b32 s40, exec_lo
	s_delay_alu instid0(VALU_DEP_2) | instskip(NEXT) | instid1(VALU_DEP_1)
	v_and_b32_e32 v84, 0x7f, v35
	v_cmpx_ne_u32_e32 0x7f, v84
	s_cbranch_execz .LBB228_174
; %bb.171:                              ;   in Loop: Header=BB228_13 Depth=1
	v_and_b32_e32 v35, 7, v35
	v_lshrrev_b32_e32 v79, 3, v84
	s_mov_b32 s56, exec_lo
	v_cmpx_gt_u32_e32 8, v84
; %bb.172:                              ;   in Loop: Header=BB228_13 Depth=1
	s_delay_alu instid0(VALU_DEP_3) | instskip(NEXT) | instid1(VALU_DEP_1)
	v_clz_i32_u32_e32 v79, v35
	v_min_u32_e32 v79, 32, v79
	s_delay_alu instid0(VALU_DEP_1) | instskip(SKIP_1) | instid1(VALU_DEP_2)
	v_subrev_nc_u32_e32 v80, 28, v79
	v_sub_nc_u32_e32 v79, 29, v79
	v_lshlrev_b64 v[84:85], v80, v[35:36]
	s_delay_alu instid0(VALU_DEP_1)
	v_and_b32_e32 v35, 7, v84
; %bb.173:                              ;   in Loop: Header=BB228_13 Depth=1
	s_or_b32 exec_lo, exec_lo, s56
	v_lshlrev_b32_e32 v80, 16, v83
	s_delay_alu instid0(VALU_DEP_2) | instskip(SKIP_1) | instid1(VALU_DEP_3)
	v_lshlrev_b32_e32 v35, 20, v35
	v_lshl_add_u32 v79, v79, 23, 0x3c000000
	v_and_b32_e32 v80, 0x80000000, v80
	s_delay_alu instid0(VALU_DEP_1)
	v_or3_b32 v80, v35, v80, v79
	v_mov_b32_e32 v79, v36
.LBB228_174:                            ;   in Loop: Header=BB228_13 Depth=1
	s_or_b32 exec_lo, exec_lo, s40
.LBB228_175:                            ;   in Loop: Header=BB228_13 Depth=1
	s_delay_alu instid0(SALU_CYCLE_1)
	s_or_b32 exec_lo, exec_lo, s55
.LBB228_176:                            ;   in Loop: Header=BB228_13 Depth=1
	s_delay_alu instid0(SALU_CYCLE_1) | instskip(SKIP_1) | instid1(VALU_DEP_1)
	s_or_b32 exec_lo, exec_lo, s54
	v_add_co_u32 v87, s1, 0x200, v49
	v_add_co_ci_u32_e64 v88, s1, 0, v50, s1
	v_mov_b32_e32 v83, 0
	global_load_u16 v35, v[87:88], off offset:8
	s_waitcnt vmcnt(0)
	v_dual_mov_b32 v84, 0 :: v_dual_and_b32 v85, 0xff, v35
	v_and_b32_e32 v89, 0xffff, v35
	s_delay_alu instid0(VALU_DEP_2) | instskip(NEXT) | instid1(VALU_DEP_3)
	v_cmp_ne_u16_e64 s1, 0, v85
	v_dual_mov_b32 v86, v84 :: v_dual_mov_b32 v85, v83
	s_delay_alu instid0(VALU_DEP_2)
	s_and_saveexec_b32 s40, s1
	s_cbranch_execz .LBB228_184
; %bb.177:                              ;   in Loop: Header=BB228_13 Depth=1
	v_bfrev_b32_e32 v85, 1
	v_dual_mov_b32 v86, 0 :: v_dual_and_b32 v35, 0xff, v89
	s_mov_b32 s54, exec_lo
	s_delay_alu instid0(VALU_DEP_1)
	v_cmpx_ne_u16_e32 0x80, v35
	s_cbranch_execz .LBB228_183
; %bb.178:                              ;   in Loop: Header=BB228_13 Depth=1
	v_mov_b32_e32 v85, 0x7f800001
	v_and_b32_e32 v90, 0x7f, v89
	v_mov_b32_e32 v86, 0
	s_mov_b32 s55, exec_lo
	s_delay_alu instid0(VALU_DEP_2)
	v_cmpx_ne_u32_e32 0x7f, v90
	s_cbranch_execz .LBB228_182
; %bb.179:                              ;   in Loop: Header=BB228_13 Depth=1
	v_and_b32_e32 v35, 7, v89
	v_lshrrev_b32_e32 v85, 3, v90
	s_mov_b32 s56, exec_lo
	v_cmpx_gt_u32_e32 8, v90
; %bb.180:                              ;   in Loop: Header=BB228_13 Depth=1
	s_delay_alu instid0(VALU_DEP_3) | instskip(NEXT) | instid1(VALU_DEP_1)
	v_clz_i32_u32_e32 v85, v35
	v_min_u32_e32 v85, 32, v85
	s_delay_alu instid0(VALU_DEP_1) | instskip(SKIP_1) | instid1(VALU_DEP_2)
	v_subrev_nc_u32_e32 v86, 28, v85
	v_sub_nc_u32_e32 v85, 29, v85
	v_lshlrev_b64 v[90:91], v86, v[35:36]
	s_delay_alu instid0(VALU_DEP_1)
	v_and_b32_e32 v35, 7, v90
; %bb.181:                              ;   in Loop: Header=BB228_13 Depth=1
	s_or_b32 exec_lo, exec_lo, s56
	v_lshlrev_b32_e32 v86, 24, v89
	s_delay_alu instid0(VALU_DEP_2) | instskip(SKIP_1) | instid1(VALU_DEP_3)
	v_lshlrev_b32_e32 v35, 20, v35
	v_lshl_add_u32 v85, v85, 23, 0x3c000000
	v_and_b32_e32 v86, 0x80000000, v86
	s_delay_alu instid0(VALU_DEP_1) | instskip(NEXT) | instid1(VALU_DEP_1)
	v_or3_b32 v35, v35, v86, v85
	v_dual_mov_b32 v86, v36 :: v_dual_mov_b32 v85, v35
.LBB228_182:                            ;   in Loop: Header=BB228_13 Depth=1
	s_or_b32 exec_lo, exec_lo, s55
.LBB228_183:                            ;   in Loop: Header=BB228_13 Depth=1
	s_delay_alu instid0(SALU_CYCLE_1)
	s_or_b32 exec_lo, exec_lo, s54
.LBB228_184:                            ;   in Loop: Header=BB228_13 Depth=1
	s_delay_alu instid0(SALU_CYCLE_1) | instskip(SKIP_2) | instid1(VALU_DEP_1)
	s_or_b32 exec_lo, exec_lo, s40
	v_lshrrev_b16 v35, 8, v89
	s_mov_b32 s54, exec_lo
	v_cmpx_ne_u16_e32 0, v35
	s_cbranch_execz .LBB228_192
; %bb.185:                              ;   in Loop: Header=BB228_13 Depth=1
	v_dual_mov_b32 v84, s7 :: v_dual_mov_b32 v83, s6
	s_mov_b32 s55, exec_lo
	v_cmpx_ne_u16_e32 0x80, v35
	s_cbranch_execz .LBB228_191
; %bb.186:                              ;   in Loop: Header=BB228_13 Depth=1
	s_mov_b32 s40, s6
	v_dual_mov_b32 v84, s41 :: v_dual_and_b32 v35, 0xffff, v35
	v_mov_b32_e32 v83, s40
	s_mov_b32 s40, exec_lo
	s_delay_alu instid0(VALU_DEP_2) | instskip(NEXT) | instid1(VALU_DEP_1)
	v_and_b32_e32 v90, 0x7f, v35
	v_cmpx_ne_u32_e32 0x7f, v90
	s_cbranch_execz .LBB228_190
; %bb.187:                              ;   in Loop: Header=BB228_13 Depth=1
	v_and_b32_e32 v35, 7, v35
	v_lshrrev_b32_e32 v83, 3, v90
	s_mov_b32 s56, exec_lo
	v_cmpx_gt_u32_e32 8, v90
; %bb.188:                              ;   in Loop: Header=BB228_13 Depth=1
	s_delay_alu instid0(VALU_DEP_3) | instskip(NEXT) | instid1(VALU_DEP_1)
	v_clz_i32_u32_e32 v83, v35
	v_min_u32_e32 v83, 32, v83
	s_delay_alu instid0(VALU_DEP_1) | instskip(SKIP_1) | instid1(VALU_DEP_2)
	v_subrev_nc_u32_e32 v84, 28, v83
	v_sub_nc_u32_e32 v83, 29, v83
	v_lshlrev_b64 v[90:91], v84, v[35:36]
	s_delay_alu instid0(VALU_DEP_1)
	v_and_b32_e32 v35, 7, v90
; %bb.189:                              ;   in Loop: Header=BB228_13 Depth=1
	s_or_b32 exec_lo, exec_lo, s56
	v_lshlrev_b32_e32 v84, 16, v89
	s_delay_alu instid0(VALU_DEP_2) | instskip(SKIP_1) | instid1(VALU_DEP_3)
	v_lshlrev_b32_e32 v35, 20, v35
	v_lshl_add_u32 v83, v83, 23, 0x3c000000
	v_and_b32_e32 v84, 0x80000000, v84
	s_delay_alu instid0(VALU_DEP_1)
	v_or3_b32 v84, v35, v84, v83
	v_mov_b32_e32 v83, v36
.LBB228_190:                            ;   in Loop: Header=BB228_13 Depth=1
	s_or_b32 exec_lo, exec_lo, s40
.LBB228_191:                            ;   in Loop: Header=BB228_13 Depth=1
	s_delay_alu instid0(SALU_CYCLE_1)
	s_or_b32 exec_lo, exec_lo, s55
.LBB228_192:                            ;   in Loop: Header=BB228_13 Depth=1
	s_delay_alu instid0(SALU_CYCLE_1)
	s_or_b32 exec_lo, exec_lo, s54
	global_load_u16 v35, v[87:88], off offset:12
	v_mov_b32_e32 v87, 0
	s_waitcnt vmcnt(0)
	v_dual_mov_b32 v88, 0 :: v_dual_and_b32 v89, 0xff, v35
	v_and_b32_e32 v91, 0xffff, v35
	s_delay_alu instid0(VALU_DEP_2) | instskip(NEXT) | instid1(VALU_DEP_3)
	v_cmp_ne_u16_e64 s1, 0, v89
	v_dual_mov_b32 v90, v88 :: v_dual_mov_b32 v89, v87
	s_delay_alu instid0(VALU_DEP_2)
	s_and_saveexec_b32 s40, s1
	s_cbranch_execz .LBB228_200
; %bb.193:                              ;   in Loop: Header=BB228_13 Depth=1
	v_bfrev_b32_e32 v89, 1
	v_dual_mov_b32 v90, 0 :: v_dual_and_b32 v35, 0xff, v91
	s_mov_b32 s54, exec_lo
	s_delay_alu instid0(VALU_DEP_1)
	v_cmpx_ne_u16_e32 0x80, v35
	s_cbranch_execz .LBB228_199
; %bb.194:                              ;   in Loop: Header=BB228_13 Depth=1
	v_mov_b32_e32 v89, 0x7f800001
	v_and_b32_e32 v92, 0x7f, v91
	v_mov_b32_e32 v90, 0
	s_mov_b32 s55, exec_lo
	s_delay_alu instid0(VALU_DEP_2)
	v_cmpx_ne_u32_e32 0x7f, v92
	s_cbranch_execz .LBB228_198
; %bb.195:                              ;   in Loop: Header=BB228_13 Depth=1
	v_and_b32_e32 v35, 7, v91
	v_lshrrev_b32_e32 v89, 3, v92
	s_mov_b32 s56, exec_lo
	v_cmpx_gt_u32_e32 8, v92
; %bb.196:                              ;   in Loop: Header=BB228_13 Depth=1
	s_delay_alu instid0(VALU_DEP_3) | instskip(NEXT) | instid1(VALU_DEP_1)
	v_clz_i32_u32_e32 v89, v35
	v_min_u32_e32 v89, 32, v89
	s_delay_alu instid0(VALU_DEP_1) | instskip(SKIP_1) | instid1(VALU_DEP_2)
	v_subrev_nc_u32_e32 v90, 28, v89
	v_sub_nc_u32_e32 v89, 29, v89
	v_lshlrev_b64 v[92:93], v90, v[35:36]
	s_delay_alu instid0(VALU_DEP_1)
	v_and_b32_e32 v35, 7, v92
; %bb.197:                              ;   in Loop: Header=BB228_13 Depth=1
	s_or_b32 exec_lo, exec_lo, s56
	v_lshlrev_b32_e32 v90, 24, v91
	s_delay_alu instid0(VALU_DEP_2) | instskip(SKIP_1) | instid1(VALU_DEP_3)
	v_lshlrev_b32_e32 v35, 20, v35
	v_lshl_add_u32 v89, v89, 23, 0x3c000000
	v_and_b32_e32 v90, 0x80000000, v90
	s_delay_alu instid0(VALU_DEP_1) | instskip(NEXT) | instid1(VALU_DEP_1)
	v_or3_b32 v35, v35, v90, v89
	v_dual_mov_b32 v90, v36 :: v_dual_mov_b32 v89, v35
.LBB228_198:                            ;   in Loop: Header=BB228_13 Depth=1
	s_or_b32 exec_lo, exec_lo, s55
.LBB228_199:                            ;   in Loop: Header=BB228_13 Depth=1
	s_delay_alu instid0(SALU_CYCLE_1)
	s_or_b32 exec_lo, exec_lo, s54
.LBB228_200:                            ;   in Loop: Header=BB228_13 Depth=1
	s_delay_alu instid0(SALU_CYCLE_1) | instskip(SKIP_2) | instid1(VALU_DEP_1)
	s_or_b32 exec_lo, exec_lo, s40
	v_lshrrev_b16 v35, 8, v91
	s_mov_b32 s54, exec_lo
	v_cmpx_ne_u16_e32 0, v35
	s_cbranch_execz .LBB228_208
; %bb.201:                              ;   in Loop: Header=BB228_13 Depth=1
	v_dual_mov_b32 v88, s7 :: v_dual_mov_b32 v87, s6
	s_mov_b32 s55, exec_lo
	v_cmpx_ne_u16_e32 0x80, v35
	s_cbranch_execz .LBB228_207
; %bb.202:                              ;   in Loop: Header=BB228_13 Depth=1
	s_mov_b32 s40, s6
	v_dual_mov_b32 v88, s41 :: v_dual_and_b32 v35, 0xffff, v35
	v_mov_b32_e32 v87, s40
	s_mov_b32 s40, exec_lo
	s_delay_alu instid0(VALU_DEP_2) | instskip(NEXT) | instid1(VALU_DEP_1)
	v_and_b32_e32 v92, 0x7f, v35
	v_cmpx_ne_u32_e32 0x7f, v92
	s_cbranch_execz .LBB228_206
; %bb.203:                              ;   in Loop: Header=BB228_13 Depth=1
	v_and_b32_e32 v35, 7, v35
	v_lshrrev_b32_e32 v87, 3, v92
	s_mov_b32 s56, exec_lo
	v_cmpx_gt_u32_e32 8, v92
; %bb.204:                              ;   in Loop: Header=BB228_13 Depth=1
	s_delay_alu instid0(VALU_DEP_3) | instskip(NEXT) | instid1(VALU_DEP_1)
	v_clz_i32_u32_e32 v87, v35
	v_min_u32_e32 v87, 32, v87
	s_delay_alu instid0(VALU_DEP_1) | instskip(SKIP_1) | instid1(VALU_DEP_2)
	v_subrev_nc_u32_e32 v88, 28, v87
	v_sub_nc_u32_e32 v87, 29, v87
	v_lshlrev_b64 v[92:93], v88, v[35:36]
	s_delay_alu instid0(VALU_DEP_1)
	v_and_b32_e32 v35, 7, v92
; %bb.205:                              ;   in Loop: Header=BB228_13 Depth=1
	s_or_b32 exec_lo, exec_lo, s56
	v_lshlrev_b32_e32 v88, 16, v91
	s_delay_alu instid0(VALU_DEP_2) | instskip(SKIP_1) | instid1(VALU_DEP_3)
	v_lshlrev_b32_e32 v35, 20, v35
	v_lshl_add_u32 v87, v87, 23, 0x3c000000
	v_and_b32_e32 v88, 0x80000000, v88
	s_delay_alu instid0(VALU_DEP_1)
	v_or3_b32 v88, v35, v88, v87
	v_mov_b32_e32 v87, v36
.LBB228_206:                            ;   in Loop: Header=BB228_13 Depth=1
	s_or_b32 exec_lo, exec_lo, s40
.LBB228_207:                            ;   in Loop: Header=BB228_13 Depth=1
	s_delay_alu instid0(SALU_CYCLE_1)
	s_or_b32 exec_lo, exec_lo, s55
.LBB228_208:                            ;   in Loop: Header=BB228_13 Depth=1
	s_delay_alu instid0(SALU_CYCLE_1)
	s_or_b32 exec_lo, exec_lo, s54
	global_load_u16 v35, v[49:50], off offset:768
	v_mov_b32_e32 v91, 0
	s_waitcnt vmcnt(0)
	v_dual_mov_b32 v92, 0 :: v_dual_and_b32 v93, 0xff, v35
	v_and_b32_e32 v95, 0xffff, v35
	s_delay_alu instid0(VALU_DEP_2) | instskip(NEXT) | instid1(VALU_DEP_3)
	v_cmp_ne_u16_e64 s1, 0, v93
	v_dual_mov_b32 v94, v92 :: v_dual_mov_b32 v93, v91
	s_delay_alu instid0(VALU_DEP_2)
	s_and_saveexec_b32 s40, s1
	s_cbranch_execz .LBB228_216
; %bb.209:                              ;   in Loop: Header=BB228_13 Depth=1
	v_bfrev_b32_e32 v93, 1
	v_dual_mov_b32 v94, 0 :: v_dual_and_b32 v35, 0xff, v95
	s_mov_b32 s54, exec_lo
	s_delay_alu instid0(VALU_DEP_1)
	v_cmpx_ne_u16_e32 0x80, v35
	s_cbranch_execz .LBB228_215
; %bb.210:                              ;   in Loop: Header=BB228_13 Depth=1
	v_mov_b32_e32 v93, 0x7f800001
	v_and_b32_e32 v96, 0x7f, v95
	v_mov_b32_e32 v94, 0
	s_mov_b32 s55, exec_lo
	s_delay_alu instid0(VALU_DEP_2)
	v_cmpx_ne_u32_e32 0x7f, v96
	s_cbranch_execz .LBB228_214
; %bb.211:                              ;   in Loop: Header=BB228_13 Depth=1
	v_and_b32_e32 v35, 7, v95
	v_lshrrev_b32_e32 v93, 3, v96
	s_mov_b32 s56, exec_lo
	v_cmpx_gt_u32_e32 8, v96
; %bb.212:                              ;   in Loop: Header=BB228_13 Depth=1
	s_delay_alu instid0(VALU_DEP_3) | instskip(NEXT) | instid1(VALU_DEP_1)
	v_clz_i32_u32_e32 v93, v35
	v_min_u32_e32 v93, 32, v93
	s_delay_alu instid0(VALU_DEP_1) | instskip(SKIP_1) | instid1(VALU_DEP_2)
	v_subrev_nc_u32_e32 v94, 28, v93
	v_sub_nc_u32_e32 v93, 29, v93
	v_lshlrev_b64 v[96:97], v94, v[35:36]
	s_delay_alu instid0(VALU_DEP_1)
	v_and_b32_e32 v35, 7, v96
; %bb.213:                              ;   in Loop: Header=BB228_13 Depth=1
	s_or_b32 exec_lo, exec_lo, s56
	v_lshlrev_b32_e32 v94, 24, v95
	s_delay_alu instid0(VALU_DEP_2) | instskip(SKIP_1) | instid1(VALU_DEP_3)
	v_lshlrev_b32_e32 v35, 20, v35
	v_lshl_add_u32 v93, v93, 23, 0x3c000000
	v_and_b32_e32 v94, 0x80000000, v94
	s_delay_alu instid0(VALU_DEP_1) | instskip(NEXT) | instid1(VALU_DEP_1)
	v_or3_b32 v35, v35, v94, v93
	v_dual_mov_b32 v94, v36 :: v_dual_mov_b32 v93, v35
.LBB228_214:                            ;   in Loop: Header=BB228_13 Depth=1
	s_or_b32 exec_lo, exec_lo, s55
.LBB228_215:                            ;   in Loop: Header=BB228_13 Depth=1
	s_delay_alu instid0(SALU_CYCLE_1)
	s_or_b32 exec_lo, exec_lo, s54
.LBB228_216:                            ;   in Loop: Header=BB228_13 Depth=1
	s_delay_alu instid0(SALU_CYCLE_1) | instskip(SKIP_2) | instid1(VALU_DEP_1)
	s_or_b32 exec_lo, exec_lo, s40
	v_lshrrev_b16 v35, 8, v95
	s_mov_b32 s54, exec_lo
	v_cmpx_ne_u16_e32 0, v35
	s_cbranch_execz .LBB228_224
; %bb.217:                              ;   in Loop: Header=BB228_13 Depth=1
	v_dual_mov_b32 v92, s7 :: v_dual_mov_b32 v91, s6
	s_mov_b32 s55, exec_lo
	v_cmpx_ne_u16_e32 0x80, v35
	s_cbranch_execz .LBB228_223
; %bb.218:                              ;   in Loop: Header=BB228_13 Depth=1
	s_mov_b32 s40, s6
	v_dual_mov_b32 v92, s41 :: v_dual_and_b32 v35, 0xffff, v35
	v_mov_b32_e32 v91, s40
	s_mov_b32 s40, exec_lo
	s_delay_alu instid0(VALU_DEP_2) | instskip(NEXT) | instid1(VALU_DEP_1)
	v_and_b32_e32 v96, 0x7f, v35
	v_cmpx_ne_u32_e32 0x7f, v96
	s_cbranch_execz .LBB228_222
; %bb.219:                              ;   in Loop: Header=BB228_13 Depth=1
	v_and_b32_e32 v35, 7, v35
	v_lshrrev_b32_e32 v91, 3, v96
	s_mov_b32 s56, exec_lo
	v_cmpx_gt_u32_e32 8, v96
; %bb.220:                              ;   in Loop: Header=BB228_13 Depth=1
	s_delay_alu instid0(VALU_DEP_3) | instskip(NEXT) | instid1(VALU_DEP_1)
	v_clz_i32_u32_e32 v91, v35
	v_min_u32_e32 v91, 32, v91
	s_delay_alu instid0(VALU_DEP_1) | instskip(SKIP_1) | instid1(VALU_DEP_2)
	v_subrev_nc_u32_e32 v92, 28, v91
	v_sub_nc_u32_e32 v91, 29, v91
	v_lshlrev_b64 v[96:97], v92, v[35:36]
	s_delay_alu instid0(VALU_DEP_1)
	v_and_b32_e32 v35, 7, v96
; %bb.221:                              ;   in Loop: Header=BB228_13 Depth=1
	s_or_b32 exec_lo, exec_lo, s56
	v_lshlrev_b32_e32 v92, 16, v95
	s_delay_alu instid0(VALU_DEP_2) | instskip(SKIP_1) | instid1(VALU_DEP_3)
	v_lshlrev_b32_e32 v35, 20, v35
	v_lshl_add_u32 v91, v91, 23, 0x3c000000
	v_and_b32_e32 v92, 0x80000000, v92
	s_delay_alu instid0(VALU_DEP_1)
	v_or3_b32 v92, v35, v92, v91
	v_mov_b32_e32 v91, v36
.LBB228_222:                            ;   in Loop: Header=BB228_13 Depth=1
	s_or_b32 exec_lo, exec_lo, s40
.LBB228_223:                            ;   in Loop: Header=BB228_13 Depth=1
	s_delay_alu instid0(SALU_CYCLE_1)
	s_or_b32 exec_lo, exec_lo, s55
.LBB228_224:                            ;   in Loop: Header=BB228_13 Depth=1
	s_delay_alu instid0(SALU_CYCLE_1)
	s_or_b32 exec_lo, exec_lo, s54
	global_load_u16 v35, v[49:50], off offset:772
	v_mov_b32_e32 v95, 0
	s_waitcnt vmcnt(0)
	v_dual_mov_b32 v96, 0 :: v_dual_and_b32 v97, 0xff, v35
	v_and_b32_e32 v99, 0xffff, v35
	s_delay_alu instid0(VALU_DEP_2) | instskip(NEXT) | instid1(VALU_DEP_3)
	v_cmp_ne_u16_e64 s1, 0, v97
	v_dual_mov_b32 v98, v96 :: v_dual_mov_b32 v97, v95
	s_delay_alu instid0(VALU_DEP_2)
	s_and_saveexec_b32 s40, s1
	s_cbranch_execz .LBB228_232
; %bb.225:                              ;   in Loop: Header=BB228_13 Depth=1
	v_bfrev_b32_e32 v97, 1
	v_dual_mov_b32 v98, 0 :: v_dual_and_b32 v35, 0xff, v99
	s_mov_b32 s54, exec_lo
	s_delay_alu instid0(VALU_DEP_1)
	v_cmpx_ne_u16_e32 0x80, v35
	s_cbranch_execz .LBB228_231
; %bb.226:                              ;   in Loop: Header=BB228_13 Depth=1
	v_mov_b32_e32 v97, 0x7f800001
	v_and_b32_e32 v100, 0x7f, v99
	v_mov_b32_e32 v98, 0
	s_mov_b32 s55, exec_lo
	s_delay_alu instid0(VALU_DEP_2)
	v_cmpx_ne_u32_e32 0x7f, v100
	s_cbranch_execz .LBB228_230
; %bb.227:                              ;   in Loop: Header=BB228_13 Depth=1
	v_and_b32_e32 v35, 7, v99
	v_lshrrev_b32_e32 v97, 3, v100
	s_mov_b32 s56, exec_lo
	v_cmpx_gt_u32_e32 8, v100
; %bb.228:                              ;   in Loop: Header=BB228_13 Depth=1
	s_delay_alu instid0(VALU_DEP_3) | instskip(NEXT) | instid1(VALU_DEP_1)
	v_clz_i32_u32_e32 v97, v35
	v_min_u32_e32 v97, 32, v97
	s_delay_alu instid0(VALU_DEP_1) | instskip(SKIP_1) | instid1(VALU_DEP_2)
	v_subrev_nc_u32_e32 v98, 28, v97
	v_sub_nc_u32_e32 v97, 29, v97
	v_lshlrev_b64 v[100:101], v98, v[35:36]
	s_delay_alu instid0(VALU_DEP_1)
	v_and_b32_e32 v35, 7, v100
; %bb.229:                              ;   in Loop: Header=BB228_13 Depth=1
	s_or_b32 exec_lo, exec_lo, s56
	v_lshlrev_b32_e32 v98, 24, v99
	s_delay_alu instid0(VALU_DEP_2) | instskip(SKIP_1) | instid1(VALU_DEP_3)
	v_lshlrev_b32_e32 v35, 20, v35
	v_lshl_add_u32 v97, v97, 23, 0x3c000000
	v_and_b32_e32 v98, 0x80000000, v98
	s_delay_alu instid0(VALU_DEP_1) | instskip(NEXT) | instid1(VALU_DEP_1)
	v_or3_b32 v35, v35, v98, v97
	v_dual_mov_b32 v98, v36 :: v_dual_mov_b32 v97, v35
.LBB228_230:                            ;   in Loop: Header=BB228_13 Depth=1
	s_or_b32 exec_lo, exec_lo, s55
.LBB228_231:                            ;   in Loop: Header=BB228_13 Depth=1
	s_delay_alu instid0(SALU_CYCLE_1)
	s_or_b32 exec_lo, exec_lo, s54
.LBB228_232:                            ;   in Loop: Header=BB228_13 Depth=1
	s_delay_alu instid0(SALU_CYCLE_1) | instskip(SKIP_2) | instid1(VALU_DEP_1)
	s_or_b32 exec_lo, exec_lo, s40
	v_lshrrev_b16 v35, 8, v99
	s_mov_b32 s54, exec_lo
	v_cmpx_ne_u16_e32 0, v35
	s_cbranch_execz .LBB228_240
; %bb.233:                              ;   in Loop: Header=BB228_13 Depth=1
	v_dual_mov_b32 v96, s7 :: v_dual_mov_b32 v95, s6
	s_mov_b32 s55, exec_lo
	v_cmpx_ne_u16_e32 0x80, v35
	s_cbranch_execz .LBB228_239
; %bb.234:                              ;   in Loop: Header=BB228_13 Depth=1
	s_mov_b32 s40, s6
	v_dual_mov_b32 v96, s41 :: v_dual_and_b32 v35, 0xffff, v35
	v_mov_b32_e32 v95, s40
	s_mov_b32 s40, exec_lo
	s_delay_alu instid0(VALU_DEP_2) | instskip(NEXT) | instid1(VALU_DEP_1)
	v_and_b32_e32 v100, 0x7f, v35
	v_cmpx_ne_u32_e32 0x7f, v100
	s_cbranch_execz .LBB228_238
; %bb.235:                              ;   in Loop: Header=BB228_13 Depth=1
	v_and_b32_e32 v35, 7, v35
	v_lshrrev_b32_e32 v95, 3, v100
	s_mov_b32 s56, exec_lo
	v_cmpx_gt_u32_e32 8, v100
; %bb.236:                              ;   in Loop: Header=BB228_13 Depth=1
	s_delay_alu instid0(VALU_DEP_3) | instskip(NEXT) | instid1(VALU_DEP_1)
	v_clz_i32_u32_e32 v95, v35
	v_min_u32_e32 v95, 32, v95
	s_delay_alu instid0(VALU_DEP_1) | instskip(SKIP_1) | instid1(VALU_DEP_2)
	v_subrev_nc_u32_e32 v96, 28, v95
	v_sub_nc_u32_e32 v95, 29, v95
	v_lshlrev_b64 v[100:101], v96, v[35:36]
	s_delay_alu instid0(VALU_DEP_1)
	v_and_b32_e32 v35, 7, v100
; %bb.237:                              ;   in Loop: Header=BB228_13 Depth=1
	s_or_b32 exec_lo, exec_lo, s56
	v_lshlrev_b32_e32 v96, 16, v99
	s_delay_alu instid0(VALU_DEP_2) | instskip(SKIP_1) | instid1(VALU_DEP_3)
	v_lshlrev_b32_e32 v35, 20, v35
	v_lshl_add_u32 v95, v95, 23, 0x3c000000
	v_and_b32_e32 v96, 0x80000000, v96
	s_delay_alu instid0(VALU_DEP_1)
	v_or3_b32 v96, v35, v96, v95
	v_mov_b32_e32 v95, v36
.LBB228_238:                            ;   in Loop: Header=BB228_13 Depth=1
	s_or_b32 exec_lo, exec_lo, s40
.LBB228_239:                            ;   in Loop: Header=BB228_13 Depth=1
	s_delay_alu instid0(SALU_CYCLE_1)
	s_or_b32 exec_lo, exec_lo, s55
.LBB228_240:                            ;   in Loop: Header=BB228_13 Depth=1
	s_delay_alu instid0(SALU_CYCLE_1) | instskip(SKIP_1) | instid1(VALU_DEP_1)
	s_or_b32 exec_lo, exec_lo, s54
	v_add_co_u32 v101, s1, 0x300, v49
	v_add_co_ci_u32_e64 v102, s1, 0, v50, s1
	v_mov_b32_e32 v49, 0
	global_load_u16 v35, v[101:102], off offset:8
	s_waitcnt vmcnt(0)
	v_dual_mov_b32 v50, 0 :: v_dual_and_b32 v99, 0xff, v35
	v_and_b32_e32 v103, 0xffff, v35
	s_delay_alu instid0(VALU_DEP_2) | instskip(NEXT) | instid1(VALU_DEP_3)
	v_cmp_ne_u16_e64 s1, 0, v99
	v_dual_mov_b32 v100, v50 :: v_dual_mov_b32 v99, v49
	s_delay_alu instid0(VALU_DEP_2)
	s_and_saveexec_b32 s40, s1
	s_cbranch_execz .LBB228_248
; %bb.241:                              ;   in Loop: Header=BB228_13 Depth=1
	v_bfrev_b32_e32 v99, 1
	v_dual_mov_b32 v100, 0 :: v_dual_and_b32 v35, 0xff, v103
	s_mov_b32 s54, exec_lo
	s_delay_alu instid0(VALU_DEP_1)
	v_cmpx_ne_u16_e32 0x80, v35
	s_cbranch_execz .LBB228_247
; %bb.242:                              ;   in Loop: Header=BB228_13 Depth=1
	v_mov_b32_e32 v99, 0x7f800001
	v_and_b32_e32 v104, 0x7f, v103
	v_mov_b32_e32 v100, 0
	s_mov_b32 s55, exec_lo
	s_delay_alu instid0(VALU_DEP_2)
	v_cmpx_ne_u32_e32 0x7f, v104
	s_cbranch_execz .LBB228_246
; %bb.243:                              ;   in Loop: Header=BB228_13 Depth=1
	v_and_b32_e32 v35, 7, v103
	v_lshrrev_b32_e32 v99, 3, v104
	s_mov_b32 s56, exec_lo
	v_cmpx_gt_u32_e32 8, v104
; %bb.244:                              ;   in Loop: Header=BB228_13 Depth=1
	s_delay_alu instid0(VALU_DEP_3) | instskip(NEXT) | instid1(VALU_DEP_1)
	v_clz_i32_u32_e32 v99, v35
	v_min_u32_e32 v99, 32, v99
	s_delay_alu instid0(VALU_DEP_1) | instskip(SKIP_1) | instid1(VALU_DEP_2)
	v_subrev_nc_u32_e32 v100, 28, v99
	v_sub_nc_u32_e32 v99, 29, v99
	v_lshlrev_b64 v[119:120], v100, v[35:36]
	s_delay_alu instid0(VALU_DEP_1)
	v_and_b32_e32 v35, 7, v119
; %bb.245:                              ;   in Loop: Header=BB228_13 Depth=1
	s_or_b32 exec_lo, exec_lo, s56
	v_lshlrev_b32_e32 v100, 24, v103
	s_delay_alu instid0(VALU_DEP_2) | instskip(SKIP_1) | instid1(VALU_DEP_3)
	v_lshlrev_b32_e32 v35, 20, v35
	v_lshl_add_u32 v99, v99, 23, 0x3c000000
	v_and_b32_e32 v100, 0x80000000, v100
	s_delay_alu instid0(VALU_DEP_1) | instskip(NEXT) | instid1(VALU_DEP_1)
	v_or3_b32 v35, v35, v100, v99
	v_dual_mov_b32 v100, v36 :: v_dual_mov_b32 v99, v35
.LBB228_246:                            ;   in Loop: Header=BB228_13 Depth=1
	s_or_b32 exec_lo, exec_lo, s55
.LBB228_247:                            ;   in Loop: Header=BB228_13 Depth=1
	s_delay_alu instid0(SALU_CYCLE_1)
	s_or_b32 exec_lo, exec_lo, s54
.LBB228_248:                            ;   in Loop: Header=BB228_13 Depth=1
	s_delay_alu instid0(SALU_CYCLE_1) | instskip(SKIP_2) | instid1(VALU_DEP_1)
	s_or_b32 exec_lo, exec_lo, s40
	v_lshrrev_b16 v35, 8, v103
	s_mov_b32 s54, exec_lo
	v_cmpx_ne_u16_e32 0, v35
	s_cbranch_execz .LBB228_256
; %bb.249:                              ;   in Loop: Header=BB228_13 Depth=1
	v_dual_mov_b32 v50, s7 :: v_dual_mov_b32 v49, s6
	s_mov_b32 s55, exec_lo
	v_cmpx_ne_u16_e32 0x80, v35
	s_cbranch_execz .LBB228_255
; %bb.250:                              ;   in Loop: Header=BB228_13 Depth=1
	s_mov_b32 s40, s6
	v_dual_mov_b32 v50, s41 :: v_dual_and_b32 v35, 0xffff, v35
	v_mov_b32_e32 v49, s40
	s_mov_b32 s40, exec_lo
	s_delay_alu instid0(VALU_DEP_2) | instskip(NEXT) | instid1(VALU_DEP_1)
	v_and_b32_e32 v104, 0x7f, v35
	v_cmpx_ne_u32_e32 0x7f, v104
	s_cbranch_execz .LBB228_254
; %bb.251:                              ;   in Loop: Header=BB228_13 Depth=1
	v_and_b32_e32 v35, 7, v35
	v_lshrrev_b32_e32 v49, 3, v104
	s_mov_b32 s56, exec_lo
	v_cmpx_gt_u32_e32 8, v104
; %bb.252:                              ;   in Loop: Header=BB228_13 Depth=1
	s_delay_alu instid0(VALU_DEP_3) | instskip(NEXT) | instid1(VALU_DEP_1)
	v_clz_i32_u32_e32 v49, v35
	v_min_u32_e32 v49, 32, v49
	s_delay_alu instid0(VALU_DEP_1) | instskip(SKIP_1) | instid1(VALU_DEP_2)
	v_subrev_nc_u32_e32 v50, 28, v49
	v_sub_nc_u32_e32 v49, 29, v49
	v_lshlrev_b64 v[119:120], v50, v[35:36]
	s_delay_alu instid0(VALU_DEP_1)
	v_and_b32_e32 v35, 7, v119
; %bb.253:                              ;   in Loop: Header=BB228_13 Depth=1
	s_or_b32 exec_lo, exec_lo, s56
	v_lshlrev_b32_e32 v50, 16, v103
	s_delay_alu instid0(VALU_DEP_2) | instskip(SKIP_1) | instid1(VALU_DEP_3)
	v_lshlrev_b32_e32 v35, 20, v35
	v_lshl_add_u32 v49, v49, 23, 0x3c000000
	v_and_b32_e32 v50, 0x80000000, v50
	s_delay_alu instid0(VALU_DEP_1)
	v_or3_b32 v50, v35, v50, v49
	v_mov_b32_e32 v49, v36
.LBB228_254:                            ;   in Loop: Header=BB228_13 Depth=1
	s_or_b32 exec_lo, exec_lo, s40
.LBB228_255:                            ;   in Loop: Header=BB228_13 Depth=1
	s_delay_alu instid0(SALU_CYCLE_1)
	s_or_b32 exec_lo, exec_lo, s55
.LBB228_256:                            ;   in Loop: Header=BB228_13 Depth=1
	s_delay_alu instid0(SALU_CYCLE_1)
	s_or_b32 exec_lo, exec_lo, s54
	global_load_u16 v35, v[101:102], off offset:12
	v_mov_b32_e32 v101, 0
	s_waitcnt vmcnt(0)
	v_dual_mov_b32 v102, 0 :: v_dual_and_b32 v103, 0xff, v35
	v_and_b32_e32 v119, 0xffff, v35
	s_delay_alu instid0(VALU_DEP_2) | instskip(NEXT) | instid1(VALU_DEP_3)
	v_cmp_ne_u16_e64 s1, 0, v103
	v_dual_mov_b32 v104, v102 :: v_dual_mov_b32 v103, v101
	s_delay_alu instid0(VALU_DEP_2)
	s_and_saveexec_b32 s40, s1
	s_cbranch_execz .LBB228_264
; %bb.257:                              ;   in Loop: Header=BB228_13 Depth=1
	v_bfrev_b32_e32 v103, 1
	v_dual_mov_b32 v104, 0 :: v_dual_and_b32 v35, 0xff, v119
	s_mov_b32 s54, exec_lo
	s_delay_alu instid0(VALU_DEP_1)
	v_cmpx_ne_u16_e32 0x80, v35
	s_cbranch_execz .LBB228_263
; %bb.258:                              ;   in Loop: Header=BB228_13 Depth=1
	v_mov_b32_e32 v103, 0x7f800001
	v_and_b32_e32 v120, 0x7f, v119
	v_mov_b32_e32 v104, 0
	s_mov_b32 s55, exec_lo
	s_delay_alu instid0(VALU_DEP_2)
	v_cmpx_ne_u32_e32 0x7f, v120
	s_cbranch_execz .LBB228_262
; %bb.259:                              ;   in Loop: Header=BB228_13 Depth=1
	v_and_b32_e32 v35, 7, v119
	v_lshrrev_b32_e32 v103, 3, v120
	s_mov_b32 s56, exec_lo
	v_cmpx_gt_u32_e32 8, v120
; %bb.260:                              ;   in Loop: Header=BB228_13 Depth=1
	s_delay_alu instid0(VALU_DEP_3) | instskip(NEXT) | instid1(VALU_DEP_1)
	v_clz_i32_u32_e32 v103, v35
	v_min_u32_e32 v103, 32, v103
	s_delay_alu instid0(VALU_DEP_1) | instskip(SKIP_1) | instid1(VALU_DEP_2)
	v_subrev_nc_u32_e32 v104, 28, v103
	v_sub_nc_u32_e32 v103, 29, v103
	v_lshlrev_b64 v[120:121], v104, v[35:36]
	s_delay_alu instid0(VALU_DEP_1)
	v_and_b32_e32 v35, 7, v120
; %bb.261:                              ;   in Loop: Header=BB228_13 Depth=1
	s_or_b32 exec_lo, exec_lo, s56
	v_lshlrev_b32_e32 v104, 24, v119
	s_delay_alu instid0(VALU_DEP_2) | instskip(SKIP_1) | instid1(VALU_DEP_3)
	v_lshlrev_b32_e32 v35, 20, v35
	v_lshl_add_u32 v103, v103, 23, 0x3c000000
	v_and_b32_e32 v104, 0x80000000, v104
	s_delay_alu instid0(VALU_DEP_1) | instskip(NEXT) | instid1(VALU_DEP_1)
	v_or3_b32 v35, v35, v104, v103
	v_dual_mov_b32 v104, v36 :: v_dual_mov_b32 v103, v35
.LBB228_262:                            ;   in Loop: Header=BB228_13 Depth=1
	s_or_b32 exec_lo, exec_lo, s55
.LBB228_263:                            ;   in Loop: Header=BB228_13 Depth=1
	s_delay_alu instid0(SALU_CYCLE_1)
	s_or_b32 exec_lo, exec_lo, s54
.LBB228_264:                            ;   in Loop: Header=BB228_13 Depth=1
	s_delay_alu instid0(SALU_CYCLE_1) | instskip(SKIP_2) | instid1(VALU_DEP_1)
	s_or_b32 exec_lo, exec_lo, s40
	v_lshrrev_b16 v35, 8, v119
	s_mov_b32 s54, exec_lo
	v_cmpx_ne_u16_e32 0, v35
	s_cbranch_execz .LBB228_272
; %bb.265:                              ;   in Loop: Header=BB228_13 Depth=1
	v_dual_mov_b32 v102, s7 :: v_dual_mov_b32 v101, s6
	s_mov_b32 s55, exec_lo
	v_cmpx_ne_u16_e32 0x80, v35
	s_cbranch_execz .LBB228_271
; %bb.266:                              ;   in Loop: Header=BB228_13 Depth=1
	s_mov_b32 s40, s6
	v_dual_mov_b32 v102, s41 :: v_dual_and_b32 v35, 0xffff, v35
	v_mov_b32_e32 v101, s40
	s_mov_b32 s40, exec_lo
	s_delay_alu instid0(VALU_DEP_2) | instskip(NEXT) | instid1(VALU_DEP_1)
	v_and_b32_e32 v120, 0x7f, v35
	v_cmpx_ne_u32_e32 0x7f, v120
	s_cbranch_execz .LBB228_270
; %bb.267:                              ;   in Loop: Header=BB228_13 Depth=1
	v_and_b32_e32 v35, 7, v35
	v_lshrrev_b32_e32 v101, 3, v120
	s_mov_b32 s56, exec_lo
	v_cmpx_gt_u32_e32 8, v120
; %bb.268:                              ;   in Loop: Header=BB228_13 Depth=1
	s_delay_alu instid0(VALU_DEP_3) | instskip(NEXT) | instid1(VALU_DEP_1)
	v_clz_i32_u32_e32 v101, v35
	v_min_u32_e32 v101, 32, v101
	s_delay_alu instid0(VALU_DEP_1) | instskip(SKIP_1) | instid1(VALU_DEP_2)
	v_subrev_nc_u32_e32 v102, 28, v101
	v_sub_nc_u32_e32 v101, 29, v101
	v_lshlrev_b64 v[120:121], v102, v[35:36]
	s_delay_alu instid0(VALU_DEP_1)
	v_and_b32_e32 v35, 7, v120
; %bb.269:                              ;   in Loop: Header=BB228_13 Depth=1
	s_or_b32 exec_lo, exec_lo, s56
	v_lshlrev_b32_e32 v102, 16, v119
	s_delay_alu instid0(VALU_DEP_2) | instskip(SKIP_1) | instid1(VALU_DEP_3)
	v_lshlrev_b32_e32 v35, 20, v35
	v_lshl_add_u32 v101, v101, 23, 0x3c000000
	v_and_b32_e32 v102, 0x80000000, v102
	s_delay_alu instid0(VALU_DEP_1)
	v_or3_b32 v102, v35, v102, v101
	v_mov_b32_e32 v101, v36
.LBB228_270:                            ;   in Loop: Header=BB228_13 Depth=1
	s_or_b32 exec_lo, exec_lo, s40
.LBB228_271:                            ;   in Loop: Header=BB228_13 Depth=1
	s_delay_alu instid0(SALU_CYCLE_1)
	s_or_b32 exec_lo, exec_lo, s55
.LBB228_272:                            ;   in Loop: Header=BB228_13 Depth=1
	s_delay_alu instid0(SALU_CYCLE_1)
	s_or_b32 exec_lo, exec_lo, s54
	v_or_b32_e32 v45, v45, v47
	v_or_b32_e32 v46, v46, v48
	;; [unrolled: 1-line block ×5, first 2 shown]
	s_waitcnt lgkmcnt(0)
	v_dual_mul_f32 v43, s53, v45 :: v_dual_mul_f32 v44, s53, v46
	v_or_b32_e32 v45, v51, v53
	v_dual_mul_f32 v42, s53, v42 :: v_dual_mul_f32 v41, s53, v41
	s_delay_alu instid0(VALU_DEP_3) | instskip(SKIP_3) | instid1(VALU_DEP_4)
	v_dual_mul_f32 v31, v31, v43 :: v_dual_mul_f32 v32, v32, v44
	v_or_b32_e32 v56, v56, v58
	v_or_b32_e32 v43, v55, v57
	v_dual_mul_f32 v44, s53, v47 :: v_dual_mul_f32 v45, s53, v45
	v_dual_fmac_f32 v31, v29, v41 :: v_dual_fmac_f32 v32, v30, v42
	v_or_b32_e32 v60, v60, v62
	v_or_b32_e32 v29, v59, v61
	v_dual_mul_f32 v30, s53, v56 :: v_dual_mul_f32 v41, s53, v43
	s_delay_alu instid0(VALU_DEP_4) | instskip(SKIP_3) | instid1(VALU_DEP_4)
	v_dual_fmac_f32 v31, v25, v45 :: v_dual_fmac_f32 v32, v26, v44
	v_or_b32_e32 v64, v64, v66
	v_or_b32_e32 v25, v63, v65
	v_dual_mul_f32 v26, s53, v60 :: v_dual_mul_f32 v29, s53, v29
	v_dual_fmac_f32 v31, v27, v41 :: v_dual_fmac_f32 v32, v28, v30
	v_or_b32_e32 v68, v68, v70
	v_or_b32_e32 v27, v67, v69
	v_dual_mul_f32 v28, s53, v64 :: v_dual_mul_f32 v25, s53, v25
	s_delay_alu instid0(VALU_DEP_4) | instskip(SKIP_2) | instid1(VALU_DEP_3)
	v_dual_fmac_f32 v31, v21, v29 :: v_dual_fmac_f32 v32, v22, v26
	v_or_b32_e32 v21, v71, v73
	v_mul_f32_e32 v22, s53, v68
	v_dual_mul_f32 v26, s53, v27 :: v_dual_fmac_f32 v31, v23, v25
	v_or_b32_e32 v72, v72, v74
	s_delay_alu instid0(VALU_DEP_4) | instskip(SKIP_1) | instid1(VALU_DEP_4)
	v_dual_mul_f32 v21, s53, v21 :: v_dual_fmac_f32 v32, v24, v28
	v_or_b32_e32 v23, v75, v77
	v_fmac_f32_e32 v31, v17, v26
	v_or_b32_e32 v17, v79, v81
	v_or_b32_e32 v76, v76, v78
	v_mul_f32_e32 v24, s53, v72
	s_delay_alu instid0(VALU_DEP_4) | instskip(NEXT) | instid1(VALU_DEP_4)
	v_dual_fmac_f32 v32, v18, v22 :: v_dual_fmac_f32 v31, v19, v21
	v_dual_mul_f32 v17, s53, v17 :: v_dual_mul_f32 v22, s53, v23
	s_delay_alu instid0(VALU_DEP_4)
	v_mul_f32_e32 v18, s53, v76
	v_or_b32_e32 v19, v83, v85
	v_or_b32_e32 v80, v80, v82
	;; [unrolled: 1-line block ×3, first 2 shown]
	v_fmac_f32_e32 v31, v13, v22
	v_or_b32_e32 v13, v87, v89
	v_fmac_f32_e32 v32, v20, v24
	v_or_b32_e32 v35, v50, v100
	v_or_b32_e32 v88, v88, v90
	v_fmac_f32_e32 v31, v15, v17
	s_delay_alu instid0(VALU_DEP_4)
	v_dual_mul_f32 v13, s53, v13 :: v_dual_fmac_f32 v32, v14, v18
	v_mul_f32_e32 v18, s53, v19
	v_mul_f32_e32 v20, s53, v80
	;; [unrolled: 1-line block ×3, first 2 shown]
	v_or_b32_e32 v15, v91, v93
	v_or_b32_e32 v49, v49, v99
	v_fmac_f32_e32 v31, v9, v18
	v_or_b32_e32 v9, v95, v97
	v_or_b32_e32 v92, v92, v94
	;; [unrolled: 1-line block ×3, first 2 shown]
	s_delay_alu instid0(VALU_DEP_4) | instskip(SKIP_2) | instid1(VALU_DEP_2)
	v_fmac_f32_e32 v31, v11, v13
	v_dual_mul_f32 v11, s53, v35 :: v_dual_fmac_f32 v32, v16, v20
	v_dual_mul_f32 v9, s53, v9 :: v_dual_mul_f32 v16, s53, v88
	v_fmac_f32_e32 v32, v10, v14
	v_mul_f32_e32 v14, s53, v15
	s_delay_alu instid0(VALU_DEP_1) | instskip(SKIP_1) | instid1(VALU_DEP_2)
	v_fmac_f32_e32 v31, v5, v14
	v_mul_f32_e32 v5, s53, v49
	v_dual_fmac_f32 v31, v7, v9 :: v_dual_mul_f32 v10, s53, v92
	v_fmac_f32_e32 v32, v12, v16
	v_mul_f32_e32 v12, s53, v50
	v_xor_b32_e32 v7, 1, v108
	s_delay_alu instid0(VALU_DEP_3) | instskip(SKIP_2) | instid1(VALU_DEP_4)
	v_dual_fmac_f32 v31, v1, v5 :: v_dual_fmac_f32 v32, v6, v10
	v_or_b32_e32 v6, v102, v104
	v_or_b32_e32 v10, v101, v103
	v_cmp_gt_i32_e64 s1, 32, v7
	s_delay_alu instid0(VALU_DEP_4) | instskip(NEXT) | instid1(VALU_DEP_4)
	v_fmac_f32_e32 v32, v8, v12
	v_mul_f32_e32 v6, s53, v6
	s_delay_alu instid0(VALU_DEP_4) | instskip(NEXT) | instid1(VALU_DEP_4)
	v_mul_f32_e32 v8, s53, v10
	v_cndmask_b32_e64 v1, v108, v7, s1
	s_delay_alu instid0(VALU_DEP_2) | instskip(NEXT) | instid1(VALU_DEP_2)
	v_dual_fmac_f32 v32, v2, v11 :: v_dual_fmac_f32 v31, v3, v8
	v_lshlrev_b32_e32 v2, 2, v1
	s_delay_alu instid0(VALU_DEP_2) | instskip(NEXT) | instid1(VALU_DEP_1)
	v_fmac_f32_e32 v32, v4, v6
	v_add_f32_e32 v1, v31, v32
	ds_bpermute_b32 v2, v2, v1
	s_and_saveexec_b32 s40, vcc_lo
	s_cbranch_execz .LBB228_11
; %bb.273:                              ;   in Loop: Header=BB228_13 Depth=1
	v_add_nc_u32_e32 v3, v115, v113
	s_waitcnt lgkmcnt(0)
	v_add_f32_e32 v1, v1, v2
	s_delay_alu instid0(VALU_DEP_2) | instskip(NEXT) | instid1(VALU_DEP_1)
	v_cvt_f32_i32_e32 v3, v3
	v_mul_f32_e32 v3, s46, v3
	s_delay_alu instid0(VALU_DEP_1) | instskip(SKIP_1) | instid1(VALU_DEP_2)
	v_cndmask_b32_e64 v2, 0, v3, s0
	v_max_f32_e32 v3, v109, v109
	v_fmac_f32_e32 v2, s39, v1
	v_add_nc_u32_e32 v1, v110, v113
	s_delay_alu instid0(VALU_DEP_2) | instskip(NEXT) | instid1(VALU_DEP_2)
	v_max_f32_e32 v3, v3, v2
	v_cmp_gt_i32_e64 s1, s33, v1
	s_delay_alu instid0(VALU_DEP_1) | instskip(NEXT) | instid1(VALU_DEP_3)
	v_cndmask_b32_e64 v1, 0, v2, s1
	v_cndmask_b32_e64 v109, v109, v3, s1
	ds_store_b32 v116, v1
	s_branch .LBB228_11
.LBB228_274:
	s_or_b32 exec_lo, exec_lo, s52
.LBB228_275:
	s_delay_alu instid0(SALU_CYCLE_1)
	s_or_b32 exec_lo, exec_lo, s48
	v_xor_b32_e32 v1, 16, v108
	v_xor_b32_e32 v3, 8, v108
	;; [unrolled: 1-line block ×3, first 2 shown]
	v_max_f32_e32 v5, v109, v109
	v_and_b32_e32 v21, 31, v0
	v_cmp_gt_i32_e32 vcc_lo, 32, v1
	v_cndmask_b32_e32 v1, v108, v1, vcc_lo
	v_cmp_gt_i32_e32 vcc_lo, 32, v3
	v_cndmask_b32_e32 v3, v108, v3, vcc_lo
	s_delay_alu instid0(VALU_DEP_1)
	v_lshlrev_b32_e32 v4, 2, v3
	s_waitcnt lgkmcnt(0)
	v_lshlrev_b32_e32 v2, 2, v1
	ds_bpermute_b32 v1, v2, v109
	s_waitcnt lgkmcnt(0)
	v_max_f32_e32 v1, v1, v1
	s_delay_alu instid0(VALU_DEP_1)
	v_max_f32_e32 v1, v5, v1
	v_xor_b32_e32 v5, 4, v108
	ds_bpermute_b32 v3, v4, v1
	v_cmp_gt_i32_e32 vcc_lo, 32, v5
	v_cndmask_b32_e32 v5, v108, v5, vcc_lo
	v_cmp_gt_i32_e32 vcc_lo, 32, v6
	s_delay_alu instid0(VALU_DEP_2) | instskip(SKIP_1) | instid1(VALU_DEP_2)
	v_dual_cndmask_b32 v6, v108, v6 :: v_dual_lshlrev_b32 v5, 2, v5
	v_cmp_eq_u32_e32 vcc_lo, 0, v21
	v_lshlrev_b32_e32 v22, 2, v6
	s_waitcnt lgkmcnt(0)
	v_dual_max_f32 v3, v3, v3 :: v_dual_lshlrev_b32 v6, 2, v105
	s_delay_alu instid0(VALU_DEP_1) | instskip(SKIP_3) | instid1(VALU_DEP_1)
	v_max_f32_e32 v1, v1, v3
	ds_bpermute_b32 v3, v5, v1
	s_waitcnt lgkmcnt(0)
	v_max_f32_e32 v3, v3, v3
	v_max_f32_e32 v1, v1, v3
	ds_bpermute_b32 v3, v22, v1
	s_and_saveexec_b32 s0, vcc_lo
	s_cbranch_execz .LBB228_277
; %bb.276:
	s_waitcnt lgkmcnt(0)
	v_max_f32_e32 v3, v3, v3
	v_max_f32_e32 v1, v1, v1
	s_delay_alu instid0(VALU_DEP_1)
	v_max_f32_e32 v1, v1, v3
	ds_store_b32 v6, v1 offset:256
.LBB228_277:
	s_or_b32 exec_lo, exec_lo, s0
	v_cmp_gt_u32_e64 s0, 4, v21
	v_mov_b32_e32 v1, 0xff7fffff
	v_lshlrev_b32_e32 v7, 2, v21
	s_waitcnt lgkmcnt(0)
	s_barrier
	buffer_gl0_inv
	s_and_saveexec_b32 s1, s0
	s_cbranch_execz .LBB228_279
; %bb.278:
	ds_load_b32 v1, v7 offset:256
.LBB228_279:
	s_or_b32 exec_lo, exec_lo, s1
	s_waitcnt lgkmcnt(0)
	ds_bpermute_b32 v3, v22, v1
	v_xor_b32_e32 v8, 1, v108
	v_max_f32_e32 v1, v1, v1
	s_delay_alu instid0(VALU_DEP_2) | instskip(NEXT) | instid1(VALU_DEP_1)
	v_cmp_gt_i32_e64 s1, 32, v8
	v_cndmask_b32_e64 v8, v108, v8, s1
	s_sub_i32 s1, s16, s47
	s_delay_alu instid0(SALU_CYCLE_1) | instskip(NEXT) | instid1(VALU_DEP_1)
	s_lshl_b32 s1, s1, 4
	v_dual_mov_b32 v8, 0 :: v_dual_lshlrev_b32 v23, 2, v8
	s_add_i32 s1, s1, s43
	s_delay_alu instid0(SALU_CYCLE_1) | instskip(SKIP_3) | instid1(SALU_CYCLE_1)
	s_min_i32 s1, s1, s33
	s_waitcnt lgkmcnt(0)
	v_max_f32_e32 v3, v3, v3
	s_sub_i32 s6, s1, s43
	v_cmp_gt_i32_e64 s1, s6, v0
	s_delay_alu instid0(VALU_DEP_2) | instskip(SKIP_3) | instid1(VALU_DEP_1)
	v_max_f32_e32 v1, v1, v3
	ds_bpermute_b32 v3, v23, v1
	s_waitcnt lgkmcnt(0)
	v_max_f32_e32 v3, v3, v3
	v_max_f32_e32 v1, v1, v3
	v_lshl_add_u32 v3, v0, 2, 0x120
	ds_bpermute_b32 v1, v8, v1
	s_and_saveexec_b32 s7, s1
	s_cbranch_execz .LBB228_283
; %bb.280:
	v_lshl_add_u32 v9, v0, 2, 0x120
	v_mov_b32_e32 v8, 0
	v_mov_b32_e32 v10, v0
	s_mov_b32 s8, 0
	.p2align	6
.LBB228_281:                            ; =>This Inner Loop Header: Depth=1
	ds_load_b32 v11, v9
	v_add_nc_u32_e32 v10, 0x80, v10
	s_delay_alu instid0(VALU_DEP_1) | instskip(NEXT) | instid1(VALU_DEP_1)
	v_cmp_le_i32_e64 s4, s6, v10
	s_or_b32 s8, s4, s8
	s_waitcnt lgkmcnt(0)
	v_sub_f32_e32 v11, v11, v1
	s_delay_alu instid0(VALU_DEP_1) | instskip(NEXT) | instid1(VALU_DEP_1)
	v_mul_f32_e32 v11, 0x3fb8aa3b, v11
	v_exp_f32_e32 v11, v11
	ds_store_b32 v9, v11
	v_dual_add_f32 v8, v8, v11 :: v_dual_add_nc_u32 v9, 0x200, v9
	s_and_not1_b32 exec_lo, exec_lo, s8
	s_cbranch_execnz .LBB228_281
; %bb.282:
	s_or_b32 exec_lo, exec_lo, s8
.LBB228_283:
	s_delay_alu instid0(SALU_CYCLE_1)
	s_or_b32 exec_lo, exec_lo, s7
	ds_bpermute_b32 v2, v2, v8
	s_waitcnt lgkmcnt(0)
	v_add_f32_e32 v2, v8, v2
	ds_bpermute_b32 v4, v4, v2
	s_waitcnt lgkmcnt(0)
	v_add_f32_e32 v2, v2, v4
	;; [unrolled: 3-line block ×5, first 2 shown]
	s_and_saveexec_b32 s4, vcc_lo
	s_cbranch_execz .LBB228_285
; %bb.284:
	ds_store_b32 v6, v2 offset:272
.LBB228_285:
	s_or_b32 exec_lo, exec_lo, s4
	s_waitcnt lgkmcnt(0)
	s_barrier
	buffer_gl0_inv
	s_and_saveexec_b32 s4, s0
	s_cbranch_execz .LBB228_287
; %bb.286:
	ds_load_b32 v2, v7 offset:272
.LBB228_287:
	s_or_b32 exec_lo, exec_lo, s4
	s_waitcnt lgkmcnt(0)
	ds_bpermute_b32 v4, v22, v2
	s_waitcnt lgkmcnt(0)
	v_add_f32_e32 v2, v2, v4
	ds_bpermute_b32 v4, v23, v2
	s_waitcnt lgkmcnt(0)
	v_add_f32_e32 v2, v2, v4
	v_mov_b32_e32 v4, 0
	ds_bpermute_b32 v2, v4, v2
	s_and_saveexec_b32 s0, s1
	s_cbranch_execz .LBB228_290
; %bb.288:
	s_waitcnt lgkmcnt(0)
	v_add_f32_e32 v4, 0x358637bd, v2
	s_mov_b32 s1, 0
	s_delay_alu instid0(VALU_DEP_1) | instskip(SKIP_1) | instid1(VALU_DEP_2)
	v_div_scale_f32 v5, null, v4, v4, 1.0
	v_div_scale_f32 v8, vcc_lo, 1.0, v4, 1.0
	v_rcp_f32_e32 v6, v5
	s_waitcnt_depctr 0xfff
	v_fma_f32 v7, -v5, v6, 1.0
	s_delay_alu instid0(VALU_DEP_1) | instskip(NEXT) | instid1(VALU_DEP_1)
	v_fmac_f32_e32 v6, v7, v6
	v_mul_f32_e32 v7, v8, v6
	s_delay_alu instid0(VALU_DEP_1) | instskip(NEXT) | instid1(VALU_DEP_1)
	v_fma_f32 v9, -v5, v7, v8
	v_fmac_f32_e32 v7, v9, v6
	s_delay_alu instid0(VALU_DEP_1) | instskip(NEXT) | instid1(VALU_DEP_1)
	v_fma_f32 v5, -v5, v7, v8
	v_div_fmas_f32 v5, v5, v6, v7
	s_delay_alu instid0(VALU_DEP_1)
	v_div_fixup_f32 v4, v5, v4, 1.0
	v_mov_b32_e32 v5, v0
.LBB228_289:                            ; =>This Inner Loop Header: Depth=1
	ds_load_b32 v6, v3
	s_waitcnt lgkmcnt(0)
	v_dual_mul_f32 v6, v4, v6 :: v_dual_add_nc_u32 v5, 0x80, v5
	s_delay_alu instid0(VALU_DEP_1) | instskip(SKIP_3) | instid1(SALU_CYCLE_1)
	v_cmp_le_i32_e32 vcc_lo, s6, v5
	ds_store_b32 v3, v6
	v_add_nc_u32_e32 v3, 0x200, v3
	s_or_b32 s1, vcc_lo, s1
	s_and_not1_b32 exec_lo, exec_lo, s1
	s_cbranch_execnz .LBB228_289
.LBB228_290:
	s_or_b32 exec_lo, exec_lo, s0
	s_mul_i32 s0, s15, s14
	s_waitcnt lgkmcnt(0)
	s_mul_i32 s6, s0, s13
	s_mov_b32 s0, exec_lo
	s_barrier
	buffer_gl0_inv
	v_cmpx_eq_u32_e32 0, v0
	s_cbranch_execz .LBB228_292
; %bb.291:
	s_ashr_i32 s7, s6, 31
	s_mul_i32 s40, s15, s28
	s_lshl_b64 s[8:9], s[6:7], 2
	v_mov_b32_e32 v3, 0
	s_add_u32 s1, s22, s8
	s_addc_u32 s4, s23, s9
	s_ashr_i32 s41, s40, 31
	s_delay_alu instid0(SALU_CYCLE_1) | instskip(NEXT) | instid1(SALU_CYCLE_1)
	s_lshl_b64 s[22:23], s[40:41], 2
	s_add_u32 s1, s1, s22
	s_addc_u32 s4, s4, s23
	s_ashr_i32 s13, s12, 31
	s_delay_alu instid0(SALU_CYCLE_1) | instskip(NEXT) | instid1(SALU_CYCLE_1)
	s_lshl_b64 s[40:41], s[12:13], 2
	s_add_u32 s46, s1, s40
	s_addc_u32 s47, s4, s41
	s_add_u32 s1, s20, s8
	s_addc_u32 s4, s21, s9
	;; [unrolled: 2-line block ×4, first 2 shown]
	s_clause 0x1
	global_store_b32 v3, v1, s[46:47]
	global_store_b32 v3, v2, s[8:9]
.LBB228_292:
	s_or_b32 exec_lo, exec_lo, s0
	v_dual_mov_b32 v32, 0 :: v_dual_mov_b32 v27, 0
	v_dual_mov_b32 v29, 0 :: v_dual_and_b32 v24, 3, v0
	v_dual_mov_b32 v26, 0 :: v_dual_mov_b32 v31, 0
	v_dual_mov_b32 v28, 0 :: v_dual_mov_b32 v25, 0
	v_mov_b32_e32 v30, 0
	s_mov_b32 s4, 0
	s_and_saveexec_b32 s1, s3
	s_cbranch_execz .LBB228_570
; %bb.293:
	s_sub_i32 s3, s45, s17
	s_ashr_i32 s0, s44, 31
	s_add_u32 s14, s36, s44
	s_addc_u32 s0, s37, s0
	s_abs_i32 s7, s18
	s_mov_b32 s13, s5
	v_cvt_f32_u32_e32 v1, s7
	s_sub_i32 s5, 0, s7
	v_dual_mov_b32 v25, 0 :: v_dual_and_b32 v4, 0x7c, v107
	v_dual_mov_b32 v30, 0 :: v_dual_lshlrev_b32 v5, 4, v24
	s_delay_alu instid0(VALU_DEP_3)
	v_rcp_iflag_f32_e32 v3, v1
	v_lshlrev_b64 v[1:2], 2, v[33:34]
	s_lshl_b64 s[8:9], s[34:35], 2
	s_add_i32 s38, s38, -1
	v_lshl_or_b32 v5, v105, 6, v5
	v_dual_mov_b32 v6, 0 :: v_dual_and_b32 v35, 12, v107
	v_dual_mov_b32 v28, 0 :: v_dual_mov_b32 v31, 0
	s_waitcnt_depctr 0xfff
	v_dual_mov_b32 v26, 0 :: v_dual_mul_f32 v3, 0x4f7ffffe, v3
	v_dual_mov_b32 v29, 0 :: v_dual_add_nc_u32 v34, 0x120, v5
	v_mov_b32_e32 v32, 0
	s_delay_alu instid0(VALU_DEP_3) | instskip(NEXT) | instid1(VALU_DEP_1)
	v_cvt_u32_f32_e32 v3, v3
	v_mul_lo_u32 v9, s5, v3
	v_add_co_u32 v7, s5, s14, v4
	s_delay_alu instid0(VALU_DEP_1) | instskip(SKIP_3) | instid1(VALU_DEP_3)
	v_add_co_ci_u32_e64 v8, null, s0, 0, s5
	s_add_u32 s0, s30, s8
	s_addc_u32 s5, s31, s9
	s_mov_b32 s9, 0x7f800001
	v_mul_hi_u32 v4, v3, v9
	v_add_co_u32 v9, vcc_lo, s0, v1
	v_mov_b32_e32 v27, 0
	v_add_co_ci_u32_e32 v10, vcc_lo, s5, v2, vcc_lo
	s_brev_b32 s5, 1
	s_mov_b32 s14, s4
	s_delay_alu instid0(VALU_DEP_4)
	v_add_nc_u32_e32 v36, v3, v4
	s_branch .LBB228_296
.LBB228_294:                            ;   in Loop: Header=BB228_296 Depth=1
	s_or_b32 exec_lo, exec_lo, s0
	v_mul_f32_e32 v15, v2, v64
	v_mul_f32_e32 v14, v2, v66
	;; [unrolled: 1-line block ×3, first 2 shown]
	s_delay_alu instid0(VALU_DEP_3) | instskip(NEXT) | instid1(VALU_DEP_3)
	v_dual_fmac_f32 v15, v1, v63 :: v_dual_mul_f32 v16, v2, v60
	v_fmac_f32_e32 v14, v1, v65
	s_delay_alu instid0(VALU_DEP_3) | instskip(NEXT) | instid1(VALU_DEP_3)
	v_dual_fmac_f32 v17, v1, v55 :: v_dual_mul_f32 v40, v2, v40
	v_dual_fmac_f32 v15, v3, v62 :: v_dual_fmac_f32 v16, v1, v59
	s_delay_alu instid0(VALU_DEP_3) | instskip(NEXT) | instid1(VALU_DEP_3)
	v_fmac_f32_e32 v14, v3, v20
	v_dual_mul_f32 v18, v2, v52 :: v_dual_fmac_f32 v17, v3, v54
	s_delay_alu instid0(VALU_DEP_3) | instskip(SKIP_1) | instid1(VALU_DEP_3)
	v_dual_fmac_f32 v15, v4, v61 :: v_dual_fmac_f32 v16, v3, v58
	v_fmac_f32_e32 v40, v1, v39
	v_dual_fmac_f32 v18, v1, v51 :: v_dual_fmac_f32 v17, v4, v53
	s_delay_alu instid0(VALU_DEP_3) | instskip(NEXT) | instid1(VALU_DEP_4)
	v_add_f32_e32 v26, v26, v15
	v_fmac_f32_e32 v16, v4, v57
	s_delay_alu instid0(VALU_DEP_4) | instskip(SKIP_2) | instid1(VALU_DEP_4)
	v_fmac_f32_e32 v40, v3, v38
	v_fmac_f32_e32 v14, v4, v19
	;; [unrolled: 1-line block ×3, first 2 shown]
	v_dual_add_f32 v28, v28, v17 :: v_dual_add_f32 v29, v29, v16
	s_delay_alu instid0(VALU_DEP_3) | instskip(SKIP_3) | instid1(VALU_DEP_4)
	v_dual_mul_f32 v20, v2, v48 :: v_dual_add_f32 v27, v27, v14
	v_fmac_f32_e32 v40, v4, v37
	v_mul_f32_e32 v2, v2, v13
	v_fmac_f32_e32 v18, v4, v49
	v_fmac_f32_e32 v20, v1, v47
	s_delay_alu instid0(VALU_DEP_4) | instskip(NEXT) | instid1(VALU_DEP_4)
	v_add_f32_e32 v25, v25, v40
	v_fmac_f32_e32 v2, v1, v12
	s_delay_alu instid0(VALU_DEP_4) | instskip(NEXT) | instid1(VALU_DEP_4)
	v_add_f32_e32 v30, v30, v18
	v_fmac_f32_e32 v20, v3, v46
	s_delay_alu instid0(VALU_DEP_3) | instskip(NEXT) | instid1(VALU_DEP_2)
	v_fmac_f32_e32 v2, v3, v11
	v_fmac_f32_e32 v20, v4, v45
	s_delay_alu instid0(VALU_DEP_1) | instskip(NEXT) | instid1(VALU_DEP_1)
	v_dual_fmac_f32 v2, v4, v5 :: v_dual_add_f32 v31, v31, v20
	v_add_f32_e32 v32, v32, v2
.LBB228_295:                            ;   in Loop: Header=BB228_296 Depth=1
	s_or_b32 exec_lo, exec_lo, s17
	v_add_nc_u32_e32 v33, 4, v33
	v_add_co_u32 v9, s0, v9, 16
	s_delay_alu instid0(VALU_DEP_1) | instskip(NEXT) | instid1(VALU_DEP_3)
	v_add_co_ci_u32_e64 v10, s0, 0, v10, s0
	v_cmp_le_i32_e32 vcc_lo, s16, v33
	v_add_nc_u32_e32 v106, 64, v106
	v_add_nc_u32_e32 v34, 0x100, v34
	s_or_b32 s14, vcc_lo, s14
	s_delay_alu instid0(SALU_CYCLE_1)
	s_and_not1_b32 exec_lo, exec_lo, s14
	s_cbranch_execz .LBB228_569
.LBB228_296:                            ; =>This Inner Loop Header: Depth=1
	v_sub_nc_u32_e32 v1, 0, v106
	s_delay_alu instid0(VALU_DEP_1) | instskip(NEXT) | instid1(VALU_DEP_1)
	v_max_i32_e32 v1, v106, v1
	v_mul_hi_u32 v2, v1, s29
	s_delay_alu instid0(VALU_DEP_1) | instskip(NEXT) | instid1(VALU_DEP_1)
	v_mul_lo_u32 v3, v2, s25
	v_sub_nc_u32_e32 v1, v1, v3
	v_add_nc_u32_e32 v3, 1, v2
	s_delay_alu instid0(VALU_DEP_2) | instskip(SKIP_1) | instid1(VALU_DEP_2)
	v_subrev_nc_u32_e32 v4, s25, v1
	v_cmp_le_u32_e32 vcc_lo, s25, v1
	v_dual_cndmask_b32 v2, v2, v3 :: v_dual_cndmask_b32 v1, v1, v4
	v_ashrrev_i32_e32 v3, 31, v106
	s_delay_alu instid0(VALU_DEP_2) | instskip(NEXT) | instid1(VALU_DEP_3)
	v_add_nc_u32_e32 v4, 1, v2
	v_cmp_le_u32_e32 vcc_lo, s25, v1
	s_delay_alu instid0(VALU_DEP_3) | instskip(NEXT) | instid1(VALU_DEP_3)
	v_xor_b32_e32 v3, s19, v3
	v_cndmask_b32_e32 v1, v2, v4, vcc_lo
	s_delay_alu instid0(VALU_DEP_1) | instskip(NEXT) | instid1(VALU_DEP_1)
	v_xor_b32_e32 v1, v1, v3
	v_sub_nc_u32_e32 v1, v1, v3
	s_delay_alu instid0(VALU_DEP_1) | instskip(SKIP_1) | instid1(VALU_DEP_2)
	v_add_nc_u32_e32 v2, s42, v1
	v_cmp_lt_i32_e64 s0, s3, v1
	v_sub_nc_u32_e32 v3, 0, v2
	s_delay_alu instid0(VALU_DEP_1) | instskip(NEXT) | instid1(VALU_DEP_1)
	v_max_i32_e32 v3, v2, v3
	v_mul_hi_u32 v4, v3, v36
	s_delay_alu instid0(VALU_DEP_1) | instskip(NEXT) | instid1(VALU_DEP_1)
	v_mul_lo_u32 v4, v4, s7
	v_sub_nc_u32_e32 v3, v3, v4
	s_delay_alu instid0(VALU_DEP_1) | instskip(SKIP_1) | instid1(VALU_DEP_2)
	v_subrev_nc_u32_e32 v4, s7, v3
	v_cmp_le_u32_e32 vcc_lo, s7, v3
	v_cndmask_b32_e32 v3, v3, v4, vcc_lo
	v_ashrrev_i32_e32 v2, 31, v2
	s_delay_alu instid0(VALU_DEP_2) | instskip(SKIP_1) | instid1(VALU_DEP_2)
	v_subrev_nc_u32_e32 v4, s7, v3
	v_cmp_le_u32_e32 vcc_lo, s7, v3
	v_cndmask_b32_e32 v3, v3, v4, vcc_lo
	s_delay_alu instid0(VALU_DEP_1) | instskip(NEXT) | instid1(VALU_DEP_1)
	v_xor_b32_e32 v3, v3, v2
	v_sub_nc_u32_e32 v2, v3, v2
	s_delay_alu instid0(VALU_DEP_1) | instskip(SKIP_1) | instid1(SALU_CYCLE_1)
	v_cmp_eq_u32_e32 vcc_lo, 0, v2
	s_or_b32 s0, vcc_lo, s0
	s_and_saveexec_b32 s17, s0
	s_cbranch_execz .LBB228_295
; %bb.297:                              ;   in Loop: Header=BB228_296 Depth=1
	global_load_b32 v1, v[9:10], off
	s_load_b32 s18, s[10:11], 0x0
	v_mov_b32_e32 v15, 0
	s_mov_b32 s0, exec_lo
	s_waitcnt vmcnt(0)
	v_mad_i64_i32 v[11:12], null, v1, s13, v[7:8]
	ds_load_b128 v[1:4], v34
	global_load_b32 v37, v[11:12], off
	s_waitcnt vmcnt(0)
	v_dual_mov_b32 v16, 0 :: v_dual_and_b32 v5, 0xff, v37
	s_delay_alu instid0(VALU_DEP_1) | instskip(NEXT) | instid1(VALU_DEP_2)
	v_dual_mov_b32 v13, v15 :: v_dual_mov_b32 v14, v16
	v_cmpx_ne_u16_e32 0, v5
	s_cbranch_execz .LBB228_305
; %bb.298:                              ;   in Loop: Header=BB228_296 Depth=1
	v_bfrev_b32_e32 v13, 1
	v_mov_b32_e32 v14, 0
	s_mov_b32 s8, exec_lo
	v_cmpx_ne_u16_e32 0x80, v5
	s_cbranch_execz .LBB228_304
; %bb.299:                              ;   in Loop: Header=BB228_296 Depth=1
	v_mov_b32_e32 v13, 0x7f800001
	v_dual_mov_b32 v14, 0 :: v_dual_and_b32 v17, 0x7f, v37
	s_mov_b32 s20, exec_lo
	s_delay_alu instid0(VALU_DEP_1)
	v_cmpx_ne_u32_e32 0x7f, v17
	s_cbranch_execz .LBB228_303
; %bb.300:                              ;   in Loop: Header=BB228_296 Depth=1
	v_and_b32_e32 v5, 7, v37
	v_lshrrev_b32_e32 v13, 3, v17
	s_mov_b32 s21, exec_lo
	v_cmpx_gt_u32_e32 8, v17
; %bb.301:                              ;   in Loop: Header=BB228_296 Depth=1
	s_delay_alu instid0(VALU_DEP_3) | instskip(NEXT) | instid1(VALU_DEP_1)
	v_clz_i32_u32_e32 v13, v5
	v_min_u32_e32 v13, 32, v13
	s_delay_alu instid0(VALU_DEP_1) | instskip(SKIP_1) | instid1(VALU_DEP_2)
	v_subrev_nc_u32_e32 v14, 28, v13
	v_sub_nc_u32_e32 v13, 29, v13
	v_lshlrev_b64 v[17:18], v14, v[5:6]
	s_delay_alu instid0(VALU_DEP_1)
	v_and_b32_e32 v5, 7, v17
; %bb.302:                              ;   in Loop: Header=BB228_296 Depth=1
	s_or_b32 exec_lo, exec_lo, s21
	v_lshlrev_b32_e32 v14, 24, v37
	s_delay_alu instid0(VALU_DEP_2) | instskip(SKIP_1) | instid1(VALU_DEP_3)
	v_lshlrev_b32_e32 v5, 20, v5
	v_lshl_add_u32 v13, v13, 23, 0x3c000000
	v_and_b32_e32 v14, 0x80000000, v14
	s_delay_alu instid0(VALU_DEP_1) | instskip(NEXT) | instid1(VALU_DEP_1)
	v_or3_b32 v5, v5, v14, v13
	v_dual_mov_b32 v14, v6 :: v_dual_mov_b32 v13, v5
.LBB228_303:                            ;   in Loop: Header=BB228_296 Depth=1
	s_or_b32 exec_lo, exec_lo, s20
.LBB228_304:                            ;   in Loop: Header=BB228_296 Depth=1
	s_delay_alu instid0(SALU_CYCLE_1)
	s_or_b32 exec_lo, exec_lo, s8
.LBB228_305:                            ;   in Loop: Header=BB228_296 Depth=1
	s_delay_alu instid0(SALU_CYCLE_1) | instskip(SKIP_2) | instid1(VALU_DEP_1)
	s_or_b32 exec_lo, exec_lo, s0
	v_lshrrev_b16 v5, 8, v37
	s_mov_b32 s0, exec_lo
	v_cmpx_ne_u16_e32 0, v5
	s_cbranch_execz .LBB228_313
; %bb.306:                              ;   in Loop: Header=BB228_296 Depth=1
	v_dual_mov_b32 v16, s5 :: v_dual_mov_b32 v15, s4
	s_mov_b32 s20, exec_lo
	v_cmpx_ne_u16_e32 0x80, v5
	s_cbranch_execz .LBB228_312
; %bb.307:                              ;   in Loop: Header=BB228_296 Depth=1
	s_mov_b32 s8, s4
	v_dual_mov_b32 v16, s9 :: v_dual_and_b32 v5, 0xffff, v5
	v_mov_b32_e32 v15, s8
	s_mov_b32 s8, exec_lo
	s_delay_alu instid0(VALU_DEP_2) | instskip(NEXT) | instid1(VALU_DEP_1)
	v_and_b32_e32 v17, 0x7f, v5
	v_cmpx_ne_u32_e32 0x7f, v17
	s_cbranch_execz .LBB228_311
; %bb.308:                              ;   in Loop: Header=BB228_296 Depth=1
	v_and_b32_e32 v5, 7, v5
	v_lshrrev_b32_e32 v15, 3, v17
	s_mov_b32 s21, exec_lo
	v_cmpx_gt_u32_e32 8, v17
; %bb.309:                              ;   in Loop: Header=BB228_296 Depth=1
	s_delay_alu instid0(VALU_DEP_3) | instskip(NEXT) | instid1(VALU_DEP_1)
	v_clz_i32_u32_e32 v15, v5
	v_min_u32_e32 v15, 32, v15
	s_delay_alu instid0(VALU_DEP_1) | instskip(SKIP_1) | instid1(VALU_DEP_2)
	v_subrev_nc_u32_e32 v16, 28, v15
	v_sub_nc_u32_e32 v15, 29, v15
	v_lshlrev_b64 v[16:17], v16, v[5:6]
	s_delay_alu instid0(VALU_DEP_1)
	v_and_b32_e32 v5, 7, v16
; %bb.310:                              ;   in Loop: Header=BB228_296 Depth=1
	s_or_b32 exec_lo, exec_lo, s21
	v_lshlrev_b32_e32 v16, 16, v37
	s_delay_alu instid0(VALU_DEP_2) | instskip(SKIP_1) | instid1(VALU_DEP_3)
	v_lshlrev_b32_e32 v5, 20, v5
	v_lshl_add_u32 v15, v15, 23, 0x3c000000
	v_and_b32_e32 v16, 0x80000000, v16
	s_delay_alu instid0(VALU_DEP_1)
	v_or3_b32 v16, v5, v16, v15
	v_mov_b32_e32 v15, v6
.LBB228_311:                            ;   in Loop: Header=BB228_296 Depth=1
	s_or_b32 exec_lo, exec_lo, s8
.LBB228_312:                            ;   in Loop: Header=BB228_296 Depth=1
	s_delay_alu instid0(SALU_CYCLE_1)
	s_or_b32 exec_lo, exec_lo, s20
.LBB228_313:                            ;   in Loop: Header=BB228_296 Depth=1
	s_delay_alu instid0(SALU_CYCLE_1) | instskip(SKIP_4) | instid1(VALU_DEP_2)
	s_or_b32 exec_lo, exec_lo, s0
	v_mov_b32_e32 v19, 0
	v_lshrrev_b32_e32 v38, 16, v37
	v_mov_b32_e32 v20, 0
	s_mov_b32 s0, exec_lo
	v_and_b32_e32 v5, 0xff, v38
	s_delay_alu instid0(VALU_DEP_2) | instskip(NEXT) | instid1(VALU_DEP_2)
	v_dual_mov_b32 v17, v19 :: v_dual_mov_b32 v18, v20
	v_cmpx_ne_u16_e32 0, v5
	s_cbranch_execz .LBB228_321
; %bb.314:                              ;   in Loop: Header=BB228_296 Depth=1
	v_bfrev_b32_e32 v17, 1
	v_mov_b32_e32 v18, 0
	s_mov_b32 s8, exec_lo
	v_cmpx_ne_u16_e32 0x80, v5
	s_cbranch_execz .LBB228_320
; %bb.315:                              ;   in Loop: Header=BB228_296 Depth=1
	v_mov_b32_e32 v17, 0x7f800001
	v_bfe_u32 v39, v37, 16, 7
	v_mov_b32_e32 v18, 0
	s_mov_b32 s20, exec_lo
	s_delay_alu instid0(VALU_DEP_2)
	v_cmpx_ne_u32_e32 0x7f, v39
	s_cbranch_execz .LBB228_319
; %bb.316:                              ;   in Loop: Header=BB228_296 Depth=1
	v_and_b32_e32 v5, 7, v38
	v_lshrrev_b32_e32 v17, 3, v39
	s_mov_b32 s21, exec_lo
	v_cmpx_gt_u32_e32 8, v39
; %bb.317:                              ;   in Loop: Header=BB228_296 Depth=1
	s_delay_alu instid0(VALU_DEP_3) | instskip(NEXT) | instid1(VALU_DEP_1)
	v_clz_i32_u32_e32 v17, v5
	v_min_u32_e32 v17, 32, v17
	s_delay_alu instid0(VALU_DEP_1) | instskip(SKIP_1) | instid1(VALU_DEP_2)
	v_subrev_nc_u32_e32 v18, 28, v17
	v_sub_nc_u32_e32 v17, 29, v17
	v_lshlrev_b64 v[39:40], v18, v[5:6]
	s_delay_alu instid0(VALU_DEP_1)
	v_and_b32_e32 v5, 7, v39
; %bb.318:                              ;   in Loop: Header=BB228_296 Depth=1
	s_or_b32 exec_lo, exec_lo, s21
	v_lshlrev_b32_e32 v18, 24, v38
	s_delay_alu instid0(VALU_DEP_2) | instskip(SKIP_1) | instid1(VALU_DEP_3)
	v_lshlrev_b32_e32 v5, 20, v5
	v_lshl_add_u32 v17, v17, 23, 0x3c000000
	v_and_b32_e32 v18, 0x80000000, v18
	s_delay_alu instid0(VALU_DEP_1) | instskip(NEXT) | instid1(VALU_DEP_1)
	v_or3_b32 v5, v5, v18, v17
	v_dual_mov_b32 v18, v6 :: v_dual_mov_b32 v17, v5
.LBB228_319:                            ;   in Loop: Header=BB228_296 Depth=1
	s_or_b32 exec_lo, exec_lo, s20
.LBB228_320:                            ;   in Loop: Header=BB228_296 Depth=1
	s_delay_alu instid0(SALU_CYCLE_1)
	s_or_b32 exec_lo, exec_lo, s8
.LBB228_321:                            ;   in Loop: Header=BB228_296 Depth=1
	s_delay_alu instid0(SALU_CYCLE_1) | instskip(NEXT) | instid1(SALU_CYCLE_1)
	s_or_b32 exec_lo, exec_lo, s0
	s_mov_b32 s0, exec_lo
	v_cmpx_lt_u32_e32 0xffffff, v37
	s_cbranch_execz .LBB228_329
; %bb.322:                              ;   in Loop: Header=BB228_296 Depth=1
	v_lshrrev_b32_e32 v38, 24, v37
	v_dual_mov_b32 v20, s5 :: v_dual_mov_b32 v19, s4
	s_mov_b32 s20, exec_lo
	s_delay_alu instid0(VALU_DEP_2)
	v_cmpx_ne_u32_e32 0x80, v38
	s_cbranch_execz .LBB228_328
; %bb.323:                              ;   in Loop: Header=BB228_296 Depth=1
	s_mov_b32 s8, s4
	v_bfe_u32 v37, v37, 24, 7
	v_dual_mov_b32 v20, s9 :: v_dual_mov_b32 v19, s8
	s_mov_b32 s8, exec_lo
	s_delay_alu instid0(VALU_DEP_2)
	v_cmpx_ne_u32_e32 0x7f, v37
	s_cbranch_execz .LBB228_327
; %bb.324:                              ;   in Loop: Header=BB228_296 Depth=1
	v_and_b32_e32 v5, 7, v38
	v_lshrrev_b32_e32 v19, 3, v37
	s_mov_b32 s21, exec_lo
	v_cmpx_gt_u32_e32 8, v37
; %bb.325:                              ;   in Loop: Header=BB228_296 Depth=1
	s_delay_alu instid0(VALU_DEP_3) | instskip(NEXT) | instid1(VALU_DEP_1)
	v_clz_i32_u32_e32 v19, v5
	v_min_u32_e32 v19, 32, v19
	s_delay_alu instid0(VALU_DEP_1) | instskip(SKIP_1) | instid1(VALU_DEP_2)
	v_subrev_nc_u32_e32 v20, 28, v19
	v_sub_nc_u32_e32 v19, 29, v19
	v_lshlrev_b64 v[39:40], v20, v[5:6]
	s_delay_alu instid0(VALU_DEP_1)
	v_and_b32_e32 v5, 7, v39
; %bb.326:                              ;   in Loop: Header=BB228_296 Depth=1
	s_or_b32 exec_lo, exec_lo, s21
	v_lshlrev_b32_e32 v20, 24, v38
	s_delay_alu instid0(VALU_DEP_2) | instskip(SKIP_1) | instid1(VALU_DEP_3)
	v_lshlrev_b32_e32 v5, 20, v5
	v_lshl_add_u32 v19, v19, 23, 0x3c000000
	v_and_b32_e32 v20, 0x80000000, v20
	s_delay_alu instid0(VALU_DEP_1)
	v_or3_b32 v20, v5, v20, v19
	v_mov_b32_e32 v19, v6
.LBB228_327:                            ;   in Loop: Header=BB228_296 Depth=1
	s_or_b32 exec_lo, exec_lo, s8
.LBB228_328:                            ;   in Loop: Header=BB228_296 Depth=1
	s_delay_alu instid0(SALU_CYCLE_1)
	s_or_b32 exec_lo, exec_lo, s20
.LBB228_329:                            ;   in Loop: Header=BB228_296 Depth=1
	s_delay_alu instid0(SALU_CYCLE_1)
	s_or_b32 exec_lo, exec_lo, s0
	v_or_b32_e32 v5, v16, v14
	v_add_nc_u32_e32 v41, v35, v106
	v_or_b32_e32 v13, v15, v13
	v_or_b32_e32 v14, v20, v18
	;; [unrolled: 1-line block ×3, first 2 shown]
	s_waitcnt lgkmcnt(0)
	v_mul_f32_e32 v40, s18, v5
	v_cmp_eq_u32_e32 vcc_lo, s38, v33
	v_mul_f32_e32 v39, s18, v13
	v_dual_mul_f32 v37, s18, v14 :: v_dual_add_nc_u32 v44, 1, v41
	v_dual_mul_f32 v38, s18, v15 :: v_dual_add_nc_u32 v43, 2, v41
	v_add_nc_u32_e32 v42, 3, v41
	s_and_saveexec_b32 s8, vcc_lo
; %bb.330:                              ;   in Loop: Header=BB228_296 Depth=1
	v_cmp_gt_i32_e64 s0, s33, v41
	s_delay_alu instid0(VALU_DEP_1) | instskip(SKIP_1) | instid1(VALU_DEP_1)
	v_cndmask_b32_e64 v39, 0, v39, s0
	v_cmp_gt_i32_e64 s0, s33, v44
	v_cndmask_b32_e64 v40, 0, v40, s0
	v_cmp_gt_i32_e64 s0, s33, v43
	s_delay_alu instid0(VALU_DEP_1) | instskip(SKIP_1) | instid1(VALU_DEP_1)
	v_cndmask_b32_e64 v38, 0, v38, s0
	v_cmp_gt_i32_e64 s0, s33, v42
	v_cndmask_b32_e64 v37, 0, v37, s0
; %bb.331:                              ;   in Loop: Header=BB228_296 Depth=1
	s_or_b32 exec_lo, exec_lo, s8
	global_load_b32 v45, v[11:12], off offset:128
	v_mov_b32_e32 v15, 0
	v_mov_b32_e32 v16, 0
	s_mov_b32 s8, exec_lo
	s_waitcnt vmcnt(0)
	v_and_b32_e32 v5, 0xff, v45
	s_delay_alu instid0(VALU_DEP_2) | instskip(NEXT) | instid1(VALU_DEP_2)
	v_dual_mov_b32 v13, v15 :: v_dual_mov_b32 v14, v16
	v_cmpx_ne_u16_e32 0, v5
	s_cbranch_execz .LBB228_339
; %bb.332:                              ;   in Loop: Header=BB228_296 Depth=1
	v_bfrev_b32_e32 v13, 1
	v_mov_b32_e32 v14, 0
	s_mov_b32 s20, exec_lo
	v_cmpx_ne_u16_e32 0x80, v5
	s_cbranch_execz .LBB228_338
; %bb.333:                              ;   in Loop: Header=BB228_296 Depth=1
	v_mov_b32_e32 v13, 0x7f800001
	v_dual_mov_b32 v14, 0 :: v_dual_and_b32 v17, 0x7f, v45
	s_mov_b32 s21, exec_lo
	s_delay_alu instid0(VALU_DEP_1)
	v_cmpx_ne_u32_e32 0x7f, v17
	s_cbranch_execz .LBB228_337
; %bb.334:                              ;   in Loop: Header=BB228_296 Depth=1
	v_and_b32_e32 v5, 7, v45
	v_lshrrev_b32_e32 v13, 3, v17
	s_mov_b32 s22, exec_lo
	v_cmpx_gt_u32_e32 8, v17
; %bb.335:                              ;   in Loop: Header=BB228_296 Depth=1
	s_delay_alu instid0(VALU_DEP_3) | instskip(NEXT) | instid1(VALU_DEP_1)
	v_clz_i32_u32_e32 v13, v5
	v_min_u32_e32 v13, 32, v13
	s_delay_alu instid0(VALU_DEP_1) | instskip(SKIP_1) | instid1(VALU_DEP_2)
	v_subrev_nc_u32_e32 v14, 28, v13
	v_sub_nc_u32_e32 v13, 29, v13
	v_lshlrev_b64 v[17:18], v14, v[5:6]
	s_delay_alu instid0(VALU_DEP_1)
	v_and_b32_e32 v5, 7, v17
; %bb.336:                              ;   in Loop: Header=BB228_296 Depth=1
	s_or_b32 exec_lo, exec_lo, s22
	v_lshlrev_b32_e32 v14, 24, v45
	s_delay_alu instid0(VALU_DEP_2) | instskip(SKIP_1) | instid1(VALU_DEP_3)
	v_lshlrev_b32_e32 v5, 20, v5
	v_lshl_add_u32 v13, v13, 23, 0x3c000000
	v_and_b32_e32 v14, 0x80000000, v14
	s_delay_alu instid0(VALU_DEP_1) | instskip(NEXT) | instid1(VALU_DEP_1)
	v_or3_b32 v5, v5, v14, v13
	v_dual_mov_b32 v14, v6 :: v_dual_mov_b32 v13, v5
.LBB228_337:                            ;   in Loop: Header=BB228_296 Depth=1
	s_or_b32 exec_lo, exec_lo, s21
.LBB228_338:                            ;   in Loop: Header=BB228_296 Depth=1
	s_delay_alu instid0(SALU_CYCLE_1)
	s_or_b32 exec_lo, exec_lo, s20
.LBB228_339:                            ;   in Loop: Header=BB228_296 Depth=1
	s_delay_alu instid0(SALU_CYCLE_1) | instskip(SKIP_2) | instid1(VALU_DEP_1)
	s_or_b32 exec_lo, exec_lo, s8
	v_lshrrev_b16 v5, 8, v45
	s_mov_b32 s20, exec_lo
	v_cmpx_ne_u16_e32 0, v5
	s_cbranch_execz .LBB228_347
; %bb.340:                              ;   in Loop: Header=BB228_296 Depth=1
	v_dual_mov_b32 v16, s5 :: v_dual_mov_b32 v15, s4
	s_mov_b32 s21, exec_lo
	v_cmpx_ne_u16_e32 0x80, v5
	s_cbranch_execz .LBB228_346
; %bb.341:                              ;   in Loop: Header=BB228_296 Depth=1
	s_mov_b32 s8, s4
	v_dual_mov_b32 v16, s9 :: v_dual_and_b32 v5, 0xffff, v5
	v_mov_b32_e32 v15, s8
	s_mov_b32 s8, exec_lo
	s_delay_alu instid0(VALU_DEP_2) | instskip(NEXT) | instid1(VALU_DEP_1)
	v_and_b32_e32 v17, 0x7f, v5
	v_cmpx_ne_u32_e32 0x7f, v17
	s_cbranch_execz .LBB228_345
; %bb.342:                              ;   in Loop: Header=BB228_296 Depth=1
	v_and_b32_e32 v5, 7, v5
	v_lshrrev_b32_e32 v15, 3, v17
	s_mov_b32 s22, exec_lo
	v_cmpx_gt_u32_e32 8, v17
; %bb.343:                              ;   in Loop: Header=BB228_296 Depth=1
	s_delay_alu instid0(VALU_DEP_3) | instskip(NEXT) | instid1(VALU_DEP_1)
	v_clz_i32_u32_e32 v15, v5
	v_min_u32_e32 v15, 32, v15
	s_delay_alu instid0(VALU_DEP_1) | instskip(SKIP_1) | instid1(VALU_DEP_2)
	v_subrev_nc_u32_e32 v16, 28, v15
	v_sub_nc_u32_e32 v15, 29, v15
	v_lshlrev_b64 v[16:17], v16, v[5:6]
	s_delay_alu instid0(VALU_DEP_1)
	v_and_b32_e32 v5, 7, v16
; %bb.344:                              ;   in Loop: Header=BB228_296 Depth=1
	s_or_b32 exec_lo, exec_lo, s22
	v_lshlrev_b32_e32 v16, 16, v45
	s_delay_alu instid0(VALU_DEP_2) | instskip(SKIP_1) | instid1(VALU_DEP_3)
	v_lshlrev_b32_e32 v5, 20, v5
	v_lshl_add_u32 v15, v15, 23, 0x3c000000
	v_and_b32_e32 v16, 0x80000000, v16
	s_delay_alu instid0(VALU_DEP_1)
	v_or3_b32 v16, v5, v16, v15
	v_mov_b32_e32 v15, v6
.LBB228_345:                            ;   in Loop: Header=BB228_296 Depth=1
	s_or_b32 exec_lo, exec_lo, s8
.LBB228_346:                            ;   in Loop: Header=BB228_296 Depth=1
	s_delay_alu instid0(SALU_CYCLE_1)
	s_or_b32 exec_lo, exec_lo, s21
.LBB228_347:                            ;   in Loop: Header=BB228_296 Depth=1
	s_delay_alu instid0(SALU_CYCLE_1) | instskip(SKIP_4) | instid1(VALU_DEP_2)
	s_or_b32 exec_lo, exec_lo, s20
	v_mov_b32_e32 v19, 0
	v_lshrrev_b32_e32 v46, 16, v45
	v_mov_b32_e32 v20, 0
	s_mov_b32 s8, exec_lo
	v_and_b32_e32 v5, 0xff, v46
	s_delay_alu instid0(VALU_DEP_2) | instskip(NEXT) | instid1(VALU_DEP_2)
	v_dual_mov_b32 v17, v19 :: v_dual_mov_b32 v18, v20
	v_cmpx_ne_u16_e32 0, v5
	s_cbranch_execz .LBB228_355
; %bb.348:                              ;   in Loop: Header=BB228_296 Depth=1
	v_bfrev_b32_e32 v17, 1
	v_mov_b32_e32 v18, 0
	s_mov_b32 s20, exec_lo
	v_cmpx_ne_u16_e32 0x80, v5
	s_cbranch_execz .LBB228_354
; %bb.349:                              ;   in Loop: Header=BB228_296 Depth=1
	v_mov_b32_e32 v17, 0x7f800001
	v_bfe_u32 v47, v45, 16, 7
	v_mov_b32_e32 v18, 0
	s_mov_b32 s21, exec_lo
	s_delay_alu instid0(VALU_DEP_2)
	v_cmpx_ne_u32_e32 0x7f, v47
	s_cbranch_execz .LBB228_353
; %bb.350:                              ;   in Loop: Header=BB228_296 Depth=1
	v_and_b32_e32 v5, 7, v46
	v_lshrrev_b32_e32 v17, 3, v47
	s_mov_b32 s22, exec_lo
	v_cmpx_gt_u32_e32 8, v47
; %bb.351:                              ;   in Loop: Header=BB228_296 Depth=1
	s_delay_alu instid0(VALU_DEP_3) | instskip(NEXT) | instid1(VALU_DEP_1)
	v_clz_i32_u32_e32 v17, v5
	v_min_u32_e32 v17, 32, v17
	s_delay_alu instid0(VALU_DEP_1) | instskip(SKIP_1) | instid1(VALU_DEP_2)
	v_subrev_nc_u32_e32 v18, 28, v17
	v_sub_nc_u32_e32 v17, 29, v17
	v_lshlrev_b64 v[47:48], v18, v[5:6]
	s_delay_alu instid0(VALU_DEP_1)
	v_and_b32_e32 v5, 7, v47
; %bb.352:                              ;   in Loop: Header=BB228_296 Depth=1
	s_or_b32 exec_lo, exec_lo, s22
	v_lshlrev_b32_e32 v18, 24, v46
	s_delay_alu instid0(VALU_DEP_2) | instskip(SKIP_1) | instid1(VALU_DEP_3)
	v_lshlrev_b32_e32 v5, 20, v5
	v_lshl_add_u32 v17, v17, 23, 0x3c000000
	v_and_b32_e32 v18, 0x80000000, v18
	s_delay_alu instid0(VALU_DEP_1) | instskip(NEXT) | instid1(VALU_DEP_1)
	v_or3_b32 v5, v5, v18, v17
	v_dual_mov_b32 v18, v6 :: v_dual_mov_b32 v17, v5
.LBB228_353:                            ;   in Loop: Header=BB228_296 Depth=1
	s_or_b32 exec_lo, exec_lo, s21
.LBB228_354:                            ;   in Loop: Header=BB228_296 Depth=1
	s_delay_alu instid0(SALU_CYCLE_1)
	s_or_b32 exec_lo, exec_lo, s20
.LBB228_355:                            ;   in Loop: Header=BB228_296 Depth=1
	s_delay_alu instid0(SALU_CYCLE_1) | instskip(NEXT) | instid1(SALU_CYCLE_1)
	s_or_b32 exec_lo, exec_lo, s8
	s_mov_b32 s20, exec_lo
	v_cmpx_lt_u32_e32 0xffffff, v45
	s_cbranch_execz .LBB228_363
; %bb.356:                              ;   in Loop: Header=BB228_296 Depth=1
	v_lshrrev_b32_e32 v46, 24, v45
	v_dual_mov_b32 v20, s5 :: v_dual_mov_b32 v19, s4
	s_mov_b32 s21, exec_lo
	s_delay_alu instid0(VALU_DEP_2)
	v_cmpx_ne_u32_e32 0x80, v46
	s_cbranch_execz .LBB228_362
; %bb.357:                              ;   in Loop: Header=BB228_296 Depth=1
	s_mov_b32 s8, s4
	v_bfe_u32 v45, v45, 24, 7
	v_dual_mov_b32 v20, s9 :: v_dual_mov_b32 v19, s8
	s_mov_b32 s8, exec_lo
	s_delay_alu instid0(VALU_DEP_2)
	v_cmpx_ne_u32_e32 0x7f, v45
	s_cbranch_execz .LBB228_361
; %bb.358:                              ;   in Loop: Header=BB228_296 Depth=1
	v_and_b32_e32 v5, 7, v46
	v_lshrrev_b32_e32 v19, 3, v45
	s_mov_b32 s22, exec_lo
	v_cmpx_gt_u32_e32 8, v45
; %bb.359:                              ;   in Loop: Header=BB228_296 Depth=1
	s_delay_alu instid0(VALU_DEP_3) | instskip(NEXT) | instid1(VALU_DEP_1)
	v_clz_i32_u32_e32 v19, v5
	v_min_u32_e32 v19, 32, v19
	s_delay_alu instid0(VALU_DEP_1) | instskip(SKIP_1) | instid1(VALU_DEP_2)
	v_subrev_nc_u32_e32 v20, 28, v19
	v_sub_nc_u32_e32 v19, 29, v19
	v_lshlrev_b64 v[47:48], v20, v[5:6]
	s_delay_alu instid0(VALU_DEP_1)
	v_and_b32_e32 v5, 7, v47
; %bb.360:                              ;   in Loop: Header=BB228_296 Depth=1
	s_or_b32 exec_lo, exec_lo, s22
	v_lshlrev_b32_e32 v20, 24, v46
	s_delay_alu instid0(VALU_DEP_2) | instskip(SKIP_1) | instid1(VALU_DEP_3)
	v_lshlrev_b32_e32 v5, 20, v5
	v_lshl_add_u32 v19, v19, 23, 0x3c000000
	v_and_b32_e32 v20, 0x80000000, v20
	s_delay_alu instid0(VALU_DEP_1)
	v_or3_b32 v20, v5, v20, v19
	v_mov_b32_e32 v19, v6
.LBB228_361:                            ;   in Loop: Header=BB228_296 Depth=1
	s_or_b32 exec_lo, exec_lo, s8
.LBB228_362:                            ;   in Loop: Header=BB228_296 Depth=1
	s_delay_alu instid0(SALU_CYCLE_1)
	s_or_b32 exec_lo, exec_lo, s21
.LBB228_363:                            ;   in Loop: Header=BB228_296 Depth=1
	s_delay_alu instid0(SALU_CYCLE_1)
	s_or_b32 exec_lo, exec_lo, s20
	v_or_b32_e32 v5, v16, v14
	v_or_b32_e32 v13, v15, v13
	;; [unrolled: 1-line block ×4, first 2 shown]
	s_mov_b32 s20, s18
	s_delay_alu instid0(VALU_DEP_2) | instid1(SALU_CYCLE_1)
	v_dual_mul_f32 v48, s20, v5 :: v_dual_mul_f32 v45, s20, v14
	s_delay_alu instid0(VALU_DEP_2)
	v_dual_mul_f32 v47, s18, v13 :: v_dual_mul_f32 v46, s18, v15
	s_and_saveexec_b32 s8, vcc_lo
; %bb.364:                              ;   in Loop: Header=BB228_296 Depth=1
	v_cmp_gt_i32_e64 s0, s33, v41
	s_delay_alu instid0(VALU_DEP_1) | instskip(SKIP_1) | instid1(VALU_DEP_1)
	v_cndmask_b32_e64 v47, 0, v47, s0
	v_cmp_gt_i32_e64 s0, s33, v44
	v_cndmask_b32_e64 v48, 0, v48, s0
	v_cmp_gt_i32_e64 s0, s33, v43
	s_delay_alu instid0(VALU_DEP_1) | instskip(SKIP_1) | instid1(VALU_DEP_1)
	v_cndmask_b32_e64 v46, 0, v46, s0
	v_cmp_gt_i32_e64 s0, s33, v42
	v_cndmask_b32_e64 v45, 0, v45, s0
; %bb.365:                              ;   in Loop: Header=BB228_296 Depth=1
	s_or_b32 exec_lo, exec_lo, s8
	global_load_b32 v49, v[11:12], off offset:256
	v_mov_b32_e32 v15, 0
	v_mov_b32_e32 v16, 0
	s_mov_b32 s8, exec_lo
	s_waitcnt vmcnt(0)
	v_and_b32_e32 v5, 0xff, v49
	s_delay_alu instid0(VALU_DEP_2) | instskip(NEXT) | instid1(VALU_DEP_2)
	v_dual_mov_b32 v13, v15 :: v_dual_mov_b32 v14, v16
	v_cmpx_ne_u16_e32 0, v5
	s_cbranch_execz .LBB228_373
; %bb.366:                              ;   in Loop: Header=BB228_296 Depth=1
	v_bfrev_b32_e32 v13, 1
	v_mov_b32_e32 v14, 0
	s_mov_b32 s21, exec_lo
	v_cmpx_ne_u16_e32 0x80, v5
	s_cbranch_execz .LBB228_372
; %bb.367:                              ;   in Loop: Header=BB228_296 Depth=1
	v_mov_b32_e32 v13, 0x7f800001
	v_dual_mov_b32 v14, 0 :: v_dual_and_b32 v17, 0x7f, v49
	s_mov_b32 s22, exec_lo
	s_delay_alu instid0(VALU_DEP_1)
	v_cmpx_ne_u32_e32 0x7f, v17
	s_cbranch_execz .LBB228_371
; %bb.368:                              ;   in Loop: Header=BB228_296 Depth=1
	v_and_b32_e32 v5, 7, v49
	v_lshrrev_b32_e32 v13, 3, v17
	s_mov_b32 s23, exec_lo
	v_cmpx_gt_u32_e32 8, v17
; %bb.369:                              ;   in Loop: Header=BB228_296 Depth=1
	s_delay_alu instid0(VALU_DEP_3) | instskip(NEXT) | instid1(VALU_DEP_1)
	v_clz_i32_u32_e32 v13, v5
	v_min_u32_e32 v13, 32, v13
	s_delay_alu instid0(VALU_DEP_1) | instskip(SKIP_1) | instid1(VALU_DEP_2)
	v_subrev_nc_u32_e32 v14, 28, v13
	v_sub_nc_u32_e32 v13, 29, v13
	v_lshlrev_b64 v[17:18], v14, v[5:6]
	s_delay_alu instid0(VALU_DEP_1)
	v_and_b32_e32 v5, 7, v17
; %bb.370:                              ;   in Loop: Header=BB228_296 Depth=1
	s_or_b32 exec_lo, exec_lo, s23
	v_lshlrev_b32_e32 v14, 24, v49
	s_delay_alu instid0(VALU_DEP_2) | instskip(SKIP_1) | instid1(VALU_DEP_3)
	v_lshlrev_b32_e32 v5, 20, v5
	v_lshl_add_u32 v13, v13, 23, 0x3c000000
	v_and_b32_e32 v14, 0x80000000, v14
	s_delay_alu instid0(VALU_DEP_1) | instskip(NEXT) | instid1(VALU_DEP_1)
	v_or3_b32 v5, v5, v14, v13
	v_dual_mov_b32 v14, v6 :: v_dual_mov_b32 v13, v5
.LBB228_371:                            ;   in Loop: Header=BB228_296 Depth=1
	s_or_b32 exec_lo, exec_lo, s22
.LBB228_372:                            ;   in Loop: Header=BB228_296 Depth=1
	s_delay_alu instid0(SALU_CYCLE_1)
	s_or_b32 exec_lo, exec_lo, s21
.LBB228_373:                            ;   in Loop: Header=BB228_296 Depth=1
	s_delay_alu instid0(SALU_CYCLE_1) | instskip(SKIP_2) | instid1(VALU_DEP_1)
	s_or_b32 exec_lo, exec_lo, s8
	v_lshrrev_b16 v5, 8, v49
	s_mov_b32 s21, exec_lo
	v_cmpx_ne_u16_e32 0, v5
	s_cbranch_execz .LBB228_381
; %bb.374:                              ;   in Loop: Header=BB228_296 Depth=1
	v_dual_mov_b32 v16, s5 :: v_dual_mov_b32 v15, s4
	s_mov_b32 s22, exec_lo
	v_cmpx_ne_u16_e32 0x80, v5
	s_cbranch_execz .LBB228_380
; %bb.375:                              ;   in Loop: Header=BB228_296 Depth=1
	s_mov_b32 s8, s4
	v_dual_mov_b32 v16, s9 :: v_dual_and_b32 v5, 0xffff, v5
	v_mov_b32_e32 v15, s8
	s_mov_b32 s8, exec_lo
	s_delay_alu instid0(VALU_DEP_2) | instskip(NEXT) | instid1(VALU_DEP_1)
	v_and_b32_e32 v17, 0x7f, v5
	v_cmpx_ne_u32_e32 0x7f, v17
	s_cbranch_execz .LBB228_379
; %bb.376:                              ;   in Loop: Header=BB228_296 Depth=1
	v_and_b32_e32 v5, 7, v5
	v_lshrrev_b32_e32 v15, 3, v17
	s_mov_b32 s23, exec_lo
	v_cmpx_gt_u32_e32 8, v17
; %bb.377:                              ;   in Loop: Header=BB228_296 Depth=1
	s_delay_alu instid0(VALU_DEP_3) | instskip(NEXT) | instid1(VALU_DEP_1)
	v_clz_i32_u32_e32 v15, v5
	v_min_u32_e32 v15, 32, v15
	s_delay_alu instid0(VALU_DEP_1) | instskip(SKIP_1) | instid1(VALU_DEP_2)
	v_subrev_nc_u32_e32 v16, 28, v15
	v_sub_nc_u32_e32 v15, 29, v15
	v_lshlrev_b64 v[16:17], v16, v[5:6]
	s_delay_alu instid0(VALU_DEP_1)
	v_and_b32_e32 v5, 7, v16
; %bb.378:                              ;   in Loop: Header=BB228_296 Depth=1
	s_or_b32 exec_lo, exec_lo, s23
	v_lshlrev_b32_e32 v16, 16, v49
	s_delay_alu instid0(VALU_DEP_2) | instskip(SKIP_1) | instid1(VALU_DEP_3)
	v_lshlrev_b32_e32 v5, 20, v5
	v_lshl_add_u32 v15, v15, 23, 0x3c000000
	v_and_b32_e32 v16, 0x80000000, v16
	s_delay_alu instid0(VALU_DEP_1)
	v_or3_b32 v16, v5, v16, v15
	v_mov_b32_e32 v15, v6
.LBB228_379:                            ;   in Loop: Header=BB228_296 Depth=1
	s_or_b32 exec_lo, exec_lo, s8
.LBB228_380:                            ;   in Loop: Header=BB228_296 Depth=1
	s_delay_alu instid0(SALU_CYCLE_1)
	s_or_b32 exec_lo, exec_lo, s22
.LBB228_381:                            ;   in Loop: Header=BB228_296 Depth=1
	s_delay_alu instid0(SALU_CYCLE_1) | instskip(SKIP_4) | instid1(VALU_DEP_2)
	s_or_b32 exec_lo, exec_lo, s21
	v_mov_b32_e32 v19, 0
	v_lshrrev_b32_e32 v50, 16, v49
	v_mov_b32_e32 v20, 0
	s_mov_b32 s8, exec_lo
	v_and_b32_e32 v5, 0xff, v50
	s_delay_alu instid0(VALU_DEP_2) | instskip(NEXT) | instid1(VALU_DEP_2)
	v_dual_mov_b32 v17, v19 :: v_dual_mov_b32 v18, v20
	v_cmpx_ne_u16_e32 0, v5
	s_cbranch_execz .LBB228_389
; %bb.382:                              ;   in Loop: Header=BB228_296 Depth=1
	v_bfrev_b32_e32 v17, 1
	v_mov_b32_e32 v18, 0
	s_mov_b32 s21, exec_lo
	v_cmpx_ne_u16_e32 0x80, v5
	s_cbranch_execz .LBB228_388
; %bb.383:                              ;   in Loop: Header=BB228_296 Depth=1
	v_mov_b32_e32 v17, 0x7f800001
	v_bfe_u32 v51, v49, 16, 7
	v_mov_b32_e32 v18, 0
	s_mov_b32 s22, exec_lo
	s_delay_alu instid0(VALU_DEP_2)
	v_cmpx_ne_u32_e32 0x7f, v51
	s_cbranch_execz .LBB228_387
; %bb.384:                              ;   in Loop: Header=BB228_296 Depth=1
	v_and_b32_e32 v5, 7, v50
	v_lshrrev_b32_e32 v17, 3, v51
	s_mov_b32 s23, exec_lo
	v_cmpx_gt_u32_e32 8, v51
; %bb.385:                              ;   in Loop: Header=BB228_296 Depth=1
	s_delay_alu instid0(VALU_DEP_3) | instskip(NEXT) | instid1(VALU_DEP_1)
	v_clz_i32_u32_e32 v17, v5
	v_min_u32_e32 v17, 32, v17
	s_delay_alu instid0(VALU_DEP_1) | instskip(SKIP_1) | instid1(VALU_DEP_2)
	v_subrev_nc_u32_e32 v18, 28, v17
	v_sub_nc_u32_e32 v17, 29, v17
	v_lshlrev_b64 v[51:52], v18, v[5:6]
	s_delay_alu instid0(VALU_DEP_1)
	v_and_b32_e32 v5, 7, v51
; %bb.386:                              ;   in Loop: Header=BB228_296 Depth=1
	s_or_b32 exec_lo, exec_lo, s23
	v_lshlrev_b32_e32 v18, 24, v50
	s_delay_alu instid0(VALU_DEP_2) | instskip(SKIP_1) | instid1(VALU_DEP_3)
	v_lshlrev_b32_e32 v5, 20, v5
	v_lshl_add_u32 v17, v17, 23, 0x3c000000
	v_and_b32_e32 v18, 0x80000000, v18
	s_delay_alu instid0(VALU_DEP_1) | instskip(NEXT) | instid1(VALU_DEP_1)
	v_or3_b32 v5, v5, v18, v17
	v_dual_mov_b32 v18, v6 :: v_dual_mov_b32 v17, v5
.LBB228_387:                            ;   in Loop: Header=BB228_296 Depth=1
	s_or_b32 exec_lo, exec_lo, s22
.LBB228_388:                            ;   in Loop: Header=BB228_296 Depth=1
	s_delay_alu instid0(SALU_CYCLE_1)
	s_or_b32 exec_lo, exec_lo, s21
.LBB228_389:                            ;   in Loop: Header=BB228_296 Depth=1
	s_delay_alu instid0(SALU_CYCLE_1) | instskip(NEXT) | instid1(SALU_CYCLE_1)
	s_or_b32 exec_lo, exec_lo, s8
	s_mov_b32 s21, exec_lo
	v_cmpx_lt_u32_e32 0xffffff, v49
	s_cbranch_execz .LBB228_397
; %bb.390:                              ;   in Loop: Header=BB228_296 Depth=1
	v_lshrrev_b32_e32 v50, 24, v49
	v_dual_mov_b32 v20, s5 :: v_dual_mov_b32 v19, s4
	s_mov_b32 s22, exec_lo
	s_delay_alu instid0(VALU_DEP_2)
	v_cmpx_ne_u32_e32 0x80, v50
	s_cbranch_execz .LBB228_396
; %bb.391:                              ;   in Loop: Header=BB228_296 Depth=1
	s_mov_b32 s8, s4
	v_bfe_u32 v49, v49, 24, 7
	v_dual_mov_b32 v20, s9 :: v_dual_mov_b32 v19, s8
	s_mov_b32 s8, exec_lo
	s_delay_alu instid0(VALU_DEP_2)
	v_cmpx_ne_u32_e32 0x7f, v49
	s_cbranch_execz .LBB228_395
; %bb.392:                              ;   in Loop: Header=BB228_296 Depth=1
	v_and_b32_e32 v5, 7, v50
	v_lshrrev_b32_e32 v19, 3, v49
	s_mov_b32 s23, exec_lo
	v_cmpx_gt_u32_e32 8, v49
; %bb.393:                              ;   in Loop: Header=BB228_296 Depth=1
	s_delay_alu instid0(VALU_DEP_3) | instskip(NEXT) | instid1(VALU_DEP_1)
	v_clz_i32_u32_e32 v19, v5
	v_min_u32_e32 v19, 32, v19
	s_delay_alu instid0(VALU_DEP_1) | instskip(SKIP_1) | instid1(VALU_DEP_2)
	v_subrev_nc_u32_e32 v20, 28, v19
	v_sub_nc_u32_e32 v19, 29, v19
	v_lshlrev_b64 v[51:52], v20, v[5:6]
	s_delay_alu instid0(VALU_DEP_1)
	v_and_b32_e32 v5, 7, v51
; %bb.394:                              ;   in Loop: Header=BB228_296 Depth=1
	s_or_b32 exec_lo, exec_lo, s23
	v_lshlrev_b32_e32 v20, 24, v50
	s_delay_alu instid0(VALU_DEP_2) | instskip(SKIP_1) | instid1(VALU_DEP_3)
	v_lshlrev_b32_e32 v5, 20, v5
	v_lshl_add_u32 v19, v19, 23, 0x3c000000
	v_and_b32_e32 v20, 0x80000000, v20
	s_delay_alu instid0(VALU_DEP_1)
	v_or3_b32 v20, v5, v20, v19
	v_mov_b32_e32 v19, v6
.LBB228_395:                            ;   in Loop: Header=BB228_296 Depth=1
	s_or_b32 exec_lo, exec_lo, s8
.LBB228_396:                            ;   in Loop: Header=BB228_296 Depth=1
	s_delay_alu instid0(SALU_CYCLE_1)
	s_or_b32 exec_lo, exec_lo, s22
.LBB228_397:                            ;   in Loop: Header=BB228_296 Depth=1
	s_delay_alu instid0(SALU_CYCLE_1) | instskip(SKIP_4) | instid1(VALU_DEP_4)
	s_or_b32 exec_lo, exec_lo, s21
	v_or_b32_e32 v5, v16, v14
	v_or_b32_e32 v13, v15, v13
	;; [unrolled: 1-line block ×4, first 2 shown]
	v_mul_f32_e32 v52, s20, v5
	s_delay_alu instid0(VALU_DEP_4) | instskip(NEXT) | instid1(VALU_DEP_3)
	v_mul_f32_e32 v51, s18, v13
	v_dual_mul_f32 v49, s20, v14 :: v_dual_mul_f32 v50, s18, v15
	s_and_saveexec_b32 s8, vcc_lo
; %bb.398:                              ;   in Loop: Header=BB228_296 Depth=1
	v_cmp_gt_i32_e64 s0, s33, v41
	s_delay_alu instid0(VALU_DEP_1) | instskip(SKIP_1) | instid1(VALU_DEP_1)
	v_cndmask_b32_e64 v51, 0, v51, s0
	v_cmp_gt_i32_e64 s0, s33, v44
	v_cndmask_b32_e64 v52, 0, v52, s0
	v_cmp_gt_i32_e64 s0, s33, v43
	s_delay_alu instid0(VALU_DEP_1) | instskip(SKIP_1) | instid1(VALU_DEP_1)
	v_cndmask_b32_e64 v50, 0, v50, s0
	v_cmp_gt_i32_e64 s0, s33, v42
	v_cndmask_b32_e64 v49, 0, v49, s0
; %bb.399:                              ;   in Loop: Header=BB228_296 Depth=1
	s_or_b32 exec_lo, exec_lo, s8
	global_load_b32 v53, v[11:12], off offset:384
	v_mov_b32_e32 v15, 0
	v_mov_b32_e32 v16, 0
	s_mov_b32 s8, exec_lo
	s_waitcnt vmcnt(0)
	v_and_b32_e32 v5, 0xff, v53
	s_delay_alu instid0(VALU_DEP_2) | instskip(NEXT) | instid1(VALU_DEP_2)
	v_dual_mov_b32 v13, v15 :: v_dual_mov_b32 v14, v16
	v_cmpx_ne_u16_e32 0, v5
	s_cbranch_execz .LBB228_407
; %bb.400:                              ;   in Loop: Header=BB228_296 Depth=1
	v_bfrev_b32_e32 v13, 1
	v_mov_b32_e32 v14, 0
	s_mov_b32 s21, exec_lo
	v_cmpx_ne_u16_e32 0x80, v5
	s_cbranch_execz .LBB228_406
; %bb.401:                              ;   in Loop: Header=BB228_296 Depth=1
	v_mov_b32_e32 v13, 0x7f800001
	v_dual_mov_b32 v14, 0 :: v_dual_and_b32 v17, 0x7f, v53
	s_mov_b32 s22, exec_lo
	s_delay_alu instid0(VALU_DEP_1)
	v_cmpx_ne_u32_e32 0x7f, v17
	s_cbranch_execz .LBB228_405
; %bb.402:                              ;   in Loop: Header=BB228_296 Depth=1
	v_and_b32_e32 v5, 7, v53
	v_lshrrev_b32_e32 v13, 3, v17
	s_mov_b32 s23, exec_lo
	v_cmpx_gt_u32_e32 8, v17
; %bb.403:                              ;   in Loop: Header=BB228_296 Depth=1
	s_delay_alu instid0(VALU_DEP_3) | instskip(NEXT) | instid1(VALU_DEP_1)
	v_clz_i32_u32_e32 v13, v5
	v_min_u32_e32 v13, 32, v13
	s_delay_alu instid0(VALU_DEP_1) | instskip(SKIP_1) | instid1(VALU_DEP_2)
	v_subrev_nc_u32_e32 v14, 28, v13
	v_sub_nc_u32_e32 v13, 29, v13
	v_lshlrev_b64 v[17:18], v14, v[5:6]
	s_delay_alu instid0(VALU_DEP_1)
	v_and_b32_e32 v5, 7, v17
; %bb.404:                              ;   in Loop: Header=BB228_296 Depth=1
	s_or_b32 exec_lo, exec_lo, s23
	v_lshlrev_b32_e32 v14, 24, v53
	s_delay_alu instid0(VALU_DEP_2) | instskip(SKIP_1) | instid1(VALU_DEP_3)
	v_lshlrev_b32_e32 v5, 20, v5
	v_lshl_add_u32 v13, v13, 23, 0x3c000000
	v_and_b32_e32 v14, 0x80000000, v14
	s_delay_alu instid0(VALU_DEP_1) | instskip(NEXT) | instid1(VALU_DEP_1)
	v_or3_b32 v5, v5, v14, v13
	v_dual_mov_b32 v14, v6 :: v_dual_mov_b32 v13, v5
.LBB228_405:                            ;   in Loop: Header=BB228_296 Depth=1
	s_or_b32 exec_lo, exec_lo, s22
.LBB228_406:                            ;   in Loop: Header=BB228_296 Depth=1
	s_delay_alu instid0(SALU_CYCLE_1)
	s_or_b32 exec_lo, exec_lo, s21
.LBB228_407:                            ;   in Loop: Header=BB228_296 Depth=1
	s_delay_alu instid0(SALU_CYCLE_1) | instskip(SKIP_2) | instid1(VALU_DEP_1)
	s_or_b32 exec_lo, exec_lo, s8
	v_lshrrev_b16 v5, 8, v53
	s_mov_b32 s21, exec_lo
	v_cmpx_ne_u16_e32 0, v5
	s_cbranch_execz .LBB228_415
; %bb.408:                              ;   in Loop: Header=BB228_296 Depth=1
	v_dual_mov_b32 v16, s5 :: v_dual_mov_b32 v15, s4
	s_mov_b32 s22, exec_lo
	v_cmpx_ne_u16_e32 0x80, v5
	s_cbranch_execz .LBB228_414
; %bb.409:                              ;   in Loop: Header=BB228_296 Depth=1
	s_mov_b32 s8, s4
	v_dual_mov_b32 v16, s9 :: v_dual_and_b32 v5, 0xffff, v5
	v_mov_b32_e32 v15, s8
	s_mov_b32 s8, exec_lo
	s_delay_alu instid0(VALU_DEP_2) | instskip(NEXT) | instid1(VALU_DEP_1)
	v_and_b32_e32 v17, 0x7f, v5
	v_cmpx_ne_u32_e32 0x7f, v17
	s_cbranch_execz .LBB228_413
; %bb.410:                              ;   in Loop: Header=BB228_296 Depth=1
	v_and_b32_e32 v5, 7, v5
	v_lshrrev_b32_e32 v15, 3, v17
	s_mov_b32 s23, exec_lo
	v_cmpx_gt_u32_e32 8, v17
; %bb.411:                              ;   in Loop: Header=BB228_296 Depth=1
	s_delay_alu instid0(VALU_DEP_3) | instskip(NEXT) | instid1(VALU_DEP_1)
	v_clz_i32_u32_e32 v15, v5
	v_min_u32_e32 v15, 32, v15
	s_delay_alu instid0(VALU_DEP_1) | instskip(SKIP_1) | instid1(VALU_DEP_2)
	v_subrev_nc_u32_e32 v16, 28, v15
	v_sub_nc_u32_e32 v15, 29, v15
	v_lshlrev_b64 v[16:17], v16, v[5:6]
	s_delay_alu instid0(VALU_DEP_1)
	v_and_b32_e32 v5, 7, v16
; %bb.412:                              ;   in Loop: Header=BB228_296 Depth=1
	s_or_b32 exec_lo, exec_lo, s23
	v_lshlrev_b32_e32 v16, 16, v53
	s_delay_alu instid0(VALU_DEP_2) | instskip(SKIP_1) | instid1(VALU_DEP_3)
	v_lshlrev_b32_e32 v5, 20, v5
	v_lshl_add_u32 v15, v15, 23, 0x3c000000
	v_and_b32_e32 v16, 0x80000000, v16
	s_delay_alu instid0(VALU_DEP_1)
	v_or3_b32 v16, v5, v16, v15
	v_mov_b32_e32 v15, v6
.LBB228_413:                            ;   in Loop: Header=BB228_296 Depth=1
	s_or_b32 exec_lo, exec_lo, s8
.LBB228_414:                            ;   in Loop: Header=BB228_296 Depth=1
	s_delay_alu instid0(SALU_CYCLE_1)
	s_or_b32 exec_lo, exec_lo, s22
.LBB228_415:                            ;   in Loop: Header=BB228_296 Depth=1
	s_delay_alu instid0(SALU_CYCLE_1) | instskip(SKIP_4) | instid1(VALU_DEP_2)
	s_or_b32 exec_lo, exec_lo, s21
	v_mov_b32_e32 v19, 0
	v_lshrrev_b32_e32 v54, 16, v53
	v_mov_b32_e32 v20, 0
	s_mov_b32 s8, exec_lo
	v_and_b32_e32 v5, 0xff, v54
	s_delay_alu instid0(VALU_DEP_2) | instskip(NEXT) | instid1(VALU_DEP_2)
	v_dual_mov_b32 v17, v19 :: v_dual_mov_b32 v18, v20
	v_cmpx_ne_u16_e32 0, v5
	s_cbranch_execz .LBB228_423
; %bb.416:                              ;   in Loop: Header=BB228_296 Depth=1
	v_bfrev_b32_e32 v17, 1
	v_mov_b32_e32 v18, 0
	s_mov_b32 s21, exec_lo
	v_cmpx_ne_u16_e32 0x80, v5
	s_cbranch_execz .LBB228_422
; %bb.417:                              ;   in Loop: Header=BB228_296 Depth=1
	v_mov_b32_e32 v17, 0x7f800001
	v_bfe_u32 v55, v53, 16, 7
	v_mov_b32_e32 v18, 0
	s_mov_b32 s22, exec_lo
	s_delay_alu instid0(VALU_DEP_2)
	v_cmpx_ne_u32_e32 0x7f, v55
	s_cbranch_execz .LBB228_421
; %bb.418:                              ;   in Loop: Header=BB228_296 Depth=1
	v_and_b32_e32 v5, 7, v54
	v_lshrrev_b32_e32 v17, 3, v55
	s_mov_b32 s23, exec_lo
	v_cmpx_gt_u32_e32 8, v55
; %bb.419:                              ;   in Loop: Header=BB228_296 Depth=1
	s_delay_alu instid0(VALU_DEP_3) | instskip(NEXT) | instid1(VALU_DEP_1)
	v_clz_i32_u32_e32 v17, v5
	v_min_u32_e32 v17, 32, v17
	s_delay_alu instid0(VALU_DEP_1) | instskip(SKIP_1) | instid1(VALU_DEP_2)
	v_subrev_nc_u32_e32 v18, 28, v17
	v_sub_nc_u32_e32 v17, 29, v17
	v_lshlrev_b64 v[55:56], v18, v[5:6]
	s_delay_alu instid0(VALU_DEP_1)
	v_and_b32_e32 v5, 7, v55
; %bb.420:                              ;   in Loop: Header=BB228_296 Depth=1
	s_or_b32 exec_lo, exec_lo, s23
	v_lshlrev_b32_e32 v18, 24, v54
	s_delay_alu instid0(VALU_DEP_2) | instskip(SKIP_1) | instid1(VALU_DEP_3)
	v_lshlrev_b32_e32 v5, 20, v5
	v_lshl_add_u32 v17, v17, 23, 0x3c000000
	v_and_b32_e32 v18, 0x80000000, v18
	s_delay_alu instid0(VALU_DEP_1) | instskip(NEXT) | instid1(VALU_DEP_1)
	v_or3_b32 v5, v5, v18, v17
	v_dual_mov_b32 v18, v6 :: v_dual_mov_b32 v17, v5
.LBB228_421:                            ;   in Loop: Header=BB228_296 Depth=1
	s_or_b32 exec_lo, exec_lo, s22
.LBB228_422:                            ;   in Loop: Header=BB228_296 Depth=1
	s_delay_alu instid0(SALU_CYCLE_1)
	s_or_b32 exec_lo, exec_lo, s21
.LBB228_423:                            ;   in Loop: Header=BB228_296 Depth=1
	s_delay_alu instid0(SALU_CYCLE_1) | instskip(NEXT) | instid1(SALU_CYCLE_1)
	s_or_b32 exec_lo, exec_lo, s8
	s_mov_b32 s21, exec_lo
	v_cmpx_lt_u32_e32 0xffffff, v53
	s_cbranch_execz .LBB228_431
; %bb.424:                              ;   in Loop: Header=BB228_296 Depth=1
	v_lshrrev_b32_e32 v54, 24, v53
	v_dual_mov_b32 v20, s5 :: v_dual_mov_b32 v19, s4
	s_mov_b32 s22, exec_lo
	s_delay_alu instid0(VALU_DEP_2)
	v_cmpx_ne_u32_e32 0x80, v54
	s_cbranch_execz .LBB228_430
; %bb.425:                              ;   in Loop: Header=BB228_296 Depth=1
	s_mov_b32 s8, s4
	v_bfe_u32 v53, v53, 24, 7
	v_dual_mov_b32 v20, s9 :: v_dual_mov_b32 v19, s8
	s_mov_b32 s8, exec_lo
	s_delay_alu instid0(VALU_DEP_2)
	v_cmpx_ne_u32_e32 0x7f, v53
	s_cbranch_execz .LBB228_429
; %bb.426:                              ;   in Loop: Header=BB228_296 Depth=1
	v_and_b32_e32 v5, 7, v54
	v_lshrrev_b32_e32 v19, 3, v53
	s_mov_b32 s23, exec_lo
	v_cmpx_gt_u32_e32 8, v53
; %bb.427:                              ;   in Loop: Header=BB228_296 Depth=1
	s_delay_alu instid0(VALU_DEP_3) | instskip(NEXT) | instid1(VALU_DEP_1)
	v_clz_i32_u32_e32 v19, v5
	v_min_u32_e32 v19, 32, v19
	s_delay_alu instid0(VALU_DEP_1) | instskip(SKIP_1) | instid1(VALU_DEP_2)
	v_subrev_nc_u32_e32 v20, 28, v19
	v_sub_nc_u32_e32 v19, 29, v19
	v_lshlrev_b64 v[55:56], v20, v[5:6]
	s_delay_alu instid0(VALU_DEP_1)
	v_and_b32_e32 v5, 7, v55
; %bb.428:                              ;   in Loop: Header=BB228_296 Depth=1
	s_or_b32 exec_lo, exec_lo, s23
	v_lshlrev_b32_e32 v20, 24, v54
	s_delay_alu instid0(VALU_DEP_2) | instskip(SKIP_1) | instid1(VALU_DEP_3)
	v_lshlrev_b32_e32 v5, 20, v5
	v_lshl_add_u32 v19, v19, 23, 0x3c000000
	v_and_b32_e32 v20, 0x80000000, v20
	s_delay_alu instid0(VALU_DEP_1)
	v_or3_b32 v20, v5, v20, v19
	v_mov_b32_e32 v19, v6
.LBB228_429:                            ;   in Loop: Header=BB228_296 Depth=1
	s_or_b32 exec_lo, exec_lo, s8
.LBB228_430:                            ;   in Loop: Header=BB228_296 Depth=1
	s_delay_alu instid0(SALU_CYCLE_1)
	s_or_b32 exec_lo, exec_lo, s22
.LBB228_431:                            ;   in Loop: Header=BB228_296 Depth=1
	s_delay_alu instid0(SALU_CYCLE_1) | instskip(SKIP_4) | instid1(VALU_DEP_4)
	s_or_b32 exec_lo, exec_lo, s21
	v_or_b32_e32 v5, v16, v14
	v_or_b32_e32 v13, v15, v13
	;; [unrolled: 1-line block ×4, first 2 shown]
	v_mul_f32_e32 v56, s20, v5
	s_delay_alu instid0(VALU_DEP_4) | instskip(NEXT) | instid1(VALU_DEP_3)
	v_mul_f32_e32 v55, s18, v13
	v_dual_mul_f32 v53, s20, v14 :: v_dual_mul_f32 v54, s18, v15
	s_and_saveexec_b32 s8, vcc_lo
; %bb.432:                              ;   in Loop: Header=BB228_296 Depth=1
	v_cmp_gt_i32_e64 s0, s33, v41
	s_delay_alu instid0(VALU_DEP_1) | instskip(SKIP_1) | instid1(VALU_DEP_1)
	v_cndmask_b32_e64 v55, 0, v55, s0
	v_cmp_gt_i32_e64 s0, s33, v44
	v_cndmask_b32_e64 v56, 0, v56, s0
	v_cmp_gt_i32_e64 s0, s33, v43
	s_delay_alu instid0(VALU_DEP_1) | instskip(SKIP_1) | instid1(VALU_DEP_1)
	v_cndmask_b32_e64 v54, 0, v54, s0
	v_cmp_gt_i32_e64 s0, s33, v42
	v_cndmask_b32_e64 v53, 0, v53, s0
; %bb.433:                              ;   in Loop: Header=BB228_296 Depth=1
	s_or_b32 exec_lo, exec_lo, s8
	global_load_b32 v57, v[11:12], off offset:512
	v_mov_b32_e32 v15, 0
	v_mov_b32_e32 v16, 0
	s_mov_b32 s8, exec_lo
	s_waitcnt vmcnt(0)
	v_and_b32_e32 v5, 0xff, v57
	s_delay_alu instid0(VALU_DEP_2) | instskip(NEXT) | instid1(VALU_DEP_2)
	v_dual_mov_b32 v13, v15 :: v_dual_mov_b32 v14, v16
	v_cmpx_ne_u16_e32 0, v5
	s_cbranch_execz .LBB228_441
; %bb.434:                              ;   in Loop: Header=BB228_296 Depth=1
	v_bfrev_b32_e32 v13, 1
	v_mov_b32_e32 v14, 0
	s_mov_b32 s21, exec_lo
	v_cmpx_ne_u16_e32 0x80, v5
	s_cbranch_execz .LBB228_440
; %bb.435:                              ;   in Loop: Header=BB228_296 Depth=1
	v_mov_b32_e32 v13, 0x7f800001
	v_dual_mov_b32 v14, 0 :: v_dual_and_b32 v17, 0x7f, v57
	s_mov_b32 s22, exec_lo
	s_delay_alu instid0(VALU_DEP_1)
	v_cmpx_ne_u32_e32 0x7f, v17
	s_cbranch_execz .LBB228_439
; %bb.436:                              ;   in Loop: Header=BB228_296 Depth=1
	v_and_b32_e32 v5, 7, v57
	v_lshrrev_b32_e32 v13, 3, v17
	s_mov_b32 s23, exec_lo
	v_cmpx_gt_u32_e32 8, v17
; %bb.437:                              ;   in Loop: Header=BB228_296 Depth=1
	s_delay_alu instid0(VALU_DEP_3) | instskip(NEXT) | instid1(VALU_DEP_1)
	v_clz_i32_u32_e32 v13, v5
	v_min_u32_e32 v13, 32, v13
	s_delay_alu instid0(VALU_DEP_1) | instskip(SKIP_1) | instid1(VALU_DEP_2)
	v_subrev_nc_u32_e32 v14, 28, v13
	v_sub_nc_u32_e32 v13, 29, v13
	v_lshlrev_b64 v[17:18], v14, v[5:6]
	s_delay_alu instid0(VALU_DEP_1)
	v_and_b32_e32 v5, 7, v17
; %bb.438:                              ;   in Loop: Header=BB228_296 Depth=1
	s_or_b32 exec_lo, exec_lo, s23
	v_lshlrev_b32_e32 v14, 24, v57
	s_delay_alu instid0(VALU_DEP_2) | instskip(SKIP_1) | instid1(VALU_DEP_3)
	v_lshlrev_b32_e32 v5, 20, v5
	v_lshl_add_u32 v13, v13, 23, 0x3c000000
	v_and_b32_e32 v14, 0x80000000, v14
	s_delay_alu instid0(VALU_DEP_1) | instskip(NEXT) | instid1(VALU_DEP_1)
	v_or3_b32 v5, v5, v14, v13
	v_dual_mov_b32 v14, v6 :: v_dual_mov_b32 v13, v5
.LBB228_439:                            ;   in Loop: Header=BB228_296 Depth=1
	s_or_b32 exec_lo, exec_lo, s22
.LBB228_440:                            ;   in Loop: Header=BB228_296 Depth=1
	s_delay_alu instid0(SALU_CYCLE_1)
	s_or_b32 exec_lo, exec_lo, s21
.LBB228_441:                            ;   in Loop: Header=BB228_296 Depth=1
	s_delay_alu instid0(SALU_CYCLE_1) | instskip(SKIP_2) | instid1(VALU_DEP_1)
	s_or_b32 exec_lo, exec_lo, s8
	v_lshrrev_b16 v5, 8, v57
	s_mov_b32 s21, exec_lo
	v_cmpx_ne_u16_e32 0, v5
	s_cbranch_execz .LBB228_449
; %bb.442:                              ;   in Loop: Header=BB228_296 Depth=1
	v_dual_mov_b32 v16, s5 :: v_dual_mov_b32 v15, s4
	s_mov_b32 s22, exec_lo
	v_cmpx_ne_u16_e32 0x80, v5
	s_cbranch_execz .LBB228_448
; %bb.443:                              ;   in Loop: Header=BB228_296 Depth=1
	s_mov_b32 s8, s4
	v_dual_mov_b32 v16, s9 :: v_dual_and_b32 v5, 0xffff, v5
	v_mov_b32_e32 v15, s8
	s_mov_b32 s8, exec_lo
	s_delay_alu instid0(VALU_DEP_2) | instskip(NEXT) | instid1(VALU_DEP_1)
	v_and_b32_e32 v17, 0x7f, v5
	v_cmpx_ne_u32_e32 0x7f, v17
	s_cbranch_execz .LBB228_447
; %bb.444:                              ;   in Loop: Header=BB228_296 Depth=1
	v_and_b32_e32 v5, 7, v5
	v_lshrrev_b32_e32 v15, 3, v17
	s_mov_b32 s23, exec_lo
	v_cmpx_gt_u32_e32 8, v17
; %bb.445:                              ;   in Loop: Header=BB228_296 Depth=1
	s_delay_alu instid0(VALU_DEP_3) | instskip(NEXT) | instid1(VALU_DEP_1)
	v_clz_i32_u32_e32 v15, v5
	v_min_u32_e32 v15, 32, v15
	s_delay_alu instid0(VALU_DEP_1) | instskip(SKIP_1) | instid1(VALU_DEP_2)
	v_subrev_nc_u32_e32 v16, 28, v15
	v_sub_nc_u32_e32 v15, 29, v15
	v_lshlrev_b64 v[16:17], v16, v[5:6]
	s_delay_alu instid0(VALU_DEP_1)
	v_and_b32_e32 v5, 7, v16
; %bb.446:                              ;   in Loop: Header=BB228_296 Depth=1
	s_or_b32 exec_lo, exec_lo, s23
	v_lshlrev_b32_e32 v16, 16, v57
	s_delay_alu instid0(VALU_DEP_2) | instskip(SKIP_1) | instid1(VALU_DEP_3)
	v_lshlrev_b32_e32 v5, 20, v5
	v_lshl_add_u32 v15, v15, 23, 0x3c000000
	v_and_b32_e32 v16, 0x80000000, v16
	s_delay_alu instid0(VALU_DEP_1)
	v_or3_b32 v16, v5, v16, v15
	v_mov_b32_e32 v15, v6
.LBB228_447:                            ;   in Loop: Header=BB228_296 Depth=1
	s_or_b32 exec_lo, exec_lo, s8
.LBB228_448:                            ;   in Loop: Header=BB228_296 Depth=1
	s_delay_alu instid0(SALU_CYCLE_1)
	s_or_b32 exec_lo, exec_lo, s22
.LBB228_449:                            ;   in Loop: Header=BB228_296 Depth=1
	s_delay_alu instid0(SALU_CYCLE_1) | instskip(SKIP_4) | instid1(VALU_DEP_2)
	s_or_b32 exec_lo, exec_lo, s21
	v_mov_b32_e32 v19, 0
	v_lshrrev_b32_e32 v58, 16, v57
	v_mov_b32_e32 v20, 0
	s_mov_b32 s8, exec_lo
	v_and_b32_e32 v5, 0xff, v58
	s_delay_alu instid0(VALU_DEP_2) | instskip(NEXT) | instid1(VALU_DEP_2)
	v_dual_mov_b32 v17, v19 :: v_dual_mov_b32 v18, v20
	v_cmpx_ne_u16_e32 0, v5
	s_cbranch_execz .LBB228_457
; %bb.450:                              ;   in Loop: Header=BB228_296 Depth=1
	v_bfrev_b32_e32 v17, 1
	v_mov_b32_e32 v18, 0
	s_mov_b32 s21, exec_lo
	v_cmpx_ne_u16_e32 0x80, v5
	s_cbranch_execz .LBB228_456
; %bb.451:                              ;   in Loop: Header=BB228_296 Depth=1
	v_mov_b32_e32 v17, 0x7f800001
	v_bfe_u32 v59, v57, 16, 7
	v_mov_b32_e32 v18, 0
	s_mov_b32 s22, exec_lo
	s_delay_alu instid0(VALU_DEP_2)
	v_cmpx_ne_u32_e32 0x7f, v59
	s_cbranch_execz .LBB228_455
; %bb.452:                              ;   in Loop: Header=BB228_296 Depth=1
	v_and_b32_e32 v5, 7, v58
	v_lshrrev_b32_e32 v17, 3, v59
	s_mov_b32 s23, exec_lo
	v_cmpx_gt_u32_e32 8, v59
; %bb.453:                              ;   in Loop: Header=BB228_296 Depth=1
	s_delay_alu instid0(VALU_DEP_3) | instskip(NEXT) | instid1(VALU_DEP_1)
	v_clz_i32_u32_e32 v17, v5
	v_min_u32_e32 v17, 32, v17
	s_delay_alu instid0(VALU_DEP_1) | instskip(SKIP_1) | instid1(VALU_DEP_2)
	v_subrev_nc_u32_e32 v18, 28, v17
	v_sub_nc_u32_e32 v17, 29, v17
	v_lshlrev_b64 v[59:60], v18, v[5:6]
	s_delay_alu instid0(VALU_DEP_1)
	v_and_b32_e32 v5, 7, v59
; %bb.454:                              ;   in Loop: Header=BB228_296 Depth=1
	s_or_b32 exec_lo, exec_lo, s23
	v_lshlrev_b32_e32 v18, 24, v58
	s_delay_alu instid0(VALU_DEP_2) | instskip(SKIP_1) | instid1(VALU_DEP_3)
	v_lshlrev_b32_e32 v5, 20, v5
	v_lshl_add_u32 v17, v17, 23, 0x3c000000
	v_and_b32_e32 v18, 0x80000000, v18
	s_delay_alu instid0(VALU_DEP_1) | instskip(NEXT) | instid1(VALU_DEP_1)
	v_or3_b32 v5, v5, v18, v17
	v_dual_mov_b32 v18, v6 :: v_dual_mov_b32 v17, v5
.LBB228_455:                            ;   in Loop: Header=BB228_296 Depth=1
	s_or_b32 exec_lo, exec_lo, s22
.LBB228_456:                            ;   in Loop: Header=BB228_296 Depth=1
	s_delay_alu instid0(SALU_CYCLE_1)
	s_or_b32 exec_lo, exec_lo, s21
.LBB228_457:                            ;   in Loop: Header=BB228_296 Depth=1
	s_delay_alu instid0(SALU_CYCLE_1) | instskip(NEXT) | instid1(SALU_CYCLE_1)
	s_or_b32 exec_lo, exec_lo, s8
	s_mov_b32 s21, exec_lo
	v_cmpx_lt_u32_e32 0xffffff, v57
	s_cbranch_execz .LBB228_465
; %bb.458:                              ;   in Loop: Header=BB228_296 Depth=1
	v_lshrrev_b32_e32 v58, 24, v57
	v_dual_mov_b32 v20, s5 :: v_dual_mov_b32 v19, s4
	s_mov_b32 s22, exec_lo
	s_delay_alu instid0(VALU_DEP_2)
	v_cmpx_ne_u32_e32 0x80, v58
	s_cbranch_execz .LBB228_464
; %bb.459:                              ;   in Loop: Header=BB228_296 Depth=1
	s_mov_b32 s8, s4
	v_bfe_u32 v57, v57, 24, 7
	v_dual_mov_b32 v20, s9 :: v_dual_mov_b32 v19, s8
	s_mov_b32 s8, exec_lo
	s_delay_alu instid0(VALU_DEP_2)
	v_cmpx_ne_u32_e32 0x7f, v57
	s_cbranch_execz .LBB228_463
; %bb.460:                              ;   in Loop: Header=BB228_296 Depth=1
	v_and_b32_e32 v5, 7, v58
	v_lshrrev_b32_e32 v19, 3, v57
	s_mov_b32 s23, exec_lo
	v_cmpx_gt_u32_e32 8, v57
; %bb.461:                              ;   in Loop: Header=BB228_296 Depth=1
	s_delay_alu instid0(VALU_DEP_3) | instskip(NEXT) | instid1(VALU_DEP_1)
	v_clz_i32_u32_e32 v19, v5
	v_min_u32_e32 v19, 32, v19
	s_delay_alu instid0(VALU_DEP_1) | instskip(SKIP_1) | instid1(VALU_DEP_2)
	v_subrev_nc_u32_e32 v20, 28, v19
	v_sub_nc_u32_e32 v19, 29, v19
	v_lshlrev_b64 v[59:60], v20, v[5:6]
	s_delay_alu instid0(VALU_DEP_1)
	v_and_b32_e32 v5, 7, v59
; %bb.462:                              ;   in Loop: Header=BB228_296 Depth=1
	s_or_b32 exec_lo, exec_lo, s23
	v_lshlrev_b32_e32 v20, 24, v58
	s_delay_alu instid0(VALU_DEP_2) | instskip(SKIP_1) | instid1(VALU_DEP_3)
	v_lshlrev_b32_e32 v5, 20, v5
	v_lshl_add_u32 v19, v19, 23, 0x3c000000
	v_and_b32_e32 v20, 0x80000000, v20
	s_delay_alu instid0(VALU_DEP_1)
	v_or3_b32 v20, v5, v20, v19
	v_mov_b32_e32 v19, v6
.LBB228_463:                            ;   in Loop: Header=BB228_296 Depth=1
	s_or_b32 exec_lo, exec_lo, s8
.LBB228_464:                            ;   in Loop: Header=BB228_296 Depth=1
	s_delay_alu instid0(SALU_CYCLE_1)
	s_or_b32 exec_lo, exec_lo, s22
.LBB228_465:                            ;   in Loop: Header=BB228_296 Depth=1
	s_delay_alu instid0(SALU_CYCLE_1) | instskip(SKIP_4) | instid1(VALU_DEP_4)
	s_or_b32 exec_lo, exec_lo, s21
	v_or_b32_e32 v5, v16, v14
	v_or_b32_e32 v13, v15, v13
	;; [unrolled: 1-line block ×4, first 2 shown]
	v_mul_f32_e32 v60, s20, v5
	s_delay_alu instid0(VALU_DEP_4) | instskip(NEXT) | instid1(VALU_DEP_3)
	v_mul_f32_e32 v59, s18, v13
	v_dual_mul_f32 v57, s20, v14 :: v_dual_mul_f32 v58, s18, v15
	s_and_saveexec_b32 s8, vcc_lo
; %bb.466:                              ;   in Loop: Header=BB228_296 Depth=1
	v_cmp_gt_i32_e64 s0, s33, v41
	s_delay_alu instid0(VALU_DEP_1) | instskip(SKIP_1) | instid1(VALU_DEP_1)
	v_cndmask_b32_e64 v59, 0, v59, s0
	v_cmp_gt_i32_e64 s0, s33, v44
	v_cndmask_b32_e64 v60, 0, v60, s0
	v_cmp_gt_i32_e64 s0, s33, v43
	s_delay_alu instid0(VALU_DEP_1) | instskip(SKIP_1) | instid1(VALU_DEP_1)
	v_cndmask_b32_e64 v58, 0, v58, s0
	v_cmp_gt_i32_e64 s0, s33, v42
	v_cndmask_b32_e64 v57, 0, v57, s0
; %bb.467:                              ;   in Loop: Header=BB228_296 Depth=1
	s_or_b32 exec_lo, exec_lo, s8
	global_load_b32 v61, v[11:12], off offset:640
	v_mov_b32_e32 v15, 0
	v_mov_b32_e32 v16, 0
	s_mov_b32 s8, exec_lo
	s_waitcnt vmcnt(0)
	v_and_b32_e32 v5, 0xff, v61
	s_delay_alu instid0(VALU_DEP_2) | instskip(NEXT) | instid1(VALU_DEP_2)
	v_dual_mov_b32 v13, v15 :: v_dual_mov_b32 v14, v16
	v_cmpx_ne_u16_e32 0, v5
	s_cbranch_execz .LBB228_475
; %bb.468:                              ;   in Loop: Header=BB228_296 Depth=1
	v_bfrev_b32_e32 v13, 1
	v_mov_b32_e32 v14, 0
	s_mov_b32 s21, exec_lo
	v_cmpx_ne_u16_e32 0x80, v5
	s_cbranch_execz .LBB228_474
; %bb.469:                              ;   in Loop: Header=BB228_296 Depth=1
	v_mov_b32_e32 v13, 0x7f800001
	v_dual_mov_b32 v14, 0 :: v_dual_and_b32 v17, 0x7f, v61
	s_mov_b32 s22, exec_lo
	s_delay_alu instid0(VALU_DEP_1)
	v_cmpx_ne_u32_e32 0x7f, v17
	s_cbranch_execz .LBB228_473
; %bb.470:                              ;   in Loop: Header=BB228_296 Depth=1
	v_and_b32_e32 v5, 7, v61
	v_lshrrev_b32_e32 v13, 3, v17
	s_mov_b32 s23, exec_lo
	v_cmpx_gt_u32_e32 8, v17
; %bb.471:                              ;   in Loop: Header=BB228_296 Depth=1
	s_delay_alu instid0(VALU_DEP_3) | instskip(NEXT) | instid1(VALU_DEP_1)
	v_clz_i32_u32_e32 v13, v5
	v_min_u32_e32 v13, 32, v13
	s_delay_alu instid0(VALU_DEP_1) | instskip(SKIP_1) | instid1(VALU_DEP_2)
	v_subrev_nc_u32_e32 v14, 28, v13
	v_sub_nc_u32_e32 v13, 29, v13
	v_lshlrev_b64 v[17:18], v14, v[5:6]
	s_delay_alu instid0(VALU_DEP_1)
	v_and_b32_e32 v5, 7, v17
; %bb.472:                              ;   in Loop: Header=BB228_296 Depth=1
	s_or_b32 exec_lo, exec_lo, s23
	v_lshlrev_b32_e32 v14, 24, v61
	s_delay_alu instid0(VALU_DEP_2) | instskip(SKIP_1) | instid1(VALU_DEP_3)
	v_lshlrev_b32_e32 v5, 20, v5
	v_lshl_add_u32 v13, v13, 23, 0x3c000000
	v_and_b32_e32 v14, 0x80000000, v14
	s_delay_alu instid0(VALU_DEP_1) | instskip(NEXT) | instid1(VALU_DEP_1)
	v_or3_b32 v5, v5, v14, v13
	v_dual_mov_b32 v14, v6 :: v_dual_mov_b32 v13, v5
.LBB228_473:                            ;   in Loop: Header=BB228_296 Depth=1
	s_or_b32 exec_lo, exec_lo, s22
.LBB228_474:                            ;   in Loop: Header=BB228_296 Depth=1
	s_delay_alu instid0(SALU_CYCLE_1)
	s_or_b32 exec_lo, exec_lo, s21
.LBB228_475:                            ;   in Loop: Header=BB228_296 Depth=1
	s_delay_alu instid0(SALU_CYCLE_1) | instskip(SKIP_2) | instid1(VALU_DEP_1)
	s_or_b32 exec_lo, exec_lo, s8
	v_lshrrev_b16 v5, 8, v61
	s_mov_b32 s21, exec_lo
	v_cmpx_ne_u16_e32 0, v5
	s_cbranch_execz .LBB228_483
; %bb.476:                              ;   in Loop: Header=BB228_296 Depth=1
	v_dual_mov_b32 v16, s5 :: v_dual_mov_b32 v15, s4
	s_mov_b32 s22, exec_lo
	v_cmpx_ne_u16_e32 0x80, v5
	s_cbranch_execz .LBB228_482
; %bb.477:                              ;   in Loop: Header=BB228_296 Depth=1
	s_mov_b32 s8, s4
	v_dual_mov_b32 v16, s9 :: v_dual_and_b32 v5, 0xffff, v5
	v_mov_b32_e32 v15, s8
	s_mov_b32 s8, exec_lo
	s_delay_alu instid0(VALU_DEP_2) | instskip(NEXT) | instid1(VALU_DEP_1)
	v_and_b32_e32 v17, 0x7f, v5
	v_cmpx_ne_u32_e32 0x7f, v17
	s_cbranch_execz .LBB228_481
; %bb.478:                              ;   in Loop: Header=BB228_296 Depth=1
	v_and_b32_e32 v5, 7, v5
	v_lshrrev_b32_e32 v15, 3, v17
	s_mov_b32 s23, exec_lo
	v_cmpx_gt_u32_e32 8, v17
; %bb.479:                              ;   in Loop: Header=BB228_296 Depth=1
	s_delay_alu instid0(VALU_DEP_3) | instskip(NEXT) | instid1(VALU_DEP_1)
	v_clz_i32_u32_e32 v15, v5
	v_min_u32_e32 v15, 32, v15
	s_delay_alu instid0(VALU_DEP_1) | instskip(SKIP_1) | instid1(VALU_DEP_2)
	v_subrev_nc_u32_e32 v16, 28, v15
	v_sub_nc_u32_e32 v15, 29, v15
	v_lshlrev_b64 v[16:17], v16, v[5:6]
	s_delay_alu instid0(VALU_DEP_1)
	v_and_b32_e32 v5, 7, v16
; %bb.480:                              ;   in Loop: Header=BB228_296 Depth=1
	s_or_b32 exec_lo, exec_lo, s23
	v_lshlrev_b32_e32 v16, 16, v61
	s_delay_alu instid0(VALU_DEP_2) | instskip(SKIP_1) | instid1(VALU_DEP_3)
	v_lshlrev_b32_e32 v5, 20, v5
	v_lshl_add_u32 v15, v15, 23, 0x3c000000
	v_and_b32_e32 v16, 0x80000000, v16
	s_delay_alu instid0(VALU_DEP_1)
	v_or3_b32 v16, v5, v16, v15
	v_mov_b32_e32 v15, v6
.LBB228_481:                            ;   in Loop: Header=BB228_296 Depth=1
	s_or_b32 exec_lo, exec_lo, s8
.LBB228_482:                            ;   in Loop: Header=BB228_296 Depth=1
	s_delay_alu instid0(SALU_CYCLE_1)
	s_or_b32 exec_lo, exec_lo, s22
.LBB228_483:                            ;   in Loop: Header=BB228_296 Depth=1
	s_delay_alu instid0(SALU_CYCLE_1) | instskip(SKIP_4) | instid1(VALU_DEP_2)
	s_or_b32 exec_lo, exec_lo, s21
	v_mov_b32_e32 v19, 0
	v_lshrrev_b32_e32 v62, 16, v61
	v_mov_b32_e32 v20, 0
	s_mov_b32 s8, exec_lo
	v_and_b32_e32 v5, 0xff, v62
	s_delay_alu instid0(VALU_DEP_2) | instskip(NEXT) | instid1(VALU_DEP_2)
	v_dual_mov_b32 v17, v19 :: v_dual_mov_b32 v18, v20
	v_cmpx_ne_u16_e32 0, v5
	s_cbranch_execz .LBB228_491
; %bb.484:                              ;   in Loop: Header=BB228_296 Depth=1
	v_bfrev_b32_e32 v17, 1
	v_mov_b32_e32 v18, 0
	s_mov_b32 s21, exec_lo
	v_cmpx_ne_u16_e32 0x80, v5
	s_cbranch_execz .LBB228_490
; %bb.485:                              ;   in Loop: Header=BB228_296 Depth=1
	v_mov_b32_e32 v17, 0x7f800001
	v_bfe_u32 v63, v61, 16, 7
	v_mov_b32_e32 v18, 0
	s_mov_b32 s22, exec_lo
	s_delay_alu instid0(VALU_DEP_2)
	v_cmpx_ne_u32_e32 0x7f, v63
	s_cbranch_execz .LBB228_489
; %bb.486:                              ;   in Loop: Header=BB228_296 Depth=1
	v_and_b32_e32 v5, 7, v62
	v_lshrrev_b32_e32 v17, 3, v63
	s_mov_b32 s23, exec_lo
	v_cmpx_gt_u32_e32 8, v63
; %bb.487:                              ;   in Loop: Header=BB228_296 Depth=1
	s_delay_alu instid0(VALU_DEP_3) | instskip(NEXT) | instid1(VALU_DEP_1)
	v_clz_i32_u32_e32 v17, v5
	v_min_u32_e32 v17, 32, v17
	s_delay_alu instid0(VALU_DEP_1) | instskip(SKIP_1) | instid1(VALU_DEP_2)
	v_subrev_nc_u32_e32 v18, 28, v17
	v_sub_nc_u32_e32 v17, 29, v17
	v_lshlrev_b64 v[63:64], v18, v[5:6]
	s_delay_alu instid0(VALU_DEP_1)
	v_and_b32_e32 v5, 7, v63
; %bb.488:                              ;   in Loop: Header=BB228_296 Depth=1
	s_or_b32 exec_lo, exec_lo, s23
	v_lshlrev_b32_e32 v18, 24, v62
	s_delay_alu instid0(VALU_DEP_2) | instskip(SKIP_1) | instid1(VALU_DEP_3)
	v_lshlrev_b32_e32 v5, 20, v5
	v_lshl_add_u32 v17, v17, 23, 0x3c000000
	v_and_b32_e32 v18, 0x80000000, v18
	s_delay_alu instid0(VALU_DEP_1) | instskip(NEXT) | instid1(VALU_DEP_1)
	v_or3_b32 v5, v5, v18, v17
	v_dual_mov_b32 v18, v6 :: v_dual_mov_b32 v17, v5
.LBB228_489:                            ;   in Loop: Header=BB228_296 Depth=1
	s_or_b32 exec_lo, exec_lo, s22
.LBB228_490:                            ;   in Loop: Header=BB228_296 Depth=1
	s_delay_alu instid0(SALU_CYCLE_1)
	s_or_b32 exec_lo, exec_lo, s21
.LBB228_491:                            ;   in Loop: Header=BB228_296 Depth=1
	s_delay_alu instid0(SALU_CYCLE_1) | instskip(NEXT) | instid1(SALU_CYCLE_1)
	s_or_b32 exec_lo, exec_lo, s8
	s_mov_b32 s21, exec_lo
	v_cmpx_lt_u32_e32 0xffffff, v61
	s_cbranch_execz .LBB228_499
; %bb.492:                              ;   in Loop: Header=BB228_296 Depth=1
	v_lshrrev_b32_e32 v62, 24, v61
	v_dual_mov_b32 v20, s5 :: v_dual_mov_b32 v19, s4
	s_mov_b32 s22, exec_lo
	s_delay_alu instid0(VALU_DEP_2)
	v_cmpx_ne_u32_e32 0x80, v62
	s_cbranch_execz .LBB228_498
; %bb.493:                              ;   in Loop: Header=BB228_296 Depth=1
	s_mov_b32 s8, s4
	v_bfe_u32 v61, v61, 24, 7
	v_dual_mov_b32 v20, s9 :: v_dual_mov_b32 v19, s8
	s_mov_b32 s8, exec_lo
	s_delay_alu instid0(VALU_DEP_2)
	v_cmpx_ne_u32_e32 0x7f, v61
	s_cbranch_execz .LBB228_497
; %bb.494:                              ;   in Loop: Header=BB228_296 Depth=1
	v_and_b32_e32 v5, 7, v62
	v_lshrrev_b32_e32 v19, 3, v61
	s_mov_b32 s23, exec_lo
	v_cmpx_gt_u32_e32 8, v61
; %bb.495:                              ;   in Loop: Header=BB228_296 Depth=1
	s_delay_alu instid0(VALU_DEP_3) | instskip(NEXT) | instid1(VALU_DEP_1)
	v_clz_i32_u32_e32 v19, v5
	v_min_u32_e32 v19, 32, v19
	s_delay_alu instid0(VALU_DEP_1) | instskip(SKIP_1) | instid1(VALU_DEP_2)
	v_subrev_nc_u32_e32 v20, 28, v19
	v_sub_nc_u32_e32 v19, 29, v19
	v_lshlrev_b64 v[63:64], v20, v[5:6]
	s_delay_alu instid0(VALU_DEP_1)
	v_and_b32_e32 v5, 7, v63
; %bb.496:                              ;   in Loop: Header=BB228_296 Depth=1
	s_or_b32 exec_lo, exec_lo, s23
	v_lshlrev_b32_e32 v20, 24, v62
	s_delay_alu instid0(VALU_DEP_2) | instskip(SKIP_1) | instid1(VALU_DEP_3)
	v_lshlrev_b32_e32 v5, 20, v5
	v_lshl_add_u32 v19, v19, 23, 0x3c000000
	v_and_b32_e32 v20, 0x80000000, v20
	s_delay_alu instid0(VALU_DEP_1)
	v_or3_b32 v20, v5, v20, v19
	v_mov_b32_e32 v19, v6
.LBB228_497:                            ;   in Loop: Header=BB228_296 Depth=1
	s_or_b32 exec_lo, exec_lo, s8
.LBB228_498:                            ;   in Loop: Header=BB228_296 Depth=1
	s_delay_alu instid0(SALU_CYCLE_1)
	s_or_b32 exec_lo, exec_lo, s22
.LBB228_499:                            ;   in Loop: Header=BB228_296 Depth=1
	s_delay_alu instid0(SALU_CYCLE_1) | instskip(SKIP_4) | instid1(VALU_DEP_4)
	s_or_b32 exec_lo, exec_lo, s21
	v_or_b32_e32 v5, v16, v14
	v_or_b32_e32 v13, v15, v13
	;; [unrolled: 1-line block ×4, first 2 shown]
	v_mul_f32_e32 v64, s20, v5
	s_delay_alu instid0(VALU_DEP_4) | instskip(NEXT) | instid1(VALU_DEP_3)
	v_mul_f32_e32 v63, s18, v13
	v_dual_mul_f32 v61, s20, v14 :: v_dual_mul_f32 v62, s18, v15
	s_and_saveexec_b32 s8, vcc_lo
; %bb.500:                              ;   in Loop: Header=BB228_296 Depth=1
	v_cmp_gt_i32_e64 s0, s33, v41
	s_delay_alu instid0(VALU_DEP_1) | instskip(SKIP_1) | instid1(VALU_DEP_1)
	v_cndmask_b32_e64 v63, 0, v63, s0
	v_cmp_gt_i32_e64 s0, s33, v44
	v_cndmask_b32_e64 v64, 0, v64, s0
	v_cmp_gt_i32_e64 s0, s33, v43
	s_delay_alu instid0(VALU_DEP_1) | instskip(SKIP_1) | instid1(VALU_DEP_1)
	v_cndmask_b32_e64 v62, 0, v62, s0
	v_cmp_gt_i32_e64 s0, s33, v42
	v_cndmask_b32_e64 v61, 0, v61, s0
; %bb.501:                              ;   in Loop: Header=BB228_296 Depth=1
	s_or_b32 exec_lo, exec_lo, s8
	global_load_b32 v65, v[11:12], off offset:768
	v_mov_b32_e32 v15, 0
	v_mov_b32_e32 v16, 0
	s_mov_b32 s8, exec_lo
	s_waitcnt vmcnt(0)
	v_and_b32_e32 v5, 0xff, v65
	s_delay_alu instid0(VALU_DEP_2) | instskip(NEXT) | instid1(VALU_DEP_2)
	v_dual_mov_b32 v13, v15 :: v_dual_mov_b32 v14, v16
	v_cmpx_ne_u16_e32 0, v5
	s_cbranch_execz .LBB228_509
; %bb.502:                              ;   in Loop: Header=BB228_296 Depth=1
	v_bfrev_b32_e32 v13, 1
	v_mov_b32_e32 v14, 0
	s_mov_b32 s21, exec_lo
	v_cmpx_ne_u16_e32 0x80, v5
	s_cbranch_execz .LBB228_508
; %bb.503:                              ;   in Loop: Header=BB228_296 Depth=1
	v_mov_b32_e32 v13, 0x7f800001
	v_dual_mov_b32 v14, 0 :: v_dual_and_b32 v17, 0x7f, v65
	s_mov_b32 s22, exec_lo
	s_delay_alu instid0(VALU_DEP_1)
	v_cmpx_ne_u32_e32 0x7f, v17
	s_cbranch_execz .LBB228_507
; %bb.504:                              ;   in Loop: Header=BB228_296 Depth=1
	v_and_b32_e32 v5, 7, v65
	v_lshrrev_b32_e32 v13, 3, v17
	s_mov_b32 s23, exec_lo
	v_cmpx_gt_u32_e32 8, v17
; %bb.505:                              ;   in Loop: Header=BB228_296 Depth=1
	s_delay_alu instid0(VALU_DEP_3) | instskip(NEXT) | instid1(VALU_DEP_1)
	v_clz_i32_u32_e32 v13, v5
	v_min_u32_e32 v13, 32, v13
	s_delay_alu instid0(VALU_DEP_1) | instskip(SKIP_1) | instid1(VALU_DEP_2)
	v_subrev_nc_u32_e32 v14, 28, v13
	v_sub_nc_u32_e32 v13, 29, v13
	v_lshlrev_b64 v[17:18], v14, v[5:6]
	s_delay_alu instid0(VALU_DEP_1)
	v_and_b32_e32 v5, 7, v17
; %bb.506:                              ;   in Loop: Header=BB228_296 Depth=1
	s_or_b32 exec_lo, exec_lo, s23
	v_lshlrev_b32_e32 v14, 24, v65
	s_delay_alu instid0(VALU_DEP_2) | instskip(SKIP_1) | instid1(VALU_DEP_3)
	v_lshlrev_b32_e32 v5, 20, v5
	v_lshl_add_u32 v13, v13, 23, 0x3c000000
	v_and_b32_e32 v14, 0x80000000, v14
	s_delay_alu instid0(VALU_DEP_1) | instskip(NEXT) | instid1(VALU_DEP_1)
	v_or3_b32 v5, v5, v14, v13
	v_dual_mov_b32 v14, v6 :: v_dual_mov_b32 v13, v5
.LBB228_507:                            ;   in Loop: Header=BB228_296 Depth=1
	s_or_b32 exec_lo, exec_lo, s22
.LBB228_508:                            ;   in Loop: Header=BB228_296 Depth=1
	s_delay_alu instid0(SALU_CYCLE_1)
	s_or_b32 exec_lo, exec_lo, s21
.LBB228_509:                            ;   in Loop: Header=BB228_296 Depth=1
	s_delay_alu instid0(SALU_CYCLE_1) | instskip(SKIP_2) | instid1(VALU_DEP_1)
	s_or_b32 exec_lo, exec_lo, s8
	v_lshrrev_b16 v5, 8, v65
	s_mov_b32 s21, exec_lo
	v_cmpx_ne_u16_e32 0, v5
	s_cbranch_execz .LBB228_517
; %bb.510:                              ;   in Loop: Header=BB228_296 Depth=1
	v_dual_mov_b32 v16, s5 :: v_dual_mov_b32 v15, s4
	s_mov_b32 s22, exec_lo
	v_cmpx_ne_u16_e32 0x80, v5
	s_cbranch_execz .LBB228_516
; %bb.511:                              ;   in Loop: Header=BB228_296 Depth=1
	s_mov_b32 s8, s4
	v_dual_mov_b32 v16, s9 :: v_dual_and_b32 v5, 0xffff, v5
	v_mov_b32_e32 v15, s8
	s_mov_b32 s8, exec_lo
	s_delay_alu instid0(VALU_DEP_2) | instskip(NEXT) | instid1(VALU_DEP_1)
	v_and_b32_e32 v17, 0x7f, v5
	v_cmpx_ne_u32_e32 0x7f, v17
	s_cbranch_execz .LBB228_515
; %bb.512:                              ;   in Loop: Header=BB228_296 Depth=1
	v_and_b32_e32 v5, 7, v5
	v_lshrrev_b32_e32 v15, 3, v17
	s_mov_b32 s23, exec_lo
	v_cmpx_gt_u32_e32 8, v17
; %bb.513:                              ;   in Loop: Header=BB228_296 Depth=1
	s_delay_alu instid0(VALU_DEP_3) | instskip(NEXT) | instid1(VALU_DEP_1)
	v_clz_i32_u32_e32 v15, v5
	v_min_u32_e32 v15, 32, v15
	s_delay_alu instid0(VALU_DEP_1) | instskip(SKIP_1) | instid1(VALU_DEP_2)
	v_subrev_nc_u32_e32 v16, 28, v15
	v_sub_nc_u32_e32 v15, 29, v15
	v_lshlrev_b64 v[16:17], v16, v[5:6]
	s_delay_alu instid0(VALU_DEP_1)
	v_and_b32_e32 v5, 7, v16
; %bb.514:                              ;   in Loop: Header=BB228_296 Depth=1
	s_or_b32 exec_lo, exec_lo, s23
	v_lshlrev_b32_e32 v16, 16, v65
	s_delay_alu instid0(VALU_DEP_2) | instskip(SKIP_1) | instid1(VALU_DEP_3)
	v_lshlrev_b32_e32 v5, 20, v5
	v_lshl_add_u32 v15, v15, 23, 0x3c000000
	v_and_b32_e32 v16, 0x80000000, v16
	s_delay_alu instid0(VALU_DEP_1)
	v_or3_b32 v16, v5, v16, v15
	v_mov_b32_e32 v15, v6
.LBB228_515:                            ;   in Loop: Header=BB228_296 Depth=1
	s_or_b32 exec_lo, exec_lo, s8
.LBB228_516:                            ;   in Loop: Header=BB228_296 Depth=1
	s_delay_alu instid0(SALU_CYCLE_1)
	s_or_b32 exec_lo, exec_lo, s22
.LBB228_517:                            ;   in Loop: Header=BB228_296 Depth=1
	s_delay_alu instid0(SALU_CYCLE_1) | instskip(SKIP_4) | instid1(VALU_DEP_2)
	s_or_b32 exec_lo, exec_lo, s21
	v_mov_b32_e32 v19, 0
	v_lshrrev_b32_e32 v66, 16, v65
	v_mov_b32_e32 v20, 0
	s_mov_b32 s8, exec_lo
	v_and_b32_e32 v5, 0xff, v66
	s_delay_alu instid0(VALU_DEP_2) | instskip(NEXT) | instid1(VALU_DEP_2)
	v_dual_mov_b32 v17, v19 :: v_dual_mov_b32 v18, v20
	v_cmpx_ne_u16_e32 0, v5
	s_cbranch_execz .LBB228_525
; %bb.518:                              ;   in Loop: Header=BB228_296 Depth=1
	v_bfrev_b32_e32 v17, 1
	v_mov_b32_e32 v18, 0
	s_mov_b32 s21, exec_lo
	v_cmpx_ne_u16_e32 0x80, v5
	s_cbranch_execz .LBB228_524
; %bb.519:                              ;   in Loop: Header=BB228_296 Depth=1
	v_mov_b32_e32 v17, 0x7f800001
	v_bfe_u32 v67, v65, 16, 7
	v_mov_b32_e32 v18, 0
	s_mov_b32 s22, exec_lo
	s_delay_alu instid0(VALU_DEP_2)
	v_cmpx_ne_u32_e32 0x7f, v67
	s_cbranch_execz .LBB228_523
; %bb.520:                              ;   in Loop: Header=BB228_296 Depth=1
	v_and_b32_e32 v5, 7, v66
	v_lshrrev_b32_e32 v17, 3, v67
	s_mov_b32 s23, exec_lo
	v_cmpx_gt_u32_e32 8, v67
; %bb.521:                              ;   in Loop: Header=BB228_296 Depth=1
	s_delay_alu instid0(VALU_DEP_3) | instskip(NEXT) | instid1(VALU_DEP_1)
	v_clz_i32_u32_e32 v17, v5
	v_min_u32_e32 v17, 32, v17
	s_delay_alu instid0(VALU_DEP_1) | instskip(SKIP_1) | instid1(VALU_DEP_2)
	v_subrev_nc_u32_e32 v18, 28, v17
	v_sub_nc_u32_e32 v17, 29, v17
	v_lshlrev_b64 v[67:68], v18, v[5:6]
	s_delay_alu instid0(VALU_DEP_1)
	v_and_b32_e32 v5, 7, v67
; %bb.522:                              ;   in Loop: Header=BB228_296 Depth=1
	s_or_b32 exec_lo, exec_lo, s23
	v_lshlrev_b32_e32 v18, 24, v66
	s_delay_alu instid0(VALU_DEP_2) | instskip(SKIP_1) | instid1(VALU_DEP_3)
	v_lshlrev_b32_e32 v5, 20, v5
	v_lshl_add_u32 v17, v17, 23, 0x3c000000
	v_and_b32_e32 v18, 0x80000000, v18
	s_delay_alu instid0(VALU_DEP_1) | instskip(NEXT) | instid1(VALU_DEP_1)
	v_or3_b32 v5, v5, v18, v17
	v_dual_mov_b32 v18, v6 :: v_dual_mov_b32 v17, v5
.LBB228_523:                            ;   in Loop: Header=BB228_296 Depth=1
	s_or_b32 exec_lo, exec_lo, s22
.LBB228_524:                            ;   in Loop: Header=BB228_296 Depth=1
	s_delay_alu instid0(SALU_CYCLE_1)
	s_or_b32 exec_lo, exec_lo, s21
.LBB228_525:                            ;   in Loop: Header=BB228_296 Depth=1
	s_delay_alu instid0(SALU_CYCLE_1) | instskip(NEXT) | instid1(SALU_CYCLE_1)
	s_or_b32 exec_lo, exec_lo, s8
	s_mov_b32 s21, exec_lo
	v_cmpx_lt_u32_e32 0xffffff, v65
	s_cbranch_execz .LBB228_533
; %bb.526:                              ;   in Loop: Header=BB228_296 Depth=1
	v_lshrrev_b32_e32 v66, 24, v65
	v_dual_mov_b32 v20, s5 :: v_dual_mov_b32 v19, s4
	s_mov_b32 s22, exec_lo
	s_delay_alu instid0(VALU_DEP_2)
	v_cmpx_ne_u32_e32 0x80, v66
	s_cbranch_execz .LBB228_532
; %bb.527:                              ;   in Loop: Header=BB228_296 Depth=1
	s_mov_b32 s8, s4
	v_bfe_u32 v65, v65, 24, 7
	v_dual_mov_b32 v20, s9 :: v_dual_mov_b32 v19, s8
	s_mov_b32 s8, exec_lo
	s_delay_alu instid0(VALU_DEP_2)
	v_cmpx_ne_u32_e32 0x7f, v65
	s_cbranch_execz .LBB228_531
; %bb.528:                              ;   in Loop: Header=BB228_296 Depth=1
	v_and_b32_e32 v5, 7, v66
	v_lshrrev_b32_e32 v19, 3, v65
	s_mov_b32 s23, exec_lo
	v_cmpx_gt_u32_e32 8, v65
; %bb.529:                              ;   in Loop: Header=BB228_296 Depth=1
	s_delay_alu instid0(VALU_DEP_3) | instskip(NEXT) | instid1(VALU_DEP_1)
	v_clz_i32_u32_e32 v19, v5
	v_min_u32_e32 v19, 32, v19
	s_delay_alu instid0(VALU_DEP_1) | instskip(SKIP_1) | instid1(VALU_DEP_2)
	v_subrev_nc_u32_e32 v20, 28, v19
	v_sub_nc_u32_e32 v19, 29, v19
	v_lshlrev_b64 v[67:68], v20, v[5:6]
	s_delay_alu instid0(VALU_DEP_1)
	v_and_b32_e32 v5, 7, v67
; %bb.530:                              ;   in Loop: Header=BB228_296 Depth=1
	s_or_b32 exec_lo, exec_lo, s23
	v_lshlrev_b32_e32 v20, 24, v66
	s_delay_alu instid0(VALU_DEP_2) | instskip(SKIP_1) | instid1(VALU_DEP_3)
	v_lshlrev_b32_e32 v5, 20, v5
	v_lshl_add_u32 v19, v19, 23, 0x3c000000
	v_and_b32_e32 v20, 0x80000000, v20
	s_delay_alu instid0(VALU_DEP_1)
	v_or3_b32 v20, v5, v20, v19
	v_mov_b32_e32 v19, v6
.LBB228_531:                            ;   in Loop: Header=BB228_296 Depth=1
	s_or_b32 exec_lo, exec_lo, s8
.LBB228_532:                            ;   in Loop: Header=BB228_296 Depth=1
	s_delay_alu instid0(SALU_CYCLE_1)
	s_or_b32 exec_lo, exec_lo, s22
.LBB228_533:                            ;   in Loop: Header=BB228_296 Depth=1
	s_delay_alu instid0(SALU_CYCLE_1) | instskip(SKIP_4) | instid1(VALU_DEP_4)
	s_or_b32 exec_lo, exec_lo, s21
	v_or_b32_e32 v5, v16, v14
	v_or_b32_e32 v13, v15, v13
	v_or_b32_e32 v14, v20, v18
	v_or_b32_e32 v15, v19, v17
	v_mul_f32_e32 v66, s20, v5
	s_delay_alu instid0(VALU_DEP_4) | instskip(NEXT) | instid1(VALU_DEP_3)
	v_mul_f32_e32 v65, s18, v13
	v_dual_mul_f32 v19, s20, v14 :: v_dual_mul_f32 v20, s18, v15
	s_and_saveexec_b32 s8, vcc_lo
; %bb.534:                              ;   in Loop: Header=BB228_296 Depth=1
	v_cmp_gt_i32_e64 s0, s33, v41
	s_delay_alu instid0(VALU_DEP_1) | instskip(SKIP_1) | instid1(VALU_DEP_1)
	v_cndmask_b32_e64 v65, 0, v65, s0
	v_cmp_gt_i32_e64 s0, s33, v44
	v_cndmask_b32_e64 v66, 0, v66, s0
	v_cmp_gt_i32_e64 s0, s33, v43
	s_delay_alu instid0(VALU_DEP_1) | instskip(SKIP_1) | instid1(VALU_DEP_1)
	v_cndmask_b32_e64 v20, 0, v20, s0
	v_cmp_gt_i32_e64 s0, s33, v42
	v_cndmask_b32_e64 v19, 0, v19, s0
; %bb.535:                              ;   in Loop: Header=BB228_296 Depth=1
	s_or_b32 exec_lo, exec_lo, s8
	global_load_b32 v67, v[11:12], off offset:896
	v_mov_b32_e32 v13, 0
	v_mov_b32_e32 v14, 0
	s_mov_b32 s8, exec_lo
	s_waitcnt vmcnt(0)
	v_and_b32_e32 v5, 0xff, v67
	s_delay_alu instid0(VALU_DEP_2) | instskip(NEXT) | instid1(VALU_DEP_2)
	v_dual_mov_b32 v11, v13 :: v_dual_mov_b32 v12, v14
	v_cmpx_ne_u16_e32 0, v5
	s_cbranch_execz .LBB228_543
; %bb.536:                              ;   in Loop: Header=BB228_296 Depth=1
	v_bfrev_b32_e32 v11, 1
	v_mov_b32_e32 v12, 0
	s_mov_b32 s21, exec_lo
	v_cmpx_ne_u16_e32 0x80, v5
	s_cbranch_execz .LBB228_542
; %bb.537:                              ;   in Loop: Header=BB228_296 Depth=1
	v_mov_b32_e32 v11, 0x7f800001
	v_dual_mov_b32 v12, 0 :: v_dual_and_b32 v15, 0x7f, v67
	s_mov_b32 s22, exec_lo
	s_delay_alu instid0(VALU_DEP_1)
	v_cmpx_ne_u32_e32 0x7f, v15
	s_cbranch_execz .LBB228_541
; %bb.538:                              ;   in Loop: Header=BB228_296 Depth=1
	v_and_b32_e32 v5, 7, v67
	v_lshrrev_b32_e32 v11, 3, v15
	s_mov_b32 s23, exec_lo
	v_cmpx_gt_u32_e32 8, v15
; %bb.539:                              ;   in Loop: Header=BB228_296 Depth=1
	s_delay_alu instid0(VALU_DEP_3) | instskip(NEXT) | instid1(VALU_DEP_1)
	v_clz_i32_u32_e32 v11, v5
	v_min_u32_e32 v11, 32, v11
	s_delay_alu instid0(VALU_DEP_1) | instskip(SKIP_1) | instid1(VALU_DEP_2)
	v_subrev_nc_u32_e32 v12, 28, v11
	v_sub_nc_u32_e32 v11, 29, v11
	v_lshlrev_b64 v[15:16], v12, v[5:6]
	s_delay_alu instid0(VALU_DEP_1)
	v_and_b32_e32 v5, 7, v15
; %bb.540:                              ;   in Loop: Header=BB228_296 Depth=1
	s_or_b32 exec_lo, exec_lo, s23
	v_lshlrev_b32_e32 v12, 24, v67
	s_delay_alu instid0(VALU_DEP_2) | instskip(SKIP_1) | instid1(VALU_DEP_3)
	v_lshlrev_b32_e32 v5, 20, v5
	v_lshl_add_u32 v11, v11, 23, 0x3c000000
	v_and_b32_e32 v12, 0x80000000, v12
	s_delay_alu instid0(VALU_DEP_1) | instskip(NEXT) | instid1(VALU_DEP_1)
	v_or3_b32 v5, v5, v12, v11
	v_dual_mov_b32 v12, v6 :: v_dual_mov_b32 v11, v5
.LBB228_541:                            ;   in Loop: Header=BB228_296 Depth=1
	s_or_b32 exec_lo, exec_lo, s22
.LBB228_542:                            ;   in Loop: Header=BB228_296 Depth=1
	s_delay_alu instid0(SALU_CYCLE_1)
	s_or_b32 exec_lo, exec_lo, s21
.LBB228_543:                            ;   in Loop: Header=BB228_296 Depth=1
	s_delay_alu instid0(SALU_CYCLE_1) | instskip(SKIP_2) | instid1(VALU_DEP_1)
	s_or_b32 exec_lo, exec_lo, s8
	v_lshrrev_b16 v5, 8, v67
	s_mov_b32 s21, exec_lo
	v_cmpx_ne_u16_e32 0, v5
	s_cbranch_execz .LBB228_551
; %bb.544:                              ;   in Loop: Header=BB228_296 Depth=1
	v_dual_mov_b32 v14, s5 :: v_dual_mov_b32 v13, s4
	s_mov_b32 s22, exec_lo
	v_cmpx_ne_u16_e32 0x80, v5
	s_cbranch_execz .LBB228_550
; %bb.545:                              ;   in Loop: Header=BB228_296 Depth=1
	s_mov_b32 s8, s4
	v_dual_mov_b32 v14, s9 :: v_dual_and_b32 v5, 0xffff, v5
	v_mov_b32_e32 v13, s8
	s_mov_b32 s8, exec_lo
	s_delay_alu instid0(VALU_DEP_2) | instskip(NEXT) | instid1(VALU_DEP_1)
	v_and_b32_e32 v15, 0x7f, v5
	v_cmpx_ne_u32_e32 0x7f, v15
	s_cbranch_execz .LBB228_549
; %bb.546:                              ;   in Loop: Header=BB228_296 Depth=1
	v_and_b32_e32 v5, 7, v5
	v_lshrrev_b32_e32 v13, 3, v15
	s_mov_b32 s23, exec_lo
	v_cmpx_gt_u32_e32 8, v15
; %bb.547:                              ;   in Loop: Header=BB228_296 Depth=1
	s_delay_alu instid0(VALU_DEP_3) | instskip(NEXT) | instid1(VALU_DEP_1)
	v_clz_i32_u32_e32 v13, v5
	v_min_u32_e32 v13, 32, v13
	s_delay_alu instid0(VALU_DEP_1) | instskip(SKIP_1) | instid1(VALU_DEP_2)
	v_subrev_nc_u32_e32 v14, 28, v13
	v_sub_nc_u32_e32 v13, 29, v13
	v_lshlrev_b64 v[14:15], v14, v[5:6]
	s_delay_alu instid0(VALU_DEP_1)
	v_and_b32_e32 v5, 7, v14
; %bb.548:                              ;   in Loop: Header=BB228_296 Depth=1
	s_or_b32 exec_lo, exec_lo, s23
	v_lshlrev_b32_e32 v14, 16, v67
	s_delay_alu instid0(VALU_DEP_2) | instskip(SKIP_1) | instid1(VALU_DEP_3)
	v_lshlrev_b32_e32 v5, 20, v5
	v_lshl_add_u32 v13, v13, 23, 0x3c000000
	v_and_b32_e32 v14, 0x80000000, v14
	s_delay_alu instid0(VALU_DEP_1)
	v_or3_b32 v14, v5, v14, v13
	v_mov_b32_e32 v13, v6
.LBB228_549:                            ;   in Loop: Header=BB228_296 Depth=1
	s_or_b32 exec_lo, exec_lo, s8
.LBB228_550:                            ;   in Loop: Header=BB228_296 Depth=1
	s_delay_alu instid0(SALU_CYCLE_1)
	s_or_b32 exec_lo, exec_lo, s22
.LBB228_551:                            ;   in Loop: Header=BB228_296 Depth=1
	s_delay_alu instid0(SALU_CYCLE_1) | instskip(SKIP_4) | instid1(VALU_DEP_2)
	s_or_b32 exec_lo, exec_lo, s21
	v_mov_b32_e32 v17, 0
	v_lshrrev_b32_e32 v68, 16, v67
	v_mov_b32_e32 v18, 0
	s_mov_b32 s8, exec_lo
	v_and_b32_e32 v5, 0xff, v68
	s_delay_alu instid0(VALU_DEP_2) | instskip(NEXT) | instid1(VALU_DEP_2)
	v_dual_mov_b32 v15, v17 :: v_dual_mov_b32 v16, v18
	v_cmpx_ne_u16_e32 0, v5
	s_cbranch_execz .LBB228_559
; %bb.552:                              ;   in Loop: Header=BB228_296 Depth=1
	v_bfrev_b32_e32 v15, 1
	v_mov_b32_e32 v16, 0
	s_mov_b32 s21, exec_lo
	v_cmpx_ne_u16_e32 0x80, v5
	s_cbranch_execz .LBB228_558
; %bb.553:                              ;   in Loop: Header=BB228_296 Depth=1
	v_mov_b32_e32 v15, 0x7f800001
	v_bfe_u32 v69, v67, 16, 7
	v_mov_b32_e32 v16, 0
	s_mov_b32 s22, exec_lo
	s_delay_alu instid0(VALU_DEP_2)
	v_cmpx_ne_u32_e32 0x7f, v69
	s_cbranch_execz .LBB228_557
; %bb.554:                              ;   in Loop: Header=BB228_296 Depth=1
	v_and_b32_e32 v5, 7, v68
	v_lshrrev_b32_e32 v15, 3, v69
	s_mov_b32 s23, exec_lo
	v_cmpx_gt_u32_e32 8, v69
; %bb.555:                              ;   in Loop: Header=BB228_296 Depth=1
	s_delay_alu instid0(VALU_DEP_3) | instskip(NEXT) | instid1(VALU_DEP_1)
	v_clz_i32_u32_e32 v15, v5
	v_min_u32_e32 v15, 32, v15
	s_delay_alu instid0(VALU_DEP_1) | instskip(SKIP_1) | instid1(VALU_DEP_2)
	v_subrev_nc_u32_e32 v16, 28, v15
	v_sub_nc_u32_e32 v15, 29, v15
	v_lshlrev_b64 v[69:70], v16, v[5:6]
	s_delay_alu instid0(VALU_DEP_1)
	v_and_b32_e32 v5, 7, v69
; %bb.556:                              ;   in Loop: Header=BB228_296 Depth=1
	s_or_b32 exec_lo, exec_lo, s23
	v_lshlrev_b32_e32 v16, 24, v68
	s_delay_alu instid0(VALU_DEP_2) | instskip(SKIP_1) | instid1(VALU_DEP_3)
	v_lshlrev_b32_e32 v5, 20, v5
	v_lshl_add_u32 v15, v15, 23, 0x3c000000
	v_and_b32_e32 v16, 0x80000000, v16
	s_delay_alu instid0(VALU_DEP_1) | instskip(NEXT) | instid1(VALU_DEP_1)
	v_or3_b32 v5, v5, v16, v15
	v_dual_mov_b32 v16, v6 :: v_dual_mov_b32 v15, v5
.LBB228_557:                            ;   in Loop: Header=BB228_296 Depth=1
	s_or_b32 exec_lo, exec_lo, s22
.LBB228_558:                            ;   in Loop: Header=BB228_296 Depth=1
	s_delay_alu instid0(SALU_CYCLE_1)
	s_or_b32 exec_lo, exec_lo, s21
.LBB228_559:                            ;   in Loop: Header=BB228_296 Depth=1
	s_delay_alu instid0(SALU_CYCLE_1) | instskip(NEXT) | instid1(SALU_CYCLE_1)
	s_or_b32 exec_lo, exec_lo, s8
	s_mov_b32 s21, exec_lo
	v_cmpx_lt_u32_e32 0xffffff, v67
	s_cbranch_execz .LBB228_567
; %bb.560:                              ;   in Loop: Header=BB228_296 Depth=1
	v_lshrrev_b32_e32 v68, 24, v67
	v_dual_mov_b32 v18, s5 :: v_dual_mov_b32 v17, s4
	s_mov_b32 s22, exec_lo
	s_delay_alu instid0(VALU_DEP_2)
	v_cmpx_ne_u32_e32 0x80, v68
	s_cbranch_execz .LBB228_566
; %bb.561:                              ;   in Loop: Header=BB228_296 Depth=1
	s_mov_b32 s8, s4
	v_bfe_u32 v67, v67, 24, 7
	v_dual_mov_b32 v18, s9 :: v_dual_mov_b32 v17, s8
	s_mov_b32 s8, exec_lo
	s_delay_alu instid0(VALU_DEP_2)
	v_cmpx_ne_u32_e32 0x7f, v67
	s_cbranch_execz .LBB228_565
; %bb.562:                              ;   in Loop: Header=BB228_296 Depth=1
	v_and_b32_e32 v5, 7, v68
	v_lshrrev_b32_e32 v17, 3, v67
	s_mov_b32 s23, exec_lo
	v_cmpx_gt_u32_e32 8, v67
; %bb.563:                              ;   in Loop: Header=BB228_296 Depth=1
	s_delay_alu instid0(VALU_DEP_3) | instskip(NEXT) | instid1(VALU_DEP_1)
	v_clz_i32_u32_e32 v17, v5
	v_min_u32_e32 v17, 32, v17
	s_delay_alu instid0(VALU_DEP_1) | instskip(SKIP_1) | instid1(VALU_DEP_2)
	v_subrev_nc_u32_e32 v18, 28, v17
	v_sub_nc_u32_e32 v17, 29, v17
	v_lshlrev_b64 v[69:70], v18, v[5:6]
	s_delay_alu instid0(VALU_DEP_1)
	v_and_b32_e32 v5, 7, v69
; %bb.564:                              ;   in Loop: Header=BB228_296 Depth=1
	s_or_b32 exec_lo, exec_lo, s23
	v_lshlrev_b32_e32 v18, 24, v68
	s_delay_alu instid0(VALU_DEP_2) | instskip(SKIP_1) | instid1(VALU_DEP_3)
	v_lshlrev_b32_e32 v5, 20, v5
	v_lshl_add_u32 v17, v17, 23, 0x3c000000
	v_and_b32_e32 v18, 0x80000000, v18
	s_delay_alu instid0(VALU_DEP_1)
	v_or3_b32 v18, v5, v18, v17
	v_mov_b32_e32 v17, v6
.LBB228_565:                            ;   in Loop: Header=BB228_296 Depth=1
	s_or_b32 exec_lo, exec_lo, s8
.LBB228_566:                            ;   in Loop: Header=BB228_296 Depth=1
	s_delay_alu instid0(SALU_CYCLE_1)
	s_or_b32 exec_lo, exec_lo, s22
.LBB228_567:                            ;   in Loop: Header=BB228_296 Depth=1
	s_delay_alu instid0(SALU_CYCLE_1) | instskip(SKIP_4) | instid1(VALU_DEP_3)
	s_or_b32 exec_lo, exec_lo, s21
	v_or_b32_e32 v5, v14, v12
	v_or_b32_e32 v11, v13, v11
	;; [unrolled: 1-line block ×4, first 2 shown]
	v_dual_mul_f32 v13, s20, v5 :: v_dual_mul_f32 v12, s18, v11
	s_delay_alu instid0(VALU_DEP_3) | instskip(NEXT) | instid1(VALU_DEP_3)
	v_mul_f32_e32 v5, s20, v14
	v_mul_f32_e32 v11, s18, v15
	s_and_saveexec_b32 s0, vcc_lo
	s_cbranch_execz .LBB228_294
; %bb.568:                              ;   in Loop: Header=BB228_296 Depth=1
	v_cmp_gt_i32_e32 vcc_lo, s33, v41
	v_cndmask_b32_e32 v12, 0, v12, vcc_lo
	v_cmp_gt_i32_e32 vcc_lo, s33, v44
	v_cndmask_b32_e32 v13, 0, v13, vcc_lo
	;; [unrolled: 2-line block ×4, first 2 shown]
	s_branch .LBB228_294
.LBB228_569:
	s_or_b32 exec_lo, exec_lo, s14
.LBB228_570:
	s_delay_alu instid0(SALU_CYCLE_1)
	s_or_b32 exec_lo, exec_lo, s1
	ds_bpermute_b32 v1, v22, v25
	ds_bpermute_b32 v2, v22, v31
	;; [unrolled: 1-line block ×8, first 2 shown]
	v_lshrrev_b32_e32 v9, 2, v21
	v_lshl_add_u32 v10, v105, 8, 0x120
	s_mov_b32 s0, exec_lo
	s_waitcnt lgkmcnt(0)
	s_waitcnt_vscnt null, 0x0
	s_barrier
	buffer_gl0_inv
	v_dual_add_f32 v1, v25, v1 :: v_dual_add_f32 v2, v31, v2
	v_dual_add_f32 v3, v30, v3 :: v_dual_add_f32 v4, v28, v4
	;; [unrolled: 1-line block ×4, first 2 shown]
	ds_bpermute_b32 v5, v23, v1
	ds_bpermute_b32 v6, v23, v2
	;; [unrolled: 1-line block ×8, first 2 shown]
	s_waitcnt lgkmcnt(7)
	v_dual_add_f32 v8, v1, v5 :: v_dual_and_b32 v21, 0x3c3, v0
	s_waitcnt lgkmcnt(5)
	v_dual_add_f32 v7, v2, v6 :: v_dual_add_f32 v6, v3, v15
	s_waitcnt lgkmcnt(3)
	v_dual_add_f32 v5, v4, v16 :: v_dual_add_f32 v4, v11, v17
	;; [unrolled: 2-line block ×3, first 2 shown]
	s_waitcnt lgkmcnt(0)
	v_add_f32_e32 v1, v14, v20
	v_cmpx_eq_u32_e32 64, v21
	s_cbranch_execz .LBB228_572
; %bb.571:
	v_lshlrev_b32_e32 v11, 2, v9
	s_delay_alu instid0(VALU_DEP_1)
	v_add3_u32 v11, v10, v11, 0xfffffe00
	ds_store_2addr_b32 v11, v8, v7 offset1:8
	ds_store_2addr_b32 v11, v6, v5 offset0:16 offset1:24
	ds_store_2addr_b32 v11, v4, v3 offset0:32 offset1:40
	ds_store_2addr_b32 v11, v2, v1 offset0:48 offset1:56
.LBB228_572:
	s_or_b32 exec_lo, exec_lo, s0
	v_cmp_eq_u32_e32 vcc_lo, 0, v24
	s_mov_b32 s1, exec_lo
	s_waitcnt lgkmcnt(0)
	s_barrier
	buffer_gl0_inv
	v_cmpx_gt_u32_e32 64, v0
	s_cbranch_execz .LBB228_583
; %bb.573:
	s_and_saveexec_b32 s0, vcc_lo
	s_cbranch_execnz .LBB228_599
; %bb.574:
	s_or_b32 exec_lo, exec_lo, s0
	s_and_saveexec_b32 s0, vcc_lo
	s_cbranch_execnz .LBB228_600
.LBB228_575:
	s_or_b32 exec_lo, exec_lo, s0
	s_and_saveexec_b32 s0, vcc_lo
	s_cbranch_execnz .LBB228_601
.LBB228_576:
	s_or_b32 exec_lo, exec_lo, s0
	s_and_saveexec_b32 s0, vcc_lo
	s_cbranch_execnz .LBB228_602
.LBB228_577:
	s_or_b32 exec_lo, exec_lo, s0
	s_and_saveexec_b32 s0, vcc_lo
	s_cbranch_execnz .LBB228_603
.LBB228_578:
	s_or_b32 exec_lo, exec_lo, s0
	s_and_saveexec_b32 s0, vcc_lo
	s_cbranch_execnz .LBB228_604
.LBB228_579:
	s_or_b32 exec_lo, exec_lo, s0
	s_and_saveexec_b32 s0, vcc_lo
	s_cbranch_execnz .LBB228_605
.LBB228_580:
	s_or_b32 exec_lo, exec_lo, s0
	s_and_saveexec_b32 s0, vcc_lo
	s_cbranch_execz .LBB228_582
.LBB228_581:
	v_lshl_add_u32 v11, v9, 2, v10
	ds_load_b32 v11, v11 offset:224
	s_waitcnt lgkmcnt(0)
	v_add_f32_e32 v1, v1, v11
.LBB228_582:
	s_or_b32 exec_lo, exec_lo, s0
.LBB228_583:
	s_delay_alu instid0(SALU_CYCLE_1)
	s_or_b32 exec_lo, exec_lo, s1
	v_and_b32_e32 v11, 0x3e3, v0
	s_mov_b32 s1, exec_lo
	s_barrier
	buffer_gl0_inv
	v_cmpx_eq_u32_e32 32, v11
	s_cbranch_execz .LBB228_585
; %bb.584:
	v_lshl_add_u32 v12, v9, 2, 0x120
	ds_store_2addr_b32 v12, v8, v7 offset1:8
	ds_store_2addr_b32 v12, v6, v5 offset0:16 offset1:24
	ds_store_2addr_b32 v12, v4, v3 offset0:32 offset1:40
	;; [unrolled: 1-line block ×3, first 2 shown]
.LBB228_585:
	s_or_b32 exec_lo, exec_lo, s1
	s_waitcnt lgkmcnt(0)
	s_barrier
	buffer_gl0_inv
	s_and_saveexec_b32 s0, s2
	s_cbranch_execz .LBB228_596
; %bb.586:
	v_lshl_add_u32 v9, v9, 2, v10
	s_and_saveexec_b32 s1, vcc_lo
	s_cbranch_execnz .LBB228_606
; %bb.587:
	s_or_b32 exec_lo, exec_lo, s1
	s_and_saveexec_b32 s1, vcc_lo
	s_cbranch_execnz .LBB228_607
.LBB228_588:
	s_or_b32 exec_lo, exec_lo, s1
	s_and_saveexec_b32 s1, vcc_lo
	s_cbranch_execnz .LBB228_608
.LBB228_589:
	s_or_b32 exec_lo, exec_lo, s1
	s_and_saveexec_b32 s1, vcc_lo
	s_cbranch_execnz .LBB228_609
.LBB228_590:
	s_or_b32 exec_lo, exec_lo, s1
	s_and_saveexec_b32 s1, vcc_lo
	s_cbranch_execnz .LBB228_610
.LBB228_591:
	s_or_b32 exec_lo, exec_lo, s1
	s_and_saveexec_b32 s1, vcc_lo
	s_cbranch_execnz .LBB228_611
.LBB228_592:
	s_or_b32 exec_lo, exec_lo, s1
	s_and_saveexec_b32 s1, vcc_lo
	s_cbranch_execnz .LBB228_612
.LBB228_593:
	s_or_b32 exec_lo, exec_lo, s1
	s_and_saveexec_b32 s1, vcc_lo
	s_cbranch_execz .LBB228_595
.LBB228_594:
	ds_load_b32 v9, v9 offset:224
	s_waitcnt lgkmcnt(0)
	v_add_f32_e32 v1, v1, v9
.LBB228_595:
	s_or_b32 exec_lo, exec_lo, s1
.LBB228_596:
	s_delay_alu instid0(SALU_CYCLE_1)
	s_or_b32 exec_lo, exec_lo, s0
	s_barrier
	buffer_gl0_inv
	s_mov_b32 s0, exec_lo
	v_cmpx_eq_u32_e32 0, v11
	s_cbranch_execz .LBB228_598
; %bb.597:
	s_lshl_b32 s0, s6, 6
	s_mul_i32 s2, s15, s24
	s_ashr_i32 s1, s0, 31
	s_delay_alu instid0(SALU_CYCLE_1) | instskip(NEXT) | instid1(SALU_CYCLE_1)
	s_lshl_b64 s[0:1], s[0:1], 2
	s_add_u32 s4, s26, s0
	s_addc_u32 s5, s27, s1
	s_ashr_i32 s3, s2, 31
	s_delay_alu instid0(SALU_CYCLE_1) | instskip(NEXT) | instid1(SALU_CYCLE_1)
	s_lshl_b64 s[0:1], s[2:3], 2
	s_add_u32 s2, s4, s0
	s_addc_u32 s3, s5, s1
	s_lshl_b32 s0, s12, 6
	s_delay_alu instid0(SALU_CYCLE_1) | instskip(NEXT) | instid1(SALU_CYCLE_1)
	s_ashr_i32 s1, s0, 31
	s_lshl_b64 s[0:1], s[0:1], 2
	s_delay_alu instid0(SALU_CYCLE_1)
	s_add_u32 s0, s2, s0
	s_addc_u32 s1, s3, s1
	s_clause 0x7
	global_store_b32 v0, v8, s[0:1]
	global_store_b32 v0, v7, s[0:1] offset:32
	global_store_b32 v0, v6, s[0:1] offset:64
	;; [unrolled: 1-line block ×7, first 2 shown]
.LBB228_598:
	s_nop 0
	s_sendmsg sendmsg(MSG_DEALLOC_VGPRS)
	s_endpgm
.LBB228_599:
	v_lshl_add_u32 v11, v9, 2, v10
	ds_load_b32 v11, v11
	s_waitcnt lgkmcnt(0)
	v_add_f32_e32 v8, v8, v11
	s_or_b32 exec_lo, exec_lo, s0
	s_and_saveexec_b32 s0, vcc_lo
	s_cbranch_execz .LBB228_575
.LBB228_600:
	v_lshl_add_u32 v11, v9, 2, v10
	ds_load_b32 v11, v11 offset:32
	s_waitcnt lgkmcnt(0)
	v_add_f32_e32 v7, v7, v11
	s_or_b32 exec_lo, exec_lo, s0
	s_and_saveexec_b32 s0, vcc_lo
	s_cbranch_execz .LBB228_576
.LBB228_601:
	v_lshl_add_u32 v11, v9, 2, v10
	ds_load_b32 v11, v11 offset:64
	s_waitcnt lgkmcnt(0)
	v_add_f32_e32 v6, v6, v11
	s_or_b32 exec_lo, exec_lo, s0
	s_and_saveexec_b32 s0, vcc_lo
	s_cbranch_execz .LBB228_577
.LBB228_602:
	v_lshl_add_u32 v11, v9, 2, v10
	ds_load_b32 v11, v11 offset:96
	s_waitcnt lgkmcnt(0)
	v_add_f32_e32 v5, v5, v11
	s_or_b32 exec_lo, exec_lo, s0
	s_and_saveexec_b32 s0, vcc_lo
	s_cbranch_execz .LBB228_578
.LBB228_603:
	v_lshl_add_u32 v11, v9, 2, v10
	ds_load_b32 v11, v11 offset:128
	s_waitcnt lgkmcnt(0)
	v_add_f32_e32 v4, v4, v11
	s_or_b32 exec_lo, exec_lo, s0
	s_and_saveexec_b32 s0, vcc_lo
	s_cbranch_execz .LBB228_579
.LBB228_604:
	v_lshl_add_u32 v11, v9, 2, v10
	ds_load_b32 v11, v11 offset:160
	s_waitcnt lgkmcnt(0)
	v_add_f32_e32 v3, v3, v11
	s_or_b32 exec_lo, exec_lo, s0
	s_and_saveexec_b32 s0, vcc_lo
	s_cbranch_execz .LBB228_580
.LBB228_605:
	v_lshl_add_u32 v11, v9, 2, v10
	ds_load_b32 v11, v11 offset:192
	s_waitcnt lgkmcnt(0)
	v_add_f32_e32 v2, v2, v11
	s_or_b32 exec_lo, exec_lo, s0
	s_and_saveexec_b32 s0, vcc_lo
	s_cbranch_execnz .LBB228_581
	s_branch .LBB228_582
.LBB228_606:
	ds_load_b32 v10, v9
	s_waitcnt lgkmcnt(0)
	v_add_f32_e32 v8, v8, v10
	s_or_b32 exec_lo, exec_lo, s1
	s_and_saveexec_b32 s1, vcc_lo
	s_cbranch_execz .LBB228_588
.LBB228_607:
	ds_load_b32 v10, v9 offset:32
	s_waitcnt lgkmcnt(0)
	v_add_f32_e32 v7, v7, v10
	s_or_b32 exec_lo, exec_lo, s1
	s_and_saveexec_b32 s1, vcc_lo
	s_cbranch_execz .LBB228_589
.LBB228_608:
	ds_load_b32 v10, v9 offset:64
	s_waitcnt lgkmcnt(0)
	v_add_f32_e32 v6, v6, v10
	s_or_b32 exec_lo, exec_lo, s1
	s_and_saveexec_b32 s1, vcc_lo
	s_cbranch_execz .LBB228_590
.LBB228_609:
	ds_load_b32 v10, v9 offset:96
	s_waitcnt lgkmcnt(0)
	v_add_f32_e32 v5, v5, v10
	s_or_b32 exec_lo, exec_lo, s1
	s_and_saveexec_b32 s1, vcc_lo
	s_cbranch_execz .LBB228_591
.LBB228_610:
	ds_load_b32 v10, v9 offset:128
	s_waitcnt lgkmcnt(0)
	v_add_f32_e32 v4, v4, v10
	s_or_b32 exec_lo, exec_lo, s1
	s_and_saveexec_b32 s1, vcc_lo
	s_cbranch_execz .LBB228_592
.LBB228_611:
	ds_load_b32 v10, v9 offset:160
	s_waitcnt lgkmcnt(0)
	v_add_f32_e32 v3, v3, v10
	s_or_b32 exec_lo, exec_lo, s1
	s_and_saveexec_b32 s1, vcc_lo
	s_cbranch_execz .LBB228_593
.LBB228_612:
	ds_load_b32 v10, v9 offset:192
	s_waitcnt lgkmcnt(0)
	v_add_f32_e32 v2, v2, v10
	s_or_b32 exec_lo, exec_lo, s1
	s_and_saveexec_b32 s1, vcc_lo
	s_cbranch_execnz .LBB228_594
	s_branch .LBB228_595
	.section	.rodata,"a",@progbits
	.p2align	6, 0x0
	.amdhsa_kernel _ZN4vllm25paged_attention_v2_kernelIfhLi64ELi16ELi128ELNS_18Fp8KVCacheDataTypeE1ELb1ELi512EEEvPfS2_PT_PKS3_PKT0_S9_ifPKiSB_iPKfiiiSD_SD_iiiii
		.amdhsa_group_segment_fixed_size 288
		.amdhsa_private_segment_fixed_size 0
		.amdhsa_kernarg_size 400
		.amdhsa_user_sgpr_count 13
		.amdhsa_user_sgpr_dispatch_ptr 0
		.amdhsa_user_sgpr_queue_ptr 0
		.amdhsa_user_sgpr_kernarg_segment_ptr 1
		.amdhsa_user_sgpr_dispatch_id 0
		.amdhsa_user_sgpr_private_segment_size 0
		.amdhsa_wavefront_size32 1
		.amdhsa_uses_dynamic_stack 0
		.amdhsa_enable_private_segment 0
		.amdhsa_system_sgpr_workgroup_id_x 1
		.amdhsa_system_sgpr_workgroup_id_y 1
		.amdhsa_system_sgpr_workgroup_id_z 1
		.amdhsa_system_sgpr_workgroup_info 0
		.amdhsa_system_vgpr_workitem_id 0
		.amdhsa_next_free_vgpr 122
		.amdhsa_next_free_sgpr 57
		.amdhsa_reserve_vcc 1
		.amdhsa_float_round_mode_32 0
		.amdhsa_float_round_mode_16_64 0
		.amdhsa_float_denorm_mode_32 3
		.amdhsa_float_denorm_mode_16_64 3
		.amdhsa_dx10_clamp 1
		.amdhsa_ieee_mode 1
		.amdhsa_fp16_overflow 0
		.amdhsa_workgroup_processor_mode 1
		.amdhsa_memory_ordered 1
		.amdhsa_forward_progress 0
		.amdhsa_shared_vgpr_count 0
		.amdhsa_exception_fp_ieee_invalid_op 0
		.amdhsa_exception_fp_denorm_src 0
		.amdhsa_exception_fp_ieee_div_zero 0
		.amdhsa_exception_fp_ieee_overflow 0
		.amdhsa_exception_fp_ieee_underflow 0
		.amdhsa_exception_fp_ieee_inexact 0
		.amdhsa_exception_int_div_zero 0
	.end_amdhsa_kernel
	.section	.text._ZN4vllm25paged_attention_v2_kernelIfhLi64ELi16ELi128ELNS_18Fp8KVCacheDataTypeE1ELb1ELi512EEEvPfS2_PT_PKS3_PKT0_S9_ifPKiSB_iPKfiiiSD_SD_iiiii,"axG",@progbits,_ZN4vllm25paged_attention_v2_kernelIfhLi64ELi16ELi128ELNS_18Fp8KVCacheDataTypeE1ELb1ELi512EEEvPfS2_PT_PKS3_PKT0_S9_ifPKiSB_iPKfiiiSD_SD_iiiii,comdat
.Lfunc_end228:
	.size	_ZN4vllm25paged_attention_v2_kernelIfhLi64ELi16ELi128ELNS_18Fp8KVCacheDataTypeE1ELb1ELi512EEEvPfS2_PT_PKS3_PKT0_S9_ifPKiSB_iPKfiiiSD_SD_iiiii, .Lfunc_end228-_ZN4vllm25paged_attention_v2_kernelIfhLi64ELi16ELi128ELNS_18Fp8KVCacheDataTypeE1ELb1ELi512EEEvPfS2_PT_PKS3_PKT0_S9_ifPKiSB_iPKfiiiSD_SD_iiiii
                                        ; -- End function
	.section	.AMDGPU.csdata,"",@progbits
; Kernel info:
; codeLenInByte = 21828
; NumSgprs: 59
; NumVgprs: 122
; ScratchSize: 0
; MemoryBound: 0
; FloatMode: 240
; IeeeMode: 1
; LDSByteSize: 288 bytes/workgroup (compile time only)
; SGPRBlocks: 7
; VGPRBlocks: 15
; NumSGPRsForWavesPerEU: 59
; NumVGPRsForWavesPerEU: 122
; Occupancy: 10
; WaveLimiterHint : 1
; COMPUTE_PGM_RSRC2:SCRATCH_EN: 0
; COMPUTE_PGM_RSRC2:USER_SGPR: 13
; COMPUTE_PGM_RSRC2:TRAP_HANDLER: 0
; COMPUTE_PGM_RSRC2:TGID_X_EN: 1
; COMPUTE_PGM_RSRC2:TGID_Y_EN: 1
; COMPUTE_PGM_RSRC2:TGID_Z_EN: 1
; COMPUTE_PGM_RSRC2:TIDIG_COMP_CNT: 0
	.section	.text._ZN4vllm25paged_attention_v2_kernelIfhLi80ELi16ELi128ELNS_18Fp8KVCacheDataTypeE1ELb1ELi512EEEvPfS2_PT_PKS3_PKT0_S9_ifPKiSB_iPKfiiiSD_SD_iiiii,"axG",@progbits,_ZN4vllm25paged_attention_v2_kernelIfhLi80ELi16ELi128ELNS_18Fp8KVCacheDataTypeE1ELb1ELi512EEEvPfS2_PT_PKS3_PKT0_S9_ifPKiSB_iPKfiiiSD_SD_iiiii,comdat
	.protected	_ZN4vllm25paged_attention_v2_kernelIfhLi80ELi16ELi128ELNS_18Fp8KVCacheDataTypeE1ELb1ELi512EEEvPfS2_PT_PKS3_PKT0_S9_ifPKiSB_iPKfiiiSD_SD_iiiii ; -- Begin function _ZN4vllm25paged_attention_v2_kernelIfhLi80ELi16ELi128ELNS_18Fp8KVCacheDataTypeE1ELb1ELi512EEEvPfS2_PT_PKS3_PKT0_S9_ifPKiSB_iPKfiiiSD_SD_iiiii
	.globl	_ZN4vllm25paged_attention_v2_kernelIfhLi80ELi16ELi128ELNS_18Fp8KVCacheDataTypeE1ELb1ELi512EEEvPfS2_PT_PKS3_PKT0_S9_ifPKiSB_iPKfiiiSD_SD_iiiii
	.p2align	8
	.type	_ZN4vllm25paged_attention_v2_kernelIfhLi80ELi16ELi128ELNS_18Fp8KVCacheDataTypeE1ELb1ELi512EEEvPfS2_PT_PKS3_PKT0_S9_ifPKiSB_iPKfiiiSD_SD_iiiii,@function
_ZN4vllm25paged_attention_v2_kernelIfhLi80ELi16ELi128ELNS_18Fp8KVCacheDataTypeE1ELb1ELi512EEEvPfS2_PT_PKS3_PKT0_S9_ifPKiSB_iPKfiiiSD_SD_iiiii: ; @_ZN4vllm25paged_attention_v2_kernelIfhLi80ELi16ELi128ELNS_18Fp8KVCacheDataTypeE1ELb1ELi512EEEvPfS2_PT_PKS3_PKT0_S9_ifPKiSB_iPKfiiiSD_SD_iiiii
; %bb.0:
	s_load_b64 s[2:3], s[0:1], 0x40
	s_mov_b32 s12, s15
	s_ashr_i32 s15, s14, 31
	s_delay_alu instid0(SALU_CYCLE_1)
	s_lshl_b64 s[4:5], s[14:15], 2
	s_waitcnt lgkmcnt(0)
	s_add_u32 s2, s2, s4
	s_addc_u32 s3, s3, s5
	s_lshl_b32 s43, s12, 9
	s_load_b32 s33, s[2:3], 0x0
	s_waitcnt lgkmcnt(0)
	s_cmp_ge_i32 s43, s33
	s_cbranch_scc1 .LBB229_734
; %bb.1:
	s_mov_b32 s28, s13
	s_clause 0x1
	s_load_b32 s13, s[0:1], 0x90
	s_load_b64 s[38:39], s[0:1], 0x30
	s_mov_b32 s46, 0
	s_waitcnt lgkmcnt(0)
	s_abs_i32 s5, s13
	s_abs_i32 s2, s38
	s_delay_alu instid0(SALU_CYCLE_1) | instskip(SKIP_1) | instid1(VALU_DEP_1)
	v_cvt_f32_u32_e32 v1, s2
	s_sub_i32 s4, 0, s2
	v_rcp_iflag_f32_e32 v1, v1
	s_waitcnt_depctr 0xfff
	v_mul_f32_e32 v1, 0x4f7ffffe, v1
	s_delay_alu instid0(VALU_DEP_1) | instskip(NEXT) | instid1(VALU_DEP_1)
	v_cvt_u32_f32_e32 v1, v1
	v_readfirstlane_b32 s3, v1
	s_delay_alu instid0(VALU_DEP_1) | instskip(NEXT) | instid1(SALU_CYCLE_1)
	s_mul_i32 s4, s4, s3
	s_mul_hi_u32 s4, s3, s4
	s_delay_alu instid0(SALU_CYCLE_1) | instskip(SKIP_4) | instid1(SALU_CYCLE_1)
	s_add_i32 s3, s3, s4
	s_xor_b32 s4, s13, s38
	s_mul_hi_u32 s3, s5, s3
	s_ashr_i32 s4, s4, 31
	s_mul_i32 s6, s3, s2
	s_sub_i32 s5, s5, s6
	s_add_i32 s6, s3, 1
	s_sub_i32 s7, s5, s2
	s_cmp_ge_u32 s5, s2
	s_cselect_b32 s3, s6, s3
	s_cselect_b32 s5, s7, s5
	s_add_i32 s6, s3, 1
	s_cmp_ge_u32 s5, s2
	s_cselect_b32 s2, s6, s3
	s_delay_alu instid0(SALU_CYCLE_1) | instskip(NEXT) | instid1(SALU_CYCLE_1)
	s_xor_b32 s2, s2, s4
	s_sub_i32 s7, s2, s4
	s_load_b64 s[2:3], s[0:1], 0x50
	s_abs_i32 s4, s7
	s_delay_alu instid0(SALU_CYCLE_1) | instskip(SKIP_1) | instid1(VALU_DEP_1)
	v_cvt_f32_u32_e32 v1, s4
	s_sub_i32 s5, 0, s4
	v_rcp_iflag_f32_e32 v1, v1
	s_waitcnt_depctr 0xfff
	v_mul_f32_e32 v1, 0x4f7ffffe, v1
	s_delay_alu instid0(VALU_DEP_1) | instskip(NEXT) | instid1(VALU_DEP_1)
	v_cvt_u32_f32_e32 v1, v1
	v_readfirstlane_b32 s6, v1
	s_delay_alu instid0(VALU_DEP_1) | instskip(NEXT) | instid1(SALU_CYCLE_1)
	s_mul_i32 s5, s5, s6
	s_mul_hi_u32 s8, s6, s5
	s_abs_i32 s5, s28
	s_add_i32 s6, s6, s8
	s_waitcnt lgkmcnt(0)
	s_cmp_eq_u64 s[2:3], 0
	s_mul_hi_u32 s6, s5, s6
	s_cbranch_scc1 .LBB229_3
; %bb.2:
	s_ashr_i32 s29, s28, 31
	s_delay_alu instid0(SALU_CYCLE_1) | instskip(NEXT) | instid1(SALU_CYCLE_1)
	s_lshl_b64 s[8:9], s[28:29], 2
	s_add_u32 s2, s2, s8
	s_addc_u32 s3, s3, s9
	s_load_b32 s46, s[2:3], 0x0
.LBB229_3:
	s_load_b128 s[8:11], s[0:1], 0x58
	v_and_b32_e32 v1, 1, v0
	v_lshlrev_b32_e32 v131, 2, v0
	s_ashr_i32 s2, s28, 31
	s_ashr_i32 s3, s7, 31
	s_mul_i32 s24, s28, 0x50
	s_mov_b32 s7, exec_lo
	v_cmpx_gt_u32_e32 40, v0
	s_cbranch_execz .LBB229_5
; %bb.4:
	s_load_b64 s[16:17], s[0:1], 0x18
	s_waitcnt lgkmcnt(0)
	s_mul_i32 s18, s14, s8
	v_lshlrev_b32_e32 v2, 3, v0
	s_ashr_i32 s19, s18, 31
	v_and_b32_e32 v4, 0xff8, v131
	s_lshl_b64 s[18:19], s[18:19], 2
	s_delay_alu instid0(VALU_DEP_1) | instskip(SKIP_3) | instid1(SALU_CYCLE_1)
	v_mad_u32_u24 v4, 0xa0, v1, v4
	s_add_u32 s8, s16, s18
	s_addc_u32 s11, s17, s19
	s_ashr_i32 s25, s24, 31
	s_lshl_b64 s[16:17], s[24:25], 2
	s_delay_alu instid0(SALU_CYCLE_1)
	s_add_u32 s16, s8, s16
	s_addc_u32 s17, s11, s17
	global_load_b64 v[2:3], v2, s[16:17]
	s_waitcnt vmcnt(0)
	ds_store_b64 v4, v[2:3]
.LBB229_5:
	s_or_b32 exec_lo, exec_lo, s7
	s_load_b128 s[16:19], s[0:1], 0x78
	s_mul_i32 s7, s6, s4
	s_xor_b32 s2, s2, s3
	s_sub_i32 s3, s5, s7
	s_add_i32 s5, s6, 1
	s_sub_i32 s7, s3, s4
	s_cmp_ge_u32 s3, s4
	s_waitcnt lgkmcnt(0)
	s_cselect_b32 s5, s5, s6
	s_cselect_b32 s3, s7, s3
	s_add_i32 s6, s5, 1
	s_cmp_ge_u32 s3, s4
	s_load_b32 s4, s[0:1], 0x88
	s_cselect_b32 s3, s6, s5
	s_add_i32 s5, s33, -1
	s_xor_b32 s3, s3, s2
	s_mov_b32 s6, -1
	s_sub_i32 s44, s3, s2
	s_abs_i32 s3, s5
	s_waitcnt lgkmcnt(0)
	s_barrier
	s_abs_i32 s25, s19
	buffer_gl0_inv
	v_cvt_f32_u32_e32 v2, s25
	s_sub_i32 s2, 0, s25
                                        ; implicit-def: $sgpr42
	s_delay_alu instid0(VALU_DEP_1) | instskip(SKIP_2) | instid1(VALU_DEP_1)
	v_rcp_iflag_f32_e32 v2, v2
	s_waitcnt_depctr 0xfff
	v_mul_f32_e32 v2, 0x4f7ffffe, v2
	v_cvt_u32_f32_e32 v2, v2
	s_delay_alu instid0(VALU_DEP_1) | instskip(NEXT) | instid1(VALU_DEP_1)
	v_readfirstlane_b32 s29, v2
	s_mul_i32 s2, s2, s29
	s_delay_alu instid0(SALU_CYCLE_1) | instskip(NEXT) | instid1(SALU_CYCLE_1)
	s_mul_hi_u32 s2, s29, s2
	s_add_i32 s29, s29, s2
	s_cmp_lt_i32 s4, 0
	s_mul_hi_u32 s2, s3, s29
	s_cbranch_scc0 .LBB229_7
; %bb.6:
	s_mul_i32 s6, s16, s38
	s_delay_alu instid0(SALU_CYCLE_1) | instskip(NEXT) | instid1(SALU_CYCLE_1)
	s_add_i32 s6, s44, s6
	s_mul_i32 s6, s6, s4
	s_delay_alu instid0(SALU_CYCLE_1)
	s_sub_i32 s42, 1, s6
	s_mov_b32 s6, 0
.LBB229_7:
	s_load_b64 s[30:31], s[0:1], 0x38
	s_ashr_i32 s8, s5, 31
	s_and_not1_b32 vcc_lo, exec_lo, s6
	s_ashr_i32 s19, s19, 31
	s_cbranch_vccnz .LBB229_9
; %bb.8:
	s_mul_i32 s5, s13, s16
	s_delay_alu instid0(SALU_CYCLE_1) | instskip(NEXT) | instid1(SALU_CYCLE_1)
	s_add_i32 s5, s5, s28
	s_mul_i32 s4, s5, s4
	s_delay_alu instid0(SALU_CYCLE_1)
	s_add_i32 s42, s4, 1
.LBB229_9:
	s_clause 0x5
	s_load_b32 s11, s[0:1], 0x48
	s_load_b64 s[36:37], s[0:1], 0x28
	s_load_b128 s[20:23], s[0:1], 0x0
	s_load_b64 s[26:27], s[0:1], 0x10
	s_load_b32 s15, s[0:1], 0x98
	s_load_b128 s[4:7], s[0:1], 0x68
	s_xor_b32 s40, s8, s19
	s_mul_i32 s8, s2, s25
	s_add_i32 s16, s2, 1
	s_sub_i32 s3, s3, s8
	v_lshrrev_b32_e32 v129, 5, v0
	s_sub_i32 s8, s3, s25
	v_mov_b32_e32 v133, 0xff7fffff
	v_mbcnt_lo_u32_b32 v132, -1, 0
	s_mul_i32 s44, s44, s10
	v_lshl_add_u32 v130, v129, 4, s43
	s_waitcnt lgkmcnt(0)
	s_mul_i32 s34, s14, s11
	s_delay_alu instid0(SALU_CYCLE_1)
	s_ashr_i32 s35, s34, 31
	s_cmp_ge_u32 s3, s25
	s_cselect_b32 s2, s16, s2
	s_cselect_b32 s3, s8, s3
	s_add_i32 s8, s2, 1
	s_cmp_ge_u32 s3, s25
	s_cselect_b32 s2, s8, s2
	s_add_i32 s3, s33, 15
	s_lshl_b32 s8, s12, 5
	s_ashr_i32 s11, s3, 31
	v_or_b32_e32 v41, s8, v129
	s_lshr_b32 s11, s11, 28
	s_delay_alu instid0(SALU_CYCLE_1)
	s_add_i32 s3, s3, s11
	s_add_i32 s11, s8, 32
	s_ashr_i32 s38, s3, 4
	s_xor_b32 s3, s2, s40
	s_min_i32 s16, s11, s38
	v_ashrrev_i32_e32 v42, 31, v41
	v_cmp_gt_i32_e64 s2, s16, v41
	s_sub_i32 s45, s3, s40
	s_delay_alu instid0(VALU_DEP_1)
	s_and_saveexec_b32 s47, s2
	s_cbranch_execz .LBB229_339
; %bb.10:
	s_load_b64 s[0:1], s[0:1], 0x20
	s_sub_i32 s48, s45, s17
	s_ashr_i32 s3, s44, 31
	v_bfe_u32 v134, v0, 1, 4
	v_cmp_eq_u32_e32 vcc_lo, 0, v1
	v_mov_b32_e32 v133, 0xff7fffff
	v_dual_mov_b32 v138, 0xff7fffff :: v_dual_lshlrev_b32 v135, 1, v1
	s_delay_alu instid0(VALU_DEP_4) | instskip(SKIP_3) | instid1(VALU_DEP_4)
	v_lshlrev_b32_e32 v4, 2, v134
	v_dual_mov_b32 v142, v41 :: v_dual_lshlrev_b32 v7, 4, v134
	v_mul_u32_u24_e32 v136, 0xa0, v1
	v_subrev_nc_u32_e32 v5, s33, v134
	v_lshl_or_b32 v4, v129, 6, v4
	v_lshl_add_u32 v137, v129, 4, s43
	s_mov_b32 s10, 0
	s_brev_b32 s11, 1
	v_add_nc_u32_e32 v139, 1, v5
	v_add_nc_u32_e32 v140, 0x160, v4
	s_mov_b32 s51, s10
	s_waitcnt lgkmcnt(0)
	s_add_u32 s50, s0, s44
	s_addc_u32 s1, s1, s3
	s_abs_i32 s49, s18
	s_lshl_b64 s[40:41], s[34:35], 2
	v_cvt_f32_u32_e32 v2, s49
	s_sub_i32 s3, 0, s49
	v_cmp_neq_f32_e64 s0, s46, 0
	s_delay_alu instid0(VALU_DEP_2) | instskip(SKIP_3) | instid1(VALU_DEP_2)
	v_rcp_iflag_f32_e32 v2, v2
	s_waitcnt_depctr 0xfff
	v_dual_mov_b32 v44, 0 :: v_dual_mul_f32 v3, 0x4f7ffffe, v2
	v_lshlrev_b64 v[1:2], 2, v[41:42]
	v_cvt_u32_f32_e32 v3, v3
	s_delay_alu instid0(VALU_DEP_1) | instskip(SKIP_1) | instid1(VALU_DEP_1)
	v_mul_lo_u32 v6, s3, v3
	v_add_co_u32 v45, s3, s50, v7
	v_add_co_ci_u32_e64 v46, null, s1, 0, s3
	s_add_u32 s1, s30, s40
	s_addc_u32 s3, s31, s41
	v_add_co_u32 v47, s1, s1, v1
	s_delay_alu instid0(VALU_DEP_4) | instskip(SKIP_3) | instid1(VALU_DEP_2)
	v_mul_hi_u32 v4, v3, v6
	v_add_co_ci_u32_e64 v48, s1, s3, v2, s1
	s_mov_b32 s50, s9
	s_mov_b32 s41, 0x7f800001
	v_add_nc_u32_e32 v141, v3, v4
	s_branch .LBB229_13
.LBB229_11:                             ;   in Loop: Header=BB229_13 Depth=1
	s_or_b32 exec_lo, exec_lo, s40
.LBB229_12:                             ;   in Loop: Header=BB229_13 Depth=1
	s_delay_alu instid0(SALU_CYCLE_1) | instskip(SKIP_2) | instid1(VALU_DEP_1)
	s_or_b32 exec_lo, exec_lo, s3
	v_add_nc_u32_e32 v142, 4, v142
	v_add_co_u32 v47, s3, v47, 16
	v_add_co_ci_u32_e64 v48, s3, 0, v48, s3
	s_delay_alu instid0(VALU_DEP_3) | instskip(SKIP_2) | instid1(VALU_DEP_3)
	v_cmp_le_i32_e64 s1, s16, v142
	v_add_nc_u32_e32 v137, 64, v137
	v_add_nc_u32_e32 v140, 0x100, v140
	s_or_b32 s51, s1, s51
	s_delay_alu instid0(SALU_CYCLE_1)
	s_and_not1_b32 exec_lo, exec_lo, s51
	s_cbranch_execz .LBB229_338
.LBB229_13:                             ; =>This Inner Loop Header: Depth=1
	v_sub_nc_u32_e32 v1, 0, v137
	s_delay_alu instid0(VALU_DEP_1) | instskip(SKIP_1) | instid1(VALU_DEP_1)
	v_max_i32_e32 v1, v137, v1
	s_waitcnt lgkmcnt(0)
	v_mul_hi_u32 v2, v1, s29
	s_delay_alu instid0(VALU_DEP_1) | instskip(NEXT) | instid1(VALU_DEP_1)
	v_mul_lo_u32 v3, v2, s25
	v_sub_nc_u32_e32 v1, v1, v3
	v_add_nc_u32_e32 v3, 1, v2
	s_delay_alu instid0(VALU_DEP_2) | instskip(SKIP_1) | instid1(VALU_DEP_1)
	v_subrev_nc_u32_e32 v4, s25, v1
	v_cmp_le_u32_e64 s1, s25, v1
	v_cndmask_b32_e64 v2, v2, v3, s1
	s_delay_alu instid0(VALU_DEP_3) | instskip(SKIP_1) | instid1(VALU_DEP_3)
	v_cndmask_b32_e64 v1, v1, v4, s1
	v_ashrrev_i32_e32 v3, 31, v137
	v_add_nc_u32_e32 v4, 1, v2
	s_delay_alu instid0(VALU_DEP_3) | instskip(NEXT) | instid1(VALU_DEP_3)
	v_cmp_le_u32_e64 s1, s25, v1
	v_xor_b32_e32 v3, s19, v3
	s_delay_alu instid0(VALU_DEP_2) | instskip(NEXT) | instid1(VALU_DEP_1)
	v_cndmask_b32_e64 v1, v2, v4, s1
	v_xor_b32_e32 v1, v1, v3
	s_delay_alu instid0(VALU_DEP_1) | instskip(NEXT) | instid1(VALU_DEP_1)
	v_sub_nc_u32_e32 v1, v1, v3
	v_add_nc_u32_e32 v2, s42, v1
	v_cmp_ge_i32_e64 s3, s48, v1
	s_delay_alu instid0(VALU_DEP_2) | instskip(NEXT) | instid1(VALU_DEP_1)
	v_sub_nc_u32_e32 v3, 0, v2
	v_max_i32_e32 v3, v2, v3
	v_ashrrev_i32_e32 v2, 31, v2
	s_delay_alu instid0(VALU_DEP_2) | instskip(NEXT) | instid1(VALU_DEP_1)
	v_mul_hi_u32 v4, v3, v141
	v_mul_lo_u32 v4, v4, s49
	s_delay_alu instid0(VALU_DEP_1) | instskip(NEXT) | instid1(VALU_DEP_1)
	v_sub_nc_u32_e32 v3, v3, v4
	v_subrev_nc_u32_e32 v4, s49, v3
	v_cmp_le_u32_e64 s1, s49, v3
	s_delay_alu instid0(VALU_DEP_1) | instskip(NEXT) | instid1(VALU_DEP_1)
	v_cndmask_b32_e64 v3, v3, v4, s1
	v_subrev_nc_u32_e32 v4, s49, v3
	v_cmp_le_u32_e64 s1, s49, v3
	s_delay_alu instid0(VALU_DEP_1) | instskip(NEXT) | instid1(VALU_DEP_1)
	v_cndmask_b32_e64 v3, v3, v4, s1
	v_xor_b32_e32 v3, v3, v2
	s_delay_alu instid0(VALU_DEP_1) | instskip(NEXT) | instid1(VALU_DEP_1)
	v_sub_nc_u32_e32 v2, v3, v2
	v_cmp_ne_u32_e64 s1, 0, v2
	s_delay_alu instid0(VALU_DEP_1) | instskip(NEXT) | instid1(SALU_CYCLE_1)
	s_and_b32 s1, s1, s3
	s_and_b32 s40, vcc_lo, s1
	s_delay_alu instid0(SALU_CYCLE_1)
	s_and_saveexec_b32 s3, s40
	s_cbranch_execz .LBB229_15
; %bb.14:                               ;   in Loop: Header=BB229_13 Depth=1
	ds_store_b32 v140, v138
.LBB229_15:                             ;   in Loop: Header=BB229_13 Depth=1
	s_or_b32 exec_lo, exec_lo, s3
	s_xor_b32 s1, s1, -1
	s_delay_alu instid0(SALU_CYCLE_1)
	s_and_saveexec_b32 s3, s1
	s_cbranch_execz .LBB229_12
; %bb.16:                               ;   in Loop: Header=BB229_13 Depth=1
	global_load_b32 v3, v[47:48], off
	v_mov_b32_e32 v49, 0
	s_waitcnt vmcnt(0)
	v_mad_i64_i32 v[1:2], null, v3, s50, v[45:46]
	s_delay_alu instid0(VALU_DEP_1) | instskip(NEXT) | instid1(VALU_DEP_1)
	v_add_co_u32 v61, s1, v1, v135
	v_add_co_ci_u32_e64 v62, s1, 0, v2, s1
	global_load_u16 v43, v[61:62], off
	ds_load_b128 v[37:40], v136
	ds_load_b128 v[33:36], v136 offset:16
	ds_load_b128 v[29:32], v136 offset:32
	;; [unrolled: 1-line block ×9, first 2 shown]
	s_load_b32 s52, s[4:5], 0x0
	s_waitcnt vmcnt(0)
	v_dual_mov_b32 v50, 0 :: v_dual_and_b32 v51, 0xff, v43
	v_and_b32_e32 v53, 0xffff, v43
	s_delay_alu instid0(VALU_DEP_2) | instskip(NEXT) | instid1(VALU_DEP_3)
	v_cmp_ne_u16_e64 s1, 0, v51
	v_dual_mov_b32 v52, v50 :: v_dual_mov_b32 v51, v49
	s_delay_alu instid0(VALU_DEP_2)
	s_and_saveexec_b32 s40, s1
	s_cbranch_execz .LBB229_24
; %bb.17:                               ;   in Loop: Header=BB229_13 Depth=1
	v_bfrev_b32_e32 v51, 1
	v_dual_mov_b32 v52, 0 :: v_dual_and_b32 v43, 0xff, v53
	s_mov_b32 s53, exec_lo
	s_delay_alu instid0(VALU_DEP_1)
	v_cmpx_ne_u16_e32 0x80, v43
	s_cbranch_execz .LBB229_23
; %bb.18:                               ;   in Loop: Header=BB229_13 Depth=1
	v_mov_b32_e32 v51, 0x7f800001
	v_and_b32_e32 v54, 0x7f, v53
	v_mov_b32_e32 v52, 0
	s_mov_b32 s54, exec_lo
	s_delay_alu instid0(VALU_DEP_2)
	v_cmpx_ne_u32_e32 0x7f, v54
	s_cbranch_execz .LBB229_22
; %bb.19:                               ;   in Loop: Header=BB229_13 Depth=1
	v_and_b32_e32 v43, 7, v53
	v_lshrrev_b32_e32 v51, 3, v54
	s_mov_b32 s55, exec_lo
	v_cmpx_gt_u32_e32 8, v54
; %bb.20:                               ;   in Loop: Header=BB229_13 Depth=1
	s_delay_alu instid0(VALU_DEP_3) | instskip(NEXT) | instid1(VALU_DEP_1)
	v_clz_i32_u32_e32 v51, v43
	v_min_u32_e32 v51, 32, v51
	s_delay_alu instid0(VALU_DEP_1) | instskip(SKIP_1) | instid1(VALU_DEP_2)
	v_subrev_nc_u32_e32 v52, 28, v51
	v_sub_nc_u32_e32 v51, 29, v51
	v_lshlrev_b64 v[54:55], v52, v[43:44]
	s_delay_alu instid0(VALU_DEP_1)
	v_and_b32_e32 v43, 7, v54
; %bb.21:                               ;   in Loop: Header=BB229_13 Depth=1
	s_or_b32 exec_lo, exec_lo, s55
	v_lshlrev_b32_e32 v52, 24, v53
	s_delay_alu instid0(VALU_DEP_2) | instskip(SKIP_1) | instid1(VALU_DEP_3)
	v_lshlrev_b32_e32 v43, 20, v43
	v_lshl_add_u32 v51, v51, 23, 0x3c000000
	v_and_b32_e32 v52, 0x80000000, v52
	s_delay_alu instid0(VALU_DEP_1) | instskip(NEXT) | instid1(VALU_DEP_1)
	v_or3_b32 v43, v43, v52, v51
	v_dual_mov_b32 v52, v44 :: v_dual_mov_b32 v51, v43
.LBB229_22:                             ;   in Loop: Header=BB229_13 Depth=1
	s_or_b32 exec_lo, exec_lo, s54
.LBB229_23:                             ;   in Loop: Header=BB229_13 Depth=1
	s_delay_alu instid0(SALU_CYCLE_1)
	s_or_b32 exec_lo, exec_lo, s53
.LBB229_24:                             ;   in Loop: Header=BB229_13 Depth=1
	s_delay_alu instid0(SALU_CYCLE_1) | instskip(SKIP_2) | instid1(VALU_DEP_1)
	s_or_b32 exec_lo, exec_lo, s40
	v_lshrrev_b16 v43, 8, v53
	s_mov_b32 s53, exec_lo
	v_cmpx_ne_u16_e32 0, v43
	s_cbranch_execz .LBB229_32
; %bb.25:                               ;   in Loop: Header=BB229_13 Depth=1
	v_dual_mov_b32 v50, s11 :: v_dual_mov_b32 v49, s10
	s_mov_b32 s54, exec_lo
	v_cmpx_ne_u16_e32 0x80, v43
	s_cbranch_execz .LBB229_31
; %bb.26:                               ;   in Loop: Header=BB229_13 Depth=1
	s_mov_b32 s40, s10
	v_dual_mov_b32 v50, s41 :: v_dual_and_b32 v43, 0xffff, v43
	v_mov_b32_e32 v49, s40
	s_mov_b32 s40, exec_lo
	s_delay_alu instid0(VALU_DEP_2) | instskip(NEXT) | instid1(VALU_DEP_1)
	v_and_b32_e32 v54, 0x7f, v43
	v_cmpx_ne_u32_e32 0x7f, v54
	s_cbranch_execz .LBB229_30
; %bb.27:                               ;   in Loop: Header=BB229_13 Depth=1
	v_and_b32_e32 v43, 7, v43
	v_lshrrev_b32_e32 v49, 3, v54
	s_mov_b32 s55, exec_lo
	v_cmpx_gt_u32_e32 8, v54
; %bb.28:                               ;   in Loop: Header=BB229_13 Depth=1
	s_delay_alu instid0(VALU_DEP_3) | instskip(NEXT) | instid1(VALU_DEP_1)
	v_clz_i32_u32_e32 v49, v43
	v_min_u32_e32 v49, 32, v49
	s_delay_alu instid0(VALU_DEP_1) | instskip(SKIP_1) | instid1(VALU_DEP_2)
	v_subrev_nc_u32_e32 v50, 28, v49
	v_sub_nc_u32_e32 v49, 29, v49
	v_lshlrev_b64 v[54:55], v50, v[43:44]
	s_delay_alu instid0(VALU_DEP_1)
	v_and_b32_e32 v43, 7, v54
; %bb.29:                               ;   in Loop: Header=BB229_13 Depth=1
	s_or_b32 exec_lo, exec_lo, s55
	v_lshlrev_b32_e32 v50, 16, v53
	s_delay_alu instid0(VALU_DEP_2) | instskip(SKIP_1) | instid1(VALU_DEP_3)
	v_lshlrev_b32_e32 v43, 20, v43
	v_lshl_add_u32 v49, v49, 23, 0x3c000000
	v_and_b32_e32 v50, 0x80000000, v50
	s_delay_alu instid0(VALU_DEP_1)
	v_or3_b32 v50, v43, v50, v49
	v_mov_b32_e32 v49, v44
.LBB229_30:                             ;   in Loop: Header=BB229_13 Depth=1
	s_or_b32 exec_lo, exec_lo, s40
.LBB229_31:                             ;   in Loop: Header=BB229_13 Depth=1
	s_delay_alu instid0(SALU_CYCLE_1)
	s_or_b32 exec_lo, exec_lo, s54
.LBB229_32:                             ;   in Loop: Header=BB229_13 Depth=1
	s_delay_alu instid0(SALU_CYCLE_1)
	s_or_b32 exec_lo, exec_lo, s53
	global_load_u16 v43, v[61:62], off offset:4
	v_mov_b32_e32 v53, 0
	s_waitcnt vmcnt(0)
	v_dual_mov_b32 v54, 0 :: v_dual_and_b32 v55, 0xff, v43
	v_and_b32_e32 v57, 0xffff, v43
	s_delay_alu instid0(VALU_DEP_2) | instskip(NEXT) | instid1(VALU_DEP_3)
	v_cmp_ne_u16_e64 s1, 0, v55
	v_dual_mov_b32 v56, v54 :: v_dual_mov_b32 v55, v53
	s_delay_alu instid0(VALU_DEP_2)
	s_and_saveexec_b32 s40, s1
	s_cbranch_execz .LBB229_40
; %bb.33:                               ;   in Loop: Header=BB229_13 Depth=1
	v_bfrev_b32_e32 v55, 1
	v_dual_mov_b32 v56, 0 :: v_dual_and_b32 v43, 0xff, v57
	s_mov_b32 s53, exec_lo
	s_delay_alu instid0(VALU_DEP_1)
	v_cmpx_ne_u16_e32 0x80, v43
	s_cbranch_execz .LBB229_39
; %bb.34:                               ;   in Loop: Header=BB229_13 Depth=1
	v_mov_b32_e32 v55, 0x7f800001
	v_and_b32_e32 v58, 0x7f, v57
	v_mov_b32_e32 v56, 0
	s_mov_b32 s54, exec_lo
	s_delay_alu instid0(VALU_DEP_2)
	v_cmpx_ne_u32_e32 0x7f, v58
	s_cbranch_execz .LBB229_38
; %bb.35:                               ;   in Loop: Header=BB229_13 Depth=1
	v_and_b32_e32 v43, 7, v57
	v_lshrrev_b32_e32 v55, 3, v58
	s_mov_b32 s55, exec_lo
	v_cmpx_gt_u32_e32 8, v58
; %bb.36:                               ;   in Loop: Header=BB229_13 Depth=1
	s_delay_alu instid0(VALU_DEP_3) | instskip(NEXT) | instid1(VALU_DEP_1)
	v_clz_i32_u32_e32 v55, v43
	v_min_u32_e32 v55, 32, v55
	s_delay_alu instid0(VALU_DEP_1) | instskip(SKIP_1) | instid1(VALU_DEP_2)
	v_subrev_nc_u32_e32 v56, 28, v55
	v_sub_nc_u32_e32 v55, 29, v55
	v_lshlrev_b64 v[58:59], v56, v[43:44]
	s_delay_alu instid0(VALU_DEP_1)
	v_and_b32_e32 v43, 7, v58
; %bb.37:                               ;   in Loop: Header=BB229_13 Depth=1
	s_or_b32 exec_lo, exec_lo, s55
	v_lshlrev_b32_e32 v56, 24, v57
	s_delay_alu instid0(VALU_DEP_2) | instskip(SKIP_1) | instid1(VALU_DEP_3)
	v_lshlrev_b32_e32 v43, 20, v43
	v_lshl_add_u32 v55, v55, 23, 0x3c000000
	v_and_b32_e32 v56, 0x80000000, v56
	s_delay_alu instid0(VALU_DEP_1) | instskip(NEXT) | instid1(VALU_DEP_1)
	v_or3_b32 v43, v43, v56, v55
	v_dual_mov_b32 v56, v44 :: v_dual_mov_b32 v55, v43
.LBB229_38:                             ;   in Loop: Header=BB229_13 Depth=1
	s_or_b32 exec_lo, exec_lo, s54
.LBB229_39:                             ;   in Loop: Header=BB229_13 Depth=1
	s_delay_alu instid0(SALU_CYCLE_1)
	s_or_b32 exec_lo, exec_lo, s53
.LBB229_40:                             ;   in Loop: Header=BB229_13 Depth=1
	s_delay_alu instid0(SALU_CYCLE_1) | instskip(SKIP_2) | instid1(VALU_DEP_1)
	s_or_b32 exec_lo, exec_lo, s40
	v_lshrrev_b16 v43, 8, v57
	s_mov_b32 s53, exec_lo
	v_cmpx_ne_u16_e32 0, v43
	s_cbranch_execz .LBB229_48
; %bb.41:                               ;   in Loop: Header=BB229_13 Depth=1
	v_dual_mov_b32 v54, s11 :: v_dual_mov_b32 v53, s10
	s_mov_b32 s54, exec_lo
	v_cmpx_ne_u16_e32 0x80, v43
	s_cbranch_execz .LBB229_47
; %bb.42:                               ;   in Loop: Header=BB229_13 Depth=1
	s_mov_b32 s40, s10
	v_dual_mov_b32 v54, s41 :: v_dual_and_b32 v43, 0xffff, v43
	v_mov_b32_e32 v53, s40
	s_mov_b32 s40, exec_lo
	s_delay_alu instid0(VALU_DEP_2) | instskip(NEXT) | instid1(VALU_DEP_1)
	v_and_b32_e32 v58, 0x7f, v43
	v_cmpx_ne_u32_e32 0x7f, v58
	s_cbranch_execz .LBB229_46
; %bb.43:                               ;   in Loop: Header=BB229_13 Depth=1
	v_and_b32_e32 v43, 7, v43
	v_lshrrev_b32_e32 v53, 3, v58
	s_mov_b32 s55, exec_lo
	v_cmpx_gt_u32_e32 8, v58
; %bb.44:                               ;   in Loop: Header=BB229_13 Depth=1
	s_delay_alu instid0(VALU_DEP_3) | instskip(NEXT) | instid1(VALU_DEP_1)
	v_clz_i32_u32_e32 v53, v43
	v_min_u32_e32 v53, 32, v53
	s_delay_alu instid0(VALU_DEP_1) | instskip(SKIP_1) | instid1(VALU_DEP_2)
	v_subrev_nc_u32_e32 v54, 28, v53
	v_sub_nc_u32_e32 v53, 29, v53
	v_lshlrev_b64 v[58:59], v54, v[43:44]
	s_delay_alu instid0(VALU_DEP_1)
	v_and_b32_e32 v43, 7, v58
; %bb.45:                               ;   in Loop: Header=BB229_13 Depth=1
	s_or_b32 exec_lo, exec_lo, s55
	v_lshlrev_b32_e32 v54, 16, v57
	s_delay_alu instid0(VALU_DEP_2) | instskip(SKIP_1) | instid1(VALU_DEP_3)
	v_lshlrev_b32_e32 v43, 20, v43
	v_lshl_add_u32 v53, v53, 23, 0x3c000000
	v_and_b32_e32 v54, 0x80000000, v54
	s_delay_alu instid0(VALU_DEP_1)
	v_or3_b32 v54, v43, v54, v53
	v_mov_b32_e32 v53, v44
.LBB229_46:                             ;   in Loop: Header=BB229_13 Depth=1
	s_or_b32 exec_lo, exec_lo, s40
.LBB229_47:                             ;   in Loop: Header=BB229_13 Depth=1
	s_delay_alu instid0(SALU_CYCLE_1)
	s_or_b32 exec_lo, exec_lo, s54
.LBB229_48:                             ;   in Loop: Header=BB229_13 Depth=1
	s_delay_alu instid0(SALU_CYCLE_1)
	s_or_b32 exec_lo, exec_lo, s53
	global_load_u16 v43, v[61:62], off offset:8
	v_mov_b32_e32 v57, 0
	s_waitcnt vmcnt(0)
	v_dual_mov_b32 v58, 0 :: v_dual_and_b32 v59, 0xff, v43
	v_and_b32_e32 v63, 0xffff, v43
	s_delay_alu instid0(VALU_DEP_2) | instskip(NEXT) | instid1(VALU_DEP_3)
	v_cmp_ne_u16_e64 s1, 0, v59
	v_dual_mov_b32 v60, v58 :: v_dual_mov_b32 v59, v57
	s_delay_alu instid0(VALU_DEP_2)
	s_and_saveexec_b32 s40, s1
	s_cbranch_execz .LBB229_56
; %bb.49:                               ;   in Loop: Header=BB229_13 Depth=1
	v_bfrev_b32_e32 v59, 1
	v_dual_mov_b32 v60, 0 :: v_dual_and_b32 v43, 0xff, v63
	s_mov_b32 s53, exec_lo
	s_delay_alu instid0(VALU_DEP_1)
	v_cmpx_ne_u16_e32 0x80, v43
	s_cbranch_execz .LBB229_55
; %bb.50:                               ;   in Loop: Header=BB229_13 Depth=1
	v_mov_b32_e32 v59, 0x7f800001
	v_and_b32_e32 v64, 0x7f, v63
	v_mov_b32_e32 v60, 0
	s_mov_b32 s54, exec_lo
	s_delay_alu instid0(VALU_DEP_2)
	v_cmpx_ne_u32_e32 0x7f, v64
	s_cbranch_execz .LBB229_54
; %bb.51:                               ;   in Loop: Header=BB229_13 Depth=1
	v_and_b32_e32 v43, 7, v63
	v_lshrrev_b32_e32 v59, 3, v64
	s_mov_b32 s55, exec_lo
	v_cmpx_gt_u32_e32 8, v64
; %bb.52:                               ;   in Loop: Header=BB229_13 Depth=1
	s_delay_alu instid0(VALU_DEP_3) | instskip(NEXT) | instid1(VALU_DEP_1)
	v_clz_i32_u32_e32 v59, v43
	v_min_u32_e32 v59, 32, v59
	s_delay_alu instid0(VALU_DEP_1) | instskip(SKIP_1) | instid1(VALU_DEP_2)
	v_subrev_nc_u32_e32 v60, 28, v59
	v_sub_nc_u32_e32 v59, 29, v59
	v_lshlrev_b64 v[64:65], v60, v[43:44]
	s_delay_alu instid0(VALU_DEP_1)
	v_and_b32_e32 v43, 7, v64
; %bb.53:                               ;   in Loop: Header=BB229_13 Depth=1
	s_or_b32 exec_lo, exec_lo, s55
	v_lshlrev_b32_e32 v60, 24, v63
	s_delay_alu instid0(VALU_DEP_2) | instskip(SKIP_1) | instid1(VALU_DEP_3)
	v_lshlrev_b32_e32 v43, 20, v43
	v_lshl_add_u32 v59, v59, 23, 0x3c000000
	v_and_b32_e32 v60, 0x80000000, v60
	s_delay_alu instid0(VALU_DEP_1) | instskip(NEXT) | instid1(VALU_DEP_1)
	v_or3_b32 v43, v43, v60, v59
	v_dual_mov_b32 v60, v44 :: v_dual_mov_b32 v59, v43
.LBB229_54:                             ;   in Loop: Header=BB229_13 Depth=1
	s_or_b32 exec_lo, exec_lo, s54
.LBB229_55:                             ;   in Loop: Header=BB229_13 Depth=1
	s_delay_alu instid0(SALU_CYCLE_1)
	s_or_b32 exec_lo, exec_lo, s53
.LBB229_56:                             ;   in Loop: Header=BB229_13 Depth=1
	s_delay_alu instid0(SALU_CYCLE_1) | instskip(SKIP_2) | instid1(VALU_DEP_1)
	s_or_b32 exec_lo, exec_lo, s40
	v_lshrrev_b16 v43, 8, v63
	s_mov_b32 s53, exec_lo
	v_cmpx_ne_u16_e32 0, v43
	s_cbranch_execz .LBB229_64
; %bb.57:                               ;   in Loop: Header=BB229_13 Depth=1
	v_dual_mov_b32 v58, s11 :: v_dual_mov_b32 v57, s10
	s_mov_b32 s54, exec_lo
	v_cmpx_ne_u16_e32 0x80, v43
	s_cbranch_execz .LBB229_63
; %bb.58:                               ;   in Loop: Header=BB229_13 Depth=1
	s_mov_b32 s40, s10
	v_dual_mov_b32 v58, s41 :: v_dual_and_b32 v43, 0xffff, v43
	v_mov_b32_e32 v57, s40
	s_mov_b32 s40, exec_lo
	s_delay_alu instid0(VALU_DEP_2) | instskip(NEXT) | instid1(VALU_DEP_1)
	v_and_b32_e32 v64, 0x7f, v43
	v_cmpx_ne_u32_e32 0x7f, v64
	s_cbranch_execz .LBB229_62
; %bb.59:                               ;   in Loop: Header=BB229_13 Depth=1
	v_and_b32_e32 v43, 7, v43
	v_lshrrev_b32_e32 v57, 3, v64
	s_mov_b32 s55, exec_lo
	v_cmpx_gt_u32_e32 8, v64
; %bb.60:                               ;   in Loop: Header=BB229_13 Depth=1
	s_delay_alu instid0(VALU_DEP_3) | instskip(NEXT) | instid1(VALU_DEP_1)
	v_clz_i32_u32_e32 v57, v43
	v_min_u32_e32 v57, 32, v57
	s_delay_alu instid0(VALU_DEP_1) | instskip(SKIP_1) | instid1(VALU_DEP_2)
	v_subrev_nc_u32_e32 v58, 28, v57
	v_sub_nc_u32_e32 v57, 29, v57
	v_lshlrev_b64 v[64:65], v58, v[43:44]
	s_delay_alu instid0(VALU_DEP_1)
	v_and_b32_e32 v43, 7, v64
; %bb.61:                               ;   in Loop: Header=BB229_13 Depth=1
	s_or_b32 exec_lo, exec_lo, s55
	v_lshlrev_b32_e32 v58, 16, v63
	s_delay_alu instid0(VALU_DEP_2) | instskip(SKIP_1) | instid1(VALU_DEP_3)
	v_lshlrev_b32_e32 v43, 20, v43
	v_lshl_add_u32 v57, v57, 23, 0x3c000000
	v_and_b32_e32 v58, 0x80000000, v58
	s_delay_alu instid0(VALU_DEP_1)
	v_or3_b32 v58, v43, v58, v57
	v_mov_b32_e32 v57, v44
.LBB229_62:                             ;   in Loop: Header=BB229_13 Depth=1
	s_or_b32 exec_lo, exec_lo, s40
.LBB229_63:                             ;   in Loop: Header=BB229_13 Depth=1
	s_delay_alu instid0(SALU_CYCLE_1)
	s_or_b32 exec_lo, exec_lo, s54
.LBB229_64:                             ;   in Loop: Header=BB229_13 Depth=1
	s_delay_alu instid0(SALU_CYCLE_1)
	s_or_b32 exec_lo, exec_lo, s53
	global_load_u16 v43, v[61:62], off offset:12
	v_mov_b32_e32 v63, 0
	s_waitcnt vmcnt(0)
	v_dual_mov_b32 v64, 0 :: v_dual_and_b32 v65, 0xff, v43
	v_and_b32_e32 v67, 0xffff, v43
	s_delay_alu instid0(VALU_DEP_2) | instskip(NEXT) | instid1(VALU_DEP_3)
	v_cmp_ne_u16_e64 s1, 0, v65
	v_dual_mov_b32 v66, v64 :: v_dual_mov_b32 v65, v63
	s_delay_alu instid0(VALU_DEP_2)
	s_and_saveexec_b32 s40, s1
	s_cbranch_execz .LBB229_72
; %bb.65:                               ;   in Loop: Header=BB229_13 Depth=1
	v_bfrev_b32_e32 v65, 1
	v_dual_mov_b32 v66, 0 :: v_dual_and_b32 v43, 0xff, v67
	s_mov_b32 s53, exec_lo
	s_delay_alu instid0(VALU_DEP_1)
	v_cmpx_ne_u16_e32 0x80, v43
	s_cbranch_execz .LBB229_71
; %bb.66:                               ;   in Loop: Header=BB229_13 Depth=1
	v_mov_b32_e32 v65, 0x7f800001
	v_and_b32_e32 v68, 0x7f, v67
	v_mov_b32_e32 v66, 0
	s_mov_b32 s54, exec_lo
	s_delay_alu instid0(VALU_DEP_2)
	v_cmpx_ne_u32_e32 0x7f, v68
	s_cbranch_execz .LBB229_70
; %bb.67:                               ;   in Loop: Header=BB229_13 Depth=1
	v_and_b32_e32 v43, 7, v67
	v_lshrrev_b32_e32 v65, 3, v68
	s_mov_b32 s55, exec_lo
	v_cmpx_gt_u32_e32 8, v68
; %bb.68:                               ;   in Loop: Header=BB229_13 Depth=1
	s_delay_alu instid0(VALU_DEP_3) | instskip(NEXT) | instid1(VALU_DEP_1)
	v_clz_i32_u32_e32 v65, v43
	v_min_u32_e32 v65, 32, v65
	s_delay_alu instid0(VALU_DEP_1) | instskip(SKIP_1) | instid1(VALU_DEP_2)
	v_subrev_nc_u32_e32 v66, 28, v65
	v_sub_nc_u32_e32 v65, 29, v65
	v_lshlrev_b64 v[68:69], v66, v[43:44]
	s_delay_alu instid0(VALU_DEP_1)
	v_and_b32_e32 v43, 7, v68
; %bb.69:                               ;   in Loop: Header=BB229_13 Depth=1
	s_or_b32 exec_lo, exec_lo, s55
	v_lshlrev_b32_e32 v66, 24, v67
	s_delay_alu instid0(VALU_DEP_2) | instskip(SKIP_1) | instid1(VALU_DEP_3)
	v_lshlrev_b32_e32 v43, 20, v43
	v_lshl_add_u32 v65, v65, 23, 0x3c000000
	v_and_b32_e32 v66, 0x80000000, v66
	s_delay_alu instid0(VALU_DEP_1) | instskip(NEXT) | instid1(VALU_DEP_1)
	v_or3_b32 v43, v43, v66, v65
	v_dual_mov_b32 v66, v44 :: v_dual_mov_b32 v65, v43
.LBB229_70:                             ;   in Loop: Header=BB229_13 Depth=1
	s_or_b32 exec_lo, exec_lo, s54
.LBB229_71:                             ;   in Loop: Header=BB229_13 Depth=1
	s_delay_alu instid0(SALU_CYCLE_1)
	s_or_b32 exec_lo, exec_lo, s53
.LBB229_72:                             ;   in Loop: Header=BB229_13 Depth=1
	s_delay_alu instid0(SALU_CYCLE_1) | instskip(SKIP_2) | instid1(VALU_DEP_1)
	s_or_b32 exec_lo, exec_lo, s40
	v_lshrrev_b16 v43, 8, v67
	s_mov_b32 s53, exec_lo
	v_cmpx_ne_u16_e32 0, v43
	s_cbranch_execz .LBB229_80
; %bb.73:                               ;   in Loop: Header=BB229_13 Depth=1
	v_dual_mov_b32 v64, s11 :: v_dual_mov_b32 v63, s10
	s_mov_b32 s54, exec_lo
	v_cmpx_ne_u16_e32 0x80, v43
	s_cbranch_execz .LBB229_79
; %bb.74:                               ;   in Loop: Header=BB229_13 Depth=1
	s_mov_b32 s40, s10
	v_dual_mov_b32 v64, s41 :: v_dual_and_b32 v43, 0xffff, v43
	v_mov_b32_e32 v63, s40
	s_mov_b32 s40, exec_lo
	s_delay_alu instid0(VALU_DEP_2) | instskip(NEXT) | instid1(VALU_DEP_1)
	v_and_b32_e32 v68, 0x7f, v43
	v_cmpx_ne_u32_e32 0x7f, v68
	s_cbranch_execz .LBB229_78
; %bb.75:                               ;   in Loop: Header=BB229_13 Depth=1
	v_and_b32_e32 v43, 7, v43
	v_lshrrev_b32_e32 v63, 3, v68
	s_mov_b32 s55, exec_lo
	v_cmpx_gt_u32_e32 8, v68
; %bb.76:                               ;   in Loop: Header=BB229_13 Depth=1
	s_delay_alu instid0(VALU_DEP_3) | instskip(NEXT) | instid1(VALU_DEP_1)
	v_clz_i32_u32_e32 v63, v43
	v_min_u32_e32 v63, 32, v63
	s_delay_alu instid0(VALU_DEP_1) | instskip(SKIP_1) | instid1(VALU_DEP_2)
	v_subrev_nc_u32_e32 v64, 28, v63
	v_sub_nc_u32_e32 v63, 29, v63
	v_lshlrev_b64 v[68:69], v64, v[43:44]
	s_delay_alu instid0(VALU_DEP_1)
	v_and_b32_e32 v43, 7, v68
; %bb.77:                               ;   in Loop: Header=BB229_13 Depth=1
	s_or_b32 exec_lo, exec_lo, s55
	v_lshlrev_b32_e32 v64, 16, v67
	s_delay_alu instid0(VALU_DEP_2) | instskip(SKIP_1) | instid1(VALU_DEP_3)
	v_lshlrev_b32_e32 v43, 20, v43
	v_lshl_add_u32 v63, v63, 23, 0x3c000000
	v_and_b32_e32 v64, 0x80000000, v64
	s_delay_alu instid0(VALU_DEP_1)
	v_or3_b32 v64, v43, v64, v63
	v_mov_b32_e32 v63, v44
.LBB229_78:                             ;   in Loop: Header=BB229_13 Depth=1
	s_or_b32 exec_lo, exec_lo, s40
.LBB229_79:                             ;   in Loop: Header=BB229_13 Depth=1
	s_delay_alu instid0(SALU_CYCLE_1)
	s_or_b32 exec_lo, exec_lo, s54
.LBB229_80:                             ;   in Loop: Header=BB229_13 Depth=1
	s_delay_alu instid0(SALU_CYCLE_1)
	s_or_b32 exec_lo, exec_lo, s53
	global_load_u16 v43, v[61:62], off offset:256
	v_mov_b32_e32 v67, 0
	s_waitcnt vmcnt(0)
	v_dual_mov_b32 v68, 0 :: v_dual_and_b32 v69, 0xff, v43
	v_and_b32_e32 v71, 0xffff, v43
	s_delay_alu instid0(VALU_DEP_2) | instskip(NEXT) | instid1(VALU_DEP_3)
	v_cmp_ne_u16_e64 s1, 0, v69
	v_dual_mov_b32 v70, v68 :: v_dual_mov_b32 v69, v67
	s_delay_alu instid0(VALU_DEP_2)
	s_and_saveexec_b32 s40, s1
	s_cbranch_execz .LBB229_88
; %bb.81:                               ;   in Loop: Header=BB229_13 Depth=1
	v_bfrev_b32_e32 v69, 1
	v_dual_mov_b32 v70, 0 :: v_dual_and_b32 v43, 0xff, v71
	s_mov_b32 s53, exec_lo
	s_delay_alu instid0(VALU_DEP_1)
	v_cmpx_ne_u16_e32 0x80, v43
	s_cbranch_execz .LBB229_87
; %bb.82:                               ;   in Loop: Header=BB229_13 Depth=1
	v_mov_b32_e32 v69, 0x7f800001
	v_and_b32_e32 v72, 0x7f, v71
	v_mov_b32_e32 v70, 0
	s_mov_b32 s54, exec_lo
	s_delay_alu instid0(VALU_DEP_2)
	v_cmpx_ne_u32_e32 0x7f, v72
	s_cbranch_execz .LBB229_86
; %bb.83:                               ;   in Loop: Header=BB229_13 Depth=1
	v_and_b32_e32 v43, 7, v71
	v_lshrrev_b32_e32 v69, 3, v72
	s_mov_b32 s55, exec_lo
	v_cmpx_gt_u32_e32 8, v72
; %bb.84:                               ;   in Loop: Header=BB229_13 Depth=1
	s_delay_alu instid0(VALU_DEP_3) | instskip(NEXT) | instid1(VALU_DEP_1)
	v_clz_i32_u32_e32 v69, v43
	v_min_u32_e32 v69, 32, v69
	s_delay_alu instid0(VALU_DEP_1) | instskip(SKIP_1) | instid1(VALU_DEP_2)
	v_subrev_nc_u32_e32 v70, 28, v69
	v_sub_nc_u32_e32 v69, 29, v69
	v_lshlrev_b64 v[72:73], v70, v[43:44]
	s_delay_alu instid0(VALU_DEP_1)
	v_and_b32_e32 v43, 7, v72
; %bb.85:                               ;   in Loop: Header=BB229_13 Depth=1
	s_or_b32 exec_lo, exec_lo, s55
	v_lshlrev_b32_e32 v70, 24, v71
	s_delay_alu instid0(VALU_DEP_2) | instskip(SKIP_1) | instid1(VALU_DEP_3)
	v_lshlrev_b32_e32 v43, 20, v43
	v_lshl_add_u32 v69, v69, 23, 0x3c000000
	v_and_b32_e32 v70, 0x80000000, v70
	s_delay_alu instid0(VALU_DEP_1) | instskip(NEXT) | instid1(VALU_DEP_1)
	v_or3_b32 v43, v43, v70, v69
	v_dual_mov_b32 v70, v44 :: v_dual_mov_b32 v69, v43
.LBB229_86:                             ;   in Loop: Header=BB229_13 Depth=1
	s_or_b32 exec_lo, exec_lo, s54
.LBB229_87:                             ;   in Loop: Header=BB229_13 Depth=1
	s_delay_alu instid0(SALU_CYCLE_1)
	s_or_b32 exec_lo, exec_lo, s53
.LBB229_88:                             ;   in Loop: Header=BB229_13 Depth=1
	s_delay_alu instid0(SALU_CYCLE_1) | instskip(SKIP_2) | instid1(VALU_DEP_1)
	s_or_b32 exec_lo, exec_lo, s40
	v_lshrrev_b16 v43, 8, v71
	s_mov_b32 s53, exec_lo
	v_cmpx_ne_u16_e32 0, v43
	s_cbranch_execz .LBB229_96
; %bb.89:                               ;   in Loop: Header=BB229_13 Depth=1
	v_dual_mov_b32 v68, s11 :: v_dual_mov_b32 v67, s10
	s_mov_b32 s54, exec_lo
	v_cmpx_ne_u16_e32 0x80, v43
	s_cbranch_execz .LBB229_95
; %bb.90:                               ;   in Loop: Header=BB229_13 Depth=1
	s_mov_b32 s40, s10
	v_dual_mov_b32 v68, s41 :: v_dual_and_b32 v43, 0xffff, v43
	v_mov_b32_e32 v67, s40
	s_mov_b32 s40, exec_lo
	s_delay_alu instid0(VALU_DEP_2) | instskip(NEXT) | instid1(VALU_DEP_1)
	v_and_b32_e32 v72, 0x7f, v43
	v_cmpx_ne_u32_e32 0x7f, v72
	s_cbranch_execz .LBB229_94
; %bb.91:                               ;   in Loop: Header=BB229_13 Depth=1
	v_and_b32_e32 v43, 7, v43
	v_lshrrev_b32_e32 v67, 3, v72
	s_mov_b32 s55, exec_lo
	v_cmpx_gt_u32_e32 8, v72
; %bb.92:                               ;   in Loop: Header=BB229_13 Depth=1
	s_delay_alu instid0(VALU_DEP_3) | instskip(NEXT) | instid1(VALU_DEP_1)
	v_clz_i32_u32_e32 v67, v43
	v_min_u32_e32 v67, 32, v67
	s_delay_alu instid0(VALU_DEP_1) | instskip(SKIP_1) | instid1(VALU_DEP_2)
	v_subrev_nc_u32_e32 v68, 28, v67
	v_sub_nc_u32_e32 v67, 29, v67
	v_lshlrev_b64 v[72:73], v68, v[43:44]
	s_delay_alu instid0(VALU_DEP_1)
	v_and_b32_e32 v43, 7, v72
; %bb.93:                               ;   in Loop: Header=BB229_13 Depth=1
	s_or_b32 exec_lo, exec_lo, s55
	v_lshlrev_b32_e32 v68, 16, v71
	s_delay_alu instid0(VALU_DEP_2) | instskip(SKIP_1) | instid1(VALU_DEP_3)
	v_lshlrev_b32_e32 v43, 20, v43
	v_lshl_add_u32 v67, v67, 23, 0x3c000000
	v_and_b32_e32 v68, 0x80000000, v68
	s_delay_alu instid0(VALU_DEP_1)
	v_or3_b32 v68, v43, v68, v67
	v_mov_b32_e32 v67, v44
.LBB229_94:                             ;   in Loop: Header=BB229_13 Depth=1
	s_or_b32 exec_lo, exec_lo, s40
.LBB229_95:                             ;   in Loop: Header=BB229_13 Depth=1
	s_delay_alu instid0(SALU_CYCLE_1)
	s_or_b32 exec_lo, exec_lo, s54
.LBB229_96:                             ;   in Loop: Header=BB229_13 Depth=1
	s_delay_alu instid0(SALU_CYCLE_1)
	s_or_b32 exec_lo, exec_lo, s53
	global_load_u16 v43, v[61:62], off offset:260
	v_mov_b32_e32 v71, 0
	s_waitcnt vmcnt(0)
	v_dual_mov_b32 v72, 0 :: v_dual_and_b32 v73, 0xff, v43
	v_and_b32_e32 v75, 0xffff, v43
	s_delay_alu instid0(VALU_DEP_2) | instskip(NEXT) | instid1(VALU_DEP_3)
	v_cmp_ne_u16_e64 s1, 0, v73
	v_dual_mov_b32 v74, v72 :: v_dual_mov_b32 v73, v71
	s_delay_alu instid0(VALU_DEP_2)
	s_and_saveexec_b32 s40, s1
	s_cbranch_execz .LBB229_104
; %bb.97:                               ;   in Loop: Header=BB229_13 Depth=1
	v_bfrev_b32_e32 v73, 1
	v_dual_mov_b32 v74, 0 :: v_dual_and_b32 v43, 0xff, v75
	s_mov_b32 s53, exec_lo
	s_delay_alu instid0(VALU_DEP_1)
	v_cmpx_ne_u16_e32 0x80, v43
	s_cbranch_execz .LBB229_103
; %bb.98:                               ;   in Loop: Header=BB229_13 Depth=1
	v_mov_b32_e32 v73, 0x7f800001
	v_and_b32_e32 v76, 0x7f, v75
	v_mov_b32_e32 v74, 0
	s_mov_b32 s54, exec_lo
	s_delay_alu instid0(VALU_DEP_2)
	v_cmpx_ne_u32_e32 0x7f, v76
	s_cbranch_execz .LBB229_102
; %bb.99:                               ;   in Loop: Header=BB229_13 Depth=1
	v_and_b32_e32 v43, 7, v75
	v_lshrrev_b32_e32 v73, 3, v76
	s_mov_b32 s55, exec_lo
	v_cmpx_gt_u32_e32 8, v76
; %bb.100:                              ;   in Loop: Header=BB229_13 Depth=1
	s_delay_alu instid0(VALU_DEP_3) | instskip(NEXT) | instid1(VALU_DEP_1)
	v_clz_i32_u32_e32 v73, v43
	v_min_u32_e32 v73, 32, v73
	s_delay_alu instid0(VALU_DEP_1) | instskip(SKIP_1) | instid1(VALU_DEP_2)
	v_subrev_nc_u32_e32 v74, 28, v73
	v_sub_nc_u32_e32 v73, 29, v73
	v_lshlrev_b64 v[76:77], v74, v[43:44]
	s_delay_alu instid0(VALU_DEP_1)
	v_and_b32_e32 v43, 7, v76
; %bb.101:                              ;   in Loop: Header=BB229_13 Depth=1
	s_or_b32 exec_lo, exec_lo, s55
	v_lshlrev_b32_e32 v74, 24, v75
	s_delay_alu instid0(VALU_DEP_2) | instskip(SKIP_1) | instid1(VALU_DEP_3)
	v_lshlrev_b32_e32 v43, 20, v43
	v_lshl_add_u32 v73, v73, 23, 0x3c000000
	v_and_b32_e32 v74, 0x80000000, v74
	s_delay_alu instid0(VALU_DEP_1) | instskip(NEXT) | instid1(VALU_DEP_1)
	v_or3_b32 v43, v43, v74, v73
	v_dual_mov_b32 v74, v44 :: v_dual_mov_b32 v73, v43
.LBB229_102:                            ;   in Loop: Header=BB229_13 Depth=1
	s_or_b32 exec_lo, exec_lo, s54
.LBB229_103:                            ;   in Loop: Header=BB229_13 Depth=1
	s_delay_alu instid0(SALU_CYCLE_1)
	s_or_b32 exec_lo, exec_lo, s53
.LBB229_104:                            ;   in Loop: Header=BB229_13 Depth=1
	s_delay_alu instid0(SALU_CYCLE_1) | instskip(SKIP_2) | instid1(VALU_DEP_1)
	s_or_b32 exec_lo, exec_lo, s40
	v_lshrrev_b16 v43, 8, v75
	s_mov_b32 s53, exec_lo
	v_cmpx_ne_u16_e32 0, v43
	s_cbranch_execz .LBB229_112
; %bb.105:                              ;   in Loop: Header=BB229_13 Depth=1
	v_dual_mov_b32 v72, s11 :: v_dual_mov_b32 v71, s10
	s_mov_b32 s54, exec_lo
	v_cmpx_ne_u16_e32 0x80, v43
	s_cbranch_execz .LBB229_111
; %bb.106:                              ;   in Loop: Header=BB229_13 Depth=1
	s_mov_b32 s40, s10
	v_dual_mov_b32 v72, s41 :: v_dual_and_b32 v43, 0xffff, v43
	v_mov_b32_e32 v71, s40
	s_mov_b32 s40, exec_lo
	s_delay_alu instid0(VALU_DEP_2) | instskip(NEXT) | instid1(VALU_DEP_1)
	v_and_b32_e32 v76, 0x7f, v43
	v_cmpx_ne_u32_e32 0x7f, v76
	s_cbranch_execz .LBB229_110
; %bb.107:                              ;   in Loop: Header=BB229_13 Depth=1
	v_and_b32_e32 v43, 7, v43
	v_lshrrev_b32_e32 v71, 3, v76
	s_mov_b32 s55, exec_lo
	v_cmpx_gt_u32_e32 8, v76
; %bb.108:                              ;   in Loop: Header=BB229_13 Depth=1
	s_delay_alu instid0(VALU_DEP_3) | instskip(NEXT) | instid1(VALU_DEP_1)
	v_clz_i32_u32_e32 v71, v43
	v_min_u32_e32 v71, 32, v71
	s_delay_alu instid0(VALU_DEP_1) | instskip(SKIP_1) | instid1(VALU_DEP_2)
	v_subrev_nc_u32_e32 v72, 28, v71
	v_sub_nc_u32_e32 v71, 29, v71
	v_lshlrev_b64 v[76:77], v72, v[43:44]
	s_delay_alu instid0(VALU_DEP_1)
	v_and_b32_e32 v43, 7, v76
; %bb.109:                              ;   in Loop: Header=BB229_13 Depth=1
	s_or_b32 exec_lo, exec_lo, s55
	v_lshlrev_b32_e32 v72, 16, v75
	s_delay_alu instid0(VALU_DEP_2) | instskip(SKIP_1) | instid1(VALU_DEP_3)
	v_lshlrev_b32_e32 v43, 20, v43
	v_lshl_add_u32 v71, v71, 23, 0x3c000000
	v_and_b32_e32 v72, 0x80000000, v72
	s_delay_alu instid0(VALU_DEP_1)
	v_or3_b32 v72, v43, v72, v71
	v_mov_b32_e32 v71, v44
.LBB229_110:                            ;   in Loop: Header=BB229_13 Depth=1
	s_or_b32 exec_lo, exec_lo, s40
.LBB229_111:                            ;   in Loop: Header=BB229_13 Depth=1
	s_delay_alu instid0(SALU_CYCLE_1)
	s_or_b32 exec_lo, exec_lo, s54
.LBB229_112:                            ;   in Loop: Header=BB229_13 Depth=1
	s_delay_alu instid0(SALU_CYCLE_1) | instskip(SKIP_1) | instid1(VALU_DEP_1)
	s_or_b32 exec_lo, exec_lo, s53
	v_add_co_u32 v79, s1, 0x100, v61
	v_add_co_ci_u32_e64 v80, s1, 0, v62, s1
	v_mov_b32_e32 v75, 0
	global_load_u16 v43, v[79:80], off offset:8
	s_waitcnt vmcnt(0)
	v_dual_mov_b32 v76, 0 :: v_dual_and_b32 v77, 0xff, v43
	v_and_b32_e32 v81, 0xffff, v43
	s_delay_alu instid0(VALU_DEP_2) | instskip(NEXT) | instid1(VALU_DEP_3)
	v_cmp_ne_u16_e64 s1, 0, v77
	v_dual_mov_b32 v78, v76 :: v_dual_mov_b32 v77, v75
	s_delay_alu instid0(VALU_DEP_2)
	s_and_saveexec_b32 s40, s1
	s_cbranch_execz .LBB229_120
; %bb.113:                              ;   in Loop: Header=BB229_13 Depth=1
	v_bfrev_b32_e32 v77, 1
	v_dual_mov_b32 v78, 0 :: v_dual_and_b32 v43, 0xff, v81
	s_mov_b32 s53, exec_lo
	s_delay_alu instid0(VALU_DEP_1)
	v_cmpx_ne_u16_e32 0x80, v43
	s_cbranch_execz .LBB229_119
; %bb.114:                              ;   in Loop: Header=BB229_13 Depth=1
	v_mov_b32_e32 v77, 0x7f800001
	v_and_b32_e32 v82, 0x7f, v81
	v_mov_b32_e32 v78, 0
	s_mov_b32 s54, exec_lo
	s_delay_alu instid0(VALU_DEP_2)
	v_cmpx_ne_u32_e32 0x7f, v82
	s_cbranch_execz .LBB229_118
; %bb.115:                              ;   in Loop: Header=BB229_13 Depth=1
	v_and_b32_e32 v43, 7, v81
	v_lshrrev_b32_e32 v77, 3, v82
	s_mov_b32 s55, exec_lo
	v_cmpx_gt_u32_e32 8, v82
; %bb.116:                              ;   in Loop: Header=BB229_13 Depth=1
	s_delay_alu instid0(VALU_DEP_3) | instskip(NEXT) | instid1(VALU_DEP_1)
	v_clz_i32_u32_e32 v77, v43
	v_min_u32_e32 v77, 32, v77
	s_delay_alu instid0(VALU_DEP_1) | instskip(SKIP_1) | instid1(VALU_DEP_2)
	v_subrev_nc_u32_e32 v78, 28, v77
	v_sub_nc_u32_e32 v77, 29, v77
	v_lshlrev_b64 v[82:83], v78, v[43:44]
	s_delay_alu instid0(VALU_DEP_1)
	v_and_b32_e32 v43, 7, v82
; %bb.117:                              ;   in Loop: Header=BB229_13 Depth=1
	s_or_b32 exec_lo, exec_lo, s55
	v_lshlrev_b32_e32 v78, 24, v81
	s_delay_alu instid0(VALU_DEP_2) | instskip(SKIP_1) | instid1(VALU_DEP_3)
	v_lshlrev_b32_e32 v43, 20, v43
	v_lshl_add_u32 v77, v77, 23, 0x3c000000
	v_and_b32_e32 v78, 0x80000000, v78
	s_delay_alu instid0(VALU_DEP_1) | instskip(NEXT) | instid1(VALU_DEP_1)
	v_or3_b32 v43, v43, v78, v77
	v_dual_mov_b32 v78, v44 :: v_dual_mov_b32 v77, v43
.LBB229_118:                            ;   in Loop: Header=BB229_13 Depth=1
	s_or_b32 exec_lo, exec_lo, s54
.LBB229_119:                            ;   in Loop: Header=BB229_13 Depth=1
	s_delay_alu instid0(SALU_CYCLE_1)
	s_or_b32 exec_lo, exec_lo, s53
.LBB229_120:                            ;   in Loop: Header=BB229_13 Depth=1
	s_delay_alu instid0(SALU_CYCLE_1) | instskip(SKIP_2) | instid1(VALU_DEP_1)
	s_or_b32 exec_lo, exec_lo, s40
	v_lshrrev_b16 v43, 8, v81
	s_mov_b32 s53, exec_lo
	v_cmpx_ne_u16_e32 0, v43
	s_cbranch_execz .LBB229_128
; %bb.121:                              ;   in Loop: Header=BB229_13 Depth=1
	v_dual_mov_b32 v76, s11 :: v_dual_mov_b32 v75, s10
	s_mov_b32 s54, exec_lo
	v_cmpx_ne_u16_e32 0x80, v43
	s_cbranch_execz .LBB229_127
; %bb.122:                              ;   in Loop: Header=BB229_13 Depth=1
	s_mov_b32 s40, s10
	v_dual_mov_b32 v76, s41 :: v_dual_and_b32 v43, 0xffff, v43
	v_mov_b32_e32 v75, s40
	s_mov_b32 s40, exec_lo
	s_delay_alu instid0(VALU_DEP_2) | instskip(NEXT) | instid1(VALU_DEP_1)
	v_and_b32_e32 v82, 0x7f, v43
	v_cmpx_ne_u32_e32 0x7f, v82
	s_cbranch_execz .LBB229_126
; %bb.123:                              ;   in Loop: Header=BB229_13 Depth=1
	v_and_b32_e32 v43, 7, v43
	v_lshrrev_b32_e32 v75, 3, v82
	s_mov_b32 s55, exec_lo
	v_cmpx_gt_u32_e32 8, v82
; %bb.124:                              ;   in Loop: Header=BB229_13 Depth=1
	s_delay_alu instid0(VALU_DEP_3) | instskip(NEXT) | instid1(VALU_DEP_1)
	v_clz_i32_u32_e32 v75, v43
	v_min_u32_e32 v75, 32, v75
	s_delay_alu instid0(VALU_DEP_1) | instskip(SKIP_1) | instid1(VALU_DEP_2)
	v_subrev_nc_u32_e32 v76, 28, v75
	v_sub_nc_u32_e32 v75, 29, v75
	v_lshlrev_b64 v[82:83], v76, v[43:44]
	s_delay_alu instid0(VALU_DEP_1)
	v_and_b32_e32 v43, 7, v82
; %bb.125:                              ;   in Loop: Header=BB229_13 Depth=1
	s_or_b32 exec_lo, exec_lo, s55
	v_lshlrev_b32_e32 v76, 16, v81
	s_delay_alu instid0(VALU_DEP_2) | instskip(SKIP_1) | instid1(VALU_DEP_3)
	v_lshlrev_b32_e32 v43, 20, v43
	v_lshl_add_u32 v75, v75, 23, 0x3c000000
	v_and_b32_e32 v76, 0x80000000, v76
	s_delay_alu instid0(VALU_DEP_1)
	v_or3_b32 v76, v43, v76, v75
	v_mov_b32_e32 v75, v44
.LBB229_126:                            ;   in Loop: Header=BB229_13 Depth=1
	s_or_b32 exec_lo, exec_lo, s40
.LBB229_127:                            ;   in Loop: Header=BB229_13 Depth=1
	s_delay_alu instid0(SALU_CYCLE_1)
	s_or_b32 exec_lo, exec_lo, s54
.LBB229_128:                            ;   in Loop: Header=BB229_13 Depth=1
	s_delay_alu instid0(SALU_CYCLE_1)
	s_or_b32 exec_lo, exec_lo, s53
	global_load_u16 v43, v[79:80], off offset:12
	v_mov_b32_e32 v79, 0
	s_waitcnt vmcnt(0)
	v_dual_mov_b32 v80, 0 :: v_dual_and_b32 v81, 0xff, v43
	v_and_b32_e32 v83, 0xffff, v43
	s_delay_alu instid0(VALU_DEP_2) | instskip(NEXT) | instid1(VALU_DEP_3)
	v_cmp_ne_u16_e64 s1, 0, v81
	v_dual_mov_b32 v82, v80 :: v_dual_mov_b32 v81, v79
	s_delay_alu instid0(VALU_DEP_2)
	s_and_saveexec_b32 s40, s1
	s_cbranch_execz .LBB229_136
; %bb.129:                              ;   in Loop: Header=BB229_13 Depth=1
	v_bfrev_b32_e32 v81, 1
	v_dual_mov_b32 v82, 0 :: v_dual_and_b32 v43, 0xff, v83
	s_mov_b32 s53, exec_lo
	s_delay_alu instid0(VALU_DEP_1)
	v_cmpx_ne_u16_e32 0x80, v43
	s_cbranch_execz .LBB229_135
; %bb.130:                              ;   in Loop: Header=BB229_13 Depth=1
	v_mov_b32_e32 v81, 0x7f800001
	v_and_b32_e32 v84, 0x7f, v83
	v_mov_b32_e32 v82, 0
	s_mov_b32 s54, exec_lo
	s_delay_alu instid0(VALU_DEP_2)
	v_cmpx_ne_u32_e32 0x7f, v84
	s_cbranch_execz .LBB229_134
; %bb.131:                              ;   in Loop: Header=BB229_13 Depth=1
	v_and_b32_e32 v43, 7, v83
	v_lshrrev_b32_e32 v81, 3, v84
	s_mov_b32 s55, exec_lo
	v_cmpx_gt_u32_e32 8, v84
; %bb.132:                              ;   in Loop: Header=BB229_13 Depth=1
	s_delay_alu instid0(VALU_DEP_3) | instskip(NEXT) | instid1(VALU_DEP_1)
	v_clz_i32_u32_e32 v81, v43
	v_min_u32_e32 v81, 32, v81
	s_delay_alu instid0(VALU_DEP_1) | instskip(SKIP_1) | instid1(VALU_DEP_2)
	v_subrev_nc_u32_e32 v82, 28, v81
	v_sub_nc_u32_e32 v81, 29, v81
	v_lshlrev_b64 v[84:85], v82, v[43:44]
	s_delay_alu instid0(VALU_DEP_1)
	v_and_b32_e32 v43, 7, v84
; %bb.133:                              ;   in Loop: Header=BB229_13 Depth=1
	s_or_b32 exec_lo, exec_lo, s55
	v_lshlrev_b32_e32 v82, 24, v83
	s_delay_alu instid0(VALU_DEP_2) | instskip(SKIP_1) | instid1(VALU_DEP_3)
	v_lshlrev_b32_e32 v43, 20, v43
	v_lshl_add_u32 v81, v81, 23, 0x3c000000
	v_and_b32_e32 v82, 0x80000000, v82
	s_delay_alu instid0(VALU_DEP_1) | instskip(NEXT) | instid1(VALU_DEP_1)
	v_or3_b32 v43, v43, v82, v81
	v_dual_mov_b32 v82, v44 :: v_dual_mov_b32 v81, v43
.LBB229_134:                            ;   in Loop: Header=BB229_13 Depth=1
	s_or_b32 exec_lo, exec_lo, s54
.LBB229_135:                            ;   in Loop: Header=BB229_13 Depth=1
	s_delay_alu instid0(SALU_CYCLE_1)
	s_or_b32 exec_lo, exec_lo, s53
.LBB229_136:                            ;   in Loop: Header=BB229_13 Depth=1
	s_delay_alu instid0(SALU_CYCLE_1) | instskip(SKIP_2) | instid1(VALU_DEP_1)
	s_or_b32 exec_lo, exec_lo, s40
	v_lshrrev_b16 v43, 8, v83
	s_mov_b32 s53, exec_lo
	v_cmpx_ne_u16_e32 0, v43
	s_cbranch_execz .LBB229_144
; %bb.137:                              ;   in Loop: Header=BB229_13 Depth=1
	v_dual_mov_b32 v80, s11 :: v_dual_mov_b32 v79, s10
	s_mov_b32 s54, exec_lo
	v_cmpx_ne_u16_e32 0x80, v43
	s_cbranch_execz .LBB229_143
; %bb.138:                              ;   in Loop: Header=BB229_13 Depth=1
	s_mov_b32 s40, s10
	v_dual_mov_b32 v80, s41 :: v_dual_and_b32 v43, 0xffff, v43
	v_mov_b32_e32 v79, s40
	s_mov_b32 s40, exec_lo
	s_delay_alu instid0(VALU_DEP_2) | instskip(NEXT) | instid1(VALU_DEP_1)
	v_and_b32_e32 v84, 0x7f, v43
	v_cmpx_ne_u32_e32 0x7f, v84
	s_cbranch_execz .LBB229_142
; %bb.139:                              ;   in Loop: Header=BB229_13 Depth=1
	v_and_b32_e32 v43, 7, v43
	v_lshrrev_b32_e32 v79, 3, v84
	s_mov_b32 s55, exec_lo
	v_cmpx_gt_u32_e32 8, v84
; %bb.140:                              ;   in Loop: Header=BB229_13 Depth=1
	s_delay_alu instid0(VALU_DEP_3) | instskip(NEXT) | instid1(VALU_DEP_1)
	v_clz_i32_u32_e32 v79, v43
	v_min_u32_e32 v79, 32, v79
	s_delay_alu instid0(VALU_DEP_1) | instskip(SKIP_1) | instid1(VALU_DEP_2)
	v_subrev_nc_u32_e32 v80, 28, v79
	v_sub_nc_u32_e32 v79, 29, v79
	v_lshlrev_b64 v[84:85], v80, v[43:44]
	s_delay_alu instid0(VALU_DEP_1)
	v_and_b32_e32 v43, 7, v84
; %bb.141:                              ;   in Loop: Header=BB229_13 Depth=1
	s_or_b32 exec_lo, exec_lo, s55
	v_lshlrev_b32_e32 v80, 16, v83
	s_delay_alu instid0(VALU_DEP_2) | instskip(SKIP_1) | instid1(VALU_DEP_3)
	v_lshlrev_b32_e32 v43, 20, v43
	v_lshl_add_u32 v79, v79, 23, 0x3c000000
	v_and_b32_e32 v80, 0x80000000, v80
	s_delay_alu instid0(VALU_DEP_1)
	v_or3_b32 v80, v43, v80, v79
	v_mov_b32_e32 v79, v44
.LBB229_142:                            ;   in Loop: Header=BB229_13 Depth=1
	s_or_b32 exec_lo, exec_lo, s40
.LBB229_143:                            ;   in Loop: Header=BB229_13 Depth=1
	s_delay_alu instid0(SALU_CYCLE_1)
	s_or_b32 exec_lo, exec_lo, s54
.LBB229_144:                            ;   in Loop: Header=BB229_13 Depth=1
	s_delay_alu instid0(SALU_CYCLE_1)
	s_or_b32 exec_lo, exec_lo, s53
	global_load_u16 v43, v[61:62], off offset:512
	v_mov_b32_e32 v83, 0
	s_waitcnt vmcnt(0)
	v_dual_mov_b32 v84, 0 :: v_dual_and_b32 v85, 0xff, v43
	v_and_b32_e32 v87, 0xffff, v43
	s_delay_alu instid0(VALU_DEP_2) | instskip(NEXT) | instid1(VALU_DEP_3)
	v_cmp_ne_u16_e64 s1, 0, v85
	v_dual_mov_b32 v86, v84 :: v_dual_mov_b32 v85, v83
	s_delay_alu instid0(VALU_DEP_2)
	s_and_saveexec_b32 s40, s1
	s_cbranch_execz .LBB229_152
; %bb.145:                              ;   in Loop: Header=BB229_13 Depth=1
	v_bfrev_b32_e32 v85, 1
	v_dual_mov_b32 v86, 0 :: v_dual_and_b32 v43, 0xff, v87
	s_mov_b32 s53, exec_lo
	s_delay_alu instid0(VALU_DEP_1)
	v_cmpx_ne_u16_e32 0x80, v43
	s_cbranch_execz .LBB229_151
; %bb.146:                              ;   in Loop: Header=BB229_13 Depth=1
	v_mov_b32_e32 v85, 0x7f800001
	v_and_b32_e32 v88, 0x7f, v87
	v_mov_b32_e32 v86, 0
	s_mov_b32 s54, exec_lo
	s_delay_alu instid0(VALU_DEP_2)
	v_cmpx_ne_u32_e32 0x7f, v88
	s_cbranch_execz .LBB229_150
; %bb.147:                              ;   in Loop: Header=BB229_13 Depth=1
	v_and_b32_e32 v43, 7, v87
	v_lshrrev_b32_e32 v85, 3, v88
	s_mov_b32 s55, exec_lo
	v_cmpx_gt_u32_e32 8, v88
; %bb.148:                              ;   in Loop: Header=BB229_13 Depth=1
	s_delay_alu instid0(VALU_DEP_3) | instskip(NEXT) | instid1(VALU_DEP_1)
	v_clz_i32_u32_e32 v85, v43
	v_min_u32_e32 v85, 32, v85
	s_delay_alu instid0(VALU_DEP_1) | instskip(SKIP_1) | instid1(VALU_DEP_2)
	v_subrev_nc_u32_e32 v86, 28, v85
	v_sub_nc_u32_e32 v85, 29, v85
	v_lshlrev_b64 v[88:89], v86, v[43:44]
	s_delay_alu instid0(VALU_DEP_1)
	v_and_b32_e32 v43, 7, v88
; %bb.149:                              ;   in Loop: Header=BB229_13 Depth=1
	s_or_b32 exec_lo, exec_lo, s55
	v_lshlrev_b32_e32 v86, 24, v87
	s_delay_alu instid0(VALU_DEP_2) | instskip(SKIP_1) | instid1(VALU_DEP_3)
	v_lshlrev_b32_e32 v43, 20, v43
	v_lshl_add_u32 v85, v85, 23, 0x3c000000
	v_and_b32_e32 v86, 0x80000000, v86
	s_delay_alu instid0(VALU_DEP_1) | instskip(NEXT) | instid1(VALU_DEP_1)
	v_or3_b32 v43, v43, v86, v85
	v_dual_mov_b32 v86, v44 :: v_dual_mov_b32 v85, v43
.LBB229_150:                            ;   in Loop: Header=BB229_13 Depth=1
	s_or_b32 exec_lo, exec_lo, s54
.LBB229_151:                            ;   in Loop: Header=BB229_13 Depth=1
	s_delay_alu instid0(SALU_CYCLE_1)
	s_or_b32 exec_lo, exec_lo, s53
.LBB229_152:                            ;   in Loop: Header=BB229_13 Depth=1
	s_delay_alu instid0(SALU_CYCLE_1) | instskip(SKIP_2) | instid1(VALU_DEP_1)
	s_or_b32 exec_lo, exec_lo, s40
	v_lshrrev_b16 v43, 8, v87
	s_mov_b32 s53, exec_lo
	v_cmpx_ne_u16_e32 0, v43
	s_cbranch_execz .LBB229_160
; %bb.153:                              ;   in Loop: Header=BB229_13 Depth=1
	v_dual_mov_b32 v84, s11 :: v_dual_mov_b32 v83, s10
	s_mov_b32 s54, exec_lo
	v_cmpx_ne_u16_e32 0x80, v43
	s_cbranch_execz .LBB229_159
; %bb.154:                              ;   in Loop: Header=BB229_13 Depth=1
	s_mov_b32 s40, s10
	v_dual_mov_b32 v84, s41 :: v_dual_and_b32 v43, 0xffff, v43
	v_mov_b32_e32 v83, s40
	s_mov_b32 s40, exec_lo
	s_delay_alu instid0(VALU_DEP_2) | instskip(NEXT) | instid1(VALU_DEP_1)
	v_and_b32_e32 v88, 0x7f, v43
	v_cmpx_ne_u32_e32 0x7f, v88
	s_cbranch_execz .LBB229_158
; %bb.155:                              ;   in Loop: Header=BB229_13 Depth=1
	v_and_b32_e32 v43, 7, v43
	v_lshrrev_b32_e32 v83, 3, v88
	s_mov_b32 s55, exec_lo
	v_cmpx_gt_u32_e32 8, v88
; %bb.156:                              ;   in Loop: Header=BB229_13 Depth=1
	s_delay_alu instid0(VALU_DEP_3) | instskip(NEXT) | instid1(VALU_DEP_1)
	v_clz_i32_u32_e32 v83, v43
	v_min_u32_e32 v83, 32, v83
	s_delay_alu instid0(VALU_DEP_1) | instskip(SKIP_1) | instid1(VALU_DEP_2)
	v_subrev_nc_u32_e32 v84, 28, v83
	v_sub_nc_u32_e32 v83, 29, v83
	v_lshlrev_b64 v[88:89], v84, v[43:44]
	s_delay_alu instid0(VALU_DEP_1)
	v_and_b32_e32 v43, 7, v88
; %bb.157:                              ;   in Loop: Header=BB229_13 Depth=1
	s_or_b32 exec_lo, exec_lo, s55
	v_lshlrev_b32_e32 v84, 16, v87
	s_delay_alu instid0(VALU_DEP_2) | instskip(SKIP_1) | instid1(VALU_DEP_3)
	v_lshlrev_b32_e32 v43, 20, v43
	v_lshl_add_u32 v83, v83, 23, 0x3c000000
	v_and_b32_e32 v84, 0x80000000, v84
	s_delay_alu instid0(VALU_DEP_1)
	v_or3_b32 v84, v43, v84, v83
	v_mov_b32_e32 v83, v44
.LBB229_158:                            ;   in Loop: Header=BB229_13 Depth=1
	s_or_b32 exec_lo, exec_lo, s40
.LBB229_159:                            ;   in Loop: Header=BB229_13 Depth=1
	s_delay_alu instid0(SALU_CYCLE_1)
	s_or_b32 exec_lo, exec_lo, s54
.LBB229_160:                            ;   in Loop: Header=BB229_13 Depth=1
	s_delay_alu instid0(SALU_CYCLE_1)
	s_or_b32 exec_lo, exec_lo, s53
	global_load_u16 v43, v[61:62], off offset:516
	v_mov_b32_e32 v87, 0
	s_waitcnt vmcnt(0)
	v_dual_mov_b32 v88, 0 :: v_dual_and_b32 v89, 0xff, v43
	v_and_b32_e32 v91, 0xffff, v43
	s_delay_alu instid0(VALU_DEP_2) | instskip(NEXT) | instid1(VALU_DEP_3)
	v_cmp_ne_u16_e64 s1, 0, v89
	v_dual_mov_b32 v90, v88 :: v_dual_mov_b32 v89, v87
	s_delay_alu instid0(VALU_DEP_2)
	s_and_saveexec_b32 s40, s1
	s_cbranch_execz .LBB229_168
; %bb.161:                              ;   in Loop: Header=BB229_13 Depth=1
	v_bfrev_b32_e32 v89, 1
	v_dual_mov_b32 v90, 0 :: v_dual_and_b32 v43, 0xff, v91
	s_mov_b32 s53, exec_lo
	s_delay_alu instid0(VALU_DEP_1)
	v_cmpx_ne_u16_e32 0x80, v43
	s_cbranch_execz .LBB229_167
; %bb.162:                              ;   in Loop: Header=BB229_13 Depth=1
	v_mov_b32_e32 v89, 0x7f800001
	v_and_b32_e32 v92, 0x7f, v91
	v_mov_b32_e32 v90, 0
	s_mov_b32 s54, exec_lo
	s_delay_alu instid0(VALU_DEP_2)
	v_cmpx_ne_u32_e32 0x7f, v92
	s_cbranch_execz .LBB229_166
; %bb.163:                              ;   in Loop: Header=BB229_13 Depth=1
	v_and_b32_e32 v43, 7, v91
	v_lshrrev_b32_e32 v89, 3, v92
	s_mov_b32 s55, exec_lo
	v_cmpx_gt_u32_e32 8, v92
; %bb.164:                              ;   in Loop: Header=BB229_13 Depth=1
	s_delay_alu instid0(VALU_DEP_3) | instskip(NEXT) | instid1(VALU_DEP_1)
	v_clz_i32_u32_e32 v89, v43
	v_min_u32_e32 v89, 32, v89
	s_delay_alu instid0(VALU_DEP_1) | instskip(SKIP_1) | instid1(VALU_DEP_2)
	v_subrev_nc_u32_e32 v90, 28, v89
	v_sub_nc_u32_e32 v89, 29, v89
	v_lshlrev_b64 v[92:93], v90, v[43:44]
	s_delay_alu instid0(VALU_DEP_1)
	v_and_b32_e32 v43, 7, v92
; %bb.165:                              ;   in Loop: Header=BB229_13 Depth=1
	s_or_b32 exec_lo, exec_lo, s55
	v_lshlrev_b32_e32 v90, 24, v91
	s_delay_alu instid0(VALU_DEP_2) | instskip(SKIP_1) | instid1(VALU_DEP_3)
	v_lshlrev_b32_e32 v43, 20, v43
	v_lshl_add_u32 v89, v89, 23, 0x3c000000
	v_and_b32_e32 v90, 0x80000000, v90
	s_delay_alu instid0(VALU_DEP_1) | instskip(NEXT) | instid1(VALU_DEP_1)
	v_or3_b32 v43, v43, v90, v89
	v_dual_mov_b32 v90, v44 :: v_dual_mov_b32 v89, v43
.LBB229_166:                            ;   in Loop: Header=BB229_13 Depth=1
	s_or_b32 exec_lo, exec_lo, s54
.LBB229_167:                            ;   in Loop: Header=BB229_13 Depth=1
	s_delay_alu instid0(SALU_CYCLE_1)
	s_or_b32 exec_lo, exec_lo, s53
.LBB229_168:                            ;   in Loop: Header=BB229_13 Depth=1
	s_delay_alu instid0(SALU_CYCLE_1) | instskip(SKIP_2) | instid1(VALU_DEP_1)
	s_or_b32 exec_lo, exec_lo, s40
	v_lshrrev_b16 v43, 8, v91
	s_mov_b32 s53, exec_lo
	v_cmpx_ne_u16_e32 0, v43
	s_cbranch_execz .LBB229_176
; %bb.169:                              ;   in Loop: Header=BB229_13 Depth=1
	v_dual_mov_b32 v88, s11 :: v_dual_mov_b32 v87, s10
	s_mov_b32 s54, exec_lo
	v_cmpx_ne_u16_e32 0x80, v43
	s_cbranch_execz .LBB229_175
; %bb.170:                              ;   in Loop: Header=BB229_13 Depth=1
	s_mov_b32 s40, s10
	v_dual_mov_b32 v88, s41 :: v_dual_and_b32 v43, 0xffff, v43
	v_mov_b32_e32 v87, s40
	s_mov_b32 s40, exec_lo
	s_delay_alu instid0(VALU_DEP_2) | instskip(NEXT) | instid1(VALU_DEP_1)
	v_and_b32_e32 v92, 0x7f, v43
	v_cmpx_ne_u32_e32 0x7f, v92
	s_cbranch_execz .LBB229_174
; %bb.171:                              ;   in Loop: Header=BB229_13 Depth=1
	v_and_b32_e32 v43, 7, v43
	v_lshrrev_b32_e32 v87, 3, v92
	s_mov_b32 s55, exec_lo
	v_cmpx_gt_u32_e32 8, v92
; %bb.172:                              ;   in Loop: Header=BB229_13 Depth=1
	s_delay_alu instid0(VALU_DEP_3) | instskip(NEXT) | instid1(VALU_DEP_1)
	v_clz_i32_u32_e32 v87, v43
	v_min_u32_e32 v87, 32, v87
	s_delay_alu instid0(VALU_DEP_1) | instskip(SKIP_1) | instid1(VALU_DEP_2)
	v_subrev_nc_u32_e32 v88, 28, v87
	v_sub_nc_u32_e32 v87, 29, v87
	v_lshlrev_b64 v[92:93], v88, v[43:44]
	s_delay_alu instid0(VALU_DEP_1)
	v_and_b32_e32 v43, 7, v92
; %bb.173:                              ;   in Loop: Header=BB229_13 Depth=1
	s_or_b32 exec_lo, exec_lo, s55
	v_lshlrev_b32_e32 v88, 16, v91
	s_delay_alu instid0(VALU_DEP_2) | instskip(SKIP_1) | instid1(VALU_DEP_3)
	v_lshlrev_b32_e32 v43, 20, v43
	v_lshl_add_u32 v87, v87, 23, 0x3c000000
	v_and_b32_e32 v88, 0x80000000, v88
	s_delay_alu instid0(VALU_DEP_1)
	v_or3_b32 v88, v43, v88, v87
	v_mov_b32_e32 v87, v44
.LBB229_174:                            ;   in Loop: Header=BB229_13 Depth=1
	s_or_b32 exec_lo, exec_lo, s40
.LBB229_175:                            ;   in Loop: Header=BB229_13 Depth=1
	s_delay_alu instid0(SALU_CYCLE_1)
	s_or_b32 exec_lo, exec_lo, s54
.LBB229_176:                            ;   in Loop: Header=BB229_13 Depth=1
	s_delay_alu instid0(SALU_CYCLE_1) | instskip(SKIP_1) | instid1(VALU_DEP_1)
	s_or_b32 exec_lo, exec_lo, s53
	v_add_co_u32 v95, s1, 0x200, v61
	v_add_co_ci_u32_e64 v96, s1, 0, v62, s1
	v_mov_b32_e32 v91, 0
	global_load_u16 v43, v[95:96], off offset:8
	s_waitcnt vmcnt(0)
	v_dual_mov_b32 v92, 0 :: v_dual_and_b32 v93, 0xff, v43
	v_and_b32_e32 v97, 0xffff, v43
	s_delay_alu instid0(VALU_DEP_2) | instskip(NEXT) | instid1(VALU_DEP_3)
	v_cmp_ne_u16_e64 s1, 0, v93
	v_dual_mov_b32 v94, v92 :: v_dual_mov_b32 v93, v91
	s_delay_alu instid0(VALU_DEP_2)
	s_and_saveexec_b32 s40, s1
	s_cbranch_execz .LBB229_184
; %bb.177:                              ;   in Loop: Header=BB229_13 Depth=1
	v_bfrev_b32_e32 v93, 1
	v_dual_mov_b32 v94, 0 :: v_dual_and_b32 v43, 0xff, v97
	s_mov_b32 s53, exec_lo
	s_delay_alu instid0(VALU_DEP_1)
	v_cmpx_ne_u16_e32 0x80, v43
	s_cbranch_execz .LBB229_183
; %bb.178:                              ;   in Loop: Header=BB229_13 Depth=1
	v_mov_b32_e32 v93, 0x7f800001
	v_and_b32_e32 v98, 0x7f, v97
	v_mov_b32_e32 v94, 0
	s_mov_b32 s54, exec_lo
	s_delay_alu instid0(VALU_DEP_2)
	v_cmpx_ne_u32_e32 0x7f, v98
	s_cbranch_execz .LBB229_182
; %bb.179:                              ;   in Loop: Header=BB229_13 Depth=1
	v_and_b32_e32 v43, 7, v97
	v_lshrrev_b32_e32 v93, 3, v98
	s_mov_b32 s55, exec_lo
	v_cmpx_gt_u32_e32 8, v98
; %bb.180:                              ;   in Loop: Header=BB229_13 Depth=1
	s_delay_alu instid0(VALU_DEP_3) | instskip(NEXT) | instid1(VALU_DEP_1)
	v_clz_i32_u32_e32 v93, v43
	v_min_u32_e32 v93, 32, v93
	s_delay_alu instid0(VALU_DEP_1) | instskip(SKIP_1) | instid1(VALU_DEP_2)
	v_subrev_nc_u32_e32 v94, 28, v93
	v_sub_nc_u32_e32 v93, 29, v93
	v_lshlrev_b64 v[98:99], v94, v[43:44]
	s_delay_alu instid0(VALU_DEP_1)
	v_and_b32_e32 v43, 7, v98
; %bb.181:                              ;   in Loop: Header=BB229_13 Depth=1
	s_or_b32 exec_lo, exec_lo, s55
	v_lshlrev_b32_e32 v94, 24, v97
	s_delay_alu instid0(VALU_DEP_2) | instskip(SKIP_1) | instid1(VALU_DEP_3)
	v_lshlrev_b32_e32 v43, 20, v43
	v_lshl_add_u32 v93, v93, 23, 0x3c000000
	v_and_b32_e32 v94, 0x80000000, v94
	s_delay_alu instid0(VALU_DEP_1) | instskip(NEXT) | instid1(VALU_DEP_1)
	v_or3_b32 v43, v43, v94, v93
	v_dual_mov_b32 v94, v44 :: v_dual_mov_b32 v93, v43
.LBB229_182:                            ;   in Loop: Header=BB229_13 Depth=1
	s_or_b32 exec_lo, exec_lo, s54
.LBB229_183:                            ;   in Loop: Header=BB229_13 Depth=1
	s_delay_alu instid0(SALU_CYCLE_1)
	s_or_b32 exec_lo, exec_lo, s53
.LBB229_184:                            ;   in Loop: Header=BB229_13 Depth=1
	s_delay_alu instid0(SALU_CYCLE_1) | instskip(SKIP_2) | instid1(VALU_DEP_1)
	s_or_b32 exec_lo, exec_lo, s40
	v_lshrrev_b16 v43, 8, v97
	s_mov_b32 s53, exec_lo
	v_cmpx_ne_u16_e32 0, v43
	s_cbranch_execz .LBB229_192
; %bb.185:                              ;   in Loop: Header=BB229_13 Depth=1
	v_dual_mov_b32 v92, s11 :: v_dual_mov_b32 v91, s10
	s_mov_b32 s54, exec_lo
	v_cmpx_ne_u16_e32 0x80, v43
	s_cbranch_execz .LBB229_191
; %bb.186:                              ;   in Loop: Header=BB229_13 Depth=1
	s_mov_b32 s40, s10
	v_dual_mov_b32 v92, s41 :: v_dual_and_b32 v43, 0xffff, v43
	v_mov_b32_e32 v91, s40
	s_mov_b32 s40, exec_lo
	s_delay_alu instid0(VALU_DEP_2) | instskip(NEXT) | instid1(VALU_DEP_1)
	v_and_b32_e32 v98, 0x7f, v43
	v_cmpx_ne_u32_e32 0x7f, v98
	s_cbranch_execz .LBB229_190
; %bb.187:                              ;   in Loop: Header=BB229_13 Depth=1
	v_and_b32_e32 v43, 7, v43
	v_lshrrev_b32_e32 v91, 3, v98
	s_mov_b32 s55, exec_lo
	v_cmpx_gt_u32_e32 8, v98
; %bb.188:                              ;   in Loop: Header=BB229_13 Depth=1
	s_delay_alu instid0(VALU_DEP_3) | instskip(NEXT) | instid1(VALU_DEP_1)
	v_clz_i32_u32_e32 v91, v43
	v_min_u32_e32 v91, 32, v91
	s_delay_alu instid0(VALU_DEP_1) | instskip(SKIP_1) | instid1(VALU_DEP_2)
	v_subrev_nc_u32_e32 v92, 28, v91
	v_sub_nc_u32_e32 v91, 29, v91
	v_lshlrev_b64 v[98:99], v92, v[43:44]
	s_delay_alu instid0(VALU_DEP_1)
	v_and_b32_e32 v43, 7, v98
; %bb.189:                              ;   in Loop: Header=BB229_13 Depth=1
	s_or_b32 exec_lo, exec_lo, s55
	v_lshlrev_b32_e32 v92, 16, v97
	s_delay_alu instid0(VALU_DEP_2) | instskip(SKIP_1) | instid1(VALU_DEP_3)
	v_lshlrev_b32_e32 v43, 20, v43
	v_lshl_add_u32 v91, v91, 23, 0x3c000000
	v_and_b32_e32 v92, 0x80000000, v92
	s_delay_alu instid0(VALU_DEP_1)
	v_or3_b32 v92, v43, v92, v91
	v_mov_b32_e32 v91, v44
.LBB229_190:                            ;   in Loop: Header=BB229_13 Depth=1
	s_or_b32 exec_lo, exec_lo, s40
.LBB229_191:                            ;   in Loop: Header=BB229_13 Depth=1
	s_delay_alu instid0(SALU_CYCLE_1)
	s_or_b32 exec_lo, exec_lo, s54
.LBB229_192:                            ;   in Loop: Header=BB229_13 Depth=1
	s_delay_alu instid0(SALU_CYCLE_1)
	s_or_b32 exec_lo, exec_lo, s53
	global_load_u16 v43, v[95:96], off offset:12
	v_mov_b32_e32 v95, 0
	s_waitcnt vmcnt(0)
	v_dual_mov_b32 v96, 0 :: v_dual_and_b32 v97, 0xff, v43
	v_and_b32_e32 v99, 0xffff, v43
	s_delay_alu instid0(VALU_DEP_2) | instskip(NEXT) | instid1(VALU_DEP_3)
	v_cmp_ne_u16_e64 s1, 0, v97
	v_dual_mov_b32 v98, v96 :: v_dual_mov_b32 v97, v95
	s_delay_alu instid0(VALU_DEP_2)
	s_and_saveexec_b32 s40, s1
	s_cbranch_execz .LBB229_200
; %bb.193:                              ;   in Loop: Header=BB229_13 Depth=1
	v_bfrev_b32_e32 v97, 1
	v_dual_mov_b32 v98, 0 :: v_dual_and_b32 v43, 0xff, v99
	s_mov_b32 s53, exec_lo
	s_delay_alu instid0(VALU_DEP_1)
	v_cmpx_ne_u16_e32 0x80, v43
	s_cbranch_execz .LBB229_199
; %bb.194:                              ;   in Loop: Header=BB229_13 Depth=1
	v_mov_b32_e32 v97, 0x7f800001
	v_and_b32_e32 v100, 0x7f, v99
	v_mov_b32_e32 v98, 0
	s_mov_b32 s54, exec_lo
	s_delay_alu instid0(VALU_DEP_2)
	v_cmpx_ne_u32_e32 0x7f, v100
	s_cbranch_execz .LBB229_198
; %bb.195:                              ;   in Loop: Header=BB229_13 Depth=1
	v_and_b32_e32 v43, 7, v99
	v_lshrrev_b32_e32 v97, 3, v100
	s_mov_b32 s55, exec_lo
	v_cmpx_gt_u32_e32 8, v100
; %bb.196:                              ;   in Loop: Header=BB229_13 Depth=1
	s_delay_alu instid0(VALU_DEP_3) | instskip(NEXT) | instid1(VALU_DEP_1)
	v_clz_i32_u32_e32 v97, v43
	v_min_u32_e32 v97, 32, v97
	s_delay_alu instid0(VALU_DEP_1) | instskip(SKIP_1) | instid1(VALU_DEP_2)
	v_subrev_nc_u32_e32 v98, 28, v97
	v_sub_nc_u32_e32 v97, 29, v97
	v_lshlrev_b64 v[100:101], v98, v[43:44]
	s_delay_alu instid0(VALU_DEP_1)
	v_and_b32_e32 v43, 7, v100
; %bb.197:                              ;   in Loop: Header=BB229_13 Depth=1
	s_or_b32 exec_lo, exec_lo, s55
	v_lshlrev_b32_e32 v98, 24, v99
	s_delay_alu instid0(VALU_DEP_2) | instskip(SKIP_1) | instid1(VALU_DEP_3)
	v_lshlrev_b32_e32 v43, 20, v43
	v_lshl_add_u32 v97, v97, 23, 0x3c000000
	v_and_b32_e32 v98, 0x80000000, v98
	s_delay_alu instid0(VALU_DEP_1) | instskip(NEXT) | instid1(VALU_DEP_1)
	v_or3_b32 v43, v43, v98, v97
	v_dual_mov_b32 v98, v44 :: v_dual_mov_b32 v97, v43
.LBB229_198:                            ;   in Loop: Header=BB229_13 Depth=1
	s_or_b32 exec_lo, exec_lo, s54
.LBB229_199:                            ;   in Loop: Header=BB229_13 Depth=1
	s_delay_alu instid0(SALU_CYCLE_1)
	s_or_b32 exec_lo, exec_lo, s53
.LBB229_200:                            ;   in Loop: Header=BB229_13 Depth=1
	s_delay_alu instid0(SALU_CYCLE_1) | instskip(SKIP_2) | instid1(VALU_DEP_1)
	s_or_b32 exec_lo, exec_lo, s40
	v_lshrrev_b16 v43, 8, v99
	s_mov_b32 s53, exec_lo
	v_cmpx_ne_u16_e32 0, v43
	s_cbranch_execz .LBB229_208
; %bb.201:                              ;   in Loop: Header=BB229_13 Depth=1
	v_dual_mov_b32 v96, s11 :: v_dual_mov_b32 v95, s10
	s_mov_b32 s54, exec_lo
	v_cmpx_ne_u16_e32 0x80, v43
	s_cbranch_execz .LBB229_207
; %bb.202:                              ;   in Loop: Header=BB229_13 Depth=1
	s_mov_b32 s40, s10
	v_dual_mov_b32 v96, s41 :: v_dual_and_b32 v43, 0xffff, v43
	v_mov_b32_e32 v95, s40
	s_mov_b32 s40, exec_lo
	s_delay_alu instid0(VALU_DEP_2) | instskip(NEXT) | instid1(VALU_DEP_1)
	v_and_b32_e32 v100, 0x7f, v43
	v_cmpx_ne_u32_e32 0x7f, v100
	s_cbranch_execz .LBB229_206
; %bb.203:                              ;   in Loop: Header=BB229_13 Depth=1
	v_and_b32_e32 v43, 7, v43
	v_lshrrev_b32_e32 v95, 3, v100
	s_mov_b32 s55, exec_lo
	v_cmpx_gt_u32_e32 8, v100
; %bb.204:                              ;   in Loop: Header=BB229_13 Depth=1
	s_delay_alu instid0(VALU_DEP_3) | instskip(NEXT) | instid1(VALU_DEP_1)
	v_clz_i32_u32_e32 v95, v43
	v_min_u32_e32 v95, 32, v95
	s_delay_alu instid0(VALU_DEP_1) | instskip(SKIP_1) | instid1(VALU_DEP_2)
	v_subrev_nc_u32_e32 v96, 28, v95
	v_sub_nc_u32_e32 v95, 29, v95
	v_lshlrev_b64 v[100:101], v96, v[43:44]
	s_delay_alu instid0(VALU_DEP_1)
	v_and_b32_e32 v43, 7, v100
; %bb.205:                              ;   in Loop: Header=BB229_13 Depth=1
	s_or_b32 exec_lo, exec_lo, s55
	v_lshlrev_b32_e32 v96, 16, v99
	s_delay_alu instid0(VALU_DEP_2) | instskip(SKIP_1) | instid1(VALU_DEP_3)
	v_lshlrev_b32_e32 v43, 20, v43
	v_lshl_add_u32 v95, v95, 23, 0x3c000000
	v_and_b32_e32 v96, 0x80000000, v96
	s_delay_alu instid0(VALU_DEP_1)
	v_or3_b32 v96, v43, v96, v95
	v_mov_b32_e32 v95, v44
.LBB229_206:                            ;   in Loop: Header=BB229_13 Depth=1
	s_or_b32 exec_lo, exec_lo, s40
.LBB229_207:                            ;   in Loop: Header=BB229_13 Depth=1
	s_delay_alu instid0(SALU_CYCLE_1)
	s_or_b32 exec_lo, exec_lo, s54
.LBB229_208:                            ;   in Loop: Header=BB229_13 Depth=1
	s_delay_alu instid0(SALU_CYCLE_1)
	s_or_b32 exec_lo, exec_lo, s53
	global_load_u16 v43, v[61:62], off offset:768
	v_mov_b32_e32 v99, 0
	s_waitcnt vmcnt(0)
	v_dual_mov_b32 v100, 0 :: v_dual_and_b32 v101, 0xff, v43
	v_and_b32_e32 v103, 0xffff, v43
	s_delay_alu instid0(VALU_DEP_2) | instskip(NEXT) | instid1(VALU_DEP_3)
	v_cmp_ne_u16_e64 s1, 0, v101
	v_dual_mov_b32 v102, v100 :: v_dual_mov_b32 v101, v99
	s_delay_alu instid0(VALU_DEP_2)
	s_and_saveexec_b32 s40, s1
	s_cbranch_execz .LBB229_216
; %bb.209:                              ;   in Loop: Header=BB229_13 Depth=1
	v_bfrev_b32_e32 v101, 1
	v_dual_mov_b32 v102, 0 :: v_dual_and_b32 v43, 0xff, v103
	s_mov_b32 s53, exec_lo
	s_delay_alu instid0(VALU_DEP_1)
	v_cmpx_ne_u16_e32 0x80, v43
	s_cbranch_execz .LBB229_215
; %bb.210:                              ;   in Loop: Header=BB229_13 Depth=1
	v_mov_b32_e32 v101, 0x7f800001
	v_and_b32_e32 v104, 0x7f, v103
	v_mov_b32_e32 v102, 0
	s_mov_b32 s54, exec_lo
	s_delay_alu instid0(VALU_DEP_2)
	v_cmpx_ne_u32_e32 0x7f, v104
	s_cbranch_execz .LBB229_214
; %bb.211:                              ;   in Loop: Header=BB229_13 Depth=1
	v_and_b32_e32 v43, 7, v103
	v_lshrrev_b32_e32 v101, 3, v104
	s_mov_b32 s55, exec_lo
	v_cmpx_gt_u32_e32 8, v104
; %bb.212:                              ;   in Loop: Header=BB229_13 Depth=1
	s_delay_alu instid0(VALU_DEP_3) | instskip(NEXT) | instid1(VALU_DEP_1)
	v_clz_i32_u32_e32 v101, v43
	v_min_u32_e32 v101, 32, v101
	s_delay_alu instid0(VALU_DEP_1) | instskip(SKIP_1) | instid1(VALU_DEP_2)
	v_subrev_nc_u32_e32 v102, 28, v101
	v_sub_nc_u32_e32 v101, 29, v101
	v_lshlrev_b64 v[104:105], v102, v[43:44]
	s_delay_alu instid0(VALU_DEP_1)
	v_and_b32_e32 v43, 7, v104
; %bb.213:                              ;   in Loop: Header=BB229_13 Depth=1
	s_or_b32 exec_lo, exec_lo, s55
	v_lshlrev_b32_e32 v102, 24, v103
	s_delay_alu instid0(VALU_DEP_2) | instskip(SKIP_1) | instid1(VALU_DEP_3)
	v_lshlrev_b32_e32 v43, 20, v43
	v_lshl_add_u32 v101, v101, 23, 0x3c000000
	v_and_b32_e32 v102, 0x80000000, v102
	s_delay_alu instid0(VALU_DEP_1) | instskip(NEXT) | instid1(VALU_DEP_1)
	v_or3_b32 v43, v43, v102, v101
	v_dual_mov_b32 v102, v44 :: v_dual_mov_b32 v101, v43
.LBB229_214:                            ;   in Loop: Header=BB229_13 Depth=1
	s_or_b32 exec_lo, exec_lo, s54
.LBB229_215:                            ;   in Loop: Header=BB229_13 Depth=1
	s_delay_alu instid0(SALU_CYCLE_1)
	s_or_b32 exec_lo, exec_lo, s53
.LBB229_216:                            ;   in Loop: Header=BB229_13 Depth=1
	s_delay_alu instid0(SALU_CYCLE_1) | instskip(SKIP_2) | instid1(VALU_DEP_1)
	s_or_b32 exec_lo, exec_lo, s40
	v_lshrrev_b16 v43, 8, v103
	s_mov_b32 s53, exec_lo
	v_cmpx_ne_u16_e32 0, v43
	s_cbranch_execz .LBB229_224
; %bb.217:                              ;   in Loop: Header=BB229_13 Depth=1
	v_dual_mov_b32 v100, s11 :: v_dual_mov_b32 v99, s10
	s_mov_b32 s54, exec_lo
	v_cmpx_ne_u16_e32 0x80, v43
	s_cbranch_execz .LBB229_223
; %bb.218:                              ;   in Loop: Header=BB229_13 Depth=1
	s_mov_b32 s40, s10
	v_dual_mov_b32 v100, s41 :: v_dual_and_b32 v43, 0xffff, v43
	v_mov_b32_e32 v99, s40
	s_mov_b32 s40, exec_lo
	s_delay_alu instid0(VALU_DEP_2) | instskip(NEXT) | instid1(VALU_DEP_1)
	v_and_b32_e32 v104, 0x7f, v43
	v_cmpx_ne_u32_e32 0x7f, v104
	s_cbranch_execz .LBB229_222
; %bb.219:                              ;   in Loop: Header=BB229_13 Depth=1
	v_and_b32_e32 v43, 7, v43
	v_lshrrev_b32_e32 v99, 3, v104
	s_mov_b32 s55, exec_lo
	v_cmpx_gt_u32_e32 8, v104
; %bb.220:                              ;   in Loop: Header=BB229_13 Depth=1
	s_delay_alu instid0(VALU_DEP_3) | instskip(NEXT) | instid1(VALU_DEP_1)
	v_clz_i32_u32_e32 v99, v43
	v_min_u32_e32 v99, 32, v99
	s_delay_alu instid0(VALU_DEP_1) | instskip(SKIP_1) | instid1(VALU_DEP_2)
	v_subrev_nc_u32_e32 v100, 28, v99
	v_sub_nc_u32_e32 v99, 29, v99
	v_lshlrev_b64 v[104:105], v100, v[43:44]
	s_delay_alu instid0(VALU_DEP_1)
	v_and_b32_e32 v43, 7, v104
; %bb.221:                              ;   in Loop: Header=BB229_13 Depth=1
	s_or_b32 exec_lo, exec_lo, s55
	v_lshlrev_b32_e32 v100, 16, v103
	s_delay_alu instid0(VALU_DEP_2) | instskip(SKIP_1) | instid1(VALU_DEP_3)
	v_lshlrev_b32_e32 v43, 20, v43
	v_lshl_add_u32 v99, v99, 23, 0x3c000000
	v_and_b32_e32 v100, 0x80000000, v100
	s_delay_alu instid0(VALU_DEP_1)
	v_or3_b32 v100, v43, v100, v99
	v_mov_b32_e32 v99, v44
.LBB229_222:                            ;   in Loop: Header=BB229_13 Depth=1
	s_or_b32 exec_lo, exec_lo, s40
.LBB229_223:                            ;   in Loop: Header=BB229_13 Depth=1
	s_delay_alu instid0(SALU_CYCLE_1)
	s_or_b32 exec_lo, exec_lo, s54
.LBB229_224:                            ;   in Loop: Header=BB229_13 Depth=1
	s_delay_alu instid0(SALU_CYCLE_1)
	s_or_b32 exec_lo, exec_lo, s53
	global_load_u16 v43, v[61:62], off offset:772
	v_mov_b32_e32 v103, 0
	s_waitcnt vmcnt(0)
	v_dual_mov_b32 v104, 0 :: v_dual_and_b32 v105, 0xff, v43
	v_and_b32_e32 v107, 0xffff, v43
	s_delay_alu instid0(VALU_DEP_2) | instskip(NEXT) | instid1(VALU_DEP_3)
	v_cmp_ne_u16_e64 s1, 0, v105
	v_dual_mov_b32 v106, v104 :: v_dual_mov_b32 v105, v103
	s_delay_alu instid0(VALU_DEP_2)
	s_and_saveexec_b32 s40, s1
	s_cbranch_execz .LBB229_232
; %bb.225:                              ;   in Loop: Header=BB229_13 Depth=1
	v_bfrev_b32_e32 v105, 1
	v_dual_mov_b32 v106, 0 :: v_dual_and_b32 v43, 0xff, v107
	s_mov_b32 s53, exec_lo
	s_delay_alu instid0(VALU_DEP_1)
	v_cmpx_ne_u16_e32 0x80, v43
	s_cbranch_execz .LBB229_231
; %bb.226:                              ;   in Loop: Header=BB229_13 Depth=1
	v_mov_b32_e32 v105, 0x7f800001
	v_and_b32_e32 v108, 0x7f, v107
	v_mov_b32_e32 v106, 0
	s_mov_b32 s54, exec_lo
	s_delay_alu instid0(VALU_DEP_2)
	v_cmpx_ne_u32_e32 0x7f, v108
	s_cbranch_execz .LBB229_230
; %bb.227:                              ;   in Loop: Header=BB229_13 Depth=1
	v_and_b32_e32 v43, 7, v107
	v_lshrrev_b32_e32 v105, 3, v108
	s_mov_b32 s55, exec_lo
	v_cmpx_gt_u32_e32 8, v108
; %bb.228:                              ;   in Loop: Header=BB229_13 Depth=1
	s_delay_alu instid0(VALU_DEP_3) | instskip(NEXT) | instid1(VALU_DEP_1)
	v_clz_i32_u32_e32 v105, v43
	v_min_u32_e32 v105, 32, v105
	s_delay_alu instid0(VALU_DEP_1) | instskip(SKIP_1) | instid1(VALU_DEP_2)
	v_subrev_nc_u32_e32 v106, 28, v105
	v_sub_nc_u32_e32 v105, 29, v105
	v_lshlrev_b64 v[108:109], v106, v[43:44]
	s_delay_alu instid0(VALU_DEP_1)
	v_and_b32_e32 v43, 7, v108
; %bb.229:                              ;   in Loop: Header=BB229_13 Depth=1
	s_or_b32 exec_lo, exec_lo, s55
	v_lshlrev_b32_e32 v106, 24, v107
	s_delay_alu instid0(VALU_DEP_2) | instskip(SKIP_1) | instid1(VALU_DEP_3)
	v_lshlrev_b32_e32 v43, 20, v43
	v_lshl_add_u32 v105, v105, 23, 0x3c000000
	v_and_b32_e32 v106, 0x80000000, v106
	s_delay_alu instid0(VALU_DEP_1) | instskip(NEXT) | instid1(VALU_DEP_1)
	v_or3_b32 v43, v43, v106, v105
	v_dual_mov_b32 v106, v44 :: v_dual_mov_b32 v105, v43
.LBB229_230:                            ;   in Loop: Header=BB229_13 Depth=1
	s_or_b32 exec_lo, exec_lo, s54
.LBB229_231:                            ;   in Loop: Header=BB229_13 Depth=1
	s_delay_alu instid0(SALU_CYCLE_1)
	s_or_b32 exec_lo, exec_lo, s53
.LBB229_232:                            ;   in Loop: Header=BB229_13 Depth=1
	s_delay_alu instid0(SALU_CYCLE_1) | instskip(SKIP_2) | instid1(VALU_DEP_1)
	s_or_b32 exec_lo, exec_lo, s40
	v_lshrrev_b16 v43, 8, v107
	s_mov_b32 s53, exec_lo
	v_cmpx_ne_u16_e32 0, v43
	s_cbranch_execz .LBB229_240
; %bb.233:                              ;   in Loop: Header=BB229_13 Depth=1
	v_dual_mov_b32 v104, s11 :: v_dual_mov_b32 v103, s10
	s_mov_b32 s54, exec_lo
	v_cmpx_ne_u16_e32 0x80, v43
	s_cbranch_execz .LBB229_239
; %bb.234:                              ;   in Loop: Header=BB229_13 Depth=1
	s_mov_b32 s40, s10
	v_dual_mov_b32 v104, s41 :: v_dual_and_b32 v43, 0xffff, v43
	v_mov_b32_e32 v103, s40
	s_mov_b32 s40, exec_lo
	s_delay_alu instid0(VALU_DEP_2) | instskip(NEXT) | instid1(VALU_DEP_1)
	v_and_b32_e32 v108, 0x7f, v43
	v_cmpx_ne_u32_e32 0x7f, v108
	s_cbranch_execz .LBB229_238
; %bb.235:                              ;   in Loop: Header=BB229_13 Depth=1
	v_and_b32_e32 v43, 7, v43
	v_lshrrev_b32_e32 v103, 3, v108
	s_mov_b32 s55, exec_lo
	v_cmpx_gt_u32_e32 8, v108
; %bb.236:                              ;   in Loop: Header=BB229_13 Depth=1
	s_delay_alu instid0(VALU_DEP_3) | instskip(NEXT) | instid1(VALU_DEP_1)
	v_clz_i32_u32_e32 v103, v43
	v_min_u32_e32 v103, 32, v103
	s_delay_alu instid0(VALU_DEP_1) | instskip(SKIP_1) | instid1(VALU_DEP_2)
	v_subrev_nc_u32_e32 v104, 28, v103
	v_sub_nc_u32_e32 v103, 29, v103
	v_lshlrev_b64 v[108:109], v104, v[43:44]
	s_delay_alu instid0(VALU_DEP_1)
	v_and_b32_e32 v43, 7, v108
; %bb.237:                              ;   in Loop: Header=BB229_13 Depth=1
	s_or_b32 exec_lo, exec_lo, s55
	v_lshlrev_b32_e32 v104, 16, v107
	s_delay_alu instid0(VALU_DEP_2) | instskip(SKIP_1) | instid1(VALU_DEP_3)
	v_lshlrev_b32_e32 v43, 20, v43
	v_lshl_add_u32 v103, v103, 23, 0x3c000000
	v_and_b32_e32 v104, 0x80000000, v104
	s_delay_alu instid0(VALU_DEP_1)
	v_or3_b32 v104, v43, v104, v103
	v_mov_b32_e32 v103, v44
.LBB229_238:                            ;   in Loop: Header=BB229_13 Depth=1
	s_or_b32 exec_lo, exec_lo, s40
.LBB229_239:                            ;   in Loop: Header=BB229_13 Depth=1
	s_delay_alu instid0(SALU_CYCLE_1)
	s_or_b32 exec_lo, exec_lo, s54
.LBB229_240:                            ;   in Loop: Header=BB229_13 Depth=1
	s_delay_alu instid0(SALU_CYCLE_1) | instskip(SKIP_1) | instid1(VALU_DEP_1)
	s_or_b32 exec_lo, exec_lo, s53
	v_add_co_u32 v111, s1, 0x300, v61
	v_add_co_ci_u32_e64 v112, s1, 0, v62, s1
	v_mov_b32_e32 v107, 0
	global_load_u16 v43, v[111:112], off offset:8
	s_waitcnt vmcnt(0)
	v_dual_mov_b32 v108, 0 :: v_dual_and_b32 v109, 0xff, v43
	v_and_b32_e32 v113, 0xffff, v43
	s_delay_alu instid0(VALU_DEP_2) | instskip(NEXT) | instid1(VALU_DEP_3)
	v_cmp_ne_u16_e64 s1, 0, v109
	v_dual_mov_b32 v110, v108 :: v_dual_mov_b32 v109, v107
	s_delay_alu instid0(VALU_DEP_2)
	s_and_saveexec_b32 s40, s1
	s_cbranch_execz .LBB229_248
; %bb.241:                              ;   in Loop: Header=BB229_13 Depth=1
	v_bfrev_b32_e32 v109, 1
	v_dual_mov_b32 v110, 0 :: v_dual_and_b32 v43, 0xff, v113
	s_mov_b32 s53, exec_lo
	s_delay_alu instid0(VALU_DEP_1)
	v_cmpx_ne_u16_e32 0x80, v43
	s_cbranch_execz .LBB229_247
; %bb.242:                              ;   in Loop: Header=BB229_13 Depth=1
	v_mov_b32_e32 v109, 0x7f800001
	v_and_b32_e32 v114, 0x7f, v113
	v_mov_b32_e32 v110, 0
	s_mov_b32 s54, exec_lo
	s_delay_alu instid0(VALU_DEP_2)
	v_cmpx_ne_u32_e32 0x7f, v114
	s_cbranch_execz .LBB229_246
; %bb.243:                              ;   in Loop: Header=BB229_13 Depth=1
	v_and_b32_e32 v43, 7, v113
	v_lshrrev_b32_e32 v109, 3, v114
	s_mov_b32 s55, exec_lo
	v_cmpx_gt_u32_e32 8, v114
; %bb.244:                              ;   in Loop: Header=BB229_13 Depth=1
	s_delay_alu instid0(VALU_DEP_3) | instskip(NEXT) | instid1(VALU_DEP_1)
	v_clz_i32_u32_e32 v109, v43
	v_min_u32_e32 v109, 32, v109
	s_delay_alu instid0(VALU_DEP_1) | instskip(SKIP_1) | instid1(VALU_DEP_2)
	v_subrev_nc_u32_e32 v110, 28, v109
	v_sub_nc_u32_e32 v109, 29, v109
	v_lshlrev_b64 v[114:115], v110, v[43:44]
	s_delay_alu instid0(VALU_DEP_1)
	v_and_b32_e32 v43, 7, v114
; %bb.245:                              ;   in Loop: Header=BB229_13 Depth=1
	s_or_b32 exec_lo, exec_lo, s55
	v_lshlrev_b32_e32 v110, 24, v113
	s_delay_alu instid0(VALU_DEP_2) | instskip(SKIP_1) | instid1(VALU_DEP_3)
	v_lshlrev_b32_e32 v43, 20, v43
	v_lshl_add_u32 v109, v109, 23, 0x3c000000
	v_and_b32_e32 v110, 0x80000000, v110
	s_delay_alu instid0(VALU_DEP_1) | instskip(NEXT) | instid1(VALU_DEP_1)
	v_or3_b32 v43, v43, v110, v109
	v_dual_mov_b32 v110, v44 :: v_dual_mov_b32 v109, v43
.LBB229_246:                            ;   in Loop: Header=BB229_13 Depth=1
	s_or_b32 exec_lo, exec_lo, s54
.LBB229_247:                            ;   in Loop: Header=BB229_13 Depth=1
	s_delay_alu instid0(SALU_CYCLE_1)
	s_or_b32 exec_lo, exec_lo, s53
.LBB229_248:                            ;   in Loop: Header=BB229_13 Depth=1
	s_delay_alu instid0(SALU_CYCLE_1) | instskip(SKIP_2) | instid1(VALU_DEP_1)
	s_or_b32 exec_lo, exec_lo, s40
	v_lshrrev_b16 v43, 8, v113
	s_mov_b32 s53, exec_lo
	v_cmpx_ne_u16_e32 0, v43
	s_cbranch_execz .LBB229_256
; %bb.249:                              ;   in Loop: Header=BB229_13 Depth=1
	v_dual_mov_b32 v108, s11 :: v_dual_mov_b32 v107, s10
	s_mov_b32 s54, exec_lo
	v_cmpx_ne_u16_e32 0x80, v43
	s_cbranch_execz .LBB229_255
; %bb.250:                              ;   in Loop: Header=BB229_13 Depth=1
	s_mov_b32 s40, s10
	v_dual_mov_b32 v108, s41 :: v_dual_and_b32 v43, 0xffff, v43
	v_mov_b32_e32 v107, s40
	s_mov_b32 s40, exec_lo
	s_delay_alu instid0(VALU_DEP_2) | instskip(NEXT) | instid1(VALU_DEP_1)
	v_and_b32_e32 v114, 0x7f, v43
	v_cmpx_ne_u32_e32 0x7f, v114
	s_cbranch_execz .LBB229_254
; %bb.251:                              ;   in Loop: Header=BB229_13 Depth=1
	v_and_b32_e32 v43, 7, v43
	v_lshrrev_b32_e32 v107, 3, v114
	s_mov_b32 s55, exec_lo
	v_cmpx_gt_u32_e32 8, v114
; %bb.252:                              ;   in Loop: Header=BB229_13 Depth=1
	s_delay_alu instid0(VALU_DEP_3) | instskip(NEXT) | instid1(VALU_DEP_1)
	v_clz_i32_u32_e32 v107, v43
	v_min_u32_e32 v107, 32, v107
	s_delay_alu instid0(VALU_DEP_1) | instskip(SKIP_1) | instid1(VALU_DEP_2)
	v_subrev_nc_u32_e32 v108, 28, v107
	v_sub_nc_u32_e32 v107, 29, v107
	v_lshlrev_b64 v[114:115], v108, v[43:44]
	s_delay_alu instid0(VALU_DEP_1)
	v_and_b32_e32 v43, 7, v114
; %bb.253:                              ;   in Loop: Header=BB229_13 Depth=1
	s_or_b32 exec_lo, exec_lo, s55
	v_lshlrev_b32_e32 v108, 16, v113
	s_delay_alu instid0(VALU_DEP_2) | instskip(SKIP_1) | instid1(VALU_DEP_3)
	v_lshlrev_b32_e32 v43, 20, v43
	v_lshl_add_u32 v107, v107, 23, 0x3c000000
	v_and_b32_e32 v108, 0x80000000, v108
	s_delay_alu instid0(VALU_DEP_1)
	v_or3_b32 v108, v43, v108, v107
	v_mov_b32_e32 v107, v44
.LBB229_254:                            ;   in Loop: Header=BB229_13 Depth=1
	s_or_b32 exec_lo, exec_lo, s40
.LBB229_255:                            ;   in Loop: Header=BB229_13 Depth=1
	s_delay_alu instid0(SALU_CYCLE_1)
	s_or_b32 exec_lo, exec_lo, s54
.LBB229_256:                            ;   in Loop: Header=BB229_13 Depth=1
	s_delay_alu instid0(SALU_CYCLE_1)
	s_or_b32 exec_lo, exec_lo, s53
	global_load_u16 v43, v[111:112], off offset:12
	v_mov_b32_e32 v111, 0
	s_waitcnt vmcnt(0)
	v_dual_mov_b32 v112, 0 :: v_dual_and_b32 v113, 0xff, v43
	v_and_b32_e32 v115, 0xffff, v43
	s_delay_alu instid0(VALU_DEP_2) | instskip(NEXT) | instid1(VALU_DEP_3)
	v_cmp_ne_u16_e64 s1, 0, v113
	v_dual_mov_b32 v114, v112 :: v_dual_mov_b32 v113, v111
	s_delay_alu instid0(VALU_DEP_2)
	s_and_saveexec_b32 s40, s1
	s_cbranch_execz .LBB229_264
; %bb.257:                              ;   in Loop: Header=BB229_13 Depth=1
	v_bfrev_b32_e32 v113, 1
	v_dual_mov_b32 v114, 0 :: v_dual_and_b32 v43, 0xff, v115
	s_mov_b32 s53, exec_lo
	s_delay_alu instid0(VALU_DEP_1)
	v_cmpx_ne_u16_e32 0x80, v43
	s_cbranch_execz .LBB229_263
; %bb.258:                              ;   in Loop: Header=BB229_13 Depth=1
	v_mov_b32_e32 v113, 0x7f800001
	v_and_b32_e32 v116, 0x7f, v115
	v_mov_b32_e32 v114, 0
	s_mov_b32 s54, exec_lo
	s_delay_alu instid0(VALU_DEP_2)
	v_cmpx_ne_u32_e32 0x7f, v116
	s_cbranch_execz .LBB229_262
; %bb.259:                              ;   in Loop: Header=BB229_13 Depth=1
	v_and_b32_e32 v43, 7, v115
	v_lshrrev_b32_e32 v113, 3, v116
	s_mov_b32 s55, exec_lo
	v_cmpx_gt_u32_e32 8, v116
; %bb.260:                              ;   in Loop: Header=BB229_13 Depth=1
	s_delay_alu instid0(VALU_DEP_3) | instskip(NEXT) | instid1(VALU_DEP_1)
	v_clz_i32_u32_e32 v113, v43
	v_min_u32_e32 v113, 32, v113
	s_delay_alu instid0(VALU_DEP_1) | instskip(SKIP_1) | instid1(VALU_DEP_2)
	v_subrev_nc_u32_e32 v114, 28, v113
	v_sub_nc_u32_e32 v113, 29, v113
	v_lshlrev_b64 v[116:117], v114, v[43:44]
	s_delay_alu instid0(VALU_DEP_1)
	v_and_b32_e32 v43, 7, v116
; %bb.261:                              ;   in Loop: Header=BB229_13 Depth=1
	s_or_b32 exec_lo, exec_lo, s55
	v_lshlrev_b32_e32 v114, 24, v115
	s_delay_alu instid0(VALU_DEP_2) | instskip(SKIP_1) | instid1(VALU_DEP_3)
	v_lshlrev_b32_e32 v43, 20, v43
	v_lshl_add_u32 v113, v113, 23, 0x3c000000
	v_and_b32_e32 v114, 0x80000000, v114
	s_delay_alu instid0(VALU_DEP_1) | instskip(NEXT) | instid1(VALU_DEP_1)
	v_or3_b32 v43, v43, v114, v113
	v_dual_mov_b32 v114, v44 :: v_dual_mov_b32 v113, v43
.LBB229_262:                            ;   in Loop: Header=BB229_13 Depth=1
	s_or_b32 exec_lo, exec_lo, s54
.LBB229_263:                            ;   in Loop: Header=BB229_13 Depth=1
	s_delay_alu instid0(SALU_CYCLE_1)
	s_or_b32 exec_lo, exec_lo, s53
.LBB229_264:                            ;   in Loop: Header=BB229_13 Depth=1
	s_delay_alu instid0(SALU_CYCLE_1) | instskip(SKIP_2) | instid1(VALU_DEP_1)
	s_or_b32 exec_lo, exec_lo, s40
	v_lshrrev_b16 v43, 8, v115
	s_mov_b32 s53, exec_lo
	v_cmpx_ne_u16_e32 0, v43
	s_cbranch_execz .LBB229_272
; %bb.265:                              ;   in Loop: Header=BB229_13 Depth=1
	v_dual_mov_b32 v112, s11 :: v_dual_mov_b32 v111, s10
	s_mov_b32 s54, exec_lo
	v_cmpx_ne_u16_e32 0x80, v43
	s_cbranch_execz .LBB229_271
; %bb.266:                              ;   in Loop: Header=BB229_13 Depth=1
	s_mov_b32 s40, s10
	v_dual_mov_b32 v112, s41 :: v_dual_and_b32 v43, 0xffff, v43
	v_mov_b32_e32 v111, s40
	s_mov_b32 s40, exec_lo
	s_delay_alu instid0(VALU_DEP_2) | instskip(NEXT) | instid1(VALU_DEP_1)
	v_and_b32_e32 v116, 0x7f, v43
	v_cmpx_ne_u32_e32 0x7f, v116
	s_cbranch_execz .LBB229_270
; %bb.267:                              ;   in Loop: Header=BB229_13 Depth=1
	v_and_b32_e32 v43, 7, v43
	v_lshrrev_b32_e32 v111, 3, v116
	s_mov_b32 s55, exec_lo
	v_cmpx_gt_u32_e32 8, v116
; %bb.268:                              ;   in Loop: Header=BB229_13 Depth=1
	s_delay_alu instid0(VALU_DEP_3) | instskip(NEXT) | instid1(VALU_DEP_1)
	v_clz_i32_u32_e32 v111, v43
	v_min_u32_e32 v111, 32, v111
	s_delay_alu instid0(VALU_DEP_1) | instskip(SKIP_1) | instid1(VALU_DEP_2)
	v_subrev_nc_u32_e32 v112, 28, v111
	v_sub_nc_u32_e32 v111, 29, v111
	v_lshlrev_b64 v[116:117], v112, v[43:44]
	s_delay_alu instid0(VALU_DEP_1)
	v_and_b32_e32 v43, 7, v116
; %bb.269:                              ;   in Loop: Header=BB229_13 Depth=1
	s_or_b32 exec_lo, exec_lo, s55
	v_lshlrev_b32_e32 v112, 16, v115
	s_delay_alu instid0(VALU_DEP_2) | instskip(SKIP_1) | instid1(VALU_DEP_3)
	v_lshlrev_b32_e32 v43, 20, v43
	v_lshl_add_u32 v111, v111, 23, 0x3c000000
	v_and_b32_e32 v112, 0x80000000, v112
	s_delay_alu instid0(VALU_DEP_1)
	v_or3_b32 v112, v43, v112, v111
	v_mov_b32_e32 v111, v44
.LBB229_270:                            ;   in Loop: Header=BB229_13 Depth=1
	s_or_b32 exec_lo, exec_lo, s40
.LBB229_271:                            ;   in Loop: Header=BB229_13 Depth=1
	s_delay_alu instid0(SALU_CYCLE_1)
	s_or_b32 exec_lo, exec_lo, s54
.LBB229_272:                            ;   in Loop: Header=BB229_13 Depth=1
	s_delay_alu instid0(SALU_CYCLE_1)
	s_or_b32 exec_lo, exec_lo, s53
	global_load_u16 v43, v[61:62], off offset:1024
	v_mov_b32_e32 v115, 0
	s_waitcnt vmcnt(0)
	v_dual_mov_b32 v116, 0 :: v_dual_and_b32 v117, 0xff, v43
	v_and_b32_e32 v119, 0xffff, v43
	s_delay_alu instid0(VALU_DEP_2) | instskip(NEXT) | instid1(VALU_DEP_3)
	v_cmp_ne_u16_e64 s1, 0, v117
	v_dual_mov_b32 v118, v116 :: v_dual_mov_b32 v117, v115
	s_delay_alu instid0(VALU_DEP_2)
	s_and_saveexec_b32 s40, s1
	s_cbranch_execz .LBB229_280
; %bb.273:                              ;   in Loop: Header=BB229_13 Depth=1
	v_bfrev_b32_e32 v117, 1
	v_dual_mov_b32 v118, 0 :: v_dual_and_b32 v43, 0xff, v119
	s_mov_b32 s53, exec_lo
	s_delay_alu instid0(VALU_DEP_1)
	v_cmpx_ne_u16_e32 0x80, v43
	s_cbranch_execz .LBB229_279
; %bb.274:                              ;   in Loop: Header=BB229_13 Depth=1
	v_mov_b32_e32 v117, 0x7f800001
	v_and_b32_e32 v120, 0x7f, v119
	v_mov_b32_e32 v118, 0
	s_mov_b32 s54, exec_lo
	s_delay_alu instid0(VALU_DEP_2)
	v_cmpx_ne_u32_e32 0x7f, v120
	s_cbranch_execz .LBB229_278
; %bb.275:                              ;   in Loop: Header=BB229_13 Depth=1
	v_and_b32_e32 v43, 7, v119
	v_lshrrev_b32_e32 v117, 3, v120
	s_mov_b32 s55, exec_lo
	v_cmpx_gt_u32_e32 8, v120
; %bb.276:                              ;   in Loop: Header=BB229_13 Depth=1
	s_delay_alu instid0(VALU_DEP_3) | instskip(NEXT) | instid1(VALU_DEP_1)
	v_clz_i32_u32_e32 v117, v43
	v_min_u32_e32 v117, 32, v117
	s_delay_alu instid0(VALU_DEP_1) | instskip(SKIP_1) | instid1(VALU_DEP_2)
	v_subrev_nc_u32_e32 v118, 28, v117
	v_sub_nc_u32_e32 v117, 29, v117
	v_lshlrev_b64 v[120:121], v118, v[43:44]
	s_delay_alu instid0(VALU_DEP_1)
	v_and_b32_e32 v43, 7, v120
; %bb.277:                              ;   in Loop: Header=BB229_13 Depth=1
	s_or_b32 exec_lo, exec_lo, s55
	v_lshlrev_b32_e32 v118, 24, v119
	s_delay_alu instid0(VALU_DEP_2) | instskip(SKIP_1) | instid1(VALU_DEP_3)
	v_lshlrev_b32_e32 v43, 20, v43
	v_lshl_add_u32 v117, v117, 23, 0x3c000000
	v_and_b32_e32 v118, 0x80000000, v118
	s_delay_alu instid0(VALU_DEP_1) | instskip(NEXT) | instid1(VALU_DEP_1)
	v_or3_b32 v43, v43, v118, v117
	v_dual_mov_b32 v118, v44 :: v_dual_mov_b32 v117, v43
.LBB229_278:                            ;   in Loop: Header=BB229_13 Depth=1
	s_or_b32 exec_lo, exec_lo, s54
.LBB229_279:                            ;   in Loop: Header=BB229_13 Depth=1
	s_delay_alu instid0(SALU_CYCLE_1)
	s_or_b32 exec_lo, exec_lo, s53
.LBB229_280:                            ;   in Loop: Header=BB229_13 Depth=1
	s_delay_alu instid0(SALU_CYCLE_1) | instskip(SKIP_2) | instid1(VALU_DEP_1)
	s_or_b32 exec_lo, exec_lo, s40
	v_lshrrev_b16 v43, 8, v119
	s_mov_b32 s53, exec_lo
	v_cmpx_ne_u16_e32 0, v43
	s_cbranch_execz .LBB229_288
; %bb.281:                              ;   in Loop: Header=BB229_13 Depth=1
	v_dual_mov_b32 v116, s11 :: v_dual_mov_b32 v115, s10
	s_mov_b32 s54, exec_lo
	v_cmpx_ne_u16_e32 0x80, v43
	s_cbranch_execz .LBB229_287
; %bb.282:                              ;   in Loop: Header=BB229_13 Depth=1
	s_mov_b32 s40, s10
	v_dual_mov_b32 v116, s41 :: v_dual_and_b32 v43, 0xffff, v43
	v_mov_b32_e32 v115, s40
	s_mov_b32 s40, exec_lo
	s_delay_alu instid0(VALU_DEP_2) | instskip(NEXT) | instid1(VALU_DEP_1)
	v_and_b32_e32 v120, 0x7f, v43
	v_cmpx_ne_u32_e32 0x7f, v120
	s_cbranch_execz .LBB229_286
; %bb.283:                              ;   in Loop: Header=BB229_13 Depth=1
	v_and_b32_e32 v43, 7, v43
	v_lshrrev_b32_e32 v115, 3, v120
	s_mov_b32 s55, exec_lo
	v_cmpx_gt_u32_e32 8, v120
; %bb.284:                              ;   in Loop: Header=BB229_13 Depth=1
	s_delay_alu instid0(VALU_DEP_3) | instskip(NEXT) | instid1(VALU_DEP_1)
	v_clz_i32_u32_e32 v115, v43
	v_min_u32_e32 v115, 32, v115
	s_delay_alu instid0(VALU_DEP_1) | instskip(SKIP_1) | instid1(VALU_DEP_2)
	v_subrev_nc_u32_e32 v116, 28, v115
	v_sub_nc_u32_e32 v115, 29, v115
	v_lshlrev_b64 v[120:121], v116, v[43:44]
	s_delay_alu instid0(VALU_DEP_1)
	v_and_b32_e32 v43, 7, v120
; %bb.285:                              ;   in Loop: Header=BB229_13 Depth=1
	s_or_b32 exec_lo, exec_lo, s55
	v_lshlrev_b32_e32 v116, 16, v119
	s_delay_alu instid0(VALU_DEP_2) | instskip(SKIP_1) | instid1(VALU_DEP_3)
	v_lshlrev_b32_e32 v43, 20, v43
	v_lshl_add_u32 v115, v115, 23, 0x3c000000
	v_and_b32_e32 v116, 0x80000000, v116
	s_delay_alu instid0(VALU_DEP_1)
	v_or3_b32 v116, v43, v116, v115
	v_mov_b32_e32 v115, v44
.LBB229_286:                            ;   in Loop: Header=BB229_13 Depth=1
	s_or_b32 exec_lo, exec_lo, s40
.LBB229_287:                            ;   in Loop: Header=BB229_13 Depth=1
	s_delay_alu instid0(SALU_CYCLE_1)
	s_or_b32 exec_lo, exec_lo, s54
.LBB229_288:                            ;   in Loop: Header=BB229_13 Depth=1
	s_delay_alu instid0(SALU_CYCLE_1)
	s_or_b32 exec_lo, exec_lo, s53
	global_load_u16 v43, v[61:62], off offset:1028
	v_mov_b32_e32 v119, 0
	s_waitcnt vmcnt(0)
	v_dual_mov_b32 v120, 0 :: v_dual_and_b32 v121, 0xff, v43
	v_and_b32_e32 v123, 0xffff, v43
	s_delay_alu instid0(VALU_DEP_2) | instskip(NEXT) | instid1(VALU_DEP_3)
	v_cmp_ne_u16_e64 s1, 0, v121
	v_dual_mov_b32 v122, v120 :: v_dual_mov_b32 v121, v119
	s_delay_alu instid0(VALU_DEP_2)
	s_and_saveexec_b32 s40, s1
	s_cbranch_execz .LBB229_296
; %bb.289:                              ;   in Loop: Header=BB229_13 Depth=1
	v_bfrev_b32_e32 v121, 1
	v_dual_mov_b32 v122, 0 :: v_dual_and_b32 v43, 0xff, v123
	s_mov_b32 s53, exec_lo
	s_delay_alu instid0(VALU_DEP_1)
	v_cmpx_ne_u16_e32 0x80, v43
	s_cbranch_execz .LBB229_295
; %bb.290:                              ;   in Loop: Header=BB229_13 Depth=1
	v_mov_b32_e32 v121, 0x7f800001
	v_and_b32_e32 v124, 0x7f, v123
	v_mov_b32_e32 v122, 0
	s_mov_b32 s54, exec_lo
	s_delay_alu instid0(VALU_DEP_2)
	v_cmpx_ne_u32_e32 0x7f, v124
	s_cbranch_execz .LBB229_294
; %bb.291:                              ;   in Loop: Header=BB229_13 Depth=1
	v_and_b32_e32 v43, 7, v123
	v_lshrrev_b32_e32 v121, 3, v124
	s_mov_b32 s55, exec_lo
	v_cmpx_gt_u32_e32 8, v124
; %bb.292:                              ;   in Loop: Header=BB229_13 Depth=1
	s_delay_alu instid0(VALU_DEP_3) | instskip(NEXT) | instid1(VALU_DEP_1)
	v_clz_i32_u32_e32 v121, v43
	v_min_u32_e32 v121, 32, v121
	s_delay_alu instid0(VALU_DEP_1) | instskip(SKIP_1) | instid1(VALU_DEP_2)
	v_subrev_nc_u32_e32 v122, 28, v121
	v_sub_nc_u32_e32 v121, 29, v121
	v_lshlrev_b64 v[124:125], v122, v[43:44]
	s_delay_alu instid0(VALU_DEP_1)
	v_and_b32_e32 v43, 7, v124
; %bb.293:                              ;   in Loop: Header=BB229_13 Depth=1
	s_or_b32 exec_lo, exec_lo, s55
	v_lshlrev_b32_e32 v122, 24, v123
	s_delay_alu instid0(VALU_DEP_2) | instskip(SKIP_1) | instid1(VALU_DEP_3)
	v_lshlrev_b32_e32 v43, 20, v43
	v_lshl_add_u32 v121, v121, 23, 0x3c000000
	v_and_b32_e32 v122, 0x80000000, v122
	s_delay_alu instid0(VALU_DEP_1) | instskip(NEXT) | instid1(VALU_DEP_1)
	v_or3_b32 v43, v43, v122, v121
	v_dual_mov_b32 v122, v44 :: v_dual_mov_b32 v121, v43
.LBB229_294:                            ;   in Loop: Header=BB229_13 Depth=1
	s_or_b32 exec_lo, exec_lo, s54
.LBB229_295:                            ;   in Loop: Header=BB229_13 Depth=1
	s_delay_alu instid0(SALU_CYCLE_1)
	s_or_b32 exec_lo, exec_lo, s53
.LBB229_296:                            ;   in Loop: Header=BB229_13 Depth=1
	s_delay_alu instid0(SALU_CYCLE_1) | instskip(SKIP_2) | instid1(VALU_DEP_1)
	s_or_b32 exec_lo, exec_lo, s40
	v_lshrrev_b16 v43, 8, v123
	s_mov_b32 s53, exec_lo
	v_cmpx_ne_u16_e32 0, v43
	s_cbranch_execz .LBB229_304
; %bb.297:                              ;   in Loop: Header=BB229_13 Depth=1
	v_dual_mov_b32 v120, s11 :: v_dual_mov_b32 v119, s10
	s_mov_b32 s54, exec_lo
	v_cmpx_ne_u16_e32 0x80, v43
	s_cbranch_execz .LBB229_303
; %bb.298:                              ;   in Loop: Header=BB229_13 Depth=1
	s_mov_b32 s40, s10
	v_dual_mov_b32 v120, s41 :: v_dual_and_b32 v43, 0xffff, v43
	v_mov_b32_e32 v119, s40
	s_mov_b32 s40, exec_lo
	s_delay_alu instid0(VALU_DEP_2) | instskip(NEXT) | instid1(VALU_DEP_1)
	v_and_b32_e32 v124, 0x7f, v43
	v_cmpx_ne_u32_e32 0x7f, v124
	s_cbranch_execz .LBB229_302
; %bb.299:                              ;   in Loop: Header=BB229_13 Depth=1
	v_and_b32_e32 v43, 7, v43
	v_lshrrev_b32_e32 v119, 3, v124
	s_mov_b32 s55, exec_lo
	v_cmpx_gt_u32_e32 8, v124
; %bb.300:                              ;   in Loop: Header=BB229_13 Depth=1
	s_delay_alu instid0(VALU_DEP_3) | instskip(NEXT) | instid1(VALU_DEP_1)
	v_clz_i32_u32_e32 v119, v43
	v_min_u32_e32 v119, 32, v119
	s_delay_alu instid0(VALU_DEP_1) | instskip(SKIP_1) | instid1(VALU_DEP_2)
	v_subrev_nc_u32_e32 v120, 28, v119
	v_sub_nc_u32_e32 v119, 29, v119
	v_lshlrev_b64 v[124:125], v120, v[43:44]
	s_delay_alu instid0(VALU_DEP_1)
	v_and_b32_e32 v43, 7, v124
; %bb.301:                              ;   in Loop: Header=BB229_13 Depth=1
	s_or_b32 exec_lo, exec_lo, s55
	v_lshlrev_b32_e32 v120, 16, v123
	s_delay_alu instid0(VALU_DEP_2) | instskip(SKIP_1) | instid1(VALU_DEP_3)
	v_lshlrev_b32_e32 v43, 20, v43
	v_lshl_add_u32 v119, v119, 23, 0x3c000000
	v_and_b32_e32 v120, 0x80000000, v120
	s_delay_alu instid0(VALU_DEP_1)
	v_or3_b32 v120, v43, v120, v119
	v_mov_b32_e32 v119, v44
.LBB229_302:                            ;   in Loop: Header=BB229_13 Depth=1
	s_or_b32 exec_lo, exec_lo, s40
.LBB229_303:                            ;   in Loop: Header=BB229_13 Depth=1
	s_delay_alu instid0(SALU_CYCLE_1)
	s_or_b32 exec_lo, exec_lo, s54
.LBB229_304:                            ;   in Loop: Header=BB229_13 Depth=1
	s_delay_alu instid0(SALU_CYCLE_1) | instskip(SKIP_1) | instid1(VALU_DEP_1)
	s_or_b32 exec_lo, exec_lo, s53
	v_add_co_u32 v61, s1, 0x400, v61
	v_add_co_ci_u32_e64 v62, s1, 0, v62, s1
	s_mov_b32 s40, exec_lo
	global_load_u16 v43, v[61:62], off offset:8
	v_mov_b32_e32 v125, 0
	s_waitcnt vmcnt(0)
	v_dual_mov_b32 v126, 0 :: v_dual_and_b32 v123, 0xffff, v43
	v_and_b32_e32 v124, 0xff, v43
	s_delay_alu instid0(VALU_DEP_2) | instskip(NEXT) | instid1(VALU_DEP_2)
	v_dual_mov_b32 v128, v126 :: v_dual_mov_b32 v127, v125
	v_cmpx_ne_u16_e32 0, v124
	s_cbranch_execz .LBB229_312
; %bb.305:                              ;   in Loop: Header=BB229_13 Depth=1
	v_bfrev_b32_e32 v127, 1
	v_dual_mov_b32 v128, 0 :: v_dual_and_b32 v43, 0xff, v123
	s_mov_b32 s53, exec_lo
	s_delay_alu instid0(VALU_DEP_1)
	v_cmpx_ne_u16_e32 0x80, v43
	s_cbranch_execz .LBB229_311
; %bb.306:                              ;   in Loop: Header=BB229_13 Depth=1
	v_mov_b32_e32 v127, 0x7f800001
	v_dual_mov_b32 v128, 0 :: v_dual_and_b32 v143, 0x7f, v123
	s_mov_b32 s54, exec_lo
	s_delay_alu instid0(VALU_DEP_1)
	v_cmpx_ne_u32_e32 0x7f, v143
	s_cbranch_execz .LBB229_310
; %bb.307:                              ;   in Loop: Header=BB229_13 Depth=1
	v_and_b32_e32 v43, 7, v123
	v_lshrrev_b32_e32 v124, 3, v143
	s_mov_b32 s55, exec_lo
	v_cmpx_gt_u32_e32 8, v143
; %bb.308:                              ;   in Loop: Header=BB229_13 Depth=1
	s_delay_alu instid0(VALU_DEP_3) | instskip(NEXT) | instid1(VALU_DEP_1)
	v_clz_i32_u32_e32 v124, v43
	v_min_u32_e32 v124, 32, v124
	s_delay_alu instid0(VALU_DEP_1) | instskip(SKIP_1) | instid1(VALU_DEP_2)
	v_subrev_nc_u32_e32 v127, 28, v124
	v_sub_nc_u32_e32 v124, 29, v124
	v_lshlrev_b64 v[127:128], v127, v[43:44]
	s_delay_alu instid0(VALU_DEP_1)
	v_and_b32_e32 v43, 7, v127
; %bb.309:                              ;   in Loop: Header=BB229_13 Depth=1
	s_or_b32 exec_lo, exec_lo, s55
	v_lshlrev_b32_e32 v127, 24, v123
	s_delay_alu instid0(VALU_DEP_2) | instskip(SKIP_1) | instid1(VALU_DEP_3)
	v_lshlrev_b32_e32 v43, 20, v43
	v_lshl_add_u32 v124, v124, 23, 0x3c000000
	v_and_b32_e32 v127, 0x80000000, v127
	s_delay_alu instid0(VALU_DEP_1) | instskip(NEXT) | instid1(VALU_DEP_1)
	v_or3_b32 v43, v43, v127, v124
	v_dual_mov_b32 v128, v44 :: v_dual_mov_b32 v127, v43
.LBB229_310:                            ;   in Loop: Header=BB229_13 Depth=1
	s_or_b32 exec_lo, exec_lo, s54
.LBB229_311:                            ;   in Loop: Header=BB229_13 Depth=1
	s_delay_alu instid0(SALU_CYCLE_1)
	s_or_b32 exec_lo, exec_lo, s53
.LBB229_312:                            ;   in Loop: Header=BB229_13 Depth=1
	s_delay_alu instid0(SALU_CYCLE_1) | instskip(SKIP_2) | instid1(VALU_DEP_1)
	s_or_b32 exec_lo, exec_lo, s40
	v_lshrrev_b16 v43, 8, v123
	s_mov_b32 s53, exec_lo
	v_cmpx_ne_u16_e32 0, v43
	s_cbranch_execz .LBB229_320
; %bb.313:                              ;   in Loop: Header=BB229_13 Depth=1
	v_dual_mov_b32 v126, s11 :: v_dual_mov_b32 v125, s10
	s_mov_b32 s54, exec_lo
	v_cmpx_ne_u16_e32 0x80, v43
	s_cbranch_execz .LBB229_319
; %bb.314:                              ;   in Loop: Header=BB229_13 Depth=1
	s_mov_b32 s40, s10
	v_dual_mov_b32 v126, s41 :: v_dual_and_b32 v43, 0xffff, v43
	v_mov_b32_e32 v125, s40
	s_mov_b32 s40, exec_lo
	s_delay_alu instid0(VALU_DEP_2) | instskip(NEXT) | instid1(VALU_DEP_1)
	v_and_b32_e32 v143, 0x7f, v43
	v_cmpx_ne_u32_e32 0x7f, v143
	s_cbranch_execz .LBB229_318
; %bb.315:                              ;   in Loop: Header=BB229_13 Depth=1
	v_and_b32_e32 v43, 7, v43
	v_lshrrev_b32_e32 v124, 3, v143
	s_mov_b32 s55, exec_lo
	v_cmpx_gt_u32_e32 8, v143
; %bb.316:                              ;   in Loop: Header=BB229_13 Depth=1
	s_delay_alu instid0(VALU_DEP_3) | instskip(NEXT) | instid1(VALU_DEP_1)
	v_clz_i32_u32_e32 v124, v43
	v_min_u32_e32 v124, 32, v124
	s_delay_alu instid0(VALU_DEP_1) | instskip(SKIP_1) | instid1(VALU_DEP_2)
	v_subrev_nc_u32_e32 v125, 28, v124
	v_sub_nc_u32_e32 v124, 29, v124
	v_lshlrev_b64 v[125:126], v125, v[43:44]
	s_delay_alu instid0(VALU_DEP_1)
	v_and_b32_e32 v43, 7, v125
; %bb.317:                              ;   in Loop: Header=BB229_13 Depth=1
	s_or_b32 exec_lo, exec_lo, s55
	v_lshlrev_b32_e32 v123, 16, v123
	s_delay_alu instid0(VALU_DEP_2) | instskip(SKIP_2) | instid1(VALU_DEP_4)
	v_lshlrev_b32_e32 v43, 20, v43
	v_lshl_add_u32 v124, v124, 23, 0x3c000000
	v_mov_b32_e32 v125, v44
	v_and_b32_e32 v123, 0x80000000, v123
	s_delay_alu instid0(VALU_DEP_1)
	v_or3_b32 v126, v43, v123, v124
.LBB229_318:                            ;   in Loop: Header=BB229_13 Depth=1
	s_or_b32 exec_lo, exec_lo, s40
.LBB229_319:                            ;   in Loop: Header=BB229_13 Depth=1
	s_delay_alu instid0(SALU_CYCLE_1)
	s_or_b32 exec_lo, exec_lo, s54
.LBB229_320:                            ;   in Loop: Header=BB229_13 Depth=1
	s_delay_alu instid0(SALU_CYCLE_1)
	s_or_b32 exec_lo, exec_lo, s53
	global_load_u16 v43, v[61:62], off offset:12
	v_mov_b32_e32 v61, 0
	s_waitcnt vmcnt(0)
	v_dual_mov_b32 v62, 0 :: v_dual_and_b32 v123, 0xff, v43
	v_and_b32_e32 v143, 0xffff, v43
	s_delay_alu instid0(VALU_DEP_2) | instskip(NEXT) | instid1(VALU_DEP_3)
	v_cmp_ne_u16_e64 s1, 0, v123
	v_dual_mov_b32 v124, v62 :: v_dual_mov_b32 v123, v61
	s_delay_alu instid0(VALU_DEP_2)
	s_and_saveexec_b32 s40, s1
	s_cbranch_execz .LBB229_328
; %bb.321:                              ;   in Loop: Header=BB229_13 Depth=1
	v_bfrev_b32_e32 v123, 1
	v_dual_mov_b32 v124, 0 :: v_dual_and_b32 v43, 0xff, v143
	s_mov_b32 s53, exec_lo
	s_delay_alu instid0(VALU_DEP_1)
	v_cmpx_ne_u16_e32 0x80, v43
	s_cbranch_execz .LBB229_327
; %bb.322:                              ;   in Loop: Header=BB229_13 Depth=1
	v_mov_b32_e32 v123, 0x7f800001
	v_and_b32_e32 v144, 0x7f, v143
	v_mov_b32_e32 v124, 0
	s_mov_b32 s54, exec_lo
	s_delay_alu instid0(VALU_DEP_2)
	v_cmpx_ne_u32_e32 0x7f, v144
	s_cbranch_execz .LBB229_326
; %bb.323:                              ;   in Loop: Header=BB229_13 Depth=1
	v_and_b32_e32 v43, 7, v143
	v_lshrrev_b32_e32 v123, 3, v144
	s_mov_b32 s55, exec_lo
	v_cmpx_gt_u32_e32 8, v144
; %bb.324:                              ;   in Loop: Header=BB229_13 Depth=1
	s_delay_alu instid0(VALU_DEP_3) | instskip(NEXT) | instid1(VALU_DEP_1)
	v_clz_i32_u32_e32 v123, v43
	v_min_u32_e32 v123, 32, v123
	s_delay_alu instid0(VALU_DEP_1) | instskip(SKIP_1) | instid1(VALU_DEP_2)
	v_subrev_nc_u32_e32 v124, 28, v123
	v_sub_nc_u32_e32 v123, 29, v123
	v_lshlrev_b64 v[144:145], v124, v[43:44]
	s_delay_alu instid0(VALU_DEP_1)
	v_and_b32_e32 v43, 7, v144
; %bb.325:                              ;   in Loop: Header=BB229_13 Depth=1
	s_or_b32 exec_lo, exec_lo, s55
	v_lshlrev_b32_e32 v124, 24, v143
	s_delay_alu instid0(VALU_DEP_2) | instskip(SKIP_1) | instid1(VALU_DEP_3)
	v_lshlrev_b32_e32 v43, 20, v43
	v_lshl_add_u32 v123, v123, 23, 0x3c000000
	v_and_b32_e32 v124, 0x80000000, v124
	s_delay_alu instid0(VALU_DEP_1) | instskip(NEXT) | instid1(VALU_DEP_1)
	v_or3_b32 v43, v43, v124, v123
	v_dual_mov_b32 v124, v44 :: v_dual_mov_b32 v123, v43
.LBB229_326:                            ;   in Loop: Header=BB229_13 Depth=1
	s_or_b32 exec_lo, exec_lo, s54
.LBB229_327:                            ;   in Loop: Header=BB229_13 Depth=1
	s_delay_alu instid0(SALU_CYCLE_1)
	s_or_b32 exec_lo, exec_lo, s53
.LBB229_328:                            ;   in Loop: Header=BB229_13 Depth=1
	s_delay_alu instid0(SALU_CYCLE_1) | instskip(SKIP_2) | instid1(VALU_DEP_1)
	s_or_b32 exec_lo, exec_lo, s40
	v_lshrrev_b16 v43, 8, v143
	s_mov_b32 s53, exec_lo
	v_cmpx_ne_u16_e32 0, v43
	s_cbranch_execz .LBB229_336
; %bb.329:                              ;   in Loop: Header=BB229_13 Depth=1
	v_dual_mov_b32 v62, s11 :: v_dual_mov_b32 v61, s10
	s_mov_b32 s54, exec_lo
	v_cmpx_ne_u16_e32 0x80, v43
	s_cbranch_execz .LBB229_335
; %bb.330:                              ;   in Loop: Header=BB229_13 Depth=1
	s_mov_b32 s40, s10
	v_dual_mov_b32 v62, s41 :: v_dual_and_b32 v43, 0xffff, v43
	v_mov_b32_e32 v61, s40
	s_mov_b32 s40, exec_lo
	s_delay_alu instid0(VALU_DEP_2) | instskip(NEXT) | instid1(VALU_DEP_1)
	v_and_b32_e32 v144, 0x7f, v43
	v_cmpx_ne_u32_e32 0x7f, v144
	s_cbranch_execz .LBB229_334
; %bb.331:                              ;   in Loop: Header=BB229_13 Depth=1
	v_and_b32_e32 v43, 7, v43
	v_lshrrev_b32_e32 v61, 3, v144
	s_mov_b32 s55, exec_lo
	v_cmpx_gt_u32_e32 8, v144
; %bb.332:                              ;   in Loop: Header=BB229_13 Depth=1
	s_delay_alu instid0(VALU_DEP_3) | instskip(NEXT) | instid1(VALU_DEP_1)
	v_clz_i32_u32_e32 v61, v43
	v_min_u32_e32 v61, 32, v61
	s_delay_alu instid0(VALU_DEP_1) | instskip(SKIP_1) | instid1(VALU_DEP_2)
	v_subrev_nc_u32_e32 v62, 28, v61
	v_sub_nc_u32_e32 v61, 29, v61
	v_lshlrev_b64 v[144:145], v62, v[43:44]
	s_delay_alu instid0(VALU_DEP_1)
	v_and_b32_e32 v43, 7, v144
; %bb.333:                              ;   in Loop: Header=BB229_13 Depth=1
	s_or_b32 exec_lo, exec_lo, s55
	v_lshlrev_b32_e32 v62, 16, v143
	s_delay_alu instid0(VALU_DEP_2) | instskip(SKIP_1) | instid1(VALU_DEP_3)
	v_lshlrev_b32_e32 v43, 20, v43
	v_lshl_add_u32 v61, v61, 23, 0x3c000000
	v_and_b32_e32 v62, 0x80000000, v62
	s_delay_alu instid0(VALU_DEP_1)
	v_or3_b32 v62, v43, v62, v61
	v_mov_b32_e32 v61, v44
.LBB229_334:                            ;   in Loop: Header=BB229_13 Depth=1
	s_or_b32 exec_lo, exec_lo, s40
.LBB229_335:                            ;   in Loop: Header=BB229_13 Depth=1
	s_delay_alu instid0(SALU_CYCLE_1)
	s_or_b32 exec_lo, exec_lo, s54
.LBB229_336:                            ;   in Loop: Header=BB229_13 Depth=1
	s_delay_alu instid0(SALU_CYCLE_1)
	s_or_b32 exec_lo, exec_lo, s53
	v_or_b32_e32 v53, v53, v55
	v_or_b32_e32 v54, v54, v56
	;; [unrolled: 1-line block ×5, first 2 shown]
	s_waitcnt lgkmcnt(0)
	v_dual_mul_f32 v51, s52, v53 :: v_dual_mul_f32 v52, s52, v54
	v_or_b32_e32 v53, v57, v59
	v_dual_mul_f32 v50, s52, v50 :: v_dual_mul_f32 v49, s52, v49
	s_delay_alu instid0(VALU_DEP_3) | instskip(SKIP_3) | instid1(VALU_DEP_4)
	v_dual_mul_f32 v39, v39, v51 :: v_dual_mul_f32 v40, v40, v52
	v_or_b32_e32 v64, v64, v66
	v_or_b32_e32 v51, v63, v65
	v_dual_mul_f32 v52, s52, v55 :: v_dual_mul_f32 v53, s52, v53
	v_dual_fmac_f32 v39, v37, v49 :: v_dual_fmac_f32 v40, v38, v50
	v_or_b32_e32 v68, v68, v70
	v_or_b32_e32 v37, v67, v69
	v_dual_mul_f32 v38, s52, v64 :: v_dual_mul_f32 v49, s52, v51
	s_delay_alu instid0(VALU_DEP_4) | instskip(SKIP_3) | instid1(VALU_DEP_4)
	v_dual_fmac_f32 v39, v33, v53 :: v_dual_fmac_f32 v40, v34, v52
	v_or_b32_e32 v72, v72, v74
	v_or_b32_e32 v33, v71, v73
	v_dual_mul_f32 v34, s52, v68 :: v_dual_mul_f32 v37, s52, v37
	v_dual_fmac_f32 v39, v35, v49 :: v_dual_fmac_f32 v40, v36, v38
	v_or_b32_e32 v76, v76, v78
	v_or_b32_e32 v35, v75, v77
	v_dual_mul_f32 v36, s52, v72 :: v_dual_mul_f32 v33, s52, v33
	s_delay_alu instid0(VALU_DEP_4) | instskip(SKIP_2) | instid1(VALU_DEP_3)
	v_dual_fmac_f32 v39, v29, v37 :: v_dual_fmac_f32 v40, v30, v34
	v_or_b32_e32 v29, v79, v81
	v_mul_f32_e32 v30, s52, v76
	v_dual_mul_f32 v34, s52, v35 :: v_dual_fmac_f32 v39, v31, v33
	v_or_b32_e32 v80, v80, v82
	s_delay_alu instid0(VALU_DEP_4) | instskip(SKIP_1) | instid1(VALU_DEP_4)
	v_dual_mul_f32 v29, s52, v29 :: v_dual_fmac_f32 v40, v32, v36
	v_or_b32_e32 v31, v83, v85
	v_fmac_f32_e32 v39, v25, v34
	v_or_b32_e32 v25, v87, v89
	v_or_b32_e32 v84, v84, v86
	v_mul_f32_e32 v32, s52, v80
	s_delay_alu instid0(VALU_DEP_4) | instskip(NEXT) | instid1(VALU_DEP_4)
	v_dual_fmac_f32 v40, v26, v30 :: v_dual_fmac_f32 v39, v27, v29
	v_dual_mul_f32 v25, s52, v25 :: v_dual_mul_f32 v30, s52, v31
	s_delay_alu instid0(VALU_DEP_4)
	v_mul_f32_e32 v26, s52, v84
	v_or_b32_e32 v27, v91, v93
	v_or_b32_e32 v88, v88, v90
	;; [unrolled: 1-line block ×3, first 2 shown]
	v_fmac_f32_e32 v39, v21, v30
	v_or_b32_e32 v21, v95, v97
	v_fmac_f32_e32 v40, v28, v32
	v_or_b32_e32 v96, v96, v98
	v_or_b32_e32 v100, v100, v102
	v_fmac_f32_e32 v39, v23, v25
	s_delay_alu instid0(VALU_DEP_4)
	v_dual_mul_f32 v21, s52, v21 :: v_dual_fmac_f32 v40, v22, v26
	v_mul_f32_e32 v26, s52, v27
	v_mul_f32_e32 v28, s52, v88
	v_or_b32_e32 v23, v99, v101
	v_or_b32_e32 v43, v126, v128
	;; [unrolled: 1-line block ×3, first 2 shown]
	v_fmac_f32_e32 v39, v17, v26
	v_or_b32_e32 v17, v103, v105
	v_mul_f32_e32 v22, s52, v92
	v_or_b32_e32 v104, v104, v106
	v_or_b32_e32 v108, v108, v110
	v_fmac_f32_e32 v39, v19, v21
	v_dual_mul_f32 v17, s52, v17 :: v_dual_fmac_f32 v40, v24, v28
	v_or_b32_e32 v19, v107, v109
	v_or_b32_e32 v112, v112, v114
	;; [unrolled: 1-line block ×4, first 2 shown]
	v_fmac_f32_e32 v40, v18, v22
	v_mul_f32_e32 v22, s52, v23
	s_delay_alu instid0(VALU_DEP_1) | instskip(SKIP_1) | instid1(VALU_DEP_2)
	v_dual_mul_f32 v18, s52, v100 :: v_dual_fmac_f32 v39, v13, v22
	v_or_b32_e32 v13, v111, v113
	v_dual_mul_f32 v24, s52, v96 :: v_dual_fmac_f32 v39, v15, v17
	s_delay_alu instid0(VALU_DEP_1) | instskip(SKIP_1) | instid1(VALU_DEP_2)
	v_dual_mul_f32 v13, s52, v13 :: v_dual_fmac_f32 v40, v20, v24
	v_or_b32_e32 v15, v115, v117
	v_fmac_f32_e32 v40, v14, v18
	v_mul_f32_e32 v18, s52, v19
	s_delay_alu instid0(VALU_DEP_1) | instskip(SKIP_1) | instid1(VALU_DEP_2)
	v_fmac_f32_e32 v39, v9, v18
	v_or_b32_e32 v9, v119, v121
	v_dual_fmac_f32 v39, v11, v13 :: v_dual_mul_f32 v20, s52, v104
	s_delay_alu instid0(VALU_DEP_2) | instskip(NEXT) | instid1(VALU_DEP_2)
	v_dual_mul_f32 v9, s52, v9 :: v_dual_mul_f32 v14, s52, v108
	v_dual_mul_f32 v11, s52, v43 :: v_dual_fmac_f32 v40, v16, v20
	v_mul_f32_e32 v16, s52, v112
	s_delay_alu instid0(VALU_DEP_2) | instskip(SKIP_1) | instid1(VALU_DEP_2)
	v_fmac_f32_e32 v40, v10, v14
	v_mul_f32_e32 v10, s52, v116
	v_fmac_f32_e32 v40, v12, v16
	v_mul_f32_e32 v12, s52, v120
	s_delay_alu instid0(VALU_DEP_2) | instskip(SKIP_2) | instid1(VALU_DEP_3)
	v_fmac_f32_e32 v40, v6, v10
	v_or_b32_e32 v6, v62, v124
	v_or_b32_e32 v10, v61, v123
	v_fmac_f32_e32 v40, v8, v12
	s_delay_alu instid0(VALU_DEP_3) | instskip(NEXT) | instid1(VALU_DEP_3)
	v_mul_f32_e32 v6, s52, v6
	v_mul_f32_e32 v8, s52, v10
	s_delay_alu instid0(VALU_DEP_3) | instskip(NEXT) | instid1(VALU_DEP_1)
	v_fmac_f32_e32 v40, v2, v11
	v_fmac_f32_e32 v40, v4, v6
	v_mul_f32_e32 v14, s52, v15
	s_delay_alu instid0(VALU_DEP_1) | instskip(SKIP_1) | instid1(VALU_DEP_2)
	v_fmac_f32_e32 v39, v5, v14
	v_mul_f32_e32 v5, s52, v125
	v_fmac_f32_e32 v39, v7, v9
	v_xor_b32_e32 v7, 1, v132
	s_delay_alu instid0(VALU_DEP_2) | instskip(NEXT) | instid1(VALU_DEP_2)
	v_fmac_f32_e32 v39, v1, v5
	v_cmp_gt_i32_e64 s1, 32, v7
	s_delay_alu instid0(VALU_DEP_2) | instskip(NEXT) | instid1(VALU_DEP_2)
	v_fmac_f32_e32 v39, v3, v8
	v_cndmask_b32_e64 v1, v132, v7, s1
	s_delay_alu instid0(VALU_DEP_1)
	v_dual_add_f32 v1, v39, v40 :: v_dual_lshlrev_b32 v2, 2, v1
	ds_bpermute_b32 v2, v2, v1
	s_and_saveexec_b32 s40, vcc_lo
	s_cbranch_execz .LBB229_11
; %bb.337:                              ;   in Loop: Header=BB229_13 Depth=1
	v_add_nc_u32_e32 v3, v139, v137
	s_waitcnt lgkmcnt(0)
	v_add_f32_e32 v1, v1, v2
	s_delay_alu instid0(VALU_DEP_2) | instskip(NEXT) | instid1(VALU_DEP_1)
	v_cvt_f32_i32_e32 v3, v3
	v_mul_f32_e32 v3, s46, v3
	s_delay_alu instid0(VALU_DEP_1) | instskip(SKIP_1) | instid1(VALU_DEP_2)
	v_cndmask_b32_e64 v2, 0, v3, s0
	v_max_f32_e32 v3, v133, v133
	v_fmac_f32_e32 v2, s39, v1
	v_add_nc_u32_e32 v1, v134, v137
	s_delay_alu instid0(VALU_DEP_2) | instskip(NEXT) | instid1(VALU_DEP_2)
	v_max_f32_e32 v3, v3, v2
	v_cmp_gt_i32_e64 s1, s33, v1
	s_delay_alu instid0(VALU_DEP_1) | instskip(NEXT) | instid1(VALU_DEP_3)
	v_cndmask_b32_e64 v1, 0, v2, s1
	v_cndmask_b32_e64 v133, v133, v3, s1
	ds_store_b32 v140, v1
	s_branch .LBB229_11
.LBB229_338:
	s_or_b32 exec_lo, exec_lo, s51
.LBB229_339:
	s_delay_alu instid0(SALU_CYCLE_1)
	s_or_b32 exec_lo, exec_lo, s47
	v_xor_b32_e32 v1, 16, v132
	v_xor_b32_e32 v3, 8, v132
	;; [unrolled: 1-line block ×3, first 2 shown]
	v_max_f32_e32 v5, v133, v133
	v_and_b32_e32 v21, 31, v0
	v_cmp_gt_i32_e32 vcc_lo, 32, v1
	v_cndmask_b32_e32 v1, v132, v1, vcc_lo
	v_cmp_gt_i32_e32 vcc_lo, 32, v3
	v_cndmask_b32_e32 v3, v132, v3, vcc_lo
	s_delay_alu instid0(VALU_DEP_1)
	v_lshlrev_b32_e32 v4, 2, v3
	s_waitcnt lgkmcnt(0)
	v_lshlrev_b32_e32 v2, 2, v1
	ds_bpermute_b32 v1, v2, v133
	s_waitcnt lgkmcnt(0)
	v_max_f32_e32 v1, v1, v1
	s_delay_alu instid0(VALU_DEP_1)
	v_max_f32_e32 v1, v5, v1
	v_xor_b32_e32 v5, 4, v132
	ds_bpermute_b32 v3, v4, v1
	v_cmp_gt_i32_e32 vcc_lo, 32, v5
	v_cndmask_b32_e32 v5, v132, v5, vcc_lo
	v_cmp_gt_i32_e32 vcc_lo, 32, v6
	s_delay_alu instid0(VALU_DEP_2) | instskip(SKIP_1) | instid1(VALU_DEP_2)
	v_dual_cndmask_b32 v6, v132, v6 :: v_dual_lshlrev_b32 v5, 2, v5
	v_cmp_eq_u32_e32 vcc_lo, 0, v21
	v_lshlrev_b32_e32 v22, 2, v6
	s_waitcnt lgkmcnt(0)
	v_dual_max_f32 v3, v3, v3 :: v_dual_lshlrev_b32 v6, 2, v129
	s_delay_alu instid0(VALU_DEP_1) | instskip(SKIP_3) | instid1(VALU_DEP_1)
	v_max_f32_e32 v1, v1, v3
	ds_bpermute_b32 v3, v5, v1
	s_waitcnt lgkmcnt(0)
	v_max_f32_e32 v3, v3, v3
	v_max_f32_e32 v1, v1, v3
	ds_bpermute_b32 v3, v22, v1
	s_and_saveexec_b32 s0, vcc_lo
	s_cbranch_execz .LBB229_341
; %bb.340:
	s_waitcnt lgkmcnt(0)
	v_max_f32_e32 v3, v3, v3
	v_max_f32_e32 v1, v1, v1
	s_delay_alu instid0(VALU_DEP_1)
	v_max_f32_e32 v1, v1, v3
	ds_store_b32 v6, v1 offset:320
.LBB229_341:
	s_or_b32 exec_lo, exec_lo, s0
	v_cmp_gt_u32_e64 s0, 4, v21
	v_mov_b32_e32 v1, 0xff7fffff
	v_lshlrev_b32_e32 v7, 2, v21
	s_waitcnt lgkmcnt(0)
	s_barrier
	buffer_gl0_inv
	s_and_saveexec_b32 s1, s0
	s_cbranch_execz .LBB229_343
; %bb.342:
	ds_load_b32 v1, v7 offset:320
.LBB229_343:
	s_or_b32 exec_lo, exec_lo, s1
	s_waitcnt lgkmcnt(0)
	ds_bpermute_b32 v3, v22, v1
	v_xor_b32_e32 v8, 1, v132
	v_max_f32_e32 v1, v1, v1
	s_delay_alu instid0(VALU_DEP_2) | instskip(NEXT) | instid1(VALU_DEP_1)
	v_cmp_gt_i32_e64 s1, 32, v8
	v_cndmask_b32_e64 v8, v132, v8, s1
	s_sub_i32 s1, s16, s8
	s_delay_alu instid0(SALU_CYCLE_1) | instskip(NEXT) | instid1(VALU_DEP_1)
	s_lshl_b32 s1, s1, 4
	v_dual_mov_b32 v8, 0 :: v_dual_lshlrev_b32 v23, 2, v8
	s_add_i32 s1, s1, s43
	s_delay_alu instid0(SALU_CYCLE_1) | instskip(SKIP_3) | instid1(SALU_CYCLE_1)
	s_min_i32 s1, s1, s33
	s_waitcnt lgkmcnt(0)
	v_max_f32_e32 v3, v3, v3
	s_sub_i32 s4, s1, s43
	v_cmp_gt_i32_e64 s1, s4, v0
	s_delay_alu instid0(VALU_DEP_2) | instskip(SKIP_3) | instid1(VALU_DEP_1)
	v_max_f32_e32 v1, v1, v3
	ds_bpermute_b32 v3, v23, v1
	s_waitcnt lgkmcnt(0)
	v_max_f32_e32 v3, v3, v3
	v_max_f32_e32 v1, v1, v3
	v_lshl_add_u32 v3, v0, 2, 0x160
	ds_bpermute_b32 v1, v8, v1
	s_and_saveexec_b32 s5, s1
	s_cbranch_execz .LBB229_347
; %bb.344:
	v_lshl_add_u32 v9, v0, 2, 0x160
	v_mov_b32_e32 v8, 0
	v_mov_b32_e32 v10, v0
	s_mov_b32 s8, 0
	.p2align	6
.LBB229_345:                            ; =>This Inner Loop Header: Depth=1
	ds_load_b32 v11, v9
	v_add_nc_u32_e32 v10, 0x80, v10
	s_delay_alu instid0(VALU_DEP_1) | instskip(NEXT) | instid1(VALU_DEP_1)
	v_cmp_le_i32_e64 s3, s4, v10
	s_or_b32 s8, s3, s8
	s_waitcnt lgkmcnt(0)
	v_sub_f32_e32 v11, v11, v1
	s_delay_alu instid0(VALU_DEP_1) | instskip(NEXT) | instid1(VALU_DEP_1)
	v_mul_f32_e32 v11, 0x3fb8aa3b, v11
	v_exp_f32_e32 v11, v11
	ds_store_b32 v9, v11
	v_dual_add_f32 v8, v8, v11 :: v_dual_add_nc_u32 v9, 0x200, v9
	s_and_not1_b32 exec_lo, exec_lo, s8
	s_cbranch_execnz .LBB229_345
; %bb.346:
	s_or_b32 exec_lo, exec_lo, s8
.LBB229_347:
	s_delay_alu instid0(SALU_CYCLE_1)
	s_or_b32 exec_lo, exec_lo, s5
	ds_bpermute_b32 v2, v2, v8
	s_waitcnt lgkmcnt(0)
	v_add_f32_e32 v2, v8, v2
	ds_bpermute_b32 v4, v4, v2
	s_waitcnt lgkmcnt(0)
	v_add_f32_e32 v2, v2, v4
	;; [unrolled: 3-line block ×5, first 2 shown]
	s_and_saveexec_b32 s3, vcc_lo
	s_cbranch_execz .LBB229_349
; %bb.348:
	ds_store_b32 v6, v2 offset:336
.LBB229_349:
	s_or_b32 exec_lo, exec_lo, s3
	s_waitcnt lgkmcnt(0)
	s_barrier
	buffer_gl0_inv
	s_and_saveexec_b32 s3, s0
	s_cbranch_execz .LBB229_351
; %bb.350:
	ds_load_b32 v2, v7 offset:336
.LBB229_351:
	s_or_b32 exec_lo, exec_lo, s3
	s_waitcnt lgkmcnt(0)
	ds_bpermute_b32 v4, v22, v2
	s_waitcnt lgkmcnt(0)
	v_add_f32_e32 v2, v2, v4
	ds_bpermute_b32 v4, v23, v2
	s_waitcnt lgkmcnt(0)
	v_add_f32_e32 v2, v2, v4
	v_mov_b32_e32 v4, 0
	ds_bpermute_b32 v2, v4, v2
	s_and_saveexec_b32 s0, s1
	s_cbranch_execz .LBB229_354
; %bb.352:
	s_waitcnt lgkmcnt(0)
	v_add_f32_e32 v4, 0x358637bd, v2
	s_mov_b32 s1, 0
	s_delay_alu instid0(VALU_DEP_1) | instskip(SKIP_1) | instid1(VALU_DEP_2)
	v_div_scale_f32 v5, null, v4, v4, 1.0
	v_div_scale_f32 v8, vcc_lo, 1.0, v4, 1.0
	v_rcp_f32_e32 v6, v5
	s_waitcnt_depctr 0xfff
	v_fma_f32 v7, -v5, v6, 1.0
	s_delay_alu instid0(VALU_DEP_1) | instskip(NEXT) | instid1(VALU_DEP_1)
	v_fmac_f32_e32 v6, v7, v6
	v_mul_f32_e32 v7, v8, v6
	s_delay_alu instid0(VALU_DEP_1) | instskip(NEXT) | instid1(VALU_DEP_1)
	v_fma_f32 v9, -v5, v7, v8
	v_fmac_f32_e32 v7, v9, v6
	s_delay_alu instid0(VALU_DEP_1) | instskip(NEXT) | instid1(VALU_DEP_1)
	v_fma_f32 v5, -v5, v7, v8
	v_div_fmas_f32 v5, v5, v6, v7
	s_delay_alu instid0(VALU_DEP_1)
	v_div_fixup_f32 v4, v5, v4, 1.0
	v_mov_b32_e32 v5, v0
.LBB229_353:                            ; =>This Inner Loop Header: Depth=1
	ds_load_b32 v6, v3
	s_waitcnt lgkmcnt(0)
	v_dual_mul_f32 v6, v4, v6 :: v_dual_add_nc_u32 v5, 0x80, v5
	s_delay_alu instid0(VALU_DEP_1) | instskip(SKIP_3) | instid1(SALU_CYCLE_1)
	v_cmp_le_i32_e32 vcc_lo, s4, v5
	ds_store_b32 v3, v6
	v_add_nc_u32_e32 v3, 0x200, v3
	s_or_b32 s1, vcc_lo, s1
	s_and_not1_b32 exec_lo, exec_lo, s1
	s_cbranch_execnz .LBB229_353
.LBB229_354:
	s_or_b32 exec_lo, exec_lo, s0
	s_mul_i32 s0, s15, s14
	s_waitcnt lgkmcnt(0)
	s_mul_i32 s4, s0, s13
	s_mov_b32 s0, exec_lo
	s_barrier
	buffer_gl0_inv
	v_cmpx_eq_u32_e32 0, v0
	s_cbranch_execz .LBB229_356
; %bb.355:
	s_ashr_i32 s5, s4, 31
	s_mul_i32 s40, s15, s28
	s_lshl_b64 s[10:11], s[4:5], 2
	v_mov_b32_e32 v3, 0
	s_add_u32 s1, s22, s10
	s_addc_u32 s3, s23, s11
	s_ashr_i32 s41, s40, 31
	s_delay_alu instid0(SALU_CYCLE_1) | instskip(NEXT) | instid1(SALU_CYCLE_1)
	s_lshl_b64 s[22:23], s[40:41], 2
	s_add_u32 s1, s1, s22
	s_addc_u32 s3, s3, s23
	s_ashr_i32 s13, s12, 31
	s_delay_alu instid0(SALU_CYCLE_1) | instskip(NEXT) | instid1(SALU_CYCLE_1)
	s_lshl_b64 s[40:41], s[12:13], 2
	s_add_u32 s46, s1, s40
	s_addc_u32 s47, s3, s41
	s_add_u32 s1, s20, s10
	s_addc_u32 s3, s21, s11
	;; [unrolled: 2-line block ×4, first 2 shown]
	s_clause 0x1
	global_store_b32 v3, v1, s[46:47]
	global_store_b32 v3, v2, s[10:11]
.LBB229_356:
	s_or_b32 exec_lo, exec_lo, s0
	v_dual_mov_b32 v34, 0 :: v_dual_mov_b32 v33, 0
	v_dual_mov_b32 v31, 0 :: v_dual_and_b32 v24, 3, v0
	v_dual_mov_b32 v32, 0 :: v_dual_mov_b32 v29, 0
	v_dual_mov_b32 v30, 0 :: v_dual_mov_b32 v27, 0
	v_dual_mov_b32 v28, 0 :: v_dual_mov_b32 v25, 0
	v_mov_b32_e32 v26, 0
	s_mov_b32 s8, 0
	s_and_saveexec_b32 s1, s2
	s_cbranch_execz .LBB229_702
; %bb.357:
	s_sub_i32 s5, s45, s17
	s_ashr_i32 s0, s44, 31
	s_add_u32 s13, s36, s44
	s_addc_u32 s0, s37, s0
	s_abs_i32 s10, s18
	v_dual_mov_b32 v25, 0 :: v_dual_and_b32 v4, 0x7c, v131
	v_cvt_f32_u32_e32 v1, s10
	s_sub_i32 s2, 0, s10
	v_dual_mov_b32 v26, 0 :: v_dual_lshlrev_b32 v5, 4, v24
	s_mov_b32 s11, s9
	s_delay_alu instid0(VALU_DEP_2)
	v_rcp_iflag_f32_e32 v3, v1
	v_lshlrev_b64 v[1:2], 2, v[41:42]
	v_add_co_u32 v7, s9, s13, v4
	s_add_i32 s38, s38, -1
	v_lshl_or_b32 v5, v129, 6, v5
	v_add_co_ci_u32_e64 v8, null, s0, 0, s9
	v_dual_mov_b32 v28, 0 :: v_dual_and_b32 v35, 12, v131
	s_waitcnt_depctr 0xfff
	v_dual_mov_b32 v6, 0 :: v_dual_mul_f32 v3, 0x4f7ffffe, v3
	v_dual_mov_b32 v27, 0 :: v_dual_mov_b32 v30, 0
	v_dual_mov_b32 v29, 0 :: v_dual_mov_b32 v32, 0
	s_delay_alu instid0(VALU_DEP_3) | instskip(SKIP_2) | instid1(VALU_DEP_3)
	v_cvt_u32_f32_e32 v3, v3
	v_dual_mov_b32 v31, 0 :: v_dual_add_nc_u32 v36, 0x160, v5
	v_dual_mov_b32 v33, 0 :: v_dual_mov_b32 v34, 0
	v_mul_lo_u32 v9, s2, v3
	s_lshl_b64 s[2:3], s[34:35], 2
	s_brev_b32 s9, 1
	s_add_u32 s0, s30, s2
	s_addc_u32 s2, s31, s3
	s_mov_b32 s3, 0x7f800001
	s_mov_b32 s13, s8
	s_delay_alu instid0(VALU_DEP_1) | instskip(SKIP_2) | instid1(VALU_DEP_3)
	v_mul_hi_u32 v4, v3, v9
	v_add_co_u32 v9, vcc_lo, s0, v1
	v_add_co_ci_u32_e32 v10, vcc_lo, s2, v2, vcc_lo
	v_add_nc_u32_e32 v37, v3, v4
	s_branch .LBB229_360
.LBB229_358:                            ;   in Loop: Header=BB229_360 Depth=1
	s_or_b32 exec_lo, exec_lo, s0
	v_mul_f32_e32 v15, v2, v74
	v_mul_f32_e32 v17, v2, v66
	;; [unrolled: 1-line block ×3, first 2 shown]
	s_delay_alu instid0(VALU_DEP_3) | instskip(NEXT) | instid1(VALU_DEP_3)
	v_dual_mul_f32 v16, v2, v70 :: v_dual_fmac_f32 v15, v1, v73
	v_dual_fmac_f32 v17, v1, v65 :: v_dual_mul_f32 v18, v2, v62
	s_delay_alu instid0(VALU_DEP_3) | instskip(NEXT) | instid1(VALU_DEP_3)
	v_fmac_f32_e32 v14, v1, v75
	v_dual_fmac_f32 v16, v1, v69 :: v_dual_fmac_f32 v15, v3, v72
	s_delay_alu instid0(VALU_DEP_3) | instskip(NEXT) | instid1(VALU_DEP_3)
	v_dual_fmac_f32 v17, v3, v64 :: v_dual_fmac_f32 v18, v1, v61
	v_fmac_f32_e32 v14, v3, v20
	s_delay_alu instid0(VALU_DEP_3) | instskip(NEXT) | instid1(VALU_DEP_3)
	v_dual_fmac_f32 v16, v3, v68 :: v_dual_fmac_f32 v15, v4, v71
	v_dual_fmac_f32 v17, v4, v63 :: v_dual_fmac_f32 v18, v3, v60
	s_delay_alu instid0(VALU_DEP_3) | instskip(NEXT) | instid1(VALU_DEP_2)
	v_fmac_f32_e32 v14, v4, v19
	v_dual_fmac_f32 v16, v4, v67 :: v_dual_add_f32 v29, v29, v17
	v_mul_f32_e32 v17, v2, v42
	s_delay_alu instid0(VALU_DEP_2) | instskip(SKIP_1) | instid1(VALU_DEP_3)
	v_dual_add_f32 v27, v27, v15 :: v_dual_add_f32 v28, v28, v16
	v_dual_mul_f32 v15, v2, v54 :: v_dual_fmac_f32 v18, v4, v59
	v_dual_add_f32 v26, v26, v14 :: v_dual_fmac_f32 v17, v1, v40
	s_delay_alu instid0(VALU_DEP_2) | instskip(NEXT) | instid1(VALU_DEP_2)
	v_dual_mul_f32 v14, v2, v58 :: v_dual_fmac_f32 v15, v1, v53
	v_dual_add_f32 v30, v30, v18 :: v_dual_fmac_f32 v17, v3, v39
	s_delay_alu instid0(VALU_DEP_2) | instskip(SKIP_1) | instid1(VALU_DEP_3)
	v_dual_fmac_f32 v14, v1, v57 :: v_dual_fmac_f32 v15, v3, v52
	v_mul_f32_e32 v16, v2, v50
	v_dual_mul_f32 v2, v2, v13 :: v_dual_fmac_f32 v17, v4, v38
	s_delay_alu instid0(VALU_DEP_1) | instskip(NEXT) | instid1(VALU_DEP_2)
	v_dual_fmac_f32 v15, v4, v51 :: v_dual_fmac_f32 v2, v1, v12
	v_add_f32_e32 v34, v34, v17
	s_delay_alu instid0(VALU_DEP_2) | instskip(NEXT) | instid1(VALU_DEP_3)
	v_add_f32_e32 v32, v32, v15
	v_fmac_f32_e32 v2, v3, v11
	s_delay_alu instid0(VALU_DEP_1) | instskip(NEXT) | instid1(VALU_DEP_1)
	v_fmac_f32_e32 v2, v4, v5
	v_dual_fmac_f32 v14, v3, v56 :: v_dual_add_f32 v25, v25, v2
	s_delay_alu instid0(VALU_DEP_1) | instskip(NEXT) | instid1(VALU_DEP_1)
	v_fmac_f32_e32 v14, v4, v55
	v_dual_fmac_f32 v16, v1, v49 :: v_dual_add_f32 v31, v31, v14
	s_delay_alu instid0(VALU_DEP_1) | instskip(NEXT) | instid1(VALU_DEP_1)
	v_fmac_f32_e32 v16, v3, v48
	v_fmac_f32_e32 v16, v4, v47
	s_delay_alu instid0(VALU_DEP_1)
	v_add_f32_e32 v33, v33, v16
.LBB229_359:                            ;   in Loop: Header=BB229_360 Depth=1
	s_or_b32 exec_lo, exec_lo, s14
	v_add_nc_u32_e32 v41, 4, v41
	v_add_co_u32 v9, s0, v9, 16
	s_delay_alu instid0(VALU_DEP_1) | instskip(NEXT) | instid1(VALU_DEP_3)
	v_add_co_ci_u32_e64 v10, s0, 0, v10, s0
	v_cmp_le_i32_e32 vcc_lo, s16, v41
	v_add_nc_u32_e32 v130, 64, v130
	v_add_nc_u32_e32 v36, 0x100, v36
	s_or_b32 s13, vcc_lo, s13
	s_delay_alu instid0(SALU_CYCLE_1)
	s_and_not1_b32 exec_lo, exec_lo, s13
	s_cbranch_execz .LBB229_701
.LBB229_360:                            ; =>This Inner Loop Header: Depth=1
	v_sub_nc_u32_e32 v1, 0, v130
	s_delay_alu instid0(VALU_DEP_1) | instskip(NEXT) | instid1(VALU_DEP_1)
	v_max_i32_e32 v1, v130, v1
	v_mul_hi_u32 v2, v1, s29
	s_delay_alu instid0(VALU_DEP_1) | instskip(NEXT) | instid1(VALU_DEP_1)
	v_mul_lo_u32 v3, v2, s25
	v_sub_nc_u32_e32 v1, v1, v3
	v_add_nc_u32_e32 v3, 1, v2
	s_delay_alu instid0(VALU_DEP_2) | instskip(SKIP_1) | instid1(VALU_DEP_2)
	v_subrev_nc_u32_e32 v4, s25, v1
	v_cmp_le_u32_e32 vcc_lo, s25, v1
	v_dual_cndmask_b32 v2, v2, v3 :: v_dual_cndmask_b32 v1, v1, v4
	v_ashrrev_i32_e32 v3, 31, v130
	s_delay_alu instid0(VALU_DEP_2) | instskip(NEXT) | instid1(VALU_DEP_3)
	v_add_nc_u32_e32 v4, 1, v2
	v_cmp_le_u32_e32 vcc_lo, s25, v1
	s_delay_alu instid0(VALU_DEP_3) | instskip(NEXT) | instid1(VALU_DEP_3)
	v_xor_b32_e32 v3, s19, v3
	v_cndmask_b32_e32 v1, v2, v4, vcc_lo
	s_delay_alu instid0(VALU_DEP_1) | instskip(NEXT) | instid1(VALU_DEP_1)
	v_xor_b32_e32 v1, v1, v3
	v_sub_nc_u32_e32 v1, v1, v3
	s_delay_alu instid0(VALU_DEP_1) | instskip(SKIP_1) | instid1(VALU_DEP_2)
	v_add_nc_u32_e32 v2, s42, v1
	v_cmp_lt_i32_e64 s0, s5, v1
	v_sub_nc_u32_e32 v3, 0, v2
	s_delay_alu instid0(VALU_DEP_1) | instskip(NEXT) | instid1(VALU_DEP_1)
	v_max_i32_e32 v3, v2, v3
	v_mul_hi_u32 v4, v3, v37
	s_delay_alu instid0(VALU_DEP_1) | instskip(NEXT) | instid1(VALU_DEP_1)
	v_mul_lo_u32 v4, v4, s10
	v_sub_nc_u32_e32 v3, v3, v4
	s_delay_alu instid0(VALU_DEP_1) | instskip(SKIP_1) | instid1(VALU_DEP_2)
	v_subrev_nc_u32_e32 v4, s10, v3
	v_cmp_le_u32_e32 vcc_lo, s10, v3
	v_cndmask_b32_e32 v3, v3, v4, vcc_lo
	v_ashrrev_i32_e32 v2, 31, v2
	s_delay_alu instid0(VALU_DEP_2) | instskip(SKIP_1) | instid1(VALU_DEP_2)
	v_subrev_nc_u32_e32 v4, s10, v3
	v_cmp_le_u32_e32 vcc_lo, s10, v3
	v_cndmask_b32_e32 v3, v3, v4, vcc_lo
	s_delay_alu instid0(VALU_DEP_1) | instskip(NEXT) | instid1(VALU_DEP_1)
	v_xor_b32_e32 v3, v3, v2
	v_sub_nc_u32_e32 v2, v3, v2
	s_delay_alu instid0(VALU_DEP_1) | instskip(SKIP_1) | instid1(SALU_CYCLE_1)
	v_cmp_eq_u32_e32 vcc_lo, 0, v2
	s_or_b32 s0, vcc_lo, s0
	s_and_saveexec_b32 s14, s0
	s_cbranch_execz .LBB229_359
; %bb.361:                              ;   in Loop: Header=BB229_360 Depth=1
	global_load_b32 v1, v[9:10], off
	s_load_b32 s17, s[6:7], 0x0
	v_mov_b32_e32 v15, 0
	s_mov_b32 s0, exec_lo
	s_waitcnt vmcnt(0)
	v_mad_i64_i32 v[11:12], null, v1, s11, v[7:8]
	ds_load_b128 v[1:4], v36
	global_load_b32 v38, v[11:12], off
	s_waitcnt vmcnt(0)
	v_dual_mov_b32 v16, 0 :: v_dual_and_b32 v5, 0xff, v38
	s_delay_alu instid0(VALU_DEP_1) | instskip(NEXT) | instid1(VALU_DEP_2)
	v_dual_mov_b32 v13, v15 :: v_dual_mov_b32 v14, v16
	v_cmpx_ne_u16_e32 0, v5
	s_cbranch_execz .LBB229_369
; %bb.362:                              ;   in Loop: Header=BB229_360 Depth=1
	v_bfrev_b32_e32 v13, 1
	v_mov_b32_e32 v14, 0
	s_mov_b32 s2, exec_lo
	v_cmpx_ne_u16_e32 0x80, v5
	s_cbranch_execz .LBB229_368
; %bb.363:                              ;   in Loop: Header=BB229_360 Depth=1
	v_mov_b32_e32 v13, 0x7f800001
	v_dual_mov_b32 v14, 0 :: v_dual_and_b32 v17, 0x7f, v38
	s_mov_b32 s18, exec_lo
	s_delay_alu instid0(VALU_DEP_1)
	v_cmpx_ne_u32_e32 0x7f, v17
	s_cbranch_execz .LBB229_367
; %bb.364:                              ;   in Loop: Header=BB229_360 Depth=1
	v_and_b32_e32 v5, 7, v38
	v_lshrrev_b32_e32 v13, 3, v17
	s_mov_b32 s20, exec_lo
	v_cmpx_gt_u32_e32 8, v17
; %bb.365:                              ;   in Loop: Header=BB229_360 Depth=1
	s_delay_alu instid0(VALU_DEP_3) | instskip(NEXT) | instid1(VALU_DEP_1)
	v_clz_i32_u32_e32 v13, v5
	v_min_u32_e32 v13, 32, v13
	s_delay_alu instid0(VALU_DEP_1) | instskip(SKIP_1) | instid1(VALU_DEP_2)
	v_subrev_nc_u32_e32 v14, 28, v13
	v_sub_nc_u32_e32 v13, 29, v13
	v_lshlrev_b64 v[17:18], v14, v[5:6]
	s_delay_alu instid0(VALU_DEP_1)
	v_and_b32_e32 v5, 7, v17
; %bb.366:                              ;   in Loop: Header=BB229_360 Depth=1
	s_or_b32 exec_lo, exec_lo, s20
	v_lshlrev_b32_e32 v14, 24, v38
	s_delay_alu instid0(VALU_DEP_2) | instskip(SKIP_1) | instid1(VALU_DEP_3)
	v_lshlrev_b32_e32 v5, 20, v5
	v_lshl_add_u32 v13, v13, 23, 0x3c000000
	v_and_b32_e32 v14, 0x80000000, v14
	s_delay_alu instid0(VALU_DEP_1) | instskip(NEXT) | instid1(VALU_DEP_1)
	v_or3_b32 v5, v5, v14, v13
	v_dual_mov_b32 v14, v6 :: v_dual_mov_b32 v13, v5
.LBB229_367:                            ;   in Loop: Header=BB229_360 Depth=1
	s_or_b32 exec_lo, exec_lo, s18
.LBB229_368:                            ;   in Loop: Header=BB229_360 Depth=1
	s_delay_alu instid0(SALU_CYCLE_1)
	s_or_b32 exec_lo, exec_lo, s2
.LBB229_369:                            ;   in Loop: Header=BB229_360 Depth=1
	s_delay_alu instid0(SALU_CYCLE_1) | instskip(SKIP_2) | instid1(VALU_DEP_1)
	s_or_b32 exec_lo, exec_lo, s0
	v_lshrrev_b16 v5, 8, v38
	s_mov_b32 s0, exec_lo
	v_cmpx_ne_u16_e32 0, v5
	s_cbranch_execz .LBB229_377
; %bb.370:                              ;   in Loop: Header=BB229_360 Depth=1
	v_dual_mov_b32 v16, s9 :: v_dual_mov_b32 v15, s8
	s_mov_b32 s18, exec_lo
	v_cmpx_ne_u16_e32 0x80, v5
	s_cbranch_execz .LBB229_376
; %bb.371:                              ;   in Loop: Header=BB229_360 Depth=1
	s_mov_b32 s2, s8
	v_dual_mov_b32 v16, s3 :: v_dual_and_b32 v5, 0xffff, v5
	v_mov_b32_e32 v15, s2
	s_mov_b32 s2, exec_lo
	s_delay_alu instid0(VALU_DEP_2) | instskip(NEXT) | instid1(VALU_DEP_1)
	v_and_b32_e32 v17, 0x7f, v5
	v_cmpx_ne_u32_e32 0x7f, v17
	s_cbranch_execz .LBB229_375
; %bb.372:                              ;   in Loop: Header=BB229_360 Depth=1
	v_and_b32_e32 v5, 7, v5
	v_lshrrev_b32_e32 v15, 3, v17
	s_mov_b32 s20, exec_lo
	v_cmpx_gt_u32_e32 8, v17
; %bb.373:                              ;   in Loop: Header=BB229_360 Depth=1
	s_delay_alu instid0(VALU_DEP_3) | instskip(NEXT) | instid1(VALU_DEP_1)
	v_clz_i32_u32_e32 v15, v5
	v_min_u32_e32 v15, 32, v15
	s_delay_alu instid0(VALU_DEP_1) | instskip(SKIP_1) | instid1(VALU_DEP_2)
	v_subrev_nc_u32_e32 v16, 28, v15
	v_sub_nc_u32_e32 v15, 29, v15
	v_lshlrev_b64 v[16:17], v16, v[5:6]
	s_delay_alu instid0(VALU_DEP_1)
	v_and_b32_e32 v5, 7, v16
; %bb.374:                              ;   in Loop: Header=BB229_360 Depth=1
	s_or_b32 exec_lo, exec_lo, s20
	v_lshlrev_b32_e32 v16, 16, v38
	s_delay_alu instid0(VALU_DEP_2) | instskip(SKIP_1) | instid1(VALU_DEP_3)
	v_lshlrev_b32_e32 v5, 20, v5
	v_lshl_add_u32 v15, v15, 23, 0x3c000000
	v_and_b32_e32 v16, 0x80000000, v16
	s_delay_alu instid0(VALU_DEP_1)
	v_or3_b32 v16, v5, v16, v15
	v_mov_b32_e32 v15, v6
.LBB229_375:                            ;   in Loop: Header=BB229_360 Depth=1
	s_or_b32 exec_lo, exec_lo, s2
.LBB229_376:                            ;   in Loop: Header=BB229_360 Depth=1
	s_delay_alu instid0(SALU_CYCLE_1)
	s_or_b32 exec_lo, exec_lo, s18
.LBB229_377:                            ;   in Loop: Header=BB229_360 Depth=1
	s_delay_alu instid0(SALU_CYCLE_1) | instskip(SKIP_4) | instid1(VALU_DEP_2)
	s_or_b32 exec_lo, exec_lo, s0
	v_mov_b32_e32 v19, 0
	v_lshrrev_b32_e32 v39, 16, v38
	v_mov_b32_e32 v20, 0
	s_mov_b32 s0, exec_lo
	v_and_b32_e32 v5, 0xff, v39
	s_delay_alu instid0(VALU_DEP_2) | instskip(NEXT) | instid1(VALU_DEP_2)
	v_dual_mov_b32 v17, v19 :: v_dual_mov_b32 v18, v20
	v_cmpx_ne_u16_e32 0, v5
	s_cbranch_execz .LBB229_385
; %bb.378:                              ;   in Loop: Header=BB229_360 Depth=1
	v_bfrev_b32_e32 v17, 1
	v_mov_b32_e32 v18, 0
	s_mov_b32 s2, exec_lo
	v_cmpx_ne_u16_e32 0x80, v5
	s_cbranch_execz .LBB229_384
; %bb.379:                              ;   in Loop: Header=BB229_360 Depth=1
	v_mov_b32_e32 v17, 0x7f800001
	v_bfe_u32 v40, v38, 16, 7
	v_mov_b32_e32 v18, 0
	s_mov_b32 s18, exec_lo
	s_delay_alu instid0(VALU_DEP_2)
	v_cmpx_ne_u32_e32 0x7f, v40
	s_cbranch_execz .LBB229_383
; %bb.380:                              ;   in Loop: Header=BB229_360 Depth=1
	v_and_b32_e32 v5, 7, v39
	v_lshrrev_b32_e32 v17, 3, v40
	s_mov_b32 s20, exec_lo
	v_cmpx_gt_u32_e32 8, v40
; %bb.381:                              ;   in Loop: Header=BB229_360 Depth=1
	s_delay_alu instid0(VALU_DEP_3) | instskip(NEXT) | instid1(VALU_DEP_1)
	v_clz_i32_u32_e32 v17, v5
	v_min_u32_e32 v17, 32, v17
	s_delay_alu instid0(VALU_DEP_1) | instskip(SKIP_1) | instid1(VALU_DEP_2)
	v_subrev_nc_u32_e32 v18, 28, v17
	v_sub_nc_u32_e32 v17, 29, v17
	v_lshlrev_b64 v[42:43], v18, v[5:6]
	s_delay_alu instid0(VALU_DEP_1)
	v_and_b32_e32 v5, 7, v42
; %bb.382:                              ;   in Loop: Header=BB229_360 Depth=1
	s_or_b32 exec_lo, exec_lo, s20
	v_lshlrev_b32_e32 v18, 24, v39
	s_delay_alu instid0(VALU_DEP_2) | instskip(SKIP_1) | instid1(VALU_DEP_3)
	v_lshlrev_b32_e32 v5, 20, v5
	v_lshl_add_u32 v17, v17, 23, 0x3c000000
	v_and_b32_e32 v18, 0x80000000, v18
	s_delay_alu instid0(VALU_DEP_1) | instskip(NEXT) | instid1(VALU_DEP_1)
	v_or3_b32 v5, v5, v18, v17
	v_dual_mov_b32 v18, v6 :: v_dual_mov_b32 v17, v5
.LBB229_383:                            ;   in Loop: Header=BB229_360 Depth=1
	s_or_b32 exec_lo, exec_lo, s18
.LBB229_384:                            ;   in Loop: Header=BB229_360 Depth=1
	s_delay_alu instid0(SALU_CYCLE_1)
	s_or_b32 exec_lo, exec_lo, s2
.LBB229_385:                            ;   in Loop: Header=BB229_360 Depth=1
	s_delay_alu instid0(SALU_CYCLE_1) | instskip(NEXT) | instid1(SALU_CYCLE_1)
	s_or_b32 exec_lo, exec_lo, s0
	s_mov_b32 s0, exec_lo
	v_cmpx_lt_u32_e32 0xffffff, v38
	s_cbranch_execz .LBB229_393
; %bb.386:                              ;   in Loop: Header=BB229_360 Depth=1
	v_lshrrev_b32_e32 v39, 24, v38
	v_dual_mov_b32 v20, s9 :: v_dual_mov_b32 v19, s8
	s_mov_b32 s18, exec_lo
	s_delay_alu instid0(VALU_DEP_2)
	v_cmpx_ne_u32_e32 0x80, v39
	s_cbranch_execz .LBB229_392
; %bb.387:                              ;   in Loop: Header=BB229_360 Depth=1
	s_mov_b32 s2, s8
	v_bfe_u32 v38, v38, 24, 7
	v_dual_mov_b32 v20, s3 :: v_dual_mov_b32 v19, s2
	s_mov_b32 s2, exec_lo
	s_delay_alu instid0(VALU_DEP_2)
	v_cmpx_ne_u32_e32 0x7f, v38
	s_cbranch_execz .LBB229_391
; %bb.388:                              ;   in Loop: Header=BB229_360 Depth=1
	v_and_b32_e32 v5, 7, v39
	v_lshrrev_b32_e32 v19, 3, v38
	s_mov_b32 s20, exec_lo
	v_cmpx_gt_u32_e32 8, v38
; %bb.389:                              ;   in Loop: Header=BB229_360 Depth=1
	s_delay_alu instid0(VALU_DEP_3) | instskip(NEXT) | instid1(VALU_DEP_1)
	v_clz_i32_u32_e32 v19, v5
	v_min_u32_e32 v19, 32, v19
	s_delay_alu instid0(VALU_DEP_1) | instskip(SKIP_1) | instid1(VALU_DEP_2)
	v_subrev_nc_u32_e32 v20, 28, v19
	v_sub_nc_u32_e32 v19, 29, v19
	v_lshlrev_b64 v[42:43], v20, v[5:6]
	s_delay_alu instid0(VALU_DEP_1)
	v_and_b32_e32 v5, 7, v42
; %bb.390:                              ;   in Loop: Header=BB229_360 Depth=1
	s_or_b32 exec_lo, exec_lo, s20
	v_lshlrev_b32_e32 v20, 24, v39
	s_delay_alu instid0(VALU_DEP_2) | instskip(SKIP_1) | instid1(VALU_DEP_3)
	v_lshlrev_b32_e32 v5, 20, v5
	v_lshl_add_u32 v19, v19, 23, 0x3c000000
	v_and_b32_e32 v20, 0x80000000, v20
	s_delay_alu instid0(VALU_DEP_1)
	v_or3_b32 v20, v5, v20, v19
	v_mov_b32_e32 v19, v6
.LBB229_391:                            ;   in Loop: Header=BB229_360 Depth=1
	s_or_b32 exec_lo, exec_lo, s2
.LBB229_392:                            ;   in Loop: Header=BB229_360 Depth=1
	s_delay_alu instid0(SALU_CYCLE_1)
	s_or_b32 exec_lo, exec_lo, s18
.LBB229_393:                            ;   in Loop: Header=BB229_360 Depth=1
	s_delay_alu instid0(SALU_CYCLE_1)
	s_or_b32 exec_lo, exec_lo, s0
	v_or_b32_e32 v5, v16, v14
	v_add_nc_u32_e32 v43, v35, v130
	v_or_b32_e32 v13, v15, v13
	v_or_b32_e32 v14, v20, v18
	v_or_b32_e32 v15, v19, v17
	s_waitcnt lgkmcnt(0)
	v_mul_f32_e32 v42, s17, v5
	v_cmp_eq_u32_e32 vcc_lo, s38, v41
	v_mul_f32_e32 v40, s17, v13
	v_dual_mul_f32 v38, s17, v14 :: v_dual_add_nc_u32 v45, 2, v43
	v_mul_f32_e32 v39, s17, v15
	v_add_nc_u32_e32 v46, 1, v43
	v_add_nc_u32_e32 v44, 3, v43
	s_and_saveexec_b32 s2, vcc_lo
; %bb.394:                              ;   in Loop: Header=BB229_360 Depth=1
	v_cmp_gt_i32_e64 s0, s33, v43
	s_delay_alu instid0(VALU_DEP_1) | instskip(SKIP_1) | instid1(VALU_DEP_1)
	v_cndmask_b32_e64 v40, 0, v40, s0
	v_cmp_gt_i32_e64 s0, s33, v46
	v_cndmask_b32_e64 v42, 0, v42, s0
	v_cmp_gt_i32_e64 s0, s33, v45
	s_delay_alu instid0(VALU_DEP_1) | instskip(SKIP_1) | instid1(VALU_DEP_1)
	v_cndmask_b32_e64 v39, 0, v39, s0
	v_cmp_gt_i32_e64 s0, s33, v44
	v_cndmask_b32_e64 v38, 0, v38, s0
; %bb.395:                              ;   in Loop: Header=BB229_360 Depth=1
	s_or_b32 exec_lo, exec_lo, s2
	global_load_b32 v47, v[11:12], off offset:128
	v_mov_b32_e32 v15, 0
	v_mov_b32_e32 v16, 0
	s_mov_b32 s2, exec_lo
	s_waitcnt vmcnt(0)
	v_and_b32_e32 v5, 0xff, v47
	s_delay_alu instid0(VALU_DEP_2) | instskip(NEXT) | instid1(VALU_DEP_2)
	v_dual_mov_b32 v13, v15 :: v_dual_mov_b32 v14, v16
	v_cmpx_ne_u16_e32 0, v5
	s_cbranch_execz .LBB229_403
; %bb.396:                              ;   in Loop: Header=BB229_360 Depth=1
	v_bfrev_b32_e32 v13, 1
	v_mov_b32_e32 v14, 0
	s_mov_b32 s18, exec_lo
	v_cmpx_ne_u16_e32 0x80, v5
	s_cbranch_execz .LBB229_402
; %bb.397:                              ;   in Loop: Header=BB229_360 Depth=1
	v_mov_b32_e32 v13, 0x7f800001
	v_dual_mov_b32 v14, 0 :: v_dual_and_b32 v17, 0x7f, v47
	s_mov_b32 s20, exec_lo
	s_delay_alu instid0(VALU_DEP_1)
	v_cmpx_ne_u32_e32 0x7f, v17
	s_cbranch_execz .LBB229_401
; %bb.398:                              ;   in Loop: Header=BB229_360 Depth=1
	v_and_b32_e32 v5, 7, v47
	v_lshrrev_b32_e32 v13, 3, v17
	s_mov_b32 s21, exec_lo
	v_cmpx_gt_u32_e32 8, v17
; %bb.399:                              ;   in Loop: Header=BB229_360 Depth=1
	s_delay_alu instid0(VALU_DEP_3) | instskip(NEXT) | instid1(VALU_DEP_1)
	v_clz_i32_u32_e32 v13, v5
	v_min_u32_e32 v13, 32, v13
	s_delay_alu instid0(VALU_DEP_1) | instskip(SKIP_1) | instid1(VALU_DEP_2)
	v_subrev_nc_u32_e32 v14, 28, v13
	v_sub_nc_u32_e32 v13, 29, v13
	v_lshlrev_b64 v[17:18], v14, v[5:6]
	s_delay_alu instid0(VALU_DEP_1)
	v_and_b32_e32 v5, 7, v17
; %bb.400:                              ;   in Loop: Header=BB229_360 Depth=1
	s_or_b32 exec_lo, exec_lo, s21
	v_lshlrev_b32_e32 v14, 24, v47
	s_delay_alu instid0(VALU_DEP_2) | instskip(SKIP_1) | instid1(VALU_DEP_3)
	v_lshlrev_b32_e32 v5, 20, v5
	v_lshl_add_u32 v13, v13, 23, 0x3c000000
	v_and_b32_e32 v14, 0x80000000, v14
	s_delay_alu instid0(VALU_DEP_1) | instskip(NEXT) | instid1(VALU_DEP_1)
	v_or3_b32 v5, v5, v14, v13
	v_dual_mov_b32 v14, v6 :: v_dual_mov_b32 v13, v5
.LBB229_401:                            ;   in Loop: Header=BB229_360 Depth=1
	s_or_b32 exec_lo, exec_lo, s20
.LBB229_402:                            ;   in Loop: Header=BB229_360 Depth=1
	s_delay_alu instid0(SALU_CYCLE_1)
	s_or_b32 exec_lo, exec_lo, s18
.LBB229_403:                            ;   in Loop: Header=BB229_360 Depth=1
	s_delay_alu instid0(SALU_CYCLE_1) | instskip(SKIP_2) | instid1(VALU_DEP_1)
	s_or_b32 exec_lo, exec_lo, s2
	v_lshrrev_b16 v5, 8, v47
	s_mov_b32 s18, exec_lo
	v_cmpx_ne_u16_e32 0, v5
	s_cbranch_execz .LBB229_411
; %bb.404:                              ;   in Loop: Header=BB229_360 Depth=1
	v_dual_mov_b32 v16, s9 :: v_dual_mov_b32 v15, s8
	s_mov_b32 s20, exec_lo
	v_cmpx_ne_u16_e32 0x80, v5
	s_cbranch_execz .LBB229_410
; %bb.405:                              ;   in Loop: Header=BB229_360 Depth=1
	s_mov_b32 s2, s8
	v_dual_mov_b32 v16, s3 :: v_dual_and_b32 v5, 0xffff, v5
	v_mov_b32_e32 v15, s2
	s_mov_b32 s2, exec_lo
	s_delay_alu instid0(VALU_DEP_2) | instskip(NEXT) | instid1(VALU_DEP_1)
	v_and_b32_e32 v17, 0x7f, v5
	v_cmpx_ne_u32_e32 0x7f, v17
	s_cbranch_execz .LBB229_409
; %bb.406:                              ;   in Loop: Header=BB229_360 Depth=1
	v_and_b32_e32 v5, 7, v5
	v_lshrrev_b32_e32 v15, 3, v17
	s_mov_b32 s21, exec_lo
	v_cmpx_gt_u32_e32 8, v17
; %bb.407:                              ;   in Loop: Header=BB229_360 Depth=1
	s_delay_alu instid0(VALU_DEP_3) | instskip(NEXT) | instid1(VALU_DEP_1)
	v_clz_i32_u32_e32 v15, v5
	v_min_u32_e32 v15, 32, v15
	s_delay_alu instid0(VALU_DEP_1) | instskip(SKIP_1) | instid1(VALU_DEP_2)
	v_subrev_nc_u32_e32 v16, 28, v15
	v_sub_nc_u32_e32 v15, 29, v15
	v_lshlrev_b64 v[16:17], v16, v[5:6]
	s_delay_alu instid0(VALU_DEP_1)
	v_and_b32_e32 v5, 7, v16
; %bb.408:                              ;   in Loop: Header=BB229_360 Depth=1
	s_or_b32 exec_lo, exec_lo, s21
	v_lshlrev_b32_e32 v16, 16, v47
	s_delay_alu instid0(VALU_DEP_2) | instskip(SKIP_1) | instid1(VALU_DEP_3)
	v_lshlrev_b32_e32 v5, 20, v5
	v_lshl_add_u32 v15, v15, 23, 0x3c000000
	v_and_b32_e32 v16, 0x80000000, v16
	s_delay_alu instid0(VALU_DEP_1)
	v_or3_b32 v16, v5, v16, v15
	v_mov_b32_e32 v15, v6
.LBB229_409:                            ;   in Loop: Header=BB229_360 Depth=1
	s_or_b32 exec_lo, exec_lo, s2
.LBB229_410:                            ;   in Loop: Header=BB229_360 Depth=1
	s_delay_alu instid0(SALU_CYCLE_1)
	s_or_b32 exec_lo, exec_lo, s20
.LBB229_411:                            ;   in Loop: Header=BB229_360 Depth=1
	s_delay_alu instid0(SALU_CYCLE_1) | instskip(SKIP_4) | instid1(VALU_DEP_2)
	s_or_b32 exec_lo, exec_lo, s18
	v_mov_b32_e32 v19, 0
	v_lshrrev_b32_e32 v48, 16, v47
	v_mov_b32_e32 v20, 0
	s_mov_b32 s2, exec_lo
	v_and_b32_e32 v5, 0xff, v48
	s_delay_alu instid0(VALU_DEP_2) | instskip(NEXT) | instid1(VALU_DEP_2)
	v_dual_mov_b32 v17, v19 :: v_dual_mov_b32 v18, v20
	v_cmpx_ne_u16_e32 0, v5
	s_cbranch_execz .LBB229_419
; %bb.412:                              ;   in Loop: Header=BB229_360 Depth=1
	v_bfrev_b32_e32 v17, 1
	v_mov_b32_e32 v18, 0
	s_mov_b32 s18, exec_lo
	v_cmpx_ne_u16_e32 0x80, v5
	s_cbranch_execz .LBB229_418
; %bb.413:                              ;   in Loop: Header=BB229_360 Depth=1
	v_mov_b32_e32 v17, 0x7f800001
	v_bfe_u32 v49, v47, 16, 7
	v_mov_b32_e32 v18, 0
	s_mov_b32 s20, exec_lo
	s_delay_alu instid0(VALU_DEP_2)
	v_cmpx_ne_u32_e32 0x7f, v49
	s_cbranch_execz .LBB229_417
; %bb.414:                              ;   in Loop: Header=BB229_360 Depth=1
	v_and_b32_e32 v5, 7, v48
	v_lshrrev_b32_e32 v17, 3, v49
	s_mov_b32 s21, exec_lo
	v_cmpx_gt_u32_e32 8, v49
; %bb.415:                              ;   in Loop: Header=BB229_360 Depth=1
	s_delay_alu instid0(VALU_DEP_3) | instskip(NEXT) | instid1(VALU_DEP_1)
	v_clz_i32_u32_e32 v17, v5
	v_min_u32_e32 v17, 32, v17
	s_delay_alu instid0(VALU_DEP_1) | instskip(SKIP_1) | instid1(VALU_DEP_2)
	v_subrev_nc_u32_e32 v18, 28, v17
	v_sub_nc_u32_e32 v17, 29, v17
	v_lshlrev_b64 v[49:50], v18, v[5:6]
	s_delay_alu instid0(VALU_DEP_1)
	v_and_b32_e32 v5, 7, v49
; %bb.416:                              ;   in Loop: Header=BB229_360 Depth=1
	s_or_b32 exec_lo, exec_lo, s21
	v_lshlrev_b32_e32 v18, 24, v48
	s_delay_alu instid0(VALU_DEP_2) | instskip(SKIP_1) | instid1(VALU_DEP_3)
	v_lshlrev_b32_e32 v5, 20, v5
	v_lshl_add_u32 v17, v17, 23, 0x3c000000
	v_and_b32_e32 v18, 0x80000000, v18
	s_delay_alu instid0(VALU_DEP_1) | instskip(NEXT) | instid1(VALU_DEP_1)
	v_or3_b32 v5, v5, v18, v17
	v_dual_mov_b32 v18, v6 :: v_dual_mov_b32 v17, v5
.LBB229_417:                            ;   in Loop: Header=BB229_360 Depth=1
	s_or_b32 exec_lo, exec_lo, s20
.LBB229_418:                            ;   in Loop: Header=BB229_360 Depth=1
	s_delay_alu instid0(SALU_CYCLE_1)
	s_or_b32 exec_lo, exec_lo, s18
.LBB229_419:                            ;   in Loop: Header=BB229_360 Depth=1
	s_delay_alu instid0(SALU_CYCLE_1) | instskip(NEXT) | instid1(SALU_CYCLE_1)
	s_or_b32 exec_lo, exec_lo, s2
	s_mov_b32 s18, exec_lo
	v_cmpx_lt_u32_e32 0xffffff, v47
	s_cbranch_execz .LBB229_427
; %bb.420:                              ;   in Loop: Header=BB229_360 Depth=1
	v_lshrrev_b32_e32 v48, 24, v47
	v_dual_mov_b32 v20, s9 :: v_dual_mov_b32 v19, s8
	s_mov_b32 s20, exec_lo
	s_delay_alu instid0(VALU_DEP_2)
	v_cmpx_ne_u32_e32 0x80, v48
	s_cbranch_execz .LBB229_426
; %bb.421:                              ;   in Loop: Header=BB229_360 Depth=1
	s_mov_b32 s2, s8
	v_bfe_u32 v47, v47, 24, 7
	v_dual_mov_b32 v20, s3 :: v_dual_mov_b32 v19, s2
	s_mov_b32 s2, exec_lo
	s_delay_alu instid0(VALU_DEP_2)
	v_cmpx_ne_u32_e32 0x7f, v47
	s_cbranch_execz .LBB229_425
; %bb.422:                              ;   in Loop: Header=BB229_360 Depth=1
	v_and_b32_e32 v5, 7, v48
	v_lshrrev_b32_e32 v19, 3, v47
	s_mov_b32 s21, exec_lo
	v_cmpx_gt_u32_e32 8, v47
; %bb.423:                              ;   in Loop: Header=BB229_360 Depth=1
	s_delay_alu instid0(VALU_DEP_3) | instskip(NEXT) | instid1(VALU_DEP_1)
	v_clz_i32_u32_e32 v19, v5
	v_min_u32_e32 v19, 32, v19
	s_delay_alu instid0(VALU_DEP_1) | instskip(SKIP_1) | instid1(VALU_DEP_2)
	v_subrev_nc_u32_e32 v20, 28, v19
	v_sub_nc_u32_e32 v19, 29, v19
	v_lshlrev_b64 v[49:50], v20, v[5:6]
	s_delay_alu instid0(VALU_DEP_1)
	v_and_b32_e32 v5, 7, v49
; %bb.424:                              ;   in Loop: Header=BB229_360 Depth=1
	s_or_b32 exec_lo, exec_lo, s21
	v_lshlrev_b32_e32 v20, 24, v48
	s_delay_alu instid0(VALU_DEP_2) | instskip(SKIP_1) | instid1(VALU_DEP_3)
	v_lshlrev_b32_e32 v5, 20, v5
	v_lshl_add_u32 v19, v19, 23, 0x3c000000
	v_and_b32_e32 v20, 0x80000000, v20
	s_delay_alu instid0(VALU_DEP_1)
	v_or3_b32 v20, v5, v20, v19
	v_mov_b32_e32 v19, v6
.LBB229_425:                            ;   in Loop: Header=BB229_360 Depth=1
	s_or_b32 exec_lo, exec_lo, s2
.LBB229_426:                            ;   in Loop: Header=BB229_360 Depth=1
	s_delay_alu instid0(SALU_CYCLE_1)
	s_or_b32 exec_lo, exec_lo, s20
.LBB229_427:                            ;   in Loop: Header=BB229_360 Depth=1
	s_delay_alu instid0(SALU_CYCLE_1)
	s_or_b32 exec_lo, exec_lo, s18
	v_or_b32_e32 v5, v16, v14
	v_or_b32_e32 v13, v15, v13
	;; [unrolled: 1-line block ×4, first 2 shown]
	s_mov_b32 s18, s17
	s_delay_alu instid0(VALU_DEP_2) | instid1(SALU_CYCLE_1)
	v_dual_mul_f32 v50, s18, v5 :: v_dual_mul_f32 v47, s18, v14
	s_delay_alu instid0(VALU_DEP_2)
	v_dual_mul_f32 v49, s17, v13 :: v_dual_mul_f32 v48, s17, v15
	s_and_saveexec_b32 s2, vcc_lo
; %bb.428:                              ;   in Loop: Header=BB229_360 Depth=1
	v_cmp_gt_i32_e64 s0, s33, v43
	s_delay_alu instid0(VALU_DEP_1) | instskip(SKIP_1) | instid1(VALU_DEP_1)
	v_cndmask_b32_e64 v49, 0, v49, s0
	v_cmp_gt_i32_e64 s0, s33, v46
	v_cndmask_b32_e64 v50, 0, v50, s0
	v_cmp_gt_i32_e64 s0, s33, v45
	s_delay_alu instid0(VALU_DEP_1) | instskip(SKIP_1) | instid1(VALU_DEP_1)
	v_cndmask_b32_e64 v48, 0, v48, s0
	v_cmp_gt_i32_e64 s0, s33, v44
	v_cndmask_b32_e64 v47, 0, v47, s0
; %bb.429:                              ;   in Loop: Header=BB229_360 Depth=1
	s_or_b32 exec_lo, exec_lo, s2
	global_load_b32 v51, v[11:12], off offset:256
	v_mov_b32_e32 v15, 0
	v_mov_b32_e32 v16, 0
	s_mov_b32 s2, exec_lo
	s_waitcnt vmcnt(0)
	v_and_b32_e32 v5, 0xff, v51
	s_delay_alu instid0(VALU_DEP_2) | instskip(NEXT) | instid1(VALU_DEP_2)
	v_dual_mov_b32 v13, v15 :: v_dual_mov_b32 v14, v16
	v_cmpx_ne_u16_e32 0, v5
	s_cbranch_execz .LBB229_437
; %bb.430:                              ;   in Loop: Header=BB229_360 Depth=1
	v_bfrev_b32_e32 v13, 1
	v_mov_b32_e32 v14, 0
	s_mov_b32 s20, exec_lo
	v_cmpx_ne_u16_e32 0x80, v5
	s_cbranch_execz .LBB229_436
; %bb.431:                              ;   in Loop: Header=BB229_360 Depth=1
	v_mov_b32_e32 v13, 0x7f800001
	v_dual_mov_b32 v14, 0 :: v_dual_and_b32 v17, 0x7f, v51
	s_mov_b32 s21, exec_lo
	s_delay_alu instid0(VALU_DEP_1)
	v_cmpx_ne_u32_e32 0x7f, v17
	s_cbranch_execz .LBB229_435
; %bb.432:                              ;   in Loop: Header=BB229_360 Depth=1
	v_and_b32_e32 v5, 7, v51
	v_lshrrev_b32_e32 v13, 3, v17
	s_mov_b32 s22, exec_lo
	v_cmpx_gt_u32_e32 8, v17
; %bb.433:                              ;   in Loop: Header=BB229_360 Depth=1
	s_delay_alu instid0(VALU_DEP_3) | instskip(NEXT) | instid1(VALU_DEP_1)
	v_clz_i32_u32_e32 v13, v5
	v_min_u32_e32 v13, 32, v13
	s_delay_alu instid0(VALU_DEP_1) | instskip(SKIP_1) | instid1(VALU_DEP_2)
	v_subrev_nc_u32_e32 v14, 28, v13
	v_sub_nc_u32_e32 v13, 29, v13
	v_lshlrev_b64 v[17:18], v14, v[5:6]
	s_delay_alu instid0(VALU_DEP_1)
	v_and_b32_e32 v5, 7, v17
; %bb.434:                              ;   in Loop: Header=BB229_360 Depth=1
	s_or_b32 exec_lo, exec_lo, s22
	v_lshlrev_b32_e32 v14, 24, v51
	s_delay_alu instid0(VALU_DEP_2) | instskip(SKIP_1) | instid1(VALU_DEP_3)
	v_lshlrev_b32_e32 v5, 20, v5
	v_lshl_add_u32 v13, v13, 23, 0x3c000000
	v_and_b32_e32 v14, 0x80000000, v14
	s_delay_alu instid0(VALU_DEP_1) | instskip(NEXT) | instid1(VALU_DEP_1)
	v_or3_b32 v5, v5, v14, v13
	v_dual_mov_b32 v14, v6 :: v_dual_mov_b32 v13, v5
.LBB229_435:                            ;   in Loop: Header=BB229_360 Depth=1
	s_or_b32 exec_lo, exec_lo, s21
.LBB229_436:                            ;   in Loop: Header=BB229_360 Depth=1
	s_delay_alu instid0(SALU_CYCLE_1)
	s_or_b32 exec_lo, exec_lo, s20
.LBB229_437:                            ;   in Loop: Header=BB229_360 Depth=1
	s_delay_alu instid0(SALU_CYCLE_1) | instskip(SKIP_2) | instid1(VALU_DEP_1)
	s_or_b32 exec_lo, exec_lo, s2
	v_lshrrev_b16 v5, 8, v51
	s_mov_b32 s20, exec_lo
	v_cmpx_ne_u16_e32 0, v5
	s_cbranch_execz .LBB229_445
; %bb.438:                              ;   in Loop: Header=BB229_360 Depth=1
	v_dual_mov_b32 v16, s9 :: v_dual_mov_b32 v15, s8
	s_mov_b32 s21, exec_lo
	v_cmpx_ne_u16_e32 0x80, v5
	s_cbranch_execz .LBB229_444
; %bb.439:                              ;   in Loop: Header=BB229_360 Depth=1
	s_mov_b32 s2, s8
	v_dual_mov_b32 v16, s3 :: v_dual_and_b32 v5, 0xffff, v5
	v_mov_b32_e32 v15, s2
	s_mov_b32 s2, exec_lo
	s_delay_alu instid0(VALU_DEP_2) | instskip(NEXT) | instid1(VALU_DEP_1)
	v_and_b32_e32 v17, 0x7f, v5
	v_cmpx_ne_u32_e32 0x7f, v17
	s_cbranch_execz .LBB229_443
; %bb.440:                              ;   in Loop: Header=BB229_360 Depth=1
	v_and_b32_e32 v5, 7, v5
	v_lshrrev_b32_e32 v15, 3, v17
	s_mov_b32 s22, exec_lo
	v_cmpx_gt_u32_e32 8, v17
; %bb.441:                              ;   in Loop: Header=BB229_360 Depth=1
	s_delay_alu instid0(VALU_DEP_3) | instskip(NEXT) | instid1(VALU_DEP_1)
	v_clz_i32_u32_e32 v15, v5
	v_min_u32_e32 v15, 32, v15
	s_delay_alu instid0(VALU_DEP_1) | instskip(SKIP_1) | instid1(VALU_DEP_2)
	v_subrev_nc_u32_e32 v16, 28, v15
	v_sub_nc_u32_e32 v15, 29, v15
	v_lshlrev_b64 v[16:17], v16, v[5:6]
	s_delay_alu instid0(VALU_DEP_1)
	v_and_b32_e32 v5, 7, v16
; %bb.442:                              ;   in Loop: Header=BB229_360 Depth=1
	s_or_b32 exec_lo, exec_lo, s22
	v_lshlrev_b32_e32 v16, 16, v51
	s_delay_alu instid0(VALU_DEP_2) | instskip(SKIP_1) | instid1(VALU_DEP_3)
	v_lshlrev_b32_e32 v5, 20, v5
	v_lshl_add_u32 v15, v15, 23, 0x3c000000
	v_and_b32_e32 v16, 0x80000000, v16
	s_delay_alu instid0(VALU_DEP_1)
	v_or3_b32 v16, v5, v16, v15
	v_mov_b32_e32 v15, v6
.LBB229_443:                            ;   in Loop: Header=BB229_360 Depth=1
	s_or_b32 exec_lo, exec_lo, s2
.LBB229_444:                            ;   in Loop: Header=BB229_360 Depth=1
	s_delay_alu instid0(SALU_CYCLE_1)
	s_or_b32 exec_lo, exec_lo, s21
.LBB229_445:                            ;   in Loop: Header=BB229_360 Depth=1
	s_delay_alu instid0(SALU_CYCLE_1) | instskip(SKIP_4) | instid1(VALU_DEP_2)
	s_or_b32 exec_lo, exec_lo, s20
	v_mov_b32_e32 v19, 0
	v_lshrrev_b32_e32 v52, 16, v51
	v_mov_b32_e32 v20, 0
	s_mov_b32 s2, exec_lo
	v_and_b32_e32 v5, 0xff, v52
	s_delay_alu instid0(VALU_DEP_2) | instskip(NEXT) | instid1(VALU_DEP_2)
	v_dual_mov_b32 v17, v19 :: v_dual_mov_b32 v18, v20
	v_cmpx_ne_u16_e32 0, v5
	s_cbranch_execz .LBB229_453
; %bb.446:                              ;   in Loop: Header=BB229_360 Depth=1
	v_bfrev_b32_e32 v17, 1
	v_mov_b32_e32 v18, 0
	s_mov_b32 s20, exec_lo
	v_cmpx_ne_u16_e32 0x80, v5
	s_cbranch_execz .LBB229_452
; %bb.447:                              ;   in Loop: Header=BB229_360 Depth=1
	v_mov_b32_e32 v17, 0x7f800001
	v_bfe_u32 v53, v51, 16, 7
	v_mov_b32_e32 v18, 0
	s_mov_b32 s21, exec_lo
	s_delay_alu instid0(VALU_DEP_2)
	v_cmpx_ne_u32_e32 0x7f, v53
	s_cbranch_execz .LBB229_451
; %bb.448:                              ;   in Loop: Header=BB229_360 Depth=1
	v_and_b32_e32 v5, 7, v52
	v_lshrrev_b32_e32 v17, 3, v53
	s_mov_b32 s22, exec_lo
	v_cmpx_gt_u32_e32 8, v53
; %bb.449:                              ;   in Loop: Header=BB229_360 Depth=1
	s_delay_alu instid0(VALU_DEP_3) | instskip(NEXT) | instid1(VALU_DEP_1)
	v_clz_i32_u32_e32 v17, v5
	v_min_u32_e32 v17, 32, v17
	s_delay_alu instid0(VALU_DEP_1) | instskip(SKIP_1) | instid1(VALU_DEP_2)
	v_subrev_nc_u32_e32 v18, 28, v17
	v_sub_nc_u32_e32 v17, 29, v17
	v_lshlrev_b64 v[53:54], v18, v[5:6]
	s_delay_alu instid0(VALU_DEP_1)
	v_and_b32_e32 v5, 7, v53
; %bb.450:                              ;   in Loop: Header=BB229_360 Depth=1
	s_or_b32 exec_lo, exec_lo, s22
	v_lshlrev_b32_e32 v18, 24, v52
	s_delay_alu instid0(VALU_DEP_2) | instskip(SKIP_1) | instid1(VALU_DEP_3)
	v_lshlrev_b32_e32 v5, 20, v5
	v_lshl_add_u32 v17, v17, 23, 0x3c000000
	v_and_b32_e32 v18, 0x80000000, v18
	s_delay_alu instid0(VALU_DEP_1) | instskip(NEXT) | instid1(VALU_DEP_1)
	v_or3_b32 v5, v5, v18, v17
	v_dual_mov_b32 v18, v6 :: v_dual_mov_b32 v17, v5
.LBB229_451:                            ;   in Loop: Header=BB229_360 Depth=1
	s_or_b32 exec_lo, exec_lo, s21
.LBB229_452:                            ;   in Loop: Header=BB229_360 Depth=1
	s_delay_alu instid0(SALU_CYCLE_1)
	s_or_b32 exec_lo, exec_lo, s20
.LBB229_453:                            ;   in Loop: Header=BB229_360 Depth=1
	s_delay_alu instid0(SALU_CYCLE_1) | instskip(NEXT) | instid1(SALU_CYCLE_1)
	s_or_b32 exec_lo, exec_lo, s2
	s_mov_b32 s20, exec_lo
	v_cmpx_lt_u32_e32 0xffffff, v51
	s_cbranch_execz .LBB229_461
; %bb.454:                              ;   in Loop: Header=BB229_360 Depth=1
	v_lshrrev_b32_e32 v52, 24, v51
	v_dual_mov_b32 v20, s9 :: v_dual_mov_b32 v19, s8
	s_mov_b32 s21, exec_lo
	s_delay_alu instid0(VALU_DEP_2)
	v_cmpx_ne_u32_e32 0x80, v52
	s_cbranch_execz .LBB229_460
; %bb.455:                              ;   in Loop: Header=BB229_360 Depth=1
	s_mov_b32 s2, s8
	v_bfe_u32 v51, v51, 24, 7
	v_dual_mov_b32 v20, s3 :: v_dual_mov_b32 v19, s2
	s_mov_b32 s2, exec_lo
	s_delay_alu instid0(VALU_DEP_2)
	v_cmpx_ne_u32_e32 0x7f, v51
	s_cbranch_execz .LBB229_459
; %bb.456:                              ;   in Loop: Header=BB229_360 Depth=1
	v_and_b32_e32 v5, 7, v52
	v_lshrrev_b32_e32 v19, 3, v51
	s_mov_b32 s22, exec_lo
	v_cmpx_gt_u32_e32 8, v51
; %bb.457:                              ;   in Loop: Header=BB229_360 Depth=1
	s_delay_alu instid0(VALU_DEP_3) | instskip(NEXT) | instid1(VALU_DEP_1)
	v_clz_i32_u32_e32 v19, v5
	v_min_u32_e32 v19, 32, v19
	s_delay_alu instid0(VALU_DEP_1) | instskip(SKIP_1) | instid1(VALU_DEP_2)
	v_subrev_nc_u32_e32 v20, 28, v19
	v_sub_nc_u32_e32 v19, 29, v19
	v_lshlrev_b64 v[53:54], v20, v[5:6]
	s_delay_alu instid0(VALU_DEP_1)
	v_and_b32_e32 v5, 7, v53
; %bb.458:                              ;   in Loop: Header=BB229_360 Depth=1
	s_or_b32 exec_lo, exec_lo, s22
	v_lshlrev_b32_e32 v20, 24, v52
	s_delay_alu instid0(VALU_DEP_2) | instskip(SKIP_1) | instid1(VALU_DEP_3)
	v_lshlrev_b32_e32 v5, 20, v5
	v_lshl_add_u32 v19, v19, 23, 0x3c000000
	v_and_b32_e32 v20, 0x80000000, v20
	s_delay_alu instid0(VALU_DEP_1)
	v_or3_b32 v20, v5, v20, v19
	v_mov_b32_e32 v19, v6
.LBB229_459:                            ;   in Loop: Header=BB229_360 Depth=1
	s_or_b32 exec_lo, exec_lo, s2
.LBB229_460:                            ;   in Loop: Header=BB229_360 Depth=1
	s_delay_alu instid0(SALU_CYCLE_1)
	s_or_b32 exec_lo, exec_lo, s21
.LBB229_461:                            ;   in Loop: Header=BB229_360 Depth=1
	s_delay_alu instid0(SALU_CYCLE_1) | instskip(SKIP_4) | instid1(VALU_DEP_4)
	s_or_b32 exec_lo, exec_lo, s20
	v_or_b32_e32 v5, v16, v14
	v_or_b32_e32 v13, v15, v13
	;; [unrolled: 1-line block ×4, first 2 shown]
	v_mul_f32_e32 v54, s18, v5
	s_delay_alu instid0(VALU_DEP_4) | instskip(NEXT) | instid1(VALU_DEP_3)
	v_mul_f32_e32 v53, s17, v13
	v_dual_mul_f32 v51, s18, v14 :: v_dual_mul_f32 v52, s17, v15
	s_and_saveexec_b32 s2, vcc_lo
; %bb.462:                              ;   in Loop: Header=BB229_360 Depth=1
	v_cmp_gt_i32_e64 s0, s33, v43
	s_delay_alu instid0(VALU_DEP_1) | instskip(SKIP_1) | instid1(VALU_DEP_1)
	v_cndmask_b32_e64 v53, 0, v53, s0
	v_cmp_gt_i32_e64 s0, s33, v46
	v_cndmask_b32_e64 v54, 0, v54, s0
	v_cmp_gt_i32_e64 s0, s33, v45
	s_delay_alu instid0(VALU_DEP_1) | instskip(SKIP_1) | instid1(VALU_DEP_1)
	v_cndmask_b32_e64 v52, 0, v52, s0
	v_cmp_gt_i32_e64 s0, s33, v44
	v_cndmask_b32_e64 v51, 0, v51, s0
; %bb.463:                              ;   in Loop: Header=BB229_360 Depth=1
	s_or_b32 exec_lo, exec_lo, s2
	global_load_b32 v55, v[11:12], off offset:384
	v_mov_b32_e32 v15, 0
	v_mov_b32_e32 v16, 0
	s_mov_b32 s2, exec_lo
	s_waitcnt vmcnt(0)
	v_and_b32_e32 v5, 0xff, v55
	s_delay_alu instid0(VALU_DEP_2) | instskip(NEXT) | instid1(VALU_DEP_2)
	v_dual_mov_b32 v13, v15 :: v_dual_mov_b32 v14, v16
	v_cmpx_ne_u16_e32 0, v5
	s_cbranch_execz .LBB229_471
; %bb.464:                              ;   in Loop: Header=BB229_360 Depth=1
	v_bfrev_b32_e32 v13, 1
	v_mov_b32_e32 v14, 0
	s_mov_b32 s20, exec_lo
	v_cmpx_ne_u16_e32 0x80, v5
	s_cbranch_execz .LBB229_470
; %bb.465:                              ;   in Loop: Header=BB229_360 Depth=1
	v_mov_b32_e32 v13, 0x7f800001
	v_dual_mov_b32 v14, 0 :: v_dual_and_b32 v17, 0x7f, v55
	s_mov_b32 s21, exec_lo
	s_delay_alu instid0(VALU_DEP_1)
	v_cmpx_ne_u32_e32 0x7f, v17
	s_cbranch_execz .LBB229_469
; %bb.466:                              ;   in Loop: Header=BB229_360 Depth=1
	v_and_b32_e32 v5, 7, v55
	v_lshrrev_b32_e32 v13, 3, v17
	s_mov_b32 s22, exec_lo
	v_cmpx_gt_u32_e32 8, v17
; %bb.467:                              ;   in Loop: Header=BB229_360 Depth=1
	s_delay_alu instid0(VALU_DEP_3) | instskip(NEXT) | instid1(VALU_DEP_1)
	v_clz_i32_u32_e32 v13, v5
	v_min_u32_e32 v13, 32, v13
	s_delay_alu instid0(VALU_DEP_1) | instskip(SKIP_1) | instid1(VALU_DEP_2)
	v_subrev_nc_u32_e32 v14, 28, v13
	v_sub_nc_u32_e32 v13, 29, v13
	v_lshlrev_b64 v[17:18], v14, v[5:6]
	s_delay_alu instid0(VALU_DEP_1)
	v_and_b32_e32 v5, 7, v17
; %bb.468:                              ;   in Loop: Header=BB229_360 Depth=1
	s_or_b32 exec_lo, exec_lo, s22
	v_lshlrev_b32_e32 v14, 24, v55
	s_delay_alu instid0(VALU_DEP_2) | instskip(SKIP_1) | instid1(VALU_DEP_3)
	v_lshlrev_b32_e32 v5, 20, v5
	v_lshl_add_u32 v13, v13, 23, 0x3c000000
	v_and_b32_e32 v14, 0x80000000, v14
	s_delay_alu instid0(VALU_DEP_1) | instskip(NEXT) | instid1(VALU_DEP_1)
	v_or3_b32 v5, v5, v14, v13
	v_dual_mov_b32 v14, v6 :: v_dual_mov_b32 v13, v5
.LBB229_469:                            ;   in Loop: Header=BB229_360 Depth=1
	s_or_b32 exec_lo, exec_lo, s21
.LBB229_470:                            ;   in Loop: Header=BB229_360 Depth=1
	s_delay_alu instid0(SALU_CYCLE_1)
	s_or_b32 exec_lo, exec_lo, s20
.LBB229_471:                            ;   in Loop: Header=BB229_360 Depth=1
	s_delay_alu instid0(SALU_CYCLE_1) | instskip(SKIP_2) | instid1(VALU_DEP_1)
	s_or_b32 exec_lo, exec_lo, s2
	v_lshrrev_b16 v5, 8, v55
	s_mov_b32 s20, exec_lo
	v_cmpx_ne_u16_e32 0, v5
	s_cbranch_execz .LBB229_479
; %bb.472:                              ;   in Loop: Header=BB229_360 Depth=1
	v_dual_mov_b32 v16, s9 :: v_dual_mov_b32 v15, s8
	s_mov_b32 s21, exec_lo
	v_cmpx_ne_u16_e32 0x80, v5
	s_cbranch_execz .LBB229_478
; %bb.473:                              ;   in Loop: Header=BB229_360 Depth=1
	s_mov_b32 s2, s8
	v_dual_mov_b32 v16, s3 :: v_dual_and_b32 v5, 0xffff, v5
	v_mov_b32_e32 v15, s2
	s_mov_b32 s2, exec_lo
	s_delay_alu instid0(VALU_DEP_2) | instskip(NEXT) | instid1(VALU_DEP_1)
	v_and_b32_e32 v17, 0x7f, v5
	v_cmpx_ne_u32_e32 0x7f, v17
	s_cbranch_execz .LBB229_477
; %bb.474:                              ;   in Loop: Header=BB229_360 Depth=1
	v_and_b32_e32 v5, 7, v5
	v_lshrrev_b32_e32 v15, 3, v17
	s_mov_b32 s22, exec_lo
	v_cmpx_gt_u32_e32 8, v17
; %bb.475:                              ;   in Loop: Header=BB229_360 Depth=1
	s_delay_alu instid0(VALU_DEP_3) | instskip(NEXT) | instid1(VALU_DEP_1)
	v_clz_i32_u32_e32 v15, v5
	v_min_u32_e32 v15, 32, v15
	s_delay_alu instid0(VALU_DEP_1) | instskip(SKIP_1) | instid1(VALU_DEP_2)
	v_subrev_nc_u32_e32 v16, 28, v15
	v_sub_nc_u32_e32 v15, 29, v15
	v_lshlrev_b64 v[16:17], v16, v[5:6]
	s_delay_alu instid0(VALU_DEP_1)
	v_and_b32_e32 v5, 7, v16
; %bb.476:                              ;   in Loop: Header=BB229_360 Depth=1
	s_or_b32 exec_lo, exec_lo, s22
	v_lshlrev_b32_e32 v16, 16, v55
	s_delay_alu instid0(VALU_DEP_2) | instskip(SKIP_1) | instid1(VALU_DEP_3)
	v_lshlrev_b32_e32 v5, 20, v5
	v_lshl_add_u32 v15, v15, 23, 0x3c000000
	v_and_b32_e32 v16, 0x80000000, v16
	s_delay_alu instid0(VALU_DEP_1)
	v_or3_b32 v16, v5, v16, v15
	v_mov_b32_e32 v15, v6
.LBB229_477:                            ;   in Loop: Header=BB229_360 Depth=1
	s_or_b32 exec_lo, exec_lo, s2
.LBB229_478:                            ;   in Loop: Header=BB229_360 Depth=1
	s_delay_alu instid0(SALU_CYCLE_1)
	s_or_b32 exec_lo, exec_lo, s21
.LBB229_479:                            ;   in Loop: Header=BB229_360 Depth=1
	s_delay_alu instid0(SALU_CYCLE_1) | instskip(SKIP_4) | instid1(VALU_DEP_2)
	s_or_b32 exec_lo, exec_lo, s20
	v_mov_b32_e32 v19, 0
	v_lshrrev_b32_e32 v56, 16, v55
	v_mov_b32_e32 v20, 0
	s_mov_b32 s2, exec_lo
	v_and_b32_e32 v5, 0xff, v56
	s_delay_alu instid0(VALU_DEP_2) | instskip(NEXT) | instid1(VALU_DEP_2)
	v_dual_mov_b32 v17, v19 :: v_dual_mov_b32 v18, v20
	v_cmpx_ne_u16_e32 0, v5
	s_cbranch_execz .LBB229_487
; %bb.480:                              ;   in Loop: Header=BB229_360 Depth=1
	v_bfrev_b32_e32 v17, 1
	v_mov_b32_e32 v18, 0
	s_mov_b32 s20, exec_lo
	v_cmpx_ne_u16_e32 0x80, v5
	s_cbranch_execz .LBB229_486
; %bb.481:                              ;   in Loop: Header=BB229_360 Depth=1
	v_mov_b32_e32 v17, 0x7f800001
	v_bfe_u32 v57, v55, 16, 7
	v_mov_b32_e32 v18, 0
	s_mov_b32 s21, exec_lo
	s_delay_alu instid0(VALU_DEP_2)
	v_cmpx_ne_u32_e32 0x7f, v57
	s_cbranch_execz .LBB229_485
; %bb.482:                              ;   in Loop: Header=BB229_360 Depth=1
	v_and_b32_e32 v5, 7, v56
	v_lshrrev_b32_e32 v17, 3, v57
	s_mov_b32 s22, exec_lo
	v_cmpx_gt_u32_e32 8, v57
; %bb.483:                              ;   in Loop: Header=BB229_360 Depth=1
	s_delay_alu instid0(VALU_DEP_3) | instskip(NEXT) | instid1(VALU_DEP_1)
	v_clz_i32_u32_e32 v17, v5
	v_min_u32_e32 v17, 32, v17
	s_delay_alu instid0(VALU_DEP_1) | instskip(SKIP_1) | instid1(VALU_DEP_2)
	v_subrev_nc_u32_e32 v18, 28, v17
	v_sub_nc_u32_e32 v17, 29, v17
	v_lshlrev_b64 v[57:58], v18, v[5:6]
	s_delay_alu instid0(VALU_DEP_1)
	v_and_b32_e32 v5, 7, v57
; %bb.484:                              ;   in Loop: Header=BB229_360 Depth=1
	s_or_b32 exec_lo, exec_lo, s22
	v_lshlrev_b32_e32 v18, 24, v56
	s_delay_alu instid0(VALU_DEP_2) | instskip(SKIP_1) | instid1(VALU_DEP_3)
	v_lshlrev_b32_e32 v5, 20, v5
	v_lshl_add_u32 v17, v17, 23, 0x3c000000
	v_and_b32_e32 v18, 0x80000000, v18
	s_delay_alu instid0(VALU_DEP_1) | instskip(NEXT) | instid1(VALU_DEP_1)
	v_or3_b32 v5, v5, v18, v17
	v_dual_mov_b32 v18, v6 :: v_dual_mov_b32 v17, v5
.LBB229_485:                            ;   in Loop: Header=BB229_360 Depth=1
	s_or_b32 exec_lo, exec_lo, s21
.LBB229_486:                            ;   in Loop: Header=BB229_360 Depth=1
	s_delay_alu instid0(SALU_CYCLE_1)
	s_or_b32 exec_lo, exec_lo, s20
.LBB229_487:                            ;   in Loop: Header=BB229_360 Depth=1
	s_delay_alu instid0(SALU_CYCLE_1) | instskip(NEXT) | instid1(SALU_CYCLE_1)
	s_or_b32 exec_lo, exec_lo, s2
	s_mov_b32 s20, exec_lo
	v_cmpx_lt_u32_e32 0xffffff, v55
	s_cbranch_execz .LBB229_495
; %bb.488:                              ;   in Loop: Header=BB229_360 Depth=1
	v_lshrrev_b32_e32 v56, 24, v55
	v_dual_mov_b32 v20, s9 :: v_dual_mov_b32 v19, s8
	s_mov_b32 s21, exec_lo
	s_delay_alu instid0(VALU_DEP_2)
	v_cmpx_ne_u32_e32 0x80, v56
	s_cbranch_execz .LBB229_494
; %bb.489:                              ;   in Loop: Header=BB229_360 Depth=1
	s_mov_b32 s2, s8
	v_bfe_u32 v55, v55, 24, 7
	v_dual_mov_b32 v20, s3 :: v_dual_mov_b32 v19, s2
	s_mov_b32 s2, exec_lo
	s_delay_alu instid0(VALU_DEP_2)
	v_cmpx_ne_u32_e32 0x7f, v55
	s_cbranch_execz .LBB229_493
; %bb.490:                              ;   in Loop: Header=BB229_360 Depth=1
	v_and_b32_e32 v5, 7, v56
	v_lshrrev_b32_e32 v19, 3, v55
	s_mov_b32 s22, exec_lo
	v_cmpx_gt_u32_e32 8, v55
; %bb.491:                              ;   in Loop: Header=BB229_360 Depth=1
	s_delay_alu instid0(VALU_DEP_3) | instskip(NEXT) | instid1(VALU_DEP_1)
	v_clz_i32_u32_e32 v19, v5
	v_min_u32_e32 v19, 32, v19
	s_delay_alu instid0(VALU_DEP_1) | instskip(SKIP_1) | instid1(VALU_DEP_2)
	v_subrev_nc_u32_e32 v20, 28, v19
	v_sub_nc_u32_e32 v19, 29, v19
	v_lshlrev_b64 v[57:58], v20, v[5:6]
	s_delay_alu instid0(VALU_DEP_1)
	v_and_b32_e32 v5, 7, v57
; %bb.492:                              ;   in Loop: Header=BB229_360 Depth=1
	s_or_b32 exec_lo, exec_lo, s22
	v_lshlrev_b32_e32 v20, 24, v56
	s_delay_alu instid0(VALU_DEP_2) | instskip(SKIP_1) | instid1(VALU_DEP_3)
	v_lshlrev_b32_e32 v5, 20, v5
	v_lshl_add_u32 v19, v19, 23, 0x3c000000
	v_and_b32_e32 v20, 0x80000000, v20
	s_delay_alu instid0(VALU_DEP_1)
	v_or3_b32 v20, v5, v20, v19
	v_mov_b32_e32 v19, v6
.LBB229_493:                            ;   in Loop: Header=BB229_360 Depth=1
	s_or_b32 exec_lo, exec_lo, s2
.LBB229_494:                            ;   in Loop: Header=BB229_360 Depth=1
	s_delay_alu instid0(SALU_CYCLE_1)
	s_or_b32 exec_lo, exec_lo, s21
.LBB229_495:                            ;   in Loop: Header=BB229_360 Depth=1
	s_delay_alu instid0(SALU_CYCLE_1) | instskip(SKIP_4) | instid1(VALU_DEP_4)
	s_or_b32 exec_lo, exec_lo, s20
	v_or_b32_e32 v5, v16, v14
	v_or_b32_e32 v13, v15, v13
	;; [unrolled: 1-line block ×4, first 2 shown]
	v_mul_f32_e32 v58, s18, v5
	s_delay_alu instid0(VALU_DEP_4) | instskip(NEXT) | instid1(VALU_DEP_3)
	v_mul_f32_e32 v57, s17, v13
	v_dual_mul_f32 v55, s18, v14 :: v_dual_mul_f32 v56, s17, v15
	s_and_saveexec_b32 s2, vcc_lo
; %bb.496:                              ;   in Loop: Header=BB229_360 Depth=1
	v_cmp_gt_i32_e64 s0, s33, v43
	s_delay_alu instid0(VALU_DEP_1) | instskip(SKIP_1) | instid1(VALU_DEP_1)
	v_cndmask_b32_e64 v57, 0, v57, s0
	v_cmp_gt_i32_e64 s0, s33, v46
	v_cndmask_b32_e64 v58, 0, v58, s0
	v_cmp_gt_i32_e64 s0, s33, v45
	s_delay_alu instid0(VALU_DEP_1) | instskip(SKIP_1) | instid1(VALU_DEP_1)
	v_cndmask_b32_e64 v56, 0, v56, s0
	v_cmp_gt_i32_e64 s0, s33, v44
	v_cndmask_b32_e64 v55, 0, v55, s0
; %bb.497:                              ;   in Loop: Header=BB229_360 Depth=1
	s_or_b32 exec_lo, exec_lo, s2
	global_load_b32 v59, v[11:12], off offset:512
	v_mov_b32_e32 v15, 0
	v_mov_b32_e32 v16, 0
	s_mov_b32 s2, exec_lo
	s_waitcnt vmcnt(0)
	v_and_b32_e32 v5, 0xff, v59
	s_delay_alu instid0(VALU_DEP_2) | instskip(NEXT) | instid1(VALU_DEP_2)
	v_dual_mov_b32 v13, v15 :: v_dual_mov_b32 v14, v16
	v_cmpx_ne_u16_e32 0, v5
	s_cbranch_execz .LBB229_505
; %bb.498:                              ;   in Loop: Header=BB229_360 Depth=1
	v_bfrev_b32_e32 v13, 1
	v_mov_b32_e32 v14, 0
	s_mov_b32 s20, exec_lo
	v_cmpx_ne_u16_e32 0x80, v5
	s_cbranch_execz .LBB229_504
; %bb.499:                              ;   in Loop: Header=BB229_360 Depth=1
	v_mov_b32_e32 v13, 0x7f800001
	v_dual_mov_b32 v14, 0 :: v_dual_and_b32 v17, 0x7f, v59
	s_mov_b32 s21, exec_lo
	s_delay_alu instid0(VALU_DEP_1)
	v_cmpx_ne_u32_e32 0x7f, v17
	s_cbranch_execz .LBB229_503
; %bb.500:                              ;   in Loop: Header=BB229_360 Depth=1
	v_and_b32_e32 v5, 7, v59
	v_lshrrev_b32_e32 v13, 3, v17
	s_mov_b32 s22, exec_lo
	v_cmpx_gt_u32_e32 8, v17
; %bb.501:                              ;   in Loop: Header=BB229_360 Depth=1
	s_delay_alu instid0(VALU_DEP_3) | instskip(NEXT) | instid1(VALU_DEP_1)
	v_clz_i32_u32_e32 v13, v5
	v_min_u32_e32 v13, 32, v13
	s_delay_alu instid0(VALU_DEP_1) | instskip(SKIP_1) | instid1(VALU_DEP_2)
	v_subrev_nc_u32_e32 v14, 28, v13
	v_sub_nc_u32_e32 v13, 29, v13
	v_lshlrev_b64 v[17:18], v14, v[5:6]
	s_delay_alu instid0(VALU_DEP_1)
	v_and_b32_e32 v5, 7, v17
; %bb.502:                              ;   in Loop: Header=BB229_360 Depth=1
	s_or_b32 exec_lo, exec_lo, s22
	v_lshlrev_b32_e32 v14, 24, v59
	s_delay_alu instid0(VALU_DEP_2) | instskip(SKIP_1) | instid1(VALU_DEP_3)
	v_lshlrev_b32_e32 v5, 20, v5
	v_lshl_add_u32 v13, v13, 23, 0x3c000000
	v_and_b32_e32 v14, 0x80000000, v14
	s_delay_alu instid0(VALU_DEP_1) | instskip(NEXT) | instid1(VALU_DEP_1)
	v_or3_b32 v5, v5, v14, v13
	v_dual_mov_b32 v14, v6 :: v_dual_mov_b32 v13, v5
.LBB229_503:                            ;   in Loop: Header=BB229_360 Depth=1
	s_or_b32 exec_lo, exec_lo, s21
.LBB229_504:                            ;   in Loop: Header=BB229_360 Depth=1
	s_delay_alu instid0(SALU_CYCLE_1)
	s_or_b32 exec_lo, exec_lo, s20
.LBB229_505:                            ;   in Loop: Header=BB229_360 Depth=1
	s_delay_alu instid0(SALU_CYCLE_1) | instskip(SKIP_2) | instid1(VALU_DEP_1)
	s_or_b32 exec_lo, exec_lo, s2
	v_lshrrev_b16 v5, 8, v59
	s_mov_b32 s20, exec_lo
	v_cmpx_ne_u16_e32 0, v5
	s_cbranch_execz .LBB229_513
; %bb.506:                              ;   in Loop: Header=BB229_360 Depth=1
	v_dual_mov_b32 v16, s9 :: v_dual_mov_b32 v15, s8
	s_mov_b32 s21, exec_lo
	v_cmpx_ne_u16_e32 0x80, v5
	s_cbranch_execz .LBB229_512
; %bb.507:                              ;   in Loop: Header=BB229_360 Depth=1
	s_mov_b32 s2, s8
	v_dual_mov_b32 v16, s3 :: v_dual_and_b32 v5, 0xffff, v5
	v_mov_b32_e32 v15, s2
	s_mov_b32 s2, exec_lo
	s_delay_alu instid0(VALU_DEP_2) | instskip(NEXT) | instid1(VALU_DEP_1)
	v_and_b32_e32 v17, 0x7f, v5
	v_cmpx_ne_u32_e32 0x7f, v17
	s_cbranch_execz .LBB229_511
; %bb.508:                              ;   in Loop: Header=BB229_360 Depth=1
	v_and_b32_e32 v5, 7, v5
	v_lshrrev_b32_e32 v15, 3, v17
	s_mov_b32 s22, exec_lo
	v_cmpx_gt_u32_e32 8, v17
; %bb.509:                              ;   in Loop: Header=BB229_360 Depth=1
	s_delay_alu instid0(VALU_DEP_3) | instskip(NEXT) | instid1(VALU_DEP_1)
	v_clz_i32_u32_e32 v15, v5
	v_min_u32_e32 v15, 32, v15
	s_delay_alu instid0(VALU_DEP_1) | instskip(SKIP_1) | instid1(VALU_DEP_2)
	v_subrev_nc_u32_e32 v16, 28, v15
	v_sub_nc_u32_e32 v15, 29, v15
	v_lshlrev_b64 v[16:17], v16, v[5:6]
	s_delay_alu instid0(VALU_DEP_1)
	v_and_b32_e32 v5, 7, v16
; %bb.510:                              ;   in Loop: Header=BB229_360 Depth=1
	s_or_b32 exec_lo, exec_lo, s22
	v_lshlrev_b32_e32 v16, 16, v59
	s_delay_alu instid0(VALU_DEP_2) | instskip(SKIP_1) | instid1(VALU_DEP_3)
	v_lshlrev_b32_e32 v5, 20, v5
	v_lshl_add_u32 v15, v15, 23, 0x3c000000
	v_and_b32_e32 v16, 0x80000000, v16
	s_delay_alu instid0(VALU_DEP_1)
	v_or3_b32 v16, v5, v16, v15
	v_mov_b32_e32 v15, v6
.LBB229_511:                            ;   in Loop: Header=BB229_360 Depth=1
	s_or_b32 exec_lo, exec_lo, s2
.LBB229_512:                            ;   in Loop: Header=BB229_360 Depth=1
	s_delay_alu instid0(SALU_CYCLE_1)
	s_or_b32 exec_lo, exec_lo, s21
.LBB229_513:                            ;   in Loop: Header=BB229_360 Depth=1
	s_delay_alu instid0(SALU_CYCLE_1) | instskip(SKIP_4) | instid1(VALU_DEP_2)
	s_or_b32 exec_lo, exec_lo, s20
	v_mov_b32_e32 v19, 0
	v_lshrrev_b32_e32 v60, 16, v59
	v_mov_b32_e32 v20, 0
	s_mov_b32 s2, exec_lo
	v_and_b32_e32 v5, 0xff, v60
	s_delay_alu instid0(VALU_DEP_2) | instskip(NEXT) | instid1(VALU_DEP_2)
	v_dual_mov_b32 v17, v19 :: v_dual_mov_b32 v18, v20
	v_cmpx_ne_u16_e32 0, v5
	s_cbranch_execz .LBB229_521
; %bb.514:                              ;   in Loop: Header=BB229_360 Depth=1
	v_bfrev_b32_e32 v17, 1
	v_mov_b32_e32 v18, 0
	s_mov_b32 s20, exec_lo
	v_cmpx_ne_u16_e32 0x80, v5
	s_cbranch_execz .LBB229_520
; %bb.515:                              ;   in Loop: Header=BB229_360 Depth=1
	v_mov_b32_e32 v17, 0x7f800001
	v_bfe_u32 v61, v59, 16, 7
	v_mov_b32_e32 v18, 0
	s_mov_b32 s21, exec_lo
	s_delay_alu instid0(VALU_DEP_2)
	v_cmpx_ne_u32_e32 0x7f, v61
	s_cbranch_execz .LBB229_519
; %bb.516:                              ;   in Loop: Header=BB229_360 Depth=1
	v_and_b32_e32 v5, 7, v60
	v_lshrrev_b32_e32 v17, 3, v61
	s_mov_b32 s22, exec_lo
	v_cmpx_gt_u32_e32 8, v61
; %bb.517:                              ;   in Loop: Header=BB229_360 Depth=1
	s_delay_alu instid0(VALU_DEP_3) | instskip(NEXT) | instid1(VALU_DEP_1)
	v_clz_i32_u32_e32 v17, v5
	v_min_u32_e32 v17, 32, v17
	s_delay_alu instid0(VALU_DEP_1) | instskip(SKIP_1) | instid1(VALU_DEP_2)
	v_subrev_nc_u32_e32 v18, 28, v17
	v_sub_nc_u32_e32 v17, 29, v17
	v_lshlrev_b64 v[61:62], v18, v[5:6]
	s_delay_alu instid0(VALU_DEP_1)
	v_and_b32_e32 v5, 7, v61
; %bb.518:                              ;   in Loop: Header=BB229_360 Depth=1
	s_or_b32 exec_lo, exec_lo, s22
	v_lshlrev_b32_e32 v18, 24, v60
	s_delay_alu instid0(VALU_DEP_2) | instskip(SKIP_1) | instid1(VALU_DEP_3)
	v_lshlrev_b32_e32 v5, 20, v5
	v_lshl_add_u32 v17, v17, 23, 0x3c000000
	v_and_b32_e32 v18, 0x80000000, v18
	s_delay_alu instid0(VALU_DEP_1) | instskip(NEXT) | instid1(VALU_DEP_1)
	v_or3_b32 v5, v5, v18, v17
	v_dual_mov_b32 v18, v6 :: v_dual_mov_b32 v17, v5
.LBB229_519:                            ;   in Loop: Header=BB229_360 Depth=1
	s_or_b32 exec_lo, exec_lo, s21
.LBB229_520:                            ;   in Loop: Header=BB229_360 Depth=1
	s_delay_alu instid0(SALU_CYCLE_1)
	s_or_b32 exec_lo, exec_lo, s20
.LBB229_521:                            ;   in Loop: Header=BB229_360 Depth=1
	s_delay_alu instid0(SALU_CYCLE_1) | instskip(NEXT) | instid1(SALU_CYCLE_1)
	s_or_b32 exec_lo, exec_lo, s2
	s_mov_b32 s20, exec_lo
	v_cmpx_lt_u32_e32 0xffffff, v59
	s_cbranch_execz .LBB229_529
; %bb.522:                              ;   in Loop: Header=BB229_360 Depth=1
	v_lshrrev_b32_e32 v60, 24, v59
	v_dual_mov_b32 v20, s9 :: v_dual_mov_b32 v19, s8
	s_mov_b32 s21, exec_lo
	s_delay_alu instid0(VALU_DEP_2)
	v_cmpx_ne_u32_e32 0x80, v60
	s_cbranch_execz .LBB229_528
; %bb.523:                              ;   in Loop: Header=BB229_360 Depth=1
	s_mov_b32 s2, s8
	v_bfe_u32 v59, v59, 24, 7
	v_dual_mov_b32 v20, s3 :: v_dual_mov_b32 v19, s2
	s_mov_b32 s2, exec_lo
	s_delay_alu instid0(VALU_DEP_2)
	v_cmpx_ne_u32_e32 0x7f, v59
	s_cbranch_execz .LBB229_527
; %bb.524:                              ;   in Loop: Header=BB229_360 Depth=1
	v_and_b32_e32 v5, 7, v60
	v_lshrrev_b32_e32 v19, 3, v59
	s_mov_b32 s22, exec_lo
	v_cmpx_gt_u32_e32 8, v59
; %bb.525:                              ;   in Loop: Header=BB229_360 Depth=1
	s_delay_alu instid0(VALU_DEP_3) | instskip(NEXT) | instid1(VALU_DEP_1)
	v_clz_i32_u32_e32 v19, v5
	v_min_u32_e32 v19, 32, v19
	s_delay_alu instid0(VALU_DEP_1) | instskip(SKIP_1) | instid1(VALU_DEP_2)
	v_subrev_nc_u32_e32 v20, 28, v19
	v_sub_nc_u32_e32 v19, 29, v19
	v_lshlrev_b64 v[61:62], v20, v[5:6]
	s_delay_alu instid0(VALU_DEP_1)
	v_and_b32_e32 v5, 7, v61
; %bb.526:                              ;   in Loop: Header=BB229_360 Depth=1
	s_or_b32 exec_lo, exec_lo, s22
	v_lshlrev_b32_e32 v20, 24, v60
	s_delay_alu instid0(VALU_DEP_2) | instskip(SKIP_1) | instid1(VALU_DEP_3)
	v_lshlrev_b32_e32 v5, 20, v5
	v_lshl_add_u32 v19, v19, 23, 0x3c000000
	v_and_b32_e32 v20, 0x80000000, v20
	s_delay_alu instid0(VALU_DEP_1)
	v_or3_b32 v20, v5, v20, v19
	v_mov_b32_e32 v19, v6
.LBB229_527:                            ;   in Loop: Header=BB229_360 Depth=1
	s_or_b32 exec_lo, exec_lo, s2
.LBB229_528:                            ;   in Loop: Header=BB229_360 Depth=1
	s_delay_alu instid0(SALU_CYCLE_1)
	s_or_b32 exec_lo, exec_lo, s21
.LBB229_529:                            ;   in Loop: Header=BB229_360 Depth=1
	s_delay_alu instid0(SALU_CYCLE_1) | instskip(SKIP_4) | instid1(VALU_DEP_4)
	s_or_b32 exec_lo, exec_lo, s20
	v_or_b32_e32 v5, v16, v14
	v_or_b32_e32 v13, v15, v13
	;; [unrolled: 1-line block ×4, first 2 shown]
	v_mul_f32_e32 v62, s18, v5
	s_delay_alu instid0(VALU_DEP_4) | instskip(NEXT) | instid1(VALU_DEP_3)
	v_mul_f32_e32 v61, s17, v13
	v_dual_mul_f32 v59, s18, v14 :: v_dual_mul_f32 v60, s17, v15
	s_and_saveexec_b32 s2, vcc_lo
; %bb.530:                              ;   in Loop: Header=BB229_360 Depth=1
	v_cmp_gt_i32_e64 s0, s33, v43
	s_delay_alu instid0(VALU_DEP_1) | instskip(SKIP_1) | instid1(VALU_DEP_1)
	v_cndmask_b32_e64 v61, 0, v61, s0
	v_cmp_gt_i32_e64 s0, s33, v46
	v_cndmask_b32_e64 v62, 0, v62, s0
	v_cmp_gt_i32_e64 s0, s33, v45
	s_delay_alu instid0(VALU_DEP_1) | instskip(SKIP_1) | instid1(VALU_DEP_1)
	v_cndmask_b32_e64 v60, 0, v60, s0
	v_cmp_gt_i32_e64 s0, s33, v44
	v_cndmask_b32_e64 v59, 0, v59, s0
; %bb.531:                              ;   in Loop: Header=BB229_360 Depth=1
	s_or_b32 exec_lo, exec_lo, s2
	global_load_b32 v63, v[11:12], off offset:640
	v_mov_b32_e32 v15, 0
	v_mov_b32_e32 v16, 0
	s_mov_b32 s2, exec_lo
	s_waitcnt vmcnt(0)
	v_and_b32_e32 v5, 0xff, v63
	s_delay_alu instid0(VALU_DEP_2) | instskip(NEXT) | instid1(VALU_DEP_2)
	v_dual_mov_b32 v13, v15 :: v_dual_mov_b32 v14, v16
	v_cmpx_ne_u16_e32 0, v5
	s_cbranch_execz .LBB229_539
; %bb.532:                              ;   in Loop: Header=BB229_360 Depth=1
	v_bfrev_b32_e32 v13, 1
	v_mov_b32_e32 v14, 0
	s_mov_b32 s20, exec_lo
	v_cmpx_ne_u16_e32 0x80, v5
	s_cbranch_execz .LBB229_538
; %bb.533:                              ;   in Loop: Header=BB229_360 Depth=1
	v_mov_b32_e32 v13, 0x7f800001
	v_dual_mov_b32 v14, 0 :: v_dual_and_b32 v17, 0x7f, v63
	s_mov_b32 s21, exec_lo
	s_delay_alu instid0(VALU_DEP_1)
	v_cmpx_ne_u32_e32 0x7f, v17
	s_cbranch_execz .LBB229_537
; %bb.534:                              ;   in Loop: Header=BB229_360 Depth=1
	v_and_b32_e32 v5, 7, v63
	v_lshrrev_b32_e32 v13, 3, v17
	s_mov_b32 s22, exec_lo
	v_cmpx_gt_u32_e32 8, v17
; %bb.535:                              ;   in Loop: Header=BB229_360 Depth=1
	s_delay_alu instid0(VALU_DEP_3) | instskip(NEXT) | instid1(VALU_DEP_1)
	v_clz_i32_u32_e32 v13, v5
	v_min_u32_e32 v13, 32, v13
	s_delay_alu instid0(VALU_DEP_1) | instskip(SKIP_1) | instid1(VALU_DEP_2)
	v_subrev_nc_u32_e32 v14, 28, v13
	v_sub_nc_u32_e32 v13, 29, v13
	v_lshlrev_b64 v[17:18], v14, v[5:6]
	s_delay_alu instid0(VALU_DEP_1)
	v_and_b32_e32 v5, 7, v17
; %bb.536:                              ;   in Loop: Header=BB229_360 Depth=1
	s_or_b32 exec_lo, exec_lo, s22
	v_lshlrev_b32_e32 v14, 24, v63
	s_delay_alu instid0(VALU_DEP_2) | instskip(SKIP_1) | instid1(VALU_DEP_3)
	v_lshlrev_b32_e32 v5, 20, v5
	v_lshl_add_u32 v13, v13, 23, 0x3c000000
	v_and_b32_e32 v14, 0x80000000, v14
	s_delay_alu instid0(VALU_DEP_1) | instskip(NEXT) | instid1(VALU_DEP_1)
	v_or3_b32 v5, v5, v14, v13
	v_dual_mov_b32 v14, v6 :: v_dual_mov_b32 v13, v5
.LBB229_537:                            ;   in Loop: Header=BB229_360 Depth=1
	s_or_b32 exec_lo, exec_lo, s21
.LBB229_538:                            ;   in Loop: Header=BB229_360 Depth=1
	s_delay_alu instid0(SALU_CYCLE_1)
	s_or_b32 exec_lo, exec_lo, s20
.LBB229_539:                            ;   in Loop: Header=BB229_360 Depth=1
	s_delay_alu instid0(SALU_CYCLE_1) | instskip(SKIP_2) | instid1(VALU_DEP_1)
	s_or_b32 exec_lo, exec_lo, s2
	v_lshrrev_b16 v5, 8, v63
	s_mov_b32 s20, exec_lo
	v_cmpx_ne_u16_e32 0, v5
	s_cbranch_execz .LBB229_547
; %bb.540:                              ;   in Loop: Header=BB229_360 Depth=1
	v_dual_mov_b32 v16, s9 :: v_dual_mov_b32 v15, s8
	s_mov_b32 s21, exec_lo
	v_cmpx_ne_u16_e32 0x80, v5
	s_cbranch_execz .LBB229_546
; %bb.541:                              ;   in Loop: Header=BB229_360 Depth=1
	s_mov_b32 s2, s8
	v_dual_mov_b32 v16, s3 :: v_dual_and_b32 v5, 0xffff, v5
	v_mov_b32_e32 v15, s2
	s_mov_b32 s2, exec_lo
	s_delay_alu instid0(VALU_DEP_2) | instskip(NEXT) | instid1(VALU_DEP_1)
	v_and_b32_e32 v17, 0x7f, v5
	v_cmpx_ne_u32_e32 0x7f, v17
	s_cbranch_execz .LBB229_545
; %bb.542:                              ;   in Loop: Header=BB229_360 Depth=1
	v_and_b32_e32 v5, 7, v5
	v_lshrrev_b32_e32 v15, 3, v17
	s_mov_b32 s22, exec_lo
	v_cmpx_gt_u32_e32 8, v17
; %bb.543:                              ;   in Loop: Header=BB229_360 Depth=1
	s_delay_alu instid0(VALU_DEP_3) | instskip(NEXT) | instid1(VALU_DEP_1)
	v_clz_i32_u32_e32 v15, v5
	v_min_u32_e32 v15, 32, v15
	s_delay_alu instid0(VALU_DEP_1) | instskip(SKIP_1) | instid1(VALU_DEP_2)
	v_subrev_nc_u32_e32 v16, 28, v15
	v_sub_nc_u32_e32 v15, 29, v15
	v_lshlrev_b64 v[16:17], v16, v[5:6]
	s_delay_alu instid0(VALU_DEP_1)
	v_and_b32_e32 v5, 7, v16
; %bb.544:                              ;   in Loop: Header=BB229_360 Depth=1
	s_or_b32 exec_lo, exec_lo, s22
	v_lshlrev_b32_e32 v16, 16, v63
	s_delay_alu instid0(VALU_DEP_2) | instskip(SKIP_1) | instid1(VALU_DEP_3)
	v_lshlrev_b32_e32 v5, 20, v5
	v_lshl_add_u32 v15, v15, 23, 0x3c000000
	v_and_b32_e32 v16, 0x80000000, v16
	s_delay_alu instid0(VALU_DEP_1)
	v_or3_b32 v16, v5, v16, v15
	v_mov_b32_e32 v15, v6
.LBB229_545:                            ;   in Loop: Header=BB229_360 Depth=1
	s_or_b32 exec_lo, exec_lo, s2
.LBB229_546:                            ;   in Loop: Header=BB229_360 Depth=1
	s_delay_alu instid0(SALU_CYCLE_1)
	s_or_b32 exec_lo, exec_lo, s21
.LBB229_547:                            ;   in Loop: Header=BB229_360 Depth=1
	s_delay_alu instid0(SALU_CYCLE_1) | instskip(SKIP_4) | instid1(VALU_DEP_2)
	s_or_b32 exec_lo, exec_lo, s20
	v_mov_b32_e32 v19, 0
	v_lshrrev_b32_e32 v64, 16, v63
	v_mov_b32_e32 v20, 0
	s_mov_b32 s2, exec_lo
	v_and_b32_e32 v5, 0xff, v64
	s_delay_alu instid0(VALU_DEP_2) | instskip(NEXT) | instid1(VALU_DEP_2)
	v_dual_mov_b32 v17, v19 :: v_dual_mov_b32 v18, v20
	v_cmpx_ne_u16_e32 0, v5
	s_cbranch_execz .LBB229_555
; %bb.548:                              ;   in Loop: Header=BB229_360 Depth=1
	v_bfrev_b32_e32 v17, 1
	v_mov_b32_e32 v18, 0
	s_mov_b32 s20, exec_lo
	v_cmpx_ne_u16_e32 0x80, v5
	s_cbranch_execz .LBB229_554
; %bb.549:                              ;   in Loop: Header=BB229_360 Depth=1
	v_mov_b32_e32 v17, 0x7f800001
	v_bfe_u32 v65, v63, 16, 7
	v_mov_b32_e32 v18, 0
	s_mov_b32 s21, exec_lo
	s_delay_alu instid0(VALU_DEP_2)
	v_cmpx_ne_u32_e32 0x7f, v65
	s_cbranch_execz .LBB229_553
; %bb.550:                              ;   in Loop: Header=BB229_360 Depth=1
	v_and_b32_e32 v5, 7, v64
	v_lshrrev_b32_e32 v17, 3, v65
	s_mov_b32 s22, exec_lo
	v_cmpx_gt_u32_e32 8, v65
; %bb.551:                              ;   in Loop: Header=BB229_360 Depth=1
	s_delay_alu instid0(VALU_DEP_3) | instskip(NEXT) | instid1(VALU_DEP_1)
	v_clz_i32_u32_e32 v17, v5
	v_min_u32_e32 v17, 32, v17
	s_delay_alu instid0(VALU_DEP_1) | instskip(SKIP_1) | instid1(VALU_DEP_2)
	v_subrev_nc_u32_e32 v18, 28, v17
	v_sub_nc_u32_e32 v17, 29, v17
	v_lshlrev_b64 v[65:66], v18, v[5:6]
	s_delay_alu instid0(VALU_DEP_1)
	v_and_b32_e32 v5, 7, v65
; %bb.552:                              ;   in Loop: Header=BB229_360 Depth=1
	s_or_b32 exec_lo, exec_lo, s22
	v_lshlrev_b32_e32 v18, 24, v64
	s_delay_alu instid0(VALU_DEP_2) | instskip(SKIP_1) | instid1(VALU_DEP_3)
	v_lshlrev_b32_e32 v5, 20, v5
	v_lshl_add_u32 v17, v17, 23, 0x3c000000
	v_and_b32_e32 v18, 0x80000000, v18
	s_delay_alu instid0(VALU_DEP_1) | instskip(NEXT) | instid1(VALU_DEP_1)
	v_or3_b32 v5, v5, v18, v17
	v_dual_mov_b32 v18, v6 :: v_dual_mov_b32 v17, v5
.LBB229_553:                            ;   in Loop: Header=BB229_360 Depth=1
	s_or_b32 exec_lo, exec_lo, s21
.LBB229_554:                            ;   in Loop: Header=BB229_360 Depth=1
	s_delay_alu instid0(SALU_CYCLE_1)
	s_or_b32 exec_lo, exec_lo, s20
.LBB229_555:                            ;   in Loop: Header=BB229_360 Depth=1
	s_delay_alu instid0(SALU_CYCLE_1) | instskip(NEXT) | instid1(SALU_CYCLE_1)
	s_or_b32 exec_lo, exec_lo, s2
	s_mov_b32 s20, exec_lo
	v_cmpx_lt_u32_e32 0xffffff, v63
	s_cbranch_execz .LBB229_563
; %bb.556:                              ;   in Loop: Header=BB229_360 Depth=1
	v_lshrrev_b32_e32 v64, 24, v63
	v_dual_mov_b32 v20, s9 :: v_dual_mov_b32 v19, s8
	s_mov_b32 s21, exec_lo
	s_delay_alu instid0(VALU_DEP_2)
	v_cmpx_ne_u32_e32 0x80, v64
	s_cbranch_execz .LBB229_562
; %bb.557:                              ;   in Loop: Header=BB229_360 Depth=1
	s_mov_b32 s2, s8
	v_bfe_u32 v63, v63, 24, 7
	v_dual_mov_b32 v20, s3 :: v_dual_mov_b32 v19, s2
	s_mov_b32 s2, exec_lo
	s_delay_alu instid0(VALU_DEP_2)
	v_cmpx_ne_u32_e32 0x7f, v63
	s_cbranch_execz .LBB229_561
; %bb.558:                              ;   in Loop: Header=BB229_360 Depth=1
	v_and_b32_e32 v5, 7, v64
	v_lshrrev_b32_e32 v19, 3, v63
	s_mov_b32 s22, exec_lo
	v_cmpx_gt_u32_e32 8, v63
; %bb.559:                              ;   in Loop: Header=BB229_360 Depth=1
	s_delay_alu instid0(VALU_DEP_3) | instskip(NEXT) | instid1(VALU_DEP_1)
	v_clz_i32_u32_e32 v19, v5
	v_min_u32_e32 v19, 32, v19
	s_delay_alu instid0(VALU_DEP_1) | instskip(SKIP_1) | instid1(VALU_DEP_2)
	v_subrev_nc_u32_e32 v20, 28, v19
	v_sub_nc_u32_e32 v19, 29, v19
	v_lshlrev_b64 v[65:66], v20, v[5:6]
	s_delay_alu instid0(VALU_DEP_1)
	v_and_b32_e32 v5, 7, v65
; %bb.560:                              ;   in Loop: Header=BB229_360 Depth=1
	s_or_b32 exec_lo, exec_lo, s22
	v_lshlrev_b32_e32 v20, 24, v64
	s_delay_alu instid0(VALU_DEP_2) | instskip(SKIP_1) | instid1(VALU_DEP_3)
	v_lshlrev_b32_e32 v5, 20, v5
	v_lshl_add_u32 v19, v19, 23, 0x3c000000
	v_and_b32_e32 v20, 0x80000000, v20
	s_delay_alu instid0(VALU_DEP_1)
	v_or3_b32 v20, v5, v20, v19
	v_mov_b32_e32 v19, v6
.LBB229_561:                            ;   in Loop: Header=BB229_360 Depth=1
	s_or_b32 exec_lo, exec_lo, s2
.LBB229_562:                            ;   in Loop: Header=BB229_360 Depth=1
	s_delay_alu instid0(SALU_CYCLE_1)
	s_or_b32 exec_lo, exec_lo, s21
.LBB229_563:                            ;   in Loop: Header=BB229_360 Depth=1
	s_delay_alu instid0(SALU_CYCLE_1) | instskip(SKIP_4) | instid1(VALU_DEP_4)
	s_or_b32 exec_lo, exec_lo, s20
	v_or_b32_e32 v5, v16, v14
	v_or_b32_e32 v13, v15, v13
	v_or_b32_e32 v14, v20, v18
	v_or_b32_e32 v15, v19, v17
	v_mul_f32_e32 v66, s18, v5
	s_delay_alu instid0(VALU_DEP_4) | instskip(NEXT) | instid1(VALU_DEP_3)
	v_mul_f32_e32 v65, s17, v13
	v_dual_mul_f32 v63, s18, v14 :: v_dual_mul_f32 v64, s17, v15
	s_and_saveexec_b32 s2, vcc_lo
; %bb.564:                              ;   in Loop: Header=BB229_360 Depth=1
	v_cmp_gt_i32_e64 s0, s33, v43
	s_delay_alu instid0(VALU_DEP_1) | instskip(SKIP_1) | instid1(VALU_DEP_1)
	v_cndmask_b32_e64 v65, 0, v65, s0
	v_cmp_gt_i32_e64 s0, s33, v46
	v_cndmask_b32_e64 v66, 0, v66, s0
	v_cmp_gt_i32_e64 s0, s33, v45
	s_delay_alu instid0(VALU_DEP_1) | instskip(SKIP_1) | instid1(VALU_DEP_1)
	v_cndmask_b32_e64 v64, 0, v64, s0
	v_cmp_gt_i32_e64 s0, s33, v44
	v_cndmask_b32_e64 v63, 0, v63, s0
; %bb.565:                              ;   in Loop: Header=BB229_360 Depth=1
	s_or_b32 exec_lo, exec_lo, s2
	global_load_b32 v67, v[11:12], off offset:768
	v_mov_b32_e32 v15, 0
	v_mov_b32_e32 v16, 0
	s_mov_b32 s2, exec_lo
	s_waitcnt vmcnt(0)
	v_and_b32_e32 v5, 0xff, v67
	s_delay_alu instid0(VALU_DEP_2) | instskip(NEXT) | instid1(VALU_DEP_2)
	v_dual_mov_b32 v13, v15 :: v_dual_mov_b32 v14, v16
	v_cmpx_ne_u16_e32 0, v5
	s_cbranch_execz .LBB229_573
; %bb.566:                              ;   in Loop: Header=BB229_360 Depth=1
	v_bfrev_b32_e32 v13, 1
	v_mov_b32_e32 v14, 0
	s_mov_b32 s20, exec_lo
	v_cmpx_ne_u16_e32 0x80, v5
	s_cbranch_execz .LBB229_572
; %bb.567:                              ;   in Loop: Header=BB229_360 Depth=1
	v_mov_b32_e32 v13, 0x7f800001
	v_dual_mov_b32 v14, 0 :: v_dual_and_b32 v17, 0x7f, v67
	s_mov_b32 s21, exec_lo
	s_delay_alu instid0(VALU_DEP_1)
	v_cmpx_ne_u32_e32 0x7f, v17
	s_cbranch_execz .LBB229_571
; %bb.568:                              ;   in Loop: Header=BB229_360 Depth=1
	v_and_b32_e32 v5, 7, v67
	v_lshrrev_b32_e32 v13, 3, v17
	s_mov_b32 s22, exec_lo
	v_cmpx_gt_u32_e32 8, v17
; %bb.569:                              ;   in Loop: Header=BB229_360 Depth=1
	s_delay_alu instid0(VALU_DEP_3) | instskip(NEXT) | instid1(VALU_DEP_1)
	v_clz_i32_u32_e32 v13, v5
	v_min_u32_e32 v13, 32, v13
	s_delay_alu instid0(VALU_DEP_1) | instskip(SKIP_1) | instid1(VALU_DEP_2)
	v_subrev_nc_u32_e32 v14, 28, v13
	v_sub_nc_u32_e32 v13, 29, v13
	v_lshlrev_b64 v[17:18], v14, v[5:6]
	s_delay_alu instid0(VALU_DEP_1)
	v_and_b32_e32 v5, 7, v17
; %bb.570:                              ;   in Loop: Header=BB229_360 Depth=1
	s_or_b32 exec_lo, exec_lo, s22
	v_lshlrev_b32_e32 v14, 24, v67
	s_delay_alu instid0(VALU_DEP_2) | instskip(SKIP_1) | instid1(VALU_DEP_3)
	v_lshlrev_b32_e32 v5, 20, v5
	v_lshl_add_u32 v13, v13, 23, 0x3c000000
	v_and_b32_e32 v14, 0x80000000, v14
	s_delay_alu instid0(VALU_DEP_1) | instskip(NEXT) | instid1(VALU_DEP_1)
	v_or3_b32 v5, v5, v14, v13
	v_dual_mov_b32 v14, v6 :: v_dual_mov_b32 v13, v5
.LBB229_571:                            ;   in Loop: Header=BB229_360 Depth=1
	s_or_b32 exec_lo, exec_lo, s21
.LBB229_572:                            ;   in Loop: Header=BB229_360 Depth=1
	s_delay_alu instid0(SALU_CYCLE_1)
	s_or_b32 exec_lo, exec_lo, s20
.LBB229_573:                            ;   in Loop: Header=BB229_360 Depth=1
	s_delay_alu instid0(SALU_CYCLE_1) | instskip(SKIP_2) | instid1(VALU_DEP_1)
	s_or_b32 exec_lo, exec_lo, s2
	v_lshrrev_b16 v5, 8, v67
	s_mov_b32 s20, exec_lo
	v_cmpx_ne_u16_e32 0, v5
	s_cbranch_execz .LBB229_581
; %bb.574:                              ;   in Loop: Header=BB229_360 Depth=1
	v_dual_mov_b32 v16, s9 :: v_dual_mov_b32 v15, s8
	s_mov_b32 s21, exec_lo
	v_cmpx_ne_u16_e32 0x80, v5
	s_cbranch_execz .LBB229_580
; %bb.575:                              ;   in Loop: Header=BB229_360 Depth=1
	s_mov_b32 s2, s8
	v_dual_mov_b32 v16, s3 :: v_dual_and_b32 v5, 0xffff, v5
	v_mov_b32_e32 v15, s2
	s_mov_b32 s2, exec_lo
	s_delay_alu instid0(VALU_DEP_2) | instskip(NEXT) | instid1(VALU_DEP_1)
	v_and_b32_e32 v17, 0x7f, v5
	v_cmpx_ne_u32_e32 0x7f, v17
	s_cbranch_execz .LBB229_579
; %bb.576:                              ;   in Loop: Header=BB229_360 Depth=1
	v_and_b32_e32 v5, 7, v5
	v_lshrrev_b32_e32 v15, 3, v17
	s_mov_b32 s22, exec_lo
	v_cmpx_gt_u32_e32 8, v17
; %bb.577:                              ;   in Loop: Header=BB229_360 Depth=1
	s_delay_alu instid0(VALU_DEP_3) | instskip(NEXT) | instid1(VALU_DEP_1)
	v_clz_i32_u32_e32 v15, v5
	v_min_u32_e32 v15, 32, v15
	s_delay_alu instid0(VALU_DEP_1) | instskip(SKIP_1) | instid1(VALU_DEP_2)
	v_subrev_nc_u32_e32 v16, 28, v15
	v_sub_nc_u32_e32 v15, 29, v15
	v_lshlrev_b64 v[16:17], v16, v[5:6]
	s_delay_alu instid0(VALU_DEP_1)
	v_and_b32_e32 v5, 7, v16
; %bb.578:                              ;   in Loop: Header=BB229_360 Depth=1
	s_or_b32 exec_lo, exec_lo, s22
	v_lshlrev_b32_e32 v16, 16, v67
	s_delay_alu instid0(VALU_DEP_2) | instskip(SKIP_1) | instid1(VALU_DEP_3)
	v_lshlrev_b32_e32 v5, 20, v5
	v_lshl_add_u32 v15, v15, 23, 0x3c000000
	v_and_b32_e32 v16, 0x80000000, v16
	s_delay_alu instid0(VALU_DEP_1)
	v_or3_b32 v16, v5, v16, v15
	v_mov_b32_e32 v15, v6
.LBB229_579:                            ;   in Loop: Header=BB229_360 Depth=1
	s_or_b32 exec_lo, exec_lo, s2
.LBB229_580:                            ;   in Loop: Header=BB229_360 Depth=1
	s_delay_alu instid0(SALU_CYCLE_1)
	s_or_b32 exec_lo, exec_lo, s21
.LBB229_581:                            ;   in Loop: Header=BB229_360 Depth=1
	s_delay_alu instid0(SALU_CYCLE_1) | instskip(SKIP_4) | instid1(VALU_DEP_2)
	s_or_b32 exec_lo, exec_lo, s20
	v_mov_b32_e32 v19, 0
	v_lshrrev_b32_e32 v68, 16, v67
	v_mov_b32_e32 v20, 0
	s_mov_b32 s2, exec_lo
	v_and_b32_e32 v5, 0xff, v68
	s_delay_alu instid0(VALU_DEP_2) | instskip(NEXT) | instid1(VALU_DEP_2)
	v_dual_mov_b32 v17, v19 :: v_dual_mov_b32 v18, v20
	v_cmpx_ne_u16_e32 0, v5
	s_cbranch_execz .LBB229_589
; %bb.582:                              ;   in Loop: Header=BB229_360 Depth=1
	v_bfrev_b32_e32 v17, 1
	v_mov_b32_e32 v18, 0
	s_mov_b32 s20, exec_lo
	v_cmpx_ne_u16_e32 0x80, v5
	s_cbranch_execz .LBB229_588
; %bb.583:                              ;   in Loop: Header=BB229_360 Depth=1
	v_mov_b32_e32 v17, 0x7f800001
	v_bfe_u32 v69, v67, 16, 7
	v_mov_b32_e32 v18, 0
	s_mov_b32 s21, exec_lo
	s_delay_alu instid0(VALU_DEP_2)
	v_cmpx_ne_u32_e32 0x7f, v69
	s_cbranch_execz .LBB229_587
; %bb.584:                              ;   in Loop: Header=BB229_360 Depth=1
	v_and_b32_e32 v5, 7, v68
	v_lshrrev_b32_e32 v17, 3, v69
	s_mov_b32 s22, exec_lo
	v_cmpx_gt_u32_e32 8, v69
; %bb.585:                              ;   in Loop: Header=BB229_360 Depth=1
	s_delay_alu instid0(VALU_DEP_3) | instskip(NEXT) | instid1(VALU_DEP_1)
	v_clz_i32_u32_e32 v17, v5
	v_min_u32_e32 v17, 32, v17
	s_delay_alu instid0(VALU_DEP_1) | instskip(SKIP_1) | instid1(VALU_DEP_2)
	v_subrev_nc_u32_e32 v18, 28, v17
	v_sub_nc_u32_e32 v17, 29, v17
	v_lshlrev_b64 v[69:70], v18, v[5:6]
	s_delay_alu instid0(VALU_DEP_1)
	v_and_b32_e32 v5, 7, v69
; %bb.586:                              ;   in Loop: Header=BB229_360 Depth=1
	s_or_b32 exec_lo, exec_lo, s22
	v_lshlrev_b32_e32 v18, 24, v68
	s_delay_alu instid0(VALU_DEP_2) | instskip(SKIP_1) | instid1(VALU_DEP_3)
	v_lshlrev_b32_e32 v5, 20, v5
	v_lshl_add_u32 v17, v17, 23, 0x3c000000
	v_and_b32_e32 v18, 0x80000000, v18
	s_delay_alu instid0(VALU_DEP_1) | instskip(NEXT) | instid1(VALU_DEP_1)
	v_or3_b32 v5, v5, v18, v17
	v_dual_mov_b32 v18, v6 :: v_dual_mov_b32 v17, v5
.LBB229_587:                            ;   in Loop: Header=BB229_360 Depth=1
	s_or_b32 exec_lo, exec_lo, s21
.LBB229_588:                            ;   in Loop: Header=BB229_360 Depth=1
	s_delay_alu instid0(SALU_CYCLE_1)
	s_or_b32 exec_lo, exec_lo, s20
.LBB229_589:                            ;   in Loop: Header=BB229_360 Depth=1
	s_delay_alu instid0(SALU_CYCLE_1) | instskip(NEXT) | instid1(SALU_CYCLE_1)
	s_or_b32 exec_lo, exec_lo, s2
	s_mov_b32 s20, exec_lo
	v_cmpx_lt_u32_e32 0xffffff, v67
	s_cbranch_execz .LBB229_597
; %bb.590:                              ;   in Loop: Header=BB229_360 Depth=1
	v_lshrrev_b32_e32 v68, 24, v67
	v_dual_mov_b32 v20, s9 :: v_dual_mov_b32 v19, s8
	s_mov_b32 s21, exec_lo
	s_delay_alu instid0(VALU_DEP_2)
	v_cmpx_ne_u32_e32 0x80, v68
	s_cbranch_execz .LBB229_596
; %bb.591:                              ;   in Loop: Header=BB229_360 Depth=1
	s_mov_b32 s2, s8
	v_bfe_u32 v67, v67, 24, 7
	v_dual_mov_b32 v20, s3 :: v_dual_mov_b32 v19, s2
	s_mov_b32 s2, exec_lo
	s_delay_alu instid0(VALU_DEP_2)
	v_cmpx_ne_u32_e32 0x7f, v67
	s_cbranch_execz .LBB229_595
; %bb.592:                              ;   in Loop: Header=BB229_360 Depth=1
	v_and_b32_e32 v5, 7, v68
	v_lshrrev_b32_e32 v19, 3, v67
	s_mov_b32 s22, exec_lo
	v_cmpx_gt_u32_e32 8, v67
; %bb.593:                              ;   in Loop: Header=BB229_360 Depth=1
	s_delay_alu instid0(VALU_DEP_3) | instskip(NEXT) | instid1(VALU_DEP_1)
	v_clz_i32_u32_e32 v19, v5
	v_min_u32_e32 v19, 32, v19
	s_delay_alu instid0(VALU_DEP_1) | instskip(SKIP_1) | instid1(VALU_DEP_2)
	v_subrev_nc_u32_e32 v20, 28, v19
	v_sub_nc_u32_e32 v19, 29, v19
	v_lshlrev_b64 v[69:70], v20, v[5:6]
	s_delay_alu instid0(VALU_DEP_1)
	v_and_b32_e32 v5, 7, v69
; %bb.594:                              ;   in Loop: Header=BB229_360 Depth=1
	s_or_b32 exec_lo, exec_lo, s22
	v_lshlrev_b32_e32 v20, 24, v68
	s_delay_alu instid0(VALU_DEP_2) | instskip(SKIP_1) | instid1(VALU_DEP_3)
	v_lshlrev_b32_e32 v5, 20, v5
	v_lshl_add_u32 v19, v19, 23, 0x3c000000
	v_and_b32_e32 v20, 0x80000000, v20
	s_delay_alu instid0(VALU_DEP_1)
	v_or3_b32 v20, v5, v20, v19
	v_mov_b32_e32 v19, v6
.LBB229_595:                            ;   in Loop: Header=BB229_360 Depth=1
	s_or_b32 exec_lo, exec_lo, s2
.LBB229_596:                            ;   in Loop: Header=BB229_360 Depth=1
	s_delay_alu instid0(SALU_CYCLE_1)
	s_or_b32 exec_lo, exec_lo, s21
.LBB229_597:                            ;   in Loop: Header=BB229_360 Depth=1
	s_delay_alu instid0(SALU_CYCLE_1) | instskip(SKIP_4) | instid1(VALU_DEP_4)
	s_or_b32 exec_lo, exec_lo, s20
	v_or_b32_e32 v5, v16, v14
	v_or_b32_e32 v13, v15, v13
	;; [unrolled: 1-line block ×4, first 2 shown]
	v_mul_f32_e32 v70, s18, v5
	s_delay_alu instid0(VALU_DEP_4) | instskip(NEXT) | instid1(VALU_DEP_3)
	v_mul_f32_e32 v69, s17, v13
	v_dual_mul_f32 v67, s18, v14 :: v_dual_mul_f32 v68, s17, v15
	s_and_saveexec_b32 s2, vcc_lo
; %bb.598:                              ;   in Loop: Header=BB229_360 Depth=1
	v_cmp_gt_i32_e64 s0, s33, v43
	s_delay_alu instid0(VALU_DEP_1) | instskip(SKIP_1) | instid1(VALU_DEP_1)
	v_cndmask_b32_e64 v69, 0, v69, s0
	v_cmp_gt_i32_e64 s0, s33, v46
	v_cndmask_b32_e64 v70, 0, v70, s0
	v_cmp_gt_i32_e64 s0, s33, v45
	s_delay_alu instid0(VALU_DEP_1) | instskip(SKIP_1) | instid1(VALU_DEP_1)
	v_cndmask_b32_e64 v68, 0, v68, s0
	v_cmp_gt_i32_e64 s0, s33, v44
	v_cndmask_b32_e64 v67, 0, v67, s0
; %bb.599:                              ;   in Loop: Header=BB229_360 Depth=1
	s_or_b32 exec_lo, exec_lo, s2
	global_load_b32 v71, v[11:12], off offset:896
	v_mov_b32_e32 v15, 0
	v_mov_b32_e32 v16, 0
	s_mov_b32 s2, exec_lo
	s_waitcnt vmcnt(0)
	v_and_b32_e32 v5, 0xff, v71
	s_delay_alu instid0(VALU_DEP_2) | instskip(NEXT) | instid1(VALU_DEP_2)
	v_dual_mov_b32 v13, v15 :: v_dual_mov_b32 v14, v16
	v_cmpx_ne_u16_e32 0, v5
	s_cbranch_execz .LBB229_607
; %bb.600:                              ;   in Loop: Header=BB229_360 Depth=1
	v_bfrev_b32_e32 v13, 1
	v_mov_b32_e32 v14, 0
	s_mov_b32 s20, exec_lo
	v_cmpx_ne_u16_e32 0x80, v5
	s_cbranch_execz .LBB229_606
; %bb.601:                              ;   in Loop: Header=BB229_360 Depth=1
	v_mov_b32_e32 v13, 0x7f800001
	v_dual_mov_b32 v14, 0 :: v_dual_and_b32 v17, 0x7f, v71
	s_mov_b32 s21, exec_lo
	s_delay_alu instid0(VALU_DEP_1)
	v_cmpx_ne_u32_e32 0x7f, v17
	s_cbranch_execz .LBB229_605
; %bb.602:                              ;   in Loop: Header=BB229_360 Depth=1
	v_and_b32_e32 v5, 7, v71
	v_lshrrev_b32_e32 v13, 3, v17
	s_mov_b32 s22, exec_lo
	v_cmpx_gt_u32_e32 8, v17
; %bb.603:                              ;   in Loop: Header=BB229_360 Depth=1
	s_delay_alu instid0(VALU_DEP_3) | instskip(NEXT) | instid1(VALU_DEP_1)
	v_clz_i32_u32_e32 v13, v5
	v_min_u32_e32 v13, 32, v13
	s_delay_alu instid0(VALU_DEP_1) | instskip(SKIP_1) | instid1(VALU_DEP_2)
	v_subrev_nc_u32_e32 v14, 28, v13
	v_sub_nc_u32_e32 v13, 29, v13
	v_lshlrev_b64 v[17:18], v14, v[5:6]
	s_delay_alu instid0(VALU_DEP_1)
	v_and_b32_e32 v5, 7, v17
; %bb.604:                              ;   in Loop: Header=BB229_360 Depth=1
	s_or_b32 exec_lo, exec_lo, s22
	v_lshlrev_b32_e32 v14, 24, v71
	s_delay_alu instid0(VALU_DEP_2) | instskip(SKIP_1) | instid1(VALU_DEP_3)
	v_lshlrev_b32_e32 v5, 20, v5
	v_lshl_add_u32 v13, v13, 23, 0x3c000000
	v_and_b32_e32 v14, 0x80000000, v14
	s_delay_alu instid0(VALU_DEP_1) | instskip(NEXT) | instid1(VALU_DEP_1)
	v_or3_b32 v5, v5, v14, v13
	v_dual_mov_b32 v14, v6 :: v_dual_mov_b32 v13, v5
.LBB229_605:                            ;   in Loop: Header=BB229_360 Depth=1
	s_or_b32 exec_lo, exec_lo, s21
.LBB229_606:                            ;   in Loop: Header=BB229_360 Depth=1
	s_delay_alu instid0(SALU_CYCLE_1)
	s_or_b32 exec_lo, exec_lo, s20
.LBB229_607:                            ;   in Loop: Header=BB229_360 Depth=1
	s_delay_alu instid0(SALU_CYCLE_1) | instskip(SKIP_2) | instid1(VALU_DEP_1)
	s_or_b32 exec_lo, exec_lo, s2
	v_lshrrev_b16 v5, 8, v71
	s_mov_b32 s20, exec_lo
	v_cmpx_ne_u16_e32 0, v5
	s_cbranch_execz .LBB229_615
; %bb.608:                              ;   in Loop: Header=BB229_360 Depth=1
	v_dual_mov_b32 v16, s9 :: v_dual_mov_b32 v15, s8
	s_mov_b32 s21, exec_lo
	v_cmpx_ne_u16_e32 0x80, v5
	s_cbranch_execz .LBB229_614
; %bb.609:                              ;   in Loop: Header=BB229_360 Depth=1
	s_mov_b32 s2, s8
	v_dual_mov_b32 v16, s3 :: v_dual_and_b32 v5, 0xffff, v5
	v_mov_b32_e32 v15, s2
	s_mov_b32 s2, exec_lo
	s_delay_alu instid0(VALU_DEP_2) | instskip(NEXT) | instid1(VALU_DEP_1)
	v_and_b32_e32 v17, 0x7f, v5
	v_cmpx_ne_u32_e32 0x7f, v17
	s_cbranch_execz .LBB229_613
; %bb.610:                              ;   in Loop: Header=BB229_360 Depth=1
	v_and_b32_e32 v5, 7, v5
	v_lshrrev_b32_e32 v15, 3, v17
	s_mov_b32 s22, exec_lo
	v_cmpx_gt_u32_e32 8, v17
; %bb.611:                              ;   in Loop: Header=BB229_360 Depth=1
	s_delay_alu instid0(VALU_DEP_3) | instskip(NEXT) | instid1(VALU_DEP_1)
	v_clz_i32_u32_e32 v15, v5
	v_min_u32_e32 v15, 32, v15
	s_delay_alu instid0(VALU_DEP_1) | instskip(SKIP_1) | instid1(VALU_DEP_2)
	v_subrev_nc_u32_e32 v16, 28, v15
	v_sub_nc_u32_e32 v15, 29, v15
	v_lshlrev_b64 v[16:17], v16, v[5:6]
	s_delay_alu instid0(VALU_DEP_1)
	v_and_b32_e32 v5, 7, v16
; %bb.612:                              ;   in Loop: Header=BB229_360 Depth=1
	s_or_b32 exec_lo, exec_lo, s22
	v_lshlrev_b32_e32 v16, 16, v71
	s_delay_alu instid0(VALU_DEP_2) | instskip(SKIP_1) | instid1(VALU_DEP_3)
	v_lshlrev_b32_e32 v5, 20, v5
	v_lshl_add_u32 v15, v15, 23, 0x3c000000
	v_and_b32_e32 v16, 0x80000000, v16
	s_delay_alu instid0(VALU_DEP_1)
	v_or3_b32 v16, v5, v16, v15
	v_mov_b32_e32 v15, v6
.LBB229_613:                            ;   in Loop: Header=BB229_360 Depth=1
	s_or_b32 exec_lo, exec_lo, s2
.LBB229_614:                            ;   in Loop: Header=BB229_360 Depth=1
	s_delay_alu instid0(SALU_CYCLE_1)
	s_or_b32 exec_lo, exec_lo, s21
.LBB229_615:                            ;   in Loop: Header=BB229_360 Depth=1
	s_delay_alu instid0(SALU_CYCLE_1) | instskip(SKIP_4) | instid1(VALU_DEP_2)
	s_or_b32 exec_lo, exec_lo, s20
	v_mov_b32_e32 v19, 0
	v_lshrrev_b32_e32 v72, 16, v71
	v_mov_b32_e32 v20, 0
	s_mov_b32 s2, exec_lo
	v_and_b32_e32 v5, 0xff, v72
	s_delay_alu instid0(VALU_DEP_2) | instskip(NEXT) | instid1(VALU_DEP_2)
	v_dual_mov_b32 v17, v19 :: v_dual_mov_b32 v18, v20
	v_cmpx_ne_u16_e32 0, v5
	s_cbranch_execz .LBB229_623
; %bb.616:                              ;   in Loop: Header=BB229_360 Depth=1
	v_bfrev_b32_e32 v17, 1
	v_mov_b32_e32 v18, 0
	s_mov_b32 s20, exec_lo
	v_cmpx_ne_u16_e32 0x80, v5
	s_cbranch_execz .LBB229_622
; %bb.617:                              ;   in Loop: Header=BB229_360 Depth=1
	v_mov_b32_e32 v17, 0x7f800001
	v_bfe_u32 v73, v71, 16, 7
	v_mov_b32_e32 v18, 0
	s_mov_b32 s21, exec_lo
	s_delay_alu instid0(VALU_DEP_2)
	v_cmpx_ne_u32_e32 0x7f, v73
	s_cbranch_execz .LBB229_621
; %bb.618:                              ;   in Loop: Header=BB229_360 Depth=1
	v_and_b32_e32 v5, 7, v72
	v_lshrrev_b32_e32 v17, 3, v73
	s_mov_b32 s22, exec_lo
	v_cmpx_gt_u32_e32 8, v73
; %bb.619:                              ;   in Loop: Header=BB229_360 Depth=1
	s_delay_alu instid0(VALU_DEP_3) | instskip(NEXT) | instid1(VALU_DEP_1)
	v_clz_i32_u32_e32 v17, v5
	v_min_u32_e32 v17, 32, v17
	s_delay_alu instid0(VALU_DEP_1) | instskip(SKIP_1) | instid1(VALU_DEP_2)
	v_subrev_nc_u32_e32 v18, 28, v17
	v_sub_nc_u32_e32 v17, 29, v17
	v_lshlrev_b64 v[73:74], v18, v[5:6]
	s_delay_alu instid0(VALU_DEP_1)
	v_and_b32_e32 v5, 7, v73
; %bb.620:                              ;   in Loop: Header=BB229_360 Depth=1
	s_or_b32 exec_lo, exec_lo, s22
	v_lshlrev_b32_e32 v18, 24, v72
	s_delay_alu instid0(VALU_DEP_2) | instskip(SKIP_1) | instid1(VALU_DEP_3)
	v_lshlrev_b32_e32 v5, 20, v5
	v_lshl_add_u32 v17, v17, 23, 0x3c000000
	v_and_b32_e32 v18, 0x80000000, v18
	s_delay_alu instid0(VALU_DEP_1) | instskip(NEXT) | instid1(VALU_DEP_1)
	v_or3_b32 v5, v5, v18, v17
	v_dual_mov_b32 v18, v6 :: v_dual_mov_b32 v17, v5
.LBB229_621:                            ;   in Loop: Header=BB229_360 Depth=1
	s_or_b32 exec_lo, exec_lo, s21
.LBB229_622:                            ;   in Loop: Header=BB229_360 Depth=1
	s_delay_alu instid0(SALU_CYCLE_1)
	s_or_b32 exec_lo, exec_lo, s20
.LBB229_623:                            ;   in Loop: Header=BB229_360 Depth=1
	s_delay_alu instid0(SALU_CYCLE_1) | instskip(NEXT) | instid1(SALU_CYCLE_1)
	s_or_b32 exec_lo, exec_lo, s2
	s_mov_b32 s20, exec_lo
	v_cmpx_lt_u32_e32 0xffffff, v71
	s_cbranch_execz .LBB229_631
; %bb.624:                              ;   in Loop: Header=BB229_360 Depth=1
	v_lshrrev_b32_e32 v72, 24, v71
	v_dual_mov_b32 v20, s9 :: v_dual_mov_b32 v19, s8
	s_mov_b32 s21, exec_lo
	s_delay_alu instid0(VALU_DEP_2)
	v_cmpx_ne_u32_e32 0x80, v72
	s_cbranch_execz .LBB229_630
; %bb.625:                              ;   in Loop: Header=BB229_360 Depth=1
	s_mov_b32 s2, s8
	v_bfe_u32 v71, v71, 24, 7
	v_dual_mov_b32 v20, s3 :: v_dual_mov_b32 v19, s2
	s_mov_b32 s2, exec_lo
	s_delay_alu instid0(VALU_DEP_2)
	v_cmpx_ne_u32_e32 0x7f, v71
	s_cbranch_execz .LBB229_629
; %bb.626:                              ;   in Loop: Header=BB229_360 Depth=1
	v_and_b32_e32 v5, 7, v72
	v_lshrrev_b32_e32 v19, 3, v71
	s_mov_b32 s22, exec_lo
	v_cmpx_gt_u32_e32 8, v71
; %bb.627:                              ;   in Loop: Header=BB229_360 Depth=1
	s_delay_alu instid0(VALU_DEP_3) | instskip(NEXT) | instid1(VALU_DEP_1)
	v_clz_i32_u32_e32 v19, v5
	v_min_u32_e32 v19, 32, v19
	s_delay_alu instid0(VALU_DEP_1) | instskip(SKIP_1) | instid1(VALU_DEP_2)
	v_subrev_nc_u32_e32 v20, 28, v19
	v_sub_nc_u32_e32 v19, 29, v19
	v_lshlrev_b64 v[73:74], v20, v[5:6]
	s_delay_alu instid0(VALU_DEP_1)
	v_and_b32_e32 v5, 7, v73
; %bb.628:                              ;   in Loop: Header=BB229_360 Depth=1
	s_or_b32 exec_lo, exec_lo, s22
	v_lshlrev_b32_e32 v20, 24, v72
	s_delay_alu instid0(VALU_DEP_2) | instskip(SKIP_1) | instid1(VALU_DEP_3)
	v_lshlrev_b32_e32 v5, 20, v5
	v_lshl_add_u32 v19, v19, 23, 0x3c000000
	v_and_b32_e32 v20, 0x80000000, v20
	s_delay_alu instid0(VALU_DEP_1)
	v_or3_b32 v20, v5, v20, v19
	v_mov_b32_e32 v19, v6
.LBB229_629:                            ;   in Loop: Header=BB229_360 Depth=1
	s_or_b32 exec_lo, exec_lo, s2
.LBB229_630:                            ;   in Loop: Header=BB229_360 Depth=1
	s_delay_alu instid0(SALU_CYCLE_1)
	s_or_b32 exec_lo, exec_lo, s21
.LBB229_631:                            ;   in Loop: Header=BB229_360 Depth=1
	s_delay_alu instid0(SALU_CYCLE_1) | instskip(SKIP_4) | instid1(VALU_DEP_4)
	s_or_b32 exec_lo, exec_lo, s20
	v_or_b32_e32 v5, v16, v14
	v_or_b32_e32 v13, v15, v13
	;; [unrolled: 1-line block ×4, first 2 shown]
	v_mul_f32_e32 v74, s18, v5
	s_delay_alu instid0(VALU_DEP_4) | instskip(NEXT) | instid1(VALU_DEP_3)
	v_mul_f32_e32 v73, s17, v13
	v_dual_mul_f32 v71, s18, v14 :: v_dual_mul_f32 v72, s17, v15
	s_and_saveexec_b32 s2, vcc_lo
; %bb.632:                              ;   in Loop: Header=BB229_360 Depth=1
	v_cmp_gt_i32_e64 s0, s33, v43
	s_delay_alu instid0(VALU_DEP_1) | instskip(SKIP_1) | instid1(VALU_DEP_1)
	v_cndmask_b32_e64 v73, 0, v73, s0
	v_cmp_gt_i32_e64 s0, s33, v46
	v_cndmask_b32_e64 v74, 0, v74, s0
	v_cmp_gt_i32_e64 s0, s33, v45
	s_delay_alu instid0(VALU_DEP_1) | instskip(SKIP_1) | instid1(VALU_DEP_1)
	v_cndmask_b32_e64 v72, 0, v72, s0
	v_cmp_gt_i32_e64 s0, s33, v44
	v_cndmask_b32_e64 v71, 0, v71, s0
; %bb.633:                              ;   in Loop: Header=BB229_360 Depth=1
	s_or_b32 exec_lo, exec_lo, s2
	global_load_b32 v75, v[11:12], off offset:1024
	v_mov_b32_e32 v15, 0
	v_mov_b32_e32 v16, 0
	s_mov_b32 s2, exec_lo
	s_waitcnt vmcnt(0)
	v_and_b32_e32 v5, 0xff, v75
	s_delay_alu instid0(VALU_DEP_2) | instskip(NEXT) | instid1(VALU_DEP_2)
	v_dual_mov_b32 v13, v15 :: v_dual_mov_b32 v14, v16
	v_cmpx_ne_u16_e32 0, v5
	s_cbranch_execz .LBB229_641
; %bb.634:                              ;   in Loop: Header=BB229_360 Depth=1
	v_bfrev_b32_e32 v13, 1
	v_mov_b32_e32 v14, 0
	s_mov_b32 s20, exec_lo
	v_cmpx_ne_u16_e32 0x80, v5
	s_cbranch_execz .LBB229_640
; %bb.635:                              ;   in Loop: Header=BB229_360 Depth=1
	v_mov_b32_e32 v13, 0x7f800001
	v_dual_mov_b32 v14, 0 :: v_dual_and_b32 v17, 0x7f, v75
	s_mov_b32 s21, exec_lo
	s_delay_alu instid0(VALU_DEP_1)
	v_cmpx_ne_u32_e32 0x7f, v17
	s_cbranch_execz .LBB229_639
; %bb.636:                              ;   in Loop: Header=BB229_360 Depth=1
	v_and_b32_e32 v5, 7, v75
	v_lshrrev_b32_e32 v13, 3, v17
	s_mov_b32 s22, exec_lo
	v_cmpx_gt_u32_e32 8, v17
; %bb.637:                              ;   in Loop: Header=BB229_360 Depth=1
	s_delay_alu instid0(VALU_DEP_3) | instskip(NEXT) | instid1(VALU_DEP_1)
	v_clz_i32_u32_e32 v13, v5
	v_min_u32_e32 v13, 32, v13
	s_delay_alu instid0(VALU_DEP_1) | instskip(SKIP_1) | instid1(VALU_DEP_2)
	v_subrev_nc_u32_e32 v14, 28, v13
	v_sub_nc_u32_e32 v13, 29, v13
	v_lshlrev_b64 v[17:18], v14, v[5:6]
	s_delay_alu instid0(VALU_DEP_1)
	v_and_b32_e32 v5, 7, v17
; %bb.638:                              ;   in Loop: Header=BB229_360 Depth=1
	s_or_b32 exec_lo, exec_lo, s22
	v_lshlrev_b32_e32 v14, 24, v75
	s_delay_alu instid0(VALU_DEP_2) | instskip(SKIP_1) | instid1(VALU_DEP_3)
	v_lshlrev_b32_e32 v5, 20, v5
	v_lshl_add_u32 v13, v13, 23, 0x3c000000
	v_and_b32_e32 v14, 0x80000000, v14
	s_delay_alu instid0(VALU_DEP_1) | instskip(NEXT) | instid1(VALU_DEP_1)
	v_or3_b32 v5, v5, v14, v13
	v_dual_mov_b32 v14, v6 :: v_dual_mov_b32 v13, v5
.LBB229_639:                            ;   in Loop: Header=BB229_360 Depth=1
	s_or_b32 exec_lo, exec_lo, s21
.LBB229_640:                            ;   in Loop: Header=BB229_360 Depth=1
	s_delay_alu instid0(SALU_CYCLE_1)
	s_or_b32 exec_lo, exec_lo, s20
.LBB229_641:                            ;   in Loop: Header=BB229_360 Depth=1
	s_delay_alu instid0(SALU_CYCLE_1) | instskip(SKIP_2) | instid1(VALU_DEP_1)
	s_or_b32 exec_lo, exec_lo, s2
	v_lshrrev_b16 v5, 8, v75
	s_mov_b32 s20, exec_lo
	v_cmpx_ne_u16_e32 0, v5
	s_cbranch_execz .LBB229_649
; %bb.642:                              ;   in Loop: Header=BB229_360 Depth=1
	v_dual_mov_b32 v16, s9 :: v_dual_mov_b32 v15, s8
	s_mov_b32 s21, exec_lo
	v_cmpx_ne_u16_e32 0x80, v5
	s_cbranch_execz .LBB229_648
; %bb.643:                              ;   in Loop: Header=BB229_360 Depth=1
	s_mov_b32 s2, s8
	v_dual_mov_b32 v16, s3 :: v_dual_and_b32 v5, 0xffff, v5
	v_mov_b32_e32 v15, s2
	s_mov_b32 s2, exec_lo
	s_delay_alu instid0(VALU_DEP_2) | instskip(NEXT) | instid1(VALU_DEP_1)
	v_and_b32_e32 v17, 0x7f, v5
	v_cmpx_ne_u32_e32 0x7f, v17
	s_cbranch_execz .LBB229_647
; %bb.644:                              ;   in Loop: Header=BB229_360 Depth=1
	v_and_b32_e32 v5, 7, v5
	v_lshrrev_b32_e32 v15, 3, v17
	s_mov_b32 s22, exec_lo
	v_cmpx_gt_u32_e32 8, v17
; %bb.645:                              ;   in Loop: Header=BB229_360 Depth=1
	s_delay_alu instid0(VALU_DEP_3) | instskip(NEXT) | instid1(VALU_DEP_1)
	v_clz_i32_u32_e32 v15, v5
	v_min_u32_e32 v15, 32, v15
	s_delay_alu instid0(VALU_DEP_1) | instskip(SKIP_1) | instid1(VALU_DEP_2)
	v_subrev_nc_u32_e32 v16, 28, v15
	v_sub_nc_u32_e32 v15, 29, v15
	v_lshlrev_b64 v[16:17], v16, v[5:6]
	s_delay_alu instid0(VALU_DEP_1)
	v_and_b32_e32 v5, 7, v16
; %bb.646:                              ;   in Loop: Header=BB229_360 Depth=1
	s_or_b32 exec_lo, exec_lo, s22
	v_lshlrev_b32_e32 v16, 16, v75
	s_delay_alu instid0(VALU_DEP_2) | instskip(SKIP_1) | instid1(VALU_DEP_3)
	v_lshlrev_b32_e32 v5, 20, v5
	v_lshl_add_u32 v15, v15, 23, 0x3c000000
	v_and_b32_e32 v16, 0x80000000, v16
	s_delay_alu instid0(VALU_DEP_1)
	v_or3_b32 v16, v5, v16, v15
	v_mov_b32_e32 v15, v6
.LBB229_647:                            ;   in Loop: Header=BB229_360 Depth=1
	s_or_b32 exec_lo, exec_lo, s2
.LBB229_648:                            ;   in Loop: Header=BB229_360 Depth=1
	s_delay_alu instid0(SALU_CYCLE_1)
	s_or_b32 exec_lo, exec_lo, s21
.LBB229_649:                            ;   in Loop: Header=BB229_360 Depth=1
	s_delay_alu instid0(SALU_CYCLE_1) | instskip(SKIP_4) | instid1(VALU_DEP_2)
	s_or_b32 exec_lo, exec_lo, s20
	v_mov_b32_e32 v19, 0
	v_lshrrev_b32_e32 v76, 16, v75
	v_mov_b32_e32 v20, 0
	s_mov_b32 s2, exec_lo
	v_and_b32_e32 v5, 0xff, v76
	s_delay_alu instid0(VALU_DEP_2) | instskip(NEXT) | instid1(VALU_DEP_2)
	v_dual_mov_b32 v17, v19 :: v_dual_mov_b32 v18, v20
	v_cmpx_ne_u16_e32 0, v5
	s_cbranch_execz .LBB229_657
; %bb.650:                              ;   in Loop: Header=BB229_360 Depth=1
	v_bfrev_b32_e32 v17, 1
	v_mov_b32_e32 v18, 0
	s_mov_b32 s20, exec_lo
	v_cmpx_ne_u16_e32 0x80, v5
	s_cbranch_execz .LBB229_656
; %bb.651:                              ;   in Loop: Header=BB229_360 Depth=1
	v_mov_b32_e32 v17, 0x7f800001
	v_bfe_u32 v77, v75, 16, 7
	v_mov_b32_e32 v18, 0
	s_mov_b32 s21, exec_lo
	s_delay_alu instid0(VALU_DEP_2)
	v_cmpx_ne_u32_e32 0x7f, v77
	s_cbranch_execz .LBB229_655
; %bb.652:                              ;   in Loop: Header=BB229_360 Depth=1
	v_and_b32_e32 v5, 7, v76
	v_lshrrev_b32_e32 v17, 3, v77
	s_mov_b32 s22, exec_lo
	v_cmpx_gt_u32_e32 8, v77
; %bb.653:                              ;   in Loop: Header=BB229_360 Depth=1
	s_delay_alu instid0(VALU_DEP_3) | instskip(NEXT) | instid1(VALU_DEP_1)
	v_clz_i32_u32_e32 v17, v5
	v_min_u32_e32 v17, 32, v17
	s_delay_alu instid0(VALU_DEP_1) | instskip(SKIP_1) | instid1(VALU_DEP_2)
	v_subrev_nc_u32_e32 v18, 28, v17
	v_sub_nc_u32_e32 v17, 29, v17
	v_lshlrev_b64 v[77:78], v18, v[5:6]
	s_delay_alu instid0(VALU_DEP_1)
	v_and_b32_e32 v5, 7, v77
; %bb.654:                              ;   in Loop: Header=BB229_360 Depth=1
	s_or_b32 exec_lo, exec_lo, s22
	v_lshlrev_b32_e32 v18, 24, v76
	s_delay_alu instid0(VALU_DEP_2) | instskip(SKIP_1) | instid1(VALU_DEP_3)
	v_lshlrev_b32_e32 v5, 20, v5
	v_lshl_add_u32 v17, v17, 23, 0x3c000000
	v_and_b32_e32 v18, 0x80000000, v18
	s_delay_alu instid0(VALU_DEP_1) | instskip(NEXT) | instid1(VALU_DEP_1)
	v_or3_b32 v5, v5, v18, v17
	v_dual_mov_b32 v18, v6 :: v_dual_mov_b32 v17, v5
.LBB229_655:                            ;   in Loop: Header=BB229_360 Depth=1
	s_or_b32 exec_lo, exec_lo, s21
.LBB229_656:                            ;   in Loop: Header=BB229_360 Depth=1
	s_delay_alu instid0(SALU_CYCLE_1)
	s_or_b32 exec_lo, exec_lo, s20
.LBB229_657:                            ;   in Loop: Header=BB229_360 Depth=1
	s_delay_alu instid0(SALU_CYCLE_1) | instskip(NEXT) | instid1(SALU_CYCLE_1)
	s_or_b32 exec_lo, exec_lo, s2
	s_mov_b32 s20, exec_lo
	v_cmpx_lt_u32_e32 0xffffff, v75
	s_cbranch_execz .LBB229_665
; %bb.658:                              ;   in Loop: Header=BB229_360 Depth=1
	v_lshrrev_b32_e32 v76, 24, v75
	v_dual_mov_b32 v20, s9 :: v_dual_mov_b32 v19, s8
	s_mov_b32 s21, exec_lo
	s_delay_alu instid0(VALU_DEP_2)
	v_cmpx_ne_u32_e32 0x80, v76
	s_cbranch_execz .LBB229_664
; %bb.659:                              ;   in Loop: Header=BB229_360 Depth=1
	s_mov_b32 s2, s8
	v_bfe_u32 v75, v75, 24, 7
	v_dual_mov_b32 v20, s3 :: v_dual_mov_b32 v19, s2
	s_mov_b32 s2, exec_lo
	s_delay_alu instid0(VALU_DEP_2)
	v_cmpx_ne_u32_e32 0x7f, v75
	s_cbranch_execz .LBB229_663
; %bb.660:                              ;   in Loop: Header=BB229_360 Depth=1
	v_and_b32_e32 v5, 7, v76
	v_lshrrev_b32_e32 v19, 3, v75
	s_mov_b32 s22, exec_lo
	v_cmpx_gt_u32_e32 8, v75
; %bb.661:                              ;   in Loop: Header=BB229_360 Depth=1
	s_delay_alu instid0(VALU_DEP_3) | instskip(NEXT) | instid1(VALU_DEP_1)
	v_clz_i32_u32_e32 v19, v5
	v_min_u32_e32 v19, 32, v19
	s_delay_alu instid0(VALU_DEP_1) | instskip(SKIP_1) | instid1(VALU_DEP_2)
	v_subrev_nc_u32_e32 v20, 28, v19
	v_sub_nc_u32_e32 v19, 29, v19
	v_lshlrev_b64 v[77:78], v20, v[5:6]
	s_delay_alu instid0(VALU_DEP_1)
	v_and_b32_e32 v5, 7, v77
; %bb.662:                              ;   in Loop: Header=BB229_360 Depth=1
	s_or_b32 exec_lo, exec_lo, s22
	v_lshlrev_b32_e32 v20, 24, v76
	s_delay_alu instid0(VALU_DEP_2) | instskip(SKIP_1) | instid1(VALU_DEP_3)
	v_lshlrev_b32_e32 v5, 20, v5
	v_lshl_add_u32 v19, v19, 23, 0x3c000000
	v_and_b32_e32 v20, 0x80000000, v20
	s_delay_alu instid0(VALU_DEP_1)
	v_or3_b32 v20, v5, v20, v19
	v_mov_b32_e32 v19, v6
.LBB229_663:                            ;   in Loop: Header=BB229_360 Depth=1
	s_or_b32 exec_lo, exec_lo, s2
.LBB229_664:                            ;   in Loop: Header=BB229_360 Depth=1
	s_delay_alu instid0(SALU_CYCLE_1)
	s_or_b32 exec_lo, exec_lo, s21
.LBB229_665:                            ;   in Loop: Header=BB229_360 Depth=1
	s_delay_alu instid0(SALU_CYCLE_1) | instskip(SKIP_4) | instid1(VALU_DEP_4)
	s_or_b32 exec_lo, exec_lo, s20
	v_or_b32_e32 v5, v16, v14
	v_or_b32_e32 v13, v15, v13
	;; [unrolled: 1-line block ×4, first 2 shown]
	v_mul_f32_e32 v76, s18, v5
	s_delay_alu instid0(VALU_DEP_4) | instskip(NEXT) | instid1(VALU_DEP_3)
	v_mul_f32_e32 v75, s17, v13
	v_dual_mul_f32 v19, s18, v14 :: v_dual_mul_f32 v20, s17, v15
	s_and_saveexec_b32 s2, vcc_lo
; %bb.666:                              ;   in Loop: Header=BB229_360 Depth=1
	v_cmp_gt_i32_e64 s0, s33, v43
	s_delay_alu instid0(VALU_DEP_1) | instskip(SKIP_1) | instid1(VALU_DEP_1)
	v_cndmask_b32_e64 v75, 0, v75, s0
	v_cmp_gt_i32_e64 s0, s33, v46
	v_cndmask_b32_e64 v76, 0, v76, s0
	v_cmp_gt_i32_e64 s0, s33, v45
	s_delay_alu instid0(VALU_DEP_1) | instskip(SKIP_1) | instid1(VALU_DEP_1)
	v_cndmask_b32_e64 v20, 0, v20, s0
	v_cmp_gt_i32_e64 s0, s33, v44
	v_cndmask_b32_e64 v19, 0, v19, s0
; %bb.667:                              ;   in Loop: Header=BB229_360 Depth=1
	s_or_b32 exec_lo, exec_lo, s2
	global_load_b32 v77, v[11:12], off offset:1152
	v_mov_b32_e32 v13, 0
	v_mov_b32_e32 v14, 0
	s_mov_b32 s2, exec_lo
	s_waitcnt vmcnt(0)
	v_and_b32_e32 v5, 0xff, v77
	s_delay_alu instid0(VALU_DEP_2) | instskip(NEXT) | instid1(VALU_DEP_2)
	v_dual_mov_b32 v11, v13 :: v_dual_mov_b32 v12, v14
	v_cmpx_ne_u16_e32 0, v5
	s_cbranch_execz .LBB229_675
; %bb.668:                              ;   in Loop: Header=BB229_360 Depth=1
	v_bfrev_b32_e32 v11, 1
	v_mov_b32_e32 v12, 0
	s_mov_b32 s20, exec_lo
	v_cmpx_ne_u16_e32 0x80, v5
	s_cbranch_execz .LBB229_674
; %bb.669:                              ;   in Loop: Header=BB229_360 Depth=1
	v_mov_b32_e32 v11, 0x7f800001
	v_dual_mov_b32 v12, 0 :: v_dual_and_b32 v15, 0x7f, v77
	s_mov_b32 s21, exec_lo
	s_delay_alu instid0(VALU_DEP_1)
	v_cmpx_ne_u32_e32 0x7f, v15
	s_cbranch_execz .LBB229_673
; %bb.670:                              ;   in Loop: Header=BB229_360 Depth=1
	v_and_b32_e32 v5, 7, v77
	v_lshrrev_b32_e32 v11, 3, v15
	s_mov_b32 s22, exec_lo
	v_cmpx_gt_u32_e32 8, v15
; %bb.671:                              ;   in Loop: Header=BB229_360 Depth=1
	s_delay_alu instid0(VALU_DEP_3) | instskip(NEXT) | instid1(VALU_DEP_1)
	v_clz_i32_u32_e32 v11, v5
	v_min_u32_e32 v11, 32, v11
	s_delay_alu instid0(VALU_DEP_1) | instskip(SKIP_1) | instid1(VALU_DEP_2)
	v_subrev_nc_u32_e32 v12, 28, v11
	v_sub_nc_u32_e32 v11, 29, v11
	v_lshlrev_b64 v[15:16], v12, v[5:6]
	s_delay_alu instid0(VALU_DEP_1)
	v_and_b32_e32 v5, 7, v15
; %bb.672:                              ;   in Loop: Header=BB229_360 Depth=1
	s_or_b32 exec_lo, exec_lo, s22
	v_lshlrev_b32_e32 v12, 24, v77
	s_delay_alu instid0(VALU_DEP_2) | instskip(SKIP_1) | instid1(VALU_DEP_3)
	v_lshlrev_b32_e32 v5, 20, v5
	v_lshl_add_u32 v11, v11, 23, 0x3c000000
	v_and_b32_e32 v12, 0x80000000, v12
	s_delay_alu instid0(VALU_DEP_1) | instskip(NEXT) | instid1(VALU_DEP_1)
	v_or3_b32 v5, v5, v12, v11
	v_dual_mov_b32 v12, v6 :: v_dual_mov_b32 v11, v5
.LBB229_673:                            ;   in Loop: Header=BB229_360 Depth=1
	s_or_b32 exec_lo, exec_lo, s21
.LBB229_674:                            ;   in Loop: Header=BB229_360 Depth=1
	s_delay_alu instid0(SALU_CYCLE_1)
	s_or_b32 exec_lo, exec_lo, s20
.LBB229_675:                            ;   in Loop: Header=BB229_360 Depth=1
	s_delay_alu instid0(SALU_CYCLE_1) | instskip(SKIP_2) | instid1(VALU_DEP_1)
	s_or_b32 exec_lo, exec_lo, s2
	v_lshrrev_b16 v5, 8, v77
	s_mov_b32 s20, exec_lo
	v_cmpx_ne_u16_e32 0, v5
	s_cbranch_execz .LBB229_683
; %bb.676:                              ;   in Loop: Header=BB229_360 Depth=1
	v_dual_mov_b32 v14, s9 :: v_dual_mov_b32 v13, s8
	s_mov_b32 s21, exec_lo
	v_cmpx_ne_u16_e32 0x80, v5
	s_cbranch_execz .LBB229_682
; %bb.677:                              ;   in Loop: Header=BB229_360 Depth=1
	s_mov_b32 s2, s8
	v_dual_mov_b32 v14, s3 :: v_dual_and_b32 v5, 0xffff, v5
	v_mov_b32_e32 v13, s2
	s_mov_b32 s2, exec_lo
	s_delay_alu instid0(VALU_DEP_2) | instskip(NEXT) | instid1(VALU_DEP_1)
	v_and_b32_e32 v15, 0x7f, v5
	v_cmpx_ne_u32_e32 0x7f, v15
	s_cbranch_execz .LBB229_681
; %bb.678:                              ;   in Loop: Header=BB229_360 Depth=1
	v_and_b32_e32 v5, 7, v5
	v_lshrrev_b32_e32 v13, 3, v15
	s_mov_b32 s22, exec_lo
	v_cmpx_gt_u32_e32 8, v15
; %bb.679:                              ;   in Loop: Header=BB229_360 Depth=1
	s_delay_alu instid0(VALU_DEP_3) | instskip(NEXT) | instid1(VALU_DEP_1)
	v_clz_i32_u32_e32 v13, v5
	v_min_u32_e32 v13, 32, v13
	s_delay_alu instid0(VALU_DEP_1) | instskip(SKIP_1) | instid1(VALU_DEP_2)
	v_subrev_nc_u32_e32 v14, 28, v13
	v_sub_nc_u32_e32 v13, 29, v13
	v_lshlrev_b64 v[14:15], v14, v[5:6]
	s_delay_alu instid0(VALU_DEP_1)
	v_and_b32_e32 v5, 7, v14
; %bb.680:                              ;   in Loop: Header=BB229_360 Depth=1
	s_or_b32 exec_lo, exec_lo, s22
	v_lshlrev_b32_e32 v14, 16, v77
	s_delay_alu instid0(VALU_DEP_2) | instskip(SKIP_1) | instid1(VALU_DEP_3)
	v_lshlrev_b32_e32 v5, 20, v5
	v_lshl_add_u32 v13, v13, 23, 0x3c000000
	v_and_b32_e32 v14, 0x80000000, v14
	s_delay_alu instid0(VALU_DEP_1)
	v_or3_b32 v14, v5, v14, v13
	v_mov_b32_e32 v13, v6
.LBB229_681:                            ;   in Loop: Header=BB229_360 Depth=1
	s_or_b32 exec_lo, exec_lo, s2
.LBB229_682:                            ;   in Loop: Header=BB229_360 Depth=1
	s_delay_alu instid0(SALU_CYCLE_1)
	s_or_b32 exec_lo, exec_lo, s21
.LBB229_683:                            ;   in Loop: Header=BB229_360 Depth=1
	s_delay_alu instid0(SALU_CYCLE_1) | instskip(SKIP_4) | instid1(VALU_DEP_2)
	s_or_b32 exec_lo, exec_lo, s20
	v_mov_b32_e32 v17, 0
	v_lshrrev_b32_e32 v78, 16, v77
	v_mov_b32_e32 v18, 0
	s_mov_b32 s2, exec_lo
	v_and_b32_e32 v5, 0xff, v78
	s_delay_alu instid0(VALU_DEP_2) | instskip(NEXT) | instid1(VALU_DEP_2)
	v_dual_mov_b32 v15, v17 :: v_dual_mov_b32 v16, v18
	v_cmpx_ne_u16_e32 0, v5
	s_cbranch_execz .LBB229_691
; %bb.684:                              ;   in Loop: Header=BB229_360 Depth=1
	v_bfrev_b32_e32 v15, 1
	v_mov_b32_e32 v16, 0
	s_mov_b32 s20, exec_lo
	v_cmpx_ne_u16_e32 0x80, v5
	s_cbranch_execz .LBB229_690
; %bb.685:                              ;   in Loop: Header=BB229_360 Depth=1
	v_mov_b32_e32 v15, 0x7f800001
	v_bfe_u32 v79, v77, 16, 7
	v_mov_b32_e32 v16, 0
	s_mov_b32 s21, exec_lo
	s_delay_alu instid0(VALU_DEP_2)
	v_cmpx_ne_u32_e32 0x7f, v79
	s_cbranch_execz .LBB229_689
; %bb.686:                              ;   in Loop: Header=BB229_360 Depth=1
	v_and_b32_e32 v5, 7, v78
	v_lshrrev_b32_e32 v15, 3, v79
	s_mov_b32 s22, exec_lo
	v_cmpx_gt_u32_e32 8, v79
; %bb.687:                              ;   in Loop: Header=BB229_360 Depth=1
	s_delay_alu instid0(VALU_DEP_3) | instskip(NEXT) | instid1(VALU_DEP_1)
	v_clz_i32_u32_e32 v15, v5
	v_min_u32_e32 v15, 32, v15
	s_delay_alu instid0(VALU_DEP_1) | instskip(SKIP_1) | instid1(VALU_DEP_2)
	v_subrev_nc_u32_e32 v16, 28, v15
	v_sub_nc_u32_e32 v15, 29, v15
	v_lshlrev_b64 v[79:80], v16, v[5:6]
	s_delay_alu instid0(VALU_DEP_1)
	v_and_b32_e32 v5, 7, v79
; %bb.688:                              ;   in Loop: Header=BB229_360 Depth=1
	s_or_b32 exec_lo, exec_lo, s22
	v_lshlrev_b32_e32 v16, 24, v78
	s_delay_alu instid0(VALU_DEP_2) | instskip(SKIP_1) | instid1(VALU_DEP_3)
	v_lshlrev_b32_e32 v5, 20, v5
	v_lshl_add_u32 v15, v15, 23, 0x3c000000
	v_and_b32_e32 v16, 0x80000000, v16
	s_delay_alu instid0(VALU_DEP_1) | instskip(NEXT) | instid1(VALU_DEP_1)
	v_or3_b32 v5, v5, v16, v15
	v_dual_mov_b32 v16, v6 :: v_dual_mov_b32 v15, v5
.LBB229_689:                            ;   in Loop: Header=BB229_360 Depth=1
	s_or_b32 exec_lo, exec_lo, s21
.LBB229_690:                            ;   in Loop: Header=BB229_360 Depth=1
	s_delay_alu instid0(SALU_CYCLE_1)
	s_or_b32 exec_lo, exec_lo, s20
.LBB229_691:                            ;   in Loop: Header=BB229_360 Depth=1
	s_delay_alu instid0(SALU_CYCLE_1) | instskip(NEXT) | instid1(SALU_CYCLE_1)
	s_or_b32 exec_lo, exec_lo, s2
	s_mov_b32 s20, exec_lo
	v_cmpx_lt_u32_e32 0xffffff, v77
	s_cbranch_execz .LBB229_699
; %bb.692:                              ;   in Loop: Header=BB229_360 Depth=1
	v_lshrrev_b32_e32 v78, 24, v77
	v_dual_mov_b32 v18, s9 :: v_dual_mov_b32 v17, s8
	s_mov_b32 s21, exec_lo
	s_delay_alu instid0(VALU_DEP_2)
	v_cmpx_ne_u32_e32 0x80, v78
	s_cbranch_execz .LBB229_698
; %bb.693:                              ;   in Loop: Header=BB229_360 Depth=1
	s_mov_b32 s2, s8
	v_bfe_u32 v77, v77, 24, 7
	v_dual_mov_b32 v18, s3 :: v_dual_mov_b32 v17, s2
	s_mov_b32 s2, exec_lo
	s_delay_alu instid0(VALU_DEP_2)
	v_cmpx_ne_u32_e32 0x7f, v77
	s_cbranch_execz .LBB229_697
; %bb.694:                              ;   in Loop: Header=BB229_360 Depth=1
	v_and_b32_e32 v5, 7, v78
	v_lshrrev_b32_e32 v17, 3, v77
	s_mov_b32 s22, exec_lo
	v_cmpx_gt_u32_e32 8, v77
; %bb.695:                              ;   in Loop: Header=BB229_360 Depth=1
	s_delay_alu instid0(VALU_DEP_3) | instskip(NEXT) | instid1(VALU_DEP_1)
	v_clz_i32_u32_e32 v17, v5
	v_min_u32_e32 v17, 32, v17
	s_delay_alu instid0(VALU_DEP_1) | instskip(SKIP_1) | instid1(VALU_DEP_2)
	v_subrev_nc_u32_e32 v18, 28, v17
	v_sub_nc_u32_e32 v17, 29, v17
	v_lshlrev_b64 v[79:80], v18, v[5:6]
	s_delay_alu instid0(VALU_DEP_1)
	v_and_b32_e32 v5, 7, v79
; %bb.696:                              ;   in Loop: Header=BB229_360 Depth=1
	s_or_b32 exec_lo, exec_lo, s22
	v_lshlrev_b32_e32 v18, 24, v78
	s_delay_alu instid0(VALU_DEP_2) | instskip(SKIP_1) | instid1(VALU_DEP_3)
	v_lshlrev_b32_e32 v5, 20, v5
	v_lshl_add_u32 v17, v17, 23, 0x3c000000
	v_and_b32_e32 v18, 0x80000000, v18
	s_delay_alu instid0(VALU_DEP_1)
	v_or3_b32 v18, v5, v18, v17
	v_mov_b32_e32 v17, v6
.LBB229_697:                            ;   in Loop: Header=BB229_360 Depth=1
	s_or_b32 exec_lo, exec_lo, s2
.LBB229_698:                            ;   in Loop: Header=BB229_360 Depth=1
	s_delay_alu instid0(SALU_CYCLE_1)
	s_or_b32 exec_lo, exec_lo, s21
.LBB229_699:                            ;   in Loop: Header=BB229_360 Depth=1
	s_delay_alu instid0(SALU_CYCLE_1) | instskip(SKIP_4) | instid1(VALU_DEP_3)
	s_or_b32 exec_lo, exec_lo, s20
	v_or_b32_e32 v5, v14, v12
	v_or_b32_e32 v11, v13, v11
	;; [unrolled: 1-line block ×4, first 2 shown]
	v_dual_mul_f32 v13, s18, v5 :: v_dual_mul_f32 v12, s17, v11
	s_delay_alu instid0(VALU_DEP_3) | instskip(NEXT) | instid1(VALU_DEP_3)
	v_mul_f32_e32 v5, s18, v14
	v_mul_f32_e32 v11, s17, v15
	s_and_saveexec_b32 s0, vcc_lo
	s_cbranch_execz .LBB229_358
; %bb.700:                              ;   in Loop: Header=BB229_360 Depth=1
	v_cmp_gt_i32_e32 vcc_lo, s33, v43
	v_cndmask_b32_e32 v12, 0, v12, vcc_lo
	v_cmp_gt_i32_e32 vcc_lo, s33, v46
	v_cndmask_b32_e32 v13, 0, v13, vcc_lo
	;; [unrolled: 2-line block ×4, first 2 shown]
	s_branch .LBB229_358
.LBB229_701:
	s_or_b32 exec_lo, exec_lo, s13
.LBB229_702:
	s_delay_alu instid0(SALU_CYCLE_1)
	s_or_b32 exec_lo, exec_lo, s1
	ds_bpermute_b32 v1, v22, v34
	ds_bpermute_b32 v2, v22, v33
	;; [unrolled: 1-line block ×10, first 2 shown]
	v_lshrrev_b32_e32 v11, 2, v21
	s_movk_i32 s0, 0x140
	s_waitcnt lgkmcnt(0)
	s_waitcnt_vscnt null, 0x0
	v_mad_u32_u24 v12, v129, s0, 0x160
	s_mov_b32 s0, exec_lo
	s_barrier
	buffer_gl0_inv
	v_dual_add_f32 v1, v34, v1 :: v_dual_add_f32 v2, v33, v2
	v_dual_add_f32 v3, v32, v3 :: v_dual_add_f32 v4, v31, v4
	v_dual_add_f32 v5, v30, v5 :: v_dual_add_f32 v6, v29, v6
	v_dual_add_f32 v7, v28, v7 :: v_dual_add_f32 v8, v27, v8
	v_dual_add_f32 v9, v26, v9 :: v_dual_add_f32 v10, v25, v10
	ds_bpermute_b32 v13, v23, v1
	ds_bpermute_b32 v14, v23, v2
	;; [unrolled: 1-line block ×10, first 2 shown]
	v_and_b32_e32 v25, 0x3c3, v0
	s_waitcnt lgkmcnt(8)
	v_dual_add_f32 v1, v1, v13 :: v_dual_add_f32 v2, v2, v14
	s_waitcnt lgkmcnt(6)
	v_dual_add_f32 v3, v3, v15 :: v_dual_add_f32 v4, v4, v16
	;; [unrolled: 2-line block ×5, first 2 shown]
	v_lshlrev_b32_e32 v13, 2, v11
	v_cmpx_eq_u32_e32 64, v25
	s_cbranch_execz .LBB229_704
; %bb.703:
	s_delay_alu instid0(VALU_DEP_2)
	v_add3_u32 v14, v12, v13, 0xfffffd80
	ds_store_2addr_b32 v14, v1, v2 offset1:8
	ds_store_2addr_b32 v14, v3, v4 offset0:16 offset1:24
	ds_store_2addr_b32 v14, v5, v6 offset0:32 offset1:40
	;; [unrolled: 1-line block ×4, first 2 shown]
.LBB229_704:
	s_or_b32 exec_lo, exec_lo, s0
	v_cmp_eq_u32_e32 vcc_lo, 0, v24
	s_mov_b32 s1, exec_lo
	s_waitcnt lgkmcnt(0)
	s_barrier
	buffer_gl0_inv
	v_cmpx_gt_u32_e32 64, v0
	s_cbranch_execz .LBB229_717
; %bb.705:
	s_and_saveexec_b32 s0, vcc_lo
	s_cbranch_execnz .LBB229_735
; %bb.706:
	s_or_b32 exec_lo, exec_lo, s0
	s_and_saveexec_b32 s0, vcc_lo
	s_cbranch_execnz .LBB229_736
.LBB229_707:
	s_or_b32 exec_lo, exec_lo, s0
	s_and_saveexec_b32 s0, vcc_lo
	s_cbranch_execnz .LBB229_737
.LBB229_708:
	s_or_b32 exec_lo, exec_lo, s0
	s_and_saveexec_b32 s0, vcc_lo
	s_cbranch_execnz .LBB229_738
.LBB229_709:
	s_or_b32 exec_lo, exec_lo, s0
	s_and_saveexec_b32 s0, vcc_lo
	s_cbranch_execnz .LBB229_739
.LBB229_710:
	s_or_b32 exec_lo, exec_lo, s0
	s_and_saveexec_b32 s0, vcc_lo
	s_cbranch_execnz .LBB229_740
.LBB229_711:
	s_or_b32 exec_lo, exec_lo, s0
	s_and_saveexec_b32 s0, vcc_lo
	s_cbranch_execnz .LBB229_741
.LBB229_712:
	s_or_b32 exec_lo, exec_lo, s0
	s_and_saveexec_b32 s0, vcc_lo
	s_cbranch_execnz .LBB229_742
.LBB229_713:
	s_or_b32 exec_lo, exec_lo, s0
	s_and_saveexec_b32 s0, vcc_lo
	s_cbranch_execnz .LBB229_743
.LBB229_714:
	s_or_b32 exec_lo, exec_lo, s0
	s_and_saveexec_b32 s0, vcc_lo
	s_cbranch_execz .LBB229_716
.LBB229_715:
	v_lshl_add_u32 v14, v11, 2, v12
	ds_load_b32 v14, v14 offset:288
	s_waitcnt lgkmcnt(0)
	v_add_f32_e32 v10, v10, v14
.LBB229_716:
	s_or_b32 exec_lo, exec_lo, s0
.LBB229_717:
	s_delay_alu instid0(SALU_CYCLE_1)
	s_or_b32 exec_lo, exec_lo, s1
	v_and_b32_e32 v14, 0x3e3, v0
	s_mov_b32 s1, exec_lo
	s_barrier
	buffer_gl0_inv
	v_cmpx_eq_u32_e32 32, v14
	s_cbranch_execz .LBB229_719
; %bb.718:
	v_add3_u32 v13, v12, v13, 0xfffffec0
	ds_store_2addr_b32 v13, v1, v2 offset1:8
	ds_store_2addr_b32 v13, v3, v4 offset0:16 offset1:24
	ds_store_2addr_b32 v13, v5, v6 offset0:32 offset1:40
	;; [unrolled: 1-line block ×4, first 2 shown]
.LBB229_719:
	s_or_b32 exec_lo, exec_lo, s1
	s_delay_alu instid0(SALU_CYCLE_1)
	s_mov_b32 s1, exec_lo
	s_waitcnt lgkmcnt(0)
	s_barrier
	buffer_gl0_inv
	v_cmpx_gt_u32_e32 32, v0
	s_cbranch_execz .LBB229_732
; %bb.720:
	v_lshl_add_u32 v11, v11, 2, v12
	s_and_saveexec_b32 s0, vcc_lo
	s_cbranch_execnz .LBB229_744
; %bb.721:
	s_or_b32 exec_lo, exec_lo, s0
	s_and_saveexec_b32 s0, vcc_lo
	s_cbranch_execnz .LBB229_745
.LBB229_722:
	s_or_b32 exec_lo, exec_lo, s0
	s_and_saveexec_b32 s0, vcc_lo
	s_cbranch_execnz .LBB229_746
.LBB229_723:
	s_or_b32 exec_lo, exec_lo, s0
	s_and_saveexec_b32 s0, vcc_lo
	s_cbranch_execnz .LBB229_747
.LBB229_724:
	s_or_b32 exec_lo, exec_lo, s0
	s_and_saveexec_b32 s0, vcc_lo
	s_cbranch_execnz .LBB229_748
.LBB229_725:
	s_or_b32 exec_lo, exec_lo, s0
	s_and_saveexec_b32 s0, vcc_lo
	s_cbranch_execnz .LBB229_749
.LBB229_726:
	s_or_b32 exec_lo, exec_lo, s0
	s_and_saveexec_b32 s0, vcc_lo
	s_cbranch_execnz .LBB229_750
.LBB229_727:
	s_or_b32 exec_lo, exec_lo, s0
	s_and_saveexec_b32 s0, vcc_lo
	s_cbranch_execnz .LBB229_751
.LBB229_728:
	s_or_b32 exec_lo, exec_lo, s0
	s_and_saveexec_b32 s0, vcc_lo
	s_cbranch_execnz .LBB229_752
.LBB229_729:
	s_or_b32 exec_lo, exec_lo, s0
	s_and_saveexec_b32 s0, vcc_lo
	s_cbranch_execz .LBB229_731
.LBB229_730:
	ds_load_b32 v11, v11 offset:288
	s_waitcnt lgkmcnt(0)
	v_add_f32_e32 v10, v10, v11
.LBB229_731:
	s_or_b32 exec_lo, exec_lo, s0
.LBB229_732:
	s_delay_alu instid0(SALU_CYCLE_1)
	s_or_b32 exec_lo, exec_lo, s1
	s_barrier
	buffer_gl0_inv
	s_mov_b32 s0, exec_lo
	v_cmpx_eq_u32_e32 0, v14
	s_cbranch_execz .LBB229_734
; %bb.733:
	s_mul_i32 s0, s4, 0x50
	s_mul_i32 s2, s15, s24
	s_ashr_i32 s1, s0, 31
	s_delay_alu instid0(SALU_CYCLE_1) | instskip(NEXT) | instid1(SALU_CYCLE_1)
	s_lshl_b64 s[0:1], s[0:1], 2
	s_add_u32 s4, s26, s0
	s_addc_u32 s5, s27, s1
	s_ashr_i32 s3, s2, 31
	s_delay_alu instid0(SALU_CYCLE_1) | instskip(SKIP_4) | instid1(SALU_CYCLE_1)
	s_lshl_b64 s[0:1], s[2:3], 2
	s_mul_i32 s2, s12, 0x50
	s_add_u32 s4, s4, s0
	s_addc_u32 s5, s5, s1
	s_ashr_i32 s3, s2, 31
	s_lshl_b64 s[0:1], s[2:3], 2
	s_delay_alu instid0(SALU_CYCLE_1)
	s_add_u32 s0, s4, s0
	s_addc_u32 s1, s5, s1
	s_clause 0x9
	global_store_b32 v0, v1, s[0:1]
	global_store_b32 v0, v2, s[0:1] offset:32
	global_store_b32 v0, v3, s[0:1] offset:64
	;; [unrolled: 1-line block ×9, first 2 shown]
.LBB229_734:
	s_nop 0
	s_sendmsg sendmsg(MSG_DEALLOC_VGPRS)
	s_endpgm
.LBB229_735:
	v_lshl_add_u32 v14, v11, 2, v12
	ds_load_b32 v14, v14
	s_waitcnt lgkmcnt(0)
	v_add_f32_e32 v1, v1, v14
	s_or_b32 exec_lo, exec_lo, s0
	s_and_saveexec_b32 s0, vcc_lo
	s_cbranch_execz .LBB229_707
.LBB229_736:
	v_lshl_add_u32 v14, v11, 2, v12
	ds_load_b32 v14, v14 offset:32
	s_waitcnt lgkmcnt(0)
	v_add_f32_e32 v2, v2, v14
	s_or_b32 exec_lo, exec_lo, s0
	s_and_saveexec_b32 s0, vcc_lo
	s_cbranch_execz .LBB229_708
.LBB229_737:
	v_lshl_add_u32 v14, v11, 2, v12
	ds_load_b32 v14, v14 offset:64
	s_waitcnt lgkmcnt(0)
	v_add_f32_e32 v3, v3, v14
	s_or_b32 exec_lo, exec_lo, s0
	s_and_saveexec_b32 s0, vcc_lo
	s_cbranch_execz .LBB229_709
.LBB229_738:
	v_lshl_add_u32 v14, v11, 2, v12
	ds_load_b32 v14, v14 offset:96
	s_waitcnt lgkmcnt(0)
	v_add_f32_e32 v4, v4, v14
	s_or_b32 exec_lo, exec_lo, s0
	s_and_saveexec_b32 s0, vcc_lo
	s_cbranch_execz .LBB229_710
.LBB229_739:
	v_lshl_add_u32 v14, v11, 2, v12
	ds_load_b32 v14, v14 offset:128
	s_waitcnt lgkmcnt(0)
	v_add_f32_e32 v5, v5, v14
	s_or_b32 exec_lo, exec_lo, s0
	s_and_saveexec_b32 s0, vcc_lo
	s_cbranch_execz .LBB229_711
.LBB229_740:
	v_lshl_add_u32 v14, v11, 2, v12
	ds_load_b32 v14, v14 offset:160
	s_waitcnt lgkmcnt(0)
	v_add_f32_e32 v6, v6, v14
	s_or_b32 exec_lo, exec_lo, s0
	s_and_saveexec_b32 s0, vcc_lo
	s_cbranch_execz .LBB229_712
.LBB229_741:
	v_lshl_add_u32 v14, v11, 2, v12
	ds_load_b32 v14, v14 offset:192
	s_waitcnt lgkmcnt(0)
	v_add_f32_e32 v7, v7, v14
	s_or_b32 exec_lo, exec_lo, s0
	s_and_saveexec_b32 s0, vcc_lo
	s_cbranch_execz .LBB229_713
.LBB229_742:
	v_lshl_add_u32 v14, v11, 2, v12
	ds_load_b32 v14, v14 offset:224
	s_waitcnt lgkmcnt(0)
	v_add_f32_e32 v8, v8, v14
	s_or_b32 exec_lo, exec_lo, s0
	s_and_saveexec_b32 s0, vcc_lo
	s_cbranch_execz .LBB229_714
.LBB229_743:
	v_lshl_add_u32 v14, v11, 2, v12
	ds_load_b32 v14, v14 offset:256
	s_waitcnt lgkmcnt(0)
	v_add_f32_e32 v9, v9, v14
	s_or_b32 exec_lo, exec_lo, s0
	s_and_saveexec_b32 s0, vcc_lo
	s_cbranch_execnz .LBB229_715
	s_branch .LBB229_716
.LBB229_744:
	ds_load_b32 v12, v11
	s_waitcnt lgkmcnt(0)
	v_add_f32_e32 v1, v1, v12
	s_or_b32 exec_lo, exec_lo, s0
	s_and_saveexec_b32 s0, vcc_lo
	s_cbranch_execz .LBB229_722
.LBB229_745:
	ds_load_b32 v12, v11 offset:32
	s_waitcnt lgkmcnt(0)
	v_add_f32_e32 v2, v2, v12
	s_or_b32 exec_lo, exec_lo, s0
	s_and_saveexec_b32 s0, vcc_lo
	s_cbranch_execz .LBB229_723
.LBB229_746:
	ds_load_b32 v12, v11 offset:64
	s_waitcnt lgkmcnt(0)
	v_add_f32_e32 v3, v3, v12
	s_or_b32 exec_lo, exec_lo, s0
	s_and_saveexec_b32 s0, vcc_lo
	s_cbranch_execz .LBB229_724
.LBB229_747:
	ds_load_b32 v12, v11 offset:96
	s_waitcnt lgkmcnt(0)
	v_add_f32_e32 v4, v4, v12
	s_or_b32 exec_lo, exec_lo, s0
	s_and_saveexec_b32 s0, vcc_lo
	s_cbranch_execz .LBB229_725
.LBB229_748:
	ds_load_b32 v12, v11 offset:128
	s_waitcnt lgkmcnt(0)
	v_add_f32_e32 v5, v5, v12
	s_or_b32 exec_lo, exec_lo, s0
	s_and_saveexec_b32 s0, vcc_lo
	s_cbranch_execz .LBB229_726
.LBB229_749:
	ds_load_b32 v12, v11 offset:160
	s_waitcnt lgkmcnt(0)
	v_add_f32_e32 v6, v6, v12
	s_or_b32 exec_lo, exec_lo, s0
	s_and_saveexec_b32 s0, vcc_lo
	s_cbranch_execz .LBB229_727
.LBB229_750:
	ds_load_b32 v12, v11 offset:192
	s_waitcnt lgkmcnt(0)
	v_add_f32_e32 v7, v7, v12
	s_or_b32 exec_lo, exec_lo, s0
	s_and_saveexec_b32 s0, vcc_lo
	s_cbranch_execz .LBB229_728
.LBB229_751:
	ds_load_b32 v12, v11 offset:224
	s_waitcnt lgkmcnt(0)
	v_add_f32_e32 v8, v8, v12
	s_or_b32 exec_lo, exec_lo, s0
	s_and_saveexec_b32 s0, vcc_lo
	s_cbranch_execz .LBB229_729
.LBB229_752:
	ds_load_b32 v12, v11 offset:256
	s_waitcnt lgkmcnt(0)
	v_add_f32_e32 v9, v9, v12
	s_or_b32 exec_lo, exec_lo, s0
	s_and_saveexec_b32 s0, vcc_lo
	s_cbranch_execnz .LBB229_730
	s_branch .LBB229_731
	.section	.rodata,"a",@progbits
	.p2align	6, 0x0
	.amdhsa_kernel _ZN4vllm25paged_attention_v2_kernelIfhLi80ELi16ELi128ELNS_18Fp8KVCacheDataTypeE1ELb1ELi512EEEvPfS2_PT_PKS3_PKT0_S9_ifPKiSB_iPKfiiiSD_SD_iiiii
		.amdhsa_group_segment_fixed_size 352
		.amdhsa_private_segment_fixed_size 0
		.amdhsa_kernarg_size 400
		.amdhsa_user_sgpr_count 13
		.amdhsa_user_sgpr_dispatch_ptr 0
		.amdhsa_user_sgpr_queue_ptr 0
		.amdhsa_user_sgpr_kernarg_segment_ptr 1
		.amdhsa_user_sgpr_dispatch_id 0
		.amdhsa_user_sgpr_private_segment_size 0
		.amdhsa_wavefront_size32 1
		.amdhsa_uses_dynamic_stack 0
		.amdhsa_enable_private_segment 0
		.amdhsa_system_sgpr_workgroup_id_x 1
		.amdhsa_system_sgpr_workgroup_id_y 1
		.amdhsa_system_sgpr_workgroup_id_z 1
		.amdhsa_system_sgpr_workgroup_info 0
		.amdhsa_system_vgpr_workitem_id 0
		.amdhsa_next_free_vgpr 146
		.amdhsa_next_free_sgpr 56
		.amdhsa_reserve_vcc 1
		.amdhsa_float_round_mode_32 0
		.amdhsa_float_round_mode_16_64 0
		.amdhsa_float_denorm_mode_32 3
		.amdhsa_float_denorm_mode_16_64 3
		.amdhsa_dx10_clamp 1
		.amdhsa_ieee_mode 1
		.amdhsa_fp16_overflow 0
		.amdhsa_workgroup_processor_mode 1
		.amdhsa_memory_ordered 1
		.amdhsa_forward_progress 0
		.amdhsa_shared_vgpr_count 0
		.amdhsa_exception_fp_ieee_invalid_op 0
		.amdhsa_exception_fp_denorm_src 0
		.amdhsa_exception_fp_ieee_div_zero 0
		.amdhsa_exception_fp_ieee_overflow 0
		.amdhsa_exception_fp_ieee_underflow 0
		.amdhsa_exception_fp_ieee_inexact 0
		.amdhsa_exception_int_div_zero 0
	.end_amdhsa_kernel
	.section	.text._ZN4vllm25paged_attention_v2_kernelIfhLi80ELi16ELi128ELNS_18Fp8KVCacheDataTypeE1ELb1ELi512EEEvPfS2_PT_PKS3_PKT0_S9_ifPKiSB_iPKfiiiSD_SD_iiiii,"axG",@progbits,_ZN4vllm25paged_attention_v2_kernelIfhLi80ELi16ELi128ELNS_18Fp8KVCacheDataTypeE1ELb1ELi512EEEvPfS2_PT_PKS3_PKT0_S9_ifPKiSB_iPKfiiiSD_SD_iiiii,comdat
.Lfunc_end229:
	.size	_ZN4vllm25paged_attention_v2_kernelIfhLi80ELi16ELi128ELNS_18Fp8KVCacheDataTypeE1ELb1ELi512EEEvPfS2_PT_PKS3_PKT0_S9_ifPKiSB_iPKfiiiSD_SD_iiiii, .Lfunc_end229-_ZN4vllm25paged_attention_v2_kernelIfhLi80ELi16ELi128ELNS_18Fp8KVCacheDataTypeE1ELb1ELi512EEEvPfS2_PT_PKS3_PKT0_S9_ifPKiSB_iPKfiiiSD_SD_iiiii
                                        ; -- End function
	.section	.AMDGPU.csdata,"",@progbits
; Kernel info:
; codeLenInByte = 26376
; NumSgprs: 58
; NumVgprs: 146
; ScratchSize: 0
; MemoryBound: 0
; FloatMode: 240
; IeeeMode: 1
; LDSByteSize: 352 bytes/workgroup (compile time only)
; SGPRBlocks: 7
; VGPRBlocks: 18
; NumSGPRsForWavesPerEU: 58
; NumVGPRsForWavesPerEU: 146
; Occupancy: 9
; WaveLimiterHint : 1
; COMPUTE_PGM_RSRC2:SCRATCH_EN: 0
; COMPUTE_PGM_RSRC2:USER_SGPR: 13
; COMPUTE_PGM_RSRC2:TRAP_HANDLER: 0
; COMPUTE_PGM_RSRC2:TGID_X_EN: 1
; COMPUTE_PGM_RSRC2:TGID_Y_EN: 1
; COMPUTE_PGM_RSRC2:TGID_Z_EN: 1
; COMPUTE_PGM_RSRC2:TIDIG_COMP_CNT: 0
	.section	.text._ZN4vllm25paged_attention_v2_kernelIfhLi96ELi16ELi128ELNS_18Fp8KVCacheDataTypeE1ELb1ELi512EEEvPfS2_PT_PKS3_PKT0_S9_ifPKiSB_iPKfiiiSD_SD_iiiii,"axG",@progbits,_ZN4vllm25paged_attention_v2_kernelIfhLi96ELi16ELi128ELNS_18Fp8KVCacheDataTypeE1ELb1ELi512EEEvPfS2_PT_PKS3_PKT0_S9_ifPKiSB_iPKfiiiSD_SD_iiiii,comdat
	.protected	_ZN4vllm25paged_attention_v2_kernelIfhLi96ELi16ELi128ELNS_18Fp8KVCacheDataTypeE1ELb1ELi512EEEvPfS2_PT_PKS3_PKT0_S9_ifPKiSB_iPKfiiiSD_SD_iiiii ; -- Begin function _ZN4vllm25paged_attention_v2_kernelIfhLi96ELi16ELi128ELNS_18Fp8KVCacheDataTypeE1ELb1ELi512EEEvPfS2_PT_PKS3_PKT0_S9_ifPKiSB_iPKfiiiSD_SD_iiiii
	.globl	_ZN4vllm25paged_attention_v2_kernelIfhLi96ELi16ELi128ELNS_18Fp8KVCacheDataTypeE1ELb1ELi512EEEvPfS2_PT_PKS3_PKT0_S9_ifPKiSB_iPKfiiiSD_SD_iiiii
	.p2align	8
	.type	_ZN4vllm25paged_attention_v2_kernelIfhLi96ELi16ELi128ELNS_18Fp8KVCacheDataTypeE1ELb1ELi512EEEvPfS2_PT_PKS3_PKT0_S9_ifPKiSB_iPKfiiiSD_SD_iiiii,@function
_ZN4vllm25paged_attention_v2_kernelIfhLi96ELi16ELi128ELNS_18Fp8KVCacheDataTypeE1ELb1ELi512EEEvPfS2_PT_PKS3_PKT0_S9_ifPKiSB_iPKfiiiSD_SD_iiiii: ; @_ZN4vllm25paged_attention_v2_kernelIfhLi96ELi16ELi128ELNS_18Fp8KVCacheDataTypeE1ELb1ELi512EEEvPfS2_PT_PKS3_PKT0_S9_ifPKiSB_iPKfiiiSD_SD_iiiii
; %bb.0:
	s_load_b64 s[2:3], s[0:1], 0x40
	s_mov_b32 s12, s15
	s_ashr_i32 s15, s14, 31
	s_delay_alu instid0(SALU_CYCLE_1)
	s_lshl_b64 s[4:5], s[14:15], 2
	s_waitcnt lgkmcnt(0)
	s_add_u32 s2, s2, s4
	s_addc_u32 s3, s3, s5
	s_lshl_b32 s43, s12, 9
	s_load_b32 s33, s[2:3], 0x0
	s_waitcnt lgkmcnt(0)
	s_cmp_ge_i32 s43, s33
	s_cbranch_scc1 .LBB230_870
; %bb.1:
	s_mov_b32 s28, s13
	s_clause 0x1
	s_load_b32 s13, s[0:1], 0x90
	s_load_b64 s[38:39], s[0:1], 0x30
	s_mov_b32 s46, 0
	s_waitcnt lgkmcnt(0)
	s_abs_i32 s5, s13
	s_abs_i32 s2, s38
	s_delay_alu instid0(SALU_CYCLE_1) | instskip(SKIP_1) | instid1(VALU_DEP_1)
	v_cvt_f32_u32_e32 v1, s2
	s_sub_i32 s4, 0, s2
	v_rcp_iflag_f32_e32 v1, v1
	s_waitcnt_depctr 0xfff
	v_mul_f32_e32 v1, 0x4f7ffffe, v1
	s_delay_alu instid0(VALU_DEP_1) | instskip(NEXT) | instid1(VALU_DEP_1)
	v_cvt_u32_f32_e32 v1, v1
	v_readfirstlane_b32 s3, v1
	s_delay_alu instid0(VALU_DEP_1) | instskip(NEXT) | instid1(SALU_CYCLE_1)
	s_mul_i32 s4, s4, s3
	s_mul_hi_u32 s4, s3, s4
	s_delay_alu instid0(SALU_CYCLE_1) | instskip(SKIP_4) | instid1(SALU_CYCLE_1)
	s_add_i32 s3, s3, s4
	s_xor_b32 s4, s13, s38
	s_mul_hi_u32 s3, s5, s3
	s_ashr_i32 s4, s4, 31
	s_mul_i32 s6, s3, s2
	s_sub_i32 s5, s5, s6
	s_add_i32 s6, s3, 1
	s_sub_i32 s7, s5, s2
	s_cmp_ge_u32 s5, s2
	s_cselect_b32 s3, s6, s3
	s_cselect_b32 s5, s7, s5
	s_add_i32 s6, s3, 1
	s_cmp_ge_u32 s5, s2
	s_cselect_b32 s2, s6, s3
	s_delay_alu instid0(SALU_CYCLE_1) | instskip(NEXT) | instid1(SALU_CYCLE_1)
	s_xor_b32 s2, s2, s4
	s_sub_i32 s7, s2, s4
	s_load_b64 s[2:3], s[0:1], 0x50
	s_abs_i32 s4, s7
	s_delay_alu instid0(SALU_CYCLE_1) | instskip(SKIP_1) | instid1(VALU_DEP_1)
	v_cvt_f32_u32_e32 v1, s4
	s_sub_i32 s5, 0, s4
	v_rcp_iflag_f32_e32 v1, v1
	s_waitcnt_depctr 0xfff
	v_mul_f32_e32 v1, 0x4f7ffffe, v1
	s_delay_alu instid0(VALU_DEP_1) | instskip(NEXT) | instid1(VALU_DEP_1)
	v_cvt_u32_f32_e32 v1, v1
	v_readfirstlane_b32 s6, v1
	s_delay_alu instid0(VALU_DEP_1) | instskip(NEXT) | instid1(SALU_CYCLE_1)
	s_mul_i32 s5, s5, s6
	s_mul_hi_u32 s8, s6, s5
	s_abs_i32 s5, s28
	s_add_i32 s6, s6, s8
	s_waitcnt lgkmcnt(0)
	s_cmp_eq_u64 s[2:3], 0
	s_mul_hi_u32 s6, s5, s6
	s_cbranch_scc1 .LBB230_3
; %bb.2:
	s_ashr_i32 s29, s28, 31
	s_delay_alu instid0(SALU_CYCLE_1) | instskip(NEXT) | instid1(SALU_CYCLE_1)
	s_lshl_b64 s[8:9], s[28:29], 2
	s_add_u32 s2, s2, s8
	s_addc_u32 s3, s3, s9
	s_load_b32 s46, s[2:3], 0x0
.LBB230_3:
	s_load_b128 s[8:11], s[0:1], 0x58
	v_and_b32_e32 v1, 1, v0
	v_lshlrev_b32_e32 v155, 2, v0
	s_ashr_i32 s2, s28, 31
	s_ashr_i32 s3, s7, 31
	s_mul_i32 s24, s28, 0x60
	s_mov_b32 s7, exec_lo
	v_cmpx_gt_u32_e32 48, v0
	s_cbranch_execz .LBB230_5
; %bb.4:
	s_load_b64 s[16:17], s[0:1], 0x18
	s_waitcnt lgkmcnt(0)
	s_mul_i32 s18, s14, s8
	v_lshlrev_b32_e32 v2, 3, v0
	s_ashr_i32 s19, s18, 31
	v_and_b32_e32 v4, 0xff8, v155
	s_lshl_b64 s[18:19], s[18:19], 2
	s_delay_alu instid0(VALU_DEP_1) | instskip(SKIP_3) | instid1(SALU_CYCLE_1)
	v_mad_u32_u24 v4, 0xc0, v1, v4
	s_add_u32 s8, s16, s18
	s_addc_u32 s11, s17, s19
	s_ashr_i32 s25, s24, 31
	s_lshl_b64 s[16:17], s[24:25], 2
	s_delay_alu instid0(SALU_CYCLE_1)
	s_add_u32 s16, s8, s16
	s_addc_u32 s17, s11, s17
	global_load_b64 v[2:3], v2, s[16:17]
	s_waitcnt vmcnt(0)
	ds_store_b64 v4, v[2:3]
.LBB230_5:
	s_or_b32 exec_lo, exec_lo, s7
	s_load_b128 s[16:19], s[0:1], 0x78
	s_mul_i32 s7, s6, s4
	s_xor_b32 s2, s2, s3
	s_sub_i32 s3, s5, s7
	s_add_i32 s5, s6, 1
	s_sub_i32 s7, s3, s4
	s_cmp_ge_u32 s3, s4
	s_waitcnt lgkmcnt(0)
	s_cselect_b32 s5, s5, s6
	s_cselect_b32 s3, s7, s3
	s_add_i32 s6, s5, 1
	s_cmp_ge_u32 s3, s4
	s_load_b32 s4, s[0:1], 0x88
	s_cselect_b32 s3, s6, s5
	s_add_i32 s5, s33, -1
	s_xor_b32 s3, s3, s2
	s_mov_b32 s6, -1
	s_sub_i32 s44, s3, s2
	s_abs_i32 s3, s5
	s_waitcnt lgkmcnt(0)
	s_barrier
	s_abs_i32 s25, s19
	buffer_gl0_inv
	v_cvt_f32_u32_e32 v2, s25
	s_sub_i32 s2, 0, s25
                                        ; implicit-def: $sgpr42
	s_delay_alu instid0(VALU_DEP_1) | instskip(SKIP_2) | instid1(VALU_DEP_1)
	v_rcp_iflag_f32_e32 v2, v2
	s_waitcnt_depctr 0xfff
	v_mul_f32_e32 v2, 0x4f7ffffe, v2
	v_cvt_u32_f32_e32 v2, v2
	s_delay_alu instid0(VALU_DEP_1) | instskip(NEXT) | instid1(VALU_DEP_1)
	v_readfirstlane_b32 s29, v2
	s_mul_i32 s2, s2, s29
	s_delay_alu instid0(SALU_CYCLE_1) | instskip(NEXT) | instid1(SALU_CYCLE_1)
	s_mul_hi_u32 s2, s29, s2
	s_add_i32 s29, s29, s2
	s_cmp_lt_i32 s4, 0
	s_mul_hi_u32 s2, s3, s29
	s_cbranch_scc0 .LBB230_7
; %bb.6:
	s_mul_i32 s6, s16, s38
	s_delay_alu instid0(SALU_CYCLE_1) | instskip(NEXT) | instid1(SALU_CYCLE_1)
	s_add_i32 s6, s44, s6
	s_mul_i32 s6, s6, s4
	s_delay_alu instid0(SALU_CYCLE_1)
	s_sub_i32 s42, 1, s6
	s_mov_b32 s6, 0
.LBB230_7:
	s_load_b64 s[30:31], s[0:1], 0x38
	s_ashr_i32 s8, s5, 31
	s_and_not1_b32 vcc_lo, exec_lo, s6
	s_ashr_i32 s19, s19, 31
	s_cbranch_vccnz .LBB230_9
; %bb.8:
	s_mul_i32 s5, s13, s16
	s_delay_alu instid0(SALU_CYCLE_1) | instskip(NEXT) | instid1(SALU_CYCLE_1)
	s_add_i32 s5, s5, s28
	s_mul_i32 s4, s5, s4
	s_delay_alu instid0(SALU_CYCLE_1)
	s_add_i32 s42, s4, 1
.LBB230_9:
	s_clause 0x5
	s_load_b32 s11, s[0:1], 0x48
	s_load_b64 s[36:37], s[0:1], 0x28
	s_load_b128 s[20:23], s[0:1], 0x0
	s_load_b64 s[26:27], s[0:1], 0x10
	s_load_b32 s15, s[0:1], 0x98
	s_load_b128 s[4:7], s[0:1], 0x68
	s_xor_b32 s40, s8, s19
	s_mul_i32 s8, s2, s25
	s_add_i32 s16, s2, 1
	s_sub_i32 s3, s3, s8
	v_lshrrev_b32_e32 v153, 5, v0
	s_sub_i32 s8, s3, s25
	v_mov_b32_e32 v157, 0xff7fffff
	v_mbcnt_lo_u32_b32 v156, -1, 0
	s_mul_i32 s44, s44, s10
	v_lshl_add_u32 v154, v153, 4, s43
	s_waitcnt lgkmcnt(0)
	s_mul_i32 s34, s14, s11
	s_delay_alu instid0(SALU_CYCLE_1)
	s_ashr_i32 s35, s34, 31
	s_cmp_ge_u32 s3, s25
	s_cselect_b32 s2, s16, s2
	s_cselect_b32 s3, s8, s3
	s_add_i32 s8, s2, 1
	s_cmp_ge_u32 s3, s25
	s_cselect_b32 s2, s8, s2
	s_add_i32 s3, s33, 15
	s_lshl_b32 s8, s12, 5
	s_ashr_i32 s11, s3, 31
	v_or_b32_e32 v49, s8, v153
	s_lshr_b32 s11, s11, 28
	s_delay_alu instid0(SALU_CYCLE_1)
	s_add_i32 s3, s3, s11
	s_add_i32 s11, s8, 32
	s_ashr_i32 s38, s3, 4
	s_xor_b32 s3, s2, s40
	s_min_i32 s16, s11, s38
	v_ashrrev_i32_e32 v50, 31, v49
	v_cmp_gt_i32_e64 s2, s16, v49
	s_sub_i32 s45, s3, s40
	s_delay_alu instid0(VALU_DEP_1)
	s_and_saveexec_b32 s47, s2
	s_cbranch_execz .LBB230_403
; %bb.10:
	s_load_b64 s[0:1], s[0:1], 0x20
	s_sub_i32 s48, s45, s17
	s_ashr_i32 s3, s44, 31
	v_bfe_u32 v158, v0, 1, 4
	v_cmp_eq_u32_e32 vcc_lo, 0, v1
	v_mov_b32_e32 v157, 0xff7fffff
	v_dual_mov_b32 v162, 0xff7fffff :: v_dual_lshlrev_b32 v159, 1, v1
	s_delay_alu instid0(VALU_DEP_4) | instskip(SKIP_3) | instid1(VALU_DEP_4)
	v_lshlrev_b32_e32 v4, 2, v158
	v_dual_mov_b32 v166, v49 :: v_dual_lshlrev_b32 v7, 4, v158
	v_mul_u32_u24_e32 v160, 0xc0, v1
	v_subrev_nc_u32_e32 v5, s33, v158
	v_lshl_or_b32 v4, v153, 6, v4
	v_lshl_add_u32 v161, v153, 4, s43
	s_mov_b32 s10, 0
	s_brev_b32 s11, 1
	v_add_nc_u32_e32 v163, 1, v5
	v_add_nc_u32_e32 v164, 0x1a0, v4
	s_mov_b32 s51, s10
	s_waitcnt lgkmcnt(0)
	s_add_u32 s50, s0, s44
	s_addc_u32 s1, s1, s3
	s_abs_i32 s49, s18
	s_lshl_b64 s[40:41], s[34:35], 2
	v_cvt_f32_u32_e32 v2, s49
	s_sub_i32 s3, 0, s49
	v_cmp_neq_f32_e64 s0, s46, 0
	s_delay_alu instid0(VALU_DEP_2) | instskip(SKIP_3) | instid1(VALU_DEP_2)
	v_rcp_iflag_f32_e32 v2, v2
	s_waitcnt_depctr 0xfff
	v_dual_mov_b32 v52, 0 :: v_dual_mul_f32 v3, 0x4f7ffffe, v2
	v_lshlrev_b64 v[1:2], 2, v[49:50]
	v_cvt_u32_f32_e32 v3, v3
	s_delay_alu instid0(VALU_DEP_1) | instskip(SKIP_1) | instid1(VALU_DEP_1)
	v_mul_lo_u32 v6, s3, v3
	v_add_co_u32 v53, s3, s50, v7
	v_add_co_ci_u32_e64 v54, null, s1, 0, s3
	s_add_u32 s1, s30, s40
	s_addc_u32 s3, s31, s41
	v_add_co_u32 v55, s1, s1, v1
	s_delay_alu instid0(VALU_DEP_4) | instskip(SKIP_3) | instid1(VALU_DEP_2)
	v_mul_hi_u32 v4, v3, v6
	v_add_co_ci_u32_e64 v56, s1, s3, v2, s1
	s_mov_b32 s50, s9
	s_mov_b32 s41, 0x7f800001
	v_add_nc_u32_e32 v165, v3, v4
	s_branch .LBB230_13
.LBB230_11:                             ;   in Loop: Header=BB230_13 Depth=1
	s_or_b32 exec_lo, exec_lo, s40
.LBB230_12:                             ;   in Loop: Header=BB230_13 Depth=1
	s_delay_alu instid0(SALU_CYCLE_1) | instskip(SKIP_2) | instid1(VALU_DEP_1)
	s_or_b32 exec_lo, exec_lo, s3
	v_add_nc_u32_e32 v166, 4, v166
	v_add_co_u32 v55, s3, v55, 16
	v_add_co_ci_u32_e64 v56, s3, 0, v56, s3
	s_delay_alu instid0(VALU_DEP_3) | instskip(SKIP_2) | instid1(VALU_DEP_3)
	v_cmp_le_i32_e64 s1, s16, v166
	v_add_nc_u32_e32 v161, 64, v161
	v_add_nc_u32_e32 v164, 0x100, v164
	s_or_b32 s51, s1, s51
	s_delay_alu instid0(SALU_CYCLE_1)
	s_and_not1_b32 exec_lo, exec_lo, s51
	s_cbranch_execz .LBB230_402
.LBB230_13:                             ; =>This Inner Loop Header: Depth=1
	v_sub_nc_u32_e32 v1, 0, v161
	s_delay_alu instid0(VALU_DEP_1) | instskip(SKIP_1) | instid1(VALU_DEP_1)
	v_max_i32_e32 v1, v161, v1
	s_waitcnt lgkmcnt(0)
	v_mul_hi_u32 v2, v1, s29
	s_delay_alu instid0(VALU_DEP_1) | instskip(NEXT) | instid1(VALU_DEP_1)
	v_mul_lo_u32 v3, v2, s25
	v_sub_nc_u32_e32 v1, v1, v3
	v_add_nc_u32_e32 v3, 1, v2
	s_delay_alu instid0(VALU_DEP_2) | instskip(SKIP_1) | instid1(VALU_DEP_1)
	v_subrev_nc_u32_e32 v4, s25, v1
	v_cmp_le_u32_e64 s1, s25, v1
	v_cndmask_b32_e64 v2, v2, v3, s1
	s_delay_alu instid0(VALU_DEP_3) | instskip(SKIP_1) | instid1(VALU_DEP_3)
	v_cndmask_b32_e64 v1, v1, v4, s1
	v_ashrrev_i32_e32 v3, 31, v161
	v_add_nc_u32_e32 v4, 1, v2
	s_delay_alu instid0(VALU_DEP_3) | instskip(NEXT) | instid1(VALU_DEP_3)
	v_cmp_le_u32_e64 s1, s25, v1
	v_xor_b32_e32 v3, s19, v3
	s_delay_alu instid0(VALU_DEP_2) | instskip(NEXT) | instid1(VALU_DEP_1)
	v_cndmask_b32_e64 v1, v2, v4, s1
	v_xor_b32_e32 v1, v1, v3
	s_delay_alu instid0(VALU_DEP_1) | instskip(NEXT) | instid1(VALU_DEP_1)
	v_sub_nc_u32_e32 v1, v1, v3
	v_add_nc_u32_e32 v2, s42, v1
	v_cmp_ge_i32_e64 s3, s48, v1
	s_delay_alu instid0(VALU_DEP_2) | instskip(NEXT) | instid1(VALU_DEP_1)
	v_sub_nc_u32_e32 v3, 0, v2
	v_max_i32_e32 v3, v2, v3
	v_ashrrev_i32_e32 v2, 31, v2
	s_delay_alu instid0(VALU_DEP_2) | instskip(NEXT) | instid1(VALU_DEP_1)
	v_mul_hi_u32 v4, v3, v165
	v_mul_lo_u32 v4, v4, s49
	s_delay_alu instid0(VALU_DEP_1) | instskip(NEXT) | instid1(VALU_DEP_1)
	v_sub_nc_u32_e32 v3, v3, v4
	v_subrev_nc_u32_e32 v4, s49, v3
	v_cmp_le_u32_e64 s1, s49, v3
	s_delay_alu instid0(VALU_DEP_1) | instskip(NEXT) | instid1(VALU_DEP_1)
	v_cndmask_b32_e64 v3, v3, v4, s1
	v_subrev_nc_u32_e32 v4, s49, v3
	v_cmp_le_u32_e64 s1, s49, v3
	s_delay_alu instid0(VALU_DEP_1) | instskip(NEXT) | instid1(VALU_DEP_1)
	v_cndmask_b32_e64 v3, v3, v4, s1
	v_xor_b32_e32 v3, v3, v2
	s_delay_alu instid0(VALU_DEP_1) | instskip(NEXT) | instid1(VALU_DEP_1)
	v_sub_nc_u32_e32 v2, v3, v2
	v_cmp_ne_u32_e64 s1, 0, v2
	s_delay_alu instid0(VALU_DEP_1) | instskip(NEXT) | instid1(SALU_CYCLE_1)
	s_and_b32 s1, s1, s3
	s_and_b32 s40, vcc_lo, s1
	s_delay_alu instid0(SALU_CYCLE_1)
	s_and_saveexec_b32 s3, s40
	s_cbranch_execz .LBB230_15
; %bb.14:                               ;   in Loop: Header=BB230_13 Depth=1
	ds_store_b32 v164, v162
.LBB230_15:                             ;   in Loop: Header=BB230_13 Depth=1
	s_or_b32 exec_lo, exec_lo, s3
	s_xor_b32 s1, s1, -1
	s_delay_alu instid0(SALU_CYCLE_1)
	s_and_saveexec_b32 s3, s1
	s_cbranch_execz .LBB230_12
; %bb.16:                               ;   in Loop: Header=BB230_13 Depth=1
	global_load_b32 v3, v[55:56], off
	v_mov_b32_e32 v57, 0
	s_waitcnt vmcnt(0)
	v_mad_i64_i32 v[1:2], null, v3, s50, v[53:54]
	s_delay_alu instid0(VALU_DEP_1) | instskip(NEXT) | instid1(VALU_DEP_1)
	v_add_co_u32 v69, s1, v1, v159
	v_add_co_ci_u32_e64 v70, s1, 0, v2, s1
	global_load_u16 v51, v[69:70], off
	ds_load_b128 v[45:48], v160
	ds_load_b128 v[41:44], v160 offset:16
	ds_load_b128 v[37:40], v160 offset:32
	;; [unrolled: 1-line block ×11, first 2 shown]
	s_load_b32 s52, s[4:5], 0x0
	s_waitcnt vmcnt(0)
	v_dual_mov_b32 v58, 0 :: v_dual_and_b32 v59, 0xff, v51
	v_and_b32_e32 v61, 0xffff, v51
	s_delay_alu instid0(VALU_DEP_2) | instskip(NEXT) | instid1(VALU_DEP_3)
	v_cmp_ne_u16_e64 s1, 0, v59
	v_dual_mov_b32 v60, v58 :: v_dual_mov_b32 v59, v57
	s_delay_alu instid0(VALU_DEP_2)
	s_and_saveexec_b32 s40, s1
	s_cbranch_execz .LBB230_24
; %bb.17:                               ;   in Loop: Header=BB230_13 Depth=1
	v_bfrev_b32_e32 v59, 1
	v_dual_mov_b32 v60, 0 :: v_dual_and_b32 v51, 0xff, v61
	s_mov_b32 s53, exec_lo
	s_delay_alu instid0(VALU_DEP_1)
	v_cmpx_ne_u16_e32 0x80, v51
	s_cbranch_execz .LBB230_23
; %bb.18:                               ;   in Loop: Header=BB230_13 Depth=1
	v_mov_b32_e32 v59, 0x7f800001
	v_and_b32_e32 v62, 0x7f, v61
	v_mov_b32_e32 v60, 0
	s_mov_b32 s54, exec_lo
	s_delay_alu instid0(VALU_DEP_2)
	v_cmpx_ne_u32_e32 0x7f, v62
	s_cbranch_execz .LBB230_22
; %bb.19:                               ;   in Loop: Header=BB230_13 Depth=1
	v_and_b32_e32 v51, 7, v61
	v_lshrrev_b32_e32 v59, 3, v62
	s_mov_b32 s55, exec_lo
	v_cmpx_gt_u32_e32 8, v62
; %bb.20:                               ;   in Loop: Header=BB230_13 Depth=1
	s_delay_alu instid0(VALU_DEP_3) | instskip(NEXT) | instid1(VALU_DEP_1)
	v_clz_i32_u32_e32 v59, v51
	v_min_u32_e32 v59, 32, v59
	s_delay_alu instid0(VALU_DEP_1) | instskip(SKIP_1) | instid1(VALU_DEP_2)
	v_subrev_nc_u32_e32 v60, 28, v59
	v_sub_nc_u32_e32 v59, 29, v59
	v_lshlrev_b64 v[62:63], v60, v[51:52]
	s_delay_alu instid0(VALU_DEP_1)
	v_and_b32_e32 v51, 7, v62
; %bb.21:                               ;   in Loop: Header=BB230_13 Depth=1
	s_or_b32 exec_lo, exec_lo, s55
	v_lshlrev_b32_e32 v60, 24, v61
	s_delay_alu instid0(VALU_DEP_2) | instskip(SKIP_1) | instid1(VALU_DEP_3)
	v_lshlrev_b32_e32 v51, 20, v51
	v_lshl_add_u32 v59, v59, 23, 0x3c000000
	v_and_b32_e32 v60, 0x80000000, v60
	s_delay_alu instid0(VALU_DEP_1) | instskip(NEXT) | instid1(VALU_DEP_1)
	v_or3_b32 v51, v51, v60, v59
	v_dual_mov_b32 v60, v52 :: v_dual_mov_b32 v59, v51
.LBB230_22:                             ;   in Loop: Header=BB230_13 Depth=1
	s_or_b32 exec_lo, exec_lo, s54
.LBB230_23:                             ;   in Loop: Header=BB230_13 Depth=1
	s_delay_alu instid0(SALU_CYCLE_1)
	s_or_b32 exec_lo, exec_lo, s53
.LBB230_24:                             ;   in Loop: Header=BB230_13 Depth=1
	s_delay_alu instid0(SALU_CYCLE_1) | instskip(SKIP_2) | instid1(VALU_DEP_1)
	s_or_b32 exec_lo, exec_lo, s40
	v_lshrrev_b16 v51, 8, v61
	s_mov_b32 s53, exec_lo
	v_cmpx_ne_u16_e32 0, v51
	s_cbranch_execz .LBB230_32
; %bb.25:                               ;   in Loop: Header=BB230_13 Depth=1
	v_dual_mov_b32 v58, s11 :: v_dual_mov_b32 v57, s10
	s_mov_b32 s54, exec_lo
	v_cmpx_ne_u16_e32 0x80, v51
	s_cbranch_execz .LBB230_31
; %bb.26:                               ;   in Loop: Header=BB230_13 Depth=1
	s_mov_b32 s40, s10
	v_dual_mov_b32 v58, s41 :: v_dual_and_b32 v51, 0xffff, v51
	v_mov_b32_e32 v57, s40
	s_mov_b32 s40, exec_lo
	s_delay_alu instid0(VALU_DEP_2) | instskip(NEXT) | instid1(VALU_DEP_1)
	v_and_b32_e32 v62, 0x7f, v51
	v_cmpx_ne_u32_e32 0x7f, v62
	s_cbranch_execz .LBB230_30
; %bb.27:                               ;   in Loop: Header=BB230_13 Depth=1
	v_and_b32_e32 v51, 7, v51
	v_lshrrev_b32_e32 v57, 3, v62
	s_mov_b32 s55, exec_lo
	v_cmpx_gt_u32_e32 8, v62
; %bb.28:                               ;   in Loop: Header=BB230_13 Depth=1
	s_delay_alu instid0(VALU_DEP_3) | instskip(NEXT) | instid1(VALU_DEP_1)
	v_clz_i32_u32_e32 v57, v51
	v_min_u32_e32 v57, 32, v57
	s_delay_alu instid0(VALU_DEP_1) | instskip(SKIP_1) | instid1(VALU_DEP_2)
	v_subrev_nc_u32_e32 v58, 28, v57
	v_sub_nc_u32_e32 v57, 29, v57
	v_lshlrev_b64 v[62:63], v58, v[51:52]
	s_delay_alu instid0(VALU_DEP_1)
	v_and_b32_e32 v51, 7, v62
; %bb.29:                               ;   in Loop: Header=BB230_13 Depth=1
	s_or_b32 exec_lo, exec_lo, s55
	v_lshlrev_b32_e32 v58, 16, v61
	s_delay_alu instid0(VALU_DEP_2) | instskip(SKIP_1) | instid1(VALU_DEP_3)
	v_lshlrev_b32_e32 v51, 20, v51
	v_lshl_add_u32 v57, v57, 23, 0x3c000000
	v_and_b32_e32 v58, 0x80000000, v58
	s_delay_alu instid0(VALU_DEP_1)
	v_or3_b32 v58, v51, v58, v57
	v_mov_b32_e32 v57, v52
.LBB230_30:                             ;   in Loop: Header=BB230_13 Depth=1
	s_or_b32 exec_lo, exec_lo, s40
.LBB230_31:                             ;   in Loop: Header=BB230_13 Depth=1
	s_delay_alu instid0(SALU_CYCLE_1)
	s_or_b32 exec_lo, exec_lo, s54
.LBB230_32:                             ;   in Loop: Header=BB230_13 Depth=1
	s_delay_alu instid0(SALU_CYCLE_1)
	s_or_b32 exec_lo, exec_lo, s53
	global_load_u16 v51, v[69:70], off offset:4
	v_mov_b32_e32 v61, 0
	s_waitcnt vmcnt(0)
	v_dual_mov_b32 v62, 0 :: v_dual_and_b32 v63, 0xff, v51
	v_and_b32_e32 v65, 0xffff, v51
	s_delay_alu instid0(VALU_DEP_2) | instskip(NEXT) | instid1(VALU_DEP_3)
	v_cmp_ne_u16_e64 s1, 0, v63
	v_dual_mov_b32 v64, v62 :: v_dual_mov_b32 v63, v61
	s_delay_alu instid0(VALU_DEP_2)
	s_and_saveexec_b32 s40, s1
	s_cbranch_execz .LBB230_40
; %bb.33:                               ;   in Loop: Header=BB230_13 Depth=1
	v_bfrev_b32_e32 v63, 1
	v_dual_mov_b32 v64, 0 :: v_dual_and_b32 v51, 0xff, v65
	s_mov_b32 s53, exec_lo
	s_delay_alu instid0(VALU_DEP_1)
	v_cmpx_ne_u16_e32 0x80, v51
	s_cbranch_execz .LBB230_39
; %bb.34:                               ;   in Loop: Header=BB230_13 Depth=1
	v_mov_b32_e32 v63, 0x7f800001
	v_and_b32_e32 v66, 0x7f, v65
	v_mov_b32_e32 v64, 0
	s_mov_b32 s54, exec_lo
	s_delay_alu instid0(VALU_DEP_2)
	v_cmpx_ne_u32_e32 0x7f, v66
	s_cbranch_execz .LBB230_38
; %bb.35:                               ;   in Loop: Header=BB230_13 Depth=1
	v_and_b32_e32 v51, 7, v65
	v_lshrrev_b32_e32 v63, 3, v66
	s_mov_b32 s55, exec_lo
	v_cmpx_gt_u32_e32 8, v66
; %bb.36:                               ;   in Loop: Header=BB230_13 Depth=1
	s_delay_alu instid0(VALU_DEP_3) | instskip(NEXT) | instid1(VALU_DEP_1)
	v_clz_i32_u32_e32 v63, v51
	v_min_u32_e32 v63, 32, v63
	s_delay_alu instid0(VALU_DEP_1) | instskip(SKIP_1) | instid1(VALU_DEP_2)
	v_subrev_nc_u32_e32 v64, 28, v63
	v_sub_nc_u32_e32 v63, 29, v63
	v_lshlrev_b64 v[66:67], v64, v[51:52]
	s_delay_alu instid0(VALU_DEP_1)
	v_and_b32_e32 v51, 7, v66
; %bb.37:                               ;   in Loop: Header=BB230_13 Depth=1
	s_or_b32 exec_lo, exec_lo, s55
	v_lshlrev_b32_e32 v64, 24, v65
	s_delay_alu instid0(VALU_DEP_2) | instskip(SKIP_1) | instid1(VALU_DEP_3)
	v_lshlrev_b32_e32 v51, 20, v51
	v_lshl_add_u32 v63, v63, 23, 0x3c000000
	v_and_b32_e32 v64, 0x80000000, v64
	s_delay_alu instid0(VALU_DEP_1) | instskip(NEXT) | instid1(VALU_DEP_1)
	v_or3_b32 v51, v51, v64, v63
	v_dual_mov_b32 v64, v52 :: v_dual_mov_b32 v63, v51
.LBB230_38:                             ;   in Loop: Header=BB230_13 Depth=1
	s_or_b32 exec_lo, exec_lo, s54
.LBB230_39:                             ;   in Loop: Header=BB230_13 Depth=1
	s_delay_alu instid0(SALU_CYCLE_1)
	s_or_b32 exec_lo, exec_lo, s53
.LBB230_40:                             ;   in Loop: Header=BB230_13 Depth=1
	s_delay_alu instid0(SALU_CYCLE_1) | instskip(SKIP_2) | instid1(VALU_DEP_1)
	s_or_b32 exec_lo, exec_lo, s40
	v_lshrrev_b16 v51, 8, v65
	s_mov_b32 s53, exec_lo
	v_cmpx_ne_u16_e32 0, v51
	s_cbranch_execz .LBB230_48
; %bb.41:                               ;   in Loop: Header=BB230_13 Depth=1
	v_dual_mov_b32 v62, s11 :: v_dual_mov_b32 v61, s10
	s_mov_b32 s54, exec_lo
	v_cmpx_ne_u16_e32 0x80, v51
	s_cbranch_execz .LBB230_47
; %bb.42:                               ;   in Loop: Header=BB230_13 Depth=1
	s_mov_b32 s40, s10
	v_dual_mov_b32 v62, s41 :: v_dual_and_b32 v51, 0xffff, v51
	v_mov_b32_e32 v61, s40
	s_mov_b32 s40, exec_lo
	s_delay_alu instid0(VALU_DEP_2) | instskip(NEXT) | instid1(VALU_DEP_1)
	v_and_b32_e32 v66, 0x7f, v51
	v_cmpx_ne_u32_e32 0x7f, v66
	s_cbranch_execz .LBB230_46
; %bb.43:                               ;   in Loop: Header=BB230_13 Depth=1
	v_and_b32_e32 v51, 7, v51
	v_lshrrev_b32_e32 v61, 3, v66
	s_mov_b32 s55, exec_lo
	v_cmpx_gt_u32_e32 8, v66
; %bb.44:                               ;   in Loop: Header=BB230_13 Depth=1
	s_delay_alu instid0(VALU_DEP_3) | instskip(NEXT) | instid1(VALU_DEP_1)
	v_clz_i32_u32_e32 v61, v51
	v_min_u32_e32 v61, 32, v61
	s_delay_alu instid0(VALU_DEP_1) | instskip(SKIP_1) | instid1(VALU_DEP_2)
	v_subrev_nc_u32_e32 v62, 28, v61
	v_sub_nc_u32_e32 v61, 29, v61
	v_lshlrev_b64 v[66:67], v62, v[51:52]
	s_delay_alu instid0(VALU_DEP_1)
	v_and_b32_e32 v51, 7, v66
; %bb.45:                               ;   in Loop: Header=BB230_13 Depth=1
	s_or_b32 exec_lo, exec_lo, s55
	v_lshlrev_b32_e32 v62, 16, v65
	s_delay_alu instid0(VALU_DEP_2) | instskip(SKIP_1) | instid1(VALU_DEP_3)
	v_lshlrev_b32_e32 v51, 20, v51
	v_lshl_add_u32 v61, v61, 23, 0x3c000000
	v_and_b32_e32 v62, 0x80000000, v62
	s_delay_alu instid0(VALU_DEP_1)
	v_or3_b32 v62, v51, v62, v61
	v_mov_b32_e32 v61, v52
.LBB230_46:                             ;   in Loop: Header=BB230_13 Depth=1
	s_or_b32 exec_lo, exec_lo, s40
.LBB230_47:                             ;   in Loop: Header=BB230_13 Depth=1
	s_delay_alu instid0(SALU_CYCLE_1)
	s_or_b32 exec_lo, exec_lo, s54
.LBB230_48:                             ;   in Loop: Header=BB230_13 Depth=1
	s_delay_alu instid0(SALU_CYCLE_1)
	s_or_b32 exec_lo, exec_lo, s53
	global_load_u16 v51, v[69:70], off offset:8
	v_mov_b32_e32 v65, 0
	s_waitcnt vmcnt(0)
	v_dual_mov_b32 v66, 0 :: v_dual_and_b32 v67, 0xff, v51
	v_and_b32_e32 v71, 0xffff, v51
	s_delay_alu instid0(VALU_DEP_2) | instskip(NEXT) | instid1(VALU_DEP_3)
	v_cmp_ne_u16_e64 s1, 0, v67
	v_dual_mov_b32 v68, v66 :: v_dual_mov_b32 v67, v65
	s_delay_alu instid0(VALU_DEP_2)
	s_and_saveexec_b32 s40, s1
	s_cbranch_execz .LBB230_56
; %bb.49:                               ;   in Loop: Header=BB230_13 Depth=1
	v_bfrev_b32_e32 v67, 1
	v_dual_mov_b32 v68, 0 :: v_dual_and_b32 v51, 0xff, v71
	s_mov_b32 s53, exec_lo
	s_delay_alu instid0(VALU_DEP_1)
	v_cmpx_ne_u16_e32 0x80, v51
	s_cbranch_execz .LBB230_55
; %bb.50:                               ;   in Loop: Header=BB230_13 Depth=1
	v_mov_b32_e32 v67, 0x7f800001
	v_and_b32_e32 v72, 0x7f, v71
	v_mov_b32_e32 v68, 0
	s_mov_b32 s54, exec_lo
	s_delay_alu instid0(VALU_DEP_2)
	v_cmpx_ne_u32_e32 0x7f, v72
	s_cbranch_execz .LBB230_54
; %bb.51:                               ;   in Loop: Header=BB230_13 Depth=1
	v_and_b32_e32 v51, 7, v71
	v_lshrrev_b32_e32 v67, 3, v72
	s_mov_b32 s55, exec_lo
	v_cmpx_gt_u32_e32 8, v72
; %bb.52:                               ;   in Loop: Header=BB230_13 Depth=1
	s_delay_alu instid0(VALU_DEP_3) | instskip(NEXT) | instid1(VALU_DEP_1)
	v_clz_i32_u32_e32 v67, v51
	v_min_u32_e32 v67, 32, v67
	s_delay_alu instid0(VALU_DEP_1) | instskip(SKIP_1) | instid1(VALU_DEP_2)
	v_subrev_nc_u32_e32 v68, 28, v67
	v_sub_nc_u32_e32 v67, 29, v67
	v_lshlrev_b64 v[72:73], v68, v[51:52]
	s_delay_alu instid0(VALU_DEP_1)
	v_and_b32_e32 v51, 7, v72
; %bb.53:                               ;   in Loop: Header=BB230_13 Depth=1
	s_or_b32 exec_lo, exec_lo, s55
	v_lshlrev_b32_e32 v68, 24, v71
	s_delay_alu instid0(VALU_DEP_2) | instskip(SKIP_1) | instid1(VALU_DEP_3)
	v_lshlrev_b32_e32 v51, 20, v51
	v_lshl_add_u32 v67, v67, 23, 0x3c000000
	v_and_b32_e32 v68, 0x80000000, v68
	s_delay_alu instid0(VALU_DEP_1) | instskip(NEXT) | instid1(VALU_DEP_1)
	v_or3_b32 v51, v51, v68, v67
	v_dual_mov_b32 v68, v52 :: v_dual_mov_b32 v67, v51
.LBB230_54:                             ;   in Loop: Header=BB230_13 Depth=1
	s_or_b32 exec_lo, exec_lo, s54
.LBB230_55:                             ;   in Loop: Header=BB230_13 Depth=1
	s_delay_alu instid0(SALU_CYCLE_1)
	s_or_b32 exec_lo, exec_lo, s53
.LBB230_56:                             ;   in Loop: Header=BB230_13 Depth=1
	s_delay_alu instid0(SALU_CYCLE_1) | instskip(SKIP_2) | instid1(VALU_DEP_1)
	s_or_b32 exec_lo, exec_lo, s40
	v_lshrrev_b16 v51, 8, v71
	s_mov_b32 s53, exec_lo
	v_cmpx_ne_u16_e32 0, v51
	s_cbranch_execz .LBB230_64
; %bb.57:                               ;   in Loop: Header=BB230_13 Depth=1
	v_dual_mov_b32 v66, s11 :: v_dual_mov_b32 v65, s10
	s_mov_b32 s54, exec_lo
	v_cmpx_ne_u16_e32 0x80, v51
	s_cbranch_execz .LBB230_63
; %bb.58:                               ;   in Loop: Header=BB230_13 Depth=1
	s_mov_b32 s40, s10
	v_dual_mov_b32 v66, s41 :: v_dual_and_b32 v51, 0xffff, v51
	v_mov_b32_e32 v65, s40
	s_mov_b32 s40, exec_lo
	s_delay_alu instid0(VALU_DEP_2) | instskip(NEXT) | instid1(VALU_DEP_1)
	v_and_b32_e32 v72, 0x7f, v51
	v_cmpx_ne_u32_e32 0x7f, v72
	s_cbranch_execz .LBB230_62
; %bb.59:                               ;   in Loop: Header=BB230_13 Depth=1
	v_and_b32_e32 v51, 7, v51
	v_lshrrev_b32_e32 v65, 3, v72
	s_mov_b32 s55, exec_lo
	v_cmpx_gt_u32_e32 8, v72
; %bb.60:                               ;   in Loop: Header=BB230_13 Depth=1
	s_delay_alu instid0(VALU_DEP_3) | instskip(NEXT) | instid1(VALU_DEP_1)
	v_clz_i32_u32_e32 v65, v51
	v_min_u32_e32 v65, 32, v65
	s_delay_alu instid0(VALU_DEP_1) | instskip(SKIP_1) | instid1(VALU_DEP_2)
	v_subrev_nc_u32_e32 v66, 28, v65
	v_sub_nc_u32_e32 v65, 29, v65
	v_lshlrev_b64 v[72:73], v66, v[51:52]
	s_delay_alu instid0(VALU_DEP_1)
	v_and_b32_e32 v51, 7, v72
; %bb.61:                               ;   in Loop: Header=BB230_13 Depth=1
	s_or_b32 exec_lo, exec_lo, s55
	v_lshlrev_b32_e32 v66, 16, v71
	s_delay_alu instid0(VALU_DEP_2) | instskip(SKIP_1) | instid1(VALU_DEP_3)
	v_lshlrev_b32_e32 v51, 20, v51
	v_lshl_add_u32 v65, v65, 23, 0x3c000000
	v_and_b32_e32 v66, 0x80000000, v66
	s_delay_alu instid0(VALU_DEP_1)
	v_or3_b32 v66, v51, v66, v65
	v_mov_b32_e32 v65, v52
.LBB230_62:                             ;   in Loop: Header=BB230_13 Depth=1
	s_or_b32 exec_lo, exec_lo, s40
.LBB230_63:                             ;   in Loop: Header=BB230_13 Depth=1
	s_delay_alu instid0(SALU_CYCLE_1)
	s_or_b32 exec_lo, exec_lo, s54
.LBB230_64:                             ;   in Loop: Header=BB230_13 Depth=1
	s_delay_alu instid0(SALU_CYCLE_1)
	s_or_b32 exec_lo, exec_lo, s53
	global_load_u16 v51, v[69:70], off offset:12
	v_mov_b32_e32 v71, 0
	s_waitcnt vmcnt(0)
	v_dual_mov_b32 v72, 0 :: v_dual_and_b32 v73, 0xff, v51
	v_and_b32_e32 v75, 0xffff, v51
	s_delay_alu instid0(VALU_DEP_2) | instskip(NEXT) | instid1(VALU_DEP_3)
	v_cmp_ne_u16_e64 s1, 0, v73
	v_dual_mov_b32 v74, v72 :: v_dual_mov_b32 v73, v71
	s_delay_alu instid0(VALU_DEP_2)
	s_and_saveexec_b32 s40, s1
	s_cbranch_execz .LBB230_72
; %bb.65:                               ;   in Loop: Header=BB230_13 Depth=1
	v_bfrev_b32_e32 v73, 1
	v_dual_mov_b32 v74, 0 :: v_dual_and_b32 v51, 0xff, v75
	s_mov_b32 s53, exec_lo
	s_delay_alu instid0(VALU_DEP_1)
	v_cmpx_ne_u16_e32 0x80, v51
	s_cbranch_execz .LBB230_71
; %bb.66:                               ;   in Loop: Header=BB230_13 Depth=1
	v_mov_b32_e32 v73, 0x7f800001
	v_and_b32_e32 v76, 0x7f, v75
	v_mov_b32_e32 v74, 0
	s_mov_b32 s54, exec_lo
	s_delay_alu instid0(VALU_DEP_2)
	v_cmpx_ne_u32_e32 0x7f, v76
	s_cbranch_execz .LBB230_70
; %bb.67:                               ;   in Loop: Header=BB230_13 Depth=1
	v_and_b32_e32 v51, 7, v75
	v_lshrrev_b32_e32 v73, 3, v76
	s_mov_b32 s55, exec_lo
	v_cmpx_gt_u32_e32 8, v76
; %bb.68:                               ;   in Loop: Header=BB230_13 Depth=1
	s_delay_alu instid0(VALU_DEP_3) | instskip(NEXT) | instid1(VALU_DEP_1)
	v_clz_i32_u32_e32 v73, v51
	v_min_u32_e32 v73, 32, v73
	s_delay_alu instid0(VALU_DEP_1) | instskip(SKIP_1) | instid1(VALU_DEP_2)
	v_subrev_nc_u32_e32 v74, 28, v73
	v_sub_nc_u32_e32 v73, 29, v73
	v_lshlrev_b64 v[76:77], v74, v[51:52]
	s_delay_alu instid0(VALU_DEP_1)
	v_and_b32_e32 v51, 7, v76
; %bb.69:                               ;   in Loop: Header=BB230_13 Depth=1
	s_or_b32 exec_lo, exec_lo, s55
	v_lshlrev_b32_e32 v74, 24, v75
	s_delay_alu instid0(VALU_DEP_2) | instskip(SKIP_1) | instid1(VALU_DEP_3)
	v_lshlrev_b32_e32 v51, 20, v51
	v_lshl_add_u32 v73, v73, 23, 0x3c000000
	v_and_b32_e32 v74, 0x80000000, v74
	s_delay_alu instid0(VALU_DEP_1) | instskip(NEXT) | instid1(VALU_DEP_1)
	v_or3_b32 v51, v51, v74, v73
	v_dual_mov_b32 v74, v52 :: v_dual_mov_b32 v73, v51
.LBB230_70:                             ;   in Loop: Header=BB230_13 Depth=1
	s_or_b32 exec_lo, exec_lo, s54
.LBB230_71:                             ;   in Loop: Header=BB230_13 Depth=1
	s_delay_alu instid0(SALU_CYCLE_1)
	s_or_b32 exec_lo, exec_lo, s53
.LBB230_72:                             ;   in Loop: Header=BB230_13 Depth=1
	s_delay_alu instid0(SALU_CYCLE_1) | instskip(SKIP_2) | instid1(VALU_DEP_1)
	s_or_b32 exec_lo, exec_lo, s40
	v_lshrrev_b16 v51, 8, v75
	s_mov_b32 s53, exec_lo
	v_cmpx_ne_u16_e32 0, v51
	s_cbranch_execz .LBB230_80
; %bb.73:                               ;   in Loop: Header=BB230_13 Depth=1
	v_dual_mov_b32 v72, s11 :: v_dual_mov_b32 v71, s10
	s_mov_b32 s54, exec_lo
	v_cmpx_ne_u16_e32 0x80, v51
	s_cbranch_execz .LBB230_79
; %bb.74:                               ;   in Loop: Header=BB230_13 Depth=1
	s_mov_b32 s40, s10
	v_dual_mov_b32 v72, s41 :: v_dual_and_b32 v51, 0xffff, v51
	v_mov_b32_e32 v71, s40
	s_mov_b32 s40, exec_lo
	s_delay_alu instid0(VALU_DEP_2) | instskip(NEXT) | instid1(VALU_DEP_1)
	v_and_b32_e32 v76, 0x7f, v51
	v_cmpx_ne_u32_e32 0x7f, v76
	s_cbranch_execz .LBB230_78
; %bb.75:                               ;   in Loop: Header=BB230_13 Depth=1
	v_and_b32_e32 v51, 7, v51
	v_lshrrev_b32_e32 v71, 3, v76
	s_mov_b32 s55, exec_lo
	v_cmpx_gt_u32_e32 8, v76
; %bb.76:                               ;   in Loop: Header=BB230_13 Depth=1
	s_delay_alu instid0(VALU_DEP_3) | instskip(NEXT) | instid1(VALU_DEP_1)
	v_clz_i32_u32_e32 v71, v51
	v_min_u32_e32 v71, 32, v71
	s_delay_alu instid0(VALU_DEP_1) | instskip(SKIP_1) | instid1(VALU_DEP_2)
	v_subrev_nc_u32_e32 v72, 28, v71
	v_sub_nc_u32_e32 v71, 29, v71
	v_lshlrev_b64 v[76:77], v72, v[51:52]
	s_delay_alu instid0(VALU_DEP_1)
	v_and_b32_e32 v51, 7, v76
; %bb.77:                               ;   in Loop: Header=BB230_13 Depth=1
	s_or_b32 exec_lo, exec_lo, s55
	v_lshlrev_b32_e32 v72, 16, v75
	s_delay_alu instid0(VALU_DEP_2) | instskip(SKIP_1) | instid1(VALU_DEP_3)
	v_lshlrev_b32_e32 v51, 20, v51
	v_lshl_add_u32 v71, v71, 23, 0x3c000000
	v_and_b32_e32 v72, 0x80000000, v72
	s_delay_alu instid0(VALU_DEP_1)
	v_or3_b32 v72, v51, v72, v71
	v_mov_b32_e32 v71, v52
.LBB230_78:                             ;   in Loop: Header=BB230_13 Depth=1
	s_or_b32 exec_lo, exec_lo, s40
.LBB230_79:                             ;   in Loop: Header=BB230_13 Depth=1
	s_delay_alu instid0(SALU_CYCLE_1)
	s_or_b32 exec_lo, exec_lo, s54
.LBB230_80:                             ;   in Loop: Header=BB230_13 Depth=1
	s_delay_alu instid0(SALU_CYCLE_1)
	s_or_b32 exec_lo, exec_lo, s53
	global_load_u16 v51, v[69:70], off offset:256
	v_mov_b32_e32 v75, 0
	s_waitcnt vmcnt(0)
	v_dual_mov_b32 v76, 0 :: v_dual_and_b32 v77, 0xff, v51
	v_and_b32_e32 v79, 0xffff, v51
	s_delay_alu instid0(VALU_DEP_2) | instskip(NEXT) | instid1(VALU_DEP_3)
	v_cmp_ne_u16_e64 s1, 0, v77
	v_dual_mov_b32 v78, v76 :: v_dual_mov_b32 v77, v75
	s_delay_alu instid0(VALU_DEP_2)
	s_and_saveexec_b32 s40, s1
	s_cbranch_execz .LBB230_88
; %bb.81:                               ;   in Loop: Header=BB230_13 Depth=1
	v_bfrev_b32_e32 v77, 1
	v_dual_mov_b32 v78, 0 :: v_dual_and_b32 v51, 0xff, v79
	s_mov_b32 s53, exec_lo
	s_delay_alu instid0(VALU_DEP_1)
	v_cmpx_ne_u16_e32 0x80, v51
	s_cbranch_execz .LBB230_87
; %bb.82:                               ;   in Loop: Header=BB230_13 Depth=1
	v_mov_b32_e32 v77, 0x7f800001
	v_and_b32_e32 v80, 0x7f, v79
	v_mov_b32_e32 v78, 0
	s_mov_b32 s54, exec_lo
	s_delay_alu instid0(VALU_DEP_2)
	v_cmpx_ne_u32_e32 0x7f, v80
	s_cbranch_execz .LBB230_86
; %bb.83:                               ;   in Loop: Header=BB230_13 Depth=1
	v_and_b32_e32 v51, 7, v79
	v_lshrrev_b32_e32 v77, 3, v80
	s_mov_b32 s55, exec_lo
	v_cmpx_gt_u32_e32 8, v80
; %bb.84:                               ;   in Loop: Header=BB230_13 Depth=1
	s_delay_alu instid0(VALU_DEP_3) | instskip(NEXT) | instid1(VALU_DEP_1)
	v_clz_i32_u32_e32 v77, v51
	v_min_u32_e32 v77, 32, v77
	s_delay_alu instid0(VALU_DEP_1) | instskip(SKIP_1) | instid1(VALU_DEP_2)
	v_subrev_nc_u32_e32 v78, 28, v77
	v_sub_nc_u32_e32 v77, 29, v77
	v_lshlrev_b64 v[80:81], v78, v[51:52]
	s_delay_alu instid0(VALU_DEP_1)
	v_and_b32_e32 v51, 7, v80
; %bb.85:                               ;   in Loop: Header=BB230_13 Depth=1
	s_or_b32 exec_lo, exec_lo, s55
	v_lshlrev_b32_e32 v78, 24, v79
	s_delay_alu instid0(VALU_DEP_2) | instskip(SKIP_1) | instid1(VALU_DEP_3)
	v_lshlrev_b32_e32 v51, 20, v51
	v_lshl_add_u32 v77, v77, 23, 0x3c000000
	v_and_b32_e32 v78, 0x80000000, v78
	s_delay_alu instid0(VALU_DEP_1) | instskip(NEXT) | instid1(VALU_DEP_1)
	v_or3_b32 v51, v51, v78, v77
	v_dual_mov_b32 v78, v52 :: v_dual_mov_b32 v77, v51
.LBB230_86:                             ;   in Loop: Header=BB230_13 Depth=1
	s_or_b32 exec_lo, exec_lo, s54
.LBB230_87:                             ;   in Loop: Header=BB230_13 Depth=1
	s_delay_alu instid0(SALU_CYCLE_1)
	s_or_b32 exec_lo, exec_lo, s53
.LBB230_88:                             ;   in Loop: Header=BB230_13 Depth=1
	s_delay_alu instid0(SALU_CYCLE_1) | instskip(SKIP_2) | instid1(VALU_DEP_1)
	s_or_b32 exec_lo, exec_lo, s40
	v_lshrrev_b16 v51, 8, v79
	s_mov_b32 s53, exec_lo
	v_cmpx_ne_u16_e32 0, v51
	s_cbranch_execz .LBB230_96
; %bb.89:                               ;   in Loop: Header=BB230_13 Depth=1
	v_dual_mov_b32 v76, s11 :: v_dual_mov_b32 v75, s10
	s_mov_b32 s54, exec_lo
	v_cmpx_ne_u16_e32 0x80, v51
	s_cbranch_execz .LBB230_95
; %bb.90:                               ;   in Loop: Header=BB230_13 Depth=1
	s_mov_b32 s40, s10
	v_dual_mov_b32 v76, s41 :: v_dual_and_b32 v51, 0xffff, v51
	v_mov_b32_e32 v75, s40
	s_mov_b32 s40, exec_lo
	s_delay_alu instid0(VALU_DEP_2) | instskip(NEXT) | instid1(VALU_DEP_1)
	v_and_b32_e32 v80, 0x7f, v51
	v_cmpx_ne_u32_e32 0x7f, v80
	s_cbranch_execz .LBB230_94
; %bb.91:                               ;   in Loop: Header=BB230_13 Depth=1
	v_and_b32_e32 v51, 7, v51
	v_lshrrev_b32_e32 v75, 3, v80
	s_mov_b32 s55, exec_lo
	v_cmpx_gt_u32_e32 8, v80
; %bb.92:                               ;   in Loop: Header=BB230_13 Depth=1
	s_delay_alu instid0(VALU_DEP_3) | instskip(NEXT) | instid1(VALU_DEP_1)
	v_clz_i32_u32_e32 v75, v51
	v_min_u32_e32 v75, 32, v75
	s_delay_alu instid0(VALU_DEP_1) | instskip(SKIP_1) | instid1(VALU_DEP_2)
	v_subrev_nc_u32_e32 v76, 28, v75
	v_sub_nc_u32_e32 v75, 29, v75
	v_lshlrev_b64 v[80:81], v76, v[51:52]
	s_delay_alu instid0(VALU_DEP_1)
	v_and_b32_e32 v51, 7, v80
; %bb.93:                               ;   in Loop: Header=BB230_13 Depth=1
	s_or_b32 exec_lo, exec_lo, s55
	v_lshlrev_b32_e32 v76, 16, v79
	s_delay_alu instid0(VALU_DEP_2) | instskip(SKIP_1) | instid1(VALU_DEP_3)
	v_lshlrev_b32_e32 v51, 20, v51
	v_lshl_add_u32 v75, v75, 23, 0x3c000000
	v_and_b32_e32 v76, 0x80000000, v76
	s_delay_alu instid0(VALU_DEP_1)
	v_or3_b32 v76, v51, v76, v75
	v_mov_b32_e32 v75, v52
.LBB230_94:                             ;   in Loop: Header=BB230_13 Depth=1
	s_or_b32 exec_lo, exec_lo, s40
.LBB230_95:                             ;   in Loop: Header=BB230_13 Depth=1
	s_delay_alu instid0(SALU_CYCLE_1)
	s_or_b32 exec_lo, exec_lo, s54
.LBB230_96:                             ;   in Loop: Header=BB230_13 Depth=1
	s_delay_alu instid0(SALU_CYCLE_1)
	s_or_b32 exec_lo, exec_lo, s53
	global_load_u16 v51, v[69:70], off offset:260
	v_mov_b32_e32 v79, 0
	s_waitcnt vmcnt(0)
	v_dual_mov_b32 v80, 0 :: v_dual_and_b32 v81, 0xff, v51
	v_and_b32_e32 v83, 0xffff, v51
	s_delay_alu instid0(VALU_DEP_2) | instskip(NEXT) | instid1(VALU_DEP_3)
	v_cmp_ne_u16_e64 s1, 0, v81
	v_dual_mov_b32 v82, v80 :: v_dual_mov_b32 v81, v79
	s_delay_alu instid0(VALU_DEP_2)
	s_and_saveexec_b32 s40, s1
	s_cbranch_execz .LBB230_104
; %bb.97:                               ;   in Loop: Header=BB230_13 Depth=1
	v_bfrev_b32_e32 v81, 1
	v_dual_mov_b32 v82, 0 :: v_dual_and_b32 v51, 0xff, v83
	s_mov_b32 s53, exec_lo
	s_delay_alu instid0(VALU_DEP_1)
	v_cmpx_ne_u16_e32 0x80, v51
	s_cbranch_execz .LBB230_103
; %bb.98:                               ;   in Loop: Header=BB230_13 Depth=1
	v_mov_b32_e32 v81, 0x7f800001
	v_and_b32_e32 v84, 0x7f, v83
	v_mov_b32_e32 v82, 0
	s_mov_b32 s54, exec_lo
	s_delay_alu instid0(VALU_DEP_2)
	v_cmpx_ne_u32_e32 0x7f, v84
	s_cbranch_execz .LBB230_102
; %bb.99:                               ;   in Loop: Header=BB230_13 Depth=1
	v_and_b32_e32 v51, 7, v83
	v_lshrrev_b32_e32 v81, 3, v84
	s_mov_b32 s55, exec_lo
	v_cmpx_gt_u32_e32 8, v84
; %bb.100:                              ;   in Loop: Header=BB230_13 Depth=1
	s_delay_alu instid0(VALU_DEP_3) | instskip(NEXT) | instid1(VALU_DEP_1)
	v_clz_i32_u32_e32 v81, v51
	v_min_u32_e32 v81, 32, v81
	s_delay_alu instid0(VALU_DEP_1) | instskip(SKIP_1) | instid1(VALU_DEP_2)
	v_subrev_nc_u32_e32 v82, 28, v81
	v_sub_nc_u32_e32 v81, 29, v81
	v_lshlrev_b64 v[84:85], v82, v[51:52]
	s_delay_alu instid0(VALU_DEP_1)
	v_and_b32_e32 v51, 7, v84
; %bb.101:                              ;   in Loop: Header=BB230_13 Depth=1
	s_or_b32 exec_lo, exec_lo, s55
	v_lshlrev_b32_e32 v82, 24, v83
	s_delay_alu instid0(VALU_DEP_2) | instskip(SKIP_1) | instid1(VALU_DEP_3)
	v_lshlrev_b32_e32 v51, 20, v51
	v_lshl_add_u32 v81, v81, 23, 0x3c000000
	v_and_b32_e32 v82, 0x80000000, v82
	s_delay_alu instid0(VALU_DEP_1) | instskip(NEXT) | instid1(VALU_DEP_1)
	v_or3_b32 v51, v51, v82, v81
	v_dual_mov_b32 v82, v52 :: v_dual_mov_b32 v81, v51
.LBB230_102:                            ;   in Loop: Header=BB230_13 Depth=1
	s_or_b32 exec_lo, exec_lo, s54
.LBB230_103:                            ;   in Loop: Header=BB230_13 Depth=1
	s_delay_alu instid0(SALU_CYCLE_1)
	s_or_b32 exec_lo, exec_lo, s53
.LBB230_104:                            ;   in Loop: Header=BB230_13 Depth=1
	s_delay_alu instid0(SALU_CYCLE_1) | instskip(SKIP_2) | instid1(VALU_DEP_1)
	s_or_b32 exec_lo, exec_lo, s40
	v_lshrrev_b16 v51, 8, v83
	s_mov_b32 s53, exec_lo
	v_cmpx_ne_u16_e32 0, v51
	s_cbranch_execz .LBB230_112
; %bb.105:                              ;   in Loop: Header=BB230_13 Depth=1
	v_dual_mov_b32 v80, s11 :: v_dual_mov_b32 v79, s10
	s_mov_b32 s54, exec_lo
	v_cmpx_ne_u16_e32 0x80, v51
	s_cbranch_execz .LBB230_111
; %bb.106:                              ;   in Loop: Header=BB230_13 Depth=1
	s_mov_b32 s40, s10
	v_dual_mov_b32 v80, s41 :: v_dual_and_b32 v51, 0xffff, v51
	v_mov_b32_e32 v79, s40
	s_mov_b32 s40, exec_lo
	s_delay_alu instid0(VALU_DEP_2) | instskip(NEXT) | instid1(VALU_DEP_1)
	v_and_b32_e32 v84, 0x7f, v51
	v_cmpx_ne_u32_e32 0x7f, v84
	s_cbranch_execz .LBB230_110
; %bb.107:                              ;   in Loop: Header=BB230_13 Depth=1
	v_and_b32_e32 v51, 7, v51
	v_lshrrev_b32_e32 v79, 3, v84
	s_mov_b32 s55, exec_lo
	v_cmpx_gt_u32_e32 8, v84
; %bb.108:                              ;   in Loop: Header=BB230_13 Depth=1
	s_delay_alu instid0(VALU_DEP_3) | instskip(NEXT) | instid1(VALU_DEP_1)
	v_clz_i32_u32_e32 v79, v51
	v_min_u32_e32 v79, 32, v79
	s_delay_alu instid0(VALU_DEP_1) | instskip(SKIP_1) | instid1(VALU_DEP_2)
	v_subrev_nc_u32_e32 v80, 28, v79
	v_sub_nc_u32_e32 v79, 29, v79
	v_lshlrev_b64 v[84:85], v80, v[51:52]
	s_delay_alu instid0(VALU_DEP_1)
	v_and_b32_e32 v51, 7, v84
; %bb.109:                              ;   in Loop: Header=BB230_13 Depth=1
	s_or_b32 exec_lo, exec_lo, s55
	v_lshlrev_b32_e32 v80, 16, v83
	s_delay_alu instid0(VALU_DEP_2) | instskip(SKIP_1) | instid1(VALU_DEP_3)
	v_lshlrev_b32_e32 v51, 20, v51
	v_lshl_add_u32 v79, v79, 23, 0x3c000000
	v_and_b32_e32 v80, 0x80000000, v80
	s_delay_alu instid0(VALU_DEP_1)
	v_or3_b32 v80, v51, v80, v79
	v_mov_b32_e32 v79, v52
.LBB230_110:                            ;   in Loop: Header=BB230_13 Depth=1
	s_or_b32 exec_lo, exec_lo, s40
.LBB230_111:                            ;   in Loop: Header=BB230_13 Depth=1
	s_delay_alu instid0(SALU_CYCLE_1)
	s_or_b32 exec_lo, exec_lo, s54
.LBB230_112:                            ;   in Loop: Header=BB230_13 Depth=1
	s_delay_alu instid0(SALU_CYCLE_1) | instskip(SKIP_1) | instid1(VALU_DEP_1)
	s_or_b32 exec_lo, exec_lo, s53
	v_add_co_u32 v87, s1, 0x100, v69
	v_add_co_ci_u32_e64 v88, s1, 0, v70, s1
	v_mov_b32_e32 v83, 0
	global_load_u16 v51, v[87:88], off offset:8
	s_waitcnt vmcnt(0)
	v_dual_mov_b32 v84, 0 :: v_dual_and_b32 v85, 0xff, v51
	v_and_b32_e32 v89, 0xffff, v51
	s_delay_alu instid0(VALU_DEP_2) | instskip(NEXT) | instid1(VALU_DEP_3)
	v_cmp_ne_u16_e64 s1, 0, v85
	v_dual_mov_b32 v86, v84 :: v_dual_mov_b32 v85, v83
	s_delay_alu instid0(VALU_DEP_2)
	s_and_saveexec_b32 s40, s1
	s_cbranch_execz .LBB230_120
; %bb.113:                              ;   in Loop: Header=BB230_13 Depth=1
	v_bfrev_b32_e32 v85, 1
	v_dual_mov_b32 v86, 0 :: v_dual_and_b32 v51, 0xff, v89
	s_mov_b32 s53, exec_lo
	s_delay_alu instid0(VALU_DEP_1)
	v_cmpx_ne_u16_e32 0x80, v51
	s_cbranch_execz .LBB230_119
; %bb.114:                              ;   in Loop: Header=BB230_13 Depth=1
	v_mov_b32_e32 v85, 0x7f800001
	v_and_b32_e32 v90, 0x7f, v89
	v_mov_b32_e32 v86, 0
	s_mov_b32 s54, exec_lo
	s_delay_alu instid0(VALU_DEP_2)
	v_cmpx_ne_u32_e32 0x7f, v90
	s_cbranch_execz .LBB230_118
; %bb.115:                              ;   in Loop: Header=BB230_13 Depth=1
	v_and_b32_e32 v51, 7, v89
	v_lshrrev_b32_e32 v85, 3, v90
	s_mov_b32 s55, exec_lo
	v_cmpx_gt_u32_e32 8, v90
; %bb.116:                              ;   in Loop: Header=BB230_13 Depth=1
	s_delay_alu instid0(VALU_DEP_3) | instskip(NEXT) | instid1(VALU_DEP_1)
	v_clz_i32_u32_e32 v85, v51
	v_min_u32_e32 v85, 32, v85
	s_delay_alu instid0(VALU_DEP_1) | instskip(SKIP_1) | instid1(VALU_DEP_2)
	v_subrev_nc_u32_e32 v86, 28, v85
	v_sub_nc_u32_e32 v85, 29, v85
	v_lshlrev_b64 v[90:91], v86, v[51:52]
	s_delay_alu instid0(VALU_DEP_1)
	v_and_b32_e32 v51, 7, v90
; %bb.117:                              ;   in Loop: Header=BB230_13 Depth=1
	s_or_b32 exec_lo, exec_lo, s55
	v_lshlrev_b32_e32 v86, 24, v89
	s_delay_alu instid0(VALU_DEP_2) | instskip(SKIP_1) | instid1(VALU_DEP_3)
	v_lshlrev_b32_e32 v51, 20, v51
	v_lshl_add_u32 v85, v85, 23, 0x3c000000
	v_and_b32_e32 v86, 0x80000000, v86
	s_delay_alu instid0(VALU_DEP_1) | instskip(NEXT) | instid1(VALU_DEP_1)
	v_or3_b32 v51, v51, v86, v85
	v_dual_mov_b32 v86, v52 :: v_dual_mov_b32 v85, v51
.LBB230_118:                            ;   in Loop: Header=BB230_13 Depth=1
	s_or_b32 exec_lo, exec_lo, s54
.LBB230_119:                            ;   in Loop: Header=BB230_13 Depth=1
	s_delay_alu instid0(SALU_CYCLE_1)
	s_or_b32 exec_lo, exec_lo, s53
.LBB230_120:                            ;   in Loop: Header=BB230_13 Depth=1
	s_delay_alu instid0(SALU_CYCLE_1) | instskip(SKIP_2) | instid1(VALU_DEP_1)
	s_or_b32 exec_lo, exec_lo, s40
	v_lshrrev_b16 v51, 8, v89
	s_mov_b32 s53, exec_lo
	v_cmpx_ne_u16_e32 0, v51
	s_cbranch_execz .LBB230_128
; %bb.121:                              ;   in Loop: Header=BB230_13 Depth=1
	v_dual_mov_b32 v84, s11 :: v_dual_mov_b32 v83, s10
	s_mov_b32 s54, exec_lo
	v_cmpx_ne_u16_e32 0x80, v51
	s_cbranch_execz .LBB230_127
; %bb.122:                              ;   in Loop: Header=BB230_13 Depth=1
	s_mov_b32 s40, s10
	v_dual_mov_b32 v84, s41 :: v_dual_and_b32 v51, 0xffff, v51
	v_mov_b32_e32 v83, s40
	s_mov_b32 s40, exec_lo
	s_delay_alu instid0(VALU_DEP_2) | instskip(NEXT) | instid1(VALU_DEP_1)
	v_and_b32_e32 v90, 0x7f, v51
	v_cmpx_ne_u32_e32 0x7f, v90
	s_cbranch_execz .LBB230_126
; %bb.123:                              ;   in Loop: Header=BB230_13 Depth=1
	v_and_b32_e32 v51, 7, v51
	v_lshrrev_b32_e32 v83, 3, v90
	s_mov_b32 s55, exec_lo
	v_cmpx_gt_u32_e32 8, v90
; %bb.124:                              ;   in Loop: Header=BB230_13 Depth=1
	s_delay_alu instid0(VALU_DEP_3) | instskip(NEXT) | instid1(VALU_DEP_1)
	v_clz_i32_u32_e32 v83, v51
	v_min_u32_e32 v83, 32, v83
	s_delay_alu instid0(VALU_DEP_1) | instskip(SKIP_1) | instid1(VALU_DEP_2)
	v_subrev_nc_u32_e32 v84, 28, v83
	v_sub_nc_u32_e32 v83, 29, v83
	v_lshlrev_b64 v[90:91], v84, v[51:52]
	s_delay_alu instid0(VALU_DEP_1)
	v_and_b32_e32 v51, 7, v90
; %bb.125:                              ;   in Loop: Header=BB230_13 Depth=1
	s_or_b32 exec_lo, exec_lo, s55
	v_lshlrev_b32_e32 v84, 16, v89
	s_delay_alu instid0(VALU_DEP_2) | instskip(SKIP_1) | instid1(VALU_DEP_3)
	v_lshlrev_b32_e32 v51, 20, v51
	v_lshl_add_u32 v83, v83, 23, 0x3c000000
	v_and_b32_e32 v84, 0x80000000, v84
	s_delay_alu instid0(VALU_DEP_1)
	v_or3_b32 v84, v51, v84, v83
	v_mov_b32_e32 v83, v52
.LBB230_126:                            ;   in Loop: Header=BB230_13 Depth=1
	s_or_b32 exec_lo, exec_lo, s40
.LBB230_127:                            ;   in Loop: Header=BB230_13 Depth=1
	s_delay_alu instid0(SALU_CYCLE_1)
	s_or_b32 exec_lo, exec_lo, s54
.LBB230_128:                            ;   in Loop: Header=BB230_13 Depth=1
	s_delay_alu instid0(SALU_CYCLE_1)
	s_or_b32 exec_lo, exec_lo, s53
	global_load_u16 v51, v[87:88], off offset:12
	v_mov_b32_e32 v87, 0
	s_waitcnt vmcnt(0)
	v_dual_mov_b32 v88, 0 :: v_dual_and_b32 v89, 0xff, v51
	v_and_b32_e32 v91, 0xffff, v51
	s_delay_alu instid0(VALU_DEP_2) | instskip(NEXT) | instid1(VALU_DEP_3)
	v_cmp_ne_u16_e64 s1, 0, v89
	v_dual_mov_b32 v90, v88 :: v_dual_mov_b32 v89, v87
	s_delay_alu instid0(VALU_DEP_2)
	s_and_saveexec_b32 s40, s1
	s_cbranch_execz .LBB230_136
; %bb.129:                              ;   in Loop: Header=BB230_13 Depth=1
	v_bfrev_b32_e32 v89, 1
	v_dual_mov_b32 v90, 0 :: v_dual_and_b32 v51, 0xff, v91
	s_mov_b32 s53, exec_lo
	s_delay_alu instid0(VALU_DEP_1)
	v_cmpx_ne_u16_e32 0x80, v51
	s_cbranch_execz .LBB230_135
; %bb.130:                              ;   in Loop: Header=BB230_13 Depth=1
	v_mov_b32_e32 v89, 0x7f800001
	v_and_b32_e32 v92, 0x7f, v91
	v_mov_b32_e32 v90, 0
	s_mov_b32 s54, exec_lo
	s_delay_alu instid0(VALU_DEP_2)
	v_cmpx_ne_u32_e32 0x7f, v92
	s_cbranch_execz .LBB230_134
; %bb.131:                              ;   in Loop: Header=BB230_13 Depth=1
	v_and_b32_e32 v51, 7, v91
	v_lshrrev_b32_e32 v89, 3, v92
	s_mov_b32 s55, exec_lo
	v_cmpx_gt_u32_e32 8, v92
; %bb.132:                              ;   in Loop: Header=BB230_13 Depth=1
	s_delay_alu instid0(VALU_DEP_3) | instskip(NEXT) | instid1(VALU_DEP_1)
	v_clz_i32_u32_e32 v89, v51
	v_min_u32_e32 v89, 32, v89
	s_delay_alu instid0(VALU_DEP_1) | instskip(SKIP_1) | instid1(VALU_DEP_2)
	v_subrev_nc_u32_e32 v90, 28, v89
	v_sub_nc_u32_e32 v89, 29, v89
	v_lshlrev_b64 v[92:93], v90, v[51:52]
	s_delay_alu instid0(VALU_DEP_1)
	v_and_b32_e32 v51, 7, v92
; %bb.133:                              ;   in Loop: Header=BB230_13 Depth=1
	s_or_b32 exec_lo, exec_lo, s55
	v_lshlrev_b32_e32 v90, 24, v91
	s_delay_alu instid0(VALU_DEP_2) | instskip(SKIP_1) | instid1(VALU_DEP_3)
	v_lshlrev_b32_e32 v51, 20, v51
	v_lshl_add_u32 v89, v89, 23, 0x3c000000
	v_and_b32_e32 v90, 0x80000000, v90
	s_delay_alu instid0(VALU_DEP_1) | instskip(NEXT) | instid1(VALU_DEP_1)
	v_or3_b32 v51, v51, v90, v89
	v_dual_mov_b32 v90, v52 :: v_dual_mov_b32 v89, v51
.LBB230_134:                            ;   in Loop: Header=BB230_13 Depth=1
	s_or_b32 exec_lo, exec_lo, s54
.LBB230_135:                            ;   in Loop: Header=BB230_13 Depth=1
	s_delay_alu instid0(SALU_CYCLE_1)
	s_or_b32 exec_lo, exec_lo, s53
.LBB230_136:                            ;   in Loop: Header=BB230_13 Depth=1
	s_delay_alu instid0(SALU_CYCLE_1) | instskip(SKIP_2) | instid1(VALU_DEP_1)
	s_or_b32 exec_lo, exec_lo, s40
	v_lshrrev_b16 v51, 8, v91
	s_mov_b32 s53, exec_lo
	v_cmpx_ne_u16_e32 0, v51
	s_cbranch_execz .LBB230_144
; %bb.137:                              ;   in Loop: Header=BB230_13 Depth=1
	v_dual_mov_b32 v88, s11 :: v_dual_mov_b32 v87, s10
	s_mov_b32 s54, exec_lo
	v_cmpx_ne_u16_e32 0x80, v51
	s_cbranch_execz .LBB230_143
; %bb.138:                              ;   in Loop: Header=BB230_13 Depth=1
	s_mov_b32 s40, s10
	v_dual_mov_b32 v88, s41 :: v_dual_and_b32 v51, 0xffff, v51
	v_mov_b32_e32 v87, s40
	s_mov_b32 s40, exec_lo
	s_delay_alu instid0(VALU_DEP_2) | instskip(NEXT) | instid1(VALU_DEP_1)
	v_and_b32_e32 v92, 0x7f, v51
	v_cmpx_ne_u32_e32 0x7f, v92
	s_cbranch_execz .LBB230_142
; %bb.139:                              ;   in Loop: Header=BB230_13 Depth=1
	v_and_b32_e32 v51, 7, v51
	v_lshrrev_b32_e32 v87, 3, v92
	s_mov_b32 s55, exec_lo
	v_cmpx_gt_u32_e32 8, v92
; %bb.140:                              ;   in Loop: Header=BB230_13 Depth=1
	s_delay_alu instid0(VALU_DEP_3) | instskip(NEXT) | instid1(VALU_DEP_1)
	v_clz_i32_u32_e32 v87, v51
	v_min_u32_e32 v87, 32, v87
	s_delay_alu instid0(VALU_DEP_1) | instskip(SKIP_1) | instid1(VALU_DEP_2)
	v_subrev_nc_u32_e32 v88, 28, v87
	v_sub_nc_u32_e32 v87, 29, v87
	v_lshlrev_b64 v[92:93], v88, v[51:52]
	s_delay_alu instid0(VALU_DEP_1)
	v_and_b32_e32 v51, 7, v92
; %bb.141:                              ;   in Loop: Header=BB230_13 Depth=1
	s_or_b32 exec_lo, exec_lo, s55
	v_lshlrev_b32_e32 v88, 16, v91
	s_delay_alu instid0(VALU_DEP_2) | instskip(SKIP_1) | instid1(VALU_DEP_3)
	v_lshlrev_b32_e32 v51, 20, v51
	v_lshl_add_u32 v87, v87, 23, 0x3c000000
	v_and_b32_e32 v88, 0x80000000, v88
	s_delay_alu instid0(VALU_DEP_1)
	v_or3_b32 v88, v51, v88, v87
	v_mov_b32_e32 v87, v52
.LBB230_142:                            ;   in Loop: Header=BB230_13 Depth=1
	s_or_b32 exec_lo, exec_lo, s40
.LBB230_143:                            ;   in Loop: Header=BB230_13 Depth=1
	s_delay_alu instid0(SALU_CYCLE_1)
	s_or_b32 exec_lo, exec_lo, s54
.LBB230_144:                            ;   in Loop: Header=BB230_13 Depth=1
	s_delay_alu instid0(SALU_CYCLE_1)
	s_or_b32 exec_lo, exec_lo, s53
	global_load_u16 v51, v[69:70], off offset:512
	v_mov_b32_e32 v91, 0
	s_waitcnt vmcnt(0)
	v_dual_mov_b32 v92, 0 :: v_dual_and_b32 v93, 0xff, v51
	v_and_b32_e32 v95, 0xffff, v51
	s_delay_alu instid0(VALU_DEP_2) | instskip(NEXT) | instid1(VALU_DEP_3)
	v_cmp_ne_u16_e64 s1, 0, v93
	v_dual_mov_b32 v94, v92 :: v_dual_mov_b32 v93, v91
	s_delay_alu instid0(VALU_DEP_2)
	s_and_saveexec_b32 s40, s1
	s_cbranch_execz .LBB230_152
; %bb.145:                              ;   in Loop: Header=BB230_13 Depth=1
	v_bfrev_b32_e32 v93, 1
	v_dual_mov_b32 v94, 0 :: v_dual_and_b32 v51, 0xff, v95
	s_mov_b32 s53, exec_lo
	s_delay_alu instid0(VALU_DEP_1)
	v_cmpx_ne_u16_e32 0x80, v51
	s_cbranch_execz .LBB230_151
; %bb.146:                              ;   in Loop: Header=BB230_13 Depth=1
	v_mov_b32_e32 v93, 0x7f800001
	v_and_b32_e32 v96, 0x7f, v95
	v_mov_b32_e32 v94, 0
	s_mov_b32 s54, exec_lo
	s_delay_alu instid0(VALU_DEP_2)
	v_cmpx_ne_u32_e32 0x7f, v96
	s_cbranch_execz .LBB230_150
; %bb.147:                              ;   in Loop: Header=BB230_13 Depth=1
	v_and_b32_e32 v51, 7, v95
	v_lshrrev_b32_e32 v93, 3, v96
	s_mov_b32 s55, exec_lo
	v_cmpx_gt_u32_e32 8, v96
; %bb.148:                              ;   in Loop: Header=BB230_13 Depth=1
	s_delay_alu instid0(VALU_DEP_3) | instskip(NEXT) | instid1(VALU_DEP_1)
	v_clz_i32_u32_e32 v93, v51
	v_min_u32_e32 v93, 32, v93
	s_delay_alu instid0(VALU_DEP_1) | instskip(SKIP_1) | instid1(VALU_DEP_2)
	v_subrev_nc_u32_e32 v94, 28, v93
	v_sub_nc_u32_e32 v93, 29, v93
	v_lshlrev_b64 v[96:97], v94, v[51:52]
	s_delay_alu instid0(VALU_DEP_1)
	v_and_b32_e32 v51, 7, v96
; %bb.149:                              ;   in Loop: Header=BB230_13 Depth=1
	s_or_b32 exec_lo, exec_lo, s55
	v_lshlrev_b32_e32 v94, 24, v95
	s_delay_alu instid0(VALU_DEP_2) | instskip(SKIP_1) | instid1(VALU_DEP_3)
	v_lshlrev_b32_e32 v51, 20, v51
	v_lshl_add_u32 v93, v93, 23, 0x3c000000
	v_and_b32_e32 v94, 0x80000000, v94
	s_delay_alu instid0(VALU_DEP_1) | instskip(NEXT) | instid1(VALU_DEP_1)
	v_or3_b32 v51, v51, v94, v93
	v_dual_mov_b32 v94, v52 :: v_dual_mov_b32 v93, v51
.LBB230_150:                            ;   in Loop: Header=BB230_13 Depth=1
	s_or_b32 exec_lo, exec_lo, s54
.LBB230_151:                            ;   in Loop: Header=BB230_13 Depth=1
	s_delay_alu instid0(SALU_CYCLE_1)
	s_or_b32 exec_lo, exec_lo, s53
.LBB230_152:                            ;   in Loop: Header=BB230_13 Depth=1
	s_delay_alu instid0(SALU_CYCLE_1) | instskip(SKIP_2) | instid1(VALU_DEP_1)
	s_or_b32 exec_lo, exec_lo, s40
	v_lshrrev_b16 v51, 8, v95
	s_mov_b32 s53, exec_lo
	v_cmpx_ne_u16_e32 0, v51
	s_cbranch_execz .LBB230_160
; %bb.153:                              ;   in Loop: Header=BB230_13 Depth=1
	v_dual_mov_b32 v92, s11 :: v_dual_mov_b32 v91, s10
	s_mov_b32 s54, exec_lo
	v_cmpx_ne_u16_e32 0x80, v51
	s_cbranch_execz .LBB230_159
; %bb.154:                              ;   in Loop: Header=BB230_13 Depth=1
	s_mov_b32 s40, s10
	v_dual_mov_b32 v92, s41 :: v_dual_and_b32 v51, 0xffff, v51
	v_mov_b32_e32 v91, s40
	s_mov_b32 s40, exec_lo
	s_delay_alu instid0(VALU_DEP_2) | instskip(NEXT) | instid1(VALU_DEP_1)
	v_and_b32_e32 v96, 0x7f, v51
	v_cmpx_ne_u32_e32 0x7f, v96
	s_cbranch_execz .LBB230_158
; %bb.155:                              ;   in Loop: Header=BB230_13 Depth=1
	v_and_b32_e32 v51, 7, v51
	v_lshrrev_b32_e32 v91, 3, v96
	s_mov_b32 s55, exec_lo
	v_cmpx_gt_u32_e32 8, v96
; %bb.156:                              ;   in Loop: Header=BB230_13 Depth=1
	s_delay_alu instid0(VALU_DEP_3) | instskip(NEXT) | instid1(VALU_DEP_1)
	v_clz_i32_u32_e32 v91, v51
	v_min_u32_e32 v91, 32, v91
	s_delay_alu instid0(VALU_DEP_1) | instskip(SKIP_1) | instid1(VALU_DEP_2)
	v_subrev_nc_u32_e32 v92, 28, v91
	v_sub_nc_u32_e32 v91, 29, v91
	v_lshlrev_b64 v[96:97], v92, v[51:52]
	s_delay_alu instid0(VALU_DEP_1)
	v_and_b32_e32 v51, 7, v96
; %bb.157:                              ;   in Loop: Header=BB230_13 Depth=1
	s_or_b32 exec_lo, exec_lo, s55
	v_lshlrev_b32_e32 v92, 16, v95
	s_delay_alu instid0(VALU_DEP_2) | instskip(SKIP_1) | instid1(VALU_DEP_3)
	v_lshlrev_b32_e32 v51, 20, v51
	v_lshl_add_u32 v91, v91, 23, 0x3c000000
	v_and_b32_e32 v92, 0x80000000, v92
	s_delay_alu instid0(VALU_DEP_1)
	v_or3_b32 v92, v51, v92, v91
	v_mov_b32_e32 v91, v52
.LBB230_158:                            ;   in Loop: Header=BB230_13 Depth=1
	s_or_b32 exec_lo, exec_lo, s40
.LBB230_159:                            ;   in Loop: Header=BB230_13 Depth=1
	s_delay_alu instid0(SALU_CYCLE_1)
	s_or_b32 exec_lo, exec_lo, s54
.LBB230_160:                            ;   in Loop: Header=BB230_13 Depth=1
	s_delay_alu instid0(SALU_CYCLE_1)
	s_or_b32 exec_lo, exec_lo, s53
	global_load_u16 v51, v[69:70], off offset:516
	v_mov_b32_e32 v95, 0
	s_waitcnt vmcnt(0)
	v_dual_mov_b32 v96, 0 :: v_dual_and_b32 v97, 0xff, v51
	v_and_b32_e32 v99, 0xffff, v51
	s_delay_alu instid0(VALU_DEP_2) | instskip(NEXT) | instid1(VALU_DEP_3)
	v_cmp_ne_u16_e64 s1, 0, v97
	v_dual_mov_b32 v98, v96 :: v_dual_mov_b32 v97, v95
	s_delay_alu instid0(VALU_DEP_2)
	s_and_saveexec_b32 s40, s1
	s_cbranch_execz .LBB230_168
; %bb.161:                              ;   in Loop: Header=BB230_13 Depth=1
	v_bfrev_b32_e32 v97, 1
	v_dual_mov_b32 v98, 0 :: v_dual_and_b32 v51, 0xff, v99
	s_mov_b32 s53, exec_lo
	s_delay_alu instid0(VALU_DEP_1)
	v_cmpx_ne_u16_e32 0x80, v51
	s_cbranch_execz .LBB230_167
; %bb.162:                              ;   in Loop: Header=BB230_13 Depth=1
	v_mov_b32_e32 v97, 0x7f800001
	v_and_b32_e32 v100, 0x7f, v99
	v_mov_b32_e32 v98, 0
	s_mov_b32 s54, exec_lo
	s_delay_alu instid0(VALU_DEP_2)
	v_cmpx_ne_u32_e32 0x7f, v100
	s_cbranch_execz .LBB230_166
; %bb.163:                              ;   in Loop: Header=BB230_13 Depth=1
	v_and_b32_e32 v51, 7, v99
	v_lshrrev_b32_e32 v97, 3, v100
	s_mov_b32 s55, exec_lo
	v_cmpx_gt_u32_e32 8, v100
; %bb.164:                              ;   in Loop: Header=BB230_13 Depth=1
	s_delay_alu instid0(VALU_DEP_3) | instskip(NEXT) | instid1(VALU_DEP_1)
	v_clz_i32_u32_e32 v97, v51
	v_min_u32_e32 v97, 32, v97
	s_delay_alu instid0(VALU_DEP_1) | instskip(SKIP_1) | instid1(VALU_DEP_2)
	v_subrev_nc_u32_e32 v98, 28, v97
	v_sub_nc_u32_e32 v97, 29, v97
	v_lshlrev_b64 v[100:101], v98, v[51:52]
	s_delay_alu instid0(VALU_DEP_1)
	v_and_b32_e32 v51, 7, v100
; %bb.165:                              ;   in Loop: Header=BB230_13 Depth=1
	s_or_b32 exec_lo, exec_lo, s55
	v_lshlrev_b32_e32 v98, 24, v99
	s_delay_alu instid0(VALU_DEP_2) | instskip(SKIP_1) | instid1(VALU_DEP_3)
	v_lshlrev_b32_e32 v51, 20, v51
	v_lshl_add_u32 v97, v97, 23, 0x3c000000
	v_and_b32_e32 v98, 0x80000000, v98
	s_delay_alu instid0(VALU_DEP_1) | instskip(NEXT) | instid1(VALU_DEP_1)
	v_or3_b32 v51, v51, v98, v97
	v_dual_mov_b32 v98, v52 :: v_dual_mov_b32 v97, v51
.LBB230_166:                            ;   in Loop: Header=BB230_13 Depth=1
	s_or_b32 exec_lo, exec_lo, s54
.LBB230_167:                            ;   in Loop: Header=BB230_13 Depth=1
	s_delay_alu instid0(SALU_CYCLE_1)
	s_or_b32 exec_lo, exec_lo, s53
.LBB230_168:                            ;   in Loop: Header=BB230_13 Depth=1
	s_delay_alu instid0(SALU_CYCLE_1) | instskip(SKIP_2) | instid1(VALU_DEP_1)
	s_or_b32 exec_lo, exec_lo, s40
	v_lshrrev_b16 v51, 8, v99
	s_mov_b32 s53, exec_lo
	v_cmpx_ne_u16_e32 0, v51
	s_cbranch_execz .LBB230_176
; %bb.169:                              ;   in Loop: Header=BB230_13 Depth=1
	v_dual_mov_b32 v96, s11 :: v_dual_mov_b32 v95, s10
	s_mov_b32 s54, exec_lo
	v_cmpx_ne_u16_e32 0x80, v51
	s_cbranch_execz .LBB230_175
; %bb.170:                              ;   in Loop: Header=BB230_13 Depth=1
	s_mov_b32 s40, s10
	v_dual_mov_b32 v96, s41 :: v_dual_and_b32 v51, 0xffff, v51
	v_mov_b32_e32 v95, s40
	s_mov_b32 s40, exec_lo
	s_delay_alu instid0(VALU_DEP_2) | instskip(NEXT) | instid1(VALU_DEP_1)
	v_and_b32_e32 v100, 0x7f, v51
	v_cmpx_ne_u32_e32 0x7f, v100
	s_cbranch_execz .LBB230_174
; %bb.171:                              ;   in Loop: Header=BB230_13 Depth=1
	v_and_b32_e32 v51, 7, v51
	v_lshrrev_b32_e32 v95, 3, v100
	s_mov_b32 s55, exec_lo
	v_cmpx_gt_u32_e32 8, v100
; %bb.172:                              ;   in Loop: Header=BB230_13 Depth=1
	s_delay_alu instid0(VALU_DEP_3) | instskip(NEXT) | instid1(VALU_DEP_1)
	v_clz_i32_u32_e32 v95, v51
	v_min_u32_e32 v95, 32, v95
	s_delay_alu instid0(VALU_DEP_1) | instskip(SKIP_1) | instid1(VALU_DEP_2)
	v_subrev_nc_u32_e32 v96, 28, v95
	v_sub_nc_u32_e32 v95, 29, v95
	v_lshlrev_b64 v[100:101], v96, v[51:52]
	s_delay_alu instid0(VALU_DEP_1)
	v_and_b32_e32 v51, 7, v100
; %bb.173:                              ;   in Loop: Header=BB230_13 Depth=1
	s_or_b32 exec_lo, exec_lo, s55
	v_lshlrev_b32_e32 v96, 16, v99
	s_delay_alu instid0(VALU_DEP_2) | instskip(SKIP_1) | instid1(VALU_DEP_3)
	v_lshlrev_b32_e32 v51, 20, v51
	v_lshl_add_u32 v95, v95, 23, 0x3c000000
	v_and_b32_e32 v96, 0x80000000, v96
	s_delay_alu instid0(VALU_DEP_1)
	v_or3_b32 v96, v51, v96, v95
	v_mov_b32_e32 v95, v52
.LBB230_174:                            ;   in Loop: Header=BB230_13 Depth=1
	s_or_b32 exec_lo, exec_lo, s40
.LBB230_175:                            ;   in Loop: Header=BB230_13 Depth=1
	s_delay_alu instid0(SALU_CYCLE_1)
	s_or_b32 exec_lo, exec_lo, s54
.LBB230_176:                            ;   in Loop: Header=BB230_13 Depth=1
	s_delay_alu instid0(SALU_CYCLE_1) | instskip(SKIP_1) | instid1(VALU_DEP_1)
	s_or_b32 exec_lo, exec_lo, s53
	v_add_co_u32 v103, s1, 0x200, v69
	v_add_co_ci_u32_e64 v104, s1, 0, v70, s1
	v_mov_b32_e32 v99, 0
	global_load_u16 v51, v[103:104], off offset:8
	s_waitcnt vmcnt(0)
	v_dual_mov_b32 v100, 0 :: v_dual_and_b32 v101, 0xff, v51
	v_and_b32_e32 v105, 0xffff, v51
	s_delay_alu instid0(VALU_DEP_2) | instskip(NEXT) | instid1(VALU_DEP_3)
	v_cmp_ne_u16_e64 s1, 0, v101
	v_dual_mov_b32 v102, v100 :: v_dual_mov_b32 v101, v99
	s_delay_alu instid0(VALU_DEP_2)
	s_and_saveexec_b32 s40, s1
	s_cbranch_execz .LBB230_184
; %bb.177:                              ;   in Loop: Header=BB230_13 Depth=1
	v_bfrev_b32_e32 v101, 1
	v_dual_mov_b32 v102, 0 :: v_dual_and_b32 v51, 0xff, v105
	s_mov_b32 s53, exec_lo
	s_delay_alu instid0(VALU_DEP_1)
	v_cmpx_ne_u16_e32 0x80, v51
	s_cbranch_execz .LBB230_183
; %bb.178:                              ;   in Loop: Header=BB230_13 Depth=1
	v_mov_b32_e32 v101, 0x7f800001
	v_and_b32_e32 v106, 0x7f, v105
	v_mov_b32_e32 v102, 0
	s_mov_b32 s54, exec_lo
	s_delay_alu instid0(VALU_DEP_2)
	v_cmpx_ne_u32_e32 0x7f, v106
	s_cbranch_execz .LBB230_182
; %bb.179:                              ;   in Loop: Header=BB230_13 Depth=1
	v_and_b32_e32 v51, 7, v105
	v_lshrrev_b32_e32 v101, 3, v106
	s_mov_b32 s55, exec_lo
	v_cmpx_gt_u32_e32 8, v106
; %bb.180:                              ;   in Loop: Header=BB230_13 Depth=1
	s_delay_alu instid0(VALU_DEP_3) | instskip(NEXT) | instid1(VALU_DEP_1)
	v_clz_i32_u32_e32 v101, v51
	v_min_u32_e32 v101, 32, v101
	s_delay_alu instid0(VALU_DEP_1) | instskip(SKIP_1) | instid1(VALU_DEP_2)
	v_subrev_nc_u32_e32 v102, 28, v101
	v_sub_nc_u32_e32 v101, 29, v101
	v_lshlrev_b64 v[106:107], v102, v[51:52]
	s_delay_alu instid0(VALU_DEP_1)
	v_and_b32_e32 v51, 7, v106
; %bb.181:                              ;   in Loop: Header=BB230_13 Depth=1
	s_or_b32 exec_lo, exec_lo, s55
	v_lshlrev_b32_e32 v102, 24, v105
	s_delay_alu instid0(VALU_DEP_2) | instskip(SKIP_1) | instid1(VALU_DEP_3)
	v_lshlrev_b32_e32 v51, 20, v51
	v_lshl_add_u32 v101, v101, 23, 0x3c000000
	v_and_b32_e32 v102, 0x80000000, v102
	s_delay_alu instid0(VALU_DEP_1) | instskip(NEXT) | instid1(VALU_DEP_1)
	v_or3_b32 v51, v51, v102, v101
	v_dual_mov_b32 v102, v52 :: v_dual_mov_b32 v101, v51
.LBB230_182:                            ;   in Loop: Header=BB230_13 Depth=1
	s_or_b32 exec_lo, exec_lo, s54
.LBB230_183:                            ;   in Loop: Header=BB230_13 Depth=1
	s_delay_alu instid0(SALU_CYCLE_1)
	s_or_b32 exec_lo, exec_lo, s53
.LBB230_184:                            ;   in Loop: Header=BB230_13 Depth=1
	s_delay_alu instid0(SALU_CYCLE_1) | instskip(SKIP_2) | instid1(VALU_DEP_1)
	s_or_b32 exec_lo, exec_lo, s40
	v_lshrrev_b16 v51, 8, v105
	s_mov_b32 s53, exec_lo
	v_cmpx_ne_u16_e32 0, v51
	s_cbranch_execz .LBB230_192
; %bb.185:                              ;   in Loop: Header=BB230_13 Depth=1
	v_dual_mov_b32 v100, s11 :: v_dual_mov_b32 v99, s10
	s_mov_b32 s54, exec_lo
	v_cmpx_ne_u16_e32 0x80, v51
	s_cbranch_execz .LBB230_191
; %bb.186:                              ;   in Loop: Header=BB230_13 Depth=1
	s_mov_b32 s40, s10
	v_dual_mov_b32 v100, s41 :: v_dual_and_b32 v51, 0xffff, v51
	v_mov_b32_e32 v99, s40
	s_mov_b32 s40, exec_lo
	s_delay_alu instid0(VALU_DEP_2) | instskip(NEXT) | instid1(VALU_DEP_1)
	v_and_b32_e32 v106, 0x7f, v51
	v_cmpx_ne_u32_e32 0x7f, v106
	s_cbranch_execz .LBB230_190
; %bb.187:                              ;   in Loop: Header=BB230_13 Depth=1
	v_and_b32_e32 v51, 7, v51
	v_lshrrev_b32_e32 v99, 3, v106
	s_mov_b32 s55, exec_lo
	v_cmpx_gt_u32_e32 8, v106
; %bb.188:                              ;   in Loop: Header=BB230_13 Depth=1
	s_delay_alu instid0(VALU_DEP_3) | instskip(NEXT) | instid1(VALU_DEP_1)
	v_clz_i32_u32_e32 v99, v51
	v_min_u32_e32 v99, 32, v99
	s_delay_alu instid0(VALU_DEP_1) | instskip(SKIP_1) | instid1(VALU_DEP_2)
	v_subrev_nc_u32_e32 v100, 28, v99
	v_sub_nc_u32_e32 v99, 29, v99
	v_lshlrev_b64 v[106:107], v100, v[51:52]
	s_delay_alu instid0(VALU_DEP_1)
	v_and_b32_e32 v51, 7, v106
; %bb.189:                              ;   in Loop: Header=BB230_13 Depth=1
	s_or_b32 exec_lo, exec_lo, s55
	v_lshlrev_b32_e32 v100, 16, v105
	s_delay_alu instid0(VALU_DEP_2) | instskip(SKIP_1) | instid1(VALU_DEP_3)
	v_lshlrev_b32_e32 v51, 20, v51
	v_lshl_add_u32 v99, v99, 23, 0x3c000000
	v_and_b32_e32 v100, 0x80000000, v100
	s_delay_alu instid0(VALU_DEP_1)
	v_or3_b32 v100, v51, v100, v99
	v_mov_b32_e32 v99, v52
.LBB230_190:                            ;   in Loop: Header=BB230_13 Depth=1
	s_or_b32 exec_lo, exec_lo, s40
.LBB230_191:                            ;   in Loop: Header=BB230_13 Depth=1
	s_delay_alu instid0(SALU_CYCLE_1)
	s_or_b32 exec_lo, exec_lo, s54
.LBB230_192:                            ;   in Loop: Header=BB230_13 Depth=1
	s_delay_alu instid0(SALU_CYCLE_1)
	s_or_b32 exec_lo, exec_lo, s53
	global_load_u16 v51, v[103:104], off offset:12
	v_mov_b32_e32 v103, 0
	s_waitcnt vmcnt(0)
	v_dual_mov_b32 v104, 0 :: v_dual_and_b32 v105, 0xff, v51
	v_and_b32_e32 v107, 0xffff, v51
	s_delay_alu instid0(VALU_DEP_2) | instskip(NEXT) | instid1(VALU_DEP_3)
	v_cmp_ne_u16_e64 s1, 0, v105
	v_dual_mov_b32 v106, v104 :: v_dual_mov_b32 v105, v103
	s_delay_alu instid0(VALU_DEP_2)
	s_and_saveexec_b32 s40, s1
	s_cbranch_execz .LBB230_200
; %bb.193:                              ;   in Loop: Header=BB230_13 Depth=1
	v_bfrev_b32_e32 v105, 1
	v_dual_mov_b32 v106, 0 :: v_dual_and_b32 v51, 0xff, v107
	s_mov_b32 s53, exec_lo
	s_delay_alu instid0(VALU_DEP_1)
	v_cmpx_ne_u16_e32 0x80, v51
	s_cbranch_execz .LBB230_199
; %bb.194:                              ;   in Loop: Header=BB230_13 Depth=1
	v_mov_b32_e32 v105, 0x7f800001
	v_and_b32_e32 v108, 0x7f, v107
	v_mov_b32_e32 v106, 0
	s_mov_b32 s54, exec_lo
	s_delay_alu instid0(VALU_DEP_2)
	v_cmpx_ne_u32_e32 0x7f, v108
	s_cbranch_execz .LBB230_198
; %bb.195:                              ;   in Loop: Header=BB230_13 Depth=1
	v_and_b32_e32 v51, 7, v107
	v_lshrrev_b32_e32 v105, 3, v108
	s_mov_b32 s55, exec_lo
	v_cmpx_gt_u32_e32 8, v108
; %bb.196:                              ;   in Loop: Header=BB230_13 Depth=1
	s_delay_alu instid0(VALU_DEP_3) | instskip(NEXT) | instid1(VALU_DEP_1)
	v_clz_i32_u32_e32 v105, v51
	v_min_u32_e32 v105, 32, v105
	s_delay_alu instid0(VALU_DEP_1) | instskip(SKIP_1) | instid1(VALU_DEP_2)
	v_subrev_nc_u32_e32 v106, 28, v105
	v_sub_nc_u32_e32 v105, 29, v105
	v_lshlrev_b64 v[108:109], v106, v[51:52]
	s_delay_alu instid0(VALU_DEP_1)
	v_and_b32_e32 v51, 7, v108
; %bb.197:                              ;   in Loop: Header=BB230_13 Depth=1
	s_or_b32 exec_lo, exec_lo, s55
	v_lshlrev_b32_e32 v106, 24, v107
	s_delay_alu instid0(VALU_DEP_2) | instskip(SKIP_1) | instid1(VALU_DEP_3)
	v_lshlrev_b32_e32 v51, 20, v51
	v_lshl_add_u32 v105, v105, 23, 0x3c000000
	v_and_b32_e32 v106, 0x80000000, v106
	s_delay_alu instid0(VALU_DEP_1) | instskip(NEXT) | instid1(VALU_DEP_1)
	v_or3_b32 v51, v51, v106, v105
	v_dual_mov_b32 v106, v52 :: v_dual_mov_b32 v105, v51
.LBB230_198:                            ;   in Loop: Header=BB230_13 Depth=1
	s_or_b32 exec_lo, exec_lo, s54
.LBB230_199:                            ;   in Loop: Header=BB230_13 Depth=1
	s_delay_alu instid0(SALU_CYCLE_1)
	s_or_b32 exec_lo, exec_lo, s53
.LBB230_200:                            ;   in Loop: Header=BB230_13 Depth=1
	s_delay_alu instid0(SALU_CYCLE_1) | instskip(SKIP_2) | instid1(VALU_DEP_1)
	s_or_b32 exec_lo, exec_lo, s40
	v_lshrrev_b16 v51, 8, v107
	s_mov_b32 s53, exec_lo
	v_cmpx_ne_u16_e32 0, v51
	s_cbranch_execz .LBB230_208
; %bb.201:                              ;   in Loop: Header=BB230_13 Depth=1
	v_dual_mov_b32 v104, s11 :: v_dual_mov_b32 v103, s10
	s_mov_b32 s54, exec_lo
	v_cmpx_ne_u16_e32 0x80, v51
	s_cbranch_execz .LBB230_207
; %bb.202:                              ;   in Loop: Header=BB230_13 Depth=1
	s_mov_b32 s40, s10
	v_dual_mov_b32 v104, s41 :: v_dual_and_b32 v51, 0xffff, v51
	v_mov_b32_e32 v103, s40
	s_mov_b32 s40, exec_lo
	s_delay_alu instid0(VALU_DEP_2) | instskip(NEXT) | instid1(VALU_DEP_1)
	v_and_b32_e32 v108, 0x7f, v51
	v_cmpx_ne_u32_e32 0x7f, v108
	s_cbranch_execz .LBB230_206
; %bb.203:                              ;   in Loop: Header=BB230_13 Depth=1
	v_and_b32_e32 v51, 7, v51
	v_lshrrev_b32_e32 v103, 3, v108
	s_mov_b32 s55, exec_lo
	v_cmpx_gt_u32_e32 8, v108
; %bb.204:                              ;   in Loop: Header=BB230_13 Depth=1
	s_delay_alu instid0(VALU_DEP_3) | instskip(NEXT) | instid1(VALU_DEP_1)
	v_clz_i32_u32_e32 v103, v51
	v_min_u32_e32 v103, 32, v103
	s_delay_alu instid0(VALU_DEP_1) | instskip(SKIP_1) | instid1(VALU_DEP_2)
	v_subrev_nc_u32_e32 v104, 28, v103
	v_sub_nc_u32_e32 v103, 29, v103
	v_lshlrev_b64 v[108:109], v104, v[51:52]
	s_delay_alu instid0(VALU_DEP_1)
	v_and_b32_e32 v51, 7, v108
; %bb.205:                              ;   in Loop: Header=BB230_13 Depth=1
	s_or_b32 exec_lo, exec_lo, s55
	v_lshlrev_b32_e32 v104, 16, v107
	s_delay_alu instid0(VALU_DEP_2) | instskip(SKIP_1) | instid1(VALU_DEP_3)
	v_lshlrev_b32_e32 v51, 20, v51
	v_lshl_add_u32 v103, v103, 23, 0x3c000000
	v_and_b32_e32 v104, 0x80000000, v104
	s_delay_alu instid0(VALU_DEP_1)
	v_or3_b32 v104, v51, v104, v103
	v_mov_b32_e32 v103, v52
.LBB230_206:                            ;   in Loop: Header=BB230_13 Depth=1
	s_or_b32 exec_lo, exec_lo, s40
.LBB230_207:                            ;   in Loop: Header=BB230_13 Depth=1
	s_delay_alu instid0(SALU_CYCLE_1)
	s_or_b32 exec_lo, exec_lo, s54
.LBB230_208:                            ;   in Loop: Header=BB230_13 Depth=1
	s_delay_alu instid0(SALU_CYCLE_1)
	s_or_b32 exec_lo, exec_lo, s53
	global_load_u16 v51, v[69:70], off offset:768
	v_mov_b32_e32 v107, 0
	s_waitcnt vmcnt(0)
	v_dual_mov_b32 v108, 0 :: v_dual_and_b32 v109, 0xff, v51
	v_and_b32_e32 v111, 0xffff, v51
	s_delay_alu instid0(VALU_DEP_2) | instskip(NEXT) | instid1(VALU_DEP_3)
	v_cmp_ne_u16_e64 s1, 0, v109
	v_dual_mov_b32 v110, v108 :: v_dual_mov_b32 v109, v107
	s_delay_alu instid0(VALU_DEP_2)
	s_and_saveexec_b32 s40, s1
	s_cbranch_execz .LBB230_216
; %bb.209:                              ;   in Loop: Header=BB230_13 Depth=1
	v_bfrev_b32_e32 v109, 1
	v_dual_mov_b32 v110, 0 :: v_dual_and_b32 v51, 0xff, v111
	s_mov_b32 s53, exec_lo
	s_delay_alu instid0(VALU_DEP_1)
	v_cmpx_ne_u16_e32 0x80, v51
	s_cbranch_execz .LBB230_215
; %bb.210:                              ;   in Loop: Header=BB230_13 Depth=1
	v_mov_b32_e32 v109, 0x7f800001
	v_and_b32_e32 v112, 0x7f, v111
	v_mov_b32_e32 v110, 0
	s_mov_b32 s54, exec_lo
	s_delay_alu instid0(VALU_DEP_2)
	v_cmpx_ne_u32_e32 0x7f, v112
	s_cbranch_execz .LBB230_214
; %bb.211:                              ;   in Loop: Header=BB230_13 Depth=1
	v_and_b32_e32 v51, 7, v111
	v_lshrrev_b32_e32 v109, 3, v112
	s_mov_b32 s55, exec_lo
	v_cmpx_gt_u32_e32 8, v112
; %bb.212:                              ;   in Loop: Header=BB230_13 Depth=1
	s_delay_alu instid0(VALU_DEP_3) | instskip(NEXT) | instid1(VALU_DEP_1)
	v_clz_i32_u32_e32 v109, v51
	v_min_u32_e32 v109, 32, v109
	s_delay_alu instid0(VALU_DEP_1) | instskip(SKIP_1) | instid1(VALU_DEP_2)
	v_subrev_nc_u32_e32 v110, 28, v109
	v_sub_nc_u32_e32 v109, 29, v109
	v_lshlrev_b64 v[112:113], v110, v[51:52]
	s_delay_alu instid0(VALU_DEP_1)
	v_and_b32_e32 v51, 7, v112
; %bb.213:                              ;   in Loop: Header=BB230_13 Depth=1
	s_or_b32 exec_lo, exec_lo, s55
	v_lshlrev_b32_e32 v110, 24, v111
	s_delay_alu instid0(VALU_DEP_2) | instskip(SKIP_1) | instid1(VALU_DEP_3)
	v_lshlrev_b32_e32 v51, 20, v51
	v_lshl_add_u32 v109, v109, 23, 0x3c000000
	v_and_b32_e32 v110, 0x80000000, v110
	s_delay_alu instid0(VALU_DEP_1) | instskip(NEXT) | instid1(VALU_DEP_1)
	v_or3_b32 v51, v51, v110, v109
	v_dual_mov_b32 v110, v52 :: v_dual_mov_b32 v109, v51
.LBB230_214:                            ;   in Loop: Header=BB230_13 Depth=1
	s_or_b32 exec_lo, exec_lo, s54
.LBB230_215:                            ;   in Loop: Header=BB230_13 Depth=1
	s_delay_alu instid0(SALU_CYCLE_1)
	s_or_b32 exec_lo, exec_lo, s53
.LBB230_216:                            ;   in Loop: Header=BB230_13 Depth=1
	s_delay_alu instid0(SALU_CYCLE_1) | instskip(SKIP_2) | instid1(VALU_DEP_1)
	s_or_b32 exec_lo, exec_lo, s40
	v_lshrrev_b16 v51, 8, v111
	s_mov_b32 s53, exec_lo
	v_cmpx_ne_u16_e32 0, v51
	s_cbranch_execz .LBB230_224
; %bb.217:                              ;   in Loop: Header=BB230_13 Depth=1
	v_dual_mov_b32 v108, s11 :: v_dual_mov_b32 v107, s10
	s_mov_b32 s54, exec_lo
	v_cmpx_ne_u16_e32 0x80, v51
	s_cbranch_execz .LBB230_223
; %bb.218:                              ;   in Loop: Header=BB230_13 Depth=1
	s_mov_b32 s40, s10
	v_dual_mov_b32 v108, s41 :: v_dual_and_b32 v51, 0xffff, v51
	v_mov_b32_e32 v107, s40
	s_mov_b32 s40, exec_lo
	s_delay_alu instid0(VALU_DEP_2) | instskip(NEXT) | instid1(VALU_DEP_1)
	v_and_b32_e32 v112, 0x7f, v51
	v_cmpx_ne_u32_e32 0x7f, v112
	s_cbranch_execz .LBB230_222
; %bb.219:                              ;   in Loop: Header=BB230_13 Depth=1
	v_and_b32_e32 v51, 7, v51
	v_lshrrev_b32_e32 v107, 3, v112
	s_mov_b32 s55, exec_lo
	v_cmpx_gt_u32_e32 8, v112
; %bb.220:                              ;   in Loop: Header=BB230_13 Depth=1
	s_delay_alu instid0(VALU_DEP_3) | instskip(NEXT) | instid1(VALU_DEP_1)
	v_clz_i32_u32_e32 v107, v51
	v_min_u32_e32 v107, 32, v107
	s_delay_alu instid0(VALU_DEP_1) | instskip(SKIP_1) | instid1(VALU_DEP_2)
	v_subrev_nc_u32_e32 v108, 28, v107
	v_sub_nc_u32_e32 v107, 29, v107
	v_lshlrev_b64 v[112:113], v108, v[51:52]
	s_delay_alu instid0(VALU_DEP_1)
	v_and_b32_e32 v51, 7, v112
; %bb.221:                              ;   in Loop: Header=BB230_13 Depth=1
	s_or_b32 exec_lo, exec_lo, s55
	v_lshlrev_b32_e32 v108, 16, v111
	s_delay_alu instid0(VALU_DEP_2) | instskip(SKIP_1) | instid1(VALU_DEP_3)
	v_lshlrev_b32_e32 v51, 20, v51
	v_lshl_add_u32 v107, v107, 23, 0x3c000000
	v_and_b32_e32 v108, 0x80000000, v108
	s_delay_alu instid0(VALU_DEP_1)
	v_or3_b32 v108, v51, v108, v107
	v_mov_b32_e32 v107, v52
.LBB230_222:                            ;   in Loop: Header=BB230_13 Depth=1
	s_or_b32 exec_lo, exec_lo, s40
.LBB230_223:                            ;   in Loop: Header=BB230_13 Depth=1
	s_delay_alu instid0(SALU_CYCLE_1)
	s_or_b32 exec_lo, exec_lo, s54
.LBB230_224:                            ;   in Loop: Header=BB230_13 Depth=1
	s_delay_alu instid0(SALU_CYCLE_1)
	s_or_b32 exec_lo, exec_lo, s53
	global_load_u16 v51, v[69:70], off offset:772
	v_mov_b32_e32 v111, 0
	s_waitcnt vmcnt(0)
	v_dual_mov_b32 v112, 0 :: v_dual_and_b32 v113, 0xff, v51
	v_and_b32_e32 v115, 0xffff, v51
	s_delay_alu instid0(VALU_DEP_2) | instskip(NEXT) | instid1(VALU_DEP_3)
	v_cmp_ne_u16_e64 s1, 0, v113
	v_dual_mov_b32 v114, v112 :: v_dual_mov_b32 v113, v111
	s_delay_alu instid0(VALU_DEP_2)
	s_and_saveexec_b32 s40, s1
	s_cbranch_execz .LBB230_232
; %bb.225:                              ;   in Loop: Header=BB230_13 Depth=1
	v_bfrev_b32_e32 v113, 1
	v_dual_mov_b32 v114, 0 :: v_dual_and_b32 v51, 0xff, v115
	s_mov_b32 s53, exec_lo
	s_delay_alu instid0(VALU_DEP_1)
	v_cmpx_ne_u16_e32 0x80, v51
	s_cbranch_execz .LBB230_231
; %bb.226:                              ;   in Loop: Header=BB230_13 Depth=1
	v_mov_b32_e32 v113, 0x7f800001
	v_and_b32_e32 v116, 0x7f, v115
	v_mov_b32_e32 v114, 0
	s_mov_b32 s54, exec_lo
	s_delay_alu instid0(VALU_DEP_2)
	v_cmpx_ne_u32_e32 0x7f, v116
	s_cbranch_execz .LBB230_230
; %bb.227:                              ;   in Loop: Header=BB230_13 Depth=1
	v_and_b32_e32 v51, 7, v115
	v_lshrrev_b32_e32 v113, 3, v116
	s_mov_b32 s55, exec_lo
	v_cmpx_gt_u32_e32 8, v116
; %bb.228:                              ;   in Loop: Header=BB230_13 Depth=1
	s_delay_alu instid0(VALU_DEP_3) | instskip(NEXT) | instid1(VALU_DEP_1)
	v_clz_i32_u32_e32 v113, v51
	v_min_u32_e32 v113, 32, v113
	s_delay_alu instid0(VALU_DEP_1) | instskip(SKIP_1) | instid1(VALU_DEP_2)
	v_subrev_nc_u32_e32 v114, 28, v113
	v_sub_nc_u32_e32 v113, 29, v113
	v_lshlrev_b64 v[116:117], v114, v[51:52]
	s_delay_alu instid0(VALU_DEP_1)
	v_and_b32_e32 v51, 7, v116
; %bb.229:                              ;   in Loop: Header=BB230_13 Depth=1
	s_or_b32 exec_lo, exec_lo, s55
	v_lshlrev_b32_e32 v114, 24, v115
	s_delay_alu instid0(VALU_DEP_2) | instskip(SKIP_1) | instid1(VALU_DEP_3)
	v_lshlrev_b32_e32 v51, 20, v51
	v_lshl_add_u32 v113, v113, 23, 0x3c000000
	v_and_b32_e32 v114, 0x80000000, v114
	s_delay_alu instid0(VALU_DEP_1) | instskip(NEXT) | instid1(VALU_DEP_1)
	v_or3_b32 v51, v51, v114, v113
	v_dual_mov_b32 v114, v52 :: v_dual_mov_b32 v113, v51
.LBB230_230:                            ;   in Loop: Header=BB230_13 Depth=1
	s_or_b32 exec_lo, exec_lo, s54
.LBB230_231:                            ;   in Loop: Header=BB230_13 Depth=1
	s_delay_alu instid0(SALU_CYCLE_1)
	s_or_b32 exec_lo, exec_lo, s53
.LBB230_232:                            ;   in Loop: Header=BB230_13 Depth=1
	s_delay_alu instid0(SALU_CYCLE_1) | instskip(SKIP_2) | instid1(VALU_DEP_1)
	s_or_b32 exec_lo, exec_lo, s40
	v_lshrrev_b16 v51, 8, v115
	s_mov_b32 s53, exec_lo
	v_cmpx_ne_u16_e32 0, v51
	s_cbranch_execz .LBB230_240
; %bb.233:                              ;   in Loop: Header=BB230_13 Depth=1
	v_dual_mov_b32 v112, s11 :: v_dual_mov_b32 v111, s10
	s_mov_b32 s54, exec_lo
	v_cmpx_ne_u16_e32 0x80, v51
	s_cbranch_execz .LBB230_239
; %bb.234:                              ;   in Loop: Header=BB230_13 Depth=1
	s_mov_b32 s40, s10
	v_dual_mov_b32 v112, s41 :: v_dual_and_b32 v51, 0xffff, v51
	v_mov_b32_e32 v111, s40
	s_mov_b32 s40, exec_lo
	s_delay_alu instid0(VALU_DEP_2) | instskip(NEXT) | instid1(VALU_DEP_1)
	v_and_b32_e32 v116, 0x7f, v51
	v_cmpx_ne_u32_e32 0x7f, v116
	s_cbranch_execz .LBB230_238
; %bb.235:                              ;   in Loop: Header=BB230_13 Depth=1
	v_and_b32_e32 v51, 7, v51
	v_lshrrev_b32_e32 v111, 3, v116
	s_mov_b32 s55, exec_lo
	v_cmpx_gt_u32_e32 8, v116
; %bb.236:                              ;   in Loop: Header=BB230_13 Depth=1
	s_delay_alu instid0(VALU_DEP_3) | instskip(NEXT) | instid1(VALU_DEP_1)
	v_clz_i32_u32_e32 v111, v51
	v_min_u32_e32 v111, 32, v111
	s_delay_alu instid0(VALU_DEP_1) | instskip(SKIP_1) | instid1(VALU_DEP_2)
	v_subrev_nc_u32_e32 v112, 28, v111
	v_sub_nc_u32_e32 v111, 29, v111
	v_lshlrev_b64 v[116:117], v112, v[51:52]
	s_delay_alu instid0(VALU_DEP_1)
	v_and_b32_e32 v51, 7, v116
; %bb.237:                              ;   in Loop: Header=BB230_13 Depth=1
	s_or_b32 exec_lo, exec_lo, s55
	v_lshlrev_b32_e32 v112, 16, v115
	s_delay_alu instid0(VALU_DEP_2) | instskip(SKIP_1) | instid1(VALU_DEP_3)
	v_lshlrev_b32_e32 v51, 20, v51
	v_lshl_add_u32 v111, v111, 23, 0x3c000000
	v_and_b32_e32 v112, 0x80000000, v112
	s_delay_alu instid0(VALU_DEP_1)
	v_or3_b32 v112, v51, v112, v111
	v_mov_b32_e32 v111, v52
.LBB230_238:                            ;   in Loop: Header=BB230_13 Depth=1
	s_or_b32 exec_lo, exec_lo, s40
.LBB230_239:                            ;   in Loop: Header=BB230_13 Depth=1
	s_delay_alu instid0(SALU_CYCLE_1)
	s_or_b32 exec_lo, exec_lo, s54
.LBB230_240:                            ;   in Loop: Header=BB230_13 Depth=1
	s_delay_alu instid0(SALU_CYCLE_1) | instskip(SKIP_1) | instid1(VALU_DEP_1)
	s_or_b32 exec_lo, exec_lo, s53
	v_add_co_u32 v119, s1, 0x300, v69
	v_add_co_ci_u32_e64 v120, s1, 0, v70, s1
	v_mov_b32_e32 v115, 0
	global_load_u16 v51, v[119:120], off offset:8
	s_waitcnt vmcnt(0)
	v_dual_mov_b32 v116, 0 :: v_dual_and_b32 v117, 0xff, v51
	v_and_b32_e32 v121, 0xffff, v51
	s_delay_alu instid0(VALU_DEP_2) | instskip(NEXT) | instid1(VALU_DEP_3)
	v_cmp_ne_u16_e64 s1, 0, v117
	v_dual_mov_b32 v118, v116 :: v_dual_mov_b32 v117, v115
	s_delay_alu instid0(VALU_DEP_2)
	s_and_saveexec_b32 s40, s1
	s_cbranch_execz .LBB230_248
; %bb.241:                              ;   in Loop: Header=BB230_13 Depth=1
	v_bfrev_b32_e32 v117, 1
	v_dual_mov_b32 v118, 0 :: v_dual_and_b32 v51, 0xff, v121
	s_mov_b32 s53, exec_lo
	s_delay_alu instid0(VALU_DEP_1)
	v_cmpx_ne_u16_e32 0x80, v51
	s_cbranch_execz .LBB230_247
; %bb.242:                              ;   in Loop: Header=BB230_13 Depth=1
	v_mov_b32_e32 v117, 0x7f800001
	v_and_b32_e32 v122, 0x7f, v121
	v_mov_b32_e32 v118, 0
	s_mov_b32 s54, exec_lo
	s_delay_alu instid0(VALU_DEP_2)
	v_cmpx_ne_u32_e32 0x7f, v122
	s_cbranch_execz .LBB230_246
; %bb.243:                              ;   in Loop: Header=BB230_13 Depth=1
	v_and_b32_e32 v51, 7, v121
	v_lshrrev_b32_e32 v117, 3, v122
	s_mov_b32 s55, exec_lo
	v_cmpx_gt_u32_e32 8, v122
; %bb.244:                              ;   in Loop: Header=BB230_13 Depth=1
	s_delay_alu instid0(VALU_DEP_3) | instskip(NEXT) | instid1(VALU_DEP_1)
	v_clz_i32_u32_e32 v117, v51
	v_min_u32_e32 v117, 32, v117
	s_delay_alu instid0(VALU_DEP_1) | instskip(SKIP_1) | instid1(VALU_DEP_2)
	v_subrev_nc_u32_e32 v118, 28, v117
	v_sub_nc_u32_e32 v117, 29, v117
	v_lshlrev_b64 v[122:123], v118, v[51:52]
	s_delay_alu instid0(VALU_DEP_1)
	v_and_b32_e32 v51, 7, v122
; %bb.245:                              ;   in Loop: Header=BB230_13 Depth=1
	s_or_b32 exec_lo, exec_lo, s55
	v_lshlrev_b32_e32 v118, 24, v121
	s_delay_alu instid0(VALU_DEP_2) | instskip(SKIP_1) | instid1(VALU_DEP_3)
	v_lshlrev_b32_e32 v51, 20, v51
	v_lshl_add_u32 v117, v117, 23, 0x3c000000
	v_and_b32_e32 v118, 0x80000000, v118
	s_delay_alu instid0(VALU_DEP_1) | instskip(NEXT) | instid1(VALU_DEP_1)
	v_or3_b32 v51, v51, v118, v117
	v_dual_mov_b32 v118, v52 :: v_dual_mov_b32 v117, v51
.LBB230_246:                            ;   in Loop: Header=BB230_13 Depth=1
	s_or_b32 exec_lo, exec_lo, s54
.LBB230_247:                            ;   in Loop: Header=BB230_13 Depth=1
	s_delay_alu instid0(SALU_CYCLE_1)
	s_or_b32 exec_lo, exec_lo, s53
.LBB230_248:                            ;   in Loop: Header=BB230_13 Depth=1
	s_delay_alu instid0(SALU_CYCLE_1) | instskip(SKIP_2) | instid1(VALU_DEP_1)
	s_or_b32 exec_lo, exec_lo, s40
	v_lshrrev_b16 v51, 8, v121
	s_mov_b32 s53, exec_lo
	v_cmpx_ne_u16_e32 0, v51
	s_cbranch_execz .LBB230_256
; %bb.249:                              ;   in Loop: Header=BB230_13 Depth=1
	v_dual_mov_b32 v116, s11 :: v_dual_mov_b32 v115, s10
	s_mov_b32 s54, exec_lo
	v_cmpx_ne_u16_e32 0x80, v51
	s_cbranch_execz .LBB230_255
; %bb.250:                              ;   in Loop: Header=BB230_13 Depth=1
	s_mov_b32 s40, s10
	v_dual_mov_b32 v116, s41 :: v_dual_and_b32 v51, 0xffff, v51
	v_mov_b32_e32 v115, s40
	s_mov_b32 s40, exec_lo
	s_delay_alu instid0(VALU_DEP_2) | instskip(NEXT) | instid1(VALU_DEP_1)
	v_and_b32_e32 v122, 0x7f, v51
	v_cmpx_ne_u32_e32 0x7f, v122
	s_cbranch_execz .LBB230_254
; %bb.251:                              ;   in Loop: Header=BB230_13 Depth=1
	v_and_b32_e32 v51, 7, v51
	v_lshrrev_b32_e32 v115, 3, v122
	s_mov_b32 s55, exec_lo
	v_cmpx_gt_u32_e32 8, v122
; %bb.252:                              ;   in Loop: Header=BB230_13 Depth=1
	s_delay_alu instid0(VALU_DEP_3) | instskip(NEXT) | instid1(VALU_DEP_1)
	v_clz_i32_u32_e32 v115, v51
	v_min_u32_e32 v115, 32, v115
	s_delay_alu instid0(VALU_DEP_1) | instskip(SKIP_1) | instid1(VALU_DEP_2)
	v_subrev_nc_u32_e32 v116, 28, v115
	v_sub_nc_u32_e32 v115, 29, v115
	v_lshlrev_b64 v[122:123], v116, v[51:52]
	s_delay_alu instid0(VALU_DEP_1)
	v_and_b32_e32 v51, 7, v122
; %bb.253:                              ;   in Loop: Header=BB230_13 Depth=1
	s_or_b32 exec_lo, exec_lo, s55
	v_lshlrev_b32_e32 v116, 16, v121
	s_delay_alu instid0(VALU_DEP_2) | instskip(SKIP_1) | instid1(VALU_DEP_3)
	v_lshlrev_b32_e32 v51, 20, v51
	v_lshl_add_u32 v115, v115, 23, 0x3c000000
	v_and_b32_e32 v116, 0x80000000, v116
	s_delay_alu instid0(VALU_DEP_1)
	v_or3_b32 v116, v51, v116, v115
	v_mov_b32_e32 v115, v52
.LBB230_254:                            ;   in Loop: Header=BB230_13 Depth=1
	s_or_b32 exec_lo, exec_lo, s40
.LBB230_255:                            ;   in Loop: Header=BB230_13 Depth=1
	s_delay_alu instid0(SALU_CYCLE_1)
	s_or_b32 exec_lo, exec_lo, s54
.LBB230_256:                            ;   in Loop: Header=BB230_13 Depth=1
	s_delay_alu instid0(SALU_CYCLE_1)
	s_or_b32 exec_lo, exec_lo, s53
	global_load_u16 v51, v[119:120], off offset:12
	v_mov_b32_e32 v119, 0
	s_waitcnt vmcnt(0)
	v_dual_mov_b32 v120, 0 :: v_dual_and_b32 v121, 0xff, v51
	v_and_b32_e32 v123, 0xffff, v51
	s_delay_alu instid0(VALU_DEP_2) | instskip(NEXT) | instid1(VALU_DEP_3)
	v_cmp_ne_u16_e64 s1, 0, v121
	v_dual_mov_b32 v122, v120 :: v_dual_mov_b32 v121, v119
	s_delay_alu instid0(VALU_DEP_2)
	s_and_saveexec_b32 s40, s1
	s_cbranch_execz .LBB230_264
; %bb.257:                              ;   in Loop: Header=BB230_13 Depth=1
	v_bfrev_b32_e32 v121, 1
	v_dual_mov_b32 v122, 0 :: v_dual_and_b32 v51, 0xff, v123
	s_mov_b32 s53, exec_lo
	s_delay_alu instid0(VALU_DEP_1)
	v_cmpx_ne_u16_e32 0x80, v51
	s_cbranch_execz .LBB230_263
; %bb.258:                              ;   in Loop: Header=BB230_13 Depth=1
	v_mov_b32_e32 v121, 0x7f800001
	v_and_b32_e32 v124, 0x7f, v123
	v_mov_b32_e32 v122, 0
	s_mov_b32 s54, exec_lo
	s_delay_alu instid0(VALU_DEP_2)
	v_cmpx_ne_u32_e32 0x7f, v124
	s_cbranch_execz .LBB230_262
; %bb.259:                              ;   in Loop: Header=BB230_13 Depth=1
	v_and_b32_e32 v51, 7, v123
	v_lshrrev_b32_e32 v121, 3, v124
	s_mov_b32 s55, exec_lo
	v_cmpx_gt_u32_e32 8, v124
; %bb.260:                              ;   in Loop: Header=BB230_13 Depth=1
	s_delay_alu instid0(VALU_DEP_3) | instskip(NEXT) | instid1(VALU_DEP_1)
	v_clz_i32_u32_e32 v121, v51
	v_min_u32_e32 v121, 32, v121
	s_delay_alu instid0(VALU_DEP_1) | instskip(SKIP_1) | instid1(VALU_DEP_2)
	v_subrev_nc_u32_e32 v122, 28, v121
	v_sub_nc_u32_e32 v121, 29, v121
	v_lshlrev_b64 v[124:125], v122, v[51:52]
	s_delay_alu instid0(VALU_DEP_1)
	v_and_b32_e32 v51, 7, v124
; %bb.261:                              ;   in Loop: Header=BB230_13 Depth=1
	s_or_b32 exec_lo, exec_lo, s55
	v_lshlrev_b32_e32 v122, 24, v123
	s_delay_alu instid0(VALU_DEP_2) | instskip(SKIP_1) | instid1(VALU_DEP_3)
	v_lshlrev_b32_e32 v51, 20, v51
	v_lshl_add_u32 v121, v121, 23, 0x3c000000
	v_and_b32_e32 v122, 0x80000000, v122
	s_delay_alu instid0(VALU_DEP_1) | instskip(NEXT) | instid1(VALU_DEP_1)
	v_or3_b32 v51, v51, v122, v121
	v_dual_mov_b32 v122, v52 :: v_dual_mov_b32 v121, v51
.LBB230_262:                            ;   in Loop: Header=BB230_13 Depth=1
	s_or_b32 exec_lo, exec_lo, s54
.LBB230_263:                            ;   in Loop: Header=BB230_13 Depth=1
	s_delay_alu instid0(SALU_CYCLE_1)
	s_or_b32 exec_lo, exec_lo, s53
.LBB230_264:                            ;   in Loop: Header=BB230_13 Depth=1
	s_delay_alu instid0(SALU_CYCLE_1) | instskip(SKIP_2) | instid1(VALU_DEP_1)
	s_or_b32 exec_lo, exec_lo, s40
	v_lshrrev_b16 v51, 8, v123
	s_mov_b32 s53, exec_lo
	v_cmpx_ne_u16_e32 0, v51
	s_cbranch_execz .LBB230_272
; %bb.265:                              ;   in Loop: Header=BB230_13 Depth=1
	v_dual_mov_b32 v120, s11 :: v_dual_mov_b32 v119, s10
	s_mov_b32 s54, exec_lo
	v_cmpx_ne_u16_e32 0x80, v51
	s_cbranch_execz .LBB230_271
; %bb.266:                              ;   in Loop: Header=BB230_13 Depth=1
	s_mov_b32 s40, s10
	v_dual_mov_b32 v120, s41 :: v_dual_and_b32 v51, 0xffff, v51
	v_mov_b32_e32 v119, s40
	s_mov_b32 s40, exec_lo
	s_delay_alu instid0(VALU_DEP_2) | instskip(NEXT) | instid1(VALU_DEP_1)
	v_and_b32_e32 v124, 0x7f, v51
	v_cmpx_ne_u32_e32 0x7f, v124
	s_cbranch_execz .LBB230_270
; %bb.267:                              ;   in Loop: Header=BB230_13 Depth=1
	v_and_b32_e32 v51, 7, v51
	v_lshrrev_b32_e32 v119, 3, v124
	s_mov_b32 s55, exec_lo
	v_cmpx_gt_u32_e32 8, v124
; %bb.268:                              ;   in Loop: Header=BB230_13 Depth=1
	s_delay_alu instid0(VALU_DEP_3) | instskip(NEXT) | instid1(VALU_DEP_1)
	v_clz_i32_u32_e32 v119, v51
	v_min_u32_e32 v119, 32, v119
	s_delay_alu instid0(VALU_DEP_1) | instskip(SKIP_1) | instid1(VALU_DEP_2)
	v_subrev_nc_u32_e32 v120, 28, v119
	v_sub_nc_u32_e32 v119, 29, v119
	v_lshlrev_b64 v[124:125], v120, v[51:52]
	s_delay_alu instid0(VALU_DEP_1)
	v_and_b32_e32 v51, 7, v124
; %bb.269:                              ;   in Loop: Header=BB230_13 Depth=1
	s_or_b32 exec_lo, exec_lo, s55
	v_lshlrev_b32_e32 v120, 16, v123
	s_delay_alu instid0(VALU_DEP_2) | instskip(SKIP_1) | instid1(VALU_DEP_3)
	v_lshlrev_b32_e32 v51, 20, v51
	v_lshl_add_u32 v119, v119, 23, 0x3c000000
	v_and_b32_e32 v120, 0x80000000, v120
	s_delay_alu instid0(VALU_DEP_1)
	v_or3_b32 v120, v51, v120, v119
	v_mov_b32_e32 v119, v52
.LBB230_270:                            ;   in Loop: Header=BB230_13 Depth=1
	s_or_b32 exec_lo, exec_lo, s40
.LBB230_271:                            ;   in Loop: Header=BB230_13 Depth=1
	s_delay_alu instid0(SALU_CYCLE_1)
	s_or_b32 exec_lo, exec_lo, s54
.LBB230_272:                            ;   in Loop: Header=BB230_13 Depth=1
	s_delay_alu instid0(SALU_CYCLE_1)
	s_or_b32 exec_lo, exec_lo, s53
	global_load_u16 v51, v[69:70], off offset:1024
	v_mov_b32_e32 v123, 0
	s_waitcnt vmcnt(0)
	v_dual_mov_b32 v124, 0 :: v_dual_and_b32 v125, 0xff, v51
	v_and_b32_e32 v127, 0xffff, v51
	s_delay_alu instid0(VALU_DEP_2) | instskip(NEXT) | instid1(VALU_DEP_3)
	v_cmp_ne_u16_e64 s1, 0, v125
	v_dual_mov_b32 v126, v124 :: v_dual_mov_b32 v125, v123
	s_delay_alu instid0(VALU_DEP_2)
	s_and_saveexec_b32 s40, s1
	s_cbranch_execz .LBB230_280
; %bb.273:                              ;   in Loop: Header=BB230_13 Depth=1
	v_bfrev_b32_e32 v125, 1
	v_dual_mov_b32 v126, 0 :: v_dual_and_b32 v51, 0xff, v127
	s_mov_b32 s53, exec_lo
	s_delay_alu instid0(VALU_DEP_1)
	v_cmpx_ne_u16_e32 0x80, v51
	s_cbranch_execz .LBB230_279
; %bb.274:                              ;   in Loop: Header=BB230_13 Depth=1
	v_mov_b32_e32 v125, 0x7f800001
	v_and_b32_e32 v128, 0x7f, v127
	v_mov_b32_e32 v126, 0
	s_mov_b32 s54, exec_lo
	s_delay_alu instid0(VALU_DEP_2)
	v_cmpx_ne_u32_e32 0x7f, v128
	s_cbranch_execz .LBB230_278
; %bb.275:                              ;   in Loop: Header=BB230_13 Depth=1
	v_and_b32_e32 v51, 7, v127
	v_lshrrev_b32_e32 v125, 3, v128
	s_mov_b32 s55, exec_lo
	v_cmpx_gt_u32_e32 8, v128
; %bb.276:                              ;   in Loop: Header=BB230_13 Depth=1
	s_delay_alu instid0(VALU_DEP_3) | instskip(NEXT) | instid1(VALU_DEP_1)
	v_clz_i32_u32_e32 v125, v51
	v_min_u32_e32 v125, 32, v125
	s_delay_alu instid0(VALU_DEP_1) | instskip(SKIP_1) | instid1(VALU_DEP_2)
	v_subrev_nc_u32_e32 v126, 28, v125
	v_sub_nc_u32_e32 v125, 29, v125
	v_lshlrev_b64 v[128:129], v126, v[51:52]
	s_delay_alu instid0(VALU_DEP_1)
	v_and_b32_e32 v51, 7, v128
; %bb.277:                              ;   in Loop: Header=BB230_13 Depth=1
	s_or_b32 exec_lo, exec_lo, s55
	v_lshlrev_b32_e32 v126, 24, v127
	s_delay_alu instid0(VALU_DEP_2) | instskip(SKIP_1) | instid1(VALU_DEP_3)
	v_lshlrev_b32_e32 v51, 20, v51
	v_lshl_add_u32 v125, v125, 23, 0x3c000000
	v_and_b32_e32 v126, 0x80000000, v126
	s_delay_alu instid0(VALU_DEP_1) | instskip(NEXT) | instid1(VALU_DEP_1)
	v_or3_b32 v51, v51, v126, v125
	v_dual_mov_b32 v126, v52 :: v_dual_mov_b32 v125, v51
.LBB230_278:                            ;   in Loop: Header=BB230_13 Depth=1
	s_or_b32 exec_lo, exec_lo, s54
.LBB230_279:                            ;   in Loop: Header=BB230_13 Depth=1
	s_delay_alu instid0(SALU_CYCLE_1)
	s_or_b32 exec_lo, exec_lo, s53
.LBB230_280:                            ;   in Loop: Header=BB230_13 Depth=1
	s_delay_alu instid0(SALU_CYCLE_1) | instskip(SKIP_2) | instid1(VALU_DEP_1)
	s_or_b32 exec_lo, exec_lo, s40
	v_lshrrev_b16 v51, 8, v127
	s_mov_b32 s53, exec_lo
	v_cmpx_ne_u16_e32 0, v51
	s_cbranch_execz .LBB230_288
; %bb.281:                              ;   in Loop: Header=BB230_13 Depth=1
	v_dual_mov_b32 v124, s11 :: v_dual_mov_b32 v123, s10
	s_mov_b32 s54, exec_lo
	v_cmpx_ne_u16_e32 0x80, v51
	s_cbranch_execz .LBB230_287
; %bb.282:                              ;   in Loop: Header=BB230_13 Depth=1
	s_mov_b32 s40, s10
	v_dual_mov_b32 v124, s41 :: v_dual_and_b32 v51, 0xffff, v51
	v_mov_b32_e32 v123, s40
	s_mov_b32 s40, exec_lo
	s_delay_alu instid0(VALU_DEP_2) | instskip(NEXT) | instid1(VALU_DEP_1)
	v_and_b32_e32 v128, 0x7f, v51
	v_cmpx_ne_u32_e32 0x7f, v128
	s_cbranch_execz .LBB230_286
; %bb.283:                              ;   in Loop: Header=BB230_13 Depth=1
	v_and_b32_e32 v51, 7, v51
	v_lshrrev_b32_e32 v123, 3, v128
	s_mov_b32 s55, exec_lo
	v_cmpx_gt_u32_e32 8, v128
; %bb.284:                              ;   in Loop: Header=BB230_13 Depth=1
	s_delay_alu instid0(VALU_DEP_3) | instskip(NEXT) | instid1(VALU_DEP_1)
	v_clz_i32_u32_e32 v123, v51
	v_min_u32_e32 v123, 32, v123
	s_delay_alu instid0(VALU_DEP_1) | instskip(SKIP_1) | instid1(VALU_DEP_2)
	v_subrev_nc_u32_e32 v124, 28, v123
	v_sub_nc_u32_e32 v123, 29, v123
	v_lshlrev_b64 v[128:129], v124, v[51:52]
	s_delay_alu instid0(VALU_DEP_1)
	v_and_b32_e32 v51, 7, v128
; %bb.285:                              ;   in Loop: Header=BB230_13 Depth=1
	s_or_b32 exec_lo, exec_lo, s55
	v_lshlrev_b32_e32 v124, 16, v127
	s_delay_alu instid0(VALU_DEP_2) | instskip(SKIP_1) | instid1(VALU_DEP_3)
	v_lshlrev_b32_e32 v51, 20, v51
	v_lshl_add_u32 v123, v123, 23, 0x3c000000
	v_and_b32_e32 v124, 0x80000000, v124
	s_delay_alu instid0(VALU_DEP_1)
	v_or3_b32 v124, v51, v124, v123
	v_mov_b32_e32 v123, v52
.LBB230_286:                            ;   in Loop: Header=BB230_13 Depth=1
	s_or_b32 exec_lo, exec_lo, s40
.LBB230_287:                            ;   in Loop: Header=BB230_13 Depth=1
	s_delay_alu instid0(SALU_CYCLE_1)
	s_or_b32 exec_lo, exec_lo, s54
.LBB230_288:                            ;   in Loop: Header=BB230_13 Depth=1
	s_delay_alu instid0(SALU_CYCLE_1)
	s_or_b32 exec_lo, exec_lo, s53
	global_load_u16 v51, v[69:70], off offset:1028
	v_mov_b32_e32 v127, 0
	s_waitcnt vmcnt(0)
	v_dual_mov_b32 v128, 0 :: v_dual_and_b32 v129, 0xff, v51
	v_and_b32_e32 v131, 0xffff, v51
	s_delay_alu instid0(VALU_DEP_2) | instskip(NEXT) | instid1(VALU_DEP_3)
	v_cmp_ne_u16_e64 s1, 0, v129
	v_dual_mov_b32 v130, v128 :: v_dual_mov_b32 v129, v127
	s_delay_alu instid0(VALU_DEP_2)
	s_and_saveexec_b32 s40, s1
	s_cbranch_execz .LBB230_296
; %bb.289:                              ;   in Loop: Header=BB230_13 Depth=1
	v_bfrev_b32_e32 v129, 1
	v_dual_mov_b32 v130, 0 :: v_dual_and_b32 v51, 0xff, v131
	s_mov_b32 s53, exec_lo
	s_delay_alu instid0(VALU_DEP_1)
	v_cmpx_ne_u16_e32 0x80, v51
	s_cbranch_execz .LBB230_295
; %bb.290:                              ;   in Loop: Header=BB230_13 Depth=1
	v_mov_b32_e32 v129, 0x7f800001
	v_and_b32_e32 v132, 0x7f, v131
	v_mov_b32_e32 v130, 0
	s_mov_b32 s54, exec_lo
	s_delay_alu instid0(VALU_DEP_2)
	v_cmpx_ne_u32_e32 0x7f, v132
	s_cbranch_execz .LBB230_294
; %bb.291:                              ;   in Loop: Header=BB230_13 Depth=1
	v_and_b32_e32 v51, 7, v131
	v_lshrrev_b32_e32 v129, 3, v132
	s_mov_b32 s55, exec_lo
	v_cmpx_gt_u32_e32 8, v132
; %bb.292:                              ;   in Loop: Header=BB230_13 Depth=1
	s_delay_alu instid0(VALU_DEP_3) | instskip(NEXT) | instid1(VALU_DEP_1)
	v_clz_i32_u32_e32 v129, v51
	v_min_u32_e32 v129, 32, v129
	s_delay_alu instid0(VALU_DEP_1) | instskip(SKIP_1) | instid1(VALU_DEP_2)
	v_subrev_nc_u32_e32 v130, 28, v129
	v_sub_nc_u32_e32 v129, 29, v129
	v_lshlrev_b64 v[132:133], v130, v[51:52]
	s_delay_alu instid0(VALU_DEP_1)
	v_and_b32_e32 v51, 7, v132
; %bb.293:                              ;   in Loop: Header=BB230_13 Depth=1
	s_or_b32 exec_lo, exec_lo, s55
	v_lshlrev_b32_e32 v130, 24, v131
	s_delay_alu instid0(VALU_DEP_2) | instskip(SKIP_1) | instid1(VALU_DEP_3)
	v_lshlrev_b32_e32 v51, 20, v51
	v_lshl_add_u32 v129, v129, 23, 0x3c000000
	v_and_b32_e32 v130, 0x80000000, v130
	s_delay_alu instid0(VALU_DEP_1) | instskip(NEXT) | instid1(VALU_DEP_1)
	v_or3_b32 v51, v51, v130, v129
	v_dual_mov_b32 v130, v52 :: v_dual_mov_b32 v129, v51
.LBB230_294:                            ;   in Loop: Header=BB230_13 Depth=1
	s_or_b32 exec_lo, exec_lo, s54
.LBB230_295:                            ;   in Loop: Header=BB230_13 Depth=1
	s_delay_alu instid0(SALU_CYCLE_1)
	s_or_b32 exec_lo, exec_lo, s53
.LBB230_296:                            ;   in Loop: Header=BB230_13 Depth=1
	s_delay_alu instid0(SALU_CYCLE_1) | instskip(SKIP_2) | instid1(VALU_DEP_1)
	s_or_b32 exec_lo, exec_lo, s40
	v_lshrrev_b16 v51, 8, v131
	s_mov_b32 s53, exec_lo
	v_cmpx_ne_u16_e32 0, v51
	s_cbranch_execz .LBB230_304
; %bb.297:                              ;   in Loop: Header=BB230_13 Depth=1
	v_dual_mov_b32 v128, s11 :: v_dual_mov_b32 v127, s10
	s_mov_b32 s54, exec_lo
	v_cmpx_ne_u16_e32 0x80, v51
	s_cbranch_execz .LBB230_303
; %bb.298:                              ;   in Loop: Header=BB230_13 Depth=1
	s_mov_b32 s40, s10
	v_dual_mov_b32 v128, s41 :: v_dual_and_b32 v51, 0xffff, v51
	v_mov_b32_e32 v127, s40
	s_mov_b32 s40, exec_lo
	s_delay_alu instid0(VALU_DEP_2) | instskip(NEXT) | instid1(VALU_DEP_1)
	v_and_b32_e32 v132, 0x7f, v51
	v_cmpx_ne_u32_e32 0x7f, v132
	s_cbranch_execz .LBB230_302
; %bb.299:                              ;   in Loop: Header=BB230_13 Depth=1
	v_and_b32_e32 v51, 7, v51
	v_lshrrev_b32_e32 v127, 3, v132
	s_mov_b32 s55, exec_lo
	v_cmpx_gt_u32_e32 8, v132
; %bb.300:                              ;   in Loop: Header=BB230_13 Depth=1
	s_delay_alu instid0(VALU_DEP_3) | instskip(NEXT) | instid1(VALU_DEP_1)
	v_clz_i32_u32_e32 v127, v51
	v_min_u32_e32 v127, 32, v127
	s_delay_alu instid0(VALU_DEP_1) | instskip(SKIP_1) | instid1(VALU_DEP_2)
	v_subrev_nc_u32_e32 v128, 28, v127
	v_sub_nc_u32_e32 v127, 29, v127
	v_lshlrev_b64 v[132:133], v128, v[51:52]
	s_delay_alu instid0(VALU_DEP_1)
	v_and_b32_e32 v51, 7, v132
; %bb.301:                              ;   in Loop: Header=BB230_13 Depth=1
	s_or_b32 exec_lo, exec_lo, s55
	v_lshlrev_b32_e32 v128, 16, v131
	s_delay_alu instid0(VALU_DEP_2) | instskip(SKIP_1) | instid1(VALU_DEP_3)
	v_lshlrev_b32_e32 v51, 20, v51
	v_lshl_add_u32 v127, v127, 23, 0x3c000000
	v_and_b32_e32 v128, 0x80000000, v128
	s_delay_alu instid0(VALU_DEP_1)
	v_or3_b32 v128, v51, v128, v127
	v_mov_b32_e32 v127, v52
.LBB230_302:                            ;   in Loop: Header=BB230_13 Depth=1
	s_or_b32 exec_lo, exec_lo, s40
.LBB230_303:                            ;   in Loop: Header=BB230_13 Depth=1
	s_delay_alu instid0(SALU_CYCLE_1)
	s_or_b32 exec_lo, exec_lo, s54
.LBB230_304:                            ;   in Loop: Header=BB230_13 Depth=1
	s_delay_alu instid0(SALU_CYCLE_1) | instskip(SKIP_1) | instid1(VALU_DEP_1)
	s_or_b32 exec_lo, exec_lo, s53
	v_add_co_u32 v135, s1, 0x400, v69
	v_add_co_ci_u32_e64 v136, s1, 0, v70, s1
	v_mov_b32_e32 v131, 0
	global_load_u16 v51, v[135:136], off offset:8
	s_waitcnt vmcnt(0)
	v_dual_mov_b32 v132, 0 :: v_dual_and_b32 v133, 0xff, v51
	v_and_b32_e32 v137, 0xffff, v51
	s_delay_alu instid0(VALU_DEP_2) | instskip(NEXT) | instid1(VALU_DEP_3)
	v_cmp_ne_u16_e64 s1, 0, v133
	v_dual_mov_b32 v134, v132 :: v_dual_mov_b32 v133, v131
	s_delay_alu instid0(VALU_DEP_2)
	s_and_saveexec_b32 s40, s1
	s_cbranch_execz .LBB230_312
; %bb.305:                              ;   in Loop: Header=BB230_13 Depth=1
	v_bfrev_b32_e32 v133, 1
	v_dual_mov_b32 v134, 0 :: v_dual_and_b32 v51, 0xff, v137
	s_mov_b32 s53, exec_lo
	s_delay_alu instid0(VALU_DEP_1)
	v_cmpx_ne_u16_e32 0x80, v51
	s_cbranch_execz .LBB230_311
; %bb.306:                              ;   in Loop: Header=BB230_13 Depth=1
	v_mov_b32_e32 v133, 0x7f800001
	v_and_b32_e32 v138, 0x7f, v137
	v_mov_b32_e32 v134, 0
	s_mov_b32 s54, exec_lo
	s_delay_alu instid0(VALU_DEP_2)
	v_cmpx_ne_u32_e32 0x7f, v138
	s_cbranch_execz .LBB230_310
; %bb.307:                              ;   in Loop: Header=BB230_13 Depth=1
	v_and_b32_e32 v51, 7, v137
	v_lshrrev_b32_e32 v133, 3, v138
	s_mov_b32 s55, exec_lo
	v_cmpx_gt_u32_e32 8, v138
; %bb.308:                              ;   in Loop: Header=BB230_13 Depth=1
	s_delay_alu instid0(VALU_DEP_3) | instskip(NEXT) | instid1(VALU_DEP_1)
	v_clz_i32_u32_e32 v133, v51
	v_min_u32_e32 v133, 32, v133
	s_delay_alu instid0(VALU_DEP_1) | instskip(SKIP_1) | instid1(VALU_DEP_2)
	v_subrev_nc_u32_e32 v134, 28, v133
	v_sub_nc_u32_e32 v133, 29, v133
	v_lshlrev_b64 v[138:139], v134, v[51:52]
	s_delay_alu instid0(VALU_DEP_1)
	v_and_b32_e32 v51, 7, v138
; %bb.309:                              ;   in Loop: Header=BB230_13 Depth=1
	s_or_b32 exec_lo, exec_lo, s55
	v_lshlrev_b32_e32 v134, 24, v137
	s_delay_alu instid0(VALU_DEP_2) | instskip(SKIP_1) | instid1(VALU_DEP_3)
	v_lshlrev_b32_e32 v51, 20, v51
	v_lshl_add_u32 v133, v133, 23, 0x3c000000
	v_and_b32_e32 v134, 0x80000000, v134
	s_delay_alu instid0(VALU_DEP_1) | instskip(NEXT) | instid1(VALU_DEP_1)
	v_or3_b32 v51, v51, v134, v133
	v_dual_mov_b32 v134, v52 :: v_dual_mov_b32 v133, v51
.LBB230_310:                            ;   in Loop: Header=BB230_13 Depth=1
	s_or_b32 exec_lo, exec_lo, s54
.LBB230_311:                            ;   in Loop: Header=BB230_13 Depth=1
	s_delay_alu instid0(SALU_CYCLE_1)
	s_or_b32 exec_lo, exec_lo, s53
.LBB230_312:                            ;   in Loop: Header=BB230_13 Depth=1
	s_delay_alu instid0(SALU_CYCLE_1) | instskip(SKIP_2) | instid1(VALU_DEP_1)
	s_or_b32 exec_lo, exec_lo, s40
	v_lshrrev_b16 v51, 8, v137
	s_mov_b32 s53, exec_lo
	v_cmpx_ne_u16_e32 0, v51
	s_cbranch_execz .LBB230_320
; %bb.313:                              ;   in Loop: Header=BB230_13 Depth=1
	v_dual_mov_b32 v132, s11 :: v_dual_mov_b32 v131, s10
	s_mov_b32 s54, exec_lo
	v_cmpx_ne_u16_e32 0x80, v51
	s_cbranch_execz .LBB230_319
; %bb.314:                              ;   in Loop: Header=BB230_13 Depth=1
	s_mov_b32 s40, s10
	v_dual_mov_b32 v132, s41 :: v_dual_and_b32 v51, 0xffff, v51
	v_mov_b32_e32 v131, s40
	s_mov_b32 s40, exec_lo
	s_delay_alu instid0(VALU_DEP_2) | instskip(NEXT) | instid1(VALU_DEP_1)
	v_and_b32_e32 v138, 0x7f, v51
	v_cmpx_ne_u32_e32 0x7f, v138
	s_cbranch_execz .LBB230_318
; %bb.315:                              ;   in Loop: Header=BB230_13 Depth=1
	v_and_b32_e32 v51, 7, v51
	v_lshrrev_b32_e32 v131, 3, v138
	s_mov_b32 s55, exec_lo
	v_cmpx_gt_u32_e32 8, v138
; %bb.316:                              ;   in Loop: Header=BB230_13 Depth=1
	s_delay_alu instid0(VALU_DEP_3) | instskip(NEXT) | instid1(VALU_DEP_1)
	v_clz_i32_u32_e32 v131, v51
	v_min_u32_e32 v131, 32, v131
	s_delay_alu instid0(VALU_DEP_1) | instskip(SKIP_1) | instid1(VALU_DEP_2)
	v_subrev_nc_u32_e32 v132, 28, v131
	v_sub_nc_u32_e32 v131, 29, v131
	v_lshlrev_b64 v[138:139], v132, v[51:52]
	s_delay_alu instid0(VALU_DEP_1)
	v_and_b32_e32 v51, 7, v138
; %bb.317:                              ;   in Loop: Header=BB230_13 Depth=1
	s_or_b32 exec_lo, exec_lo, s55
	v_lshlrev_b32_e32 v132, 16, v137
	s_delay_alu instid0(VALU_DEP_2) | instskip(SKIP_1) | instid1(VALU_DEP_3)
	v_lshlrev_b32_e32 v51, 20, v51
	v_lshl_add_u32 v131, v131, 23, 0x3c000000
	v_and_b32_e32 v132, 0x80000000, v132
	s_delay_alu instid0(VALU_DEP_1)
	v_or3_b32 v132, v51, v132, v131
	v_mov_b32_e32 v131, v52
.LBB230_318:                            ;   in Loop: Header=BB230_13 Depth=1
	s_or_b32 exec_lo, exec_lo, s40
.LBB230_319:                            ;   in Loop: Header=BB230_13 Depth=1
	s_delay_alu instid0(SALU_CYCLE_1)
	s_or_b32 exec_lo, exec_lo, s54
.LBB230_320:                            ;   in Loop: Header=BB230_13 Depth=1
	s_delay_alu instid0(SALU_CYCLE_1)
	s_or_b32 exec_lo, exec_lo, s53
	global_load_u16 v51, v[135:136], off offset:12
	v_mov_b32_e32 v135, 0
	s_waitcnt vmcnt(0)
	v_dual_mov_b32 v136, 0 :: v_dual_and_b32 v137, 0xff, v51
	v_and_b32_e32 v139, 0xffff, v51
	s_delay_alu instid0(VALU_DEP_2) | instskip(NEXT) | instid1(VALU_DEP_3)
	v_cmp_ne_u16_e64 s1, 0, v137
	v_dual_mov_b32 v138, v136 :: v_dual_mov_b32 v137, v135
	s_delay_alu instid0(VALU_DEP_2)
	s_and_saveexec_b32 s40, s1
	s_cbranch_execz .LBB230_328
; %bb.321:                              ;   in Loop: Header=BB230_13 Depth=1
	v_bfrev_b32_e32 v137, 1
	v_dual_mov_b32 v138, 0 :: v_dual_and_b32 v51, 0xff, v139
	s_mov_b32 s53, exec_lo
	s_delay_alu instid0(VALU_DEP_1)
	v_cmpx_ne_u16_e32 0x80, v51
	s_cbranch_execz .LBB230_327
; %bb.322:                              ;   in Loop: Header=BB230_13 Depth=1
	v_mov_b32_e32 v137, 0x7f800001
	v_and_b32_e32 v140, 0x7f, v139
	v_mov_b32_e32 v138, 0
	s_mov_b32 s54, exec_lo
	s_delay_alu instid0(VALU_DEP_2)
	v_cmpx_ne_u32_e32 0x7f, v140
	s_cbranch_execz .LBB230_326
; %bb.323:                              ;   in Loop: Header=BB230_13 Depth=1
	v_and_b32_e32 v51, 7, v139
	v_lshrrev_b32_e32 v137, 3, v140
	s_mov_b32 s55, exec_lo
	v_cmpx_gt_u32_e32 8, v140
; %bb.324:                              ;   in Loop: Header=BB230_13 Depth=1
	s_delay_alu instid0(VALU_DEP_3) | instskip(NEXT) | instid1(VALU_DEP_1)
	v_clz_i32_u32_e32 v137, v51
	v_min_u32_e32 v137, 32, v137
	s_delay_alu instid0(VALU_DEP_1) | instskip(SKIP_1) | instid1(VALU_DEP_2)
	v_subrev_nc_u32_e32 v138, 28, v137
	v_sub_nc_u32_e32 v137, 29, v137
	v_lshlrev_b64 v[140:141], v138, v[51:52]
	s_delay_alu instid0(VALU_DEP_1)
	v_and_b32_e32 v51, 7, v140
; %bb.325:                              ;   in Loop: Header=BB230_13 Depth=1
	s_or_b32 exec_lo, exec_lo, s55
	v_lshlrev_b32_e32 v138, 24, v139
	s_delay_alu instid0(VALU_DEP_2) | instskip(SKIP_1) | instid1(VALU_DEP_3)
	v_lshlrev_b32_e32 v51, 20, v51
	v_lshl_add_u32 v137, v137, 23, 0x3c000000
	v_and_b32_e32 v138, 0x80000000, v138
	s_delay_alu instid0(VALU_DEP_1) | instskip(NEXT) | instid1(VALU_DEP_1)
	v_or3_b32 v51, v51, v138, v137
	v_dual_mov_b32 v138, v52 :: v_dual_mov_b32 v137, v51
.LBB230_326:                            ;   in Loop: Header=BB230_13 Depth=1
	s_or_b32 exec_lo, exec_lo, s54
.LBB230_327:                            ;   in Loop: Header=BB230_13 Depth=1
	s_delay_alu instid0(SALU_CYCLE_1)
	s_or_b32 exec_lo, exec_lo, s53
.LBB230_328:                            ;   in Loop: Header=BB230_13 Depth=1
	s_delay_alu instid0(SALU_CYCLE_1) | instskip(SKIP_2) | instid1(VALU_DEP_1)
	s_or_b32 exec_lo, exec_lo, s40
	v_lshrrev_b16 v51, 8, v139
	s_mov_b32 s53, exec_lo
	v_cmpx_ne_u16_e32 0, v51
	s_cbranch_execz .LBB230_336
; %bb.329:                              ;   in Loop: Header=BB230_13 Depth=1
	v_dual_mov_b32 v136, s11 :: v_dual_mov_b32 v135, s10
	s_mov_b32 s54, exec_lo
	v_cmpx_ne_u16_e32 0x80, v51
	s_cbranch_execz .LBB230_335
; %bb.330:                              ;   in Loop: Header=BB230_13 Depth=1
	s_mov_b32 s40, s10
	v_dual_mov_b32 v136, s41 :: v_dual_and_b32 v51, 0xffff, v51
	v_mov_b32_e32 v135, s40
	s_mov_b32 s40, exec_lo
	s_delay_alu instid0(VALU_DEP_2) | instskip(NEXT) | instid1(VALU_DEP_1)
	v_and_b32_e32 v140, 0x7f, v51
	v_cmpx_ne_u32_e32 0x7f, v140
	s_cbranch_execz .LBB230_334
; %bb.331:                              ;   in Loop: Header=BB230_13 Depth=1
	v_and_b32_e32 v51, 7, v51
	v_lshrrev_b32_e32 v135, 3, v140
	s_mov_b32 s55, exec_lo
	v_cmpx_gt_u32_e32 8, v140
; %bb.332:                              ;   in Loop: Header=BB230_13 Depth=1
	s_delay_alu instid0(VALU_DEP_3) | instskip(NEXT) | instid1(VALU_DEP_1)
	v_clz_i32_u32_e32 v135, v51
	v_min_u32_e32 v135, 32, v135
	s_delay_alu instid0(VALU_DEP_1) | instskip(SKIP_1) | instid1(VALU_DEP_2)
	v_subrev_nc_u32_e32 v136, 28, v135
	v_sub_nc_u32_e32 v135, 29, v135
	v_lshlrev_b64 v[140:141], v136, v[51:52]
	s_delay_alu instid0(VALU_DEP_1)
	v_and_b32_e32 v51, 7, v140
; %bb.333:                              ;   in Loop: Header=BB230_13 Depth=1
	s_or_b32 exec_lo, exec_lo, s55
	v_lshlrev_b32_e32 v136, 16, v139
	s_delay_alu instid0(VALU_DEP_2) | instskip(SKIP_1) | instid1(VALU_DEP_3)
	v_lshlrev_b32_e32 v51, 20, v51
	v_lshl_add_u32 v135, v135, 23, 0x3c000000
	v_and_b32_e32 v136, 0x80000000, v136
	s_delay_alu instid0(VALU_DEP_1)
	v_or3_b32 v136, v51, v136, v135
	v_mov_b32_e32 v135, v52
.LBB230_334:                            ;   in Loop: Header=BB230_13 Depth=1
	s_or_b32 exec_lo, exec_lo, s40
.LBB230_335:                            ;   in Loop: Header=BB230_13 Depth=1
	s_delay_alu instid0(SALU_CYCLE_1)
	s_or_b32 exec_lo, exec_lo, s54
.LBB230_336:                            ;   in Loop: Header=BB230_13 Depth=1
	s_delay_alu instid0(SALU_CYCLE_1)
	s_or_b32 exec_lo, exec_lo, s53
	global_load_u16 v51, v[69:70], off offset:1280
	v_mov_b32_e32 v139, 0
	s_waitcnt vmcnt(0)
	v_dual_mov_b32 v140, 0 :: v_dual_and_b32 v141, 0xff, v51
	v_and_b32_e32 v143, 0xffff, v51
	s_delay_alu instid0(VALU_DEP_2) | instskip(NEXT) | instid1(VALU_DEP_3)
	v_cmp_ne_u16_e64 s1, 0, v141
	v_dual_mov_b32 v142, v140 :: v_dual_mov_b32 v141, v139
	s_delay_alu instid0(VALU_DEP_2)
	s_and_saveexec_b32 s40, s1
	s_cbranch_execz .LBB230_344
; %bb.337:                              ;   in Loop: Header=BB230_13 Depth=1
	v_bfrev_b32_e32 v141, 1
	v_dual_mov_b32 v142, 0 :: v_dual_and_b32 v51, 0xff, v143
	s_mov_b32 s53, exec_lo
	s_delay_alu instid0(VALU_DEP_1)
	v_cmpx_ne_u16_e32 0x80, v51
	s_cbranch_execz .LBB230_343
; %bb.338:                              ;   in Loop: Header=BB230_13 Depth=1
	v_mov_b32_e32 v141, 0x7f800001
	v_and_b32_e32 v144, 0x7f, v143
	v_mov_b32_e32 v142, 0
	s_mov_b32 s54, exec_lo
	s_delay_alu instid0(VALU_DEP_2)
	v_cmpx_ne_u32_e32 0x7f, v144
	s_cbranch_execz .LBB230_342
; %bb.339:                              ;   in Loop: Header=BB230_13 Depth=1
	v_and_b32_e32 v51, 7, v143
	v_lshrrev_b32_e32 v141, 3, v144
	s_mov_b32 s55, exec_lo
	v_cmpx_gt_u32_e32 8, v144
; %bb.340:                              ;   in Loop: Header=BB230_13 Depth=1
	s_delay_alu instid0(VALU_DEP_3) | instskip(NEXT) | instid1(VALU_DEP_1)
	v_clz_i32_u32_e32 v141, v51
	v_min_u32_e32 v141, 32, v141
	s_delay_alu instid0(VALU_DEP_1) | instskip(SKIP_1) | instid1(VALU_DEP_2)
	v_subrev_nc_u32_e32 v142, 28, v141
	v_sub_nc_u32_e32 v141, 29, v141
	v_lshlrev_b64 v[144:145], v142, v[51:52]
	s_delay_alu instid0(VALU_DEP_1)
	v_and_b32_e32 v51, 7, v144
; %bb.341:                              ;   in Loop: Header=BB230_13 Depth=1
	s_or_b32 exec_lo, exec_lo, s55
	v_lshlrev_b32_e32 v142, 24, v143
	s_delay_alu instid0(VALU_DEP_2) | instskip(SKIP_1) | instid1(VALU_DEP_3)
	v_lshlrev_b32_e32 v51, 20, v51
	v_lshl_add_u32 v141, v141, 23, 0x3c000000
	v_and_b32_e32 v142, 0x80000000, v142
	s_delay_alu instid0(VALU_DEP_1) | instskip(NEXT) | instid1(VALU_DEP_1)
	v_or3_b32 v51, v51, v142, v141
	v_dual_mov_b32 v142, v52 :: v_dual_mov_b32 v141, v51
.LBB230_342:                            ;   in Loop: Header=BB230_13 Depth=1
	s_or_b32 exec_lo, exec_lo, s54
.LBB230_343:                            ;   in Loop: Header=BB230_13 Depth=1
	s_delay_alu instid0(SALU_CYCLE_1)
	s_or_b32 exec_lo, exec_lo, s53
.LBB230_344:                            ;   in Loop: Header=BB230_13 Depth=1
	s_delay_alu instid0(SALU_CYCLE_1) | instskip(SKIP_2) | instid1(VALU_DEP_1)
	s_or_b32 exec_lo, exec_lo, s40
	v_lshrrev_b16 v51, 8, v143
	s_mov_b32 s53, exec_lo
	v_cmpx_ne_u16_e32 0, v51
	s_cbranch_execz .LBB230_352
; %bb.345:                              ;   in Loop: Header=BB230_13 Depth=1
	v_dual_mov_b32 v140, s11 :: v_dual_mov_b32 v139, s10
	s_mov_b32 s54, exec_lo
	v_cmpx_ne_u16_e32 0x80, v51
	s_cbranch_execz .LBB230_351
; %bb.346:                              ;   in Loop: Header=BB230_13 Depth=1
	s_mov_b32 s40, s10
	v_dual_mov_b32 v140, s41 :: v_dual_and_b32 v51, 0xffff, v51
	v_mov_b32_e32 v139, s40
	s_mov_b32 s40, exec_lo
	s_delay_alu instid0(VALU_DEP_2) | instskip(NEXT) | instid1(VALU_DEP_1)
	v_and_b32_e32 v144, 0x7f, v51
	v_cmpx_ne_u32_e32 0x7f, v144
	s_cbranch_execz .LBB230_350
; %bb.347:                              ;   in Loop: Header=BB230_13 Depth=1
	v_and_b32_e32 v51, 7, v51
	v_lshrrev_b32_e32 v139, 3, v144
	s_mov_b32 s55, exec_lo
	v_cmpx_gt_u32_e32 8, v144
; %bb.348:                              ;   in Loop: Header=BB230_13 Depth=1
	s_delay_alu instid0(VALU_DEP_3) | instskip(NEXT) | instid1(VALU_DEP_1)
	v_clz_i32_u32_e32 v139, v51
	v_min_u32_e32 v139, 32, v139
	s_delay_alu instid0(VALU_DEP_1) | instskip(SKIP_1) | instid1(VALU_DEP_2)
	v_subrev_nc_u32_e32 v140, 28, v139
	v_sub_nc_u32_e32 v139, 29, v139
	v_lshlrev_b64 v[144:145], v140, v[51:52]
	s_delay_alu instid0(VALU_DEP_1)
	v_and_b32_e32 v51, 7, v144
; %bb.349:                              ;   in Loop: Header=BB230_13 Depth=1
	s_or_b32 exec_lo, exec_lo, s55
	v_lshlrev_b32_e32 v140, 16, v143
	s_delay_alu instid0(VALU_DEP_2) | instskip(SKIP_1) | instid1(VALU_DEP_3)
	v_lshlrev_b32_e32 v51, 20, v51
	v_lshl_add_u32 v139, v139, 23, 0x3c000000
	v_and_b32_e32 v140, 0x80000000, v140
	s_delay_alu instid0(VALU_DEP_1)
	v_or3_b32 v140, v51, v140, v139
	v_mov_b32_e32 v139, v52
.LBB230_350:                            ;   in Loop: Header=BB230_13 Depth=1
	s_or_b32 exec_lo, exec_lo, s40
.LBB230_351:                            ;   in Loop: Header=BB230_13 Depth=1
	s_delay_alu instid0(SALU_CYCLE_1)
	s_or_b32 exec_lo, exec_lo, s54
.LBB230_352:                            ;   in Loop: Header=BB230_13 Depth=1
	s_delay_alu instid0(SALU_CYCLE_1)
	s_or_b32 exec_lo, exec_lo, s53
	global_load_u16 v51, v[69:70], off offset:1284
	v_mov_b32_e32 v143, 0
	s_waitcnt vmcnt(0)
	v_dual_mov_b32 v144, 0 :: v_dual_and_b32 v145, 0xff, v51
	v_and_b32_e32 v147, 0xffff, v51
	s_delay_alu instid0(VALU_DEP_2) | instskip(NEXT) | instid1(VALU_DEP_3)
	v_cmp_ne_u16_e64 s1, 0, v145
	v_dual_mov_b32 v146, v144 :: v_dual_mov_b32 v145, v143
	s_delay_alu instid0(VALU_DEP_2)
	s_and_saveexec_b32 s40, s1
	s_cbranch_execz .LBB230_360
; %bb.353:                              ;   in Loop: Header=BB230_13 Depth=1
	v_bfrev_b32_e32 v145, 1
	v_dual_mov_b32 v146, 0 :: v_dual_and_b32 v51, 0xff, v147
	s_mov_b32 s53, exec_lo
	s_delay_alu instid0(VALU_DEP_1)
	v_cmpx_ne_u16_e32 0x80, v51
	s_cbranch_execz .LBB230_359
; %bb.354:                              ;   in Loop: Header=BB230_13 Depth=1
	v_mov_b32_e32 v145, 0x7f800001
	v_and_b32_e32 v148, 0x7f, v147
	v_mov_b32_e32 v146, 0
	s_mov_b32 s54, exec_lo
	s_delay_alu instid0(VALU_DEP_2)
	v_cmpx_ne_u32_e32 0x7f, v148
	s_cbranch_execz .LBB230_358
; %bb.355:                              ;   in Loop: Header=BB230_13 Depth=1
	v_and_b32_e32 v51, 7, v147
	v_lshrrev_b32_e32 v145, 3, v148
	s_mov_b32 s55, exec_lo
	v_cmpx_gt_u32_e32 8, v148
; %bb.356:                              ;   in Loop: Header=BB230_13 Depth=1
	s_delay_alu instid0(VALU_DEP_3) | instskip(NEXT) | instid1(VALU_DEP_1)
	v_clz_i32_u32_e32 v145, v51
	v_min_u32_e32 v145, 32, v145
	s_delay_alu instid0(VALU_DEP_1) | instskip(SKIP_1) | instid1(VALU_DEP_2)
	v_subrev_nc_u32_e32 v146, 28, v145
	v_sub_nc_u32_e32 v145, 29, v145
	v_lshlrev_b64 v[148:149], v146, v[51:52]
	s_delay_alu instid0(VALU_DEP_1)
	v_and_b32_e32 v51, 7, v148
; %bb.357:                              ;   in Loop: Header=BB230_13 Depth=1
	s_or_b32 exec_lo, exec_lo, s55
	v_lshlrev_b32_e32 v146, 24, v147
	s_delay_alu instid0(VALU_DEP_2) | instskip(SKIP_1) | instid1(VALU_DEP_3)
	v_lshlrev_b32_e32 v51, 20, v51
	v_lshl_add_u32 v145, v145, 23, 0x3c000000
	v_and_b32_e32 v146, 0x80000000, v146
	s_delay_alu instid0(VALU_DEP_1) | instskip(NEXT) | instid1(VALU_DEP_1)
	v_or3_b32 v51, v51, v146, v145
	v_dual_mov_b32 v146, v52 :: v_dual_mov_b32 v145, v51
.LBB230_358:                            ;   in Loop: Header=BB230_13 Depth=1
	s_or_b32 exec_lo, exec_lo, s54
.LBB230_359:                            ;   in Loop: Header=BB230_13 Depth=1
	s_delay_alu instid0(SALU_CYCLE_1)
	s_or_b32 exec_lo, exec_lo, s53
.LBB230_360:                            ;   in Loop: Header=BB230_13 Depth=1
	s_delay_alu instid0(SALU_CYCLE_1) | instskip(SKIP_2) | instid1(VALU_DEP_1)
	s_or_b32 exec_lo, exec_lo, s40
	v_lshrrev_b16 v51, 8, v147
	s_mov_b32 s53, exec_lo
	v_cmpx_ne_u16_e32 0, v51
	s_cbranch_execz .LBB230_368
; %bb.361:                              ;   in Loop: Header=BB230_13 Depth=1
	v_dual_mov_b32 v144, s11 :: v_dual_mov_b32 v143, s10
	s_mov_b32 s54, exec_lo
	v_cmpx_ne_u16_e32 0x80, v51
	s_cbranch_execz .LBB230_367
; %bb.362:                              ;   in Loop: Header=BB230_13 Depth=1
	s_mov_b32 s40, s10
	v_dual_mov_b32 v144, s41 :: v_dual_and_b32 v51, 0xffff, v51
	v_mov_b32_e32 v143, s40
	s_mov_b32 s40, exec_lo
	s_delay_alu instid0(VALU_DEP_2) | instskip(NEXT) | instid1(VALU_DEP_1)
	v_and_b32_e32 v148, 0x7f, v51
	v_cmpx_ne_u32_e32 0x7f, v148
	s_cbranch_execz .LBB230_366
; %bb.363:                              ;   in Loop: Header=BB230_13 Depth=1
	v_and_b32_e32 v51, 7, v51
	v_lshrrev_b32_e32 v143, 3, v148
	s_mov_b32 s55, exec_lo
	v_cmpx_gt_u32_e32 8, v148
; %bb.364:                              ;   in Loop: Header=BB230_13 Depth=1
	s_delay_alu instid0(VALU_DEP_3) | instskip(NEXT) | instid1(VALU_DEP_1)
	v_clz_i32_u32_e32 v143, v51
	v_min_u32_e32 v143, 32, v143
	s_delay_alu instid0(VALU_DEP_1) | instskip(SKIP_1) | instid1(VALU_DEP_2)
	v_subrev_nc_u32_e32 v144, 28, v143
	v_sub_nc_u32_e32 v143, 29, v143
	v_lshlrev_b64 v[148:149], v144, v[51:52]
	s_delay_alu instid0(VALU_DEP_1)
	v_and_b32_e32 v51, 7, v148
; %bb.365:                              ;   in Loop: Header=BB230_13 Depth=1
	s_or_b32 exec_lo, exec_lo, s55
	v_lshlrev_b32_e32 v144, 16, v147
	s_delay_alu instid0(VALU_DEP_2) | instskip(SKIP_1) | instid1(VALU_DEP_3)
	v_lshlrev_b32_e32 v51, 20, v51
	v_lshl_add_u32 v143, v143, 23, 0x3c000000
	v_and_b32_e32 v144, 0x80000000, v144
	s_delay_alu instid0(VALU_DEP_1)
	v_or3_b32 v144, v51, v144, v143
	v_mov_b32_e32 v143, v52
.LBB230_366:                            ;   in Loop: Header=BB230_13 Depth=1
	s_or_b32 exec_lo, exec_lo, s40
.LBB230_367:                            ;   in Loop: Header=BB230_13 Depth=1
	s_delay_alu instid0(SALU_CYCLE_1)
	s_or_b32 exec_lo, exec_lo, s54
.LBB230_368:                            ;   in Loop: Header=BB230_13 Depth=1
	s_delay_alu instid0(SALU_CYCLE_1) | instskip(SKIP_1) | instid1(VALU_DEP_1)
	s_or_b32 exec_lo, exec_lo, s53
	v_add_co_u32 v69, s1, 0x500, v69
	v_add_co_ci_u32_e64 v70, s1, 0, v70, s1
	s_mov_b32 s40, exec_lo
	global_load_u16 v51, v[69:70], off offset:8
	v_mov_b32_e32 v149, 0
	s_waitcnt vmcnt(0)
	v_dual_mov_b32 v150, 0 :: v_dual_and_b32 v147, 0xffff, v51
	v_and_b32_e32 v148, 0xff, v51
	s_delay_alu instid0(VALU_DEP_2) | instskip(NEXT) | instid1(VALU_DEP_2)
	v_dual_mov_b32 v152, v150 :: v_dual_mov_b32 v151, v149
	v_cmpx_ne_u16_e64 0, v148
	s_cbranch_execz .LBB230_376
; %bb.369:                              ;   in Loop: Header=BB230_13 Depth=1
	v_bfrev_b32_e32 v151, 1
	v_dual_mov_b32 v152, 0 :: v_dual_and_b32 v51, 0xff, v147
	s_mov_b32 s53, exec_lo
	s_delay_alu instid0(VALU_DEP_1)
	v_cmpx_ne_u16_e32 0x80, v51
	s_cbranch_execz .LBB230_375
; %bb.370:                              ;   in Loop: Header=BB230_13 Depth=1
	v_mov_b32_e32 v151, 0x7f800001
	v_dual_mov_b32 v152, 0 :: v_dual_and_b32 v167, 0x7f, v147
	s_mov_b32 s54, exec_lo
	s_delay_alu instid0(VALU_DEP_1)
	v_cmpx_ne_u32_e32 0x7f, v167
	s_cbranch_execz .LBB230_374
; %bb.371:                              ;   in Loop: Header=BB230_13 Depth=1
	v_and_b32_e32 v51, 7, v147
	v_lshrrev_b32_e32 v148, 3, v167
	s_mov_b32 s55, exec_lo
	v_cmpx_gt_u32_e32 8, v167
; %bb.372:                              ;   in Loop: Header=BB230_13 Depth=1
	s_delay_alu instid0(VALU_DEP_3) | instskip(NEXT) | instid1(VALU_DEP_1)
	v_clz_i32_u32_e32 v148, v51
	v_min_u32_e32 v148, 32, v148
	s_delay_alu instid0(VALU_DEP_1) | instskip(SKIP_1) | instid1(VALU_DEP_2)
	v_subrev_nc_u32_e32 v151, 28, v148
	v_sub_nc_u32_e32 v148, 29, v148
	v_lshlrev_b64 v[151:152], v151, v[51:52]
	s_delay_alu instid0(VALU_DEP_1)
	v_and_b32_e32 v51, 7, v151
; %bb.373:                              ;   in Loop: Header=BB230_13 Depth=1
	s_or_b32 exec_lo, exec_lo, s55
	v_lshlrev_b32_e32 v151, 24, v147
	s_delay_alu instid0(VALU_DEP_2) | instskip(SKIP_1) | instid1(VALU_DEP_3)
	v_lshlrev_b32_e32 v51, 20, v51
	v_lshl_add_u32 v148, v148, 23, 0x3c000000
	v_and_b32_e32 v151, 0x80000000, v151
	s_delay_alu instid0(VALU_DEP_1) | instskip(NEXT) | instid1(VALU_DEP_1)
	v_or3_b32 v51, v51, v151, v148
	v_dual_mov_b32 v152, v52 :: v_dual_mov_b32 v151, v51
.LBB230_374:                            ;   in Loop: Header=BB230_13 Depth=1
	s_or_b32 exec_lo, exec_lo, s54
.LBB230_375:                            ;   in Loop: Header=BB230_13 Depth=1
	s_delay_alu instid0(SALU_CYCLE_1)
	s_or_b32 exec_lo, exec_lo, s53
.LBB230_376:                            ;   in Loop: Header=BB230_13 Depth=1
	s_delay_alu instid0(SALU_CYCLE_1) | instskip(SKIP_2) | instid1(VALU_DEP_1)
	s_or_b32 exec_lo, exec_lo, s40
	v_lshrrev_b16 v51, 8, v147
	s_mov_b32 s53, exec_lo
	v_cmpx_ne_u16_e32 0, v51
	s_cbranch_execz .LBB230_384
; %bb.377:                              ;   in Loop: Header=BB230_13 Depth=1
	v_dual_mov_b32 v150, s11 :: v_dual_mov_b32 v149, s10
	s_mov_b32 s54, exec_lo
	v_cmpx_ne_u16_e32 0x80, v51
	s_cbranch_execz .LBB230_383
; %bb.378:                              ;   in Loop: Header=BB230_13 Depth=1
	s_mov_b32 s40, s10
	v_dual_mov_b32 v150, s41 :: v_dual_and_b32 v51, 0xffff, v51
	v_mov_b32_e32 v149, s40
	s_mov_b32 s40, exec_lo
	s_delay_alu instid0(VALU_DEP_2) | instskip(NEXT) | instid1(VALU_DEP_1)
	v_and_b32_e32 v167, 0x7f, v51
	v_cmpx_ne_u32_e32 0x7f, v167
	s_cbranch_execz .LBB230_382
; %bb.379:                              ;   in Loop: Header=BB230_13 Depth=1
	v_and_b32_e32 v51, 7, v51
	v_lshrrev_b32_e32 v148, 3, v167
	s_mov_b32 s55, exec_lo
	v_cmpx_gt_u32_e32 8, v167
; %bb.380:                              ;   in Loop: Header=BB230_13 Depth=1
	s_delay_alu instid0(VALU_DEP_3) | instskip(NEXT) | instid1(VALU_DEP_1)
	v_clz_i32_u32_e32 v148, v51
	v_min_u32_e32 v148, 32, v148
	s_delay_alu instid0(VALU_DEP_1) | instskip(SKIP_1) | instid1(VALU_DEP_2)
	v_subrev_nc_u32_e32 v149, 28, v148
	v_sub_nc_u32_e32 v148, 29, v148
	v_lshlrev_b64 v[149:150], v149, v[51:52]
	s_delay_alu instid0(VALU_DEP_1)
	v_and_b32_e32 v51, 7, v149
; %bb.381:                              ;   in Loop: Header=BB230_13 Depth=1
	s_or_b32 exec_lo, exec_lo, s55
	v_lshlrev_b32_e32 v147, 16, v147
	s_delay_alu instid0(VALU_DEP_2) | instskip(SKIP_2) | instid1(VALU_DEP_4)
	v_lshlrev_b32_e32 v51, 20, v51
	v_lshl_add_u32 v148, v148, 23, 0x3c000000
	v_mov_b32_e32 v149, v52
	v_and_b32_e32 v147, 0x80000000, v147
	s_delay_alu instid0(VALU_DEP_1)
	v_or3_b32 v150, v51, v147, v148
.LBB230_382:                            ;   in Loop: Header=BB230_13 Depth=1
	s_or_b32 exec_lo, exec_lo, s40
.LBB230_383:                            ;   in Loop: Header=BB230_13 Depth=1
	s_delay_alu instid0(SALU_CYCLE_1)
	s_or_b32 exec_lo, exec_lo, s54
.LBB230_384:                            ;   in Loop: Header=BB230_13 Depth=1
	s_delay_alu instid0(SALU_CYCLE_1)
	s_or_b32 exec_lo, exec_lo, s53
	global_load_u16 v51, v[69:70], off offset:12
	v_mov_b32_e32 v69, 0
	s_waitcnt vmcnt(0)
	v_dual_mov_b32 v70, 0 :: v_dual_and_b32 v147, 0xff, v51
	v_and_b32_e32 v167, 0xffff, v51
	s_delay_alu instid0(VALU_DEP_2) | instskip(NEXT) | instid1(VALU_DEP_3)
	v_cmp_ne_u16_e64 s1, 0, v147
	v_dual_mov_b32 v148, v70 :: v_dual_mov_b32 v147, v69
	s_delay_alu instid0(VALU_DEP_2)
	s_and_saveexec_b32 s40, s1
	s_cbranch_execz .LBB230_392
; %bb.385:                              ;   in Loop: Header=BB230_13 Depth=1
	v_bfrev_b32_e32 v147, 1
	v_dual_mov_b32 v148, 0 :: v_dual_and_b32 v51, 0xff, v167
	s_mov_b32 s53, exec_lo
	s_delay_alu instid0(VALU_DEP_1)
	v_cmpx_ne_u16_e32 0x80, v51
	s_cbranch_execz .LBB230_391
; %bb.386:                              ;   in Loop: Header=BB230_13 Depth=1
	v_mov_b32_e32 v147, 0x7f800001
	v_and_b32_e32 v168, 0x7f, v167
	v_mov_b32_e32 v148, 0
	s_mov_b32 s54, exec_lo
	s_delay_alu instid0(VALU_DEP_2)
	v_cmpx_ne_u32_e32 0x7f, v168
	s_cbranch_execz .LBB230_390
; %bb.387:                              ;   in Loop: Header=BB230_13 Depth=1
	v_and_b32_e32 v51, 7, v167
	v_lshrrev_b32_e32 v147, 3, v168
	s_mov_b32 s55, exec_lo
	v_cmpx_gt_u32_e32 8, v168
; %bb.388:                              ;   in Loop: Header=BB230_13 Depth=1
	s_delay_alu instid0(VALU_DEP_3) | instskip(NEXT) | instid1(VALU_DEP_1)
	v_clz_i32_u32_e32 v147, v51
	v_min_u32_e32 v147, 32, v147
	s_delay_alu instid0(VALU_DEP_1) | instskip(SKIP_1) | instid1(VALU_DEP_2)
	v_subrev_nc_u32_e32 v148, 28, v147
	v_sub_nc_u32_e32 v147, 29, v147
	v_lshlrev_b64 v[168:169], v148, v[51:52]
	s_delay_alu instid0(VALU_DEP_1)
	v_and_b32_e32 v51, 7, v168
; %bb.389:                              ;   in Loop: Header=BB230_13 Depth=1
	s_or_b32 exec_lo, exec_lo, s55
	v_lshlrev_b32_e32 v148, 24, v167
	s_delay_alu instid0(VALU_DEP_2) | instskip(SKIP_1) | instid1(VALU_DEP_3)
	v_lshlrev_b32_e32 v51, 20, v51
	v_lshl_add_u32 v147, v147, 23, 0x3c000000
	v_and_b32_e32 v148, 0x80000000, v148
	s_delay_alu instid0(VALU_DEP_1) | instskip(NEXT) | instid1(VALU_DEP_1)
	v_or3_b32 v51, v51, v148, v147
	v_dual_mov_b32 v148, v52 :: v_dual_mov_b32 v147, v51
.LBB230_390:                            ;   in Loop: Header=BB230_13 Depth=1
	s_or_b32 exec_lo, exec_lo, s54
.LBB230_391:                            ;   in Loop: Header=BB230_13 Depth=1
	s_delay_alu instid0(SALU_CYCLE_1)
	s_or_b32 exec_lo, exec_lo, s53
.LBB230_392:                            ;   in Loop: Header=BB230_13 Depth=1
	s_delay_alu instid0(SALU_CYCLE_1) | instskip(SKIP_2) | instid1(VALU_DEP_1)
	s_or_b32 exec_lo, exec_lo, s40
	v_lshrrev_b16 v51, 8, v167
	s_mov_b32 s53, exec_lo
	v_cmpx_ne_u16_e32 0, v51
	s_cbranch_execz .LBB230_400
; %bb.393:                              ;   in Loop: Header=BB230_13 Depth=1
	v_dual_mov_b32 v70, s11 :: v_dual_mov_b32 v69, s10
	s_mov_b32 s54, exec_lo
	v_cmpx_ne_u16_e32 0x80, v51
	s_cbranch_execz .LBB230_399
; %bb.394:                              ;   in Loop: Header=BB230_13 Depth=1
	s_mov_b32 s40, s10
	v_dual_mov_b32 v70, s41 :: v_dual_and_b32 v51, 0xffff, v51
	v_mov_b32_e32 v69, s40
	s_mov_b32 s40, exec_lo
	s_delay_alu instid0(VALU_DEP_2) | instskip(NEXT) | instid1(VALU_DEP_1)
	v_and_b32_e32 v168, 0x7f, v51
	v_cmpx_ne_u32_e32 0x7f, v168
	s_cbranch_execz .LBB230_398
; %bb.395:                              ;   in Loop: Header=BB230_13 Depth=1
	v_and_b32_e32 v51, 7, v51
	v_lshrrev_b32_e32 v69, 3, v168
	s_mov_b32 s55, exec_lo
	v_cmpx_gt_u32_e32 8, v168
; %bb.396:                              ;   in Loop: Header=BB230_13 Depth=1
	s_delay_alu instid0(VALU_DEP_3) | instskip(NEXT) | instid1(VALU_DEP_1)
	v_clz_i32_u32_e32 v69, v51
	v_min_u32_e32 v69, 32, v69
	s_delay_alu instid0(VALU_DEP_1) | instskip(SKIP_1) | instid1(VALU_DEP_2)
	v_subrev_nc_u32_e32 v70, 28, v69
	v_sub_nc_u32_e32 v69, 29, v69
	v_lshlrev_b64 v[168:169], v70, v[51:52]
	s_delay_alu instid0(VALU_DEP_1)
	v_and_b32_e32 v51, 7, v168
; %bb.397:                              ;   in Loop: Header=BB230_13 Depth=1
	s_or_b32 exec_lo, exec_lo, s55
	v_lshlrev_b32_e32 v70, 16, v167
	s_delay_alu instid0(VALU_DEP_2) | instskip(SKIP_1) | instid1(VALU_DEP_3)
	v_lshlrev_b32_e32 v51, 20, v51
	v_lshl_add_u32 v69, v69, 23, 0x3c000000
	v_and_b32_e32 v70, 0x80000000, v70
	s_delay_alu instid0(VALU_DEP_1)
	v_or3_b32 v70, v51, v70, v69
	v_mov_b32_e32 v69, v52
.LBB230_398:                            ;   in Loop: Header=BB230_13 Depth=1
	s_or_b32 exec_lo, exec_lo, s40
.LBB230_399:                            ;   in Loop: Header=BB230_13 Depth=1
	s_delay_alu instid0(SALU_CYCLE_1)
	s_or_b32 exec_lo, exec_lo, s54
.LBB230_400:                            ;   in Loop: Header=BB230_13 Depth=1
	s_delay_alu instid0(SALU_CYCLE_1)
	s_or_b32 exec_lo, exec_lo, s53
	v_or_b32_e32 v61, v61, v63
	v_or_b32_e32 v62, v62, v64
	;; [unrolled: 1-line block ×5, first 2 shown]
	s_waitcnt lgkmcnt(0)
	v_dual_mul_f32 v59, s52, v61 :: v_dual_mul_f32 v60, s52, v62
	v_or_b32_e32 v61, v65, v67
	v_dual_mul_f32 v58, s52, v58 :: v_dual_mul_f32 v57, s52, v57
	s_delay_alu instid0(VALU_DEP_3) | instskip(SKIP_3) | instid1(VALU_DEP_4)
	v_dual_mul_f32 v47, v47, v59 :: v_dual_mul_f32 v48, v48, v60
	v_or_b32_e32 v72, v72, v74
	v_or_b32_e32 v59, v71, v73
	v_dual_mul_f32 v60, s52, v63 :: v_dual_mul_f32 v61, s52, v61
	v_dual_fmac_f32 v47, v45, v57 :: v_dual_fmac_f32 v48, v46, v58
	v_or_b32_e32 v76, v76, v78
	v_or_b32_e32 v45, v75, v77
	v_dual_mul_f32 v46, s52, v72 :: v_dual_mul_f32 v57, s52, v59
	s_delay_alu instid0(VALU_DEP_4) | instskip(SKIP_3) | instid1(VALU_DEP_4)
	v_dual_fmac_f32 v47, v41, v61 :: v_dual_fmac_f32 v48, v42, v60
	v_or_b32_e32 v80, v80, v82
	v_or_b32_e32 v41, v79, v81
	v_dual_mul_f32 v42, s52, v76 :: v_dual_mul_f32 v45, s52, v45
	v_dual_fmac_f32 v47, v43, v57 :: v_dual_fmac_f32 v48, v44, v46
	v_or_b32_e32 v84, v84, v86
	v_or_b32_e32 v43, v83, v85
	v_dual_mul_f32 v44, s52, v80 :: v_dual_mul_f32 v41, s52, v41
	s_delay_alu instid0(VALU_DEP_4) | instskip(SKIP_2) | instid1(VALU_DEP_3)
	v_dual_fmac_f32 v47, v37, v45 :: v_dual_fmac_f32 v48, v38, v42
	v_or_b32_e32 v37, v87, v89
	v_mul_f32_e32 v38, s52, v84
	v_dual_mul_f32 v42, s52, v43 :: v_dual_fmac_f32 v47, v39, v41
	v_or_b32_e32 v88, v88, v90
	s_delay_alu instid0(VALU_DEP_4) | instskip(SKIP_1) | instid1(VALU_DEP_4)
	v_dual_mul_f32 v37, s52, v37 :: v_dual_fmac_f32 v48, v40, v44
	v_or_b32_e32 v39, v91, v93
	v_fmac_f32_e32 v47, v33, v42
	v_or_b32_e32 v33, v95, v97
	v_or_b32_e32 v92, v92, v94
	v_mul_f32_e32 v40, s52, v88
	s_delay_alu instid0(VALU_DEP_4) | instskip(NEXT) | instid1(VALU_DEP_4)
	v_dual_fmac_f32 v48, v34, v38 :: v_dual_fmac_f32 v47, v35, v37
	v_dual_mul_f32 v33, s52, v33 :: v_dual_mul_f32 v38, s52, v39
	s_delay_alu instid0(VALU_DEP_4)
	v_mul_f32_e32 v34, s52, v92
	v_or_b32_e32 v35, v99, v101
	v_or_b32_e32 v96, v96, v98
	;; [unrolled: 1-line block ×3, first 2 shown]
	v_fmac_f32_e32 v47, v29, v38
	v_or_b32_e32 v29, v103, v105
	v_fmac_f32_e32 v48, v36, v40
	v_or_b32_e32 v104, v104, v106
	v_or_b32_e32 v108, v108, v110
	v_fmac_f32_e32 v47, v31, v33
	s_delay_alu instid0(VALU_DEP_4)
	v_dual_mul_f32 v29, s52, v29 :: v_dual_fmac_f32 v48, v30, v34
	v_mul_f32_e32 v34, s52, v35
	v_mul_f32_e32 v36, s52, v96
	v_or_b32_e32 v31, v107, v109
	v_or_b32_e32 v112, v112, v114
	;; [unrolled: 1-line block ×3, first 2 shown]
	v_fmac_f32_e32 v47, v25, v34
	v_or_b32_e32 v25, v111, v113
	v_mul_f32_e32 v30, s52, v100
	v_or_b32_e32 v51, v150, v152
	v_or_b32_e32 v120, v120, v122
	v_fmac_f32_e32 v47, v27, v29
	v_dual_mul_f32 v25, s52, v25 :: v_dual_fmac_f32 v48, v32, v36
	v_or_b32_e32 v27, v115, v117
	v_or_b32_e32 v149, v149, v151
	;; [unrolled: 1-line block ×4, first 2 shown]
	v_fmac_f32_e32 v48, v26, v30
	v_mul_f32_e32 v30, s52, v31
	v_mul_f32_e32 v26, s52, v108
	v_or_b32_e32 v132, v132, v134
	v_or_b32_e32 v136, v136, v138
	;; [unrolled: 1-line block ×3, first 2 shown]
	v_fmac_f32_e32 v47, v21, v30
	v_or_b32_e32 v21, v119, v121
	v_mul_f32_e32 v32, s52, v104
	v_or_b32_e32 v144, v144, v146
	s_delay_alu instid0(VALU_DEP_4) | instskip(NEXT) | instid1(VALU_DEP_3)
	v_fmac_f32_e32 v47, v23, v25
	v_dual_mul_f32 v21, s52, v21 :: v_dual_fmac_f32 v48, v28, v32
	v_or_b32_e32 v23, v123, v125
	s_delay_alu instid0(VALU_DEP_2) | instskip(SKIP_1) | instid1(VALU_DEP_1)
	v_fmac_f32_e32 v48, v22, v26
	v_mul_f32_e32 v26, s52, v27
	v_dual_mul_f32 v22, s52, v116 :: v_dual_fmac_f32 v47, v17, v26
	v_or_b32_e32 v17, v127, v129
	s_delay_alu instid0(VALU_DEP_2) | instskip(NEXT) | instid1(VALU_DEP_2)
	v_fmac_f32_e32 v47, v19, v21
	v_dual_mul_f32 v17, s52, v17 :: v_dual_mul_f32 v28, s52, v112
	v_or_b32_e32 v19, v131, v133
	s_delay_alu instid0(VALU_DEP_2) | instskip(SKIP_1) | instid1(VALU_DEP_2)
	v_fmac_f32_e32 v48, v24, v28
	v_mul_f32_e32 v24, s52, v120
	v_fmac_f32_e32 v48, v18, v22
	v_mul_f32_e32 v18, s52, v124
	v_mul_f32_e32 v22, s52, v23
	s_delay_alu instid0(VALU_DEP_3) | instskip(NEXT) | instid1(VALU_DEP_2)
	v_fmac_f32_e32 v48, v20, v24
	v_dual_mul_f32 v20, s52, v128 :: v_dual_fmac_f32 v47, v13, v22
	v_or_b32_e32 v13, v135, v137
	s_delay_alu instid0(VALU_DEP_3) | instskip(SKIP_1) | instid1(VALU_DEP_4)
	v_fmac_f32_e32 v48, v14, v18
	v_mul_f32_e32 v14, s52, v132
	v_dual_mul_f32 v18, s52, v19 :: v_dual_fmac_f32 v47, v15, v17
	v_or_b32_e32 v15, v139, v141
	s_delay_alu instid0(VALU_DEP_4) | instskip(SKIP_1) | instid1(VALU_DEP_4)
	v_fmac_f32_e32 v48, v16, v20
	v_dual_mul_f32 v16, s52, v136 :: v_dual_mul_f32 v13, s52, v13
	v_fmac_f32_e32 v47, v9, v18
	v_or_b32_e32 v9, v143, v145
	s_delay_alu instid0(VALU_DEP_4) | instskip(SKIP_1) | instid1(VALU_DEP_4)
	v_fmac_f32_e32 v48, v10, v14
	v_mul_f32_e32 v10, s52, v140
	v_dual_mul_f32 v14, s52, v15 :: v_dual_fmac_f32 v47, v11, v13
	s_delay_alu instid0(VALU_DEP_3) | instskip(SKIP_1) | instid1(VALU_DEP_3)
	v_dual_mul_f32 v9, s52, v9 :: v_dual_fmac_f32 v48, v12, v16
	v_dual_mul_f32 v12, s52, v144 :: v_dual_mul_f32 v11, s52, v51
	v_fmac_f32_e32 v47, v5, v14
	s_delay_alu instid0(VALU_DEP_3) | instskip(SKIP_2) | instid1(VALU_DEP_4)
	v_dual_mul_f32 v5, s52, v149 :: v_dual_fmac_f32 v48, v6, v10
	v_or_b32_e32 v6, v70, v148
	v_or_b32_e32 v10, v69, v147
	v_fmac_f32_e32 v47, v7, v9
	v_xor_b32_e32 v7, 1, v156
	v_fmac_f32_e32 v48, v8, v12
	v_mul_f32_e32 v6, s52, v6
	s_delay_alu instid0(VALU_DEP_4) | instskip(NEXT) | instid1(VALU_DEP_4)
	v_dual_mul_f32 v8, s52, v10 :: v_dual_fmac_f32 v47, v1, v5
	v_cmp_gt_i32_e64 s1, 32, v7
	s_delay_alu instid0(VALU_DEP_2) | instskip(NEXT) | instid1(VALU_DEP_2)
	v_dual_fmac_f32 v48, v2, v11 :: v_dual_fmac_f32 v47, v3, v8
	v_cndmask_b32_e64 v1, v156, v7, s1
	s_delay_alu instid0(VALU_DEP_2) | instskip(NEXT) | instid1(VALU_DEP_1)
	v_fmac_f32_e32 v48, v4, v6
	v_dual_add_f32 v1, v47, v48 :: v_dual_lshlrev_b32 v2, 2, v1
	ds_bpermute_b32 v2, v2, v1
	s_and_saveexec_b32 s40, vcc_lo
	s_cbranch_execz .LBB230_11
; %bb.401:                              ;   in Loop: Header=BB230_13 Depth=1
	v_add_nc_u32_e32 v3, v163, v161
	s_waitcnt lgkmcnt(0)
	v_add_f32_e32 v1, v1, v2
	s_delay_alu instid0(VALU_DEP_2) | instskip(NEXT) | instid1(VALU_DEP_1)
	v_cvt_f32_i32_e32 v3, v3
	v_mul_f32_e32 v3, s46, v3
	s_delay_alu instid0(VALU_DEP_1) | instskip(SKIP_1) | instid1(VALU_DEP_2)
	v_cndmask_b32_e64 v2, 0, v3, s0
	v_max_f32_e32 v3, v157, v157
	v_fmac_f32_e32 v2, s39, v1
	v_add_nc_u32_e32 v1, v158, v161
	s_delay_alu instid0(VALU_DEP_2) | instskip(NEXT) | instid1(VALU_DEP_2)
	v_max_f32_e32 v3, v3, v2
	v_cmp_gt_i32_e64 s1, s33, v1
	s_delay_alu instid0(VALU_DEP_1) | instskip(NEXT) | instid1(VALU_DEP_3)
	v_cndmask_b32_e64 v1, 0, v2, s1
	v_cndmask_b32_e64 v157, v157, v3, s1
	ds_store_b32 v164, v1
	s_branch .LBB230_11
.LBB230_402:
	s_or_b32 exec_lo, exec_lo, s51
.LBB230_403:
	s_delay_alu instid0(SALU_CYCLE_1)
	s_or_b32 exec_lo, exec_lo, s47
	v_xor_b32_e32 v1, 16, v156
	v_xor_b32_e32 v3, 8, v156
	;; [unrolled: 1-line block ×3, first 2 shown]
	v_max_f32_e32 v5, v157, v157
	v_and_b32_e32 v21, 31, v0
	v_cmp_gt_i32_e32 vcc_lo, 32, v1
	v_cndmask_b32_e32 v1, v156, v1, vcc_lo
	v_cmp_gt_i32_e32 vcc_lo, 32, v3
	v_cndmask_b32_e32 v3, v156, v3, vcc_lo
	s_delay_alu instid0(VALU_DEP_1)
	v_lshlrev_b32_e32 v4, 2, v3
	s_waitcnt lgkmcnt(0)
	v_lshlrev_b32_e32 v2, 2, v1
	ds_bpermute_b32 v1, v2, v157
	s_waitcnt lgkmcnt(0)
	v_max_f32_e32 v1, v1, v1
	s_delay_alu instid0(VALU_DEP_1)
	v_max_f32_e32 v1, v5, v1
	v_xor_b32_e32 v5, 4, v156
	ds_bpermute_b32 v3, v4, v1
	v_cmp_gt_i32_e32 vcc_lo, 32, v5
	v_cndmask_b32_e32 v5, v156, v5, vcc_lo
	v_cmp_gt_i32_e32 vcc_lo, 32, v6
	s_delay_alu instid0(VALU_DEP_2) | instskip(SKIP_1) | instid1(VALU_DEP_2)
	v_dual_cndmask_b32 v6, v156, v6 :: v_dual_lshlrev_b32 v5, 2, v5
	v_cmp_eq_u32_e32 vcc_lo, 0, v21
	v_lshlrev_b32_e32 v22, 2, v6
	s_waitcnt lgkmcnt(0)
	v_dual_max_f32 v3, v3, v3 :: v_dual_lshlrev_b32 v6, 2, v153
	s_delay_alu instid0(VALU_DEP_1) | instskip(SKIP_3) | instid1(VALU_DEP_1)
	v_max_f32_e32 v1, v1, v3
	ds_bpermute_b32 v3, v5, v1
	s_waitcnt lgkmcnt(0)
	v_max_f32_e32 v3, v3, v3
	v_max_f32_e32 v1, v1, v3
	ds_bpermute_b32 v3, v22, v1
	s_and_saveexec_b32 s0, vcc_lo
	s_cbranch_execz .LBB230_405
; %bb.404:
	s_waitcnt lgkmcnt(0)
	v_max_f32_e32 v3, v3, v3
	v_max_f32_e32 v1, v1, v1
	s_delay_alu instid0(VALU_DEP_1)
	v_max_f32_e32 v1, v1, v3
	ds_store_b32 v6, v1 offset:384
.LBB230_405:
	s_or_b32 exec_lo, exec_lo, s0
	v_cmp_gt_u32_e64 s0, 4, v21
	v_mov_b32_e32 v1, 0xff7fffff
	v_lshlrev_b32_e32 v7, 2, v21
	s_waitcnt lgkmcnt(0)
	s_barrier
	buffer_gl0_inv
	s_and_saveexec_b32 s1, s0
	s_cbranch_execz .LBB230_407
; %bb.406:
	ds_load_b32 v1, v7 offset:384
.LBB230_407:
	s_or_b32 exec_lo, exec_lo, s1
	s_waitcnt lgkmcnt(0)
	ds_bpermute_b32 v3, v22, v1
	v_xor_b32_e32 v8, 1, v156
	v_max_f32_e32 v1, v1, v1
	s_delay_alu instid0(VALU_DEP_2) | instskip(NEXT) | instid1(VALU_DEP_1)
	v_cmp_gt_i32_e64 s1, 32, v8
	v_cndmask_b32_e64 v8, v156, v8, s1
	s_sub_i32 s1, s16, s8
	s_delay_alu instid0(SALU_CYCLE_1) | instskip(NEXT) | instid1(VALU_DEP_1)
	s_lshl_b32 s1, s1, 4
	v_dual_mov_b32 v8, 0 :: v_dual_lshlrev_b32 v23, 2, v8
	s_add_i32 s1, s1, s43
	s_delay_alu instid0(SALU_CYCLE_1) | instskip(SKIP_3) | instid1(SALU_CYCLE_1)
	s_min_i32 s1, s1, s33
	s_waitcnt lgkmcnt(0)
	v_max_f32_e32 v3, v3, v3
	s_sub_i32 s4, s1, s43
	v_cmp_gt_i32_e64 s1, s4, v0
	s_delay_alu instid0(VALU_DEP_2) | instskip(SKIP_3) | instid1(VALU_DEP_1)
	v_max_f32_e32 v1, v1, v3
	ds_bpermute_b32 v3, v23, v1
	s_waitcnt lgkmcnt(0)
	v_max_f32_e32 v3, v3, v3
	v_max_f32_e32 v1, v1, v3
	v_lshl_add_u32 v3, v0, 2, 0x1a0
	ds_bpermute_b32 v1, v8, v1
	s_and_saveexec_b32 s5, s1
	s_cbranch_execz .LBB230_411
; %bb.408:
	v_lshl_add_u32 v9, v0, 2, 0x1a0
	v_mov_b32_e32 v8, 0
	v_mov_b32_e32 v10, v0
	s_mov_b32 s8, 0
	.p2align	6
.LBB230_409:                            ; =>This Inner Loop Header: Depth=1
	ds_load_b32 v11, v9
	v_add_nc_u32_e32 v10, 0x80, v10
	s_delay_alu instid0(VALU_DEP_1) | instskip(NEXT) | instid1(VALU_DEP_1)
	v_cmp_le_i32_e64 s3, s4, v10
	s_or_b32 s8, s3, s8
	s_waitcnt lgkmcnt(0)
	v_sub_f32_e32 v11, v11, v1
	s_delay_alu instid0(VALU_DEP_1) | instskip(NEXT) | instid1(VALU_DEP_1)
	v_mul_f32_e32 v11, 0x3fb8aa3b, v11
	v_exp_f32_e32 v11, v11
	ds_store_b32 v9, v11
	v_dual_add_f32 v8, v8, v11 :: v_dual_add_nc_u32 v9, 0x200, v9
	s_and_not1_b32 exec_lo, exec_lo, s8
	s_cbranch_execnz .LBB230_409
; %bb.410:
	s_or_b32 exec_lo, exec_lo, s8
.LBB230_411:
	s_delay_alu instid0(SALU_CYCLE_1)
	s_or_b32 exec_lo, exec_lo, s5
	ds_bpermute_b32 v2, v2, v8
	s_waitcnt lgkmcnt(0)
	v_add_f32_e32 v2, v8, v2
	ds_bpermute_b32 v4, v4, v2
	s_waitcnt lgkmcnt(0)
	v_add_f32_e32 v2, v2, v4
	;; [unrolled: 3-line block ×5, first 2 shown]
	s_and_saveexec_b32 s3, vcc_lo
	s_cbranch_execz .LBB230_413
; %bb.412:
	ds_store_b32 v6, v2 offset:400
.LBB230_413:
	s_or_b32 exec_lo, exec_lo, s3
	s_waitcnt lgkmcnt(0)
	s_barrier
	buffer_gl0_inv
	s_and_saveexec_b32 s3, s0
	s_cbranch_execz .LBB230_415
; %bb.414:
	ds_load_b32 v2, v7 offset:400
.LBB230_415:
	s_or_b32 exec_lo, exec_lo, s3
	s_waitcnt lgkmcnt(0)
	ds_bpermute_b32 v4, v22, v2
	s_waitcnt lgkmcnt(0)
	v_add_f32_e32 v2, v2, v4
	ds_bpermute_b32 v4, v23, v2
	s_waitcnt lgkmcnt(0)
	v_add_f32_e32 v2, v2, v4
	v_mov_b32_e32 v4, 0
	ds_bpermute_b32 v2, v4, v2
	s_and_saveexec_b32 s0, s1
	s_cbranch_execz .LBB230_418
; %bb.416:
	s_waitcnt lgkmcnt(0)
	v_add_f32_e32 v4, 0x358637bd, v2
	s_mov_b32 s1, 0
	s_delay_alu instid0(VALU_DEP_1) | instskip(SKIP_1) | instid1(VALU_DEP_2)
	v_div_scale_f32 v5, null, v4, v4, 1.0
	v_div_scale_f32 v8, vcc_lo, 1.0, v4, 1.0
	v_rcp_f32_e32 v6, v5
	s_waitcnt_depctr 0xfff
	v_fma_f32 v7, -v5, v6, 1.0
	s_delay_alu instid0(VALU_DEP_1) | instskip(NEXT) | instid1(VALU_DEP_1)
	v_fmac_f32_e32 v6, v7, v6
	v_mul_f32_e32 v7, v8, v6
	s_delay_alu instid0(VALU_DEP_1) | instskip(NEXT) | instid1(VALU_DEP_1)
	v_fma_f32 v9, -v5, v7, v8
	v_fmac_f32_e32 v7, v9, v6
	s_delay_alu instid0(VALU_DEP_1) | instskip(NEXT) | instid1(VALU_DEP_1)
	v_fma_f32 v5, -v5, v7, v8
	v_div_fmas_f32 v5, v5, v6, v7
	s_delay_alu instid0(VALU_DEP_1)
	v_div_fixup_f32 v4, v5, v4, 1.0
	v_mov_b32_e32 v5, v0
.LBB230_417:                            ; =>This Inner Loop Header: Depth=1
	ds_load_b32 v6, v3
	s_waitcnt lgkmcnt(0)
	v_dual_mul_f32 v6, v4, v6 :: v_dual_add_nc_u32 v5, 0x80, v5
	s_delay_alu instid0(VALU_DEP_1) | instskip(SKIP_3) | instid1(SALU_CYCLE_1)
	v_cmp_le_i32_e32 vcc_lo, s4, v5
	ds_store_b32 v3, v6
	v_add_nc_u32_e32 v3, 0x200, v3
	s_or_b32 s1, vcc_lo, s1
	s_and_not1_b32 exec_lo, exec_lo, s1
	s_cbranch_execnz .LBB230_417
.LBB230_418:
	s_or_b32 exec_lo, exec_lo, s0
	s_mul_i32 s0, s15, s14
	s_waitcnt lgkmcnt(0)
	s_mul_i32 s4, s0, s13
	s_mov_b32 s0, exec_lo
	s_barrier
	buffer_gl0_inv
	v_cmpx_eq_u32_e32 0, v0
	s_cbranch_execz .LBB230_420
; %bb.419:
	s_ashr_i32 s5, s4, 31
	s_mul_i32 s40, s15, s28
	s_lshl_b64 s[10:11], s[4:5], 2
	v_mov_b32_e32 v3, 0
	s_add_u32 s1, s22, s10
	s_addc_u32 s3, s23, s11
	s_ashr_i32 s41, s40, 31
	s_delay_alu instid0(SALU_CYCLE_1) | instskip(NEXT) | instid1(SALU_CYCLE_1)
	s_lshl_b64 s[22:23], s[40:41], 2
	s_add_u32 s1, s1, s22
	s_addc_u32 s3, s3, s23
	s_ashr_i32 s13, s12, 31
	s_delay_alu instid0(SALU_CYCLE_1) | instskip(NEXT) | instid1(SALU_CYCLE_1)
	s_lshl_b64 s[40:41], s[12:13], 2
	s_add_u32 s46, s1, s40
	s_addc_u32 s47, s3, s41
	s_add_u32 s1, s20, s10
	s_addc_u32 s3, s21, s11
	;; [unrolled: 2-line block ×4, first 2 shown]
	s_clause 0x1
	global_store_b32 v3, v1, s[46:47]
	global_store_b32 v3, v2, s[10:11]
.LBB230_420:
	s_or_b32 exec_lo, exec_lo, s0
	v_dual_mov_b32 v36, 0 :: v_dual_mov_b32 v35, 0
	v_dual_mov_b32 v33, 0 :: v_dual_and_b32 v24, 3, v0
	v_dual_mov_b32 v34, 0 :: v_dual_mov_b32 v31, 0
	v_dual_mov_b32 v32, 0 :: v_dual_mov_b32 v29, 0
	v_dual_mov_b32 v30, 0 :: v_dual_mov_b32 v27, 0
	v_dual_mov_b32 v28, 0 :: v_dual_mov_b32 v25, 0
	v_mov_b32_e32 v26, 0
	s_mov_b32 s8, 0
	s_and_saveexec_b32 s1, s2
	s_cbranch_execz .LBB230_834
; %bb.421:
	s_sub_i32 s5, s45, s17
	s_ashr_i32 s0, s44, 31
	s_add_u32 s13, s36, s44
	s_addc_u32 s0, s37, s0
	s_abs_i32 s10, s18
	v_dual_mov_b32 v25, 0 :: v_dual_and_b32 v4, 0x7c, v155
	v_cvt_f32_u32_e32 v1, s10
	s_sub_i32 s2, 0, s10
	v_dual_mov_b32 v26, 0 :: v_dual_lshlrev_b32 v5, 4, v24
	s_mov_b32 s11, s9
	s_delay_alu instid0(VALU_DEP_2)
	v_rcp_iflag_f32_e32 v3, v1
	v_lshlrev_b64 v[1:2], 2, v[49:50]
	v_add_co_u32 v7, s9, s13, v4
	s_add_i32 s38, s38, -1
	v_lshl_or_b32 v5, v153, 6, v5
	v_add_co_ci_u32_e64 v8, null, s0, 0, s9
	v_dual_mov_b32 v30, 0 :: v_dual_and_b32 v37, 12, v155
	s_waitcnt_depctr 0xfff
	v_dual_mov_b32 v6, 0 :: v_dual_mul_f32 v3, 0x4f7ffffe, v3
	v_dual_mov_b32 v27, 0 :: v_dual_mov_b32 v28, 0
	v_dual_mov_b32 v29, 0 :: v_dual_mov_b32 v32, 0
	s_delay_alu instid0(VALU_DEP_3) | instskip(SKIP_2) | instid1(VALU_DEP_3)
	v_cvt_u32_f32_e32 v3, v3
	v_dual_mov_b32 v31, 0 :: v_dual_mov_b32 v34, 0
	v_dual_mov_b32 v33, 0 :: v_dual_add_nc_u32 v38, 0x1a0, v5
	v_mul_lo_u32 v9, s2, v3
	s_lshl_b64 s[2:3], s[34:35], 2
	v_dual_mov_b32 v35, 0 :: v_dual_mov_b32 v36, 0
	s_add_u32 s0, s30, s2
	s_addc_u32 s2, s31, s3
	s_brev_b32 s9, 1
	s_mov_b32 s3, 0x7f800001
	s_delay_alu instid0(VALU_DEP_2) | instskip(SKIP_3) | instid1(VALU_DEP_3)
	v_mul_hi_u32 v4, v3, v9
	v_add_co_u32 v9, vcc_lo, s0, v1
	v_add_co_ci_u32_e32 v10, vcc_lo, s2, v2, vcc_lo
	s_mov_b32 s13, s8
	v_add_nc_u32_e32 v39, v3, v4
	s_branch .LBB230_424
.LBB230_422:                            ;   in Loop: Header=BB230_424 Depth=1
	s_or_b32 exec_lo, exec_lo, s0
	v_mul_f32_e32 v15, v2, v84
	s_delay_alu instid0(VALU_DEP_1) | instskip(SKIP_1) | instid1(VALU_DEP_2)
	v_dual_mul_f32 v14, v2, v86 :: v_dual_fmac_f32 v15, v1, v83
	v_mul_f32_e32 v16, v2, v80
	v_dual_fmac_f32 v14, v1, v85 :: v_dual_fmac_f32 v15, v3, v82
	s_delay_alu instid0(VALU_DEP_2) | instskip(SKIP_1) | instid1(VALU_DEP_3)
	v_dual_mul_f32 v17, v2, v76 :: v_dual_fmac_f32 v16, v1, v79
	v_mul_f32_e32 v18, v2, v72
	v_dual_mul_f32 v44, v2, v68 :: v_dual_fmac_f32 v15, v4, v81
	s_delay_alu instid0(VALU_DEP_3) | instskip(NEXT) | instid1(VALU_DEP_3)
	v_fmac_f32_e32 v17, v1, v75
	v_dual_mul_f32 v45, v2, v64 :: v_dual_fmac_f32 v18, v1, v71
	v_fmac_f32_e32 v14, v3, v20
	s_delay_alu instid0(VALU_DEP_4) | instskip(NEXT) | instid1(VALU_DEP_4)
	v_add_f32_e32 v27, v27, v15
	v_fmac_f32_e32 v17, v3, v74
	s_delay_alu instid0(VALU_DEP_4) | instskip(SKIP_2) | instid1(VALU_DEP_4)
	v_fmac_f32_e32 v45, v1, v63
	v_fmac_f32_e32 v44, v1, v67
	;; [unrolled: 1-line block ×3, first 2 shown]
	v_dual_fmac_f32 v16, v3, v78 :: v_dual_fmac_f32 v17, v4, v73
	s_delay_alu instid0(VALU_DEP_4) | instskip(SKIP_2) | instid1(VALU_DEP_4)
	v_fmac_f32_e32 v45, v3, v62
	v_fmac_f32_e32 v18, v3, v70
	;; [unrolled: 1-line block ×3, first 2 shown]
	v_dual_add_f32 v26, v26, v14 :: v_dual_add_f32 v29, v29, v17
	s_delay_alu instid0(VALU_DEP_4) | instskip(NEXT) | instid1(VALU_DEP_4)
	v_fmac_f32_e32 v45, v4, v61
	v_dual_fmac_f32 v18, v4, v69 :: v_dual_mul_f32 v15, v2, v56
	s_delay_alu instid0(VALU_DEP_4) | instskip(SKIP_1) | instid1(VALU_DEP_3)
	v_dual_fmac_f32 v44, v4, v65 :: v_dual_mul_f32 v17, v2, v43
	v_fmac_f32_e32 v16, v4, v77
	v_dual_add_f32 v32, v32, v45 :: v_dual_fmac_f32 v15, v1, v55
	s_delay_alu instid0(VALU_DEP_3) | instskip(NEXT) | instid1(VALU_DEP_3)
	v_add_f32_e32 v31, v31, v44
	v_dual_fmac_f32 v17, v1, v42 :: v_dual_add_f32 v28, v28, v16
	s_delay_alu instid0(VALU_DEP_3) | instskip(SKIP_1) | instid1(VALU_DEP_3)
	v_dual_mul_f32 v14, v2, v60 :: v_dual_fmac_f32 v15, v3, v54
	v_mul_f32_e32 v16, v2, v52
	v_dual_add_f32 v30, v30, v18 :: v_dual_fmac_f32 v17, v3, v41
	v_mul_f32_e32 v2, v2, v13
	s_delay_alu instid0(VALU_DEP_3) | instskip(NEXT) | instid1(VALU_DEP_3)
	v_dual_fmac_f32 v15, v4, v53 :: v_dual_fmac_f32 v16, v1, v51
	v_fmac_f32_e32 v17, v4, v40
	s_delay_alu instid0(VALU_DEP_3) | instskip(NEXT) | instid1(VALU_DEP_3)
	v_fmac_f32_e32 v2, v1, v12
	v_add_f32_e32 v34, v34, v15
	s_delay_alu instid0(VALU_DEP_4) | instskip(NEXT) | instid1(VALU_DEP_4)
	v_fmac_f32_e32 v16, v3, v50
	v_add_f32_e32 v36, v36, v17
	s_delay_alu instid0(VALU_DEP_2) | instskip(NEXT) | instid1(VALU_DEP_1)
	v_fmac_f32_e32 v16, v4, v48
	v_dual_fmac_f32 v14, v1, v59 :: v_dual_add_f32 v35, v35, v16
	s_delay_alu instid0(VALU_DEP_1) | instskip(NEXT) | instid1(VALU_DEP_1)
	v_fmac_f32_e32 v14, v3, v58
	v_fmac_f32_e32 v14, v4, v57
	s_delay_alu instid0(VALU_DEP_1) | instskip(NEXT) | instid1(VALU_DEP_1)
	v_dual_fmac_f32 v2, v3, v11 :: v_dual_add_f32 v33, v33, v14
	v_fmac_f32_e32 v2, v4, v5
	s_delay_alu instid0(VALU_DEP_1)
	v_add_f32_e32 v25, v25, v2
.LBB230_423:                            ;   in Loop: Header=BB230_424 Depth=1
	s_or_b32 exec_lo, exec_lo, s14
	v_add_nc_u32_e32 v49, 4, v49
	v_add_co_u32 v9, s0, v9, 16
	s_delay_alu instid0(VALU_DEP_1) | instskip(NEXT) | instid1(VALU_DEP_3)
	v_add_co_ci_u32_e64 v10, s0, 0, v10, s0
	v_cmp_le_i32_e32 vcc_lo, s16, v49
	v_add_nc_u32_e32 v154, 64, v154
	v_add_nc_u32_e32 v38, 0x100, v38
	s_or_b32 s13, vcc_lo, s13
	s_delay_alu instid0(SALU_CYCLE_1)
	s_and_not1_b32 exec_lo, exec_lo, s13
	s_cbranch_execz .LBB230_833
.LBB230_424:                            ; =>This Inner Loop Header: Depth=1
	v_sub_nc_u32_e32 v1, 0, v154
	s_delay_alu instid0(VALU_DEP_1) | instskip(NEXT) | instid1(VALU_DEP_1)
	v_max_i32_e32 v1, v154, v1
	v_mul_hi_u32 v2, v1, s29
	s_delay_alu instid0(VALU_DEP_1) | instskip(NEXT) | instid1(VALU_DEP_1)
	v_mul_lo_u32 v3, v2, s25
	v_sub_nc_u32_e32 v1, v1, v3
	v_add_nc_u32_e32 v3, 1, v2
	s_delay_alu instid0(VALU_DEP_2) | instskip(SKIP_1) | instid1(VALU_DEP_2)
	v_subrev_nc_u32_e32 v4, s25, v1
	v_cmp_le_u32_e32 vcc_lo, s25, v1
	v_dual_cndmask_b32 v2, v2, v3 :: v_dual_cndmask_b32 v1, v1, v4
	v_ashrrev_i32_e32 v3, 31, v154
	s_delay_alu instid0(VALU_DEP_2) | instskip(NEXT) | instid1(VALU_DEP_3)
	v_add_nc_u32_e32 v4, 1, v2
	v_cmp_le_u32_e32 vcc_lo, s25, v1
	s_delay_alu instid0(VALU_DEP_3) | instskip(NEXT) | instid1(VALU_DEP_3)
	v_xor_b32_e32 v3, s19, v3
	v_cndmask_b32_e32 v1, v2, v4, vcc_lo
	s_delay_alu instid0(VALU_DEP_1) | instskip(NEXT) | instid1(VALU_DEP_1)
	v_xor_b32_e32 v1, v1, v3
	v_sub_nc_u32_e32 v1, v1, v3
	s_delay_alu instid0(VALU_DEP_1) | instskip(SKIP_1) | instid1(VALU_DEP_2)
	v_add_nc_u32_e32 v2, s42, v1
	v_cmp_lt_i32_e64 s0, s5, v1
	v_sub_nc_u32_e32 v3, 0, v2
	s_delay_alu instid0(VALU_DEP_1) | instskip(NEXT) | instid1(VALU_DEP_1)
	v_max_i32_e32 v3, v2, v3
	v_mul_hi_u32 v4, v3, v39
	s_delay_alu instid0(VALU_DEP_1) | instskip(NEXT) | instid1(VALU_DEP_1)
	v_mul_lo_u32 v4, v4, s10
	v_sub_nc_u32_e32 v3, v3, v4
	s_delay_alu instid0(VALU_DEP_1) | instskip(SKIP_1) | instid1(VALU_DEP_2)
	v_subrev_nc_u32_e32 v4, s10, v3
	v_cmp_le_u32_e32 vcc_lo, s10, v3
	v_cndmask_b32_e32 v3, v3, v4, vcc_lo
	v_ashrrev_i32_e32 v2, 31, v2
	s_delay_alu instid0(VALU_DEP_2) | instskip(SKIP_1) | instid1(VALU_DEP_2)
	v_subrev_nc_u32_e32 v4, s10, v3
	v_cmp_le_u32_e32 vcc_lo, s10, v3
	v_cndmask_b32_e32 v3, v3, v4, vcc_lo
	s_delay_alu instid0(VALU_DEP_1) | instskip(NEXT) | instid1(VALU_DEP_1)
	v_xor_b32_e32 v3, v3, v2
	v_sub_nc_u32_e32 v2, v3, v2
	s_delay_alu instid0(VALU_DEP_1) | instskip(SKIP_1) | instid1(SALU_CYCLE_1)
	v_cmp_eq_u32_e32 vcc_lo, 0, v2
	s_or_b32 s0, vcc_lo, s0
	s_and_saveexec_b32 s14, s0
	s_cbranch_execz .LBB230_423
; %bb.425:                              ;   in Loop: Header=BB230_424 Depth=1
	global_load_b32 v1, v[9:10], off
	s_load_b32 s17, s[6:7], 0x0
	v_mov_b32_e32 v15, 0
	s_mov_b32 s0, exec_lo
	s_waitcnt vmcnt(0)
	v_mad_i64_i32 v[11:12], null, v1, s11, v[7:8]
	ds_load_b128 v[1:4], v38
	global_load_b32 v40, v[11:12], off
	s_waitcnt vmcnt(0)
	v_dual_mov_b32 v16, 0 :: v_dual_and_b32 v5, 0xff, v40
	s_delay_alu instid0(VALU_DEP_1) | instskip(NEXT) | instid1(VALU_DEP_2)
	v_dual_mov_b32 v13, v15 :: v_dual_mov_b32 v14, v16
	v_cmpx_ne_u16_e32 0, v5
	s_cbranch_execz .LBB230_433
; %bb.426:                              ;   in Loop: Header=BB230_424 Depth=1
	v_bfrev_b32_e32 v13, 1
	v_mov_b32_e32 v14, 0
	s_mov_b32 s2, exec_lo
	v_cmpx_ne_u16_e32 0x80, v5
	s_cbranch_execz .LBB230_432
; %bb.427:                              ;   in Loop: Header=BB230_424 Depth=1
	v_mov_b32_e32 v13, 0x7f800001
	v_dual_mov_b32 v14, 0 :: v_dual_and_b32 v17, 0x7f, v40
	s_mov_b32 s18, exec_lo
	s_delay_alu instid0(VALU_DEP_1)
	v_cmpx_ne_u32_e32 0x7f, v17
	s_cbranch_execz .LBB230_431
; %bb.428:                              ;   in Loop: Header=BB230_424 Depth=1
	v_and_b32_e32 v5, 7, v40
	v_lshrrev_b32_e32 v13, 3, v17
	s_mov_b32 s20, exec_lo
	v_cmpx_gt_u32_e32 8, v17
; %bb.429:                              ;   in Loop: Header=BB230_424 Depth=1
	s_delay_alu instid0(VALU_DEP_3) | instskip(NEXT) | instid1(VALU_DEP_1)
	v_clz_i32_u32_e32 v13, v5
	v_min_u32_e32 v13, 32, v13
	s_delay_alu instid0(VALU_DEP_1) | instskip(SKIP_1) | instid1(VALU_DEP_2)
	v_subrev_nc_u32_e32 v14, 28, v13
	v_sub_nc_u32_e32 v13, 29, v13
	v_lshlrev_b64 v[17:18], v14, v[5:6]
	s_delay_alu instid0(VALU_DEP_1)
	v_and_b32_e32 v5, 7, v17
; %bb.430:                              ;   in Loop: Header=BB230_424 Depth=1
	s_or_b32 exec_lo, exec_lo, s20
	v_lshlrev_b32_e32 v14, 24, v40
	s_delay_alu instid0(VALU_DEP_2) | instskip(SKIP_1) | instid1(VALU_DEP_3)
	v_lshlrev_b32_e32 v5, 20, v5
	v_lshl_add_u32 v13, v13, 23, 0x3c000000
	v_and_b32_e32 v14, 0x80000000, v14
	s_delay_alu instid0(VALU_DEP_1) | instskip(NEXT) | instid1(VALU_DEP_1)
	v_or3_b32 v5, v5, v14, v13
	v_dual_mov_b32 v14, v6 :: v_dual_mov_b32 v13, v5
.LBB230_431:                            ;   in Loop: Header=BB230_424 Depth=1
	s_or_b32 exec_lo, exec_lo, s18
.LBB230_432:                            ;   in Loop: Header=BB230_424 Depth=1
	s_delay_alu instid0(SALU_CYCLE_1)
	s_or_b32 exec_lo, exec_lo, s2
.LBB230_433:                            ;   in Loop: Header=BB230_424 Depth=1
	s_delay_alu instid0(SALU_CYCLE_1) | instskip(SKIP_2) | instid1(VALU_DEP_1)
	s_or_b32 exec_lo, exec_lo, s0
	v_lshrrev_b16 v5, 8, v40
	s_mov_b32 s0, exec_lo
	v_cmpx_ne_u16_e32 0, v5
	s_cbranch_execz .LBB230_441
; %bb.434:                              ;   in Loop: Header=BB230_424 Depth=1
	v_dual_mov_b32 v16, s9 :: v_dual_mov_b32 v15, s8
	s_mov_b32 s18, exec_lo
	v_cmpx_ne_u16_e32 0x80, v5
	s_cbranch_execz .LBB230_440
; %bb.435:                              ;   in Loop: Header=BB230_424 Depth=1
	s_mov_b32 s2, s8
	v_dual_mov_b32 v16, s3 :: v_dual_and_b32 v5, 0xffff, v5
	v_mov_b32_e32 v15, s2
	s_mov_b32 s2, exec_lo
	s_delay_alu instid0(VALU_DEP_2) | instskip(NEXT) | instid1(VALU_DEP_1)
	v_and_b32_e32 v17, 0x7f, v5
	v_cmpx_ne_u32_e32 0x7f, v17
	s_cbranch_execz .LBB230_439
; %bb.436:                              ;   in Loop: Header=BB230_424 Depth=1
	v_and_b32_e32 v5, 7, v5
	v_lshrrev_b32_e32 v15, 3, v17
	s_mov_b32 s20, exec_lo
	v_cmpx_gt_u32_e32 8, v17
; %bb.437:                              ;   in Loop: Header=BB230_424 Depth=1
	s_delay_alu instid0(VALU_DEP_3) | instskip(NEXT) | instid1(VALU_DEP_1)
	v_clz_i32_u32_e32 v15, v5
	v_min_u32_e32 v15, 32, v15
	s_delay_alu instid0(VALU_DEP_1) | instskip(SKIP_1) | instid1(VALU_DEP_2)
	v_subrev_nc_u32_e32 v16, 28, v15
	v_sub_nc_u32_e32 v15, 29, v15
	v_lshlrev_b64 v[16:17], v16, v[5:6]
	s_delay_alu instid0(VALU_DEP_1)
	v_and_b32_e32 v5, 7, v16
; %bb.438:                              ;   in Loop: Header=BB230_424 Depth=1
	s_or_b32 exec_lo, exec_lo, s20
	v_lshlrev_b32_e32 v16, 16, v40
	s_delay_alu instid0(VALU_DEP_2) | instskip(SKIP_1) | instid1(VALU_DEP_3)
	v_lshlrev_b32_e32 v5, 20, v5
	v_lshl_add_u32 v15, v15, 23, 0x3c000000
	v_and_b32_e32 v16, 0x80000000, v16
	s_delay_alu instid0(VALU_DEP_1)
	v_or3_b32 v16, v5, v16, v15
	v_mov_b32_e32 v15, v6
.LBB230_439:                            ;   in Loop: Header=BB230_424 Depth=1
	s_or_b32 exec_lo, exec_lo, s2
.LBB230_440:                            ;   in Loop: Header=BB230_424 Depth=1
	s_delay_alu instid0(SALU_CYCLE_1)
	s_or_b32 exec_lo, exec_lo, s18
.LBB230_441:                            ;   in Loop: Header=BB230_424 Depth=1
	s_delay_alu instid0(SALU_CYCLE_1) | instskip(SKIP_4) | instid1(VALU_DEP_2)
	s_or_b32 exec_lo, exec_lo, s0
	v_mov_b32_e32 v19, 0
	v_lshrrev_b32_e32 v41, 16, v40
	v_mov_b32_e32 v20, 0
	s_mov_b32 s0, exec_lo
	v_and_b32_e32 v5, 0xff, v41
	s_delay_alu instid0(VALU_DEP_2) | instskip(NEXT) | instid1(VALU_DEP_2)
	v_dual_mov_b32 v17, v19 :: v_dual_mov_b32 v18, v20
	v_cmpx_ne_u16_e32 0, v5
	s_cbranch_execz .LBB230_449
; %bb.442:                              ;   in Loop: Header=BB230_424 Depth=1
	v_bfrev_b32_e32 v17, 1
	v_mov_b32_e32 v18, 0
	s_mov_b32 s2, exec_lo
	v_cmpx_ne_u16_e32 0x80, v5
	s_cbranch_execz .LBB230_448
; %bb.443:                              ;   in Loop: Header=BB230_424 Depth=1
	v_mov_b32_e32 v17, 0x7f800001
	v_bfe_u32 v42, v40, 16, 7
	v_mov_b32_e32 v18, 0
	s_mov_b32 s18, exec_lo
	s_delay_alu instid0(VALU_DEP_2)
	v_cmpx_ne_u32_e32 0x7f, v42
	s_cbranch_execz .LBB230_447
; %bb.444:                              ;   in Loop: Header=BB230_424 Depth=1
	v_and_b32_e32 v5, 7, v41
	v_lshrrev_b32_e32 v17, 3, v42
	s_mov_b32 s20, exec_lo
	v_cmpx_gt_u32_e32 8, v42
; %bb.445:                              ;   in Loop: Header=BB230_424 Depth=1
	s_delay_alu instid0(VALU_DEP_3) | instskip(NEXT) | instid1(VALU_DEP_1)
	v_clz_i32_u32_e32 v17, v5
	v_min_u32_e32 v17, 32, v17
	s_delay_alu instid0(VALU_DEP_1) | instskip(SKIP_1) | instid1(VALU_DEP_2)
	v_subrev_nc_u32_e32 v18, 28, v17
	v_sub_nc_u32_e32 v17, 29, v17
	v_lshlrev_b64 v[42:43], v18, v[5:6]
	s_delay_alu instid0(VALU_DEP_1)
	v_and_b32_e32 v5, 7, v42
; %bb.446:                              ;   in Loop: Header=BB230_424 Depth=1
	s_or_b32 exec_lo, exec_lo, s20
	v_lshlrev_b32_e32 v18, 24, v41
	s_delay_alu instid0(VALU_DEP_2) | instskip(SKIP_1) | instid1(VALU_DEP_3)
	v_lshlrev_b32_e32 v5, 20, v5
	v_lshl_add_u32 v17, v17, 23, 0x3c000000
	v_and_b32_e32 v18, 0x80000000, v18
	s_delay_alu instid0(VALU_DEP_1) | instskip(NEXT) | instid1(VALU_DEP_1)
	v_or3_b32 v5, v5, v18, v17
	v_dual_mov_b32 v18, v6 :: v_dual_mov_b32 v17, v5
.LBB230_447:                            ;   in Loop: Header=BB230_424 Depth=1
	s_or_b32 exec_lo, exec_lo, s18
.LBB230_448:                            ;   in Loop: Header=BB230_424 Depth=1
	s_delay_alu instid0(SALU_CYCLE_1)
	s_or_b32 exec_lo, exec_lo, s2
.LBB230_449:                            ;   in Loop: Header=BB230_424 Depth=1
	s_delay_alu instid0(SALU_CYCLE_1) | instskip(NEXT) | instid1(SALU_CYCLE_1)
	s_or_b32 exec_lo, exec_lo, s0
	s_mov_b32 s0, exec_lo
	v_cmpx_lt_u32_e32 0xffffff, v40
	s_cbranch_execz .LBB230_457
; %bb.450:                              ;   in Loop: Header=BB230_424 Depth=1
	v_lshrrev_b32_e32 v41, 24, v40
	v_dual_mov_b32 v20, s9 :: v_dual_mov_b32 v19, s8
	s_mov_b32 s18, exec_lo
	s_delay_alu instid0(VALU_DEP_2)
	v_cmpx_ne_u32_e32 0x80, v41
	s_cbranch_execz .LBB230_456
; %bb.451:                              ;   in Loop: Header=BB230_424 Depth=1
	s_mov_b32 s2, s8
	v_bfe_u32 v40, v40, 24, 7
	v_dual_mov_b32 v20, s3 :: v_dual_mov_b32 v19, s2
	s_mov_b32 s2, exec_lo
	s_delay_alu instid0(VALU_DEP_2)
	v_cmpx_ne_u32_e32 0x7f, v40
	s_cbranch_execz .LBB230_455
; %bb.452:                              ;   in Loop: Header=BB230_424 Depth=1
	v_and_b32_e32 v5, 7, v41
	v_lshrrev_b32_e32 v19, 3, v40
	s_mov_b32 s20, exec_lo
	v_cmpx_gt_u32_e32 8, v40
; %bb.453:                              ;   in Loop: Header=BB230_424 Depth=1
	s_delay_alu instid0(VALU_DEP_3) | instskip(NEXT) | instid1(VALU_DEP_1)
	v_clz_i32_u32_e32 v19, v5
	v_min_u32_e32 v19, 32, v19
	s_delay_alu instid0(VALU_DEP_1) | instskip(SKIP_1) | instid1(VALU_DEP_2)
	v_subrev_nc_u32_e32 v20, 28, v19
	v_sub_nc_u32_e32 v19, 29, v19
	v_lshlrev_b64 v[42:43], v20, v[5:6]
	s_delay_alu instid0(VALU_DEP_1)
	v_and_b32_e32 v5, 7, v42
; %bb.454:                              ;   in Loop: Header=BB230_424 Depth=1
	s_or_b32 exec_lo, exec_lo, s20
	v_lshlrev_b32_e32 v20, 24, v41
	s_delay_alu instid0(VALU_DEP_2) | instskip(SKIP_1) | instid1(VALU_DEP_3)
	v_lshlrev_b32_e32 v5, 20, v5
	v_lshl_add_u32 v19, v19, 23, 0x3c000000
	v_and_b32_e32 v20, 0x80000000, v20
	s_delay_alu instid0(VALU_DEP_1)
	v_or3_b32 v20, v5, v20, v19
	v_mov_b32_e32 v19, v6
.LBB230_455:                            ;   in Loop: Header=BB230_424 Depth=1
	s_or_b32 exec_lo, exec_lo, s2
.LBB230_456:                            ;   in Loop: Header=BB230_424 Depth=1
	s_delay_alu instid0(SALU_CYCLE_1)
	s_or_b32 exec_lo, exec_lo, s18
.LBB230_457:                            ;   in Loop: Header=BB230_424 Depth=1
	s_delay_alu instid0(SALU_CYCLE_1)
	s_or_b32 exec_lo, exec_lo, s0
	v_or_b32_e32 v5, v16, v14
	v_add_nc_u32_e32 v44, v37, v154
	v_or_b32_e32 v13, v15, v13
	v_or_b32_e32 v14, v20, v18
	;; [unrolled: 1-line block ×3, first 2 shown]
	s_waitcnt lgkmcnt(0)
	v_mul_f32_e32 v43, s17, v5
	v_cmp_eq_u32_e32 vcc_lo, s38, v49
	v_mul_f32_e32 v42, s17, v13
	v_dual_mul_f32 v40, s17, v14 :: v_dual_add_nc_u32 v47, 1, v44
	v_dual_mul_f32 v41, s17, v15 :: v_dual_add_nc_u32 v46, 2, v44
	v_add_nc_u32_e32 v45, 3, v44
	s_and_saveexec_b32 s2, vcc_lo
; %bb.458:                              ;   in Loop: Header=BB230_424 Depth=1
	v_cmp_gt_i32_e64 s0, s33, v44
	s_delay_alu instid0(VALU_DEP_1) | instskip(SKIP_1) | instid1(VALU_DEP_1)
	v_cndmask_b32_e64 v42, 0, v42, s0
	v_cmp_gt_i32_e64 s0, s33, v47
	v_cndmask_b32_e64 v43, 0, v43, s0
	v_cmp_gt_i32_e64 s0, s33, v46
	s_delay_alu instid0(VALU_DEP_1) | instskip(SKIP_1) | instid1(VALU_DEP_1)
	v_cndmask_b32_e64 v41, 0, v41, s0
	v_cmp_gt_i32_e64 s0, s33, v45
	v_cndmask_b32_e64 v40, 0, v40, s0
; %bb.459:                              ;   in Loop: Header=BB230_424 Depth=1
	s_or_b32 exec_lo, exec_lo, s2
	global_load_b32 v48, v[11:12], off offset:128
	v_mov_b32_e32 v15, 0
	v_mov_b32_e32 v16, 0
	s_mov_b32 s2, exec_lo
	s_waitcnt vmcnt(0)
	v_and_b32_e32 v5, 0xff, v48
	s_delay_alu instid0(VALU_DEP_2) | instskip(NEXT) | instid1(VALU_DEP_2)
	v_dual_mov_b32 v13, v15 :: v_dual_mov_b32 v14, v16
	v_cmpx_ne_u16_e32 0, v5
	s_cbranch_execz .LBB230_467
; %bb.460:                              ;   in Loop: Header=BB230_424 Depth=1
	v_bfrev_b32_e32 v13, 1
	v_mov_b32_e32 v14, 0
	s_mov_b32 s18, exec_lo
	v_cmpx_ne_u16_e32 0x80, v5
	s_cbranch_execz .LBB230_466
; %bb.461:                              ;   in Loop: Header=BB230_424 Depth=1
	v_mov_b32_e32 v13, 0x7f800001
	v_dual_mov_b32 v14, 0 :: v_dual_and_b32 v17, 0x7f, v48
	s_mov_b32 s20, exec_lo
	s_delay_alu instid0(VALU_DEP_1)
	v_cmpx_ne_u32_e32 0x7f, v17
	s_cbranch_execz .LBB230_465
; %bb.462:                              ;   in Loop: Header=BB230_424 Depth=1
	v_and_b32_e32 v5, 7, v48
	v_lshrrev_b32_e32 v13, 3, v17
	s_mov_b32 s21, exec_lo
	v_cmpx_gt_u32_e32 8, v17
; %bb.463:                              ;   in Loop: Header=BB230_424 Depth=1
	s_delay_alu instid0(VALU_DEP_3) | instskip(NEXT) | instid1(VALU_DEP_1)
	v_clz_i32_u32_e32 v13, v5
	v_min_u32_e32 v13, 32, v13
	s_delay_alu instid0(VALU_DEP_1) | instskip(SKIP_1) | instid1(VALU_DEP_2)
	v_subrev_nc_u32_e32 v14, 28, v13
	v_sub_nc_u32_e32 v13, 29, v13
	v_lshlrev_b64 v[17:18], v14, v[5:6]
	s_delay_alu instid0(VALU_DEP_1)
	v_and_b32_e32 v5, 7, v17
; %bb.464:                              ;   in Loop: Header=BB230_424 Depth=1
	s_or_b32 exec_lo, exec_lo, s21
	v_lshlrev_b32_e32 v14, 24, v48
	s_delay_alu instid0(VALU_DEP_2) | instskip(SKIP_1) | instid1(VALU_DEP_3)
	v_lshlrev_b32_e32 v5, 20, v5
	v_lshl_add_u32 v13, v13, 23, 0x3c000000
	v_and_b32_e32 v14, 0x80000000, v14
	s_delay_alu instid0(VALU_DEP_1) | instskip(NEXT) | instid1(VALU_DEP_1)
	v_or3_b32 v5, v5, v14, v13
	v_dual_mov_b32 v14, v6 :: v_dual_mov_b32 v13, v5
.LBB230_465:                            ;   in Loop: Header=BB230_424 Depth=1
	s_or_b32 exec_lo, exec_lo, s20
.LBB230_466:                            ;   in Loop: Header=BB230_424 Depth=1
	s_delay_alu instid0(SALU_CYCLE_1)
	s_or_b32 exec_lo, exec_lo, s18
.LBB230_467:                            ;   in Loop: Header=BB230_424 Depth=1
	s_delay_alu instid0(SALU_CYCLE_1) | instskip(SKIP_2) | instid1(VALU_DEP_1)
	s_or_b32 exec_lo, exec_lo, s2
	v_lshrrev_b16 v5, 8, v48
	s_mov_b32 s18, exec_lo
	v_cmpx_ne_u16_e32 0, v5
	s_cbranch_execz .LBB230_475
; %bb.468:                              ;   in Loop: Header=BB230_424 Depth=1
	v_dual_mov_b32 v16, s9 :: v_dual_mov_b32 v15, s8
	s_mov_b32 s20, exec_lo
	v_cmpx_ne_u16_e32 0x80, v5
	s_cbranch_execz .LBB230_474
; %bb.469:                              ;   in Loop: Header=BB230_424 Depth=1
	s_mov_b32 s2, s8
	v_dual_mov_b32 v16, s3 :: v_dual_and_b32 v5, 0xffff, v5
	v_mov_b32_e32 v15, s2
	s_mov_b32 s2, exec_lo
	s_delay_alu instid0(VALU_DEP_2) | instskip(NEXT) | instid1(VALU_DEP_1)
	v_and_b32_e32 v17, 0x7f, v5
	v_cmpx_ne_u32_e32 0x7f, v17
	s_cbranch_execz .LBB230_473
; %bb.470:                              ;   in Loop: Header=BB230_424 Depth=1
	v_and_b32_e32 v5, 7, v5
	v_lshrrev_b32_e32 v15, 3, v17
	s_mov_b32 s21, exec_lo
	v_cmpx_gt_u32_e32 8, v17
; %bb.471:                              ;   in Loop: Header=BB230_424 Depth=1
	s_delay_alu instid0(VALU_DEP_3) | instskip(NEXT) | instid1(VALU_DEP_1)
	v_clz_i32_u32_e32 v15, v5
	v_min_u32_e32 v15, 32, v15
	s_delay_alu instid0(VALU_DEP_1) | instskip(SKIP_1) | instid1(VALU_DEP_2)
	v_subrev_nc_u32_e32 v16, 28, v15
	v_sub_nc_u32_e32 v15, 29, v15
	v_lshlrev_b64 v[16:17], v16, v[5:6]
	s_delay_alu instid0(VALU_DEP_1)
	v_and_b32_e32 v5, 7, v16
; %bb.472:                              ;   in Loop: Header=BB230_424 Depth=1
	s_or_b32 exec_lo, exec_lo, s21
	v_lshlrev_b32_e32 v16, 16, v48
	s_delay_alu instid0(VALU_DEP_2) | instskip(SKIP_1) | instid1(VALU_DEP_3)
	v_lshlrev_b32_e32 v5, 20, v5
	v_lshl_add_u32 v15, v15, 23, 0x3c000000
	v_and_b32_e32 v16, 0x80000000, v16
	s_delay_alu instid0(VALU_DEP_1)
	v_or3_b32 v16, v5, v16, v15
	v_mov_b32_e32 v15, v6
.LBB230_473:                            ;   in Loop: Header=BB230_424 Depth=1
	s_or_b32 exec_lo, exec_lo, s2
.LBB230_474:                            ;   in Loop: Header=BB230_424 Depth=1
	s_delay_alu instid0(SALU_CYCLE_1)
	s_or_b32 exec_lo, exec_lo, s20
.LBB230_475:                            ;   in Loop: Header=BB230_424 Depth=1
	s_delay_alu instid0(SALU_CYCLE_1) | instskip(SKIP_4) | instid1(VALU_DEP_2)
	s_or_b32 exec_lo, exec_lo, s18
	v_mov_b32_e32 v19, 0
	v_lshrrev_b32_e32 v50, 16, v48
	v_mov_b32_e32 v20, 0
	s_mov_b32 s2, exec_lo
	v_and_b32_e32 v5, 0xff, v50
	s_delay_alu instid0(VALU_DEP_2) | instskip(NEXT) | instid1(VALU_DEP_2)
	v_dual_mov_b32 v17, v19 :: v_dual_mov_b32 v18, v20
	v_cmpx_ne_u16_e32 0, v5
	s_cbranch_execz .LBB230_483
; %bb.476:                              ;   in Loop: Header=BB230_424 Depth=1
	v_bfrev_b32_e32 v17, 1
	v_mov_b32_e32 v18, 0
	s_mov_b32 s18, exec_lo
	v_cmpx_ne_u16_e32 0x80, v5
	s_cbranch_execz .LBB230_482
; %bb.477:                              ;   in Loop: Header=BB230_424 Depth=1
	v_mov_b32_e32 v17, 0x7f800001
	v_bfe_u32 v51, v48, 16, 7
	v_mov_b32_e32 v18, 0
	s_mov_b32 s20, exec_lo
	s_delay_alu instid0(VALU_DEP_2)
	v_cmpx_ne_u32_e32 0x7f, v51
	s_cbranch_execz .LBB230_481
; %bb.478:                              ;   in Loop: Header=BB230_424 Depth=1
	v_and_b32_e32 v5, 7, v50
	v_lshrrev_b32_e32 v17, 3, v51
	s_mov_b32 s21, exec_lo
	v_cmpx_gt_u32_e32 8, v51
; %bb.479:                              ;   in Loop: Header=BB230_424 Depth=1
	s_delay_alu instid0(VALU_DEP_3) | instskip(NEXT) | instid1(VALU_DEP_1)
	v_clz_i32_u32_e32 v17, v5
	v_min_u32_e32 v17, 32, v17
	s_delay_alu instid0(VALU_DEP_1) | instskip(SKIP_1) | instid1(VALU_DEP_2)
	v_subrev_nc_u32_e32 v18, 28, v17
	v_sub_nc_u32_e32 v17, 29, v17
	v_lshlrev_b64 v[51:52], v18, v[5:6]
	s_delay_alu instid0(VALU_DEP_1)
	v_and_b32_e32 v5, 7, v51
; %bb.480:                              ;   in Loop: Header=BB230_424 Depth=1
	s_or_b32 exec_lo, exec_lo, s21
	v_lshlrev_b32_e32 v18, 24, v50
	s_delay_alu instid0(VALU_DEP_2) | instskip(SKIP_1) | instid1(VALU_DEP_3)
	v_lshlrev_b32_e32 v5, 20, v5
	v_lshl_add_u32 v17, v17, 23, 0x3c000000
	v_and_b32_e32 v18, 0x80000000, v18
	s_delay_alu instid0(VALU_DEP_1) | instskip(NEXT) | instid1(VALU_DEP_1)
	v_or3_b32 v5, v5, v18, v17
	v_dual_mov_b32 v18, v6 :: v_dual_mov_b32 v17, v5
.LBB230_481:                            ;   in Loop: Header=BB230_424 Depth=1
	s_or_b32 exec_lo, exec_lo, s20
.LBB230_482:                            ;   in Loop: Header=BB230_424 Depth=1
	s_delay_alu instid0(SALU_CYCLE_1)
	s_or_b32 exec_lo, exec_lo, s18
.LBB230_483:                            ;   in Loop: Header=BB230_424 Depth=1
	s_delay_alu instid0(SALU_CYCLE_1) | instskip(NEXT) | instid1(SALU_CYCLE_1)
	s_or_b32 exec_lo, exec_lo, s2
	s_mov_b32 s18, exec_lo
	v_cmpx_lt_u32_e32 0xffffff, v48
	s_cbranch_execz .LBB230_491
; %bb.484:                              ;   in Loop: Header=BB230_424 Depth=1
	v_lshrrev_b32_e32 v50, 24, v48
	v_dual_mov_b32 v20, s9 :: v_dual_mov_b32 v19, s8
	s_mov_b32 s20, exec_lo
	s_delay_alu instid0(VALU_DEP_2)
	v_cmpx_ne_u32_e32 0x80, v50
	s_cbranch_execz .LBB230_490
; %bb.485:                              ;   in Loop: Header=BB230_424 Depth=1
	s_mov_b32 s2, s8
	v_bfe_u32 v48, v48, 24, 7
	v_dual_mov_b32 v20, s3 :: v_dual_mov_b32 v19, s2
	s_mov_b32 s2, exec_lo
	s_delay_alu instid0(VALU_DEP_2)
	v_cmpx_ne_u32_e32 0x7f, v48
	s_cbranch_execz .LBB230_489
; %bb.486:                              ;   in Loop: Header=BB230_424 Depth=1
	v_and_b32_e32 v5, 7, v50
	v_lshrrev_b32_e32 v19, 3, v48
	s_mov_b32 s21, exec_lo
	v_cmpx_gt_u32_e32 8, v48
; %bb.487:                              ;   in Loop: Header=BB230_424 Depth=1
	s_delay_alu instid0(VALU_DEP_3) | instskip(NEXT) | instid1(VALU_DEP_1)
	v_clz_i32_u32_e32 v19, v5
	v_min_u32_e32 v19, 32, v19
	s_delay_alu instid0(VALU_DEP_1) | instskip(SKIP_1) | instid1(VALU_DEP_2)
	v_subrev_nc_u32_e32 v20, 28, v19
	v_sub_nc_u32_e32 v19, 29, v19
	v_lshlrev_b64 v[51:52], v20, v[5:6]
	s_delay_alu instid0(VALU_DEP_1)
	v_and_b32_e32 v5, 7, v51
; %bb.488:                              ;   in Loop: Header=BB230_424 Depth=1
	s_or_b32 exec_lo, exec_lo, s21
	v_lshlrev_b32_e32 v20, 24, v50
	s_delay_alu instid0(VALU_DEP_2) | instskip(SKIP_1) | instid1(VALU_DEP_3)
	v_lshlrev_b32_e32 v5, 20, v5
	v_lshl_add_u32 v19, v19, 23, 0x3c000000
	v_and_b32_e32 v20, 0x80000000, v20
	s_delay_alu instid0(VALU_DEP_1)
	v_or3_b32 v20, v5, v20, v19
	v_mov_b32_e32 v19, v6
.LBB230_489:                            ;   in Loop: Header=BB230_424 Depth=1
	s_or_b32 exec_lo, exec_lo, s2
.LBB230_490:                            ;   in Loop: Header=BB230_424 Depth=1
	s_delay_alu instid0(SALU_CYCLE_1)
	s_or_b32 exec_lo, exec_lo, s20
.LBB230_491:                            ;   in Loop: Header=BB230_424 Depth=1
	s_delay_alu instid0(SALU_CYCLE_1)
	s_or_b32 exec_lo, exec_lo, s18
	v_or_b32_e32 v5, v16, v14
	v_or_b32_e32 v13, v15, v13
	;; [unrolled: 1-line block ×4, first 2 shown]
	s_mov_b32 s18, s17
	s_delay_alu instid0(SALU_CYCLE_1) | instskip(NEXT) | instid1(VALU_DEP_3)
	v_mul_f32_e32 v52, s18, v5
	v_dual_mul_f32 v51, s17, v13 :: v_dual_mul_f32 v48, s18, v14
	s_delay_alu instid0(VALU_DEP_3)
	v_mul_f32_e32 v50, s17, v15
	s_and_saveexec_b32 s2, vcc_lo
; %bb.492:                              ;   in Loop: Header=BB230_424 Depth=1
	v_cmp_gt_i32_e64 s0, s33, v44
	s_delay_alu instid0(VALU_DEP_1) | instskip(SKIP_1) | instid1(VALU_DEP_1)
	v_cndmask_b32_e64 v51, 0, v51, s0
	v_cmp_gt_i32_e64 s0, s33, v47
	v_cndmask_b32_e64 v52, 0, v52, s0
	v_cmp_gt_i32_e64 s0, s33, v46
	s_delay_alu instid0(VALU_DEP_1) | instskip(SKIP_1) | instid1(VALU_DEP_1)
	v_cndmask_b32_e64 v50, 0, v50, s0
	v_cmp_gt_i32_e64 s0, s33, v45
	v_cndmask_b32_e64 v48, 0, v48, s0
; %bb.493:                              ;   in Loop: Header=BB230_424 Depth=1
	s_or_b32 exec_lo, exec_lo, s2
	global_load_b32 v53, v[11:12], off offset:256
	v_mov_b32_e32 v15, 0
	v_mov_b32_e32 v16, 0
	s_mov_b32 s2, exec_lo
	s_waitcnt vmcnt(0)
	v_and_b32_e32 v5, 0xff, v53
	s_delay_alu instid0(VALU_DEP_2) | instskip(NEXT) | instid1(VALU_DEP_2)
	v_dual_mov_b32 v13, v15 :: v_dual_mov_b32 v14, v16
	v_cmpx_ne_u16_e32 0, v5
	s_cbranch_execz .LBB230_501
; %bb.494:                              ;   in Loop: Header=BB230_424 Depth=1
	v_bfrev_b32_e32 v13, 1
	v_mov_b32_e32 v14, 0
	s_mov_b32 s20, exec_lo
	v_cmpx_ne_u16_e32 0x80, v5
	s_cbranch_execz .LBB230_500
; %bb.495:                              ;   in Loop: Header=BB230_424 Depth=1
	v_mov_b32_e32 v13, 0x7f800001
	v_dual_mov_b32 v14, 0 :: v_dual_and_b32 v17, 0x7f, v53
	s_mov_b32 s21, exec_lo
	s_delay_alu instid0(VALU_DEP_1)
	v_cmpx_ne_u32_e32 0x7f, v17
	s_cbranch_execz .LBB230_499
; %bb.496:                              ;   in Loop: Header=BB230_424 Depth=1
	v_and_b32_e32 v5, 7, v53
	v_lshrrev_b32_e32 v13, 3, v17
	s_mov_b32 s22, exec_lo
	v_cmpx_gt_u32_e32 8, v17
; %bb.497:                              ;   in Loop: Header=BB230_424 Depth=1
	s_delay_alu instid0(VALU_DEP_3) | instskip(NEXT) | instid1(VALU_DEP_1)
	v_clz_i32_u32_e32 v13, v5
	v_min_u32_e32 v13, 32, v13
	s_delay_alu instid0(VALU_DEP_1) | instskip(SKIP_1) | instid1(VALU_DEP_2)
	v_subrev_nc_u32_e32 v14, 28, v13
	v_sub_nc_u32_e32 v13, 29, v13
	v_lshlrev_b64 v[17:18], v14, v[5:6]
	s_delay_alu instid0(VALU_DEP_1)
	v_and_b32_e32 v5, 7, v17
; %bb.498:                              ;   in Loop: Header=BB230_424 Depth=1
	s_or_b32 exec_lo, exec_lo, s22
	v_lshlrev_b32_e32 v14, 24, v53
	s_delay_alu instid0(VALU_DEP_2) | instskip(SKIP_1) | instid1(VALU_DEP_3)
	v_lshlrev_b32_e32 v5, 20, v5
	v_lshl_add_u32 v13, v13, 23, 0x3c000000
	v_and_b32_e32 v14, 0x80000000, v14
	s_delay_alu instid0(VALU_DEP_1) | instskip(NEXT) | instid1(VALU_DEP_1)
	v_or3_b32 v5, v5, v14, v13
	v_dual_mov_b32 v14, v6 :: v_dual_mov_b32 v13, v5
.LBB230_499:                            ;   in Loop: Header=BB230_424 Depth=1
	s_or_b32 exec_lo, exec_lo, s21
.LBB230_500:                            ;   in Loop: Header=BB230_424 Depth=1
	s_delay_alu instid0(SALU_CYCLE_1)
	s_or_b32 exec_lo, exec_lo, s20
.LBB230_501:                            ;   in Loop: Header=BB230_424 Depth=1
	s_delay_alu instid0(SALU_CYCLE_1) | instskip(SKIP_2) | instid1(VALU_DEP_1)
	s_or_b32 exec_lo, exec_lo, s2
	v_lshrrev_b16 v5, 8, v53
	s_mov_b32 s20, exec_lo
	v_cmpx_ne_u16_e32 0, v5
	s_cbranch_execz .LBB230_509
; %bb.502:                              ;   in Loop: Header=BB230_424 Depth=1
	v_dual_mov_b32 v16, s9 :: v_dual_mov_b32 v15, s8
	s_mov_b32 s21, exec_lo
	v_cmpx_ne_u16_e32 0x80, v5
	s_cbranch_execz .LBB230_508
; %bb.503:                              ;   in Loop: Header=BB230_424 Depth=1
	s_mov_b32 s2, s8
	v_dual_mov_b32 v16, s3 :: v_dual_and_b32 v5, 0xffff, v5
	v_mov_b32_e32 v15, s2
	s_mov_b32 s2, exec_lo
	s_delay_alu instid0(VALU_DEP_2) | instskip(NEXT) | instid1(VALU_DEP_1)
	v_and_b32_e32 v17, 0x7f, v5
	v_cmpx_ne_u32_e32 0x7f, v17
	s_cbranch_execz .LBB230_507
; %bb.504:                              ;   in Loop: Header=BB230_424 Depth=1
	v_and_b32_e32 v5, 7, v5
	v_lshrrev_b32_e32 v15, 3, v17
	s_mov_b32 s22, exec_lo
	v_cmpx_gt_u32_e32 8, v17
; %bb.505:                              ;   in Loop: Header=BB230_424 Depth=1
	s_delay_alu instid0(VALU_DEP_3) | instskip(NEXT) | instid1(VALU_DEP_1)
	v_clz_i32_u32_e32 v15, v5
	v_min_u32_e32 v15, 32, v15
	s_delay_alu instid0(VALU_DEP_1) | instskip(SKIP_1) | instid1(VALU_DEP_2)
	v_subrev_nc_u32_e32 v16, 28, v15
	v_sub_nc_u32_e32 v15, 29, v15
	v_lshlrev_b64 v[16:17], v16, v[5:6]
	s_delay_alu instid0(VALU_DEP_1)
	v_and_b32_e32 v5, 7, v16
; %bb.506:                              ;   in Loop: Header=BB230_424 Depth=1
	s_or_b32 exec_lo, exec_lo, s22
	v_lshlrev_b32_e32 v16, 16, v53
	s_delay_alu instid0(VALU_DEP_2) | instskip(SKIP_1) | instid1(VALU_DEP_3)
	v_lshlrev_b32_e32 v5, 20, v5
	v_lshl_add_u32 v15, v15, 23, 0x3c000000
	v_and_b32_e32 v16, 0x80000000, v16
	s_delay_alu instid0(VALU_DEP_1)
	v_or3_b32 v16, v5, v16, v15
	v_mov_b32_e32 v15, v6
.LBB230_507:                            ;   in Loop: Header=BB230_424 Depth=1
	s_or_b32 exec_lo, exec_lo, s2
.LBB230_508:                            ;   in Loop: Header=BB230_424 Depth=1
	s_delay_alu instid0(SALU_CYCLE_1)
	s_or_b32 exec_lo, exec_lo, s21
.LBB230_509:                            ;   in Loop: Header=BB230_424 Depth=1
	s_delay_alu instid0(SALU_CYCLE_1) | instskip(SKIP_4) | instid1(VALU_DEP_2)
	s_or_b32 exec_lo, exec_lo, s20
	v_mov_b32_e32 v19, 0
	v_lshrrev_b32_e32 v54, 16, v53
	v_mov_b32_e32 v20, 0
	s_mov_b32 s2, exec_lo
	v_and_b32_e32 v5, 0xff, v54
	s_delay_alu instid0(VALU_DEP_2) | instskip(NEXT) | instid1(VALU_DEP_2)
	v_dual_mov_b32 v17, v19 :: v_dual_mov_b32 v18, v20
	v_cmpx_ne_u16_e32 0, v5
	s_cbranch_execz .LBB230_517
; %bb.510:                              ;   in Loop: Header=BB230_424 Depth=1
	v_bfrev_b32_e32 v17, 1
	v_mov_b32_e32 v18, 0
	s_mov_b32 s20, exec_lo
	v_cmpx_ne_u16_e32 0x80, v5
	s_cbranch_execz .LBB230_516
; %bb.511:                              ;   in Loop: Header=BB230_424 Depth=1
	v_mov_b32_e32 v17, 0x7f800001
	v_bfe_u32 v55, v53, 16, 7
	v_mov_b32_e32 v18, 0
	s_mov_b32 s21, exec_lo
	s_delay_alu instid0(VALU_DEP_2)
	v_cmpx_ne_u32_e32 0x7f, v55
	s_cbranch_execz .LBB230_515
; %bb.512:                              ;   in Loop: Header=BB230_424 Depth=1
	v_and_b32_e32 v5, 7, v54
	v_lshrrev_b32_e32 v17, 3, v55
	s_mov_b32 s22, exec_lo
	v_cmpx_gt_u32_e32 8, v55
; %bb.513:                              ;   in Loop: Header=BB230_424 Depth=1
	s_delay_alu instid0(VALU_DEP_3) | instskip(NEXT) | instid1(VALU_DEP_1)
	v_clz_i32_u32_e32 v17, v5
	v_min_u32_e32 v17, 32, v17
	s_delay_alu instid0(VALU_DEP_1) | instskip(SKIP_1) | instid1(VALU_DEP_2)
	v_subrev_nc_u32_e32 v18, 28, v17
	v_sub_nc_u32_e32 v17, 29, v17
	v_lshlrev_b64 v[55:56], v18, v[5:6]
	s_delay_alu instid0(VALU_DEP_1)
	v_and_b32_e32 v5, 7, v55
; %bb.514:                              ;   in Loop: Header=BB230_424 Depth=1
	s_or_b32 exec_lo, exec_lo, s22
	v_lshlrev_b32_e32 v18, 24, v54
	s_delay_alu instid0(VALU_DEP_2) | instskip(SKIP_1) | instid1(VALU_DEP_3)
	v_lshlrev_b32_e32 v5, 20, v5
	v_lshl_add_u32 v17, v17, 23, 0x3c000000
	v_and_b32_e32 v18, 0x80000000, v18
	s_delay_alu instid0(VALU_DEP_1) | instskip(NEXT) | instid1(VALU_DEP_1)
	v_or3_b32 v5, v5, v18, v17
	v_dual_mov_b32 v18, v6 :: v_dual_mov_b32 v17, v5
.LBB230_515:                            ;   in Loop: Header=BB230_424 Depth=1
	s_or_b32 exec_lo, exec_lo, s21
.LBB230_516:                            ;   in Loop: Header=BB230_424 Depth=1
	s_delay_alu instid0(SALU_CYCLE_1)
	s_or_b32 exec_lo, exec_lo, s20
.LBB230_517:                            ;   in Loop: Header=BB230_424 Depth=1
	s_delay_alu instid0(SALU_CYCLE_1) | instskip(NEXT) | instid1(SALU_CYCLE_1)
	s_or_b32 exec_lo, exec_lo, s2
	s_mov_b32 s20, exec_lo
	v_cmpx_lt_u32_e32 0xffffff, v53
	s_cbranch_execz .LBB230_525
; %bb.518:                              ;   in Loop: Header=BB230_424 Depth=1
	v_lshrrev_b32_e32 v54, 24, v53
	v_dual_mov_b32 v20, s9 :: v_dual_mov_b32 v19, s8
	s_mov_b32 s21, exec_lo
	s_delay_alu instid0(VALU_DEP_2)
	v_cmpx_ne_u32_e32 0x80, v54
	s_cbranch_execz .LBB230_524
; %bb.519:                              ;   in Loop: Header=BB230_424 Depth=1
	s_mov_b32 s2, s8
	v_bfe_u32 v53, v53, 24, 7
	v_dual_mov_b32 v20, s3 :: v_dual_mov_b32 v19, s2
	s_mov_b32 s2, exec_lo
	s_delay_alu instid0(VALU_DEP_2)
	v_cmpx_ne_u32_e32 0x7f, v53
	s_cbranch_execz .LBB230_523
; %bb.520:                              ;   in Loop: Header=BB230_424 Depth=1
	v_and_b32_e32 v5, 7, v54
	v_lshrrev_b32_e32 v19, 3, v53
	s_mov_b32 s22, exec_lo
	v_cmpx_gt_u32_e32 8, v53
; %bb.521:                              ;   in Loop: Header=BB230_424 Depth=1
	s_delay_alu instid0(VALU_DEP_3) | instskip(NEXT) | instid1(VALU_DEP_1)
	v_clz_i32_u32_e32 v19, v5
	v_min_u32_e32 v19, 32, v19
	s_delay_alu instid0(VALU_DEP_1) | instskip(SKIP_1) | instid1(VALU_DEP_2)
	v_subrev_nc_u32_e32 v20, 28, v19
	v_sub_nc_u32_e32 v19, 29, v19
	v_lshlrev_b64 v[55:56], v20, v[5:6]
	s_delay_alu instid0(VALU_DEP_1)
	v_and_b32_e32 v5, 7, v55
; %bb.522:                              ;   in Loop: Header=BB230_424 Depth=1
	s_or_b32 exec_lo, exec_lo, s22
	v_lshlrev_b32_e32 v20, 24, v54
	s_delay_alu instid0(VALU_DEP_2) | instskip(SKIP_1) | instid1(VALU_DEP_3)
	v_lshlrev_b32_e32 v5, 20, v5
	v_lshl_add_u32 v19, v19, 23, 0x3c000000
	v_and_b32_e32 v20, 0x80000000, v20
	s_delay_alu instid0(VALU_DEP_1)
	v_or3_b32 v20, v5, v20, v19
	v_mov_b32_e32 v19, v6
.LBB230_523:                            ;   in Loop: Header=BB230_424 Depth=1
	s_or_b32 exec_lo, exec_lo, s2
.LBB230_524:                            ;   in Loop: Header=BB230_424 Depth=1
	s_delay_alu instid0(SALU_CYCLE_1)
	s_or_b32 exec_lo, exec_lo, s21
.LBB230_525:                            ;   in Loop: Header=BB230_424 Depth=1
	s_delay_alu instid0(SALU_CYCLE_1) | instskip(SKIP_4) | instid1(VALU_DEP_4)
	s_or_b32 exec_lo, exec_lo, s20
	v_or_b32_e32 v5, v16, v14
	v_or_b32_e32 v13, v15, v13
	;; [unrolled: 1-line block ×4, first 2 shown]
	v_mul_f32_e32 v56, s18, v5
	s_delay_alu instid0(VALU_DEP_4) | instskip(NEXT) | instid1(VALU_DEP_3)
	v_mul_f32_e32 v55, s17, v13
	v_dual_mul_f32 v53, s18, v14 :: v_dual_mul_f32 v54, s17, v15
	s_and_saveexec_b32 s2, vcc_lo
; %bb.526:                              ;   in Loop: Header=BB230_424 Depth=1
	v_cmp_gt_i32_e64 s0, s33, v44
	s_delay_alu instid0(VALU_DEP_1) | instskip(SKIP_1) | instid1(VALU_DEP_1)
	v_cndmask_b32_e64 v55, 0, v55, s0
	v_cmp_gt_i32_e64 s0, s33, v47
	v_cndmask_b32_e64 v56, 0, v56, s0
	v_cmp_gt_i32_e64 s0, s33, v46
	s_delay_alu instid0(VALU_DEP_1) | instskip(SKIP_1) | instid1(VALU_DEP_1)
	v_cndmask_b32_e64 v54, 0, v54, s0
	v_cmp_gt_i32_e64 s0, s33, v45
	v_cndmask_b32_e64 v53, 0, v53, s0
; %bb.527:                              ;   in Loop: Header=BB230_424 Depth=1
	s_or_b32 exec_lo, exec_lo, s2
	global_load_b32 v57, v[11:12], off offset:384
	v_mov_b32_e32 v15, 0
	v_mov_b32_e32 v16, 0
	s_mov_b32 s2, exec_lo
	s_waitcnt vmcnt(0)
	v_and_b32_e32 v5, 0xff, v57
	s_delay_alu instid0(VALU_DEP_2) | instskip(NEXT) | instid1(VALU_DEP_2)
	v_dual_mov_b32 v13, v15 :: v_dual_mov_b32 v14, v16
	v_cmpx_ne_u16_e32 0, v5
	s_cbranch_execz .LBB230_535
; %bb.528:                              ;   in Loop: Header=BB230_424 Depth=1
	v_bfrev_b32_e32 v13, 1
	v_mov_b32_e32 v14, 0
	s_mov_b32 s20, exec_lo
	v_cmpx_ne_u16_e32 0x80, v5
	s_cbranch_execz .LBB230_534
; %bb.529:                              ;   in Loop: Header=BB230_424 Depth=1
	v_mov_b32_e32 v13, 0x7f800001
	v_dual_mov_b32 v14, 0 :: v_dual_and_b32 v17, 0x7f, v57
	s_mov_b32 s21, exec_lo
	s_delay_alu instid0(VALU_DEP_1)
	v_cmpx_ne_u32_e32 0x7f, v17
	s_cbranch_execz .LBB230_533
; %bb.530:                              ;   in Loop: Header=BB230_424 Depth=1
	v_and_b32_e32 v5, 7, v57
	v_lshrrev_b32_e32 v13, 3, v17
	s_mov_b32 s22, exec_lo
	v_cmpx_gt_u32_e32 8, v17
; %bb.531:                              ;   in Loop: Header=BB230_424 Depth=1
	s_delay_alu instid0(VALU_DEP_3) | instskip(NEXT) | instid1(VALU_DEP_1)
	v_clz_i32_u32_e32 v13, v5
	v_min_u32_e32 v13, 32, v13
	s_delay_alu instid0(VALU_DEP_1) | instskip(SKIP_1) | instid1(VALU_DEP_2)
	v_subrev_nc_u32_e32 v14, 28, v13
	v_sub_nc_u32_e32 v13, 29, v13
	v_lshlrev_b64 v[17:18], v14, v[5:6]
	s_delay_alu instid0(VALU_DEP_1)
	v_and_b32_e32 v5, 7, v17
; %bb.532:                              ;   in Loop: Header=BB230_424 Depth=1
	s_or_b32 exec_lo, exec_lo, s22
	v_lshlrev_b32_e32 v14, 24, v57
	s_delay_alu instid0(VALU_DEP_2) | instskip(SKIP_1) | instid1(VALU_DEP_3)
	v_lshlrev_b32_e32 v5, 20, v5
	v_lshl_add_u32 v13, v13, 23, 0x3c000000
	v_and_b32_e32 v14, 0x80000000, v14
	s_delay_alu instid0(VALU_DEP_1) | instskip(NEXT) | instid1(VALU_DEP_1)
	v_or3_b32 v5, v5, v14, v13
	v_dual_mov_b32 v14, v6 :: v_dual_mov_b32 v13, v5
.LBB230_533:                            ;   in Loop: Header=BB230_424 Depth=1
	s_or_b32 exec_lo, exec_lo, s21
.LBB230_534:                            ;   in Loop: Header=BB230_424 Depth=1
	s_delay_alu instid0(SALU_CYCLE_1)
	s_or_b32 exec_lo, exec_lo, s20
.LBB230_535:                            ;   in Loop: Header=BB230_424 Depth=1
	s_delay_alu instid0(SALU_CYCLE_1) | instskip(SKIP_2) | instid1(VALU_DEP_1)
	s_or_b32 exec_lo, exec_lo, s2
	v_lshrrev_b16 v5, 8, v57
	s_mov_b32 s20, exec_lo
	v_cmpx_ne_u16_e32 0, v5
	s_cbranch_execz .LBB230_543
; %bb.536:                              ;   in Loop: Header=BB230_424 Depth=1
	v_dual_mov_b32 v16, s9 :: v_dual_mov_b32 v15, s8
	s_mov_b32 s21, exec_lo
	v_cmpx_ne_u16_e32 0x80, v5
	s_cbranch_execz .LBB230_542
; %bb.537:                              ;   in Loop: Header=BB230_424 Depth=1
	s_mov_b32 s2, s8
	v_dual_mov_b32 v16, s3 :: v_dual_and_b32 v5, 0xffff, v5
	v_mov_b32_e32 v15, s2
	s_mov_b32 s2, exec_lo
	s_delay_alu instid0(VALU_DEP_2) | instskip(NEXT) | instid1(VALU_DEP_1)
	v_and_b32_e32 v17, 0x7f, v5
	v_cmpx_ne_u32_e32 0x7f, v17
	s_cbranch_execz .LBB230_541
; %bb.538:                              ;   in Loop: Header=BB230_424 Depth=1
	v_and_b32_e32 v5, 7, v5
	v_lshrrev_b32_e32 v15, 3, v17
	s_mov_b32 s22, exec_lo
	v_cmpx_gt_u32_e32 8, v17
; %bb.539:                              ;   in Loop: Header=BB230_424 Depth=1
	s_delay_alu instid0(VALU_DEP_3) | instskip(NEXT) | instid1(VALU_DEP_1)
	v_clz_i32_u32_e32 v15, v5
	v_min_u32_e32 v15, 32, v15
	s_delay_alu instid0(VALU_DEP_1) | instskip(SKIP_1) | instid1(VALU_DEP_2)
	v_subrev_nc_u32_e32 v16, 28, v15
	v_sub_nc_u32_e32 v15, 29, v15
	v_lshlrev_b64 v[16:17], v16, v[5:6]
	s_delay_alu instid0(VALU_DEP_1)
	v_and_b32_e32 v5, 7, v16
; %bb.540:                              ;   in Loop: Header=BB230_424 Depth=1
	s_or_b32 exec_lo, exec_lo, s22
	v_lshlrev_b32_e32 v16, 16, v57
	s_delay_alu instid0(VALU_DEP_2) | instskip(SKIP_1) | instid1(VALU_DEP_3)
	v_lshlrev_b32_e32 v5, 20, v5
	v_lshl_add_u32 v15, v15, 23, 0x3c000000
	v_and_b32_e32 v16, 0x80000000, v16
	s_delay_alu instid0(VALU_DEP_1)
	v_or3_b32 v16, v5, v16, v15
	v_mov_b32_e32 v15, v6
.LBB230_541:                            ;   in Loop: Header=BB230_424 Depth=1
	s_or_b32 exec_lo, exec_lo, s2
.LBB230_542:                            ;   in Loop: Header=BB230_424 Depth=1
	s_delay_alu instid0(SALU_CYCLE_1)
	s_or_b32 exec_lo, exec_lo, s21
.LBB230_543:                            ;   in Loop: Header=BB230_424 Depth=1
	s_delay_alu instid0(SALU_CYCLE_1) | instskip(SKIP_4) | instid1(VALU_DEP_2)
	s_or_b32 exec_lo, exec_lo, s20
	v_mov_b32_e32 v19, 0
	v_lshrrev_b32_e32 v58, 16, v57
	v_mov_b32_e32 v20, 0
	s_mov_b32 s2, exec_lo
	v_and_b32_e32 v5, 0xff, v58
	s_delay_alu instid0(VALU_DEP_2) | instskip(NEXT) | instid1(VALU_DEP_2)
	v_dual_mov_b32 v17, v19 :: v_dual_mov_b32 v18, v20
	v_cmpx_ne_u16_e32 0, v5
	s_cbranch_execz .LBB230_551
; %bb.544:                              ;   in Loop: Header=BB230_424 Depth=1
	v_bfrev_b32_e32 v17, 1
	v_mov_b32_e32 v18, 0
	s_mov_b32 s20, exec_lo
	v_cmpx_ne_u16_e32 0x80, v5
	s_cbranch_execz .LBB230_550
; %bb.545:                              ;   in Loop: Header=BB230_424 Depth=1
	v_mov_b32_e32 v17, 0x7f800001
	v_bfe_u32 v59, v57, 16, 7
	v_mov_b32_e32 v18, 0
	s_mov_b32 s21, exec_lo
	s_delay_alu instid0(VALU_DEP_2)
	v_cmpx_ne_u32_e32 0x7f, v59
	s_cbranch_execz .LBB230_549
; %bb.546:                              ;   in Loop: Header=BB230_424 Depth=1
	v_and_b32_e32 v5, 7, v58
	v_lshrrev_b32_e32 v17, 3, v59
	s_mov_b32 s22, exec_lo
	v_cmpx_gt_u32_e32 8, v59
; %bb.547:                              ;   in Loop: Header=BB230_424 Depth=1
	s_delay_alu instid0(VALU_DEP_3) | instskip(NEXT) | instid1(VALU_DEP_1)
	v_clz_i32_u32_e32 v17, v5
	v_min_u32_e32 v17, 32, v17
	s_delay_alu instid0(VALU_DEP_1) | instskip(SKIP_1) | instid1(VALU_DEP_2)
	v_subrev_nc_u32_e32 v18, 28, v17
	v_sub_nc_u32_e32 v17, 29, v17
	v_lshlrev_b64 v[59:60], v18, v[5:6]
	s_delay_alu instid0(VALU_DEP_1)
	v_and_b32_e32 v5, 7, v59
; %bb.548:                              ;   in Loop: Header=BB230_424 Depth=1
	s_or_b32 exec_lo, exec_lo, s22
	v_lshlrev_b32_e32 v18, 24, v58
	s_delay_alu instid0(VALU_DEP_2) | instskip(SKIP_1) | instid1(VALU_DEP_3)
	v_lshlrev_b32_e32 v5, 20, v5
	v_lshl_add_u32 v17, v17, 23, 0x3c000000
	v_and_b32_e32 v18, 0x80000000, v18
	s_delay_alu instid0(VALU_DEP_1) | instskip(NEXT) | instid1(VALU_DEP_1)
	v_or3_b32 v5, v5, v18, v17
	v_dual_mov_b32 v18, v6 :: v_dual_mov_b32 v17, v5
.LBB230_549:                            ;   in Loop: Header=BB230_424 Depth=1
	s_or_b32 exec_lo, exec_lo, s21
.LBB230_550:                            ;   in Loop: Header=BB230_424 Depth=1
	s_delay_alu instid0(SALU_CYCLE_1)
	s_or_b32 exec_lo, exec_lo, s20
.LBB230_551:                            ;   in Loop: Header=BB230_424 Depth=1
	s_delay_alu instid0(SALU_CYCLE_1) | instskip(NEXT) | instid1(SALU_CYCLE_1)
	s_or_b32 exec_lo, exec_lo, s2
	s_mov_b32 s20, exec_lo
	v_cmpx_lt_u32_e32 0xffffff, v57
	s_cbranch_execz .LBB230_559
; %bb.552:                              ;   in Loop: Header=BB230_424 Depth=1
	v_lshrrev_b32_e32 v58, 24, v57
	v_dual_mov_b32 v20, s9 :: v_dual_mov_b32 v19, s8
	s_mov_b32 s21, exec_lo
	s_delay_alu instid0(VALU_DEP_2)
	v_cmpx_ne_u32_e32 0x80, v58
	s_cbranch_execz .LBB230_558
; %bb.553:                              ;   in Loop: Header=BB230_424 Depth=1
	s_mov_b32 s2, s8
	v_bfe_u32 v57, v57, 24, 7
	v_dual_mov_b32 v20, s3 :: v_dual_mov_b32 v19, s2
	s_mov_b32 s2, exec_lo
	s_delay_alu instid0(VALU_DEP_2)
	v_cmpx_ne_u32_e32 0x7f, v57
	s_cbranch_execz .LBB230_557
; %bb.554:                              ;   in Loop: Header=BB230_424 Depth=1
	v_and_b32_e32 v5, 7, v58
	v_lshrrev_b32_e32 v19, 3, v57
	s_mov_b32 s22, exec_lo
	v_cmpx_gt_u32_e32 8, v57
; %bb.555:                              ;   in Loop: Header=BB230_424 Depth=1
	s_delay_alu instid0(VALU_DEP_3) | instskip(NEXT) | instid1(VALU_DEP_1)
	v_clz_i32_u32_e32 v19, v5
	v_min_u32_e32 v19, 32, v19
	s_delay_alu instid0(VALU_DEP_1) | instskip(SKIP_1) | instid1(VALU_DEP_2)
	v_subrev_nc_u32_e32 v20, 28, v19
	v_sub_nc_u32_e32 v19, 29, v19
	v_lshlrev_b64 v[59:60], v20, v[5:6]
	s_delay_alu instid0(VALU_DEP_1)
	v_and_b32_e32 v5, 7, v59
; %bb.556:                              ;   in Loop: Header=BB230_424 Depth=1
	s_or_b32 exec_lo, exec_lo, s22
	v_lshlrev_b32_e32 v20, 24, v58
	s_delay_alu instid0(VALU_DEP_2) | instskip(SKIP_1) | instid1(VALU_DEP_3)
	v_lshlrev_b32_e32 v5, 20, v5
	v_lshl_add_u32 v19, v19, 23, 0x3c000000
	v_and_b32_e32 v20, 0x80000000, v20
	s_delay_alu instid0(VALU_DEP_1)
	v_or3_b32 v20, v5, v20, v19
	v_mov_b32_e32 v19, v6
.LBB230_557:                            ;   in Loop: Header=BB230_424 Depth=1
	s_or_b32 exec_lo, exec_lo, s2
.LBB230_558:                            ;   in Loop: Header=BB230_424 Depth=1
	s_delay_alu instid0(SALU_CYCLE_1)
	s_or_b32 exec_lo, exec_lo, s21
.LBB230_559:                            ;   in Loop: Header=BB230_424 Depth=1
	s_delay_alu instid0(SALU_CYCLE_1) | instskip(SKIP_4) | instid1(VALU_DEP_4)
	s_or_b32 exec_lo, exec_lo, s20
	v_or_b32_e32 v5, v16, v14
	v_or_b32_e32 v13, v15, v13
	;; [unrolled: 1-line block ×4, first 2 shown]
	v_mul_f32_e32 v60, s18, v5
	s_delay_alu instid0(VALU_DEP_4) | instskip(NEXT) | instid1(VALU_DEP_3)
	v_mul_f32_e32 v59, s17, v13
	v_dual_mul_f32 v57, s18, v14 :: v_dual_mul_f32 v58, s17, v15
	s_and_saveexec_b32 s2, vcc_lo
; %bb.560:                              ;   in Loop: Header=BB230_424 Depth=1
	v_cmp_gt_i32_e64 s0, s33, v44
	s_delay_alu instid0(VALU_DEP_1) | instskip(SKIP_1) | instid1(VALU_DEP_1)
	v_cndmask_b32_e64 v59, 0, v59, s0
	v_cmp_gt_i32_e64 s0, s33, v47
	v_cndmask_b32_e64 v60, 0, v60, s0
	v_cmp_gt_i32_e64 s0, s33, v46
	s_delay_alu instid0(VALU_DEP_1) | instskip(SKIP_1) | instid1(VALU_DEP_1)
	v_cndmask_b32_e64 v58, 0, v58, s0
	v_cmp_gt_i32_e64 s0, s33, v45
	v_cndmask_b32_e64 v57, 0, v57, s0
; %bb.561:                              ;   in Loop: Header=BB230_424 Depth=1
	s_or_b32 exec_lo, exec_lo, s2
	global_load_b32 v61, v[11:12], off offset:512
	v_mov_b32_e32 v15, 0
	v_mov_b32_e32 v16, 0
	s_mov_b32 s2, exec_lo
	s_waitcnt vmcnt(0)
	v_and_b32_e32 v5, 0xff, v61
	s_delay_alu instid0(VALU_DEP_2) | instskip(NEXT) | instid1(VALU_DEP_2)
	v_dual_mov_b32 v13, v15 :: v_dual_mov_b32 v14, v16
	v_cmpx_ne_u16_e32 0, v5
	s_cbranch_execz .LBB230_569
; %bb.562:                              ;   in Loop: Header=BB230_424 Depth=1
	v_bfrev_b32_e32 v13, 1
	v_mov_b32_e32 v14, 0
	s_mov_b32 s20, exec_lo
	v_cmpx_ne_u16_e32 0x80, v5
	s_cbranch_execz .LBB230_568
; %bb.563:                              ;   in Loop: Header=BB230_424 Depth=1
	v_mov_b32_e32 v13, 0x7f800001
	v_dual_mov_b32 v14, 0 :: v_dual_and_b32 v17, 0x7f, v61
	s_mov_b32 s21, exec_lo
	s_delay_alu instid0(VALU_DEP_1)
	v_cmpx_ne_u32_e32 0x7f, v17
	s_cbranch_execz .LBB230_567
; %bb.564:                              ;   in Loop: Header=BB230_424 Depth=1
	v_and_b32_e32 v5, 7, v61
	v_lshrrev_b32_e32 v13, 3, v17
	s_mov_b32 s22, exec_lo
	v_cmpx_gt_u32_e32 8, v17
; %bb.565:                              ;   in Loop: Header=BB230_424 Depth=1
	s_delay_alu instid0(VALU_DEP_3) | instskip(NEXT) | instid1(VALU_DEP_1)
	v_clz_i32_u32_e32 v13, v5
	v_min_u32_e32 v13, 32, v13
	s_delay_alu instid0(VALU_DEP_1) | instskip(SKIP_1) | instid1(VALU_DEP_2)
	v_subrev_nc_u32_e32 v14, 28, v13
	v_sub_nc_u32_e32 v13, 29, v13
	v_lshlrev_b64 v[17:18], v14, v[5:6]
	s_delay_alu instid0(VALU_DEP_1)
	v_and_b32_e32 v5, 7, v17
; %bb.566:                              ;   in Loop: Header=BB230_424 Depth=1
	s_or_b32 exec_lo, exec_lo, s22
	v_lshlrev_b32_e32 v14, 24, v61
	s_delay_alu instid0(VALU_DEP_2) | instskip(SKIP_1) | instid1(VALU_DEP_3)
	v_lshlrev_b32_e32 v5, 20, v5
	v_lshl_add_u32 v13, v13, 23, 0x3c000000
	v_and_b32_e32 v14, 0x80000000, v14
	s_delay_alu instid0(VALU_DEP_1) | instskip(NEXT) | instid1(VALU_DEP_1)
	v_or3_b32 v5, v5, v14, v13
	v_dual_mov_b32 v14, v6 :: v_dual_mov_b32 v13, v5
.LBB230_567:                            ;   in Loop: Header=BB230_424 Depth=1
	s_or_b32 exec_lo, exec_lo, s21
.LBB230_568:                            ;   in Loop: Header=BB230_424 Depth=1
	s_delay_alu instid0(SALU_CYCLE_1)
	s_or_b32 exec_lo, exec_lo, s20
.LBB230_569:                            ;   in Loop: Header=BB230_424 Depth=1
	s_delay_alu instid0(SALU_CYCLE_1) | instskip(SKIP_2) | instid1(VALU_DEP_1)
	s_or_b32 exec_lo, exec_lo, s2
	v_lshrrev_b16 v5, 8, v61
	s_mov_b32 s20, exec_lo
	v_cmpx_ne_u16_e32 0, v5
	s_cbranch_execz .LBB230_577
; %bb.570:                              ;   in Loop: Header=BB230_424 Depth=1
	v_dual_mov_b32 v16, s9 :: v_dual_mov_b32 v15, s8
	s_mov_b32 s21, exec_lo
	v_cmpx_ne_u16_e32 0x80, v5
	s_cbranch_execz .LBB230_576
; %bb.571:                              ;   in Loop: Header=BB230_424 Depth=1
	s_mov_b32 s2, s8
	v_dual_mov_b32 v16, s3 :: v_dual_and_b32 v5, 0xffff, v5
	v_mov_b32_e32 v15, s2
	s_mov_b32 s2, exec_lo
	s_delay_alu instid0(VALU_DEP_2) | instskip(NEXT) | instid1(VALU_DEP_1)
	v_and_b32_e32 v17, 0x7f, v5
	v_cmpx_ne_u32_e32 0x7f, v17
	s_cbranch_execz .LBB230_575
; %bb.572:                              ;   in Loop: Header=BB230_424 Depth=1
	v_and_b32_e32 v5, 7, v5
	v_lshrrev_b32_e32 v15, 3, v17
	s_mov_b32 s22, exec_lo
	v_cmpx_gt_u32_e32 8, v17
; %bb.573:                              ;   in Loop: Header=BB230_424 Depth=1
	s_delay_alu instid0(VALU_DEP_3) | instskip(NEXT) | instid1(VALU_DEP_1)
	v_clz_i32_u32_e32 v15, v5
	v_min_u32_e32 v15, 32, v15
	s_delay_alu instid0(VALU_DEP_1) | instskip(SKIP_1) | instid1(VALU_DEP_2)
	v_subrev_nc_u32_e32 v16, 28, v15
	v_sub_nc_u32_e32 v15, 29, v15
	v_lshlrev_b64 v[16:17], v16, v[5:6]
	s_delay_alu instid0(VALU_DEP_1)
	v_and_b32_e32 v5, 7, v16
; %bb.574:                              ;   in Loop: Header=BB230_424 Depth=1
	s_or_b32 exec_lo, exec_lo, s22
	v_lshlrev_b32_e32 v16, 16, v61
	s_delay_alu instid0(VALU_DEP_2) | instskip(SKIP_1) | instid1(VALU_DEP_3)
	v_lshlrev_b32_e32 v5, 20, v5
	v_lshl_add_u32 v15, v15, 23, 0x3c000000
	v_and_b32_e32 v16, 0x80000000, v16
	s_delay_alu instid0(VALU_DEP_1)
	v_or3_b32 v16, v5, v16, v15
	v_mov_b32_e32 v15, v6
.LBB230_575:                            ;   in Loop: Header=BB230_424 Depth=1
	s_or_b32 exec_lo, exec_lo, s2
.LBB230_576:                            ;   in Loop: Header=BB230_424 Depth=1
	s_delay_alu instid0(SALU_CYCLE_1)
	s_or_b32 exec_lo, exec_lo, s21
.LBB230_577:                            ;   in Loop: Header=BB230_424 Depth=1
	s_delay_alu instid0(SALU_CYCLE_1) | instskip(SKIP_4) | instid1(VALU_DEP_2)
	s_or_b32 exec_lo, exec_lo, s20
	v_mov_b32_e32 v19, 0
	v_lshrrev_b32_e32 v62, 16, v61
	v_mov_b32_e32 v20, 0
	s_mov_b32 s2, exec_lo
	v_and_b32_e32 v5, 0xff, v62
	s_delay_alu instid0(VALU_DEP_2) | instskip(NEXT) | instid1(VALU_DEP_2)
	v_dual_mov_b32 v17, v19 :: v_dual_mov_b32 v18, v20
	v_cmpx_ne_u16_e32 0, v5
	s_cbranch_execz .LBB230_585
; %bb.578:                              ;   in Loop: Header=BB230_424 Depth=1
	v_bfrev_b32_e32 v17, 1
	v_mov_b32_e32 v18, 0
	s_mov_b32 s20, exec_lo
	v_cmpx_ne_u16_e32 0x80, v5
	s_cbranch_execz .LBB230_584
; %bb.579:                              ;   in Loop: Header=BB230_424 Depth=1
	v_mov_b32_e32 v17, 0x7f800001
	v_bfe_u32 v63, v61, 16, 7
	v_mov_b32_e32 v18, 0
	s_mov_b32 s21, exec_lo
	s_delay_alu instid0(VALU_DEP_2)
	v_cmpx_ne_u32_e32 0x7f, v63
	s_cbranch_execz .LBB230_583
; %bb.580:                              ;   in Loop: Header=BB230_424 Depth=1
	v_and_b32_e32 v5, 7, v62
	v_lshrrev_b32_e32 v17, 3, v63
	s_mov_b32 s22, exec_lo
	v_cmpx_gt_u32_e32 8, v63
; %bb.581:                              ;   in Loop: Header=BB230_424 Depth=1
	s_delay_alu instid0(VALU_DEP_3) | instskip(NEXT) | instid1(VALU_DEP_1)
	v_clz_i32_u32_e32 v17, v5
	v_min_u32_e32 v17, 32, v17
	s_delay_alu instid0(VALU_DEP_1) | instskip(SKIP_1) | instid1(VALU_DEP_2)
	v_subrev_nc_u32_e32 v18, 28, v17
	v_sub_nc_u32_e32 v17, 29, v17
	v_lshlrev_b64 v[63:64], v18, v[5:6]
	s_delay_alu instid0(VALU_DEP_1)
	v_and_b32_e32 v5, 7, v63
; %bb.582:                              ;   in Loop: Header=BB230_424 Depth=1
	s_or_b32 exec_lo, exec_lo, s22
	v_lshlrev_b32_e32 v18, 24, v62
	s_delay_alu instid0(VALU_DEP_2) | instskip(SKIP_1) | instid1(VALU_DEP_3)
	v_lshlrev_b32_e32 v5, 20, v5
	v_lshl_add_u32 v17, v17, 23, 0x3c000000
	v_and_b32_e32 v18, 0x80000000, v18
	s_delay_alu instid0(VALU_DEP_1) | instskip(NEXT) | instid1(VALU_DEP_1)
	v_or3_b32 v5, v5, v18, v17
	v_dual_mov_b32 v18, v6 :: v_dual_mov_b32 v17, v5
.LBB230_583:                            ;   in Loop: Header=BB230_424 Depth=1
	s_or_b32 exec_lo, exec_lo, s21
.LBB230_584:                            ;   in Loop: Header=BB230_424 Depth=1
	s_delay_alu instid0(SALU_CYCLE_1)
	s_or_b32 exec_lo, exec_lo, s20
.LBB230_585:                            ;   in Loop: Header=BB230_424 Depth=1
	s_delay_alu instid0(SALU_CYCLE_1) | instskip(NEXT) | instid1(SALU_CYCLE_1)
	s_or_b32 exec_lo, exec_lo, s2
	s_mov_b32 s20, exec_lo
	v_cmpx_lt_u32_e32 0xffffff, v61
	s_cbranch_execz .LBB230_593
; %bb.586:                              ;   in Loop: Header=BB230_424 Depth=1
	v_lshrrev_b32_e32 v62, 24, v61
	v_dual_mov_b32 v20, s9 :: v_dual_mov_b32 v19, s8
	s_mov_b32 s21, exec_lo
	s_delay_alu instid0(VALU_DEP_2)
	v_cmpx_ne_u32_e32 0x80, v62
	s_cbranch_execz .LBB230_592
; %bb.587:                              ;   in Loop: Header=BB230_424 Depth=1
	s_mov_b32 s2, s8
	v_bfe_u32 v61, v61, 24, 7
	v_dual_mov_b32 v20, s3 :: v_dual_mov_b32 v19, s2
	s_mov_b32 s2, exec_lo
	s_delay_alu instid0(VALU_DEP_2)
	v_cmpx_ne_u32_e32 0x7f, v61
	s_cbranch_execz .LBB230_591
; %bb.588:                              ;   in Loop: Header=BB230_424 Depth=1
	v_and_b32_e32 v5, 7, v62
	v_lshrrev_b32_e32 v19, 3, v61
	s_mov_b32 s22, exec_lo
	v_cmpx_gt_u32_e32 8, v61
; %bb.589:                              ;   in Loop: Header=BB230_424 Depth=1
	s_delay_alu instid0(VALU_DEP_3) | instskip(NEXT) | instid1(VALU_DEP_1)
	v_clz_i32_u32_e32 v19, v5
	v_min_u32_e32 v19, 32, v19
	s_delay_alu instid0(VALU_DEP_1) | instskip(SKIP_1) | instid1(VALU_DEP_2)
	v_subrev_nc_u32_e32 v20, 28, v19
	v_sub_nc_u32_e32 v19, 29, v19
	v_lshlrev_b64 v[63:64], v20, v[5:6]
	s_delay_alu instid0(VALU_DEP_1)
	v_and_b32_e32 v5, 7, v63
; %bb.590:                              ;   in Loop: Header=BB230_424 Depth=1
	s_or_b32 exec_lo, exec_lo, s22
	v_lshlrev_b32_e32 v20, 24, v62
	s_delay_alu instid0(VALU_DEP_2) | instskip(SKIP_1) | instid1(VALU_DEP_3)
	v_lshlrev_b32_e32 v5, 20, v5
	v_lshl_add_u32 v19, v19, 23, 0x3c000000
	v_and_b32_e32 v20, 0x80000000, v20
	s_delay_alu instid0(VALU_DEP_1)
	v_or3_b32 v20, v5, v20, v19
	v_mov_b32_e32 v19, v6
.LBB230_591:                            ;   in Loop: Header=BB230_424 Depth=1
	s_or_b32 exec_lo, exec_lo, s2
.LBB230_592:                            ;   in Loop: Header=BB230_424 Depth=1
	s_delay_alu instid0(SALU_CYCLE_1)
	s_or_b32 exec_lo, exec_lo, s21
.LBB230_593:                            ;   in Loop: Header=BB230_424 Depth=1
	s_delay_alu instid0(SALU_CYCLE_1) | instskip(SKIP_4) | instid1(VALU_DEP_4)
	s_or_b32 exec_lo, exec_lo, s20
	v_or_b32_e32 v5, v16, v14
	v_or_b32_e32 v13, v15, v13
	;; [unrolled: 1-line block ×4, first 2 shown]
	v_mul_f32_e32 v64, s18, v5
	s_delay_alu instid0(VALU_DEP_4) | instskip(NEXT) | instid1(VALU_DEP_3)
	v_mul_f32_e32 v63, s17, v13
	v_dual_mul_f32 v61, s18, v14 :: v_dual_mul_f32 v62, s17, v15
	s_and_saveexec_b32 s2, vcc_lo
; %bb.594:                              ;   in Loop: Header=BB230_424 Depth=1
	v_cmp_gt_i32_e64 s0, s33, v44
	s_delay_alu instid0(VALU_DEP_1) | instskip(SKIP_1) | instid1(VALU_DEP_1)
	v_cndmask_b32_e64 v63, 0, v63, s0
	v_cmp_gt_i32_e64 s0, s33, v47
	v_cndmask_b32_e64 v64, 0, v64, s0
	v_cmp_gt_i32_e64 s0, s33, v46
	s_delay_alu instid0(VALU_DEP_1) | instskip(SKIP_1) | instid1(VALU_DEP_1)
	v_cndmask_b32_e64 v62, 0, v62, s0
	v_cmp_gt_i32_e64 s0, s33, v45
	v_cndmask_b32_e64 v61, 0, v61, s0
; %bb.595:                              ;   in Loop: Header=BB230_424 Depth=1
	s_or_b32 exec_lo, exec_lo, s2
	global_load_b32 v65, v[11:12], off offset:640
	v_mov_b32_e32 v15, 0
	v_mov_b32_e32 v16, 0
	s_mov_b32 s2, exec_lo
	s_waitcnt vmcnt(0)
	v_and_b32_e32 v5, 0xff, v65
	s_delay_alu instid0(VALU_DEP_2) | instskip(NEXT) | instid1(VALU_DEP_2)
	v_dual_mov_b32 v13, v15 :: v_dual_mov_b32 v14, v16
	v_cmpx_ne_u16_e32 0, v5
	s_cbranch_execz .LBB230_603
; %bb.596:                              ;   in Loop: Header=BB230_424 Depth=1
	v_bfrev_b32_e32 v13, 1
	v_mov_b32_e32 v14, 0
	s_mov_b32 s20, exec_lo
	v_cmpx_ne_u16_e32 0x80, v5
	s_cbranch_execz .LBB230_602
; %bb.597:                              ;   in Loop: Header=BB230_424 Depth=1
	v_mov_b32_e32 v13, 0x7f800001
	v_dual_mov_b32 v14, 0 :: v_dual_and_b32 v17, 0x7f, v65
	s_mov_b32 s21, exec_lo
	s_delay_alu instid0(VALU_DEP_1)
	v_cmpx_ne_u32_e32 0x7f, v17
	s_cbranch_execz .LBB230_601
; %bb.598:                              ;   in Loop: Header=BB230_424 Depth=1
	v_and_b32_e32 v5, 7, v65
	v_lshrrev_b32_e32 v13, 3, v17
	s_mov_b32 s22, exec_lo
	v_cmpx_gt_u32_e32 8, v17
; %bb.599:                              ;   in Loop: Header=BB230_424 Depth=1
	s_delay_alu instid0(VALU_DEP_3) | instskip(NEXT) | instid1(VALU_DEP_1)
	v_clz_i32_u32_e32 v13, v5
	v_min_u32_e32 v13, 32, v13
	s_delay_alu instid0(VALU_DEP_1) | instskip(SKIP_1) | instid1(VALU_DEP_2)
	v_subrev_nc_u32_e32 v14, 28, v13
	v_sub_nc_u32_e32 v13, 29, v13
	v_lshlrev_b64 v[17:18], v14, v[5:6]
	s_delay_alu instid0(VALU_DEP_1)
	v_and_b32_e32 v5, 7, v17
; %bb.600:                              ;   in Loop: Header=BB230_424 Depth=1
	s_or_b32 exec_lo, exec_lo, s22
	v_lshlrev_b32_e32 v14, 24, v65
	s_delay_alu instid0(VALU_DEP_2) | instskip(SKIP_1) | instid1(VALU_DEP_3)
	v_lshlrev_b32_e32 v5, 20, v5
	v_lshl_add_u32 v13, v13, 23, 0x3c000000
	v_and_b32_e32 v14, 0x80000000, v14
	s_delay_alu instid0(VALU_DEP_1) | instskip(NEXT) | instid1(VALU_DEP_1)
	v_or3_b32 v5, v5, v14, v13
	v_dual_mov_b32 v14, v6 :: v_dual_mov_b32 v13, v5
.LBB230_601:                            ;   in Loop: Header=BB230_424 Depth=1
	s_or_b32 exec_lo, exec_lo, s21
.LBB230_602:                            ;   in Loop: Header=BB230_424 Depth=1
	s_delay_alu instid0(SALU_CYCLE_1)
	s_or_b32 exec_lo, exec_lo, s20
.LBB230_603:                            ;   in Loop: Header=BB230_424 Depth=1
	s_delay_alu instid0(SALU_CYCLE_1) | instskip(SKIP_2) | instid1(VALU_DEP_1)
	s_or_b32 exec_lo, exec_lo, s2
	v_lshrrev_b16 v5, 8, v65
	s_mov_b32 s20, exec_lo
	v_cmpx_ne_u16_e32 0, v5
	s_cbranch_execz .LBB230_611
; %bb.604:                              ;   in Loop: Header=BB230_424 Depth=1
	v_dual_mov_b32 v16, s9 :: v_dual_mov_b32 v15, s8
	s_mov_b32 s21, exec_lo
	v_cmpx_ne_u16_e32 0x80, v5
	s_cbranch_execz .LBB230_610
; %bb.605:                              ;   in Loop: Header=BB230_424 Depth=1
	s_mov_b32 s2, s8
	v_dual_mov_b32 v16, s3 :: v_dual_and_b32 v5, 0xffff, v5
	v_mov_b32_e32 v15, s2
	s_mov_b32 s2, exec_lo
	s_delay_alu instid0(VALU_DEP_2) | instskip(NEXT) | instid1(VALU_DEP_1)
	v_and_b32_e32 v17, 0x7f, v5
	v_cmpx_ne_u32_e32 0x7f, v17
	s_cbranch_execz .LBB230_609
; %bb.606:                              ;   in Loop: Header=BB230_424 Depth=1
	v_and_b32_e32 v5, 7, v5
	v_lshrrev_b32_e32 v15, 3, v17
	s_mov_b32 s22, exec_lo
	v_cmpx_gt_u32_e32 8, v17
; %bb.607:                              ;   in Loop: Header=BB230_424 Depth=1
	s_delay_alu instid0(VALU_DEP_3) | instskip(NEXT) | instid1(VALU_DEP_1)
	v_clz_i32_u32_e32 v15, v5
	v_min_u32_e32 v15, 32, v15
	s_delay_alu instid0(VALU_DEP_1) | instskip(SKIP_1) | instid1(VALU_DEP_2)
	v_subrev_nc_u32_e32 v16, 28, v15
	v_sub_nc_u32_e32 v15, 29, v15
	v_lshlrev_b64 v[16:17], v16, v[5:6]
	s_delay_alu instid0(VALU_DEP_1)
	v_and_b32_e32 v5, 7, v16
; %bb.608:                              ;   in Loop: Header=BB230_424 Depth=1
	s_or_b32 exec_lo, exec_lo, s22
	v_lshlrev_b32_e32 v16, 16, v65
	s_delay_alu instid0(VALU_DEP_2) | instskip(SKIP_1) | instid1(VALU_DEP_3)
	v_lshlrev_b32_e32 v5, 20, v5
	v_lshl_add_u32 v15, v15, 23, 0x3c000000
	v_and_b32_e32 v16, 0x80000000, v16
	s_delay_alu instid0(VALU_DEP_1)
	v_or3_b32 v16, v5, v16, v15
	v_mov_b32_e32 v15, v6
.LBB230_609:                            ;   in Loop: Header=BB230_424 Depth=1
	s_or_b32 exec_lo, exec_lo, s2
.LBB230_610:                            ;   in Loop: Header=BB230_424 Depth=1
	s_delay_alu instid0(SALU_CYCLE_1)
	s_or_b32 exec_lo, exec_lo, s21
.LBB230_611:                            ;   in Loop: Header=BB230_424 Depth=1
	s_delay_alu instid0(SALU_CYCLE_1) | instskip(SKIP_4) | instid1(VALU_DEP_2)
	s_or_b32 exec_lo, exec_lo, s20
	v_mov_b32_e32 v19, 0
	v_lshrrev_b32_e32 v66, 16, v65
	v_mov_b32_e32 v20, 0
	s_mov_b32 s2, exec_lo
	v_and_b32_e32 v5, 0xff, v66
	s_delay_alu instid0(VALU_DEP_2) | instskip(NEXT) | instid1(VALU_DEP_2)
	v_dual_mov_b32 v17, v19 :: v_dual_mov_b32 v18, v20
	v_cmpx_ne_u16_e32 0, v5
	s_cbranch_execz .LBB230_619
; %bb.612:                              ;   in Loop: Header=BB230_424 Depth=1
	v_bfrev_b32_e32 v17, 1
	v_mov_b32_e32 v18, 0
	s_mov_b32 s20, exec_lo
	v_cmpx_ne_u16_e32 0x80, v5
	s_cbranch_execz .LBB230_618
; %bb.613:                              ;   in Loop: Header=BB230_424 Depth=1
	v_mov_b32_e32 v17, 0x7f800001
	v_bfe_u32 v67, v65, 16, 7
	v_mov_b32_e32 v18, 0
	s_mov_b32 s21, exec_lo
	s_delay_alu instid0(VALU_DEP_2)
	v_cmpx_ne_u32_e32 0x7f, v67
	s_cbranch_execz .LBB230_617
; %bb.614:                              ;   in Loop: Header=BB230_424 Depth=1
	v_and_b32_e32 v5, 7, v66
	v_lshrrev_b32_e32 v17, 3, v67
	s_mov_b32 s22, exec_lo
	v_cmpx_gt_u32_e32 8, v67
; %bb.615:                              ;   in Loop: Header=BB230_424 Depth=1
	s_delay_alu instid0(VALU_DEP_3) | instskip(NEXT) | instid1(VALU_DEP_1)
	v_clz_i32_u32_e32 v17, v5
	v_min_u32_e32 v17, 32, v17
	s_delay_alu instid0(VALU_DEP_1) | instskip(SKIP_1) | instid1(VALU_DEP_2)
	v_subrev_nc_u32_e32 v18, 28, v17
	v_sub_nc_u32_e32 v17, 29, v17
	v_lshlrev_b64 v[67:68], v18, v[5:6]
	s_delay_alu instid0(VALU_DEP_1)
	v_and_b32_e32 v5, 7, v67
; %bb.616:                              ;   in Loop: Header=BB230_424 Depth=1
	s_or_b32 exec_lo, exec_lo, s22
	v_lshlrev_b32_e32 v18, 24, v66
	s_delay_alu instid0(VALU_DEP_2) | instskip(SKIP_1) | instid1(VALU_DEP_3)
	v_lshlrev_b32_e32 v5, 20, v5
	v_lshl_add_u32 v17, v17, 23, 0x3c000000
	v_and_b32_e32 v18, 0x80000000, v18
	s_delay_alu instid0(VALU_DEP_1) | instskip(NEXT) | instid1(VALU_DEP_1)
	v_or3_b32 v5, v5, v18, v17
	v_dual_mov_b32 v18, v6 :: v_dual_mov_b32 v17, v5
.LBB230_617:                            ;   in Loop: Header=BB230_424 Depth=1
	s_or_b32 exec_lo, exec_lo, s21
.LBB230_618:                            ;   in Loop: Header=BB230_424 Depth=1
	s_delay_alu instid0(SALU_CYCLE_1)
	s_or_b32 exec_lo, exec_lo, s20
.LBB230_619:                            ;   in Loop: Header=BB230_424 Depth=1
	s_delay_alu instid0(SALU_CYCLE_1) | instskip(NEXT) | instid1(SALU_CYCLE_1)
	s_or_b32 exec_lo, exec_lo, s2
	s_mov_b32 s20, exec_lo
	v_cmpx_lt_u32_e32 0xffffff, v65
	s_cbranch_execz .LBB230_627
; %bb.620:                              ;   in Loop: Header=BB230_424 Depth=1
	v_lshrrev_b32_e32 v66, 24, v65
	v_dual_mov_b32 v20, s9 :: v_dual_mov_b32 v19, s8
	s_mov_b32 s21, exec_lo
	s_delay_alu instid0(VALU_DEP_2)
	v_cmpx_ne_u32_e32 0x80, v66
	s_cbranch_execz .LBB230_626
; %bb.621:                              ;   in Loop: Header=BB230_424 Depth=1
	s_mov_b32 s2, s8
	v_bfe_u32 v65, v65, 24, 7
	v_dual_mov_b32 v20, s3 :: v_dual_mov_b32 v19, s2
	s_mov_b32 s2, exec_lo
	s_delay_alu instid0(VALU_DEP_2)
	v_cmpx_ne_u32_e32 0x7f, v65
	s_cbranch_execz .LBB230_625
; %bb.622:                              ;   in Loop: Header=BB230_424 Depth=1
	v_and_b32_e32 v5, 7, v66
	v_lshrrev_b32_e32 v19, 3, v65
	s_mov_b32 s22, exec_lo
	v_cmpx_gt_u32_e32 8, v65
; %bb.623:                              ;   in Loop: Header=BB230_424 Depth=1
	s_delay_alu instid0(VALU_DEP_3) | instskip(NEXT) | instid1(VALU_DEP_1)
	v_clz_i32_u32_e32 v19, v5
	v_min_u32_e32 v19, 32, v19
	s_delay_alu instid0(VALU_DEP_1) | instskip(SKIP_1) | instid1(VALU_DEP_2)
	v_subrev_nc_u32_e32 v20, 28, v19
	v_sub_nc_u32_e32 v19, 29, v19
	v_lshlrev_b64 v[67:68], v20, v[5:6]
	s_delay_alu instid0(VALU_DEP_1)
	v_and_b32_e32 v5, 7, v67
; %bb.624:                              ;   in Loop: Header=BB230_424 Depth=1
	s_or_b32 exec_lo, exec_lo, s22
	v_lshlrev_b32_e32 v20, 24, v66
	s_delay_alu instid0(VALU_DEP_2) | instskip(SKIP_1) | instid1(VALU_DEP_3)
	v_lshlrev_b32_e32 v5, 20, v5
	v_lshl_add_u32 v19, v19, 23, 0x3c000000
	v_and_b32_e32 v20, 0x80000000, v20
	s_delay_alu instid0(VALU_DEP_1)
	v_or3_b32 v20, v5, v20, v19
	v_mov_b32_e32 v19, v6
.LBB230_625:                            ;   in Loop: Header=BB230_424 Depth=1
	s_or_b32 exec_lo, exec_lo, s2
.LBB230_626:                            ;   in Loop: Header=BB230_424 Depth=1
	s_delay_alu instid0(SALU_CYCLE_1)
	s_or_b32 exec_lo, exec_lo, s21
.LBB230_627:                            ;   in Loop: Header=BB230_424 Depth=1
	s_delay_alu instid0(SALU_CYCLE_1) | instskip(SKIP_4) | instid1(VALU_DEP_4)
	s_or_b32 exec_lo, exec_lo, s20
	v_or_b32_e32 v5, v16, v14
	v_or_b32_e32 v13, v15, v13
	;; [unrolled: 1-line block ×4, first 2 shown]
	v_mul_f32_e32 v68, s18, v5
	s_delay_alu instid0(VALU_DEP_4) | instskip(NEXT) | instid1(VALU_DEP_3)
	v_mul_f32_e32 v67, s17, v13
	v_dual_mul_f32 v65, s18, v14 :: v_dual_mul_f32 v66, s17, v15
	s_and_saveexec_b32 s2, vcc_lo
; %bb.628:                              ;   in Loop: Header=BB230_424 Depth=1
	v_cmp_gt_i32_e64 s0, s33, v44
	s_delay_alu instid0(VALU_DEP_1) | instskip(SKIP_1) | instid1(VALU_DEP_1)
	v_cndmask_b32_e64 v67, 0, v67, s0
	v_cmp_gt_i32_e64 s0, s33, v47
	v_cndmask_b32_e64 v68, 0, v68, s0
	v_cmp_gt_i32_e64 s0, s33, v46
	s_delay_alu instid0(VALU_DEP_1) | instskip(SKIP_1) | instid1(VALU_DEP_1)
	v_cndmask_b32_e64 v66, 0, v66, s0
	v_cmp_gt_i32_e64 s0, s33, v45
	v_cndmask_b32_e64 v65, 0, v65, s0
; %bb.629:                              ;   in Loop: Header=BB230_424 Depth=1
	s_or_b32 exec_lo, exec_lo, s2
	global_load_b32 v69, v[11:12], off offset:768
	v_mov_b32_e32 v15, 0
	v_mov_b32_e32 v16, 0
	s_mov_b32 s2, exec_lo
	s_waitcnt vmcnt(0)
	v_and_b32_e32 v5, 0xff, v69
	s_delay_alu instid0(VALU_DEP_2) | instskip(NEXT) | instid1(VALU_DEP_2)
	v_dual_mov_b32 v13, v15 :: v_dual_mov_b32 v14, v16
	v_cmpx_ne_u16_e32 0, v5
	s_cbranch_execz .LBB230_637
; %bb.630:                              ;   in Loop: Header=BB230_424 Depth=1
	v_bfrev_b32_e32 v13, 1
	v_mov_b32_e32 v14, 0
	s_mov_b32 s20, exec_lo
	v_cmpx_ne_u16_e32 0x80, v5
	s_cbranch_execz .LBB230_636
; %bb.631:                              ;   in Loop: Header=BB230_424 Depth=1
	v_mov_b32_e32 v13, 0x7f800001
	v_dual_mov_b32 v14, 0 :: v_dual_and_b32 v17, 0x7f, v69
	s_mov_b32 s21, exec_lo
	s_delay_alu instid0(VALU_DEP_1)
	v_cmpx_ne_u32_e32 0x7f, v17
	s_cbranch_execz .LBB230_635
; %bb.632:                              ;   in Loop: Header=BB230_424 Depth=1
	v_and_b32_e32 v5, 7, v69
	v_lshrrev_b32_e32 v13, 3, v17
	s_mov_b32 s22, exec_lo
	v_cmpx_gt_u32_e32 8, v17
; %bb.633:                              ;   in Loop: Header=BB230_424 Depth=1
	s_delay_alu instid0(VALU_DEP_3) | instskip(NEXT) | instid1(VALU_DEP_1)
	v_clz_i32_u32_e32 v13, v5
	v_min_u32_e32 v13, 32, v13
	s_delay_alu instid0(VALU_DEP_1) | instskip(SKIP_1) | instid1(VALU_DEP_2)
	v_subrev_nc_u32_e32 v14, 28, v13
	v_sub_nc_u32_e32 v13, 29, v13
	v_lshlrev_b64 v[17:18], v14, v[5:6]
	s_delay_alu instid0(VALU_DEP_1)
	v_and_b32_e32 v5, 7, v17
; %bb.634:                              ;   in Loop: Header=BB230_424 Depth=1
	s_or_b32 exec_lo, exec_lo, s22
	v_lshlrev_b32_e32 v14, 24, v69
	s_delay_alu instid0(VALU_DEP_2) | instskip(SKIP_1) | instid1(VALU_DEP_3)
	v_lshlrev_b32_e32 v5, 20, v5
	v_lshl_add_u32 v13, v13, 23, 0x3c000000
	v_and_b32_e32 v14, 0x80000000, v14
	s_delay_alu instid0(VALU_DEP_1) | instskip(NEXT) | instid1(VALU_DEP_1)
	v_or3_b32 v5, v5, v14, v13
	v_dual_mov_b32 v14, v6 :: v_dual_mov_b32 v13, v5
.LBB230_635:                            ;   in Loop: Header=BB230_424 Depth=1
	s_or_b32 exec_lo, exec_lo, s21
.LBB230_636:                            ;   in Loop: Header=BB230_424 Depth=1
	s_delay_alu instid0(SALU_CYCLE_1)
	s_or_b32 exec_lo, exec_lo, s20
.LBB230_637:                            ;   in Loop: Header=BB230_424 Depth=1
	s_delay_alu instid0(SALU_CYCLE_1) | instskip(SKIP_2) | instid1(VALU_DEP_1)
	s_or_b32 exec_lo, exec_lo, s2
	v_lshrrev_b16 v5, 8, v69
	s_mov_b32 s20, exec_lo
	v_cmpx_ne_u16_e32 0, v5
	s_cbranch_execz .LBB230_645
; %bb.638:                              ;   in Loop: Header=BB230_424 Depth=1
	v_dual_mov_b32 v16, s9 :: v_dual_mov_b32 v15, s8
	s_mov_b32 s21, exec_lo
	v_cmpx_ne_u16_e32 0x80, v5
	s_cbranch_execz .LBB230_644
; %bb.639:                              ;   in Loop: Header=BB230_424 Depth=1
	s_mov_b32 s2, s8
	v_dual_mov_b32 v16, s3 :: v_dual_and_b32 v5, 0xffff, v5
	v_mov_b32_e32 v15, s2
	s_mov_b32 s2, exec_lo
	s_delay_alu instid0(VALU_DEP_2) | instskip(NEXT) | instid1(VALU_DEP_1)
	v_and_b32_e32 v17, 0x7f, v5
	v_cmpx_ne_u32_e32 0x7f, v17
	s_cbranch_execz .LBB230_643
; %bb.640:                              ;   in Loop: Header=BB230_424 Depth=1
	v_and_b32_e32 v5, 7, v5
	v_lshrrev_b32_e32 v15, 3, v17
	s_mov_b32 s22, exec_lo
	v_cmpx_gt_u32_e32 8, v17
; %bb.641:                              ;   in Loop: Header=BB230_424 Depth=1
	s_delay_alu instid0(VALU_DEP_3) | instskip(NEXT) | instid1(VALU_DEP_1)
	v_clz_i32_u32_e32 v15, v5
	v_min_u32_e32 v15, 32, v15
	s_delay_alu instid0(VALU_DEP_1) | instskip(SKIP_1) | instid1(VALU_DEP_2)
	v_subrev_nc_u32_e32 v16, 28, v15
	v_sub_nc_u32_e32 v15, 29, v15
	v_lshlrev_b64 v[16:17], v16, v[5:6]
	s_delay_alu instid0(VALU_DEP_1)
	v_and_b32_e32 v5, 7, v16
; %bb.642:                              ;   in Loop: Header=BB230_424 Depth=1
	s_or_b32 exec_lo, exec_lo, s22
	v_lshlrev_b32_e32 v16, 16, v69
	s_delay_alu instid0(VALU_DEP_2) | instskip(SKIP_1) | instid1(VALU_DEP_3)
	v_lshlrev_b32_e32 v5, 20, v5
	v_lshl_add_u32 v15, v15, 23, 0x3c000000
	v_and_b32_e32 v16, 0x80000000, v16
	s_delay_alu instid0(VALU_DEP_1)
	v_or3_b32 v16, v5, v16, v15
	v_mov_b32_e32 v15, v6
.LBB230_643:                            ;   in Loop: Header=BB230_424 Depth=1
	s_or_b32 exec_lo, exec_lo, s2
.LBB230_644:                            ;   in Loop: Header=BB230_424 Depth=1
	s_delay_alu instid0(SALU_CYCLE_1)
	s_or_b32 exec_lo, exec_lo, s21
.LBB230_645:                            ;   in Loop: Header=BB230_424 Depth=1
	s_delay_alu instid0(SALU_CYCLE_1) | instskip(SKIP_4) | instid1(VALU_DEP_2)
	s_or_b32 exec_lo, exec_lo, s20
	v_mov_b32_e32 v19, 0
	v_lshrrev_b32_e32 v70, 16, v69
	v_mov_b32_e32 v20, 0
	s_mov_b32 s2, exec_lo
	v_and_b32_e32 v5, 0xff, v70
	s_delay_alu instid0(VALU_DEP_2) | instskip(NEXT) | instid1(VALU_DEP_2)
	v_dual_mov_b32 v17, v19 :: v_dual_mov_b32 v18, v20
	v_cmpx_ne_u16_e32 0, v5
	s_cbranch_execz .LBB230_653
; %bb.646:                              ;   in Loop: Header=BB230_424 Depth=1
	v_bfrev_b32_e32 v17, 1
	v_mov_b32_e32 v18, 0
	s_mov_b32 s20, exec_lo
	v_cmpx_ne_u16_e32 0x80, v5
	s_cbranch_execz .LBB230_652
; %bb.647:                              ;   in Loop: Header=BB230_424 Depth=1
	v_mov_b32_e32 v17, 0x7f800001
	v_bfe_u32 v71, v69, 16, 7
	v_mov_b32_e32 v18, 0
	s_mov_b32 s21, exec_lo
	s_delay_alu instid0(VALU_DEP_2)
	v_cmpx_ne_u32_e32 0x7f, v71
	s_cbranch_execz .LBB230_651
; %bb.648:                              ;   in Loop: Header=BB230_424 Depth=1
	v_and_b32_e32 v5, 7, v70
	v_lshrrev_b32_e32 v17, 3, v71
	s_mov_b32 s22, exec_lo
	v_cmpx_gt_u32_e32 8, v71
; %bb.649:                              ;   in Loop: Header=BB230_424 Depth=1
	s_delay_alu instid0(VALU_DEP_3) | instskip(NEXT) | instid1(VALU_DEP_1)
	v_clz_i32_u32_e32 v17, v5
	v_min_u32_e32 v17, 32, v17
	s_delay_alu instid0(VALU_DEP_1) | instskip(SKIP_1) | instid1(VALU_DEP_2)
	v_subrev_nc_u32_e32 v18, 28, v17
	v_sub_nc_u32_e32 v17, 29, v17
	v_lshlrev_b64 v[71:72], v18, v[5:6]
	s_delay_alu instid0(VALU_DEP_1)
	v_and_b32_e32 v5, 7, v71
; %bb.650:                              ;   in Loop: Header=BB230_424 Depth=1
	s_or_b32 exec_lo, exec_lo, s22
	v_lshlrev_b32_e32 v18, 24, v70
	s_delay_alu instid0(VALU_DEP_2) | instskip(SKIP_1) | instid1(VALU_DEP_3)
	v_lshlrev_b32_e32 v5, 20, v5
	v_lshl_add_u32 v17, v17, 23, 0x3c000000
	v_and_b32_e32 v18, 0x80000000, v18
	s_delay_alu instid0(VALU_DEP_1) | instskip(NEXT) | instid1(VALU_DEP_1)
	v_or3_b32 v5, v5, v18, v17
	v_dual_mov_b32 v18, v6 :: v_dual_mov_b32 v17, v5
.LBB230_651:                            ;   in Loop: Header=BB230_424 Depth=1
	s_or_b32 exec_lo, exec_lo, s21
.LBB230_652:                            ;   in Loop: Header=BB230_424 Depth=1
	s_delay_alu instid0(SALU_CYCLE_1)
	s_or_b32 exec_lo, exec_lo, s20
.LBB230_653:                            ;   in Loop: Header=BB230_424 Depth=1
	s_delay_alu instid0(SALU_CYCLE_1) | instskip(NEXT) | instid1(SALU_CYCLE_1)
	s_or_b32 exec_lo, exec_lo, s2
	s_mov_b32 s20, exec_lo
	v_cmpx_lt_u32_e32 0xffffff, v69
	s_cbranch_execz .LBB230_661
; %bb.654:                              ;   in Loop: Header=BB230_424 Depth=1
	v_lshrrev_b32_e32 v70, 24, v69
	v_dual_mov_b32 v20, s9 :: v_dual_mov_b32 v19, s8
	s_mov_b32 s21, exec_lo
	s_delay_alu instid0(VALU_DEP_2)
	v_cmpx_ne_u32_e32 0x80, v70
	s_cbranch_execz .LBB230_660
; %bb.655:                              ;   in Loop: Header=BB230_424 Depth=1
	s_mov_b32 s2, s8
	v_bfe_u32 v69, v69, 24, 7
	v_dual_mov_b32 v20, s3 :: v_dual_mov_b32 v19, s2
	s_mov_b32 s2, exec_lo
	s_delay_alu instid0(VALU_DEP_2)
	v_cmpx_ne_u32_e32 0x7f, v69
	s_cbranch_execz .LBB230_659
; %bb.656:                              ;   in Loop: Header=BB230_424 Depth=1
	v_and_b32_e32 v5, 7, v70
	v_lshrrev_b32_e32 v19, 3, v69
	s_mov_b32 s22, exec_lo
	v_cmpx_gt_u32_e32 8, v69
; %bb.657:                              ;   in Loop: Header=BB230_424 Depth=1
	s_delay_alu instid0(VALU_DEP_3) | instskip(NEXT) | instid1(VALU_DEP_1)
	v_clz_i32_u32_e32 v19, v5
	v_min_u32_e32 v19, 32, v19
	s_delay_alu instid0(VALU_DEP_1) | instskip(SKIP_1) | instid1(VALU_DEP_2)
	v_subrev_nc_u32_e32 v20, 28, v19
	v_sub_nc_u32_e32 v19, 29, v19
	v_lshlrev_b64 v[71:72], v20, v[5:6]
	s_delay_alu instid0(VALU_DEP_1)
	v_and_b32_e32 v5, 7, v71
; %bb.658:                              ;   in Loop: Header=BB230_424 Depth=1
	s_or_b32 exec_lo, exec_lo, s22
	v_lshlrev_b32_e32 v20, 24, v70
	s_delay_alu instid0(VALU_DEP_2) | instskip(SKIP_1) | instid1(VALU_DEP_3)
	v_lshlrev_b32_e32 v5, 20, v5
	v_lshl_add_u32 v19, v19, 23, 0x3c000000
	v_and_b32_e32 v20, 0x80000000, v20
	s_delay_alu instid0(VALU_DEP_1)
	v_or3_b32 v20, v5, v20, v19
	v_mov_b32_e32 v19, v6
.LBB230_659:                            ;   in Loop: Header=BB230_424 Depth=1
	s_or_b32 exec_lo, exec_lo, s2
.LBB230_660:                            ;   in Loop: Header=BB230_424 Depth=1
	s_delay_alu instid0(SALU_CYCLE_1)
	s_or_b32 exec_lo, exec_lo, s21
.LBB230_661:                            ;   in Loop: Header=BB230_424 Depth=1
	s_delay_alu instid0(SALU_CYCLE_1) | instskip(SKIP_4) | instid1(VALU_DEP_4)
	s_or_b32 exec_lo, exec_lo, s20
	v_or_b32_e32 v5, v16, v14
	v_or_b32_e32 v13, v15, v13
	;; [unrolled: 1-line block ×4, first 2 shown]
	v_mul_f32_e32 v72, s18, v5
	s_delay_alu instid0(VALU_DEP_4) | instskip(NEXT) | instid1(VALU_DEP_3)
	v_mul_f32_e32 v71, s17, v13
	v_dual_mul_f32 v69, s18, v14 :: v_dual_mul_f32 v70, s17, v15
	s_and_saveexec_b32 s2, vcc_lo
; %bb.662:                              ;   in Loop: Header=BB230_424 Depth=1
	v_cmp_gt_i32_e64 s0, s33, v44
	s_delay_alu instid0(VALU_DEP_1) | instskip(SKIP_1) | instid1(VALU_DEP_1)
	v_cndmask_b32_e64 v71, 0, v71, s0
	v_cmp_gt_i32_e64 s0, s33, v47
	v_cndmask_b32_e64 v72, 0, v72, s0
	v_cmp_gt_i32_e64 s0, s33, v46
	s_delay_alu instid0(VALU_DEP_1) | instskip(SKIP_1) | instid1(VALU_DEP_1)
	v_cndmask_b32_e64 v70, 0, v70, s0
	v_cmp_gt_i32_e64 s0, s33, v45
	v_cndmask_b32_e64 v69, 0, v69, s0
; %bb.663:                              ;   in Loop: Header=BB230_424 Depth=1
	s_or_b32 exec_lo, exec_lo, s2
	global_load_b32 v73, v[11:12], off offset:896
	v_mov_b32_e32 v15, 0
	v_mov_b32_e32 v16, 0
	s_mov_b32 s2, exec_lo
	s_waitcnt vmcnt(0)
	v_and_b32_e32 v5, 0xff, v73
	s_delay_alu instid0(VALU_DEP_2) | instskip(NEXT) | instid1(VALU_DEP_2)
	v_dual_mov_b32 v13, v15 :: v_dual_mov_b32 v14, v16
	v_cmpx_ne_u16_e32 0, v5
	s_cbranch_execz .LBB230_671
; %bb.664:                              ;   in Loop: Header=BB230_424 Depth=1
	v_bfrev_b32_e32 v13, 1
	v_mov_b32_e32 v14, 0
	s_mov_b32 s20, exec_lo
	v_cmpx_ne_u16_e32 0x80, v5
	s_cbranch_execz .LBB230_670
; %bb.665:                              ;   in Loop: Header=BB230_424 Depth=1
	v_mov_b32_e32 v13, 0x7f800001
	v_dual_mov_b32 v14, 0 :: v_dual_and_b32 v17, 0x7f, v73
	s_mov_b32 s21, exec_lo
	s_delay_alu instid0(VALU_DEP_1)
	v_cmpx_ne_u32_e32 0x7f, v17
	s_cbranch_execz .LBB230_669
; %bb.666:                              ;   in Loop: Header=BB230_424 Depth=1
	v_and_b32_e32 v5, 7, v73
	v_lshrrev_b32_e32 v13, 3, v17
	s_mov_b32 s22, exec_lo
	v_cmpx_gt_u32_e32 8, v17
; %bb.667:                              ;   in Loop: Header=BB230_424 Depth=1
	s_delay_alu instid0(VALU_DEP_3) | instskip(NEXT) | instid1(VALU_DEP_1)
	v_clz_i32_u32_e32 v13, v5
	v_min_u32_e32 v13, 32, v13
	s_delay_alu instid0(VALU_DEP_1) | instskip(SKIP_1) | instid1(VALU_DEP_2)
	v_subrev_nc_u32_e32 v14, 28, v13
	v_sub_nc_u32_e32 v13, 29, v13
	v_lshlrev_b64 v[17:18], v14, v[5:6]
	s_delay_alu instid0(VALU_DEP_1)
	v_and_b32_e32 v5, 7, v17
; %bb.668:                              ;   in Loop: Header=BB230_424 Depth=1
	s_or_b32 exec_lo, exec_lo, s22
	v_lshlrev_b32_e32 v14, 24, v73
	s_delay_alu instid0(VALU_DEP_2) | instskip(SKIP_1) | instid1(VALU_DEP_3)
	v_lshlrev_b32_e32 v5, 20, v5
	v_lshl_add_u32 v13, v13, 23, 0x3c000000
	v_and_b32_e32 v14, 0x80000000, v14
	s_delay_alu instid0(VALU_DEP_1) | instskip(NEXT) | instid1(VALU_DEP_1)
	v_or3_b32 v5, v5, v14, v13
	v_dual_mov_b32 v14, v6 :: v_dual_mov_b32 v13, v5
.LBB230_669:                            ;   in Loop: Header=BB230_424 Depth=1
	s_or_b32 exec_lo, exec_lo, s21
.LBB230_670:                            ;   in Loop: Header=BB230_424 Depth=1
	s_delay_alu instid0(SALU_CYCLE_1)
	s_or_b32 exec_lo, exec_lo, s20
.LBB230_671:                            ;   in Loop: Header=BB230_424 Depth=1
	s_delay_alu instid0(SALU_CYCLE_1) | instskip(SKIP_2) | instid1(VALU_DEP_1)
	s_or_b32 exec_lo, exec_lo, s2
	v_lshrrev_b16 v5, 8, v73
	s_mov_b32 s20, exec_lo
	v_cmpx_ne_u16_e32 0, v5
	s_cbranch_execz .LBB230_679
; %bb.672:                              ;   in Loop: Header=BB230_424 Depth=1
	v_dual_mov_b32 v16, s9 :: v_dual_mov_b32 v15, s8
	s_mov_b32 s21, exec_lo
	v_cmpx_ne_u16_e32 0x80, v5
	s_cbranch_execz .LBB230_678
; %bb.673:                              ;   in Loop: Header=BB230_424 Depth=1
	s_mov_b32 s2, s8
	v_dual_mov_b32 v16, s3 :: v_dual_and_b32 v5, 0xffff, v5
	v_mov_b32_e32 v15, s2
	s_mov_b32 s2, exec_lo
	s_delay_alu instid0(VALU_DEP_2) | instskip(NEXT) | instid1(VALU_DEP_1)
	v_and_b32_e32 v17, 0x7f, v5
	v_cmpx_ne_u32_e32 0x7f, v17
	s_cbranch_execz .LBB230_677
; %bb.674:                              ;   in Loop: Header=BB230_424 Depth=1
	v_and_b32_e32 v5, 7, v5
	v_lshrrev_b32_e32 v15, 3, v17
	s_mov_b32 s22, exec_lo
	v_cmpx_gt_u32_e32 8, v17
; %bb.675:                              ;   in Loop: Header=BB230_424 Depth=1
	s_delay_alu instid0(VALU_DEP_3) | instskip(NEXT) | instid1(VALU_DEP_1)
	v_clz_i32_u32_e32 v15, v5
	v_min_u32_e32 v15, 32, v15
	s_delay_alu instid0(VALU_DEP_1) | instskip(SKIP_1) | instid1(VALU_DEP_2)
	v_subrev_nc_u32_e32 v16, 28, v15
	v_sub_nc_u32_e32 v15, 29, v15
	v_lshlrev_b64 v[16:17], v16, v[5:6]
	s_delay_alu instid0(VALU_DEP_1)
	v_and_b32_e32 v5, 7, v16
; %bb.676:                              ;   in Loop: Header=BB230_424 Depth=1
	s_or_b32 exec_lo, exec_lo, s22
	v_lshlrev_b32_e32 v16, 16, v73
	s_delay_alu instid0(VALU_DEP_2) | instskip(SKIP_1) | instid1(VALU_DEP_3)
	v_lshlrev_b32_e32 v5, 20, v5
	v_lshl_add_u32 v15, v15, 23, 0x3c000000
	v_and_b32_e32 v16, 0x80000000, v16
	s_delay_alu instid0(VALU_DEP_1)
	v_or3_b32 v16, v5, v16, v15
	v_mov_b32_e32 v15, v6
.LBB230_677:                            ;   in Loop: Header=BB230_424 Depth=1
	s_or_b32 exec_lo, exec_lo, s2
.LBB230_678:                            ;   in Loop: Header=BB230_424 Depth=1
	s_delay_alu instid0(SALU_CYCLE_1)
	s_or_b32 exec_lo, exec_lo, s21
.LBB230_679:                            ;   in Loop: Header=BB230_424 Depth=1
	s_delay_alu instid0(SALU_CYCLE_1) | instskip(SKIP_4) | instid1(VALU_DEP_2)
	s_or_b32 exec_lo, exec_lo, s20
	v_mov_b32_e32 v19, 0
	v_lshrrev_b32_e32 v74, 16, v73
	v_mov_b32_e32 v20, 0
	s_mov_b32 s2, exec_lo
	v_and_b32_e32 v5, 0xff, v74
	s_delay_alu instid0(VALU_DEP_2) | instskip(NEXT) | instid1(VALU_DEP_2)
	v_dual_mov_b32 v17, v19 :: v_dual_mov_b32 v18, v20
	v_cmpx_ne_u16_e32 0, v5
	s_cbranch_execz .LBB230_687
; %bb.680:                              ;   in Loop: Header=BB230_424 Depth=1
	v_bfrev_b32_e32 v17, 1
	v_mov_b32_e32 v18, 0
	s_mov_b32 s20, exec_lo
	v_cmpx_ne_u16_e32 0x80, v5
	s_cbranch_execz .LBB230_686
; %bb.681:                              ;   in Loop: Header=BB230_424 Depth=1
	v_mov_b32_e32 v17, 0x7f800001
	v_bfe_u32 v75, v73, 16, 7
	v_mov_b32_e32 v18, 0
	s_mov_b32 s21, exec_lo
	s_delay_alu instid0(VALU_DEP_2)
	v_cmpx_ne_u32_e32 0x7f, v75
	s_cbranch_execz .LBB230_685
; %bb.682:                              ;   in Loop: Header=BB230_424 Depth=1
	v_and_b32_e32 v5, 7, v74
	v_lshrrev_b32_e32 v17, 3, v75
	s_mov_b32 s22, exec_lo
	v_cmpx_gt_u32_e32 8, v75
; %bb.683:                              ;   in Loop: Header=BB230_424 Depth=1
	s_delay_alu instid0(VALU_DEP_3) | instskip(NEXT) | instid1(VALU_DEP_1)
	v_clz_i32_u32_e32 v17, v5
	v_min_u32_e32 v17, 32, v17
	s_delay_alu instid0(VALU_DEP_1) | instskip(SKIP_1) | instid1(VALU_DEP_2)
	v_subrev_nc_u32_e32 v18, 28, v17
	v_sub_nc_u32_e32 v17, 29, v17
	v_lshlrev_b64 v[75:76], v18, v[5:6]
	s_delay_alu instid0(VALU_DEP_1)
	v_and_b32_e32 v5, 7, v75
; %bb.684:                              ;   in Loop: Header=BB230_424 Depth=1
	s_or_b32 exec_lo, exec_lo, s22
	v_lshlrev_b32_e32 v18, 24, v74
	s_delay_alu instid0(VALU_DEP_2) | instskip(SKIP_1) | instid1(VALU_DEP_3)
	v_lshlrev_b32_e32 v5, 20, v5
	v_lshl_add_u32 v17, v17, 23, 0x3c000000
	v_and_b32_e32 v18, 0x80000000, v18
	s_delay_alu instid0(VALU_DEP_1) | instskip(NEXT) | instid1(VALU_DEP_1)
	v_or3_b32 v5, v5, v18, v17
	v_dual_mov_b32 v18, v6 :: v_dual_mov_b32 v17, v5
.LBB230_685:                            ;   in Loop: Header=BB230_424 Depth=1
	s_or_b32 exec_lo, exec_lo, s21
.LBB230_686:                            ;   in Loop: Header=BB230_424 Depth=1
	s_delay_alu instid0(SALU_CYCLE_1)
	s_or_b32 exec_lo, exec_lo, s20
.LBB230_687:                            ;   in Loop: Header=BB230_424 Depth=1
	s_delay_alu instid0(SALU_CYCLE_1) | instskip(NEXT) | instid1(SALU_CYCLE_1)
	s_or_b32 exec_lo, exec_lo, s2
	s_mov_b32 s20, exec_lo
	v_cmpx_lt_u32_e32 0xffffff, v73
	s_cbranch_execz .LBB230_695
; %bb.688:                              ;   in Loop: Header=BB230_424 Depth=1
	v_lshrrev_b32_e32 v74, 24, v73
	v_dual_mov_b32 v20, s9 :: v_dual_mov_b32 v19, s8
	s_mov_b32 s21, exec_lo
	s_delay_alu instid0(VALU_DEP_2)
	v_cmpx_ne_u32_e32 0x80, v74
	s_cbranch_execz .LBB230_694
; %bb.689:                              ;   in Loop: Header=BB230_424 Depth=1
	s_mov_b32 s2, s8
	v_bfe_u32 v73, v73, 24, 7
	v_dual_mov_b32 v20, s3 :: v_dual_mov_b32 v19, s2
	s_mov_b32 s2, exec_lo
	s_delay_alu instid0(VALU_DEP_2)
	v_cmpx_ne_u32_e32 0x7f, v73
	s_cbranch_execz .LBB230_693
; %bb.690:                              ;   in Loop: Header=BB230_424 Depth=1
	v_and_b32_e32 v5, 7, v74
	v_lshrrev_b32_e32 v19, 3, v73
	s_mov_b32 s22, exec_lo
	v_cmpx_gt_u32_e32 8, v73
; %bb.691:                              ;   in Loop: Header=BB230_424 Depth=1
	s_delay_alu instid0(VALU_DEP_3) | instskip(NEXT) | instid1(VALU_DEP_1)
	v_clz_i32_u32_e32 v19, v5
	v_min_u32_e32 v19, 32, v19
	s_delay_alu instid0(VALU_DEP_1) | instskip(SKIP_1) | instid1(VALU_DEP_2)
	v_subrev_nc_u32_e32 v20, 28, v19
	v_sub_nc_u32_e32 v19, 29, v19
	v_lshlrev_b64 v[75:76], v20, v[5:6]
	s_delay_alu instid0(VALU_DEP_1)
	v_and_b32_e32 v5, 7, v75
; %bb.692:                              ;   in Loop: Header=BB230_424 Depth=1
	s_or_b32 exec_lo, exec_lo, s22
	v_lshlrev_b32_e32 v20, 24, v74
	s_delay_alu instid0(VALU_DEP_2) | instskip(SKIP_1) | instid1(VALU_DEP_3)
	v_lshlrev_b32_e32 v5, 20, v5
	v_lshl_add_u32 v19, v19, 23, 0x3c000000
	v_and_b32_e32 v20, 0x80000000, v20
	s_delay_alu instid0(VALU_DEP_1)
	v_or3_b32 v20, v5, v20, v19
	v_mov_b32_e32 v19, v6
.LBB230_693:                            ;   in Loop: Header=BB230_424 Depth=1
	s_or_b32 exec_lo, exec_lo, s2
.LBB230_694:                            ;   in Loop: Header=BB230_424 Depth=1
	s_delay_alu instid0(SALU_CYCLE_1)
	s_or_b32 exec_lo, exec_lo, s21
.LBB230_695:                            ;   in Loop: Header=BB230_424 Depth=1
	s_delay_alu instid0(SALU_CYCLE_1) | instskip(SKIP_4) | instid1(VALU_DEP_4)
	s_or_b32 exec_lo, exec_lo, s20
	v_or_b32_e32 v5, v16, v14
	v_or_b32_e32 v13, v15, v13
	;; [unrolled: 1-line block ×4, first 2 shown]
	v_mul_f32_e32 v76, s18, v5
	s_delay_alu instid0(VALU_DEP_4) | instskip(NEXT) | instid1(VALU_DEP_3)
	v_mul_f32_e32 v75, s17, v13
	v_dual_mul_f32 v73, s18, v14 :: v_dual_mul_f32 v74, s17, v15
	s_and_saveexec_b32 s2, vcc_lo
; %bb.696:                              ;   in Loop: Header=BB230_424 Depth=1
	v_cmp_gt_i32_e64 s0, s33, v44
	s_delay_alu instid0(VALU_DEP_1) | instskip(SKIP_1) | instid1(VALU_DEP_1)
	v_cndmask_b32_e64 v75, 0, v75, s0
	v_cmp_gt_i32_e64 s0, s33, v47
	v_cndmask_b32_e64 v76, 0, v76, s0
	v_cmp_gt_i32_e64 s0, s33, v46
	s_delay_alu instid0(VALU_DEP_1) | instskip(SKIP_1) | instid1(VALU_DEP_1)
	v_cndmask_b32_e64 v74, 0, v74, s0
	v_cmp_gt_i32_e64 s0, s33, v45
	v_cndmask_b32_e64 v73, 0, v73, s0
; %bb.697:                              ;   in Loop: Header=BB230_424 Depth=1
	s_or_b32 exec_lo, exec_lo, s2
	global_load_b32 v77, v[11:12], off offset:1024
	v_mov_b32_e32 v15, 0
	v_mov_b32_e32 v16, 0
	s_mov_b32 s2, exec_lo
	s_waitcnt vmcnt(0)
	v_and_b32_e32 v5, 0xff, v77
	s_delay_alu instid0(VALU_DEP_2) | instskip(NEXT) | instid1(VALU_DEP_2)
	v_dual_mov_b32 v13, v15 :: v_dual_mov_b32 v14, v16
	v_cmpx_ne_u16_e32 0, v5
	s_cbranch_execz .LBB230_705
; %bb.698:                              ;   in Loop: Header=BB230_424 Depth=1
	v_bfrev_b32_e32 v13, 1
	v_mov_b32_e32 v14, 0
	s_mov_b32 s20, exec_lo
	v_cmpx_ne_u16_e32 0x80, v5
	s_cbranch_execz .LBB230_704
; %bb.699:                              ;   in Loop: Header=BB230_424 Depth=1
	v_mov_b32_e32 v13, 0x7f800001
	v_dual_mov_b32 v14, 0 :: v_dual_and_b32 v17, 0x7f, v77
	s_mov_b32 s21, exec_lo
	s_delay_alu instid0(VALU_DEP_1)
	v_cmpx_ne_u32_e32 0x7f, v17
	s_cbranch_execz .LBB230_703
; %bb.700:                              ;   in Loop: Header=BB230_424 Depth=1
	v_and_b32_e32 v5, 7, v77
	v_lshrrev_b32_e32 v13, 3, v17
	s_mov_b32 s22, exec_lo
	v_cmpx_gt_u32_e32 8, v17
; %bb.701:                              ;   in Loop: Header=BB230_424 Depth=1
	s_delay_alu instid0(VALU_DEP_3) | instskip(NEXT) | instid1(VALU_DEP_1)
	v_clz_i32_u32_e32 v13, v5
	v_min_u32_e32 v13, 32, v13
	s_delay_alu instid0(VALU_DEP_1) | instskip(SKIP_1) | instid1(VALU_DEP_2)
	v_subrev_nc_u32_e32 v14, 28, v13
	v_sub_nc_u32_e32 v13, 29, v13
	v_lshlrev_b64 v[17:18], v14, v[5:6]
	s_delay_alu instid0(VALU_DEP_1)
	v_and_b32_e32 v5, 7, v17
; %bb.702:                              ;   in Loop: Header=BB230_424 Depth=1
	s_or_b32 exec_lo, exec_lo, s22
	v_lshlrev_b32_e32 v14, 24, v77
	s_delay_alu instid0(VALU_DEP_2) | instskip(SKIP_1) | instid1(VALU_DEP_3)
	v_lshlrev_b32_e32 v5, 20, v5
	v_lshl_add_u32 v13, v13, 23, 0x3c000000
	v_and_b32_e32 v14, 0x80000000, v14
	s_delay_alu instid0(VALU_DEP_1) | instskip(NEXT) | instid1(VALU_DEP_1)
	v_or3_b32 v5, v5, v14, v13
	v_dual_mov_b32 v14, v6 :: v_dual_mov_b32 v13, v5
.LBB230_703:                            ;   in Loop: Header=BB230_424 Depth=1
	s_or_b32 exec_lo, exec_lo, s21
.LBB230_704:                            ;   in Loop: Header=BB230_424 Depth=1
	s_delay_alu instid0(SALU_CYCLE_1)
	s_or_b32 exec_lo, exec_lo, s20
.LBB230_705:                            ;   in Loop: Header=BB230_424 Depth=1
	s_delay_alu instid0(SALU_CYCLE_1) | instskip(SKIP_2) | instid1(VALU_DEP_1)
	s_or_b32 exec_lo, exec_lo, s2
	v_lshrrev_b16 v5, 8, v77
	s_mov_b32 s20, exec_lo
	v_cmpx_ne_u16_e32 0, v5
	s_cbranch_execz .LBB230_713
; %bb.706:                              ;   in Loop: Header=BB230_424 Depth=1
	v_dual_mov_b32 v16, s9 :: v_dual_mov_b32 v15, s8
	s_mov_b32 s21, exec_lo
	v_cmpx_ne_u16_e32 0x80, v5
	s_cbranch_execz .LBB230_712
; %bb.707:                              ;   in Loop: Header=BB230_424 Depth=1
	s_mov_b32 s2, s8
	v_dual_mov_b32 v16, s3 :: v_dual_and_b32 v5, 0xffff, v5
	v_mov_b32_e32 v15, s2
	s_mov_b32 s2, exec_lo
	s_delay_alu instid0(VALU_DEP_2) | instskip(NEXT) | instid1(VALU_DEP_1)
	v_and_b32_e32 v17, 0x7f, v5
	v_cmpx_ne_u32_e32 0x7f, v17
	s_cbranch_execz .LBB230_711
; %bb.708:                              ;   in Loop: Header=BB230_424 Depth=1
	v_and_b32_e32 v5, 7, v5
	v_lshrrev_b32_e32 v15, 3, v17
	s_mov_b32 s22, exec_lo
	v_cmpx_gt_u32_e32 8, v17
; %bb.709:                              ;   in Loop: Header=BB230_424 Depth=1
	s_delay_alu instid0(VALU_DEP_3) | instskip(NEXT) | instid1(VALU_DEP_1)
	v_clz_i32_u32_e32 v15, v5
	v_min_u32_e32 v15, 32, v15
	s_delay_alu instid0(VALU_DEP_1) | instskip(SKIP_1) | instid1(VALU_DEP_2)
	v_subrev_nc_u32_e32 v16, 28, v15
	v_sub_nc_u32_e32 v15, 29, v15
	v_lshlrev_b64 v[16:17], v16, v[5:6]
	s_delay_alu instid0(VALU_DEP_1)
	v_and_b32_e32 v5, 7, v16
; %bb.710:                              ;   in Loop: Header=BB230_424 Depth=1
	s_or_b32 exec_lo, exec_lo, s22
	v_lshlrev_b32_e32 v16, 16, v77
	s_delay_alu instid0(VALU_DEP_2) | instskip(SKIP_1) | instid1(VALU_DEP_3)
	v_lshlrev_b32_e32 v5, 20, v5
	v_lshl_add_u32 v15, v15, 23, 0x3c000000
	v_and_b32_e32 v16, 0x80000000, v16
	s_delay_alu instid0(VALU_DEP_1)
	v_or3_b32 v16, v5, v16, v15
	v_mov_b32_e32 v15, v6
.LBB230_711:                            ;   in Loop: Header=BB230_424 Depth=1
	s_or_b32 exec_lo, exec_lo, s2
.LBB230_712:                            ;   in Loop: Header=BB230_424 Depth=1
	s_delay_alu instid0(SALU_CYCLE_1)
	s_or_b32 exec_lo, exec_lo, s21
.LBB230_713:                            ;   in Loop: Header=BB230_424 Depth=1
	s_delay_alu instid0(SALU_CYCLE_1) | instskip(SKIP_4) | instid1(VALU_DEP_2)
	s_or_b32 exec_lo, exec_lo, s20
	v_mov_b32_e32 v19, 0
	v_lshrrev_b32_e32 v78, 16, v77
	v_mov_b32_e32 v20, 0
	s_mov_b32 s2, exec_lo
	v_and_b32_e32 v5, 0xff, v78
	s_delay_alu instid0(VALU_DEP_2) | instskip(NEXT) | instid1(VALU_DEP_2)
	v_dual_mov_b32 v17, v19 :: v_dual_mov_b32 v18, v20
	v_cmpx_ne_u16_e32 0, v5
	s_cbranch_execz .LBB230_721
; %bb.714:                              ;   in Loop: Header=BB230_424 Depth=1
	v_bfrev_b32_e32 v17, 1
	v_mov_b32_e32 v18, 0
	s_mov_b32 s20, exec_lo
	v_cmpx_ne_u16_e32 0x80, v5
	s_cbranch_execz .LBB230_720
; %bb.715:                              ;   in Loop: Header=BB230_424 Depth=1
	v_mov_b32_e32 v17, 0x7f800001
	v_bfe_u32 v79, v77, 16, 7
	v_mov_b32_e32 v18, 0
	s_mov_b32 s21, exec_lo
	s_delay_alu instid0(VALU_DEP_2)
	v_cmpx_ne_u32_e32 0x7f, v79
	s_cbranch_execz .LBB230_719
; %bb.716:                              ;   in Loop: Header=BB230_424 Depth=1
	v_and_b32_e32 v5, 7, v78
	v_lshrrev_b32_e32 v17, 3, v79
	s_mov_b32 s22, exec_lo
	v_cmpx_gt_u32_e32 8, v79
; %bb.717:                              ;   in Loop: Header=BB230_424 Depth=1
	s_delay_alu instid0(VALU_DEP_3) | instskip(NEXT) | instid1(VALU_DEP_1)
	v_clz_i32_u32_e32 v17, v5
	v_min_u32_e32 v17, 32, v17
	s_delay_alu instid0(VALU_DEP_1) | instskip(SKIP_1) | instid1(VALU_DEP_2)
	v_subrev_nc_u32_e32 v18, 28, v17
	v_sub_nc_u32_e32 v17, 29, v17
	v_lshlrev_b64 v[79:80], v18, v[5:6]
	s_delay_alu instid0(VALU_DEP_1)
	v_and_b32_e32 v5, 7, v79
; %bb.718:                              ;   in Loop: Header=BB230_424 Depth=1
	s_or_b32 exec_lo, exec_lo, s22
	v_lshlrev_b32_e32 v18, 24, v78
	s_delay_alu instid0(VALU_DEP_2) | instskip(SKIP_1) | instid1(VALU_DEP_3)
	v_lshlrev_b32_e32 v5, 20, v5
	v_lshl_add_u32 v17, v17, 23, 0x3c000000
	v_and_b32_e32 v18, 0x80000000, v18
	s_delay_alu instid0(VALU_DEP_1) | instskip(NEXT) | instid1(VALU_DEP_1)
	v_or3_b32 v5, v5, v18, v17
	v_dual_mov_b32 v18, v6 :: v_dual_mov_b32 v17, v5
.LBB230_719:                            ;   in Loop: Header=BB230_424 Depth=1
	s_or_b32 exec_lo, exec_lo, s21
.LBB230_720:                            ;   in Loop: Header=BB230_424 Depth=1
	s_delay_alu instid0(SALU_CYCLE_1)
	s_or_b32 exec_lo, exec_lo, s20
.LBB230_721:                            ;   in Loop: Header=BB230_424 Depth=1
	s_delay_alu instid0(SALU_CYCLE_1) | instskip(NEXT) | instid1(SALU_CYCLE_1)
	s_or_b32 exec_lo, exec_lo, s2
	s_mov_b32 s20, exec_lo
	v_cmpx_lt_u32_e32 0xffffff, v77
	s_cbranch_execz .LBB230_729
; %bb.722:                              ;   in Loop: Header=BB230_424 Depth=1
	v_lshrrev_b32_e32 v78, 24, v77
	v_dual_mov_b32 v20, s9 :: v_dual_mov_b32 v19, s8
	s_mov_b32 s21, exec_lo
	s_delay_alu instid0(VALU_DEP_2)
	v_cmpx_ne_u32_e32 0x80, v78
	s_cbranch_execz .LBB230_728
; %bb.723:                              ;   in Loop: Header=BB230_424 Depth=1
	s_mov_b32 s2, s8
	v_bfe_u32 v77, v77, 24, 7
	v_dual_mov_b32 v20, s3 :: v_dual_mov_b32 v19, s2
	s_mov_b32 s2, exec_lo
	s_delay_alu instid0(VALU_DEP_2)
	v_cmpx_ne_u32_e32 0x7f, v77
	s_cbranch_execz .LBB230_727
; %bb.724:                              ;   in Loop: Header=BB230_424 Depth=1
	v_and_b32_e32 v5, 7, v78
	v_lshrrev_b32_e32 v19, 3, v77
	s_mov_b32 s22, exec_lo
	v_cmpx_gt_u32_e32 8, v77
; %bb.725:                              ;   in Loop: Header=BB230_424 Depth=1
	s_delay_alu instid0(VALU_DEP_3) | instskip(NEXT) | instid1(VALU_DEP_1)
	v_clz_i32_u32_e32 v19, v5
	v_min_u32_e32 v19, 32, v19
	s_delay_alu instid0(VALU_DEP_1) | instskip(SKIP_1) | instid1(VALU_DEP_2)
	v_subrev_nc_u32_e32 v20, 28, v19
	v_sub_nc_u32_e32 v19, 29, v19
	v_lshlrev_b64 v[79:80], v20, v[5:6]
	s_delay_alu instid0(VALU_DEP_1)
	v_and_b32_e32 v5, 7, v79
; %bb.726:                              ;   in Loop: Header=BB230_424 Depth=1
	s_or_b32 exec_lo, exec_lo, s22
	v_lshlrev_b32_e32 v20, 24, v78
	s_delay_alu instid0(VALU_DEP_2) | instskip(SKIP_1) | instid1(VALU_DEP_3)
	v_lshlrev_b32_e32 v5, 20, v5
	v_lshl_add_u32 v19, v19, 23, 0x3c000000
	v_and_b32_e32 v20, 0x80000000, v20
	s_delay_alu instid0(VALU_DEP_1)
	v_or3_b32 v20, v5, v20, v19
	v_mov_b32_e32 v19, v6
.LBB230_727:                            ;   in Loop: Header=BB230_424 Depth=1
	s_or_b32 exec_lo, exec_lo, s2
.LBB230_728:                            ;   in Loop: Header=BB230_424 Depth=1
	s_delay_alu instid0(SALU_CYCLE_1)
	s_or_b32 exec_lo, exec_lo, s21
.LBB230_729:                            ;   in Loop: Header=BB230_424 Depth=1
	s_delay_alu instid0(SALU_CYCLE_1) | instskip(SKIP_4) | instid1(VALU_DEP_4)
	s_or_b32 exec_lo, exec_lo, s20
	v_or_b32_e32 v5, v16, v14
	v_or_b32_e32 v13, v15, v13
	;; [unrolled: 1-line block ×4, first 2 shown]
	v_mul_f32_e32 v80, s18, v5
	s_delay_alu instid0(VALU_DEP_4) | instskip(NEXT) | instid1(VALU_DEP_3)
	v_mul_f32_e32 v79, s17, v13
	v_dual_mul_f32 v77, s18, v14 :: v_dual_mul_f32 v78, s17, v15
	s_and_saveexec_b32 s2, vcc_lo
; %bb.730:                              ;   in Loop: Header=BB230_424 Depth=1
	v_cmp_gt_i32_e64 s0, s33, v44
	s_delay_alu instid0(VALU_DEP_1) | instskip(SKIP_1) | instid1(VALU_DEP_1)
	v_cndmask_b32_e64 v79, 0, v79, s0
	v_cmp_gt_i32_e64 s0, s33, v47
	v_cndmask_b32_e64 v80, 0, v80, s0
	v_cmp_gt_i32_e64 s0, s33, v46
	s_delay_alu instid0(VALU_DEP_1) | instskip(SKIP_1) | instid1(VALU_DEP_1)
	v_cndmask_b32_e64 v78, 0, v78, s0
	v_cmp_gt_i32_e64 s0, s33, v45
	v_cndmask_b32_e64 v77, 0, v77, s0
; %bb.731:                              ;   in Loop: Header=BB230_424 Depth=1
	s_or_b32 exec_lo, exec_lo, s2
	global_load_b32 v81, v[11:12], off offset:1152
	v_mov_b32_e32 v15, 0
	v_mov_b32_e32 v16, 0
	s_mov_b32 s2, exec_lo
	s_waitcnt vmcnt(0)
	v_and_b32_e32 v5, 0xff, v81
	s_delay_alu instid0(VALU_DEP_2) | instskip(NEXT) | instid1(VALU_DEP_2)
	v_dual_mov_b32 v13, v15 :: v_dual_mov_b32 v14, v16
	v_cmpx_ne_u16_e32 0, v5
	s_cbranch_execz .LBB230_739
; %bb.732:                              ;   in Loop: Header=BB230_424 Depth=1
	v_bfrev_b32_e32 v13, 1
	v_mov_b32_e32 v14, 0
	s_mov_b32 s20, exec_lo
	v_cmpx_ne_u16_e32 0x80, v5
	s_cbranch_execz .LBB230_738
; %bb.733:                              ;   in Loop: Header=BB230_424 Depth=1
	v_mov_b32_e32 v13, 0x7f800001
	v_dual_mov_b32 v14, 0 :: v_dual_and_b32 v17, 0x7f, v81
	s_mov_b32 s21, exec_lo
	s_delay_alu instid0(VALU_DEP_1)
	v_cmpx_ne_u32_e32 0x7f, v17
	s_cbranch_execz .LBB230_737
; %bb.734:                              ;   in Loop: Header=BB230_424 Depth=1
	v_and_b32_e32 v5, 7, v81
	v_lshrrev_b32_e32 v13, 3, v17
	s_mov_b32 s22, exec_lo
	v_cmpx_gt_u32_e32 8, v17
; %bb.735:                              ;   in Loop: Header=BB230_424 Depth=1
	s_delay_alu instid0(VALU_DEP_3) | instskip(NEXT) | instid1(VALU_DEP_1)
	v_clz_i32_u32_e32 v13, v5
	v_min_u32_e32 v13, 32, v13
	s_delay_alu instid0(VALU_DEP_1) | instskip(SKIP_1) | instid1(VALU_DEP_2)
	v_subrev_nc_u32_e32 v14, 28, v13
	v_sub_nc_u32_e32 v13, 29, v13
	v_lshlrev_b64 v[17:18], v14, v[5:6]
	s_delay_alu instid0(VALU_DEP_1)
	v_and_b32_e32 v5, 7, v17
; %bb.736:                              ;   in Loop: Header=BB230_424 Depth=1
	s_or_b32 exec_lo, exec_lo, s22
	v_lshlrev_b32_e32 v14, 24, v81
	s_delay_alu instid0(VALU_DEP_2) | instskip(SKIP_1) | instid1(VALU_DEP_3)
	v_lshlrev_b32_e32 v5, 20, v5
	v_lshl_add_u32 v13, v13, 23, 0x3c000000
	v_and_b32_e32 v14, 0x80000000, v14
	s_delay_alu instid0(VALU_DEP_1) | instskip(NEXT) | instid1(VALU_DEP_1)
	v_or3_b32 v5, v5, v14, v13
	v_dual_mov_b32 v14, v6 :: v_dual_mov_b32 v13, v5
.LBB230_737:                            ;   in Loop: Header=BB230_424 Depth=1
	s_or_b32 exec_lo, exec_lo, s21
.LBB230_738:                            ;   in Loop: Header=BB230_424 Depth=1
	s_delay_alu instid0(SALU_CYCLE_1)
	s_or_b32 exec_lo, exec_lo, s20
.LBB230_739:                            ;   in Loop: Header=BB230_424 Depth=1
	s_delay_alu instid0(SALU_CYCLE_1) | instskip(SKIP_2) | instid1(VALU_DEP_1)
	s_or_b32 exec_lo, exec_lo, s2
	v_lshrrev_b16 v5, 8, v81
	s_mov_b32 s20, exec_lo
	v_cmpx_ne_u16_e32 0, v5
	s_cbranch_execz .LBB230_747
; %bb.740:                              ;   in Loop: Header=BB230_424 Depth=1
	v_dual_mov_b32 v16, s9 :: v_dual_mov_b32 v15, s8
	s_mov_b32 s21, exec_lo
	v_cmpx_ne_u16_e32 0x80, v5
	s_cbranch_execz .LBB230_746
; %bb.741:                              ;   in Loop: Header=BB230_424 Depth=1
	s_mov_b32 s2, s8
	v_dual_mov_b32 v16, s3 :: v_dual_and_b32 v5, 0xffff, v5
	v_mov_b32_e32 v15, s2
	s_mov_b32 s2, exec_lo
	s_delay_alu instid0(VALU_DEP_2) | instskip(NEXT) | instid1(VALU_DEP_1)
	v_and_b32_e32 v17, 0x7f, v5
	v_cmpx_ne_u32_e32 0x7f, v17
	s_cbranch_execz .LBB230_745
; %bb.742:                              ;   in Loop: Header=BB230_424 Depth=1
	v_and_b32_e32 v5, 7, v5
	v_lshrrev_b32_e32 v15, 3, v17
	s_mov_b32 s22, exec_lo
	v_cmpx_gt_u32_e32 8, v17
; %bb.743:                              ;   in Loop: Header=BB230_424 Depth=1
	s_delay_alu instid0(VALU_DEP_3) | instskip(NEXT) | instid1(VALU_DEP_1)
	v_clz_i32_u32_e32 v15, v5
	v_min_u32_e32 v15, 32, v15
	s_delay_alu instid0(VALU_DEP_1) | instskip(SKIP_1) | instid1(VALU_DEP_2)
	v_subrev_nc_u32_e32 v16, 28, v15
	v_sub_nc_u32_e32 v15, 29, v15
	v_lshlrev_b64 v[16:17], v16, v[5:6]
	s_delay_alu instid0(VALU_DEP_1)
	v_and_b32_e32 v5, 7, v16
; %bb.744:                              ;   in Loop: Header=BB230_424 Depth=1
	s_or_b32 exec_lo, exec_lo, s22
	v_lshlrev_b32_e32 v16, 16, v81
	s_delay_alu instid0(VALU_DEP_2) | instskip(SKIP_1) | instid1(VALU_DEP_3)
	v_lshlrev_b32_e32 v5, 20, v5
	v_lshl_add_u32 v15, v15, 23, 0x3c000000
	v_and_b32_e32 v16, 0x80000000, v16
	s_delay_alu instid0(VALU_DEP_1)
	v_or3_b32 v16, v5, v16, v15
	v_mov_b32_e32 v15, v6
.LBB230_745:                            ;   in Loop: Header=BB230_424 Depth=1
	s_or_b32 exec_lo, exec_lo, s2
.LBB230_746:                            ;   in Loop: Header=BB230_424 Depth=1
	s_delay_alu instid0(SALU_CYCLE_1)
	s_or_b32 exec_lo, exec_lo, s21
.LBB230_747:                            ;   in Loop: Header=BB230_424 Depth=1
	s_delay_alu instid0(SALU_CYCLE_1) | instskip(SKIP_4) | instid1(VALU_DEP_2)
	s_or_b32 exec_lo, exec_lo, s20
	v_mov_b32_e32 v19, 0
	v_lshrrev_b32_e32 v82, 16, v81
	v_mov_b32_e32 v20, 0
	s_mov_b32 s2, exec_lo
	v_and_b32_e32 v5, 0xff, v82
	s_delay_alu instid0(VALU_DEP_2) | instskip(NEXT) | instid1(VALU_DEP_2)
	v_dual_mov_b32 v17, v19 :: v_dual_mov_b32 v18, v20
	v_cmpx_ne_u16_e32 0, v5
	s_cbranch_execz .LBB230_755
; %bb.748:                              ;   in Loop: Header=BB230_424 Depth=1
	v_bfrev_b32_e32 v17, 1
	v_mov_b32_e32 v18, 0
	s_mov_b32 s20, exec_lo
	v_cmpx_ne_u16_e32 0x80, v5
	s_cbranch_execz .LBB230_754
; %bb.749:                              ;   in Loop: Header=BB230_424 Depth=1
	v_mov_b32_e32 v17, 0x7f800001
	v_bfe_u32 v83, v81, 16, 7
	v_mov_b32_e32 v18, 0
	s_mov_b32 s21, exec_lo
	s_delay_alu instid0(VALU_DEP_2)
	v_cmpx_ne_u32_e32 0x7f, v83
	s_cbranch_execz .LBB230_753
; %bb.750:                              ;   in Loop: Header=BB230_424 Depth=1
	v_and_b32_e32 v5, 7, v82
	v_lshrrev_b32_e32 v17, 3, v83
	s_mov_b32 s22, exec_lo
	v_cmpx_gt_u32_e32 8, v83
; %bb.751:                              ;   in Loop: Header=BB230_424 Depth=1
	s_delay_alu instid0(VALU_DEP_3) | instskip(NEXT) | instid1(VALU_DEP_1)
	v_clz_i32_u32_e32 v17, v5
	v_min_u32_e32 v17, 32, v17
	s_delay_alu instid0(VALU_DEP_1) | instskip(SKIP_1) | instid1(VALU_DEP_2)
	v_subrev_nc_u32_e32 v18, 28, v17
	v_sub_nc_u32_e32 v17, 29, v17
	v_lshlrev_b64 v[83:84], v18, v[5:6]
	s_delay_alu instid0(VALU_DEP_1)
	v_and_b32_e32 v5, 7, v83
; %bb.752:                              ;   in Loop: Header=BB230_424 Depth=1
	s_or_b32 exec_lo, exec_lo, s22
	v_lshlrev_b32_e32 v18, 24, v82
	s_delay_alu instid0(VALU_DEP_2) | instskip(SKIP_1) | instid1(VALU_DEP_3)
	v_lshlrev_b32_e32 v5, 20, v5
	v_lshl_add_u32 v17, v17, 23, 0x3c000000
	v_and_b32_e32 v18, 0x80000000, v18
	s_delay_alu instid0(VALU_DEP_1) | instskip(NEXT) | instid1(VALU_DEP_1)
	v_or3_b32 v5, v5, v18, v17
	v_dual_mov_b32 v18, v6 :: v_dual_mov_b32 v17, v5
.LBB230_753:                            ;   in Loop: Header=BB230_424 Depth=1
	s_or_b32 exec_lo, exec_lo, s21
.LBB230_754:                            ;   in Loop: Header=BB230_424 Depth=1
	s_delay_alu instid0(SALU_CYCLE_1)
	s_or_b32 exec_lo, exec_lo, s20
.LBB230_755:                            ;   in Loop: Header=BB230_424 Depth=1
	s_delay_alu instid0(SALU_CYCLE_1) | instskip(NEXT) | instid1(SALU_CYCLE_1)
	s_or_b32 exec_lo, exec_lo, s2
	s_mov_b32 s20, exec_lo
	v_cmpx_lt_u32_e32 0xffffff, v81
	s_cbranch_execz .LBB230_763
; %bb.756:                              ;   in Loop: Header=BB230_424 Depth=1
	v_lshrrev_b32_e32 v82, 24, v81
	v_dual_mov_b32 v20, s9 :: v_dual_mov_b32 v19, s8
	s_mov_b32 s21, exec_lo
	s_delay_alu instid0(VALU_DEP_2)
	v_cmpx_ne_u32_e32 0x80, v82
	s_cbranch_execz .LBB230_762
; %bb.757:                              ;   in Loop: Header=BB230_424 Depth=1
	s_mov_b32 s2, s8
	v_bfe_u32 v81, v81, 24, 7
	v_dual_mov_b32 v20, s3 :: v_dual_mov_b32 v19, s2
	s_mov_b32 s2, exec_lo
	s_delay_alu instid0(VALU_DEP_2)
	v_cmpx_ne_u32_e32 0x7f, v81
	s_cbranch_execz .LBB230_761
; %bb.758:                              ;   in Loop: Header=BB230_424 Depth=1
	v_and_b32_e32 v5, 7, v82
	v_lshrrev_b32_e32 v19, 3, v81
	s_mov_b32 s22, exec_lo
	v_cmpx_gt_u32_e32 8, v81
; %bb.759:                              ;   in Loop: Header=BB230_424 Depth=1
	s_delay_alu instid0(VALU_DEP_3) | instskip(NEXT) | instid1(VALU_DEP_1)
	v_clz_i32_u32_e32 v19, v5
	v_min_u32_e32 v19, 32, v19
	s_delay_alu instid0(VALU_DEP_1) | instskip(SKIP_1) | instid1(VALU_DEP_2)
	v_subrev_nc_u32_e32 v20, 28, v19
	v_sub_nc_u32_e32 v19, 29, v19
	v_lshlrev_b64 v[83:84], v20, v[5:6]
	s_delay_alu instid0(VALU_DEP_1)
	v_and_b32_e32 v5, 7, v83
; %bb.760:                              ;   in Loop: Header=BB230_424 Depth=1
	s_or_b32 exec_lo, exec_lo, s22
	v_lshlrev_b32_e32 v20, 24, v82
	s_delay_alu instid0(VALU_DEP_2) | instskip(SKIP_1) | instid1(VALU_DEP_3)
	v_lshlrev_b32_e32 v5, 20, v5
	v_lshl_add_u32 v19, v19, 23, 0x3c000000
	v_and_b32_e32 v20, 0x80000000, v20
	s_delay_alu instid0(VALU_DEP_1)
	v_or3_b32 v20, v5, v20, v19
	v_mov_b32_e32 v19, v6
.LBB230_761:                            ;   in Loop: Header=BB230_424 Depth=1
	s_or_b32 exec_lo, exec_lo, s2
.LBB230_762:                            ;   in Loop: Header=BB230_424 Depth=1
	s_delay_alu instid0(SALU_CYCLE_1)
	s_or_b32 exec_lo, exec_lo, s21
.LBB230_763:                            ;   in Loop: Header=BB230_424 Depth=1
	s_delay_alu instid0(SALU_CYCLE_1) | instskip(SKIP_4) | instid1(VALU_DEP_4)
	s_or_b32 exec_lo, exec_lo, s20
	v_or_b32_e32 v5, v16, v14
	v_or_b32_e32 v13, v15, v13
	;; [unrolled: 1-line block ×4, first 2 shown]
	v_mul_f32_e32 v84, s18, v5
	s_delay_alu instid0(VALU_DEP_4) | instskip(NEXT) | instid1(VALU_DEP_3)
	v_mul_f32_e32 v83, s17, v13
	v_dual_mul_f32 v81, s18, v14 :: v_dual_mul_f32 v82, s17, v15
	s_and_saveexec_b32 s2, vcc_lo
; %bb.764:                              ;   in Loop: Header=BB230_424 Depth=1
	v_cmp_gt_i32_e64 s0, s33, v44
	s_delay_alu instid0(VALU_DEP_1) | instskip(SKIP_1) | instid1(VALU_DEP_1)
	v_cndmask_b32_e64 v83, 0, v83, s0
	v_cmp_gt_i32_e64 s0, s33, v47
	v_cndmask_b32_e64 v84, 0, v84, s0
	v_cmp_gt_i32_e64 s0, s33, v46
	s_delay_alu instid0(VALU_DEP_1) | instskip(SKIP_1) | instid1(VALU_DEP_1)
	v_cndmask_b32_e64 v82, 0, v82, s0
	v_cmp_gt_i32_e64 s0, s33, v45
	v_cndmask_b32_e64 v81, 0, v81, s0
; %bb.765:                              ;   in Loop: Header=BB230_424 Depth=1
	s_or_b32 exec_lo, exec_lo, s2
	global_load_b32 v85, v[11:12], off offset:1280
	v_mov_b32_e32 v15, 0
	v_mov_b32_e32 v16, 0
	s_mov_b32 s2, exec_lo
	s_waitcnt vmcnt(0)
	v_and_b32_e32 v5, 0xff, v85
	s_delay_alu instid0(VALU_DEP_2) | instskip(NEXT) | instid1(VALU_DEP_2)
	v_dual_mov_b32 v13, v15 :: v_dual_mov_b32 v14, v16
	v_cmpx_ne_u16_e32 0, v5
	s_cbranch_execz .LBB230_773
; %bb.766:                              ;   in Loop: Header=BB230_424 Depth=1
	v_bfrev_b32_e32 v13, 1
	v_mov_b32_e32 v14, 0
	s_mov_b32 s20, exec_lo
	v_cmpx_ne_u16_e32 0x80, v5
	s_cbranch_execz .LBB230_772
; %bb.767:                              ;   in Loop: Header=BB230_424 Depth=1
	v_mov_b32_e32 v13, 0x7f800001
	v_dual_mov_b32 v14, 0 :: v_dual_and_b32 v17, 0x7f, v85
	s_mov_b32 s21, exec_lo
	s_delay_alu instid0(VALU_DEP_1)
	v_cmpx_ne_u32_e32 0x7f, v17
	s_cbranch_execz .LBB230_771
; %bb.768:                              ;   in Loop: Header=BB230_424 Depth=1
	v_and_b32_e32 v5, 7, v85
	v_lshrrev_b32_e32 v13, 3, v17
	s_mov_b32 s22, exec_lo
	v_cmpx_gt_u32_e32 8, v17
; %bb.769:                              ;   in Loop: Header=BB230_424 Depth=1
	s_delay_alu instid0(VALU_DEP_3) | instskip(NEXT) | instid1(VALU_DEP_1)
	v_clz_i32_u32_e32 v13, v5
	v_min_u32_e32 v13, 32, v13
	s_delay_alu instid0(VALU_DEP_1) | instskip(SKIP_1) | instid1(VALU_DEP_2)
	v_subrev_nc_u32_e32 v14, 28, v13
	v_sub_nc_u32_e32 v13, 29, v13
	v_lshlrev_b64 v[17:18], v14, v[5:6]
	s_delay_alu instid0(VALU_DEP_1)
	v_and_b32_e32 v5, 7, v17
; %bb.770:                              ;   in Loop: Header=BB230_424 Depth=1
	s_or_b32 exec_lo, exec_lo, s22
	v_lshlrev_b32_e32 v14, 24, v85
	s_delay_alu instid0(VALU_DEP_2) | instskip(SKIP_1) | instid1(VALU_DEP_3)
	v_lshlrev_b32_e32 v5, 20, v5
	v_lshl_add_u32 v13, v13, 23, 0x3c000000
	v_and_b32_e32 v14, 0x80000000, v14
	s_delay_alu instid0(VALU_DEP_1) | instskip(NEXT) | instid1(VALU_DEP_1)
	v_or3_b32 v5, v5, v14, v13
	v_dual_mov_b32 v14, v6 :: v_dual_mov_b32 v13, v5
.LBB230_771:                            ;   in Loop: Header=BB230_424 Depth=1
	s_or_b32 exec_lo, exec_lo, s21
.LBB230_772:                            ;   in Loop: Header=BB230_424 Depth=1
	s_delay_alu instid0(SALU_CYCLE_1)
	s_or_b32 exec_lo, exec_lo, s20
.LBB230_773:                            ;   in Loop: Header=BB230_424 Depth=1
	s_delay_alu instid0(SALU_CYCLE_1) | instskip(SKIP_2) | instid1(VALU_DEP_1)
	s_or_b32 exec_lo, exec_lo, s2
	v_lshrrev_b16 v5, 8, v85
	s_mov_b32 s20, exec_lo
	v_cmpx_ne_u16_e32 0, v5
	s_cbranch_execz .LBB230_781
; %bb.774:                              ;   in Loop: Header=BB230_424 Depth=1
	v_dual_mov_b32 v16, s9 :: v_dual_mov_b32 v15, s8
	s_mov_b32 s21, exec_lo
	v_cmpx_ne_u16_e32 0x80, v5
	s_cbranch_execz .LBB230_780
; %bb.775:                              ;   in Loop: Header=BB230_424 Depth=1
	s_mov_b32 s2, s8
	v_dual_mov_b32 v16, s3 :: v_dual_and_b32 v5, 0xffff, v5
	v_mov_b32_e32 v15, s2
	s_mov_b32 s2, exec_lo
	s_delay_alu instid0(VALU_DEP_2) | instskip(NEXT) | instid1(VALU_DEP_1)
	v_and_b32_e32 v17, 0x7f, v5
	v_cmpx_ne_u32_e32 0x7f, v17
	s_cbranch_execz .LBB230_779
; %bb.776:                              ;   in Loop: Header=BB230_424 Depth=1
	v_and_b32_e32 v5, 7, v5
	v_lshrrev_b32_e32 v15, 3, v17
	s_mov_b32 s22, exec_lo
	v_cmpx_gt_u32_e32 8, v17
; %bb.777:                              ;   in Loop: Header=BB230_424 Depth=1
	s_delay_alu instid0(VALU_DEP_3) | instskip(NEXT) | instid1(VALU_DEP_1)
	v_clz_i32_u32_e32 v15, v5
	v_min_u32_e32 v15, 32, v15
	s_delay_alu instid0(VALU_DEP_1) | instskip(SKIP_1) | instid1(VALU_DEP_2)
	v_subrev_nc_u32_e32 v16, 28, v15
	v_sub_nc_u32_e32 v15, 29, v15
	v_lshlrev_b64 v[16:17], v16, v[5:6]
	s_delay_alu instid0(VALU_DEP_1)
	v_and_b32_e32 v5, 7, v16
; %bb.778:                              ;   in Loop: Header=BB230_424 Depth=1
	s_or_b32 exec_lo, exec_lo, s22
	v_lshlrev_b32_e32 v16, 16, v85
	s_delay_alu instid0(VALU_DEP_2) | instskip(SKIP_1) | instid1(VALU_DEP_3)
	v_lshlrev_b32_e32 v5, 20, v5
	v_lshl_add_u32 v15, v15, 23, 0x3c000000
	v_and_b32_e32 v16, 0x80000000, v16
	s_delay_alu instid0(VALU_DEP_1)
	v_or3_b32 v16, v5, v16, v15
	v_mov_b32_e32 v15, v6
.LBB230_779:                            ;   in Loop: Header=BB230_424 Depth=1
	s_or_b32 exec_lo, exec_lo, s2
.LBB230_780:                            ;   in Loop: Header=BB230_424 Depth=1
	s_delay_alu instid0(SALU_CYCLE_1)
	s_or_b32 exec_lo, exec_lo, s21
.LBB230_781:                            ;   in Loop: Header=BB230_424 Depth=1
	s_delay_alu instid0(SALU_CYCLE_1) | instskip(SKIP_4) | instid1(VALU_DEP_2)
	s_or_b32 exec_lo, exec_lo, s20
	v_mov_b32_e32 v19, 0
	v_lshrrev_b32_e32 v86, 16, v85
	v_mov_b32_e32 v20, 0
	s_mov_b32 s2, exec_lo
	v_and_b32_e32 v5, 0xff, v86
	s_delay_alu instid0(VALU_DEP_2) | instskip(NEXT) | instid1(VALU_DEP_2)
	v_dual_mov_b32 v17, v19 :: v_dual_mov_b32 v18, v20
	v_cmpx_ne_u16_e32 0, v5
	s_cbranch_execz .LBB230_789
; %bb.782:                              ;   in Loop: Header=BB230_424 Depth=1
	v_bfrev_b32_e32 v17, 1
	v_mov_b32_e32 v18, 0
	s_mov_b32 s20, exec_lo
	v_cmpx_ne_u16_e32 0x80, v5
	s_cbranch_execz .LBB230_788
; %bb.783:                              ;   in Loop: Header=BB230_424 Depth=1
	v_mov_b32_e32 v17, 0x7f800001
	v_bfe_u32 v87, v85, 16, 7
	v_mov_b32_e32 v18, 0
	s_mov_b32 s21, exec_lo
	s_delay_alu instid0(VALU_DEP_2)
	v_cmpx_ne_u32_e32 0x7f, v87
	s_cbranch_execz .LBB230_787
; %bb.784:                              ;   in Loop: Header=BB230_424 Depth=1
	v_and_b32_e32 v5, 7, v86
	v_lshrrev_b32_e32 v17, 3, v87
	s_mov_b32 s22, exec_lo
	v_cmpx_gt_u32_e32 8, v87
; %bb.785:                              ;   in Loop: Header=BB230_424 Depth=1
	s_delay_alu instid0(VALU_DEP_3) | instskip(NEXT) | instid1(VALU_DEP_1)
	v_clz_i32_u32_e32 v17, v5
	v_min_u32_e32 v17, 32, v17
	s_delay_alu instid0(VALU_DEP_1) | instskip(SKIP_1) | instid1(VALU_DEP_2)
	v_subrev_nc_u32_e32 v18, 28, v17
	v_sub_nc_u32_e32 v17, 29, v17
	v_lshlrev_b64 v[87:88], v18, v[5:6]
	s_delay_alu instid0(VALU_DEP_1)
	v_and_b32_e32 v5, 7, v87
; %bb.786:                              ;   in Loop: Header=BB230_424 Depth=1
	s_or_b32 exec_lo, exec_lo, s22
	v_lshlrev_b32_e32 v18, 24, v86
	s_delay_alu instid0(VALU_DEP_2) | instskip(SKIP_1) | instid1(VALU_DEP_3)
	v_lshlrev_b32_e32 v5, 20, v5
	v_lshl_add_u32 v17, v17, 23, 0x3c000000
	v_and_b32_e32 v18, 0x80000000, v18
	s_delay_alu instid0(VALU_DEP_1) | instskip(NEXT) | instid1(VALU_DEP_1)
	v_or3_b32 v5, v5, v18, v17
	v_dual_mov_b32 v18, v6 :: v_dual_mov_b32 v17, v5
.LBB230_787:                            ;   in Loop: Header=BB230_424 Depth=1
	s_or_b32 exec_lo, exec_lo, s21
.LBB230_788:                            ;   in Loop: Header=BB230_424 Depth=1
	s_delay_alu instid0(SALU_CYCLE_1)
	s_or_b32 exec_lo, exec_lo, s20
.LBB230_789:                            ;   in Loop: Header=BB230_424 Depth=1
	s_delay_alu instid0(SALU_CYCLE_1) | instskip(NEXT) | instid1(SALU_CYCLE_1)
	s_or_b32 exec_lo, exec_lo, s2
	s_mov_b32 s20, exec_lo
	v_cmpx_lt_u32_e32 0xffffff, v85
	s_cbranch_execz .LBB230_797
; %bb.790:                              ;   in Loop: Header=BB230_424 Depth=1
	v_lshrrev_b32_e32 v86, 24, v85
	v_dual_mov_b32 v20, s9 :: v_dual_mov_b32 v19, s8
	s_mov_b32 s21, exec_lo
	s_delay_alu instid0(VALU_DEP_2)
	v_cmpx_ne_u32_e32 0x80, v86
	s_cbranch_execz .LBB230_796
; %bb.791:                              ;   in Loop: Header=BB230_424 Depth=1
	s_mov_b32 s2, s8
	v_bfe_u32 v85, v85, 24, 7
	v_dual_mov_b32 v20, s3 :: v_dual_mov_b32 v19, s2
	s_mov_b32 s2, exec_lo
	s_delay_alu instid0(VALU_DEP_2)
	v_cmpx_ne_u32_e32 0x7f, v85
	s_cbranch_execz .LBB230_795
; %bb.792:                              ;   in Loop: Header=BB230_424 Depth=1
	v_and_b32_e32 v5, 7, v86
	v_lshrrev_b32_e32 v19, 3, v85
	s_mov_b32 s22, exec_lo
	v_cmpx_gt_u32_e32 8, v85
; %bb.793:                              ;   in Loop: Header=BB230_424 Depth=1
	s_delay_alu instid0(VALU_DEP_3) | instskip(NEXT) | instid1(VALU_DEP_1)
	v_clz_i32_u32_e32 v19, v5
	v_min_u32_e32 v19, 32, v19
	s_delay_alu instid0(VALU_DEP_1) | instskip(SKIP_1) | instid1(VALU_DEP_2)
	v_subrev_nc_u32_e32 v20, 28, v19
	v_sub_nc_u32_e32 v19, 29, v19
	v_lshlrev_b64 v[87:88], v20, v[5:6]
	s_delay_alu instid0(VALU_DEP_1)
	v_and_b32_e32 v5, 7, v87
; %bb.794:                              ;   in Loop: Header=BB230_424 Depth=1
	s_or_b32 exec_lo, exec_lo, s22
	v_lshlrev_b32_e32 v20, 24, v86
	s_delay_alu instid0(VALU_DEP_2) | instskip(SKIP_1) | instid1(VALU_DEP_3)
	v_lshlrev_b32_e32 v5, 20, v5
	v_lshl_add_u32 v19, v19, 23, 0x3c000000
	v_and_b32_e32 v20, 0x80000000, v20
	s_delay_alu instid0(VALU_DEP_1)
	v_or3_b32 v20, v5, v20, v19
	v_mov_b32_e32 v19, v6
.LBB230_795:                            ;   in Loop: Header=BB230_424 Depth=1
	s_or_b32 exec_lo, exec_lo, s2
.LBB230_796:                            ;   in Loop: Header=BB230_424 Depth=1
	s_delay_alu instid0(SALU_CYCLE_1)
	s_or_b32 exec_lo, exec_lo, s21
.LBB230_797:                            ;   in Loop: Header=BB230_424 Depth=1
	s_delay_alu instid0(SALU_CYCLE_1) | instskip(SKIP_4) | instid1(VALU_DEP_4)
	s_or_b32 exec_lo, exec_lo, s20
	v_or_b32_e32 v5, v16, v14
	v_or_b32_e32 v13, v15, v13
	;; [unrolled: 1-line block ×4, first 2 shown]
	v_mul_f32_e32 v86, s18, v5
	s_delay_alu instid0(VALU_DEP_4) | instskip(NEXT) | instid1(VALU_DEP_3)
	v_mul_f32_e32 v85, s17, v13
	v_dual_mul_f32 v19, s18, v14 :: v_dual_mul_f32 v20, s17, v15
	s_and_saveexec_b32 s2, vcc_lo
; %bb.798:                              ;   in Loop: Header=BB230_424 Depth=1
	v_cmp_gt_i32_e64 s0, s33, v44
	s_delay_alu instid0(VALU_DEP_1) | instskip(SKIP_1) | instid1(VALU_DEP_1)
	v_cndmask_b32_e64 v85, 0, v85, s0
	v_cmp_gt_i32_e64 s0, s33, v47
	v_cndmask_b32_e64 v86, 0, v86, s0
	v_cmp_gt_i32_e64 s0, s33, v46
	s_delay_alu instid0(VALU_DEP_1) | instskip(SKIP_1) | instid1(VALU_DEP_1)
	v_cndmask_b32_e64 v20, 0, v20, s0
	v_cmp_gt_i32_e64 s0, s33, v45
	v_cndmask_b32_e64 v19, 0, v19, s0
; %bb.799:                              ;   in Loop: Header=BB230_424 Depth=1
	s_or_b32 exec_lo, exec_lo, s2
	global_load_b32 v87, v[11:12], off offset:1408
	v_mov_b32_e32 v13, 0
	v_mov_b32_e32 v14, 0
	s_mov_b32 s2, exec_lo
	s_waitcnt vmcnt(0)
	v_and_b32_e32 v5, 0xff, v87
	s_delay_alu instid0(VALU_DEP_2) | instskip(NEXT) | instid1(VALU_DEP_2)
	v_dual_mov_b32 v11, v13 :: v_dual_mov_b32 v12, v14
	v_cmpx_ne_u16_e32 0, v5
	s_cbranch_execz .LBB230_807
; %bb.800:                              ;   in Loop: Header=BB230_424 Depth=1
	v_bfrev_b32_e32 v11, 1
	v_mov_b32_e32 v12, 0
	s_mov_b32 s20, exec_lo
	v_cmpx_ne_u16_e32 0x80, v5
	s_cbranch_execz .LBB230_806
; %bb.801:                              ;   in Loop: Header=BB230_424 Depth=1
	v_mov_b32_e32 v11, 0x7f800001
	v_dual_mov_b32 v12, 0 :: v_dual_and_b32 v15, 0x7f, v87
	s_mov_b32 s21, exec_lo
	s_delay_alu instid0(VALU_DEP_1)
	v_cmpx_ne_u32_e32 0x7f, v15
	s_cbranch_execz .LBB230_805
; %bb.802:                              ;   in Loop: Header=BB230_424 Depth=1
	v_and_b32_e32 v5, 7, v87
	v_lshrrev_b32_e32 v11, 3, v15
	s_mov_b32 s22, exec_lo
	v_cmpx_gt_u32_e32 8, v15
; %bb.803:                              ;   in Loop: Header=BB230_424 Depth=1
	s_delay_alu instid0(VALU_DEP_3) | instskip(NEXT) | instid1(VALU_DEP_1)
	v_clz_i32_u32_e32 v11, v5
	v_min_u32_e32 v11, 32, v11
	s_delay_alu instid0(VALU_DEP_1) | instskip(SKIP_1) | instid1(VALU_DEP_2)
	v_subrev_nc_u32_e32 v12, 28, v11
	v_sub_nc_u32_e32 v11, 29, v11
	v_lshlrev_b64 v[15:16], v12, v[5:6]
	s_delay_alu instid0(VALU_DEP_1)
	v_and_b32_e32 v5, 7, v15
; %bb.804:                              ;   in Loop: Header=BB230_424 Depth=1
	s_or_b32 exec_lo, exec_lo, s22
	v_lshlrev_b32_e32 v12, 24, v87
	s_delay_alu instid0(VALU_DEP_2) | instskip(SKIP_1) | instid1(VALU_DEP_3)
	v_lshlrev_b32_e32 v5, 20, v5
	v_lshl_add_u32 v11, v11, 23, 0x3c000000
	v_and_b32_e32 v12, 0x80000000, v12
	s_delay_alu instid0(VALU_DEP_1) | instskip(NEXT) | instid1(VALU_DEP_1)
	v_or3_b32 v5, v5, v12, v11
	v_dual_mov_b32 v12, v6 :: v_dual_mov_b32 v11, v5
.LBB230_805:                            ;   in Loop: Header=BB230_424 Depth=1
	s_or_b32 exec_lo, exec_lo, s21
.LBB230_806:                            ;   in Loop: Header=BB230_424 Depth=1
	s_delay_alu instid0(SALU_CYCLE_1)
	s_or_b32 exec_lo, exec_lo, s20
.LBB230_807:                            ;   in Loop: Header=BB230_424 Depth=1
	s_delay_alu instid0(SALU_CYCLE_1) | instskip(SKIP_2) | instid1(VALU_DEP_1)
	s_or_b32 exec_lo, exec_lo, s2
	v_lshrrev_b16 v5, 8, v87
	s_mov_b32 s20, exec_lo
	v_cmpx_ne_u16_e32 0, v5
	s_cbranch_execz .LBB230_815
; %bb.808:                              ;   in Loop: Header=BB230_424 Depth=1
	v_dual_mov_b32 v14, s9 :: v_dual_mov_b32 v13, s8
	s_mov_b32 s21, exec_lo
	v_cmpx_ne_u16_e32 0x80, v5
	s_cbranch_execz .LBB230_814
; %bb.809:                              ;   in Loop: Header=BB230_424 Depth=1
	s_mov_b32 s2, s8
	v_dual_mov_b32 v14, s3 :: v_dual_and_b32 v5, 0xffff, v5
	v_mov_b32_e32 v13, s2
	s_mov_b32 s2, exec_lo
	s_delay_alu instid0(VALU_DEP_2) | instskip(NEXT) | instid1(VALU_DEP_1)
	v_and_b32_e32 v15, 0x7f, v5
	v_cmpx_ne_u32_e32 0x7f, v15
	s_cbranch_execz .LBB230_813
; %bb.810:                              ;   in Loop: Header=BB230_424 Depth=1
	v_and_b32_e32 v5, 7, v5
	v_lshrrev_b32_e32 v13, 3, v15
	s_mov_b32 s22, exec_lo
	v_cmpx_gt_u32_e32 8, v15
; %bb.811:                              ;   in Loop: Header=BB230_424 Depth=1
	s_delay_alu instid0(VALU_DEP_3) | instskip(NEXT) | instid1(VALU_DEP_1)
	v_clz_i32_u32_e32 v13, v5
	v_min_u32_e32 v13, 32, v13
	s_delay_alu instid0(VALU_DEP_1) | instskip(SKIP_1) | instid1(VALU_DEP_2)
	v_subrev_nc_u32_e32 v14, 28, v13
	v_sub_nc_u32_e32 v13, 29, v13
	v_lshlrev_b64 v[14:15], v14, v[5:6]
	s_delay_alu instid0(VALU_DEP_1)
	v_and_b32_e32 v5, 7, v14
; %bb.812:                              ;   in Loop: Header=BB230_424 Depth=1
	s_or_b32 exec_lo, exec_lo, s22
	v_lshlrev_b32_e32 v14, 16, v87
	s_delay_alu instid0(VALU_DEP_2) | instskip(SKIP_1) | instid1(VALU_DEP_3)
	v_lshlrev_b32_e32 v5, 20, v5
	v_lshl_add_u32 v13, v13, 23, 0x3c000000
	v_and_b32_e32 v14, 0x80000000, v14
	s_delay_alu instid0(VALU_DEP_1)
	v_or3_b32 v14, v5, v14, v13
	v_mov_b32_e32 v13, v6
.LBB230_813:                            ;   in Loop: Header=BB230_424 Depth=1
	s_or_b32 exec_lo, exec_lo, s2
.LBB230_814:                            ;   in Loop: Header=BB230_424 Depth=1
	s_delay_alu instid0(SALU_CYCLE_1)
	s_or_b32 exec_lo, exec_lo, s21
.LBB230_815:                            ;   in Loop: Header=BB230_424 Depth=1
	s_delay_alu instid0(SALU_CYCLE_1) | instskip(SKIP_4) | instid1(VALU_DEP_2)
	s_or_b32 exec_lo, exec_lo, s20
	v_mov_b32_e32 v17, 0
	v_lshrrev_b32_e32 v88, 16, v87
	v_mov_b32_e32 v18, 0
	s_mov_b32 s2, exec_lo
	v_and_b32_e32 v5, 0xff, v88
	s_delay_alu instid0(VALU_DEP_2) | instskip(NEXT) | instid1(VALU_DEP_2)
	v_dual_mov_b32 v15, v17 :: v_dual_mov_b32 v16, v18
	v_cmpx_ne_u16_e32 0, v5
	s_cbranch_execz .LBB230_823
; %bb.816:                              ;   in Loop: Header=BB230_424 Depth=1
	v_bfrev_b32_e32 v15, 1
	v_mov_b32_e32 v16, 0
	s_mov_b32 s20, exec_lo
	v_cmpx_ne_u16_e32 0x80, v5
	s_cbranch_execz .LBB230_822
; %bb.817:                              ;   in Loop: Header=BB230_424 Depth=1
	v_mov_b32_e32 v15, 0x7f800001
	v_bfe_u32 v89, v87, 16, 7
	v_mov_b32_e32 v16, 0
	s_mov_b32 s21, exec_lo
	s_delay_alu instid0(VALU_DEP_2)
	v_cmpx_ne_u32_e32 0x7f, v89
	s_cbranch_execz .LBB230_821
; %bb.818:                              ;   in Loop: Header=BB230_424 Depth=1
	v_and_b32_e32 v5, 7, v88
	v_lshrrev_b32_e32 v15, 3, v89
	s_mov_b32 s22, exec_lo
	v_cmpx_gt_u32_e32 8, v89
; %bb.819:                              ;   in Loop: Header=BB230_424 Depth=1
	s_delay_alu instid0(VALU_DEP_3) | instskip(NEXT) | instid1(VALU_DEP_1)
	v_clz_i32_u32_e32 v15, v5
	v_min_u32_e32 v15, 32, v15
	s_delay_alu instid0(VALU_DEP_1) | instskip(SKIP_1) | instid1(VALU_DEP_2)
	v_subrev_nc_u32_e32 v16, 28, v15
	v_sub_nc_u32_e32 v15, 29, v15
	v_lshlrev_b64 v[89:90], v16, v[5:6]
	s_delay_alu instid0(VALU_DEP_1)
	v_and_b32_e32 v5, 7, v89
; %bb.820:                              ;   in Loop: Header=BB230_424 Depth=1
	s_or_b32 exec_lo, exec_lo, s22
	v_lshlrev_b32_e32 v16, 24, v88
	s_delay_alu instid0(VALU_DEP_2) | instskip(SKIP_1) | instid1(VALU_DEP_3)
	v_lshlrev_b32_e32 v5, 20, v5
	v_lshl_add_u32 v15, v15, 23, 0x3c000000
	v_and_b32_e32 v16, 0x80000000, v16
	s_delay_alu instid0(VALU_DEP_1) | instskip(NEXT) | instid1(VALU_DEP_1)
	v_or3_b32 v5, v5, v16, v15
	v_dual_mov_b32 v16, v6 :: v_dual_mov_b32 v15, v5
.LBB230_821:                            ;   in Loop: Header=BB230_424 Depth=1
	s_or_b32 exec_lo, exec_lo, s21
.LBB230_822:                            ;   in Loop: Header=BB230_424 Depth=1
	s_delay_alu instid0(SALU_CYCLE_1)
	s_or_b32 exec_lo, exec_lo, s20
.LBB230_823:                            ;   in Loop: Header=BB230_424 Depth=1
	s_delay_alu instid0(SALU_CYCLE_1) | instskip(NEXT) | instid1(SALU_CYCLE_1)
	s_or_b32 exec_lo, exec_lo, s2
	s_mov_b32 s20, exec_lo
	v_cmpx_lt_u32_e32 0xffffff, v87
	s_cbranch_execz .LBB230_831
; %bb.824:                              ;   in Loop: Header=BB230_424 Depth=1
	v_lshrrev_b32_e32 v88, 24, v87
	v_dual_mov_b32 v18, s9 :: v_dual_mov_b32 v17, s8
	s_mov_b32 s21, exec_lo
	s_delay_alu instid0(VALU_DEP_2)
	v_cmpx_ne_u32_e32 0x80, v88
	s_cbranch_execz .LBB230_830
; %bb.825:                              ;   in Loop: Header=BB230_424 Depth=1
	s_mov_b32 s2, s8
	v_bfe_u32 v87, v87, 24, 7
	v_dual_mov_b32 v18, s3 :: v_dual_mov_b32 v17, s2
	s_mov_b32 s2, exec_lo
	s_delay_alu instid0(VALU_DEP_2)
	v_cmpx_ne_u32_e32 0x7f, v87
	s_cbranch_execz .LBB230_829
; %bb.826:                              ;   in Loop: Header=BB230_424 Depth=1
	v_and_b32_e32 v5, 7, v88
	v_lshrrev_b32_e32 v17, 3, v87
	s_mov_b32 s22, exec_lo
	v_cmpx_gt_u32_e32 8, v87
; %bb.827:                              ;   in Loop: Header=BB230_424 Depth=1
	s_delay_alu instid0(VALU_DEP_3) | instskip(NEXT) | instid1(VALU_DEP_1)
	v_clz_i32_u32_e32 v17, v5
	v_min_u32_e32 v17, 32, v17
	s_delay_alu instid0(VALU_DEP_1) | instskip(SKIP_1) | instid1(VALU_DEP_2)
	v_subrev_nc_u32_e32 v18, 28, v17
	v_sub_nc_u32_e32 v17, 29, v17
	v_lshlrev_b64 v[89:90], v18, v[5:6]
	s_delay_alu instid0(VALU_DEP_1)
	v_and_b32_e32 v5, 7, v89
; %bb.828:                              ;   in Loop: Header=BB230_424 Depth=1
	s_or_b32 exec_lo, exec_lo, s22
	v_lshlrev_b32_e32 v18, 24, v88
	s_delay_alu instid0(VALU_DEP_2) | instskip(SKIP_1) | instid1(VALU_DEP_3)
	v_lshlrev_b32_e32 v5, 20, v5
	v_lshl_add_u32 v17, v17, 23, 0x3c000000
	v_and_b32_e32 v18, 0x80000000, v18
	s_delay_alu instid0(VALU_DEP_1)
	v_or3_b32 v18, v5, v18, v17
	v_mov_b32_e32 v17, v6
.LBB230_829:                            ;   in Loop: Header=BB230_424 Depth=1
	s_or_b32 exec_lo, exec_lo, s2
.LBB230_830:                            ;   in Loop: Header=BB230_424 Depth=1
	s_delay_alu instid0(SALU_CYCLE_1)
	s_or_b32 exec_lo, exec_lo, s21
.LBB230_831:                            ;   in Loop: Header=BB230_424 Depth=1
	s_delay_alu instid0(SALU_CYCLE_1) | instskip(SKIP_4) | instid1(VALU_DEP_3)
	s_or_b32 exec_lo, exec_lo, s20
	v_or_b32_e32 v5, v14, v12
	v_or_b32_e32 v11, v13, v11
	;; [unrolled: 1-line block ×4, first 2 shown]
	v_dual_mul_f32 v13, s18, v5 :: v_dual_mul_f32 v12, s17, v11
	s_delay_alu instid0(VALU_DEP_3) | instskip(NEXT) | instid1(VALU_DEP_3)
	v_mul_f32_e32 v5, s18, v14
	v_mul_f32_e32 v11, s17, v15
	s_and_saveexec_b32 s0, vcc_lo
	s_cbranch_execz .LBB230_422
; %bb.832:                              ;   in Loop: Header=BB230_424 Depth=1
	v_cmp_gt_i32_e32 vcc_lo, s33, v44
	v_cndmask_b32_e32 v12, 0, v12, vcc_lo
	v_cmp_gt_i32_e32 vcc_lo, s33, v47
	v_cndmask_b32_e32 v13, 0, v13, vcc_lo
	;; [unrolled: 2-line block ×4, first 2 shown]
	s_branch .LBB230_422
.LBB230_833:
	s_or_b32 exec_lo, exec_lo, s13
.LBB230_834:
	s_delay_alu instid0(SALU_CYCLE_1)
	s_or_b32 exec_lo, exec_lo, s1
	ds_bpermute_b32 v1, v22, v36
	ds_bpermute_b32 v3, v22, v34
	;; [unrolled: 1-line block ×12, first 2 shown]
	s_movk_i32 s0, 0x180
	s_waitcnt lgkmcnt(0)
	s_waitcnt_vscnt null, 0x0
	s_barrier
	buffer_gl0_inv
	v_add_f32_e32 v1, v36, v1
	v_dual_add_f32 v3, v34, v3 :: v_dual_add_f32 v2, v35, v2
	v_dual_add_f32 v4, v33, v4 :: v_dual_add_f32 v5, v32, v5
	;; [unrolled: 1-line block ×5, first 2 shown]
	v_add_f32_e32 v12, v25, v12
	ds_bpermute_b32 v13, v23, v1
	ds_bpermute_b32 v15, v23, v3
	;; [unrolled: 1-line block ×12, first 2 shown]
	s_waitcnt lgkmcnt(11)
	v_add_f32_e32 v1, v1, v13
	s_waitcnt lgkmcnt(10)
	v_add_f32_e32 v3, v3, v15
	v_and_b32_e32 v15, 0x3c3, v0
	s_waitcnt lgkmcnt(8)
	v_add_f32_e32 v4, v4, v16
	v_lshrrev_b32_e32 v13, 2, v21
	s_waitcnt lgkmcnt(7)
	v_dual_add_f32 v2, v2, v14 :: v_dual_add_f32 v5, v5, v17
	s_waitcnt lgkmcnt(5)
	v_dual_add_f32 v6, v6, v18 :: v_dual_add_f32 v7, v7, v19
	;; [unrolled: 2-line block ×4, first 2 shown]
	s_waitcnt lgkmcnt(0)
	v_add_f32_e32 v12, v12, v23
	v_mad_u32_u24 v14, v153, s0, 0x1a0
	v_cmp_eq_u32_e32 vcc_lo, 64, v15
	v_lshlrev_b32_e32 v15, 2, v13
	s_and_saveexec_b32 s0, vcc_lo
	s_cbranch_execz .LBB230_836
; %bb.835:
	s_delay_alu instid0(VALU_DEP_1)
	v_add3_u32 v16, v14, v15, 0xfffffd00
	ds_store_2addr_b32 v16, v1, v2 offset1:8
	ds_store_2addr_b32 v16, v3, v4 offset0:16 offset1:24
	ds_store_2addr_b32 v16, v5, v6 offset0:32 offset1:40
	;; [unrolled: 1-line block ×5, first 2 shown]
.LBB230_836:
	s_or_b32 exec_lo, exec_lo, s0
	v_cmp_eq_u32_e32 vcc_lo, 0, v24
	s_mov_b32 s1, exec_lo
	s_waitcnt lgkmcnt(0)
	s_barrier
	buffer_gl0_inv
	v_cmpx_gt_u32_e32 64, v0
	s_cbranch_execz .LBB230_851
; %bb.837:
	s_and_saveexec_b32 s0, vcc_lo
	s_cbranch_execnz .LBB230_871
; %bb.838:
	s_or_b32 exec_lo, exec_lo, s0
	s_and_saveexec_b32 s0, vcc_lo
	s_cbranch_execnz .LBB230_872
.LBB230_839:
	s_or_b32 exec_lo, exec_lo, s0
	s_and_saveexec_b32 s0, vcc_lo
	s_cbranch_execnz .LBB230_873
.LBB230_840:
	s_or_b32 exec_lo, exec_lo, s0
	s_and_saveexec_b32 s0, vcc_lo
	s_cbranch_execnz .LBB230_874
.LBB230_841:
	s_or_b32 exec_lo, exec_lo, s0
	s_and_saveexec_b32 s0, vcc_lo
	s_cbranch_execnz .LBB230_875
.LBB230_842:
	s_or_b32 exec_lo, exec_lo, s0
	s_and_saveexec_b32 s0, vcc_lo
	s_cbranch_execnz .LBB230_876
.LBB230_843:
	s_or_b32 exec_lo, exec_lo, s0
	s_and_saveexec_b32 s0, vcc_lo
	s_cbranch_execnz .LBB230_877
.LBB230_844:
	s_or_b32 exec_lo, exec_lo, s0
	s_and_saveexec_b32 s0, vcc_lo
	s_cbranch_execnz .LBB230_878
.LBB230_845:
	s_or_b32 exec_lo, exec_lo, s0
	s_and_saveexec_b32 s0, vcc_lo
	s_cbranch_execnz .LBB230_879
.LBB230_846:
	s_or_b32 exec_lo, exec_lo, s0
	s_and_saveexec_b32 s0, vcc_lo
	s_cbranch_execnz .LBB230_880
.LBB230_847:
	s_or_b32 exec_lo, exec_lo, s0
	s_and_saveexec_b32 s0, vcc_lo
	s_cbranch_execnz .LBB230_881
.LBB230_848:
	s_or_b32 exec_lo, exec_lo, s0
	s_and_saveexec_b32 s0, vcc_lo
	s_cbranch_execz .LBB230_850
.LBB230_849:
	v_lshl_add_u32 v16, v13, 2, v14
	ds_load_b32 v16, v16 offset:352
	s_waitcnt lgkmcnt(0)
	v_add_f32_e32 v12, v12, v16
.LBB230_850:
	s_or_b32 exec_lo, exec_lo, s0
.LBB230_851:
	s_delay_alu instid0(SALU_CYCLE_1)
	s_or_b32 exec_lo, exec_lo, s1
	v_and_b32_e32 v16, 0x3e3, v0
	s_mov_b32 s1, exec_lo
	s_barrier
	buffer_gl0_inv
	v_cmpx_eq_u32_e32 32, v16
	s_cbranch_execz .LBB230_853
; %bb.852:
	v_add3_u32 v15, v14, v15, 0xfffffe80
	ds_store_2addr_b32 v15, v1, v2 offset1:8
	ds_store_2addr_b32 v15, v3, v4 offset0:16 offset1:24
	ds_store_2addr_b32 v15, v5, v6 offset0:32 offset1:40
	;; [unrolled: 1-line block ×5, first 2 shown]
.LBB230_853:
	s_or_b32 exec_lo, exec_lo, s1
	s_delay_alu instid0(SALU_CYCLE_1)
	s_mov_b32 s1, exec_lo
	s_waitcnt lgkmcnt(0)
	s_barrier
	buffer_gl0_inv
	v_cmpx_gt_u32_e32 32, v0
	s_cbranch_execz .LBB230_868
; %bb.854:
	v_lshl_add_u32 v13, v13, 2, v14
	s_and_saveexec_b32 s0, vcc_lo
	s_cbranch_execnz .LBB230_882
; %bb.855:
	s_or_b32 exec_lo, exec_lo, s0
	s_and_saveexec_b32 s0, vcc_lo
	s_cbranch_execnz .LBB230_883
.LBB230_856:
	s_or_b32 exec_lo, exec_lo, s0
	s_and_saveexec_b32 s0, vcc_lo
	s_cbranch_execnz .LBB230_884
.LBB230_857:
	s_or_b32 exec_lo, exec_lo, s0
	s_and_saveexec_b32 s0, vcc_lo
	s_cbranch_execnz .LBB230_885
.LBB230_858:
	s_or_b32 exec_lo, exec_lo, s0
	s_and_saveexec_b32 s0, vcc_lo
	s_cbranch_execnz .LBB230_886
.LBB230_859:
	s_or_b32 exec_lo, exec_lo, s0
	s_and_saveexec_b32 s0, vcc_lo
	s_cbranch_execnz .LBB230_887
.LBB230_860:
	s_or_b32 exec_lo, exec_lo, s0
	s_and_saveexec_b32 s0, vcc_lo
	s_cbranch_execnz .LBB230_888
.LBB230_861:
	s_or_b32 exec_lo, exec_lo, s0
	s_and_saveexec_b32 s0, vcc_lo
	s_cbranch_execnz .LBB230_889
.LBB230_862:
	s_or_b32 exec_lo, exec_lo, s0
	s_and_saveexec_b32 s0, vcc_lo
	s_cbranch_execnz .LBB230_890
.LBB230_863:
	s_or_b32 exec_lo, exec_lo, s0
	s_and_saveexec_b32 s0, vcc_lo
	s_cbranch_execnz .LBB230_891
.LBB230_864:
	s_or_b32 exec_lo, exec_lo, s0
	s_and_saveexec_b32 s0, vcc_lo
	s_cbranch_execnz .LBB230_892
.LBB230_865:
	s_or_b32 exec_lo, exec_lo, s0
	s_and_saveexec_b32 s0, vcc_lo
	s_cbranch_execz .LBB230_867
.LBB230_866:
	ds_load_b32 v13, v13 offset:352
	s_waitcnt lgkmcnt(0)
	v_add_f32_e32 v12, v12, v13
.LBB230_867:
	s_or_b32 exec_lo, exec_lo, s0
.LBB230_868:
	s_delay_alu instid0(SALU_CYCLE_1)
	s_or_b32 exec_lo, exec_lo, s1
	s_barrier
	buffer_gl0_inv
	s_mov_b32 s0, exec_lo
	v_cmpx_eq_u32_e32 0, v16
	s_cbranch_execz .LBB230_870
; %bb.869:
	s_mul_i32 s0, s4, 0x60
	s_mul_i32 s2, s15, s24
	s_ashr_i32 s1, s0, 31
	s_delay_alu instid0(SALU_CYCLE_1) | instskip(NEXT) | instid1(SALU_CYCLE_1)
	s_lshl_b64 s[0:1], s[0:1], 2
	s_add_u32 s4, s26, s0
	s_addc_u32 s5, s27, s1
	s_ashr_i32 s3, s2, 31
	s_delay_alu instid0(SALU_CYCLE_1) | instskip(SKIP_4) | instid1(SALU_CYCLE_1)
	s_lshl_b64 s[0:1], s[2:3], 2
	s_mul_i32 s2, s12, 0x60
	s_add_u32 s4, s4, s0
	s_addc_u32 s5, s5, s1
	s_ashr_i32 s3, s2, 31
	s_lshl_b64 s[0:1], s[2:3], 2
	s_delay_alu instid0(SALU_CYCLE_1)
	s_add_u32 s0, s4, s0
	s_addc_u32 s1, s5, s1
	s_clause 0xb
	global_store_b32 v0, v1, s[0:1]
	global_store_b32 v0, v2, s[0:1] offset:32
	global_store_b32 v0, v3, s[0:1] offset:64
	;; [unrolled: 1-line block ×11, first 2 shown]
.LBB230_870:
	s_nop 0
	s_sendmsg sendmsg(MSG_DEALLOC_VGPRS)
	s_endpgm
.LBB230_871:
	v_lshl_add_u32 v16, v13, 2, v14
	ds_load_b32 v16, v16
	s_waitcnt lgkmcnt(0)
	v_add_f32_e32 v1, v1, v16
	s_or_b32 exec_lo, exec_lo, s0
	s_and_saveexec_b32 s0, vcc_lo
	s_cbranch_execz .LBB230_839
.LBB230_872:
	v_lshl_add_u32 v16, v13, 2, v14
	ds_load_b32 v16, v16 offset:32
	s_waitcnt lgkmcnt(0)
	v_add_f32_e32 v2, v2, v16
	s_or_b32 exec_lo, exec_lo, s0
	s_and_saveexec_b32 s0, vcc_lo
	s_cbranch_execz .LBB230_840
.LBB230_873:
	v_lshl_add_u32 v16, v13, 2, v14
	ds_load_b32 v16, v16 offset:64
	s_waitcnt lgkmcnt(0)
	v_add_f32_e32 v3, v3, v16
	s_or_b32 exec_lo, exec_lo, s0
	s_and_saveexec_b32 s0, vcc_lo
	s_cbranch_execz .LBB230_841
.LBB230_874:
	v_lshl_add_u32 v16, v13, 2, v14
	ds_load_b32 v16, v16 offset:96
	s_waitcnt lgkmcnt(0)
	v_add_f32_e32 v4, v4, v16
	s_or_b32 exec_lo, exec_lo, s0
	s_and_saveexec_b32 s0, vcc_lo
	s_cbranch_execz .LBB230_842
.LBB230_875:
	v_lshl_add_u32 v16, v13, 2, v14
	ds_load_b32 v16, v16 offset:128
	s_waitcnt lgkmcnt(0)
	v_add_f32_e32 v5, v5, v16
	s_or_b32 exec_lo, exec_lo, s0
	s_and_saveexec_b32 s0, vcc_lo
	s_cbranch_execz .LBB230_843
.LBB230_876:
	v_lshl_add_u32 v16, v13, 2, v14
	ds_load_b32 v16, v16 offset:160
	s_waitcnt lgkmcnt(0)
	v_add_f32_e32 v6, v6, v16
	s_or_b32 exec_lo, exec_lo, s0
	s_and_saveexec_b32 s0, vcc_lo
	s_cbranch_execz .LBB230_844
.LBB230_877:
	v_lshl_add_u32 v16, v13, 2, v14
	ds_load_b32 v16, v16 offset:192
	s_waitcnt lgkmcnt(0)
	v_add_f32_e32 v7, v7, v16
	s_or_b32 exec_lo, exec_lo, s0
	s_and_saveexec_b32 s0, vcc_lo
	s_cbranch_execz .LBB230_845
.LBB230_878:
	v_lshl_add_u32 v16, v13, 2, v14
	ds_load_b32 v16, v16 offset:224
	s_waitcnt lgkmcnt(0)
	v_add_f32_e32 v8, v8, v16
	s_or_b32 exec_lo, exec_lo, s0
	s_and_saveexec_b32 s0, vcc_lo
	s_cbranch_execz .LBB230_846
.LBB230_879:
	v_lshl_add_u32 v16, v13, 2, v14
	ds_load_b32 v16, v16 offset:256
	s_waitcnt lgkmcnt(0)
	v_add_f32_e32 v9, v9, v16
	s_or_b32 exec_lo, exec_lo, s0
	s_and_saveexec_b32 s0, vcc_lo
	s_cbranch_execz .LBB230_847
.LBB230_880:
	v_lshl_add_u32 v16, v13, 2, v14
	ds_load_b32 v16, v16 offset:288
	s_waitcnt lgkmcnt(0)
	v_add_f32_e32 v10, v10, v16
	s_or_b32 exec_lo, exec_lo, s0
	s_and_saveexec_b32 s0, vcc_lo
	s_cbranch_execz .LBB230_848
.LBB230_881:
	v_lshl_add_u32 v16, v13, 2, v14
	ds_load_b32 v16, v16 offset:320
	s_waitcnt lgkmcnt(0)
	v_add_f32_e32 v11, v11, v16
	s_or_b32 exec_lo, exec_lo, s0
	s_and_saveexec_b32 s0, vcc_lo
	s_cbranch_execnz .LBB230_849
	s_branch .LBB230_850
.LBB230_882:
	ds_load_b32 v14, v13
	s_waitcnt lgkmcnt(0)
	v_add_f32_e32 v1, v1, v14
	s_or_b32 exec_lo, exec_lo, s0
	s_and_saveexec_b32 s0, vcc_lo
	s_cbranch_execz .LBB230_856
.LBB230_883:
	ds_load_b32 v14, v13 offset:32
	s_waitcnt lgkmcnt(0)
	v_add_f32_e32 v2, v2, v14
	s_or_b32 exec_lo, exec_lo, s0
	s_and_saveexec_b32 s0, vcc_lo
	s_cbranch_execz .LBB230_857
.LBB230_884:
	ds_load_b32 v14, v13 offset:64
	s_waitcnt lgkmcnt(0)
	v_add_f32_e32 v3, v3, v14
	s_or_b32 exec_lo, exec_lo, s0
	s_and_saveexec_b32 s0, vcc_lo
	s_cbranch_execz .LBB230_858
.LBB230_885:
	ds_load_b32 v14, v13 offset:96
	s_waitcnt lgkmcnt(0)
	v_add_f32_e32 v4, v4, v14
	s_or_b32 exec_lo, exec_lo, s0
	s_and_saveexec_b32 s0, vcc_lo
	s_cbranch_execz .LBB230_859
.LBB230_886:
	ds_load_b32 v14, v13 offset:128
	s_waitcnt lgkmcnt(0)
	v_add_f32_e32 v5, v5, v14
	s_or_b32 exec_lo, exec_lo, s0
	s_and_saveexec_b32 s0, vcc_lo
	s_cbranch_execz .LBB230_860
.LBB230_887:
	ds_load_b32 v14, v13 offset:160
	s_waitcnt lgkmcnt(0)
	v_add_f32_e32 v6, v6, v14
	s_or_b32 exec_lo, exec_lo, s0
	s_and_saveexec_b32 s0, vcc_lo
	s_cbranch_execz .LBB230_861
.LBB230_888:
	ds_load_b32 v14, v13 offset:192
	s_waitcnt lgkmcnt(0)
	v_add_f32_e32 v7, v7, v14
	s_or_b32 exec_lo, exec_lo, s0
	s_and_saveexec_b32 s0, vcc_lo
	s_cbranch_execz .LBB230_862
.LBB230_889:
	ds_load_b32 v14, v13 offset:224
	s_waitcnt lgkmcnt(0)
	v_add_f32_e32 v8, v8, v14
	s_or_b32 exec_lo, exec_lo, s0
	s_and_saveexec_b32 s0, vcc_lo
	s_cbranch_execz .LBB230_863
.LBB230_890:
	ds_load_b32 v14, v13 offset:256
	s_waitcnt lgkmcnt(0)
	v_add_f32_e32 v9, v9, v14
	s_or_b32 exec_lo, exec_lo, s0
	s_and_saveexec_b32 s0, vcc_lo
	s_cbranch_execz .LBB230_864
.LBB230_891:
	ds_load_b32 v14, v13 offset:288
	s_waitcnt lgkmcnt(0)
	v_add_f32_e32 v10, v10, v14
	s_or_b32 exec_lo, exec_lo, s0
	s_and_saveexec_b32 s0, vcc_lo
	s_cbranch_execz .LBB230_865
.LBB230_892:
	ds_load_b32 v14, v13 offset:320
	s_waitcnt lgkmcnt(0)
	v_add_f32_e32 v11, v11, v14
	s_or_b32 exec_lo, exec_lo, s0
	s_and_saveexec_b32 s0, vcc_lo
	s_cbranch_execnz .LBB230_866
	s_branch .LBB230_867
	.section	.rodata,"a",@progbits
	.p2align	6, 0x0
	.amdhsa_kernel _ZN4vllm25paged_attention_v2_kernelIfhLi96ELi16ELi128ELNS_18Fp8KVCacheDataTypeE1ELb1ELi512EEEvPfS2_PT_PKS3_PKT0_S9_ifPKiSB_iPKfiiiSD_SD_iiiii
		.amdhsa_group_segment_fixed_size 416
		.amdhsa_private_segment_fixed_size 0
		.amdhsa_kernarg_size 400
		.amdhsa_user_sgpr_count 13
		.amdhsa_user_sgpr_dispatch_ptr 0
		.amdhsa_user_sgpr_queue_ptr 0
		.amdhsa_user_sgpr_kernarg_segment_ptr 1
		.amdhsa_user_sgpr_dispatch_id 0
		.amdhsa_user_sgpr_private_segment_size 0
		.amdhsa_wavefront_size32 1
		.amdhsa_uses_dynamic_stack 0
		.amdhsa_enable_private_segment 0
		.amdhsa_system_sgpr_workgroup_id_x 1
		.amdhsa_system_sgpr_workgroup_id_y 1
		.amdhsa_system_sgpr_workgroup_id_z 1
		.amdhsa_system_sgpr_workgroup_info 0
		.amdhsa_system_vgpr_workitem_id 0
		.amdhsa_next_free_vgpr 170
		.amdhsa_next_free_sgpr 56
		.amdhsa_reserve_vcc 1
		.amdhsa_float_round_mode_32 0
		.amdhsa_float_round_mode_16_64 0
		.amdhsa_float_denorm_mode_32 3
		.amdhsa_float_denorm_mode_16_64 3
		.amdhsa_dx10_clamp 1
		.amdhsa_ieee_mode 1
		.amdhsa_fp16_overflow 0
		.amdhsa_workgroup_processor_mode 1
		.amdhsa_memory_ordered 1
		.amdhsa_forward_progress 0
		.amdhsa_shared_vgpr_count 0
		.amdhsa_exception_fp_ieee_invalid_op 0
		.amdhsa_exception_fp_denorm_src 0
		.amdhsa_exception_fp_ieee_div_zero 0
		.amdhsa_exception_fp_ieee_overflow 0
		.amdhsa_exception_fp_ieee_underflow 0
		.amdhsa_exception_fp_ieee_inexact 0
		.amdhsa_exception_int_div_zero 0
	.end_amdhsa_kernel
	.section	.text._ZN4vllm25paged_attention_v2_kernelIfhLi96ELi16ELi128ELNS_18Fp8KVCacheDataTypeE1ELb1ELi512EEEvPfS2_PT_PKS3_PKT0_S9_ifPKiSB_iPKfiiiSD_SD_iiiii,"axG",@progbits,_ZN4vllm25paged_attention_v2_kernelIfhLi96ELi16ELi128ELNS_18Fp8KVCacheDataTypeE1ELb1ELi512EEEvPfS2_PT_PKS3_PKT0_S9_ifPKiSB_iPKfiiiSD_SD_iiiii,comdat
.Lfunc_end230:
	.size	_ZN4vllm25paged_attention_v2_kernelIfhLi96ELi16ELi128ELNS_18Fp8KVCacheDataTypeE1ELb1ELi512EEEvPfS2_PT_PKS3_PKT0_S9_ifPKiSB_iPKfiiiSD_SD_iiiii, .Lfunc_end230-_ZN4vllm25paged_attention_v2_kernelIfhLi96ELi16ELi128ELNS_18Fp8KVCacheDataTypeE1ELb1ELi512EEEvPfS2_PT_PKS3_PKT0_S9_ifPKiSB_iPKfiiiSD_SD_iiiii
                                        ; -- End function
	.section	.AMDGPU.csdata,"",@progbits
; Kernel info:
; codeLenInByte = 30916
; NumSgprs: 58
; NumVgprs: 170
; ScratchSize: 0
; MemoryBound: 0
; FloatMode: 240
; IeeeMode: 1
; LDSByteSize: 416 bytes/workgroup (compile time only)
; SGPRBlocks: 7
; VGPRBlocks: 21
; NumSGPRsForWavesPerEU: 58
; NumVGPRsForWavesPerEU: 170
; Occupancy: 8
; WaveLimiterHint : 1
; COMPUTE_PGM_RSRC2:SCRATCH_EN: 0
; COMPUTE_PGM_RSRC2:USER_SGPR: 13
; COMPUTE_PGM_RSRC2:TRAP_HANDLER: 0
; COMPUTE_PGM_RSRC2:TGID_X_EN: 1
; COMPUTE_PGM_RSRC2:TGID_Y_EN: 1
; COMPUTE_PGM_RSRC2:TGID_Z_EN: 1
; COMPUTE_PGM_RSRC2:TIDIG_COMP_CNT: 0
	.text
	.p2align	2                               ; -- Begin function _ZN4vllm22paged_attention_kernelIfhLi112ELi16ELi128ELNS_18Fp8KVCacheDataTypeE1ELb1ELi512EEEvPfS2_PT_PKS3_PKT0_S9_ifPKiSB_iPKfiiiSD_SD_iiiii
	.type	_ZN4vllm22paged_attention_kernelIfhLi112ELi16ELi128ELNS_18Fp8KVCacheDataTypeE1ELb1ELi512EEEvPfS2_PT_PKS3_PKT0_S9_ifPKiSB_iPKfiiiSD_SD_iiiii,@function
_ZN4vllm22paged_attention_kernelIfhLi112ELi16ELi128ELNS_18Fp8KVCacheDataTypeE1ELb1ELi512EEEvPfS2_PT_PKS3_PKT0_S9_ifPKiSB_iPKfiiiSD_SD_iiiii: ; @_ZN4vllm22paged_attention_kernelIfhLi112ELi16ELi128ELNS_18Fp8KVCacheDataTypeE1ELb1ELi512EEEvPfS2_PT_PKS3_PKT0_S9_ifPKiSB_iPKfiiiSD_SD_iiiii
; %bb.0:
	s_waitcnt vmcnt(0) expcnt(0) lgkmcnt(0)
	s_clause 0x1f
	scratch_store_b32 off, v40, s32 offset:324
	; meta instruction
	scratch_store_b32 off, v41, s32 offset:320
	; meta instruction
	;; [unrolled: 2-line block ×31, first 2 shown]
	scratch_store_b32 off, v95, s32 offset:200
	s_clause 0x1f
	scratch_store_b32 off, v104, s32 offset:196
	; meta instruction
	scratch_store_b32 off, v105, s32 offset:192
	; meta instruction
	;; [unrolled: 2-line block ×31, first 2 shown]
	scratch_store_b32 off, v159, s32 offset:72
	s_clause 0xf
	scratch_store_b32 off, v168, s32 offset:68
	; meta instruction
	scratch_store_b32 off, v169, s32 offset:64
	; meta instruction
	;; [unrolled: 2-line block ×15, first 2 shown]
	scratch_store_b32 off, v191, s32 offset:8
	s_mov_b32 s10, s13
	s_ashr_i32 s11, s13, 31
	v_mov_b32_e32 v33, v0
	s_lshl_b64 s[0:1], s[10:11], 2
	v_dual_mov_b32 v35, v2 :: v_dual_mov_b32 v32, v1
	v_add_co_u32 v0, vcc_lo, v16, s0
	v_add_co_ci_u32_e32 v1, vcc_lo, s1, v17, vcc_lo
	s_clause 0x3
	scratch_store_b64 off, v[26:27], s32 offset:344
	scratch_store_b32 off, v22, s32 offset:340
	scratch_store_b32 off, v5, s32 offset:372
	;; [unrolled: 1-line block ×3, first 2 shown]
	flat_load_b32 v47, v[0:1]
	s_clause 0x1
	scratch_load_b32 v1, off, s32 offset:4
	scratch_load_b32 v2, off, s32
	v_dual_mov_b32 v26, v14 :: v_dual_mov_b32 v27, v11
	v_dual_mov_b32 v55, v10 :: v_dual_mov_b32 v34, v3
	s_mov_b32 s6, s15
	s_lshl_b32 s15, s14, 9
	s_mov_b32 s20, exec_lo
	s_waitcnt vmcnt(2) lgkmcnt(0)
	v_cmpx_lt_i32_e64 s15, v47
	s_cbranch_execz .LBB231_1006
; %bb.1:
	v_sub_nc_u32_e32 v0, 0, v12
	s_clause 0x1
	s_load_b32 s0, s[8:9], 0x10
	s_load_b32 s1, s[8:9], 0x0
	v_mov_b32_e32 v36, 0
	v_max_i32_e32 v0, v12, v0
	s_delay_alu instid0(VALU_DEP_1) | instskip(SKIP_1) | instid1(VALU_DEP_2)
	v_cvt_f32_u32_e32 v3, v0
	v_sub_nc_u32_e32 v4, 0, v0
	v_rcp_iflag_f32_e32 v3, v3
	s_waitcnt lgkmcnt(0)
	s_lshr_b32 s0, s0, 16
	s_delay_alu instid0(SALU_CYCLE_1) | instskip(SKIP_3) | instid1(SALU_CYCLE_1)
	s_cmp_lg_u32 s0, 0
	s_waitcnt_depctr 0xfff
	v_mul_f32_e32 v3, 0x4f7ffffe, v3
	s_cselect_b32 s0, -1, 0
	s_cmp_lg_u32 s0, 0
	s_delay_alu instid0(VALU_DEP_1) | instskip(SKIP_3) | instid1(VALU_DEP_1)
	v_cvt_u32_f32_e32 v3, v3
	s_addc_u32 s11, s1, 0
	s_mov_b32 s1, exec_lo
	s_abs_i32 s0, s11
	v_mul_lo_u32 v4, v4, v3
	s_delay_alu instid0(VALU_DEP_1) | instskip(NEXT) | instid1(VALU_DEP_1)
	v_mul_hi_u32 v4, v3, v4
	v_add_nc_u32_e32 v3, v3, v4
	s_delay_alu instid0(VALU_DEP_1) | instskip(NEXT) | instid1(VALU_DEP_1)
	v_mul_hi_u32 v3, s0, v3
	v_mul_lo_u32 v4, v3, v0
	v_add_nc_u32_e32 v5, 1, v3
	s_delay_alu instid0(VALU_DEP_2) | instskip(SKIP_1) | instid1(VALU_DEP_1)
	v_sub_nc_u32_e32 v4, s0, v4
	s_abs_i32 s0, s12
	v_sub_nc_u32_e32 v10, v4, v0
	v_cmp_ge_u32_e32 vcc_lo, v4, v0
	s_delay_alu instid0(VALU_DEP_2) | instskip(SKIP_1) | instid1(VALU_DEP_2)
	v_dual_cndmask_b32 v3, v3, v5 :: v_dual_cndmask_b32 v4, v4, v10
	v_xor_b32_e32 v5, s11, v12
	v_add_nc_u32_e32 v10, 1, v3
	s_delay_alu instid0(VALU_DEP_3) | instskip(NEXT) | instid1(VALU_DEP_3)
	v_cmp_ge_u32_e32 vcc_lo, v4, v0
	v_ashrrev_i32_e32 v5, 31, v5
	s_delay_alu instid0(VALU_DEP_3) | instskip(NEXT) | instid1(VALU_DEP_1)
	v_cndmask_b32_e32 v0, v3, v10, vcc_lo
	v_xor_b32_e32 v0, v0, v5
	s_delay_alu instid0(VALU_DEP_1) | instskip(NEXT) | instid1(VALU_DEP_1)
	v_sub_nc_u32_e32 v0, v0, v5
	v_sub_nc_u32_e32 v3, 0, v0
	s_delay_alu instid0(VALU_DEP_1) | instskip(NEXT) | instid1(VALU_DEP_1)
	v_max_i32_e32 v3, v0, v3
	v_cvt_f32_u32_e32 v4, v3
	v_sub_nc_u32_e32 v5, 0, v3
	s_delay_alu instid0(VALU_DEP_2) | instskip(SKIP_2) | instid1(VALU_DEP_1)
	v_rcp_iflag_f32_e32 v4, v4
	s_waitcnt_depctr 0xfff
	v_mul_f32_e32 v4, 0x4f7ffffe, v4
	v_cvt_u32_f32_e32 v4, v4
	s_delay_alu instid0(VALU_DEP_1) | instskip(NEXT) | instid1(VALU_DEP_1)
	v_mul_lo_u32 v5, v5, v4
	v_mul_hi_u32 v5, v4, v5
	s_delay_alu instid0(VALU_DEP_1) | instskip(NEXT) | instid1(VALU_DEP_1)
	v_add_nc_u32_e32 v10, v4, v5
	v_mad_u64_u32 v[4:5], null, s0, v10, 0
	v_cmpx_ne_u64_e32 0, v[19:20]
	s_cbranch_execz .LBB231_3
; %bb.2:
	s_ashr_i32 s13, s12, 31
	s_delay_alu instid0(SALU_CYCLE_1) | instskip(NEXT) | instid1(SALU_CYCLE_1)
	s_lshl_b64 s[2:3], s[12:13], 2
	v_add_co_u32 v10, vcc_lo, v19, s2
	v_add_co_ci_u32_e32 v11, vcc_lo, s3, v20, vcc_lo
	flat_load_b32 v36, v[10:11]
.LBB231_3:
	s_or_b32 exec_lo, exec_lo, s1
	v_and_b32_e32 v10, 0x3ff, v31
	v_ashrrev_i32_e32 v4, 31, v0
	s_ashr_i32 s1, s12, 31
	s_mul_i32 s4, s12, 0x70
	s_mov_b32 s2, exec_lo
	v_and_b32_e32 v0, 1, v10
	v_lshlrev_b32_e32 v17, 2, v10
	scratch_store_b32 off, v10, s32 offset:356 ; 4-byte Folded Spill
	v_cmpx_gt_u32_e32 56, v10
	s_cbranch_execz .LBB231_5
; %bb.4:
	scratch_load_b32 v14, off, s32 offset:356 ; 4-byte Folded Reload
	v_mul_lo_u32 v10, s10, v21
	s_ashr_i32 s5, s4, 31
	s_delay_alu instid0(SALU_CYCLE_1) | instskip(NEXT) | instid1(VALU_DEP_1)
	s_lshl_b64 s[16:17], s[4:5], 2
	v_ashrrev_i32_e32 v11, 31, v10
	s_delay_alu instid0(VALU_DEP_1) | instskip(NEXT) | instid1(VALU_DEP_1)
	v_lshlrev_b64 v[10:11], 2, v[10:11]
	v_add_co_u32 v6, vcc_lo, v6, v10
	s_delay_alu instid0(VALU_DEP_2) | instskip(SKIP_1) | instid1(VALU_DEP_3)
	v_add_co_ci_u32_e32 v7, vcc_lo, v7, v11, vcc_lo
	v_and_b32_e32 v10, 0xff8, v17
	v_add_co_u32 v6, vcc_lo, v6, s16
	s_delay_alu instid0(VALU_DEP_3) | instskip(NEXT) | instid1(VALU_DEP_3)
	v_add_co_ci_u32_e32 v7, vcc_lo, s17, v7, vcc_lo
	v_mad_u32_u24 v10, 0xe0, v0, v10
	s_waitcnt vmcnt(0)
	v_lshlrev_b32_e32 v14, 3, v14
	s_delay_alu instid0(VALU_DEP_1)
	v_add_co_u32 v6, vcc_lo, v6, v14
	v_add_co_ci_u32_e32 v7, vcc_lo, 0, v7, vcc_lo
	flat_load_b64 v[6:7], v[6:7]
	s_waitcnt vmcnt(0) lgkmcnt(0)
	ds_store_b64 v10, v[6:7]
.LBB231_5:
	s_or_b32 exec_lo, exec_lo, s2
	s_waitcnt vmcnt(0)
	v_sub_nc_u32_e32 v6, 0, v2
	v_mul_lo_u32 v7, v5, v3
                                        ; implicit-def: $vgpr21
	v_add_nc_u32_e32 v11, 1, v5
	s_delay_alu instid0(VALU_DEP_3) | instskip(NEXT) | instid1(VALU_DEP_3)
	v_max_i32_e32 v20, v2, v6
	v_sub_nc_u32_e32 v7, s0, v7
	s_delay_alu instid0(VALU_DEP_2) | instskip(SKIP_1) | instid1(VALU_DEP_2)
	v_cvt_f32_u32_e32 v6, v20
	s_mov_b32 s0, exec_lo
	v_sub_nc_u32_e32 v14, v7, v3
	s_delay_alu instid0(VALU_DEP_2) | instskip(SKIP_1) | instid1(VALU_DEP_2)
	v_rcp_iflag_f32_e32 v6, v6
	v_cmp_ge_u32_e32 vcc_lo, v7, v3
	v_cndmask_b32_e32 v7, v7, v14, vcc_lo
	s_waitcnt_depctr 0xfff
	v_mul_f32_e32 v6, 0x4f7ffffe, v6
	s_delay_alu instid0(VALU_DEP_1) | instskip(SKIP_1) | instid1(VALU_DEP_1)
	v_cvt_u32_f32_e32 v10, v6
	v_sub_nc_u32_e32 v6, 0, v20
	v_mul_lo_u32 v16, v6, v10
	v_add_nc_u32_e32 v6, -1, v47
	s_delay_alu instid0(VALU_DEP_1) | instskip(NEXT) | instid1(VALU_DEP_3)
	v_sub_nc_u32_e32 v19, 0, v6
	v_mul_hi_u32 v14, v10, v16
	v_cndmask_b32_e32 v5, v5, v11, vcc_lo
	v_cmp_ge_u32_e32 vcc_lo, v7, v3
	v_xor_b32_e32 v16, s1, v4
	v_max_i32_e32 v3, v6, v19
	v_add_nc_u32_e32 v10, v10, v14
	v_add_nc_u32_e32 v11, 1, v5
	scratch_store_b32 off, v10, s32 offset:332 ; 4-byte Folded Spill
	v_cndmask_b32_e32 v4, v5, v11, vcc_lo
	s_waitcnt lgkmcnt(0)
	s_waitcnt_vscnt null, 0x0
	s_barrier
	buffer_gl0_inv
	v_xor_b32_e32 v7, v4, v16
	v_mad_u64_u32 v[4:5], null, v3, v10, 0
	s_delay_alu instid0(VALU_DEP_2)
	v_sub_nc_u32_e32 v4, v7, v16
	v_cmpx_gt_i32_e32 0, v1
	s_xor_b32 s0, exec_lo, s0
; %bb.6:
	s_delay_alu instid0(VALU_DEP_2) | instskip(NEXT) | instid1(VALU_DEP_1)
	v_mad_u64_u32 v[10:11], null, v28, v12, v[4:5]
                                        ; implicit-def: $vgpr28
	v_mul_lo_u32 v1, v10, v1
	s_delay_alu instid0(VALU_DEP_1)
	v_sub_nc_u32_e32 v21, 1, v1
                                        ; implicit-def: $vgpr1
; %bb.7:
	s_or_saveexec_b32 s0, s0
	v_ashrrev_i32_e32 v6, 31, v6
	v_ashrrev_i32_e32 v2, 31, v2
	scratch_store_b32 off, v2, s32 offset:328 ; 4-byte Folded Spill
	s_xor_b32 exec_lo, exec_lo, s0
; %bb.8:
	v_mad_u64_u32 v[10:11], null, s11, v28, s[12:13]
	s_delay_alu instid0(VALU_DEP_1)
	v_mad_u64_u32 v[21:22], null, v10, v1, 1
; %bb.9:
	s_or_b32 exec_lo, exec_lo, s0
	v_mul_lo_u32 v1, v5, v20
	v_add_nc_u32_e32 v7, 1, v5
	v_add_nc_u32_e32 v2, 15, v47
	s_clause 0x1
	s_load_b32 s21, s[8:9], 0x14
	s_load_b32 s5, s[8:9], 0x8
	s_lshl_b32 s13, s14, 5
	v_mul_lo_u32 v65, v4, v23
	s_add_i32 s0, s13, 32
	v_sub_nc_u32_e32 v16, 0, v30
	v_sub_nc_u32_e32 v3, v3, v1
	v_mul_lo_u32 v1, s10, v18
	v_mbcnt_lo_u32_b32 v4, -1, 0
	v_ashrrev_i32_e32 v64, 31, v65
	s_delay_alu instid0(VALU_DEP_4) | instskip(SKIP_4) | instid1(VALU_DEP_1)
	v_cmp_ge_u32_e32 vcc_lo, v3, v20
	v_sub_nc_u32_e32 v11, v3, v20
	v_cndmask_b32_e32 v7, v5, v7, vcc_lo
	scratch_load_b32 v5, off, s32 offset:328 ; 4-byte Folded Reload
	v_cndmask_b32_e32 v3, v3, v11, vcc_lo
	v_cmp_ge_u32_e32 vcc_lo, v3, v20
	s_waitcnt vmcnt(0)
	v_xor_b32_e32 v6, v6, v5
	scratch_load_b32 v5, off, s32 offset:356 ; 4-byte Folded Reload
	s_waitcnt vmcnt(0)
	v_lshrrev_b32_e32 v12, 5, v5
	v_mov_b32_e32 v5, 0xff7fffff
	v_ashrrev_i32_e32 v10, 31, v2
	s_delay_alu instid0(VALU_DEP_3) | instskip(SKIP_1) | instid1(VALU_DEP_3)
	v_or_b32_e32 v112, s13, v12
	v_lshl_add_u32 v23, v12, 4, s15
	v_lshrrev_b32_e32 v10, 28, v10
	s_delay_alu instid0(VALU_DEP_3) | instskip(NEXT) | instid1(VALU_DEP_2)
	v_ashrrev_i32_e32 v113, 31, v112
	v_add_nc_u32_e32 v2, v2, v10
	v_add_nc_u32_e32 v11, 1, v7
	s_delay_alu instid0(VALU_DEP_2) | instskip(NEXT) | instid1(VALU_DEP_2)
	v_ashrrev_i32_e32 v14, 4, v2
	v_cndmask_b32_e32 v3, v7, v11, vcc_lo
	v_ashrrev_i32_e32 v2, 31, v1
	s_delay_alu instid0(VALU_DEP_3) | instskip(NEXT) | instid1(VALU_DEP_3)
	v_min_i32_e32 v22, s0, v14
	v_xor_b32_e32 v3, v3, v6
	s_delay_alu instid0(VALU_DEP_3) | instskip(NEXT) | instid1(VALU_DEP_3)
	v_lshlrev_b64 v[18:19], 2, v[1:2]
	v_cmp_lt_i32_e64 s0, v112, v22
	s_delay_alu instid0(VALU_DEP_3) | instskip(NEXT) | instid1(VALU_DEP_1)
	v_sub_nc_u32_e32 v3, v3, v6
	v_sub_nc_u32_e32 v1, v3, v29
	s_clause 0x1
	scratch_store_b32 off, v12, s32 offset:368
	scratch_store_b32 off, v1, s32 offset:336
	s_and_saveexec_b32 s22, s0
	s_cbranch_execz .LBB231_467
; %bb.10:
	s_clause 0x9
	scratch_store_b32 off, v14, s32 offset:432
	scratch_store_b32 off, v17, s32 offset:416
	scratch_store_b32 off, v35, s32 offset:412
	scratch_store_b32 off, v34, s32 offset:408
	scratch_store_b32 off, v33, s32 offset:404
	scratch_store_b32 off, v32, s32 offset:400
	scratch_store_b32 off, v55, s32 offset:396
	scratch_store_b32 off, v27, s32 offset:392
	scratch_store_b32 off, v30, s32 offset:388
	scratch_store_b32 off, v16, s32 offset:436
	s_clause 0x1
	scratch_load_b32 v2, off, s32 offset:356
	scratch_load_b32 v17, off, s32 offset:368
	v_max_i32_e32 v12, v30, v16
	v_add_co_u32 v3, s1, v8, v65
	s_delay_alu instid0(VALU_DEP_1) | instskip(NEXT) | instid1(VALU_DEP_3)
	v_add_co_ci_u32_e64 v8, s1, v9, v64, s1
	v_cvt_f32_u32_e32 v1, v12
	s_ashr_i32 s7, s6, 31
	s_getpc_b64 s[2:3]
	s_add_u32 s2, s2, llvm.amdgcn.dynlds.offset.table@rel32@lo+4
	s_addc_u32 s3, s3, llvm.amdgcn.dynlds.offset.table@rel32@hi+12
	v_sub_nc_u32_e32 v10, 0, v12
	s_lshl_b64 s[8:9], s[6:7], 2
	v_lshlrev_b64 v[6:7], 2, v[112:113]
	s_add_u32 s8, s8, s2
	s_addc_u32 s9, s9, s3
	v_cmp_eq_u32_e32 vcc_lo, 0, v0
	s_load_b32 s7, s[8:9], 0x0
	v_mov_b32_e32 v29, 0
	v_add_co_u32 v6, s2, v18, v6
	s_delay_alu instid0(VALU_DEP_1)
	v_add_co_ci_u32_e64 v7, s2, v19, v7, s2
	v_cmp_neq_f32_e64 s1, 0, v36
	s_mov_b32 s16, 0
	s_brev_b32 s17, 1
	s_mov_b32 s19, 0x7f800001
	s_mov_b32 s23, s16
	s_clause 0x1
	scratch_store_b32 off, v64, s32 offset:440
	scratch_store_b64 off, v[18:19], s32 offset:420
	s_waitcnt vmcnt(1)
	v_bfe_u32 v16, v2, 1, 4
	v_rcp_iflag_f32_e32 v2, v1
	v_lshlrev_b32_e32 v1, 1, v0
	s_delay_alu instid0(VALU_DEP_2)
	v_lshlrev_b32_e32 v11, 4, v16
	s_clause 0x2
	scratch_store_b32 off, v16, s32 offset:360
	scratch_store_b32 off, v1, s32 offset:352
	;; [unrolled: 1-line block ×3, first 2 shown]
	v_mul_u32_u24_e32 v1, 0xe0, v0
	v_dual_mul_f32 v9, 0x4f7ffffe, v2 :: v_dual_lshlrev_b32 v14, 2, v16
	v_sub_nc_u32_e32 v16, v16, v47
	v_add_co_u32 v116, s2, v3, v11
	s_delay_alu instid0(VALU_DEP_1) | instskip(NEXT) | instid1(VALU_DEP_4)
	v_add_co_ci_u32_e64 v117, s2, 0, v8, s2
	v_cvt_u32_f32_e32 v9, v9
	s_delay_alu instid0(VALU_DEP_4)
	v_add_nc_u32_e32 v3, 1, v16
	v_add_co_u32 v118, s2, v26, v6
	s_waitcnt vmcnt(0)
	v_lshl_add_u32 v0, v17, 4, s15
	v_mul_lo_u32 v10, v10, v9
	v_mov_b32_e32 v2, v112
	v_lshl_or_b32 v30, v17, 6, v14
	s_clause 0x2
	scratch_store_b32 off, v3, s32 offset:364
	scratch_store_b32 off, v26, s32 offset:384
	;; [unrolled: 1-line block ×3, first 2 shown]
	v_add_co_ci_u32_e64 v119, s2, v15, v7, s2
	v_mov_b32_e32 v15, v36
	v_mul_hi_u32 v10, v9, v10
	s_delay_alu instid0(VALU_DEP_1)
	v_dual_mov_b32 v5, 0xff7fffff :: v_dual_add_nc_u32 v14, v9, v10
	s_branch .LBB231_13
.LBB231_11:                             ;   in Loop: Header=BB231_13 Depth=1
	s_or_b32 exec_lo, exec_lo, s18
.LBB231_12:                             ;   in Loop: Header=BB231_13 Depth=1
	s_delay_alu instid0(SALU_CYCLE_1) | instskip(SKIP_2) | instid1(VALU_DEP_1)
	s_or_b32 exec_lo, exec_lo, s3
	v_add_nc_u32_e32 v2, 4, v2
	v_add_co_u32 v118, s3, v118, 16
	v_add_co_ci_u32_e64 v119, s3, 0, v119, s3
	s_delay_alu instid0(VALU_DEP_3) | instskip(SKIP_2) | instid1(VALU_DEP_3)
	v_cmp_ge_i32_e64 s2, v2, v22
	v_add_nc_u32_e32 v0, 64, v0
	v_add_nc_u32_e32 v30, 0x100, v30
	s_or_b32 s23, s2, s23
	s_delay_alu instid0(SALU_CYCLE_1)
	s_and_not1_b32 exec_lo, exec_lo, s23
	s_cbranch_execz .LBB231_466
.LBB231_13:                             ; =>This Inner Loop Header: Depth=1
	s_waitcnt lgkmcnt(0)
	s_clause 0x1
	scratch_load_b32 v6, off, s32 offset:332
	scratch_load_b32 v9, off, s32 offset:328
	v_sub_nc_u32_e32 v3, 0, v0
	s_delay_alu instid0(VALU_DEP_1) | instskip(SKIP_1) | instid1(VALU_DEP_1)
	v_max_i32_e32 v3, v0, v3
	s_waitcnt vmcnt(1)
	v_mul_hi_u32 v6, v3, v6
	s_delay_alu instid0(VALU_DEP_1) | instskip(NEXT) | instid1(VALU_DEP_1)
	v_mul_lo_u32 v7, v6, v20
	v_sub_nc_u32_e32 v3, v3, v7
	v_add_nc_u32_e32 v7, 1, v6
	s_delay_alu instid0(VALU_DEP_2) | instskip(SKIP_1) | instid1(VALU_DEP_1)
	v_sub_nc_u32_e32 v8, v3, v20
	v_cmp_ge_u32_e64 s2, v3, v20
	v_cndmask_b32_e64 v6, v6, v7, s2
	s_delay_alu instid0(VALU_DEP_3) | instskip(SKIP_1) | instid1(VALU_DEP_3)
	v_cndmask_b32_e64 v3, v3, v8, s2
	v_ashrrev_i32_e32 v7, 31, v0
	v_add_nc_u32_e32 v8, 1, v6
	s_delay_alu instid0(VALU_DEP_3) | instskip(SKIP_1) | instid1(VALU_DEP_3)
	v_cmp_ge_u32_e64 s2, v3, v20
	s_waitcnt vmcnt(0)
	v_xor_b32_e32 v7, v7, v9
	s_delay_alu instid0(VALU_DEP_2) | instskip(NEXT) | instid1(VALU_DEP_1)
	v_cndmask_b32_e64 v3, v6, v8, s2
	v_xor_b32_e32 v3, v3, v7
	s_delay_alu instid0(VALU_DEP_1) | instskip(NEXT) | instid1(VALU_DEP_1)
	v_sub_nc_u32_e32 v3, v3, v7
	v_add_nc_u32_e32 v6, v3, v21
	s_delay_alu instid0(VALU_DEP_1) | instskip(NEXT) | instid1(VALU_DEP_1)
	v_sub_nc_u32_e32 v7, 0, v6
	v_max_i32_e32 v7, v6, v7
	v_ashrrev_i32_e32 v6, 31, v6
	s_delay_alu instid0(VALU_DEP_2) | instskip(NEXT) | instid1(VALU_DEP_1)
	v_mul_hi_u32 v8, v7, v14
	v_mul_lo_u32 v8, v8, v12
	s_delay_alu instid0(VALU_DEP_1) | instskip(NEXT) | instid1(VALU_DEP_1)
	v_sub_nc_u32_e32 v7, v7, v8
	v_sub_nc_u32_e32 v8, v7, v12
	v_cmp_ge_u32_e64 s2, v7, v12
	s_delay_alu instid0(VALU_DEP_1) | instskip(NEXT) | instid1(VALU_DEP_1)
	v_cndmask_b32_e64 v7, v7, v8, s2
	v_sub_nc_u32_e32 v8, v7, v12
	v_cmp_ge_u32_e64 s2, v7, v12
	s_delay_alu instid0(VALU_DEP_1) | instskip(NEXT) | instid1(VALU_DEP_1)
	v_cndmask_b32_e64 v7, v7, v8, s2
	v_xor_b32_e32 v7, v7, v6
	s_delay_alu instid0(VALU_DEP_1) | instskip(NEXT) | instid1(VALU_DEP_1)
	v_sub_nc_u32_e32 v6, v7, v6
	v_cmp_ne_u32_e64 s2, 0, v6
	scratch_load_b32 v6, off, s32 offset:336 ; 4-byte Folded Reload
	s_waitcnt vmcnt(0)
	v_cmp_le_i32_e64 s3, v3, v6
	s_delay_alu instid0(VALU_DEP_1) | instskip(NEXT) | instid1(SALU_CYCLE_1)
	s_and_b32 s2, s2, s3
	s_and_b32 s18, vcc_lo, s2
	s_delay_alu instid0(SALU_CYCLE_1)
	s_and_saveexec_b32 s3, s18
	s_cbranch_execz .LBB231_15
; %bb.14:                               ;   in Loop: Header=BB231_13 Depth=1
	s_waitcnt lgkmcnt(0)
	v_dual_mov_b32 v6, 0xff7fffff :: v_dual_add_nc_u32 v3, s7, v30
	ds_store_b32 v3, v6
.LBB231_15:                             ;   in Loop: Header=BB231_13 Depth=1
	s_or_b32 exec_lo, exec_lo, s3
	s_xor_b32 s2, s2, -1
	s_delay_alu instid0(SALU_CYCLE_1)
	s_and_saveexec_b32 s3, s2
	s_cbranch_execz .LBB231_12
; %bb.16:                               ;   in Loop: Header=BB231_13 Depth=1
	flat_load_b32 v3, v[118:119]
	scratch_load_b32 v8, off, s32 offset:340 ; 4-byte Folded Reload
	s_mov_b32 s18, exec_lo
	s_waitcnt vmcnt(0) lgkmcnt(0)
	v_mad_i64_i32 v[6:7], null, v3, v8, v[116:117]
	scratch_load_b32 v3, off, s32 offset:352 ; 4-byte Folded Reload
	s_waitcnt vmcnt(0)
	v_add_co_u32 v150, s2, v6, v3
	s_delay_alu instid0(VALU_DEP_1)
	v_add_co_ci_u32_e64 v151, s2, 0, v7, s2
	flat_load_u16 v3, v[150:151]
	flat_load_b32 v10, v[24:25]
	ds_load_b128 v[100:103], v1
	ds_load_b128 v[96:99], v1 offset:16
	ds_load_b128 v[84:87], v1 offset:32
	;; [unrolled: 1-line block ×11, first 2 shown]
	ds_load_b64 v[128:129], v1 offset:192
	v_mov_b32_e32 v130, 0
	v_mov_b32_e32 v131, 0
	s_delay_alu instid0(VALU_DEP_1) | instskip(SKIP_3) | instid1(VALU_DEP_2)
	v_dual_mov_b32 v133, v131 :: v_dual_mov_b32 v132, v130
	s_waitcnt vmcnt(1) lgkmcnt(14)
	v_and_b32_e32 v11, 0xff, v3
	v_and_b32_e32 v3, 0xffff, v3
	v_cmpx_ne_u16_e32 0, v11
	s_cbranch_execz .LBB231_24
; %bb.17:                               ;   in Loop: Header=BB231_13 Depth=1
	v_bfrev_b32_e32 v132, 1
	s_delay_alu instid0(VALU_DEP_3) | instskip(SKIP_2) | instid1(VALU_DEP_2)
	v_and_b32_e32 v11, 0xff, v3
	v_mov_b32_e32 v133, 0
	s_mov_b32 s24, exec_lo
	v_cmpx_ne_u16_e32 0x80, v11
	s_cbranch_execz .LBB231_23
; %bb.18:                               ;   in Loop: Header=BB231_13 Depth=1
	v_mov_b32_e32 v132, 0x7f800001
	v_and_b32_e32 v11, 0x7f, v3
	v_mov_b32_e32 v133, 0
	s_mov_b32 s25, exec_lo
	s_delay_alu instid0(VALU_DEP_2)
	v_cmpx_ne_u32_e32 0x7f, v11
	s_cbranch_execz .LBB231_22
; %bb.19:                               ;   in Loop: Header=BB231_13 Depth=1
	v_and_b32_e32 v28, 7, v3
	v_lshrrev_b32_e32 v39, 3, v11
	s_mov_b32 s26, exec_lo
	v_cmpx_gt_u32_e32 8, v11
; %bb.20:                               ;   in Loop: Header=BB231_13 Depth=1
	s_delay_alu instid0(VALU_DEP_3) | instskip(NEXT) | instid1(VALU_DEP_1)
	v_clz_i32_u32_e32 v11, v28
	v_min_u32_e32 v11, 32, v11
	s_delay_alu instid0(VALU_DEP_1) | instskip(SKIP_1) | instid1(VALU_DEP_2)
	v_subrev_nc_u32_e32 v26, 28, v11
	v_sub_nc_u32_e32 v39, 29, v11
	v_lshlrev_b64 v[114:115], v26, v[28:29]
	s_delay_alu instid0(VALU_DEP_1)
	v_and_b32_e32 v28, 7, v114
; %bb.21:                               ;   in Loop: Header=BB231_13 Depth=1
	s_or_b32 exec_lo, exec_lo, s26
	v_lshlrev_b32_e32 v11, 24, v3
	s_delay_alu instid0(VALU_DEP_2) | instskip(SKIP_1) | instid1(VALU_DEP_3)
	v_lshlrev_b32_e32 v26, 20, v28
	v_lshl_add_u32 v27, v39, 23, 0x3c000000
	v_and_b32_e32 v11, 0x80000000, v11
	s_delay_alu instid0(VALU_DEP_1) | instskip(NEXT) | instid1(VALU_DEP_1)
	v_or3_b32 v28, v26, v11, v27
	v_dual_mov_b32 v133, v29 :: v_dual_mov_b32 v132, v28
.LBB231_22:                             ;   in Loop: Header=BB231_13 Depth=1
	s_or_b32 exec_lo, exec_lo, s25
.LBB231_23:                             ;   in Loop: Header=BB231_13 Depth=1
	s_delay_alu instid0(SALU_CYCLE_1)
	s_or_b32 exec_lo, exec_lo, s24
.LBB231_24:                             ;   in Loop: Header=BB231_13 Depth=1
	s_delay_alu instid0(SALU_CYCLE_1) | instskip(NEXT) | instid1(VALU_DEP_2)
	s_or_b32 exec_lo, exec_lo, s18
	v_lshrrev_b16 v28, 8, v3
	s_mov_b32 s24, exec_lo
	s_delay_alu instid0(VALU_DEP_1)
	v_cmpx_ne_u16_e32 0, v28
	s_cbranch_execz .LBB231_32
; %bb.25:                               ;   in Loop: Header=BB231_13 Depth=1
	v_dual_mov_b32 v131, s17 :: v_dual_mov_b32 v130, s16
	s_mov_b32 s25, exec_lo
	v_cmpx_ne_u16_e32 0x80, v28
	s_cbranch_execz .LBB231_31
; %bb.26:                               ;   in Loop: Header=BB231_13 Depth=1
	s_mov_b32 s18, s16
	v_and_b32_e32 v11, 0xffff, v28
	v_dual_mov_b32 v131, s19 :: v_dual_mov_b32 v130, s18
	s_mov_b32 s18, exec_lo
	s_delay_alu instid0(VALU_DEP_2) | instskip(NEXT) | instid1(VALU_DEP_1)
	v_and_b32_e32 v114, 0x7f, v11
	v_cmpx_ne_u32_e32 0x7f, v114
	s_cbranch_execz .LBB231_30
; %bb.27:                               ;   in Loop: Header=BB231_13 Depth=1
	v_and_b32_e32 v28, 7, v11
	v_lshrrev_b32_e32 v39, 3, v114
	s_mov_b32 s26, exec_lo
	v_cmpx_gt_u32_e32 8, v114
; %bb.28:                               ;   in Loop: Header=BB231_13 Depth=1
	s_delay_alu instid0(VALU_DEP_3) | instskip(NEXT) | instid1(VALU_DEP_1)
	v_clz_i32_u32_e32 v11, v28
	v_min_u32_e32 v11, 32, v11
	s_delay_alu instid0(VALU_DEP_1) | instskip(SKIP_1) | instid1(VALU_DEP_2)
	v_subrev_nc_u32_e32 v26, 28, v11
	v_sub_nc_u32_e32 v39, 29, v11
	v_lshlrev_b64 v[114:115], v26, v[28:29]
	s_delay_alu instid0(VALU_DEP_1)
	v_and_b32_e32 v28, 7, v114
; %bb.29:                               ;   in Loop: Header=BB231_13 Depth=1
	s_or_b32 exec_lo, exec_lo, s26
	v_dual_mov_b32 v130, v29 :: v_dual_lshlrev_b32 v3, 16, v3
	s_delay_alu instid0(VALU_DEP_2) | instskip(SKIP_1) | instid1(VALU_DEP_3)
	v_lshlrev_b32_e32 v11, 20, v28
	v_lshl_add_u32 v26, v39, 23, 0x3c000000
	v_and_b32_e32 v3, 0x80000000, v3
	s_delay_alu instid0(VALU_DEP_1)
	v_or3_b32 v131, v11, v3, v26
.LBB231_30:                             ;   in Loop: Header=BB231_13 Depth=1
	s_or_b32 exec_lo, exec_lo, s18
.LBB231_31:                             ;   in Loop: Header=BB231_13 Depth=1
	s_delay_alu instid0(SALU_CYCLE_1)
	s_or_b32 exec_lo, exec_lo, s25
.LBB231_32:                             ;   in Loop: Header=BB231_13 Depth=1
	s_delay_alu instid0(SALU_CYCLE_1) | instskip(SKIP_4) | instid1(VALU_DEP_1)
	s_or_b32 exec_lo, exec_lo, s24
	flat_load_u16 v3, v[150:151] offset:4
	v_mov_b32_e32 v134, 0
	v_mov_b32_e32 v135, 0
	s_mov_b32 s18, exec_lo
	v_dual_mov_b32 v145, v135 :: v_dual_mov_b32 v144, v134
	s_waitcnt vmcnt(0) lgkmcnt(0)
	v_and_b32_e32 v11, 0xff, v3
	v_and_b32_e32 v3, 0xffff, v3
	s_delay_alu instid0(VALU_DEP_2)
	v_cmpx_ne_u16_e32 0, v11
	s_cbranch_execz .LBB231_40
; %bb.33:                               ;   in Loop: Header=BB231_13 Depth=1
	v_bfrev_b32_e32 v144, 1
	s_delay_alu instid0(VALU_DEP_3) | instskip(SKIP_2) | instid1(VALU_DEP_2)
	v_and_b32_e32 v11, 0xff, v3
	v_mov_b32_e32 v145, 0
	s_mov_b32 s24, exec_lo
	v_cmpx_ne_u16_e32 0x80, v11
	s_cbranch_execz .LBB231_39
; %bb.34:                               ;   in Loop: Header=BB231_13 Depth=1
	v_mov_b32_e32 v144, 0x7f800001
	v_and_b32_e32 v11, 0x7f, v3
	v_mov_b32_e32 v145, 0
	s_mov_b32 s25, exec_lo
	s_delay_alu instid0(VALU_DEP_2)
	v_cmpx_ne_u32_e32 0x7f, v11
	s_cbranch_execz .LBB231_38
; %bb.35:                               ;   in Loop: Header=BB231_13 Depth=1
	v_and_b32_e32 v28, 7, v3
	v_lshrrev_b32_e32 v39, 3, v11
	s_mov_b32 s26, exec_lo
	v_cmpx_gt_u32_e32 8, v11
; %bb.36:                               ;   in Loop: Header=BB231_13 Depth=1
	s_delay_alu instid0(VALU_DEP_3) | instskip(NEXT) | instid1(VALU_DEP_1)
	v_clz_i32_u32_e32 v11, v28
	v_min_u32_e32 v11, 32, v11
	s_delay_alu instid0(VALU_DEP_1) | instskip(SKIP_1) | instid1(VALU_DEP_2)
	v_subrev_nc_u32_e32 v26, 28, v11
	v_sub_nc_u32_e32 v39, 29, v11
	v_lshlrev_b64 v[114:115], v26, v[28:29]
	s_delay_alu instid0(VALU_DEP_1)
	v_and_b32_e32 v28, 7, v114
; %bb.37:                               ;   in Loop: Header=BB231_13 Depth=1
	s_or_b32 exec_lo, exec_lo, s26
	v_lshlrev_b32_e32 v11, 24, v3
	s_delay_alu instid0(VALU_DEP_2) | instskip(SKIP_1) | instid1(VALU_DEP_3)
	v_lshlrev_b32_e32 v26, 20, v28
	v_lshl_add_u32 v27, v39, 23, 0x3c000000
	v_and_b32_e32 v11, 0x80000000, v11
	s_delay_alu instid0(VALU_DEP_1) | instskip(NEXT) | instid1(VALU_DEP_1)
	v_or3_b32 v28, v26, v11, v27
	v_dual_mov_b32 v145, v29 :: v_dual_mov_b32 v144, v28
.LBB231_38:                             ;   in Loop: Header=BB231_13 Depth=1
	s_or_b32 exec_lo, exec_lo, s25
.LBB231_39:                             ;   in Loop: Header=BB231_13 Depth=1
	s_delay_alu instid0(SALU_CYCLE_1)
	s_or_b32 exec_lo, exec_lo, s24
.LBB231_40:                             ;   in Loop: Header=BB231_13 Depth=1
	s_delay_alu instid0(SALU_CYCLE_1) | instskip(NEXT) | instid1(VALU_DEP_2)
	s_or_b32 exec_lo, exec_lo, s18
	v_lshrrev_b16 v28, 8, v3
	s_mov_b32 s24, exec_lo
	s_delay_alu instid0(VALU_DEP_1)
	v_cmpx_ne_u16_e32 0, v28
	s_cbranch_execz .LBB231_48
; %bb.41:                               ;   in Loop: Header=BB231_13 Depth=1
	v_dual_mov_b32 v135, s17 :: v_dual_mov_b32 v134, s16
	s_mov_b32 s25, exec_lo
	v_cmpx_ne_u16_e32 0x80, v28
	s_cbranch_execz .LBB231_47
; %bb.42:                               ;   in Loop: Header=BB231_13 Depth=1
	s_mov_b32 s18, s16
	v_and_b32_e32 v11, 0xffff, v28
	v_dual_mov_b32 v135, s19 :: v_dual_mov_b32 v134, s18
	s_mov_b32 s18, exec_lo
	s_delay_alu instid0(VALU_DEP_2) | instskip(NEXT) | instid1(VALU_DEP_1)
	v_and_b32_e32 v114, 0x7f, v11
	v_cmpx_ne_u32_e32 0x7f, v114
	s_cbranch_execz .LBB231_46
; %bb.43:                               ;   in Loop: Header=BB231_13 Depth=1
	v_and_b32_e32 v28, 7, v11
	v_lshrrev_b32_e32 v39, 3, v114
	s_mov_b32 s26, exec_lo
	v_cmpx_gt_u32_e32 8, v114
; %bb.44:                               ;   in Loop: Header=BB231_13 Depth=1
	s_delay_alu instid0(VALU_DEP_3) | instskip(NEXT) | instid1(VALU_DEP_1)
	v_clz_i32_u32_e32 v11, v28
	v_min_u32_e32 v11, 32, v11
	s_delay_alu instid0(VALU_DEP_1) | instskip(SKIP_1) | instid1(VALU_DEP_2)
	v_subrev_nc_u32_e32 v26, 28, v11
	v_sub_nc_u32_e32 v39, 29, v11
	v_lshlrev_b64 v[114:115], v26, v[28:29]
	s_delay_alu instid0(VALU_DEP_1)
	v_and_b32_e32 v28, 7, v114
; %bb.45:                               ;   in Loop: Header=BB231_13 Depth=1
	s_or_b32 exec_lo, exec_lo, s26
	v_dual_mov_b32 v134, v29 :: v_dual_lshlrev_b32 v3, 16, v3
	s_delay_alu instid0(VALU_DEP_2) | instskip(SKIP_1) | instid1(VALU_DEP_3)
	v_lshlrev_b32_e32 v11, 20, v28
	v_lshl_add_u32 v26, v39, 23, 0x3c000000
	v_and_b32_e32 v3, 0x80000000, v3
	s_delay_alu instid0(VALU_DEP_1)
	v_or3_b32 v135, v11, v3, v26
.LBB231_46:                             ;   in Loop: Header=BB231_13 Depth=1
	s_or_b32 exec_lo, exec_lo, s18
.LBB231_47:                             ;   in Loop: Header=BB231_13 Depth=1
	s_delay_alu instid0(SALU_CYCLE_1)
	s_or_b32 exec_lo, exec_lo, s25
.LBB231_48:                             ;   in Loop: Header=BB231_13 Depth=1
	s_delay_alu instid0(SALU_CYCLE_1) | instskip(SKIP_4) | instid1(VALU_DEP_1)
	s_or_b32 exec_lo, exec_lo, s24
	flat_load_u16 v3, v[150:151] offset:8
	v_mov_b32_e32 v146, 0
	v_mov_b32_e32 v147, 0
	s_mov_b32 s18, exec_lo
	v_dual_mov_b32 v149, v147 :: v_dual_mov_b32 v148, v146
	s_waitcnt vmcnt(0) lgkmcnt(0)
	v_and_b32_e32 v11, 0xff, v3
	v_and_b32_e32 v3, 0xffff, v3
	s_delay_alu instid0(VALU_DEP_2)
	v_cmpx_ne_u16_e32 0, v11
	s_cbranch_execz .LBB231_56
; %bb.49:                               ;   in Loop: Header=BB231_13 Depth=1
	v_bfrev_b32_e32 v148, 1
	s_delay_alu instid0(VALU_DEP_3) | instskip(SKIP_2) | instid1(VALU_DEP_2)
	v_and_b32_e32 v11, 0xff, v3
	v_mov_b32_e32 v149, 0
	s_mov_b32 s24, exec_lo
	v_cmpx_ne_u16_e32 0x80, v11
	s_cbranch_execz .LBB231_55
; %bb.50:                               ;   in Loop: Header=BB231_13 Depth=1
	v_mov_b32_e32 v148, 0x7f800001
	v_and_b32_e32 v11, 0x7f, v3
	v_mov_b32_e32 v149, 0
	s_mov_b32 s25, exec_lo
	s_delay_alu instid0(VALU_DEP_2)
	v_cmpx_ne_u32_e32 0x7f, v11
	s_cbranch_execz .LBB231_54
; %bb.51:                               ;   in Loop: Header=BB231_13 Depth=1
	v_and_b32_e32 v28, 7, v3
	v_lshrrev_b32_e32 v39, 3, v11
	s_mov_b32 s26, exec_lo
	v_cmpx_gt_u32_e32 8, v11
; %bb.52:                               ;   in Loop: Header=BB231_13 Depth=1
	s_delay_alu instid0(VALU_DEP_3) | instskip(NEXT) | instid1(VALU_DEP_1)
	v_clz_i32_u32_e32 v11, v28
	v_min_u32_e32 v11, 32, v11
	s_delay_alu instid0(VALU_DEP_1) | instskip(SKIP_1) | instid1(VALU_DEP_2)
	v_subrev_nc_u32_e32 v26, 28, v11
	v_sub_nc_u32_e32 v39, 29, v11
	v_lshlrev_b64 v[114:115], v26, v[28:29]
	s_delay_alu instid0(VALU_DEP_1)
	v_and_b32_e32 v28, 7, v114
; %bb.53:                               ;   in Loop: Header=BB231_13 Depth=1
	s_or_b32 exec_lo, exec_lo, s26
	v_lshlrev_b32_e32 v11, 24, v3
	s_delay_alu instid0(VALU_DEP_2) | instskip(SKIP_1) | instid1(VALU_DEP_3)
	v_lshlrev_b32_e32 v26, 20, v28
	v_lshl_add_u32 v27, v39, 23, 0x3c000000
	v_and_b32_e32 v11, 0x80000000, v11
	s_delay_alu instid0(VALU_DEP_1) | instskip(NEXT) | instid1(VALU_DEP_1)
	v_or3_b32 v28, v26, v11, v27
	v_dual_mov_b32 v149, v29 :: v_dual_mov_b32 v148, v28
.LBB231_54:                             ;   in Loop: Header=BB231_13 Depth=1
	s_or_b32 exec_lo, exec_lo, s25
.LBB231_55:                             ;   in Loop: Header=BB231_13 Depth=1
	s_delay_alu instid0(SALU_CYCLE_1)
	s_or_b32 exec_lo, exec_lo, s24
.LBB231_56:                             ;   in Loop: Header=BB231_13 Depth=1
	s_delay_alu instid0(SALU_CYCLE_1) | instskip(NEXT) | instid1(VALU_DEP_2)
	s_or_b32 exec_lo, exec_lo, s18
	v_lshrrev_b16 v28, 8, v3
	s_mov_b32 s24, exec_lo
	s_delay_alu instid0(VALU_DEP_1)
	v_cmpx_ne_u16_e32 0, v28
	s_cbranch_execz .LBB231_64
; %bb.57:                               ;   in Loop: Header=BB231_13 Depth=1
	v_dual_mov_b32 v147, s17 :: v_dual_mov_b32 v146, s16
	s_mov_b32 s25, exec_lo
	v_cmpx_ne_u16_e32 0x80, v28
	s_cbranch_execz .LBB231_63
; %bb.58:                               ;   in Loop: Header=BB231_13 Depth=1
	s_mov_b32 s18, s16
	v_and_b32_e32 v11, 0xffff, v28
	v_dual_mov_b32 v147, s19 :: v_dual_mov_b32 v146, s18
	s_mov_b32 s18, exec_lo
	s_delay_alu instid0(VALU_DEP_2) | instskip(NEXT) | instid1(VALU_DEP_1)
	v_and_b32_e32 v114, 0x7f, v11
	v_cmpx_ne_u32_e32 0x7f, v114
	s_cbranch_execz .LBB231_62
; %bb.59:                               ;   in Loop: Header=BB231_13 Depth=1
	v_and_b32_e32 v28, 7, v11
	v_lshrrev_b32_e32 v39, 3, v114
	s_mov_b32 s26, exec_lo
	v_cmpx_gt_u32_e32 8, v114
; %bb.60:                               ;   in Loop: Header=BB231_13 Depth=1
	s_delay_alu instid0(VALU_DEP_3) | instskip(NEXT) | instid1(VALU_DEP_1)
	v_clz_i32_u32_e32 v11, v28
	v_min_u32_e32 v11, 32, v11
	s_delay_alu instid0(VALU_DEP_1) | instskip(SKIP_1) | instid1(VALU_DEP_2)
	v_subrev_nc_u32_e32 v26, 28, v11
	v_sub_nc_u32_e32 v39, 29, v11
	v_lshlrev_b64 v[114:115], v26, v[28:29]
	s_delay_alu instid0(VALU_DEP_1)
	v_and_b32_e32 v28, 7, v114
; %bb.61:                               ;   in Loop: Header=BB231_13 Depth=1
	s_or_b32 exec_lo, exec_lo, s26
	v_dual_mov_b32 v146, v29 :: v_dual_lshlrev_b32 v3, 16, v3
	s_delay_alu instid0(VALU_DEP_2) | instskip(SKIP_1) | instid1(VALU_DEP_3)
	v_lshlrev_b32_e32 v11, 20, v28
	v_lshl_add_u32 v26, v39, 23, 0x3c000000
	v_and_b32_e32 v3, 0x80000000, v3
	s_delay_alu instid0(VALU_DEP_1)
	v_or3_b32 v147, v11, v3, v26
.LBB231_62:                             ;   in Loop: Header=BB231_13 Depth=1
	s_or_b32 exec_lo, exec_lo, s18
.LBB231_63:                             ;   in Loop: Header=BB231_13 Depth=1
	s_delay_alu instid0(SALU_CYCLE_1)
	s_or_b32 exec_lo, exec_lo, s25
.LBB231_64:                             ;   in Loop: Header=BB231_13 Depth=1
	s_delay_alu instid0(SALU_CYCLE_1) | instskip(SKIP_4) | instid1(VALU_DEP_1)
	s_or_b32 exec_lo, exec_lo, s24
	flat_load_u16 v3, v[150:151] offset:12
	v_mov_b32_e32 v160, 0
	v_mov_b32_e32 v161, 0
	s_mov_b32 s18, exec_lo
	v_dual_mov_b32 v163, v161 :: v_dual_mov_b32 v162, v160
	s_waitcnt vmcnt(0) lgkmcnt(0)
	v_and_b32_e32 v11, 0xff, v3
	v_and_b32_e32 v3, 0xffff, v3
	s_delay_alu instid0(VALU_DEP_2)
	v_cmpx_ne_u16_e32 0, v11
	s_cbranch_execz .LBB231_72
; %bb.65:                               ;   in Loop: Header=BB231_13 Depth=1
	v_bfrev_b32_e32 v162, 1
	s_delay_alu instid0(VALU_DEP_3) | instskip(SKIP_2) | instid1(VALU_DEP_2)
	v_and_b32_e32 v11, 0xff, v3
	v_mov_b32_e32 v163, 0
	s_mov_b32 s24, exec_lo
	v_cmpx_ne_u16_e32 0x80, v11
	s_cbranch_execz .LBB231_71
; %bb.66:                               ;   in Loop: Header=BB231_13 Depth=1
	v_mov_b32_e32 v162, 0x7f800001
	v_and_b32_e32 v11, 0x7f, v3
	v_mov_b32_e32 v163, 0
	s_mov_b32 s25, exec_lo
	s_delay_alu instid0(VALU_DEP_2)
	v_cmpx_ne_u32_e32 0x7f, v11
	s_cbranch_execz .LBB231_70
; %bb.67:                               ;   in Loop: Header=BB231_13 Depth=1
	v_and_b32_e32 v28, 7, v3
	v_lshrrev_b32_e32 v39, 3, v11
	s_mov_b32 s26, exec_lo
	v_cmpx_gt_u32_e32 8, v11
; %bb.68:                               ;   in Loop: Header=BB231_13 Depth=1
	s_delay_alu instid0(VALU_DEP_3) | instskip(NEXT) | instid1(VALU_DEP_1)
	v_clz_i32_u32_e32 v11, v28
	v_min_u32_e32 v11, 32, v11
	s_delay_alu instid0(VALU_DEP_1) | instskip(SKIP_1) | instid1(VALU_DEP_2)
	v_subrev_nc_u32_e32 v26, 28, v11
	v_sub_nc_u32_e32 v39, 29, v11
	v_lshlrev_b64 v[114:115], v26, v[28:29]
	s_delay_alu instid0(VALU_DEP_1)
	v_and_b32_e32 v28, 7, v114
; %bb.69:                               ;   in Loop: Header=BB231_13 Depth=1
	s_or_b32 exec_lo, exec_lo, s26
	v_lshlrev_b32_e32 v11, 24, v3
	s_delay_alu instid0(VALU_DEP_2) | instskip(SKIP_1) | instid1(VALU_DEP_3)
	v_lshlrev_b32_e32 v26, 20, v28
	v_lshl_add_u32 v27, v39, 23, 0x3c000000
	v_and_b32_e32 v11, 0x80000000, v11
	s_delay_alu instid0(VALU_DEP_1) | instskip(NEXT) | instid1(VALU_DEP_1)
	v_or3_b32 v28, v26, v11, v27
	v_dual_mov_b32 v163, v29 :: v_dual_mov_b32 v162, v28
.LBB231_70:                             ;   in Loop: Header=BB231_13 Depth=1
	s_or_b32 exec_lo, exec_lo, s25
.LBB231_71:                             ;   in Loop: Header=BB231_13 Depth=1
	s_delay_alu instid0(SALU_CYCLE_1)
	s_or_b32 exec_lo, exec_lo, s24
.LBB231_72:                             ;   in Loop: Header=BB231_13 Depth=1
	s_delay_alu instid0(SALU_CYCLE_1) | instskip(NEXT) | instid1(VALU_DEP_2)
	s_or_b32 exec_lo, exec_lo, s18
	v_lshrrev_b16 v28, 8, v3
	s_mov_b32 s24, exec_lo
	s_delay_alu instid0(VALU_DEP_1)
	v_cmpx_ne_u16_e32 0, v28
	s_cbranch_execz .LBB231_80
; %bb.73:                               ;   in Loop: Header=BB231_13 Depth=1
	v_dual_mov_b32 v161, s17 :: v_dual_mov_b32 v160, s16
	s_mov_b32 s25, exec_lo
	v_cmpx_ne_u16_e32 0x80, v28
	s_cbranch_execz .LBB231_79
; %bb.74:                               ;   in Loop: Header=BB231_13 Depth=1
	s_mov_b32 s18, s16
	v_and_b32_e32 v11, 0xffff, v28
	v_dual_mov_b32 v161, s19 :: v_dual_mov_b32 v160, s18
	s_mov_b32 s18, exec_lo
	s_delay_alu instid0(VALU_DEP_2) | instskip(NEXT) | instid1(VALU_DEP_1)
	v_and_b32_e32 v114, 0x7f, v11
	v_cmpx_ne_u32_e32 0x7f, v114
	s_cbranch_execz .LBB231_78
; %bb.75:                               ;   in Loop: Header=BB231_13 Depth=1
	v_and_b32_e32 v28, 7, v11
	v_lshrrev_b32_e32 v39, 3, v114
	s_mov_b32 s26, exec_lo
	v_cmpx_gt_u32_e32 8, v114
; %bb.76:                               ;   in Loop: Header=BB231_13 Depth=1
	s_delay_alu instid0(VALU_DEP_3) | instskip(NEXT) | instid1(VALU_DEP_1)
	v_clz_i32_u32_e32 v11, v28
	v_min_u32_e32 v11, 32, v11
	s_delay_alu instid0(VALU_DEP_1) | instskip(SKIP_1) | instid1(VALU_DEP_2)
	v_subrev_nc_u32_e32 v26, 28, v11
	v_sub_nc_u32_e32 v39, 29, v11
	v_lshlrev_b64 v[114:115], v26, v[28:29]
	s_delay_alu instid0(VALU_DEP_1)
	v_and_b32_e32 v28, 7, v114
; %bb.77:                               ;   in Loop: Header=BB231_13 Depth=1
	s_or_b32 exec_lo, exec_lo, s26
	v_dual_mov_b32 v160, v29 :: v_dual_lshlrev_b32 v3, 16, v3
	s_delay_alu instid0(VALU_DEP_2) | instskip(SKIP_1) | instid1(VALU_DEP_3)
	v_lshlrev_b32_e32 v11, 20, v28
	v_lshl_add_u32 v26, v39, 23, 0x3c000000
	v_and_b32_e32 v3, 0x80000000, v3
	s_delay_alu instid0(VALU_DEP_1)
	v_or3_b32 v161, v11, v3, v26
.LBB231_78:                             ;   in Loop: Header=BB231_13 Depth=1
	s_or_b32 exec_lo, exec_lo, s18
.LBB231_79:                             ;   in Loop: Header=BB231_13 Depth=1
	s_delay_alu instid0(SALU_CYCLE_1)
	s_or_b32 exec_lo, exec_lo, s25
.LBB231_80:                             ;   in Loop: Header=BB231_13 Depth=1
	s_delay_alu instid0(SALU_CYCLE_1) | instskip(SKIP_4) | instid1(VALU_DEP_1)
	s_or_b32 exec_lo, exec_lo, s24
	flat_load_u16 v3, v[150:151] offset:256
	v_mov_b32_e32 v164, 0
	v_mov_b32_e32 v165, 0
	s_mov_b32 s18, exec_lo
	v_dual_mov_b32 v167, v165 :: v_dual_mov_b32 v166, v164
	s_waitcnt vmcnt(0) lgkmcnt(0)
	v_and_b32_e32 v11, 0xff, v3
	v_and_b32_e32 v3, 0xffff, v3
	s_delay_alu instid0(VALU_DEP_2)
	v_cmpx_ne_u16_e32 0, v11
	s_cbranch_execz .LBB231_88
; %bb.81:                               ;   in Loop: Header=BB231_13 Depth=1
	v_bfrev_b32_e32 v166, 1
	s_delay_alu instid0(VALU_DEP_3) | instskip(SKIP_2) | instid1(VALU_DEP_2)
	v_and_b32_e32 v11, 0xff, v3
	v_mov_b32_e32 v167, 0
	s_mov_b32 s24, exec_lo
	v_cmpx_ne_u16_e32 0x80, v11
	s_cbranch_execz .LBB231_87
; %bb.82:                               ;   in Loop: Header=BB231_13 Depth=1
	v_mov_b32_e32 v166, 0x7f800001
	v_and_b32_e32 v11, 0x7f, v3
	v_mov_b32_e32 v167, 0
	s_mov_b32 s25, exec_lo
	s_delay_alu instid0(VALU_DEP_2)
	v_cmpx_ne_u32_e32 0x7f, v11
	s_cbranch_execz .LBB231_86
; %bb.83:                               ;   in Loop: Header=BB231_13 Depth=1
	v_and_b32_e32 v28, 7, v3
	v_lshrrev_b32_e32 v39, 3, v11
	s_mov_b32 s26, exec_lo
	v_cmpx_gt_u32_e32 8, v11
; %bb.84:                               ;   in Loop: Header=BB231_13 Depth=1
	s_delay_alu instid0(VALU_DEP_3) | instskip(NEXT) | instid1(VALU_DEP_1)
	v_clz_i32_u32_e32 v11, v28
	v_min_u32_e32 v11, 32, v11
	s_delay_alu instid0(VALU_DEP_1) | instskip(SKIP_1) | instid1(VALU_DEP_2)
	v_subrev_nc_u32_e32 v26, 28, v11
	v_sub_nc_u32_e32 v39, 29, v11
	v_lshlrev_b64 v[114:115], v26, v[28:29]
	s_delay_alu instid0(VALU_DEP_1)
	v_and_b32_e32 v28, 7, v114
; %bb.85:                               ;   in Loop: Header=BB231_13 Depth=1
	s_or_b32 exec_lo, exec_lo, s26
	v_lshlrev_b32_e32 v11, 24, v3
	s_delay_alu instid0(VALU_DEP_2) | instskip(SKIP_1) | instid1(VALU_DEP_3)
	v_lshlrev_b32_e32 v26, 20, v28
	v_lshl_add_u32 v27, v39, 23, 0x3c000000
	v_and_b32_e32 v11, 0x80000000, v11
	s_delay_alu instid0(VALU_DEP_1) | instskip(NEXT) | instid1(VALU_DEP_1)
	v_or3_b32 v28, v26, v11, v27
	v_dual_mov_b32 v167, v29 :: v_dual_mov_b32 v166, v28
.LBB231_86:                             ;   in Loop: Header=BB231_13 Depth=1
	s_or_b32 exec_lo, exec_lo, s25
.LBB231_87:                             ;   in Loop: Header=BB231_13 Depth=1
	s_delay_alu instid0(SALU_CYCLE_1)
	s_or_b32 exec_lo, exec_lo, s24
.LBB231_88:                             ;   in Loop: Header=BB231_13 Depth=1
	s_delay_alu instid0(SALU_CYCLE_1) | instskip(NEXT) | instid1(VALU_DEP_2)
	s_or_b32 exec_lo, exec_lo, s18
	v_lshrrev_b16 v28, 8, v3
	s_mov_b32 s24, exec_lo
	s_delay_alu instid0(VALU_DEP_1)
	v_cmpx_ne_u16_e32 0, v28
	s_cbranch_execz .LBB231_96
; %bb.89:                               ;   in Loop: Header=BB231_13 Depth=1
	v_dual_mov_b32 v165, s17 :: v_dual_mov_b32 v164, s16
	s_mov_b32 s25, exec_lo
	v_cmpx_ne_u16_e32 0x80, v28
	s_cbranch_execz .LBB231_95
; %bb.90:                               ;   in Loop: Header=BB231_13 Depth=1
	s_mov_b32 s18, s16
	v_and_b32_e32 v11, 0xffff, v28
	v_dual_mov_b32 v165, s19 :: v_dual_mov_b32 v164, s18
	s_mov_b32 s18, exec_lo
	s_delay_alu instid0(VALU_DEP_2) | instskip(NEXT) | instid1(VALU_DEP_1)
	v_and_b32_e32 v114, 0x7f, v11
	v_cmpx_ne_u32_e32 0x7f, v114
	s_cbranch_execz .LBB231_94
; %bb.91:                               ;   in Loop: Header=BB231_13 Depth=1
	v_and_b32_e32 v28, 7, v11
	v_lshrrev_b32_e32 v39, 3, v114
	s_mov_b32 s26, exec_lo
	v_cmpx_gt_u32_e32 8, v114
; %bb.92:                               ;   in Loop: Header=BB231_13 Depth=1
	s_delay_alu instid0(VALU_DEP_3) | instskip(NEXT) | instid1(VALU_DEP_1)
	v_clz_i32_u32_e32 v11, v28
	v_min_u32_e32 v11, 32, v11
	s_delay_alu instid0(VALU_DEP_1) | instskip(SKIP_1) | instid1(VALU_DEP_2)
	v_subrev_nc_u32_e32 v26, 28, v11
	v_sub_nc_u32_e32 v39, 29, v11
	v_lshlrev_b64 v[114:115], v26, v[28:29]
	s_delay_alu instid0(VALU_DEP_1)
	v_and_b32_e32 v28, 7, v114
; %bb.93:                               ;   in Loop: Header=BB231_13 Depth=1
	s_or_b32 exec_lo, exec_lo, s26
	v_dual_mov_b32 v164, v29 :: v_dual_lshlrev_b32 v3, 16, v3
	s_delay_alu instid0(VALU_DEP_2) | instskip(SKIP_1) | instid1(VALU_DEP_3)
	v_lshlrev_b32_e32 v11, 20, v28
	v_lshl_add_u32 v26, v39, 23, 0x3c000000
	v_and_b32_e32 v3, 0x80000000, v3
	s_delay_alu instid0(VALU_DEP_1)
	v_or3_b32 v165, v11, v3, v26
.LBB231_94:                             ;   in Loop: Header=BB231_13 Depth=1
	s_or_b32 exec_lo, exec_lo, s18
.LBB231_95:                             ;   in Loop: Header=BB231_13 Depth=1
	s_delay_alu instid0(SALU_CYCLE_1)
	s_or_b32 exec_lo, exec_lo, s25
.LBB231_96:                             ;   in Loop: Header=BB231_13 Depth=1
	s_delay_alu instid0(SALU_CYCLE_1) | instskip(SKIP_4) | instid1(VALU_DEP_1)
	s_or_b32 exec_lo, exec_lo, s24
	flat_load_u16 v3, v[150:151] offset:260
	v_mov_b32_e32 v176, 0
	v_mov_b32_e32 v177, 0
	s_mov_b32 s18, exec_lo
	v_dual_mov_b32 v179, v177 :: v_dual_mov_b32 v178, v176
	s_waitcnt vmcnt(0) lgkmcnt(0)
	v_and_b32_e32 v11, 0xff, v3
	v_and_b32_e32 v3, 0xffff, v3
	s_delay_alu instid0(VALU_DEP_2)
	v_cmpx_ne_u16_e32 0, v11
	s_cbranch_execz .LBB231_104
; %bb.97:                               ;   in Loop: Header=BB231_13 Depth=1
	v_bfrev_b32_e32 v178, 1
	s_delay_alu instid0(VALU_DEP_3) | instskip(SKIP_2) | instid1(VALU_DEP_2)
	v_and_b32_e32 v11, 0xff, v3
	v_mov_b32_e32 v179, 0
	s_mov_b32 s24, exec_lo
	v_cmpx_ne_u16_e32 0x80, v11
	s_cbranch_execz .LBB231_103
; %bb.98:                               ;   in Loop: Header=BB231_13 Depth=1
	v_mov_b32_e32 v178, 0x7f800001
	v_and_b32_e32 v11, 0x7f, v3
	v_mov_b32_e32 v179, 0
	s_mov_b32 s25, exec_lo
	s_delay_alu instid0(VALU_DEP_2)
	v_cmpx_ne_u32_e32 0x7f, v11
	s_cbranch_execz .LBB231_102
; %bb.99:                               ;   in Loop: Header=BB231_13 Depth=1
	v_and_b32_e32 v28, 7, v3
	v_lshrrev_b32_e32 v39, 3, v11
	s_mov_b32 s26, exec_lo
	v_cmpx_gt_u32_e32 8, v11
; %bb.100:                              ;   in Loop: Header=BB231_13 Depth=1
	s_delay_alu instid0(VALU_DEP_3) | instskip(NEXT) | instid1(VALU_DEP_1)
	v_clz_i32_u32_e32 v11, v28
	v_min_u32_e32 v11, 32, v11
	s_delay_alu instid0(VALU_DEP_1) | instskip(SKIP_1) | instid1(VALU_DEP_2)
	v_subrev_nc_u32_e32 v26, 28, v11
	v_sub_nc_u32_e32 v39, 29, v11
	v_lshlrev_b64 v[114:115], v26, v[28:29]
	s_delay_alu instid0(VALU_DEP_1)
	v_and_b32_e32 v28, 7, v114
; %bb.101:                              ;   in Loop: Header=BB231_13 Depth=1
	s_or_b32 exec_lo, exec_lo, s26
	v_lshlrev_b32_e32 v11, 24, v3
	s_delay_alu instid0(VALU_DEP_2) | instskip(SKIP_1) | instid1(VALU_DEP_3)
	v_lshlrev_b32_e32 v26, 20, v28
	v_lshl_add_u32 v27, v39, 23, 0x3c000000
	v_and_b32_e32 v11, 0x80000000, v11
	s_delay_alu instid0(VALU_DEP_1) | instskip(NEXT) | instid1(VALU_DEP_1)
	v_or3_b32 v28, v26, v11, v27
	v_dual_mov_b32 v179, v29 :: v_dual_mov_b32 v178, v28
.LBB231_102:                            ;   in Loop: Header=BB231_13 Depth=1
	s_or_b32 exec_lo, exec_lo, s25
.LBB231_103:                            ;   in Loop: Header=BB231_13 Depth=1
	s_delay_alu instid0(SALU_CYCLE_1)
	s_or_b32 exec_lo, exec_lo, s24
.LBB231_104:                            ;   in Loop: Header=BB231_13 Depth=1
	s_delay_alu instid0(SALU_CYCLE_1) | instskip(NEXT) | instid1(VALU_DEP_2)
	s_or_b32 exec_lo, exec_lo, s18
	v_lshrrev_b16 v28, 8, v3
	s_mov_b32 s24, exec_lo
	s_delay_alu instid0(VALU_DEP_1)
	v_cmpx_ne_u16_e32 0, v28
	s_cbranch_execz .LBB231_112
; %bb.105:                              ;   in Loop: Header=BB231_13 Depth=1
	v_dual_mov_b32 v177, s17 :: v_dual_mov_b32 v176, s16
	s_mov_b32 s25, exec_lo
	v_cmpx_ne_u16_e32 0x80, v28
	s_cbranch_execz .LBB231_111
; %bb.106:                              ;   in Loop: Header=BB231_13 Depth=1
	s_mov_b32 s18, s16
	v_and_b32_e32 v11, 0xffff, v28
	v_dual_mov_b32 v177, s19 :: v_dual_mov_b32 v176, s18
	s_mov_b32 s18, exec_lo
	s_delay_alu instid0(VALU_DEP_2) | instskip(NEXT) | instid1(VALU_DEP_1)
	v_and_b32_e32 v114, 0x7f, v11
	v_cmpx_ne_u32_e32 0x7f, v114
	s_cbranch_execz .LBB231_110
; %bb.107:                              ;   in Loop: Header=BB231_13 Depth=1
	v_and_b32_e32 v28, 7, v11
	v_lshrrev_b32_e32 v39, 3, v114
	s_mov_b32 s26, exec_lo
	v_cmpx_gt_u32_e32 8, v114
; %bb.108:                              ;   in Loop: Header=BB231_13 Depth=1
	s_delay_alu instid0(VALU_DEP_3) | instskip(NEXT) | instid1(VALU_DEP_1)
	v_clz_i32_u32_e32 v11, v28
	v_min_u32_e32 v11, 32, v11
	s_delay_alu instid0(VALU_DEP_1) | instskip(SKIP_1) | instid1(VALU_DEP_2)
	v_subrev_nc_u32_e32 v26, 28, v11
	v_sub_nc_u32_e32 v39, 29, v11
	v_lshlrev_b64 v[114:115], v26, v[28:29]
	s_delay_alu instid0(VALU_DEP_1)
	v_and_b32_e32 v28, 7, v114
; %bb.109:                              ;   in Loop: Header=BB231_13 Depth=1
	s_or_b32 exec_lo, exec_lo, s26
	v_dual_mov_b32 v176, v29 :: v_dual_lshlrev_b32 v3, 16, v3
	s_delay_alu instid0(VALU_DEP_2) | instskip(SKIP_1) | instid1(VALU_DEP_3)
	v_lshlrev_b32_e32 v11, 20, v28
	v_lshl_add_u32 v26, v39, 23, 0x3c000000
	v_and_b32_e32 v3, 0x80000000, v3
	s_delay_alu instid0(VALU_DEP_1)
	v_or3_b32 v177, v11, v3, v26
.LBB231_110:                            ;   in Loop: Header=BB231_13 Depth=1
	s_or_b32 exec_lo, exec_lo, s18
.LBB231_111:                            ;   in Loop: Header=BB231_13 Depth=1
	s_delay_alu instid0(SALU_CYCLE_1)
	s_or_b32 exec_lo, exec_lo, s25
.LBB231_112:                            ;   in Loop: Header=BB231_13 Depth=1
	s_delay_alu instid0(SALU_CYCLE_1) | instskip(SKIP_1) | instid1(VALU_DEP_1)
	s_or_b32 exec_lo, exec_lo, s24
	v_add_co_u32 v114, s2, 0x100, v150
	v_add_co_ci_u32_e64 v115, s2, 0, v151, s2
	s_mov_b32 s18, exec_lo
	flat_load_u16 v3, v[114:115] offset:8
	v_mov_b32_e32 v180, 0
	v_mov_b32_e32 v181, 0
	s_delay_alu instid0(VALU_DEP_1) | instskip(SKIP_3) | instid1(VALU_DEP_2)
	v_dual_mov_b32 v183, v181 :: v_dual_mov_b32 v182, v180
	s_waitcnt vmcnt(0) lgkmcnt(0)
	v_and_b32_e32 v11, 0xff, v3
	v_and_b32_e32 v3, 0xffff, v3
	v_cmpx_ne_u16_e32 0, v11
	s_cbranch_execz .LBB231_120
; %bb.113:                              ;   in Loop: Header=BB231_13 Depth=1
	v_bfrev_b32_e32 v182, 1
	s_delay_alu instid0(VALU_DEP_3) | instskip(SKIP_2) | instid1(VALU_DEP_2)
	v_and_b32_e32 v11, 0xff, v3
	v_mov_b32_e32 v183, 0
	s_mov_b32 s24, exec_lo
	v_cmpx_ne_u16_e32 0x80, v11
	s_cbranch_execz .LBB231_119
; %bb.114:                              ;   in Loop: Header=BB231_13 Depth=1
	v_mov_b32_e32 v182, 0x7f800001
	v_and_b32_e32 v11, 0x7f, v3
	v_mov_b32_e32 v183, 0
	s_mov_b32 s25, exec_lo
	s_delay_alu instid0(VALU_DEP_2)
	v_cmpx_ne_u32_e32 0x7f, v11
	s_cbranch_execz .LBB231_118
; %bb.115:                              ;   in Loop: Header=BB231_13 Depth=1
	v_and_b32_e32 v28, 7, v3
	v_lshrrev_b32_e32 v39, 3, v11
	s_mov_b32 s26, exec_lo
	v_cmpx_gt_u32_e32 8, v11
; %bb.116:                              ;   in Loop: Header=BB231_13 Depth=1
	s_delay_alu instid0(VALU_DEP_3) | instskip(NEXT) | instid1(VALU_DEP_1)
	v_clz_i32_u32_e32 v11, v28
	v_min_u32_e32 v11, 32, v11
	s_delay_alu instid0(VALU_DEP_1) | instskip(SKIP_1) | instid1(VALU_DEP_2)
	v_subrev_nc_u32_e32 v26, 28, v11
	v_sub_nc_u32_e32 v39, 29, v11
	v_lshlrev_b64 v[182:183], v26, v[28:29]
	s_delay_alu instid0(VALU_DEP_1)
	v_and_b32_e32 v28, 7, v182
; %bb.117:                              ;   in Loop: Header=BB231_13 Depth=1
	s_or_b32 exec_lo, exec_lo, s26
	v_lshlrev_b32_e32 v11, 24, v3
	s_delay_alu instid0(VALU_DEP_2) | instskip(SKIP_1) | instid1(VALU_DEP_3)
	v_lshlrev_b32_e32 v26, 20, v28
	v_lshl_add_u32 v27, v39, 23, 0x3c000000
	v_and_b32_e32 v11, 0x80000000, v11
	s_delay_alu instid0(VALU_DEP_1) | instskip(NEXT) | instid1(VALU_DEP_1)
	v_or3_b32 v28, v26, v11, v27
	v_dual_mov_b32 v183, v29 :: v_dual_mov_b32 v182, v28
.LBB231_118:                            ;   in Loop: Header=BB231_13 Depth=1
	s_or_b32 exec_lo, exec_lo, s25
.LBB231_119:                            ;   in Loop: Header=BB231_13 Depth=1
	s_delay_alu instid0(SALU_CYCLE_1)
	s_or_b32 exec_lo, exec_lo, s24
.LBB231_120:                            ;   in Loop: Header=BB231_13 Depth=1
	s_delay_alu instid0(SALU_CYCLE_1) | instskip(NEXT) | instid1(VALU_DEP_2)
	s_or_b32 exec_lo, exec_lo, s18
	v_lshrrev_b16 v28, 8, v3
	s_mov_b32 s24, exec_lo
	s_delay_alu instid0(VALU_DEP_1)
	v_cmpx_ne_u16_e32 0, v28
	s_cbranch_execz .LBB231_128
; %bb.121:                              ;   in Loop: Header=BB231_13 Depth=1
	v_dual_mov_b32 v181, s17 :: v_dual_mov_b32 v180, s16
	s_mov_b32 s25, exec_lo
	v_cmpx_ne_u16_e32 0x80, v28
	s_cbranch_execz .LBB231_127
; %bb.122:                              ;   in Loop: Header=BB231_13 Depth=1
	s_mov_b32 s18, s16
	v_and_b32_e32 v11, 0xffff, v28
	v_dual_mov_b32 v181, s19 :: v_dual_mov_b32 v180, s18
	s_mov_b32 s18, exec_lo
	s_delay_alu instid0(VALU_DEP_2) | instskip(NEXT) | instid1(VALU_DEP_1)
	v_and_b32_e32 v40, 0x7f, v11
	v_cmpx_ne_u32_e32 0x7f, v40
	s_cbranch_execz .LBB231_126
; %bb.123:                              ;   in Loop: Header=BB231_13 Depth=1
	v_and_b32_e32 v28, 7, v11
	v_lshrrev_b32_e32 v39, 3, v40
	s_mov_b32 s26, exec_lo
	v_cmpx_gt_u32_e32 8, v40
; %bb.124:                              ;   in Loop: Header=BB231_13 Depth=1
	s_delay_alu instid0(VALU_DEP_3) | instskip(NEXT) | instid1(VALU_DEP_1)
	v_clz_i32_u32_e32 v11, v28
	v_min_u32_e32 v11, 32, v11
	s_delay_alu instid0(VALU_DEP_1) | instskip(SKIP_1) | instid1(VALU_DEP_2)
	v_subrev_nc_u32_e32 v26, 28, v11
	v_sub_nc_u32_e32 v39, 29, v11
	v_lshlrev_b64 v[180:181], v26, v[28:29]
	s_delay_alu instid0(VALU_DEP_1)
	v_and_b32_e32 v28, 7, v180
; %bb.125:                              ;   in Loop: Header=BB231_13 Depth=1
	s_or_b32 exec_lo, exec_lo, s26
	v_dual_mov_b32 v180, v29 :: v_dual_lshlrev_b32 v3, 16, v3
	s_delay_alu instid0(VALU_DEP_2) | instskip(SKIP_1) | instid1(VALU_DEP_3)
	v_lshlrev_b32_e32 v11, 20, v28
	v_lshl_add_u32 v26, v39, 23, 0x3c000000
	v_and_b32_e32 v3, 0x80000000, v3
	s_delay_alu instid0(VALU_DEP_1)
	v_or3_b32 v181, v11, v3, v26
.LBB231_126:                            ;   in Loop: Header=BB231_13 Depth=1
	s_or_b32 exec_lo, exec_lo, s18
.LBB231_127:                            ;   in Loop: Header=BB231_13 Depth=1
	s_delay_alu instid0(SALU_CYCLE_1)
	s_or_b32 exec_lo, exec_lo, s25
.LBB231_128:                            ;   in Loop: Header=BB231_13 Depth=1
	s_delay_alu instid0(SALU_CYCLE_1)
	s_or_b32 exec_lo, exec_lo, s24
	flat_load_u16 v3, v[114:115] offset:12
	v_mov_b32_e32 v39, 0
	v_mov_b32_e32 v40, 0
	s_mov_b32 s18, exec_lo
	s_waitcnt vmcnt(0) lgkmcnt(0)
	v_and_b32_e32 v11, 0xff, v3
	s_delay_alu instid0(VALU_DEP_2) | instskip(SKIP_1) | instid1(VALU_DEP_3)
	v_dual_mov_b32 v42, v40 :: v_dual_and_b32 v3, 0xffff, v3
	v_mov_b32_e32 v41, v39
	v_cmpx_ne_u16_e32 0, v11
	s_cbranch_execz .LBB231_136
; %bb.129:                              ;   in Loop: Header=BB231_13 Depth=1
	v_bfrev_b32_e32 v41, 1
	v_dual_mov_b32 v42, 0 :: v_dual_and_b32 v11, 0xff, v3
	s_mov_b32 s24, exec_lo
	s_delay_alu instid0(VALU_DEP_1)
	v_cmpx_ne_u16_e32 0x80, v11
	s_cbranch_execz .LBB231_135
; %bb.130:                              ;   in Loop: Header=BB231_13 Depth=1
	v_mov_b32_e32 v41, 0x7f800001
	v_dual_mov_b32 v42, 0 :: v_dual_and_b32 v11, 0x7f, v3
	s_mov_b32 s25, exec_lo
	s_delay_alu instid0(VALU_DEP_1)
	v_cmpx_ne_u32_e32 0x7f, v11
	s_cbranch_execz .LBB231_134
; %bb.131:                              ;   in Loop: Header=BB231_13 Depth=1
	v_and_b32_e32 v28, 7, v3
	v_lshrrev_b32_e32 v114, 3, v11
	s_mov_b32 s26, exec_lo
	v_cmpx_gt_u32_e32 8, v11
; %bb.132:                              ;   in Loop: Header=BB231_13 Depth=1
	s_delay_alu instid0(VALU_DEP_3) | instskip(NEXT) | instid1(VALU_DEP_1)
	v_clz_i32_u32_e32 v11, v28
	v_min_u32_e32 v11, 32, v11
	s_delay_alu instid0(VALU_DEP_1) | instskip(SKIP_1) | instid1(VALU_DEP_2)
	v_subrev_nc_u32_e32 v26, 28, v11
	v_sub_nc_u32_e32 v114, 29, v11
	v_lshlrev_b64 v[41:42], v26, v[28:29]
	s_delay_alu instid0(VALU_DEP_1)
	v_and_b32_e32 v28, 7, v41
; %bb.133:                              ;   in Loop: Header=BB231_13 Depth=1
	s_or_b32 exec_lo, exec_lo, s26
	v_lshlrev_b32_e32 v11, 24, v3
	s_delay_alu instid0(VALU_DEP_2) | instskip(SKIP_1) | instid1(VALU_DEP_3)
	v_lshlrev_b32_e32 v26, 20, v28
	v_lshl_add_u32 v27, v114, 23, 0x3c000000
	v_and_b32_e32 v11, 0x80000000, v11
	s_delay_alu instid0(VALU_DEP_1) | instskip(NEXT) | instid1(VALU_DEP_1)
	v_or3_b32 v28, v26, v11, v27
	v_dual_mov_b32 v42, v29 :: v_dual_mov_b32 v41, v28
.LBB231_134:                            ;   in Loop: Header=BB231_13 Depth=1
	s_or_b32 exec_lo, exec_lo, s25
.LBB231_135:                            ;   in Loop: Header=BB231_13 Depth=1
	s_delay_alu instid0(SALU_CYCLE_1)
	s_or_b32 exec_lo, exec_lo, s24
.LBB231_136:                            ;   in Loop: Header=BB231_13 Depth=1
	s_delay_alu instid0(SALU_CYCLE_1) | instskip(SKIP_2) | instid1(VALU_DEP_1)
	s_or_b32 exec_lo, exec_lo, s18
	v_lshrrev_b16 v28, 8, v3
	s_mov_b32 s24, exec_lo
	v_cmpx_ne_u16_e32 0, v28
	s_cbranch_execz .LBB231_144
; %bb.137:                              ;   in Loop: Header=BB231_13 Depth=1
	v_dual_mov_b32 v40, s17 :: v_dual_mov_b32 v39, s16
	s_mov_b32 s25, exec_lo
	v_cmpx_ne_u16_e32 0x80, v28
	s_cbranch_execz .LBB231_143
; %bb.138:                              ;   in Loop: Header=BB231_13 Depth=1
	s_mov_b32 s18, s16
	v_dual_mov_b32 v40, s19 :: v_dual_and_b32 v11, 0xffff, v28
	v_mov_b32_e32 v39, s18
	s_mov_b32 s18, exec_lo
	s_delay_alu instid0(VALU_DEP_2) | instskip(NEXT) | instid1(VALU_DEP_1)
	v_and_b32_e32 v114, 0x7f, v11
	v_cmpx_ne_u32_e32 0x7f, v114
	s_cbranch_execz .LBB231_142
; %bb.139:                              ;   in Loop: Header=BB231_13 Depth=1
	v_and_b32_e32 v28, 7, v11
	v_lshrrev_b32_e32 v39, 3, v114
	s_mov_b32 s26, exec_lo
	v_cmpx_gt_u32_e32 8, v114
; %bb.140:                              ;   in Loop: Header=BB231_13 Depth=1
	s_delay_alu instid0(VALU_DEP_3) | instskip(NEXT) | instid1(VALU_DEP_1)
	v_clz_i32_u32_e32 v11, v28
	v_min_u32_e32 v11, 32, v11
	s_delay_alu instid0(VALU_DEP_1) | instskip(SKIP_1) | instid1(VALU_DEP_2)
	v_subrev_nc_u32_e32 v26, 28, v11
	v_sub_nc_u32_e32 v39, 29, v11
	v_lshlrev_b64 v[114:115], v26, v[28:29]
	s_delay_alu instid0(VALU_DEP_1)
	v_and_b32_e32 v28, 7, v114
; %bb.141:                              ;   in Loop: Header=BB231_13 Depth=1
	s_or_b32 exec_lo, exec_lo, s26
	v_lshlrev_b32_e32 v3, 16, v3
	s_delay_alu instid0(VALU_DEP_2) | instskip(SKIP_2) | instid1(VALU_DEP_4)
	v_lshlrev_b32_e32 v11, 20, v28
	v_lshl_add_u32 v26, v39, 23, 0x3c000000
	v_mov_b32_e32 v39, v29
	v_and_b32_e32 v3, 0x80000000, v3
	s_delay_alu instid0(VALU_DEP_1)
	v_or3_b32 v40, v11, v3, v26
.LBB231_142:                            ;   in Loop: Header=BB231_13 Depth=1
	s_or_b32 exec_lo, exec_lo, s18
.LBB231_143:                            ;   in Loop: Header=BB231_13 Depth=1
	s_delay_alu instid0(SALU_CYCLE_1)
	s_or_b32 exec_lo, exec_lo, s25
.LBB231_144:                            ;   in Loop: Header=BB231_13 Depth=1
	s_delay_alu instid0(SALU_CYCLE_1)
	s_or_b32 exec_lo, exec_lo, s24
	flat_load_u16 v3, v[150:151] offset:512
	v_mov_b32_e32 v43, 0
	v_mov_b32_e32 v44, 0
	s_mov_b32 s18, exec_lo
	s_waitcnt vmcnt(0) lgkmcnt(0)
	v_and_b32_e32 v11, 0xff, v3
	s_delay_alu instid0(VALU_DEP_2) | instskip(SKIP_1) | instid1(VALU_DEP_3)
	v_dual_mov_b32 v46, v44 :: v_dual_and_b32 v3, 0xffff, v3
	v_mov_b32_e32 v45, v43
	v_cmpx_ne_u16_e32 0, v11
	s_cbranch_execz .LBB231_152
; %bb.145:                              ;   in Loop: Header=BB231_13 Depth=1
	v_bfrev_b32_e32 v45, 1
	v_dual_mov_b32 v46, 0 :: v_dual_and_b32 v11, 0xff, v3
	s_mov_b32 s24, exec_lo
	s_delay_alu instid0(VALU_DEP_1)
	v_cmpx_ne_u16_e32 0x80, v11
	s_cbranch_execz .LBB231_151
; %bb.146:                              ;   in Loop: Header=BB231_13 Depth=1
	v_mov_b32_e32 v45, 0x7f800001
	v_dual_mov_b32 v46, 0 :: v_dual_and_b32 v11, 0x7f, v3
	s_mov_b32 s25, exec_lo
	s_delay_alu instid0(VALU_DEP_1)
	v_cmpx_ne_u32_e32 0x7f, v11
	s_cbranch_execz .LBB231_150
; %bb.147:                              ;   in Loop: Header=BB231_13 Depth=1
	v_and_b32_e32 v28, 7, v3
	v_lshrrev_b32_e32 v114, 3, v11
	s_mov_b32 s26, exec_lo
	v_cmpx_gt_u32_e32 8, v11
; %bb.148:                              ;   in Loop: Header=BB231_13 Depth=1
	s_delay_alu instid0(VALU_DEP_3) | instskip(NEXT) | instid1(VALU_DEP_1)
	v_clz_i32_u32_e32 v11, v28
	v_min_u32_e32 v11, 32, v11
	s_delay_alu instid0(VALU_DEP_1) | instskip(SKIP_1) | instid1(VALU_DEP_2)
	v_subrev_nc_u32_e32 v26, 28, v11
	v_sub_nc_u32_e32 v114, 29, v11
	v_lshlrev_b64 v[45:46], v26, v[28:29]
	s_delay_alu instid0(VALU_DEP_1)
	v_and_b32_e32 v28, 7, v45
; %bb.149:                              ;   in Loop: Header=BB231_13 Depth=1
	s_or_b32 exec_lo, exec_lo, s26
	v_lshlrev_b32_e32 v11, 24, v3
	s_delay_alu instid0(VALU_DEP_2) | instskip(SKIP_1) | instid1(VALU_DEP_3)
	v_lshlrev_b32_e32 v26, 20, v28
	v_lshl_add_u32 v27, v114, 23, 0x3c000000
	v_and_b32_e32 v11, 0x80000000, v11
	s_delay_alu instid0(VALU_DEP_1) | instskip(NEXT) | instid1(VALU_DEP_1)
	v_or3_b32 v28, v26, v11, v27
	v_dual_mov_b32 v46, v29 :: v_dual_mov_b32 v45, v28
.LBB231_150:                            ;   in Loop: Header=BB231_13 Depth=1
	s_or_b32 exec_lo, exec_lo, s25
.LBB231_151:                            ;   in Loop: Header=BB231_13 Depth=1
	s_delay_alu instid0(SALU_CYCLE_1)
	s_or_b32 exec_lo, exec_lo, s24
.LBB231_152:                            ;   in Loop: Header=BB231_13 Depth=1
	s_delay_alu instid0(SALU_CYCLE_1) | instskip(SKIP_2) | instid1(VALU_DEP_1)
	s_or_b32 exec_lo, exec_lo, s18
	v_lshrrev_b16 v28, 8, v3
	s_mov_b32 s24, exec_lo
	v_cmpx_ne_u16_e32 0, v28
	s_cbranch_execz .LBB231_160
; %bb.153:                              ;   in Loop: Header=BB231_13 Depth=1
	v_dual_mov_b32 v44, s17 :: v_dual_mov_b32 v43, s16
	s_mov_b32 s25, exec_lo
	v_cmpx_ne_u16_e32 0x80, v28
	s_cbranch_execz .LBB231_159
; %bb.154:                              ;   in Loop: Header=BB231_13 Depth=1
	s_mov_b32 s18, s16
	v_dual_mov_b32 v44, s19 :: v_dual_and_b32 v11, 0xffff, v28
	v_mov_b32_e32 v43, s18
	s_mov_b32 s18, exec_lo
	s_delay_alu instid0(VALU_DEP_2) | instskip(NEXT) | instid1(VALU_DEP_1)
	v_and_b32_e32 v115, 0x7f, v11
	v_cmpx_ne_u32_e32 0x7f, v115
	s_cbranch_execz .LBB231_158
; %bb.155:                              ;   in Loop: Header=BB231_13 Depth=1
	v_and_b32_e32 v28, 7, v11
	v_lshrrev_b32_e32 v114, 3, v115
	s_mov_b32 s26, exec_lo
	v_cmpx_gt_u32_e32 8, v115
; %bb.156:                              ;   in Loop: Header=BB231_13 Depth=1
	s_delay_alu instid0(VALU_DEP_3) | instskip(NEXT) | instid1(VALU_DEP_1)
	v_clz_i32_u32_e32 v11, v28
	v_min_u32_e32 v11, 32, v11
	s_delay_alu instid0(VALU_DEP_1) | instskip(SKIP_1) | instid1(VALU_DEP_2)
	v_subrev_nc_u32_e32 v26, 28, v11
	v_sub_nc_u32_e32 v114, 29, v11
	v_lshlrev_b64 v[43:44], v26, v[28:29]
	s_delay_alu instid0(VALU_DEP_1)
	v_and_b32_e32 v28, 7, v43
; %bb.157:                              ;   in Loop: Header=BB231_13 Depth=1
	s_or_b32 exec_lo, exec_lo, s26
	v_lshlrev_b32_e32 v3, 16, v3
	s_delay_alu instid0(VALU_DEP_2) | instskip(SKIP_2) | instid1(VALU_DEP_4)
	v_lshlrev_b32_e32 v11, 20, v28
	v_lshl_add_u32 v26, v114, 23, 0x3c000000
	v_mov_b32_e32 v43, v29
	v_and_b32_e32 v3, 0x80000000, v3
	s_delay_alu instid0(VALU_DEP_1)
	v_or3_b32 v44, v11, v3, v26
.LBB231_158:                            ;   in Loop: Header=BB231_13 Depth=1
	s_or_b32 exec_lo, exec_lo, s18
.LBB231_159:                            ;   in Loop: Header=BB231_13 Depth=1
	s_delay_alu instid0(SALU_CYCLE_1)
	s_or_b32 exec_lo, exec_lo, s25
.LBB231_160:                            ;   in Loop: Header=BB231_13 Depth=1
	s_delay_alu instid0(SALU_CYCLE_1) | instskip(SKIP_4) | instid1(VALU_DEP_1)
	s_or_b32 exec_lo, exec_lo, s24
	flat_load_u16 v3, v[150:151] offset:516
	v_mov_b32_e32 v56, 0
	v_mov_b32_e32 v57, 0
	s_mov_b32 s18, exec_lo
	v_dual_mov_b32 v59, v57 :: v_dual_mov_b32 v58, v56
	s_waitcnt vmcnt(0) lgkmcnt(0)
	v_and_b32_e32 v11, 0xff, v3
	v_and_b32_e32 v3, 0xffff, v3
	s_delay_alu instid0(VALU_DEP_2)
	v_cmpx_ne_u16_e32 0, v11
	s_cbranch_execz .LBB231_168
; %bb.161:                              ;   in Loop: Header=BB231_13 Depth=1
	v_bfrev_b32_e32 v58, 1
	s_delay_alu instid0(VALU_DEP_3) | instskip(SKIP_2) | instid1(VALU_DEP_2)
	v_and_b32_e32 v11, 0xff, v3
	v_mov_b32_e32 v59, 0
	s_mov_b32 s24, exec_lo
	v_cmpx_ne_u16_e32 0x80, v11
	s_cbranch_execz .LBB231_167
; %bb.162:                              ;   in Loop: Header=BB231_13 Depth=1
	v_mov_b32_e32 v58, 0x7f800001
	v_and_b32_e32 v11, 0x7f, v3
	v_mov_b32_e32 v59, 0
	s_mov_b32 s25, exec_lo
	s_delay_alu instid0(VALU_DEP_2)
	v_cmpx_ne_u32_e32 0x7f, v11
	s_cbranch_execz .LBB231_166
; %bb.163:                              ;   in Loop: Header=BB231_13 Depth=1
	v_and_b32_e32 v28, 7, v3
	v_lshrrev_b32_e32 v114, 3, v11
	s_mov_b32 s26, exec_lo
	v_cmpx_gt_u32_e32 8, v11
; %bb.164:                              ;   in Loop: Header=BB231_13 Depth=1
	s_delay_alu instid0(VALU_DEP_3) | instskip(NEXT) | instid1(VALU_DEP_1)
	v_clz_i32_u32_e32 v11, v28
	v_min_u32_e32 v11, 32, v11
	s_delay_alu instid0(VALU_DEP_1) | instskip(SKIP_1) | instid1(VALU_DEP_2)
	v_subrev_nc_u32_e32 v26, 28, v11
	v_sub_nc_u32_e32 v114, 29, v11
	v_lshlrev_b64 v[58:59], v26, v[28:29]
	s_delay_alu instid0(VALU_DEP_1)
	v_and_b32_e32 v28, 7, v58
; %bb.165:                              ;   in Loop: Header=BB231_13 Depth=1
	s_or_b32 exec_lo, exec_lo, s26
	v_lshlrev_b32_e32 v11, 24, v3
	s_delay_alu instid0(VALU_DEP_2) | instskip(SKIP_1) | instid1(VALU_DEP_3)
	v_lshlrev_b32_e32 v26, 20, v28
	v_lshl_add_u32 v27, v114, 23, 0x3c000000
	v_and_b32_e32 v11, 0x80000000, v11
	s_delay_alu instid0(VALU_DEP_1) | instskip(NEXT) | instid1(VALU_DEP_1)
	v_or3_b32 v28, v26, v11, v27
	v_dual_mov_b32 v59, v29 :: v_dual_mov_b32 v58, v28
.LBB231_166:                            ;   in Loop: Header=BB231_13 Depth=1
	s_or_b32 exec_lo, exec_lo, s25
.LBB231_167:                            ;   in Loop: Header=BB231_13 Depth=1
	s_delay_alu instid0(SALU_CYCLE_1)
	s_or_b32 exec_lo, exec_lo, s24
.LBB231_168:                            ;   in Loop: Header=BB231_13 Depth=1
	s_delay_alu instid0(SALU_CYCLE_1) | instskip(NEXT) | instid1(VALU_DEP_2)
	s_or_b32 exec_lo, exec_lo, s18
	v_lshrrev_b16 v28, 8, v3
	s_mov_b32 s24, exec_lo
	s_delay_alu instid0(VALU_DEP_1)
	v_cmpx_ne_u16_e32 0, v28
	s_cbranch_execz .LBB231_176
; %bb.169:                              ;   in Loop: Header=BB231_13 Depth=1
	v_dual_mov_b32 v57, s17 :: v_dual_mov_b32 v56, s16
	s_mov_b32 s25, exec_lo
	v_cmpx_ne_u16_e32 0x80, v28
	s_cbranch_execz .LBB231_175
; %bb.170:                              ;   in Loop: Header=BB231_13 Depth=1
	s_mov_b32 s18, s16
	v_and_b32_e32 v11, 0xffff, v28
	v_dual_mov_b32 v57, s19 :: v_dual_mov_b32 v56, s18
	s_mov_b32 s18, exec_lo
	s_delay_alu instid0(VALU_DEP_2) | instskip(NEXT) | instid1(VALU_DEP_1)
	v_and_b32_e32 v115, 0x7f, v11
	v_cmpx_ne_u32_e32 0x7f, v115
	s_cbranch_execz .LBB231_174
; %bb.171:                              ;   in Loop: Header=BB231_13 Depth=1
	v_and_b32_e32 v28, 7, v11
	v_lshrrev_b32_e32 v114, 3, v115
	s_mov_b32 s26, exec_lo
	v_cmpx_gt_u32_e32 8, v115
; %bb.172:                              ;   in Loop: Header=BB231_13 Depth=1
	s_delay_alu instid0(VALU_DEP_3) | instskip(NEXT) | instid1(VALU_DEP_1)
	v_clz_i32_u32_e32 v11, v28
	v_min_u32_e32 v11, 32, v11
	s_delay_alu instid0(VALU_DEP_1) | instskip(SKIP_1) | instid1(VALU_DEP_2)
	v_subrev_nc_u32_e32 v26, 28, v11
	v_sub_nc_u32_e32 v114, 29, v11
	v_lshlrev_b64 v[56:57], v26, v[28:29]
	s_delay_alu instid0(VALU_DEP_1)
	v_and_b32_e32 v28, 7, v56
; %bb.173:                              ;   in Loop: Header=BB231_13 Depth=1
	s_or_b32 exec_lo, exec_lo, s26
	v_dual_mov_b32 v56, v29 :: v_dual_lshlrev_b32 v3, 16, v3
	s_delay_alu instid0(VALU_DEP_2) | instskip(SKIP_1) | instid1(VALU_DEP_3)
	v_lshlrev_b32_e32 v11, 20, v28
	v_lshl_add_u32 v26, v114, 23, 0x3c000000
	v_and_b32_e32 v3, 0x80000000, v3
	s_delay_alu instid0(VALU_DEP_1)
	v_or3_b32 v57, v11, v3, v26
.LBB231_174:                            ;   in Loop: Header=BB231_13 Depth=1
	s_or_b32 exec_lo, exec_lo, s18
.LBB231_175:                            ;   in Loop: Header=BB231_13 Depth=1
	s_delay_alu instid0(SALU_CYCLE_1)
	s_or_b32 exec_lo, exec_lo, s25
.LBB231_176:                            ;   in Loop: Header=BB231_13 Depth=1
	s_delay_alu instid0(SALU_CYCLE_1) | instskip(SKIP_1) | instid1(VALU_DEP_1)
	s_or_b32 exec_lo, exec_lo, s24
	v_add_co_u32 v114, s2, 0x200, v150
	v_add_co_ci_u32_e64 v115, s2, 0, v151, s2
	s_mov_b32 s18, exec_lo
	flat_load_u16 v3, v[114:115] offset:8
	v_mov_b32_e32 v60, 0
	v_mov_b32_e32 v61, 0
	s_delay_alu instid0(VALU_DEP_1) | instskip(SKIP_3) | instid1(VALU_DEP_2)
	v_dual_mov_b32 v63, v61 :: v_dual_mov_b32 v62, v60
	s_waitcnt vmcnt(0) lgkmcnt(0)
	v_and_b32_e32 v11, 0xff, v3
	v_and_b32_e32 v3, 0xffff, v3
	v_cmpx_ne_u16_e32 0, v11
	s_cbranch_execz .LBB231_184
; %bb.177:                              ;   in Loop: Header=BB231_13 Depth=1
	v_bfrev_b32_e32 v62, 1
	s_delay_alu instid0(VALU_DEP_3) | instskip(SKIP_2) | instid1(VALU_DEP_2)
	v_and_b32_e32 v11, 0xff, v3
	v_mov_b32_e32 v63, 0
	s_mov_b32 s24, exec_lo
	v_cmpx_ne_u16_e32 0x80, v11
	s_cbranch_execz .LBB231_183
; %bb.178:                              ;   in Loop: Header=BB231_13 Depth=1
	v_mov_b32_e32 v62, 0x7f800001
	v_and_b32_e32 v11, 0x7f, v3
	v_mov_b32_e32 v63, 0
	s_mov_b32 s25, exec_lo
	s_delay_alu instid0(VALU_DEP_2)
	v_cmpx_ne_u32_e32 0x7f, v11
	s_cbranch_execz .LBB231_182
; %bb.179:                              ;   in Loop: Header=BB231_13 Depth=1
	v_and_b32_e32 v28, 7, v3
	v_lshrrev_b32_e32 v62, 3, v11
	s_mov_b32 s26, exec_lo
	v_cmpx_gt_u32_e32 8, v11
; %bb.180:                              ;   in Loop: Header=BB231_13 Depth=1
	s_delay_alu instid0(VALU_DEP_3) | instskip(NEXT) | instid1(VALU_DEP_1)
	v_clz_i32_u32_e32 v11, v28
	v_min_u32_e32 v11, 32, v11
	s_delay_alu instid0(VALU_DEP_1) | instskip(SKIP_1) | instid1(VALU_DEP_2)
	v_subrev_nc_u32_e32 v26, 28, v11
	v_sub_nc_u32_e32 v62, 29, v11
	v_lshlrev_b64 v[72:73], v26, v[28:29]
	s_delay_alu instid0(VALU_DEP_1)
	v_and_b32_e32 v28, 7, v72
; %bb.181:                              ;   in Loop: Header=BB231_13 Depth=1
	s_or_b32 exec_lo, exec_lo, s26
	v_lshlrev_b32_e32 v11, 24, v3
	s_delay_alu instid0(VALU_DEP_2) | instskip(SKIP_1) | instid1(VALU_DEP_3)
	v_lshlrev_b32_e32 v26, 20, v28
	v_lshl_add_u32 v27, v62, 23, 0x3c000000
	v_and_b32_e32 v11, 0x80000000, v11
	s_delay_alu instid0(VALU_DEP_1) | instskip(NEXT) | instid1(VALU_DEP_1)
	v_or3_b32 v28, v26, v11, v27
	v_dual_mov_b32 v63, v29 :: v_dual_mov_b32 v62, v28
.LBB231_182:                            ;   in Loop: Header=BB231_13 Depth=1
	s_or_b32 exec_lo, exec_lo, s25
.LBB231_183:                            ;   in Loop: Header=BB231_13 Depth=1
	s_delay_alu instid0(SALU_CYCLE_1)
	s_or_b32 exec_lo, exec_lo, s24
.LBB231_184:                            ;   in Loop: Header=BB231_13 Depth=1
	s_delay_alu instid0(SALU_CYCLE_1) | instskip(NEXT) | instid1(VALU_DEP_2)
	s_or_b32 exec_lo, exec_lo, s18
	v_lshrrev_b16 v28, 8, v3
	s_mov_b32 s24, exec_lo
	s_delay_alu instid0(VALU_DEP_1)
	v_cmpx_ne_u16_e32 0, v28
	s_cbranch_execz .LBB231_192
; %bb.185:                              ;   in Loop: Header=BB231_13 Depth=1
	v_dual_mov_b32 v61, s17 :: v_dual_mov_b32 v60, s16
	s_mov_b32 s25, exec_lo
	v_cmpx_ne_u16_e32 0x80, v28
	s_cbranch_execz .LBB231_191
; %bb.186:                              ;   in Loop: Header=BB231_13 Depth=1
	s_mov_b32 s18, s16
	v_and_b32_e32 v11, 0xffff, v28
	v_dual_mov_b32 v61, s19 :: v_dual_mov_b32 v60, s18
	s_mov_b32 s18, exec_lo
	s_delay_alu instid0(VALU_DEP_2) | instskip(NEXT) | instid1(VALU_DEP_1)
	v_and_b32_e32 v72, 0x7f, v11
	v_cmpx_ne_u32_e32 0x7f, v72
	s_cbranch_execz .LBB231_190
; %bb.187:                              ;   in Loop: Header=BB231_13 Depth=1
	v_and_b32_e32 v28, 7, v11
	v_lshrrev_b32_e32 v60, 3, v72
	s_mov_b32 s26, exec_lo
	v_cmpx_gt_u32_e32 8, v72
; %bb.188:                              ;   in Loop: Header=BB231_13 Depth=1
	s_delay_alu instid0(VALU_DEP_3) | instskip(NEXT) | instid1(VALU_DEP_1)
	v_clz_i32_u32_e32 v11, v28
	v_min_u32_e32 v11, 32, v11
	s_delay_alu instid0(VALU_DEP_1) | instskip(SKIP_1) | instid1(VALU_DEP_2)
	v_subrev_nc_u32_e32 v26, 28, v11
	v_sub_nc_u32_e32 v60, 29, v11
	v_lshlrev_b64 v[72:73], v26, v[28:29]
	s_delay_alu instid0(VALU_DEP_1)
	v_and_b32_e32 v28, 7, v72
; %bb.189:                              ;   in Loop: Header=BB231_13 Depth=1
	s_or_b32 exec_lo, exec_lo, s26
	v_lshlrev_b32_e32 v3, 16, v3
	s_delay_alu instid0(VALU_DEP_2) | instskip(SKIP_1) | instid1(VALU_DEP_3)
	v_lshlrev_b32_e32 v11, 20, v28
	v_lshl_add_u32 v26, v60, 23, 0x3c000000
	v_dual_mov_b32 v60, v29 :: v_dual_and_b32 v3, 0x80000000, v3
	s_delay_alu instid0(VALU_DEP_1)
	v_or3_b32 v61, v11, v3, v26
.LBB231_190:                            ;   in Loop: Header=BB231_13 Depth=1
	s_or_b32 exec_lo, exec_lo, s18
.LBB231_191:                            ;   in Loop: Header=BB231_13 Depth=1
	s_delay_alu instid0(SALU_CYCLE_1)
	s_or_b32 exec_lo, exec_lo, s25
.LBB231_192:                            ;   in Loop: Header=BB231_13 Depth=1
	s_delay_alu instid0(SALU_CYCLE_1) | instskip(SKIP_4) | instid1(VALU_DEP_1)
	s_or_b32 exec_lo, exec_lo, s24
	flat_load_u16 v3, v[114:115] offset:12
	v_mov_b32_e32 v72, 0
	v_mov_b32_e32 v73, 0
	s_mov_b32 s18, exec_lo
	v_dual_mov_b32 v75, v73 :: v_dual_mov_b32 v74, v72
	s_waitcnt vmcnt(0) lgkmcnt(0)
	v_and_b32_e32 v11, 0xff, v3
	v_and_b32_e32 v3, 0xffff, v3
	s_delay_alu instid0(VALU_DEP_2)
	v_cmpx_ne_u16_e32 0, v11
	s_cbranch_execz .LBB231_200
; %bb.193:                              ;   in Loop: Header=BB231_13 Depth=1
	v_bfrev_b32_e32 v74, 1
	s_delay_alu instid0(VALU_DEP_3) | instskip(SKIP_2) | instid1(VALU_DEP_2)
	v_and_b32_e32 v11, 0xff, v3
	v_mov_b32_e32 v75, 0
	s_mov_b32 s24, exec_lo
	v_cmpx_ne_u16_e32 0x80, v11
	s_cbranch_execz .LBB231_199
; %bb.194:                              ;   in Loop: Header=BB231_13 Depth=1
	v_mov_b32_e32 v74, 0x7f800001
	v_and_b32_e32 v11, 0x7f, v3
	v_mov_b32_e32 v75, 0
	s_mov_b32 s25, exec_lo
	s_delay_alu instid0(VALU_DEP_2)
	v_cmpx_ne_u32_e32 0x7f, v11
	s_cbranch_execz .LBB231_198
; %bb.195:                              ;   in Loop: Header=BB231_13 Depth=1
	v_and_b32_e32 v28, 7, v3
	v_lshrrev_b32_e32 v114, 3, v11
	s_mov_b32 s26, exec_lo
	v_cmpx_gt_u32_e32 8, v11
; %bb.196:                              ;   in Loop: Header=BB231_13 Depth=1
	s_delay_alu instid0(VALU_DEP_3) | instskip(NEXT) | instid1(VALU_DEP_1)
	v_clz_i32_u32_e32 v11, v28
	v_min_u32_e32 v11, 32, v11
	s_delay_alu instid0(VALU_DEP_1) | instskip(SKIP_1) | instid1(VALU_DEP_2)
	v_subrev_nc_u32_e32 v26, 28, v11
	v_sub_nc_u32_e32 v114, 29, v11
	v_lshlrev_b64 v[74:75], v26, v[28:29]
	s_delay_alu instid0(VALU_DEP_1)
	v_and_b32_e32 v28, 7, v74
; %bb.197:                              ;   in Loop: Header=BB231_13 Depth=1
	s_or_b32 exec_lo, exec_lo, s26
	v_lshlrev_b32_e32 v11, 24, v3
	s_delay_alu instid0(VALU_DEP_2) | instskip(SKIP_1) | instid1(VALU_DEP_3)
	v_lshlrev_b32_e32 v26, 20, v28
	v_lshl_add_u32 v27, v114, 23, 0x3c000000
	v_and_b32_e32 v11, 0x80000000, v11
	s_delay_alu instid0(VALU_DEP_1) | instskip(NEXT) | instid1(VALU_DEP_1)
	v_or3_b32 v28, v26, v11, v27
	v_dual_mov_b32 v75, v29 :: v_dual_mov_b32 v74, v28
.LBB231_198:                            ;   in Loop: Header=BB231_13 Depth=1
	s_or_b32 exec_lo, exec_lo, s25
.LBB231_199:                            ;   in Loop: Header=BB231_13 Depth=1
	s_delay_alu instid0(SALU_CYCLE_1)
	s_or_b32 exec_lo, exec_lo, s24
.LBB231_200:                            ;   in Loop: Header=BB231_13 Depth=1
	s_delay_alu instid0(SALU_CYCLE_1) | instskip(NEXT) | instid1(VALU_DEP_2)
	s_or_b32 exec_lo, exec_lo, s18
	v_lshrrev_b16 v28, 8, v3
	s_mov_b32 s24, exec_lo
	s_delay_alu instid0(VALU_DEP_1)
	v_cmpx_ne_u16_e32 0, v28
	s_cbranch_execz .LBB231_208
; %bb.201:                              ;   in Loop: Header=BB231_13 Depth=1
	v_dual_mov_b32 v73, s17 :: v_dual_mov_b32 v72, s16
	s_mov_b32 s25, exec_lo
	v_cmpx_ne_u16_e32 0x80, v28
	s_cbranch_execz .LBB231_207
; %bb.202:                              ;   in Loop: Header=BB231_13 Depth=1
	s_mov_b32 s18, s16
	v_and_b32_e32 v11, 0xffff, v28
	v_dual_mov_b32 v73, s19 :: v_dual_mov_b32 v72, s18
	s_mov_b32 s18, exec_lo
	s_delay_alu instid0(VALU_DEP_2) | instskip(NEXT) | instid1(VALU_DEP_1)
	v_and_b32_e32 v115, 0x7f, v11
	v_cmpx_ne_u32_e32 0x7f, v115
	s_cbranch_execz .LBB231_206
; %bb.203:                              ;   in Loop: Header=BB231_13 Depth=1
	v_and_b32_e32 v28, 7, v11
	v_lshrrev_b32_e32 v114, 3, v115
	s_mov_b32 s26, exec_lo
	v_cmpx_gt_u32_e32 8, v115
; %bb.204:                              ;   in Loop: Header=BB231_13 Depth=1
	s_delay_alu instid0(VALU_DEP_3) | instskip(NEXT) | instid1(VALU_DEP_1)
	v_clz_i32_u32_e32 v11, v28
	v_min_u32_e32 v11, 32, v11
	s_delay_alu instid0(VALU_DEP_1) | instskip(SKIP_1) | instid1(VALU_DEP_2)
	v_subrev_nc_u32_e32 v26, 28, v11
	v_sub_nc_u32_e32 v114, 29, v11
	v_lshlrev_b64 v[72:73], v26, v[28:29]
	s_delay_alu instid0(VALU_DEP_1)
	v_and_b32_e32 v28, 7, v72
; %bb.205:                              ;   in Loop: Header=BB231_13 Depth=1
	s_or_b32 exec_lo, exec_lo, s26
	v_dual_mov_b32 v72, v29 :: v_dual_lshlrev_b32 v3, 16, v3
	s_delay_alu instid0(VALU_DEP_2) | instskip(SKIP_1) | instid1(VALU_DEP_3)
	v_lshlrev_b32_e32 v11, 20, v28
	v_lshl_add_u32 v26, v114, 23, 0x3c000000
	v_and_b32_e32 v3, 0x80000000, v3
	s_delay_alu instid0(VALU_DEP_1)
	v_or3_b32 v73, v11, v3, v26
.LBB231_206:                            ;   in Loop: Header=BB231_13 Depth=1
	s_or_b32 exec_lo, exec_lo, s18
.LBB231_207:                            ;   in Loop: Header=BB231_13 Depth=1
	s_delay_alu instid0(SALU_CYCLE_1)
	s_or_b32 exec_lo, exec_lo, s25
.LBB231_208:                            ;   in Loop: Header=BB231_13 Depth=1
	s_delay_alu instid0(SALU_CYCLE_1) | instskip(SKIP_4) | instid1(VALU_DEP_1)
	s_or_b32 exec_lo, exec_lo, s24
	flat_load_u16 v3, v[150:151] offset:768
	v_mov_b32_e32 v76, 0
	v_mov_b32_e32 v77, 0
	s_mov_b32 s18, exec_lo
	v_dual_mov_b32 v79, v77 :: v_dual_mov_b32 v78, v76
	s_waitcnt vmcnt(0) lgkmcnt(0)
	v_and_b32_e32 v11, 0xff, v3
	v_and_b32_e32 v3, 0xffff, v3
	s_delay_alu instid0(VALU_DEP_2)
	v_cmpx_ne_u16_e32 0, v11
	s_cbranch_execz .LBB231_216
; %bb.209:                              ;   in Loop: Header=BB231_13 Depth=1
	v_bfrev_b32_e32 v78, 1
	s_delay_alu instid0(VALU_DEP_3) | instskip(SKIP_2) | instid1(VALU_DEP_2)
	v_and_b32_e32 v11, 0xff, v3
	v_mov_b32_e32 v79, 0
	s_mov_b32 s24, exec_lo
	v_cmpx_ne_u16_e32 0x80, v11
	s_cbranch_execz .LBB231_215
; %bb.210:                              ;   in Loop: Header=BB231_13 Depth=1
	v_mov_b32_e32 v78, 0x7f800001
	v_and_b32_e32 v11, 0x7f, v3
	v_mov_b32_e32 v79, 0
	s_mov_b32 s25, exec_lo
	s_delay_alu instid0(VALU_DEP_2)
	v_cmpx_ne_u32_e32 0x7f, v11
	s_cbranch_execz .LBB231_214
; %bb.211:                              ;   in Loop: Header=BB231_13 Depth=1
	v_and_b32_e32 v28, 7, v3
	v_lshrrev_b32_e32 v114, 3, v11
	s_mov_b32 s26, exec_lo
	v_cmpx_gt_u32_e32 8, v11
; %bb.212:                              ;   in Loop: Header=BB231_13 Depth=1
	s_delay_alu instid0(VALU_DEP_3) | instskip(NEXT) | instid1(VALU_DEP_1)
	v_clz_i32_u32_e32 v11, v28
	v_min_u32_e32 v11, 32, v11
	s_delay_alu instid0(VALU_DEP_1) | instskip(SKIP_1) | instid1(VALU_DEP_2)
	v_subrev_nc_u32_e32 v26, 28, v11
	v_sub_nc_u32_e32 v114, 29, v11
	v_lshlrev_b64 v[78:79], v26, v[28:29]
	s_delay_alu instid0(VALU_DEP_1)
	v_and_b32_e32 v28, 7, v78
; %bb.213:                              ;   in Loop: Header=BB231_13 Depth=1
	s_or_b32 exec_lo, exec_lo, s26
	v_lshlrev_b32_e32 v11, 24, v3
	s_delay_alu instid0(VALU_DEP_2) | instskip(SKIP_1) | instid1(VALU_DEP_3)
	v_lshlrev_b32_e32 v26, 20, v28
	v_lshl_add_u32 v27, v114, 23, 0x3c000000
	v_and_b32_e32 v11, 0x80000000, v11
	s_delay_alu instid0(VALU_DEP_1) | instskip(NEXT) | instid1(VALU_DEP_1)
	v_or3_b32 v28, v26, v11, v27
	v_dual_mov_b32 v79, v29 :: v_dual_mov_b32 v78, v28
.LBB231_214:                            ;   in Loop: Header=BB231_13 Depth=1
	s_or_b32 exec_lo, exec_lo, s25
.LBB231_215:                            ;   in Loop: Header=BB231_13 Depth=1
	s_delay_alu instid0(SALU_CYCLE_1)
	s_or_b32 exec_lo, exec_lo, s24
.LBB231_216:                            ;   in Loop: Header=BB231_13 Depth=1
	s_delay_alu instid0(SALU_CYCLE_1) | instskip(NEXT) | instid1(VALU_DEP_2)
	s_or_b32 exec_lo, exec_lo, s18
	v_lshrrev_b16 v28, 8, v3
	s_mov_b32 s24, exec_lo
	s_delay_alu instid0(VALU_DEP_1)
	v_cmpx_ne_u16_e32 0, v28
	s_cbranch_execz .LBB231_224
; %bb.217:                              ;   in Loop: Header=BB231_13 Depth=1
	v_dual_mov_b32 v77, s17 :: v_dual_mov_b32 v76, s16
	s_mov_b32 s25, exec_lo
	v_cmpx_ne_u16_e32 0x80, v28
	s_cbranch_execz .LBB231_223
; %bb.218:                              ;   in Loop: Header=BB231_13 Depth=1
	s_mov_b32 s18, s16
	v_and_b32_e32 v11, 0xffff, v28
	v_dual_mov_b32 v77, s19 :: v_dual_mov_b32 v76, s18
	s_mov_b32 s18, exec_lo
	s_delay_alu instid0(VALU_DEP_2) | instskip(NEXT) | instid1(VALU_DEP_1)
	v_and_b32_e32 v115, 0x7f, v11
	v_cmpx_ne_u32_e32 0x7f, v115
	s_cbranch_execz .LBB231_222
; %bb.219:                              ;   in Loop: Header=BB231_13 Depth=1
	v_and_b32_e32 v28, 7, v11
	v_lshrrev_b32_e32 v114, 3, v115
	s_mov_b32 s26, exec_lo
	v_cmpx_gt_u32_e32 8, v115
; %bb.220:                              ;   in Loop: Header=BB231_13 Depth=1
	s_delay_alu instid0(VALU_DEP_3) | instskip(NEXT) | instid1(VALU_DEP_1)
	v_clz_i32_u32_e32 v11, v28
	v_min_u32_e32 v11, 32, v11
	s_delay_alu instid0(VALU_DEP_1) | instskip(SKIP_1) | instid1(VALU_DEP_2)
	v_subrev_nc_u32_e32 v26, 28, v11
	v_sub_nc_u32_e32 v114, 29, v11
	v_lshlrev_b64 v[76:77], v26, v[28:29]
	s_delay_alu instid0(VALU_DEP_1)
	v_and_b32_e32 v28, 7, v76
; %bb.221:                              ;   in Loop: Header=BB231_13 Depth=1
	s_or_b32 exec_lo, exec_lo, s26
	v_dual_mov_b32 v76, v29 :: v_dual_lshlrev_b32 v3, 16, v3
	s_delay_alu instid0(VALU_DEP_2) | instskip(SKIP_1) | instid1(VALU_DEP_3)
	v_lshlrev_b32_e32 v11, 20, v28
	v_lshl_add_u32 v26, v114, 23, 0x3c000000
	v_and_b32_e32 v3, 0x80000000, v3
	s_delay_alu instid0(VALU_DEP_1)
	v_or3_b32 v77, v11, v3, v26
.LBB231_222:                            ;   in Loop: Header=BB231_13 Depth=1
	s_or_b32 exec_lo, exec_lo, s18
.LBB231_223:                            ;   in Loop: Header=BB231_13 Depth=1
	s_delay_alu instid0(SALU_CYCLE_1)
	s_or_b32 exec_lo, exec_lo, s25
.LBB231_224:                            ;   in Loop: Header=BB231_13 Depth=1
	s_delay_alu instid0(SALU_CYCLE_1) | instskip(SKIP_4) | instid1(VALU_DEP_1)
	s_or_b32 exec_lo, exec_lo, s24
	flat_load_u16 v3, v[150:151] offset:772
	v_mov_b32_e32 v88, 0
	v_mov_b32_e32 v89, 0
	s_mov_b32 s18, exec_lo
	v_dual_mov_b32 v91, v89 :: v_dual_mov_b32 v90, v88
	s_waitcnt vmcnt(0) lgkmcnt(0)
	v_and_b32_e32 v11, 0xff, v3
	v_and_b32_e32 v3, 0xffff, v3
	s_delay_alu instid0(VALU_DEP_2)
	v_cmpx_ne_u16_e32 0, v11
	s_cbranch_execz .LBB231_232
; %bb.225:                              ;   in Loop: Header=BB231_13 Depth=1
	v_bfrev_b32_e32 v90, 1
	s_delay_alu instid0(VALU_DEP_3) | instskip(SKIP_2) | instid1(VALU_DEP_2)
	v_and_b32_e32 v11, 0xff, v3
	v_mov_b32_e32 v91, 0
	s_mov_b32 s24, exec_lo
	v_cmpx_ne_u16_e32 0x80, v11
	s_cbranch_execz .LBB231_231
; %bb.226:                              ;   in Loop: Header=BB231_13 Depth=1
	v_mov_b32_e32 v90, 0x7f800001
	v_and_b32_e32 v11, 0x7f, v3
	v_mov_b32_e32 v91, 0
	s_mov_b32 s25, exec_lo
	s_delay_alu instid0(VALU_DEP_2)
	v_cmpx_ne_u32_e32 0x7f, v11
	s_cbranch_execz .LBB231_230
; %bb.227:                              ;   in Loop: Header=BB231_13 Depth=1
	v_and_b32_e32 v28, 7, v3
	v_lshrrev_b32_e32 v114, 3, v11
	s_mov_b32 s26, exec_lo
	v_cmpx_gt_u32_e32 8, v11
; %bb.228:                              ;   in Loop: Header=BB231_13 Depth=1
	s_delay_alu instid0(VALU_DEP_3) | instskip(NEXT) | instid1(VALU_DEP_1)
	v_clz_i32_u32_e32 v11, v28
	v_min_u32_e32 v11, 32, v11
	s_delay_alu instid0(VALU_DEP_1) | instskip(SKIP_1) | instid1(VALU_DEP_2)
	v_subrev_nc_u32_e32 v26, 28, v11
	v_sub_nc_u32_e32 v114, 29, v11
	v_lshlrev_b64 v[90:91], v26, v[28:29]
	s_delay_alu instid0(VALU_DEP_1)
	v_and_b32_e32 v28, 7, v90
; %bb.229:                              ;   in Loop: Header=BB231_13 Depth=1
	s_or_b32 exec_lo, exec_lo, s26
	v_lshlrev_b32_e32 v11, 24, v3
	s_delay_alu instid0(VALU_DEP_2) | instskip(SKIP_1) | instid1(VALU_DEP_3)
	v_lshlrev_b32_e32 v26, 20, v28
	v_lshl_add_u32 v27, v114, 23, 0x3c000000
	v_and_b32_e32 v11, 0x80000000, v11
	s_delay_alu instid0(VALU_DEP_1) | instskip(NEXT) | instid1(VALU_DEP_1)
	v_or3_b32 v28, v26, v11, v27
	v_dual_mov_b32 v91, v29 :: v_dual_mov_b32 v90, v28
.LBB231_230:                            ;   in Loop: Header=BB231_13 Depth=1
	s_or_b32 exec_lo, exec_lo, s25
.LBB231_231:                            ;   in Loop: Header=BB231_13 Depth=1
	s_delay_alu instid0(SALU_CYCLE_1)
	s_or_b32 exec_lo, exec_lo, s24
.LBB231_232:                            ;   in Loop: Header=BB231_13 Depth=1
	s_delay_alu instid0(SALU_CYCLE_1) | instskip(NEXT) | instid1(VALU_DEP_2)
	s_or_b32 exec_lo, exec_lo, s18
	v_lshrrev_b16 v28, 8, v3
	s_mov_b32 s24, exec_lo
	s_delay_alu instid0(VALU_DEP_1)
	v_cmpx_ne_u16_e32 0, v28
	s_cbranch_execz .LBB231_240
; %bb.233:                              ;   in Loop: Header=BB231_13 Depth=1
	v_dual_mov_b32 v89, s17 :: v_dual_mov_b32 v88, s16
	s_mov_b32 s25, exec_lo
	v_cmpx_ne_u16_e32 0x80, v28
	s_cbranch_execz .LBB231_239
; %bb.234:                              ;   in Loop: Header=BB231_13 Depth=1
	s_mov_b32 s18, s16
	v_and_b32_e32 v11, 0xffff, v28
	v_dual_mov_b32 v89, s19 :: v_dual_mov_b32 v88, s18
	s_mov_b32 s18, exec_lo
	s_delay_alu instid0(VALU_DEP_2) | instskip(NEXT) | instid1(VALU_DEP_1)
	v_and_b32_e32 v115, 0x7f, v11
	v_cmpx_ne_u32_e32 0x7f, v115
	s_cbranch_execz .LBB231_238
; %bb.235:                              ;   in Loop: Header=BB231_13 Depth=1
	v_and_b32_e32 v28, 7, v11
	v_lshrrev_b32_e32 v114, 3, v115
	s_mov_b32 s26, exec_lo
	v_cmpx_gt_u32_e32 8, v115
; %bb.236:                              ;   in Loop: Header=BB231_13 Depth=1
	s_delay_alu instid0(VALU_DEP_3) | instskip(NEXT) | instid1(VALU_DEP_1)
	v_clz_i32_u32_e32 v11, v28
	v_min_u32_e32 v11, 32, v11
	s_delay_alu instid0(VALU_DEP_1) | instskip(SKIP_1) | instid1(VALU_DEP_2)
	v_subrev_nc_u32_e32 v26, 28, v11
	v_sub_nc_u32_e32 v114, 29, v11
	v_lshlrev_b64 v[88:89], v26, v[28:29]
	s_delay_alu instid0(VALU_DEP_1)
	v_and_b32_e32 v28, 7, v88
; %bb.237:                              ;   in Loop: Header=BB231_13 Depth=1
	s_or_b32 exec_lo, exec_lo, s26
	v_dual_mov_b32 v88, v29 :: v_dual_lshlrev_b32 v3, 16, v3
	s_delay_alu instid0(VALU_DEP_2) | instskip(SKIP_1) | instid1(VALU_DEP_3)
	v_lshlrev_b32_e32 v11, 20, v28
	v_lshl_add_u32 v26, v114, 23, 0x3c000000
	v_and_b32_e32 v3, 0x80000000, v3
	s_delay_alu instid0(VALU_DEP_1)
	v_or3_b32 v89, v11, v3, v26
.LBB231_238:                            ;   in Loop: Header=BB231_13 Depth=1
	s_or_b32 exec_lo, exec_lo, s18
.LBB231_239:                            ;   in Loop: Header=BB231_13 Depth=1
	s_delay_alu instid0(SALU_CYCLE_1)
	s_or_b32 exec_lo, exec_lo, s25
.LBB231_240:                            ;   in Loop: Header=BB231_13 Depth=1
	s_delay_alu instid0(SALU_CYCLE_1) | instskip(SKIP_1) | instid1(VALU_DEP_1)
	s_or_b32 exec_lo, exec_lo, s24
	v_add_co_u32 v114, s2, 0x300, v150
	v_add_co_ci_u32_e64 v115, s2, 0, v151, s2
	s_mov_b32 s18, exec_lo
	flat_load_u16 v3, v[114:115] offset:8
	v_mov_b32_e32 v92, 0
	v_mov_b32_e32 v93, 0
	s_delay_alu instid0(VALU_DEP_1) | instskip(SKIP_3) | instid1(VALU_DEP_2)
	v_dual_mov_b32 v95, v93 :: v_dual_mov_b32 v94, v92
	s_waitcnt vmcnt(0) lgkmcnt(0)
	v_and_b32_e32 v11, 0xff, v3
	v_and_b32_e32 v3, 0xffff, v3
	v_cmpx_ne_u16_e32 0, v11
	s_cbranch_execz .LBB231_248
; %bb.241:                              ;   in Loop: Header=BB231_13 Depth=1
	v_bfrev_b32_e32 v94, 1
	s_delay_alu instid0(VALU_DEP_3) | instskip(SKIP_2) | instid1(VALU_DEP_2)
	v_and_b32_e32 v11, 0xff, v3
	v_mov_b32_e32 v95, 0
	s_mov_b32 s24, exec_lo
	v_cmpx_ne_u16_e32 0x80, v11
	s_cbranch_execz .LBB231_247
; %bb.242:                              ;   in Loop: Header=BB231_13 Depth=1
	v_mov_b32_e32 v94, 0x7f800001
	v_and_b32_e32 v11, 0x7f, v3
	v_mov_b32_e32 v95, 0
	s_mov_b32 s25, exec_lo
	s_delay_alu instid0(VALU_DEP_2)
	v_cmpx_ne_u32_e32 0x7f, v11
	s_cbranch_execz .LBB231_246
; %bb.243:                              ;   in Loop: Header=BB231_13 Depth=1
	v_and_b32_e32 v28, 7, v3
	v_lshrrev_b32_e32 v94, 3, v11
	s_mov_b32 s26, exec_lo
	v_cmpx_gt_u32_e32 8, v11
; %bb.244:                              ;   in Loop: Header=BB231_13 Depth=1
	s_delay_alu instid0(VALU_DEP_3) | instskip(NEXT) | instid1(VALU_DEP_1)
	v_clz_i32_u32_e32 v11, v28
	v_min_u32_e32 v11, 32, v11
	s_delay_alu instid0(VALU_DEP_1) | instskip(SKIP_1) | instid1(VALU_DEP_2)
	v_subrev_nc_u32_e32 v26, 28, v11
	v_sub_nc_u32_e32 v94, 29, v11
	v_lshlrev_b64 v[104:105], v26, v[28:29]
	s_delay_alu instid0(VALU_DEP_1)
	v_and_b32_e32 v28, 7, v104
; %bb.245:                              ;   in Loop: Header=BB231_13 Depth=1
	s_or_b32 exec_lo, exec_lo, s26
	v_lshlrev_b32_e32 v11, 24, v3
	s_delay_alu instid0(VALU_DEP_2) | instskip(SKIP_1) | instid1(VALU_DEP_3)
	v_lshlrev_b32_e32 v26, 20, v28
	v_lshl_add_u32 v27, v94, 23, 0x3c000000
	v_and_b32_e32 v11, 0x80000000, v11
	s_delay_alu instid0(VALU_DEP_1) | instskip(NEXT) | instid1(VALU_DEP_1)
	v_or3_b32 v28, v26, v11, v27
	v_dual_mov_b32 v95, v29 :: v_dual_mov_b32 v94, v28
.LBB231_246:                            ;   in Loop: Header=BB231_13 Depth=1
	s_or_b32 exec_lo, exec_lo, s25
.LBB231_247:                            ;   in Loop: Header=BB231_13 Depth=1
	s_delay_alu instid0(SALU_CYCLE_1)
	s_or_b32 exec_lo, exec_lo, s24
.LBB231_248:                            ;   in Loop: Header=BB231_13 Depth=1
	s_delay_alu instid0(SALU_CYCLE_1) | instskip(NEXT) | instid1(VALU_DEP_2)
	s_or_b32 exec_lo, exec_lo, s18
	v_lshrrev_b16 v28, 8, v3
	s_mov_b32 s24, exec_lo
	s_delay_alu instid0(VALU_DEP_1)
	v_cmpx_ne_u16_e32 0, v28
	s_cbranch_execz .LBB231_256
; %bb.249:                              ;   in Loop: Header=BB231_13 Depth=1
	v_dual_mov_b32 v93, s17 :: v_dual_mov_b32 v92, s16
	s_mov_b32 s25, exec_lo
	v_cmpx_ne_u16_e32 0x80, v28
	s_cbranch_execz .LBB231_255
; %bb.250:                              ;   in Loop: Header=BB231_13 Depth=1
	s_mov_b32 s18, s16
	v_and_b32_e32 v11, 0xffff, v28
	v_dual_mov_b32 v93, s19 :: v_dual_mov_b32 v92, s18
	s_mov_b32 s18, exec_lo
	s_delay_alu instid0(VALU_DEP_2) | instskip(NEXT) | instid1(VALU_DEP_1)
	v_and_b32_e32 v104, 0x7f, v11
	v_cmpx_ne_u32_e32 0x7f, v104
	s_cbranch_execz .LBB231_254
; %bb.251:                              ;   in Loop: Header=BB231_13 Depth=1
	v_and_b32_e32 v28, 7, v11
	v_lshrrev_b32_e32 v92, 3, v104
	s_mov_b32 s26, exec_lo
	v_cmpx_gt_u32_e32 8, v104
; %bb.252:                              ;   in Loop: Header=BB231_13 Depth=1
	s_delay_alu instid0(VALU_DEP_3) | instskip(NEXT) | instid1(VALU_DEP_1)
	v_clz_i32_u32_e32 v11, v28
	v_min_u32_e32 v11, 32, v11
	s_delay_alu instid0(VALU_DEP_1) | instskip(SKIP_1) | instid1(VALU_DEP_2)
	v_subrev_nc_u32_e32 v26, 28, v11
	v_sub_nc_u32_e32 v92, 29, v11
	v_lshlrev_b64 v[104:105], v26, v[28:29]
	s_delay_alu instid0(VALU_DEP_1)
	v_and_b32_e32 v28, 7, v104
; %bb.253:                              ;   in Loop: Header=BB231_13 Depth=1
	s_or_b32 exec_lo, exec_lo, s26
	v_lshlrev_b32_e32 v3, 16, v3
	s_delay_alu instid0(VALU_DEP_2) | instskip(SKIP_1) | instid1(VALU_DEP_3)
	v_lshlrev_b32_e32 v11, 20, v28
	v_lshl_add_u32 v26, v92, 23, 0x3c000000
	v_dual_mov_b32 v92, v29 :: v_dual_and_b32 v3, 0x80000000, v3
	s_delay_alu instid0(VALU_DEP_1)
	v_or3_b32 v93, v11, v3, v26
.LBB231_254:                            ;   in Loop: Header=BB231_13 Depth=1
	s_or_b32 exec_lo, exec_lo, s18
.LBB231_255:                            ;   in Loop: Header=BB231_13 Depth=1
	s_delay_alu instid0(SALU_CYCLE_1)
	s_or_b32 exec_lo, exec_lo, s25
.LBB231_256:                            ;   in Loop: Header=BB231_13 Depth=1
	s_delay_alu instid0(SALU_CYCLE_1) | instskip(SKIP_4) | instid1(VALU_DEP_1)
	s_or_b32 exec_lo, exec_lo, s24
	flat_load_u16 v3, v[114:115] offset:12
	v_mov_b32_e32 v104, 0
	v_mov_b32_e32 v105, 0
	s_mov_b32 s18, exec_lo
	v_dual_mov_b32 v107, v105 :: v_dual_mov_b32 v106, v104
	s_waitcnt vmcnt(0) lgkmcnt(0)
	v_and_b32_e32 v11, 0xff, v3
	v_and_b32_e32 v3, 0xffff, v3
	s_delay_alu instid0(VALU_DEP_2)
	v_cmpx_ne_u16_e32 0, v11
	s_cbranch_execz .LBB231_264
; %bb.257:                              ;   in Loop: Header=BB231_13 Depth=1
	v_bfrev_b32_e32 v106, 1
	s_delay_alu instid0(VALU_DEP_3) | instskip(SKIP_2) | instid1(VALU_DEP_2)
	v_and_b32_e32 v11, 0xff, v3
	v_mov_b32_e32 v107, 0
	s_mov_b32 s24, exec_lo
	v_cmpx_ne_u16_e32 0x80, v11
	s_cbranch_execz .LBB231_263
; %bb.258:                              ;   in Loop: Header=BB231_13 Depth=1
	v_mov_b32_e32 v106, 0x7f800001
	v_and_b32_e32 v11, 0x7f, v3
	v_mov_b32_e32 v107, 0
	s_mov_b32 s25, exec_lo
	s_delay_alu instid0(VALU_DEP_2)
	v_cmpx_ne_u32_e32 0x7f, v11
	s_cbranch_execz .LBB231_262
; %bb.259:                              ;   in Loop: Header=BB231_13 Depth=1
	v_and_b32_e32 v28, 7, v3
	v_lshrrev_b32_e32 v114, 3, v11
	s_mov_b32 s26, exec_lo
	v_cmpx_gt_u32_e32 8, v11
; %bb.260:                              ;   in Loop: Header=BB231_13 Depth=1
	s_delay_alu instid0(VALU_DEP_3) | instskip(NEXT) | instid1(VALU_DEP_1)
	v_clz_i32_u32_e32 v11, v28
	v_min_u32_e32 v11, 32, v11
	s_delay_alu instid0(VALU_DEP_1) | instskip(SKIP_1) | instid1(VALU_DEP_2)
	v_subrev_nc_u32_e32 v26, 28, v11
	v_sub_nc_u32_e32 v114, 29, v11
	v_lshlrev_b64 v[106:107], v26, v[28:29]
	s_delay_alu instid0(VALU_DEP_1)
	v_and_b32_e32 v28, 7, v106
; %bb.261:                              ;   in Loop: Header=BB231_13 Depth=1
	s_or_b32 exec_lo, exec_lo, s26
	v_lshlrev_b32_e32 v11, 24, v3
	s_delay_alu instid0(VALU_DEP_2) | instskip(SKIP_1) | instid1(VALU_DEP_3)
	v_lshlrev_b32_e32 v26, 20, v28
	v_lshl_add_u32 v27, v114, 23, 0x3c000000
	v_and_b32_e32 v11, 0x80000000, v11
	s_delay_alu instid0(VALU_DEP_1) | instskip(NEXT) | instid1(VALU_DEP_1)
	v_or3_b32 v28, v26, v11, v27
	v_dual_mov_b32 v107, v29 :: v_dual_mov_b32 v106, v28
.LBB231_262:                            ;   in Loop: Header=BB231_13 Depth=1
	s_or_b32 exec_lo, exec_lo, s25
.LBB231_263:                            ;   in Loop: Header=BB231_13 Depth=1
	s_delay_alu instid0(SALU_CYCLE_1)
	s_or_b32 exec_lo, exec_lo, s24
.LBB231_264:                            ;   in Loop: Header=BB231_13 Depth=1
	s_delay_alu instid0(SALU_CYCLE_1) | instskip(NEXT) | instid1(VALU_DEP_2)
	s_or_b32 exec_lo, exec_lo, s18
	v_lshrrev_b16 v28, 8, v3
	s_mov_b32 s24, exec_lo
	s_delay_alu instid0(VALU_DEP_1)
	v_cmpx_ne_u16_e32 0, v28
	s_cbranch_execz .LBB231_272
; %bb.265:                              ;   in Loop: Header=BB231_13 Depth=1
	v_dual_mov_b32 v105, s17 :: v_dual_mov_b32 v104, s16
	s_mov_b32 s25, exec_lo
	v_cmpx_ne_u16_e32 0x80, v28
	s_cbranch_execz .LBB231_271
; %bb.266:                              ;   in Loop: Header=BB231_13 Depth=1
	s_mov_b32 s18, s16
	v_and_b32_e32 v11, 0xffff, v28
	v_dual_mov_b32 v105, s19 :: v_dual_mov_b32 v104, s18
	s_mov_b32 s18, exec_lo
	s_delay_alu instid0(VALU_DEP_2) | instskip(NEXT) | instid1(VALU_DEP_1)
	v_and_b32_e32 v115, 0x7f, v11
	v_cmpx_ne_u32_e32 0x7f, v115
	s_cbranch_execz .LBB231_270
; %bb.267:                              ;   in Loop: Header=BB231_13 Depth=1
	v_and_b32_e32 v28, 7, v11
	v_lshrrev_b32_e32 v114, 3, v115
	s_mov_b32 s26, exec_lo
	v_cmpx_gt_u32_e32 8, v115
; %bb.268:                              ;   in Loop: Header=BB231_13 Depth=1
	s_delay_alu instid0(VALU_DEP_3) | instskip(NEXT) | instid1(VALU_DEP_1)
	v_clz_i32_u32_e32 v11, v28
	v_min_u32_e32 v11, 32, v11
	s_delay_alu instid0(VALU_DEP_1) | instskip(SKIP_1) | instid1(VALU_DEP_2)
	v_subrev_nc_u32_e32 v26, 28, v11
	v_sub_nc_u32_e32 v114, 29, v11
	v_lshlrev_b64 v[104:105], v26, v[28:29]
	s_delay_alu instid0(VALU_DEP_1)
	v_and_b32_e32 v28, 7, v104
; %bb.269:                              ;   in Loop: Header=BB231_13 Depth=1
	s_or_b32 exec_lo, exec_lo, s26
	v_dual_mov_b32 v104, v29 :: v_dual_lshlrev_b32 v3, 16, v3
	s_delay_alu instid0(VALU_DEP_2) | instskip(SKIP_1) | instid1(VALU_DEP_3)
	v_lshlrev_b32_e32 v11, 20, v28
	v_lshl_add_u32 v26, v114, 23, 0x3c000000
	v_and_b32_e32 v3, 0x80000000, v3
	s_delay_alu instid0(VALU_DEP_1)
	v_or3_b32 v105, v11, v3, v26
.LBB231_270:                            ;   in Loop: Header=BB231_13 Depth=1
	s_or_b32 exec_lo, exec_lo, s18
.LBB231_271:                            ;   in Loop: Header=BB231_13 Depth=1
	s_delay_alu instid0(SALU_CYCLE_1)
	s_or_b32 exec_lo, exec_lo, s25
.LBB231_272:                            ;   in Loop: Header=BB231_13 Depth=1
	s_delay_alu instid0(SALU_CYCLE_1) | instskip(SKIP_4) | instid1(VALU_DEP_1)
	s_or_b32 exec_lo, exec_lo, s24
	flat_load_u16 v3, v[150:151] offset:1024
	v_mov_b32_e32 v108, 0
	v_mov_b32_e32 v109, 0
	s_mov_b32 s18, exec_lo
	v_dual_mov_b32 v111, v109 :: v_dual_mov_b32 v110, v108
	s_waitcnt vmcnt(0) lgkmcnt(0)
	v_and_b32_e32 v11, 0xff, v3
	v_and_b32_e32 v3, 0xffff, v3
	s_delay_alu instid0(VALU_DEP_2)
	v_cmpx_ne_u16_e32 0, v11
	s_cbranch_execz .LBB231_280
; %bb.273:                              ;   in Loop: Header=BB231_13 Depth=1
	v_bfrev_b32_e32 v110, 1
	s_delay_alu instid0(VALU_DEP_3) | instskip(SKIP_2) | instid1(VALU_DEP_2)
	v_and_b32_e32 v11, 0xff, v3
	v_mov_b32_e32 v111, 0
	s_mov_b32 s24, exec_lo
	v_cmpx_ne_u16_e32 0x80, v11
	s_cbranch_execz .LBB231_279
; %bb.274:                              ;   in Loop: Header=BB231_13 Depth=1
	v_mov_b32_e32 v110, 0x7f800001
	v_and_b32_e32 v11, 0x7f, v3
	v_mov_b32_e32 v111, 0
	s_mov_b32 s25, exec_lo
	s_delay_alu instid0(VALU_DEP_2)
	v_cmpx_ne_u32_e32 0x7f, v11
	s_cbranch_execz .LBB231_278
; %bb.275:                              ;   in Loop: Header=BB231_13 Depth=1
	v_and_b32_e32 v28, 7, v3
	v_lshrrev_b32_e32 v114, 3, v11
	s_mov_b32 s26, exec_lo
	v_cmpx_gt_u32_e32 8, v11
; %bb.276:                              ;   in Loop: Header=BB231_13 Depth=1
	s_delay_alu instid0(VALU_DEP_3) | instskip(NEXT) | instid1(VALU_DEP_1)
	v_clz_i32_u32_e32 v11, v28
	v_min_u32_e32 v11, 32, v11
	s_delay_alu instid0(VALU_DEP_1) | instskip(SKIP_1) | instid1(VALU_DEP_2)
	v_subrev_nc_u32_e32 v26, 28, v11
	v_sub_nc_u32_e32 v114, 29, v11
	v_lshlrev_b64 v[110:111], v26, v[28:29]
	s_delay_alu instid0(VALU_DEP_1)
	v_and_b32_e32 v28, 7, v110
; %bb.277:                              ;   in Loop: Header=BB231_13 Depth=1
	s_or_b32 exec_lo, exec_lo, s26
	v_lshlrev_b32_e32 v11, 24, v3
	s_delay_alu instid0(VALU_DEP_2) | instskip(SKIP_1) | instid1(VALU_DEP_3)
	v_lshlrev_b32_e32 v26, 20, v28
	v_lshl_add_u32 v27, v114, 23, 0x3c000000
	v_and_b32_e32 v11, 0x80000000, v11
	s_delay_alu instid0(VALU_DEP_1) | instskip(NEXT) | instid1(VALU_DEP_1)
	v_or3_b32 v28, v26, v11, v27
	v_dual_mov_b32 v111, v29 :: v_dual_mov_b32 v110, v28
.LBB231_278:                            ;   in Loop: Header=BB231_13 Depth=1
	s_or_b32 exec_lo, exec_lo, s25
.LBB231_279:                            ;   in Loop: Header=BB231_13 Depth=1
	s_delay_alu instid0(SALU_CYCLE_1)
	s_or_b32 exec_lo, exec_lo, s24
.LBB231_280:                            ;   in Loop: Header=BB231_13 Depth=1
	s_delay_alu instid0(SALU_CYCLE_1) | instskip(NEXT) | instid1(VALU_DEP_2)
	s_or_b32 exec_lo, exec_lo, s18
	v_lshrrev_b16 v28, 8, v3
	s_mov_b32 s24, exec_lo
	s_delay_alu instid0(VALU_DEP_1)
	v_cmpx_ne_u16_e32 0, v28
	s_cbranch_execz .LBB231_288
; %bb.281:                              ;   in Loop: Header=BB231_13 Depth=1
	v_dual_mov_b32 v109, s17 :: v_dual_mov_b32 v108, s16
	s_mov_b32 s25, exec_lo
	v_cmpx_ne_u16_e32 0x80, v28
	s_cbranch_execz .LBB231_287
; %bb.282:                              ;   in Loop: Header=BB231_13 Depth=1
	s_mov_b32 s18, s16
	v_and_b32_e32 v11, 0xffff, v28
	v_dual_mov_b32 v109, s19 :: v_dual_mov_b32 v108, s18
	s_mov_b32 s18, exec_lo
	s_delay_alu instid0(VALU_DEP_2) | instskip(NEXT) | instid1(VALU_DEP_1)
	v_and_b32_e32 v115, 0x7f, v11
	v_cmpx_ne_u32_e32 0x7f, v115
	s_cbranch_execz .LBB231_286
; %bb.283:                              ;   in Loop: Header=BB231_13 Depth=1
	v_and_b32_e32 v28, 7, v11
	v_lshrrev_b32_e32 v114, 3, v115
	s_mov_b32 s26, exec_lo
	v_cmpx_gt_u32_e32 8, v115
; %bb.284:                              ;   in Loop: Header=BB231_13 Depth=1
	s_delay_alu instid0(VALU_DEP_3) | instskip(NEXT) | instid1(VALU_DEP_1)
	v_clz_i32_u32_e32 v11, v28
	v_min_u32_e32 v11, 32, v11
	s_delay_alu instid0(VALU_DEP_1) | instskip(SKIP_1) | instid1(VALU_DEP_2)
	v_subrev_nc_u32_e32 v26, 28, v11
	v_sub_nc_u32_e32 v114, 29, v11
	v_lshlrev_b64 v[108:109], v26, v[28:29]
	s_delay_alu instid0(VALU_DEP_1)
	v_and_b32_e32 v28, 7, v108
; %bb.285:                              ;   in Loop: Header=BB231_13 Depth=1
	s_or_b32 exec_lo, exec_lo, s26
	v_dual_mov_b32 v108, v29 :: v_dual_lshlrev_b32 v3, 16, v3
	s_delay_alu instid0(VALU_DEP_2) | instskip(SKIP_1) | instid1(VALU_DEP_3)
	v_lshlrev_b32_e32 v11, 20, v28
	v_lshl_add_u32 v26, v114, 23, 0x3c000000
	v_and_b32_e32 v3, 0x80000000, v3
	s_delay_alu instid0(VALU_DEP_1)
	v_or3_b32 v109, v11, v3, v26
.LBB231_286:                            ;   in Loop: Header=BB231_13 Depth=1
	s_or_b32 exec_lo, exec_lo, s18
.LBB231_287:                            ;   in Loop: Header=BB231_13 Depth=1
	s_delay_alu instid0(SALU_CYCLE_1)
	s_or_b32 exec_lo, exec_lo, s25
.LBB231_288:                            ;   in Loop: Header=BB231_13 Depth=1
	s_delay_alu instid0(SALU_CYCLE_1) | instskip(SKIP_4) | instid1(VALU_DEP_1)
	s_or_b32 exec_lo, exec_lo, s24
	flat_load_u16 v3, v[150:151] offset:1028
	v_mov_b32_e32 v120, 0
	v_mov_b32_e32 v121, 0
	s_mov_b32 s18, exec_lo
	v_dual_mov_b32 v123, v121 :: v_dual_mov_b32 v122, v120
	s_waitcnt vmcnt(0) lgkmcnt(0)
	v_and_b32_e32 v11, 0xff, v3
	v_and_b32_e32 v3, 0xffff, v3
	s_delay_alu instid0(VALU_DEP_2)
	v_cmpx_ne_u16_e32 0, v11
	s_cbranch_execz .LBB231_296
; %bb.289:                              ;   in Loop: Header=BB231_13 Depth=1
	v_bfrev_b32_e32 v122, 1
	s_delay_alu instid0(VALU_DEP_3) | instskip(SKIP_2) | instid1(VALU_DEP_2)
	v_and_b32_e32 v11, 0xff, v3
	v_mov_b32_e32 v123, 0
	s_mov_b32 s24, exec_lo
	v_cmpx_ne_u16_e32 0x80, v11
	s_cbranch_execz .LBB231_295
; %bb.290:                              ;   in Loop: Header=BB231_13 Depth=1
	v_mov_b32_e32 v122, 0x7f800001
	v_and_b32_e32 v11, 0x7f, v3
	v_mov_b32_e32 v123, 0
	s_mov_b32 s25, exec_lo
	s_delay_alu instid0(VALU_DEP_2)
	v_cmpx_ne_u32_e32 0x7f, v11
	s_cbranch_execz .LBB231_294
; %bb.291:                              ;   in Loop: Header=BB231_13 Depth=1
	v_and_b32_e32 v28, 7, v3
	v_lshrrev_b32_e32 v114, 3, v11
	s_mov_b32 s26, exec_lo
	v_cmpx_gt_u32_e32 8, v11
; %bb.292:                              ;   in Loop: Header=BB231_13 Depth=1
	s_delay_alu instid0(VALU_DEP_3) | instskip(NEXT) | instid1(VALU_DEP_1)
	v_clz_i32_u32_e32 v11, v28
	v_min_u32_e32 v11, 32, v11
	s_delay_alu instid0(VALU_DEP_1) | instskip(SKIP_1) | instid1(VALU_DEP_2)
	v_subrev_nc_u32_e32 v26, 28, v11
	v_sub_nc_u32_e32 v114, 29, v11
	v_lshlrev_b64 v[122:123], v26, v[28:29]
	s_delay_alu instid0(VALU_DEP_1)
	v_and_b32_e32 v28, 7, v122
; %bb.293:                              ;   in Loop: Header=BB231_13 Depth=1
	s_or_b32 exec_lo, exec_lo, s26
	v_lshlrev_b32_e32 v11, 24, v3
	s_delay_alu instid0(VALU_DEP_2) | instskip(SKIP_1) | instid1(VALU_DEP_3)
	v_lshlrev_b32_e32 v26, 20, v28
	v_lshl_add_u32 v27, v114, 23, 0x3c000000
	v_and_b32_e32 v11, 0x80000000, v11
	s_delay_alu instid0(VALU_DEP_1) | instskip(NEXT) | instid1(VALU_DEP_1)
	v_or3_b32 v28, v26, v11, v27
	v_dual_mov_b32 v123, v29 :: v_dual_mov_b32 v122, v28
.LBB231_294:                            ;   in Loop: Header=BB231_13 Depth=1
	s_or_b32 exec_lo, exec_lo, s25
.LBB231_295:                            ;   in Loop: Header=BB231_13 Depth=1
	s_delay_alu instid0(SALU_CYCLE_1)
	s_or_b32 exec_lo, exec_lo, s24
.LBB231_296:                            ;   in Loop: Header=BB231_13 Depth=1
	s_delay_alu instid0(SALU_CYCLE_1) | instskip(NEXT) | instid1(VALU_DEP_2)
	s_or_b32 exec_lo, exec_lo, s18
	v_lshrrev_b16 v28, 8, v3
	s_mov_b32 s24, exec_lo
	s_delay_alu instid0(VALU_DEP_1)
	v_cmpx_ne_u16_e32 0, v28
	s_cbranch_execz .LBB231_304
; %bb.297:                              ;   in Loop: Header=BB231_13 Depth=1
	v_dual_mov_b32 v121, s17 :: v_dual_mov_b32 v120, s16
	s_mov_b32 s25, exec_lo
	v_cmpx_ne_u16_e32 0x80, v28
	s_cbranch_execz .LBB231_303
; %bb.298:                              ;   in Loop: Header=BB231_13 Depth=1
	s_mov_b32 s18, s16
	v_and_b32_e32 v11, 0xffff, v28
	v_dual_mov_b32 v121, s19 :: v_dual_mov_b32 v120, s18
	s_mov_b32 s18, exec_lo
	s_delay_alu instid0(VALU_DEP_2) | instskip(NEXT) | instid1(VALU_DEP_1)
	v_and_b32_e32 v115, 0x7f, v11
	v_cmpx_ne_u32_e32 0x7f, v115
	s_cbranch_execz .LBB231_302
; %bb.299:                              ;   in Loop: Header=BB231_13 Depth=1
	v_and_b32_e32 v28, 7, v11
	v_lshrrev_b32_e32 v114, 3, v115
	s_mov_b32 s26, exec_lo
	v_cmpx_gt_u32_e32 8, v115
; %bb.300:                              ;   in Loop: Header=BB231_13 Depth=1
	s_delay_alu instid0(VALU_DEP_3) | instskip(NEXT) | instid1(VALU_DEP_1)
	v_clz_i32_u32_e32 v11, v28
	v_min_u32_e32 v11, 32, v11
	s_delay_alu instid0(VALU_DEP_1) | instskip(SKIP_1) | instid1(VALU_DEP_2)
	v_subrev_nc_u32_e32 v26, 28, v11
	v_sub_nc_u32_e32 v114, 29, v11
	v_lshlrev_b64 v[120:121], v26, v[28:29]
	s_delay_alu instid0(VALU_DEP_1)
	v_and_b32_e32 v28, 7, v120
; %bb.301:                              ;   in Loop: Header=BB231_13 Depth=1
	s_or_b32 exec_lo, exec_lo, s26
	v_dual_mov_b32 v120, v29 :: v_dual_lshlrev_b32 v3, 16, v3
	s_delay_alu instid0(VALU_DEP_2) | instskip(SKIP_1) | instid1(VALU_DEP_3)
	v_lshlrev_b32_e32 v11, 20, v28
	v_lshl_add_u32 v26, v114, 23, 0x3c000000
	v_and_b32_e32 v3, 0x80000000, v3
	s_delay_alu instid0(VALU_DEP_1)
	v_or3_b32 v121, v11, v3, v26
.LBB231_302:                            ;   in Loop: Header=BB231_13 Depth=1
	s_or_b32 exec_lo, exec_lo, s18
.LBB231_303:                            ;   in Loop: Header=BB231_13 Depth=1
	s_delay_alu instid0(SALU_CYCLE_1)
	s_or_b32 exec_lo, exec_lo, s25
.LBB231_304:                            ;   in Loop: Header=BB231_13 Depth=1
	s_delay_alu instid0(SALU_CYCLE_1) | instskip(SKIP_1) | instid1(VALU_DEP_1)
	s_or_b32 exec_lo, exec_lo, s24
	v_add_co_u32 v114, s2, 0x400, v150
	v_add_co_ci_u32_e64 v115, s2, 0, v151, s2
	s_mov_b32 s18, exec_lo
	flat_load_u16 v3, v[114:115] offset:8
	v_mov_b32_e32 v124, 0
	v_mov_b32_e32 v125, 0
	s_delay_alu instid0(VALU_DEP_1) | instskip(SKIP_3) | instid1(VALU_DEP_2)
	v_dual_mov_b32 v127, v125 :: v_dual_mov_b32 v126, v124
	s_waitcnt vmcnt(0) lgkmcnt(0)
	v_and_b32_e32 v11, 0xff, v3
	v_and_b32_e32 v3, 0xffff, v3
	v_cmpx_ne_u16_e32 0, v11
	s_cbranch_execz .LBB231_312
; %bb.305:                              ;   in Loop: Header=BB231_13 Depth=1
	v_bfrev_b32_e32 v126, 1
	s_delay_alu instid0(VALU_DEP_3) | instskip(SKIP_2) | instid1(VALU_DEP_2)
	v_and_b32_e32 v11, 0xff, v3
	v_mov_b32_e32 v127, 0
	s_mov_b32 s24, exec_lo
	v_cmpx_ne_u16_e32 0x80, v11
	s_cbranch_execz .LBB231_311
; %bb.306:                              ;   in Loop: Header=BB231_13 Depth=1
	v_mov_b32_e32 v126, 0x7f800001
	v_and_b32_e32 v11, 0x7f, v3
	v_mov_b32_e32 v127, 0
	s_mov_b32 s25, exec_lo
	s_delay_alu instid0(VALU_DEP_2)
	v_cmpx_ne_u32_e32 0x7f, v11
	s_cbranch_execz .LBB231_310
; %bb.307:                              ;   in Loop: Header=BB231_13 Depth=1
	v_and_b32_e32 v28, 7, v3
	v_lshrrev_b32_e32 v126, 3, v11
	s_mov_b32 s26, exec_lo
	v_cmpx_gt_u32_e32 8, v11
; %bb.308:                              ;   in Loop: Header=BB231_13 Depth=1
	s_delay_alu instid0(VALU_DEP_3) | instskip(NEXT) | instid1(VALU_DEP_1)
	v_clz_i32_u32_e32 v11, v28
	v_min_u32_e32 v11, 32, v11
	s_delay_alu instid0(VALU_DEP_1) | instskip(SKIP_1) | instid1(VALU_DEP_2)
	v_subrev_nc_u32_e32 v26, 28, v11
	v_sub_nc_u32_e32 v126, 29, v11
	v_lshlrev_b64 v[136:137], v26, v[28:29]
	s_delay_alu instid0(VALU_DEP_1)
	v_and_b32_e32 v28, 7, v136
; %bb.309:                              ;   in Loop: Header=BB231_13 Depth=1
	s_or_b32 exec_lo, exec_lo, s26
	v_lshlrev_b32_e32 v11, 24, v3
	s_delay_alu instid0(VALU_DEP_2) | instskip(SKIP_1) | instid1(VALU_DEP_3)
	v_lshlrev_b32_e32 v26, 20, v28
	v_lshl_add_u32 v27, v126, 23, 0x3c000000
	v_and_b32_e32 v11, 0x80000000, v11
	s_delay_alu instid0(VALU_DEP_1) | instskip(NEXT) | instid1(VALU_DEP_1)
	v_or3_b32 v28, v26, v11, v27
	v_dual_mov_b32 v127, v29 :: v_dual_mov_b32 v126, v28
.LBB231_310:                            ;   in Loop: Header=BB231_13 Depth=1
	s_or_b32 exec_lo, exec_lo, s25
.LBB231_311:                            ;   in Loop: Header=BB231_13 Depth=1
	s_delay_alu instid0(SALU_CYCLE_1)
	s_or_b32 exec_lo, exec_lo, s24
.LBB231_312:                            ;   in Loop: Header=BB231_13 Depth=1
	s_delay_alu instid0(SALU_CYCLE_1) | instskip(NEXT) | instid1(VALU_DEP_2)
	s_or_b32 exec_lo, exec_lo, s18
	v_lshrrev_b16 v28, 8, v3
	s_mov_b32 s24, exec_lo
	s_delay_alu instid0(VALU_DEP_1)
	v_cmpx_ne_u16_e32 0, v28
	s_cbranch_execz .LBB231_320
; %bb.313:                              ;   in Loop: Header=BB231_13 Depth=1
	v_dual_mov_b32 v125, s17 :: v_dual_mov_b32 v124, s16
	s_mov_b32 s25, exec_lo
	v_cmpx_ne_u16_e32 0x80, v28
	s_cbranch_execz .LBB231_319
; %bb.314:                              ;   in Loop: Header=BB231_13 Depth=1
	s_mov_b32 s18, s16
	v_and_b32_e32 v11, 0xffff, v28
	v_dual_mov_b32 v125, s19 :: v_dual_mov_b32 v124, s18
	s_mov_b32 s18, exec_lo
	s_delay_alu instid0(VALU_DEP_2) | instskip(NEXT) | instid1(VALU_DEP_1)
	v_and_b32_e32 v136, 0x7f, v11
	v_cmpx_ne_u32_e32 0x7f, v136
	s_cbranch_execz .LBB231_318
; %bb.315:                              ;   in Loop: Header=BB231_13 Depth=1
	v_and_b32_e32 v28, 7, v11
	v_lshrrev_b32_e32 v124, 3, v136
	s_mov_b32 s26, exec_lo
	v_cmpx_gt_u32_e32 8, v136
; %bb.316:                              ;   in Loop: Header=BB231_13 Depth=1
	s_delay_alu instid0(VALU_DEP_3) | instskip(NEXT) | instid1(VALU_DEP_1)
	v_clz_i32_u32_e32 v11, v28
	v_min_u32_e32 v11, 32, v11
	s_delay_alu instid0(VALU_DEP_1) | instskip(SKIP_1) | instid1(VALU_DEP_2)
	v_subrev_nc_u32_e32 v26, 28, v11
	v_sub_nc_u32_e32 v124, 29, v11
	v_lshlrev_b64 v[136:137], v26, v[28:29]
	s_delay_alu instid0(VALU_DEP_1)
	v_and_b32_e32 v28, 7, v136
; %bb.317:                              ;   in Loop: Header=BB231_13 Depth=1
	s_or_b32 exec_lo, exec_lo, s26
	v_lshlrev_b32_e32 v3, 16, v3
	s_delay_alu instid0(VALU_DEP_2) | instskip(SKIP_1) | instid1(VALU_DEP_3)
	v_lshlrev_b32_e32 v11, 20, v28
	v_lshl_add_u32 v26, v124, 23, 0x3c000000
	v_dual_mov_b32 v124, v29 :: v_dual_and_b32 v3, 0x80000000, v3
	s_delay_alu instid0(VALU_DEP_1)
	v_or3_b32 v125, v11, v3, v26
.LBB231_318:                            ;   in Loop: Header=BB231_13 Depth=1
	s_or_b32 exec_lo, exec_lo, s18
.LBB231_319:                            ;   in Loop: Header=BB231_13 Depth=1
	s_delay_alu instid0(SALU_CYCLE_1)
	s_or_b32 exec_lo, exec_lo, s25
.LBB231_320:                            ;   in Loop: Header=BB231_13 Depth=1
	s_delay_alu instid0(SALU_CYCLE_1) | instskip(SKIP_4) | instid1(VALU_DEP_1)
	s_or_b32 exec_lo, exec_lo, s24
	flat_load_u16 v3, v[114:115] offset:12
	v_mov_b32_e32 v136, 0
	v_mov_b32_e32 v137, 0
	s_mov_b32 s18, exec_lo
	v_dual_mov_b32 v139, v137 :: v_dual_mov_b32 v138, v136
	s_waitcnt vmcnt(0) lgkmcnt(0)
	v_and_b32_e32 v11, 0xff, v3
	v_and_b32_e32 v3, 0xffff, v3
	s_delay_alu instid0(VALU_DEP_2)
	v_cmpx_ne_u16_e32 0, v11
	s_cbranch_execz .LBB231_328
; %bb.321:                              ;   in Loop: Header=BB231_13 Depth=1
	v_bfrev_b32_e32 v138, 1
	s_delay_alu instid0(VALU_DEP_3) | instskip(SKIP_2) | instid1(VALU_DEP_2)
	v_and_b32_e32 v11, 0xff, v3
	v_mov_b32_e32 v139, 0
	s_mov_b32 s24, exec_lo
	v_cmpx_ne_u16_e32 0x80, v11
	s_cbranch_execz .LBB231_327
; %bb.322:                              ;   in Loop: Header=BB231_13 Depth=1
	v_mov_b32_e32 v138, 0x7f800001
	v_and_b32_e32 v11, 0x7f, v3
	v_mov_b32_e32 v139, 0
	s_mov_b32 s25, exec_lo
	s_delay_alu instid0(VALU_DEP_2)
	v_cmpx_ne_u32_e32 0x7f, v11
	s_cbranch_execz .LBB231_326
; %bb.323:                              ;   in Loop: Header=BB231_13 Depth=1
	v_and_b32_e32 v28, 7, v3
	v_lshrrev_b32_e32 v114, 3, v11
	s_mov_b32 s26, exec_lo
	v_cmpx_gt_u32_e32 8, v11
; %bb.324:                              ;   in Loop: Header=BB231_13 Depth=1
	s_delay_alu instid0(VALU_DEP_3) | instskip(NEXT) | instid1(VALU_DEP_1)
	v_clz_i32_u32_e32 v11, v28
	v_min_u32_e32 v11, 32, v11
	s_delay_alu instid0(VALU_DEP_1) | instskip(SKIP_1) | instid1(VALU_DEP_2)
	v_subrev_nc_u32_e32 v26, 28, v11
	v_sub_nc_u32_e32 v114, 29, v11
	v_lshlrev_b64 v[138:139], v26, v[28:29]
	s_delay_alu instid0(VALU_DEP_1)
	v_and_b32_e32 v28, 7, v138
; %bb.325:                              ;   in Loop: Header=BB231_13 Depth=1
	s_or_b32 exec_lo, exec_lo, s26
	v_lshlrev_b32_e32 v11, 24, v3
	s_delay_alu instid0(VALU_DEP_2) | instskip(SKIP_1) | instid1(VALU_DEP_3)
	v_lshlrev_b32_e32 v26, 20, v28
	v_lshl_add_u32 v27, v114, 23, 0x3c000000
	v_and_b32_e32 v11, 0x80000000, v11
	s_delay_alu instid0(VALU_DEP_1) | instskip(NEXT) | instid1(VALU_DEP_1)
	v_or3_b32 v28, v26, v11, v27
	v_dual_mov_b32 v139, v29 :: v_dual_mov_b32 v138, v28
.LBB231_326:                            ;   in Loop: Header=BB231_13 Depth=1
	s_or_b32 exec_lo, exec_lo, s25
.LBB231_327:                            ;   in Loop: Header=BB231_13 Depth=1
	s_delay_alu instid0(SALU_CYCLE_1)
	s_or_b32 exec_lo, exec_lo, s24
.LBB231_328:                            ;   in Loop: Header=BB231_13 Depth=1
	s_delay_alu instid0(SALU_CYCLE_1) | instskip(NEXT) | instid1(VALU_DEP_2)
	s_or_b32 exec_lo, exec_lo, s18
	v_lshrrev_b16 v28, 8, v3
	s_mov_b32 s24, exec_lo
	s_delay_alu instid0(VALU_DEP_1)
	v_cmpx_ne_u16_e32 0, v28
	s_cbranch_execz .LBB231_336
; %bb.329:                              ;   in Loop: Header=BB231_13 Depth=1
	v_dual_mov_b32 v137, s17 :: v_dual_mov_b32 v136, s16
	s_mov_b32 s25, exec_lo
	v_cmpx_ne_u16_e32 0x80, v28
	s_cbranch_execz .LBB231_335
; %bb.330:                              ;   in Loop: Header=BB231_13 Depth=1
	s_mov_b32 s18, s16
	v_and_b32_e32 v11, 0xffff, v28
	v_dual_mov_b32 v137, s19 :: v_dual_mov_b32 v136, s18
	s_mov_b32 s18, exec_lo
	s_delay_alu instid0(VALU_DEP_2) | instskip(NEXT) | instid1(VALU_DEP_1)
	v_and_b32_e32 v115, 0x7f, v11
	v_cmpx_ne_u32_e32 0x7f, v115
	s_cbranch_execz .LBB231_334
; %bb.331:                              ;   in Loop: Header=BB231_13 Depth=1
	v_and_b32_e32 v28, 7, v11
	v_lshrrev_b32_e32 v114, 3, v115
	s_mov_b32 s26, exec_lo
	v_cmpx_gt_u32_e32 8, v115
; %bb.332:                              ;   in Loop: Header=BB231_13 Depth=1
	s_delay_alu instid0(VALU_DEP_3) | instskip(NEXT) | instid1(VALU_DEP_1)
	v_clz_i32_u32_e32 v11, v28
	v_min_u32_e32 v11, 32, v11
	s_delay_alu instid0(VALU_DEP_1) | instskip(SKIP_1) | instid1(VALU_DEP_2)
	v_subrev_nc_u32_e32 v26, 28, v11
	v_sub_nc_u32_e32 v114, 29, v11
	v_lshlrev_b64 v[136:137], v26, v[28:29]
	s_delay_alu instid0(VALU_DEP_1)
	v_and_b32_e32 v28, 7, v136
; %bb.333:                              ;   in Loop: Header=BB231_13 Depth=1
	s_or_b32 exec_lo, exec_lo, s26
	v_dual_mov_b32 v136, v29 :: v_dual_lshlrev_b32 v3, 16, v3
	s_delay_alu instid0(VALU_DEP_2) | instskip(SKIP_1) | instid1(VALU_DEP_3)
	v_lshlrev_b32_e32 v11, 20, v28
	v_lshl_add_u32 v26, v114, 23, 0x3c000000
	v_and_b32_e32 v3, 0x80000000, v3
	s_delay_alu instid0(VALU_DEP_1)
	v_or3_b32 v137, v11, v3, v26
.LBB231_334:                            ;   in Loop: Header=BB231_13 Depth=1
	s_or_b32 exec_lo, exec_lo, s18
.LBB231_335:                            ;   in Loop: Header=BB231_13 Depth=1
	s_delay_alu instid0(SALU_CYCLE_1)
	s_or_b32 exec_lo, exec_lo, s25
.LBB231_336:                            ;   in Loop: Header=BB231_13 Depth=1
	s_delay_alu instid0(SALU_CYCLE_1)
	s_or_b32 exec_lo, exec_lo, s24
	flat_load_u16 v3, v[150:151] offset:1280
	v_mov_b32_e32 v140, 0
	v_mov_b32_e32 v141, 0
	s_mov_b32 s18, exec_lo
	s_waitcnt vmcnt(0) lgkmcnt(0)
	v_and_b32_e32 v114, 0xffff, v3
	v_and_b32_e32 v11, 0xff, v3
	v_dual_mov_b32 v143, v141 :: v_dual_mov_b32 v142, v140
	s_delay_alu instid0(VALU_DEP_2)
	v_cmpx_ne_u16_e32 0, v11
	s_cbranch_execz .LBB231_344
; %bb.337:                              ;   in Loop: Header=BB231_13 Depth=1
	v_bfrev_b32_e32 v142, 1
	v_and_b32_e32 v3, 0xff, v114
	v_mov_b32_e32 v143, 0
	s_mov_b32 s24, exec_lo
	s_delay_alu instid0(VALU_DEP_2)
	v_cmpx_ne_u16_e32 0x80, v3
	s_cbranch_execz .LBB231_343
; %bb.338:                              ;   in Loop: Header=BB231_13 Depth=1
	v_mov_b32_e32 v142, 0x7f800001
	v_and_b32_e32 v11, 0x7f, v114
	v_mov_b32_e32 v143, 0
	s_mov_b32 s25, exec_lo
	s_delay_alu instid0(VALU_DEP_2)
	v_cmpx_ne_u32_e32 0x7f, v11
	s_cbranch_execz .LBB231_342
; %bb.339:                              ;   in Loop: Header=BB231_13 Depth=1
	v_and_b32_e32 v28, 7, v114
	v_lshrrev_b32_e32 v3, 3, v11
	s_mov_b32 s26, exec_lo
	v_cmpx_gt_u32_e32 8, v11
; %bb.340:                              ;   in Loop: Header=BB231_13 Depth=1
	s_delay_alu instid0(VALU_DEP_3) | instskip(NEXT) | instid1(VALU_DEP_1)
	v_clz_i32_u32_e32 v3, v28
	v_min_u32_e32 v3, 32, v3
	s_delay_alu instid0(VALU_DEP_1) | instskip(SKIP_1) | instid1(VALU_DEP_2)
	v_subrev_nc_u32_e32 v11, 28, v3
	v_sub_nc_u32_e32 v3, 29, v3
	v_lshlrev_b64 v[142:143], v11, v[28:29]
	s_delay_alu instid0(VALU_DEP_1)
	v_and_b32_e32 v28, 7, v142
; %bb.341:                              ;   in Loop: Header=BB231_13 Depth=1
	s_or_b32 exec_lo, exec_lo, s26
	v_lshlrev_b32_e32 v11, 24, v114
	s_delay_alu instid0(VALU_DEP_2) | instskip(SKIP_1) | instid1(VALU_DEP_3)
	v_lshlrev_b32_e32 v26, 20, v28
	v_lshl_add_u32 v3, v3, 23, 0x3c000000
	v_and_b32_e32 v11, 0x80000000, v11
	s_delay_alu instid0(VALU_DEP_1) | instskip(NEXT) | instid1(VALU_DEP_1)
	v_or3_b32 v28, v26, v11, v3
	v_dual_mov_b32 v143, v29 :: v_dual_mov_b32 v142, v28
.LBB231_342:                            ;   in Loop: Header=BB231_13 Depth=1
	s_or_b32 exec_lo, exec_lo, s25
.LBB231_343:                            ;   in Loop: Header=BB231_13 Depth=1
	s_delay_alu instid0(SALU_CYCLE_1)
	s_or_b32 exec_lo, exec_lo, s24
.LBB231_344:                            ;   in Loop: Header=BB231_13 Depth=1
	s_delay_alu instid0(SALU_CYCLE_1) | instskip(SKIP_2) | instid1(VALU_DEP_1)
	s_or_b32 exec_lo, exec_lo, s18
	v_lshrrev_b16 v3, 8, v114
	s_mov_b32 s24, exec_lo
	v_cmpx_ne_u16_e32 0, v3
	s_cbranch_execz .LBB231_352
; %bb.345:                              ;   in Loop: Header=BB231_13 Depth=1
	v_dual_mov_b32 v141, s17 :: v_dual_mov_b32 v140, s16
	s_mov_b32 s25, exec_lo
	v_cmpx_ne_u16_e32 0x80, v3
	s_cbranch_execz .LBB231_351
; %bb.346:                              ;   in Loop: Header=BB231_13 Depth=1
	s_mov_b32 s18, s16
	v_and_b32_e32 v3, 0xffff, v3
	v_dual_mov_b32 v141, s19 :: v_dual_mov_b32 v140, s18
	s_mov_b32 s18, exec_lo
	s_delay_alu instid0(VALU_DEP_2) | instskip(NEXT) | instid1(VALU_DEP_1)
	v_and_b32_e32 v115, 0x7f, v3
	v_cmpx_ne_u32_e32 0x7f, v115
	s_cbranch_execz .LBB231_350
; %bb.347:                              ;   in Loop: Header=BB231_13 Depth=1
	v_and_b32_e32 v28, 7, v3
	v_lshrrev_b32_e32 v3, 3, v115
	s_mov_b32 s26, exec_lo
	v_cmpx_gt_u32_e32 8, v115
; %bb.348:                              ;   in Loop: Header=BB231_13 Depth=1
	s_delay_alu instid0(VALU_DEP_3) | instskip(NEXT) | instid1(VALU_DEP_1)
	v_clz_i32_u32_e32 v3, v28
	v_min_u32_e32 v3, 32, v3
	s_delay_alu instid0(VALU_DEP_1) | instskip(SKIP_1) | instid1(VALU_DEP_2)
	v_subrev_nc_u32_e32 v11, 28, v3
	v_sub_nc_u32_e32 v3, 29, v3
	v_lshlrev_b64 v[140:141], v11, v[28:29]
	s_delay_alu instid0(VALU_DEP_1)
	v_and_b32_e32 v28, 7, v140
; %bb.349:                              ;   in Loop: Header=BB231_13 Depth=1
	s_or_b32 exec_lo, exec_lo, s26
	v_dual_mov_b32 v140, v29 :: v_dual_lshlrev_b32 v11, 16, v114
	s_delay_alu instid0(VALU_DEP_2) | instskip(SKIP_1) | instid1(VALU_DEP_3)
	v_lshlrev_b32_e32 v26, 20, v28
	v_lshl_add_u32 v3, v3, 23, 0x3c000000
	v_and_b32_e32 v11, 0x80000000, v11
	s_delay_alu instid0(VALU_DEP_1)
	v_or3_b32 v141, v26, v11, v3
.LBB231_350:                            ;   in Loop: Header=BB231_13 Depth=1
	s_or_b32 exec_lo, exec_lo, s18
.LBB231_351:                            ;   in Loop: Header=BB231_13 Depth=1
	s_delay_alu instid0(SALU_CYCLE_1)
	s_or_b32 exec_lo, exec_lo, s25
.LBB231_352:                            ;   in Loop: Header=BB231_13 Depth=1
	s_delay_alu instid0(SALU_CYCLE_1)
	s_or_b32 exec_lo, exec_lo, s24
	flat_load_u16 v3, v[150:151] offset:1284
	v_mov_b32_e32 v152, 0
	v_mov_b32_e32 v153, 0
	s_mov_b32 s18, exec_lo
	s_waitcnt vmcnt(0) lgkmcnt(0)
	v_and_b32_e32 v114, 0xffff, v3
	v_and_b32_e32 v11, 0xff, v3
	v_dual_mov_b32 v155, v153 :: v_dual_mov_b32 v154, v152
	s_delay_alu instid0(VALU_DEP_2)
	v_cmpx_ne_u16_e32 0, v11
	s_cbranch_execz .LBB231_360
; %bb.353:                              ;   in Loop: Header=BB231_13 Depth=1
	v_bfrev_b32_e32 v154, 1
	v_and_b32_e32 v3, 0xff, v114
	v_mov_b32_e32 v155, 0
	s_mov_b32 s24, exec_lo
	s_delay_alu instid0(VALU_DEP_2)
	v_cmpx_ne_u16_e32 0x80, v3
	s_cbranch_execz .LBB231_359
; %bb.354:                              ;   in Loop: Header=BB231_13 Depth=1
	v_mov_b32_e32 v154, 0x7f800001
	v_and_b32_e32 v11, 0x7f, v114
	v_mov_b32_e32 v155, 0
	s_mov_b32 s25, exec_lo
	s_delay_alu instid0(VALU_DEP_2)
	v_cmpx_ne_u32_e32 0x7f, v11
	s_cbranch_execz .LBB231_358
; %bb.355:                              ;   in Loop: Header=BB231_13 Depth=1
	v_and_b32_e32 v28, 7, v114
	v_lshrrev_b32_e32 v3, 3, v11
	s_mov_b32 s26, exec_lo
	v_cmpx_gt_u32_e32 8, v11
; %bb.356:                              ;   in Loop: Header=BB231_13 Depth=1
	s_delay_alu instid0(VALU_DEP_3) | instskip(NEXT) | instid1(VALU_DEP_1)
	v_clz_i32_u32_e32 v3, v28
	v_min_u32_e32 v3, 32, v3
	s_delay_alu instid0(VALU_DEP_1) | instskip(SKIP_1) | instid1(VALU_DEP_2)
	v_subrev_nc_u32_e32 v11, 28, v3
	v_sub_nc_u32_e32 v3, 29, v3
	v_lshlrev_b64 v[154:155], v11, v[28:29]
	s_delay_alu instid0(VALU_DEP_1)
	v_and_b32_e32 v28, 7, v154
; %bb.357:                              ;   in Loop: Header=BB231_13 Depth=1
	s_or_b32 exec_lo, exec_lo, s26
	v_lshlrev_b32_e32 v11, 24, v114
	s_delay_alu instid0(VALU_DEP_2) | instskip(SKIP_1) | instid1(VALU_DEP_3)
	v_lshlrev_b32_e32 v26, 20, v28
	v_lshl_add_u32 v3, v3, 23, 0x3c000000
	v_and_b32_e32 v11, 0x80000000, v11
	s_delay_alu instid0(VALU_DEP_1) | instskip(NEXT) | instid1(VALU_DEP_1)
	v_or3_b32 v28, v26, v11, v3
	v_dual_mov_b32 v155, v29 :: v_dual_mov_b32 v154, v28
.LBB231_358:                            ;   in Loop: Header=BB231_13 Depth=1
	s_or_b32 exec_lo, exec_lo, s25
.LBB231_359:                            ;   in Loop: Header=BB231_13 Depth=1
	s_delay_alu instid0(SALU_CYCLE_1)
	s_or_b32 exec_lo, exec_lo, s24
.LBB231_360:                            ;   in Loop: Header=BB231_13 Depth=1
	s_delay_alu instid0(SALU_CYCLE_1) | instskip(SKIP_2) | instid1(VALU_DEP_1)
	s_or_b32 exec_lo, exec_lo, s18
	v_lshrrev_b16 v3, 8, v114
	s_mov_b32 s24, exec_lo
	v_cmpx_ne_u16_e32 0, v3
	s_cbranch_execz .LBB231_368
; %bb.361:                              ;   in Loop: Header=BB231_13 Depth=1
	v_dual_mov_b32 v153, s17 :: v_dual_mov_b32 v152, s16
	s_mov_b32 s25, exec_lo
	v_cmpx_ne_u16_e32 0x80, v3
	s_cbranch_execz .LBB231_367
; %bb.362:                              ;   in Loop: Header=BB231_13 Depth=1
	s_mov_b32 s18, s16
	v_and_b32_e32 v3, 0xffff, v3
	v_dual_mov_b32 v153, s19 :: v_dual_mov_b32 v152, s18
	s_mov_b32 s18, exec_lo
	s_delay_alu instid0(VALU_DEP_2) | instskip(NEXT) | instid1(VALU_DEP_1)
	v_and_b32_e32 v115, 0x7f, v3
	v_cmpx_ne_u32_e32 0x7f, v115
	s_cbranch_execz .LBB231_366
; %bb.363:                              ;   in Loop: Header=BB231_13 Depth=1
	v_and_b32_e32 v28, 7, v3
	v_lshrrev_b32_e32 v3, 3, v115
	s_mov_b32 s26, exec_lo
	v_cmpx_gt_u32_e32 8, v115
; %bb.364:                              ;   in Loop: Header=BB231_13 Depth=1
	s_delay_alu instid0(VALU_DEP_3) | instskip(NEXT) | instid1(VALU_DEP_1)
	v_clz_i32_u32_e32 v3, v28
	v_min_u32_e32 v3, 32, v3
	s_delay_alu instid0(VALU_DEP_1) | instskip(SKIP_1) | instid1(VALU_DEP_2)
	v_subrev_nc_u32_e32 v11, 28, v3
	v_sub_nc_u32_e32 v3, 29, v3
	v_lshlrev_b64 v[152:153], v11, v[28:29]
	s_delay_alu instid0(VALU_DEP_1)
	v_and_b32_e32 v28, 7, v152
; %bb.365:                              ;   in Loop: Header=BB231_13 Depth=1
	s_or_b32 exec_lo, exec_lo, s26
	v_dual_mov_b32 v152, v29 :: v_dual_lshlrev_b32 v11, 16, v114
	s_delay_alu instid0(VALU_DEP_2) | instskip(SKIP_1) | instid1(VALU_DEP_3)
	v_lshlrev_b32_e32 v26, 20, v28
	v_lshl_add_u32 v3, v3, 23, 0x3c000000
	v_and_b32_e32 v11, 0x80000000, v11
	s_delay_alu instid0(VALU_DEP_1)
	v_or3_b32 v153, v26, v11, v3
.LBB231_366:                            ;   in Loop: Header=BB231_13 Depth=1
	s_or_b32 exec_lo, exec_lo, s18
.LBB231_367:                            ;   in Loop: Header=BB231_13 Depth=1
	s_delay_alu instid0(SALU_CYCLE_1)
	s_or_b32 exec_lo, exec_lo, s25
.LBB231_368:                            ;   in Loop: Header=BB231_13 Depth=1
	s_delay_alu instid0(SALU_CYCLE_1) | instskip(SKIP_1) | instid1(VALU_DEP_1)
	s_or_b32 exec_lo, exec_lo, s24
	v_add_co_u32 v114, s2, 0x500, v150
	v_add_co_ci_u32_e64 v115, s2, 0, v151, s2
	s_mov_b32 s18, exec_lo
	flat_load_u16 v3, v[114:115] offset:8
	v_mov_b32_e32 v156, 0
	s_waitcnt vmcnt(0) lgkmcnt(0)
	v_dual_mov_b32 v157, 0 :: v_dual_and_b32 v168, 0xffff, v3
	v_and_b32_e32 v11, 0xff, v3
	s_delay_alu instid0(VALU_DEP_2) | instskip(NEXT) | instid1(VALU_DEP_2)
	v_dual_mov_b32 v159, v157 :: v_dual_mov_b32 v158, v156
	v_cmpx_ne_u16_e32 0, v11
	s_cbranch_execz .LBB231_376
; %bb.369:                              ;   in Loop: Header=BB231_13 Depth=1
	v_bfrev_b32_e32 v158, 1
	v_and_b32_e32 v3, 0xff, v168
	v_mov_b32_e32 v159, 0
	s_mov_b32 s24, exec_lo
	s_delay_alu instid0(VALU_DEP_2)
	v_cmpx_ne_u16_e32 0x80, v3
	s_cbranch_execz .LBB231_375
; %bb.370:                              ;   in Loop: Header=BB231_13 Depth=1
	v_mov_b32_e32 v158, 0x7f800001
	v_and_b32_e32 v11, 0x7f, v168
	v_mov_b32_e32 v159, 0
	s_mov_b32 s25, exec_lo
	s_delay_alu instid0(VALU_DEP_2)
	v_cmpx_ne_u32_e32 0x7f, v11
	s_cbranch_execz .LBB231_374
; %bb.371:                              ;   in Loop: Header=BB231_13 Depth=1
	v_and_b32_e32 v28, 7, v168
	v_lshrrev_b32_e32 v3, 3, v11
	s_mov_b32 s26, exec_lo
	v_cmpx_gt_u32_e32 8, v11
; %bb.372:                              ;   in Loop: Header=BB231_13 Depth=1
	s_delay_alu instid0(VALU_DEP_3) | instskip(NEXT) | instid1(VALU_DEP_1)
	v_clz_i32_u32_e32 v3, v28
	v_min_u32_e32 v3, 32, v3
	s_delay_alu instid0(VALU_DEP_1) | instskip(SKIP_1) | instid1(VALU_DEP_2)
	v_subrev_nc_u32_e32 v11, 28, v3
	v_sub_nc_u32_e32 v3, 29, v3
	v_lshlrev_b64 v[158:159], v11, v[28:29]
	s_delay_alu instid0(VALU_DEP_1)
	v_and_b32_e32 v28, 7, v158
; %bb.373:                              ;   in Loop: Header=BB231_13 Depth=1
	s_or_b32 exec_lo, exec_lo, s26
	v_lshlrev_b32_e32 v11, 24, v168
	s_delay_alu instid0(VALU_DEP_2) | instskip(SKIP_1) | instid1(VALU_DEP_3)
	v_lshlrev_b32_e32 v26, 20, v28
	v_lshl_add_u32 v3, v3, 23, 0x3c000000
	v_and_b32_e32 v11, 0x80000000, v11
	s_delay_alu instid0(VALU_DEP_1) | instskip(NEXT) | instid1(VALU_DEP_1)
	v_or3_b32 v28, v26, v11, v3
	v_dual_mov_b32 v159, v29 :: v_dual_mov_b32 v158, v28
.LBB231_374:                            ;   in Loop: Header=BB231_13 Depth=1
	s_or_b32 exec_lo, exec_lo, s25
.LBB231_375:                            ;   in Loop: Header=BB231_13 Depth=1
	s_delay_alu instid0(SALU_CYCLE_1)
	s_or_b32 exec_lo, exec_lo, s24
.LBB231_376:                            ;   in Loop: Header=BB231_13 Depth=1
	s_delay_alu instid0(SALU_CYCLE_1) | instskip(SKIP_2) | instid1(VALU_DEP_1)
	s_or_b32 exec_lo, exec_lo, s18
	v_lshrrev_b16 v3, 8, v168
	s_mov_b32 s24, exec_lo
	v_cmpx_ne_u16_e32 0, v3
	s_cbranch_execz .LBB231_384
; %bb.377:                              ;   in Loop: Header=BB231_13 Depth=1
	v_dual_mov_b32 v157, s17 :: v_dual_mov_b32 v156, s16
	s_mov_b32 s25, exec_lo
	v_cmpx_ne_u16_e32 0x80, v3
	s_cbranch_execz .LBB231_383
; %bb.378:                              ;   in Loop: Header=BB231_13 Depth=1
	s_mov_b32 s18, s16
	v_and_b32_e32 v3, 0xffff, v3
	v_dual_mov_b32 v157, s19 :: v_dual_mov_b32 v156, s18
	s_mov_b32 s18, exec_lo
	s_delay_alu instid0(VALU_DEP_2) | instskip(NEXT) | instid1(VALU_DEP_1)
	v_and_b32_e32 v169, 0x7f, v3
	v_cmpx_ne_u32_e32 0x7f, v169
	s_cbranch_execz .LBB231_382
; %bb.379:                              ;   in Loop: Header=BB231_13 Depth=1
	v_and_b32_e32 v28, 7, v3
	v_lshrrev_b32_e32 v3, 3, v169
	s_mov_b32 s26, exec_lo
	v_cmpx_gt_u32_e32 8, v169
; %bb.380:                              ;   in Loop: Header=BB231_13 Depth=1
	s_delay_alu instid0(VALU_DEP_3) | instskip(NEXT) | instid1(VALU_DEP_1)
	v_clz_i32_u32_e32 v3, v28
	v_min_u32_e32 v3, 32, v3
	s_delay_alu instid0(VALU_DEP_1) | instskip(SKIP_1) | instid1(VALU_DEP_2)
	v_subrev_nc_u32_e32 v11, 28, v3
	v_sub_nc_u32_e32 v3, 29, v3
	v_lshlrev_b64 v[156:157], v11, v[28:29]
	s_delay_alu instid0(VALU_DEP_1)
	v_and_b32_e32 v28, 7, v156
; %bb.381:                              ;   in Loop: Header=BB231_13 Depth=1
	s_or_b32 exec_lo, exec_lo, s26
	v_dual_mov_b32 v156, v29 :: v_dual_lshlrev_b32 v11, 16, v168
	s_delay_alu instid0(VALU_DEP_2) | instskip(SKIP_1) | instid1(VALU_DEP_3)
	v_lshlrev_b32_e32 v26, 20, v28
	v_lshl_add_u32 v3, v3, 23, 0x3c000000
	v_and_b32_e32 v11, 0x80000000, v11
	s_delay_alu instid0(VALU_DEP_1)
	v_or3_b32 v157, v26, v11, v3
.LBB231_382:                            ;   in Loop: Header=BB231_13 Depth=1
	s_or_b32 exec_lo, exec_lo, s18
.LBB231_383:                            ;   in Loop: Header=BB231_13 Depth=1
	s_delay_alu instid0(SALU_CYCLE_1)
	s_or_b32 exec_lo, exec_lo, s25
.LBB231_384:                            ;   in Loop: Header=BB231_13 Depth=1
	s_delay_alu instid0(SALU_CYCLE_1)
	s_or_b32 exec_lo, exec_lo, s24
	flat_load_u16 v3, v[114:115] offset:12
	v_mov_b32_e32 v168, 0
	v_mov_b32_e32 v169, 0
	s_mov_b32 s18, exec_lo
	s_waitcnt vmcnt(0) lgkmcnt(0)
	v_and_b32_e32 v114, 0xffff, v3
	v_and_b32_e32 v11, 0xff, v3
	v_dual_mov_b32 v171, v169 :: v_dual_mov_b32 v170, v168
	s_delay_alu instid0(VALU_DEP_2)
	v_cmpx_ne_u16_e32 0, v11
	s_cbranch_execz .LBB231_392
; %bb.385:                              ;   in Loop: Header=BB231_13 Depth=1
	v_bfrev_b32_e32 v170, 1
	v_and_b32_e32 v3, 0xff, v114
	v_mov_b32_e32 v171, 0
	s_mov_b32 s24, exec_lo
	s_delay_alu instid0(VALU_DEP_2)
	v_cmpx_ne_u16_e32 0x80, v3
	s_cbranch_execz .LBB231_391
; %bb.386:                              ;   in Loop: Header=BB231_13 Depth=1
	v_mov_b32_e32 v170, 0x7f800001
	v_and_b32_e32 v11, 0x7f, v114
	v_mov_b32_e32 v171, 0
	s_mov_b32 s25, exec_lo
	s_delay_alu instid0(VALU_DEP_2)
	v_cmpx_ne_u32_e32 0x7f, v11
	s_cbranch_execz .LBB231_390
; %bb.387:                              ;   in Loop: Header=BB231_13 Depth=1
	v_and_b32_e32 v28, 7, v114
	v_lshrrev_b32_e32 v3, 3, v11
	s_mov_b32 s26, exec_lo
	v_cmpx_gt_u32_e32 8, v11
; %bb.388:                              ;   in Loop: Header=BB231_13 Depth=1
	s_delay_alu instid0(VALU_DEP_3) | instskip(NEXT) | instid1(VALU_DEP_1)
	v_clz_i32_u32_e32 v3, v28
	v_min_u32_e32 v3, 32, v3
	s_delay_alu instid0(VALU_DEP_1) | instskip(SKIP_1) | instid1(VALU_DEP_2)
	v_subrev_nc_u32_e32 v11, 28, v3
	v_sub_nc_u32_e32 v3, 29, v3
	v_lshlrev_b64 v[170:171], v11, v[28:29]
	s_delay_alu instid0(VALU_DEP_1)
	v_and_b32_e32 v28, 7, v170
; %bb.389:                              ;   in Loop: Header=BB231_13 Depth=1
	s_or_b32 exec_lo, exec_lo, s26
	v_lshlrev_b32_e32 v11, 24, v114
	s_delay_alu instid0(VALU_DEP_2) | instskip(SKIP_1) | instid1(VALU_DEP_3)
	v_lshlrev_b32_e32 v26, 20, v28
	v_lshl_add_u32 v3, v3, 23, 0x3c000000
	v_and_b32_e32 v11, 0x80000000, v11
	s_delay_alu instid0(VALU_DEP_1) | instskip(NEXT) | instid1(VALU_DEP_1)
	v_or3_b32 v28, v26, v11, v3
	v_dual_mov_b32 v171, v29 :: v_dual_mov_b32 v170, v28
.LBB231_390:                            ;   in Loop: Header=BB231_13 Depth=1
	s_or_b32 exec_lo, exec_lo, s25
.LBB231_391:                            ;   in Loop: Header=BB231_13 Depth=1
	s_delay_alu instid0(SALU_CYCLE_1)
	s_or_b32 exec_lo, exec_lo, s24
.LBB231_392:                            ;   in Loop: Header=BB231_13 Depth=1
	s_delay_alu instid0(SALU_CYCLE_1) | instskip(SKIP_2) | instid1(VALU_DEP_1)
	s_or_b32 exec_lo, exec_lo, s18
	v_lshrrev_b16 v3, 8, v114
	s_mov_b32 s24, exec_lo
	v_cmpx_ne_u16_e32 0, v3
	s_cbranch_execz .LBB231_400
; %bb.393:                              ;   in Loop: Header=BB231_13 Depth=1
	v_dual_mov_b32 v169, s17 :: v_dual_mov_b32 v168, s16
	s_mov_b32 s25, exec_lo
	v_cmpx_ne_u16_e32 0x80, v3
	s_cbranch_execz .LBB231_399
; %bb.394:                              ;   in Loop: Header=BB231_13 Depth=1
	s_mov_b32 s18, s16
	v_and_b32_e32 v3, 0xffff, v3
	v_dual_mov_b32 v169, s19 :: v_dual_mov_b32 v168, s18
	s_mov_b32 s18, exec_lo
	s_delay_alu instid0(VALU_DEP_2) | instskip(NEXT) | instid1(VALU_DEP_1)
	v_and_b32_e32 v115, 0x7f, v3
	v_cmpx_ne_u32_e32 0x7f, v115
	s_cbranch_execz .LBB231_398
; %bb.395:                              ;   in Loop: Header=BB231_13 Depth=1
	v_and_b32_e32 v28, 7, v3
	v_lshrrev_b32_e32 v3, 3, v115
	s_mov_b32 s26, exec_lo
	v_cmpx_gt_u32_e32 8, v115
; %bb.396:                              ;   in Loop: Header=BB231_13 Depth=1
	s_delay_alu instid0(VALU_DEP_3) | instskip(NEXT) | instid1(VALU_DEP_1)
	v_clz_i32_u32_e32 v3, v28
	v_min_u32_e32 v3, 32, v3
	s_delay_alu instid0(VALU_DEP_1) | instskip(SKIP_1) | instid1(VALU_DEP_2)
	v_subrev_nc_u32_e32 v11, 28, v3
	v_sub_nc_u32_e32 v3, 29, v3
	v_lshlrev_b64 v[168:169], v11, v[28:29]
	s_delay_alu instid0(VALU_DEP_1)
	v_and_b32_e32 v28, 7, v168
; %bb.397:                              ;   in Loop: Header=BB231_13 Depth=1
	s_or_b32 exec_lo, exec_lo, s26
	v_dual_mov_b32 v168, v29 :: v_dual_lshlrev_b32 v11, 16, v114
	s_delay_alu instid0(VALU_DEP_2) | instskip(SKIP_1) | instid1(VALU_DEP_3)
	v_lshlrev_b32_e32 v26, 20, v28
	v_lshl_add_u32 v3, v3, 23, 0x3c000000
	v_and_b32_e32 v11, 0x80000000, v11
	s_delay_alu instid0(VALU_DEP_1)
	v_or3_b32 v169, v26, v11, v3
.LBB231_398:                            ;   in Loop: Header=BB231_13 Depth=1
	s_or_b32 exec_lo, exec_lo, s18
.LBB231_399:                            ;   in Loop: Header=BB231_13 Depth=1
	s_delay_alu instid0(SALU_CYCLE_1)
	s_or_b32 exec_lo, exec_lo, s25
.LBB231_400:                            ;   in Loop: Header=BB231_13 Depth=1
	s_delay_alu instid0(SALU_CYCLE_1)
	s_or_b32 exec_lo, exec_lo, s24
	flat_load_u16 v3, v[150:151] offset:1536
	v_mov_b32_e32 v172, 0
	v_mov_b32_e32 v173, 0
	s_mov_b32 s18, exec_lo
	s_waitcnt vmcnt(0) lgkmcnt(0)
	v_and_b32_e32 v114, 0xffff, v3
	v_and_b32_e32 v11, 0xff, v3
	v_dual_mov_b32 v175, v173 :: v_dual_mov_b32 v174, v172
	s_delay_alu instid0(VALU_DEP_2)
	v_cmpx_ne_u16_e32 0, v11
	s_cbranch_execz .LBB231_408
; %bb.401:                              ;   in Loop: Header=BB231_13 Depth=1
	v_bfrev_b32_e32 v174, 1
	v_and_b32_e32 v3, 0xff, v114
	v_mov_b32_e32 v175, 0
	s_mov_b32 s24, exec_lo
	s_delay_alu instid0(VALU_DEP_2)
	v_cmpx_ne_u16_e32 0x80, v3
	s_cbranch_execz .LBB231_407
; %bb.402:                              ;   in Loop: Header=BB231_13 Depth=1
	v_mov_b32_e32 v174, 0x7f800001
	v_and_b32_e32 v11, 0x7f, v114
	v_mov_b32_e32 v175, 0
	s_mov_b32 s25, exec_lo
	s_delay_alu instid0(VALU_DEP_2)
	v_cmpx_ne_u32_e32 0x7f, v11
	s_cbranch_execz .LBB231_406
; %bb.403:                              ;   in Loop: Header=BB231_13 Depth=1
	v_and_b32_e32 v28, 7, v114
	v_lshrrev_b32_e32 v3, 3, v11
	s_mov_b32 s26, exec_lo
	v_cmpx_gt_u32_e32 8, v11
; %bb.404:                              ;   in Loop: Header=BB231_13 Depth=1
	s_delay_alu instid0(VALU_DEP_3) | instskip(NEXT) | instid1(VALU_DEP_1)
	v_clz_i32_u32_e32 v3, v28
	v_min_u32_e32 v3, 32, v3
	s_delay_alu instid0(VALU_DEP_1) | instskip(SKIP_1) | instid1(VALU_DEP_2)
	v_subrev_nc_u32_e32 v11, 28, v3
	v_sub_nc_u32_e32 v3, 29, v3
	v_lshlrev_b64 v[174:175], v11, v[28:29]
	s_delay_alu instid0(VALU_DEP_1)
	v_and_b32_e32 v28, 7, v174
; %bb.405:                              ;   in Loop: Header=BB231_13 Depth=1
	s_or_b32 exec_lo, exec_lo, s26
	v_lshlrev_b32_e32 v11, 24, v114
	s_delay_alu instid0(VALU_DEP_2) | instskip(SKIP_1) | instid1(VALU_DEP_3)
	v_lshlrev_b32_e32 v26, 20, v28
	v_lshl_add_u32 v3, v3, 23, 0x3c000000
	v_and_b32_e32 v11, 0x80000000, v11
	s_delay_alu instid0(VALU_DEP_1) | instskip(NEXT) | instid1(VALU_DEP_1)
	v_or3_b32 v28, v26, v11, v3
	v_dual_mov_b32 v175, v29 :: v_dual_mov_b32 v174, v28
.LBB231_406:                            ;   in Loop: Header=BB231_13 Depth=1
	s_or_b32 exec_lo, exec_lo, s25
.LBB231_407:                            ;   in Loop: Header=BB231_13 Depth=1
	s_delay_alu instid0(SALU_CYCLE_1)
	s_or_b32 exec_lo, exec_lo, s24
.LBB231_408:                            ;   in Loop: Header=BB231_13 Depth=1
	s_delay_alu instid0(SALU_CYCLE_1) | instskip(SKIP_2) | instid1(VALU_DEP_1)
	s_or_b32 exec_lo, exec_lo, s18
	v_lshrrev_b16 v3, 8, v114
	s_mov_b32 s24, exec_lo
	v_cmpx_ne_u16_e32 0, v3
	s_cbranch_execz .LBB231_416
; %bb.409:                              ;   in Loop: Header=BB231_13 Depth=1
	v_dual_mov_b32 v173, s17 :: v_dual_mov_b32 v172, s16
	s_mov_b32 s25, exec_lo
	v_cmpx_ne_u16_e32 0x80, v3
	s_cbranch_execz .LBB231_415
; %bb.410:                              ;   in Loop: Header=BB231_13 Depth=1
	s_mov_b32 s18, s16
	v_and_b32_e32 v3, 0xffff, v3
	v_dual_mov_b32 v173, s19 :: v_dual_mov_b32 v172, s18
	s_mov_b32 s18, exec_lo
	s_delay_alu instid0(VALU_DEP_2) | instskip(NEXT) | instid1(VALU_DEP_1)
	v_and_b32_e32 v115, 0x7f, v3
	v_cmpx_ne_u32_e32 0x7f, v115
	s_cbranch_execz .LBB231_414
; %bb.411:                              ;   in Loop: Header=BB231_13 Depth=1
	v_and_b32_e32 v28, 7, v3
	v_lshrrev_b32_e32 v3, 3, v115
	s_mov_b32 s26, exec_lo
	v_cmpx_gt_u32_e32 8, v115
; %bb.412:                              ;   in Loop: Header=BB231_13 Depth=1
	s_delay_alu instid0(VALU_DEP_3) | instskip(NEXT) | instid1(VALU_DEP_1)
	v_clz_i32_u32_e32 v3, v28
	v_min_u32_e32 v3, 32, v3
	s_delay_alu instid0(VALU_DEP_1) | instskip(SKIP_1) | instid1(VALU_DEP_2)
	v_subrev_nc_u32_e32 v11, 28, v3
	v_sub_nc_u32_e32 v3, 29, v3
	v_lshlrev_b64 v[172:173], v11, v[28:29]
	s_delay_alu instid0(VALU_DEP_1)
	v_and_b32_e32 v28, 7, v172
; %bb.413:                              ;   in Loop: Header=BB231_13 Depth=1
	s_or_b32 exec_lo, exec_lo, s26
	v_dual_mov_b32 v172, v29 :: v_dual_lshlrev_b32 v11, 16, v114
	s_delay_alu instid0(VALU_DEP_2) | instskip(SKIP_1) | instid1(VALU_DEP_3)
	v_lshlrev_b32_e32 v26, 20, v28
	v_lshl_add_u32 v3, v3, 23, 0x3c000000
	v_and_b32_e32 v11, 0x80000000, v11
	s_delay_alu instid0(VALU_DEP_1)
	v_or3_b32 v173, v26, v11, v3
.LBB231_414:                            ;   in Loop: Header=BB231_13 Depth=1
	s_or_b32 exec_lo, exec_lo, s18
.LBB231_415:                            ;   in Loop: Header=BB231_13 Depth=1
	s_delay_alu instid0(SALU_CYCLE_1)
	s_or_b32 exec_lo, exec_lo, s25
.LBB231_416:                            ;   in Loop: Header=BB231_13 Depth=1
	s_delay_alu instid0(SALU_CYCLE_1)
	s_or_b32 exec_lo, exec_lo, s24
	flat_load_u16 v3, v[150:151] offset:1540
	v_mov_b32_e32 v184, 0
	v_mov_b32_e32 v185, 0
	s_mov_b32 s18, exec_lo
	s_waitcnt vmcnt(0) lgkmcnt(0)
	v_and_b32_e32 v114, 0xffff, v3
	v_and_b32_e32 v11, 0xff, v3
	v_dual_mov_b32 v187, v185 :: v_dual_mov_b32 v186, v184
	s_delay_alu instid0(VALU_DEP_2)
	v_cmpx_ne_u16_e32 0, v11
	s_cbranch_execz .LBB231_424
; %bb.417:                              ;   in Loop: Header=BB231_13 Depth=1
	v_bfrev_b32_e32 v186, 1
	v_and_b32_e32 v3, 0xff, v114
	v_mov_b32_e32 v187, 0
	s_mov_b32 s24, exec_lo
	s_delay_alu instid0(VALU_DEP_2)
	v_cmpx_ne_u16_e32 0x80, v3
	s_cbranch_execz .LBB231_423
; %bb.418:                              ;   in Loop: Header=BB231_13 Depth=1
	v_mov_b32_e32 v186, 0x7f800001
	v_and_b32_e32 v11, 0x7f, v114
	v_mov_b32_e32 v187, 0
	s_mov_b32 s25, exec_lo
	s_delay_alu instid0(VALU_DEP_2)
	v_cmpx_ne_u32_e32 0x7f, v11
	s_cbranch_execz .LBB231_422
; %bb.419:                              ;   in Loop: Header=BB231_13 Depth=1
	v_and_b32_e32 v28, 7, v114
	v_lshrrev_b32_e32 v3, 3, v11
	s_mov_b32 s26, exec_lo
	v_cmpx_gt_u32_e32 8, v11
; %bb.420:                              ;   in Loop: Header=BB231_13 Depth=1
	s_delay_alu instid0(VALU_DEP_3) | instskip(NEXT) | instid1(VALU_DEP_1)
	v_clz_i32_u32_e32 v3, v28
	v_min_u32_e32 v3, 32, v3
	s_delay_alu instid0(VALU_DEP_1) | instskip(SKIP_1) | instid1(VALU_DEP_2)
	v_subrev_nc_u32_e32 v11, 28, v3
	v_sub_nc_u32_e32 v3, 29, v3
	v_lshlrev_b64 v[186:187], v11, v[28:29]
	s_delay_alu instid0(VALU_DEP_1)
	v_and_b32_e32 v28, 7, v186
; %bb.421:                              ;   in Loop: Header=BB231_13 Depth=1
	s_or_b32 exec_lo, exec_lo, s26
	v_lshlrev_b32_e32 v11, 24, v114
	s_delay_alu instid0(VALU_DEP_2) | instskip(SKIP_1) | instid1(VALU_DEP_3)
	v_lshlrev_b32_e32 v26, 20, v28
	v_lshl_add_u32 v3, v3, 23, 0x3c000000
	v_and_b32_e32 v11, 0x80000000, v11
	s_delay_alu instid0(VALU_DEP_1) | instskip(NEXT) | instid1(VALU_DEP_1)
	v_or3_b32 v28, v26, v11, v3
	v_dual_mov_b32 v187, v29 :: v_dual_mov_b32 v186, v28
.LBB231_422:                            ;   in Loop: Header=BB231_13 Depth=1
	s_or_b32 exec_lo, exec_lo, s25
.LBB231_423:                            ;   in Loop: Header=BB231_13 Depth=1
	s_delay_alu instid0(SALU_CYCLE_1)
	s_or_b32 exec_lo, exec_lo, s24
.LBB231_424:                            ;   in Loop: Header=BB231_13 Depth=1
	s_delay_alu instid0(SALU_CYCLE_1) | instskip(SKIP_2) | instid1(VALU_DEP_1)
	s_or_b32 exec_lo, exec_lo, s18
	v_lshrrev_b16 v3, 8, v114
	s_mov_b32 s24, exec_lo
	v_cmpx_ne_u16_e32 0, v3
	s_cbranch_execz .LBB231_432
; %bb.425:                              ;   in Loop: Header=BB231_13 Depth=1
	v_dual_mov_b32 v185, s17 :: v_dual_mov_b32 v184, s16
	s_mov_b32 s25, exec_lo
	v_cmpx_ne_u16_e32 0x80, v3
	s_cbranch_execz .LBB231_431
; %bb.426:                              ;   in Loop: Header=BB231_13 Depth=1
	s_mov_b32 s18, s16
	v_and_b32_e32 v3, 0xffff, v3
	v_dual_mov_b32 v185, s19 :: v_dual_mov_b32 v184, s18
	s_mov_b32 s18, exec_lo
	s_delay_alu instid0(VALU_DEP_2) | instskip(NEXT) | instid1(VALU_DEP_1)
	v_and_b32_e32 v115, 0x7f, v3
	v_cmpx_ne_u32_e32 0x7f, v115
	s_cbranch_execz .LBB231_430
; %bb.427:                              ;   in Loop: Header=BB231_13 Depth=1
	v_and_b32_e32 v28, 7, v3
	v_lshrrev_b32_e32 v3, 3, v115
	s_mov_b32 s26, exec_lo
	v_cmpx_gt_u32_e32 8, v115
; %bb.428:                              ;   in Loop: Header=BB231_13 Depth=1
	s_delay_alu instid0(VALU_DEP_3) | instskip(NEXT) | instid1(VALU_DEP_1)
	v_clz_i32_u32_e32 v3, v28
	v_min_u32_e32 v3, 32, v3
	s_delay_alu instid0(VALU_DEP_1) | instskip(SKIP_1) | instid1(VALU_DEP_2)
	v_subrev_nc_u32_e32 v11, 28, v3
	v_sub_nc_u32_e32 v3, 29, v3
	v_lshlrev_b64 v[184:185], v11, v[28:29]
	s_delay_alu instid0(VALU_DEP_1)
	v_and_b32_e32 v28, 7, v184
; %bb.429:                              ;   in Loop: Header=BB231_13 Depth=1
	s_or_b32 exec_lo, exec_lo, s26
	v_dual_mov_b32 v184, v29 :: v_dual_lshlrev_b32 v11, 16, v114
	s_delay_alu instid0(VALU_DEP_2) | instskip(SKIP_1) | instid1(VALU_DEP_3)
	v_lshlrev_b32_e32 v26, 20, v28
	v_lshl_add_u32 v3, v3, 23, 0x3c000000
	v_and_b32_e32 v11, 0x80000000, v11
	s_delay_alu instid0(VALU_DEP_1)
	v_or3_b32 v185, v26, v11, v3
.LBB231_430:                            ;   in Loop: Header=BB231_13 Depth=1
	s_or_b32 exec_lo, exec_lo, s18
.LBB231_431:                            ;   in Loop: Header=BB231_13 Depth=1
	s_delay_alu instid0(SALU_CYCLE_1)
	s_or_b32 exec_lo, exec_lo, s25
.LBB231_432:                            ;   in Loop: Header=BB231_13 Depth=1
	s_delay_alu instid0(SALU_CYCLE_1) | instskip(SKIP_1) | instid1(VALU_DEP_1)
	s_or_b32 exec_lo, exec_lo, s24
	v_add_co_u32 v114, s2, 0x600, v150
	v_add_co_ci_u32_e64 v115, s2, 0, v151, s2
	s_mov_b32 s18, exec_lo
	flat_load_u16 v3, v[114:115] offset:8
	v_mov_b32_e32 v150, 0
	s_waitcnt vmcnt(0) lgkmcnt(0)
	v_dual_mov_b32 v151, 0 :: v_dual_and_b32 v190, 0xffff, v3
	v_and_b32_e32 v11, 0xff, v3
	s_delay_alu instid0(VALU_DEP_2) | instskip(NEXT) | instid1(VALU_DEP_2)
	v_dual_mov_b32 v189, v151 :: v_dual_mov_b32 v188, v150
	v_cmpx_ne_u16_e32 0, v11
	s_cbranch_execz .LBB231_440
; %bb.433:                              ;   in Loop: Header=BB231_13 Depth=1
	v_bfrev_b32_e32 v188, 1
	v_and_b32_e32 v3, 0xff, v190
	v_mov_b32_e32 v189, 0
	s_mov_b32 s24, exec_lo
	s_delay_alu instid0(VALU_DEP_2)
	v_cmpx_ne_u16_e32 0x80, v3
	s_cbranch_execz .LBB231_439
; %bb.434:                              ;   in Loop: Header=BB231_13 Depth=1
	v_mov_b32_e32 v188, 0x7f800001
	v_and_b32_e32 v11, 0x7f, v190
	v_mov_b32_e32 v189, 0
	s_mov_b32 s25, exec_lo
	s_delay_alu instid0(VALU_DEP_2)
	v_cmpx_ne_u32_e32 0x7f, v11
	s_cbranch_execz .LBB231_438
; %bb.435:                              ;   in Loop: Header=BB231_13 Depth=1
	v_and_b32_e32 v28, 7, v190
	v_lshrrev_b32_e32 v3, 3, v11
	s_mov_b32 s26, exec_lo
	v_cmpx_gt_u32_e32 8, v11
; %bb.436:                              ;   in Loop: Header=BB231_13 Depth=1
	s_delay_alu instid0(VALU_DEP_3) | instskip(NEXT) | instid1(VALU_DEP_1)
	v_clz_i32_u32_e32 v3, v28
	v_min_u32_e32 v3, 32, v3
	s_delay_alu instid0(VALU_DEP_1) | instskip(SKIP_1) | instid1(VALU_DEP_2)
	v_subrev_nc_u32_e32 v11, 28, v3
	v_sub_nc_u32_e32 v3, 29, v3
	v_lshlrev_b64 v[188:189], v11, v[28:29]
	s_delay_alu instid0(VALU_DEP_1)
	v_and_b32_e32 v28, 7, v188
; %bb.437:                              ;   in Loop: Header=BB231_13 Depth=1
	s_or_b32 exec_lo, exec_lo, s26
	v_lshlrev_b32_e32 v11, 24, v190
	s_delay_alu instid0(VALU_DEP_2) | instskip(SKIP_1) | instid1(VALU_DEP_3)
	v_lshlrev_b32_e32 v26, 20, v28
	v_lshl_add_u32 v3, v3, 23, 0x3c000000
	v_and_b32_e32 v11, 0x80000000, v11
	s_delay_alu instid0(VALU_DEP_1) | instskip(NEXT) | instid1(VALU_DEP_1)
	v_or3_b32 v28, v26, v11, v3
	v_dual_mov_b32 v189, v29 :: v_dual_mov_b32 v188, v28
.LBB231_438:                            ;   in Loop: Header=BB231_13 Depth=1
	s_or_b32 exec_lo, exec_lo, s25
.LBB231_439:                            ;   in Loop: Header=BB231_13 Depth=1
	s_delay_alu instid0(SALU_CYCLE_1)
	s_or_b32 exec_lo, exec_lo, s24
.LBB231_440:                            ;   in Loop: Header=BB231_13 Depth=1
	s_delay_alu instid0(SALU_CYCLE_1) | instskip(SKIP_2) | instid1(VALU_DEP_1)
	s_or_b32 exec_lo, exec_lo, s18
	v_lshrrev_b16 v3, 8, v190
	s_mov_b32 s24, exec_lo
	v_cmpx_ne_u16_e32 0, v3
	s_cbranch_execz .LBB231_448
; %bb.441:                              ;   in Loop: Header=BB231_13 Depth=1
	v_dual_mov_b32 v151, s17 :: v_dual_mov_b32 v150, s16
	s_mov_b32 s25, exec_lo
	v_cmpx_ne_u16_e32 0x80, v3
	s_cbranch_execz .LBB231_447
; %bb.442:                              ;   in Loop: Header=BB231_13 Depth=1
	s_mov_b32 s18, s16
	v_and_b32_e32 v3, 0xffff, v3
	v_dual_mov_b32 v151, s19 :: v_dual_mov_b32 v150, s18
	s_mov_b32 s18, exec_lo
	s_delay_alu instid0(VALU_DEP_2) | instskip(NEXT) | instid1(VALU_DEP_1)
	v_and_b32_e32 v191, 0x7f, v3
	v_cmpx_ne_u32_e32 0x7f, v191
	s_cbranch_execz .LBB231_446
; %bb.443:                              ;   in Loop: Header=BB231_13 Depth=1
	v_and_b32_e32 v28, 7, v3
	v_lshrrev_b32_e32 v3, 3, v191
	s_mov_b32 s26, exec_lo
	v_cmpx_gt_u32_e32 8, v191
; %bb.444:                              ;   in Loop: Header=BB231_13 Depth=1
	s_delay_alu instid0(VALU_DEP_3) | instskip(NEXT) | instid1(VALU_DEP_1)
	v_clz_i32_u32_e32 v3, v28
	v_min_u32_e32 v3, 32, v3
	s_delay_alu instid0(VALU_DEP_1) | instskip(SKIP_1) | instid1(VALU_DEP_2)
	v_subrev_nc_u32_e32 v11, 28, v3
	v_sub_nc_u32_e32 v3, 29, v3
	v_lshlrev_b64 v[150:151], v11, v[28:29]
	s_delay_alu instid0(VALU_DEP_1)
	v_and_b32_e32 v28, 7, v150
; %bb.445:                              ;   in Loop: Header=BB231_13 Depth=1
	s_or_b32 exec_lo, exec_lo, s26
	v_dual_mov_b32 v150, v29 :: v_dual_lshlrev_b32 v11, 16, v190
	s_delay_alu instid0(VALU_DEP_2) | instskip(SKIP_1) | instid1(VALU_DEP_3)
	v_lshlrev_b32_e32 v26, 20, v28
	v_lshl_add_u32 v3, v3, 23, 0x3c000000
	v_and_b32_e32 v11, 0x80000000, v11
	s_delay_alu instid0(VALU_DEP_1)
	v_or3_b32 v151, v26, v11, v3
.LBB231_446:                            ;   in Loop: Header=BB231_13 Depth=1
	s_or_b32 exec_lo, exec_lo, s18
.LBB231_447:                            ;   in Loop: Header=BB231_13 Depth=1
	s_delay_alu instid0(SALU_CYCLE_1)
	s_or_b32 exec_lo, exec_lo, s25
.LBB231_448:                            ;   in Loop: Header=BB231_13 Depth=1
	s_delay_alu instid0(SALU_CYCLE_1) | instskip(SKIP_4) | instid1(VALU_DEP_1)
	s_or_b32 exec_lo, exec_lo, s24
	flat_load_u16 v3, v[114:115] offset:12
	v_mov_b32_e32 v190, 0
	v_mov_b32_e32 v191, 0
	s_mov_b32 s18, exec_lo
	v_dual_mov_b32 v114, v190 :: v_dual_mov_b32 v115, v191
	s_waitcnt vmcnt(0) lgkmcnt(0)
	v_and_b32_e32 v11, 0xff, v3
	v_and_b32_e32 v3, 0xffff, v3
	s_delay_alu instid0(VALU_DEP_2)
	v_cmpx_ne_u16_e32 0, v11
	s_cbranch_execz .LBB231_456
; %bb.449:                              ;   in Loop: Header=BB231_13 Depth=1
	v_bfrev_b32_e32 v114, 1
	s_delay_alu instid0(VALU_DEP_3) | instskip(SKIP_2) | instid1(VALU_DEP_2)
	v_and_b32_e32 v11, 0xff, v3
	v_mov_b32_e32 v115, 0
	s_mov_b32 s24, exec_lo
	v_cmpx_ne_u16_e32 0x80, v11
	s_cbranch_execz .LBB231_455
; %bb.450:                              ;   in Loop: Header=BB231_13 Depth=1
	v_mov_b32_e32 v114, 0x7f800001
	v_and_b32_e32 v11, 0x7f, v3
	v_mov_b32_e32 v115, 0
	s_mov_b32 s25, exec_lo
	s_delay_alu instid0(VALU_DEP_2)
	v_cmpx_ne_u32_e32 0x7f, v11
	s_cbranch_execz .LBB231_454
; %bb.451:                              ;   in Loop: Header=BB231_13 Depth=1
	v_and_b32_e32 v28, 7, v3
	v_lshrrev_b32_e32 v114, 3, v11
	s_mov_b32 s26, exec_lo
	v_cmpx_gt_u32_e32 8, v11
; %bb.452:                              ;   in Loop: Header=BB231_13 Depth=1
	s_delay_alu instid0(VALU_DEP_3) | instskip(NEXT) | instid1(VALU_DEP_1)
	v_clz_i32_u32_e32 v11, v28
	v_min_u32_e32 v11, 32, v11
	s_delay_alu instid0(VALU_DEP_1) | instskip(SKIP_1) | instid1(VALU_DEP_2)
	v_subrev_nc_u32_e32 v26, 28, v11
	v_sub_nc_u32_e32 v114, 29, v11
	v_lshlrev_b64 v[26:27], v26, v[28:29]
	s_delay_alu instid0(VALU_DEP_1)
	v_and_b32_e32 v28, 7, v26
; %bb.453:                              ;   in Loop: Header=BB231_13 Depth=1
	s_or_b32 exec_lo, exec_lo, s26
	v_lshlrev_b32_e32 v11, 24, v3
	s_delay_alu instid0(VALU_DEP_2) | instskip(SKIP_1) | instid1(VALU_DEP_3)
	v_lshlrev_b32_e32 v26, 20, v28
	v_lshl_add_u32 v27, v114, 23, 0x3c000000
	v_and_b32_e32 v11, 0x80000000, v11
	s_delay_alu instid0(VALU_DEP_1) | instskip(NEXT) | instid1(VALU_DEP_1)
	v_or3_b32 v28, v26, v11, v27
	v_dual_mov_b32 v115, v29 :: v_dual_mov_b32 v114, v28
.LBB231_454:                            ;   in Loop: Header=BB231_13 Depth=1
	s_or_b32 exec_lo, exec_lo, s25
.LBB231_455:                            ;   in Loop: Header=BB231_13 Depth=1
	s_delay_alu instid0(SALU_CYCLE_1)
	s_or_b32 exec_lo, exec_lo, s24
.LBB231_456:                            ;   in Loop: Header=BB231_13 Depth=1
	s_delay_alu instid0(SALU_CYCLE_1) | instskip(NEXT) | instid1(VALU_DEP_2)
	s_or_b32 exec_lo, exec_lo, s18
	v_lshrrev_b16 v28, 8, v3
	s_mov_b32 s24, exec_lo
	s_delay_alu instid0(VALU_DEP_1)
	v_cmpx_ne_u16_e32 0, v28
	s_cbranch_execz .LBB231_464
; %bb.457:                              ;   in Loop: Header=BB231_13 Depth=1
	v_dual_mov_b32 v191, s17 :: v_dual_mov_b32 v190, s16
	s_mov_b32 s25, exec_lo
	v_cmpx_ne_u16_e32 0x80, v28
	s_cbranch_execz .LBB231_463
; %bb.458:                              ;   in Loop: Header=BB231_13 Depth=1
	s_mov_b32 s18, s16
	v_dual_mov_b32 v191, s19 :: v_dual_and_b32 v28, 0xffff, v28
	v_mov_b32_e32 v190, s18
	s_mov_b32 s18, exec_lo
	s_delay_alu instid0(VALU_DEP_2) | instskip(NEXT) | instid1(VALU_DEP_1)
	v_and_b32_e32 v11, 0x7f, v28
	v_cmpx_ne_u32_e32 0x7f, v11
	s_cbranch_execz .LBB231_462
; %bb.459:                              ;   in Loop: Header=BB231_13 Depth=1
	v_and_b32_e32 v28, 7, v28
	v_lshrrev_b32_e32 v190, 3, v11
	s_mov_b32 s26, exec_lo
	v_cmpx_gt_u32_e32 8, v11
; %bb.460:                              ;   in Loop: Header=BB231_13 Depth=1
	s_delay_alu instid0(VALU_DEP_3) | instskip(NEXT) | instid1(VALU_DEP_1)
	v_clz_i32_u32_e32 v11, v28
	v_min_u32_e32 v11, 32, v11
	s_delay_alu instid0(VALU_DEP_1) | instskip(SKIP_1) | instid1(VALU_DEP_2)
	v_subrev_nc_u32_e32 v26, 28, v11
	v_sub_nc_u32_e32 v190, 29, v11
	v_lshlrev_b64 v[26:27], v26, v[28:29]
	s_delay_alu instid0(VALU_DEP_1)
	v_and_b32_e32 v28, 7, v26
; %bb.461:                              ;   in Loop: Header=BB231_13 Depth=1
	s_or_b32 exec_lo, exec_lo, s26
	v_lshlrev_b32_e32 v3, 16, v3
	s_delay_alu instid0(VALU_DEP_2) | instskip(SKIP_1) | instid1(VALU_DEP_3)
	v_lshlrev_b32_e32 v11, 20, v28
	v_lshl_add_u32 v26, v190, 23, 0x3c000000
	v_dual_mov_b32 v190, v29 :: v_dual_and_b32 v3, 0x80000000, v3
	s_delay_alu instid0(VALU_DEP_1)
	v_or3_b32 v191, v11, v3, v26
.LBB231_462:                            ;   in Loop: Header=BB231_13 Depth=1
	s_or_b32 exec_lo, exec_lo, s18
.LBB231_463:                            ;   in Loop: Header=BB231_13 Depth=1
	s_delay_alu instid0(SALU_CYCLE_1)
	s_or_b32 exec_lo, exec_lo, s25
.LBB231_464:                            ;   in Loop: Header=BB231_13 Depth=1
	s_delay_alu instid0(SALU_CYCLE_1) | instskip(SKIP_4) | instid1(VALU_DEP_3)
	s_or_b32 exec_lo, exec_lo, s24
	v_or_b32_e32 v3, v134, v144
	v_or_b32_e32 v26, v130, v132
	;; [unrolled: 1-line block ×4, first 2 shown]
	v_mul_f32_e32 v26, v10, v26
	v_mul_f32_e32 v3, v10, v3
	s_delay_alu instid0(VALU_DEP_1) | instskip(SKIP_3) | instid1(VALU_DEP_4)
	v_mul_f32_e32 v28, v102, v3
	v_mul_f32_e32 v3, v10, v11
	;; [unrolled: 1-line block ×3, first 2 shown]
	v_or_b32_e32 v27, v160, v162
	v_fmac_f32_e32 v28, v100, v26
	v_or_b32_e32 v26, v161, v163
	v_mul_f32_e32 v100, v103, v3
	v_or_b32_e32 v3, v146, v148
	s_delay_alu instid0(VALU_DEP_2) | instskip(SKIP_1) | instid1(VALU_DEP_3)
	v_fmac_f32_e32 v100, v101, v11
	v_or_b32_e32 v11, v147, v149
	v_mul_f32_e32 v3, v10, v3
	s_delay_alu instid0(VALU_DEP_1) | instskip(NEXT) | instid1(VALU_DEP_3)
	v_fmac_f32_e32 v28, v96, v3
	v_mul_f32_e32 v3, v10, v11
	v_or_b32_e32 v11, v165, v167
	s_delay_alu instid0(VALU_DEP_2) | instskip(SKIP_2) | instid1(VALU_DEP_2)
	v_fmac_f32_e32 v100, v97, v3
	v_mul_f32_e32 v3, v10, v27
	v_or_b32_e32 v27, v176, v178
	v_fmac_f32_e32 v28, v98, v3
	v_mul_f32_e32 v3, v10, v26
	v_or_b32_e32 v26, v177, v179
	s_delay_alu instid0(VALU_DEP_2) | instskip(SKIP_1) | instid1(VALU_DEP_1)
	v_fmac_f32_e32 v100, v99, v3
	v_or_b32_e32 v3, v164, v166
	v_mul_f32_e32 v3, v10, v3
	s_delay_alu instid0(VALU_DEP_1) | instskip(SKIP_2) | instid1(VALU_DEP_2)
	v_fmac_f32_e32 v28, v84, v3
	v_mul_f32_e32 v3, v10, v11
	v_or_b32_e32 v11, v181, v183
	v_fmac_f32_e32 v100, v85, v3
	v_mul_f32_e32 v3, v10, v27
	v_or_b32_e32 v27, v39, v41
	s_delay_alu instid0(VALU_DEP_2) | instskip(SKIP_2) | instid1(VALU_DEP_2)
	v_fmac_f32_e32 v28, v86, v3
	v_mul_f32_e32 v3, v10, v26
	v_or_b32_e32 v26, v40, v42
	v_fmac_f32_e32 v100, v87, v3
	v_or_b32_e32 v3, v180, v182
	s_delay_alu instid0(VALU_DEP_1) | instskip(NEXT) | instid1(VALU_DEP_1)
	v_mul_f32_e32 v3, v10, v3
	v_fmac_f32_e32 v28, v80, v3
	v_mul_f32_e32 v3, v10, v11
	v_or_b32_e32 v11, v44, v46
	s_delay_alu instid0(VALU_DEP_2) | instskip(SKIP_2) | instid1(VALU_DEP_2)
	v_fmac_f32_e32 v100, v81, v3
	v_mul_f32_e32 v3, v10, v27
	v_or_b32_e32 v27, v56, v58
	v_fmac_f32_e32 v28, v82, v3
	v_mul_f32_e32 v3, v10, v26
	v_or_b32_e32 v26, v57, v59
	s_delay_alu instid0(VALU_DEP_2) | instskip(SKIP_1) | instid1(VALU_DEP_1)
	v_fmac_f32_e32 v100, v83, v3
	v_or_b32_e32 v3, v43, v45
	v_mul_f32_e32 v3, v10, v3
	s_delay_alu instid0(VALU_DEP_1) | instskip(SKIP_2) | instid1(VALU_DEP_2)
	v_fmac_f32_e32 v28, v68, v3
	v_mul_f32_e32 v3, v10, v11
	v_or_b32_e32 v11, v61, v63
	v_fmac_f32_e32 v100, v69, v3
	v_mul_f32_e32 v3, v10, v27
	v_or_b32_e32 v27, v72, v74
	s_delay_alu instid0(VALU_DEP_2) | instskip(SKIP_2) | instid1(VALU_DEP_2)
	v_fmac_f32_e32 v28, v70, v3
	v_mul_f32_e32 v3, v10, v26
	v_or_b32_e32 v26, v73, v75
	v_fmac_f32_e32 v100, v71, v3
	v_or_b32_e32 v3, v60, v62
	s_delay_alu instid0(VALU_DEP_1) | instskip(NEXT) | instid1(VALU_DEP_1)
	v_mul_f32_e32 v3, v10, v3
	;; [unrolled: 29-line block ×3, first 2 shown]
	v_fmac_f32_e32 v28, v48, v3
	v_mul_f32_e32 v3, v10, v11
	v_or_b32_e32 v11, v109, v111
	s_delay_alu instid0(VALU_DEP_2) | instskip(SKIP_2) | instid1(VALU_DEP_2)
	v_fmac_f32_e32 v100, v49, v3
	v_mul_f32_e32 v3, v10, v27
	v_or_b32_e32 v27, v120, v122
	v_fmac_f32_e32 v28, v50, v3
	v_mul_f32_e32 v3, v10, v26
	v_or_b32_e32 v26, v121, v123
	s_delay_alu instid0(VALU_DEP_2) | instskip(SKIP_1) | instid1(VALU_DEP_1)
	v_fmac_f32_e32 v100, v51, v3
	v_or_b32_e32 v3, v108, v110
	v_mul_f32_e32 v3, v10, v3
	s_delay_alu instid0(VALU_DEP_1) | instskip(SKIP_2) | instid1(VALU_DEP_2)
	v_fmac_f32_e32 v28, v35, v3
	v_mul_f32_e32 v3, v10, v11
	v_or_b32_e32 v11, v125, v127
	v_fmac_f32_e32 v100, v36, v3
	v_mul_f32_e32 v3, v10, v27
	v_or_b32_e32 v27, v136, v138
	s_delay_alu instid0(VALU_DEP_2) | instskip(SKIP_1) | instid1(VALU_DEP_2)
	v_dual_fmac_f32 v28, v37, v3 :: v_dual_mul_f32 v3, v10, v26
	v_or_b32_e32 v26, v137, v139
	v_fmac_f32_e32 v100, v38, v3
	v_or_b32_e32 v3, v124, v126
	s_delay_alu instid0(VALU_DEP_1) | instskip(NEXT) | instid1(VALU_DEP_1)
	v_mul_f32_e32 v3, v10, v3
	v_fmac_f32_e32 v28, v31, v3
	v_mul_f32_e32 v3, v10, v11
	v_or_b32_e32 v11, v141, v143
	s_delay_alu instid0(VALU_DEP_2) | instskip(SKIP_2) | instid1(VALU_DEP_2)
	v_fmac_f32_e32 v100, v32, v3
	v_mul_f32_e32 v3, v10, v27
	v_or_b32_e32 v27, v152, v154
	v_dual_fmac_f32 v28, v33, v3 :: v_dual_mul_f32 v3, v10, v26
	v_or_b32_e32 v26, v153, v155
	s_delay_alu instid0(VALU_DEP_2) | instskip(SKIP_1) | instid1(VALU_DEP_1)
	v_fmac_f32_e32 v100, v34, v3
	v_or_b32_e32 v3, v140, v142
	v_mul_f32_e32 v3, v10, v3
	s_delay_alu instid0(VALU_DEP_1) | instskip(SKIP_3) | instid1(VALU_DEP_3)
	v_fmac_f32_e32 v28, v16, v3
	v_mul_f32_e32 v3, v10, v11
	v_or_b32_e32 v16, v156, v158
	v_or_b32_e32 v11, v168, v170
	v_fmac_f32_e32 v100, v17, v3
	v_mul_f32_e32 v3, v10, v27
	v_or_b32_e32 v17, v157, v159
	v_mul_f32_e32 v16, v10, v16
	v_or_b32_e32 v27, v190, v114
	s_delay_alu instid0(VALU_DEP_4) | instskip(SKIP_3) | instid1(VALU_DEP_4)
	v_fmac_f32_e32 v28, v18, v3
	v_mul_f32_e32 v3, v10, v26
	v_or_b32_e32 v18, v185, v187
	v_or_b32_e32 v26, v191, v115
	v_fmac_f32_e32 v28, v6, v16
	s_delay_alu instid0(VALU_DEP_4)
	v_fmac_f32_e32 v100, v19, v3
	v_mul_f32_e32 v6, v10, v17
	v_or_b32_e32 v3, v169, v171
	v_or_b32_e32 v16, v173, v175
	;; [unrolled: 1-line block ×3, first 2 shown]
	v_mul_f32_e32 v18, v10, v18
	v_fmac_f32_e32 v100, v7, v6
	v_mul_f32_e32 v6, v10, v11
	v_mul_f32_e32 v3, v10, v3
	;; [unrolled: 1-line block ×3, first 2 shown]
	v_or_b32_e32 v11, v150, v188
	s_delay_alu instid0(VALU_DEP_4) | instskip(SKIP_4) | instid1(VALU_DEP_4)
	v_dual_mul_f32 v19, v10, v19 :: v_dual_fmac_f32 v28, v8, v6
	v_or_b32_e32 v6, v172, v174
	v_fmac_f32_e32 v100, v9, v3
	v_or_b32_e32 v3, v151, v189
	v_mul_f32_e32 v11, v10, v11
	v_mul_f32_e32 v6, v10, v6
	s_delay_alu instid0(VALU_DEP_4)
	v_fmac_f32_e32 v100, v129, v16
	ds_load_b64 v[16:17], v1 offset:216
	v_dual_mul_f32 v3, v10, v3 :: v_dual_fmac_f32 v28, v128, v6
	ds_load_2addr_b64 v[6:9], v1 offset0:25 offset1:26
	s_waitcnt lgkmcnt(0)
	v_fmac_f32_e32 v28, v6, v19
	v_fmac_f32_e32 v100, v7, v18
	v_xor_b32_e32 v6, 1, v4
	v_mul_f32_e32 v7, v10, v26
	v_mul_f32_e32 v10, v10, v27
	v_fmac_f32_e32 v28, v8, v11
	v_fmac_f32_e32 v100, v9, v3
	v_cmp_gt_i32_e64 s2, 32, v6
	s_delay_alu instid0(VALU_DEP_3) | instskip(NEXT) | instid1(VALU_DEP_3)
	v_fmac_f32_e32 v28, v16, v10
	v_fmac_f32_e32 v100, v17, v7
	s_delay_alu instid0(VALU_DEP_3) | instskip(NEXT) | instid1(VALU_DEP_1)
	v_cndmask_b32_e64 v3, v4, v6, s2
	v_dual_add_f32 v3, v28, v100 :: v_dual_lshlrev_b32 v6, 2, v3
	ds_bpermute_b32 v6, v6, v3
	s_and_saveexec_b32 s18, vcc_lo
	s_cbranch_execz .LBB231_11
; %bb.465:                              ;   in Loop: Header=BB231_13 Depth=1
	scratch_load_b32 v7, off, s32 offset:364 ; 4-byte Folded Reload
	s_waitcnt lgkmcnt(0)
	v_add_f32_e32 v3, v3, v6
	s_load_b32 s24, s[8:9], 0x0
	s_waitcnt vmcnt(0)
	v_add_nc_u32_e32 v7, v7, v0
	s_delay_alu instid0(VALU_DEP_1) | instskip(NEXT) | instid1(VALU_DEP_1)
	v_cvt_f32_i32_e32 v7, v7
	v_mul_f32_e32 v7, v15, v7
	s_delay_alu instid0(VALU_DEP_1) | instskip(SKIP_1) | instid1(VALU_DEP_2)
	v_cndmask_b32_e64 v6, 0, v7, s1
	v_max_f32_e32 v7, v5, v5
	v_fmac_f32_e32 v6, v3, v13
	scratch_load_b32 v3, off, s32 offset:360 ; 4-byte Folded Reload
	s_waitcnt vmcnt(0)
	v_add_nc_u32_e32 v3, v3, v0
	s_delay_alu instid0(VALU_DEP_1) | instskip(SKIP_3) | instid1(VALU_DEP_3)
	v_cmp_lt_i32_e64 s2, v3, v47
	s_waitcnt lgkmcnt(0)
	v_add_nc_u32_e32 v3, s24, v30
	v_max_f32_e32 v7, v7, v6
	v_cndmask_b32_e64 v6, 0, v6, s2
	s_delay_alu instid0(VALU_DEP_2)
	v_cndmask_b32_e64 v5, v5, v7, s2
	ds_store_b32 v3, v6
	s_branch .LBB231_11
.LBB231_466:
	s_or_b32 exec_lo, exec_lo, s23
	s_clause 0xe
	scratch_load_b32 v15, off, s32 offset:380
	scratch_load_b32 v26, off, s32 offset:384
	scratch_load_b32 v30, off, s32 offset:388
	scratch_load_b32 v27, off, s32 offset:392
	scratch_load_b32 v55, off, s32 offset:396
	scratch_load_b32 v32, off, s32 offset:400
	scratch_load_b32 v33, off, s32 offset:404
	scratch_load_b32 v34, off, s32 offset:408
	scratch_load_b32 v35, off, s32 offset:412
	scratch_load_b32 v17, off, s32 offset:416
	scratch_load_b64 v[18:19], off, s32 offset:420
	scratch_load_b32 v65, off, s32 offset:428
	scratch_load_b32 v14, off, s32 offset:432
	;; [unrolled: 1-line block ×4, first 2 shown]
.LBB231_467:
	s_or_b32 exec_lo, exec_lo, s22
	v_xor_b32_e32 v0, 16, v4
	v_xor_b32_e32 v1, 8, v4
	scratch_load_b32 v11, off, s32 offset:356 ; 4-byte Folded Reload
	s_waitcnt lgkmcnt(0)
	v_xor_b32_e32 v6, 2, v4
	s_lshr_b32 s8, s21, 16
	v_cmp_gt_i32_e32 vcc_lo, 32, v0
	v_cndmask_b32_e32 v0, v4, v0, vcc_lo
	v_cmp_gt_i32_e32 vcc_lo, 32, v1
	s_delay_alu instid0(VALU_DEP_2) | instskip(SKIP_4) | instid1(VALU_DEP_1)
	v_dual_cndmask_b32 v1, v4, v1 :: v_dual_lshlrev_b32 v2, 2, v0
	ds_bpermute_b32 v0, v2, v5
	v_max_f32_e32 v5, v5, v5
	s_waitcnt lgkmcnt(0)
	v_dual_max_f32 v0, v0, v0 :: v_dual_lshlrev_b32 v3, 2, v1
	v_max_f32_e32 v0, v5, v0
	v_xor_b32_e32 v5, 4, v4
	s_delay_alu instid0(VALU_DEP_1) | instskip(SKIP_4) | instid1(VALU_DEP_1)
	v_cmp_gt_i32_e32 vcc_lo, 32, v5
	v_cndmask_b32_e32 v5, v4, v5, vcc_lo
	ds_bpermute_b32 v1, v3, v0
	v_cmp_gt_i32_e32 vcc_lo, 32, v6
	v_dual_cndmask_b32 v6, v4, v6 :: v_dual_lshlrev_b32 v5, 2, v5
	v_lshlrev_b32_e32 v25, 2, v6
	scratch_load_b32 v6, off, s32 offset:368 ; 4-byte Folded Reload
	s_waitcnt lgkmcnt(0)
	v_max_f32_e32 v1, v1, v1
	s_delay_alu instid0(VALU_DEP_1) | instskip(SKIP_3) | instid1(VALU_DEP_1)
	v_max_f32_e32 v0, v0, v1
	ds_bpermute_b32 v1, v5, v0
	s_waitcnt vmcnt(1) lgkmcnt(0)
	v_dual_max_f32 v1, v1, v1 :: v_dual_and_b32 v24, 31, v11
	v_max_f32_e32 v0, v0, v1
	s_delay_alu instid0(VALU_DEP_2)
	v_cmp_eq_u32_e32 vcc_lo, 0, v24
	ds_bpermute_b32 v1, v25, v0
	s_waitcnt vmcnt(0)
	v_lshlrev_b32_e32 v6, 2, v6
	s_and_saveexec_b32 s1, vcc_lo
	s_cbranch_execz .LBB231_469
; %bb.468:
	s_waitcnt lgkmcnt(0)
	v_dual_max_f32 v1, v1, v1 :: v_dual_max_f32 v0, v0, v0
	s_delay_alu instid0(VALU_DEP_1)
	v_max_f32_e32 v0, v0, v1
	ds_store_b32 v6, v0 offset:448
.LBB231_469:
	s_or_b32 exec_lo, exec_lo, s1
	v_cmp_gt_u32_e64 s1, 4, v24
	v_dual_mov_b32 v0, 0xff7fffff :: v_dual_lshlrev_b32 v7, 2, v24
	s_waitcnt lgkmcnt(0)
	s_waitcnt_vscnt null, 0x0
	s_barrier
	buffer_gl0_inv
	s_and_saveexec_b32 s2, s1
	s_cbranch_execz .LBB231_471
; %bb.470:
	ds_load_b32 v0, v7 offset:448
.LBB231_471:
	s_or_b32 exec_lo, exec_lo, s2
	s_waitcnt lgkmcnt(0)
	ds_bpermute_b32 v1, v25, v0
	v_xor_b32_e32 v8, 1, v4
	v_max_f32_e32 v0, v0, v0
	s_delay_alu instid0(VALU_DEP_2) | instskip(NEXT) | instid1(VALU_DEP_1)
	v_cmp_gt_i32_e64 s2, 32, v8
	v_cndmask_b32_e64 v4, v4, v8, s2
	v_subrev_nc_u32_e32 v8, s13, v22
	s_delay_alu instid0(VALU_DEP_2) | instskip(SKIP_2) | instid1(VALU_DEP_1)
	v_lshlrev_b32_e32 v28, 2, v4
	s_waitcnt lgkmcnt(0)
	v_dual_mov_b32 v4, 0 :: v_dual_max_f32 v1, v1, v1
	v_max_f32_e32 v0, v0, v1
	ds_bpermute_b32 v1, v28, v0
	s_waitcnt lgkmcnt(0)
	v_max_f32_e32 v1, v1, v1
	s_delay_alu instid0(VALU_DEP_1) | instskip(SKIP_3) | instid1(VALU_DEP_1)
	v_max_f32_e32 v0, v0, v1
	v_lshl_add_u32 v1, v8, 4, s15
	ds_bpermute_b32 v0, v4, v0
	v_min_i32_e32 v1, v1, v47
	v_subrev_nc_u32_e32 v1, s15, v1
	s_delay_alu instid0(VALU_DEP_1) | instskip(NEXT) | instid1(VALU_DEP_1)
	v_cmp_lt_i32_e64 s2, v11, v1
	s_and_saveexec_b32 s9, s2
	s_cbranch_execz .LBB231_475
; %bb.472:
	s_getpc_b64 s[16:17]
	s_add_u32 s16, s16, llvm.amdgcn.dynlds.offset.table@rel32@lo+4
	s_addc_u32 s17, s17, llvm.amdgcn.dynlds.offset.table@rel32@hi+12
	s_ashr_i32 s7, s6, 31
	v_dual_mov_b32 v4, 0 :: v_dual_mov_b32 v9, v11
	s_lshl_b64 s[18:19], s[6:7], 2
	s_mov_b32 s7, 0
	s_add_u32 s16, s18, s16
	s_addc_u32 s17, s19, s17
	s_load_b32 s3, s[16:17], 0x0
	s_waitcnt lgkmcnt(0)
	v_lshl_add_u32 v8, v11, 2, s3
	.p2align	6
.LBB231_473:                            ; =>This Inner Loop Header: Depth=1
	ds_load_b32 v10, v8
	v_add_nc_u32_e32 v9, 0x80, v9
	s_delay_alu instid0(VALU_DEP_1) | instskip(NEXT) | instid1(VALU_DEP_1)
	v_cmp_ge_i32_e64 s3, v9, v1
	s_or_b32 s7, s3, s7
	s_waitcnt lgkmcnt(0)
	v_sub_f32_e32 v10, v10, v0
	s_delay_alu instid0(VALU_DEP_1) | instskip(NEXT) | instid1(VALU_DEP_1)
	v_mul_f32_e32 v10, 0x3fb8aa3b, v10
	v_exp_f32_e32 v10, v10
	ds_store_b32 v8, v10
	v_add_f32_e32 v4, v4, v10
	v_add_nc_u32_e32 v8, 0x200, v8
	s_and_not1_b32 exec_lo, exec_lo, s7
	s_cbranch_execnz .LBB231_473
; %bb.474:
	s_or_b32 exec_lo, exec_lo, s7
.LBB231_475:
	s_delay_alu instid0(SALU_CYCLE_1)
	s_or_b32 exec_lo, exec_lo, s9
	ds_bpermute_b32 v2, v2, v4
	s_waitcnt lgkmcnt(0)
	v_add_f32_e32 v2, v4, v2
	ds_bpermute_b32 v3, v3, v2
	s_waitcnt lgkmcnt(0)
	v_add_f32_e32 v2, v2, v3
	;; [unrolled: 3-line block ×5, first 2 shown]
	s_and_saveexec_b32 s3, vcc_lo
	s_cbranch_execz .LBB231_477
; %bb.476:
	ds_store_b32 v6, v2 offset:464
.LBB231_477:
	s_or_b32 exec_lo, exec_lo, s3
	s_waitcnt lgkmcnt(0)
	s_barrier
	buffer_gl0_inv
	s_and_saveexec_b32 s3, s1
	s_cbranch_execz .LBB231_479
; %bb.478:
	ds_load_b32 v2, v7 offset:464
.LBB231_479:
	s_or_b32 exec_lo, exec_lo, s3
	s_waitcnt lgkmcnt(0)
	ds_bpermute_b32 v3, v25, v2
	s_waitcnt lgkmcnt(0)
	v_add_f32_e32 v2, v2, v3
	ds_bpermute_b32 v3, v28, v2
	s_waitcnt lgkmcnt(0)
	v_dual_add_f32 v2, v2, v3 :: v_dual_mov_b32 v3, 0
	ds_bpermute_b32 v2, v3, v2
	s_and_saveexec_b32 s1, s2
	s_cbranch_execz .LBB231_482
; %bb.480:
	s_waitcnt lgkmcnt(0)
	v_add_f32_e32 v4, 0x358637bd, v2
	s_getpc_b64 s[2:3]
	s_add_u32 s2, s2, llvm.amdgcn.dynlds.offset.table@rel32@lo+4
	s_addc_u32 s3, s3, llvm.amdgcn.dynlds.offset.table@rel32@hi+12
	s_ashr_i32 s7, s6, 31
	s_delay_alu instid0(SALU_CYCLE_1) | instskip(SKIP_4) | instid1(VALU_DEP_1)
	s_lshl_b64 s[16:17], s[6:7], 2
	v_div_scale_f32 v3, null, v4, v4, 1.0
	s_add_u32 s2, s16, s2
	s_addc_u32 s3, s17, s3
	s_load_b32 s2, s[2:3], 0x0
	v_rcp_f32_e32 v5, v3
	s_waitcnt_depctr 0xfff
	v_fma_f32 v6, -v3, v5, 1.0
	s_delay_alu instid0(VALU_DEP_1) | instskip(SKIP_1) | instid1(VALU_DEP_1)
	v_fmac_f32_e32 v5, v6, v5
	v_div_scale_f32 v7, vcc_lo, 1.0, v4, 1.0
	v_mul_f32_e32 v6, v7, v5
	s_delay_alu instid0(VALU_DEP_1) | instskip(NEXT) | instid1(VALU_DEP_1)
	v_fma_f32 v8, -v3, v6, v7
	v_fmac_f32_e32 v6, v8, v5
	s_delay_alu instid0(VALU_DEP_1) | instskip(NEXT) | instid1(VALU_DEP_1)
	v_fma_f32 v3, -v3, v6, v7
	v_div_fmas_f32 v5, v3, v5, v6
	s_waitcnt lgkmcnt(0)
	v_lshl_add_u32 v3, v11, 2, s2
	s_mov_b32 s2, 0
	s_delay_alu instid0(VALU_DEP_2)
	v_div_fixup_f32 v4, v5, v4, 1.0
	v_mov_b32_e32 v5, v11
.LBB231_481:                            ; =>This Inner Loop Header: Depth=1
	ds_load_b32 v6, v3
	s_waitcnt lgkmcnt(0)
	v_dual_mul_f32 v6, v4, v6 :: v_dual_add_nc_u32 v5, 0x80, v5
	s_delay_alu instid0(VALU_DEP_1) | instskip(SKIP_3) | instid1(SALU_CYCLE_1)
	v_cmp_ge_i32_e32 vcc_lo, v5, v1
	ds_store_b32 v3, v6
	v_add_nc_u32_e32 v3, 0x200, v3
	s_or_b32 s2, vcc_lo, s2
	s_and_not1_b32 exec_lo, exec_lo, s2
	s_cbranch_execnz .LBB231_481
.LBB231_482:
	s_or_b32 exec_lo, exec_lo, s1
	v_cmp_ne_u16_e64 s1, s8, 0
	s_waitcnt lgkmcnt(0)
	s_barrier
	buffer_gl0_inv
	s_cmp_lg_u32 s1, 0
	s_addc_u32 s1, s5, 0
	s_mov_b32 s5, exec_lo
	s_mul_i32 s2, s1, s10
	s_delay_alu instid0(SALU_CYCLE_1)
	s_mul_i32 s2, s2, s11
	v_cmpx_eq_u32_e32 0, v11
	s_cbranch_execz .LBB231_484
; %bb.483:
	s_mul_i32 s8, s1, s12
	s_ashr_i32 s15, s14, 31
	s_ashr_i32 s9, s8, 31
	;; [unrolled: 1-line block ×3, first 2 shown]
	s_lshl_b64 s[8:9], s[8:9], 2
	s_lshl_b64 s[10:11], s[14:15], 2
	;; [unrolled: 1-line block ×3, first 2 shown]
	s_add_u32 s3, s10, s8
	s_addc_u32 s7, s11, s9
	s_add_u32 s3, s3, s12
	s_addc_u32 s7, s7, s13
	v_add_co_u32 v3, vcc_lo, s3, v35
	v_add_co_ci_u32_e32 v4, vcc_lo, s7, v34, vcc_lo
	v_add_co_u32 v5, vcc_lo, s3, v33
	v_add_co_ci_u32_e32 v6, vcc_lo, s7, v32, vcc_lo
	flat_store_b32 v[3:4], v0
	flat_store_b32 v[5:6], v2
.LBB231_484:
	s_or_b32 exec_lo, exec_lo, s5
	s_ashr_i32 s7, s6, 31
	s_getpc_b64 s[8:9]
	s_add_u32 s8, s8, llvm.amdgcn.dynlds.offset.table@rel32@lo+4
	s_addc_u32 s9, s9, llvm.amdgcn.dynlds.offset.table@rel32@hi+12
	s_lshl_b64 s[6:7], s[6:7], 2
	v_dual_mov_b32 v52, 0 :: v_dual_and_b32 v29, 3, v11
	v_dual_mov_b32 v51, 0 :: v_dual_mov_b32 v50, 0
	v_dual_mov_b32 v49, 0 :: v_dual_mov_b32 v48, 0
	v_dual_mov_b32 v39, 0 :: v_dual_mov_b32 v38, 0
	v_dual_mov_b32 v37, 0 :: v_dual_mov_b32 v36, 0
	v_dual_mov_b32 v35, 0 :: v_dual_mov_b32 v34, 0
	v_dual_mov_b32 v33, 0 :: v_dual_mov_b32 v32, 0
	v_mov_b32_e32 v31, 0
	s_add_u32 s6, s6, s8
	s_addc_u32 s7, s7, s9
	s_mov_b32 s8, 0
	s_and_saveexec_b32 s3, s0
	s_cbranch_execz .LBB231_966
; %bb.485:
	v_max_i32_e32 v53, v30, v16
	v_add_co_u32 v3, vcc_lo, v55, v65
	v_dual_mov_b32 v34, 0 :: v_dual_and_b32 v5, 0x7c, v17
	s_delay_alu instid0(VALU_DEP_3) | instskip(SKIP_3) | instid1(VALU_DEP_3)
	v_cvt_f32_u32_e32 v0, v53
	v_sub_nc_u32_e32 v8, 0, v53
	v_add_co_ci_u32_e32 v4, vcc_lo, v27, v64, vcc_lo
	s_load_b32 s0, s[6:7], 0x0
	v_rcp_iflag_f32_e32 v2, v0
	v_mov_b32_e32 v33, 0
	v_lshlrev_b64 v[0:1], 2, v[112:113]
	v_dual_mov_b32 v31, 0 :: v_dual_lshlrev_b32 v6, 4, v29
	v_dual_mov_b32 v7, 0 :: v_dual_and_b32 v54, 12, v17
	v_dual_mov_b32 v32, 0 :: v_dual_add_nc_u32 v55, -1, v14
	v_dual_mov_b32 v35, 0 :: v_dual_mov_b32 v36, 0
	s_delay_alu instid0(TRANS32_DEP_1) | instskip(SKIP_2) | instid1(VALU_DEP_3)
	v_dual_mul_f32 v2, 0x4f7ffffe, v2 :: v_dual_mov_b32 v37, 0
	v_dual_mov_b32 v38, 0 :: v_dual_mov_b32 v39, 0
	v_mov_b32_e32 v48, 0
	v_cvt_u32_f32_e32 v2, v2
	v_dual_mov_b32 v49, 0 :: v_dual_mov_b32 v50, 0
	s_brev_b32 s9, 1
	s_mov_b32 s11, 0x7f800001
	s_delay_alu instid0(VALU_DEP_2)
	v_mul_lo_u32 v10, v8, v2
	v_add_co_u32 v8, vcc_lo, v3, v5
	v_add_co_ci_u32_e32 v9, vcc_lo, 0, v4, vcc_lo
	scratch_load_b32 v4, off, s32 offset:368 ; 4-byte Folded Reload
	v_add_co_u32 v0, vcc_lo, v18, v0
	v_mul_hi_u32 v3, v2, v10
	v_add_co_ci_u32_e32 v1, vcc_lo, v19, v1, vcc_lo
	s_delay_alu instid0(VALU_DEP_3) | instskip(SKIP_1) | instid1(VALU_DEP_2)
	v_add_co_u32 v10, vcc_lo, v26, v0
	s_mov_b32 s5, s8
	v_add_co_ci_u32_e32 v11, vcc_lo, v15, v1, vcc_lo
	s_delay_alu instid0(VALU_DEP_4) | instskip(SKIP_3) | instid1(VALU_DEP_1)
	v_dual_mov_b32 v52, 0 :: v_dual_add_nc_u32 v65, v2, v3
	s_waitcnt vmcnt(0)
	v_lshl_or_b32 v4, v4, 6, v6
	s_waitcnt lgkmcnt(0)
	v_dual_mov_b32 v51, 0 :: v_dual_add_nc_u32 v64, s0, v4
	s_branch .LBB231_488
.LBB231_486:                            ;   in Loop: Header=BB231_488 Depth=1
	s_or_b32 exec_lo, exec_lo, s0
	v_mul_f32_e32 v14, v1, v167
	v_mul_f32_e32 v13, v1, v177
	;; [unrolled: 1-line block ×3, first 2 shown]
	s_delay_alu instid0(VALU_DEP_3) | instskip(NEXT) | instid1(VALU_DEP_3)
	v_dual_mul_f32 v15, v1, v163 :: v_dual_fmac_f32 v14, v0, v166
	v_fmac_f32_e32 v13, v0, v176
	s_delay_alu instid0(VALU_DEP_3) | instskip(NEXT) | instid1(VALU_DEP_3)
	v_fmac_f32_e32 v16, v0, v150
	v_dual_fmac_f32 v15, v0, v162 :: v_dual_fmac_f32 v14, v2, v165
	s_delay_alu instid0(VALU_DEP_3) | instskip(NEXT) | instid1(VALU_DEP_3)
	v_fmac_f32_e32 v13, v2, v19
	v_fmac_f32_e32 v16, v2, v149
	s_delay_alu instid0(VALU_DEP_3) | instskip(NEXT) | instid1(VALU_DEP_3)
	v_dual_fmac_f32 v15, v2, v161 :: v_dual_fmac_f32 v14, v3, v164
	v_fmac_f32_e32 v13, v3, v18
	s_delay_alu instid0(VALU_DEP_3) | instskip(NEXT) | instid1(VALU_DEP_3)
	v_fmac_f32_e32 v16, v3, v148
	v_fmac_f32_e32 v15, v3, v160
	v_mul_f32_e32 v17, v1, v147
	s_delay_alu instid0(VALU_DEP_4) | instskip(NEXT) | instid1(VALU_DEP_4)
	v_dual_add_f32 v33, v33, v14 :: v_dual_add_f32 v32, v32, v13
	v_dual_add_f32 v35, v35, v16 :: v_dual_mul_f32 v14, v1, v131
	s_delay_alu instid0(VALU_DEP_3) | instskip(SKIP_1) | instid1(VALU_DEP_3)
	v_dual_mul_f32 v16, v1, v115 :: v_dual_fmac_f32 v17, v0, v146
	v_add_f32_e32 v34, v34, v15
	v_dual_mul_f32 v13, v1, v135 :: v_dual_fmac_f32 v14, v0, v130
	s_delay_alu instid0(VALU_DEP_3) | instskip(NEXT) | instid1(VALU_DEP_2)
	v_dual_mul_f32 v15, v1, v119 :: v_dual_fmac_f32 v16, v0, v114
	v_dual_fmac_f32 v13, v0, v134 :: v_dual_fmac_f32 v14, v2, v129
	s_delay_alu instid0(VALU_DEP_2) | instskip(SKIP_1) | instid1(VALU_DEP_3)
	v_dual_fmac_f32 v15, v0, v118 :: v_dual_fmac_f32 v16, v2, v113
	v_fmac_f32_e32 v17, v2, v145
	v_dual_fmac_f32 v13, v2, v133 :: v_dual_fmac_f32 v14, v3, v128
	s_delay_alu instid0(VALU_DEP_3) | instskip(NEXT) | instid1(VALU_DEP_2)
	v_dual_fmac_f32 v16, v3, v103 :: v_dual_fmac_f32 v15, v2, v117
	v_dual_fmac_f32 v17, v3, v144 :: v_dual_add_f32 v38, v38, v14
	v_mul_f32_e32 v14, v1, v98
	s_delay_alu instid0(VALU_DEP_3) | instskip(NEXT) | instid1(VALU_DEP_4)
	v_add_f32_e32 v48, v48, v16
	v_fmac_f32_e32 v15, v3, v116
	s_delay_alu instid0(VALU_DEP_4) | instskip(SKIP_1) | instid1(VALU_DEP_3)
	v_dual_fmac_f32 v13, v3, v132 :: v_dual_add_f32 v36, v36, v17
	v_mul_f32_e32 v16, v1, v70
	v_dual_fmac_f32 v14, v0, v97 :: v_dual_add_f32 v39, v39, v15
	v_mul_f32_e32 v15, v1, v86
	s_delay_alu instid0(VALU_DEP_4) | instskip(NEXT) | instid1(VALU_DEP_4)
	v_add_f32_e32 v37, v37, v13
	v_dual_mul_f32 v13, v1, v102 :: v_dual_fmac_f32 v16, v0, v69
	s_delay_alu instid0(VALU_DEP_4) | instskip(SKIP_1) | instid1(VALU_DEP_3)
	v_fmac_f32_e32 v14, v2, v96
	v_mul_f32_e32 v1, v1, v12
	v_dual_fmac_f32 v13, v0, v101 :: v_dual_fmac_f32 v16, v2, v68
	s_delay_alu instid0(VALU_DEP_3) | instskip(NEXT) | instid1(VALU_DEP_3)
	v_dual_fmac_f32 v15, v0, v85 :: v_dual_fmac_f32 v14, v3, v87
	v_fmac_f32_e32 v1, v0, v6
	s_delay_alu instid0(VALU_DEP_3) | instskip(NEXT) | instid1(VALU_DEP_3)
	v_dual_fmac_f32 v13, v2, v100 :: v_dual_fmac_f32 v16, v3, v67
	v_fmac_f32_e32 v15, v2, v84
	s_delay_alu instid0(VALU_DEP_4) | instskip(NEXT) | instid1(VALU_DEP_4)
	v_add_f32_e32 v50, v50, v14
	v_fmac_f32_e32 v1, v2, v5
	s_delay_alu instid0(VALU_DEP_4) | instskip(NEXT) | instid1(VALU_DEP_4)
	v_dual_fmac_f32 v13, v3, v99 :: v_dual_add_f32 v52, v52, v16
	v_fmac_f32_e32 v15, v3, v83
	s_delay_alu instid0(VALU_DEP_3) | instskip(NEXT) | instid1(VALU_DEP_3)
	v_fmac_f32_e32 v1, v3, v4
	v_add_f32_e32 v49, v49, v13
	s_delay_alu instid0(VALU_DEP_3) | instskip(NEXT) | instid1(VALU_DEP_3)
	v_add_f32_e32 v51, v51, v15
	v_add_f32_e32 v31, v31, v1
.LBB231_487:                            ;   in Loop: Header=BB231_488 Depth=1
	s_or_b32 exec_lo, exec_lo, s12
	v_add_nc_u32_e32 v112, 4, v112
	v_add_co_u32 v10, s0, v10, 16
	s_delay_alu instid0(VALU_DEP_1) | instskip(NEXT) | instid1(VALU_DEP_3)
	v_add_co_ci_u32_e64 v11, s0, 0, v11, s0
	v_cmp_ge_i32_e32 vcc_lo, v112, v22
	v_add_nc_u32_e32 v23, 64, v23
	v_add_nc_u32_e32 v64, 0x100, v64
	s_or_b32 s5, vcc_lo, s5
	s_delay_alu instid0(SALU_CYCLE_1)
	s_and_not1_b32 exec_lo, exec_lo, s5
	s_cbranch_execz .LBB231_965
.LBB231_488:                            ; =>This Inner Loop Header: Depth=1
	s_clause 0x1
	scratch_load_b32 v1, off, s32 offset:332
	scratch_load_b32 v4, off, s32 offset:328
	v_sub_nc_u32_e32 v0, 0, v23
	s_delay_alu instid0(VALU_DEP_1) | instskip(SKIP_1) | instid1(VALU_DEP_1)
	v_max_i32_e32 v0, v23, v0
	s_waitcnt vmcnt(1)
	v_mul_hi_u32 v1, v0, v1
	s_delay_alu instid0(VALU_DEP_1) | instskip(NEXT) | instid1(VALU_DEP_1)
	v_mul_lo_u32 v2, v1, v20
	v_sub_nc_u32_e32 v0, v0, v2
	v_add_nc_u32_e32 v2, 1, v1
	s_delay_alu instid0(VALU_DEP_2) | instskip(SKIP_1) | instid1(VALU_DEP_2)
	v_sub_nc_u32_e32 v3, v0, v20
	v_cmp_ge_u32_e32 vcc_lo, v0, v20
	v_dual_cndmask_b32 v1, v1, v2 :: v_dual_cndmask_b32 v0, v0, v3
	v_ashrrev_i32_e32 v2, 31, v23
	s_delay_alu instid0(VALU_DEP_2) | instskip(NEXT) | instid1(VALU_DEP_3)
	v_add_nc_u32_e32 v3, 1, v1
	v_cmp_ge_u32_e32 vcc_lo, v0, v20
	s_waitcnt vmcnt(0)
	s_delay_alu instid0(VALU_DEP_3) | instskip(NEXT) | instid1(VALU_DEP_3)
	v_xor_b32_e32 v2, v2, v4
	v_cndmask_b32_e32 v0, v1, v3, vcc_lo
	s_delay_alu instid0(VALU_DEP_1) | instskip(NEXT) | instid1(VALU_DEP_1)
	v_xor_b32_e32 v0, v0, v2
	v_sub_nc_u32_e32 v0, v0, v2
	s_delay_alu instid0(VALU_DEP_1) | instskip(NEXT) | instid1(VALU_DEP_1)
	v_add_nc_u32_e32 v1, v0, v21
	v_sub_nc_u32_e32 v2, 0, v1
	s_delay_alu instid0(VALU_DEP_1) | instskip(NEXT) | instid1(VALU_DEP_1)
	v_max_i32_e32 v2, v1, v2
	v_mul_hi_u32 v3, v2, v65
	s_delay_alu instid0(VALU_DEP_1) | instskip(NEXT) | instid1(VALU_DEP_1)
	v_mul_lo_u32 v3, v3, v53
	v_sub_nc_u32_e32 v2, v2, v3
	s_delay_alu instid0(VALU_DEP_1) | instskip(SKIP_1) | instid1(VALU_DEP_2)
	v_sub_nc_u32_e32 v3, v2, v53
	v_cmp_ge_u32_e32 vcc_lo, v2, v53
	v_cndmask_b32_e32 v2, v2, v3, vcc_lo
	v_ashrrev_i32_e32 v1, 31, v1
	s_delay_alu instid0(VALU_DEP_2) | instskip(SKIP_1) | instid1(VALU_DEP_2)
	v_sub_nc_u32_e32 v3, v2, v53
	v_cmp_ge_u32_e32 vcc_lo, v2, v53
	v_cndmask_b32_e32 v2, v2, v3, vcc_lo
	s_delay_alu instid0(VALU_DEP_1) | instskip(NEXT) | instid1(VALU_DEP_1)
	v_xor_b32_e32 v2, v2, v1
	v_sub_nc_u32_e32 v1, v2, v1
	s_delay_alu instid0(VALU_DEP_1) | instskip(SKIP_3) | instid1(VALU_DEP_1)
	v_cmp_eq_u32_e32 vcc_lo, 0, v1
	scratch_load_b32 v1, off, s32 offset:336 ; 4-byte Folded Reload
	s_waitcnt vmcnt(0)
	v_cmp_gt_i32_e64 s0, v0, v1
	s_or_b32 s0, vcc_lo, s0
	s_delay_alu instid0(SALU_CYCLE_1)
	s_and_saveexec_b32 s12, s0
	s_cbranch_execz .LBB231_487
; %bb.489:                              ;   in Loop: Header=BB231_488 Depth=1
	flat_load_b32 v0, v[10:11]
	scratch_load_b32 v1, off, s32 offset:340 ; 4-byte Folded Reload
	v_mov_b32_e32 v14, 0
	s_mov_b32 s0, exec_lo
	s_waitcnt vmcnt(0) lgkmcnt(0)
	v_mad_i64_i32 v[12:13], null, v0, v1, v[8:9]
	flat_load_b32 v67, v[12:13]
	scratch_load_b64 v[0:1], off, s32 offset:344 ; 8-byte Folded Reload
	s_waitcnt vmcnt(1) lgkmcnt(0)
	v_dual_mov_b32 v15, 0 :: v_dual_and_b32 v6, 0xff, v67
	s_waitcnt vmcnt(0)
	flat_load_b32 v66, v[0:1]
	ds_load_b128 v[0:3], v64
	v_dual_mov_b32 v4, v14 :: v_dual_mov_b32 v5, v15
	v_cmpx_ne_u16_e32 0, v6
	s_cbranch_execz .LBB231_497
; %bb.490:                              ;   in Loop: Header=BB231_488 Depth=1
	v_bfrev_b32_e32 v4, 1
	v_mov_b32_e32 v5, 0
	s_mov_b32 s10, exec_lo
	v_cmpx_ne_u16_e32 0x80, v6
	s_cbranch_execz .LBB231_496
; %bb.491:                              ;   in Loop: Header=BB231_488 Depth=1
	v_mov_b32_e32 v4, 0x7f800001
	v_dual_mov_b32 v5, 0 :: v_dual_and_b32 v16, 0x7f, v67
	s_mov_b32 s13, exec_lo
	s_delay_alu instid0(VALU_DEP_1)
	v_cmpx_ne_u32_e32 0x7f, v16
	s_cbranch_execz .LBB231_495
; %bb.492:                              ;   in Loop: Header=BB231_488 Depth=1
	v_and_b32_e32 v6, 7, v67
	v_lshrrev_b32_e32 v4, 3, v16
	s_mov_b32 s15, exec_lo
	v_cmpx_gt_u32_e32 8, v16
; %bb.493:                              ;   in Loop: Header=BB231_488 Depth=1
	s_delay_alu instid0(VALU_DEP_3) | instskip(NEXT) | instid1(VALU_DEP_1)
	v_clz_i32_u32_e32 v4, v6
	v_min_u32_e32 v4, 32, v4
	s_delay_alu instid0(VALU_DEP_1) | instskip(SKIP_1) | instid1(VALU_DEP_2)
	v_subrev_nc_u32_e32 v5, 28, v4
	v_sub_nc_u32_e32 v4, 29, v4
	v_lshlrev_b64 v[5:6], v5, v[6:7]
	s_delay_alu instid0(VALU_DEP_1)
	v_and_b32_e32 v6, 7, v5
; %bb.494:                              ;   in Loop: Header=BB231_488 Depth=1
	s_or_b32 exec_lo, exec_lo, s15
	v_lshlrev_b32_e32 v5, 24, v67
	s_delay_alu instid0(VALU_DEP_2) | instskip(SKIP_1) | instid1(VALU_DEP_3)
	v_lshlrev_b32_e32 v6, 20, v6
	v_lshl_add_u32 v4, v4, 23, 0x3c000000
	v_and_b32_e32 v5, 0x80000000, v5
	s_delay_alu instid0(VALU_DEP_1) | instskip(NEXT) | instid1(VALU_DEP_1)
	v_or3_b32 v6, v6, v5, v4
	v_dual_mov_b32 v4, v6 :: v_dual_mov_b32 v5, v7
.LBB231_495:                            ;   in Loop: Header=BB231_488 Depth=1
	s_or_b32 exec_lo, exec_lo, s13
.LBB231_496:                            ;   in Loop: Header=BB231_488 Depth=1
	s_delay_alu instid0(SALU_CYCLE_1)
	s_or_b32 exec_lo, exec_lo, s10
.LBB231_497:                            ;   in Loop: Header=BB231_488 Depth=1
	s_delay_alu instid0(SALU_CYCLE_1) | instskip(SKIP_2) | instid1(VALU_DEP_1)
	s_or_b32 exec_lo, exec_lo, s0
	v_lshrrev_b16 v6, 8, v67
	s_mov_b32 s0, exec_lo
	v_cmpx_ne_u16_e32 0, v6
	s_cbranch_execz .LBB231_505
; %bb.498:                              ;   in Loop: Header=BB231_488 Depth=1
	v_dual_mov_b32 v15, s9 :: v_dual_mov_b32 v14, s8
	s_mov_b32 s13, exec_lo
	v_cmpx_ne_u16_e32 0x80, v6
	s_cbranch_execz .LBB231_504
; %bb.499:                              ;   in Loop: Header=BB231_488 Depth=1
	s_mov_b32 s10, s8
	v_dual_mov_b32 v15, s11 :: v_dual_and_b32 v6, 0xffff, v6
	v_mov_b32_e32 v14, s10
	s_mov_b32 s10, exec_lo
	s_delay_alu instid0(VALU_DEP_2) | instskip(NEXT) | instid1(VALU_DEP_1)
	v_and_b32_e32 v16, 0x7f, v6
	v_cmpx_ne_u32_e32 0x7f, v16
	s_cbranch_execz .LBB231_503
; %bb.500:                              ;   in Loop: Header=BB231_488 Depth=1
	v_and_b32_e32 v6, 7, v6
	v_lshrrev_b32_e32 v14, 3, v16
	s_mov_b32 s15, exec_lo
	v_cmpx_gt_u32_e32 8, v16
; %bb.501:                              ;   in Loop: Header=BB231_488 Depth=1
	s_delay_alu instid0(VALU_DEP_3) | instskip(NEXT) | instid1(VALU_DEP_1)
	v_clz_i32_u32_e32 v14, v6
	v_min_u32_e32 v14, 32, v14
	s_delay_alu instid0(VALU_DEP_1) | instskip(SKIP_1) | instid1(VALU_DEP_2)
	v_subrev_nc_u32_e32 v15, 28, v14
	v_sub_nc_u32_e32 v14, 29, v14
	v_lshlrev_b64 v[15:16], v15, v[6:7]
	s_delay_alu instid0(VALU_DEP_1)
	v_and_b32_e32 v6, 7, v15
; %bb.502:                              ;   in Loop: Header=BB231_488 Depth=1
	s_or_b32 exec_lo, exec_lo, s15
	v_lshlrev_b32_e32 v15, 16, v67
	s_delay_alu instid0(VALU_DEP_2) | instskip(SKIP_1) | instid1(VALU_DEP_3)
	v_lshlrev_b32_e32 v6, 20, v6
	v_lshl_add_u32 v14, v14, 23, 0x3c000000
	v_and_b32_e32 v15, 0x80000000, v15
	s_delay_alu instid0(VALU_DEP_1)
	v_or3_b32 v15, v6, v15, v14
	v_mov_b32_e32 v14, v7
.LBB231_503:                            ;   in Loop: Header=BB231_488 Depth=1
	s_or_b32 exec_lo, exec_lo, s10
.LBB231_504:                            ;   in Loop: Header=BB231_488 Depth=1
	s_delay_alu instid0(SALU_CYCLE_1)
	s_or_b32 exec_lo, exec_lo, s13
.LBB231_505:                            ;   in Loop: Header=BB231_488 Depth=1
	s_delay_alu instid0(SALU_CYCLE_1) | instskip(SKIP_4) | instid1(VALU_DEP_2)
	s_or_b32 exec_lo, exec_lo, s0
	v_mov_b32_e32 v18, 0
	v_lshrrev_b32_e32 v68, 16, v67
	v_mov_b32_e32 v19, 0
	s_mov_b32 s0, exec_lo
	v_and_b32_e32 v6, 0xff, v68
	s_delay_alu instid0(VALU_DEP_2) | instskip(NEXT) | instid1(VALU_DEP_2)
	v_dual_mov_b32 v16, v18 :: v_dual_mov_b32 v17, v19
	v_cmpx_ne_u16_e32 0, v6
	s_cbranch_execz .LBB231_513
; %bb.506:                              ;   in Loop: Header=BB231_488 Depth=1
	v_bfrev_b32_e32 v16, 1
	v_mov_b32_e32 v17, 0
	s_mov_b32 s10, exec_lo
	v_cmpx_ne_u16_e32 0x80, v6
	s_cbranch_execz .LBB231_512
; %bb.507:                              ;   in Loop: Header=BB231_488 Depth=1
	v_mov_b32_e32 v16, 0x7f800001
	v_bfe_u32 v69, v67, 16, 7
	v_mov_b32_e32 v17, 0
	s_mov_b32 s13, exec_lo
	s_delay_alu instid0(VALU_DEP_2)
	v_cmpx_ne_u32_e32 0x7f, v69
	s_cbranch_execz .LBB231_511
; %bb.508:                              ;   in Loop: Header=BB231_488 Depth=1
	v_and_b32_e32 v6, 7, v68
	v_lshrrev_b32_e32 v16, 3, v69
	s_mov_b32 s15, exec_lo
	v_cmpx_gt_u32_e32 8, v69
; %bb.509:                              ;   in Loop: Header=BB231_488 Depth=1
	s_delay_alu instid0(VALU_DEP_3) | instskip(NEXT) | instid1(VALU_DEP_1)
	v_clz_i32_u32_e32 v16, v6
	v_min_u32_e32 v16, 32, v16
	s_delay_alu instid0(VALU_DEP_1) | instskip(SKIP_1) | instid1(VALU_DEP_2)
	v_subrev_nc_u32_e32 v17, 28, v16
	v_sub_nc_u32_e32 v16, 29, v16
	v_lshlrev_b64 v[26:27], v17, v[6:7]
	s_delay_alu instid0(VALU_DEP_1)
	v_and_b32_e32 v6, 7, v26
; %bb.510:                              ;   in Loop: Header=BB231_488 Depth=1
	s_or_b32 exec_lo, exec_lo, s15
	v_lshlrev_b32_e32 v17, 24, v68
	s_delay_alu instid0(VALU_DEP_2) | instskip(SKIP_1) | instid1(VALU_DEP_3)
	v_lshlrev_b32_e32 v6, 20, v6
	v_lshl_add_u32 v16, v16, 23, 0x3c000000
	v_and_b32_e32 v17, 0x80000000, v17
	s_delay_alu instid0(VALU_DEP_1) | instskip(NEXT) | instid1(VALU_DEP_1)
	v_or3_b32 v6, v6, v17, v16
	v_dual_mov_b32 v17, v7 :: v_dual_mov_b32 v16, v6
.LBB231_511:                            ;   in Loop: Header=BB231_488 Depth=1
	s_or_b32 exec_lo, exec_lo, s13
.LBB231_512:                            ;   in Loop: Header=BB231_488 Depth=1
	s_delay_alu instid0(SALU_CYCLE_1)
	s_or_b32 exec_lo, exec_lo, s10
.LBB231_513:                            ;   in Loop: Header=BB231_488 Depth=1
	s_delay_alu instid0(SALU_CYCLE_1) | instskip(NEXT) | instid1(SALU_CYCLE_1)
	s_or_b32 exec_lo, exec_lo, s0
	s_mov_b32 s0, exec_lo
	v_cmpx_lt_u32_e32 0xffffff, v67
	s_cbranch_execz .LBB231_521
; %bb.514:                              ;   in Loop: Header=BB231_488 Depth=1
	v_lshrrev_b32_e32 v68, 24, v67
	v_dual_mov_b32 v19, s9 :: v_dual_mov_b32 v18, s8
	s_mov_b32 s13, exec_lo
	s_delay_alu instid0(VALU_DEP_2)
	v_cmpx_ne_u32_e32 0x80, v68
	s_cbranch_execz .LBB231_520
; %bb.515:                              ;   in Loop: Header=BB231_488 Depth=1
	s_mov_b32 s10, s8
	v_bfe_u32 v67, v67, 24, 7
	v_dual_mov_b32 v19, s11 :: v_dual_mov_b32 v18, s10
	s_mov_b32 s10, exec_lo
	s_delay_alu instid0(VALU_DEP_2)
	v_cmpx_ne_u32_e32 0x7f, v67
	s_cbranch_execz .LBB231_519
; %bb.516:                              ;   in Loop: Header=BB231_488 Depth=1
	v_and_b32_e32 v6, 7, v68
	v_lshrrev_b32_e32 v18, 3, v67
	s_mov_b32 s15, exec_lo
	v_cmpx_gt_u32_e32 8, v67
; %bb.517:                              ;   in Loop: Header=BB231_488 Depth=1
	s_delay_alu instid0(VALU_DEP_3) | instskip(NEXT) | instid1(VALU_DEP_1)
	v_clz_i32_u32_e32 v18, v6
	v_min_u32_e32 v18, 32, v18
	s_delay_alu instid0(VALU_DEP_1) | instskip(SKIP_1) | instid1(VALU_DEP_2)
	v_subrev_nc_u32_e32 v19, 28, v18
	v_sub_nc_u32_e32 v18, 29, v18
	v_lshlrev_b64 v[26:27], v19, v[6:7]
	s_delay_alu instid0(VALU_DEP_1)
	v_and_b32_e32 v6, 7, v26
; %bb.518:                              ;   in Loop: Header=BB231_488 Depth=1
	s_or_b32 exec_lo, exec_lo, s15
	v_lshlrev_b32_e32 v19, 24, v68
	s_delay_alu instid0(VALU_DEP_2) | instskip(SKIP_1) | instid1(VALU_DEP_3)
	v_lshlrev_b32_e32 v6, 20, v6
	v_lshl_add_u32 v18, v18, 23, 0x3c000000
	v_and_b32_e32 v19, 0x80000000, v19
	s_delay_alu instid0(VALU_DEP_1)
	v_or3_b32 v19, v6, v19, v18
	v_mov_b32_e32 v18, v7
.LBB231_519:                            ;   in Loop: Header=BB231_488 Depth=1
	s_or_b32 exec_lo, exec_lo, s10
.LBB231_520:                            ;   in Loop: Header=BB231_488 Depth=1
	s_delay_alu instid0(SALU_CYCLE_1)
	s_or_b32 exec_lo, exec_lo, s13
.LBB231_521:                            ;   in Loop: Header=BB231_488 Depth=1
	s_delay_alu instid0(SALU_CYCLE_1)
	s_or_b32 exec_lo, exec_lo, s0
	v_add_nc_u32_e32 v71, v54, v23
	v_or_b32_e32 v5, v15, v5
	v_or_b32_e32 v4, v14, v4
	;; [unrolled: 1-line block ×4, first 2 shown]
	v_cmp_eq_u32_e32 vcc_lo, v55, v112
	s_waitcnt vmcnt(0) lgkmcnt(1)
	v_dual_mul_f32 v70, v66, v5 :: v_dual_add_nc_u32 v81, 2, v71
	v_dual_mul_f32 v69, v66, v4 :: v_dual_add_nc_u32 v82, 1, v71
	;; [unrolled: 1-line block ×3, first 2 shown]
	v_mul_f32_e32 v68, v66, v14
	s_and_saveexec_b32 s10, vcc_lo
; %bb.522:                              ;   in Loop: Header=BB231_488 Depth=1
	v_cmp_lt_i32_e64 s0, v71, v47
	s_delay_alu instid0(VALU_DEP_1) | instskip(SKIP_1) | instid1(VALU_DEP_1)
	v_cndmask_b32_e64 v69, 0, v69, s0
	v_cmp_lt_i32_e64 s0, v82, v47
	v_cndmask_b32_e64 v70, 0, v70, s0
	v_cmp_lt_i32_e64 s0, v81, v47
	s_delay_alu instid0(VALU_DEP_1) | instskip(SKIP_1) | instid1(VALU_DEP_1)
	v_cndmask_b32_e64 v68, 0, v68, s0
	v_cmp_lt_i32_e64 s0, v80, v47
	v_cndmask_b32_e64 v67, 0, v67, s0
; %bb.523:                              ;   in Loop: Header=BB231_488 Depth=1
	s_or_b32 exec_lo, exec_lo, s10
	flat_load_b32 v83, v[12:13] offset:128
	v_mov_b32_e32 v14, 0
	v_mov_b32_e32 v15, 0
	s_mov_b32 s10, exec_lo
	s_waitcnt vmcnt(0) lgkmcnt(0)
	v_and_b32_e32 v6, 0xff, v83
	s_delay_alu instid0(VALU_DEP_2) | instskip(NEXT) | instid1(VALU_DEP_2)
	v_dual_mov_b32 v4, v14 :: v_dual_mov_b32 v5, v15
	v_cmpx_ne_u16_e32 0, v6
	s_cbranch_execz .LBB231_531
; %bb.524:                              ;   in Loop: Header=BB231_488 Depth=1
	v_bfrev_b32_e32 v4, 1
	v_mov_b32_e32 v5, 0
	s_mov_b32 s13, exec_lo
	v_cmpx_ne_u16_e32 0x80, v6
	s_cbranch_execz .LBB231_530
; %bb.525:                              ;   in Loop: Header=BB231_488 Depth=1
	v_mov_b32_e32 v4, 0x7f800001
	v_dual_mov_b32 v5, 0 :: v_dual_and_b32 v16, 0x7f, v83
	s_mov_b32 s15, exec_lo
	s_delay_alu instid0(VALU_DEP_1)
	v_cmpx_ne_u32_e32 0x7f, v16
	s_cbranch_execz .LBB231_529
; %bb.526:                              ;   in Loop: Header=BB231_488 Depth=1
	v_and_b32_e32 v6, 7, v83
	v_lshrrev_b32_e32 v4, 3, v16
	s_mov_b32 s16, exec_lo
	v_cmpx_gt_u32_e32 8, v16
; %bb.527:                              ;   in Loop: Header=BB231_488 Depth=1
	s_delay_alu instid0(VALU_DEP_3) | instskip(NEXT) | instid1(VALU_DEP_1)
	v_clz_i32_u32_e32 v4, v6
	v_min_u32_e32 v4, 32, v4
	s_delay_alu instid0(VALU_DEP_1) | instskip(SKIP_1) | instid1(VALU_DEP_2)
	v_subrev_nc_u32_e32 v5, 28, v4
	v_sub_nc_u32_e32 v4, 29, v4
	v_lshlrev_b64 v[5:6], v5, v[6:7]
	s_delay_alu instid0(VALU_DEP_1)
	v_and_b32_e32 v6, 7, v5
; %bb.528:                              ;   in Loop: Header=BB231_488 Depth=1
	s_or_b32 exec_lo, exec_lo, s16
	v_lshlrev_b32_e32 v5, 24, v83
	s_delay_alu instid0(VALU_DEP_2) | instskip(SKIP_1) | instid1(VALU_DEP_3)
	v_lshlrev_b32_e32 v6, 20, v6
	v_lshl_add_u32 v4, v4, 23, 0x3c000000
	v_and_b32_e32 v5, 0x80000000, v5
	s_delay_alu instid0(VALU_DEP_1) | instskip(NEXT) | instid1(VALU_DEP_1)
	v_or3_b32 v6, v6, v5, v4
	v_dual_mov_b32 v4, v6 :: v_dual_mov_b32 v5, v7
.LBB231_529:                            ;   in Loop: Header=BB231_488 Depth=1
	s_or_b32 exec_lo, exec_lo, s15
.LBB231_530:                            ;   in Loop: Header=BB231_488 Depth=1
	s_delay_alu instid0(SALU_CYCLE_1)
	s_or_b32 exec_lo, exec_lo, s13
.LBB231_531:                            ;   in Loop: Header=BB231_488 Depth=1
	s_delay_alu instid0(SALU_CYCLE_1) | instskip(SKIP_2) | instid1(VALU_DEP_1)
	s_or_b32 exec_lo, exec_lo, s10
	v_lshrrev_b16 v6, 8, v83
	s_mov_b32 s13, exec_lo
	v_cmpx_ne_u16_e32 0, v6
	s_cbranch_execz .LBB231_539
; %bb.532:                              ;   in Loop: Header=BB231_488 Depth=1
	v_dual_mov_b32 v15, s9 :: v_dual_mov_b32 v14, s8
	s_mov_b32 s15, exec_lo
	v_cmpx_ne_u16_e32 0x80, v6
	s_cbranch_execz .LBB231_538
; %bb.533:                              ;   in Loop: Header=BB231_488 Depth=1
	s_mov_b32 s10, s8
	v_dual_mov_b32 v15, s11 :: v_dual_and_b32 v6, 0xffff, v6
	v_mov_b32_e32 v14, s10
	s_mov_b32 s10, exec_lo
	s_delay_alu instid0(VALU_DEP_2) | instskip(NEXT) | instid1(VALU_DEP_1)
	v_and_b32_e32 v16, 0x7f, v6
	v_cmpx_ne_u32_e32 0x7f, v16
	s_cbranch_execz .LBB231_537
; %bb.534:                              ;   in Loop: Header=BB231_488 Depth=1
	v_and_b32_e32 v6, 7, v6
	v_lshrrev_b32_e32 v14, 3, v16
	s_mov_b32 s16, exec_lo
	v_cmpx_gt_u32_e32 8, v16
; %bb.535:                              ;   in Loop: Header=BB231_488 Depth=1
	s_delay_alu instid0(VALU_DEP_3) | instskip(NEXT) | instid1(VALU_DEP_1)
	v_clz_i32_u32_e32 v14, v6
	v_min_u32_e32 v14, 32, v14
	s_delay_alu instid0(VALU_DEP_1) | instskip(SKIP_1) | instid1(VALU_DEP_2)
	v_subrev_nc_u32_e32 v15, 28, v14
	v_sub_nc_u32_e32 v14, 29, v14
	v_lshlrev_b64 v[15:16], v15, v[6:7]
	s_delay_alu instid0(VALU_DEP_1)
	v_and_b32_e32 v6, 7, v15
; %bb.536:                              ;   in Loop: Header=BB231_488 Depth=1
	s_or_b32 exec_lo, exec_lo, s16
	v_lshlrev_b32_e32 v15, 16, v83
	s_delay_alu instid0(VALU_DEP_2) | instskip(SKIP_1) | instid1(VALU_DEP_3)
	v_lshlrev_b32_e32 v6, 20, v6
	v_lshl_add_u32 v14, v14, 23, 0x3c000000
	v_and_b32_e32 v15, 0x80000000, v15
	s_delay_alu instid0(VALU_DEP_1)
	v_or3_b32 v15, v6, v15, v14
	v_mov_b32_e32 v14, v7
.LBB231_537:                            ;   in Loop: Header=BB231_488 Depth=1
	s_or_b32 exec_lo, exec_lo, s10
.LBB231_538:                            ;   in Loop: Header=BB231_488 Depth=1
	s_delay_alu instid0(SALU_CYCLE_1)
	s_or_b32 exec_lo, exec_lo, s15
.LBB231_539:                            ;   in Loop: Header=BB231_488 Depth=1
	s_delay_alu instid0(SALU_CYCLE_1) | instskip(SKIP_4) | instid1(VALU_DEP_2)
	s_or_b32 exec_lo, exec_lo, s13
	v_mov_b32_e32 v18, 0
	v_lshrrev_b32_e32 v84, 16, v83
	v_mov_b32_e32 v19, 0
	s_mov_b32 s10, exec_lo
	v_and_b32_e32 v6, 0xff, v84
	s_delay_alu instid0(VALU_DEP_2) | instskip(NEXT) | instid1(VALU_DEP_2)
	v_dual_mov_b32 v16, v18 :: v_dual_mov_b32 v17, v19
	v_cmpx_ne_u16_e32 0, v6
	s_cbranch_execz .LBB231_547
; %bb.540:                              ;   in Loop: Header=BB231_488 Depth=1
	v_bfrev_b32_e32 v16, 1
	v_mov_b32_e32 v17, 0
	s_mov_b32 s13, exec_lo
	v_cmpx_ne_u16_e32 0x80, v6
	s_cbranch_execz .LBB231_546
; %bb.541:                              ;   in Loop: Header=BB231_488 Depth=1
	v_mov_b32_e32 v16, 0x7f800001
	v_bfe_u32 v85, v83, 16, 7
	v_mov_b32_e32 v17, 0
	s_mov_b32 s15, exec_lo
	s_delay_alu instid0(VALU_DEP_2)
	v_cmpx_ne_u32_e32 0x7f, v85
	s_cbranch_execz .LBB231_545
; %bb.542:                              ;   in Loop: Header=BB231_488 Depth=1
	v_and_b32_e32 v6, 7, v84
	v_lshrrev_b32_e32 v16, 3, v85
	s_mov_b32 s16, exec_lo
	v_cmpx_gt_u32_e32 8, v85
; %bb.543:                              ;   in Loop: Header=BB231_488 Depth=1
	s_delay_alu instid0(VALU_DEP_3) | instskip(NEXT) | instid1(VALU_DEP_1)
	v_clz_i32_u32_e32 v16, v6
	v_min_u32_e32 v16, 32, v16
	s_delay_alu instid0(VALU_DEP_1) | instskip(SKIP_1) | instid1(VALU_DEP_2)
	v_subrev_nc_u32_e32 v17, 28, v16
	v_sub_nc_u32_e32 v16, 29, v16
	v_lshlrev_b64 v[26:27], v17, v[6:7]
	s_delay_alu instid0(VALU_DEP_1)
	v_and_b32_e32 v6, 7, v26
; %bb.544:                              ;   in Loop: Header=BB231_488 Depth=1
	s_or_b32 exec_lo, exec_lo, s16
	v_lshlrev_b32_e32 v17, 24, v84
	s_delay_alu instid0(VALU_DEP_2) | instskip(SKIP_1) | instid1(VALU_DEP_3)
	v_lshlrev_b32_e32 v6, 20, v6
	v_lshl_add_u32 v16, v16, 23, 0x3c000000
	v_and_b32_e32 v17, 0x80000000, v17
	s_delay_alu instid0(VALU_DEP_1) | instskip(NEXT) | instid1(VALU_DEP_1)
	v_or3_b32 v6, v6, v17, v16
	v_dual_mov_b32 v17, v7 :: v_dual_mov_b32 v16, v6
.LBB231_545:                            ;   in Loop: Header=BB231_488 Depth=1
	s_or_b32 exec_lo, exec_lo, s15
.LBB231_546:                            ;   in Loop: Header=BB231_488 Depth=1
	s_delay_alu instid0(SALU_CYCLE_1)
	s_or_b32 exec_lo, exec_lo, s13
.LBB231_547:                            ;   in Loop: Header=BB231_488 Depth=1
	s_delay_alu instid0(SALU_CYCLE_1) | instskip(NEXT) | instid1(SALU_CYCLE_1)
	s_or_b32 exec_lo, exec_lo, s10
	s_mov_b32 s13, exec_lo
	v_cmpx_lt_u32_e32 0xffffff, v83
	s_cbranch_execz .LBB231_555
; %bb.548:                              ;   in Loop: Header=BB231_488 Depth=1
	v_lshrrev_b32_e32 v84, 24, v83
	v_dual_mov_b32 v19, s9 :: v_dual_mov_b32 v18, s8
	s_mov_b32 s15, exec_lo
	s_delay_alu instid0(VALU_DEP_2)
	v_cmpx_ne_u32_e32 0x80, v84
	s_cbranch_execz .LBB231_554
; %bb.549:                              ;   in Loop: Header=BB231_488 Depth=1
	s_mov_b32 s10, s8
	v_bfe_u32 v83, v83, 24, 7
	v_dual_mov_b32 v19, s11 :: v_dual_mov_b32 v18, s10
	s_mov_b32 s10, exec_lo
	s_delay_alu instid0(VALU_DEP_2)
	v_cmpx_ne_u32_e32 0x7f, v83
	s_cbranch_execz .LBB231_553
; %bb.550:                              ;   in Loop: Header=BB231_488 Depth=1
	v_and_b32_e32 v6, 7, v84
	v_lshrrev_b32_e32 v18, 3, v83
	s_mov_b32 s16, exec_lo
	v_cmpx_gt_u32_e32 8, v83
; %bb.551:                              ;   in Loop: Header=BB231_488 Depth=1
	s_delay_alu instid0(VALU_DEP_3) | instskip(NEXT) | instid1(VALU_DEP_1)
	v_clz_i32_u32_e32 v18, v6
	v_min_u32_e32 v18, 32, v18
	s_delay_alu instid0(VALU_DEP_1) | instskip(SKIP_1) | instid1(VALU_DEP_2)
	v_subrev_nc_u32_e32 v19, 28, v18
	v_sub_nc_u32_e32 v18, 29, v18
	v_lshlrev_b64 v[26:27], v19, v[6:7]
	s_delay_alu instid0(VALU_DEP_1)
	v_and_b32_e32 v6, 7, v26
; %bb.552:                              ;   in Loop: Header=BB231_488 Depth=1
	s_or_b32 exec_lo, exec_lo, s16
	v_lshlrev_b32_e32 v19, 24, v84
	s_delay_alu instid0(VALU_DEP_2) | instskip(SKIP_1) | instid1(VALU_DEP_3)
	v_lshlrev_b32_e32 v6, 20, v6
	v_lshl_add_u32 v18, v18, 23, 0x3c000000
	v_and_b32_e32 v19, 0x80000000, v19
	s_delay_alu instid0(VALU_DEP_1)
	v_or3_b32 v19, v6, v19, v18
	v_mov_b32_e32 v18, v7
.LBB231_553:                            ;   in Loop: Header=BB231_488 Depth=1
	s_or_b32 exec_lo, exec_lo, s10
.LBB231_554:                            ;   in Loop: Header=BB231_488 Depth=1
	s_delay_alu instid0(SALU_CYCLE_1)
	s_or_b32 exec_lo, exec_lo, s15
.LBB231_555:                            ;   in Loop: Header=BB231_488 Depth=1
	s_delay_alu instid0(SALU_CYCLE_1) | instskip(SKIP_4) | instid1(VALU_DEP_4)
	s_or_b32 exec_lo, exec_lo, s13
	v_or_b32_e32 v5, v15, v5
	v_or_b32_e32 v4, v14, v4
	;; [unrolled: 1-line block ×4, first 2 shown]
	v_mul_f32_e32 v86, v66, v5
	s_delay_alu instid0(VALU_DEP_4) | instskip(NEXT) | instid1(VALU_DEP_4)
	v_mul_f32_e32 v85, v66, v4
	v_mul_f32_e32 v83, v66, v6
	s_delay_alu instid0(VALU_DEP_4)
	v_mul_f32_e32 v84, v66, v14
	s_and_saveexec_b32 s10, vcc_lo
; %bb.556:                              ;   in Loop: Header=BB231_488 Depth=1
	v_cmp_lt_i32_e64 s0, v71, v47
	s_delay_alu instid0(VALU_DEP_1) | instskip(SKIP_1) | instid1(VALU_DEP_1)
	v_cndmask_b32_e64 v85, 0, v85, s0
	v_cmp_lt_i32_e64 s0, v82, v47
	v_cndmask_b32_e64 v86, 0, v86, s0
	v_cmp_lt_i32_e64 s0, v81, v47
	s_delay_alu instid0(VALU_DEP_1) | instskip(SKIP_1) | instid1(VALU_DEP_1)
	v_cndmask_b32_e64 v84, 0, v84, s0
	v_cmp_lt_i32_e64 s0, v80, v47
	v_cndmask_b32_e64 v83, 0, v83, s0
; %bb.557:                              ;   in Loop: Header=BB231_488 Depth=1
	s_or_b32 exec_lo, exec_lo, s10
	flat_load_b32 v87, v[12:13] offset:256
	v_mov_b32_e32 v14, 0
	v_mov_b32_e32 v15, 0
	s_mov_b32 s10, exec_lo
	s_waitcnt vmcnt(0) lgkmcnt(0)
	v_and_b32_e32 v6, 0xff, v87
	s_delay_alu instid0(VALU_DEP_2) | instskip(NEXT) | instid1(VALU_DEP_2)
	v_dual_mov_b32 v4, v14 :: v_dual_mov_b32 v5, v15
	v_cmpx_ne_u16_e32 0, v6
	s_cbranch_execz .LBB231_565
; %bb.558:                              ;   in Loop: Header=BB231_488 Depth=1
	v_bfrev_b32_e32 v4, 1
	v_mov_b32_e32 v5, 0
	s_mov_b32 s13, exec_lo
	v_cmpx_ne_u16_e32 0x80, v6
	s_cbranch_execz .LBB231_564
; %bb.559:                              ;   in Loop: Header=BB231_488 Depth=1
	v_mov_b32_e32 v4, 0x7f800001
	v_dual_mov_b32 v5, 0 :: v_dual_and_b32 v16, 0x7f, v87
	s_mov_b32 s15, exec_lo
	s_delay_alu instid0(VALU_DEP_1)
	v_cmpx_ne_u32_e32 0x7f, v16
	s_cbranch_execz .LBB231_563
; %bb.560:                              ;   in Loop: Header=BB231_488 Depth=1
	v_and_b32_e32 v6, 7, v87
	v_lshrrev_b32_e32 v4, 3, v16
	s_mov_b32 s16, exec_lo
	v_cmpx_gt_u32_e32 8, v16
; %bb.561:                              ;   in Loop: Header=BB231_488 Depth=1
	s_delay_alu instid0(VALU_DEP_3) | instskip(NEXT) | instid1(VALU_DEP_1)
	v_clz_i32_u32_e32 v4, v6
	v_min_u32_e32 v4, 32, v4
	s_delay_alu instid0(VALU_DEP_1) | instskip(SKIP_1) | instid1(VALU_DEP_2)
	v_subrev_nc_u32_e32 v5, 28, v4
	v_sub_nc_u32_e32 v4, 29, v4
	v_lshlrev_b64 v[5:6], v5, v[6:7]
	s_delay_alu instid0(VALU_DEP_1)
	v_and_b32_e32 v6, 7, v5
; %bb.562:                              ;   in Loop: Header=BB231_488 Depth=1
	s_or_b32 exec_lo, exec_lo, s16
	v_lshlrev_b32_e32 v5, 24, v87
	s_delay_alu instid0(VALU_DEP_2) | instskip(SKIP_1) | instid1(VALU_DEP_3)
	v_lshlrev_b32_e32 v6, 20, v6
	v_lshl_add_u32 v4, v4, 23, 0x3c000000
	v_and_b32_e32 v5, 0x80000000, v5
	s_delay_alu instid0(VALU_DEP_1) | instskip(NEXT) | instid1(VALU_DEP_1)
	v_or3_b32 v6, v6, v5, v4
	v_dual_mov_b32 v4, v6 :: v_dual_mov_b32 v5, v7
.LBB231_563:                            ;   in Loop: Header=BB231_488 Depth=1
	s_or_b32 exec_lo, exec_lo, s15
.LBB231_564:                            ;   in Loop: Header=BB231_488 Depth=1
	s_delay_alu instid0(SALU_CYCLE_1)
	s_or_b32 exec_lo, exec_lo, s13
.LBB231_565:                            ;   in Loop: Header=BB231_488 Depth=1
	s_delay_alu instid0(SALU_CYCLE_1) | instskip(SKIP_2) | instid1(VALU_DEP_1)
	s_or_b32 exec_lo, exec_lo, s10
	v_lshrrev_b16 v6, 8, v87
	s_mov_b32 s13, exec_lo
	v_cmpx_ne_u16_e32 0, v6
	s_cbranch_execz .LBB231_573
; %bb.566:                              ;   in Loop: Header=BB231_488 Depth=1
	v_dual_mov_b32 v15, s9 :: v_dual_mov_b32 v14, s8
	s_mov_b32 s15, exec_lo
	v_cmpx_ne_u16_e32 0x80, v6
	s_cbranch_execz .LBB231_572
; %bb.567:                              ;   in Loop: Header=BB231_488 Depth=1
	s_mov_b32 s10, s8
	v_dual_mov_b32 v15, s11 :: v_dual_and_b32 v6, 0xffff, v6
	v_mov_b32_e32 v14, s10
	s_mov_b32 s10, exec_lo
	s_delay_alu instid0(VALU_DEP_2) | instskip(NEXT) | instid1(VALU_DEP_1)
	v_and_b32_e32 v16, 0x7f, v6
	v_cmpx_ne_u32_e32 0x7f, v16
	s_cbranch_execz .LBB231_571
; %bb.568:                              ;   in Loop: Header=BB231_488 Depth=1
	v_and_b32_e32 v6, 7, v6
	v_lshrrev_b32_e32 v14, 3, v16
	s_mov_b32 s16, exec_lo
	v_cmpx_gt_u32_e32 8, v16
; %bb.569:                              ;   in Loop: Header=BB231_488 Depth=1
	s_delay_alu instid0(VALU_DEP_3) | instskip(NEXT) | instid1(VALU_DEP_1)
	v_clz_i32_u32_e32 v14, v6
	v_min_u32_e32 v14, 32, v14
	s_delay_alu instid0(VALU_DEP_1) | instskip(SKIP_1) | instid1(VALU_DEP_2)
	v_subrev_nc_u32_e32 v15, 28, v14
	v_sub_nc_u32_e32 v14, 29, v14
	v_lshlrev_b64 v[15:16], v15, v[6:7]
	s_delay_alu instid0(VALU_DEP_1)
	v_and_b32_e32 v6, 7, v15
; %bb.570:                              ;   in Loop: Header=BB231_488 Depth=1
	s_or_b32 exec_lo, exec_lo, s16
	v_lshlrev_b32_e32 v15, 16, v87
	s_delay_alu instid0(VALU_DEP_2) | instskip(SKIP_1) | instid1(VALU_DEP_3)
	v_lshlrev_b32_e32 v6, 20, v6
	v_lshl_add_u32 v14, v14, 23, 0x3c000000
	v_and_b32_e32 v15, 0x80000000, v15
	s_delay_alu instid0(VALU_DEP_1)
	v_or3_b32 v15, v6, v15, v14
	v_mov_b32_e32 v14, v7
.LBB231_571:                            ;   in Loop: Header=BB231_488 Depth=1
	s_or_b32 exec_lo, exec_lo, s10
.LBB231_572:                            ;   in Loop: Header=BB231_488 Depth=1
	s_delay_alu instid0(SALU_CYCLE_1)
	s_or_b32 exec_lo, exec_lo, s15
.LBB231_573:                            ;   in Loop: Header=BB231_488 Depth=1
	s_delay_alu instid0(SALU_CYCLE_1) | instskip(SKIP_4) | instid1(VALU_DEP_2)
	s_or_b32 exec_lo, exec_lo, s13
	v_mov_b32_e32 v18, 0
	v_lshrrev_b32_e32 v96, 16, v87
	v_mov_b32_e32 v19, 0
	s_mov_b32 s10, exec_lo
	v_and_b32_e32 v6, 0xff, v96
	s_delay_alu instid0(VALU_DEP_2) | instskip(NEXT) | instid1(VALU_DEP_2)
	v_dual_mov_b32 v16, v18 :: v_dual_mov_b32 v17, v19
	v_cmpx_ne_u16_e32 0, v6
	s_cbranch_execz .LBB231_581
; %bb.574:                              ;   in Loop: Header=BB231_488 Depth=1
	v_bfrev_b32_e32 v16, 1
	v_mov_b32_e32 v17, 0
	s_mov_b32 s13, exec_lo
	v_cmpx_ne_u16_e32 0x80, v6
	s_cbranch_execz .LBB231_580
; %bb.575:                              ;   in Loop: Header=BB231_488 Depth=1
	v_mov_b32_e32 v16, 0x7f800001
	v_bfe_u32 v97, v87, 16, 7
	v_mov_b32_e32 v17, 0
	s_mov_b32 s15, exec_lo
	s_delay_alu instid0(VALU_DEP_2)
	v_cmpx_ne_u32_e32 0x7f, v97
	s_cbranch_execz .LBB231_579
; %bb.576:                              ;   in Loop: Header=BB231_488 Depth=1
	v_and_b32_e32 v6, 7, v96
	v_lshrrev_b32_e32 v16, 3, v97
	s_mov_b32 s16, exec_lo
	v_cmpx_gt_u32_e32 8, v97
; %bb.577:                              ;   in Loop: Header=BB231_488 Depth=1
	s_delay_alu instid0(VALU_DEP_3) | instskip(NEXT) | instid1(VALU_DEP_1)
	v_clz_i32_u32_e32 v16, v6
	v_min_u32_e32 v16, 32, v16
	s_delay_alu instid0(VALU_DEP_1) | instskip(SKIP_1) | instid1(VALU_DEP_2)
	v_subrev_nc_u32_e32 v17, 28, v16
	v_sub_nc_u32_e32 v16, 29, v16
	v_lshlrev_b64 v[26:27], v17, v[6:7]
	s_delay_alu instid0(VALU_DEP_1)
	v_and_b32_e32 v6, 7, v26
; %bb.578:                              ;   in Loop: Header=BB231_488 Depth=1
	s_or_b32 exec_lo, exec_lo, s16
	v_lshlrev_b32_e32 v17, 24, v96
	s_delay_alu instid0(VALU_DEP_2) | instskip(SKIP_1) | instid1(VALU_DEP_3)
	v_lshlrev_b32_e32 v6, 20, v6
	v_lshl_add_u32 v16, v16, 23, 0x3c000000
	v_and_b32_e32 v17, 0x80000000, v17
	s_delay_alu instid0(VALU_DEP_1) | instskip(NEXT) | instid1(VALU_DEP_1)
	v_or3_b32 v6, v6, v17, v16
	v_dual_mov_b32 v17, v7 :: v_dual_mov_b32 v16, v6
.LBB231_579:                            ;   in Loop: Header=BB231_488 Depth=1
	s_or_b32 exec_lo, exec_lo, s15
.LBB231_580:                            ;   in Loop: Header=BB231_488 Depth=1
	s_delay_alu instid0(SALU_CYCLE_1)
	s_or_b32 exec_lo, exec_lo, s13
.LBB231_581:                            ;   in Loop: Header=BB231_488 Depth=1
	s_delay_alu instid0(SALU_CYCLE_1) | instskip(NEXT) | instid1(SALU_CYCLE_1)
	s_or_b32 exec_lo, exec_lo, s10
	s_mov_b32 s13, exec_lo
	v_cmpx_lt_u32_e32 0xffffff, v87
	s_cbranch_execz .LBB231_589
; %bb.582:                              ;   in Loop: Header=BB231_488 Depth=1
	v_lshrrev_b32_e32 v96, 24, v87
	v_dual_mov_b32 v19, s9 :: v_dual_mov_b32 v18, s8
	s_mov_b32 s15, exec_lo
	s_delay_alu instid0(VALU_DEP_2)
	v_cmpx_ne_u32_e32 0x80, v96
	s_cbranch_execz .LBB231_588
; %bb.583:                              ;   in Loop: Header=BB231_488 Depth=1
	s_mov_b32 s10, s8
	v_bfe_u32 v87, v87, 24, 7
	v_dual_mov_b32 v19, s11 :: v_dual_mov_b32 v18, s10
	s_mov_b32 s10, exec_lo
	s_delay_alu instid0(VALU_DEP_2)
	v_cmpx_ne_u32_e32 0x7f, v87
	s_cbranch_execz .LBB231_587
; %bb.584:                              ;   in Loop: Header=BB231_488 Depth=1
	v_and_b32_e32 v6, 7, v96
	v_lshrrev_b32_e32 v18, 3, v87
	s_mov_b32 s16, exec_lo
	v_cmpx_gt_u32_e32 8, v87
; %bb.585:                              ;   in Loop: Header=BB231_488 Depth=1
	s_delay_alu instid0(VALU_DEP_3) | instskip(NEXT) | instid1(VALU_DEP_1)
	v_clz_i32_u32_e32 v18, v6
	v_min_u32_e32 v18, 32, v18
	s_delay_alu instid0(VALU_DEP_1) | instskip(SKIP_1) | instid1(VALU_DEP_2)
	v_subrev_nc_u32_e32 v19, 28, v18
	v_sub_nc_u32_e32 v18, 29, v18
	v_lshlrev_b64 v[26:27], v19, v[6:7]
	s_delay_alu instid0(VALU_DEP_1)
	v_and_b32_e32 v6, 7, v26
; %bb.586:                              ;   in Loop: Header=BB231_488 Depth=1
	s_or_b32 exec_lo, exec_lo, s16
	v_lshlrev_b32_e32 v19, 24, v96
	s_delay_alu instid0(VALU_DEP_2) | instskip(SKIP_1) | instid1(VALU_DEP_3)
	v_lshlrev_b32_e32 v6, 20, v6
	v_lshl_add_u32 v18, v18, 23, 0x3c000000
	v_and_b32_e32 v19, 0x80000000, v19
	s_delay_alu instid0(VALU_DEP_1)
	v_or3_b32 v19, v6, v19, v18
	v_mov_b32_e32 v18, v7
.LBB231_587:                            ;   in Loop: Header=BB231_488 Depth=1
	s_or_b32 exec_lo, exec_lo, s10
.LBB231_588:                            ;   in Loop: Header=BB231_488 Depth=1
	s_delay_alu instid0(SALU_CYCLE_1)
	s_or_b32 exec_lo, exec_lo, s15
.LBB231_589:                            ;   in Loop: Header=BB231_488 Depth=1
	s_delay_alu instid0(SALU_CYCLE_1) | instskip(SKIP_4) | instid1(VALU_DEP_4)
	s_or_b32 exec_lo, exec_lo, s13
	v_or_b32_e32 v5, v15, v5
	v_or_b32_e32 v4, v14, v4
	;; [unrolled: 1-line block ×4, first 2 shown]
	v_mul_f32_e32 v98, v66, v5
	s_delay_alu instid0(VALU_DEP_4) | instskip(NEXT) | instid1(VALU_DEP_4)
	v_mul_f32_e32 v97, v66, v4
	v_mul_f32_e32 v87, v66, v6
	s_delay_alu instid0(VALU_DEP_4)
	v_mul_f32_e32 v96, v66, v14
	s_and_saveexec_b32 s10, vcc_lo
; %bb.590:                              ;   in Loop: Header=BB231_488 Depth=1
	v_cmp_lt_i32_e64 s0, v71, v47
	s_delay_alu instid0(VALU_DEP_1) | instskip(SKIP_1) | instid1(VALU_DEP_1)
	v_cndmask_b32_e64 v97, 0, v97, s0
	v_cmp_lt_i32_e64 s0, v82, v47
	v_cndmask_b32_e64 v98, 0, v98, s0
	v_cmp_lt_i32_e64 s0, v81, v47
	s_delay_alu instid0(VALU_DEP_1) | instskip(SKIP_1) | instid1(VALU_DEP_1)
	v_cndmask_b32_e64 v96, 0, v96, s0
	v_cmp_lt_i32_e64 s0, v80, v47
	v_cndmask_b32_e64 v87, 0, v87, s0
; %bb.591:                              ;   in Loop: Header=BB231_488 Depth=1
	s_or_b32 exec_lo, exec_lo, s10
	flat_load_b32 v99, v[12:13] offset:384
	v_mov_b32_e32 v14, 0
	v_mov_b32_e32 v15, 0
	s_mov_b32 s10, exec_lo
	s_waitcnt vmcnt(0) lgkmcnt(0)
	v_and_b32_e32 v6, 0xff, v99
	s_delay_alu instid0(VALU_DEP_2) | instskip(NEXT) | instid1(VALU_DEP_2)
	v_dual_mov_b32 v4, v14 :: v_dual_mov_b32 v5, v15
	v_cmpx_ne_u16_e32 0, v6
	s_cbranch_execz .LBB231_599
; %bb.592:                              ;   in Loop: Header=BB231_488 Depth=1
	v_bfrev_b32_e32 v4, 1
	v_mov_b32_e32 v5, 0
	s_mov_b32 s13, exec_lo
	v_cmpx_ne_u16_e32 0x80, v6
	s_cbranch_execz .LBB231_598
; %bb.593:                              ;   in Loop: Header=BB231_488 Depth=1
	v_mov_b32_e32 v4, 0x7f800001
	v_dual_mov_b32 v5, 0 :: v_dual_and_b32 v16, 0x7f, v99
	s_mov_b32 s15, exec_lo
	s_delay_alu instid0(VALU_DEP_1)
	v_cmpx_ne_u32_e32 0x7f, v16
	s_cbranch_execz .LBB231_597
; %bb.594:                              ;   in Loop: Header=BB231_488 Depth=1
	v_and_b32_e32 v6, 7, v99
	v_lshrrev_b32_e32 v4, 3, v16
	s_mov_b32 s16, exec_lo
	v_cmpx_gt_u32_e32 8, v16
; %bb.595:                              ;   in Loop: Header=BB231_488 Depth=1
	s_delay_alu instid0(VALU_DEP_3) | instskip(NEXT) | instid1(VALU_DEP_1)
	v_clz_i32_u32_e32 v4, v6
	v_min_u32_e32 v4, 32, v4
	s_delay_alu instid0(VALU_DEP_1) | instskip(SKIP_1) | instid1(VALU_DEP_2)
	v_subrev_nc_u32_e32 v5, 28, v4
	v_sub_nc_u32_e32 v4, 29, v4
	v_lshlrev_b64 v[5:6], v5, v[6:7]
	s_delay_alu instid0(VALU_DEP_1)
	v_and_b32_e32 v6, 7, v5
; %bb.596:                              ;   in Loop: Header=BB231_488 Depth=1
	s_or_b32 exec_lo, exec_lo, s16
	v_lshlrev_b32_e32 v5, 24, v99
	s_delay_alu instid0(VALU_DEP_2) | instskip(SKIP_1) | instid1(VALU_DEP_3)
	v_lshlrev_b32_e32 v6, 20, v6
	v_lshl_add_u32 v4, v4, 23, 0x3c000000
	v_and_b32_e32 v5, 0x80000000, v5
	s_delay_alu instid0(VALU_DEP_1) | instskip(NEXT) | instid1(VALU_DEP_1)
	v_or3_b32 v6, v6, v5, v4
	v_dual_mov_b32 v4, v6 :: v_dual_mov_b32 v5, v7
.LBB231_597:                            ;   in Loop: Header=BB231_488 Depth=1
	s_or_b32 exec_lo, exec_lo, s15
.LBB231_598:                            ;   in Loop: Header=BB231_488 Depth=1
	s_delay_alu instid0(SALU_CYCLE_1)
	s_or_b32 exec_lo, exec_lo, s13
.LBB231_599:                            ;   in Loop: Header=BB231_488 Depth=1
	s_delay_alu instid0(SALU_CYCLE_1) | instskip(SKIP_2) | instid1(VALU_DEP_1)
	s_or_b32 exec_lo, exec_lo, s10
	v_lshrrev_b16 v6, 8, v99
	s_mov_b32 s13, exec_lo
	v_cmpx_ne_u16_e32 0, v6
	s_cbranch_execz .LBB231_607
; %bb.600:                              ;   in Loop: Header=BB231_488 Depth=1
	v_dual_mov_b32 v15, s9 :: v_dual_mov_b32 v14, s8
	s_mov_b32 s15, exec_lo
	v_cmpx_ne_u16_e32 0x80, v6
	s_cbranch_execz .LBB231_606
; %bb.601:                              ;   in Loop: Header=BB231_488 Depth=1
	s_mov_b32 s10, s8
	v_dual_mov_b32 v15, s11 :: v_dual_and_b32 v6, 0xffff, v6
	v_mov_b32_e32 v14, s10
	s_mov_b32 s10, exec_lo
	s_delay_alu instid0(VALU_DEP_2) | instskip(NEXT) | instid1(VALU_DEP_1)
	v_and_b32_e32 v16, 0x7f, v6
	v_cmpx_ne_u32_e32 0x7f, v16
	s_cbranch_execz .LBB231_605
; %bb.602:                              ;   in Loop: Header=BB231_488 Depth=1
	v_and_b32_e32 v6, 7, v6
	v_lshrrev_b32_e32 v14, 3, v16
	s_mov_b32 s16, exec_lo
	v_cmpx_gt_u32_e32 8, v16
; %bb.603:                              ;   in Loop: Header=BB231_488 Depth=1
	s_delay_alu instid0(VALU_DEP_3) | instskip(NEXT) | instid1(VALU_DEP_1)
	v_clz_i32_u32_e32 v14, v6
	v_min_u32_e32 v14, 32, v14
	s_delay_alu instid0(VALU_DEP_1) | instskip(SKIP_1) | instid1(VALU_DEP_2)
	v_subrev_nc_u32_e32 v15, 28, v14
	v_sub_nc_u32_e32 v14, 29, v14
	v_lshlrev_b64 v[15:16], v15, v[6:7]
	s_delay_alu instid0(VALU_DEP_1)
	v_and_b32_e32 v6, 7, v15
; %bb.604:                              ;   in Loop: Header=BB231_488 Depth=1
	s_or_b32 exec_lo, exec_lo, s16
	v_lshlrev_b32_e32 v15, 16, v99
	s_delay_alu instid0(VALU_DEP_2) | instskip(SKIP_1) | instid1(VALU_DEP_3)
	v_lshlrev_b32_e32 v6, 20, v6
	v_lshl_add_u32 v14, v14, 23, 0x3c000000
	v_and_b32_e32 v15, 0x80000000, v15
	s_delay_alu instid0(VALU_DEP_1)
	v_or3_b32 v15, v6, v15, v14
	v_mov_b32_e32 v14, v7
.LBB231_605:                            ;   in Loop: Header=BB231_488 Depth=1
	s_or_b32 exec_lo, exec_lo, s10
.LBB231_606:                            ;   in Loop: Header=BB231_488 Depth=1
	s_delay_alu instid0(SALU_CYCLE_1)
	s_or_b32 exec_lo, exec_lo, s15
.LBB231_607:                            ;   in Loop: Header=BB231_488 Depth=1
	s_delay_alu instid0(SALU_CYCLE_1) | instskip(SKIP_4) | instid1(VALU_DEP_2)
	s_or_b32 exec_lo, exec_lo, s13
	v_mov_b32_e32 v18, 0
	v_lshrrev_b32_e32 v100, 16, v99
	v_mov_b32_e32 v19, 0
	s_mov_b32 s10, exec_lo
	v_and_b32_e32 v6, 0xff, v100
	s_delay_alu instid0(VALU_DEP_2) | instskip(NEXT) | instid1(VALU_DEP_2)
	v_dual_mov_b32 v16, v18 :: v_dual_mov_b32 v17, v19
	v_cmpx_ne_u16_e32 0, v6
	s_cbranch_execz .LBB231_615
; %bb.608:                              ;   in Loop: Header=BB231_488 Depth=1
	v_bfrev_b32_e32 v16, 1
	v_mov_b32_e32 v17, 0
	s_mov_b32 s13, exec_lo
	v_cmpx_ne_u16_e32 0x80, v6
	s_cbranch_execz .LBB231_614
; %bb.609:                              ;   in Loop: Header=BB231_488 Depth=1
	v_mov_b32_e32 v16, 0x7f800001
	v_bfe_u32 v101, v99, 16, 7
	v_mov_b32_e32 v17, 0
	s_mov_b32 s15, exec_lo
	s_delay_alu instid0(VALU_DEP_2)
	v_cmpx_ne_u32_e32 0x7f, v101
	s_cbranch_execz .LBB231_613
; %bb.610:                              ;   in Loop: Header=BB231_488 Depth=1
	v_and_b32_e32 v6, 7, v100
	v_lshrrev_b32_e32 v16, 3, v101
	s_mov_b32 s16, exec_lo
	v_cmpx_gt_u32_e32 8, v101
; %bb.611:                              ;   in Loop: Header=BB231_488 Depth=1
	s_delay_alu instid0(VALU_DEP_3) | instskip(NEXT) | instid1(VALU_DEP_1)
	v_clz_i32_u32_e32 v16, v6
	v_min_u32_e32 v16, 32, v16
	s_delay_alu instid0(VALU_DEP_1) | instskip(SKIP_1) | instid1(VALU_DEP_2)
	v_subrev_nc_u32_e32 v17, 28, v16
	v_sub_nc_u32_e32 v16, 29, v16
	v_lshlrev_b64 v[26:27], v17, v[6:7]
	s_delay_alu instid0(VALU_DEP_1)
	v_and_b32_e32 v6, 7, v26
; %bb.612:                              ;   in Loop: Header=BB231_488 Depth=1
	s_or_b32 exec_lo, exec_lo, s16
	v_lshlrev_b32_e32 v17, 24, v100
	s_delay_alu instid0(VALU_DEP_2) | instskip(SKIP_1) | instid1(VALU_DEP_3)
	v_lshlrev_b32_e32 v6, 20, v6
	v_lshl_add_u32 v16, v16, 23, 0x3c000000
	v_and_b32_e32 v17, 0x80000000, v17
	s_delay_alu instid0(VALU_DEP_1) | instskip(NEXT) | instid1(VALU_DEP_1)
	v_or3_b32 v6, v6, v17, v16
	v_dual_mov_b32 v17, v7 :: v_dual_mov_b32 v16, v6
.LBB231_613:                            ;   in Loop: Header=BB231_488 Depth=1
	s_or_b32 exec_lo, exec_lo, s15
.LBB231_614:                            ;   in Loop: Header=BB231_488 Depth=1
	s_delay_alu instid0(SALU_CYCLE_1)
	s_or_b32 exec_lo, exec_lo, s13
.LBB231_615:                            ;   in Loop: Header=BB231_488 Depth=1
	s_delay_alu instid0(SALU_CYCLE_1) | instskip(NEXT) | instid1(SALU_CYCLE_1)
	s_or_b32 exec_lo, exec_lo, s10
	s_mov_b32 s13, exec_lo
	v_cmpx_lt_u32_e32 0xffffff, v99
	s_cbranch_execz .LBB231_623
; %bb.616:                              ;   in Loop: Header=BB231_488 Depth=1
	v_lshrrev_b32_e32 v100, 24, v99
	v_dual_mov_b32 v19, s9 :: v_dual_mov_b32 v18, s8
	s_mov_b32 s15, exec_lo
	s_delay_alu instid0(VALU_DEP_2)
	v_cmpx_ne_u32_e32 0x80, v100
	s_cbranch_execz .LBB231_622
; %bb.617:                              ;   in Loop: Header=BB231_488 Depth=1
	s_mov_b32 s10, s8
	v_bfe_u32 v99, v99, 24, 7
	v_dual_mov_b32 v19, s11 :: v_dual_mov_b32 v18, s10
	s_mov_b32 s10, exec_lo
	s_delay_alu instid0(VALU_DEP_2)
	v_cmpx_ne_u32_e32 0x7f, v99
	s_cbranch_execz .LBB231_621
; %bb.618:                              ;   in Loop: Header=BB231_488 Depth=1
	v_and_b32_e32 v6, 7, v100
	v_lshrrev_b32_e32 v18, 3, v99
	s_mov_b32 s16, exec_lo
	v_cmpx_gt_u32_e32 8, v99
; %bb.619:                              ;   in Loop: Header=BB231_488 Depth=1
	s_delay_alu instid0(VALU_DEP_3) | instskip(NEXT) | instid1(VALU_DEP_1)
	v_clz_i32_u32_e32 v18, v6
	v_min_u32_e32 v18, 32, v18
	s_delay_alu instid0(VALU_DEP_1) | instskip(SKIP_1) | instid1(VALU_DEP_2)
	v_subrev_nc_u32_e32 v19, 28, v18
	v_sub_nc_u32_e32 v18, 29, v18
	v_lshlrev_b64 v[26:27], v19, v[6:7]
	s_delay_alu instid0(VALU_DEP_1)
	v_and_b32_e32 v6, 7, v26
; %bb.620:                              ;   in Loop: Header=BB231_488 Depth=1
	s_or_b32 exec_lo, exec_lo, s16
	v_lshlrev_b32_e32 v19, 24, v100
	s_delay_alu instid0(VALU_DEP_2) | instskip(SKIP_1) | instid1(VALU_DEP_3)
	v_lshlrev_b32_e32 v6, 20, v6
	v_lshl_add_u32 v18, v18, 23, 0x3c000000
	v_and_b32_e32 v19, 0x80000000, v19
	s_delay_alu instid0(VALU_DEP_1)
	v_or3_b32 v19, v6, v19, v18
	v_mov_b32_e32 v18, v7
.LBB231_621:                            ;   in Loop: Header=BB231_488 Depth=1
	s_or_b32 exec_lo, exec_lo, s10
.LBB231_622:                            ;   in Loop: Header=BB231_488 Depth=1
	s_delay_alu instid0(SALU_CYCLE_1)
	s_or_b32 exec_lo, exec_lo, s15
.LBB231_623:                            ;   in Loop: Header=BB231_488 Depth=1
	s_delay_alu instid0(SALU_CYCLE_1) | instskip(SKIP_4) | instid1(VALU_DEP_4)
	s_or_b32 exec_lo, exec_lo, s13
	v_or_b32_e32 v5, v15, v5
	v_or_b32_e32 v4, v14, v4
	;; [unrolled: 1-line block ×4, first 2 shown]
	v_mul_f32_e32 v102, v66, v5
	s_delay_alu instid0(VALU_DEP_4) | instskip(NEXT) | instid1(VALU_DEP_4)
	v_mul_f32_e32 v101, v66, v4
	v_mul_f32_e32 v99, v66, v6
	s_delay_alu instid0(VALU_DEP_4)
	v_mul_f32_e32 v100, v66, v14
	s_and_saveexec_b32 s10, vcc_lo
; %bb.624:                              ;   in Loop: Header=BB231_488 Depth=1
	v_cmp_lt_i32_e64 s0, v71, v47
	s_delay_alu instid0(VALU_DEP_1) | instskip(SKIP_1) | instid1(VALU_DEP_1)
	v_cndmask_b32_e64 v101, 0, v101, s0
	v_cmp_lt_i32_e64 s0, v82, v47
	v_cndmask_b32_e64 v102, 0, v102, s0
	v_cmp_lt_i32_e64 s0, v81, v47
	s_delay_alu instid0(VALU_DEP_1) | instskip(SKIP_1) | instid1(VALU_DEP_1)
	v_cndmask_b32_e64 v100, 0, v100, s0
	v_cmp_lt_i32_e64 s0, v80, v47
	v_cndmask_b32_e64 v99, 0, v99, s0
; %bb.625:                              ;   in Loop: Header=BB231_488 Depth=1
	s_or_b32 exec_lo, exec_lo, s10
	flat_load_b32 v103, v[12:13] offset:512
	v_mov_b32_e32 v14, 0
	v_mov_b32_e32 v15, 0
	s_mov_b32 s10, exec_lo
	s_waitcnt vmcnt(0) lgkmcnt(0)
	v_and_b32_e32 v6, 0xff, v103
	s_delay_alu instid0(VALU_DEP_2) | instskip(NEXT) | instid1(VALU_DEP_2)
	v_dual_mov_b32 v4, v14 :: v_dual_mov_b32 v5, v15
	v_cmpx_ne_u16_e32 0, v6
	s_cbranch_execz .LBB231_633
; %bb.626:                              ;   in Loop: Header=BB231_488 Depth=1
	v_bfrev_b32_e32 v4, 1
	v_mov_b32_e32 v5, 0
	s_mov_b32 s13, exec_lo
	v_cmpx_ne_u16_e32 0x80, v6
	s_cbranch_execz .LBB231_632
; %bb.627:                              ;   in Loop: Header=BB231_488 Depth=1
	v_mov_b32_e32 v4, 0x7f800001
	v_dual_mov_b32 v5, 0 :: v_dual_and_b32 v16, 0x7f, v103
	s_mov_b32 s15, exec_lo
	s_delay_alu instid0(VALU_DEP_1)
	v_cmpx_ne_u32_e32 0x7f, v16
	s_cbranch_execz .LBB231_631
; %bb.628:                              ;   in Loop: Header=BB231_488 Depth=1
	v_and_b32_e32 v6, 7, v103
	v_lshrrev_b32_e32 v4, 3, v16
	s_mov_b32 s16, exec_lo
	v_cmpx_gt_u32_e32 8, v16
; %bb.629:                              ;   in Loop: Header=BB231_488 Depth=1
	s_delay_alu instid0(VALU_DEP_3) | instskip(NEXT) | instid1(VALU_DEP_1)
	v_clz_i32_u32_e32 v4, v6
	v_min_u32_e32 v4, 32, v4
	s_delay_alu instid0(VALU_DEP_1) | instskip(SKIP_1) | instid1(VALU_DEP_2)
	v_subrev_nc_u32_e32 v5, 28, v4
	v_sub_nc_u32_e32 v4, 29, v4
	v_lshlrev_b64 v[5:6], v5, v[6:7]
	s_delay_alu instid0(VALU_DEP_1)
	v_and_b32_e32 v6, 7, v5
; %bb.630:                              ;   in Loop: Header=BB231_488 Depth=1
	s_or_b32 exec_lo, exec_lo, s16
	v_lshlrev_b32_e32 v5, 24, v103
	s_delay_alu instid0(VALU_DEP_2) | instskip(SKIP_1) | instid1(VALU_DEP_3)
	v_lshlrev_b32_e32 v6, 20, v6
	v_lshl_add_u32 v4, v4, 23, 0x3c000000
	v_and_b32_e32 v5, 0x80000000, v5
	s_delay_alu instid0(VALU_DEP_1) | instskip(NEXT) | instid1(VALU_DEP_1)
	v_or3_b32 v6, v6, v5, v4
	v_dual_mov_b32 v4, v6 :: v_dual_mov_b32 v5, v7
.LBB231_631:                            ;   in Loop: Header=BB231_488 Depth=1
	s_or_b32 exec_lo, exec_lo, s15
.LBB231_632:                            ;   in Loop: Header=BB231_488 Depth=1
	s_delay_alu instid0(SALU_CYCLE_1)
	s_or_b32 exec_lo, exec_lo, s13
.LBB231_633:                            ;   in Loop: Header=BB231_488 Depth=1
	s_delay_alu instid0(SALU_CYCLE_1) | instskip(SKIP_2) | instid1(VALU_DEP_1)
	s_or_b32 exec_lo, exec_lo, s10
	v_lshrrev_b16 v6, 8, v103
	s_mov_b32 s13, exec_lo
	v_cmpx_ne_u16_e32 0, v6
	s_cbranch_execz .LBB231_641
; %bb.634:                              ;   in Loop: Header=BB231_488 Depth=1
	v_dual_mov_b32 v15, s9 :: v_dual_mov_b32 v14, s8
	s_mov_b32 s15, exec_lo
	v_cmpx_ne_u16_e32 0x80, v6
	s_cbranch_execz .LBB231_640
; %bb.635:                              ;   in Loop: Header=BB231_488 Depth=1
	s_mov_b32 s10, s8
	v_dual_mov_b32 v15, s11 :: v_dual_and_b32 v6, 0xffff, v6
	v_mov_b32_e32 v14, s10
	s_mov_b32 s10, exec_lo
	s_delay_alu instid0(VALU_DEP_2) | instskip(NEXT) | instid1(VALU_DEP_1)
	v_and_b32_e32 v16, 0x7f, v6
	v_cmpx_ne_u32_e32 0x7f, v16
	s_cbranch_execz .LBB231_639
; %bb.636:                              ;   in Loop: Header=BB231_488 Depth=1
	v_and_b32_e32 v6, 7, v6
	v_lshrrev_b32_e32 v14, 3, v16
	s_mov_b32 s16, exec_lo
	v_cmpx_gt_u32_e32 8, v16
; %bb.637:                              ;   in Loop: Header=BB231_488 Depth=1
	s_delay_alu instid0(VALU_DEP_3) | instskip(NEXT) | instid1(VALU_DEP_1)
	v_clz_i32_u32_e32 v14, v6
	v_min_u32_e32 v14, 32, v14
	s_delay_alu instid0(VALU_DEP_1) | instskip(SKIP_1) | instid1(VALU_DEP_2)
	v_subrev_nc_u32_e32 v15, 28, v14
	v_sub_nc_u32_e32 v14, 29, v14
	v_lshlrev_b64 v[15:16], v15, v[6:7]
	s_delay_alu instid0(VALU_DEP_1)
	v_and_b32_e32 v6, 7, v15
; %bb.638:                              ;   in Loop: Header=BB231_488 Depth=1
	s_or_b32 exec_lo, exec_lo, s16
	v_lshlrev_b32_e32 v15, 16, v103
	s_delay_alu instid0(VALU_DEP_2) | instskip(SKIP_1) | instid1(VALU_DEP_3)
	v_lshlrev_b32_e32 v6, 20, v6
	v_lshl_add_u32 v14, v14, 23, 0x3c000000
	v_and_b32_e32 v15, 0x80000000, v15
	s_delay_alu instid0(VALU_DEP_1)
	v_or3_b32 v15, v6, v15, v14
	v_mov_b32_e32 v14, v7
.LBB231_639:                            ;   in Loop: Header=BB231_488 Depth=1
	s_or_b32 exec_lo, exec_lo, s10
.LBB231_640:                            ;   in Loop: Header=BB231_488 Depth=1
	s_delay_alu instid0(SALU_CYCLE_1)
	s_or_b32 exec_lo, exec_lo, s15
.LBB231_641:                            ;   in Loop: Header=BB231_488 Depth=1
	s_delay_alu instid0(SALU_CYCLE_1) | instskip(SKIP_4) | instid1(VALU_DEP_2)
	s_or_b32 exec_lo, exec_lo, s13
	v_mov_b32_e32 v18, 0
	v_lshrrev_b32_e32 v113, 16, v103
	v_mov_b32_e32 v19, 0
	s_mov_b32 s10, exec_lo
	v_and_b32_e32 v6, 0xff, v113
	s_delay_alu instid0(VALU_DEP_2) | instskip(NEXT) | instid1(VALU_DEP_2)
	v_dual_mov_b32 v16, v18 :: v_dual_mov_b32 v17, v19
	v_cmpx_ne_u16_e32 0, v6
	s_cbranch_execz .LBB231_649
; %bb.642:                              ;   in Loop: Header=BB231_488 Depth=1
	v_bfrev_b32_e32 v16, 1
	v_mov_b32_e32 v17, 0
	s_mov_b32 s13, exec_lo
	v_cmpx_ne_u16_e32 0x80, v6
	s_cbranch_execz .LBB231_648
; %bb.643:                              ;   in Loop: Header=BB231_488 Depth=1
	v_mov_b32_e32 v16, 0x7f800001
	v_bfe_u32 v114, v103, 16, 7
	v_mov_b32_e32 v17, 0
	s_mov_b32 s15, exec_lo
	s_delay_alu instid0(VALU_DEP_2)
	v_cmpx_ne_u32_e32 0x7f, v114
	s_cbranch_execz .LBB231_647
; %bb.644:                              ;   in Loop: Header=BB231_488 Depth=1
	v_and_b32_e32 v6, 7, v113
	v_lshrrev_b32_e32 v16, 3, v114
	s_mov_b32 s16, exec_lo
	v_cmpx_gt_u32_e32 8, v114
; %bb.645:                              ;   in Loop: Header=BB231_488 Depth=1
	s_delay_alu instid0(VALU_DEP_3) | instskip(NEXT) | instid1(VALU_DEP_1)
	v_clz_i32_u32_e32 v16, v6
	v_min_u32_e32 v16, 32, v16
	s_delay_alu instid0(VALU_DEP_1) | instskip(SKIP_1) | instid1(VALU_DEP_2)
	v_subrev_nc_u32_e32 v17, 28, v16
	v_sub_nc_u32_e32 v16, 29, v16
	v_lshlrev_b64 v[26:27], v17, v[6:7]
	s_delay_alu instid0(VALU_DEP_1)
	v_and_b32_e32 v6, 7, v26
; %bb.646:                              ;   in Loop: Header=BB231_488 Depth=1
	s_or_b32 exec_lo, exec_lo, s16
	v_lshlrev_b32_e32 v17, 24, v113
	s_delay_alu instid0(VALU_DEP_2) | instskip(SKIP_1) | instid1(VALU_DEP_3)
	v_lshlrev_b32_e32 v6, 20, v6
	v_lshl_add_u32 v16, v16, 23, 0x3c000000
	v_and_b32_e32 v17, 0x80000000, v17
	s_delay_alu instid0(VALU_DEP_1) | instskip(NEXT) | instid1(VALU_DEP_1)
	v_or3_b32 v6, v6, v17, v16
	v_dual_mov_b32 v17, v7 :: v_dual_mov_b32 v16, v6
.LBB231_647:                            ;   in Loop: Header=BB231_488 Depth=1
	s_or_b32 exec_lo, exec_lo, s15
.LBB231_648:                            ;   in Loop: Header=BB231_488 Depth=1
	s_delay_alu instid0(SALU_CYCLE_1)
	s_or_b32 exec_lo, exec_lo, s13
.LBB231_649:                            ;   in Loop: Header=BB231_488 Depth=1
	s_delay_alu instid0(SALU_CYCLE_1) | instskip(NEXT) | instid1(SALU_CYCLE_1)
	s_or_b32 exec_lo, exec_lo, s10
	s_mov_b32 s13, exec_lo
	v_cmpx_lt_u32_e32 0xffffff, v103
	s_cbranch_execz .LBB231_657
; %bb.650:                              ;   in Loop: Header=BB231_488 Depth=1
	v_lshrrev_b32_e32 v113, 24, v103
	v_dual_mov_b32 v19, s9 :: v_dual_mov_b32 v18, s8
	s_mov_b32 s15, exec_lo
	s_delay_alu instid0(VALU_DEP_2)
	v_cmpx_ne_u32_e32 0x80, v113
	s_cbranch_execz .LBB231_656
; %bb.651:                              ;   in Loop: Header=BB231_488 Depth=1
	s_mov_b32 s10, s8
	v_bfe_u32 v103, v103, 24, 7
	v_dual_mov_b32 v19, s11 :: v_dual_mov_b32 v18, s10
	s_mov_b32 s10, exec_lo
	s_delay_alu instid0(VALU_DEP_2)
	v_cmpx_ne_u32_e32 0x7f, v103
	s_cbranch_execz .LBB231_655
; %bb.652:                              ;   in Loop: Header=BB231_488 Depth=1
	v_and_b32_e32 v6, 7, v113
	v_lshrrev_b32_e32 v18, 3, v103
	s_mov_b32 s16, exec_lo
	v_cmpx_gt_u32_e32 8, v103
; %bb.653:                              ;   in Loop: Header=BB231_488 Depth=1
	s_delay_alu instid0(VALU_DEP_3) | instskip(NEXT) | instid1(VALU_DEP_1)
	v_clz_i32_u32_e32 v18, v6
	v_min_u32_e32 v18, 32, v18
	s_delay_alu instid0(VALU_DEP_1) | instskip(SKIP_1) | instid1(VALU_DEP_2)
	v_subrev_nc_u32_e32 v19, 28, v18
	v_sub_nc_u32_e32 v18, 29, v18
	v_lshlrev_b64 v[26:27], v19, v[6:7]
	s_delay_alu instid0(VALU_DEP_1)
	v_and_b32_e32 v6, 7, v26
; %bb.654:                              ;   in Loop: Header=BB231_488 Depth=1
	s_or_b32 exec_lo, exec_lo, s16
	v_lshlrev_b32_e32 v19, 24, v113
	s_delay_alu instid0(VALU_DEP_2) | instskip(SKIP_1) | instid1(VALU_DEP_3)
	v_lshlrev_b32_e32 v6, 20, v6
	v_lshl_add_u32 v18, v18, 23, 0x3c000000
	v_and_b32_e32 v19, 0x80000000, v19
	s_delay_alu instid0(VALU_DEP_1)
	v_or3_b32 v19, v6, v19, v18
	v_mov_b32_e32 v18, v7
.LBB231_655:                            ;   in Loop: Header=BB231_488 Depth=1
	s_or_b32 exec_lo, exec_lo, s10
.LBB231_656:                            ;   in Loop: Header=BB231_488 Depth=1
	s_delay_alu instid0(SALU_CYCLE_1)
	s_or_b32 exec_lo, exec_lo, s15
.LBB231_657:                            ;   in Loop: Header=BB231_488 Depth=1
	s_delay_alu instid0(SALU_CYCLE_1) | instskip(SKIP_4) | instid1(VALU_DEP_4)
	s_or_b32 exec_lo, exec_lo, s13
	v_or_b32_e32 v5, v15, v5
	v_or_b32_e32 v4, v14, v4
	;; [unrolled: 1-line block ×4, first 2 shown]
	v_mul_f32_e32 v115, v66, v5
	s_delay_alu instid0(VALU_DEP_4) | instskip(NEXT) | instid1(VALU_DEP_4)
	v_mul_f32_e32 v114, v66, v4
	v_mul_f32_e32 v103, v66, v6
	s_delay_alu instid0(VALU_DEP_4)
	v_mul_f32_e32 v113, v66, v14
	s_and_saveexec_b32 s10, vcc_lo
; %bb.658:                              ;   in Loop: Header=BB231_488 Depth=1
	v_cmp_lt_i32_e64 s0, v71, v47
	s_delay_alu instid0(VALU_DEP_1) | instskip(SKIP_1) | instid1(VALU_DEP_1)
	v_cndmask_b32_e64 v114, 0, v114, s0
	v_cmp_lt_i32_e64 s0, v82, v47
	v_cndmask_b32_e64 v115, 0, v115, s0
	v_cmp_lt_i32_e64 s0, v81, v47
	s_delay_alu instid0(VALU_DEP_1) | instskip(SKIP_1) | instid1(VALU_DEP_1)
	v_cndmask_b32_e64 v113, 0, v113, s0
	v_cmp_lt_i32_e64 s0, v80, v47
	v_cndmask_b32_e64 v103, 0, v103, s0
; %bb.659:                              ;   in Loop: Header=BB231_488 Depth=1
	s_or_b32 exec_lo, exec_lo, s10
	flat_load_b32 v116, v[12:13] offset:640
	v_mov_b32_e32 v14, 0
	v_mov_b32_e32 v15, 0
	s_mov_b32 s10, exec_lo
	s_waitcnt vmcnt(0) lgkmcnt(0)
	v_and_b32_e32 v6, 0xff, v116
	s_delay_alu instid0(VALU_DEP_2) | instskip(NEXT) | instid1(VALU_DEP_2)
	v_dual_mov_b32 v4, v14 :: v_dual_mov_b32 v5, v15
	v_cmpx_ne_u16_e32 0, v6
	s_cbranch_execz .LBB231_667
; %bb.660:                              ;   in Loop: Header=BB231_488 Depth=1
	v_bfrev_b32_e32 v4, 1
	v_mov_b32_e32 v5, 0
	s_mov_b32 s13, exec_lo
	v_cmpx_ne_u16_e32 0x80, v6
	s_cbranch_execz .LBB231_666
; %bb.661:                              ;   in Loop: Header=BB231_488 Depth=1
	v_mov_b32_e32 v4, 0x7f800001
	v_dual_mov_b32 v5, 0 :: v_dual_and_b32 v16, 0x7f, v116
	s_mov_b32 s15, exec_lo
	s_delay_alu instid0(VALU_DEP_1)
	v_cmpx_ne_u32_e32 0x7f, v16
	s_cbranch_execz .LBB231_665
; %bb.662:                              ;   in Loop: Header=BB231_488 Depth=1
	v_and_b32_e32 v6, 7, v116
	v_lshrrev_b32_e32 v4, 3, v16
	s_mov_b32 s16, exec_lo
	v_cmpx_gt_u32_e32 8, v16
; %bb.663:                              ;   in Loop: Header=BB231_488 Depth=1
	s_delay_alu instid0(VALU_DEP_3) | instskip(NEXT) | instid1(VALU_DEP_1)
	v_clz_i32_u32_e32 v4, v6
	v_min_u32_e32 v4, 32, v4
	s_delay_alu instid0(VALU_DEP_1) | instskip(SKIP_1) | instid1(VALU_DEP_2)
	v_subrev_nc_u32_e32 v5, 28, v4
	v_sub_nc_u32_e32 v4, 29, v4
	v_lshlrev_b64 v[5:6], v5, v[6:7]
	s_delay_alu instid0(VALU_DEP_1)
	v_and_b32_e32 v6, 7, v5
; %bb.664:                              ;   in Loop: Header=BB231_488 Depth=1
	s_or_b32 exec_lo, exec_lo, s16
	v_lshlrev_b32_e32 v5, 24, v116
	s_delay_alu instid0(VALU_DEP_2) | instskip(SKIP_1) | instid1(VALU_DEP_3)
	v_lshlrev_b32_e32 v6, 20, v6
	v_lshl_add_u32 v4, v4, 23, 0x3c000000
	v_and_b32_e32 v5, 0x80000000, v5
	s_delay_alu instid0(VALU_DEP_1) | instskip(NEXT) | instid1(VALU_DEP_1)
	v_or3_b32 v6, v6, v5, v4
	v_dual_mov_b32 v4, v6 :: v_dual_mov_b32 v5, v7
.LBB231_665:                            ;   in Loop: Header=BB231_488 Depth=1
	s_or_b32 exec_lo, exec_lo, s15
.LBB231_666:                            ;   in Loop: Header=BB231_488 Depth=1
	s_delay_alu instid0(SALU_CYCLE_1)
	s_or_b32 exec_lo, exec_lo, s13
.LBB231_667:                            ;   in Loop: Header=BB231_488 Depth=1
	s_delay_alu instid0(SALU_CYCLE_1) | instskip(SKIP_2) | instid1(VALU_DEP_1)
	s_or_b32 exec_lo, exec_lo, s10
	v_lshrrev_b16 v6, 8, v116
	s_mov_b32 s13, exec_lo
	v_cmpx_ne_u16_e32 0, v6
	s_cbranch_execz .LBB231_675
; %bb.668:                              ;   in Loop: Header=BB231_488 Depth=1
	v_dual_mov_b32 v15, s9 :: v_dual_mov_b32 v14, s8
	s_mov_b32 s15, exec_lo
	v_cmpx_ne_u16_e32 0x80, v6
	s_cbranch_execz .LBB231_674
; %bb.669:                              ;   in Loop: Header=BB231_488 Depth=1
	s_mov_b32 s10, s8
	v_dual_mov_b32 v15, s11 :: v_dual_and_b32 v6, 0xffff, v6
	v_mov_b32_e32 v14, s10
	s_mov_b32 s10, exec_lo
	s_delay_alu instid0(VALU_DEP_2) | instskip(NEXT) | instid1(VALU_DEP_1)
	v_and_b32_e32 v16, 0x7f, v6
	v_cmpx_ne_u32_e32 0x7f, v16
	s_cbranch_execz .LBB231_673
; %bb.670:                              ;   in Loop: Header=BB231_488 Depth=1
	v_and_b32_e32 v6, 7, v6
	v_lshrrev_b32_e32 v14, 3, v16
	s_mov_b32 s16, exec_lo
	v_cmpx_gt_u32_e32 8, v16
; %bb.671:                              ;   in Loop: Header=BB231_488 Depth=1
	s_delay_alu instid0(VALU_DEP_3) | instskip(NEXT) | instid1(VALU_DEP_1)
	v_clz_i32_u32_e32 v14, v6
	v_min_u32_e32 v14, 32, v14
	s_delay_alu instid0(VALU_DEP_1) | instskip(SKIP_1) | instid1(VALU_DEP_2)
	v_subrev_nc_u32_e32 v15, 28, v14
	v_sub_nc_u32_e32 v14, 29, v14
	v_lshlrev_b64 v[15:16], v15, v[6:7]
	s_delay_alu instid0(VALU_DEP_1)
	v_and_b32_e32 v6, 7, v15
; %bb.672:                              ;   in Loop: Header=BB231_488 Depth=1
	s_or_b32 exec_lo, exec_lo, s16
	v_lshlrev_b32_e32 v15, 16, v116
	s_delay_alu instid0(VALU_DEP_2) | instskip(SKIP_1) | instid1(VALU_DEP_3)
	v_lshlrev_b32_e32 v6, 20, v6
	v_lshl_add_u32 v14, v14, 23, 0x3c000000
	v_and_b32_e32 v15, 0x80000000, v15
	s_delay_alu instid0(VALU_DEP_1)
	v_or3_b32 v15, v6, v15, v14
	v_mov_b32_e32 v14, v7
.LBB231_673:                            ;   in Loop: Header=BB231_488 Depth=1
	s_or_b32 exec_lo, exec_lo, s10
.LBB231_674:                            ;   in Loop: Header=BB231_488 Depth=1
	s_delay_alu instid0(SALU_CYCLE_1)
	s_or_b32 exec_lo, exec_lo, s15
.LBB231_675:                            ;   in Loop: Header=BB231_488 Depth=1
	s_delay_alu instid0(SALU_CYCLE_1) | instskip(SKIP_4) | instid1(VALU_DEP_2)
	s_or_b32 exec_lo, exec_lo, s13
	v_mov_b32_e32 v18, 0
	v_lshrrev_b32_e32 v117, 16, v116
	v_mov_b32_e32 v19, 0
	s_mov_b32 s10, exec_lo
	v_and_b32_e32 v6, 0xff, v117
	s_delay_alu instid0(VALU_DEP_2) | instskip(NEXT) | instid1(VALU_DEP_2)
	v_dual_mov_b32 v16, v18 :: v_dual_mov_b32 v17, v19
	v_cmpx_ne_u16_e32 0, v6
	s_cbranch_execz .LBB231_683
; %bb.676:                              ;   in Loop: Header=BB231_488 Depth=1
	v_bfrev_b32_e32 v16, 1
	v_mov_b32_e32 v17, 0
	s_mov_b32 s13, exec_lo
	v_cmpx_ne_u16_e32 0x80, v6
	s_cbranch_execz .LBB231_682
; %bb.677:                              ;   in Loop: Header=BB231_488 Depth=1
	v_mov_b32_e32 v16, 0x7f800001
	v_bfe_u32 v118, v116, 16, 7
	v_mov_b32_e32 v17, 0
	s_mov_b32 s15, exec_lo
	s_delay_alu instid0(VALU_DEP_2)
	v_cmpx_ne_u32_e32 0x7f, v118
	s_cbranch_execz .LBB231_681
; %bb.678:                              ;   in Loop: Header=BB231_488 Depth=1
	v_and_b32_e32 v6, 7, v117
	v_lshrrev_b32_e32 v16, 3, v118
	s_mov_b32 s16, exec_lo
	v_cmpx_gt_u32_e32 8, v118
; %bb.679:                              ;   in Loop: Header=BB231_488 Depth=1
	s_delay_alu instid0(VALU_DEP_3) | instskip(NEXT) | instid1(VALU_DEP_1)
	v_clz_i32_u32_e32 v16, v6
	v_min_u32_e32 v16, 32, v16
	s_delay_alu instid0(VALU_DEP_1) | instskip(SKIP_1) | instid1(VALU_DEP_2)
	v_subrev_nc_u32_e32 v17, 28, v16
	v_sub_nc_u32_e32 v16, 29, v16
	v_lshlrev_b64 v[26:27], v17, v[6:7]
	s_delay_alu instid0(VALU_DEP_1)
	v_and_b32_e32 v6, 7, v26
; %bb.680:                              ;   in Loop: Header=BB231_488 Depth=1
	s_or_b32 exec_lo, exec_lo, s16
	v_lshlrev_b32_e32 v17, 24, v117
	s_delay_alu instid0(VALU_DEP_2) | instskip(SKIP_1) | instid1(VALU_DEP_3)
	v_lshlrev_b32_e32 v6, 20, v6
	v_lshl_add_u32 v16, v16, 23, 0x3c000000
	v_and_b32_e32 v17, 0x80000000, v17
	s_delay_alu instid0(VALU_DEP_1) | instskip(NEXT) | instid1(VALU_DEP_1)
	v_or3_b32 v6, v6, v17, v16
	v_dual_mov_b32 v17, v7 :: v_dual_mov_b32 v16, v6
.LBB231_681:                            ;   in Loop: Header=BB231_488 Depth=1
	s_or_b32 exec_lo, exec_lo, s15
.LBB231_682:                            ;   in Loop: Header=BB231_488 Depth=1
	s_delay_alu instid0(SALU_CYCLE_1)
	s_or_b32 exec_lo, exec_lo, s13
.LBB231_683:                            ;   in Loop: Header=BB231_488 Depth=1
	s_delay_alu instid0(SALU_CYCLE_1) | instskip(NEXT) | instid1(SALU_CYCLE_1)
	s_or_b32 exec_lo, exec_lo, s10
	s_mov_b32 s13, exec_lo
	v_cmpx_lt_u32_e32 0xffffff, v116
	s_cbranch_execz .LBB231_691
; %bb.684:                              ;   in Loop: Header=BB231_488 Depth=1
	v_lshrrev_b32_e32 v117, 24, v116
	v_dual_mov_b32 v19, s9 :: v_dual_mov_b32 v18, s8
	s_mov_b32 s15, exec_lo
	s_delay_alu instid0(VALU_DEP_2)
	v_cmpx_ne_u32_e32 0x80, v117
	s_cbranch_execz .LBB231_690
; %bb.685:                              ;   in Loop: Header=BB231_488 Depth=1
	s_mov_b32 s10, s8
	v_bfe_u32 v116, v116, 24, 7
	v_dual_mov_b32 v19, s11 :: v_dual_mov_b32 v18, s10
	s_mov_b32 s10, exec_lo
	s_delay_alu instid0(VALU_DEP_2)
	v_cmpx_ne_u32_e32 0x7f, v116
	s_cbranch_execz .LBB231_689
; %bb.686:                              ;   in Loop: Header=BB231_488 Depth=1
	v_and_b32_e32 v6, 7, v117
	v_lshrrev_b32_e32 v18, 3, v116
	s_mov_b32 s16, exec_lo
	v_cmpx_gt_u32_e32 8, v116
; %bb.687:                              ;   in Loop: Header=BB231_488 Depth=1
	s_delay_alu instid0(VALU_DEP_3) | instskip(NEXT) | instid1(VALU_DEP_1)
	v_clz_i32_u32_e32 v18, v6
	v_min_u32_e32 v18, 32, v18
	s_delay_alu instid0(VALU_DEP_1) | instskip(SKIP_1) | instid1(VALU_DEP_2)
	v_subrev_nc_u32_e32 v19, 28, v18
	v_sub_nc_u32_e32 v18, 29, v18
	v_lshlrev_b64 v[26:27], v19, v[6:7]
	s_delay_alu instid0(VALU_DEP_1)
	v_and_b32_e32 v6, 7, v26
; %bb.688:                              ;   in Loop: Header=BB231_488 Depth=1
	s_or_b32 exec_lo, exec_lo, s16
	v_lshlrev_b32_e32 v19, 24, v117
	s_delay_alu instid0(VALU_DEP_2) | instskip(SKIP_1) | instid1(VALU_DEP_3)
	v_lshlrev_b32_e32 v6, 20, v6
	v_lshl_add_u32 v18, v18, 23, 0x3c000000
	v_and_b32_e32 v19, 0x80000000, v19
	s_delay_alu instid0(VALU_DEP_1)
	v_or3_b32 v19, v6, v19, v18
	v_mov_b32_e32 v18, v7
.LBB231_689:                            ;   in Loop: Header=BB231_488 Depth=1
	s_or_b32 exec_lo, exec_lo, s10
.LBB231_690:                            ;   in Loop: Header=BB231_488 Depth=1
	s_delay_alu instid0(SALU_CYCLE_1)
	s_or_b32 exec_lo, exec_lo, s15
.LBB231_691:                            ;   in Loop: Header=BB231_488 Depth=1
	s_delay_alu instid0(SALU_CYCLE_1) | instskip(SKIP_4) | instid1(VALU_DEP_4)
	s_or_b32 exec_lo, exec_lo, s13
	v_or_b32_e32 v5, v15, v5
	v_or_b32_e32 v4, v14, v4
	;; [unrolled: 1-line block ×4, first 2 shown]
	v_mul_f32_e32 v119, v66, v5
	s_delay_alu instid0(VALU_DEP_4) | instskip(NEXT) | instid1(VALU_DEP_4)
	v_mul_f32_e32 v118, v66, v4
	v_mul_f32_e32 v116, v66, v6
	s_delay_alu instid0(VALU_DEP_4)
	v_mul_f32_e32 v117, v66, v14
	s_and_saveexec_b32 s10, vcc_lo
; %bb.692:                              ;   in Loop: Header=BB231_488 Depth=1
	v_cmp_lt_i32_e64 s0, v71, v47
	s_delay_alu instid0(VALU_DEP_1) | instskip(SKIP_1) | instid1(VALU_DEP_1)
	v_cndmask_b32_e64 v118, 0, v118, s0
	v_cmp_lt_i32_e64 s0, v82, v47
	v_cndmask_b32_e64 v119, 0, v119, s0
	v_cmp_lt_i32_e64 s0, v81, v47
	s_delay_alu instid0(VALU_DEP_1) | instskip(SKIP_1) | instid1(VALU_DEP_1)
	v_cndmask_b32_e64 v117, 0, v117, s0
	v_cmp_lt_i32_e64 s0, v80, v47
	v_cndmask_b32_e64 v116, 0, v116, s0
; %bb.693:                              ;   in Loop: Header=BB231_488 Depth=1
	s_or_b32 exec_lo, exec_lo, s10
	flat_load_b32 v128, v[12:13] offset:768
	v_mov_b32_e32 v14, 0
	v_mov_b32_e32 v15, 0
	s_mov_b32 s10, exec_lo
	s_waitcnt vmcnt(0) lgkmcnt(0)
	v_and_b32_e32 v6, 0xff, v128
	s_delay_alu instid0(VALU_DEP_2) | instskip(NEXT) | instid1(VALU_DEP_2)
	v_dual_mov_b32 v4, v14 :: v_dual_mov_b32 v5, v15
	v_cmpx_ne_u16_e32 0, v6
	s_cbranch_execz .LBB231_701
; %bb.694:                              ;   in Loop: Header=BB231_488 Depth=1
	v_bfrev_b32_e32 v4, 1
	v_mov_b32_e32 v5, 0
	s_mov_b32 s13, exec_lo
	v_cmpx_ne_u16_e32 0x80, v6
	s_cbranch_execz .LBB231_700
; %bb.695:                              ;   in Loop: Header=BB231_488 Depth=1
	v_mov_b32_e32 v4, 0x7f800001
	v_dual_mov_b32 v5, 0 :: v_dual_and_b32 v16, 0x7f, v128
	s_mov_b32 s15, exec_lo
	s_delay_alu instid0(VALU_DEP_1)
	v_cmpx_ne_u32_e32 0x7f, v16
	s_cbranch_execz .LBB231_699
; %bb.696:                              ;   in Loop: Header=BB231_488 Depth=1
	v_and_b32_e32 v6, 7, v128
	v_lshrrev_b32_e32 v4, 3, v16
	s_mov_b32 s16, exec_lo
	v_cmpx_gt_u32_e32 8, v16
; %bb.697:                              ;   in Loop: Header=BB231_488 Depth=1
	s_delay_alu instid0(VALU_DEP_3) | instskip(NEXT) | instid1(VALU_DEP_1)
	v_clz_i32_u32_e32 v4, v6
	v_min_u32_e32 v4, 32, v4
	s_delay_alu instid0(VALU_DEP_1) | instskip(SKIP_1) | instid1(VALU_DEP_2)
	v_subrev_nc_u32_e32 v5, 28, v4
	v_sub_nc_u32_e32 v4, 29, v4
	v_lshlrev_b64 v[5:6], v5, v[6:7]
	s_delay_alu instid0(VALU_DEP_1)
	v_and_b32_e32 v6, 7, v5
; %bb.698:                              ;   in Loop: Header=BB231_488 Depth=1
	s_or_b32 exec_lo, exec_lo, s16
	v_lshlrev_b32_e32 v5, 24, v128
	s_delay_alu instid0(VALU_DEP_2) | instskip(SKIP_1) | instid1(VALU_DEP_3)
	v_lshlrev_b32_e32 v6, 20, v6
	v_lshl_add_u32 v4, v4, 23, 0x3c000000
	v_and_b32_e32 v5, 0x80000000, v5
	s_delay_alu instid0(VALU_DEP_1) | instskip(NEXT) | instid1(VALU_DEP_1)
	v_or3_b32 v6, v6, v5, v4
	v_dual_mov_b32 v4, v6 :: v_dual_mov_b32 v5, v7
.LBB231_699:                            ;   in Loop: Header=BB231_488 Depth=1
	s_or_b32 exec_lo, exec_lo, s15
.LBB231_700:                            ;   in Loop: Header=BB231_488 Depth=1
	s_delay_alu instid0(SALU_CYCLE_1)
	s_or_b32 exec_lo, exec_lo, s13
.LBB231_701:                            ;   in Loop: Header=BB231_488 Depth=1
	s_delay_alu instid0(SALU_CYCLE_1) | instskip(SKIP_2) | instid1(VALU_DEP_1)
	s_or_b32 exec_lo, exec_lo, s10
	v_lshrrev_b16 v6, 8, v128
	s_mov_b32 s13, exec_lo
	v_cmpx_ne_u16_e32 0, v6
	s_cbranch_execz .LBB231_709
; %bb.702:                              ;   in Loop: Header=BB231_488 Depth=1
	v_dual_mov_b32 v15, s9 :: v_dual_mov_b32 v14, s8
	s_mov_b32 s15, exec_lo
	v_cmpx_ne_u16_e32 0x80, v6
	s_cbranch_execz .LBB231_708
; %bb.703:                              ;   in Loop: Header=BB231_488 Depth=1
	s_mov_b32 s10, s8
	v_dual_mov_b32 v15, s11 :: v_dual_and_b32 v6, 0xffff, v6
	v_mov_b32_e32 v14, s10
	s_mov_b32 s10, exec_lo
	s_delay_alu instid0(VALU_DEP_2) | instskip(NEXT) | instid1(VALU_DEP_1)
	v_and_b32_e32 v16, 0x7f, v6
	v_cmpx_ne_u32_e32 0x7f, v16
	s_cbranch_execz .LBB231_707
; %bb.704:                              ;   in Loop: Header=BB231_488 Depth=1
	v_and_b32_e32 v6, 7, v6
	v_lshrrev_b32_e32 v14, 3, v16
	s_mov_b32 s16, exec_lo
	v_cmpx_gt_u32_e32 8, v16
; %bb.705:                              ;   in Loop: Header=BB231_488 Depth=1
	s_delay_alu instid0(VALU_DEP_3) | instskip(NEXT) | instid1(VALU_DEP_1)
	v_clz_i32_u32_e32 v14, v6
	v_min_u32_e32 v14, 32, v14
	s_delay_alu instid0(VALU_DEP_1) | instskip(SKIP_1) | instid1(VALU_DEP_2)
	v_subrev_nc_u32_e32 v15, 28, v14
	v_sub_nc_u32_e32 v14, 29, v14
	v_lshlrev_b64 v[15:16], v15, v[6:7]
	s_delay_alu instid0(VALU_DEP_1)
	v_and_b32_e32 v6, 7, v15
; %bb.706:                              ;   in Loop: Header=BB231_488 Depth=1
	s_or_b32 exec_lo, exec_lo, s16
	v_lshlrev_b32_e32 v15, 16, v128
	s_delay_alu instid0(VALU_DEP_2) | instskip(SKIP_1) | instid1(VALU_DEP_3)
	v_lshlrev_b32_e32 v6, 20, v6
	v_lshl_add_u32 v14, v14, 23, 0x3c000000
	v_and_b32_e32 v15, 0x80000000, v15
	s_delay_alu instid0(VALU_DEP_1)
	v_or3_b32 v15, v6, v15, v14
	v_mov_b32_e32 v14, v7
.LBB231_707:                            ;   in Loop: Header=BB231_488 Depth=1
	s_or_b32 exec_lo, exec_lo, s10
.LBB231_708:                            ;   in Loop: Header=BB231_488 Depth=1
	s_delay_alu instid0(SALU_CYCLE_1)
	s_or_b32 exec_lo, exec_lo, s15
.LBB231_709:                            ;   in Loop: Header=BB231_488 Depth=1
	s_delay_alu instid0(SALU_CYCLE_1) | instskip(SKIP_4) | instid1(VALU_DEP_2)
	s_or_b32 exec_lo, exec_lo, s13
	v_mov_b32_e32 v18, 0
	v_lshrrev_b32_e32 v129, 16, v128
	v_mov_b32_e32 v19, 0
	s_mov_b32 s10, exec_lo
	v_and_b32_e32 v6, 0xff, v129
	s_delay_alu instid0(VALU_DEP_2) | instskip(NEXT) | instid1(VALU_DEP_2)
	v_dual_mov_b32 v16, v18 :: v_dual_mov_b32 v17, v19
	v_cmpx_ne_u16_e32 0, v6
	s_cbranch_execz .LBB231_717
; %bb.710:                              ;   in Loop: Header=BB231_488 Depth=1
	v_bfrev_b32_e32 v16, 1
	v_mov_b32_e32 v17, 0
	s_mov_b32 s13, exec_lo
	v_cmpx_ne_u16_e32 0x80, v6
	s_cbranch_execz .LBB231_716
; %bb.711:                              ;   in Loop: Header=BB231_488 Depth=1
	v_mov_b32_e32 v16, 0x7f800001
	v_bfe_u32 v130, v128, 16, 7
	v_mov_b32_e32 v17, 0
	s_mov_b32 s15, exec_lo
	s_delay_alu instid0(VALU_DEP_2)
	v_cmpx_ne_u32_e32 0x7f, v130
	s_cbranch_execz .LBB231_715
; %bb.712:                              ;   in Loop: Header=BB231_488 Depth=1
	v_and_b32_e32 v6, 7, v129
	v_lshrrev_b32_e32 v16, 3, v130
	s_mov_b32 s16, exec_lo
	v_cmpx_gt_u32_e32 8, v130
; %bb.713:                              ;   in Loop: Header=BB231_488 Depth=1
	s_delay_alu instid0(VALU_DEP_3) | instskip(NEXT) | instid1(VALU_DEP_1)
	v_clz_i32_u32_e32 v16, v6
	v_min_u32_e32 v16, 32, v16
	s_delay_alu instid0(VALU_DEP_1) | instskip(SKIP_1) | instid1(VALU_DEP_2)
	v_subrev_nc_u32_e32 v17, 28, v16
	v_sub_nc_u32_e32 v16, 29, v16
	v_lshlrev_b64 v[26:27], v17, v[6:7]
	s_delay_alu instid0(VALU_DEP_1)
	v_and_b32_e32 v6, 7, v26
; %bb.714:                              ;   in Loop: Header=BB231_488 Depth=1
	s_or_b32 exec_lo, exec_lo, s16
	v_lshlrev_b32_e32 v17, 24, v129
	s_delay_alu instid0(VALU_DEP_2) | instskip(SKIP_1) | instid1(VALU_DEP_3)
	v_lshlrev_b32_e32 v6, 20, v6
	v_lshl_add_u32 v16, v16, 23, 0x3c000000
	v_and_b32_e32 v17, 0x80000000, v17
	s_delay_alu instid0(VALU_DEP_1) | instskip(NEXT) | instid1(VALU_DEP_1)
	v_or3_b32 v6, v6, v17, v16
	v_dual_mov_b32 v17, v7 :: v_dual_mov_b32 v16, v6
.LBB231_715:                            ;   in Loop: Header=BB231_488 Depth=1
	s_or_b32 exec_lo, exec_lo, s15
.LBB231_716:                            ;   in Loop: Header=BB231_488 Depth=1
	s_delay_alu instid0(SALU_CYCLE_1)
	s_or_b32 exec_lo, exec_lo, s13
.LBB231_717:                            ;   in Loop: Header=BB231_488 Depth=1
	s_delay_alu instid0(SALU_CYCLE_1) | instskip(NEXT) | instid1(SALU_CYCLE_1)
	s_or_b32 exec_lo, exec_lo, s10
	s_mov_b32 s13, exec_lo
	v_cmpx_lt_u32_e32 0xffffff, v128
	s_cbranch_execz .LBB231_725
; %bb.718:                              ;   in Loop: Header=BB231_488 Depth=1
	v_lshrrev_b32_e32 v129, 24, v128
	v_dual_mov_b32 v19, s9 :: v_dual_mov_b32 v18, s8
	s_mov_b32 s15, exec_lo
	s_delay_alu instid0(VALU_DEP_2)
	v_cmpx_ne_u32_e32 0x80, v129
	s_cbranch_execz .LBB231_724
; %bb.719:                              ;   in Loop: Header=BB231_488 Depth=1
	s_mov_b32 s10, s8
	v_bfe_u32 v128, v128, 24, 7
	v_dual_mov_b32 v19, s11 :: v_dual_mov_b32 v18, s10
	s_mov_b32 s10, exec_lo
	s_delay_alu instid0(VALU_DEP_2)
	v_cmpx_ne_u32_e32 0x7f, v128
	s_cbranch_execz .LBB231_723
; %bb.720:                              ;   in Loop: Header=BB231_488 Depth=1
	v_and_b32_e32 v6, 7, v129
	v_lshrrev_b32_e32 v18, 3, v128
	s_mov_b32 s16, exec_lo
	v_cmpx_gt_u32_e32 8, v128
; %bb.721:                              ;   in Loop: Header=BB231_488 Depth=1
	s_delay_alu instid0(VALU_DEP_3) | instskip(NEXT) | instid1(VALU_DEP_1)
	v_clz_i32_u32_e32 v18, v6
	v_min_u32_e32 v18, 32, v18
	s_delay_alu instid0(VALU_DEP_1) | instskip(SKIP_1) | instid1(VALU_DEP_2)
	v_subrev_nc_u32_e32 v19, 28, v18
	v_sub_nc_u32_e32 v18, 29, v18
	v_lshlrev_b64 v[26:27], v19, v[6:7]
	s_delay_alu instid0(VALU_DEP_1)
	v_and_b32_e32 v6, 7, v26
; %bb.722:                              ;   in Loop: Header=BB231_488 Depth=1
	s_or_b32 exec_lo, exec_lo, s16
	v_lshlrev_b32_e32 v19, 24, v129
	s_delay_alu instid0(VALU_DEP_2) | instskip(SKIP_1) | instid1(VALU_DEP_3)
	v_lshlrev_b32_e32 v6, 20, v6
	v_lshl_add_u32 v18, v18, 23, 0x3c000000
	v_and_b32_e32 v19, 0x80000000, v19
	s_delay_alu instid0(VALU_DEP_1)
	v_or3_b32 v19, v6, v19, v18
	v_mov_b32_e32 v18, v7
.LBB231_723:                            ;   in Loop: Header=BB231_488 Depth=1
	s_or_b32 exec_lo, exec_lo, s10
.LBB231_724:                            ;   in Loop: Header=BB231_488 Depth=1
	s_delay_alu instid0(SALU_CYCLE_1)
	s_or_b32 exec_lo, exec_lo, s15
.LBB231_725:                            ;   in Loop: Header=BB231_488 Depth=1
	s_delay_alu instid0(SALU_CYCLE_1) | instskip(SKIP_4) | instid1(VALU_DEP_4)
	s_or_b32 exec_lo, exec_lo, s13
	v_or_b32_e32 v5, v15, v5
	v_or_b32_e32 v4, v14, v4
	;; [unrolled: 1-line block ×4, first 2 shown]
	v_mul_f32_e32 v131, v66, v5
	s_delay_alu instid0(VALU_DEP_4) | instskip(NEXT) | instid1(VALU_DEP_4)
	v_mul_f32_e32 v130, v66, v4
	v_mul_f32_e32 v128, v66, v6
	s_delay_alu instid0(VALU_DEP_4)
	v_mul_f32_e32 v129, v66, v14
	s_and_saveexec_b32 s10, vcc_lo
; %bb.726:                              ;   in Loop: Header=BB231_488 Depth=1
	v_cmp_lt_i32_e64 s0, v71, v47
	s_delay_alu instid0(VALU_DEP_1) | instskip(SKIP_1) | instid1(VALU_DEP_1)
	v_cndmask_b32_e64 v130, 0, v130, s0
	v_cmp_lt_i32_e64 s0, v82, v47
	v_cndmask_b32_e64 v131, 0, v131, s0
	v_cmp_lt_i32_e64 s0, v81, v47
	s_delay_alu instid0(VALU_DEP_1) | instskip(SKIP_1) | instid1(VALU_DEP_1)
	v_cndmask_b32_e64 v129, 0, v129, s0
	v_cmp_lt_i32_e64 s0, v80, v47
	v_cndmask_b32_e64 v128, 0, v128, s0
; %bb.727:                              ;   in Loop: Header=BB231_488 Depth=1
	s_or_b32 exec_lo, exec_lo, s10
	flat_load_b32 v132, v[12:13] offset:896
	v_mov_b32_e32 v14, 0
	v_mov_b32_e32 v15, 0
	s_mov_b32 s10, exec_lo
	s_waitcnt vmcnt(0) lgkmcnt(0)
	v_and_b32_e32 v6, 0xff, v132
	s_delay_alu instid0(VALU_DEP_2) | instskip(NEXT) | instid1(VALU_DEP_2)
	v_dual_mov_b32 v4, v14 :: v_dual_mov_b32 v5, v15
	v_cmpx_ne_u16_e32 0, v6
	s_cbranch_execz .LBB231_735
; %bb.728:                              ;   in Loop: Header=BB231_488 Depth=1
	v_bfrev_b32_e32 v4, 1
	v_mov_b32_e32 v5, 0
	s_mov_b32 s13, exec_lo
	v_cmpx_ne_u16_e32 0x80, v6
	s_cbranch_execz .LBB231_734
; %bb.729:                              ;   in Loop: Header=BB231_488 Depth=1
	v_mov_b32_e32 v4, 0x7f800001
	v_dual_mov_b32 v5, 0 :: v_dual_and_b32 v16, 0x7f, v132
	s_mov_b32 s15, exec_lo
	s_delay_alu instid0(VALU_DEP_1)
	v_cmpx_ne_u32_e32 0x7f, v16
	s_cbranch_execz .LBB231_733
; %bb.730:                              ;   in Loop: Header=BB231_488 Depth=1
	v_and_b32_e32 v6, 7, v132
	v_lshrrev_b32_e32 v4, 3, v16
	s_mov_b32 s16, exec_lo
	v_cmpx_gt_u32_e32 8, v16
; %bb.731:                              ;   in Loop: Header=BB231_488 Depth=1
	s_delay_alu instid0(VALU_DEP_3) | instskip(NEXT) | instid1(VALU_DEP_1)
	v_clz_i32_u32_e32 v4, v6
	v_min_u32_e32 v4, 32, v4
	s_delay_alu instid0(VALU_DEP_1) | instskip(SKIP_1) | instid1(VALU_DEP_2)
	v_subrev_nc_u32_e32 v5, 28, v4
	v_sub_nc_u32_e32 v4, 29, v4
	v_lshlrev_b64 v[5:6], v5, v[6:7]
	s_delay_alu instid0(VALU_DEP_1)
	v_and_b32_e32 v6, 7, v5
; %bb.732:                              ;   in Loop: Header=BB231_488 Depth=1
	s_or_b32 exec_lo, exec_lo, s16
	v_lshlrev_b32_e32 v5, 24, v132
	s_delay_alu instid0(VALU_DEP_2) | instskip(SKIP_1) | instid1(VALU_DEP_3)
	v_lshlrev_b32_e32 v6, 20, v6
	v_lshl_add_u32 v4, v4, 23, 0x3c000000
	v_and_b32_e32 v5, 0x80000000, v5
	s_delay_alu instid0(VALU_DEP_1) | instskip(NEXT) | instid1(VALU_DEP_1)
	v_or3_b32 v6, v6, v5, v4
	v_dual_mov_b32 v4, v6 :: v_dual_mov_b32 v5, v7
.LBB231_733:                            ;   in Loop: Header=BB231_488 Depth=1
	s_or_b32 exec_lo, exec_lo, s15
.LBB231_734:                            ;   in Loop: Header=BB231_488 Depth=1
	s_delay_alu instid0(SALU_CYCLE_1)
	s_or_b32 exec_lo, exec_lo, s13
.LBB231_735:                            ;   in Loop: Header=BB231_488 Depth=1
	s_delay_alu instid0(SALU_CYCLE_1) | instskip(SKIP_2) | instid1(VALU_DEP_1)
	s_or_b32 exec_lo, exec_lo, s10
	v_lshrrev_b16 v6, 8, v132
	s_mov_b32 s13, exec_lo
	v_cmpx_ne_u16_e32 0, v6
	s_cbranch_execz .LBB231_743
; %bb.736:                              ;   in Loop: Header=BB231_488 Depth=1
	v_dual_mov_b32 v15, s9 :: v_dual_mov_b32 v14, s8
	s_mov_b32 s15, exec_lo
	v_cmpx_ne_u16_e32 0x80, v6
	s_cbranch_execz .LBB231_742
; %bb.737:                              ;   in Loop: Header=BB231_488 Depth=1
	s_mov_b32 s10, s8
	v_dual_mov_b32 v15, s11 :: v_dual_and_b32 v6, 0xffff, v6
	v_mov_b32_e32 v14, s10
	s_mov_b32 s10, exec_lo
	s_delay_alu instid0(VALU_DEP_2) | instskip(NEXT) | instid1(VALU_DEP_1)
	v_and_b32_e32 v16, 0x7f, v6
	v_cmpx_ne_u32_e32 0x7f, v16
	s_cbranch_execz .LBB231_741
; %bb.738:                              ;   in Loop: Header=BB231_488 Depth=1
	v_and_b32_e32 v6, 7, v6
	v_lshrrev_b32_e32 v14, 3, v16
	s_mov_b32 s16, exec_lo
	v_cmpx_gt_u32_e32 8, v16
; %bb.739:                              ;   in Loop: Header=BB231_488 Depth=1
	s_delay_alu instid0(VALU_DEP_3) | instskip(NEXT) | instid1(VALU_DEP_1)
	v_clz_i32_u32_e32 v14, v6
	v_min_u32_e32 v14, 32, v14
	s_delay_alu instid0(VALU_DEP_1) | instskip(SKIP_1) | instid1(VALU_DEP_2)
	v_subrev_nc_u32_e32 v15, 28, v14
	v_sub_nc_u32_e32 v14, 29, v14
	v_lshlrev_b64 v[15:16], v15, v[6:7]
	s_delay_alu instid0(VALU_DEP_1)
	v_and_b32_e32 v6, 7, v15
; %bb.740:                              ;   in Loop: Header=BB231_488 Depth=1
	s_or_b32 exec_lo, exec_lo, s16
	v_lshlrev_b32_e32 v15, 16, v132
	s_delay_alu instid0(VALU_DEP_2) | instskip(SKIP_1) | instid1(VALU_DEP_3)
	v_lshlrev_b32_e32 v6, 20, v6
	v_lshl_add_u32 v14, v14, 23, 0x3c000000
	v_and_b32_e32 v15, 0x80000000, v15
	s_delay_alu instid0(VALU_DEP_1)
	v_or3_b32 v15, v6, v15, v14
	v_mov_b32_e32 v14, v7
.LBB231_741:                            ;   in Loop: Header=BB231_488 Depth=1
	s_or_b32 exec_lo, exec_lo, s10
.LBB231_742:                            ;   in Loop: Header=BB231_488 Depth=1
	s_delay_alu instid0(SALU_CYCLE_1)
	s_or_b32 exec_lo, exec_lo, s15
.LBB231_743:                            ;   in Loop: Header=BB231_488 Depth=1
	s_delay_alu instid0(SALU_CYCLE_1) | instskip(SKIP_4) | instid1(VALU_DEP_2)
	s_or_b32 exec_lo, exec_lo, s13
	v_mov_b32_e32 v18, 0
	v_lshrrev_b32_e32 v133, 16, v132
	v_mov_b32_e32 v19, 0
	s_mov_b32 s10, exec_lo
	v_and_b32_e32 v6, 0xff, v133
	s_delay_alu instid0(VALU_DEP_2) | instskip(NEXT) | instid1(VALU_DEP_2)
	v_dual_mov_b32 v16, v18 :: v_dual_mov_b32 v17, v19
	v_cmpx_ne_u16_e32 0, v6
	s_cbranch_execz .LBB231_751
; %bb.744:                              ;   in Loop: Header=BB231_488 Depth=1
	v_bfrev_b32_e32 v16, 1
	v_mov_b32_e32 v17, 0
	s_mov_b32 s13, exec_lo
	v_cmpx_ne_u16_e32 0x80, v6
	s_cbranch_execz .LBB231_750
; %bb.745:                              ;   in Loop: Header=BB231_488 Depth=1
	v_mov_b32_e32 v16, 0x7f800001
	v_bfe_u32 v134, v132, 16, 7
	v_mov_b32_e32 v17, 0
	s_mov_b32 s15, exec_lo
	s_delay_alu instid0(VALU_DEP_2)
	v_cmpx_ne_u32_e32 0x7f, v134
	s_cbranch_execz .LBB231_749
; %bb.746:                              ;   in Loop: Header=BB231_488 Depth=1
	v_and_b32_e32 v6, 7, v133
	v_lshrrev_b32_e32 v16, 3, v134
	s_mov_b32 s16, exec_lo
	v_cmpx_gt_u32_e32 8, v134
; %bb.747:                              ;   in Loop: Header=BB231_488 Depth=1
	s_delay_alu instid0(VALU_DEP_3) | instskip(NEXT) | instid1(VALU_DEP_1)
	v_clz_i32_u32_e32 v16, v6
	v_min_u32_e32 v16, 32, v16
	s_delay_alu instid0(VALU_DEP_1) | instskip(SKIP_1) | instid1(VALU_DEP_2)
	v_subrev_nc_u32_e32 v17, 28, v16
	v_sub_nc_u32_e32 v16, 29, v16
	v_lshlrev_b64 v[26:27], v17, v[6:7]
	s_delay_alu instid0(VALU_DEP_1)
	v_and_b32_e32 v6, 7, v26
; %bb.748:                              ;   in Loop: Header=BB231_488 Depth=1
	s_or_b32 exec_lo, exec_lo, s16
	v_lshlrev_b32_e32 v17, 24, v133
	s_delay_alu instid0(VALU_DEP_2) | instskip(SKIP_1) | instid1(VALU_DEP_3)
	v_lshlrev_b32_e32 v6, 20, v6
	v_lshl_add_u32 v16, v16, 23, 0x3c000000
	v_and_b32_e32 v17, 0x80000000, v17
	s_delay_alu instid0(VALU_DEP_1) | instskip(NEXT) | instid1(VALU_DEP_1)
	v_or3_b32 v6, v6, v17, v16
	v_dual_mov_b32 v17, v7 :: v_dual_mov_b32 v16, v6
.LBB231_749:                            ;   in Loop: Header=BB231_488 Depth=1
	s_or_b32 exec_lo, exec_lo, s15
.LBB231_750:                            ;   in Loop: Header=BB231_488 Depth=1
	s_delay_alu instid0(SALU_CYCLE_1)
	s_or_b32 exec_lo, exec_lo, s13
.LBB231_751:                            ;   in Loop: Header=BB231_488 Depth=1
	s_delay_alu instid0(SALU_CYCLE_1) | instskip(NEXT) | instid1(SALU_CYCLE_1)
	s_or_b32 exec_lo, exec_lo, s10
	s_mov_b32 s13, exec_lo
	v_cmpx_lt_u32_e32 0xffffff, v132
	s_cbranch_execz .LBB231_759
; %bb.752:                              ;   in Loop: Header=BB231_488 Depth=1
	v_lshrrev_b32_e32 v133, 24, v132
	v_dual_mov_b32 v19, s9 :: v_dual_mov_b32 v18, s8
	s_mov_b32 s15, exec_lo
	s_delay_alu instid0(VALU_DEP_2)
	v_cmpx_ne_u32_e32 0x80, v133
	s_cbranch_execz .LBB231_758
; %bb.753:                              ;   in Loop: Header=BB231_488 Depth=1
	s_mov_b32 s10, s8
	v_bfe_u32 v132, v132, 24, 7
	v_dual_mov_b32 v19, s11 :: v_dual_mov_b32 v18, s10
	s_mov_b32 s10, exec_lo
	s_delay_alu instid0(VALU_DEP_2)
	v_cmpx_ne_u32_e32 0x7f, v132
	s_cbranch_execz .LBB231_757
; %bb.754:                              ;   in Loop: Header=BB231_488 Depth=1
	v_and_b32_e32 v6, 7, v133
	v_lshrrev_b32_e32 v18, 3, v132
	s_mov_b32 s16, exec_lo
	v_cmpx_gt_u32_e32 8, v132
; %bb.755:                              ;   in Loop: Header=BB231_488 Depth=1
	s_delay_alu instid0(VALU_DEP_3) | instskip(NEXT) | instid1(VALU_DEP_1)
	v_clz_i32_u32_e32 v18, v6
	v_min_u32_e32 v18, 32, v18
	s_delay_alu instid0(VALU_DEP_1) | instskip(SKIP_1) | instid1(VALU_DEP_2)
	v_subrev_nc_u32_e32 v19, 28, v18
	v_sub_nc_u32_e32 v18, 29, v18
	v_lshlrev_b64 v[26:27], v19, v[6:7]
	s_delay_alu instid0(VALU_DEP_1)
	v_and_b32_e32 v6, 7, v26
; %bb.756:                              ;   in Loop: Header=BB231_488 Depth=1
	s_or_b32 exec_lo, exec_lo, s16
	v_lshlrev_b32_e32 v19, 24, v133
	s_delay_alu instid0(VALU_DEP_2) | instskip(SKIP_1) | instid1(VALU_DEP_3)
	v_lshlrev_b32_e32 v6, 20, v6
	v_lshl_add_u32 v18, v18, 23, 0x3c000000
	v_and_b32_e32 v19, 0x80000000, v19
	s_delay_alu instid0(VALU_DEP_1)
	v_or3_b32 v19, v6, v19, v18
	v_mov_b32_e32 v18, v7
.LBB231_757:                            ;   in Loop: Header=BB231_488 Depth=1
	s_or_b32 exec_lo, exec_lo, s10
.LBB231_758:                            ;   in Loop: Header=BB231_488 Depth=1
	s_delay_alu instid0(SALU_CYCLE_1)
	s_or_b32 exec_lo, exec_lo, s15
.LBB231_759:                            ;   in Loop: Header=BB231_488 Depth=1
	s_delay_alu instid0(SALU_CYCLE_1) | instskip(SKIP_4) | instid1(VALU_DEP_4)
	s_or_b32 exec_lo, exec_lo, s13
	v_or_b32_e32 v5, v15, v5
	v_or_b32_e32 v4, v14, v4
	;; [unrolled: 1-line block ×4, first 2 shown]
	v_mul_f32_e32 v135, v66, v5
	s_delay_alu instid0(VALU_DEP_4) | instskip(NEXT) | instid1(VALU_DEP_4)
	v_mul_f32_e32 v134, v66, v4
	v_mul_f32_e32 v132, v66, v6
	s_delay_alu instid0(VALU_DEP_4)
	v_mul_f32_e32 v133, v66, v14
	s_and_saveexec_b32 s10, vcc_lo
; %bb.760:                              ;   in Loop: Header=BB231_488 Depth=1
	v_cmp_lt_i32_e64 s0, v71, v47
	s_delay_alu instid0(VALU_DEP_1) | instskip(SKIP_1) | instid1(VALU_DEP_1)
	v_cndmask_b32_e64 v134, 0, v134, s0
	v_cmp_lt_i32_e64 s0, v82, v47
	v_cndmask_b32_e64 v135, 0, v135, s0
	v_cmp_lt_i32_e64 s0, v81, v47
	s_delay_alu instid0(VALU_DEP_1) | instskip(SKIP_1) | instid1(VALU_DEP_1)
	v_cndmask_b32_e64 v133, 0, v133, s0
	v_cmp_lt_i32_e64 s0, v80, v47
	v_cndmask_b32_e64 v132, 0, v132, s0
; %bb.761:                              ;   in Loop: Header=BB231_488 Depth=1
	s_or_b32 exec_lo, exec_lo, s10
	flat_load_b32 v144, v[12:13] offset:1024
	v_mov_b32_e32 v14, 0
	v_mov_b32_e32 v15, 0
	s_mov_b32 s10, exec_lo
	s_waitcnt vmcnt(0) lgkmcnt(0)
	v_and_b32_e32 v6, 0xff, v144
	s_delay_alu instid0(VALU_DEP_2) | instskip(NEXT) | instid1(VALU_DEP_2)
	v_dual_mov_b32 v4, v14 :: v_dual_mov_b32 v5, v15
	v_cmpx_ne_u16_e32 0, v6
	s_cbranch_execz .LBB231_769
; %bb.762:                              ;   in Loop: Header=BB231_488 Depth=1
	v_bfrev_b32_e32 v4, 1
	v_mov_b32_e32 v5, 0
	s_mov_b32 s13, exec_lo
	v_cmpx_ne_u16_e32 0x80, v6
	s_cbranch_execz .LBB231_768
; %bb.763:                              ;   in Loop: Header=BB231_488 Depth=1
	v_mov_b32_e32 v4, 0x7f800001
	v_dual_mov_b32 v5, 0 :: v_dual_and_b32 v16, 0x7f, v144
	s_mov_b32 s15, exec_lo
	s_delay_alu instid0(VALU_DEP_1)
	v_cmpx_ne_u32_e32 0x7f, v16
	s_cbranch_execz .LBB231_767
; %bb.764:                              ;   in Loop: Header=BB231_488 Depth=1
	v_and_b32_e32 v6, 7, v144
	v_lshrrev_b32_e32 v4, 3, v16
	s_mov_b32 s16, exec_lo
	v_cmpx_gt_u32_e32 8, v16
; %bb.765:                              ;   in Loop: Header=BB231_488 Depth=1
	s_delay_alu instid0(VALU_DEP_3) | instskip(NEXT) | instid1(VALU_DEP_1)
	v_clz_i32_u32_e32 v4, v6
	v_min_u32_e32 v4, 32, v4
	s_delay_alu instid0(VALU_DEP_1) | instskip(SKIP_1) | instid1(VALU_DEP_2)
	v_subrev_nc_u32_e32 v5, 28, v4
	v_sub_nc_u32_e32 v4, 29, v4
	v_lshlrev_b64 v[5:6], v5, v[6:7]
	s_delay_alu instid0(VALU_DEP_1)
	v_and_b32_e32 v6, 7, v5
; %bb.766:                              ;   in Loop: Header=BB231_488 Depth=1
	s_or_b32 exec_lo, exec_lo, s16
	v_lshlrev_b32_e32 v5, 24, v144
	s_delay_alu instid0(VALU_DEP_2) | instskip(SKIP_1) | instid1(VALU_DEP_3)
	v_lshlrev_b32_e32 v6, 20, v6
	v_lshl_add_u32 v4, v4, 23, 0x3c000000
	v_and_b32_e32 v5, 0x80000000, v5
	s_delay_alu instid0(VALU_DEP_1) | instskip(NEXT) | instid1(VALU_DEP_1)
	v_or3_b32 v6, v6, v5, v4
	v_dual_mov_b32 v4, v6 :: v_dual_mov_b32 v5, v7
.LBB231_767:                            ;   in Loop: Header=BB231_488 Depth=1
	s_or_b32 exec_lo, exec_lo, s15
.LBB231_768:                            ;   in Loop: Header=BB231_488 Depth=1
	s_delay_alu instid0(SALU_CYCLE_1)
	s_or_b32 exec_lo, exec_lo, s13
.LBB231_769:                            ;   in Loop: Header=BB231_488 Depth=1
	s_delay_alu instid0(SALU_CYCLE_1) | instskip(SKIP_2) | instid1(VALU_DEP_1)
	s_or_b32 exec_lo, exec_lo, s10
	v_lshrrev_b16 v6, 8, v144
	s_mov_b32 s13, exec_lo
	v_cmpx_ne_u16_e32 0, v6
	s_cbranch_execz .LBB231_777
; %bb.770:                              ;   in Loop: Header=BB231_488 Depth=1
	v_dual_mov_b32 v15, s9 :: v_dual_mov_b32 v14, s8
	s_mov_b32 s15, exec_lo
	v_cmpx_ne_u16_e32 0x80, v6
	s_cbranch_execz .LBB231_776
; %bb.771:                              ;   in Loop: Header=BB231_488 Depth=1
	s_mov_b32 s10, s8
	v_dual_mov_b32 v15, s11 :: v_dual_and_b32 v6, 0xffff, v6
	v_mov_b32_e32 v14, s10
	s_mov_b32 s10, exec_lo
	s_delay_alu instid0(VALU_DEP_2) | instskip(NEXT) | instid1(VALU_DEP_1)
	v_and_b32_e32 v16, 0x7f, v6
	v_cmpx_ne_u32_e32 0x7f, v16
	s_cbranch_execz .LBB231_775
; %bb.772:                              ;   in Loop: Header=BB231_488 Depth=1
	v_and_b32_e32 v6, 7, v6
	v_lshrrev_b32_e32 v14, 3, v16
	s_mov_b32 s16, exec_lo
	v_cmpx_gt_u32_e32 8, v16
; %bb.773:                              ;   in Loop: Header=BB231_488 Depth=1
	s_delay_alu instid0(VALU_DEP_3) | instskip(NEXT) | instid1(VALU_DEP_1)
	v_clz_i32_u32_e32 v14, v6
	v_min_u32_e32 v14, 32, v14
	s_delay_alu instid0(VALU_DEP_1) | instskip(SKIP_1) | instid1(VALU_DEP_2)
	v_subrev_nc_u32_e32 v15, 28, v14
	v_sub_nc_u32_e32 v14, 29, v14
	v_lshlrev_b64 v[15:16], v15, v[6:7]
	s_delay_alu instid0(VALU_DEP_1)
	v_and_b32_e32 v6, 7, v15
; %bb.774:                              ;   in Loop: Header=BB231_488 Depth=1
	s_or_b32 exec_lo, exec_lo, s16
	v_lshlrev_b32_e32 v15, 16, v144
	s_delay_alu instid0(VALU_DEP_2) | instskip(SKIP_1) | instid1(VALU_DEP_3)
	v_lshlrev_b32_e32 v6, 20, v6
	v_lshl_add_u32 v14, v14, 23, 0x3c000000
	v_and_b32_e32 v15, 0x80000000, v15
	s_delay_alu instid0(VALU_DEP_1)
	v_or3_b32 v15, v6, v15, v14
	v_mov_b32_e32 v14, v7
.LBB231_775:                            ;   in Loop: Header=BB231_488 Depth=1
	s_or_b32 exec_lo, exec_lo, s10
.LBB231_776:                            ;   in Loop: Header=BB231_488 Depth=1
	s_delay_alu instid0(SALU_CYCLE_1)
	s_or_b32 exec_lo, exec_lo, s15
.LBB231_777:                            ;   in Loop: Header=BB231_488 Depth=1
	s_delay_alu instid0(SALU_CYCLE_1) | instskip(SKIP_4) | instid1(VALU_DEP_2)
	s_or_b32 exec_lo, exec_lo, s13
	v_mov_b32_e32 v18, 0
	v_lshrrev_b32_e32 v145, 16, v144
	v_mov_b32_e32 v19, 0
	s_mov_b32 s10, exec_lo
	v_and_b32_e32 v6, 0xff, v145
	s_delay_alu instid0(VALU_DEP_2) | instskip(NEXT) | instid1(VALU_DEP_2)
	v_dual_mov_b32 v16, v18 :: v_dual_mov_b32 v17, v19
	v_cmpx_ne_u16_e32 0, v6
	s_cbranch_execz .LBB231_785
; %bb.778:                              ;   in Loop: Header=BB231_488 Depth=1
	v_bfrev_b32_e32 v16, 1
	v_mov_b32_e32 v17, 0
	s_mov_b32 s13, exec_lo
	v_cmpx_ne_u16_e32 0x80, v6
	s_cbranch_execz .LBB231_784
; %bb.779:                              ;   in Loop: Header=BB231_488 Depth=1
	v_mov_b32_e32 v16, 0x7f800001
	v_bfe_u32 v146, v144, 16, 7
	v_mov_b32_e32 v17, 0
	s_mov_b32 s15, exec_lo
	s_delay_alu instid0(VALU_DEP_2)
	v_cmpx_ne_u32_e32 0x7f, v146
	s_cbranch_execz .LBB231_783
; %bb.780:                              ;   in Loop: Header=BB231_488 Depth=1
	v_and_b32_e32 v6, 7, v145
	v_lshrrev_b32_e32 v16, 3, v146
	s_mov_b32 s16, exec_lo
	v_cmpx_gt_u32_e32 8, v146
; %bb.781:                              ;   in Loop: Header=BB231_488 Depth=1
	s_delay_alu instid0(VALU_DEP_3) | instskip(NEXT) | instid1(VALU_DEP_1)
	v_clz_i32_u32_e32 v16, v6
	v_min_u32_e32 v16, 32, v16
	s_delay_alu instid0(VALU_DEP_1) | instskip(SKIP_1) | instid1(VALU_DEP_2)
	v_subrev_nc_u32_e32 v17, 28, v16
	v_sub_nc_u32_e32 v16, 29, v16
	v_lshlrev_b64 v[26:27], v17, v[6:7]
	s_delay_alu instid0(VALU_DEP_1)
	v_and_b32_e32 v6, 7, v26
; %bb.782:                              ;   in Loop: Header=BB231_488 Depth=1
	s_or_b32 exec_lo, exec_lo, s16
	v_lshlrev_b32_e32 v17, 24, v145
	s_delay_alu instid0(VALU_DEP_2) | instskip(SKIP_1) | instid1(VALU_DEP_3)
	v_lshlrev_b32_e32 v6, 20, v6
	v_lshl_add_u32 v16, v16, 23, 0x3c000000
	v_and_b32_e32 v17, 0x80000000, v17
	s_delay_alu instid0(VALU_DEP_1) | instskip(NEXT) | instid1(VALU_DEP_1)
	v_or3_b32 v6, v6, v17, v16
	v_dual_mov_b32 v17, v7 :: v_dual_mov_b32 v16, v6
.LBB231_783:                            ;   in Loop: Header=BB231_488 Depth=1
	s_or_b32 exec_lo, exec_lo, s15
.LBB231_784:                            ;   in Loop: Header=BB231_488 Depth=1
	s_delay_alu instid0(SALU_CYCLE_1)
	s_or_b32 exec_lo, exec_lo, s13
.LBB231_785:                            ;   in Loop: Header=BB231_488 Depth=1
	s_delay_alu instid0(SALU_CYCLE_1) | instskip(NEXT) | instid1(SALU_CYCLE_1)
	s_or_b32 exec_lo, exec_lo, s10
	s_mov_b32 s13, exec_lo
	v_cmpx_lt_u32_e32 0xffffff, v144
	s_cbranch_execz .LBB231_793
; %bb.786:                              ;   in Loop: Header=BB231_488 Depth=1
	v_lshrrev_b32_e32 v145, 24, v144
	v_dual_mov_b32 v19, s9 :: v_dual_mov_b32 v18, s8
	s_mov_b32 s15, exec_lo
	s_delay_alu instid0(VALU_DEP_2)
	v_cmpx_ne_u32_e32 0x80, v145
	s_cbranch_execz .LBB231_792
; %bb.787:                              ;   in Loop: Header=BB231_488 Depth=1
	s_mov_b32 s10, s8
	v_bfe_u32 v144, v144, 24, 7
	v_dual_mov_b32 v19, s11 :: v_dual_mov_b32 v18, s10
	s_mov_b32 s10, exec_lo
	s_delay_alu instid0(VALU_DEP_2)
	v_cmpx_ne_u32_e32 0x7f, v144
	s_cbranch_execz .LBB231_791
; %bb.788:                              ;   in Loop: Header=BB231_488 Depth=1
	v_and_b32_e32 v6, 7, v145
	v_lshrrev_b32_e32 v18, 3, v144
	s_mov_b32 s16, exec_lo
	v_cmpx_gt_u32_e32 8, v144
; %bb.789:                              ;   in Loop: Header=BB231_488 Depth=1
	s_delay_alu instid0(VALU_DEP_3) | instskip(NEXT) | instid1(VALU_DEP_1)
	v_clz_i32_u32_e32 v18, v6
	v_min_u32_e32 v18, 32, v18
	s_delay_alu instid0(VALU_DEP_1) | instskip(SKIP_1) | instid1(VALU_DEP_2)
	v_subrev_nc_u32_e32 v19, 28, v18
	v_sub_nc_u32_e32 v18, 29, v18
	v_lshlrev_b64 v[26:27], v19, v[6:7]
	s_delay_alu instid0(VALU_DEP_1)
	v_and_b32_e32 v6, 7, v26
; %bb.790:                              ;   in Loop: Header=BB231_488 Depth=1
	s_or_b32 exec_lo, exec_lo, s16
	v_lshlrev_b32_e32 v19, 24, v145
	s_delay_alu instid0(VALU_DEP_2) | instskip(SKIP_1) | instid1(VALU_DEP_3)
	v_lshlrev_b32_e32 v6, 20, v6
	v_lshl_add_u32 v18, v18, 23, 0x3c000000
	v_and_b32_e32 v19, 0x80000000, v19
	s_delay_alu instid0(VALU_DEP_1)
	v_or3_b32 v19, v6, v19, v18
	v_mov_b32_e32 v18, v7
.LBB231_791:                            ;   in Loop: Header=BB231_488 Depth=1
	s_or_b32 exec_lo, exec_lo, s10
.LBB231_792:                            ;   in Loop: Header=BB231_488 Depth=1
	s_delay_alu instid0(SALU_CYCLE_1)
	s_or_b32 exec_lo, exec_lo, s15
.LBB231_793:                            ;   in Loop: Header=BB231_488 Depth=1
	s_delay_alu instid0(SALU_CYCLE_1) | instskip(SKIP_4) | instid1(VALU_DEP_4)
	s_or_b32 exec_lo, exec_lo, s13
	v_or_b32_e32 v5, v15, v5
	v_or_b32_e32 v4, v14, v4
	;; [unrolled: 1-line block ×4, first 2 shown]
	v_mul_f32_e32 v147, v66, v5
	s_delay_alu instid0(VALU_DEP_4) | instskip(NEXT) | instid1(VALU_DEP_4)
	v_mul_f32_e32 v146, v66, v4
	v_mul_f32_e32 v144, v66, v6
	s_delay_alu instid0(VALU_DEP_4)
	v_mul_f32_e32 v145, v66, v14
	s_and_saveexec_b32 s10, vcc_lo
; %bb.794:                              ;   in Loop: Header=BB231_488 Depth=1
	v_cmp_lt_i32_e64 s0, v71, v47
	s_delay_alu instid0(VALU_DEP_1) | instskip(SKIP_1) | instid1(VALU_DEP_1)
	v_cndmask_b32_e64 v146, 0, v146, s0
	v_cmp_lt_i32_e64 s0, v82, v47
	v_cndmask_b32_e64 v147, 0, v147, s0
	v_cmp_lt_i32_e64 s0, v81, v47
	s_delay_alu instid0(VALU_DEP_1) | instskip(SKIP_1) | instid1(VALU_DEP_1)
	v_cndmask_b32_e64 v145, 0, v145, s0
	v_cmp_lt_i32_e64 s0, v80, v47
	v_cndmask_b32_e64 v144, 0, v144, s0
; %bb.795:                              ;   in Loop: Header=BB231_488 Depth=1
	s_or_b32 exec_lo, exec_lo, s10
	flat_load_b32 v148, v[12:13] offset:1152
	v_mov_b32_e32 v14, 0
	v_mov_b32_e32 v15, 0
	s_mov_b32 s10, exec_lo
	s_waitcnt vmcnt(0) lgkmcnt(0)
	v_and_b32_e32 v6, 0xff, v148
	s_delay_alu instid0(VALU_DEP_2) | instskip(NEXT) | instid1(VALU_DEP_2)
	v_dual_mov_b32 v4, v14 :: v_dual_mov_b32 v5, v15
	v_cmpx_ne_u16_e32 0, v6
	s_cbranch_execz .LBB231_803
; %bb.796:                              ;   in Loop: Header=BB231_488 Depth=1
	v_bfrev_b32_e32 v4, 1
	v_mov_b32_e32 v5, 0
	s_mov_b32 s13, exec_lo
	v_cmpx_ne_u16_e32 0x80, v6
	s_cbranch_execz .LBB231_802
; %bb.797:                              ;   in Loop: Header=BB231_488 Depth=1
	v_mov_b32_e32 v4, 0x7f800001
	v_dual_mov_b32 v5, 0 :: v_dual_and_b32 v16, 0x7f, v148
	s_mov_b32 s15, exec_lo
	s_delay_alu instid0(VALU_DEP_1)
	v_cmpx_ne_u32_e32 0x7f, v16
	s_cbranch_execz .LBB231_801
; %bb.798:                              ;   in Loop: Header=BB231_488 Depth=1
	v_and_b32_e32 v6, 7, v148
	v_lshrrev_b32_e32 v4, 3, v16
	s_mov_b32 s16, exec_lo
	v_cmpx_gt_u32_e32 8, v16
; %bb.799:                              ;   in Loop: Header=BB231_488 Depth=1
	s_delay_alu instid0(VALU_DEP_3) | instskip(NEXT) | instid1(VALU_DEP_1)
	v_clz_i32_u32_e32 v4, v6
	v_min_u32_e32 v4, 32, v4
	s_delay_alu instid0(VALU_DEP_1) | instskip(SKIP_1) | instid1(VALU_DEP_2)
	v_subrev_nc_u32_e32 v5, 28, v4
	v_sub_nc_u32_e32 v4, 29, v4
	v_lshlrev_b64 v[5:6], v5, v[6:7]
	s_delay_alu instid0(VALU_DEP_1)
	v_and_b32_e32 v6, 7, v5
; %bb.800:                              ;   in Loop: Header=BB231_488 Depth=1
	s_or_b32 exec_lo, exec_lo, s16
	v_lshlrev_b32_e32 v5, 24, v148
	s_delay_alu instid0(VALU_DEP_2) | instskip(SKIP_1) | instid1(VALU_DEP_3)
	v_lshlrev_b32_e32 v6, 20, v6
	v_lshl_add_u32 v4, v4, 23, 0x3c000000
	v_and_b32_e32 v5, 0x80000000, v5
	s_delay_alu instid0(VALU_DEP_1) | instskip(NEXT) | instid1(VALU_DEP_1)
	v_or3_b32 v6, v6, v5, v4
	v_dual_mov_b32 v4, v6 :: v_dual_mov_b32 v5, v7
.LBB231_801:                            ;   in Loop: Header=BB231_488 Depth=1
	s_or_b32 exec_lo, exec_lo, s15
.LBB231_802:                            ;   in Loop: Header=BB231_488 Depth=1
	s_delay_alu instid0(SALU_CYCLE_1)
	s_or_b32 exec_lo, exec_lo, s13
.LBB231_803:                            ;   in Loop: Header=BB231_488 Depth=1
	s_delay_alu instid0(SALU_CYCLE_1) | instskip(SKIP_2) | instid1(VALU_DEP_1)
	s_or_b32 exec_lo, exec_lo, s10
	v_lshrrev_b16 v6, 8, v148
	s_mov_b32 s13, exec_lo
	v_cmpx_ne_u16_e32 0, v6
	s_cbranch_execz .LBB231_811
; %bb.804:                              ;   in Loop: Header=BB231_488 Depth=1
	v_dual_mov_b32 v15, s9 :: v_dual_mov_b32 v14, s8
	s_mov_b32 s15, exec_lo
	v_cmpx_ne_u16_e32 0x80, v6
	s_cbranch_execz .LBB231_810
; %bb.805:                              ;   in Loop: Header=BB231_488 Depth=1
	s_mov_b32 s10, s8
	v_dual_mov_b32 v15, s11 :: v_dual_and_b32 v6, 0xffff, v6
	v_mov_b32_e32 v14, s10
	s_mov_b32 s10, exec_lo
	s_delay_alu instid0(VALU_DEP_2) | instskip(NEXT) | instid1(VALU_DEP_1)
	v_and_b32_e32 v16, 0x7f, v6
	v_cmpx_ne_u32_e32 0x7f, v16
	s_cbranch_execz .LBB231_809
; %bb.806:                              ;   in Loop: Header=BB231_488 Depth=1
	v_and_b32_e32 v6, 7, v6
	v_lshrrev_b32_e32 v14, 3, v16
	s_mov_b32 s16, exec_lo
	v_cmpx_gt_u32_e32 8, v16
; %bb.807:                              ;   in Loop: Header=BB231_488 Depth=1
	s_delay_alu instid0(VALU_DEP_3) | instskip(NEXT) | instid1(VALU_DEP_1)
	v_clz_i32_u32_e32 v14, v6
	v_min_u32_e32 v14, 32, v14
	s_delay_alu instid0(VALU_DEP_1) | instskip(SKIP_1) | instid1(VALU_DEP_2)
	v_subrev_nc_u32_e32 v15, 28, v14
	v_sub_nc_u32_e32 v14, 29, v14
	v_lshlrev_b64 v[15:16], v15, v[6:7]
	s_delay_alu instid0(VALU_DEP_1)
	v_and_b32_e32 v6, 7, v15
; %bb.808:                              ;   in Loop: Header=BB231_488 Depth=1
	s_or_b32 exec_lo, exec_lo, s16
	v_lshlrev_b32_e32 v15, 16, v148
	s_delay_alu instid0(VALU_DEP_2) | instskip(SKIP_1) | instid1(VALU_DEP_3)
	v_lshlrev_b32_e32 v6, 20, v6
	v_lshl_add_u32 v14, v14, 23, 0x3c000000
	v_and_b32_e32 v15, 0x80000000, v15
	s_delay_alu instid0(VALU_DEP_1)
	v_or3_b32 v15, v6, v15, v14
	v_mov_b32_e32 v14, v7
.LBB231_809:                            ;   in Loop: Header=BB231_488 Depth=1
	s_or_b32 exec_lo, exec_lo, s10
.LBB231_810:                            ;   in Loop: Header=BB231_488 Depth=1
	s_delay_alu instid0(SALU_CYCLE_1)
	s_or_b32 exec_lo, exec_lo, s15
.LBB231_811:                            ;   in Loop: Header=BB231_488 Depth=1
	s_delay_alu instid0(SALU_CYCLE_1) | instskip(SKIP_4) | instid1(VALU_DEP_2)
	s_or_b32 exec_lo, exec_lo, s13
	v_mov_b32_e32 v18, 0
	v_lshrrev_b32_e32 v149, 16, v148
	v_mov_b32_e32 v19, 0
	s_mov_b32 s10, exec_lo
	v_and_b32_e32 v6, 0xff, v149
	s_delay_alu instid0(VALU_DEP_2) | instskip(NEXT) | instid1(VALU_DEP_2)
	v_dual_mov_b32 v16, v18 :: v_dual_mov_b32 v17, v19
	v_cmpx_ne_u16_e32 0, v6
	s_cbranch_execz .LBB231_819
; %bb.812:                              ;   in Loop: Header=BB231_488 Depth=1
	v_bfrev_b32_e32 v16, 1
	v_mov_b32_e32 v17, 0
	s_mov_b32 s13, exec_lo
	v_cmpx_ne_u16_e32 0x80, v6
	s_cbranch_execz .LBB231_818
; %bb.813:                              ;   in Loop: Header=BB231_488 Depth=1
	v_mov_b32_e32 v16, 0x7f800001
	v_bfe_u32 v150, v148, 16, 7
	v_mov_b32_e32 v17, 0
	s_mov_b32 s15, exec_lo
	s_delay_alu instid0(VALU_DEP_2)
	v_cmpx_ne_u32_e32 0x7f, v150
	s_cbranch_execz .LBB231_817
; %bb.814:                              ;   in Loop: Header=BB231_488 Depth=1
	v_and_b32_e32 v6, 7, v149
	v_lshrrev_b32_e32 v16, 3, v150
	s_mov_b32 s16, exec_lo
	v_cmpx_gt_u32_e32 8, v150
; %bb.815:                              ;   in Loop: Header=BB231_488 Depth=1
	s_delay_alu instid0(VALU_DEP_3) | instskip(NEXT) | instid1(VALU_DEP_1)
	v_clz_i32_u32_e32 v16, v6
	v_min_u32_e32 v16, 32, v16
	s_delay_alu instid0(VALU_DEP_1) | instskip(SKIP_1) | instid1(VALU_DEP_2)
	v_subrev_nc_u32_e32 v17, 28, v16
	v_sub_nc_u32_e32 v16, 29, v16
	v_lshlrev_b64 v[26:27], v17, v[6:7]
	s_delay_alu instid0(VALU_DEP_1)
	v_and_b32_e32 v6, 7, v26
; %bb.816:                              ;   in Loop: Header=BB231_488 Depth=1
	s_or_b32 exec_lo, exec_lo, s16
	v_lshlrev_b32_e32 v17, 24, v149
	s_delay_alu instid0(VALU_DEP_2) | instskip(SKIP_1) | instid1(VALU_DEP_3)
	v_lshlrev_b32_e32 v6, 20, v6
	v_lshl_add_u32 v16, v16, 23, 0x3c000000
	v_and_b32_e32 v17, 0x80000000, v17
	s_delay_alu instid0(VALU_DEP_1) | instskip(NEXT) | instid1(VALU_DEP_1)
	v_or3_b32 v6, v6, v17, v16
	v_dual_mov_b32 v17, v7 :: v_dual_mov_b32 v16, v6
.LBB231_817:                            ;   in Loop: Header=BB231_488 Depth=1
	s_or_b32 exec_lo, exec_lo, s15
.LBB231_818:                            ;   in Loop: Header=BB231_488 Depth=1
	s_delay_alu instid0(SALU_CYCLE_1)
	s_or_b32 exec_lo, exec_lo, s13
.LBB231_819:                            ;   in Loop: Header=BB231_488 Depth=1
	s_delay_alu instid0(SALU_CYCLE_1) | instskip(NEXT) | instid1(SALU_CYCLE_1)
	s_or_b32 exec_lo, exec_lo, s10
	s_mov_b32 s13, exec_lo
	v_cmpx_lt_u32_e32 0xffffff, v148
	s_cbranch_execz .LBB231_827
; %bb.820:                              ;   in Loop: Header=BB231_488 Depth=1
	v_lshrrev_b32_e32 v149, 24, v148
	v_dual_mov_b32 v19, s9 :: v_dual_mov_b32 v18, s8
	s_mov_b32 s15, exec_lo
	s_delay_alu instid0(VALU_DEP_2)
	v_cmpx_ne_u32_e32 0x80, v149
	s_cbranch_execz .LBB231_826
; %bb.821:                              ;   in Loop: Header=BB231_488 Depth=1
	s_mov_b32 s10, s8
	v_bfe_u32 v148, v148, 24, 7
	v_dual_mov_b32 v19, s11 :: v_dual_mov_b32 v18, s10
	s_mov_b32 s10, exec_lo
	s_delay_alu instid0(VALU_DEP_2)
	v_cmpx_ne_u32_e32 0x7f, v148
	s_cbranch_execz .LBB231_825
; %bb.822:                              ;   in Loop: Header=BB231_488 Depth=1
	v_and_b32_e32 v6, 7, v149
	v_lshrrev_b32_e32 v18, 3, v148
	s_mov_b32 s16, exec_lo
	v_cmpx_gt_u32_e32 8, v148
; %bb.823:                              ;   in Loop: Header=BB231_488 Depth=1
	s_delay_alu instid0(VALU_DEP_3) | instskip(NEXT) | instid1(VALU_DEP_1)
	v_clz_i32_u32_e32 v18, v6
	v_min_u32_e32 v18, 32, v18
	s_delay_alu instid0(VALU_DEP_1) | instskip(SKIP_1) | instid1(VALU_DEP_2)
	v_subrev_nc_u32_e32 v19, 28, v18
	v_sub_nc_u32_e32 v18, 29, v18
	v_lshlrev_b64 v[26:27], v19, v[6:7]
	s_delay_alu instid0(VALU_DEP_1)
	v_and_b32_e32 v6, 7, v26
; %bb.824:                              ;   in Loop: Header=BB231_488 Depth=1
	s_or_b32 exec_lo, exec_lo, s16
	v_lshlrev_b32_e32 v19, 24, v149
	s_delay_alu instid0(VALU_DEP_2) | instskip(SKIP_1) | instid1(VALU_DEP_3)
	v_lshlrev_b32_e32 v6, 20, v6
	v_lshl_add_u32 v18, v18, 23, 0x3c000000
	v_and_b32_e32 v19, 0x80000000, v19
	s_delay_alu instid0(VALU_DEP_1)
	v_or3_b32 v19, v6, v19, v18
	v_mov_b32_e32 v18, v7
.LBB231_825:                            ;   in Loop: Header=BB231_488 Depth=1
	s_or_b32 exec_lo, exec_lo, s10
.LBB231_826:                            ;   in Loop: Header=BB231_488 Depth=1
	s_delay_alu instid0(SALU_CYCLE_1)
	s_or_b32 exec_lo, exec_lo, s15
.LBB231_827:                            ;   in Loop: Header=BB231_488 Depth=1
	s_delay_alu instid0(SALU_CYCLE_1) | instskip(SKIP_4) | instid1(VALU_DEP_4)
	s_or_b32 exec_lo, exec_lo, s13
	v_or_b32_e32 v5, v15, v5
	v_or_b32_e32 v4, v14, v4
	;; [unrolled: 1-line block ×4, first 2 shown]
	v_mul_f32_e32 v151, v66, v5
	s_delay_alu instid0(VALU_DEP_4) | instskip(NEXT) | instid1(VALU_DEP_4)
	v_mul_f32_e32 v150, v66, v4
	v_mul_f32_e32 v148, v66, v6
	s_delay_alu instid0(VALU_DEP_4)
	v_mul_f32_e32 v149, v66, v14
	s_and_saveexec_b32 s10, vcc_lo
; %bb.828:                              ;   in Loop: Header=BB231_488 Depth=1
	v_cmp_lt_i32_e64 s0, v71, v47
	s_delay_alu instid0(VALU_DEP_1) | instskip(SKIP_1) | instid1(VALU_DEP_1)
	v_cndmask_b32_e64 v150, 0, v150, s0
	v_cmp_lt_i32_e64 s0, v82, v47
	v_cndmask_b32_e64 v151, 0, v151, s0
	v_cmp_lt_i32_e64 s0, v81, v47
	s_delay_alu instid0(VALU_DEP_1) | instskip(SKIP_1) | instid1(VALU_DEP_1)
	v_cndmask_b32_e64 v149, 0, v149, s0
	v_cmp_lt_i32_e64 s0, v80, v47
	v_cndmask_b32_e64 v148, 0, v148, s0
; %bb.829:                              ;   in Loop: Header=BB231_488 Depth=1
	s_or_b32 exec_lo, exec_lo, s10
	flat_load_b32 v160, v[12:13] offset:1280
	v_mov_b32_e32 v14, 0
	v_mov_b32_e32 v15, 0
	s_mov_b32 s10, exec_lo
	s_waitcnt vmcnt(0) lgkmcnt(0)
	v_and_b32_e32 v6, 0xff, v160
	s_delay_alu instid0(VALU_DEP_2) | instskip(NEXT) | instid1(VALU_DEP_2)
	v_dual_mov_b32 v4, v14 :: v_dual_mov_b32 v5, v15
	v_cmpx_ne_u16_e32 0, v6
	s_cbranch_execz .LBB231_837
; %bb.830:                              ;   in Loop: Header=BB231_488 Depth=1
	v_bfrev_b32_e32 v4, 1
	v_mov_b32_e32 v5, 0
	s_mov_b32 s13, exec_lo
	v_cmpx_ne_u16_e32 0x80, v6
	s_cbranch_execz .LBB231_836
; %bb.831:                              ;   in Loop: Header=BB231_488 Depth=1
	v_mov_b32_e32 v4, 0x7f800001
	v_dual_mov_b32 v5, 0 :: v_dual_and_b32 v16, 0x7f, v160
	s_mov_b32 s15, exec_lo
	s_delay_alu instid0(VALU_DEP_1)
	v_cmpx_ne_u32_e32 0x7f, v16
	s_cbranch_execz .LBB231_835
; %bb.832:                              ;   in Loop: Header=BB231_488 Depth=1
	v_and_b32_e32 v6, 7, v160
	v_lshrrev_b32_e32 v4, 3, v16
	s_mov_b32 s16, exec_lo
	v_cmpx_gt_u32_e32 8, v16
; %bb.833:                              ;   in Loop: Header=BB231_488 Depth=1
	s_delay_alu instid0(VALU_DEP_3) | instskip(NEXT) | instid1(VALU_DEP_1)
	v_clz_i32_u32_e32 v4, v6
	v_min_u32_e32 v4, 32, v4
	s_delay_alu instid0(VALU_DEP_1) | instskip(SKIP_1) | instid1(VALU_DEP_2)
	v_subrev_nc_u32_e32 v5, 28, v4
	v_sub_nc_u32_e32 v4, 29, v4
	v_lshlrev_b64 v[5:6], v5, v[6:7]
	s_delay_alu instid0(VALU_DEP_1)
	v_and_b32_e32 v6, 7, v5
; %bb.834:                              ;   in Loop: Header=BB231_488 Depth=1
	s_or_b32 exec_lo, exec_lo, s16
	v_lshlrev_b32_e32 v5, 24, v160
	s_delay_alu instid0(VALU_DEP_2) | instskip(SKIP_1) | instid1(VALU_DEP_3)
	v_lshlrev_b32_e32 v6, 20, v6
	v_lshl_add_u32 v4, v4, 23, 0x3c000000
	v_and_b32_e32 v5, 0x80000000, v5
	s_delay_alu instid0(VALU_DEP_1) | instskip(NEXT) | instid1(VALU_DEP_1)
	v_or3_b32 v6, v6, v5, v4
	v_dual_mov_b32 v4, v6 :: v_dual_mov_b32 v5, v7
.LBB231_835:                            ;   in Loop: Header=BB231_488 Depth=1
	s_or_b32 exec_lo, exec_lo, s15
.LBB231_836:                            ;   in Loop: Header=BB231_488 Depth=1
	s_delay_alu instid0(SALU_CYCLE_1)
	s_or_b32 exec_lo, exec_lo, s13
.LBB231_837:                            ;   in Loop: Header=BB231_488 Depth=1
	s_delay_alu instid0(SALU_CYCLE_1) | instskip(SKIP_2) | instid1(VALU_DEP_1)
	s_or_b32 exec_lo, exec_lo, s10
	v_lshrrev_b16 v6, 8, v160
	s_mov_b32 s13, exec_lo
	v_cmpx_ne_u16_e32 0, v6
	s_cbranch_execz .LBB231_845
; %bb.838:                              ;   in Loop: Header=BB231_488 Depth=1
	v_dual_mov_b32 v15, s9 :: v_dual_mov_b32 v14, s8
	s_mov_b32 s15, exec_lo
	v_cmpx_ne_u16_e32 0x80, v6
	s_cbranch_execz .LBB231_844
; %bb.839:                              ;   in Loop: Header=BB231_488 Depth=1
	s_mov_b32 s10, s8
	v_dual_mov_b32 v15, s11 :: v_dual_and_b32 v6, 0xffff, v6
	v_mov_b32_e32 v14, s10
	s_mov_b32 s10, exec_lo
	s_delay_alu instid0(VALU_DEP_2) | instskip(NEXT) | instid1(VALU_DEP_1)
	v_and_b32_e32 v16, 0x7f, v6
	v_cmpx_ne_u32_e32 0x7f, v16
	s_cbranch_execz .LBB231_843
; %bb.840:                              ;   in Loop: Header=BB231_488 Depth=1
	v_and_b32_e32 v6, 7, v6
	v_lshrrev_b32_e32 v14, 3, v16
	s_mov_b32 s16, exec_lo
	v_cmpx_gt_u32_e32 8, v16
; %bb.841:                              ;   in Loop: Header=BB231_488 Depth=1
	s_delay_alu instid0(VALU_DEP_3) | instskip(NEXT) | instid1(VALU_DEP_1)
	v_clz_i32_u32_e32 v14, v6
	v_min_u32_e32 v14, 32, v14
	s_delay_alu instid0(VALU_DEP_1) | instskip(SKIP_1) | instid1(VALU_DEP_2)
	v_subrev_nc_u32_e32 v15, 28, v14
	v_sub_nc_u32_e32 v14, 29, v14
	v_lshlrev_b64 v[15:16], v15, v[6:7]
	s_delay_alu instid0(VALU_DEP_1)
	v_and_b32_e32 v6, 7, v15
; %bb.842:                              ;   in Loop: Header=BB231_488 Depth=1
	s_or_b32 exec_lo, exec_lo, s16
	v_lshlrev_b32_e32 v15, 16, v160
	s_delay_alu instid0(VALU_DEP_2) | instskip(SKIP_1) | instid1(VALU_DEP_3)
	v_lshlrev_b32_e32 v6, 20, v6
	v_lshl_add_u32 v14, v14, 23, 0x3c000000
	v_and_b32_e32 v15, 0x80000000, v15
	s_delay_alu instid0(VALU_DEP_1)
	v_or3_b32 v15, v6, v15, v14
	v_mov_b32_e32 v14, v7
.LBB231_843:                            ;   in Loop: Header=BB231_488 Depth=1
	s_or_b32 exec_lo, exec_lo, s10
.LBB231_844:                            ;   in Loop: Header=BB231_488 Depth=1
	s_delay_alu instid0(SALU_CYCLE_1)
	s_or_b32 exec_lo, exec_lo, s15
.LBB231_845:                            ;   in Loop: Header=BB231_488 Depth=1
	s_delay_alu instid0(SALU_CYCLE_1) | instskip(SKIP_4) | instid1(VALU_DEP_2)
	s_or_b32 exec_lo, exec_lo, s13
	v_mov_b32_e32 v18, 0
	v_lshrrev_b32_e32 v161, 16, v160
	v_mov_b32_e32 v19, 0
	s_mov_b32 s10, exec_lo
	v_and_b32_e32 v6, 0xff, v161
	s_delay_alu instid0(VALU_DEP_2) | instskip(NEXT) | instid1(VALU_DEP_2)
	v_dual_mov_b32 v16, v18 :: v_dual_mov_b32 v17, v19
	v_cmpx_ne_u16_e32 0, v6
	s_cbranch_execz .LBB231_853
; %bb.846:                              ;   in Loop: Header=BB231_488 Depth=1
	v_bfrev_b32_e32 v16, 1
	v_mov_b32_e32 v17, 0
	s_mov_b32 s13, exec_lo
	v_cmpx_ne_u16_e32 0x80, v6
	s_cbranch_execz .LBB231_852
; %bb.847:                              ;   in Loop: Header=BB231_488 Depth=1
	v_mov_b32_e32 v16, 0x7f800001
	v_bfe_u32 v162, v160, 16, 7
	v_mov_b32_e32 v17, 0
	s_mov_b32 s15, exec_lo
	s_delay_alu instid0(VALU_DEP_2)
	v_cmpx_ne_u32_e32 0x7f, v162
	s_cbranch_execz .LBB231_851
; %bb.848:                              ;   in Loop: Header=BB231_488 Depth=1
	v_and_b32_e32 v6, 7, v161
	v_lshrrev_b32_e32 v16, 3, v162
	s_mov_b32 s16, exec_lo
	v_cmpx_gt_u32_e32 8, v162
; %bb.849:                              ;   in Loop: Header=BB231_488 Depth=1
	s_delay_alu instid0(VALU_DEP_3) | instskip(NEXT) | instid1(VALU_DEP_1)
	v_clz_i32_u32_e32 v16, v6
	v_min_u32_e32 v16, 32, v16
	s_delay_alu instid0(VALU_DEP_1) | instskip(SKIP_1) | instid1(VALU_DEP_2)
	v_subrev_nc_u32_e32 v17, 28, v16
	v_sub_nc_u32_e32 v16, 29, v16
	v_lshlrev_b64 v[26:27], v17, v[6:7]
	s_delay_alu instid0(VALU_DEP_1)
	v_and_b32_e32 v6, 7, v26
; %bb.850:                              ;   in Loop: Header=BB231_488 Depth=1
	s_or_b32 exec_lo, exec_lo, s16
	v_lshlrev_b32_e32 v17, 24, v161
	s_delay_alu instid0(VALU_DEP_2) | instskip(SKIP_1) | instid1(VALU_DEP_3)
	v_lshlrev_b32_e32 v6, 20, v6
	v_lshl_add_u32 v16, v16, 23, 0x3c000000
	v_and_b32_e32 v17, 0x80000000, v17
	s_delay_alu instid0(VALU_DEP_1) | instskip(NEXT) | instid1(VALU_DEP_1)
	v_or3_b32 v6, v6, v17, v16
	v_dual_mov_b32 v17, v7 :: v_dual_mov_b32 v16, v6
.LBB231_851:                            ;   in Loop: Header=BB231_488 Depth=1
	s_or_b32 exec_lo, exec_lo, s15
.LBB231_852:                            ;   in Loop: Header=BB231_488 Depth=1
	s_delay_alu instid0(SALU_CYCLE_1)
	s_or_b32 exec_lo, exec_lo, s13
.LBB231_853:                            ;   in Loop: Header=BB231_488 Depth=1
	s_delay_alu instid0(SALU_CYCLE_1) | instskip(NEXT) | instid1(SALU_CYCLE_1)
	s_or_b32 exec_lo, exec_lo, s10
	s_mov_b32 s13, exec_lo
	v_cmpx_lt_u32_e32 0xffffff, v160
	s_cbranch_execz .LBB231_861
; %bb.854:                              ;   in Loop: Header=BB231_488 Depth=1
	v_lshrrev_b32_e32 v161, 24, v160
	v_dual_mov_b32 v19, s9 :: v_dual_mov_b32 v18, s8
	s_mov_b32 s15, exec_lo
	s_delay_alu instid0(VALU_DEP_2)
	v_cmpx_ne_u32_e32 0x80, v161
	s_cbranch_execz .LBB231_860
; %bb.855:                              ;   in Loop: Header=BB231_488 Depth=1
	s_mov_b32 s10, s8
	v_bfe_u32 v160, v160, 24, 7
	v_dual_mov_b32 v19, s11 :: v_dual_mov_b32 v18, s10
	s_mov_b32 s10, exec_lo
	s_delay_alu instid0(VALU_DEP_2)
	v_cmpx_ne_u32_e32 0x7f, v160
	s_cbranch_execz .LBB231_859
; %bb.856:                              ;   in Loop: Header=BB231_488 Depth=1
	v_and_b32_e32 v6, 7, v161
	v_lshrrev_b32_e32 v18, 3, v160
	s_mov_b32 s16, exec_lo
	v_cmpx_gt_u32_e32 8, v160
; %bb.857:                              ;   in Loop: Header=BB231_488 Depth=1
	s_delay_alu instid0(VALU_DEP_3) | instskip(NEXT) | instid1(VALU_DEP_1)
	v_clz_i32_u32_e32 v18, v6
	v_min_u32_e32 v18, 32, v18
	s_delay_alu instid0(VALU_DEP_1) | instskip(SKIP_1) | instid1(VALU_DEP_2)
	v_subrev_nc_u32_e32 v19, 28, v18
	v_sub_nc_u32_e32 v18, 29, v18
	v_lshlrev_b64 v[26:27], v19, v[6:7]
	s_delay_alu instid0(VALU_DEP_1)
	v_and_b32_e32 v6, 7, v26
; %bb.858:                              ;   in Loop: Header=BB231_488 Depth=1
	s_or_b32 exec_lo, exec_lo, s16
	v_lshlrev_b32_e32 v19, 24, v161
	s_delay_alu instid0(VALU_DEP_2) | instskip(SKIP_1) | instid1(VALU_DEP_3)
	v_lshlrev_b32_e32 v6, 20, v6
	v_lshl_add_u32 v18, v18, 23, 0x3c000000
	v_and_b32_e32 v19, 0x80000000, v19
	s_delay_alu instid0(VALU_DEP_1)
	v_or3_b32 v19, v6, v19, v18
	v_mov_b32_e32 v18, v7
.LBB231_859:                            ;   in Loop: Header=BB231_488 Depth=1
	s_or_b32 exec_lo, exec_lo, s10
.LBB231_860:                            ;   in Loop: Header=BB231_488 Depth=1
	s_delay_alu instid0(SALU_CYCLE_1)
	s_or_b32 exec_lo, exec_lo, s15
.LBB231_861:                            ;   in Loop: Header=BB231_488 Depth=1
	s_delay_alu instid0(SALU_CYCLE_1) | instskip(SKIP_4) | instid1(VALU_DEP_4)
	s_or_b32 exec_lo, exec_lo, s13
	v_or_b32_e32 v5, v15, v5
	v_or_b32_e32 v4, v14, v4
	;; [unrolled: 1-line block ×4, first 2 shown]
	v_mul_f32_e32 v163, v66, v5
	s_delay_alu instid0(VALU_DEP_4) | instskip(NEXT) | instid1(VALU_DEP_4)
	v_mul_f32_e32 v162, v66, v4
	v_mul_f32_e32 v160, v66, v6
	s_delay_alu instid0(VALU_DEP_4)
	v_mul_f32_e32 v161, v66, v14
	s_and_saveexec_b32 s10, vcc_lo
; %bb.862:                              ;   in Loop: Header=BB231_488 Depth=1
	v_cmp_lt_i32_e64 s0, v71, v47
	s_delay_alu instid0(VALU_DEP_1) | instskip(SKIP_1) | instid1(VALU_DEP_1)
	v_cndmask_b32_e64 v162, 0, v162, s0
	v_cmp_lt_i32_e64 s0, v82, v47
	v_cndmask_b32_e64 v163, 0, v163, s0
	v_cmp_lt_i32_e64 s0, v81, v47
	s_delay_alu instid0(VALU_DEP_1) | instskip(SKIP_1) | instid1(VALU_DEP_1)
	v_cndmask_b32_e64 v161, 0, v161, s0
	v_cmp_lt_i32_e64 s0, v80, v47
	v_cndmask_b32_e64 v160, 0, v160, s0
; %bb.863:                              ;   in Loop: Header=BB231_488 Depth=1
	s_or_b32 exec_lo, exec_lo, s10
	flat_load_b32 v164, v[12:13] offset:1408
	v_mov_b32_e32 v14, 0
	v_mov_b32_e32 v15, 0
	s_mov_b32 s10, exec_lo
	s_waitcnt vmcnt(0) lgkmcnt(0)
	v_and_b32_e32 v6, 0xff, v164
	s_delay_alu instid0(VALU_DEP_2) | instskip(NEXT) | instid1(VALU_DEP_2)
	v_dual_mov_b32 v4, v14 :: v_dual_mov_b32 v5, v15
	v_cmpx_ne_u16_e32 0, v6
	s_cbranch_execz .LBB231_871
; %bb.864:                              ;   in Loop: Header=BB231_488 Depth=1
	v_bfrev_b32_e32 v4, 1
	v_mov_b32_e32 v5, 0
	s_mov_b32 s13, exec_lo
	v_cmpx_ne_u16_e32 0x80, v6
	s_cbranch_execz .LBB231_870
; %bb.865:                              ;   in Loop: Header=BB231_488 Depth=1
	v_mov_b32_e32 v4, 0x7f800001
	v_dual_mov_b32 v5, 0 :: v_dual_and_b32 v16, 0x7f, v164
	s_mov_b32 s15, exec_lo
	s_delay_alu instid0(VALU_DEP_1)
	v_cmpx_ne_u32_e32 0x7f, v16
	s_cbranch_execz .LBB231_869
; %bb.866:                              ;   in Loop: Header=BB231_488 Depth=1
	v_and_b32_e32 v6, 7, v164
	v_lshrrev_b32_e32 v4, 3, v16
	s_mov_b32 s16, exec_lo
	v_cmpx_gt_u32_e32 8, v16
; %bb.867:                              ;   in Loop: Header=BB231_488 Depth=1
	s_delay_alu instid0(VALU_DEP_3) | instskip(NEXT) | instid1(VALU_DEP_1)
	v_clz_i32_u32_e32 v4, v6
	v_min_u32_e32 v4, 32, v4
	s_delay_alu instid0(VALU_DEP_1) | instskip(SKIP_1) | instid1(VALU_DEP_2)
	v_subrev_nc_u32_e32 v5, 28, v4
	v_sub_nc_u32_e32 v4, 29, v4
	v_lshlrev_b64 v[5:6], v5, v[6:7]
	s_delay_alu instid0(VALU_DEP_1)
	v_and_b32_e32 v6, 7, v5
; %bb.868:                              ;   in Loop: Header=BB231_488 Depth=1
	s_or_b32 exec_lo, exec_lo, s16
	v_lshlrev_b32_e32 v5, 24, v164
	s_delay_alu instid0(VALU_DEP_2) | instskip(SKIP_1) | instid1(VALU_DEP_3)
	v_lshlrev_b32_e32 v6, 20, v6
	v_lshl_add_u32 v4, v4, 23, 0x3c000000
	v_and_b32_e32 v5, 0x80000000, v5
	s_delay_alu instid0(VALU_DEP_1) | instskip(NEXT) | instid1(VALU_DEP_1)
	v_or3_b32 v6, v6, v5, v4
	v_dual_mov_b32 v4, v6 :: v_dual_mov_b32 v5, v7
.LBB231_869:                            ;   in Loop: Header=BB231_488 Depth=1
	s_or_b32 exec_lo, exec_lo, s15
.LBB231_870:                            ;   in Loop: Header=BB231_488 Depth=1
	s_delay_alu instid0(SALU_CYCLE_1)
	s_or_b32 exec_lo, exec_lo, s13
.LBB231_871:                            ;   in Loop: Header=BB231_488 Depth=1
	s_delay_alu instid0(SALU_CYCLE_1) | instskip(SKIP_2) | instid1(VALU_DEP_1)
	s_or_b32 exec_lo, exec_lo, s10
	v_lshrrev_b16 v6, 8, v164
	s_mov_b32 s13, exec_lo
	v_cmpx_ne_u16_e32 0, v6
	s_cbranch_execz .LBB231_879
; %bb.872:                              ;   in Loop: Header=BB231_488 Depth=1
	v_dual_mov_b32 v15, s9 :: v_dual_mov_b32 v14, s8
	s_mov_b32 s15, exec_lo
	v_cmpx_ne_u16_e32 0x80, v6
	s_cbranch_execz .LBB231_878
; %bb.873:                              ;   in Loop: Header=BB231_488 Depth=1
	s_mov_b32 s10, s8
	v_dual_mov_b32 v15, s11 :: v_dual_and_b32 v6, 0xffff, v6
	v_mov_b32_e32 v14, s10
	s_mov_b32 s10, exec_lo
	s_delay_alu instid0(VALU_DEP_2) | instskip(NEXT) | instid1(VALU_DEP_1)
	v_and_b32_e32 v16, 0x7f, v6
	v_cmpx_ne_u32_e32 0x7f, v16
	s_cbranch_execz .LBB231_877
; %bb.874:                              ;   in Loop: Header=BB231_488 Depth=1
	v_and_b32_e32 v6, 7, v6
	v_lshrrev_b32_e32 v14, 3, v16
	s_mov_b32 s16, exec_lo
	v_cmpx_gt_u32_e32 8, v16
; %bb.875:                              ;   in Loop: Header=BB231_488 Depth=1
	s_delay_alu instid0(VALU_DEP_3) | instskip(NEXT) | instid1(VALU_DEP_1)
	v_clz_i32_u32_e32 v14, v6
	v_min_u32_e32 v14, 32, v14
	s_delay_alu instid0(VALU_DEP_1) | instskip(SKIP_1) | instid1(VALU_DEP_2)
	v_subrev_nc_u32_e32 v15, 28, v14
	v_sub_nc_u32_e32 v14, 29, v14
	v_lshlrev_b64 v[15:16], v15, v[6:7]
	s_delay_alu instid0(VALU_DEP_1)
	v_and_b32_e32 v6, 7, v15
; %bb.876:                              ;   in Loop: Header=BB231_488 Depth=1
	s_or_b32 exec_lo, exec_lo, s16
	v_lshlrev_b32_e32 v15, 16, v164
	s_delay_alu instid0(VALU_DEP_2) | instskip(SKIP_1) | instid1(VALU_DEP_3)
	v_lshlrev_b32_e32 v6, 20, v6
	v_lshl_add_u32 v14, v14, 23, 0x3c000000
	v_and_b32_e32 v15, 0x80000000, v15
	s_delay_alu instid0(VALU_DEP_1)
	v_or3_b32 v15, v6, v15, v14
	v_mov_b32_e32 v14, v7
.LBB231_877:                            ;   in Loop: Header=BB231_488 Depth=1
	s_or_b32 exec_lo, exec_lo, s10
.LBB231_878:                            ;   in Loop: Header=BB231_488 Depth=1
	s_delay_alu instid0(SALU_CYCLE_1)
	s_or_b32 exec_lo, exec_lo, s15
.LBB231_879:                            ;   in Loop: Header=BB231_488 Depth=1
	s_delay_alu instid0(SALU_CYCLE_1) | instskip(SKIP_4) | instid1(VALU_DEP_2)
	s_or_b32 exec_lo, exec_lo, s13
	v_mov_b32_e32 v18, 0
	v_lshrrev_b32_e32 v165, 16, v164
	v_mov_b32_e32 v19, 0
	s_mov_b32 s10, exec_lo
	v_and_b32_e32 v6, 0xff, v165
	s_delay_alu instid0(VALU_DEP_2) | instskip(NEXT) | instid1(VALU_DEP_2)
	v_dual_mov_b32 v16, v18 :: v_dual_mov_b32 v17, v19
	v_cmpx_ne_u16_e32 0, v6
	s_cbranch_execz .LBB231_887
; %bb.880:                              ;   in Loop: Header=BB231_488 Depth=1
	v_bfrev_b32_e32 v16, 1
	v_mov_b32_e32 v17, 0
	s_mov_b32 s13, exec_lo
	v_cmpx_ne_u16_e32 0x80, v6
	s_cbranch_execz .LBB231_886
; %bb.881:                              ;   in Loop: Header=BB231_488 Depth=1
	v_mov_b32_e32 v16, 0x7f800001
	v_bfe_u32 v166, v164, 16, 7
	v_mov_b32_e32 v17, 0
	s_mov_b32 s15, exec_lo
	s_delay_alu instid0(VALU_DEP_2)
	v_cmpx_ne_u32_e32 0x7f, v166
	s_cbranch_execz .LBB231_885
; %bb.882:                              ;   in Loop: Header=BB231_488 Depth=1
	v_and_b32_e32 v6, 7, v165
	v_lshrrev_b32_e32 v16, 3, v166
	s_mov_b32 s16, exec_lo
	v_cmpx_gt_u32_e32 8, v166
; %bb.883:                              ;   in Loop: Header=BB231_488 Depth=1
	s_delay_alu instid0(VALU_DEP_3) | instskip(NEXT) | instid1(VALU_DEP_1)
	v_clz_i32_u32_e32 v16, v6
	v_min_u32_e32 v16, 32, v16
	s_delay_alu instid0(VALU_DEP_1) | instskip(SKIP_1) | instid1(VALU_DEP_2)
	v_subrev_nc_u32_e32 v17, 28, v16
	v_sub_nc_u32_e32 v16, 29, v16
	v_lshlrev_b64 v[26:27], v17, v[6:7]
	s_delay_alu instid0(VALU_DEP_1)
	v_and_b32_e32 v6, 7, v26
; %bb.884:                              ;   in Loop: Header=BB231_488 Depth=1
	s_or_b32 exec_lo, exec_lo, s16
	v_lshlrev_b32_e32 v17, 24, v165
	s_delay_alu instid0(VALU_DEP_2) | instskip(SKIP_1) | instid1(VALU_DEP_3)
	v_lshlrev_b32_e32 v6, 20, v6
	v_lshl_add_u32 v16, v16, 23, 0x3c000000
	v_and_b32_e32 v17, 0x80000000, v17
	s_delay_alu instid0(VALU_DEP_1) | instskip(NEXT) | instid1(VALU_DEP_1)
	v_or3_b32 v6, v6, v17, v16
	v_dual_mov_b32 v17, v7 :: v_dual_mov_b32 v16, v6
.LBB231_885:                            ;   in Loop: Header=BB231_488 Depth=1
	s_or_b32 exec_lo, exec_lo, s15
.LBB231_886:                            ;   in Loop: Header=BB231_488 Depth=1
	s_delay_alu instid0(SALU_CYCLE_1)
	s_or_b32 exec_lo, exec_lo, s13
.LBB231_887:                            ;   in Loop: Header=BB231_488 Depth=1
	s_delay_alu instid0(SALU_CYCLE_1) | instskip(NEXT) | instid1(SALU_CYCLE_1)
	s_or_b32 exec_lo, exec_lo, s10
	s_mov_b32 s13, exec_lo
	v_cmpx_lt_u32_e32 0xffffff, v164
	s_cbranch_execz .LBB231_895
; %bb.888:                              ;   in Loop: Header=BB231_488 Depth=1
	v_lshrrev_b32_e32 v165, 24, v164
	v_dual_mov_b32 v19, s9 :: v_dual_mov_b32 v18, s8
	s_mov_b32 s15, exec_lo
	s_delay_alu instid0(VALU_DEP_2)
	v_cmpx_ne_u32_e32 0x80, v165
	s_cbranch_execz .LBB231_894
; %bb.889:                              ;   in Loop: Header=BB231_488 Depth=1
	s_mov_b32 s10, s8
	v_bfe_u32 v164, v164, 24, 7
	v_dual_mov_b32 v19, s11 :: v_dual_mov_b32 v18, s10
	s_mov_b32 s10, exec_lo
	s_delay_alu instid0(VALU_DEP_2)
	v_cmpx_ne_u32_e32 0x7f, v164
	s_cbranch_execz .LBB231_893
; %bb.890:                              ;   in Loop: Header=BB231_488 Depth=1
	v_and_b32_e32 v6, 7, v165
	v_lshrrev_b32_e32 v18, 3, v164
	s_mov_b32 s16, exec_lo
	v_cmpx_gt_u32_e32 8, v164
; %bb.891:                              ;   in Loop: Header=BB231_488 Depth=1
	s_delay_alu instid0(VALU_DEP_3) | instskip(NEXT) | instid1(VALU_DEP_1)
	v_clz_i32_u32_e32 v18, v6
	v_min_u32_e32 v18, 32, v18
	s_delay_alu instid0(VALU_DEP_1) | instskip(SKIP_1) | instid1(VALU_DEP_2)
	v_subrev_nc_u32_e32 v19, 28, v18
	v_sub_nc_u32_e32 v18, 29, v18
	v_lshlrev_b64 v[26:27], v19, v[6:7]
	s_delay_alu instid0(VALU_DEP_1)
	v_and_b32_e32 v6, 7, v26
; %bb.892:                              ;   in Loop: Header=BB231_488 Depth=1
	s_or_b32 exec_lo, exec_lo, s16
	v_lshlrev_b32_e32 v19, 24, v165
	s_delay_alu instid0(VALU_DEP_2) | instskip(SKIP_1) | instid1(VALU_DEP_3)
	v_lshlrev_b32_e32 v6, 20, v6
	v_lshl_add_u32 v18, v18, 23, 0x3c000000
	v_and_b32_e32 v19, 0x80000000, v19
	s_delay_alu instid0(VALU_DEP_1)
	v_or3_b32 v19, v6, v19, v18
	v_mov_b32_e32 v18, v7
.LBB231_893:                            ;   in Loop: Header=BB231_488 Depth=1
	s_or_b32 exec_lo, exec_lo, s10
.LBB231_894:                            ;   in Loop: Header=BB231_488 Depth=1
	s_delay_alu instid0(SALU_CYCLE_1)
	s_or_b32 exec_lo, exec_lo, s15
.LBB231_895:                            ;   in Loop: Header=BB231_488 Depth=1
	s_delay_alu instid0(SALU_CYCLE_1) | instskip(SKIP_4) | instid1(VALU_DEP_4)
	s_or_b32 exec_lo, exec_lo, s13
	v_or_b32_e32 v5, v15, v5
	v_or_b32_e32 v4, v14, v4
	;; [unrolled: 1-line block ×4, first 2 shown]
	v_mul_f32_e32 v167, v66, v5
	s_delay_alu instid0(VALU_DEP_4) | instskip(NEXT) | instid1(VALU_DEP_4)
	v_mul_f32_e32 v166, v66, v4
	v_mul_f32_e32 v164, v66, v6
	s_delay_alu instid0(VALU_DEP_4)
	v_mul_f32_e32 v165, v66, v14
	s_and_saveexec_b32 s10, vcc_lo
; %bb.896:                              ;   in Loop: Header=BB231_488 Depth=1
	v_cmp_lt_i32_e64 s0, v71, v47
	s_delay_alu instid0(VALU_DEP_1) | instskip(SKIP_1) | instid1(VALU_DEP_1)
	v_cndmask_b32_e64 v166, 0, v166, s0
	v_cmp_lt_i32_e64 s0, v82, v47
	v_cndmask_b32_e64 v167, 0, v167, s0
	v_cmp_lt_i32_e64 s0, v81, v47
	s_delay_alu instid0(VALU_DEP_1) | instskip(SKIP_1) | instid1(VALU_DEP_1)
	v_cndmask_b32_e64 v165, 0, v165, s0
	v_cmp_lt_i32_e64 s0, v80, v47
	v_cndmask_b32_e64 v164, 0, v164, s0
; %bb.897:                              ;   in Loop: Header=BB231_488 Depth=1
	s_or_b32 exec_lo, exec_lo, s10
	flat_load_b32 v176, v[12:13] offset:1536
	v_mov_b32_e32 v14, 0
	v_mov_b32_e32 v15, 0
	s_mov_b32 s10, exec_lo
	s_waitcnt vmcnt(0) lgkmcnt(0)
	v_and_b32_e32 v6, 0xff, v176
	s_delay_alu instid0(VALU_DEP_2) | instskip(NEXT) | instid1(VALU_DEP_2)
	v_dual_mov_b32 v4, v14 :: v_dual_mov_b32 v5, v15
	v_cmpx_ne_u16_e32 0, v6
	s_cbranch_execz .LBB231_905
; %bb.898:                              ;   in Loop: Header=BB231_488 Depth=1
	v_bfrev_b32_e32 v4, 1
	v_mov_b32_e32 v5, 0
	s_mov_b32 s13, exec_lo
	v_cmpx_ne_u16_e32 0x80, v6
	s_cbranch_execz .LBB231_904
; %bb.899:                              ;   in Loop: Header=BB231_488 Depth=1
	v_mov_b32_e32 v4, 0x7f800001
	v_dual_mov_b32 v5, 0 :: v_dual_and_b32 v16, 0x7f, v176
	s_mov_b32 s15, exec_lo
	s_delay_alu instid0(VALU_DEP_1)
	v_cmpx_ne_u32_e32 0x7f, v16
	s_cbranch_execz .LBB231_903
; %bb.900:                              ;   in Loop: Header=BB231_488 Depth=1
	v_and_b32_e32 v6, 7, v176
	v_lshrrev_b32_e32 v4, 3, v16
	s_mov_b32 s16, exec_lo
	v_cmpx_gt_u32_e32 8, v16
; %bb.901:                              ;   in Loop: Header=BB231_488 Depth=1
	s_delay_alu instid0(VALU_DEP_3) | instskip(NEXT) | instid1(VALU_DEP_1)
	v_clz_i32_u32_e32 v4, v6
	v_min_u32_e32 v4, 32, v4
	s_delay_alu instid0(VALU_DEP_1) | instskip(SKIP_1) | instid1(VALU_DEP_2)
	v_subrev_nc_u32_e32 v5, 28, v4
	v_sub_nc_u32_e32 v4, 29, v4
	v_lshlrev_b64 v[5:6], v5, v[6:7]
	s_delay_alu instid0(VALU_DEP_1)
	v_and_b32_e32 v6, 7, v5
; %bb.902:                              ;   in Loop: Header=BB231_488 Depth=1
	s_or_b32 exec_lo, exec_lo, s16
	v_lshlrev_b32_e32 v5, 24, v176
	s_delay_alu instid0(VALU_DEP_2) | instskip(SKIP_1) | instid1(VALU_DEP_3)
	v_lshlrev_b32_e32 v6, 20, v6
	v_lshl_add_u32 v4, v4, 23, 0x3c000000
	v_and_b32_e32 v5, 0x80000000, v5
	s_delay_alu instid0(VALU_DEP_1) | instskip(NEXT) | instid1(VALU_DEP_1)
	v_or3_b32 v6, v6, v5, v4
	v_dual_mov_b32 v4, v6 :: v_dual_mov_b32 v5, v7
.LBB231_903:                            ;   in Loop: Header=BB231_488 Depth=1
	s_or_b32 exec_lo, exec_lo, s15
.LBB231_904:                            ;   in Loop: Header=BB231_488 Depth=1
	s_delay_alu instid0(SALU_CYCLE_1)
	s_or_b32 exec_lo, exec_lo, s13
.LBB231_905:                            ;   in Loop: Header=BB231_488 Depth=1
	s_delay_alu instid0(SALU_CYCLE_1) | instskip(SKIP_2) | instid1(VALU_DEP_1)
	s_or_b32 exec_lo, exec_lo, s10
	v_lshrrev_b16 v6, 8, v176
	s_mov_b32 s13, exec_lo
	v_cmpx_ne_u16_e32 0, v6
	s_cbranch_execz .LBB231_913
; %bb.906:                              ;   in Loop: Header=BB231_488 Depth=1
	v_dual_mov_b32 v15, s9 :: v_dual_mov_b32 v14, s8
	s_mov_b32 s15, exec_lo
	v_cmpx_ne_u16_e32 0x80, v6
	s_cbranch_execz .LBB231_912
; %bb.907:                              ;   in Loop: Header=BB231_488 Depth=1
	s_mov_b32 s10, s8
	v_dual_mov_b32 v15, s11 :: v_dual_and_b32 v6, 0xffff, v6
	v_mov_b32_e32 v14, s10
	s_mov_b32 s10, exec_lo
	s_delay_alu instid0(VALU_DEP_2) | instskip(NEXT) | instid1(VALU_DEP_1)
	v_and_b32_e32 v16, 0x7f, v6
	v_cmpx_ne_u32_e32 0x7f, v16
	s_cbranch_execz .LBB231_911
; %bb.908:                              ;   in Loop: Header=BB231_488 Depth=1
	v_and_b32_e32 v6, 7, v6
	v_lshrrev_b32_e32 v14, 3, v16
	s_mov_b32 s16, exec_lo
	v_cmpx_gt_u32_e32 8, v16
; %bb.909:                              ;   in Loop: Header=BB231_488 Depth=1
	s_delay_alu instid0(VALU_DEP_3) | instskip(NEXT) | instid1(VALU_DEP_1)
	v_clz_i32_u32_e32 v14, v6
	v_min_u32_e32 v14, 32, v14
	s_delay_alu instid0(VALU_DEP_1) | instskip(SKIP_1) | instid1(VALU_DEP_2)
	v_subrev_nc_u32_e32 v15, 28, v14
	v_sub_nc_u32_e32 v14, 29, v14
	v_lshlrev_b64 v[15:16], v15, v[6:7]
	s_delay_alu instid0(VALU_DEP_1)
	v_and_b32_e32 v6, 7, v15
; %bb.910:                              ;   in Loop: Header=BB231_488 Depth=1
	s_or_b32 exec_lo, exec_lo, s16
	v_lshlrev_b32_e32 v15, 16, v176
	s_delay_alu instid0(VALU_DEP_2) | instskip(SKIP_1) | instid1(VALU_DEP_3)
	v_lshlrev_b32_e32 v6, 20, v6
	v_lshl_add_u32 v14, v14, 23, 0x3c000000
	v_and_b32_e32 v15, 0x80000000, v15
	s_delay_alu instid0(VALU_DEP_1)
	v_or3_b32 v15, v6, v15, v14
	v_mov_b32_e32 v14, v7
.LBB231_911:                            ;   in Loop: Header=BB231_488 Depth=1
	s_or_b32 exec_lo, exec_lo, s10
.LBB231_912:                            ;   in Loop: Header=BB231_488 Depth=1
	s_delay_alu instid0(SALU_CYCLE_1)
	s_or_b32 exec_lo, exec_lo, s15
.LBB231_913:                            ;   in Loop: Header=BB231_488 Depth=1
	s_delay_alu instid0(SALU_CYCLE_1) | instskip(SKIP_4) | instid1(VALU_DEP_2)
	s_or_b32 exec_lo, exec_lo, s13
	v_mov_b32_e32 v18, 0
	v_lshrrev_b32_e32 v177, 16, v176
	v_mov_b32_e32 v19, 0
	s_mov_b32 s10, exec_lo
	v_and_b32_e32 v6, 0xff, v177
	s_delay_alu instid0(VALU_DEP_2) | instskip(NEXT) | instid1(VALU_DEP_2)
	v_dual_mov_b32 v16, v18 :: v_dual_mov_b32 v17, v19
	v_cmpx_ne_u16_e32 0, v6
	s_cbranch_execz .LBB231_921
; %bb.914:                              ;   in Loop: Header=BB231_488 Depth=1
	v_bfrev_b32_e32 v16, 1
	v_mov_b32_e32 v17, 0
	s_mov_b32 s13, exec_lo
	v_cmpx_ne_u16_e32 0x80, v6
	s_cbranch_execz .LBB231_920
; %bb.915:                              ;   in Loop: Header=BB231_488 Depth=1
	v_mov_b32_e32 v16, 0x7f800001
	v_bfe_u32 v178, v176, 16, 7
	v_mov_b32_e32 v17, 0
	s_mov_b32 s15, exec_lo
	s_delay_alu instid0(VALU_DEP_2)
	v_cmpx_ne_u32_e32 0x7f, v178
	s_cbranch_execz .LBB231_919
; %bb.916:                              ;   in Loop: Header=BB231_488 Depth=1
	v_and_b32_e32 v6, 7, v177
	v_lshrrev_b32_e32 v16, 3, v178
	s_mov_b32 s16, exec_lo
	v_cmpx_gt_u32_e32 8, v178
; %bb.917:                              ;   in Loop: Header=BB231_488 Depth=1
	s_delay_alu instid0(VALU_DEP_3) | instskip(NEXT) | instid1(VALU_DEP_1)
	v_clz_i32_u32_e32 v16, v6
	v_min_u32_e32 v16, 32, v16
	s_delay_alu instid0(VALU_DEP_1) | instskip(SKIP_1) | instid1(VALU_DEP_2)
	v_subrev_nc_u32_e32 v17, 28, v16
	v_sub_nc_u32_e32 v16, 29, v16
	v_lshlrev_b64 v[26:27], v17, v[6:7]
	s_delay_alu instid0(VALU_DEP_1)
	v_and_b32_e32 v6, 7, v26
; %bb.918:                              ;   in Loop: Header=BB231_488 Depth=1
	s_or_b32 exec_lo, exec_lo, s16
	v_lshlrev_b32_e32 v17, 24, v177
	s_delay_alu instid0(VALU_DEP_2) | instskip(SKIP_1) | instid1(VALU_DEP_3)
	v_lshlrev_b32_e32 v6, 20, v6
	v_lshl_add_u32 v16, v16, 23, 0x3c000000
	v_and_b32_e32 v17, 0x80000000, v17
	s_delay_alu instid0(VALU_DEP_1) | instskip(NEXT) | instid1(VALU_DEP_1)
	v_or3_b32 v6, v6, v17, v16
	v_dual_mov_b32 v17, v7 :: v_dual_mov_b32 v16, v6
.LBB231_919:                            ;   in Loop: Header=BB231_488 Depth=1
	s_or_b32 exec_lo, exec_lo, s15
.LBB231_920:                            ;   in Loop: Header=BB231_488 Depth=1
	s_delay_alu instid0(SALU_CYCLE_1)
	s_or_b32 exec_lo, exec_lo, s13
.LBB231_921:                            ;   in Loop: Header=BB231_488 Depth=1
	s_delay_alu instid0(SALU_CYCLE_1) | instskip(NEXT) | instid1(SALU_CYCLE_1)
	s_or_b32 exec_lo, exec_lo, s10
	s_mov_b32 s13, exec_lo
	v_cmpx_lt_u32_e32 0xffffff, v176
	s_cbranch_execz .LBB231_929
; %bb.922:                              ;   in Loop: Header=BB231_488 Depth=1
	v_lshrrev_b32_e32 v177, 24, v176
	v_dual_mov_b32 v19, s9 :: v_dual_mov_b32 v18, s8
	s_mov_b32 s15, exec_lo
	s_delay_alu instid0(VALU_DEP_2)
	v_cmpx_ne_u32_e32 0x80, v177
	s_cbranch_execz .LBB231_928
; %bb.923:                              ;   in Loop: Header=BB231_488 Depth=1
	s_mov_b32 s10, s8
	v_bfe_u32 v176, v176, 24, 7
	v_dual_mov_b32 v19, s11 :: v_dual_mov_b32 v18, s10
	s_mov_b32 s10, exec_lo
	s_delay_alu instid0(VALU_DEP_2)
	v_cmpx_ne_u32_e32 0x7f, v176
	s_cbranch_execz .LBB231_927
; %bb.924:                              ;   in Loop: Header=BB231_488 Depth=1
	v_and_b32_e32 v6, 7, v177
	v_lshrrev_b32_e32 v18, 3, v176
	s_mov_b32 s16, exec_lo
	v_cmpx_gt_u32_e32 8, v176
; %bb.925:                              ;   in Loop: Header=BB231_488 Depth=1
	s_delay_alu instid0(VALU_DEP_3) | instskip(NEXT) | instid1(VALU_DEP_1)
	v_clz_i32_u32_e32 v18, v6
	v_min_u32_e32 v18, 32, v18
	s_delay_alu instid0(VALU_DEP_1) | instskip(SKIP_1) | instid1(VALU_DEP_2)
	v_subrev_nc_u32_e32 v19, 28, v18
	v_sub_nc_u32_e32 v18, 29, v18
	v_lshlrev_b64 v[26:27], v19, v[6:7]
	s_delay_alu instid0(VALU_DEP_1)
	v_and_b32_e32 v6, 7, v26
; %bb.926:                              ;   in Loop: Header=BB231_488 Depth=1
	s_or_b32 exec_lo, exec_lo, s16
	v_lshlrev_b32_e32 v19, 24, v177
	s_delay_alu instid0(VALU_DEP_2) | instskip(SKIP_1) | instid1(VALU_DEP_3)
	v_lshlrev_b32_e32 v6, 20, v6
	v_lshl_add_u32 v18, v18, 23, 0x3c000000
	v_and_b32_e32 v19, 0x80000000, v19
	s_delay_alu instid0(VALU_DEP_1)
	v_or3_b32 v19, v6, v19, v18
	v_mov_b32_e32 v18, v7
.LBB231_927:                            ;   in Loop: Header=BB231_488 Depth=1
	s_or_b32 exec_lo, exec_lo, s10
.LBB231_928:                            ;   in Loop: Header=BB231_488 Depth=1
	s_delay_alu instid0(SALU_CYCLE_1)
	s_or_b32 exec_lo, exec_lo, s15
.LBB231_929:                            ;   in Loop: Header=BB231_488 Depth=1
	s_delay_alu instid0(SALU_CYCLE_1) | instskip(SKIP_4) | instid1(VALU_DEP_4)
	s_or_b32 exec_lo, exec_lo, s13
	v_or_b32_e32 v5, v15, v5
	v_or_b32_e32 v4, v14, v4
	;; [unrolled: 1-line block ×4, first 2 shown]
	v_mul_f32_e32 v177, v66, v5
	s_delay_alu instid0(VALU_DEP_4) | instskip(NEXT) | instid1(VALU_DEP_4)
	v_mul_f32_e32 v176, v66, v4
	v_mul_f32_e32 v18, v66, v6
	s_delay_alu instid0(VALU_DEP_4)
	v_mul_f32_e32 v19, v66, v14
	s_and_saveexec_b32 s10, vcc_lo
; %bb.930:                              ;   in Loop: Header=BB231_488 Depth=1
	v_cmp_lt_i32_e64 s0, v71, v47
	s_delay_alu instid0(VALU_DEP_1) | instskip(SKIP_1) | instid1(VALU_DEP_1)
	v_cndmask_b32_e64 v176, 0, v176, s0
	v_cmp_lt_i32_e64 s0, v82, v47
	v_cndmask_b32_e64 v177, 0, v177, s0
	v_cmp_lt_i32_e64 s0, v81, v47
	s_delay_alu instid0(VALU_DEP_1) | instskip(SKIP_1) | instid1(VALU_DEP_1)
	v_cndmask_b32_e64 v19, 0, v19, s0
	v_cmp_lt_i32_e64 s0, v80, v47
	v_cndmask_b32_e64 v18, 0, v18, s0
; %bb.931:                              ;   in Loop: Header=BB231_488 Depth=1
	s_or_b32 exec_lo, exec_lo, s10
	flat_load_b32 v178, v[12:13] offset:1664
	v_mov_b32_e32 v12, 0
	v_mov_b32_e32 v13, 0
	s_mov_b32 s10, exec_lo
	s_waitcnt vmcnt(0) lgkmcnt(0)
	v_and_b32_e32 v6, 0xff, v178
	s_delay_alu instid0(VALU_DEP_2) | instskip(NEXT) | instid1(VALU_DEP_2)
	v_dual_mov_b32 v4, v12 :: v_dual_mov_b32 v5, v13
	v_cmpx_ne_u16_e32 0, v6
	s_cbranch_execz .LBB231_939
; %bb.932:                              ;   in Loop: Header=BB231_488 Depth=1
	v_bfrev_b32_e32 v4, 1
	v_mov_b32_e32 v5, 0
	s_mov_b32 s13, exec_lo
	v_cmpx_ne_u16_e32 0x80, v6
	s_cbranch_execz .LBB231_938
; %bb.933:                              ;   in Loop: Header=BB231_488 Depth=1
	v_mov_b32_e32 v4, 0x7f800001
	v_dual_mov_b32 v5, 0 :: v_dual_and_b32 v14, 0x7f, v178
	s_mov_b32 s15, exec_lo
	s_delay_alu instid0(VALU_DEP_1)
	v_cmpx_ne_u32_e32 0x7f, v14
	s_cbranch_execz .LBB231_937
; %bb.934:                              ;   in Loop: Header=BB231_488 Depth=1
	v_and_b32_e32 v6, 7, v178
	v_lshrrev_b32_e32 v4, 3, v14
	s_mov_b32 s16, exec_lo
	v_cmpx_gt_u32_e32 8, v14
; %bb.935:                              ;   in Loop: Header=BB231_488 Depth=1
	s_delay_alu instid0(VALU_DEP_3) | instskip(NEXT) | instid1(VALU_DEP_1)
	v_clz_i32_u32_e32 v4, v6
	v_min_u32_e32 v4, 32, v4
	s_delay_alu instid0(VALU_DEP_1) | instskip(SKIP_1) | instid1(VALU_DEP_2)
	v_subrev_nc_u32_e32 v5, 28, v4
	v_sub_nc_u32_e32 v4, 29, v4
	v_lshlrev_b64 v[5:6], v5, v[6:7]
	s_delay_alu instid0(VALU_DEP_1)
	v_and_b32_e32 v6, 7, v5
; %bb.936:                              ;   in Loop: Header=BB231_488 Depth=1
	s_or_b32 exec_lo, exec_lo, s16
	v_lshlrev_b32_e32 v5, 24, v178
	s_delay_alu instid0(VALU_DEP_2) | instskip(SKIP_1) | instid1(VALU_DEP_3)
	v_lshlrev_b32_e32 v6, 20, v6
	v_lshl_add_u32 v4, v4, 23, 0x3c000000
	v_and_b32_e32 v5, 0x80000000, v5
	s_delay_alu instid0(VALU_DEP_1) | instskip(NEXT) | instid1(VALU_DEP_1)
	v_or3_b32 v6, v6, v5, v4
	v_dual_mov_b32 v4, v6 :: v_dual_mov_b32 v5, v7
.LBB231_937:                            ;   in Loop: Header=BB231_488 Depth=1
	s_or_b32 exec_lo, exec_lo, s15
.LBB231_938:                            ;   in Loop: Header=BB231_488 Depth=1
	s_delay_alu instid0(SALU_CYCLE_1)
	s_or_b32 exec_lo, exec_lo, s13
.LBB231_939:                            ;   in Loop: Header=BB231_488 Depth=1
	s_delay_alu instid0(SALU_CYCLE_1) | instskip(SKIP_2) | instid1(VALU_DEP_1)
	s_or_b32 exec_lo, exec_lo, s10
	v_lshrrev_b16 v6, 8, v178
	s_mov_b32 s13, exec_lo
	v_cmpx_ne_u16_e32 0, v6
	s_cbranch_execz .LBB231_947
; %bb.940:                              ;   in Loop: Header=BB231_488 Depth=1
	v_dual_mov_b32 v13, s9 :: v_dual_mov_b32 v12, s8
	s_mov_b32 s15, exec_lo
	v_cmpx_ne_u16_e32 0x80, v6
	s_cbranch_execz .LBB231_946
; %bb.941:                              ;   in Loop: Header=BB231_488 Depth=1
	s_mov_b32 s10, s8
	v_dual_mov_b32 v13, s11 :: v_dual_and_b32 v6, 0xffff, v6
	v_mov_b32_e32 v12, s10
	s_mov_b32 s10, exec_lo
	s_delay_alu instid0(VALU_DEP_2) | instskip(NEXT) | instid1(VALU_DEP_1)
	v_and_b32_e32 v14, 0x7f, v6
	v_cmpx_ne_u32_e32 0x7f, v14
	s_cbranch_execz .LBB231_945
; %bb.942:                              ;   in Loop: Header=BB231_488 Depth=1
	v_and_b32_e32 v6, 7, v6
	v_lshrrev_b32_e32 v12, 3, v14
	s_mov_b32 s16, exec_lo
	v_cmpx_gt_u32_e32 8, v14
; %bb.943:                              ;   in Loop: Header=BB231_488 Depth=1
	s_delay_alu instid0(VALU_DEP_3) | instskip(NEXT) | instid1(VALU_DEP_1)
	v_clz_i32_u32_e32 v12, v6
	v_min_u32_e32 v12, 32, v12
	s_delay_alu instid0(VALU_DEP_1) | instskip(SKIP_1) | instid1(VALU_DEP_2)
	v_subrev_nc_u32_e32 v13, 28, v12
	v_sub_nc_u32_e32 v12, 29, v12
	v_lshlrev_b64 v[13:14], v13, v[6:7]
	s_delay_alu instid0(VALU_DEP_1)
	v_and_b32_e32 v6, 7, v13
; %bb.944:                              ;   in Loop: Header=BB231_488 Depth=1
	s_or_b32 exec_lo, exec_lo, s16
	v_lshlrev_b32_e32 v13, 16, v178
	s_delay_alu instid0(VALU_DEP_2) | instskip(SKIP_1) | instid1(VALU_DEP_3)
	v_lshlrev_b32_e32 v6, 20, v6
	v_lshl_add_u32 v12, v12, 23, 0x3c000000
	v_and_b32_e32 v13, 0x80000000, v13
	s_delay_alu instid0(VALU_DEP_1)
	v_or3_b32 v13, v6, v13, v12
	v_mov_b32_e32 v12, v7
.LBB231_945:                            ;   in Loop: Header=BB231_488 Depth=1
	s_or_b32 exec_lo, exec_lo, s10
.LBB231_946:                            ;   in Loop: Header=BB231_488 Depth=1
	s_delay_alu instid0(SALU_CYCLE_1)
	s_or_b32 exec_lo, exec_lo, s15
.LBB231_947:                            ;   in Loop: Header=BB231_488 Depth=1
	s_delay_alu instid0(SALU_CYCLE_1) | instskip(SKIP_4) | instid1(VALU_DEP_2)
	s_or_b32 exec_lo, exec_lo, s13
	v_mov_b32_e32 v16, 0
	v_lshrrev_b32_e32 v179, 16, v178
	v_mov_b32_e32 v17, 0
	s_mov_b32 s10, exec_lo
	v_and_b32_e32 v6, 0xff, v179
	s_delay_alu instid0(VALU_DEP_2) | instskip(NEXT) | instid1(VALU_DEP_2)
	v_dual_mov_b32 v14, v16 :: v_dual_mov_b32 v15, v17
	v_cmpx_ne_u16_e32 0, v6
	s_cbranch_execz .LBB231_955
; %bb.948:                              ;   in Loop: Header=BB231_488 Depth=1
	v_bfrev_b32_e32 v14, 1
	v_mov_b32_e32 v15, 0
	s_mov_b32 s13, exec_lo
	v_cmpx_ne_u16_e32 0x80, v6
	s_cbranch_execz .LBB231_954
; %bb.949:                              ;   in Loop: Header=BB231_488 Depth=1
	v_mov_b32_e32 v14, 0x7f800001
	v_bfe_u32 v180, v178, 16, 7
	v_mov_b32_e32 v15, 0
	s_mov_b32 s15, exec_lo
	s_delay_alu instid0(VALU_DEP_2)
	v_cmpx_ne_u32_e32 0x7f, v180
	s_cbranch_execz .LBB231_953
; %bb.950:                              ;   in Loop: Header=BB231_488 Depth=1
	v_and_b32_e32 v6, 7, v179
	v_lshrrev_b32_e32 v14, 3, v180
	s_mov_b32 s16, exec_lo
	v_cmpx_gt_u32_e32 8, v180
; %bb.951:                              ;   in Loop: Header=BB231_488 Depth=1
	s_delay_alu instid0(VALU_DEP_3) | instskip(NEXT) | instid1(VALU_DEP_1)
	v_clz_i32_u32_e32 v14, v6
	v_min_u32_e32 v14, 32, v14
	s_delay_alu instid0(VALU_DEP_1) | instskip(SKIP_1) | instid1(VALU_DEP_2)
	v_subrev_nc_u32_e32 v15, 28, v14
	v_sub_nc_u32_e32 v14, 29, v14
	v_lshlrev_b64 v[26:27], v15, v[6:7]
	s_delay_alu instid0(VALU_DEP_1)
	v_and_b32_e32 v6, 7, v26
; %bb.952:                              ;   in Loop: Header=BB231_488 Depth=1
	s_or_b32 exec_lo, exec_lo, s16
	v_lshlrev_b32_e32 v15, 24, v179
	s_delay_alu instid0(VALU_DEP_2) | instskip(SKIP_1) | instid1(VALU_DEP_3)
	v_lshlrev_b32_e32 v6, 20, v6
	v_lshl_add_u32 v14, v14, 23, 0x3c000000
	v_and_b32_e32 v15, 0x80000000, v15
	s_delay_alu instid0(VALU_DEP_1) | instskip(NEXT) | instid1(VALU_DEP_1)
	v_or3_b32 v6, v6, v15, v14
	v_dual_mov_b32 v15, v7 :: v_dual_mov_b32 v14, v6
.LBB231_953:                            ;   in Loop: Header=BB231_488 Depth=1
	s_or_b32 exec_lo, exec_lo, s15
.LBB231_954:                            ;   in Loop: Header=BB231_488 Depth=1
	s_delay_alu instid0(SALU_CYCLE_1)
	s_or_b32 exec_lo, exec_lo, s13
.LBB231_955:                            ;   in Loop: Header=BB231_488 Depth=1
	s_delay_alu instid0(SALU_CYCLE_1) | instskip(NEXT) | instid1(SALU_CYCLE_1)
	s_or_b32 exec_lo, exec_lo, s10
	s_mov_b32 s13, exec_lo
	v_cmpx_lt_u32_e32 0xffffff, v178
	s_cbranch_execz .LBB231_963
; %bb.956:                              ;   in Loop: Header=BB231_488 Depth=1
	v_lshrrev_b32_e32 v179, 24, v178
	v_dual_mov_b32 v17, s9 :: v_dual_mov_b32 v16, s8
	s_mov_b32 s15, exec_lo
	s_delay_alu instid0(VALU_DEP_2)
	v_cmpx_ne_u32_e32 0x80, v179
	s_cbranch_execz .LBB231_962
; %bb.957:                              ;   in Loop: Header=BB231_488 Depth=1
	s_mov_b32 s10, s8
	v_bfe_u32 v178, v178, 24, 7
	v_dual_mov_b32 v17, s11 :: v_dual_mov_b32 v16, s10
	s_mov_b32 s10, exec_lo
	s_delay_alu instid0(VALU_DEP_2)
	v_cmpx_ne_u32_e32 0x7f, v178
	s_cbranch_execz .LBB231_961
; %bb.958:                              ;   in Loop: Header=BB231_488 Depth=1
	v_and_b32_e32 v6, 7, v179
	v_lshrrev_b32_e32 v16, 3, v178
	s_mov_b32 s16, exec_lo
	v_cmpx_gt_u32_e32 8, v178
; %bb.959:                              ;   in Loop: Header=BB231_488 Depth=1
	s_delay_alu instid0(VALU_DEP_3) | instskip(NEXT) | instid1(VALU_DEP_1)
	v_clz_i32_u32_e32 v16, v6
	v_min_u32_e32 v16, 32, v16
	s_delay_alu instid0(VALU_DEP_1) | instskip(SKIP_1) | instid1(VALU_DEP_2)
	v_subrev_nc_u32_e32 v17, 28, v16
	v_sub_nc_u32_e32 v16, 29, v16
	v_lshlrev_b64 v[26:27], v17, v[6:7]
	s_delay_alu instid0(VALU_DEP_1)
	v_and_b32_e32 v6, 7, v26
; %bb.960:                              ;   in Loop: Header=BB231_488 Depth=1
	s_or_b32 exec_lo, exec_lo, s16
	v_lshlrev_b32_e32 v17, 24, v179
	s_delay_alu instid0(VALU_DEP_2) | instskip(SKIP_1) | instid1(VALU_DEP_3)
	v_lshlrev_b32_e32 v6, 20, v6
	v_lshl_add_u32 v16, v16, 23, 0x3c000000
	v_and_b32_e32 v17, 0x80000000, v17
	s_delay_alu instid0(VALU_DEP_1)
	v_or3_b32 v17, v6, v17, v16
	v_mov_b32_e32 v16, v7
.LBB231_961:                            ;   in Loop: Header=BB231_488 Depth=1
	s_or_b32 exec_lo, exec_lo, s10
.LBB231_962:                            ;   in Loop: Header=BB231_488 Depth=1
	s_delay_alu instid0(SALU_CYCLE_1)
	s_or_b32 exec_lo, exec_lo, s15
.LBB231_963:                            ;   in Loop: Header=BB231_488 Depth=1
	s_delay_alu instid0(SALU_CYCLE_1) | instskip(SKIP_4) | instid1(VALU_DEP_4)
	s_or_b32 exec_lo, exec_lo, s13
	v_or_b32_e32 v5, v13, v5
	v_or_b32_e32 v4, v12, v4
	;; [unrolled: 1-line block ×4, first 2 shown]
	v_mul_f32_e32 v12, v66, v5
	s_delay_alu instid0(VALU_DEP_4) | instskip(NEXT) | instid1(VALU_DEP_4)
	v_mul_f32_e32 v6, v66, v4
	v_mul_f32_e32 v4, v66, v13
	s_delay_alu instid0(VALU_DEP_4)
	v_mul_f32_e32 v5, v66, v14
	s_and_saveexec_b32 s0, vcc_lo
	s_cbranch_execz .LBB231_486
; %bb.964:                              ;   in Loop: Header=BB231_488 Depth=1
	v_cmp_lt_i32_e32 vcc_lo, v71, v47
	v_cndmask_b32_e32 v6, 0, v6, vcc_lo
	v_cmp_lt_i32_e32 vcc_lo, v82, v47
	v_cndmask_b32_e32 v12, 0, v12, vcc_lo
	;; [unrolled: 2-line block ×4, first 2 shown]
	s_branch .LBB231_486
.LBB231_965:
	s_or_b32 exec_lo, exec_lo, s5
.LBB231_966:
	s_delay_alu instid0(SALU_CYCLE_1)
	s_or_b32 exec_lo, exec_lo, s3
	ds_bpermute_b32 v0, v25, v52
	ds_bpermute_b32 v1, v25, v51
	s_waitcnt lgkmcnt(0)
	s_waitcnt_vscnt null, 0x0
	s_barrier
	buffer_gl0_inv
	ds_bpermute_b32 v2, v25, v50
	ds_bpermute_b32 v3, v25, v49
	;; [unrolled: 1-line block ×12, first 2 shown]
	s_load_b32 s0, s[6:7], 0x0
	v_dual_add_f32 v0, v52, v0 :: v_dual_add_f32 v1, v51, v1
	s_waitcnt lgkmcnt(0)
	v_dual_add_f32 v2, v50, v2 :: v_dual_add_f32 v3, v49, v3
	ds_bpermute_b32 v14, v28, v0
	ds_bpermute_b32 v15, v28, v1
	v_dual_add_f32 v4, v48, v4 :: v_dual_add_f32 v5, v39, v5
	v_dual_add_f32 v6, v38, v6 :: v_dual_add_f32 v7, v37, v7
	ds_bpermute_b32 v16, v28, v2
	v_dual_add_f32 v8, v36, v8 :: v_dual_add_f32 v9, v35, v9
	v_dual_add_f32 v10, v34, v10 :: v_dual_add_f32 v11, v33, v11
	;; [unrolled: 1-line block ×3, first 2 shown]
	ds_bpermute_b32 v17, v28, v3
	ds_bpermute_b32 v18, v28, v4
	;; [unrolled: 1-line block ×7, first 2 shown]
	s_waitcnt lgkmcnt(8)
	v_dual_add_f32 v0, v0, v14 :: v_dual_add_f32 v1, v1, v15
	s_clause 0x1
	scratch_load_b32 v14, off, s32 offset:356
	scratch_load_b32 v15, off, s32 offset:368
	ds_bpermute_b32 v25, v28, v10
	ds_bpermute_b32 v26, v28, v11
	;; [unrolled: 1-line block ×4, first 2 shown]
	s_waitcnt lgkmcnt(10)
	v_dual_add_f32 v2, v2, v16 :: v_dual_add_f32 v3, v3, v17
	s_waitcnt lgkmcnt(8)
	v_dual_add_f32 v4, v4, v18 :: v_dual_add_f32 v5, v5, v19
	;; [unrolled: 2-line block ×6, first 2 shown]
	s_waitcnt vmcnt(1)
	v_and_b32_e32 v16, 0x3c3, v14
	v_lshrrev_b32_e32 v14, 2, v24
	s_waitcnt vmcnt(0)
	v_mad_u32_u24 v15, 0x1c0, v15, s0
	s_delay_alu instid0(VALU_DEP_3) | instskip(NEXT) | instid1(VALU_DEP_3)
	v_cmp_eq_u32_e32 vcc_lo, 64, v16
	v_lshlrev_b32_e32 v16, 2, v14
	s_and_saveexec_b32 s0, vcc_lo
	s_cbranch_execz .LBB231_968
; %bb.967:
	s_delay_alu instid0(VALU_DEP_1)
	v_add3_u32 v17, v15, v16, 0xfffffc80
	ds_store_2addr_b32 v17, v0, v1 offset1:8
	ds_store_2addr_b32 v17, v2, v3 offset0:16 offset1:24
	ds_store_2addr_b32 v17, v4, v5 offset0:32 offset1:40
	;; [unrolled: 1-line block ×6, first 2 shown]
.LBB231_968:
	s_or_b32 exec_lo, exec_lo, s0
	scratch_load_b32 v18, off, s32 offset:356 ; 4-byte Folded Reload
	v_cmp_eq_u32_e32 vcc_lo, 0, v29
	s_mov_b32 s3, exec_lo
	s_waitcnt vmcnt(0) lgkmcnt(0)
	s_barrier
	buffer_gl0_inv
	v_cmpx_gt_u32_e32 64, v18
	s_cbranch_execz .LBB231_985
; %bb.969:
	s_and_saveexec_b32 s0, vcc_lo
	s_cbranch_execnz .LBB231_1007
; %bb.970:
	s_or_b32 exec_lo, exec_lo, s0
	s_and_saveexec_b32 s0, vcc_lo
	s_cbranch_execnz .LBB231_1008
.LBB231_971:
	s_or_b32 exec_lo, exec_lo, s0
	s_and_saveexec_b32 s0, vcc_lo
	s_cbranch_execnz .LBB231_1009
.LBB231_972:
	s_or_b32 exec_lo, exec_lo, s0
	s_and_saveexec_b32 s0, vcc_lo
	s_cbranch_execnz .LBB231_1010
.LBB231_973:
	s_or_b32 exec_lo, exec_lo, s0
	s_and_saveexec_b32 s0, vcc_lo
	s_cbranch_execnz .LBB231_1011
.LBB231_974:
	s_or_b32 exec_lo, exec_lo, s0
	s_and_saveexec_b32 s0, vcc_lo
	s_cbranch_execnz .LBB231_1012
.LBB231_975:
	s_or_b32 exec_lo, exec_lo, s0
	s_and_saveexec_b32 s0, vcc_lo
	s_cbranch_execnz .LBB231_1013
.LBB231_976:
	s_or_b32 exec_lo, exec_lo, s0
	s_and_saveexec_b32 s0, vcc_lo
	s_cbranch_execnz .LBB231_1014
.LBB231_977:
	s_or_b32 exec_lo, exec_lo, s0
	s_and_saveexec_b32 s0, vcc_lo
	s_cbranch_execnz .LBB231_1015
.LBB231_978:
	s_or_b32 exec_lo, exec_lo, s0
	s_and_saveexec_b32 s0, vcc_lo
	s_cbranch_execnz .LBB231_1016
.LBB231_979:
	s_or_b32 exec_lo, exec_lo, s0
	s_and_saveexec_b32 s0, vcc_lo
	s_cbranch_execnz .LBB231_1017
.LBB231_980:
	s_or_b32 exec_lo, exec_lo, s0
	s_and_saveexec_b32 s0, vcc_lo
	s_cbranch_execnz .LBB231_1018
.LBB231_981:
	s_or_b32 exec_lo, exec_lo, s0
	s_and_saveexec_b32 s0, vcc_lo
	s_cbranch_execnz .LBB231_1019
.LBB231_982:
	s_or_b32 exec_lo, exec_lo, s0
	s_and_saveexec_b32 s0, vcc_lo
	s_cbranch_execz .LBB231_984
.LBB231_983:
	v_lshl_add_u32 v17, v14, 2, v15
	ds_load_b32 v17, v17 offset:416
	s_waitcnt lgkmcnt(0)
	v_add_f32_e32 v13, v17, v13
.LBB231_984:
	s_or_b32 exec_lo, exec_lo, s0
.LBB231_985:
	s_delay_alu instid0(SALU_CYCLE_1)
	s_or_b32 exec_lo, exec_lo, s3
	v_and_b32_e32 v17, 0x3e3, v18
	s_mov_b32 s3, exec_lo
	s_barrier
	buffer_gl0_inv
	v_cmpx_eq_u32_e32 32, v17
	s_cbranch_execz .LBB231_987
; %bb.986:
	v_add3_u32 v16, v15, v16, 0xfffffe40
	ds_store_2addr_b32 v16, v0, v1 offset1:8
	ds_store_2addr_b32 v16, v2, v3 offset0:16 offset1:24
	ds_store_2addr_b32 v16, v4, v5 offset0:32 offset1:40
	;; [unrolled: 1-line block ×6, first 2 shown]
.LBB231_987:
	s_or_b32 exec_lo, exec_lo, s3
	s_delay_alu instid0(SALU_CYCLE_1)
	s_mov_b32 s3, exec_lo
	s_waitcnt lgkmcnt(0)
	s_barrier
	buffer_gl0_inv
	v_cmpx_gt_u32_e32 32, v18
	s_cbranch_execz .LBB231_1004
; %bb.988:
	v_lshl_add_u32 v14, v14, 2, v15
	s_and_saveexec_b32 s0, vcc_lo
	s_cbranch_execnz .LBB231_1020
; %bb.989:
	s_or_b32 exec_lo, exec_lo, s0
	s_and_saveexec_b32 s0, vcc_lo
	s_cbranch_execnz .LBB231_1021
.LBB231_990:
	s_or_b32 exec_lo, exec_lo, s0
	s_and_saveexec_b32 s0, vcc_lo
	s_cbranch_execnz .LBB231_1022
.LBB231_991:
	s_or_b32 exec_lo, exec_lo, s0
	s_and_saveexec_b32 s0, vcc_lo
	s_cbranch_execnz .LBB231_1023
.LBB231_992:
	s_or_b32 exec_lo, exec_lo, s0
	s_and_saveexec_b32 s0, vcc_lo
	s_cbranch_execnz .LBB231_1024
.LBB231_993:
	s_or_b32 exec_lo, exec_lo, s0
	s_and_saveexec_b32 s0, vcc_lo
	s_cbranch_execnz .LBB231_1025
.LBB231_994:
	s_or_b32 exec_lo, exec_lo, s0
	s_and_saveexec_b32 s0, vcc_lo
	s_cbranch_execnz .LBB231_1026
.LBB231_995:
	s_or_b32 exec_lo, exec_lo, s0
	s_and_saveexec_b32 s0, vcc_lo
	s_cbranch_execnz .LBB231_1027
.LBB231_996:
	s_or_b32 exec_lo, exec_lo, s0
	s_and_saveexec_b32 s0, vcc_lo
	s_cbranch_execnz .LBB231_1028
.LBB231_997:
	s_or_b32 exec_lo, exec_lo, s0
	s_and_saveexec_b32 s0, vcc_lo
	s_cbranch_execnz .LBB231_1029
.LBB231_998:
	s_or_b32 exec_lo, exec_lo, s0
	s_and_saveexec_b32 s0, vcc_lo
	s_cbranch_execnz .LBB231_1030
.LBB231_999:
	s_or_b32 exec_lo, exec_lo, s0
	s_and_saveexec_b32 s0, vcc_lo
	s_cbranch_execnz .LBB231_1031
.LBB231_1000:
	s_or_b32 exec_lo, exec_lo, s0
	s_and_saveexec_b32 s0, vcc_lo
	s_cbranch_execnz .LBB231_1032
.LBB231_1001:
	s_or_b32 exec_lo, exec_lo, s0
	s_and_saveexec_b32 s0, vcc_lo
	s_cbranch_execz .LBB231_1003
.LBB231_1002:
	ds_load_b32 v14, v14 offset:416
	s_waitcnt lgkmcnt(0)
	v_add_f32_e32 v13, v14, v13
.LBB231_1003:
	s_or_b32 exec_lo, exec_lo, s0
.LBB231_1004:
	s_delay_alu instid0(SALU_CYCLE_1)
	s_or_b32 exec_lo, exec_lo, s3
	v_cmp_eq_u32_e32 vcc_lo, 0, v17
	s_barrier
	buffer_gl0_inv
	s_and_b32 exec_lo, exec_lo, vcc_lo
	s_cbranch_execz .LBB231_1006
; %bb.1005:
	s_clause 0x1
	scratch_load_b32 v14, off, s32 offset:376
	scratch_load_b32 v15, off, s32 offset:372
	s_mul_i32 s0, s2, 0x70
	s_mul_i32 s2, s4, s1
	;; [unrolled: 1-line block ×3, first 2 shown]
	s_ashr_i32 s3, s2, 31
	s_ashr_i32 s5, s4, 31
	;; [unrolled: 1-line block ×3, first 2 shown]
	s_lshl_b64 s[2:3], s[2:3], 2
	s_lshl_b64 s[4:5], s[4:5], 2
	;; [unrolled: 1-line block ×3, first 2 shown]
	s_add_u32 s2, s4, s2
	s_addc_u32 s3, s5, s3
	s_add_u32 s0, s2, s0
	s_addc_u32 s1, s3, s1
	s_waitcnt vmcnt(1)
	v_add_co_u32 v14, vcc_lo, s0, v14
	s_waitcnt vmcnt(0)
	v_add_co_ci_u32_e32 v15, vcc_lo, s1, v15, vcc_lo
	s_delay_alu instid0(VALU_DEP_2) | instskip(NEXT) | instid1(VALU_DEP_2)
	v_add_co_u32 v14, vcc_lo, v14, v18
	v_add_co_ci_u32_e32 v15, vcc_lo, 0, v15, vcc_lo
	s_clause 0xd
	flat_store_b32 v[14:15], v0
	flat_store_b32 v[14:15], v1 offset:32
	flat_store_b32 v[14:15], v2 offset:64
	;; [unrolled: 1-line block ×13, first 2 shown]
.LBB231_1006:
	s_or_b32 exec_lo, exec_lo, s20
	s_clause 0x1f
	scratch_load_b32 v191, off, s32 offset:8
	scratch_load_b32 v190, off, s32 offset:12
	;; [unrolled: 1-line block ×32, first 2 shown]
	s_clause 0x1f
	scratch_load_b32 v127, off, s32 offset:136
	scratch_load_b32 v126, off, s32 offset:140
	;; [unrolled: 1-line block ×32, first 2 shown]
	s_clause 0xf
	scratch_load_b32 v63, off, s32 offset:264
	scratch_load_b32 v62, off, s32 offset:268
	scratch_load_b32 v61, off, s32 offset:272
	scratch_load_b32 v60, off, s32 offset:276
	scratch_load_b32 v59, off, s32 offset:280
	scratch_load_b32 v58, off, s32 offset:284
	scratch_load_b32 v57, off, s32 offset:288
	scratch_load_b32 v56, off, s32 offset:292
	scratch_load_b32 v47, off, s32 offset:296
	scratch_load_b32 v46, off, s32 offset:300
	scratch_load_b32 v45, off, s32 offset:304
	scratch_load_b32 v44, off, s32 offset:308
	scratch_load_b32 v43, off, s32 offset:312
	scratch_load_b32 v42, off, s32 offset:316
	scratch_load_b32 v41, off, s32 offset:320
	scratch_load_b32 v40, off, s32 offset:324
	s_waitcnt vmcnt(0) lgkmcnt(0)
	s_setpc_b64 s[30:31]
.LBB231_1007:
	v_lshl_add_u32 v17, v14, 2, v15
	ds_load_b32 v17, v17
	s_waitcnt lgkmcnt(0)
	v_add_f32_e32 v0, v17, v0
	s_or_b32 exec_lo, exec_lo, s0
	s_and_saveexec_b32 s0, vcc_lo
	s_cbranch_execz .LBB231_971
.LBB231_1008:
	v_lshl_add_u32 v17, v14, 2, v15
	ds_load_b32 v17, v17 offset:32
	s_waitcnt lgkmcnt(0)
	v_add_f32_e32 v1, v17, v1
	s_or_b32 exec_lo, exec_lo, s0
	s_and_saveexec_b32 s0, vcc_lo
	s_cbranch_execz .LBB231_972
.LBB231_1009:
	v_lshl_add_u32 v17, v14, 2, v15
	ds_load_b32 v17, v17 offset:64
	s_waitcnt lgkmcnt(0)
	v_add_f32_e32 v2, v17, v2
	s_or_b32 exec_lo, exec_lo, s0
	s_and_saveexec_b32 s0, vcc_lo
	s_cbranch_execz .LBB231_973
.LBB231_1010:
	v_lshl_add_u32 v17, v14, 2, v15
	ds_load_b32 v17, v17 offset:96
	s_waitcnt lgkmcnt(0)
	v_add_f32_e32 v3, v17, v3
	s_or_b32 exec_lo, exec_lo, s0
	s_and_saveexec_b32 s0, vcc_lo
	s_cbranch_execz .LBB231_974
.LBB231_1011:
	v_lshl_add_u32 v17, v14, 2, v15
	ds_load_b32 v17, v17 offset:128
	s_waitcnt lgkmcnt(0)
	v_add_f32_e32 v4, v17, v4
	s_or_b32 exec_lo, exec_lo, s0
	s_and_saveexec_b32 s0, vcc_lo
	s_cbranch_execz .LBB231_975
.LBB231_1012:
	v_lshl_add_u32 v17, v14, 2, v15
	ds_load_b32 v17, v17 offset:160
	s_waitcnt lgkmcnt(0)
	v_add_f32_e32 v5, v17, v5
	s_or_b32 exec_lo, exec_lo, s0
	s_and_saveexec_b32 s0, vcc_lo
	s_cbranch_execz .LBB231_976
.LBB231_1013:
	v_lshl_add_u32 v17, v14, 2, v15
	ds_load_b32 v17, v17 offset:192
	s_waitcnt lgkmcnt(0)
	v_add_f32_e32 v6, v17, v6
	s_or_b32 exec_lo, exec_lo, s0
	s_and_saveexec_b32 s0, vcc_lo
	s_cbranch_execz .LBB231_977
.LBB231_1014:
	v_lshl_add_u32 v17, v14, 2, v15
	ds_load_b32 v17, v17 offset:224
	s_waitcnt lgkmcnt(0)
	v_add_f32_e32 v7, v17, v7
	s_or_b32 exec_lo, exec_lo, s0
	s_and_saveexec_b32 s0, vcc_lo
	s_cbranch_execz .LBB231_978
.LBB231_1015:
	v_lshl_add_u32 v17, v14, 2, v15
	ds_load_b32 v17, v17 offset:256
	s_waitcnt lgkmcnt(0)
	v_add_f32_e32 v8, v17, v8
	s_or_b32 exec_lo, exec_lo, s0
	s_and_saveexec_b32 s0, vcc_lo
	s_cbranch_execz .LBB231_979
.LBB231_1016:
	v_lshl_add_u32 v17, v14, 2, v15
	ds_load_b32 v17, v17 offset:288
	s_waitcnt lgkmcnt(0)
	v_add_f32_e32 v9, v17, v9
	s_or_b32 exec_lo, exec_lo, s0
	s_and_saveexec_b32 s0, vcc_lo
	s_cbranch_execz .LBB231_980
.LBB231_1017:
	v_lshl_add_u32 v17, v14, 2, v15
	ds_load_b32 v17, v17 offset:320
	s_waitcnt lgkmcnt(0)
	v_add_f32_e32 v10, v17, v10
	s_or_b32 exec_lo, exec_lo, s0
	s_and_saveexec_b32 s0, vcc_lo
	s_cbranch_execz .LBB231_981
.LBB231_1018:
	v_lshl_add_u32 v17, v14, 2, v15
	ds_load_b32 v17, v17 offset:352
	s_waitcnt lgkmcnt(0)
	v_add_f32_e32 v11, v17, v11
	s_or_b32 exec_lo, exec_lo, s0
	s_and_saveexec_b32 s0, vcc_lo
	s_cbranch_execz .LBB231_982
.LBB231_1019:
	v_lshl_add_u32 v17, v14, 2, v15
	ds_load_b32 v17, v17 offset:384
	s_waitcnt lgkmcnt(0)
	v_add_f32_e32 v12, v17, v12
	s_or_b32 exec_lo, exec_lo, s0
	s_and_saveexec_b32 s0, vcc_lo
	s_cbranch_execnz .LBB231_983
	s_branch .LBB231_984
.LBB231_1020:
	ds_load_b32 v15, v14
	s_waitcnt lgkmcnt(0)
	v_add_f32_e32 v0, v15, v0
	s_or_b32 exec_lo, exec_lo, s0
	s_and_saveexec_b32 s0, vcc_lo
	s_cbranch_execz .LBB231_990
.LBB231_1021:
	ds_load_b32 v15, v14 offset:32
	s_waitcnt lgkmcnt(0)
	v_add_f32_e32 v1, v15, v1
	s_or_b32 exec_lo, exec_lo, s0
	s_and_saveexec_b32 s0, vcc_lo
	s_cbranch_execz .LBB231_991
.LBB231_1022:
	ds_load_b32 v15, v14 offset:64
	s_waitcnt lgkmcnt(0)
	v_add_f32_e32 v2, v15, v2
	s_or_b32 exec_lo, exec_lo, s0
	s_and_saveexec_b32 s0, vcc_lo
	s_cbranch_execz .LBB231_992
.LBB231_1023:
	ds_load_b32 v15, v14 offset:96
	s_waitcnt lgkmcnt(0)
	v_add_f32_e32 v3, v15, v3
	s_or_b32 exec_lo, exec_lo, s0
	s_and_saveexec_b32 s0, vcc_lo
	s_cbranch_execz .LBB231_993
.LBB231_1024:
	ds_load_b32 v15, v14 offset:128
	s_waitcnt lgkmcnt(0)
	v_add_f32_e32 v4, v15, v4
	s_or_b32 exec_lo, exec_lo, s0
	s_and_saveexec_b32 s0, vcc_lo
	s_cbranch_execz .LBB231_994
.LBB231_1025:
	ds_load_b32 v15, v14 offset:160
	s_waitcnt lgkmcnt(0)
	v_add_f32_e32 v5, v15, v5
	s_or_b32 exec_lo, exec_lo, s0
	s_and_saveexec_b32 s0, vcc_lo
	s_cbranch_execz .LBB231_995
.LBB231_1026:
	ds_load_b32 v15, v14 offset:192
	s_waitcnt lgkmcnt(0)
	v_add_f32_e32 v6, v15, v6
	s_or_b32 exec_lo, exec_lo, s0
	s_and_saveexec_b32 s0, vcc_lo
	s_cbranch_execz .LBB231_996
.LBB231_1027:
	ds_load_b32 v15, v14 offset:224
	s_waitcnt lgkmcnt(0)
	v_add_f32_e32 v7, v15, v7
	s_or_b32 exec_lo, exec_lo, s0
	s_and_saveexec_b32 s0, vcc_lo
	s_cbranch_execz .LBB231_997
.LBB231_1028:
	ds_load_b32 v15, v14 offset:256
	s_waitcnt lgkmcnt(0)
	v_add_f32_e32 v8, v15, v8
	s_or_b32 exec_lo, exec_lo, s0
	s_and_saveexec_b32 s0, vcc_lo
	s_cbranch_execz .LBB231_998
.LBB231_1029:
	ds_load_b32 v15, v14 offset:288
	s_waitcnt lgkmcnt(0)
	v_add_f32_e32 v9, v15, v9
	s_or_b32 exec_lo, exec_lo, s0
	s_and_saveexec_b32 s0, vcc_lo
	s_cbranch_execz .LBB231_999
.LBB231_1030:
	ds_load_b32 v15, v14 offset:320
	s_waitcnt lgkmcnt(0)
	v_add_f32_e32 v10, v15, v10
	s_or_b32 exec_lo, exec_lo, s0
	s_and_saveexec_b32 s0, vcc_lo
	s_cbranch_execz .LBB231_1000
.LBB231_1031:
	ds_load_b32 v15, v14 offset:352
	s_waitcnt lgkmcnt(0)
	v_add_f32_e32 v11, v15, v11
	s_or_b32 exec_lo, exec_lo, s0
	s_and_saveexec_b32 s0, vcc_lo
	s_cbranch_execz .LBB231_1001
.LBB231_1032:
	ds_load_b32 v15, v14 offset:384
	s_waitcnt lgkmcnt(0)
	v_add_f32_e32 v12, v15, v12
	s_or_b32 exec_lo, exec_lo, s0
	s_and_saveexec_b32 s0, vcc_lo
	s_cbranch_execnz .LBB231_1002
	s_branch .LBB231_1003
.Lfunc_end231:
	.size	_ZN4vllm22paged_attention_kernelIfhLi112ELi16ELi128ELNS_18Fp8KVCacheDataTypeE1ELb1ELi512EEEvPfS2_PT_PKS3_PKT0_S9_ifPKiSB_iPKfiiiSD_SD_iiiii, .Lfunc_end231-_ZN4vllm22paged_attention_kernelIfhLi112ELi16ELi128ELNS_18Fp8KVCacheDataTypeE1ELb1ELi512EEEvPfS2_PT_PKS3_PKT0_S9_ifPKiSB_iPKfiiiSD_SD_iiiii
                                        ; -- End function
	.section	.AMDGPU.csdata,"",@progbits
; Function info:
; codeLenInByte = 37732
; NumSgprs: 35
; NumVgprs: 192
; ScratchSize: 448
; MemoryBound: 0
	.section	.text._ZN4vllm25paged_attention_v2_kernelIfhLi112ELi16ELi128ELNS_18Fp8KVCacheDataTypeE1ELb1ELi512EEEvPfS2_PT_PKS3_PKT0_S9_ifPKiSB_iPKfiiiSD_SD_iiiii,"axG",@progbits,_ZN4vllm25paged_attention_v2_kernelIfhLi112ELi16ELi128ELNS_18Fp8KVCacheDataTypeE1ELb1ELi512EEEvPfS2_PT_PKS3_PKT0_S9_ifPKiSB_iPKfiiiSD_SD_iiiii,comdat
	.protected	_ZN4vllm25paged_attention_v2_kernelIfhLi112ELi16ELi128ELNS_18Fp8KVCacheDataTypeE1ELb1ELi512EEEvPfS2_PT_PKS3_PKT0_S9_ifPKiSB_iPKfiiiSD_SD_iiiii ; -- Begin function _ZN4vllm25paged_attention_v2_kernelIfhLi112ELi16ELi128ELNS_18Fp8KVCacheDataTypeE1ELb1ELi512EEEvPfS2_PT_PKS3_PKT0_S9_ifPKiSB_iPKfiiiSD_SD_iiiii
	.globl	_ZN4vllm25paged_attention_v2_kernelIfhLi112ELi16ELi128ELNS_18Fp8KVCacheDataTypeE1ELb1ELi512EEEvPfS2_PT_PKS3_PKT0_S9_ifPKiSB_iPKfiiiSD_SD_iiiii
	.p2align	8
	.type	_ZN4vllm25paged_attention_v2_kernelIfhLi112ELi16ELi128ELNS_18Fp8KVCacheDataTypeE1ELb1ELi512EEEvPfS2_PT_PKS3_PKT0_S9_ifPKiSB_iPKfiiiSD_SD_iiiii,@function
_ZN4vllm25paged_attention_v2_kernelIfhLi112ELi16ELi128ELNS_18Fp8KVCacheDataTypeE1ELb1ELi512EEEvPfS2_PT_PKS3_PKT0_S9_ifPKiSB_iPKfiiiSD_SD_iiiii: ; @_ZN4vllm25paged_attention_v2_kernelIfhLi112ELi16ELi128ELNS_18Fp8KVCacheDataTypeE1ELb1ELi512EEEvPfS2_PT_PKS3_PKT0_S9_ifPKiSB_iPKfiiiSD_SD_iiiii
; %bb.0:
	s_mov_b32 s12, s13
	s_clause 0x7
	s_load_b128 s[4:7], s[0:1], 0x78
	s_load_b32 s8, s[0:1], 0x88
	s_load_b256 s[24:31], s[0:1], 0x0
	s_load_b256 s[36:43], s[0:1], 0x20
	s_load_b64 s[2:3], s[0:1], 0x40
	s_load_b64 s[10:11], s[0:1], 0x50
	s_load_b32 s13, s[0:1], 0x48
	s_load_b256 s[16:23], s[0:1], 0x58
	s_mov_b32 s32, 0
	v_mov_b32_e32 v31, v0
	s_waitcnt lgkmcnt(0)
	v_dual_mov_b32 v1, s7 :: v_dual_mov_b32 v2, s8
	v_dual_mov_b32 v0, s24 :: v_dual_mov_b32 v3, s27
	;; [unrolled: 1-line block ×3, first 2 shown]
	v_mov_b32_e32 v6, s30
	scratch_store_b64 off, v[1:2], s32
	v_dual_mov_b32 v1, s25 :: v_dual_mov_b32 v2, s26
	v_dual_mov_b32 v7, s31 :: v_dual_mov_b32 v8, s36
	;; [unrolled: 1-line block ×13, first 2 shown]
	s_add_u32 s8, s0, 0x90
	s_addc_u32 s9, s1, 0
	s_mov_b32 s13, s14
	s_mov_b32 s14, s15
	;; [unrolled: 1-line block ×3, first 2 shown]
	s_getpc_b64 s[0:1]
	s_add_u32 s0, s0, _ZN4vllm22paged_attention_kernelIfhLi112ELi16ELi128ELNS_18Fp8KVCacheDataTypeE1ELb1ELi512EEEvPfS2_PT_PKS3_PKT0_S9_ifPKiSB_iPKfiiiSD_SD_iiiii@rel32@lo+4
	s_addc_u32 s1, s1, _ZN4vllm22paged_attention_kernelIfhLi112ELi16ELi128ELNS_18Fp8KVCacheDataTypeE1ELb1ELi512EEEvPfS2_PT_PKS3_PKT0_S9_ifPKiSB_iPKfiiiSD_SD_iiiii@rel32@hi+12
	s_delay_alu instid0(SALU_CYCLE_1)
	s_swappc_b64 s[30:31], s[0:1]
	s_endpgm
	.section	.rodata,"a",@progbits
	.p2align	6, 0x0
	.amdhsa_kernel _ZN4vllm25paged_attention_v2_kernelIfhLi112ELi16ELi128ELNS_18Fp8KVCacheDataTypeE1ELb1ELi512EEEvPfS2_PT_PKS3_PKT0_S9_ifPKiSB_iPKfiiiSD_SD_iiiii
		.amdhsa_group_segment_fixed_size 480
		.amdhsa_private_segment_fixed_size 448
		.amdhsa_kernarg_size 400
		.amdhsa_user_sgpr_count 13
		.amdhsa_user_sgpr_dispatch_ptr 0
		.amdhsa_user_sgpr_queue_ptr 0
		.amdhsa_user_sgpr_kernarg_segment_ptr 1
		.amdhsa_user_sgpr_dispatch_id 0
		.amdhsa_user_sgpr_private_segment_size 0
		.amdhsa_wavefront_size32 1
		.amdhsa_uses_dynamic_stack 0
		.amdhsa_enable_private_segment 1
		.amdhsa_system_sgpr_workgroup_id_x 1
		.amdhsa_system_sgpr_workgroup_id_y 1
		.amdhsa_system_sgpr_workgroup_id_z 1
		.amdhsa_system_sgpr_workgroup_info 0
		.amdhsa_system_vgpr_workitem_id 0
		.amdhsa_next_free_vgpr 192
		.amdhsa_next_free_sgpr 44
		.amdhsa_reserve_vcc 1
		.amdhsa_float_round_mode_32 0
		.amdhsa_float_round_mode_16_64 0
		.amdhsa_float_denorm_mode_32 3
		.amdhsa_float_denorm_mode_16_64 3
		.amdhsa_dx10_clamp 1
		.amdhsa_ieee_mode 1
		.amdhsa_fp16_overflow 0
		.amdhsa_workgroup_processor_mode 1
		.amdhsa_memory_ordered 1
		.amdhsa_forward_progress 0
		.amdhsa_shared_vgpr_count 0
		.amdhsa_exception_fp_ieee_invalid_op 0
		.amdhsa_exception_fp_denorm_src 0
		.amdhsa_exception_fp_ieee_div_zero 0
		.amdhsa_exception_fp_ieee_overflow 0
		.amdhsa_exception_fp_ieee_underflow 0
		.amdhsa_exception_fp_ieee_inexact 0
		.amdhsa_exception_int_div_zero 0
	.end_amdhsa_kernel
	.section	.text._ZN4vllm25paged_attention_v2_kernelIfhLi112ELi16ELi128ELNS_18Fp8KVCacheDataTypeE1ELb1ELi512EEEvPfS2_PT_PKS3_PKT0_S9_ifPKiSB_iPKfiiiSD_SD_iiiii,"axG",@progbits,_ZN4vllm25paged_attention_v2_kernelIfhLi112ELi16ELi128ELNS_18Fp8KVCacheDataTypeE1ELb1ELi512EEEvPfS2_PT_PKS3_PKT0_S9_ifPKiSB_iPKfiiiSD_SD_iiiii,comdat
.Lfunc_end232:
	.size	_ZN4vllm25paged_attention_v2_kernelIfhLi112ELi16ELi128ELNS_18Fp8KVCacheDataTypeE1ELb1ELi512EEEvPfS2_PT_PKS3_PKT0_S9_ifPKiSB_iPKfiiiSD_SD_iiiii, .Lfunc_end232-_ZN4vllm25paged_attention_v2_kernelIfhLi112ELi16ELi128ELNS_18Fp8KVCacheDataTypeE1ELb1ELi512EEEvPfS2_PT_PKS3_PKT0_S9_ifPKiSB_iPKfiiiSD_SD_iiiii
                                        ; -- End function
	.section	.AMDGPU.csdata,"",@progbits
; Kernel info:
; codeLenInByte = 280
; NumSgprs: 46
; NumVgprs: 192
; ScratchSize: 448
; MemoryBound: 0
; FloatMode: 240
; IeeeMode: 1
; LDSByteSize: 480 bytes/workgroup (compile time only)
; SGPRBlocks: 5
; VGPRBlocks: 23
; NumSGPRsForWavesPerEU: 46
; NumVGPRsForWavesPerEU: 192
; Occupancy: 8
; WaveLimiterHint : 1
; COMPUTE_PGM_RSRC2:SCRATCH_EN: 1
; COMPUTE_PGM_RSRC2:USER_SGPR: 13
; COMPUTE_PGM_RSRC2:TRAP_HANDLER: 0
; COMPUTE_PGM_RSRC2:TGID_X_EN: 1
; COMPUTE_PGM_RSRC2:TGID_Y_EN: 1
; COMPUTE_PGM_RSRC2:TGID_Z_EN: 1
; COMPUTE_PGM_RSRC2:TIDIG_COMP_CNT: 0
	.text
	.p2align	2                               ; -- Begin function _ZN4vllm22paged_attention_kernelIfhLi120ELi16ELi128ELNS_18Fp8KVCacheDataTypeE1ELb1ELi512EEEvPfS2_PT_PKS3_PKT0_S9_ifPKiSB_iPKfiiiSD_SD_iiiii
	.type	_ZN4vllm22paged_attention_kernelIfhLi120ELi16ELi128ELNS_18Fp8KVCacheDataTypeE1ELb1ELi512EEEvPfS2_PT_PKS3_PKT0_S9_ifPKiSB_iPKfiiiSD_SD_iiiii,@function
_ZN4vllm22paged_attention_kernelIfhLi120ELi16ELi128ELNS_18Fp8KVCacheDataTypeE1ELb1ELi512EEEvPfS2_PT_PKS3_PKT0_S9_ifPKiSB_iPKfiiiSD_SD_iiiii: ; @_ZN4vllm22paged_attention_kernelIfhLi120ELi16ELi128ELNS_18Fp8KVCacheDataTypeE1ELb1ELi512EEEvPfS2_PT_PKS3_PKT0_S9_ifPKiSB_iPKfiiiSD_SD_iiiii
; %bb.0:
	s_waitcnt vmcnt(0) expcnt(0) lgkmcnt(0)
	s_clause 0x1f
	scratch_store_b32 off, v40, s32 offset:324
	; meta instruction
	scratch_store_b32 off, v41, s32 offset:320
	; meta instruction
	;; [unrolled: 2-line block ×31, first 2 shown]
	scratch_store_b32 off, v95, s32 offset:200
	s_clause 0x1f
	scratch_store_b32 off, v104, s32 offset:196
	; meta instruction
	scratch_store_b32 off, v105, s32 offset:192
	; meta instruction
	;; [unrolled: 2-line block ×31, first 2 shown]
	scratch_store_b32 off, v159, s32 offset:72
	s_clause 0xf
	scratch_store_b32 off, v168, s32 offset:68
	; meta instruction
	scratch_store_b32 off, v169, s32 offset:64
	; meta instruction
	;; [unrolled: 2-line block ×15, first 2 shown]
	scratch_store_b32 off, v191, s32 offset:8
	s_mov_b32 s10, s13
	s_ashr_i32 s11, s13, 31
	s_clause 0x2
	scratch_store_b64 off, v[26:27], s32 offset:360
	scratch_store_b64 off, v[24:25], s32 offset:368
	scratch_store_b32 off, v22, s32 offset:352
	s_lshl_b64 s[0:1], s[10:11], 2
	v_dual_mov_b32 v27, v1 :: v_dual_mov_b32 v32, v0
	v_add_co_u32 v0, vcc_lo, v16, s0
	v_add_co_ci_u32_e32 v1, vcc_lo, s1, v17, vcc_lo
	s_clause 0x1
	scratch_store_b32 off, v5, s32 offset:400
	scratch_store_b32 off, v4, s32 offset:404
	v_dual_mov_b32 v33, v3 :: v_dual_mov_b32 v34, v2
	flat_load_b32 v24, v[0:1]
	s_clause 0x1
	scratch_load_b32 v2, off, s32 offset:4
	scratch_load_b32 v3, off, s32
	v_dual_mov_b32 v26, v11 :: v_dual_mov_b32 v53, v10
	s_mov_b32 s6, s15
	s_lshl_b32 s15, s14, 9
	s_mov_b32 s20, exec_lo
	s_waitcnt vmcnt(2) lgkmcnt(0)
	v_cmpx_lt_i32_e64 s15, v24
	s_cbranch_execz .LBB233_1074
; %bb.1:
	v_sub_nc_u32_e32 v0, 0, v12
	s_clause 0x1
	s_load_b32 s0, s[8:9], 0x10
	s_load_b32 s1, s[8:9], 0x0
	v_mov_b32_e32 v22, 0
	v_max_i32_e32 v0, v12, v0
	s_delay_alu instid0(VALU_DEP_1) | instskip(SKIP_1) | instid1(VALU_DEP_2)
	v_cvt_f32_u32_e32 v1, v0
	v_sub_nc_u32_e32 v4, 0, v0
	v_rcp_iflag_f32_e32 v1, v1
	s_waitcnt lgkmcnt(0)
	s_lshr_b32 s0, s0, 16
	s_delay_alu instid0(SALU_CYCLE_1) | instskip(SKIP_3) | instid1(SALU_CYCLE_1)
	s_cmp_lg_u32 s0, 0
	s_waitcnt_depctr 0xfff
	v_mul_f32_e32 v1, 0x4f7ffffe, v1
	s_cselect_b32 s0, -1, 0
	s_cmp_lg_u32 s0, 0
	s_delay_alu instid0(VALU_DEP_1) | instskip(SKIP_3) | instid1(VALU_DEP_1)
	v_cvt_u32_f32_e32 v1, v1
	s_addc_u32 s11, s1, 0
	s_mov_b32 s1, exec_lo
	s_abs_i32 s0, s11
	v_mul_lo_u32 v4, v4, v1
	s_delay_alu instid0(VALU_DEP_1) | instskip(NEXT) | instid1(VALU_DEP_1)
	v_mul_hi_u32 v4, v1, v4
	v_add_nc_u32_e32 v1, v1, v4
	s_delay_alu instid0(VALU_DEP_1) | instskip(NEXT) | instid1(VALU_DEP_1)
	v_mul_hi_u32 v1, s0, v1
	v_mul_lo_u32 v4, v1, v0
	v_add_nc_u32_e32 v5, 1, v1
	s_delay_alu instid0(VALU_DEP_2) | instskip(SKIP_1) | instid1(VALU_DEP_1)
	v_sub_nc_u32_e32 v4, s0, v4
	s_abs_i32 s0, s12
	v_sub_nc_u32_e32 v10, v4, v0
	v_cmp_ge_u32_e32 vcc_lo, v4, v0
	s_delay_alu instid0(VALU_DEP_2) | instskip(SKIP_1) | instid1(VALU_DEP_2)
	v_dual_cndmask_b32 v1, v1, v5 :: v_dual_cndmask_b32 v4, v4, v10
	v_xor_b32_e32 v5, s11, v12
	v_add_nc_u32_e32 v10, 1, v1
	s_delay_alu instid0(VALU_DEP_3) | instskip(NEXT) | instid1(VALU_DEP_3)
	v_cmp_ge_u32_e32 vcc_lo, v4, v0
	v_ashrrev_i32_e32 v5, 31, v5
	s_delay_alu instid0(VALU_DEP_3) | instskip(NEXT) | instid1(VALU_DEP_1)
	v_cndmask_b32_e32 v0, v1, v10, vcc_lo
	v_xor_b32_e32 v0, v0, v5
	s_delay_alu instid0(VALU_DEP_1) | instskip(NEXT) | instid1(VALU_DEP_1)
	v_sub_nc_u32_e32 v4, v0, v5
	v_sub_nc_u32_e32 v0, 0, v4
	s_delay_alu instid0(VALU_DEP_1) | instskip(NEXT) | instid1(VALU_DEP_1)
	v_max_i32_e32 v5, v4, v0
	v_cvt_f32_u32_e32 v0, v5
	v_sub_nc_u32_e32 v1, 0, v5
	s_delay_alu instid0(VALU_DEP_2) | instskip(SKIP_2) | instid1(VALU_DEP_1)
	v_rcp_iflag_f32_e32 v0, v0
	s_waitcnt_depctr 0xfff
	v_mul_f32_e32 v0, 0x4f7ffffe, v0
	v_cvt_u32_f32_e32 v0, v0
	s_delay_alu instid0(VALU_DEP_1) | instskip(NEXT) | instid1(VALU_DEP_1)
	v_mul_lo_u32 v1, v1, v0
	v_mul_hi_u32 v1, v0, v1
	s_delay_alu instid0(VALU_DEP_1) | instskip(NEXT) | instid1(VALU_DEP_1)
	v_add_nc_u32_e32 v10, v0, v1
	v_mad_u64_u32 v[0:1], null, s0, v10, 0
	v_cmpx_ne_u64_e32 0, v[19:20]
	s_cbranch_execz .LBB233_3
; %bb.2:
	s_ashr_i32 s13, s12, 31
	s_delay_alu instid0(SALU_CYCLE_1) | instskip(NEXT) | instid1(SALU_CYCLE_1)
	s_lshl_b64 s[2:3], s[12:13], 2
	v_add_co_u32 v10, vcc_lo, v19, s2
	v_add_co_ci_u32_e32 v11, vcc_lo, s3, v20, vcc_lo
	flat_load_b32 v22, v[10:11]
.LBB233_3:
	s_or_b32 exec_lo, exec_lo, s1
	v_and_b32_e32 v16, 0x3ff, v31
	v_ashrrev_i32_e32 v0, 31, v4
	s_ashr_i32 s1, s12, 31
	s_mul_i32 s4, s12, 0x78
	s_mov_b32 s2, exec_lo
	v_and_b32_e32 v4, 1, v16
	v_lshlrev_b32_e32 v20, 2, v16
	v_cmpx_gt_u32_e32 60, v16
	s_cbranch_execz .LBB233_5
; %bb.4:
	v_mul_lo_u32 v10, s10, v21
	s_ashr_i32 s5, s4, 31
	v_lshlrev_b32_e32 v17, 3, v16
	s_lshl_b64 s[16:17], s[4:5], 2
	s_delay_alu instid0(VALU_DEP_2) | instskip(NEXT) | instid1(VALU_DEP_1)
	v_ashrrev_i32_e32 v11, 31, v10
	v_lshlrev_b64 v[10:11], 2, v[10:11]
	s_delay_alu instid0(VALU_DEP_1) | instskip(NEXT) | instid1(VALU_DEP_2)
	v_add_co_u32 v6, vcc_lo, v6, v10
	v_add_co_ci_u32_e32 v7, vcc_lo, v7, v11, vcc_lo
	v_and_b32_e32 v10, 0xff8, v20
	s_delay_alu instid0(VALU_DEP_3) | instskip(NEXT) | instid1(VALU_DEP_3)
	v_add_co_u32 v6, vcc_lo, v6, s16
	v_add_co_ci_u32_e32 v7, vcc_lo, s17, v7, vcc_lo
	s_delay_alu instid0(VALU_DEP_3) | instskip(NEXT) | instid1(VALU_DEP_3)
	v_mad_u32_u24 v10, 0xf0, v4, v10
	v_add_co_u32 v6, vcc_lo, v6, v17
	s_delay_alu instid0(VALU_DEP_3)
	v_add_co_ci_u32_e32 v7, vcc_lo, 0, v7, vcc_lo
	flat_load_b64 v[6:7], v[6:7]
	s_waitcnt vmcnt(0) lgkmcnt(0)
	ds_store_b64 v10, v[6:7]
.LBB233_5:
	s_or_b32 exec_lo, exec_lo, s2
	s_waitcnt vmcnt(0)
	v_sub_nc_u32_e32 v6, 0, v3
	v_mul_lo_u32 v7, v1, v5
	v_add_nc_u32_e32 v11, 1, v1
	s_delay_alu instid0(VALU_DEP_3) | instskip(NEXT) | instid1(VALU_DEP_3)
	v_max_i32_e32 v47, v3, v6
	v_sub_nc_u32_e32 v7, s0, v7
	s_delay_alu instid0(VALU_DEP_2) | instskip(SKIP_1) | instid1(VALU_DEP_2)
	v_cvt_f32_u32_e32 v6, v47
	s_mov_b32 s0, exec_lo
	v_sub_nc_u32_e32 v19, v7, v5
	s_delay_alu instid0(VALU_DEP_2) | instskip(SKIP_3) | instid1(VALU_DEP_1)
	v_rcp_iflag_f32_e32 v6, v6
	v_cmp_ge_u32_e32 vcc_lo, v7, v5
	s_waitcnt_depctr 0xfff
	v_dual_cndmask_b32 v1, v1, v11 :: v_dual_mul_f32 v6, 0x4f7ffffe, v6
	v_cvt_u32_f32_e32 v10, v6
	v_sub_nc_u32_e32 v6, 0, v47
	s_delay_alu instid0(VALU_DEP_1) | instskip(SKIP_2) | instid1(VALU_DEP_3)
	v_mul_lo_u32 v17, v6, v10
	v_add_nc_u32_e32 v6, -1, v24
	v_add_nc_u32_e32 v11, 1, v1
	v_mul_hi_u32 v21, v10, v17
	v_cndmask_b32_e32 v7, v7, v19, vcc_lo
	s_delay_alu instid0(VALU_DEP_4) | instskip(SKIP_1) | instid1(VALU_DEP_4)
	v_sub_nc_u32_e32 v19, 0, v6
	v_xor_b32_e32 v17, s1, v0
	v_add_nc_u32_e32 v10, v10, v21
	s_delay_alu instid0(VALU_DEP_4) | instskip(NEXT) | instid1(VALU_DEP_4)
	v_cmp_ge_u32_e32 vcc_lo, v7, v5
	v_max_i32_e32 v5, v6, v19
	scratch_store_b32 off, v10, s32 offset:344 ; 4-byte Folded Spill
	v_cndmask_b32_e32 v0, v1, v11, vcc_lo
	s_waitcnt lgkmcnt(0)
	s_waitcnt_vscnt null, 0x0
	s_barrier
	buffer_gl0_inv
	v_xor_b32_e32 v7, v0, v17
	v_mad_u64_u32 v[0:1], null, v5, v10, 0
	s_delay_alu instid0(VALU_DEP_2)
	v_sub_nc_u32_e32 v0, v7, v17
                                        ; implicit-def: $vgpr7
	scratch_store_b64 off, v[7:8], s32 offset:336 ; 8-byte Folded Spill
	v_cmpx_gt_i32_e32 0, v2
	s_xor_b32 s0, exec_lo, s0
	s_cbranch_execz .LBB233_7
; %bb.6:
	v_mad_u64_u32 v[10:11], null, v28, v12, v[0:1]
                                        ; implicit-def: $vgpr28
	s_delay_alu instid0(VALU_DEP_1) | instskip(NEXT) | instid1(VALU_DEP_1)
	v_mul_lo_u32 v2, v10, v2
	v_sub_nc_u32_e32 v2, 1, v2
	scratch_store_b64 off, v[2:3], s32 offset:336 ; 8-byte Folded Spill
                                        ; implicit-def: $vgpr2
.LBB233_7:
	s_or_saveexec_b32 s0, s0
	v_ashrrev_i32_e32 v6, 31, v6
	v_ashrrev_i32_e32 v3, 31, v3
	scratch_store_b32 off, v3, s32 offset:328 ; 4-byte Folded Spill
	s_xor_b32 exec_lo, exec_lo, s0
	s_cbranch_execz .LBB233_9
; %bb.8:
	v_mad_u64_u32 v[10:11], null, s11, v28, s[12:13]
	s_delay_alu instid0(VALU_DEP_1)
	v_mad_u64_u32 v[11:12], null, v10, v2, 1
	scratch_store_b64 off, v[11:12], s32 offset:336 ; 8-byte Folded Spill
.LBB233_9:
	s_or_b32 exec_lo, exec_lo, s0
	v_mul_lo_u32 v2, v1, v47
	v_add_nc_u32_e32 v3, 1, v1
	s_clause 0x1
	s_load_b32 s21, s[8:9], 0x14
	s_load_b32 s5, s[8:9], 0x8
	v_mul_lo_u32 v54, v0, v23
	s_lshl_b32 s13, s14, 5
	v_sub_nc_u32_e32 v51, 0, v30
	s_add_i32 s0, s13, 32
	v_sub_nc_u32_e32 v2, v5, v2
	v_mul_lo_u32 v5, s10, v18
	s_delay_alu instid0(VALU_DEP_2) | instskip(SKIP_1) | instid1(VALU_DEP_2)
	v_sub_nc_u32_e32 v11, v2, v47
	v_cmp_ge_u32_e32 vcc_lo, v2, v47
	v_dual_cndmask_b32 v2, v2, v11 :: v_dual_add_nc_u32 v7, 15, v24
	v_cndmask_b32_e32 v1, v1, v3, vcc_lo
	scratch_load_b32 v3, off, s32 offset:328 ; 4-byte Folded Reload
	v_ashrrev_i32_e32 v10, 31, v7
	v_lshrrev_b32_e32 v11, 5, v16
	v_cmp_ge_u32_e32 vcc_lo, v2, v47
	s_delay_alu instid0(VALU_DEP_2) | instskip(SKIP_1) | instid1(VALU_DEP_2)
	v_or_b32_e32 v112, s13, v11
	v_lshl_add_u32 v23, v11, 4, s15
	v_ashrrev_i32_e32 v113, 31, v112
	s_waitcnt vmcnt(0)
	v_xor_b32_e32 v12, v6, v3
	v_lshrrev_b32_e32 v6, 28, v10
	s_delay_alu instid0(VALU_DEP_1) | instskip(SKIP_1) | instid1(VALU_DEP_2)
	v_dual_mov_b32 v3, 0xff7fffff :: v_dual_add_nc_u32 v6, v7, v6
	v_add_nc_u32_e32 v10, 1, v1
	v_ashrrev_i32_e32 v19, 4, v6
	s_delay_alu instid0(VALU_DEP_2) | instskip(SKIP_1) | instid1(VALU_DEP_2)
	v_cndmask_b32_e32 v1, v1, v10, vcc_lo
	v_ashrrev_i32_e32 v6, 31, v5
	v_xor_b32_e32 v0, v1, v12
	s_delay_alu instid0(VALU_DEP_4) | instskip(NEXT) | instid1(VALU_DEP_3)
	v_min_i32_e32 v1, s0, v19
	v_lshlrev_b64 v[17:18], 2, v[5:6]
	s_delay_alu instid0(VALU_DEP_3) | instskip(NEXT) | instid1(VALU_DEP_3)
	v_sub_nc_u32_e32 v0, v0, v12
	v_cmp_lt_i32_e64 s0, v112, v1
	s_delay_alu instid0(VALU_DEP_2)
	v_sub_nc_u32_e32 v0, v0, v29
	s_clause 0x1
	scratch_store_b32 off, v1, s32 offset:332
	scratch_store_b32 off, v11, s32 offset:396
	v_ashrrev_i32_e32 v11, 31, v54
	scratch_store_b32 off, v0, s32 offset:348 ; 4-byte Folded Spill
	s_mov_b32 s22, exec_lo
	s_delay_alu instid0(SALU_CYCLE_1)
	s_and_b32 s1, s22, s0
	scratch_store_b32 off, v16, s32 offset:408 ; 4-byte Folded Spill
	s_mov_b32 exec_lo, s1
	s_cbranch_execz .LBB233_499
; %bb.10:
	v_max_i32_e32 v2, v30, v51
	v_mov_b32_e32 v29, 0
	v_bfe_u32 v10, v16, 1, 4
	s_clause 0x9
	scratch_store_b32 off, v19, s32 offset:460
	scratch_store_b32 off, v20, s32 offset:444
	;; [unrolled: 1-line block ×10, first 2 shown]
	s_ashr_i32 s7, s6, 31
	v_cvt_f32_u32_e32 v0, v2
	s_getpc_b64 s[2:3]
	s_add_u32 s2, s2, llvm.amdgcn.dynlds.offset.table@rel32@lo+4
	s_addc_u32 s3, s3, llvm.amdgcn.dynlds.offset.table@rel32@hi+12
	v_add_co_u32 v5, s1, v8, v54
	s_lshl_b64 s[8:9], s[6:7], 2
	v_rcp_iflag_f32_e32 v3, v0
	v_lshlrev_b32_e32 v0, 1, v4
	v_lshlrev_b32_e32 v8, 4, v10
	v_add_co_ci_u32_e64 v6, s1, v9, v11, s1
	s_add_u32 s8, s8, s2
	s_clause 0x1
	scratch_store_b32 off, v0, s32 offset:376
	scratch_store_b32 off, v10, s32 offset:388
	v_lshlrev_b64 v[0:1], 2, v[112:113]
	v_cmp_eq_u32_e32 vcc_lo, 0, v4
	v_mul_u32_u24_e32 v25, 0xf0, v4
	v_dual_mul_f32 v4, 0x4f7ffffe, v3 :: v_dual_lshlrev_b32 v9, 2, v10
	v_sub_nc_u32_e32 v7, 0, v2
	v_add_co_u32 v0, s2, v17, v0
	s_delay_alu instid0(VALU_DEP_1) | instskip(SKIP_1) | instid1(VALU_DEP_1)
	v_add_co_ci_u32_e64 v1, s2, v18, v1, s2
	v_add_co_u32 v5, s2, v5, v8
	v_add_co_ci_u32_e64 v6, s2, 0, v6, s2
	s_clause 0x1
	scratch_store_b32 off, v11, s32 offset:468
	scratch_store_b64 off, v[17:18], s32 offset:448
	scratch_load_b32 v11, off, s32 offset:396 ; 4-byte Folded Reload
	scratch_store_b64 off, v[5:6], s32 offset:380 ; 8-byte Folded Spill
	v_cvt_u32_f32_e32 v4, v4
	s_addc_u32 s9, s9, s3
	scratch_store_b32 off, v54, s32 offset:456 ; 4-byte Folded Spill
	s_load_b32 s7, s[8:9], 0x0
	v_sub_nc_u32_e32 v10, v10, v24
	v_mul_lo_u32 v7, v7, v4
	v_add_co_u32 v118, s2, v14, v0
	v_cmp_neq_f32_e64 s1, 0, v22
	s_delay_alu instid0(VALU_DEP_4)
	v_add_nc_u32_e32 v5, 1, v10
	v_dual_mov_b32 v3, 0xff7fffff :: v_dual_mov_b32 v30, v112
	s_clause 0x1
	scratch_store_b32 off, v5, s32 offset:392
	scratch_store_b32 off, v14, s32 offset:412
	v_mul_hi_u32 v7, v4, v7
	v_mov_b32_e32 v14, v15
	v_add_co_ci_u32_e64 v119, s2, v15, v1, s2
	v_mov_b32_e32 v15, v22
	s_mov_b32 s16, 0
	s_brev_b32 s17, 1
	s_mov_b32 s19, 0x7f800001
	s_delay_alu instid0(VALU_DEP_4)
	v_add_nc_u32_e32 v0, v4, v7
	s_mov_b32 s23, s16
	scratch_store_b32 off, v0, s32 offset:356 ; 4-byte Folded Spill
	s_waitcnt vmcnt(0)
	v_lshl_add_u32 v20, v11, 4, s15
	v_lshl_or_b32 v27, v11, 6, v9
	s_branch .LBB233_13
.LBB233_11:                             ;   in Loop: Header=BB233_13 Depth=1
	s_or_b32 exec_lo, exec_lo, s18
.LBB233_12:                             ;   in Loop: Header=BB233_13 Depth=1
	s_delay_alu instid0(SALU_CYCLE_1) | instskip(SKIP_3) | instid1(VALU_DEP_1)
	s_or_b32 exec_lo, exec_lo, s3
	scratch_load_b32 v0, off, s32 offset:332 ; 4-byte Folded Reload
	v_add_nc_u32_e32 v30, 4, v30
	v_add_co_u32 v118, s3, v118, 16
	v_add_co_ci_u32_e64 v119, s3, 0, v119, s3
	v_add_nc_u32_e32 v20, 64, v20
	v_add_nc_u32_e32 v27, 0x100, v27
	s_waitcnt vmcnt(0)
	v_cmp_ge_i32_e64 s2, v30, v0
	s_delay_alu instid0(VALU_DEP_1) | instskip(NEXT) | instid1(SALU_CYCLE_1)
	s_or_b32 s23, s2, s23
	s_and_not1_b32 exec_lo, exec_lo, s23
	s_cbranch_execz .LBB233_498
.LBB233_13:                             ; =>This Inner Loop Header: Depth=1
	s_waitcnt lgkmcnt(0)
	s_clause 0x1
	scratch_load_b32 v1, off, s32 offset:344
	scratch_load_b32 v6, off, s32 offset:328
	v_sub_nc_u32_e32 v0, 0, v20
	s_delay_alu instid0(VALU_DEP_1) | instskip(SKIP_1) | instid1(VALU_DEP_1)
	v_max_i32_e32 v0, v20, v0
	s_waitcnt vmcnt(1)
	v_mul_hi_u32 v1, v0, v1
	s_delay_alu instid0(VALU_DEP_1) | instskip(NEXT) | instid1(VALU_DEP_1)
	v_mul_lo_u32 v4, v1, v47
	v_sub_nc_u32_e32 v0, v0, v4
	v_add_nc_u32_e32 v4, 1, v1
	s_delay_alu instid0(VALU_DEP_2) | instskip(SKIP_1) | instid1(VALU_DEP_1)
	v_sub_nc_u32_e32 v5, v0, v47
	v_cmp_ge_u32_e64 s2, v0, v47
	v_cndmask_b32_e64 v1, v1, v4, s2
	s_delay_alu instid0(VALU_DEP_3) | instskip(SKIP_1) | instid1(VALU_DEP_3)
	v_cndmask_b32_e64 v0, v0, v5, s2
	v_ashrrev_i32_e32 v4, 31, v20
	v_add_nc_u32_e32 v5, 1, v1
	s_delay_alu instid0(VALU_DEP_3) | instskip(SKIP_1) | instid1(VALU_DEP_3)
	v_cmp_ge_u32_e64 s2, v0, v47
	s_waitcnt vmcnt(0)
	v_xor_b32_e32 v4, v4, v6
	s_delay_alu instid0(VALU_DEP_2) | instskip(NEXT) | instid1(VALU_DEP_1)
	v_cndmask_b32_e64 v0, v1, v5, s2
	v_xor_b32_e32 v0, v0, v4
	s_delay_alu instid0(VALU_DEP_1)
	v_sub_nc_u32_e32 v0, v0, v4
	s_clause 0x1
	scratch_load_b64 v[4:5], off, s32 offset:336
	scratch_load_b32 v5, off, s32 offset:356
	s_waitcnt vmcnt(1)
	v_add_nc_u32_e32 v1, v0, v4
	s_delay_alu instid0(VALU_DEP_1) | instskip(NEXT) | instid1(VALU_DEP_1)
	v_sub_nc_u32_e32 v4, 0, v1
	v_max_i32_e32 v4, v1, v4
	v_ashrrev_i32_e32 v1, 31, v1
	s_waitcnt vmcnt(0)
	s_delay_alu instid0(VALU_DEP_2) | instskip(NEXT) | instid1(VALU_DEP_1)
	v_mul_hi_u32 v5, v4, v5
	v_mul_lo_u32 v5, v5, v2
	s_delay_alu instid0(VALU_DEP_1) | instskip(NEXT) | instid1(VALU_DEP_1)
	v_sub_nc_u32_e32 v4, v4, v5
	v_sub_nc_u32_e32 v5, v4, v2
	v_cmp_ge_u32_e64 s2, v4, v2
	s_delay_alu instid0(VALU_DEP_1) | instskip(NEXT) | instid1(VALU_DEP_1)
	v_cndmask_b32_e64 v4, v4, v5, s2
	v_sub_nc_u32_e32 v5, v4, v2
	v_cmp_ge_u32_e64 s2, v4, v2
	s_delay_alu instid0(VALU_DEP_1) | instskip(NEXT) | instid1(VALU_DEP_1)
	v_cndmask_b32_e64 v4, v4, v5, s2
	v_xor_b32_e32 v4, v4, v1
	s_delay_alu instid0(VALU_DEP_1) | instskip(NEXT) | instid1(VALU_DEP_1)
	v_sub_nc_u32_e32 v1, v4, v1
	v_cmp_ne_u32_e64 s2, 0, v1
	scratch_load_b32 v1, off, s32 offset:348 ; 4-byte Folded Reload
	s_waitcnt vmcnt(0)
	v_cmp_le_i32_e64 s3, v0, v1
	s_delay_alu instid0(VALU_DEP_1) | instskip(NEXT) | instid1(SALU_CYCLE_1)
	s_and_b32 s2, s2, s3
	s_and_b32 s18, vcc_lo, s2
	s_delay_alu instid0(SALU_CYCLE_1)
	s_and_saveexec_b32 s3, s18
	s_cbranch_execz .LBB233_15
; %bb.14:                               ;   in Loop: Header=BB233_13 Depth=1
	s_waitcnt lgkmcnt(0)
	v_dual_mov_b32 v1, 0xff7fffff :: v_dual_add_nc_u32 v0, s7, v27
	ds_store_b32 v0, v1
.LBB233_15:                             ;   in Loop: Header=BB233_13 Depth=1
	s_or_b32 exec_lo, exec_lo, s3
	s_xor_b32 s2, s2, -1
	s_delay_alu instid0(SALU_CYCLE_1)
	s_and_saveexec_b32 s3, s2
	s_cbranch_execz .LBB233_12
; %bb.16:                               ;   in Loop: Header=BB233_13 Depth=1
	flat_load_b32 v4, v[118:119]
	s_clause 0x1
	scratch_load_b32 v5, off, s32 offset:352
	scratch_load_b64 v[6:7], off, s32 offset:380
	s_mov_b32 s18, exec_lo
	s_waitcnt vmcnt(0) lgkmcnt(0)
	v_mad_i64_i32 v[0:1], null, v4, v5, v[6:7]
	scratch_load_b32 v4, off, s32 offset:376 ; 4-byte Folded Reload
	s_waitcnt vmcnt(0)
	v_add_co_u32 v146, s2, v0, v4
	s_delay_alu instid0(VALU_DEP_1)
	v_add_co_ci_u32_e64 v147, s2, 0, v1, s2
	flat_load_u16 v0, v[146:147]
	scratch_load_b64 v[4:5], off, s32 offset:368 ; 8-byte Folded Reload
	v_mov_b32_e32 v130, 0
	v_mov_b32_e32 v131, 0
	s_waitcnt vmcnt(1) lgkmcnt(0)
	v_and_b32_e32 v1, 0xff, v0
	v_and_b32_e32 v0, 0xffff, v0
	s_waitcnt vmcnt(0)
	flat_load_b32 v26, v[4:5]
	ds_load_b128 v[100:103], v25
	ds_load_b128 v[96:99], v25 offset:16
	ds_load_b128 v[84:87], v25 offset:32
	;; [unrolled: 1-line block ×11, first 2 shown]
	ds_load_b64 v[128:129], v25 offset:192
	v_dual_mov_b32 v133, v131 :: v_dual_mov_b32 v132, v130
	v_cmpx_ne_u16_e32 0, v1
	s_cbranch_execz .LBB233_24
; %bb.17:                               ;   in Loop: Header=BB233_13 Depth=1
	v_bfrev_b32_e32 v132, 1
	v_and_b32_e32 v1, 0xff, v0
	v_mov_b32_e32 v133, 0
	s_mov_b32 s24, exec_lo
	s_delay_alu instid0(VALU_DEP_2)
	v_cmpx_ne_u16_e32 0x80, v1
	s_cbranch_execz .LBB233_23
; %bb.18:                               ;   in Loop: Header=BB233_13 Depth=1
	v_mov_b32_e32 v132, 0x7f800001
	v_dual_mov_b32 v133, 0 :: v_dual_and_b32 v4, 0x7f, v0
	s_mov_b32 s25, exec_lo
	s_delay_alu instid0(VALU_DEP_1)
	v_cmpx_ne_u32_e32 0x7f, v4
	s_cbranch_execz .LBB233_22
; %bb.19:                               ;   in Loop: Header=BB233_13 Depth=1
	v_and_b32_e32 v28, 7, v0
	v_lshrrev_b32_e32 v1, 3, v4
	s_mov_b32 s26, exec_lo
	v_cmpx_gt_u32_e32 8, v4
; %bb.20:                               ;   in Loop: Header=BB233_13 Depth=1
	s_delay_alu instid0(VALU_DEP_3) | instskip(NEXT) | instid1(VALU_DEP_1)
	v_clz_i32_u32_e32 v1, v28
	v_min_u32_e32 v1, 32, v1
	s_delay_alu instid0(VALU_DEP_1) | instskip(SKIP_1) | instid1(VALU_DEP_2)
	v_subrev_nc_u32_e32 v4, 28, v1
	v_sub_nc_u32_e32 v1, 29, v1
	v_lshlrev_b64 v[4:5], v4, v[28:29]
	s_delay_alu instid0(VALU_DEP_1)
	v_and_b32_e32 v28, 7, v4
; %bb.21:                               ;   in Loop: Header=BB233_13 Depth=1
	s_or_b32 exec_lo, exec_lo, s26
	v_lshlrev_b32_e32 v4, 24, v0
	s_delay_alu instid0(VALU_DEP_2) | instskip(SKIP_1) | instid1(VALU_DEP_3)
	v_lshlrev_b32_e32 v5, 20, v28
	v_lshl_add_u32 v1, v1, 23, 0x3c000000
	v_and_b32_e32 v4, 0x80000000, v4
	s_delay_alu instid0(VALU_DEP_1) | instskip(NEXT) | instid1(VALU_DEP_1)
	v_or3_b32 v28, v5, v4, v1
	v_dual_mov_b32 v133, v29 :: v_dual_mov_b32 v132, v28
.LBB233_22:                             ;   in Loop: Header=BB233_13 Depth=1
	s_or_b32 exec_lo, exec_lo, s25
.LBB233_23:                             ;   in Loop: Header=BB233_13 Depth=1
	s_delay_alu instid0(SALU_CYCLE_1)
	s_or_b32 exec_lo, exec_lo, s24
.LBB233_24:                             ;   in Loop: Header=BB233_13 Depth=1
	s_delay_alu instid0(SALU_CYCLE_1) | instskip(SKIP_2) | instid1(VALU_DEP_1)
	s_or_b32 exec_lo, exec_lo, s18
	v_lshrrev_b16 v1, 8, v0
	s_mov_b32 s24, exec_lo
	v_cmpx_ne_u16_e32 0, v1
	s_cbranch_execz .LBB233_32
; %bb.25:                               ;   in Loop: Header=BB233_13 Depth=1
	v_dual_mov_b32 v131, s17 :: v_dual_mov_b32 v130, s16
	s_mov_b32 s25, exec_lo
	v_cmpx_ne_u16_e32 0x80, v1
	s_cbranch_execz .LBB233_31
; %bb.26:                               ;   in Loop: Header=BB233_13 Depth=1
	s_mov_b32 s18, s16
	v_and_b32_e32 v1, 0xffff, v1
	v_dual_mov_b32 v131, s19 :: v_dual_mov_b32 v130, s18
	s_mov_b32 s18, exec_lo
	s_delay_alu instid0(VALU_DEP_2) | instskip(NEXT) | instid1(VALU_DEP_1)
	v_and_b32_e32 v4, 0x7f, v1
	v_cmpx_ne_u32_e32 0x7f, v4
	s_cbranch_execz .LBB233_30
; %bb.27:                               ;   in Loop: Header=BB233_13 Depth=1
	v_and_b32_e32 v28, 7, v1
	v_lshrrev_b32_e32 v1, 3, v4
	s_mov_b32 s26, exec_lo
	v_cmpx_gt_u32_e32 8, v4
; %bb.28:                               ;   in Loop: Header=BB233_13 Depth=1
	s_delay_alu instid0(VALU_DEP_3) | instskip(NEXT) | instid1(VALU_DEP_1)
	v_clz_i32_u32_e32 v1, v28
	v_min_u32_e32 v1, 32, v1
	s_delay_alu instid0(VALU_DEP_1) | instskip(SKIP_1) | instid1(VALU_DEP_2)
	v_subrev_nc_u32_e32 v4, 28, v1
	v_sub_nc_u32_e32 v1, 29, v1
	v_lshlrev_b64 v[4:5], v4, v[28:29]
	s_delay_alu instid0(VALU_DEP_1)
	v_and_b32_e32 v28, 7, v4
; %bb.29:                               ;   in Loop: Header=BB233_13 Depth=1
	s_or_b32 exec_lo, exec_lo, s26
	v_lshlrev_b32_e32 v0, 16, v0
	s_delay_alu instid0(VALU_DEP_2) | instskip(SKIP_2) | instid1(VALU_DEP_4)
	v_lshlrev_b32_e32 v4, 20, v28
	v_lshl_add_u32 v1, v1, 23, 0x3c000000
	v_mov_b32_e32 v130, v29
	v_and_b32_e32 v0, 0x80000000, v0
	s_delay_alu instid0(VALU_DEP_1)
	v_or3_b32 v131, v4, v0, v1
.LBB233_30:                             ;   in Loop: Header=BB233_13 Depth=1
	s_or_b32 exec_lo, exec_lo, s18
.LBB233_31:                             ;   in Loop: Header=BB233_13 Depth=1
	s_delay_alu instid0(SALU_CYCLE_1)
	s_or_b32 exec_lo, exec_lo, s25
.LBB233_32:                             ;   in Loop: Header=BB233_13 Depth=1
	s_delay_alu instid0(SALU_CYCLE_1)
	s_or_b32 exec_lo, exec_lo, s24
	flat_load_u16 v0, v[146:147] offset:4
	v_mov_b32_e32 v134, 0
	v_mov_b32_e32 v135, 0
	s_mov_b32 s18, exec_lo
	s_waitcnt vmcnt(0) lgkmcnt(0)
	v_and_b32_e32 v1, 0xff, v0
	s_delay_alu instid0(VALU_DEP_2) | instskip(SKIP_1) | instid1(VALU_DEP_3)
	v_dual_mov_b32 v145, v135 :: v_dual_and_b32 v0, 0xffff, v0
	v_mov_b32_e32 v144, v134
	v_cmpx_ne_u16_e32 0, v1
	s_cbranch_execz .LBB233_40
; %bb.33:                               ;   in Loop: Header=BB233_13 Depth=1
	v_bfrev_b32_e32 v144, 1
	v_and_b32_e32 v1, 0xff, v0
	v_mov_b32_e32 v145, 0
	s_mov_b32 s24, exec_lo
	s_delay_alu instid0(VALU_DEP_2)
	v_cmpx_ne_u16_e32 0x80, v1
	s_cbranch_execz .LBB233_39
; %bb.34:                               ;   in Loop: Header=BB233_13 Depth=1
	v_mov_b32_e32 v144, 0x7f800001
	v_dual_mov_b32 v145, 0 :: v_dual_and_b32 v4, 0x7f, v0
	s_mov_b32 s25, exec_lo
	s_delay_alu instid0(VALU_DEP_1)
	v_cmpx_ne_u32_e32 0x7f, v4
	s_cbranch_execz .LBB233_38
; %bb.35:                               ;   in Loop: Header=BB233_13 Depth=1
	v_and_b32_e32 v28, 7, v0
	v_lshrrev_b32_e32 v1, 3, v4
	s_mov_b32 s26, exec_lo
	v_cmpx_gt_u32_e32 8, v4
; %bb.36:                               ;   in Loop: Header=BB233_13 Depth=1
	s_delay_alu instid0(VALU_DEP_3) | instskip(NEXT) | instid1(VALU_DEP_1)
	v_clz_i32_u32_e32 v1, v28
	v_min_u32_e32 v1, 32, v1
	s_delay_alu instid0(VALU_DEP_1) | instskip(SKIP_1) | instid1(VALU_DEP_2)
	v_subrev_nc_u32_e32 v4, 28, v1
	v_sub_nc_u32_e32 v1, 29, v1
	v_lshlrev_b64 v[4:5], v4, v[28:29]
	s_delay_alu instid0(VALU_DEP_1)
	v_and_b32_e32 v28, 7, v4
; %bb.37:                               ;   in Loop: Header=BB233_13 Depth=1
	s_or_b32 exec_lo, exec_lo, s26
	v_lshlrev_b32_e32 v4, 24, v0
	s_delay_alu instid0(VALU_DEP_2) | instskip(SKIP_1) | instid1(VALU_DEP_3)
	v_lshlrev_b32_e32 v5, 20, v28
	v_lshl_add_u32 v1, v1, 23, 0x3c000000
	v_and_b32_e32 v4, 0x80000000, v4
	s_delay_alu instid0(VALU_DEP_1) | instskip(NEXT) | instid1(VALU_DEP_1)
	v_or3_b32 v28, v5, v4, v1
	v_dual_mov_b32 v145, v29 :: v_dual_mov_b32 v144, v28
.LBB233_38:                             ;   in Loop: Header=BB233_13 Depth=1
	s_or_b32 exec_lo, exec_lo, s25
.LBB233_39:                             ;   in Loop: Header=BB233_13 Depth=1
	s_delay_alu instid0(SALU_CYCLE_1)
	s_or_b32 exec_lo, exec_lo, s24
.LBB233_40:                             ;   in Loop: Header=BB233_13 Depth=1
	s_delay_alu instid0(SALU_CYCLE_1) | instskip(SKIP_2) | instid1(VALU_DEP_1)
	s_or_b32 exec_lo, exec_lo, s18
	v_lshrrev_b16 v1, 8, v0
	s_mov_b32 s24, exec_lo
	v_cmpx_ne_u16_e32 0, v1
	s_cbranch_execz .LBB233_48
; %bb.41:                               ;   in Loop: Header=BB233_13 Depth=1
	v_dual_mov_b32 v135, s17 :: v_dual_mov_b32 v134, s16
	s_mov_b32 s25, exec_lo
	v_cmpx_ne_u16_e32 0x80, v1
	s_cbranch_execz .LBB233_47
; %bb.42:                               ;   in Loop: Header=BB233_13 Depth=1
	s_mov_b32 s18, s16
	v_and_b32_e32 v1, 0xffff, v1
	v_dual_mov_b32 v135, s19 :: v_dual_mov_b32 v134, s18
	s_mov_b32 s18, exec_lo
	s_delay_alu instid0(VALU_DEP_2) | instskip(NEXT) | instid1(VALU_DEP_1)
	v_and_b32_e32 v4, 0x7f, v1
	v_cmpx_ne_u32_e32 0x7f, v4
	s_cbranch_execz .LBB233_46
; %bb.43:                               ;   in Loop: Header=BB233_13 Depth=1
	v_and_b32_e32 v28, 7, v1
	v_lshrrev_b32_e32 v1, 3, v4
	s_mov_b32 s26, exec_lo
	v_cmpx_gt_u32_e32 8, v4
; %bb.44:                               ;   in Loop: Header=BB233_13 Depth=1
	s_delay_alu instid0(VALU_DEP_3) | instskip(NEXT) | instid1(VALU_DEP_1)
	v_clz_i32_u32_e32 v1, v28
	v_min_u32_e32 v1, 32, v1
	s_delay_alu instid0(VALU_DEP_1) | instskip(SKIP_1) | instid1(VALU_DEP_2)
	v_subrev_nc_u32_e32 v4, 28, v1
	v_sub_nc_u32_e32 v1, 29, v1
	v_lshlrev_b64 v[4:5], v4, v[28:29]
	s_delay_alu instid0(VALU_DEP_1)
	v_and_b32_e32 v28, 7, v4
; %bb.45:                               ;   in Loop: Header=BB233_13 Depth=1
	s_or_b32 exec_lo, exec_lo, s26
	v_lshlrev_b32_e32 v0, 16, v0
	s_delay_alu instid0(VALU_DEP_2) | instskip(SKIP_2) | instid1(VALU_DEP_4)
	v_lshlrev_b32_e32 v4, 20, v28
	v_lshl_add_u32 v1, v1, 23, 0x3c000000
	v_mov_b32_e32 v134, v29
	v_and_b32_e32 v0, 0x80000000, v0
	s_delay_alu instid0(VALU_DEP_1)
	v_or3_b32 v135, v4, v0, v1
.LBB233_46:                             ;   in Loop: Header=BB233_13 Depth=1
	s_or_b32 exec_lo, exec_lo, s18
.LBB233_47:                             ;   in Loop: Header=BB233_13 Depth=1
	s_delay_alu instid0(SALU_CYCLE_1)
	s_or_b32 exec_lo, exec_lo, s25
.LBB233_48:                             ;   in Loop: Header=BB233_13 Depth=1
	s_delay_alu instid0(SALU_CYCLE_1)
	s_or_b32 exec_lo, exec_lo, s24
	flat_load_u16 v0, v[146:147] offset:8
	v_mov_b32_e32 v148, 0
	v_mov_b32_e32 v149, 0
	s_mov_b32 s18, exec_lo
	s_waitcnt vmcnt(0) lgkmcnt(0)
	v_and_b32_e32 v1, 0xff, v0
	s_delay_alu instid0(VALU_DEP_2) | instskip(SKIP_1) | instid1(VALU_DEP_3)
	v_dual_mov_b32 v151, v149 :: v_dual_and_b32 v0, 0xffff, v0
	v_mov_b32_e32 v150, v148
	v_cmpx_ne_u16_e32 0, v1
	s_cbranch_execz .LBB233_56
; %bb.49:                               ;   in Loop: Header=BB233_13 Depth=1
	v_bfrev_b32_e32 v150, 1
	v_and_b32_e32 v1, 0xff, v0
	v_mov_b32_e32 v151, 0
	s_mov_b32 s24, exec_lo
	s_delay_alu instid0(VALU_DEP_2)
	v_cmpx_ne_u16_e32 0x80, v1
	s_cbranch_execz .LBB233_55
; %bb.50:                               ;   in Loop: Header=BB233_13 Depth=1
	v_mov_b32_e32 v150, 0x7f800001
	v_dual_mov_b32 v151, 0 :: v_dual_and_b32 v4, 0x7f, v0
	s_mov_b32 s25, exec_lo
	s_delay_alu instid0(VALU_DEP_1)
	v_cmpx_ne_u32_e32 0x7f, v4
	s_cbranch_execz .LBB233_54
; %bb.51:                               ;   in Loop: Header=BB233_13 Depth=1
	v_and_b32_e32 v28, 7, v0
	v_lshrrev_b32_e32 v1, 3, v4
	s_mov_b32 s26, exec_lo
	v_cmpx_gt_u32_e32 8, v4
; %bb.52:                               ;   in Loop: Header=BB233_13 Depth=1
	s_delay_alu instid0(VALU_DEP_3) | instskip(NEXT) | instid1(VALU_DEP_1)
	v_clz_i32_u32_e32 v1, v28
	v_min_u32_e32 v1, 32, v1
	s_delay_alu instid0(VALU_DEP_1) | instskip(SKIP_1) | instid1(VALU_DEP_2)
	v_subrev_nc_u32_e32 v4, 28, v1
	v_sub_nc_u32_e32 v1, 29, v1
	v_lshlrev_b64 v[4:5], v4, v[28:29]
	s_delay_alu instid0(VALU_DEP_1)
	v_and_b32_e32 v28, 7, v4
; %bb.53:                               ;   in Loop: Header=BB233_13 Depth=1
	s_or_b32 exec_lo, exec_lo, s26
	v_lshlrev_b32_e32 v4, 24, v0
	s_delay_alu instid0(VALU_DEP_2) | instskip(SKIP_1) | instid1(VALU_DEP_3)
	v_lshlrev_b32_e32 v5, 20, v28
	v_lshl_add_u32 v1, v1, 23, 0x3c000000
	v_and_b32_e32 v4, 0x80000000, v4
	s_delay_alu instid0(VALU_DEP_1) | instskip(NEXT) | instid1(VALU_DEP_1)
	v_or3_b32 v28, v5, v4, v1
	v_dual_mov_b32 v151, v29 :: v_dual_mov_b32 v150, v28
.LBB233_54:                             ;   in Loop: Header=BB233_13 Depth=1
	s_or_b32 exec_lo, exec_lo, s25
.LBB233_55:                             ;   in Loop: Header=BB233_13 Depth=1
	s_delay_alu instid0(SALU_CYCLE_1)
	s_or_b32 exec_lo, exec_lo, s24
.LBB233_56:                             ;   in Loop: Header=BB233_13 Depth=1
	s_delay_alu instid0(SALU_CYCLE_1) | instskip(SKIP_2) | instid1(VALU_DEP_1)
	s_or_b32 exec_lo, exec_lo, s18
	v_lshrrev_b16 v1, 8, v0
	s_mov_b32 s24, exec_lo
	v_cmpx_ne_u16_e32 0, v1
	s_cbranch_execz .LBB233_64
; %bb.57:                               ;   in Loop: Header=BB233_13 Depth=1
	v_dual_mov_b32 v149, s17 :: v_dual_mov_b32 v148, s16
	s_mov_b32 s25, exec_lo
	v_cmpx_ne_u16_e32 0x80, v1
	s_cbranch_execz .LBB233_63
; %bb.58:                               ;   in Loop: Header=BB233_13 Depth=1
	s_mov_b32 s18, s16
	v_and_b32_e32 v1, 0xffff, v1
	v_dual_mov_b32 v149, s19 :: v_dual_mov_b32 v148, s18
	s_mov_b32 s18, exec_lo
	s_delay_alu instid0(VALU_DEP_2) | instskip(NEXT) | instid1(VALU_DEP_1)
	v_and_b32_e32 v4, 0x7f, v1
	v_cmpx_ne_u32_e32 0x7f, v4
	s_cbranch_execz .LBB233_62
; %bb.59:                               ;   in Loop: Header=BB233_13 Depth=1
	v_and_b32_e32 v28, 7, v1
	v_lshrrev_b32_e32 v1, 3, v4
	s_mov_b32 s26, exec_lo
	v_cmpx_gt_u32_e32 8, v4
; %bb.60:                               ;   in Loop: Header=BB233_13 Depth=1
	s_delay_alu instid0(VALU_DEP_3) | instskip(NEXT) | instid1(VALU_DEP_1)
	v_clz_i32_u32_e32 v1, v28
	v_min_u32_e32 v1, 32, v1
	s_delay_alu instid0(VALU_DEP_1) | instskip(SKIP_1) | instid1(VALU_DEP_2)
	v_subrev_nc_u32_e32 v4, 28, v1
	v_sub_nc_u32_e32 v1, 29, v1
	v_lshlrev_b64 v[4:5], v4, v[28:29]
	s_delay_alu instid0(VALU_DEP_1)
	v_and_b32_e32 v28, 7, v4
; %bb.61:                               ;   in Loop: Header=BB233_13 Depth=1
	s_or_b32 exec_lo, exec_lo, s26
	v_lshlrev_b32_e32 v0, 16, v0
	s_delay_alu instid0(VALU_DEP_2) | instskip(SKIP_2) | instid1(VALU_DEP_4)
	v_lshlrev_b32_e32 v4, 20, v28
	v_lshl_add_u32 v1, v1, 23, 0x3c000000
	v_mov_b32_e32 v148, v29
	v_and_b32_e32 v0, 0x80000000, v0
	s_delay_alu instid0(VALU_DEP_1)
	v_or3_b32 v149, v4, v0, v1
.LBB233_62:                             ;   in Loop: Header=BB233_13 Depth=1
	s_or_b32 exec_lo, exec_lo, s18
.LBB233_63:                             ;   in Loop: Header=BB233_13 Depth=1
	s_delay_alu instid0(SALU_CYCLE_1)
	s_or_b32 exec_lo, exec_lo, s25
.LBB233_64:                             ;   in Loop: Header=BB233_13 Depth=1
	s_delay_alu instid0(SALU_CYCLE_1)
	s_or_b32 exec_lo, exec_lo, s24
	flat_load_u16 v0, v[146:147] offset:12
	v_mov_b32_e32 v160, 0
	v_mov_b32_e32 v161, 0
	s_mov_b32 s18, exec_lo
	s_waitcnt vmcnt(0) lgkmcnt(0)
	v_and_b32_e32 v1, 0xff, v0
	s_delay_alu instid0(VALU_DEP_2) | instskip(SKIP_1) | instid1(VALU_DEP_3)
	v_dual_mov_b32 v163, v161 :: v_dual_and_b32 v0, 0xffff, v0
	v_mov_b32_e32 v162, v160
	v_cmpx_ne_u16_e32 0, v1
	s_cbranch_execz .LBB233_72
; %bb.65:                               ;   in Loop: Header=BB233_13 Depth=1
	v_bfrev_b32_e32 v162, 1
	v_and_b32_e32 v1, 0xff, v0
	v_mov_b32_e32 v163, 0
	s_mov_b32 s24, exec_lo
	s_delay_alu instid0(VALU_DEP_2)
	v_cmpx_ne_u16_e32 0x80, v1
	s_cbranch_execz .LBB233_71
; %bb.66:                               ;   in Loop: Header=BB233_13 Depth=1
	v_mov_b32_e32 v162, 0x7f800001
	v_dual_mov_b32 v163, 0 :: v_dual_and_b32 v4, 0x7f, v0
	s_mov_b32 s25, exec_lo
	s_delay_alu instid0(VALU_DEP_1)
	v_cmpx_ne_u32_e32 0x7f, v4
	s_cbranch_execz .LBB233_70
; %bb.67:                               ;   in Loop: Header=BB233_13 Depth=1
	v_and_b32_e32 v28, 7, v0
	v_lshrrev_b32_e32 v1, 3, v4
	s_mov_b32 s26, exec_lo
	v_cmpx_gt_u32_e32 8, v4
; %bb.68:                               ;   in Loop: Header=BB233_13 Depth=1
	s_delay_alu instid0(VALU_DEP_3) | instskip(NEXT) | instid1(VALU_DEP_1)
	v_clz_i32_u32_e32 v1, v28
	v_min_u32_e32 v1, 32, v1
	s_delay_alu instid0(VALU_DEP_1) | instskip(SKIP_1) | instid1(VALU_DEP_2)
	v_subrev_nc_u32_e32 v4, 28, v1
	v_sub_nc_u32_e32 v1, 29, v1
	v_lshlrev_b64 v[4:5], v4, v[28:29]
	s_delay_alu instid0(VALU_DEP_1)
	v_and_b32_e32 v28, 7, v4
; %bb.69:                               ;   in Loop: Header=BB233_13 Depth=1
	s_or_b32 exec_lo, exec_lo, s26
	v_lshlrev_b32_e32 v4, 24, v0
	s_delay_alu instid0(VALU_DEP_2) | instskip(SKIP_1) | instid1(VALU_DEP_3)
	v_lshlrev_b32_e32 v5, 20, v28
	v_lshl_add_u32 v1, v1, 23, 0x3c000000
	v_and_b32_e32 v4, 0x80000000, v4
	s_delay_alu instid0(VALU_DEP_1) | instskip(NEXT) | instid1(VALU_DEP_1)
	v_or3_b32 v28, v5, v4, v1
	v_dual_mov_b32 v163, v29 :: v_dual_mov_b32 v162, v28
.LBB233_70:                             ;   in Loop: Header=BB233_13 Depth=1
	s_or_b32 exec_lo, exec_lo, s25
.LBB233_71:                             ;   in Loop: Header=BB233_13 Depth=1
	s_delay_alu instid0(SALU_CYCLE_1)
	s_or_b32 exec_lo, exec_lo, s24
.LBB233_72:                             ;   in Loop: Header=BB233_13 Depth=1
	s_delay_alu instid0(SALU_CYCLE_1) | instskip(SKIP_2) | instid1(VALU_DEP_1)
	s_or_b32 exec_lo, exec_lo, s18
	v_lshrrev_b16 v1, 8, v0
	s_mov_b32 s24, exec_lo
	v_cmpx_ne_u16_e32 0, v1
	s_cbranch_execz .LBB233_80
; %bb.73:                               ;   in Loop: Header=BB233_13 Depth=1
	v_dual_mov_b32 v161, s17 :: v_dual_mov_b32 v160, s16
	s_mov_b32 s25, exec_lo
	v_cmpx_ne_u16_e32 0x80, v1
	s_cbranch_execz .LBB233_79
; %bb.74:                               ;   in Loop: Header=BB233_13 Depth=1
	s_mov_b32 s18, s16
	v_and_b32_e32 v1, 0xffff, v1
	v_dual_mov_b32 v161, s19 :: v_dual_mov_b32 v160, s18
	s_mov_b32 s18, exec_lo
	s_delay_alu instid0(VALU_DEP_2) | instskip(NEXT) | instid1(VALU_DEP_1)
	v_and_b32_e32 v4, 0x7f, v1
	v_cmpx_ne_u32_e32 0x7f, v4
	s_cbranch_execz .LBB233_78
; %bb.75:                               ;   in Loop: Header=BB233_13 Depth=1
	v_and_b32_e32 v28, 7, v1
	v_lshrrev_b32_e32 v1, 3, v4
	s_mov_b32 s26, exec_lo
	v_cmpx_gt_u32_e32 8, v4
; %bb.76:                               ;   in Loop: Header=BB233_13 Depth=1
	s_delay_alu instid0(VALU_DEP_3) | instskip(NEXT) | instid1(VALU_DEP_1)
	v_clz_i32_u32_e32 v1, v28
	v_min_u32_e32 v1, 32, v1
	s_delay_alu instid0(VALU_DEP_1) | instskip(SKIP_1) | instid1(VALU_DEP_2)
	v_subrev_nc_u32_e32 v4, 28, v1
	v_sub_nc_u32_e32 v1, 29, v1
	v_lshlrev_b64 v[4:5], v4, v[28:29]
	s_delay_alu instid0(VALU_DEP_1)
	v_and_b32_e32 v28, 7, v4
; %bb.77:                               ;   in Loop: Header=BB233_13 Depth=1
	s_or_b32 exec_lo, exec_lo, s26
	v_lshlrev_b32_e32 v0, 16, v0
	s_delay_alu instid0(VALU_DEP_2) | instskip(SKIP_2) | instid1(VALU_DEP_4)
	v_lshlrev_b32_e32 v4, 20, v28
	v_lshl_add_u32 v1, v1, 23, 0x3c000000
	v_mov_b32_e32 v160, v29
	v_and_b32_e32 v0, 0x80000000, v0
	s_delay_alu instid0(VALU_DEP_1)
	v_or3_b32 v161, v4, v0, v1
.LBB233_78:                             ;   in Loop: Header=BB233_13 Depth=1
	s_or_b32 exec_lo, exec_lo, s18
.LBB233_79:                             ;   in Loop: Header=BB233_13 Depth=1
	s_delay_alu instid0(SALU_CYCLE_1)
	s_or_b32 exec_lo, exec_lo, s25
.LBB233_80:                             ;   in Loop: Header=BB233_13 Depth=1
	s_delay_alu instid0(SALU_CYCLE_1)
	s_or_b32 exec_lo, exec_lo, s24
	flat_load_u16 v0, v[146:147] offset:256
	v_mov_b32_e32 v164, 0
	v_mov_b32_e32 v165, 0
	s_mov_b32 s18, exec_lo
	s_waitcnt vmcnt(0) lgkmcnt(0)
	v_and_b32_e32 v1, 0xff, v0
	s_delay_alu instid0(VALU_DEP_2) | instskip(SKIP_1) | instid1(VALU_DEP_3)
	v_dual_mov_b32 v167, v165 :: v_dual_and_b32 v0, 0xffff, v0
	v_mov_b32_e32 v166, v164
	v_cmpx_ne_u16_e32 0, v1
	s_cbranch_execz .LBB233_88
; %bb.81:                               ;   in Loop: Header=BB233_13 Depth=1
	v_bfrev_b32_e32 v166, 1
	v_and_b32_e32 v1, 0xff, v0
	v_mov_b32_e32 v167, 0
	s_mov_b32 s24, exec_lo
	s_delay_alu instid0(VALU_DEP_2)
	v_cmpx_ne_u16_e32 0x80, v1
	s_cbranch_execz .LBB233_87
; %bb.82:                               ;   in Loop: Header=BB233_13 Depth=1
	v_mov_b32_e32 v166, 0x7f800001
	v_dual_mov_b32 v167, 0 :: v_dual_and_b32 v4, 0x7f, v0
	s_mov_b32 s25, exec_lo
	s_delay_alu instid0(VALU_DEP_1)
	v_cmpx_ne_u32_e32 0x7f, v4
	s_cbranch_execz .LBB233_86
; %bb.83:                               ;   in Loop: Header=BB233_13 Depth=1
	v_and_b32_e32 v28, 7, v0
	v_lshrrev_b32_e32 v1, 3, v4
	s_mov_b32 s26, exec_lo
	v_cmpx_gt_u32_e32 8, v4
; %bb.84:                               ;   in Loop: Header=BB233_13 Depth=1
	s_delay_alu instid0(VALU_DEP_3) | instskip(NEXT) | instid1(VALU_DEP_1)
	v_clz_i32_u32_e32 v1, v28
	v_min_u32_e32 v1, 32, v1
	s_delay_alu instid0(VALU_DEP_1) | instskip(SKIP_1) | instid1(VALU_DEP_2)
	v_subrev_nc_u32_e32 v4, 28, v1
	v_sub_nc_u32_e32 v1, 29, v1
	v_lshlrev_b64 v[4:5], v4, v[28:29]
	s_delay_alu instid0(VALU_DEP_1)
	v_and_b32_e32 v28, 7, v4
; %bb.85:                               ;   in Loop: Header=BB233_13 Depth=1
	s_or_b32 exec_lo, exec_lo, s26
	v_lshlrev_b32_e32 v4, 24, v0
	s_delay_alu instid0(VALU_DEP_2) | instskip(SKIP_1) | instid1(VALU_DEP_3)
	v_lshlrev_b32_e32 v5, 20, v28
	v_lshl_add_u32 v1, v1, 23, 0x3c000000
	v_and_b32_e32 v4, 0x80000000, v4
	s_delay_alu instid0(VALU_DEP_1) | instskip(NEXT) | instid1(VALU_DEP_1)
	v_or3_b32 v28, v5, v4, v1
	v_dual_mov_b32 v167, v29 :: v_dual_mov_b32 v166, v28
.LBB233_86:                             ;   in Loop: Header=BB233_13 Depth=1
	s_or_b32 exec_lo, exec_lo, s25
.LBB233_87:                             ;   in Loop: Header=BB233_13 Depth=1
	s_delay_alu instid0(SALU_CYCLE_1)
	s_or_b32 exec_lo, exec_lo, s24
.LBB233_88:                             ;   in Loop: Header=BB233_13 Depth=1
	s_delay_alu instid0(SALU_CYCLE_1) | instskip(SKIP_2) | instid1(VALU_DEP_1)
	s_or_b32 exec_lo, exec_lo, s18
	v_lshrrev_b16 v1, 8, v0
	s_mov_b32 s24, exec_lo
	v_cmpx_ne_u16_e32 0, v1
	s_cbranch_execz .LBB233_96
; %bb.89:                               ;   in Loop: Header=BB233_13 Depth=1
	v_dual_mov_b32 v165, s17 :: v_dual_mov_b32 v164, s16
	s_mov_b32 s25, exec_lo
	v_cmpx_ne_u16_e32 0x80, v1
	s_cbranch_execz .LBB233_95
; %bb.90:                               ;   in Loop: Header=BB233_13 Depth=1
	s_mov_b32 s18, s16
	v_and_b32_e32 v1, 0xffff, v1
	v_dual_mov_b32 v165, s19 :: v_dual_mov_b32 v164, s18
	s_mov_b32 s18, exec_lo
	s_delay_alu instid0(VALU_DEP_2) | instskip(NEXT) | instid1(VALU_DEP_1)
	v_and_b32_e32 v4, 0x7f, v1
	v_cmpx_ne_u32_e32 0x7f, v4
	s_cbranch_execz .LBB233_94
; %bb.91:                               ;   in Loop: Header=BB233_13 Depth=1
	v_and_b32_e32 v28, 7, v1
	v_lshrrev_b32_e32 v1, 3, v4
	s_mov_b32 s26, exec_lo
	v_cmpx_gt_u32_e32 8, v4
; %bb.92:                               ;   in Loop: Header=BB233_13 Depth=1
	s_delay_alu instid0(VALU_DEP_3) | instskip(NEXT) | instid1(VALU_DEP_1)
	v_clz_i32_u32_e32 v1, v28
	v_min_u32_e32 v1, 32, v1
	s_delay_alu instid0(VALU_DEP_1) | instskip(SKIP_1) | instid1(VALU_DEP_2)
	v_subrev_nc_u32_e32 v4, 28, v1
	v_sub_nc_u32_e32 v1, 29, v1
	v_lshlrev_b64 v[4:5], v4, v[28:29]
	s_delay_alu instid0(VALU_DEP_1)
	v_and_b32_e32 v28, 7, v4
; %bb.93:                               ;   in Loop: Header=BB233_13 Depth=1
	s_or_b32 exec_lo, exec_lo, s26
	v_lshlrev_b32_e32 v0, 16, v0
	s_delay_alu instid0(VALU_DEP_2) | instskip(SKIP_2) | instid1(VALU_DEP_4)
	v_lshlrev_b32_e32 v4, 20, v28
	v_lshl_add_u32 v1, v1, 23, 0x3c000000
	v_mov_b32_e32 v164, v29
	v_and_b32_e32 v0, 0x80000000, v0
	s_delay_alu instid0(VALU_DEP_1)
	v_or3_b32 v165, v4, v0, v1
.LBB233_94:                             ;   in Loop: Header=BB233_13 Depth=1
	s_or_b32 exec_lo, exec_lo, s18
.LBB233_95:                             ;   in Loop: Header=BB233_13 Depth=1
	s_delay_alu instid0(SALU_CYCLE_1)
	s_or_b32 exec_lo, exec_lo, s25
.LBB233_96:                             ;   in Loop: Header=BB233_13 Depth=1
	s_delay_alu instid0(SALU_CYCLE_1)
	s_or_b32 exec_lo, exec_lo, s24
	flat_load_u16 v0, v[146:147] offset:260
	v_mov_b32_e32 v176, 0
	v_mov_b32_e32 v177, 0
	s_mov_b32 s18, exec_lo
	s_waitcnt vmcnt(0) lgkmcnt(0)
	v_and_b32_e32 v1, 0xff, v0
	s_delay_alu instid0(VALU_DEP_2) | instskip(SKIP_1) | instid1(VALU_DEP_3)
	v_dual_mov_b32 v179, v177 :: v_dual_and_b32 v0, 0xffff, v0
	v_mov_b32_e32 v178, v176
	v_cmpx_ne_u16_e32 0, v1
	s_cbranch_execz .LBB233_104
; %bb.97:                               ;   in Loop: Header=BB233_13 Depth=1
	v_bfrev_b32_e32 v178, 1
	v_and_b32_e32 v1, 0xff, v0
	v_mov_b32_e32 v179, 0
	s_mov_b32 s24, exec_lo
	s_delay_alu instid0(VALU_DEP_2)
	v_cmpx_ne_u16_e32 0x80, v1
	s_cbranch_execz .LBB233_103
; %bb.98:                               ;   in Loop: Header=BB233_13 Depth=1
	v_mov_b32_e32 v178, 0x7f800001
	v_dual_mov_b32 v179, 0 :: v_dual_and_b32 v4, 0x7f, v0
	s_mov_b32 s25, exec_lo
	s_delay_alu instid0(VALU_DEP_1)
	v_cmpx_ne_u32_e32 0x7f, v4
	s_cbranch_execz .LBB233_102
; %bb.99:                               ;   in Loop: Header=BB233_13 Depth=1
	v_and_b32_e32 v28, 7, v0
	v_lshrrev_b32_e32 v1, 3, v4
	s_mov_b32 s26, exec_lo
	v_cmpx_gt_u32_e32 8, v4
; %bb.100:                              ;   in Loop: Header=BB233_13 Depth=1
	s_delay_alu instid0(VALU_DEP_3) | instskip(NEXT) | instid1(VALU_DEP_1)
	v_clz_i32_u32_e32 v1, v28
	v_min_u32_e32 v1, 32, v1
	s_delay_alu instid0(VALU_DEP_1) | instskip(SKIP_1) | instid1(VALU_DEP_2)
	v_subrev_nc_u32_e32 v4, 28, v1
	v_sub_nc_u32_e32 v1, 29, v1
	v_lshlrev_b64 v[4:5], v4, v[28:29]
	s_delay_alu instid0(VALU_DEP_1)
	v_and_b32_e32 v28, 7, v4
; %bb.101:                              ;   in Loop: Header=BB233_13 Depth=1
	s_or_b32 exec_lo, exec_lo, s26
	v_lshlrev_b32_e32 v4, 24, v0
	s_delay_alu instid0(VALU_DEP_2) | instskip(SKIP_1) | instid1(VALU_DEP_3)
	v_lshlrev_b32_e32 v5, 20, v28
	v_lshl_add_u32 v1, v1, 23, 0x3c000000
	v_and_b32_e32 v4, 0x80000000, v4
	s_delay_alu instid0(VALU_DEP_1) | instskip(NEXT) | instid1(VALU_DEP_1)
	v_or3_b32 v28, v5, v4, v1
	v_dual_mov_b32 v179, v29 :: v_dual_mov_b32 v178, v28
.LBB233_102:                            ;   in Loop: Header=BB233_13 Depth=1
	s_or_b32 exec_lo, exec_lo, s25
.LBB233_103:                            ;   in Loop: Header=BB233_13 Depth=1
	s_delay_alu instid0(SALU_CYCLE_1)
	s_or_b32 exec_lo, exec_lo, s24
.LBB233_104:                            ;   in Loop: Header=BB233_13 Depth=1
	s_delay_alu instid0(SALU_CYCLE_1) | instskip(SKIP_2) | instid1(VALU_DEP_1)
	s_or_b32 exec_lo, exec_lo, s18
	v_lshrrev_b16 v1, 8, v0
	s_mov_b32 s24, exec_lo
	v_cmpx_ne_u16_e32 0, v1
	s_cbranch_execz .LBB233_112
; %bb.105:                              ;   in Loop: Header=BB233_13 Depth=1
	v_dual_mov_b32 v177, s17 :: v_dual_mov_b32 v176, s16
	s_mov_b32 s25, exec_lo
	v_cmpx_ne_u16_e32 0x80, v1
	s_cbranch_execz .LBB233_111
; %bb.106:                              ;   in Loop: Header=BB233_13 Depth=1
	s_mov_b32 s18, s16
	v_and_b32_e32 v1, 0xffff, v1
	v_dual_mov_b32 v177, s19 :: v_dual_mov_b32 v176, s18
	s_mov_b32 s18, exec_lo
	s_delay_alu instid0(VALU_DEP_2) | instskip(NEXT) | instid1(VALU_DEP_1)
	v_and_b32_e32 v4, 0x7f, v1
	v_cmpx_ne_u32_e32 0x7f, v4
	s_cbranch_execz .LBB233_110
; %bb.107:                              ;   in Loop: Header=BB233_13 Depth=1
	v_and_b32_e32 v28, 7, v1
	v_lshrrev_b32_e32 v1, 3, v4
	s_mov_b32 s26, exec_lo
	v_cmpx_gt_u32_e32 8, v4
; %bb.108:                              ;   in Loop: Header=BB233_13 Depth=1
	s_delay_alu instid0(VALU_DEP_3) | instskip(NEXT) | instid1(VALU_DEP_1)
	v_clz_i32_u32_e32 v1, v28
	v_min_u32_e32 v1, 32, v1
	s_delay_alu instid0(VALU_DEP_1) | instskip(SKIP_1) | instid1(VALU_DEP_2)
	v_subrev_nc_u32_e32 v4, 28, v1
	v_sub_nc_u32_e32 v1, 29, v1
	v_lshlrev_b64 v[4:5], v4, v[28:29]
	s_delay_alu instid0(VALU_DEP_1)
	v_and_b32_e32 v28, 7, v4
; %bb.109:                              ;   in Loop: Header=BB233_13 Depth=1
	s_or_b32 exec_lo, exec_lo, s26
	v_lshlrev_b32_e32 v0, 16, v0
	s_delay_alu instid0(VALU_DEP_2) | instskip(SKIP_2) | instid1(VALU_DEP_4)
	v_lshlrev_b32_e32 v4, 20, v28
	v_lshl_add_u32 v1, v1, 23, 0x3c000000
	v_mov_b32_e32 v176, v29
	v_and_b32_e32 v0, 0x80000000, v0
	s_delay_alu instid0(VALU_DEP_1)
	v_or3_b32 v177, v4, v0, v1
.LBB233_110:                            ;   in Loop: Header=BB233_13 Depth=1
	s_or_b32 exec_lo, exec_lo, s18
.LBB233_111:                            ;   in Loop: Header=BB233_13 Depth=1
	s_delay_alu instid0(SALU_CYCLE_1)
	s_or_b32 exec_lo, exec_lo, s25
.LBB233_112:                            ;   in Loop: Header=BB233_13 Depth=1
	s_delay_alu instid0(SALU_CYCLE_1) | instskip(SKIP_1) | instid1(VALU_DEP_1)
	s_or_b32 exec_lo, exec_lo, s24
	v_add_co_u32 v4, s2, 0x100, v146
	v_add_co_ci_u32_e64 v5, s2, 0, v147, s2
	s_mov_b32 s18, exec_lo
	flat_load_u16 v0, v[4:5] offset:8
	v_mov_b32_e32 v180, 0
	v_mov_b32_e32 v181, 0
	s_waitcnt vmcnt(0) lgkmcnt(0)
	v_and_b32_e32 v1, 0xff, v0
	s_delay_alu instid0(VALU_DEP_2) | instskip(SKIP_1) | instid1(VALU_DEP_3)
	v_dual_mov_b32 v183, v181 :: v_dual_and_b32 v0, 0xffff, v0
	v_mov_b32_e32 v182, v180
	v_cmpx_ne_u16_e32 0, v1
	s_cbranch_execz .LBB233_120
; %bb.113:                              ;   in Loop: Header=BB233_13 Depth=1
	v_bfrev_b32_e32 v182, 1
	v_and_b32_e32 v1, 0xff, v0
	v_mov_b32_e32 v183, 0
	s_mov_b32 s24, exec_lo
	s_delay_alu instid0(VALU_DEP_2)
	v_cmpx_ne_u16_e32 0x80, v1
	s_cbranch_execz .LBB233_119
; %bb.114:                              ;   in Loop: Header=BB233_13 Depth=1
	v_mov_b32_e32 v182, 0x7f800001
	v_dual_mov_b32 v183, 0 :: v_dual_and_b32 v10, 0x7f, v0
	s_mov_b32 s25, exec_lo
	s_delay_alu instid0(VALU_DEP_1)
	v_cmpx_ne_u32_e32 0x7f, v10
	s_cbranch_execz .LBB233_118
; %bb.115:                              ;   in Loop: Header=BB233_13 Depth=1
	v_and_b32_e32 v28, 7, v0
	v_lshrrev_b32_e32 v1, 3, v10
	s_mov_b32 s26, exec_lo
	v_cmpx_gt_u32_e32 8, v10
; %bb.116:                              ;   in Loop: Header=BB233_13 Depth=1
	s_delay_alu instid0(VALU_DEP_3) | instskip(NEXT) | instid1(VALU_DEP_1)
	v_clz_i32_u32_e32 v1, v28
	v_min_u32_e32 v1, 32, v1
	s_delay_alu instid0(VALU_DEP_1) | instskip(SKIP_1) | instid1(VALU_DEP_2)
	v_subrev_nc_u32_e32 v10, 28, v1
	v_sub_nc_u32_e32 v1, 29, v1
	v_lshlrev_b64 v[10:11], v10, v[28:29]
	s_delay_alu instid0(VALU_DEP_1)
	v_and_b32_e32 v28, 7, v10
; %bb.117:                              ;   in Loop: Header=BB233_13 Depth=1
	s_or_b32 exec_lo, exec_lo, s26
	v_lshlrev_b32_e32 v10, 24, v0
	s_delay_alu instid0(VALU_DEP_2) | instskip(SKIP_1) | instid1(VALU_DEP_3)
	v_lshlrev_b32_e32 v11, 20, v28
	v_lshl_add_u32 v1, v1, 23, 0x3c000000
	v_and_b32_e32 v10, 0x80000000, v10
	s_delay_alu instid0(VALU_DEP_1) | instskip(NEXT) | instid1(VALU_DEP_1)
	v_or3_b32 v28, v11, v10, v1
	v_dual_mov_b32 v183, v29 :: v_dual_mov_b32 v182, v28
.LBB233_118:                            ;   in Loop: Header=BB233_13 Depth=1
	s_or_b32 exec_lo, exec_lo, s25
.LBB233_119:                            ;   in Loop: Header=BB233_13 Depth=1
	s_delay_alu instid0(SALU_CYCLE_1)
	s_or_b32 exec_lo, exec_lo, s24
.LBB233_120:                            ;   in Loop: Header=BB233_13 Depth=1
	s_delay_alu instid0(SALU_CYCLE_1) | instskip(SKIP_2) | instid1(VALU_DEP_1)
	s_or_b32 exec_lo, exec_lo, s18
	v_lshrrev_b16 v1, 8, v0
	s_mov_b32 s24, exec_lo
	v_cmpx_ne_u16_e32 0, v1
	s_cbranch_execz .LBB233_128
; %bb.121:                              ;   in Loop: Header=BB233_13 Depth=1
	v_dual_mov_b32 v181, s17 :: v_dual_mov_b32 v180, s16
	s_mov_b32 s25, exec_lo
	v_cmpx_ne_u16_e32 0x80, v1
	s_cbranch_execz .LBB233_127
; %bb.122:                              ;   in Loop: Header=BB233_13 Depth=1
	s_mov_b32 s18, s16
	v_and_b32_e32 v1, 0xffff, v1
	v_dual_mov_b32 v181, s19 :: v_dual_mov_b32 v180, s18
	s_mov_b32 s18, exec_lo
	s_delay_alu instid0(VALU_DEP_2) | instskip(NEXT) | instid1(VALU_DEP_1)
	v_and_b32_e32 v11, 0x7f, v1
	v_cmpx_ne_u32_e32 0x7f, v11
	s_cbranch_execz .LBB233_126
; %bb.123:                              ;   in Loop: Header=BB233_13 Depth=1
	v_and_b32_e32 v28, 7, v1
	v_lshrrev_b32_e32 v1, 3, v11
	s_mov_b32 s26, exec_lo
	v_cmpx_gt_u32_e32 8, v11
; %bb.124:                              ;   in Loop: Header=BB233_13 Depth=1
	s_delay_alu instid0(VALU_DEP_3) | instskip(NEXT) | instid1(VALU_DEP_1)
	v_clz_i32_u32_e32 v1, v28
	v_min_u32_e32 v1, 32, v1
	s_delay_alu instid0(VALU_DEP_1) | instskip(SKIP_1) | instid1(VALU_DEP_2)
	v_subrev_nc_u32_e32 v10, 28, v1
	v_sub_nc_u32_e32 v1, 29, v1
	v_lshlrev_b64 v[10:11], v10, v[28:29]
	s_delay_alu instid0(VALU_DEP_1)
	v_and_b32_e32 v28, 7, v10
; %bb.125:                              ;   in Loop: Header=BB233_13 Depth=1
	s_or_b32 exec_lo, exec_lo, s26
	v_lshlrev_b32_e32 v0, 16, v0
	s_delay_alu instid0(VALU_DEP_2) | instskip(SKIP_2) | instid1(VALU_DEP_4)
	v_lshlrev_b32_e32 v10, 20, v28
	v_lshl_add_u32 v1, v1, 23, 0x3c000000
	v_mov_b32_e32 v180, v29
	v_and_b32_e32 v0, 0x80000000, v0
	s_delay_alu instid0(VALU_DEP_1)
	v_or3_b32 v181, v10, v0, v1
.LBB233_126:                            ;   in Loop: Header=BB233_13 Depth=1
	s_or_b32 exec_lo, exec_lo, s18
.LBB233_127:                            ;   in Loop: Header=BB233_13 Depth=1
	s_delay_alu instid0(SALU_CYCLE_1)
	s_or_b32 exec_lo, exec_lo, s25
.LBB233_128:                            ;   in Loop: Header=BB233_13 Depth=1
	s_delay_alu instid0(SALU_CYCLE_1)
	s_or_b32 exec_lo, exec_lo, s24
	flat_load_u16 v0, v[4:5] offset:12
	v_mov_b32_e32 v39, 0
	v_mov_b32_e32 v40, 0
	s_mov_b32 s18, exec_lo
	s_waitcnt vmcnt(0) lgkmcnt(0)
	v_and_b32_e32 v1, 0xff, v0
	v_and_b32_e32 v0, 0xffff, v0
	v_dual_mov_b32 v42, v40 :: v_dual_mov_b32 v41, v39
	s_delay_alu instid0(VALU_DEP_3)
	v_cmpx_ne_u16_e32 0, v1
	s_cbranch_execz .LBB233_136
; %bb.129:                              ;   in Loop: Header=BB233_13 Depth=1
	v_bfrev_b32_e32 v41, 1
	v_dual_mov_b32 v42, 0 :: v_dual_and_b32 v1, 0xff, v0
	s_mov_b32 s24, exec_lo
	s_delay_alu instid0(VALU_DEP_1)
	v_cmpx_ne_u16_e32 0x80, v1
	s_cbranch_execz .LBB233_135
; %bb.130:                              ;   in Loop: Header=BB233_13 Depth=1
	v_mov_b32_e32 v41, 0x7f800001
	v_and_b32_e32 v4, 0x7f, v0
	v_mov_b32_e32 v42, 0
	s_mov_b32 s25, exec_lo
	s_delay_alu instid0(VALU_DEP_2)
	v_cmpx_ne_u32_e32 0x7f, v4
	s_cbranch_execz .LBB233_134
; %bb.131:                              ;   in Loop: Header=BB233_13 Depth=1
	v_and_b32_e32 v28, 7, v0
	v_lshrrev_b32_e32 v1, 3, v4
	s_mov_b32 s26, exec_lo
	v_cmpx_gt_u32_e32 8, v4
; %bb.132:                              ;   in Loop: Header=BB233_13 Depth=1
	s_delay_alu instid0(VALU_DEP_3) | instskip(NEXT) | instid1(VALU_DEP_1)
	v_clz_i32_u32_e32 v1, v28
	v_min_u32_e32 v1, 32, v1
	s_delay_alu instid0(VALU_DEP_1) | instskip(SKIP_1) | instid1(VALU_DEP_2)
	v_subrev_nc_u32_e32 v4, 28, v1
	v_sub_nc_u32_e32 v1, 29, v1
	v_lshlrev_b64 v[4:5], v4, v[28:29]
	s_delay_alu instid0(VALU_DEP_1)
	v_and_b32_e32 v28, 7, v4
; %bb.133:                              ;   in Loop: Header=BB233_13 Depth=1
	s_or_b32 exec_lo, exec_lo, s26
	v_lshlrev_b32_e32 v4, 24, v0
	s_delay_alu instid0(VALU_DEP_2) | instskip(SKIP_1) | instid1(VALU_DEP_3)
	v_lshlrev_b32_e32 v5, 20, v28
	v_lshl_add_u32 v1, v1, 23, 0x3c000000
	v_and_b32_e32 v4, 0x80000000, v4
	s_delay_alu instid0(VALU_DEP_1) | instskip(NEXT) | instid1(VALU_DEP_1)
	v_or3_b32 v28, v5, v4, v1
	v_dual_mov_b32 v42, v29 :: v_dual_mov_b32 v41, v28
.LBB233_134:                            ;   in Loop: Header=BB233_13 Depth=1
	s_or_b32 exec_lo, exec_lo, s25
.LBB233_135:                            ;   in Loop: Header=BB233_13 Depth=1
	s_delay_alu instid0(SALU_CYCLE_1)
	s_or_b32 exec_lo, exec_lo, s24
.LBB233_136:                            ;   in Loop: Header=BB233_13 Depth=1
	s_delay_alu instid0(SALU_CYCLE_1) | instskip(SKIP_2) | instid1(VALU_DEP_1)
	s_or_b32 exec_lo, exec_lo, s18
	v_lshrrev_b16 v1, 8, v0
	s_mov_b32 s24, exec_lo
	v_cmpx_ne_u16_e32 0, v1
	s_cbranch_execz .LBB233_144
; %bb.137:                              ;   in Loop: Header=BB233_13 Depth=1
	v_dual_mov_b32 v40, s17 :: v_dual_mov_b32 v39, s16
	s_mov_b32 s25, exec_lo
	v_cmpx_ne_u16_e32 0x80, v1
	s_cbranch_execz .LBB233_143
; %bb.138:                              ;   in Loop: Header=BB233_13 Depth=1
	s_mov_b32 s18, s16
	v_dual_mov_b32 v40, s19 :: v_dual_and_b32 v1, 0xffff, v1
	v_mov_b32_e32 v39, s18
	s_mov_b32 s18, exec_lo
	s_delay_alu instid0(VALU_DEP_2) | instskip(NEXT) | instid1(VALU_DEP_1)
	v_and_b32_e32 v4, 0x7f, v1
	v_cmpx_ne_u32_e32 0x7f, v4
	s_cbranch_execz .LBB233_142
; %bb.139:                              ;   in Loop: Header=BB233_13 Depth=1
	v_and_b32_e32 v28, 7, v1
	v_lshrrev_b32_e32 v1, 3, v4
	s_mov_b32 s26, exec_lo
	v_cmpx_gt_u32_e32 8, v4
; %bb.140:                              ;   in Loop: Header=BB233_13 Depth=1
	s_delay_alu instid0(VALU_DEP_3) | instskip(NEXT) | instid1(VALU_DEP_1)
	v_clz_i32_u32_e32 v1, v28
	v_min_u32_e32 v1, 32, v1
	s_delay_alu instid0(VALU_DEP_1) | instskip(SKIP_1) | instid1(VALU_DEP_2)
	v_subrev_nc_u32_e32 v4, 28, v1
	v_sub_nc_u32_e32 v1, 29, v1
	v_lshlrev_b64 v[4:5], v4, v[28:29]
	s_delay_alu instid0(VALU_DEP_1)
	v_and_b32_e32 v28, 7, v4
; %bb.141:                              ;   in Loop: Header=BB233_13 Depth=1
	s_or_b32 exec_lo, exec_lo, s26
	v_dual_mov_b32 v39, v29 :: v_dual_lshlrev_b32 v0, 16, v0
	s_delay_alu instid0(VALU_DEP_2) | instskip(SKIP_1) | instid1(VALU_DEP_3)
	v_lshlrev_b32_e32 v4, 20, v28
	v_lshl_add_u32 v1, v1, 23, 0x3c000000
	v_and_b32_e32 v0, 0x80000000, v0
	s_delay_alu instid0(VALU_DEP_1)
	v_or3_b32 v40, v4, v0, v1
.LBB233_142:                            ;   in Loop: Header=BB233_13 Depth=1
	s_or_b32 exec_lo, exec_lo, s18
.LBB233_143:                            ;   in Loop: Header=BB233_13 Depth=1
	s_delay_alu instid0(SALU_CYCLE_1)
	s_or_b32 exec_lo, exec_lo, s25
.LBB233_144:                            ;   in Loop: Header=BB233_13 Depth=1
	s_delay_alu instid0(SALU_CYCLE_1)
	s_or_b32 exec_lo, exec_lo, s24
	flat_load_u16 v0, v[146:147] offset:512
	v_mov_b32_e32 v43, 0
	v_mov_b32_e32 v44, 0
	s_mov_b32 s18, exec_lo
	s_waitcnt vmcnt(0) lgkmcnt(0)
	v_and_b32_e32 v1, 0xff, v0
	v_and_b32_e32 v0, 0xffff, v0
	v_dual_mov_b32 v46, v44 :: v_dual_mov_b32 v45, v43
	s_delay_alu instid0(VALU_DEP_3)
	v_cmpx_ne_u16_e32 0, v1
	s_cbranch_execz .LBB233_152
; %bb.145:                              ;   in Loop: Header=BB233_13 Depth=1
	v_bfrev_b32_e32 v45, 1
	v_dual_mov_b32 v46, 0 :: v_dual_and_b32 v1, 0xff, v0
	s_mov_b32 s24, exec_lo
	s_delay_alu instid0(VALU_DEP_1)
	v_cmpx_ne_u16_e32 0x80, v1
	s_cbranch_execz .LBB233_151
; %bb.146:                              ;   in Loop: Header=BB233_13 Depth=1
	v_mov_b32_e32 v45, 0x7f800001
	v_and_b32_e32 v4, 0x7f, v0
	v_mov_b32_e32 v46, 0
	s_mov_b32 s25, exec_lo
	s_delay_alu instid0(VALU_DEP_2)
	v_cmpx_ne_u32_e32 0x7f, v4
	s_cbranch_execz .LBB233_150
; %bb.147:                              ;   in Loop: Header=BB233_13 Depth=1
	v_and_b32_e32 v28, 7, v0
	v_lshrrev_b32_e32 v1, 3, v4
	s_mov_b32 s26, exec_lo
	v_cmpx_gt_u32_e32 8, v4
; %bb.148:                              ;   in Loop: Header=BB233_13 Depth=1
	s_delay_alu instid0(VALU_DEP_3) | instskip(NEXT) | instid1(VALU_DEP_1)
	v_clz_i32_u32_e32 v1, v28
	v_min_u32_e32 v1, 32, v1
	s_delay_alu instid0(VALU_DEP_1) | instskip(SKIP_1) | instid1(VALU_DEP_2)
	v_subrev_nc_u32_e32 v4, 28, v1
	v_sub_nc_u32_e32 v1, 29, v1
	v_lshlrev_b64 v[4:5], v4, v[28:29]
	s_delay_alu instid0(VALU_DEP_1)
	v_and_b32_e32 v28, 7, v4
; %bb.149:                              ;   in Loop: Header=BB233_13 Depth=1
	s_or_b32 exec_lo, exec_lo, s26
	v_lshlrev_b32_e32 v4, 24, v0
	s_delay_alu instid0(VALU_DEP_2) | instskip(SKIP_1) | instid1(VALU_DEP_3)
	v_lshlrev_b32_e32 v5, 20, v28
	v_lshl_add_u32 v1, v1, 23, 0x3c000000
	v_and_b32_e32 v4, 0x80000000, v4
	s_delay_alu instid0(VALU_DEP_1) | instskip(NEXT) | instid1(VALU_DEP_1)
	v_or3_b32 v28, v5, v4, v1
	v_dual_mov_b32 v46, v29 :: v_dual_mov_b32 v45, v28
.LBB233_150:                            ;   in Loop: Header=BB233_13 Depth=1
	s_or_b32 exec_lo, exec_lo, s25
.LBB233_151:                            ;   in Loop: Header=BB233_13 Depth=1
	s_delay_alu instid0(SALU_CYCLE_1)
	s_or_b32 exec_lo, exec_lo, s24
.LBB233_152:                            ;   in Loop: Header=BB233_13 Depth=1
	s_delay_alu instid0(SALU_CYCLE_1) | instskip(SKIP_2) | instid1(VALU_DEP_1)
	s_or_b32 exec_lo, exec_lo, s18
	v_lshrrev_b16 v1, 8, v0
	s_mov_b32 s24, exec_lo
	v_cmpx_ne_u16_e32 0, v1
	s_cbranch_execz .LBB233_160
; %bb.153:                              ;   in Loop: Header=BB233_13 Depth=1
	v_dual_mov_b32 v44, s17 :: v_dual_mov_b32 v43, s16
	s_mov_b32 s25, exec_lo
	v_cmpx_ne_u16_e32 0x80, v1
	s_cbranch_execz .LBB233_159
; %bb.154:                              ;   in Loop: Header=BB233_13 Depth=1
	s_mov_b32 s18, s16
	v_dual_mov_b32 v44, s19 :: v_dual_and_b32 v1, 0xffff, v1
	v_mov_b32_e32 v43, s18
	s_mov_b32 s18, exec_lo
	s_delay_alu instid0(VALU_DEP_2) | instskip(NEXT) | instid1(VALU_DEP_1)
	v_and_b32_e32 v4, 0x7f, v1
	v_cmpx_ne_u32_e32 0x7f, v4
	s_cbranch_execz .LBB233_158
; %bb.155:                              ;   in Loop: Header=BB233_13 Depth=1
	v_and_b32_e32 v28, 7, v1
	v_lshrrev_b32_e32 v1, 3, v4
	s_mov_b32 s26, exec_lo
	v_cmpx_gt_u32_e32 8, v4
; %bb.156:                              ;   in Loop: Header=BB233_13 Depth=1
	s_delay_alu instid0(VALU_DEP_3) | instskip(NEXT) | instid1(VALU_DEP_1)
	v_clz_i32_u32_e32 v1, v28
	v_min_u32_e32 v1, 32, v1
	s_delay_alu instid0(VALU_DEP_1) | instskip(SKIP_1) | instid1(VALU_DEP_2)
	v_subrev_nc_u32_e32 v4, 28, v1
	v_sub_nc_u32_e32 v1, 29, v1
	v_lshlrev_b64 v[4:5], v4, v[28:29]
	s_delay_alu instid0(VALU_DEP_1)
	v_and_b32_e32 v28, 7, v4
; %bb.157:                              ;   in Loop: Header=BB233_13 Depth=1
	s_or_b32 exec_lo, exec_lo, s26
	v_dual_mov_b32 v43, v29 :: v_dual_lshlrev_b32 v0, 16, v0
	s_delay_alu instid0(VALU_DEP_2) | instskip(SKIP_1) | instid1(VALU_DEP_3)
	v_lshlrev_b32_e32 v4, 20, v28
	v_lshl_add_u32 v1, v1, 23, 0x3c000000
	v_and_b32_e32 v0, 0x80000000, v0
	s_delay_alu instid0(VALU_DEP_1)
	v_or3_b32 v44, v4, v0, v1
.LBB233_158:                            ;   in Loop: Header=BB233_13 Depth=1
	s_or_b32 exec_lo, exec_lo, s18
.LBB233_159:                            ;   in Loop: Header=BB233_13 Depth=1
	s_delay_alu instid0(SALU_CYCLE_1)
	s_or_b32 exec_lo, exec_lo, s25
.LBB233_160:                            ;   in Loop: Header=BB233_13 Depth=1
	s_delay_alu instid0(SALU_CYCLE_1)
	s_or_b32 exec_lo, exec_lo, s24
	flat_load_u16 v0, v[146:147] offset:516
	v_mov_b32_e32 v56, 0
	v_mov_b32_e32 v57, 0
	s_mov_b32 s18, exec_lo
	s_waitcnt vmcnt(0) lgkmcnt(0)
	v_and_b32_e32 v1, 0xff, v0
	s_delay_alu instid0(VALU_DEP_2) | instskip(SKIP_1) | instid1(VALU_DEP_3)
	v_dual_mov_b32 v59, v57 :: v_dual_and_b32 v0, 0xffff, v0
	v_mov_b32_e32 v58, v56
	v_cmpx_ne_u16_e32 0, v1
	s_cbranch_execz .LBB233_168
; %bb.161:                              ;   in Loop: Header=BB233_13 Depth=1
	v_bfrev_b32_e32 v58, 1
	v_and_b32_e32 v1, 0xff, v0
	v_mov_b32_e32 v59, 0
	s_mov_b32 s24, exec_lo
	s_delay_alu instid0(VALU_DEP_2)
	v_cmpx_ne_u16_e32 0x80, v1
	s_cbranch_execz .LBB233_167
; %bb.162:                              ;   in Loop: Header=BB233_13 Depth=1
	v_mov_b32_e32 v58, 0x7f800001
	v_dual_mov_b32 v59, 0 :: v_dual_and_b32 v4, 0x7f, v0
	s_mov_b32 s25, exec_lo
	s_delay_alu instid0(VALU_DEP_1)
	v_cmpx_ne_u32_e32 0x7f, v4
	s_cbranch_execz .LBB233_166
; %bb.163:                              ;   in Loop: Header=BB233_13 Depth=1
	v_and_b32_e32 v28, 7, v0
	v_lshrrev_b32_e32 v1, 3, v4
	s_mov_b32 s26, exec_lo
	v_cmpx_gt_u32_e32 8, v4
; %bb.164:                              ;   in Loop: Header=BB233_13 Depth=1
	s_delay_alu instid0(VALU_DEP_3) | instskip(NEXT) | instid1(VALU_DEP_1)
	v_clz_i32_u32_e32 v1, v28
	v_min_u32_e32 v1, 32, v1
	s_delay_alu instid0(VALU_DEP_1) | instskip(SKIP_1) | instid1(VALU_DEP_2)
	v_subrev_nc_u32_e32 v4, 28, v1
	v_sub_nc_u32_e32 v1, 29, v1
	v_lshlrev_b64 v[4:5], v4, v[28:29]
	s_delay_alu instid0(VALU_DEP_1)
	v_and_b32_e32 v28, 7, v4
; %bb.165:                              ;   in Loop: Header=BB233_13 Depth=1
	s_or_b32 exec_lo, exec_lo, s26
	v_lshlrev_b32_e32 v4, 24, v0
	s_delay_alu instid0(VALU_DEP_2) | instskip(SKIP_1) | instid1(VALU_DEP_3)
	v_lshlrev_b32_e32 v5, 20, v28
	v_lshl_add_u32 v1, v1, 23, 0x3c000000
	v_and_b32_e32 v4, 0x80000000, v4
	s_delay_alu instid0(VALU_DEP_1) | instskip(NEXT) | instid1(VALU_DEP_1)
	v_or3_b32 v28, v5, v4, v1
	v_dual_mov_b32 v59, v29 :: v_dual_mov_b32 v58, v28
.LBB233_166:                            ;   in Loop: Header=BB233_13 Depth=1
	s_or_b32 exec_lo, exec_lo, s25
.LBB233_167:                            ;   in Loop: Header=BB233_13 Depth=1
	s_delay_alu instid0(SALU_CYCLE_1)
	s_or_b32 exec_lo, exec_lo, s24
.LBB233_168:                            ;   in Loop: Header=BB233_13 Depth=1
	s_delay_alu instid0(SALU_CYCLE_1) | instskip(SKIP_2) | instid1(VALU_DEP_1)
	s_or_b32 exec_lo, exec_lo, s18
	v_lshrrev_b16 v1, 8, v0
	s_mov_b32 s24, exec_lo
	v_cmpx_ne_u16_e32 0, v1
	s_cbranch_execz .LBB233_176
; %bb.169:                              ;   in Loop: Header=BB233_13 Depth=1
	v_dual_mov_b32 v57, s17 :: v_dual_mov_b32 v56, s16
	s_mov_b32 s25, exec_lo
	v_cmpx_ne_u16_e32 0x80, v1
	s_cbranch_execz .LBB233_175
; %bb.170:                              ;   in Loop: Header=BB233_13 Depth=1
	s_mov_b32 s18, s16
	v_and_b32_e32 v1, 0xffff, v1
	v_dual_mov_b32 v57, s19 :: v_dual_mov_b32 v56, s18
	s_mov_b32 s18, exec_lo
	s_delay_alu instid0(VALU_DEP_2) | instskip(NEXT) | instid1(VALU_DEP_1)
	v_and_b32_e32 v4, 0x7f, v1
	v_cmpx_ne_u32_e32 0x7f, v4
	s_cbranch_execz .LBB233_174
; %bb.171:                              ;   in Loop: Header=BB233_13 Depth=1
	v_and_b32_e32 v28, 7, v1
	v_lshrrev_b32_e32 v1, 3, v4
	s_mov_b32 s26, exec_lo
	v_cmpx_gt_u32_e32 8, v4
; %bb.172:                              ;   in Loop: Header=BB233_13 Depth=1
	s_delay_alu instid0(VALU_DEP_3) | instskip(NEXT) | instid1(VALU_DEP_1)
	v_clz_i32_u32_e32 v1, v28
	v_min_u32_e32 v1, 32, v1
	s_delay_alu instid0(VALU_DEP_1) | instskip(SKIP_1) | instid1(VALU_DEP_2)
	v_subrev_nc_u32_e32 v4, 28, v1
	v_sub_nc_u32_e32 v1, 29, v1
	v_lshlrev_b64 v[4:5], v4, v[28:29]
	s_delay_alu instid0(VALU_DEP_1)
	v_and_b32_e32 v28, 7, v4
; %bb.173:                              ;   in Loop: Header=BB233_13 Depth=1
	s_or_b32 exec_lo, exec_lo, s26
	v_lshlrev_b32_e32 v0, 16, v0
	s_delay_alu instid0(VALU_DEP_2) | instskip(SKIP_2) | instid1(VALU_DEP_4)
	v_lshlrev_b32_e32 v4, 20, v28
	v_lshl_add_u32 v1, v1, 23, 0x3c000000
	v_mov_b32_e32 v56, v29
	v_and_b32_e32 v0, 0x80000000, v0
	s_delay_alu instid0(VALU_DEP_1)
	v_or3_b32 v57, v4, v0, v1
.LBB233_174:                            ;   in Loop: Header=BB233_13 Depth=1
	s_or_b32 exec_lo, exec_lo, s18
.LBB233_175:                            ;   in Loop: Header=BB233_13 Depth=1
	s_delay_alu instid0(SALU_CYCLE_1)
	s_or_b32 exec_lo, exec_lo, s25
.LBB233_176:                            ;   in Loop: Header=BB233_13 Depth=1
	s_delay_alu instid0(SALU_CYCLE_1) | instskip(SKIP_1) | instid1(VALU_DEP_1)
	s_or_b32 exec_lo, exec_lo, s24
	v_add_co_u32 v4, s2, 0x200, v146
	v_add_co_ci_u32_e64 v5, s2, 0, v147, s2
	s_mov_b32 s18, exec_lo
	flat_load_u16 v0, v[4:5] offset:8
	v_mov_b32_e32 v60, 0
	v_mov_b32_e32 v61, 0
	s_waitcnt vmcnt(0) lgkmcnt(0)
	v_and_b32_e32 v1, 0xff, v0
	s_delay_alu instid0(VALU_DEP_2) | instskip(SKIP_1) | instid1(VALU_DEP_3)
	v_dual_mov_b32 v63, v61 :: v_dual_and_b32 v0, 0xffff, v0
	v_mov_b32_e32 v62, v60
	v_cmpx_ne_u16_e32 0, v1
	s_cbranch_execz .LBB233_184
; %bb.177:                              ;   in Loop: Header=BB233_13 Depth=1
	v_bfrev_b32_e32 v62, 1
	v_and_b32_e32 v1, 0xff, v0
	v_mov_b32_e32 v63, 0
	s_mov_b32 s24, exec_lo
	s_delay_alu instid0(VALU_DEP_2)
	v_cmpx_ne_u16_e32 0x80, v1
	s_cbranch_execz .LBB233_183
; %bb.178:                              ;   in Loop: Header=BB233_13 Depth=1
	v_mov_b32_e32 v62, 0x7f800001
	v_dual_mov_b32 v63, 0 :: v_dual_and_b32 v10, 0x7f, v0
	s_mov_b32 s25, exec_lo
	s_delay_alu instid0(VALU_DEP_1)
	v_cmpx_ne_u32_e32 0x7f, v10
	s_cbranch_execz .LBB233_182
; %bb.179:                              ;   in Loop: Header=BB233_13 Depth=1
	v_and_b32_e32 v28, 7, v0
	v_lshrrev_b32_e32 v1, 3, v10
	s_mov_b32 s26, exec_lo
	v_cmpx_gt_u32_e32 8, v10
; %bb.180:                              ;   in Loop: Header=BB233_13 Depth=1
	s_delay_alu instid0(VALU_DEP_3) | instskip(NEXT) | instid1(VALU_DEP_1)
	v_clz_i32_u32_e32 v1, v28
	v_min_u32_e32 v1, 32, v1
	s_delay_alu instid0(VALU_DEP_1) | instskip(SKIP_1) | instid1(VALU_DEP_2)
	v_subrev_nc_u32_e32 v10, 28, v1
	v_sub_nc_u32_e32 v1, 29, v1
	v_lshlrev_b64 v[10:11], v10, v[28:29]
	s_delay_alu instid0(VALU_DEP_1)
	v_and_b32_e32 v28, 7, v10
; %bb.181:                              ;   in Loop: Header=BB233_13 Depth=1
	s_or_b32 exec_lo, exec_lo, s26
	v_lshlrev_b32_e32 v10, 24, v0
	s_delay_alu instid0(VALU_DEP_2) | instskip(SKIP_1) | instid1(VALU_DEP_3)
	v_lshlrev_b32_e32 v11, 20, v28
	v_lshl_add_u32 v1, v1, 23, 0x3c000000
	v_and_b32_e32 v10, 0x80000000, v10
	s_delay_alu instid0(VALU_DEP_1) | instskip(NEXT) | instid1(VALU_DEP_1)
	v_or3_b32 v28, v11, v10, v1
	v_dual_mov_b32 v63, v29 :: v_dual_mov_b32 v62, v28
.LBB233_182:                            ;   in Loop: Header=BB233_13 Depth=1
	s_or_b32 exec_lo, exec_lo, s25
.LBB233_183:                            ;   in Loop: Header=BB233_13 Depth=1
	s_delay_alu instid0(SALU_CYCLE_1)
	s_or_b32 exec_lo, exec_lo, s24
.LBB233_184:                            ;   in Loop: Header=BB233_13 Depth=1
	s_delay_alu instid0(SALU_CYCLE_1) | instskip(SKIP_2) | instid1(VALU_DEP_1)
	s_or_b32 exec_lo, exec_lo, s18
	v_lshrrev_b16 v1, 8, v0
	s_mov_b32 s24, exec_lo
	v_cmpx_ne_u16_e32 0, v1
	s_cbranch_execz .LBB233_192
; %bb.185:                              ;   in Loop: Header=BB233_13 Depth=1
	v_dual_mov_b32 v61, s17 :: v_dual_mov_b32 v60, s16
	s_mov_b32 s25, exec_lo
	v_cmpx_ne_u16_e32 0x80, v1
	s_cbranch_execz .LBB233_191
; %bb.186:                              ;   in Loop: Header=BB233_13 Depth=1
	s_mov_b32 s18, s16
	v_and_b32_e32 v1, 0xffff, v1
	v_dual_mov_b32 v61, s19 :: v_dual_mov_b32 v60, s18
	s_mov_b32 s18, exec_lo
	s_delay_alu instid0(VALU_DEP_2) | instskip(NEXT) | instid1(VALU_DEP_1)
	v_and_b32_e32 v11, 0x7f, v1
	v_cmpx_ne_u32_e32 0x7f, v11
	s_cbranch_execz .LBB233_190
; %bb.187:                              ;   in Loop: Header=BB233_13 Depth=1
	v_and_b32_e32 v28, 7, v1
	v_lshrrev_b32_e32 v1, 3, v11
	s_mov_b32 s26, exec_lo
	v_cmpx_gt_u32_e32 8, v11
; %bb.188:                              ;   in Loop: Header=BB233_13 Depth=1
	s_delay_alu instid0(VALU_DEP_3) | instskip(NEXT) | instid1(VALU_DEP_1)
	v_clz_i32_u32_e32 v1, v28
	v_min_u32_e32 v1, 32, v1
	s_delay_alu instid0(VALU_DEP_1) | instskip(SKIP_1) | instid1(VALU_DEP_2)
	v_subrev_nc_u32_e32 v10, 28, v1
	v_sub_nc_u32_e32 v1, 29, v1
	v_lshlrev_b64 v[10:11], v10, v[28:29]
	s_delay_alu instid0(VALU_DEP_1)
	v_and_b32_e32 v28, 7, v10
; %bb.189:                              ;   in Loop: Header=BB233_13 Depth=1
	s_or_b32 exec_lo, exec_lo, s26
	v_lshlrev_b32_e32 v0, 16, v0
	s_delay_alu instid0(VALU_DEP_2) | instskip(SKIP_2) | instid1(VALU_DEP_4)
	v_lshlrev_b32_e32 v10, 20, v28
	v_lshl_add_u32 v1, v1, 23, 0x3c000000
	v_mov_b32_e32 v60, v29
	v_and_b32_e32 v0, 0x80000000, v0
	s_delay_alu instid0(VALU_DEP_1)
	v_or3_b32 v61, v10, v0, v1
.LBB233_190:                            ;   in Loop: Header=BB233_13 Depth=1
	s_or_b32 exec_lo, exec_lo, s18
.LBB233_191:                            ;   in Loop: Header=BB233_13 Depth=1
	s_delay_alu instid0(SALU_CYCLE_1)
	s_or_b32 exec_lo, exec_lo, s25
.LBB233_192:                            ;   in Loop: Header=BB233_13 Depth=1
	s_delay_alu instid0(SALU_CYCLE_1)
	s_or_b32 exec_lo, exec_lo, s24
	flat_load_u16 v0, v[4:5] offset:12
	v_mov_b32_e32 v72, 0
	v_mov_b32_e32 v73, 0
	s_mov_b32 s18, exec_lo
	s_waitcnt vmcnt(0) lgkmcnt(0)
	v_and_b32_e32 v1, 0xff, v0
	s_delay_alu instid0(VALU_DEP_2) | instskip(SKIP_1) | instid1(VALU_DEP_3)
	v_dual_mov_b32 v75, v73 :: v_dual_and_b32 v0, 0xffff, v0
	v_mov_b32_e32 v74, v72
	v_cmpx_ne_u16_e32 0, v1
	s_cbranch_execz .LBB233_200
; %bb.193:                              ;   in Loop: Header=BB233_13 Depth=1
	v_bfrev_b32_e32 v74, 1
	v_and_b32_e32 v1, 0xff, v0
	v_mov_b32_e32 v75, 0
	s_mov_b32 s24, exec_lo
	s_delay_alu instid0(VALU_DEP_2)
	v_cmpx_ne_u16_e32 0x80, v1
	s_cbranch_execz .LBB233_199
; %bb.194:                              ;   in Loop: Header=BB233_13 Depth=1
	v_mov_b32_e32 v74, 0x7f800001
	v_dual_mov_b32 v75, 0 :: v_dual_and_b32 v4, 0x7f, v0
	s_mov_b32 s25, exec_lo
	s_delay_alu instid0(VALU_DEP_1)
	v_cmpx_ne_u32_e32 0x7f, v4
	s_cbranch_execz .LBB233_198
; %bb.195:                              ;   in Loop: Header=BB233_13 Depth=1
	v_and_b32_e32 v28, 7, v0
	v_lshrrev_b32_e32 v1, 3, v4
	s_mov_b32 s26, exec_lo
	v_cmpx_gt_u32_e32 8, v4
; %bb.196:                              ;   in Loop: Header=BB233_13 Depth=1
	s_delay_alu instid0(VALU_DEP_3) | instskip(NEXT) | instid1(VALU_DEP_1)
	v_clz_i32_u32_e32 v1, v28
	v_min_u32_e32 v1, 32, v1
	s_delay_alu instid0(VALU_DEP_1) | instskip(SKIP_1) | instid1(VALU_DEP_2)
	v_subrev_nc_u32_e32 v4, 28, v1
	v_sub_nc_u32_e32 v1, 29, v1
	v_lshlrev_b64 v[4:5], v4, v[28:29]
	s_delay_alu instid0(VALU_DEP_1)
	v_and_b32_e32 v28, 7, v4
; %bb.197:                              ;   in Loop: Header=BB233_13 Depth=1
	s_or_b32 exec_lo, exec_lo, s26
	v_lshlrev_b32_e32 v4, 24, v0
	s_delay_alu instid0(VALU_DEP_2) | instskip(SKIP_1) | instid1(VALU_DEP_3)
	v_lshlrev_b32_e32 v5, 20, v28
	v_lshl_add_u32 v1, v1, 23, 0x3c000000
	v_and_b32_e32 v4, 0x80000000, v4
	s_delay_alu instid0(VALU_DEP_1) | instskip(NEXT) | instid1(VALU_DEP_1)
	v_or3_b32 v28, v5, v4, v1
	v_dual_mov_b32 v75, v29 :: v_dual_mov_b32 v74, v28
.LBB233_198:                            ;   in Loop: Header=BB233_13 Depth=1
	s_or_b32 exec_lo, exec_lo, s25
.LBB233_199:                            ;   in Loop: Header=BB233_13 Depth=1
	s_delay_alu instid0(SALU_CYCLE_1)
	s_or_b32 exec_lo, exec_lo, s24
.LBB233_200:                            ;   in Loop: Header=BB233_13 Depth=1
	s_delay_alu instid0(SALU_CYCLE_1) | instskip(SKIP_2) | instid1(VALU_DEP_1)
	s_or_b32 exec_lo, exec_lo, s18
	v_lshrrev_b16 v1, 8, v0
	s_mov_b32 s24, exec_lo
	v_cmpx_ne_u16_e32 0, v1
	s_cbranch_execz .LBB233_208
; %bb.201:                              ;   in Loop: Header=BB233_13 Depth=1
	v_dual_mov_b32 v73, s17 :: v_dual_mov_b32 v72, s16
	s_mov_b32 s25, exec_lo
	v_cmpx_ne_u16_e32 0x80, v1
	s_cbranch_execz .LBB233_207
; %bb.202:                              ;   in Loop: Header=BB233_13 Depth=1
	s_mov_b32 s18, s16
	v_and_b32_e32 v1, 0xffff, v1
	v_dual_mov_b32 v73, s19 :: v_dual_mov_b32 v72, s18
	s_mov_b32 s18, exec_lo
	s_delay_alu instid0(VALU_DEP_2) | instskip(NEXT) | instid1(VALU_DEP_1)
	v_and_b32_e32 v4, 0x7f, v1
	v_cmpx_ne_u32_e32 0x7f, v4
	s_cbranch_execz .LBB233_206
; %bb.203:                              ;   in Loop: Header=BB233_13 Depth=1
	v_and_b32_e32 v28, 7, v1
	v_lshrrev_b32_e32 v1, 3, v4
	s_mov_b32 s26, exec_lo
	v_cmpx_gt_u32_e32 8, v4
; %bb.204:                              ;   in Loop: Header=BB233_13 Depth=1
	s_delay_alu instid0(VALU_DEP_3) | instskip(NEXT) | instid1(VALU_DEP_1)
	v_clz_i32_u32_e32 v1, v28
	v_min_u32_e32 v1, 32, v1
	s_delay_alu instid0(VALU_DEP_1) | instskip(SKIP_1) | instid1(VALU_DEP_2)
	v_subrev_nc_u32_e32 v4, 28, v1
	v_sub_nc_u32_e32 v1, 29, v1
	v_lshlrev_b64 v[4:5], v4, v[28:29]
	s_delay_alu instid0(VALU_DEP_1)
	v_and_b32_e32 v28, 7, v4
; %bb.205:                              ;   in Loop: Header=BB233_13 Depth=1
	s_or_b32 exec_lo, exec_lo, s26
	v_lshlrev_b32_e32 v0, 16, v0
	s_delay_alu instid0(VALU_DEP_2) | instskip(SKIP_2) | instid1(VALU_DEP_4)
	v_lshlrev_b32_e32 v4, 20, v28
	v_lshl_add_u32 v1, v1, 23, 0x3c000000
	v_mov_b32_e32 v72, v29
	v_and_b32_e32 v0, 0x80000000, v0
	s_delay_alu instid0(VALU_DEP_1)
	v_or3_b32 v73, v4, v0, v1
.LBB233_206:                            ;   in Loop: Header=BB233_13 Depth=1
	s_or_b32 exec_lo, exec_lo, s18
.LBB233_207:                            ;   in Loop: Header=BB233_13 Depth=1
	s_delay_alu instid0(SALU_CYCLE_1)
	s_or_b32 exec_lo, exec_lo, s25
.LBB233_208:                            ;   in Loop: Header=BB233_13 Depth=1
	s_delay_alu instid0(SALU_CYCLE_1)
	s_or_b32 exec_lo, exec_lo, s24
	flat_load_u16 v0, v[146:147] offset:768
	v_mov_b32_e32 v76, 0
	v_mov_b32_e32 v77, 0
	s_mov_b32 s18, exec_lo
	s_waitcnt vmcnt(0) lgkmcnt(0)
	v_and_b32_e32 v1, 0xff, v0
	s_delay_alu instid0(VALU_DEP_2) | instskip(SKIP_1) | instid1(VALU_DEP_3)
	v_dual_mov_b32 v79, v77 :: v_dual_and_b32 v0, 0xffff, v0
	v_mov_b32_e32 v78, v76
	v_cmpx_ne_u16_e32 0, v1
	s_cbranch_execz .LBB233_216
; %bb.209:                              ;   in Loop: Header=BB233_13 Depth=1
	v_bfrev_b32_e32 v78, 1
	v_and_b32_e32 v1, 0xff, v0
	v_mov_b32_e32 v79, 0
	s_mov_b32 s24, exec_lo
	s_delay_alu instid0(VALU_DEP_2)
	v_cmpx_ne_u16_e32 0x80, v1
	s_cbranch_execz .LBB233_215
; %bb.210:                              ;   in Loop: Header=BB233_13 Depth=1
	v_mov_b32_e32 v78, 0x7f800001
	v_dual_mov_b32 v79, 0 :: v_dual_and_b32 v4, 0x7f, v0
	s_mov_b32 s25, exec_lo
	s_delay_alu instid0(VALU_DEP_1)
	v_cmpx_ne_u32_e32 0x7f, v4
	s_cbranch_execz .LBB233_214
; %bb.211:                              ;   in Loop: Header=BB233_13 Depth=1
	v_and_b32_e32 v28, 7, v0
	v_lshrrev_b32_e32 v1, 3, v4
	s_mov_b32 s26, exec_lo
	v_cmpx_gt_u32_e32 8, v4
; %bb.212:                              ;   in Loop: Header=BB233_13 Depth=1
	s_delay_alu instid0(VALU_DEP_3) | instskip(NEXT) | instid1(VALU_DEP_1)
	v_clz_i32_u32_e32 v1, v28
	v_min_u32_e32 v1, 32, v1
	s_delay_alu instid0(VALU_DEP_1) | instskip(SKIP_1) | instid1(VALU_DEP_2)
	v_subrev_nc_u32_e32 v4, 28, v1
	v_sub_nc_u32_e32 v1, 29, v1
	v_lshlrev_b64 v[4:5], v4, v[28:29]
	s_delay_alu instid0(VALU_DEP_1)
	v_and_b32_e32 v28, 7, v4
; %bb.213:                              ;   in Loop: Header=BB233_13 Depth=1
	s_or_b32 exec_lo, exec_lo, s26
	v_lshlrev_b32_e32 v4, 24, v0
	s_delay_alu instid0(VALU_DEP_2) | instskip(SKIP_1) | instid1(VALU_DEP_3)
	v_lshlrev_b32_e32 v5, 20, v28
	v_lshl_add_u32 v1, v1, 23, 0x3c000000
	v_and_b32_e32 v4, 0x80000000, v4
	s_delay_alu instid0(VALU_DEP_1) | instskip(NEXT) | instid1(VALU_DEP_1)
	v_or3_b32 v28, v5, v4, v1
	v_dual_mov_b32 v79, v29 :: v_dual_mov_b32 v78, v28
.LBB233_214:                            ;   in Loop: Header=BB233_13 Depth=1
	s_or_b32 exec_lo, exec_lo, s25
.LBB233_215:                            ;   in Loop: Header=BB233_13 Depth=1
	s_delay_alu instid0(SALU_CYCLE_1)
	s_or_b32 exec_lo, exec_lo, s24
.LBB233_216:                            ;   in Loop: Header=BB233_13 Depth=1
	s_delay_alu instid0(SALU_CYCLE_1) | instskip(SKIP_2) | instid1(VALU_DEP_1)
	s_or_b32 exec_lo, exec_lo, s18
	v_lshrrev_b16 v1, 8, v0
	s_mov_b32 s24, exec_lo
	v_cmpx_ne_u16_e32 0, v1
	s_cbranch_execz .LBB233_224
; %bb.217:                              ;   in Loop: Header=BB233_13 Depth=1
	v_dual_mov_b32 v77, s17 :: v_dual_mov_b32 v76, s16
	s_mov_b32 s25, exec_lo
	v_cmpx_ne_u16_e32 0x80, v1
	s_cbranch_execz .LBB233_223
; %bb.218:                              ;   in Loop: Header=BB233_13 Depth=1
	s_mov_b32 s18, s16
	v_and_b32_e32 v1, 0xffff, v1
	v_dual_mov_b32 v77, s19 :: v_dual_mov_b32 v76, s18
	s_mov_b32 s18, exec_lo
	s_delay_alu instid0(VALU_DEP_2) | instskip(NEXT) | instid1(VALU_DEP_1)
	v_and_b32_e32 v4, 0x7f, v1
	v_cmpx_ne_u32_e32 0x7f, v4
	s_cbranch_execz .LBB233_222
; %bb.219:                              ;   in Loop: Header=BB233_13 Depth=1
	v_and_b32_e32 v28, 7, v1
	v_lshrrev_b32_e32 v1, 3, v4
	s_mov_b32 s26, exec_lo
	v_cmpx_gt_u32_e32 8, v4
; %bb.220:                              ;   in Loop: Header=BB233_13 Depth=1
	s_delay_alu instid0(VALU_DEP_3) | instskip(NEXT) | instid1(VALU_DEP_1)
	v_clz_i32_u32_e32 v1, v28
	v_min_u32_e32 v1, 32, v1
	s_delay_alu instid0(VALU_DEP_1) | instskip(SKIP_1) | instid1(VALU_DEP_2)
	v_subrev_nc_u32_e32 v4, 28, v1
	v_sub_nc_u32_e32 v1, 29, v1
	v_lshlrev_b64 v[4:5], v4, v[28:29]
	s_delay_alu instid0(VALU_DEP_1)
	v_and_b32_e32 v28, 7, v4
; %bb.221:                              ;   in Loop: Header=BB233_13 Depth=1
	s_or_b32 exec_lo, exec_lo, s26
	v_lshlrev_b32_e32 v0, 16, v0
	s_delay_alu instid0(VALU_DEP_2) | instskip(SKIP_2) | instid1(VALU_DEP_4)
	v_lshlrev_b32_e32 v4, 20, v28
	v_lshl_add_u32 v1, v1, 23, 0x3c000000
	v_mov_b32_e32 v76, v29
	v_and_b32_e32 v0, 0x80000000, v0
	s_delay_alu instid0(VALU_DEP_1)
	v_or3_b32 v77, v4, v0, v1
.LBB233_222:                            ;   in Loop: Header=BB233_13 Depth=1
	s_or_b32 exec_lo, exec_lo, s18
.LBB233_223:                            ;   in Loop: Header=BB233_13 Depth=1
	s_delay_alu instid0(SALU_CYCLE_1)
	s_or_b32 exec_lo, exec_lo, s25
.LBB233_224:                            ;   in Loop: Header=BB233_13 Depth=1
	s_delay_alu instid0(SALU_CYCLE_1)
	s_or_b32 exec_lo, exec_lo, s24
	flat_load_u16 v0, v[146:147] offset:772
	v_mov_b32_e32 v88, 0
	v_mov_b32_e32 v89, 0
	s_mov_b32 s18, exec_lo
	s_waitcnt vmcnt(0) lgkmcnt(0)
	v_and_b32_e32 v1, 0xff, v0
	s_delay_alu instid0(VALU_DEP_2) | instskip(SKIP_1) | instid1(VALU_DEP_3)
	v_dual_mov_b32 v91, v89 :: v_dual_and_b32 v0, 0xffff, v0
	v_mov_b32_e32 v90, v88
	v_cmpx_ne_u16_e32 0, v1
	s_cbranch_execz .LBB233_232
; %bb.225:                              ;   in Loop: Header=BB233_13 Depth=1
	v_bfrev_b32_e32 v90, 1
	v_and_b32_e32 v1, 0xff, v0
	v_mov_b32_e32 v91, 0
	s_mov_b32 s24, exec_lo
	s_delay_alu instid0(VALU_DEP_2)
	v_cmpx_ne_u16_e32 0x80, v1
	s_cbranch_execz .LBB233_231
; %bb.226:                              ;   in Loop: Header=BB233_13 Depth=1
	v_mov_b32_e32 v90, 0x7f800001
	v_dual_mov_b32 v91, 0 :: v_dual_and_b32 v4, 0x7f, v0
	s_mov_b32 s25, exec_lo
	s_delay_alu instid0(VALU_DEP_1)
	v_cmpx_ne_u32_e32 0x7f, v4
	s_cbranch_execz .LBB233_230
; %bb.227:                              ;   in Loop: Header=BB233_13 Depth=1
	v_and_b32_e32 v28, 7, v0
	v_lshrrev_b32_e32 v1, 3, v4
	s_mov_b32 s26, exec_lo
	v_cmpx_gt_u32_e32 8, v4
; %bb.228:                              ;   in Loop: Header=BB233_13 Depth=1
	s_delay_alu instid0(VALU_DEP_3) | instskip(NEXT) | instid1(VALU_DEP_1)
	v_clz_i32_u32_e32 v1, v28
	v_min_u32_e32 v1, 32, v1
	s_delay_alu instid0(VALU_DEP_1) | instskip(SKIP_1) | instid1(VALU_DEP_2)
	v_subrev_nc_u32_e32 v4, 28, v1
	v_sub_nc_u32_e32 v1, 29, v1
	v_lshlrev_b64 v[4:5], v4, v[28:29]
	s_delay_alu instid0(VALU_DEP_1)
	v_and_b32_e32 v28, 7, v4
; %bb.229:                              ;   in Loop: Header=BB233_13 Depth=1
	s_or_b32 exec_lo, exec_lo, s26
	v_lshlrev_b32_e32 v4, 24, v0
	s_delay_alu instid0(VALU_DEP_2) | instskip(SKIP_1) | instid1(VALU_DEP_3)
	v_lshlrev_b32_e32 v5, 20, v28
	v_lshl_add_u32 v1, v1, 23, 0x3c000000
	v_and_b32_e32 v4, 0x80000000, v4
	s_delay_alu instid0(VALU_DEP_1) | instskip(NEXT) | instid1(VALU_DEP_1)
	v_or3_b32 v28, v5, v4, v1
	v_dual_mov_b32 v91, v29 :: v_dual_mov_b32 v90, v28
.LBB233_230:                            ;   in Loop: Header=BB233_13 Depth=1
	s_or_b32 exec_lo, exec_lo, s25
.LBB233_231:                            ;   in Loop: Header=BB233_13 Depth=1
	s_delay_alu instid0(SALU_CYCLE_1)
	s_or_b32 exec_lo, exec_lo, s24
.LBB233_232:                            ;   in Loop: Header=BB233_13 Depth=1
	s_delay_alu instid0(SALU_CYCLE_1) | instskip(SKIP_2) | instid1(VALU_DEP_1)
	s_or_b32 exec_lo, exec_lo, s18
	v_lshrrev_b16 v1, 8, v0
	s_mov_b32 s24, exec_lo
	v_cmpx_ne_u16_e32 0, v1
	s_cbranch_execz .LBB233_240
; %bb.233:                              ;   in Loop: Header=BB233_13 Depth=1
	v_dual_mov_b32 v89, s17 :: v_dual_mov_b32 v88, s16
	s_mov_b32 s25, exec_lo
	v_cmpx_ne_u16_e32 0x80, v1
	s_cbranch_execz .LBB233_239
; %bb.234:                              ;   in Loop: Header=BB233_13 Depth=1
	s_mov_b32 s18, s16
	v_and_b32_e32 v1, 0xffff, v1
	v_dual_mov_b32 v89, s19 :: v_dual_mov_b32 v88, s18
	s_mov_b32 s18, exec_lo
	s_delay_alu instid0(VALU_DEP_2) | instskip(NEXT) | instid1(VALU_DEP_1)
	v_and_b32_e32 v4, 0x7f, v1
	v_cmpx_ne_u32_e32 0x7f, v4
	s_cbranch_execz .LBB233_238
; %bb.235:                              ;   in Loop: Header=BB233_13 Depth=1
	v_and_b32_e32 v28, 7, v1
	v_lshrrev_b32_e32 v1, 3, v4
	s_mov_b32 s26, exec_lo
	v_cmpx_gt_u32_e32 8, v4
; %bb.236:                              ;   in Loop: Header=BB233_13 Depth=1
	s_delay_alu instid0(VALU_DEP_3) | instskip(NEXT) | instid1(VALU_DEP_1)
	v_clz_i32_u32_e32 v1, v28
	v_min_u32_e32 v1, 32, v1
	s_delay_alu instid0(VALU_DEP_1) | instskip(SKIP_1) | instid1(VALU_DEP_2)
	v_subrev_nc_u32_e32 v4, 28, v1
	v_sub_nc_u32_e32 v1, 29, v1
	v_lshlrev_b64 v[4:5], v4, v[28:29]
	s_delay_alu instid0(VALU_DEP_1)
	v_and_b32_e32 v28, 7, v4
; %bb.237:                              ;   in Loop: Header=BB233_13 Depth=1
	s_or_b32 exec_lo, exec_lo, s26
	v_lshlrev_b32_e32 v0, 16, v0
	s_delay_alu instid0(VALU_DEP_2) | instskip(SKIP_2) | instid1(VALU_DEP_4)
	v_lshlrev_b32_e32 v4, 20, v28
	v_lshl_add_u32 v1, v1, 23, 0x3c000000
	v_mov_b32_e32 v88, v29
	v_and_b32_e32 v0, 0x80000000, v0
	s_delay_alu instid0(VALU_DEP_1)
	v_or3_b32 v89, v4, v0, v1
.LBB233_238:                            ;   in Loop: Header=BB233_13 Depth=1
	s_or_b32 exec_lo, exec_lo, s18
.LBB233_239:                            ;   in Loop: Header=BB233_13 Depth=1
	s_delay_alu instid0(SALU_CYCLE_1)
	s_or_b32 exec_lo, exec_lo, s25
.LBB233_240:                            ;   in Loop: Header=BB233_13 Depth=1
	s_delay_alu instid0(SALU_CYCLE_1) | instskip(SKIP_1) | instid1(VALU_DEP_1)
	s_or_b32 exec_lo, exec_lo, s24
	v_add_co_u32 v4, s2, 0x300, v146
	v_add_co_ci_u32_e64 v5, s2, 0, v147, s2
	s_mov_b32 s18, exec_lo
	flat_load_u16 v0, v[4:5] offset:8
	v_mov_b32_e32 v92, 0
	v_mov_b32_e32 v93, 0
	s_waitcnt vmcnt(0) lgkmcnt(0)
	v_and_b32_e32 v1, 0xff, v0
	s_delay_alu instid0(VALU_DEP_2) | instskip(SKIP_1) | instid1(VALU_DEP_3)
	v_dual_mov_b32 v95, v93 :: v_dual_and_b32 v0, 0xffff, v0
	v_mov_b32_e32 v94, v92
	v_cmpx_ne_u16_e32 0, v1
	s_cbranch_execz .LBB233_248
; %bb.241:                              ;   in Loop: Header=BB233_13 Depth=1
	v_bfrev_b32_e32 v94, 1
	v_and_b32_e32 v1, 0xff, v0
	v_mov_b32_e32 v95, 0
	s_mov_b32 s24, exec_lo
	s_delay_alu instid0(VALU_DEP_2)
	v_cmpx_ne_u16_e32 0x80, v1
	s_cbranch_execz .LBB233_247
; %bb.242:                              ;   in Loop: Header=BB233_13 Depth=1
	v_mov_b32_e32 v94, 0x7f800001
	v_dual_mov_b32 v95, 0 :: v_dual_and_b32 v10, 0x7f, v0
	s_mov_b32 s25, exec_lo
	s_delay_alu instid0(VALU_DEP_1)
	v_cmpx_ne_u32_e32 0x7f, v10
	s_cbranch_execz .LBB233_246
; %bb.243:                              ;   in Loop: Header=BB233_13 Depth=1
	v_and_b32_e32 v28, 7, v0
	v_lshrrev_b32_e32 v1, 3, v10
	s_mov_b32 s26, exec_lo
	v_cmpx_gt_u32_e32 8, v10
; %bb.244:                              ;   in Loop: Header=BB233_13 Depth=1
	s_delay_alu instid0(VALU_DEP_3) | instskip(NEXT) | instid1(VALU_DEP_1)
	v_clz_i32_u32_e32 v1, v28
	v_min_u32_e32 v1, 32, v1
	s_delay_alu instid0(VALU_DEP_1) | instskip(SKIP_1) | instid1(VALU_DEP_2)
	v_subrev_nc_u32_e32 v10, 28, v1
	v_sub_nc_u32_e32 v1, 29, v1
	v_lshlrev_b64 v[10:11], v10, v[28:29]
	s_delay_alu instid0(VALU_DEP_1)
	v_and_b32_e32 v28, 7, v10
; %bb.245:                              ;   in Loop: Header=BB233_13 Depth=1
	s_or_b32 exec_lo, exec_lo, s26
	v_lshlrev_b32_e32 v10, 24, v0
	s_delay_alu instid0(VALU_DEP_2) | instskip(SKIP_1) | instid1(VALU_DEP_3)
	v_lshlrev_b32_e32 v11, 20, v28
	v_lshl_add_u32 v1, v1, 23, 0x3c000000
	v_and_b32_e32 v10, 0x80000000, v10
	s_delay_alu instid0(VALU_DEP_1) | instskip(NEXT) | instid1(VALU_DEP_1)
	v_or3_b32 v28, v11, v10, v1
	v_dual_mov_b32 v95, v29 :: v_dual_mov_b32 v94, v28
.LBB233_246:                            ;   in Loop: Header=BB233_13 Depth=1
	s_or_b32 exec_lo, exec_lo, s25
.LBB233_247:                            ;   in Loop: Header=BB233_13 Depth=1
	s_delay_alu instid0(SALU_CYCLE_1)
	s_or_b32 exec_lo, exec_lo, s24
.LBB233_248:                            ;   in Loop: Header=BB233_13 Depth=1
	s_delay_alu instid0(SALU_CYCLE_1) | instskip(SKIP_2) | instid1(VALU_DEP_1)
	s_or_b32 exec_lo, exec_lo, s18
	v_lshrrev_b16 v1, 8, v0
	s_mov_b32 s24, exec_lo
	v_cmpx_ne_u16_e32 0, v1
	s_cbranch_execz .LBB233_256
; %bb.249:                              ;   in Loop: Header=BB233_13 Depth=1
	v_dual_mov_b32 v93, s17 :: v_dual_mov_b32 v92, s16
	s_mov_b32 s25, exec_lo
	v_cmpx_ne_u16_e32 0x80, v1
	s_cbranch_execz .LBB233_255
; %bb.250:                              ;   in Loop: Header=BB233_13 Depth=1
	s_mov_b32 s18, s16
	v_and_b32_e32 v1, 0xffff, v1
	v_dual_mov_b32 v93, s19 :: v_dual_mov_b32 v92, s18
	s_mov_b32 s18, exec_lo
	s_delay_alu instid0(VALU_DEP_2) | instskip(NEXT) | instid1(VALU_DEP_1)
	v_and_b32_e32 v11, 0x7f, v1
	v_cmpx_ne_u32_e32 0x7f, v11
	s_cbranch_execz .LBB233_254
; %bb.251:                              ;   in Loop: Header=BB233_13 Depth=1
	v_and_b32_e32 v28, 7, v1
	v_lshrrev_b32_e32 v1, 3, v11
	s_mov_b32 s26, exec_lo
	v_cmpx_gt_u32_e32 8, v11
; %bb.252:                              ;   in Loop: Header=BB233_13 Depth=1
	s_delay_alu instid0(VALU_DEP_3) | instskip(NEXT) | instid1(VALU_DEP_1)
	v_clz_i32_u32_e32 v1, v28
	v_min_u32_e32 v1, 32, v1
	s_delay_alu instid0(VALU_DEP_1) | instskip(SKIP_1) | instid1(VALU_DEP_2)
	v_subrev_nc_u32_e32 v10, 28, v1
	v_sub_nc_u32_e32 v1, 29, v1
	v_lshlrev_b64 v[10:11], v10, v[28:29]
	s_delay_alu instid0(VALU_DEP_1)
	v_and_b32_e32 v28, 7, v10
; %bb.253:                              ;   in Loop: Header=BB233_13 Depth=1
	s_or_b32 exec_lo, exec_lo, s26
	v_lshlrev_b32_e32 v0, 16, v0
	s_delay_alu instid0(VALU_DEP_2) | instskip(SKIP_2) | instid1(VALU_DEP_4)
	v_lshlrev_b32_e32 v10, 20, v28
	v_lshl_add_u32 v1, v1, 23, 0x3c000000
	v_mov_b32_e32 v92, v29
	v_and_b32_e32 v0, 0x80000000, v0
	s_delay_alu instid0(VALU_DEP_1)
	v_or3_b32 v93, v10, v0, v1
.LBB233_254:                            ;   in Loop: Header=BB233_13 Depth=1
	s_or_b32 exec_lo, exec_lo, s18
.LBB233_255:                            ;   in Loop: Header=BB233_13 Depth=1
	s_delay_alu instid0(SALU_CYCLE_1)
	s_or_b32 exec_lo, exec_lo, s25
.LBB233_256:                            ;   in Loop: Header=BB233_13 Depth=1
	s_delay_alu instid0(SALU_CYCLE_1)
	s_or_b32 exec_lo, exec_lo, s24
	flat_load_u16 v0, v[4:5] offset:12
	v_mov_b32_e32 v104, 0
	v_mov_b32_e32 v105, 0
	s_mov_b32 s18, exec_lo
	s_waitcnt vmcnt(0) lgkmcnt(0)
	v_and_b32_e32 v1, 0xff, v0
	s_delay_alu instid0(VALU_DEP_2) | instskip(SKIP_1) | instid1(VALU_DEP_3)
	v_dual_mov_b32 v107, v105 :: v_dual_and_b32 v0, 0xffff, v0
	v_mov_b32_e32 v106, v104
	v_cmpx_ne_u16_e32 0, v1
	s_cbranch_execz .LBB233_264
; %bb.257:                              ;   in Loop: Header=BB233_13 Depth=1
	v_bfrev_b32_e32 v106, 1
	v_and_b32_e32 v1, 0xff, v0
	v_mov_b32_e32 v107, 0
	s_mov_b32 s24, exec_lo
	s_delay_alu instid0(VALU_DEP_2)
	v_cmpx_ne_u16_e32 0x80, v1
	s_cbranch_execz .LBB233_263
; %bb.258:                              ;   in Loop: Header=BB233_13 Depth=1
	v_mov_b32_e32 v106, 0x7f800001
	v_dual_mov_b32 v107, 0 :: v_dual_and_b32 v4, 0x7f, v0
	s_mov_b32 s25, exec_lo
	s_delay_alu instid0(VALU_DEP_1)
	v_cmpx_ne_u32_e32 0x7f, v4
	s_cbranch_execz .LBB233_262
; %bb.259:                              ;   in Loop: Header=BB233_13 Depth=1
	v_and_b32_e32 v28, 7, v0
	v_lshrrev_b32_e32 v1, 3, v4
	s_mov_b32 s26, exec_lo
	v_cmpx_gt_u32_e32 8, v4
; %bb.260:                              ;   in Loop: Header=BB233_13 Depth=1
	s_delay_alu instid0(VALU_DEP_3) | instskip(NEXT) | instid1(VALU_DEP_1)
	v_clz_i32_u32_e32 v1, v28
	v_min_u32_e32 v1, 32, v1
	s_delay_alu instid0(VALU_DEP_1) | instskip(SKIP_1) | instid1(VALU_DEP_2)
	v_subrev_nc_u32_e32 v4, 28, v1
	v_sub_nc_u32_e32 v1, 29, v1
	v_lshlrev_b64 v[4:5], v4, v[28:29]
	s_delay_alu instid0(VALU_DEP_1)
	v_and_b32_e32 v28, 7, v4
; %bb.261:                              ;   in Loop: Header=BB233_13 Depth=1
	s_or_b32 exec_lo, exec_lo, s26
	v_lshlrev_b32_e32 v4, 24, v0
	s_delay_alu instid0(VALU_DEP_2) | instskip(SKIP_1) | instid1(VALU_DEP_3)
	v_lshlrev_b32_e32 v5, 20, v28
	v_lshl_add_u32 v1, v1, 23, 0x3c000000
	v_and_b32_e32 v4, 0x80000000, v4
	s_delay_alu instid0(VALU_DEP_1) | instskip(NEXT) | instid1(VALU_DEP_1)
	v_or3_b32 v28, v5, v4, v1
	v_dual_mov_b32 v107, v29 :: v_dual_mov_b32 v106, v28
.LBB233_262:                            ;   in Loop: Header=BB233_13 Depth=1
	s_or_b32 exec_lo, exec_lo, s25
.LBB233_263:                            ;   in Loop: Header=BB233_13 Depth=1
	s_delay_alu instid0(SALU_CYCLE_1)
	s_or_b32 exec_lo, exec_lo, s24
.LBB233_264:                            ;   in Loop: Header=BB233_13 Depth=1
	s_delay_alu instid0(SALU_CYCLE_1) | instskip(SKIP_2) | instid1(VALU_DEP_1)
	s_or_b32 exec_lo, exec_lo, s18
	v_lshrrev_b16 v1, 8, v0
	s_mov_b32 s24, exec_lo
	v_cmpx_ne_u16_e32 0, v1
	s_cbranch_execz .LBB233_272
; %bb.265:                              ;   in Loop: Header=BB233_13 Depth=1
	v_dual_mov_b32 v105, s17 :: v_dual_mov_b32 v104, s16
	s_mov_b32 s25, exec_lo
	v_cmpx_ne_u16_e32 0x80, v1
	s_cbranch_execz .LBB233_271
; %bb.266:                              ;   in Loop: Header=BB233_13 Depth=1
	s_mov_b32 s18, s16
	v_and_b32_e32 v1, 0xffff, v1
	v_dual_mov_b32 v105, s19 :: v_dual_mov_b32 v104, s18
	s_mov_b32 s18, exec_lo
	s_delay_alu instid0(VALU_DEP_2) | instskip(NEXT) | instid1(VALU_DEP_1)
	v_and_b32_e32 v4, 0x7f, v1
	v_cmpx_ne_u32_e32 0x7f, v4
	s_cbranch_execz .LBB233_270
; %bb.267:                              ;   in Loop: Header=BB233_13 Depth=1
	v_and_b32_e32 v28, 7, v1
	v_lshrrev_b32_e32 v1, 3, v4
	s_mov_b32 s26, exec_lo
	v_cmpx_gt_u32_e32 8, v4
; %bb.268:                              ;   in Loop: Header=BB233_13 Depth=1
	s_delay_alu instid0(VALU_DEP_3) | instskip(NEXT) | instid1(VALU_DEP_1)
	v_clz_i32_u32_e32 v1, v28
	v_min_u32_e32 v1, 32, v1
	s_delay_alu instid0(VALU_DEP_1) | instskip(SKIP_1) | instid1(VALU_DEP_2)
	v_subrev_nc_u32_e32 v4, 28, v1
	v_sub_nc_u32_e32 v1, 29, v1
	v_lshlrev_b64 v[4:5], v4, v[28:29]
	s_delay_alu instid0(VALU_DEP_1)
	v_and_b32_e32 v28, 7, v4
; %bb.269:                              ;   in Loop: Header=BB233_13 Depth=1
	s_or_b32 exec_lo, exec_lo, s26
	v_lshlrev_b32_e32 v0, 16, v0
	s_delay_alu instid0(VALU_DEP_2) | instskip(SKIP_2) | instid1(VALU_DEP_4)
	v_lshlrev_b32_e32 v4, 20, v28
	v_lshl_add_u32 v1, v1, 23, 0x3c000000
	v_mov_b32_e32 v104, v29
	v_and_b32_e32 v0, 0x80000000, v0
	s_delay_alu instid0(VALU_DEP_1)
	v_or3_b32 v105, v4, v0, v1
.LBB233_270:                            ;   in Loop: Header=BB233_13 Depth=1
	s_or_b32 exec_lo, exec_lo, s18
.LBB233_271:                            ;   in Loop: Header=BB233_13 Depth=1
	s_delay_alu instid0(SALU_CYCLE_1)
	s_or_b32 exec_lo, exec_lo, s25
.LBB233_272:                            ;   in Loop: Header=BB233_13 Depth=1
	s_delay_alu instid0(SALU_CYCLE_1)
	s_or_b32 exec_lo, exec_lo, s24
	flat_load_u16 v0, v[146:147] offset:1024
	v_mov_b32_e32 v108, 0
	v_mov_b32_e32 v109, 0
	s_mov_b32 s18, exec_lo
	s_waitcnt vmcnt(0) lgkmcnt(0)
	v_and_b32_e32 v1, 0xff, v0
	s_delay_alu instid0(VALU_DEP_2) | instskip(SKIP_1) | instid1(VALU_DEP_3)
	v_dual_mov_b32 v111, v109 :: v_dual_and_b32 v0, 0xffff, v0
	v_mov_b32_e32 v110, v108
	v_cmpx_ne_u16_e32 0, v1
	s_cbranch_execz .LBB233_280
; %bb.273:                              ;   in Loop: Header=BB233_13 Depth=1
	v_bfrev_b32_e32 v110, 1
	v_and_b32_e32 v1, 0xff, v0
	v_mov_b32_e32 v111, 0
	s_mov_b32 s24, exec_lo
	s_delay_alu instid0(VALU_DEP_2)
	v_cmpx_ne_u16_e32 0x80, v1
	s_cbranch_execz .LBB233_279
; %bb.274:                              ;   in Loop: Header=BB233_13 Depth=1
	v_mov_b32_e32 v110, 0x7f800001
	v_dual_mov_b32 v111, 0 :: v_dual_and_b32 v4, 0x7f, v0
	s_mov_b32 s25, exec_lo
	s_delay_alu instid0(VALU_DEP_1)
	v_cmpx_ne_u32_e32 0x7f, v4
	s_cbranch_execz .LBB233_278
; %bb.275:                              ;   in Loop: Header=BB233_13 Depth=1
	v_and_b32_e32 v28, 7, v0
	v_lshrrev_b32_e32 v1, 3, v4
	s_mov_b32 s26, exec_lo
	v_cmpx_gt_u32_e32 8, v4
; %bb.276:                              ;   in Loop: Header=BB233_13 Depth=1
	s_delay_alu instid0(VALU_DEP_3) | instskip(NEXT) | instid1(VALU_DEP_1)
	v_clz_i32_u32_e32 v1, v28
	v_min_u32_e32 v1, 32, v1
	s_delay_alu instid0(VALU_DEP_1) | instskip(SKIP_1) | instid1(VALU_DEP_2)
	v_subrev_nc_u32_e32 v4, 28, v1
	v_sub_nc_u32_e32 v1, 29, v1
	v_lshlrev_b64 v[4:5], v4, v[28:29]
	s_delay_alu instid0(VALU_DEP_1)
	v_and_b32_e32 v28, 7, v4
; %bb.277:                              ;   in Loop: Header=BB233_13 Depth=1
	s_or_b32 exec_lo, exec_lo, s26
	v_lshlrev_b32_e32 v4, 24, v0
	s_delay_alu instid0(VALU_DEP_2) | instskip(SKIP_1) | instid1(VALU_DEP_3)
	v_lshlrev_b32_e32 v5, 20, v28
	v_lshl_add_u32 v1, v1, 23, 0x3c000000
	v_and_b32_e32 v4, 0x80000000, v4
	s_delay_alu instid0(VALU_DEP_1) | instskip(NEXT) | instid1(VALU_DEP_1)
	v_or3_b32 v28, v5, v4, v1
	v_dual_mov_b32 v111, v29 :: v_dual_mov_b32 v110, v28
.LBB233_278:                            ;   in Loop: Header=BB233_13 Depth=1
	s_or_b32 exec_lo, exec_lo, s25
.LBB233_279:                            ;   in Loop: Header=BB233_13 Depth=1
	s_delay_alu instid0(SALU_CYCLE_1)
	s_or_b32 exec_lo, exec_lo, s24
.LBB233_280:                            ;   in Loop: Header=BB233_13 Depth=1
	s_delay_alu instid0(SALU_CYCLE_1) | instskip(SKIP_2) | instid1(VALU_DEP_1)
	s_or_b32 exec_lo, exec_lo, s18
	v_lshrrev_b16 v1, 8, v0
	s_mov_b32 s24, exec_lo
	v_cmpx_ne_u16_e32 0, v1
	s_cbranch_execz .LBB233_288
; %bb.281:                              ;   in Loop: Header=BB233_13 Depth=1
	v_dual_mov_b32 v109, s17 :: v_dual_mov_b32 v108, s16
	s_mov_b32 s25, exec_lo
	v_cmpx_ne_u16_e32 0x80, v1
	s_cbranch_execz .LBB233_287
; %bb.282:                              ;   in Loop: Header=BB233_13 Depth=1
	s_mov_b32 s18, s16
	v_and_b32_e32 v1, 0xffff, v1
	v_dual_mov_b32 v109, s19 :: v_dual_mov_b32 v108, s18
	s_mov_b32 s18, exec_lo
	s_delay_alu instid0(VALU_DEP_2) | instskip(NEXT) | instid1(VALU_DEP_1)
	v_and_b32_e32 v4, 0x7f, v1
	v_cmpx_ne_u32_e32 0x7f, v4
	s_cbranch_execz .LBB233_286
; %bb.283:                              ;   in Loop: Header=BB233_13 Depth=1
	v_and_b32_e32 v28, 7, v1
	v_lshrrev_b32_e32 v1, 3, v4
	s_mov_b32 s26, exec_lo
	v_cmpx_gt_u32_e32 8, v4
; %bb.284:                              ;   in Loop: Header=BB233_13 Depth=1
	s_delay_alu instid0(VALU_DEP_3) | instskip(NEXT) | instid1(VALU_DEP_1)
	v_clz_i32_u32_e32 v1, v28
	v_min_u32_e32 v1, 32, v1
	s_delay_alu instid0(VALU_DEP_1) | instskip(SKIP_1) | instid1(VALU_DEP_2)
	v_subrev_nc_u32_e32 v4, 28, v1
	v_sub_nc_u32_e32 v1, 29, v1
	v_lshlrev_b64 v[4:5], v4, v[28:29]
	s_delay_alu instid0(VALU_DEP_1)
	v_and_b32_e32 v28, 7, v4
; %bb.285:                              ;   in Loop: Header=BB233_13 Depth=1
	s_or_b32 exec_lo, exec_lo, s26
	v_lshlrev_b32_e32 v0, 16, v0
	s_delay_alu instid0(VALU_DEP_2) | instskip(SKIP_2) | instid1(VALU_DEP_4)
	v_lshlrev_b32_e32 v4, 20, v28
	v_lshl_add_u32 v1, v1, 23, 0x3c000000
	v_mov_b32_e32 v108, v29
	v_and_b32_e32 v0, 0x80000000, v0
	s_delay_alu instid0(VALU_DEP_1)
	v_or3_b32 v109, v4, v0, v1
.LBB233_286:                            ;   in Loop: Header=BB233_13 Depth=1
	s_or_b32 exec_lo, exec_lo, s18
.LBB233_287:                            ;   in Loop: Header=BB233_13 Depth=1
	s_delay_alu instid0(SALU_CYCLE_1)
	s_or_b32 exec_lo, exec_lo, s25
.LBB233_288:                            ;   in Loop: Header=BB233_13 Depth=1
	s_delay_alu instid0(SALU_CYCLE_1)
	s_or_b32 exec_lo, exec_lo, s24
	flat_load_u16 v0, v[146:147] offset:1028
	v_mov_b32_e32 v120, 0
	v_mov_b32_e32 v121, 0
	s_mov_b32 s18, exec_lo
	s_waitcnt vmcnt(0) lgkmcnt(0)
	v_and_b32_e32 v1, 0xff, v0
	s_delay_alu instid0(VALU_DEP_2) | instskip(SKIP_1) | instid1(VALU_DEP_3)
	v_dual_mov_b32 v123, v121 :: v_dual_and_b32 v0, 0xffff, v0
	v_mov_b32_e32 v122, v120
	v_cmpx_ne_u16_e32 0, v1
	s_cbranch_execz .LBB233_296
; %bb.289:                              ;   in Loop: Header=BB233_13 Depth=1
	v_bfrev_b32_e32 v122, 1
	v_and_b32_e32 v1, 0xff, v0
	v_mov_b32_e32 v123, 0
	s_mov_b32 s24, exec_lo
	s_delay_alu instid0(VALU_DEP_2)
	v_cmpx_ne_u16_e32 0x80, v1
	s_cbranch_execz .LBB233_295
; %bb.290:                              ;   in Loop: Header=BB233_13 Depth=1
	v_mov_b32_e32 v122, 0x7f800001
	v_dual_mov_b32 v123, 0 :: v_dual_and_b32 v4, 0x7f, v0
	s_mov_b32 s25, exec_lo
	s_delay_alu instid0(VALU_DEP_1)
	v_cmpx_ne_u32_e32 0x7f, v4
	s_cbranch_execz .LBB233_294
; %bb.291:                              ;   in Loop: Header=BB233_13 Depth=1
	v_and_b32_e32 v28, 7, v0
	v_lshrrev_b32_e32 v1, 3, v4
	s_mov_b32 s26, exec_lo
	v_cmpx_gt_u32_e32 8, v4
; %bb.292:                              ;   in Loop: Header=BB233_13 Depth=1
	s_delay_alu instid0(VALU_DEP_3) | instskip(NEXT) | instid1(VALU_DEP_1)
	v_clz_i32_u32_e32 v1, v28
	v_min_u32_e32 v1, 32, v1
	s_delay_alu instid0(VALU_DEP_1) | instskip(SKIP_1) | instid1(VALU_DEP_2)
	v_subrev_nc_u32_e32 v4, 28, v1
	v_sub_nc_u32_e32 v1, 29, v1
	v_lshlrev_b64 v[4:5], v4, v[28:29]
	s_delay_alu instid0(VALU_DEP_1)
	v_and_b32_e32 v28, 7, v4
; %bb.293:                              ;   in Loop: Header=BB233_13 Depth=1
	s_or_b32 exec_lo, exec_lo, s26
	v_lshlrev_b32_e32 v4, 24, v0
	s_delay_alu instid0(VALU_DEP_2) | instskip(SKIP_1) | instid1(VALU_DEP_3)
	v_lshlrev_b32_e32 v5, 20, v28
	v_lshl_add_u32 v1, v1, 23, 0x3c000000
	v_and_b32_e32 v4, 0x80000000, v4
	s_delay_alu instid0(VALU_DEP_1) | instskip(NEXT) | instid1(VALU_DEP_1)
	v_or3_b32 v28, v5, v4, v1
	v_dual_mov_b32 v123, v29 :: v_dual_mov_b32 v122, v28
.LBB233_294:                            ;   in Loop: Header=BB233_13 Depth=1
	s_or_b32 exec_lo, exec_lo, s25
.LBB233_295:                            ;   in Loop: Header=BB233_13 Depth=1
	s_delay_alu instid0(SALU_CYCLE_1)
	s_or_b32 exec_lo, exec_lo, s24
.LBB233_296:                            ;   in Loop: Header=BB233_13 Depth=1
	s_delay_alu instid0(SALU_CYCLE_1) | instskip(SKIP_2) | instid1(VALU_DEP_1)
	s_or_b32 exec_lo, exec_lo, s18
	v_lshrrev_b16 v1, 8, v0
	s_mov_b32 s24, exec_lo
	v_cmpx_ne_u16_e32 0, v1
	s_cbranch_execz .LBB233_304
; %bb.297:                              ;   in Loop: Header=BB233_13 Depth=1
	v_dual_mov_b32 v121, s17 :: v_dual_mov_b32 v120, s16
	s_mov_b32 s25, exec_lo
	v_cmpx_ne_u16_e32 0x80, v1
	s_cbranch_execz .LBB233_303
; %bb.298:                              ;   in Loop: Header=BB233_13 Depth=1
	s_mov_b32 s18, s16
	v_and_b32_e32 v1, 0xffff, v1
	v_dual_mov_b32 v121, s19 :: v_dual_mov_b32 v120, s18
	s_mov_b32 s18, exec_lo
	s_delay_alu instid0(VALU_DEP_2) | instskip(NEXT) | instid1(VALU_DEP_1)
	v_and_b32_e32 v4, 0x7f, v1
	v_cmpx_ne_u32_e32 0x7f, v4
	s_cbranch_execz .LBB233_302
; %bb.299:                              ;   in Loop: Header=BB233_13 Depth=1
	v_and_b32_e32 v28, 7, v1
	v_lshrrev_b32_e32 v1, 3, v4
	s_mov_b32 s26, exec_lo
	v_cmpx_gt_u32_e32 8, v4
; %bb.300:                              ;   in Loop: Header=BB233_13 Depth=1
	s_delay_alu instid0(VALU_DEP_3) | instskip(NEXT) | instid1(VALU_DEP_1)
	v_clz_i32_u32_e32 v1, v28
	v_min_u32_e32 v1, 32, v1
	s_delay_alu instid0(VALU_DEP_1) | instskip(SKIP_1) | instid1(VALU_DEP_2)
	v_subrev_nc_u32_e32 v4, 28, v1
	v_sub_nc_u32_e32 v1, 29, v1
	v_lshlrev_b64 v[4:5], v4, v[28:29]
	s_delay_alu instid0(VALU_DEP_1)
	v_and_b32_e32 v28, 7, v4
; %bb.301:                              ;   in Loop: Header=BB233_13 Depth=1
	s_or_b32 exec_lo, exec_lo, s26
	v_lshlrev_b32_e32 v0, 16, v0
	s_delay_alu instid0(VALU_DEP_2) | instskip(SKIP_2) | instid1(VALU_DEP_4)
	v_lshlrev_b32_e32 v4, 20, v28
	v_lshl_add_u32 v1, v1, 23, 0x3c000000
	v_mov_b32_e32 v120, v29
	v_and_b32_e32 v0, 0x80000000, v0
	s_delay_alu instid0(VALU_DEP_1)
	v_or3_b32 v121, v4, v0, v1
.LBB233_302:                            ;   in Loop: Header=BB233_13 Depth=1
	s_or_b32 exec_lo, exec_lo, s18
.LBB233_303:                            ;   in Loop: Header=BB233_13 Depth=1
	s_delay_alu instid0(SALU_CYCLE_1)
	s_or_b32 exec_lo, exec_lo, s25
.LBB233_304:                            ;   in Loop: Header=BB233_13 Depth=1
	s_delay_alu instid0(SALU_CYCLE_1) | instskip(SKIP_1) | instid1(VALU_DEP_1)
	s_or_b32 exec_lo, exec_lo, s24
	v_add_co_u32 v4, s2, 0x400, v146
	v_add_co_ci_u32_e64 v5, s2, 0, v147, s2
	s_mov_b32 s18, exec_lo
	flat_load_u16 v0, v[4:5] offset:8
	v_mov_b32_e32 v124, 0
	v_mov_b32_e32 v125, 0
	s_waitcnt vmcnt(0) lgkmcnt(0)
	v_and_b32_e32 v1, 0xff, v0
	s_delay_alu instid0(VALU_DEP_2) | instskip(SKIP_1) | instid1(VALU_DEP_3)
	v_dual_mov_b32 v127, v125 :: v_dual_and_b32 v0, 0xffff, v0
	v_mov_b32_e32 v126, v124
	v_cmpx_ne_u16_e32 0, v1
	s_cbranch_execz .LBB233_312
; %bb.305:                              ;   in Loop: Header=BB233_13 Depth=1
	v_bfrev_b32_e32 v126, 1
	v_and_b32_e32 v1, 0xff, v0
	v_mov_b32_e32 v127, 0
	s_mov_b32 s24, exec_lo
	s_delay_alu instid0(VALU_DEP_2)
	v_cmpx_ne_u16_e32 0x80, v1
	s_cbranch_execz .LBB233_311
; %bb.306:                              ;   in Loop: Header=BB233_13 Depth=1
	v_mov_b32_e32 v126, 0x7f800001
	v_dual_mov_b32 v127, 0 :: v_dual_and_b32 v10, 0x7f, v0
	s_mov_b32 s25, exec_lo
	s_delay_alu instid0(VALU_DEP_1)
	v_cmpx_ne_u32_e32 0x7f, v10
	s_cbranch_execz .LBB233_310
; %bb.307:                              ;   in Loop: Header=BB233_13 Depth=1
	v_and_b32_e32 v28, 7, v0
	v_lshrrev_b32_e32 v1, 3, v10
	s_mov_b32 s26, exec_lo
	v_cmpx_gt_u32_e32 8, v10
; %bb.308:                              ;   in Loop: Header=BB233_13 Depth=1
	s_delay_alu instid0(VALU_DEP_3) | instskip(NEXT) | instid1(VALU_DEP_1)
	v_clz_i32_u32_e32 v1, v28
	v_min_u32_e32 v1, 32, v1
	s_delay_alu instid0(VALU_DEP_1) | instskip(SKIP_1) | instid1(VALU_DEP_2)
	v_subrev_nc_u32_e32 v10, 28, v1
	v_sub_nc_u32_e32 v1, 29, v1
	v_lshlrev_b64 v[10:11], v10, v[28:29]
	s_delay_alu instid0(VALU_DEP_1)
	v_and_b32_e32 v28, 7, v10
; %bb.309:                              ;   in Loop: Header=BB233_13 Depth=1
	s_or_b32 exec_lo, exec_lo, s26
	v_lshlrev_b32_e32 v10, 24, v0
	s_delay_alu instid0(VALU_DEP_2) | instskip(SKIP_1) | instid1(VALU_DEP_3)
	v_lshlrev_b32_e32 v11, 20, v28
	v_lshl_add_u32 v1, v1, 23, 0x3c000000
	v_and_b32_e32 v10, 0x80000000, v10
	s_delay_alu instid0(VALU_DEP_1) | instskip(NEXT) | instid1(VALU_DEP_1)
	v_or3_b32 v28, v11, v10, v1
	v_dual_mov_b32 v127, v29 :: v_dual_mov_b32 v126, v28
.LBB233_310:                            ;   in Loop: Header=BB233_13 Depth=1
	s_or_b32 exec_lo, exec_lo, s25
.LBB233_311:                            ;   in Loop: Header=BB233_13 Depth=1
	s_delay_alu instid0(SALU_CYCLE_1)
	s_or_b32 exec_lo, exec_lo, s24
.LBB233_312:                            ;   in Loop: Header=BB233_13 Depth=1
	s_delay_alu instid0(SALU_CYCLE_1) | instskip(SKIP_2) | instid1(VALU_DEP_1)
	s_or_b32 exec_lo, exec_lo, s18
	v_lshrrev_b16 v1, 8, v0
	s_mov_b32 s24, exec_lo
	v_cmpx_ne_u16_e32 0, v1
	s_cbranch_execz .LBB233_320
; %bb.313:                              ;   in Loop: Header=BB233_13 Depth=1
	v_dual_mov_b32 v125, s17 :: v_dual_mov_b32 v124, s16
	s_mov_b32 s25, exec_lo
	v_cmpx_ne_u16_e32 0x80, v1
	s_cbranch_execz .LBB233_319
; %bb.314:                              ;   in Loop: Header=BB233_13 Depth=1
	s_mov_b32 s18, s16
	v_and_b32_e32 v1, 0xffff, v1
	v_dual_mov_b32 v125, s19 :: v_dual_mov_b32 v124, s18
	s_mov_b32 s18, exec_lo
	s_delay_alu instid0(VALU_DEP_2) | instskip(NEXT) | instid1(VALU_DEP_1)
	v_and_b32_e32 v11, 0x7f, v1
	v_cmpx_ne_u32_e32 0x7f, v11
	s_cbranch_execz .LBB233_318
; %bb.315:                              ;   in Loop: Header=BB233_13 Depth=1
	v_and_b32_e32 v28, 7, v1
	v_lshrrev_b32_e32 v1, 3, v11
	s_mov_b32 s26, exec_lo
	v_cmpx_gt_u32_e32 8, v11
; %bb.316:                              ;   in Loop: Header=BB233_13 Depth=1
	s_delay_alu instid0(VALU_DEP_3) | instskip(NEXT) | instid1(VALU_DEP_1)
	v_clz_i32_u32_e32 v1, v28
	v_min_u32_e32 v1, 32, v1
	s_delay_alu instid0(VALU_DEP_1) | instskip(SKIP_1) | instid1(VALU_DEP_2)
	v_subrev_nc_u32_e32 v10, 28, v1
	v_sub_nc_u32_e32 v1, 29, v1
	v_lshlrev_b64 v[10:11], v10, v[28:29]
	s_delay_alu instid0(VALU_DEP_1)
	v_and_b32_e32 v28, 7, v10
; %bb.317:                              ;   in Loop: Header=BB233_13 Depth=1
	s_or_b32 exec_lo, exec_lo, s26
	v_lshlrev_b32_e32 v0, 16, v0
	s_delay_alu instid0(VALU_DEP_2) | instskip(SKIP_2) | instid1(VALU_DEP_4)
	v_lshlrev_b32_e32 v10, 20, v28
	v_lshl_add_u32 v1, v1, 23, 0x3c000000
	v_mov_b32_e32 v124, v29
	v_and_b32_e32 v0, 0x80000000, v0
	s_delay_alu instid0(VALU_DEP_1)
	v_or3_b32 v125, v10, v0, v1
.LBB233_318:                            ;   in Loop: Header=BB233_13 Depth=1
	s_or_b32 exec_lo, exec_lo, s18
.LBB233_319:                            ;   in Loop: Header=BB233_13 Depth=1
	s_delay_alu instid0(SALU_CYCLE_1)
	s_or_b32 exec_lo, exec_lo, s25
.LBB233_320:                            ;   in Loop: Header=BB233_13 Depth=1
	s_delay_alu instid0(SALU_CYCLE_1)
	s_or_b32 exec_lo, exec_lo, s24
	flat_load_u16 v0, v[4:5] offset:12
	v_mov_b32_e32 v136, 0
	v_mov_b32_e32 v137, 0
	s_mov_b32 s18, exec_lo
	s_waitcnt vmcnt(0) lgkmcnt(0)
	v_and_b32_e32 v1, 0xff, v0
	s_delay_alu instid0(VALU_DEP_2) | instskip(SKIP_1) | instid1(VALU_DEP_3)
	v_dual_mov_b32 v139, v137 :: v_dual_and_b32 v0, 0xffff, v0
	v_mov_b32_e32 v138, v136
	v_cmpx_ne_u16_e32 0, v1
	s_cbranch_execz .LBB233_328
; %bb.321:                              ;   in Loop: Header=BB233_13 Depth=1
	v_bfrev_b32_e32 v138, 1
	v_and_b32_e32 v1, 0xff, v0
	v_mov_b32_e32 v139, 0
	s_mov_b32 s24, exec_lo
	s_delay_alu instid0(VALU_DEP_2)
	v_cmpx_ne_u16_e32 0x80, v1
	s_cbranch_execz .LBB233_327
; %bb.322:                              ;   in Loop: Header=BB233_13 Depth=1
	v_mov_b32_e32 v138, 0x7f800001
	v_dual_mov_b32 v139, 0 :: v_dual_and_b32 v4, 0x7f, v0
	s_mov_b32 s25, exec_lo
	s_delay_alu instid0(VALU_DEP_1)
	v_cmpx_ne_u32_e32 0x7f, v4
	s_cbranch_execz .LBB233_326
; %bb.323:                              ;   in Loop: Header=BB233_13 Depth=1
	v_and_b32_e32 v28, 7, v0
	v_lshrrev_b32_e32 v1, 3, v4
	s_mov_b32 s26, exec_lo
	v_cmpx_gt_u32_e32 8, v4
; %bb.324:                              ;   in Loop: Header=BB233_13 Depth=1
	s_delay_alu instid0(VALU_DEP_3) | instskip(NEXT) | instid1(VALU_DEP_1)
	v_clz_i32_u32_e32 v1, v28
	v_min_u32_e32 v1, 32, v1
	s_delay_alu instid0(VALU_DEP_1) | instskip(SKIP_1) | instid1(VALU_DEP_2)
	v_subrev_nc_u32_e32 v4, 28, v1
	v_sub_nc_u32_e32 v1, 29, v1
	v_lshlrev_b64 v[4:5], v4, v[28:29]
	s_delay_alu instid0(VALU_DEP_1)
	v_and_b32_e32 v28, 7, v4
; %bb.325:                              ;   in Loop: Header=BB233_13 Depth=1
	s_or_b32 exec_lo, exec_lo, s26
	v_lshlrev_b32_e32 v4, 24, v0
	s_delay_alu instid0(VALU_DEP_2) | instskip(SKIP_1) | instid1(VALU_DEP_3)
	v_lshlrev_b32_e32 v5, 20, v28
	v_lshl_add_u32 v1, v1, 23, 0x3c000000
	v_and_b32_e32 v4, 0x80000000, v4
	s_delay_alu instid0(VALU_DEP_1) | instskip(NEXT) | instid1(VALU_DEP_1)
	v_or3_b32 v28, v5, v4, v1
	v_dual_mov_b32 v139, v29 :: v_dual_mov_b32 v138, v28
.LBB233_326:                            ;   in Loop: Header=BB233_13 Depth=1
	s_or_b32 exec_lo, exec_lo, s25
.LBB233_327:                            ;   in Loop: Header=BB233_13 Depth=1
	s_delay_alu instid0(SALU_CYCLE_1)
	s_or_b32 exec_lo, exec_lo, s24
.LBB233_328:                            ;   in Loop: Header=BB233_13 Depth=1
	s_delay_alu instid0(SALU_CYCLE_1) | instskip(SKIP_2) | instid1(VALU_DEP_1)
	s_or_b32 exec_lo, exec_lo, s18
	v_lshrrev_b16 v1, 8, v0
	s_mov_b32 s24, exec_lo
	v_cmpx_ne_u16_e32 0, v1
	s_cbranch_execz .LBB233_336
; %bb.329:                              ;   in Loop: Header=BB233_13 Depth=1
	v_dual_mov_b32 v137, s17 :: v_dual_mov_b32 v136, s16
	s_mov_b32 s25, exec_lo
	v_cmpx_ne_u16_e32 0x80, v1
	s_cbranch_execz .LBB233_335
; %bb.330:                              ;   in Loop: Header=BB233_13 Depth=1
	s_mov_b32 s18, s16
	v_and_b32_e32 v1, 0xffff, v1
	v_dual_mov_b32 v137, s19 :: v_dual_mov_b32 v136, s18
	s_mov_b32 s18, exec_lo
	s_delay_alu instid0(VALU_DEP_2) | instskip(NEXT) | instid1(VALU_DEP_1)
	v_and_b32_e32 v4, 0x7f, v1
	v_cmpx_ne_u32_e32 0x7f, v4
	s_cbranch_execz .LBB233_334
; %bb.331:                              ;   in Loop: Header=BB233_13 Depth=1
	v_and_b32_e32 v28, 7, v1
	v_lshrrev_b32_e32 v1, 3, v4
	s_mov_b32 s26, exec_lo
	v_cmpx_gt_u32_e32 8, v4
; %bb.332:                              ;   in Loop: Header=BB233_13 Depth=1
	s_delay_alu instid0(VALU_DEP_3) | instskip(NEXT) | instid1(VALU_DEP_1)
	v_clz_i32_u32_e32 v1, v28
	v_min_u32_e32 v1, 32, v1
	s_delay_alu instid0(VALU_DEP_1) | instskip(SKIP_1) | instid1(VALU_DEP_2)
	v_subrev_nc_u32_e32 v4, 28, v1
	v_sub_nc_u32_e32 v1, 29, v1
	v_lshlrev_b64 v[4:5], v4, v[28:29]
	s_delay_alu instid0(VALU_DEP_1)
	v_and_b32_e32 v28, 7, v4
; %bb.333:                              ;   in Loop: Header=BB233_13 Depth=1
	s_or_b32 exec_lo, exec_lo, s26
	v_lshlrev_b32_e32 v0, 16, v0
	s_delay_alu instid0(VALU_DEP_2) | instskip(SKIP_2) | instid1(VALU_DEP_4)
	v_lshlrev_b32_e32 v4, 20, v28
	v_lshl_add_u32 v1, v1, 23, 0x3c000000
	v_mov_b32_e32 v136, v29
	v_and_b32_e32 v0, 0x80000000, v0
	s_delay_alu instid0(VALU_DEP_1)
	v_or3_b32 v137, v4, v0, v1
.LBB233_334:                            ;   in Loop: Header=BB233_13 Depth=1
	s_or_b32 exec_lo, exec_lo, s18
.LBB233_335:                            ;   in Loop: Header=BB233_13 Depth=1
	s_delay_alu instid0(SALU_CYCLE_1)
	s_or_b32 exec_lo, exec_lo, s25
.LBB233_336:                            ;   in Loop: Header=BB233_13 Depth=1
	s_delay_alu instid0(SALU_CYCLE_1)
	s_or_b32 exec_lo, exec_lo, s24
	flat_load_u16 v0, v[146:147] offset:1280
	v_mov_b32_e32 v140, 0
	v_mov_b32_e32 v141, 0
	s_mov_b32 s18, exec_lo
	s_waitcnt vmcnt(0) lgkmcnt(0)
	v_and_b32_e32 v4, 0xffff, v0
	v_and_b32_e32 v1, 0xff, v0
	v_dual_mov_b32 v143, v141 :: v_dual_mov_b32 v142, v140
	s_delay_alu instid0(VALU_DEP_2)
	v_cmpx_ne_u16_e32 0, v1
	s_cbranch_execz .LBB233_344
; %bb.337:                              ;   in Loop: Header=BB233_13 Depth=1
	v_bfrev_b32_e32 v142, 1
	v_dual_mov_b32 v143, 0 :: v_dual_and_b32 v0, 0xff, v4
	s_mov_b32 s24, exec_lo
	s_delay_alu instid0(VALU_DEP_1)
	v_cmpx_ne_u16_e32 0x80, v0
	s_cbranch_execz .LBB233_343
; %bb.338:                              ;   in Loop: Header=BB233_13 Depth=1
	v_mov_b32_e32 v142, 0x7f800001
	v_and_b32_e32 v1, 0x7f, v4
	v_mov_b32_e32 v143, 0
	s_mov_b32 s25, exec_lo
	s_delay_alu instid0(VALU_DEP_2)
	v_cmpx_ne_u32_e32 0x7f, v1
	s_cbranch_execz .LBB233_342
; %bb.339:                              ;   in Loop: Header=BB233_13 Depth=1
	v_and_b32_e32 v28, 7, v4
	v_lshrrev_b32_e32 v0, 3, v1
	s_mov_b32 s26, exec_lo
	v_cmpx_gt_u32_e32 8, v1
; %bb.340:                              ;   in Loop: Header=BB233_13 Depth=1
	s_delay_alu instid0(VALU_DEP_3) | instskip(NEXT) | instid1(VALU_DEP_1)
	v_clz_i32_u32_e32 v0, v28
	v_min_u32_e32 v0, 32, v0
	s_delay_alu instid0(VALU_DEP_1) | instskip(SKIP_1) | instid1(VALU_DEP_2)
	v_subrev_nc_u32_e32 v1, 28, v0
	v_sub_nc_u32_e32 v0, 29, v0
	v_lshlrev_b64 v[10:11], v1, v[28:29]
	s_delay_alu instid0(VALU_DEP_1)
	v_and_b32_e32 v28, 7, v10
; %bb.341:                              ;   in Loop: Header=BB233_13 Depth=1
	s_or_b32 exec_lo, exec_lo, s26
	v_lshlrev_b32_e32 v1, 24, v4
	s_delay_alu instid0(VALU_DEP_2) | instskip(SKIP_1) | instid1(VALU_DEP_3)
	v_lshlrev_b32_e32 v5, 20, v28
	v_lshl_add_u32 v0, v0, 23, 0x3c000000
	v_and_b32_e32 v1, 0x80000000, v1
	s_delay_alu instid0(VALU_DEP_1) | instskip(NEXT) | instid1(VALU_DEP_1)
	v_or3_b32 v28, v5, v1, v0
	v_dual_mov_b32 v143, v29 :: v_dual_mov_b32 v142, v28
.LBB233_342:                            ;   in Loop: Header=BB233_13 Depth=1
	s_or_b32 exec_lo, exec_lo, s25
.LBB233_343:                            ;   in Loop: Header=BB233_13 Depth=1
	s_delay_alu instid0(SALU_CYCLE_1)
	s_or_b32 exec_lo, exec_lo, s24
.LBB233_344:                            ;   in Loop: Header=BB233_13 Depth=1
	s_delay_alu instid0(SALU_CYCLE_1) | instskip(SKIP_2) | instid1(VALU_DEP_1)
	s_or_b32 exec_lo, exec_lo, s18
	v_lshrrev_b16 v0, 8, v4
	s_mov_b32 s24, exec_lo
	v_cmpx_ne_u16_e32 0, v0
	s_cbranch_execz .LBB233_352
; %bb.345:                              ;   in Loop: Header=BB233_13 Depth=1
	v_dual_mov_b32 v141, s17 :: v_dual_mov_b32 v140, s16
	s_mov_b32 s25, exec_lo
	v_cmpx_ne_u16_e32 0x80, v0
	s_cbranch_execz .LBB233_351
; %bb.346:                              ;   in Loop: Header=BB233_13 Depth=1
	s_mov_b32 s18, s16
	v_dual_mov_b32 v141, s19 :: v_dual_and_b32 v0, 0xffff, v0
	v_mov_b32_e32 v140, s18
	s_mov_b32 s18, exec_lo
	s_delay_alu instid0(VALU_DEP_2) | instskip(NEXT) | instid1(VALU_DEP_1)
	v_and_b32_e32 v1, 0x7f, v0
	v_cmpx_ne_u32_e32 0x7f, v1
	s_cbranch_execz .LBB233_350
; %bb.347:                              ;   in Loop: Header=BB233_13 Depth=1
	v_and_b32_e32 v28, 7, v0
	v_lshrrev_b32_e32 v0, 3, v1
	s_mov_b32 s26, exec_lo
	v_cmpx_gt_u32_e32 8, v1
; %bb.348:                              ;   in Loop: Header=BB233_13 Depth=1
	s_delay_alu instid0(VALU_DEP_3) | instskip(NEXT) | instid1(VALU_DEP_1)
	v_clz_i32_u32_e32 v0, v28
	v_min_u32_e32 v0, 32, v0
	s_delay_alu instid0(VALU_DEP_1) | instskip(SKIP_1) | instid1(VALU_DEP_2)
	v_subrev_nc_u32_e32 v1, 28, v0
	v_sub_nc_u32_e32 v0, 29, v0
	v_lshlrev_b64 v[10:11], v1, v[28:29]
	s_delay_alu instid0(VALU_DEP_1)
	v_and_b32_e32 v28, 7, v10
; %bb.349:                              ;   in Loop: Header=BB233_13 Depth=1
	s_or_b32 exec_lo, exec_lo, s26
	v_dual_mov_b32 v140, v29 :: v_dual_lshlrev_b32 v1, 16, v4
	s_delay_alu instid0(VALU_DEP_2) | instskip(SKIP_1) | instid1(VALU_DEP_3)
	v_lshlrev_b32_e32 v4, 20, v28
	v_lshl_add_u32 v0, v0, 23, 0x3c000000
	v_and_b32_e32 v1, 0x80000000, v1
	s_delay_alu instid0(VALU_DEP_1)
	v_or3_b32 v141, v4, v1, v0
.LBB233_350:                            ;   in Loop: Header=BB233_13 Depth=1
	s_or_b32 exec_lo, exec_lo, s18
.LBB233_351:                            ;   in Loop: Header=BB233_13 Depth=1
	s_delay_alu instid0(SALU_CYCLE_1)
	s_or_b32 exec_lo, exec_lo, s25
.LBB233_352:                            ;   in Loop: Header=BB233_13 Depth=1
	s_delay_alu instid0(SALU_CYCLE_1)
	s_or_b32 exec_lo, exec_lo, s24
	flat_load_u16 v0, v[146:147] offset:1284
	v_mov_b32_e32 v152, 0
	v_mov_b32_e32 v153, 0
	s_mov_b32 s18, exec_lo
	s_waitcnt vmcnt(0) lgkmcnt(0)
	v_and_b32_e32 v4, 0xffff, v0
	v_and_b32_e32 v1, 0xff, v0
	v_dual_mov_b32 v155, v153 :: v_dual_mov_b32 v154, v152
	s_delay_alu instid0(VALU_DEP_2)
	v_cmpx_ne_u16_e32 0, v1
	s_cbranch_execz .LBB233_360
; %bb.353:                              ;   in Loop: Header=BB233_13 Depth=1
	v_bfrev_b32_e32 v154, 1
	v_dual_mov_b32 v155, 0 :: v_dual_and_b32 v0, 0xff, v4
	s_mov_b32 s24, exec_lo
	s_delay_alu instid0(VALU_DEP_1)
	v_cmpx_ne_u16_e32 0x80, v0
	s_cbranch_execz .LBB233_359
; %bb.354:                              ;   in Loop: Header=BB233_13 Depth=1
	v_mov_b32_e32 v154, 0x7f800001
	v_and_b32_e32 v1, 0x7f, v4
	v_mov_b32_e32 v155, 0
	s_mov_b32 s25, exec_lo
	s_delay_alu instid0(VALU_DEP_2)
	v_cmpx_ne_u32_e32 0x7f, v1
	s_cbranch_execz .LBB233_358
; %bb.355:                              ;   in Loop: Header=BB233_13 Depth=1
	v_and_b32_e32 v28, 7, v4
	v_lshrrev_b32_e32 v0, 3, v1
	s_mov_b32 s26, exec_lo
	v_cmpx_gt_u32_e32 8, v1
; %bb.356:                              ;   in Loop: Header=BB233_13 Depth=1
	s_delay_alu instid0(VALU_DEP_3) | instskip(NEXT) | instid1(VALU_DEP_1)
	v_clz_i32_u32_e32 v0, v28
	v_min_u32_e32 v0, 32, v0
	s_delay_alu instid0(VALU_DEP_1) | instskip(SKIP_1) | instid1(VALU_DEP_2)
	v_subrev_nc_u32_e32 v1, 28, v0
	v_sub_nc_u32_e32 v0, 29, v0
	v_lshlrev_b64 v[10:11], v1, v[28:29]
	s_delay_alu instid0(VALU_DEP_1)
	v_and_b32_e32 v28, 7, v10
; %bb.357:                              ;   in Loop: Header=BB233_13 Depth=1
	s_or_b32 exec_lo, exec_lo, s26
	v_lshlrev_b32_e32 v1, 24, v4
	s_delay_alu instid0(VALU_DEP_2) | instskip(SKIP_1) | instid1(VALU_DEP_3)
	v_lshlrev_b32_e32 v5, 20, v28
	v_lshl_add_u32 v0, v0, 23, 0x3c000000
	v_and_b32_e32 v1, 0x80000000, v1
	s_delay_alu instid0(VALU_DEP_1) | instskip(NEXT) | instid1(VALU_DEP_1)
	v_or3_b32 v28, v5, v1, v0
	v_dual_mov_b32 v155, v29 :: v_dual_mov_b32 v154, v28
.LBB233_358:                            ;   in Loop: Header=BB233_13 Depth=1
	s_or_b32 exec_lo, exec_lo, s25
.LBB233_359:                            ;   in Loop: Header=BB233_13 Depth=1
	s_delay_alu instid0(SALU_CYCLE_1)
	s_or_b32 exec_lo, exec_lo, s24
.LBB233_360:                            ;   in Loop: Header=BB233_13 Depth=1
	s_delay_alu instid0(SALU_CYCLE_1) | instskip(SKIP_2) | instid1(VALU_DEP_1)
	s_or_b32 exec_lo, exec_lo, s18
	v_lshrrev_b16 v0, 8, v4
	s_mov_b32 s24, exec_lo
	v_cmpx_ne_u16_e32 0, v0
	s_cbranch_execz .LBB233_368
; %bb.361:                              ;   in Loop: Header=BB233_13 Depth=1
	v_dual_mov_b32 v153, s17 :: v_dual_mov_b32 v152, s16
	s_mov_b32 s25, exec_lo
	v_cmpx_ne_u16_e32 0x80, v0
	s_cbranch_execz .LBB233_367
; %bb.362:                              ;   in Loop: Header=BB233_13 Depth=1
	s_mov_b32 s18, s16
	v_dual_mov_b32 v153, s19 :: v_dual_and_b32 v0, 0xffff, v0
	v_mov_b32_e32 v152, s18
	s_mov_b32 s18, exec_lo
	s_delay_alu instid0(VALU_DEP_2) | instskip(NEXT) | instid1(VALU_DEP_1)
	v_and_b32_e32 v1, 0x7f, v0
	v_cmpx_ne_u32_e32 0x7f, v1
	s_cbranch_execz .LBB233_366
; %bb.363:                              ;   in Loop: Header=BB233_13 Depth=1
	v_and_b32_e32 v28, 7, v0
	v_lshrrev_b32_e32 v0, 3, v1
	s_mov_b32 s26, exec_lo
	v_cmpx_gt_u32_e32 8, v1
; %bb.364:                              ;   in Loop: Header=BB233_13 Depth=1
	s_delay_alu instid0(VALU_DEP_3) | instskip(NEXT) | instid1(VALU_DEP_1)
	v_clz_i32_u32_e32 v0, v28
	v_min_u32_e32 v0, 32, v0
	s_delay_alu instid0(VALU_DEP_1) | instskip(SKIP_1) | instid1(VALU_DEP_2)
	v_subrev_nc_u32_e32 v1, 28, v0
	v_sub_nc_u32_e32 v0, 29, v0
	v_lshlrev_b64 v[10:11], v1, v[28:29]
	s_delay_alu instid0(VALU_DEP_1)
	v_and_b32_e32 v28, 7, v10
; %bb.365:                              ;   in Loop: Header=BB233_13 Depth=1
	s_or_b32 exec_lo, exec_lo, s26
	v_dual_mov_b32 v152, v29 :: v_dual_lshlrev_b32 v1, 16, v4
	s_delay_alu instid0(VALU_DEP_2) | instskip(SKIP_1) | instid1(VALU_DEP_3)
	v_lshlrev_b32_e32 v4, 20, v28
	v_lshl_add_u32 v0, v0, 23, 0x3c000000
	v_and_b32_e32 v1, 0x80000000, v1
	s_delay_alu instid0(VALU_DEP_1)
	v_or3_b32 v153, v4, v1, v0
.LBB233_366:                            ;   in Loop: Header=BB233_13 Depth=1
	s_or_b32 exec_lo, exec_lo, s18
.LBB233_367:                            ;   in Loop: Header=BB233_13 Depth=1
	s_delay_alu instid0(SALU_CYCLE_1)
	s_or_b32 exec_lo, exec_lo, s25
.LBB233_368:                            ;   in Loop: Header=BB233_13 Depth=1
	s_delay_alu instid0(SALU_CYCLE_1) | instskip(SKIP_1) | instid1(VALU_DEP_1)
	s_or_b32 exec_lo, exec_lo, s24
	v_add_co_u32 v4, s2, 0x500, v146
	v_add_co_ci_u32_e64 v5, s2, 0, v147, s2
	s_mov_b32 s18, exec_lo
	flat_load_u16 v0, v[4:5] offset:8
	v_mov_b32_e32 v156, 0
	v_mov_b32_e32 v157, 0
	s_delay_alu instid0(VALU_DEP_1) | instskip(SKIP_3) | instid1(VALU_DEP_2)
	v_dual_mov_b32 v159, v157 :: v_dual_mov_b32 v158, v156
	s_waitcnt vmcnt(0) lgkmcnt(0)
	v_and_b32_e32 v1, 0xff, v0
	v_and_b32_e32 v11, 0xffff, v0
	v_cmpx_ne_u16_e32 0, v1
	s_cbranch_execz .LBB233_376
; %bb.369:                              ;   in Loop: Header=BB233_13 Depth=1
	v_bfrev_b32_e32 v158, 1
	s_delay_alu instid0(VALU_DEP_3) | instskip(SKIP_1) | instid1(VALU_DEP_1)
	v_dual_mov_b32 v159, 0 :: v_dual_and_b32 v0, 0xff, v11
	s_mov_b32 s24, exec_lo
	v_cmpx_ne_u16_e32 0x80, v0
	s_cbranch_execz .LBB233_375
; %bb.370:                              ;   in Loop: Header=BB233_13 Depth=1
	v_mov_b32_e32 v158, 0x7f800001
	v_and_b32_e32 v1, 0x7f, v11
	v_mov_b32_e32 v159, 0
	s_mov_b32 s25, exec_lo
	s_delay_alu instid0(VALU_DEP_2)
	v_cmpx_ne_u32_e32 0x7f, v1
	s_cbranch_execz .LBB233_374
; %bb.371:                              ;   in Loop: Header=BB233_13 Depth=1
	v_and_b32_e32 v28, 7, v11
	v_lshrrev_b32_e32 v0, 3, v1
	s_mov_b32 s26, exec_lo
	v_cmpx_gt_u32_e32 8, v1
; %bb.372:                              ;   in Loop: Header=BB233_13 Depth=1
	s_delay_alu instid0(VALU_DEP_3) | instskip(NEXT) | instid1(VALU_DEP_1)
	v_clz_i32_u32_e32 v0, v28
	v_min_u32_e32 v0, 32, v0
	s_delay_alu instid0(VALU_DEP_1) | instskip(SKIP_1) | instid1(VALU_DEP_2)
	v_subrev_nc_u32_e32 v1, 28, v0
	v_sub_nc_u32_e32 v0, 29, v0
	v_lshlrev_b64 v[21:22], v1, v[28:29]
	s_delay_alu instid0(VALU_DEP_1)
	v_and_b32_e32 v28, 7, v21
; %bb.373:                              ;   in Loop: Header=BB233_13 Depth=1
	s_or_b32 exec_lo, exec_lo, s26
	v_lshlrev_b32_e32 v1, 24, v11
	s_delay_alu instid0(VALU_DEP_2) | instskip(SKIP_1) | instid1(VALU_DEP_3)
	v_lshlrev_b32_e32 v10, 20, v28
	v_lshl_add_u32 v0, v0, 23, 0x3c000000
	v_and_b32_e32 v1, 0x80000000, v1
	s_delay_alu instid0(VALU_DEP_1) | instskip(NEXT) | instid1(VALU_DEP_1)
	v_or3_b32 v28, v10, v1, v0
	v_dual_mov_b32 v159, v29 :: v_dual_mov_b32 v158, v28
.LBB233_374:                            ;   in Loop: Header=BB233_13 Depth=1
	s_or_b32 exec_lo, exec_lo, s25
.LBB233_375:                            ;   in Loop: Header=BB233_13 Depth=1
	s_delay_alu instid0(SALU_CYCLE_1)
	s_or_b32 exec_lo, exec_lo, s24
.LBB233_376:                            ;   in Loop: Header=BB233_13 Depth=1
	s_delay_alu instid0(SALU_CYCLE_1) | instskip(NEXT) | instid1(VALU_DEP_2)
	s_or_b32 exec_lo, exec_lo, s18
	v_lshrrev_b16 v0, 8, v11
	s_mov_b32 s24, exec_lo
	s_delay_alu instid0(VALU_DEP_1)
	v_cmpx_ne_u16_e32 0, v0
	s_cbranch_execz .LBB233_384
; %bb.377:                              ;   in Loop: Header=BB233_13 Depth=1
	v_dual_mov_b32 v157, s17 :: v_dual_mov_b32 v156, s16
	s_mov_b32 s25, exec_lo
	v_cmpx_ne_u16_e32 0x80, v0
	s_cbranch_execz .LBB233_383
; %bb.378:                              ;   in Loop: Header=BB233_13 Depth=1
	s_mov_b32 s18, s16
	v_dual_mov_b32 v157, s19 :: v_dual_and_b32 v0, 0xffff, v0
	v_mov_b32_e32 v156, s18
	s_mov_b32 s18, exec_lo
	s_delay_alu instid0(VALU_DEP_2) | instskip(NEXT) | instid1(VALU_DEP_1)
	v_and_b32_e32 v1, 0x7f, v0
	v_cmpx_ne_u32_e32 0x7f, v1
	s_cbranch_execz .LBB233_382
; %bb.379:                              ;   in Loop: Header=BB233_13 Depth=1
	v_and_b32_e32 v28, 7, v0
	v_lshrrev_b32_e32 v0, 3, v1
	s_mov_b32 s26, exec_lo
	v_cmpx_gt_u32_e32 8, v1
; %bb.380:                              ;   in Loop: Header=BB233_13 Depth=1
	s_delay_alu instid0(VALU_DEP_3) | instskip(NEXT) | instid1(VALU_DEP_1)
	v_clz_i32_u32_e32 v0, v28
	v_min_u32_e32 v0, 32, v0
	s_delay_alu instid0(VALU_DEP_1) | instskip(SKIP_1) | instid1(VALU_DEP_2)
	v_subrev_nc_u32_e32 v1, 28, v0
	v_sub_nc_u32_e32 v0, 29, v0
	v_lshlrev_b64 v[21:22], v1, v[28:29]
	s_delay_alu instid0(VALU_DEP_1)
	v_and_b32_e32 v28, 7, v21
; %bb.381:                              ;   in Loop: Header=BB233_13 Depth=1
	s_or_b32 exec_lo, exec_lo, s26
	v_dual_mov_b32 v156, v29 :: v_dual_lshlrev_b32 v1, 16, v11
	s_delay_alu instid0(VALU_DEP_2) | instskip(SKIP_1) | instid1(VALU_DEP_3)
	v_lshlrev_b32_e32 v10, 20, v28
	v_lshl_add_u32 v0, v0, 23, 0x3c000000
	v_and_b32_e32 v1, 0x80000000, v1
	s_delay_alu instid0(VALU_DEP_1)
	v_or3_b32 v157, v10, v1, v0
.LBB233_382:                            ;   in Loop: Header=BB233_13 Depth=1
	s_or_b32 exec_lo, exec_lo, s18
.LBB233_383:                            ;   in Loop: Header=BB233_13 Depth=1
	s_delay_alu instid0(SALU_CYCLE_1)
	s_or_b32 exec_lo, exec_lo, s25
.LBB233_384:                            ;   in Loop: Header=BB233_13 Depth=1
	s_delay_alu instid0(SALU_CYCLE_1)
	s_or_b32 exec_lo, exec_lo, s24
	flat_load_u16 v0, v[4:5] offset:12
	v_mov_b32_e32 v168, 0
	v_mov_b32_e32 v169, 0
	s_mov_b32 s18, exec_lo
	s_waitcnt vmcnt(0) lgkmcnt(0)
	v_and_b32_e32 v4, 0xffff, v0
	v_and_b32_e32 v1, 0xff, v0
	v_dual_mov_b32 v171, v169 :: v_dual_mov_b32 v170, v168
	s_delay_alu instid0(VALU_DEP_2)
	v_cmpx_ne_u16_e32 0, v1
	s_cbranch_execz .LBB233_392
; %bb.385:                              ;   in Loop: Header=BB233_13 Depth=1
	v_bfrev_b32_e32 v170, 1
	v_dual_mov_b32 v171, 0 :: v_dual_and_b32 v0, 0xff, v4
	s_mov_b32 s24, exec_lo
	s_delay_alu instid0(VALU_DEP_1)
	v_cmpx_ne_u16_e32 0x80, v0
	s_cbranch_execz .LBB233_391
; %bb.386:                              ;   in Loop: Header=BB233_13 Depth=1
	v_mov_b32_e32 v170, 0x7f800001
	v_and_b32_e32 v1, 0x7f, v4
	v_mov_b32_e32 v171, 0
	s_mov_b32 s25, exec_lo
	s_delay_alu instid0(VALU_DEP_2)
	v_cmpx_ne_u32_e32 0x7f, v1
	s_cbranch_execz .LBB233_390
; %bb.387:                              ;   in Loop: Header=BB233_13 Depth=1
	v_and_b32_e32 v28, 7, v4
	v_lshrrev_b32_e32 v0, 3, v1
	s_mov_b32 s26, exec_lo
	v_cmpx_gt_u32_e32 8, v1
; %bb.388:                              ;   in Loop: Header=BB233_13 Depth=1
	s_delay_alu instid0(VALU_DEP_3) | instskip(NEXT) | instid1(VALU_DEP_1)
	v_clz_i32_u32_e32 v0, v28
	v_min_u32_e32 v0, 32, v0
	s_delay_alu instid0(VALU_DEP_1) | instskip(SKIP_1) | instid1(VALU_DEP_2)
	v_subrev_nc_u32_e32 v1, 28, v0
	v_sub_nc_u32_e32 v0, 29, v0
	v_lshlrev_b64 v[10:11], v1, v[28:29]
	s_delay_alu instid0(VALU_DEP_1)
	v_and_b32_e32 v28, 7, v10
; %bb.389:                              ;   in Loop: Header=BB233_13 Depth=1
	s_or_b32 exec_lo, exec_lo, s26
	v_lshlrev_b32_e32 v1, 24, v4
	s_delay_alu instid0(VALU_DEP_2) | instskip(SKIP_1) | instid1(VALU_DEP_3)
	v_lshlrev_b32_e32 v5, 20, v28
	v_lshl_add_u32 v0, v0, 23, 0x3c000000
	v_and_b32_e32 v1, 0x80000000, v1
	s_delay_alu instid0(VALU_DEP_1) | instskip(NEXT) | instid1(VALU_DEP_1)
	v_or3_b32 v28, v5, v1, v0
	v_dual_mov_b32 v171, v29 :: v_dual_mov_b32 v170, v28
.LBB233_390:                            ;   in Loop: Header=BB233_13 Depth=1
	s_or_b32 exec_lo, exec_lo, s25
.LBB233_391:                            ;   in Loop: Header=BB233_13 Depth=1
	s_delay_alu instid0(SALU_CYCLE_1)
	s_or_b32 exec_lo, exec_lo, s24
.LBB233_392:                            ;   in Loop: Header=BB233_13 Depth=1
	s_delay_alu instid0(SALU_CYCLE_1) | instskip(SKIP_2) | instid1(VALU_DEP_1)
	s_or_b32 exec_lo, exec_lo, s18
	v_lshrrev_b16 v0, 8, v4
	s_mov_b32 s24, exec_lo
	v_cmpx_ne_u16_e32 0, v0
	s_cbranch_execz .LBB233_400
; %bb.393:                              ;   in Loop: Header=BB233_13 Depth=1
	v_dual_mov_b32 v169, s17 :: v_dual_mov_b32 v168, s16
	s_mov_b32 s25, exec_lo
	v_cmpx_ne_u16_e32 0x80, v0
	s_cbranch_execz .LBB233_399
; %bb.394:                              ;   in Loop: Header=BB233_13 Depth=1
	s_mov_b32 s18, s16
	v_dual_mov_b32 v169, s19 :: v_dual_and_b32 v0, 0xffff, v0
	v_mov_b32_e32 v168, s18
	s_mov_b32 s18, exec_lo
	s_delay_alu instid0(VALU_DEP_2) | instskip(NEXT) | instid1(VALU_DEP_1)
	v_and_b32_e32 v1, 0x7f, v0
	v_cmpx_ne_u32_e32 0x7f, v1
	s_cbranch_execz .LBB233_398
; %bb.395:                              ;   in Loop: Header=BB233_13 Depth=1
	v_and_b32_e32 v28, 7, v0
	v_lshrrev_b32_e32 v0, 3, v1
	s_mov_b32 s26, exec_lo
	v_cmpx_gt_u32_e32 8, v1
; %bb.396:                              ;   in Loop: Header=BB233_13 Depth=1
	s_delay_alu instid0(VALU_DEP_3) | instskip(NEXT) | instid1(VALU_DEP_1)
	v_clz_i32_u32_e32 v0, v28
	v_min_u32_e32 v0, 32, v0
	s_delay_alu instid0(VALU_DEP_1) | instskip(SKIP_1) | instid1(VALU_DEP_2)
	v_subrev_nc_u32_e32 v1, 28, v0
	v_sub_nc_u32_e32 v0, 29, v0
	v_lshlrev_b64 v[10:11], v1, v[28:29]
	s_delay_alu instid0(VALU_DEP_1)
	v_and_b32_e32 v28, 7, v10
; %bb.397:                              ;   in Loop: Header=BB233_13 Depth=1
	s_or_b32 exec_lo, exec_lo, s26
	v_dual_mov_b32 v168, v29 :: v_dual_lshlrev_b32 v1, 16, v4
	s_delay_alu instid0(VALU_DEP_2) | instskip(SKIP_1) | instid1(VALU_DEP_3)
	v_lshlrev_b32_e32 v4, 20, v28
	v_lshl_add_u32 v0, v0, 23, 0x3c000000
	v_and_b32_e32 v1, 0x80000000, v1
	s_delay_alu instid0(VALU_DEP_1)
	v_or3_b32 v169, v4, v1, v0
.LBB233_398:                            ;   in Loop: Header=BB233_13 Depth=1
	s_or_b32 exec_lo, exec_lo, s18
.LBB233_399:                            ;   in Loop: Header=BB233_13 Depth=1
	s_delay_alu instid0(SALU_CYCLE_1)
	s_or_b32 exec_lo, exec_lo, s25
.LBB233_400:                            ;   in Loop: Header=BB233_13 Depth=1
	s_delay_alu instid0(SALU_CYCLE_1)
	s_or_b32 exec_lo, exec_lo, s24
	flat_load_u16 v0, v[146:147] offset:1536
	v_mov_b32_e32 v172, 0
	v_mov_b32_e32 v173, 0
	s_mov_b32 s18, exec_lo
	s_waitcnt vmcnt(0) lgkmcnt(0)
	v_and_b32_e32 v4, 0xffff, v0
	v_and_b32_e32 v1, 0xff, v0
	v_dual_mov_b32 v175, v173 :: v_dual_mov_b32 v174, v172
	s_delay_alu instid0(VALU_DEP_2)
	v_cmpx_ne_u16_e32 0, v1
	s_cbranch_execz .LBB233_408
; %bb.401:                              ;   in Loop: Header=BB233_13 Depth=1
	v_bfrev_b32_e32 v174, 1
	v_dual_mov_b32 v175, 0 :: v_dual_and_b32 v0, 0xff, v4
	s_mov_b32 s24, exec_lo
	s_delay_alu instid0(VALU_DEP_1)
	v_cmpx_ne_u16_e32 0x80, v0
	s_cbranch_execz .LBB233_407
; %bb.402:                              ;   in Loop: Header=BB233_13 Depth=1
	v_mov_b32_e32 v174, 0x7f800001
	v_and_b32_e32 v1, 0x7f, v4
	v_mov_b32_e32 v175, 0
	s_mov_b32 s25, exec_lo
	s_delay_alu instid0(VALU_DEP_2)
	v_cmpx_ne_u32_e32 0x7f, v1
	s_cbranch_execz .LBB233_406
; %bb.403:                              ;   in Loop: Header=BB233_13 Depth=1
	v_and_b32_e32 v28, 7, v4
	v_lshrrev_b32_e32 v0, 3, v1
	s_mov_b32 s26, exec_lo
	v_cmpx_gt_u32_e32 8, v1
; %bb.404:                              ;   in Loop: Header=BB233_13 Depth=1
	s_delay_alu instid0(VALU_DEP_3) | instskip(NEXT) | instid1(VALU_DEP_1)
	v_clz_i32_u32_e32 v0, v28
	v_min_u32_e32 v0, 32, v0
	s_delay_alu instid0(VALU_DEP_1) | instskip(SKIP_1) | instid1(VALU_DEP_2)
	v_subrev_nc_u32_e32 v1, 28, v0
	v_sub_nc_u32_e32 v0, 29, v0
	v_lshlrev_b64 v[10:11], v1, v[28:29]
	s_delay_alu instid0(VALU_DEP_1)
	v_and_b32_e32 v28, 7, v10
; %bb.405:                              ;   in Loop: Header=BB233_13 Depth=1
	s_or_b32 exec_lo, exec_lo, s26
	v_lshlrev_b32_e32 v1, 24, v4
	s_delay_alu instid0(VALU_DEP_2) | instskip(SKIP_1) | instid1(VALU_DEP_3)
	v_lshlrev_b32_e32 v5, 20, v28
	v_lshl_add_u32 v0, v0, 23, 0x3c000000
	v_and_b32_e32 v1, 0x80000000, v1
	s_delay_alu instid0(VALU_DEP_1) | instskip(NEXT) | instid1(VALU_DEP_1)
	v_or3_b32 v28, v5, v1, v0
	v_dual_mov_b32 v175, v29 :: v_dual_mov_b32 v174, v28
.LBB233_406:                            ;   in Loop: Header=BB233_13 Depth=1
	s_or_b32 exec_lo, exec_lo, s25
.LBB233_407:                            ;   in Loop: Header=BB233_13 Depth=1
	s_delay_alu instid0(SALU_CYCLE_1)
	s_or_b32 exec_lo, exec_lo, s24
.LBB233_408:                            ;   in Loop: Header=BB233_13 Depth=1
	s_delay_alu instid0(SALU_CYCLE_1) | instskip(SKIP_2) | instid1(VALU_DEP_1)
	s_or_b32 exec_lo, exec_lo, s18
	v_lshrrev_b16 v0, 8, v4
	s_mov_b32 s24, exec_lo
	v_cmpx_ne_u16_e32 0, v0
	s_cbranch_execz .LBB233_416
; %bb.409:                              ;   in Loop: Header=BB233_13 Depth=1
	v_dual_mov_b32 v173, s17 :: v_dual_mov_b32 v172, s16
	s_mov_b32 s25, exec_lo
	v_cmpx_ne_u16_e32 0x80, v0
	s_cbranch_execz .LBB233_415
; %bb.410:                              ;   in Loop: Header=BB233_13 Depth=1
	s_mov_b32 s18, s16
	v_dual_mov_b32 v173, s19 :: v_dual_and_b32 v0, 0xffff, v0
	v_mov_b32_e32 v172, s18
	s_mov_b32 s18, exec_lo
	s_delay_alu instid0(VALU_DEP_2) | instskip(NEXT) | instid1(VALU_DEP_1)
	v_and_b32_e32 v1, 0x7f, v0
	v_cmpx_ne_u32_e32 0x7f, v1
	s_cbranch_execz .LBB233_414
; %bb.411:                              ;   in Loop: Header=BB233_13 Depth=1
	v_and_b32_e32 v28, 7, v0
	v_lshrrev_b32_e32 v0, 3, v1
	s_mov_b32 s26, exec_lo
	v_cmpx_gt_u32_e32 8, v1
; %bb.412:                              ;   in Loop: Header=BB233_13 Depth=1
	s_delay_alu instid0(VALU_DEP_3) | instskip(NEXT) | instid1(VALU_DEP_1)
	v_clz_i32_u32_e32 v0, v28
	v_min_u32_e32 v0, 32, v0
	s_delay_alu instid0(VALU_DEP_1) | instskip(SKIP_1) | instid1(VALU_DEP_2)
	v_subrev_nc_u32_e32 v1, 28, v0
	v_sub_nc_u32_e32 v0, 29, v0
	v_lshlrev_b64 v[10:11], v1, v[28:29]
	s_delay_alu instid0(VALU_DEP_1)
	v_and_b32_e32 v28, 7, v10
; %bb.413:                              ;   in Loop: Header=BB233_13 Depth=1
	s_or_b32 exec_lo, exec_lo, s26
	v_dual_mov_b32 v172, v29 :: v_dual_lshlrev_b32 v1, 16, v4
	s_delay_alu instid0(VALU_DEP_2) | instskip(SKIP_1) | instid1(VALU_DEP_3)
	v_lshlrev_b32_e32 v4, 20, v28
	v_lshl_add_u32 v0, v0, 23, 0x3c000000
	v_and_b32_e32 v1, 0x80000000, v1
	s_delay_alu instid0(VALU_DEP_1)
	v_or3_b32 v173, v4, v1, v0
.LBB233_414:                            ;   in Loop: Header=BB233_13 Depth=1
	s_or_b32 exec_lo, exec_lo, s18
.LBB233_415:                            ;   in Loop: Header=BB233_13 Depth=1
	s_delay_alu instid0(SALU_CYCLE_1)
	s_or_b32 exec_lo, exec_lo, s25
.LBB233_416:                            ;   in Loop: Header=BB233_13 Depth=1
	s_delay_alu instid0(SALU_CYCLE_1)
	s_or_b32 exec_lo, exec_lo, s24
	flat_load_u16 v0, v[146:147] offset:1540
	v_mov_b32_e32 v184, 0
	v_mov_b32_e32 v185, 0
	s_mov_b32 s18, exec_lo
	s_waitcnt vmcnt(0) lgkmcnt(0)
	v_and_b32_e32 v4, 0xffff, v0
	v_and_b32_e32 v1, 0xff, v0
	v_dual_mov_b32 v187, v185 :: v_dual_mov_b32 v186, v184
	s_delay_alu instid0(VALU_DEP_2)
	v_cmpx_ne_u16_e32 0, v1
	s_cbranch_execz .LBB233_424
; %bb.417:                              ;   in Loop: Header=BB233_13 Depth=1
	v_bfrev_b32_e32 v186, 1
	v_dual_mov_b32 v187, 0 :: v_dual_and_b32 v0, 0xff, v4
	s_mov_b32 s24, exec_lo
	s_delay_alu instid0(VALU_DEP_1)
	v_cmpx_ne_u16_e32 0x80, v0
	s_cbranch_execz .LBB233_423
; %bb.418:                              ;   in Loop: Header=BB233_13 Depth=1
	v_mov_b32_e32 v186, 0x7f800001
	v_and_b32_e32 v1, 0x7f, v4
	v_mov_b32_e32 v187, 0
	s_mov_b32 s25, exec_lo
	s_delay_alu instid0(VALU_DEP_2)
	v_cmpx_ne_u32_e32 0x7f, v1
	s_cbranch_execz .LBB233_422
; %bb.419:                              ;   in Loop: Header=BB233_13 Depth=1
	v_and_b32_e32 v28, 7, v4
	v_lshrrev_b32_e32 v0, 3, v1
	s_mov_b32 s26, exec_lo
	v_cmpx_gt_u32_e32 8, v1
; %bb.420:                              ;   in Loop: Header=BB233_13 Depth=1
	s_delay_alu instid0(VALU_DEP_3) | instskip(NEXT) | instid1(VALU_DEP_1)
	v_clz_i32_u32_e32 v0, v28
	v_min_u32_e32 v0, 32, v0
	s_delay_alu instid0(VALU_DEP_1) | instskip(SKIP_1) | instid1(VALU_DEP_2)
	v_subrev_nc_u32_e32 v1, 28, v0
	v_sub_nc_u32_e32 v0, 29, v0
	v_lshlrev_b64 v[10:11], v1, v[28:29]
	s_delay_alu instid0(VALU_DEP_1)
	v_and_b32_e32 v28, 7, v10
; %bb.421:                              ;   in Loop: Header=BB233_13 Depth=1
	s_or_b32 exec_lo, exec_lo, s26
	v_lshlrev_b32_e32 v1, 24, v4
	s_delay_alu instid0(VALU_DEP_2) | instskip(SKIP_1) | instid1(VALU_DEP_3)
	v_lshlrev_b32_e32 v5, 20, v28
	v_lshl_add_u32 v0, v0, 23, 0x3c000000
	v_and_b32_e32 v1, 0x80000000, v1
	s_delay_alu instid0(VALU_DEP_1) | instskip(NEXT) | instid1(VALU_DEP_1)
	v_or3_b32 v28, v5, v1, v0
	v_dual_mov_b32 v187, v29 :: v_dual_mov_b32 v186, v28
.LBB233_422:                            ;   in Loop: Header=BB233_13 Depth=1
	s_or_b32 exec_lo, exec_lo, s25
.LBB233_423:                            ;   in Loop: Header=BB233_13 Depth=1
	s_delay_alu instid0(SALU_CYCLE_1)
	s_or_b32 exec_lo, exec_lo, s24
.LBB233_424:                            ;   in Loop: Header=BB233_13 Depth=1
	s_delay_alu instid0(SALU_CYCLE_1) | instskip(SKIP_2) | instid1(VALU_DEP_1)
	s_or_b32 exec_lo, exec_lo, s18
	v_lshrrev_b16 v0, 8, v4
	s_mov_b32 s24, exec_lo
	v_cmpx_ne_u16_e32 0, v0
	s_cbranch_execz .LBB233_432
; %bb.425:                              ;   in Loop: Header=BB233_13 Depth=1
	v_dual_mov_b32 v185, s17 :: v_dual_mov_b32 v184, s16
	s_mov_b32 s25, exec_lo
	v_cmpx_ne_u16_e32 0x80, v0
	s_cbranch_execz .LBB233_431
; %bb.426:                              ;   in Loop: Header=BB233_13 Depth=1
	s_mov_b32 s18, s16
	v_dual_mov_b32 v185, s19 :: v_dual_and_b32 v0, 0xffff, v0
	v_mov_b32_e32 v184, s18
	s_mov_b32 s18, exec_lo
	s_delay_alu instid0(VALU_DEP_2) | instskip(NEXT) | instid1(VALU_DEP_1)
	v_and_b32_e32 v1, 0x7f, v0
	v_cmpx_ne_u32_e32 0x7f, v1
	s_cbranch_execz .LBB233_430
; %bb.427:                              ;   in Loop: Header=BB233_13 Depth=1
	v_and_b32_e32 v28, 7, v0
	v_lshrrev_b32_e32 v0, 3, v1
	s_mov_b32 s26, exec_lo
	v_cmpx_gt_u32_e32 8, v1
; %bb.428:                              ;   in Loop: Header=BB233_13 Depth=1
	s_delay_alu instid0(VALU_DEP_3) | instskip(NEXT) | instid1(VALU_DEP_1)
	v_clz_i32_u32_e32 v0, v28
	v_min_u32_e32 v0, 32, v0
	s_delay_alu instid0(VALU_DEP_1) | instskip(SKIP_1) | instid1(VALU_DEP_2)
	v_subrev_nc_u32_e32 v1, 28, v0
	v_sub_nc_u32_e32 v0, 29, v0
	v_lshlrev_b64 v[10:11], v1, v[28:29]
	s_delay_alu instid0(VALU_DEP_1)
	v_and_b32_e32 v28, 7, v10
; %bb.429:                              ;   in Loop: Header=BB233_13 Depth=1
	s_or_b32 exec_lo, exec_lo, s26
	v_dual_mov_b32 v184, v29 :: v_dual_lshlrev_b32 v1, 16, v4
	s_delay_alu instid0(VALU_DEP_2) | instskip(SKIP_1) | instid1(VALU_DEP_3)
	v_lshlrev_b32_e32 v4, 20, v28
	v_lshl_add_u32 v0, v0, 23, 0x3c000000
	v_and_b32_e32 v1, 0x80000000, v1
	s_delay_alu instid0(VALU_DEP_1)
	v_or3_b32 v185, v4, v1, v0
.LBB233_430:                            ;   in Loop: Header=BB233_13 Depth=1
	s_or_b32 exec_lo, exec_lo, s18
.LBB233_431:                            ;   in Loop: Header=BB233_13 Depth=1
	s_delay_alu instid0(SALU_CYCLE_1)
	s_or_b32 exec_lo, exec_lo, s25
.LBB233_432:                            ;   in Loop: Header=BB233_13 Depth=1
	s_delay_alu instid0(SALU_CYCLE_1) | instskip(SKIP_1) | instid1(VALU_DEP_1)
	s_or_b32 exec_lo, exec_lo, s24
	v_add_co_u32 v4, s2, 0x600, v146
	v_add_co_ci_u32_e64 v5, s2, 0, v147, s2
	s_mov_b32 s18, exec_lo
	flat_load_u16 v0, v[4:5] offset:8
	v_mov_b32_e32 v188, 0
	v_mov_b32_e32 v189, 0
	s_delay_alu instid0(VALU_DEP_1) | instskip(SKIP_3) | instid1(VALU_DEP_2)
	v_dual_mov_b32 v191, v189 :: v_dual_mov_b32 v190, v188
	s_waitcnt vmcnt(0) lgkmcnt(0)
	v_and_b32_e32 v1, 0xff, v0
	v_and_b32_e32 v11, 0xffff, v0
	v_cmpx_ne_u16_e32 0, v1
	s_cbranch_execz .LBB233_440
; %bb.433:                              ;   in Loop: Header=BB233_13 Depth=1
	v_bfrev_b32_e32 v190, 1
	s_delay_alu instid0(VALU_DEP_3) | instskip(SKIP_1) | instid1(VALU_DEP_1)
	v_dual_mov_b32 v191, 0 :: v_dual_and_b32 v0, 0xff, v11
	s_mov_b32 s24, exec_lo
	v_cmpx_ne_u16_e32 0x80, v0
	s_cbranch_execz .LBB233_439
; %bb.434:                              ;   in Loop: Header=BB233_13 Depth=1
	v_mov_b32_e32 v190, 0x7f800001
	v_and_b32_e32 v1, 0x7f, v11
	v_mov_b32_e32 v191, 0
	s_mov_b32 s25, exec_lo
	s_delay_alu instid0(VALU_DEP_2)
	v_cmpx_ne_u32_e32 0x7f, v1
	s_cbranch_execz .LBB233_438
; %bb.435:                              ;   in Loop: Header=BB233_13 Depth=1
	v_and_b32_e32 v28, 7, v11
	v_lshrrev_b32_e32 v0, 3, v1
	s_mov_b32 s26, exec_lo
	v_cmpx_gt_u32_e32 8, v1
; %bb.436:                              ;   in Loop: Header=BB233_13 Depth=1
	s_delay_alu instid0(VALU_DEP_3) | instskip(NEXT) | instid1(VALU_DEP_1)
	v_clz_i32_u32_e32 v0, v28
	v_min_u32_e32 v0, 32, v0
	s_delay_alu instid0(VALU_DEP_1) | instskip(SKIP_1) | instid1(VALU_DEP_2)
	v_subrev_nc_u32_e32 v1, 28, v0
	v_sub_nc_u32_e32 v0, 29, v0
	v_lshlrev_b64 v[21:22], v1, v[28:29]
	s_delay_alu instid0(VALU_DEP_1)
	v_and_b32_e32 v28, 7, v21
; %bb.437:                              ;   in Loop: Header=BB233_13 Depth=1
	s_or_b32 exec_lo, exec_lo, s26
	v_lshlrev_b32_e32 v1, 24, v11
	s_delay_alu instid0(VALU_DEP_2) | instskip(SKIP_1) | instid1(VALU_DEP_3)
	v_lshlrev_b32_e32 v10, 20, v28
	v_lshl_add_u32 v0, v0, 23, 0x3c000000
	v_and_b32_e32 v1, 0x80000000, v1
	s_delay_alu instid0(VALU_DEP_1) | instskip(NEXT) | instid1(VALU_DEP_1)
	v_or3_b32 v28, v10, v1, v0
	v_dual_mov_b32 v191, v29 :: v_dual_mov_b32 v190, v28
.LBB233_438:                            ;   in Loop: Header=BB233_13 Depth=1
	s_or_b32 exec_lo, exec_lo, s25
.LBB233_439:                            ;   in Loop: Header=BB233_13 Depth=1
	s_delay_alu instid0(SALU_CYCLE_1)
	s_or_b32 exec_lo, exec_lo, s24
.LBB233_440:                            ;   in Loop: Header=BB233_13 Depth=1
	s_delay_alu instid0(SALU_CYCLE_1) | instskip(NEXT) | instid1(VALU_DEP_2)
	s_or_b32 exec_lo, exec_lo, s18
	v_lshrrev_b16 v0, 8, v11
	s_mov_b32 s24, exec_lo
	s_delay_alu instid0(VALU_DEP_1)
	v_cmpx_ne_u16_e32 0, v0
	s_cbranch_execz .LBB233_448
; %bb.441:                              ;   in Loop: Header=BB233_13 Depth=1
	v_dual_mov_b32 v189, s17 :: v_dual_mov_b32 v188, s16
	s_mov_b32 s25, exec_lo
	v_cmpx_ne_u16_e32 0x80, v0
	s_cbranch_execz .LBB233_447
; %bb.442:                              ;   in Loop: Header=BB233_13 Depth=1
	s_mov_b32 s18, s16
	v_dual_mov_b32 v189, s19 :: v_dual_and_b32 v0, 0xffff, v0
	v_mov_b32_e32 v188, s18
	s_mov_b32 s18, exec_lo
	s_delay_alu instid0(VALU_DEP_2) | instskip(NEXT) | instid1(VALU_DEP_1)
	v_and_b32_e32 v1, 0x7f, v0
	v_cmpx_ne_u32_e32 0x7f, v1
	s_cbranch_execz .LBB233_446
; %bb.443:                              ;   in Loop: Header=BB233_13 Depth=1
	v_and_b32_e32 v28, 7, v0
	v_lshrrev_b32_e32 v0, 3, v1
	s_mov_b32 s26, exec_lo
	v_cmpx_gt_u32_e32 8, v1
; %bb.444:                              ;   in Loop: Header=BB233_13 Depth=1
	s_delay_alu instid0(VALU_DEP_3) | instskip(NEXT) | instid1(VALU_DEP_1)
	v_clz_i32_u32_e32 v0, v28
	v_min_u32_e32 v0, 32, v0
	s_delay_alu instid0(VALU_DEP_1) | instskip(SKIP_1) | instid1(VALU_DEP_2)
	v_subrev_nc_u32_e32 v1, 28, v0
	v_sub_nc_u32_e32 v0, 29, v0
	v_lshlrev_b64 v[21:22], v1, v[28:29]
	s_delay_alu instid0(VALU_DEP_1)
	v_and_b32_e32 v28, 7, v21
; %bb.445:                              ;   in Loop: Header=BB233_13 Depth=1
	s_or_b32 exec_lo, exec_lo, s26
	v_dual_mov_b32 v188, v29 :: v_dual_lshlrev_b32 v1, 16, v11
	s_delay_alu instid0(VALU_DEP_2) | instskip(SKIP_1) | instid1(VALU_DEP_3)
	v_lshlrev_b32_e32 v10, 20, v28
	v_lshl_add_u32 v0, v0, 23, 0x3c000000
	v_and_b32_e32 v1, 0x80000000, v1
	s_delay_alu instid0(VALU_DEP_1)
	v_or3_b32 v189, v10, v1, v0
.LBB233_446:                            ;   in Loop: Header=BB233_13 Depth=1
	s_or_b32 exec_lo, exec_lo, s18
.LBB233_447:                            ;   in Loop: Header=BB233_13 Depth=1
	s_delay_alu instid0(SALU_CYCLE_1)
	s_or_b32 exec_lo, exec_lo, s25
.LBB233_448:                            ;   in Loop: Header=BB233_13 Depth=1
	s_delay_alu instid0(SALU_CYCLE_1) | instskip(SKIP_4) | instid1(VALU_DEP_1)
	s_or_b32 exec_lo, exec_lo, s24
	flat_load_u16 v0, v[4:5] offset:12
	v_mov_b32_e32 v114, 0
	v_mov_b32_e32 v115, 0
	s_mov_b32 s18, exec_lo
	v_dual_mov_b32 v4, v114 :: v_dual_mov_b32 v5, v115
	s_waitcnt vmcnt(0) lgkmcnt(0)
	v_and_b32_e32 v1, 0xff, v0
	v_and_b32_e32 v11, 0xffff, v0
	s_delay_alu instid0(VALU_DEP_2)
	v_cmpx_ne_u16_e32 0, v1
	s_cbranch_execz .LBB233_456
; %bb.449:                              ;   in Loop: Header=BB233_13 Depth=1
	v_bfrev_b32_e32 v4, 1
	s_delay_alu instid0(VALU_DEP_3) | instskip(SKIP_1) | instid1(VALU_DEP_1)
	v_dual_mov_b32 v5, 0 :: v_dual_and_b32 v0, 0xff, v11
	s_mov_b32 s24, exec_lo
	v_cmpx_ne_u16_e32 0x80, v0
	s_cbranch_execz .LBB233_455
; %bb.450:                              ;   in Loop: Header=BB233_13 Depth=1
	v_mov_b32_e32 v4, 0x7f800001
	v_and_b32_e32 v1, 0x7f, v11
	v_mov_b32_e32 v5, 0
	s_mov_b32 s25, exec_lo
	s_delay_alu instid0(VALU_DEP_2)
	v_cmpx_ne_u32_e32 0x7f, v1
	s_cbranch_execz .LBB233_454
; %bb.451:                              ;   in Loop: Header=BB233_13 Depth=1
	v_and_b32_e32 v28, 7, v11
	v_lshrrev_b32_e32 v0, 3, v1
	s_mov_b32 s26, exec_lo
	v_cmpx_gt_u32_e32 8, v1
; %bb.452:                              ;   in Loop: Header=BB233_13 Depth=1
	s_delay_alu instid0(VALU_DEP_3) | instskip(NEXT) | instid1(VALU_DEP_1)
	v_clz_i32_u32_e32 v0, v28
	v_min_u32_e32 v0, 32, v0
	s_delay_alu instid0(VALU_DEP_1) | instskip(SKIP_1) | instid1(VALU_DEP_2)
	v_subrev_nc_u32_e32 v1, 28, v0
	v_sub_nc_u32_e32 v0, 29, v0
	v_lshlrev_b64 v[4:5], v1, v[28:29]
	s_delay_alu instid0(VALU_DEP_1)
	v_and_b32_e32 v28, 7, v4
; %bb.453:                              ;   in Loop: Header=BB233_13 Depth=1
	s_or_b32 exec_lo, exec_lo, s26
	v_lshlrev_b32_e32 v1, 24, v11
	s_delay_alu instid0(VALU_DEP_2) | instskip(SKIP_1) | instid1(VALU_DEP_3)
	v_lshlrev_b32_e32 v4, 20, v28
	v_lshl_add_u32 v0, v0, 23, 0x3c000000
	v_and_b32_e32 v1, 0x80000000, v1
	s_delay_alu instid0(VALU_DEP_1) | instskip(NEXT) | instid1(VALU_DEP_1)
	v_or3_b32 v28, v4, v1, v0
	v_dual_mov_b32 v4, v28 :: v_dual_mov_b32 v5, v29
.LBB233_454:                            ;   in Loop: Header=BB233_13 Depth=1
	s_or_b32 exec_lo, exec_lo, s25
.LBB233_455:                            ;   in Loop: Header=BB233_13 Depth=1
	s_delay_alu instid0(SALU_CYCLE_1)
	s_or_b32 exec_lo, exec_lo, s24
.LBB233_456:                            ;   in Loop: Header=BB233_13 Depth=1
	s_delay_alu instid0(SALU_CYCLE_1) | instskip(NEXT) | instid1(VALU_DEP_2)
	s_or_b32 exec_lo, exec_lo, s18
	v_lshrrev_b16 v0, 8, v11
	s_mov_b32 s24, exec_lo
	s_delay_alu instid0(VALU_DEP_1)
	v_cmpx_ne_u16_e32 0, v0
	s_cbranch_execz .LBB233_464
; %bb.457:                              ;   in Loop: Header=BB233_13 Depth=1
	v_dual_mov_b32 v115, s17 :: v_dual_mov_b32 v114, s16
	s_mov_b32 s25, exec_lo
	v_cmpx_ne_u16_e32 0x80, v0
	s_cbranch_execz .LBB233_463
; %bb.458:                              ;   in Loop: Header=BB233_13 Depth=1
	s_mov_b32 s18, s16
	v_dual_mov_b32 v115, s19 :: v_dual_and_b32 v0, 0xffff, v0
	v_mov_b32_e32 v114, s18
	s_mov_b32 s18, exec_lo
	s_delay_alu instid0(VALU_DEP_2) | instskip(NEXT) | instid1(VALU_DEP_1)
	v_and_b32_e32 v1, 0x7f, v0
	v_cmpx_ne_u32_e32 0x7f, v1
	s_cbranch_execz .LBB233_462
; %bb.459:                              ;   in Loop: Header=BB233_13 Depth=1
	v_and_b32_e32 v28, 7, v0
	v_lshrrev_b32_e32 v0, 3, v1
	s_mov_b32 s26, exec_lo
	v_cmpx_gt_u32_e32 8, v1
; %bb.460:                              ;   in Loop: Header=BB233_13 Depth=1
	s_delay_alu instid0(VALU_DEP_3) | instskip(NEXT) | instid1(VALU_DEP_1)
	v_clz_i32_u32_e32 v0, v28
	v_min_u32_e32 v0, 32, v0
	s_delay_alu instid0(VALU_DEP_1) | instskip(SKIP_1) | instid1(VALU_DEP_2)
	v_subrev_nc_u32_e32 v1, 28, v0
	v_sub_nc_u32_e32 v0, 29, v0
	v_lshlrev_b64 v[21:22], v1, v[28:29]
	s_delay_alu instid0(VALU_DEP_1)
	v_and_b32_e32 v28, 7, v21
; %bb.461:                              ;   in Loop: Header=BB233_13 Depth=1
	s_or_b32 exec_lo, exec_lo, s26
	v_dual_mov_b32 v114, v29 :: v_dual_lshlrev_b32 v1, 16, v11
	s_delay_alu instid0(VALU_DEP_2) | instskip(SKIP_1) | instid1(VALU_DEP_3)
	v_lshlrev_b32_e32 v10, 20, v28
	v_lshl_add_u32 v0, v0, 23, 0x3c000000
	v_and_b32_e32 v1, 0x80000000, v1
	s_delay_alu instid0(VALU_DEP_1)
	v_or3_b32 v115, v10, v1, v0
.LBB233_462:                            ;   in Loop: Header=BB233_13 Depth=1
	s_or_b32 exec_lo, exec_lo, s18
.LBB233_463:                            ;   in Loop: Header=BB233_13 Depth=1
	s_delay_alu instid0(SALU_CYCLE_1)
	s_or_b32 exec_lo, exec_lo, s25
.LBB233_464:                            ;   in Loop: Header=BB233_13 Depth=1
	s_delay_alu instid0(SALU_CYCLE_1) | instskip(SKIP_3) | instid1(VALU_DEP_2)
	s_or_b32 exec_lo, exec_lo, s24
	flat_load_u16 v0, v[146:147] offset:1792
	v_mov_b32_e32 v116, 0
	v_mov_b32_e32 v117, 0
	;; [unrolled: 1-line block ×3, first 2 shown]
	s_mov_b32 s18, exec_lo
	s_waitcnt vmcnt(0) lgkmcnt(0)
	s_delay_alu instid0(VALU_DEP_2) | instskip(SKIP_1) | instid1(VALU_DEP_2)
	v_dual_mov_b32 v12, v117 :: v_dual_and_b32 v1, 0xff, v0
	v_and_b32_e32 v21, 0xffff, v0
	v_cmpx_ne_u16_e32 0, v1
	s_cbranch_execz .LBB233_472
; %bb.465:                              ;   in Loop: Header=BB233_13 Depth=1
	v_bfrev_b32_e32 v11, 1
	s_delay_alu instid0(VALU_DEP_3) | instskip(SKIP_2) | instid1(VALU_DEP_2)
	v_and_b32_e32 v0, 0xff, v21
	v_mov_b32_e32 v12, 0
	s_mov_b32 s24, exec_lo
	v_cmpx_ne_u16_e32 0x80, v0
	s_cbranch_execz .LBB233_471
; %bb.466:                              ;   in Loop: Header=BB233_13 Depth=1
	v_mov_b32_e32 v11, 0x7f800001
	v_dual_mov_b32 v12, 0 :: v_dual_and_b32 v1, 0x7f, v21
	s_mov_b32 s25, exec_lo
	s_delay_alu instid0(VALU_DEP_1)
	v_cmpx_ne_u32_e32 0x7f, v1
	s_cbranch_execz .LBB233_470
; %bb.467:                              ;   in Loop: Header=BB233_13 Depth=1
	v_and_b32_e32 v28, 7, v21
	v_lshrrev_b32_e32 v0, 3, v1
	s_mov_b32 s26, exec_lo
	v_cmpx_gt_u32_e32 8, v1
; %bb.468:                              ;   in Loop: Header=BB233_13 Depth=1
	s_delay_alu instid0(VALU_DEP_3) | instskip(NEXT) | instid1(VALU_DEP_1)
	v_clz_i32_u32_e32 v0, v28
	v_min_u32_e32 v0, 32, v0
	s_delay_alu instid0(VALU_DEP_1) | instskip(SKIP_1) | instid1(VALU_DEP_2)
	v_subrev_nc_u32_e32 v1, 28, v0
	v_sub_nc_u32_e32 v0, 29, v0
	v_lshlrev_b64 v[10:11], v1, v[28:29]
	s_delay_alu instid0(VALU_DEP_1)
	v_and_b32_e32 v28, 7, v10
; %bb.469:                              ;   in Loop: Header=BB233_13 Depth=1
	s_or_b32 exec_lo, exec_lo, s26
	v_lshlrev_b32_e32 v1, 24, v21
	s_delay_alu instid0(VALU_DEP_2) | instskip(SKIP_1) | instid1(VALU_DEP_3)
	v_lshlrev_b32_e32 v10, 20, v28
	v_lshl_add_u32 v0, v0, 23, 0x3c000000
	v_and_b32_e32 v1, 0x80000000, v1
	s_delay_alu instid0(VALU_DEP_1) | instskip(NEXT) | instid1(VALU_DEP_1)
	v_or3_b32 v28, v10, v1, v0
	v_dual_mov_b32 v11, v28 :: v_dual_mov_b32 v12, v29
.LBB233_470:                            ;   in Loop: Header=BB233_13 Depth=1
	s_or_b32 exec_lo, exec_lo, s25
.LBB233_471:                            ;   in Loop: Header=BB233_13 Depth=1
	s_delay_alu instid0(SALU_CYCLE_1)
	s_or_b32 exec_lo, exec_lo, s24
.LBB233_472:                            ;   in Loop: Header=BB233_13 Depth=1
	s_delay_alu instid0(SALU_CYCLE_1) | instskip(NEXT) | instid1(VALU_DEP_2)
	s_or_b32 exec_lo, exec_lo, s18
	v_lshrrev_b16 v0, 8, v21
	s_mov_b32 s24, exec_lo
	s_delay_alu instid0(VALU_DEP_1)
	v_cmpx_ne_u16_e32 0, v0
	s_cbranch_execz .LBB233_480
; %bb.473:                              ;   in Loop: Header=BB233_13 Depth=1
	v_dual_mov_b32 v117, s17 :: v_dual_mov_b32 v116, s16
	s_mov_b32 s25, exec_lo
	v_cmpx_ne_u16_e32 0x80, v0
	s_cbranch_execz .LBB233_479
; %bb.474:                              ;   in Loop: Header=BB233_13 Depth=1
	s_mov_b32 s18, s16
	v_dual_mov_b32 v117, s19 :: v_dual_and_b32 v0, 0xffff, v0
	v_mov_b32_e32 v116, s18
	s_mov_b32 s18, exec_lo
	s_delay_alu instid0(VALU_DEP_2) | instskip(NEXT) | instid1(VALU_DEP_1)
	v_and_b32_e32 v1, 0x7f, v0
	v_cmpx_ne_u32_e32 0x7f, v1
	s_cbranch_execz .LBB233_478
; %bb.475:                              ;   in Loop: Header=BB233_13 Depth=1
	v_and_b32_e32 v28, 7, v0
	v_lshrrev_b32_e32 v0, 3, v1
	s_mov_b32 s26, exec_lo
	v_cmpx_gt_u32_e32 8, v1
; %bb.476:                              ;   in Loop: Header=BB233_13 Depth=1
	s_delay_alu instid0(VALU_DEP_3) | instskip(NEXT) | instid1(VALU_DEP_1)
	v_clz_i32_u32_e32 v0, v28
	v_min_u32_e32 v0, 32, v0
	s_delay_alu instid0(VALU_DEP_1) | instskip(SKIP_1) | instid1(VALU_DEP_2)
	v_subrev_nc_u32_e32 v1, 28, v0
	v_sub_nc_u32_e32 v0, 29, v0
	v_lshlrev_b64 v[116:117], v1, v[28:29]
	s_delay_alu instid0(VALU_DEP_1)
	v_and_b32_e32 v28, 7, v116
; %bb.477:                              ;   in Loop: Header=BB233_13 Depth=1
	s_or_b32 exec_lo, exec_lo, s26
	v_dual_mov_b32 v116, v29 :: v_dual_lshlrev_b32 v1, 16, v21
	s_delay_alu instid0(VALU_DEP_2) | instskip(SKIP_1) | instid1(VALU_DEP_3)
	v_lshlrev_b32_e32 v10, 20, v28
	v_lshl_add_u32 v0, v0, 23, 0x3c000000
	v_and_b32_e32 v1, 0x80000000, v1
	s_delay_alu instid0(VALU_DEP_1)
	v_or3_b32 v117, v10, v1, v0
.LBB233_478:                            ;   in Loop: Header=BB233_13 Depth=1
	s_or_b32 exec_lo, exec_lo, s18
.LBB233_479:                            ;   in Loop: Header=BB233_13 Depth=1
	s_delay_alu instid0(SALU_CYCLE_1)
	s_or_b32 exec_lo, exec_lo, s25
.LBB233_480:                            ;   in Loop: Header=BB233_13 Depth=1
	s_delay_alu instid0(SALU_CYCLE_1)
	s_or_b32 exec_lo, exec_lo, s24
	flat_load_u16 v0, v[146:147] offset:1796
	v_mov_b32_e32 v146, 0
	v_mov_b32_e32 v147, 0
	s_mov_b32 s18, exec_lo
	s_waitcnt vmcnt(0) lgkmcnt(0)
	v_and_b32_e32 v1, 0xff, v0
	v_dual_mov_b32 v21, v146 :: v_dual_and_b32 v0, 0xffff, v0
	v_mov_b32_e32 v22, v147
	s_delay_alu instid0(VALU_DEP_3)
	v_cmpx_ne_u16_e32 0, v1
	s_cbranch_execz .LBB233_488
; %bb.481:                              ;   in Loop: Header=BB233_13 Depth=1
	v_bfrev_b32_e32 v21, 1
	v_dual_mov_b32 v22, 0 :: v_dual_and_b32 v1, 0xff, v0
	s_mov_b32 s24, exec_lo
	s_delay_alu instid0(VALU_DEP_1)
	v_cmpx_ne_u16_e32 0x80, v1
	s_cbranch_execz .LBB233_487
; %bb.482:                              ;   in Loop: Header=BB233_13 Depth=1
	v_mov_b32_e32 v21, 0x7f800001
	v_and_b32_e32 v10, 0x7f, v0
	v_mov_b32_e32 v22, 0
	s_mov_b32 s25, exec_lo
	s_delay_alu instid0(VALU_DEP_2)
	v_cmpx_ne_u32_e32 0x7f, v10
	s_cbranch_execz .LBB233_486
; %bb.483:                              ;   in Loop: Header=BB233_13 Depth=1
	v_and_b32_e32 v28, 7, v0
	v_lshrrev_b32_e32 v1, 3, v10
	s_mov_b32 s26, exec_lo
	v_cmpx_gt_u32_e32 8, v10
; %bb.484:                              ;   in Loop: Header=BB233_13 Depth=1
	s_delay_alu instid0(VALU_DEP_3) | instskip(NEXT) | instid1(VALU_DEP_1)
	v_clz_i32_u32_e32 v1, v28
	v_min_u32_e32 v1, 32, v1
	s_delay_alu instid0(VALU_DEP_1) | instskip(SKIP_1) | instid1(VALU_DEP_2)
	v_subrev_nc_u32_e32 v10, 28, v1
	v_sub_nc_u32_e32 v1, 29, v1
	v_lshlrev_b64 v[21:22], v10, v[28:29]
	s_delay_alu instid0(VALU_DEP_1)
	v_and_b32_e32 v28, 7, v21
; %bb.485:                              ;   in Loop: Header=BB233_13 Depth=1
	s_or_b32 exec_lo, exec_lo, s26
	v_lshlrev_b32_e32 v10, 24, v0
	s_delay_alu instid0(VALU_DEP_2) | instskip(SKIP_1) | instid1(VALU_DEP_3)
	v_lshlrev_b32_e32 v21, 20, v28
	v_lshl_add_u32 v1, v1, 23, 0x3c000000
	v_and_b32_e32 v10, 0x80000000, v10
	s_delay_alu instid0(VALU_DEP_1) | instskip(NEXT) | instid1(VALU_DEP_1)
	v_or3_b32 v28, v21, v10, v1
	v_dual_mov_b32 v21, v28 :: v_dual_mov_b32 v22, v29
.LBB233_486:                            ;   in Loop: Header=BB233_13 Depth=1
	s_or_b32 exec_lo, exec_lo, s25
.LBB233_487:                            ;   in Loop: Header=BB233_13 Depth=1
	s_delay_alu instid0(SALU_CYCLE_1)
	s_or_b32 exec_lo, exec_lo, s24
.LBB233_488:                            ;   in Loop: Header=BB233_13 Depth=1
	s_delay_alu instid0(SALU_CYCLE_1) | instskip(SKIP_2) | instid1(VALU_DEP_1)
	s_or_b32 exec_lo, exec_lo, s18
	v_lshrrev_b16 v1, 8, v0
	s_mov_b32 s24, exec_lo
	v_cmpx_ne_u16_e32 0, v1
	s_cbranch_execz .LBB233_496
; %bb.489:                              ;   in Loop: Header=BB233_13 Depth=1
	v_dual_mov_b32 v147, s17 :: v_dual_mov_b32 v146, s16
	s_mov_b32 s25, exec_lo
	v_cmpx_ne_u16_e32 0x80, v1
	s_cbranch_execz .LBB233_495
; %bb.490:                              ;   in Loop: Header=BB233_13 Depth=1
	s_mov_b32 s18, s16
	v_and_b32_e32 v1, 0xffff, v1
	v_dual_mov_b32 v147, s19 :: v_dual_mov_b32 v146, s18
	s_mov_b32 s18, exec_lo
	s_delay_alu instid0(VALU_DEP_2) | instskip(NEXT) | instid1(VALU_DEP_1)
	v_and_b32_e32 v10, 0x7f, v1
	v_cmpx_ne_u32_e32 0x7f, v10
	s_cbranch_execz .LBB233_494
; %bb.491:                              ;   in Loop: Header=BB233_13 Depth=1
	v_and_b32_e32 v28, 7, v1
	v_lshrrev_b32_e32 v1, 3, v10
	s_mov_b32 s26, exec_lo
	v_cmpx_gt_u32_e32 8, v10
; %bb.492:                              ;   in Loop: Header=BB233_13 Depth=1
	s_delay_alu instid0(VALU_DEP_3) | instskip(NEXT) | instid1(VALU_DEP_1)
	v_clz_i32_u32_e32 v1, v28
	v_min_u32_e32 v1, 32, v1
	s_delay_alu instid0(VALU_DEP_1) | instskip(SKIP_1) | instid1(VALU_DEP_2)
	v_subrev_nc_u32_e32 v10, 28, v1
	v_sub_nc_u32_e32 v1, 29, v1
	v_lshlrev_b64 v[146:147], v10, v[28:29]
	s_delay_alu instid0(VALU_DEP_1)
	v_and_b32_e32 v28, 7, v146
; %bb.493:                              ;   in Loop: Header=BB233_13 Depth=1
	s_or_b32 exec_lo, exec_lo, s26
	v_lshlrev_b32_e32 v0, 16, v0
	s_delay_alu instid0(VALU_DEP_2) | instskip(SKIP_2) | instid1(VALU_DEP_4)
	v_lshlrev_b32_e32 v10, 20, v28
	v_lshl_add_u32 v1, v1, 23, 0x3c000000
	v_mov_b32_e32 v146, v29
	v_and_b32_e32 v0, 0x80000000, v0
	s_delay_alu instid0(VALU_DEP_1)
	v_or3_b32 v147, v10, v0, v1
.LBB233_494:                            ;   in Loop: Header=BB233_13 Depth=1
	s_or_b32 exec_lo, exec_lo, s18
.LBB233_495:                            ;   in Loop: Header=BB233_13 Depth=1
	s_delay_alu instid0(SALU_CYCLE_1)
	s_or_b32 exec_lo, exec_lo, s25
.LBB233_496:                            ;   in Loop: Header=BB233_13 Depth=1
	s_delay_alu instid0(SALU_CYCLE_1)
	s_or_b32 exec_lo, exec_lo, s24
	v_or_b32_e32 v0, v134, v144
	v_or_b32_e32 v1, v135, v145
	;; [unrolled: 1-line block ×5, first 2 shown]
	v_mul_f32_e32 v0, v26, v0
	v_or_b32_e32 v4, v114, v4
	v_mul_f32_e32 v10, v26, v10
	s_delay_alu instid0(VALU_DEP_4) | instskip(NEXT) | instid1(VALU_DEP_4)
	v_mul_f32_e32 v5, v26, v5
	v_mul_f32_e32 v28, v102, v0
	;; [unrolled: 1-line block ×5, first 2 shown]
	s_delay_alu instid0(VALU_DEP_4) | instskip(NEXT) | instid1(VALU_DEP_4)
	v_fmac_f32_e32 v28, v100, v10
	v_mul_f32_e32 v100, v103, v0
	v_or_b32_e32 v0, v148, v150
	v_or_b32_e32 v10, v160, v162
	s_delay_alu instid0(VALU_DEP_3) | instskip(SKIP_1) | instid1(VALU_DEP_4)
	v_fmac_f32_e32 v100, v101, v1
	v_or_b32_e32 v1, v149, v151
	v_mul_f32_e32 v0, v26, v0
	v_or_b32_e32 v101, v161, v163
	s_delay_alu instid0(VALU_DEP_2) | instskip(NEXT) | instid1(VALU_DEP_4)
	v_fmac_f32_e32 v28, v96, v0
	v_mul_f32_e32 v0, v26, v1
	v_or_b32_e32 v1, v165, v167
	v_or_b32_e32 v96, v177, v179
	s_delay_alu instid0(VALU_DEP_3) | instskip(SKIP_2) | instid1(VALU_DEP_2)
	v_fmac_f32_e32 v100, v97, v0
	v_mul_f32_e32 v0, v26, v10
	v_or_b32_e32 v10, v176, v178
	v_fmac_f32_e32 v28, v98, v0
	v_mul_f32_e32 v0, v26, v101
	s_delay_alu instid0(VALU_DEP_1) | instskip(SKIP_1) | instid1(VALU_DEP_1)
	v_fmac_f32_e32 v100, v99, v0
	v_or_b32_e32 v0, v164, v166
	v_mul_f32_e32 v0, v26, v0
	s_delay_alu instid0(VALU_DEP_1) | instskip(SKIP_2) | instid1(VALU_DEP_2)
	v_fmac_f32_e32 v28, v84, v0
	v_mul_f32_e32 v0, v26, v1
	v_or_b32_e32 v1, v181, v183
	v_fmac_f32_e32 v100, v85, v0
	v_mul_f32_e32 v0, v26, v10
	v_or_b32_e32 v10, v39, v41
	v_or_b32_e32 v39, v40, v42
	s_delay_alu instid0(VALU_DEP_3) | instskip(SKIP_1) | instid1(VALU_DEP_1)
	v_fmac_f32_e32 v28, v86, v0
	v_mul_f32_e32 v0, v26, v96
	v_fmac_f32_e32 v100, v87, v0
	v_or_b32_e32 v0, v180, v182
	s_delay_alu instid0(VALU_DEP_1) | instskip(NEXT) | instid1(VALU_DEP_1)
	v_mul_f32_e32 v0, v26, v0
	v_fmac_f32_e32 v28, v80, v0
	v_mul_f32_e32 v0, v26, v1
	v_or_b32_e32 v1, v44, v46
	s_delay_alu instid0(VALU_DEP_2) | instskip(SKIP_2) | instid1(VALU_DEP_2)
	v_fmac_f32_e32 v100, v81, v0
	v_mul_f32_e32 v0, v26, v10
	v_or_b32_e32 v10, v56, v58
	v_fmac_f32_e32 v28, v82, v0
	v_mul_f32_e32 v0, v26, v39
	v_or_b32_e32 v39, v57, v59
	s_delay_alu instid0(VALU_DEP_2) | instskip(SKIP_1) | instid1(VALU_DEP_1)
	v_fmac_f32_e32 v100, v83, v0
	v_or_b32_e32 v0, v43, v45
	v_mul_f32_e32 v0, v26, v0
	s_delay_alu instid0(VALU_DEP_1) | instskip(SKIP_2) | instid1(VALU_DEP_2)
	v_fmac_f32_e32 v28, v68, v0
	v_mul_f32_e32 v0, v26, v1
	v_or_b32_e32 v1, v61, v63
	v_fmac_f32_e32 v100, v69, v0
	v_mul_f32_e32 v0, v26, v10
	v_or_b32_e32 v10, v72, v74
	s_delay_alu instid0(VALU_DEP_2) | instskip(SKIP_2) | instid1(VALU_DEP_2)
	v_fmac_f32_e32 v28, v70, v0
	v_mul_f32_e32 v0, v26, v39
	v_or_b32_e32 v39, v73, v75
	v_fmac_f32_e32 v100, v71, v0
	v_or_b32_e32 v0, v60, v62
	s_delay_alu instid0(VALU_DEP_1) | instskip(NEXT) | instid1(VALU_DEP_1)
	v_mul_f32_e32 v0, v26, v0
	v_fmac_f32_e32 v28, v64, v0
	v_mul_f32_e32 v0, v26, v1
	v_or_b32_e32 v1, v77, v79
	s_delay_alu instid0(VALU_DEP_2) | instskip(SKIP_2) | instid1(VALU_DEP_2)
	v_fmac_f32_e32 v100, v65, v0
	v_mul_f32_e32 v0, v26, v10
	v_or_b32_e32 v10, v88, v90
	v_fmac_f32_e32 v28, v66, v0
	v_mul_f32_e32 v0, v26, v39
	v_or_b32_e32 v39, v89, v91
	s_delay_alu instid0(VALU_DEP_2) | instskip(SKIP_1) | instid1(VALU_DEP_1)
	v_fmac_f32_e32 v100, v67, v0
	v_or_b32_e32 v0, v76, v78
	v_mul_f32_e32 v0, v26, v0
	s_delay_alu instid0(VALU_DEP_1) | instskip(SKIP_2) | instid1(VALU_DEP_2)
	v_fmac_f32_e32 v28, v52, v0
	v_mul_f32_e32 v0, v26, v1
	v_or_b32_e32 v1, v93, v95
	v_fmac_f32_e32 v100, v53, v0
	v_mul_f32_e32 v0, v26, v10
	v_or_b32_e32 v10, v104, v106
	s_delay_alu instid0(VALU_DEP_2) | instskip(SKIP_2) | instid1(VALU_DEP_2)
	v_fmac_f32_e32 v28, v54, v0
	v_mul_f32_e32 v0, v26, v39
	v_or_b32_e32 v39, v105, v107
	v_fmac_f32_e32 v100, v55, v0
	v_or_b32_e32 v0, v92, v94
	s_delay_alu instid0(VALU_DEP_1) | instskip(NEXT) | instid1(VALU_DEP_1)
	v_mul_f32_e32 v0, v26, v0
	v_fmac_f32_e32 v28, v48, v0
	v_mul_f32_e32 v0, v26, v1
	v_or_b32_e32 v1, v109, v111
	s_delay_alu instid0(VALU_DEP_2) | instskip(SKIP_2) | instid1(VALU_DEP_2)
	v_fmac_f32_e32 v100, v49, v0
	v_mul_f32_e32 v0, v26, v10
	v_or_b32_e32 v10, v120, v122
	v_fmac_f32_e32 v28, v50, v0
	v_mul_f32_e32 v0, v26, v39
	v_or_b32_e32 v39, v121, v123
	s_delay_alu instid0(VALU_DEP_2) | instskip(SKIP_1) | instid1(VALU_DEP_1)
	v_fmac_f32_e32 v100, v51, v0
	v_or_b32_e32 v0, v108, v110
	v_mul_f32_e32 v0, v26, v0
	s_delay_alu instid0(VALU_DEP_1) | instskip(SKIP_3) | instid1(VALU_DEP_3)
	v_fmac_f32_e32 v28, v35, v0
	v_mul_f32_e32 v0, v26, v1
	v_or_b32_e32 v1, v125, v127
	v_or_b32_e32 v35, v137, v139
	v_fmac_f32_e32 v100, v36, v0
	v_mul_f32_e32 v0, v26, v10
	v_or_b32_e32 v10, v136, v138
	s_delay_alu instid0(VALU_DEP_2) | instskip(SKIP_1) | instid1(VALU_DEP_1)
	v_fmac_f32_e32 v28, v37, v0
	v_mul_f32_e32 v0, v26, v39
	v_fmac_f32_e32 v100, v38, v0
	v_or_b32_e32 v0, v124, v126
	s_delay_alu instid0(VALU_DEP_1) | instskip(NEXT) | instid1(VALU_DEP_1)
	v_mul_f32_e32 v0, v26, v0
	v_fmac_f32_e32 v28, v31, v0
	v_mul_f32_e32 v0, v26, v1
	v_or_b32_e32 v1, v141, v143
	v_or_b32_e32 v31, v153, v155
	s_delay_alu instid0(VALU_DEP_3) | instskip(SKIP_2) | instid1(VALU_DEP_2)
	v_fmac_f32_e32 v100, v32, v0
	v_mul_f32_e32 v0, v26, v10
	v_or_b32_e32 v10, v152, v154
	v_fmac_f32_e32 v28, v33, v0
	v_mul_f32_e32 v0, v26, v35
	s_delay_alu instid0(VALU_DEP_1) | instskip(SKIP_1) | instid1(VALU_DEP_1)
	v_fmac_f32_e32 v100, v34, v0
	v_or_b32_e32 v0, v140, v142
	v_mul_f32_e32 v0, v26, v0
	s_delay_alu instid0(VALU_DEP_1) | instskip(SKIP_3) | instid1(VALU_DEP_3)
	v_fmac_f32_e32 v28, v16, v0
	v_mul_f32_e32 v0, v26, v1
	v_or_b32_e32 v16, v157, v159
	v_or_b32_e32 v1, v168, v170
	v_fmac_f32_e32 v100, v17, v0
	v_mul_f32_e32 v0, v26, v10
	v_or_b32_e32 v10, v156, v158
	s_delay_alu instid0(VALU_DEP_4) | instskip(NEXT) | instid1(VALU_DEP_3)
	v_mul_f32_e32 v1, v26, v1
	v_fmac_f32_e32 v28, v18, v0
	v_mul_f32_e32 v0, v26, v31
	s_delay_alu instid0(VALU_DEP_4) | instskip(SKIP_1) | instid1(VALU_DEP_3)
	v_mul_f32_e32 v10, v26, v10
	v_or_b32_e32 v31, v188, v190
	v_fmac_f32_e32 v100, v19, v0
	s_delay_alu instid0(VALU_DEP_3) | instskip(SKIP_3) | instid1(VALU_DEP_4)
	v_fmac_f32_e32 v28, v6, v10
	v_mul_f32_e32 v6, v26, v16
	v_or_b32_e32 v0, v169, v171
	v_or_b32_e32 v10, v189, v191
	v_fmac_f32_e32 v28, v8, v1
	s_delay_alu instid0(VALU_DEP_4) | instskip(SKIP_4) | instid1(VALU_DEP_4)
	v_fmac_f32_e32 v100, v7, v6
	v_or_b32_e32 v6, v172, v174
	v_mul_f32_e32 v0, v26, v0
	v_or_b32_e32 v7, v173, v175
	v_or_b32_e32 v1, v184, v186
	v_mul_f32_e32 v6, v26, v6
	s_delay_alu instid0(VALU_DEP_4) | instskip(SKIP_1) | instid1(VALU_DEP_3)
	v_fmac_f32_e32 v100, v9, v0
	v_or_b32_e32 v0, v185, v187
	v_dual_mul_f32 v1, v26, v1 :: v_dual_fmac_f32 v28, v128, v6
	v_mul_f32_e32 v6, v26, v7
	s_delay_alu instid0(VALU_DEP_3) | instskip(NEXT) | instid1(VALU_DEP_2)
	v_mul_f32_e32 v0, v26, v0
	v_fmac_f32_e32 v100, v129, v6
	ds_load_2addr_b64 v[6:9], v25 offset0:25 offset1:26
	ds_load_2addr_b64 v[16:19], v25 offset0:27 offset1:28
	s_waitcnt lgkmcnt(1)
	v_fmac_f32_e32 v28, v6, v1
	v_fmac_f32_e32 v100, v7, v0
	v_mul_f32_e32 v0, v26, v31
	v_or_b32_e32 v6, v117, v12
	v_or_b32_e32 v7, v116, v11
	s_delay_alu instid0(VALU_DEP_3)
	v_fmac_f32_e32 v28, v8, v0
	v_mul_f32_e32 v0, v26, v10
	v_mbcnt_lo_u32_b32 v10, -1, 0
	v_mul_f32_e32 v6, v26, v6
	v_mul_f32_e32 v7, v26, v7
	v_or_b32_e32 v8, v147, v22
	v_fmac_f32_e32 v100, v9, v0
	ds_load_b64 v[0:1], v25 offset:232
	v_or_b32_e32 v9, v146, v21
	s_waitcnt lgkmcnt(1)
	v_fmac_f32_e32 v28, v16, v4
	v_xor_b32_e32 v4, 1, v10
	v_dual_fmac_f32 v100, v17, v5 :: v_dual_mul_f32 v5, v26, v8
	v_mul_f32_e32 v8, v26, v9
	s_delay_alu instid0(VALU_DEP_4) | instskip(NEXT) | instid1(VALU_DEP_4)
	v_fmac_f32_e32 v28, v18, v7
	v_cmp_gt_i32_e64 s2, 32, v4
	s_delay_alu instid0(VALU_DEP_4) | instskip(NEXT) | instid1(VALU_DEP_2)
	v_fmac_f32_e32 v100, v19, v6
	v_cndmask_b32_e64 v4, v10, v4, s2
	s_waitcnt lgkmcnt(0)
	v_fmac_f32_e32 v28, v0, v8
	s_delay_alu instid0(VALU_DEP_2) | instskip(NEXT) | instid1(VALU_DEP_1)
	v_dual_fmac_f32 v100, v1, v5 :: v_dual_lshlrev_b32 v1, 2, v4
	v_add_f32_e32 v0, v28, v100
	ds_bpermute_b32 v1, v1, v0
	s_and_saveexec_b32 s18, vcc_lo
	s_cbranch_execz .LBB233_11
; %bb.497:                              ;   in Loop: Header=BB233_13 Depth=1
	scratch_load_b32 v4, off, s32 offset:392 ; 4-byte Folded Reload
	s_waitcnt lgkmcnt(0)
	v_add_f32_e32 v0, v0, v1
	s_load_b32 s24, s[8:9], 0x0
	s_waitcnt vmcnt(0)
	v_add_nc_u32_e32 v4, v4, v20
	s_delay_alu instid0(VALU_DEP_1) | instskip(NEXT) | instid1(VALU_DEP_1)
	v_cvt_f32_i32_e32 v4, v4
	v_mul_f32_e32 v4, v15, v4
	s_delay_alu instid0(VALU_DEP_1) | instskip(NEXT) | instid1(VALU_DEP_1)
	v_cndmask_b32_e64 v1, 0, v4, s1
	v_dual_max_f32 v4, v3, v3 :: v_dual_fmac_f32 v1, v0, v13
	scratch_load_b32 v0, off, s32 offset:388 ; 4-byte Folded Reload
	v_max_f32_e32 v4, v4, v1
	s_waitcnt vmcnt(0)
	v_add_nc_u32_e32 v0, v0, v20
	s_delay_alu instid0(VALU_DEP_1) | instskip(SKIP_2) | instid1(VALU_DEP_2)
	v_cmp_lt_i32_e64 s2, v0, v24
	s_waitcnt lgkmcnt(0)
	v_add_nc_u32_e32 v0, s24, v27
	v_cndmask_b32_e64 v1, 0, v1, s2
	v_cndmask_b32_e64 v3, v3, v4, s2
	ds_store_b32 v0, v1
	s_branch .LBB233_11
.LBB233_498:
	s_or_b32 exec_lo, exec_lo, s23
	scratch_load_b32 v16, off, s32 offset:408 ; 4-byte Folded Reload
	v_mov_b32_e32 v15, v14
	s_clause 0xd
	scratch_load_b32 v14, off, s32 offset:412
	scratch_load_b32 v30, off, s32 offset:416
	;; [unrolled: 1-line block ×9, first 2 shown]
	scratch_load_b64 v[17:18], off, s32 offset:448
	scratch_load_b32 v54, off, s32 offset:456
	scratch_load_b32 v19, off, s32 offset:460
	;; [unrolled: 1-line block ×4, first 2 shown]
.LBB233_499:
	s_or_b32 exec_lo, exec_lo, s22
	v_mbcnt_lo_u32_b32 v6, -1, 0
	v_max_f32_e32 v4, v3, v3
	s_waitcnt lgkmcnt(0)
	s_lshr_b32 s8, s21, 16
	s_waitcnt vmcnt(14)
	v_and_b32_e32 v21, 31, v16
	v_xor_b32_e32 v0, 16, v6
	v_xor_b32_e32 v1, 8, v6
	;; [unrolled: 1-line block ×3, first 2 shown]
	s_delay_alu instid0(VALU_DEP_3) | instskip(SKIP_1) | instid1(VALU_DEP_4)
	v_cmp_gt_i32_e32 vcc_lo, 32, v0
	v_cndmask_b32_e32 v0, v6, v0, vcc_lo
	v_cmp_gt_i32_e32 vcc_lo, 32, v1
	s_delay_alu instid0(VALU_DEP_2) | instskip(SKIP_3) | instid1(VALU_DEP_1)
	v_dual_cndmask_b32 v1, v6, v1 :: v_dual_lshlrev_b32 v2, 2, v0
	ds_bpermute_b32 v0, v2, v3
	s_waitcnt lgkmcnt(0)
	v_dual_max_f32 v0, v0, v0 :: v_dual_lshlrev_b32 v3, 2, v1
	v_max_f32_e32 v0, v4, v0
	v_xor_b32_e32 v4, 4, v6
	s_delay_alu instid0(VALU_DEP_1)
	v_cmp_gt_i32_e32 vcc_lo, 32, v4
	v_cndmask_b32_e32 v4, v6, v4, vcc_lo
	v_cmp_gt_i32_e32 vcc_lo, 32, v5
	v_cndmask_b32_e32 v5, v6, v5, vcc_lo
	ds_bpermute_b32 v1, v3, v0
	v_cmp_eq_u32_e32 vcc_lo, 0, v21
	v_lshlrev_b32_e32 v22, 2, v5
	scratch_load_b32 v5, off, s32 offset:396 ; 4-byte Folded Reload
	s_waitcnt lgkmcnt(0)
	v_max_f32_e32 v1, v1, v1
	s_delay_alu instid0(VALU_DEP_1)
	v_max_f32_e32 v0, v0, v1
	s_waitcnt vmcnt(0)
	v_lshlrev_b32_e32 v5, 2, v5
	v_lshlrev_b32_e32 v4, 2, v4
	ds_bpermute_b32 v1, v4, v0
	s_waitcnt lgkmcnt(0)
	v_max_f32_e32 v1, v1, v1
	s_delay_alu instid0(VALU_DEP_1)
	v_max_f32_e32 v0, v0, v1
	ds_bpermute_b32 v1, v22, v0
	s_and_saveexec_b32 s1, vcc_lo
	s_cbranch_execz .LBB233_501
; %bb.500:
	s_waitcnt lgkmcnt(0)
	v_dual_max_f32 v1, v1, v1 :: v_dual_max_f32 v0, v0, v0
	s_delay_alu instid0(VALU_DEP_1)
	v_max_f32_e32 v0, v0, v1
	ds_store_b32 v5, v0 offset:480
.LBB233_501:
	s_or_b32 exec_lo, exec_lo, s1
	v_cmp_gt_u32_e64 s1, 4, v21
	v_mov_b32_e32 v0, 0xff7fffff
	v_lshlrev_b32_e32 v6, 2, v21
	s_waitcnt lgkmcnt(0)
	s_waitcnt_vscnt null, 0x0
	s_barrier
	buffer_gl0_inv
	s_and_saveexec_b32 s2, s1
	s_cbranch_execz .LBB233_503
; %bb.502:
	ds_load_b32 v0, v6 offset:480
.LBB233_503:
	s_or_b32 exec_lo, exec_lo, s2
	s_waitcnt lgkmcnt(0)
	ds_bpermute_b32 v1, v22, v0
	v_mbcnt_lo_u32_b32 v8, -1, 0
	v_max_f32_e32 v0, v0, v0
	s_delay_alu instid0(VALU_DEP_2) | instskip(NEXT) | instid1(VALU_DEP_1)
	v_xor_b32_e32 v7, 1, v8
	v_cmp_gt_i32_e64 s2, 32, v7
	s_delay_alu instid0(VALU_DEP_1) | instskip(SKIP_2) | instid1(VALU_DEP_2)
	v_cndmask_b32_e64 v7, v8, v7, s2
	s_waitcnt lgkmcnt(0)
	v_max_f32_e32 v1, v1, v1
	v_lshlrev_b32_e32 v25, 2, v7
	scratch_load_b32 v7, off, s32 offset:332 ; 4-byte Folded Reload
	v_max_f32_e32 v0, v0, v1
	ds_bpermute_b32 v1, v25, v0
	s_waitcnt lgkmcnt(0)
	v_max_f32_e32 v1, v1, v1
	s_delay_alu instid0(VALU_DEP_1) | instskip(SKIP_3) | instid1(VALU_DEP_2)
	v_max_f32_e32 v0, v0, v1
	s_waitcnt vmcnt(0)
	v_subrev_nc_u32_e32 v8, s13, v7
	v_mov_b32_e32 v7, 0
	v_lshl_add_u32 v1, v8, 4, s15
	ds_bpermute_b32 v0, v7, v0
	v_min_i32_e32 v1, v1, v24
	s_delay_alu instid0(VALU_DEP_1) | instskip(NEXT) | instid1(VALU_DEP_1)
	v_subrev_nc_u32_e32 v1, s15, v1
	v_cmp_lt_i32_e64 s2, v16, v1
	s_delay_alu instid0(VALU_DEP_1)
	s_and_saveexec_b32 s9, s2
	s_cbranch_execz .LBB233_507
; %bb.504:
	s_getpc_b64 s[16:17]
	s_add_u32 s16, s16, llvm.amdgcn.dynlds.offset.table@rel32@lo+4
	s_addc_u32 s17, s17, llvm.amdgcn.dynlds.offset.table@rel32@hi+12
	s_ashr_i32 s7, s6, 31
	v_mov_b32_e32 v7, 0
	s_lshl_b64 s[18:19], s[6:7], 2
	v_mov_b32_e32 v9, v16
	s_add_u32 s16, s18, s16
	s_addc_u32 s17, s19, s17
	s_mov_b32 s7, 0
	s_load_b32 s3, s[16:17], 0x0
	s_waitcnt lgkmcnt(0)
	v_lshl_add_u32 v8, v16, 2, s3
	.p2align	6
.LBB233_505:                            ; =>This Inner Loop Header: Depth=1
	ds_load_b32 v10, v8
	v_add_nc_u32_e32 v9, 0x80, v9
	s_delay_alu instid0(VALU_DEP_1) | instskip(NEXT) | instid1(VALU_DEP_1)
	v_cmp_ge_i32_e64 s3, v9, v1
	s_or_b32 s7, s3, s7
	s_waitcnt lgkmcnt(0)
	v_sub_f32_e32 v10, v10, v0
	s_delay_alu instid0(VALU_DEP_1) | instskip(NEXT) | instid1(VALU_DEP_1)
	v_mul_f32_e32 v10, 0x3fb8aa3b, v10
	v_exp_f32_e32 v10, v10
	ds_store_b32 v8, v10
	v_dual_add_f32 v7, v7, v10 :: v_dual_add_nc_u32 v8, 0x200, v8
	s_and_not1_b32 exec_lo, exec_lo, s7
	s_cbranch_execnz .LBB233_505
; %bb.506:
	s_or_b32 exec_lo, exec_lo, s7
.LBB233_507:
	s_delay_alu instid0(SALU_CYCLE_1)
	s_or_b32 exec_lo, exec_lo, s9
	ds_bpermute_b32 v2, v2, v7
	s_waitcnt lgkmcnt(0)
	v_add_f32_e32 v2, v7, v2
	ds_bpermute_b32 v3, v3, v2
	s_waitcnt lgkmcnt(0)
	v_add_f32_e32 v2, v2, v3
	;; [unrolled: 3-line block ×5, first 2 shown]
	s_and_saveexec_b32 s3, vcc_lo
	s_cbranch_execz .LBB233_509
; %bb.508:
	ds_store_b32 v5, v2 offset:496
.LBB233_509:
	s_or_b32 exec_lo, exec_lo, s3
	s_waitcnt lgkmcnt(0)
	s_barrier
	buffer_gl0_inv
	s_and_saveexec_b32 s3, s1
	s_cbranch_execz .LBB233_511
; %bb.510:
	ds_load_b32 v2, v6 offset:496
.LBB233_511:
	s_or_b32 exec_lo, exec_lo, s3
	s_waitcnt lgkmcnt(0)
	ds_bpermute_b32 v3, v22, v2
	s_waitcnt lgkmcnt(0)
	v_add_f32_e32 v2, v2, v3
	ds_bpermute_b32 v3, v25, v2
	s_waitcnt lgkmcnt(0)
	v_dual_add_f32 v2, v2, v3 :: v_dual_mov_b32 v3, 0
	ds_bpermute_b32 v2, v3, v2
	s_and_saveexec_b32 s1, s2
	s_cbranch_execz .LBB233_514
; %bb.512:
	s_waitcnt lgkmcnt(0)
	v_add_f32_e32 v4, 0x358637bd, v2
	s_getpc_b64 s[2:3]
	s_add_u32 s2, s2, llvm.amdgcn.dynlds.offset.table@rel32@lo+4
	s_addc_u32 s3, s3, llvm.amdgcn.dynlds.offset.table@rel32@hi+12
	s_ashr_i32 s7, s6, 31
	s_delay_alu instid0(SALU_CYCLE_1) | instskip(SKIP_4) | instid1(VALU_DEP_1)
	s_lshl_b64 s[16:17], s[6:7], 2
	v_div_scale_f32 v3, null, v4, v4, 1.0
	s_add_u32 s2, s16, s2
	s_addc_u32 s3, s17, s3
	s_load_b32 s2, s[2:3], 0x0
	v_rcp_f32_e32 v5, v3
	s_waitcnt_depctr 0xfff
	v_fma_f32 v6, -v3, v5, 1.0
	s_delay_alu instid0(VALU_DEP_1) | instskip(SKIP_1) | instid1(VALU_DEP_1)
	v_fmac_f32_e32 v5, v6, v5
	v_div_scale_f32 v7, vcc_lo, 1.0, v4, 1.0
	v_mul_f32_e32 v6, v7, v5
	s_delay_alu instid0(VALU_DEP_1) | instskip(NEXT) | instid1(VALU_DEP_1)
	v_fma_f32 v8, -v3, v6, v7
	v_fmac_f32_e32 v6, v8, v5
	s_delay_alu instid0(VALU_DEP_1) | instskip(NEXT) | instid1(VALU_DEP_1)
	v_fma_f32 v3, -v3, v6, v7
	v_div_fmas_f32 v5, v3, v5, v6
	s_waitcnt lgkmcnt(0)
	v_lshl_add_u32 v3, v16, 2, s2
	s_mov_b32 s2, 0
	s_delay_alu instid0(VALU_DEP_2)
	v_div_fixup_f32 v4, v5, v4, 1.0
	v_mov_b32_e32 v5, v16
.LBB233_513:                            ; =>This Inner Loop Header: Depth=1
	ds_load_b32 v6, v3
	s_waitcnt lgkmcnt(0)
	v_dual_mul_f32 v6, v4, v6 :: v_dual_add_nc_u32 v5, 0x80, v5
	s_delay_alu instid0(VALU_DEP_1) | instskip(SKIP_3) | instid1(SALU_CYCLE_1)
	v_cmp_ge_i32_e32 vcc_lo, v5, v1
	ds_store_b32 v3, v6
	v_add_nc_u32_e32 v3, 0x200, v3
	s_or_b32 s2, vcc_lo, s2
	s_and_not1_b32 exec_lo, exec_lo, s2
	s_cbranch_execnz .LBB233_513
.LBB233_514:
	s_or_b32 exec_lo, exec_lo, s1
	v_cmp_ne_u16_e64 s1, s8, 0
	s_waitcnt lgkmcnt(0)
	s_barrier
	buffer_gl0_inv
	s_cmp_lg_u32 s1, 0
	s_addc_u32 s1, s5, 0
	s_mov_b32 s5, exec_lo
	s_mul_i32 s2, s1, s10
	s_delay_alu instid0(SALU_CYCLE_1)
	s_mul_i32 s2, s2, s11
	v_cmpx_eq_u32_e32 0, v16
	s_cbranch_execz .LBB233_516
; %bb.515:
	s_mul_i32 s8, s1, s12
	s_ashr_i32 s15, s14, 31
	s_ashr_i32 s9, s8, 31
	;; [unrolled: 1-line block ×3, first 2 shown]
	s_lshl_b64 s[8:9], s[8:9], 2
	s_lshl_b64 s[10:11], s[14:15], 2
	s_lshl_b64 s[12:13], s[2:3], 2
	s_add_u32 s3, s10, s8
	s_addc_u32 s7, s11, s9
	s_add_u32 s3, s3, s12
	s_addc_u32 s7, s7, s13
	v_add_co_u32 v3, vcc_lo, s3, v34
	v_add_co_ci_u32_e32 v4, vcc_lo, s7, v33, vcc_lo
	v_add_co_u32 v5, vcc_lo, s3, v32
	v_add_co_ci_u32_e32 v6, vcc_lo, s7, v27, vcc_lo
	flat_store_b32 v[3:4], v0
	flat_store_b32 v[5:6], v2
.LBB233_516:
	s_or_b32 exec_lo, exec_lo, s5
	s_ashr_i32 s7, s6, 31
	s_getpc_b64 s[8:9]
	s_add_u32 s8, s8, llvm.amdgcn.dynlds.offset.table@rel32@lo+4
	s_addc_u32 s9, s9, llvm.amdgcn.dynlds.offset.table@rel32@hi+12
	s_lshl_b64 s[6:7], s[6:7], 2
	v_dual_mov_b32 v49, 0 :: v_dual_mov_b32 v50, 0
	v_dual_mov_b32 v48, 0 :: v_dual_and_b32 v183, 3, v16
	v_dual_mov_b32 v39, 0 :: v_dual_mov_b32 v38, 0
	v_dual_mov_b32 v37, 0 :: v_dual_mov_b32 v36, 0
	;; [unrolled: 1-line block ×5, first 2 shown]
	v_mov_b32_e32 v29, 0
	v_mov_b32_e32 v27, 0
	s_add_u32 s6, s6, s8
	s_addc_u32 s7, s7, s9
	s_mov_b32 s8, 0
	s_and_saveexec_b32 s3, s0
	s_cbranch_execz .LBB233_1032
; %bb.517:
	v_max_i32_e32 v51, v30, v51
	v_add_co_u32 v3, vcc_lo, v53, v54
	v_dual_mov_b32 v32, 0 :: v_dual_and_b32 v5, 0x7c, v20
	s_delay_alu instid0(VALU_DEP_3) | instskip(SKIP_3) | instid1(VALU_DEP_3)
	v_cvt_f32_u32_e32 v0, v51
	v_sub_nc_u32_e32 v8, 0, v51
	v_add_co_ci_u32_e32 v4, vcc_lo, v26, v11, vcc_lo
	s_load_b32 s0, s[6:7], 0x0
	v_rcp_iflag_f32_e32 v2, v0
	v_mov_b32_e32 v29, 0
	v_lshlrev_b64 v[0:1], 2, v[112:113]
	v_dual_mov_b32 v27, 0 :: v_dual_lshlrev_b32 v6, 4, v183
	v_dual_mov_b32 v7, 0 :: v_dual_and_b32 v52, 12, v20
	v_dual_mov_b32 v28, 0 :: v_dual_add_nc_u32 v53, -1, v19
	v_dual_mov_b32 v31, 0 :: v_dual_mov_b32 v34, 0
	s_delay_alu instid0(TRANS32_DEP_1) | instskip(SKIP_2) | instid1(VALU_DEP_3)
	v_dual_mul_f32 v2, 0x4f7ffffe, v2 :: v_dual_mov_b32 v33, 0
	v_dual_mov_b32 v36, 0 :: v_dual_mov_b32 v35, 0
	v_mov_b32_e32 v38, 0
	v_cvt_u32_f32_e32 v2, v2
	v_dual_mov_b32 v37, 0 :: v_dual_mov_b32 v48, 0
	v_mov_b32_e32 v49, 0
	s_brev_b32 s9, 1
	s_delay_alu instid0(VALU_DEP_3)
	v_mul_lo_u32 v10, v8, v2
	v_add_co_u32 v8, vcc_lo, v3, v5
	v_add_co_ci_u32_e32 v9, vcc_lo, 0, v4, vcc_lo
	scratch_load_b32 v4, off, s32 offset:396 ; 4-byte Folded Reload
	v_add_co_u32 v0, vcc_lo, v17, v0
	v_mul_hi_u32 v3, v2, v10
	v_add_co_ci_u32_e32 v1, vcc_lo, v18, v1, vcc_lo
	s_delay_alu instid0(VALU_DEP_3) | instskip(SKIP_1) | instid1(VALU_DEP_2)
	v_add_co_u32 v10, vcc_lo, v14, v0
	s_mov_b32 s11, 0x7f800001
	v_add_co_ci_u32_e32 v11, vcc_lo, v15, v1, vcc_lo
	s_delay_alu instid0(VALU_DEP_4) | instskip(SKIP_4) | instid1(VALU_DEP_1)
	v_dual_mov_b32 v50, 0 :: v_dual_add_nc_u32 v55, v2, v3
	s_mov_b32 s5, s8
	s_waitcnt vmcnt(0)
	v_lshl_or_b32 v4, v4, 6, v6
	s_waitcnt lgkmcnt(0)
	v_dual_mov_b32 v39, 0 :: v_dual_add_nc_u32 v54, s0, v4
	s_branch .LBB233_520
.LBB233_518:                            ;   in Loop: Header=BB233_520 Depth=1
	s_or_b32 exec_lo, exec_lo, s0
	v_mul_f32_e32 v14, v1, v176
	v_mul_f32_e32 v16, v1, v160
	;; [unrolled: 1-line block ×3, first 2 shown]
	s_delay_alu instid0(VALU_DEP_3) | instskip(NEXT) | instid1(VALU_DEP_3)
	v_dual_mul_f32 v15, v1, v164 :: v_dual_fmac_f32 v14, v0, v167
	v_dual_fmac_f32 v16, v0, v151 :: v_dual_mul_f32 v17, v1, v148
	s_delay_alu instid0(VALU_DEP_3) | instskip(NEXT) | instid1(VALU_DEP_3)
	v_fmac_f32_e32 v13, v0, v177
	v_dual_fmac_f32 v15, v0, v163 :: v_dual_fmac_f32 v14, v2, v166
	s_delay_alu instid0(VALU_DEP_3) | instskip(NEXT) | instid1(VALU_DEP_3)
	v_dual_fmac_f32 v16, v2, v150 :: v_dual_fmac_f32 v17, v0, v147
	v_fmac_f32_e32 v13, v2, v19
	s_delay_alu instid0(VALU_DEP_3) | instskip(NEXT) | instid1(VALU_DEP_3)
	v_dual_fmac_f32 v15, v2, v162 :: v_dual_fmac_f32 v14, v3, v165
	v_fmac_f32_e32 v16, v3, v149
	s_delay_alu instid0(VALU_DEP_3) | instskip(NEXT) | instid1(VALU_DEP_3)
	v_fmac_f32_e32 v13, v3, v18
	v_fmac_f32_e32 v15, v3, v161
	s_delay_alu instid0(VALU_DEP_3) | instskip(NEXT) | instid1(VALU_DEP_3)
	v_dual_add_f32 v29, v29, v14 :: v_dual_add_f32 v32, v32, v16
	v_dual_fmac_f32 v17, v2, v146 :: v_dual_add_f32 v28, v28, v13
	v_mul_f32_e32 v14, v1, v132
	s_delay_alu instid0(VALU_DEP_2) | instskip(NEXT) | instid1(VALU_DEP_2)
	v_dual_mul_f32 v16, v1, v116 :: v_dual_fmac_f32 v17, v3, v145
	v_fmac_f32_e32 v14, v0, v131
	v_add_f32_e32 v31, v31, v15
	s_delay_alu instid0(VALU_DEP_3) | instskip(NEXT) | instid1(VALU_DEP_3)
	v_dual_fmac_f32 v16, v0, v115 :: v_dual_add_f32 v33, v33, v17
	v_dual_mul_f32 v13, v1, v144 :: v_dual_fmac_f32 v14, v2, v130
	s_delay_alu instid0(VALU_DEP_2) | instskip(NEXT) | instid1(VALU_DEP_2)
	v_dual_mul_f32 v15, v1, v128 :: v_dual_fmac_f32 v16, v2, v114
	v_dual_mul_f32 v17, v1, v103 :: v_dual_fmac_f32 v14, v3, v129
	s_delay_alu instid0(VALU_DEP_1) | instskip(NEXT) | instid1(VALU_DEP_2)
	v_dual_fmac_f32 v16, v3, v113 :: v_dual_fmac_f32 v17, v0, v102
	v_dual_add_f32 v35, v35, v14 :: v_dual_mul_f32 v14, v1, v87
	s_delay_alu instid0(VALU_DEP_2) | instskip(NEXT) | instid1(VALU_DEP_3)
	v_add_f32_e32 v37, v37, v16
	v_dual_fmac_f32 v17, v2, v101 :: v_dual_mul_f32 v16, v1, v67
	s_delay_alu instid0(VALU_DEP_1) | instskip(NEXT) | instid1(VALU_DEP_2)
	v_dual_fmac_f32 v14, v0, v86 :: v_dual_fmac_f32 v17, v3, v100
	v_fmac_f32_e32 v16, v0, v66
	s_delay_alu instid0(VALU_DEP_2) | instskip(NEXT) | instid1(VALU_DEP_3)
	v_dual_fmac_f32 v14, v2, v85 :: v_dual_fmac_f32 v13, v0, v135
	v_add_f32_e32 v38, v38, v17
	s_delay_alu instid0(VALU_DEP_3) | instskip(NEXT) | instid1(VALU_DEP_3)
	v_fmac_f32_e32 v16, v2, v65
	v_dual_fmac_f32 v14, v3, v84 :: v_dual_fmac_f32 v13, v2, v134
	s_delay_alu instid0(VALU_DEP_2) | instskip(NEXT) | instid1(VALU_DEP_2)
	v_fmac_f32_e32 v16, v3, v64
	v_dual_add_f32 v48, v48, v14 :: v_dual_fmac_f32 v13, v3, v133
	v_fmac_f32_e32 v15, v0, v119
	s_delay_alu instid0(VALU_DEP_2) | instskip(NEXT) | instid1(VALU_DEP_2)
	v_dual_add_f32 v49, v49, v16 :: v_dual_add_f32 v34, v34, v13
	v_fmac_f32_e32 v15, v2, v118
	v_mul_f32_e32 v13, v1, v99
	s_delay_alu instid0(VALU_DEP_2) | instskip(NEXT) | instid1(VALU_DEP_2)
	v_fmac_f32_e32 v15, v3, v117
	v_fmac_f32_e32 v13, v0, v98
	s_delay_alu instid0(VALU_DEP_2) | instskip(SKIP_2) | instid1(VALU_DEP_4)
	v_add_f32_e32 v36, v36, v15
	v_mul_f32_e32 v15, v1, v83
	v_mul_f32_e32 v1, v1, v12
	v_fmac_f32_e32 v13, v2, v97
	s_delay_alu instid0(VALU_DEP_3) | instskip(NEXT) | instid1(VALU_DEP_3)
	v_fmac_f32_e32 v15, v0, v82
	v_fmac_f32_e32 v1, v0, v6
	s_delay_alu instid0(VALU_DEP_3) | instskip(NEXT) | instid1(VALU_DEP_3)
	v_fmac_f32_e32 v13, v3, v96
	;; [unrolled: 3-line block ×3, first 2 shown]
	v_add_f32_e32 v39, v39, v13
	s_delay_alu instid0(VALU_DEP_3) | instskip(NEXT) | instid1(VALU_DEP_1)
	v_fmac_f32_e32 v15, v3, v80
	v_dual_fmac_f32 v1, v3, v4 :: v_dual_add_f32 v50, v50, v15
	s_delay_alu instid0(VALU_DEP_1)
	v_add_f32_e32 v27, v27, v1
.LBB233_519:                            ;   in Loop: Header=BB233_520 Depth=1
	s_or_b32 exec_lo, exec_lo, s12
	scratch_load_b32 v0, off, s32 offset:332 ; 4-byte Folded Reload
	v_add_nc_u32_e32 v112, 4, v112
	v_add_co_u32 v10, s0, v10, 16
	s_delay_alu instid0(VALU_DEP_1)
	v_add_co_ci_u32_e64 v11, s0, 0, v11, s0
	v_add_nc_u32_e32 v23, 64, v23
	v_add_nc_u32_e32 v54, 0x100, v54
	s_waitcnt vmcnt(0)
	v_cmp_ge_i32_e32 vcc_lo, v112, v0
	s_or_b32 s5, vcc_lo, s5
	s_delay_alu instid0(SALU_CYCLE_1)
	s_and_not1_b32 exec_lo, exec_lo, s5
	s_cbranch_execz .LBB233_1031
.LBB233_520:                            ; =>This Inner Loop Header: Depth=1
	s_clause 0x1
	scratch_load_b32 v1, off, s32 offset:344
	scratch_load_b32 v4, off, s32 offset:328
	v_sub_nc_u32_e32 v0, 0, v23
	s_delay_alu instid0(VALU_DEP_1) | instskip(SKIP_1) | instid1(VALU_DEP_1)
	v_max_i32_e32 v0, v23, v0
	s_waitcnt vmcnt(1)
	v_mul_hi_u32 v1, v0, v1
	s_delay_alu instid0(VALU_DEP_1) | instskip(NEXT) | instid1(VALU_DEP_1)
	v_mul_lo_u32 v2, v1, v47
	v_sub_nc_u32_e32 v0, v0, v2
	v_add_nc_u32_e32 v2, 1, v1
	s_delay_alu instid0(VALU_DEP_2) | instskip(SKIP_1) | instid1(VALU_DEP_2)
	v_sub_nc_u32_e32 v3, v0, v47
	v_cmp_ge_u32_e32 vcc_lo, v0, v47
	v_dual_cndmask_b32 v1, v1, v2 :: v_dual_cndmask_b32 v0, v0, v3
	v_ashrrev_i32_e32 v2, 31, v23
	s_delay_alu instid0(VALU_DEP_2) | instskip(NEXT) | instid1(VALU_DEP_3)
	v_add_nc_u32_e32 v3, 1, v1
	v_cmp_ge_u32_e32 vcc_lo, v0, v47
	s_waitcnt vmcnt(0)
	s_delay_alu instid0(VALU_DEP_3) | instskip(NEXT) | instid1(VALU_DEP_3)
	v_xor_b32_e32 v2, v2, v4
	v_cndmask_b32_e32 v0, v1, v3, vcc_lo
	s_delay_alu instid0(VALU_DEP_1) | instskip(NEXT) | instid1(VALU_DEP_1)
	v_xor_b32_e32 v0, v0, v2
	v_sub_nc_u32_e32 v0, v0, v2
	scratch_load_b64 v[1:2], off, s32 offset:336 ; 8-byte Folded Reload
	s_waitcnt vmcnt(0)
	v_add_nc_u32_e32 v1, v0, v1
	s_delay_alu instid0(VALU_DEP_1) | instskip(NEXT) | instid1(VALU_DEP_1)
	v_sub_nc_u32_e32 v2, 0, v1
	v_max_i32_e32 v2, v1, v2
	s_delay_alu instid0(VALU_DEP_1) | instskip(NEXT) | instid1(VALU_DEP_1)
	v_mul_hi_u32 v3, v2, v55
	v_mul_lo_u32 v3, v3, v51
	s_delay_alu instid0(VALU_DEP_1) | instskip(NEXT) | instid1(VALU_DEP_1)
	v_sub_nc_u32_e32 v2, v2, v3
	v_sub_nc_u32_e32 v3, v2, v51
	v_cmp_ge_u32_e32 vcc_lo, v2, v51
	s_delay_alu instid0(VALU_DEP_2) | instskip(SKIP_1) | instid1(VALU_DEP_2)
	v_cndmask_b32_e32 v2, v2, v3, vcc_lo
	v_ashrrev_i32_e32 v1, 31, v1
	v_sub_nc_u32_e32 v3, v2, v51
	v_cmp_ge_u32_e32 vcc_lo, v2, v51
	s_delay_alu instid0(VALU_DEP_2) | instskip(NEXT) | instid1(VALU_DEP_1)
	v_cndmask_b32_e32 v2, v2, v3, vcc_lo
	v_xor_b32_e32 v2, v2, v1
	s_delay_alu instid0(VALU_DEP_1) | instskip(NEXT) | instid1(VALU_DEP_1)
	v_sub_nc_u32_e32 v1, v2, v1
	v_cmp_eq_u32_e32 vcc_lo, 0, v1
	scratch_load_b32 v1, off, s32 offset:348 ; 4-byte Folded Reload
	s_waitcnt vmcnt(0)
	v_cmp_gt_i32_e64 s0, v0, v1
	s_delay_alu instid0(VALU_DEP_1) | instskip(NEXT) | instid1(SALU_CYCLE_1)
	s_or_b32 s0, vcc_lo, s0
	s_and_saveexec_b32 s12, s0
	s_cbranch_execz .LBB233_519
; %bb.521:                              ;   in Loop: Header=BB233_520 Depth=1
	flat_load_b32 v0, v[10:11]
	scratch_load_b32 v1, off, s32 offset:352 ; 4-byte Folded Reload
	v_mov_b32_e32 v14, 0
	s_mov_b32 s0, exec_lo
	s_waitcnt vmcnt(0) lgkmcnt(0)
	v_mad_i64_i32 v[12:13], null, v0, v1, v[8:9]
	flat_load_b32 v64, v[12:13]
	scratch_load_b64 v[0:1], off, s32 offset:360 ; 8-byte Folded Reload
	s_waitcnt vmcnt(1) lgkmcnt(0)
	v_dual_mov_b32 v15, 0 :: v_dual_and_b32 v6, 0xff, v64
	s_waitcnt vmcnt(0)
	flat_load_b32 v26, v[0:1]
	ds_load_b128 v[0:3], v54
	v_dual_mov_b32 v4, v14 :: v_dual_mov_b32 v5, v15
	v_cmpx_ne_u16_e32 0, v6
	s_cbranch_execz .LBB233_529
; %bb.522:                              ;   in Loop: Header=BB233_520 Depth=1
	v_bfrev_b32_e32 v4, 1
	v_mov_b32_e32 v5, 0
	s_mov_b32 s10, exec_lo
	v_cmpx_ne_u16_e32 0x80, v6
	s_cbranch_execz .LBB233_528
; %bb.523:                              ;   in Loop: Header=BB233_520 Depth=1
	v_mov_b32_e32 v4, 0x7f800001
	v_dual_mov_b32 v5, 0 :: v_dual_and_b32 v16, 0x7f, v64
	s_mov_b32 s13, exec_lo
	s_delay_alu instid0(VALU_DEP_1)
	v_cmpx_ne_u32_e32 0x7f, v16
	s_cbranch_execz .LBB233_527
; %bb.524:                              ;   in Loop: Header=BB233_520 Depth=1
	v_and_b32_e32 v6, 7, v64
	v_lshrrev_b32_e32 v4, 3, v16
	s_mov_b32 s15, exec_lo
	v_cmpx_gt_u32_e32 8, v16
; %bb.525:                              ;   in Loop: Header=BB233_520 Depth=1
	s_delay_alu instid0(VALU_DEP_3) | instskip(NEXT) | instid1(VALU_DEP_1)
	v_clz_i32_u32_e32 v4, v6
	v_min_u32_e32 v4, 32, v4
	s_delay_alu instid0(VALU_DEP_1) | instskip(SKIP_1) | instid1(VALU_DEP_2)
	v_subrev_nc_u32_e32 v5, 28, v4
	v_sub_nc_u32_e32 v4, 29, v4
	v_lshlrev_b64 v[5:6], v5, v[6:7]
	s_delay_alu instid0(VALU_DEP_1)
	v_and_b32_e32 v6, 7, v5
; %bb.526:                              ;   in Loop: Header=BB233_520 Depth=1
	s_or_b32 exec_lo, exec_lo, s15
	v_lshlrev_b32_e32 v5, 24, v64
	s_delay_alu instid0(VALU_DEP_2) | instskip(SKIP_1) | instid1(VALU_DEP_3)
	v_lshlrev_b32_e32 v6, 20, v6
	v_lshl_add_u32 v4, v4, 23, 0x3c000000
	v_and_b32_e32 v5, 0x80000000, v5
	s_delay_alu instid0(VALU_DEP_1) | instskip(NEXT) | instid1(VALU_DEP_1)
	v_or3_b32 v6, v6, v5, v4
	v_dual_mov_b32 v4, v6 :: v_dual_mov_b32 v5, v7
.LBB233_527:                            ;   in Loop: Header=BB233_520 Depth=1
	s_or_b32 exec_lo, exec_lo, s13
.LBB233_528:                            ;   in Loop: Header=BB233_520 Depth=1
	s_delay_alu instid0(SALU_CYCLE_1)
	s_or_b32 exec_lo, exec_lo, s10
.LBB233_529:                            ;   in Loop: Header=BB233_520 Depth=1
	s_delay_alu instid0(SALU_CYCLE_1) | instskip(SKIP_2) | instid1(VALU_DEP_1)
	s_or_b32 exec_lo, exec_lo, s0
	v_lshrrev_b16 v6, 8, v64
	s_mov_b32 s0, exec_lo
	v_cmpx_ne_u16_e32 0, v6
	s_cbranch_execz .LBB233_537
; %bb.530:                              ;   in Loop: Header=BB233_520 Depth=1
	v_dual_mov_b32 v15, s9 :: v_dual_mov_b32 v14, s8
	s_mov_b32 s13, exec_lo
	v_cmpx_ne_u16_e32 0x80, v6
	s_cbranch_execz .LBB233_536
; %bb.531:                              ;   in Loop: Header=BB233_520 Depth=1
	s_mov_b32 s10, s8
	v_dual_mov_b32 v15, s11 :: v_dual_and_b32 v6, 0xffff, v6
	v_mov_b32_e32 v14, s10
	s_mov_b32 s10, exec_lo
	s_delay_alu instid0(VALU_DEP_2) | instskip(NEXT) | instid1(VALU_DEP_1)
	v_and_b32_e32 v16, 0x7f, v6
	v_cmpx_ne_u32_e32 0x7f, v16
	s_cbranch_execz .LBB233_535
; %bb.532:                              ;   in Loop: Header=BB233_520 Depth=1
	v_and_b32_e32 v6, 7, v6
	v_lshrrev_b32_e32 v14, 3, v16
	s_mov_b32 s15, exec_lo
	v_cmpx_gt_u32_e32 8, v16
; %bb.533:                              ;   in Loop: Header=BB233_520 Depth=1
	s_delay_alu instid0(VALU_DEP_3) | instskip(NEXT) | instid1(VALU_DEP_1)
	v_clz_i32_u32_e32 v14, v6
	v_min_u32_e32 v14, 32, v14
	s_delay_alu instid0(VALU_DEP_1) | instskip(SKIP_1) | instid1(VALU_DEP_2)
	v_subrev_nc_u32_e32 v15, 28, v14
	v_sub_nc_u32_e32 v14, 29, v14
	v_lshlrev_b64 v[15:16], v15, v[6:7]
	s_delay_alu instid0(VALU_DEP_1)
	v_and_b32_e32 v6, 7, v15
; %bb.534:                              ;   in Loop: Header=BB233_520 Depth=1
	s_or_b32 exec_lo, exec_lo, s15
	v_lshlrev_b32_e32 v15, 16, v64
	s_delay_alu instid0(VALU_DEP_2) | instskip(SKIP_1) | instid1(VALU_DEP_3)
	v_lshlrev_b32_e32 v6, 20, v6
	v_lshl_add_u32 v14, v14, 23, 0x3c000000
	v_and_b32_e32 v15, 0x80000000, v15
	s_delay_alu instid0(VALU_DEP_1)
	v_or3_b32 v15, v6, v15, v14
	v_mov_b32_e32 v14, v7
.LBB233_535:                            ;   in Loop: Header=BB233_520 Depth=1
	s_or_b32 exec_lo, exec_lo, s10
.LBB233_536:                            ;   in Loop: Header=BB233_520 Depth=1
	s_delay_alu instid0(SALU_CYCLE_1)
	s_or_b32 exec_lo, exec_lo, s13
.LBB233_537:                            ;   in Loop: Header=BB233_520 Depth=1
	s_delay_alu instid0(SALU_CYCLE_1) | instskip(SKIP_4) | instid1(VALU_DEP_2)
	s_or_b32 exec_lo, exec_lo, s0
	v_mov_b32_e32 v18, 0
	v_lshrrev_b32_e32 v65, 16, v64
	v_mov_b32_e32 v19, 0
	s_mov_b32 s0, exec_lo
	v_and_b32_e32 v6, 0xff, v65
	s_delay_alu instid0(VALU_DEP_2) | instskip(NEXT) | instid1(VALU_DEP_2)
	v_dual_mov_b32 v16, v18 :: v_dual_mov_b32 v17, v19
	v_cmpx_ne_u16_e32 0, v6
	s_cbranch_execz .LBB233_545
; %bb.538:                              ;   in Loop: Header=BB233_520 Depth=1
	v_bfrev_b32_e32 v16, 1
	v_mov_b32_e32 v17, 0
	s_mov_b32 s10, exec_lo
	v_cmpx_ne_u16_e32 0x80, v6
	s_cbranch_execz .LBB233_544
; %bb.539:                              ;   in Loop: Header=BB233_520 Depth=1
	v_mov_b32_e32 v16, 0x7f800001
	v_bfe_u32 v66, v64, 16, 7
	v_mov_b32_e32 v17, 0
	s_mov_b32 s13, exec_lo
	s_delay_alu instid0(VALU_DEP_2)
	v_cmpx_ne_u32_e32 0x7f, v66
	s_cbranch_execz .LBB233_543
; %bb.540:                              ;   in Loop: Header=BB233_520 Depth=1
	v_and_b32_e32 v6, 7, v65
	v_lshrrev_b32_e32 v16, 3, v66
	s_mov_b32 s15, exec_lo
	v_cmpx_gt_u32_e32 8, v66
; %bb.541:                              ;   in Loop: Header=BB233_520 Depth=1
	s_delay_alu instid0(VALU_DEP_3) | instskip(NEXT) | instid1(VALU_DEP_1)
	v_clz_i32_u32_e32 v16, v6
	v_min_u32_e32 v16, 32, v16
	s_delay_alu instid0(VALU_DEP_1) | instskip(SKIP_1) | instid1(VALU_DEP_2)
	v_subrev_nc_u32_e32 v17, 28, v16
	v_sub_nc_u32_e32 v16, 29, v16
	v_lshlrev_b64 v[66:67], v17, v[6:7]
	s_delay_alu instid0(VALU_DEP_1)
	v_and_b32_e32 v6, 7, v66
; %bb.542:                              ;   in Loop: Header=BB233_520 Depth=1
	s_or_b32 exec_lo, exec_lo, s15
	v_lshlrev_b32_e32 v17, 24, v65
	s_delay_alu instid0(VALU_DEP_2) | instskip(SKIP_1) | instid1(VALU_DEP_3)
	v_lshlrev_b32_e32 v6, 20, v6
	v_lshl_add_u32 v16, v16, 23, 0x3c000000
	v_and_b32_e32 v17, 0x80000000, v17
	s_delay_alu instid0(VALU_DEP_1) | instskip(NEXT) | instid1(VALU_DEP_1)
	v_or3_b32 v6, v6, v17, v16
	v_dual_mov_b32 v17, v7 :: v_dual_mov_b32 v16, v6
.LBB233_543:                            ;   in Loop: Header=BB233_520 Depth=1
	s_or_b32 exec_lo, exec_lo, s13
.LBB233_544:                            ;   in Loop: Header=BB233_520 Depth=1
	s_delay_alu instid0(SALU_CYCLE_1)
	s_or_b32 exec_lo, exec_lo, s10
.LBB233_545:                            ;   in Loop: Header=BB233_520 Depth=1
	s_delay_alu instid0(SALU_CYCLE_1) | instskip(NEXT) | instid1(SALU_CYCLE_1)
	s_or_b32 exec_lo, exec_lo, s0
	s_mov_b32 s0, exec_lo
	v_cmpx_lt_u32_e32 0xffffff, v64
	s_cbranch_execz .LBB233_553
; %bb.546:                              ;   in Loop: Header=BB233_520 Depth=1
	v_lshrrev_b32_e32 v65, 24, v64
	v_dual_mov_b32 v19, s9 :: v_dual_mov_b32 v18, s8
	s_mov_b32 s13, exec_lo
	s_delay_alu instid0(VALU_DEP_2)
	v_cmpx_ne_u32_e32 0x80, v65
	s_cbranch_execz .LBB233_552
; %bb.547:                              ;   in Loop: Header=BB233_520 Depth=1
	s_mov_b32 s10, s8
	v_bfe_u32 v64, v64, 24, 7
	v_dual_mov_b32 v19, s11 :: v_dual_mov_b32 v18, s10
	s_mov_b32 s10, exec_lo
	s_delay_alu instid0(VALU_DEP_2)
	v_cmpx_ne_u32_e32 0x7f, v64
	s_cbranch_execz .LBB233_551
; %bb.548:                              ;   in Loop: Header=BB233_520 Depth=1
	v_and_b32_e32 v6, 7, v65
	v_lshrrev_b32_e32 v18, 3, v64
	s_mov_b32 s15, exec_lo
	v_cmpx_gt_u32_e32 8, v64
; %bb.549:                              ;   in Loop: Header=BB233_520 Depth=1
	s_delay_alu instid0(VALU_DEP_3) | instskip(NEXT) | instid1(VALU_DEP_1)
	v_clz_i32_u32_e32 v18, v6
	v_min_u32_e32 v18, 32, v18
	s_delay_alu instid0(VALU_DEP_1) | instskip(SKIP_1) | instid1(VALU_DEP_2)
	v_subrev_nc_u32_e32 v19, 28, v18
	v_sub_nc_u32_e32 v18, 29, v18
	v_lshlrev_b64 v[66:67], v19, v[6:7]
	s_delay_alu instid0(VALU_DEP_1)
	v_and_b32_e32 v6, 7, v66
; %bb.550:                              ;   in Loop: Header=BB233_520 Depth=1
	s_or_b32 exec_lo, exec_lo, s15
	v_lshlrev_b32_e32 v19, 24, v65
	s_delay_alu instid0(VALU_DEP_2) | instskip(SKIP_1) | instid1(VALU_DEP_3)
	v_lshlrev_b32_e32 v6, 20, v6
	v_lshl_add_u32 v18, v18, 23, 0x3c000000
	v_and_b32_e32 v19, 0x80000000, v19
	s_delay_alu instid0(VALU_DEP_1)
	v_or3_b32 v19, v6, v19, v18
	v_mov_b32_e32 v18, v7
.LBB233_551:                            ;   in Loop: Header=BB233_520 Depth=1
	s_or_b32 exec_lo, exec_lo, s10
.LBB233_552:                            ;   in Loop: Header=BB233_520 Depth=1
	s_delay_alu instid0(SALU_CYCLE_1)
	s_or_b32 exec_lo, exec_lo, s13
.LBB233_553:                            ;   in Loop: Header=BB233_520 Depth=1
	s_delay_alu instid0(SALU_CYCLE_1)
	s_or_b32 exec_lo, exec_lo, s0
	v_or_b32_e32 v5, v15, v5
	v_add_nc_u32_e32 v68, v52, v23
	v_or_b32_e32 v4, v14, v4
	v_or_b32_e32 v6, v19, v17
	v_or_b32_e32 v14, v18, v16
	s_waitcnt vmcnt(0) lgkmcnt(1)
	v_mul_f32_e32 v67, v26, v5
	v_cmp_eq_u32_e32 vcc_lo, v53, v112
	v_mul_f32_e32 v66, v26, v4
	v_dual_mul_f32 v64, v26, v6 :: v_dual_add_nc_u32 v71, 1, v68
	v_dual_mul_f32 v65, v26, v14 :: v_dual_add_nc_u32 v70, 2, v68
	v_add_nc_u32_e32 v69, 3, v68
	s_and_saveexec_b32 s10, vcc_lo
; %bb.554:                              ;   in Loop: Header=BB233_520 Depth=1
	v_cmp_lt_i32_e64 s0, v68, v24
	s_delay_alu instid0(VALU_DEP_1) | instskip(SKIP_1) | instid1(VALU_DEP_1)
	v_cndmask_b32_e64 v66, 0, v66, s0
	v_cmp_lt_i32_e64 s0, v71, v24
	v_cndmask_b32_e64 v67, 0, v67, s0
	v_cmp_lt_i32_e64 s0, v70, v24
	s_delay_alu instid0(VALU_DEP_1) | instskip(SKIP_1) | instid1(VALU_DEP_1)
	v_cndmask_b32_e64 v65, 0, v65, s0
	v_cmp_lt_i32_e64 s0, v69, v24
	v_cndmask_b32_e64 v64, 0, v64, s0
; %bb.555:                              ;   in Loop: Header=BB233_520 Depth=1
	s_or_b32 exec_lo, exec_lo, s10
	flat_load_b32 v80, v[12:13] offset:128
	v_mov_b32_e32 v14, 0
	v_mov_b32_e32 v15, 0
	s_mov_b32 s10, exec_lo
	s_waitcnt vmcnt(0) lgkmcnt(0)
	v_and_b32_e32 v6, 0xff, v80
	s_delay_alu instid0(VALU_DEP_2) | instskip(NEXT) | instid1(VALU_DEP_2)
	v_dual_mov_b32 v4, v14 :: v_dual_mov_b32 v5, v15
	v_cmpx_ne_u16_e32 0, v6
	s_cbranch_execz .LBB233_563
; %bb.556:                              ;   in Loop: Header=BB233_520 Depth=1
	v_bfrev_b32_e32 v4, 1
	v_mov_b32_e32 v5, 0
	s_mov_b32 s13, exec_lo
	v_cmpx_ne_u16_e32 0x80, v6
	s_cbranch_execz .LBB233_562
; %bb.557:                              ;   in Loop: Header=BB233_520 Depth=1
	v_mov_b32_e32 v4, 0x7f800001
	v_dual_mov_b32 v5, 0 :: v_dual_and_b32 v16, 0x7f, v80
	s_mov_b32 s15, exec_lo
	s_delay_alu instid0(VALU_DEP_1)
	v_cmpx_ne_u32_e32 0x7f, v16
	s_cbranch_execz .LBB233_561
; %bb.558:                              ;   in Loop: Header=BB233_520 Depth=1
	v_and_b32_e32 v6, 7, v80
	v_lshrrev_b32_e32 v4, 3, v16
	s_mov_b32 s16, exec_lo
	v_cmpx_gt_u32_e32 8, v16
; %bb.559:                              ;   in Loop: Header=BB233_520 Depth=1
	s_delay_alu instid0(VALU_DEP_3) | instskip(NEXT) | instid1(VALU_DEP_1)
	v_clz_i32_u32_e32 v4, v6
	v_min_u32_e32 v4, 32, v4
	s_delay_alu instid0(VALU_DEP_1) | instskip(SKIP_1) | instid1(VALU_DEP_2)
	v_subrev_nc_u32_e32 v5, 28, v4
	v_sub_nc_u32_e32 v4, 29, v4
	v_lshlrev_b64 v[5:6], v5, v[6:7]
	s_delay_alu instid0(VALU_DEP_1)
	v_and_b32_e32 v6, 7, v5
; %bb.560:                              ;   in Loop: Header=BB233_520 Depth=1
	s_or_b32 exec_lo, exec_lo, s16
	v_lshlrev_b32_e32 v5, 24, v80
	s_delay_alu instid0(VALU_DEP_2) | instskip(SKIP_1) | instid1(VALU_DEP_3)
	v_lshlrev_b32_e32 v6, 20, v6
	v_lshl_add_u32 v4, v4, 23, 0x3c000000
	v_and_b32_e32 v5, 0x80000000, v5
	s_delay_alu instid0(VALU_DEP_1) | instskip(NEXT) | instid1(VALU_DEP_1)
	v_or3_b32 v6, v6, v5, v4
	v_dual_mov_b32 v4, v6 :: v_dual_mov_b32 v5, v7
.LBB233_561:                            ;   in Loop: Header=BB233_520 Depth=1
	s_or_b32 exec_lo, exec_lo, s15
.LBB233_562:                            ;   in Loop: Header=BB233_520 Depth=1
	s_delay_alu instid0(SALU_CYCLE_1)
	s_or_b32 exec_lo, exec_lo, s13
.LBB233_563:                            ;   in Loop: Header=BB233_520 Depth=1
	s_delay_alu instid0(SALU_CYCLE_1) | instskip(SKIP_2) | instid1(VALU_DEP_1)
	s_or_b32 exec_lo, exec_lo, s10
	v_lshrrev_b16 v6, 8, v80
	s_mov_b32 s13, exec_lo
	v_cmpx_ne_u16_e32 0, v6
	s_cbranch_execz .LBB233_571
; %bb.564:                              ;   in Loop: Header=BB233_520 Depth=1
	v_dual_mov_b32 v15, s9 :: v_dual_mov_b32 v14, s8
	s_mov_b32 s15, exec_lo
	v_cmpx_ne_u16_e32 0x80, v6
	s_cbranch_execz .LBB233_570
; %bb.565:                              ;   in Loop: Header=BB233_520 Depth=1
	s_mov_b32 s10, s8
	v_dual_mov_b32 v15, s11 :: v_dual_and_b32 v6, 0xffff, v6
	v_mov_b32_e32 v14, s10
	s_mov_b32 s10, exec_lo
	s_delay_alu instid0(VALU_DEP_2) | instskip(NEXT) | instid1(VALU_DEP_1)
	v_and_b32_e32 v16, 0x7f, v6
	v_cmpx_ne_u32_e32 0x7f, v16
	s_cbranch_execz .LBB233_569
; %bb.566:                              ;   in Loop: Header=BB233_520 Depth=1
	v_and_b32_e32 v6, 7, v6
	v_lshrrev_b32_e32 v14, 3, v16
	s_mov_b32 s16, exec_lo
	v_cmpx_gt_u32_e32 8, v16
; %bb.567:                              ;   in Loop: Header=BB233_520 Depth=1
	s_delay_alu instid0(VALU_DEP_3) | instskip(NEXT) | instid1(VALU_DEP_1)
	v_clz_i32_u32_e32 v14, v6
	v_min_u32_e32 v14, 32, v14
	s_delay_alu instid0(VALU_DEP_1) | instskip(SKIP_1) | instid1(VALU_DEP_2)
	v_subrev_nc_u32_e32 v15, 28, v14
	v_sub_nc_u32_e32 v14, 29, v14
	v_lshlrev_b64 v[15:16], v15, v[6:7]
	s_delay_alu instid0(VALU_DEP_1)
	v_and_b32_e32 v6, 7, v15
; %bb.568:                              ;   in Loop: Header=BB233_520 Depth=1
	s_or_b32 exec_lo, exec_lo, s16
	v_lshlrev_b32_e32 v15, 16, v80
	s_delay_alu instid0(VALU_DEP_2) | instskip(SKIP_1) | instid1(VALU_DEP_3)
	v_lshlrev_b32_e32 v6, 20, v6
	v_lshl_add_u32 v14, v14, 23, 0x3c000000
	v_and_b32_e32 v15, 0x80000000, v15
	s_delay_alu instid0(VALU_DEP_1)
	v_or3_b32 v15, v6, v15, v14
	v_mov_b32_e32 v14, v7
.LBB233_569:                            ;   in Loop: Header=BB233_520 Depth=1
	s_or_b32 exec_lo, exec_lo, s10
.LBB233_570:                            ;   in Loop: Header=BB233_520 Depth=1
	s_delay_alu instid0(SALU_CYCLE_1)
	s_or_b32 exec_lo, exec_lo, s15
.LBB233_571:                            ;   in Loop: Header=BB233_520 Depth=1
	s_delay_alu instid0(SALU_CYCLE_1) | instskip(SKIP_4) | instid1(VALU_DEP_2)
	s_or_b32 exec_lo, exec_lo, s13
	v_mov_b32_e32 v18, 0
	v_lshrrev_b32_e32 v81, 16, v80
	v_mov_b32_e32 v19, 0
	s_mov_b32 s10, exec_lo
	v_and_b32_e32 v6, 0xff, v81
	s_delay_alu instid0(VALU_DEP_2) | instskip(NEXT) | instid1(VALU_DEP_2)
	v_dual_mov_b32 v16, v18 :: v_dual_mov_b32 v17, v19
	v_cmpx_ne_u16_e32 0, v6
	s_cbranch_execz .LBB233_579
; %bb.572:                              ;   in Loop: Header=BB233_520 Depth=1
	v_bfrev_b32_e32 v16, 1
	v_mov_b32_e32 v17, 0
	s_mov_b32 s13, exec_lo
	v_cmpx_ne_u16_e32 0x80, v6
	s_cbranch_execz .LBB233_578
; %bb.573:                              ;   in Loop: Header=BB233_520 Depth=1
	v_mov_b32_e32 v16, 0x7f800001
	v_bfe_u32 v82, v80, 16, 7
	v_mov_b32_e32 v17, 0
	s_mov_b32 s15, exec_lo
	s_delay_alu instid0(VALU_DEP_2)
	v_cmpx_ne_u32_e32 0x7f, v82
	s_cbranch_execz .LBB233_577
; %bb.574:                              ;   in Loop: Header=BB233_520 Depth=1
	v_and_b32_e32 v6, 7, v81
	v_lshrrev_b32_e32 v16, 3, v82
	s_mov_b32 s16, exec_lo
	v_cmpx_gt_u32_e32 8, v82
; %bb.575:                              ;   in Loop: Header=BB233_520 Depth=1
	s_delay_alu instid0(VALU_DEP_3) | instskip(NEXT) | instid1(VALU_DEP_1)
	v_clz_i32_u32_e32 v16, v6
	v_min_u32_e32 v16, 32, v16
	s_delay_alu instid0(VALU_DEP_1) | instskip(SKIP_1) | instid1(VALU_DEP_2)
	v_subrev_nc_u32_e32 v17, 28, v16
	v_sub_nc_u32_e32 v16, 29, v16
	v_lshlrev_b64 v[82:83], v17, v[6:7]
	s_delay_alu instid0(VALU_DEP_1)
	v_and_b32_e32 v6, 7, v82
; %bb.576:                              ;   in Loop: Header=BB233_520 Depth=1
	s_or_b32 exec_lo, exec_lo, s16
	v_lshlrev_b32_e32 v17, 24, v81
	s_delay_alu instid0(VALU_DEP_2) | instskip(SKIP_1) | instid1(VALU_DEP_3)
	v_lshlrev_b32_e32 v6, 20, v6
	v_lshl_add_u32 v16, v16, 23, 0x3c000000
	v_and_b32_e32 v17, 0x80000000, v17
	s_delay_alu instid0(VALU_DEP_1) | instskip(NEXT) | instid1(VALU_DEP_1)
	v_or3_b32 v6, v6, v17, v16
	v_dual_mov_b32 v17, v7 :: v_dual_mov_b32 v16, v6
.LBB233_577:                            ;   in Loop: Header=BB233_520 Depth=1
	s_or_b32 exec_lo, exec_lo, s15
.LBB233_578:                            ;   in Loop: Header=BB233_520 Depth=1
	s_delay_alu instid0(SALU_CYCLE_1)
	s_or_b32 exec_lo, exec_lo, s13
.LBB233_579:                            ;   in Loop: Header=BB233_520 Depth=1
	s_delay_alu instid0(SALU_CYCLE_1) | instskip(NEXT) | instid1(SALU_CYCLE_1)
	s_or_b32 exec_lo, exec_lo, s10
	s_mov_b32 s13, exec_lo
	v_cmpx_lt_u32_e32 0xffffff, v80
	s_cbranch_execz .LBB233_587
; %bb.580:                              ;   in Loop: Header=BB233_520 Depth=1
	v_lshrrev_b32_e32 v81, 24, v80
	v_dual_mov_b32 v19, s9 :: v_dual_mov_b32 v18, s8
	s_mov_b32 s15, exec_lo
	s_delay_alu instid0(VALU_DEP_2)
	v_cmpx_ne_u32_e32 0x80, v81
	s_cbranch_execz .LBB233_586
; %bb.581:                              ;   in Loop: Header=BB233_520 Depth=1
	s_mov_b32 s10, s8
	v_bfe_u32 v80, v80, 24, 7
	v_dual_mov_b32 v19, s11 :: v_dual_mov_b32 v18, s10
	s_mov_b32 s10, exec_lo
	s_delay_alu instid0(VALU_DEP_2)
	v_cmpx_ne_u32_e32 0x7f, v80
	s_cbranch_execz .LBB233_585
; %bb.582:                              ;   in Loop: Header=BB233_520 Depth=1
	v_and_b32_e32 v6, 7, v81
	v_lshrrev_b32_e32 v18, 3, v80
	s_mov_b32 s16, exec_lo
	v_cmpx_gt_u32_e32 8, v80
; %bb.583:                              ;   in Loop: Header=BB233_520 Depth=1
	s_delay_alu instid0(VALU_DEP_3) | instskip(NEXT) | instid1(VALU_DEP_1)
	v_clz_i32_u32_e32 v18, v6
	v_min_u32_e32 v18, 32, v18
	s_delay_alu instid0(VALU_DEP_1) | instskip(SKIP_1) | instid1(VALU_DEP_2)
	v_subrev_nc_u32_e32 v19, 28, v18
	v_sub_nc_u32_e32 v18, 29, v18
	v_lshlrev_b64 v[82:83], v19, v[6:7]
	s_delay_alu instid0(VALU_DEP_1)
	v_and_b32_e32 v6, 7, v82
; %bb.584:                              ;   in Loop: Header=BB233_520 Depth=1
	s_or_b32 exec_lo, exec_lo, s16
	v_lshlrev_b32_e32 v19, 24, v81
	s_delay_alu instid0(VALU_DEP_2) | instskip(SKIP_1) | instid1(VALU_DEP_3)
	v_lshlrev_b32_e32 v6, 20, v6
	v_lshl_add_u32 v18, v18, 23, 0x3c000000
	v_and_b32_e32 v19, 0x80000000, v19
	s_delay_alu instid0(VALU_DEP_1)
	v_or3_b32 v19, v6, v19, v18
	v_mov_b32_e32 v18, v7
.LBB233_585:                            ;   in Loop: Header=BB233_520 Depth=1
	s_or_b32 exec_lo, exec_lo, s10
.LBB233_586:                            ;   in Loop: Header=BB233_520 Depth=1
	s_delay_alu instid0(SALU_CYCLE_1)
	s_or_b32 exec_lo, exec_lo, s15
.LBB233_587:                            ;   in Loop: Header=BB233_520 Depth=1
	s_delay_alu instid0(SALU_CYCLE_1) | instskip(SKIP_4) | instid1(VALU_DEP_4)
	s_or_b32 exec_lo, exec_lo, s13
	v_or_b32_e32 v5, v15, v5
	v_or_b32_e32 v4, v14, v4
	v_or_b32_e32 v6, v19, v17
	v_or_b32_e32 v14, v18, v16
	v_mul_f32_e32 v83, v26, v5
	s_delay_alu instid0(VALU_DEP_4) | instskip(NEXT) | instid1(VALU_DEP_4)
	v_mul_f32_e32 v82, v26, v4
	v_mul_f32_e32 v80, v26, v6
	s_delay_alu instid0(VALU_DEP_4)
	v_mul_f32_e32 v81, v26, v14
	s_and_saveexec_b32 s10, vcc_lo
; %bb.588:                              ;   in Loop: Header=BB233_520 Depth=1
	v_cmp_lt_i32_e64 s0, v68, v24
	s_delay_alu instid0(VALU_DEP_1) | instskip(SKIP_1) | instid1(VALU_DEP_1)
	v_cndmask_b32_e64 v82, 0, v82, s0
	v_cmp_lt_i32_e64 s0, v71, v24
	v_cndmask_b32_e64 v83, 0, v83, s0
	v_cmp_lt_i32_e64 s0, v70, v24
	s_delay_alu instid0(VALU_DEP_1) | instskip(SKIP_1) | instid1(VALU_DEP_1)
	v_cndmask_b32_e64 v81, 0, v81, s0
	v_cmp_lt_i32_e64 s0, v69, v24
	v_cndmask_b32_e64 v80, 0, v80, s0
; %bb.589:                              ;   in Loop: Header=BB233_520 Depth=1
	s_or_b32 exec_lo, exec_lo, s10
	flat_load_b32 v84, v[12:13] offset:256
	v_mov_b32_e32 v14, 0
	v_mov_b32_e32 v15, 0
	s_mov_b32 s10, exec_lo
	s_waitcnt vmcnt(0) lgkmcnt(0)
	v_and_b32_e32 v6, 0xff, v84
	s_delay_alu instid0(VALU_DEP_2) | instskip(NEXT) | instid1(VALU_DEP_2)
	v_dual_mov_b32 v4, v14 :: v_dual_mov_b32 v5, v15
	v_cmpx_ne_u16_e32 0, v6
	s_cbranch_execz .LBB233_597
; %bb.590:                              ;   in Loop: Header=BB233_520 Depth=1
	v_bfrev_b32_e32 v4, 1
	v_mov_b32_e32 v5, 0
	s_mov_b32 s13, exec_lo
	v_cmpx_ne_u16_e32 0x80, v6
	s_cbranch_execz .LBB233_596
; %bb.591:                              ;   in Loop: Header=BB233_520 Depth=1
	v_mov_b32_e32 v4, 0x7f800001
	v_dual_mov_b32 v5, 0 :: v_dual_and_b32 v16, 0x7f, v84
	s_mov_b32 s15, exec_lo
	s_delay_alu instid0(VALU_DEP_1)
	v_cmpx_ne_u32_e32 0x7f, v16
	s_cbranch_execz .LBB233_595
; %bb.592:                              ;   in Loop: Header=BB233_520 Depth=1
	v_and_b32_e32 v6, 7, v84
	v_lshrrev_b32_e32 v4, 3, v16
	s_mov_b32 s16, exec_lo
	v_cmpx_gt_u32_e32 8, v16
; %bb.593:                              ;   in Loop: Header=BB233_520 Depth=1
	s_delay_alu instid0(VALU_DEP_3) | instskip(NEXT) | instid1(VALU_DEP_1)
	v_clz_i32_u32_e32 v4, v6
	v_min_u32_e32 v4, 32, v4
	s_delay_alu instid0(VALU_DEP_1) | instskip(SKIP_1) | instid1(VALU_DEP_2)
	v_subrev_nc_u32_e32 v5, 28, v4
	v_sub_nc_u32_e32 v4, 29, v4
	v_lshlrev_b64 v[5:6], v5, v[6:7]
	s_delay_alu instid0(VALU_DEP_1)
	v_and_b32_e32 v6, 7, v5
; %bb.594:                              ;   in Loop: Header=BB233_520 Depth=1
	s_or_b32 exec_lo, exec_lo, s16
	v_lshlrev_b32_e32 v5, 24, v84
	s_delay_alu instid0(VALU_DEP_2) | instskip(SKIP_1) | instid1(VALU_DEP_3)
	v_lshlrev_b32_e32 v6, 20, v6
	v_lshl_add_u32 v4, v4, 23, 0x3c000000
	v_and_b32_e32 v5, 0x80000000, v5
	s_delay_alu instid0(VALU_DEP_1) | instskip(NEXT) | instid1(VALU_DEP_1)
	v_or3_b32 v6, v6, v5, v4
	v_dual_mov_b32 v4, v6 :: v_dual_mov_b32 v5, v7
.LBB233_595:                            ;   in Loop: Header=BB233_520 Depth=1
	s_or_b32 exec_lo, exec_lo, s15
.LBB233_596:                            ;   in Loop: Header=BB233_520 Depth=1
	s_delay_alu instid0(SALU_CYCLE_1)
	s_or_b32 exec_lo, exec_lo, s13
.LBB233_597:                            ;   in Loop: Header=BB233_520 Depth=1
	s_delay_alu instid0(SALU_CYCLE_1) | instskip(SKIP_2) | instid1(VALU_DEP_1)
	s_or_b32 exec_lo, exec_lo, s10
	v_lshrrev_b16 v6, 8, v84
	s_mov_b32 s13, exec_lo
	v_cmpx_ne_u16_e32 0, v6
	s_cbranch_execz .LBB233_605
; %bb.598:                              ;   in Loop: Header=BB233_520 Depth=1
	v_dual_mov_b32 v15, s9 :: v_dual_mov_b32 v14, s8
	s_mov_b32 s15, exec_lo
	v_cmpx_ne_u16_e32 0x80, v6
	s_cbranch_execz .LBB233_604
; %bb.599:                              ;   in Loop: Header=BB233_520 Depth=1
	s_mov_b32 s10, s8
	v_dual_mov_b32 v15, s11 :: v_dual_and_b32 v6, 0xffff, v6
	v_mov_b32_e32 v14, s10
	s_mov_b32 s10, exec_lo
	s_delay_alu instid0(VALU_DEP_2) | instskip(NEXT) | instid1(VALU_DEP_1)
	v_and_b32_e32 v16, 0x7f, v6
	v_cmpx_ne_u32_e32 0x7f, v16
	s_cbranch_execz .LBB233_603
; %bb.600:                              ;   in Loop: Header=BB233_520 Depth=1
	v_and_b32_e32 v6, 7, v6
	v_lshrrev_b32_e32 v14, 3, v16
	s_mov_b32 s16, exec_lo
	v_cmpx_gt_u32_e32 8, v16
; %bb.601:                              ;   in Loop: Header=BB233_520 Depth=1
	s_delay_alu instid0(VALU_DEP_3) | instskip(NEXT) | instid1(VALU_DEP_1)
	v_clz_i32_u32_e32 v14, v6
	v_min_u32_e32 v14, 32, v14
	s_delay_alu instid0(VALU_DEP_1) | instskip(SKIP_1) | instid1(VALU_DEP_2)
	v_subrev_nc_u32_e32 v15, 28, v14
	v_sub_nc_u32_e32 v14, 29, v14
	v_lshlrev_b64 v[15:16], v15, v[6:7]
	s_delay_alu instid0(VALU_DEP_1)
	v_and_b32_e32 v6, 7, v15
; %bb.602:                              ;   in Loop: Header=BB233_520 Depth=1
	s_or_b32 exec_lo, exec_lo, s16
	v_lshlrev_b32_e32 v15, 16, v84
	s_delay_alu instid0(VALU_DEP_2) | instskip(SKIP_1) | instid1(VALU_DEP_3)
	v_lshlrev_b32_e32 v6, 20, v6
	v_lshl_add_u32 v14, v14, 23, 0x3c000000
	v_and_b32_e32 v15, 0x80000000, v15
	s_delay_alu instid0(VALU_DEP_1)
	v_or3_b32 v15, v6, v15, v14
	v_mov_b32_e32 v14, v7
.LBB233_603:                            ;   in Loop: Header=BB233_520 Depth=1
	s_or_b32 exec_lo, exec_lo, s10
.LBB233_604:                            ;   in Loop: Header=BB233_520 Depth=1
	s_delay_alu instid0(SALU_CYCLE_1)
	s_or_b32 exec_lo, exec_lo, s15
.LBB233_605:                            ;   in Loop: Header=BB233_520 Depth=1
	s_delay_alu instid0(SALU_CYCLE_1) | instskip(SKIP_4) | instid1(VALU_DEP_2)
	s_or_b32 exec_lo, exec_lo, s13
	v_mov_b32_e32 v18, 0
	v_lshrrev_b32_e32 v85, 16, v84
	v_mov_b32_e32 v19, 0
	s_mov_b32 s10, exec_lo
	v_and_b32_e32 v6, 0xff, v85
	s_delay_alu instid0(VALU_DEP_2) | instskip(NEXT) | instid1(VALU_DEP_2)
	v_dual_mov_b32 v16, v18 :: v_dual_mov_b32 v17, v19
	v_cmpx_ne_u16_e32 0, v6
	s_cbranch_execz .LBB233_613
; %bb.606:                              ;   in Loop: Header=BB233_520 Depth=1
	v_bfrev_b32_e32 v16, 1
	v_mov_b32_e32 v17, 0
	s_mov_b32 s13, exec_lo
	v_cmpx_ne_u16_e32 0x80, v6
	s_cbranch_execz .LBB233_612
; %bb.607:                              ;   in Loop: Header=BB233_520 Depth=1
	v_mov_b32_e32 v16, 0x7f800001
	v_bfe_u32 v86, v84, 16, 7
	v_mov_b32_e32 v17, 0
	s_mov_b32 s15, exec_lo
	s_delay_alu instid0(VALU_DEP_2)
	v_cmpx_ne_u32_e32 0x7f, v86
	s_cbranch_execz .LBB233_611
; %bb.608:                              ;   in Loop: Header=BB233_520 Depth=1
	v_and_b32_e32 v6, 7, v85
	v_lshrrev_b32_e32 v16, 3, v86
	s_mov_b32 s16, exec_lo
	v_cmpx_gt_u32_e32 8, v86
; %bb.609:                              ;   in Loop: Header=BB233_520 Depth=1
	s_delay_alu instid0(VALU_DEP_3) | instskip(NEXT) | instid1(VALU_DEP_1)
	v_clz_i32_u32_e32 v16, v6
	v_min_u32_e32 v16, 32, v16
	s_delay_alu instid0(VALU_DEP_1) | instskip(SKIP_1) | instid1(VALU_DEP_2)
	v_subrev_nc_u32_e32 v17, 28, v16
	v_sub_nc_u32_e32 v16, 29, v16
	v_lshlrev_b64 v[86:87], v17, v[6:7]
	s_delay_alu instid0(VALU_DEP_1)
	v_and_b32_e32 v6, 7, v86
; %bb.610:                              ;   in Loop: Header=BB233_520 Depth=1
	s_or_b32 exec_lo, exec_lo, s16
	v_lshlrev_b32_e32 v17, 24, v85
	s_delay_alu instid0(VALU_DEP_2) | instskip(SKIP_1) | instid1(VALU_DEP_3)
	v_lshlrev_b32_e32 v6, 20, v6
	v_lshl_add_u32 v16, v16, 23, 0x3c000000
	v_and_b32_e32 v17, 0x80000000, v17
	s_delay_alu instid0(VALU_DEP_1) | instskip(NEXT) | instid1(VALU_DEP_1)
	v_or3_b32 v6, v6, v17, v16
	v_dual_mov_b32 v17, v7 :: v_dual_mov_b32 v16, v6
.LBB233_611:                            ;   in Loop: Header=BB233_520 Depth=1
	s_or_b32 exec_lo, exec_lo, s15
.LBB233_612:                            ;   in Loop: Header=BB233_520 Depth=1
	s_delay_alu instid0(SALU_CYCLE_1)
	s_or_b32 exec_lo, exec_lo, s13
.LBB233_613:                            ;   in Loop: Header=BB233_520 Depth=1
	s_delay_alu instid0(SALU_CYCLE_1) | instskip(NEXT) | instid1(SALU_CYCLE_1)
	s_or_b32 exec_lo, exec_lo, s10
	s_mov_b32 s13, exec_lo
	v_cmpx_lt_u32_e32 0xffffff, v84
	s_cbranch_execz .LBB233_621
; %bb.614:                              ;   in Loop: Header=BB233_520 Depth=1
	v_lshrrev_b32_e32 v85, 24, v84
	v_dual_mov_b32 v19, s9 :: v_dual_mov_b32 v18, s8
	s_mov_b32 s15, exec_lo
	s_delay_alu instid0(VALU_DEP_2)
	v_cmpx_ne_u32_e32 0x80, v85
	s_cbranch_execz .LBB233_620
; %bb.615:                              ;   in Loop: Header=BB233_520 Depth=1
	s_mov_b32 s10, s8
	v_bfe_u32 v84, v84, 24, 7
	v_dual_mov_b32 v19, s11 :: v_dual_mov_b32 v18, s10
	s_mov_b32 s10, exec_lo
	s_delay_alu instid0(VALU_DEP_2)
	v_cmpx_ne_u32_e32 0x7f, v84
	s_cbranch_execz .LBB233_619
; %bb.616:                              ;   in Loop: Header=BB233_520 Depth=1
	v_and_b32_e32 v6, 7, v85
	v_lshrrev_b32_e32 v18, 3, v84
	s_mov_b32 s16, exec_lo
	v_cmpx_gt_u32_e32 8, v84
; %bb.617:                              ;   in Loop: Header=BB233_520 Depth=1
	s_delay_alu instid0(VALU_DEP_3) | instskip(NEXT) | instid1(VALU_DEP_1)
	v_clz_i32_u32_e32 v18, v6
	v_min_u32_e32 v18, 32, v18
	s_delay_alu instid0(VALU_DEP_1) | instskip(SKIP_1) | instid1(VALU_DEP_2)
	v_subrev_nc_u32_e32 v19, 28, v18
	v_sub_nc_u32_e32 v18, 29, v18
	v_lshlrev_b64 v[86:87], v19, v[6:7]
	s_delay_alu instid0(VALU_DEP_1)
	v_and_b32_e32 v6, 7, v86
; %bb.618:                              ;   in Loop: Header=BB233_520 Depth=1
	s_or_b32 exec_lo, exec_lo, s16
	v_lshlrev_b32_e32 v19, 24, v85
	s_delay_alu instid0(VALU_DEP_2) | instskip(SKIP_1) | instid1(VALU_DEP_3)
	v_lshlrev_b32_e32 v6, 20, v6
	v_lshl_add_u32 v18, v18, 23, 0x3c000000
	v_and_b32_e32 v19, 0x80000000, v19
	s_delay_alu instid0(VALU_DEP_1)
	v_or3_b32 v19, v6, v19, v18
	v_mov_b32_e32 v18, v7
.LBB233_619:                            ;   in Loop: Header=BB233_520 Depth=1
	s_or_b32 exec_lo, exec_lo, s10
.LBB233_620:                            ;   in Loop: Header=BB233_520 Depth=1
	s_delay_alu instid0(SALU_CYCLE_1)
	s_or_b32 exec_lo, exec_lo, s15
.LBB233_621:                            ;   in Loop: Header=BB233_520 Depth=1
	s_delay_alu instid0(SALU_CYCLE_1) | instskip(SKIP_4) | instid1(VALU_DEP_4)
	s_or_b32 exec_lo, exec_lo, s13
	v_or_b32_e32 v5, v15, v5
	v_or_b32_e32 v4, v14, v4
	;; [unrolled: 1-line block ×4, first 2 shown]
	v_mul_f32_e32 v87, v26, v5
	s_delay_alu instid0(VALU_DEP_4) | instskip(NEXT) | instid1(VALU_DEP_4)
	v_mul_f32_e32 v86, v26, v4
	v_mul_f32_e32 v84, v26, v6
	s_delay_alu instid0(VALU_DEP_4)
	v_mul_f32_e32 v85, v26, v14
	s_and_saveexec_b32 s10, vcc_lo
; %bb.622:                              ;   in Loop: Header=BB233_520 Depth=1
	v_cmp_lt_i32_e64 s0, v68, v24
	s_delay_alu instid0(VALU_DEP_1) | instskip(SKIP_1) | instid1(VALU_DEP_1)
	v_cndmask_b32_e64 v86, 0, v86, s0
	v_cmp_lt_i32_e64 s0, v71, v24
	v_cndmask_b32_e64 v87, 0, v87, s0
	v_cmp_lt_i32_e64 s0, v70, v24
	s_delay_alu instid0(VALU_DEP_1) | instskip(SKIP_1) | instid1(VALU_DEP_1)
	v_cndmask_b32_e64 v85, 0, v85, s0
	v_cmp_lt_i32_e64 s0, v69, v24
	v_cndmask_b32_e64 v84, 0, v84, s0
; %bb.623:                              ;   in Loop: Header=BB233_520 Depth=1
	s_or_b32 exec_lo, exec_lo, s10
	flat_load_b32 v96, v[12:13] offset:384
	v_mov_b32_e32 v14, 0
	v_mov_b32_e32 v15, 0
	s_mov_b32 s10, exec_lo
	s_waitcnt vmcnt(0) lgkmcnt(0)
	v_and_b32_e32 v6, 0xff, v96
	s_delay_alu instid0(VALU_DEP_2) | instskip(NEXT) | instid1(VALU_DEP_2)
	v_dual_mov_b32 v4, v14 :: v_dual_mov_b32 v5, v15
	v_cmpx_ne_u16_e32 0, v6
	s_cbranch_execz .LBB233_631
; %bb.624:                              ;   in Loop: Header=BB233_520 Depth=1
	v_bfrev_b32_e32 v4, 1
	v_mov_b32_e32 v5, 0
	s_mov_b32 s13, exec_lo
	v_cmpx_ne_u16_e32 0x80, v6
	s_cbranch_execz .LBB233_630
; %bb.625:                              ;   in Loop: Header=BB233_520 Depth=1
	v_mov_b32_e32 v4, 0x7f800001
	v_dual_mov_b32 v5, 0 :: v_dual_and_b32 v16, 0x7f, v96
	s_mov_b32 s15, exec_lo
	s_delay_alu instid0(VALU_DEP_1)
	v_cmpx_ne_u32_e32 0x7f, v16
	s_cbranch_execz .LBB233_629
; %bb.626:                              ;   in Loop: Header=BB233_520 Depth=1
	v_and_b32_e32 v6, 7, v96
	v_lshrrev_b32_e32 v4, 3, v16
	s_mov_b32 s16, exec_lo
	v_cmpx_gt_u32_e32 8, v16
; %bb.627:                              ;   in Loop: Header=BB233_520 Depth=1
	s_delay_alu instid0(VALU_DEP_3) | instskip(NEXT) | instid1(VALU_DEP_1)
	v_clz_i32_u32_e32 v4, v6
	v_min_u32_e32 v4, 32, v4
	s_delay_alu instid0(VALU_DEP_1) | instskip(SKIP_1) | instid1(VALU_DEP_2)
	v_subrev_nc_u32_e32 v5, 28, v4
	v_sub_nc_u32_e32 v4, 29, v4
	v_lshlrev_b64 v[5:6], v5, v[6:7]
	s_delay_alu instid0(VALU_DEP_1)
	v_and_b32_e32 v6, 7, v5
; %bb.628:                              ;   in Loop: Header=BB233_520 Depth=1
	s_or_b32 exec_lo, exec_lo, s16
	v_lshlrev_b32_e32 v5, 24, v96
	s_delay_alu instid0(VALU_DEP_2) | instskip(SKIP_1) | instid1(VALU_DEP_3)
	v_lshlrev_b32_e32 v6, 20, v6
	v_lshl_add_u32 v4, v4, 23, 0x3c000000
	v_and_b32_e32 v5, 0x80000000, v5
	s_delay_alu instid0(VALU_DEP_1) | instskip(NEXT) | instid1(VALU_DEP_1)
	v_or3_b32 v6, v6, v5, v4
	v_dual_mov_b32 v4, v6 :: v_dual_mov_b32 v5, v7
.LBB233_629:                            ;   in Loop: Header=BB233_520 Depth=1
	s_or_b32 exec_lo, exec_lo, s15
.LBB233_630:                            ;   in Loop: Header=BB233_520 Depth=1
	s_delay_alu instid0(SALU_CYCLE_1)
	s_or_b32 exec_lo, exec_lo, s13
.LBB233_631:                            ;   in Loop: Header=BB233_520 Depth=1
	s_delay_alu instid0(SALU_CYCLE_1) | instskip(SKIP_2) | instid1(VALU_DEP_1)
	s_or_b32 exec_lo, exec_lo, s10
	v_lshrrev_b16 v6, 8, v96
	s_mov_b32 s13, exec_lo
	v_cmpx_ne_u16_e32 0, v6
	s_cbranch_execz .LBB233_639
; %bb.632:                              ;   in Loop: Header=BB233_520 Depth=1
	v_dual_mov_b32 v15, s9 :: v_dual_mov_b32 v14, s8
	s_mov_b32 s15, exec_lo
	v_cmpx_ne_u16_e32 0x80, v6
	s_cbranch_execz .LBB233_638
; %bb.633:                              ;   in Loop: Header=BB233_520 Depth=1
	s_mov_b32 s10, s8
	v_dual_mov_b32 v15, s11 :: v_dual_and_b32 v6, 0xffff, v6
	v_mov_b32_e32 v14, s10
	s_mov_b32 s10, exec_lo
	s_delay_alu instid0(VALU_DEP_2) | instskip(NEXT) | instid1(VALU_DEP_1)
	v_and_b32_e32 v16, 0x7f, v6
	v_cmpx_ne_u32_e32 0x7f, v16
	s_cbranch_execz .LBB233_637
; %bb.634:                              ;   in Loop: Header=BB233_520 Depth=1
	v_and_b32_e32 v6, 7, v6
	v_lshrrev_b32_e32 v14, 3, v16
	s_mov_b32 s16, exec_lo
	v_cmpx_gt_u32_e32 8, v16
; %bb.635:                              ;   in Loop: Header=BB233_520 Depth=1
	s_delay_alu instid0(VALU_DEP_3) | instskip(NEXT) | instid1(VALU_DEP_1)
	v_clz_i32_u32_e32 v14, v6
	v_min_u32_e32 v14, 32, v14
	s_delay_alu instid0(VALU_DEP_1) | instskip(SKIP_1) | instid1(VALU_DEP_2)
	v_subrev_nc_u32_e32 v15, 28, v14
	v_sub_nc_u32_e32 v14, 29, v14
	v_lshlrev_b64 v[15:16], v15, v[6:7]
	s_delay_alu instid0(VALU_DEP_1)
	v_and_b32_e32 v6, 7, v15
; %bb.636:                              ;   in Loop: Header=BB233_520 Depth=1
	s_or_b32 exec_lo, exec_lo, s16
	v_lshlrev_b32_e32 v15, 16, v96
	s_delay_alu instid0(VALU_DEP_2) | instskip(SKIP_1) | instid1(VALU_DEP_3)
	v_lshlrev_b32_e32 v6, 20, v6
	v_lshl_add_u32 v14, v14, 23, 0x3c000000
	v_and_b32_e32 v15, 0x80000000, v15
	s_delay_alu instid0(VALU_DEP_1)
	v_or3_b32 v15, v6, v15, v14
	v_mov_b32_e32 v14, v7
.LBB233_637:                            ;   in Loop: Header=BB233_520 Depth=1
	s_or_b32 exec_lo, exec_lo, s10
.LBB233_638:                            ;   in Loop: Header=BB233_520 Depth=1
	s_delay_alu instid0(SALU_CYCLE_1)
	s_or_b32 exec_lo, exec_lo, s15
.LBB233_639:                            ;   in Loop: Header=BB233_520 Depth=1
	s_delay_alu instid0(SALU_CYCLE_1) | instskip(SKIP_4) | instid1(VALU_DEP_2)
	s_or_b32 exec_lo, exec_lo, s13
	v_mov_b32_e32 v18, 0
	v_lshrrev_b32_e32 v97, 16, v96
	v_mov_b32_e32 v19, 0
	s_mov_b32 s10, exec_lo
	v_and_b32_e32 v6, 0xff, v97
	s_delay_alu instid0(VALU_DEP_2) | instskip(NEXT) | instid1(VALU_DEP_2)
	v_dual_mov_b32 v16, v18 :: v_dual_mov_b32 v17, v19
	v_cmpx_ne_u16_e32 0, v6
	s_cbranch_execz .LBB233_647
; %bb.640:                              ;   in Loop: Header=BB233_520 Depth=1
	v_bfrev_b32_e32 v16, 1
	v_mov_b32_e32 v17, 0
	s_mov_b32 s13, exec_lo
	v_cmpx_ne_u16_e32 0x80, v6
	s_cbranch_execz .LBB233_646
; %bb.641:                              ;   in Loop: Header=BB233_520 Depth=1
	v_mov_b32_e32 v16, 0x7f800001
	v_bfe_u32 v98, v96, 16, 7
	v_mov_b32_e32 v17, 0
	s_mov_b32 s15, exec_lo
	s_delay_alu instid0(VALU_DEP_2)
	v_cmpx_ne_u32_e32 0x7f, v98
	s_cbranch_execz .LBB233_645
; %bb.642:                              ;   in Loop: Header=BB233_520 Depth=1
	v_and_b32_e32 v6, 7, v97
	v_lshrrev_b32_e32 v16, 3, v98
	s_mov_b32 s16, exec_lo
	v_cmpx_gt_u32_e32 8, v98
; %bb.643:                              ;   in Loop: Header=BB233_520 Depth=1
	s_delay_alu instid0(VALU_DEP_3) | instskip(NEXT) | instid1(VALU_DEP_1)
	v_clz_i32_u32_e32 v16, v6
	v_min_u32_e32 v16, 32, v16
	s_delay_alu instid0(VALU_DEP_1) | instskip(SKIP_1) | instid1(VALU_DEP_2)
	v_subrev_nc_u32_e32 v17, 28, v16
	v_sub_nc_u32_e32 v16, 29, v16
	v_lshlrev_b64 v[98:99], v17, v[6:7]
	s_delay_alu instid0(VALU_DEP_1)
	v_and_b32_e32 v6, 7, v98
; %bb.644:                              ;   in Loop: Header=BB233_520 Depth=1
	s_or_b32 exec_lo, exec_lo, s16
	v_lshlrev_b32_e32 v17, 24, v97
	s_delay_alu instid0(VALU_DEP_2) | instskip(SKIP_1) | instid1(VALU_DEP_3)
	v_lshlrev_b32_e32 v6, 20, v6
	v_lshl_add_u32 v16, v16, 23, 0x3c000000
	v_and_b32_e32 v17, 0x80000000, v17
	s_delay_alu instid0(VALU_DEP_1) | instskip(NEXT) | instid1(VALU_DEP_1)
	v_or3_b32 v6, v6, v17, v16
	v_dual_mov_b32 v17, v7 :: v_dual_mov_b32 v16, v6
.LBB233_645:                            ;   in Loop: Header=BB233_520 Depth=1
	s_or_b32 exec_lo, exec_lo, s15
.LBB233_646:                            ;   in Loop: Header=BB233_520 Depth=1
	s_delay_alu instid0(SALU_CYCLE_1)
	s_or_b32 exec_lo, exec_lo, s13
.LBB233_647:                            ;   in Loop: Header=BB233_520 Depth=1
	s_delay_alu instid0(SALU_CYCLE_1) | instskip(NEXT) | instid1(SALU_CYCLE_1)
	s_or_b32 exec_lo, exec_lo, s10
	s_mov_b32 s13, exec_lo
	v_cmpx_lt_u32_e32 0xffffff, v96
	s_cbranch_execz .LBB233_655
; %bb.648:                              ;   in Loop: Header=BB233_520 Depth=1
	v_lshrrev_b32_e32 v97, 24, v96
	v_dual_mov_b32 v19, s9 :: v_dual_mov_b32 v18, s8
	s_mov_b32 s15, exec_lo
	s_delay_alu instid0(VALU_DEP_2)
	v_cmpx_ne_u32_e32 0x80, v97
	s_cbranch_execz .LBB233_654
; %bb.649:                              ;   in Loop: Header=BB233_520 Depth=1
	s_mov_b32 s10, s8
	v_bfe_u32 v96, v96, 24, 7
	v_dual_mov_b32 v19, s11 :: v_dual_mov_b32 v18, s10
	s_mov_b32 s10, exec_lo
	s_delay_alu instid0(VALU_DEP_2)
	v_cmpx_ne_u32_e32 0x7f, v96
	s_cbranch_execz .LBB233_653
; %bb.650:                              ;   in Loop: Header=BB233_520 Depth=1
	v_and_b32_e32 v6, 7, v97
	v_lshrrev_b32_e32 v18, 3, v96
	s_mov_b32 s16, exec_lo
	v_cmpx_gt_u32_e32 8, v96
; %bb.651:                              ;   in Loop: Header=BB233_520 Depth=1
	s_delay_alu instid0(VALU_DEP_3) | instskip(NEXT) | instid1(VALU_DEP_1)
	v_clz_i32_u32_e32 v18, v6
	v_min_u32_e32 v18, 32, v18
	s_delay_alu instid0(VALU_DEP_1) | instskip(SKIP_1) | instid1(VALU_DEP_2)
	v_subrev_nc_u32_e32 v19, 28, v18
	v_sub_nc_u32_e32 v18, 29, v18
	v_lshlrev_b64 v[98:99], v19, v[6:7]
	s_delay_alu instid0(VALU_DEP_1)
	v_and_b32_e32 v6, 7, v98
; %bb.652:                              ;   in Loop: Header=BB233_520 Depth=1
	s_or_b32 exec_lo, exec_lo, s16
	v_lshlrev_b32_e32 v19, 24, v97
	s_delay_alu instid0(VALU_DEP_2) | instskip(SKIP_1) | instid1(VALU_DEP_3)
	v_lshlrev_b32_e32 v6, 20, v6
	v_lshl_add_u32 v18, v18, 23, 0x3c000000
	v_and_b32_e32 v19, 0x80000000, v19
	s_delay_alu instid0(VALU_DEP_1)
	v_or3_b32 v19, v6, v19, v18
	v_mov_b32_e32 v18, v7
.LBB233_653:                            ;   in Loop: Header=BB233_520 Depth=1
	s_or_b32 exec_lo, exec_lo, s10
.LBB233_654:                            ;   in Loop: Header=BB233_520 Depth=1
	s_delay_alu instid0(SALU_CYCLE_1)
	s_or_b32 exec_lo, exec_lo, s15
.LBB233_655:                            ;   in Loop: Header=BB233_520 Depth=1
	s_delay_alu instid0(SALU_CYCLE_1) | instskip(SKIP_4) | instid1(VALU_DEP_4)
	s_or_b32 exec_lo, exec_lo, s13
	v_or_b32_e32 v5, v15, v5
	v_or_b32_e32 v4, v14, v4
	;; [unrolled: 1-line block ×4, first 2 shown]
	v_mul_f32_e32 v99, v26, v5
	s_delay_alu instid0(VALU_DEP_4) | instskip(NEXT) | instid1(VALU_DEP_4)
	v_mul_f32_e32 v98, v26, v4
	v_mul_f32_e32 v96, v26, v6
	s_delay_alu instid0(VALU_DEP_4)
	v_mul_f32_e32 v97, v26, v14
	s_and_saveexec_b32 s10, vcc_lo
; %bb.656:                              ;   in Loop: Header=BB233_520 Depth=1
	v_cmp_lt_i32_e64 s0, v68, v24
	s_delay_alu instid0(VALU_DEP_1) | instskip(SKIP_1) | instid1(VALU_DEP_1)
	v_cndmask_b32_e64 v98, 0, v98, s0
	v_cmp_lt_i32_e64 s0, v71, v24
	v_cndmask_b32_e64 v99, 0, v99, s0
	v_cmp_lt_i32_e64 s0, v70, v24
	s_delay_alu instid0(VALU_DEP_1) | instskip(SKIP_1) | instid1(VALU_DEP_1)
	v_cndmask_b32_e64 v97, 0, v97, s0
	v_cmp_lt_i32_e64 s0, v69, v24
	v_cndmask_b32_e64 v96, 0, v96, s0
; %bb.657:                              ;   in Loop: Header=BB233_520 Depth=1
	s_or_b32 exec_lo, exec_lo, s10
	flat_load_b32 v100, v[12:13] offset:512
	v_mov_b32_e32 v14, 0
	v_mov_b32_e32 v15, 0
	s_mov_b32 s10, exec_lo
	s_waitcnt vmcnt(0) lgkmcnt(0)
	v_and_b32_e32 v6, 0xff, v100
	s_delay_alu instid0(VALU_DEP_2) | instskip(NEXT) | instid1(VALU_DEP_2)
	v_dual_mov_b32 v4, v14 :: v_dual_mov_b32 v5, v15
	v_cmpx_ne_u16_e32 0, v6
	s_cbranch_execz .LBB233_665
; %bb.658:                              ;   in Loop: Header=BB233_520 Depth=1
	v_bfrev_b32_e32 v4, 1
	v_mov_b32_e32 v5, 0
	s_mov_b32 s13, exec_lo
	v_cmpx_ne_u16_e32 0x80, v6
	s_cbranch_execz .LBB233_664
; %bb.659:                              ;   in Loop: Header=BB233_520 Depth=1
	v_mov_b32_e32 v4, 0x7f800001
	v_dual_mov_b32 v5, 0 :: v_dual_and_b32 v16, 0x7f, v100
	s_mov_b32 s15, exec_lo
	s_delay_alu instid0(VALU_DEP_1)
	v_cmpx_ne_u32_e32 0x7f, v16
	s_cbranch_execz .LBB233_663
; %bb.660:                              ;   in Loop: Header=BB233_520 Depth=1
	v_and_b32_e32 v6, 7, v100
	v_lshrrev_b32_e32 v4, 3, v16
	s_mov_b32 s16, exec_lo
	v_cmpx_gt_u32_e32 8, v16
; %bb.661:                              ;   in Loop: Header=BB233_520 Depth=1
	s_delay_alu instid0(VALU_DEP_3) | instskip(NEXT) | instid1(VALU_DEP_1)
	v_clz_i32_u32_e32 v4, v6
	v_min_u32_e32 v4, 32, v4
	s_delay_alu instid0(VALU_DEP_1) | instskip(SKIP_1) | instid1(VALU_DEP_2)
	v_subrev_nc_u32_e32 v5, 28, v4
	v_sub_nc_u32_e32 v4, 29, v4
	v_lshlrev_b64 v[5:6], v5, v[6:7]
	s_delay_alu instid0(VALU_DEP_1)
	v_and_b32_e32 v6, 7, v5
; %bb.662:                              ;   in Loop: Header=BB233_520 Depth=1
	s_or_b32 exec_lo, exec_lo, s16
	v_lshlrev_b32_e32 v5, 24, v100
	s_delay_alu instid0(VALU_DEP_2) | instskip(SKIP_1) | instid1(VALU_DEP_3)
	v_lshlrev_b32_e32 v6, 20, v6
	v_lshl_add_u32 v4, v4, 23, 0x3c000000
	v_and_b32_e32 v5, 0x80000000, v5
	s_delay_alu instid0(VALU_DEP_1) | instskip(NEXT) | instid1(VALU_DEP_1)
	v_or3_b32 v6, v6, v5, v4
	v_dual_mov_b32 v4, v6 :: v_dual_mov_b32 v5, v7
.LBB233_663:                            ;   in Loop: Header=BB233_520 Depth=1
	s_or_b32 exec_lo, exec_lo, s15
.LBB233_664:                            ;   in Loop: Header=BB233_520 Depth=1
	s_delay_alu instid0(SALU_CYCLE_1)
	s_or_b32 exec_lo, exec_lo, s13
.LBB233_665:                            ;   in Loop: Header=BB233_520 Depth=1
	s_delay_alu instid0(SALU_CYCLE_1) | instskip(SKIP_2) | instid1(VALU_DEP_1)
	s_or_b32 exec_lo, exec_lo, s10
	v_lshrrev_b16 v6, 8, v100
	s_mov_b32 s13, exec_lo
	v_cmpx_ne_u16_e32 0, v6
	s_cbranch_execz .LBB233_673
; %bb.666:                              ;   in Loop: Header=BB233_520 Depth=1
	v_dual_mov_b32 v15, s9 :: v_dual_mov_b32 v14, s8
	s_mov_b32 s15, exec_lo
	v_cmpx_ne_u16_e32 0x80, v6
	s_cbranch_execz .LBB233_672
; %bb.667:                              ;   in Loop: Header=BB233_520 Depth=1
	s_mov_b32 s10, s8
	v_dual_mov_b32 v15, s11 :: v_dual_and_b32 v6, 0xffff, v6
	v_mov_b32_e32 v14, s10
	s_mov_b32 s10, exec_lo
	s_delay_alu instid0(VALU_DEP_2) | instskip(NEXT) | instid1(VALU_DEP_1)
	v_and_b32_e32 v16, 0x7f, v6
	v_cmpx_ne_u32_e32 0x7f, v16
	s_cbranch_execz .LBB233_671
; %bb.668:                              ;   in Loop: Header=BB233_520 Depth=1
	v_and_b32_e32 v6, 7, v6
	v_lshrrev_b32_e32 v14, 3, v16
	s_mov_b32 s16, exec_lo
	v_cmpx_gt_u32_e32 8, v16
; %bb.669:                              ;   in Loop: Header=BB233_520 Depth=1
	s_delay_alu instid0(VALU_DEP_3) | instskip(NEXT) | instid1(VALU_DEP_1)
	v_clz_i32_u32_e32 v14, v6
	v_min_u32_e32 v14, 32, v14
	s_delay_alu instid0(VALU_DEP_1) | instskip(SKIP_1) | instid1(VALU_DEP_2)
	v_subrev_nc_u32_e32 v15, 28, v14
	v_sub_nc_u32_e32 v14, 29, v14
	v_lshlrev_b64 v[15:16], v15, v[6:7]
	s_delay_alu instid0(VALU_DEP_1)
	v_and_b32_e32 v6, 7, v15
; %bb.670:                              ;   in Loop: Header=BB233_520 Depth=1
	s_or_b32 exec_lo, exec_lo, s16
	v_lshlrev_b32_e32 v15, 16, v100
	s_delay_alu instid0(VALU_DEP_2) | instskip(SKIP_1) | instid1(VALU_DEP_3)
	v_lshlrev_b32_e32 v6, 20, v6
	v_lshl_add_u32 v14, v14, 23, 0x3c000000
	v_and_b32_e32 v15, 0x80000000, v15
	s_delay_alu instid0(VALU_DEP_1)
	v_or3_b32 v15, v6, v15, v14
	v_mov_b32_e32 v14, v7
.LBB233_671:                            ;   in Loop: Header=BB233_520 Depth=1
	s_or_b32 exec_lo, exec_lo, s10
.LBB233_672:                            ;   in Loop: Header=BB233_520 Depth=1
	s_delay_alu instid0(SALU_CYCLE_1)
	s_or_b32 exec_lo, exec_lo, s15
.LBB233_673:                            ;   in Loop: Header=BB233_520 Depth=1
	s_delay_alu instid0(SALU_CYCLE_1) | instskip(SKIP_4) | instid1(VALU_DEP_2)
	s_or_b32 exec_lo, exec_lo, s13
	v_mov_b32_e32 v18, 0
	v_lshrrev_b32_e32 v101, 16, v100
	v_mov_b32_e32 v19, 0
	s_mov_b32 s10, exec_lo
	v_and_b32_e32 v6, 0xff, v101
	s_delay_alu instid0(VALU_DEP_2) | instskip(NEXT) | instid1(VALU_DEP_2)
	v_dual_mov_b32 v16, v18 :: v_dual_mov_b32 v17, v19
	v_cmpx_ne_u16_e32 0, v6
	s_cbranch_execz .LBB233_681
; %bb.674:                              ;   in Loop: Header=BB233_520 Depth=1
	v_bfrev_b32_e32 v16, 1
	v_mov_b32_e32 v17, 0
	s_mov_b32 s13, exec_lo
	v_cmpx_ne_u16_e32 0x80, v6
	s_cbranch_execz .LBB233_680
; %bb.675:                              ;   in Loop: Header=BB233_520 Depth=1
	v_mov_b32_e32 v16, 0x7f800001
	v_bfe_u32 v102, v100, 16, 7
	v_mov_b32_e32 v17, 0
	s_mov_b32 s15, exec_lo
	s_delay_alu instid0(VALU_DEP_2)
	v_cmpx_ne_u32_e32 0x7f, v102
	s_cbranch_execz .LBB233_679
; %bb.676:                              ;   in Loop: Header=BB233_520 Depth=1
	v_and_b32_e32 v6, 7, v101
	v_lshrrev_b32_e32 v16, 3, v102
	s_mov_b32 s16, exec_lo
	v_cmpx_gt_u32_e32 8, v102
; %bb.677:                              ;   in Loop: Header=BB233_520 Depth=1
	s_delay_alu instid0(VALU_DEP_3) | instskip(NEXT) | instid1(VALU_DEP_1)
	v_clz_i32_u32_e32 v16, v6
	v_min_u32_e32 v16, 32, v16
	s_delay_alu instid0(VALU_DEP_1) | instskip(SKIP_1) | instid1(VALU_DEP_2)
	v_subrev_nc_u32_e32 v17, 28, v16
	v_sub_nc_u32_e32 v16, 29, v16
	v_lshlrev_b64 v[102:103], v17, v[6:7]
	s_delay_alu instid0(VALU_DEP_1)
	v_and_b32_e32 v6, 7, v102
; %bb.678:                              ;   in Loop: Header=BB233_520 Depth=1
	s_or_b32 exec_lo, exec_lo, s16
	v_lshlrev_b32_e32 v17, 24, v101
	s_delay_alu instid0(VALU_DEP_2) | instskip(SKIP_1) | instid1(VALU_DEP_3)
	v_lshlrev_b32_e32 v6, 20, v6
	v_lshl_add_u32 v16, v16, 23, 0x3c000000
	v_and_b32_e32 v17, 0x80000000, v17
	s_delay_alu instid0(VALU_DEP_1) | instskip(NEXT) | instid1(VALU_DEP_1)
	v_or3_b32 v6, v6, v17, v16
	v_dual_mov_b32 v17, v7 :: v_dual_mov_b32 v16, v6
.LBB233_679:                            ;   in Loop: Header=BB233_520 Depth=1
	s_or_b32 exec_lo, exec_lo, s15
.LBB233_680:                            ;   in Loop: Header=BB233_520 Depth=1
	s_delay_alu instid0(SALU_CYCLE_1)
	s_or_b32 exec_lo, exec_lo, s13
.LBB233_681:                            ;   in Loop: Header=BB233_520 Depth=1
	s_delay_alu instid0(SALU_CYCLE_1) | instskip(NEXT) | instid1(SALU_CYCLE_1)
	s_or_b32 exec_lo, exec_lo, s10
	s_mov_b32 s13, exec_lo
	v_cmpx_lt_u32_e32 0xffffff, v100
	s_cbranch_execz .LBB233_689
; %bb.682:                              ;   in Loop: Header=BB233_520 Depth=1
	v_lshrrev_b32_e32 v101, 24, v100
	v_dual_mov_b32 v19, s9 :: v_dual_mov_b32 v18, s8
	s_mov_b32 s15, exec_lo
	s_delay_alu instid0(VALU_DEP_2)
	v_cmpx_ne_u32_e32 0x80, v101
	s_cbranch_execz .LBB233_688
; %bb.683:                              ;   in Loop: Header=BB233_520 Depth=1
	s_mov_b32 s10, s8
	v_bfe_u32 v100, v100, 24, 7
	v_dual_mov_b32 v19, s11 :: v_dual_mov_b32 v18, s10
	s_mov_b32 s10, exec_lo
	s_delay_alu instid0(VALU_DEP_2)
	v_cmpx_ne_u32_e32 0x7f, v100
	s_cbranch_execz .LBB233_687
; %bb.684:                              ;   in Loop: Header=BB233_520 Depth=1
	v_and_b32_e32 v6, 7, v101
	v_lshrrev_b32_e32 v18, 3, v100
	s_mov_b32 s16, exec_lo
	v_cmpx_gt_u32_e32 8, v100
; %bb.685:                              ;   in Loop: Header=BB233_520 Depth=1
	s_delay_alu instid0(VALU_DEP_3) | instskip(NEXT) | instid1(VALU_DEP_1)
	v_clz_i32_u32_e32 v18, v6
	v_min_u32_e32 v18, 32, v18
	s_delay_alu instid0(VALU_DEP_1) | instskip(SKIP_1) | instid1(VALU_DEP_2)
	v_subrev_nc_u32_e32 v19, 28, v18
	v_sub_nc_u32_e32 v18, 29, v18
	v_lshlrev_b64 v[102:103], v19, v[6:7]
	s_delay_alu instid0(VALU_DEP_1)
	v_and_b32_e32 v6, 7, v102
; %bb.686:                              ;   in Loop: Header=BB233_520 Depth=1
	s_or_b32 exec_lo, exec_lo, s16
	v_lshlrev_b32_e32 v19, 24, v101
	s_delay_alu instid0(VALU_DEP_2) | instskip(SKIP_1) | instid1(VALU_DEP_3)
	v_lshlrev_b32_e32 v6, 20, v6
	v_lshl_add_u32 v18, v18, 23, 0x3c000000
	v_and_b32_e32 v19, 0x80000000, v19
	s_delay_alu instid0(VALU_DEP_1)
	v_or3_b32 v19, v6, v19, v18
	v_mov_b32_e32 v18, v7
.LBB233_687:                            ;   in Loop: Header=BB233_520 Depth=1
	s_or_b32 exec_lo, exec_lo, s10
.LBB233_688:                            ;   in Loop: Header=BB233_520 Depth=1
	s_delay_alu instid0(SALU_CYCLE_1)
	s_or_b32 exec_lo, exec_lo, s15
.LBB233_689:                            ;   in Loop: Header=BB233_520 Depth=1
	s_delay_alu instid0(SALU_CYCLE_1) | instskip(SKIP_4) | instid1(VALU_DEP_4)
	s_or_b32 exec_lo, exec_lo, s13
	v_or_b32_e32 v5, v15, v5
	v_or_b32_e32 v4, v14, v4
	;; [unrolled: 1-line block ×4, first 2 shown]
	v_mul_f32_e32 v103, v26, v5
	s_delay_alu instid0(VALU_DEP_4) | instskip(NEXT) | instid1(VALU_DEP_4)
	v_mul_f32_e32 v102, v26, v4
	v_mul_f32_e32 v100, v26, v6
	s_delay_alu instid0(VALU_DEP_4)
	v_mul_f32_e32 v101, v26, v14
	s_and_saveexec_b32 s10, vcc_lo
; %bb.690:                              ;   in Loop: Header=BB233_520 Depth=1
	v_cmp_lt_i32_e64 s0, v68, v24
	s_delay_alu instid0(VALU_DEP_1) | instskip(SKIP_1) | instid1(VALU_DEP_1)
	v_cndmask_b32_e64 v102, 0, v102, s0
	v_cmp_lt_i32_e64 s0, v71, v24
	v_cndmask_b32_e64 v103, 0, v103, s0
	v_cmp_lt_i32_e64 s0, v70, v24
	s_delay_alu instid0(VALU_DEP_1) | instskip(SKIP_1) | instid1(VALU_DEP_1)
	v_cndmask_b32_e64 v101, 0, v101, s0
	v_cmp_lt_i32_e64 s0, v69, v24
	v_cndmask_b32_e64 v100, 0, v100, s0
; %bb.691:                              ;   in Loop: Header=BB233_520 Depth=1
	s_or_b32 exec_lo, exec_lo, s10
	flat_load_b32 v113, v[12:13] offset:640
	v_mov_b32_e32 v14, 0
	v_mov_b32_e32 v15, 0
	s_mov_b32 s10, exec_lo
	s_waitcnt vmcnt(0) lgkmcnt(0)
	v_and_b32_e32 v6, 0xff, v113
	s_delay_alu instid0(VALU_DEP_2) | instskip(NEXT) | instid1(VALU_DEP_2)
	v_dual_mov_b32 v4, v14 :: v_dual_mov_b32 v5, v15
	v_cmpx_ne_u16_e32 0, v6
	s_cbranch_execz .LBB233_699
; %bb.692:                              ;   in Loop: Header=BB233_520 Depth=1
	v_bfrev_b32_e32 v4, 1
	v_mov_b32_e32 v5, 0
	s_mov_b32 s13, exec_lo
	v_cmpx_ne_u16_e32 0x80, v6
	s_cbranch_execz .LBB233_698
; %bb.693:                              ;   in Loop: Header=BB233_520 Depth=1
	v_mov_b32_e32 v4, 0x7f800001
	v_dual_mov_b32 v5, 0 :: v_dual_and_b32 v16, 0x7f, v113
	s_mov_b32 s15, exec_lo
	s_delay_alu instid0(VALU_DEP_1)
	v_cmpx_ne_u32_e32 0x7f, v16
	s_cbranch_execz .LBB233_697
; %bb.694:                              ;   in Loop: Header=BB233_520 Depth=1
	v_and_b32_e32 v6, 7, v113
	v_lshrrev_b32_e32 v4, 3, v16
	s_mov_b32 s16, exec_lo
	v_cmpx_gt_u32_e32 8, v16
; %bb.695:                              ;   in Loop: Header=BB233_520 Depth=1
	s_delay_alu instid0(VALU_DEP_3) | instskip(NEXT) | instid1(VALU_DEP_1)
	v_clz_i32_u32_e32 v4, v6
	v_min_u32_e32 v4, 32, v4
	s_delay_alu instid0(VALU_DEP_1) | instskip(SKIP_1) | instid1(VALU_DEP_2)
	v_subrev_nc_u32_e32 v5, 28, v4
	v_sub_nc_u32_e32 v4, 29, v4
	v_lshlrev_b64 v[5:6], v5, v[6:7]
	s_delay_alu instid0(VALU_DEP_1)
	v_and_b32_e32 v6, 7, v5
; %bb.696:                              ;   in Loop: Header=BB233_520 Depth=1
	s_or_b32 exec_lo, exec_lo, s16
	v_lshlrev_b32_e32 v5, 24, v113
	s_delay_alu instid0(VALU_DEP_2) | instskip(SKIP_1) | instid1(VALU_DEP_3)
	v_lshlrev_b32_e32 v6, 20, v6
	v_lshl_add_u32 v4, v4, 23, 0x3c000000
	v_and_b32_e32 v5, 0x80000000, v5
	s_delay_alu instid0(VALU_DEP_1) | instskip(NEXT) | instid1(VALU_DEP_1)
	v_or3_b32 v6, v6, v5, v4
	v_dual_mov_b32 v4, v6 :: v_dual_mov_b32 v5, v7
.LBB233_697:                            ;   in Loop: Header=BB233_520 Depth=1
	s_or_b32 exec_lo, exec_lo, s15
.LBB233_698:                            ;   in Loop: Header=BB233_520 Depth=1
	s_delay_alu instid0(SALU_CYCLE_1)
	s_or_b32 exec_lo, exec_lo, s13
.LBB233_699:                            ;   in Loop: Header=BB233_520 Depth=1
	s_delay_alu instid0(SALU_CYCLE_1) | instskip(SKIP_2) | instid1(VALU_DEP_1)
	s_or_b32 exec_lo, exec_lo, s10
	v_lshrrev_b16 v6, 8, v113
	s_mov_b32 s13, exec_lo
	v_cmpx_ne_u16_e32 0, v6
	s_cbranch_execz .LBB233_707
; %bb.700:                              ;   in Loop: Header=BB233_520 Depth=1
	v_dual_mov_b32 v15, s9 :: v_dual_mov_b32 v14, s8
	s_mov_b32 s15, exec_lo
	v_cmpx_ne_u16_e32 0x80, v6
	s_cbranch_execz .LBB233_706
; %bb.701:                              ;   in Loop: Header=BB233_520 Depth=1
	s_mov_b32 s10, s8
	v_dual_mov_b32 v15, s11 :: v_dual_and_b32 v6, 0xffff, v6
	v_mov_b32_e32 v14, s10
	s_mov_b32 s10, exec_lo
	s_delay_alu instid0(VALU_DEP_2) | instskip(NEXT) | instid1(VALU_DEP_1)
	v_and_b32_e32 v16, 0x7f, v6
	v_cmpx_ne_u32_e32 0x7f, v16
	s_cbranch_execz .LBB233_705
; %bb.702:                              ;   in Loop: Header=BB233_520 Depth=1
	v_and_b32_e32 v6, 7, v6
	v_lshrrev_b32_e32 v14, 3, v16
	s_mov_b32 s16, exec_lo
	v_cmpx_gt_u32_e32 8, v16
; %bb.703:                              ;   in Loop: Header=BB233_520 Depth=1
	s_delay_alu instid0(VALU_DEP_3) | instskip(NEXT) | instid1(VALU_DEP_1)
	v_clz_i32_u32_e32 v14, v6
	v_min_u32_e32 v14, 32, v14
	s_delay_alu instid0(VALU_DEP_1) | instskip(SKIP_1) | instid1(VALU_DEP_2)
	v_subrev_nc_u32_e32 v15, 28, v14
	v_sub_nc_u32_e32 v14, 29, v14
	v_lshlrev_b64 v[15:16], v15, v[6:7]
	s_delay_alu instid0(VALU_DEP_1)
	v_and_b32_e32 v6, 7, v15
; %bb.704:                              ;   in Loop: Header=BB233_520 Depth=1
	s_or_b32 exec_lo, exec_lo, s16
	v_lshlrev_b32_e32 v15, 16, v113
	s_delay_alu instid0(VALU_DEP_2) | instskip(SKIP_1) | instid1(VALU_DEP_3)
	v_lshlrev_b32_e32 v6, 20, v6
	v_lshl_add_u32 v14, v14, 23, 0x3c000000
	v_and_b32_e32 v15, 0x80000000, v15
	s_delay_alu instid0(VALU_DEP_1)
	v_or3_b32 v15, v6, v15, v14
	v_mov_b32_e32 v14, v7
.LBB233_705:                            ;   in Loop: Header=BB233_520 Depth=1
	s_or_b32 exec_lo, exec_lo, s10
.LBB233_706:                            ;   in Loop: Header=BB233_520 Depth=1
	s_delay_alu instid0(SALU_CYCLE_1)
	s_or_b32 exec_lo, exec_lo, s15
.LBB233_707:                            ;   in Loop: Header=BB233_520 Depth=1
	s_delay_alu instid0(SALU_CYCLE_1) | instskip(SKIP_4) | instid1(VALU_DEP_2)
	s_or_b32 exec_lo, exec_lo, s13
	v_mov_b32_e32 v18, 0
	v_lshrrev_b32_e32 v114, 16, v113
	v_mov_b32_e32 v19, 0
	s_mov_b32 s10, exec_lo
	v_and_b32_e32 v6, 0xff, v114
	s_delay_alu instid0(VALU_DEP_2) | instskip(NEXT) | instid1(VALU_DEP_2)
	v_dual_mov_b32 v16, v18 :: v_dual_mov_b32 v17, v19
	v_cmpx_ne_u16_e32 0, v6
	s_cbranch_execz .LBB233_715
; %bb.708:                              ;   in Loop: Header=BB233_520 Depth=1
	v_bfrev_b32_e32 v16, 1
	v_mov_b32_e32 v17, 0
	s_mov_b32 s13, exec_lo
	v_cmpx_ne_u16_e32 0x80, v6
	s_cbranch_execz .LBB233_714
; %bb.709:                              ;   in Loop: Header=BB233_520 Depth=1
	v_mov_b32_e32 v16, 0x7f800001
	v_bfe_u32 v115, v113, 16, 7
	v_mov_b32_e32 v17, 0
	s_mov_b32 s15, exec_lo
	s_delay_alu instid0(VALU_DEP_2)
	v_cmpx_ne_u32_e32 0x7f, v115
	s_cbranch_execz .LBB233_713
; %bb.710:                              ;   in Loop: Header=BB233_520 Depth=1
	v_and_b32_e32 v6, 7, v114
	v_lshrrev_b32_e32 v16, 3, v115
	s_mov_b32 s16, exec_lo
	v_cmpx_gt_u32_e32 8, v115
; %bb.711:                              ;   in Loop: Header=BB233_520 Depth=1
	s_delay_alu instid0(VALU_DEP_3) | instskip(NEXT) | instid1(VALU_DEP_1)
	v_clz_i32_u32_e32 v16, v6
	v_min_u32_e32 v16, 32, v16
	s_delay_alu instid0(VALU_DEP_1) | instskip(SKIP_1) | instid1(VALU_DEP_2)
	v_subrev_nc_u32_e32 v17, 28, v16
	v_sub_nc_u32_e32 v16, 29, v16
	v_lshlrev_b64 v[115:116], v17, v[6:7]
	s_delay_alu instid0(VALU_DEP_1)
	v_and_b32_e32 v6, 7, v115
; %bb.712:                              ;   in Loop: Header=BB233_520 Depth=1
	s_or_b32 exec_lo, exec_lo, s16
	v_lshlrev_b32_e32 v17, 24, v114
	s_delay_alu instid0(VALU_DEP_2) | instskip(SKIP_1) | instid1(VALU_DEP_3)
	v_lshlrev_b32_e32 v6, 20, v6
	v_lshl_add_u32 v16, v16, 23, 0x3c000000
	v_and_b32_e32 v17, 0x80000000, v17
	s_delay_alu instid0(VALU_DEP_1) | instskip(NEXT) | instid1(VALU_DEP_1)
	v_or3_b32 v6, v6, v17, v16
	v_dual_mov_b32 v17, v7 :: v_dual_mov_b32 v16, v6
.LBB233_713:                            ;   in Loop: Header=BB233_520 Depth=1
	s_or_b32 exec_lo, exec_lo, s15
.LBB233_714:                            ;   in Loop: Header=BB233_520 Depth=1
	s_delay_alu instid0(SALU_CYCLE_1)
	s_or_b32 exec_lo, exec_lo, s13
.LBB233_715:                            ;   in Loop: Header=BB233_520 Depth=1
	s_delay_alu instid0(SALU_CYCLE_1) | instskip(NEXT) | instid1(SALU_CYCLE_1)
	s_or_b32 exec_lo, exec_lo, s10
	s_mov_b32 s13, exec_lo
	v_cmpx_lt_u32_e32 0xffffff, v113
	s_cbranch_execz .LBB233_723
; %bb.716:                              ;   in Loop: Header=BB233_520 Depth=1
	v_lshrrev_b32_e32 v114, 24, v113
	v_dual_mov_b32 v19, s9 :: v_dual_mov_b32 v18, s8
	s_mov_b32 s15, exec_lo
	s_delay_alu instid0(VALU_DEP_2)
	v_cmpx_ne_u32_e32 0x80, v114
	s_cbranch_execz .LBB233_722
; %bb.717:                              ;   in Loop: Header=BB233_520 Depth=1
	s_mov_b32 s10, s8
	v_bfe_u32 v113, v113, 24, 7
	v_dual_mov_b32 v19, s11 :: v_dual_mov_b32 v18, s10
	s_mov_b32 s10, exec_lo
	s_delay_alu instid0(VALU_DEP_2)
	v_cmpx_ne_u32_e32 0x7f, v113
	s_cbranch_execz .LBB233_721
; %bb.718:                              ;   in Loop: Header=BB233_520 Depth=1
	v_and_b32_e32 v6, 7, v114
	v_lshrrev_b32_e32 v18, 3, v113
	s_mov_b32 s16, exec_lo
	v_cmpx_gt_u32_e32 8, v113
; %bb.719:                              ;   in Loop: Header=BB233_520 Depth=1
	s_delay_alu instid0(VALU_DEP_3) | instskip(NEXT) | instid1(VALU_DEP_1)
	v_clz_i32_u32_e32 v18, v6
	v_min_u32_e32 v18, 32, v18
	s_delay_alu instid0(VALU_DEP_1) | instskip(SKIP_1) | instid1(VALU_DEP_2)
	v_subrev_nc_u32_e32 v19, 28, v18
	v_sub_nc_u32_e32 v18, 29, v18
	v_lshlrev_b64 v[115:116], v19, v[6:7]
	s_delay_alu instid0(VALU_DEP_1)
	v_and_b32_e32 v6, 7, v115
; %bb.720:                              ;   in Loop: Header=BB233_520 Depth=1
	s_or_b32 exec_lo, exec_lo, s16
	v_lshlrev_b32_e32 v19, 24, v114
	s_delay_alu instid0(VALU_DEP_2) | instskip(SKIP_1) | instid1(VALU_DEP_3)
	v_lshlrev_b32_e32 v6, 20, v6
	v_lshl_add_u32 v18, v18, 23, 0x3c000000
	v_and_b32_e32 v19, 0x80000000, v19
	s_delay_alu instid0(VALU_DEP_1)
	v_or3_b32 v19, v6, v19, v18
	v_mov_b32_e32 v18, v7
.LBB233_721:                            ;   in Loop: Header=BB233_520 Depth=1
	s_or_b32 exec_lo, exec_lo, s10
.LBB233_722:                            ;   in Loop: Header=BB233_520 Depth=1
	s_delay_alu instid0(SALU_CYCLE_1)
	s_or_b32 exec_lo, exec_lo, s15
.LBB233_723:                            ;   in Loop: Header=BB233_520 Depth=1
	s_delay_alu instid0(SALU_CYCLE_1) | instskip(SKIP_4) | instid1(VALU_DEP_4)
	s_or_b32 exec_lo, exec_lo, s13
	v_or_b32_e32 v5, v15, v5
	v_or_b32_e32 v4, v14, v4
	;; [unrolled: 1-line block ×4, first 2 shown]
	v_mul_f32_e32 v116, v26, v5
	s_delay_alu instid0(VALU_DEP_4) | instskip(NEXT) | instid1(VALU_DEP_4)
	v_mul_f32_e32 v115, v26, v4
	v_mul_f32_e32 v113, v26, v6
	s_delay_alu instid0(VALU_DEP_4)
	v_mul_f32_e32 v114, v26, v14
	s_and_saveexec_b32 s10, vcc_lo
; %bb.724:                              ;   in Loop: Header=BB233_520 Depth=1
	v_cmp_lt_i32_e64 s0, v68, v24
	s_delay_alu instid0(VALU_DEP_1) | instskip(SKIP_1) | instid1(VALU_DEP_1)
	v_cndmask_b32_e64 v115, 0, v115, s0
	v_cmp_lt_i32_e64 s0, v71, v24
	v_cndmask_b32_e64 v116, 0, v116, s0
	v_cmp_lt_i32_e64 s0, v70, v24
	s_delay_alu instid0(VALU_DEP_1) | instskip(SKIP_1) | instid1(VALU_DEP_1)
	v_cndmask_b32_e64 v114, 0, v114, s0
	v_cmp_lt_i32_e64 s0, v69, v24
	v_cndmask_b32_e64 v113, 0, v113, s0
; %bb.725:                              ;   in Loop: Header=BB233_520 Depth=1
	s_or_b32 exec_lo, exec_lo, s10
	flat_load_b32 v117, v[12:13] offset:768
	v_mov_b32_e32 v14, 0
	v_mov_b32_e32 v15, 0
	s_mov_b32 s10, exec_lo
	s_waitcnt vmcnt(0) lgkmcnt(0)
	v_and_b32_e32 v6, 0xff, v117
	s_delay_alu instid0(VALU_DEP_2) | instskip(NEXT) | instid1(VALU_DEP_2)
	v_dual_mov_b32 v4, v14 :: v_dual_mov_b32 v5, v15
	v_cmpx_ne_u16_e32 0, v6
	s_cbranch_execz .LBB233_733
; %bb.726:                              ;   in Loop: Header=BB233_520 Depth=1
	v_bfrev_b32_e32 v4, 1
	v_mov_b32_e32 v5, 0
	s_mov_b32 s13, exec_lo
	v_cmpx_ne_u16_e32 0x80, v6
	s_cbranch_execz .LBB233_732
; %bb.727:                              ;   in Loop: Header=BB233_520 Depth=1
	v_mov_b32_e32 v4, 0x7f800001
	v_dual_mov_b32 v5, 0 :: v_dual_and_b32 v16, 0x7f, v117
	s_mov_b32 s15, exec_lo
	s_delay_alu instid0(VALU_DEP_1)
	v_cmpx_ne_u32_e32 0x7f, v16
	s_cbranch_execz .LBB233_731
; %bb.728:                              ;   in Loop: Header=BB233_520 Depth=1
	v_and_b32_e32 v6, 7, v117
	v_lshrrev_b32_e32 v4, 3, v16
	s_mov_b32 s16, exec_lo
	v_cmpx_gt_u32_e32 8, v16
; %bb.729:                              ;   in Loop: Header=BB233_520 Depth=1
	s_delay_alu instid0(VALU_DEP_3) | instskip(NEXT) | instid1(VALU_DEP_1)
	v_clz_i32_u32_e32 v4, v6
	v_min_u32_e32 v4, 32, v4
	s_delay_alu instid0(VALU_DEP_1) | instskip(SKIP_1) | instid1(VALU_DEP_2)
	v_subrev_nc_u32_e32 v5, 28, v4
	v_sub_nc_u32_e32 v4, 29, v4
	v_lshlrev_b64 v[5:6], v5, v[6:7]
	s_delay_alu instid0(VALU_DEP_1)
	v_and_b32_e32 v6, 7, v5
; %bb.730:                              ;   in Loop: Header=BB233_520 Depth=1
	s_or_b32 exec_lo, exec_lo, s16
	v_lshlrev_b32_e32 v5, 24, v117
	s_delay_alu instid0(VALU_DEP_2) | instskip(SKIP_1) | instid1(VALU_DEP_3)
	v_lshlrev_b32_e32 v6, 20, v6
	v_lshl_add_u32 v4, v4, 23, 0x3c000000
	v_and_b32_e32 v5, 0x80000000, v5
	s_delay_alu instid0(VALU_DEP_1) | instskip(NEXT) | instid1(VALU_DEP_1)
	v_or3_b32 v6, v6, v5, v4
	v_dual_mov_b32 v4, v6 :: v_dual_mov_b32 v5, v7
.LBB233_731:                            ;   in Loop: Header=BB233_520 Depth=1
	s_or_b32 exec_lo, exec_lo, s15
.LBB233_732:                            ;   in Loop: Header=BB233_520 Depth=1
	s_delay_alu instid0(SALU_CYCLE_1)
	s_or_b32 exec_lo, exec_lo, s13
.LBB233_733:                            ;   in Loop: Header=BB233_520 Depth=1
	s_delay_alu instid0(SALU_CYCLE_1) | instskip(SKIP_2) | instid1(VALU_DEP_1)
	s_or_b32 exec_lo, exec_lo, s10
	v_lshrrev_b16 v6, 8, v117
	s_mov_b32 s13, exec_lo
	v_cmpx_ne_u16_e32 0, v6
	s_cbranch_execz .LBB233_741
; %bb.734:                              ;   in Loop: Header=BB233_520 Depth=1
	v_dual_mov_b32 v15, s9 :: v_dual_mov_b32 v14, s8
	s_mov_b32 s15, exec_lo
	v_cmpx_ne_u16_e32 0x80, v6
	s_cbranch_execz .LBB233_740
; %bb.735:                              ;   in Loop: Header=BB233_520 Depth=1
	s_mov_b32 s10, s8
	v_dual_mov_b32 v15, s11 :: v_dual_and_b32 v6, 0xffff, v6
	v_mov_b32_e32 v14, s10
	s_mov_b32 s10, exec_lo
	s_delay_alu instid0(VALU_DEP_2) | instskip(NEXT) | instid1(VALU_DEP_1)
	v_and_b32_e32 v16, 0x7f, v6
	v_cmpx_ne_u32_e32 0x7f, v16
	s_cbranch_execz .LBB233_739
; %bb.736:                              ;   in Loop: Header=BB233_520 Depth=1
	v_and_b32_e32 v6, 7, v6
	v_lshrrev_b32_e32 v14, 3, v16
	s_mov_b32 s16, exec_lo
	v_cmpx_gt_u32_e32 8, v16
; %bb.737:                              ;   in Loop: Header=BB233_520 Depth=1
	s_delay_alu instid0(VALU_DEP_3) | instskip(NEXT) | instid1(VALU_DEP_1)
	v_clz_i32_u32_e32 v14, v6
	v_min_u32_e32 v14, 32, v14
	s_delay_alu instid0(VALU_DEP_1) | instskip(SKIP_1) | instid1(VALU_DEP_2)
	v_subrev_nc_u32_e32 v15, 28, v14
	v_sub_nc_u32_e32 v14, 29, v14
	v_lshlrev_b64 v[15:16], v15, v[6:7]
	s_delay_alu instid0(VALU_DEP_1)
	v_and_b32_e32 v6, 7, v15
; %bb.738:                              ;   in Loop: Header=BB233_520 Depth=1
	s_or_b32 exec_lo, exec_lo, s16
	v_lshlrev_b32_e32 v15, 16, v117
	s_delay_alu instid0(VALU_DEP_2) | instskip(SKIP_1) | instid1(VALU_DEP_3)
	v_lshlrev_b32_e32 v6, 20, v6
	v_lshl_add_u32 v14, v14, 23, 0x3c000000
	v_and_b32_e32 v15, 0x80000000, v15
	s_delay_alu instid0(VALU_DEP_1)
	v_or3_b32 v15, v6, v15, v14
	v_mov_b32_e32 v14, v7
.LBB233_739:                            ;   in Loop: Header=BB233_520 Depth=1
	s_or_b32 exec_lo, exec_lo, s10
.LBB233_740:                            ;   in Loop: Header=BB233_520 Depth=1
	s_delay_alu instid0(SALU_CYCLE_1)
	s_or_b32 exec_lo, exec_lo, s15
.LBB233_741:                            ;   in Loop: Header=BB233_520 Depth=1
	s_delay_alu instid0(SALU_CYCLE_1) | instskip(SKIP_4) | instid1(VALU_DEP_2)
	s_or_b32 exec_lo, exec_lo, s13
	v_mov_b32_e32 v18, 0
	v_lshrrev_b32_e32 v118, 16, v117
	v_mov_b32_e32 v19, 0
	s_mov_b32 s10, exec_lo
	v_and_b32_e32 v6, 0xff, v118
	s_delay_alu instid0(VALU_DEP_2) | instskip(NEXT) | instid1(VALU_DEP_2)
	v_dual_mov_b32 v16, v18 :: v_dual_mov_b32 v17, v19
	v_cmpx_ne_u16_e32 0, v6
	s_cbranch_execz .LBB233_749
; %bb.742:                              ;   in Loop: Header=BB233_520 Depth=1
	v_bfrev_b32_e32 v16, 1
	v_mov_b32_e32 v17, 0
	s_mov_b32 s13, exec_lo
	v_cmpx_ne_u16_e32 0x80, v6
	s_cbranch_execz .LBB233_748
; %bb.743:                              ;   in Loop: Header=BB233_520 Depth=1
	v_mov_b32_e32 v16, 0x7f800001
	v_bfe_u32 v119, v117, 16, 7
	v_mov_b32_e32 v17, 0
	s_mov_b32 s15, exec_lo
	s_delay_alu instid0(VALU_DEP_2)
	v_cmpx_ne_u32_e32 0x7f, v119
	s_cbranch_execz .LBB233_747
; %bb.744:                              ;   in Loop: Header=BB233_520 Depth=1
	v_and_b32_e32 v6, 7, v118
	v_lshrrev_b32_e32 v16, 3, v119
	s_mov_b32 s16, exec_lo
	v_cmpx_gt_u32_e32 8, v119
; %bb.745:                              ;   in Loop: Header=BB233_520 Depth=1
	s_delay_alu instid0(VALU_DEP_3) | instskip(NEXT) | instid1(VALU_DEP_1)
	v_clz_i32_u32_e32 v16, v6
	v_min_u32_e32 v16, 32, v16
	s_delay_alu instid0(VALU_DEP_1) | instskip(SKIP_1) | instid1(VALU_DEP_2)
	v_subrev_nc_u32_e32 v17, 28, v16
	v_sub_nc_u32_e32 v16, 29, v16
	v_lshlrev_b64 v[128:129], v17, v[6:7]
	s_delay_alu instid0(VALU_DEP_1)
	v_and_b32_e32 v6, 7, v128
; %bb.746:                              ;   in Loop: Header=BB233_520 Depth=1
	s_or_b32 exec_lo, exec_lo, s16
	v_lshlrev_b32_e32 v17, 24, v118
	s_delay_alu instid0(VALU_DEP_2) | instskip(SKIP_1) | instid1(VALU_DEP_3)
	v_lshlrev_b32_e32 v6, 20, v6
	v_lshl_add_u32 v16, v16, 23, 0x3c000000
	v_and_b32_e32 v17, 0x80000000, v17
	s_delay_alu instid0(VALU_DEP_1) | instskip(NEXT) | instid1(VALU_DEP_1)
	v_or3_b32 v6, v6, v17, v16
	v_dual_mov_b32 v17, v7 :: v_dual_mov_b32 v16, v6
.LBB233_747:                            ;   in Loop: Header=BB233_520 Depth=1
	s_or_b32 exec_lo, exec_lo, s15
.LBB233_748:                            ;   in Loop: Header=BB233_520 Depth=1
	s_delay_alu instid0(SALU_CYCLE_1)
	s_or_b32 exec_lo, exec_lo, s13
.LBB233_749:                            ;   in Loop: Header=BB233_520 Depth=1
	s_delay_alu instid0(SALU_CYCLE_1) | instskip(NEXT) | instid1(SALU_CYCLE_1)
	s_or_b32 exec_lo, exec_lo, s10
	s_mov_b32 s13, exec_lo
	v_cmpx_lt_u32_e32 0xffffff, v117
	s_cbranch_execz .LBB233_757
; %bb.750:                              ;   in Loop: Header=BB233_520 Depth=1
	v_lshrrev_b32_e32 v118, 24, v117
	v_dual_mov_b32 v19, s9 :: v_dual_mov_b32 v18, s8
	s_mov_b32 s15, exec_lo
	s_delay_alu instid0(VALU_DEP_2)
	v_cmpx_ne_u32_e32 0x80, v118
	s_cbranch_execz .LBB233_756
; %bb.751:                              ;   in Loop: Header=BB233_520 Depth=1
	s_mov_b32 s10, s8
	v_bfe_u32 v117, v117, 24, 7
	v_dual_mov_b32 v19, s11 :: v_dual_mov_b32 v18, s10
	s_mov_b32 s10, exec_lo
	s_delay_alu instid0(VALU_DEP_2)
	v_cmpx_ne_u32_e32 0x7f, v117
	s_cbranch_execz .LBB233_755
; %bb.752:                              ;   in Loop: Header=BB233_520 Depth=1
	v_and_b32_e32 v6, 7, v118
	v_lshrrev_b32_e32 v18, 3, v117
	s_mov_b32 s16, exec_lo
	v_cmpx_gt_u32_e32 8, v117
; %bb.753:                              ;   in Loop: Header=BB233_520 Depth=1
	s_delay_alu instid0(VALU_DEP_3) | instskip(NEXT) | instid1(VALU_DEP_1)
	v_clz_i32_u32_e32 v18, v6
	v_min_u32_e32 v18, 32, v18
	s_delay_alu instid0(VALU_DEP_1) | instskip(SKIP_1) | instid1(VALU_DEP_2)
	v_subrev_nc_u32_e32 v19, 28, v18
	v_sub_nc_u32_e32 v18, 29, v18
	v_lshlrev_b64 v[128:129], v19, v[6:7]
	s_delay_alu instid0(VALU_DEP_1)
	v_and_b32_e32 v6, 7, v128
; %bb.754:                              ;   in Loop: Header=BB233_520 Depth=1
	s_or_b32 exec_lo, exec_lo, s16
	v_lshlrev_b32_e32 v19, 24, v118
	s_delay_alu instid0(VALU_DEP_2) | instskip(SKIP_1) | instid1(VALU_DEP_3)
	v_lshlrev_b32_e32 v6, 20, v6
	v_lshl_add_u32 v18, v18, 23, 0x3c000000
	v_and_b32_e32 v19, 0x80000000, v19
	s_delay_alu instid0(VALU_DEP_1)
	v_or3_b32 v19, v6, v19, v18
	v_mov_b32_e32 v18, v7
.LBB233_755:                            ;   in Loop: Header=BB233_520 Depth=1
	s_or_b32 exec_lo, exec_lo, s10
.LBB233_756:                            ;   in Loop: Header=BB233_520 Depth=1
	s_delay_alu instid0(SALU_CYCLE_1)
	s_or_b32 exec_lo, exec_lo, s15
.LBB233_757:                            ;   in Loop: Header=BB233_520 Depth=1
	s_delay_alu instid0(SALU_CYCLE_1) | instskip(SKIP_4) | instid1(VALU_DEP_4)
	s_or_b32 exec_lo, exec_lo, s13
	v_or_b32_e32 v5, v15, v5
	v_or_b32_e32 v4, v14, v4
	;; [unrolled: 1-line block ×4, first 2 shown]
	v_mul_f32_e32 v128, v26, v5
	s_delay_alu instid0(VALU_DEP_4) | instskip(NEXT) | instid1(VALU_DEP_4)
	v_mul_f32_e32 v119, v26, v4
	v_mul_f32_e32 v117, v26, v6
	s_delay_alu instid0(VALU_DEP_4)
	v_mul_f32_e32 v118, v26, v14
	s_and_saveexec_b32 s10, vcc_lo
; %bb.758:                              ;   in Loop: Header=BB233_520 Depth=1
	v_cmp_lt_i32_e64 s0, v68, v24
	s_delay_alu instid0(VALU_DEP_1) | instskip(SKIP_1) | instid1(VALU_DEP_1)
	v_cndmask_b32_e64 v119, 0, v119, s0
	v_cmp_lt_i32_e64 s0, v71, v24
	v_cndmask_b32_e64 v128, 0, v128, s0
	v_cmp_lt_i32_e64 s0, v70, v24
	s_delay_alu instid0(VALU_DEP_1) | instskip(SKIP_1) | instid1(VALU_DEP_1)
	v_cndmask_b32_e64 v118, 0, v118, s0
	v_cmp_lt_i32_e64 s0, v69, v24
	v_cndmask_b32_e64 v117, 0, v117, s0
; %bb.759:                              ;   in Loop: Header=BB233_520 Depth=1
	s_or_b32 exec_lo, exec_lo, s10
	flat_load_b32 v129, v[12:13] offset:896
	v_mov_b32_e32 v14, 0
	v_mov_b32_e32 v15, 0
	s_mov_b32 s10, exec_lo
	s_waitcnt vmcnt(0) lgkmcnt(0)
	v_and_b32_e32 v6, 0xff, v129
	s_delay_alu instid0(VALU_DEP_2) | instskip(NEXT) | instid1(VALU_DEP_2)
	v_dual_mov_b32 v4, v14 :: v_dual_mov_b32 v5, v15
	v_cmpx_ne_u16_e32 0, v6
	s_cbranch_execz .LBB233_767
; %bb.760:                              ;   in Loop: Header=BB233_520 Depth=1
	v_bfrev_b32_e32 v4, 1
	v_mov_b32_e32 v5, 0
	s_mov_b32 s13, exec_lo
	v_cmpx_ne_u16_e32 0x80, v6
	s_cbranch_execz .LBB233_766
; %bb.761:                              ;   in Loop: Header=BB233_520 Depth=1
	v_mov_b32_e32 v4, 0x7f800001
	v_dual_mov_b32 v5, 0 :: v_dual_and_b32 v16, 0x7f, v129
	s_mov_b32 s15, exec_lo
	s_delay_alu instid0(VALU_DEP_1)
	v_cmpx_ne_u32_e32 0x7f, v16
	s_cbranch_execz .LBB233_765
; %bb.762:                              ;   in Loop: Header=BB233_520 Depth=1
	v_and_b32_e32 v6, 7, v129
	v_lshrrev_b32_e32 v4, 3, v16
	s_mov_b32 s16, exec_lo
	v_cmpx_gt_u32_e32 8, v16
; %bb.763:                              ;   in Loop: Header=BB233_520 Depth=1
	s_delay_alu instid0(VALU_DEP_3) | instskip(NEXT) | instid1(VALU_DEP_1)
	v_clz_i32_u32_e32 v4, v6
	v_min_u32_e32 v4, 32, v4
	s_delay_alu instid0(VALU_DEP_1) | instskip(SKIP_1) | instid1(VALU_DEP_2)
	v_subrev_nc_u32_e32 v5, 28, v4
	v_sub_nc_u32_e32 v4, 29, v4
	v_lshlrev_b64 v[5:6], v5, v[6:7]
	s_delay_alu instid0(VALU_DEP_1)
	v_and_b32_e32 v6, 7, v5
; %bb.764:                              ;   in Loop: Header=BB233_520 Depth=1
	s_or_b32 exec_lo, exec_lo, s16
	v_lshlrev_b32_e32 v5, 24, v129
	s_delay_alu instid0(VALU_DEP_2) | instskip(SKIP_1) | instid1(VALU_DEP_3)
	v_lshlrev_b32_e32 v6, 20, v6
	v_lshl_add_u32 v4, v4, 23, 0x3c000000
	v_and_b32_e32 v5, 0x80000000, v5
	s_delay_alu instid0(VALU_DEP_1) | instskip(NEXT) | instid1(VALU_DEP_1)
	v_or3_b32 v6, v6, v5, v4
	v_dual_mov_b32 v4, v6 :: v_dual_mov_b32 v5, v7
.LBB233_765:                            ;   in Loop: Header=BB233_520 Depth=1
	s_or_b32 exec_lo, exec_lo, s15
.LBB233_766:                            ;   in Loop: Header=BB233_520 Depth=1
	s_delay_alu instid0(SALU_CYCLE_1)
	s_or_b32 exec_lo, exec_lo, s13
.LBB233_767:                            ;   in Loop: Header=BB233_520 Depth=1
	s_delay_alu instid0(SALU_CYCLE_1) | instskip(SKIP_2) | instid1(VALU_DEP_1)
	s_or_b32 exec_lo, exec_lo, s10
	v_lshrrev_b16 v6, 8, v129
	s_mov_b32 s13, exec_lo
	v_cmpx_ne_u16_e32 0, v6
	s_cbranch_execz .LBB233_775
; %bb.768:                              ;   in Loop: Header=BB233_520 Depth=1
	v_dual_mov_b32 v15, s9 :: v_dual_mov_b32 v14, s8
	s_mov_b32 s15, exec_lo
	v_cmpx_ne_u16_e32 0x80, v6
	s_cbranch_execz .LBB233_774
; %bb.769:                              ;   in Loop: Header=BB233_520 Depth=1
	s_mov_b32 s10, s8
	v_dual_mov_b32 v15, s11 :: v_dual_and_b32 v6, 0xffff, v6
	v_mov_b32_e32 v14, s10
	s_mov_b32 s10, exec_lo
	s_delay_alu instid0(VALU_DEP_2) | instskip(NEXT) | instid1(VALU_DEP_1)
	v_and_b32_e32 v16, 0x7f, v6
	v_cmpx_ne_u32_e32 0x7f, v16
	s_cbranch_execz .LBB233_773
; %bb.770:                              ;   in Loop: Header=BB233_520 Depth=1
	v_and_b32_e32 v6, 7, v6
	v_lshrrev_b32_e32 v14, 3, v16
	s_mov_b32 s16, exec_lo
	v_cmpx_gt_u32_e32 8, v16
; %bb.771:                              ;   in Loop: Header=BB233_520 Depth=1
	s_delay_alu instid0(VALU_DEP_3) | instskip(NEXT) | instid1(VALU_DEP_1)
	v_clz_i32_u32_e32 v14, v6
	v_min_u32_e32 v14, 32, v14
	s_delay_alu instid0(VALU_DEP_1) | instskip(SKIP_1) | instid1(VALU_DEP_2)
	v_subrev_nc_u32_e32 v15, 28, v14
	v_sub_nc_u32_e32 v14, 29, v14
	v_lshlrev_b64 v[15:16], v15, v[6:7]
	s_delay_alu instid0(VALU_DEP_1)
	v_and_b32_e32 v6, 7, v15
; %bb.772:                              ;   in Loop: Header=BB233_520 Depth=1
	s_or_b32 exec_lo, exec_lo, s16
	v_lshlrev_b32_e32 v15, 16, v129
	s_delay_alu instid0(VALU_DEP_2) | instskip(SKIP_1) | instid1(VALU_DEP_3)
	v_lshlrev_b32_e32 v6, 20, v6
	v_lshl_add_u32 v14, v14, 23, 0x3c000000
	v_and_b32_e32 v15, 0x80000000, v15
	s_delay_alu instid0(VALU_DEP_1)
	v_or3_b32 v15, v6, v15, v14
	v_mov_b32_e32 v14, v7
.LBB233_773:                            ;   in Loop: Header=BB233_520 Depth=1
	s_or_b32 exec_lo, exec_lo, s10
.LBB233_774:                            ;   in Loop: Header=BB233_520 Depth=1
	s_delay_alu instid0(SALU_CYCLE_1)
	s_or_b32 exec_lo, exec_lo, s15
.LBB233_775:                            ;   in Loop: Header=BB233_520 Depth=1
	s_delay_alu instid0(SALU_CYCLE_1) | instskip(SKIP_4) | instid1(VALU_DEP_2)
	s_or_b32 exec_lo, exec_lo, s13
	v_mov_b32_e32 v18, 0
	v_lshrrev_b32_e32 v130, 16, v129
	v_mov_b32_e32 v19, 0
	s_mov_b32 s10, exec_lo
	v_and_b32_e32 v6, 0xff, v130
	s_delay_alu instid0(VALU_DEP_2) | instskip(NEXT) | instid1(VALU_DEP_2)
	v_dual_mov_b32 v16, v18 :: v_dual_mov_b32 v17, v19
	v_cmpx_ne_u16_e32 0, v6
	s_cbranch_execz .LBB233_783
; %bb.776:                              ;   in Loop: Header=BB233_520 Depth=1
	v_bfrev_b32_e32 v16, 1
	v_mov_b32_e32 v17, 0
	s_mov_b32 s13, exec_lo
	v_cmpx_ne_u16_e32 0x80, v6
	s_cbranch_execz .LBB233_782
; %bb.777:                              ;   in Loop: Header=BB233_520 Depth=1
	v_mov_b32_e32 v16, 0x7f800001
	v_bfe_u32 v131, v129, 16, 7
	v_mov_b32_e32 v17, 0
	s_mov_b32 s15, exec_lo
	s_delay_alu instid0(VALU_DEP_2)
	v_cmpx_ne_u32_e32 0x7f, v131
	s_cbranch_execz .LBB233_781
; %bb.778:                              ;   in Loop: Header=BB233_520 Depth=1
	v_and_b32_e32 v6, 7, v130
	v_lshrrev_b32_e32 v16, 3, v131
	s_mov_b32 s16, exec_lo
	v_cmpx_gt_u32_e32 8, v131
; %bb.779:                              ;   in Loop: Header=BB233_520 Depth=1
	s_delay_alu instid0(VALU_DEP_3) | instskip(NEXT) | instid1(VALU_DEP_1)
	v_clz_i32_u32_e32 v16, v6
	v_min_u32_e32 v16, 32, v16
	s_delay_alu instid0(VALU_DEP_1) | instskip(SKIP_1) | instid1(VALU_DEP_2)
	v_subrev_nc_u32_e32 v17, 28, v16
	v_sub_nc_u32_e32 v16, 29, v16
	v_lshlrev_b64 v[131:132], v17, v[6:7]
	s_delay_alu instid0(VALU_DEP_1)
	v_and_b32_e32 v6, 7, v131
; %bb.780:                              ;   in Loop: Header=BB233_520 Depth=1
	s_or_b32 exec_lo, exec_lo, s16
	v_lshlrev_b32_e32 v17, 24, v130
	s_delay_alu instid0(VALU_DEP_2) | instskip(SKIP_1) | instid1(VALU_DEP_3)
	v_lshlrev_b32_e32 v6, 20, v6
	v_lshl_add_u32 v16, v16, 23, 0x3c000000
	v_and_b32_e32 v17, 0x80000000, v17
	s_delay_alu instid0(VALU_DEP_1) | instskip(NEXT) | instid1(VALU_DEP_1)
	v_or3_b32 v6, v6, v17, v16
	v_dual_mov_b32 v17, v7 :: v_dual_mov_b32 v16, v6
.LBB233_781:                            ;   in Loop: Header=BB233_520 Depth=1
	s_or_b32 exec_lo, exec_lo, s15
.LBB233_782:                            ;   in Loop: Header=BB233_520 Depth=1
	s_delay_alu instid0(SALU_CYCLE_1)
	s_or_b32 exec_lo, exec_lo, s13
.LBB233_783:                            ;   in Loop: Header=BB233_520 Depth=1
	s_delay_alu instid0(SALU_CYCLE_1) | instskip(NEXT) | instid1(SALU_CYCLE_1)
	s_or_b32 exec_lo, exec_lo, s10
	s_mov_b32 s13, exec_lo
	v_cmpx_lt_u32_e32 0xffffff, v129
	s_cbranch_execz .LBB233_791
; %bb.784:                              ;   in Loop: Header=BB233_520 Depth=1
	v_lshrrev_b32_e32 v130, 24, v129
	v_dual_mov_b32 v19, s9 :: v_dual_mov_b32 v18, s8
	s_mov_b32 s15, exec_lo
	s_delay_alu instid0(VALU_DEP_2)
	v_cmpx_ne_u32_e32 0x80, v130
	s_cbranch_execz .LBB233_790
; %bb.785:                              ;   in Loop: Header=BB233_520 Depth=1
	s_mov_b32 s10, s8
	v_bfe_u32 v129, v129, 24, 7
	v_dual_mov_b32 v19, s11 :: v_dual_mov_b32 v18, s10
	s_mov_b32 s10, exec_lo
	s_delay_alu instid0(VALU_DEP_2)
	v_cmpx_ne_u32_e32 0x7f, v129
	s_cbranch_execz .LBB233_789
; %bb.786:                              ;   in Loop: Header=BB233_520 Depth=1
	v_and_b32_e32 v6, 7, v130
	v_lshrrev_b32_e32 v18, 3, v129
	s_mov_b32 s16, exec_lo
	v_cmpx_gt_u32_e32 8, v129
; %bb.787:                              ;   in Loop: Header=BB233_520 Depth=1
	s_delay_alu instid0(VALU_DEP_3) | instskip(NEXT) | instid1(VALU_DEP_1)
	v_clz_i32_u32_e32 v18, v6
	v_min_u32_e32 v18, 32, v18
	s_delay_alu instid0(VALU_DEP_1) | instskip(SKIP_1) | instid1(VALU_DEP_2)
	v_subrev_nc_u32_e32 v19, 28, v18
	v_sub_nc_u32_e32 v18, 29, v18
	v_lshlrev_b64 v[131:132], v19, v[6:7]
	s_delay_alu instid0(VALU_DEP_1)
	v_and_b32_e32 v6, 7, v131
; %bb.788:                              ;   in Loop: Header=BB233_520 Depth=1
	s_or_b32 exec_lo, exec_lo, s16
	v_lshlrev_b32_e32 v19, 24, v130
	s_delay_alu instid0(VALU_DEP_2) | instskip(SKIP_1) | instid1(VALU_DEP_3)
	v_lshlrev_b32_e32 v6, 20, v6
	v_lshl_add_u32 v18, v18, 23, 0x3c000000
	v_and_b32_e32 v19, 0x80000000, v19
	s_delay_alu instid0(VALU_DEP_1)
	v_or3_b32 v19, v6, v19, v18
	v_mov_b32_e32 v18, v7
.LBB233_789:                            ;   in Loop: Header=BB233_520 Depth=1
	s_or_b32 exec_lo, exec_lo, s10
.LBB233_790:                            ;   in Loop: Header=BB233_520 Depth=1
	s_delay_alu instid0(SALU_CYCLE_1)
	s_or_b32 exec_lo, exec_lo, s15
.LBB233_791:                            ;   in Loop: Header=BB233_520 Depth=1
	s_delay_alu instid0(SALU_CYCLE_1) | instskip(SKIP_4) | instid1(VALU_DEP_4)
	s_or_b32 exec_lo, exec_lo, s13
	v_or_b32_e32 v5, v15, v5
	v_or_b32_e32 v4, v14, v4
	;; [unrolled: 1-line block ×4, first 2 shown]
	v_mul_f32_e32 v132, v26, v5
	s_delay_alu instid0(VALU_DEP_4) | instskip(NEXT) | instid1(VALU_DEP_4)
	v_mul_f32_e32 v131, v26, v4
	v_mul_f32_e32 v129, v26, v6
	s_delay_alu instid0(VALU_DEP_4)
	v_mul_f32_e32 v130, v26, v14
	s_and_saveexec_b32 s10, vcc_lo
; %bb.792:                              ;   in Loop: Header=BB233_520 Depth=1
	v_cmp_lt_i32_e64 s0, v68, v24
	s_delay_alu instid0(VALU_DEP_1) | instskip(SKIP_1) | instid1(VALU_DEP_1)
	v_cndmask_b32_e64 v131, 0, v131, s0
	v_cmp_lt_i32_e64 s0, v71, v24
	v_cndmask_b32_e64 v132, 0, v132, s0
	v_cmp_lt_i32_e64 s0, v70, v24
	s_delay_alu instid0(VALU_DEP_1) | instskip(SKIP_1) | instid1(VALU_DEP_1)
	v_cndmask_b32_e64 v130, 0, v130, s0
	v_cmp_lt_i32_e64 s0, v69, v24
	v_cndmask_b32_e64 v129, 0, v129, s0
; %bb.793:                              ;   in Loop: Header=BB233_520 Depth=1
	s_or_b32 exec_lo, exec_lo, s10
	flat_load_b32 v133, v[12:13] offset:1024
	v_mov_b32_e32 v14, 0
	v_mov_b32_e32 v15, 0
	s_mov_b32 s10, exec_lo
	s_waitcnt vmcnt(0) lgkmcnt(0)
	v_and_b32_e32 v6, 0xff, v133
	s_delay_alu instid0(VALU_DEP_2) | instskip(NEXT) | instid1(VALU_DEP_2)
	v_dual_mov_b32 v4, v14 :: v_dual_mov_b32 v5, v15
	v_cmpx_ne_u16_e32 0, v6
	s_cbranch_execz .LBB233_801
; %bb.794:                              ;   in Loop: Header=BB233_520 Depth=1
	v_bfrev_b32_e32 v4, 1
	v_mov_b32_e32 v5, 0
	s_mov_b32 s13, exec_lo
	v_cmpx_ne_u16_e32 0x80, v6
	s_cbranch_execz .LBB233_800
; %bb.795:                              ;   in Loop: Header=BB233_520 Depth=1
	v_mov_b32_e32 v4, 0x7f800001
	v_dual_mov_b32 v5, 0 :: v_dual_and_b32 v16, 0x7f, v133
	s_mov_b32 s15, exec_lo
	s_delay_alu instid0(VALU_DEP_1)
	v_cmpx_ne_u32_e32 0x7f, v16
	s_cbranch_execz .LBB233_799
; %bb.796:                              ;   in Loop: Header=BB233_520 Depth=1
	v_and_b32_e32 v6, 7, v133
	v_lshrrev_b32_e32 v4, 3, v16
	s_mov_b32 s16, exec_lo
	v_cmpx_gt_u32_e32 8, v16
; %bb.797:                              ;   in Loop: Header=BB233_520 Depth=1
	s_delay_alu instid0(VALU_DEP_3) | instskip(NEXT) | instid1(VALU_DEP_1)
	v_clz_i32_u32_e32 v4, v6
	v_min_u32_e32 v4, 32, v4
	s_delay_alu instid0(VALU_DEP_1) | instskip(SKIP_1) | instid1(VALU_DEP_2)
	v_subrev_nc_u32_e32 v5, 28, v4
	v_sub_nc_u32_e32 v4, 29, v4
	v_lshlrev_b64 v[5:6], v5, v[6:7]
	s_delay_alu instid0(VALU_DEP_1)
	v_and_b32_e32 v6, 7, v5
; %bb.798:                              ;   in Loop: Header=BB233_520 Depth=1
	s_or_b32 exec_lo, exec_lo, s16
	v_lshlrev_b32_e32 v5, 24, v133
	s_delay_alu instid0(VALU_DEP_2) | instskip(SKIP_1) | instid1(VALU_DEP_3)
	v_lshlrev_b32_e32 v6, 20, v6
	v_lshl_add_u32 v4, v4, 23, 0x3c000000
	v_and_b32_e32 v5, 0x80000000, v5
	s_delay_alu instid0(VALU_DEP_1) | instskip(NEXT) | instid1(VALU_DEP_1)
	v_or3_b32 v6, v6, v5, v4
	v_dual_mov_b32 v4, v6 :: v_dual_mov_b32 v5, v7
.LBB233_799:                            ;   in Loop: Header=BB233_520 Depth=1
	s_or_b32 exec_lo, exec_lo, s15
.LBB233_800:                            ;   in Loop: Header=BB233_520 Depth=1
	s_delay_alu instid0(SALU_CYCLE_1)
	s_or_b32 exec_lo, exec_lo, s13
.LBB233_801:                            ;   in Loop: Header=BB233_520 Depth=1
	s_delay_alu instid0(SALU_CYCLE_1) | instskip(SKIP_2) | instid1(VALU_DEP_1)
	s_or_b32 exec_lo, exec_lo, s10
	v_lshrrev_b16 v6, 8, v133
	s_mov_b32 s13, exec_lo
	v_cmpx_ne_u16_e32 0, v6
	s_cbranch_execz .LBB233_809
; %bb.802:                              ;   in Loop: Header=BB233_520 Depth=1
	v_dual_mov_b32 v15, s9 :: v_dual_mov_b32 v14, s8
	s_mov_b32 s15, exec_lo
	v_cmpx_ne_u16_e32 0x80, v6
	s_cbranch_execz .LBB233_808
; %bb.803:                              ;   in Loop: Header=BB233_520 Depth=1
	s_mov_b32 s10, s8
	v_dual_mov_b32 v15, s11 :: v_dual_and_b32 v6, 0xffff, v6
	v_mov_b32_e32 v14, s10
	s_mov_b32 s10, exec_lo
	s_delay_alu instid0(VALU_DEP_2) | instskip(NEXT) | instid1(VALU_DEP_1)
	v_and_b32_e32 v16, 0x7f, v6
	v_cmpx_ne_u32_e32 0x7f, v16
	s_cbranch_execz .LBB233_807
; %bb.804:                              ;   in Loop: Header=BB233_520 Depth=1
	v_and_b32_e32 v6, 7, v6
	v_lshrrev_b32_e32 v14, 3, v16
	s_mov_b32 s16, exec_lo
	v_cmpx_gt_u32_e32 8, v16
; %bb.805:                              ;   in Loop: Header=BB233_520 Depth=1
	s_delay_alu instid0(VALU_DEP_3) | instskip(NEXT) | instid1(VALU_DEP_1)
	v_clz_i32_u32_e32 v14, v6
	v_min_u32_e32 v14, 32, v14
	s_delay_alu instid0(VALU_DEP_1) | instskip(SKIP_1) | instid1(VALU_DEP_2)
	v_subrev_nc_u32_e32 v15, 28, v14
	v_sub_nc_u32_e32 v14, 29, v14
	v_lshlrev_b64 v[15:16], v15, v[6:7]
	s_delay_alu instid0(VALU_DEP_1)
	v_and_b32_e32 v6, 7, v15
; %bb.806:                              ;   in Loop: Header=BB233_520 Depth=1
	s_or_b32 exec_lo, exec_lo, s16
	v_lshlrev_b32_e32 v15, 16, v133
	s_delay_alu instid0(VALU_DEP_2) | instskip(SKIP_1) | instid1(VALU_DEP_3)
	v_lshlrev_b32_e32 v6, 20, v6
	v_lshl_add_u32 v14, v14, 23, 0x3c000000
	v_and_b32_e32 v15, 0x80000000, v15
	s_delay_alu instid0(VALU_DEP_1)
	v_or3_b32 v15, v6, v15, v14
	v_mov_b32_e32 v14, v7
.LBB233_807:                            ;   in Loop: Header=BB233_520 Depth=1
	s_or_b32 exec_lo, exec_lo, s10
.LBB233_808:                            ;   in Loop: Header=BB233_520 Depth=1
	s_delay_alu instid0(SALU_CYCLE_1)
	s_or_b32 exec_lo, exec_lo, s15
.LBB233_809:                            ;   in Loop: Header=BB233_520 Depth=1
	s_delay_alu instid0(SALU_CYCLE_1) | instskip(SKIP_4) | instid1(VALU_DEP_2)
	s_or_b32 exec_lo, exec_lo, s13
	v_mov_b32_e32 v18, 0
	v_lshrrev_b32_e32 v134, 16, v133
	v_mov_b32_e32 v19, 0
	s_mov_b32 s10, exec_lo
	v_and_b32_e32 v6, 0xff, v134
	s_delay_alu instid0(VALU_DEP_2) | instskip(NEXT) | instid1(VALU_DEP_2)
	v_dual_mov_b32 v16, v18 :: v_dual_mov_b32 v17, v19
	v_cmpx_ne_u16_e32 0, v6
	s_cbranch_execz .LBB233_817
; %bb.810:                              ;   in Loop: Header=BB233_520 Depth=1
	v_bfrev_b32_e32 v16, 1
	v_mov_b32_e32 v17, 0
	s_mov_b32 s13, exec_lo
	v_cmpx_ne_u16_e32 0x80, v6
	s_cbranch_execz .LBB233_816
; %bb.811:                              ;   in Loop: Header=BB233_520 Depth=1
	v_mov_b32_e32 v16, 0x7f800001
	v_bfe_u32 v135, v133, 16, 7
	v_mov_b32_e32 v17, 0
	s_mov_b32 s15, exec_lo
	s_delay_alu instid0(VALU_DEP_2)
	v_cmpx_ne_u32_e32 0x7f, v135
	s_cbranch_execz .LBB233_815
; %bb.812:                              ;   in Loop: Header=BB233_520 Depth=1
	v_and_b32_e32 v6, 7, v134
	v_lshrrev_b32_e32 v16, 3, v135
	s_mov_b32 s16, exec_lo
	v_cmpx_gt_u32_e32 8, v135
; %bb.813:                              ;   in Loop: Header=BB233_520 Depth=1
	s_delay_alu instid0(VALU_DEP_3) | instskip(NEXT) | instid1(VALU_DEP_1)
	v_clz_i32_u32_e32 v16, v6
	v_min_u32_e32 v16, 32, v16
	s_delay_alu instid0(VALU_DEP_1) | instskip(SKIP_1) | instid1(VALU_DEP_2)
	v_subrev_nc_u32_e32 v17, 28, v16
	v_sub_nc_u32_e32 v16, 29, v16
	v_lshlrev_b64 v[144:145], v17, v[6:7]
	s_delay_alu instid0(VALU_DEP_1)
	v_and_b32_e32 v6, 7, v144
; %bb.814:                              ;   in Loop: Header=BB233_520 Depth=1
	s_or_b32 exec_lo, exec_lo, s16
	v_lshlrev_b32_e32 v17, 24, v134
	s_delay_alu instid0(VALU_DEP_2) | instskip(SKIP_1) | instid1(VALU_DEP_3)
	v_lshlrev_b32_e32 v6, 20, v6
	v_lshl_add_u32 v16, v16, 23, 0x3c000000
	v_and_b32_e32 v17, 0x80000000, v17
	s_delay_alu instid0(VALU_DEP_1) | instskip(NEXT) | instid1(VALU_DEP_1)
	v_or3_b32 v6, v6, v17, v16
	v_dual_mov_b32 v17, v7 :: v_dual_mov_b32 v16, v6
.LBB233_815:                            ;   in Loop: Header=BB233_520 Depth=1
	s_or_b32 exec_lo, exec_lo, s15
.LBB233_816:                            ;   in Loop: Header=BB233_520 Depth=1
	s_delay_alu instid0(SALU_CYCLE_1)
	s_or_b32 exec_lo, exec_lo, s13
.LBB233_817:                            ;   in Loop: Header=BB233_520 Depth=1
	s_delay_alu instid0(SALU_CYCLE_1) | instskip(NEXT) | instid1(SALU_CYCLE_1)
	s_or_b32 exec_lo, exec_lo, s10
	s_mov_b32 s13, exec_lo
	v_cmpx_lt_u32_e32 0xffffff, v133
	s_cbranch_execz .LBB233_825
; %bb.818:                              ;   in Loop: Header=BB233_520 Depth=1
	v_lshrrev_b32_e32 v134, 24, v133
	v_dual_mov_b32 v19, s9 :: v_dual_mov_b32 v18, s8
	s_mov_b32 s15, exec_lo
	s_delay_alu instid0(VALU_DEP_2)
	v_cmpx_ne_u32_e32 0x80, v134
	s_cbranch_execz .LBB233_824
; %bb.819:                              ;   in Loop: Header=BB233_520 Depth=1
	s_mov_b32 s10, s8
	v_bfe_u32 v133, v133, 24, 7
	v_dual_mov_b32 v19, s11 :: v_dual_mov_b32 v18, s10
	s_mov_b32 s10, exec_lo
	s_delay_alu instid0(VALU_DEP_2)
	v_cmpx_ne_u32_e32 0x7f, v133
	s_cbranch_execz .LBB233_823
; %bb.820:                              ;   in Loop: Header=BB233_520 Depth=1
	v_and_b32_e32 v6, 7, v134
	v_lshrrev_b32_e32 v18, 3, v133
	s_mov_b32 s16, exec_lo
	v_cmpx_gt_u32_e32 8, v133
; %bb.821:                              ;   in Loop: Header=BB233_520 Depth=1
	s_delay_alu instid0(VALU_DEP_3) | instskip(NEXT) | instid1(VALU_DEP_1)
	v_clz_i32_u32_e32 v18, v6
	v_min_u32_e32 v18, 32, v18
	s_delay_alu instid0(VALU_DEP_1) | instskip(SKIP_1) | instid1(VALU_DEP_2)
	v_subrev_nc_u32_e32 v19, 28, v18
	v_sub_nc_u32_e32 v18, 29, v18
	v_lshlrev_b64 v[144:145], v19, v[6:7]
	s_delay_alu instid0(VALU_DEP_1)
	v_and_b32_e32 v6, 7, v144
; %bb.822:                              ;   in Loop: Header=BB233_520 Depth=1
	s_or_b32 exec_lo, exec_lo, s16
	v_lshlrev_b32_e32 v19, 24, v134
	s_delay_alu instid0(VALU_DEP_2) | instskip(SKIP_1) | instid1(VALU_DEP_3)
	v_lshlrev_b32_e32 v6, 20, v6
	v_lshl_add_u32 v18, v18, 23, 0x3c000000
	v_and_b32_e32 v19, 0x80000000, v19
	s_delay_alu instid0(VALU_DEP_1)
	v_or3_b32 v19, v6, v19, v18
	v_mov_b32_e32 v18, v7
.LBB233_823:                            ;   in Loop: Header=BB233_520 Depth=1
	s_or_b32 exec_lo, exec_lo, s10
.LBB233_824:                            ;   in Loop: Header=BB233_520 Depth=1
	s_delay_alu instid0(SALU_CYCLE_1)
	s_or_b32 exec_lo, exec_lo, s15
.LBB233_825:                            ;   in Loop: Header=BB233_520 Depth=1
	s_delay_alu instid0(SALU_CYCLE_1) | instskip(SKIP_4) | instid1(VALU_DEP_4)
	s_or_b32 exec_lo, exec_lo, s13
	v_or_b32_e32 v5, v15, v5
	v_or_b32_e32 v4, v14, v4
	;; [unrolled: 1-line block ×4, first 2 shown]
	v_mul_f32_e32 v144, v26, v5
	s_delay_alu instid0(VALU_DEP_4) | instskip(NEXT) | instid1(VALU_DEP_4)
	v_mul_f32_e32 v135, v26, v4
	v_mul_f32_e32 v133, v26, v6
	s_delay_alu instid0(VALU_DEP_4)
	v_mul_f32_e32 v134, v26, v14
	s_and_saveexec_b32 s10, vcc_lo
; %bb.826:                              ;   in Loop: Header=BB233_520 Depth=1
	v_cmp_lt_i32_e64 s0, v68, v24
	s_delay_alu instid0(VALU_DEP_1) | instskip(SKIP_1) | instid1(VALU_DEP_1)
	v_cndmask_b32_e64 v135, 0, v135, s0
	v_cmp_lt_i32_e64 s0, v71, v24
	v_cndmask_b32_e64 v144, 0, v144, s0
	v_cmp_lt_i32_e64 s0, v70, v24
	s_delay_alu instid0(VALU_DEP_1) | instskip(SKIP_1) | instid1(VALU_DEP_1)
	v_cndmask_b32_e64 v134, 0, v134, s0
	v_cmp_lt_i32_e64 s0, v69, v24
	v_cndmask_b32_e64 v133, 0, v133, s0
; %bb.827:                              ;   in Loop: Header=BB233_520 Depth=1
	s_or_b32 exec_lo, exec_lo, s10
	flat_load_b32 v145, v[12:13] offset:1152
	v_mov_b32_e32 v14, 0
	v_mov_b32_e32 v15, 0
	s_mov_b32 s10, exec_lo
	s_waitcnt vmcnt(0) lgkmcnt(0)
	v_and_b32_e32 v6, 0xff, v145
	s_delay_alu instid0(VALU_DEP_2) | instskip(NEXT) | instid1(VALU_DEP_2)
	v_dual_mov_b32 v4, v14 :: v_dual_mov_b32 v5, v15
	v_cmpx_ne_u16_e32 0, v6
	s_cbranch_execz .LBB233_835
; %bb.828:                              ;   in Loop: Header=BB233_520 Depth=1
	v_bfrev_b32_e32 v4, 1
	v_mov_b32_e32 v5, 0
	s_mov_b32 s13, exec_lo
	v_cmpx_ne_u16_e32 0x80, v6
	s_cbranch_execz .LBB233_834
; %bb.829:                              ;   in Loop: Header=BB233_520 Depth=1
	v_mov_b32_e32 v4, 0x7f800001
	v_dual_mov_b32 v5, 0 :: v_dual_and_b32 v16, 0x7f, v145
	s_mov_b32 s15, exec_lo
	s_delay_alu instid0(VALU_DEP_1)
	v_cmpx_ne_u32_e32 0x7f, v16
	s_cbranch_execz .LBB233_833
; %bb.830:                              ;   in Loop: Header=BB233_520 Depth=1
	v_and_b32_e32 v6, 7, v145
	v_lshrrev_b32_e32 v4, 3, v16
	s_mov_b32 s16, exec_lo
	v_cmpx_gt_u32_e32 8, v16
; %bb.831:                              ;   in Loop: Header=BB233_520 Depth=1
	s_delay_alu instid0(VALU_DEP_3) | instskip(NEXT) | instid1(VALU_DEP_1)
	v_clz_i32_u32_e32 v4, v6
	v_min_u32_e32 v4, 32, v4
	s_delay_alu instid0(VALU_DEP_1) | instskip(SKIP_1) | instid1(VALU_DEP_2)
	v_subrev_nc_u32_e32 v5, 28, v4
	v_sub_nc_u32_e32 v4, 29, v4
	v_lshlrev_b64 v[5:6], v5, v[6:7]
	s_delay_alu instid0(VALU_DEP_1)
	v_and_b32_e32 v6, 7, v5
; %bb.832:                              ;   in Loop: Header=BB233_520 Depth=1
	s_or_b32 exec_lo, exec_lo, s16
	v_lshlrev_b32_e32 v5, 24, v145
	s_delay_alu instid0(VALU_DEP_2) | instskip(SKIP_1) | instid1(VALU_DEP_3)
	v_lshlrev_b32_e32 v6, 20, v6
	v_lshl_add_u32 v4, v4, 23, 0x3c000000
	v_and_b32_e32 v5, 0x80000000, v5
	s_delay_alu instid0(VALU_DEP_1) | instskip(NEXT) | instid1(VALU_DEP_1)
	v_or3_b32 v6, v6, v5, v4
	v_dual_mov_b32 v4, v6 :: v_dual_mov_b32 v5, v7
.LBB233_833:                            ;   in Loop: Header=BB233_520 Depth=1
	s_or_b32 exec_lo, exec_lo, s15
.LBB233_834:                            ;   in Loop: Header=BB233_520 Depth=1
	s_delay_alu instid0(SALU_CYCLE_1)
	s_or_b32 exec_lo, exec_lo, s13
.LBB233_835:                            ;   in Loop: Header=BB233_520 Depth=1
	s_delay_alu instid0(SALU_CYCLE_1) | instskip(SKIP_2) | instid1(VALU_DEP_1)
	s_or_b32 exec_lo, exec_lo, s10
	v_lshrrev_b16 v6, 8, v145
	s_mov_b32 s13, exec_lo
	v_cmpx_ne_u16_e32 0, v6
	s_cbranch_execz .LBB233_843
; %bb.836:                              ;   in Loop: Header=BB233_520 Depth=1
	v_dual_mov_b32 v15, s9 :: v_dual_mov_b32 v14, s8
	s_mov_b32 s15, exec_lo
	v_cmpx_ne_u16_e32 0x80, v6
	s_cbranch_execz .LBB233_842
; %bb.837:                              ;   in Loop: Header=BB233_520 Depth=1
	s_mov_b32 s10, s8
	v_dual_mov_b32 v15, s11 :: v_dual_and_b32 v6, 0xffff, v6
	v_mov_b32_e32 v14, s10
	s_mov_b32 s10, exec_lo
	s_delay_alu instid0(VALU_DEP_2) | instskip(NEXT) | instid1(VALU_DEP_1)
	v_and_b32_e32 v16, 0x7f, v6
	v_cmpx_ne_u32_e32 0x7f, v16
	s_cbranch_execz .LBB233_841
; %bb.838:                              ;   in Loop: Header=BB233_520 Depth=1
	v_and_b32_e32 v6, 7, v6
	v_lshrrev_b32_e32 v14, 3, v16
	s_mov_b32 s16, exec_lo
	v_cmpx_gt_u32_e32 8, v16
; %bb.839:                              ;   in Loop: Header=BB233_520 Depth=1
	s_delay_alu instid0(VALU_DEP_3) | instskip(NEXT) | instid1(VALU_DEP_1)
	v_clz_i32_u32_e32 v14, v6
	v_min_u32_e32 v14, 32, v14
	s_delay_alu instid0(VALU_DEP_1) | instskip(SKIP_1) | instid1(VALU_DEP_2)
	v_subrev_nc_u32_e32 v15, 28, v14
	v_sub_nc_u32_e32 v14, 29, v14
	v_lshlrev_b64 v[15:16], v15, v[6:7]
	s_delay_alu instid0(VALU_DEP_1)
	v_and_b32_e32 v6, 7, v15
; %bb.840:                              ;   in Loop: Header=BB233_520 Depth=1
	s_or_b32 exec_lo, exec_lo, s16
	v_lshlrev_b32_e32 v15, 16, v145
	s_delay_alu instid0(VALU_DEP_2) | instskip(SKIP_1) | instid1(VALU_DEP_3)
	v_lshlrev_b32_e32 v6, 20, v6
	v_lshl_add_u32 v14, v14, 23, 0x3c000000
	v_and_b32_e32 v15, 0x80000000, v15
	s_delay_alu instid0(VALU_DEP_1)
	v_or3_b32 v15, v6, v15, v14
	v_mov_b32_e32 v14, v7
.LBB233_841:                            ;   in Loop: Header=BB233_520 Depth=1
	s_or_b32 exec_lo, exec_lo, s10
.LBB233_842:                            ;   in Loop: Header=BB233_520 Depth=1
	s_delay_alu instid0(SALU_CYCLE_1)
	s_or_b32 exec_lo, exec_lo, s15
.LBB233_843:                            ;   in Loop: Header=BB233_520 Depth=1
	s_delay_alu instid0(SALU_CYCLE_1) | instskip(SKIP_4) | instid1(VALU_DEP_2)
	s_or_b32 exec_lo, exec_lo, s13
	v_mov_b32_e32 v18, 0
	v_lshrrev_b32_e32 v146, 16, v145
	v_mov_b32_e32 v19, 0
	s_mov_b32 s10, exec_lo
	v_and_b32_e32 v6, 0xff, v146
	s_delay_alu instid0(VALU_DEP_2) | instskip(NEXT) | instid1(VALU_DEP_2)
	v_dual_mov_b32 v16, v18 :: v_dual_mov_b32 v17, v19
	v_cmpx_ne_u16_e32 0, v6
	s_cbranch_execz .LBB233_851
; %bb.844:                              ;   in Loop: Header=BB233_520 Depth=1
	v_bfrev_b32_e32 v16, 1
	v_mov_b32_e32 v17, 0
	s_mov_b32 s13, exec_lo
	v_cmpx_ne_u16_e32 0x80, v6
	s_cbranch_execz .LBB233_850
; %bb.845:                              ;   in Loop: Header=BB233_520 Depth=1
	v_mov_b32_e32 v16, 0x7f800001
	v_bfe_u32 v147, v145, 16, 7
	v_mov_b32_e32 v17, 0
	s_mov_b32 s15, exec_lo
	s_delay_alu instid0(VALU_DEP_2)
	v_cmpx_ne_u32_e32 0x7f, v147
	s_cbranch_execz .LBB233_849
; %bb.846:                              ;   in Loop: Header=BB233_520 Depth=1
	v_and_b32_e32 v6, 7, v146
	v_lshrrev_b32_e32 v16, 3, v147
	s_mov_b32 s16, exec_lo
	v_cmpx_gt_u32_e32 8, v147
; %bb.847:                              ;   in Loop: Header=BB233_520 Depth=1
	s_delay_alu instid0(VALU_DEP_3) | instskip(NEXT) | instid1(VALU_DEP_1)
	v_clz_i32_u32_e32 v16, v6
	v_min_u32_e32 v16, 32, v16
	s_delay_alu instid0(VALU_DEP_1) | instskip(SKIP_1) | instid1(VALU_DEP_2)
	v_subrev_nc_u32_e32 v17, 28, v16
	v_sub_nc_u32_e32 v16, 29, v16
	v_lshlrev_b64 v[147:148], v17, v[6:7]
	s_delay_alu instid0(VALU_DEP_1)
	v_and_b32_e32 v6, 7, v147
; %bb.848:                              ;   in Loop: Header=BB233_520 Depth=1
	s_or_b32 exec_lo, exec_lo, s16
	v_lshlrev_b32_e32 v17, 24, v146
	s_delay_alu instid0(VALU_DEP_2) | instskip(SKIP_1) | instid1(VALU_DEP_3)
	v_lshlrev_b32_e32 v6, 20, v6
	v_lshl_add_u32 v16, v16, 23, 0x3c000000
	v_and_b32_e32 v17, 0x80000000, v17
	s_delay_alu instid0(VALU_DEP_1) | instskip(NEXT) | instid1(VALU_DEP_1)
	v_or3_b32 v6, v6, v17, v16
	v_dual_mov_b32 v17, v7 :: v_dual_mov_b32 v16, v6
.LBB233_849:                            ;   in Loop: Header=BB233_520 Depth=1
	s_or_b32 exec_lo, exec_lo, s15
.LBB233_850:                            ;   in Loop: Header=BB233_520 Depth=1
	s_delay_alu instid0(SALU_CYCLE_1)
	s_or_b32 exec_lo, exec_lo, s13
.LBB233_851:                            ;   in Loop: Header=BB233_520 Depth=1
	s_delay_alu instid0(SALU_CYCLE_1) | instskip(NEXT) | instid1(SALU_CYCLE_1)
	s_or_b32 exec_lo, exec_lo, s10
	s_mov_b32 s13, exec_lo
	v_cmpx_lt_u32_e32 0xffffff, v145
	s_cbranch_execz .LBB233_859
; %bb.852:                              ;   in Loop: Header=BB233_520 Depth=1
	v_lshrrev_b32_e32 v146, 24, v145
	v_dual_mov_b32 v19, s9 :: v_dual_mov_b32 v18, s8
	s_mov_b32 s15, exec_lo
	s_delay_alu instid0(VALU_DEP_2)
	v_cmpx_ne_u32_e32 0x80, v146
	s_cbranch_execz .LBB233_858
; %bb.853:                              ;   in Loop: Header=BB233_520 Depth=1
	s_mov_b32 s10, s8
	v_bfe_u32 v145, v145, 24, 7
	v_dual_mov_b32 v19, s11 :: v_dual_mov_b32 v18, s10
	s_mov_b32 s10, exec_lo
	s_delay_alu instid0(VALU_DEP_2)
	v_cmpx_ne_u32_e32 0x7f, v145
	s_cbranch_execz .LBB233_857
; %bb.854:                              ;   in Loop: Header=BB233_520 Depth=1
	v_and_b32_e32 v6, 7, v146
	v_lshrrev_b32_e32 v18, 3, v145
	s_mov_b32 s16, exec_lo
	v_cmpx_gt_u32_e32 8, v145
; %bb.855:                              ;   in Loop: Header=BB233_520 Depth=1
	s_delay_alu instid0(VALU_DEP_3) | instskip(NEXT) | instid1(VALU_DEP_1)
	v_clz_i32_u32_e32 v18, v6
	v_min_u32_e32 v18, 32, v18
	s_delay_alu instid0(VALU_DEP_1) | instskip(SKIP_1) | instid1(VALU_DEP_2)
	v_subrev_nc_u32_e32 v19, 28, v18
	v_sub_nc_u32_e32 v18, 29, v18
	v_lshlrev_b64 v[147:148], v19, v[6:7]
	s_delay_alu instid0(VALU_DEP_1)
	v_and_b32_e32 v6, 7, v147
; %bb.856:                              ;   in Loop: Header=BB233_520 Depth=1
	s_or_b32 exec_lo, exec_lo, s16
	v_lshlrev_b32_e32 v19, 24, v146
	s_delay_alu instid0(VALU_DEP_2) | instskip(SKIP_1) | instid1(VALU_DEP_3)
	v_lshlrev_b32_e32 v6, 20, v6
	v_lshl_add_u32 v18, v18, 23, 0x3c000000
	v_and_b32_e32 v19, 0x80000000, v19
	s_delay_alu instid0(VALU_DEP_1)
	v_or3_b32 v19, v6, v19, v18
	v_mov_b32_e32 v18, v7
.LBB233_857:                            ;   in Loop: Header=BB233_520 Depth=1
	s_or_b32 exec_lo, exec_lo, s10
.LBB233_858:                            ;   in Loop: Header=BB233_520 Depth=1
	s_delay_alu instid0(SALU_CYCLE_1)
	s_or_b32 exec_lo, exec_lo, s15
.LBB233_859:                            ;   in Loop: Header=BB233_520 Depth=1
	s_delay_alu instid0(SALU_CYCLE_1) | instskip(SKIP_4) | instid1(VALU_DEP_4)
	s_or_b32 exec_lo, exec_lo, s13
	v_or_b32_e32 v5, v15, v5
	v_or_b32_e32 v4, v14, v4
	;; [unrolled: 1-line block ×4, first 2 shown]
	v_mul_f32_e32 v148, v26, v5
	s_delay_alu instid0(VALU_DEP_4) | instskip(NEXT) | instid1(VALU_DEP_4)
	v_mul_f32_e32 v147, v26, v4
	v_mul_f32_e32 v145, v26, v6
	s_delay_alu instid0(VALU_DEP_4)
	v_mul_f32_e32 v146, v26, v14
	s_and_saveexec_b32 s10, vcc_lo
; %bb.860:                              ;   in Loop: Header=BB233_520 Depth=1
	v_cmp_lt_i32_e64 s0, v68, v24
	s_delay_alu instid0(VALU_DEP_1) | instskip(SKIP_1) | instid1(VALU_DEP_1)
	v_cndmask_b32_e64 v147, 0, v147, s0
	v_cmp_lt_i32_e64 s0, v71, v24
	v_cndmask_b32_e64 v148, 0, v148, s0
	v_cmp_lt_i32_e64 s0, v70, v24
	s_delay_alu instid0(VALU_DEP_1) | instskip(SKIP_1) | instid1(VALU_DEP_1)
	v_cndmask_b32_e64 v146, 0, v146, s0
	v_cmp_lt_i32_e64 s0, v69, v24
	v_cndmask_b32_e64 v145, 0, v145, s0
; %bb.861:                              ;   in Loop: Header=BB233_520 Depth=1
	s_or_b32 exec_lo, exec_lo, s10
	flat_load_b32 v149, v[12:13] offset:1280
	v_mov_b32_e32 v14, 0
	v_mov_b32_e32 v15, 0
	s_mov_b32 s10, exec_lo
	s_waitcnt vmcnt(0) lgkmcnt(0)
	v_and_b32_e32 v6, 0xff, v149
	s_delay_alu instid0(VALU_DEP_2) | instskip(NEXT) | instid1(VALU_DEP_2)
	v_dual_mov_b32 v4, v14 :: v_dual_mov_b32 v5, v15
	v_cmpx_ne_u16_e32 0, v6
	s_cbranch_execz .LBB233_869
; %bb.862:                              ;   in Loop: Header=BB233_520 Depth=1
	v_bfrev_b32_e32 v4, 1
	v_mov_b32_e32 v5, 0
	s_mov_b32 s13, exec_lo
	v_cmpx_ne_u16_e32 0x80, v6
	s_cbranch_execz .LBB233_868
; %bb.863:                              ;   in Loop: Header=BB233_520 Depth=1
	v_mov_b32_e32 v4, 0x7f800001
	v_dual_mov_b32 v5, 0 :: v_dual_and_b32 v16, 0x7f, v149
	s_mov_b32 s15, exec_lo
	s_delay_alu instid0(VALU_DEP_1)
	v_cmpx_ne_u32_e32 0x7f, v16
	s_cbranch_execz .LBB233_867
; %bb.864:                              ;   in Loop: Header=BB233_520 Depth=1
	v_and_b32_e32 v6, 7, v149
	v_lshrrev_b32_e32 v4, 3, v16
	s_mov_b32 s16, exec_lo
	v_cmpx_gt_u32_e32 8, v16
; %bb.865:                              ;   in Loop: Header=BB233_520 Depth=1
	s_delay_alu instid0(VALU_DEP_3) | instskip(NEXT) | instid1(VALU_DEP_1)
	v_clz_i32_u32_e32 v4, v6
	v_min_u32_e32 v4, 32, v4
	s_delay_alu instid0(VALU_DEP_1) | instskip(SKIP_1) | instid1(VALU_DEP_2)
	v_subrev_nc_u32_e32 v5, 28, v4
	v_sub_nc_u32_e32 v4, 29, v4
	v_lshlrev_b64 v[5:6], v5, v[6:7]
	s_delay_alu instid0(VALU_DEP_1)
	v_and_b32_e32 v6, 7, v5
; %bb.866:                              ;   in Loop: Header=BB233_520 Depth=1
	s_or_b32 exec_lo, exec_lo, s16
	v_lshlrev_b32_e32 v5, 24, v149
	s_delay_alu instid0(VALU_DEP_2) | instskip(SKIP_1) | instid1(VALU_DEP_3)
	v_lshlrev_b32_e32 v6, 20, v6
	v_lshl_add_u32 v4, v4, 23, 0x3c000000
	v_and_b32_e32 v5, 0x80000000, v5
	s_delay_alu instid0(VALU_DEP_1) | instskip(NEXT) | instid1(VALU_DEP_1)
	v_or3_b32 v6, v6, v5, v4
	v_dual_mov_b32 v4, v6 :: v_dual_mov_b32 v5, v7
.LBB233_867:                            ;   in Loop: Header=BB233_520 Depth=1
	s_or_b32 exec_lo, exec_lo, s15
.LBB233_868:                            ;   in Loop: Header=BB233_520 Depth=1
	s_delay_alu instid0(SALU_CYCLE_1)
	s_or_b32 exec_lo, exec_lo, s13
.LBB233_869:                            ;   in Loop: Header=BB233_520 Depth=1
	s_delay_alu instid0(SALU_CYCLE_1) | instskip(SKIP_2) | instid1(VALU_DEP_1)
	s_or_b32 exec_lo, exec_lo, s10
	v_lshrrev_b16 v6, 8, v149
	s_mov_b32 s13, exec_lo
	v_cmpx_ne_u16_e32 0, v6
	s_cbranch_execz .LBB233_877
; %bb.870:                              ;   in Loop: Header=BB233_520 Depth=1
	v_dual_mov_b32 v15, s9 :: v_dual_mov_b32 v14, s8
	s_mov_b32 s15, exec_lo
	v_cmpx_ne_u16_e32 0x80, v6
	s_cbranch_execz .LBB233_876
; %bb.871:                              ;   in Loop: Header=BB233_520 Depth=1
	s_mov_b32 s10, s8
	v_dual_mov_b32 v15, s11 :: v_dual_and_b32 v6, 0xffff, v6
	v_mov_b32_e32 v14, s10
	s_mov_b32 s10, exec_lo
	s_delay_alu instid0(VALU_DEP_2) | instskip(NEXT) | instid1(VALU_DEP_1)
	v_and_b32_e32 v16, 0x7f, v6
	v_cmpx_ne_u32_e32 0x7f, v16
	s_cbranch_execz .LBB233_875
; %bb.872:                              ;   in Loop: Header=BB233_520 Depth=1
	v_and_b32_e32 v6, 7, v6
	v_lshrrev_b32_e32 v14, 3, v16
	s_mov_b32 s16, exec_lo
	v_cmpx_gt_u32_e32 8, v16
; %bb.873:                              ;   in Loop: Header=BB233_520 Depth=1
	s_delay_alu instid0(VALU_DEP_3) | instskip(NEXT) | instid1(VALU_DEP_1)
	v_clz_i32_u32_e32 v14, v6
	v_min_u32_e32 v14, 32, v14
	s_delay_alu instid0(VALU_DEP_1) | instskip(SKIP_1) | instid1(VALU_DEP_2)
	v_subrev_nc_u32_e32 v15, 28, v14
	v_sub_nc_u32_e32 v14, 29, v14
	v_lshlrev_b64 v[15:16], v15, v[6:7]
	s_delay_alu instid0(VALU_DEP_1)
	v_and_b32_e32 v6, 7, v15
; %bb.874:                              ;   in Loop: Header=BB233_520 Depth=1
	s_or_b32 exec_lo, exec_lo, s16
	v_lshlrev_b32_e32 v15, 16, v149
	s_delay_alu instid0(VALU_DEP_2) | instskip(SKIP_1) | instid1(VALU_DEP_3)
	v_lshlrev_b32_e32 v6, 20, v6
	v_lshl_add_u32 v14, v14, 23, 0x3c000000
	v_and_b32_e32 v15, 0x80000000, v15
	s_delay_alu instid0(VALU_DEP_1)
	v_or3_b32 v15, v6, v15, v14
	v_mov_b32_e32 v14, v7
.LBB233_875:                            ;   in Loop: Header=BB233_520 Depth=1
	s_or_b32 exec_lo, exec_lo, s10
.LBB233_876:                            ;   in Loop: Header=BB233_520 Depth=1
	s_delay_alu instid0(SALU_CYCLE_1)
	s_or_b32 exec_lo, exec_lo, s15
.LBB233_877:                            ;   in Loop: Header=BB233_520 Depth=1
	s_delay_alu instid0(SALU_CYCLE_1) | instskip(SKIP_4) | instid1(VALU_DEP_2)
	s_or_b32 exec_lo, exec_lo, s13
	v_mov_b32_e32 v18, 0
	v_lshrrev_b32_e32 v150, 16, v149
	v_mov_b32_e32 v19, 0
	s_mov_b32 s10, exec_lo
	v_and_b32_e32 v6, 0xff, v150
	s_delay_alu instid0(VALU_DEP_2) | instskip(NEXT) | instid1(VALU_DEP_2)
	v_dual_mov_b32 v16, v18 :: v_dual_mov_b32 v17, v19
	v_cmpx_ne_u16_e32 0, v6
	s_cbranch_execz .LBB233_885
; %bb.878:                              ;   in Loop: Header=BB233_520 Depth=1
	v_bfrev_b32_e32 v16, 1
	v_mov_b32_e32 v17, 0
	s_mov_b32 s13, exec_lo
	v_cmpx_ne_u16_e32 0x80, v6
	s_cbranch_execz .LBB233_884
; %bb.879:                              ;   in Loop: Header=BB233_520 Depth=1
	v_mov_b32_e32 v16, 0x7f800001
	v_bfe_u32 v151, v149, 16, 7
	v_mov_b32_e32 v17, 0
	s_mov_b32 s15, exec_lo
	s_delay_alu instid0(VALU_DEP_2)
	v_cmpx_ne_u32_e32 0x7f, v151
	s_cbranch_execz .LBB233_883
; %bb.880:                              ;   in Loop: Header=BB233_520 Depth=1
	v_and_b32_e32 v6, 7, v150
	v_lshrrev_b32_e32 v16, 3, v151
	s_mov_b32 s16, exec_lo
	v_cmpx_gt_u32_e32 8, v151
; %bb.881:                              ;   in Loop: Header=BB233_520 Depth=1
	s_delay_alu instid0(VALU_DEP_3) | instskip(NEXT) | instid1(VALU_DEP_1)
	v_clz_i32_u32_e32 v16, v6
	v_min_u32_e32 v16, 32, v16
	s_delay_alu instid0(VALU_DEP_1) | instskip(SKIP_1) | instid1(VALU_DEP_2)
	v_subrev_nc_u32_e32 v17, 28, v16
	v_sub_nc_u32_e32 v16, 29, v16
	v_lshlrev_b64 v[160:161], v17, v[6:7]
	s_delay_alu instid0(VALU_DEP_1)
	v_and_b32_e32 v6, 7, v160
; %bb.882:                              ;   in Loop: Header=BB233_520 Depth=1
	s_or_b32 exec_lo, exec_lo, s16
	v_lshlrev_b32_e32 v17, 24, v150
	s_delay_alu instid0(VALU_DEP_2) | instskip(SKIP_1) | instid1(VALU_DEP_3)
	v_lshlrev_b32_e32 v6, 20, v6
	v_lshl_add_u32 v16, v16, 23, 0x3c000000
	v_and_b32_e32 v17, 0x80000000, v17
	s_delay_alu instid0(VALU_DEP_1) | instskip(NEXT) | instid1(VALU_DEP_1)
	v_or3_b32 v6, v6, v17, v16
	v_dual_mov_b32 v17, v7 :: v_dual_mov_b32 v16, v6
.LBB233_883:                            ;   in Loop: Header=BB233_520 Depth=1
	s_or_b32 exec_lo, exec_lo, s15
.LBB233_884:                            ;   in Loop: Header=BB233_520 Depth=1
	s_delay_alu instid0(SALU_CYCLE_1)
	s_or_b32 exec_lo, exec_lo, s13
.LBB233_885:                            ;   in Loop: Header=BB233_520 Depth=1
	s_delay_alu instid0(SALU_CYCLE_1) | instskip(NEXT) | instid1(SALU_CYCLE_1)
	s_or_b32 exec_lo, exec_lo, s10
	s_mov_b32 s13, exec_lo
	v_cmpx_lt_u32_e32 0xffffff, v149
	s_cbranch_execz .LBB233_893
; %bb.886:                              ;   in Loop: Header=BB233_520 Depth=1
	v_lshrrev_b32_e32 v150, 24, v149
	v_dual_mov_b32 v19, s9 :: v_dual_mov_b32 v18, s8
	s_mov_b32 s15, exec_lo
	s_delay_alu instid0(VALU_DEP_2)
	v_cmpx_ne_u32_e32 0x80, v150
	s_cbranch_execz .LBB233_892
; %bb.887:                              ;   in Loop: Header=BB233_520 Depth=1
	s_mov_b32 s10, s8
	v_bfe_u32 v149, v149, 24, 7
	v_dual_mov_b32 v19, s11 :: v_dual_mov_b32 v18, s10
	s_mov_b32 s10, exec_lo
	s_delay_alu instid0(VALU_DEP_2)
	v_cmpx_ne_u32_e32 0x7f, v149
	s_cbranch_execz .LBB233_891
; %bb.888:                              ;   in Loop: Header=BB233_520 Depth=1
	v_and_b32_e32 v6, 7, v150
	v_lshrrev_b32_e32 v18, 3, v149
	s_mov_b32 s16, exec_lo
	v_cmpx_gt_u32_e32 8, v149
; %bb.889:                              ;   in Loop: Header=BB233_520 Depth=1
	s_delay_alu instid0(VALU_DEP_3) | instskip(NEXT) | instid1(VALU_DEP_1)
	v_clz_i32_u32_e32 v18, v6
	v_min_u32_e32 v18, 32, v18
	s_delay_alu instid0(VALU_DEP_1) | instskip(SKIP_1) | instid1(VALU_DEP_2)
	v_subrev_nc_u32_e32 v19, 28, v18
	v_sub_nc_u32_e32 v18, 29, v18
	v_lshlrev_b64 v[160:161], v19, v[6:7]
	s_delay_alu instid0(VALU_DEP_1)
	v_and_b32_e32 v6, 7, v160
; %bb.890:                              ;   in Loop: Header=BB233_520 Depth=1
	s_or_b32 exec_lo, exec_lo, s16
	v_lshlrev_b32_e32 v19, 24, v150
	s_delay_alu instid0(VALU_DEP_2) | instskip(SKIP_1) | instid1(VALU_DEP_3)
	v_lshlrev_b32_e32 v6, 20, v6
	v_lshl_add_u32 v18, v18, 23, 0x3c000000
	v_and_b32_e32 v19, 0x80000000, v19
	s_delay_alu instid0(VALU_DEP_1)
	v_or3_b32 v19, v6, v19, v18
	v_mov_b32_e32 v18, v7
.LBB233_891:                            ;   in Loop: Header=BB233_520 Depth=1
	s_or_b32 exec_lo, exec_lo, s10
.LBB233_892:                            ;   in Loop: Header=BB233_520 Depth=1
	s_delay_alu instid0(SALU_CYCLE_1)
	s_or_b32 exec_lo, exec_lo, s15
.LBB233_893:                            ;   in Loop: Header=BB233_520 Depth=1
	s_delay_alu instid0(SALU_CYCLE_1) | instskip(SKIP_4) | instid1(VALU_DEP_4)
	s_or_b32 exec_lo, exec_lo, s13
	v_or_b32_e32 v5, v15, v5
	v_or_b32_e32 v4, v14, v4
	;; [unrolled: 1-line block ×4, first 2 shown]
	v_mul_f32_e32 v160, v26, v5
	s_delay_alu instid0(VALU_DEP_4) | instskip(NEXT) | instid1(VALU_DEP_4)
	v_mul_f32_e32 v151, v26, v4
	v_mul_f32_e32 v149, v26, v6
	s_delay_alu instid0(VALU_DEP_4)
	v_mul_f32_e32 v150, v26, v14
	s_and_saveexec_b32 s10, vcc_lo
; %bb.894:                              ;   in Loop: Header=BB233_520 Depth=1
	v_cmp_lt_i32_e64 s0, v68, v24
	s_delay_alu instid0(VALU_DEP_1) | instskip(SKIP_1) | instid1(VALU_DEP_1)
	v_cndmask_b32_e64 v151, 0, v151, s0
	v_cmp_lt_i32_e64 s0, v71, v24
	v_cndmask_b32_e64 v160, 0, v160, s0
	v_cmp_lt_i32_e64 s0, v70, v24
	s_delay_alu instid0(VALU_DEP_1) | instskip(SKIP_1) | instid1(VALU_DEP_1)
	v_cndmask_b32_e64 v150, 0, v150, s0
	v_cmp_lt_i32_e64 s0, v69, v24
	v_cndmask_b32_e64 v149, 0, v149, s0
; %bb.895:                              ;   in Loop: Header=BB233_520 Depth=1
	s_or_b32 exec_lo, exec_lo, s10
	flat_load_b32 v161, v[12:13] offset:1408
	v_mov_b32_e32 v14, 0
	v_mov_b32_e32 v15, 0
	s_mov_b32 s10, exec_lo
	s_waitcnt vmcnt(0) lgkmcnt(0)
	v_and_b32_e32 v6, 0xff, v161
	s_delay_alu instid0(VALU_DEP_2) | instskip(NEXT) | instid1(VALU_DEP_2)
	v_dual_mov_b32 v4, v14 :: v_dual_mov_b32 v5, v15
	v_cmpx_ne_u16_e32 0, v6
	s_cbranch_execz .LBB233_903
; %bb.896:                              ;   in Loop: Header=BB233_520 Depth=1
	v_bfrev_b32_e32 v4, 1
	v_mov_b32_e32 v5, 0
	s_mov_b32 s13, exec_lo
	v_cmpx_ne_u16_e32 0x80, v6
	s_cbranch_execz .LBB233_902
; %bb.897:                              ;   in Loop: Header=BB233_520 Depth=1
	v_mov_b32_e32 v4, 0x7f800001
	v_dual_mov_b32 v5, 0 :: v_dual_and_b32 v16, 0x7f, v161
	s_mov_b32 s15, exec_lo
	s_delay_alu instid0(VALU_DEP_1)
	v_cmpx_ne_u32_e32 0x7f, v16
	s_cbranch_execz .LBB233_901
; %bb.898:                              ;   in Loop: Header=BB233_520 Depth=1
	v_and_b32_e32 v6, 7, v161
	v_lshrrev_b32_e32 v4, 3, v16
	s_mov_b32 s16, exec_lo
	v_cmpx_gt_u32_e32 8, v16
; %bb.899:                              ;   in Loop: Header=BB233_520 Depth=1
	s_delay_alu instid0(VALU_DEP_3) | instskip(NEXT) | instid1(VALU_DEP_1)
	v_clz_i32_u32_e32 v4, v6
	v_min_u32_e32 v4, 32, v4
	s_delay_alu instid0(VALU_DEP_1) | instskip(SKIP_1) | instid1(VALU_DEP_2)
	v_subrev_nc_u32_e32 v5, 28, v4
	v_sub_nc_u32_e32 v4, 29, v4
	v_lshlrev_b64 v[5:6], v5, v[6:7]
	s_delay_alu instid0(VALU_DEP_1)
	v_and_b32_e32 v6, 7, v5
; %bb.900:                              ;   in Loop: Header=BB233_520 Depth=1
	s_or_b32 exec_lo, exec_lo, s16
	v_lshlrev_b32_e32 v5, 24, v161
	s_delay_alu instid0(VALU_DEP_2) | instskip(SKIP_1) | instid1(VALU_DEP_3)
	v_lshlrev_b32_e32 v6, 20, v6
	v_lshl_add_u32 v4, v4, 23, 0x3c000000
	v_and_b32_e32 v5, 0x80000000, v5
	s_delay_alu instid0(VALU_DEP_1) | instskip(NEXT) | instid1(VALU_DEP_1)
	v_or3_b32 v6, v6, v5, v4
	v_dual_mov_b32 v4, v6 :: v_dual_mov_b32 v5, v7
.LBB233_901:                            ;   in Loop: Header=BB233_520 Depth=1
	s_or_b32 exec_lo, exec_lo, s15
.LBB233_902:                            ;   in Loop: Header=BB233_520 Depth=1
	s_delay_alu instid0(SALU_CYCLE_1)
	s_or_b32 exec_lo, exec_lo, s13
.LBB233_903:                            ;   in Loop: Header=BB233_520 Depth=1
	s_delay_alu instid0(SALU_CYCLE_1) | instskip(SKIP_2) | instid1(VALU_DEP_1)
	s_or_b32 exec_lo, exec_lo, s10
	v_lshrrev_b16 v6, 8, v161
	s_mov_b32 s13, exec_lo
	v_cmpx_ne_u16_e32 0, v6
	s_cbranch_execz .LBB233_911
; %bb.904:                              ;   in Loop: Header=BB233_520 Depth=1
	v_dual_mov_b32 v15, s9 :: v_dual_mov_b32 v14, s8
	s_mov_b32 s15, exec_lo
	v_cmpx_ne_u16_e32 0x80, v6
	s_cbranch_execz .LBB233_910
; %bb.905:                              ;   in Loop: Header=BB233_520 Depth=1
	s_mov_b32 s10, s8
	v_dual_mov_b32 v15, s11 :: v_dual_and_b32 v6, 0xffff, v6
	v_mov_b32_e32 v14, s10
	s_mov_b32 s10, exec_lo
	s_delay_alu instid0(VALU_DEP_2) | instskip(NEXT) | instid1(VALU_DEP_1)
	v_and_b32_e32 v16, 0x7f, v6
	v_cmpx_ne_u32_e32 0x7f, v16
	s_cbranch_execz .LBB233_909
; %bb.906:                              ;   in Loop: Header=BB233_520 Depth=1
	v_and_b32_e32 v6, 7, v6
	v_lshrrev_b32_e32 v14, 3, v16
	s_mov_b32 s16, exec_lo
	v_cmpx_gt_u32_e32 8, v16
; %bb.907:                              ;   in Loop: Header=BB233_520 Depth=1
	s_delay_alu instid0(VALU_DEP_3) | instskip(NEXT) | instid1(VALU_DEP_1)
	v_clz_i32_u32_e32 v14, v6
	v_min_u32_e32 v14, 32, v14
	s_delay_alu instid0(VALU_DEP_1) | instskip(SKIP_1) | instid1(VALU_DEP_2)
	v_subrev_nc_u32_e32 v15, 28, v14
	v_sub_nc_u32_e32 v14, 29, v14
	v_lshlrev_b64 v[15:16], v15, v[6:7]
	s_delay_alu instid0(VALU_DEP_1)
	v_and_b32_e32 v6, 7, v15
; %bb.908:                              ;   in Loop: Header=BB233_520 Depth=1
	s_or_b32 exec_lo, exec_lo, s16
	v_lshlrev_b32_e32 v15, 16, v161
	s_delay_alu instid0(VALU_DEP_2) | instskip(SKIP_1) | instid1(VALU_DEP_3)
	v_lshlrev_b32_e32 v6, 20, v6
	v_lshl_add_u32 v14, v14, 23, 0x3c000000
	v_and_b32_e32 v15, 0x80000000, v15
	s_delay_alu instid0(VALU_DEP_1)
	v_or3_b32 v15, v6, v15, v14
	v_mov_b32_e32 v14, v7
.LBB233_909:                            ;   in Loop: Header=BB233_520 Depth=1
	s_or_b32 exec_lo, exec_lo, s10
.LBB233_910:                            ;   in Loop: Header=BB233_520 Depth=1
	s_delay_alu instid0(SALU_CYCLE_1)
	s_or_b32 exec_lo, exec_lo, s15
.LBB233_911:                            ;   in Loop: Header=BB233_520 Depth=1
	s_delay_alu instid0(SALU_CYCLE_1) | instskip(SKIP_4) | instid1(VALU_DEP_2)
	s_or_b32 exec_lo, exec_lo, s13
	v_mov_b32_e32 v18, 0
	v_lshrrev_b32_e32 v162, 16, v161
	v_mov_b32_e32 v19, 0
	s_mov_b32 s10, exec_lo
	v_and_b32_e32 v6, 0xff, v162
	s_delay_alu instid0(VALU_DEP_2) | instskip(NEXT) | instid1(VALU_DEP_2)
	v_dual_mov_b32 v16, v18 :: v_dual_mov_b32 v17, v19
	v_cmpx_ne_u16_e32 0, v6
	s_cbranch_execz .LBB233_919
; %bb.912:                              ;   in Loop: Header=BB233_520 Depth=1
	v_bfrev_b32_e32 v16, 1
	v_mov_b32_e32 v17, 0
	s_mov_b32 s13, exec_lo
	v_cmpx_ne_u16_e32 0x80, v6
	s_cbranch_execz .LBB233_918
; %bb.913:                              ;   in Loop: Header=BB233_520 Depth=1
	v_mov_b32_e32 v16, 0x7f800001
	v_bfe_u32 v163, v161, 16, 7
	v_mov_b32_e32 v17, 0
	s_mov_b32 s15, exec_lo
	s_delay_alu instid0(VALU_DEP_2)
	v_cmpx_ne_u32_e32 0x7f, v163
	s_cbranch_execz .LBB233_917
; %bb.914:                              ;   in Loop: Header=BB233_520 Depth=1
	v_and_b32_e32 v6, 7, v162
	v_lshrrev_b32_e32 v16, 3, v163
	s_mov_b32 s16, exec_lo
	v_cmpx_gt_u32_e32 8, v163
; %bb.915:                              ;   in Loop: Header=BB233_520 Depth=1
	s_delay_alu instid0(VALU_DEP_3) | instskip(NEXT) | instid1(VALU_DEP_1)
	v_clz_i32_u32_e32 v16, v6
	v_min_u32_e32 v16, 32, v16
	s_delay_alu instid0(VALU_DEP_1) | instskip(SKIP_1) | instid1(VALU_DEP_2)
	v_subrev_nc_u32_e32 v17, 28, v16
	v_sub_nc_u32_e32 v16, 29, v16
	v_lshlrev_b64 v[163:164], v17, v[6:7]
	s_delay_alu instid0(VALU_DEP_1)
	v_and_b32_e32 v6, 7, v163
; %bb.916:                              ;   in Loop: Header=BB233_520 Depth=1
	s_or_b32 exec_lo, exec_lo, s16
	v_lshlrev_b32_e32 v17, 24, v162
	s_delay_alu instid0(VALU_DEP_2) | instskip(SKIP_1) | instid1(VALU_DEP_3)
	v_lshlrev_b32_e32 v6, 20, v6
	v_lshl_add_u32 v16, v16, 23, 0x3c000000
	v_and_b32_e32 v17, 0x80000000, v17
	s_delay_alu instid0(VALU_DEP_1) | instskip(NEXT) | instid1(VALU_DEP_1)
	v_or3_b32 v6, v6, v17, v16
	v_dual_mov_b32 v17, v7 :: v_dual_mov_b32 v16, v6
.LBB233_917:                            ;   in Loop: Header=BB233_520 Depth=1
	s_or_b32 exec_lo, exec_lo, s15
.LBB233_918:                            ;   in Loop: Header=BB233_520 Depth=1
	s_delay_alu instid0(SALU_CYCLE_1)
	s_or_b32 exec_lo, exec_lo, s13
.LBB233_919:                            ;   in Loop: Header=BB233_520 Depth=1
	s_delay_alu instid0(SALU_CYCLE_1) | instskip(NEXT) | instid1(SALU_CYCLE_1)
	s_or_b32 exec_lo, exec_lo, s10
	s_mov_b32 s13, exec_lo
	v_cmpx_lt_u32_e32 0xffffff, v161
	s_cbranch_execz .LBB233_927
; %bb.920:                              ;   in Loop: Header=BB233_520 Depth=1
	v_lshrrev_b32_e32 v162, 24, v161
	v_dual_mov_b32 v19, s9 :: v_dual_mov_b32 v18, s8
	s_mov_b32 s15, exec_lo
	s_delay_alu instid0(VALU_DEP_2)
	v_cmpx_ne_u32_e32 0x80, v162
	s_cbranch_execz .LBB233_926
; %bb.921:                              ;   in Loop: Header=BB233_520 Depth=1
	s_mov_b32 s10, s8
	v_bfe_u32 v161, v161, 24, 7
	v_dual_mov_b32 v19, s11 :: v_dual_mov_b32 v18, s10
	s_mov_b32 s10, exec_lo
	s_delay_alu instid0(VALU_DEP_2)
	v_cmpx_ne_u32_e32 0x7f, v161
	s_cbranch_execz .LBB233_925
; %bb.922:                              ;   in Loop: Header=BB233_520 Depth=1
	v_and_b32_e32 v6, 7, v162
	v_lshrrev_b32_e32 v18, 3, v161
	s_mov_b32 s16, exec_lo
	v_cmpx_gt_u32_e32 8, v161
; %bb.923:                              ;   in Loop: Header=BB233_520 Depth=1
	s_delay_alu instid0(VALU_DEP_3) | instskip(NEXT) | instid1(VALU_DEP_1)
	v_clz_i32_u32_e32 v18, v6
	v_min_u32_e32 v18, 32, v18
	s_delay_alu instid0(VALU_DEP_1) | instskip(SKIP_1) | instid1(VALU_DEP_2)
	v_subrev_nc_u32_e32 v19, 28, v18
	v_sub_nc_u32_e32 v18, 29, v18
	v_lshlrev_b64 v[163:164], v19, v[6:7]
	s_delay_alu instid0(VALU_DEP_1)
	v_and_b32_e32 v6, 7, v163
; %bb.924:                              ;   in Loop: Header=BB233_520 Depth=1
	s_or_b32 exec_lo, exec_lo, s16
	v_lshlrev_b32_e32 v19, 24, v162
	s_delay_alu instid0(VALU_DEP_2) | instskip(SKIP_1) | instid1(VALU_DEP_3)
	v_lshlrev_b32_e32 v6, 20, v6
	v_lshl_add_u32 v18, v18, 23, 0x3c000000
	v_and_b32_e32 v19, 0x80000000, v19
	s_delay_alu instid0(VALU_DEP_1)
	v_or3_b32 v19, v6, v19, v18
	v_mov_b32_e32 v18, v7
.LBB233_925:                            ;   in Loop: Header=BB233_520 Depth=1
	s_or_b32 exec_lo, exec_lo, s10
.LBB233_926:                            ;   in Loop: Header=BB233_520 Depth=1
	s_delay_alu instid0(SALU_CYCLE_1)
	s_or_b32 exec_lo, exec_lo, s15
.LBB233_927:                            ;   in Loop: Header=BB233_520 Depth=1
	s_delay_alu instid0(SALU_CYCLE_1) | instskip(SKIP_4) | instid1(VALU_DEP_4)
	s_or_b32 exec_lo, exec_lo, s13
	v_or_b32_e32 v5, v15, v5
	v_or_b32_e32 v4, v14, v4
	;; [unrolled: 1-line block ×4, first 2 shown]
	v_mul_f32_e32 v164, v26, v5
	s_delay_alu instid0(VALU_DEP_4) | instskip(NEXT) | instid1(VALU_DEP_4)
	v_mul_f32_e32 v163, v26, v4
	v_mul_f32_e32 v161, v26, v6
	s_delay_alu instid0(VALU_DEP_4)
	v_mul_f32_e32 v162, v26, v14
	s_and_saveexec_b32 s10, vcc_lo
; %bb.928:                              ;   in Loop: Header=BB233_520 Depth=1
	v_cmp_lt_i32_e64 s0, v68, v24
	s_delay_alu instid0(VALU_DEP_1) | instskip(SKIP_1) | instid1(VALU_DEP_1)
	v_cndmask_b32_e64 v163, 0, v163, s0
	v_cmp_lt_i32_e64 s0, v71, v24
	v_cndmask_b32_e64 v164, 0, v164, s0
	v_cmp_lt_i32_e64 s0, v70, v24
	s_delay_alu instid0(VALU_DEP_1) | instskip(SKIP_1) | instid1(VALU_DEP_1)
	v_cndmask_b32_e64 v162, 0, v162, s0
	v_cmp_lt_i32_e64 s0, v69, v24
	v_cndmask_b32_e64 v161, 0, v161, s0
; %bb.929:                              ;   in Loop: Header=BB233_520 Depth=1
	s_or_b32 exec_lo, exec_lo, s10
	flat_load_b32 v165, v[12:13] offset:1536
	v_mov_b32_e32 v14, 0
	v_mov_b32_e32 v15, 0
	s_mov_b32 s10, exec_lo
	s_waitcnt vmcnt(0) lgkmcnt(0)
	v_and_b32_e32 v6, 0xff, v165
	s_delay_alu instid0(VALU_DEP_2) | instskip(NEXT) | instid1(VALU_DEP_2)
	v_dual_mov_b32 v4, v14 :: v_dual_mov_b32 v5, v15
	v_cmpx_ne_u16_e32 0, v6
	s_cbranch_execz .LBB233_937
; %bb.930:                              ;   in Loop: Header=BB233_520 Depth=1
	v_bfrev_b32_e32 v4, 1
	v_mov_b32_e32 v5, 0
	s_mov_b32 s13, exec_lo
	v_cmpx_ne_u16_e32 0x80, v6
	s_cbranch_execz .LBB233_936
; %bb.931:                              ;   in Loop: Header=BB233_520 Depth=1
	v_mov_b32_e32 v4, 0x7f800001
	v_dual_mov_b32 v5, 0 :: v_dual_and_b32 v16, 0x7f, v165
	s_mov_b32 s15, exec_lo
	s_delay_alu instid0(VALU_DEP_1)
	v_cmpx_ne_u32_e32 0x7f, v16
	s_cbranch_execz .LBB233_935
; %bb.932:                              ;   in Loop: Header=BB233_520 Depth=1
	v_and_b32_e32 v6, 7, v165
	v_lshrrev_b32_e32 v4, 3, v16
	s_mov_b32 s16, exec_lo
	v_cmpx_gt_u32_e32 8, v16
; %bb.933:                              ;   in Loop: Header=BB233_520 Depth=1
	s_delay_alu instid0(VALU_DEP_3) | instskip(NEXT) | instid1(VALU_DEP_1)
	v_clz_i32_u32_e32 v4, v6
	v_min_u32_e32 v4, 32, v4
	s_delay_alu instid0(VALU_DEP_1) | instskip(SKIP_1) | instid1(VALU_DEP_2)
	v_subrev_nc_u32_e32 v5, 28, v4
	v_sub_nc_u32_e32 v4, 29, v4
	v_lshlrev_b64 v[5:6], v5, v[6:7]
	s_delay_alu instid0(VALU_DEP_1)
	v_and_b32_e32 v6, 7, v5
; %bb.934:                              ;   in Loop: Header=BB233_520 Depth=1
	s_or_b32 exec_lo, exec_lo, s16
	v_lshlrev_b32_e32 v5, 24, v165
	s_delay_alu instid0(VALU_DEP_2) | instskip(SKIP_1) | instid1(VALU_DEP_3)
	v_lshlrev_b32_e32 v6, 20, v6
	v_lshl_add_u32 v4, v4, 23, 0x3c000000
	v_and_b32_e32 v5, 0x80000000, v5
	s_delay_alu instid0(VALU_DEP_1) | instskip(NEXT) | instid1(VALU_DEP_1)
	v_or3_b32 v6, v6, v5, v4
	v_dual_mov_b32 v4, v6 :: v_dual_mov_b32 v5, v7
.LBB233_935:                            ;   in Loop: Header=BB233_520 Depth=1
	s_or_b32 exec_lo, exec_lo, s15
.LBB233_936:                            ;   in Loop: Header=BB233_520 Depth=1
	s_delay_alu instid0(SALU_CYCLE_1)
	s_or_b32 exec_lo, exec_lo, s13
.LBB233_937:                            ;   in Loop: Header=BB233_520 Depth=1
	s_delay_alu instid0(SALU_CYCLE_1) | instskip(SKIP_2) | instid1(VALU_DEP_1)
	s_or_b32 exec_lo, exec_lo, s10
	v_lshrrev_b16 v6, 8, v165
	s_mov_b32 s13, exec_lo
	v_cmpx_ne_u16_e32 0, v6
	s_cbranch_execz .LBB233_945
; %bb.938:                              ;   in Loop: Header=BB233_520 Depth=1
	v_dual_mov_b32 v15, s9 :: v_dual_mov_b32 v14, s8
	s_mov_b32 s15, exec_lo
	v_cmpx_ne_u16_e32 0x80, v6
	s_cbranch_execz .LBB233_944
; %bb.939:                              ;   in Loop: Header=BB233_520 Depth=1
	s_mov_b32 s10, s8
	v_dual_mov_b32 v15, s11 :: v_dual_and_b32 v6, 0xffff, v6
	v_mov_b32_e32 v14, s10
	s_mov_b32 s10, exec_lo
	s_delay_alu instid0(VALU_DEP_2) | instskip(NEXT) | instid1(VALU_DEP_1)
	v_and_b32_e32 v16, 0x7f, v6
	v_cmpx_ne_u32_e32 0x7f, v16
	s_cbranch_execz .LBB233_943
; %bb.940:                              ;   in Loop: Header=BB233_520 Depth=1
	v_and_b32_e32 v6, 7, v6
	v_lshrrev_b32_e32 v14, 3, v16
	s_mov_b32 s16, exec_lo
	v_cmpx_gt_u32_e32 8, v16
; %bb.941:                              ;   in Loop: Header=BB233_520 Depth=1
	s_delay_alu instid0(VALU_DEP_3) | instskip(NEXT) | instid1(VALU_DEP_1)
	v_clz_i32_u32_e32 v14, v6
	v_min_u32_e32 v14, 32, v14
	s_delay_alu instid0(VALU_DEP_1) | instskip(SKIP_1) | instid1(VALU_DEP_2)
	v_subrev_nc_u32_e32 v15, 28, v14
	v_sub_nc_u32_e32 v14, 29, v14
	v_lshlrev_b64 v[15:16], v15, v[6:7]
	s_delay_alu instid0(VALU_DEP_1)
	v_and_b32_e32 v6, 7, v15
; %bb.942:                              ;   in Loop: Header=BB233_520 Depth=1
	s_or_b32 exec_lo, exec_lo, s16
	v_lshlrev_b32_e32 v15, 16, v165
	s_delay_alu instid0(VALU_DEP_2) | instskip(SKIP_1) | instid1(VALU_DEP_3)
	v_lshlrev_b32_e32 v6, 20, v6
	v_lshl_add_u32 v14, v14, 23, 0x3c000000
	v_and_b32_e32 v15, 0x80000000, v15
	s_delay_alu instid0(VALU_DEP_1)
	v_or3_b32 v15, v6, v15, v14
	v_mov_b32_e32 v14, v7
.LBB233_943:                            ;   in Loop: Header=BB233_520 Depth=1
	s_or_b32 exec_lo, exec_lo, s10
.LBB233_944:                            ;   in Loop: Header=BB233_520 Depth=1
	s_delay_alu instid0(SALU_CYCLE_1)
	s_or_b32 exec_lo, exec_lo, s15
.LBB233_945:                            ;   in Loop: Header=BB233_520 Depth=1
	s_delay_alu instid0(SALU_CYCLE_1) | instskip(SKIP_4) | instid1(VALU_DEP_2)
	s_or_b32 exec_lo, exec_lo, s13
	v_mov_b32_e32 v18, 0
	v_lshrrev_b32_e32 v166, 16, v165
	v_mov_b32_e32 v19, 0
	s_mov_b32 s10, exec_lo
	v_and_b32_e32 v6, 0xff, v166
	s_delay_alu instid0(VALU_DEP_2) | instskip(NEXT) | instid1(VALU_DEP_2)
	v_dual_mov_b32 v16, v18 :: v_dual_mov_b32 v17, v19
	v_cmpx_ne_u16_e32 0, v6
	s_cbranch_execz .LBB233_953
; %bb.946:                              ;   in Loop: Header=BB233_520 Depth=1
	v_bfrev_b32_e32 v16, 1
	v_mov_b32_e32 v17, 0
	s_mov_b32 s13, exec_lo
	v_cmpx_ne_u16_e32 0x80, v6
	s_cbranch_execz .LBB233_952
; %bb.947:                              ;   in Loop: Header=BB233_520 Depth=1
	v_mov_b32_e32 v16, 0x7f800001
	v_bfe_u32 v167, v165, 16, 7
	v_mov_b32_e32 v17, 0
	s_mov_b32 s15, exec_lo
	s_delay_alu instid0(VALU_DEP_2)
	v_cmpx_ne_u32_e32 0x7f, v167
	s_cbranch_execz .LBB233_951
; %bb.948:                              ;   in Loop: Header=BB233_520 Depth=1
	v_and_b32_e32 v6, 7, v166
	v_lshrrev_b32_e32 v16, 3, v167
	s_mov_b32 s16, exec_lo
	v_cmpx_gt_u32_e32 8, v167
; %bb.949:                              ;   in Loop: Header=BB233_520 Depth=1
	s_delay_alu instid0(VALU_DEP_3) | instskip(NEXT) | instid1(VALU_DEP_1)
	v_clz_i32_u32_e32 v16, v6
	v_min_u32_e32 v16, 32, v16
	s_delay_alu instid0(VALU_DEP_1) | instskip(SKIP_1) | instid1(VALU_DEP_2)
	v_subrev_nc_u32_e32 v17, 28, v16
	v_sub_nc_u32_e32 v16, 29, v16
	v_lshlrev_b64 v[176:177], v17, v[6:7]
	s_delay_alu instid0(VALU_DEP_1)
	v_and_b32_e32 v6, 7, v176
; %bb.950:                              ;   in Loop: Header=BB233_520 Depth=1
	s_or_b32 exec_lo, exec_lo, s16
	v_lshlrev_b32_e32 v17, 24, v166
	s_delay_alu instid0(VALU_DEP_2) | instskip(SKIP_1) | instid1(VALU_DEP_3)
	v_lshlrev_b32_e32 v6, 20, v6
	v_lshl_add_u32 v16, v16, 23, 0x3c000000
	v_and_b32_e32 v17, 0x80000000, v17
	s_delay_alu instid0(VALU_DEP_1) | instskip(NEXT) | instid1(VALU_DEP_1)
	v_or3_b32 v6, v6, v17, v16
	v_dual_mov_b32 v17, v7 :: v_dual_mov_b32 v16, v6
.LBB233_951:                            ;   in Loop: Header=BB233_520 Depth=1
	s_or_b32 exec_lo, exec_lo, s15
.LBB233_952:                            ;   in Loop: Header=BB233_520 Depth=1
	s_delay_alu instid0(SALU_CYCLE_1)
	s_or_b32 exec_lo, exec_lo, s13
.LBB233_953:                            ;   in Loop: Header=BB233_520 Depth=1
	s_delay_alu instid0(SALU_CYCLE_1) | instskip(NEXT) | instid1(SALU_CYCLE_1)
	s_or_b32 exec_lo, exec_lo, s10
	s_mov_b32 s13, exec_lo
	v_cmpx_lt_u32_e32 0xffffff, v165
	s_cbranch_execz .LBB233_961
; %bb.954:                              ;   in Loop: Header=BB233_520 Depth=1
	v_lshrrev_b32_e32 v166, 24, v165
	v_dual_mov_b32 v19, s9 :: v_dual_mov_b32 v18, s8
	s_mov_b32 s15, exec_lo
	s_delay_alu instid0(VALU_DEP_2)
	v_cmpx_ne_u32_e32 0x80, v166
	s_cbranch_execz .LBB233_960
; %bb.955:                              ;   in Loop: Header=BB233_520 Depth=1
	s_mov_b32 s10, s8
	v_bfe_u32 v165, v165, 24, 7
	v_dual_mov_b32 v19, s11 :: v_dual_mov_b32 v18, s10
	s_mov_b32 s10, exec_lo
	s_delay_alu instid0(VALU_DEP_2)
	v_cmpx_ne_u32_e32 0x7f, v165
	s_cbranch_execz .LBB233_959
; %bb.956:                              ;   in Loop: Header=BB233_520 Depth=1
	v_and_b32_e32 v6, 7, v166
	v_lshrrev_b32_e32 v18, 3, v165
	s_mov_b32 s16, exec_lo
	v_cmpx_gt_u32_e32 8, v165
; %bb.957:                              ;   in Loop: Header=BB233_520 Depth=1
	s_delay_alu instid0(VALU_DEP_3) | instskip(NEXT) | instid1(VALU_DEP_1)
	v_clz_i32_u32_e32 v18, v6
	v_min_u32_e32 v18, 32, v18
	s_delay_alu instid0(VALU_DEP_1) | instskip(SKIP_1) | instid1(VALU_DEP_2)
	v_subrev_nc_u32_e32 v19, 28, v18
	v_sub_nc_u32_e32 v18, 29, v18
	v_lshlrev_b64 v[176:177], v19, v[6:7]
	s_delay_alu instid0(VALU_DEP_1)
	v_and_b32_e32 v6, 7, v176
; %bb.958:                              ;   in Loop: Header=BB233_520 Depth=1
	s_or_b32 exec_lo, exec_lo, s16
	v_lshlrev_b32_e32 v19, 24, v166
	s_delay_alu instid0(VALU_DEP_2) | instskip(SKIP_1) | instid1(VALU_DEP_3)
	v_lshlrev_b32_e32 v6, 20, v6
	v_lshl_add_u32 v18, v18, 23, 0x3c000000
	v_and_b32_e32 v19, 0x80000000, v19
	s_delay_alu instid0(VALU_DEP_1)
	v_or3_b32 v19, v6, v19, v18
	v_mov_b32_e32 v18, v7
.LBB233_959:                            ;   in Loop: Header=BB233_520 Depth=1
	s_or_b32 exec_lo, exec_lo, s10
.LBB233_960:                            ;   in Loop: Header=BB233_520 Depth=1
	s_delay_alu instid0(SALU_CYCLE_1)
	s_or_b32 exec_lo, exec_lo, s15
.LBB233_961:                            ;   in Loop: Header=BB233_520 Depth=1
	s_delay_alu instid0(SALU_CYCLE_1) | instskip(SKIP_4) | instid1(VALU_DEP_4)
	s_or_b32 exec_lo, exec_lo, s13
	v_or_b32_e32 v5, v15, v5
	v_or_b32_e32 v4, v14, v4
	;; [unrolled: 1-line block ×4, first 2 shown]
	v_mul_f32_e32 v176, v26, v5
	s_delay_alu instid0(VALU_DEP_4) | instskip(NEXT) | instid1(VALU_DEP_4)
	v_mul_f32_e32 v167, v26, v4
	v_mul_f32_e32 v165, v26, v6
	s_delay_alu instid0(VALU_DEP_4)
	v_mul_f32_e32 v166, v26, v14
	s_and_saveexec_b32 s10, vcc_lo
; %bb.962:                              ;   in Loop: Header=BB233_520 Depth=1
	v_cmp_lt_i32_e64 s0, v68, v24
	s_delay_alu instid0(VALU_DEP_1) | instskip(SKIP_1) | instid1(VALU_DEP_1)
	v_cndmask_b32_e64 v167, 0, v167, s0
	v_cmp_lt_i32_e64 s0, v71, v24
	v_cndmask_b32_e64 v176, 0, v176, s0
	v_cmp_lt_i32_e64 s0, v70, v24
	s_delay_alu instid0(VALU_DEP_1) | instskip(SKIP_1) | instid1(VALU_DEP_1)
	v_cndmask_b32_e64 v166, 0, v166, s0
	v_cmp_lt_i32_e64 s0, v69, v24
	v_cndmask_b32_e64 v165, 0, v165, s0
; %bb.963:                              ;   in Loop: Header=BB233_520 Depth=1
	s_or_b32 exec_lo, exec_lo, s10
	flat_load_b32 v177, v[12:13] offset:1664
	v_mov_b32_e32 v14, 0
	v_mov_b32_e32 v15, 0
	s_mov_b32 s10, exec_lo
	s_waitcnt vmcnt(0) lgkmcnt(0)
	v_and_b32_e32 v6, 0xff, v177
	s_delay_alu instid0(VALU_DEP_2) | instskip(NEXT) | instid1(VALU_DEP_2)
	v_dual_mov_b32 v4, v14 :: v_dual_mov_b32 v5, v15
	v_cmpx_ne_u16_e32 0, v6
	s_cbranch_execz .LBB233_971
; %bb.964:                              ;   in Loop: Header=BB233_520 Depth=1
	v_bfrev_b32_e32 v4, 1
	v_mov_b32_e32 v5, 0
	s_mov_b32 s13, exec_lo
	v_cmpx_ne_u16_e32 0x80, v6
	s_cbranch_execz .LBB233_970
; %bb.965:                              ;   in Loop: Header=BB233_520 Depth=1
	v_mov_b32_e32 v4, 0x7f800001
	v_dual_mov_b32 v5, 0 :: v_dual_and_b32 v16, 0x7f, v177
	s_mov_b32 s15, exec_lo
	s_delay_alu instid0(VALU_DEP_1)
	v_cmpx_ne_u32_e32 0x7f, v16
	s_cbranch_execz .LBB233_969
; %bb.966:                              ;   in Loop: Header=BB233_520 Depth=1
	v_and_b32_e32 v6, 7, v177
	v_lshrrev_b32_e32 v4, 3, v16
	s_mov_b32 s16, exec_lo
	v_cmpx_gt_u32_e32 8, v16
; %bb.967:                              ;   in Loop: Header=BB233_520 Depth=1
	s_delay_alu instid0(VALU_DEP_3) | instskip(NEXT) | instid1(VALU_DEP_1)
	v_clz_i32_u32_e32 v4, v6
	v_min_u32_e32 v4, 32, v4
	s_delay_alu instid0(VALU_DEP_1) | instskip(SKIP_1) | instid1(VALU_DEP_2)
	v_subrev_nc_u32_e32 v5, 28, v4
	v_sub_nc_u32_e32 v4, 29, v4
	v_lshlrev_b64 v[5:6], v5, v[6:7]
	s_delay_alu instid0(VALU_DEP_1)
	v_and_b32_e32 v6, 7, v5
; %bb.968:                              ;   in Loop: Header=BB233_520 Depth=1
	s_or_b32 exec_lo, exec_lo, s16
	v_lshlrev_b32_e32 v5, 24, v177
	s_delay_alu instid0(VALU_DEP_2) | instskip(SKIP_1) | instid1(VALU_DEP_3)
	v_lshlrev_b32_e32 v6, 20, v6
	v_lshl_add_u32 v4, v4, 23, 0x3c000000
	v_and_b32_e32 v5, 0x80000000, v5
	s_delay_alu instid0(VALU_DEP_1) | instskip(NEXT) | instid1(VALU_DEP_1)
	v_or3_b32 v6, v6, v5, v4
	v_dual_mov_b32 v4, v6 :: v_dual_mov_b32 v5, v7
.LBB233_969:                            ;   in Loop: Header=BB233_520 Depth=1
	s_or_b32 exec_lo, exec_lo, s15
.LBB233_970:                            ;   in Loop: Header=BB233_520 Depth=1
	s_delay_alu instid0(SALU_CYCLE_1)
	s_or_b32 exec_lo, exec_lo, s13
.LBB233_971:                            ;   in Loop: Header=BB233_520 Depth=1
	s_delay_alu instid0(SALU_CYCLE_1) | instskip(SKIP_2) | instid1(VALU_DEP_1)
	s_or_b32 exec_lo, exec_lo, s10
	v_lshrrev_b16 v6, 8, v177
	s_mov_b32 s13, exec_lo
	v_cmpx_ne_u16_e32 0, v6
	s_cbranch_execz .LBB233_979
; %bb.972:                              ;   in Loop: Header=BB233_520 Depth=1
	v_dual_mov_b32 v15, s9 :: v_dual_mov_b32 v14, s8
	s_mov_b32 s15, exec_lo
	v_cmpx_ne_u16_e32 0x80, v6
	s_cbranch_execz .LBB233_978
; %bb.973:                              ;   in Loop: Header=BB233_520 Depth=1
	s_mov_b32 s10, s8
	v_dual_mov_b32 v15, s11 :: v_dual_and_b32 v6, 0xffff, v6
	v_mov_b32_e32 v14, s10
	s_mov_b32 s10, exec_lo
	s_delay_alu instid0(VALU_DEP_2) | instskip(NEXT) | instid1(VALU_DEP_1)
	v_and_b32_e32 v16, 0x7f, v6
	v_cmpx_ne_u32_e32 0x7f, v16
	s_cbranch_execz .LBB233_977
; %bb.974:                              ;   in Loop: Header=BB233_520 Depth=1
	v_and_b32_e32 v6, 7, v6
	v_lshrrev_b32_e32 v14, 3, v16
	s_mov_b32 s16, exec_lo
	v_cmpx_gt_u32_e32 8, v16
; %bb.975:                              ;   in Loop: Header=BB233_520 Depth=1
	s_delay_alu instid0(VALU_DEP_3) | instskip(NEXT) | instid1(VALU_DEP_1)
	v_clz_i32_u32_e32 v14, v6
	v_min_u32_e32 v14, 32, v14
	s_delay_alu instid0(VALU_DEP_1) | instskip(SKIP_1) | instid1(VALU_DEP_2)
	v_subrev_nc_u32_e32 v15, 28, v14
	v_sub_nc_u32_e32 v14, 29, v14
	v_lshlrev_b64 v[15:16], v15, v[6:7]
	s_delay_alu instid0(VALU_DEP_1)
	v_and_b32_e32 v6, 7, v15
; %bb.976:                              ;   in Loop: Header=BB233_520 Depth=1
	s_or_b32 exec_lo, exec_lo, s16
	v_lshlrev_b32_e32 v15, 16, v177
	s_delay_alu instid0(VALU_DEP_2) | instskip(SKIP_1) | instid1(VALU_DEP_3)
	v_lshlrev_b32_e32 v6, 20, v6
	v_lshl_add_u32 v14, v14, 23, 0x3c000000
	v_and_b32_e32 v15, 0x80000000, v15
	s_delay_alu instid0(VALU_DEP_1)
	v_or3_b32 v15, v6, v15, v14
	v_mov_b32_e32 v14, v7
.LBB233_977:                            ;   in Loop: Header=BB233_520 Depth=1
	s_or_b32 exec_lo, exec_lo, s10
.LBB233_978:                            ;   in Loop: Header=BB233_520 Depth=1
	s_delay_alu instid0(SALU_CYCLE_1)
	s_or_b32 exec_lo, exec_lo, s15
.LBB233_979:                            ;   in Loop: Header=BB233_520 Depth=1
	s_delay_alu instid0(SALU_CYCLE_1) | instskip(SKIP_4) | instid1(VALU_DEP_2)
	s_or_b32 exec_lo, exec_lo, s13
	v_mov_b32_e32 v18, 0
	v_lshrrev_b32_e32 v178, 16, v177
	v_mov_b32_e32 v19, 0
	s_mov_b32 s10, exec_lo
	v_and_b32_e32 v6, 0xff, v178
	s_delay_alu instid0(VALU_DEP_2) | instskip(NEXT) | instid1(VALU_DEP_2)
	v_dual_mov_b32 v16, v18 :: v_dual_mov_b32 v17, v19
	v_cmpx_ne_u16_e32 0, v6
	s_cbranch_execz .LBB233_987
; %bb.980:                              ;   in Loop: Header=BB233_520 Depth=1
	v_bfrev_b32_e32 v16, 1
	v_mov_b32_e32 v17, 0
	s_mov_b32 s13, exec_lo
	v_cmpx_ne_u16_e32 0x80, v6
	s_cbranch_execz .LBB233_986
; %bb.981:                              ;   in Loop: Header=BB233_520 Depth=1
	v_mov_b32_e32 v16, 0x7f800001
	v_bfe_u32 v179, v177, 16, 7
	v_mov_b32_e32 v17, 0
	s_mov_b32 s15, exec_lo
	s_delay_alu instid0(VALU_DEP_2)
	v_cmpx_ne_u32_e32 0x7f, v179
	s_cbranch_execz .LBB233_985
; %bb.982:                              ;   in Loop: Header=BB233_520 Depth=1
	v_and_b32_e32 v6, 7, v178
	v_lshrrev_b32_e32 v16, 3, v179
	s_mov_b32 s16, exec_lo
	v_cmpx_gt_u32_e32 8, v179
; %bb.983:                              ;   in Loop: Header=BB233_520 Depth=1
	s_delay_alu instid0(VALU_DEP_3) | instskip(NEXT) | instid1(VALU_DEP_1)
	v_clz_i32_u32_e32 v16, v6
	v_min_u32_e32 v16, 32, v16
	s_delay_alu instid0(VALU_DEP_1) | instskip(SKIP_1) | instid1(VALU_DEP_2)
	v_subrev_nc_u32_e32 v17, 28, v16
	v_sub_nc_u32_e32 v16, 29, v16
	v_lshlrev_b64 v[179:180], v17, v[6:7]
	s_delay_alu instid0(VALU_DEP_1)
	v_and_b32_e32 v6, 7, v179
; %bb.984:                              ;   in Loop: Header=BB233_520 Depth=1
	s_or_b32 exec_lo, exec_lo, s16
	v_lshlrev_b32_e32 v17, 24, v178
	s_delay_alu instid0(VALU_DEP_2) | instskip(SKIP_1) | instid1(VALU_DEP_3)
	v_lshlrev_b32_e32 v6, 20, v6
	v_lshl_add_u32 v16, v16, 23, 0x3c000000
	v_and_b32_e32 v17, 0x80000000, v17
	s_delay_alu instid0(VALU_DEP_1) | instskip(NEXT) | instid1(VALU_DEP_1)
	v_or3_b32 v6, v6, v17, v16
	v_dual_mov_b32 v17, v7 :: v_dual_mov_b32 v16, v6
.LBB233_985:                            ;   in Loop: Header=BB233_520 Depth=1
	s_or_b32 exec_lo, exec_lo, s15
.LBB233_986:                            ;   in Loop: Header=BB233_520 Depth=1
	s_delay_alu instid0(SALU_CYCLE_1)
	s_or_b32 exec_lo, exec_lo, s13
.LBB233_987:                            ;   in Loop: Header=BB233_520 Depth=1
	s_delay_alu instid0(SALU_CYCLE_1) | instskip(NEXT) | instid1(SALU_CYCLE_1)
	s_or_b32 exec_lo, exec_lo, s10
	s_mov_b32 s13, exec_lo
	v_cmpx_lt_u32_e32 0xffffff, v177
	s_cbranch_execz .LBB233_995
; %bb.988:                              ;   in Loop: Header=BB233_520 Depth=1
	v_lshrrev_b32_e32 v178, 24, v177
	v_dual_mov_b32 v19, s9 :: v_dual_mov_b32 v18, s8
	s_mov_b32 s15, exec_lo
	s_delay_alu instid0(VALU_DEP_2)
	v_cmpx_ne_u32_e32 0x80, v178
	s_cbranch_execz .LBB233_994
; %bb.989:                              ;   in Loop: Header=BB233_520 Depth=1
	s_mov_b32 s10, s8
	v_bfe_u32 v177, v177, 24, 7
	v_dual_mov_b32 v19, s11 :: v_dual_mov_b32 v18, s10
	s_mov_b32 s10, exec_lo
	s_delay_alu instid0(VALU_DEP_2)
	v_cmpx_ne_u32_e32 0x7f, v177
	s_cbranch_execz .LBB233_993
; %bb.990:                              ;   in Loop: Header=BB233_520 Depth=1
	v_and_b32_e32 v6, 7, v178
	v_lshrrev_b32_e32 v18, 3, v177
	s_mov_b32 s16, exec_lo
	v_cmpx_gt_u32_e32 8, v177
; %bb.991:                              ;   in Loop: Header=BB233_520 Depth=1
	s_delay_alu instid0(VALU_DEP_3) | instskip(NEXT) | instid1(VALU_DEP_1)
	v_clz_i32_u32_e32 v18, v6
	v_min_u32_e32 v18, 32, v18
	s_delay_alu instid0(VALU_DEP_1) | instskip(SKIP_1) | instid1(VALU_DEP_2)
	v_subrev_nc_u32_e32 v19, 28, v18
	v_sub_nc_u32_e32 v18, 29, v18
	v_lshlrev_b64 v[179:180], v19, v[6:7]
	s_delay_alu instid0(VALU_DEP_1)
	v_and_b32_e32 v6, 7, v179
; %bb.992:                              ;   in Loop: Header=BB233_520 Depth=1
	s_or_b32 exec_lo, exec_lo, s16
	v_lshlrev_b32_e32 v19, 24, v178
	s_delay_alu instid0(VALU_DEP_2) | instskip(SKIP_1) | instid1(VALU_DEP_3)
	v_lshlrev_b32_e32 v6, 20, v6
	v_lshl_add_u32 v18, v18, 23, 0x3c000000
	v_and_b32_e32 v19, 0x80000000, v19
	s_delay_alu instid0(VALU_DEP_1)
	v_or3_b32 v19, v6, v19, v18
	v_mov_b32_e32 v18, v7
.LBB233_993:                            ;   in Loop: Header=BB233_520 Depth=1
	s_or_b32 exec_lo, exec_lo, s10
.LBB233_994:                            ;   in Loop: Header=BB233_520 Depth=1
	s_delay_alu instid0(SALU_CYCLE_1)
	s_or_b32 exec_lo, exec_lo, s15
.LBB233_995:                            ;   in Loop: Header=BB233_520 Depth=1
	s_delay_alu instid0(SALU_CYCLE_1) | instskip(SKIP_4) | instid1(VALU_DEP_4)
	s_or_b32 exec_lo, exec_lo, s13
	v_or_b32_e32 v5, v15, v5
	v_or_b32_e32 v4, v14, v4
	;; [unrolled: 1-line block ×4, first 2 shown]
	v_mul_f32_e32 v178, v26, v5
	s_delay_alu instid0(VALU_DEP_4) | instskip(NEXT) | instid1(VALU_DEP_4)
	v_mul_f32_e32 v177, v26, v4
	v_mul_f32_e32 v18, v26, v6
	s_delay_alu instid0(VALU_DEP_4)
	v_mul_f32_e32 v19, v26, v14
	s_and_saveexec_b32 s10, vcc_lo
; %bb.996:                              ;   in Loop: Header=BB233_520 Depth=1
	v_cmp_lt_i32_e64 s0, v68, v24
	s_delay_alu instid0(VALU_DEP_1) | instskip(SKIP_1) | instid1(VALU_DEP_1)
	v_cndmask_b32_e64 v177, 0, v177, s0
	v_cmp_lt_i32_e64 s0, v71, v24
	v_cndmask_b32_e64 v178, 0, v178, s0
	v_cmp_lt_i32_e64 s0, v70, v24
	s_delay_alu instid0(VALU_DEP_1) | instskip(SKIP_1) | instid1(VALU_DEP_1)
	v_cndmask_b32_e64 v19, 0, v19, s0
	v_cmp_lt_i32_e64 s0, v69, v24
	v_cndmask_b32_e64 v18, 0, v18, s0
; %bb.997:                              ;   in Loop: Header=BB233_520 Depth=1
	s_or_b32 exec_lo, exec_lo, s10
	flat_load_b32 v179, v[12:13] offset:1792
	v_mov_b32_e32 v12, 0
	v_mov_b32_e32 v13, 0
	s_mov_b32 s10, exec_lo
	s_waitcnt vmcnt(0) lgkmcnt(0)
	v_and_b32_e32 v6, 0xff, v179
	s_delay_alu instid0(VALU_DEP_2) | instskip(NEXT) | instid1(VALU_DEP_2)
	v_dual_mov_b32 v4, v12 :: v_dual_mov_b32 v5, v13
	v_cmpx_ne_u16_e32 0, v6
	s_cbranch_execz .LBB233_1005
; %bb.998:                              ;   in Loop: Header=BB233_520 Depth=1
	v_bfrev_b32_e32 v4, 1
	v_mov_b32_e32 v5, 0
	s_mov_b32 s13, exec_lo
	v_cmpx_ne_u16_e32 0x80, v6
	s_cbranch_execz .LBB233_1004
; %bb.999:                              ;   in Loop: Header=BB233_520 Depth=1
	v_mov_b32_e32 v4, 0x7f800001
	v_dual_mov_b32 v5, 0 :: v_dual_and_b32 v14, 0x7f, v179
	s_mov_b32 s15, exec_lo
	s_delay_alu instid0(VALU_DEP_1)
	v_cmpx_ne_u32_e32 0x7f, v14
	s_cbranch_execz .LBB233_1003
; %bb.1000:                             ;   in Loop: Header=BB233_520 Depth=1
	v_and_b32_e32 v6, 7, v179
	v_lshrrev_b32_e32 v4, 3, v14
	s_mov_b32 s16, exec_lo
	v_cmpx_gt_u32_e32 8, v14
; %bb.1001:                             ;   in Loop: Header=BB233_520 Depth=1
	s_delay_alu instid0(VALU_DEP_3) | instskip(NEXT) | instid1(VALU_DEP_1)
	v_clz_i32_u32_e32 v4, v6
	v_min_u32_e32 v4, 32, v4
	s_delay_alu instid0(VALU_DEP_1) | instskip(SKIP_1) | instid1(VALU_DEP_2)
	v_subrev_nc_u32_e32 v5, 28, v4
	v_sub_nc_u32_e32 v4, 29, v4
	v_lshlrev_b64 v[5:6], v5, v[6:7]
	s_delay_alu instid0(VALU_DEP_1)
	v_and_b32_e32 v6, 7, v5
; %bb.1002:                             ;   in Loop: Header=BB233_520 Depth=1
	s_or_b32 exec_lo, exec_lo, s16
	v_lshlrev_b32_e32 v5, 24, v179
	s_delay_alu instid0(VALU_DEP_2) | instskip(SKIP_1) | instid1(VALU_DEP_3)
	v_lshlrev_b32_e32 v6, 20, v6
	v_lshl_add_u32 v4, v4, 23, 0x3c000000
	v_and_b32_e32 v5, 0x80000000, v5
	s_delay_alu instid0(VALU_DEP_1) | instskip(NEXT) | instid1(VALU_DEP_1)
	v_or3_b32 v6, v6, v5, v4
	v_dual_mov_b32 v4, v6 :: v_dual_mov_b32 v5, v7
.LBB233_1003:                           ;   in Loop: Header=BB233_520 Depth=1
	s_or_b32 exec_lo, exec_lo, s15
.LBB233_1004:                           ;   in Loop: Header=BB233_520 Depth=1
	s_delay_alu instid0(SALU_CYCLE_1)
	s_or_b32 exec_lo, exec_lo, s13
.LBB233_1005:                           ;   in Loop: Header=BB233_520 Depth=1
	s_delay_alu instid0(SALU_CYCLE_1) | instskip(SKIP_2) | instid1(VALU_DEP_1)
	s_or_b32 exec_lo, exec_lo, s10
	v_lshrrev_b16 v6, 8, v179
	s_mov_b32 s13, exec_lo
	v_cmpx_ne_u16_e32 0, v6
	s_cbranch_execz .LBB233_1013
; %bb.1006:                             ;   in Loop: Header=BB233_520 Depth=1
	v_dual_mov_b32 v13, s9 :: v_dual_mov_b32 v12, s8
	s_mov_b32 s15, exec_lo
	v_cmpx_ne_u16_e32 0x80, v6
	s_cbranch_execz .LBB233_1012
; %bb.1007:                             ;   in Loop: Header=BB233_520 Depth=1
	s_mov_b32 s10, s8
	v_dual_mov_b32 v13, s11 :: v_dual_and_b32 v6, 0xffff, v6
	v_mov_b32_e32 v12, s10
	s_mov_b32 s10, exec_lo
	s_delay_alu instid0(VALU_DEP_2) | instskip(NEXT) | instid1(VALU_DEP_1)
	v_and_b32_e32 v14, 0x7f, v6
	v_cmpx_ne_u32_e32 0x7f, v14
	s_cbranch_execz .LBB233_1011
; %bb.1008:                             ;   in Loop: Header=BB233_520 Depth=1
	v_and_b32_e32 v6, 7, v6
	v_lshrrev_b32_e32 v12, 3, v14
	s_mov_b32 s16, exec_lo
	v_cmpx_gt_u32_e32 8, v14
; %bb.1009:                             ;   in Loop: Header=BB233_520 Depth=1
	s_delay_alu instid0(VALU_DEP_3) | instskip(NEXT) | instid1(VALU_DEP_1)
	v_clz_i32_u32_e32 v12, v6
	v_min_u32_e32 v12, 32, v12
	s_delay_alu instid0(VALU_DEP_1) | instskip(SKIP_1) | instid1(VALU_DEP_2)
	v_subrev_nc_u32_e32 v13, 28, v12
	v_sub_nc_u32_e32 v12, 29, v12
	v_lshlrev_b64 v[13:14], v13, v[6:7]
	s_delay_alu instid0(VALU_DEP_1)
	v_and_b32_e32 v6, 7, v13
; %bb.1010:                             ;   in Loop: Header=BB233_520 Depth=1
	s_or_b32 exec_lo, exec_lo, s16
	v_lshlrev_b32_e32 v13, 16, v179
	s_delay_alu instid0(VALU_DEP_2) | instskip(SKIP_1) | instid1(VALU_DEP_3)
	v_lshlrev_b32_e32 v6, 20, v6
	v_lshl_add_u32 v12, v12, 23, 0x3c000000
	v_and_b32_e32 v13, 0x80000000, v13
	s_delay_alu instid0(VALU_DEP_1)
	v_or3_b32 v13, v6, v13, v12
	v_mov_b32_e32 v12, v7
.LBB233_1011:                           ;   in Loop: Header=BB233_520 Depth=1
	s_or_b32 exec_lo, exec_lo, s10
.LBB233_1012:                           ;   in Loop: Header=BB233_520 Depth=1
	s_delay_alu instid0(SALU_CYCLE_1)
	s_or_b32 exec_lo, exec_lo, s15
.LBB233_1013:                           ;   in Loop: Header=BB233_520 Depth=1
	s_delay_alu instid0(SALU_CYCLE_1) | instskip(SKIP_4) | instid1(VALU_DEP_2)
	s_or_b32 exec_lo, exec_lo, s13
	v_mov_b32_e32 v16, 0
	v_lshrrev_b32_e32 v180, 16, v179
	v_mov_b32_e32 v17, 0
	s_mov_b32 s10, exec_lo
	v_and_b32_e32 v6, 0xff, v180
	s_delay_alu instid0(VALU_DEP_2) | instskip(NEXT) | instid1(VALU_DEP_2)
	v_dual_mov_b32 v14, v16 :: v_dual_mov_b32 v15, v17
	v_cmpx_ne_u16_e32 0, v6
	s_cbranch_execz .LBB233_1021
; %bb.1014:                             ;   in Loop: Header=BB233_520 Depth=1
	v_bfrev_b32_e32 v14, 1
	v_mov_b32_e32 v15, 0
	s_mov_b32 s13, exec_lo
	v_cmpx_ne_u16_e32 0x80, v6
	s_cbranch_execz .LBB233_1020
; %bb.1015:                             ;   in Loop: Header=BB233_520 Depth=1
	v_mov_b32_e32 v14, 0x7f800001
	v_bfe_u32 v181, v179, 16, 7
	v_mov_b32_e32 v15, 0
	s_mov_b32 s15, exec_lo
	s_delay_alu instid0(VALU_DEP_2)
	v_cmpx_ne_u32_e32 0x7f, v181
	s_cbranch_execz .LBB233_1019
; %bb.1016:                             ;   in Loop: Header=BB233_520 Depth=1
	v_and_b32_e32 v6, 7, v180
	v_lshrrev_b32_e32 v14, 3, v181
	s_mov_b32 s16, exec_lo
	v_cmpx_gt_u32_e32 8, v181
; %bb.1017:                             ;   in Loop: Header=BB233_520 Depth=1
	s_delay_alu instid0(VALU_DEP_3) | instskip(NEXT) | instid1(VALU_DEP_1)
	v_clz_i32_u32_e32 v14, v6
	v_min_u32_e32 v14, 32, v14
	s_delay_alu instid0(VALU_DEP_1) | instskip(SKIP_1) | instid1(VALU_DEP_2)
	v_subrev_nc_u32_e32 v15, 28, v14
	v_sub_nc_u32_e32 v14, 29, v14
	v_lshlrev_b64 v[181:182], v15, v[6:7]
	s_delay_alu instid0(VALU_DEP_1)
	v_and_b32_e32 v6, 7, v181
; %bb.1018:                             ;   in Loop: Header=BB233_520 Depth=1
	s_or_b32 exec_lo, exec_lo, s16
	v_lshlrev_b32_e32 v15, 24, v180
	s_delay_alu instid0(VALU_DEP_2) | instskip(SKIP_1) | instid1(VALU_DEP_3)
	v_lshlrev_b32_e32 v6, 20, v6
	v_lshl_add_u32 v14, v14, 23, 0x3c000000
	v_and_b32_e32 v15, 0x80000000, v15
	s_delay_alu instid0(VALU_DEP_1) | instskip(NEXT) | instid1(VALU_DEP_1)
	v_or3_b32 v6, v6, v15, v14
	v_dual_mov_b32 v15, v7 :: v_dual_mov_b32 v14, v6
.LBB233_1019:                           ;   in Loop: Header=BB233_520 Depth=1
	s_or_b32 exec_lo, exec_lo, s15
.LBB233_1020:                           ;   in Loop: Header=BB233_520 Depth=1
	s_delay_alu instid0(SALU_CYCLE_1)
	s_or_b32 exec_lo, exec_lo, s13
.LBB233_1021:                           ;   in Loop: Header=BB233_520 Depth=1
	s_delay_alu instid0(SALU_CYCLE_1) | instskip(NEXT) | instid1(SALU_CYCLE_1)
	s_or_b32 exec_lo, exec_lo, s10
	s_mov_b32 s13, exec_lo
	v_cmpx_lt_u32_e32 0xffffff, v179
	s_cbranch_execz .LBB233_1029
; %bb.1022:                             ;   in Loop: Header=BB233_520 Depth=1
	v_lshrrev_b32_e32 v180, 24, v179
	v_dual_mov_b32 v17, s9 :: v_dual_mov_b32 v16, s8
	s_mov_b32 s15, exec_lo
	s_delay_alu instid0(VALU_DEP_2)
	v_cmpx_ne_u32_e32 0x80, v180
	s_cbranch_execz .LBB233_1028
; %bb.1023:                             ;   in Loop: Header=BB233_520 Depth=1
	s_mov_b32 s10, s8
	v_bfe_u32 v179, v179, 24, 7
	v_dual_mov_b32 v17, s11 :: v_dual_mov_b32 v16, s10
	s_mov_b32 s10, exec_lo
	s_delay_alu instid0(VALU_DEP_2)
	v_cmpx_ne_u32_e32 0x7f, v179
	s_cbranch_execz .LBB233_1027
; %bb.1024:                             ;   in Loop: Header=BB233_520 Depth=1
	v_and_b32_e32 v6, 7, v180
	v_lshrrev_b32_e32 v16, 3, v179
	s_mov_b32 s16, exec_lo
	v_cmpx_gt_u32_e32 8, v179
; %bb.1025:                             ;   in Loop: Header=BB233_520 Depth=1
	s_delay_alu instid0(VALU_DEP_3) | instskip(NEXT) | instid1(VALU_DEP_1)
	v_clz_i32_u32_e32 v16, v6
	v_min_u32_e32 v16, 32, v16
	s_delay_alu instid0(VALU_DEP_1) | instskip(SKIP_1) | instid1(VALU_DEP_2)
	v_subrev_nc_u32_e32 v17, 28, v16
	v_sub_nc_u32_e32 v16, 29, v16
	v_lshlrev_b64 v[181:182], v17, v[6:7]
	s_delay_alu instid0(VALU_DEP_1)
	v_and_b32_e32 v6, 7, v181
; %bb.1026:                             ;   in Loop: Header=BB233_520 Depth=1
	s_or_b32 exec_lo, exec_lo, s16
	v_lshlrev_b32_e32 v17, 24, v180
	s_delay_alu instid0(VALU_DEP_2) | instskip(SKIP_1) | instid1(VALU_DEP_3)
	v_lshlrev_b32_e32 v6, 20, v6
	v_lshl_add_u32 v16, v16, 23, 0x3c000000
	v_and_b32_e32 v17, 0x80000000, v17
	s_delay_alu instid0(VALU_DEP_1)
	v_or3_b32 v17, v6, v17, v16
	v_mov_b32_e32 v16, v7
.LBB233_1027:                           ;   in Loop: Header=BB233_520 Depth=1
	s_or_b32 exec_lo, exec_lo, s10
.LBB233_1028:                           ;   in Loop: Header=BB233_520 Depth=1
	s_delay_alu instid0(SALU_CYCLE_1)
	s_or_b32 exec_lo, exec_lo, s15
.LBB233_1029:                           ;   in Loop: Header=BB233_520 Depth=1
	s_delay_alu instid0(SALU_CYCLE_1) | instskip(SKIP_4) | instid1(VALU_DEP_4)
	s_or_b32 exec_lo, exec_lo, s13
	v_or_b32_e32 v5, v13, v5
	v_or_b32_e32 v4, v12, v4
	;; [unrolled: 1-line block ×4, first 2 shown]
	v_mul_f32_e32 v12, v26, v5
	s_delay_alu instid0(VALU_DEP_4) | instskip(NEXT) | instid1(VALU_DEP_4)
	v_mul_f32_e32 v6, v26, v4
	v_mul_f32_e32 v4, v26, v13
	s_delay_alu instid0(VALU_DEP_4)
	v_mul_f32_e32 v5, v26, v14
	s_and_saveexec_b32 s0, vcc_lo
	s_cbranch_execz .LBB233_518
; %bb.1030:                             ;   in Loop: Header=BB233_520 Depth=1
	v_cmp_lt_i32_e32 vcc_lo, v68, v24
	v_cndmask_b32_e32 v6, 0, v6, vcc_lo
	v_cmp_lt_i32_e32 vcc_lo, v71, v24
	v_cndmask_b32_e32 v12, 0, v12, vcc_lo
	;; [unrolled: 2-line block ×4, first 2 shown]
	s_branch .LBB233_518
.LBB233_1031:
	s_or_b32 exec_lo, exec_lo, s5
.LBB233_1032:
	s_delay_alu instid0(SALU_CYCLE_1)
	s_or_b32 exec_lo, exec_lo, s3
	ds_bpermute_b32 v4, v22, v38
	ds_bpermute_b32 v0, v22, v49
	;; [unrolled: 1-line block ×7, first 2 shown]
	s_waitcnt lgkmcnt(0)
	s_waitcnt_vscnt null, 0x0
	s_barrier
	buffer_gl0_inv
	ds_bpermute_b32 v2, v22, v48
	ds_bpermute_b32 v12, v22, v29
	;; [unrolled: 1-line block ×8, first 2 shown]
	s_load_b32 s0, s[6:7], 0x0
	v_add_f32_e32 v4, v38, v4
	v_dual_add_f32 v0, v49, v0 :: v_dual_add_f32 v1, v50, v1
	v_dual_add_f32 v5, v37, v5 :: v_dual_add_f32 v8, v34, v8
	v_add_f32_e32 v9, v33, v9
	ds_bpermute_b32 v19, v25, v4
	ds_bpermute_b32 v16, v25, v1
	v_add_f32_e32 v14, v27, v14
	ds_bpermute_b32 v15, v25, v0
	ds_bpermute_b32 v30, v25, v9
	s_waitcnt lgkmcnt(0)
	v_dual_add_f32 v2, v48, v2 :: v_dual_add_f32 v3, v39, v3
	v_add_f32_e32 v12, v29, v12
	v_dual_add_f32 v6, v36, v6 :: v_dual_add_f32 v7, v35, v7
	ds_bpermute_b32 v17, v25, v2
	v_dual_add_f32 v10, v32, v10 :: v_dual_add_f32 v11, v31, v11
	v_add_f32_e32 v13, v28, v13
	ds_bpermute_b32 v29, v25, v12
	ds_bpermute_b32 v18, v25, v3
	;; [unrolled: 1-line block ×6, first 2 shown]
	v_add_f32_e32 v4, v4, v19
	scratch_load_b32 v19, off, s32 offset:408 ; 4-byte Folded Reload
	v_add_f32_e32 v1, v1, v16
	scratch_load_b32 v16, off, s32 offset:396 ; 4-byte Folded Reload
	ds_bpermute_b32 v27, v25, v10
	ds_bpermute_b32 v28, v25, v11
	ds_bpermute_b32 v31, v25, v13
	ds_bpermute_b32 v24, v25, v14
	v_add_f32_e32 v0, v0, v15
	v_lshrrev_b32_e32 v15, 2, v21
	s_waitcnt lgkmcnt(10)
	v_dual_add_f32 v2, v2, v17 :: v_dual_add_f32 v9, v9, v30
	s_waitcnt lgkmcnt(8)
	v_dual_add_f32 v12, v12, v29 :: v_dual_add_f32 v3, v3, v18
	;; [unrolled: 2-line block ×6, first 2 shown]
	s_waitcnt vmcnt(1)
	v_and_b32_e32 v17, 0x3c3, v19
	s_waitcnt vmcnt(0)
	v_mad_u32_u24 v16, 0x1e0, v16, s0
	s_delay_alu instid0(VALU_DEP_2)
	v_cmp_eq_u32_e32 vcc_lo, 64, v17
	v_lshlrev_b32_e32 v17, 2, v15
	s_and_saveexec_b32 s0, vcc_lo
	s_cbranch_execz .LBB233_1034
; %bb.1033:
	s_delay_alu instid0(VALU_DEP_1)
	v_add3_u32 v18, v16, v17, 0xfffffc40
	ds_store_2addr_b32 v18, v0, v1 offset1:8
	ds_store_2addr_b32 v18, v2, v3 offset0:16 offset1:24
	ds_store_2addr_b32 v18, v4, v5 offset0:32 offset1:40
	ds_store_2addr_b32 v18, v6, v7 offset0:48 offset1:56
	ds_store_2addr_b32 v18, v8, v9 offset0:64 offset1:72
	ds_store_2addr_b32 v18, v10, v11 offset0:80 offset1:88
	ds_store_2addr_b32 v18, v12, v13 offset0:96 offset1:104
	ds_store_b32 v18, v14 offset:448
.LBB233_1034:
	s_or_b32 exec_lo, exec_lo, s0
	v_cmp_eq_u32_e32 vcc_lo, 0, v183
	s_mov_b32 s3, exec_lo
	s_waitcnt lgkmcnt(0)
	s_barrier
	buffer_gl0_inv
	v_cmpx_gt_u32_e32 64, v19
	s_cbranch_execz .LBB233_1052
; %bb.1035:
	s_and_saveexec_b32 s0, vcc_lo
	s_cbranch_execnz .LBB233_1075
; %bb.1036:
	s_or_b32 exec_lo, exec_lo, s0
	s_and_saveexec_b32 s0, vcc_lo
	s_cbranch_execnz .LBB233_1076
.LBB233_1037:
	s_or_b32 exec_lo, exec_lo, s0
	s_and_saveexec_b32 s0, vcc_lo
	s_cbranch_execnz .LBB233_1077
.LBB233_1038:
	s_or_b32 exec_lo, exec_lo, s0
	s_and_saveexec_b32 s0, vcc_lo
	s_cbranch_execnz .LBB233_1078
.LBB233_1039:
	s_or_b32 exec_lo, exec_lo, s0
	s_and_saveexec_b32 s0, vcc_lo
	s_cbranch_execnz .LBB233_1079
.LBB233_1040:
	s_or_b32 exec_lo, exec_lo, s0
	s_and_saveexec_b32 s0, vcc_lo
	s_cbranch_execnz .LBB233_1080
.LBB233_1041:
	s_or_b32 exec_lo, exec_lo, s0
	s_and_saveexec_b32 s0, vcc_lo
	s_cbranch_execnz .LBB233_1081
.LBB233_1042:
	s_or_b32 exec_lo, exec_lo, s0
	s_and_saveexec_b32 s0, vcc_lo
	s_cbranch_execnz .LBB233_1082
.LBB233_1043:
	s_or_b32 exec_lo, exec_lo, s0
	s_and_saveexec_b32 s0, vcc_lo
	s_cbranch_execnz .LBB233_1083
.LBB233_1044:
	s_or_b32 exec_lo, exec_lo, s0
	s_and_saveexec_b32 s0, vcc_lo
	s_cbranch_execnz .LBB233_1084
.LBB233_1045:
	s_or_b32 exec_lo, exec_lo, s0
	s_and_saveexec_b32 s0, vcc_lo
	s_cbranch_execnz .LBB233_1085
.LBB233_1046:
	s_or_b32 exec_lo, exec_lo, s0
	s_and_saveexec_b32 s0, vcc_lo
	s_cbranch_execnz .LBB233_1086
.LBB233_1047:
	s_or_b32 exec_lo, exec_lo, s0
	s_and_saveexec_b32 s0, vcc_lo
	s_cbranch_execnz .LBB233_1087
.LBB233_1048:
	s_or_b32 exec_lo, exec_lo, s0
	s_and_saveexec_b32 s0, vcc_lo
	s_cbranch_execnz .LBB233_1088
.LBB233_1049:
	s_or_b32 exec_lo, exec_lo, s0
	s_and_saveexec_b32 s0, vcc_lo
	s_cbranch_execz .LBB233_1051
.LBB233_1050:
	v_lshl_add_u32 v18, v15, 2, v16
	ds_load_b32 v18, v18 offset:448
	s_waitcnt lgkmcnt(0)
	v_add_f32_e32 v14, v18, v14
.LBB233_1051:
	s_or_b32 exec_lo, exec_lo, s0
.LBB233_1052:
	s_delay_alu instid0(SALU_CYCLE_1)
	s_or_b32 exec_lo, exec_lo, s3
	v_and_b32_e32 v18, 0x3e3, v19
	s_mov_b32 s3, exec_lo
	s_barrier
	buffer_gl0_inv
	v_cmpx_eq_u32_e32 32, v18
	s_cbranch_execz .LBB233_1054
; %bb.1053:
	v_add3_u32 v17, v16, v17, 0xfffffe20
	ds_store_2addr_b32 v17, v0, v1 offset1:8
	ds_store_2addr_b32 v17, v2, v3 offset0:16 offset1:24
	ds_store_2addr_b32 v17, v4, v5 offset0:32 offset1:40
	;; [unrolled: 1-line block ×6, first 2 shown]
	ds_store_b32 v17, v14 offset:448
.LBB233_1054:
	s_or_b32 exec_lo, exec_lo, s3
	s_delay_alu instid0(SALU_CYCLE_1)
	s_mov_b32 s3, exec_lo
	s_waitcnt lgkmcnt(0)
	s_barrier
	buffer_gl0_inv
	v_cmpx_gt_u32_e32 32, v19
	s_cbranch_execz .LBB233_1072
; %bb.1055:
	v_lshl_add_u32 v15, v15, 2, v16
	s_and_saveexec_b32 s0, vcc_lo
	s_cbranch_execnz .LBB233_1089
; %bb.1056:
	s_or_b32 exec_lo, exec_lo, s0
	s_and_saveexec_b32 s0, vcc_lo
	s_cbranch_execnz .LBB233_1090
.LBB233_1057:
	s_or_b32 exec_lo, exec_lo, s0
	s_and_saveexec_b32 s0, vcc_lo
	s_cbranch_execnz .LBB233_1091
.LBB233_1058:
	s_or_b32 exec_lo, exec_lo, s0
	s_and_saveexec_b32 s0, vcc_lo
	s_cbranch_execnz .LBB233_1092
.LBB233_1059:
	s_or_b32 exec_lo, exec_lo, s0
	s_and_saveexec_b32 s0, vcc_lo
	s_cbranch_execnz .LBB233_1093
.LBB233_1060:
	s_or_b32 exec_lo, exec_lo, s0
	s_and_saveexec_b32 s0, vcc_lo
	s_cbranch_execnz .LBB233_1094
.LBB233_1061:
	s_or_b32 exec_lo, exec_lo, s0
	s_and_saveexec_b32 s0, vcc_lo
	s_cbranch_execnz .LBB233_1095
.LBB233_1062:
	s_or_b32 exec_lo, exec_lo, s0
	s_and_saveexec_b32 s0, vcc_lo
	s_cbranch_execnz .LBB233_1096
.LBB233_1063:
	s_or_b32 exec_lo, exec_lo, s0
	s_and_saveexec_b32 s0, vcc_lo
	s_cbranch_execnz .LBB233_1097
.LBB233_1064:
	s_or_b32 exec_lo, exec_lo, s0
	s_and_saveexec_b32 s0, vcc_lo
	s_cbranch_execnz .LBB233_1098
.LBB233_1065:
	s_or_b32 exec_lo, exec_lo, s0
	s_and_saveexec_b32 s0, vcc_lo
	s_cbranch_execnz .LBB233_1099
.LBB233_1066:
	s_or_b32 exec_lo, exec_lo, s0
	s_and_saveexec_b32 s0, vcc_lo
	s_cbranch_execnz .LBB233_1100
.LBB233_1067:
	s_or_b32 exec_lo, exec_lo, s0
	s_and_saveexec_b32 s0, vcc_lo
	s_cbranch_execnz .LBB233_1101
.LBB233_1068:
	s_or_b32 exec_lo, exec_lo, s0
	s_and_saveexec_b32 s0, vcc_lo
	s_cbranch_execnz .LBB233_1102
.LBB233_1069:
	s_or_b32 exec_lo, exec_lo, s0
	s_and_saveexec_b32 s0, vcc_lo
	s_cbranch_execz .LBB233_1071
.LBB233_1070:
	ds_load_b32 v15, v15 offset:448
	s_waitcnt lgkmcnt(0)
	v_add_f32_e32 v14, v15, v14
.LBB233_1071:
	s_or_b32 exec_lo, exec_lo, s0
.LBB233_1072:
	s_delay_alu instid0(SALU_CYCLE_1)
	s_or_b32 exec_lo, exec_lo, s3
	v_cmp_eq_u32_e32 vcc_lo, 0, v18
	s_barrier
	buffer_gl0_inv
	s_and_b32 exec_lo, exec_lo, vcc_lo
	s_cbranch_execz .LBB233_1074
; %bb.1073:
	s_clause 0x1
	scratch_load_b32 v15, off, s32 offset:404
	scratch_load_b32 v16, off, s32 offset:400
	s_mul_i32 s0, s2, 0x78
	s_mul_i32 s2, s4, s1
	;; [unrolled: 1-line block ×3, first 2 shown]
	s_ashr_i32 s3, s2, 31
	s_ashr_i32 s5, s4, 31
	;; [unrolled: 1-line block ×3, first 2 shown]
	s_lshl_b64 s[2:3], s[2:3], 2
	s_lshl_b64 s[4:5], s[4:5], 2
	;; [unrolled: 1-line block ×3, first 2 shown]
	s_add_u32 s2, s4, s2
	s_addc_u32 s3, s5, s3
	s_add_u32 s0, s2, s0
	s_addc_u32 s1, s3, s1
	s_waitcnt vmcnt(1)
	v_add_co_u32 v15, vcc_lo, s0, v15
	s_waitcnt vmcnt(0)
	v_add_co_ci_u32_e32 v16, vcc_lo, s1, v16, vcc_lo
	s_delay_alu instid0(VALU_DEP_2) | instskip(NEXT) | instid1(VALU_DEP_2)
	v_add_co_u32 v15, vcc_lo, v15, v19
	v_add_co_ci_u32_e32 v16, vcc_lo, 0, v16, vcc_lo
	s_clause 0xe
	flat_store_b32 v[15:16], v0
	flat_store_b32 v[15:16], v1 offset:32
	flat_store_b32 v[15:16], v2 offset:64
	;; [unrolled: 1-line block ×14, first 2 shown]
.LBB233_1074:
	s_or_b32 exec_lo, exec_lo, s20
	s_clause 0x1f
	scratch_load_b32 v191, off, s32 offset:8
	scratch_load_b32 v190, off, s32 offset:12
	;; [unrolled: 1-line block ×32, first 2 shown]
	s_clause 0x1f
	scratch_load_b32 v127, off, s32 offset:136
	scratch_load_b32 v126, off, s32 offset:140
	;; [unrolled: 1-line block ×32, first 2 shown]
	s_clause 0xf
	scratch_load_b32 v63, off, s32 offset:264
	scratch_load_b32 v62, off, s32 offset:268
	;; [unrolled: 1-line block ×16, first 2 shown]
	s_waitcnt vmcnt(0) lgkmcnt(0)
	s_setpc_b64 s[30:31]
.LBB233_1075:
	v_lshl_add_u32 v18, v15, 2, v16
	ds_load_b32 v18, v18
	s_waitcnt lgkmcnt(0)
	v_add_f32_e32 v0, v18, v0
	s_or_b32 exec_lo, exec_lo, s0
	s_and_saveexec_b32 s0, vcc_lo
	s_cbranch_execz .LBB233_1037
.LBB233_1076:
	v_lshl_add_u32 v18, v15, 2, v16
	ds_load_b32 v18, v18 offset:32
	s_waitcnt lgkmcnt(0)
	v_add_f32_e32 v1, v18, v1
	s_or_b32 exec_lo, exec_lo, s0
	s_and_saveexec_b32 s0, vcc_lo
	s_cbranch_execz .LBB233_1038
.LBB233_1077:
	v_lshl_add_u32 v18, v15, 2, v16
	ds_load_b32 v18, v18 offset:64
	s_waitcnt lgkmcnt(0)
	v_add_f32_e32 v2, v18, v2
	s_or_b32 exec_lo, exec_lo, s0
	s_and_saveexec_b32 s0, vcc_lo
	s_cbranch_execz .LBB233_1039
.LBB233_1078:
	v_lshl_add_u32 v18, v15, 2, v16
	ds_load_b32 v18, v18 offset:96
	s_waitcnt lgkmcnt(0)
	v_add_f32_e32 v3, v18, v3
	s_or_b32 exec_lo, exec_lo, s0
	s_and_saveexec_b32 s0, vcc_lo
	s_cbranch_execz .LBB233_1040
.LBB233_1079:
	v_lshl_add_u32 v18, v15, 2, v16
	ds_load_b32 v18, v18 offset:128
	s_waitcnt lgkmcnt(0)
	v_add_f32_e32 v4, v18, v4
	s_or_b32 exec_lo, exec_lo, s0
	s_and_saveexec_b32 s0, vcc_lo
	s_cbranch_execz .LBB233_1041
.LBB233_1080:
	v_lshl_add_u32 v18, v15, 2, v16
	ds_load_b32 v18, v18 offset:160
	s_waitcnt lgkmcnt(0)
	v_add_f32_e32 v5, v18, v5
	s_or_b32 exec_lo, exec_lo, s0
	s_and_saveexec_b32 s0, vcc_lo
	s_cbranch_execz .LBB233_1042
.LBB233_1081:
	v_lshl_add_u32 v18, v15, 2, v16
	ds_load_b32 v18, v18 offset:192
	s_waitcnt lgkmcnt(0)
	v_add_f32_e32 v6, v18, v6
	s_or_b32 exec_lo, exec_lo, s0
	s_and_saveexec_b32 s0, vcc_lo
	s_cbranch_execz .LBB233_1043
.LBB233_1082:
	v_lshl_add_u32 v18, v15, 2, v16
	ds_load_b32 v18, v18 offset:224
	s_waitcnt lgkmcnt(0)
	v_add_f32_e32 v7, v18, v7
	s_or_b32 exec_lo, exec_lo, s0
	s_and_saveexec_b32 s0, vcc_lo
	s_cbranch_execz .LBB233_1044
.LBB233_1083:
	v_lshl_add_u32 v18, v15, 2, v16
	ds_load_b32 v18, v18 offset:256
	s_waitcnt lgkmcnt(0)
	v_add_f32_e32 v8, v18, v8
	s_or_b32 exec_lo, exec_lo, s0
	s_and_saveexec_b32 s0, vcc_lo
	s_cbranch_execz .LBB233_1045
.LBB233_1084:
	v_lshl_add_u32 v18, v15, 2, v16
	ds_load_b32 v18, v18 offset:288
	s_waitcnt lgkmcnt(0)
	v_add_f32_e32 v9, v18, v9
	s_or_b32 exec_lo, exec_lo, s0
	s_and_saveexec_b32 s0, vcc_lo
	s_cbranch_execz .LBB233_1046
.LBB233_1085:
	v_lshl_add_u32 v18, v15, 2, v16
	ds_load_b32 v18, v18 offset:320
	s_waitcnt lgkmcnt(0)
	v_add_f32_e32 v10, v18, v10
	s_or_b32 exec_lo, exec_lo, s0
	s_and_saveexec_b32 s0, vcc_lo
	s_cbranch_execz .LBB233_1047
.LBB233_1086:
	v_lshl_add_u32 v18, v15, 2, v16
	ds_load_b32 v18, v18 offset:352
	s_waitcnt lgkmcnt(0)
	v_add_f32_e32 v11, v18, v11
	s_or_b32 exec_lo, exec_lo, s0
	s_and_saveexec_b32 s0, vcc_lo
	s_cbranch_execz .LBB233_1048
.LBB233_1087:
	v_lshl_add_u32 v18, v15, 2, v16
	ds_load_b32 v18, v18 offset:384
	s_waitcnt lgkmcnt(0)
	v_add_f32_e32 v12, v18, v12
	s_or_b32 exec_lo, exec_lo, s0
	s_and_saveexec_b32 s0, vcc_lo
	s_cbranch_execz .LBB233_1049
.LBB233_1088:
	v_lshl_add_u32 v18, v15, 2, v16
	ds_load_b32 v18, v18 offset:416
	s_waitcnt lgkmcnt(0)
	v_add_f32_e32 v13, v18, v13
	s_or_b32 exec_lo, exec_lo, s0
	s_and_saveexec_b32 s0, vcc_lo
	s_cbranch_execnz .LBB233_1050
	s_branch .LBB233_1051
.LBB233_1089:
	ds_load_b32 v16, v15
	s_waitcnt lgkmcnt(0)
	v_add_f32_e32 v0, v16, v0
	s_or_b32 exec_lo, exec_lo, s0
	s_and_saveexec_b32 s0, vcc_lo
	s_cbranch_execz .LBB233_1057
.LBB233_1090:
	ds_load_b32 v16, v15 offset:32
	s_waitcnt lgkmcnt(0)
	v_add_f32_e32 v1, v16, v1
	s_or_b32 exec_lo, exec_lo, s0
	s_and_saveexec_b32 s0, vcc_lo
	s_cbranch_execz .LBB233_1058
.LBB233_1091:
	ds_load_b32 v16, v15 offset:64
	s_waitcnt lgkmcnt(0)
	v_add_f32_e32 v2, v16, v2
	s_or_b32 exec_lo, exec_lo, s0
	s_and_saveexec_b32 s0, vcc_lo
	s_cbranch_execz .LBB233_1059
.LBB233_1092:
	ds_load_b32 v16, v15 offset:96
	s_waitcnt lgkmcnt(0)
	v_add_f32_e32 v3, v16, v3
	s_or_b32 exec_lo, exec_lo, s0
	s_and_saveexec_b32 s0, vcc_lo
	s_cbranch_execz .LBB233_1060
.LBB233_1093:
	ds_load_b32 v16, v15 offset:128
	s_waitcnt lgkmcnt(0)
	v_add_f32_e32 v4, v16, v4
	s_or_b32 exec_lo, exec_lo, s0
	s_and_saveexec_b32 s0, vcc_lo
	s_cbranch_execz .LBB233_1061
.LBB233_1094:
	ds_load_b32 v16, v15 offset:160
	s_waitcnt lgkmcnt(0)
	v_add_f32_e32 v5, v16, v5
	s_or_b32 exec_lo, exec_lo, s0
	s_and_saveexec_b32 s0, vcc_lo
	s_cbranch_execz .LBB233_1062
.LBB233_1095:
	ds_load_b32 v16, v15 offset:192
	s_waitcnt lgkmcnt(0)
	v_add_f32_e32 v6, v16, v6
	s_or_b32 exec_lo, exec_lo, s0
	s_and_saveexec_b32 s0, vcc_lo
	s_cbranch_execz .LBB233_1063
.LBB233_1096:
	ds_load_b32 v16, v15 offset:224
	s_waitcnt lgkmcnt(0)
	v_add_f32_e32 v7, v16, v7
	s_or_b32 exec_lo, exec_lo, s0
	s_and_saveexec_b32 s0, vcc_lo
	s_cbranch_execz .LBB233_1064
.LBB233_1097:
	ds_load_b32 v16, v15 offset:256
	s_waitcnt lgkmcnt(0)
	v_add_f32_e32 v8, v16, v8
	s_or_b32 exec_lo, exec_lo, s0
	s_and_saveexec_b32 s0, vcc_lo
	s_cbranch_execz .LBB233_1065
.LBB233_1098:
	ds_load_b32 v16, v15 offset:288
	s_waitcnt lgkmcnt(0)
	v_add_f32_e32 v9, v16, v9
	s_or_b32 exec_lo, exec_lo, s0
	s_and_saveexec_b32 s0, vcc_lo
	s_cbranch_execz .LBB233_1066
.LBB233_1099:
	ds_load_b32 v16, v15 offset:320
	s_waitcnt lgkmcnt(0)
	v_add_f32_e32 v10, v16, v10
	s_or_b32 exec_lo, exec_lo, s0
	s_and_saveexec_b32 s0, vcc_lo
	s_cbranch_execz .LBB233_1067
.LBB233_1100:
	ds_load_b32 v16, v15 offset:352
	s_waitcnt lgkmcnt(0)
	v_add_f32_e32 v11, v16, v11
	s_or_b32 exec_lo, exec_lo, s0
	s_and_saveexec_b32 s0, vcc_lo
	s_cbranch_execz .LBB233_1068
.LBB233_1101:
	ds_load_b32 v16, v15 offset:384
	s_waitcnt lgkmcnt(0)
	v_add_f32_e32 v12, v16, v12
	s_or_b32 exec_lo, exec_lo, s0
	s_and_saveexec_b32 s0, vcc_lo
	s_cbranch_execz .LBB233_1069
.LBB233_1102:
	ds_load_b32 v16, v15 offset:416
	s_waitcnt lgkmcnt(0)
	v_add_f32_e32 v13, v16, v13
	s_or_b32 exec_lo, exec_lo, s0
	s_and_saveexec_b32 s0, vcc_lo
	s_cbranch_execnz .LBB233_1070
	s_branch .LBB233_1071
.Lfunc_end233:
	.size	_ZN4vllm22paged_attention_kernelIfhLi120ELi16ELi128ELNS_18Fp8KVCacheDataTypeE1ELb1ELi512EEEvPfS2_PT_PKS3_PKT0_S9_ifPKiSB_iPKfiiiSD_SD_iiiii, .Lfunc_end233-_ZN4vllm22paged_attention_kernelIfhLi120ELi16ELi128ELNS_18Fp8KVCacheDataTypeE1ELb1ELi512EEEvPfS2_PT_PKS3_PKT0_S9_ifPKiSB_iPKfiiiSD_SD_iiiii
                                        ; -- End function
	.section	.AMDGPU.csdata,"",@progbits
; Function info:
; codeLenInByte = 40064
; NumSgprs: 35
; NumVgprs: 192
; ScratchSize: 476
; MemoryBound: 0
	.section	.text._ZN4vllm25paged_attention_v2_kernelIfhLi120ELi16ELi128ELNS_18Fp8KVCacheDataTypeE1ELb1ELi512EEEvPfS2_PT_PKS3_PKT0_S9_ifPKiSB_iPKfiiiSD_SD_iiiii,"axG",@progbits,_ZN4vllm25paged_attention_v2_kernelIfhLi120ELi16ELi128ELNS_18Fp8KVCacheDataTypeE1ELb1ELi512EEEvPfS2_PT_PKS3_PKT0_S9_ifPKiSB_iPKfiiiSD_SD_iiiii,comdat
	.protected	_ZN4vllm25paged_attention_v2_kernelIfhLi120ELi16ELi128ELNS_18Fp8KVCacheDataTypeE1ELb1ELi512EEEvPfS2_PT_PKS3_PKT0_S9_ifPKiSB_iPKfiiiSD_SD_iiiii ; -- Begin function _ZN4vllm25paged_attention_v2_kernelIfhLi120ELi16ELi128ELNS_18Fp8KVCacheDataTypeE1ELb1ELi512EEEvPfS2_PT_PKS3_PKT0_S9_ifPKiSB_iPKfiiiSD_SD_iiiii
	.globl	_ZN4vllm25paged_attention_v2_kernelIfhLi120ELi16ELi128ELNS_18Fp8KVCacheDataTypeE1ELb1ELi512EEEvPfS2_PT_PKS3_PKT0_S9_ifPKiSB_iPKfiiiSD_SD_iiiii
	.p2align	8
	.type	_ZN4vllm25paged_attention_v2_kernelIfhLi120ELi16ELi128ELNS_18Fp8KVCacheDataTypeE1ELb1ELi512EEEvPfS2_PT_PKS3_PKT0_S9_ifPKiSB_iPKfiiiSD_SD_iiiii,@function
_ZN4vllm25paged_attention_v2_kernelIfhLi120ELi16ELi128ELNS_18Fp8KVCacheDataTypeE1ELb1ELi512EEEvPfS2_PT_PKS3_PKT0_S9_ifPKiSB_iPKfiiiSD_SD_iiiii: ; @_ZN4vllm25paged_attention_v2_kernelIfhLi120ELi16ELi128ELNS_18Fp8KVCacheDataTypeE1ELb1ELi512EEEvPfS2_PT_PKS3_PKT0_S9_ifPKiSB_iPKfiiiSD_SD_iiiii
; %bb.0:
	s_mov_b32 s12, s13
	s_clause 0x7
	s_load_b128 s[4:7], s[0:1], 0x78
	s_load_b32 s8, s[0:1], 0x88
	s_load_b256 s[24:31], s[0:1], 0x0
	s_load_b256 s[36:43], s[0:1], 0x20
	s_load_b64 s[2:3], s[0:1], 0x40
	s_load_b64 s[10:11], s[0:1], 0x50
	s_load_b32 s13, s[0:1], 0x48
	s_load_b256 s[16:23], s[0:1], 0x58
	s_mov_b32 s32, 0
	v_mov_b32_e32 v31, v0
	s_waitcnt lgkmcnt(0)
	v_dual_mov_b32 v1, s7 :: v_dual_mov_b32 v2, s8
	v_dual_mov_b32 v0, s24 :: v_dual_mov_b32 v3, s27
	;; [unrolled: 1-line block ×3, first 2 shown]
	v_mov_b32_e32 v6, s30
	scratch_store_b64 off, v[1:2], s32
	v_dual_mov_b32 v1, s25 :: v_dual_mov_b32 v2, s26
	v_dual_mov_b32 v7, s31 :: v_dual_mov_b32 v8, s36
	;; [unrolled: 1-line block ×13, first 2 shown]
	s_add_u32 s8, s0, 0x90
	s_addc_u32 s9, s1, 0
	s_mov_b32 s13, s14
	s_mov_b32 s14, s15
	;; [unrolled: 1-line block ×3, first 2 shown]
	s_getpc_b64 s[0:1]
	s_add_u32 s0, s0, _ZN4vllm22paged_attention_kernelIfhLi120ELi16ELi128ELNS_18Fp8KVCacheDataTypeE1ELb1ELi512EEEvPfS2_PT_PKS3_PKT0_S9_ifPKiSB_iPKfiiiSD_SD_iiiii@rel32@lo+4
	s_addc_u32 s1, s1, _ZN4vllm22paged_attention_kernelIfhLi120ELi16ELi128ELNS_18Fp8KVCacheDataTypeE1ELb1ELi512EEEvPfS2_PT_PKS3_PKT0_S9_ifPKiSB_iPKfiiiSD_SD_iiiii@rel32@hi+12
	s_delay_alu instid0(SALU_CYCLE_1)
	s_swappc_b64 s[30:31], s[0:1]
	s_endpgm
	.section	.rodata,"a",@progbits
	.p2align	6, 0x0
	.amdhsa_kernel _ZN4vllm25paged_attention_v2_kernelIfhLi120ELi16ELi128ELNS_18Fp8KVCacheDataTypeE1ELb1ELi512EEEvPfS2_PT_PKS3_PKT0_S9_ifPKiSB_iPKfiiiSD_SD_iiiii
		.amdhsa_group_segment_fixed_size 512
		.amdhsa_private_segment_fixed_size 476
		.amdhsa_kernarg_size 400
		.amdhsa_user_sgpr_count 13
		.amdhsa_user_sgpr_dispatch_ptr 0
		.amdhsa_user_sgpr_queue_ptr 0
		.amdhsa_user_sgpr_kernarg_segment_ptr 1
		.amdhsa_user_sgpr_dispatch_id 0
		.amdhsa_user_sgpr_private_segment_size 0
		.amdhsa_wavefront_size32 1
		.amdhsa_uses_dynamic_stack 0
		.amdhsa_enable_private_segment 1
		.amdhsa_system_sgpr_workgroup_id_x 1
		.amdhsa_system_sgpr_workgroup_id_y 1
		.amdhsa_system_sgpr_workgroup_id_z 1
		.amdhsa_system_sgpr_workgroup_info 0
		.amdhsa_system_vgpr_workitem_id 0
		.amdhsa_next_free_vgpr 192
		.amdhsa_next_free_sgpr 44
		.amdhsa_reserve_vcc 1
		.amdhsa_float_round_mode_32 0
		.amdhsa_float_round_mode_16_64 0
		.amdhsa_float_denorm_mode_32 3
		.amdhsa_float_denorm_mode_16_64 3
		.amdhsa_dx10_clamp 1
		.amdhsa_ieee_mode 1
		.amdhsa_fp16_overflow 0
		.amdhsa_workgroup_processor_mode 1
		.amdhsa_memory_ordered 1
		.amdhsa_forward_progress 0
		.amdhsa_shared_vgpr_count 0
		.amdhsa_exception_fp_ieee_invalid_op 0
		.amdhsa_exception_fp_denorm_src 0
		.amdhsa_exception_fp_ieee_div_zero 0
		.amdhsa_exception_fp_ieee_overflow 0
		.amdhsa_exception_fp_ieee_underflow 0
		.amdhsa_exception_fp_ieee_inexact 0
		.amdhsa_exception_int_div_zero 0
	.end_amdhsa_kernel
	.section	.text._ZN4vllm25paged_attention_v2_kernelIfhLi120ELi16ELi128ELNS_18Fp8KVCacheDataTypeE1ELb1ELi512EEEvPfS2_PT_PKS3_PKT0_S9_ifPKiSB_iPKfiiiSD_SD_iiiii,"axG",@progbits,_ZN4vllm25paged_attention_v2_kernelIfhLi120ELi16ELi128ELNS_18Fp8KVCacheDataTypeE1ELb1ELi512EEEvPfS2_PT_PKS3_PKT0_S9_ifPKiSB_iPKfiiiSD_SD_iiiii,comdat
.Lfunc_end234:
	.size	_ZN4vllm25paged_attention_v2_kernelIfhLi120ELi16ELi128ELNS_18Fp8KVCacheDataTypeE1ELb1ELi512EEEvPfS2_PT_PKS3_PKT0_S9_ifPKiSB_iPKfiiiSD_SD_iiiii, .Lfunc_end234-_ZN4vllm25paged_attention_v2_kernelIfhLi120ELi16ELi128ELNS_18Fp8KVCacheDataTypeE1ELb1ELi512EEEvPfS2_PT_PKS3_PKT0_S9_ifPKiSB_iPKfiiiSD_SD_iiiii
                                        ; -- End function
	.section	.AMDGPU.csdata,"",@progbits
; Kernel info:
; codeLenInByte = 280
; NumSgprs: 46
; NumVgprs: 192
; ScratchSize: 476
; MemoryBound: 0
; FloatMode: 240
; IeeeMode: 1
; LDSByteSize: 512 bytes/workgroup (compile time only)
; SGPRBlocks: 5
; VGPRBlocks: 23
; NumSGPRsForWavesPerEU: 46
; NumVGPRsForWavesPerEU: 192
; Occupancy: 8
; WaveLimiterHint : 1
; COMPUTE_PGM_RSRC2:SCRATCH_EN: 1
; COMPUTE_PGM_RSRC2:USER_SGPR: 13
; COMPUTE_PGM_RSRC2:TRAP_HANDLER: 0
; COMPUTE_PGM_RSRC2:TGID_X_EN: 1
; COMPUTE_PGM_RSRC2:TGID_Y_EN: 1
; COMPUTE_PGM_RSRC2:TGID_Z_EN: 1
; COMPUTE_PGM_RSRC2:TIDIG_COMP_CNT: 0
	.text
	.p2align	2                               ; -- Begin function _ZN4vllm22paged_attention_kernelIfhLi128ELi16ELi128ELNS_18Fp8KVCacheDataTypeE1ELb1ELi512EEEvPfS2_PT_PKS3_PKT0_S9_ifPKiSB_iPKfiiiSD_SD_iiiii
	.type	_ZN4vllm22paged_attention_kernelIfhLi128ELi16ELi128ELNS_18Fp8KVCacheDataTypeE1ELb1ELi512EEEvPfS2_PT_PKS3_PKT0_S9_ifPKiSB_iPKfiiiSD_SD_iiiii,@function
_ZN4vllm22paged_attention_kernelIfhLi128ELi16ELi128ELNS_18Fp8KVCacheDataTypeE1ELb1ELi512EEEvPfS2_PT_PKS3_PKT0_S9_ifPKiSB_iPKfiiiSD_SD_iiiii: ; @_ZN4vllm22paged_attention_kernelIfhLi128ELi16ELi128ELNS_18Fp8KVCacheDataTypeE1ELb1ELi512EEEvPfS2_PT_PKS3_PKT0_S9_ifPKiSB_iPKfiiiSD_SD_iiiii
; %bb.0:
	s_waitcnt vmcnt(0) expcnt(0) lgkmcnt(0)
	s_clause 0x1f
	scratch_store_b32 off, v40, s32 offset:324
	; meta instruction
	scratch_store_b32 off, v41, s32 offset:320
	; meta instruction
	;; [unrolled: 2-line block ×31, first 2 shown]
	scratch_store_b32 off, v95, s32 offset:200
	s_clause 0x1f
	scratch_store_b32 off, v104, s32 offset:196
	; meta instruction
	scratch_store_b32 off, v105, s32 offset:192
	; meta instruction
	;; [unrolled: 2-line block ×31, first 2 shown]
	scratch_store_b32 off, v159, s32 offset:72
	s_clause 0xf
	scratch_store_b32 off, v168, s32 offset:68
	; meta instruction
	scratch_store_b32 off, v169, s32 offset:64
	; meta instruction
	;; [unrolled: 2-line block ×15, first 2 shown]
	scratch_store_b32 off, v191, s32 offset:8
	s_mov_b32 s16, s13
	s_ashr_i32 s17, s13, 31
	s_clause 0x1
	scratch_store_b64 off, v[26:27], s32 offset:412
	scratch_store_b32 off, v22, s32 offset:396
	s_lshl_b64 s[0:1], s[16:17], 2
	v_dual_mov_b32 v33, v1 :: v_dual_mov_b32 v26, v0
	v_add_co_u32 v0, vcc_lo, v16, s0
	v_add_co_ci_u32_e32 v1, vcc_lo, s1, v17, vcc_lo
	s_clause 0x1
	scratch_store_b32 off, v5, s32 offset:440
	scratch_store_b32 off, v4, s32 offset:444
	v_dual_mov_b32 v27, v3 :: v_dual_mov_b32 v32, v2
	flat_load_b32 v47, v[0:1]
	s_clause 0x1
	scratch_load_b32 v3, off, s32 offset:4
	scratch_load_b32 v4, off, s32
	v_dual_mov_b32 v52, v11 :: v_dual_mov_b32 v53, v10
	s_lshl_b32 s20, s14, 9
	s_mov_b32 s17, exec_lo
	s_waitcnt vmcnt(2) lgkmcnt(0)
	v_cmpx_lt_i32_e64 s20, v47
	s_cbranch_execz .LBB235_1142
; %bb.1:
	v_sub_nc_u32_e32 v0, 0, v12
	s_clause 0x1
	s_load_b32 s0, s[8:9], 0x10
	s_load_b32 s1, s[8:9], 0x0
	s_mov_b32 s10, s15
	v_max_i32_e32 v0, v12, v0
	s_delay_alu instid0(VALU_DEP_1) | instskip(SKIP_1) | instid1(VALU_DEP_2)
	v_cvt_f32_u32_e32 v1, v0
	v_sub_nc_u32_e32 v2, 0, v0
	v_rcp_iflag_f32_e32 v1, v1
	s_waitcnt lgkmcnt(0)
	s_lshr_b32 s0, s0, 16
	s_delay_alu instid0(SALU_CYCLE_1)
	s_cmp_lg_u32 s0, 0
	s_cselect_b32 s0, -1, 0
	s_waitcnt_depctr 0xfff
	v_mul_f32_e32 v1, 0x4f7ffffe, v1
	s_cmp_lg_u32 s0, 0
	s_addc_u32 s15, s1, 0
	s_abs_i32 s1, s12
	s_delay_alu instid0(VALU_DEP_1) | instskip(SKIP_1) | instid1(VALU_DEP_1)
	v_cvt_u32_f32_e32 v1, v1
	s_abs_i32 s0, s15
	v_mul_lo_u32 v2, v2, v1
	s_delay_alu instid0(VALU_DEP_1) | instskip(NEXT) | instid1(VALU_DEP_1)
	v_mul_hi_u32 v2, v1, v2
	v_add_nc_u32_e32 v1, v1, v2
	s_delay_alu instid0(VALU_DEP_1) | instskip(NEXT) | instid1(VALU_DEP_1)
	v_mul_hi_u32 v1, s0, v1
	v_mul_lo_u32 v2, v1, v0
	v_add_nc_u32_e32 v5, 1, v1
	s_delay_alu instid0(VALU_DEP_2) | instskip(SKIP_1) | instid1(VALU_DEP_1)
	v_sub_nc_u32_e32 v2, s0, v2
	s_mov_b32 s0, exec_lo
	v_sub_nc_u32_e32 v10, v2, v0
	v_cmp_ge_u32_e32 vcc_lo, v2, v0
	s_delay_alu instid0(VALU_DEP_2) | instskip(SKIP_1) | instid1(VALU_DEP_2)
	v_dual_cndmask_b32 v1, v1, v5 :: v_dual_cndmask_b32 v2, v2, v10
	v_xor_b32_e32 v5, s15, v12
	v_add_nc_u32_e32 v10, 1, v1
	s_delay_alu instid0(VALU_DEP_3) | instskip(NEXT) | instid1(VALU_DEP_3)
	v_cmp_ge_u32_e32 vcc_lo, v2, v0
	v_ashrrev_i32_e32 v5, 31, v5
	s_delay_alu instid0(VALU_DEP_3) | instskip(NEXT) | instid1(VALU_DEP_1)
	v_cndmask_b32_e32 v0, v1, v10, vcc_lo
	v_xor_b32_e32 v0, v0, v5
	s_delay_alu instid0(VALU_DEP_1) | instskip(NEXT) | instid1(VALU_DEP_1)
	v_sub_nc_u32_e32 v2, v0, v5
	v_sub_nc_u32_e32 v0, 0, v2
	s_delay_alu instid0(VALU_DEP_1) | instskip(NEXT) | instid1(VALU_DEP_1)
	v_max_i32_e32 v5, v2, v0
	v_cvt_f32_u32_e32 v0, v5
	v_sub_nc_u32_e32 v1, 0, v5
	s_delay_alu instid0(VALU_DEP_2) | instskip(SKIP_2) | instid1(VALU_DEP_1)
	v_rcp_iflag_f32_e32 v0, v0
	s_waitcnt_depctr 0xfff
	v_mul_f32_e32 v0, 0x4f7ffffe, v0
	v_cvt_u32_f32_e32 v0, v0
	s_delay_alu instid0(VALU_DEP_1) | instskip(NEXT) | instid1(VALU_DEP_1)
	v_mul_lo_u32 v1, v1, v0
	v_mul_hi_u32 v1, v0, v1
	s_delay_alu instid0(VALU_DEP_1) | instskip(NEXT) | instid1(VALU_DEP_1)
	v_add_nc_u32_e32 v10, v0, v1
	v_mad_u64_u32 v[0:1], null, s1, v10, 0
	v_mov_b32_e32 v0, 0
	scratch_store_b32 off, v0, s32 offset:428 ; 4-byte Folded Spill
	v_cmpx_ne_u64_e32 0, v[19:20]
	s_cbranch_execz .LBB235_3
; %bb.2:
	s_ashr_i32 s13, s12, 31
	s_delay_alu instid0(SALU_CYCLE_1) | instskip(NEXT) | instid1(SALU_CYCLE_1)
	s_lshl_b64 s[2:3], s[12:13], 2
	v_add_co_u32 v10, vcc_lo, v19, s2
	v_add_co_ci_u32_e32 v11, vcc_lo, s3, v20, vcc_lo
	flat_load_b32 v0, v[10:11]
	s_waitcnt vmcnt(0) lgkmcnt(0)
	scratch_store_b32 off, v0, s32 offset:428 ; 4-byte Folded Spill
.LBB235_3:
	s_or_b32 exec_lo, exec_lo, s0
	v_and_b32_e32 v16, 0x3ff, v31
	v_ashrrev_i32_e32 v0, 31, v2
	s_ashr_i32 s2, s12, 31
	s_lshl_b32 s6, s12, 7
	s_delay_alu instid0(VALU_DEP_2) | instskip(SKIP_2) | instid1(VALU_DEP_2)
	v_and_b32_e32 v2, 1, v16
	v_cmp_gt_u32_e64 s0, 64, v16
	v_lshlrev_b32_e32 v54, 2, v16
	s_and_saveexec_b32 s3, s0
	s_cbranch_execz .LBB235_5
; %bb.4:
	v_mul_lo_u32 v10, s16, v21
	s_ashr_i32 s7, s6, 31
	v_lshlrev_b32_e32 v17, 3, v16
	s_lshl_b64 s[4:5], s[6:7], 2
	s_delay_alu instid0(VALU_DEP_2) | instskip(NEXT) | instid1(VALU_DEP_1)
	v_ashrrev_i32_e32 v11, 31, v10
	v_lshlrev_b64 v[10:11], 2, v[10:11]
	s_delay_alu instid0(VALU_DEP_1) | instskip(NEXT) | instid1(VALU_DEP_2)
	v_add_co_u32 v6, vcc_lo, v6, v10
	v_add_co_ci_u32_e32 v7, vcc_lo, v7, v11, vcc_lo
	v_and_b32_e32 v10, 0xff8, v54
	s_delay_alu instid0(VALU_DEP_3) | instskip(NEXT) | instid1(VALU_DEP_3)
	v_add_co_u32 v6, vcc_lo, v6, s4
	v_add_co_ci_u32_e32 v7, vcc_lo, s5, v7, vcc_lo
	s_delay_alu instid0(VALU_DEP_3) | instskip(NEXT) | instid1(VALU_DEP_3)
	v_lshl_add_u32 v10, v2, 8, v10
	v_add_co_u32 v6, vcc_lo, v6, v17
	s_delay_alu instid0(VALU_DEP_3)
	v_add_co_ci_u32_e32 v7, vcc_lo, 0, v7, vcc_lo
	flat_load_b64 v[6:7], v[6:7]
	s_waitcnt vmcnt(0) lgkmcnt(0)
	ds_store_b64 v10, v[6:7]
.LBB235_5:
	s_or_b32 exec_lo, exec_lo, s3
	s_waitcnt vmcnt(0)
	v_sub_nc_u32_e32 v6, 0, v4
	v_mul_lo_u32 v7, v1, v5
	s_delay_alu instid0(VALU_DEP_2) | instskip(NEXT) | instid1(VALU_DEP_2)
	v_max_i32_e32 v11, v4, v6
	v_sub_nc_u32_e32 v7, s1, v7
	s_delay_alu instid0(VALU_DEP_2) | instskip(SKIP_1) | instid1(VALU_DEP_2)
	v_cvt_f32_u32_e32 v6, v11
	s_mov_b32 s1, exec_lo
	v_sub_nc_u32_e32 v19, v7, v5
	s_delay_alu instid0(VALU_DEP_2) | instskip(SKIP_3) | instid1(VALU_DEP_1)
	v_rcp_iflag_f32_e32 v6, v6
	v_cmp_ge_u32_e32 vcc_lo, v7, v5
	s_waitcnt_depctr 0xfff
	v_mul_f32_e32 v6, 0x4f7ffffe, v6
	v_cvt_u32_f32_e32 v10, v6
	v_sub_nc_u32_e32 v6, 0, v11
	s_delay_alu instid0(VALU_DEP_1) | instskip(SKIP_1) | instid1(VALU_DEP_2)
	v_mul_lo_u32 v17, v6, v10
	v_add_nc_u32_e32 v6, -1, v47
	v_mul_hi_u32 v20, v10, v17
	v_cndmask_b32_e32 v7, v7, v19, vcc_lo
	s_delay_alu instid0(VALU_DEP_3) | instskip(SKIP_1) | instid1(VALU_DEP_4)
	v_sub_nc_u32_e32 v19, 0, v6
	v_xor_b32_e32 v17, s2, v0
	v_add_nc_u32_e32 v10, v10, v20
	scratch_store_b32 off, v11, s32 offset:328 ; 4-byte Folded Spill
	v_add_nc_u32_e32 v11, 1, v1
	scratch_store_b32 off, v10, s32 offset:348 ; 4-byte Folded Spill
	s_waitcnt lgkmcnt(0)
	s_waitcnt_vscnt null, 0x0
	v_cndmask_b32_e32 v1, v1, v11, vcc_lo
	v_cmp_ge_u32_e32 vcc_lo, v7, v5
	v_max_i32_e32 v5, v6, v19
	s_barrier
	buffer_gl0_inv
	v_add_nc_u32_e32 v11, 1, v1
	s_delay_alu instid0(VALU_DEP_1) | instskip(NEXT) | instid1(VALU_DEP_1)
	v_cndmask_b32_e32 v0, v1, v11, vcc_lo
	v_xor_b32_e32 v7, v0, v17
	v_mad_u64_u32 v[0:1], null, v5, v10, 0
	s_delay_alu instid0(VALU_DEP_2)
	v_sub_nc_u32_e32 v0, v7, v17
                                        ; implicit-def: $vgpr7
	scratch_store_b64 off, v[7:8], s32 offset:332 ; 8-byte Folded Spill
	v_cmpx_gt_i32_e32 0, v3
	s_xor_b32 s1, exec_lo, s1
	s_cbranch_execz .LBB235_7
; %bb.6:
	v_mad_u64_u32 v[10:11], null, v28, v12, v[0:1]
                                        ; implicit-def: $vgpr28
	s_delay_alu instid0(VALU_DEP_1) | instskip(NEXT) | instid1(VALU_DEP_1)
	v_mul_lo_u32 v3, v10, v3
	v_sub_nc_u32_e32 v3, 1, v3
	scratch_store_b64 off, v[3:4], s32 offset:332 ; 8-byte Folded Spill
                                        ; implicit-def: $vgpr3
.LBB235_7:
	s_or_saveexec_b32 s1, s1
	v_ashrrev_i32_e32 v6, 31, v6
	v_ashrrev_i32_e32 v4, 31, v4
	scratch_store_b32 off, v4, s32 offset:340 ; 4-byte Folded Spill
	s_xor_b32 exec_lo, exec_lo, s1
	s_cbranch_execz .LBB235_9
; %bb.8:
	v_mad_u64_u32 v[10:11], null, s15, v28, s[12:13]
	s_delay_alu instid0(VALU_DEP_1)
	v_mad_u64_u32 v[11:12], null, v10, v3, 1
	scratch_store_b64 off, v[11:12], s32 offset:332 ; 8-byte Folded Spill
.LBB235_9:
	s_or_b32 exec_lo, exec_lo, s1
	scratch_load_b32 v12, off, s32 offset:328 ; 4-byte Folded Reload
	v_add_nc_u32_e32 v7, 1, v1
	s_clause 0x1
	s_load_b32 s21, s[8:9], 0x14
	s_load_b32 s7, s[8:9], 0x8
	v_dual_mov_b32 v133, 0xff7fffff :: v_dual_add_nc_u32 v4, 15, v47
	v_mul_lo_u32 v55, v0, v23
	s_lshl_b32 s13, s14, 5
	v_mbcnt_lo_u32_b32 v132, -1, 0
	s_delay_alu instid0(VALU_DEP_3) | instskip(SKIP_1) | instid1(VALU_DEP_3)
	v_ashrrev_i32_e32 v10, 31, v4
	s_add_i32 s1, s13, 32
	v_ashrrev_i32_e32 v19, 31, v55
	s_waitcnt vmcnt(0)
	v_mul_lo_u32 v3, v1, v12
	s_delay_alu instid0(VALU_DEP_1) | instskip(SKIP_2) | instid1(VALU_DEP_3)
	v_sub_nc_u32_e32 v5, v5, v3
	v_mul_lo_u32 v3, s16, v18
	v_sub_nc_u32_e32 v18, 0, v30
	v_cmp_ge_u32_e32 vcc_lo, v5, v12
	v_sub_nc_u32_e32 v11, v5, v12
	v_cndmask_b32_e32 v1, v1, v7, vcc_lo
	scratch_load_b32 v7, off, s32 offset:340 ; 4-byte Folded Reload
	v_cndmask_b32_e32 v5, v5, v11, vcc_lo
	v_lshrrev_b32_e32 v11, 5, v16
	s_delay_alu instid0(VALU_DEP_1) | instskip(SKIP_1) | instid1(VALU_DEP_2)
	v_or_b32_e32 v112, s13, v11
	v_lshl_add_u32 v23, v11, 4, s20
	v_ashrrev_i32_e32 v113, 31, v112
	s_waitcnt vmcnt(0)
	v_xor_b32_e32 v6, v6, v7
	v_lshrrev_b32_e32 v7, 28, v10
	v_add_nc_u32_e32 v10, 1, v1
	v_cmp_ge_u32_e32 vcc_lo, v5, v12
	s_delay_alu instid0(VALU_DEP_2) | instskip(NEXT) | instid1(VALU_DEP_1)
	v_dual_cndmask_b32 v1, v1, v10 :: v_dual_add_nc_u32 v4, v4, v7
	v_ashrrev_i32_e32 v17, 4, v4
	v_ashrrev_i32_e32 v4, 31, v3
	s_delay_alu instid0(VALU_DEP_3) | instskip(NEXT) | instid1(VALU_DEP_3)
	v_xor_b32_e32 v0, v1, v6
	v_min_i32_e32 v1, s1, v17
	s_delay_alu instid0(VALU_DEP_2) | instskip(NEXT) | instid1(VALU_DEP_2)
	v_sub_nc_u32_e32 v0, v0, v6
	v_cmp_lt_i32_e64 s1, v112, v1
	s_delay_alu instid0(VALU_DEP_2)
	v_sub_nc_u32_e32 v0, v0, v29
	s_clause 0x1
	scratch_store_b32 off, v1, s32 offset:344
	scratch_store_b32 off, v11, s32 offset:436
	v_lshlrev_b64 v[11:12], 2, v[3:4]
	scratch_store_b32 off, v0, s32 offset:352 ; 4-byte Folded Spill
	s_mov_b32 s22, exec_lo
	s_delay_alu instid0(SALU_CYCLE_1)
	s_and_b32 s2, s22, s1
	scratch_store_b32 off, v16, s32 offset:448 ; 4-byte Folded Spill
	s_mov_b32 exec_lo, s2
	s_cbranch_execz .LBB235_531
; %bb.10:
	v_max_i32_e32 v10, v30, v18
	s_clause 0x9
	scratch_store_b32 off, v17, s32 offset:504
	scratch_store_b32 off, v54, s32 offset:488
	;; [unrolled: 1-line block ×10, first 2 shown]
	v_add_co_u32 v4, s2, v8, v55
	s_delay_alu instid0(VALU_DEP_1)
	v_add_co_ci_u32_e64 v5, s2, v9, v19, s2
	v_cvt_f32_u32_e32 v0, v10
	v_cmp_eq_u32_e32 vcc_lo, 0, v2
	v_dual_mov_b32 v29, 0 :: v_dual_lshlrev_b32 v148, 8, v2
	scratch_load_b32 v9, off, s32 offset:436 ; 4-byte Folded Reload
	v_rcp_iflag_f32_e32 v3, v0
	scratch_load_b32 v0, off, s32 offset:428 ; 4-byte Folded Reload
	v_lshlrev_b32_e32 v163, 1, v2
	s_ashr_i32 s11, s10, 31
	s_getpc_b64 s[4:5]
	s_add_u32 s4, s4, llvm.amdgcn.dynlds.offset.table@rel32@lo+4
	s_addc_u32 s5, s5, llvm.amdgcn.dynlds.offset.table@rel32@hi+12
	s_lshl_b64 s[8:9], s[10:11], 2
	v_bfe_u32 v162, v16, 1, 4
	s_add_u32 s8, s8, s4
	s_addc_u32 s9, s9, s5
	v_mov_b32_e32 v149, 0xff7fffff
	v_mul_f32_e32 v2, 0x4f7ffffe, v3
	v_lshlrev_b32_e32 v6, 4, v162
	v_sub_nc_u32_e32 v3, 0, v10
	s_load_b32 s11, s[8:9], 0x0
	v_lshlrev_b32_e32 v7, 2, v162
	v_cvt_u32_f32_e32 v2, v2
	v_sub_nc_u32_e32 v8, v162, v47
	v_mov_b32_e32 v133, 0xff7fffff
	s_mov_b32 s18, 0
	s_brev_b32 s19, 1
	v_mul_lo_u32 v3, v3, v2
	s_mov_b32 s5, 0x7f800001
	s_mov_b32 s23, s18
	scratch_store_b32 off, v19, s32 offset:512 ; 4-byte Folded Spill
	v_mul_hi_u32 v3, v2, v3
	v_mov_b32_e32 v145, v112
	s_waitcnt vmcnt(1)
	v_lshl_add_u32 v144, v9, 4, s20
	v_lshl_or_b32 v20, v9, 6, v7
	s_waitcnt vmcnt(0)
	v_cmp_neq_f32_e64 s2, 0, v0
	v_lshlrev_b64 v[0:1], 2, v[112:113]
	s_delay_alu instid0(VALU_DEP_1) | instskip(NEXT) | instid1(VALU_DEP_1)
	v_add_co_u32 v0, s3, v11, v0
	v_add_co_ci_u32_e64 v1, s3, v12, v1, s3
	v_add_co_u32 v4, s3, v4, v6
	s_delay_alu instid0(VALU_DEP_1) | instskip(NEXT) | instid1(VALU_DEP_4)
	v_add_co_ci_u32_e64 v5, s3, 0, v5, s3
	v_add_co_u32 v118, s3, v14, v0
	v_add_nc_u32_e32 v0, v2, v3
	s_clause 0x2
	scratch_store_b32 off, v55, s32 offset:500
	scratch_store_b64 off, v[11:12], s32 offset:492
	scratch_store_b64 off, v[4:5], s32 offset:420
	v_add_nc_u32_e32 v4, 1, v8
	v_add_co_ci_u32_e64 v119, s3, v15, v1, s3
	s_clause 0x3
	scratch_store_b32 off, v4, s32 offset:432
	scratch_store_b32 off, v14, s32 offset:456
	;; [unrolled: 1-line block ×4, first 2 shown]
	s_branch .LBB235_13
.LBB235_11:                             ;   in Loop: Header=BB235_13 Depth=1
	s_or_b32 exec_lo, exec_lo, s4
.LBB235_12:                             ;   in Loop: Header=BB235_13 Depth=1
	s_delay_alu instid0(SALU_CYCLE_1) | instskip(SKIP_3) | instid1(VALU_DEP_1)
	s_or_b32 exec_lo, exec_lo, s24
	scratch_load_b32 v0, off, s32 offset:344 ; 4-byte Folded Reload
	v_add_nc_u32_e32 v145, 4, v145
	v_add_co_u32 v118, s4, v118, 16
	v_add_co_ci_u32_e64 v119, s4, 0, v119, s4
	v_add_nc_u32_e32 v144, 64, v144
	v_add_nc_u32_e32 v20, 0x100, v20
	s_waitcnt vmcnt(0)
	v_cmp_ge_i32_e64 s3, v145, v0
	s_delay_alu instid0(VALU_DEP_1) | instskip(NEXT) | instid1(SALU_CYCLE_1)
	s_or_b32 s23, s3, s23
	s_and_not1_b32 exec_lo, exec_lo, s23
	s_cbranch_execz .LBB235_530
.LBB235_13:                             ; =>This Inner Loop Header: Depth=1
	s_waitcnt lgkmcnt(0)
	s_clause 0x2
	scratch_load_b32 v1, off, s32 offset:348
	scratch_load_b32 v5, off, s32 offset:340
	;; [unrolled: 1-line block ×3, first 2 shown]
	v_sub_nc_u32_e32 v0, 0, v144
	s_delay_alu instid0(VALU_DEP_1) | instskip(SKIP_1) | instid1(VALU_DEP_1)
	v_max_i32_e32 v0, v144, v0
	s_waitcnt vmcnt(2)
	v_mul_hi_u32 v1, v0, v1
	s_waitcnt vmcnt(0)
	s_delay_alu instid0(VALU_DEP_1) | instskip(NEXT) | instid1(VALU_DEP_1)
	v_mul_lo_u32 v2, v1, v4
	v_sub_nc_u32_e32 v0, v0, v2
	v_add_nc_u32_e32 v2, 1, v1
	s_delay_alu instid0(VALU_DEP_2) | instskip(SKIP_1) | instid1(VALU_DEP_1)
	v_sub_nc_u32_e32 v3, v0, v4
	v_cmp_ge_u32_e64 s3, v0, v4
	v_cndmask_b32_e64 v1, v1, v2, s3
	s_delay_alu instid0(VALU_DEP_3) | instskip(SKIP_1) | instid1(VALU_DEP_3)
	v_cndmask_b32_e64 v0, v0, v3, s3
	v_ashrrev_i32_e32 v2, 31, v144
	v_add_nc_u32_e32 v3, 1, v1
	s_delay_alu instid0(VALU_DEP_3) | instskip(NEXT) | instid1(VALU_DEP_3)
	v_cmp_ge_u32_e64 s3, v0, v4
	v_xor_b32_e32 v2, v2, v5
	s_delay_alu instid0(VALU_DEP_2) | instskip(SKIP_2) | instid1(VALU_DEP_1)
	v_cndmask_b32_e64 v0, v1, v3, s3
	scratch_load_b32 v3, off, s32 offset:400 ; 4-byte Folded Reload
	v_xor_b32_e32 v0, v0, v2
	v_sub_nc_u32_e32 v0, v0, v2
	scratch_load_b64 v[1:2], off, s32 offset:332 ; 8-byte Folded Reload
	s_waitcnt vmcnt(0)
	v_add_nc_u32_e32 v1, v0, v1
	s_delay_alu instid0(VALU_DEP_1) | instskip(NEXT) | instid1(VALU_DEP_1)
	v_sub_nc_u32_e32 v2, 0, v1
	v_max_i32_e32 v2, v1, v2
	v_ashrrev_i32_e32 v1, 31, v1
	s_delay_alu instid0(VALU_DEP_2) | instskip(NEXT) | instid1(VALU_DEP_1)
	v_mul_hi_u32 v3, v2, v3
	v_mul_lo_u32 v3, v3, v10
	s_delay_alu instid0(VALU_DEP_1) | instskip(NEXT) | instid1(VALU_DEP_1)
	v_sub_nc_u32_e32 v2, v2, v3
	v_sub_nc_u32_e32 v3, v2, v10
	v_cmp_ge_u32_e64 s3, v2, v10
	s_delay_alu instid0(VALU_DEP_1) | instskip(NEXT) | instid1(VALU_DEP_1)
	v_cndmask_b32_e64 v2, v2, v3, s3
	v_sub_nc_u32_e32 v3, v2, v10
	v_cmp_ge_u32_e64 s3, v2, v10
	s_delay_alu instid0(VALU_DEP_1) | instskip(NEXT) | instid1(VALU_DEP_1)
	v_cndmask_b32_e64 v2, v2, v3, s3
	v_xor_b32_e32 v2, v2, v1
	s_delay_alu instid0(VALU_DEP_1) | instskip(NEXT) | instid1(VALU_DEP_1)
	v_sub_nc_u32_e32 v1, v2, v1
	v_cmp_ne_u32_e64 s3, 0, v1
	scratch_load_b32 v1, off, s32 offset:352 ; 4-byte Folded Reload
	s_waitcnt vmcnt(0)
	v_cmp_le_i32_e64 s4, v0, v1
	s_delay_alu instid0(VALU_DEP_1) | instskip(NEXT) | instid1(SALU_CYCLE_1)
	s_and_b32 s3, s3, s4
	s_and_b32 s24, vcc_lo, s3
	s_delay_alu instid0(SALU_CYCLE_1)
	s_and_saveexec_b32 s4, s24
	s_cbranch_execz .LBB235_15
; %bb.14:                               ;   in Loop: Header=BB235_13 Depth=1
	s_waitcnt lgkmcnt(0)
	v_add_nc_u32_e32 v0, s11, v20
	ds_store_b32 v0, v149
.LBB235_15:                             ;   in Loop: Header=BB235_13 Depth=1
	s_or_b32 exec_lo, exec_lo, s4
	s_xor_b32 s3, s3, -1
	s_delay_alu instid0(SALU_CYCLE_1)
	s_and_saveexec_b32 s24, s3
	s_cbranch_execz .LBB235_12
; %bb.16:                               ;   in Loop: Header=BB235_13 Depth=1
	flat_load_b32 v2, v[118:119]
	s_clause 0x1
	scratch_load_b32 v3, off, s32 offset:396
	scratch_load_b64 v[4:5], off, s32 offset:420
	s_mov_b32 s4, exec_lo
	s_waitcnt vmcnt(0) lgkmcnt(0)
	v_mad_i64_i32 v[0:1], null, v2, v3, v[4:5]
	s_delay_alu instid0(VALU_DEP_1) | instskip(NEXT) | instid1(VALU_DEP_1)
	v_add_co_u32 v150, s3, v0, v163
	v_add_co_ci_u32_e64 v151, s3, 0, v1, s3
	flat_load_u16 v0, v[150:151]
	flat_load_b32 v128, v[24:25]
	ds_load_b128 v[100:103], v148
	ds_load_b128 v[96:99], v148 offset:16
	ds_load_b128 v[84:87], v148 offset:32
	;; [unrolled: 1-line block ×11, first 2 shown]
	ds_load_b64 v[1:2], v148 offset:192
	v_mov_b32_e32 v130, 0
	v_mov_b32_e32 v131, 0
	s_waitcnt lgkmcnt(0)
	scratch_store_b64 off, v[1:2], s32 offset:404 ; 8-byte Folded Spill
	s_waitcnt vmcnt(1)
	v_and_b32_e32 v1, 0xff, v0
	v_and_b32_e32 v0, 0xffff, v0
	scratch_store_b64 off, v[130:131], s32 offset:356 ; 8-byte Folded Spill
	v_cmpx_ne_u16_e32 0, v1
	s_cbranch_execz .LBB235_24
; %bb.17:                               ;   in Loop: Header=BB235_13 Depth=1
	v_bfrev_b32_e32 v2, 1
	v_and_b32_e32 v1, 0xff, v0
	v_mov_b32_e32 v3, 0
	s_mov_b32 s25, exec_lo
	scratch_store_b64 off, v[2:3], s32 offset:356 ; 8-byte Folded Spill
	v_cmpx_ne_u16_e32 0x80, v1
	s_cbranch_execz .LBB235_23
; %bb.18:                               ;   in Loop: Header=BB235_13 Depth=1
	v_mov_b32_e32 v3, 0x7f800001
	v_and_b32_e32 v2, 0x7f, v0
	v_mov_b32_e32 v4, 0
	s_mov_b32 s26, exec_lo
	scratch_store_b64 off, v[3:4], s32 offset:356 ; 8-byte Folded Spill
	v_cmpx_ne_u32_e32 0x7f, v2
	s_cbranch_execz .LBB235_22
; %bb.19:                               ;   in Loop: Header=BB235_13 Depth=1
	v_and_b32_e32 v28, 7, v0
	v_lshrrev_b32_e32 v1, 3, v2
	s_mov_b32 s27, exec_lo
	v_cmpx_gt_u32_e32 8, v2
; %bb.20:                               ;   in Loop: Header=BB235_13 Depth=1
	s_delay_alu instid0(VALU_DEP_3) | instskip(NEXT) | instid1(VALU_DEP_1)
	v_clz_i32_u32_e32 v1, v28
	v_min_u32_e32 v1, 32, v1
	s_delay_alu instid0(VALU_DEP_1) | instskip(SKIP_1) | instid1(VALU_DEP_2)
	v_subrev_nc_u32_e32 v2, 28, v1
	v_sub_nc_u32_e32 v1, 29, v1
	v_lshlrev_b64 v[2:3], v2, v[28:29]
	s_delay_alu instid0(VALU_DEP_1)
	v_and_b32_e32 v28, 7, v2
; %bb.21:                               ;   in Loop: Header=BB235_13 Depth=1
	s_or_b32 exec_lo, exec_lo, s27
	v_lshlrev_b32_e32 v2, 24, v0
	s_delay_alu instid0(VALU_DEP_2) | instskip(SKIP_1) | instid1(VALU_DEP_3)
	v_lshlrev_b32_e32 v3, 20, v28
	v_lshl_add_u32 v1, v1, 23, 0x3c000000
	v_and_b32_e32 v2, 0x80000000, v2
	s_delay_alu instid0(VALU_DEP_1)
	v_or3_b32 v28, v3, v2, v1
	scratch_store_b64 off, v[28:29], s32 offset:356 ; 8-byte Folded Spill
.LBB235_22:                             ;   in Loop: Header=BB235_13 Depth=1
	s_or_b32 exec_lo, exec_lo, s26
.LBB235_23:                             ;   in Loop: Header=BB235_13 Depth=1
	s_delay_alu instid0(SALU_CYCLE_1)
	s_or_b32 exec_lo, exec_lo, s25
.LBB235_24:                             ;   in Loop: Header=BB235_13 Depth=1
	s_delay_alu instid0(SALU_CYCLE_1) | instskip(SKIP_2) | instid1(VALU_DEP_1)
	s_or_b32 exec_lo, exec_lo, s4
	v_lshrrev_b16 v1, 8, v0
	s_mov_b32 s25, exec_lo
	v_cmpx_ne_u16_e32 0, v1
	s_cbranch_execz .LBB235_32
; %bb.25:                               ;   in Loop: Header=BB235_13 Depth=1
	v_dual_mov_b32 v131, s19 :: v_dual_mov_b32 v130, s18
	s_mov_b32 s26, exec_lo
	v_cmpx_ne_u16_e32 0x80, v1
	s_cbranch_execz .LBB235_31
; %bb.26:                               ;   in Loop: Header=BB235_13 Depth=1
	s_mov_b32 s4, s18
	v_and_b32_e32 v1, 0xffff, v1
	v_dual_mov_b32 v131, s5 :: v_dual_mov_b32 v130, s4
	s_mov_b32 s4, exec_lo
	s_delay_alu instid0(VALU_DEP_2) | instskip(NEXT) | instid1(VALU_DEP_1)
	v_and_b32_e32 v2, 0x7f, v1
	v_cmpx_ne_u32_e32 0x7f, v2
	s_cbranch_execz .LBB235_30
; %bb.27:                               ;   in Loop: Header=BB235_13 Depth=1
	v_and_b32_e32 v28, 7, v1
	v_lshrrev_b32_e32 v1, 3, v2
	s_mov_b32 s27, exec_lo
	v_cmpx_gt_u32_e32 8, v2
; %bb.28:                               ;   in Loop: Header=BB235_13 Depth=1
	s_delay_alu instid0(VALU_DEP_3) | instskip(NEXT) | instid1(VALU_DEP_1)
	v_clz_i32_u32_e32 v1, v28
	v_min_u32_e32 v1, 32, v1
	s_delay_alu instid0(VALU_DEP_1) | instskip(SKIP_1) | instid1(VALU_DEP_2)
	v_subrev_nc_u32_e32 v2, 28, v1
	v_sub_nc_u32_e32 v1, 29, v1
	v_lshlrev_b64 v[2:3], v2, v[28:29]
	s_delay_alu instid0(VALU_DEP_1)
	v_and_b32_e32 v28, 7, v2
; %bb.29:                               ;   in Loop: Header=BB235_13 Depth=1
	s_or_b32 exec_lo, exec_lo, s27
	v_lshlrev_b32_e32 v0, 16, v0
	s_delay_alu instid0(VALU_DEP_2) | instskip(SKIP_2) | instid1(VALU_DEP_4)
	v_lshlrev_b32_e32 v2, 20, v28
	v_lshl_add_u32 v1, v1, 23, 0x3c000000
	v_mov_b32_e32 v130, v29
	v_and_b32_e32 v0, 0x80000000, v0
	s_delay_alu instid0(VALU_DEP_1)
	v_or3_b32 v131, v2, v0, v1
.LBB235_30:                             ;   in Loop: Header=BB235_13 Depth=1
	s_or_b32 exec_lo, exec_lo, s4
.LBB235_31:                             ;   in Loop: Header=BB235_13 Depth=1
	s_delay_alu instid0(SALU_CYCLE_1)
	s_or_b32 exec_lo, exec_lo, s26
.LBB235_32:                             ;   in Loop: Header=BB235_13 Depth=1
	s_delay_alu instid0(SALU_CYCLE_1)
	s_or_b32 exec_lo, exec_lo, s25
	flat_load_u16 v0, v[150:151] offset:4
	v_mov_b32_e32 v134, 0
	v_mov_b32_e32 v135, 0
	s_mov_b32 s4, exec_lo
	s_waitcnt vmcnt(0) lgkmcnt(0)
	v_and_b32_e32 v1, 0xff, v0
	v_and_b32_e32 v0, 0xffff, v0
	scratch_store_b64 off, v[134:135], s32 offset:364 ; 8-byte Folded Spill
	v_cmpx_ne_u16_e32 0, v1
	s_cbranch_execz .LBB235_40
; %bb.33:                               ;   in Loop: Header=BB235_13 Depth=1
	v_bfrev_b32_e32 v2, 1
	v_and_b32_e32 v1, 0xff, v0
	v_mov_b32_e32 v3, 0
	s_mov_b32 s25, exec_lo
	scratch_store_b64 off, v[2:3], s32 offset:364 ; 8-byte Folded Spill
	v_cmpx_ne_u16_e32 0x80, v1
	s_cbranch_execz .LBB235_39
; %bb.34:                               ;   in Loop: Header=BB235_13 Depth=1
	v_mov_b32_e32 v3, 0x7f800001
	v_and_b32_e32 v2, 0x7f, v0
	v_mov_b32_e32 v4, 0
	s_mov_b32 s26, exec_lo
	scratch_store_b64 off, v[3:4], s32 offset:364 ; 8-byte Folded Spill
	v_cmpx_ne_u32_e32 0x7f, v2
	s_cbranch_execz .LBB235_38
; %bb.35:                               ;   in Loop: Header=BB235_13 Depth=1
	v_and_b32_e32 v28, 7, v0
	v_lshrrev_b32_e32 v1, 3, v2
	s_mov_b32 s27, exec_lo
	v_cmpx_gt_u32_e32 8, v2
; %bb.36:                               ;   in Loop: Header=BB235_13 Depth=1
	s_delay_alu instid0(VALU_DEP_3) | instskip(NEXT) | instid1(VALU_DEP_1)
	v_clz_i32_u32_e32 v1, v28
	v_min_u32_e32 v1, 32, v1
	s_delay_alu instid0(VALU_DEP_1) | instskip(SKIP_1) | instid1(VALU_DEP_2)
	v_subrev_nc_u32_e32 v2, 28, v1
	v_sub_nc_u32_e32 v1, 29, v1
	v_lshlrev_b64 v[2:3], v2, v[28:29]
	s_delay_alu instid0(VALU_DEP_1)
	v_and_b32_e32 v28, 7, v2
; %bb.37:                               ;   in Loop: Header=BB235_13 Depth=1
	s_or_b32 exec_lo, exec_lo, s27
	v_lshlrev_b32_e32 v2, 24, v0
	s_delay_alu instid0(VALU_DEP_2) | instskip(SKIP_1) | instid1(VALU_DEP_3)
	v_lshlrev_b32_e32 v3, 20, v28
	v_lshl_add_u32 v1, v1, 23, 0x3c000000
	v_and_b32_e32 v2, 0x80000000, v2
	s_delay_alu instid0(VALU_DEP_1)
	v_or3_b32 v28, v3, v2, v1
	scratch_store_b64 off, v[28:29], s32 offset:364 ; 8-byte Folded Spill
.LBB235_38:                             ;   in Loop: Header=BB235_13 Depth=1
	s_or_b32 exec_lo, exec_lo, s26
.LBB235_39:                             ;   in Loop: Header=BB235_13 Depth=1
	s_delay_alu instid0(SALU_CYCLE_1)
	s_or_b32 exec_lo, exec_lo, s25
.LBB235_40:                             ;   in Loop: Header=BB235_13 Depth=1
	s_delay_alu instid0(SALU_CYCLE_1) | instskip(SKIP_2) | instid1(VALU_DEP_1)
	s_or_b32 exec_lo, exec_lo, s4
	v_lshrrev_b16 v1, 8, v0
	s_mov_b32 s25, exec_lo
	v_cmpx_ne_u16_e32 0, v1
	s_cbranch_execz .LBB235_48
; %bb.41:                               ;   in Loop: Header=BB235_13 Depth=1
	v_dual_mov_b32 v135, s19 :: v_dual_mov_b32 v134, s18
	s_mov_b32 s26, exec_lo
	v_cmpx_ne_u16_e32 0x80, v1
	s_cbranch_execz .LBB235_47
; %bb.42:                               ;   in Loop: Header=BB235_13 Depth=1
	s_mov_b32 s4, s18
	v_and_b32_e32 v1, 0xffff, v1
	v_dual_mov_b32 v135, s5 :: v_dual_mov_b32 v134, s4
	s_mov_b32 s4, exec_lo
	s_delay_alu instid0(VALU_DEP_2) | instskip(NEXT) | instid1(VALU_DEP_1)
	v_and_b32_e32 v2, 0x7f, v1
	v_cmpx_ne_u32_e32 0x7f, v2
	s_cbranch_execz .LBB235_46
; %bb.43:                               ;   in Loop: Header=BB235_13 Depth=1
	v_and_b32_e32 v28, 7, v1
	v_lshrrev_b32_e32 v1, 3, v2
	s_mov_b32 s27, exec_lo
	v_cmpx_gt_u32_e32 8, v2
; %bb.44:                               ;   in Loop: Header=BB235_13 Depth=1
	s_delay_alu instid0(VALU_DEP_3) | instskip(NEXT) | instid1(VALU_DEP_1)
	v_clz_i32_u32_e32 v1, v28
	v_min_u32_e32 v1, 32, v1
	s_delay_alu instid0(VALU_DEP_1) | instskip(SKIP_1) | instid1(VALU_DEP_2)
	v_subrev_nc_u32_e32 v2, 28, v1
	v_sub_nc_u32_e32 v1, 29, v1
	v_lshlrev_b64 v[2:3], v2, v[28:29]
	s_delay_alu instid0(VALU_DEP_1)
	v_and_b32_e32 v28, 7, v2
; %bb.45:                               ;   in Loop: Header=BB235_13 Depth=1
	s_or_b32 exec_lo, exec_lo, s27
	v_lshlrev_b32_e32 v0, 16, v0
	s_delay_alu instid0(VALU_DEP_2) | instskip(SKIP_2) | instid1(VALU_DEP_4)
	v_lshlrev_b32_e32 v2, 20, v28
	v_lshl_add_u32 v1, v1, 23, 0x3c000000
	v_mov_b32_e32 v134, v29
	v_and_b32_e32 v0, 0x80000000, v0
	s_delay_alu instid0(VALU_DEP_1)
	v_or3_b32 v135, v2, v0, v1
.LBB235_46:                             ;   in Loop: Header=BB235_13 Depth=1
	s_or_b32 exec_lo, exec_lo, s4
.LBB235_47:                             ;   in Loop: Header=BB235_13 Depth=1
	s_delay_alu instid0(SALU_CYCLE_1)
	s_or_b32 exec_lo, exec_lo, s26
.LBB235_48:                             ;   in Loop: Header=BB235_13 Depth=1
	s_delay_alu instid0(SALU_CYCLE_1)
	s_or_b32 exec_lo, exec_lo, s25
	flat_load_u16 v0, v[150:151] offset:8
	v_mov_b32_e32 v146, 0
	v_mov_b32_e32 v147, 0
	s_mov_b32 s4, exec_lo
	s_waitcnt vmcnt(0) lgkmcnt(0)
	v_and_b32_e32 v1, 0xff, v0
	s_delay_alu instid0(VALU_DEP_2) | instskip(SKIP_1) | instid1(VALU_DEP_3)
	v_dual_mov_b32 v179, v147 :: v_dual_and_b32 v0, 0xffff, v0
	v_mov_b32_e32 v178, v146
	v_cmpx_ne_u16_e32 0, v1
	s_cbranch_execz .LBB235_56
; %bb.49:                               ;   in Loop: Header=BB235_13 Depth=1
	v_bfrev_b32_e32 v178, 1
	v_and_b32_e32 v1, 0xff, v0
	v_mov_b32_e32 v179, 0
	s_mov_b32 s25, exec_lo
	s_delay_alu instid0(VALU_DEP_2)
	v_cmpx_ne_u16_e32 0x80, v1
	s_cbranch_execz .LBB235_55
; %bb.50:                               ;   in Loop: Header=BB235_13 Depth=1
	v_mov_b32_e32 v178, 0x7f800001
	v_dual_mov_b32 v179, 0 :: v_dual_and_b32 v2, 0x7f, v0
	s_mov_b32 s26, exec_lo
	s_delay_alu instid0(VALU_DEP_1)
	v_cmpx_ne_u32_e32 0x7f, v2
	s_cbranch_execz .LBB235_54
; %bb.51:                               ;   in Loop: Header=BB235_13 Depth=1
	v_and_b32_e32 v28, 7, v0
	v_lshrrev_b32_e32 v1, 3, v2
	s_mov_b32 s27, exec_lo
	v_cmpx_gt_u32_e32 8, v2
; %bb.52:                               ;   in Loop: Header=BB235_13 Depth=1
	s_delay_alu instid0(VALU_DEP_3) | instskip(NEXT) | instid1(VALU_DEP_1)
	v_clz_i32_u32_e32 v1, v28
	v_min_u32_e32 v1, 32, v1
	s_delay_alu instid0(VALU_DEP_1) | instskip(SKIP_1) | instid1(VALU_DEP_2)
	v_subrev_nc_u32_e32 v2, 28, v1
	v_sub_nc_u32_e32 v1, 29, v1
	v_lshlrev_b64 v[2:3], v2, v[28:29]
	s_delay_alu instid0(VALU_DEP_1)
	v_and_b32_e32 v28, 7, v2
; %bb.53:                               ;   in Loop: Header=BB235_13 Depth=1
	s_or_b32 exec_lo, exec_lo, s27
	v_lshlrev_b32_e32 v2, 24, v0
	s_delay_alu instid0(VALU_DEP_2) | instskip(SKIP_1) | instid1(VALU_DEP_3)
	v_lshlrev_b32_e32 v3, 20, v28
	v_lshl_add_u32 v1, v1, 23, 0x3c000000
	v_and_b32_e32 v2, 0x80000000, v2
	s_delay_alu instid0(VALU_DEP_1) | instskip(NEXT) | instid1(VALU_DEP_1)
	v_or3_b32 v28, v3, v2, v1
	v_dual_mov_b32 v179, v29 :: v_dual_mov_b32 v178, v28
.LBB235_54:                             ;   in Loop: Header=BB235_13 Depth=1
	s_or_b32 exec_lo, exec_lo, s26
.LBB235_55:                             ;   in Loop: Header=BB235_13 Depth=1
	s_delay_alu instid0(SALU_CYCLE_1)
	s_or_b32 exec_lo, exec_lo, s25
.LBB235_56:                             ;   in Loop: Header=BB235_13 Depth=1
	s_delay_alu instid0(SALU_CYCLE_1) | instskip(SKIP_2) | instid1(VALU_DEP_1)
	s_or_b32 exec_lo, exec_lo, s4
	v_lshrrev_b16 v1, 8, v0
	s_mov_b32 s25, exec_lo
	v_cmpx_ne_u16_e32 0, v1
	s_cbranch_execz .LBB235_64
; %bb.57:                               ;   in Loop: Header=BB235_13 Depth=1
	v_dual_mov_b32 v147, s19 :: v_dual_mov_b32 v146, s18
	s_mov_b32 s26, exec_lo
	v_cmpx_ne_u16_e32 0x80, v1
	s_cbranch_execz .LBB235_63
; %bb.58:                               ;   in Loop: Header=BB235_13 Depth=1
	s_mov_b32 s4, s18
	v_and_b32_e32 v1, 0xffff, v1
	v_dual_mov_b32 v147, s5 :: v_dual_mov_b32 v146, s4
	s_mov_b32 s4, exec_lo
	s_delay_alu instid0(VALU_DEP_2) | instskip(NEXT) | instid1(VALU_DEP_1)
	v_and_b32_e32 v2, 0x7f, v1
	v_cmpx_ne_u32_e32 0x7f, v2
	s_cbranch_execz .LBB235_62
; %bb.59:                               ;   in Loop: Header=BB235_13 Depth=1
	v_and_b32_e32 v28, 7, v1
	v_lshrrev_b32_e32 v1, 3, v2
	s_mov_b32 s27, exec_lo
	v_cmpx_gt_u32_e32 8, v2
; %bb.60:                               ;   in Loop: Header=BB235_13 Depth=1
	s_delay_alu instid0(VALU_DEP_3) | instskip(NEXT) | instid1(VALU_DEP_1)
	v_clz_i32_u32_e32 v1, v28
	v_min_u32_e32 v1, 32, v1
	s_delay_alu instid0(VALU_DEP_1) | instskip(SKIP_1) | instid1(VALU_DEP_2)
	v_subrev_nc_u32_e32 v2, 28, v1
	v_sub_nc_u32_e32 v1, 29, v1
	v_lshlrev_b64 v[2:3], v2, v[28:29]
	s_delay_alu instid0(VALU_DEP_1)
	v_and_b32_e32 v28, 7, v2
; %bb.61:                               ;   in Loop: Header=BB235_13 Depth=1
	s_or_b32 exec_lo, exec_lo, s27
	v_lshlrev_b32_e32 v0, 16, v0
	s_delay_alu instid0(VALU_DEP_2) | instskip(SKIP_2) | instid1(VALU_DEP_4)
	v_lshlrev_b32_e32 v2, 20, v28
	v_lshl_add_u32 v1, v1, 23, 0x3c000000
	v_mov_b32_e32 v146, v29
	v_and_b32_e32 v0, 0x80000000, v0
	s_delay_alu instid0(VALU_DEP_1)
	v_or3_b32 v147, v2, v0, v1
.LBB235_62:                             ;   in Loop: Header=BB235_13 Depth=1
	s_or_b32 exec_lo, exec_lo, s4
.LBB235_63:                             ;   in Loop: Header=BB235_13 Depth=1
	s_delay_alu instid0(SALU_CYCLE_1)
	s_or_b32 exec_lo, exec_lo, s26
.LBB235_64:                             ;   in Loop: Header=BB235_13 Depth=1
	s_delay_alu instid0(SALU_CYCLE_1)
	s_or_b32 exec_lo, exec_lo, s25
	flat_load_u16 v0, v[150:151] offset:12
	v_mov_b32_e32 v160, 0
	v_mov_b32_e32 v161, 0
	s_mov_b32 s4, exec_lo
	s_waitcnt vmcnt(0) lgkmcnt(0)
	v_and_b32_e32 v1, 0xff, v0
	v_and_b32_e32 v0, 0xffff, v0
	scratch_store_b64 off, v[160:161], s32 offset:372 ; 8-byte Folded Spill
	v_cmpx_ne_u16_e32 0, v1
	s_cbranch_execz .LBB235_72
; %bb.65:                               ;   in Loop: Header=BB235_13 Depth=1
	v_bfrev_b32_e32 v2, 1
	v_and_b32_e32 v1, 0xff, v0
	v_mov_b32_e32 v3, 0
	s_mov_b32 s25, exec_lo
	scratch_store_b64 off, v[2:3], s32 offset:372 ; 8-byte Folded Spill
	v_cmpx_ne_u16_e32 0x80, v1
	s_cbranch_execz .LBB235_71
; %bb.66:                               ;   in Loop: Header=BB235_13 Depth=1
	v_mov_b32_e32 v3, 0x7f800001
	v_and_b32_e32 v2, 0x7f, v0
	v_mov_b32_e32 v4, 0
	s_mov_b32 s26, exec_lo
	scratch_store_b64 off, v[3:4], s32 offset:372 ; 8-byte Folded Spill
	v_cmpx_ne_u32_e32 0x7f, v2
	s_cbranch_execz .LBB235_70
; %bb.67:                               ;   in Loop: Header=BB235_13 Depth=1
	v_and_b32_e32 v28, 7, v0
	v_lshrrev_b32_e32 v1, 3, v2
	s_mov_b32 s27, exec_lo
	v_cmpx_gt_u32_e32 8, v2
; %bb.68:                               ;   in Loop: Header=BB235_13 Depth=1
	s_delay_alu instid0(VALU_DEP_3) | instskip(NEXT) | instid1(VALU_DEP_1)
	v_clz_i32_u32_e32 v1, v28
	v_min_u32_e32 v1, 32, v1
	s_delay_alu instid0(VALU_DEP_1) | instskip(SKIP_1) | instid1(VALU_DEP_2)
	v_subrev_nc_u32_e32 v2, 28, v1
	v_sub_nc_u32_e32 v1, 29, v1
	v_lshlrev_b64 v[2:3], v2, v[28:29]
	s_delay_alu instid0(VALU_DEP_1)
	v_and_b32_e32 v28, 7, v2
; %bb.69:                               ;   in Loop: Header=BB235_13 Depth=1
	s_or_b32 exec_lo, exec_lo, s27
	v_lshlrev_b32_e32 v2, 24, v0
	s_delay_alu instid0(VALU_DEP_2) | instskip(SKIP_1) | instid1(VALU_DEP_3)
	v_lshlrev_b32_e32 v3, 20, v28
	v_lshl_add_u32 v1, v1, 23, 0x3c000000
	v_and_b32_e32 v2, 0x80000000, v2
	s_delay_alu instid0(VALU_DEP_1)
	v_or3_b32 v28, v3, v2, v1
	scratch_store_b64 off, v[28:29], s32 offset:372 ; 8-byte Folded Spill
.LBB235_70:                             ;   in Loop: Header=BB235_13 Depth=1
	s_or_b32 exec_lo, exec_lo, s26
.LBB235_71:                             ;   in Loop: Header=BB235_13 Depth=1
	s_delay_alu instid0(SALU_CYCLE_1)
	s_or_b32 exec_lo, exec_lo, s25
.LBB235_72:                             ;   in Loop: Header=BB235_13 Depth=1
	s_delay_alu instid0(SALU_CYCLE_1) | instskip(SKIP_2) | instid1(VALU_DEP_1)
	s_or_b32 exec_lo, exec_lo, s4
	v_lshrrev_b16 v1, 8, v0
	s_mov_b32 s25, exec_lo
	v_cmpx_ne_u16_e32 0, v1
	s_cbranch_execz .LBB235_80
; %bb.73:                               ;   in Loop: Header=BB235_13 Depth=1
	v_dual_mov_b32 v161, s19 :: v_dual_mov_b32 v160, s18
	s_mov_b32 s26, exec_lo
	v_cmpx_ne_u16_e32 0x80, v1
	s_cbranch_execz .LBB235_79
; %bb.74:                               ;   in Loop: Header=BB235_13 Depth=1
	s_mov_b32 s4, s18
	v_and_b32_e32 v1, 0xffff, v1
	v_dual_mov_b32 v161, s5 :: v_dual_mov_b32 v160, s4
	s_mov_b32 s4, exec_lo
	s_delay_alu instid0(VALU_DEP_2) | instskip(NEXT) | instid1(VALU_DEP_1)
	v_and_b32_e32 v2, 0x7f, v1
	v_cmpx_ne_u32_e32 0x7f, v2
	s_cbranch_execz .LBB235_78
; %bb.75:                               ;   in Loop: Header=BB235_13 Depth=1
	v_and_b32_e32 v28, 7, v1
	v_lshrrev_b32_e32 v1, 3, v2
	s_mov_b32 s27, exec_lo
	v_cmpx_gt_u32_e32 8, v2
; %bb.76:                               ;   in Loop: Header=BB235_13 Depth=1
	s_delay_alu instid0(VALU_DEP_3) | instskip(NEXT) | instid1(VALU_DEP_1)
	v_clz_i32_u32_e32 v1, v28
	v_min_u32_e32 v1, 32, v1
	s_delay_alu instid0(VALU_DEP_1) | instskip(SKIP_1) | instid1(VALU_DEP_2)
	v_subrev_nc_u32_e32 v2, 28, v1
	v_sub_nc_u32_e32 v1, 29, v1
	v_lshlrev_b64 v[2:3], v2, v[28:29]
	s_delay_alu instid0(VALU_DEP_1)
	v_and_b32_e32 v28, 7, v2
; %bb.77:                               ;   in Loop: Header=BB235_13 Depth=1
	s_or_b32 exec_lo, exec_lo, s27
	v_lshlrev_b32_e32 v0, 16, v0
	s_delay_alu instid0(VALU_DEP_2) | instskip(SKIP_2) | instid1(VALU_DEP_4)
	v_lshlrev_b32_e32 v2, 20, v28
	v_lshl_add_u32 v1, v1, 23, 0x3c000000
	v_mov_b32_e32 v160, v29
	v_and_b32_e32 v0, 0x80000000, v0
	s_delay_alu instid0(VALU_DEP_1)
	v_or3_b32 v161, v2, v0, v1
.LBB235_78:                             ;   in Loop: Header=BB235_13 Depth=1
	s_or_b32 exec_lo, exec_lo, s4
.LBB235_79:                             ;   in Loop: Header=BB235_13 Depth=1
	s_delay_alu instid0(SALU_CYCLE_1)
	s_or_b32 exec_lo, exec_lo, s26
.LBB235_80:                             ;   in Loop: Header=BB235_13 Depth=1
	s_delay_alu instid0(SALU_CYCLE_1)
	s_or_b32 exec_lo, exec_lo, s25
	flat_load_u16 v0, v[150:151] offset:256
	v_mov_b32_e32 v164, 0
	v_mov_b32_e32 v165, 0
	s_mov_b32 s4, exec_lo
	s_waitcnt vmcnt(0) lgkmcnt(0)
	v_and_b32_e32 v1, 0xff, v0
	v_and_b32_e32 v0, 0xffff, v0
	scratch_store_b64 off, v[164:165], s32 offset:380 ; 8-byte Folded Spill
	v_cmpx_ne_u16_e32 0, v1
	s_cbranch_execz .LBB235_88
; %bb.81:                               ;   in Loop: Header=BB235_13 Depth=1
	v_bfrev_b32_e32 v2, 1
	v_and_b32_e32 v1, 0xff, v0
	v_mov_b32_e32 v3, 0
	s_mov_b32 s25, exec_lo
	scratch_store_b64 off, v[2:3], s32 offset:380 ; 8-byte Folded Spill
	v_cmpx_ne_u16_e32 0x80, v1
	s_cbranch_execz .LBB235_87
; %bb.82:                               ;   in Loop: Header=BB235_13 Depth=1
	v_mov_b32_e32 v3, 0x7f800001
	v_and_b32_e32 v2, 0x7f, v0
	v_mov_b32_e32 v4, 0
	s_mov_b32 s26, exec_lo
	scratch_store_b64 off, v[3:4], s32 offset:380 ; 8-byte Folded Spill
	v_cmpx_ne_u32_e32 0x7f, v2
	s_cbranch_execz .LBB235_86
; %bb.83:                               ;   in Loop: Header=BB235_13 Depth=1
	v_and_b32_e32 v28, 7, v0
	v_lshrrev_b32_e32 v1, 3, v2
	s_mov_b32 s27, exec_lo
	v_cmpx_gt_u32_e32 8, v2
; %bb.84:                               ;   in Loop: Header=BB235_13 Depth=1
	s_delay_alu instid0(VALU_DEP_3) | instskip(NEXT) | instid1(VALU_DEP_1)
	v_clz_i32_u32_e32 v1, v28
	v_min_u32_e32 v1, 32, v1
	s_delay_alu instid0(VALU_DEP_1) | instskip(SKIP_1) | instid1(VALU_DEP_2)
	v_subrev_nc_u32_e32 v2, 28, v1
	v_sub_nc_u32_e32 v1, 29, v1
	v_lshlrev_b64 v[2:3], v2, v[28:29]
	s_delay_alu instid0(VALU_DEP_1)
	v_and_b32_e32 v28, 7, v2
; %bb.85:                               ;   in Loop: Header=BB235_13 Depth=1
	s_or_b32 exec_lo, exec_lo, s27
	v_lshlrev_b32_e32 v2, 24, v0
	s_delay_alu instid0(VALU_DEP_2) | instskip(SKIP_1) | instid1(VALU_DEP_3)
	v_lshlrev_b32_e32 v3, 20, v28
	v_lshl_add_u32 v1, v1, 23, 0x3c000000
	v_and_b32_e32 v2, 0x80000000, v2
	s_delay_alu instid0(VALU_DEP_1)
	v_or3_b32 v28, v3, v2, v1
	scratch_store_b64 off, v[28:29], s32 offset:380 ; 8-byte Folded Spill
.LBB235_86:                             ;   in Loop: Header=BB235_13 Depth=1
	s_or_b32 exec_lo, exec_lo, s26
.LBB235_87:                             ;   in Loop: Header=BB235_13 Depth=1
	s_delay_alu instid0(SALU_CYCLE_1)
	s_or_b32 exec_lo, exec_lo, s25
.LBB235_88:                             ;   in Loop: Header=BB235_13 Depth=1
	s_delay_alu instid0(SALU_CYCLE_1) | instskip(SKIP_2) | instid1(VALU_DEP_1)
	s_or_b32 exec_lo, exec_lo, s4
	v_lshrrev_b16 v1, 8, v0
	s_mov_b32 s25, exec_lo
	v_cmpx_ne_u16_e32 0, v1
	s_cbranch_execz .LBB235_96
; %bb.89:                               ;   in Loop: Header=BB235_13 Depth=1
	v_dual_mov_b32 v165, s19 :: v_dual_mov_b32 v164, s18
	s_mov_b32 s26, exec_lo
	v_cmpx_ne_u16_e32 0x80, v1
	s_cbranch_execz .LBB235_95
; %bb.90:                               ;   in Loop: Header=BB235_13 Depth=1
	s_mov_b32 s4, s18
	v_and_b32_e32 v1, 0xffff, v1
	v_dual_mov_b32 v165, s5 :: v_dual_mov_b32 v164, s4
	s_mov_b32 s4, exec_lo
	s_delay_alu instid0(VALU_DEP_2) | instskip(NEXT) | instid1(VALU_DEP_1)
	v_and_b32_e32 v2, 0x7f, v1
	v_cmpx_ne_u32_e32 0x7f, v2
	s_cbranch_execz .LBB235_94
; %bb.91:                               ;   in Loop: Header=BB235_13 Depth=1
	v_and_b32_e32 v28, 7, v1
	v_lshrrev_b32_e32 v1, 3, v2
	s_mov_b32 s27, exec_lo
	v_cmpx_gt_u32_e32 8, v2
; %bb.92:                               ;   in Loop: Header=BB235_13 Depth=1
	s_delay_alu instid0(VALU_DEP_3) | instskip(NEXT) | instid1(VALU_DEP_1)
	v_clz_i32_u32_e32 v1, v28
	v_min_u32_e32 v1, 32, v1
	s_delay_alu instid0(VALU_DEP_1) | instskip(SKIP_1) | instid1(VALU_DEP_2)
	v_subrev_nc_u32_e32 v2, 28, v1
	v_sub_nc_u32_e32 v1, 29, v1
	v_lshlrev_b64 v[2:3], v2, v[28:29]
	s_delay_alu instid0(VALU_DEP_1)
	v_and_b32_e32 v28, 7, v2
; %bb.93:                               ;   in Loop: Header=BB235_13 Depth=1
	s_or_b32 exec_lo, exec_lo, s27
	v_lshlrev_b32_e32 v0, 16, v0
	s_delay_alu instid0(VALU_DEP_2) | instskip(SKIP_2) | instid1(VALU_DEP_4)
	v_lshlrev_b32_e32 v2, 20, v28
	v_lshl_add_u32 v1, v1, 23, 0x3c000000
	v_mov_b32_e32 v164, v29
	v_and_b32_e32 v0, 0x80000000, v0
	s_delay_alu instid0(VALU_DEP_1)
	v_or3_b32 v165, v2, v0, v1
.LBB235_94:                             ;   in Loop: Header=BB235_13 Depth=1
	s_or_b32 exec_lo, exec_lo, s4
.LBB235_95:                             ;   in Loop: Header=BB235_13 Depth=1
	s_delay_alu instid0(SALU_CYCLE_1)
	s_or_b32 exec_lo, exec_lo, s26
.LBB235_96:                             ;   in Loop: Header=BB235_13 Depth=1
	s_delay_alu instid0(SALU_CYCLE_1)
	s_or_b32 exec_lo, exec_lo, s25
	flat_load_u16 v0, v[150:151] offset:260
	v_mov_b32_e32 v176, 0
	v_mov_b32_e32 v177, 0
	s_mov_b32 s4, exec_lo
	s_waitcnt vmcnt(0) lgkmcnt(0)
	v_and_b32_e32 v1, 0xff, v0
	v_and_b32_e32 v0, 0xffff, v0
	scratch_store_b64 off, v[176:177], s32 offset:388 ; 8-byte Folded Spill
	v_cmpx_ne_u16_e32 0, v1
	s_cbranch_execz .LBB235_104
; %bb.97:                               ;   in Loop: Header=BB235_13 Depth=1
	v_bfrev_b32_e32 v2, 1
	v_and_b32_e32 v1, 0xff, v0
	v_mov_b32_e32 v3, 0
	s_mov_b32 s25, exec_lo
	scratch_store_b64 off, v[2:3], s32 offset:388 ; 8-byte Folded Spill
	v_cmpx_ne_u16_e32 0x80, v1
	s_cbranch_execz .LBB235_103
; %bb.98:                               ;   in Loop: Header=BB235_13 Depth=1
	v_mov_b32_e32 v3, 0x7f800001
	v_and_b32_e32 v2, 0x7f, v0
	v_mov_b32_e32 v4, 0
	s_mov_b32 s26, exec_lo
	scratch_store_b64 off, v[3:4], s32 offset:388 ; 8-byte Folded Spill
	v_cmpx_ne_u32_e32 0x7f, v2
	s_cbranch_execz .LBB235_102
; %bb.99:                               ;   in Loop: Header=BB235_13 Depth=1
	v_and_b32_e32 v28, 7, v0
	v_lshrrev_b32_e32 v1, 3, v2
	s_mov_b32 s27, exec_lo
	v_cmpx_gt_u32_e32 8, v2
; %bb.100:                              ;   in Loop: Header=BB235_13 Depth=1
	s_delay_alu instid0(VALU_DEP_3) | instskip(NEXT) | instid1(VALU_DEP_1)
	v_clz_i32_u32_e32 v1, v28
	v_min_u32_e32 v1, 32, v1
	s_delay_alu instid0(VALU_DEP_1) | instskip(SKIP_1) | instid1(VALU_DEP_2)
	v_subrev_nc_u32_e32 v2, 28, v1
	v_sub_nc_u32_e32 v1, 29, v1
	v_lshlrev_b64 v[2:3], v2, v[28:29]
	s_delay_alu instid0(VALU_DEP_1)
	v_and_b32_e32 v28, 7, v2
; %bb.101:                              ;   in Loop: Header=BB235_13 Depth=1
	s_or_b32 exec_lo, exec_lo, s27
	v_lshlrev_b32_e32 v2, 24, v0
	s_delay_alu instid0(VALU_DEP_2) | instskip(SKIP_1) | instid1(VALU_DEP_3)
	v_lshlrev_b32_e32 v3, 20, v28
	v_lshl_add_u32 v1, v1, 23, 0x3c000000
	v_and_b32_e32 v2, 0x80000000, v2
	s_delay_alu instid0(VALU_DEP_1)
	v_or3_b32 v28, v3, v2, v1
	scratch_store_b64 off, v[28:29], s32 offset:388 ; 8-byte Folded Spill
.LBB235_102:                            ;   in Loop: Header=BB235_13 Depth=1
	s_or_b32 exec_lo, exec_lo, s26
.LBB235_103:                            ;   in Loop: Header=BB235_13 Depth=1
	s_delay_alu instid0(SALU_CYCLE_1)
	s_or_b32 exec_lo, exec_lo, s25
.LBB235_104:                            ;   in Loop: Header=BB235_13 Depth=1
	s_delay_alu instid0(SALU_CYCLE_1) | instskip(SKIP_2) | instid1(VALU_DEP_1)
	s_or_b32 exec_lo, exec_lo, s4
	v_lshrrev_b16 v1, 8, v0
	s_mov_b32 s25, exec_lo
	v_cmpx_ne_u16_e32 0, v1
	s_cbranch_execz .LBB235_112
; %bb.105:                              ;   in Loop: Header=BB235_13 Depth=1
	v_dual_mov_b32 v177, s19 :: v_dual_mov_b32 v176, s18
	s_mov_b32 s26, exec_lo
	v_cmpx_ne_u16_e32 0x80, v1
	s_cbranch_execz .LBB235_111
; %bb.106:                              ;   in Loop: Header=BB235_13 Depth=1
	s_mov_b32 s4, s18
	v_and_b32_e32 v1, 0xffff, v1
	v_dual_mov_b32 v177, s5 :: v_dual_mov_b32 v176, s4
	s_mov_b32 s4, exec_lo
	s_delay_alu instid0(VALU_DEP_2) | instskip(NEXT) | instid1(VALU_DEP_1)
	v_and_b32_e32 v2, 0x7f, v1
	v_cmpx_ne_u32_e32 0x7f, v2
	s_cbranch_execz .LBB235_110
; %bb.107:                              ;   in Loop: Header=BB235_13 Depth=1
	v_and_b32_e32 v28, 7, v1
	v_lshrrev_b32_e32 v1, 3, v2
	s_mov_b32 s27, exec_lo
	v_cmpx_gt_u32_e32 8, v2
; %bb.108:                              ;   in Loop: Header=BB235_13 Depth=1
	s_delay_alu instid0(VALU_DEP_3) | instskip(NEXT) | instid1(VALU_DEP_1)
	v_clz_i32_u32_e32 v1, v28
	v_min_u32_e32 v1, 32, v1
	s_delay_alu instid0(VALU_DEP_1) | instskip(SKIP_1) | instid1(VALU_DEP_2)
	v_subrev_nc_u32_e32 v2, 28, v1
	v_sub_nc_u32_e32 v1, 29, v1
	v_lshlrev_b64 v[2:3], v2, v[28:29]
	s_delay_alu instid0(VALU_DEP_1)
	v_and_b32_e32 v28, 7, v2
; %bb.109:                              ;   in Loop: Header=BB235_13 Depth=1
	s_or_b32 exec_lo, exec_lo, s27
	v_lshlrev_b32_e32 v0, 16, v0
	s_delay_alu instid0(VALU_DEP_2) | instskip(SKIP_2) | instid1(VALU_DEP_4)
	v_lshlrev_b32_e32 v2, 20, v28
	v_lshl_add_u32 v1, v1, 23, 0x3c000000
	v_mov_b32_e32 v176, v29
	v_and_b32_e32 v0, 0x80000000, v0
	s_delay_alu instid0(VALU_DEP_1)
	v_or3_b32 v177, v2, v0, v1
.LBB235_110:                            ;   in Loop: Header=BB235_13 Depth=1
	s_or_b32 exec_lo, exec_lo, s4
.LBB235_111:                            ;   in Loop: Header=BB235_13 Depth=1
	s_delay_alu instid0(SALU_CYCLE_1)
	s_or_b32 exec_lo, exec_lo, s26
.LBB235_112:                            ;   in Loop: Header=BB235_13 Depth=1
	s_delay_alu instid0(SALU_CYCLE_1) | instskip(SKIP_1) | instid1(VALU_DEP_1)
	s_or_b32 exec_lo, exec_lo, s25
	v_add_co_u32 v0, s3, 0x100, v150
	v_add_co_ci_u32_e64 v1, s3, 0, v151, s3
	s_mov_b32 s4, exec_lo
	flat_load_u16 v2, v[0:1] offset:8
	v_mov_b32_e32 v180, 0
	v_mov_b32_e32 v181, 0
	s_waitcnt vmcnt(0) lgkmcnt(0)
	v_and_b32_e32 v3, 0xff, v2
	s_delay_alu instid0(VALU_DEP_2) | instskip(SKIP_1) | instid1(VALU_DEP_3)
	v_dual_mov_b32 v183, v181 :: v_dual_and_b32 v2, 0xffff, v2
	v_mov_b32_e32 v182, v180
	v_cmpx_ne_u16_e32 0, v3
	s_cbranch_execz .LBB235_120
; %bb.113:                              ;   in Loop: Header=BB235_13 Depth=1
	v_bfrev_b32_e32 v182, 1
	v_and_b32_e32 v3, 0xff, v2
	v_mov_b32_e32 v183, 0
	s_mov_b32 s25, exec_lo
	s_delay_alu instid0(VALU_DEP_2)
	v_cmpx_ne_u16_e32 0x80, v3
	s_cbranch_execz .LBB235_119
; %bb.114:                              ;   in Loop: Header=BB235_13 Depth=1
	v_mov_b32_e32 v182, 0x7f800001
	v_dual_mov_b32 v183, 0 :: v_dual_and_b32 v4, 0x7f, v2
	s_mov_b32 s26, exec_lo
	s_delay_alu instid0(VALU_DEP_1)
	v_cmpx_ne_u32_e32 0x7f, v4
	s_cbranch_execz .LBB235_118
; %bb.115:                              ;   in Loop: Header=BB235_13 Depth=1
	v_and_b32_e32 v28, 7, v2
	v_lshrrev_b32_e32 v3, 3, v4
	s_mov_b32 s27, exec_lo
	v_cmpx_gt_u32_e32 8, v4
; %bb.116:                              ;   in Loop: Header=BB235_13 Depth=1
	s_delay_alu instid0(VALU_DEP_3) | instskip(NEXT) | instid1(VALU_DEP_1)
	v_clz_i32_u32_e32 v3, v28
	v_min_u32_e32 v3, 32, v3
	s_delay_alu instid0(VALU_DEP_1) | instskip(SKIP_1) | instid1(VALU_DEP_2)
	v_subrev_nc_u32_e32 v4, 28, v3
	v_sub_nc_u32_e32 v3, 29, v3
	v_lshlrev_b64 v[4:5], v4, v[28:29]
	s_delay_alu instid0(VALU_DEP_1)
	v_and_b32_e32 v28, 7, v4
; %bb.117:                              ;   in Loop: Header=BB235_13 Depth=1
	s_or_b32 exec_lo, exec_lo, s27
	v_lshlrev_b32_e32 v4, 24, v2
	s_delay_alu instid0(VALU_DEP_2) | instskip(SKIP_1) | instid1(VALU_DEP_3)
	v_lshlrev_b32_e32 v5, 20, v28
	v_lshl_add_u32 v3, v3, 23, 0x3c000000
	v_and_b32_e32 v4, 0x80000000, v4
	s_delay_alu instid0(VALU_DEP_1) | instskip(NEXT) | instid1(VALU_DEP_1)
	v_or3_b32 v28, v5, v4, v3
	v_dual_mov_b32 v183, v29 :: v_dual_mov_b32 v182, v28
.LBB235_118:                            ;   in Loop: Header=BB235_13 Depth=1
	s_or_b32 exec_lo, exec_lo, s26
.LBB235_119:                            ;   in Loop: Header=BB235_13 Depth=1
	s_delay_alu instid0(SALU_CYCLE_1)
	s_or_b32 exec_lo, exec_lo, s25
.LBB235_120:                            ;   in Loop: Header=BB235_13 Depth=1
	s_delay_alu instid0(SALU_CYCLE_1) | instskip(SKIP_2) | instid1(VALU_DEP_1)
	s_or_b32 exec_lo, exec_lo, s4
	v_lshrrev_b16 v3, 8, v2
	s_mov_b32 s25, exec_lo
	v_cmpx_ne_u16_e32 0, v3
	s_cbranch_execz .LBB235_128
; %bb.121:                              ;   in Loop: Header=BB235_13 Depth=1
	v_dual_mov_b32 v181, s19 :: v_dual_mov_b32 v180, s18
	s_mov_b32 s26, exec_lo
	v_cmpx_ne_u16_e32 0x80, v3
	s_cbranch_execz .LBB235_127
; %bb.122:                              ;   in Loop: Header=BB235_13 Depth=1
	s_mov_b32 s4, s18
	v_and_b32_e32 v3, 0xffff, v3
	v_dual_mov_b32 v181, s5 :: v_dual_mov_b32 v180, s4
	s_mov_b32 s4, exec_lo
	s_delay_alu instid0(VALU_DEP_2) | instskip(NEXT) | instid1(VALU_DEP_1)
	v_and_b32_e32 v4, 0x7f, v3
	v_cmpx_ne_u32_e32 0x7f, v4
	s_cbranch_execz .LBB235_126
; %bb.123:                              ;   in Loop: Header=BB235_13 Depth=1
	v_and_b32_e32 v28, 7, v3
	v_lshrrev_b32_e32 v3, 3, v4
	s_mov_b32 s27, exec_lo
	v_cmpx_gt_u32_e32 8, v4
; %bb.124:                              ;   in Loop: Header=BB235_13 Depth=1
	s_delay_alu instid0(VALU_DEP_3) | instskip(NEXT) | instid1(VALU_DEP_1)
	v_clz_i32_u32_e32 v3, v28
	v_min_u32_e32 v3, 32, v3
	s_delay_alu instid0(VALU_DEP_1) | instskip(SKIP_1) | instid1(VALU_DEP_2)
	v_subrev_nc_u32_e32 v4, 28, v3
	v_sub_nc_u32_e32 v3, 29, v3
	v_lshlrev_b64 v[4:5], v4, v[28:29]
	s_delay_alu instid0(VALU_DEP_1)
	v_and_b32_e32 v28, 7, v4
; %bb.125:                              ;   in Loop: Header=BB235_13 Depth=1
	s_or_b32 exec_lo, exec_lo, s27
	v_lshlrev_b32_e32 v2, 16, v2
	s_delay_alu instid0(VALU_DEP_2) | instskip(SKIP_2) | instid1(VALU_DEP_4)
	v_lshlrev_b32_e32 v4, 20, v28
	v_lshl_add_u32 v3, v3, 23, 0x3c000000
	v_mov_b32_e32 v180, v29
	v_and_b32_e32 v2, 0x80000000, v2
	s_delay_alu instid0(VALU_DEP_1)
	v_or3_b32 v181, v4, v2, v3
.LBB235_126:                            ;   in Loop: Header=BB235_13 Depth=1
	s_or_b32 exec_lo, exec_lo, s4
.LBB235_127:                            ;   in Loop: Header=BB235_13 Depth=1
	s_delay_alu instid0(SALU_CYCLE_1)
	s_or_b32 exec_lo, exec_lo, s26
.LBB235_128:                            ;   in Loop: Header=BB235_13 Depth=1
	s_delay_alu instid0(SALU_CYCLE_1)
	s_or_b32 exec_lo, exec_lo, s25
	flat_load_u16 v0, v[0:1] offset:12
	v_mov_b32_e32 v39, 0
	v_mov_b32_e32 v40, 0
	s_mov_b32 s4, exec_lo
	s_waitcnt vmcnt(0) lgkmcnt(0)
	v_and_b32_e32 v1, 0xff, v0
	v_and_b32_e32 v0, 0xffff, v0
	v_dual_mov_b32 v42, v40 :: v_dual_mov_b32 v41, v39
	s_delay_alu instid0(VALU_DEP_3)
	v_cmpx_ne_u16_e32 0, v1
	s_cbranch_execz .LBB235_136
; %bb.129:                              ;   in Loop: Header=BB235_13 Depth=1
	v_bfrev_b32_e32 v41, 1
	v_dual_mov_b32 v42, 0 :: v_dual_and_b32 v1, 0xff, v0
	s_mov_b32 s25, exec_lo
	s_delay_alu instid0(VALU_DEP_1)
	v_cmpx_ne_u16_e32 0x80, v1
	s_cbranch_execz .LBB235_135
; %bb.130:                              ;   in Loop: Header=BB235_13 Depth=1
	v_mov_b32_e32 v41, 0x7f800001
	v_and_b32_e32 v2, 0x7f, v0
	v_mov_b32_e32 v42, 0
	s_mov_b32 s26, exec_lo
	s_delay_alu instid0(VALU_DEP_2)
	v_cmpx_ne_u32_e32 0x7f, v2
	s_cbranch_execz .LBB235_134
; %bb.131:                              ;   in Loop: Header=BB235_13 Depth=1
	v_and_b32_e32 v28, 7, v0
	v_lshrrev_b32_e32 v1, 3, v2
	s_mov_b32 s27, exec_lo
	v_cmpx_gt_u32_e32 8, v2
; %bb.132:                              ;   in Loop: Header=BB235_13 Depth=1
	s_delay_alu instid0(VALU_DEP_3) | instskip(NEXT) | instid1(VALU_DEP_1)
	v_clz_i32_u32_e32 v1, v28
	v_min_u32_e32 v1, 32, v1
	s_delay_alu instid0(VALU_DEP_1) | instskip(SKIP_1) | instid1(VALU_DEP_2)
	v_subrev_nc_u32_e32 v2, 28, v1
	v_sub_nc_u32_e32 v1, 29, v1
	v_lshlrev_b64 v[2:3], v2, v[28:29]
	s_delay_alu instid0(VALU_DEP_1)
	v_and_b32_e32 v28, 7, v2
; %bb.133:                              ;   in Loop: Header=BB235_13 Depth=1
	s_or_b32 exec_lo, exec_lo, s27
	v_lshlrev_b32_e32 v2, 24, v0
	s_delay_alu instid0(VALU_DEP_2) | instskip(SKIP_1) | instid1(VALU_DEP_3)
	v_lshlrev_b32_e32 v3, 20, v28
	v_lshl_add_u32 v1, v1, 23, 0x3c000000
	v_and_b32_e32 v2, 0x80000000, v2
	s_delay_alu instid0(VALU_DEP_1) | instskip(NEXT) | instid1(VALU_DEP_1)
	v_or3_b32 v28, v3, v2, v1
	v_dual_mov_b32 v42, v29 :: v_dual_mov_b32 v41, v28
.LBB235_134:                            ;   in Loop: Header=BB235_13 Depth=1
	s_or_b32 exec_lo, exec_lo, s26
.LBB235_135:                            ;   in Loop: Header=BB235_13 Depth=1
	s_delay_alu instid0(SALU_CYCLE_1)
	s_or_b32 exec_lo, exec_lo, s25
.LBB235_136:                            ;   in Loop: Header=BB235_13 Depth=1
	s_delay_alu instid0(SALU_CYCLE_1) | instskip(SKIP_2) | instid1(VALU_DEP_1)
	s_or_b32 exec_lo, exec_lo, s4
	v_lshrrev_b16 v1, 8, v0
	s_mov_b32 s25, exec_lo
	v_cmpx_ne_u16_e32 0, v1
	s_cbranch_execz .LBB235_144
; %bb.137:                              ;   in Loop: Header=BB235_13 Depth=1
	v_dual_mov_b32 v40, s19 :: v_dual_mov_b32 v39, s18
	s_mov_b32 s26, exec_lo
	v_cmpx_ne_u16_e32 0x80, v1
	s_cbranch_execz .LBB235_143
; %bb.138:                              ;   in Loop: Header=BB235_13 Depth=1
	s_mov_b32 s4, s18
	v_dual_mov_b32 v40, s5 :: v_dual_and_b32 v1, 0xffff, v1
	v_mov_b32_e32 v39, s4
	s_mov_b32 s4, exec_lo
	s_delay_alu instid0(VALU_DEP_2) | instskip(NEXT) | instid1(VALU_DEP_1)
	v_and_b32_e32 v2, 0x7f, v1
	v_cmpx_ne_u32_e32 0x7f, v2
	s_cbranch_execz .LBB235_142
; %bb.139:                              ;   in Loop: Header=BB235_13 Depth=1
	v_and_b32_e32 v28, 7, v1
	v_lshrrev_b32_e32 v1, 3, v2
	s_mov_b32 s27, exec_lo
	v_cmpx_gt_u32_e32 8, v2
; %bb.140:                              ;   in Loop: Header=BB235_13 Depth=1
	s_delay_alu instid0(VALU_DEP_3) | instskip(NEXT) | instid1(VALU_DEP_1)
	v_clz_i32_u32_e32 v1, v28
	v_min_u32_e32 v1, 32, v1
	s_delay_alu instid0(VALU_DEP_1) | instskip(SKIP_1) | instid1(VALU_DEP_2)
	v_subrev_nc_u32_e32 v2, 28, v1
	v_sub_nc_u32_e32 v1, 29, v1
	v_lshlrev_b64 v[2:3], v2, v[28:29]
	s_delay_alu instid0(VALU_DEP_1)
	v_and_b32_e32 v28, 7, v2
; %bb.141:                              ;   in Loop: Header=BB235_13 Depth=1
	s_or_b32 exec_lo, exec_lo, s27
	v_dual_mov_b32 v39, v29 :: v_dual_lshlrev_b32 v0, 16, v0
	s_delay_alu instid0(VALU_DEP_2) | instskip(SKIP_1) | instid1(VALU_DEP_3)
	v_lshlrev_b32_e32 v2, 20, v28
	v_lshl_add_u32 v1, v1, 23, 0x3c000000
	v_and_b32_e32 v0, 0x80000000, v0
	s_delay_alu instid0(VALU_DEP_1)
	v_or3_b32 v40, v2, v0, v1
.LBB235_142:                            ;   in Loop: Header=BB235_13 Depth=1
	s_or_b32 exec_lo, exec_lo, s4
.LBB235_143:                            ;   in Loop: Header=BB235_13 Depth=1
	s_delay_alu instid0(SALU_CYCLE_1)
	s_or_b32 exec_lo, exec_lo, s26
.LBB235_144:                            ;   in Loop: Header=BB235_13 Depth=1
	s_delay_alu instid0(SALU_CYCLE_1)
	s_or_b32 exec_lo, exec_lo, s25
	flat_load_u16 v0, v[150:151] offset:512
	v_mov_b32_e32 v43, 0
	v_mov_b32_e32 v44, 0
	s_mov_b32 s4, exec_lo
	s_waitcnt vmcnt(0) lgkmcnt(0)
	v_and_b32_e32 v1, 0xff, v0
	v_and_b32_e32 v0, 0xffff, v0
	v_dual_mov_b32 v46, v44 :: v_dual_mov_b32 v45, v43
	s_delay_alu instid0(VALU_DEP_3)
	v_cmpx_ne_u16_e32 0, v1
	s_cbranch_execz .LBB235_152
; %bb.145:                              ;   in Loop: Header=BB235_13 Depth=1
	v_bfrev_b32_e32 v45, 1
	v_dual_mov_b32 v46, 0 :: v_dual_and_b32 v1, 0xff, v0
	s_mov_b32 s25, exec_lo
	s_delay_alu instid0(VALU_DEP_1)
	v_cmpx_ne_u16_e32 0x80, v1
	s_cbranch_execz .LBB235_151
; %bb.146:                              ;   in Loop: Header=BB235_13 Depth=1
	v_mov_b32_e32 v45, 0x7f800001
	v_and_b32_e32 v2, 0x7f, v0
	v_mov_b32_e32 v46, 0
	s_mov_b32 s26, exec_lo
	s_delay_alu instid0(VALU_DEP_2)
	v_cmpx_ne_u32_e32 0x7f, v2
	s_cbranch_execz .LBB235_150
; %bb.147:                              ;   in Loop: Header=BB235_13 Depth=1
	v_and_b32_e32 v28, 7, v0
	v_lshrrev_b32_e32 v1, 3, v2
	s_mov_b32 s27, exec_lo
	v_cmpx_gt_u32_e32 8, v2
; %bb.148:                              ;   in Loop: Header=BB235_13 Depth=1
	s_delay_alu instid0(VALU_DEP_3) | instskip(NEXT) | instid1(VALU_DEP_1)
	v_clz_i32_u32_e32 v1, v28
	v_min_u32_e32 v1, 32, v1
	s_delay_alu instid0(VALU_DEP_1) | instskip(SKIP_1) | instid1(VALU_DEP_2)
	v_subrev_nc_u32_e32 v2, 28, v1
	v_sub_nc_u32_e32 v1, 29, v1
	v_lshlrev_b64 v[2:3], v2, v[28:29]
	s_delay_alu instid0(VALU_DEP_1)
	v_and_b32_e32 v28, 7, v2
; %bb.149:                              ;   in Loop: Header=BB235_13 Depth=1
	s_or_b32 exec_lo, exec_lo, s27
	v_lshlrev_b32_e32 v2, 24, v0
	s_delay_alu instid0(VALU_DEP_2) | instskip(SKIP_1) | instid1(VALU_DEP_3)
	v_lshlrev_b32_e32 v3, 20, v28
	v_lshl_add_u32 v1, v1, 23, 0x3c000000
	v_and_b32_e32 v2, 0x80000000, v2
	s_delay_alu instid0(VALU_DEP_1) | instskip(NEXT) | instid1(VALU_DEP_1)
	v_or3_b32 v28, v3, v2, v1
	v_dual_mov_b32 v46, v29 :: v_dual_mov_b32 v45, v28
.LBB235_150:                            ;   in Loop: Header=BB235_13 Depth=1
	s_or_b32 exec_lo, exec_lo, s26
.LBB235_151:                            ;   in Loop: Header=BB235_13 Depth=1
	s_delay_alu instid0(SALU_CYCLE_1)
	s_or_b32 exec_lo, exec_lo, s25
.LBB235_152:                            ;   in Loop: Header=BB235_13 Depth=1
	s_delay_alu instid0(SALU_CYCLE_1) | instskip(SKIP_2) | instid1(VALU_DEP_1)
	s_or_b32 exec_lo, exec_lo, s4
	v_lshrrev_b16 v1, 8, v0
	s_mov_b32 s25, exec_lo
	v_cmpx_ne_u16_e32 0, v1
	s_cbranch_execz .LBB235_160
; %bb.153:                              ;   in Loop: Header=BB235_13 Depth=1
	v_dual_mov_b32 v44, s19 :: v_dual_mov_b32 v43, s18
	s_mov_b32 s26, exec_lo
	v_cmpx_ne_u16_e32 0x80, v1
	s_cbranch_execz .LBB235_159
; %bb.154:                              ;   in Loop: Header=BB235_13 Depth=1
	s_mov_b32 s4, s18
	v_dual_mov_b32 v44, s5 :: v_dual_and_b32 v1, 0xffff, v1
	v_mov_b32_e32 v43, s4
	s_mov_b32 s4, exec_lo
	s_delay_alu instid0(VALU_DEP_2) | instskip(NEXT) | instid1(VALU_DEP_1)
	v_and_b32_e32 v2, 0x7f, v1
	v_cmpx_ne_u32_e32 0x7f, v2
	s_cbranch_execz .LBB235_158
; %bb.155:                              ;   in Loop: Header=BB235_13 Depth=1
	v_and_b32_e32 v28, 7, v1
	v_lshrrev_b32_e32 v1, 3, v2
	s_mov_b32 s27, exec_lo
	v_cmpx_gt_u32_e32 8, v2
; %bb.156:                              ;   in Loop: Header=BB235_13 Depth=1
	s_delay_alu instid0(VALU_DEP_3) | instskip(NEXT) | instid1(VALU_DEP_1)
	v_clz_i32_u32_e32 v1, v28
	v_min_u32_e32 v1, 32, v1
	s_delay_alu instid0(VALU_DEP_1) | instskip(SKIP_1) | instid1(VALU_DEP_2)
	v_subrev_nc_u32_e32 v2, 28, v1
	v_sub_nc_u32_e32 v1, 29, v1
	v_lshlrev_b64 v[2:3], v2, v[28:29]
	s_delay_alu instid0(VALU_DEP_1)
	v_and_b32_e32 v28, 7, v2
; %bb.157:                              ;   in Loop: Header=BB235_13 Depth=1
	s_or_b32 exec_lo, exec_lo, s27
	v_dual_mov_b32 v43, v29 :: v_dual_lshlrev_b32 v0, 16, v0
	s_delay_alu instid0(VALU_DEP_2) | instskip(SKIP_1) | instid1(VALU_DEP_3)
	v_lshlrev_b32_e32 v2, 20, v28
	v_lshl_add_u32 v1, v1, 23, 0x3c000000
	v_and_b32_e32 v0, 0x80000000, v0
	s_delay_alu instid0(VALU_DEP_1)
	v_or3_b32 v44, v2, v0, v1
.LBB235_158:                            ;   in Loop: Header=BB235_13 Depth=1
	s_or_b32 exec_lo, exec_lo, s4
.LBB235_159:                            ;   in Loop: Header=BB235_13 Depth=1
	s_delay_alu instid0(SALU_CYCLE_1)
	s_or_b32 exec_lo, exec_lo, s26
.LBB235_160:                            ;   in Loop: Header=BB235_13 Depth=1
	s_delay_alu instid0(SALU_CYCLE_1)
	s_or_b32 exec_lo, exec_lo, s25
	flat_load_u16 v0, v[150:151] offset:516
	v_mov_b32_e32 v56, 0
	v_mov_b32_e32 v57, 0
	s_mov_b32 s4, exec_lo
	s_waitcnt vmcnt(0) lgkmcnt(0)
	v_and_b32_e32 v1, 0xff, v0
	s_delay_alu instid0(VALU_DEP_2) | instskip(SKIP_1) | instid1(VALU_DEP_3)
	v_dual_mov_b32 v59, v57 :: v_dual_and_b32 v0, 0xffff, v0
	v_mov_b32_e32 v58, v56
	v_cmpx_ne_u16_e32 0, v1
	s_cbranch_execz .LBB235_168
; %bb.161:                              ;   in Loop: Header=BB235_13 Depth=1
	v_bfrev_b32_e32 v58, 1
	v_and_b32_e32 v1, 0xff, v0
	v_mov_b32_e32 v59, 0
	s_mov_b32 s25, exec_lo
	s_delay_alu instid0(VALU_DEP_2)
	v_cmpx_ne_u16_e32 0x80, v1
	s_cbranch_execz .LBB235_167
; %bb.162:                              ;   in Loop: Header=BB235_13 Depth=1
	v_mov_b32_e32 v58, 0x7f800001
	v_dual_mov_b32 v59, 0 :: v_dual_and_b32 v2, 0x7f, v0
	s_mov_b32 s26, exec_lo
	s_delay_alu instid0(VALU_DEP_1)
	v_cmpx_ne_u32_e32 0x7f, v2
	s_cbranch_execz .LBB235_166
; %bb.163:                              ;   in Loop: Header=BB235_13 Depth=1
	v_and_b32_e32 v28, 7, v0
	v_lshrrev_b32_e32 v1, 3, v2
	s_mov_b32 s27, exec_lo
	v_cmpx_gt_u32_e32 8, v2
; %bb.164:                              ;   in Loop: Header=BB235_13 Depth=1
	s_delay_alu instid0(VALU_DEP_3) | instskip(NEXT) | instid1(VALU_DEP_1)
	v_clz_i32_u32_e32 v1, v28
	v_min_u32_e32 v1, 32, v1
	s_delay_alu instid0(VALU_DEP_1) | instskip(SKIP_1) | instid1(VALU_DEP_2)
	v_subrev_nc_u32_e32 v2, 28, v1
	v_sub_nc_u32_e32 v1, 29, v1
	v_lshlrev_b64 v[2:3], v2, v[28:29]
	s_delay_alu instid0(VALU_DEP_1)
	v_and_b32_e32 v28, 7, v2
; %bb.165:                              ;   in Loop: Header=BB235_13 Depth=1
	s_or_b32 exec_lo, exec_lo, s27
	v_lshlrev_b32_e32 v2, 24, v0
	s_delay_alu instid0(VALU_DEP_2) | instskip(SKIP_1) | instid1(VALU_DEP_3)
	v_lshlrev_b32_e32 v3, 20, v28
	v_lshl_add_u32 v1, v1, 23, 0x3c000000
	v_and_b32_e32 v2, 0x80000000, v2
	s_delay_alu instid0(VALU_DEP_1) | instskip(NEXT) | instid1(VALU_DEP_1)
	v_or3_b32 v28, v3, v2, v1
	v_dual_mov_b32 v59, v29 :: v_dual_mov_b32 v58, v28
.LBB235_166:                            ;   in Loop: Header=BB235_13 Depth=1
	s_or_b32 exec_lo, exec_lo, s26
.LBB235_167:                            ;   in Loop: Header=BB235_13 Depth=1
	s_delay_alu instid0(SALU_CYCLE_1)
	s_or_b32 exec_lo, exec_lo, s25
.LBB235_168:                            ;   in Loop: Header=BB235_13 Depth=1
	s_delay_alu instid0(SALU_CYCLE_1) | instskip(SKIP_2) | instid1(VALU_DEP_1)
	s_or_b32 exec_lo, exec_lo, s4
	v_lshrrev_b16 v1, 8, v0
	s_mov_b32 s25, exec_lo
	v_cmpx_ne_u16_e32 0, v1
	s_cbranch_execz .LBB235_176
; %bb.169:                              ;   in Loop: Header=BB235_13 Depth=1
	v_dual_mov_b32 v57, s19 :: v_dual_mov_b32 v56, s18
	s_mov_b32 s26, exec_lo
	v_cmpx_ne_u16_e32 0x80, v1
	s_cbranch_execz .LBB235_175
; %bb.170:                              ;   in Loop: Header=BB235_13 Depth=1
	s_mov_b32 s4, s18
	v_and_b32_e32 v1, 0xffff, v1
	v_dual_mov_b32 v57, s5 :: v_dual_mov_b32 v56, s4
	s_mov_b32 s4, exec_lo
	s_delay_alu instid0(VALU_DEP_2) | instskip(NEXT) | instid1(VALU_DEP_1)
	v_and_b32_e32 v2, 0x7f, v1
	v_cmpx_ne_u32_e32 0x7f, v2
	s_cbranch_execz .LBB235_174
; %bb.171:                              ;   in Loop: Header=BB235_13 Depth=1
	v_and_b32_e32 v28, 7, v1
	v_lshrrev_b32_e32 v1, 3, v2
	s_mov_b32 s27, exec_lo
	v_cmpx_gt_u32_e32 8, v2
; %bb.172:                              ;   in Loop: Header=BB235_13 Depth=1
	s_delay_alu instid0(VALU_DEP_3) | instskip(NEXT) | instid1(VALU_DEP_1)
	v_clz_i32_u32_e32 v1, v28
	v_min_u32_e32 v1, 32, v1
	s_delay_alu instid0(VALU_DEP_1) | instskip(SKIP_1) | instid1(VALU_DEP_2)
	v_subrev_nc_u32_e32 v2, 28, v1
	v_sub_nc_u32_e32 v1, 29, v1
	v_lshlrev_b64 v[2:3], v2, v[28:29]
	s_delay_alu instid0(VALU_DEP_1)
	v_and_b32_e32 v28, 7, v2
; %bb.173:                              ;   in Loop: Header=BB235_13 Depth=1
	s_or_b32 exec_lo, exec_lo, s27
	v_lshlrev_b32_e32 v0, 16, v0
	s_delay_alu instid0(VALU_DEP_2) | instskip(SKIP_2) | instid1(VALU_DEP_4)
	v_lshlrev_b32_e32 v2, 20, v28
	v_lshl_add_u32 v1, v1, 23, 0x3c000000
	v_mov_b32_e32 v56, v29
	v_and_b32_e32 v0, 0x80000000, v0
	s_delay_alu instid0(VALU_DEP_1)
	v_or3_b32 v57, v2, v0, v1
.LBB235_174:                            ;   in Loop: Header=BB235_13 Depth=1
	s_or_b32 exec_lo, exec_lo, s4
.LBB235_175:                            ;   in Loop: Header=BB235_13 Depth=1
	s_delay_alu instid0(SALU_CYCLE_1)
	s_or_b32 exec_lo, exec_lo, s26
.LBB235_176:                            ;   in Loop: Header=BB235_13 Depth=1
	s_delay_alu instid0(SALU_CYCLE_1) | instskip(SKIP_1) | instid1(VALU_DEP_1)
	s_or_b32 exec_lo, exec_lo, s25
	v_add_co_u32 v0, s3, 0x200, v150
	v_add_co_ci_u32_e64 v1, s3, 0, v151, s3
	s_mov_b32 s4, exec_lo
	flat_load_u16 v2, v[0:1] offset:8
	v_mov_b32_e32 v60, 0
	v_mov_b32_e32 v61, 0
	s_waitcnt vmcnt(0) lgkmcnt(0)
	v_and_b32_e32 v3, 0xff, v2
	s_delay_alu instid0(VALU_DEP_2) | instskip(SKIP_1) | instid1(VALU_DEP_3)
	v_dual_mov_b32 v63, v61 :: v_dual_and_b32 v2, 0xffff, v2
	v_mov_b32_e32 v62, v60
	v_cmpx_ne_u16_e32 0, v3
	s_cbranch_execz .LBB235_184
; %bb.177:                              ;   in Loop: Header=BB235_13 Depth=1
	v_bfrev_b32_e32 v62, 1
	v_and_b32_e32 v3, 0xff, v2
	v_mov_b32_e32 v63, 0
	s_mov_b32 s25, exec_lo
	s_delay_alu instid0(VALU_DEP_2)
	v_cmpx_ne_u16_e32 0x80, v3
	s_cbranch_execz .LBB235_183
; %bb.178:                              ;   in Loop: Header=BB235_13 Depth=1
	v_mov_b32_e32 v62, 0x7f800001
	v_dual_mov_b32 v63, 0 :: v_dual_and_b32 v4, 0x7f, v2
	s_mov_b32 s26, exec_lo
	s_delay_alu instid0(VALU_DEP_1)
	v_cmpx_ne_u32_e32 0x7f, v4
	s_cbranch_execz .LBB235_182
; %bb.179:                              ;   in Loop: Header=BB235_13 Depth=1
	v_and_b32_e32 v28, 7, v2
	v_lshrrev_b32_e32 v3, 3, v4
	s_mov_b32 s27, exec_lo
	v_cmpx_gt_u32_e32 8, v4
; %bb.180:                              ;   in Loop: Header=BB235_13 Depth=1
	s_delay_alu instid0(VALU_DEP_3) | instskip(NEXT) | instid1(VALU_DEP_1)
	v_clz_i32_u32_e32 v3, v28
	v_min_u32_e32 v3, 32, v3
	s_delay_alu instid0(VALU_DEP_1) | instskip(SKIP_1) | instid1(VALU_DEP_2)
	v_subrev_nc_u32_e32 v4, 28, v3
	v_sub_nc_u32_e32 v3, 29, v3
	v_lshlrev_b64 v[4:5], v4, v[28:29]
	s_delay_alu instid0(VALU_DEP_1)
	v_and_b32_e32 v28, 7, v4
; %bb.181:                              ;   in Loop: Header=BB235_13 Depth=1
	s_or_b32 exec_lo, exec_lo, s27
	v_lshlrev_b32_e32 v4, 24, v2
	s_delay_alu instid0(VALU_DEP_2) | instskip(SKIP_1) | instid1(VALU_DEP_3)
	v_lshlrev_b32_e32 v5, 20, v28
	v_lshl_add_u32 v3, v3, 23, 0x3c000000
	v_and_b32_e32 v4, 0x80000000, v4
	s_delay_alu instid0(VALU_DEP_1) | instskip(NEXT) | instid1(VALU_DEP_1)
	v_or3_b32 v28, v5, v4, v3
	v_dual_mov_b32 v63, v29 :: v_dual_mov_b32 v62, v28
.LBB235_182:                            ;   in Loop: Header=BB235_13 Depth=1
	s_or_b32 exec_lo, exec_lo, s26
.LBB235_183:                            ;   in Loop: Header=BB235_13 Depth=1
	s_delay_alu instid0(SALU_CYCLE_1)
	s_or_b32 exec_lo, exec_lo, s25
.LBB235_184:                            ;   in Loop: Header=BB235_13 Depth=1
	s_delay_alu instid0(SALU_CYCLE_1) | instskip(SKIP_2) | instid1(VALU_DEP_1)
	s_or_b32 exec_lo, exec_lo, s4
	v_lshrrev_b16 v3, 8, v2
	s_mov_b32 s25, exec_lo
	v_cmpx_ne_u16_e32 0, v3
	s_cbranch_execz .LBB235_192
; %bb.185:                              ;   in Loop: Header=BB235_13 Depth=1
	v_dual_mov_b32 v61, s19 :: v_dual_mov_b32 v60, s18
	s_mov_b32 s26, exec_lo
	v_cmpx_ne_u16_e32 0x80, v3
	s_cbranch_execz .LBB235_191
; %bb.186:                              ;   in Loop: Header=BB235_13 Depth=1
	s_mov_b32 s4, s18
	v_and_b32_e32 v3, 0xffff, v3
	v_dual_mov_b32 v61, s5 :: v_dual_mov_b32 v60, s4
	s_mov_b32 s4, exec_lo
	s_delay_alu instid0(VALU_DEP_2) | instskip(NEXT) | instid1(VALU_DEP_1)
	v_and_b32_e32 v4, 0x7f, v3
	v_cmpx_ne_u32_e32 0x7f, v4
	s_cbranch_execz .LBB235_190
; %bb.187:                              ;   in Loop: Header=BB235_13 Depth=1
	v_and_b32_e32 v28, 7, v3
	v_lshrrev_b32_e32 v3, 3, v4
	s_mov_b32 s27, exec_lo
	v_cmpx_gt_u32_e32 8, v4
; %bb.188:                              ;   in Loop: Header=BB235_13 Depth=1
	s_delay_alu instid0(VALU_DEP_3) | instskip(NEXT) | instid1(VALU_DEP_1)
	v_clz_i32_u32_e32 v3, v28
	v_min_u32_e32 v3, 32, v3
	s_delay_alu instid0(VALU_DEP_1) | instskip(SKIP_1) | instid1(VALU_DEP_2)
	v_subrev_nc_u32_e32 v4, 28, v3
	v_sub_nc_u32_e32 v3, 29, v3
	v_lshlrev_b64 v[4:5], v4, v[28:29]
	s_delay_alu instid0(VALU_DEP_1)
	v_and_b32_e32 v28, 7, v4
; %bb.189:                              ;   in Loop: Header=BB235_13 Depth=1
	s_or_b32 exec_lo, exec_lo, s27
	v_lshlrev_b32_e32 v2, 16, v2
	s_delay_alu instid0(VALU_DEP_2) | instskip(SKIP_2) | instid1(VALU_DEP_4)
	v_lshlrev_b32_e32 v4, 20, v28
	v_lshl_add_u32 v3, v3, 23, 0x3c000000
	v_mov_b32_e32 v60, v29
	v_and_b32_e32 v2, 0x80000000, v2
	s_delay_alu instid0(VALU_DEP_1)
	v_or3_b32 v61, v4, v2, v3
.LBB235_190:                            ;   in Loop: Header=BB235_13 Depth=1
	s_or_b32 exec_lo, exec_lo, s4
.LBB235_191:                            ;   in Loop: Header=BB235_13 Depth=1
	s_delay_alu instid0(SALU_CYCLE_1)
	s_or_b32 exec_lo, exec_lo, s26
.LBB235_192:                            ;   in Loop: Header=BB235_13 Depth=1
	s_delay_alu instid0(SALU_CYCLE_1)
	s_or_b32 exec_lo, exec_lo, s25
	flat_load_u16 v0, v[0:1] offset:12
	v_mov_b32_e32 v72, 0
	v_mov_b32_e32 v73, 0
	s_mov_b32 s4, exec_lo
	s_waitcnt vmcnt(0) lgkmcnt(0)
	v_and_b32_e32 v1, 0xff, v0
	s_delay_alu instid0(VALU_DEP_2) | instskip(SKIP_1) | instid1(VALU_DEP_3)
	v_dual_mov_b32 v75, v73 :: v_dual_and_b32 v0, 0xffff, v0
	v_mov_b32_e32 v74, v72
	v_cmpx_ne_u16_e32 0, v1
	s_cbranch_execz .LBB235_200
; %bb.193:                              ;   in Loop: Header=BB235_13 Depth=1
	v_bfrev_b32_e32 v74, 1
	v_and_b32_e32 v1, 0xff, v0
	v_mov_b32_e32 v75, 0
	s_mov_b32 s25, exec_lo
	s_delay_alu instid0(VALU_DEP_2)
	v_cmpx_ne_u16_e32 0x80, v1
	s_cbranch_execz .LBB235_199
; %bb.194:                              ;   in Loop: Header=BB235_13 Depth=1
	v_mov_b32_e32 v74, 0x7f800001
	v_dual_mov_b32 v75, 0 :: v_dual_and_b32 v2, 0x7f, v0
	s_mov_b32 s26, exec_lo
	s_delay_alu instid0(VALU_DEP_1)
	v_cmpx_ne_u32_e32 0x7f, v2
	s_cbranch_execz .LBB235_198
; %bb.195:                              ;   in Loop: Header=BB235_13 Depth=1
	v_and_b32_e32 v28, 7, v0
	v_lshrrev_b32_e32 v1, 3, v2
	s_mov_b32 s27, exec_lo
	v_cmpx_gt_u32_e32 8, v2
; %bb.196:                              ;   in Loop: Header=BB235_13 Depth=1
	s_delay_alu instid0(VALU_DEP_3) | instskip(NEXT) | instid1(VALU_DEP_1)
	v_clz_i32_u32_e32 v1, v28
	v_min_u32_e32 v1, 32, v1
	s_delay_alu instid0(VALU_DEP_1) | instskip(SKIP_1) | instid1(VALU_DEP_2)
	v_subrev_nc_u32_e32 v2, 28, v1
	v_sub_nc_u32_e32 v1, 29, v1
	v_lshlrev_b64 v[2:3], v2, v[28:29]
	s_delay_alu instid0(VALU_DEP_1)
	v_and_b32_e32 v28, 7, v2
; %bb.197:                              ;   in Loop: Header=BB235_13 Depth=1
	s_or_b32 exec_lo, exec_lo, s27
	v_lshlrev_b32_e32 v2, 24, v0
	s_delay_alu instid0(VALU_DEP_2) | instskip(SKIP_1) | instid1(VALU_DEP_3)
	v_lshlrev_b32_e32 v3, 20, v28
	v_lshl_add_u32 v1, v1, 23, 0x3c000000
	v_and_b32_e32 v2, 0x80000000, v2
	s_delay_alu instid0(VALU_DEP_1) | instskip(NEXT) | instid1(VALU_DEP_1)
	v_or3_b32 v28, v3, v2, v1
	v_dual_mov_b32 v75, v29 :: v_dual_mov_b32 v74, v28
.LBB235_198:                            ;   in Loop: Header=BB235_13 Depth=1
	s_or_b32 exec_lo, exec_lo, s26
.LBB235_199:                            ;   in Loop: Header=BB235_13 Depth=1
	s_delay_alu instid0(SALU_CYCLE_1)
	s_or_b32 exec_lo, exec_lo, s25
.LBB235_200:                            ;   in Loop: Header=BB235_13 Depth=1
	s_delay_alu instid0(SALU_CYCLE_1) | instskip(SKIP_2) | instid1(VALU_DEP_1)
	s_or_b32 exec_lo, exec_lo, s4
	v_lshrrev_b16 v1, 8, v0
	s_mov_b32 s25, exec_lo
	v_cmpx_ne_u16_e32 0, v1
	s_cbranch_execz .LBB235_208
; %bb.201:                              ;   in Loop: Header=BB235_13 Depth=1
	v_dual_mov_b32 v73, s19 :: v_dual_mov_b32 v72, s18
	s_mov_b32 s26, exec_lo
	v_cmpx_ne_u16_e32 0x80, v1
	s_cbranch_execz .LBB235_207
; %bb.202:                              ;   in Loop: Header=BB235_13 Depth=1
	s_mov_b32 s4, s18
	v_and_b32_e32 v1, 0xffff, v1
	v_dual_mov_b32 v73, s5 :: v_dual_mov_b32 v72, s4
	s_mov_b32 s4, exec_lo
	s_delay_alu instid0(VALU_DEP_2) | instskip(NEXT) | instid1(VALU_DEP_1)
	v_and_b32_e32 v2, 0x7f, v1
	v_cmpx_ne_u32_e32 0x7f, v2
	s_cbranch_execz .LBB235_206
; %bb.203:                              ;   in Loop: Header=BB235_13 Depth=1
	v_and_b32_e32 v28, 7, v1
	v_lshrrev_b32_e32 v1, 3, v2
	s_mov_b32 s27, exec_lo
	v_cmpx_gt_u32_e32 8, v2
; %bb.204:                              ;   in Loop: Header=BB235_13 Depth=1
	s_delay_alu instid0(VALU_DEP_3) | instskip(NEXT) | instid1(VALU_DEP_1)
	v_clz_i32_u32_e32 v1, v28
	v_min_u32_e32 v1, 32, v1
	s_delay_alu instid0(VALU_DEP_1) | instskip(SKIP_1) | instid1(VALU_DEP_2)
	v_subrev_nc_u32_e32 v2, 28, v1
	v_sub_nc_u32_e32 v1, 29, v1
	v_lshlrev_b64 v[2:3], v2, v[28:29]
	s_delay_alu instid0(VALU_DEP_1)
	v_and_b32_e32 v28, 7, v2
; %bb.205:                              ;   in Loop: Header=BB235_13 Depth=1
	s_or_b32 exec_lo, exec_lo, s27
	v_lshlrev_b32_e32 v0, 16, v0
	s_delay_alu instid0(VALU_DEP_2) | instskip(SKIP_2) | instid1(VALU_DEP_4)
	v_lshlrev_b32_e32 v2, 20, v28
	v_lshl_add_u32 v1, v1, 23, 0x3c000000
	v_mov_b32_e32 v72, v29
	v_and_b32_e32 v0, 0x80000000, v0
	s_delay_alu instid0(VALU_DEP_1)
	v_or3_b32 v73, v2, v0, v1
.LBB235_206:                            ;   in Loop: Header=BB235_13 Depth=1
	s_or_b32 exec_lo, exec_lo, s4
.LBB235_207:                            ;   in Loop: Header=BB235_13 Depth=1
	s_delay_alu instid0(SALU_CYCLE_1)
	s_or_b32 exec_lo, exec_lo, s26
.LBB235_208:                            ;   in Loop: Header=BB235_13 Depth=1
	s_delay_alu instid0(SALU_CYCLE_1)
	s_or_b32 exec_lo, exec_lo, s25
	flat_load_u16 v0, v[150:151] offset:768
	v_mov_b32_e32 v76, 0
	v_mov_b32_e32 v77, 0
	s_mov_b32 s4, exec_lo
	s_waitcnt vmcnt(0) lgkmcnt(0)
	v_and_b32_e32 v1, 0xff, v0
	s_delay_alu instid0(VALU_DEP_2) | instskip(SKIP_1) | instid1(VALU_DEP_3)
	v_dual_mov_b32 v79, v77 :: v_dual_and_b32 v0, 0xffff, v0
	v_mov_b32_e32 v78, v76
	v_cmpx_ne_u16_e32 0, v1
	s_cbranch_execz .LBB235_216
; %bb.209:                              ;   in Loop: Header=BB235_13 Depth=1
	v_bfrev_b32_e32 v78, 1
	v_and_b32_e32 v1, 0xff, v0
	v_mov_b32_e32 v79, 0
	s_mov_b32 s25, exec_lo
	s_delay_alu instid0(VALU_DEP_2)
	v_cmpx_ne_u16_e32 0x80, v1
	s_cbranch_execz .LBB235_215
; %bb.210:                              ;   in Loop: Header=BB235_13 Depth=1
	v_mov_b32_e32 v78, 0x7f800001
	v_dual_mov_b32 v79, 0 :: v_dual_and_b32 v2, 0x7f, v0
	s_mov_b32 s26, exec_lo
	s_delay_alu instid0(VALU_DEP_1)
	v_cmpx_ne_u32_e32 0x7f, v2
	s_cbranch_execz .LBB235_214
; %bb.211:                              ;   in Loop: Header=BB235_13 Depth=1
	v_and_b32_e32 v28, 7, v0
	v_lshrrev_b32_e32 v1, 3, v2
	s_mov_b32 s27, exec_lo
	v_cmpx_gt_u32_e32 8, v2
; %bb.212:                              ;   in Loop: Header=BB235_13 Depth=1
	s_delay_alu instid0(VALU_DEP_3) | instskip(NEXT) | instid1(VALU_DEP_1)
	v_clz_i32_u32_e32 v1, v28
	v_min_u32_e32 v1, 32, v1
	s_delay_alu instid0(VALU_DEP_1) | instskip(SKIP_1) | instid1(VALU_DEP_2)
	v_subrev_nc_u32_e32 v2, 28, v1
	v_sub_nc_u32_e32 v1, 29, v1
	v_lshlrev_b64 v[2:3], v2, v[28:29]
	s_delay_alu instid0(VALU_DEP_1)
	v_and_b32_e32 v28, 7, v2
; %bb.213:                              ;   in Loop: Header=BB235_13 Depth=1
	s_or_b32 exec_lo, exec_lo, s27
	v_lshlrev_b32_e32 v2, 24, v0
	s_delay_alu instid0(VALU_DEP_2) | instskip(SKIP_1) | instid1(VALU_DEP_3)
	v_lshlrev_b32_e32 v3, 20, v28
	v_lshl_add_u32 v1, v1, 23, 0x3c000000
	v_and_b32_e32 v2, 0x80000000, v2
	s_delay_alu instid0(VALU_DEP_1) | instskip(NEXT) | instid1(VALU_DEP_1)
	v_or3_b32 v28, v3, v2, v1
	v_dual_mov_b32 v79, v29 :: v_dual_mov_b32 v78, v28
.LBB235_214:                            ;   in Loop: Header=BB235_13 Depth=1
	s_or_b32 exec_lo, exec_lo, s26
.LBB235_215:                            ;   in Loop: Header=BB235_13 Depth=1
	s_delay_alu instid0(SALU_CYCLE_1)
	s_or_b32 exec_lo, exec_lo, s25
.LBB235_216:                            ;   in Loop: Header=BB235_13 Depth=1
	s_delay_alu instid0(SALU_CYCLE_1) | instskip(SKIP_2) | instid1(VALU_DEP_1)
	s_or_b32 exec_lo, exec_lo, s4
	v_lshrrev_b16 v1, 8, v0
	s_mov_b32 s25, exec_lo
	v_cmpx_ne_u16_e32 0, v1
	s_cbranch_execz .LBB235_224
; %bb.217:                              ;   in Loop: Header=BB235_13 Depth=1
	v_dual_mov_b32 v77, s19 :: v_dual_mov_b32 v76, s18
	s_mov_b32 s26, exec_lo
	v_cmpx_ne_u16_e32 0x80, v1
	s_cbranch_execz .LBB235_223
; %bb.218:                              ;   in Loop: Header=BB235_13 Depth=1
	s_mov_b32 s4, s18
	v_and_b32_e32 v1, 0xffff, v1
	v_dual_mov_b32 v77, s5 :: v_dual_mov_b32 v76, s4
	s_mov_b32 s4, exec_lo
	s_delay_alu instid0(VALU_DEP_2) | instskip(NEXT) | instid1(VALU_DEP_1)
	v_and_b32_e32 v2, 0x7f, v1
	v_cmpx_ne_u32_e32 0x7f, v2
	s_cbranch_execz .LBB235_222
; %bb.219:                              ;   in Loop: Header=BB235_13 Depth=1
	v_and_b32_e32 v28, 7, v1
	v_lshrrev_b32_e32 v1, 3, v2
	s_mov_b32 s27, exec_lo
	v_cmpx_gt_u32_e32 8, v2
; %bb.220:                              ;   in Loop: Header=BB235_13 Depth=1
	s_delay_alu instid0(VALU_DEP_3) | instskip(NEXT) | instid1(VALU_DEP_1)
	v_clz_i32_u32_e32 v1, v28
	v_min_u32_e32 v1, 32, v1
	s_delay_alu instid0(VALU_DEP_1) | instskip(SKIP_1) | instid1(VALU_DEP_2)
	v_subrev_nc_u32_e32 v2, 28, v1
	v_sub_nc_u32_e32 v1, 29, v1
	v_lshlrev_b64 v[2:3], v2, v[28:29]
	s_delay_alu instid0(VALU_DEP_1)
	v_and_b32_e32 v28, 7, v2
; %bb.221:                              ;   in Loop: Header=BB235_13 Depth=1
	s_or_b32 exec_lo, exec_lo, s27
	v_lshlrev_b32_e32 v0, 16, v0
	s_delay_alu instid0(VALU_DEP_2) | instskip(SKIP_2) | instid1(VALU_DEP_4)
	v_lshlrev_b32_e32 v2, 20, v28
	v_lshl_add_u32 v1, v1, 23, 0x3c000000
	v_mov_b32_e32 v76, v29
	v_and_b32_e32 v0, 0x80000000, v0
	s_delay_alu instid0(VALU_DEP_1)
	v_or3_b32 v77, v2, v0, v1
.LBB235_222:                            ;   in Loop: Header=BB235_13 Depth=1
	s_or_b32 exec_lo, exec_lo, s4
.LBB235_223:                            ;   in Loop: Header=BB235_13 Depth=1
	s_delay_alu instid0(SALU_CYCLE_1)
	s_or_b32 exec_lo, exec_lo, s26
.LBB235_224:                            ;   in Loop: Header=BB235_13 Depth=1
	s_delay_alu instid0(SALU_CYCLE_1)
	s_or_b32 exec_lo, exec_lo, s25
	flat_load_u16 v0, v[150:151] offset:772
	v_mov_b32_e32 v88, 0
	v_mov_b32_e32 v89, 0
	s_mov_b32 s4, exec_lo
	s_waitcnt vmcnt(0) lgkmcnt(0)
	v_and_b32_e32 v1, 0xff, v0
	s_delay_alu instid0(VALU_DEP_2) | instskip(SKIP_1) | instid1(VALU_DEP_3)
	v_dual_mov_b32 v91, v89 :: v_dual_and_b32 v0, 0xffff, v0
	v_mov_b32_e32 v90, v88
	v_cmpx_ne_u16_e32 0, v1
	s_cbranch_execz .LBB235_232
; %bb.225:                              ;   in Loop: Header=BB235_13 Depth=1
	v_bfrev_b32_e32 v90, 1
	v_and_b32_e32 v1, 0xff, v0
	v_mov_b32_e32 v91, 0
	s_mov_b32 s25, exec_lo
	s_delay_alu instid0(VALU_DEP_2)
	v_cmpx_ne_u16_e32 0x80, v1
	s_cbranch_execz .LBB235_231
; %bb.226:                              ;   in Loop: Header=BB235_13 Depth=1
	v_mov_b32_e32 v90, 0x7f800001
	v_dual_mov_b32 v91, 0 :: v_dual_and_b32 v2, 0x7f, v0
	s_mov_b32 s26, exec_lo
	s_delay_alu instid0(VALU_DEP_1)
	v_cmpx_ne_u32_e32 0x7f, v2
	s_cbranch_execz .LBB235_230
; %bb.227:                              ;   in Loop: Header=BB235_13 Depth=1
	v_and_b32_e32 v28, 7, v0
	v_lshrrev_b32_e32 v1, 3, v2
	s_mov_b32 s27, exec_lo
	v_cmpx_gt_u32_e32 8, v2
; %bb.228:                              ;   in Loop: Header=BB235_13 Depth=1
	s_delay_alu instid0(VALU_DEP_3) | instskip(NEXT) | instid1(VALU_DEP_1)
	v_clz_i32_u32_e32 v1, v28
	v_min_u32_e32 v1, 32, v1
	s_delay_alu instid0(VALU_DEP_1) | instskip(SKIP_1) | instid1(VALU_DEP_2)
	v_subrev_nc_u32_e32 v2, 28, v1
	v_sub_nc_u32_e32 v1, 29, v1
	v_lshlrev_b64 v[2:3], v2, v[28:29]
	s_delay_alu instid0(VALU_DEP_1)
	v_and_b32_e32 v28, 7, v2
; %bb.229:                              ;   in Loop: Header=BB235_13 Depth=1
	s_or_b32 exec_lo, exec_lo, s27
	v_lshlrev_b32_e32 v2, 24, v0
	s_delay_alu instid0(VALU_DEP_2) | instskip(SKIP_1) | instid1(VALU_DEP_3)
	v_lshlrev_b32_e32 v3, 20, v28
	v_lshl_add_u32 v1, v1, 23, 0x3c000000
	v_and_b32_e32 v2, 0x80000000, v2
	s_delay_alu instid0(VALU_DEP_1) | instskip(NEXT) | instid1(VALU_DEP_1)
	v_or3_b32 v28, v3, v2, v1
	v_dual_mov_b32 v91, v29 :: v_dual_mov_b32 v90, v28
.LBB235_230:                            ;   in Loop: Header=BB235_13 Depth=1
	s_or_b32 exec_lo, exec_lo, s26
.LBB235_231:                            ;   in Loop: Header=BB235_13 Depth=1
	s_delay_alu instid0(SALU_CYCLE_1)
	s_or_b32 exec_lo, exec_lo, s25
.LBB235_232:                            ;   in Loop: Header=BB235_13 Depth=1
	s_delay_alu instid0(SALU_CYCLE_1) | instskip(SKIP_2) | instid1(VALU_DEP_1)
	s_or_b32 exec_lo, exec_lo, s4
	v_lshrrev_b16 v1, 8, v0
	s_mov_b32 s25, exec_lo
	v_cmpx_ne_u16_e32 0, v1
	s_cbranch_execz .LBB235_240
; %bb.233:                              ;   in Loop: Header=BB235_13 Depth=1
	v_dual_mov_b32 v89, s19 :: v_dual_mov_b32 v88, s18
	s_mov_b32 s26, exec_lo
	v_cmpx_ne_u16_e32 0x80, v1
	s_cbranch_execz .LBB235_239
; %bb.234:                              ;   in Loop: Header=BB235_13 Depth=1
	s_mov_b32 s4, s18
	v_and_b32_e32 v1, 0xffff, v1
	v_dual_mov_b32 v89, s5 :: v_dual_mov_b32 v88, s4
	s_mov_b32 s4, exec_lo
	s_delay_alu instid0(VALU_DEP_2) | instskip(NEXT) | instid1(VALU_DEP_1)
	v_and_b32_e32 v2, 0x7f, v1
	v_cmpx_ne_u32_e32 0x7f, v2
	s_cbranch_execz .LBB235_238
; %bb.235:                              ;   in Loop: Header=BB235_13 Depth=1
	v_and_b32_e32 v28, 7, v1
	v_lshrrev_b32_e32 v1, 3, v2
	s_mov_b32 s27, exec_lo
	v_cmpx_gt_u32_e32 8, v2
; %bb.236:                              ;   in Loop: Header=BB235_13 Depth=1
	s_delay_alu instid0(VALU_DEP_3) | instskip(NEXT) | instid1(VALU_DEP_1)
	v_clz_i32_u32_e32 v1, v28
	v_min_u32_e32 v1, 32, v1
	s_delay_alu instid0(VALU_DEP_1) | instskip(SKIP_1) | instid1(VALU_DEP_2)
	v_subrev_nc_u32_e32 v2, 28, v1
	v_sub_nc_u32_e32 v1, 29, v1
	v_lshlrev_b64 v[2:3], v2, v[28:29]
	s_delay_alu instid0(VALU_DEP_1)
	v_and_b32_e32 v28, 7, v2
; %bb.237:                              ;   in Loop: Header=BB235_13 Depth=1
	s_or_b32 exec_lo, exec_lo, s27
	v_lshlrev_b32_e32 v0, 16, v0
	s_delay_alu instid0(VALU_DEP_2) | instskip(SKIP_2) | instid1(VALU_DEP_4)
	v_lshlrev_b32_e32 v2, 20, v28
	v_lshl_add_u32 v1, v1, 23, 0x3c000000
	v_mov_b32_e32 v88, v29
	v_and_b32_e32 v0, 0x80000000, v0
	s_delay_alu instid0(VALU_DEP_1)
	v_or3_b32 v89, v2, v0, v1
.LBB235_238:                            ;   in Loop: Header=BB235_13 Depth=1
	s_or_b32 exec_lo, exec_lo, s4
.LBB235_239:                            ;   in Loop: Header=BB235_13 Depth=1
	s_delay_alu instid0(SALU_CYCLE_1)
	s_or_b32 exec_lo, exec_lo, s26
.LBB235_240:                            ;   in Loop: Header=BB235_13 Depth=1
	s_delay_alu instid0(SALU_CYCLE_1) | instskip(SKIP_1) | instid1(VALU_DEP_1)
	s_or_b32 exec_lo, exec_lo, s25
	v_add_co_u32 v0, s3, 0x300, v150
	v_add_co_ci_u32_e64 v1, s3, 0, v151, s3
	s_mov_b32 s4, exec_lo
	flat_load_u16 v2, v[0:1] offset:8
	v_mov_b32_e32 v92, 0
	v_mov_b32_e32 v93, 0
	s_waitcnt vmcnt(0) lgkmcnt(0)
	v_and_b32_e32 v3, 0xff, v2
	s_delay_alu instid0(VALU_DEP_2) | instskip(SKIP_1) | instid1(VALU_DEP_3)
	v_dual_mov_b32 v95, v93 :: v_dual_and_b32 v2, 0xffff, v2
	v_mov_b32_e32 v94, v92
	v_cmpx_ne_u16_e32 0, v3
	s_cbranch_execz .LBB235_248
; %bb.241:                              ;   in Loop: Header=BB235_13 Depth=1
	v_bfrev_b32_e32 v94, 1
	v_and_b32_e32 v3, 0xff, v2
	v_mov_b32_e32 v95, 0
	s_mov_b32 s25, exec_lo
	s_delay_alu instid0(VALU_DEP_2)
	v_cmpx_ne_u16_e32 0x80, v3
	s_cbranch_execz .LBB235_247
; %bb.242:                              ;   in Loop: Header=BB235_13 Depth=1
	v_mov_b32_e32 v94, 0x7f800001
	v_dual_mov_b32 v95, 0 :: v_dual_and_b32 v4, 0x7f, v2
	s_mov_b32 s26, exec_lo
	s_delay_alu instid0(VALU_DEP_1)
	v_cmpx_ne_u32_e32 0x7f, v4
	s_cbranch_execz .LBB235_246
; %bb.243:                              ;   in Loop: Header=BB235_13 Depth=1
	v_and_b32_e32 v28, 7, v2
	v_lshrrev_b32_e32 v3, 3, v4
	s_mov_b32 s27, exec_lo
	v_cmpx_gt_u32_e32 8, v4
; %bb.244:                              ;   in Loop: Header=BB235_13 Depth=1
	s_delay_alu instid0(VALU_DEP_3) | instskip(NEXT) | instid1(VALU_DEP_1)
	v_clz_i32_u32_e32 v3, v28
	v_min_u32_e32 v3, 32, v3
	s_delay_alu instid0(VALU_DEP_1) | instskip(SKIP_1) | instid1(VALU_DEP_2)
	v_subrev_nc_u32_e32 v4, 28, v3
	v_sub_nc_u32_e32 v3, 29, v3
	v_lshlrev_b64 v[4:5], v4, v[28:29]
	s_delay_alu instid0(VALU_DEP_1)
	v_and_b32_e32 v28, 7, v4
; %bb.245:                              ;   in Loop: Header=BB235_13 Depth=1
	s_or_b32 exec_lo, exec_lo, s27
	v_lshlrev_b32_e32 v4, 24, v2
	s_delay_alu instid0(VALU_DEP_2) | instskip(SKIP_1) | instid1(VALU_DEP_3)
	v_lshlrev_b32_e32 v5, 20, v28
	v_lshl_add_u32 v3, v3, 23, 0x3c000000
	v_and_b32_e32 v4, 0x80000000, v4
	s_delay_alu instid0(VALU_DEP_1) | instskip(NEXT) | instid1(VALU_DEP_1)
	v_or3_b32 v28, v5, v4, v3
	v_dual_mov_b32 v95, v29 :: v_dual_mov_b32 v94, v28
.LBB235_246:                            ;   in Loop: Header=BB235_13 Depth=1
	s_or_b32 exec_lo, exec_lo, s26
.LBB235_247:                            ;   in Loop: Header=BB235_13 Depth=1
	s_delay_alu instid0(SALU_CYCLE_1)
	s_or_b32 exec_lo, exec_lo, s25
.LBB235_248:                            ;   in Loop: Header=BB235_13 Depth=1
	s_delay_alu instid0(SALU_CYCLE_1) | instskip(SKIP_2) | instid1(VALU_DEP_1)
	s_or_b32 exec_lo, exec_lo, s4
	v_lshrrev_b16 v3, 8, v2
	s_mov_b32 s25, exec_lo
	v_cmpx_ne_u16_e32 0, v3
	s_cbranch_execz .LBB235_256
; %bb.249:                              ;   in Loop: Header=BB235_13 Depth=1
	v_dual_mov_b32 v93, s19 :: v_dual_mov_b32 v92, s18
	s_mov_b32 s26, exec_lo
	v_cmpx_ne_u16_e32 0x80, v3
	s_cbranch_execz .LBB235_255
; %bb.250:                              ;   in Loop: Header=BB235_13 Depth=1
	s_mov_b32 s4, s18
	v_and_b32_e32 v3, 0xffff, v3
	v_dual_mov_b32 v93, s5 :: v_dual_mov_b32 v92, s4
	s_mov_b32 s4, exec_lo
	s_delay_alu instid0(VALU_DEP_2) | instskip(NEXT) | instid1(VALU_DEP_1)
	v_and_b32_e32 v4, 0x7f, v3
	v_cmpx_ne_u32_e32 0x7f, v4
	s_cbranch_execz .LBB235_254
; %bb.251:                              ;   in Loop: Header=BB235_13 Depth=1
	v_and_b32_e32 v28, 7, v3
	v_lshrrev_b32_e32 v3, 3, v4
	s_mov_b32 s27, exec_lo
	v_cmpx_gt_u32_e32 8, v4
; %bb.252:                              ;   in Loop: Header=BB235_13 Depth=1
	s_delay_alu instid0(VALU_DEP_3) | instskip(NEXT) | instid1(VALU_DEP_1)
	v_clz_i32_u32_e32 v3, v28
	v_min_u32_e32 v3, 32, v3
	s_delay_alu instid0(VALU_DEP_1) | instskip(SKIP_1) | instid1(VALU_DEP_2)
	v_subrev_nc_u32_e32 v4, 28, v3
	v_sub_nc_u32_e32 v3, 29, v3
	v_lshlrev_b64 v[4:5], v4, v[28:29]
	s_delay_alu instid0(VALU_DEP_1)
	v_and_b32_e32 v28, 7, v4
; %bb.253:                              ;   in Loop: Header=BB235_13 Depth=1
	s_or_b32 exec_lo, exec_lo, s27
	v_lshlrev_b32_e32 v2, 16, v2
	s_delay_alu instid0(VALU_DEP_2) | instskip(SKIP_2) | instid1(VALU_DEP_4)
	v_lshlrev_b32_e32 v4, 20, v28
	v_lshl_add_u32 v3, v3, 23, 0x3c000000
	v_mov_b32_e32 v92, v29
	v_and_b32_e32 v2, 0x80000000, v2
	s_delay_alu instid0(VALU_DEP_1)
	v_or3_b32 v93, v4, v2, v3
.LBB235_254:                            ;   in Loop: Header=BB235_13 Depth=1
	s_or_b32 exec_lo, exec_lo, s4
.LBB235_255:                            ;   in Loop: Header=BB235_13 Depth=1
	s_delay_alu instid0(SALU_CYCLE_1)
	s_or_b32 exec_lo, exec_lo, s26
.LBB235_256:                            ;   in Loop: Header=BB235_13 Depth=1
	s_delay_alu instid0(SALU_CYCLE_1)
	s_or_b32 exec_lo, exec_lo, s25
	flat_load_u16 v0, v[0:1] offset:12
	v_mov_b32_e32 v104, 0
	v_mov_b32_e32 v105, 0
	s_mov_b32 s4, exec_lo
	s_waitcnt vmcnt(0) lgkmcnt(0)
	v_and_b32_e32 v1, 0xff, v0
	s_delay_alu instid0(VALU_DEP_2) | instskip(SKIP_1) | instid1(VALU_DEP_3)
	v_dual_mov_b32 v107, v105 :: v_dual_and_b32 v0, 0xffff, v0
	v_mov_b32_e32 v106, v104
	v_cmpx_ne_u16_e32 0, v1
	s_cbranch_execz .LBB235_264
; %bb.257:                              ;   in Loop: Header=BB235_13 Depth=1
	v_bfrev_b32_e32 v106, 1
	v_and_b32_e32 v1, 0xff, v0
	v_mov_b32_e32 v107, 0
	s_mov_b32 s25, exec_lo
	s_delay_alu instid0(VALU_DEP_2)
	v_cmpx_ne_u16_e32 0x80, v1
	s_cbranch_execz .LBB235_263
; %bb.258:                              ;   in Loop: Header=BB235_13 Depth=1
	v_mov_b32_e32 v106, 0x7f800001
	v_dual_mov_b32 v107, 0 :: v_dual_and_b32 v2, 0x7f, v0
	s_mov_b32 s26, exec_lo
	s_delay_alu instid0(VALU_DEP_1)
	v_cmpx_ne_u32_e32 0x7f, v2
	s_cbranch_execz .LBB235_262
; %bb.259:                              ;   in Loop: Header=BB235_13 Depth=1
	v_and_b32_e32 v28, 7, v0
	v_lshrrev_b32_e32 v1, 3, v2
	s_mov_b32 s27, exec_lo
	v_cmpx_gt_u32_e32 8, v2
; %bb.260:                              ;   in Loop: Header=BB235_13 Depth=1
	s_delay_alu instid0(VALU_DEP_3) | instskip(NEXT) | instid1(VALU_DEP_1)
	v_clz_i32_u32_e32 v1, v28
	v_min_u32_e32 v1, 32, v1
	s_delay_alu instid0(VALU_DEP_1) | instskip(SKIP_1) | instid1(VALU_DEP_2)
	v_subrev_nc_u32_e32 v2, 28, v1
	v_sub_nc_u32_e32 v1, 29, v1
	v_lshlrev_b64 v[2:3], v2, v[28:29]
	s_delay_alu instid0(VALU_DEP_1)
	v_and_b32_e32 v28, 7, v2
; %bb.261:                              ;   in Loop: Header=BB235_13 Depth=1
	s_or_b32 exec_lo, exec_lo, s27
	v_lshlrev_b32_e32 v2, 24, v0
	s_delay_alu instid0(VALU_DEP_2) | instskip(SKIP_1) | instid1(VALU_DEP_3)
	v_lshlrev_b32_e32 v3, 20, v28
	v_lshl_add_u32 v1, v1, 23, 0x3c000000
	v_and_b32_e32 v2, 0x80000000, v2
	s_delay_alu instid0(VALU_DEP_1) | instskip(NEXT) | instid1(VALU_DEP_1)
	v_or3_b32 v28, v3, v2, v1
	v_dual_mov_b32 v107, v29 :: v_dual_mov_b32 v106, v28
.LBB235_262:                            ;   in Loop: Header=BB235_13 Depth=1
	s_or_b32 exec_lo, exec_lo, s26
.LBB235_263:                            ;   in Loop: Header=BB235_13 Depth=1
	s_delay_alu instid0(SALU_CYCLE_1)
	s_or_b32 exec_lo, exec_lo, s25
.LBB235_264:                            ;   in Loop: Header=BB235_13 Depth=1
	s_delay_alu instid0(SALU_CYCLE_1) | instskip(SKIP_2) | instid1(VALU_DEP_1)
	s_or_b32 exec_lo, exec_lo, s4
	v_lshrrev_b16 v1, 8, v0
	s_mov_b32 s25, exec_lo
	v_cmpx_ne_u16_e32 0, v1
	s_cbranch_execz .LBB235_272
; %bb.265:                              ;   in Loop: Header=BB235_13 Depth=1
	v_dual_mov_b32 v105, s19 :: v_dual_mov_b32 v104, s18
	s_mov_b32 s26, exec_lo
	v_cmpx_ne_u16_e32 0x80, v1
	s_cbranch_execz .LBB235_271
; %bb.266:                              ;   in Loop: Header=BB235_13 Depth=1
	s_mov_b32 s4, s18
	v_and_b32_e32 v1, 0xffff, v1
	v_dual_mov_b32 v105, s5 :: v_dual_mov_b32 v104, s4
	s_mov_b32 s4, exec_lo
	s_delay_alu instid0(VALU_DEP_2) | instskip(NEXT) | instid1(VALU_DEP_1)
	v_and_b32_e32 v2, 0x7f, v1
	v_cmpx_ne_u32_e32 0x7f, v2
	s_cbranch_execz .LBB235_270
; %bb.267:                              ;   in Loop: Header=BB235_13 Depth=1
	v_and_b32_e32 v28, 7, v1
	v_lshrrev_b32_e32 v1, 3, v2
	s_mov_b32 s27, exec_lo
	v_cmpx_gt_u32_e32 8, v2
; %bb.268:                              ;   in Loop: Header=BB235_13 Depth=1
	s_delay_alu instid0(VALU_DEP_3) | instskip(NEXT) | instid1(VALU_DEP_1)
	v_clz_i32_u32_e32 v1, v28
	v_min_u32_e32 v1, 32, v1
	s_delay_alu instid0(VALU_DEP_1) | instskip(SKIP_1) | instid1(VALU_DEP_2)
	v_subrev_nc_u32_e32 v2, 28, v1
	v_sub_nc_u32_e32 v1, 29, v1
	v_lshlrev_b64 v[2:3], v2, v[28:29]
	s_delay_alu instid0(VALU_DEP_1)
	v_and_b32_e32 v28, 7, v2
; %bb.269:                              ;   in Loop: Header=BB235_13 Depth=1
	s_or_b32 exec_lo, exec_lo, s27
	v_lshlrev_b32_e32 v0, 16, v0
	s_delay_alu instid0(VALU_DEP_2) | instskip(SKIP_2) | instid1(VALU_DEP_4)
	v_lshlrev_b32_e32 v2, 20, v28
	v_lshl_add_u32 v1, v1, 23, 0x3c000000
	v_mov_b32_e32 v104, v29
	v_and_b32_e32 v0, 0x80000000, v0
	s_delay_alu instid0(VALU_DEP_1)
	v_or3_b32 v105, v2, v0, v1
.LBB235_270:                            ;   in Loop: Header=BB235_13 Depth=1
	s_or_b32 exec_lo, exec_lo, s4
.LBB235_271:                            ;   in Loop: Header=BB235_13 Depth=1
	s_delay_alu instid0(SALU_CYCLE_1)
	s_or_b32 exec_lo, exec_lo, s26
.LBB235_272:                            ;   in Loop: Header=BB235_13 Depth=1
	s_delay_alu instid0(SALU_CYCLE_1)
	s_or_b32 exec_lo, exec_lo, s25
	flat_load_u16 v0, v[150:151] offset:1024
	v_mov_b32_e32 v108, 0
	v_mov_b32_e32 v109, 0
	s_mov_b32 s4, exec_lo
	s_waitcnt vmcnt(0) lgkmcnt(0)
	v_and_b32_e32 v1, 0xff, v0
	s_delay_alu instid0(VALU_DEP_2) | instskip(SKIP_1) | instid1(VALU_DEP_3)
	v_dual_mov_b32 v111, v109 :: v_dual_and_b32 v0, 0xffff, v0
	v_mov_b32_e32 v110, v108
	v_cmpx_ne_u16_e32 0, v1
	s_cbranch_execz .LBB235_280
; %bb.273:                              ;   in Loop: Header=BB235_13 Depth=1
	v_bfrev_b32_e32 v110, 1
	v_and_b32_e32 v1, 0xff, v0
	v_mov_b32_e32 v111, 0
	s_mov_b32 s25, exec_lo
	s_delay_alu instid0(VALU_DEP_2)
	v_cmpx_ne_u16_e32 0x80, v1
	s_cbranch_execz .LBB235_279
; %bb.274:                              ;   in Loop: Header=BB235_13 Depth=1
	v_mov_b32_e32 v110, 0x7f800001
	v_dual_mov_b32 v111, 0 :: v_dual_and_b32 v2, 0x7f, v0
	s_mov_b32 s26, exec_lo
	s_delay_alu instid0(VALU_DEP_1)
	v_cmpx_ne_u32_e32 0x7f, v2
	s_cbranch_execz .LBB235_278
; %bb.275:                              ;   in Loop: Header=BB235_13 Depth=1
	v_and_b32_e32 v28, 7, v0
	v_lshrrev_b32_e32 v1, 3, v2
	s_mov_b32 s27, exec_lo
	v_cmpx_gt_u32_e32 8, v2
; %bb.276:                              ;   in Loop: Header=BB235_13 Depth=1
	s_delay_alu instid0(VALU_DEP_3) | instskip(NEXT) | instid1(VALU_DEP_1)
	v_clz_i32_u32_e32 v1, v28
	v_min_u32_e32 v1, 32, v1
	s_delay_alu instid0(VALU_DEP_1) | instskip(SKIP_1) | instid1(VALU_DEP_2)
	v_subrev_nc_u32_e32 v2, 28, v1
	v_sub_nc_u32_e32 v1, 29, v1
	v_lshlrev_b64 v[2:3], v2, v[28:29]
	s_delay_alu instid0(VALU_DEP_1)
	v_and_b32_e32 v28, 7, v2
; %bb.277:                              ;   in Loop: Header=BB235_13 Depth=1
	s_or_b32 exec_lo, exec_lo, s27
	v_lshlrev_b32_e32 v2, 24, v0
	s_delay_alu instid0(VALU_DEP_2) | instskip(SKIP_1) | instid1(VALU_DEP_3)
	v_lshlrev_b32_e32 v3, 20, v28
	v_lshl_add_u32 v1, v1, 23, 0x3c000000
	v_and_b32_e32 v2, 0x80000000, v2
	s_delay_alu instid0(VALU_DEP_1) | instskip(NEXT) | instid1(VALU_DEP_1)
	v_or3_b32 v28, v3, v2, v1
	v_dual_mov_b32 v111, v29 :: v_dual_mov_b32 v110, v28
.LBB235_278:                            ;   in Loop: Header=BB235_13 Depth=1
	s_or_b32 exec_lo, exec_lo, s26
.LBB235_279:                            ;   in Loop: Header=BB235_13 Depth=1
	s_delay_alu instid0(SALU_CYCLE_1)
	s_or_b32 exec_lo, exec_lo, s25
.LBB235_280:                            ;   in Loop: Header=BB235_13 Depth=1
	s_delay_alu instid0(SALU_CYCLE_1) | instskip(SKIP_2) | instid1(VALU_DEP_1)
	s_or_b32 exec_lo, exec_lo, s4
	v_lshrrev_b16 v1, 8, v0
	s_mov_b32 s25, exec_lo
	v_cmpx_ne_u16_e32 0, v1
	s_cbranch_execz .LBB235_288
; %bb.281:                              ;   in Loop: Header=BB235_13 Depth=1
	v_dual_mov_b32 v109, s19 :: v_dual_mov_b32 v108, s18
	s_mov_b32 s26, exec_lo
	v_cmpx_ne_u16_e32 0x80, v1
	s_cbranch_execz .LBB235_287
; %bb.282:                              ;   in Loop: Header=BB235_13 Depth=1
	s_mov_b32 s4, s18
	v_and_b32_e32 v1, 0xffff, v1
	v_dual_mov_b32 v109, s5 :: v_dual_mov_b32 v108, s4
	s_mov_b32 s4, exec_lo
	s_delay_alu instid0(VALU_DEP_2) | instskip(NEXT) | instid1(VALU_DEP_1)
	v_and_b32_e32 v2, 0x7f, v1
	v_cmpx_ne_u32_e32 0x7f, v2
	s_cbranch_execz .LBB235_286
; %bb.283:                              ;   in Loop: Header=BB235_13 Depth=1
	v_and_b32_e32 v28, 7, v1
	v_lshrrev_b32_e32 v1, 3, v2
	s_mov_b32 s27, exec_lo
	v_cmpx_gt_u32_e32 8, v2
; %bb.284:                              ;   in Loop: Header=BB235_13 Depth=1
	s_delay_alu instid0(VALU_DEP_3) | instskip(NEXT) | instid1(VALU_DEP_1)
	v_clz_i32_u32_e32 v1, v28
	v_min_u32_e32 v1, 32, v1
	s_delay_alu instid0(VALU_DEP_1) | instskip(SKIP_1) | instid1(VALU_DEP_2)
	v_subrev_nc_u32_e32 v2, 28, v1
	v_sub_nc_u32_e32 v1, 29, v1
	v_lshlrev_b64 v[2:3], v2, v[28:29]
	s_delay_alu instid0(VALU_DEP_1)
	v_and_b32_e32 v28, 7, v2
; %bb.285:                              ;   in Loop: Header=BB235_13 Depth=1
	s_or_b32 exec_lo, exec_lo, s27
	v_lshlrev_b32_e32 v0, 16, v0
	s_delay_alu instid0(VALU_DEP_2) | instskip(SKIP_2) | instid1(VALU_DEP_4)
	v_lshlrev_b32_e32 v2, 20, v28
	v_lshl_add_u32 v1, v1, 23, 0x3c000000
	v_mov_b32_e32 v108, v29
	v_and_b32_e32 v0, 0x80000000, v0
	s_delay_alu instid0(VALU_DEP_1)
	v_or3_b32 v109, v2, v0, v1
.LBB235_286:                            ;   in Loop: Header=BB235_13 Depth=1
	s_or_b32 exec_lo, exec_lo, s4
.LBB235_287:                            ;   in Loop: Header=BB235_13 Depth=1
	s_delay_alu instid0(SALU_CYCLE_1)
	s_or_b32 exec_lo, exec_lo, s26
.LBB235_288:                            ;   in Loop: Header=BB235_13 Depth=1
	s_delay_alu instid0(SALU_CYCLE_1)
	s_or_b32 exec_lo, exec_lo, s25
	flat_load_u16 v0, v[150:151] offset:1028
	v_mov_b32_e32 v120, 0
	v_mov_b32_e32 v121, 0
	s_mov_b32 s4, exec_lo
	s_waitcnt vmcnt(0) lgkmcnt(0)
	v_and_b32_e32 v1, 0xff, v0
	s_delay_alu instid0(VALU_DEP_2) | instskip(SKIP_1) | instid1(VALU_DEP_3)
	v_dual_mov_b32 v123, v121 :: v_dual_and_b32 v0, 0xffff, v0
	v_mov_b32_e32 v122, v120
	v_cmpx_ne_u16_e32 0, v1
	s_cbranch_execz .LBB235_296
; %bb.289:                              ;   in Loop: Header=BB235_13 Depth=1
	v_bfrev_b32_e32 v122, 1
	v_and_b32_e32 v1, 0xff, v0
	v_mov_b32_e32 v123, 0
	s_mov_b32 s25, exec_lo
	s_delay_alu instid0(VALU_DEP_2)
	v_cmpx_ne_u16_e32 0x80, v1
	s_cbranch_execz .LBB235_295
; %bb.290:                              ;   in Loop: Header=BB235_13 Depth=1
	v_mov_b32_e32 v122, 0x7f800001
	v_dual_mov_b32 v123, 0 :: v_dual_and_b32 v2, 0x7f, v0
	s_mov_b32 s26, exec_lo
	s_delay_alu instid0(VALU_DEP_1)
	v_cmpx_ne_u32_e32 0x7f, v2
	s_cbranch_execz .LBB235_294
; %bb.291:                              ;   in Loop: Header=BB235_13 Depth=1
	v_and_b32_e32 v28, 7, v0
	v_lshrrev_b32_e32 v1, 3, v2
	s_mov_b32 s27, exec_lo
	v_cmpx_gt_u32_e32 8, v2
; %bb.292:                              ;   in Loop: Header=BB235_13 Depth=1
	s_delay_alu instid0(VALU_DEP_3) | instskip(NEXT) | instid1(VALU_DEP_1)
	v_clz_i32_u32_e32 v1, v28
	v_min_u32_e32 v1, 32, v1
	s_delay_alu instid0(VALU_DEP_1) | instskip(SKIP_1) | instid1(VALU_DEP_2)
	v_subrev_nc_u32_e32 v2, 28, v1
	v_sub_nc_u32_e32 v1, 29, v1
	v_lshlrev_b64 v[2:3], v2, v[28:29]
	s_delay_alu instid0(VALU_DEP_1)
	v_and_b32_e32 v28, 7, v2
; %bb.293:                              ;   in Loop: Header=BB235_13 Depth=1
	s_or_b32 exec_lo, exec_lo, s27
	v_lshlrev_b32_e32 v2, 24, v0
	s_delay_alu instid0(VALU_DEP_2) | instskip(SKIP_1) | instid1(VALU_DEP_3)
	v_lshlrev_b32_e32 v3, 20, v28
	v_lshl_add_u32 v1, v1, 23, 0x3c000000
	v_and_b32_e32 v2, 0x80000000, v2
	s_delay_alu instid0(VALU_DEP_1) | instskip(NEXT) | instid1(VALU_DEP_1)
	v_or3_b32 v28, v3, v2, v1
	v_dual_mov_b32 v123, v29 :: v_dual_mov_b32 v122, v28
.LBB235_294:                            ;   in Loop: Header=BB235_13 Depth=1
	s_or_b32 exec_lo, exec_lo, s26
.LBB235_295:                            ;   in Loop: Header=BB235_13 Depth=1
	s_delay_alu instid0(SALU_CYCLE_1)
	s_or_b32 exec_lo, exec_lo, s25
.LBB235_296:                            ;   in Loop: Header=BB235_13 Depth=1
	s_delay_alu instid0(SALU_CYCLE_1) | instskip(SKIP_2) | instid1(VALU_DEP_1)
	s_or_b32 exec_lo, exec_lo, s4
	v_lshrrev_b16 v1, 8, v0
	s_mov_b32 s25, exec_lo
	v_cmpx_ne_u16_e32 0, v1
	s_cbranch_execz .LBB235_304
; %bb.297:                              ;   in Loop: Header=BB235_13 Depth=1
	v_dual_mov_b32 v121, s19 :: v_dual_mov_b32 v120, s18
	s_mov_b32 s26, exec_lo
	v_cmpx_ne_u16_e32 0x80, v1
	s_cbranch_execz .LBB235_303
; %bb.298:                              ;   in Loop: Header=BB235_13 Depth=1
	s_mov_b32 s4, s18
	v_and_b32_e32 v1, 0xffff, v1
	v_dual_mov_b32 v121, s5 :: v_dual_mov_b32 v120, s4
	s_mov_b32 s4, exec_lo
	s_delay_alu instid0(VALU_DEP_2) | instskip(NEXT) | instid1(VALU_DEP_1)
	v_and_b32_e32 v2, 0x7f, v1
	v_cmpx_ne_u32_e32 0x7f, v2
	s_cbranch_execz .LBB235_302
; %bb.299:                              ;   in Loop: Header=BB235_13 Depth=1
	v_and_b32_e32 v28, 7, v1
	v_lshrrev_b32_e32 v1, 3, v2
	s_mov_b32 s27, exec_lo
	v_cmpx_gt_u32_e32 8, v2
; %bb.300:                              ;   in Loop: Header=BB235_13 Depth=1
	s_delay_alu instid0(VALU_DEP_3) | instskip(NEXT) | instid1(VALU_DEP_1)
	v_clz_i32_u32_e32 v1, v28
	v_min_u32_e32 v1, 32, v1
	s_delay_alu instid0(VALU_DEP_1) | instskip(SKIP_1) | instid1(VALU_DEP_2)
	v_subrev_nc_u32_e32 v2, 28, v1
	v_sub_nc_u32_e32 v1, 29, v1
	v_lshlrev_b64 v[2:3], v2, v[28:29]
	s_delay_alu instid0(VALU_DEP_1)
	v_and_b32_e32 v28, 7, v2
; %bb.301:                              ;   in Loop: Header=BB235_13 Depth=1
	s_or_b32 exec_lo, exec_lo, s27
	v_lshlrev_b32_e32 v0, 16, v0
	s_delay_alu instid0(VALU_DEP_2) | instskip(SKIP_2) | instid1(VALU_DEP_4)
	v_lshlrev_b32_e32 v2, 20, v28
	v_lshl_add_u32 v1, v1, 23, 0x3c000000
	v_mov_b32_e32 v120, v29
	v_and_b32_e32 v0, 0x80000000, v0
	s_delay_alu instid0(VALU_DEP_1)
	v_or3_b32 v121, v2, v0, v1
.LBB235_302:                            ;   in Loop: Header=BB235_13 Depth=1
	s_or_b32 exec_lo, exec_lo, s4
.LBB235_303:                            ;   in Loop: Header=BB235_13 Depth=1
	s_delay_alu instid0(SALU_CYCLE_1)
	s_or_b32 exec_lo, exec_lo, s26
.LBB235_304:                            ;   in Loop: Header=BB235_13 Depth=1
	s_delay_alu instid0(SALU_CYCLE_1) | instskip(SKIP_1) | instid1(VALU_DEP_1)
	s_or_b32 exec_lo, exec_lo, s25
	v_add_co_u32 v0, s3, 0x400, v150
	v_add_co_ci_u32_e64 v1, s3, 0, v151, s3
	s_mov_b32 s4, exec_lo
	flat_load_u16 v2, v[0:1] offset:8
	v_mov_b32_e32 v124, 0
	v_mov_b32_e32 v125, 0
	s_waitcnt vmcnt(0) lgkmcnt(0)
	v_and_b32_e32 v3, 0xff, v2
	s_delay_alu instid0(VALU_DEP_2) | instskip(SKIP_1) | instid1(VALU_DEP_3)
	v_dual_mov_b32 v127, v125 :: v_dual_and_b32 v2, 0xffff, v2
	v_mov_b32_e32 v126, v124
	v_cmpx_ne_u16_e32 0, v3
	s_cbranch_execz .LBB235_312
; %bb.305:                              ;   in Loop: Header=BB235_13 Depth=1
	v_bfrev_b32_e32 v126, 1
	v_and_b32_e32 v3, 0xff, v2
	v_mov_b32_e32 v127, 0
	s_mov_b32 s25, exec_lo
	s_delay_alu instid0(VALU_DEP_2)
	v_cmpx_ne_u16_e32 0x80, v3
	s_cbranch_execz .LBB235_311
; %bb.306:                              ;   in Loop: Header=BB235_13 Depth=1
	v_mov_b32_e32 v126, 0x7f800001
	v_dual_mov_b32 v127, 0 :: v_dual_and_b32 v4, 0x7f, v2
	s_mov_b32 s26, exec_lo
	s_delay_alu instid0(VALU_DEP_1)
	v_cmpx_ne_u32_e32 0x7f, v4
	s_cbranch_execz .LBB235_310
; %bb.307:                              ;   in Loop: Header=BB235_13 Depth=1
	v_and_b32_e32 v28, 7, v2
	v_lshrrev_b32_e32 v3, 3, v4
	s_mov_b32 s27, exec_lo
	v_cmpx_gt_u32_e32 8, v4
; %bb.308:                              ;   in Loop: Header=BB235_13 Depth=1
	s_delay_alu instid0(VALU_DEP_3) | instskip(NEXT) | instid1(VALU_DEP_1)
	v_clz_i32_u32_e32 v3, v28
	v_min_u32_e32 v3, 32, v3
	s_delay_alu instid0(VALU_DEP_1) | instskip(SKIP_1) | instid1(VALU_DEP_2)
	v_subrev_nc_u32_e32 v4, 28, v3
	v_sub_nc_u32_e32 v3, 29, v3
	v_lshlrev_b64 v[4:5], v4, v[28:29]
	s_delay_alu instid0(VALU_DEP_1)
	v_and_b32_e32 v28, 7, v4
; %bb.309:                              ;   in Loop: Header=BB235_13 Depth=1
	s_or_b32 exec_lo, exec_lo, s27
	v_lshlrev_b32_e32 v4, 24, v2
	s_delay_alu instid0(VALU_DEP_2) | instskip(SKIP_1) | instid1(VALU_DEP_3)
	v_lshlrev_b32_e32 v5, 20, v28
	v_lshl_add_u32 v3, v3, 23, 0x3c000000
	v_and_b32_e32 v4, 0x80000000, v4
	s_delay_alu instid0(VALU_DEP_1) | instskip(NEXT) | instid1(VALU_DEP_1)
	v_or3_b32 v28, v5, v4, v3
	v_dual_mov_b32 v127, v29 :: v_dual_mov_b32 v126, v28
.LBB235_310:                            ;   in Loop: Header=BB235_13 Depth=1
	s_or_b32 exec_lo, exec_lo, s26
.LBB235_311:                            ;   in Loop: Header=BB235_13 Depth=1
	s_delay_alu instid0(SALU_CYCLE_1)
	s_or_b32 exec_lo, exec_lo, s25
.LBB235_312:                            ;   in Loop: Header=BB235_13 Depth=1
	s_delay_alu instid0(SALU_CYCLE_1) | instskip(SKIP_2) | instid1(VALU_DEP_1)
	s_or_b32 exec_lo, exec_lo, s4
	v_lshrrev_b16 v3, 8, v2
	s_mov_b32 s25, exec_lo
	v_cmpx_ne_u16_e32 0, v3
	s_cbranch_execz .LBB235_320
; %bb.313:                              ;   in Loop: Header=BB235_13 Depth=1
	v_dual_mov_b32 v125, s19 :: v_dual_mov_b32 v124, s18
	s_mov_b32 s26, exec_lo
	v_cmpx_ne_u16_e32 0x80, v3
	s_cbranch_execz .LBB235_319
; %bb.314:                              ;   in Loop: Header=BB235_13 Depth=1
	s_mov_b32 s4, s18
	v_and_b32_e32 v3, 0xffff, v3
	v_dual_mov_b32 v125, s5 :: v_dual_mov_b32 v124, s4
	s_mov_b32 s4, exec_lo
	s_delay_alu instid0(VALU_DEP_2) | instskip(NEXT) | instid1(VALU_DEP_1)
	v_and_b32_e32 v4, 0x7f, v3
	v_cmpx_ne_u32_e32 0x7f, v4
	s_cbranch_execz .LBB235_318
; %bb.315:                              ;   in Loop: Header=BB235_13 Depth=1
	v_and_b32_e32 v28, 7, v3
	v_lshrrev_b32_e32 v3, 3, v4
	s_mov_b32 s27, exec_lo
	v_cmpx_gt_u32_e32 8, v4
; %bb.316:                              ;   in Loop: Header=BB235_13 Depth=1
	s_delay_alu instid0(VALU_DEP_3) | instskip(NEXT) | instid1(VALU_DEP_1)
	v_clz_i32_u32_e32 v3, v28
	v_min_u32_e32 v3, 32, v3
	s_delay_alu instid0(VALU_DEP_1) | instskip(SKIP_1) | instid1(VALU_DEP_2)
	v_subrev_nc_u32_e32 v4, 28, v3
	v_sub_nc_u32_e32 v3, 29, v3
	v_lshlrev_b64 v[4:5], v4, v[28:29]
	s_delay_alu instid0(VALU_DEP_1)
	v_and_b32_e32 v28, 7, v4
; %bb.317:                              ;   in Loop: Header=BB235_13 Depth=1
	s_or_b32 exec_lo, exec_lo, s27
	v_lshlrev_b32_e32 v2, 16, v2
	s_delay_alu instid0(VALU_DEP_2) | instskip(SKIP_2) | instid1(VALU_DEP_4)
	v_lshlrev_b32_e32 v4, 20, v28
	v_lshl_add_u32 v3, v3, 23, 0x3c000000
	v_mov_b32_e32 v124, v29
	v_and_b32_e32 v2, 0x80000000, v2
	s_delay_alu instid0(VALU_DEP_1)
	v_or3_b32 v125, v4, v2, v3
.LBB235_318:                            ;   in Loop: Header=BB235_13 Depth=1
	s_or_b32 exec_lo, exec_lo, s4
.LBB235_319:                            ;   in Loop: Header=BB235_13 Depth=1
	s_delay_alu instid0(SALU_CYCLE_1)
	s_or_b32 exec_lo, exec_lo, s26
.LBB235_320:                            ;   in Loop: Header=BB235_13 Depth=1
	s_delay_alu instid0(SALU_CYCLE_1)
	s_or_b32 exec_lo, exec_lo, s25
	flat_load_u16 v0, v[0:1] offset:12
	v_mov_b32_e32 v136, 0
	v_mov_b32_e32 v137, 0
	s_mov_b32 s4, exec_lo
	s_waitcnt vmcnt(0) lgkmcnt(0)
	v_and_b32_e32 v1, 0xff, v0
	s_delay_alu instid0(VALU_DEP_2) | instskip(SKIP_1) | instid1(VALU_DEP_3)
	v_dual_mov_b32 v139, v137 :: v_dual_and_b32 v0, 0xffff, v0
	v_mov_b32_e32 v138, v136
	v_cmpx_ne_u16_e32 0, v1
	s_cbranch_execz .LBB235_328
; %bb.321:                              ;   in Loop: Header=BB235_13 Depth=1
	v_bfrev_b32_e32 v138, 1
	v_and_b32_e32 v1, 0xff, v0
	v_mov_b32_e32 v139, 0
	s_mov_b32 s25, exec_lo
	s_delay_alu instid0(VALU_DEP_2)
	v_cmpx_ne_u16_e32 0x80, v1
	s_cbranch_execz .LBB235_327
; %bb.322:                              ;   in Loop: Header=BB235_13 Depth=1
	v_mov_b32_e32 v138, 0x7f800001
	v_dual_mov_b32 v139, 0 :: v_dual_and_b32 v2, 0x7f, v0
	s_mov_b32 s26, exec_lo
	s_delay_alu instid0(VALU_DEP_1)
	v_cmpx_ne_u32_e32 0x7f, v2
	s_cbranch_execz .LBB235_326
; %bb.323:                              ;   in Loop: Header=BB235_13 Depth=1
	v_and_b32_e32 v28, 7, v0
	v_lshrrev_b32_e32 v1, 3, v2
	s_mov_b32 s27, exec_lo
	v_cmpx_gt_u32_e32 8, v2
; %bb.324:                              ;   in Loop: Header=BB235_13 Depth=1
	s_delay_alu instid0(VALU_DEP_3) | instskip(NEXT) | instid1(VALU_DEP_1)
	v_clz_i32_u32_e32 v1, v28
	v_min_u32_e32 v1, 32, v1
	s_delay_alu instid0(VALU_DEP_1) | instskip(SKIP_1) | instid1(VALU_DEP_2)
	v_subrev_nc_u32_e32 v2, 28, v1
	v_sub_nc_u32_e32 v1, 29, v1
	v_lshlrev_b64 v[2:3], v2, v[28:29]
	s_delay_alu instid0(VALU_DEP_1)
	v_and_b32_e32 v28, 7, v2
; %bb.325:                              ;   in Loop: Header=BB235_13 Depth=1
	s_or_b32 exec_lo, exec_lo, s27
	v_lshlrev_b32_e32 v2, 24, v0
	s_delay_alu instid0(VALU_DEP_2) | instskip(SKIP_1) | instid1(VALU_DEP_3)
	v_lshlrev_b32_e32 v3, 20, v28
	v_lshl_add_u32 v1, v1, 23, 0x3c000000
	v_and_b32_e32 v2, 0x80000000, v2
	s_delay_alu instid0(VALU_DEP_1) | instskip(NEXT) | instid1(VALU_DEP_1)
	v_or3_b32 v28, v3, v2, v1
	v_dual_mov_b32 v139, v29 :: v_dual_mov_b32 v138, v28
.LBB235_326:                            ;   in Loop: Header=BB235_13 Depth=1
	s_or_b32 exec_lo, exec_lo, s26
.LBB235_327:                            ;   in Loop: Header=BB235_13 Depth=1
	s_delay_alu instid0(SALU_CYCLE_1)
	s_or_b32 exec_lo, exec_lo, s25
.LBB235_328:                            ;   in Loop: Header=BB235_13 Depth=1
	s_delay_alu instid0(SALU_CYCLE_1) | instskip(SKIP_2) | instid1(VALU_DEP_1)
	s_or_b32 exec_lo, exec_lo, s4
	v_lshrrev_b16 v1, 8, v0
	s_mov_b32 s25, exec_lo
	v_cmpx_ne_u16_e32 0, v1
	s_cbranch_execz .LBB235_336
; %bb.329:                              ;   in Loop: Header=BB235_13 Depth=1
	v_dual_mov_b32 v137, s19 :: v_dual_mov_b32 v136, s18
	s_mov_b32 s26, exec_lo
	v_cmpx_ne_u16_e32 0x80, v1
	s_cbranch_execz .LBB235_335
; %bb.330:                              ;   in Loop: Header=BB235_13 Depth=1
	s_mov_b32 s4, s18
	v_and_b32_e32 v1, 0xffff, v1
	v_dual_mov_b32 v137, s5 :: v_dual_mov_b32 v136, s4
	s_mov_b32 s4, exec_lo
	s_delay_alu instid0(VALU_DEP_2) | instskip(NEXT) | instid1(VALU_DEP_1)
	v_and_b32_e32 v2, 0x7f, v1
	v_cmpx_ne_u32_e32 0x7f, v2
	s_cbranch_execz .LBB235_334
; %bb.331:                              ;   in Loop: Header=BB235_13 Depth=1
	v_and_b32_e32 v28, 7, v1
	v_lshrrev_b32_e32 v1, 3, v2
	s_mov_b32 s27, exec_lo
	v_cmpx_gt_u32_e32 8, v2
; %bb.332:                              ;   in Loop: Header=BB235_13 Depth=1
	s_delay_alu instid0(VALU_DEP_3) | instskip(NEXT) | instid1(VALU_DEP_1)
	v_clz_i32_u32_e32 v1, v28
	v_min_u32_e32 v1, 32, v1
	s_delay_alu instid0(VALU_DEP_1) | instskip(SKIP_1) | instid1(VALU_DEP_2)
	v_subrev_nc_u32_e32 v2, 28, v1
	v_sub_nc_u32_e32 v1, 29, v1
	v_lshlrev_b64 v[2:3], v2, v[28:29]
	s_delay_alu instid0(VALU_DEP_1)
	v_and_b32_e32 v28, 7, v2
; %bb.333:                              ;   in Loop: Header=BB235_13 Depth=1
	s_or_b32 exec_lo, exec_lo, s27
	v_lshlrev_b32_e32 v0, 16, v0
	s_delay_alu instid0(VALU_DEP_2) | instskip(SKIP_2) | instid1(VALU_DEP_4)
	v_lshlrev_b32_e32 v2, 20, v28
	v_lshl_add_u32 v1, v1, 23, 0x3c000000
	v_mov_b32_e32 v136, v29
	v_and_b32_e32 v0, 0x80000000, v0
	s_delay_alu instid0(VALU_DEP_1)
	v_or3_b32 v137, v2, v0, v1
.LBB235_334:                            ;   in Loop: Header=BB235_13 Depth=1
	s_or_b32 exec_lo, exec_lo, s4
.LBB235_335:                            ;   in Loop: Header=BB235_13 Depth=1
	s_delay_alu instid0(SALU_CYCLE_1)
	s_or_b32 exec_lo, exec_lo, s26
.LBB235_336:                            ;   in Loop: Header=BB235_13 Depth=1
	s_delay_alu instid0(SALU_CYCLE_1)
	s_or_b32 exec_lo, exec_lo, s25
	flat_load_u16 v0, v[150:151] offset:1280
	v_mov_b32_e32 v140, 0
	v_mov_b32_e32 v141, 0
	s_mov_b32 s4, exec_lo
	s_waitcnt vmcnt(0) lgkmcnt(0)
	v_and_b32_e32 v1, 0xff, v0
	s_delay_alu instid0(VALU_DEP_2) | instskip(SKIP_1) | instid1(VALU_DEP_3)
	v_dual_mov_b32 v143, v141 :: v_dual_and_b32 v0, 0xffff, v0
	v_mov_b32_e32 v142, v140
	v_cmpx_ne_u16_e32 0, v1
	s_cbranch_execz .LBB235_344
; %bb.337:                              ;   in Loop: Header=BB235_13 Depth=1
	v_bfrev_b32_e32 v142, 1
	v_and_b32_e32 v1, 0xff, v0
	v_mov_b32_e32 v143, 0
	s_mov_b32 s25, exec_lo
	s_delay_alu instid0(VALU_DEP_2)
	v_cmpx_ne_u16_e32 0x80, v1
	s_cbranch_execz .LBB235_343
; %bb.338:                              ;   in Loop: Header=BB235_13 Depth=1
	v_mov_b32_e32 v142, 0x7f800001
	v_dual_mov_b32 v143, 0 :: v_dual_and_b32 v2, 0x7f, v0
	s_mov_b32 s26, exec_lo
	s_delay_alu instid0(VALU_DEP_1)
	v_cmpx_ne_u32_e32 0x7f, v2
	s_cbranch_execz .LBB235_342
; %bb.339:                              ;   in Loop: Header=BB235_13 Depth=1
	v_and_b32_e32 v28, 7, v0
	v_lshrrev_b32_e32 v1, 3, v2
	s_mov_b32 s27, exec_lo
	v_cmpx_gt_u32_e32 8, v2
; %bb.340:                              ;   in Loop: Header=BB235_13 Depth=1
	s_delay_alu instid0(VALU_DEP_3) | instskip(NEXT) | instid1(VALU_DEP_1)
	v_clz_i32_u32_e32 v1, v28
	v_min_u32_e32 v1, 32, v1
	s_delay_alu instid0(VALU_DEP_1) | instskip(SKIP_1) | instid1(VALU_DEP_2)
	v_subrev_nc_u32_e32 v2, 28, v1
	v_sub_nc_u32_e32 v1, 29, v1
	v_lshlrev_b64 v[2:3], v2, v[28:29]
	s_delay_alu instid0(VALU_DEP_1)
	v_and_b32_e32 v28, 7, v2
; %bb.341:                              ;   in Loop: Header=BB235_13 Depth=1
	s_or_b32 exec_lo, exec_lo, s27
	v_lshlrev_b32_e32 v2, 24, v0
	s_delay_alu instid0(VALU_DEP_2) | instskip(SKIP_1) | instid1(VALU_DEP_3)
	v_lshlrev_b32_e32 v3, 20, v28
	v_lshl_add_u32 v1, v1, 23, 0x3c000000
	v_and_b32_e32 v2, 0x80000000, v2
	s_delay_alu instid0(VALU_DEP_1) | instskip(NEXT) | instid1(VALU_DEP_1)
	v_or3_b32 v28, v3, v2, v1
	v_dual_mov_b32 v143, v29 :: v_dual_mov_b32 v142, v28
.LBB235_342:                            ;   in Loop: Header=BB235_13 Depth=1
	s_or_b32 exec_lo, exec_lo, s26
.LBB235_343:                            ;   in Loop: Header=BB235_13 Depth=1
	s_delay_alu instid0(SALU_CYCLE_1)
	s_or_b32 exec_lo, exec_lo, s25
.LBB235_344:                            ;   in Loop: Header=BB235_13 Depth=1
	s_delay_alu instid0(SALU_CYCLE_1) | instskip(SKIP_2) | instid1(VALU_DEP_1)
	s_or_b32 exec_lo, exec_lo, s4
	v_lshrrev_b16 v1, 8, v0
	s_mov_b32 s25, exec_lo
	v_cmpx_ne_u16_e32 0, v1
	s_cbranch_execz .LBB235_352
; %bb.345:                              ;   in Loop: Header=BB235_13 Depth=1
	v_dual_mov_b32 v141, s19 :: v_dual_mov_b32 v140, s18
	s_mov_b32 s26, exec_lo
	v_cmpx_ne_u16_e32 0x80, v1
	s_cbranch_execz .LBB235_351
; %bb.346:                              ;   in Loop: Header=BB235_13 Depth=1
	s_mov_b32 s4, s18
	v_and_b32_e32 v1, 0xffff, v1
	v_dual_mov_b32 v141, s5 :: v_dual_mov_b32 v140, s4
	s_mov_b32 s4, exec_lo
	s_delay_alu instid0(VALU_DEP_2) | instskip(NEXT) | instid1(VALU_DEP_1)
	v_and_b32_e32 v2, 0x7f, v1
	v_cmpx_ne_u32_e32 0x7f, v2
	s_cbranch_execz .LBB235_350
; %bb.347:                              ;   in Loop: Header=BB235_13 Depth=1
	v_and_b32_e32 v28, 7, v1
	v_lshrrev_b32_e32 v1, 3, v2
	s_mov_b32 s27, exec_lo
	v_cmpx_gt_u32_e32 8, v2
; %bb.348:                              ;   in Loop: Header=BB235_13 Depth=1
	s_delay_alu instid0(VALU_DEP_3) | instskip(NEXT) | instid1(VALU_DEP_1)
	v_clz_i32_u32_e32 v1, v28
	v_min_u32_e32 v1, 32, v1
	s_delay_alu instid0(VALU_DEP_1) | instskip(SKIP_1) | instid1(VALU_DEP_2)
	v_subrev_nc_u32_e32 v2, 28, v1
	v_sub_nc_u32_e32 v1, 29, v1
	v_lshlrev_b64 v[2:3], v2, v[28:29]
	s_delay_alu instid0(VALU_DEP_1)
	v_and_b32_e32 v28, 7, v2
; %bb.349:                              ;   in Loop: Header=BB235_13 Depth=1
	s_or_b32 exec_lo, exec_lo, s27
	v_lshlrev_b32_e32 v0, 16, v0
	s_delay_alu instid0(VALU_DEP_2) | instskip(SKIP_2) | instid1(VALU_DEP_4)
	v_lshlrev_b32_e32 v2, 20, v28
	v_lshl_add_u32 v1, v1, 23, 0x3c000000
	v_mov_b32_e32 v140, v29
	v_and_b32_e32 v0, 0x80000000, v0
	s_delay_alu instid0(VALU_DEP_1)
	v_or3_b32 v141, v2, v0, v1
.LBB235_350:                            ;   in Loop: Header=BB235_13 Depth=1
	s_or_b32 exec_lo, exec_lo, s4
.LBB235_351:                            ;   in Loop: Header=BB235_13 Depth=1
	s_delay_alu instid0(SALU_CYCLE_1)
	s_or_b32 exec_lo, exec_lo, s26
.LBB235_352:                            ;   in Loop: Header=BB235_13 Depth=1
	s_delay_alu instid0(SALU_CYCLE_1)
	s_or_b32 exec_lo, exec_lo, s25
	flat_load_u16 v0, v[150:151] offset:1284
	v_mov_b32_e32 v152, 0
	v_mov_b32_e32 v153, 0
	s_mov_b32 s4, exec_lo
	s_waitcnt vmcnt(0) lgkmcnt(0)
	v_and_b32_e32 v1, 0xff, v0
	s_delay_alu instid0(VALU_DEP_2) | instskip(SKIP_1) | instid1(VALU_DEP_3)
	v_dual_mov_b32 v155, v153 :: v_dual_and_b32 v0, 0xffff, v0
	v_mov_b32_e32 v154, v152
	v_cmpx_ne_u16_e32 0, v1
	s_cbranch_execz .LBB235_360
; %bb.353:                              ;   in Loop: Header=BB235_13 Depth=1
	v_bfrev_b32_e32 v154, 1
	v_and_b32_e32 v1, 0xff, v0
	v_mov_b32_e32 v155, 0
	s_mov_b32 s25, exec_lo
	s_delay_alu instid0(VALU_DEP_2)
	v_cmpx_ne_u16_e32 0x80, v1
	s_cbranch_execz .LBB235_359
; %bb.354:                              ;   in Loop: Header=BB235_13 Depth=1
	v_mov_b32_e32 v154, 0x7f800001
	v_dual_mov_b32 v155, 0 :: v_dual_and_b32 v2, 0x7f, v0
	s_mov_b32 s26, exec_lo
	s_delay_alu instid0(VALU_DEP_1)
	v_cmpx_ne_u32_e32 0x7f, v2
	s_cbranch_execz .LBB235_358
; %bb.355:                              ;   in Loop: Header=BB235_13 Depth=1
	v_and_b32_e32 v28, 7, v0
	v_lshrrev_b32_e32 v1, 3, v2
	s_mov_b32 s27, exec_lo
	v_cmpx_gt_u32_e32 8, v2
; %bb.356:                              ;   in Loop: Header=BB235_13 Depth=1
	s_delay_alu instid0(VALU_DEP_3) | instskip(NEXT) | instid1(VALU_DEP_1)
	v_clz_i32_u32_e32 v1, v28
	v_min_u32_e32 v1, 32, v1
	s_delay_alu instid0(VALU_DEP_1) | instskip(SKIP_1) | instid1(VALU_DEP_2)
	v_subrev_nc_u32_e32 v2, 28, v1
	v_sub_nc_u32_e32 v1, 29, v1
	v_lshlrev_b64 v[2:3], v2, v[28:29]
	s_delay_alu instid0(VALU_DEP_1)
	v_and_b32_e32 v28, 7, v2
; %bb.357:                              ;   in Loop: Header=BB235_13 Depth=1
	s_or_b32 exec_lo, exec_lo, s27
	v_lshlrev_b32_e32 v2, 24, v0
	s_delay_alu instid0(VALU_DEP_2) | instskip(SKIP_1) | instid1(VALU_DEP_3)
	v_lshlrev_b32_e32 v3, 20, v28
	v_lshl_add_u32 v1, v1, 23, 0x3c000000
	v_and_b32_e32 v2, 0x80000000, v2
	s_delay_alu instid0(VALU_DEP_1) | instskip(NEXT) | instid1(VALU_DEP_1)
	v_or3_b32 v28, v3, v2, v1
	v_dual_mov_b32 v155, v29 :: v_dual_mov_b32 v154, v28
.LBB235_358:                            ;   in Loop: Header=BB235_13 Depth=1
	s_or_b32 exec_lo, exec_lo, s26
.LBB235_359:                            ;   in Loop: Header=BB235_13 Depth=1
	s_delay_alu instid0(SALU_CYCLE_1)
	s_or_b32 exec_lo, exec_lo, s25
.LBB235_360:                            ;   in Loop: Header=BB235_13 Depth=1
	s_delay_alu instid0(SALU_CYCLE_1) | instskip(SKIP_2) | instid1(VALU_DEP_1)
	s_or_b32 exec_lo, exec_lo, s4
	v_lshrrev_b16 v1, 8, v0
	s_mov_b32 s25, exec_lo
	v_cmpx_ne_u16_e32 0, v1
	s_cbranch_execz .LBB235_368
; %bb.361:                              ;   in Loop: Header=BB235_13 Depth=1
	v_dual_mov_b32 v153, s19 :: v_dual_mov_b32 v152, s18
	s_mov_b32 s26, exec_lo
	v_cmpx_ne_u16_e32 0x80, v1
	s_cbranch_execz .LBB235_367
; %bb.362:                              ;   in Loop: Header=BB235_13 Depth=1
	s_mov_b32 s4, s18
	v_and_b32_e32 v1, 0xffff, v1
	v_dual_mov_b32 v153, s5 :: v_dual_mov_b32 v152, s4
	s_mov_b32 s4, exec_lo
	s_delay_alu instid0(VALU_DEP_2) | instskip(NEXT) | instid1(VALU_DEP_1)
	v_and_b32_e32 v2, 0x7f, v1
	v_cmpx_ne_u32_e32 0x7f, v2
	s_cbranch_execz .LBB235_366
; %bb.363:                              ;   in Loop: Header=BB235_13 Depth=1
	v_and_b32_e32 v28, 7, v1
	v_lshrrev_b32_e32 v1, 3, v2
	s_mov_b32 s27, exec_lo
	v_cmpx_gt_u32_e32 8, v2
; %bb.364:                              ;   in Loop: Header=BB235_13 Depth=1
	s_delay_alu instid0(VALU_DEP_3) | instskip(NEXT) | instid1(VALU_DEP_1)
	v_clz_i32_u32_e32 v1, v28
	v_min_u32_e32 v1, 32, v1
	s_delay_alu instid0(VALU_DEP_1) | instskip(SKIP_1) | instid1(VALU_DEP_2)
	v_subrev_nc_u32_e32 v2, 28, v1
	v_sub_nc_u32_e32 v1, 29, v1
	v_lshlrev_b64 v[2:3], v2, v[28:29]
	s_delay_alu instid0(VALU_DEP_1)
	v_and_b32_e32 v28, 7, v2
; %bb.365:                              ;   in Loop: Header=BB235_13 Depth=1
	s_or_b32 exec_lo, exec_lo, s27
	v_lshlrev_b32_e32 v0, 16, v0
	s_delay_alu instid0(VALU_DEP_2) | instskip(SKIP_2) | instid1(VALU_DEP_4)
	v_lshlrev_b32_e32 v2, 20, v28
	v_lshl_add_u32 v1, v1, 23, 0x3c000000
	v_mov_b32_e32 v152, v29
	v_and_b32_e32 v0, 0x80000000, v0
	s_delay_alu instid0(VALU_DEP_1)
	v_or3_b32 v153, v2, v0, v1
.LBB235_366:                            ;   in Loop: Header=BB235_13 Depth=1
	s_or_b32 exec_lo, exec_lo, s4
.LBB235_367:                            ;   in Loop: Header=BB235_13 Depth=1
	s_delay_alu instid0(SALU_CYCLE_1)
	s_or_b32 exec_lo, exec_lo, s26
.LBB235_368:                            ;   in Loop: Header=BB235_13 Depth=1
	s_delay_alu instid0(SALU_CYCLE_1) | instskip(SKIP_1) | instid1(VALU_DEP_1)
	s_or_b32 exec_lo, exec_lo, s25
	v_add_co_u32 v0, s3, 0x500, v150
	v_add_co_ci_u32_e64 v1, s3, 0, v151, s3
	s_mov_b32 s4, exec_lo
	flat_load_u16 v2, v[0:1] offset:8
	v_mov_b32_e32 v156, 0
	v_mov_b32_e32 v157, 0
	s_waitcnt vmcnt(0) lgkmcnt(0)
	v_and_b32_e32 v3, 0xff, v2
	s_delay_alu instid0(VALU_DEP_2) | instskip(SKIP_1) | instid1(VALU_DEP_3)
	v_dual_mov_b32 v159, v157 :: v_dual_and_b32 v2, 0xffff, v2
	v_mov_b32_e32 v158, v156
	v_cmpx_ne_u16_e32 0, v3
	s_cbranch_execz .LBB235_376
; %bb.369:                              ;   in Loop: Header=BB235_13 Depth=1
	v_bfrev_b32_e32 v158, 1
	v_and_b32_e32 v3, 0xff, v2
	v_mov_b32_e32 v159, 0
	s_mov_b32 s25, exec_lo
	s_delay_alu instid0(VALU_DEP_2)
	v_cmpx_ne_u16_e32 0x80, v3
	s_cbranch_execz .LBB235_375
; %bb.370:                              ;   in Loop: Header=BB235_13 Depth=1
	v_mov_b32_e32 v158, 0x7f800001
	v_dual_mov_b32 v159, 0 :: v_dual_and_b32 v4, 0x7f, v2
	s_mov_b32 s26, exec_lo
	s_delay_alu instid0(VALU_DEP_1)
	v_cmpx_ne_u32_e32 0x7f, v4
	s_cbranch_execz .LBB235_374
; %bb.371:                              ;   in Loop: Header=BB235_13 Depth=1
	v_and_b32_e32 v28, 7, v2
	v_lshrrev_b32_e32 v3, 3, v4
	s_mov_b32 s27, exec_lo
	v_cmpx_gt_u32_e32 8, v4
; %bb.372:                              ;   in Loop: Header=BB235_13 Depth=1
	s_delay_alu instid0(VALU_DEP_3) | instskip(NEXT) | instid1(VALU_DEP_1)
	v_clz_i32_u32_e32 v3, v28
	v_min_u32_e32 v3, 32, v3
	s_delay_alu instid0(VALU_DEP_1) | instskip(SKIP_1) | instid1(VALU_DEP_2)
	v_subrev_nc_u32_e32 v4, 28, v3
	v_sub_nc_u32_e32 v3, 29, v3
	v_lshlrev_b64 v[4:5], v4, v[28:29]
	s_delay_alu instid0(VALU_DEP_1)
	v_and_b32_e32 v28, 7, v4
; %bb.373:                              ;   in Loop: Header=BB235_13 Depth=1
	s_or_b32 exec_lo, exec_lo, s27
	v_lshlrev_b32_e32 v4, 24, v2
	s_delay_alu instid0(VALU_DEP_2) | instskip(SKIP_1) | instid1(VALU_DEP_3)
	v_lshlrev_b32_e32 v5, 20, v28
	v_lshl_add_u32 v3, v3, 23, 0x3c000000
	v_and_b32_e32 v4, 0x80000000, v4
	s_delay_alu instid0(VALU_DEP_1) | instskip(NEXT) | instid1(VALU_DEP_1)
	v_or3_b32 v28, v5, v4, v3
	v_dual_mov_b32 v159, v29 :: v_dual_mov_b32 v158, v28
.LBB235_374:                            ;   in Loop: Header=BB235_13 Depth=1
	s_or_b32 exec_lo, exec_lo, s26
.LBB235_375:                            ;   in Loop: Header=BB235_13 Depth=1
	s_delay_alu instid0(SALU_CYCLE_1)
	s_or_b32 exec_lo, exec_lo, s25
.LBB235_376:                            ;   in Loop: Header=BB235_13 Depth=1
	s_delay_alu instid0(SALU_CYCLE_1) | instskip(SKIP_2) | instid1(VALU_DEP_1)
	s_or_b32 exec_lo, exec_lo, s4
	v_lshrrev_b16 v3, 8, v2
	s_mov_b32 s25, exec_lo
	v_cmpx_ne_u16_e32 0, v3
	s_cbranch_execz .LBB235_384
; %bb.377:                              ;   in Loop: Header=BB235_13 Depth=1
	v_dual_mov_b32 v157, s19 :: v_dual_mov_b32 v156, s18
	s_mov_b32 s26, exec_lo
	v_cmpx_ne_u16_e32 0x80, v3
	s_cbranch_execz .LBB235_383
; %bb.378:                              ;   in Loop: Header=BB235_13 Depth=1
	s_mov_b32 s4, s18
	v_and_b32_e32 v3, 0xffff, v3
	v_dual_mov_b32 v157, s5 :: v_dual_mov_b32 v156, s4
	s_mov_b32 s4, exec_lo
	s_delay_alu instid0(VALU_DEP_2) | instskip(NEXT) | instid1(VALU_DEP_1)
	v_and_b32_e32 v4, 0x7f, v3
	v_cmpx_ne_u32_e32 0x7f, v4
	s_cbranch_execz .LBB235_382
; %bb.379:                              ;   in Loop: Header=BB235_13 Depth=1
	v_and_b32_e32 v28, 7, v3
	v_lshrrev_b32_e32 v3, 3, v4
	s_mov_b32 s27, exec_lo
	v_cmpx_gt_u32_e32 8, v4
; %bb.380:                              ;   in Loop: Header=BB235_13 Depth=1
	s_delay_alu instid0(VALU_DEP_3) | instskip(NEXT) | instid1(VALU_DEP_1)
	v_clz_i32_u32_e32 v3, v28
	v_min_u32_e32 v3, 32, v3
	s_delay_alu instid0(VALU_DEP_1) | instskip(SKIP_1) | instid1(VALU_DEP_2)
	v_subrev_nc_u32_e32 v4, 28, v3
	v_sub_nc_u32_e32 v3, 29, v3
	v_lshlrev_b64 v[4:5], v4, v[28:29]
	s_delay_alu instid0(VALU_DEP_1)
	v_and_b32_e32 v28, 7, v4
; %bb.381:                              ;   in Loop: Header=BB235_13 Depth=1
	s_or_b32 exec_lo, exec_lo, s27
	v_lshlrev_b32_e32 v2, 16, v2
	s_delay_alu instid0(VALU_DEP_2) | instskip(SKIP_2) | instid1(VALU_DEP_4)
	v_lshlrev_b32_e32 v4, 20, v28
	v_lshl_add_u32 v3, v3, 23, 0x3c000000
	v_mov_b32_e32 v156, v29
	v_and_b32_e32 v2, 0x80000000, v2
	s_delay_alu instid0(VALU_DEP_1)
	v_or3_b32 v157, v4, v2, v3
.LBB235_382:                            ;   in Loop: Header=BB235_13 Depth=1
	s_or_b32 exec_lo, exec_lo, s4
.LBB235_383:                            ;   in Loop: Header=BB235_13 Depth=1
	s_delay_alu instid0(SALU_CYCLE_1)
	s_or_b32 exec_lo, exec_lo, s26
.LBB235_384:                            ;   in Loop: Header=BB235_13 Depth=1
	s_delay_alu instid0(SALU_CYCLE_1)
	s_or_b32 exec_lo, exec_lo, s25
	flat_load_u16 v0, v[0:1] offset:12
	v_mov_b32_e32 v168, 0
	v_mov_b32_e32 v169, 0
	s_mov_b32 s4, exec_lo
	s_waitcnt vmcnt(0) lgkmcnt(0)
	v_and_b32_e32 v1, 0xff, v0
	s_delay_alu instid0(VALU_DEP_2) | instskip(SKIP_1) | instid1(VALU_DEP_3)
	v_dual_mov_b32 v171, v169 :: v_dual_and_b32 v0, 0xffff, v0
	v_mov_b32_e32 v170, v168
	v_cmpx_ne_u16_e32 0, v1
	s_cbranch_execz .LBB235_392
; %bb.385:                              ;   in Loop: Header=BB235_13 Depth=1
	v_bfrev_b32_e32 v170, 1
	v_and_b32_e32 v1, 0xff, v0
	v_mov_b32_e32 v171, 0
	s_mov_b32 s25, exec_lo
	s_delay_alu instid0(VALU_DEP_2)
	v_cmpx_ne_u16_e32 0x80, v1
	s_cbranch_execz .LBB235_391
; %bb.386:                              ;   in Loop: Header=BB235_13 Depth=1
	v_mov_b32_e32 v170, 0x7f800001
	v_dual_mov_b32 v171, 0 :: v_dual_and_b32 v2, 0x7f, v0
	s_mov_b32 s26, exec_lo
	s_delay_alu instid0(VALU_DEP_1)
	v_cmpx_ne_u32_e32 0x7f, v2
	s_cbranch_execz .LBB235_390
; %bb.387:                              ;   in Loop: Header=BB235_13 Depth=1
	v_and_b32_e32 v28, 7, v0
	v_lshrrev_b32_e32 v1, 3, v2
	s_mov_b32 s27, exec_lo
	v_cmpx_gt_u32_e32 8, v2
; %bb.388:                              ;   in Loop: Header=BB235_13 Depth=1
	s_delay_alu instid0(VALU_DEP_3) | instskip(NEXT) | instid1(VALU_DEP_1)
	v_clz_i32_u32_e32 v1, v28
	v_min_u32_e32 v1, 32, v1
	s_delay_alu instid0(VALU_DEP_1) | instskip(SKIP_1) | instid1(VALU_DEP_2)
	v_subrev_nc_u32_e32 v2, 28, v1
	v_sub_nc_u32_e32 v1, 29, v1
	v_lshlrev_b64 v[2:3], v2, v[28:29]
	s_delay_alu instid0(VALU_DEP_1)
	v_and_b32_e32 v28, 7, v2
; %bb.389:                              ;   in Loop: Header=BB235_13 Depth=1
	s_or_b32 exec_lo, exec_lo, s27
	v_lshlrev_b32_e32 v2, 24, v0
	s_delay_alu instid0(VALU_DEP_2) | instskip(SKIP_1) | instid1(VALU_DEP_3)
	v_lshlrev_b32_e32 v3, 20, v28
	v_lshl_add_u32 v1, v1, 23, 0x3c000000
	v_and_b32_e32 v2, 0x80000000, v2
	s_delay_alu instid0(VALU_DEP_1) | instskip(NEXT) | instid1(VALU_DEP_1)
	v_or3_b32 v28, v3, v2, v1
	v_dual_mov_b32 v171, v29 :: v_dual_mov_b32 v170, v28
.LBB235_390:                            ;   in Loop: Header=BB235_13 Depth=1
	s_or_b32 exec_lo, exec_lo, s26
.LBB235_391:                            ;   in Loop: Header=BB235_13 Depth=1
	s_delay_alu instid0(SALU_CYCLE_1)
	s_or_b32 exec_lo, exec_lo, s25
.LBB235_392:                            ;   in Loop: Header=BB235_13 Depth=1
	s_delay_alu instid0(SALU_CYCLE_1) | instskip(SKIP_2) | instid1(VALU_DEP_1)
	s_or_b32 exec_lo, exec_lo, s4
	v_lshrrev_b16 v1, 8, v0
	s_mov_b32 s25, exec_lo
	v_cmpx_ne_u16_e32 0, v1
	s_cbranch_execz .LBB235_400
; %bb.393:                              ;   in Loop: Header=BB235_13 Depth=1
	v_dual_mov_b32 v169, s19 :: v_dual_mov_b32 v168, s18
	s_mov_b32 s26, exec_lo
	v_cmpx_ne_u16_e32 0x80, v1
	s_cbranch_execz .LBB235_399
; %bb.394:                              ;   in Loop: Header=BB235_13 Depth=1
	s_mov_b32 s4, s18
	v_and_b32_e32 v1, 0xffff, v1
	v_dual_mov_b32 v169, s5 :: v_dual_mov_b32 v168, s4
	s_mov_b32 s4, exec_lo
	s_delay_alu instid0(VALU_DEP_2) | instskip(NEXT) | instid1(VALU_DEP_1)
	v_and_b32_e32 v2, 0x7f, v1
	v_cmpx_ne_u32_e32 0x7f, v2
	s_cbranch_execz .LBB235_398
; %bb.395:                              ;   in Loop: Header=BB235_13 Depth=1
	v_and_b32_e32 v28, 7, v1
	v_lshrrev_b32_e32 v1, 3, v2
	s_mov_b32 s27, exec_lo
	v_cmpx_gt_u32_e32 8, v2
; %bb.396:                              ;   in Loop: Header=BB235_13 Depth=1
	s_delay_alu instid0(VALU_DEP_3) | instskip(NEXT) | instid1(VALU_DEP_1)
	v_clz_i32_u32_e32 v1, v28
	v_min_u32_e32 v1, 32, v1
	s_delay_alu instid0(VALU_DEP_1) | instskip(SKIP_1) | instid1(VALU_DEP_2)
	v_subrev_nc_u32_e32 v2, 28, v1
	v_sub_nc_u32_e32 v1, 29, v1
	v_lshlrev_b64 v[2:3], v2, v[28:29]
	s_delay_alu instid0(VALU_DEP_1)
	v_and_b32_e32 v28, 7, v2
; %bb.397:                              ;   in Loop: Header=BB235_13 Depth=1
	s_or_b32 exec_lo, exec_lo, s27
	v_lshlrev_b32_e32 v0, 16, v0
	s_delay_alu instid0(VALU_DEP_2) | instskip(SKIP_2) | instid1(VALU_DEP_4)
	v_lshlrev_b32_e32 v2, 20, v28
	v_lshl_add_u32 v1, v1, 23, 0x3c000000
	v_mov_b32_e32 v168, v29
	v_and_b32_e32 v0, 0x80000000, v0
	s_delay_alu instid0(VALU_DEP_1)
	v_or3_b32 v169, v2, v0, v1
.LBB235_398:                            ;   in Loop: Header=BB235_13 Depth=1
	s_or_b32 exec_lo, exec_lo, s4
.LBB235_399:                            ;   in Loop: Header=BB235_13 Depth=1
	s_delay_alu instid0(SALU_CYCLE_1)
	s_or_b32 exec_lo, exec_lo, s26
.LBB235_400:                            ;   in Loop: Header=BB235_13 Depth=1
	s_delay_alu instid0(SALU_CYCLE_1)
	s_or_b32 exec_lo, exec_lo, s25
	flat_load_u16 v0, v[150:151] offset:1536
	v_mov_b32_e32 v172, 0
	v_mov_b32_e32 v173, 0
	s_mov_b32 s4, exec_lo
	s_waitcnt vmcnt(0) lgkmcnt(0)
	v_and_b32_e32 v1, 0xff, v0
	s_delay_alu instid0(VALU_DEP_2) | instskip(SKIP_1) | instid1(VALU_DEP_3)
	v_dual_mov_b32 v175, v173 :: v_dual_and_b32 v0, 0xffff, v0
	v_mov_b32_e32 v174, v172
	v_cmpx_ne_u16_e32 0, v1
	s_cbranch_execz .LBB235_408
; %bb.401:                              ;   in Loop: Header=BB235_13 Depth=1
	v_bfrev_b32_e32 v174, 1
	v_and_b32_e32 v1, 0xff, v0
	v_mov_b32_e32 v175, 0
	s_mov_b32 s25, exec_lo
	s_delay_alu instid0(VALU_DEP_2)
	v_cmpx_ne_u16_e32 0x80, v1
	s_cbranch_execz .LBB235_407
; %bb.402:                              ;   in Loop: Header=BB235_13 Depth=1
	v_mov_b32_e32 v174, 0x7f800001
	v_dual_mov_b32 v175, 0 :: v_dual_and_b32 v2, 0x7f, v0
	s_mov_b32 s26, exec_lo
	s_delay_alu instid0(VALU_DEP_1)
	v_cmpx_ne_u32_e32 0x7f, v2
	s_cbranch_execz .LBB235_406
; %bb.403:                              ;   in Loop: Header=BB235_13 Depth=1
	v_and_b32_e32 v28, 7, v0
	v_lshrrev_b32_e32 v1, 3, v2
	s_mov_b32 s27, exec_lo
	v_cmpx_gt_u32_e32 8, v2
; %bb.404:                              ;   in Loop: Header=BB235_13 Depth=1
	s_delay_alu instid0(VALU_DEP_3) | instskip(NEXT) | instid1(VALU_DEP_1)
	v_clz_i32_u32_e32 v1, v28
	v_min_u32_e32 v1, 32, v1
	s_delay_alu instid0(VALU_DEP_1) | instskip(SKIP_1) | instid1(VALU_DEP_2)
	v_subrev_nc_u32_e32 v2, 28, v1
	v_sub_nc_u32_e32 v1, 29, v1
	v_lshlrev_b64 v[2:3], v2, v[28:29]
	s_delay_alu instid0(VALU_DEP_1)
	v_and_b32_e32 v28, 7, v2
; %bb.405:                              ;   in Loop: Header=BB235_13 Depth=1
	s_or_b32 exec_lo, exec_lo, s27
	v_lshlrev_b32_e32 v2, 24, v0
	s_delay_alu instid0(VALU_DEP_2) | instskip(SKIP_1) | instid1(VALU_DEP_3)
	v_lshlrev_b32_e32 v3, 20, v28
	v_lshl_add_u32 v1, v1, 23, 0x3c000000
	v_and_b32_e32 v2, 0x80000000, v2
	s_delay_alu instid0(VALU_DEP_1) | instskip(NEXT) | instid1(VALU_DEP_1)
	v_or3_b32 v28, v3, v2, v1
	v_dual_mov_b32 v175, v29 :: v_dual_mov_b32 v174, v28
.LBB235_406:                            ;   in Loop: Header=BB235_13 Depth=1
	s_or_b32 exec_lo, exec_lo, s26
.LBB235_407:                            ;   in Loop: Header=BB235_13 Depth=1
	s_delay_alu instid0(SALU_CYCLE_1)
	s_or_b32 exec_lo, exec_lo, s25
.LBB235_408:                            ;   in Loop: Header=BB235_13 Depth=1
	s_delay_alu instid0(SALU_CYCLE_1) | instskip(SKIP_2) | instid1(VALU_DEP_1)
	s_or_b32 exec_lo, exec_lo, s4
	v_lshrrev_b16 v1, 8, v0
	s_mov_b32 s25, exec_lo
	v_cmpx_ne_u16_e32 0, v1
	s_cbranch_execz .LBB235_416
; %bb.409:                              ;   in Loop: Header=BB235_13 Depth=1
	v_dual_mov_b32 v173, s19 :: v_dual_mov_b32 v172, s18
	s_mov_b32 s26, exec_lo
	v_cmpx_ne_u16_e32 0x80, v1
	s_cbranch_execz .LBB235_415
; %bb.410:                              ;   in Loop: Header=BB235_13 Depth=1
	s_mov_b32 s4, s18
	v_and_b32_e32 v1, 0xffff, v1
	v_dual_mov_b32 v173, s5 :: v_dual_mov_b32 v172, s4
	s_mov_b32 s4, exec_lo
	s_delay_alu instid0(VALU_DEP_2) | instskip(NEXT) | instid1(VALU_DEP_1)
	v_and_b32_e32 v2, 0x7f, v1
	v_cmpx_ne_u32_e32 0x7f, v2
	s_cbranch_execz .LBB235_414
; %bb.411:                              ;   in Loop: Header=BB235_13 Depth=1
	v_and_b32_e32 v28, 7, v1
	v_lshrrev_b32_e32 v1, 3, v2
	s_mov_b32 s27, exec_lo
	v_cmpx_gt_u32_e32 8, v2
; %bb.412:                              ;   in Loop: Header=BB235_13 Depth=1
	s_delay_alu instid0(VALU_DEP_3) | instskip(NEXT) | instid1(VALU_DEP_1)
	v_clz_i32_u32_e32 v1, v28
	v_min_u32_e32 v1, 32, v1
	s_delay_alu instid0(VALU_DEP_1) | instskip(SKIP_1) | instid1(VALU_DEP_2)
	v_subrev_nc_u32_e32 v2, 28, v1
	v_sub_nc_u32_e32 v1, 29, v1
	v_lshlrev_b64 v[2:3], v2, v[28:29]
	s_delay_alu instid0(VALU_DEP_1)
	v_and_b32_e32 v28, 7, v2
; %bb.413:                              ;   in Loop: Header=BB235_13 Depth=1
	s_or_b32 exec_lo, exec_lo, s27
	v_lshlrev_b32_e32 v0, 16, v0
	s_delay_alu instid0(VALU_DEP_2) | instskip(SKIP_2) | instid1(VALU_DEP_4)
	v_lshlrev_b32_e32 v2, 20, v28
	v_lshl_add_u32 v1, v1, 23, 0x3c000000
	v_mov_b32_e32 v172, v29
	v_and_b32_e32 v0, 0x80000000, v0
	s_delay_alu instid0(VALU_DEP_1)
	v_or3_b32 v173, v2, v0, v1
.LBB235_414:                            ;   in Loop: Header=BB235_13 Depth=1
	s_or_b32 exec_lo, exec_lo, s4
.LBB235_415:                            ;   in Loop: Header=BB235_13 Depth=1
	s_delay_alu instid0(SALU_CYCLE_1)
	s_or_b32 exec_lo, exec_lo, s26
.LBB235_416:                            ;   in Loop: Header=BB235_13 Depth=1
	s_delay_alu instid0(SALU_CYCLE_1)
	s_or_b32 exec_lo, exec_lo, s25
	flat_load_u16 v0, v[150:151] offset:1540
	v_mov_b32_e32 v184, 0
	v_mov_b32_e32 v185, 0
	s_mov_b32 s4, exec_lo
	s_waitcnt vmcnt(0) lgkmcnt(0)
	v_and_b32_e32 v1, 0xff, v0
	s_delay_alu instid0(VALU_DEP_2) | instskip(SKIP_1) | instid1(VALU_DEP_3)
	v_dual_mov_b32 v187, v185 :: v_dual_and_b32 v0, 0xffff, v0
	v_mov_b32_e32 v186, v184
	v_cmpx_ne_u16_e32 0, v1
	s_cbranch_execz .LBB235_424
; %bb.417:                              ;   in Loop: Header=BB235_13 Depth=1
	v_bfrev_b32_e32 v186, 1
	v_and_b32_e32 v1, 0xff, v0
	v_mov_b32_e32 v187, 0
	s_mov_b32 s25, exec_lo
	s_delay_alu instid0(VALU_DEP_2)
	v_cmpx_ne_u16_e32 0x80, v1
	s_cbranch_execz .LBB235_423
; %bb.418:                              ;   in Loop: Header=BB235_13 Depth=1
	v_mov_b32_e32 v186, 0x7f800001
	v_dual_mov_b32 v187, 0 :: v_dual_and_b32 v2, 0x7f, v0
	s_mov_b32 s26, exec_lo
	s_delay_alu instid0(VALU_DEP_1)
	v_cmpx_ne_u32_e32 0x7f, v2
	s_cbranch_execz .LBB235_422
; %bb.419:                              ;   in Loop: Header=BB235_13 Depth=1
	v_and_b32_e32 v28, 7, v0
	v_lshrrev_b32_e32 v1, 3, v2
	s_mov_b32 s27, exec_lo
	v_cmpx_gt_u32_e32 8, v2
; %bb.420:                              ;   in Loop: Header=BB235_13 Depth=1
	s_delay_alu instid0(VALU_DEP_3) | instskip(NEXT) | instid1(VALU_DEP_1)
	v_clz_i32_u32_e32 v1, v28
	v_min_u32_e32 v1, 32, v1
	s_delay_alu instid0(VALU_DEP_1) | instskip(SKIP_1) | instid1(VALU_DEP_2)
	v_subrev_nc_u32_e32 v2, 28, v1
	v_sub_nc_u32_e32 v1, 29, v1
	v_lshlrev_b64 v[2:3], v2, v[28:29]
	s_delay_alu instid0(VALU_DEP_1)
	v_and_b32_e32 v28, 7, v2
; %bb.421:                              ;   in Loop: Header=BB235_13 Depth=1
	s_or_b32 exec_lo, exec_lo, s27
	v_lshlrev_b32_e32 v2, 24, v0
	s_delay_alu instid0(VALU_DEP_2) | instskip(SKIP_1) | instid1(VALU_DEP_3)
	v_lshlrev_b32_e32 v3, 20, v28
	v_lshl_add_u32 v1, v1, 23, 0x3c000000
	v_and_b32_e32 v2, 0x80000000, v2
	s_delay_alu instid0(VALU_DEP_1) | instskip(NEXT) | instid1(VALU_DEP_1)
	v_or3_b32 v28, v3, v2, v1
	v_dual_mov_b32 v187, v29 :: v_dual_mov_b32 v186, v28
.LBB235_422:                            ;   in Loop: Header=BB235_13 Depth=1
	s_or_b32 exec_lo, exec_lo, s26
.LBB235_423:                            ;   in Loop: Header=BB235_13 Depth=1
	s_delay_alu instid0(SALU_CYCLE_1)
	s_or_b32 exec_lo, exec_lo, s25
.LBB235_424:                            ;   in Loop: Header=BB235_13 Depth=1
	s_delay_alu instid0(SALU_CYCLE_1) | instskip(SKIP_2) | instid1(VALU_DEP_1)
	s_or_b32 exec_lo, exec_lo, s4
	v_lshrrev_b16 v1, 8, v0
	s_mov_b32 s25, exec_lo
	v_cmpx_ne_u16_e32 0, v1
	s_cbranch_execz .LBB235_432
; %bb.425:                              ;   in Loop: Header=BB235_13 Depth=1
	v_dual_mov_b32 v185, s19 :: v_dual_mov_b32 v184, s18
	s_mov_b32 s26, exec_lo
	v_cmpx_ne_u16_e32 0x80, v1
	s_cbranch_execz .LBB235_431
; %bb.426:                              ;   in Loop: Header=BB235_13 Depth=1
	s_mov_b32 s4, s18
	v_and_b32_e32 v1, 0xffff, v1
	v_dual_mov_b32 v185, s5 :: v_dual_mov_b32 v184, s4
	s_mov_b32 s4, exec_lo
	s_delay_alu instid0(VALU_DEP_2) | instskip(NEXT) | instid1(VALU_DEP_1)
	v_and_b32_e32 v2, 0x7f, v1
	v_cmpx_ne_u32_e32 0x7f, v2
	s_cbranch_execz .LBB235_430
; %bb.427:                              ;   in Loop: Header=BB235_13 Depth=1
	v_and_b32_e32 v28, 7, v1
	v_lshrrev_b32_e32 v1, 3, v2
	s_mov_b32 s27, exec_lo
	v_cmpx_gt_u32_e32 8, v2
; %bb.428:                              ;   in Loop: Header=BB235_13 Depth=1
	s_delay_alu instid0(VALU_DEP_3) | instskip(NEXT) | instid1(VALU_DEP_1)
	v_clz_i32_u32_e32 v1, v28
	v_min_u32_e32 v1, 32, v1
	s_delay_alu instid0(VALU_DEP_1) | instskip(SKIP_1) | instid1(VALU_DEP_2)
	v_subrev_nc_u32_e32 v2, 28, v1
	v_sub_nc_u32_e32 v1, 29, v1
	v_lshlrev_b64 v[2:3], v2, v[28:29]
	s_delay_alu instid0(VALU_DEP_1)
	v_and_b32_e32 v28, 7, v2
; %bb.429:                              ;   in Loop: Header=BB235_13 Depth=1
	s_or_b32 exec_lo, exec_lo, s27
	v_lshlrev_b32_e32 v0, 16, v0
	s_delay_alu instid0(VALU_DEP_2) | instskip(SKIP_2) | instid1(VALU_DEP_4)
	v_lshlrev_b32_e32 v2, 20, v28
	v_lshl_add_u32 v1, v1, 23, 0x3c000000
	v_mov_b32_e32 v184, v29
	v_and_b32_e32 v0, 0x80000000, v0
	s_delay_alu instid0(VALU_DEP_1)
	v_or3_b32 v185, v2, v0, v1
.LBB235_430:                            ;   in Loop: Header=BB235_13 Depth=1
	s_or_b32 exec_lo, exec_lo, s4
.LBB235_431:                            ;   in Loop: Header=BB235_13 Depth=1
	s_delay_alu instid0(SALU_CYCLE_1)
	s_or_b32 exec_lo, exec_lo, s26
.LBB235_432:                            ;   in Loop: Header=BB235_13 Depth=1
	s_delay_alu instid0(SALU_CYCLE_1) | instskip(SKIP_1) | instid1(VALU_DEP_1)
	s_or_b32 exec_lo, exec_lo, s25
	v_add_co_u32 v0, s3, 0x600, v150
	v_add_co_ci_u32_e64 v1, s3, 0, v151, s3
	s_mov_b32 s4, exec_lo
	flat_load_u16 v2, v[0:1] offset:8
	v_mov_b32_e32 v188, 0
	v_mov_b32_e32 v189, 0
	s_waitcnt vmcnt(0) lgkmcnt(0)
	v_and_b32_e32 v3, 0xff, v2
	s_delay_alu instid0(VALU_DEP_2) | instskip(SKIP_1) | instid1(VALU_DEP_3)
	v_dual_mov_b32 v191, v189 :: v_dual_and_b32 v2, 0xffff, v2
	v_mov_b32_e32 v190, v188
	v_cmpx_ne_u16_e32 0, v3
	s_cbranch_execz .LBB235_440
; %bb.433:                              ;   in Loop: Header=BB235_13 Depth=1
	v_bfrev_b32_e32 v190, 1
	v_and_b32_e32 v3, 0xff, v2
	v_mov_b32_e32 v191, 0
	s_mov_b32 s25, exec_lo
	s_delay_alu instid0(VALU_DEP_2)
	v_cmpx_ne_u16_e32 0x80, v3
	s_cbranch_execz .LBB235_439
; %bb.434:                              ;   in Loop: Header=BB235_13 Depth=1
	v_mov_b32_e32 v190, 0x7f800001
	v_dual_mov_b32 v191, 0 :: v_dual_and_b32 v4, 0x7f, v2
	s_mov_b32 s26, exec_lo
	s_delay_alu instid0(VALU_DEP_1)
	v_cmpx_ne_u32_e32 0x7f, v4
	s_cbranch_execz .LBB235_438
; %bb.435:                              ;   in Loop: Header=BB235_13 Depth=1
	v_and_b32_e32 v28, 7, v2
	v_lshrrev_b32_e32 v3, 3, v4
	s_mov_b32 s27, exec_lo
	v_cmpx_gt_u32_e32 8, v4
; %bb.436:                              ;   in Loop: Header=BB235_13 Depth=1
	s_delay_alu instid0(VALU_DEP_3) | instskip(NEXT) | instid1(VALU_DEP_1)
	v_clz_i32_u32_e32 v3, v28
	v_min_u32_e32 v3, 32, v3
	s_delay_alu instid0(VALU_DEP_1) | instskip(SKIP_1) | instid1(VALU_DEP_2)
	v_subrev_nc_u32_e32 v4, 28, v3
	v_sub_nc_u32_e32 v3, 29, v3
	v_lshlrev_b64 v[4:5], v4, v[28:29]
	s_delay_alu instid0(VALU_DEP_1)
	v_and_b32_e32 v28, 7, v4
; %bb.437:                              ;   in Loop: Header=BB235_13 Depth=1
	s_or_b32 exec_lo, exec_lo, s27
	v_lshlrev_b32_e32 v4, 24, v2
	s_delay_alu instid0(VALU_DEP_2) | instskip(SKIP_1) | instid1(VALU_DEP_3)
	v_lshlrev_b32_e32 v5, 20, v28
	v_lshl_add_u32 v3, v3, 23, 0x3c000000
	v_and_b32_e32 v4, 0x80000000, v4
	s_delay_alu instid0(VALU_DEP_1) | instskip(NEXT) | instid1(VALU_DEP_1)
	v_or3_b32 v28, v5, v4, v3
	v_dual_mov_b32 v191, v29 :: v_dual_mov_b32 v190, v28
.LBB235_438:                            ;   in Loop: Header=BB235_13 Depth=1
	s_or_b32 exec_lo, exec_lo, s26
.LBB235_439:                            ;   in Loop: Header=BB235_13 Depth=1
	s_delay_alu instid0(SALU_CYCLE_1)
	s_or_b32 exec_lo, exec_lo, s25
.LBB235_440:                            ;   in Loop: Header=BB235_13 Depth=1
	s_delay_alu instid0(SALU_CYCLE_1) | instskip(SKIP_2) | instid1(VALU_DEP_1)
	s_or_b32 exec_lo, exec_lo, s4
	v_lshrrev_b16 v3, 8, v2
	s_mov_b32 s25, exec_lo
	v_cmpx_ne_u16_e32 0, v3
	s_cbranch_execz .LBB235_448
; %bb.441:                              ;   in Loop: Header=BB235_13 Depth=1
	v_dual_mov_b32 v189, s19 :: v_dual_mov_b32 v188, s18
	s_mov_b32 s26, exec_lo
	v_cmpx_ne_u16_e32 0x80, v3
	s_cbranch_execz .LBB235_447
; %bb.442:                              ;   in Loop: Header=BB235_13 Depth=1
	s_mov_b32 s4, s18
	v_and_b32_e32 v3, 0xffff, v3
	v_dual_mov_b32 v189, s5 :: v_dual_mov_b32 v188, s4
	s_mov_b32 s4, exec_lo
	s_delay_alu instid0(VALU_DEP_2) | instskip(NEXT) | instid1(VALU_DEP_1)
	v_and_b32_e32 v4, 0x7f, v3
	v_cmpx_ne_u32_e32 0x7f, v4
	s_cbranch_execz .LBB235_446
; %bb.443:                              ;   in Loop: Header=BB235_13 Depth=1
	v_and_b32_e32 v28, 7, v3
	v_lshrrev_b32_e32 v3, 3, v4
	s_mov_b32 s27, exec_lo
	v_cmpx_gt_u32_e32 8, v4
; %bb.444:                              ;   in Loop: Header=BB235_13 Depth=1
	s_delay_alu instid0(VALU_DEP_3) | instskip(NEXT) | instid1(VALU_DEP_1)
	v_clz_i32_u32_e32 v3, v28
	v_min_u32_e32 v3, 32, v3
	s_delay_alu instid0(VALU_DEP_1) | instskip(SKIP_1) | instid1(VALU_DEP_2)
	v_subrev_nc_u32_e32 v4, 28, v3
	v_sub_nc_u32_e32 v3, 29, v3
	v_lshlrev_b64 v[4:5], v4, v[28:29]
	s_delay_alu instid0(VALU_DEP_1)
	v_and_b32_e32 v28, 7, v4
; %bb.445:                              ;   in Loop: Header=BB235_13 Depth=1
	s_or_b32 exec_lo, exec_lo, s27
	v_lshlrev_b32_e32 v2, 16, v2
	s_delay_alu instid0(VALU_DEP_2) | instskip(SKIP_2) | instid1(VALU_DEP_4)
	v_lshlrev_b32_e32 v4, 20, v28
	v_lshl_add_u32 v3, v3, 23, 0x3c000000
	v_mov_b32_e32 v188, v29
	v_and_b32_e32 v2, 0x80000000, v2
	s_delay_alu instid0(VALU_DEP_1)
	v_or3_b32 v189, v4, v2, v3
.LBB235_446:                            ;   in Loop: Header=BB235_13 Depth=1
	s_or_b32 exec_lo, exec_lo, s4
.LBB235_447:                            ;   in Loop: Header=BB235_13 Depth=1
	s_delay_alu instid0(SALU_CYCLE_1)
	s_or_b32 exec_lo, exec_lo, s26
.LBB235_448:                            ;   in Loop: Header=BB235_13 Depth=1
	s_delay_alu instid0(SALU_CYCLE_1)
	s_or_b32 exec_lo, exec_lo, s25
	flat_load_u16 v0, v[0:1] offset:12
	v_mov_b32_e32 v114, 0
	v_mov_b32_e32 v115, 0
	s_mov_b32 s4, exec_lo
	s_waitcnt vmcnt(0) lgkmcnt(0)
	v_and_b32_e32 v1, 0xff, v0
	v_and_b32_e32 v0, 0xffff, v0
	v_dual_mov_b32 v4, v114 :: v_dual_mov_b32 v5, v115
	s_delay_alu instid0(VALU_DEP_3)
	v_cmpx_ne_u16_e32 0, v1
	s_cbranch_execz .LBB235_456
; %bb.449:                              ;   in Loop: Header=BB235_13 Depth=1
	v_bfrev_b32_e32 v4, 1
	v_and_b32_e32 v1, 0xff, v0
	v_mov_b32_e32 v5, 0
	s_mov_b32 s25, exec_lo
	s_delay_alu instid0(VALU_DEP_2)
	v_cmpx_ne_u16_e32 0x80, v1
	s_cbranch_execz .LBB235_455
; %bb.450:                              ;   in Loop: Header=BB235_13 Depth=1
	v_mov_b32_e32 v4, 0x7f800001
	v_dual_mov_b32 v5, 0 :: v_dual_and_b32 v2, 0x7f, v0
	s_mov_b32 s26, exec_lo
	s_delay_alu instid0(VALU_DEP_1)
	v_cmpx_ne_u32_e32 0x7f, v2
	s_cbranch_execz .LBB235_454
; %bb.451:                              ;   in Loop: Header=BB235_13 Depth=1
	v_and_b32_e32 v28, 7, v0
	v_lshrrev_b32_e32 v1, 3, v2
	s_mov_b32 s27, exec_lo
	v_cmpx_gt_u32_e32 8, v2
; %bb.452:                              ;   in Loop: Header=BB235_13 Depth=1
	s_delay_alu instid0(VALU_DEP_3) | instskip(NEXT) | instid1(VALU_DEP_1)
	v_clz_i32_u32_e32 v1, v28
	v_min_u32_e32 v1, 32, v1
	s_delay_alu instid0(VALU_DEP_1) | instskip(SKIP_1) | instid1(VALU_DEP_2)
	v_subrev_nc_u32_e32 v2, 28, v1
	v_sub_nc_u32_e32 v1, 29, v1
	v_lshlrev_b64 v[2:3], v2, v[28:29]
	s_delay_alu instid0(VALU_DEP_1)
	v_and_b32_e32 v28, 7, v2
; %bb.453:                              ;   in Loop: Header=BB235_13 Depth=1
	s_or_b32 exec_lo, exec_lo, s27
	v_lshlrev_b32_e32 v2, 24, v0
	s_delay_alu instid0(VALU_DEP_2) | instskip(SKIP_1) | instid1(VALU_DEP_3)
	v_lshlrev_b32_e32 v3, 20, v28
	v_lshl_add_u32 v1, v1, 23, 0x3c000000
	v_and_b32_e32 v2, 0x80000000, v2
	s_delay_alu instid0(VALU_DEP_1) | instskip(NEXT) | instid1(VALU_DEP_1)
	v_or3_b32 v28, v3, v2, v1
	v_dual_mov_b32 v4, v28 :: v_dual_mov_b32 v5, v29
.LBB235_454:                            ;   in Loop: Header=BB235_13 Depth=1
	s_or_b32 exec_lo, exec_lo, s26
.LBB235_455:                            ;   in Loop: Header=BB235_13 Depth=1
	s_delay_alu instid0(SALU_CYCLE_1)
	s_or_b32 exec_lo, exec_lo, s25
.LBB235_456:                            ;   in Loop: Header=BB235_13 Depth=1
	s_delay_alu instid0(SALU_CYCLE_1) | instskip(SKIP_2) | instid1(VALU_DEP_1)
	s_or_b32 exec_lo, exec_lo, s4
	v_lshrrev_b16 v1, 8, v0
	s_mov_b32 s25, exec_lo
	v_cmpx_ne_u16_e32 0, v1
	s_cbranch_execz .LBB235_464
; %bb.457:                              ;   in Loop: Header=BB235_13 Depth=1
	v_dual_mov_b32 v115, s19 :: v_dual_mov_b32 v114, s18
	s_mov_b32 s26, exec_lo
	v_cmpx_ne_u16_e32 0x80, v1
	s_cbranch_execz .LBB235_463
; %bb.458:                              ;   in Loop: Header=BB235_13 Depth=1
	s_mov_b32 s4, s18
	v_and_b32_e32 v1, 0xffff, v1
	v_dual_mov_b32 v115, s5 :: v_dual_mov_b32 v114, s4
	s_mov_b32 s4, exec_lo
	s_delay_alu instid0(VALU_DEP_2) | instskip(NEXT) | instid1(VALU_DEP_1)
	v_and_b32_e32 v2, 0x7f, v1
	v_cmpx_ne_u32_e32 0x7f, v2
	s_cbranch_execz .LBB235_462
; %bb.459:                              ;   in Loop: Header=BB235_13 Depth=1
	v_and_b32_e32 v28, 7, v1
	v_lshrrev_b32_e32 v1, 3, v2
	s_mov_b32 s27, exec_lo
	v_cmpx_gt_u32_e32 8, v2
; %bb.460:                              ;   in Loop: Header=BB235_13 Depth=1
	s_delay_alu instid0(VALU_DEP_3) | instskip(NEXT) | instid1(VALU_DEP_1)
	v_clz_i32_u32_e32 v1, v28
	v_min_u32_e32 v1, 32, v1
	s_delay_alu instid0(VALU_DEP_1) | instskip(SKIP_1) | instid1(VALU_DEP_2)
	v_subrev_nc_u32_e32 v2, 28, v1
	v_sub_nc_u32_e32 v1, 29, v1
	v_lshlrev_b64 v[2:3], v2, v[28:29]
	s_delay_alu instid0(VALU_DEP_1)
	v_and_b32_e32 v28, 7, v2
; %bb.461:                              ;   in Loop: Header=BB235_13 Depth=1
	s_or_b32 exec_lo, exec_lo, s27
	v_lshlrev_b32_e32 v0, 16, v0
	s_delay_alu instid0(VALU_DEP_2) | instskip(SKIP_2) | instid1(VALU_DEP_4)
	v_lshlrev_b32_e32 v2, 20, v28
	v_lshl_add_u32 v1, v1, 23, 0x3c000000
	v_mov_b32_e32 v114, v29
	v_and_b32_e32 v0, 0x80000000, v0
	s_delay_alu instid0(VALU_DEP_1)
	v_or3_b32 v115, v2, v0, v1
.LBB235_462:                            ;   in Loop: Header=BB235_13 Depth=1
	s_or_b32 exec_lo, exec_lo, s4
.LBB235_463:                            ;   in Loop: Header=BB235_13 Depth=1
	s_delay_alu instid0(SALU_CYCLE_1)
	s_or_b32 exec_lo, exec_lo, s26
.LBB235_464:                            ;   in Loop: Header=BB235_13 Depth=1
	s_delay_alu instid0(SALU_CYCLE_1)
	s_or_b32 exec_lo, exec_lo, s25
	flat_load_u16 v0, v[150:151] offset:1792
	v_mov_b32_e32 v116, 0
	v_mov_b32_e32 v117, 0
	s_mov_b32 s4, exec_lo
	s_waitcnt vmcnt(0) lgkmcnt(0)
	v_and_b32_e32 v1, 0xff, v0
	v_dual_mov_b32 v11, v116 :: v_dual_and_b32 v0, 0xffff, v0
	v_mov_b32_e32 v12, v117
	s_delay_alu instid0(VALU_DEP_3)
	v_cmpx_ne_u16_e32 0, v1
	s_cbranch_execz .LBB235_472
; %bb.465:                              ;   in Loop: Header=BB235_13 Depth=1
	v_bfrev_b32_e32 v11, 1
	v_dual_mov_b32 v12, 0 :: v_dual_and_b32 v1, 0xff, v0
	s_mov_b32 s25, exec_lo
	s_delay_alu instid0(VALU_DEP_1)
	v_cmpx_ne_u16_e32 0x80, v1
	s_cbranch_execz .LBB235_471
; %bb.466:                              ;   in Loop: Header=BB235_13 Depth=1
	v_mov_b32_e32 v11, 0x7f800001
	v_and_b32_e32 v2, 0x7f, v0
	v_mov_b32_e32 v12, 0
	s_mov_b32 s26, exec_lo
	s_delay_alu instid0(VALU_DEP_2)
	v_cmpx_ne_u32_e32 0x7f, v2
	s_cbranch_execz .LBB235_470
; %bb.467:                              ;   in Loop: Header=BB235_13 Depth=1
	v_and_b32_e32 v28, 7, v0
	v_lshrrev_b32_e32 v1, 3, v2
	s_mov_b32 s27, exec_lo
	v_cmpx_gt_u32_e32 8, v2
; %bb.468:                              ;   in Loop: Header=BB235_13 Depth=1
	s_delay_alu instid0(VALU_DEP_3) | instskip(NEXT) | instid1(VALU_DEP_1)
	v_clz_i32_u32_e32 v1, v28
	v_min_u32_e32 v1, 32, v1
	s_delay_alu instid0(VALU_DEP_1) | instskip(SKIP_1) | instid1(VALU_DEP_2)
	v_subrev_nc_u32_e32 v2, 28, v1
	v_sub_nc_u32_e32 v1, 29, v1
	v_lshlrev_b64 v[2:3], v2, v[28:29]
	s_delay_alu instid0(VALU_DEP_1)
	v_and_b32_e32 v28, 7, v2
; %bb.469:                              ;   in Loop: Header=BB235_13 Depth=1
	s_or_b32 exec_lo, exec_lo, s27
	v_lshlrev_b32_e32 v2, 24, v0
	s_delay_alu instid0(VALU_DEP_2) | instskip(SKIP_1) | instid1(VALU_DEP_3)
	v_lshlrev_b32_e32 v3, 20, v28
	v_lshl_add_u32 v1, v1, 23, 0x3c000000
	v_and_b32_e32 v2, 0x80000000, v2
	s_delay_alu instid0(VALU_DEP_1) | instskip(NEXT) | instid1(VALU_DEP_1)
	v_or3_b32 v28, v3, v2, v1
	v_dual_mov_b32 v11, v28 :: v_dual_mov_b32 v12, v29
.LBB235_470:                            ;   in Loop: Header=BB235_13 Depth=1
	s_or_b32 exec_lo, exec_lo, s26
.LBB235_471:                            ;   in Loop: Header=BB235_13 Depth=1
	s_delay_alu instid0(SALU_CYCLE_1)
	s_or_b32 exec_lo, exec_lo, s25
.LBB235_472:                            ;   in Loop: Header=BB235_13 Depth=1
	s_delay_alu instid0(SALU_CYCLE_1) | instskip(SKIP_2) | instid1(VALU_DEP_1)
	s_or_b32 exec_lo, exec_lo, s4
	v_lshrrev_b16 v1, 8, v0
	s_mov_b32 s25, exec_lo
	v_cmpx_ne_u16_e32 0, v1
	s_cbranch_execz .LBB235_480
; %bb.473:                              ;   in Loop: Header=BB235_13 Depth=1
	v_dual_mov_b32 v117, s19 :: v_dual_mov_b32 v116, s18
	s_mov_b32 s26, exec_lo
	v_cmpx_ne_u16_e32 0x80, v1
	s_cbranch_execz .LBB235_479
; %bb.474:                              ;   in Loop: Header=BB235_13 Depth=1
	s_mov_b32 s4, s18
	v_and_b32_e32 v1, 0xffff, v1
	v_dual_mov_b32 v117, s5 :: v_dual_mov_b32 v116, s4
	s_mov_b32 s4, exec_lo
	s_delay_alu instid0(VALU_DEP_2) | instskip(NEXT) | instid1(VALU_DEP_1)
	v_and_b32_e32 v2, 0x7f, v1
	v_cmpx_ne_u32_e32 0x7f, v2
	s_cbranch_execz .LBB235_478
; %bb.475:                              ;   in Loop: Header=BB235_13 Depth=1
	v_and_b32_e32 v28, 7, v1
	v_lshrrev_b32_e32 v1, 3, v2
	s_mov_b32 s27, exec_lo
	v_cmpx_gt_u32_e32 8, v2
; %bb.476:                              ;   in Loop: Header=BB235_13 Depth=1
	s_delay_alu instid0(VALU_DEP_3) | instskip(NEXT) | instid1(VALU_DEP_1)
	v_clz_i32_u32_e32 v1, v28
	v_min_u32_e32 v1, 32, v1
	s_delay_alu instid0(VALU_DEP_1) | instskip(SKIP_1) | instid1(VALU_DEP_2)
	v_subrev_nc_u32_e32 v2, 28, v1
	v_sub_nc_u32_e32 v1, 29, v1
	v_lshlrev_b64 v[2:3], v2, v[28:29]
	s_delay_alu instid0(VALU_DEP_1)
	v_and_b32_e32 v28, 7, v2
; %bb.477:                              ;   in Loop: Header=BB235_13 Depth=1
	s_or_b32 exec_lo, exec_lo, s27
	v_lshlrev_b32_e32 v0, 16, v0
	s_delay_alu instid0(VALU_DEP_2) | instskip(SKIP_2) | instid1(VALU_DEP_4)
	v_lshlrev_b32_e32 v2, 20, v28
	v_lshl_add_u32 v1, v1, 23, 0x3c000000
	v_mov_b32_e32 v116, v29
	v_and_b32_e32 v0, 0x80000000, v0
	s_delay_alu instid0(VALU_DEP_1)
	v_or3_b32 v117, v2, v0, v1
.LBB235_478:                            ;   in Loop: Header=BB235_13 Depth=1
	s_or_b32 exec_lo, exec_lo, s4
.LBB235_479:                            ;   in Loop: Header=BB235_13 Depth=1
	s_delay_alu instid0(SALU_CYCLE_1)
	s_or_b32 exec_lo, exec_lo, s26
.LBB235_480:                            ;   in Loop: Header=BB235_13 Depth=1
	s_delay_alu instid0(SALU_CYCLE_1)
	s_or_b32 exec_lo, exec_lo, s25
	flat_load_u16 v0, v[150:151] offset:1796
	v_mov_b32_e32 v21, 0
	s_waitcnt vmcnt(0) lgkmcnt(0)
	v_dual_mov_b32 v22, 0 :: v_dual_and_b32 v1, 0xff, v0
	v_and_b32_e32 v2, 0xffff, v0
	s_delay_alu instid0(VALU_DEP_2) | instskip(NEXT) | instid1(VALU_DEP_3)
	v_cmp_ne_u16_e64 s3, 0, v1
	v_dual_mov_b32 v0, v21 :: v_dual_mov_b32 v1, v22
	s_delay_alu instid0(VALU_DEP_2)
	s_and_saveexec_b32 s4, s3
	s_cbranch_execz .LBB235_488
; %bb.481:                              ;   in Loop: Header=BB235_13 Depth=1
	v_and_b32_e32 v0, 0xff, v2
	s_delay_alu instid0(VALU_DEP_1) | instskip(SKIP_2) | instid1(VALU_DEP_3)
	v_cmp_ne_u16_e64 s3, 0x80, v0
	v_bfrev_b32_e32 v0, 1
	v_mov_b32_e32 v1, 0
	s_and_saveexec_b32 s25, s3
	s_cbranch_execz .LBB235_487
; %bb.482:                              ;   in Loop: Header=BB235_13 Depth=1
	v_mov_b32_e32 v0, 0x7f800001
	v_and_b32_e32 v3, 0x7f, v2
	v_mov_b32_e32 v1, 0
	s_mov_b32 s26, exec_lo
	s_delay_alu instid0(VALU_DEP_2)
	v_cmpx_ne_u32_e32 0x7f, v3
	s_cbranch_execz .LBB235_486
; %bb.483:                              ;   in Loop: Header=BB235_13 Depth=1
	v_and_b32_e32 v28, 7, v2
	v_lshrrev_b32_e32 v0, 3, v3
	s_mov_b32 s27, exec_lo
	v_cmpx_gt_u32_e32 8, v3
; %bb.484:                              ;   in Loop: Header=BB235_13 Depth=1
	s_delay_alu instid0(VALU_DEP_3) | instskip(NEXT) | instid1(VALU_DEP_1)
	v_clz_i32_u32_e32 v0, v28
	v_min_u32_e32 v0, 32, v0
	s_delay_alu instid0(VALU_DEP_1) | instskip(SKIP_1) | instid1(VALU_DEP_2)
	v_subrev_nc_u32_e32 v1, 28, v0
	v_sub_nc_u32_e32 v0, 29, v0
	v_lshlrev_b64 v[14:15], v1, v[28:29]
	s_delay_alu instid0(VALU_DEP_1)
	v_and_b32_e32 v28, 7, v14
; %bb.485:                              ;   in Loop: Header=BB235_13 Depth=1
	s_or_b32 exec_lo, exec_lo, s27
	v_lshlrev_b32_e32 v1, 24, v2
	s_delay_alu instid0(VALU_DEP_2) | instskip(SKIP_1) | instid1(VALU_DEP_3)
	v_lshlrev_b32_e32 v3, 20, v28
	v_lshl_add_u32 v0, v0, 23, 0x3c000000
	v_and_b32_e32 v1, 0x80000000, v1
	s_delay_alu instid0(VALU_DEP_1) | instskip(NEXT) | instid1(VALU_DEP_1)
	v_or3_b32 v28, v3, v1, v0
	v_dual_mov_b32 v0, v28 :: v_dual_mov_b32 v1, v29
.LBB235_486:                            ;   in Loop: Header=BB235_13 Depth=1
	s_or_b32 exec_lo, exec_lo, s26
.LBB235_487:                            ;   in Loop: Header=BB235_13 Depth=1
	s_delay_alu instid0(SALU_CYCLE_1)
	s_or_b32 exec_lo, exec_lo, s25
.LBB235_488:                            ;   in Loop: Header=BB235_13 Depth=1
	s_delay_alu instid0(SALU_CYCLE_1) | instskip(SKIP_2) | instid1(VALU_DEP_1)
	s_or_b32 exec_lo, exec_lo, s4
	v_lshrrev_b16 v3, 8, v2
	s_mov_b32 s25, exec_lo
	v_cmpx_ne_u16_e32 0, v3
	s_cbranch_execz .LBB235_496
; %bb.489:                              ;   in Loop: Header=BB235_13 Depth=1
	v_dual_mov_b32 v22, s19 :: v_dual_mov_b32 v21, s18
	s_mov_b32 s26, exec_lo
	v_cmpx_ne_u16_e32 0x80, v3
	s_cbranch_execz .LBB235_495
; %bb.490:                              ;   in Loop: Header=BB235_13 Depth=1
	s_mov_b32 s4, s18
	v_dual_mov_b32 v22, s5 :: v_dual_and_b32 v3, 0xffff, v3
	v_mov_b32_e32 v21, s4
	s_mov_b32 s4, exec_lo
	s_delay_alu instid0(VALU_DEP_2) | instskip(NEXT) | instid1(VALU_DEP_1)
	v_and_b32_e32 v14, 0x7f, v3
	v_cmpx_ne_u32_e32 0x7f, v14
	s_cbranch_execz .LBB235_494
; %bb.491:                              ;   in Loop: Header=BB235_13 Depth=1
	v_and_b32_e32 v28, 7, v3
	v_lshrrev_b32_e32 v3, 3, v14
	s_mov_b32 s27, exec_lo
	v_cmpx_gt_u32_e32 8, v14
; %bb.492:                              ;   in Loop: Header=BB235_13 Depth=1
	s_delay_alu instid0(VALU_DEP_3) | instskip(NEXT) | instid1(VALU_DEP_1)
	v_clz_i32_u32_e32 v3, v28
	v_min_u32_e32 v3, 32, v3
	s_delay_alu instid0(VALU_DEP_1) | instskip(SKIP_1) | instid1(VALU_DEP_2)
	v_subrev_nc_u32_e32 v14, 28, v3
	v_sub_nc_u32_e32 v3, 29, v3
	v_lshlrev_b64 v[14:15], v14, v[28:29]
	s_delay_alu instid0(VALU_DEP_1)
	v_and_b32_e32 v28, 7, v14
; %bb.493:                              ;   in Loop: Header=BB235_13 Depth=1
	s_or_b32 exec_lo, exec_lo, s27
	v_dual_mov_b32 v21, v29 :: v_dual_lshlrev_b32 v2, 16, v2
	s_delay_alu instid0(VALU_DEP_2) | instskip(SKIP_1) | instid1(VALU_DEP_3)
	v_lshlrev_b32_e32 v14, 20, v28
	v_lshl_add_u32 v3, v3, 23, 0x3c000000
	v_and_b32_e32 v2, 0x80000000, v2
	s_delay_alu instid0(VALU_DEP_1)
	v_or3_b32 v22, v14, v2, v3
.LBB235_494:                            ;   in Loop: Header=BB235_13 Depth=1
	s_or_b32 exec_lo, exec_lo, s4
.LBB235_495:                            ;   in Loop: Header=BB235_13 Depth=1
	s_delay_alu instid0(SALU_CYCLE_1)
	s_or_b32 exec_lo, exec_lo, s26
.LBB235_496:                            ;   in Loop: Header=BB235_13 Depth=1
	s_delay_alu instid0(SALU_CYCLE_1) | instskip(SKIP_1) | instid1(VALU_DEP_1)
	s_or_b32 exec_lo, exec_lo, s25
	v_add_co_u32 v14, s3, 0x700, v150
	v_add_co_ci_u32_e64 v15, s3, 0, v151, s3
	flat_load_u16 v2, v[14:15] offset:8
	v_mov_b32_e32 v150, 0
	s_waitcnt vmcnt(0) lgkmcnt(0)
	v_dual_mov_b32 v151, 0 :: v_dual_and_b32 v26, 0xffff, v2
	v_and_b32_e32 v3, 0xff, v2
	s_delay_alu instid0(VALU_DEP_1) | instskip(NEXT) | instid1(VALU_DEP_3)
	v_cmp_ne_u16_e64 s3, 0, v3
	v_dual_mov_b32 v2, v150 :: v_dual_mov_b32 v3, v151
	s_delay_alu instid0(VALU_DEP_2)
	s_and_saveexec_b32 s4, s3
	s_cbranch_execz .LBB235_504
; %bb.497:                              ;   in Loop: Header=BB235_13 Depth=1
	v_and_b32_e32 v2, 0xff, v26
	s_delay_alu instid0(VALU_DEP_1) | instskip(SKIP_2) | instid1(VALU_DEP_3)
	v_cmp_ne_u16_e64 s3, 0x80, v2
	v_bfrev_b32_e32 v2, 1
	v_mov_b32_e32 v3, 0
	s_and_saveexec_b32 s25, s3
	s_cbranch_execz .LBB235_503
; %bb.498:                              ;   in Loop: Header=BB235_13 Depth=1
	v_mov_b32_e32 v2, 0x7f800001
	v_and_b32_e32 v27, 0x7f, v26
	v_mov_b32_e32 v3, 0
	s_mov_b32 s26, exec_lo
	s_delay_alu instid0(VALU_DEP_2)
	v_cmpx_ne_u32_e32 0x7f, v27
	s_cbranch_execz .LBB235_502
; %bb.499:                              ;   in Loop: Header=BB235_13 Depth=1
	v_and_b32_e32 v28, 7, v26
	v_lshrrev_b32_e32 v2, 3, v27
	s_mov_b32 s27, exec_lo
	v_cmpx_gt_u32_e32 8, v27
; %bb.500:                              ;   in Loop: Header=BB235_13 Depth=1
	s_delay_alu instid0(VALU_DEP_3) | instskip(NEXT) | instid1(VALU_DEP_1)
	v_clz_i32_u32_e32 v2, v28
	v_min_u32_e32 v2, 32, v2
	s_delay_alu instid0(VALU_DEP_1) | instskip(SKIP_1) | instid1(VALU_DEP_2)
	v_subrev_nc_u32_e32 v3, 28, v2
	v_sub_nc_u32_e32 v2, 29, v2
	v_lshlrev_b64 v[27:28], v3, v[28:29]
	s_delay_alu instid0(VALU_DEP_1)
	v_and_b32_e32 v28, 7, v27
; %bb.501:                              ;   in Loop: Header=BB235_13 Depth=1
	s_or_b32 exec_lo, exec_lo, s27
	v_lshlrev_b32_e32 v3, 24, v26
	s_delay_alu instid0(VALU_DEP_2) | instskip(SKIP_1) | instid1(VALU_DEP_3)
	v_lshlrev_b32_e32 v27, 20, v28
	v_lshl_add_u32 v2, v2, 23, 0x3c000000
	v_and_b32_e32 v3, 0x80000000, v3
	s_delay_alu instid0(VALU_DEP_1) | instskip(NEXT) | instid1(VALU_DEP_1)
	v_or3_b32 v28, v27, v3, v2
	v_dual_mov_b32 v2, v28 :: v_dual_mov_b32 v3, v29
.LBB235_502:                            ;   in Loop: Header=BB235_13 Depth=1
	s_or_b32 exec_lo, exec_lo, s26
.LBB235_503:                            ;   in Loop: Header=BB235_13 Depth=1
	s_delay_alu instid0(SALU_CYCLE_1)
	s_or_b32 exec_lo, exec_lo, s25
.LBB235_504:                            ;   in Loop: Header=BB235_13 Depth=1
	s_delay_alu instid0(SALU_CYCLE_1) | instskip(SKIP_2) | instid1(VALU_DEP_1)
	s_or_b32 exec_lo, exec_lo, s4
	v_lshrrev_b16 v27, 8, v26
	s_mov_b32 s25, exec_lo
	v_cmpx_ne_u16_e32 0, v27
	s_cbranch_execz .LBB235_512
; %bb.505:                              ;   in Loop: Header=BB235_13 Depth=1
	v_dual_mov_b32 v151, s19 :: v_dual_mov_b32 v150, s18
	s_mov_b32 s26, exec_lo
	v_cmpx_ne_u16_e32 0x80, v27
	s_cbranch_execz .LBB235_511
; %bb.506:                              ;   in Loop: Header=BB235_13 Depth=1
	s_mov_b32 s4, s18
	v_and_b32_e32 v27, 0xffff, v27
	v_dual_mov_b32 v151, s5 :: v_dual_mov_b32 v150, s4
	s_mov_b32 s4, exec_lo
	s_delay_alu instid0(VALU_DEP_2) | instskip(NEXT) | instid1(VALU_DEP_1)
	v_and_b32_e32 v129, 0x7f, v27
	v_cmpx_ne_u32_e32 0x7f, v129
	s_cbranch_execz .LBB235_510
; %bb.507:                              ;   in Loop: Header=BB235_13 Depth=1
	v_and_b32_e32 v28, 7, v27
	v_lshrrev_b32_e32 v27, 3, v129
	s_mov_b32 s27, exec_lo
	v_cmpx_gt_u32_e32 8, v129
; %bb.508:                              ;   in Loop: Header=BB235_13 Depth=1
	s_delay_alu instid0(VALU_DEP_3) | instskip(NEXT) | instid1(VALU_DEP_1)
	v_clz_i32_u32_e32 v27, v28
	v_min_u32_e32 v27, 32, v27
	s_delay_alu instid0(VALU_DEP_1) | instskip(SKIP_1) | instid1(VALU_DEP_2)
	v_subrev_nc_u32_e32 v30, 28, v27
	v_sub_nc_u32_e32 v27, 29, v27
	v_lshlrev_b64 v[150:151], v30, v[28:29]
	s_delay_alu instid0(VALU_DEP_1)
	v_and_b32_e32 v28, 7, v150
; %bb.509:                              ;   in Loop: Header=BB235_13 Depth=1
	s_or_b32 exec_lo, exec_lo, s27
	v_lshlrev_b32_e32 v26, 16, v26
	s_delay_alu instid0(VALU_DEP_2) | instskip(SKIP_2) | instid1(VALU_DEP_4)
	v_lshlrev_b32_e32 v28, 20, v28
	v_lshl_add_u32 v27, v27, 23, 0x3c000000
	v_mov_b32_e32 v150, v29
	v_and_b32_e32 v26, 0x80000000, v26
	s_delay_alu instid0(VALU_DEP_1)
	v_or3_b32 v151, v28, v26, v27
.LBB235_510:                            ;   in Loop: Header=BB235_13 Depth=1
	s_or_b32 exec_lo, exec_lo, s4
.LBB235_511:                            ;   in Loop: Header=BB235_13 Depth=1
	s_delay_alu instid0(SALU_CYCLE_1)
	s_or_b32 exec_lo, exec_lo, s26
.LBB235_512:                            ;   in Loop: Header=BB235_13 Depth=1
	s_delay_alu instid0(SALU_CYCLE_1)
	s_or_b32 exec_lo, exec_lo, s25
	flat_load_u16 v26, v[14:15] offset:12
	v_mov_b32_e32 v14, 0
	v_mov_b32_e32 v15, 0
	s_waitcnt vmcnt(0) lgkmcnt(0)
	v_and_b32_e32 v27, 0xff, v26
	v_and_b32_e32 v129, 0xffff, v26
	s_delay_alu instid0(VALU_DEP_2) | instskip(SKIP_1) | instid1(VALU_DEP_2)
	v_cmp_ne_u16_e64 s3, 0, v27
	v_dual_mov_b32 v27, v15 :: v_dual_mov_b32 v26, v14
	s_and_saveexec_b32 s4, s3
	s_cbranch_execz .LBB235_520
; %bb.513:                              ;   in Loop: Header=BB235_13 Depth=1
	v_and_b32_e32 v26, 0xff, v129
	s_delay_alu instid0(VALU_DEP_1) | instskip(SKIP_2) | instid1(VALU_DEP_3)
	v_cmp_ne_u16_e64 s3, 0x80, v26
	v_bfrev_b32_e32 v26, 1
	v_mov_b32_e32 v27, 0
	s_and_saveexec_b32 s25, s3
	s_cbranch_execz .LBB235_519
; %bb.514:                              ;   in Loop: Header=BB235_13 Depth=1
	v_mov_b32_e32 v26, 0x7f800001
	v_dual_mov_b32 v27, 0 :: v_dual_and_b32 v30, 0x7f, v129
	s_mov_b32 s26, exec_lo
	s_delay_alu instid0(VALU_DEP_1)
	v_cmpx_ne_u32_e32 0x7f, v30
	s_cbranch_execz .LBB235_518
; %bb.515:                              ;   in Loop: Header=BB235_13 Depth=1
	v_and_b32_e32 v28, 7, v129
	v_lshrrev_b32_e32 v26, 3, v30
	s_mov_b32 s27, exec_lo
	v_cmpx_gt_u32_e32 8, v30
; %bb.516:                              ;   in Loop: Header=BB235_13 Depth=1
	s_delay_alu instid0(VALU_DEP_3) | instskip(NEXT) | instid1(VALU_DEP_1)
	v_clz_i32_u32_e32 v26, v28
	v_min_u32_e32 v26, 32, v26
	s_delay_alu instid0(VALU_DEP_1) | instskip(SKIP_1) | instid1(VALU_DEP_2)
	v_subrev_nc_u32_e32 v27, 28, v26
	v_sub_nc_u32_e32 v26, 29, v26
	v_lshlrev_b64 v[27:28], v27, v[28:29]
	s_delay_alu instid0(VALU_DEP_1)
	v_and_b32_e32 v28, 7, v27
; %bb.517:                              ;   in Loop: Header=BB235_13 Depth=1
	s_or_b32 exec_lo, exec_lo, s27
	v_lshlrev_b32_e32 v27, 24, v129
	s_delay_alu instid0(VALU_DEP_2) | instskip(SKIP_1) | instid1(VALU_DEP_3)
	v_lshlrev_b32_e32 v28, 20, v28
	v_lshl_add_u32 v26, v26, 23, 0x3c000000
	v_and_b32_e32 v27, 0x80000000, v27
	s_delay_alu instid0(VALU_DEP_1) | instskip(NEXT) | instid1(VALU_DEP_1)
	v_or3_b32 v28, v28, v27, v26
	v_dual_mov_b32 v26, v28 :: v_dual_mov_b32 v27, v29
.LBB235_518:                            ;   in Loop: Header=BB235_13 Depth=1
	s_or_b32 exec_lo, exec_lo, s26
.LBB235_519:                            ;   in Loop: Header=BB235_13 Depth=1
	s_delay_alu instid0(SALU_CYCLE_1)
	s_or_b32 exec_lo, exec_lo, s25
.LBB235_520:                            ;   in Loop: Header=BB235_13 Depth=1
	s_delay_alu instid0(SALU_CYCLE_1) | instskip(SKIP_2) | instid1(VALU_DEP_1)
	s_or_b32 exec_lo, exec_lo, s4
	v_lshrrev_b16 v28, 8, v129
	s_mov_b32 s25, exec_lo
	v_cmpx_ne_u16_e32 0, v28
	s_cbranch_execz .LBB235_528
; %bb.521:                              ;   in Loop: Header=BB235_13 Depth=1
	v_dual_mov_b32 v14, s18 :: v_dual_mov_b32 v15, s19
	s_mov_b32 s26, exec_lo
	v_cmpx_ne_u16_e32 0x80, v28
	s_cbranch_execz .LBB235_527
; %bb.522:                              ;   in Loop: Header=BB235_13 Depth=1
	s_mov_b32 s4, s18
	v_dual_mov_b32 v15, s5 :: v_dual_and_b32 v28, 0xffff, v28
	v_mov_b32_e32 v14, s4
	s_mov_b32 s4, exec_lo
	s_delay_alu instid0(VALU_DEP_2) | instskip(NEXT) | instid1(VALU_DEP_1)
	v_and_b32_e32 v30, 0x7f, v28
	v_cmpx_ne_u32_e32 0x7f, v30
	s_cbranch_execz .LBB235_526
; %bb.523:                              ;   in Loop: Header=BB235_13 Depth=1
	v_and_b32_e32 v28, 7, v28
	v_lshrrev_b32_e32 v14, 3, v30
	s_mov_b32 s27, exec_lo
	v_cmpx_gt_u32_e32 8, v30
; %bb.524:                              ;   in Loop: Header=BB235_13 Depth=1
	s_delay_alu instid0(VALU_DEP_3) | instskip(SKIP_1) | instid1(VALU_DEP_2)
	v_clz_i32_u32_e32 v14, v28
	v_mov_b32_e32 v149, 0xff7fffff
	v_min_u32_e32 v14, 32, v14
	s_delay_alu instid0(VALU_DEP_1) | instskip(SKIP_1) | instid1(VALU_DEP_2)
	v_subrev_nc_u32_e32 v15, 28, v14
	v_sub_nc_u32_e32 v14, 29, v14
	v_lshlrev_b64 v[166:167], v15, v[28:29]
	s_delay_alu instid0(VALU_DEP_1)
	v_and_b32_e32 v28, 7, v166
; %bb.525:                              ;   in Loop: Header=BB235_13 Depth=1
	s_or_b32 exec_lo, exec_lo, s27
	v_lshlrev_b32_e32 v15, 16, v129
	s_delay_alu instid0(VALU_DEP_2) | instskip(SKIP_1) | instid1(VALU_DEP_3)
	v_lshlrev_b32_e32 v28, 20, v28
	v_lshl_add_u32 v14, v14, 23, 0x3c000000
	v_and_b32_e32 v15, 0x80000000, v15
	s_delay_alu instid0(VALU_DEP_1)
	v_or3_b32 v15, v28, v15, v14
	v_mov_b32_e32 v14, v29
.LBB235_526:                            ;   in Loop: Header=BB235_13 Depth=1
	s_or_b32 exec_lo, exec_lo, s4
.LBB235_527:                            ;   in Loop: Header=BB235_13 Depth=1
	s_delay_alu instid0(SALU_CYCLE_1)
	s_or_b32 exec_lo, exec_lo, s26
.LBB235_528:                            ;   in Loop: Header=BB235_13 Depth=1
	s_delay_alu instid0(SALU_CYCLE_1)
	s_or_b32 exec_lo, exec_lo, s25
	scratch_load_b64 v[166:167], off, s32 offset:364 ; 8-byte Folded Reload
	v_or_b32_e32 v39, v39, v41
	s_waitcnt vmcnt(0)
	v_or_b32_e32 v28, v134, v166
	v_or_b32_e32 v30, v135, v167
	scratch_load_b64 v[134:135], off, s32 offset:356 ; 8-byte Folded Reload
	v_mul_f32_e32 v28, v128, v28
	v_mul_f32_e32 v30, v128, v30
	s_delay_alu instid0(VALU_DEP_2) | instskip(SKIP_3) | instid1(VALU_DEP_2)
	v_mul_f32_e32 v28, v102, v28
	s_waitcnt vmcnt(0)
	v_or_b32_e32 v129, v130, v134
	v_or_b32_e32 v130, v131, v135
	v_mul_f32_e32 v129, v128, v129
	s_delay_alu instid0(VALU_DEP_2) | instskip(NEXT) | instid1(VALU_DEP_2)
	v_mul_f32_e32 v102, v128, v130
	v_fmac_f32_e32 v28, v100, v129
	v_mul_f32_e32 v100, v103, v30
	v_or_b32_e32 v30, v146, v178
	s_delay_alu instid0(VALU_DEP_2) | instskip(SKIP_3) | instid1(VALU_DEP_1)
	v_fmac_f32_e32 v100, v101, v102
	scratch_load_b64 v[102:103], off, s32 offset:372 ; 8-byte Folded Reload
	v_or_b32_e32 v101, v147, v179
	v_mul_f32_e32 v30, v128, v30
	v_fmac_f32_e32 v28, v96, v30
	s_delay_alu instid0(VALU_DEP_3) | instskip(NEXT) | instid1(VALU_DEP_1)
	v_mul_f32_e32 v30, v128, v101
	v_fmac_f32_e32 v100, v97, v30
	scratch_load_b64 v[96:97], off, s32 offset:380 ; 8-byte Folded Reload
	s_waitcnt vmcnt(1)
	v_or_b32_e32 v102, v160, v102
	v_or_b32_e32 v103, v161, v103
	s_delay_alu instid0(VALU_DEP_2) | instskip(NEXT) | instid1(VALU_DEP_1)
	v_mul_f32_e32 v30, v128, v102
	v_fmac_f32_e32 v28, v98, v30
	s_delay_alu instid0(VALU_DEP_3) | instskip(NEXT) | instid1(VALU_DEP_1)
	v_mul_f32_e32 v30, v128, v103
	v_fmac_f32_e32 v100, v99, v30
	s_waitcnt vmcnt(0)
	v_or_b32_e32 v30, v164, v96
	v_or_b32_e32 v96, v165, v97
	scratch_load_b64 v[97:98], off, s32 offset:388 ; 8-byte Folded Reload
	v_mul_f32_e32 v30, v128, v30
	s_delay_alu instid0(VALU_DEP_1) | instskip(SKIP_2) | instid1(VALU_DEP_2)
	v_fmac_f32_e32 v28, v84, v30
	v_mul_f32_e32 v30, v128, v96
	v_or_b32_e32 v84, v181, v183
	v_fmac_f32_e32 v100, v85, v30
	v_or_b32_e32 v85, v40, v42
	s_waitcnt vmcnt(0)
	v_or_b32_e32 v97, v176, v97
	v_or_b32_e32 v98, v177, v98
	s_delay_alu instid0(VALU_DEP_2) | instskip(NEXT) | instid1(VALU_DEP_1)
	v_mul_f32_e32 v30, v128, v97
	v_fmac_f32_e32 v28, v86, v30
	s_delay_alu instid0(VALU_DEP_3) | instskip(NEXT) | instid1(VALU_DEP_1)
	v_mul_f32_e32 v30, v128, v98
	v_fmac_f32_e32 v100, v87, v30
	v_or_b32_e32 v30, v180, v182
	s_delay_alu instid0(VALU_DEP_1) | instskip(NEXT) | instid1(VALU_DEP_1)
	v_mul_f32_e32 v30, v128, v30
	v_fmac_f32_e32 v28, v80, v30
	v_mul_f32_e32 v30, v128, v84
	v_or_b32_e32 v80, v56, v58
	s_delay_alu instid0(VALU_DEP_2) | instskip(SKIP_3) | instid1(VALU_DEP_3)
	v_fmac_f32_e32 v100, v81, v30
	v_mul_f32_e32 v30, v128, v39
	v_or_b32_e32 v39, v44, v46
	v_or_b32_e32 v81, v57, v59
	v_fmac_f32_e32 v28, v82, v30
	v_mul_f32_e32 v30, v128, v85
	s_delay_alu instid0(VALU_DEP_1) | instskip(SKIP_1) | instid1(VALU_DEP_1)
	v_fmac_f32_e32 v100, v83, v30
	v_or_b32_e32 v30, v43, v45
	v_mul_f32_e32 v30, v128, v30
	s_delay_alu instid0(VALU_DEP_1) | instskip(SKIP_3) | instid1(VALU_DEP_3)
	v_fmac_f32_e32 v28, v68, v30
	v_mul_f32_e32 v30, v128, v39
	v_or_b32_e32 v39, v61, v63
	v_or_b32_e32 v68, v72, v74
	v_fmac_f32_e32 v100, v69, v30
	v_mul_f32_e32 v30, v128, v80
	v_or_b32_e32 v69, v73, v75
	s_delay_alu instid0(VALU_DEP_2) | instskip(SKIP_1) | instid1(VALU_DEP_1)
	v_fmac_f32_e32 v28, v70, v30
	v_mul_f32_e32 v30, v128, v81
	v_fmac_f32_e32 v100, v71, v30
	v_or_b32_e32 v30, v60, v62
	s_delay_alu instid0(VALU_DEP_1) | instskip(NEXT) | instid1(VALU_DEP_1)
	v_mul_f32_e32 v30, v128, v30
	v_fmac_f32_e32 v28, v64, v30
	v_mul_f32_e32 v30, v128, v39
	v_or_b32_e32 v39, v77, v79
	v_or_b32_e32 v64, v88, v90
	s_delay_alu instid0(VALU_DEP_3) | instskip(SKIP_2) | instid1(VALU_DEP_2)
	v_fmac_f32_e32 v100, v65, v30
	v_mul_f32_e32 v30, v128, v68
	v_or_b32_e32 v65, v89, v91
	v_fmac_f32_e32 v28, v66, v30
	v_mul_f32_e32 v30, v128, v69
	s_delay_alu instid0(VALU_DEP_1) | instskip(SKIP_1) | instid1(VALU_DEP_1)
	v_fmac_f32_e32 v100, v67, v30
	v_or_b32_e32 v30, v76, v78
	v_mul_f32_e32 v30, v128, v30
	s_delay_alu instid0(VALU_DEP_1) | instskip(SKIP_3) | instid1(VALU_DEP_3)
	v_fmac_f32_e32 v28, v52, v30
	v_mul_f32_e32 v30, v128, v39
	v_or_b32_e32 v39, v93, v95
	v_or_b32_e32 v52, v104, v106
	v_fmac_f32_e32 v100, v53, v30
	v_mul_f32_e32 v30, v128, v64
	v_or_b32_e32 v53, v105, v107
	s_delay_alu instid0(VALU_DEP_2) | instskip(SKIP_1) | instid1(VALU_DEP_1)
	v_fmac_f32_e32 v28, v54, v30
	v_mul_f32_e32 v30, v128, v65
	v_fmac_f32_e32 v100, v55, v30
	v_or_b32_e32 v30, v92, v94
	s_delay_alu instid0(VALU_DEP_1) | instskip(NEXT) | instid1(VALU_DEP_1)
	v_mul_f32_e32 v30, v128, v30
	v_fmac_f32_e32 v28, v48, v30
	v_mul_f32_e32 v30, v128, v39
	v_or_b32_e32 v39, v109, v111
	v_or_b32_e32 v48, v120, v122
	s_delay_alu instid0(VALU_DEP_3) | instskip(SKIP_2) | instid1(VALU_DEP_2)
	v_fmac_f32_e32 v100, v49, v30
	v_mul_f32_e32 v30, v128, v52
	v_or_b32_e32 v49, v121, v123
	v_fmac_f32_e32 v28, v50, v30
	v_mul_f32_e32 v30, v128, v53
	s_delay_alu instid0(VALU_DEP_1) | instskip(SKIP_1) | instid1(VALU_DEP_1)
	v_fmac_f32_e32 v100, v51, v30
	v_or_b32_e32 v30, v108, v110
	v_mul_f32_e32 v30, v128, v30
	s_delay_alu instid0(VALU_DEP_1) | instskip(SKIP_2) | instid1(VALU_DEP_2)
	v_fmac_f32_e32 v28, v35, v30
	v_mul_f32_e32 v30, v128, v39
	v_or_b32_e32 v35, v125, v127
	v_fmac_f32_e32 v100, v36, v30
	v_mul_f32_e32 v30, v128, v48
	v_or_b32_e32 v36, v136, v138
	s_delay_alu instid0(VALU_DEP_2) | instskip(SKIP_2) | instid1(VALU_DEP_2)
	v_fmac_f32_e32 v28, v37, v30
	v_mul_f32_e32 v30, v128, v49
	v_or_b32_e32 v37, v137, v139
	v_fmac_f32_e32 v100, v38, v30
	v_or_b32_e32 v30, v124, v126
	s_delay_alu instid0(VALU_DEP_1) | instskip(NEXT) | instid1(VALU_DEP_1)
	v_mul_f32_e32 v30, v128, v30
	v_fmac_f32_e32 v28, v31, v30
	v_mul_f32_e32 v30, v128, v35
	v_or_b32_e32 v31, v141, v143
	s_delay_alu instid0(VALU_DEP_2) | instskip(SKIP_2) | instid1(VALU_DEP_2)
	v_fmac_f32_e32 v100, v32, v30
	v_mul_f32_e32 v30, v128, v36
	v_or_b32_e32 v32, v152, v154
	v_fmac_f32_e32 v28, v33, v30
	v_mul_f32_e32 v30, v128, v37
	v_or_b32_e32 v33, v153, v155
	s_delay_alu instid0(VALU_DEP_2) | instskip(SKIP_1) | instid1(VALU_DEP_1)
	v_fmac_f32_e32 v100, v34, v30
	v_or_b32_e32 v30, v140, v142
	v_mul_f32_e32 v30, v128, v30
	s_delay_alu instid0(VALU_DEP_1) | instskip(SKIP_3) | instid1(VALU_DEP_3)
	v_fmac_f32_e32 v28, v16, v30
	v_mul_f32_e32 v16, v128, v31
	v_or_b32_e32 v30, v185, v187
	v_or_b32_e32 v31, v189, v191
	v_fmac_f32_e32 v100, v17, v16
	v_mul_f32_e32 v16, v128, v32
	v_or_b32_e32 v17, v168, v170
	v_or_b32_e32 v32, v188, v190
	s_delay_alu instid0(VALU_DEP_3) | instskip(SKIP_2) | instid1(VALU_DEP_2)
	v_fmac_f32_e32 v28, v18, v16
	v_mul_f32_e32 v16, v128, v33
	v_or_b32_e32 v18, v156, v158
	v_fmac_f32_e32 v100, v19, v16
	v_or_b32_e32 v19, v157, v159
	s_delay_alu instid0(VALU_DEP_3) | instskip(SKIP_1) | instid1(VALU_DEP_2)
	v_mul_f32_e32 v18, v128, v18
	v_or_b32_e32 v16, v169, v171
	v_fmac_f32_e32 v28, v6, v18
	s_delay_alu instid0(VALU_DEP_4) | instskip(NEXT) | instid1(VALU_DEP_1)
	v_mul_f32_e32 v6, v128, v19
	v_fmac_f32_e32 v100, v7, v6
	v_mul_f32_e32 v6, v128, v17
	v_or_b32_e32 v7, v172, v174
	s_delay_alu instid0(VALU_DEP_2)
	v_fmac_f32_e32 v28, v8, v6
	v_mul_f32_e32 v6, v128, v16
	scratch_load_b64 v[16:17], off, s32 offset:404 ; 8-byte Folded Reload
	v_or_b32_e32 v8, v173, v175
	v_dual_mul_f32 v7, v128, v7 :: v_dual_fmac_f32 v100, v9, v6
	v_or_b32_e32 v6, v184, v186
	s_delay_alu instid0(VALU_DEP_1) | instskip(SKIP_1) | instid1(VALU_DEP_3)
	v_mul_f32_e32 v33, v128, v6
	s_waitcnt vmcnt(0)
	v_fmac_f32_e32 v28, v16, v7
	v_mul_f32_e32 v7, v128, v8
	s_delay_alu instid0(VALU_DEP_1)
	v_fmac_f32_e32 v100, v17, v7
	ds_load_2addr_b64 v[6:9], v148 offset0:25 offset1:26
	ds_load_2addr_b64 v[16:19], v148 offset0:27 offset1:28
	s_waitcnt lgkmcnt(1)
	v_fmac_f32_e32 v28, v6, v33
	v_mul_f32_e32 v6, v128, v30
	s_delay_alu instid0(VALU_DEP_1)
	v_fmac_f32_e32 v100, v7, v6
	v_mul_f32_e32 v6, v128, v32
	v_or_b32_e32 v7, v150, v2
	v_or_b32_e32 v2, v114, v4
	;; [unrolled: 1-line block ×4, first 2 shown]
	v_fmac_f32_e32 v28, v8, v6
	v_mul_f32_e32 v6, v128, v31
	v_mul_f32_e32 v2, v128, v2
	v_or_b32_e32 v8, v22, v1
	s_delay_alu instid0(VALU_DEP_3)
	v_dual_mul_f32 v7, v128, v7 :: v_dual_fmac_f32 v100, v9, v6
	v_or_b32_e32 v6, v151, v3
	v_or_b32_e32 v3, v115, v5
	;; [unrolled: 1-line block ×3, first 2 shown]
	s_waitcnt lgkmcnt(0)
	v_fmac_f32_e32 v28, v16, v2
	v_or_b32_e32 v9, v21, v0
	ds_load_b64 v[0:1], v148 offset:248
	v_mul_f32_e32 v2, v128, v3
	v_mul_f32_e32 v8, v128, v8
	;; [unrolled: 1-line block ×4, first 2 shown]
	v_or_b32_e32 v11, v15, v27
	v_fmac_f32_e32 v100, v17, v2
	v_mul_f32_e32 v2, v128, v5
	s_delay_alu instid0(VALU_DEP_1) | instskip(SKIP_1) | instid1(VALU_DEP_1)
	v_fmac_f32_e32 v28, v18, v2
	v_mul_f32_e32 v2, v128, v4
	v_fmac_f32_e32 v100, v19, v2
	ds_load_2addr_b64 v[2:5], v148 offset0:29 offset1:30
	s_waitcnt lgkmcnt(0)
	v_fmac_f32_e32 v28, v2, v9
	v_fmac_f32_e32 v100, v3, v8
	v_xor_b32_e32 v2, 1, v132
	v_mul_f32_e32 v3, v128, v11
	v_mul_f32_e32 v8, v128, v12
	v_fmac_f32_e32 v28, v4, v7
	v_fmac_f32_e32 v100, v5, v6
	v_cmp_gt_i32_e64 s3, 32, v2
	s_delay_alu instid0(VALU_DEP_3) | instskip(NEXT) | instid1(VALU_DEP_3)
	v_fmac_f32_e32 v28, v0, v8
	v_fmac_f32_e32 v100, v1, v3
	s_delay_alu instid0(VALU_DEP_3) | instskip(NEXT) | instid1(VALU_DEP_1)
	v_cndmask_b32_e64 v2, v132, v2, s3
	v_dual_add_f32 v0, v28, v100 :: v_dual_lshlrev_b32 v1, 2, v2
	ds_bpermute_b32 v1, v1, v0
	s_and_saveexec_b32 s4, vcc_lo
	s_cbranch_execz .LBB235_11
; %bb.529:                              ;   in Loop: Header=BB235_13 Depth=1
	s_clause 0x1
	scratch_load_b32 v2, off, s32 offset:432
	scratch_load_b32 v3, off, s32 offset:428
	s_waitcnt lgkmcnt(0)
	v_add_f32_e32 v0, v0, v1
	s_load_b32 s25, s[8:9], 0x0
	s_waitcnt vmcnt(1)
	v_add_nc_u32_e32 v2, v2, v144
	s_delay_alu instid0(VALU_DEP_1) | instskip(SKIP_1) | instid1(VALU_DEP_1)
	v_cvt_f32_i32_e32 v2, v2
	s_waitcnt vmcnt(0)
	v_mul_f32_e32 v2, v3, v2
	s_delay_alu instid0(VALU_DEP_1) | instskip(SKIP_1) | instid1(VALU_DEP_2)
	v_cndmask_b32_e64 v1, 0, v2, s2
	v_max_f32_e32 v2, v133, v133
	v_dual_fmac_f32 v1, v0, v13 :: v_dual_add_nc_u32 v0, v162, v144
	s_delay_alu instid0(VALU_DEP_1) | instskip(NEXT) | instid1(VALU_DEP_2)
	v_max_f32_e32 v2, v2, v1
	v_cmp_lt_i32_e64 s3, v0, v47
	s_waitcnt lgkmcnt(0)
	v_add_nc_u32_e32 v0, s25, v20
	s_delay_alu instid0(VALU_DEP_2)
	v_cndmask_b32_e64 v1, 0, v1, s3
	v_cndmask_b32_e64 v133, v133, v2, s3
	ds_store_b32 v0, v1
	s_branch .LBB235_11
.LBB235_530:
	s_or_b32 exec_lo, exec_lo, s23
	s_clause 0xf
	scratch_load_b32 v16, off, s32 offset:448
	scratch_load_b32 v15, off, s32 offset:452
	;; [unrolled: 1-line block ×11, first 2 shown]
	scratch_load_b64 v[11:12], off, s32 offset:492
	scratch_load_b32 v55, off, s32 offset:500
	scratch_load_b32 v17, off, s32 offset:504
	;; [unrolled: 1-line block ×4, first 2 shown]
.LBB235_531:
	s_or_b32 exec_lo, exec_lo, s22
	v_xor_b32_e32 v0, 16, v132
	s_waitcnt lgkmcnt(0)
	v_xor_b32_e32 v1, 8, v132
	s_waitcnt vmcnt(15)
	v_dual_max_f32 v4, v133, v133 :: v_dual_and_b32 v21, 31, v16
	v_xor_b32_e32 v5, 2, v132
	v_cmp_gt_i32_e32 vcc_lo, 32, v0
	s_lshr_b32 s5, s21, 16
	v_cndmask_b32_e32 v0, v132, v0, vcc_lo
	v_cmp_gt_i32_e32 vcc_lo, 32, v1
	v_cndmask_b32_e32 v1, v132, v1, vcc_lo
	s_delay_alu instid0(VALU_DEP_1) | instskip(NEXT) | instid1(VALU_DEP_4)
	v_lshlrev_b32_e32 v3, 2, v1
	v_lshlrev_b32_e32 v2, 2, v0
	ds_bpermute_b32 v0, v2, v133
	s_waitcnt lgkmcnt(0)
	v_max_f32_e32 v0, v0, v0
	s_delay_alu instid0(VALU_DEP_1) | instskip(SKIP_1) | instid1(VALU_DEP_1)
	v_max_f32_e32 v0, v4, v0
	v_xor_b32_e32 v4, 4, v132
	v_cmp_gt_i32_e32 vcc_lo, 32, v4
	v_cndmask_b32_e32 v4, v132, v4, vcc_lo
	v_cmp_gt_i32_e32 vcc_lo, 32, v5
	s_delay_alu instid0(VALU_DEP_2) | instskip(SKIP_1) | instid1(VALU_DEP_2)
	v_dual_cndmask_b32 v5, v132, v5 :: v_dual_lshlrev_b32 v4, 2, v4
	v_cmp_eq_u32_e32 vcc_lo, 0, v21
	v_lshlrev_b32_e32 v22, 2, v5
	scratch_load_b32 v5, off, s32 offset:436 ; 4-byte Folded Reload
	s_waitcnt vmcnt(0)
	v_lshlrev_b32_e32 v5, 2, v5
	ds_bpermute_b32 v1, v3, v0
	s_waitcnt lgkmcnt(0)
	v_max_f32_e32 v1, v1, v1
	s_delay_alu instid0(VALU_DEP_1) | instskip(SKIP_3) | instid1(VALU_DEP_1)
	v_max_f32_e32 v0, v0, v1
	ds_bpermute_b32 v1, v4, v0
	s_waitcnt lgkmcnt(0)
	v_max_f32_e32 v1, v1, v1
	v_max_f32_e32 v0, v0, v1
	ds_bpermute_b32 v1, v22, v0
	s_and_saveexec_b32 s2, vcc_lo
	s_cbranch_execz .LBB235_533
; %bb.532:
	s_waitcnt lgkmcnt(0)
	v_dual_max_f32 v1, v1, v1 :: v_dual_max_f32 v0, v0, v0
	s_delay_alu instid0(VALU_DEP_1)
	v_max_f32_e32 v0, v0, v1
	ds_store_b32 v5, v0 offset:512
.LBB235_533:
	s_or_b32 exec_lo, exec_lo, s2
	v_cmp_gt_u32_e64 s2, 4, v21
	v_mov_b32_e32 v0, 0xff7fffff
	v_lshlrev_b32_e32 v6, 2, v21
	s_waitcnt lgkmcnt(0)
	s_waitcnt_vscnt null, 0x0
	s_barrier
	buffer_gl0_inv
	s_and_saveexec_b32 s3, s2
	s_cbranch_execz .LBB235_535
; %bb.534:
	ds_load_b32 v0, v6 offset:512
.LBB235_535:
	s_or_b32 exec_lo, exec_lo, s3
	v_xor_b32_e32 v7, 1, v132
	s_waitcnt lgkmcnt(0)
	ds_bpermute_b32 v1, v22, v0
	v_max_f32_e32 v0, v0, v0
	v_cmp_gt_i32_e64 s3, 32, v7
	s_delay_alu instid0(VALU_DEP_1) | instskip(NEXT) | instid1(VALU_DEP_1)
	v_cndmask_b32_e64 v7, v132, v7, s3
	v_lshlrev_b32_e32 v24, 2, v7
	scratch_load_b32 v7, off, s32 offset:344 ; 4-byte Folded Reload
	s_waitcnt lgkmcnt(0)
	v_max_f32_e32 v1, v1, v1
	s_delay_alu instid0(VALU_DEP_1)
	v_max_f32_e32 v0, v0, v1
	s_waitcnt vmcnt(0)
	v_subrev_nc_u32_e32 v8, s13, v7
	v_mov_b32_e32 v7, 0
	ds_bpermute_b32 v1, v24, v0
	s_waitcnt lgkmcnt(0)
	v_max_f32_e32 v1, v1, v1
	s_delay_alu instid0(VALU_DEP_1) | instskip(SKIP_3) | instid1(VALU_DEP_1)
	v_max_f32_e32 v0, v0, v1
	v_lshl_add_u32 v1, v8, 4, s20
	ds_bpermute_b32 v0, v7, v0
	v_min_i32_e32 v1, v1, v47
	v_subrev_nc_u32_e32 v1, s20, v1
	s_delay_alu instid0(VALU_DEP_1) | instskip(NEXT) | instid1(VALU_DEP_1)
	v_cmp_lt_i32_e64 s3, v16, v1
	s_and_saveexec_b32 s8, s3
	s_cbranch_execz .LBB235_539
; %bb.536:
	s_getpc_b64 s[18:19]
	s_add_u32 s18, s18, llvm.amdgcn.dynlds.offset.table@rel32@lo+4
	s_addc_u32 s19, s19, llvm.amdgcn.dynlds.offset.table@rel32@hi+12
	s_ashr_i32 s11, s10, 31
	v_mov_b32_e32 v7, 0
	s_lshl_b64 s[20:21], s[10:11], 2
	v_mov_b32_e32 v9, v16
	s_add_u32 s18, s20, s18
	s_addc_u32 s19, s21, s19
	s_mov_b32 s9, 0
	s_load_b32 s4, s[18:19], 0x0
	s_waitcnt lgkmcnt(0)
	v_lshl_add_u32 v8, v16, 2, s4
	.p2align	6
.LBB235_537:                            ; =>This Inner Loop Header: Depth=1
	ds_load_b32 v10, v8
	v_add_nc_u32_e32 v9, 0x80, v9
	s_delay_alu instid0(VALU_DEP_1) | instskip(NEXT) | instid1(VALU_DEP_1)
	v_cmp_ge_i32_e64 s4, v9, v1
	s_or_b32 s9, s4, s9
	s_waitcnt lgkmcnt(0)
	v_sub_f32_e32 v10, v10, v0
	s_delay_alu instid0(VALU_DEP_1) | instskip(NEXT) | instid1(VALU_DEP_1)
	v_mul_f32_e32 v10, 0x3fb8aa3b, v10
	v_exp_f32_e32 v10, v10
	ds_store_b32 v8, v10
	v_dual_add_f32 v7, v7, v10 :: v_dual_add_nc_u32 v8, 0x200, v8
	s_and_not1_b32 exec_lo, exec_lo, s9
	s_cbranch_execnz .LBB235_537
; %bb.538:
	s_or_b32 exec_lo, exec_lo, s9
.LBB235_539:
	s_delay_alu instid0(SALU_CYCLE_1)
	s_or_b32 exec_lo, exec_lo, s8
	ds_bpermute_b32 v2, v2, v7
	s_waitcnt lgkmcnt(0)
	v_add_f32_e32 v2, v7, v2
	ds_bpermute_b32 v3, v3, v2
	s_waitcnt lgkmcnt(0)
	v_add_f32_e32 v2, v2, v3
	;; [unrolled: 3-line block ×5, first 2 shown]
	s_and_saveexec_b32 s4, vcc_lo
	s_cbranch_execz .LBB235_541
; %bb.540:
	ds_store_b32 v5, v2 offset:528
.LBB235_541:
	s_or_b32 exec_lo, exec_lo, s4
	s_waitcnt lgkmcnt(0)
	s_barrier
	buffer_gl0_inv
	s_and_saveexec_b32 s4, s2
	s_cbranch_execz .LBB235_543
; %bb.542:
	ds_load_b32 v2, v6 offset:528
.LBB235_543:
	s_or_b32 exec_lo, exec_lo, s4
	s_waitcnt lgkmcnt(0)
	ds_bpermute_b32 v3, v22, v2
	s_waitcnt lgkmcnt(0)
	v_add_f32_e32 v2, v2, v3
	ds_bpermute_b32 v3, v24, v2
	s_waitcnt lgkmcnt(0)
	v_dual_add_f32 v2, v2, v3 :: v_dual_mov_b32 v3, 0
	ds_bpermute_b32 v2, v3, v2
	s_and_saveexec_b32 s2, s3
	s_cbranch_execz .LBB235_546
; %bb.544:
	s_waitcnt lgkmcnt(0)
	v_add_f32_e32 v4, 0x358637bd, v2
	s_getpc_b64 s[8:9]
	s_add_u32 s8, s8, llvm.amdgcn.dynlds.offset.table@rel32@lo+4
	s_addc_u32 s9, s9, llvm.amdgcn.dynlds.offset.table@rel32@hi+12
	s_ashr_i32 s11, s10, 31
	s_delay_alu instid0(SALU_CYCLE_1) | instskip(SKIP_4) | instid1(VALU_DEP_1)
	s_lshl_b64 s[18:19], s[10:11], 2
	v_div_scale_f32 v3, null, v4, v4, 1.0
	s_add_u32 s8, s18, s8
	s_addc_u32 s9, s19, s9
	s_load_b32 s3, s[8:9], 0x0
	v_rcp_f32_e32 v5, v3
	s_waitcnt_depctr 0xfff
	v_fma_f32 v6, -v3, v5, 1.0
	s_delay_alu instid0(VALU_DEP_1) | instskip(SKIP_1) | instid1(VALU_DEP_1)
	v_fmac_f32_e32 v5, v6, v5
	v_div_scale_f32 v7, vcc_lo, 1.0, v4, 1.0
	v_mul_f32_e32 v6, v7, v5
	s_delay_alu instid0(VALU_DEP_1) | instskip(NEXT) | instid1(VALU_DEP_1)
	v_fma_f32 v8, -v3, v6, v7
	v_fmac_f32_e32 v6, v8, v5
	s_delay_alu instid0(VALU_DEP_1) | instskip(NEXT) | instid1(VALU_DEP_1)
	v_fma_f32 v3, -v3, v6, v7
	v_div_fmas_f32 v5, v3, v5, v6
	s_waitcnt lgkmcnt(0)
	v_lshl_add_u32 v3, v16, 2, s3
	s_mov_b32 s3, 0
	s_delay_alu instid0(VALU_DEP_2)
	v_div_fixup_f32 v4, v5, v4, 1.0
	v_mov_b32_e32 v5, v16
.LBB235_545:                            ; =>This Inner Loop Header: Depth=1
	ds_load_b32 v6, v3
	s_waitcnt lgkmcnt(0)
	v_dual_mul_f32 v6, v4, v6 :: v_dual_add_nc_u32 v5, 0x80, v5
	s_delay_alu instid0(VALU_DEP_1) | instskip(SKIP_3) | instid1(SALU_CYCLE_1)
	v_cmp_ge_i32_e32 vcc_lo, v5, v1
	ds_store_b32 v3, v6
	v_add_nc_u32_e32 v3, 0x200, v3
	s_or_b32 s3, vcc_lo, s3
	s_and_not1_b32 exec_lo, exec_lo, s3
	s_cbranch_execnz .LBB235_545
.LBB235_546:
	s_or_b32 exec_lo, exec_lo, s2
	v_cmp_ne_u16_e64 s2, s5, 0
	s_mov_b32 s4, exec_lo
	s_waitcnt lgkmcnt(0)
	s_barrier
	buffer_gl0_inv
	s_cmp_lg_u32 s2, 0
	s_addc_u32 s7, s7, 0
	s_delay_alu instid0(SALU_CYCLE_1) | instskip(NEXT) | instid1(SALU_CYCLE_1)
	s_mul_i32 s2, s7, s16
	s_mul_i32 s2, s2, s15
	v_cmpx_eq_u32_e32 0, v16
	s_cbranch_execz .LBB235_548
; %bb.547:
	s_mul_i32 s8, s7, s12
	s_ashr_i32 s15, s14, 31
	s_ashr_i32 s9, s8, 31
	;; [unrolled: 1-line block ×3, first 2 shown]
	s_lshl_b64 s[8:9], s[8:9], 2
	s_lshl_b64 s[12:13], s[14:15], 2
	s_lshl_b64 s[18:19], s[2:3], 2
	s_add_u32 s3, s12, s8
	s_addc_u32 s5, s13, s9
	s_add_u32 s3, s3, s18
	s_addc_u32 s5, s5, s19
	v_add_co_u32 v3, vcc_lo, s3, v32
	v_add_co_ci_u32_e32 v4, vcc_lo, s5, v27, vcc_lo
	v_add_co_u32 v5, vcc_lo, s3, v26
	v_add_co_ci_u32_e32 v6, vcc_lo, s5, v33, vcc_lo
	flat_store_b32 v[3:4], v0
	flat_store_b32 v[5:6], v2
.LBB235_548:
	s_or_b32 exec_lo, exec_lo, s4
	s_ashr_i32 s11, s10, 31
	s_getpc_b64 s[4:5]
	s_add_u32 s4, s4, llvm.amdgcn.dynlds.offset.table@rel32@lo+4
	s_addc_u32 s5, s5, llvm.amdgcn.dynlds.offset.table@rel32@hi+12
	s_lshl_b64 s[8:9], s[10:11], 2
	v_dual_mov_b32 v48, 0 :: v_dual_and_b32 v25, 3, v16
	v_dual_mov_b32 v49, 0 :: v_dual_mov_b32 v38, 0
	v_dual_mov_b32 v39, 0 :: v_dual_mov_b32 v36, 0
	;; [unrolled: 1-line block ×7, first 2 shown]
	v_mov_b32_e32 v27, 0
	s_add_u32 s4, s8, s4
	s_addc_u32 s5, s9, s5
	s_mov_b32 s8, 0
	s_and_saveexec_b32 s3, s1
	s_cbranch_execz .LBB235_1098
; %bb.549:
	v_max_i32_e32 v50, v30, v18
	v_add_co_u32 v3, vcc_lo, v53, v55
	v_dual_mov_b32 v26, 0 :: v_dual_and_b32 v5, 0x7c, v54
	s_delay_alu instid0(VALU_DEP_3) | instskip(SKIP_3) | instid1(VALU_DEP_3)
	v_cvt_f32_u32_e32 v0, v50
	v_sub_nc_u32_e32 v8, 0, v50
	v_add_co_ci_u32_e32 v4, vcc_lo, v52, v19, vcc_lo
	s_load_b32 s1, s[4:5], 0x0
	v_rcp_iflag_f32_e32 v2, v0
	v_lshlrev_b64 v[0:1], 2, v[112:113]
	v_dual_mov_b32 v27, 0 :: v_dual_lshlrev_b32 v6, 4, v25
	v_dual_mov_b32 v20, 0 :: v_dual_and_b32 v51, 12, v54
	v_dual_mov_b32 v7, 0 :: v_dual_add_nc_u32 v52, -1, v17
	v_dual_mov_b32 v28, 0 :: v_dual_mov_b32 v31, 0
	s_waitcnt_depctr 0xfff
	v_dual_mul_f32 v2, 0x4f7ffffe, v2 :: v_dual_mov_b32 v29, 0
	v_dual_mov_b32 v32, 0 :: v_dual_mov_b32 v33, 0
	v_dual_mov_b32 v34, 0 :: v_dual_mov_b32 v35, 0
	s_delay_alu instid0(VALU_DEP_3) | instskip(SKIP_2) | instid1(VALU_DEP_3)
	v_cvt_u32_f32_e32 v2, v2
	v_dual_mov_b32 v36, 0 :: v_dual_mov_b32 v37, 0
	v_dual_mov_b32 v49, 0 :: v_dual_mov_b32 v48, 0
	v_mul_lo_u32 v10, v8, v2
	v_add_co_u32 v8, vcc_lo, v3, v5
	v_add_co_ci_u32_e32 v9, vcc_lo, 0, v4, vcc_lo
	scratch_load_b32 v4, off, s32 offset:436 ; 4-byte Folded Reload
	v_add_co_u32 v0, vcc_lo, v11, v0
	v_mul_hi_u32 v3, v2, v10
	v_add_co_ci_u32_e32 v1, vcc_lo, v12, v1, vcc_lo
	s_delay_alu instid0(VALU_DEP_3) | instskip(SKIP_1) | instid1(VALU_DEP_2)
	v_add_co_u32 v10, vcc_lo, v14, v0
	s_brev_b32 s9, 1
	v_add_co_ci_u32_e32 v11, vcc_lo, v15, v1, vcc_lo
	s_delay_alu instid0(VALU_DEP_4)
	v_dual_mov_b32 v39, 0 :: v_dual_add_nc_u32 v54, v2, v3
	s_mov_b32 s11, 0x7f800001
	s_mov_b32 s12, s8
	s_waitcnt vmcnt(0)
	v_lshl_or_b32 v4, v4, 6, v6
	s_waitcnt lgkmcnt(0)
	s_delay_alu instid0(VALU_DEP_1)
	v_dual_mov_b32 v38, 0 :: v_dual_add_nc_u32 v53, s1, v4
	s_branch .LBB235_552
.LBB235_550:                            ;   in Loop: Header=BB235_552 Depth=1
	s_or_b32 exec_lo, exec_lo, s1
	v_mul_f32_e32 v14, v1, v180
	v_mul_f32_e32 v13, v1, v182
	;; [unrolled: 1-line block ×3, first 2 shown]
	s_delay_alu instid0(VALU_DEP_3) | instskip(NEXT) | instid1(VALU_DEP_3)
	v_dual_mul_f32 v15, v1, v176 :: v_dual_fmac_f32 v14, v0, v179
	v_fmac_f32_e32 v13, v0, v181
	s_delay_alu instid0(VALU_DEP_3) | instskip(NEXT) | instid1(VALU_DEP_3)
	v_fmac_f32_e32 v16, v0, v163
	v_dual_mul_f32 v30, v1, v148 :: v_dual_fmac_f32 v15, v0, v167
	s_delay_alu instid0(VALU_DEP_4) | instskip(NEXT) | instid1(VALU_DEP_4)
	v_fmac_f32_e32 v14, v2, v178
	v_fmac_f32_e32 v13, v2, v19
	s_delay_alu instid0(VALU_DEP_3) | instskip(NEXT) | instid1(VALU_DEP_3)
	v_dual_mul_f32 v17, v1, v160 :: v_dual_fmac_f32 v30, v0, v147
	v_dual_fmac_f32 v15, v2, v166 :: v_dual_fmac_f32 v14, v3, v177
	s_delay_alu instid0(VALU_DEP_2) | instskip(NEXT) | instid1(VALU_DEP_2)
	v_dual_fmac_f32 v16, v2, v162 :: v_dual_fmac_f32 v17, v0, v151
	v_fmac_f32_e32 v15, v3, v165
	v_fmac_f32_e32 v13, v3, v18
	s_delay_alu instid0(VALU_DEP_3) | instskip(SKIP_1) | instid1(VALU_DEP_4)
	v_dual_fmac_f32 v16, v3, v161 :: v_dual_fmac_f32 v17, v2, v150
	v_fmac_f32_e32 v30, v2, v146
	v_dual_add_f32 v27, v27, v14 :: v_dual_add_f32 v28, v28, v15
	s_delay_alu instid0(VALU_DEP_4) | instskip(NEXT) | instid1(VALU_DEP_4)
	v_add_f32_e32 v26, v26, v13
	v_dual_fmac_f32 v17, v3, v149 :: v_dual_mul_f32 v14, v1, v132
	s_delay_alu instid0(VALU_DEP_4) | instskip(SKIP_1) | instid1(VALU_DEP_3)
	v_dual_mul_f32 v13, v1, v144 :: v_dual_fmac_f32 v30, v3, v145
	v_add_f32_e32 v29, v29, v16
	v_dual_mul_f32 v16, v1, v116 :: v_dual_add_f32 v31, v31, v17
	s_delay_alu instid0(VALU_DEP_4) | instskip(SKIP_1) | instid1(VALU_DEP_3)
	v_dual_mul_f32 v15, v1, v128 :: v_dual_fmac_f32 v14, v0, v131
	v_mul_f32_e32 v17, v1, v103
	v_fmac_f32_e32 v16, v0, v115
	v_fmac_f32_e32 v13, v0, v135
	s_delay_alu instid0(VALU_DEP_4) | instskip(NEXT) | instid1(VALU_DEP_4)
	v_dual_fmac_f32 v15, v0, v119 :: v_dual_fmac_f32 v14, v2, v130
	v_fmac_f32_e32 v17, v0, v102
	s_delay_alu instid0(VALU_DEP_4) | instskip(NEXT) | instid1(VALU_DEP_4)
	v_fmac_f32_e32 v16, v2, v114
	v_fmac_f32_e32 v13, v2, v134
	v_add_f32_e32 v32, v32, v30
	v_fmac_f32_e32 v14, v3, v129
	v_fmac_f32_e32 v17, v2, v101
	v_dual_fmac_f32 v16, v3, v113 :: v_dual_fmac_f32 v15, v2, v118
	s_delay_alu instid0(VALU_DEP_3) | instskip(SKIP_1) | instid1(VALU_DEP_3)
	v_dual_fmac_f32 v13, v3, v133 :: v_dual_add_f32 v34, v34, v14
	v_mul_f32_e32 v14, v1, v87
	v_dual_add_f32 v36, v36, v16 :: v_dual_fmac_f32 v15, v3, v117
	v_dual_fmac_f32 v17, v3, v100 :: v_dual_mul_f32 v16, v1, v67
	s_delay_alu instid0(VALU_DEP_3) | instskip(NEXT) | instid1(VALU_DEP_3)
	v_dual_add_f32 v33, v33, v13 :: v_dual_fmac_f32 v14, v0, v86
	v_add_f32_e32 v35, v35, v15
	s_delay_alu instid0(VALU_DEP_3) | instskip(NEXT) | instid1(VALU_DEP_3)
	v_dual_mul_f32 v13, v1, v99 :: v_dual_fmac_f32 v16, v0, v66
	v_dual_mul_f32 v15, v1, v83 :: v_dual_fmac_f32 v14, v2, v85
	v_add_f32_e32 v37, v37, v17
	s_delay_alu instid0(VALU_DEP_3) | instskip(NEXT) | instid1(VALU_DEP_3)
	v_dual_fmac_f32 v16, v2, v65 :: v_dual_fmac_f32 v13, v0, v98
	v_dual_fmac_f32 v15, v0, v82 :: v_dual_fmac_f32 v14, v3, v84
	s_delay_alu instid0(VALU_DEP_2) | instskip(NEXT) | instid1(VALU_DEP_2)
	v_dual_fmac_f32 v16, v3, v64 :: v_dual_fmac_f32 v13, v2, v97
	v_fmac_f32_e32 v15, v2, v81
	s_delay_alu instid0(VALU_DEP_2) | instskip(NEXT) | instid1(VALU_DEP_3)
	v_dual_add_f32 v39, v39, v14 :: v_dual_add_f32 v48, v48, v16
	v_fmac_f32_e32 v13, v3, v96
	v_mul_f32_e32 v1, v1, v12
	s_delay_alu instid0(VALU_DEP_2) | instskip(NEXT) | instid1(VALU_DEP_2)
	v_dual_fmac_f32 v15, v3, v80 :: v_dual_add_f32 v38, v38, v13
	v_fmac_f32_e32 v1, v0, v6
	s_delay_alu instid0(VALU_DEP_2) | instskip(NEXT) | instid1(VALU_DEP_2)
	v_add_f32_e32 v49, v49, v15
	v_fmac_f32_e32 v1, v2, v5
	s_delay_alu instid0(VALU_DEP_1) | instskip(NEXT) | instid1(VALU_DEP_1)
	v_fmac_f32_e32 v1, v3, v4
	v_add_f32_e32 v20, v20, v1
.LBB235_551:                            ;   in Loop: Header=BB235_552 Depth=1
	s_or_b32 exec_lo, exec_lo, s13
	scratch_load_b32 v0, off, s32 offset:344 ; 4-byte Folded Reload
	v_add_nc_u32_e32 v112, 4, v112
	v_add_co_u32 v10, s1, v10, 16
	s_delay_alu instid0(VALU_DEP_1)
	v_add_co_ci_u32_e64 v11, s1, 0, v11, s1
	v_add_nc_u32_e32 v23, 64, v23
	v_add_nc_u32_e32 v53, 0x100, v53
	s_waitcnt vmcnt(0)
	v_cmp_ge_i32_e32 vcc_lo, v112, v0
	s_or_b32 s12, vcc_lo, s12
	s_delay_alu instid0(SALU_CYCLE_1)
	s_and_not1_b32 exec_lo, exec_lo, s12
	s_cbranch_execz .LBB235_1097
.LBB235_552:                            ; =>This Inner Loop Header: Depth=1
	s_clause 0x2
	scratch_load_b32 v1, off, s32 offset:348
	scratch_load_b32 v5, off, s32 offset:340
	;; [unrolled: 1-line block ×3, first 2 shown]
	v_sub_nc_u32_e32 v0, 0, v23
	s_delay_alu instid0(VALU_DEP_1) | instskip(SKIP_1) | instid1(VALU_DEP_1)
	v_max_i32_e32 v0, v23, v0
	s_waitcnt vmcnt(2)
	v_mul_hi_u32 v1, v0, v1
	s_waitcnt vmcnt(0)
	s_delay_alu instid0(VALU_DEP_1) | instskip(NEXT) | instid1(VALU_DEP_1)
	v_mul_lo_u32 v2, v1, v4
	v_sub_nc_u32_e32 v0, v0, v2
	v_add_nc_u32_e32 v2, 1, v1
	s_delay_alu instid0(VALU_DEP_2) | instskip(SKIP_1) | instid1(VALU_DEP_2)
	v_sub_nc_u32_e32 v3, v0, v4
	v_cmp_ge_u32_e32 vcc_lo, v0, v4
	v_dual_cndmask_b32 v1, v1, v2 :: v_dual_cndmask_b32 v0, v0, v3
	v_ashrrev_i32_e32 v2, 31, v23
	s_delay_alu instid0(VALU_DEP_2) | instskip(NEXT) | instid1(VALU_DEP_3)
	v_add_nc_u32_e32 v3, 1, v1
	v_cmp_ge_u32_e32 vcc_lo, v0, v4
	s_delay_alu instid0(VALU_DEP_3) | instskip(NEXT) | instid1(VALU_DEP_3)
	v_xor_b32_e32 v2, v2, v5
	v_cndmask_b32_e32 v0, v1, v3, vcc_lo
	s_delay_alu instid0(VALU_DEP_1) | instskip(NEXT) | instid1(VALU_DEP_1)
	v_xor_b32_e32 v0, v0, v2
	v_sub_nc_u32_e32 v0, v0, v2
	scratch_load_b64 v[1:2], off, s32 offset:332 ; 8-byte Folded Reload
	s_waitcnt vmcnt(0)
	v_add_nc_u32_e32 v1, v0, v1
	s_delay_alu instid0(VALU_DEP_1) | instskip(NEXT) | instid1(VALU_DEP_1)
	v_sub_nc_u32_e32 v2, 0, v1
	v_max_i32_e32 v2, v1, v2
	s_delay_alu instid0(VALU_DEP_1) | instskip(NEXT) | instid1(VALU_DEP_1)
	v_mul_hi_u32 v3, v2, v54
	v_mul_lo_u32 v3, v3, v50
	s_delay_alu instid0(VALU_DEP_1) | instskip(NEXT) | instid1(VALU_DEP_1)
	v_sub_nc_u32_e32 v2, v2, v3
	v_sub_nc_u32_e32 v3, v2, v50
	v_cmp_ge_u32_e32 vcc_lo, v2, v50
	s_delay_alu instid0(VALU_DEP_2) | instskip(SKIP_1) | instid1(VALU_DEP_2)
	v_cndmask_b32_e32 v2, v2, v3, vcc_lo
	v_ashrrev_i32_e32 v1, 31, v1
	v_sub_nc_u32_e32 v3, v2, v50
	v_cmp_ge_u32_e32 vcc_lo, v2, v50
	s_delay_alu instid0(VALU_DEP_2) | instskip(NEXT) | instid1(VALU_DEP_1)
	v_cndmask_b32_e32 v2, v2, v3, vcc_lo
	v_xor_b32_e32 v2, v2, v1
	s_delay_alu instid0(VALU_DEP_1) | instskip(NEXT) | instid1(VALU_DEP_1)
	v_sub_nc_u32_e32 v1, v2, v1
	v_cmp_eq_u32_e32 vcc_lo, 0, v1
	scratch_load_b32 v1, off, s32 offset:352 ; 4-byte Folded Reload
	s_waitcnt vmcnt(0)
	v_cmp_gt_i32_e64 s1, v0, v1
	s_delay_alu instid0(VALU_DEP_1) | instskip(NEXT) | instid1(SALU_CYCLE_1)
	s_or_b32 s1, vcc_lo, s1
	s_and_saveexec_b32 s13, s1
	s_cbranch_execz .LBB235_551
; %bb.553:                              ;   in Loop: Header=BB235_552 Depth=1
	flat_load_b32 v0, v[10:11]
	scratch_load_b32 v1, off, s32 offset:396 ; 4-byte Folded Reload
	v_mov_b32_e32 v14, 0
	s_mov_b32 s1, exec_lo
	s_waitcnt vmcnt(0) lgkmcnt(0)
	v_mad_i64_i32 v[12:13], null, v0, v1, v[8:9]
	flat_load_b32 v64, v[12:13]
	scratch_load_b64 v[0:1], off, s32 offset:412 ; 8-byte Folded Reload
	s_waitcnt vmcnt(1) lgkmcnt(0)
	v_dual_mov_b32 v15, 0 :: v_dual_and_b32 v6, 0xff, v64
	s_waitcnt vmcnt(0)
	flat_load_b32 v55, v[0:1]
	ds_load_b128 v[0:3], v53
	v_dual_mov_b32 v4, v14 :: v_dual_mov_b32 v5, v15
	v_cmpx_ne_u16_e32 0, v6
	s_cbranch_execz .LBB235_561
; %bb.554:                              ;   in Loop: Header=BB235_552 Depth=1
	v_bfrev_b32_e32 v4, 1
	v_mov_b32_e32 v5, 0
	s_mov_b32 s10, exec_lo
	v_cmpx_ne_u16_e32 0x80, v6
	s_cbranch_execz .LBB235_560
; %bb.555:                              ;   in Loop: Header=BB235_552 Depth=1
	v_mov_b32_e32 v4, 0x7f800001
	v_dual_mov_b32 v5, 0 :: v_dual_and_b32 v16, 0x7f, v64
	s_mov_b32 s15, exec_lo
	s_delay_alu instid0(VALU_DEP_1)
	v_cmpx_ne_u32_e32 0x7f, v16
	s_cbranch_execz .LBB235_559
; %bb.556:                              ;   in Loop: Header=BB235_552 Depth=1
	v_and_b32_e32 v6, 7, v64
	v_lshrrev_b32_e32 v4, 3, v16
	s_mov_b32 s16, exec_lo
	v_cmpx_gt_u32_e32 8, v16
; %bb.557:                              ;   in Loop: Header=BB235_552 Depth=1
	s_delay_alu instid0(VALU_DEP_3) | instskip(NEXT) | instid1(VALU_DEP_1)
	v_clz_i32_u32_e32 v4, v6
	v_min_u32_e32 v4, 32, v4
	s_delay_alu instid0(VALU_DEP_1) | instskip(SKIP_1) | instid1(VALU_DEP_2)
	v_subrev_nc_u32_e32 v5, 28, v4
	v_sub_nc_u32_e32 v4, 29, v4
	v_lshlrev_b64 v[5:6], v5, v[6:7]
	s_delay_alu instid0(VALU_DEP_1)
	v_and_b32_e32 v6, 7, v5
; %bb.558:                              ;   in Loop: Header=BB235_552 Depth=1
	s_or_b32 exec_lo, exec_lo, s16
	v_lshlrev_b32_e32 v5, 24, v64
	s_delay_alu instid0(VALU_DEP_2) | instskip(SKIP_1) | instid1(VALU_DEP_3)
	v_lshlrev_b32_e32 v6, 20, v6
	v_lshl_add_u32 v4, v4, 23, 0x3c000000
	v_and_b32_e32 v5, 0x80000000, v5
	s_delay_alu instid0(VALU_DEP_1) | instskip(NEXT) | instid1(VALU_DEP_1)
	v_or3_b32 v6, v6, v5, v4
	v_dual_mov_b32 v4, v6 :: v_dual_mov_b32 v5, v7
.LBB235_559:                            ;   in Loop: Header=BB235_552 Depth=1
	s_or_b32 exec_lo, exec_lo, s15
.LBB235_560:                            ;   in Loop: Header=BB235_552 Depth=1
	s_delay_alu instid0(SALU_CYCLE_1)
	s_or_b32 exec_lo, exec_lo, s10
.LBB235_561:                            ;   in Loop: Header=BB235_552 Depth=1
	s_delay_alu instid0(SALU_CYCLE_1) | instskip(SKIP_2) | instid1(VALU_DEP_1)
	s_or_b32 exec_lo, exec_lo, s1
	v_lshrrev_b16 v6, 8, v64
	s_mov_b32 s1, exec_lo
	v_cmpx_ne_u16_e32 0, v6
	s_cbranch_execz .LBB235_569
; %bb.562:                              ;   in Loop: Header=BB235_552 Depth=1
	v_dual_mov_b32 v15, s9 :: v_dual_mov_b32 v14, s8
	s_mov_b32 s15, exec_lo
	v_cmpx_ne_u16_e32 0x80, v6
	s_cbranch_execz .LBB235_568
; %bb.563:                              ;   in Loop: Header=BB235_552 Depth=1
	s_mov_b32 s10, s8
	v_dual_mov_b32 v15, s11 :: v_dual_and_b32 v6, 0xffff, v6
	v_mov_b32_e32 v14, s10
	s_mov_b32 s10, exec_lo
	s_delay_alu instid0(VALU_DEP_2) | instskip(NEXT) | instid1(VALU_DEP_1)
	v_and_b32_e32 v16, 0x7f, v6
	v_cmpx_ne_u32_e32 0x7f, v16
	s_cbranch_execz .LBB235_567
; %bb.564:                              ;   in Loop: Header=BB235_552 Depth=1
	v_and_b32_e32 v6, 7, v6
	v_lshrrev_b32_e32 v14, 3, v16
	s_mov_b32 s16, exec_lo
	v_cmpx_gt_u32_e32 8, v16
; %bb.565:                              ;   in Loop: Header=BB235_552 Depth=1
	s_delay_alu instid0(VALU_DEP_3) | instskip(NEXT) | instid1(VALU_DEP_1)
	v_clz_i32_u32_e32 v14, v6
	v_min_u32_e32 v14, 32, v14
	s_delay_alu instid0(VALU_DEP_1) | instskip(SKIP_1) | instid1(VALU_DEP_2)
	v_subrev_nc_u32_e32 v15, 28, v14
	v_sub_nc_u32_e32 v14, 29, v14
	v_lshlrev_b64 v[15:16], v15, v[6:7]
	s_delay_alu instid0(VALU_DEP_1)
	v_and_b32_e32 v6, 7, v15
; %bb.566:                              ;   in Loop: Header=BB235_552 Depth=1
	s_or_b32 exec_lo, exec_lo, s16
	v_lshlrev_b32_e32 v15, 16, v64
	s_delay_alu instid0(VALU_DEP_2) | instskip(SKIP_1) | instid1(VALU_DEP_3)
	v_lshlrev_b32_e32 v6, 20, v6
	v_lshl_add_u32 v14, v14, 23, 0x3c000000
	v_and_b32_e32 v15, 0x80000000, v15
	s_delay_alu instid0(VALU_DEP_1)
	v_or3_b32 v15, v6, v15, v14
	v_mov_b32_e32 v14, v7
.LBB235_567:                            ;   in Loop: Header=BB235_552 Depth=1
	s_or_b32 exec_lo, exec_lo, s10
.LBB235_568:                            ;   in Loop: Header=BB235_552 Depth=1
	s_delay_alu instid0(SALU_CYCLE_1)
	s_or_b32 exec_lo, exec_lo, s15
.LBB235_569:                            ;   in Loop: Header=BB235_552 Depth=1
	s_delay_alu instid0(SALU_CYCLE_1) | instskip(SKIP_4) | instid1(VALU_DEP_2)
	s_or_b32 exec_lo, exec_lo, s1
	v_mov_b32_e32 v18, 0
	v_lshrrev_b32_e32 v65, 16, v64
	v_mov_b32_e32 v19, 0
	s_mov_b32 s1, exec_lo
	v_and_b32_e32 v6, 0xff, v65
	s_delay_alu instid0(VALU_DEP_2) | instskip(NEXT) | instid1(VALU_DEP_2)
	v_dual_mov_b32 v16, v18 :: v_dual_mov_b32 v17, v19
	v_cmpx_ne_u16_e32 0, v6
	s_cbranch_execz .LBB235_577
; %bb.570:                              ;   in Loop: Header=BB235_552 Depth=1
	v_bfrev_b32_e32 v16, 1
	v_mov_b32_e32 v17, 0
	s_mov_b32 s10, exec_lo
	v_cmpx_ne_u16_e32 0x80, v6
	s_cbranch_execz .LBB235_576
; %bb.571:                              ;   in Loop: Header=BB235_552 Depth=1
	v_mov_b32_e32 v16, 0x7f800001
	v_bfe_u32 v30, v64, 16, 7
	v_mov_b32_e32 v17, 0
	s_mov_b32 s15, exec_lo
	s_delay_alu instid0(VALU_DEP_2)
	v_cmpx_ne_u32_e32 0x7f, v30
	s_cbranch_execz .LBB235_575
; %bb.572:                              ;   in Loop: Header=BB235_552 Depth=1
	v_and_b32_e32 v6, 7, v65
	v_lshrrev_b32_e32 v16, 3, v30
	s_mov_b32 s16, exec_lo
	v_cmpx_gt_u32_e32 8, v30
; %bb.573:                              ;   in Loop: Header=BB235_552 Depth=1
	s_delay_alu instid0(VALU_DEP_3) | instskip(NEXT) | instid1(VALU_DEP_1)
	v_clz_i32_u32_e32 v16, v6
	v_min_u32_e32 v16, 32, v16
	s_delay_alu instid0(VALU_DEP_1) | instskip(SKIP_1) | instid1(VALU_DEP_2)
	v_subrev_nc_u32_e32 v17, 28, v16
	v_sub_nc_u32_e32 v16, 29, v16
	v_lshlrev_b64 v[66:67], v17, v[6:7]
	s_delay_alu instid0(VALU_DEP_1)
	v_and_b32_e32 v6, 7, v66
; %bb.574:                              ;   in Loop: Header=BB235_552 Depth=1
	s_or_b32 exec_lo, exec_lo, s16
	v_lshlrev_b32_e32 v17, 24, v65
	s_delay_alu instid0(VALU_DEP_2) | instskip(SKIP_1) | instid1(VALU_DEP_3)
	v_lshlrev_b32_e32 v6, 20, v6
	v_lshl_add_u32 v16, v16, 23, 0x3c000000
	v_and_b32_e32 v17, 0x80000000, v17
	s_delay_alu instid0(VALU_DEP_1) | instskip(NEXT) | instid1(VALU_DEP_1)
	v_or3_b32 v6, v6, v17, v16
	v_dual_mov_b32 v17, v7 :: v_dual_mov_b32 v16, v6
.LBB235_575:                            ;   in Loop: Header=BB235_552 Depth=1
	s_or_b32 exec_lo, exec_lo, s15
.LBB235_576:                            ;   in Loop: Header=BB235_552 Depth=1
	s_delay_alu instid0(SALU_CYCLE_1)
	s_or_b32 exec_lo, exec_lo, s10
.LBB235_577:                            ;   in Loop: Header=BB235_552 Depth=1
	s_delay_alu instid0(SALU_CYCLE_1) | instskip(NEXT) | instid1(SALU_CYCLE_1)
	s_or_b32 exec_lo, exec_lo, s1
	s_mov_b32 s1, exec_lo
	v_cmpx_lt_u32_e32 0xffffff, v64
	s_cbranch_execz .LBB235_585
; %bb.578:                              ;   in Loop: Header=BB235_552 Depth=1
	v_lshrrev_b32_e32 v65, 24, v64
	v_dual_mov_b32 v19, s9 :: v_dual_mov_b32 v18, s8
	s_mov_b32 s15, exec_lo
	s_delay_alu instid0(VALU_DEP_2)
	v_cmpx_ne_u32_e32 0x80, v65
	s_cbranch_execz .LBB235_584
; %bb.579:                              ;   in Loop: Header=BB235_552 Depth=1
	s_mov_b32 s10, s8
	v_bfe_u32 v30, v64, 24, 7
	v_dual_mov_b32 v19, s11 :: v_dual_mov_b32 v18, s10
	s_mov_b32 s10, exec_lo
	s_delay_alu instid0(VALU_DEP_2)
	v_cmpx_ne_u32_e32 0x7f, v30
	s_cbranch_execz .LBB235_583
; %bb.580:                              ;   in Loop: Header=BB235_552 Depth=1
	v_and_b32_e32 v6, 7, v65
	v_lshrrev_b32_e32 v18, 3, v30
	s_mov_b32 s16, exec_lo
	v_cmpx_gt_u32_e32 8, v30
; %bb.581:                              ;   in Loop: Header=BB235_552 Depth=1
	s_delay_alu instid0(VALU_DEP_3) | instskip(NEXT) | instid1(VALU_DEP_1)
	v_clz_i32_u32_e32 v18, v6
	v_min_u32_e32 v18, 32, v18
	s_delay_alu instid0(VALU_DEP_1) | instskip(SKIP_1) | instid1(VALU_DEP_2)
	v_subrev_nc_u32_e32 v19, 28, v18
	v_sub_nc_u32_e32 v18, 29, v18
	v_lshlrev_b64 v[66:67], v19, v[6:7]
	s_delay_alu instid0(VALU_DEP_1)
	v_and_b32_e32 v6, 7, v66
; %bb.582:                              ;   in Loop: Header=BB235_552 Depth=1
	s_or_b32 exec_lo, exec_lo, s16
	v_lshlrev_b32_e32 v19, 24, v65
	s_delay_alu instid0(VALU_DEP_2) | instskip(SKIP_1) | instid1(VALU_DEP_3)
	v_lshlrev_b32_e32 v6, 20, v6
	v_lshl_add_u32 v18, v18, 23, 0x3c000000
	v_and_b32_e32 v19, 0x80000000, v19
	s_delay_alu instid0(VALU_DEP_1)
	v_or3_b32 v19, v6, v19, v18
	v_mov_b32_e32 v18, v7
.LBB235_583:                            ;   in Loop: Header=BB235_552 Depth=1
	s_or_b32 exec_lo, exec_lo, s10
.LBB235_584:                            ;   in Loop: Header=BB235_552 Depth=1
	s_delay_alu instid0(SALU_CYCLE_1)
	s_or_b32 exec_lo, exec_lo, s15
.LBB235_585:                            ;   in Loop: Header=BB235_552 Depth=1
	s_delay_alu instid0(SALU_CYCLE_1)
	s_or_b32 exec_lo, exec_lo, s1
	v_add_nc_u32_e32 v68, v51, v23
	v_or_b32_e32 v5, v15, v5
	v_or_b32_e32 v4, v14, v4
	;; [unrolled: 1-line block ×4, first 2 shown]
	v_cmp_eq_u32_e32 vcc_lo, v52, v112
	s_waitcnt vmcnt(0) lgkmcnt(1)
	v_dual_mul_f32 v67, v55, v5 :: v_dual_add_nc_u32 v70, 2, v68
	v_mul_f32_e32 v66, v55, v4
	v_dual_mul_f32 v64, v55, v6 :: v_dual_add_nc_u32 v71, 1, v68
	v_mul_f32_e32 v65, v55, v14
	v_add_nc_u32_e32 v69, 3, v68
	s_and_saveexec_b32 s10, vcc_lo
; %bb.586:                              ;   in Loop: Header=BB235_552 Depth=1
	v_cmp_lt_i32_e64 s1, v68, v47
	s_delay_alu instid0(VALU_DEP_1) | instskip(SKIP_1) | instid1(VALU_DEP_1)
	v_cndmask_b32_e64 v66, 0, v66, s1
	v_cmp_lt_i32_e64 s1, v71, v47
	v_cndmask_b32_e64 v67, 0, v67, s1
	v_cmp_lt_i32_e64 s1, v70, v47
	s_delay_alu instid0(VALU_DEP_1) | instskip(SKIP_1) | instid1(VALU_DEP_1)
	v_cndmask_b32_e64 v65, 0, v65, s1
	v_cmp_lt_i32_e64 s1, v69, v47
	v_cndmask_b32_e64 v64, 0, v64, s1
; %bb.587:                              ;   in Loop: Header=BB235_552 Depth=1
	s_or_b32 exec_lo, exec_lo, s10
	flat_load_b32 v80, v[12:13] offset:128
	v_mov_b32_e32 v14, 0
	v_mov_b32_e32 v15, 0
	s_mov_b32 s10, exec_lo
	s_waitcnt vmcnt(0) lgkmcnt(0)
	v_and_b32_e32 v6, 0xff, v80
	s_delay_alu instid0(VALU_DEP_2) | instskip(NEXT) | instid1(VALU_DEP_2)
	v_dual_mov_b32 v4, v14 :: v_dual_mov_b32 v5, v15
	v_cmpx_ne_u16_e32 0, v6
	s_cbranch_execz .LBB235_595
; %bb.588:                              ;   in Loop: Header=BB235_552 Depth=1
	v_bfrev_b32_e32 v4, 1
	v_mov_b32_e32 v5, 0
	s_mov_b32 s15, exec_lo
	v_cmpx_ne_u16_e32 0x80, v6
	s_cbranch_execz .LBB235_594
; %bb.589:                              ;   in Loop: Header=BB235_552 Depth=1
	v_mov_b32_e32 v4, 0x7f800001
	v_dual_mov_b32 v5, 0 :: v_dual_and_b32 v16, 0x7f, v80
	s_mov_b32 s16, exec_lo
	s_delay_alu instid0(VALU_DEP_1)
	v_cmpx_ne_u32_e32 0x7f, v16
	s_cbranch_execz .LBB235_593
; %bb.590:                              ;   in Loop: Header=BB235_552 Depth=1
	v_and_b32_e32 v6, 7, v80
	v_lshrrev_b32_e32 v4, 3, v16
	s_mov_b32 s18, exec_lo
	v_cmpx_gt_u32_e32 8, v16
; %bb.591:                              ;   in Loop: Header=BB235_552 Depth=1
	s_delay_alu instid0(VALU_DEP_3) | instskip(NEXT) | instid1(VALU_DEP_1)
	v_clz_i32_u32_e32 v4, v6
	v_min_u32_e32 v4, 32, v4
	s_delay_alu instid0(VALU_DEP_1) | instskip(SKIP_1) | instid1(VALU_DEP_2)
	v_subrev_nc_u32_e32 v5, 28, v4
	v_sub_nc_u32_e32 v4, 29, v4
	v_lshlrev_b64 v[5:6], v5, v[6:7]
	s_delay_alu instid0(VALU_DEP_1)
	v_and_b32_e32 v6, 7, v5
; %bb.592:                              ;   in Loop: Header=BB235_552 Depth=1
	s_or_b32 exec_lo, exec_lo, s18
	v_lshlrev_b32_e32 v5, 24, v80
	s_delay_alu instid0(VALU_DEP_2) | instskip(SKIP_1) | instid1(VALU_DEP_3)
	v_lshlrev_b32_e32 v6, 20, v6
	v_lshl_add_u32 v4, v4, 23, 0x3c000000
	v_and_b32_e32 v5, 0x80000000, v5
	s_delay_alu instid0(VALU_DEP_1) | instskip(NEXT) | instid1(VALU_DEP_1)
	v_or3_b32 v6, v6, v5, v4
	v_dual_mov_b32 v4, v6 :: v_dual_mov_b32 v5, v7
.LBB235_593:                            ;   in Loop: Header=BB235_552 Depth=1
	s_or_b32 exec_lo, exec_lo, s16
.LBB235_594:                            ;   in Loop: Header=BB235_552 Depth=1
	s_delay_alu instid0(SALU_CYCLE_1)
	s_or_b32 exec_lo, exec_lo, s15
.LBB235_595:                            ;   in Loop: Header=BB235_552 Depth=1
	s_delay_alu instid0(SALU_CYCLE_1) | instskip(SKIP_2) | instid1(VALU_DEP_1)
	s_or_b32 exec_lo, exec_lo, s10
	v_lshrrev_b16 v6, 8, v80
	s_mov_b32 s15, exec_lo
	v_cmpx_ne_u16_e32 0, v6
	s_cbranch_execz .LBB235_603
; %bb.596:                              ;   in Loop: Header=BB235_552 Depth=1
	v_dual_mov_b32 v15, s9 :: v_dual_mov_b32 v14, s8
	s_mov_b32 s16, exec_lo
	v_cmpx_ne_u16_e32 0x80, v6
	s_cbranch_execz .LBB235_602
; %bb.597:                              ;   in Loop: Header=BB235_552 Depth=1
	s_mov_b32 s10, s8
	v_dual_mov_b32 v15, s11 :: v_dual_and_b32 v6, 0xffff, v6
	v_mov_b32_e32 v14, s10
	s_mov_b32 s10, exec_lo
	s_delay_alu instid0(VALU_DEP_2) | instskip(NEXT) | instid1(VALU_DEP_1)
	v_and_b32_e32 v16, 0x7f, v6
	v_cmpx_ne_u32_e32 0x7f, v16
	s_cbranch_execz .LBB235_601
; %bb.598:                              ;   in Loop: Header=BB235_552 Depth=1
	v_and_b32_e32 v6, 7, v6
	v_lshrrev_b32_e32 v14, 3, v16
	s_mov_b32 s18, exec_lo
	v_cmpx_gt_u32_e32 8, v16
; %bb.599:                              ;   in Loop: Header=BB235_552 Depth=1
	s_delay_alu instid0(VALU_DEP_3) | instskip(NEXT) | instid1(VALU_DEP_1)
	v_clz_i32_u32_e32 v14, v6
	v_min_u32_e32 v14, 32, v14
	s_delay_alu instid0(VALU_DEP_1) | instskip(SKIP_1) | instid1(VALU_DEP_2)
	v_subrev_nc_u32_e32 v15, 28, v14
	v_sub_nc_u32_e32 v14, 29, v14
	v_lshlrev_b64 v[15:16], v15, v[6:7]
	s_delay_alu instid0(VALU_DEP_1)
	v_and_b32_e32 v6, 7, v15
; %bb.600:                              ;   in Loop: Header=BB235_552 Depth=1
	s_or_b32 exec_lo, exec_lo, s18
	v_lshlrev_b32_e32 v15, 16, v80
	s_delay_alu instid0(VALU_DEP_2) | instskip(SKIP_1) | instid1(VALU_DEP_3)
	v_lshlrev_b32_e32 v6, 20, v6
	v_lshl_add_u32 v14, v14, 23, 0x3c000000
	v_and_b32_e32 v15, 0x80000000, v15
	s_delay_alu instid0(VALU_DEP_1)
	v_or3_b32 v15, v6, v15, v14
	v_mov_b32_e32 v14, v7
.LBB235_601:                            ;   in Loop: Header=BB235_552 Depth=1
	s_or_b32 exec_lo, exec_lo, s10
.LBB235_602:                            ;   in Loop: Header=BB235_552 Depth=1
	s_delay_alu instid0(SALU_CYCLE_1)
	s_or_b32 exec_lo, exec_lo, s16
.LBB235_603:                            ;   in Loop: Header=BB235_552 Depth=1
	s_delay_alu instid0(SALU_CYCLE_1) | instskip(SKIP_4) | instid1(VALU_DEP_2)
	s_or_b32 exec_lo, exec_lo, s15
	v_mov_b32_e32 v18, 0
	v_lshrrev_b32_e32 v81, 16, v80
	v_mov_b32_e32 v19, 0
	s_mov_b32 s10, exec_lo
	v_and_b32_e32 v6, 0xff, v81
	s_delay_alu instid0(VALU_DEP_2) | instskip(NEXT) | instid1(VALU_DEP_2)
	v_dual_mov_b32 v16, v18 :: v_dual_mov_b32 v17, v19
	v_cmpx_ne_u16_e32 0, v6
	s_cbranch_execz .LBB235_611
; %bb.604:                              ;   in Loop: Header=BB235_552 Depth=1
	v_bfrev_b32_e32 v16, 1
	v_mov_b32_e32 v17, 0
	s_mov_b32 s15, exec_lo
	v_cmpx_ne_u16_e32 0x80, v6
	s_cbranch_execz .LBB235_610
; %bb.605:                              ;   in Loop: Header=BB235_552 Depth=1
	v_mov_b32_e32 v16, 0x7f800001
	v_bfe_u32 v30, v80, 16, 7
	v_mov_b32_e32 v17, 0
	s_mov_b32 s16, exec_lo
	s_delay_alu instid0(VALU_DEP_2)
	v_cmpx_ne_u32_e32 0x7f, v30
	s_cbranch_execz .LBB235_609
; %bb.606:                              ;   in Loop: Header=BB235_552 Depth=1
	v_and_b32_e32 v6, 7, v81
	v_lshrrev_b32_e32 v16, 3, v30
	s_mov_b32 s18, exec_lo
	v_cmpx_gt_u32_e32 8, v30
; %bb.607:                              ;   in Loop: Header=BB235_552 Depth=1
	s_delay_alu instid0(VALU_DEP_3) | instskip(NEXT) | instid1(VALU_DEP_1)
	v_clz_i32_u32_e32 v16, v6
	v_min_u32_e32 v16, 32, v16
	s_delay_alu instid0(VALU_DEP_1) | instskip(SKIP_1) | instid1(VALU_DEP_2)
	v_subrev_nc_u32_e32 v17, 28, v16
	v_sub_nc_u32_e32 v16, 29, v16
	v_lshlrev_b64 v[82:83], v17, v[6:7]
	s_delay_alu instid0(VALU_DEP_1)
	v_and_b32_e32 v6, 7, v82
; %bb.608:                              ;   in Loop: Header=BB235_552 Depth=1
	s_or_b32 exec_lo, exec_lo, s18
	v_lshlrev_b32_e32 v17, 24, v81
	s_delay_alu instid0(VALU_DEP_2) | instskip(SKIP_1) | instid1(VALU_DEP_3)
	v_lshlrev_b32_e32 v6, 20, v6
	v_lshl_add_u32 v16, v16, 23, 0x3c000000
	v_and_b32_e32 v17, 0x80000000, v17
	s_delay_alu instid0(VALU_DEP_1) | instskip(NEXT) | instid1(VALU_DEP_1)
	v_or3_b32 v6, v6, v17, v16
	v_dual_mov_b32 v17, v7 :: v_dual_mov_b32 v16, v6
.LBB235_609:                            ;   in Loop: Header=BB235_552 Depth=1
	s_or_b32 exec_lo, exec_lo, s16
.LBB235_610:                            ;   in Loop: Header=BB235_552 Depth=1
	s_delay_alu instid0(SALU_CYCLE_1)
	s_or_b32 exec_lo, exec_lo, s15
.LBB235_611:                            ;   in Loop: Header=BB235_552 Depth=1
	s_delay_alu instid0(SALU_CYCLE_1) | instskip(NEXT) | instid1(SALU_CYCLE_1)
	s_or_b32 exec_lo, exec_lo, s10
	s_mov_b32 s15, exec_lo
	v_cmpx_lt_u32_e32 0xffffff, v80
	s_cbranch_execz .LBB235_619
; %bb.612:                              ;   in Loop: Header=BB235_552 Depth=1
	v_lshrrev_b32_e32 v81, 24, v80
	v_dual_mov_b32 v19, s9 :: v_dual_mov_b32 v18, s8
	s_mov_b32 s16, exec_lo
	s_delay_alu instid0(VALU_DEP_2)
	v_cmpx_ne_u32_e32 0x80, v81
	s_cbranch_execz .LBB235_618
; %bb.613:                              ;   in Loop: Header=BB235_552 Depth=1
	s_mov_b32 s10, s8
	v_bfe_u32 v30, v80, 24, 7
	v_dual_mov_b32 v19, s11 :: v_dual_mov_b32 v18, s10
	s_mov_b32 s10, exec_lo
	s_delay_alu instid0(VALU_DEP_2)
	v_cmpx_ne_u32_e32 0x7f, v30
	s_cbranch_execz .LBB235_617
; %bb.614:                              ;   in Loop: Header=BB235_552 Depth=1
	v_and_b32_e32 v6, 7, v81
	v_lshrrev_b32_e32 v18, 3, v30
	s_mov_b32 s18, exec_lo
	v_cmpx_gt_u32_e32 8, v30
; %bb.615:                              ;   in Loop: Header=BB235_552 Depth=1
	s_delay_alu instid0(VALU_DEP_3) | instskip(NEXT) | instid1(VALU_DEP_1)
	v_clz_i32_u32_e32 v18, v6
	v_min_u32_e32 v18, 32, v18
	s_delay_alu instid0(VALU_DEP_1) | instskip(SKIP_1) | instid1(VALU_DEP_2)
	v_subrev_nc_u32_e32 v19, 28, v18
	v_sub_nc_u32_e32 v18, 29, v18
	v_lshlrev_b64 v[82:83], v19, v[6:7]
	s_delay_alu instid0(VALU_DEP_1)
	v_and_b32_e32 v6, 7, v82
; %bb.616:                              ;   in Loop: Header=BB235_552 Depth=1
	s_or_b32 exec_lo, exec_lo, s18
	v_lshlrev_b32_e32 v19, 24, v81
	s_delay_alu instid0(VALU_DEP_2) | instskip(SKIP_1) | instid1(VALU_DEP_3)
	v_lshlrev_b32_e32 v6, 20, v6
	v_lshl_add_u32 v18, v18, 23, 0x3c000000
	v_and_b32_e32 v19, 0x80000000, v19
	s_delay_alu instid0(VALU_DEP_1)
	v_or3_b32 v19, v6, v19, v18
	v_mov_b32_e32 v18, v7
.LBB235_617:                            ;   in Loop: Header=BB235_552 Depth=1
	s_or_b32 exec_lo, exec_lo, s10
.LBB235_618:                            ;   in Loop: Header=BB235_552 Depth=1
	s_delay_alu instid0(SALU_CYCLE_1)
	s_or_b32 exec_lo, exec_lo, s16
.LBB235_619:                            ;   in Loop: Header=BB235_552 Depth=1
	s_delay_alu instid0(SALU_CYCLE_1) | instskip(SKIP_4) | instid1(VALU_DEP_4)
	s_or_b32 exec_lo, exec_lo, s15
	v_or_b32_e32 v5, v15, v5
	v_or_b32_e32 v4, v14, v4
	;; [unrolled: 1-line block ×4, first 2 shown]
	v_mul_f32_e32 v83, v55, v5
	s_delay_alu instid0(VALU_DEP_4) | instskip(NEXT) | instid1(VALU_DEP_4)
	v_mul_f32_e32 v82, v55, v4
	v_mul_f32_e32 v80, v55, v6
	s_delay_alu instid0(VALU_DEP_4)
	v_mul_f32_e32 v81, v55, v14
	s_and_saveexec_b32 s10, vcc_lo
; %bb.620:                              ;   in Loop: Header=BB235_552 Depth=1
	v_cmp_lt_i32_e64 s1, v68, v47
	s_delay_alu instid0(VALU_DEP_1) | instskip(SKIP_1) | instid1(VALU_DEP_1)
	v_cndmask_b32_e64 v82, 0, v82, s1
	v_cmp_lt_i32_e64 s1, v71, v47
	v_cndmask_b32_e64 v83, 0, v83, s1
	v_cmp_lt_i32_e64 s1, v70, v47
	s_delay_alu instid0(VALU_DEP_1) | instskip(SKIP_1) | instid1(VALU_DEP_1)
	v_cndmask_b32_e64 v81, 0, v81, s1
	v_cmp_lt_i32_e64 s1, v69, v47
	v_cndmask_b32_e64 v80, 0, v80, s1
; %bb.621:                              ;   in Loop: Header=BB235_552 Depth=1
	s_or_b32 exec_lo, exec_lo, s10
	flat_load_b32 v84, v[12:13] offset:256
	v_mov_b32_e32 v14, 0
	v_mov_b32_e32 v15, 0
	s_mov_b32 s10, exec_lo
	s_waitcnt vmcnt(0) lgkmcnt(0)
	v_and_b32_e32 v6, 0xff, v84
	s_delay_alu instid0(VALU_DEP_2) | instskip(NEXT) | instid1(VALU_DEP_2)
	v_dual_mov_b32 v4, v14 :: v_dual_mov_b32 v5, v15
	v_cmpx_ne_u16_e32 0, v6
	s_cbranch_execz .LBB235_629
; %bb.622:                              ;   in Loop: Header=BB235_552 Depth=1
	v_bfrev_b32_e32 v4, 1
	v_mov_b32_e32 v5, 0
	s_mov_b32 s15, exec_lo
	v_cmpx_ne_u16_e32 0x80, v6
	s_cbranch_execz .LBB235_628
; %bb.623:                              ;   in Loop: Header=BB235_552 Depth=1
	v_mov_b32_e32 v4, 0x7f800001
	v_dual_mov_b32 v5, 0 :: v_dual_and_b32 v16, 0x7f, v84
	s_mov_b32 s16, exec_lo
	s_delay_alu instid0(VALU_DEP_1)
	v_cmpx_ne_u32_e32 0x7f, v16
	s_cbranch_execz .LBB235_627
; %bb.624:                              ;   in Loop: Header=BB235_552 Depth=1
	v_and_b32_e32 v6, 7, v84
	v_lshrrev_b32_e32 v4, 3, v16
	s_mov_b32 s18, exec_lo
	v_cmpx_gt_u32_e32 8, v16
; %bb.625:                              ;   in Loop: Header=BB235_552 Depth=1
	s_delay_alu instid0(VALU_DEP_3) | instskip(NEXT) | instid1(VALU_DEP_1)
	v_clz_i32_u32_e32 v4, v6
	v_min_u32_e32 v4, 32, v4
	s_delay_alu instid0(VALU_DEP_1) | instskip(SKIP_1) | instid1(VALU_DEP_2)
	v_subrev_nc_u32_e32 v5, 28, v4
	v_sub_nc_u32_e32 v4, 29, v4
	v_lshlrev_b64 v[5:6], v5, v[6:7]
	s_delay_alu instid0(VALU_DEP_1)
	v_and_b32_e32 v6, 7, v5
; %bb.626:                              ;   in Loop: Header=BB235_552 Depth=1
	s_or_b32 exec_lo, exec_lo, s18
	v_lshlrev_b32_e32 v5, 24, v84
	s_delay_alu instid0(VALU_DEP_2) | instskip(SKIP_1) | instid1(VALU_DEP_3)
	v_lshlrev_b32_e32 v6, 20, v6
	v_lshl_add_u32 v4, v4, 23, 0x3c000000
	v_and_b32_e32 v5, 0x80000000, v5
	s_delay_alu instid0(VALU_DEP_1) | instskip(NEXT) | instid1(VALU_DEP_1)
	v_or3_b32 v6, v6, v5, v4
	v_dual_mov_b32 v4, v6 :: v_dual_mov_b32 v5, v7
.LBB235_627:                            ;   in Loop: Header=BB235_552 Depth=1
	s_or_b32 exec_lo, exec_lo, s16
.LBB235_628:                            ;   in Loop: Header=BB235_552 Depth=1
	s_delay_alu instid0(SALU_CYCLE_1)
	s_or_b32 exec_lo, exec_lo, s15
.LBB235_629:                            ;   in Loop: Header=BB235_552 Depth=1
	s_delay_alu instid0(SALU_CYCLE_1) | instskip(SKIP_2) | instid1(VALU_DEP_1)
	s_or_b32 exec_lo, exec_lo, s10
	v_lshrrev_b16 v6, 8, v84
	s_mov_b32 s15, exec_lo
	v_cmpx_ne_u16_e32 0, v6
	s_cbranch_execz .LBB235_637
; %bb.630:                              ;   in Loop: Header=BB235_552 Depth=1
	v_dual_mov_b32 v15, s9 :: v_dual_mov_b32 v14, s8
	s_mov_b32 s16, exec_lo
	v_cmpx_ne_u16_e32 0x80, v6
	s_cbranch_execz .LBB235_636
; %bb.631:                              ;   in Loop: Header=BB235_552 Depth=1
	s_mov_b32 s10, s8
	v_dual_mov_b32 v15, s11 :: v_dual_and_b32 v6, 0xffff, v6
	v_mov_b32_e32 v14, s10
	s_mov_b32 s10, exec_lo
	s_delay_alu instid0(VALU_DEP_2) | instskip(NEXT) | instid1(VALU_DEP_1)
	v_and_b32_e32 v16, 0x7f, v6
	v_cmpx_ne_u32_e32 0x7f, v16
	s_cbranch_execz .LBB235_635
; %bb.632:                              ;   in Loop: Header=BB235_552 Depth=1
	v_and_b32_e32 v6, 7, v6
	v_lshrrev_b32_e32 v14, 3, v16
	s_mov_b32 s18, exec_lo
	v_cmpx_gt_u32_e32 8, v16
; %bb.633:                              ;   in Loop: Header=BB235_552 Depth=1
	s_delay_alu instid0(VALU_DEP_3) | instskip(NEXT) | instid1(VALU_DEP_1)
	v_clz_i32_u32_e32 v14, v6
	v_min_u32_e32 v14, 32, v14
	s_delay_alu instid0(VALU_DEP_1) | instskip(SKIP_1) | instid1(VALU_DEP_2)
	v_subrev_nc_u32_e32 v15, 28, v14
	v_sub_nc_u32_e32 v14, 29, v14
	v_lshlrev_b64 v[15:16], v15, v[6:7]
	s_delay_alu instid0(VALU_DEP_1)
	v_and_b32_e32 v6, 7, v15
; %bb.634:                              ;   in Loop: Header=BB235_552 Depth=1
	s_or_b32 exec_lo, exec_lo, s18
	v_lshlrev_b32_e32 v15, 16, v84
	s_delay_alu instid0(VALU_DEP_2) | instskip(SKIP_1) | instid1(VALU_DEP_3)
	v_lshlrev_b32_e32 v6, 20, v6
	v_lshl_add_u32 v14, v14, 23, 0x3c000000
	v_and_b32_e32 v15, 0x80000000, v15
	s_delay_alu instid0(VALU_DEP_1)
	v_or3_b32 v15, v6, v15, v14
	v_mov_b32_e32 v14, v7
.LBB235_635:                            ;   in Loop: Header=BB235_552 Depth=1
	s_or_b32 exec_lo, exec_lo, s10
.LBB235_636:                            ;   in Loop: Header=BB235_552 Depth=1
	s_delay_alu instid0(SALU_CYCLE_1)
	s_or_b32 exec_lo, exec_lo, s16
.LBB235_637:                            ;   in Loop: Header=BB235_552 Depth=1
	s_delay_alu instid0(SALU_CYCLE_1) | instskip(SKIP_4) | instid1(VALU_DEP_2)
	s_or_b32 exec_lo, exec_lo, s15
	v_mov_b32_e32 v18, 0
	v_lshrrev_b32_e32 v85, 16, v84
	v_mov_b32_e32 v19, 0
	s_mov_b32 s10, exec_lo
	v_and_b32_e32 v6, 0xff, v85
	s_delay_alu instid0(VALU_DEP_2) | instskip(NEXT) | instid1(VALU_DEP_2)
	v_dual_mov_b32 v16, v18 :: v_dual_mov_b32 v17, v19
	v_cmpx_ne_u16_e32 0, v6
	s_cbranch_execz .LBB235_645
; %bb.638:                              ;   in Loop: Header=BB235_552 Depth=1
	v_bfrev_b32_e32 v16, 1
	v_mov_b32_e32 v17, 0
	s_mov_b32 s15, exec_lo
	v_cmpx_ne_u16_e32 0x80, v6
	s_cbranch_execz .LBB235_644
; %bb.639:                              ;   in Loop: Header=BB235_552 Depth=1
	v_mov_b32_e32 v16, 0x7f800001
	v_bfe_u32 v30, v84, 16, 7
	v_mov_b32_e32 v17, 0
	s_mov_b32 s16, exec_lo
	s_delay_alu instid0(VALU_DEP_2)
	v_cmpx_ne_u32_e32 0x7f, v30
	s_cbranch_execz .LBB235_643
; %bb.640:                              ;   in Loop: Header=BB235_552 Depth=1
	v_and_b32_e32 v6, 7, v85
	v_lshrrev_b32_e32 v16, 3, v30
	s_mov_b32 s18, exec_lo
	v_cmpx_gt_u32_e32 8, v30
; %bb.641:                              ;   in Loop: Header=BB235_552 Depth=1
	s_delay_alu instid0(VALU_DEP_3) | instskip(NEXT) | instid1(VALU_DEP_1)
	v_clz_i32_u32_e32 v16, v6
	v_min_u32_e32 v16, 32, v16
	s_delay_alu instid0(VALU_DEP_1) | instskip(SKIP_1) | instid1(VALU_DEP_2)
	v_subrev_nc_u32_e32 v17, 28, v16
	v_sub_nc_u32_e32 v16, 29, v16
	v_lshlrev_b64 v[86:87], v17, v[6:7]
	s_delay_alu instid0(VALU_DEP_1)
	v_and_b32_e32 v6, 7, v86
; %bb.642:                              ;   in Loop: Header=BB235_552 Depth=1
	s_or_b32 exec_lo, exec_lo, s18
	v_lshlrev_b32_e32 v17, 24, v85
	s_delay_alu instid0(VALU_DEP_2) | instskip(SKIP_1) | instid1(VALU_DEP_3)
	v_lshlrev_b32_e32 v6, 20, v6
	v_lshl_add_u32 v16, v16, 23, 0x3c000000
	v_and_b32_e32 v17, 0x80000000, v17
	s_delay_alu instid0(VALU_DEP_1) | instskip(NEXT) | instid1(VALU_DEP_1)
	v_or3_b32 v6, v6, v17, v16
	v_dual_mov_b32 v17, v7 :: v_dual_mov_b32 v16, v6
.LBB235_643:                            ;   in Loop: Header=BB235_552 Depth=1
	s_or_b32 exec_lo, exec_lo, s16
.LBB235_644:                            ;   in Loop: Header=BB235_552 Depth=1
	s_delay_alu instid0(SALU_CYCLE_1)
	s_or_b32 exec_lo, exec_lo, s15
.LBB235_645:                            ;   in Loop: Header=BB235_552 Depth=1
	s_delay_alu instid0(SALU_CYCLE_1) | instskip(NEXT) | instid1(SALU_CYCLE_1)
	s_or_b32 exec_lo, exec_lo, s10
	s_mov_b32 s15, exec_lo
	v_cmpx_lt_u32_e32 0xffffff, v84
	s_cbranch_execz .LBB235_653
; %bb.646:                              ;   in Loop: Header=BB235_552 Depth=1
	v_lshrrev_b32_e32 v85, 24, v84
	v_dual_mov_b32 v19, s9 :: v_dual_mov_b32 v18, s8
	s_mov_b32 s16, exec_lo
	s_delay_alu instid0(VALU_DEP_2)
	v_cmpx_ne_u32_e32 0x80, v85
	s_cbranch_execz .LBB235_652
; %bb.647:                              ;   in Loop: Header=BB235_552 Depth=1
	s_mov_b32 s10, s8
	v_bfe_u32 v30, v84, 24, 7
	v_dual_mov_b32 v19, s11 :: v_dual_mov_b32 v18, s10
	s_mov_b32 s10, exec_lo
	s_delay_alu instid0(VALU_DEP_2)
	v_cmpx_ne_u32_e32 0x7f, v30
	s_cbranch_execz .LBB235_651
; %bb.648:                              ;   in Loop: Header=BB235_552 Depth=1
	v_and_b32_e32 v6, 7, v85
	v_lshrrev_b32_e32 v18, 3, v30
	s_mov_b32 s18, exec_lo
	v_cmpx_gt_u32_e32 8, v30
; %bb.649:                              ;   in Loop: Header=BB235_552 Depth=1
	s_delay_alu instid0(VALU_DEP_3) | instskip(NEXT) | instid1(VALU_DEP_1)
	v_clz_i32_u32_e32 v18, v6
	v_min_u32_e32 v18, 32, v18
	s_delay_alu instid0(VALU_DEP_1) | instskip(SKIP_1) | instid1(VALU_DEP_2)
	v_subrev_nc_u32_e32 v19, 28, v18
	v_sub_nc_u32_e32 v18, 29, v18
	v_lshlrev_b64 v[86:87], v19, v[6:7]
	s_delay_alu instid0(VALU_DEP_1)
	v_and_b32_e32 v6, 7, v86
; %bb.650:                              ;   in Loop: Header=BB235_552 Depth=1
	s_or_b32 exec_lo, exec_lo, s18
	v_lshlrev_b32_e32 v19, 24, v85
	s_delay_alu instid0(VALU_DEP_2) | instskip(SKIP_1) | instid1(VALU_DEP_3)
	v_lshlrev_b32_e32 v6, 20, v6
	v_lshl_add_u32 v18, v18, 23, 0x3c000000
	v_and_b32_e32 v19, 0x80000000, v19
	s_delay_alu instid0(VALU_DEP_1)
	v_or3_b32 v19, v6, v19, v18
	v_mov_b32_e32 v18, v7
.LBB235_651:                            ;   in Loop: Header=BB235_552 Depth=1
	s_or_b32 exec_lo, exec_lo, s10
.LBB235_652:                            ;   in Loop: Header=BB235_552 Depth=1
	s_delay_alu instid0(SALU_CYCLE_1)
	s_or_b32 exec_lo, exec_lo, s16
.LBB235_653:                            ;   in Loop: Header=BB235_552 Depth=1
	s_delay_alu instid0(SALU_CYCLE_1) | instskip(SKIP_4) | instid1(VALU_DEP_4)
	s_or_b32 exec_lo, exec_lo, s15
	v_or_b32_e32 v5, v15, v5
	v_or_b32_e32 v4, v14, v4
	;; [unrolled: 1-line block ×4, first 2 shown]
	v_mul_f32_e32 v87, v55, v5
	s_delay_alu instid0(VALU_DEP_4) | instskip(NEXT) | instid1(VALU_DEP_4)
	v_mul_f32_e32 v86, v55, v4
	v_mul_f32_e32 v84, v55, v6
	s_delay_alu instid0(VALU_DEP_4)
	v_mul_f32_e32 v85, v55, v14
	s_and_saveexec_b32 s10, vcc_lo
; %bb.654:                              ;   in Loop: Header=BB235_552 Depth=1
	v_cmp_lt_i32_e64 s1, v68, v47
	s_delay_alu instid0(VALU_DEP_1) | instskip(SKIP_1) | instid1(VALU_DEP_1)
	v_cndmask_b32_e64 v86, 0, v86, s1
	v_cmp_lt_i32_e64 s1, v71, v47
	v_cndmask_b32_e64 v87, 0, v87, s1
	v_cmp_lt_i32_e64 s1, v70, v47
	s_delay_alu instid0(VALU_DEP_1) | instskip(SKIP_1) | instid1(VALU_DEP_1)
	v_cndmask_b32_e64 v85, 0, v85, s1
	v_cmp_lt_i32_e64 s1, v69, v47
	v_cndmask_b32_e64 v84, 0, v84, s1
; %bb.655:                              ;   in Loop: Header=BB235_552 Depth=1
	s_or_b32 exec_lo, exec_lo, s10
	flat_load_b32 v96, v[12:13] offset:384
	v_mov_b32_e32 v14, 0
	v_mov_b32_e32 v15, 0
	s_mov_b32 s10, exec_lo
	s_waitcnt vmcnt(0) lgkmcnt(0)
	v_and_b32_e32 v6, 0xff, v96
	s_delay_alu instid0(VALU_DEP_2) | instskip(NEXT) | instid1(VALU_DEP_2)
	v_dual_mov_b32 v4, v14 :: v_dual_mov_b32 v5, v15
	v_cmpx_ne_u16_e32 0, v6
	s_cbranch_execz .LBB235_663
; %bb.656:                              ;   in Loop: Header=BB235_552 Depth=1
	v_bfrev_b32_e32 v4, 1
	v_mov_b32_e32 v5, 0
	s_mov_b32 s15, exec_lo
	v_cmpx_ne_u16_e32 0x80, v6
	s_cbranch_execz .LBB235_662
; %bb.657:                              ;   in Loop: Header=BB235_552 Depth=1
	v_mov_b32_e32 v4, 0x7f800001
	v_dual_mov_b32 v5, 0 :: v_dual_and_b32 v16, 0x7f, v96
	s_mov_b32 s16, exec_lo
	s_delay_alu instid0(VALU_DEP_1)
	v_cmpx_ne_u32_e32 0x7f, v16
	s_cbranch_execz .LBB235_661
; %bb.658:                              ;   in Loop: Header=BB235_552 Depth=1
	v_and_b32_e32 v6, 7, v96
	v_lshrrev_b32_e32 v4, 3, v16
	s_mov_b32 s18, exec_lo
	v_cmpx_gt_u32_e32 8, v16
; %bb.659:                              ;   in Loop: Header=BB235_552 Depth=1
	s_delay_alu instid0(VALU_DEP_3) | instskip(NEXT) | instid1(VALU_DEP_1)
	v_clz_i32_u32_e32 v4, v6
	v_min_u32_e32 v4, 32, v4
	s_delay_alu instid0(VALU_DEP_1) | instskip(SKIP_1) | instid1(VALU_DEP_2)
	v_subrev_nc_u32_e32 v5, 28, v4
	v_sub_nc_u32_e32 v4, 29, v4
	v_lshlrev_b64 v[5:6], v5, v[6:7]
	s_delay_alu instid0(VALU_DEP_1)
	v_and_b32_e32 v6, 7, v5
; %bb.660:                              ;   in Loop: Header=BB235_552 Depth=1
	s_or_b32 exec_lo, exec_lo, s18
	v_lshlrev_b32_e32 v5, 24, v96
	s_delay_alu instid0(VALU_DEP_2) | instskip(SKIP_1) | instid1(VALU_DEP_3)
	v_lshlrev_b32_e32 v6, 20, v6
	v_lshl_add_u32 v4, v4, 23, 0x3c000000
	v_and_b32_e32 v5, 0x80000000, v5
	s_delay_alu instid0(VALU_DEP_1) | instskip(NEXT) | instid1(VALU_DEP_1)
	v_or3_b32 v6, v6, v5, v4
	v_dual_mov_b32 v4, v6 :: v_dual_mov_b32 v5, v7
.LBB235_661:                            ;   in Loop: Header=BB235_552 Depth=1
	s_or_b32 exec_lo, exec_lo, s16
.LBB235_662:                            ;   in Loop: Header=BB235_552 Depth=1
	s_delay_alu instid0(SALU_CYCLE_1)
	s_or_b32 exec_lo, exec_lo, s15
.LBB235_663:                            ;   in Loop: Header=BB235_552 Depth=1
	s_delay_alu instid0(SALU_CYCLE_1) | instskip(SKIP_2) | instid1(VALU_DEP_1)
	s_or_b32 exec_lo, exec_lo, s10
	v_lshrrev_b16 v6, 8, v96
	s_mov_b32 s15, exec_lo
	v_cmpx_ne_u16_e32 0, v6
	s_cbranch_execz .LBB235_671
; %bb.664:                              ;   in Loop: Header=BB235_552 Depth=1
	v_dual_mov_b32 v15, s9 :: v_dual_mov_b32 v14, s8
	s_mov_b32 s16, exec_lo
	v_cmpx_ne_u16_e32 0x80, v6
	s_cbranch_execz .LBB235_670
; %bb.665:                              ;   in Loop: Header=BB235_552 Depth=1
	s_mov_b32 s10, s8
	v_dual_mov_b32 v15, s11 :: v_dual_and_b32 v6, 0xffff, v6
	v_mov_b32_e32 v14, s10
	s_mov_b32 s10, exec_lo
	s_delay_alu instid0(VALU_DEP_2) | instskip(NEXT) | instid1(VALU_DEP_1)
	v_and_b32_e32 v16, 0x7f, v6
	v_cmpx_ne_u32_e32 0x7f, v16
	s_cbranch_execz .LBB235_669
; %bb.666:                              ;   in Loop: Header=BB235_552 Depth=1
	v_and_b32_e32 v6, 7, v6
	v_lshrrev_b32_e32 v14, 3, v16
	s_mov_b32 s18, exec_lo
	v_cmpx_gt_u32_e32 8, v16
; %bb.667:                              ;   in Loop: Header=BB235_552 Depth=1
	s_delay_alu instid0(VALU_DEP_3) | instskip(NEXT) | instid1(VALU_DEP_1)
	v_clz_i32_u32_e32 v14, v6
	v_min_u32_e32 v14, 32, v14
	s_delay_alu instid0(VALU_DEP_1) | instskip(SKIP_1) | instid1(VALU_DEP_2)
	v_subrev_nc_u32_e32 v15, 28, v14
	v_sub_nc_u32_e32 v14, 29, v14
	v_lshlrev_b64 v[15:16], v15, v[6:7]
	s_delay_alu instid0(VALU_DEP_1)
	v_and_b32_e32 v6, 7, v15
; %bb.668:                              ;   in Loop: Header=BB235_552 Depth=1
	s_or_b32 exec_lo, exec_lo, s18
	v_lshlrev_b32_e32 v15, 16, v96
	s_delay_alu instid0(VALU_DEP_2) | instskip(SKIP_1) | instid1(VALU_DEP_3)
	v_lshlrev_b32_e32 v6, 20, v6
	v_lshl_add_u32 v14, v14, 23, 0x3c000000
	v_and_b32_e32 v15, 0x80000000, v15
	s_delay_alu instid0(VALU_DEP_1)
	v_or3_b32 v15, v6, v15, v14
	v_mov_b32_e32 v14, v7
.LBB235_669:                            ;   in Loop: Header=BB235_552 Depth=1
	s_or_b32 exec_lo, exec_lo, s10
.LBB235_670:                            ;   in Loop: Header=BB235_552 Depth=1
	s_delay_alu instid0(SALU_CYCLE_1)
	s_or_b32 exec_lo, exec_lo, s16
.LBB235_671:                            ;   in Loop: Header=BB235_552 Depth=1
	s_delay_alu instid0(SALU_CYCLE_1) | instskip(SKIP_4) | instid1(VALU_DEP_2)
	s_or_b32 exec_lo, exec_lo, s15
	v_mov_b32_e32 v18, 0
	v_lshrrev_b32_e32 v97, 16, v96
	v_mov_b32_e32 v19, 0
	s_mov_b32 s10, exec_lo
	v_and_b32_e32 v6, 0xff, v97
	s_delay_alu instid0(VALU_DEP_2) | instskip(NEXT) | instid1(VALU_DEP_2)
	v_dual_mov_b32 v16, v18 :: v_dual_mov_b32 v17, v19
	v_cmpx_ne_u16_e32 0, v6
	s_cbranch_execz .LBB235_679
; %bb.672:                              ;   in Loop: Header=BB235_552 Depth=1
	v_bfrev_b32_e32 v16, 1
	v_mov_b32_e32 v17, 0
	s_mov_b32 s15, exec_lo
	v_cmpx_ne_u16_e32 0x80, v6
	s_cbranch_execz .LBB235_678
; %bb.673:                              ;   in Loop: Header=BB235_552 Depth=1
	v_mov_b32_e32 v16, 0x7f800001
	v_bfe_u32 v30, v96, 16, 7
	v_mov_b32_e32 v17, 0
	s_mov_b32 s16, exec_lo
	s_delay_alu instid0(VALU_DEP_2)
	v_cmpx_ne_u32_e32 0x7f, v30
	s_cbranch_execz .LBB235_677
; %bb.674:                              ;   in Loop: Header=BB235_552 Depth=1
	v_and_b32_e32 v6, 7, v97
	v_lshrrev_b32_e32 v16, 3, v30
	s_mov_b32 s18, exec_lo
	v_cmpx_gt_u32_e32 8, v30
; %bb.675:                              ;   in Loop: Header=BB235_552 Depth=1
	s_delay_alu instid0(VALU_DEP_3) | instskip(NEXT) | instid1(VALU_DEP_1)
	v_clz_i32_u32_e32 v16, v6
	v_min_u32_e32 v16, 32, v16
	s_delay_alu instid0(VALU_DEP_1) | instskip(SKIP_1) | instid1(VALU_DEP_2)
	v_subrev_nc_u32_e32 v17, 28, v16
	v_sub_nc_u32_e32 v16, 29, v16
	v_lshlrev_b64 v[98:99], v17, v[6:7]
	s_delay_alu instid0(VALU_DEP_1)
	v_and_b32_e32 v6, 7, v98
; %bb.676:                              ;   in Loop: Header=BB235_552 Depth=1
	s_or_b32 exec_lo, exec_lo, s18
	v_lshlrev_b32_e32 v17, 24, v97
	s_delay_alu instid0(VALU_DEP_2) | instskip(SKIP_1) | instid1(VALU_DEP_3)
	v_lshlrev_b32_e32 v6, 20, v6
	v_lshl_add_u32 v16, v16, 23, 0x3c000000
	v_and_b32_e32 v17, 0x80000000, v17
	s_delay_alu instid0(VALU_DEP_1) | instskip(NEXT) | instid1(VALU_DEP_1)
	v_or3_b32 v6, v6, v17, v16
	v_dual_mov_b32 v17, v7 :: v_dual_mov_b32 v16, v6
.LBB235_677:                            ;   in Loop: Header=BB235_552 Depth=1
	s_or_b32 exec_lo, exec_lo, s16
.LBB235_678:                            ;   in Loop: Header=BB235_552 Depth=1
	s_delay_alu instid0(SALU_CYCLE_1)
	s_or_b32 exec_lo, exec_lo, s15
.LBB235_679:                            ;   in Loop: Header=BB235_552 Depth=1
	s_delay_alu instid0(SALU_CYCLE_1) | instskip(NEXT) | instid1(SALU_CYCLE_1)
	s_or_b32 exec_lo, exec_lo, s10
	s_mov_b32 s15, exec_lo
	v_cmpx_lt_u32_e32 0xffffff, v96
	s_cbranch_execz .LBB235_687
; %bb.680:                              ;   in Loop: Header=BB235_552 Depth=1
	v_lshrrev_b32_e32 v97, 24, v96
	v_dual_mov_b32 v19, s9 :: v_dual_mov_b32 v18, s8
	s_mov_b32 s16, exec_lo
	s_delay_alu instid0(VALU_DEP_2)
	v_cmpx_ne_u32_e32 0x80, v97
	s_cbranch_execz .LBB235_686
; %bb.681:                              ;   in Loop: Header=BB235_552 Depth=1
	s_mov_b32 s10, s8
	v_bfe_u32 v30, v96, 24, 7
	v_dual_mov_b32 v19, s11 :: v_dual_mov_b32 v18, s10
	s_mov_b32 s10, exec_lo
	s_delay_alu instid0(VALU_DEP_2)
	v_cmpx_ne_u32_e32 0x7f, v30
	s_cbranch_execz .LBB235_685
; %bb.682:                              ;   in Loop: Header=BB235_552 Depth=1
	v_and_b32_e32 v6, 7, v97
	v_lshrrev_b32_e32 v18, 3, v30
	s_mov_b32 s18, exec_lo
	v_cmpx_gt_u32_e32 8, v30
; %bb.683:                              ;   in Loop: Header=BB235_552 Depth=1
	s_delay_alu instid0(VALU_DEP_3) | instskip(NEXT) | instid1(VALU_DEP_1)
	v_clz_i32_u32_e32 v18, v6
	v_min_u32_e32 v18, 32, v18
	s_delay_alu instid0(VALU_DEP_1) | instskip(SKIP_1) | instid1(VALU_DEP_2)
	v_subrev_nc_u32_e32 v19, 28, v18
	v_sub_nc_u32_e32 v18, 29, v18
	v_lshlrev_b64 v[98:99], v19, v[6:7]
	s_delay_alu instid0(VALU_DEP_1)
	v_and_b32_e32 v6, 7, v98
; %bb.684:                              ;   in Loop: Header=BB235_552 Depth=1
	s_or_b32 exec_lo, exec_lo, s18
	v_lshlrev_b32_e32 v19, 24, v97
	s_delay_alu instid0(VALU_DEP_2) | instskip(SKIP_1) | instid1(VALU_DEP_3)
	v_lshlrev_b32_e32 v6, 20, v6
	v_lshl_add_u32 v18, v18, 23, 0x3c000000
	v_and_b32_e32 v19, 0x80000000, v19
	s_delay_alu instid0(VALU_DEP_1)
	v_or3_b32 v19, v6, v19, v18
	v_mov_b32_e32 v18, v7
.LBB235_685:                            ;   in Loop: Header=BB235_552 Depth=1
	s_or_b32 exec_lo, exec_lo, s10
.LBB235_686:                            ;   in Loop: Header=BB235_552 Depth=1
	s_delay_alu instid0(SALU_CYCLE_1)
	s_or_b32 exec_lo, exec_lo, s16
.LBB235_687:                            ;   in Loop: Header=BB235_552 Depth=1
	s_delay_alu instid0(SALU_CYCLE_1) | instskip(SKIP_4) | instid1(VALU_DEP_4)
	s_or_b32 exec_lo, exec_lo, s15
	v_or_b32_e32 v5, v15, v5
	v_or_b32_e32 v4, v14, v4
	;; [unrolled: 1-line block ×4, first 2 shown]
	v_mul_f32_e32 v99, v55, v5
	s_delay_alu instid0(VALU_DEP_4) | instskip(NEXT) | instid1(VALU_DEP_4)
	v_mul_f32_e32 v98, v55, v4
	v_mul_f32_e32 v96, v55, v6
	s_delay_alu instid0(VALU_DEP_4)
	v_mul_f32_e32 v97, v55, v14
	s_and_saveexec_b32 s10, vcc_lo
; %bb.688:                              ;   in Loop: Header=BB235_552 Depth=1
	v_cmp_lt_i32_e64 s1, v68, v47
	s_delay_alu instid0(VALU_DEP_1) | instskip(SKIP_1) | instid1(VALU_DEP_1)
	v_cndmask_b32_e64 v98, 0, v98, s1
	v_cmp_lt_i32_e64 s1, v71, v47
	v_cndmask_b32_e64 v99, 0, v99, s1
	v_cmp_lt_i32_e64 s1, v70, v47
	s_delay_alu instid0(VALU_DEP_1) | instskip(SKIP_1) | instid1(VALU_DEP_1)
	v_cndmask_b32_e64 v97, 0, v97, s1
	v_cmp_lt_i32_e64 s1, v69, v47
	v_cndmask_b32_e64 v96, 0, v96, s1
; %bb.689:                              ;   in Loop: Header=BB235_552 Depth=1
	s_or_b32 exec_lo, exec_lo, s10
	flat_load_b32 v100, v[12:13] offset:512
	v_mov_b32_e32 v14, 0
	v_mov_b32_e32 v15, 0
	s_mov_b32 s10, exec_lo
	s_waitcnt vmcnt(0) lgkmcnt(0)
	v_and_b32_e32 v6, 0xff, v100
	s_delay_alu instid0(VALU_DEP_2) | instskip(NEXT) | instid1(VALU_DEP_2)
	v_dual_mov_b32 v4, v14 :: v_dual_mov_b32 v5, v15
	v_cmpx_ne_u16_e32 0, v6
	s_cbranch_execz .LBB235_697
; %bb.690:                              ;   in Loop: Header=BB235_552 Depth=1
	v_bfrev_b32_e32 v4, 1
	v_mov_b32_e32 v5, 0
	s_mov_b32 s15, exec_lo
	v_cmpx_ne_u16_e32 0x80, v6
	s_cbranch_execz .LBB235_696
; %bb.691:                              ;   in Loop: Header=BB235_552 Depth=1
	v_mov_b32_e32 v4, 0x7f800001
	v_dual_mov_b32 v5, 0 :: v_dual_and_b32 v16, 0x7f, v100
	s_mov_b32 s16, exec_lo
	s_delay_alu instid0(VALU_DEP_1)
	v_cmpx_ne_u32_e32 0x7f, v16
	s_cbranch_execz .LBB235_695
; %bb.692:                              ;   in Loop: Header=BB235_552 Depth=1
	v_and_b32_e32 v6, 7, v100
	v_lshrrev_b32_e32 v4, 3, v16
	s_mov_b32 s18, exec_lo
	v_cmpx_gt_u32_e32 8, v16
; %bb.693:                              ;   in Loop: Header=BB235_552 Depth=1
	s_delay_alu instid0(VALU_DEP_3) | instskip(NEXT) | instid1(VALU_DEP_1)
	v_clz_i32_u32_e32 v4, v6
	v_min_u32_e32 v4, 32, v4
	s_delay_alu instid0(VALU_DEP_1) | instskip(SKIP_1) | instid1(VALU_DEP_2)
	v_subrev_nc_u32_e32 v5, 28, v4
	v_sub_nc_u32_e32 v4, 29, v4
	v_lshlrev_b64 v[5:6], v5, v[6:7]
	s_delay_alu instid0(VALU_DEP_1)
	v_and_b32_e32 v6, 7, v5
; %bb.694:                              ;   in Loop: Header=BB235_552 Depth=1
	s_or_b32 exec_lo, exec_lo, s18
	v_lshlrev_b32_e32 v5, 24, v100
	s_delay_alu instid0(VALU_DEP_2) | instskip(SKIP_1) | instid1(VALU_DEP_3)
	v_lshlrev_b32_e32 v6, 20, v6
	v_lshl_add_u32 v4, v4, 23, 0x3c000000
	v_and_b32_e32 v5, 0x80000000, v5
	s_delay_alu instid0(VALU_DEP_1) | instskip(NEXT) | instid1(VALU_DEP_1)
	v_or3_b32 v6, v6, v5, v4
	v_dual_mov_b32 v4, v6 :: v_dual_mov_b32 v5, v7
.LBB235_695:                            ;   in Loop: Header=BB235_552 Depth=1
	s_or_b32 exec_lo, exec_lo, s16
.LBB235_696:                            ;   in Loop: Header=BB235_552 Depth=1
	s_delay_alu instid0(SALU_CYCLE_1)
	s_or_b32 exec_lo, exec_lo, s15
.LBB235_697:                            ;   in Loop: Header=BB235_552 Depth=1
	s_delay_alu instid0(SALU_CYCLE_1) | instskip(SKIP_2) | instid1(VALU_DEP_1)
	s_or_b32 exec_lo, exec_lo, s10
	v_lshrrev_b16 v6, 8, v100
	s_mov_b32 s15, exec_lo
	v_cmpx_ne_u16_e32 0, v6
	s_cbranch_execz .LBB235_705
; %bb.698:                              ;   in Loop: Header=BB235_552 Depth=1
	v_dual_mov_b32 v15, s9 :: v_dual_mov_b32 v14, s8
	s_mov_b32 s16, exec_lo
	v_cmpx_ne_u16_e32 0x80, v6
	s_cbranch_execz .LBB235_704
; %bb.699:                              ;   in Loop: Header=BB235_552 Depth=1
	s_mov_b32 s10, s8
	v_dual_mov_b32 v15, s11 :: v_dual_and_b32 v6, 0xffff, v6
	v_mov_b32_e32 v14, s10
	s_mov_b32 s10, exec_lo
	s_delay_alu instid0(VALU_DEP_2) | instskip(NEXT) | instid1(VALU_DEP_1)
	v_and_b32_e32 v16, 0x7f, v6
	v_cmpx_ne_u32_e32 0x7f, v16
	s_cbranch_execz .LBB235_703
; %bb.700:                              ;   in Loop: Header=BB235_552 Depth=1
	v_and_b32_e32 v6, 7, v6
	v_lshrrev_b32_e32 v14, 3, v16
	s_mov_b32 s18, exec_lo
	v_cmpx_gt_u32_e32 8, v16
; %bb.701:                              ;   in Loop: Header=BB235_552 Depth=1
	s_delay_alu instid0(VALU_DEP_3) | instskip(NEXT) | instid1(VALU_DEP_1)
	v_clz_i32_u32_e32 v14, v6
	v_min_u32_e32 v14, 32, v14
	s_delay_alu instid0(VALU_DEP_1) | instskip(SKIP_1) | instid1(VALU_DEP_2)
	v_subrev_nc_u32_e32 v15, 28, v14
	v_sub_nc_u32_e32 v14, 29, v14
	v_lshlrev_b64 v[15:16], v15, v[6:7]
	s_delay_alu instid0(VALU_DEP_1)
	v_and_b32_e32 v6, 7, v15
; %bb.702:                              ;   in Loop: Header=BB235_552 Depth=1
	s_or_b32 exec_lo, exec_lo, s18
	v_lshlrev_b32_e32 v15, 16, v100
	s_delay_alu instid0(VALU_DEP_2) | instskip(SKIP_1) | instid1(VALU_DEP_3)
	v_lshlrev_b32_e32 v6, 20, v6
	v_lshl_add_u32 v14, v14, 23, 0x3c000000
	v_and_b32_e32 v15, 0x80000000, v15
	s_delay_alu instid0(VALU_DEP_1)
	v_or3_b32 v15, v6, v15, v14
	v_mov_b32_e32 v14, v7
.LBB235_703:                            ;   in Loop: Header=BB235_552 Depth=1
	s_or_b32 exec_lo, exec_lo, s10
.LBB235_704:                            ;   in Loop: Header=BB235_552 Depth=1
	s_delay_alu instid0(SALU_CYCLE_1)
	s_or_b32 exec_lo, exec_lo, s16
.LBB235_705:                            ;   in Loop: Header=BB235_552 Depth=1
	s_delay_alu instid0(SALU_CYCLE_1) | instskip(SKIP_4) | instid1(VALU_DEP_2)
	s_or_b32 exec_lo, exec_lo, s15
	v_mov_b32_e32 v18, 0
	v_lshrrev_b32_e32 v101, 16, v100
	v_mov_b32_e32 v19, 0
	s_mov_b32 s10, exec_lo
	v_and_b32_e32 v6, 0xff, v101
	s_delay_alu instid0(VALU_DEP_2) | instskip(NEXT) | instid1(VALU_DEP_2)
	v_dual_mov_b32 v16, v18 :: v_dual_mov_b32 v17, v19
	v_cmpx_ne_u16_e32 0, v6
	s_cbranch_execz .LBB235_713
; %bb.706:                              ;   in Loop: Header=BB235_552 Depth=1
	v_bfrev_b32_e32 v16, 1
	v_mov_b32_e32 v17, 0
	s_mov_b32 s15, exec_lo
	v_cmpx_ne_u16_e32 0x80, v6
	s_cbranch_execz .LBB235_712
; %bb.707:                              ;   in Loop: Header=BB235_552 Depth=1
	v_mov_b32_e32 v16, 0x7f800001
	v_bfe_u32 v30, v100, 16, 7
	v_mov_b32_e32 v17, 0
	s_mov_b32 s16, exec_lo
	s_delay_alu instid0(VALU_DEP_2)
	v_cmpx_ne_u32_e32 0x7f, v30
	s_cbranch_execz .LBB235_711
; %bb.708:                              ;   in Loop: Header=BB235_552 Depth=1
	v_and_b32_e32 v6, 7, v101
	v_lshrrev_b32_e32 v16, 3, v30
	s_mov_b32 s18, exec_lo
	v_cmpx_gt_u32_e32 8, v30
; %bb.709:                              ;   in Loop: Header=BB235_552 Depth=1
	s_delay_alu instid0(VALU_DEP_3) | instskip(NEXT) | instid1(VALU_DEP_1)
	v_clz_i32_u32_e32 v16, v6
	v_min_u32_e32 v16, 32, v16
	s_delay_alu instid0(VALU_DEP_1) | instskip(SKIP_1) | instid1(VALU_DEP_2)
	v_subrev_nc_u32_e32 v17, 28, v16
	v_sub_nc_u32_e32 v16, 29, v16
	v_lshlrev_b64 v[102:103], v17, v[6:7]
	s_delay_alu instid0(VALU_DEP_1)
	v_and_b32_e32 v6, 7, v102
; %bb.710:                              ;   in Loop: Header=BB235_552 Depth=1
	s_or_b32 exec_lo, exec_lo, s18
	v_lshlrev_b32_e32 v17, 24, v101
	s_delay_alu instid0(VALU_DEP_2) | instskip(SKIP_1) | instid1(VALU_DEP_3)
	v_lshlrev_b32_e32 v6, 20, v6
	v_lshl_add_u32 v16, v16, 23, 0x3c000000
	v_and_b32_e32 v17, 0x80000000, v17
	s_delay_alu instid0(VALU_DEP_1) | instskip(NEXT) | instid1(VALU_DEP_1)
	v_or3_b32 v6, v6, v17, v16
	v_dual_mov_b32 v17, v7 :: v_dual_mov_b32 v16, v6
.LBB235_711:                            ;   in Loop: Header=BB235_552 Depth=1
	s_or_b32 exec_lo, exec_lo, s16
.LBB235_712:                            ;   in Loop: Header=BB235_552 Depth=1
	s_delay_alu instid0(SALU_CYCLE_1)
	s_or_b32 exec_lo, exec_lo, s15
.LBB235_713:                            ;   in Loop: Header=BB235_552 Depth=1
	s_delay_alu instid0(SALU_CYCLE_1) | instskip(NEXT) | instid1(SALU_CYCLE_1)
	s_or_b32 exec_lo, exec_lo, s10
	s_mov_b32 s15, exec_lo
	v_cmpx_lt_u32_e32 0xffffff, v100
	s_cbranch_execz .LBB235_721
; %bb.714:                              ;   in Loop: Header=BB235_552 Depth=1
	v_lshrrev_b32_e32 v101, 24, v100
	v_dual_mov_b32 v19, s9 :: v_dual_mov_b32 v18, s8
	s_mov_b32 s16, exec_lo
	s_delay_alu instid0(VALU_DEP_2)
	v_cmpx_ne_u32_e32 0x80, v101
	s_cbranch_execz .LBB235_720
; %bb.715:                              ;   in Loop: Header=BB235_552 Depth=1
	s_mov_b32 s10, s8
	v_bfe_u32 v30, v100, 24, 7
	v_dual_mov_b32 v19, s11 :: v_dual_mov_b32 v18, s10
	s_mov_b32 s10, exec_lo
	s_delay_alu instid0(VALU_DEP_2)
	v_cmpx_ne_u32_e32 0x7f, v30
	s_cbranch_execz .LBB235_719
; %bb.716:                              ;   in Loop: Header=BB235_552 Depth=1
	v_and_b32_e32 v6, 7, v101
	v_lshrrev_b32_e32 v18, 3, v30
	s_mov_b32 s18, exec_lo
	v_cmpx_gt_u32_e32 8, v30
; %bb.717:                              ;   in Loop: Header=BB235_552 Depth=1
	s_delay_alu instid0(VALU_DEP_3) | instskip(NEXT) | instid1(VALU_DEP_1)
	v_clz_i32_u32_e32 v18, v6
	v_min_u32_e32 v18, 32, v18
	s_delay_alu instid0(VALU_DEP_1) | instskip(SKIP_1) | instid1(VALU_DEP_2)
	v_subrev_nc_u32_e32 v19, 28, v18
	v_sub_nc_u32_e32 v18, 29, v18
	v_lshlrev_b64 v[102:103], v19, v[6:7]
	s_delay_alu instid0(VALU_DEP_1)
	v_and_b32_e32 v6, 7, v102
; %bb.718:                              ;   in Loop: Header=BB235_552 Depth=1
	s_or_b32 exec_lo, exec_lo, s18
	v_lshlrev_b32_e32 v19, 24, v101
	s_delay_alu instid0(VALU_DEP_2) | instskip(SKIP_1) | instid1(VALU_DEP_3)
	v_lshlrev_b32_e32 v6, 20, v6
	v_lshl_add_u32 v18, v18, 23, 0x3c000000
	v_and_b32_e32 v19, 0x80000000, v19
	s_delay_alu instid0(VALU_DEP_1)
	v_or3_b32 v19, v6, v19, v18
	v_mov_b32_e32 v18, v7
.LBB235_719:                            ;   in Loop: Header=BB235_552 Depth=1
	s_or_b32 exec_lo, exec_lo, s10
.LBB235_720:                            ;   in Loop: Header=BB235_552 Depth=1
	s_delay_alu instid0(SALU_CYCLE_1)
	s_or_b32 exec_lo, exec_lo, s16
.LBB235_721:                            ;   in Loop: Header=BB235_552 Depth=1
	s_delay_alu instid0(SALU_CYCLE_1) | instskip(SKIP_4) | instid1(VALU_DEP_4)
	s_or_b32 exec_lo, exec_lo, s15
	v_or_b32_e32 v5, v15, v5
	v_or_b32_e32 v4, v14, v4
	;; [unrolled: 1-line block ×4, first 2 shown]
	v_mul_f32_e32 v103, v55, v5
	s_delay_alu instid0(VALU_DEP_4) | instskip(NEXT) | instid1(VALU_DEP_4)
	v_mul_f32_e32 v102, v55, v4
	v_mul_f32_e32 v100, v55, v6
	s_delay_alu instid0(VALU_DEP_4)
	v_mul_f32_e32 v101, v55, v14
	s_and_saveexec_b32 s10, vcc_lo
; %bb.722:                              ;   in Loop: Header=BB235_552 Depth=1
	v_cmp_lt_i32_e64 s1, v68, v47
	s_delay_alu instid0(VALU_DEP_1) | instskip(SKIP_1) | instid1(VALU_DEP_1)
	v_cndmask_b32_e64 v102, 0, v102, s1
	v_cmp_lt_i32_e64 s1, v71, v47
	v_cndmask_b32_e64 v103, 0, v103, s1
	v_cmp_lt_i32_e64 s1, v70, v47
	s_delay_alu instid0(VALU_DEP_1) | instskip(SKIP_1) | instid1(VALU_DEP_1)
	v_cndmask_b32_e64 v101, 0, v101, s1
	v_cmp_lt_i32_e64 s1, v69, v47
	v_cndmask_b32_e64 v100, 0, v100, s1
; %bb.723:                              ;   in Loop: Header=BB235_552 Depth=1
	s_or_b32 exec_lo, exec_lo, s10
	flat_load_b32 v113, v[12:13] offset:640
	v_mov_b32_e32 v14, 0
	v_mov_b32_e32 v15, 0
	s_mov_b32 s10, exec_lo
	s_waitcnt vmcnt(0) lgkmcnt(0)
	v_and_b32_e32 v6, 0xff, v113
	s_delay_alu instid0(VALU_DEP_2) | instskip(NEXT) | instid1(VALU_DEP_2)
	v_dual_mov_b32 v4, v14 :: v_dual_mov_b32 v5, v15
	v_cmpx_ne_u16_e32 0, v6
	s_cbranch_execz .LBB235_731
; %bb.724:                              ;   in Loop: Header=BB235_552 Depth=1
	v_bfrev_b32_e32 v4, 1
	v_mov_b32_e32 v5, 0
	s_mov_b32 s15, exec_lo
	v_cmpx_ne_u16_e32 0x80, v6
	s_cbranch_execz .LBB235_730
; %bb.725:                              ;   in Loop: Header=BB235_552 Depth=1
	v_mov_b32_e32 v4, 0x7f800001
	v_dual_mov_b32 v5, 0 :: v_dual_and_b32 v16, 0x7f, v113
	s_mov_b32 s16, exec_lo
	s_delay_alu instid0(VALU_DEP_1)
	v_cmpx_ne_u32_e32 0x7f, v16
	s_cbranch_execz .LBB235_729
; %bb.726:                              ;   in Loop: Header=BB235_552 Depth=1
	v_and_b32_e32 v6, 7, v113
	v_lshrrev_b32_e32 v4, 3, v16
	s_mov_b32 s18, exec_lo
	v_cmpx_gt_u32_e32 8, v16
; %bb.727:                              ;   in Loop: Header=BB235_552 Depth=1
	s_delay_alu instid0(VALU_DEP_3) | instskip(NEXT) | instid1(VALU_DEP_1)
	v_clz_i32_u32_e32 v4, v6
	v_min_u32_e32 v4, 32, v4
	s_delay_alu instid0(VALU_DEP_1) | instskip(SKIP_1) | instid1(VALU_DEP_2)
	v_subrev_nc_u32_e32 v5, 28, v4
	v_sub_nc_u32_e32 v4, 29, v4
	v_lshlrev_b64 v[5:6], v5, v[6:7]
	s_delay_alu instid0(VALU_DEP_1)
	v_and_b32_e32 v6, 7, v5
; %bb.728:                              ;   in Loop: Header=BB235_552 Depth=1
	s_or_b32 exec_lo, exec_lo, s18
	v_lshlrev_b32_e32 v5, 24, v113
	s_delay_alu instid0(VALU_DEP_2) | instskip(SKIP_1) | instid1(VALU_DEP_3)
	v_lshlrev_b32_e32 v6, 20, v6
	v_lshl_add_u32 v4, v4, 23, 0x3c000000
	v_and_b32_e32 v5, 0x80000000, v5
	s_delay_alu instid0(VALU_DEP_1) | instskip(NEXT) | instid1(VALU_DEP_1)
	v_or3_b32 v6, v6, v5, v4
	v_dual_mov_b32 v4, v6 :: v_dual_mov_b32 v5, v7
.LBB235_729:                            ;   in Loop: Header=BB235_552 Depth=1
	s_or_b32 exec_lo, exec_lo, s16
.LBB235_730:                            ;   in Loop: Header=BB235_552 Depth=1
	s_delay_alu instid0(SALU_CYCLE_1)
	s_or_b32 exec_lo, exec_lo, s15
.LBB235_731:                            ;   in Loop: Header=BB235_552 Depth=1
	s_delay_alu instid0(SALU_CYCLE_1) | instskip(SKIP_2) | instid1(VALU_DEP_1)
	s_or_b32 exec_lo, exec_lo, s10
	v_lshrrev_b16 v6, 8, v113
	s_mov_b32 s15, exec_lo
	v_cmpx_ne_u16_e32 0, v6
	s_cbranch_execz .LBB235_739
; %bb.732:                              ;   in Loop: Header=BB235_552 Depth=1
	v_dual_mov_b32 v15, s9 :: v_dual_mov_b32 v14, s8
	s_mov_b32 s16, exec_lo
	v_cmpx_ne_u16_e32 0x80, v6
	s_cbranch_execz .LBB235_738
; %bb.733:                              ;   in Loop: Header=BB235_552 Depth=1
	s_mov_b32 s10, s8
	v_dual_mov_b32 v15, s11 :: v_dual_and_b32 v6, 0xffff, v6
	v_mov_b32_e32 v14, s10
	s_mov_b32 s10, exec_lo
	s_delay_alu instid0(VALU_DEP_2) | instskip(NEXT) | instid1(VALU_DEP_1)
	v_and_b32_e32 v16, 0x7f, v6
	v_cmpx_ne_u32_e32 0x7f, v16
	s_cbranch_execz .LBB235_737
; %bb.734:                              ;   in Loop: Header=BB235_552 Depth=1
	v_and_b32_e32 v6, 7, v6
	v_lshrrev_b32_e32 v14, 3, v16
	s_mov_b32 s18, exec_lo
	v_cmpx_gt_u32_e32 8, v16
; %bb.735:                              ;   in Loop: Header=BB235_552 Depth=1
	s_delay_alu instid0(VALU_DEP_3) | instskip(NEXT) | instid1(VALU_DEP_1)
	v_clz_i32_u32_e32 v14, v6
	v_min_u32_e32 v14, 32, v14
	s_delay_alu instid0(VALU_DEP_1) | instskip(SKIP_1) | instid1(VALU_DEP_2)
	v_subrev_nc_u32_e32 v15, 28, v14
	v_sub_nc_u32_e32 v14, 29, v14
	v_lshlrev_b64 v[15:16], v15, v[6:7]
	s_delay_alu instid0(VALU_DEP_1)
	v_and_b32_e32 v6, 7, v15
; %bb.736:                              ;   in Loop: Header=BB235_552 Depth=1
	s_or_b32 exec_lo, exec_lo, s18
	v_lshlrev_b32_e32 v15, 16, v113
	s_delay_alu instid0(VALU_DEP_2) | instskip(SKIP_1) | instid1(VALU_DEP_3)
	v_lshlrev_b32_e32 v6, 20, v6
	v_lshl_add_u32 v14, v14, 23, 0x3c000000
	v_and_b32_e32 v15, 0x80000000, v15
	s_delay_alu instid0(VALU_DEP_1)
	v_or3_b32 v15, v6, v15, v14
	v_mov_b32_e32 v14, v7
.LBB235_737:                            ;   in Loop: Header=BB235_552 Depth=1
	s_or_b32 exec_lo, exec_lo, s10
.LBB235_738:                            ;   in Loop: Header=BB235_552 Depth=1
	s_delay_alu instid0(SALU_CYCLE_1)
	s_or_b32 exec_lo, exec_lo, s16
.LBB235_739:                            ;   in Loop: Header=BB235_552 Depth=1
	s_delay_alu instid0(SALU_CYCLE_1) | instskip(SKIP_4) | instid1(VALU_DEP_2)
	s_or_b32 exec_lo, exec_lo, s15
	v_mov_b32_e32 v18, 0
	v_lshrrev_b32_e32 v114, 16, v113
	v_mov_b32_e32 v19, 0
	s_mov_b32 s10, exec_lo
	v_and_b32_e32 v6, 0xff, v114
	s_delay_alu instid0(VALU_DEP_2) | instskip(NEXT) | instid1(VALU_DEP_2)
	v_dual_mov_b32 v16, v18 :: v_dual_mov_b32 v17, v19
	v_cmpx_ne_u16_e32 0, v6
	s_cbranch_execz .LBB235_747
; %bb.740:                              ;   in Loop: Header=BB235_552 Depth=1
	v_bfrev_b32_e32 v16, 1
	v_mov_b32_e32 v17, 0
	s_mov_b32 s15, exec_lo
	v_cmpx_ne_u16_e32 0x80, v6
	s_cbranch_execz .LBB235_746
; %bb.741:                              ;   in Loop: Header=BB235_552 Depth=1
	v_mov_b32_e32 v16, 0x7f800001
	v_bfe_u32 v30, v113, 16, 7
	v_mov_b32_e32 v17, 0
	s_mov_b32 s16, exec_lo
	s_delay_alu instid0(VALU_DEP_2)
	v_cmpx_ne_u32_e32 0x7f, v30
	s_cbranch_execz .LBB235_745
; %bb.742:                              ;   in Loop: Header=BB235_552 Depth=1
	v_and_b32_e32 v6, 7, v114
	v_lshrrev_b32_e32 v16, 3, v30
	s_mov_b32 s18, exec_lo
	v_cmpx_gt_u32_e32 8, v30
; %bb.743:                              ;   in Loop: Header=BB235_552 Depth=1
	s_delay_alu instid0(VALU_DEP_3) | instskip(NEXT) | instid1(VALU_DEP_1)
	v_clz_i32_u32_e32 v16, v6
	v_min_u32_e32 v16, 32, v16
	s_delay_alu instid0(VALU_DEP_1) | instskip(SKIP_1) | instid1(VALU_DEP_2)
	v_subrev_nc_u32_e32 v17, 28, v16
	v_sub_nc_u32_e32 v16, 29, v16
	v_lshlrev_b64 v[115:116], v17, v[6:7]
	s_delay_alu instid0(VALU_DEP_1)
	v_and_b32_e32 v6, 7, v115
; %bb.744:                              ;   in Loop: Header=BB235_552 Depth=1
	s_or_b32 exec_lo, exec_lo, s18
	v_lshlrev_b32_e32 v17, 24, v114
	s_delay_alu instid0(VALU_DEP_2) | instskip(SKIP_1) | instid1(VALU_DEP_3)
	v_lshlrev_b32_e32 v6, 20, v6
	v_lshl_add_u32 v16, v16, 23, 0x3c000000
	v_and_b32_e32 v17, 0x80000000, v17
	s_delay_alu instid0(VALU_DEP_1) | instskip(NEXT) | instid1(VALU_DEP_1)
	v_or3_b32 v6, v6, v17, v16
	v_dual_mov_b32 v17, v7 :: v_dual_mov_b32 v16, v6
.LBB235_745:                            ;   in Loop: Header=BB235_552 Depth=1
	s_or_b32 exec_lo, exec_lo, s16
.LBB235_746:                            ;   in Loop: Header=BB235_552 Depth=1
	s_delay_alu instid0(SALU_CYCLE_1)
	s_or_b32 exec_lo, exec_lo, s15
.LBB235_747:                            ;   in Loop: Header=BB235_552 Depth=1
	s_delay_alu instid0(SALU_CYCLE_1) | instskip(NEXT) | instid1(SALU_CYCLE_1)
	s_or_b32 exec_lo, exec_lo, s10
	s_mov_b32 s15, exec_lo
	v_cmpx_lt_u32_e32 0xffffff, v113
	s_cbranch_execz .LBB235_755
; %bb.748:                              ;   in Loop: Header=BB235_552 Depth=1
	v_lshrrev_b32_e32 v114, 24, v113
	v_dual_mov_b32 v19, s9 :: v_dual_mov_b32 v18, s8
	s_mov_b32 s16, exec_lo
	s_delay_alu instid0(VALU_DEP_2)
	v_cmpx_ne_u32_e32 0x80, v114
	s_cbranch_execz .LBB235_754
; %bb.749:                              ;   in Loop: Header=BB235_552 Depth=1
	s_mov_b32 s10, s8
	v_bfe_u32 v30, v113, 24, 7
	v_dual_mov_b32 v19, s11 :: v_dual_mov_b32 v18, s10
	s_mov_b32 s10, exec_lo
	s_delay_alu instid0(VALU_DEP_2)
	v_cmpx_ne_u32_e32 0x7f, v30
	s_cbranch_execz .LBB235_753
; %bb.750:                              ;   in Loop: Header=BB235_552 Depth=1
	v_and_b32_e32 v6, 7, v114
	v_lshrrev_b32_e32 v18, 3, v30
	s_mov_b32 s18, exec_lo
	v_cmpx_gt_u32_e32 8, v30
; %bb.751:                              ;   in Loop: Header=BB235_552 Depth=1
	s_delay_alu instid0(VALU_DEP_3) | instskip(NEXT) | instid1(VALU_DEP_1)
	v_clz_i32_u32_e32 v18, v6
	v_min_u32_e32 v18, 32, v18
	s_delay_alu instid0(VALU_DEP_1) | instskip(SKIP_1) | instid1(VALU_DEP_2)
	v_subrev_nc_u32_e32 v19, 28, v18
	v_sub_nc_u32_e32 v18, 29, v18
	v_lshlrev_b64 v[115:116], v19, v[6:7]
	s_delay_alu instid0(VALU_DEP_1)
	v_and_b32_e32 v6, 7, v115
; %bb.752:                              ;   in Loop: Header=BB235_552 Depth=1
	s_or_b32 exec_lo, exec_lo, s18
	v_lshlrev_b32_e32 v19, 24, v114
	s_delay_alu instid0(VALU_DEP_2) | instskip(SKIP_1) | instid1(VALU_DEP_3)
	v_lshlrev_b32_e32 v6, 20, v6
	v_lshl_add_u32 v18, v18, 23, 0x3c000000
	v_and_b32_e32 v19, 0x80000000, v19
	s_delay_alu instid0(VALU_DEP_1)
	v_or3_b32 v19, v6, v19, v18
	v_mov_b32_e32 v18, v7
.LBB235_753:                            ;   in Loop: Header=BB235_552 Depth=1
	s_or_b32 exec_lo, exec_lo, s10
.LBB235_754:                            ;   in Loop: Header=BB235_552 Depth=1
	s_delay_alu instid0(SALU_CYCLE_1)
	s_or_b32 exec_lo, exec_lo, s16
.LBB235_755:                            ;   in Loop: Header=BB235_552 Depth=1
	s_delay_alu instid0(SALU_CYCLE_1) | instskip(SKIP_4) | instid1(VALU_DEP_4)
	s_or_b32 exec_lo, exec_lo, s15
	v_or_b32_e32 v5, v15, v5
	v_or_b32_e32 v4, v14, v4
	;; [unrolled: 1-line block ×4, first 2 shown]
	v_mul_f32_e32 v116, v55, v5
	s_delay_alu instid0(VALU_DEP_4) | instskip(NEXT) | instid1(VALU_DEP_4)
	v_mul_f32_e32 v115, v55, v4
	v_mul_f32_e32 v113, v55, v6
	s_delay_alu instid0(VALU_DEP_4)
	v_mul_f32_e32 v114, v55, v14
	s_and_saveexec_b32 s10, vcc_lo
; %bb.756:                              ;   in Loop: Header=BB235_552 Depth=1
	v_cmp_lt_i32_e64 s1, v68, v47
	s_delay_alu instid0(VALU_DEP_1) | instskip(SKIP_1) | instid1(VALU_DEP_1)
	v_cndmask_b32_e64 v115, 0, v115, s1
	v_cmp_lt_i32_e64 s1, v71, v47
	v_cndmask_b32_e64 v116, 0, v116, s1
	v_cmp_lt_i32_e64 s1, v70, v47
	s_delay_alu instid0(VALU_DEP_1) | instskip(SKIP_1) | instid1(VALU_DEP_1)
	v_cndmask_b32_e64 v114, 0, v114, s1
	v_cmp_lt_i32_e64 s1, v69, v47
	v_cndmask_b32_e64 v113, 0, v113, s1
; %bb.757:                              ;   in Loop: Header=BB235_552 Depth=1
	s_or_b32 exec_lo, exec_lo, s10
	flat_load_b32 v117, v[12:13] offset:768
	v_mov_b32_e32 v14, 0
	v_mov_b32_e32 v15, 0
	s_mov_b32 s10, exec_lo
	s_waitcnt vmcnt(0) lgkmcnt(0)
	v_and_b32_e32 v6, 0xff, v117
	s_delay_alu instid0(VALU_DEP_2) | instskip(NEXT) | instid1(VALU_DEP_2)
	v_dual_mov_b32 v4, v14 :: v_dual_mov_b32 v5, v15
	v_cmpx_ne_u16_e32 0, v6
	s_cbranch_execz .LBB235_765
; %bb.758:                              ;   in Loop: Header=BB235_552 Depth=1
	v_bfrev_b32_e32 v4, 1
	v_mov_b32_e32 v5, 0
	s_mov_b32 s15, exec_lo
	v_cmpx_ne_u16_e32 0x80, v6
	s_cbranch_execz .LBB235_764
; %bb.759:                              ;   in Loop: Header=BB235_552 Depth=1
	v_mov_b32_e32 v4, 0x7f800001
	v_dual_mov_b32 v5, 0 :: v_dual_and_b32 v16, 0x7f, v117
	s_mov_b32 s16, exec_lo
	s_delay_alu instid0(VALU_DEP_1)
	v_cmpx_ne_u32_e32 0x7f, v16
	s_cbranch_execz .LBB235_763
; %bb.760:                              ;   in Loop: Header=BB235_552 Depth=1
	v_and_b32_e32 v6, 7, v117
	v_lshrrev_b32_e32 v4, 3, v16
	s_mov_b32 s18, exec_lo
	v_cmpx_gt_u32_e32 8, v16
; %bb.761:                              ;   in Loop: Header=BB235_552 Depth=1
	s_delay_alu instid0(VALU_DEP_3) | instskip(NEXT) | instid1(VALU_DEP_1)
	v_clz_i32_u32_e32 v4, v6
	v_min_u32_e32 v4, 32, v4
	s_delay_alu instid0(VALU_DEP_1) | instskip(SKIP_1) | instid1(VALU_DEP_2)
	v_subrev_nc_u32_e32 v5, 28, v4
	v_sub_nc_u32_e32 v4, 29, v4
	v_lshlrev_b64 v[5:6], v5, v[6:7]
	s_delay_alu instid0(VALU_DEP_1)
	v_and_b32_e32 v6, 7, v5
; %bb.762:                              ;   in Loop: Header=BB235_552 Depth=1
	s_or_b32 exec_lo, exec_lo, s18
	v_lshlrev_b32_e32 v5, 24, v117
	s_delay_alu instid0(VALU_DEP_2) | instskip(SKIP_1) | instid1(VALU_DEP_3)
	v_lshlrev_b32_e32 v6, 20, v6
	v_lshl_add_u32 v4, v4, 23, 0x3c000000
	v_and_b32_e32 v5, 0x80000000, v5
	s_delay_alu instid0(VALU_DEP_1) | instskip(NEXT) | instid1(VALU_DEP_1)
	v_or3_b32 v6, v6, v5, v4
	v_dual_mov_b32 v4, v6 :: v_dual_mov_b32 v5, v7
.LBB235_763:                            ;   in Loop: Header=BB235_552 Depth=1
	s_or_b32 exec_lo, exec_lo, s16
.LBB235_764:                            ;   in Loop: Header=BB235_552 Depth=1
	s_delay_alu instid0(SALU_CYCLE_1)
	s_or_b32 exec_lo, exec_lo, s15
.LBB235_765:                            ;   in Loop: Header=BB235_552 Depth=1
	s_delay_alu instid0(SALU_CYCLE_1) | instskip(SKIP_2) | instid1(VALU_DEP_1)
	s_or_b32 exec_lo, exec_lo, s10
	v_lshrrev_b16 v6, 8, v117
	s_mov_b32 s15, exec_lo
	v_cmpx_ne_u16_e32 0, v6
	s_cbranch_execz .LBB235_773
; %bb.766:                              ;   in Loop: Header=BB235_552 Depth=1
	v_dual_mov_b32 v15, s9 :: v_dual_mov_b32 v14, s8
	s_mov_b32 s16, exec_lo
	v_cmpx_ne_u16_e32 0x80, v6
	s_cbranch_execz .LBB235_772
; %bb.767:                              ;   in Loop: Header=BB235_552 Depth=1
	s_mov_b32 s10, s8
	v_dual_mov_b32 v15, s11 :: v_dual_and_b32 v6, 0xffff, v6
	v_mov_b32_e32 v14, s10
	s_mov_b32 s10, exec_lo
	s_delay_alu instid0(VALU_DEP_2) | instskip(NEXT) | instid1(VALU_DEP_1)
	v_and_b32_e32 v16, 0x7f, v6
	v_cmpx_ne_u32_e32 0x7f, v16
	s_cbranch_execz .LBB235_771
; %bb.768:                              ;   in Loop: Header=BB235_552 Depth=1
	v_and_b32_e32 v6, 7, v6
	v_lshrrev_b32_e32 v14, 3, v16
	s_mov_b32 s18, exec_lo
	v_cmpx_gt_u32_e32 8, v16
; %bb.769:                              ;   in Loop: Header=BB235_552 Depth=1
	s_delay_alu instid0(VALU_DEP_3) | instskip(NEXT) | instid1(VALU_DEP_1)
	v_clz_i32_u32_e32 v14, v6
	v_min_u32_e32 v14, 32, v14
	s_delay_alu instid0(VALU_DEP_1) | instskip(SKIP_1) | instid1(VALU_DEP_2)
	v_subrev_nc_u32_e32 v15, 28, v14
	v_sub_nc_u32_e32 v14, 29, v14
	v_lshlrev_b64 v[15:16], v15, v[6:7]
	s_delay_alu instid0(VALU_DEP_1)
	v_and_b32_e32 v6, 7, v15
; %bb.770:                              ;   in Loop: Header=BB235_552 Depth=1
	s_or_b32 exec_lo, exec_lo, s18
	v_lshlrev_b32_e32 v15, 16, v117
	s_delay_alu instid0(VALU_DEP_2) | instskip(SKIP_1) | instid1(VALU_DEP_3)
	v_lshlrev_b32_e32 v6, 20, v6
	v_lshl_add_u32 v14, v14, 23, 0x3c000000
	v_and_b32_e32 v15, 0x80000000, v15
	s_delay_alu instid0(VALU_DEP_1)
	v_or3_b32 v15, v6, v15, v14
	v_mov_b32_e32 v14, v7
.LBB235_771:                            ;   in Loop: Header=BB235_552 Depth=1
	s_or_b32 exec_lo, exec_lo, s10
.LBB235_772:                            ;   in Loop: Header=BB235_552 Depth=1
	s_delay_alu instid0(SALU_CYCLE_1)
	s_or_b32 exec_lo, exec_lo, s16
.LBB235_773:                            ;   in Loop: Header=BB235_552 Depth=1
	s_delay_alu instid0(SALU_CYCLE_1) | instskip(SKIP_4) | instid1(VALU_DEP_2)
	s_or_b32 exec_lo, exec_lo, s15
	v_mov_b32_e32 v18, 0
	v_lshrrev_b32_e32 v118, 16, v117
	v_mov_b32_e32 v19, 0
	s_mov_b32 s10, exec_lo
	v_and_b32_e32 v6, 0xff, v118
	s_delay_alu instid0(VALU_DEP_2) | instskip(NEXT) | instid1(VALU_DEP_2)
	v_dual_mov_b32 v16, v18 :: v_dual_mov_b32 v17, v19
	v_cmpx_ne_u16_e32 0, v6
	s_cbranch_execz .LBB235_781
; %bb.774:                              ;   in Loop: Header=BB235_552 Depth=1
	v_bfrev_b32_e32 v16, 1
	v_mov_b32_e32 v17, 0
	s_mov_b32 s15, exec_lo
	v_cmpx_ne_u16_e32 0x80, v6
	s_cbranch_execz .LBB235_780
; %bb.775:                              ;   in Loop: Header=BB235_552 Depth=1
	v_mov_b32_e32 v16, 0x7f800001
	v_bfe_u32 v30, v117, 16, 7
	v_mov_b32_e32 v17, 0
	s_mov_b32 s16, exec_lo
	s_delay_alu instid0(VALU_DEP_2)
	v_cmpx_ne_u32_e32 0x7f, v30
	s_cbranch_execz .LBB235_779
; %bb.776:                              ;   in Loop: Header=BB235_552 Depth=1
	v_and_b32_e32 v6, 7, v118
	v_lshrrev_b32_e32 v16, 3, v30
	s_mov_b32 s18, exec_lo
	v_cmpx_gt_u32_e32 8, v30
; %bb.777:                              ;   in Loop: Header=BB235_552 Depth=1
	s_delay_alu instid0(VALU_DEP_3) | instskip(NEXT) | instid1(VALU_DEP_1)
	v_clz_i32_u32_e32 v16, v6
	v_min_u32_e32 v16, 32, v16
	s_delay_alu instid0(VALU_DEP_1) | instskip(SKIP_1) | instid1(VALU_DEP_2)
	v_subrev_nc_u32_e32 v17, 28, v16
	v_sub_nc_u32_e32 v16, 29, v16
	v_lshlrev_b64 v[128:129], v17, v[6:7]
	s_delay_alu instid0(VALU_DEP_1)
	v_and_b32_e32 v6, 7, v128
; %bb.778:                              ;   in Loop: Header=BB235_552 Depth=1
	s_or_b32 exec_lo, exec_lo, s18
	v_lshlrev_b32_e32 v17, 24, v118
	s_delay_alu instid0(VALU_DEP_2) | instskip(SKIP_1) | instid1(VALU_DEP_3)
	v_lshlrev_b32_e32 v6, 20, v6
	v_lshl_add_u32 v16, v16, 23, 0x3c000000
	v_and_b32_e32 v17, 0x80000000, v17
	s_delay_alu instid0(VALU_DEP_1) | instskip(NEXT) | instid1(VALU_DEP_1)
	v_or3_b32 v6, v6, v17, v16
	v_dual_mov_b32 v17, v7 :: v_dual_mov_b32 v16, v6
.LBB235_779:                            ;   in Loop: Header=BB235_552 Depth=1
	s_or_b32 exec_lo, exec_lo, s16
.LBB235_780:                            ;   in Loop: Header=BB235_552 Depth=1
	s_delay_alu instid0(SALU_CYCLE_1)
	s_or_b32 exec_lo, exec_lo, s15
.LBB235_781:                            ;   in Loop: Header=BB235_552 Depth=1
	s_delay_alu instid0(SALU_CYCLE_1) | instskip(NEXT) | instid1(SALU_CYCLE_1)
	s_or_b32 exec_lo, exec_lo, s10
	s_mov_b32 s15, exec_lo
	v_cmpx_lt_u32_e32 0xffffff, v117
	s_cbranch_execz .LBB235_789
; %bb.782:                              ;   in Loop: Header=BB235_552 Depth=1
	v_lshrrev_b32_e32 v118, 24, v117
	v_dual_mov_b32 v19, s9 :: v_dual_mov_b32 v18, s8
	s_mov_b32 s16, exec_lo
	s_delay_alu instid0(VALU_DEP_2)
	v_cmpx_ne_u32_e32 0x80, v118
	s_cbranch_execz .LBB235_788
; %bb.783:                              ;   in Loop: Header=BB235_552 Depth=1
	s_mov_b32 s10, s8
	v_bfe_u32 v30, v117, 24, 7
	v_dual_mov_b32 v19, s11 :: v_dual_mov_b32 v18, s10
	s_mov_b32 s10, exec_lo
	s_delay_alu instid0(VALU_DEP_2)
	v_cmpx_ne_u32_e32 0x7f, v30
	s_cbranch_execz .LBB235_787
; %bb.784:                              ;   in Loop: Header=BB235_552 Depth=1
	v_and_b32_e32 v6, 7, v118
	v_lshrrev_b32_e32 v18, 3, v30
	s_mov_b32 s18, exec_lo
	v_cmpx_gt_u32_e32 8, v30
; %bb.785:                              ;   in Loop: Header=BB235_552 Depth=1
	s_delay_alu instid0(VALU_DEP_3) | instskip(NEXT) | instid1(VALU_DEP_1)
	v_clz_i32_u32_e32 v18, v6
	v_min_u32_e32 v18, 32, v18
	s_delay_alu instid0(VALU_DEP_1) | instskip(SKIP_1) | instid1(VALU_DEP_2)
	v_subrev_nc_u32_e32 v19, 28, v18
	v_sub_nc_u32_e32 v18, 29, v18
	v_lshlrev_b64 v[128:129], v19, v[6:7]
	s_delay_alu instid0(VALU_DEP_1)
	v_and_b32_e32 v6, 7, v128
; %bb.786:                              ;   in Loop: Header=BB235_552 Depth=1
	s_or_b32 exec_lo, exec_lo, s18
	v_lshlrev_b32_e32 v19, 24, v118
	s_delay_alu instid0(VALU_DEP_2) | instskip(SKIP_1) | instid1(VALU_DEP_3)
	v_lshlrev_b32_e32 v6, 20, v6
	v_lshl_add_u32 v18, v18, 23, 0x3c000000
	v_and_b32_e32 v19, 0x80000000, v19
	s_delay_alu instid0(VALU_DEP_1)
	v_or3_b32 v19, v6, v19, v18
	v_mov_b32_e32 v18, v7
.LBB235_787:                            ;   in Loop: Header=BB235_552 Depth=1
	s_or_b32 exec_lo, exec_lo, s10
.LBB235_788:                            ;   in Loop: Header=BB235_552 Depth=1
	s_delay_alu instid0(SALU_CYCLE_1)
	s_or_b32 exec_lo, exec_lo, s16
.LBB235_789:                            ;   in Loop: Header=BB235_552 Depth=1
	s_delay_alu instid0(SALU_CYCLE_1) | instskip(SKIP_4) | instid1(VALU_DEP_4)
	s_or_b32 exec_lo, exec_lo, s15
	v_or_b32_e32 v5, v15, v5
	v_or_b32_e32 v4, v14, v4
	v_or_b32_e32 v6, v19, v17
	v_or_b32_e32 v14, v18, v16
	v_mul_f32_e32 v128, v55, v5
	s_delay_alu instid0(VALU_DEP_4) | instskip(NEXT) | instid1(VALU_DEP_4)
	v_mul_f32_e32 v119, v55, v4
	v_mul_f32_e32 v117, v55, v6
	s_delay_alu instid0(VALU_DEP_4)
	v_mul_f32_e32 v118, v55, v14
	s_and_saveexec_b32 s10, vcc_lo
; %bb.790:                              ;   in Loop: Header=BB235_552 Depth=1
	v_cmp_lt_i32_e64 s1, v68, v47
	s_delay_alu instid0(VALU_DEP_1) | instskip(SKIP_1) | instid1(VALU_DEP_1)
	v_cndmask_b32_e64 v119, 0, v119, s1
	v_cmp_lt_i32_e64 s1, v71, v47
	v_cndmask_b32_e64 v128, 0, v128, s1
	v_cmp_lt_i32_e64 s1, v70, v47
	s_delay_alu instid0(VALU_DEP_1) | instskip(SKIP_1) | instid1(VALU_DEP_1)
	v_cndmask_b32_e64 v118, 0, v118, s1
	v_cmp_lt_i32_e64 s1, v69, v47
	v_cndmask_b32_e64 v117, 0, v117, s1
; %bb.791:                              ;   in Loop: Header=BB235_552 Depth=1
	s_or_b32 exec_lo, exec_lo, s10
	flat_load_b32 v129, v[12:13] offset:896
	v_mov_b32_e32 v14, 0
	v_mov_b32_e32 v15, 0
	s_mov_b32 s10, exec_lo
	s_waitcnt vmcnt(0) lgkmcnt(0)
	v_and_b32_e32 v6, 0xff, v129
	s_delay_alu instid0(VALU_DEP_2) | instskip(NEXT) | instid1(VALU_DEP_2)
	v_dual_mov_b32 v4, v14 :: v_dual_mov_b32 v5, v15
	v_cmpx_ne_u16_e32 0, v6
	s_cbranch_execz .LBB235_799
; %bb.792:                              ;   in Loop: Header=BB235_552 Depth=1
	v_bfrev_b32_e32 v4, 1
	v_mov_b32_e32 v5, 0
	s_mov_b32 s15, exec_lo
	v_cmpx_ne_u16_e32 0x80, v6
	s_cbranch_execz .LBB235_798
; %bb.793:                              ;   in Loop: Header=BB235_552 Depth=1
	v_mov_b32_e32 v4, 0x7f800001
	v_dual_mov_b32 v5, 0 :: v_dual_and_b32 v16, 0x7f, v129
	s_mov_b32 s16, exec_lo
	s_delay_alu instid0(VALU_DEP_1)
	v_cmpx_ne_u32_e32 0x7f, v16
	s_cbranch_execz .LBB235_797
; %bb.794:                              ;   in Loop: Header=BB235_552 Depth=1
	v_and_b32_e32 v6, 7, v129
	v_lshrrev_b32_e32 v4, 3, v16
	s_mov_b32 s18, exec_lo
	v_cmpx_gt_u32_e32 8, v16
; %bb.795:                              ;   in Loop: Header=BB235_552 Depth=1
	s_delay_alu instid0(VALU_DEP_3) | instskip(NEXT) | instid1(VALU_DEP_1)
	v_clz_i32_u32_e32 v4, v6
	v_min_u32_e32 v4, 32, v4
	s_delay_alu instid0(VALU_DEP_1) | instskip(SKIP_1) | instid1(VALU_DEP_2)
	v_subrev_nc_u32_e32 v5, 28, v4
	v_sub_nc_u32_e32 v4, 29, v4
	v_lshlrev_b64 v[5:6], v5, v[6:7]
	s_delay_alu instid0(VALU_DEP_1)
	v_and_b32_e32 v6, 7, v5
; %bb.796:                              ;   in Loop: Header=BB235_552 Depth=1
	s_or_b32 exec_lo, exec_lo, s18
	v_lshlrev_b32_e32 v5, 24, v129
	s_delay_alu instid0(VALU_DEP_2) | instskip(SKIP_1) | instid1(VALU_DEP_3)
	v_lshlrev_b32_e32 v6, 20, v6
	v_lshl_add_u32 v4, v4, 23, 0x3c000000
	v_and_b32_e32 v5, 0x80000000, v5
	s_delay_alu instid0(VALU_DEP_1) | instskip(NEXT) | instid1(VALU_DEP_1)
	v_or3_b32 v6, v6, v5, v4
	v_dual_mov_b32 v4, v6 :: v_dual_mov_b32 v5, v7
.LBB235_797:                            ;   in Loop: Header=BB235_552 Depth=1
	s_or_b32 exec_lo, exec_lo, s16
.LBB235_798:                            ;   in Loop: Header=BB235_552 Depth=1
	s_delay_alu instid0(SALU_CYCLE_1)
	s_or_b32 exec_lo, exec_lo, s15
.LBB235_799:                            ;   in Loop: Header=BB235_552 Depth=1
	s_delay_alu instid0(SALU_CYCLE_1) | instskip(SKIP_2) | instid1(VALU_DEP_1)
	s_or_b32 exec_lo, exec_lo, s10
	v_lshrrev_b16 v6, 8, v129
	s_mov_b32 s15, exec_lo
	v_cmpx_ne_u16_e32 0, v6
	s_cbranch_execz .LBB235_807
; %bb.800:                              ;   in Loop: Header=BB235_552 Depth=1
	v_dual_mov_b32 v15, s9 :: v_dual_mov_b32 v14, s8
	s_mov_b32 s16, exec_lo
	v_cmpx_ne_u16_e32 0x80, v6
	s_cbranch_execz .LBB235_806
; %bb.801:                              ;   in Loop: Header=BB235_552 Depth=1
	s_mov_b32 s10, s8
	v_dual_mov_b32 v15, s11 :: v_dual_and_b32 v6, 0xffff, v6
	v_mov_b32_e32 v14, s10
	s_mov_b32 s10, exec_lo
	s_delay_alu instid0(VALU_DEP_2) | instskip(NEXT) | instid1(VALU_DEP_1)
	v_and_b32_e32 v16, 0x7f, v6
	v_cmpx_ne_u32_e32 0x7f, v16
	s_cbranch_execz .LBB235_805
; %bb.802:                              ;   in Loop: Header=BB235_552 Depth=1
	v_and_b32_e32 v6, 7, v6
	v_lshrrev_b32_e32 v14, 3, v16
	s_mov_b32 s18, exec_lo
	v_cmpx_gt_u32_e32 8, v16
; %bb.803:                              ;   in Loop: Header=BB235_552 Depth=1
	s_delay_alu instid0(VALU_DEP_3) | instskip(NEXT) | instid1(VALU_DEP_1)
	v_clz_i32_u32_e32 v14, v6
	v_min_u32_e32 v14, 32, v14
	s_delay_alu instid0(VALU_DEP_1) | instskip(SKIP_1) | instid1(VALU_DEP_2)
	v_subrev_nc_u32_e32 v15, 28, v14
	v_sub_nc_u32_e32 v14, 29, v14
	v_lshlrev_b64 v[15:16], v15, v[6:7]
	s_delay_alu instid0(VALU_DEP_1)
	v_and_b32_e32 v6, 7, v15
; %bb.804:                              ;   in Loop: Header=BB235_552 Depth=1
	s_or_b32 exec_lo, exec_lo, s18
	v_lshlrev_b32_e32 v15, 16, v129
	s_delay_alu instid0(VALU_DEP_2) | instskip(SKIP_1) | instid1(VALU_DEP_3)
	v_lshlrev_b32_e32 v6, 20, v6
	v_lshl_add_u32 v14, v14, 23, 0x3c000000
	v_and_b32_e32 v15, 0x80000000, v15
	s_delay_alu instid0(VALU_DEP_1)
	v_or3_b32 v15, v6, v15, v14
	v_mov_b32_e32 v14, v7
.LBB235_805:                            ;   in Loop: Header=BB235_552 Depth=1
	s_or_b32 exec_lo, exec_lo, s10
.LBB235_806:                            ;   in Loop: Header=BB235_552 Depth=1
	s_delay_alu instid0(SALU_CYCLE_1)
	s_or_b32 exec_lo, exec_lo, s16
.LBB235_807:                            ;   in Loop: Header=BB235_552 Depth=1
	s_delay_alu instid0(SALU_CYCLE_1) | instskip(SKIP_4) | instid1(VALU_DEP_2)
	s_or_b32 exec_lo, exec_lo, s15
	v_mov_b32_e32 v18, 0
	v_lshrrev_b32_e32 v130, 16, v129
	v_mov_b32_e32 v19, 0
	s_mov_b32 s10, exec_lo
	v_and_b32_e32 v6, 0xff, v130
	s_delay_alu instid0(VALU_DEP_2) | instskip(NEXT) | instid1(VALU_DEP_2)
	v_dual_mov_b32 v16, v18 :: v_dual_mov_b32 v17, v19
	v_cmpx_ne_u16_e32 0, v6
	s_cbranch_execz .LBB235_815
; %bb.808:                              ;   in Loop: Header=BB235_552 Depth=1
	v_bfrev_b32_e32 v16, 1
	v_mov_b32_e32 v17, 0
	s_mov_b32 s15, exec_lo
	v_cmpx_ne_u16_e32 0x80, v6
	s_cbranch_execz .LBB235_814
; %bb.809:                              ;   in Loop: Header=BB235_552 Depth=1
	v_mov_b32_e32 v16, 0x7f800001
	v_bfe_u32 v30, v129, 16, 7
	v_mov_b32_e32 v17, 0
	s_mov_b32 s16, exec_lo
	s_delay_alu instid0(VALU_DEP_2)
	v_cmpx_ne_u32_e32 0x7f, v30
	s_cbranch_execz .LBB235_813
; %bb.810:                              ;   in Loop: Header=BB235_552 Depth=1
	v_and_b32_e32 v6, 7, v130
	v_lshrrev_b32_e32 v16, 3, v30
	s_mov_b32 s18, exec_lo
	v_cmpx_gt_u32_e32 8, v30
; %bb.811:                              ;   in Loop: Header=BB235_552 Depth=1
	s_delay_alu instid0(VALU_DEP_3) | instskip(NEXT) | instid1(VALU_DEP_1)
	v_clz_i32_u32_e32 v16, v6
	v_min_u32_e32 v16, 32, v16
	s_delay_alu instid0(VALU_DEP_1) | instskip(SKIP_1) | instid1(VALU_DEP_2)
	v_subrev_nc_u32_e32 v17, 28, v16
	v_sub_nc_u32_e32 v16, 29, v16
	v_lshlrev_b64 v[131:132], v17, v[6:7]
	s_delay_alu instid0(VALU_DEP_1)
	v_and_b32_e32 v6, 7, v131
; %bb.812:                              ;   in Loop: Header=BB235_552 Depth=1
	s_or_b32 exec_lo, exec_lo, s18
	v_lshlrev_b32_e32 v17, 24, v130
	s_delay_alu instid0(VALU_DEP_2) | instskip(SKIP_1) | instid1(VALU_DEP_3)
	v_lshlrev_b32_e32 v6, 20, v6
	v_lshl_add_u32 v16, v16, 23, 0x3c000000
	v_and_b32_e32 v17, 0x80000000, v17
	s_delay_alu instid0(VALU_DEP_1) | instskip(NEXT) | instid1(VALU_DEP_1)
	v_or3_b32 v6, v6, v17, v16
	v_dual_mov_b32 v17, v7 :: v_dual_mov_b32 v16, v6
.LBB235_813:                            ;   in Loop: Header=BB235_552 Depth=1
	s_or_b32 exec_lo, exec_lo, s16
.LBB235_814:                            ;   in Loop: Header=BB235_552 Depth=1
	s_delay_alu instid0(SALU_CYCLE_1)
	s_or_b32 exec_lo, exec_lo, s15
.LBB235_815:                            ;   in Loop: Header=BB235_552 Depth=1
	s_delay_alu instid0(SALU_CYCLE_1) | instskip(NEXT) | instid1(SALU_CYCLE_1)
	s_or_b32 exec_lo, exec_lo, s10
	s_mov_b32 s15, exec_lo
	v_cmpx_lt_u32_e32 0xffffff, v129
	s_cbranch_execz .LBB235_823
; %bb.816:                              ;   in Loop: Header=BB235_552 Depth=1
	v_lshrrev_b32_e32 v130, 24, v129
	v_dual_mov_b32 v19, s9 :: v_dual_mov_b32 v18, s8
	s_mov_b32 s16, exec_lo
	s_delay_alu instid0(VALU_DEP_2)
	v_cmpx_ne_u32_e32 0x80, v130
	s_cbranch_execz .LBB235_822
; %bb.817:                              ;   in Loop: Header=BB235_552 Depth=1
	s_mov_b32 s10, s8
	v_bfe_u32 v30, v129, 24, 7
	v_dual_mov_b32 v19, s11 :: v_dual_mov_b32 v18, s10
	s_mov_b32 s10, exec_lo
	s_delay_alu instid0(VALU_DEP_2)
	v_cmpx_ne_u32_e32 0x7f, v30
	s_cbranch_execz .LBB235_821
; %bb.818:                              ;   in Loop: Header=BB235_552 Depth=1
	v_and_b32_e32 v6, 7, v130
	v_lshrrev_b32_e32 v18, 3, v30
	s_mov_b32 s18, exec_lo
	v_cmpx_gt_u32_e32 8, v30
; %bb.819:                              ;   in Loop: Header=BB235_552 Depth=1
	s_delay_alu instid0(VALU_DEP_3) | instskip(NEXT) | instid1(VALU_DEP_1)
	v_clz_i32_u32_e32 v18, v6
	v_min_u32_e32 v18, 32, v18
	s_delay_alu instid0(VALU_DEP_1) | instskip(SKIP_1) | instid1(VALU_DEP_2)
	v_subrev_nc_u32_e32 v19, 28, v18
	v_sub_nc_u32_e32 v18, 29, v18
	v_lshlrev_b64 v[131:132], v19, v[6:7]
	s_delay_alu instid0(VALU_DEP_1)
	v_and_b32_e32 v6, 7, v131
; %bb.820:                              ;   in Loop: Header=BB235_552 Depth=1
	s_or_b32 exec_lo, exec_lo, s18
	v_lshlrev_b32_e32 v19, 24, v130
	s_delay_alu instid0(VALU_DEP_2) | instskip(SKIP_1) | instid1(VALU_DEP_3)
	v_lshlrev_b32_e32 v6, 20, v6
	v_lshl_add_u32 v18, v18, 23, 0x3c000000
	v_and_b32_e32 v19, 0x80000000, v19
	s_delay_alu instid0(VALU_DEP_1)
	v_or3_b32 v19, v6, v19, v18
	v_mov_b32_e32 v18, v7
.LBB235_821:                            ;   in Loop: Header=BB235_552 Depth=1
	s_or_b32 exec_lo, exec_lo, s10
.LBB235_822:                            ;   in Loop: Header=BB235_552 Depth=1
	s_delay_alu instid0(SALU_CYCLE_1)
	s_or_b32 exec_lo, exec_lo, s16
.LBB235_823:                            ;   in Loop: Header=BB235_552 Depth=1
	s_delay_alu instid0(SALU_CYCLE_1) | instskip(SKIP_4) | instid1(VALU_DEP_4)
	s_or_b32 exec_lo, exec_lo, s15
	v_or_b32_e32 v5, v15, v5
	v_or_b32_e32 v4, v14, v4
	;; [unrolled: 1-line block ×4, first 2 shown]
	v_mul_f32_e32 v132, v55, v5
	s_delay_alu instid0(VALU_DEP_4) | instskip(NEXT) | instid1(VALU_DEP_4)
	v_mul_f32_e32 v131, v55, v4
	v_mul_f32_e32 v129, v55, v6
	s_delay_alu instid0(VALU_DEP_4)
	v_mul_f32_e32 v130, v55, v14
	s_and_saveexec_b32 s10, vcc_lo
; %bb.824:                              ;   in Loop: Header=BB235_552 Depth=1
	v_cmp_lt_i32_e64 s1, v68, v47
	s_delay_alu instid0(VALU_DEP_1) | instskip(SKIP_1) | instid1(VALU_DEP_1)
	v_cndmask_b32_e64 v131, 0, v131, s1
	v_cmp_lt_i32_e64 s1, v71, v47
	v_cndmask_b32_e64 v132, 0, v132, s1
	v_cmp_lt_i32_e64 s1, v70, v47
	s_delay_alu instid0(VALU_DEP_1) | instskip(SKIP_1) | instid1(VALU_DEP_1)
	v_cndmask_b32_e64 v130, 0, v130, s1
	v_cmp_lt_i32_e64 s1, v69, v47
	v_cndmask_b32_e64 v129, 0, v129, s1
; %bb.825:                              ;   in Loop: Header=BB235_552 Depth=1
	s_or_b32 exec_lo, exec_lo, s10
	flat_load_b32 v133, v[12:13] offset:1024
	v_mov_b32_e32 v14, 0
	v_mov_b32_e32 v15, 0
	s_mov_b32 s10, exec_lo
	s_waitcnt vmcnt(0) lgkmcnt(0)
	v_and_b32_e32 v6, 0xff, v133
	s_delay_alu instid0(VALU_DEP_2) | instskip(NEXT) | instid1(VALU_DEP_2)
	v_dual_mov_b32 v4, v14 :: v_dual_mov_b32 v5, v15
	v_cmpx_ne_u16_e32 0, v6
	s_cbranch_execz .LBB235_833
; %bb.826:                              ;   in Loop: Header=BB235_552 Depth=1
	v_bfrev_b32_e32 v4, 1
	v_mov_b32_e32 v5, 0
	s_mov_b32 s15, exec_lo
	v_cmpx_ne_u16_e32 0x80, v6
	s_cbranch_execz .LBB235_832
; %bb.827:                              ;   in Loop: Header=BB235_552 Depth=1
	v_mov_b32_e32 v4, 0x7f800001
	v_dual_mov_b32 v5, 0 :: v_dual_and_b32 v16, 0x7f, v133
	s_mov_b32 s16, exec_lo
	s_delay_alu instid0(VALU_DEP_1)
	v_cmpx_ne_u32_e32 0x7f, v16
	s_cbranch_execz .LBB235_831
; %bb.828:                              ;   in Loop: Header=BB235_552 Depth=1
	v_and_b32_e32 v6, 7, v133
	v_lshrrev_b32_e32 v4, 3, v16
	s_mov_b32 s18, exec_lo
	v_cmpx_gt_u32_e32 8, v16
; %bb.829:                              ;   in Loop: Header=BB235_552 Depth=1
	s_delay_alu instid0(VALU_DEP_3) | instskip(NEXT) | instid1(VALU_DEP_1)
	v_clz_i32_u32_e32 v4, v6
	v_min_u32_e32 v4, 32, v4
	s_delay_alu instid0(VALU_DEP_1) | instskip(SKIP_1) | instid1(VALU_DEP_2)
	v_subrev_nc_u32_e32 v5, 28, v4
	v_sub_nc_u32_e32 v4, 29, v4
	v_lshlrev_b64 v[5:6], v5, v[6:7]
	s_delay_alu instid0(VALU_DEP_1)
	v_and_b32_e32 v6, 7, v5
; %bb.830:                              ;   in Loop: Header=BB235_552 Depth=1
	s_or_b32 exec_lo, exec_lo, s18
	v_lshlrev_b32_e32 v5, 24, v133
	s_delay_alu instid0(VALU_DEP_2) | instskip(SKIP_1) | instid1(VALU_DEP_3)
	v_lshlrev_b32_e32 v6, 20, v6
	v_lshl_add_u32 v4, v4, 23, 0x3c000000
	v_and_b32_e32 v5, 0x80000000, v5
	s_delay_alu instid0(VALU_DEP_1) | instskip(NEXT) | instid1(VALU_DEP_1)
	v_or3_b32 v6, v6, v5, v4
	v_dual_mov_b32 v4, v6 :: v_dual_mov_b32 v5, v7
.LBB235_831:                            ;   in Loop: Header=BB235_552 Depth=1
	s_or_b32 exec_lo, exec_lo, s16
.LBB235_832:                            ;   in Loop: Header=BB235_552 Depth=1
	s_delay_alu instid0(SALU_CYCLE_1)
	s_or_b32 exec_lo, exec_lo, s15
.LBB235_833:                            ;   in Loop: Header=BB235_552 Depth=1
	s_delay_alu instid0(SALU_CYCLE_1) | instskip(SKIP_2) | instid1(VALU_DEP_1)
	s_or_b32 exec_lo, exec_lo, s10
	v_lshrrev_b16 v6, 8, v133
	s_mov_b32 s15, exec_lo
	v_cmpx_ne_u16_e32 0, v6
	s_cbranch_execz .LBB235_841
; %bb.834:                              ;   in Loop: Header=BB235_552 Depth=1
	v_dual_mov_b32 v15, s9 :: v_dual_mov_b32 v14, s8
	s_mov_b32 s16, exec_lo
	v_cmpx_ne_u16_e32 0x80, v6
	s_cbranch_execz .LBB235_840
; %bb.835:                              ;   in Loop: Header=BB235_552 Depth=1
	s_mov_b32 s10, s8
	v_dual_mov_b32 v15, s11 :: v_dual_and_b32 v6, 0xffff, v6
	v_mov_b32_e32 v14, s10
	s_mov_b32 s10, exec_lo
	s_delay_alu instid0(VALU_DEP_2) | instskip(NEXT) | instid1(VALU_DEP_1)
	v_and_b32_e32 v16, 0x7f, v6
	v_cmpx_ne_u32_e32 0x7f, v16
	s_cbranch_execz .LBB235_839
; %bb.836:                              ;   in Loop: Header=BB235_552 Depth=1
	v_and_b32_e32 v6, 7, v6
	v_lshrrev_b32_e32 v14, 3, v16
	s_mov_b32 s18, exec_lo
	v_cmpx_gt_u32_e32 8, v16
; %bb.837:                              ;   in Loop: Header=BB235_552 Depth=1
	s_delay_alu instid0(VALU_DEP_3) | instskip(NEXT) | instid1(VALU_DEP_1)
	v_clz_i32_u32_e32 v14, v6
	v_min_u32_e32 v14, 32, v14
	s_delay_alu instid0(VALU_DEP_1) | instskip(SKIP_1) | instid1(VALU_DEP_2)
	v_subrev_nc_u32_e32 v15, 28, v14
	v_sub_nc_u32_e32 v14, 29, v14
	v_lshlrev_b64 v[15:16], v15, v[6:7]
	s_delay_alu instid0(VALU_DEP_1)
	v_and_b32_e32 v6, 7, v15
; %bb.838:                              ;   in Loop: Header=BB235_552 Depth=1
	s_or_b32 exec_lo, exec_lo, s18
	v_lshlrev_b32_e32 v15, 16, v133
	s_delay_alu instid0(VALU_DEP_2) | instskip(SKIP_1) | instid1(VALU_DEP_3)
	v_lshlrev_b32_e32 v6, 20, v6
	v_lshl_add_u32 v14, v14, 23, 0x3c000000
	v_and_b32_e32 v15, 0x80000000, v15
	s_delay_alu instid0(VALU_DEP_1)
	v_or3_b32 v15, v6, v15, v14
	v_mov_b32_e32 v14, v7
.LBB235_839:                            ;   in Loop: Header=BB235_552 Depth=1
	s_or_b32 exec_lo, exec_lo, s10
.LBB235_840:                            ;   in Loop: Header=BB235_552 Depth=1
	s_delay_alu instid0(SALU_CYCLE_1)
	s_or_b32 exec_lo, exec_lo, s16
.LBB235_841:                            ;   in Loop: Header=BB235_552 Depth=1
	s_delay_alu instid0(SALU_CYCLE_1) | instskip(SKIP_4) | instid1(VALU_DEP_2)
	s_or_b32 exec_lo, exec_lo, s15
	v_mov_b32_e32 v18, 0
	v_lshrrev_b32_e32 v134, 16, v133
	v_mov_b32_e32 v19, 0
	s_mov_b32 s10, exec_lo
	v_and_b32_e32 v6, 0xff, v134
	s_delay_alu instid0(VALU_DEP_2) | instskip(NEXT) | instid1(VALU_DEP_2)
	v_dual_mov_b32 v16, v18 :: v_dual_mov_b32 v17, v19
	v_cmpx_ne_u16_e32 0, v6
	s_cbranch_execz .LBB235_849
; %bb.842:                              ;   in Loop: Header=BB235_552 Depth=1
	v_bfrev_b32_e32 v16, 1
	v_mov_b32_e32 v17, 0
	s_mov_b32 s15, exec_lo
	v_cmpx_ne_u16_e32 0x80, v6
	s_cbranch_execz .LBB235_848
; %bb.843:                              ;   in Loop: Header=BB235_552 Depth=1
	v_mov_b32_e32 v16, 0x7f800001
	v_bfe_u32 v30, v133, 16, 7
	v_mov_b32_e32 v17, 0
	s_mov_b32 s16, exec_lo
	s_delay_alu instid0(VALU_DEP_2)
	v_cmpx_ne_u32_e32 0x7f, v30
	s_cbranch_execz .LBB235_847
; %bb.844:                              ;   in Loop: Header=BB235_552 Depth=1
	v_and_b32_e32 v6, 7, v134
	v_lshrrev_b32_e32 v16, 3, v30
	s_mov_b32 s18, exec_lo
	v_cmpx_gt_u32_e32 8, v30
; %bb.845:                              ;   in Loop: Header=BB235_552 Depth=1
	s_delay_alu instid0(VALU_DEP_3) | instskip(NEXT) | instid1(VALU_DEP_1)
	v_clz_i32_u32_e32 v16, v6
	v_min_u32_e32 v16, 32, v16
	s_delay_alu instid0(VALU_DEP_1) | instskip(SKIP_1) | instid1(VALU_DEP_2)
	v_subrev_nc_u32_e32 v17, 28, v16
	v_sub_nc_u32_e32 v16, 29, v16
	v_lshlrev_b64 v[144:145], v17, v[6:7]
	s_delay_alu instid0(VALU_DEP_1)
	v_and_b32_e32 v6, 7, v144
; %bb.846:                              ;   in Loop: Header=BB235_552 Depth=1
	s_or_b32 exec_lo, exec_lo, s18
	v_lshlrev_b32_e32 v17, 24, v134
	s_delay_alu instid0(VALU_DEP_2) | instskip(SKIP_1) | instid1(VALU_DEP_3)
	v_lshlrev_b32_e32 v6, 20, v6
	v_lshl_add_u32 v16, v16, 23, 0x3c000000
	v_and_b32_e32 v17, 0x80000000, v17
	s_delay_alu instid0(VALU_DEP_1) | instskip(NEXT) | instid1(VALU_DEP_1)
	v_or3_b32 v6, v6, v17, v16
	v_dual_mov_b32 v17, v7 :: v_dual_mov_b32 v16, v6
.LBB235_847:                            ;   in Loop: Header=BB235_552 Depth=1
	s_or_b32 exec_lo, exec_lo, s16
.LBB235_848:                            ;   in Loop: Header=BB235_552 Depth=1
	s_delay_alu instid0(SALU_CYCLE_1)
	s_or_b32 exec_lo, exec_lo, s15
.LBB235_849:                            ;   in Loop: Header=BB235_552 Depth=1
	s_delay_alu instid0(SALU_CYCLE_1) | instskip(NEXT) | instid1(SALU_CYCLE_1)
	s_or_b32 exec_lo, exec_lo, s10
	s_mov_b32 s15, exec_lo
	v_cmpx_lt_u32_e32 0xffffff, v133
	s_cbranch_execz .LBB235_857
; %bb.850:                              ;   in Loop: Header=BB235_552 Depth=1
	v_lshrrev_b32_e32 v134, 24, v133
	v_dual_mov_b32 v19, s9 :: v_dual_mov_b32 v18, s8
	s_mov_b32 s16, exec_lo
	s_delay_alu instid0(VALU_DEP_2)
	v_cmpx_ne_u32_e32 0x80, v134
	s_cbranch_execz .LBB235_856
; %bb.851:                              ;   in Loop: Header=BB235_552 Depth=1
	s_mov_b32 s10, s8
	v_bfe_u32 v30, v133, 24, 7
	v_dual_mov_b32 v19, s11 :: v_dual_mov_b32 v18, s10
	s_mov_b32 s10, exec_lo
	s_delay_alu instid0(VALU_DEP_2)
	v_cmpx_ne_u32_e32 0x7f, v30
	s_cbranch_execz .LBB235_855
; %bb.852:                              ;   in Loop: Header=BB235_552 Depth=1
	v_and_b32_e32 v6, 7, v134
	v_lshrrev_b32_e32 v18, 3, v30
	s_mov_b32 s18, exec_lo
	v_cmpx_gt_u32_e32 8, v30
; %bb.853:                              ;   in Loop: Header=BB235_552 Depth=1
	s_delay_alu instid0(VALU_DEP_3) | instskip(NEXT) | instid1(VALU_DEP_1)
	v_clz_i32_u32_e32 v18, v6
	v_min_u32_e32 v18, 32, v18
	s_delay_alu instid0(VALU_DEP_1) | instskip(SKIP_1) | instid1(VALU_DEP_2)
	v_subrev_nc_u32_e32 v19, 28, v18
	v_sub_nc_u32_e32 v18, 29, v18
	v_lshlrev_b64 v[144:145], v19, v[6:7]
	s_delay_alu instid0(VALU_DEP_1)
	v_and_b32_e32 v6, 7, v144
; %bb.854:                              ;   in Loop: Header=BB235_552 Depth=1
	s_or_b32 exec_lo, exec_lo, s18
	v_lshlrev_b32_e32 v19, 24, v134
	s_delay_alu instid0(VALU_DEP_2) | instskip(SKIP_1) | instid1(VALU_DEP_3)
	v_lshlrev_b32_e32 v6, 20, v6
	v_lshl_add_u32 v18, v18, 23, 0x3c000000
	v_and_b32_e32 v19, 0x80000000, v19
	s_delay_alu instid0(VALU_DEP_1)
	v_or3_b32 v19, v6, v19, v18
	v_mov_b32_e32 v18, v7
.LBB235_855:                            ;   in Loop: Header=BB235_552 Depth=1
	s_or_b32 exec_lo, exec_lo, s10
.LBB235_856:                            ;   in Loop: Header=BB235_552 Depth=1
	s_delay_alu instid0(SALU_CYCLE_1)
	s_or_b32 exec_lo, exec_lo, s16
.LBB235_857:                            ;   in Loop: Header=BB235_552 Depth=1
	s_delay_alu instid0(SALU_CYCLE_1) | instskip(SKIP_4) | instid1(VALU_DEP_4)
	s_or_b32 exec_lo, exec_lo, s15
	v_or_b32_e32 v5, v15, v5
	v_or_b32_e32 v4, v14, v4
	;; [unrolled: 1-line block ×4, first 2 shown]
	v_mul_f32_e32 v144, v55, v5
	s_delay_alu instid0(VALU_DEP_4) | instskip(NEXT) | instid1(VALU_DEP_4)
	v_mul_f32_e32 v135, v55, v4
	v_mul_f32_e32 v133, v55, v6
	s_delay_alu instid0(VALU_DEP_4)
	v_mul_f32_e32 v134, v55, v14
	s_and_saveexec_b32 s10, vcc_lo
; %bb.858:                              ;   in Loop: Header=BB235_552 Depth=1
	v_cmp_lt_i32_e64 s1, v68, v47
	s_delay_alu instid0(VALU_DEP_1) | instskip(SKIP_1) | instid1(VALU_DEP_1)
	v_cndmask_b32_e64 v135, 0, v135, s1
	v_cmp_lt_i32_e64 s1, v71, v47
	v_cndmask_b32_e64 v144, 0, v144, s1
	v_cmp_lt_i32_e64 s1, v70, v47
	s_delay_alu instid0(VALU_DEP_1) | instskip(SKIP_1) | instid1(VALU_DEP_1)
	v_cndmask_b32_e64 v134, 0, v134, s1
	v_cmp_lt_i32_e64 s1, v69, v47
	v_cndmask_b32_e64 v133, 0, v133, s1
; %bb.859:                              ;   in Loop: Header=BB235_552 Depth=1
	s_or_b32 exec_lo, exec_lo, s10
	flat_load_b32 v145, v[12:13] offset:1152
	v_mov_b32_e32 v14, 0
	v_mov_b32_e32 v15, 0
	s_mov_b32 s10, exec_lo
	s_waitcnt vmcnt(0) lgkmcnt(0)
	v_and_b32_e32 v6, 0xff, v145
	s_delay_alu instid0(VALU_DEP_2) | instskip(NEXT) | instid1(VALU_DEP_2)
	v_dual_mov_b32 v4, v14 :: v_dual_mov_b32 v5, v15
	v_cmpx_ne_u16_e32 0, v6
	s_cbranch_execz .LBB235_867
; %bb.860:                              ;   in Loop: Header=BB235_552 Depth=1
	v_bfrev_b32_e32 v4, 1
	v_mov_b32_e32 v5, 0
	s_mov_b32 s15, exec_lo
	v_cmpx_ne_u16_e32 0x80, v6
	s_cbranch_execz .LBB235_866
; %bb.861:                              ;   in Loop: Header=BB235_552 Depth=1
	v_mov_b32_e32 v4, 0x7f800001
	v_dual_mov_b32 v5, 0 :: v_dual_and_b32 v16, 0x7f, v145
	s_mov_b32 s16, exec_lo
	s_delay_alu instid0(VALU_DEP_1)
	v_cmpx_ne_u32_e32 0x7f, v16
	s_cbranch_execz .LBB235_865
; %bb.862:                              ;   in Loop: Header=BB235_552 Depth=1
	v_and_b32_e32 v6, 7, v145
	v_lshrrev_b32_e32 v4, 3, v16
	s_mov_b32 s18, exec_lo
	v_cmpx_gt_u32_e32 8, v16
; %bb.863:                              ;   in Loop: Header=BB235_552 Depth=1
	s_delay_alu instid0(VALU_DEP_3) | instskip(NEXT) | instid1(VALU_DEP_1)
	v_clz_i32_u32_e32 v4, v6
	v_min_u32_e32 v4, 32, v4
	s_delay_alu instid0(VALU_DEP_1) | instskip(SKIP_1) | instid1(VALU_DEP_2)
	v_subrev_nc_u32_e32 v5, 28, v4
	v_sub_nc_u32_e32 v4, 29, v4
	v_lshlrev_b64 v[5:6], v5, v[6:7]
	s_delay_alu instid0(VALU_DEP_1)
	v_and_b32_e32 v6, 7, v5
; %bb.864:                              ;   in Loop: Header=BB235_552 Depth=1
	s_or_b32 exec_lo, exec_lo, s18
	v_lshlrev_b32_e32 v5, 24, v145
	s_delay_alu instid0(VALU_DEP_2) | instskip(SKIP_1) | instid1(VALU_DEP_3)
	v_lshlrev_b32_e32 v6, 20, v6
	v_lshl_add_u32 v4, v4, 23, 0x3c000000
	v_and_b32_e32 v5, 0x80000000, v5
	s_delay_alu instid0(VALU_DEP_1) | instskip(NEXT) | instid1(VALU_DEP_1)
	v_or3_b32 v6, v6, v5, v4
	v_dual_mov_b32 v4, v6 :: v_dual_mov_b32 v5, v7
.LBB235_865:                            ;   in Loop: Header=BB235_552 Depth=1
	s_or_b32 exec_lo, exec_lo, s16
.LBB235_866:                            ;   in Loop: Header=BB235_552 Depth=1
	s_delay_alu instid0(SALU_CYCLE_1)
	s_or_b32 exec_lo, exec_lo, s15
.LBB235_867:                            ;   in Loop: Header=BB235_552 Depth=1
	s_delay_alu instid0(SALU_CYCLE_1) | instskip(SKIP_2) | instid1(VALU_DEP_1)
	s_or_b32 exec_lo, exec_lo, s10
	v_lshrrev_b16 v6, 8, v145
	s_mov_b32 s15, exec_lo
	v_cmpx_ne_u16_e32 0, v6
	s_cbranch_execz .LBB235_875
; %bb.868:                              ;   in Loop: Header=BB235_552 Depth=1
	v_dual_mov_b32 v15, s9 :: v_dual_mov_b32 v14, s8
	s_mov_b32 s16, exec_lo
	v_cmpx_ne_u16_e32 0x80, v6
	s_cbranch_execz .LBB235_874
; %bb.869:                              ;   in Loop: Header=BB235_552 Depth=1
	s_mov_b32 s10, s8
	v_dual_mov_b32 v15, s11 :: v_dual_and_b32 v6, 0xffff, v6
	v_mov_b32_e32 v14, s10
	s_mov_b32 s10, exec_lo
	s_delay_alu instid0(VALU_DEP_2) | instskip(NEXT) | instid1(VALU_DEP_1)
	v_and_b32_e32 v16, 0x7f, v6
	v_cmpx_ne_u32_e32 0x7f, v16
	s_cbranch_execz .LBB235_873
; %bb.870:                              ;   in Loop: Header=BB235_552 Depth=1
	v_and_b32_e32 v6, 7, v6
	v_lshrrev_b32_e32 v14, 3, v16
	s_mov_b32 s18, exec_lo
	v_cmpx_gt_u32_e32 8, v16
; %bb.871:                              ;   in Loop: Header=BB235_552 Depth=1
	s_delay_alu instid0(VALU_DEP_3) | instskip(NEXT) | instid1(VALU_DEP_1)
	v_clz_i32_u32_e32 v14, v6
	v_min_u32_e32 v14, 32, v14
	s_delay_alu instid0(VALU_DEP_1) | instskip(SKIP_1) | instid1(VALU_DEP_2)
	v_subrev_nc_u32_e32 v15, 28, v14
	v_sub_nc_u32_e32 v14, 29, v14
	v_lshlrev_b64 v[15:16], v15, v[6:7]
	s_delay_alu instid0(VALU_DEP_1)
	v_and_b32_e32 v6, 7, v15
; %bb.872:                              ;   in Loop: Header=BB235_552 Depth=1
	s_or_b32 exec_lo, exec_lo, s18
	v_lshlrev_b32_e32 v15, 16, v145
	s_delay_alu instid0(VALU_DEP_2) | instskip(SKIP_1) | instid1(VALU_DEP_3)
	v_lshlrev_b32_e32 v6, 20, v6
	v_lshl_add_u32 v14, v14, 23, 0x3c000000
	v_and_b32_e32 v15, 0x80000000, v15
	s_delay_alu instid0(VALU_DEP_1)
	v_or3_b32 v15, v6, v15, v14
	v_mov_b32_e32 v14, v7
.LBB235_873:                            ;   in Loop: Header=BB235_552 Depth=1
	s_or_b32 exec_lo, exec_lo, s10
.LBB235_874:                            ;   in Loop: Header=BB235_552 Depth=1
	s_delay_alu instid0(SALU_CYCLE_1)
	s_or_b32 exec_lo, exec_lo, s16
.LBB235_875:                            ;   in Loop: Header=BB235_552 Depth=1
	s_delay_alu instid0(SALU_CYCLE_1) | instskip(SKIP_4) | instid1(VALU_DEP_2)
	s_or_b32 exec_lo, exec_lo, s15
	v_mov_b32_e32 v18, 0
	v_lshrrev_b32_e32 v146, 16, v145
	v_mov_b32_e32 v19, 0
	s_mov_b32 s10, exec_lo
	v_and_b32_e32 v6, 0xff, v146
	s_delay_alu instid0(VALU_DEP_2) | instskip(NEXT) | instid1(VALU_DEP_2)
	v_dual_mov_b32 v16, v18 :: v_dual_mov_b32 v17, v19
	v_cmpx_ne_u16_e32 0, v6
	s_cbranch_execz .LBB235_883
; %bb.876:                              ;   in Loop: Header=BB235_552 Depth=1
	v_bfrev_b32_e32 v16, 1
	v_mov_b32_e32 v17, 0
	s_mov_b32 s15, exec_lo
	v_cmpx_ne_u16_e32 0x80, v6
	s_cbranch_execz .LBB235_882
; %bb.877:                              ;   in Loop: Header=BB235_552 Depth=1
	v_mov_b32_e32 v16, 0x7f800001
	v_bfe_u32 v30, v145, 16, 7
	v_mov_b32_e32 v17, 0
	s_mov_b32 s16, exec_lo
	s_delay_alu instid0(VALU_DEP_2)
	v_cmpx_ne_u32_e32 0x7f, v30
	s_cbranch_execz .LBB235_881
; %bb.878:                              ;   in Loop: Header=BB235_552 Depth=1
	v_and_b32_e32 v6, 7, v146
	v_lshrrev_b32_e32 v16, 3, v30
	s_mov_b32 s18, exec_lo
	v_cmpx_gt_u32_e32 8, v30
; %bb.879:                              ;   in Loop: Header=BB235_552 Depth=1
	s_delay_alu instid0(VALU_DEP_3) | instskip(NEXT) | instid1(VALU_DEP_1)
	v_clz_i32_u32_e32 v16, v6
	v_min_u32_e32 v16, 32, v16
	s_delay_alu instid0(VALU_DEP_1) | instskip(SKIP_1) | instid1(VALU_DEP_2)
	v_subrev_nc_u32_e32 v17, 28, v16
	v_sub_nc_u32_e32 v16, 29, v16
	v_lshlrev_b64 v[147:148], v17, v[6:7]
	s_delay_alu instid0(VALU_DEP_1)
	v_and_b32_e32 v6, 7, v147
; %bb.880:                              ;   in Loop: Header=BB235_552 Depth=1
	s_or_b32 exec_lo, exec_lo, s18
	v_lshlrev_b32_e32 v17, 24, v146
	s_delay_alu instid0(VALU_DEP_2) | instskip(SKIP_1) | instid1(VALU_DEP_3)
	v_lshlrev_b32_e32 v6, 20, v6
	v_lshl_add_u32 v16, v16, 23, 0x3c000000
	v_and_b32_e32 v17, 0x80000000, v17
	s_delay_alu instid0(VALU_DEP_1) | instskip(NEXT) | instid1(VALU_DEP_1)
	v_or3_b32 v6, v6, v17, v16
	v_dual_mov_b32 v17, v7 :: v_dual_mov_b32 v16, v6
.LBB235_881:                            ;   in Loop: Header=BB235_552 Depth=1
	s_or_b32 exec_lo, exec_lo, s16
.LBB235_882:                            ;   in Loop: Header=BB235_552 Depth=1
	s_delay_alu instid0(SALU_CYCLE_1)
	s_or_b32 exec_lo, exec_lo, s15
.LBB235_883:                            ;   in Loop: Header=BB235_552 Depth=1
	s_delay_alu instid0(SALU_CYCLE_1) | instskip(NEXT) | instid1(SALU_CYCLE_1)
	s_or_b32 exec_lo, exec_lo, s10
	s_mov_b32 s15, exec_lo
	v_cmpx_lt_u32_e32 0xffffff, v145
	s_cbranch_execz .LBB235_891
; %bb.884:                              ;   in Loop: Header=BB235_552 Depth=1
	v_lshrrev_b32_e32 v146, 24, v145
	v_dual_mov_b32 v19, s9 :: v_dual_mov_b32 v18, s8
	s_mov_b32 s16, exec_lo
	s_delay_alu instid0(VALU_DEP_2)
	v_cmpx_ne_u32_e32 0x80, v146
	s_cbranch_execz .LBB235_890
; %bb.885:                              ;   in Loop: Header=BB235_552 Depth=1
	s_mov_b32 s10, s8
	v_bfe_u32 v30, v145, 24, 7
	v_dual_mov_b32 v19, s11 :: v_dual_mov_b32 v18, s10
	s_mov_b32 s10, exec_lo
	s_delay_alu instid0(VALU_DEP_2)
	v_cmpx_ne_u32_e32 0x7f, v30
	s_cbranch_execz .LBB235_889
; %bb.886:                              ;   in Loop: Header=BB235_552 Depth=1
	v_and_b32_e32 v6, 7, v146
	v_lshrrev_b32_e32 v18, 3, v30
	s_mov_b32 s18, exec_lo
	v_cmpx_gt_u32_e32 8, v30
; %bb.887:                              ;   in Loop: Header=BB235_552 Depth=1
	s_delay_alu instid0(VALU_DEP_3) | instskip(NEXT) | instid1(VALU_DEP_1)
	v_clz_i32_u32_e32 v18, v6
	v_min_u32_e32 v18, 32, v18
	s_delay_alu instid0(VALU_DEP_1) | instskip(SKIP_1) | instid1(VALU_DEP_2)
	v_subrev_nc_u32_e32 v19, 28, v18
	v_sub_nc_u32_e32 v18, 29, v18
	v_lshlrev_b64 v[147:148], v19, v[6:7]
	s_delay_alu instid0(VALU_DEP_1)
	v_and_b32_e32 v6, 7, v147
; %bb.888:                              ;   in Loop: Header=BB235_552 Depth=1
	s_or_b32 exec_lo, exec_lo, s18
	v_lshlrev_b32_e32 v19, 24, v146
	s_delay_alu instid0(VALU_DEP_2) | instskip(SKIP_1) | instid1(VALU_DEP_3)
	v_lshlrev_b32_e32 v6, 20, v6
	v_lshl_add_u32 v18, v18, 23, 0x3c000000
	v_and_b32_e32 v19, 0x80000000, v19
	s_delay_alu instid0(VALU_DEP_1)
	v_or3_b32 v19, v6, v19, v18
	v_mov_b32_e32 v18, v7
.LBB235_889:                            ;   in Loop: Header=BB235_552 Depth=1
	s_or_b32 exec_lo, exec_lo, s10
.LBB235_890:                            ;   in Loop: Header=BB235_552 Depth=1
	s_delay_alu instid0(SALU_CYCLE_1)
	s_or_b32 exec_lo, exec_lo, s16
.LBB235_891:                            ;   in Loop: Header=BB235_552 Depth=1
	s_delay_alu instid0(SALU_CYCLE_1) | instskip(SKIP_4) | instid1(VALU_DEP_4)
	s_or_b32 exec_lo, exec_lo, s15
	v_or_b32_e32 v5, v15, v5
	v_or_b32_e32 v4, v14, v4
	;; [unrolled: 1-line block ×4, first 2 shown]
	v_mul_f32_e32 v148, v55, v5
	s_delay_alu instid0(VALU_DEP_4) | instskip(NEXT) | instid1(VALU_DEP_4)
	v_mul_f32_e32 v147, v55, v4
	v_mul_f32_e32 v145, v55, v6
	s_delay_alu instid0(VALU_DEP_4)
	v_mul_f32_e32 v146, v55, v14
	s_and_saveexec_b32 s10, vcc_lo
; %bb.892:                              ;   in Loop: Header=BB235_552 Depth=1
	v_cmp_lt_i32_e64 s1, v68, v47
	s_delay_alu instid0(VALU_DEP_1) | instskip(SKIP_1) | instid1(VALU_DEP_1)
	v_cndmask_b32_e64 v147, 0, v147, s1
	v_cmp_lt_i32_e64 s1, v71, v47
	v_cndmask_b32_e64 v148, 0, v148, s1
	v_cmp_lt_i32_e64 s1, v70, v47
	s_delay_alu instid0(VALU_DEP_1) | instskip(SKIP_1) | instid1(VALU_DEP_1)
	v_cndmask_b32_e64 v146, 0, v146, s1
	v_cmp_lt_i32_e64 s1, v69, v47
	v_cndmask_b32_e64 v145, 0, v145, s1
; %bb.893:                              ;   in Loop: Header=BB235_552 Depth=1
	s_or_b32 exec_lo, exec_lo, s10
	flat_load_b32 v149, v[12:13] offset:1280
	v_mov_b32_e32 v14, 0
	v_mov_b32_e32 v15, 0
	s_mov_b32 s10, exec_lo
	s_waitcnt vmcnt(0) lgkmcnt(0)
	v_and_b32_e32 v6, 0xff, v149
	s_delay_alu instid0(VALU_DEP_2) | instskip(NEXT) | instid1(VALU_DEP_2)
	v_dual_mov_b32 v4, v14 :: v_dual_mov_b32 v5, v15
	v_cmpx_ne_u16_e32 0, v6
	s_cbranch_execz .LBB235_901
; %bb.894:                              ;   in Loop: Header=BB235_552 Depth=1
	v_bfrev_b32_e32 v4, 1
	v_mov_b32_e32 v5, 0
	s_mov_b32 s15, exec_lo
	v_cmpx_ne_u16_e32 0x80, v6
	s_cbranch_execz .LBB235_900
; %bb.895:                              ;   in Loop: Header=BB235_552 Depth=1
	v_mov_b32_e32 v4, 0x7f800001
	v_dual_mov_b32 v5, 0 :: v_dual_and_b32 v16, 0x7f, v149
	s_mov_b32 s16, exec_lo
	s_delay_alu instid0(VALU_DEP_1)
	v_cmpx_ne_u32_e32 0x7f, v16
	s_cbranch_execz .LBB235_899
; %bb.896:                              ;   in Loop: Header=BB235_552 Depth=1
	v_and_b32_e32 v6, 7, v149
	v_lshrrev_b32_e32 v4, 3, v16
	s_mov_b32 s18, exec_lo
	v_cmpx_gt_u32_e32 8, v16
; %bb.897:                              ;   in Loop: Header=BB235_552 Depth=1
	s_delay_alu instid0(VALU_DEP_3) | instskip(NEXT) | instid1(VALU_DEP_1)
	v_clz_i32_u32_e32 v4, v6
	v_min_u32_e32 v4, 32, v4
	s_delay_alu instid0(VALU_DEP_1) | instskip(SKIP_1) | instid1(VALU_DEP_2)
	v_subrev_nc_u32_e32 v5, 28, v4
	v_sub_nc_u32_e32 v4, 29, v4
	v_lshlrev_b64 v[5:6], v5, v[6:7]
	s_delay_alu instid0(VALU_DEP_1)
	v_and_b32_e32 v6, 7, v5
; %bb.898:                              ;   in Loop: Header=BB235_552 Depth=1
	s_or_b32 exec_lo, exec_lo, s18
	v_lshlrev_b32_e32 v5, 24, v149
	s_delay_alu instid0(VALU_DEP_2) | instskip(SKIP_1) | instid1(VALU_DEP_3)
	v_lshlrev_b32_e32 v6, 20, v6
	v_lshl_add_u32 v4, v4, 23, 0x3c000000
	v_and_b32_e32 v5, 0x80000000, v5
	s_delay_alu instid0(VALU_DEP_1) | instskip(NEXT) | instid1(VALU_DEP_1)
	v_or3_b32 v6, v6, v5, v4
	v_dual_mov_b32 v4, v6 :: v_dual_mov_b32 v5, v7
.LBB235_899:                            ;   in Loop: Header=BB235_552 Depth=1
	s_or_b32 exec_lo, exec_lo, s16
.LBB235_900:                            ;   in Loop: Header=BB235_552 Depth=1
	s_delay_alu instid0(SALU_CYCLE_1)
	s_or_b32 exec_lo, exec_lo, s15
.LBB235_901:                            ;   in Loop: Header=BB235_552 Depth=1
	s_delay_alu instid0(SALU_CYCLE_1) | instskip(SKIP_2) | instid1(VALU_DEP_1)
	s_or_b32 exec_lo, exec_lo, s10
	v_lshrrev_b16 v6, 8, v149
	s_mov_b32 s15, exec_lo
	v_cmpx_ne_u16_e32 0, v6
	s_cbranch_execz .LBB235_909
; %bb.902:                              ;   in Loop: Header=BB235_552 Depth=1
	v_dual_mov_b32 v15, s9 :: v_dual_mov_b32 v14, s8
	s_mov_b32 s16, exec_lo
	v_cmpx_ne_u16_e32 0x80, v6
	s_cbranch_execz .LBB235_908
; %bb.903:                              ;   in Loop: Header=BB235_552 Depth=1
	s_mov_b32 s10, s8
	v_dual_mov_b32 v15, s11 :: v_dual_and_b32 v6, 0xffff, v6
	v_mov_b32_e32 v14, s10
	s_mov_b32 s10, exec_lo
	s_delay_alu instid0(VALU_DEP_2) | instskip(NEXT) | instid1(VALU_DEP_1)
	v_and_b32_e32 v16, 0x7f, v6
	v_cmpx_ne_u32_e32 0x7f, v16
	s_cbranch_execz .LBB235_907
; %bb.904:                              ;   in Loop: Header=BB235_552 Depth=1
	v_and_b32_e32 v6, 7, v6
	v_lshrrev_b32_e32 v14, 3, v16
	s_mov_b32 s18, exec_lo
	v_cmpx_gt_u32_e32 8, v16
; %bb.905:                              ;   in Loop: Header=BB235_552 Depth=1
	s_delay_alu instid0(VALU_DEP_3) | instskip(NEXT) | instid1(VALU_DEP_1)
	v_clz_i32_u32_e32 v14, v6
	v_min_u32_e32 v14, 32, v14
	s_delay_alu instid0(VALU_DEP_1) | instskip(SKIP_1) | instid1(VALU_DEP_2)
	v_subrev_nc_u32_e32 v15, 28, v14
	v_sub_nc_u32_e32 v14, 29, v14
	v_lshlrev_b64 v[15:16], v15, v[6:7]
	s_delay_alu instid0(VALU_DEP_1)
	v_and_b32_e32 v6, 7, v15
; %bb.906:                              ;   in Loop: Header=BB235_552 Depth=1
	s_or_b32 exec_lo, exec_lo, s18
	v_lshlrev_b32_e32 v15, 16, v149
	s_delay_alu instid0(VALU_DEP_2) | instskip(SKIP_1) | instid1(VALU_DEP_3)
	v_lshlrev_b32_e32 v6, 20, v6
	v_lshl_add_u32 v14, v14, 23, 0x3c000000
	v_and_b32_e32 v15, 0x80000000, v15
	s_delay_alu instid0(VALU_DEP_1)
	v_or3_b32 v15, v6, v15, v14
	v_mov_b32_e32 v14, v7
.LBB235_907:                            ;   in Loop: Header=BB235_552 Depth=1
	s_or_b32 exec_lo, exec_lo, s10
.LBB235_908:                            ;   in Loop: Header=BB235_552 Depth=1
	s_delay_alu instid0(SALU_CYCLE_1)
	s_or_b32 exec_lo, exec_lo, s16
.LBB235_909:                            ;   in Loop: Header=BB235_552 Depth=1
	s_delay_alu instid0(SALU_CYCLE_1) | instskip(SKIP_4) | instid1(VALU_DEP_2)
	s_or_b32 exec_lo, exec_lo, s15
	v_mov_b32_e32 v18, 0
	v_lshrrev_b32_e32 v150, 16, v149
	v_mov_b32_e32 v19, 0
	s_mov_b32 s10, exec_lo
	v_and_b32_e32 v6, 0xff, v150
	s_delay_alu instid0(VALU_DEP_2) | instskip(NEXT) | instid1(VALU_DEP_2)
	v_dual_mov_b32 v16, v18 :: v_dual_mov_b32 v17, v19
	v_cmpx_ne_u16_e32 0, v6
	s_cbranch_execz .LBB235_917
; %bb.910:                              ;   in Loop: Header=BB235_552 Depth=1
	v_bfrev_b32_e32 v16, 1
	v_mov_b32_e32 v17, 0
	s_mov_b32 s15, exec_lo
	v_cmpx_ne_u16_e32 0x80, v6
	s_cbranch_execz .LBB235_916
; %bb.911:                              ;   in Loop: Header=BB235_552 Depth=1
	v_mov_b32_e32 v16, 0x7f800001
	v_bfe_u32 v30, v149, 16, 7
	v_mov_b32_e32 v17, 0
	s_mov_b32 s16, exec_lo
	s_delay_alu instid0(VALU_DEP_2)
	v_cmpx_ne_u32_e32 0x7f, v30
	s_cbranch_execz .LBB235_915
; %bb.912:                              ;   in Loop: Header=BB235_552 Depth=1
	v_and_b32_e32 v6, 7, v150
	v_lshrrev_b32_e32 v16, 3, v30
	s_mov_b32 s18, exec_lo
	v_cmpx_gt_u32_e32 8, v30
; %bb.913:                              ;   in Loop: Header=BB235_552 Depth=1
	s_delay_alu instid0(VALU_DEP_3) | instskip(NEXT) | instid1(VALU_DEP_1)
	v_clz_i32_u32_e32 v16, v6
	v_min_u32_e32 v16, 32, v16
	s_delay_alu instid0(VALU_DEP_1) | instskip(SKIP_1) | instid1(VALU_DEP_2)
	v_subrev_nc_u32_e32 v17, 28, v16
	v_sub_nc_u32_e32 v16, 29, v16
	v_lshlrev_b64 v[160:161], v17, v[6:7]
	s_delay_alu instid0(VALU_DEP_1)
	v_and_b32_e32 v6, 7, v160
; %bb.914:                              ;   in Loop: Header=BB235_552 Depth=1
	s_or_b32 exec_lo, exec_lo, s18
	v_lshlrev_b32_e32 v17, 24, v150
	s_delay_alu instid0(VALU_DEP_2) | instskip(SKIP_1) | instid1(VALU_DEP_3)
	v_lshlrev_b32_e32 v6, 20, v6
	v_lshl_add_u32 v16, v16, 23, 0x3c000000
	v_and_b32_e32 v17, 0x80000000, v17
	s_delay_alu instid0(VALU_DEP_1) | instskip(NEXT) | instid1(VALU_DEP_1)
	v_or3_b32 v6, v6, v17, v16
	v_dual_mov_b32 v17, v7 :: v_dual_mov_b32 v16, v6
.LBB235_915:                            ;   in Loop: Header=BB235_552 Depth=1
	s_or_b32 exec_lo, exec_lo, s16
.LBB235_916:                            ;   in Loop: Header=BB235_552 Depth=1
	s_delay_alu instid0(SALU_CYCLE_1)
	s_or_b32 exec_lo, exec_lo, s15
.LBB235_917:                            ;   in Loop: Header=BB235_552 Depth=1
	s_delay_alu instid0(SALU_CYCLE_1) | instskip(NEXT) | instid1(SALU_CYCLE_1)
	s_or_b32 exec_lo, exec_lo, s10
	s_mov_b32 s15, exec_lo
	v_cmpx_lt_u32_e32 0xffffff, v149
	s_cbranch_execz .LBB235_925
; %bb.918:                              ;   in Loop: Header=BB235_552 Depth=1
	v_lshrrev_b32_e32 v150, 24, v149
	v_dual_mov_b32 v19, s9 :: v_dual_mov_b32 v18, s8
	s_mov_b32 s16, exec_lo
	s_delay_alu instid0(VALU_DEP_2)
	v_cmpx_ne_u32_e32 0x80, v150
	s_cbranch_execz .LBB235_924
; %bb.919:                              ;   in Loop: Header=BB235_552 Depth=1
	s_mov_b32 s10, s8
	v_bfe_u32 v30, v149, 24, 7
	v_dual_mov_b32 v19, s11 :: v_dual_mov_b32 v18, s10
	s_mov_b32 s10, exec_lo
	s_delay_alu instid0(VALU_DEP_2)
	v_cmpx_ne_u32_e32 0x7f, v30
	s_cbranch_execz .LBB235_923
; %bb.920:                              ;   in Loop: Header=BB235_552 Depth=1
	v_and_b32_e32 v6, 7, v150
	v_lshrrev_b32_e32 v18, 3, v30
	s_mov_b32 s18, exec_lo
	v_cmpx_gt_u32_e32 8, v30
; %bb.921:                              ;   in Loop: Header=BB235_552 Depth=1
	s_delay_alu instid0(VALU_DEP_3) | instskip(NEXT) | instid1(VALU_DEP_1)
	v_clz_i32_u32_e32 v18, v6
	v_min_u32_e32 v18, 32, v18
	s_delay_alu instid0(VALU_DEP_1) | instskip(SKIP_1) | instid1(VALU_DEP_2)
	v_subrev_nc_u32_e32 v19, 28, v18
	v_sub_nc_u32_e32 v18, 29, v18
	v_lshlrev_b64 v[160:161], v19, v[6:7]
	s_delay_alu instid0(VALU_DEP_1)
	v_and_b32_e32 v6, 7, v160
; %bb.922:                              ;   in Loop: Header=BB235_552 Depth=1
	s_or_b32 exec_lo, exec_lo, s18
	v_lshlrev_b32_e32 v19, 24, v150
	s_delay_alu instid0(VALU_DEP_2) | instskip(SKIP_1) | instid1(VALU_DEP_3)
	v_lshlrev_b32_e32 v6, 20, v6
	v_lshl_add_u32 v18, v18, 23, 0x3c000000
	v_and_b32_e32 v19, 0x80000000, v19
	s_delay_alu instid0(VALU_DEP_1)
	v_or3_b32 v19, v6, v19, v18
	v_mov_b32_e32 v18, v7
.LBB235_923:                            ;   in Loop: Header=BB235_552 Depth=1
	s_or_b32 exec_lo, exec_lo, s10
.LBB235_924:                            ;   in Loop: Header=BB235_552 Depth=1
	s_delay_alu instid0(SALU_CYCLE_1)
	s_or_b32 exec_lo, exec_lo, s16
.LBB235_925:                            ;   in Loop: Header=BB235_552 Depth=1
	s_delay_alu instid0(SALU_CYCLE_1) | instskip(SKIP_4) | instid1(VALU_DEP_4)
	s_or_b32 exec_lo, exec_lo, s15
	v_or_b32_e32 v5, v15, v5
	v_or_b32_e32 v4, v14, v4
	;; [unrolled: 1-line block ×4, first 2 shown]
	v_mul_f32_e32 v160, v55, v5
	s_delay_alu instid0(VALU_DEP_4) | instskip(NEXT) | instid1(VALU_DEP_4)
	v_mul_f32_e32 v151, v55, v4
	v_mul_f32_e32 v149, v55, v6
	s_delay_alu instid0(VALU_DEP_4)
	v_mul_f32_e32 v150, v55, v14
	s_and_saveexec_b32 s10, vcc_lo
; %bb.926:                              ;   in Loop: Header=BB235_552 Depth=1
	v_cmp_lt_i32_e64 s1, v68, v47
	s_delay_alu instid0(VALU_DEP_1) | instskip(SKIP_1) | instid1(VALU_DEP_1)
	v_cndmask_b32_e64 v151, 0, v151, s1
	v_cmp_lt_i32_e64 s1, v71, v47
	v_cndmask_b32_e64 v160, 0, v160, s1
	v_cmp_lt_i32_e64 s1, v70, v47
	s_delay_alu instid0(VALU_DEP_1) | instskip(SKIP_1) | instid1(VALU_DEP_1)
	v_cndmask_b32_e64 v150, 0, v150, s1
	v_cmp_lt_i32_e64 s1, v69, v47
	v_cndmask_b32_e64 v149, 0, v149, s1
; %bb.927:                              ;   in Loop: Header=BB235_552 Depth=1
	s_or_b32 exec_lo, exec_lo, s10
	flat_load_b32 v161, v[12:13] offset:1408
	v_mov_b32_e32 v14, 0
	v_mov_b32_e32 v15, 0
	s_mov_b32 s10, exec_lo
	s_waitcnt vmcnt(0) lgkmcnt(0)
	v_and_b32_e32 v6, 0xff, v161
	s_delay_alu instid0(VALU_DEP_2) | instskip(NEXT) | instid1(VALU_DEP_2)
	v_dual_mov_b32 v4, v14 :: v_dual_mov_b32 v5, v15
	v_cmpx_ne_u16_e32 0, v6
	s_cbranch_execz .LBB235_935
; %bb.928:                              ;   in Loop: Header=BB235_552 Depth=1
	v_bfrev_b32_e32 v4, 1
	v_mov_b32_e32 v5, 0
	s_mov_b32 s15, exec_lo
	v_cmpx_ne_u16_e32 0x80, v6
	s_cbranch_execz .LBB235_934
; %bb.929:                              ;   in Loop: Header=BB235_552 Depth=1
	v_mov_b32_e32 v4, 0x7f800001
	v_dual_mov_b32 v5, 0 :: v_dual_and_b32 v16, 0x7f, v161
	s_mov_b32 s16, exec_lo
	s_delay_alu instid0(VALU_DEP_1)
	v_cmpx_ne_u32_e32 0x7f, v16
	s_cbranch_execz .LBB235_933
; %bb.930:                              ;   in Loop: Header=BB235_552 Depth=1
	v_and_b32_e32 v6, 7, v161
	v_lshrrev_b32_e32 v4, 3, v16
	s_mov_b32 s18, exec_lo
	v_cmpx_gt_u32_e32 8, v16
; %bb.931:                              ;   in Loop: Header=BB235_552 Depth=1
	s_delay_alu instid0(VALU_DEP_3) | instskip(NEXT) | instid1(VALU_DEP_1)
	v_clz_i32_u32_e32 v4, v6
	v_min_u32_e32 v4, 32, v4
	s_delay_alu instid0(VALU_DEP_1) | instskip(SKIP_1) | instid1(VALU_DEP_2)
	v_subrev_nc_u32_e32 v5, 28, v4
	v_sub_nc_u32_e32 v4, 29, v4
	v_lshlrev_b64 v[5:6], v5, v[6:7]
	s_delay_alu instid0(VALU_DEP_1)
	v_and_b32_e32 v6, 7, v5
; %bb.932:                              ;   in Loop: Header=BB235_552 Depth=1
	s_or_b32 exec_lo, exec_lo, s18
	v_lshlrev_b32_e32 v5, 24, v161
	s_delay_alu instid0(VALU_DEP_2) | instskip(SKIP_1) | instid1(VALU_DEP_3)
	v_lshlrev_b32_e32 v6, 20, v6
	v_lshl_add_u32 v4, v4, 23, 0x3c000000
	v_and_b32_e32 v5, 0x80000000, v5
	s_delay_alu instid0(VALU_DEP_1) | instskip(NEXT) | instid1(VALU_DEP_1)
	v_or3_b32 v6, v6, v5, v4
	v_dual_mov_b32 v4, v6 :: v_dual_mov_b32 v5, v7
.LBB235_933:                            ;   in Loop: Header=BB235_552 Depth=1
	s_or_b32 exec_lo, exec_lo, s16
.LBB235_934:                            ;   in Loop: Header=BB235_552 Depth=1
	s_delay_alu instid0(SALU_CYCLE_1)
	s_or_b32 exec_lo, exec_lo, s15
.LBB235_935:                            ;   in Loop: Header=BB235_552 Depth=1
	s_delay_alu instid0(SALU_CYCLE_1) | instskip(SKIP_2) | instid1(VALU_DEP_1)
	s_or_b32 exec_lo, exec_lo, s10
	v_lshrrev_b16 v6, 8, v161
	s_mov_b32 s15, exec_lo
	v_cmpx_ne_u16_e32 0, v6
	s_cbranch_execz .LBB235_943
; %bb.936:                              ;   in Loop: Header=BB235_552 Depth=1
	v_dual_mov_b32 v15, s9 :: v_dual_mov_b32 v14, s8
	s_mov_b32 s16, exec_lo
	v_cmpx_ne_u16_e32 0x80, v6
	s_cbranch_execz .LBB235_942
; %bb.937:                              ;   in Loop: Header=BB235_552 Depth=1
	s_mov_b32 s10, s8
	v_dual_mov_b32 v15, s11 :: v_dual_and_b32 v6, 0xffff, v6
	v_mov_b32_e32 v14, s10
	s_mov_b32 s10, exec_lo
	s_delay_alu instid0(VALU_DEP_2) | instskip(NEXT) | instid1(VALU_DEP_1)
	v_and_b32_e32 v16, 0x7f, v6
	v_cmpx_ne_u32_e32 0x7f, v16
	s_cbranch_execz .LBB235_941
; %bb.938:                              ;   in Loop: Header=BB235_552 Depth=1
	v_and_b32_e32 v6, 7, v6
	v_lshrrev_b32_e32 v14, 3, v16
	s_mov_b32 s18, exec_lo
	v_cmpx_gt_u32_e32 8, v16
; %bb.939:                              ;   in Loop: Header=BB235_552 Depth=1
	s_delay_alu instid0(VALU_DEP_3) | instskip(NEXT) | instid1(VALU_DEP_1)
	v_clz_i32_u32_e32 v14, v6
	v_min_u32_e32 v14, 32, v14
	s_delay_alu instid0(VALU_DEP_1) | instskip(SKIP_1) | instid1(VALU_DEP_2)
	v_subrev_nc_u32_e32 v15, 28, v14
	v_sub_nc_u32_e32 v14, 29, v14
	v_lshlrev_b64 v[15:16], v15, v[6:7]
	s_delay_alu instid0(VALU_DEP_1)
	v_and_b32_e32 v6, 7, v15
; %bb.940:                              ;   in Loop: Header=BB235_552 Depth=1
	s_or_b32 exec_lo, exec_lo, s18
	v_lshlrev_b32_e32 v15, 16, v161
	s_delay_alu instid0(VALU_DEP_2) | instskip(SKIP_1) | instid1(VALU_DEP_3)
	v_lshlrev_b32_e32 v6, 20, v6
	v_lshl_add_u32 v14, v14, 23, 0x3c000000
	v_and_b32_e32 v15, 0x80000000, v15
	s_delay_alu instid0(VALU_DEP_1)
	v_or3_b32 v15, v6, v15, v14
	v_mov_b32_e32 v14, v7
.LBB235_941:                            ;   in Loop: Header=BB235_552 Depth=1
	s_or_b32 exec_lo, exec_lo, s10
.LBB235_942:                            ;   in Loop: Header=BB235_552 Depth=1
	s_delay_alu instid0(SALU_CYCLE_1)
	s_or_b32 exec_lo, exec_lo, s16
.LBB235_943:                            ;   in Loop: Header=BB235_552 Depth=1
	s_delay_alu instid0(SALU_CYCLE_1) | instskip(SKIP_4) | instid1(VALU_DEP_2)
	s_or_b32 exec_lo, exec_lo, s15
	v_mov_b32_e32 v18, 0
	v_lshrrev_b32_e32 v162, 16, v161
	v_mov_b32_e32 v19, 0
	s_mov_b32 s10, exec_lo
	v_and_b32_e32 v6, 0xff, v162
	s_delay_alu instid0(VALU_DEP_2) | instskip(NEXT) | instid1(VALU_DEP_2)
	v_dual_mov_b32 v16, v18 :: v_dual_mov_b32 v17, v19
	v_cmpx_ne_u16_e32 0, v6
	s_cbranch_execz .LBB235_951
; %bb.944:                              ;   in Loop: Header=BB235_552 Depth=1
	v_bfrev_b32_e32 v16, 1
	v_mov_b32_e32 v17, 0
	s_mov_b32 s15, exec_lo
	v_cmpx_ne_u16_e32 0x80, v6
	s_cbranch_execz .LBB235_950
; %bb.945:                              ;   in Loop: Header=BB235_552 Depth=1
	v_mov_b32_e32 v16, 0x7f800001
	v_bfe_u32 v30, v161, 16, 7
	v_mov_b32_e32 v17, 0
	s_mov_b32 s16, exec_lo
	s_delay_alu instid0(VALU_DEP_2)
	v_cmpx_ne_u32_e32 0x7f, v30
	s_cbranch_execz .LBB235_949
; %bb.946:                              ;   in Loop: Header=BB235_552 Depth=1
	v_and_b32_e32 v6, 7, v162
	v_lshrrev_b32_e32 v16, 3, v30
	s_mov_b32 s18, exec_lo
	v_cmpx_gt_u32_e32 8, v30
; %bb.947:                              ;   in Loop: Header=BB235_552 Depth=1
	s_delay_alu instid0(VALU_DEP_3) | instskip(NEXT) | instid1(VALU_DEP_1)
	v_clz_i32_u32_e32 v16, v6
	v_min_u32_e32 v16, 32, v16
	s_delay_alu instid0(VALU_DEP_1) | instskip(SKIP_1) | instid1(VALU_DEP_2)
	v_subrev_nc_u32_e32 v17, 28, v16
	v_sub_nc_u32_e32 v16, 29, v16
	v_lshlrev_b64 v[163:164], v17, v[6:7]
	s_delay_alu instid0(VALU_DEP_1)
	v_and_b32_e32 v6, 7, v163
; %bb.948:                              ;   in Loop: Header=BB235_552 Depth=1
	s_or_b32 exec_lo, exec_lo, s18
	v_lshlrev_b32_e32 v17, 24, v162
	s_delay_alu instid0(VALU_DEP_2) | instskip(SKIP_1) | instid1(VALU_DEP_3)
	v_lshlrev_b32_e32 v6, 20, v6
	v_lshl_add_u32 v16, v16, 23, 0x3c000000
	v_and_b32_e32 v17, 0x80000000, v17
	s_delay_alu instid0(VALU_DEP_1) | instskip(NEXT) | instid1(VALU_DEP_1)
	v_or3_b32 v6, v6, v17, v16
	v_dual_mov_b32 v17, v7 :: v_dual_mov_b32 v16, v6
.LBB235_949:                            ;   in Loop: Header=BB235_552 Depth=1
	s_or_b32 exec_lo, exec_lo, s16
.LBB235_950:                            ;   in Loop: Header=BB235_552 Depth=1
	s_delay_alu instid0(SALU_CYCLE_1)
	s_or_b32 exec_lo, exec_lo, s15
.LBB235_951:                            ;   in Loop: Header=BB235_552 Depth=1
	s_delay_alu instid0(SALU_CYCLE_1) | instskip(NEXT) | instid1(SALU_CYCLE_1)
	s_or_b32 exec_lo, exec_lo, s10
	s_mov_b32 s15, exec_lo
	v_cmpx_lt_u32_e32 0xffffff, v161
	s_cbranch_execz .LBB235_959
; %bb.952:                              ;   in Loop: Header=BB235_552 Depth=1
	v_lshrrev_b32_e32 v162, 24, v161
	v_dual_mov_b32 v19, s9 :: v_dual_mov_b32 v18, s8
	s_mov_b32 s16, exec_lo
	s_delay_alu instid0(VALU_DEP_2)
	v_cmpx_ne_u32_e32 0x80, v162
	s_cbranch_execz .LBB235_958
; %bb.953:                              ;   in Loop: Header=BB235_552 Depth=1
	s_mov_b32 s10, s8
	v_bfe_u32 v30, v161, 24, 7
	v_dual_mov_b32 v19, s11 :: v_dual_mov_b32 v18, s10
	s_mov_b32 s10, exec_lo
	s_delay_alu instid0(VALU_DEP_2)
	v_cmpx_ne_u32_e32 0x7f, v30
	s_cbranch_execz .LBB235_957
; %bb.954:                              ;   in Loop: Header=BB235_552 Depth=1
	v_and_b32_e32 v6, 7, v162
	v_lshrrev_b32_e32 v18, 3, v30
	s_mov_b32 s18, exec_lo
	v_cmpx_gt_u32_e32 8, v30
; %bb.955:                              ;   in Loop: Header=BB235_552 Depth=1
	s_delay_alu instid0(VALU_DEP_3) | instskip(NEXT) | instid1(VALU_DEP_1)
	v_clz_i32_u32_e32 v18, v6
	v_min_u32_e32 v18, 32, v18
	s_delay_alu instid0(VALU_DEP_1) | instskip(SKIP_1) | instid1(VALU_DEP_2)
	v_subrev_nc_u32_e32 v19, 28, v18
	v_sub_nc_u32_e32 v18, 29, v18
	v_lshlrev_b64 v[163:164], v19, v[6:7]
	s_delay_alu instid0(VALU_DEP_1)
	v_and_b32_e32 v6, 7, v163
; %bb.956:                              ;   in Loop: Header=BB235_552 Depth=1
	s_or_b32 exec_lo, exec_lo, s18
	v_lshlrev_b32_e32 v19, 24, v162
	s_delay_alu instid0(VALU_DEP_2) | instskip(SKIP_1) | instid1(VALU_DEP_3)
	v_lshlrev_b32_e32 v6, 20, v6
	v_lshl_add_u32 v18, v18, 23, 0x3c000000
	v_and_b32_e32 v19, 0x80000000, v19
	s_delay_alu instid0(VALU_DEP_1)
	v_or3_b32 v19, v6, v19, v18
	v_mov_b32_e32 v18, v7
.LBB235_957:                            ;   in Loop: Header=BB235_552 Depth=1
	s_or_b32 exec_lo, exec_lo, s10
.LBB235_958:                            ;   in Loop: Header=BB235_552 Depth=1
	s_delay_alu instid0(SALU_CYCLE_1)
	s_or_b32 exec_lo, exec_lo, s16
.LBB235_959:                            ;   in Loop: Header=BB235_552 Depth=1
	s_delay_alu instid0(SALU_CYCLE_1) | instskip(SKIP_4) | instid1(VALU_DEP_4)
	s_or_b32 exec_lo, exec_lo, s15
	v_or_b32_e32 v5, v15, v5
	v_or_b32_e32 v4, v14, v4
	;; [unrolled: 1-line block ×4, first 2 shown]
	v_mul_f32_e32 v164, v55, v5
	s_delay_alu instid0(VALU_DEP_4) | instskip(NEXT) | instid1(VALU_DEP_4)
	v_mul_f32_e32 v163, v55, v4
	v_mul_f32_e32 v161, v55, v6
	s_delay_alu instid0(VALU_DEP_4)
	v_mul_f32_e32 v162, v55, v14
	s_and_saveexec_b32 s10, vcc_lo
; %bb.960:                              ;   in Loop: Header=BB235_552 Depth=1
	v_cmp_lt_i32_e64 s1, v68, v47
	s_delay_alu instid0(VALU_DEP_1) | instskip(SKIP_1) | instid1(VALU_DEP_1)
	v_cndmask_b32_e64 v163, 0, v163, s1
	v_cmp_lt_i32_e64 s1, v71, v47
	v_cndmask_b32_e64 v164, 0, v164, s1
	v_cmp_lt_i32_e64 s1, v70, v47
	s_delay_alu instid0(VALU_DEP_1) | instskip(SKIP_1) | instid1(VALU_DEP_1)
	v_cndmask_b32_e64 v162, 0, v162, s1
	v_cmp_lt_i32_e64 s1, v69, v47
	v_cndmask_b32_e64 v161, 0, v161, s1
; %bb.961:                              ;   in Loop: Header=BB235_552 Depth=1
	s_or_b32 exec_lo, exec_lo, s10
	flat_load_b32 v165, v[12:13] offset:1536
	v_mov_b32_e32 v14, 0
	v_mov_b32_e32 v15, 0
	s_mov_b32 s10, exec_lo
	s_waitcnt vmcnt(0) lgkmcnt(0)
	v_and_b32_e32 v6, 0xff, v165
	s_delay_alu instid0(VALU_DEP_2) | instskip(NEXT) | instid1(VALU_DEP_2)
	v_dual_mov_b32 v4, v14 :: v_dual_mov_b32 v5, v15
	v_cmpx_ne_u16_e32 0, v6
	s_cbranch_execz .LBB235_969
; %bb.962:                              ;   in Loop: Header=BB235_552 Depth=1
	v_bfrev_b32_e32 v4, 1
	v_mov_b32_e32 v5, 0
	s_mov_b32 s15, exec_lo
	v_cmpx_ne_u16_e32 0x80, v6
	s_cbranch_execz .LBB235_968
; %bb.963:                              ;   in Loop: Header=BB235_552 Depth=1
	v_mov_b32_e32 v4, 0x7f800001
	v_dual_mov_b32 v5, 0 :: v_dual_and_b32 v16, 0x7f, v165
	s_mov_b32 s16, exec_lo
	s_delay_alu instid0(VALU_DEP_1)
	v_cmpx_ne_u32_e32 0x7f, v16
	s_cbranch_execz .LBB235_967
; %bb.964:                              ;   in Loop: Header=BB235_552 Depth=1
	v_and_b32_e32 v6, 7, v165
	v_lshrrev_b32_e32 v4, 3, v16
	s_mov_b32 s18, exec_lo
	v_cmpx_gt_u32_e32 8, v16
; %bb.965:                              ;   in Loop: Header=BB235_552 Depth=1
	s_delay_alu instid0(VALU_DEP_3) | instskip(NEXT) | instid1(VALU_DEP_1)
	v_clz_i32_u32_e32 v4, v6
	v_min_u32_e32 v4, 32, v4
	s_delay_alu instid0(VALU_DEP_1) | instskip(SKIP_1) | instid1(VALU_DEP_2)
	v_subrev_nc_u32_e32 v5, 28, v4
	v_sub_nc_u32_e32 v4, 29, v4
	v_lshlrev_b64 v[5:6], v5, v[6:7]
	s_delay_alu instid0(VALU_DEP_1)
	v_and_b32_e32 v6, 7, v5
; %bb.966:                              ;   in Loop: Header=BB235_552 Depth=1
	s_or_b32 exec_lo, exec_lo, s18
	v_lshlrev_b32_e32 v5, 24, v165
	s_delay_alu instid0(VALU_DEP_2) | instskip(SKIP_1) | instid1(VALU_DEP_3)
	v_lshlrev_b32_e32 v6, 20, v6
	v_lshl_add_u32 v4, v4, 23, 0x3c000000
	v_and_b32_e32 v5, 0x80000000, v5
	s_delay_alu instid0(VALU_DEP_1) | instskip(NEXT) | instid1(VALU_DEP_1)
	v_or3_b32 v6, v6, v5, v4
	v_dual_mov_b32 v4, v6 :: v_dual_mov_b32 v5, v7
.LBB235_967:                            ;   in Loop: Header=BB235_552 Depth=1
	s_or_b32 exec_lo, exec_lo, s16
.LBB235_968:                            ;   in Loop: Header=BB235_552 Depth=1
	s_delay_alu instid0(SALU_CYCLE_1)
	s_or_b32 exec_lo, exec_lo, s15
.LBB235_969:                            ;   in Loop: Header=BB235_552 Depth=1
	s_delay_alu instid0(SALU_CYCLE_1) | instskip(SKIP_2) | instid1(VALU_DEP_1)
	s_or_b32 exec_lo, exec_lo, s10
	v_lshrrev_b16 v6, 8, v165
	s_mov_b32 s15, exec_lo
	v_cmpx_ne_u16_e32 0, v6
	s_cbranch_execz .LBB235_977
; %bb.970:                              ;   in Loop: Header=BB235_552 Depth=1
	v_dual_mov_b32 v15, s9 :: v_dual_mov_b32 v14, s8
	s_mov_b32 s16, exec_lo
	v_cmpx_ne_u16_e32 0x80, v6
	s_cbranch_execz .LBB235_976
; %bb.971:                              ;   in Loop: Header=BB235_552 Depth=1
	s_mov_b32 s10, s8
	v_dual_mov_b32 v15, s11 :: v_dual_and_b32 v6, 0xffff, v6
	v_mov_b32_e32 v14, s10
	s_mov_b32 s10, exec_lo
	s_delay_alu instid0(VALU_DEP_2) | instskip(NEXT) | instid1(VALU_DEP_1)
	v_and_b32_e32 v16, 0x7f, v6
	v_cmpx_ne_u32_e32 0x7f, v16
	s_cbranch_execz .LBB235_975
; %bb.972:                              ;   in Loop: Header=BB235_552 Depth=1
	v_and_b32_e32 v6, 7, v6
	v_lshrrev_b32_e32 v14, 3, v16
	s_mov_b32 s18, exec_lo
	v_cmpx_gt_u32_e32 8, v16
; %bb.973:                              ;   in Loop: Header=BB235_552 Depth=1
	s_delay_alu instid0(VALU_DEP_3) | instskip(NEXT) | instid1(VALU_DEP_1)
	v_clz_i32_u32_e32 v14, v6
	v_min_u32_e32 v14, 32, v14
	s_delay_alu instid0(VALU_DEP_1) | instskip(SKIP_1) | instid1(VALU_DEP_2)
	v_subrev_nc_u32_e32 v15, 28, v14
	v_sub_nc_u32_e32 v14, 29, v14
	v_lshlrev_b64 v[15:16], v15, v[6:7]
	s_delay_alu instid0(VALU_DEP_1)
	v_and_b32_e32 v6, 7, v15
; %bb.974:                              ;   in Loop: Header=BB235_552 Depth=1
	s_or_b32 exec_lo, exec_lo, s18
	v_lshlrev_b32_e32 v15, 16, v165
	s_delay_alu instid0(VALU_DEP_2) | instskip(SKIP_1) | instid1(VALU_DEP_3)
	v_lshlrev_b32_e32 v6, 20, v6
	v_lshl_add_u32 v14, v14, 23, 0x3c000000
	v_and_b32_e32 v15, 0x80000000, v15
	s_delay_alu instid0(VALU_DEP_1)
	v_or3_b32 v15, v6, v15, v14
	v_mov_b32_e32 v14, v7
.LBB235_975:                            ;   in Loop: Header=BB235_552 Depth=1
	s_or_b32 exec_lo, exec_lo, s10
.LBB235_976:                            ;   in Loop: Header=BB235_552 Depth=1
	s_delay_alu instid0(SALU_CYCLE_1)
	s_or_b32 exec_lo, exec_lo, s16
.LBB235_977:                            ;   in Loop: Header=BB235_552 Depth=1
	s_delay_alu instid0(SALU_CYCLE_1) | instskip(SKIP_4) | instid1(VALU_DEP_2)
	s_or_b32 exec_lo, exec_lo, s15
	v_mov_b32_e32 v18, 0
	v_lshrrev_b32_e32 v166, 16, v165
	v_mov_b32_e32 v19, 0
	s_mov_b32 s10, exec_lo
	v_and_b32_e32 v6, 0xff, v166
	s_delay_alu instid0(VALU_DEP_2) | instskip(NEXT) | instid1(VALU_DEP_2)
	v_dual_mov_b32 v16, v18 :: v_dual_mov_b32 v17, v19
	v_cmpx_ne_u16_e32 0, v6
	s_cbranch_execz .LBB235_985
; %bb.978:                              ;   in Loop: Header=BB235_552 Depth=1
	v_bfrev_b32_e32 v16, 1
	v_mov_b32_e32 v17, 0
	s_mov_b32 s15, exec_lo
	v_cmpx_ne_u16_e32 0x80, v6
	s_cbranch_execz .LBB235_984
; %bb.979:                              ;   in Loop: Header=BB235_552 Depth=1
	v_mov_b32_e32 v16, 0x7f800001
	v_bfe_u32 v30, v165, 16, 7
	v_mov_b32_e32 v17, 0
	s_mov_b32 s16, exec_lo
	s_delay_alu instid0(VALU_DEP_2)
	v_cmpx_ne_u32_e32 0x7f, v30
	s_cbranch_execz .LBB235_983
; %bb.980:                              ;   in Loop: Header=BB235_552 Depth=1
	v_and_b32_e32 v6, 7, v166
	v_lshrrev_b32_e32 v16, 3, v30
	s_mov_b32 s18, exec_lo
	v_cmpx_gt_u32_e32 8, v30
; %bb.981:                              ;   in Loop: Header=BB235_552 Depth=1
	s_delay_alu instid0(VALU_DEP_3) | instskip(NEXT) | instid1(VALU_DEP_1)
	v_clz_i32_u32_e32 v16, v6
	v_min_u32_e32 v16, 32, v16
	s_delay_alu instid0(VALU_DEP_1) | instskip(SKIP_1) | instid1(VALU_DEP_2)
	v_subrev_nc_u32_e32 v17, 28, v16
	v_sub_nc_u32_e32 v16, 29, v16
	v_lshlrev_b64 v[176:177], v17, v[6:7]
	s_delay_alu instid0(VALU_DEP_1)
	v_and_b32_e32 v6, 7, v176
; %bb.982:                              ;   in Loop: Header=BB235_552 Depth=1
	s_or_b32 exec_lo, exec_lo, s18
	v_lshlrev_b32_e32 v17, 24, v166
	s_delay_alu instid0(VALU_DEP_2) | instskip(SKIP_1) | instid1(VALU_DEP_3)
	v_lshlrev_b32_e32 v6, 20, v6
	v_lshl_add_u32 v16, v16, 23, 0x3c000000
	v_and_b32_e32 v17, 0x80000000, v17
	s_delay_alu instid0(VALU_DEP_1) | instskip(NEXT) | instid1(VALU_DEP_1)
	v_or3_b32 v6, v6, v17, v16
	v_dual_mov_b32 v17, v7 :: v_dual_mov_b32 v16, v6
.LBB235_983:                            ;   in Loop: Header=BB235_552 Depth=1
	s_or_b32 exec_lo, exec_lo, s16
.LBB235_984:                            ;   in Loop: Header=BB235_552 Depth=1
	s_delay_alu instid0(SALU_CYCLE_1)
	s_or_b32 exec_lo, exec_lo, s15
.LBB235_985:                            ;   in Loop: Header=BB235_552 Depth=1
	s_delay_alu instid0(SALU_CYCLE_1) | instskip(NEXT) | instid1(SALU_CYCLE_1)
	s_or_b32 exec_lo, exec_lo, s10
	s_mov_b32 s15, exec_lo
	v_cmpx_lt_u32_e32 0xffffff, v165
	s_cbranch_execz .LBB235_993
; %bb.986:                              ;   in Loop: Header=BB235_552 Depth=1
	v_lshrrev_b32_e32 v166, 24, v165
	v_dual_mov_b32 v19, s9 :: v_dual_mov_b32 v18, s8
	s_mov_b32 s16, exec_lo
	s_delay_alu instid0(VALU_DEP_2)
	v_cmpx_ne_u32_e32 0x80, v166
	s_cbranch_execz .LBB235_992
; %bb.987:                              ;   in Loop: Header=BB235_552 Depth=1
	s_mov_b32 s10, s8
	v_bfe_u32 v30, v165, 24, 7
	v_dual_mov_b32 v19, s11 :: v_dual_mov_b32 v18, s10
	s_mov_b32 s10, exec_lo
	s_delay_alu instid0(VALU_DEP_2)
	v_cmpx_ne_u32_e32 0x7f, v30
	s_cbranch_execz .LBB235_991
; %bb.988:                              ;   in Loop: Header=BB235_552 Depth=1
	v_and_b32_e32 v6, 7, v166
	v_lshrrev_b32_e32 v18, 3, v30
	s_mov_b32 s18, exec_lo
	v_cmpx_gt_u32_e32 8, v30
; %bb.989:                              ;   in Loop: Header=BB235_552 Depth=1
	s_delay_alu instid0(VALU_DEP_3) | instskip(NEXT) | instid1(VALU_DEP_1)
	v_clz_i32_u32_e32 v18, v6
	v_min_u32_e32 v18, 32, v18
	s_delay_alu instid0(VALU_DEP_1) | instskip(SKIP_1) | instid1(VALU_DEP_2)
	v_subrev_nc_u32_e32 v19, 28, v18
	v_sub_nc_u32_e32 v18, 29, v18
	v_lshlrev_b64 v[176:177], v19, v[6:7]
	s_delay_alu instid0(VALU_DEP_1)
	v_and_b32_e32 v6, 7, v176
; %bb.990:                              ;   in Loop: Header=BB235_552 Depth=1
	s_or_b32 exec_lo, exec_lo, s18
	v_lshlrev_b32_e32 v19, 24, v166
	s_delay_alu instid0(VALU_DEP_2) | instskip(SKIP_1) | instid1(VALU_DEP_3)
	v_lshlrev_b32_e32 v6, 20, v6
	v_lshl_add_u32 v18, v18, 23, 0x3c000000
	v_and_b32_e32 v19, 0x80000000, v19
	s_delay_alu instid0(VALU_DEP_1)
	v_or3_b32 v19, v6, v19, v18
	v_mov_b32_e32 v18, v7
.LBB235_991:                            ;   in Loop: Header=BB235_552 Depth=1
	s_or_b32 exec_lo, exec_lo, s10
.LBB235_992:                            ;   in Loop: Header=BB235_552 Depth=1
	s_delay_alu instid0(SALU_CYCLE_1)
	s_or_b32 exec_lo, exec_lo, s16
.LBB235_993:                            ;   in Loop: Header=BB235_552 Depth=1
	s_delay_alu instid0(SALU_CYCLE_1) | instskip(SKIP_4) | instid1(VALU_DEP_4)
	s_or_b32 exec_lo, exec_lo, s15
	v_or_b32_e32 v5, v15, v5
	v_or_b32_e32 v4, v14, v4
	;; [unrolled: 1-line block ×4, first 2 shown]
	v_mul_f32_e32 v176, v55, v5
	s_delay_alu instid0(VALU_DEP_4) | instskip(NEXT) | instid1(VALU_DEP_4)
	v_mul_f32_e32 v167, v55, v4
	v_mul_f32_e32 v165, v55, v6
	s_delay_alu instid0(VALU_DEP_4)
	v_mul_f32_e32 v166, v55, v14
	s_and_saveexec_b32 s10, vcc_lo
; %bb.994:                              ;   in Loop: Header=BB235_552 Depth=1
	v_cmp_lt_i32_e64 s1, v68, v47
	s_delay_alu instid0(VALU_DEP_1) | instskip(SKIP_1) | instid1(VALU_DEP_1)
	v_cndmask_b32_e64 v167, 0, v167, s1
	v_cmp_lt_i32_e64 s1, v71, v47
	v_cndmask_b32_e64 v176, 0, v176, s1
	v_cmp_lt_i32_e64 s1, v70, v47
	s_delay_alu instid0(VALU_DEP_1) | instskip(SKIP_1) | instid1(VALU_DEP_1)
	v_cndmask_b32_e64 v166, 0, v166, s1
	v_cmp_lt_i32_e64 s1, v69, v47
	v_cndmask_b32_e64 v165, 0, v165, s1
; %bb.995:                              ;   in Loop: Header=BB235_552 Depth=1
	s_or_b32 exec_lo, exec_lo, s10
	flat_load_b32 v177, v[12:13] offset:1664
	v_mov_b32_e32 v14, 0
	v_mov_b32_e32 v15, 0
	s_mov_b32 s10, exec_lo
	s_waitcnt vmcnt(0) lgkmcnt(0)
	v_and_b32_e32 v6, 0xff, v177
	s_delay_alu instid0(VALU_DEP_2) | instskip(NEXT) | instid1(VALU_DEP_2)
	v_dual_mov_b32 v4, v14 :: v_dual_mov_b32 v5, v15
	v_cmpx_ne_u16_e32 0, v6
	s_cbranch_execz .LBB235_1003
; %bb.996:                              ;   in Loop: Header=BB235_552 Depth=1
	v_bfrev_b32_e32 v4, 1
	v_mov_b32_e32 v5, 0
	s_mov_b32 s15, exec_lo
	v_cmpx_ne_u16_e32 0x80, v6
	s_cbranch_execz .LBB235_1002
; %bb.997:                              ;   in Loop: Header=BB235_552 Depth=1
	v_mov_b32_e32 v4, 0x7f800001
	v_dual_mov_b32 v5, 0 :: v_dual_and_b32 v16, 0x7f, v177
	s_mov_b32 s16, exec_lo
	s_delay_alu instid0(VALU_DEP_1)
	v_cmpx_ne_u32_e32 0x7f, v16
	s_cbranch_execz .LBB235_1001
; %bb.998:                              ;   in Loop: Header=BB235_552 Depth=1
	v_and_b32_e32 v6, 7, v177
	v_lshrrev_b32_e32 v4, 3, v16
	s_mov_b32 s18, exec_lo
	v_cmpx_gt_u32_e32 8, v16
; %bb.999:                              ;   in Loop: Header=BB235_552 Depth=1
	s_delay_alu instid0(VALU_DEP_3) | instskip(NEXT) | instid1(VALU_DEP_1)
	v_clz_i32_u32_e32 v4, v6
	v_min_u32_e32 v4, 32, v4
	s_delay_alu instid0(VALU_DEP_1) | instskip(SKIP_1) | instid1(VALU_DEP_2)
	v_subrev_nc_u32_e32 v5, 28, v4
	v_sub_nc_u32_e32 v4, 29, v4
	v_lshlrev_b64 v[5:6], v5, v[6:7]
	s_delay_alu instid0(VALU_DEP_1)
	v_and_b32_e32 v6, 7, v5
; %bb.1000:                             ;   in Loop: Header=BB235_552 Depth=1
	s_or_b32 exec_lo, exec_lo, s18
	v_lshlrev_b32_e32 v5, 24, v177
	s_delay_alu instid0(VALU_DEP_2) | instskip(SKIP_1) | instid1(VALU_DEP_3)
	v_lshlrev_b32_e32 v6, 20, v6
	v_lshl_add_u32 v4, v4, 23, 0x3c000000
	v_and_b32_e32 v5, 0x80000000, v5
	s_delay_alu instid0(VALU_DEP_1) | instskip(NEXT) | instid1(VALU_DEP_1)
	v_or3_b32 v6, v6, v5, v4
	v_dual_mov_b32 v4, v6 :: v_dual_mov_b32 v5, v7
.LBB235_1001:                           ;   in Loop: Header=BB235_552 Depth=1
	s_or_b32 exec_lo, exec_lo, s16
.LBB235_1002:                           ;   in Loop: Header=BB235_552 Depth=1
	s_delay_alu instid0(SALU_CYCLE_1)
	s_or_b32 exec_lo, exec_lo, s15
.LBB235_1003:                           ;   in Loop: Header=BB235_552 Depth=1
	s_delay_alu instid0(SALU_CYCLE_1) | instskip(SKIP_2) | instid1(VALU_DEP_1)
	s_or_b32 exec_lo, exec_lo, s10
	v_lshrrev_b16 v6, 8, v177
	s_mov_b32 s15, exec_lo
	v_cmpx_ne_u16_e32 0, v6
	s_cbranch_execz .LBB235_1011
; %bb.1004:                             ;   in Loop: Header=BB235_552 Depth=1
	v_dual_mov_b32 v15, s9 :: v_dual_mov_b32 v14, s8
	s_mov_b32 s16, exec_lo
	v_cmpx_ne_u16_e32 0x80, v6
	s_cbranch_execz .LBB235_1010
; %bb.1005:                             ;   in Loop: Header=BB235_552 Depth=1
	s_mov_b32 s10, s8
	v_dual_mov_b32 v15, s11 :: v_dual_and_b32 v6, 0xffff, v6
	v_mov_b32_e32 v14, s10
	s_mov_b32 s10, exec_lo
	s_delay_alu instid0(VALU_DEP_2) | instskip(NEXT) | instid1(VALU_DEP_1)
	v_and_b32_e32 v16, 0x7f, v6
	v_cmpx_ne_u32_e32 0x7f, v16
	s_cbranch_execz .LBB235_1009
; %bb.1006:                             ;   in Loop: Header=BB235_552 Depth=1
	v_and_b32_e32 v6, 7, v6
	v_lshrrev_b32_e32 v14, 3, v16
	s_mov_b32 s18, exec_lo
	v_cmpx_gt_u32_e32 8, v16
; %bb.1007:                             ;   in Loop: Header=BB235_552 Depth=1
	s_delay_alu instid0(VALU_DEP_3) | instskip(NEXT) | instid1(VALU_DEP_1)
	v_clz_i32_u32_e32 v14, v6
	v_min_u32_e32 v14, 32, v14
	s_delay_alu instid0(VALU_DEP_1) | instskip(SKIP_1) | instid1(VALU_DEP_2)
	v_subrev_nc_u32_e32 v15, 28, v14
	v_sub_nc_u32_e32 v14, 29, v14
	v_lshlrev_b64 v[15:16], v15, v[6:7]
	s_delay_alu instid0(VALU_DEP_1)
	v_and_b32_e32 v6, 7, v15
; %bb.1008:                             ;   in Loop: Header=BB235_552 Depth=1
	s_or_b32 exec_lo, exec_lo, s18
	v_lshlrev_b32_e32 v15, 16, v177
	s_delay_alu instid0(VALU_DEP_2) | instskip(SKIP_1) | instid1(VALU_DEP_3)
	v_lshlrev_b32_e32 v6, 20, v6
	v_lshl_add_u32 v14, v14, 23, 0x3c000000
	v_and_b32_e32 v15, 0x80000000, v15
	s_delay_alu instid0(VALU_DEP_1)
	v_or3_b32 v15, v6, v15, v14
	v_mov_b32_e32 v14, v7
.LBB235_1009:                           ;   in Loop: Header=BB235_552 Depth=1
	s_or_b32 exec_lo, exec_lo, s10
.LBB235_1010:                           ;   in Loop: Header=BB235_552 Depth=1
	s_delay_alu instid0(SALU_CYCLE_1)
	s_or_b32 exec_lo, exec_lo, s16
.LBB235_1011:                           ;   in Loop: Header=BB235_552 Depth=1
	s_delay_alu instid0(SALU_CYCLE_1) | instskip(SKIP_4) | instid1(VALU_DEP_2)
	s_or_b32 exec_lo, exec_lo, s15
	v_mov_b32_e32 v18, 0
	v_lshrrev_b32_e32 v178, 16, v177
	v_mov_b32_e32 v19, 0
	s_mov_b32 s10, exec_lo
	v_and_b32_e32 v6, 0xff, v178
	s_delay_alu instid0(VALU_DEP_2) | instskip(NEXT) | instid1(VALU_DEP_2)
	v_dual_mov_b32 v16, v18 :: v_dual_mov_b32 v17, v19
	v_cmpx_ne_u16_e32 0, v6
	s_cbranch_execz .LBB235_1019
; %bb.1012:                             ;   in Loop: Header=BB235_552 Depth=1
	v_bfrev_b32_e32 v16, 1
	v_mov_b32_e32 v17, 0
	s_mov_b32 s15, exec_lo
	v_cmpx_ne_u16_e32 0x80, v6
	s_cbranch_execz .LBB235_1018
; %bb.1013:                             ;   in Loop: Header=BB235_552 Depth=1
	v_mov_b32_e32 v16, 0x7f800001
	v_bfe_u32 v30, v177, 16, 7
	v_mov_b32_e32 v17, 0
	s_mov_b32 s16, exec_lo
	s_delay_alu instid0(VALU_DEP_2)
	v_cmpx_ne_u32_e32 0x7f, v30
	s_cbranch_execz .LBB235_1017
; %bb.1014:                             ;   in Loop: Header=BB235_552 Depth=1
	v_and_b32_e32 v6, 7, v178
	v_lshrrev_b32_e32 v16, 3, v30
	s_mov_b32 s18, exec_lo
	v_cmpx_gt_u32_e32 8, v30
; %bb.1015:                             ;   in Loop: Header=BB235_552 Depth=1
	s_delay_alu instid0(VALU_DEP_3) | instskip(NEXT) | instid1(VALU_DEP_1)
	v_clz_i32_u32_e32 v16, v6
	v_min_u32_e32 v16, 32, v16
	s_delay_alu instid0(VALU_DEP_1) | instskip(SKIP_1) | instid1(VALU_DEP_2)
	v_subrev_nc_u32_e32 v17, 28, v16
	v_sub_nc_u32_e32 v16, 29, v16
	v_lshlrev_b64 v[179:180], v17, v[6:7]
	s_delay_alu instid0(VALU_DEP_1)
	v_and_b32_e32 v6, 7, v179
; %bb.1016:                             ;   in Loop: Header=BB235_552 Depth=1
	s_or_b32 exec_lo, exec_lo, s18
	v_lshlrev_b32_e32 v17, 24, v178
	s_delay_alu instid0(VALU_DEP_2) | instskip(SKIP_1) | instid1(VALU_DEP_3)
	v_lshlrev_b32_e32 v6, 20, v6
	v_lshl_add_u32 v16, v16, 23, 0x3c000000
	v_and_b32_e32 v17, 0x80000000, v17
	s_delay_alu instid0(VALU_DEP_1) | instskip(NEXT) | instid1(VALU_DEP_1)
	v_or3_b32 v6, v6, v17, v16
	v_dual_mov_b32 v17, v7 :: v_dual_mov_b32 v16, v6
.LBB235_1017:                           ;   in Loop: Header=BB235_552 Depth=1
	s_or_b32 exec_lo, exec_lo, s16
.LBB235_1018:                           ;   in Loop: Header=BB235_552 Depth=1
	s_delay_alu instid0(SALU_CYCLE_1)
	s_or_b32 exec_lo, exec_lo, s15
.LBB235_1019:                           ;   in Loop: Header=BB235_552 Depth=1
	s_delay_alu instid0(SALU_CYCLE_1) | instskip(NEXT) | instid1(SALU_CYCLE_1)
	s_or_b32 exec_lo, exec_lo, s10
	s_mov_b32 s15, exec_lo
	v_cmpx_lt_u32_e32 0xffffff, v177
	s_cbranch_execz .LBB235_1027
; %bb.1020:                             ;   in Loop: Header=BB235_552 Depth=1
	v_lshrrev_b32_e32 v178, 24, v177
	v_dual_mov_b32 v19, s9 :: v_dual_mov_b32 v18, s8
	s_mov_b32 s16, exec_lo
	s_delay_alu instid0(VALU_DEP_2)
	v_cmpx_ne_u32_e32 0x80, v178
	s_cbranch_execz .LBB235_1026
; %bb.1021:                             ;   in Loop: Header=BB235_552 Depth=1
	s_mov_b32 s10, s8
	v_bfe_u32 v30, v177, 24, 7
	v_dual_mov_b32 v19, s11 :: v_dual_mov_b32 v18, s10
	s_mov_b32 s10, exec_lo
	s_delay_alu instid0(VALU_DEP_2)
	v_cmpx_ne_u32_e32 0x7f, v30
	s_cbranch_execz .LBB235_1025
; %bb.1022:                             ;   in Loop: Header=BB235_552 Depth=1
	v_and_b32_e32 v6, 7, v178
	v_lshrrev_b32_e32 v18, 3, v30
	s_mov_b32 s18, exec_lo
	v_cmpx_gt_u32_e32 8, v30
; %bb.1023:                             ;   in Loop: Header=BB235_552 Depth=1
	s_delay_alu instid0(VALU_DEP_3) | instskip(NEXT) | instid1(VALU_DEP_1)
	v_clz_i32_u32_e32 v18, v6
	v_min_u32_e32 v18, 32, v18
	s_delay_alu instid0(VALU_DEP_1) | instskip(SKIP_1) | instid1(VALU_DEP_2)
	v_subrev_nc_u32_e32 v19, 28, v18
	v_sub_nc_u32_e32 v18, 29, v18
	v_lshlrev_b64 v[179:180], v19, v[6:7]
	s_delay_alu instid0(VALU_DEP_1)
	v_and_b32_e32 v6, 7, v179
; %bb.1024:                             ;   in Loop: Header=BB235_552 Depth=1
	s_or_b32 exec_lo, exec_lo, s18
	v_lshlrev_b32_e32 v19, 24, v178
	s_delay_alu instid0(VALU_DEP_2) | instskip(SKIP_1) | instid1(VALU_DEP_3)
	v_lshlrev_b32_e32 v6, 20, v6
	v_lshl_add_u32 v18, v18, 23, 0x3c000000
	v_and_b32_e32 v19, 0x80000000, v19
	s_delay_alu instid0(VALU_DEP_1)
	v_or3_b32 v19, v6, v19, v18
	v_mov_b32_e32 v18, v7
.LBB235_1025:                           ;   in Loop: Header=BB235_552 Depth=1
	s_or_b32 exec_lo, exec_lo, s10
.LBB235_1026:                           ;   in Loop: Header=BB235_552 Depth=1
	s_delay_alu instid0(SALU_CYCLE_1)
	s_or_b32 exec_lo, exec_lo, s16
.LBB235_1027:                           ;   in Loop: Header=BB235_552 Depth=1
	s_delay_alu instid0(SALU_CYCLE_1) | instskip(SKIP_4) | instid1(VALU_DEP_4)
	s_or_b32 exec_lo, exec_lo, s15
	v_or_b32_e32 v5, v15, v5
	v_or_b32_e32 v4, v14, v4
	;; [unrolled: 1-line block ×4, first 2 shown]
	v_mul_f32_e32 v180, v55, v5
	s_delay_alu instid0(VALU_DEP_4) | instskip(NEXT) | instid1(VALU_DEP_4)
	v_mul_f32_e32 v179, v55, v4
	v_mul_f32_e32 v177, v55, v6
	s_delay_alu instid0(VALU_DEP_4)
	v_mul_f32_e32 v178, v55, v14
	s_and_saveexec_b32 s10, vcc_lo
; %bb.1028:                             ;   in Loop: Header=BB235_552 Depth=1
	v_cmp_lt_i32_e64 s1, v68, v47
	s_delay_alu instid0(VALU_DEP_1) | instskip(SKIP_1) | instid1(VALU_DEP_1)
	v_cndmask_b32_e64 v179, 0, v179, s1
	v_cmp_lt_i32_e64 s1, v71, v47
	v_cndmask_b32_e64 v180, 0, v180, s1
	v_cmp_lt_i32_e64 s1, v70, v47
	s_delay_alu instid0(VALU_DEP_1) | instskip(SKIP_1) | instid1(VALU_DEP_1)
	v_cndmask_b32_e64 v178, 0, v178, s1
	v_cmp_lt_i32_e64 s1, v69, v47
	v_cndmask_b32_e64 v177, 0, v177, s1
; %bb.1029:                             ;   in Loop: Header=BB235_552 Depth=1
	s_or_b32 exec_lo, exec_lo, s10
	flat_load_b32 v181, v[12:13] offset:1792
	v_mov_b32_e32 v14, 0
	v_mov_b32_e32 v15, 0
	s_mov_b32 s10, exec_lo
	s_waitcnt vmcnt(0) lgkmcnt(0)
	v_and_b32_e32 v6, 0xff, v181
	s_delay_alu instid0(VALU_DEP_2) | instskip(NEXT) | instid1(VALU_DEP_2)
	v_dual_mov_b32 v4, v14 :: v_dual_mov_b32 v5, v15
	v_cmpx_ne_u16_e32 0, v6
	s_cbranch_execz .LBB235_1037
; %bb.1030:                             ;   in Loop: Header=BB235_552 Depth=1
	v_bfrev_b32_e32 v4, 1
	v_mov_b32_e32 v5, 0
	s_mov_b32 s15, exec_lo
	v_cmpx_ne_u16_e32 0x80, v6
	s_cbranch_execz .LBB235_1036
; %bb.1031:                             ;   in Loop: Header=BB235_552 Depth=1
	v_mov_b32_e32 v4, 0x7f800001
	v_dual_mov_b32 v5, 0 :: v_dual_and_b32 v16, 0x7f, v181
	s_mov_b32 s16, exec_lo
	s_delay_alu instid0(VALU_DEP_1)
	v_cmpx_ne_u32_e32 0x7f, v16
	s_cbranch_execz .LBB235_1035
; %bb.1032:                             ;   in Loop: Header=BB235_552 Depth=1
	v_and_b32_e32 v6, 7, v181
	v_lshrrev_b32_e32 v4, 3, v16
	s_mov_b32 s18, exec_lo
	v_cmpx_gt_u32_e32 8, v16
; %bb.1033:                             ;   in Loop: Header=BB235_552 Depth=1
	s_delay_alu instid0(VALU_DEP_3) | instskip(NEXT) | instid1(VALU_DEP_1)
	v_clz_i32_u32_e32 v4, v6
	v_min_u32_e32 v4, 32, v4
	s_delay_alu instid0(VALU_DEP_1) | instskip(SKIP_1) | instid1(VALU_DEP_2)
	v_subrev_nc_u32_e32 v5, 28, v4
	v_sub_nc_u32_e32 v4, 29, v4
	v_lshlrev_b64 v[5:6], v5, v[6:7]
	s_delay_alu instid0(VALU_DEP_1)
	v_and_b32_e32 v6, 7, v5
; %bb.1034:                             ;   in Loop: Header=BB235_552 Depth=1
	s_or_b32 exec_lo, exec_lo, s18
	v_lshlrev_b32_e32 v5, 24, v181
	s_delay_alu instid0(VALU_DEP_2) | instskip(SKIP_1) | instid1(VALU_DEP_3)
	v_lshlrev_b32_e32 v6, 20, v6
	v_lshl_add_u32 v4, v4, 23, 0x3c000000
	v_and_b32_e32 v5, 0x80000000, v5
	s_delay_alu instid0(VALU_DEP_1) | instskip(NEXT) | instid1(VALU_DEP_1)
	v_or3_b32 v6, v6, v5, v4
	v_dual_mov_b32 v4, v6 :: v_dual_mov_b32 v5, v7
.LBB235_1035:                           ;   in Loop: Header=BB235_552 Depth=1
	s_or_b32 exec_lo, exec_lo, s16
.LBB235_1036:                           ;   in Loop: Header=BB235_552 Depth=1
	s_delay_alu instid0(SALU_CYCLE_1)
	s_or_b32 exec_lo, exec_lo, s15
.LBB235_1037:                           ;   in Loop: Header=BB235_552 Depth=1
	s_delay_alu instid0(SALU_CYCLE_1) | instskip(SKIP_2) | instid1(VALU_DEP_1)
	s_or_b32 exec_lo, exec_lo, s10
	v_lshrrev_b16 v6, 8, v181
	s_mov_b32 s15, exec_lo
	v_cmpx_ne_u16_e32 0, v6
	s_cbranch_execz .LBB235_1045
; %bb.1038:                             ;   in Loop: Header=BB235_552 Depth=1
	v_dual_mov_b32 v15, s9 :: v_dual_mov_b32 v14, s8
	s_mov_b32 s16, exec_lo
	v_cmpx_ne_u16_e32 0x80, v6
	s_cbranch_execz .LBB235_1044
; %bb.1039:                             ;   in Loop: Header=BB235_552 Depth=1
	s_mov_b32 s10, s8
	v_dual_mov_b32 v15, s11 :: v_dual_and_b32 v6, 0xffff, v6
	v_mov_b32_e32 v14, s10
	s_mov_b32 s10, exec_lo
	s_delay_alu instid0(VALU_DEP_2) | instskip(NEXT) | instid1(VALU_DEP_1)
	v_and_b32_e32 v16, 0x7f, v6
	v_cmpx_ne_u32_e32 0x7f, v16
	s_cbranch_execz .LBB235_1043
; %bb.1040:                             ;   in Loop: Header=BB235_552 Depth=1
	v_and_b32_e32 v6, 7, v6
	v_lshrrev_b32_e32 v14, 3, v16
	s_mov_b32 s18, exec_lo
	v_cmpx_gt_u32_e32 8, v16
; %bb.1041:                             ;   in Loop: Header=BB235_552 Depth=1
	s_delay_alu instid0(VALU_DEP_3) | instskip(NEXT) | instid1(VALU_DEP_1)
	v_clz_i32_u32_e32 v14, v6
	v_min_u32_e32 v14, 32, v14
	s_delay_alu instid0(VALU_DEP_1) | instskip(SKIP_1) | instid1(VALU_DEP_2)
	v_subrev_nc_u32_e32 v15, 28, v14
	v_sub_nc_u32_e32 v14, 29, v14
	v_lshlrev_b64 v[15:16], v15, v[6:7]
	s_delay_alu instid0(VALU_DEP_1)
	v_and_b32_e32 v6, 7, v15
; %bb.1042:                             ;   in Loop: Header=BB235_552 Depth=1
	s_or_b32 exec_lo, exec_lo, s18
	v_lshlrev_b32_e32 v15, 16, v181
	s_delay_alu instid0(VALU_DEP_2) | instskip(SKIP_1) | instid1(VALU_DEP_3)
	v_lshlrev_b32_e32 v6, 20, v6
	v_lshl_add_u32 v14, v14, 23, 0x3c000000
	v_and_b32_e32 v15, 0x80000000, v15
	s_delay_alu instid0(VALU_DEP_1)
	v_or3_b32 v15, v6, v15, v14
	v_mov_b32_e32 v14, v7
.LBB235_1043:                           ;   in Loop: Header=BB235_552 Depth=1
	s_or_b32 exec_lo, exec_lo, s10
.LBB235_1044:                           ;   in Loop: Header=BB235_552 Depth=1
	s_delay_alu instid0(SALU_CYCLE_1)
	s_or_b32 exec_lo, exec_lo, s16
.LBB235_1045:                           ;   in Loop: Header=BB235_552 Depth=1
	s_delay_alu instid0(SALU_CYCLE_1) | instskip(SKIP_4) | instid1(VALU_DEP_2)
	s_or_b32 exec_lo, exec_lo, s15
	v_mov_b32_e32 v18, 0
	v_lshrrev_b32_e32 v182, 16, v181
	v_mov_b32_e32 v19, 0
	s_mov_b32 s10, exec_lo
	v_and_b32_e32 v6, 0xff, v182
	s_delay_alu instid0(VALU_DEP_2) | instskip(NEXT) | instid1(VALU_DEP_2)
	v_dual_mov_b32 v16, v18 :: v_dual_mov_b32 v17, v19
	v_cmpx_ne_u16_e32 0, v6
	s_cbranch_execz .LBB235_1053
; %bb.1046:                             ;   in Loop: Header=BB235_552 Depth=1
	v_bfrev_b32_e32 v16, 1
	v_mov_b32_e32 v17, 0
	s_mov_b32 s15, exec_lo
	v_cmpx_ne_u16_e32 0x80, v6
	s_cbranch_execz .LBB235_1052
; %bb.1047:                             ;   in Loop: Header=BB235_552 Depth=1
	v_mov_b32_e32 v16, 0x7f800001
	v_bfe_u32 v30, v181, 16, 7
	v_mov_b32_e32 v17, 0
	s_mov_b32 s16, exec_lo
	s_delay_alu instid0(VALU_DEP_2)
	v_cmpx_ne_u32_e32 0x7f, v30
	s_cbranch_execz .LBB235_1051
; %bb.1048:                             ;   in Loop: Header=BB235_552 Depth=1
	v_and_b32_e32 v6, 7, v182
	v_lshrrev_b32_e32 v16, 3, v30
	s_mov_b32 s18, exec_lo
	v_cmpx_gt_u32_e32 8, v30
; %bb.1049:                             ;   in Loop: Header=BB235_552 Depth=1
	s_delay_alu instid0(VALU_DEP_3) | instskip(NEXT) | instid1(VALU_DEP_1)
	v_clz_i32_u32_e32 v16, v6
	v_min_u32_e32 v16, 32, v16
	s_delay_alu instid0(VALU_DEP_1) | instskip(SKIP_1) | instid1(VALU_DEP_2)
	v_subrev_nc_u32_e32 v17, 28, v16
	v_sub_nc_u32_e32 v16, 29, v16
	v_lshlrev_b64 v[40:41], v17, v[6:7]
	s_delay_alu instid0(VALU_DEP_1)
	v_and_b32_e32 v6, 7, v40
; %bb.1050:                             ;   in Loop: Header=BB235_552 Depth=1
	s_or_b32 exec_lo, exec_lo, s18
	v_lshlrev_b32_e32 v17, 24, v182
	s_delay_alu instid0(VALU_DEP_2) | instskip(SKIP_1) | instid1(VALU_DEP_3)
	v_lshlrev_b32_e32 v6, 20, v6
	v_lshl_add_u32 v16, v16, 23, 0x3c000000
	v_and_b32_e32 v17, 0x80000000, v17
	s_delay_alu instid0(VALU_DEP_1) | instskip(NEXT) | instid1(VALU_DEP_1)
	v_or3_b32 v6, v6, v17, v16
	v_dual_mov_b32 v17, v7 :: v_dual_mov_b32 v16, v6
.LBB235_1051:                           ;   in Loop: Header=BB235_552 Depth=1
	s_or_b32 exec_lo, exec_lo, s16
.LBB235_1052:                           ;   in Loop: Header=BB235_552 Depth=1
	s_delay_alu instid0(SALU_CYCLE_1)
	s_or_b32 exec_lo, exec_lo, s15
.LBB235_1053:                           ;   in Loop: Header=BB235_552 Depth=1
	s_delay_alu instid0(SALU_CYCLE_1) | instskip(NEXT) | instid1(SALU_CYCLE_1)
	s_or_b32 exec_lo, exec_lo, s10
	s_mov_b32 s15, exec_lo
	v_cmpx_lt_u32_e32 0xffffff, v181
	s_cbranch_execz .LBB235_1061
; %bb.1054:                             ;   in Loop: Header=BB235_552 Depth=1
	v_lshrrev_b32_e32 v182, 24, v181
	v_dual_mov_b32 v19, s9 :: v_dual_mov_b32 v18, s8
	s_mov_b32 s16, exec_lo
	s_delay_alu instid0(VALU_DEP_2)
	v_cmpx_ne_u32_e32 0x80, v182
	s_cbranch_execz .LBB235_1060
; %bb.1055:                             ;   in Loop: Header=BB235_552 Depth=1
	s_mov_b32 s10, s8
	v_bfe_u32 v30, v181, 24, 7
	v_dual_mov_b32 v19, s11 :: v_dual_mov_b32 v18, s10
	s_mov_b32 s10, exec_lo
	s_delay_alu instid0(VALU_DEP_2)
	v_cmpx_ne_u32_e32 0x7f, v30
	s_cbranch_execz .LBB235_1059
; %bb.1056:                             ;   in Loop: Header=BB235_552 Depth=1
	v_and_b32_e32 v6, 7, v182
	v_lshrrev_b32_e32 v18, 3, v30
	s_mov_b32 s18, exec_lo
	v_cmpx_gt_u32_e32 8, v30
; %bb.1057:                             ;   in Loop: Header=BB235_552 Depth=1
	s_delay_alu instid0(VALU_DEP_3) | instskip(NEXT) | instid1(VALU_DEP_1)
	v_clz_i32_u32_e32 v18, v6
	v_min_u32_e32 v18, 32, v18
	s_delay_alu instid0(VALU_DEP_1) | instskip(SKIP_1) | instid1(VALU_DEP_2)
	v_subrev_nc_u32_e32 v19, 28, v18
	v_sub_nc_u32_e32 v18, 29, v18
	v_lshlrev_b64 v[40:41], v19, v[6:7]
	s_delay_alu instid0(VALU_DEP_1)
	v_and_b32_e32 v6, 7, v40
; %bb.1058:                             ;   in Loop: Header=BB235_552 Depth=1
	s_or_b32 exec_lo, exec_lo, s18
	v_lshlrev_b32_e32 v19, 24, v182
	s_delay_alu instid0(VALU_DEP_2) | instskip(SKIP_1) | instid1(VALU_DEP_3)
	v_lshlrev_b32_e32 v6, 20, v6
	v_lshl_add_u32 v18, v18, 23, 0x3c000000
	v_and_b32_e32 v19, 0x80000000, v19
	s_delay_alu instid0(VALU_DEP_1)
	v_or3_b32 v19, v6, v19, v18
	v_mov_b32_e32 v18, v7
.LBB235_1059:                           ;   in Loop: Header=BB235_552 Depth=1
	s_or_b32 exec_lo, exec_lo, s10
.LBB235_1060:                           ;   in Loop: Header=BB235_552 Depth=1
	s_delay_alu instid0(SALU_CYCLE_1)
	s_or_b32 exec_lo, exec_lo, s16
.LBB235_1061:                           ;   in Loop: Header=BB235_552 Depth=1
	s_delay_alu instid0(SALU_CYCLE_1) | instskip(SKIP_4) | instid1(VALU_DEP_4)
	s_or_b32 exec_lo, exec_lo, s15
	v_or_b32_e32 v5, v15, v5
	v_or_b32_e32 v4, v14, v4
	;; [unrolled: 1-line block ×4, first 2 shown]
	v_mul_f32_e32 v182, v55, v5
	s_delay_alu instid0(VALU_DEP_4) | instskip(NEXT) | instid1(VALU_DEP_4)
	v_mul_f32_e32 v181, v55, v4
	v_mul_f32_e32 v18, v55, v6
	s_delay_alu instid0(VALU_DEP_4)
	v_mul_f32_e32 v19, v55, v14
	s_and_saveexec_b32 s10, vcc_lo
; %bb.1062:                             ;   in Loop: Header=BB235_552 Depth=1
	v_cmp_lt_i32_e64 s1, v68, v47
	s_delay_alu instid0(VALU_DEP_1) | instskip(SKIP_1) | instid1(VALU_DEP_1)
	v_cndmask_b32_e64 v181, 0, v181, s1
	v_cmp_lt_i32_e64 s1, v71, v47
	v_cndmask_b32_e64 v182, 0, v182, s1
	v_cmp_lt_i32_e64 s1, v70, v47
	s_delay_alu instid0(VALU_DEP_1) | instskip(SKIP_1) | instid1(VALU_DEP_1)
	v_cndmask_b32_e64 v19, 0, v19, s1
	v_cmp_lt_i32_e64 s1, v69, v47
	v_cndmask_b32_e64 v18, 0, v18, s1
; %bb.1063:                             ;   in Loop: Header=BB235_552 Depth=1
	s_or_b32 exec_lo, exec_lo, s10
	flat_load_b32 v183, v[12:13] offset:1920
	v_mov_b32_e32 v12, 0
	v_mov_b32_e32 v13, 0
	s_mov_b32 s10, exec_lo
	s_waitcnt vmcnt(0) lgkmcnt(0)
	v_and_b32_e32 v6, 0xff, v183
	s_delay_alu instid0(VALU_DEP_2) | instskip(NEXT) | instid1(VALU_DEP_2)
	v_dual_mov_b32 v4, v12 :: v_dual_mov_b32 v5, v13
	v_cmpx_ne_u16_e32 0, v6
	s_cbranch_execz .LBB235_1071
; %bb.1064:                             ;   in Loop: Header=BB235_552 Depth=1
	v_bfrev_b32_e32 v4, 1
	v_mov_b32_e32 v5, 0
	s_mov_b32 s15, exec_lo
	v_cmpx_ne_u16_e32 0x80, v6
	s_cbranch_execz .LBB235_1070
; %bb.1065:                             ;   in Loop: Header=BB235_552 Depth=1
	v_mov_b32_e32 v4, 0x7f800001
	v_dual_mov_b32 v5, 0 :: v_dual_and_b32 v14, 0x7f, v183
	s_mov_b32 s16, exec_lo
	s_delay_alu instid0(VALU_DEP_1)
	v_cmpx_ne_u32_e32 0x7f, v14
	s_cbranch_execz .LBB235_1069
; %bb.1066:                             ;   in Loop: Header=BB235_552 Depth=1
	v_and_b32_e32 v6, 7, v183
	v_lshrrev_b32_e32 v4, 3, v14
	s_mov_b32 s18, exec_lo
	v_cmpx_gt_u32_e32 8, v14
; %bb.1067:                             ;   in Loop: Header=BB235_552 Depth=1
	s_delay_alu instid0(VALU_DEP_3) | instskip(NEXT) | instid1(VALU_DEP_1)
	v_clz_i32_u32_e32 v4, v6
	v_min_u32_e32 v4, 32, v4
	s_delay_alu instid0(VALU_DEP_1) | instskip(SKIP_1) | instid1(VALU_DEP_2)
	v_subrev_nc_u32_e32 v5, 28, v4
	v_sub_nc_u32_e32 v4, 29, v4
	v_lshlrev_b64 v[5:6], v5, v[6:7]
	s_delay_alu instid0(VALU_DEP_1)
	v_and_b32_e32 v6, 7, v5
; %bb.1068:                             ;   in Loop: Header=BB235_552 Depth=1
	s_or_b32 exec_lo, exec_lo, s18
	v_lshlrev_b32_e32 v5, 24, v183
	s_delay_alu instid0(VALU_DEP_2) | instskip(SKIP_1) | instid1(VALU_DEP_3)
	v_lshlrev_b32_e32 v6, 20, v6
	v_lshl_add_u32 v4, v4, 23, 0x3c000000
	v_and_b32_e32 v5, 0x80000000, v5
	s_delay_alu instid0(VALU_DEP_1) | instskip(NEXT) | instid1(VALU_DEP_1)
	v_or3_b32 v6, v6, v5, v4
	v_dual_mov_b32 v4, v6 :: v_dual_mov_b32 v5, v7
.LBB235_1069:                           ;   in Loop: Header=BB235_552 Depth=1
	s_or_b32 exec_lo, exec_lo, s16
.LBB235_1070:                           ;   in Loop: Header=BB235_552 Depth=1
	s_delay_alu instid0(SALU_CYCLE_1)
	s_or_b32 exec_lo, exec_lo, s15
.LBB235_1071:                           ;   in Loop: Header=BB235_552 Depth=1
	s_delay_alu instid0(SALU_CYCLE_1) | instskip(SKIP_2) | instid1(VALU_DEP_1)
	s_or_b32 exec_lo, exec_lo, s10
	v_lshrrev_b16 v6, 8, v183
	s_mov_b32 s15, exec_lo
	v_cmpx_ne_u16_e32 0, v6
	s_cbranch_execz .LBB235_1079
; %bb.1072:                             ;   in Loop: Header=BB235_552 Depth=1
	v_dual_mov_b32 v13, s9 :: v_dual_mov_b32 v12, s8
	s_mov_b32 s16, exec_lo
	v_cmpx_ne_u16_e32 0x80, v6
	s_cbranch_execz .LBB235_1078
; %bb.1073:                             ;   in Loop: Header=BB235_552 Depth=1
	s_mov_b32 s10, s8
	v_dual_mov_b32 v13, s11 :: v_dual_and_b32 v6, 0xffff, v6
	v_mov_b32_e32 v12, s10
	s_mov_b32 s10, exec_lo
	s_delay_alu instid0(VALU_DEP_2) | instskip(NEXT) | instid1(VALU_DEP_1)
	v_and_b32_e32 v14, 0x7f, v6
	v_cmpx_ne_u32_e32 0x7f, v14
	s_cbranch_execz .LBB235_1077
; %bb.1074:                             ;   in Loop: Header=BB235_552 Depth=1
	v_and_b32_e32 v6, 7, v6
	v_lshrrev_b32_e32 v12, 3, v14
	s_mov_b32 s18, exec_lo
	v_cmpx_gt_u32_e32 8, v14
; %bb.1075:                             ;   in Loop: Header=BB235_552 Depth=1
	s_delay_alu instid0(VALU_DEP_3) | instskip(NEXT) | instid1(VALU_DEP_1)
	v_clz_i32_u32_e32 v12, v6
	v_min_u32_e32 v12, 32, v12
	s_delay_alu instid0(VALU_DEP_1) | instskip(SKIP_1) | instid1(VALU_DEP_2)
	v_subrev_nc_u32_e32 v13, 28, v12
	v_sub_nc_u32_e32 v12, 29, v12
	v_lshlrev_b64 v[13:14], v13, v[6:7]
	s_delay_alu instid0(VALU_DEP_1)
	v_and_b32_e32 v6, 7, v13
; %bb.1076:                             ;   in Loop: Header=BB235_552 Depth=1
	s_or_b32 exec_lo, exec_lo, s18
	v_lshlrev_b32_e32 v13, 16, v183
	s_delay_alu instid0(VALU_DEP_2) | instskip(SKIP_1) | instid1(VALU_DEP_3)
	v_lshlrev_b32_e32 v6, 20, v6
	v_lshl_add_u32 v12, v12, 23, 0x3c000000
	v_and_b32_e32 v13, 0x80000000, v13
	s_delay_alu instid0(VALU_DEP_1)
	v_or3_b32 v13, v6, v13, v12
	v_mov_b32_e32 v12, v7
.LBB235_1077:                           ;   in Loop: Header=BB235_552 Depth=1
	s_or_b32 exec_lo, exec_lo, s10
.LBB235_1078:                           ;   in Loop: Header=BB235_552 Depth=1
	s_delay_alu instid0(SALU_CYCLE_1)
	s_or_b32 exec_lo, exec_lo, s16
.LBB235_1079:                           ;   in Loop: Header=BB235_552 Depth=1
	s_delay_alu instid0(SALU_CYCLE_1) | instskip(SKIP_4) | instid1(VALU_DEP_2)
	s_or_b32 exec_lo, exec_lo, s15
	v_mov_b32_e32 v16, 0
	v_lshrrev_b32_e32 v40, 16, v183
	v_mov_b32_e32 v17, 0
	s_mov_b32 s10, exec_lo
	v_and_b32_e32 v6, 0xff, v40
	s_delay_alu instid0(VALU_DEP_2) | instskip(NEXT) | instid1(VALU_DEP_2)
	v_dual_mov_b32 v14, v16 :: v_dual_mov_b32 v15, v17
	v_cmpx_ne_u16_e32 0, v6
	s_cbranch_execz .LBB235_1087
; %bb.1080:                             ;   in Loop: Header=BB235_552 Depth=1
	v_bfrev_b32_e32 v14, 1
	v_mov_b32_e32 v15, 0
	s_mov_b32 s15, exec_lo
	v_cmpx_ne_u16_e32 0x80, v6
	s_cbranch_execz .LBB235_1086
; %bb.1081:                             ;   in Loop: Header=BB235_552 Depth=1
	v_mov_b32_e32 v14, 0x7f800001
	v_bfe_u32 v30, v183, 16, 7
	v_mov_b32_e32 v15, 0
	s_mov_b32 s16, exec_lo
	s_delay_alu instid0(VALU_DEP_2)
	v_cmpx_ne_u32_e32 0x7f, v30
	s_cbranch_execz .LBB235_1085
; %bb.1082:                             ;   in Loop: Header=BB235_552 Depth=1
	v_and_b32_e32 v6, 7, v40
	v_lshrrev_b32_e32 v14, 3, v30
	s_mov_b32 s18, exec_lo
	v_cmpx_gt_u32_e32 8, v30
; %bb.1083:                             ;   in Loop: Header=BB235_552 Depth=1
	s_delay_alu instid0(VALU_DEP_3) | instskip(NEXT) | instid1(VALU_DEP_1)
	v_clz_i32_u32_e32 v14, v6
	v_min_u32_e32 v14, 32, v14
	s_delay_alu instid0(VALU_DEP_1) | instskip(SKIP_1) | instid1(VALU_DEP_2)
	v_subrev_nc_u32_e32 v15, 28, v14
	v_sub_nc_u32_e32 v14, 29, v14
	v_lshlrev_b64 v[41:42], v15, v[6:7]
	s_delay_alu instid0(VALU_DEP_1)
	v_and_b32_e32 v6, 7, v41
; %bb.1084:                             ;   in Loop: Header=BB235_552 Depth=1
	s_or_b32 exec_lo, exec_lo, s18
	v_lshlrev_b32_e32 v15, 24, v40
	s_delay_alu instid0(VALU_DEP_2) | instskip(SKIP_1) | instid1(VALU_DEP_3)
	v_lshlrev_b32_e32 v6, 20, v6
	v_lshl_add_u32 v14, v14, 23, 0x3c000000
	v_and_b32_e32 v15, 0x80000000, v15
	s_delay_alu instid0(VALU_DEP_1) | instskip(NEXT) | instid1(VALU_DEP_1)
	v_or3_b32 v6, v6, v15, v14
	v_dual_mov_b32 v15, v7 :: v_dual_mov_b32 v14, v6
.LBB235_1085:                           ;   in Loop: Header=BB235_552 Depth=1
	s_or_b32 exec_lo, exec_lo, s16
.LBB235_1086:                           ;   in Loop: Header=BB235_552 Depth=1
	s_delay_alu instid0(SALU_CYCLE_1)
	s_or_b32 exec_lo, exec_lo, s15
.LBB235_1087:                           ;   in Loop: Header=BB235_552 Depth=1
	s_delay_alu instid0(SALU_CYCLE_1) | instskip(NEXT) | instid1(SALU_CYCLE_1)
	s_or_b32 exec_lo, exec_lo, s10
	s_mov_b32 s15, exec_lo
	v_cmpx_lt_u32_e32 0xffffff, v183
	s_cbranch_execz .LBB235_1095
; %bb.1088:                             ;   in Loop: Header=BB235_552 Depth=1
	v_lshrrev_b32_e32 v40, 24, v183
	v_dual_mov_b32 v17, s9 :: v_dual_mov_b32 v16, s8
	s_mov_b32 s16, exec_lo
	s_delay_alu instid0(VALU_DEP_2)
	v_cmpx_ne_u32_e32 0x80, v40
	s_cbranch_execz .LBB235_1094
; %bb.1089:                             ;   in Loop: Header=BB235_552 Depth=1
	s_mov_b32 s10, s8
	v_bfe_u32 v30, v183, 24, 7
	v_dual_mov_b32 v17, s11 :: v_dual_mov_b32 v16, s10
	s_mov_b32 s10, exec_lo
	s_delay_alu instid0(VALU_DEP_2)
	v_cmpx_ne_u32_e32 0x7f, v30
	s_cbranch_execz .LBB235_1093
; %bb.1090:                             ;   in Loop: Header=BB235_552 Depth=1
	v_and_b32_e32 v6, 7, v40
	v_lshrrev_b32_e32 v16, 3, v30
	s_mov_b32 s18, exec_lo
	v_cmpx_gt_u32_e32 8, v30
; %bb.1091:                             ;   in Loop: Header=BB235_552 Depth=1
	s_delay_alu instid0(VALU_DEP_3) | instskip(NEXT) | instid1(VALU_DEP_1)
	v_clz_i32_u32_e32 v16, v6
	v_min_u32_e32 v16, 32, v16
	s_delay_alu instid0(VALU_DEP_1) | instskip(SKIP_1) | instid1(VALU_DEP_2)
	v_subrev_nc_u32_e32 v17, 28, v16
	v_sub_nc_u32_e32 v16, 29, v16
	v_lshlrev_b64 v[41:42], v17, v[6:7]
	s_delay_alu instid0(VALU_DEP_1)
	v_and_b32_e32 v6, 7, v41
; %bb.1092:                             ;   in Loop: Header=BB235_552 Depth=1
	s_or_b32 exec_lo, exec_lo, s18
	v_lshlrev_b32_e32 v17, 24, v40
	s_delay_alu instid0(VALU_DEP_2) | instskip(SKIP_1) | instid1(VALU_DEP_3)
	v_lshlrev_b32_e32 v6, 20, v6
	v_lshl_add_u32 v16, v16, 23, 0x3c000000
	v_and_b32_e32 v17, 0x80000000, v17
	s_delay_alu instid0(VALU_DEP_1)
	v_or3_b32 v17, v6, v17, v16
	v_mov_b32_e32 v16, v7
.LBB235_1093:                           ;   in Loop: Header=BB235_552 Depth=1
	s_or_b32 exec_lo, exec_lo, s10
.LBB235_1094:                           ;   in Loop: Header=BB235_552 Depth=1
	s_delay_alu instid0(SALU_CYCLE_1)
	s_or_b32 exec_lo, exec_lo, s16
.LBB235_1095:                           ;   in Loop: Header=BB235_552 Depth=1
	s_delay_alu instid0(SALU_CYCLE_1) | instskip(SKIP_4) | instid1(VALU_DEP_4)
	s_or_b32 exec_lo, exec_lo, s15
	v_or_b32_e32 v5, v13, v5
	v_or_b32_e32 v4, v12, v4
	;; [unrolled: 1-line block ×4, first 2 shown]
	v_mul_f32_e32 v12, v55, v5
	s_delay_alu instid0(VALU_DEP_4) | instskip(NEXT) | instid1(VALU_DEP_4)
	v_mul_f32_e32 v6, v55, v4
	v_mul_f32_e32 v4, v55, v13
	s_delay_alu instid0(VALU_DEP_4)
	v_mul_f32_e32 v5, v55, v14
	s_and_saveexec_b32 s1, vcc_lo
	s_cbranch_execz .LBB235_550
; %bb.1096:                             ;   in Loop: Header=BB235_552 Depth=1
	v_cmp_lt_i32_e32 vcc_lo, v68, v47
	v_cndmask_b32_e32 v6, 0, v6, vcc_lo
	v_cmp_lt_i32_e32 vcc_lo, v71, v47
	v_cndmask_b32_e32 v12, 0, v12, vcc_lo
	;; [unrolled: 2-line block ×4, first 2 shown]
	s_branch .LBB235_550
.LBB235_1097:
	s_or_b32 exec_lo, exec_lo, s12
.LBB235_1098:
	s_delay_alu instid0(SALU_CYCLE_1)
	s_or_b32 exec_lo, exec_lo, s3
	ds_bpermute_b32 v0, v22, v48
	ds_bpermute_b32 v1, v22, v49
	;; [unrolled: 1-line block ×8, first 2 shown]
	s_waitcnt lgkmcnt(0)
	s_waitcnt_vscnt null, 0x0
	s_barrier
	buffer_gl0_inv
	ds_bpermute_b32 v2, v22, v39
	ds_bpermute_b32 v3, v22, v38
	;; [unrolled: 1-line block ×8, first 2 shown]
	s_load_b32 s1, s[4:5], 0x0
	v_dual_add_f32 v0, v48, v0 :: v_dual_add_f32 v1, v49, v1
	v_dual_add_f32 v10, v31, v10 :: v_dual_add_f32 v11, v29, v11
	;; [unrolled: 1-line block ×3, first 2 shown]
	ds_bpermute_b32 v16, v24, v0
	ds_bpermute_b32 v17, v24, v1
	;; [unrolled: 1-line block ×3, first 2 shown]
	v_dual_add_f32 v14, v26, v14 :: v_dual_add_f32 v15, v20, v15
	ds_bpermute_b32 v20, v24, v11
	s_waitcnt lgkmcnt(0)
	v_dual_add_f32 v2, v39, v2 :: v_dual_add_f32 v3, v38, v3
	v_dual_add_f32 v4, v37, v4 :: v_dual_add_f32 v5, v36, v5
	;; [unrolled: 1-line block ×4, first 2 shown]
	ds_bpermute_b32 v18, v24, v2
	ds_bpermute_b32 v19, v24, v3
	;; [unrolled: 1-line block ×6, first 2 shown]
	v_dual_add_f32 v0, v0, v16 :: v_dual_add_f32 v1, v1, v17
	v_add_f32_e32 v10, v10, v34
	scratch_load_b32 v17, off, s32 offset:436 ; 4-byte Folded Reload
	ds_bpermute_b32 v32, v24, v8
	v_add_f32_e32 v11, v11, v20
	scratch_load_b32 v20, off, s32 offset:448 ; 4-byte Folded Reload
	ds_bpermute_b32 v33, v24, v9
	ds_bpermute_b32 v26, v24, v12
	ds_bpermute_b32 v27, v24, v13
	ds_bpermute_b32 v28, v24, v14
	ds_bpermute_b32 v24, v24, v15
	v_lshrrev_b32_e32 v16, 2, v21
	s_mov_b32 s3, exec_lo
	s_waitcnt lgkmcnt(10)
	v_dual_add_f32 v2, v2, v18 :: v_dual_add_f32 v3, v3, v19
	s_waitcnt lgkmcnt(8)
	v_dual_add_f32 v4, v4, v22 :: v_dual_add_f32 v5, v5, v23
	;; [unrolled: 2-line block ×5, first 2 shown]
	s_waitcnt lgkmcnt(1)
	v_add_f32_e32 v14, v14, v28
	s_waitcnt lgkmcnt(0)
	v_add_f32_e32 v15, v15, v24
	s_waitcnt vmcnt(1)
	v_lshl_add_u32 v17, v17, 9, s1
	s_waitcnt vmcnt(0)
	v_and_b32_e32 v18, 0x3c3, v20
	s_delay_alu instid0(VALU_DEP_1)
	v_cmpx_eq_u32_e32 64, v18
	s_cbranch_execz .LBB235_1100
; %bb.1099:
	v_lshlrev_b32_e32 v18, 2, v16
	s_delay_alu instid0(VALU_DEP_1)
	v_add3_u32 v18, v17, v18, 0xfffffc00
	ds_store_2addr_b32 v18, v0, v1 offset1:8
	ds_store_2addr_b32 v18, v2, v3 offset0:16 offset1:24
	ds_store_2addr_b32 v18, v4, v5 offset0:32 offset1:40
	;; [unrolled: 1-line block ×7, first 2 shown]
.LBB235_1100:
	s_or_b32 exec_lo, exec_lo, s3
	v_cmp_eq_u32_e32 vcc_lo, 0, v25
	s_waitcnt lgkmcnt(0)
	s_barrier
	buffer_gl0_inv
	s_and_saveexec_b32 s3, s0
	s_cbranch_execz .LBB235_1119
; %bb.1101:
	s_and_saveexec_b32 s0, vcc_lo
	s_cbranch_execnz .LBB235_1143
; %bb.1102:
	s_or_b32 exec_lo, exec_lo, s0
	s_and_saveexec_b32 s0, vcc_lo
	s_cbranch_execnz .LBB235_1144
.LBB235_1103:
	s_or_b32 exec_lo, exec_lo, s0
	s_and_saveexec_b32 s0, vcc_lo
	s_cbranch_execnz .LBB235_1145
.LBB235_1104:
	s_or_b32 exec_lo, exec_lo, s0
	s_and_saveexec_b32 s0, vcc_lo
	s_cbranch_execnz .LBB235_1146
.LBB235_1105:
	s_or_b32 exec_lo, exec_lo, s0
	s_and_saveexec_b32 s0, vcc_lo
	s_cbranch_execnz .LBB235_1147
.LBB235_1106:
	s_or_b32 exec_lo, exec_lo, s0
	s_and_saveexec_b32 s0, vcc_lo
	s_cbranch_execnz .LBB235_1148
.LBB235_1107:
	s_or_b32 exec_lo, exec_lo, s0
	s_and_saveexec_b32 s0, vcc_lo
	s_cbranch_execnz .LBB235_1149
.LBB235_1108:
	s_or_b32 exec_lo, exec_lo, s0
	s_and_saveexec_b32 s0, vcc_lo
	s_cbranch_execnz .LBB235_1150
.LBB235_1109:
	s_or_b32 exec_lo, exec_lo, s0
	s_and_saveexec_b32 s0, vcc_lo
	s_cbranch_execnz .LBB235_1151
.LBB235_1110:
	s_or_b32 exec_lo, exec_lo, s0
	s_and_saveexec_b32 s0, vcc_lo
	s_cbranch_execnz .LBB235_1152
.LBB235_1111:
	s_or_b32 exec_lo, exec_lo, s0
	s_and_saveexec_b32 s0, vcc_lo
	s_cbranch_execnz .LBB235_1153
.LBB235_1112:
	s_or_b32 exec_lo, exec_lo, s0
	s_and_saveexec_b32 s0, vcc_lo
	s_cbranch_execnz .LBB235_1154
.LBB235_1113:
	s_or_b32 exec_lo, exec_lo, s0
	s_and_saveexec_b32 s0, vcc_lo
	s_cbranch_execnz .LBB235_1155
.LBB235_1114:
	s_or_b32 exec_lo, exec_lo, s0
	s_and_saveexec_b32 s0, vcc_lo
	s_cbranch_execnz .LBB235_1156
.LBB235_1115:
	s_or_b32 exec_lo, exec_lo, s0
	s_and_saveexec_b32 s0, vcc_lo
	s_cbranch_execnz .LBB235_1157
.LBB235_1116:
	s_or_b32 exec_lo, exec_lo, s0
	s_and_saveexec_b32 s0, vcc_lo
	s_cbranch_execz .LBB235_1118
.LBB235_1117:
	v_lshl_add_u32 v18, v16, 2, v17
	ds_load_b32 v18, v18 offset:480
	s_waitcnt lgkmcnt(0)
	v_add_f32_e32 v15, v18, v15
.LBB235_1118:
	s_or_b32 exec_lo, exec_lo, s0
.LBB235_1119:
	s_delay_alu instid0(SALU_CYCLE_1)
	s_or_b32 exec_lo, exec_lo, s3
	v_and_b32_e32 v18, 0x3e3, v20
	s_mov_b32 s3, exec_lo
	s_barrier
	buffer_gl0_inv
	v_cmpx_eq_u32_e32 32, v18
	s_cbranch_execz .LBB235_1121
; %bb.1120:
	v_lshl_add_u32 v19, v16, 2, s1
	ds_store_2addr_b32 v19, v0, v1 offset1:8
	ds_store_2addr_b32 v19, v2, v3 offset0:16 offset1:24
	ds_store_2addr_b32 v19, v4, v5 offset0:32 offset1:40
	;; [unrolled: 1-line block ×7, first 2 shown]
.LBB235_1121:
	s_or_b32 exec_lo, exec_lo, s3
	s_delay_alu instid0(SALU_CYCLE_1)
	s_mov_b32 s1, exec_lo
	s_waitcnt lgkmcnt(0)
	s_barrier
	buffer_gl0_inv
	v_cmpx_gt_u32_e32 32, v20
	s_cbranch_execz .LBB235_1140
; %bb.1122:
	v_lshl_add_u32 v16, v16, 2, v17
	s_and_saveexec_b32 s0, vcc_lo
	s_cbranch_execnz .LBB235_1158
; %bb.1123:
	s_or_b32 exec_lo, exec_lo, s0
	s_and_saveexec_b32 s0, vcc_lo
	s_cbranch_execnz .LBB235_1159
.LBB235_1124:
	s_or_b32 exec_lo, exec_lo, s0
	s_and_saveexec_b32 s0, vcc_lo
	s_cbranch_execnz .LBB235_1160
.LBB235_1125:
	s_or_b32 exec_lo, exec_lo, s0
	s_and_saveexec_b32 s0, vcc_lo
	s_cbranch_execnz .LBB235_1161
.LBB235_1126:
	s_or_b32 exec_lo, exec_lo, s0
	s_and_saveexec_b32 s0, vcc_lo
	s_cbranch_execnz .LBB235_1162
.LBB235_1127:
	s_or_b32 exec_lo, exec_lo, s0
	s_and_saveexec_b32 s0, vcc_lo
	s_cbranch_execnz .LBB235_1163
.LBB235_1128:
	s_or_b32 exec_lo, exec_lo, s0
	s_and_saveexec_b32 s0, vcc_lo
	s_cbranch_execnz .LBB235_1164
.LBB235_1129:
	s_or_b32 exec_lo, exec_lo, s0
	s_and_saveexec_b32 s0, vcc_lo
	s_cbranch_execnz .LBB235_1165
.LBB235_1130:
	s_or_b32 exec_lo, exec_lo, s0
	s_and_saveexec_b32 s0, vcc_lo
	s_cbranch_execnz .LBB235_1166
.LBB235_1131:
	s_or_b32 exec_lo, exec_lo, s0
	s_and_saveexec_b32 s0, vcc_lo
	s_cbranch_execnz .LBB235_1167
.LBB235_1132:
	s_or_b32 exec_lo, exec_lo, s0
	s_and_saveexec_b32 s0, vcc_lo
	s_cbranch_execnz .LBB235_1168
.LBB235_1133:
	s_or_b32 exec_lo, exec_lo, s0
	s_and_saveexec_b32 s0, vcc_lo
	s_cbranch_execnz .LBB235_1169
.LBB235_1134:
	s_or_b32 exec_lo, exec_lo, s0
	s_and_saveexec_b32 s0, vcc_lo
	s_cbranch_execnz .LBB235_1170
.LBB235_1135:
	s_or_b32 exec_lo, exec_lo, s0
	s_and_saveexec_b32 s0, vcc_lo
	s_cbranch_execnz .LBB235_1171
.LBB235_1136:
	s_or_b32 exec_lo, exec_lo, s0
	s_and_saveexec_b32 s0, vcc_lo
	s_cbranch_execnz .LBB235_1172
.LBB235_1137:
	s_or_b32 exec_lo, exec_lo, s0
	s_and_saveexec_b32 s0, vcc_lo
	s_cbranch_execz .LBB235_1139
.LBB235_1138:
	ds_load_b32 v16, v16 offset:480
	s_waitcnt lgkmcnt(0)
	v_add_f32_e32 v15, v16, v15
.LBB235_1139:
	s_or_b32 exec_lo, exec_lo, s0
.LBB235_1140:
	s_delay_alu instid0(SALU_CYCLE_1)
	s_or_b32 exec_lo, exec_lo, s1
	v_cmp_eq_u32_e32 vcc_lo, 0, v18
	s_barrier
	buffer_gl0_inv
	s_and_b32 exec_lo, exec_lo, vcc_lo
	s_cbranch_execz .LBB235_1142
; %bb.1141:
	s_clause 0x1
	scratch_load_b32 v16, off, s32 offset:444
	scratch_load_b32 v17, off, s32 offset:440
	s_lshl_b32 s0, s2, 7
	s_mul_i32 s2, s6, s7
	s_lshl_b32 s4, s14, 7
	s_ashr_i32 s3, s2, 31
	s_ashr_i32 s5, s4, 31
	;; [unrolled: 1-line block ×3, first 2 shown]
	s_lshl_b64 s[2:3], s[2:3], 2
	s_lshl_b64 s[4:5], s[4:5], 2
	;; [unrolled: 1-line block ×3, first 2 shown]
	s_add_u32 s2, s4, s2
	s_addc_u32 s3, s5, s3
	s_add_u32 s0, s2, s0
	s_addc_u32 s1, s3, s1
	s_waitcnt vmcnt(1)
	v_add_co_u32 v16, vcc_lo, s0, v16
	s_waitcnt vmcnt(0)
	v_add_co_ci_u32_e32 v17, vcc_lo, s1, v17, vcc_lo
	s_delay_alu instid0(VALU_DEP_2) | instskip(NEXT) | instid1(VALU_DEP_2)
	v_add_co_u32 v16, vcc_lo, v16, v20
	v_add_co_ci_u32_e32 v17, vcc_lo, 0, v17, vcc_lo
	s_clause 0xf
	flat_store_b32 v[16:17], v0
	flat_store_b32 v[16:17], v1 offset:32
	flat_store_b32 v[16:17], v2 offset:64
	;; [unrolled: 1-line block ×15, first 2 shown]
.LBB235_1142:
	s_or_b32 exec_lo, exec_lo, s17
	s_clause 0x1f
	scratch_load_b32 v191, off, s32 offset:8
	scratch_load_b32 v190, off, s32 offset:12
	;; [unrolled: 1-line block ×32, first 2 shown]
	s_clause 0x1f
	scratch_load_b32 v127, off, s32 offset:136
	scratch_load_b32 v126, off, s32 offset:140
	;; [unrolled: 1-line block ×32, first 2 shown]
	s_clause 0xf
	scratch_load_b32 v63, off, s32 offset:264
	scratch_load_b32 v62, off, s32 offset:268
	;; [unrolled: 1-line block ×16, first 2 shown]
	s_waitcnt vmcnt(0) lgkmcnt(0)
	s_setpc_b64 s[30:31]
.LBB235_1143:
	v_lshl_add_u32 v18, v16, 2, v17
	ds_load_b32 v18, v18
	s_waitcnt lgkmcnt(0)
	v_add_f32_e32 v0, v18, v0
	s_or_b32 exec_lo, exec_lo, s0
	s_and_saveexec_b32 s0, vcc_lo
	s_cbranch_execz .LBB235_1103
.LBB235_1144:
	v_lshl_add_u32 v18, v16, 2, v17
	ds_load_b32 v18, v18 offset:32
	s_waitcnt lgkmcnt(0)
	v_add_f32_e32 v1, v18, v1
	s_or_b32 exec_lo, exec_lo, s0
	s_and_saveexec_b32 s0, vcc_lo
	s_cbranch_execz .LBB235_1104
.LBB235_1145:
	v_lshl_add_u32 v18, v16, 2, v17
	ds_load_b32 v18, v18 offset:64
	s_waitcnt lgkmcnt(0)
	v_add_f32_e32 v2, v18, v2
	s_or_b32 exec_lo, exec_lo, s0
	s_and_saveexec_b32 s0, vcc_lo
	s_cbranch_execz .LBB235_1105
.LBB235_1146:
	v_lshl_add_u32 v18, v16, 2, v17
	ds_load_b32 v18, v18 offset:96
	s_waitcnt lgkmcnt(0)
	v_add_f32_e32 v3, v18, v3
	s_or_b32 exec_lo, exec_lo, s0
	s_and_saveexec_b32 s0, vcc_lo
	s_cbranch_execz .LBB235_1106
.LBB235_1147:
	v_lshl_add_u32 v18, v16, 2, v17
	ds_load_b32 v18, v18 offset:128
	s_waitcnt lgkmcnt(0)
	v_add_f32_e32 v4, v18, v4
	s_or_b32 exec_lo, exec_lo, s0
	s_and_saveexec_b32 s0, vcc_lo
	s_cbranch_execz .LBB235_1107
.LBB235_1148:
	v_lshl_add_u32 v18, v16, 2, v17
	ds_load_b32 v18, v18 offset:160
	s_waitcnt lgkmcnt(0)
	v_add_f32_e32 v5, v18, v5
	s_or_b32 exec_lo, exec_lo, s0
	s_and_saveexec_b32 s0, vcc_lo
	s_cbranch_execz .LBB235_1108
.LBB235_1149:
	v_lshl_add_u32 v18, v16, 2, v17
	ds_load_b32 v18, v18 offset:192
	s_waitcnt lgkmcnt(0)
	v_add_f32_e32 v6, v18, v6
	s_or_b32 exec_lo, exec_lo, s0
	s_and_saveexec_b32 s0, vcc_lo
	s_cbranch_execz .LBB235_1109
.LBB235_1150:
	v_lshl_add_u32 v18, v16, 2, v17
	ds_load_b32 v18, v18 offset:224
	s_waitcnt lgkmcnt(0)
	v_add_f32_e32 v7, v18, v7
	s_or_b32 exec_lo, exec_lo, s0
	s_and_saveexec_b32 s0, vcc_lo
	s_cbranch_execz .LBB235_1110
.LBB235_1151:
	v_lshl_add_u32 v18, v16, 2, v17
	ds_load_b32 v18, v18 offset:256
	s_waitcnt lgkmcnt(0)
	v_add_f32_e32 v8, v18, v8
	s_or_b32 exec_lo, exec_lo, s0
	s_and_saveexec_b32 s0, vcc_lo
	s_cbranch_execz .LBB235_1111
.LBB235_1152:
	v_lshl_add_u32 v18, v16, 2, v17
	ds_load_b32 v18, v18 offset:288
	s_waitcnt lgkmcnt(0)
	v_add_f32_e32 v9, v18, v9
	s_or_b32 exec_lo, exec_lo, s0
	s_and_saveexec_b32 s0, vcc_lo
	s_cbranch_execz .LBB235_1112
.LBB235_1153:
	v_lshl_add_u32 v18, v16, 2, v17
	ds_load_b32 v18, v18 offset:320
	s_waitcnt lgkmcnt(0)
	v_add_f32_e32 v10, v18, v10
	s_or_b32 exec_lo, exec_lo, s0
	s_and_saveexec_b32 s0, vcc_lo
	s_cbranch_execz .LBB235_1113
.LBB235_1154:
	v_lshl_add_u32 v18, v16, 2, v17
	ds_load_b32 v18, v18 offset:352
	s_waitcnt lgkmcnt(0)
	v_add_f32_e32 v11, v18, v11
	s_or_b32 exec_lo, exec_lo, s0
	s_and_saveexec_b32 s0, vcc_lo
	s_cbranch_execz .LBB235_1114
.LBB235_1155:
	v_lshl_add_u32 v18, v16, 2, v17
	ds_load_b32 v18, v18 offset:384
	s_waitcnt lgkmcnt(0)
	v_add_f32_e32 v12, v18, v12
	s_or_b32 exec_lo, exec_lo, s0
	s_and_saveexec_b32 s0, vcc_lo
	s_cbranch_execz .LBB235_1115
.LBB235_1156:
	v_lshl_add_u32 v18, v16, 2, v17
	ds_load_b32 v18, v18 offset:416
	s_waitcnt lgkmcnt(0)
	v_add_f32_e32 v13, v18, v13
	s_or_b32 exec_lo, exec_lo, s0
	s_and_saveexec_b32 s0, vcc_lo
	s_cbranch_execz .LBB235_1116
.LBB235_1157:
	v_lshl_add_u32 v18, v16, 2, v17
	ds_load_b32 v18, v18 offset:448
	s_waitcnt lgkmcnt(0)
	v_add_f32_e32 v14, v18, v14
	s_or_b32 exec_lo, exec_lo, s0
	s_and_saveexec_b32 s0, vcc_lo
	s_cbranch_execnz .LBB235_1117
	s_branch .LBB235_1118
.LBB235_1158:
	ds_load_b32 v17, v16
	s_waitcnt lgkmcnt(0)
	v_add_f32_e32 v0, v17, v0
	s_or_b32 exec_lo, exec_lo, s0
	s_and_saveexec_b32 s0, vcc_lo
	s_cbranch_execz .LBB235_1124
.LBB235_1159:
	ds_load_b32 v17, v16 offset:32
	s_waitcnt lgkmcnt(0)
	v_add_f32_e32 v1, v17, v1
	s_or_b32 exec_lo, exec_lo, s0
	s_and_saveexec_b32 s0, vcc_lo
	s_cbranch_execz .LBB235_1125
.LBB235_1160:
	ds_load_b32 v17, v16 offset:64
	s_waitcnt lgkmcnt(0)
	v_add_f32_e32 v2, v17, v2
	s_or_b32 exec_lo, exec_lo, s0
	s_and_saveexec_b32 s0, vcc_lo
	s_cbranch_execz .LBB235_1126
.LBB235_1161:
	ds_load_b32 v17, v16 offset:96
	s_waitcnt lgkmcnt(0)
	v_add_f32_e32 v3, v17, v3
	s_or_b32 exec_lo, exec_lo, s0
	s_and_saveexec_b32 s0, vcc_lo
	s_cbranch_execz .LBB235_1127
.LBB235_1162:
	ds_load_b32 v17, v16 offset:128
	s_waitcnt lgkmcnt(0)
	v_add_f32_e32 v4, v17, v4
	s_or_b32 exec_lo, exec_lo, s0
	s_and_saveexec_b32 s0, vcc_lo
	s_cbranch_execz .LBB235_1128
.LBB235_1163:
	ds_load_b32 v17, v16 offset:160
	s_waitcnt lgkmcnt(0)
	v_add_f32_e32 v5, v17, v5
	s_or_b32 exec_lo, exec_lo, s0
	s_and_saveexec_b32 s0, vcc_lo
	s_cbranch_execz .LBB235_1129
.LBB235_1164:
	ds_load_b32 v17, v16 offset:192
	s_waitcnt lgkmcnt(0)
	v_add_f32_e32 v6, v17, v6
	s_or_b32 exec_lo, exec_lo, s0
	s_and_saveexec_b32 s0, vcc_lo
	s_cbranch_execz .LBB235_1130
.LBB235_1165:
	ds_load_b32 v17, v16 offset:224
	s_waitcnt lgkmcnt(0)
	v_add_f32_e32 v7, v17, v7
	s_or_b32 exec_lo, exec_lo, s0
	s_and_saveexec_b32 s0, vcc_lo
	s_cbranch_execz .LBB235_1131
.LBB235_1166:
	ds_load_b32 v17, v16 offset:256
	s_waitcnt lgkmcnt(0)
	v_add_f32_e32 v8, v17, v8
	s_or_b32 exec_lo, exec_lo, s0
	s_and_saveexec_b32 s0, vcc_lo
	s_cbranch_execz .LBB235_1132
.LBB235_1167:
	ds_load_b32 v17, v16 offset:288
	s_waitcnt lgkmcnt(0)
	v_add_f32_e32 v9, v17, v9
	s_or_b32 exec_lo, exec_lo, s0
	s_and_saveexec_b32 s0, vcc_lo
	s_cbranch_execz .LBB235_1133
.LBB235_1168:
	ds_load_b32 v17, v16 offset:320
	s_waitcnt lgkmcnt(0)
	v_add_f32_e32 v10, v17, v10
	s_or_b32 exec_lo, exec_lo, s0
	s_and_saveexec_b32 s0, vcc_lo
	s_cbranch_execz .LBB235_1134
.LBB235_1169:
	ds_load_b32 v17, v16 offset:352
	s_waitcnt lgkmcnt(0)
	v_add_f32_e32 v11, v17, v11
	s_or_b32 exec_lo, exec_lo, s0
	s_and_saveexec_b32 s0, vcc_lo
	s_cbranch_execz .LBB235_1135
.LBB235_1170:
	ds_load_b32 v17, v16 offset:384
	s_waitcnt lgkmcnt(0)
	v_add_f32_e32 v12, v17, v12
	s_or_b32 exec_lo, exec_lo, s0
	s_and_saveexec_b32 s0, vcc_lo
	s_cbranch_execz .LBB235_1136
.LBB235_1171:
	ds_load_b32 v17, v16 offset:416
	s_waitcnt lgkmcnt(0)
	v_add_f32_e32 v13, v17, v13
	s_or_b32 exec_lo, exec_lo, s0
	s_and_saveexec_b32 s0, vcc_lo
	s_cbranch_execz .LBB235_1137
.LBB235_1172:
	ds_load_b32 v17, v16 offset:448
	s_waitcnt lgkmcnt(0)
	v_add_f32_e32 v14, v17, v14
	s_or_b32 exec_lo, exec_lo, s0
	s_and_saveexec_b32 s0, vcc_lo
	s_cbranch_execnz .LBB235_1138
	s_branch .LBB235_1139
.Lfunc_end235:
	.size	_ZN4vllm22paged_attention_kernelIfhLi128ELi16ELi128ELNS_18Fp8KVCacheDataTypeE1ELb1ELi512EEEvPfS2_PT_PKS3_PKT0_S9_ifPKiSB_iPKfiiiSD_SD_iiiii, .Lfunc_end235-_ZN4vllm22paged_attention_kernelIfhLi128ELi16ELi128ELNS_18Fp8KVCacheDataTypeE1ELb1ELi512EEEvPfS2_PT_PKS3_PKT0_S9_ifPKiSB_iPKfiiiSD_SD_iiiii
                                        ; -- End function
	.section	.AMDGPU.csdata,"",@progbits
; Function info:
; codeLenInByte = 42412
; NumSgprs: 35
; NumVgprs: 192
; ScratchSize: 520
; MemoryBound: 0
	.section	.text._ZN4vllm25paged_attention_v2_kernelIfhLi128ELi16ELi128ELNS_18Fp8KVCacheDataTypeE1ELb1ELi512EEEvPfS2_PT_PKS3_PKT0_S9_ifPKiSB_iPKfiiiSD_SD_iiiii,"axG",@progbits,_ZN4vllm25paged_attention_v2_kernelIfhLi128ELi16ELi128ELNS_18Fp8KVCacheDataTypeE1ELb1ELi512EEEvPfS2_PT_PKS3_PKT0_S9_ifPKiSB_iPKfiiiSD_SD_iiiii,comdat
	.protected	_ZN4vllm25paged_attention_v2_kernelIfhLi128ELi16ELi128ELNS_18Fp8KVCacheDataTypeE1ELb1ELi512EEEvPfS2_PT_PKS3_PKT0_S9_ifPKiSB_iPKfiiiSD_SD_iiiii ; -- Begin function _ZN4vllm25paged_attention_v2_kernelIfhLi128ELi16ELi128ELNS_18Fp8KVCacheDataTypeE1ELb1ELi512EEEvPfS2_PT_PKS3_PKT0_S9_ifPKiSB_iPKfiiiSD_SD_iiiii
	.globl	_ZN4vllm25paged_attention_v2_kernelIfhLi128ELi16ELi128ELNS_18Fp8KVCacheDataTypeE1ELb1ELi512EEEvPfS2_PT_PKS3_PKT0_S9_ifPKiSB_iPKfiiiSD_SD_iiiii
	.p2align	8
	.type	_ZN4vllm25paged_attention_v2_kernelIfhLi128ELi16ELi128ELNS_18Fp8KVCacheDataTypeE1ELb1ELi512EEEvPfS2_PT_PKS3_PKT0_S9_ifPKiSB_iPKfiiiSD_SD_iiiii,@function
_ZN4vllm25paged_attention_v2_kernelIfhLi128ELi16ELi128ELNS_18Fp8KVCacheDataTypeE1ELb1ELi512EEEvPfS2_PT_PKS3_PKT0_S9_ifPKiSB_iPKfiiiSD_SD_iiiii: ; @_ZN4vllm25paged_attention_v2_kernelIfhLi128ELi16ELi128ELNS_18Fp8KVCacheDataTypeE1ELb1ELi512EEEvPfS2_PT_PKS3_PKT0_S9_ifPKiSB_iPKfiiiSD_SD_iiiii
; %bb.0:
	s_mov_b32 s12, s13
	s_clause 0x7
	s_load_b128 s[4:7], s[0:1], 0x78
	s_load_b32 s8, s[0:1], 0x88
	s_load_b256 s[24:31], s[0:1], 0x0
	s_load_b256 s[36:43], s[0:1], 0x20
	s_load_b64 s[2:3], s[0:1], 0x40
	s_load_b64 s[10:11], s[0:1], 0x50
	s_load_b32 s13, s[0:1], 0x48
	s_load_b256 s[16:23], s[0:1], 0x58
	s_mov_b32 s32, 0
	v_mov_b32_e32 v31, v0
	s_waitcnt lgkmcnt(0)
	v_dual_mov_b32 v1, s7 :: v_dual_mov_b32 v2, s8
	v_dual_mov_b32 v0, s24 :: v_dual_mov_b32 v3, s27
	v_dual_mov_b32 v4, s28 :: v_dual_mov_b32 v5, s29
	v_mov_b32_e32 v6, s30
	scratch_store_b64 off, v[1:2], s32
	v_dual_mov_b32 v1, s25 :: v_dual_mov_b32 v2, s26
	v_dual_mov_b32 v7, s31 :: v_dual_mov_b32 v8, s36
	;; [unrolled: 1-line block ×13, first 2 shown]
	s_add_u32 s8, s0, 0x90
	s_addc_u32 s9, s1, 0
	s_mov_b32 s13, s14
	s_mov_b32 s14, s15
	;; [unrolled: 1-line block ×3, first 2 shown]
	s_getpc_b64 s[0:1]
	s_add_u32 s0, s0, _ZN4vllm22paged_attention_kernelIfhLi128ELi16ELi128ELNS_18Fp8KVCacheDataTypeE1ELb1ELi512EEEvPfS2_PT_PKS3_PKT0_S9_ifPKiSB_iPKfiiiSD_SD_iiiii@rel32@lo+4
	s_addc_u32 s1, s1, _ZN4vllm22paged_attention_kernelIfhLi128ELi16ELi128ELNS_18Fp8KVCacheDataTypeE1ELb1ELi512EEEvPfS2_PT_PKS3_PKT0_S9_ifPKiSB_iPKfiiiSD_SD_iiiii@rel32@hi+12
	s_delay_alu instid0(SALU_CYCLE_1)
	s_swappc_b64 s[30:31], s[0:1]
	s_endpgm
	.section	.rodata,"a",@progbits
	.p2align	6, 0x0
	.amdhsa_kernel _ZN4vllm25paged_attention_v2_kernelIfhLi128ELi16ELi128ELNS_18Fp8KVCacheDataTypeE1ELb1ELi512EEEvPfS2_PT_PKS3_PKT0_S9_ifPKiSB_iPKfiiiSD_SD_iiiii
		.amdhsa_group_segment_fixed_size 544
		.amdhsa_private_segment_fixed_size 520
		.amdhsa_kernarg_size 400
		.amdhsa_user_sgpr_count 13
		.amdhsa_user_sgpr_dispatch_ptr 0
		.amdhsa_user_sgpr_queue_ptr 0
		.amdhsa_user_sgpr_kernarg_segment_ptr 1
		.amdhsa_user_sgpr_dispatch_id 0
		.amdhsa_user_sgpr_private_segment_size 0
		.amdhsa_wavefront_size32 1
		.amdhsa_uses_dynamic_stack 0
		.amdhsa_enable_private_segment 1
		.amdhsa_system_sgpr_workgroup_id_x 1
		.amdhsa_system_sgpr_workgroup_id_y 1
		.amdhsa_system_sgpr_workgroup_id_z 1
		.amdhsa_system_sgpr_workgroup_info 0
		.amdhsa_system_vgpr_workitem_id 0
		.amdhsa_next_free_vgpr 192
		.amdhsa_next_free_sgpr 44
		.amdhsa_reserve_vcc 1
		.amdhsa_float_round_mode_32 0
		.amdhsa_float_round_mode_16_64 0
		.amdhsa_float_denorm_mode_32 3
		.amdhsa_float_denorm_mode_16_64 3
		.amdhsa_dx10_clamp 1
		.amdhsa_ieee_mode 1
		.amdhsa_fp16_overflow 0
		.amdhsa_workgroup_processor_mode 1
		.amdhsa_memory_ordered 1
		.amdhsa_forward_progress 0
		.amdhsa_shared_vgpr_count 0
		.amdhsa_exception_fp_ieee_invalid_op 0
		.amdhsa_exception_fp_denorm_src 0
		.amdhsa_exception_fp_ieee_div_zero 0
		.amdhsa_exception_fp_ieee_overflow 0
		.amdhsa_exception_fp_ieee_underflow 0
		.amdhsa_exception_fp_ieee_inexact 0
		.amdhsa_exception_int_div_zero 0
	.end_amdhsa_kernel
	.section	.text._ZN4vllm25paged_attention_v2_kernelIfhLi128ELi16ELi128ELNS_18Fp8KVCacheDataTypeE1ELb1ELi512EEEvPfS2_PT_PKS3_PKT0_S9_ifPKiSB_iPKfiiiSD_SD_iiiii,"axG",@progbits,_ZN4vllm25paged_attention_v2_kernelIfhLi128ELi16ELi128ELNS_18Fp8KVCacheDataTypeE1ELb1ELi512EEEvPfS2_PT_PKS3_PKT0_S9_ifPKiSB_iPKfiiiSD_SD_iiiii,comdat
.Lfunc_end236:
	.size	_ZN4vllm25paged_attention_v2_kernelIfhLi128ELi16ELi128ELNS_18Fp8KVCacheDataTypeE1ELb1ELi512EEEvPfS2_PT_PKS3_PKT0_S9_ifPKiSB_iPKfiiiSD_SD_iiiii, .Lfunc_end236-_ZN4vllm25paged_attention_v2_kernelIfhLi128ELi16ELi128ELNS_18Fp8KVCacheDataTypeE1ELb1ELi512EEEvPfS2_PT_PKS3_PKT0_S9_ifPKiSB_iPKfiiiSD_SD_iiiii
                                        ; -- End function
	.section	.AMDGPU.csdata,"",@progbits
; Kernel info:
; codeLenInByte = 280
; NumSgprs: 46
; NumVgprs: 192
; ScratchSize: 520
; MemoryBound: 0
; FloatMode: 240
; IeeeMode: 1
; LDSByteSize: 544 bytes/workgroup (compile time only)
; SGPRBlocks: 5
; VGPRBlocks: 23
; NumSGPRsForWavesPerEU: 46
; NumVGPRsForWavesPerEU: 192
; Occupancy: 8
; WaveLimiterHint : 1
; COMPUTE_PGM_RSRC2:SCRATCH_EN: 1
; COMPUTE_PGM_RSRC2:USER_SGPR: 13
; COMPUTE_PGM_RSRC2:TRAP_HANDLER: 0
; COMPUTE_PGM_RSRC2:TGID_X_EN: 1
; COMPUTE_PGM_RSRC2:TGID_Y_EN: 1
; COMPUTE_PGM_RSRC2:TGID_Z_EN: 1
; COMPUTE_PGM_RSRC2:TIDIG_COMP_CNT: 0
	.text
	.p2align	2                               ; -- Begin function _ZN4vllm22paged_attention_kernelIfhLi192ELi16ELi128ELNS_18Fp8KVCacheDataTypeE1ELb1ELi512EEEvPfS2_PT_PKS3_PKT0_S9_ifPKiSB_iPKfiiiSD_SD_iiiii
	.type	_ZN4vllm22paged_attention_kernelIfhLi192ELi16ELi128ELNS_18Fp8KVCacheDataTypeE1ELb1ELi512EEEvPfS2_PT_PKS3_PKT0_S9_ifPKiSB_iPKfiiiSD_SD_iiiii,@function
_ZN4vllm22paged_attention_kernelIfhLi192ELi16ELi128ELNS_18Fp8KVCacheDataTypeE1ELb1ELi512EEEvPfS2_PT_PKS3_PKT0_S9_ifPKiSB_iPKfiiiSD_SD_iiiii: ; @_ZN4vllm22paged_attention_kernelIfhLi192ELi16ELi128ELNS_18Fp8KVCacheDataTypeE1ELb1ELi512EEEvPfS2_PT_PKS3_PKT0_S9_ifPKiSB_iPKfiiiSD_SD_iiiii
; %bb.0:
	s_waitcnt vmcnt(0) expcnt(0) lgkmcnt(0)
	s_clause 0x1f
	scratch_store_b32 off, v40, s32 offset:324
	; meta instruction
	scratch_store_b32 off, v41, s32 offset:320
	; meta instruction
	;; [unrolled: 2-line block ×31, first 2 shown]
	scratch_store_b32 off, v95, s32 offset:200
	s_clause 0x1f
	scratch_store_b32 off, v104, s32 offset:196
	; meta instruction
	scratch_store_b32 off, v105, s32 offset:192
	; meta instruction
	;; [unrolled: 2-line block ×31, first 2 shown]
	scratch_store_b32 off, v159, s32 offset:72
	s_clause 0xf
	scratch_store_b32 off, v168, s32 offset:68
	; meta instruction
	scratch_store_b32 off, v169, s32 offset:64
	; meta instruction
	;; [unrolled: 2-line block ×15, first 2 shown]
	scratch_store_b32 off, v191, s32 offset:8
	s_mov_b32 s10, s13
	s_ashr_i32 s11, s13, 31
	s_clause 0x3
	scratch_store_b64 off, v[26:27], s32 offset:632
	scratch_store_b64 off, v[24:25], s32 offset:640
	scratch_store_b32 off, v22, s32 offset:436
	scratch_store_b32 off, v13, s32 offset:664
	s_lshl_b64 s[0:1], s[10:11], 2
	v_mov_b32_e32 v26, v0
	v_add_co_u32 v0, vcc_lo, v16, s0
	v_mov_b32_e32 v24, v1
	v_add_co_ci_u32_e32 v1, vcc_lo, s1, v17, vcc_lo
	s_clause 0x1
	scratch_store_b32 off, v5, s32 offset:684
	scratch_store_b32 off, v4, s32 offset:688
	v_dual_mov_b32 v27, v3 :: v_dual_mov_b32 v32, v2
	flat_load_b32 v25, v[0:1]
	s_clause 0x1
	scratch_load_b32 v3, off, s32 offset:4
	scratch_load_b32 v4, off, s32
	v_dual_mov_b32 v67, v11 :: v_dual_mov_b32 v68, v10
	s_mov_b32 s6, s15
	s_lshl_b32 s15, s14, 9
	s_mov_b32 s20, exec_lo
	s_waitcnt vmcnt(2) lgkmcnt(0)
	v_cmpx_lt_i32_e64 s15, v25
	s_cbranch_execz .LBB237_1686
; %bb.1:
	v_sub_nc_u32_e32 v0, 0, v12
	s_clause 0x1
	s_load_b32 s0, s[8:9], 0x10
	s_load_b32 s1, s[8:9], 0x0
	s_delay_alu instid0(VALU_DEP_1) | instskip(NEXT) | instid1(VALU_DEP_1)
	v_max_i32_e32 v0, v12, v0
	v_cvt_f32_u32_e32 v1, v0
	v_sub_nc_u32_e32 v2, 0, v0
	s_delay_alu instid0(VALU_DEP_2) | instskip(SKIP_2) | instid1(SALU_CYCLE_1)
	v_rcp_iflag_f32_e32 v1, v1
	s_waitcnt lgkmcnt(0)
	s_lshr_b32 s0, s0, 16
	s_cmp_lg_u32 s0, 0
	s_cselect_b32 s0, -1, 0
	s_waitcnt_depctr 0xfff
	v_mul_f32_e32 v1, 0x4f7ffffe, v1
	s_cmp_lg_u32 s0, 0
	s_addc_u32 s11, s1, 0
	s_mov_b32 s1, exec_lo
	s_delay_alu instid0(VALU_DEP_1) | instskip(SKIP_1) | instid1(VALU_DEP_1)
	v_cvt_u32_f32_e32 v1, v1
	s_abs_i32 s0, s11
	v_mul_lo_u32 v2, v2, v1
	s_delay_alu instid0(VALU_DEP_1) | instskip(NEXT) | instid1(VALU_DEP_1)
	v_mul_hi_u32 v2, v1, v2
	v_add_nc_u32_e32 v1, v1, v2
	s_delay_alu instid0(VALU_DEP_1) | instskip(NEXT) | instid1(VALU_DEP_1)
	v_mul_hi_u32 v1, s0, v1
	v_mul_lo_u32 v2, v1, v0
	v_add_nc_u32_e32 v5, 1, v1
	s_delay_alu instid0(VALU_DEP_2) | instskip(SKIP_1) | instid1(VALU_DEP_1)
	v_sub_nc_u32_e32 v2, s0, v2
	s_abs_i32 s0, s12
	v_sub_nc_u32_e32 v10, v2, v0
	v_cmp_ge_u32_e32 vcc_lo, v2, v0
	s_delay_alu instid0(VALU_DEP_2) | instskip(SKIP_1) | instid1(VALU_DEP_2)
	v_dual_cndmask_b32 v1, v1, v5 :: v_dual_cndmask_b32 v2, v2, v10
	v_xor_b32_e32 v5, s11, v12
	v_add_nc_u32_e32 v10, 1, v1
	s_delay_alu instid0(VALU_DEP_3) | instskip(NEXT) | instid1(VALU_DEP_3)
	v_cmp_ge_u32_e32 vcc_lo, v2, v0
	v_ashrrev_i32_e32 v5, 31, v5
	s_delay_alu instid0(VALU_DEP_3) | instskip(NEXT) | instid1(VALU_DEP_1)
	v_cndmask_b32_e32 v0, v1, v10, vcc_lo
	v_xor_b32_e32 v0, v0, v5
	s_delay_alu instid0(VALU_DEP_1) | instskip(NEXT) | instid1(VALU_DEP_1)
	v_sub_nc_u32_e32 v2, v0, v5
	v_sub_nc_u32_e32 v0, 0, v2
	s_delay_alu instid0(VALU_DEP_1) | instskip(NEXT) | instid1(VALU_DEP_1)
	v_max_i32_e32 v5, v2, v0
	v_cvt_f32_u32_e32 v0, v5
	v_sub_nc_u32_e32 v1, 0, v5
	s_delay_alu instid0(VALU_DEP_2) | instskip(SKIP_2) | instid1(VALU_DEP_1)
	v_rcp_iflag_f32_e32 v0, v0
	s_waitcnt_depctr 0xfff
	v_mul_f32_e32 v0, 0x4f7ffffe, v0
	v_cvt_u32_f32_e32 v0, v0
	s_delay_alu instid0(VALU_DEP_1) | instskip(NEXT) | instid1(VALU_DEP_1)
	v_mul_lo_u32 v1, v1, v0
	v_mul_hi_u32 v1, v0, v1
	s_delay_alu instid0(VALU_DEP_1) | instskip(NEXT) | instid1(VALU_DEP_1)
	v_add_nc_u32_e32 v10, v0, v1
	v_mad_u64_u32 v[0:1], null, s0, v10, 0
	v_mov_b32_e32 v0, 0
	scratch_store_b32 off, v0, s32 offset:668 ; 4-byte Folded Spill
	v_cmpx_ne_u64_e32 0, v[19:20]
	s_cbranch_execz .LBB237_3
; %bb.2:
	s_ashr_i32 s13, s12, 31
	s_delay_alu instid0(SALU_CYCLE_1) | instskip(NEXT) | instid1(SALU_CYCLE_1)
	s_lshl_b64 s[2:3], s[12:13], 2
	v_add_co_u32 v10, vcc_lo, v19, s2
	v_add_co_ci_u32_e32 v11, vcc_lo, s3, v20, vcc_lo
	flat_load_b32 v0, v[10:11]
	s_waitcnt vmcnt(0) lgkmcnt(0)
	scratch_store_b32 off, v0, s32 offset:668 ; 4-byte Folded Spill
.LBB237_3:
	s_or_b32 exec_lo, exec_lo, s1
	v_and_b32_e32 v16, 0x3ff, v31
	v_ashrrev_i32_e32 v0, 31, v2
	s_ashr_i32 s1, s12, 31
	s_mul_i32 s4, s12, 0xc0
	s_mov_b32 s2, exec_lo
	v_and_b32_e32 v2, 1, v16
	v_lshlrev_b32_e32 v69, 2, v16
	v_cmpx_gt_u32_e32 0x60, v16
	s_cbranch_execz .LBB237_5
; %bb.4:
	v_mul_lo_u32 v10, s10, v21
	s_ashr_i32 s5, s4, 31
	v_lshlrev_b32_e32 v13, 3, v16
	s_lshl_b64 s[16:17], s[4:5], 2
	s_delay_alu instid0(VALU_DEP_2) | instskip(NEXT) | instid1(VALU_DEP_1)
	v_ashrrev_i32_e32 v11, 31, v10
	v_lshlrev_b64 v[10:11], 2, v[10:11]
	s_delay_alu instid0(VALU_DEP_1) | instskip(NEXT) | instid1(VALU_DEP_2)
	v_add_co_u32 v6, vcc_lo, v6, v10
	v_add_co_ci_u32_e32 v7, vcc_lo, v7, v11, vcc_lo
	v_and_b32_e32 v10, 0xff8, v69
	s_delay_alu instid0(VALU_DEP_3) | instskip(NEXT) | instid1(VALU_DEP_3)
	v_add_co_u32 v6, vcc_lo, v6, s16
	v_add_co_ci_u32_e32 v7, vcc_lo, s17, v7, vcc_lo
	s_delay_alu instid0(VALU_DEP_3) | instskip(NEXT) | instid1(VALU_DEP_3)
	v_mad_u32_u24 v10, 0x180, v2, v10
	v_add_co_u32 v6, vcc_lo, v6, v13
	s_delay_alu instid0(VALU_DEP_3)
	v_add_co_ci_u32_e32 v7, vcc_lo, 0, v7, vcc_lo
	flat_load_b64 v[6:7], v[6:7]
	s_waitcnt vmcnt(0) lgkmcnt(0)
	ds_store_b64 v10, v[6:7]
.LBB237_5:
	s_or_b32 exec_lo, exec_lo, s2
	s_waitcnt vmcnt(0)
	v_sub_nc_u32_e32 v6, 0, v4
	v_mul_lo_u32 v7, v1, v5
	s_delay_alu instid0(VALU_DEP_2) | instskip(NEXT) | instid1(VALU_DEP_2)
	v_max_i32_e32 v11, v4, v6
	v_sub_nc_u32_e32 v7, s0, v7
	s_delay_alu instid0(VALU_DEP_2) | instskip(SKIP_1) | instid1(VALU_DEP_2)
	v_cvt_f32_u32_e32 v6, v11
	s_mov_b32 s0, exec_lo
	v_sub_nc_u32_e32 v13, v7, v5
	s_delay_alu instid0(VALU_DEP_2) | instskip(SKIP_3) | instid1(VALU_DEP_1)
	v_rcp_iflag_f32_e32 v6, v6
	v_cmp_ge_u32_e32 vcc_lo, v7, v5
	s_waitcnt_depctr 0xfff
	v_dual_cndmask_b32 v7, v7, v13 :: v_dual_mul_f32 v6, 0x4f7ffffe, v6
	v_cvt_u32_f32_e32 v10, v6
	v_sub_nc_u32_e32 v6, 0, v11
	s_delay_alu instid0(VALU_DEP_1) | instskip(SKIP_1) | instid1(VALU_DEP_1)
	v_mul_lo_u32 v17, v6, v10
	v_add_nc_u32_e32 v6, -1, v25
	v_sub_nc_u32_e32 v19, 0, v6
	s_delay_alu instid0(VALU_DEP_3) | instskip(SKIP_1) | instid1(VALU_DEP_2)
	v_mul_hi_u32 v13, v10, v17
	v_xor_b32_e32 v17, s1, v0
	v_add_nc_u32_e32 v10, v10, v13
	scratch_store_b32 off, v11, s32 offset:328 ; 4-byte Folded Spill
	v_add_nc_u32_e32 v11, 1, v1
	scratch_store_b32 off, v10, s32 offset:348 ; 4-byte Folded Spill
	s_waitcnt lgkmcnt(0)
	s_waitcnt_vscnt null, 0x0
	v_cndmask_b32_e32 v1, v1, v11, vcc_lo
	v_cmp_ge_u32_e32 vcc_lo, v7, v5
	s_barrier
	buffer_gl0_inv
	v_max_i32_e32 v5, v6, v19
	v_add_nc_u32_e32 v11, 1, v1
	s_delay_alu instid0(VALU_DEP_1) | instskip(NEXT) | instid1(VALU_DEP_1)
	v_cndmask_b32_e32 v0, v1, v11, vcc_lo
	v_xor_b32_e32 v7, v0, v17
	s_delay_alu instid0(VALU_DEP_4) | instskip(NEXT) | instid1(VALU_DEP_2)
	v_mad_u64_u32 v[0:1], null, v5, v10, 0
	v_sub_nc_u32_e32 v0, v7, v17
                                        ; implicit-def: $vgpr7
	scratch_store_b64 off, v[7:8], s32 offset:332 ; 8-byte Folded Spill
	v_cmpx_gt_i32_e32 0, v3
	s_xor_b32 s0, exec_lo, s0
	s_cbranch_execz .LBB237_7
; %bb.6:
	v_mad_u64_u32 v[10:11], null, v28, v12, v[0:1]
                                        ; implicit-def: $vgpr28
	s_delay_alu instid0(VALU_DEP_1) | instskip(NEXT) | instid1(VALU_DEP_1)
	v_mul_lo_u32 v3, v10, v3
	v_sub_nc_u32_e32 v3, 1, v3
	scratch_store_b64 off, v[3:4], s32 offset:332 ; 8-byte Folded Spill
                                        ; implicit-def: $vgpr3
.LBB237_7:
	s_or_saveexec_b32 s0, s0
	v_ashrrev_i32_e32 v6, 31, v6
	v_ashrrev_i32_e32 v4, 31, v4
	scratch_store_b32 off, v4, s32 offset:340 ; 4-byte Folded Spill
	s_xor_b32 exec_lo, exec_lo, s0
	s_cbranch_execz .LBB237_9
; %bb.8:
	v_mad_u64_u32 v[10:11], null, s11, v28, s[12:13]
	s_delay_alu instid0(VALU_DEP_1)
	v_mad_u64_u32 v[11:12], null, v10, v3, 1
	scratch_store_b64 off, v[11:12], s32 offset:332 ; 8-byte Folded Spill
.LBB237_9:
	s_or_b32 exec_lo, exec_lo, s0
	scratch_load_b32 v12, off, s32 offset:328 ; 4-byte Folded Reload
	v_dual_mov_b32 v20, 0xff7fffff :: v_dual_add_nc_u32 v7, 1, v1
	s_clause 0x1
	s_load_b32 s21, s[8:9], 0x14
	s_load_b32 s5, s[8:9], 0x8
	v_mul_lo_u32 v13, v0, v23
	s_lshl_b32 s13, s14, 5
	s_delay_alu instid0(SALU_CYCLE_1) | instskip(NEXT) | instid1(VALU_DEP_1)
	s_add_i32 s0, s13, 32
	v_ashrrev_i32_e32 v19, 31, v13
	s_waitcnt vmcnt(0)
	v_mul_lo_u32 v3, v1, v12
	s_delay_alu instid0(VALU_DEP_1) | instskip(SKIP_2) | instid1(VALU_DEP_3)
	v_sub_nc_u32_e32 v5, v5, v3
	v_mul_lo_u32 v3, s10, v18
	v_sub_nc_u32_e32 v18, 0, v30
	v_cmp_ge_u32_e32 vcc_lo, v5, v12
	v_add_nc_u32_e32 v4, 15, v25
	v_sub_nc_u32_e32 v11, v5, v12
	v_cndmask_b32_e32 v1, v1, v7, vcc_lo
	scratch_load_b32 v7, off, s32 offset:340 ; 4-byte Folded Reload
	v_ashrrev_i32_e32 v10, 31, v4
	v_cndmask_b32_e32 v5, v5, v11, vcc_lo
	v_lshrrev_b32_e32 v11, 5, v16
	s_delay_alu instid0(VALU_DEP_1) | instskip(SKIP_1) | instid1(VALU_DEP_2)
	v_or_b32_e32 v112, s13, v11
	v_lshl_add_u32 v47, v11, 4, s15
	v_ashrrev_i32_e32 v113, 31, v112
	s_waitcnt vmcnt(0)
	v_xor_b32_e32 v6, v6, v7
	v_lshrrev_b32_e32 v7, 28, v10
	v_add_nc_u32_e32 v10, 1, v1
	v_cmp_ge_u32_e32 vcc_lo, v5, v12
	s_delay_alu instid0(VALU_DEP_2) | instskip(NEXT) | instid1(VALU_DEP_1)
	v_dual_cndmask_b32 v1, v1, v10 :: v_dual_add_nc_u32 v4, v4, v7
	v_ashrrev_i32_e32 v17, 4, v4
	v_ashrrev_i32_e32 v4, 31, v3
	s_delay_alu instid0(VALU_DEP_3) | instskip(NEXT) | instid1(VALU_DEP_3)
	v_xor_b32_e32 v0, v1, v6
	v_min_i32_e32 v1, s0, v17
	s_delay_alu instid0(VALU_DEP_2) | instskip(NEXT) | instid1(VALU_DEP_2)
	v_sub_nc_u32_e32 v0, v0, v6
	v_cmp_lt_i32_e64 s0, v112, v1
	s_delay_alu instid0(VALU_DEP_2)
	v_sub_nc_u32_e32 v0, v0, v29
	s_clause 0x1
	scratch_store_b32 off, v1, s32 offset:344
	scratch_store_b32 off, v11, s32 offset:680
	v_lshlrev_b64 v[11:12], 2, v[3:4]
	scratch_store_b32 off, v0, s32 offset:352 ; 4-byte Folded Spill
	s_mov_b32 s22, exec_lo
	s_delay_alu instid0(SALU_CYCLE_1)
	s_and_b32 s1, s22, s0
	scratch_store_b32 off, v16, s32 offset:692 ; 4-byte Folded Spill
	s_mov_b32 exec_lo, s1
	s_cbranch_execz .LBB237_787
; %bb.10:
	v_max_i32_e32 v6, v30, v18
	v_mov_b32_e32 v29, 0
	s_clause 0x9
	scratch_store_b32 off, v17, s32 offset:748
	scratch_store_b32 off, v69, s32 offset:732
	;; [unrolled: 1-line block ×10, first 2 shown]
	v_cmp_eq_u32_e32 vcc_lo, 0, v2
	v_bfe_u32 v10, v16, 1, 4
	v_cvt_f32_u32_e32 v0, v6
	scratch_store_b32 off, v13, s32 offset:744 ; 4-byte Folded Spill
	v_add_co_u32 v4, s1, v8, v13
	v_mul_u32_u24_e32 v13, 0x180, v2
	v_rcp_iflag_f32_e32 v3, v0
	v_lshlrev_b32_e32 v0, 1, v2
	v_add_co_ci_u32_e64 v5, s1, v9, v19, s1
	s_ashr_i32 s7, s6, 31
	s_getpc_b64 s[2:3]
	s_add_u32 s2, s2, llvm.amdgcn.dynlds.offset.table@rel32@lo+4
	s_addc_u32 s3, s3, llvm.amdgcn.dynlds.offset.table@rel32@hi+12
	s_lshl_b64 s[8:9], s[6:7], 2
	v_sub_nc_u32_e32 v8, v10, v25
	s_add_u32 s8, s8, s2
	s_addc_u32 s9, s9, s3
	s_waitcnt_depctr 0xfff
	v_dual_mul_f32 v2, 0x4f7ffffe, v3 :: v_dual_lshlrev_b32 v7, 2, v10
	v_dual_mov_b32 v3, 0xff7fffff :: v_dual_mov_b32 v30, v112
	s_clause 0x1
	scratch_store_b32 off, v0, s32 offset:652
	scratch_store_b32 off, v10, s32 offset:672
	s_clause 0x1
	scratch_load_b32 v0, off, s32 offset:668
	scratch_load_b32 v9, off, s32 offset:680
	s_clause 0x1
	scratch_store_b32 off, v3, s32 offset:648
	scratch_store_b32 off, v6, s32 offset:440
	v_sub_nc_u32_e32 v3, 0, v6
	v_cvt_u32_f32_e32 v2, v2
	s_load_b32 s7, s[8:9], 0x0
	v_lshlrev_b32_e32 v6, 4, v10
	scratch_store_b32 off, v19, s32 offset:756 ; 4-byte Folded Spill
	s_mov_b32 s16, 0
	v_mul_lo_u32 v3, v3, v2
	s_brev_b32 s17, 1
	s_mov_b32 s19, 0x7f800001
	s_mov_b32 s23, s16
	s_delay_alu instid0(VALU_DEP_1)
	v_mul_hi_u32 v3, v2, v3
	s_waitcnt vmcnt(1)
	v_cmp_neq_f32_e64 s1, 0, v0
	v_lshlrev_b64 v[0:1], 2, v[112:113]
	s_waitcnt vmcnt(0)
	v_lshl_add_u32 v20, v9, 4, s15
	v_lshl_or_b32 v10, v9, 6, v7
	s_delay_alu instid0(VALU_DEP_3) | instskip(NEXT) | instid1(VALU_DEP_1)
	v_add_co_u32 v0, s2, v11, v0
	v_add_co_ci_u32_e64 v1, s2, v12, v1, s2
	v_add_co_u32 v4, s2, v4, v6
	s_delay_alu instid0(VALU_DEP_1) | instskip(NEXT) | instid1(VALU_DEP_4)
	v_add_co_ci_u32_e64 v5, s2, 0, v5, s2
	v_add_co_u32 v118, s2, v14, v0
	s_clause 0x1
	scratch_store_b64 off, v[11:12], s32 offset:736
	scratch_store_b64 off, v[4:5], s32 offset:656
	v_add_nc_u32_e32 v4, 1, v8
	v_add_co_ci_u32_e64 v119, s2, v15, v1, s2
	v_add_nc_u32_e32 v0, v2, v3
	s_clause 0x3
	scratch_store_b32 off, v4, s32 offset:676
	scratch_store_b32 off, v14, s32 offset:700
	;; [unrolled: 1-line block ×4, first 2 shown]
	s_branch .LBB237_13
.LBB237_11:                             ;   in Loop: Header=BB237_13 Depth=1
	s_or_b32 exec_lo, exec_lo, s18
.LBB237_12:                             ;   in Loop: Header=BB237_13 Depth=1
	s_delay_alu instid0(SALU_CYCLE_1) | instskip(SKIP_3) | instid1(VALU_DEP_1)
	s_or_b32 exec_lo, exec_lo, s3
	scratch_load_b32 v0, off, s32 offset:344 ; 4-byte Folded Reload
	v_add_nc_u32_e32 v30, 4, v30
	v_add_co_u32 v118, s3, v118, 16
	v_add_co_ci_u32_e64 v119, s3, 0, v119, s3
	v_add_nc_u32_e32 v20, 64, v20
	v_add_nc_u32_e32 v10, 0x100, v10
	s_waitcnt vmcnt(0)
	v_cmp_ge_i32_e64 s2, v30, v0
	s_delay_alu instid0(VALU_DEP_1) | instskip(NEXT) | instid1(SALU_CYCLE_1)
	s_or_b32 s23, s2, s23
	s_and_not1_b32 exec_lo, exec_lo, s23
	s_cbranch_execz .LBB237_786
.LBB237_13:                             ; =>This Inner Loop Header: Depth=1
	s_waitcnt lgkmcnt(0)
	s_clause 0x2
	scratch_load_b32 v1, off, s32 offset:348
	scratch_load_b32 v5, off, s32 offset:340
	;; [unrolled: 1-line block ×3, first 2 shown]
	v_sub_nc_u32_e32 v0, 0, v20
	s_delay_alu instid0(VALU_DEP_1) | instskip(SKIP_1) | instid1(VALU_DEP_1)
	v_max_i32_e32 v0, v20, v0
	s_waitcnt vmcnt(2)
	v_mul_hi_u32 v1, v0, v1
	s_waitcnt vmcnt(0)
	s_delay_alu instid0(VALU_DEP_1) | instskip(NEXT) | instid1(VALU_DEP_1)
	v_mul_lo_u32 v2, v1, v4
	v_sub_nc_u32_e32 v0, v0, v2
	v_add_nc_u32_e32 v2, 1, v1
	s_delay_alu instid0(VALU_DEP_2) | instskip(SKIP_1) | instid1(VALU_DEP_1)
	v_sub_nc_u32_e32 v3, v0, v4
	v_cmp_ge_u32_e64 s2, v0, v4
	v_cndmask_b32_e64 v1, v1, v2, s2
	s_delay_alu instid0(VALU_DEP_3) | instskip(SKIP_1) | instid1(VALU_DEP_3)
	v_cndmask_b32_e64 v0, v0, v3, s2
	v_ashrrev_i32_e32 v2, 31, v20
	v_add_nc_u32_e32 v3, 1, v1
	s_delay_alu instid0(VALU_DEP_3) | instskip(NEXT) | instid1(VALU_DEP_3)
	v_cmp_ge_u32_e64 s2, v0, v4
	v_xor_b32_e32 v2, v2, v5
	scratch_load_b32 v4, off, s32 offset:440 ; 4-byte Folded Reload
	v_cndmask_b32_e64 v0, v1, v3, s2
	scratch_load_b32 v3, off, s32 offset:444 ; 4-byte Folded Reload
	v_xor_b32_e32 v0, v0, v2
	s_delay_alu instid0(VALU_DEP_1) | instskip(SKIP_3) | instid1(VALU_DEP_1)
	v_sub_nc_u32_e32 v0, v0, v2
	scratch_load_b64 v[1:2], off, s32 offset:332 ; 8-byte Folded Reload
	s_waitcnt vmcnt(0)
	v_add_nc_u32_e32 v1, v0, v1
	v_sub_nc_u32_e32 v2, 0, v1
	s_delay_alu instid0(VALU_DEP_1) | instskip(SKIP_1) | instid1(VALU_DEP_2)
	v_max_i32_e32 v2, v1, v2
	v_ashrrev_i32_e32 v1, 31, v1
	v_mul_hi_u32 v3, v2, v3
	s_delay_alu instid0(VALU_DEP_1) | instskip(NEXT) | instid1(VALU_DEP_1)
	v_mul_lo_u32 v3, v3, v4
	v_sub_nc_u32_e32 v2, v2, v3
	s_delay_alu instid0(VALU_DEP_1) | instskip(SKIP_1) | instid1(VALU_DEP_1)
	v_sub_nc_u32_e32 v3, v2, v4
	v_cmp_ge_u32_e64 s2, v2, v4
	v_cndmask_b32_e64 v2, v2, v3, s2
	s_delay_alu instid0(VALU_DEP_1) | instskip(SKIP_1) | instid1(VALU_DEP_1)
	v_sub_nc_u32_e32 v3, v2, v4
	v_cmp_ge_u32_e64 s2, v2, v4
	v_cndmask_b32_e64 v2, v2, v3, s2
	s_delay_alu instid0(VALU_DEP_1) | instskip(NEXT) | instid1(VALU_DEP_1)
	v_xor_b32_e32 v2, v2, v1
	v_sub_nc_u32_e32 v1, v2, v1
	s_delay_alu instid0(VALU_DEP_1) | instskip(SKIP_3) | instid1(VALU_DEP_1)
	v_cmp_ne_u32_e64 s2, 0, v1
	scratch_load_b32 v1, off, s32 offset:352 ; 4-byte Folded Reload
	s_waitcnt vmcnt(0)
	v_cmp_le_i32_e64 s3, v0, v1
	s_and_b32 s2, s2, s3
	s_delay_alu instid0(SALU_CYCLE_1) | instskip(NEXT) | instid1(SALU_CYCLE_1)
	s_and_b32 s18, vcc_lo, s2
	s_and_saveexec_b32 s3, s18
	s_cbranch_execz .LBB237_15
; %bb.14:                               ;   in Loop: Header=BB237_13 Depth=1
	s_waitcnt lgkmcnt(0)
	v_dual_mov_b32 v1, 0xff7fffff :: v_dual_add_nc_u32 v0, s7, v10
	ds_store_b32 v0, v1
.LBB237_15:                             ;   in Loop: Header=BB237_13 Depth=1
	s_or_b32 exec_lo, exec_lo, s3
	s_xor_b32 s2, s2, -1
	s_delay_alu instid0(SALU_CYCLE_1)
	s_and_saveexec_b32 s3, s2
	s_cbranch_execz .LBB237_12
; %bb.16:                               ;   in Loop: Header=BB237_13 Depth=1
	flat_load_b32 v2, v[118:119]
	s_clause 0x1
	scratch_load_b32 v3, off, s32 offset:436
	scratch_load_b64 v[4:5], off, s32 offset:656
	s_mov_b32 s18, exec_lo
	s_waitcnt vmcnt(0) lgkmcnt(0)
	v_mad_i64_i32 v[0:1], null, v2, v3, v[4:5]
	scratch_load_b32 v2, off, s32 offset:652 ; 4-byte Folded Reload
	s_waitcnt vmcnt(0)
	v_add_co_u32 v150, s2, v0, v2
	s_delay_alu instid0(VALU_DEP_1)
	v_add_co_ci_u32_e64 v151, s2, 0, v1, s2
	flat_load_u16 v0, v[150:151]
	scratch_load_b64 v[1:2], off, s32 offset:640 ; 8-byte Folded Reload
	v_mov_b32_e32 v130, 0
	v_mov_b32_e32 v131, 0
	s_waitcnt vmcnt(0)
	flat_load_b32 v84, v[1:2]
	ds_load_b128 v[100:103], v13
	ds_load_b128 v[1:4], v13 offset:16
	s_waitcnt lgkmcnt(0)
	scratch_store_b128 off, v[1:4], s32 offset:616 ; 16-byte Folded Spill
	ds_load_b128 v[1:4], v13 offset:32
	s_waitcnt lgkmcnt(0)
	scratch_store_b128 off, v[1:4], s32 offset:600 ; 16-byte Folded Spill
	;; [unrolled: 3-line block ×11, first 2 shown]
	ds_load_b64 v[1:2], v13 offset:192
	s_waitcnt lgkmcnt(0)
	scratch_store_b64 off, v[1:2], s32 offset:448 ; 8-byte Folded Spill
	v_and_b32_e32 v1, 0xff, v0
	v_and_b32_e32 v0, 0xffff, v0
	scratch_store_b64 off, v[130:131], s32 offset:356 ; 8-byte Folded Spill
	v_cmpx_ne_u16_e32 0, v1
	s_cbranch_execz .LBB237_24
; %bb.17:                               ;   in Loop: Header=BB237_13 Depth=1
	v_bfrev_b32_e32 v2, 1
	v_and_b32_e32 v1, 0xff, v0
	v_mov_b32_e32 v3, 0
	s_mov_b32 s24, exec_lo
	scratch_store_b64 off, v[2:3], s32 offset:356 ; 8-byte Folded Spill
	v_cmpx_ne_u16_e32 0x80, v1
	s_cbranch_execz .LBB237_23
; %bb.18:                               ;   in Loop: Header=BB237_13 Depth=1
	v_mov_b32_e32 v3, 0x7f800001
	v_and_b32_e32 v2, 0x7f, v0
	v_mov_b32_e32 v4, 0
	s_mov_b32 s25, exec_lo
	scratch_store_b64 off, v[3:4], s32 offset:356 ; 8-byte Folded Spill
	v_cmpx_ne_u32_e32 0x7f, v2
	s_cbranch_execz .LBB237_22
; %bb.19:                               ;   in Loop: Header=BB237_13 Depth=1
	v_and_b32_e32 v28, 7, v0
	v_lshrrev_b32_e32 v1, 3, v2
	s_mov_b32 s26, exec_lo
	v_cmpx_gt_u32_e32 8, v2
; %bb.20:                               ;   in Loop: Header=BB237_13 Depth=1
	s_delay_alu instid0(VALU_DEP_3) | instskip(NEXT) | instid1(VALU_DEP_1)
	v_clz_i32_u32_e32 v1, v28
	v_min_u32_e32 v1, 32, v1
	s_delay_alu instid0(VALU_DEP_1) | instskip(SKIP_1) | instid1(VALU_DEP_2)
	v_subrev_nc_u32_e32 v2, 28, v1
	v_sub_nc_u32_e32 v1, 29, v1
	v_lshlrev_b64 v[2:3], v2, v[28:29]
	s_delay_alu instid0(VALU_DEP_1)
	v_and_b32_e32 v28, 7, v2
; %bb.21:                               ;   in Loop: Header=BB237_13 Depth=1
	s_or_b32 exec_lo, exec_lo, s26
	v_lshlrev_b32_e32 v2, 24, v0
	s_delay_alu instid0(VALU_DEP_2) | instskip(SKIP_1) | instid1(VALU_DEP_3)
	v_lshlrev_b32_e32 v3, 20, v28
	v_lshl_add_u32 v1, v1, 23, 0x3c000000
	v_and_b32_e32 v2, 0x80000000, v2
	s_delay_alu instid0(VALU_DEP_1)
	v_or3_b32 v28, v3, v2, v1
	scratch_store_b64 off, v[28:29], s32 offset:356 ; 8-byte Folded Spill
.LBB237_22:                             ;   in Loop: Header=BB237_13 Depth=1
	s_or_b32 exec_lo, exec_lo, s25
.LBB237_23:                             ;   in Loop: Header=BB237_13 Depth=1
	s_delay_alu instid0(SALU_CYCLE_1)
	s_or_b32 exec_lo, exec_lo, s24
.LBB237_24:                             ;   in Loop: Header=BB237_13 Depth=1
	s_delay_alu instid0(SALU_CYCLE_1) | instskip(SKIP_2) | instid1(VALU_DEP_1)
	s_or_b32 exec_lo, exec_lo, s18
	v_lshrrev_b16 v1, 8, v0
	s_mov_b32 s24, exec_lo
	v_cmpx_ne_u16_e32 0, v1
	s_cbranch_execz .LBB237_32
; %bb.25:                               ;   in Loop: Header=BB237_13 Depth=1
	v_dual_mov_b32 v131, s17 :: v_dual_mov_b32 v130, s16
	s_mov_b32 s25, exec_lo
	v_cmpx_ne_u16_e32 0x80, v1
	s_cbranch_execz .LBB237_31
; %bb.26:                               ;   in Loop: Header=BB237_13 Depth=1
	s_mov_b32 s18, s16
	v_and_b32_e32 v1, 0xffff, v1
	v_dual_mov_b32 v131, s19 :: v_dual_mov_b32 v130, s18
	s_mov_b32 s18, exec_lo
	s_delay_alu instid0(VALU_DEP_2) | instskip(NEXT) | instid1(VALU_DEP_1)
	v_and_b32_e32 v2, 0x7f, v1
	v_cmpx_ne_u32_e32 0x7f, v2
	s_cbranch_execz .LBB237_30
; %bb.27:                               ;   in Loop: Header=BB237_13 Depth=1
	v_and_b32_e32 v28, 7, v1
	v_lshrrev_b32_e32 v1, 3, v2
	s_mov_b32 s26, exec_lo
	v_cmpx_gt_u32_e32 8, v2
; %bb.28:                               ;   in Loop: Header=BB237_13 Depth=1
	s_delay_alu instid0(VALU_DEP_3) | instskip(NEXT) | instid1(VALU_DEP_1)
	v_clz_i32_u32_e32 v1, v28
	v_min_u32_e32 v1, 32, v1
	s_delay_alu instid0(VALU_DEP_1) | instskip(SKIP_1) | instid1(VALU_DEP_2)
	v_subrev_nc_u32_e32 v2, 28, v1
	v_sub_nc_u32_e32 v1, 29, v1
	v_lshlrev_b64 v[2:3], v2, v[28:29]
	s_delay_alu instid0(VALU_DEP_1)
	v_and_b32_e32 v28, 7, v2
; %bb.29:                               ;   in Loop: Header=BB237_13 Depth=1
	s_or_b32 exec_lo, exec_lo, s26
	v_lshlrev_b32_e32 v0, 16, v0
	s_delay_alu instid0(VALU_DEP_2) | instskip(SKIP_2) | instid1(VALU_DEP_4)
	v_lshlrev_b32_e32 v2, 20, v28
	v_lshl_add_u32 v1, v1, 23, 0x3c000000
	v_mov_b32_e32 v130, v29
	v_and_b32_e32 v0, 0x80000000, v0
	s_delay_alu instid0(VALU_DEP_1)
	v_or3_b32 v131, v2, v0, v1
.LBB237_30:                             ;   in Loop: Header=BB237_13 Depth=1
	s_or_b32 exec_lo, exec_lo, s18
.LBB237_31:                             ;   in Loop: Header=BB237_13 Depth=1
	s_delay_alu instid0(SALU_CYCLE_1)
	s_or_b32 exec_lo, exec_lo, s25
.LBB237_32:                             ;   in Loop: Header=BB237_13 Depth=1
	s_delay_alu instid0(SALU_CYCLE_1)
	s_or_b32 exec_lo, exec_lo, s24
	flat_load_u16 v0, v[150:151] offset:4
	v_mov_b32_e32 v134, 0
	v_mov_b32_e32 v135, 0
	s_mov_b32 s18, exec_lo
	s_waitcnt vmcnt(0) lgkmcnt(0)
	v_and_b32_e32 v1, 0xff, v0
	v_and_b32_e32 v0, 0xffff, v0
	v_dual_mov_b32 v96, v134 :: v_dual_mov_b32 v97, v135
	s_delay_alu instid0(VALU_DEP_3)
	v_cmpx_ne_u16_e32 0, v1
	s_cbranch_execz .LBB237_40
; %bb.33:                               ;   in Loop: Header=BB237_13 Depth=1
	v_bfrev_b32_e32 v96, 1
	v_and_b32_e32 v1, 0xff, v0
	v_mov_b32_e32 v97, 0
	s_mov_b32 s24, exec_lo
	s_delay_alu instid0(VALU_DEP_2)
	v_cmpx_ne_u16_e32 0x80, v1
	s_cbranch_execz .LBB237_39
; %bb.34:                               ;   in Loop: Header=BB237_13 Depth=1
	v_mov_b32_e32 v96, 0x7f800001
	v_dual_mov_b32 v97, 0 :: v_dual_and_b32 v2, 0x7f, v0
	s_mov_b32 s25, exec_lo
	s_delay_alu instid0(VALU_DEP_1)
	v_cmpx_ne_u32_e32 0x7f, v2
	s_cbranch_execz .LBB237_38
; %bb.35:                               ;   in Loop: Header=BB237_13 Depth=1
	v_and_b32_e32 v28, 7, v0
	v_lshrrev_b32_e32 v1, 3, v2
	s_mov_b32 s26, exec_lo
	v_cmpx_gt_u32_e32 8, v2
; %bb.36:                               ;   in Loop: Header=BB237_13 Depth=1
	s_delay_alu instid0(VALU_DEP_3) | instskip(NEXT) | instid1(VALU_DEP_1)
	v_clz_i32_u32_e32 v1, v28
	v_min_u32_e32 v1, 32, v1
	s_delay_alu instid0(VALU_DEP_1) | instskip(SKIP_1) | instid1(VALU_DEP_2)
	v_subrev_nc_u32_e32 v2, 28, v1
	v_sub_nc_u32_e32 v1, 29, v1
	v_lshlrev_b64 v[2:3], v2, v[28:29]
	s_delay_alu instid0(VALU_DEP_1)
	v_and_b32_e32 v28, 7, v2
; %bb.37:                               ;   in Loop: Header=BB237_13 Depth=1
	s_or_b32 exec_lo, exec_lo, s26
	v_lshlrev_b32_e32 v2, 24, v0
	s_delay_alu instid0(VALU_DEP_2) | instskip(SKIP_1) | instid1(VALU_DEP_3)
	v_lshlrev_b32_e32 v3, 20, v28
	v_lshl_add_u32 v1, v1, 23, 0x3c000000
	v_and_b32_e32 v2, 0x80000000, v2
	s_delay_alu instid0(VALU_DEP_1) | instskip(NEXT) | instid1(VALU_DEP_1)
	v_or3_b32 v28, v3, v2, v1
	v_dual_mov_b32 v97, v29 :: v_dual_mov_b32 v96, v28
.LBB237_38:                             ;   in Loop: Header=BB237_13 Depth=1
	s_or_b32 exec_lo, exec_lo, s25
.LBB237_39:                             ;   in Loop: Header=BB237_13 Depth=1
	s_delay_alu instid0(SALU_CYCLE_1)
	s_or_b32 exec_lo, exec_lo, s24
.LBB237_40:                             ;   in Loop: Header=BB237_13 Depth=1
	s_delay_alu instid0(SALU_CYCLE_1) | instskip(SKIP_2) | instid1(VALU_DEP_1)
	s_or_b32 exec_lo, exec_lo, s18
	v_lshrrev_b16 v1, 8, v0
	s_mov_b32 s24, exec_lo
	v_cmpx_ne_u16_e32 0, v1
	s_cbranch_execz .LBB237_48
; %bb.41:                               ;   in Loop: Header=BB237_13 Depth=1
	v_dual_mov_b32 v135, s17 :: v_dual_mov_b32 v134, s16
	s_mov_b32 s25, exec_lo
	v_cmpx_ne_u16_e32 0x80, v1
	s_cbranch_execz .LBB237_47
; %bb.42:                               ;   in Loop: Header=BB237_13 Depth=1
	s_mov_b32 s18, s16
	v_and_b32_e32 v1, 0xffff, v1
	v_dual_mov_b32 v135, s19 :: v_dual_mov_b32 v134, s18
	s_mov_b32 s18, exec_lo
	s_delay_alu instid0(VALU_DEP_2) | instskip(NEXT) | instid1(VALU_DEP_1)
	v_and_b32_e32 v2, 0x7f, v1
	v_cmpx_ne_u32_e32 0x7f, v2
	s_cbranch_execz .LBB237_46
; %bb.43:                               ;   in Loop: Header=BB237_13 Depth=1
	v_and_b32_e32 v28, 7, v1
	v_lshrrev_b32_e32 v1, 3, v2
	s_mov_b32 s26, exec_lo
	v_cmpx_gt_u32_e32 8, v2
; %bb.44:                               ;   in Loop: Header=BB237_13 Depth=1
	s_delay_alu instid0(VALU_DEP_3) | instskip(NEXT) | instid1(VALU_DEP_1)
	v_clz_i32_u32_e32 v1, v28
	v_min_u32_e32 v1, 32, v1
	s_delay_alu instid0(VALU_DEP_1) | instskip(SKIP_1) | instid1(VALU_DEP_2)
	v_subrev_nc_u32_e32 v2, 28, v1
	v_sub_nc_u32_e32 v1, 29, v1
	v_lshlrev_b64 v[2:3], v2, v[28:29]
	s_delay_alu instid0(VALU_DEP_1)
	v_and_b32_e32 v28, 7, v2
; %bb.45:                               ;   in Loop: Header=BB237_13 Depth=1
	s_or_b32 exec_lo, exec_lo, s26
	v_lshlrev_b32_e32 v0, 16, v0
	s_delay_alu instid0(VALU_DEP_2) | instskip(SKIP_2) | instid1(VALU_DEP_4)
	v_lshlrev_b32_e32 v2, 20, v28
	v_lshl_add_u32 v1, v1, 23, 0x3c000000
	v_mov_b32_e32 v134, v29
	v_and_b32_e32 v0, 0x80000000, v0
	s_delay_alu instid0(VALU_DEP_1)
	v_or3_b32 v135, v2, v0, v1
.LBB237_46:                             ;   in Loop: Header=BB237_13 Depth=1
	s_or_b32 exec_lo, exec_lo, s18
.LBB237_47:                             ;   in Loop: Header=BB237_13 Depth=1
	s_delay_alu instid0(SALU_CYCLE_1)
	s_or_b32 exec_lo, exec_lo, s25
.LBB237_48:                             ;   in Loop: Header=BB237_13 Depth=1
	s_delay_alu instid0(SALU_CYCLE_1)
	s_or_b32 exec_lo, exec_lo, s24
	flat_load_u16 v0, v[150:151] offset:8
	v_mov_b32_e32 v146, 0
	v_mov_b32_e32 v147, 0
	s_mov_b32 s18, exec_lo
	s_waitcnt vmcnt(0) lgkmcnt(0)
	v_and_b32_e32 v1, 0xff, v0
	v_and_b32_e32 v0, 0xffff, v0
	v_dual_mov_b32 v98, v146 :: v_dual_mov_b32 v99, v147
	s_delay_alu instid0(VALU_DEP_3)
	v_cmpx_ne_u16_e32 0, v1
	s_cbranch_execz .LBB237_56
; %bb.49:                               ;   in Loop: Header=BB237_13 Depth=1
	v_bfrev_b32_e32 v98, 1
	v_and_b32_e32 v1, 0xff, v0
	v_mov_b32_e32 v99, 0
	s_mov_b32 s24, exec_lo
	s_delay_alu instid0(VALU_DEP_2)
	v_cmpx_ne_u16_e32 0x80, v1
	s_cbranch_execz .LBB237_55
; %bb.50:                               ;   in Loop: Header=BB237_13 Depth=1
	v_mov_b32_e32 v98, 0x7f800001
	v_dual_mov_b32 v99, 0 :: v_dual_and_b32 v2, 0x7f, v0
	s_mov_b32 s25, exec_lo
	s_delay_alu instid0(VALU_DEP_1)
	v_cmpx_ne_u32_e32 0x7f, v2
	s_cbranch_execz .LBB237_54
; %bb.51:                               ;   in Loop: Header=BB237_13 Depth=1
	v_and_b32_e32 v28, 7, v0
	v_lshrrev_b32_e32 v1, 3, v2
	s_mov_b32 s26, exec_lo
	v_cmpx_gt_u32_e32 8, v2
; %bb.52:                               ;   in Loop: Header=BB237_13 Depth=1
	s_delay_alu instid0(VALU_DEP_3) | instskip(NEXT) | instid1(VALU_DEP_1)
	v_clz_i32_u32_e32 v1, v28
	v_min_u32_e32 v1, 32, v1
	s_delay_alu instid0(VALU_DEP_1) | instskip(SKIP_1) | instid1(VALU_DEP_2)
	v_subrev_nc_u32_e32 v2, 28, v1
	v_sub_nc_u32_e32 v1, 29, v1
	v_lshlrev_b64 v[2:3], v2, v[28:29]
	s_delay_alu instid0(VALU_DEP_1)
	v_and_b32_e32 v28, 7, v2
; %bb.53:                               ;   in Loop: Header=BB237_13 Depth=1
	s_or_b32 exec_lo, exec_lo, s26
	v_lshlrev_b32_e32 v2, 24, v0
	s_delay_alu instid0(VALU_DEP_2) | instskip(SKIP_1) | instid1(VALU_DEP_3)
	v_lshlrev_b32_e32 v3, 20, v28
	v_lshl_add_u32 v1, v1, 23, 0x3c000000
	v_and_b32_e32 v2, 0x80000000, v2
	s_delay_alu instid0(VALU_DEP_1) | instskip(NEXT) | instid1(VALU_DEP_1)
	v_or3_b32 v28, v3, v2, v1
	v_dual_mov_b32 v99, v29 :: v_dual_mov_b32 v98, v28
.LBB237_54:                             ;   in Loop: Header=BB237_13 Depth=1
	s_or_b32 exec_lo, exec_lo, s25
.LBB237_55:                             ;   in Loop: Header=BB237_13 Depth=1
	s_delay_alu instid0(SALU_CYCLE_1)
	s_or_b32 exec_lo, exec_lo, s24
.LBB237_56:                             ;   in Loop: Header=BB237_13 Depth=1
	s_delay_alu instid0(SALU_CYCLE_1) | instskip(SKIP_2) | instid1(VALU_DEP_1)
	s_or_b32 exec_lo, exec_lo, s18
	v_lshrrev_b16 v1, 8, v0
	s_mov_b32 s24, exec_lo
	v_cmpx_ne_u16_e32 0, v1
	s_cbranch_execz .LBB237_64
; %bb.57:                               ;   in Loop: Header=BB237_13 Depth=1
	v_dual_mov_b32 v147, s17 :: v_dual_mov_b32 v146, s16
	s_mov_b32 s25, exec_lo
	v_cmpx_ne_u16_e32 0x80, v1
	s_cbranch_execz .LBB237_63
; %bb.58:                               ;   in Loop: Header=BB237_13 Depth=1
	s_mov_b32 s18, s16
	v_and_b32_e32 v1, 0xffff, v1
	v_dual_mov_b32 v147, s19 :: v_dual_mov_b32 v146, s18
	s_mov_b32 s18, exec_lo
	s_delay_alu instid0(VALU_DEP_2) | instskip(NEXT) | instid1(VALU_DEP_1)
	v_and_b32_e32 v2, 0x7f, v1
	v_cmpx_ne_u32_e32 0x7f, v2
	s_cbranch_execz .LBB237_62
; %bb.59:                               ;   in Loop: Header=BB237_13 Depth=1
	v_and_b32_e32 v28, 7, v1
	v_lshrrev_b32_e32 v1, 3, v2
	s_mov_b32 s26, exec_lo
	v_cmpx_gt_u32_e32 8, v2
; %bb.60:                               ;   in Loop: Header=BB237_13 Depth=1
	s_delay_alu instid0(VALU_DEP_3) | instskip(NEXT) | instid1(VALU_DEP_1)
	v_clz_i32_u32_e32 v1, v28
	v_min_u32_e32 v1, 32, v1
	s_delay_alu instid0(VALU_DEP_1) | instskip(SKIP_1) | instid1(VALU_DEP_2)
	v_subrev_nc_u32_e32 v2, 28, v1
	v_sub_nc_u32_e32 v1, 29, v1
	v_lshlrev_b64 v[2:3], v2, v[28:29]
	s_delay_alu instid0(VALU_DEP_1)
	v_and_b32_e32 v28, 7, v2
; %bb.61:                               ;   in Loop: Header=BB237_13 Depth=1
	s_or_b32 exec_lo, exec_lo, s26
	v_lshlrev_b32_e32 v0, 16, v0
	s_delay_alu instid0(VALU_DEP_2) | instskip(SKIP_2) | instid1(VALU_DEP_4)
	v_lshlrev_b32_e32 v2, 20, v28
	v_lshl_add_u32 v1, v1, 23, 0x3c000000
	v_mov_b32_e32 v146, v29
	v_and_b32_e32 v0, 0x80000000, v0
	s_delay_alu instid0(VALU_DEP_1)
	v_or3_b32 v147, v2, v0, v1
.LBB237_62:                             ;   in Loop: Header=BB237_13 Depth=1
	s_or_b32 exec_lo, exec_lo, s18
.LBB237_63:                             ;   in Loop: Header=BB237_13 Depth=1
	s_delay_alu instid0(SALU_CYCLE_1)
	s_or_b32 exec_lo, exec_lo, s25
.LBB237_64:                             ;   in Loop: Header=BB237_13 Depth=1
	s_delay_alu instid0(SALU_CYCLE_1)
	s_or_b32 exec_lo, exec_lo, s24
	flat_load_u16 v0, v[150:151] offset:12
	v_mov_b32_e32 v160, 0
	v_mov_b32_e32 v161, 0
	s_mov_b32 s18, exec_lo
	s_waitcnt vmcnt(0) lgkmcnt(0)
	v_and_b32_e32 v1, 0xff, v0
	v_and_b32_e32 v0, 0xffff, v0
	scratch_store_b64 off, v[160:161], s32 offset:364 ; 8-byte Folded Spill
	v_cmpx_ne_u16_e32 0, v1
	s_cbranch_execz .LBB237_72
; %bb.65:                               ;   in Loop: Header=BB237_13 Depth=1
	v_bfrev_b32_e32 v2, 1
	v_and_b32_e32 v1, 0xff, v0
	v_mov_b32_e32 v3, 0
	s_mov_b32 s24, exec_lo
	scratch_store_b64 off, v[2:3], s32 offset:364 ; 8-byte Folded Spill
	v_cmpx_ne_u16_e32 0x80, v1
	s_cbranch_execz .LBB237_71
; %bb.66:                               ;   in Loop: Header=BB237_13 Depth=1
	v_mov_b32_e32 v3, 0x7f800001
	v_and_b32_e32 v2, 0x7f, v0
	v_mov_b32_e32 v4, 0
	s_mov_b32 s25, exec_lo
	scratch_store_b64 off, v[3:4], s32 offset:364 ; 8-byte Folded Spill
	v_cmpx_ne_u32_e32 0x7f, v2
	s_cbranch_execz .LBB237_70
; %bb.67:                               ;   in Loop: Header=BB237_13 Depth=1
	v_and_b32_e32 v28, 7, v0
	v_lshrrev_b32_e32 v1, 3, v2
	s_mov_b32 s26, exec_lo
	v_cmpx_gt_u32_e32 8, v2
; %bb.68:                               ;   in Loop: Header=BB237_13 Depth=1
	s_delay_alu instid0(VALU_DEP_3) | instskip(NEXT) | instid1(VALU_DEP_1)
	v_clz_i32_u32_e32 v1, v28
	v_min_u32_e32 v1, 32, v1
	s_delay_alu instid0(VALU_DEP_1) | instskip(SKIP_1) | instid1(VALU_DEP_2)
	v_subrev_nc_u32_e32 v2, 28, v1
	v_sub_nc_u32_e32 v1, 29, v1
	v_lshlrev_b64 v[2:3], v2, v[28:29]
	s_delay_alu instid0(VALU_DEP_1)
	v_and_b32_e32 v28, 7, v2
; %bb.69:                               ;   in Loop: Header=BB237_13 Depth=1
	s_or_b32 exec_lo, exec_lo, s26
	v_lshlrev_b32_e32 v2, 24, v0
	s_delay_alu instid0(VALU_DEP_2) | instskip(SKIP_1) | instid1(VALU_DEP_3)
	v_lshlrev_b32_e32 v3, 20, v28
	v_lshl_add_u32 v1, v1, 23, 0x3c000000
	v_and_b32_e32 v2, 0x80000000, v2
	s_delay_alu instid0(VALU_DEP_1)
	v_or3_b32 v28, v3, v2, v1
	scratch_store_b64 off, v[28:29], s32 offset:364 ; 8-byte Folded Spill
.LBB237_70:                             ;   in Loop: Header=BB237_13 Depth=1
	s_or_b32 exec_lo, exec_lo, s25
.LBB237_71:                             ;   in Loop: Header=BB237_13 Depth=1
	s_delay_alu instid0(SALU_CYCLE_1)
	s_or_b32 exec_lo, exec_lo, s24
.LBB237_72:                             ;   in Loop: Header=BB237_13 Depth=1
	s_delay_alu instid0(SALU_CYCLE_1) | instskip(SKIP_2) | instid1(VALU_DEP_1)
	s_or_b32 exec_lo, exec_lo, s18
	v_lshrrev_b16 v1, 8, v0
	s_mov_b32 s24, exec_lo
	v_cmpx_ne_u16_e32 0, v1
	s_cbranch_execz .LBB237_80
; %bb.73:                               ;   in Loop: Header=BB237_13 Depth=1
	v_dual_mov_b32 v161, s17 :: v_dual_mov_b32 v160, s16
	s_mov_b32 s25, exec_lo
	v_cmpx_ne_u16_e32 0x80, v1
	s_cbranch_execz .LBB237_79
; %bb.74:                               ;   in Loop: Header=BB237_13 Depth=1
	s_mov_b32 s18, s16
	v_and_b32_e32 v1, 0xffff, v1
	v_dual_mov_b32 v161, s19 :: v_dual_mov_b32 v160, s18
	s_mov_b32 s18, exec_lo
	s_delay_alu instid0(VALU_DEP_2) | instskip(NEXT) | instid1(VALU_DEP_1)
	v_and_b32_e32 v2, 0x7f, v1
	v_cmpx_ne_u32_e32 0x7f, v2
	s_cbranch_execz .LBB237_78
; %bb.75:                               ;   in Loop: Header=BB237_13 Depth=1
	v_and_b32_e32 v28, 7, v1
	v_lshrrev_b32_e32 v1, 3, v2
	s_mov_b32 s26, exec_lo
	v_cmpx_gt_u32_e32 8, v2
; %bb.76:                               ;   in Loop: Header=BB237_13 Depth=1
	s_delay_alu instid0(VALU_DEP_3) | instskip(NEXT) | instid1(VALU_DEP_1)
	v_clz_i32_u32_e32 v1, v28
	v_min_u32_e32 v1, 32, v1
	s_delay_alu instid0(VALU_DEP_1) | instskip(SKIP_1) | instid1(VALU_DEP_2)
	v_subrev_nc_u32_e32 v2, 28, v1
	v_sub_nc_u32_e32 v1, 29, v1
	v_lshlrev_b64 v[2:3], v2, v[28:29]
	s_delay_alu instid0(VALU_DEP_1)
	v_and_b32_e32 v28, 7, v2
; %bb.77:                               ;   in Loop: Header=BB237_13 Depth=1
	s_or_b32 exec_lo, exec_lo, s26
	v_lshlrev_b32_e32 v0, 16, v0
	s_delay_alu instid0(VALU_DEP_2) | instskip(SKIP_2) | instid1(VALU_DEP_4)
	v_lshlrev_b32_e32 v2, 20, v28
	v_lshl_add_u32 v1, v1, 23, 0x3c000000
	v_mov_b32_e32 v160, v29
	v_and_b32_e32 v0, 0x80000000, v0
	s_delay_alu instid0(VALU_DEP_1)
	v_or3_b32 v161, v2, v0, v1
.LBB237_78:                             ;   in Loop: Header=BB237_13 Depth=1
	s_or_b32 exec_lo, exec_lo, s18
.LBB237_79:                             ;   in Loop: Header=BB237_13 Depth=1
	s_delay_alu instid0(SALU_CYCLE_1)
	s_or_b32 exec_lo, exec_lo, s25
.LBB237_80:                             ;   in Loop: Header=BB237_13 Depth=1
	s_delay_alu instid0(SALU_CYCLE_1)
	s_or_b32 exec_lo, exec_lo, s24
	flat_load_u16 v0, v[150:151] offset:256
	v_mov_b32_e32 v164, 0
	v_mov_b32_e32 v165, 0
	s_mov_b32 s18, exec_lo
	s_waitcnt vmcnt(0) lgkmcnt(0)
	v_and_b32_e32 v1, 0xff, v0
	v_and_b32_e32 v0, 0xffff, v0
	scratch_store_b64 off, v[164:165], s32 offset:372 ; 8-byte Folded Spill
	v_cmpx_ne_u16_e32 0, v1
	s_cbranch_execz .LBB237_88
; %bb.81:                               ;   in Loop: Header=BB237_13 Depth=1
	v_bfrev_b32_e32 v2, 1
	v_and_b32_e32 v1, 0xff, v0
	v_mov_b32_e32 v3, 0
	s_mov_b32 s24, exec_lo
	scratch_store_b64 off, v[2:3], s32 offset:372 ; 8-byte Folded Spill
	v_cmpx_ne_u16_e32 0x80, v1
	s_cbranch_execz .LBB237_87
; %bb.82:                               ;   in Loop: Header=BB237_13 Depth=1
	v_mov_b32_e32 v3, 0x7f800001
	v_and_b32_e32 v2, 0x7f, v0
	v_mov_b32_e32 v4, 0
	s_mov_b32 s25, exec_lo
	scratch_store_b64 off, v[3:4], s32 offset:372 ; 8-byte Folded Spill
	v_cmpx_ne_u32_e32 0x7f, v2
	s_cbranch_execz .LBB237_86
; %bb.83:                               ;   in Loop: Header=BB237_13 Depth=1
	v_and_b32_e32 v28, 7, v0
	v_lshrrev_b32_e32 v1, 3, v2
	s_mov_b32 s26, exec_lo
	v_cmpx_gt_u32_e32 8, v2
; %bb.84:                               ;   in Loop: Header=BB237_13 Depth=1
	s_delay_alu instid0(VALU_DEP_3) | instskip(NEXT) | instid1(VALU_DEP_1)
	v_clz_i32_u32_e32 v1, v28
	v_min_u32_e32 v1, 32, v1
	s_delay_alu instid0(VALU_DEP_1) | instskip(SKIP_1) | instid1(VALU_DEP_2)
	v_subrev_nc_u32_e32 v2, 28, v1
	v_sub_nc_u32_e32 v1, 29, v1
	v_lshlrev_b64 v[2:3], v2, v[28:29]
	s_delay_alu instid0(VALU_DEP_1)
	v_and_b32_e32 v28, 7, v2
; %bb.85:                               ;   in Loop: Header=BB237_13 Depth=1
	s_or_b32 exec_lo, exec_lo, s26
	v_lshlrev_b32_e32 v2, 24, v0
	s_delay_alu instid0(VALU_DEP_2) | instskip(SKIP_1) | instid1(VALU_DEP_3)
	v_lshlrev_b32_e32 v3, 20, v28
	v_lshl_add_u32 v1, v1, 23, 0x3c000000
	v_and_b32_e32 v2, 0x80000000, v2
	s_delay_alu instid0(VALU_DEP_1)
	v_or3_b32 v28, v3, v2, v1
	scratch_store_b64 off, v[28:29], s32 offset:372 ; 8-byte Folded Spill
.LBB237_86:                             ;   in Loop: Header=BB237_13 Depth=1
	s_or_b32 exec_lo, exec_lo, s25
.LBB237_87:                             ;   in Loop: Header=BB237_13 Depth=1
	s_delay_alu instid0(SALU_CYCLE_1)
	s_or_b32 exec_lo, exec_lo, s24
.LBB237_88:                             ;   in Loop: Header=BB237_13 Depth=1
	s_delay_alu instid0(SALU_CYCLE_1) | instskip(SKIP_2) | instid1(VALU_DEP_1)
	s_or_b32 exec_lo, exec_lo, s18
	v_lshrrev_b16 v1, 8, v0
	s_mov_b32 s24, exec_lo
	v_cmpx_ne_u16_e32 0, v1
	s_cbranch_execz .LBB237_96
; %bb.89:                               ;   in Loop: Header=BB237_13 Depth=1
	v_dual_mov_b32 v165, s17 :: v_dual_mov_b32 v164, s16
	s_mov_b32 s25, exec_lo
	v_cmpx_ne_u16_e32 0x80, v1
	s_cbranch_execz .LBB237_95
; %bb.90:                               ;   in Loop: Header=BB237_13 Depth=1
	s_mov_b32 s18, s16
	v_and_b32_e32 v1, 0xffff, v1
	v_dual_mov_b32 v165, s19 :: v_dual_mov_b32 v164, s18
	s_mov_b32 s18, exec_lo
	s_delay_alu instid0(VALU_DEP_2) | instskip(NEXT) | instid1(VALU_DEP_1)
	v_and_b32_e32 v2, 0x7f, v1
	v_cmpx_ne_u32_e32 0x7f, v2
	s_cbranch_execz .LBB237_94
; %bb.91:                               ;   in Loop: Header=BB237_13 Depth=1
	v_and_b32_e32 v28, 7, v1
	v_lshrrev_b32_e32 v1, 3, v2
	s_mov_b32 s26, exec_lo
	v_cmpx_gt_u32_e32 8, v2
; %bb.92:                               ;   in Loop: Header=BB237_13 Depth=1
	s_delay_alu instid0(VALU_DEP_3) | instskip(NEXT) | instid1(VALU_DEP_1)
	v_clz_i32_u32_e32 v1, v28
	v_min_u32_e32 v1, 32, v1
	s_delay_alu instid0(VALU_DEP_1) | instskip(SKIP_1) | instid1(VALU_DEP_2)
	v_subrev_nc_u32_e32 v2, 28, v1
	v_sub_nc_u32_e32 v1, 29, v1
	v_lshlrev_b64 v[2:3], v2, v[28:29]
	s_delay_alu instid0(VALU_DEP_1)
	v_and_b32_e32 v28, 7, v2
; %bb.93:                               ;   in Loop: Header=BB237_13 Depth=1
	s_or_b32 exec_lo, exec_lo, s26
	v_lshlrev_b32_e32 v0, 16, v0
	s_delay_alu instid0(VALU_DEP_2) | instskip(SKIP_2) | instid1(VALU_DEP_4)
	v_lshlrev_b32_e32 v2, 20, v28
	v_lshl_add_u32 v1, v1, 23, 0x3c000000
	v_mov_b32_e32 v164, v29
	v_and_b32_e32 v0, 0x80000000, v0
	s_delay_alu instid0(VALU_DEP_1)
	v_or3_b32 v165, v2, v0, v1
.LBB237_94:                             ;   in Loop: Header=BB237_13 Depth=1
	s_or_b32 exec_lo, exec_lo, s18
.LBB237_95:                             ;   in Loop: Header=BB237_13 Depth=1
	s_delay_alu instid0(SALU_CYCLE_1)
	s_or_b32 exec_lo, exec_lo, s25
.LBB237_96:                             ;   in Loop: Header=BB237_13 Depth=1
	s_delay_alu instid0(SALU_CYCLE_1)
	s_or_b32 exec_lo, exec_lo, s24
	flat_load_u16 v0, v[150:151] offset:260
	v_mov_b32_e32 v176, 0
	v_mov_b32_e32 v177, 0
	s_mov_b32 s18, exec_lo
	s_waitcnt vmcnt(0) lgkmcnt(0)
	v_and_b32_e32 v1, 0xff, v0
	v_and_b32_e32 v0, 0xffff, v0
	scratch_store_b64 off, v[176:177], s32 offset:380 ; 8-byte Folded Spill
	v_cmpx_ne_u16_e32 0, v1
	s_cbranch_execz .LBB237_104
; %bb.97:                               ;   in Loop: Header=BB237_13 Depth=1
	v_bfrev_b32_e32 v2, 1
	v_and_b32_e32 v1, 0xff, v0
	v_mov_b32_e32 v3, 0
	s_mov_b32 s24, exec_lo
	scratch_store_b64 off, v[2:3], s32 offset:380 ; 8-byte Folded Spill
	v_cmpx_ne_u16_e32 0x80, v1
	s_cbranch_execz .LBB237_103
; %bb.98:                               ;   in Loop: Header=BB237_13 Depth=1
	v_mov_b32_e32 v3, 0x7f800001
	v_and_b32_e32 v2, 0x7f, v0
	v_mov_b32_e32 v4, 0
	s_mov_b32 s25, exec_lo
	scratch_store_b64 off, v[3:4], s32 offset:380 ; 8-byte Folded Spill
	v_cmpx_ne_u32_e32 0x7f, v2
	s_cbranch_execz .LBB237_102
; %bb.99:                               ;   in Loop: Header=BB237_13 Depth=1
	v_and_b32_e32 v28, 7, v0
	v_lshrrev_b32_e32 v1, 3, v2
	s_mov_b32 s26, exec_lo
	v_cmpx_gt_u32_e32 8, v2
; %bb.100:                              ;   in Loop: Header=BB237_13 Depth=1
	s_delay_alu instid0(VALU_DEP_3) | instskip(NEXT) | instid1(VALU_DEP_1)
	v_clz_i32_u32_e32 v1, v28
	v_min_u32_e32 v1, 32, v1
	s_delay_alu instid0(VALU_DEP_1) | instskip(SKIP_1) | instid1(VALU_DEP_2)
	v_subrev_nc_u32_e32 v2, 28, v1
	v_sub_nc_u32_e32 v1, 29, v1
	v_lshlrev_b64 v[2:3], v2, v[28:29]
	s_delay_alu instid0(VALU_DEP_1)
	v_and_b32_e32 v28, 7, v2
; %bb.101:                              ;   in Loop: Header=BB237_13 Depth=1
	s_or_b32 exec_lo, exec_lo, s26
	v_lshlrev_b32_e32 v2, 24, v0
	s_delay_alu instid0(VALU_DEP_2) | instskip(SKIP_1) | instid1(VALU_DEP_3)
	v_lshlrev_b32_e32 v3, 20, v28
	v_lshl_add_u32 v1, v1, 23, 0x3c000000
	v_and_b32_e32 v2, 0x80000000, v2
	s_delay_alu instid0(VALU_DEP_1)
	v_or3_b32 v28, v3, v2, v1
	scratch_store_b64 off, v[28:29], s32 offset:380 ; 8-byte Folded Spill
.LBB237_102:                            ;   in Loop: Header=BB237_13 Depth=1
	s_or_b32 exec_lo, exec_lo, s25
.LBB237_103:                            ;   in Loop: Header=BB237_13 Depth=1
	s_delay_alu instid0(SALU_CYCLE_1)
	s_or_b32 exec_lo, exec_lo, s24
.LBB237_104:                            ;   in Loop: Header=BB237_13 Depth=1
	s_delay_alu instid0(SALU_CYCLE_1) | instskip(SKIP_2) | instid1(VALU_DEP_1)
	s_or_b32 exec_lo, exec_lo, s18
	v_lshrrev_b16 v1, 8, v0
	s_mov_b32 s24, exec_lo
	v_cmpx_ne_u16_e32 0, v1
	s_cbranch_execz .LBB237_112
; %bb.105:                              ;   in Loop: Header=BB237_13 Depth=1
	v_dual_mov_b32 v177, s17 :: v_dual_mov_b32 v176, s16
	s_mov_b32 s25, exec_lo
	v_cmpx_ne_u16_e32 0x80, v1
	s_cbranch_execz .LBB237_111
; %bb.106:                              ;   in Loop: Header=BB237_13 Depth=1
	s_mov_b32 s18, s16
	v_and_b32_e32 v1, 0xffff, v1
	v_dual_mov_b32 v177, s19 :: v_dual_mov_b32 v176, s18
	s_mov_b32 s18, exec_lo
	s_delay_alu instid0(VALU_DEP_2) | instskip(NEXT) | instid1(VALU_DEP_1)
	v_and_b32_e32 v2, 0x7f, v1
	v_cmpx_ne_u32_e32 0x7f, v2
	s_cbranch_execz .LBB237_110
; %bb.107:                              ;   in Loop: Header=BB237_13 Depth=1
	v_and_b32_e32 v28, 7, v1
	v_lshrrev_b32_e32 v1, 3, v2
	s_mov_b32 s26, exec_lo
	v_cmpx_gt_u32_e32 8, v2
; %bb.108:                              ;   in Loop: Header=BB237_13 Depth=1
	s_delay_alu instid0(VALU_DEP_3) | instskip(NEXT) | instid1(VALU_DEP_1)
	v_clz_i32_u32_e32 v1, v28
	v_min_u32_e32 v1, 32, v1
	s_delay_alu instid0(VALU_DEP_1) | instskip(SKIP_1) | instid1(VALU_DEP_2)
	v_subrev_nc_u32_e32 v2, 28, v1
	v_sub_nc_u32_e32 v1, 29, v1
	v_lshlrev_b64 v[2:3], v2, v[28:29]
	s_delay_alu instid0(VALU_DEP_1)
	v_and_b32_e32 v28, 7, v2
; %bb.109:                              ;   in Loop: Header=BB237_13 Depth=1
	s_or_b32 exec_lo, exec_lo, s26
	v_lshlrev_b32_e32 v0, 16, v0
	s_delay_alu instid0(VALU_DEP_2) | instskip(SKIP_2) | instid1(VALU_DEP_4)
	v_lshlrev_b32_e32 v2, 20, v28
	v_lshl_add_u32 v1, v1, 23, 0x3c000000
	v_mov_b32_e32 v176, v29
	v_and_b32_e32 v0, 0x80000000, v0
	s_delay_alu instid0(VALU_DEP_1)
	v_or3_b32 v177, v2, v0, v1
.LBB237_110:                            ;   in Loop: Header=BB237_13 Depth=1
	s_or_b32 exec_lo, exec_lo, s18
.LBB237_111:                            ;   in Loop: Header=BB237_13 Depth=1
	s_delay_alu instid0(SALU_CYCLE_1)
	s_or_b32 exec_lo, exec_lo, s25
.LBB237_112:                            ;   in Loop: Header=BB237_13 Depth=1
	s_delay_alu instid0(SALU_CYCLE_1) | instskip(SKIP_1) | instid1(VALU_DEP_1)
	s_or_b32 exec_lo, exec_lo, s24
	v_add_co_u32 v0, s2, 0x100, v150
	v_add_co_ci_u32_e64 v1, s2, 0, v151, s2
	s_mov_b32 s18, exec_lo
	flat_load_u16 v2, v[0:1] offset:8
	v_mov_b32_e32 v180, 0
	v_mov_b32_e32 v181, 0
	s_waitcnt vmcnt(0) lgkmcnt(0)
	v_and_b32_e32 v3, 0xff, v2
	v_and_b32_e32 v2, 0xffff, v2
	scratch_store_b64 off, v[180:181], s32 offset:388 ; 8-byte Folded Spill
	v_cmpx_ne_u16_e32 0, v3
	s_cbranch_execz .LBB237_120
; %bb.113:                              ;   in Loop: Header=BB237_13 Depth=1
	v_bfrev_b32_e32 v4, 1
	v_and_b32_e32 v3, 0xff, v2
	v_mov_b32_e32 v5, 0
	s_mov_b32 s24, exec_lo
	scratch_store_b64 off, v[4:5], s32 offset:388 ; 8-byte Folded Spill
	v_cmpx_ne_u16_e32 0x80, v3
	s_cbranch_execz .LBB237_119
; %bb.114:                              ;   in Loop: Header=BB237_13 Depth=1
	v_mov_b32_e32 v5, 0x7f800001
	v_and_b32_e32 v4, 0x7f, v2
	v_mov_b32_e32 v6, 0
	s_mov_b32 s25, exec_lo
	scratch_store_b64 off, v[5:6], s32 offset:388 ; 8-byte Folded Spill
	v_cmpx_ne_u32_e32 0x7f, v4
	s_cbranch_execz .LBB237_118
; %bb.115:                              ;   in Loop: Header=BB237_13 Depth=1
	v_and_b32_e32 v28, 7, v2
	v_lshrrev_b32_e32 v3, 3, v4
	s_mov_b32 s26, exec_lo
	v_cmpx_gt_u32_e32 8, v4
; %bb.116:                              ;   in Loop: Header=BB237_13 Depth=1
	s_delay_alu instid0(VALU_DEP_3) | instskip(NEXT) | instid1(VALU_DEP_1)
	v_clz_i32_u32_e32 v3, v28
	v_min_u32_e32 v3, 32, v3
	s_delay_alu instid0(VALU_DEP_1) | instskip(SKIP_1) | instid1(VALU_DEP_2)
	v_subrev_nc_u32_e32 v4, 28, v3
	v_sub_nc_u32_e32 v3, 29, v3
	v_lshlrev_b64 v[4:5], v4, v[28:29]
	s_delay_alu instid0(VALU_DEP_1)
	v_and_b32_e32 v28, 7, v4
; %bb.117:                              ;   in Loop: Header=BB237_13 Depth=1
	s_or_b32 exec_lo, exec_lo, s26
	v_lshlrev_b32_e32 v4, 24, v2
	s_delay_alu instid0(VALU_DEP_2) | instskip(SKIP_1) | instid1(VALU_DEP_3)
	v_lshlrev_b32_e32 v5, 20, v28
	v_lshl_add_u32 v3, v3, 23, 0x3c000000
	v_and_b32_e32 v4, 0x80000000, v4
	s_delay_alu instid0(VALU_DEP_1)
	v_or3_b32 v28, v5, v4, v3
	scratch_store_b64 off, v[28:29], s32 offset:388 ; 8-byte Folded Spill
.LBB237_118:                            ;   in Loop: Header=BB237_13 Depth=1
	s_or_b32 exec_lo, exec_lo, s25
.LBB237_119:                            ;   in Loop: Header=BB237_13 Depth=1
	s_delay_alu instid0(SALU_CYCLE_1)
	s_or_b32 exec_lo, exec_lo, s24
.LBB237_120:                            ;   in Loop: Header=BB237_13 Depth=1
	s_delay_alu instid0(SALU_CYCLE_1) | instskip(SKIP_2) | instid1(VALU_DEP_1)
	s_or_b32 exec_lo, exec_lo, s18
	v_lshrrev_b16 v3, 8, v2
	s_mov_b32 s24, exec_lo
	v_cmpx_ne_u16_e32 0, v3
	s_cbranch_execz .LBB237_128
; %bb.121:                              ;   in Loop: Header=BB237_13 Depth=1
	v_dual_mov_b32 v181, s17 :: v_dual_mov_b32 v180, s16
	s_mov_b32 s25, exec_lo
	v_cmpx_ne_u16_e32 0x80, v3
	s_cbranch_execz .LBB237_127
; %bb.122:                              ;   in Loop: Header=BB237_13 Depth=1
	s_mov_b32 s18, s16
	v_and_b32_e32 v3, 0xffff, v3
	v_dual_mov_b32 v181, s19 :: v_dual_mov_b32 v180, s18
	s_mov_b32 s18, exec_lo
	s_delay_alu instid0(VALU_DEP_2) | instskip(NEXT) | instid1(VALU_DEP_1)
	v_and_b32_e32 v4, 0x7f, v3
	v_cmpx_ne_u32_e32 0x7f, v4
	s_cbranch_execz .LBB237_126
; %bb.123:                              ;   in Loop: Header=BB237_13 Depth=1
	v_and_b32_e32 v28, 7, v3
	v_lshrrev_b32_e32 v3, 3, v4
	s_mov_b32 s26, exec_lo
	v_cmpx_gt_u32_e32 8, v4
; %bb.124:                              ;   in Loop: Header=BB237_13 Depth=1
	s_delay_alu instid0(VALU_DEP_3) | instskip(NEXT) | instid1(VALU_DEP_1)
	v_clz_i32_u32_e32 v3, v28
	v_min_u32_e32 v3, 32, v3
	s_delay_alu instid0(VALU_DEP_1) | instskip(SKIP_1) | instid1(VALU_DEP_2)
	v_subrev_nc_u32_e32 v4, 28, v3
	v_sub_nc_u32_e32 v3, 29, v3
	v_lshlrev_b64 v[4:5], v4, v[28:29]
	s_delay_alu instid0(VALU_DEP_1)
	v_and_b32_e32 v28, 7, v4
; %bb.125:                              ;   in Loop: Header=BB237_13 Depth=1
	s_or_b32 exec_lo, exec_lo, s26
	v_lshlrev_b32_e32 v2, 16, v2
	s_delay_alu instid0(VALU_DEP_2) | instskip(SKIP_2) | instid1(VALU_DEP_4)
	v_lshlrev_b32_e32 v4, 20, v28
	v_lshl_add_u32 v3, v3, 23, 0x3c000000
	v_mov_b32_e32 v180, v29
	v_and_b32_e32 v2, 0x80000000, v2
	s_delay_alu instid0(VALU_DEP_1)
	v_or3_b32 v181, v4, v2, v3
.LBB237_126:                            ;   in Loop: Header=BB237_13 Depth=1
	s_or_b32 exec_lo, exec_lo, s18
.LBB237_127:                            ;   in Loop: Header=BB237_13 Depth=1
	s_delay_alu instid0(SALU_CYCLE_1)
	s_or_b32 exec_lo, exec_lo, s25
.LBB237_128:                            ;   in Loop: Header=BB237_13 Depth=1
	s_delay_alu instid0(SALU_CYCLE_1)
	s_or_b32 exec_lo, exec_lo, s24
	flat_load_u16 v0, v[0:1] offset:12
	v_mov_b32_e32 v39, 0
	v_mov_b32_e32 v40, 0
	s_mov_b32 s18, exec_lo
	s_waitcnt vmcnt(0) lgkmcnt(0)
	v_and_b32_e32 v1, 0xff, v0
	v_and_b32_e32 v0, 0xffff, v0
	scratch_store_b64 off, v[39:40], s32 offset:396 ; 8-byte Folded Spill
	v_cmpx_ne_u16_e32 0, v1
	s_cbranch_execz .LBB237_136
; %bb.129:                              ;   in Loop: Header=BB237_13 Depth=1
	v_bfrev_b32_e32 v2, 1
	v_and_b32_e32 v1, 0xff, v0
	v_mov_b32_e32 v3, 0
	s_mov_b32 s24, exec_lo
	scratch_store_b64 off, v[2:3], s32 offset:396 ; 8-byte Folded Spill
	v_cmpx_ne_u16_e32 0x80, v1
	s_cbranch_execz .LBB237_135
; %bb.130:                              ;   in Loop: Header=BB237_13 Depth=1
	v_mov_b32_e32 v3, 0x7f800001
	v_and_b32_e32 v2, 0x7f, v0
	v_mov_b32_e32 v4, 0
	s_mov_b32 s25, exec_lo
	scratch_store_b64 off, v[3:4], s32 offset:396 ; 8-byte Folded Spill
	v_cmpx_ne_u32_e32 0x7f, v2
	s_cbranch_execz .LBB237_134
; %bb.131:                              ;   in Loop: Header=BB237_13 Depth=1
	v_and_b32_e32 v28, 7, v0
	v_lshrrev_b32_e32 v1, 3, v2
	s_mov_b32 s26, exec_lo
	v_cmpx_gt_u32_e32 8, v2
; %bb.132:                              ;   in Loop: Header=BB237_13 Depth=1
	s_delay_alu instid0(VALU_DEP_3) | instskip(NEXT) | instid1(VALU_DEP_1)
	v_clz_i32_u32_e32 v1, v28
	v_min_u32_e32 v1, 32, v1
	s_delay_alu instid0(VALU_DEP_1) | instskip(SKIP_1) | instid1(VALU_DEP_2)
	v_subrev_nc_u32_e32 v2, 28, v1
	v_sub_nc_u32_e32 v1, 29, v1
	v_lshlrev_b64 v[2:3], v2, v[28:29]
	s_delay_alu instid0(VALU_DEP_1)
	v_and_b32_e32 v28, 7, v2
; %bb.133:                              ;   in Loop: Header=BB237_13 Depth=1
	s_or_b32 exec_lo, exec_lo, s26
	v_lshlrev_b32_e32 v2, 24, v0
	s_delay_alu instid0(VALU_DEP_2) | instskip(SKIP_1) | instid1(VALU_DEP_3)
	v_lshlrev_b32_e32 v3, 20, v28
	v_lshl_add_u32 v1, v1, 23, 0x3c000000
	v_and_b32_e32 v2, 0x80000000, v2
	s_delay_alu instid0(VALU_DEP_1)
	v_or3_b32 v28, v3, v2, v1
	scratch_store_b64 off, v[28:29], s32 offset:396 ; 8-byte Folded Spill
.LBB237_134:                            ;   in Loop: Header=BB237_13 Depth=1
	s_or_b32 exec_lo, exec_lo, s25
.LBB237_135:                            ;   in Loop: Header=BB237_13 Depth=1
	s_delay_alu instid0(SALU_CYCLE_1)
	s_or_b32 exec_lo, exec_lo, s24
.LBB237_136:                            ;   in Loop: Header=BB237_13 Depth=1
	s_delay_alu instid0(SALU_CYCLE_1) | instskip(SKIP_2) | instid1(VALU_DEP_1)
	s_or_b32 exec_lo, exec_lo, s18
	v_lshrrev_b16 v1, 8, v0
	s_mov_b32 s24, exec_lo
	v_cmpx_ne_u16_e32 0, v1
	s_cbranch_execz .LBB237_144
; %bb.137:                              ;   in Loop: Header=BB237_13 Depth=1
	v_dual_mov_b32 v40, s17 :: v_dual_mov_b32 v39, s16
	s_mov_b32 s25, exec_lo
	v_cmpx_ne_u16_e32 0x80, v1
	s_cbranch_execz .LBB237_143
; %bb.138:                              ;   in Loop: Header=BB237_13 Depth=1
	s_mov_b32 s18, s16
	v_dual_mov_b32 v40, s19 :: v_dual_and_b32 v1, 0xffff, v1
	v_mov_b32_e32 v39, s18
	s_mov_b32 s18, exec_lo
	s_delay_alu instid0(VALU_DEP_2) | instskip(NEXT) | instid1(VALU_DEP_1)
	v_and_b32_e32 v2, 0x7f, v1
	v_cmpx_ne_u32_e32 0x7f, v2
	s_cbranch_execz .LBB237_142
; %bb.139:                              ;   in Loop: Header=BB237_13 Depth=1
	v_and_b32_e32 v28, 7, v1
	v_lshrrev_b32_e32 v1, 3, v2
	s_mov_b32 s26, exec_lo
	v_cmpx_gt_u32_e32 8, v2
; %bb.140:                              ;   in Loop: Header=BB237_13 Depth=1
	s_delay_alu instid0(VALU_DEP_3) | instskip(NEXT) | instid1(VALU_DEP_1)
	v_clz_i32_u32_e32 v1, v28
	v_min_u32_e32 v1, 32, v1
	s_delay_alu instid0(VALU_DEP_1) | instskip(SKIP_1) | instid1(VALU_DEP_2)
	v_subrev_nc_u32_e32 v2, 28, v1
	v_sub_nc_u32_e32 v1, 29, v1
	v_lshlrev_b64 v[2:3], v2, v[28:29]
	s_delay_alu instid0(VALU_DEP_1)
	v_and_b32_e32 v28, 7, v2
; %bb.141:                              ;   in Loop: Header=BB237_13 Depth=1
	s_or_b32 exec_lo, exec_lo, s26
	v_dual_mov_b32 v39, v29 :: v_dual_lshlrev_b32 v0, 16, v0
	s_delay_alu instid0(VALU_DEP_2) | instskip(SKIP_1) | instid1(VALU_DEP_3)
	v_lshlrev_b32_e32 v2, 20, v28
	v_lshl_add_u32 v1, v1, 23, 0x3c000000
	v_and_b32_e32 v0, 0x80000000, v0
	s_delay_alu instid0(VALU_DEP_1)
	v_or3_b32 v40, v2, v0, v1
.LBB237_142:                            ;   in Loop: Header=BB237_13 Depth=1
	s_or_b32 exec_lo, exec_lo, s18
.LBB237_143:                            ;   in Loop: Header=BB237_13 Depth=1
	s_delay_alu instid0(SALU_CYCLE_1)
	s_or_b32 exec_lo, exec_lo, s25
.LBB237_144:                            ;   in Loop: Header=BB237_13 Depth=1
	s_delay_alu instid0(SALU_CYCLE_1)
	s_or_b32 exec_lo, exec_lo, s24
	flat_load_u16 v0, v[150:151] offset:512
	v_mov_b32_e32 v43, 0
	v_mov_b32_e32 v44, 0
	s_mov_b32 s18, exec_lo
	s_waitcnt vmcnt(0) lgkmcnt(0)
	v_and_b32_e32 v1, 0xff, v0
	v_and_b32_e32 v0, 0xffff, v0
	scratch_store_b64 off, v[43:44], s32 offset:404 ; 8-byte Folded Spill
	v_cmpx_ne_u16_e32 0, v1
	s_cbranch_execz .LBB237_152
; %bb.145:                              ;   in Loop: Header=BB237_13 Depth=1
	v_and_b32_e32 v1, 0xff, v0
	s_delay_alu instid0(VALU_DEP_1)
	v_cmp_ne_u16_e64 s2, 0x80, v1
	v_bfrev_b32_e32 v1, 1
	v_mov_b32_e32 v2, 0
	scratch_store_b64 off, v[1:2], s32 offset:404 ; 8-byte Folded Spill
	s_and_saveexec_b32 s24, s2
	s_cbranch_execz .LBB237_151
; %bb.146:                              ;   in Loop: Header=BB237_13 Depth=1
	v_mov_b32_e32 v3, 0x7f800001
	v_and_b32_e32 v2, 0x7f, v0
	v_mov_b32_e32 v4, 0
	s_mov_b32 s25, exec_lo
	scratch_store_b64 off, v[3:4], s32 offset:404 ; 8-byte Folded Spill
	v_cmpx_ne_u32_e32 0x7f, v2
	s_cbranch_execz .LBB237_150
; %bb.147:                              ;   in Loop: Header=BB237_13 Depth=1
	v_and_b32_e32 v28, 7, v0
	v_lshrrev_b32_e32 v1, 3, v2
	s_mov_b32 s26, exec_lo
	v_cmpx_gt_u32_e32 8, v2
; %bb.148:                              ;   in Loop: Header=BB237_13 Depth=1
	s_delay_alu instid0(VALU_DEP_3) | instskip(NEXT) | instid1(VALU_DEP_1)
	v_clz_i32_u32_e32 v1, v28
	v_min_u32_e32 v1, 32, v1
	s_delay_alu instid0(VALU_DEP_1) | instskip(SKIP_1) | instid1(VALU_DEP_2)
	v_subrev_nc_u32_e32 v2, 28, v1
	v_sub_nc_u32_e32 v1, 29, v1
	v_lshlrev_b64 v[2:3], v2, v[28:29]
	s_delay_alu instid0(VALU_DEP_1)
	v_and_b32_e32 v28, 7, v2
; %bb.149:                              ;   in Loop: Header=BB237_13 Depth=1
	s_or_b32 exec_lo, exec_lo, s26
	v_lshlrev_b32_e32 v2, 24, v0
	s_delay_alu instid0(VALU_DEP_2) | instskip(SKIP_1) | instid1(VALU_DEP_3)
	v_lshlrev_b32_e32 v3, 20, v28
	v_lshl_add_u32 v1, v1, 23, 0x3c000000
	v_and_b32_e32 v2, 0x80000000, v2
	s_delay_alu instid0(VALU_DEP_1)
	v_or3_b32 v28, v3, v2, v1
	scratch_store_b64 off, v[28:29], s32 offset:404 ; 8-byte Folded Spill
.LBB237_150:                            ;   in Loop: Header=BB237_13 Depth=1
	s_or_b32 exec_lo, exec_lo, s25
.LBB237_151:                            ;   in Loop: Header=BB237_13 Depth=1
	s_delay_alu instid0(SALU_CYCLE_1)
	s_or_b32 exec_lo, exec_lo, s24
.LBB237_152:                            ;   in Loop: Header=BB237_13 Depth=1
	s_delay_alu instid0(SALU_CYCLE_1) | instskip(SKIP_2) | instid1(VALU_DEP_1)
	s_or_b32 exec_lo, exec_lo, s18
	v_lshrrev_b16 v1, 8, v0
	s_mov_b32 s24, exec_lo
	v_cmpx_ne_u16_e32 0, v1
	s_cbranch_execz .LBB237_160
; %bb.153:                              ;   in Loop: Header=BB237_13 Depth=1
	v_dual_mov_b32 v44, s17 :: v_dual_mov_b32 v43, s16
	s_mov_b32 s25, exec_lo
	v_cmpx_ne_u16_e32 0x80, v1
	s_cbranch_execz .LBB237_159
; %bb.154:                              ;   in Loop: Header=BB237_13 Depth=1
	s_mov_b32 s18, s16
	v_dual_mov_b32 v44, s19 :: v_dual_and_b32 v1, 0xffff, v1
	v_mov_b32_e32 v43, s18
	s_mov_b32 s18, exec_lo
	s_delay_alu instid0(VALU_DEP_2) | instskip(NEXT) | instid1(VALU_DEP_1)
	v_and_b32_e32 v2, 0x7f, v1
	v_cmpx_ne_u32_e32 0x7f, v2
	s_cbranch_execz .LBB237_158
; %bb.155:                              ;   in Loop: Header=BB237_13 Depth=1
	v_and_b32_e32 v28, 7, v1
	v_lshrrev_b32_e32 v1, 3, v2
	s_mov_b32 s26, exec_lo
	v_cmpx_gt_u32_e32 8, v2
; %bb.156:                              ;   in Loop: Header=BB237_13 Depth=1
	s_delay_alu instid0(VALU_DEP_3) | instskip(NEXT) | instid1(VALU_DEP_1)
	v_clz_i32_u32_e32 v1, v28
	v_min_u32_e32 v1, 32, v1
	s_delay_alu instid0(VALU_DEP_1) | instskip(SKIP_1) | instid1(VALU_DEP_2)
	v_subrev_nc_u32_e32 v2, 28, v1
	v_sub_nc_u32_e32 v1, 29, v1
	v_lshlrev_b64 v[2:3], v2, v[28:29]
	s_delay_alu instid0(VALU_DEP_1)
	v_and_b32_e32 v28, 7, v2
; %bb.157:                              ;   in Loop: Header=BB237_13 Depth=1
	s_or_b32 exec_lo, exec_lo, s26
	v_dual_mov_b32 v43, v29 :: v_dual_lshlrev_b32 v0, 16, v0
	s_delay_alu instid0(VALU_DEP_2) | instskip(SKIP_1) | instid1(VALU_DEP_3)
	v_lshlrev_b32_e32 v2, 20, v28
	v_lshl_add_u32 v1, v1, 23, 0x3c000000
	v_and_b32_e32 v0, 0x80000000, v0
	s_delay_alu instid0(VALU_DEP_1)
	v_or3_b32 v44, v2, v0, v1
.LBB237_158:                            ;   in Loop: Header=BB237_13 Depth=1
	s_or_b32 exec_lo, exec_lo, s18
.LBB237_159:                            ;   in Loop: Header=BB237_13 Depth=1
	s_delay_alu instid0(SALU_CYCLE_1)
	s_or_b32 exec_lo, exec_lo, s25
.LBB237_160:                            ;   in Loop: Header=BB237_13 Depth=1
	s_delay_alu instid0(SALU_CYCLE_1)
	s_or_b32 exec_lo, exec_lo, s24
	flat_load_u16 v0, v[150:151] offset:516
	v_mov_b32_e32 v56, 0
	v_mov_b32_e32 v57, 0
	s_mov_b32 s18, exec_lo
	s_waitcnt vmcnt(0) lgkmcnt(0)
	v_and_b32_e32 v1, 0xff, v0
	v_and_b32_e32 v0, 0xffff, v0
	scratch_store_b64 off, v[56:57], s32 offset:412 ; 8-byte Folded Spill
	v_cmpx_ne_u16_e32 0, v1
	s_cbranch_execz .LBB237_168
; %bb.161:                              ;   in Loop: Header=BB237_13 Depth=1
	v_bfrev_b32_e32 v2, 1
	v_and_b32_e32 v1, 0xff, v0
	v_mov_b32_e32 v3, 0
	s_mov_b32 s24, exec_lo
	scratch_store_b64 off, v[2:3], s32 offset:412 ; 8-byte Folded Spill
	v_cmpx_ne_u16_e32 0x80, v1
	s_cbranch_execz .LBB237_167
; %bb.162:                              ;   in Loop: Header=BB237_13 Depth=1
	v_mov_b32_e32 v3, 0x7f800001
	v_and_b32_e32 v2, 0x7f, v0
	v_mov_b32_e32 v4, 0
	s_mov_b32 s25, exec_lo
	scratch_store_b64 off, v[3:4], s32 offset:412 ; 8-byte Folded Spill
	v_cmpx_ne_u32_e32 0x7f, v2
	s_cbranch_execz .LBB237_166
; %bb.163:                              ;   in Loop: Header=BB237_13 Depth=1
	v_and_b32_e32 v28, 7, v0
	v_lshrrev_b32_e32 v1, 3, v2
	s_mov_b32 s26, exec_lo
	v_cmpx_gt_u32_e32 8, v2
; %bb.164:                              ;   in Loop: Header=BB237_13 Depth=1
	s_delay_alu instid0(VALU_DEP_3) | instskip(NEXT) | instid1(VALU_DEP_1)
	v_clz_i32_u32_e32 v1, v28
	v_min_u32_e32 v1, 32, v1
	s_delay_alu instid0(VALU_DEP_1) | instskip(SKIP_1) | instid1(VALU_DEP_2)
	v_subrev_nc_u32_e32 v2, 28, v1
	v_sub_nc_u32_e32 v1, 29, v1
	v_lshlrev_b64 v[2:3], v2, v[28:29]
	s_delay_alu instid0(VALU_DEP_1)
	v_and_b32_e32 v28, 7, v2
; %bb.165:                              ;   in Loop: Header=BB237_13 Depth=1
	s_or_b32 exec_lo, exec_lo, s26
	v_lshlrev_b32_e32 v2, 24, v0
	s_delay_alu instid0(VALU_DEP_2) | instskip(SKIP_1) | instid1(VALU_DEP_3)
	v_lshlrev_b32_e32 v3, 20, v28
	v_lshl_add_u32 v1, v1, 23, 0x3c000000
	v_and_b32_e32 v2, 0x80000000, v2
	s_delay_alu instid0(VALU_DEP_1)
	v_or3_b32 v28, v3, v2, v1
	scratch_store_b64 off, v[28:29], s32 offset:412 ; 8-byte Folded Spill
.LBB237_166:                            ;   in Loop: Header=BB237_13 Depth=1
	s_or_b32 exec_lo, exec_lo, s25
.LBB237_167:                            ;   in Loop: Header=BB237_13 Depth=1
	s_delay_alu instid0(SALU_CYCLE_1)
	s_or_b32 exec_lo, exec_lo, s24
.LBB237_168:                            ;   in Loop: Header=BB237_13 Depth=1
	s_delay_alu instid0(SALU_CYCLE_1) | instskip(SKIP_2) | instid1(VALU_DEP_1)
	s_or_b32 exec_lo, exec_lo, s18
	v_lshrrev_b16 v1, 8, v0
	s_mov_b32 s24, exec_lo
	v_cmpx_ne_u16_e32 0, v1
	s_cbranch_execz .LBB237_176
; %bb.169:                              ;   in Loop: Header=BB237_13 Depth=1
	v_dual_mov_b32 v57, s17 :: v_dual_mov_b32 v56, s16
	s_mov_b32 s25, exec_lo
	v_cmpx_ne_u16_e32 0x80, v1
	s_cbranch_execz .LBB237_175
; %bb.170:                              ;   in Loop: Header=BB237_13 Depth=1
	s_mov_b32 s18, s16
	v_and_b32_e32 v1, 0xffff, v1
	v_dual_mov_b32 v57, s19 :: v_dual_mov_b32 v56, s18
	s_mov_b32 s18, exec_lo
	s_delay_alu instid0(VALU_DEP_2) | instskip(NEXT) | instid1(VALU_DEP_1)
	v_and_b32_e32 v2, 0x7f, v1
	v_cmpx_ne_u32_e32 0x7f, v2
	s_cbranch_execz .LBB237_174
; %bb.171:                              ;   in Loop: Header=BB237_13 Depth=1
	v_and_b32_e32 v28, 7, v1
	v_lshrrev_b32_e32 v1, 3, v2
	s_mov_b32 s26, exec_lo
	v_cmpx_gt_u32_e32 8, v2
; %bb.172:                              ;   in Loop: Header=BB237_13 Depth=1
	s_delay_alu instid0(VALU_DEP_3) | instskip(NEXT) | instid1(VALU_DEP_1)
	v_clz_i32_u32_e32 v1, v28
	v_min_u32_e32 v1, 32, v1
	s_delay_alu instid0(VALU_DEP_1) | instskip(SKIP_1) | instid1(VALU_DEP_2)
	v_subrev_nc_u32_e32 v2, 28, v1
	v_sub_nc_u32_e32 v1, 29, v1
	v_lshlrev_b64 v[2:3], v2, v[28:29]
	s_delay_alu instid0(VALU_DEP_1)
	v_and_b32_e32 v28, 7, v2
; %bb.173:                              ;   in Loop: Header=BB237_13 Depth=1
	s_or_b32 exec_lo, exec_lo, s26
	v_lshlrev_b32_e32 v0, 16, v0
	s_delay_alu instid0(VALU_DEP_2) | instskip(SKIP_2) | instid1(VALU_DEP_4)
	v_lshlrev_b32_e32 v2, 20, v28
	v_lshl_add_u32 v1, v1, 23, 0x3c000000
	v_mov_b32_e32 v56, v29
	v_and_b32_e32 v0, 0x80000000, v0
	s_delay_alu instid0(VALU_DEP_1)
	v_or3_b32 v57, v2, v0, v1
.LBB237_174:                            ;   in Loop: Header=BB237_13 Depth=1
	s_or_b32 exec_lo, exec_lo, s18
.LBB237_175:                            ;   in Loop: Header=BB237_13 Depth=1
	s_delay_alu instid0(SALU_CYCLE_1)
	s_or_b32 exec_lo, exec_lo, s25
.LBB237_176:                            ;   in Loop: Header=BB237_13 Depth=1
	s_delay_alu instid0(SALU_CYCLE_1) | instskip(SKIP_1) | instid1(VALU_DEP_1)
	s_or_b32 exec_lo, exec_lo, s24
	v_add_co_u32 v0, s2, 0x200, v150
	v_add_co_ci_u32_e64 v1, s2, 0, v151, s2
	s_mov_b32 s18, exec_lo
	flat_load_u16 v2, v[0:1] offset:8
	v_mov_b32_e32 v60, 0
	v_mov_b32_e32 v61, 0
	s_waitcnt vmcnt(0) lgkmcnt(0)
	v_and_b32_e32 v3, 0xff, v2
	v_and_b32_e32 v2, 0xffff, v2
	scratch_store_b64 off, v[60:61], s32 offset:420 ; 8-byte Folded Spill
	v_cmpx_ne_u16_e32 0, v3
	s_cbranch_execz .LBB237_184
; %bb.177:                              ;   in Loop: Header=BB237_13 Depth=1
	v_bfrev_b32_e32 v4, 1
	v_and_b32_e32 v3, 0xff, v2
	v_mov_b32_e32 v5, 0
	s_mov_b32 s24, exec_lo
	scratch_store_b64 off, v[4:5], s32 offset:420 ; 8-byte Folded Spill
	v_cmpx_ne_u16_e32 0x80, v3
	s_cbranch_execz .LBB237_183
; %bb.178:                              ;   in Loop: Header=BB237_13 Depth=1
	v_mov_b32_e32 v5, 0x7f800001
	v_and_b32_e32 v4, 0x7f, v2
	v_mov_b32_e32 v6, 0
	s_mov_b32 s25, exec_lo
	scratch_store_b64 off, v[5:6], s32 offset:420 ; 8-byte Folded Spill
	v_cmpx_ne_u32_e32 0x7f, v4
	s_cbranch_execz .LBB237_182
; %bb.179:                              ;   in Loop: Header=BB237_13 Depth=1
	v_and_b32_e32 v28, 7, v2
	v_lshrrev_b32_e32 v3, 3, v4
	s_mov_b32 s26, exec_lo
	v_cmpx_gt_u32_e32 8, v4
; %bb.180:                              ;   in Loop: Header=BB237_13 Depth=1
	s_delay_alu instid0(VALU_DEP_3) | instskip(NEXT) | instid1(VALU_DEP_1)
	v_clz_i32_u32_e32 v3, v28
	v_min_u32_e32 v3, 32, v3
	s_delay_alu instid0(VALU_DEP_1) | instskip(SKIP_1) | instid1(VALU_DEP_2)
	v_subrev_nc_u32_e32 v4, 28, v3
	v_sub_nc_u32_e32 v3, 29, v3
	v_lshlrev_b64 v[4:5], v4, v[28:29]
	s_delay_alu instid0(VALU_DEP_1)
	v_and_b32_e32 v28, 7, v4
; %bb.181:                              ;   in Loop: Header=BB237_13 Depth=1
	s_or_b32 exec_lo, exec_lo, s26
	v_lshlrev_b32_e32 v4, 24, v2
	s_delay_alu instid0(VALU_DEP_2) | instskip(SKIP_1) | instid1(VALU_DEP_3)
	v_lshlrev_b32_e32 v5, 20, v28
	v_lshl_add_u32 v3, v3, 23, 0x3c000000
	v_and_b32_e32 v4, 0x80000000, v4
	s_delay_alu instid0(VALU_DEP_1)
	v_or3_b32 v28, v5, v4, v3
	scratch_store_b64 off, v[28:29], s32 offset:420 ; 8-byte Folded Spill
.LBB237_182:                            ;   in Loop: Header=BB237_13 Depth=1
	s_or_b32 exec_lo, exec_lo, s25
.LBB237_183:                            ;   in Loop: Header=BB237_13 Depth=1
	s_delay_alu instid0(SALU_CYCLE_1)
	s_or_b32 exec_lo, exec_lo, s24
.LBB237_184:                            ;   in Loop: Header=BB237_13 Depth=1
	s_delay_alu instid0(SALU_CYCLE_1) | instskip(SKIP_2) | instid1(VALU_DEP_1)
	s_or_b32 exec_lo, exec_lo, s18
	v_lshrrev_b16 v3, 8, v2
	s_mov_b32 s24, exec_lo
	v_cmpx_ne_u16_e32 0, v3
	s_cbranch_execz .LBB237_192
; %bb.185:                              ;   in Loop: Header=BB237_13 Depth=1
	v_dual_mov_b32 v61, s17 :: v_dual_mov_b32 v60, s16
	s_mov_b32 s25, exec_lo
	v_cmpx_ne_u16_e32 0x80, v3
	s_cbranch_execz .LBB237_191
; %bb.186:                              ;   in Loop: Header=BB237_13 Depth=1
	s_mov_b32 s18, s16
	v_and_b32_e32 v3, 0xffff, v3
	v_dual_mov_b32 v61, s19 :: v_dual_mov_b32 v60, s18
	s_mov_b32 s18, exec_lo
	s_delay_alu instid0(VALU_DEP_2) | instskip(NEXT) | instid1(VALU_DEP_1)
	v_and_b32_e32 v4, 0x7f, v3
	v_cmpx_ne_u32_e32 0x7f, v4
	s_cbranch_execz .LBB237_190
; %bb.187:                              ;   in Loop: Header=BB237_13 Depth=1
	v_and_b32_e32 v28, 7, v3
	v_lshrrev_b32_e32 v3, 3, v4
	s_mov_b32 s26, exec_lo
	v_cmpx_gt_u32_e32 8, v4
; %bb.188:                              ;   in Loop: Header=BB237_13 Depth=1
	s_delay_alu instid0(VALU_DEP_3) | instskip(NEXT) | instid1(VALU_DEP_1)
	v_clz_i32_u32_e32 v3, v28
	v_min_u32_e32 v3, 32, v3
	s_delay_alu instid0(VALU_DEP_1) | instskip(SKIP_1) | instid1(VALU_DEP_2)
	v_subrev_nc_u32_e32 v4, 28, v3
	v_sub_nc_u32_e32 v3, 29, v3
	v_lshlrev_b64 v[4:5], v4, v[28:29]
	s_delay_alu instid0(VALU_DEP_1)
	v_and_b32_e32 v28, 7, v4
; %bb.189:                              ;   in Loop: Header=BB237_13 Depth=1
	s_or_b32 exec_lo, exec_lo, s26
	v_lshlrev_b32_e32 v2, 16, v2
	s_delay_alu instid0(VALU_DEP_2) | instskip(SKIP_2) | instid1(VALU_DEP_4)
	v_lshlrev_b32_e32 v4, 20, v28
	v_lshl_add_u32 v3, v3, 23, 0x3c000000
	v_mov_b32_e32 v60, v29
	v_and_b32_e32 v2, 0x80000000, v2
	s_delay_alu instid0(VALU_DEP_1)
	v_or3_b32 v61, v4, v2, v3
.LBB237_190:                            ;   in Loop: Header=BB237_13 Depth=1
	s_or_b32 exec_lo, exec_lo, s18
.LBB237_191:                            ;   in Loop: Header=BB237_13 Depth=1
	s_delay_alu instid0(SALU_CYCLE_1)
	s_or_b32 exec_lo, exec_lo, s25
.LBB237_192:                            ;   in Loop: Header=BB237_13 Depth=1
	s_delay_alu instid0(SALU_CYCLE_1)
	s_or_b32 exec_lo, exec_lo, s24
	flat_load_u16 v0, v[0:1] offset:12
	v_mov_b32_e32 v72, 0
	v_mov_b32_e32 v73, 0
	s_mov_b32 s18, exec_lo
	s_waitcnt vmcnt(0) lgkmcnt(0)
	v_and_b32_e32 v1, 0xff, v0
	v_and_b32_e32 v0, 0xffff, v0
	scratch_store_b64 off, v[72:73], s32 offset:428 ; 8-byte Folded Spill
	v_cmpx_ne_u16_e32 0, v1
	s_cbranch_execz .LBB237_200
; %bb.193:                              ;   in Loop: Header=BB237_13 Depth=1
	v_bfrev_b32_e32 v2, 1
	v_and_b32_e32 v1, 0xff, v0
	v_mov_b32_e32 v3, 0
	s_mov_b32 s24, exec_lo
	scratch_store_b64 off, v[2:3], s32 offset:428 ; 8-byte Folded Spill
	v_cmpx_ne_u16_e32 0x80, v1
	s_cbranch_execz .LBB237_199
; %bb.194:                              ;   in Loop: Header=BB237_13 Depth=1
	v_mov_b32_e32 v3, 0x7f800001
	v_and_b32_e32 v2, 0x7f, v0
	v_mov_b32_e32 v4, 0
	s_mov_b32 s25, exec_lo
	scratch_store_b64 off, v[3:4], s32 offset:428 ; 8-byte Folded Spill
	v_cmpx_ne_u32_e32 0x7f, v2
	s_cbranch_execz .LBB237_198
; %bb.195:                              ;   in Loop: Header=BB237_13 Depth=1
	v_and_b32_e32 v28, 7, v0
	v_lshrrev_b32_e32 v1, 3, v2
	s_mov_b32 s26, exec_lo
	v_cmpx_gt_u32_e32 8, v2
; %bb.196:                              ;   in Loop: Header=BB237_13 Depth=1
	s_delay_alu instid0(VALU_DEP_3) | instskip(NEXT) | instid1(VALU_DEP_1)
	v_clz_i32_u32_e32 v1, v28
	v_min_u32_e32 v1, 32, v1
	s_delay_alu instid0(VALU_DEP_1) | instskip(SKIP_1) | instid1(VALU_DEP_2)
	v_subrev_nc_u32_e32 v2, 28, v1
	v_sub_nc_u32_e32 v1, 29, v1
	v_lshlrev_b64 v[2:3], v2, v[28:29]
	s_delay_alu instid0(VALU_DEP_1)
	v_and_b32_e32 v28, 7, v2
; %bb.197:                              ;   in Loop: Header=BB237_13 Depth=1
	s_or_b32 exec_lo, exec_lo, s26
	v_lshlrev_b32_e32 v2, 24, v0
	s_delay_alu instid0(VALU_DEP_2) | instskip(SKIP_1) | instid1(VALU_DEP_3)
	v_lshlrev_b32_e32 v3, 20, v28
	v_lshl_add_u32 v1, v1, 23, 0x3c000000
	v_and_b32_e32 v2, 0x80000000, v2
	s_delay_alu instid0(VALU_DEP_1)
	v_or3_b32 v28, v3, v2, v1
	scratch_store_b64 off, v[28:29], s32 offset:428 ; 8-byte Folded Spill
.LBB237_198:                            ;   in Loop: Header=BB237_13 Depth=1
	s_or_b32 exec_lo, exec_lo, s25
.LBB237_199:                            ;   in Loop: Header=BB237_13 Depth=1
	s_delay_alu instid0(SALU_CYCLE_1)
	s_or_b32 exec_lo, exec_lo, s24
.LBB237_200:                            ;   in Loop: Header=BB237_13 Depth=1
	s_delay_alu instid0(SALU_CYCLE_1) | instskip(SKIP_2) | instid1(VALU_DEP_1)
	s_or_b32 exec_lo, exec_lo, s18
	v_lshrrev_b16 v1, 8, v0
	s_mov_b32 s24, exec_lo
	v_cmpx_ne_u16_e32 0, v1
	s_cbranch_execz .LBB237_208
; %bb.201:                              ;   in Loop: Header=BB237_13 Depth=1
	v_dual_mov_b32 v73, s17 :: v_dual_mov_b32 v72, s16
	s_mov_b32 s25, exec_lo
	v_cmpx_ne_u16_e32 0x80, v1
	s_cbranch_execz .LBB237_207
; %bb.202:                              ;   in Loop: Header=BB237_13 Depth=1
	s_mov_b32 s18, s16
	v_and_b32_e32 v1, 0xffff, v1
	v_dual_mov_b32 v73, s19 :: v_dual_mov_b32 v72, s18
	s_mov_b32 s18, exec_lo
	s_delay_alu instid0(VALU_DEP_2) | instskip(NEXT) | instid1(VALU_DEP_1)
	v_and_b32_e32 v2, 0x7f, v1
	v_cmpx_ne_u32_e32 0x7f, v2
	s_cbranch_execz .LBB237_206
; %bb.203:                              ;   in Loop: Header=BB237_13 Depth=1
	v_and_b32_e32 v28, 7, v1
	v_lshrrev_b32_e32 v1, 3, v2
	s_mov_b32 s26, exec_lo
	v_cmpx_gt_u32_e32 8, v2
; %bb.204:                              ;   in Loop: Header=BB237_13 Depth=1
	s_delay_alu instid0(VALU_DEP_3) | instskip(NEXT) | instid1(VALU_DEP_1)
	v_clz_i32_u32_e32 v1, v28
	v_min_u32_e32 v1, 32, v1
	s_delay_alu instid0(VALU_DEP_1) | instskip(SKIP_1) | instid1(VALU_DEP_2)
	v_subrev_nc_u32_e32 v2, 28, v1
	v_sub_nc_u32_e32 v1, 29, v1
	v_lshlrev_b64 v[2:3], v2, v[28:29]
	s_delay_alu instid0(VALU_DEP_1)
	v_and_b32_e32 v28, 7, v2
; %bb.205:                              ;   in Loop: Header=BB237_13 Depth=1
	s_or_b32 exec_lo, exec_lo, s26
	v_lshlrev_b32_e32 v0, 16, v0
	s_delay_alu instid0(VALU_DEP_2) | instskip(SKIP_2) | instid1(VALU_DEP_4)
	v_lshlrev_b32_e32 v2, 20, v28
	v_lshl_add_u32 v1, v1, 23, 0x3c000000
	v_mov_b32_e32 v72, v29
	v_and_b32_e32 v0, 0x80000000, v0
	s_delay_alu instid0(VALU_DEP_1)
	v_or3_b32 v73, v2, v0, v1
.LBB237_206:                            ;   in Loop: Header=BB237_13 Depth=1
	s_or_b32 exec_lo, exec_lo, s18
.LBB237_207:                            ;   in Loop: Header=BB237_13 Depth=1
	s_delay_alu instid0(SALU_CYCLE_1)
	s_or_b32 exec_lo, exec_lo, s25
.LBB237_208:                            ;   in Loop: Header=BB237_13 Depth=1
	s_delay_alu instid0(SALU_CYCLE_1)
	s_or_b32 exec_lo, exec_lo, s24
	flat_load_u16 v0, v[150:151] offset:768
	v_mov_b32_e32 v76, 0
	v_mov_b32_e32 v77, 0
	s_mov_b32 s18, exec_lo
	s_waitcnt vmcnt(0) lgkmcnt(0)
	v_and_b32_e32 v1, 0xff, v0
	s_delay_alu instid0(VALU_DEP_2) | instskip(SKIP_1) | instid1(VALU_DEP_3)
	v_dual_mov_b32 v79, v77 :: v_dual_and_b32 v0, 0xffff, v0
	v_mov_b32_e32 v78, v76
	v_cmpx_ne_u16_e32 0, v1
	s_cbranch_execz .LBB237_216
; %bb.209:                              ;   in Loop: Header=BB237_13 Depth=1
	v_bfrev_b32_e32 v78, 1
	v_and_b32_e32 v1, 0xff, v0
	v_mov_b32_e32 v79, 0
	s_mov_b32 s24, exec_lo
	s_delay_alu instid0(VALU_DEP_2)
	v_cmpx_ne_u16_e32 0x80, v1
	s_cbranch_execz .LBB237_215
; %bb.210:                              ;   in Loop: Header=BB237_13 Depth=1
	v_mov_b32_e32 v78, 0x7f800001
	v_dual_mov_b32 v79, 0 :: v_dual_and_b32 v2, 0x7f, v0
	s_mov_b32 s25, exec_lo
	s_delay_alu instid0(VALU_DEP_1)
	v_cmpx_ne_u32_e32 0x7f, v2
	s_cbranch_execz .LBB237_214
; %bb.211:                              ;   in Loop: Header=BB237_13 Depth=1
	v_and_b32_e32 v28, 7, v0
	v_lshrrev_b32_e32 v1, 3, v2
	s_mov_b32 s26, exec_lo
	v_cmpx_gt_u32_e32 8, v2
; %bb.212:                              ;   in Loop: Header=BB237_13 Depth=1
	s_delay_alu instid0(VALU_DEP_3) | instskip(NEXT) | instid1(VALU_DEP_1)
	v_clz_i32_u32_e32 v1, v28
	v_min_u32_e32 v1, 32, v1
	s_delay_alu instid0(VALU_DEP_1) | instskip(SKIP_1) | instid1(VALU_DEP_2)
	v_subrev_nc_u32_e32 v2, 28, v1
	v_sub_nc_u32_e32 v1, 29, v1
	v_lshlrev_b64 v[2:3], v2, v[28:29]
	s_delay_alu instid0(VALU_DEP_1)
	v_and_b32_e32 v28, 7, v2
; %bb.213:                              ;   in Loop: Header=BB237_13 Depth=1
	s_or_b32 exec_lo, exec_lo, s26
	v_lshlrev_b32_e32 v2, 24, v0
	s_delay_alu instid0(VALU_DEP_2) | instskip(SKIP_1) | instid1(VALU_DEP_3)
	v_lshlrev_b32_e32 v3, 20, v28
	v_lshl_add_u32 v1, v1, 23, 0x3c000000
	v_and_b32_e32 v2, 0x80000000, v2
	s_delay_alu instid0(VALU_DEP_1) | instskip(NEXT) | instid1(VALU_DEP_1)
	v_or3_b32 v28, v3, v2, v1
	v_dual_mov_b32 v79, v29 :: v_dual_mov_b32 v78, v28
.LBB237_214:                            ;   in Loop: Header=BB237_13 Depth=1
	s_or_b32 exec_lo, exec_lo, s25
.LBB237_215:                            ;   in Loop: Header=BB237_13 Depth=1
	s_delay_alu instid0(SALU_CYCLE_1)
	s_or_b32 exec_lo, exec_lo, s24
.LBB237_216:                            ;   in Loop: Header=BB237_13 Depth=1
	s_delay_alu instid0(SALU_CYCLE_1) | instskip(SKIP_2) | instid1(VALU_DEP_1)
	s_or_b32 exec_lo, exec_lo, s18
	v_lshrrev_b16 v1, 8, v0
	s_mov_b32 s24, exec_lo
	v_cmpx_ne_u16_e32 0, v1
	s_cbranch_execz .LBB237_224
; %bb.217:                              ;   in Loop: Header=BB237_13 Depth=1
	v_dual_mov_b32 v77, s17 :: v_dual_mov_b32 v76, s16
	s_mov_b32 s25, exec_lo
	v_cmpx_ne_u16_e32 0x80, v1
	s_cbranch_execz .LBB237_223
; %bb.218:                              ;   in Loop: Header=BB237_13 Depth=1
	s_mov_b32 s18, s16
	v_and_b32_e32 v1, 0xffff, v1
	v_dual_mov_b32 v77, s19 :: v_dual_mov_b32 v76, s18
	s_mov_b32 s18, exec_lo
	s_delay_alu instid0(VALU_DEP_2) | instskip(NEXT) | instid1(VALU_DEP_1)
	v_and_b32_e32 v2, 0x7f, v1
	v_cmpx_ne_u32_e32 0x7f, v2
	s_cbranch_execz .LBB237_222
; %bb.219:                              ;   in Loop: Header=BB237_13 Depth=1
	v_and_b32_e32 v28, 7, v1
	v_lshrrev_b32_e32 v1, 3, v2
	s_mov_b32 s26, exec_lo
	v_cmpx_gt_u32_e32 8, v2
; %bb.220:                              ;   in Loop: Header=BB237_13 Depth=1
	s_delay_alu instid0(VALU_DEP_3) | instskip(NEXT) | instid1(VALU_DEP_1)
	v_clz_i32_u32_e32 v1, v28
	v_min_u32_e32 v1, 32, v1
	s_delay_alu instid0(VALU_DEP_1) | instskip(SKIP_1) | instid1(VALU_DEP_2)
	v_subrev_nc_u32_e32 v2, 28, v1
	v_sub_nc_u32_e32 v1, 29, v1
	v_lshlrev_b64 v[2:3], v2, v[28:29]
	s_delay_alu instid0(VALU_DEP_1)
	v_and_b32_e32 v28, 7, v2
; %bb.221:                              ;   in Loop: Header=BB237_13 Depth=1
	s_or_b32 exec_lo, exec_lo, s26
	v_lshlrev_b32_e32 v0, 16, v0
	s_delay_alu instid0(VALU_DEP_2) | instskip(SKIP_2) | instid1(VALU_DEP_4)
	v_lshlrev_b32_e32 v2, 20, v28
	v_lshl_add_u32 v1, v1, 23, 0x3c000000
	v_mov_b32_e32 v76, v29
	v_and_b32_e32 v0, 0x80000000, v0
	s_delay_alu instid0(VALU_DEP_1)
	v_or3_b32 v77, v2, v0, v1
.LBB237_222:                            ;   in Loop: Header=BB237_13 Depth=1
	s_or_b32 exec_lo, exec_lo, s18
.LBB237_223:                            ;   in Loop: Header=BB237_13 Depth=1
	s_delay_alu instid0(SALU_CYCLE_1)
	s_or_b32 exec_lo, exec_lo, s25
.LBB237_224:                            ;   in Loop: Header=BB237_13 Depth=1
	s_delay_alu instid0(SALU_CYCLE_1)
	s_or_b32 exec_lo, exec_lo, s24
	flat_load_u16 v0, v[150:151] offset:772
	v_mov_b32_e32 v88, 0
	v_mov_b32_e32 v89, 0
	s_mov_b32 s18, exec_lo
	s_waitcnt vmcnt(0) lgkmcnt(0)
	v_and_b32_e32 v1, 0xff, v0
	s_delay_alu instid0(VALU_DEP_2) | instskip(SKIP_1) | instid1(VALU_DEP_3)
	v_dual_mov_b32 v91, v89 :: v_dual_and_b32 v0, 0xffff, v0
	v_mov_b32_e32 v90, v88
	v_cmpx_ne_u16_e32 0, v1
	s_cbranch_execz .LBB237_232
; %bb.225:                              ;   in Loop: Header=BB237_13 Depth=1
	v_bfrev_b32_e32 v90, 1
	v_and_b32_e32 v1, 0xff, v0
	v_mov_b32_e32 v91, 0
	s_mov_b32 s24, exec_lo
	s_delay_alu instid0(VALU_DEP_2)
	v_cmpx_ne_u16_e32 0x80, v1
	s_cbranch_execz .LBB237_231
; %bb.226:                              ;   in Loop: Header=BB237_13 Depth=1
	v_mov_b32_e32 v90, 0x7f800001
	v_dual_mov_b32 v91, 0 :: v_dual_and_b32 v2, 0x7f, v0
	s_mov_b32 s25, exec_lo
	s_delay_alu instid0(VALU_DEP_1)
	v_cmpx_ne_u32_e32 0x7f, v2
	s_cbranch_execz .LBB237_230
; %bb.227:                              ;   in Loop: Header=BB237_13 Depth=1
	v_and_b32_e32 v28, 7, v0
	v_lshrrev_b32_e32 v1, 3, v2
	s_mov_b32 s26, exec_lo
	v_cmpx_gt_u32_e32 8, v2
; %bb.228:                              ;   in Loop: Header=BB237_13 Depth=1
	s_delay_alu instid0(VALU_DEP_3) | instskip(NEXT) | instid1(VALU_DEP_1)
	v_clz_i32_u32_e32 v1, v28
	v_min_u32_e32 v1, 32, v1
	s_delay_alu instid0(VALU_DEP_1) | instskip(SKIP_1) | instid1(VALU_DEP_2)
	v_subrev_nc_u32_e32 v2, 28, v1
	v_sub_nc_u32_e32 v1, 29, v1
	v_lshlrev_b64 v[2:3], v2, v[28:29]
	s_delay_alu instid0(VALU_DEP_1)
	v_and_b32_e32 v28, 7, v2
; %bb.229:                              ;   in Loop: Header=BB237_13 Depth=1
	s_or_b32 exec_lo, exec_lo, s26
	v_lshlrev_b32_e32 v2, 24, v0
	s_delay_alu instid0(VALU_DEP_2) | instskip(SKIP_1) | instid1(VALU_DEP_3)
	v_lshlrev_b32_e32 v3, 20, v28
	v_lshl_add_u32 v1, v1, 23, 0x3c000000
	v_and_b32_e32 v2, 0x80000000, v2
	s_delay_alu instid0(VALU_DEP_1) | instskip(NEXT) | instid1(VALU_DEP_1)
	v_or3_b32 v28, v3, v2, v1
	v_dual_mov_b32 v91, v29 :: v_dual_mov_b32 v90, v28
.LBB237_230:                            ;   in Loop: Header=BB237_13 Depth=1
	s_or_b32 exec_lo, exec_lo, s25
.LBB237_231:                            ;   in Loop: Header=BB237_13 Depth=1
	s_delay_alu instid0(SALU_CYCLE_1)
	s_or_b32 exec_lo, exec_lo, s24
.LBB237_232:                            ;   in Loop: Header=BB237_13 Depth=1
	s_delay_alu instid0(SALU_CYCLE_1) | instskip(SKIP_2) | instid1(VALU_DEP_1)
	s_or_b32 exec_lo, exec_lo, s18
	v_lshrrev_b16 v1, 8, v0
	s_mov_b32 s24, exec_lo
	v_cmpx_ne_u16_e32 0, v1
	s_cbranch_execz .LBB237_240
; %bb.233:                              ;   in Loop: Header=BB237_13 Depth=1
	v_dual_mov_b32 v89, s17 :: v_dual_mov_b32 v88, s16
	s_mov_b32 s25, exec_lo
	v_cmpx_ne_u16_e32 0x80, v1
	s_cbranch_execz .LBB237_239
; %bb.234:                              ;   in Loop: Header=BB237_13 Depth=1
	s_mov_b32 s18, s16
	v_and_b32_e32 v1, 0xffff, v1
	v_dual_mov_b32 v89, s19 :: v_dual_mov_b32 v88, s18
	s_mov_b32 s18, exec_lo
	s_delay_alu instid0(VALU_DEP_2) | instskip(NEXT) | instid1(VALU_DEP_1)
	v_and_b32_e32 v2, 0x7f, v1
	v_cmpx_ne_u32_e32 0x7f, v2
	s_cbranch_execz .LBB237_238
; %bb.235:                              ;   in Loop: Header=BB237_13 Depth=1
	v_and_b32_e32 v28, 7, v1
	v_lshrrev_b32_e32 v1, 3, v2
	s_mov_b32 s26, exec_lo
	v_cmpx_gt_u32_e32 8, v2
; %bb.236:                              ;   in Loop: Header=BB237_13 Depth=1
	s_delay_alu instid0(VALU_DEP_3) | instskip(NEXT) | instid1(VALU_DEP_1)
	v_clz_i32_u32_e32 v1, v28
	v_min_u32_e32 v1, 32, v1
	s_delay_alu instid0(VALU_DEP_1) | instskip(SKIP_1) | instid1(VALU_DEP_2)
	v_subrev_nc_u32_e32 v2, 28, v1
	v_sub_nc_u32_e32 v1, 29, v1
	v_lshlrev_b64 v[2:3], v2, v[28:29]
	s_delay_alu instid0(VALU_DEP_1)
	v_and_b32_e32 v28, 7, v2
; %bb.237:                              ;   in Loop: Header=BB237_13 Depth=1
	s_or_b32 exec_lo, exec_lo, s26
	v_lshlrev_b32_e32 v0, 16, v0
	s_delay_alu instid0(VALU_DEP_2) | instskip(SKIP_2) | instid1(VALU_DEP_4)
	v_lshlrev_b32_e32 v2, 20, v28
	v_lshl_add_u32 v1, v1, 23, 0x3c000000
	v_mov_b32_e32 v88, v29
	v_and_b32_e32 v0, 0x80000000, v0
	s_delay_alu instid0(VALU_DEP_1)
	v_or3_b32 v89, v2, v0, v1
.LBB237_238:                            ;   in Loop: Header=BB237_13 Depth=1
	s_or_b32 exec_lo, exec_lo, s18
.LBB237_239:                            ;   in Loop: Header=BB237_13 Depth=1
	s_delay_alu instid0(SALU_CYCLE_1)
	s_or_b32 exec_lo, exec_lo, s25
.LBB237_240:                            ;   in Loop: Header=BB237_13 Depth=1
	s_delay_alu instid0(SALU_CYCLE_1) | instskip(SKIP_1) | instid1(VALU_DEP_1)
	s_or_b32 exec_lo, exec_lo, s24
	v_add_co_u32 v0, s2, 0x300, v150
	v_add_co_ci_u32_e64 v1, s2, 0, v151, s2
	s_mov_b32 s18, exec_lo
	flat_load_u16 v2, v[0:1] offset:8
	v_mov_b32_e32 v92, 0
	v_mov_b32_e32 v93, 0
	s_waitcnt vmcnt(0) lgkmcnt(0)
	v_and_b32_e32 v3, 0xff, v2
	s_delay_alu instid0(VALU_DEP_2) | instskip(SKIP_1) | instid1(VALU_DEP_3)
	v_dual_mov_b32 v95, v93 :: v_dual_and_b32 v2, 0xffff, v2
	v_mov_b32_e32 v94, v92
	v_cmpx_ne_u16_e32 0, v3
	s_cbranch_execz .LBB237_248
; %bb.241:                              ;   in Loop: Header=BB237_13 Depth=1
	v_bfrev_b32_e32 v94, 1
	v_and_b32_e32 v3, 0xff, v2
	v_mov_b32_e32 v95, 0
	s_mov_b32 s24, exec_lo
	s_delay_alu instid0(VALU_DEP_2)
	v_cmpx_ne_u16_e32 0x80, v3
	s_cbranch_execz .LBB237_247
; %bb.242:                              ;   in Loop: Header=BB237_13 Depth=1
	v_mov_b32_e32 v94, 0x7f800001
	v_dual_mov_b32 v95, 0 :: v_dual_and_b32 v4, 0x7f, v2
	s_mov_b32 s25, exec_lo
	s_delay_alu instid0(VALU_DEP_1)
	v_cmpx_ne_u32_e32 0x7f, v4
	s_cbranch_execz .LBB237_246
; %bb.243:                              ;   in Loop: Header=BB237_13 Depth=1
	v_and_b32_e32 v28, 7, v2
	v_lshrrev_b32_e32 v3, 3, v4
	s_mov_b32 s26, exec_lo
	v_cmpx_gt_u32_e32 8, v4
; %bb.244:                              ;   in Loop: Header=BB237_13 Depth=1
	s_delay_alu instid0(VALU_DEP_3) | instskip(NEXT) | instid1(VALU_DEP_1)
	v_clz_i32_u32_e32 v3, v28
	v_min_u32_e32 v3, 32, v3
	s_delay_alu instid0(VALU_DEP_1) | instskip(SKIP_1) | instid1(VALU_DEP_2)
	v_subrev_nc_u32_e32 v4, 28, v3
	v_sub_nc_u32_e32 v3, 29, v3
	v_lshlrev_b64 v[4:5], v4, v[28:29]
	s_delay_alu instid0(VALU_DEP_1)
	v_and_b32_e32 v28, 7, v4
; %bb.245:                              ;   in Loop: Header=BB237_13 Depth=1
	s_or_b32 exec_lo, exec_lo, s26
	v_lshlrev_b32_e32 v4, 24, v2
	s_delay_alu instid0(VALU_DEP_2) | instskip(SKIP_1) | instid1(VALU_DEP_3)
	v_lshlrev_b32_e32 v5, 20, v28
	v_lshl_add_u32 v3, v3, 23, 0x3c000000
	v_and_b32_e32 v4, 0x80000000, v4
	s_delay_alu instid0(VALU_DEP_1) | instskip(NEXT) | instid1(VALU_DEP_1)
	v_or3_b32 v28, v5, v4, v3
	v_dual_mov_b32 v95, v29 :: v_dual_mov_b32 v94, v28
.LBB237_246:                            ;   in Loop: Header=BB237_13 Depth=1
	s_or_b32 exec_lo, exec_lo, s25
.LBB237_247:                            ;   in Loop: Header=BB237_13 Depth=1
	s_delay_alu instid0(SALU_CYCLE_1)
	s_or_b32 exec_lo, exec_lo, s24
.LBB237_248:                            ;   in Loop: Header=BB237_13 Depth=1
	s_delay_alu instid0(SALU_CYCLE_1) | instskip(SKIP_2) | instid1(VALU_DEP_1)
	s_or_b32 exec_lo, exec_lo, s18
	v_lshrrev_b16 v3, 8, v2
	s_mov_b32 s24, exec_lo
	v_cmpx_ne_u16_e32 0, v3
	s_cbranch_execz .LBB237_256
; %bb.249:                              ;   in Loop: Header=BB237_13 Depth=1
	v_dual_mov_b32 v93, s17 :: v_dual_mov_b32 v92, s16
	s_mov_b32 s25, exec_lo
	v_cmpx_ne_u16_e32 0x80, v3
	s_cbranch_execz .LBB237_255
; %bb.250:                              ;   in Loop: Header=BB237_13 Depth=1
	s_mov_b32 s18, s16
	v_and_b32_e32 v3, 0xffff, v3
	v_dual_mov_b32 v93, s19 :: v_dual_mov_b32 v92, s18
	s_mov_b32 s18, exec_lo
	s_delay_alu instid0(VALU_DEP_2) | instskip(NEXT) | instid1(VALU_DEP_1)
	v_and_b32_e32 v4, 0x7f, v3
	v_cmpx_ne_u32_e32 0x7f, v4
	s_cbranch_execz .LBB237_254
; %bb.251:                              ;   in Loop: Header=BB237_13 Depth=1
	v_and_b32_e32 v28, 7, v3
	v_lshrrev_b32_e32 v3, 3, v4
	s_mov_b32 s26, exec_lo
	v_cmpx_gt_u32_e32 8, v4
; %bb.252:                              ;   in Loop: Header=BB237_13 Depth=1
	s_delay_alu instid0(VALU_DEP_3) | instskip(NEXT) | instid1(VALU_DEP_1)
	v_clz_i32_u32_e32 v3, v28
	v_min_u32_e32 v3, 32, v3
	s_delay_alu instid0(VALU_DEP_1) | instskip(SKIP_1) | instid1(VALU_DEP_2)
	v_subrev_nc_u32_e32 v4, 28, v3
	v_sub_nc_u32_e32 v3, 29, v3
	v_lshlrev_b64 v[4:5], v4, v[28:29]
	s_delay_alu instid0(VALU_DEP_1)
	v_and_b32_e32 v28, 7, v4
; %bb.253:                              ;   in Loop: Header=BB237_13 Depth=1
	s_or_b32 exec_lo, exec_lo, s26
	v_lshlrev_b32_e32 v2, 16, v2
	s_delay_alu instid0(VALU_DEP_2) | instskip(SKIP_2) | instid1(VALU_DEP_4)
	v_lshlrev_b32_e32 v4, 20, v28
	v_lshl_add_u32 v3, v3, 23, 0x3c000000
	v_mov_b32_e32 v92, v29
	v_and_b32_e32 v2, 0x80000000, v2
	s_delay_alu instid0(VALU_DEP_1)
	v_or3_b32 v93, v4, v2, v3
.LBB237_254:                            ;   in Loop: Header=BB237_13 Depth=1
	s_or_b32 exec_lo, exec_lo, s18
.LBB237_255:                            ;   in Loop: Header=BB237_13 Depth=1
	s_delay_alu instid0(SALU_CYCLE_1)
	s_or_b32 exec_lo, exec_lo, s25
.LBB237_256:                            ;   in Loop: Header=BB237_13 Depth=1
	s_delay_alu instid0(SALU_CYCLE_1)
	s_or_b32 exec_lo, exec_lo, s24
	flat_load_u16 v0, v[0:1] offset:12
	v_mov_b32_e32 v104, 0
	v_mov_b32_e32 v105, 0
	s_mov_b32 s18, exec_lo
	s_waitcnt vmcnt(0) lgkmcnt(0)
	v_and_b32_e32 v1, 0xff, v0
	s_delay_alu instid0(VALU_DEP_2) | instskip(SKIP_1) | instid1(VALU_DEP_3)
	v_dual_mov_b32 v107, v105 :: v_dual_and_b32 v0, 0xffff, v0
	v_mov_b32_e32 v106, v104
	v_cmpx_ne_u16_e32 0, v1
	s_cbranch_execz .LBB237_264
; %bb.257:                              ;   in Loop: Header=BB237_13 Depth=1
	v_bfrev_b32_e32 v106, 1
	v_and_b32_e32 v1, 0xff, v0
	v_mov_b32_e32 v107, 0
	s_mov_b32 s24, exec_lo
	s_delay_alu instid0(VALU_DEP_2)
	v_cmpx_ne_u16_e32 0x80, v1
	s_cbranch_execz .LBB237_263
; %bb.258:                              ;   in Loop: Header=BB237_13 Depth=1
	v_mov_b32_e32 v106, 0x7f800001
	v_dual_mov_b32 v107, 0 :: v_dual_and_b32 v2, 0x7f, v0
	s_mov_b32 s25, exec_lo
	s_delay_alu instid0(VALU_DEP_1)
	v_cmpx_ne_u32_e32 0x7f, v2
	s_cbranch_execz .LBB237_262
; %bb.259:                              ;   in Loop: Header=BB237_13 Depth=1
	v_and_b32_e32 v28, 7, v0
	v_lshrrev_b32_e32 v1, 3, v2
	s_mov_b32 s26, exec_lo
	v_cmpx_gt_u32_e32 8, v2
; %bb.260:                              ;   in Loop: Header=BB237_13 Depth=1
	s_delay_alu instid0(VALU_DEP_3) | instskip(NEXT) | instid1(VALU_DEP_1)
	v_clz_i32_u32_e32 v1, v28
	v_min_u32_e32 v1, 32, v1
	s_delay_alu instid0(VALU_DEP_1) | instskip(SKIP_1) | instid1(VALU_DEP_2)
	v_subrev_nc_u32_e32 v2, 28, v1
	v_sub_nc_u32_e32 v1, 29, v1
	v_lshlrev_b64 v[2:3], v2, v[28:29]
	s_delay_alu instid0(VALU_DEP_1)
	v_and_b32_e32 v28, 7, v2
; %bb.261:                              ;   in Loop: Header=BB237_13 Depth=1
	s_or_b32 exec_lo, exec_lo, s26
	v_lshlrev_b32_e32 v2, 24, v0
	s_delay_alu instid0(VALU_DEP_2) | instskip(SKIP_1) | instid1(VALU_DEP_3)
	v_lshlrev_b32_e32 v3, 20, v28
	v_lshl_add_u32 v1, v1, 23, 0x3c000000
	v_and_b32_e32 v2, 0x80000000, v2
	s_delay_alu instid0(VALU_DEP_1) | instskip(NEXT) | instid1(VALU_DEP_1)
	v_or3_b32 v28, v3, v2, v1
	v_dual_mov_b32 v107, v29 :: v_dual_mov_b32 v106, v28
.LBB237_262:                            ;   in Loop: Header=BB237_13 Depth=1
	s_or_b32 exec_lo, exec_lo, s25
.LBB237_263:                            ;   in Loop: Header=BB237_13 Depth=1
	s_delay_alu instid0(SALU_CYCLE_1)
	s_or_b32 exec_lo, exec_lo, s24
.LBB237_264:                            ;   in Loop: Header=BB237_13 Depth=1
	s_delay_alu instid0(SALU_CYCLE_1) | instskip(SKIP_2) | instid1(VALU_DEP_1)
	s_or_b32 exec_lo, exec_lo, s18
	v_lshrrev_b16 v1, 8, v0
	s_mov_b32 s24, exec_lo
	v_cmpx_ne_u16_e32 0, v1
	s_cbranch_execz .LBB237_272
; %bb.265:                              ;   in Loop: Header=BB237_13 Depth=1
	v_dual_mov_b32 v105, s17 :: v_dual_mov_b32 v104, s16
	s_mov_b32 s25, exec_lo
	v_cmpx_ne_u16_e32 0x80, v1
	s_cbranch_execz .LBB237_271
; %bb.266:                              ;   in Loop: Header=BB237_13 Depth=1
	s_mov_b32 s18, s16
	v_and_b32_e32 v1, 0xffff, v1
	v_dual_mov_b32 v105, s19 :: v_dual_mov_b32 v104, s18
	s_mov_b32 s18, exec_lo
	s_delay_alu instid0(VALU_DEP_2) | instskip(NEXT) | instid1(VALU_DEP_1)
	v_and_b32_e32 v2, 0x7f, v1
	v_cmpx_ne_u32_e32 0x7f, v2
	s_cbranch_execz .LBB237_270
; %bb.267:                              ;   in Loop: Header=BB237_13 Depth=1
	v_and_b32_e32 v28, 7, v1
	v_lshrrev_b32_e32 v1, 3, v2
	s_mov_b32 s26, exec_lo
	v_cmpx_gt_u32_e32 8, v2
; %bb.268:                              ;   in Loop: Header=BB237_13 Depth=1
	s_delay_alu instid0(VALU_DEP_3) | instskip(NEXT) | instid1(VALU_DEP_1)
	v_clz_i32_u32_e32 v1, v28
	v_min_u32_e32 v1, 32, v1
	s_delay_alu instid0(VALU_DEP_1) | instskip(SKIP_1) | instid1(VALU_DEP_2)
	v_subrev_nc_u32_e32 v2, 28, v1
	v_sub_nc_u32_e32 v1, 29, v1
	v_lshlrev_b64 v[2:3], v2, v[28:29]
	s_delay_alu instid0(VALU_DEP_1)
	v_and_b32_e32 v28, 7, v2
; %bb.269:                              ;   in Loop: Header=BB237_13 Depth=1
	s_or_b32 exec_lo, exec_lo, s26
	v_lshlrev_b32_e32 v0, 16, v0
	s_delay_alu instid0(VALU_DEP_2) | instskip(SKIP_2) | instid1(VALU_DEP_4)
	v_lshlrev_b32_e32 v2, 20, v28
	v_lshl_add_u32 v1, v1, 23, 0x3c000000
	v_mov_b32_e32 v104, v29
	v_and_b32_e32 v0, 0x80000000, v0
	s_delay_alu instid0(VALU_DEP_1)
	v_or3_b32 v105, v2, v0, v1
.LBB237_270:                            ;   in Loop: Header=BB237_13 Depth=1
	s_or_b32 exec_lo, exec_lo, s18
.LBB237_271:                            ;   in Loop: Header=BB237_13 Depth=1
	s_delay_alu instid0(SALU_CYCLE_1)
	s_or_b32 exec_lo, exec_lo, s25
.LBB237_272:                            ;   in Loop: Header=BB237_13 Depth=1
	s_delay_alu instid0(SALU_CYCLE_1)
	s_or_b32 exec_lo, exec_lo, s24
	flat_load_u16 v0, v[150:151] offset:1024
	v_mov_b32_e32 v108, 0
	v_mov_b32_e32 v109, 0
	s_mov_b32 s18, exec_lo
	s_waitcnt vmcnt(0) lgkmcnt(0)
	v_and_b32_e32 v1, 0xff, v0
	s_delay_alu instid0(VALU_DEP_2) | instskip(SKIP_1) | instid1(VALU_DEP_3)
	v_dual_mov_b32 v111, v109 :: v_dual_and_b32 v0, 0xffff, v0
	v_mov_b32_e32 v110, v108
	v_cmpx_ne_u16_e32 0, v1
	s_cbranch_execz .LBB237_280
; %bb.273:                              ;   in Loop: Header=BB237_13 Depth=1
	v_bfrev_b32_e32 v110, 1
	v_and_b32_e32 v1, 0xff, v0
	v_mov_b32_e32 v111, 0
	s_mov_b32 s24, exec_lo
	s_delay_alu instid0(VALU_DEP_2)
	v_cmpx_ne_u16_e32 0x80, v1
	s_cbranch_execz .LBB237_279
; %bb.274:                              ;   in Loop: Header=BB237_13 Depth=1
	v_mov_b32_e32 v110, 0x7f800001
	v_dual_mov_b32 v111, 0 :: v_dual_and_b32 v2, 0x7f, v0
	s_mov_b32 s25, exec_lo
	s_delay_alu instid0(VALU_DEP_1)
	v_cmpx_ne_u32_e32 0x7f, v2
	s_cbranch_execz .LBB237_278
; %bb.275:                              ;   in Loop: Header=BB237_13 Depth=1
	v_and_b32_e32 v28, 7, v0
	v_lshrrev_b32_e32 v1, 3, v2
	s_mov_b32 s26, exec_lo
	v_cmpx_gt_u32_e32 8, v2
; %bb.276:                              ;   in Loop: Header=BB237_13 Depth=1
	s_delay_alu instid0(VALU_DEP_3) | instskip(NEXT) | instid1(VALU_DEP_1)
	v_clz_i32_u32_e32 v1, v28
	v_min_u32_e32 v1, 32, v1
	s_delay_alu instid0(VALU_DEP_1) | instskip(SKIP_1) | instid1(VALU_DEP_2)
	v_subrev_nc_u32_e32 v2, 28, v1
	v_sub_nc_u32_e32 v1, 29, v1
	v_lshlrev_b64 v[2:3], v2, v[28:29]
	s_delay_alu instid0(VALU_DEP_1)
	v_and_b32_e32 v28, 7, v2
; %bb.277:                              ;   in Loop: Header=BB237_13 Depth=1
	s_or_b32 exec_lo, exec_lo, s26
	v_lshlrev_b32_e32 v2, 24, v0
	s_delay_alu instid0(VALU_DEP_2) | instskip(SKIP_1) | instid1(VALU_DEP_3)
	v_lshlrev_b32_e32 v3, 20, v28
	v_lshl_add_u32 v1, v1, 23, 0x3c000000
	v_and_b32_e32 v2, 0x80000000, v2
	s_delay_alu instid0(VALU_DEP_1) | instskip(NEXT) | instid1(VALU_DEP_1)
	v_or3_b32 v28, v3, v2, v1
	v_dual_mov_b32 v111, v29 :: v_dual_mov_b32 v110, v28
.LBB237_278:                            ;   in Loop: Header=BB237_13 Depth=1
	s_or_b32 exec_lo, exec_lo, s25
.LBB237_279:                            ;   in Loop: Header=BB237_13 Depth=1
	s_delay_alu instid0(SALU_CYCLE_1)
	s_or_b32 exec_lo, exec_lo, s24
.LBB237_280:                            ;   in Loop: Header=BB237_13 Depth=1
	s_delay_alu instid0(SALU_CYCLE_1) | instskip(SKIP_2) | instid1(VALU_DEP_1)
	s_or_b32 exec_lo, exec_lo, s18
	v_lshrrev_b16 v1, 8, v0
	s_mov_b32 s24, exec_lo
	v_cmpx_ne_u16_e32 0, v1
	s_cbranch_execz .LBB237_288
; %bb.281:                              ;   in Loop: Header=BB237_13 Depth=1
	v_dual_mov_b32 v109, s17 :: v_dual_mov_b32 v108, s16
	s_mov_b32 s25, exec_lo
	v_cmpx_ne_u16_e32 0x80, v1
	s_cbranch_execz .LBB237_287
; %bb.282:                              ;   in Loop: Header=BB237_13 Depth=1
	s_mov_b32 s18, s16
	v_and_b32_e32 v1, 0xffff, v1
	v_dual_mov_b32 v109, s19 :: v_dual_mov_b32 v108, s18
	s_mov_b32 s18, exec_lo
	s_delay_alu instid0(VALU_DEP_2) | instskip(NEXT) | instid1(VALU_DEP_1)
	v_and_b32_e32 v2, 0x7f, v1
	v_cmpx_ne_u32_e32 0x7f, v2
	s_cbranch_execz .LBB237_286
; %bb.283:                              ;   in Loop: Header=BB237_13 Depth=1
	v_and_b32_e32 v28, 7, v1
	v_lshrrev_b32_e32 v1, 3, v2
	s_mov_b32 s26, exec_lo
	v_cmpx_gt_u32_e32 8, v2
; %bb.284:                              ;   in Loop: Header=BB237_13 Depth=1
	s_delay_alu instid0(VALU_DEP_3) | instskip(NEXT) | instid1(VALU_DEP_1)
	v_clz_i32_u32_e32 v1, v28
	v_min_u32_e32 v1, 32, v1
	s_delay_alu instid0(VALU_DEP_1) | instskip(SKIP_1) | instid1(VALU_DEP_2)
	v_subrev_nc_u32_e32 v2, 28, v1
	v_sub_nc_u32_e32 v1, 29, v1
	v_lshlrev_b64 v[2:3], v2, v[28:29]
	s_delay_alu instid0(VALU_DEP_1)
	v_and_b32_e32 v28, 7, v2
; %bb.285:                              ;   in Loop: Header=BB237_13 Depth=1
	s_or_b32 exec_lo, exec_lo, s26
	v_lshlrev_b32_e32 v0, 16, v0
	s_delay_alu instid0(VALU_DEP_2) | instskip(SKIP_2) | instid1(VALU_DEP_4)
	v_lshlrev_b32_e32 v2, 20, v28
	v_lshl_add_u32 v1, v1, 23, 0x3c000000
	v_mov_b32_e32 v108, v29
	v_and_b32_e32 v0, 0x80000000, v0
	s_delay_alu instid0(VALU_DEP_1)
	v_or3_b32 v109, v2, v0, v1
.LBB237_286:                            ;   in Loop: Header=BB237_13 Depth=1
	s_or_b32 exec_lo, exec_lo, s18
.LBB237_287:                            ;   in Loop: Header=BB237_13 Depth=1
	s_delay_alu instid0(SALU_CYCLE_1)
	s_or_b32 exec_lo, exec_lo, s25
.LBB237_288:                            ;   in Loop: Header=BB237_13 Depth=1
	s_delay_alu instid0(SALU_CYCLE_1)
	s_or_b32 exec_lo, exec_lo, s24
	flat_load_u16 v0, v[150:151] offset:1028
	v_mov_b32_e32 v120, 0
	v_mov_b32_e32 v121, 0
	s_mov_b32 s18, exec_lo
	s_waitcnt vmcnt(0) lgkmcnt(0)
	v_and_b32_e32 v1, 0xff, v0
	s_delay_alu instid0(VALU_DEP_2) | instskip(SKIP_1) | instid1(VALU_DEP_3)
	v_dual_mov_b32 v123, v121 :: v_dual_and_b32 v0, 0xffff, v0
	v_mov_b32_e32 v122, v120
	v_cmpx_ne_u16_e32 0, v1
	s_cbranch_execz .LBB237_296
; %bb.289:                              ;   in Loop: Header=BB237_13 Depth=1
	v_bfrev_b32_e32 v122, 1
	v_and_b32_e32 v1, 0xff, v0
	v_mov_b32_e32 v123, 0
	s_mov_b32 s24, exec_lo
	s_delay_alu instid0(VALU_DEP_2)
	v_cmpx_ne_u16_e32 0x80, v1
	s_cbranch_execz .LBB237_295
; %bb.290:                              ;   in Loop: Header=BB237_13 Depth=1
	v_mov_b32_e32 v122, 0x7f800001
	v_dual_mov_b32 v123, 0 :: v_dual_and_b32 v2, 0x7f, v0
	s_mov_b32 s25, exec_lo
	s_delay_alu instid0(VALU_DEP_1)
	v_cmpx_ne_u32_e32 0x7f, v2
	s_cbranch_execz .LBB237_294
; %bb.291:                              ;   in Loop: Header=BB237_13 Depth=1
	v_and_b32_e32 v28, 7, v0
	v_lshrrev_b32_e32 v1, 3, v2
	s_mov_b32 s26, exec_lo
	v_cmpx_gt_u32_e32 8, v2
; %bb.292:                              ;   in Loop: Header=BB237_13 Depth=1
	s_delay_alu instid0(VALU_DEP_3) | instskip(NEXT) | instid1(VALU_DEP_1)
	v_clz_i32_u32_e32 v1, v28
	v_min_u32_e32 v1, 32, v1
	s_delay_alu instid0(VALU_DEP_1) | instskip(SKIP_1) | instid1(VALU_DEP_2)
	v_subrev_nc_u32_e32 v2, 28, v1
	v_sub_nc_u32_e32 v1, 29, v1
	v_lshlrev_b64 v[2:3], v2, v[28:29]
	s_delay_alu instid0(VALU_DEP_1)
	v_and_b32_e32 v28, 7, v2
; %bb.293:                              ;   in Loop: Header=BB237_13 Depth=1
	s_or_b32 exec_lo, exec_lo, s26
	v_lshlrev_b32_e32 v2, 24, v0
	s_delay_alu instid0(VALU_DEP_2) | instskip(SKIP_1) | instid1(VALU_DEP_3)
	v_lshlrev_b32_e32 v3, 20, v28
	v_lshl_add_u32 v1, v1, 23, 0x3c000000
	v_and_b32_e32 v2, 0x80000000, v2
	s_delay_alu instid0(VALU_DEP_1) | instskip(NEXT) | instid1(VALU_DEP_1)
	v_or3_b32 v28, v3, v2, v1
	v_dual_mov_b32 v123, v29 :: v_dual_mov_b32 v122, v28
.LBB237_294:                            ;   in Loop: Header=BB237_13 Depth=1
	s_or_b32 exec_lo, exec_lo, s25
.LBB237_295:                            ;   in Loop: Header=BB237_13 Depth=1
	s_delay_alu instid0(SALU_CYCLE_1)
	s_or_b32 exec_lo, exec_lo, s24
.LBB237_296:                            ;   in Loop: Header=BB237_13 Depth=1
	s_delay_alu instid0(SALU_CYCLE_1) | instskip(SKIP_2) | instid1(VALU_DEP_1)
	s_or_b32 exec_lo, exec_lo, s18
	v_lshrrev_b16 v1, 8, v0
	s_mov_b32 s24, exec_lo
	v_cmpx_ne_u16_e32 0, v1
	s_cbranch_execz .LBB237_304
; %bb.297:                              ;   in Loop: Header=BB237_13 Depth=1
	v_dual_mov_b32 v121, s17 :: v_dual_mov_b32 v120, s16
	s_mov_b32 s25, exec_lo
	v_cmpx_ne_u16_e32 0x80, v1
	s_cbranch_execz .LBB237_303
; %bb.298:                              ;   in Loop: Header=BB237_13 Depth=1
	s_mov_b32 s18, s16
	v_and_b32_e32 v1, 0xffff, v1
	v_dual_mov_b32 v121, s19 :: v_dual_mov_b32 v120, s18
	s_mov_b32 s18, exec_lo
	s_delay_alu instid0(VALU_DEP_2) | instskip(NEXT) | instid1(VALU_DEP_1)
	v_and_b32_e32 v2, 0x7f, v1
	v_cmpx_ne_u32_e32 0x7f, v2
	s_cbranch_execz .LBB237_302
; %bb.299:                              ;   in Loop: Header=BB237_13 Depth=1
	v_and_b32_e32 v28, 7, v1
	v_lshrrev_b32_e32 v1, 3, v2
	s_mov_b32 s26, exec_lo
	v_cmpx_gt_u32_e32 8, v2
; %bb.300:                              ;   in Loop: Header=BB237_13 Depth=1
	s_delay_alu instid0(VALU_DEP_3) | instskip(NEXT) | instid1(VALU_DEP_1)
	v_clz_i32_u32_e32 v1, v28
	v_min_u32_e32 v1, 32, v1
	s_delay_alu instid0(VALU_DEP_1) | instskip(SKIP_1) | instid1(VALU_DEP_2)
	v_subrev_nc_u32_e32 v2, 28, v1
	v_sub_nc_u32_e32 v1, 29, v1
	v_lshlrev_b64 v[2:3], v2, v[28:29]
	s_delay_alu instid0(VALU_DEP_1)
	v_and_b32_e32 v28, 7, v2
; %bb.301:                              ;   in Loop: Header=BB237_13 Depth=1
	s_or_b32 exec_lo, exec_lo, s26
	v_lshlrev_b32_e32 v0, 16, v0
	s_delay_alu instid0(VALU_DEP_2) | instskip(SKIP_2) | instid1(VALU_DEP_4)
	v_lshlrev_b32_e32 v2, 20, v28
	v_lshl_add_u32 v1, v1, 23, 0x3c000000
	v_mov_b32_e32 v120, v29
	v_and_b32_e32 v0, 0x80000000, v0
	s_delay_alu instid0(VALU_DEP_1)
	v_or3_b32 v121, v2, v0, v1
.LBB237_302:                            ;   in Loop: Header=BB237_13 Depth=1
	s_or_b32 exec_lo, exec_lo, s18
.LBB237_303:                            ;   in Loop: Header=BB237_13 Depth=1
	s_delay_alu instid0(SALU_CYCLE_1)
	s_or_b32 exec_lo, exec_lo, s25
.LBB237_304:                            ;   in Loop: Header=BB237_13 Depth=1
	s_delay_alu instid0(SALU_CYCLE_1) | instskip(SKIP_1) | instid1(VALU_DEP_1)
	s_or_b32 exec_lo, exec_lo, s24
	v_add_co_u32 v0, s2, 0x400, v150
	v_add_co_ci_u32_e64 v1, s2, 0, v151, s2
	s_mov_b32 s18, exec_lo
	flat_load_u16 v2, v[0:1] offset:8
	v_mov_b32_e32 v124, 0
	v_mov_b32_e32 v125, 0
	s_waitcnt vmcnt(0) lgkmcnt(0)
	v_and_b32_e32 v3, 0xff, v2
	s_delay_alu instid0(VALU_DEP_2) | instskip(SKIP_1) | instid1(VALU_DEP_3)
	v_dual_mov_b32 v127, v125 :: v_dual_and_b32 v2, 0xffff, v2
	v_mov_b32_e32 v126, v124
	v_cmpx_ne_u16_e32 0, v3
	s_cbranch_execz .LBB237_312
; %bb.305:                              ;   in Loop: Header=BB237_13 Depth=1
	v_bfrev_b32_e32 v126, 1
	v_and_b32_e32 v3, 0xff, v2
	v_mov_b32_e32 v127, 0
	s_mov_b32 s24, exec_lo
	s_delay_alu instid0(VALU_DEP_2)
	v_cmpx_ne_u16_e32 0x80, v3
	s_cbranch_execz .LBB237_311
; %bb.306:                              ;   in Loop: Header=BB237_13 Depth=1
	v_mov_b32_e32 v126, 0x7f800001
	v_dual_mov_b32 v127, 0 :: v_dual_and_b32 v4, 0x7f, v2
	s_mov_b32 s25, exec_lo
	s_delay_alu instid0(VALU_DEP_1)
	v_cmpx_ne_u32_e32 0x7f, v4
	s_cbranch_execz .LBB237_310
; %bb.307:                              ;   in Loop: Header=BB237_13 Depth=1
	v_and_b32_e32 v28, 7, v2
	v_lshrrev_b32_e32 v3, 3, v4
	s_mov_b32 s26, exec_lo
	v_cmpx_gt_u32_e32 8, v4
; %bb.308:                              ;   in Loop: Header=BB237_13 Depth=1
	s_delay_alu instid0(VALU_DEP_3) | instskip(NEXT) | instid1(VALU_DEP_1)
	v_clz_i32_u32_e32 v3, v28
	v_min_u32_e32 v3, 32, v3
	s_delay_alu instid0(VALU_DEP_1) | instskip(SKIP_1) | instid1(VALU_DEP_2)
	v_subrev_nc_u32_e32 v4, 28, v3
	v_sub_nc_u32_e32 v3, 29, v3
	v_lshlrev_b64 v[4:5], v4, v[28:29]
	s_delay_alu instid0(VALU_DEP_1)
	v_and_b32_e32 v28, 7, v4
; %bb.309:                              ;   in Loop: Header=BB237_13 Depth=1
	s_or_b32 exec_lo, exec_lo, s26
	v_lshlrev_b32_e32 v4, 24, v2
	s_delay_alu instid0(VALU_DEP_2) | instskip(SKIP_1) | instid1(VALU_DEP_3)
	v_lshlrev_b32_e32 v5, 20, v28
	v_lshl_add_u32 v3, v3, 23, 0x3c000000
	v_and_b32_e32 v4, 0x80000000, v4
	s_delay_alu instid0(VALU_DEP_1) | instskip(NEXT) | instid1(VALU_DEP_1)
	v_or3_b32 v28, v5, v4, v3
	v_dual_mov_b32 v127, v29 :: v_dual_mov_b32 v126, v28
.LBB237_310:                            ;   in Loop: Header=BB237_13 Depth=1
	s_or_b32 exec_lo, exec_lo, s25
.LBB237_311:                            ;   in Loop: Header=BB237_13 Depth=1
	s_delay_alu instid0(SALU_CYCLE_1)
	s_or_b32 exec_lo, exec_lo, s24
.LBB237_312:                            ;   in Loop: Header=BB237_13 Depth=1
	s_delay_alu instid0(SALU_CYCLE_1) | instskip(SKIP_2) | instid1(VALU_DEP_1)
	s_or_b32 exec_lo, exec_lo, s18
	v_lshrrev_b16 v3, 8, v2
	s_mov_b32 s24, exec_lo
	v_cmpx_ne_u16_e32 0, v3
	s_cbranch_execz .LBB237_320
; %bb.313:                              ;   in Loop: Header=BB237_13 Depth=1
	v_dual_mov_b32 v125, s17 :: v_dual_mov_b32 v124, s16
	s_mov_b32 s25, exec_lo
	v_cmpx_ne_u16_e32 0x80, v3
	s_cbranch_execz .LBB237_319
; %bb.314:                              ;   in Loop: Header=BB237_13 Depth=1
	s_mov_b32 s18, s16
	v_and_b32_e32 v3, 0xffff, v3
	v_dual_mov_b32 v125, s19 :: v_dual_mov_b32 v124, s18
	s_mov_b32 s18, exec_lo
	s_delay_alu instid0(VALU_DEP_2) | instskip(NEXT) | instid1(VALU_DEP_1)
	v_and_b32_e32 v4, 0x7f, v3
	v_cmpx_ne_u32_e32 0x7f, v4
	s_cbranch_execz .LBB237_318
; %bb.315:                              ;   in Loop: Header=BB237_13 Depth=1
	v_and_b32_e32 v28, 7, v3
	v_lshrrev_b32_e32 v3, 3, v4
	s_mov_b32 s26, exec_lo
	v_cmpx_gt_u32_e32 8, v4
; %bb.316:                              ;   in Loop: Header=BB237_13 Depth=1
	s_delay_alu instid0(VALU_DEP_3) | instskip(NEXT) | instid1(VALU_DEP_1)
	v_clz_i32_u32_e32 v3, v28
	v_min_u32_e32 v3, 32, v3
	s_delay_alu instid0(VALU_DEP_1) | instskip(SKIP_1) | instid1(VALU_DEP_2)
	v_subrev_nc_u32_e32 v4, 28, v3
	v_sub_nc_u32_e32 v3, 29, v3
	v_lshlrev_b64 v[4:5], v4, v[28:29]
	s_delay_alu instid0(VALU_DEP_1)
	v_and_b32_e32 v28, 7, v4
; %bb.317:                              ;   in Loop: Header=BB237_13 Depth=1
	s_or_b32 exec_lo, exec_lo, s26
	v_lshlrev_b32_e32 v2, 16, v2
	s_delay_alu instid0(VALU_DEP_2) | instskip(SKIP_2) | instid1(VALU_DEP_4)
	v_lshlrev_b32_e32 v4, 20, v28
	v_lshl_add_u32 v3, v3, 23, 0x3c000000
	v_mov_b32_e32 v124, v29
	v_and_b32_e32 v2, 0x80000000, v2
	s_delay_alu instid0(VALU_DEP_1)
	v_or3_b32 v125, v4, v2, v3
.LBB237_318:                            ;   in Loop: Header=BB237_13 Depth=1
	s_or_b32 exec_lo, exec_lo, s18
.LBB237_319:                            ;   in Loop: Header=BB237_13 Depth=1
	s_delay_alu instid0(SALU_CYCLE_1)
	s_or_b32 exec_lo, exec_lo, s25
.LBB237_320:                            ;   in Loop: Header=BB237_13 Depth=1
	s_delay_alu instid0(SALU_CYCLE_1)
	s_or_b32 exec_lo, exec_lo, s24
	flat_load_u16 v0, v[0:1] offset:12
	v_mov_b32_e32 v136, 0
	v_mov_b32_e32 v137, 0
	s_mov_b32 s18, exec_lo
	s_waitcnt vmcnt(0) lgkmcnt(0)
	v_and_b32_e32 v1, 0xff, v0
	s_delay_alu instid0(VALU_DEP_2) | instskip(SKIP_1) | instid1(VALU_DEP_3)
	v_dual_mov_b32 v139, v137 :: v_dual_and_b32 v0, 0xffff, v0
	v_mov_b32_e32 v138, v136
	v_cmpx_ne_u16_e32 0, v1
	s_cbranch_execz .LBB237_328
; %bb.321:                              ;   in Loop: Header=BB237_13 Depth=1
	v_bfrev_b32_e32 v138, 1
	v_and_b32_e32 v1, 0xff, v0
	v_mov_b32_e32 v139, 0
	s_mov_b32 s24, exec_lo
	s_delay_alu instid0(VALU_DEP_2)
	v_cmpx_ne_u16_e32 0x80, v1
	s_cbranch_execz .LBB237_327
; %bb.322:                              ;   in Loop: Header=BB237_13 Depth=1
	v_mov_b32_e32 v138, 0x7f800001
	v_dual_mov_b32 v139, 0 :: v_dual_and_b32 v2, 0x7f, v0
	s_mov_b32 s25, exec_lo
	s_delay_alu instid0(VALU_DEP_1)
	v_cmpx_ne_u32_e32 0x7f, v2
	s_cbranch_execz .LBB237_326
; %bb.323:                              ;   in Loop: Header=BB237_13 Depth=1
	v_and_b32_e32 v28, 7, v0
	v_lshrrev_b32_e32 v1, 3, v2
	s_mov_b32 s26, exec_lo
	v_cmpx_gt_u32_e32 8, v2
; %bb.324:                              ;   in Loop: Header=BB237_13 Depth=1
	s_delay_alu instid0(VALU_DEP_3) | instskip(NEXT) | instid1(VALU_DEP_1)
	v_clz_i32_u32_e32 v1, v28
	v_min_u32_e32 v1, 32, v1
	s_delay_alu instid0(VALU_DEP_1) | instskip(SKIP_1) | instid1(VALU_DEP_2)
	v_subrev_nc_u32_e32 v2, 28, v1
	v_sub_nc_u32_e32 v1, 29, v1
	v_lshlrev_b64 v[2:3], v2, v[28:29]
	s_delay_alu instid0(VALU_DEP_1)
	v_and_b32_e32 v28, 7, v2
; %bb.325:                              ;   in Loop: Header=BB237_13 Depth=1
	s_or_b32 exec_lo, exec_lo, s26
	v_lshlrev_b32_e32 v2, 24, v0
	s_delay_alu instid0(VALU_DEP_2) | instskip(SKIP_1) | instid1(VALU_DEP_3)
	v_lshlrev_b32_e32 v3, 20, v28
	v_lshl_add_u32 v1, v1, 23, 0x3c000000
	v_and_b32_e32 v2, 0x80000000, v2
	s_delay_alu instid0(VALU_DEP_1) | instskip(NEXT) | instid1(VALU_DEP_1)
	v_or3_b32 v28, v3, v2, v1
	v_dual_mov_b32 v139, v29 :: v_dual_mov_b32 v138, v28
.LBB237_326:                            ;   in Loop: Header=BB237_13 Depth=1
	s_or_b32 exec_lo, exec_lo, s25
.LBB237_327:                            ;   in Loop: Header=BB237_13 Depth=1
	s_delay_alu instid0(SALU_CYCLE_1)
	s_or_b32 exec_lo, exec_lo, s24
.LBB237_328:                            ;   in Loop: Header=BB237_13 Depth=1
	s_delay_alu instid0(SALU_CYCLE_1) | instskip(SKIP_2) | instid1(VALU_DEP_1)
	s_or_b32 exec_lo, exec_lo, s18
	v_lshrrev_b16 v1, 8, v0
	s_mov_b32 s24, exec_lo
	v_cmpx_ne_u16_e32 0, v1
	s_cbranch_execz .LBB237_336
; %bb.329:                              ;   in Loop: Header=BB237_13 Depth=1
	v_dual_mov_b32 v137, s17 :: v_dual_mov_b32 v136, s16
	s_mov_b32 s25, exec_lo
	v_cmpx_ne_u16_e32 0x80, v1
	s_cbranch_execz .LBB237_335
; %bb.330:                              ;   in Loop: Header=BB237_13 Depth=1
	s_mov_b32 s18, s16
	v_and_b32_e32 v1, 0xffff, v1
	v_dual_mov_b32 v137, s19 :: v_dual_mov_b32 v136, s18
	s_mov_b32 s18, exec_lo
	s_delay_alu instid0(VALU_DEP_2) | instskip(NEXT) | instid1(VALU_DEP_1)
	v_and_b32_e32 v2, 0x7f, v1
	v_cmpx_ne_u32_e32 0x7f, v2
	s_cbranch_execz .LBB237_334
; %bb.331:                              ;   in Loop: Header=BB237_13 Depth=1
	v_and_b32_e32 v28, 7, v1
	v_lshrrev_b32_e32 v1, 3, v2
	s_mov_b32 s26, exec_lo
	v_cmpx_gt_u32_e32 8, v2
; %bb.332:                              ;   in Loop: Header=BB237_13 Depth=1
	s_delay_alu instid0(VALU_DEP_3) | instskip(NEXT) | instid1(VALU_DEP_1)
	v_clz_i32_u32_e32 v1, v28
	v_min_u32_e32 v1, 32, v1
	s_delay_alu instid0(VALU_DEP_1) | instskip(SKIP_1) | instid1(VALU_DEP_2)
	v_subrev_nc_u32_e32 v2, 28, v1
	v_sub_nc_u32_e32 v1, 29, v1
	v_lshlrev_b64 v[2:3], v2, v[28:29]
	s_delay_alu instid0(VALU_DEP_1)
	v_and_b32_e32 v28, 7, v2
; %bb.333:                              ;   in Loop: Header=BB237_13 Depth=1
	s_or_b32 exec_lo, exec_lo, s26
	v_lshlrev_b32_e32 v0, 16, v0
	s_delay_alu instid0(VALU_DEP_2) | instskip(SKIP_2) | instid1(VALU_DEP_4)
	v_lshlrev_b32_e32 v2, 20, v28
	v_lshl_add_u32 v1, v1, 23, 0x3c000000
	v_mov_b32_e32 v136, v29
	v_and_b32_e32 v0, 0x80000000, v0
	s_delay_alu instid0(VALU_DEP_1)
	v_or3_b32 v137, v2, v0, v1
.LBB237_334:                            ;   in Loop: Header=BB237_13 Depth=1
	s_or_b32 exec_lo, exec_lo, s18
.LBB237_335:                            ;   in Loop: Header=BB237_13 Depth=1
	s_delay_alu instid0(SALU_CYCLE_1)
	s_or_b32 exec_lo, exec_lo, s25
.LBB237_336:                            ;   in Loop: Header=BB237_13 Depth=1
	s_delay_alu instid0(SALU_CYCLE_1)
	s_or_b32 exec_lo, exec_lo, s24
	flat_load_u16 v0, v[150:151] offset:1280
	v_mov_b32_e32 v140, 0
	v_mov_b32_e32 v141, 0
	s_mov_b32 s18, exec_lo
	s_waitcnt vmcnt(0) lgkmcnt(0)
	v_and_b32_e32 v1, 0xff, v0
	s_delay_alu instid0(VALU_DEP_2) | instskip(SKIP_1) | instid1(VALU_DEP_3)
	v_dual_mov_b32 v143, v141 :: v_dual_and_b32 v0, 0xffff, v0
	v_mov_b32_e32 v142, v140
	v_cmpx_ne_u16_e32 0, v1
	s_cbranch_execz .LBB237_344
; %bb.337:                              ;   in Loop: Header=BB237_13 Depth=1
	v_bfrev_b32_e32 v142, 1
	v_and_b32_e32 v1, 0xff, v0
	v_mov_b32_e32 v143, 0
	s_mov_b32 s24, exec_lo
	s_delay_alu instid0(VALU_DEP_2)
	v_cmpx_ne_u16_e32 0x80, v1
	s_cbranch_execz .LBB237_343
; %bb.338:                              ;   in Loop: Header=BB237_13 Depth=1
	v_mov_b32_e32 v142, 0x7f800001
	v_dual_mov_b32 v143, 0 :: v_dual_and_b32 v2, 0x7f, v0
	s_mov_b32 s25, exec_lo
	s_delay_alu instid0(VALU_DEP_1)
	v_cmpx_ne_u32_e32 0x7f, v2
	s_cbranch_execz .LBB237_342
; %bb.339:                              ;   in Loop: Header=BB237_13 Depth=1
	v_and_b32_e32 v28, 7, v0
	v_lshrrev_b32_e32 v1, 3, v2
	s_mov_b32 s26, exec_lo
	v_cmpx_gt_u32_e32 8, v2
; %bb.340:                              ;   in Loop: Header=BB237_13 Depth=1
	s_delay_alu instid0(VALU_DEP_3) | instskip(NEXT) | instid1(VALU_DEP_1)
	v_clz_i32_u32_e32 v1, v28
	v_min_u32_e32 v1, 32, v1
	s_delay_alu instid0(VALU_DEP_1) | instskip(SKIP_1) | instid1(VALU_DEP_2)
	v_subrev_nc_u32_e32 v2, 28, v1
	v_sub_nc_u32_e32 v1, 29, v1
	v_lshlrev_b64 v[2:3], v2, v[28:29]
	s_delay_alu instid0(VALU_DEP_1)
	v_and_b32_e32 v28, 7, v2
; %bb.341:                              ;   in Loop: Header=BB237_13 Depth=1
	s_or_b32 exec_lo, exec_lo, s26
	v_lshlrev_b32_e32 v2, 24, v0
	s_delay_alu instid0(VALU_DEP_2) | instskip(SKIP_1) | instid1(VALU_DEP_3)
	v_lshlrev_b32_e32 v3, 20, v28
	v_lshl_add_u32 v1, v1, 23, 0x3c000000
	v_and_b32_e32 v2, 0x80000000, v2
	s_delay_alu instid0(VALU_DEP_1) | instskip(NEXT) | instid1(VALU_DEP_1)
	v_or3_b32 v28, v3, v2, v1
	v_dual_mov_b32 v143, v29 :: v_dual_mov_b32 v142, v28
.LBB237_342:                            ;   in Loop: Header=BB237_13 Depth=1
	s_or_b32 exec_lo, exec_lo, s25
.LBB237_343:                            ;   in Loop: Header=BB237_13 Depth=1
	s_delay_alu instid0(SALU_CYCLE_1)
	s_or_b32 exec_lo, exec_lo, s24
.LBB237_344:                            ;   in Loop: Header=BB237_13 Depth=1
	s_delay_alu instid0(SALU_CYCLE_1) | instskip(SKIP_2) | instid1(VALU_DEP_1)
	s_or_b32 exec_lo, exec_lo, s18
	v_lshrrev_b16 v1, 8, v0
	s_mov_b32 s24, exec_lo
	v_cmpx_ne_u16_e32 0, v1
	s_cbranch_execz .LBB237_352
; %bb.345:                              ;   in Loop: Header=BB237_13 Depth=1
	v_dual_mov_b32 v141, s17 :: v_dual_mov_b32 v140, s16
	s_mov_b32 s25, exec_lo
	v_cmpx_ne_u16_e32 0x80, v1
	s_cbranch_execz .LBB237_351
; %bb.346:                              ;   in Loop: Header=BB237_13 Depth=1
	s_mov_b32 s18, s16
	v_and_b32_e32 v1, 0xffff, v1
	v_dual_mov_b32 v141, s19 :: v_dual_mov_b32 v140, s18
	s_mov_b32 s18, exec_lo
	s_delay_alu instid0(VALU_DEP_2) | instskip(NEXT) | instid1(VALU_DEP_1)
	v_and_b32_e32 v2, 0x7f, v1
	v_cmpx_ne_u32_e32 0x7f, v2
	s_cbranch_execz .LBB237_350
; %bb.347:                              ;   in Loop: Header=BB237_13 Depth=1
	v_and_b32_e32 v28, 7, v1
	v_lshrrev_b32_e32 v1, 3, v2
	s_mov_b32 s26, exec_lo
	v_cmpx_gt_u32_e32 8, v2
; %bb.348:                              ;   in Loop: Header=BB237_13 Depth=1
	s_delay_alu instid0(VALU_DEP_3) | instskip(NEXT) | instid1(VALU_DEP_1)
	v_clz_i32_u32_e32 v1, v28
	v_min_u32_e32 v1, 32, v1
	s_delay_alu instid0(VALU_DEP_1) | instskip(SKIP_1) | instid1(VALU_DEP_2)
	v_subrev_nc_u32_e32 v2, 28, v1
	v_sub_nc_u32_e32 v1, 29, v1
	v_lshlrev_b64 v[2:3], v2, v[28:29]
	s_delay_alu instid0(VALU_DEP_1)
	v_and_b32_e32 v28, 7, v2
; %bb.349:                              ;   in Loop: Header=BB237_13 Depth=1
	s_or_b32 exec_lo, exec_lo, s26
	v_lshlrev_b32_e32 v0, 16, v0
	s_delay_alu instid0(VALU_DEP_2) | instskip(SKIP_2) | instid1(VALU_DEP_4)
	v_lshlrev_b32_e32 v2, 20, v28
	v_lshl_add_u32 v1, v1, 23, 0x3c000000
	v_mov_b32_e32 v140, v29
	v_and_b32_e32 v0, 0x80000000, v0
	s_delay_alu instid0(VALU_DEP_1)
	v_or3_b32 v141, v2, v0, v1
.LBB237_350:                            ;   in Loop: Header=BB237_13 Depth=1
	s_or_b32 exec_lo, exec_lo, s18
.LBB237_351:                            ;   in Loop: Header=BB237_13 Depth=1
	s_delay_alu instid0(SALU_CYCLE_1)
	s_or_b32 exec_lo, exec_lo, s25
.LBB237_352:                            ;   in Loop: Header=BB237_13 Depth=1
	s_delay_alu instid0(SALU_CYCLE_1)
	s_or_b32 exec_lo, exec_lo, s24
	flat_load_u16 v0, v[150:151] offset:1284
	v_mov_b32_e32 v152, 0
	v_mov_b32_e32 v153, 0
	s_mov_b32 s18, exec_lo
	s_waitcnt vmcnt(0) lgkmcnt(0)
	v_and_b32_e32 v1, 0xff, v0
	s_delay_alu instid0(VALU_DEP_2) | instskip(SKIP_1) | instid1(VALU_DEP_3)
	v_dual_mov_b32 v155, v153 :: v_dual_and_b32 v0, 0xffff, v0
	v_mov_b32_e32 v154, v152
	v_cmpx_ne_u16_e32 0, v1
	s_cbranch_execz .LBB237_360
; %bb.353:                              ;   in Loop: Header=BB237_13 Depth=1
	v_bfrev_b32_e32 v154, 1
	v_and_b32_e32 v1, 0xff, v0
	v_mov_b32_e32 v155, 0
	s_mov_b32 s24, exec_lo
	s_delay_alu instid0(VALU_DEP_2)
	v_cmpx_ne_u16_e32 0x80, v1
	s_cbranch_execz .LBB237_359
; %bb.354:                              ;   in Loop: Header=BB237_13 Depth=1
	v_mov_b32_e32 v154, 0x7f800001
	v_dual_mov_b32 v155, 0 :: v_dual_and_b32 v2, 0x7f, v0
	s_mov_b32 s25, exec_lo
	s_delay_alu instid0(VALU_DEP_1)
	v_cmpx_ne_u32_e32 0x7f, v2
	s_cbranch_execz .LBB237_358
; %bb.355:                              ;   in Loop: Header=BB237_13 Depth=1
	v_and_b32_e32 v28, 7, v0
	v_lshrrev_b32_e32 v1, 3, v2
	s_mov_b32 s26, exec_lo
	v_cmpx_gt_u32_e32 8, v2
; %bb.356:                              ;   in Loop: Header=BB237_13 Depth=1
	s_delay_alu instid0(VALU_DEP_3) | instskip(NEXT) | instid1(VALU_DEP_1)
	v_clz_i32_u32_e32 v1, v28
	v_min_u32_e32 v1, 32, v1
	s_delay_alu instid0(VALU_DEP_1) | instskip(SKIP_1) | instid1(VALU_DEP_2)
	v_subrev_nc_u32_e32 v2, 28, v1
	v_sub_nc_u32_e32 v1, 29, v1
	v_lshlrev_b64 v[2:3], v2, v[28:29]
	s_delay_alu instid0(VALU_DEP_1)
	v_and_b32_e32 v28, 7, v2
; %bb.357:                              ;   in Loop: Header=BB237_13 Depth=1
	s_or_b32 exec_lo, exec_lo, s26
	v_lshlrev_b32_e32 v2, 24, v0
	s_delay_alu instid0(VALU_DEP_2) | instskip(SKIP_1) | instid1(VALU_DEP_3)
	v_lshlrev_b32_e32 v3, 20, v28
	v_lshl_add_u32 v1, v1, 23, 0x3c000000
	v_and_b32_e32 v2, 0x80000000, v2
	s_delay_alu instid0(VALU_DEP_1) | instskip(NEXT) | instid1(VALU_DEP_1)
	v_or3_b32 v28, v3, v2, v1
	v_dual_mov_b32 v155, v29 :: v_dual_mov_b32 v154, v28
.LBB237_358:                            ;   in Loop: Header=BB237_13 Depth=1
	s_or_b32 exec_lo, exec_lo, s25
.LBB237_359:                            ;   in Loop: Header=BB237_13 Depth=1
	s_delay_alu instid0(SALU_CYCLE_1)
	s_or_b32 exec_lo, exec_lo, s24
.LBB237_360:                            ;   in Loop: Header=BB237_13 Depth=1
	s_delay_alu instid0(SALU_CYCLE_1) | instskip(SKIP_2) | instid1(VALU_DEP_1)
	s_or_b32 exec_lo, exec_lo, s18
	v_lshrrev_b16 v1, 8, v0
	s_mov_b32 s24, exec_lo
	v_cmpx_ne_u16_e32 0, v1
	s_cbranch_execz .LBB237_368
; %bb.361:                              ;   in Loop: Header=BB237_13 Depth=1
	v_dual_mov_b32 v153, s17 :: v_dual_mov_b32 v152, s16
	s_mov_b32 s25, exec_lo
	v_cmpx_ne_u16_e32 0x80, v1
	s_cbranch_execz .LBB237_367
; %bb.362:                              ;   in Loop: Header=BB237_13 Depth=1
	s_mov_b32 s18, s16
	v_and_b32_e32 v1, 0xffff, v1
	v_dual_mov_b32 v153, s19 :: v_dual_mov_b32 v152, s18
	s_mov_b32 s18, exec_lo
	s_delay_alu instid0(VALU_DEP_2) | instskip(NEXT) | instid1(VALU_DEP_1)
	v_and_b32_e32 v2, 0x7f, v1
	v_cmpx_ne_u32_e32 0x7f, v2
	s_cbranch_execz .LBB237_366
; %bb.363:                              ;   in Loop: Header=BB237_13 Depth=1
	v_and_b32_e32 v28, 7, v1
	v_lshrrev_b32_e32 v1, 3, v2
	s_mov_b32 s26, exec_lo
	v_cmpx_gt_u32_e32 8, v2
; %bb.364:                              ;   in Loop: Header=BB237_13 Depth=1
	s_delay_alu instid0(VALU_DEP_3) | instskip(NEXT) | instid1(VALU_DEP_1)
	v_clz_i32_u32_e32 v1, v28
	v_min_u32_e32 v1, 32, v1
	s_delay_alu instid0(VALU_DEP_1) | instskip(SKIP_1) | instid1(VALU_DEP_2)
	v_subrev_nc_u32_e32 v2, 28, v1
	v_sub_nc_u32_e32 v1, 29, v1
	v_lshlrev_b64 v[2:3], v2, v[28:29]
	s_delay_alu instid0(VALU_DEP_1)
	v_and_b32_e32 v28, 7, v2
; %bb.365:                              ;   in Loop: Header=BB237_13 Depth=1
	s_or_b32 exec_lo, exec_lo, s26
	v_lshlrev_b32_e32 v0, 16, v0
	s_delay_alu instid0(VALU_DEP_2) | instskip(SKIP_2) | instid1(VALU_DEP_4)
	v_lshlrev_b32_e32 v2, 20, v28
	v_lshl_add_u32 v1, v1, 23, 0x3c000000
	v_mov_b32_e32 v152, v29
	v_and_b32_e32 v0, 0x80000000, v0
	s_delay_alu instid0(VALU_DEP_1)
	v_or3_b32 v153, v2, v0, v1
.LBB237_366:                            ;   in Loop: Header=BB237_13 Depth=1
	s_or_b32 exec_lo, exec_lo, s18
.LBB237_367:                            ;   in Loop: Header=BB237_13 Depth=1
	s_delay_alu instid0(SALU_CYCLE_1)
	s_or_b32 exec_lo, exec_lo, s25
.LBB237_368:                            ;   in Loop: Header=BB237_13 Depth=1
	s_delay_alu instid0(SALU_CYCLE_1) | instskip(SKIP_1) | instid1(VALU_DEP_1)
	s_or_b32 exec_lo, exec_lo, s24
	v_add_co_u32 v0, s2, 0x500, v150
	v_add_co_ci_u32_e64 v1, s2, 0, v151, s2
	s_mov_b32 s18, exec_lo
	flat_load_u16 v2, v[0:1] offset:8
	v_mov_b32_e32 v156, 0
	v_mov_b32_e32 v157, 0
	s_waitcnt vmcnt(0) lgkmcnt(0)
	v_and_b32_e32 v3, 0xff, v2
	s_delay_alu instid0(VALU_DEP_2) | instskip(SKIP_1) | instid1(VALU_DEP_3)
	v_dual_mov_b32 v159, v157 :: v_dual_and_b32 v2, 0xffff, v2
	v_mov_b32_e32 v158, v156
	v_cmpx_ne_u16_e32 0, v3
	s_cbranch_execz .LBB237_376
; %bb.369:                              ;   in Loop: Header=BB237_13 Depth=1
	v_bfrev_b32_e32 v158, 1
	v_and_b32_e32 v3, 0xff, v2
	v_mov_b32_e32 v159, 0
	s_mov_b32 s24, exec_lo
	s_delay_alu instid0(VALU_DEP_2)
	v_cmpx_ne_u16_e32 0x80, v3
	s_cbranch_execz .LBB237_375
; %bb.370:                              ;   in Loop: Header=BB237_13 Depth=1
	v_mov_b32_e32 v158, 0x7f800001
	v_dual_mov_b32 v159, 0 :: v_dual_and_b32 v4, 0x7f, v2
	s_mov_b32 s25, exec_lo
	s_delay_alu instid0(VALU_DEP_1)
	v_cmpx_ne_u32_e32 0x7f, v4
	s_cbranch_execz .LBB237_374
; %bb.371:                              ;   in Loop: Header=BB237_13 Depth=1
	v_and_b32_e32 v28, 7, v2
	v_lshrrev_b32_e32 v3, 3, v4
	s_mov_b32 s26, exec_lo
	v_cmpx_gt_u32_e32 8, v4
; %bb.372:                              ;   in Loop: Header=BB237_13 Depth=1
	s_delay_alu instid0(VALU_DEP_3) | instskip(NEXT) | instid1(VALU_DEP_1)
	v_clz_i32_u32_e32 v3, v28
	v_min_u32_e32 v3, 32, v3
	s_delay_alu instid0(VALU_DEP_1) | instskip(SKIP_1) | instid1(VALU_DEP_2)
	v_subrev_nc_u32_e32 v4, 28, v3
	v_sub_nc_u32_e32 v3, 29, v3
	v_lshlrev_b64 v[4:5], v4, v[28:29]
	s_delay_alu instid0(VALU_DEP_1)
	v_and_b32_e32 v28, 7, v4
; %bb.373:                              ;   in Loop: Header=BB237_13 Depth=1
	s_or_b32 exec_lo, exec_lo, s26
	v_lshlrev_b32_e32 v4, 24, v2
	s_delay_alu instid0(VALU_DEP_2) | instskip(SKIP_1) | instid1(VALU_DEP_3)
	v_lshlrev_b32_e32 v5, 20, v28
	v_lshl_add_u32 v3, v3, 23, 0x3c000000
	v_and_b32_e32 v4, 0x80000000, v4
	s_delay_alu instid0(VALU_DEP_1) | instskip(NEXT) | instid1(VALU_DEP_1)
	v_or3_b32 v28, v5, v4, v3
	v_dual_mov_b32 v159, v29 :: v_dual_mov_b32 v158, v28
.LBB237_374:                            ;   in Loop: Header=BB237_13 Depth=1
	s_or_b32 exec_lo, exec_lo, s25
.LBB237_375:                            ;   in Loop: Header=BB237_13 Depth=1
	s_delay_alu instid0(SALU_CYCLE_1)
	s_or_b32 exec_lo, exec_lo, s24
.LBB237_376:                            ;   in Loop: Header=BB237_13 Depth=1
	s_delay_alu instid0(SALU_CYCLE_1) | instskip(SKIP_2) | instid1(VALU_DEP_1)
	s_or_b32 exec_lo, exec_lo, s18
	v_lshrrev_b16 v3, 8, v2
	s_mov_b32 s24, exec_lo
	v_cmpx_ne_u16_e32 0, v3
	s_cbranch_execz .LBB237_384
; %bb.377:                              ;   in Loop: Header=BB237_13 Depth=1
	v_dual_mov_b32 v157, s17 :: v_dual_mov_b32 v156, s16
	s_mov_b32 s25, exec_lo
	v_cmpx_ne_u16_e32 0x80, v3
	s_cbranch_execz .LBB237_383
; %bb.378:                              ;   in Loop: Header=BB237_13 Depth=1
	s_mov_b32 s18, s16
	v_and_b32_e32 v3, 0xffff, v3
	v_dual_mov_b32 v157, s19 :: v_dual_mov_b32 v156, s18
	s_mov_b32 s18, exec_lo
	s_delay_alu instid0(VALU_DEP_2) | instskip(NEXT) | instid1(VALU_DEP_1)
	v_and_b32_e32 v4, 0x7f, v3
	v_cmpx_ne_u32_e32 0x7f, v4
	s_cbranch_execz .LBB237_382
; %bb.379:                              ;   in Loop: Header=BB237_13 Depth=1
	v_and_b32_e32 v28, 7, v3
	v_lshrrev_b32_e32 v3, 3, v4
	s_mov_b32 s26, exec_lo
	v_cmpx_gt_u32_e32 8, v4
; %bb.380:                              ;   in Loop: Header=BB237_13 Depth=1
	s_delay_alu instid0(VALU_DEP_3) | instskip(NEXT) | instid1(VALU_DEP_1)
	v_clz_i32_u32_e32 v3, v28
	v_min_u32_e32 v3, 32, v3
	s_delay_alu instid0(VALU_DEP_1) | instskip(SKIP_1) | instid1(VALU_DEP_2)
	v_subrev_nc_u32_e32 v4, 28, v3
	v_sub_nc_u32_e32 v3, 29, v3
	v_lshlrev_b64 v[4:5], v4, v[28:29]
	s_delay_alu instid0(VALU_DEP_1)
	v_and_b32_e32 v28, 7, v4
; %bb.381:                              ;   in Loop: Header=BB237_13 Depth=1
	s_or_b32 exec_lo, exec_lo, s26
	v_lshlrev_b32_e32 v2, 16, v2
	s_delay_alu instid0(VALU_DEP_2) | instskip(SKIP_2) | instid1(VALU_DEP_4)
	v_lshlrev_b32_e32 v4, 20, v28
	v_lshl_add_u32 v3, v3, 23, 0x3c000000
	v_mov_b32_e32 v156, v29
	v_and_b32_e32 v2, 0x80000000, v2
	s_delay_alu instid0(VALU_DEP_1)
	v_or3_b32 v157, v4, v2, v3
.LBB237_382:                            ;   in Loop: Header=BB237_13 Depth=1
	s_or_b32 exec_lo, exec_lo, s18
.LBB237_383:                            ;   in Loop: Header=BB237_13 Depth=1
	s_delay_alu instid0(SALU_CYCLE_1)
	s_or_b32 exec_lo, exec_lo, s25
.LBB237_384:                            ;   in Loop: Header=BB237_13 Depth=1
	s_delay_alu instid0(SALU_CYCLE_1)
	s_or_b32 exec_lo, exec_lo, s24
	flat_load_u16 v0, v[0:1] offset:12
	v_mov_b32_e32 v168, 0
	v_mov_b32_e32 v169, 0
	s_mov_b32 s18, exec_lo
	s_waitcnt vmcnt(0) lgkmcnt(0)
	v_and_b32_e32 v1, 0xff, v0
	s_delay_alu instid0(VALU_DEP_2) | instskip(SKIP_1) | instid1(VALU_DEP_3)
	v_dual_mov_b32 v171, v169 :: v_dual_and_b32 v0, 0xffff, v0
	v_mov_b32_e32 v170, v168
	v_cmpx_ne_u16_e32 0, v1
	s_cbranch_execz .LBB237_392
; %bb.385:                              ;   in Loop: Header=BB237_13 Depth=1
	v_bfrev_b32_e32 v170, 1
	v_and_b32_e32 v1, 0xff, v0
	v_mov_b32_e32 v171, 0
	s_mov_b32 s24, exec_lo
	s_delay_alu instid0(VALU_DEP_2)
	v_cmpx_ne_u16_e32 0x80, v1
	s_cbranch_execz .LBB237_391
; %bb.386:                              ;   in Loop: Header=BB237_13 Depth=1
	v_mov_b32_e32 v170, 0x7f800001
	v_dual_mov_b32 v171, 0 :: v_dual_and_b32 v2, 0x7f, v0
	s_mov_b32 s25, exec_lo
	s_delay_alu instid0(VALU_DEP_1)
	v_cmpx_ne_u32_e32 0x7f, v2
	s_cbranch_execz .LBB237_390
; %bb.387:                              ;   in Loop: Header=BB237_13 Depth=1
	v_and_b32_e32 v28, 7, v0
	v_lshrrev_b32_e32 v1, 3, v2
	s_mov_b32 s26, exec_lo
	v_cmpx_gt_u32_e32 8, v2
; %bb.388:                              ;   in Loop: Header=BB237_13 Depth=1
	s_delay_alu instid0(VALU_DEP_3) | instskip(NEXT) | instid1(VALU_DEP_1)
	v_clz_i32_u32_e32 v1, v28
	v_min_u32_e32 v1, 32, v1
	s_delay_alu instid0(VALU_DEP_1) | instskip(SKIP_1) | instid1(VALU_DEP_2)
	v_subrev_nc_u32_e32 v2, 28, v1
	v_sub_nc_u32_e32 v1, 29, v1
	v_lshlrev_b64 v[2:3], v2, v[28:29]
	s_delay_alu instid0(VALU_DEP_1)
	v_and_b32_e32 v28, 7, v2
; %bb.389:                              ;   in Loop: Header=BB237_13 Depth=1
	s_or_b32 exec_lo, exec_lo, s26
	v_lshlrev_b32_e32 v2, 24, v0
	s_delay_alu instid0(VALU_DEP_2) | instskip(SKIP_1) | instid1(VALU_DEP_3)
	v_lshlrev_b32_e32 v3, 20, v28
	v_lshl_add_u32 v1, v1, 23, 0x3c000000
	v_and_b32_e32 v2, 0x80000000, v2
	s_delay_alu instid0(VALU_DEP_1) | instskip(NEXT) | instid1(VALU_DEP_1)
	v_or3_b32 v28, v3, v2, v1
	v_dual_mov_b32 v171, v29 :: v_dual_mov_b32 v170, v28
.LBB237_390:                            ;   in Loop: Header=BB237_13 Depth=1
	s_or_b32 exec_lo, exec_lo, s25
.LBB237_391:                            ;   in Loop: Header=BB237_13 Depth=1
	s_delay_alu instid0(SALU_CYCLE_1)
	s_or_b32 exec_lo, exec_lo, s24
.LBB237_392:                            ;   in Loop: Header=BB237_13 Depth=1
	s_delay_alu instid0(SALU_CYCLE_1) | instskip(SKIP_2) | instid1(VALU_DEP_1)
	s_or_b32 exec_lo, exec_lo, s18
	v_lshrrev_b16 v1, 8, v0
	s_mov_b32 s24, exec_lo
	v_cmpx_ne_u16_e32 0, v1
	s_cbranch_execz .LBB237_400
; %bb.393:                              ;   in Loop: Header=BB237_13 Depth=1
	v_dual_mov_b32 v169, s17 :: v_dual_mov_b32 v168, s16
	s_mov_b32 s25, exec_lo
	v_cmpx_ne_u16_e32 0x80, v1
	s_cbranch_execz .LBB237_399
; %bb.394:                              ;   in Loop: Header=BB237_13 Depth=1
	s_mov_b32 s18, s16
	v_and_b32_e32 v1, 0xffff, v1
	v_dual_mov_b32 v169, s19 :: v_dual_mov_b32 v168, s18
	s_mov_b32 s18, exec_lo
	s_delay_alu instid0(VALU_DEP_2) | instskip(NEXT) | instid1(VALU_DEP_1)
	v_and_b32_e32 v2, 0x7f, v1
	v_cmpx_ne_u32_e32 0x7f, v2
	s_cbranch_execz .LBB237_398
; %bb.395:                              ;   in Loop: Header=BB237_13 Depth=1
	v_and_b32_e32 v28, 7, v1
	v_lshrrev_b32_e32 v1, 3, v2
	s_mov_b32 s26, exec_lo
	v_cmpx_gt_u32_e32 8, v2
; %bb.396:                              ;   in Loop: Header=BB237_13 Depth=1
	s_delay_alu instid0(VALU_DEP_3) | instskip(NEXT) | instid1(VALU_DEP_1)
	v_clz_i32_u32_e32 v1, v28
	v_min_u32_e32 v1, 32, v1
	s_delay_alu instid0(VALU_DEP_1) | instskip(SKIP_1) | instid1(VALU_DEP_2)
	v_subrev_nc_u32_e32 v2, 28, v1
	v_sub_nc_u32_e32 v1, 29, v1
	v_lshlrev_b64 v[2:3], v2, v[28:29]
	s_delay_alu instid0(VALU_DEP_1)
	v_and_b32_e32 v28, 7, v2
; %bb.397:                              ;   in Loop: Header=BB237_13 Depth=1
	s_or_b32 exec_lo, exec_lo, s26
	v_lshlrev_b32_e32 v0, 16, v0
	s_delay_alu instid0(VALU_DEP_2) | instskip(SKIP_2) | instid1(VALU_DEP_4)
	v_lshlrev_b32_e32 v2, 20, v28
	v_lshl_add_u32 v1, v1, 23, 0x3c000000
	v_mov_b32_e32 v168, v29
	v_and_b32_e32 v0, 0x80000000, v0
	s_delay_alu instid0(VALU_DEP_1)
	v_or3_b32 v169, v2, v0, v1
.LBB237_398:                            ;   in Loop: Header=BB237_13 Depth=1
	s_or_b32 exec_lo, exec_lo, s18
.LBB237_399:                            ;   in Loop: Header=BB237_13 Depth=1
	s_delay_alu instid0(SALU_CYCLE_1)
	s_or_b32 exec_lo, exec_lo, s25
.LBB237_400:                            ;   in Loop: Header=BB237_13 Depth=1
	s_delay_alu instid0(SALU_CYCLE_1)
	s_or_b32 exec_lo, exec_lo, s24
	flat_load_u16 v0, v[150:151] offset:1536
	v_mov_b32_e32 v172, 0
	v_mov_b32_e32 v173, 0
	s_mov_b32 s18, exec_lo
	s_waitcnt vmcnt(0) lgkmcnt(0)
	v_and_b32_e32 v1, 0xff, v0
	s_delay_alu instid0(VALU_DEP_2) | instskip(SKIP_1) | instid1(VALU_DEP_3)
	v_dual_mov_b32 v175, v173 :: v_dual_and_b32 v0, 0xffff, v0
	v_mov_b32_e32 v174, v172
	v_cmpx_ne_u16_e32 0, v1
	s_cbranch_execz .LBB237_408
; %bb.401:                              ;   in Loop: Header=BB237_13 Depth=1
	v_bfrev_b32_e32 v174, 1
	v_and_b32_e32 v1, 0xff, v0
	v_mov_b32_e32 v175, 0
	s_mov_b32 s24, exec_lo
	s_delay_alu instid0(VALU_DEP_2)
	v_cmpx_ne_u16_e32 0x80, v1
	s_cbranch_execz .LBB237_407
; %bb.402:                              ;   in Loop: Header=BB237_13 Depth=1
	v_mov_b32_e32 v174, 0x7f800001
	v_dual_mov_b32 v175, 0 :: v_dual_and_b32 v2, 0x7f, v0
	s_mov_b32 s25, exec_lo
	s_delay_alu instid0(VALU_DEP_1)
	v_cmpx_ne_u32_e32 0x7f, v2
	s_cbranch_execz .LBB237_406
; %bb.403:                              ;   in Loop: Header=BB237_13 Depth=1
	v_and_b32_e32 v28, 7, v0
	v_lshrrev_b32_e32 v1, 3, v2
	s_mov_b32 s26, exec_lo
	v_cmpx_gt_u32_e32 8, v2
; %bb.404:                              ;   in Loop: Header=BB237_13 Depth=1
	s_delay_alu instid0(VALU_DEP_3) | instskip(NEXT) | instid1(VALU_DEP_1)
	v_clz_i32_u32_e32 v1, v28
	v_min_u32_e32 v1, 32, v1
	s_delay_alu instid0(VALU_DEP_1) | instskip(SKIP_1) | instid1(VALU_DEP_2)
	v_subrev_nc_u32_e32 v2, 28, v1
	v_sub_nc_u32_e32 v1, 29, v1
	v_lshlrev_b64 v[2:3], v2, v[28:29]
	s_delay_alu instid0(VALU_DEP_1)
	v_and_b32_e32 v28, 7, v2
; %bb.405:                              ;   in Loop: Header=BB237_13 Depth=1
	s_or_b32 exec_lo, exec_lo, s26
	v_lshlrev_b32_e32 v2, 24, v0
	s_delay_alu instid0(VALU_DEP_2) | instskip(SKIP_1) | instid1(VALU_DEP_3)
	v_lshlrev_b32_e32 v3, 20, v28
	v_lshl_add_u32 v1, v1, 23, 0x3c000000
	v_and_b32_e32 v2, 0x80000000, v2
	s_delay_alu instid0(VALU_DEP_1) | instskip(NEXT) | instid1(VALU_DEP_1)
	v_or3_b32 v28, v3, v2, v1
	v_dual_mov_b32 v175, v29 :: v_dual_mov_b32 v174, v28
.LBB237_406:                            ;   in Loop: Header=BB237_13 Depth=1
	s_or_b32 exec_lo, exec_lo, s25
.LBB237_407:                            ;   in Loop: Header=BB237_13 Depth=1
	s_delay_alu instid0(SALU_CYCLE_1)
	s_or_b32 exec_lo, exec_lo, s24
.LBB237_408:                            ;   in Loop: Header=BB237_13 Depth=1
	s_delay_alu instid0(SALU_CYCLE_1) | instskip(SKIP_2) | instid1(VALU_DEP_1)
	s_or_b32 exec_lo, exec_lo, s18
	v_lshrrev_b16 v1, 8, v0
	s_mov_b32 s24, exec_lo
	v_cmpx_ne_u16_e32 0, v1
	s_cbranch_execz .LBB237_416
; %bb.409:                              ;   in Loop: Header=BB237_13 Depth=1
	v_dual_mov_b32 v173, s17 :: v_dual_mov_b32 v172, s16
	s_mov_b32 s25, exec_lo
	v_cmpx_ne_u16_e32 0x80, v1
	s_cbranch_execz .LBB237_415
; %bb.410:                              ;   in Loop: Header=BB237_13 Depth=1
	s_mov_b32 s18, s16
	v_and_b32_e32 v1, 0xffff, v1
	v_dual_mov_b32 v173, s19 :: v_dual_mov_b32 v172, s18
	s_mov_b32 s18, exec_lo
	s_delay_alu instid0(VALU_DEP_2) | instskip(NEXT) | instid1(VALU_DEP_1)
	v_and_b32_e32 v2, 0x7f, v1
	v_cmpx_ne_u32_e32 0x7f, v2
	s_cbranch_execz .LBB237_414
; %bb.411:                              ;   in Loop: Header=BB237_13 Depth=1
	v_and_b32_e32 v28, 7, v1
	v_lshrrev_b32_e32 v1, 3, v2
	s_mov_b32 s26, exec_lo
	v_cmpx_gt_u32_e32 8, v2
; %bb.412:                              ;   in Loop: Header=BB237_13 Depth=1
	s_delay_alu instid0(VALU_DEP_3) | instskip(NEXT) | instid1(VALU_DEP_1)
	v_clz_i32_u32_e32 v1, v28
	v_min_u32_e32 v1, 32, v1
	s_delay_alu instid0(VALU_DEP_1) | instskip(SKIP_1) | instid1(VALU_DEP_2)
	v_subrev_nc_u32_e32 v2, 28, v1
	v_sub_nc_u32_e32 v1, 29, v1
	v_lshlrev_b64 v[2:3], v2, v[28:29]
	s_delay_alu instid0(VALU_DEP_1)
	v_and_b32_e32 v28, 7, v2
; %bb.413:                              ;   in Loop: Header=BB237_13 Depth=1
	s_or_b32 exec_lo, exec_lo, s26
	v_lshlrev_b32_e32 v0, 16, v0
	s_delay_alu instid0(VALU_DEP_2) | instskip(SKIP_2) | instid1(VALU_DEP_4)
	v_lshlrev_b32_e32 v2, 20, v28
	v_lshl_add_u32 v1, v1, 23, 0x3c000000
	v_mov_b32_e32 v172, v29
	v_and_b32_e32 v0, 0x80000000, v0
	s_delay_alu instid0(VALU_DEP_1)
	v_or3_b32 v173, v2, v0, v1
.LBB237_414:                            ;   in Loop: Header=BB237_13 Depth=1
	s_or_b32 exec_lo, exec_lo, s18
.LBB237_415:                            ;   in Loop: Header=BB237_13 Depth=1
	s_delay_alu instid0(SALU_CYCLE_1)
	s_or_b32 exec_lo, exec_lo, s25
.LBB237_416:                            ;   in Loop: Header=BB237_13 Depth=1
	s_delay_alu instid0(SALU_CYCLE_1)
	s_or_b32 exec_lo, exec_lo, s24
	flat_load_u16 v0, v[150:151] offset:1540
	v_mov_b32_e32 v184, 0
	v_mov_b32_e32 v185, 0
	s_mov_b32 s18, exec_lo
	s_waitcnt vmcnt(0) lgkmcnt(0)
	v_and_b32_e32 v1, 0xff, v0
	s_delay_alu instid0(VALU_DEP_2) | instskip(SKIP_1) | instid1(VALU_DEP_3)
	v_dual_mov_b32 v187, v185 :: v_dual_and_b32 v0, 0xffff, v0
	v_mov_b32_e32 v186, v184
	v_cmpx_ne_u16_e32 0, v1
	s_cbranch_execz .LBB237_424
; %bb.417:                              ;   in Loop: Header=BB237_13 Depth=1
	v_bfrev_b32_e32 v186, 1
	v_and_b32_e32 v1, 0xff, v0
	v_mov_b32_e32 v187, 0
	s_mov_b32 s24, exec_lo
	s_delay_alu instid0(VALU_DEP_2)
	v_cmpx_ne_u16_e32 0x80, v1
	s_cbranch_execz .LBB237_423
; %bb.418:                              ;   in Loop: Header=BB237_13 Depth=1
	v_mov_b32_e32 v186, 0x7f800001
	v_dual_mov_b32 v187, 0 :: v_dual_and_b32 v2, 0x7f, v0
	s_mov_b32 s25, exec_lo
	s_delay_alu instid0(VALU_DEP_1)
	v_cmpx_ne_u32_e32 0x7f, v2
	s_cbranch_execz .LBB237_422
; %bb.419:                              ;   in Loop: Header=BB237_13 Depth=1
	v_and_b32_e32 v28, 7, v0
	v_lshrrev_b32_e32 v1, 3, v2
	s_mov_b32 s26, exec_lo
	v_cmpx_gt_u32_e32 8, v2
; %bb.420:                              ;   in Loop: Header=BB237_13 Depth=1
	s_delay_alu instid0(VALU_DEP_3) | instskip(NEXT) | instid1(VALU_DEP_1)
	v_clz_i32_u32_e32 v1, v28
	v_min_u32_e32 v1, 32, v1
	s_delay_alu instid0(VALU_DEP_1) | instskip(SKIP_1) | instid1(VALU_DEP_2)
	v_subrev_nc_u32_e32 v2, 28, v1
	v_sub_nc_u32_e32 v1, 29, v1
	v_lshlrev_b64 v[2:3], v2, v[28:29]
	s_delay_alu instid0(VALU_DEP_1)
	v_and_b32_e32 v28, 7, v2
; %bb.421:                              ;   in Loop: Header=BB237_13 Depth=1
	s_or_b32 exec_lo, exec_lo, s26
	v_lshlrev_b32_e32 v2, 24, v0
	s_delay_alu instid0(VALU_DEP_2) | instskip(SKIP_1) | instid1(VALU_DEP_3)
	v_lshlrev_b32_e32 v3, 20, v28
	v_lshl_add_u32 v1, v1, 23, 0x3c000000
	v_and_b32_e32 v2, 0x80000000, v2
	s_delay_alu instid0(VALU_DEP_1) | instskip(NEXT) | instid1(VALU_DEP_1)
	v_or3_b32 v28, v3, v2, v1
	v_dual_mov_b32 v187, v29 :: v_dual_mov_b32 v186, v28
.LBB237_422:                            ;   in Loop: Header=BB237_13 Depth=1
	s_or_b32 exec_lo, exec_lo, s25
.LBB237_423:                            ;   in Loop: Header=BB237_13 Depth=1
	s_delay_alu instid0(SALU_CYCLE_1)
	s_or_b32 exec_lo, exec_lo, s24
.LBB237_424:                            ;   in Loop: Header=BB237_13 Depth=1
	s_delay_alu instid0(SALU_CYCLE_1) | instskip(SKIP_2) | instid1(VALU_DEP_1)
	s_or_b32 exec_lo, exec_lo, s18
	v_lshrrev_b16 v1, 8, v0
	s_mov_b32 s24, exec_lo
	v_cmpx_ne_u16_e32 0, v1
	s_cbranch_execz .LBB237_432
; %bb.425:                              ;   in Loop: Header=BB237_13 Depth=1
	v_dual_mov_b32 v185, s17 :: v_dual_mov_b32 v184, s16
	s_mov_b32 s25, exec_lo
	v_cmpx_ne_u16_e32 0x80, v1
	s_cbranch_execz .LBB237_431
; %bb.426:                              ;   in Loop: Header=BB237_13 Depth=1
	s_mov_b32 s18, s16
	v_and_b32_e32 v1, 0xffff, v1
	v_dual_mov_b32 v185, s19 :: v_dual_mov_b32 v184, s18
	s_mov_b32 s18, exec_lo
	s_delay_alu instid0(VALU_DEP_2) | instskip(NEXT) | instid1(VALU_DEP_1)
	v_and_b32_e32 v2, 0x7f, v1
	v_cmpx_ne_u32_e32 0x7f, v2
	s_cbranch_execz .LBB237_430
; %bb.427:                              ;   in Loop: Header=BB237_13 Depth=1
	v_and_b32_e32 v28, 7, v1
	v_lshrrev_b32_e32 v1, 3, v2
	s_mov_b32 s26, exec_lo
	v_cmpx_gt_u32_e32 8, v2
; %bb.428:                              ;   in Loop: Header=BB237_13 Depth=1
	s_delay_alu instid0(VALU_DEP_3) | instskip(NEXT) | instid1(VALU_DEP_1)
	v_clz_i32_u32_e32 v1, v28
	v_min_u32_e32 v1, 32, v1
	s_delay_alu instid0(VALU_DEP_1) | instskip(SKIP_1) | instid1(VALU_DEP_2)
	v_subrev_nc_u32_e32 v2, 28, v1
	v_sub_nc_u32_e32 v1, 29, v1
	v_lshlrev_b64 v[2:3], v2, v[28:29]
	s_delay_alu instid0(VALU_DEP_1)
	v_and_b32_e32 v28, 7, v2
; %bb.429:                              ;   in Loop: Header=BB237_13 Depth=1
	s_or_b32 exec_lo, exec_lo, s26
	v_lshlrev_b32_e32 v0, 16, v0
	s_delay_alu instid0(VALU_DEP_2) | instskip(SKIP_2) | instid1(VALU_DEP_4)
	v_lshlrev_b32_e32 v2, 20, v28
	v_lshl_add_u32 v1, v1, 23, 0x3c000000
	v_mov_b32_e32 v184, v29
	v_and_b32_e32 v0, 0x80000000, v0
	s_delay_alu instid0(VALU_DEP_1)
	v_or3_b32 v185, v2, v0, v1
.LBB237_430:                            ;   in Loop: Header=BB237_13 Depth=1
	s_or_b32 exec_lo, exec_lo, s18
.LBB237_431:                            ;   in Loop: Header=BB237_13 Depth=1
	s_delay_alu instid0(SALU_CYCLE_1)
	s_or_b32 exec_lo, exec_lo, s25
.LBB237_432:                            ;   in Loop: Header=BB237_13 Depth=1
	s_delay_alu instid0(SALU_CYCLE_1) | instskip(SKIP_1) | instid1(VALU_DEP_1)
	s_or_b32 exec_lo, exec_lo, s24
	v_add_co_u32 v0, s2, 0x600, v150
	v_add_co_ci_u32_e64 v1, s2, 0, v151, s2
	s_mov_b32 s18, exec_lo
	flat_load_u16 v2, v[0:1] offset:8
	v_mov_b32_e32 v188, 0
	v_mov_b32_e32 v189, 0
	s_waitcnt vmcnt(0) lgkmcnt(0)
	v_and_b32_e32 v3, 0xff, v2
	s_delay_alu instid0(VALU_DEP_2) | instskip(SKIP_1) | instid1(VALU_DEP_3)
	v_dual_mov_b32 v191, v189 :: v_dual_and_b32 v2, 0xffff, v2
	v_mov_b32_e32 v190, v188
	v_cmpx_ne_u16_e32 0, v3
	s_cbranch_execz .LBB237_440
; %bb.433:                              ;   in Loop: Header=BB237_13 Depth=1
	v_bfrev_b32_e32 v190, 1
	v_and_b32_e32 v3, 0xff, v2
	v_mov_b32_e32 v191, 0
	s_mov_b32 s24, exec_lo
	s_delay_alu instid0(VALU_DEP_2)
	v_cmpx_ne_u16_e32 0x80, v3
	s_cbranch_execz .LBB237_439
; %bb.434:                              ;   in Loop: Header=BB237_13 Depth=1
	v_mov_b32_e32 v190, 0x7f800001
	v_dual_mov_b32 v191, 0 :: v_dual_and_b32 v4, 0x7f, v2
	s_mov_b32 s25, exec_lo
	s_delay_alu instid0(VALU_DEP_1)
	v_cmpx_ne_u32_e32 0x7f, v4
	s_cbranch_execz .LBB237_438
; %bb.435:                              ;   in Loop: Header=BB237_13 Depth=1
	v_and_b32_e32 v28, 7, v2
	v_lshrrev_b32_e32 v3, 3, v4
	s_mov_b32 s26, exec_lo
	v_cmpx_gt_u32_e32 8, v4
; %bb.436:                              ;   in Loop: Header=BB237_13 Depth=1
	s_delay_alu instid0(VALU_DEP_3) | instskip(NEXT) | instid1(VALU_DEP_1)
	v_clz_i32_u32_e32 v3, v28
	v_min_u32_e32 v3, 32, v3
	s_delay_alu instid0(VALU_DEP_1) | instskip(SKIP_1) | instid1(VALU_DEP_2)
	v_subrev_nc_u32_e32 v4, 28, v3
	v_sub_nc_u32_e32 v3, 29, v3
	v_lshlrev_b64 v[4:5], v4, v[28:29]
	s_delay_alu instid0(VALU_DEP_1)
	v_and_b32_e32 v28, 7, v4
; %bb.437:                              ;   in Loop: Header=BB237_13 Depth=1
	s_or_b32 exec_lo, exec_lo, s26
	v_lshlrev_b32_e32 v4, 24, v2
	s_delay_alu instid0(VALU_DEP_2) | instskip(SKIP_1) | instid1(VALU_DEP_3)
	v_lshlrev_b32_e32 v5, 20, v28
	v_lshl_add_u32 v3, v3, 23, 0x3c000000
	v_and_b32_e32 v4, 0x80000000, v4
	s_delay_alu instid0(VALU_DEP_1) | instskip(NEXT) | instid1(VALU_DEP_1)
	v_or3_b32 v28, v5, v4, v3
	v_dual_mov_b32 v191, v29 :: v_dual_mov_b32 v190, v28
.LBB237_438:                            ;   in Loop: Header=BB237_13 Depth=1
	s_or_b32 exec_lo, exec_lo, s25
.LBB237_439:                            ;   in Loop: Header=BB237_13 Depth=1
	s_delay_alu instid0(SALU_CYCLE_1)
	s_or_b32 exec_lo, exec_lo, s24
.LBB237_440:                            ;   in Loop: Header=BB237_13 Depth=1
	s_delay_alu instid0(SALU_CYCLE_1) | instskip(SKIP_2) | instid1(VALU_DEP_1)
	s_or_b32 exec_lo, exec_lo, s18
	v_lshrrev_b16 v3, 8, v2
	s_mov_b32 s24, exec_lo
	v_cmpx_ne_u16_e32 0, v3
	s_cbranch_execz .LBB237_448
; %bb.441:                              ;   in Loop: Header=BB237_13 Depth=1
	v_dual_mov_b32 v189, s17 :: v_dual_mov_b32 v188, s16
	s_mov_b32 s25, exec_lo
	v_cmpx_ne_u16_e32 0x80, v3
	s_cbranch_execz .LBB237_447
; %bb.442:                              ;   in Loop: Header=BB237_13 Depth=1
	s_mov_b32 s18, s16
	v_and_b32_e32 v3, 0xffff, v3
	v_dual_mov_b32 v189, s19 :: v_dual_mov_b32 v188, s18
	s_mov_b32 s18, exec_lo
	s_delay_alu instid0(VALU_DEP_2) | instskip(NEXT) | instid1(VALU_DEP_1)
	v_and_b32_e32 v4, 0x7f, v3
	v_cmpx_ne_u32_e32 0x7f, v4
	s_cbranch_execz .LBB237_446
; %bb.443:                              ;   in Loop: Header=BB237_13 Depth=1
	v_and_b32_e32 v28, 7, v3
	v_lshrrev_b32_e32 v3, 3, v4
	s_mov_b32 s26, exec_lo
	v_cmpx_gt_u32_e32 8, v4
; %bb.444:                              ;   in Loop: Header=BB237_13 Depth=1
	s_delay_alu instid0(VALU_DEP_3) | instskip(NEXT) | instid1(VALU_DEP_1)
	v_clz_i32_u32_e32 v3, v28
	v_min_u32_e32 v3, 32, v3
	s_delay_alu instid0(VALU_DEP_1) | instskip(SKIP_1) | instid1(VALU_DEP_2)
	v_subrev_nc_u32_e32 v4, 28, v3
	v_sub_nc_u32_e32 v3, 29, v3
	v_lshlrev_b64 v[4:5], v4, v[28:29]
	s_delay_alu instid0(VALU_DEP_1)
	v_and_b32_e32 v28, 7, v4
; %bb.445:                              ;   in Loop: Header=BB237_13 Depth=1
	s_or_b32 exec_lo, exec_lo, s26
	v_lshlrev_b32_e32 v2, 16, v2
	s_delay_alu instid0(VALU_DEP_2) | instskip(SKIP_2) | instid1(VALU_DEP_4)
	v_lshlrev_b32_e32 v4, 20, v28
	v_lshl_add_u32 v3, v3, 23, 0x3c000000
	v_mov_b32_e32 v188, v29
	v_and_b32_e32 v2, 0x80000000, v2
	s_delay_alu instid0(VALU_DEP_1)
	v_or3_b32 v189, v4, v2, v3
.LBB237_446:                            ;   in Loop: Header=BB237_13 Depth=1
	s_or_b32 exec_lo, exec_lo, s18
.LBB237_447:                            ;   in Loop: Header=BB237_13 Depth=1
	s_delay_alu instid0(SALU_CYCLE_1)
	s_or_b32 exec_lo, exec_lo, s25
.LBB237_448:                            ;   in Loop: Header=BB237_13 Depth=1
	s_delay_alu instid0(SALU_CYCLE_1)
	s_or_b32 exec_lo, exec_lo, s24
	flat_load_u16 v0, v[0:1] offset:12
	v_mov_b32_e32 v114, 0
	v_mov_b32_e32 v115, 0
	s_mov_b32 s18, exec_lo
	s_waitcnt vmcnt(0) lgkmcnt(0)
	v_and_b32_e32 v1, 0xff, v0
	v_and_b32_e32 v0, 0xffff, v0
	v_dual_mov_b32 v4, v114 :: v_dual_mov_b32 v5, v115
	s_delay_alu instid0(VALU_DEP_3)
	v_cmpx_ne_u16_e32 0, v1
	s_cbranch_execz .LBB237_456
; %bb.449:                              ;   in Loop: Header=BB237_13 Depth=1
	v_bfrev_b32_e32 v4, 1
	v_and_b32_e32 v1, 0xff, v0
	v_mov_b32_e32 v5, 0
	s_mov_b32 s24, exec_lo
	s_delay_alu instid0(VALU_DEP_2)
	v_cmpx_ne_u16_e32 0x80, v1
	s_cbranch_execz .LBB237_455
; %bb.450:                              ;   in Loop: Header=BB237_13 Depth=1
	v_mov_b32_e32 v4, 0x7f800001
	v_dual_mov_b32 v5, 0 :: v_dual_and_b32 v2, 0x7f, v0
	s_mov_b32 s25, exec_lo
	s_delay_alu instid0(VALU_DEP_1)
	v_cmpx_ne_u32_e32 0x7f, v2
	s_cbranch_execz .LBB237_454
; %bb.451:                              ;   in Loop: Header=BB237_13 Depth=1
	v_and_b32_e32 v28, 7, v0
	v_lshrrev_b32_e32 v1, 3, v2
	s_mov_b32 s26, exec_lo
	v_cmpx_gt_u32_e32 8, v2
; %bb.452:                              ;   in Loop: Header=BB237_13 Depth=1
	s_delay_alu instid0(VALU_DEP_3) | instskip(NEXT) | instid1(VALU_DEP_1)
	v_clz_i32_u32_e32 v1, v28
	v_min_u32_e32 v1, 32, v1
	s_delay_alu instid0(VALU_DEP_1) | instskip(SKIP_1) | instid1(VALU_DEP_2)
	v_subrev_nc_u32_e32 v2, 28, v1
	v_sub_nc_u32_e32 v1, 29, v1
	v_lshlrev_b64 v[2:3], v2, v[28:29]
	s_delay_alu instid0(VALU_DEP_1)
	v_and_b32_e32 v28, 7, v2
; %bb.453:                              ;   in Loop: Header=BB237_13 Depth=1
	s_or_b32 exec_lo, exec_lo, s26
	v_lshlrev_b32_e32 v2, 24, v0
	s_delay_alu instid0(VALU_DEP_2) | instskip(SKIP_1) | instid1(VALU_DEP_3)
	v_lshlrev_b32_e32 v3, 20, v28
	v_lshl_add_u32 v1, v1, 23, 0x3c000000
	v_and_b32_e32 v2, 0x80000000, v2
	s_delay_alu instid0(VALU_DEP_1) | instskip(NEXT) | instid1(VALU_DEP_1)
	v_or3_b32 v28, v3, v2, v1
	v_dual_mov_b32 v4, v28 :: v_dual_mov_b32 v5, v29
.LBB237_454:                            ;   in Loop: Header=BB237_13 Depth=1
	s_or_b32 exec_lo, exec_lo, s25
.LBB237_455:                            ;   in Loop: Header=BB237_13 Depth=1
	s_delay_alu instid0(SALU_CYCLE_1)
	s_or_b32 exec_lo, exec_lo, s24
.LBB237_456:                            ;   in Loop: Header=BB237_13 Depth=1
	s_delay_alu instid0(SALU_CYCLE_1) | instskip(SKIP_2) | instid1(VALU_DEP_1)
	s_or_b32 exec_lo, exec_lo, s18
	v_lshrrev_b16 v1, 8, v0
	s_mov_b32 s24, exec_lo
	v_cmpx_ne_u16_e32 0, v1
	s_cbranch_execz .LBB237_464
; %bb.457:                              ;   in Loop: Header=BB237_13 Depth=1
	v_dual_mov_b32 v115, s17 :: v_dual_mov_b32 v114, s16
	s_mov_b32 s25, exec_lo
	v_cmpx_ne_u16_e32 0x80, v1
	s_cbranch_execz .LBB237_463
; %bb.458:                              ;   in Loop: Header=BB237_13 Depth=1
	s_mov_b32 s18, s16
	v_and_b32_e32 v1, 0xffff, v1
	v_dual_mov_b32 v115, s19 :: v_dual_mov_b32 v114, s18
	s_mov_b32 s18, exec_lo
	s_delay_alu instid0(VALU_DEP_2) | instskip(NEXT) | instid1(VALU_DEP_1)
	v_and_b32_e32 v2, 0x7f, v1
	v_cmpx_ne_u32_e32 0x7f, v2
	s_cbranch_execz .LBB237_462
; %bb.459:                              ;   in Loop: Header=BB237_13 Depth=1
	v_and_b32_e32 v28, 7, v1
	v_lshrrev_b32_e32 v1, 3, v2
	s_mov_b32 s26, exec_lo
	v_cmpx_gt_u32_e32 8, v2
; %bb.460:                              ;   in Loop: Header=BB237_13 Depth=1
	s_delay_alu instid0(VALU_DEP_3) | instskip(NEXT) | instid1(VALU_DEP_1)
	v_clz_i32_u32_e32 v1, v28
	v_min_u32_e32 v1, 32, v1
	s_delay_alu instid0(VALU_DEP_1) | instskip(SKIP_1) | instid1(VALU_DEP_2)
	v_subrev_nc_u32_e32 v2, 28, v1
	v_sub_nc_u32_e32 v1, 29, v1
	v_lshlrev_b64 v[2:3], v2, v[28:29]
	s_delay_alu instid0(VALU_DEP_1)
	v_and_b32_e32 v28, 7, v2
; %bb.461:                              ;   in Loop: Header=BB237_13 Depth=1
	s_or_b32 exec_lo, exec_lo, s26
	v_lshlrev_b32_e32 v0, 16, v0
	s_delay_alu instid0(VALU_DEP_2) | instskip(SKIP_2) | instid1(VALU_DEP_4)
	v_lshlrev_b32_e32 v2, 20, v28
	v_lshl_add_u32 v1, v1, 23, 0x3c000000
	v_mov_b32_e32 v114, v29
	v_and_b32_e32 v0, 0x80000000, v0
	s_delay_alu instid0(VALU_DEP_1)
	v_or3_b32 v115, v2, v0, v1
.LBB237_462:                            ;   in Loop: Header=BB237_13 Depth=1
	s_or_b32 exec_lo, exec_lo, s18
.LBB237_463:                            ;   in Loop: Header=BB237_13 Depth=1
	s_delay_alu instid0(SALU_CYCLE_1)
	s_or_b32 exec_lo, exec_lo, s25
.LBB237_464:                            ;   in Loop: Header=BB237_13 Depth=1
	s_delay_alu instid0(SALU_CYCLE_1)
	s_or_b32 exec_lo, exec_lo, s24
	flat_load_u16 v0, v[150:151] offset:1792
	v_mov_b32_e32 v116, 0
	v_mov_b32_e32 v117, 0
	s_mov_b32 s18, exec_lo
	s_waitcnt vmcnt(0) lgkmcnt(0)
	v_and_b32_e32 v1, 0xff, v0
	v_dual_mov_b32 v11, v116 :: v_dual_and_b32 v0, 0xffff, v0
	v_mov_b32_e32 v12, v117
	s_delay_alu instid0(VALU_DEP_3)
	v_cmpx_ne_u16_e32 0, v1
	s_cbranch_execz .LBB237_472
; %bb.465:                              ;   in Loop: Header=BB237_13 Depth=1
	v_bfrev_b32_e32 v11, 1
	v_dual_mov_b32 v12, 0 :: v_dual_and_b32 v1, 0xff, v0
	s_mov_b32 s24, exec_lo
	s_delay_alu instid0(VALU_DEP_1)
	v_cmpx_ne_u16_e32 0x80, v1
	s_cbranch_execz .LBB237_471
; %bb.466:                              ;   in Loop: Header=BB237_13 Depth=1
	v_mov_b32_e32 v11, 0x7f800001
	v_and_b32_e32 v2, 0x7f, v0
	v_mov_b32_e32 v12, 0
	s_mov_b32 s25, exec_lo
	s_delay_alu instid0(VALU_DEP_2)
	v_cmpx_ne_u32_e32 0x7f, v2
	s_cbranch_execz .LBB237_470
; %bb.467:                              ;   in Loop: Header=BB237_13 Depth=1
	v_and_b32_e32 v28, 7, v0
	v_lshrrev_b32_e32 v1, 3, v2
	s_mov_b32 s26, exec_lo
	v_cmpx_gt_u32_e32 8, v2
; %bb.468:                              ;   in Loop: Header=BB237_13 Depth=1
	s_delay_alu instid0(VALU_DEP_3) | instskip(NEXT) | instid1(VALU_DEP_1)
	v_clz_i32_u32_e32 v1, v28
	v_min_u32_e32 v1, 32, v1
	s_delay_alu instid0(VALU_DEP_1) | instskip(SKIP_1) | instid1(VALU_DEP_2)
	v_subrev_nc_u32_e32 v2, 28, v1
	v_sub_nc_u32_e32 v1, 29, v1
	v_lshlrev_b64 v[2:3], v2, v[28:29]
	s_delay_alu instid0(VALU_DEP_1)
	v_and_b32_e32 v28, 7, v2
; %bb.469:                              ;   in Loop: Header=BB237_13 Depth=1
	s_or_b32 exec_lo, exec_lo, s26
	v_lshlrev_b32_e32 v2, 24, v0
	s_delay_alu instid0(VALU_DEP_2) | instskip(SKIP_1) | instid1(VALU_DEP_3)
	v_lshlrev_b32_e32 v3, 20, v28
	v_lshl_add_u32 v1, v1, 23, 0x3c000000
	v_and_b32_e32 v2, 0x80000000, v2
	s_delay_alu instid0(VALU_DEP_1) | instskip(NEXT) | instid1(VALU_DEP_1)
	v_or3_b32 v28, v3, v2, v1
	v_dual_mov_b32 v11, v28 :: v_dual_mov_b32 v12, v29
.LBB237_470:                            ;   in Loop: Header=BB237_13 Depth=1
	s_or_b32 exec_lo, exec_lo, s25
.LBB237_471:                            ;   in Loop: Header=BB237_13 Depth=1
	s_delay_alu instid0(SALU_CYCLE_1)
	s_or_b32 exec_lo, exec_lo, s24
.LBB237_472:                            ;   in Loop: Header=BB237_13 Depth=1
	s_delay_alu instid0(SALU_CYCLE_1) | instskip(SKIP_2) | instid1(VALU_DEP_1)
	s_or_b32 exec_lo, exec_lo, s18
	v_lshrrev_b16 v1, 8, v0
	s_mov_b32 s24, exec_lo
	v_cmpx_ne_u16_e32 0, v1
	s_cbranch_execz .LBB237_480
; %bb.473:                              ;   in Loop: Header=BB237_13 Depth=1
	v_dual_mov_b32 v117, s17 :: v_dual_mov_b32 v116, s16
	s_mov_b32 s25, exec_lo
	v_cmpx_ne_u16_e32 0x80, v1
	s_cbranch_execz .LBB237_479
; %bb.474:                              ;   in Loop: Header=BB237_13 Depth=1
	s_mov_b32 s18, s16
	v_and_b32_e32 v1, 0xffff, v1
	v_dual_mov_b32 v117, s19 :: v_dual_mov_b32 v116, s18
	s_mov_b32 s18, exec_lo
	s_delay_alu instid0(VALU_DEP_2) | instskip(NEXT) | instid1(VALU_DEP_1)
	v_and_b32_e32 v2, 0x7f, v1
	v_cmpx_ne_u32_e32 0x7f, v2
	s_cbranch_execz .LBB237_478
; %bb.475:                              ;   in Loop: Header=BB237_13 Depth=1
	v_and_b32_e32 v28, 7, v1
	v_lshrrev_b32_e32 v1, 3, v2
	s_mov_b32 s26, exec_lo
	v_cmpx_gt_u32_e32 8, v2
; %bb.476:                              ;   in Loop: Header=BB237_13 Depth=1
	s_delay_alu instid0(VALU_DEP_3) | instskip(NEXT) | instid1(VALU_DEP_1)
	v_clz_i32_u32_e32 v1, v28
	v_min_u32_e32 v1, 32, v1
	s_delay_alu instid0(VALU_DEP_1) | instskip(SKIP_1) | instid1(VALU_DEP_2)
	v_subrev_nc_u32_e32 v2, 28, v1
	v_sub_nc_u32_e32 v1, 29, v1
	v_lshlrev_b64 v[2:3], v2, v[28:29]
	s_delay_alu instid0(VALU_DEP_1)
	v_and_b32_e32 v28, 7, v2
; %bb.477:                              ;   in Loop: Header=BB237_13 Depth=1
	s_or_b32 exec_lo, exec_lo, s26
	v_lshlrev_b32_e32 v0, 16, v0
	s_delay_alu instid0(VALU_DEP_2) | instskip(SKIP_2) | instid1(VALU_DEP_4)
	v_lshlrev_b32_e32 v2, 20, v28
	v_lshl_add_u32 v1, v1, 23, 0x3c000000
	v_mov_b32_e32 v116, v29
	v_and_b32_e32 v0, 0x80000000, v0
	s_delay_alu instid0(VALU_DEP_1)
	v_or3_b32 v117, v2, v0, v1
.LBB237_478:                            ;   in Loop: Header=BB237_13 Depth=1
	s_or_b32 exec_lo, exec_lo, s18
.LBB237_479:                            ;   in Loop: Header=BB237_13 Depth=1
	s_delay_alu instid0(SALU_CYCLE_1)
	s_or_b32 exec_lo, exec_lo, s25
.LBB237_480:                            ;   in Loop: Header=BB237_13 Depth=1
	s_delay_alu instid0(SALU_CYCLE_1)
	s_or_b32 exec_lo, exec_lo, s24
	flat_load_u16 v0, v[150:151] offset:1796
	v_mov_b32_e32 v21, 0
	s_waitcnt vmcnt(0) lgkmcnt(0)
	v_dual_mov_b32 v22, 0 :: v_dual_and_b32 v1, 0xff, v0
	v_and_b32_e32 v2, 0xffff, v0
	s_delay_alu instid0(VALU_DEP_2) | instskip(NEXT) | instid1(VALU_DEP_3)
	v_cmp_ne_u16_e64 s2, 0, v1
	v_dual_mov_b32 v0, v21 :: v_dual_mov_b32 v1, v22
	s_delay_alu instid0(VALU_DEP_2)
	s_and_saveexec_b32 s18, s2
	s_cbranch_execz .LBB237_488
; %bb.481:                              ;   in Loop: Header=BB237_13 Depth=1
	v_and_b32_e32 v0, 0xff, v2
	s_delay_alu instid0(VALU_DEP_1) | instskip(SKIP_2) | instid1(VALU_DEP_3)
	v_cmp_ne_u16_e64 s2, 0x80, v0
	v_bfrev_b32_e32 v0, 1
	v_mov_b32_e32 v1, 0
	s_and_saveexec_b32 s24, s2
	s_cbranch_execz .LBB237_487
; %bb.482:                              ;   in Loop: Header=BB237_13 Depth=1
	v_mov_b32_e32 v0, 0x7f800001
	v_and_b32_e32 v3, 0x7f, v2
	v_mov_b32_e32 v1, 0
	s_mov_b32 s25, exec_lo
	s_delay_alu instid0(VALU_DEP_2)
	v_cmpx_ne_u32_e32 0x7f, v3
	s_cbranch_execz .LBB237_486
; %bb.483:                              ;   in Loop: Header=BB237_13 Depth=1
	v_and_b32_e32 v28, 7, v2
	v_lshrrev_b32_e32 v0, 3, v3
	s_mov_b32 s26, exec_lo
	v_cmpx_gt_u32_e32 8, v3
; %bb.484:                              ;   in Loop: Header=BB237_13 Depth=1
	s_delay_alu instid0(VALU_DEP_3) | instskip(NEXT) | instid1(VALU_DEP_1)
	v_clz_i32_u32_e32 v0, v28
	v_min_u32_e32 v0, 32, v0
	s_delay_alu instid0(VALU_DEP_1) | instskip(SKIP_1) | instid1(VALU_DEP_2)
	v_subrev_nc_u32_e32 v1, 28, v0
	v_sub_nc_u32_e32 v0, 29, v0
	v_lshlrev_b64 v[6:7], v1, v[28:29]
	s_delay_alu instid0(VALU_DEP_1)
	v_and_b32_e32 v28, 7, v6
; %bb.485:                              ;   in Loop: Header=BB237_13 Depth=1
	s_or_b32 exec_lo, exec_lo, s26
	v_lshlrev_b32_e32 v1, 24, v2
	s_delay_alu instid0(VALU_DEP_2) | instskip(SKIP_1) | instid1(VALU_DEP_3)
	v_lshlrev_b32_e32 v3, 20, v28
	v_lshl_add_u32 v0, v0, 23, 0x3c000000
	v_and_b32_e32 v1, 0x80000000, v1
	s_delay_alu instid0(VALU_DEP_1) | instskip(NEXT) | instid1(VALU_DEP_1)
	v_or3_b32 v28, v3, v1, v0
	v_dual_mov_b32 v0, v28 :: v_dual_mov_b32 v1, v29
.LBB237_486:                            ;   in Loop: Header=BB237_13 Depth=1
	s_or_b32 exec_lo, exec_lo, s25
.LBB237_487:                            ;   in Loop: Header=BB237_13 Depth=1
	s_delay_alu instid0(SALU_CYCLE_1)
	s_or_b32 exec_lo, exec_lo, s24
.LBB237_488:                            ;   in Loop: Header=BB237_13 Depth=1
	s_delay_alu instid0(SALU_CYCLE_1) | instskip(SKIP_2) | instid1(VALU_DEP_1)
	s_or_b32 exec_lo, exec_lo, s18
	v_lshrrev_b16 v3, 8, v2
	s_mov_b32 s24, exec_lo
	v_cmpx_ne_u16_e32 0, v3
	s_cbranch_execz .LBB237_496
; %bb.489:                              ;   in Loop: Header=BB237_13 Depth=1
	v_dual_mov_b32 v22, s17 :: v_dual_mov_b32 v21, s16
	s_mov_b32 s25, exec_lo
	v_cmpx_ne_u16_e32 0x80, v3
	s_cbranch_execz .LBB237_495
; %bb.490:                              ;   in Loop: Header=BB237_13 Depth=1
	s_mov_b32 s18, s16
	v_dual_mov_b32 v22, s19 :: v_dual_and_b32 v3, 0xffff, v3
	v_mov_b32_e32 v21, s18
	s_mov_b32 s18, exec_lo
	s_delay_alu instid0(VALU_DEP_2) | instskip(NEXT) | instid1(VALU_DEP_1)
	v_and_b32_e32 v6, 0x7f, v3
	v_cmpx_ne_u32_e32 0x7f, v6
	s_cbranch_execz .LBB237_494
; %bb.491:                              ;   in Loop: Header=BB237_13 Depth=1
	v_and_b32_e32 v28, 7, v3
	v_lshrrev_b32_e32 v3, 3, v6
	s_mov_b32 s26, exec_lo
	v_cmpx_gt_u32_e32 8, v6
; %bb.492:                              ;   in Loop: Header=BB237_13 Depth=1
	s_delay_alu instid0(VALU_DEP_3) | instskip(NEXT) | instid1(VALU_DEP_1)
	v_clz_i32_u32_e32 v3, v28
	v_min_u32_e32 v3, 32, v3
	s_delay_alu instid0(VALU_DEP_1) | instskip(SKIP_1) | instid1(VALU_DEP_2)
	v_subrev_nc_u32_e32 v6, 28, v3
	v_sub_nc_u32_e32 v3, 29, v3
	v_lshlrev_b64 v[6:7], v6, v[28:29]
	s_delay_alu instid0(VALU_DEP_1)
	v_and_b32_e32 v28, 7, v6
; %bb.493:                              ;   in Loop: Header=BB237_13 Depth=1
	s_or_b32 exec_lo, exec_lo, s26
	v_dual_mov_b32 v21, v29 :: v_dual_lshlrev_b32 v2, 16, v2
	s_delay_alu instid0(VALU_DEP_2) | instskip(SKIP_1) | instid1(VALU_DEP_3)
	v_lshlrev_b32_e32 v6, 20, v28
	v_lshl_add_u32 v3, v3, 23, 0x3c000000
	v_and_b32_e32 v2, 0x80000000, v2
	s_delay_alu instid0(VALU_DEP_1)
	v_or3_b32 v22, v6, v2, v3
.LBB237_494:                            ;   in Loop: Header=BB237_13 Depth=1
	s_or_b32 exec_lo, exec_lo, s18
.LBB237_495:                            ;   in Loop: Header=BB237_13 Depth=1
	s_delay_alu instid0(SALU_CYCLE_1)
	s_or_b32 exec_lo, exec_lo, s25
.LBB237_496:                            ;   in Loop: Header=BB237_13 Depth=1
	s_delay_alu instid0(SALU_CYCLE_1) | instskip(SKIP_1) | instid1(VALU_DEP_1)
	s_or_b32 exec_lo, exec_lo, s24
	v_add_co_u32 v6, s2, 0x700, v150
	v_add_co_ci_u32_e64 v7, s2, 0, v151, s2
	s_mov_b32 s18, exec_lo
	flat_load_u16 v8, v[6:7] offset:8
	v_mov_b32_e32 v2, 0
	v_mov_b32_e32 v3, 0
	s_waitcnt vmcnt(0) lgkmcnt(0)
	v_and_b32_e32 v9, 0xff, v8
	s_delay_alu instid0(VALU_DEP_2) | instskip(SKIP_1) | instid1(VALU_DEP_3)
	v_dual_mov_b32 v15, v3 :: v_dual_and_b32 v8, 0xffff, v8
	v_mov_b32_e32 v14, v2
	v_cmpx_ne_u16_e32 0, v9
	s_cbranch_execz .LBB237_504
; %bb.497:                              ;   in Loop: Header=BB237_13 Depth=1
	v_bfrev_b32_e32 v14, 1
	v_and_b32_e32 v9, 0xff, v8
	v_mov_b32_e32 v15, 0
	s_mov_b32 s24, exec_lo
	s_delay_alu instid0(VALU_DEP_2)
	v_cmpx_ne_u16_e32 0x80, v9
	s_cbranch_execz .LBB237_503
; %bb.498:                              ;   in Loop: Header=BB237_13 Depth=1
	v_mov_b32_e32 v14, 0x7f800001
	v_dual_mov_b32 v15, 0 :: v_dual_and_b32 v16, 0x7f, v8
	s_mov_b32 s25, exec_lo
	s_delay_alu instid0(VALU_DEP_1)
	v_cmpx_ne_u32_e32 0x7f, v16
	s_cbranch_execz .LBB237_502
; %bb.499:                              ;   in Loop: Header=BB237_13 Depth=1
	v_and_b32_e32 v28, 7, v8
	v_lshrrev_b32_e32 v9, 3, v16
	s_mov_b32 s26, exec_lo
	v_cmpx_gt_u32_e32 8, v16
; %bb.500:                              ;   in Loop: Header=BB237_13 Depth=1
	s_delay_alu instid0(VALU_DEP_3) | instskip(NEXT) | instid1(VALU_DEP_1)
	v_clz_i32_u32_e32 v9, v28
	v_min_u32_e32 v9, 32, v9
	s_delay_alu instid0(VALU_DEP_1) | instskip(SKIP_1) | instid1(VALU_DEP_2)
	v_subrev_nc_u32_e32 v14, 28, v9
	v_sub_nc_u32_e32 v9, 29, v9
	v_lshlrev_b64 v[14:15], v14, v[28:29]
	s_delay_alu instid0(VALU_DEP_1)
	v_and_b32_e32 v28, 7, v14
; %bb.501:                              ;   in Loop: Header=BB237_13 Depth=1
	s_or_b32 exec_lo, exec_lo, s26
	v_lshlrev_b32_e32 v14, 24, v8
	s_delay_alu instid0(VALU_DEP_2) | instskip(SKIP_1) | instid1(VALU_DEP_3)
	v_lshlrev_b32_e32 v15, 20, v28
	v_lshl_add_u32 v9, v9, 23, 0x3c000000
	v_and_b32_e32 v14, 0x80000000, v14
	s_delay_alu instid0(VALU_DEP_1) | instskip(NEXT) | instid1(VALU_DEP_1)
	v_or3_b32 v28, v15, v14, v9
	v_dual_mov_b32 v14, v28 :: v_dual_mov_b32 v15, v29
.LBB237_502:                            ;   in Loop: Header=BB237_13 Depth=1
	s_or_b32 exec_lo, exec_lo, s25
.LBB237_503:                            ;   in Loop: Header=BB237_13 Depth=1
	s_delay_alu instid0(SALU_CYCLE_1)
	s_or_b32 exec_lo, exec_lo, s24
.LBB237_504:                            ;   in Loop: Header=BB237_13 Depth=1
	s_delay_alu instid0(SALU_CYCLE_1) | instskip(SKIP_2) | instid1(VALU_DEP_1)
	s_or_b32 exec_lo, exec_lo, s18
	v_lshrrev_b16 v9, 8, v8
	s_mov_b32 s24, exec_lo
	v_cmpx_ne_u16_e32 0, v9
	s_cbranch_execz .LBB237_512
; %bb.505:                              ;   in Loop: Header=BB237_13 Depth=1
	v_dual_mov_b32 v2, s16 :: v_dual_mov_b32 v3, s17
	s_mov_b32 s25, exec_lo
	v_cmpx_ne_u16_e32 0x80, v9
	s_cbranch_execz .LBB237_511
; %bb.506:                              ;   in Loop: Header=BB237_13 Depth=1
	s_mov_b32 s18, s16
	v_and_b32_e32 v16, 0xffff, v9
	v_dual_mov_b32 v2, s18 :: v_dual_mov_b32 v3, s19
	s_mov_b32 s18, exec_lo
	s_delay_alu instid0(VALU_DEP_2) | instskip(NEXT) | instid1(VALU_DEP_1)
	v_and_b32_e32 v9, 0x7f, v16
	v_cmpx_ne_u32_e32 0x7f, v9
	s_cbranch_execz .LBB237_510
; %bb.507:                              ;   in Loop: Header=BB237_13 Depth=1
	v_and_b32_e32 v28, 7, v16
	v_lshrrev_b32_e32 v2, 3, v9
	s_mov_b32 s26, exec_lo
	v_cmpx_gt_u32_e32 8, v9
; %bb.508:                              ;   in Loop: Header=BB237_13 Depth=1
	s_delay_alu instid0(VALU_DEP_3) | instskip(NEXT) | instid1(VALU_DEP_1)
	v_clz_i32_u32_e32 v2, v28
	v_min_u32_e32 v2, 32, v2
	s_delay_alu instid0(VALU_DEP_1) | instskip(SKIP_1) | instid1(VALU_DEP_2)
	v_subrev_nc_u32_e32 v3, 28, v2
	v_sub_nc_u32_e32 v2, 29, v2
	v_lshlrev_b64 v[16:17], v3, v[28:29]
	s_delay_alu instid0(VALU_DEP_1)
	v_and_b32_e32 v28, 7, v16
; %bb.509:                              ;   in Loop: Header=BB237_13 Depth=1
	s_or_b32 exec_lo, exec_lo, s26
	v_lshlrev_b32_e32 v3, 16, v8
	s_delay_alu instid0(VALU_DEP_2) | instskip(SKIP_1) | instid1(VALU_DEP_3)
	v_lshlrev_b32_e32 v8, 20, v28
	v_lshl_add_u32 v2, v2, 23, 0x3c000000
	v_and_b32_e32 v3, 0x80000000, v3
	s_delay_alu instid0(VALU_DEP_1)
	v_or3_b32 v3, v8, v3, v2
	v_mov_b32_e32 v2, v29
.LBB237_510:                            ;   in Loop: Header=BB237_13 Depth=1
	s_or_b32 exec_lo, exec_lo, s18
.LBB237_511:                            ;   in Loop: Header=BB237_13 Depth=1
	s_delay_alu instid0(SALU_CYCLE_1)
	s_or_b32 exec_lo, exec_lo, s25
.LBB237_512:                            ;   in Loop: Header=BB237_13 Depth=1
	s_delay_alu instid0(SALU_CYCLE_1)
	s_or_b32 exec_lo, exec_lo, s24
	flat_load_u16 v6, v[6:7] offset:12
	v_mov_b32_e32 v26, 0
	v_mov_b32_e32 v27, 0
	s_mov_b32 s18, exec_lo
	s_waitcnt vmcnt(0) lgkmcnt(0)
	v_and_b32_e32 v7, 0xff, v6
	s_delay_alu instid0(VALU_DEP_2) | instskip(SKIP_1) | instid1(VALU_DEP_3)
	v_dual_mov_b32 v129, v27 :: v_dual_and_b32 v6, 0xffff, v6
	v_mov_b32_e32 v128, v26
	v_cmpx_ne_u16_e32 0, v7
	s_cbranch_execz .LBB237_520
; %bb.513:                              ;   in Loop: Header=BB237_13 Depth=1
	v_bfrev_b32_e32 v128, 1
	v_and_b32_e32 v7, 0xff, v6
	v_mov_b32_e32 v129, 0
	s_mov_b32 s24, exec_lo
	s_delay_alu instid0(VALU_DEP_2)
	v_cmpx_ne_u16_e32 0x80, v7
	s_cbranch_execz .LBB237_519
; %bb.514:                              ;   in Loop: Header=BB237_13 Depth=1
	v_mov_b32_e32 v128, 0x7f800001
	v_dual_mov_b32 v129, 0 :: v_dual_and_b32 v8, 0x7f, v6
	s_mov_b32 s25, exec_lo
	s_delay_alu instid0(VALU_DEP_1)
	v_cmpx_ne_u32_e32 0x7f, v8
	s_cbranch_execz .LBB237_518
; %bb.515:                              ;   in Loop: Header=BB237_13 Depth=1
	v_and_b32_e32 v28, 7, v6
	v_lshrrev_b32_e32 v7, 3, v8
	s_mov_b32 s26, exec_lo
	v_cmpx_gt_u32_e32 8, v8
; %bb.516:                              ;   in Loop: Header=BB237_13 Depth=1
	s_delay_alu instid0(VALU_DEP_3) | instskip(NEXT) | instid1(VALU_DEP_1)
	v_clz_i32_u32_e32 v7, v28
	v_min_u32_e32 v7, 32, v7
	s_delay_alu instid0(VALU_DEP_1) | instskip(SKIP_1) | instid1(VALU_DEP_2)
	v_subrev_nc_u32_e32 v8, 28, v7
	v_sub_nc_u32_e32 v7, 29, v7
	v_lshlrev_b64 v[8:9], v8, v[28:29]
	s_delay_alu instid0(VALU_DEP_1)
	v_and_b32_e32 v28, 7, v8
; %bb.517:                              ;   in Loop: Header=BB237_13 Depth=1
	s_or_b32 exec_lo, exec_lo, s26
	v_lshlrev_b32_e32 v8, 24, v6
	s_delay_alu instid0(VALU_DEP_2) | instskip(SKIP_1) | instid1(VALU_DEP_3)
	v_lshlrev_b32_e32 v9, 20, v28
	v_lshl_add_u32 v7, v7, 23, 0x3c000000
	v_and_b32_e32 v8, 0x80000000, v8
	s_delay_alu instid0(VALU_DEP_1) | instskip(NEXT) | instid1(VALU_DEP_1)
	v_or3_b32 v28, v9, v8, v7
	v_dual_mov_b32 v129, v29 :: v_dual_mov_b32 v128, v28
.LBB237_518:                            ;   in Loop: Header=BB237_13 Depth=1
	s_or_b32 exec_lo, exec_lo, s25
.LBB237_519:                            ;   in Loop: Header=BB237_13 Depth=1
	s_delay_alu instid0(SALU_CYCLE_1)
	s_or_b32 exec_lo, exec_lo, s24
.LBB237_520:                            ;   in Loop: Header=BB237_13 Depth=1
	s_delay_alu instid0(SALU_CYCLE_1) | instskip(SKIP_2) | instid1(VALU_DEP_1)
	s_or_b32 exec_lo, exec_lo, s18
	v_lshrrev_b16 v7, 8, v6
	s_mov_b32 s24, exec_lo
	v_cmpx_ne_u16_e32 0, v7
	s_cbranch_execz .LBB237_528
; %bb.521:                              ;   in Loop: Header=BB237_13 Depth=1
	v_dual_mov_b32 v27, s17 :: v_dual_mov_b32 v26, s16
	s_mov_b32 s25, exec_lo
	v_cmpx_ne_u16_e32 0x80, v7
	s_cbranch_execz .LBB237_527
; %bb.522:                              ;   in Loop: Header=BB237_13 Depth=1
	s_mov_b32 s18, s16
	v_and_b32_e32 v7, 0xffff, v7
	v_dual_mov_b32 v27, s19 :: v_dual_mov_b32 v26, s18
	s_mov_b32 s18, exec_lo
	s_delay_alu instid0(VALU_DEP_2) | instskip(NEXT) | instid1(VALU_DEP_1)
	v_and_b32_e32 v8, 0x7f, v7
	v_cmpx_ne_u32_e32 0x7f, v8
	s_cbranch_execz .LBB237_526
; %bb.523:                              ;   in Loop: Header=BB237_13 Depth=1
	v_and_b32_e32 v28, 7, v7
	v_lshrrev_b32_e32 v7, 3, v8
	s_mov_b32 s26, exec_lo
	v_cmpx_gt_u32_e32 8, v8
; %bb.524:                              ;   in Loop: Header=BB237_13 Depth=1
	s_delay_alu instid0(VALU_DEP_3) | instskip(NEXT) | instid1(VALU_DEP_1)
	v_clz_i32_u32_e32 v7, v28
	v_min_u32_e32 v7, 32, v7
	s_delay_alu instid0(VALU_DEP_1) | instskip(SKIP_1) | instid1(VALU_DEP_2)
	v_subrev_nc_u32_e32 v8, 28, v7
	v_sub_nc_u32_e32 v7, 29, v7
	v_lshlrev_b64 v[8:9], v8, v[28:29]
	s_delay_alu instid0(VALU_DEP_1)
	v_and_b32_e32 v28, 7, v8
; %bb.525:                              ;   in Loop: Header=BB237_13 Depth=1
	s_or_b32 exec_lo, exec_lo, s26
	v_lshlrev_b32_e32 v6, 16, v6
	s_delay_alu instid0(VALU_DEP_2) | instskip(SKIP_2) | instid1(VALU_DEP_4)
	v_lshlrev_b32_e32 v8, 20, v28
	v_lshl_add_u32 v7, v7, 23, 0x3c000000
	v_mov_b32_e32 v26, v29
	v_and_b32_e32 v6, 0x80000000, v6
	s_delay_alu instid0(VALU_DEP_1)
	v_or3_b32 v27, v8, v6, v7
.LBB237_526:                            ;   in Loop: Header=BB237_13 Depth=1
	s_or_b32 exec_lo, exec_lo, s18
.LBB237_527:                            ;   in Loop: Header=BB237_13 Depth=1
	s_delay_alu instid0(SALU_CYCLE_1)
	s_or_b32 exec_lo, exec_lo, s25
.LBB237_528:                            ;   in Loop: Header=BB237_13 Depth=1
	s_delay_alu instid0(SALU_CYCLE_1)
	s_or_b32 exec_lo, exec_lo, s24
	flat_load_u16 v6, v[150:151] offset:2048
	v_mov_b32_e32 v23, 0
	v_mov_b32_e32 v24, 0
	s_mov_b32 s18, exec_lo
	s_waitcnt vmcnt(0) lgkmcnt(0)
	v_and_b32_e32 v7, 0xff, v6
	s_delay_alu instid0(VALU_DEP_2) | instskip(SKIP_1) | instid1(VALU_DEP_3)
	v_dual_mov_b32 v133, v24 :: v_dual_and_b32 v6, 0xffff, v6
	v_mov_b32_e32 v132, v23
	v_cmpx_ne_u16_e32 0, v7
	s_cbranch_execz .LBB237_536
; %bb.529:                              ;   in Loop: Header=BB237_13 Depth=1
	v_bfrev_b32_e32 v132, 1
	v_and_b32_e32 v7, 0xff, v6
	v_mov_b32_e32 v133, 0
	s_mov_b32 s24, exec_lo
	s_delay_alu instid0(VALU_DEP_2)
	v_cmpx_ne_u16_e32 0x80, v7
	s_cbranch_execz .LBB237_535
; %bb.530:                              ;   in Loop: Header=BB237_13 Depth=1
	v_mov_b32_e32 v132, 0x7f800001
	v_dual_mov_b32 v133, 0 :: v_dual_and_b32 v8, 0x7f, v6
	s_mov_b32 s25, exec_lo
	s_delay_alu instid0(VALU_DEP_1)
	v_cmpx_ne_u32_e32 0x7f, v8
	s_cbranch_execz .LBB237_534
; %bb.531:                              ;   in Loop: Header=BB237_13 Depth=1
	v_and_b32_e32 v28, 7, v6
	v_lshrrev_b32_e32 v7, 3, v8
	s_mov_b32 s26, exec_lo
	v_cmpx_gt_u32_e32 8, v8
; %bb.532:                              ;   in Loop: Header=BB237_13 Depth=1
	s_delay_alu instid0(VALU_DEP_3) | instskip(NEXT) | instid1(VALU_DEP_1)
	v_clz_i32_u32_e32 v7, v28
	v_min_u32_e32 v7, 32, v7
	s_delay_alu instid0(VALU_DEP_1) | instskip(SKIP_1) | instid1(VALU_DEP_2)
	v_subrev_nc_u32_e32 v8, 28, v7
	v_sub_nc_u32_e32 v7, 29, v7
	v_lshlrev_b64 v[8:9], v8, v[28:29]
	s_delay_alu instid0(VALU_DEP_1)
	v_and_b32_e32 v28, 7, v8
; %bb.533:                              ;   in Loop: Header=BB237_13 Depth=1
	s_or_b32 exec_lo, exec_lo, s26
	v_lshlrev_b32_e32 v8, 24, v6
	s_delay_alu instid0(VALU_DEP_2) | instskip(SKIP_1) | instid1(VALU_DEP_3)
	v_lshlrev_b32_e32 v9, 20, v28
	v_lshl_add_u32 v7, v7, 23, 0x3c000000
	v_and_b32_e32 v8, 0x80000000, v8
	s_delay_alu instid0(VALU_DEP_1) | instskip(NEXT) | instid1(VALU_DEP_1)
	v_or3_b32 v28, v9, v8, v7
	v_dual_mov_b32 v133, v29 :: v_dual_mov_b32 v132, v28
.LBB237_534:                            ;   in Loop: Header=BB237_13 Depth=1
	s_or_b32 exec_lo, exec_lo, s25
.LBB237_535:                            ;   in Loop: Header=BB237_13 Depth=1
	s_delay_alu instid0(SALU_CYCLE_1)
	s_or_b32 exec_lo, exec_lo, s24
.LBB237_536:                            ;   in Loop: Header=BB237_13 Depth=1
	s_delay_alu instid0(SALU_CYCLE_1) | instskip(SKIP_2) | instid1(VALU_DEP_1)
	s_or_b32 exec_lo, exec_lo, s18
	v_lshrrev_b16 v7, 8, v6
	s_mov_b32 s24, exec_lo
	v_cmpx_ne_u16_e32 0, v7
	s_cbranch_execz .LBB237_544
; %bb.537:                              ;   in Loop: Header=BB237_13 Depth=1
	v_dual_mov_b32 v24, s17 :: v_dual_mov_b32 v23, s16
	s_mov_b32 s25, exec_lo
	v_cmpx_ne_u16_e32 0x80, v7
	s_cbranch_execz .LBB237_543
; %bb.538:                              ;   in Loop: Header=BB237_13 Depth=1
	s_mov_b32 s18, s16
	v_dual_mov_b32 v24, s19 :: v_dual_and_b32 v7, 0xffff, v7
	v_mov_b32_e32 v23, s18
	s_mov_b32 s18, exec_lo
	s_delay_alu instid0(VALU_DEP_2) | instskip(NEXT) | instid1(VALU_DEP_1)
	v_and_b32_e32 v8, 0x7f, v7
	v_cmpx_ne_u32_e32 0x7f, v8
	s_cbranch_execz .LBB237_542
; %bb.539:                              ;   in Loop: Header=BB237_13 Depth=1
	v_and_b32_e32 v28, 7, v7
	v_lshrrev_b32_e32 v7, 3, v8
	s_mov_b32 s26, exec_lo
	v_cmpx_gt_u32_e32 8, v8
; %bb.540:                              ;   in Loop: Header=BB237_13 Depth=1
	s_delay_alu instid0(VALU_DEP_3) | instskip(NEXT) | instid1(VALU_DEP_1)
	v_clz_i32_u32_e32 v7, v28
	v_min_u32_e32 v7, 32, v7
	s_delay_alu instid0(VALU_DEP_1) | instskip(SKIP_1) | instid1(VALU_DEP_2)
	v_subrev_nc_u32_e32 v8, 28, v7
	v_sub_nc_u32_e32 v7, 29, v7
	v_lshlrev_b64 v[8:9], v8, v[28:29]
	s_delay_alu instid0(VALU_DEP_1)
	v_and_b32_e32 v28, 7, v8
; %bb.541:                              ;   in Loop: Header=BB237_13 Depth=1
	s_or_b32 exec_lo, exec_lo, s26
	v_dual_mov_b32 v23, v29 :: v_dual_lshlrev_b32 v6, 16, v6
	s_delay_alu instid0(VALU_DEP_2) | instskip(SKIP_1) | instid1(VALU_DEP_3)
	v_lshlrev_b32_e32 v8, 20, v28
	v_lshl_add_u32 v7, v7, 23, 0x3c000000
	v_and_b32_e32 v6, 0x80000000, v6
	s_delay_alu instid0(VALU_DEP_1)
	v_or3_b32 v24, v8, v6, v7
.LBB237_542:                            ;   in Loop: Header=BB237_13 Depth=1
	s_or_b32 exec_lo, exec_lo, s18
.LBB237_543:                            ;   in Loop: Header=BB237_13 Depth=1
	s_delay_alu instid0(SALU_CYCLE_1)
	s_or_b32 exec_lo, exec_lo, s25
.LBB237_544:                            ;   in Loop: Header=BB237_13 Depth=1
	s_delay_alu instid0(SALU_CYCLE_1)
	s_or_b32 exec_lo, exec_lo, s24
	flat_load_u16 v6, v[150:151] offset:2052
	v_mov_b32_e32 v144, 0
	v_mov_b32_e32 v145, 0
	s_mov_b32 s18, exec_lo
	s_waitcnt vmcnt(0) lgkmcnt(0)
	v_and_b32_e32 v7, 0xff, v6
	s_delay_alu instid0(VALU_DEP_2) | instskip(SKIP_1) | instid1(VALU_DEP_3)
	v_dual_mov_b32 v149, v145 :: v_dual_and_b32 v6, 0xffff, v6
	v_mov_b32_e32 v148, v144
	v_cmpx_ne_u16_e32 0, v7
	s_cbranch_execz .LBB237_552
; %bb.545:                              ;   in Loop: Header=BB237_13 Depth=1
	v_bfrev_b32_e32 v148, 1
	v_and_b32_e32 v7, 0xff, v6
	v_mov_b32_e32 v149, 0
	s_mov_b32 s24, exec_lo
	s_delay_alu instid0(VALU_DEP_2)
	v_cmpx_ne_u16_e32 0x80, v7
	s_cbranch_execz .LBB237_551
; %bb.546:                              ;   in Loop: Header=BB237_13 Depth=1
	v_mov_b32_e32 v148, 0x7f800001
	v_dual_mov_b32 v149, 0 :: v_dual_and_b32 v8, 0x7f, v6
	s_mov_b32 s25, exec_lo
	s_delay_alu instid0(VALU_DEP_1)
	v_cmpx_ne_u32_e32 0x7f, v8
	s_cbranch_execz .LBB237_550
; %bb.547:                              ;   in Loop: Header=BB237_13 Depth=1
	v_and_b32_e32 v28, 7, v6
	v_lshrrev_b32_e32 v7, 3, v8
	s_mov_b32 s26, exec_lo
	v_cmpx_gt_u32_e32 8, v8
; %bb.548:                              ;   in Loop: Header=BB237_13 Depth=1
	s_delay_alu instid0(VALU_DEP_3) | instskip(NEXT) | instid1(VALU_DEP_1)
	v_clz_i32_u32_e32 v7, v28
	v_min_u32_e32 v7, 32, v7
	s_delay_alu instid0(VALU_DEP_1) | instskip(SKIP_1) | instid1(VALU_DEP_2)
	v_subrev_nc_u32_e32 v8, 28, v7
	v_sub_nc_u32_e32 v7, 29, v7
	v_lshlrev_b64 v[8:9], v8, v[28:29]
	s_delay_alu instid0(VALU_DEP_1)
	v_and_b32_e32 v28, 7, v8
; %bb.549:                              ;   in Loop: Header=BB237_13 Depth=1
	s_or_b32 exec_lo, exec_lo, s26
	v_lshlrev_b32_e32 v8, 24, v6
	s_delay_alu instid0(VALU_DEP_2) | instskip(SKIP_1) | instid1(VALU_DEP_3)
	v_lshlrev_b32_e32 v9, 20, v28
	v_lshl_add_u32 v7, v7, 23, 0x3c000000
	v_and_b32_e32 v8, 0x80000000, v8
	s_delay_alu instid0(VALU_DEP_1) | instskip(NEXT) | instid1(VALU_DEP_1)
	v_or3_b32 v28, v9, v8, v7
	v_dual_mov_b32 v149, v29 :: v_dual_mov_b32 v148, v28
.LBB237_550:                            ;   in Loop: Header=BB237_13 Depth=1
	s_or_b32 exec_lo, exec_lo, s25
.LBB237_551:                            ;   in Loop: Header=BB237_13 Depth=1
	s_delay_alu instid0(SALU_CYCLE_1)
	s_or_b32 exec_lo, exec_lo, s24
.LBB237_552:                            ;   in Loop: Header=BB237_13 Depth=1
	s_delay_alu instid0(SALU_CYCLE_1) | instskip(SKIP_2) | instid1(VALU_DEP_1)
	s_or_b32 exec_lo, exec_lo, s18
	v_lshrrev_b16 v7, 8, v6
	s_mov_b32 s24, exec_lo
	v_cmpx_ne_u16_e32 0, v7
	s_cbranch_execz .LBB237_560
; %bb.553:                              ;   in Loop: Header=BB237_13 Depth=1
	v_dual_mov_b32 v145, s17 :: v_dual_mov_b32 v144, s16
	s_mov_b32 s25, exec_lo
	v_cmpx_ne_u16_e32 0x80, v7
	s_cbranch_execz .LBB237_559
; %bb.554:                              ;   in Loop: Header=BB237_13 Depth=1
	s_mov_b32 s18, s16
	v_and_b32_e32 v7, 0xffff, v7
	v_dual_mov_b32 v145, s19 :: v_dual_mov_b32 v144, s18
	s_mov_b32 s18, exec_lo
	s_delay_alu instid0(VALU_DEP_2) | instskip(NEXT) | instid1(VALU_DEP_1)
	v_and_b32_e32 v8, 0x7f, v7
	v_cmpx_ne_u32_e32 0x7f, v8
	s_cbranch_execz .LBB237_558
; %bb.555:                              ;   in Loop: Header=BB237_13 Depth=1
	v_and_b32_e32 v28, 7, v7
	v_lshrrev_b32_e32 v7, 3, v8
	s_mov_b32 s26, exec_lo
	v_cmpx_gt_u32_e32 8, v8
; %bb.556:                              ;   in Loop: Header=BB237_13 Depth=1
	s_delay_alu instid0(VALU_DEP_3) | instskip(NEXT) | instid1(VALU_DEP_1)
	v_clz_i32_u32_e32 v7, v28
	v_min_u32_e32 v7, 32, v7
	s_delay_alu instid0(VALU_DEP_1) | instskip(SKIP_1) | instid1(VALU_DEP_2)
	v_subrev_nc_u32_e32 v8, 28, v7
	v_sub_nc_u32_e32 v7, 29, v7
	v_lshlrev_b64 v[8:9], v8, v[28:29]
	s_delay_alu instid0(VALU_DEP_1)
	v_and_b32_e32 v28, 7, v8
; %bb.557:                              ;   in Loop: Header=BB237_13 Depth=1
	s_or_b32 exec_lo, exec_lo, s26
	v_lshlrev_b32_e32 v6, 16, v6
	s_delay_alu instid0(VALU_DEP_2) | instskip(SKIP_2) | instid1(VALU_DEP_4)
	v_lshlrev_b32_e32 v8, 20, v28
	v_lshl_add_u32 v7, v7, 23, 0x3c000000
	v_mov_b32_e32 v144, v29
	v_and_b32_e32 v6, 0x80000000, v6
	s_delay_alu instid0(VALU_DEP_1)
	v_or3_b32 v145, v8, v6, v7
.LBB237_558:                            ;   in Loop: Header=BB237_13 Depth=1
	s_or_b32 exec_lo, exec_lo, s18
.LBB237_559:                            ;   in Loop: Header=BB237_13 Depth=1
	s_delay_alu instid0(SALU_CYCLE_1)
	s_or_b32 exec_lo, exec_lo, s25
.LBB237_560:                            ;   in Loop: Header=BB237_13 Depth=1
	s_delay_alu instid0(SALU_CYCLE_1) | instskip(SKIP_1) | instid1(VALU_DEP_1)
	s_or_b32 exec_lo, exec_lo, s24
	v_add_co_u32 v6, s2, 0x800, v150
	v_add_co_ci_u32_e64 v7, s2, 0, v151, s2
	s_mov_b32 s18, exec_lo
	flat_load_u16 v8, v[6:7] offset:8
	v_mov_b32_e32 v162, 0
	v_mov_b32_e32 v163, 0
	s_waitcnt vmcnt(0) lgkmcnt(0)
	v_and_b32_e32 v9, 0xff, v8
	s_delay_alu instid0(VALU_DEP_2) | instskip(SKIP_1) | instid1(VALU_DEP_3)
	v_dual_mov_b32 v167, v163 :: v_dual_and_b32 v8, 0xffff, v8
	v_mov_b32_e32 v166, v162
	v_cmpx_ne_u16_e32 0, v9
	s_cbranch_execz .LBB237_568
; %bb.561:                              ;   in Loop: Header=BB237_13 Depth=1
	v_bfrev_b32_e32 v166, 1
	v_and_b32_e32 v9, 0xff, v8
	v_mov_b32_e32 v167, 0
	s_mov_b32 s24, exec_lo
	s_delay_alu instid0(VALU_DEP_2)
	v_cmpx_ne_u16_e32 0x80, v9
	s_cbranch_execz .LBB237_567
; %bb.562:                              ;   in Loop: Header=BB237_13 Depth=1
	v_mov_b32_e32 v166, 0x7f800001
	v_dual_mov_b32 v167, 0 :: v_dual_and_b32 v16, 0x7f, v8
	s_mov_b32 s25, exec_lo
	s_delay_alu instid0(VALU_DEP_1)
	v_cmpx_ne_u32_e32 0x7f, v16
	s_cbranch_execz .LBB237_566
; %bb.563:                              ;   in Loop: Header=BB237_13 Depth=1
	v_and_b32_e32 v28, 7, v8
	v_lshrrev_b32_e32 v9, 3, v16
	s_mov_b32 s26, exec_lo
	v_cmpx_gt_u32_e32 8, v16
; %bb.564:                              ;   in Loop: Header=BB237_13 Depth=1
	s_delay_alu instid0(VALU_DEP_3) | instskip(NEXT) | instid1(VALU_DEP_1)
	v_clz_i32_u32_e32 v9, v28
	v_min_u32_e32 v9, 32, v9
	s_delay_alu instid0(VALU_DEP_1) | instskip(SKIP_1) | instid1(VALU_DEP_2)
	v_subrev_nc_u32_e32 v16, 28, v9
	v_sub_nc_u32_e32 v9, 29, v9
	v_lshlrev_b64 v[16:17], v16, v[28:29]
	s_delay_alu instid0(VALU_DEP_1)
	v_and_b32_e32 v28, 7, v16
; %bb.565:                              ;   in Loop: Header=BB237_13 Depth=1
	s_or_b32 exec_lo, exec_lo, s26
	v_lshlrev_b32_e32 v16, 24, v8
	s_delay_alu instid0(VALU_DEP_2) | instskip(SKIP_1) | instid1(VALU_DEP_3)
	v_lshlrev_b32_e32 v17, 20, v28
	v_lshl_add_u32 v9, v9, 23, 0x3c000000
	v_and_b32_e32 v16, 0x80000000, v16
	s_delay_alu instid0(VALU_DEP_1) | instskip(NEXT) | instid1(VALU_DEP_1)
	v_or3_b32 v28, v17, v16, v9
	v_dual_mov_b32 v167, v29 :: v_dual_mov_b32 v166, v28
.LBB237_566:                            ;   in Loop: Header=BB237_13 Depth=1
	s_or_b32 exec_lo, exec_lo, s25
.LBB237_567:                            ;   in Loop: Header=BB237_13 Depth=1
	s_delay_alu instid0(SALU_CYCLE_1)
	s_or_b32 exec_lo, exec_lo, s24
.LBB237_568:                            ;   in Loop: Header=BB237_13 Depth=1
	s_delay_alu instid0(SALU_CYCLE_1) | instskip(SKIP_2) | instid1(VALU_DEP_1)
	s_or_b32 exec_lo, exec_lo, s18
	v_lshrrev_b16 v9, 8, v8
	s_mov_b32 s24, exec_lo
	v_cmpx_ne_u16_e32 0, v9
	s_cbranch_execz .LBB237_576
; %bb.569:                              ;   in Loop: Header=BB237_13 Depth=1
	v_dual_mov_b32 v163, s17 :: v_dual_mov_b32 v162, s16
	s_mov_b32 s25, exec_lo
	v_cmpx_ne_u16_e32 0x80, v9
	s_cbranch_execz .LBB237_575
; %bb.570:                              ;   in Loop: Header=BB237_13 Depth=1
	s_mov_b32 s18, s16
	v_and_b32_e32 v9, 0xffff, v9
	v_dual_mov_b32 v163, s19 :: v_dual_mov_b32 v162, s18
	s_mov_b32 s18, exec_lo
	s_delay_alu instid0(VALU_DEP_2) | instskip(NEXT) | instid1(VALU_DEP_1)
	v_and_b32_e32 v16, 0x7f, v9
	v_cmpx_ne_u32_e32 0x7f, v16
	s_cbranch_execz .LBB237_574
; %bb.571:                              ;   in Loop: Header=BB237_13 Depth=1
	v_and_b32_e32 v28, 7, v9
	v_lshrrev_b32_e32 v9, 3, v16
	s_mov_b32 s26, exec_lo
	v_cmpx_gt_u32_e32 8, v16
; %bb.572:                              ;   in Loop: Header=BB237_13 Depth=1
	s_delay_alu instid0(VALU_DEP_3) | instskip(NEXT) | instid1(VALU_DEP_1)
	v_clz_i32_u32_e32 v9, v28
	v_min_u32_e32 v9, 32, v9
	s_delay_alu instid0(VALU_DEP_1) | instskip(SKIP_1) | instid1(VALU_DEP_2)
	v_subrev_nc_u32_e32 v16, 28, v9
	v_sub_nc_u32_e32 v9, 29, v9
	v_lshlrev_b64 v[16:17], v16, v[28:29]
	s_delay_alu instid0(VALU_DEP_1)
	v_and_b32_e32 v28, 7, v16
; %bb.573:                              ;   in Loop: Header=BB237_13 Depth=1
	s_or_b32 exec_lo, exec_lo, s26
	v_lshlrev_b32_e32 v8, 16, v8
	s_delay_alu instid0(VALU_DEP_2) | instskip(SKIP_2) | instid1(VALU_DEP_4)
	v_lshlrev_b32_e32 v16, 20, v28
	v_lshl_add_u32 v9, v9, 23, 0x3c000000
	v_mov_b32_e32 v162, v29
	v_and_b32_e32 v8, 0x80000000, v8
	s_delay_alu instid0(VALU_DEP_1)
	v_or3_b32 v163, v16, v8, v9
.LBB237_574:                            ;   in Loop: Header=BB237_13 Depth=1
	s_or_b32 exec_lo, exec_lo, s18
.LBB237_575:                            ;   in Loop: Header=BB237_13 Depth=1
	s_delay_alu instid0(SALU_CYCLE_1)
	s_or_b32 exec_lo, exec_lo, s25
.LBB237_576:                            ;   in Loop: Header=BB237_13 Depth=1
	s_delay_alu instid0(SALU_CYCLE_1)
	s_or_b32 exec_lo, exec_lo, s24
	flat_load_u16 v6, v[6:7] offset:12
	v_mov_b32_e32 v178, 0
	v_mov_b32_e32 v179, 0
	s_mov_b32 s18, exec_lo
	s_waitcnt vmcnt(0) lgkmcnt(0)
	v_and_b32_e32 v7, 0xff, v6
	s_delay_alu instid0(VALU_DEP_2) | instskip(SKIP_1) | instid1(VALU_DEP_3)
	v_dual_mov_b32 v183, v179 :: v_dual_and_b32 v6, 0xffff, v6
	v_mov_b32_e32 v182, v178
	v_cmpx_ne_u16_e32 0, v7
	s_cbranch_execz .LBB237_584
; %bb.577:                              ;   in Loop: Header=BB237_13 Depth=1
	v_bfrev_b32_e32 v182, 1
	v_and_b32_e32 v7, 0xff, v6
	v_mov_b32_e32 v183, 0
	s_mov_b32 s24, exec_lo
	s_delay_alu instid0(VALU_DEP_2)
	v_cmpx_ne_u16_e32 0x80, v7
	s_cbranch_execz .LBB237_583
; %bb.578:                              ;   in Loop: Header=BB237_13 Depth=1
	v_mov_b32_e32 v182, 0x7f800001
	v_dual_mov_b32 v183, 0 :: v_dual_and_b32 v8, 0x7f, v6
	s_mov_b32 s25, exec_lo
	s_delay_alu instid0(VALU_DEP_1)
	v_cmpx_ne_u32_e32 0x7f, v8
	s_cbranch_execz .LBB237_582
; %bb.579:                              ;   in Loop: Header=BB237_13 Depth=1
	v_and_b32_e32 v28, 7, v6
	v_lshrrev_b32_e32 v7, 3, v8
	s_mov_b32 s26, exec_lo
	v_cmpx_gt_u32_e32 8, v8
; %bb.580:                              ;   in Loop: Header=BB237_13 Depth=1
	s_delay_alu instid0(VALU_DEP_3) | instskip(NEXT) | instid1(VALU_DEP_1)
	v_clz_i32_u32_e32 v7, v28
	v_min_u32_e32 v7, 32, v7
	s_delay_alu instid0(VALU_DEP_1) | instskip(SKIP_1) | instid1(VALU_DEP_2)
	v_subrev_nc_u32_e32 v8, 28, v7
	v_sub_nc_u32_e32 v7, 29, v7
	v_lshlrev_b64 v[8:9], v8, v[28:29]
	s_delay_alu instid0(VALU_DEP_1)
	v_and_b32_e32 v28, 7, v8
; %bb.581:                              ;   in Loop: Header=BB237_13 Depth=1
	s_or_b32 exec_lo, exec_lo, s26
	v_lshlrev_b32_e32 v8, 24, v6
	s_delay_alu instid0(VALU_DEP_2) | instskip(SKIP_1) | instid1(VALU_DEP_3)
	v_lshlrev_b32_e32 v9, 20, v28
	v_lshl_add_u32 v7, v7, 23, 0x3c000000
	v_and_b32_e32 v8, 0x80000000, v8
	s_delay_alu instid0(VALU_DEP_1) | instskip(NEXT) | instid1(VALU_DEP_1)
	v_or3_b32 v28, v9, v8, v7
	v_dual_mov_b32 v183, v29 :: v_dual_mov_b32 v182, v28
.LBB237_582:                            ;   in Loop: Header=BB237_13 Depth=1
	s_or_b32 exec_lo, exec_lo, s25
.LBB237_583:                            ;   in Loop: Header=BB237_13 Depth=1
	s_delay_alu instid0(SALU_CYCLE_1)
	s_or_b32 exec_lo, exec_lo, s24
.LBB237_584:                            ;   in Loop: Header=BB237_13 Depth=1
	s_delay_alu instid0(SALU_CYCLE_1) | instskip(SKIP_2) | instid1(VALU_DEP_1)
	s_or_b32 exec_lo, exec_lo, s18
	v_lshrrev_b16 v7, 8, v6
	s_mov_b32 s24, exec_lo
	v_cmpx_ne_u16_e32 0, v7
	s_cbranch_execz .LBB237_592
; %bb.585:                              ;   in Loop: Header=BB237_13 Depth=1
	v_dual_mov_b32 v179, s17 :: v_dual_mov_b32 v178, s16
	s_mov_b32 s25, exec_lo
	v_cmpx_ne_u16_e32 0x80, v7
	s_cbranch_execz .LBB237_591
; %bb.586:                              ;   in Loop: Header=BB237_13 Depth=1
	s_mov_b32 s18, s16
	v_and_b32_e32 v7, 0xffff, v7
	v_dual_mov_b32 v179, s19 :: v_dual_mov_b32 v178, s18
	s_mov_b32 s18, exec_lo
	s_delay_alu instid0(VALU_DEP_2) | instskip(NEXT) | instid1(VALU_DEP_1)
	v_and_b32_e32 v8, 0x7f, v7
	v_cmpx_ne_u32_e32 0x7f, v8
	s_cbranch_execz .LBB237_590
; %bb.587:                              ;   in Loop: Header=BB237_13 Depth=1
	v_and_b32_e32 v28, 7, v7
	v_lshrrev_b32_e32 v7, 3, v8
	s_mov_b32 s26, exec_lo
	v_cmpx_gt_u32_e32 8, v8
; %bb.588:                              ;   in Loop: Header=BB237_13 Depth=1
	s_delay_alu instid0(VALU_DEP_3) | instskip(NEXT) | instid1(VALU_DEP_1)
	v_clz_i32_u32_e32 v7, v28
	v_min_u32_e32 v7, 32, v7
	s_delay_alu instid0(VALU_DEP_1) | instskip(SKIP_1) | instid1(VALU_DEP_2)
	v_subrev_nc_u32_e32 v8, 28, v7
	v_sub_nc_u32_e32 v7, 29, v7
	v_lshlrev_b64 v[8:9], v8, v[28:29]
	s_delay_alu instid0(VALU_DEP_1)
	v_and_b32_e32 v28, 7, v8
; %bb.589:                              ;   in Loop: Header=BB237_13 Depth=1
	s_or_b32 exec_lo, exec_lo, s26
	v_lshlrev_b32_e32 v6, 16, v6
	s_delay_alu instid0(VALU_DEP_2) | instskip(SKIP_2) | instid1(VALU_DEP_4)
	v_lshlrev_b32_e32 v8, 20, v28
	v_lshl_add_u32 v7, v7, 23, 0x3c000000
	v_mov_b32_e32 v178, v29
	v_and_b32_e32 v6, 0x80000000, v6
	s_delay_alu instid0(VALU_DEP_1)
	v_or3_b32 v179, v8, v6, v7
.LBB237_590:                            ;   in Loop: Header=BB237_13 Depth=1
	s_or_b32 exec_lo, exec_lo, s18
.LBB237_591:                            ;   in Loop: Header=BB237_13 Depth=1
	s_delay_alu instid0(SALU_CYCLE_1)
	s_or_b32 exec_lo, exec_lo, s25
.LBB237_592:                            ;   in Loop: Header=BB237_13 Depth=1
	s_delay_alu instid0(SALU_CYCLE_1)
	s_or_b32 exec_lo, exec_lo, s24
	flat_load_u16 v6, v[150:151] offset:2304
	v_mov_b32_e32 v41, 0
	v_mov_b32_e32 v42, 0
	s_mov_b32 s18, exec_lo
	s_waitcnt vmcnt(0) lgkmcnt(0)
	v_and_b32_e32 v7, 0xff, v6
	v_and_b32_e32 v6, 0xffff, v6
	v_dual_mov_b32 v46, v42 :: v_dual_mov_b32 v45, v41
	s_delay_alu instid0(VALU_DEP_3)
	v_cmpx_ne_u16_e32 0, v7
	s_cbranch_execz .LBB237_600
; %bb.593:                              ;   in Loop: Header=BB237_13 Depth=1
	v_bfrev_b32_e32 v45, 1
	v_dual_mov_b32 v46, 0 :: v_dual_and_b32 v7, 0xff, v6
	s_mov_b32 s24, exec_lo
	s_delay_alu instid0(VALU_DEP_1)
	v_cmpx_ne_u16_e32 0x80, v7
	s_cbranch_execz .LBB237_599
; %bb.594:                              ;   in Loop: Header=BB237_13 Depth=1
	v_mov_b32_e32 v45, 0x7f800001
	v_and_b32_e32 v8, 0x7f, v6
	v_mov_b32_e32 v46, 0
	s_mov_b32 s25, exec_lo
	s_delay_alu instid0(VALU_DEP_2)
	v_cmpx_ne_u32_e32 0x7f, v8
	s_cbranch_execz .LBB237_598
; %bb.595:                              ;   in Loop: Header=BB237_13 Depth=1
	v_and_b32_e32 v28, 7, v6
	v_lshrrev_b32_e32 v7, 3, v8
	s_mov_b32 s26, exec_lo
	v_cmpx_gt_u32_e32 8, v8
; %bb.596:                              ;   in Loop: Header=BB237_13 Depth=1
	s_delay_alu instid0(VALU_DEP_3) | instskip(NEXT) | instid1(VALU_DEP_1)
	v_clz_i32_u32_e32 v7, v28
	v_min_u32_e32 v7, 32, v7
	s_delay_alu instid0(VALU_DEP_1) | instskip(SKIP_1) | instid1(VALU_DEP_2)
	v_subrev_nc_u32_e32 v8, 28, v7
	v_sub_nc_u32_e32 v7, 29, v7
	v_lshlrev_b64 v[8:9], v8, v[28:29]
	s_delay_alu instid0(VALU_DEP_1)
	v_and_b32_e32 v28, 7, v8
; %bb.597:                              ;   in Loop: Header=BB237_13 Depth=1
	s_or_b32 exec_lo, exec_lo, s26
	v_lshlrev_b32_e32 v8, 24, v6
	s_delay_alu instid0(VALU_DEP_2) | instskip(SKIP_1) | instid1(VALU_DEP_3)
	v_lshlrev_b32_e32 v9, 20, v28
	v_lshl_add_u32 v7, v7, 23, 0x3c000000
	v_and_b32_e32 v8, 0x80000000, v8
	s_delay_alu instid0(VALU_DEP_1) | instskip(NEXT) | instid1(VALU_DEP_1)
	v_or3_b32 v28, v9, v8, v7
	v_dual_mov_b32 v46, v29 :: v_dual_mov_b32 v45, v28
.LBB237_598:                            ;   in Loop: Header=BB237_13 Depth=1
	s_or_b32 exec_lo, exec_lo, s25
.LBB237_599:                            ;   in Loop: Header=BB237_13 Depth=1
	s_delay_alu instid0(SALU_CYCLE_1)
	s_or_b32 exec_lo, exec_lo, s24
.LBB237_600:                            ;   in Loop: Header=BB237_13 Depth=1
	s_delay_alu instid0(SALU_CYCLE_1) | instskip(SKIP_2) | instid1(VALU_DEP_1)
	s_or_b32 exec_lo, exec_lo, s18
	v_lshrrev_b16 v7, 8, v6
	s_mov_b32 s24, exec_lo
	v_cmpx_ne_u16_e32 0, v7
	s_cbranch_execz .LBB237_608
; %bb.601:                              ;   in Loop: Header=BB237_13 Depth=1
	v_dual_mov_b32 v42, s17 :: v_dual_mov_b32 v41, s16
	s_mov_b32 s25, exec_lo
	v_cmpx_ne_u16_e32 0x80, v7
	s_cbranch_execz .LBB237_607
; %bb.602:                              ;   in Loop: Header=BB237_13 Depth=1
	s_mov_b32 s18, s16
	v_dual_mov_b32 v42, s19 :: v_dual_and_b32 v7, 0xffff, v7
	v_mov_b32_e32 v41, s18
	s_mov_b32 s18, exec_lo
	s_delay_alu instid0(VALU_DEP_2) | instskip(NEXT) | instid1(VALU_DEP_1)
	v_and_b32_e32 v8, 0x7f, v7
	v_cmpx_ne_u32_e32 0x7f, v8
	s_cbranch_execz .LBB237_606
; %bb.603:                              ;   in Loop: Header=BB237_13 Depth=1
	v_and_b32_e32 v28, 7, v7
	v_lshrrev_b32_e32 v7, 3, v8
	s_mov_b32 s26, exec_lo
	v_cmpx_gt_u32_e32 8, v8
; %bb.604:                              ;   in Loop: Header=BB237_13 Depth=1
	s_delay_alu instid0(VALU_DEP_3) | instskip(NEXT) | instid1(VALU_DEP_1)
	v_clz_i32_u32_e32 v7, v28
	v_min_u32_e32 v7, 32, v7
	s_delay_alu instid0(VALU_DEP_1) | instskip(SKIP_1) | instid1(VALU_DEP_2)
	v_subrev_nc_u32_e32 v8, 28, v7
	v_sub_nc_u32_e32 v7, 29, v7
	v_lshlrev_b64 v[8:9], v8, v[28:29]
	s_delay_alu instid0(VALU_DEP_1)
	v_and_b32_e32 v28, 7, v8
; %bb.605:                              ;   in Loop: Header=BB237_13 Depth=1
	s_or_b32 exec_lo, exec_lo, s26
	v_dual_mov_b32 v41, v29 :: v_dual_lshlrev_b32 v6, 16, v6
	s_delay_alu instid0(VALU_DEP_2) | instskip(SKIP_1) | instid1(VALU_DEP_3)
	v_lshlrev_b32_e32 v8, 20, v28
	v_lshl_add_u32 v7, v7, 23, 0x3c000000
	v_and_b32_e32 v6, 0x80000000, v6
	s_delay_alu instid0(VALU_DEP_1)
	v_or3_b32 v42, v8, v6, v7
.LBB237_606:                            ;   in Loop: Header=BB237_13 Depth=1
	s_or_b32 exec_lo, exec_lo, s18
.LBB237_607:                            ;   in Loop: Header=BB237_13 Depth=1
	s_delay_alu instid0(SALU_CYCLE_1)
	s_or_b32 exec_lo, exec_lo, s25
.LBB237_608:                            ;   in Loop: Header=BB237_13 Depth=1
	s_delay_alu instid0(SALU_CYCLE_1)
	s_or_b32 exec_lo, exec_lo, s24
	flat_load_u16 v6, v[150:151] offset:2308
	v_mov_b32_e32 v58, 0
	s_waitcnt vmcnt(0) lgkmcnt(0)
	v_dual_mov_b32 v59, 0 :: v_dual_and_b32 v8, 0xffff, v6
	v_and_b32_e32 v7, 0xff, v6
	s_delay_alu instid0(VALU_DEP_1) | instskip(NEXT) | instid1(VALU_DEP_3)
	v_cmp_ne_u16_e64 s2, 0, v7
	v_dual_mov_b32 v6, v58 :: v_dual_mov_b32 v7, v59
	s_delay_alu instid0(VALU_DEP_2)
	s_and_saveexec_b32 s18, s2
	s_cbranch_execz .LBB237_616
; %bb.609:                              ;   in Loop: Header=BB237_13 Depth=1
	v_and_b32_e32 v6, 0xff, v8
	s_delay_alu instid0(VALU_DEP_1) | instskip(SKIP_2) | instid1(VALU_DEP_3)
	v_cmp_ne_u16_e64 s2, 0x80, v6
	v_bfrev_b32_e32 v6, 1
	v_mov_b32_e32 v7, 0
	s_and_saveexec_b32 s24, s2
	s_cbranch_execz .LBB237_615
; %bb.610:                              ;   in Loop: Header=BB237_13 Depth=1
	v_mov_b32_e32 v6, 0x7f800001
	v_and_b32_e32 v9, 0x7f, v8
	v_mov_b32_e32 v7, 0
	s_mov_b32 s25, exec_lo
	s_delay_alu instid0(VALU_DEP_2)
	v_cmpx_ne_u32_e32 0x7f, v9
	s_cbranch_execz .LBB237_614
; %bb.611:                              ;   in Loop: Header=BB237_13 Depth=1
	v_and_b32_e32 v28, 7, v8
	v_lshrrev_b32_e32 v6, 3, v9
	s_mov_b32 s26, exec_lo
	v_cmpx_gt_u32_e32 8, v9
; %bb.612:                              ;   in Loop: Header=BB237_13 Depth=1
	s_delay_alu instid0(VALU_DEP_3) | instskip(NEXT) | instid1(VALU_DEP_1)
	v_clz_i32_u32_e32 v6, v28
	v_min_u32_e32 v6, 32, v6
	s_delay_alu instid0(VALU_DEP_1) | instskip(SKIP_1) | instid1(VALU_DEP_2)
	v_subrev_nc_u32_e32 v7, 28, v6
	v_sub_nc_u32_e32 v6, 29, v6
	v_lshlrev_b64 v[16:17], v7, v[28:29]
	s_delay_alu instid0(VALU_DEP_1)
	v_and_b32_e32 v28, 7, v16
; %bb.613:                              ;   in Loop: Header=BB237_13 Depth=1
	s_or_b32 exec_lo, exec_lo, s26
	v_lshlrev_b32_e32 v7, 24, v8
	s_delay_alu instid0(VALU_DEP_2) | instskip(SKIP_1) | instid1(VALU_DEP_3)
	v_lshlrev_b32_e32 v9, 20, v28
	v_lshl_add_u32 v6, v6, 23, 0x3c000000
	v_and_b32_e32 v7, 0x80000000, v7
	s_delay_alu instid0(VALU_DEP_1) | instskip(NEXT) | instid1(VALU_DEP_1)
	v_or3_b32 v28, v9, v7, v6
	v_dual_mov_b32 v6, v28 :: v_dual_mov_b32 v7, v29
.LBB237_614:                            ;   in Loop: Header=BB237_13 Depth=1
	s_or_b32 exec_lo, exec_lo, s25
.LBB237_615:                            ;   in Loop: Header=BB237_13 Depth=1
	s_delay_alu instid0(SALU_CYCLE_1)
	s_or_b32 exec_lo, exec_lo, s24
.LBB237_616:                            ;   in Loop: Header=BB237_13 Depth=1
	s_delay_alu instid0(SALU_CYCLE_1) | instskip(SKIP_2) | instid1(VALU_DEP_1)
	s_or_b32 exec_lo, exec_lo, s18
	v_lshrrev_b16 v9, 8, v8
	s_mov_b32 s24, exec_lo
	v_cmpx_ne_u16_e32 0, v9
	s_cbranch_execz .LBB237_624
; %bb.617:                              ;   in Loop: Header=BB237_13 Depth=1
	v_dual_mov_b32 v59, s17 :: v_dual_mov_b32 v58, s16
	s_mov_b32 s25, exec_lo
	v_cmpx_ne_u16_e32 0x80, v9
	s_cbranch_execz .LBB237_623
; %bb.618:                              ;   in Loop: Header=BB237_13 Depth=1
	s_mov_b32 s18, s16
	v_and_b32_e32 v9, 0xffff, v9
	v_dual_mov_b32 v59, s19 :: v_dual_mov_b32 v58, s18
	s_mov_b32 s18, exec_lo
	s_delay_alu instid0(VALU_DEP_2) | instskip(NEXT) | instid1(VALU_DEP_1)
	v_and_b32_e32 v16, 0x7f, v9
	v_cmpx_ne_u32_e32 0x7f, v16
	s_cbranch_execz .LBB237_622
; %bb.619:                              ;   in Loop: Header=BB237_13 Depth=1
	v_and_b32_e32 v28, 7, v9
	v_lshrrev_b32_e32 v9, 3, v16
	s_mov_b32 s26, exec_lo
	v_cmpx_gt_u32_e32 8, v16
; %bb.620:                              ;   in Loop: Header=BB237_13 Depth=1
	s_delay_alu instid0(VALU_DEP_3) | instskip(NEXT) | instid1(VALU_DEP_1)
	v_clz_i32_u32_e32 v9, v28
	v_min_u32_e32 v9, 32, v9
	s_delay_alu instid0(VALU_DEP_1) | instskip(SKIP_1) | instid1(VALU_DEP_2)
	v_subrev_nc_u32_e32 v16, 28, v9
	v_sub_nc_u32_e32 v9, 29, v9
	v_lshlrev_b64 v[16:17], v16, v[28:29]
	s_delay_alu instid0(VALU_DEP_1)
	v_and_b32_e32 v28, 7, v16
; %bb.621:                              ;   in Loop: Header=BB237_13 Depth=1
	s_or_b32 exec_lo, exec_lo, s26
	v_lshlrev_b32_e32 v8, 16, v8
	s_delay_alu instid0(VALU_DEP_2) | instskip(SKIP_2) | instid1(VALU_DEP_4)
	v_lshlrev_b32_e32 v16, 20, v28
	v_lshl_add_u32 v9, v9, 23, 0x3c000000
	v_mov_b32_e32 v58, v29
	v_and_b32_e32 v8, 0x80000000, v8
	s_delay_alu instid0(VALU_DEP_1)
	v_or3_b32 v59, v16, v8, v9
.LBB237_622:                            ;   in Loop: Header=BB237_13 Depth=1
	s_or_b32 exec_lo, exec_lo, s18
.LBB237_623:                            ;   in Loop: Header=BB237_13 Depth=1
	s_delay_alu instid0(SALU_CYCLE_1)
	s_or_b32 exec_lo, exec_lo, s25
.LBB237_624:                            ;   in Loop: Header=BB237_13 Depth=1
	s_delay_alu instid0(SALU_CYCLE_1) | instskip(SKIP_1) | instid1(VALU_DEP_1)
	s_or_b32 exec_lo, exec_lo, s24
	v_add_co_u32 v18, s2, 0x900, v150
	v_add_co_ci_u32_e64 v19, s2, 0, v151, s2
	flat_load_u16 v16, v[18:19] offset:8
	v_mov_b32_e32 v8, 0
	v_mov_b32_e32 v9, 0
	s_waitcnt vmcnt(0) lgkmcnt(0)
	v_and_b32_e32 v17, 0xff, v16
	v_and_b32_e32 v31, 0xffff, v16
	s_delay_alu instid0(VALU_DEP_2) | instskip(SKIP_1) | instid1(VALU_DEP_2)
	v_cmp_ne_u16_e64 s2, 0, v17
	v_dual_mov_b32 v17, v9 :: v_dual_mov_b32 v16, v8
	s_and_saveexec_b32 s18, s2
	s_cbranch_execz .LBB237_632
; %bb.625:                              ;   in Loop: Header=BB237_13 Depth=1
	v_and_b32_e32 v16, 0xff, v31
	s_delay_alu instid0(VALU_DEP_1) | instskip(SKIP_2) | instid1(VALU_DEP_3)
	v_cmp_ne_u16_e64 s2, 0x80, v16
	v_bfrev_b32_e32 v16, 1
	v_mov_b32_e32 v17, 0
	s_and_saveexec_b32 s24, s2
	s_cbranch_execz .LBB237_631
; %bb.626:                              ;   in Loop: Header=BB237_13 Depth=1
	v_mov_b32_e32 v16, 0x7f800001
	v_dual_mov_b32 v17, 0 :: v_dual_and_b32 v32, 0x7f, v31
	s_mov_b32 s25, exec_lo
	s_delay_alu instid0(VALU_DEP_1)
	v_cmpx_ne_u32_e32 0x7f, v32
	s_cbranch_execz .LBB237_630
; %bb.627:                              ;   in Loop: Header=BB237_13 Depth=1
	v_and_b32_e32 v28, 7, v31
	v_lshrrev_b32_e32 v16, 3, v32
	s_mov_b32 s26, exec_lo
	v_cmpx_gt_u32_e32 8, v32
; %bb.628:                              ;   in Loop: Header=BB237_13 Depth=1
	s_delay_alu instid0(VALU_DEP_3) | instskip(NEXT) | instid1(VALU_DEP_1)
	v_clz_i32_u32_e32 v16, v28
	v_min_u32_e32 v16, 32, v16
	s_delay_alu instid0(VALU_DEP_1) | instskip(SKIP_1) | instid1(VALU_DEP_2)
	v_subrev_nc_u32_e32 v17, 28, v16
	v_sub_nc_u32_e32 v16, 29, v16
	v_lshlrev_b64 v[32:33], v17, v[28:29]
	s_delay_alu instid0(VALU_DEP_1)
	v_and_b32_e32 v28, 7, v32
; %bb.629:                              ;   in Loop: Header=BB237_13 Depth=1
	s_or_b32 exec_lo, exec_lo, s26
	v_lshlrev_b32_e32 v17, 24, v31
	s_delay_alu instid0(VALU_DEP_2) | instskip(SKIP_1) | instid1(VALU_DEP_3)
	v_lshlrev_b32_e32 v28, 20, v28
	v_lshl_add_u32 v16, v16, 23, 0x3c000000
	v_and_b32_e32 v17, 0x80000000, v17
	s_delay_alu instid0(VALU_DEP_1) | instskip(NEXT) | instid1(VALU_DEP_1)
	v_or3_b32 v28, v28, v17, v16
	v_dual_mov_b32 v16, v28 :: v_dual_mov_b32 v17, v29
.LBB237_630:                            ;   in Loop: Header=BB237_13 Depth=1
	s_or_b32 exec_lo, exec_lo, s25
.LBB237_631:                            ;   in Loop: Header=BB237_13 Depth=1
	s_delay_alu instid0(SALU_CYCLE_1)
	s_or_b32 exec_lo, exec_lo, s24
.LBB237_632:                            ;   in Loop: Header=BB237_13 Depth=1
	s_delay_alu instid0(SALU_CYCLE_1) | instskip(SKIP_2) | instid1(VALU_DEP_1)
	s_or_b32 exec_lo, exec_lo, s18
	v_lshrrev_b16 v28, 8, v31
	s_mov_b32 s24, exec_lo
	v_cmpx_ne_u16_e32 0, v28
	s_cbranch_execz .LBB237_640
; %bb.633:                              ;   in Loop: Header=BB237_13 Depth=1
	v_dual_mov_b32 v8, s16 :: v_dual_mov_b32 v9, s17
	s_mov_b32 s25, exec_lo
	v_cmpx_ne_u16_e32 0x80, v28
	s_cbranch_execz .LBB237_639
; %bb.634:                              ;   in Loop: Header=BB237_13 Depth=1
	s_mov_b32 s18, s16
	v_and_b32_e32 v28, 0xffff, v28
	v_dual_mov_b32 v8, s18 :: v_dual_mov_b32 v9, s19
	s_mov_b32 s18, exec_lo
	s_delay_alu instid0(VALU_DEP_2) | instskip(NEXT) | instid1(VALU_DEP_1)
	v_and_b32_e32 v32, 0x7f, v28
	v_cmpx_ne_u32_e32 0x7f, v32
	s_cbranch_execz .LBB237_638
; %bb.635:                              ;   in Loop: Header=BB237_13 Depth=1
	v_and_b32_e32 v28, 7, v28
	v_lshrrev_b32_e32 v8, 3, v32
	s_mov_b32 s26, exec_lo
	v_cmpx_gt_u32_e32 8, v32
; %bb.636:                              ;   in Loop: Header=BB237_13 Depth=1
	s_delay_alu instid0(VALU_DEP_3) | instskip(NEXT) | instid1(VALU_DEP_1)
	v_clz_i32_u32_e32 v8, v28
	v_min_u32_e32 v8, 32, v8
	s_delay_alu instid0(VALU_DEP_1) | instskip(SKIP_1) | instid1(VALU_DEP_2)
	v_subrev_nc_u32_e32 v9, 28, v8
	v_sub_nc_u32_e32 v8, 29, v8
	v_lshlrev_b64 v[32:33], v9, v[28:29]
	s_delay_alu instid0(VALU_DEP_1)
	v_and_b32_e32 v28, 7, v32
; %bb.637:                              ;   in Loop: Header=BB237_13 Depth=1
	s_or_b32 exec_lo, exec_lo, s26
	v_lshlrev_b32_e32 v9, 16, v31
	s_delay_alu instid0(VALU_DEP_2) | instskip(SKIP_1) | instid1(VALU_DEP_3)
	v_lshlrev_b32_e32 v28, 20, v28
	v_lshl_add_u32 v8, v8, 23, 0x3c000000
	v_and_b32_e32 v9, 0x80000000, v9
	s_delay_alu instid0(VALU_DEP_1)
	v_or3_b32 v9, v28, v9, v8
	v_mov_b32_e32 v8, v29
.LBB237_638:                            ;   in Loop: Header=BB237_13 Depth=1
	s_or_b32 exec_lo, exec_lo, s18
.LBB237_639:                            ;   in Loop: Header=BB237_13 Depth=1
	s_delay_alu instid0(SALU_CYCLE_1)
	s_or_b32 exec_lo, exec_lo, s25
.LBB237_640:                            ;   in Loop: Header=BB237_13 Depth=1
	s_delay_alu instid0(SALU_CYCLE_1)
	s_or_b32 exec_lo, exec_lo, s24
	flat_load_u16 v28, v[18:19] offset:12
	v_mov_b32_e32 v18, 0
	v_mov_b32_e32 v19, 0
	s_waitcnt vmcnt(0) lgkmcnt(0)
	v_and_b32_e32 v31, 0xff, v28
	v_and_b32_e32 v33, 0xffff, v28
	s_delay_alu instid0(VALU_DEP_2) | instskip(SKIP_1) | instid1(VALU_DEP_2)
	v_cmp_ne_u16_e64 s2, 0, v31
	v_dual_mov_b32 v32, v19 :: v_dual_mov_b32 v31, v18
	s_and_saveexec_b32 s18, s2
	s_cbranch_execz .LBB237_648
; %bb.641:                              ;   in Loop: Header=BB237_13 Depth=1
	v_bfrev_b32_e32 v31, 1
	v_and_b32_e32 v28, 0xff, v33
	v_mov_b32_e32 v32, 0
	s_mov_b32 s24, exec_lo
	s_delay_alu instid0(VALU_DEP_2)
	v_cmpx_ne_u16_e32 0x80, v28
	s_cbranch_execz .LBB237_647
; %bb.642:                              ;   in Loop: Header=BB237_13 Depth=1
	v_mov_b32_e32 v31, 0x7f800001
	v_and_b32_e32 v34, 0x7f, v33
	v_mov_b32_e32 v32, 0
	s_mov_b32 s25, exec_lo
	s_delay_alu instid0(VALU_DEP_2)
	v_cmpx_ne_u32_e32 0x7f, v34
	s_cbranch_execz .LBB237_646
; %bb.643:                              ;   in Loop: Header=BB237_13 Depth=1
	v_and_b32_e32 v28, 7, v33
	v_lshrrev_b32_e32 v31, 3, v34
	s_mov_b32 s26, exec_lo
	v_cmpx_gt_u32_e32 8, v34
; %bb.644:                              ;   in Loop: Header=BB237_13 Depth=1
	s_delay_alu instid0(VALU_DEP_3) | instskip(NEXT) | instid1(VALU_DEP_1)
	v_clz_i32_u32_e32 v31, v28
	v_min_u32_e32 v31, 32, v31
	s_delay_alu instid0(VALU_DEP_1) | instskip(SKIP_1) | instid1(VALU_DEP_2)
	v_subrev_nc_u32_e32 v32, 28, v31
	v_sub_nc_u32_e32 v31, 29, v31
	v_lshlrev_b64 v[34:35], v32, v[28:29]
	s_delay_alu instid0(VALU_DEP_1)
	v_and_b32_e32 v28, 7, v34
; %bb.645:                              ;   in Loop: Header=BB237_13 Depth=1
	s_or_b32 exec_lo, exec_lo, s26
	v_lshlrev_b32_e32 v32, 24, v33
	s_delay_alu instid0(VALU_DEP_2) | instskip(SKIP_1) | instid1(VALU_DEP_3)
	v_lshlrev_b32_e32 v28, 20, v28
	v_lshl_add_u32 v31, v31, 23, 0x3c000000
	v_and_b32_e32 v32, 0x80000000, v32
	s_delay_alu instid0(VALU_DEP_1) | instskip(NEXT) | instid1(VALU_DEP_1)
	v_or3_b32 v28, v28, v32, v31
	v_dual_mov_b32 v32, v29 :: v_dual_mov_b32 v31, v28
.LBB237_646:                            ;   in Loop: Header=BB237_13 Depth=1
	s_or_b32 exec_lo, exec_lo, s25
.LBB237_647:                            ;   in Loop: Header=BB237_13 Depth=1
	s_delay_alu instid0(SALU_CYCLE_1)
	s_or_b32 exec_lo, exec_lo, s24
.LBB237_648:                            ;   in Loop: Header=BB237_13 Depth=1
	s_delay_alu instid0(SALU_CYCLE_1) | instskip(SKIP_2) | instid1(VALU_DEP_1)
	s_or_b32 exec_lo, exec_lo, s18
	v_lshrrev_b16 v28, 8, v33
	s_mov_b32 s24, exec_lo
	v_cmpx_ne_u16_e32 0, v28
	s_cbranch_execz .LBB237_656
; %bb.649:                              ;   in Loop: Header=BB237_13 Depth=1
	v_dual_mov_b32 v19, s17 :: v_dual_mov_b32 v18, s16
	s_mov_b32 s25, exec_lo
	v_cmpx_ne_u16_e32 0x80, v28
	s_cbranch_execz .LBB237_655
; %bb.650:                              ;   in Loop: Header=BB237_13 Depth=1
	s_mov_b32 s18, s16
	v_and_b32_e32 v28, 0xffff, v28
	v_dual_mov_b32 v18, s18 :: v_dual_mov_b32 v19, s19
	s_mov_b32 s18, exec_lo
	s_delay_alu instid0(VALU_DEP_2) | instskip(NEXT) | instid1(VALU_DEP_1)
	v_and_b32_e32 v34, 0x7f, v28
	v_cmpx_ne_u32_e32 0x7f, v34
	s_cbranch_execz .LBB237_654
; %bb.651:                              ;   in Loop: Header=BB237_13 Depth=1
	v_and_b32_e32 v28, 7, v28
	v_lshrrev_b32_e32 v18, 3, v34
	s_mov_b32 s26, exec_lo
	v_cmpx_gt_u32_e32 8, v34
; %bb.652:                              ;   in Loop: Header=BB237_13 Depth=1
	s_delay_alu instid0(VALU_DEP_3) | instskip(NEXT) | instid1(VALU_DEP_1)
	v_clz_i32_u32_e32 v18, v28
	v_min_u32_e32 v18, 32, v18
	s_delay_alu instid0(VALU_DEP_1) | instskip(SKIP_1) | instid1(VALU_DEP_2)
	v_subrev_nc_u32_e32 v19, 28, v18
	v_sub_nc_u32_e32 v18, 29, v18
	v_lshlrev_b64 v[34:35], v19, v[28:29]
	s_delay_alu instid0(VALU_DEP_1)
	v_and_b32_e32 v28, 7, v34
; %bb.653:                              ;   in Loop: Header=BB237_13 Depth=1
	s_or_b32 exec_lo, exec_lo, s26
	v_lshlrev_b32_e32 v19, 16, v33
	s_delay_alu instid0(VALU_DEP_2) | instskip(SKIP_1) | instid1(VALU_DEP_3)
	v_lshlrev_b32_e32 v28, 20, v28
	v_lshl_add_u32 v18, v18, 23, 0x3c000000
	v_and_b32_e32 v19, 0x80000000, v19
	s_delay_alu instid0(VALU_DEP_1)
	v_or3_b32 v19, v28, v19, v18
	v_mov_b32_e32 v18, v29
.LBB237_654:                            ;   in Loop: Header=BB237_13 Depth=1
	s_or_b32 exec_lo, exec_lo, s18
.LBB237_655:                            ;   in Loop: Header=BB237_13 Depth=1
	s_delay_alu instid0(SALU_CYCLE_1)
	s_or_b32 exec_lo, exec_lo, s25
.LBB237_656:                            ;   in Loop: Header=BB237_13 Depth=1
	s_delay_alu instid0(SALU_CYCLE_1)
	s_or_b32 exec_lo, exec_lo, s24
	flat_load_u16 v28, v[150:151] offset:2560
	v_mov_b32_e32 v33, 0
	v_mov_b32_e32 v34, 0
	s_mov_b32 s18, exec_lo
	s_waitcnt vmcnt(0) lgkmcnt(0)
	v_and_b32_e32 v35, 0xffff, v28
	s_delay_alu instid0(VALU_DEP_2) | instskip(SKIP_1) | instid1(VALU_DEP_2)
	v_dual_mov_b32 v63, v34 :: v_dual_and_b32 v36, 0xff, v28
	v_mov_b32_e32 v62, v33
	v_cmpx_ne_u16_e32 0, v36
	s_cbranch_execz .LBB237_664
; %bb.657:                              ;   in Loop: Header=BB237_13 Depth=1
	v_bfrev_b32_e32 v62, 1
	v_dual_mov_b32 v63, 0 :: v_dual_and_b32 v28, 0xff, v35
	s_mov_b32 s24, exec_lo
	s_delay_alu instid0(VALU_DEP_1)
	v_cmpx_ne_u16_e32 0x80, v28
	s_cbranch_execz .LBB237_663
; %bb.658:                              ;   in Loop: Header=BB237_13 Depth=1
	v_mov_b32_e32 v62, 0x7f800001
	v_and_b32_e32 v37, 0x7f, v35
	v_mov_b32_e32 v63, 0
	s_mov_b32 s25, exec_lo
	s_delay_alu instid0(VALU_DEP_2)
	v_cmpx_ne_u32_e32 0x7f, v37
	s_cbranch_execz .LBB237_662
; %bb.659:                              ;   in Loop: Header=BB237_13 Depth=1
	v_and_b32_e32 v28, 7, v35
	v_lshrrev_b32_e32 v36, 3, v37
	s_mov_b32 s26, exec_lo
	v_cmpx_gt_u32_e32 8, v37
; %bb.660:                              ;   in Loop: Header=BB237_13 Depth=1
	s_delay_alu instid0(VALU_DEP_3) | instskip(NEXT) | instid1(VALU_DEP_1)
	v_clz_i32_u32_e32 v36, v28
	v_min_u32_e32 v36, 32, v36
	s_delay_alu instid0(VALU_DEP_1) | instskip(SKIP_1) | instid1(VALU_DEP_2)
	v_subrev_nc_u32_e32 v37, 28, v36
	v_sub_nc_u32_e32 v36, 29, v36
	v_lshlrev_b64 v[37:38], v37, v[28:29]
	s_delay_alu instid0(VALU_DEP_1)
	v_and_b32_e32 v28, 7, v37
; %bb.661:                              ;   in Loop: Header=BB237_13 Depth=1
	s_or_b32 exec_lo, exec_lo, s26
	v_lshlrev_b32_e32 v37, 24, v35
	s_delay_alu instid0(VALU_DEP_2) | instskip(SKIP_1) | instid1(VALU_DEP_3)
	v_lshlrev_b32_e32 v28, 20, v28
	v_lshl_add_u32 v36, v36, 23, 0x3c000000
	v_and_b32_e32 v37, 0x80000000, v37
	s_delay_alu instid0(VALU_DEP_1) | instskip(NEXT) | instid1(VALU_DEP_1)
	v_or3_b32 v28, v28, v37, v36
	v_dual_mov_b32 v63, v29 :: v_dual_mov_b32 v62, v28
.LBB237_662:                            ;   in Loop: Header=BB237_13 Depth=1
	s_or_b32 exec_lo, exec_lo, s25
.LBB237_663:                            ;   in Loop: Header=BB237_13 Depth=1
	s_delay_alu instid0(SALU_CYCLE_1)
	s_or_b32 exec_lo, exec_lo, s24
.LBB237_664:                            ;   in Loop: Header=BB237_13 Depth=1
	s_delay_alu instid0(SALU_CYCLE_1) | instskip(SKIP_2) | instid1(VALU_DEP_1)
	s_or_b32 exec_lo, exec_lo, s18
	v_lshrrev_b16 v28, 8, v35
	s_mov_b32 s24, exec_lo
	v_cmpx_ne_u16_e32 0, v28
	s_cbranch_execz .LBB237_672
; %bb.665:                              ;   in Loop: Header=BB237_13 Depth=1
	v_dual_mov_b32 v34, s17 :: v_dual_mov_b32 v33, s16
	s_mov_b32 s25, exec_lo
	v_cmpx_ne_u16_e32 0x80, v28
	s_cbranch_execz .LBB237_671
; %bb.666:                              ;   in Loop: Header=BB237_13 Depth=1
	s_mov_b32 s18, s16
	v_and_b32_e32 v28, 0xffff, v28
	v_dual_mov_b32 v34, s19 :: v_dual_mov_b32 v33, s18
	s_mov_b32 s18, exec_lo
	s_delay_alu instid0(VALU_DEP_2) | instskip(NEXT) | instid1(VALU_DEP_1)
	v_and_b32_e32 v36, 0x7f, v28
	v_cmpx_ne_u32_e32 0x7f, v36
	s_cbranch_execz .LBB237_670
; %bb.667:                              ;   in Loop: Header=BB237_13 Depth=1
	v_and_b32_e32 v28, 7, v28
	v_lshrrev_b32_e32 v33, 3, v36
	s_mov_b32 s26, exec_lo
	v_cmpx_gt_u32_e32 8, v36
; %bb.668:                              ;   in Loop: Header=BB237_13 Depth=1
	s_delay_alu instid0(VALU_DEP_3) | instskip(NEXT) | instid1(VALU_DEP_1)
	v_clz_i32_u32_e32 v33, v28
	v_min_u32_e32 v33, 32, v33
	s_delay_alu instid0(VALU_DEP_1) | instskip(SKIP_1) | instid1(VALU_DEP_2)
	v_subrev_nc_u32_e32 v34, 28, v33
	v_sub_nc_u32_e32 v33, 29, v33
	v_lshlrev_b64 v[36:37], v34, v[28:29]
	s_delay_alu instid0(VALU_DEP_1)
	v_and_b32_e32 v28, 7, v36
; %bb.669:                              ;   in Loop: Header=BB237_13 Depth=1
	s_or_b32 exec_lo, exec_lo, s26
	v_lshlrev_b32_e32 v34, 16, v35
	s_delay_alu instid0(VALU_DEP_2) | instskip(SKIP_1) | instid1(VALU_DEP_3)
	v_lshlrev_b32_e32 v28, 20, v28
	v_lshl_add_u32 v33, v33, 23, 0x3c000000
	v_and_b32_e32 v34, 0x80000000, v34
	s_delay_alu instid0(VALU_DEP_1)
	v_or3_b32 v34, v28, v34, v33
	v_mov_b32_e32 v33, v29
.LBB237_670:                            ;   in Loop: Header=BB237_13 Depth=1
	s_or_b32 exec_lo, exec_lo, s18
.LBB237_671:                            ;   in Loop: Header=BB237_13 Depth=1
	s_delay_alu instid0(SALU_CYCLE_1)
	s_or_b32 exec_lo, exec_lo, s25
.LBB237_672:                            ;   in Loop: Header=BB237_13 Depth=1
	s_delay_alu instid0(SALU_CYCLE_1)
	s_or_b32 exec_lo, exec_lo, s24
	flat_load_u16 v28, v[150:151] offset:2564
	v_mov_b32_e32 v35, 0
	s_waitcnt vmcnt(0) lgkmcnt(0)
	v_dual_mov_b32 v36, 0 :: v_dual_and_b32 v37, 0xff, v28
	v_and_b32_e32 v48, 0xffff, v28
	s_delay_alu instid0(VALU_DEP_2) | instskip(NEXT) | instid1(VALU_DEP_3)
	v_cmp_ne_u16_e64 s2, 0, v37
	v_dual_mov_b32 v38, v36 :: v_dual_mov_b32 v37, v35
	s_delay_alu instid0(VALU_DEP_2)
	s_and_saveexec_b32 s18, s2
	s_cbranch_execz .LBB237_680
; %bb.673:                              ;   in Loop: Header=BB237_13 Depth=1
	v_bfrev_b32_e32 v37, 1
	v_and_b32_e32 v28, 0xff, v48
	v_mov_b32_e32 v38, 0
	s_mov_b32 s24, exec_lo
	s_delay_alu instid0(VALU_DEP_2)
	v_cmpx_ne_u16_e32 0x80, v28
	s_cbranch_execz .LBB237_679
; %bb.674:                              ;   in Loop: Header=BB237_13 Depth=1
	v_mov_b32_e32 v37, 0x7f800001
	v_dual_mov_b32 v38, 0 :: v_dual_and_b32 v49, 0x7f, v48
	s_mov_b32 s25, exec_lo
	s_delay_alu instid0(VALU_DEP_1)
	v_cmpx_ne_u32_e32 0x7f, v49
	s_cbranch_execz .LBB237_678
; %bb.675:                              ;   in Loop: Header=BB237_13 Depth=1
	v_and_b32_e32 v28, 7, v48
	v_lshrrev_b32_e32 v37, 3, v49
	s_mov_b32 s26, exec_lo
	v_cmpx_gt_u32_e32 8, v49
; %bb.676:                              ;   in Loop: Header=BB237_13 Depth=1
	s_delay_alu instid0(VALU_DEP_3) | instskip(NEXT) | instid1(VALU_DEP_1)
	v_clz_i32_u32_e32 v37, v28
	v_min_u32_e32 v37, 32, v37
	s_delay_alu instid0(VALU_DEP_1) | instskip(SKIP_1) | instid1(VALU_DEP_2)
	v_subrev_nc_u32_e32 v38, 28, v37
	v_sub_nc_u32_e32 v37, 29, v37
	v_lshlrev_b64 v[49:50], v38, v[28:29]
	s_delay_alu instid0(VALU_DEP_1)
	v_and_b32_e32 v28, 7, v49
; %bb.677:                              ;   in Loop: Header=BB237_13 Depth=1
	s_or_b32 exec_lo, exec_lo, s26
	v_lshlrev_b32_e32 v38, 24, v48
	s_delay_alu instid0(VALU_DEP_2) | instskip(SKIP_1) | instid1(VALU_DEP_3)
	v_lshlrev_b32_e32 v28, 20, v28
	v_lshl_add_u32 v37, v37, 23, 0x3c000000
	v_and_b32_e32 v38, 0x80000000, v38
	s_delay_alu instid0(VALU_DEP_1) | instskip(NEXT) | instid1(VALU_DEP_1)
	v_or3_b32 v28, v28, v38, v37
	v_dual_mov_b32 v38, v29 :: v_dual_mov_b32 v37, v28
.LBB237_678:                            ;   in Loop: Header=BB237_13 Depth=1
	s_or_b32 exec_lo, exec_lo, s25
.LBB237_679:                            ;   in Loop: Header=BB237_13 Depth=1
	s_delay_alu instid0(SALU_CYCLE_1)
	s_or_b32 exec_lo, exec_lo, s24
.LBB237_680:                            ;   in Loop: Header=BB237_13 Depth=1
	s_delay_alu instid0(SALU_CYCLE_1) | instskip(SKIP_2) | instid1(VALU_DEP_1)
	s_or_b32 exec_lo, exec_lo, s18
	v_lshrrev_b16 v28, 8, v48
	s_mov_b32 s24, exec_lo
	v_cmpx_ne_u16_e32 0, v28
	s_cbranch_execz .LBB237_688
; %bb.681:                              ;   in Loop: Header=BB237_13 Depth=1
	v_dual_mov_b32 v36, s17 :: v_dual_mov_b32 v35, s16
	s_mov_b32 s25, exec_lo
	v_cmpx_ne_u16_e32 0x80, v28
	s_cbranch_execz .LBB237_687
; %bb.682:                              ;   in Loop: Header=BB237_13 Depth=1
	s_mov_b32 s18, s16
	v_and_b32_e32 v28, 0xffff, v28
	v_dual_mov_b32 v36, s19 :: v_dual_mov_b32 v35, s18
	s_mov_b32 s18, exec_lo
	s_delay_alu instid0(VALU_DEP_2) | instskip(NEXT) | instid1(VALU_DEP_1)
	v_and_b32_e32 v49, 0x7f, v28
	v_cmpx_ne_u32_e32 0x7f, v49
	s_cbranch_execz .LBB237_686
; %bb.683:                              ;   in Loop: Header=BB237_13 Depth=1
	v_and_b32_e32 v28, 7, v28
	v_lshrrev_b32_e32 v35, 3, v49
	s_mov_b32 s26, exec_lo
	v_cmpx_gt_u32_e32 8, v49
; %bb.684:                              ;   in Loop: Header=BB237_13 Depth=1
	s_delay_alu instid0(VALU_DEP_3) | instskip(NEXT) | instid1(VALU_DEP_1)
	v_clz_i32_u32_e32 v35, v28
	v_min_u32_e32 v35, 32, v35
	s_delay_alu instid0(VALU_DEP_1) | instskip(SKIP_1) | instid1(VALU_DEP_2)
	v_subrev_nc_u32_e32 v36, 28, v35
	v_sub_nc_u32_e32 v35, 29, v35
	v_lshlrev_b64 v[49:50], v36, v[28:29]
	s_delay_alu instid0(VALU_DEP_1)
	v_and_b32_e32 v28, 7, v49
; %bb.685:                              ;   in Loop: Header=BB237_13 Depth=1
	s_or_b32 exec_lo, exec_lo, s26
	v_lshlrev_b32_e32 v36, 16, v48
	s_delay_alu instid0(VALU_DEP_2) | instskip(SKIP_1) | instid1(VALU_DEP_3)
	v_lshlrev_b32_e32 v28, 20, v28
	v_lshl_add_u32 v35, v35, 23, 0x3c000000
	v_and_b32_e32 v36, 0x80000000, v36
	s_delay_alu instid0(VALU_DEP_1)
	v_or3_b32 v36, v28, v36, v35
	v_mov_b32_e32 v35, v29
.LBB237_686:                            ;   in Loop: Header=BB237_13 Depth=1
	s_or_b32 exec_lo, exec_lo, s18
.LBB237_687:                            ;   in Loop: Header=BB237_13 Depth=1
	s_delay_alu instid0(SALU_CYCLE_1)
	s_or_b32 exec_lo, exec_lo, s25
.LBB237_688:                            ;   in Loop: Header=BB237_13 Depth=1
	s_delay_alu instid0(SALU_CYCLE_1) | instskip(SKIP_1) | instid1(VALU_DEP_1)
	s_or_b32 exec_lo, exec_lo, s24
	v_add_co_u32 v52, s2, 0xa00, v150
	v_add_co_ci_u32_e64 v53, s2, 0, v151, s2
	v_mov_b32_e32 v48, 0
	flat_load_u16 v28, v[52:53] offset:8
	s_waitcnt vmcnt(0) lgkmcnt(0)
	v_dual_mov_b32 v49, 0 :: v_dual_and_b32 v50, 0xff, v28
	v_and_b32_e32 v54, 0xffff, v28
	s_delay_alu instid0(VALU_DEP_2) | instskip(NEXT) | instid1(VALU_DEP_3)
	v_cmp_ne_u16_e64 s2, 0, v50
	v_dual_mov_b32 v51, v49 :: v_dual_mov_b32 v50, v48
	s_delay_alu instid0(VALU_DEP_2)
	s_and_saveexec_b32 s18, s2
	s_cbranch_execz .LBB237_696
; %bb.689:                              ;   in Loop: Header=BB237_13 Depth=1
	v_bfrev_b32_e32 v50, 1
	v_dual_mov_b32 v51, 0 :: v_dual_and_b32 v28, 0xff, v54
	s_mov_b32 s24, exec_lo
	s_delay_alu instid0(VALU_DEP_1)
	v_cmpx_ne_u16_e32 0x80, v28
	s_cbranch_execz .LBB237_695
; %bb.690:                              ;   in Loop: Header=BB237_13 Depth=1
	v_mov_b32_e32 v50, 0x7f800001
	v_and_b32_e32 v55, 0x7f, v54
	v_mov_b32_e32 v51, 0
	s_mov_b32 s25, exec_lo
	s_delay_alu instid0(VALU_DEP_2)
	v_cmpx_ne_u32_e32 0x7f, v55
	s_cbranch_execz .LBB237_694
; %bb.691:                              ;   in Loop: Header=BB237_13 Depth=1
	v_and_b32_e32 v28, 7, v54
	v_lshrrev_b32_e32 v50, 3, v55
	s_mov_b32 s26, exec_lo
	v_cmpx_gt_u32_e32 8, v55
; %bb.692:                              ;   in Loop: Header=BB237_13 Depth=1
	s_delay_alu instid0(VALU_DEP_3) | instskip(NEXT) | instid1(VALU_DEP_1)
	v_clz_i32_u32_e32 v50, v28
	v_min_u32_e32 v50, 32, v50
	s_delay_alu instid0(VALU_DEP_1) | instskip(SKIP_1) | instid1(VALU_DEP_2)
	v_subrev_nc_u32_e32 v51, 28, v50
	v_sub_nc_u32_e32 v50, 29, v50
	v_lshlrev_b64 v[64:65], v51, v[28:29]
	s_delay_alu instid0(VALU_DEP_1)
	v_and_b32_e32 v28, 7, v64
; %bb.693:                              ;   in Loop: Header=BB237_13 Depth=1
	s_or_b32 exec_lo, exec_lo, s26
	v_lshlrev_b32_e32 v51, 24, v54
	s_delay_alu instid0(VALU_DEP_2) | instskip(SKIP_1) | instid1(VALU_DEP_3)
	v_lshlrev_b32_e32 v28, 20, v28
	v_lshl_add_u32 v50, v50, 23, 0x3c000000
	v_and_b32_e32 v51, 0x80000000, v51
	s_delay_alu instid0(VALU_DEP_1) | instskip(NEXT) | instid1(VALU_DEP_1)
	v_or3_b32 v28, v28, v51, v50
	v_dual_mov_b32 v51, v29 :: v_dual_mov_b32 v50, v28
.LBB237_694:                            ;   in Loop: Header=BB237_13 Depth=1
	s_or_b32 exec_lo, exec_lo, s25
.LBB237_695:                            ;   in Loop: Header=BB237_13 Depth=1
	s_delay_alu instid0(SALU_CYCLE_1)
	s_or_b32 exec_lo, exec_lo, s24
.LBB237_696:                            ;   in Loop: Header=BB237_13 Depth=1
	s_delay_alu instid0(SALU_CYCLE_1) | instskip(SKIP_2) | instid1(VALU_DEP_1)
	s_or_b32 exec_lo, exec_lo, s18
	v_lshrrev_b16 v28, 8, v54
	s_mov_b32 s24, exec_lo
	v_cmpx_ne_u16_e32 0, v28
	s_cbranch_execz .LBB237_704
; %bb.697:                              ;   in Loop: Header=BB237_13 Depth=1
	v_dual_mov_b32 v49, s17 :: v_dual_mov_b32 v48, s16
	s_mov_b32 s25, exec_lo
	v_cmpx_ne_u16_e32 0x80, v28
	s_cbranch_execz .LBB237_703
; %bb.698:                              ;   in Loop: Header=BB237_13 Depth=1
	s_mov_b32 s18, s16
	v_dual_mov_b32 v49, s19 :: v_dual_and_b32 v28, 0xffff, v28
	v_mov_b32_e32 v48, s18
	s_mov_b32 s18, exec_lo
	s_delay_alu instid0(VALU_DEP_2) | instskip(NEXT) | instid1(VALU_DEP_1)
	v_and_b32_e32 v55, 0x7f, v28
	v_cmpx_ne_u32_e32 0x7f, v55
	s_cbranch_execz .LBB237_702
; %bb.699:                              ;   in Loop: Header=BB237_13 Depth=1
	v_and_b32_e32 v28, 7, v28
	v_lshrrev_b32_e32 v48, 3, v55
	s_mov_b32 s26, exec_lo
	v_cmpx_gt_u32_e32 8, v55
; %bb.700:                              ;   in Loop: Header=BB237_13 Depth=1
	s_delay_alu instid0(VALU_DEP_3) | instskip(NEXT) | instid1(VALU_DEP_1)
	v_clz_i32_u32_e32 v48, v28
	v_min_u32_e32 v48, 32, v48
	s_delay_alu instid0(VALU_DEP_1) | instskip(SKIP_1) | instid1(VALU_DEP_2)
	v_subrev_nc_u32_e32 v49, 28, v48
	v_sub_nc_u32_e32 v48, 29, v48
	v_lshlrev_b64 v[64:65], v49, v[28:29]
	s_delay_alu instid0(VALU_DEP_1)
	v_and_b32_e32 v28, 7, v64
; %bb.701:                              ;   in Loop: Header=BB237_13 Depth=1
	s_or_b32 exec_lo, exec_lo, s26
	v_lshlrev_b32_e32 v49, 16, v54
	s_delay_alu instid0(VALU_DEP_2) | instskip(SKIP_1) | instid1(VALU_DEP_3)
	v_lshlrev_b32_e32 v28, 20, v28
	v_lshl_add_u32 v48, v48, 23, 0x3c000000
	v_and_b32_e32 v49, 0x80000000, v49
	s_delay_alu instid0(VALU_DEP_1)
	v_or3_b32 v49, v28, v49, v48
	v_mov_b32_e32 v48, v29
.LBB237_702:                            ;   in Loop: Header=BB237_13 Depth=1
	s_or_b32 exec_lo, exec_lo, s18
.LBB237_703:                            ;   in Loop: Header=BB237_13 Depth=1
	s_delay_alu instid0(SALU_CYCLE_1)
	s_or_b32 exec_lo, exec_lo, s25
.LBB237_704:                            ;   in Loop: Header=BB237_13 Depth=1
	s_delay_alu instid0(SALU_CYCLE_1)
	s_or_b32 exec_lo, exec_lo, s24
	flat_load_u16 v28, v[52:53] offset:12
	v_mov_b32_e32 v52, 0
	s_waitcnt vmcnt(0) lgkmcnt(0)
	v_dual_mov_b32 v53, 0 :: v_dual_and_b32 v54, 0xff, v28
	v_and_b32_e32 v64, 0xffff, v28
	s_delay_alu instid0(VALU_DEP_2) | instskip(NEXT) | instid1(VALU_DEP_3)
	v_cmp_ne_u16_e64 s2, 0, v54
	v_dual_mov_b32 v55, v53 :: v_dual_mov_b32 v54, v52
	s_delay_alu instid0(VALU_DEP_2)
	s_and_saveexec_b32 s18, s2
	s_cbranch_execz .LBB237_712
; %bb.705:                              ;   in Loop: Header=BB237_13 Depth=1
	v_bfrev_b32_e32 v54, 1
	v_dual_mov_b32 v55, 0 :: v_dual_and_b32 v28, 0xff, v64
	s_mov_b32 s24, exec_lo
	s_delay_alu instid0(VALU_DEP_1)
	v_cmpx_ne_u16_e32 0x80, v28
	s_cbranch_execz .LBB237_711
; %bb.706:                              ;   in Loop: Header=BB237_13 Depth=1
	v_mov_b32_e32 v54, 0x7f800001
	v_and_b32_e32 v65, 0x7f, v64
	v_mov_b32_e32 v55, 0
	s_mov_b32 s25, exec_lo
	s_delay_alu instid0(VALU_DEP_2)
	v_cmpx_ne_u32_e32 0x7f, v65
	s_cbranch_execz .LBB237_710
; %bb.707:                              ;   in Loop: Header=BB237_13 Depth=1
	v_and_b32_e32 v28, 7, v64
	v_lshrrev_b32_e32 v54, 3, v65
	s_mov_b32 s26, exec_lo
	v_cmpx_gt_u32_e32 8, v65
; %bb.708:                              ;   in Loop: Header=BB237_13 Depth=1
	s_delay_alu instid0(VALU_DEP_3) | instskip(NEXT) | instid1(VALU_DEP_1)
	v_clz_i32_u32_e32 v54, v28
	v_min_u32_e32 v54, 32, v54
	s_delay_alu instid0(VALU_DEP_1) | instskip(SKIP_1) | instid1(VALU_DEP_2)
	v_subrev_nc_u32_e32 v55, 28, v54
	v_sub_nc_u32_e32 v54, 29, v54
	v_lshlrev_b64 v[65:66], v55, v[28:29]
	s_delay_alu instid0(VALU_DEP_1)
	v_and_b32_e32 v28, 7, v65
; %bb.709:                              ;   in Loop: Header=BB237_13 Depth=1
	s_or_b32 exec_lo, exec_lo, s26
	v_lshlrev_b32_e32 v55, 24, v64
	s_delay_alu instid0(VALU_DEP_2) | instskip(SKIP_1) | instid1(VALU_DEP_3)
	v_lshlrev_b32_e32 v28, 20, v28
	v_lshl_add_u32 v54, v54, 23, 0x3c000000
	v_and_b32_e32 v55, 0x80000000, v55
	s_delay_alu instid0(VALU_DEP_1) | instskip(NEXT) | instid1(VALU_DEP_1)
	v_or3_b32 v28, v28, v55, v54
	v_dual_mov_b32 v55, v29 :: v_dual_mov_b32 v54, v28
.LBB237_710:                            ;   in Loop: Header=BB237_13 Depth=1
	s_or_b32 exec_lo, exec_lo, s25
.LBB237_711:                            ;   in Loop: Header=BB237_13 Depth=1
	s_delay_alu instid0(SALU_CYCLE_1)
	s_or_b32 exec_lo, exec_lo, s24
.LBB237_712:                            ;   in Loop: Header=BB237_13 Depth=1
	s_delay_alu instid0(SALU_CYCLE_1) | instskip(SKIP_2) | instid1(VALU_DEP_1)
	s_or_b32 exec_lo, exec_lo, s18
	v_lshrrev_b16 v28, 8, v64
	s_mov_b32 s24, exec_lo
	v_cmpx_ne_u16_e32 0, v28
	s_cbranch_execz .LBB237_720
; %bb.713:                              ;   in Loop: Header=BB237_13 Depth=1
	v_dual_mov_b32 v53, s17 :: v_dual_mov_b32 v52, s16
	s_mov_b32 s25, exec_lo
	v_cmpx_ne_u16_e32 0x80, v28
	s_cbranch_execz .LBB237_719
; %bb.714:                              ;   in Loop: Header=BB237_13 Depth=1
	s_mov_b32 s18, s16
	v_dual_mov_b32 v53, s19 :: v_dual_and_b32 v28, 0xffff, v28
	v_mov_b32_e32 v52, s18
	s_mov_b32 s18, exec_lo
	s_delay_alu instid0(VALU_DEP_2) | instskip(NEXT) | instid1(VALU_DEP_1)
	v_and_b32_e32 v65, 0x7f, v28
	v_cmpx_ne_u32_e32 0x7f, v65
	s_cbranch_execz .LBB237_718
; %bb.715:                              ;   in Loop: Header=BB237_13 Depth=1
	v_and_b32_e32 v28, 7, v28
	v_lshrrev_b32_e32 v52, 3, v65
	s_mov_b32 s26, exec_lo
	v_cmpx_gt_u32_e32 8, v65
; %bb.716:                              ;   in Loop: Header=BB237_13 Depth=1
	s_delay_alu instid0(VALU_DEP_3) | instskip(NEXT) | instid1(VALU_DEP_1)
	v_clz_i32_u32_e32 v52, v28
	v_min_u32_e32 v52, 32, v52
	s_delay_alu instid0(VALU_DEP_1) | instskip(SKIP_1) | instid1(VALU_DEP_2)
	v_subrev_nc_u32_e32 v53, 28, v52
	v_sub_nc_u32_e32 v52, 29, v52
	v_lshlrev_b64 v[65:66], v53, v[28:29]
	s_delay_alu instid0(VALU_DEP_1)
	v_and_b32_e32 v28, 7, v65
; %bb.717:                              ;   in Loop: Header=BB237_13 Depth=1
	s_or_b32 exec_lo, exec_lo, s26
	v_lshlrev_b32_e32 v53, 16, v64
	s_delay_alu instid0(VALU_DEP_2) | instskip(SKIP_1) | instid1(VALU_DEP_3)
	v_lshlrev_b32_e32 v28, 20, v28
	v_lshl_add_u32 v52, v52, 23, 0x3c000000
	v_and_b32_e32 v53, 0x80000000, v53
	s_delay_alu instid0(VALU_DEP_1)
	v_or3_b32 v53, v28, v53, v52
	v_mov_b32_e32 v52, v29
.LBB237_718:                            ;   in Loop: Header=BB237_13 Depth=1
	s_or_b32 exec_lo, exec_lo, s18
.LBB237_719:                            ;   in Loop: Header=BB237_13 Depth=1
	s_delay_alu instid0(SALU_CYCLE_1)
	s_or_b32 exec_lo, exec_lo, s25
.LBB237_720:                            ;   in Loop: Header=BB237_13 Depth=1
	s_delay_alu instid0(SALU_CYCLE_1)
	s_or_b32 exec_lo, exec_lo, s24
	flat_load_u16 v28, v[150:151] offset:2816
	v_mov_b32_e32 v64, 0
	s_waitcnt vmcnt(0) lgkmcnt(0)
	v_dual_mov_b32 v65, 0 :: v_dual_and_b32 v66, 0xff, v28
	v_and_b32_e32 v68, 0xffff, v28
	s_delay_alu instid0(VALU_DEP_2) | instskip(NEXT) | instid1(VALU_DEP_3)
	v_cmp_ne_u16_e64 s2, 0, v66
	v_dual_mov_b32 v67, v65 :: v_dual_mov_b32 v66, v64
	s_delay_alu instid0(VALU_DEP_2)
	s_and_saveexec_b32 s18, s2
	s_cbranch_execz .LBB237_728
; %bb.721:                              ;   in Loop: Header=BB237_13 Depth=1
	v_bfrev_b32_e32 v66, 1
	v_dual_mov_b32 v67, 0 :: v_dual_and_b32 v28, 0xff, v68
	s_mov_b32 s24, exec_lo
	s_delay_alu instid0(VALU_DEP_1)
	v_cmpx_ne_u16_e32 0x80, v28
	s_cbranch_execz .LBB237_727
; %bb.722:                              ;   in Loop: Header=BB237_13 Depth=1
	v_mov_b32_e32 v66, 0x7f800001
	v_and_b32_e32 v69, 0x7f, v68
	v_mov_b32_e32 v67, 0
	s_mov_b32 s25, exec_lo
	s_delay_alu instid0(VALU_DEP_2)
	v_cmpx_ne_u32_e32 0x7f, v69
	s_cbranch_execz .LBB237_726
; %bb.723:                              ;   in Loop: Header=BB237_13 Depth=1
	v_and_b32_e32 v28, 7, v68
	v_lshrrev_b32_e32 v66, 3, v69
	s_mov_b32 s26, exec_lo
	v_cmpx_gt_u32_e32 8, v69
; %bb.724:                              ;   in Loop: Header=BB237_13 Depth=1
	s_delay_alu instid0(VALU_DEP_3) | instskip(NEXT) | instid1(VALU_DEP_1)
	v_clz_i32_u32_e32 v66, v28
	v_min_u32_e32 v66, 32, v66
	s_delay_alu instid0(VALU_DEP_1) | instskip(SKIP_1) | instid1(VALU_DEP_2)
	v_subrev_nc_u32_e32 v67, 28, v66
	v_sub_nc_u32_e32 v66, 29, v66
	v_lshlrev_b64 v[69:70], v67, v[28:29]
	s_delay_alu instid0(VALU_DEP_1)
	v_and_b32_e32 v28, 7, v69
; %bb.725:                              ;   in Loop: Header=BB237_13 Depth=1
	s_or_b32 exec_lo, exec_lo, s26
	v_lshlrev_b32_e32 v67, 24, v68
	s_delay_alu instid0(VALU_DEP_2) | instskip(SKIP_1) | instid1(VALU_DEP_3)
	v_lshlrev_b32_e32 v28, 20, v28
	v_lshl_add_u32 v66, v66, 23, 0x3c000000
	v_and_b32_e32 v67, 0x80000000, v67
	s_delay_alu instid0(VALU_DEP_1) | instskip(NEXT) | instid1(VALU_DEP_1)
	v_or3_b32 v28, v28, v67, v66
	v_dual_mov_b32 v67, v29 :: v_dual_mov_b32 v66, v28
.LBB237_726:                            ;   in Loop: Header=BB237_13 Depth=1
	s_or_b32 exec_lo, exec_lo, s25
.LBB237_727:                            ;   in Loop: Header=BB237_13 Depth=1
	s_delay_alu instid0(SALU_CYCLE_1)
	s_or_b32 exec_lo, exec_lo, s24
.LBB237_728:                            ;   in Loop: Header=BB237_13 Depth=1
	s_delay_alu instid0(SALU_CYCLE_1) | instskip(SKIP_2) | instid1(VALU_DEP_1)
	s_or_b32 exec_lo, exec_lo, s18
	v_lshrrev_b16 v28, 8, v68
	s_mov_b32 s24, exec_lo
	v_cmpx_ne_u16_e32 0, v28
	s_cbranch_execz .LBB237_736
; %bb.729:                              ;   in Loop: Header=BB237_13 Depth=1
	v_dual_mov_b32 v65, s17 :: v_dual_mov_b32 v64, s16
	s_mov_b32 s25, exec_lo
	v_cmpx_ne_u16_e32 0x80, v28
	s_cbranch_execz .LBB237_735
; %bb.730:                              ;   in Loop: Header=BB237_13 Depth=1
	s_mov_b32 s18, s16
	v_dual_mov_b32 v65, s19 :: v_dual_and_b32 v28, 0xffff, v28
	v_mov_b32_e32 v64, s18
	s_mov_b32 s18, exec_lo
	s_delay_alu instid0(VALU_DEP_2) | instskip(NEXT) | instid1(VALU_DEP_1)
	v_and_b32_e32 v69, 0x7f, v28
	v_cmpx_ne_u32_e32 0x7f, v69
	s_cbranch_execz .LBB237_734
; %bb.731:                              ;   in Loop: Header=BB237_13 Depth=1
	v_and_b32_e32 v28, 7, v28
	v_lshrrev_b32_e32 v64, 3, v69
	s_mov_b32 s26, exec_lo
	v_cmpx_gt_u32_e32 8, v69
; %bb.732:                              ;   in Loop: Header=BB237_13 Depth=1
	s_delay_alu instid0(VALU_DEP_3) | instskip(NEXT) | instid1(VALU_DEP_1)
	v_clz_i32_u32_e32 v64, v28
	v_min_u32_e32 v64, 32, v64
	s_delay_alu instid0(VALU_DEP_1) | instskip(SKIP_1) | instid1(VALU_DEP_2)
	v_subrev_nc_u32_e32 v65, 28, v64
	v_sub_nc_u32_e32 v64, 29, v64
	v_lshlrev_b64 v[69:70], v65, v[28:29]
	s_delay_alu instid0(VALU_DEP_1)
	v_and_b32_e32 v28, 7, v69
; %bb.733:                              ;   in Loop: Header=BB237_13 Depth=1
	s_or_b32 exec_lo, exec_lo, s26
	v_lshlrev_b32_e32 v65, 16, v68
	s_delay_alu instid0(VALU_DEP_2) | instskip(SKIP_1) | instid1(VALU_DEP_3)
	v_lshlrev_b32_e32 v28, 20, v28
	v_lshl_add_u32 v64, v64, 23, 0x3c000000
	v_and_b32_e32 v65, 0x80000000, v65
	s_delay_alu instid0(VALU_DEP_1)
	v_or3_b32 v65, v28, v65, v64
	v_mov_b32_e32 v64, v29
.LBB237_734:                            ;   in Loop: Header=BB237_13 Depth=1
	s_or_b32 exec_lo, exec_lo, s18
.LBB237_735:                            ;   in Loop: Header=BB237_13 Depth=1
	s_delay_alu instid0(SALU_CYCLE_1)
	s_or_b32 exec_lo, exec_lo, s25
.LBB237_736:                            ;   in Loop: Header=BB237_13 Depth=1
	s_delay_alu instid0(SALU_CYCLE_1)
	s_or_b32 exec_lo, exec_lo, s24
	flat_load_u16 v28, v[150:151] offset:2820
	v_mov_b32_e32 v68, 0
	s_waitcnt vmcnt(0) lgkmcnt(0)
	v_dual_mov_b32 v69, 0 :: v_dual_and_b32 v70, 0xff, v28
	v_and_b32_e32 v80, 0xffff, v28
	s_delay_alu instid0(VALU_DEP_2) | instskip(NEXT) | instid1(VALU_DEP_3)
	v_cmp_ne_u16_e64 s2, 0, v70
	v_dual_mov_b32 v71, v69 :: v_dual_mov_b32 v70, v68
	s_delay_alu instid0(VALU_DEP_2)
	s_and_saveexec_b32 s18, s2
	s_cbranch_execz .LBB237_744
; %bb.737:                              ;   in Loop: Header=BB237_13 Depth=1
	v_bfrev_b32_e32 v70, 1
	v_dual_mov_b32 v71, 0 :: v_dual_and_b32 v28, 0xff, v80
	s_mov_b32 s24, exec_lo
	s_delay_alu instid0(VALU_DEP_1)
	v_cmpx_ne_u16_e32 0x80, v28
	s_cbranch_execz .LBB237_743
; %bb.738:                              ;   in Loop: Header=BB237_13 Depth=1
	v_mov_b32_e32 v70, 0x7f800001
	v_and_b32_e32 v81, 0x7f, v80
	v_mov_b32_e32 v71, 0
	s_mov_b32 s25, exec_lo
	s_delay_alu instid0(VALU_DEP_2)
	v_cmpx_ne_u32_e32 0x7f, v81
	s_cbranch_execz .LBB237_742
; %bb.739:                              ;   in Loop: Header=BB237_13 Depth=1
	v_and_b32_e32 v28, 7, v80
	v_lshrrev_b32_e32 v70, 3, v81
	s_mov_b32 s26, exec_lo
	v_cmpx_gt_u32_e32 8, v81
; %bb.740:                              ;   in Loop: Header=BB237_13 Depth=1
	s_delay_alu instid0(VALU_DEP_3) | instskip(NEXT) | instid1(VALU_DEP_1)
	v_clz_i32_u32_e32 v70, v28
	v_min_u32_e32 v70, 32, v70
	s_delay_alu instid0(VALU_DEP_1) | instskip(SKIP_1) | instid1(VALU_DEP_2)
	v_subrev_nc_u32_e32 v71, 28, v70
	v_sub_nc_u32_e32 v70, 29, v70
	v_lshlrev_b64 v[81:82], v71, v[28:29]
	s_delay_alu instid0(VALU_DEP_1)
	v_and_b32_e32 v28, 7, v81
; %bb.741:                              ;   in Loop: Header=BB237_13 Depth=1
	s_or_b32 exec_lo, exec_lo, s26
	v_lshlrev_b32_e32 v71, 24, v80
	s_delay_alu instid0(VALU_DEP_2) | instskip(SKIP_1) | instid1(VALU_DEP_3)
	v_lshlrev_b32_e32 v28, 20, v28
	v_lshl_add_u32 v70, v70, 23, 0x3c000000
	v_and_b32_e32 v71, 0x80000000, v71
	s_delay_alu instid0(VALU_DEP_1) | instskip(NEXT) | instid1(VALU_DEP_1)
	v_or3_b32 v28, v28, v71, v70
	v_dual_mov_b32 v71, v29 :: v_dual_mov_b32 v70, v28
.LBB237_742:                            ;   in Loop: Header=BB237_13 Depth=1
	s_or_b32 exec_lo, exec_lo, s25
.LBB237_743:                            ;   in Loop: Header=BB237_13 Depth=1
	s_delay_alu instid0(SALU_CYCLE_1)
	s_or_b32 exec_lo, exec_lo, s24
.LBB237_744:                            ;   in Loop: Header=BB237_13 Depth=1
	s_delay_alu instid0(SALU_CYCLE_1) | instskip(SKIP_2) | instid1(VALU_DEP_1)
	s_or_b32 exec_lo, exec_lo, s18
	v_lshrrev_b16 v28, 8, v80
	s_mov_b32 s24, exec_lo
	v_cmpx_ne_u16_e32 0, v28
	s_cbranch_execz .LBB237_752
; %bb.745:                              ;   in Loop: Header=BB237_13 Depth=1
	v_dual_mov_b32 v69, s17 :: v_dual_mov_b32 v68, s16
	s_mov_b32 s25, exec_lo
	v_cmpx_ne_u16_e32 0x80, v28
	s_cbranch_execz .LBB237_751
; %bb.746:                              ;   in Loop: Header=BB237_13 Depth=1
	s_mov_b32 s18, s16
	v_dual_mov_b32 v69, s19 :: v_dual_and_b32 v28, 0xffff, v28
	v_mov_b32_e32 v68, s18
	s_mov_b32 s18, exec_lo
	s_delay_alu instid0(VALU_DEP_2) | instskip(NEXT) | instid1(VALU_DEP_1)
	v_and_b32_e32 v81, 0x7f, v28
	v_cmpx_ne_u32_e32 0x7f, v81
	s_cbranch_execz .LBB237_750
; %bb.747:                              ;   in Loop: Header=BB237_13 Depth=1
	v_and_b32_e32 v28, 7, v28
	v_lshrrev_b32_e32 v68, 3, v81
	s_mov_b32 s26, exec_lo
	v_cmpx_gt_u32_e32 8, v81
; %bb.748:                              ;   in Loop: Header=BB237_13 Depth=1
	s_delay_alu instid0(VALU_DEP_3) | instskip(NEXT) | instid1(VALU_DEP_1)
	v_clz_i32_u32_e32 v68, v28
	v_min_u32_e32 v68, 32, v68
	s_delay_alu instid0(VALU_DEP_1) | instskip(SKIP_1) | instid1(VALU_DEP_2)
	v_subrev_nc_u32_e32 v69, 28, v68
	v_sub_nc_u32_e32 v68, 29, v68
	v_lshlrev_b64 v[81:82], v69, v[28:29]
	s_delay_alu instid0(VALU_DEP_1)
	v_and_b32_e32 v28, 7, v81
; %bb.749:                              ;   in Loop: Header=BB237_13 Depth=1
	s_or_b32 exec_lo, exec_lo, s26
	v_lshlrev_b32_e32 v69, 16, v80
	s_delay_alu instid0(VALU_DEP_2) | instskip(SKIP_1) | instid1(VALU_DEP_3)
	v_lshlrev_b32_e32 v28, 20, v28
	v_lshl_add_u32 v68, v68, 23, 0x3c000000
	v_and_b32_e32 v69, 0x80000000, v69
	s_delay_alu instid0(VALU_DEP_1)
	v_or3_b32 v69, v28, v69, v68
	v_mov_b32_e32 v68, v29
.LBB237_750:                            ;   in Loop: Header=BB237_13 Depth=1
	s_or_b32 exec_lo, exec_lo, s18
.LBB237_751:                            ;   in Loop: Header=BB237_13 Depth=1
	s_delay_alu instid0(SALU_CYCLE_1)
	s_or_b32 exec_lo, exec_lo, s25
.LBB237_752:                            ;   in Loop: Header=BB237_13 Depth=1
	s_delay_alu instid0(SALU_CYCLE_1) | instskip(SKIP_1) | instid1(VALU_DEP_1)
	s_or_b32 exec_lo, exec_lo, s24
	v_add_co_u32 v82, s2, 0xb00, v150
	v_add_co_ci_u32_e64 v83, s2, 0, v151, s2
	flat_load_u16 v28, v[82:83] offset:8
	v_mov_b32_e32 v150, 0
	s_waitcnt vmcnt(0) lgkmcnt(0)
	v_dual_mov_b32 v151, 0 :: v_dual_and_b32 v80, 0xff, v28
	v_and_b32_e32 v85, 0xffff, v28
	s_delay_alu instid0(VALU_DEP_2) | instskip(NEXT) | instid1(VALU_DEP_3)
	v_cmp_ne_u16_e64 s2, 0, v80
	v_dual_mov_b32 v80, v150 :: v_dual_mov_b32 v81, v151
	s_delay_alu instid0(VALU_DEP_2)
	s_and_saveexec_b32 s18, s2
	s_cbranch_execz .LBB237_760
; %bb.753:                              ;   in Loop: Header=BB237_13 Depth=1
	v_bfrev_b32_e32 v80, 1
	v_dual_mov_b32 v81, 0 :: v_dual_and_b32 v28, 0xff, v85
	s_mov_b32 s24, exec_lo
	s_delay_alu instid0(VALU_DEP_1)
	v_cmpx_ne_u16_e32 0x80, v28
	s_cbranch_execz .LBB237_759
; %bb.754:                              ;   in Loop: Header=BB237_13 Depth=1
	v_mov_b32_e32 v80, 0x7f800001
	v_dual_mov_b32 v81, 0 :: v_dual_and_b32 v86, 0x7f, v85
	s_mov_b32 s25, exec_lo
	s_delay_alu instid0(VALU_DEP_1)
	v_cmpx_ne_u32_e32 0x7f, v86
	s_cbranch_execz .LBB237_758
; %bb.755:                              ;   in Loop: Header=BB237_13 Depth=1
	v_and_b32_e32 v28, 7, v85
	v_lshrrev_b32_e32 v80, 3, v86
	s_mov_b32 s26, exec_lo
	v_cmpx_gt_u32_e32 8, v86
; %bb.756:                              ;   in Loop: Header=BB237_13 Depth=1
	s_delay_alu instid0(VALU_DEP_3) | instskip(NEXT) | instid1(VALU_DEP_1)
	v_clz_i32_u32_e32 v80, v28
	v_min_u32_e32 v80, 32, v80
	s_delay_alu instid0(VALU_DEP_1) | instskip(SKIP_1) | instid1(VALU_DEP_2)
	v_subrev_nc_u32_e32 v81, 28, v80
	v_sub_nc_u32_e32 v80, 29, v80
	v_lshlrev_b64 v[86:87], v81, v[28:29]
	s_delay_alu instid0(VALU_DEP_1)
	v_and_b32_e32 v28, 7, v86
; %bb.757:                              ;   in Loop: Header=BB237_13 Depth=1
	s_or_b32 exec_lo, exec_lo, s26
	v_lshlrev_b32_e32 v81, 24, v85
	s_delay_alu instid0(VALU_DEP_2) | instskip(SKIP_1) | instid1(VALU_DEP_3)
	v_lshlrev_b32_e32 v28, 20, v28
	v_lshl_add_u32 v80, v80, 23, 0x3c000000
	v_and_b32_e32 v81, 0x80000000, v81
	s_delay_alu instid0(VALU_DEP_1) | instskip(NEXT) | instid1(VALU_DEP_1)
	v_or3_b32 v28, v28, v81, v80
	v_dual_mov_b32 v81, v29 :: v_dual_mov_b32 v80, v28
.LBB237_758:                            ;   in Loop: Header=BB237_13 Depth=1
	s_or_b32 exec_lo, exec_lo, s25
.LBB237_759:                            ;   in Loop: Header=BB237_13 Depth=1
	s_delay_alu instid0(SALU_CYCLE_1)
	s_or_b32 exec_lo, exec_lo, s24
.LBB237_760:                            ;   in Loop: Header=BB237_13 Depth=1
	s_delay_alu instid0(SALU_CYCLE_1) | instskip(SKIP_2) | instid1(VALU_DEP_1)
	s_or_b32 exec_lo, exec_lo, s18
	v_lshrrev_b16 v28, 8, v85
	s_mov_b32 s24, exec_lo
	v_cmpx_ne_u16_e32 0, v28
	s_cbranch_execz .LBB237_768
; %bb.761:                              ;   in Loop: Header=BB237_13 Depth=1
	v_dual_mov_b32 v151, s17 :: v_dual_mov_b32 v150, s16
	s_mov_b32 s25, exec_lo
	v_cmpx_ne_u16_e32 0x80, v28
	s_cbranch_execz .LBB237_767
; %bb.762:                              ;   in Loop: Header=BB237_13 Depth=1
	s_mov_b32 s18, s16
	v_dual_mov_b32 v151, s19 :: v_dual_and_b32 v28, 0xffff, v28
	v_mov_b32_e32 v150, s18
	s_mov_b32 s18, exec_lo
	s_delay_alu instid0(VALU_DEP_2) | instskip(NEXT) | instid1(VALU_DEP_1)
	v_and_b32_e32 v87, 0x7f, v28
	v_cmpx_ne_u32_e32 0x7f, v87
	s_cbranch_execz .LBB237_766
; %bb.763:                              ;   in Loop: Header=BB237_13 Depth=1
	v_and_b32_e32 v28, 7, v28
	v_lshrrev_b32_e32 v86, 3, v87
	s_mov_b32 s26, exec_lo
	v_cmpx_gt_u32_e32 8, v87
; %bb.764:                              ;   in Loop: Header=BB237_13 Depth=1
	s_delay_alu instid0(VALU_DEP_3) | instskip(NEXT) | instid1(VALU_DEP_1)
	v_clz_i32_u32_e32 v86, v28
	v_min_u32_e32 v86, 32, v86
	s_delay_alu instid0(VALU_DEP_1) | instskip(SKIP_1) | instid1(VALU_DEP_2)
	v_subrev_nc_u32_e32 v87, 28, v86
	v_sub_nc_u32_e32 v86, 29, v86
	v_lshlrev_b64 v[150:151], v87, v[28:29]
	s_delay_alu instid0(VALU_DEP_1)
	v_and_b32_e32 v28, 7, v150
; %bb.765:                              ;   in Loop: Header=BB237_13 Depth=1
	s_or_b32 exec_lo, exec_lo, s26
	v_dual_mov_b32 v150, v29 :: v_dual_lshlrev_b32 v85, 16, v85
	s_delay_alu instid0(VALU_DEP_2) | instskip(SKIP_1) | instid1(VALU_DEP_3)
	v_lshlrev_b32_e32 v28, 20, v28
	v_lshl_add_u32 v86, v86, 23, 0x3c000000
	v_and_b32_e32 v85, 0x80000000, v85
	s_delay_alu instid0(VALU_DEP_1)
	v_or3_b32 v151, v28, v85, v86
.LBB237_766:                            ;   in Loop: Header=BB237_13 Depth=1
	s_or_b32 exec_lo, exec_lo, s18
.LBB237_767:                            ;   in Loop: Header=BB237_13 Depth=1
	s_delay_alu instid0(SALU_CYCLE_1)
	s_or_b32 exec_lo, exec_lo, s25
.LBB237_768:                            ;   in Loop: Header=BB237_13 Depth=1
	s_delay_alu instid0(SALU_CYCLE_1)
	s_or_b32 exec_lo, exec_lo, s24
	flat_load_u16 v28, v[82:83] offset:12
	v_mov_b32_e32 v74, 0
	s_waitcnt vmcnt(0) lgkmcnt(0)
	v_dual_mov_b32 v75, 0 :: v_dual_and_b32 v82, 0xff, v28
	v_and_b32_e32 v85, 0xffff, v28
	s_delay_alu instid0(VALU_DEP_2) | instskip(NEXT) | instid1(VALU_DEP_3)
	v_cmp_ne_u16_e64 s2, 0, v82
	v_dual_mov_b32 v83, v75 :: v_dual_mov_b32 v82, v74
	s_delay_alu instid0(VALU_DEP_2)
	s_and_saveexec_b32 s18, s2
	s_cbranch_execz .LBB237_776
; %bb.769:                              ;   in Loop: Header=BB237_13 Depth=1
	v_bfrev_b32_e32 v82, 1
	v_dual_mov_b32 v83, 0 :: v_dual_and_b32 v28, 0xff, v85
	s_mov_b32 s24, exec_lo
	s_delay_alu instid0(VALU_DEP_1)
	v_cmpx_ne_u16_e32 0x80, v28
	s_cbranch_execz .LBB237_775
; %bb.770:                              ;   in Loop: Header=BB237_13 Depth=1
	v_mov_b32_e32 v82, 0x7f800001
	v_dual_mov_b32 v83, 0 :: v_dual_and_b32 v86, 0x7f, v85
	s_mov_b32 s25, exec_lo
	s_delay_alu instid0(VALU_DEP_1)
	v_cmpx_ne_u32_e32 0x7f, v86
	s_cbranch_execz .LBB237_774
; %bb.771:                              ;   in Loop: Header=BB237_13 Depth=1
	v_and_b32_e32 v28, 7, v85
	v_lshrrev_b32_e32 v82, 3, v86
	s_mov_b32 s26, exec_lo
	v_cmpx_gt_u32_e32 8, v86
; %bb.772:                              ;   in Loop: Header=BB237_13 Depth=1
	s_delay_alu instid0(VALU_DEP_3) | instskip(NEXT) | instid1(VALU_DEP_1)
	v_clz_i32_u32_e32 v82, v28
	v_min_u32_e32 v82, 32, v82
	s_delay_alu instid0(VALU_DEP_1) | instskip(SKIP_1) | instid1(VALU_DEP_2)
	v_subrev_nc_u32_e32 v83, 28, v82
	v_sub_nc_u32_e32 v82, 29, v82
	v_lshlrev_b64 v[86:87], v83, v[28:29]
	s_delay_alu instid0(VALU_DEP_1)
	v_and_b32_e32 v28, 7, v86
; %bb.773:                              ;   in Loop: Header=BB237_13 Depth=1
	s_or_b32 exec_lo, exec_lo, s26
	v_lshlrev_b32_e32 v83, 24, v85
	s_delay_alu instid0(VALU_DEP_2) | instskip(SKIP_1) | instid1(VALU_DEP_3)
	v_lshlrev_b32_e32 v28, 20, v28
	v_lshl_add_u32 v82, v82, 23, 0x3c000000
	v_and_b32_e32 v83, 0x80000000, v83
	s_delay_alu instid0(VALU_DEP_1) | instskip(NEXT) | instid1(VALU_DEP_1)
	v_or3_b32 v28, v28, v83, v82
	v_dual_mov_b32 v83, v29 :: v_dual_mov_b32 v82, v28
.LBB237_774:                            ;   in Loop: Header=BB237_13 Depth=1
	s_or_b32 exec_lo, exec_lo, s25
.LBB237_775:                            ;   in Loop: Header=BB237_13 Depth=1
	s_delay_alu instid0(SALU_CYCLE_1)
	s_or_b32 exec_lo, exec_lo, s24
.LBB237_776:                            ;   in Loop: Header=BB237_13 Depth=1
	s_delay_alu instid0(SALU_CYCLE_1) | instskip(SKIP_2) | instid1(VALU_DEP_1)
	s_or_b32 exec_lo, exec_lo, s18
	v_lshrrev_b16 v28, 8, v85
	s_mov_b32 s24, exec_lo
	v_cmpx_ne_u16_e32 0, v28
	s_cbranch_execz .LBB237_784
; %bb.777:                              ;   in Loop: Header=BB237_13 Depth=1
	v_dual_mov_b32 v75, s17 :: v_dual_mov_b32 v74, s16
	s_mov_b32 s25, exec_lo
	v_cmpx_ne_u16_e32 0x80, v28
	s_cbranch_execz .LBB237_783
; %bb.778:                              ;   in Loop: Header=BB237_13 Depth=1
	s_mov_b32 s18, s16
	v_dual_mov_b32 v75, s19 :: v_dual_and_b32 v28, 0xffff, v28
	v_mov_b32_e32 v74, s18
	s_mov_b32 s18, exec_lo
	s_delay_alu instid0(VALU_DEP_2) | instskip(NEXT) | instid1(VALU_DEP_1)
	v_and_b32_e32 v87, 0x7f, v28
	v_cmpx_ne_u32_e32 0x7f, v87
	s_cbranch_execz .LBB237_782
; %bb.779:                              ;   in Loop: Header=BB237_13 Depth=1
	v_and_b32_e32 v28, 7, v28
	v_lshrrev_b32_e32 v86, 3, v87
	s_mov_b32 s26, exec_lo
	v_cmpx_gt_u32_e32 8, v87
; %bb.780:                              ;   in Loop: Header=BB237_13 Depth=1
	s_delay_alu instid0(VALU_DEP_3) | instskip(NEXT) | instid1(VALU_DEP_1)
	v_clz_i32_u32_e32 v86, v28
	v_min_u32_e32 v86, 32, v86
	s_delay_alu instid0(VALU_DEP_1) | instskip(SKIP_1) | instid1(VALU_DEP_2)
	v_subrev_nc_u32_e32 v87, 28, v86
	v_sub_nc_u32_e32 v86, 29, v86
	v_lshlrev_b64 v[74:75], v87, v[28:29]
	s_delay_alu instid0(VALU_DEP_1)
	v_and_b32_e32 v28, 7, v74
; %bb.781:                              ;   in Loop: Header=BB237_13 Depth=1
	s_or_b32 exec_lo, exec_lo, s26
	v_dual_mov_b32 v74, v29 :: v_dual_lshlrev_b32 v85, 16, v85
	s_delay_alu instid0(VALU_DEP_2) | instskip(SKIP_1) | instid1(VALU_DEP_3)
	v_lshlrev_b32_e32 v28, 20, v28
	v_lshl_add_u32 v86, v86, 23, 0x3c000000
	v_and_b32_e32 v85, 0x80000000, v85
	s_delay_alu instid0(VALU_DEP_1)
	v_or3_b32 v75, v28, v85, v86
.LBB237_782:                            ;   in Loop: Header=BB237_13 Depth=1
	s_or_b32 exec_lo, exec_lo, s18
.LBB237_783:                            ;   in Loop: Header=BB237_13 Depth=1
	s_delay_alu instid0(SALU_CYCLE_1)
	s_or_b32 exec_lo, exec_lo, s25
.LBB237_784:                            ;   in Loop: Header=BB237_13 Depth=1
	s_delay_alu instid0(SALU_CYCLE_1)
	s_or_b32 exec_lo, exec_lo, s24
	v_or_b32_e32 v28, v134, v96
	v_or_b32_e32 v85, v135, v97
	s_clause 0x1
	scratch_load_b64 v[134:135], off, s32 offset:356
	scratch_load_b64 v[96:97], off, s32 offset:364
	v_or_b32_e32 v8, v8, v16
	v_or_b32_e32 v4, v114, v4
	v_mul_f32_e32 v85, v84, v85
	v_mul_f32_e32 v28, v84, v28
	v_or_b32_e32 v5, v115, v5
	v_mul_f32_e32 v8, v84, v8
	v_or_b32_e32 v12, v117, v12
	;; [unrolled: 2-line block ×3, first 2 shown]
	v_or_b32_e32 v11, v116, v11
	v_or_b32_e32 v9, v9, v17
	;; [unrolled: 1-line block ×7, first 2 shown]
	v_mul_f32_e32 v28, v102, v28
	v_mul_f32_e32 v4, v84, v4
	s_waitcnt vmcnt(1)
	v_or_b32_e32 v86, v131, v135
	v_or_b32_e32 v87, v130, v134
	;; [unrolled: 1-line block ×5, first 2 shown]
	v_mul_f32_e32 v86, v84, v86
	v_mul_f32_e32 v87, v84, v87
	s_delay_alu instid0(VALU_DEP_1)
	v_dual_fmac_f32 v85, v101, v86 :: v_dual_fmac_f32 v28, v100, v87
	s_waitcnt vmcnt(0)
	v_or_b32_e32 v86, v161, v97
	v_or_b32_e32 v87, v160, v96
	;; [unrolled: 1-line block ×4, first 2 shown]
	scratch_load_b128 v[96:99], off, s32 offset:616 ; 16-byte Folded Reload
	v_mul_f32_e32 v86, v84, v86
	v_mul_f32_e32 v87, v84, v87
	v_mul_f32_e32 v100, v84, v100
	s_waitcnt vmcnt(0)
	s_delay_alu instid0(VALU_DEP_1) | instskip(SKIP_1) | instid1(VALU_DEP_1)
	v_fmac_f32_e32 v28, v96, v100
	v_mul_f32_e32 v96, v84, v101
	v_dual_fmac_f32 v28, v98, v87 :: v_dual_fmac_f32 v85, v97, v96
	scratch_load_b64 v[96:97], off, s32 offset:380 ; 8-byte Folded Reload
	v_fmac_f32_e32 v85, v99, v86
	scratch_load_b128 v[98:101], off, s32 offset:600 ; 16-byte Folded Reload
	s_waitcnt vmcnt(1)
	v_or_b32_e32 v86, v177, v97
	v_or_b32_e32 v87, v176, v96
	scratch_load_b64 v[96:97], off, s32 offset:372 ; 8-byte Folded Reload
	v_mul_f32_e32 v86, v84, v86
	v_mul_f32_e32 v87, v84, v87
	s_waitcnt vmcnt(0)
	v_or_b32_e32 v96, v164, v96
	v_or_b32_e32 v97, v165, v97
	s_delay_alu instid0(VALU_DEP_2) | instskip(NEXT) | instid1(VALU_DEP_1)
	v_mul_f32_e32 v96, v84, v96
	v_fmac_f32_e32 v28, v98, v96
	s_delay_alu instid0(VALU_DEP_3) | instskip(NEXT) | instid1(VALU_DEP_1)
	v_mul_f32_e32 v96, v84, v97
	v_dual_fmac_f32 v28, v100, v87 :: v_dual_fmac_f32 v85, v99, v96
	scratch_load_b64 v[96:97], off, s32 offset:396 ; 8-byte Folded Reload
	v_fmac_f32_e32 v85, v101, v86
	s_waitcnt vmcnt(0)
	v_or_b32_e32 v86, v40, v97
	v_or_b32_e32 v39, v39, v96
	scratch_load_b64 v[96:97], off, s32 offset:388 ; 8-byte Folded Reload
	v_mul_f32_e32 v39, v84, v39
	s_waitcnt vmcnt(0)
	v_or_b32_e32 v87, v180, v96
	v_or_b32_e32 v96, v181, v97
	scratch_load_b128 v[97:100], off, s32 offset:584 ; 16-byte Folded Reload
	v_mul_f32_e32 v87, v84, v87
	s_waitcnt vmcnt(0)
	s_delay_alu instid0(VALU_DEP_1)
	v_dual_fmac_f32 v28, v97, v87 :: v_dual_mul_f32 v87, v84, v96
	scratch_load_b64 v[96:97], off, s32 offset:412 ; 8-byte Folded Reload
	v_dual_fmac_f32 v28, v99, v39 :: v_dual_mul_f32 v39, v84, v86
	v_fmac_f32_e32 v85, v98, v87
	scratch_load_b64 v[86:87], off, s32 offset:404 ; 8-byte Folded Reload
	v_fmac_f32_e32 v85, v100, v39
	s_waitcnt vmcnt(1)
	v_or_b32_e32 v96, v56, v96
	s_waitcnt vmcnt(0)
	v_or_b32_e32 v39, v43, v86
	v_or_b32_e32 v86, v44, v87
	v_or_b32_e32 v87, v57, v97
	scratch_load_b128 v[97:100], off, s32 offset:568 ; 16-byte Folded Reload
	v_mul_f32_e32 v39, v84, v39
	s_waitcnt vmcnt(0)
	s_delay_alu instid0(VALU_DEP_1) | instskip(NEXT) | instid1(VALU_DEP_1)
	v_dual_fmac_f32 v28, v97, v39 :: v_dual_mul_f32 v39, v84, v86
	v_fmac_f32_e32 v85, v98, v39
	v_mul_f32_e32 v39, v84, v96
	scratch_load_b64 v[96:97], off, s32 offset:420 ; 8-byte Folded Reload
	v_fmac_f32_e32 v28, v99, v39
	v_mul_f32_e32 v39, v84, v87
	scratch_load_b64 v[86:87], off, s32 offset:428 ; 8-byte Folded Reload
	v_fmac_f32_e32 v85, v100, v39
	s_waitcnt vmcnt(0)
	v_or_b32_e32 v39, v73, v87
	v_or_b32_e32 v87, v60, v96
	;; [unrolled: 1-line block ×3, first 2 shown]
	scratch_load_b128 v[97:100], off, s32 offset:552 ; 16-byte Folded Reload
	v_or_b32_e32 v86, v72, v86
	v_mul_f32_e32 v39, v84, v39
	v_mul_f32_e32 v87, v84, v87
	s_delay_alu instid0(VALU_DEP_3) | instskip(SKIP_1) | instid1(VALU_DEP_2)
	v_mul_f32_e32 v86, v84, v86
	s_waitcnt vmcnt(0)
	v_dual_fmac_f32 v28, v97, v87 :: v_dual_mul_f32 v87, v84, v96
	v_or_b32_e32 v96, v89, v91
	s_delay_alu instid0(VALU_DEP_2) | instskip(SKIP_2) | instid1(VALU_DEP_3)
	v_dual_fmac_f32 v28, v99, v86 :: v_dual_fmac_f32 v85, v98, v87
	v_or_b32_e32 v86, v77, v79
	v_or_b32_e32 v87, v88, v90
	v_fmac_f32_e32 v85, v100, v39
	scratch_load_b128 v[97:100], off, s32 offset:536 ; 16-byte Folded Reload
	v_or_b32_e32 v39, v76, v78
	s_delay_alu instid0(VALU_DEP_1) | instskip(SKIP_1) | instid1(VALU_DEP_1)
	v_mul_f32_e32 v39, v84, v39
	s_waitcnt vmcnt(0)
	v_dual_fmac_f32 v28, v97, v39 :: v_dual_mul_f32 v39, v84, v86
	v_or_b32_e32 v86, v93, v95
	s_delay_alu instid0(VALU_DEP_2) | instskip(SKIP_2) | instid1(VALU_DEP_2)
	v_fmac_f32_e32 v85, v98, v39
	v_mul_f32_e32 v39, v84, v87
	v_or_b32_e32 v87, v104, v106
	v_dual_fmac_f32 v28, v99, v39 :: v_dual_mul_f32 v39, v84, v96
	v_or_b32_e32 v96, v105, v107
	s_delay_alu instid0(VALU_DEP_2) | instskip(SKIP_2) | instid1(VALU_DEP_1)
	v_fmac_f32_e32 v85, v100, v39
	scratch_load_b128 v[97:100], off, s32 offset:520 ; 16-byte Folded Reload
	v_or_b32_e32 v39, v92, v94
	v_mul_f32_e32 v39, v84, v39
	s_waitcnt vmcnt(0)
	s_delay_alu instid0(VALU_DEP_1) | instskip(SKIP_1) | instid1(VALU_DEP_2)
	v_dual_fmac_f32 v28, v97, v39 :: v_dual_mul_f32 v39, v84, v86
	v_or_b32_e32 v86, v109, v111
	v_fmac_f32_e32 v85, v98, v39
	v_mul_f32_e32 v39, v84, v87
	v_or_b32_e32 v87, v120, v122
	s_delay_alu instid0(VALU_DEP_2) | instskip(SKIP_1) | instid1(VALU_DEP_2)
	v_dual_fmac_f32 v28, v99, v39 :: v_dual_mul_f32 v39, v84, v96
	v_or_b32_e32 v96, v121, v123
	v_fmac_f32_e32 v85, v100, v39
	scratch_load_b128 v[97:100], off, s32 offset:504 ; 16-byte Folded Reload
	v_or_b32_e32 v39, v108, v110
	s_delay_alu instid0(VALU_DEP_1) | instskip(SKIP_1) | instid1(VALU_DEP_1)
	v_mul_f32_e32 v39, v84, v39
	s_waitcnt vmcnt(0)
	v_dual_fmac_f32 v28, v97, v39 :: v_dual_mul_f32 v39, v84, v86
	v_or_b32_e32 v86, v125, v127
	s_delay_alu instid0(VALU_DEP_2) | instskip(SKIP_2) | instid1(VALU_DEP_2)
	v_fmac_f32_e32 v85, v98, v39
	v_mul_f32_e32 v39, v84, v87
	v_or_b32_e32 v87, v136, v138
	v_dual_fmac_f32 v28, v99, v39 :: v_dual_mul_f32 v39, v84, v96
	v_or_b32_e32 v96, v137, v139
	s_delay_alu instid0(VALU_DEP_2) | instskip(SKIP_2) | instid1(VALU_DEP_1)
	v_fmac_f32_e32 v85, v100, v39
	scratch_load_b128 v[97:100], off, s32 offset:488 ; 16-byte Folded Reload
	v_or_b32_e32 v39, v124, v126
	v_mul_f32_e32 v39, v84, v39
	s_waitcnt vmcnt(0)
	s_delay_alu instid0(VALU_DEP_1) | instskip(SKIP_1) | instid1(VALU_DEP_2)
	v_dual_fmac_f32 v28, v97, v39 :: v_dual_mul_f32 v39, v84, v86
	v_or_b32_e32 v86, v141, v143
	v_fmac_f32_e32 v85, v98, v39
	v_mul_f32_e32 v39, v84, v87
	v_or_b32_e32 v87, v152, v154
	s_delay_alu instid0(VALU_DEP_2) | instskip(SKIP_1) | instid1(VALU_DEP_2)
	v_dual_fmac_f32 v28, v99, v39 :: v_dual_mul_f32 v39, v84, v96
	v_or_b32_e32 v96, v153, v155
	v_fmac_f32_e32 v85, v100, v39
	scratch_load_b128 v[97:100], off, s32 offset:472 ; 16-byte Folded Reload
	v_or_b32_e32 v39, v140, v142
	s_delay_alu instid0(VALU_DEP_1) | instskip(SKIP_1) | instid1(VALU_DEP_1)
	v_mul_f32_e32 v39, v84, v39
	s_waitcnt vmcnt(0)
	v_dual_fmac_f32 v28, v97, v39 :: v_dual_mul_f32 v39, v84, v86
	v_or_b32_e32 v86, v168, v170
	s_delay_alu instid0(VALU_DEP_2) | instskip(SKIP_2) | instid1(VALU_DEP_4)
	v_fmac_f32_e32 v85, v98, v39
	v_mul_f32_e32 v39, v84, v87
	v_or_b32_e32 v87, v156, v158
	v_mul_f32_e32 v86, v84, v86
	s_delay_alu instid0(VALU_DEP_3) | instskip(SKIP_1) | instid1(VALU_DEP_4)
	v_dual_fmac_f32 v28, v99, v39 :: v_dual_mul_f32 v39, v84, v96
	v_or_b32_e32 v96, v157, v159
	v_mul_f32_e32 v87, v84, v87
	s_delay_alu instid0(VALU_DEP_3) | instskip(SKIP_2) | instid1(VALU_DEP_1)
	v_fmac_f32_e32 v85, v100, v39
	scratch_load_b128 v[97:100], off, s32 offset:456 ; 16-byte Folded Reload
	v_or_b32_e32 v39, v169, v171
	v_mul_f32_e32 v39, v84, v39
	s_waitcnt vmcnt(0)
	v_dual_fmac_f32 v28, v97, v87 :: v_dual_mul_f32 v87, v84, v96
	scratch_load_b64 v[96:97], off, s32 offset:448 ; 8-byte Folded Reload
	v_dual_fmac_f32 v28, v99, v86 :: v_dual_fmac_f32 v85, v98, v87
	v_or_b32_e32 v86, v173, v175
	v_or_b32_e32 v87, v184, v186
	s_delay_alu instid0(VALU_DEP_3) | instskip(SKIP_1) | instid1(VALU_DEP_1)
	v_fmac_f32_e32 v85, v100, v39
	v_or_b32_e32 v39, v172, v174
	v_mul_f32_e32 v39, v84, v39
	s_waitcnt vmcnt(0)
	s_delay_alu instid0(VALU_DEP_1) | instskip(SKIP_1) | instid1(VALU_DEP_1)
	v_fmac_f32_e32 v28, v96, v39
	v_mul_f32_e32 v39, v84, v86
	v_fmac_f32_e32 v85, v97, v39
	ds_load_2addr_b64 v[96:99], v13 offset0:25 offset1:26
	ds_load_2addr_b64 v[100:103], v13 offset0:27 offset1:28
	v_mul_f32_e32 v39, v84, v87
	s_waitcnt lgkmcnt(1)
	s_delay_alu instid0(VALU_DEP_1) | instskip(SKIP_1) | instid1(VALU_DEP_1)
	v_fmac_f32_e32 v28, v96, v39
	v_mul_f32_e32 v39, v84, v130
	v_fmac_f32_e32 v85, v97, v39
	v_mul_f32_e32 v39, v84, v131
	s_delay_alu instid0(VALU_DEP_1) | instskip(SKIP_1) | instid1(VALU_DEP_1)
	v_dual_fmac_f32 v28, v98, v39 :: v_dual_mul_f32 v39, v84, v134
	s_waitcnt lgkmcnt(0)
	v_dual_fmac_f32 v28, v100, v4 :: v_dual_fmac_f32 v85, v99, v39
	v_mul_f32_e32 v4, v84, v5
	v_or_b32_e32 v5, v2, v14
	v_or_b32_e32 v14, v58, v6
	;; [unrolled: 1-line block ×3, first 2 shown]
	s_delay_alu instid0(VALU_DEP_4) | instskip(SKIP_3) | instid1(VALU_DEP_4)
	v_dual_fmac_f32 v85, v101, v4 :: v_dual_mul_f32 v4, v84, v11
	v_or_b32_e32 v11, v3, v15
	v_or_b32_e32 v15, v59, v7
	v_mul_f32_e32 v14, v84, v14
	v_fmac_f32_e32 v28, v102, v4
	v_mul_f32_e32 v4, v84, v12
	v_mul_f32_e32 v12, v84, v0
	;; [unrolled: 1-line block ×3, first 2 shown]
	s_delay_alu instid0(VALU_DEP_3)
	v_fmac_f32_e32 v85, v103, v4
	v_or_b32_e32 v4, v22, v1
	ds_load_2addr_b64 v[0:3], v13 offset0:29 offset1:30
	ds_load_2addr_b64 v[96:99], v13 offset0:31 offset1:32
	s_waitcnt lgkmcnt(1)
	v_fmac_f32_e32 v28, v0, v12
	v_mul_f32_e32 v0, v84, v4
	v_or_b32_e32 v4, v145, v149
	s_delay_alu instid0(VALU_DEP_2) | instskip(SKIP_3) | instid1(VALU_DEP_4)
	v_dual_fmac_f32 v85, v1, v0 :: v_dual_mul_f32 v0, v84, v5
	v_or_b32_e32 v1, v27, v129
	v_or_b32_e32 v5, v162, v166
	;; [unrolled: 1-line block ×3, first 2 shown]
	v_fmac_f32_e32 v28, v2, v0
	v_mul_f32_e32 v0, v84, v11
	v_or_b32_e32 v2, v23, v132
	v_or_b32_e32 v11, v163, v167
	s_delay_alu instid0(VALU_DEP_3) | instskip(SKIP_3) | instid1(VALU_DEP_3)
	v_fmac_f32_e32 v85, v3, v0
	v_or_b32_e32 v0, v26, v128
	v_or_b32_e32 v3, v24, v133
	;; [unrolled: 1-line block ×3, first 2 shown]
	v_mul_f32_e32 v0, v84, v0
	s_waitcnt lgkmcnt(0)
	s_delay_alu instid0(VALU_DEP_1) | instskip(SKIP_1) | instid1(VALU_DEP_1)
	v_fmac_f32_e32 v28, v96, v0
	v_mul_f32_e32 v0, v84, v1
	v_dual_fmac_f32 v85, v97, v0 :: v_dual_mul_f32 v0, v84, v2
	s_delay_alu instid0(VALU_DEP_1) | instskip(SKIP_1) | instid1(VALU_DEP_1)
	v_fmac_f32_e32 v28, v98, v0
	v_mul_f32_e32 v0, v84, v3
	v_fmac_f32_e32 v85, v99, v0
	v_or_b32_e32 v0, v144, v148
	s_delay_alu instid0(VALU_DEP_1)
	v_mul_f32_e32 v12, v84, v0
	ds_load_2addr_b64 v[0:3], v13 offset0:33 offset1:34
	ds_load_2addr_b64 v[21:24], v13 offset0:35 offset1:36
	s_waitcnt lgkmcnt(1)
	v_fmac_f32_e32 v28, v0, v12
	v_mul_f32_e32 v0, v84, v4
	v_or_b32_e32 v4, v42, v46
	v_or_b32_e32 v12, v150, v80
	s_delay_alu instid0(VALU_DEP_3) | instskip(SKIP_1) | instid1(VALU_DEP_4)
	v_dual_fmac_f32 v85, v1, v0 :: v_dual_mul_f32 v0, v84, v5
	v_or_b32_e32 v1, v178, v182
	v_mul_f32_e32 v4, v84, v4
	s_delay_alu instid0(VALU_DEP_3) | instskip(SKIP_4) | instid1(VALU_DEP_4)
	v_fmac_f32_e32 v28, v2, v0
	v_mul_f32_e32 v0, v84, v11
	v_or_b32_e32 v2, v41, v45
	v_mul_f32_e32 v1, v84, v1
	v_or_b32_e32 v11, v151, v81
	v_fmac_f32_e32 v85, v3, v0
	v_or_b32_e32 v0, v179, v183
	s_waitcnt lgkmcnt(0)
	v_dual_fmac_f32 v28, v21, v1 :: v_dual_mul_f32 v1, v84, v2
	v_or_b32_e32 v21, v33, v62
	s_delay_alu instid0(VALU_DEP_3) | instskip(NEXT) | instid1(VALU_DEP_3)
	v_mul_f32_e32 v0, v84, v0
	v_fmac_f32_e32 v28, v23, v1
	v_or_b32_e32 v23, v65, v67
	s_delay_alu instid0(VALU_DEP_3)
	v_fmac_f32_e32 v85, v22, v0
	ds_load_2addr_b64 v[0:3], v13 offset0:37 offset1:38
	v_or_b32_e32 v22, v34, v63
	v_fmac_f32_e32 v85, v24, v4
	ds_load_2addr_b64 v[4:7], v13 offset0:39 offset1:40
	s_waitcnt lgkmcnt(1)
	v_dual_fmac_f32 v28, v0, v14 :: v_dual_fmac_f32 v85, v1, v15
	ds_load_2addr_b64 v[14:17], v13 offset0:41 offset1:42
	v_mul_f32_e32 v0, v84, v9
	v_dual_mul_f32 v1, v84, v18 :: v_dual_fmac_f32 v28, v2, v8
	v_mul_f32_e32 v9, v84, v19
	s_delay_alu instid0(VALU_DEP_3)
	v_dual_mul_f32 v18, v84, v21 :: v_dual_fmac_f32 v85, v3, v0
	v_or_b32_e32 v8, v49, v51
	s_waitcnt lgkmcnt(1)
	v_fmac_f32_e32 v28, v4, v1
	ds_load_2addr_b64 v[0:3], v13 offset0:43 offset1:44
	v_dual_mul_f32 v4, v84, v22 :: v_dual_fmac_f32 v85, v5, v9
	v_or_b32_e32 v5, v48, v50
	v_fmac_f32_e32 v28, v6, v18
	v_mul_f32_e32 v18, v84, v36
	v_mul_f32_e32 v9, v84, v35
	v_fmac_f32_e32 v85, v7, v4
	v_mul_f32_e32 v8, v84, v8
	v_mul_f32_e32 v19, v84, v5
	ds_load_2addr_b64 v[4:7], v13 offset0:45 offset1:46
	s_waitcnt lgkmcnt(2)
	v_dual_fmac_f32 v28, v14, v9 :: v_dual_fmac_f32 v85, v15, v18
	v_mul_f32_e32 v15, v84, v39
	v_or_b32_e32 v9, v64, v66
	v_mul_f32_e32 v14, v84, v52
	s_delay_alu instid0(VALU_DEP_4) | instskip(SKIP_1) | instid1(VALU_DEP_4)
	v_dual_fmac_f32 v28, v16, v19 :: v_dual_fmac_f32 v85, v17, v8
	v_mul_f32_e32 v16, v84, v23
	v_mul_f32_e32 v17, v84, v9
	ds_load_b64 v[8:9], v13 offset:376
	s_waitcnt lgkmcnt(2)
	v_dual_fmac_f32 v28, v0, v14 :: v_dual_fmac_f32 v85, v1, v15
	v_mul_f32_e32 v1, v84, v26
	v_mul_f32_e32 v0, v84, v11
	s_delay_alu instid0(VALU_DEP_3) | instskip(NEXT) | instid1(VALU_DEP_4)
	v_dual_mul_f32 v11, v84, v27 :: v_dual_fmac_f32 v28, v2, v17
	v_fmac_f32_e32 v85, v3, v16
	v_mul_f32_e32 v2, v84, v12
	v_or_b32_e32 v3, v75, v83
	v_or_b32_e32 v12, v74, v82
	s_waitcnt lgkmcnt(1)
	v_dual_fmac_f32 v28, v4, v11 :: v_dual_fmac_f32 v85, v5, v1
	v_mbcnt_lo_u32_b32 v5, -1, 0
	v_mul_f32_e32 v3, v84, v3
	v_mul_f32_e32 v4, v84, v12
	s_delay_alu instid0(VALU_DEP_4) | instskip(NEXT) | instid1(VALU_DEP_4)
	v_dual_fmac_f32 v28, v6, v2 :: v_dual_fmac_f32 v85, v7, v0
	v_xor_b32_e32 v1, 1, v5
	s_waitcnt lgkmcnt(0)
	s_delay_alu instid0(VALU_DEP_2) | instskip(NEXT) | instid1(VALU_DEP_2)
	v_dual_fmac_f32 v28, v8, v4 :: v_dual_fmac_f32 v85, v9, v3
	v_cmp_gt_i32_e64 s2, 32, v1
	s_delay_alu instid0(VALU_DEP_1) | instskip(NEXT) | instid1(VALU_DEP_1)
	v_cndmask_b32_e64 v0, v5, v1, s2
	v_dual_add_f32 v0, v28, v85 :: v_dual_lshlrev_b32 v1, 2, v0
	ds_bpermute_b32 v1, v1, v0
	s_and_saveexec_b32 s18, vcc_lo
	s_cbranch_execz .LBB237_11
; %bb.785:                              ;   in Loop: Header=BB237_13 Depth=1
	s_clause 0x1
	scratch_load_b32 v2, off, s32 offset:676
	scratch_load_b32 v3, off, s32 offset:668
	s_waitcnt lgkmcnt(0)
	v_add_f32_e32 v0, v0, v1
	scratch_load_b32 v4, off, s32 offset:648 ; 4-byte Folded Reload
	s_load_b32 s24, s[8:9], 0x0
	s_waitcnt vmcnt(2)
	v_add_nc_u32_e32 v2, v2, v20
	s_delay_alu instid0(VALU_DEP_1) | instskip(SKIP_1) | instid1(VALU_DEP_1)
	v_cvt_f32_i32_e32 v2, v2
	s_waitcnt vmcnt(1)
	v_mul_f32_e32 v2, v3, v2
	scratch_load_b32 v3, off, s32 offset:664 ; 4-byte Folded Reload
	v_cndmask_b32_e64 v1, 0, v2, s1
	s_waitcnt vmcnt(1)
	v_max_f32_e32 v2, v4, v4
	s_waitcnt vmcnt(0)
	s_delay_alu instid0(VALU_DEP_2) | instskip(SKIP_4) | instid1(VALU_DEP_1)
	v_fmac_f32_e32 v1, v0, v3
	scratch_load_b32 v0, off, s32 offset:672 ; 4-byte Folded Reload
	v_max_f32_e32 v2, v2, v1
	s_waitcnt vmcnt(0)
	v_add_nc_u32_e32 v0, v0, v20
	v_cmp_lt_i32_e64 s2, v0, v25
	s_waitcnt lgkmcnt(0)
	v_add_nc_u32_e32 v0, s24, v10
	s_delay_alu instid0(VALU_DEP_2)
	v_cndmask_b32_e64 v1, 0, v1, s2
	v_cndmask_b32_e64 v4, v4, v2, s2
	ds_store_b32 v0, v1
	scratch_store_b32 off, v4, s32 offset:648 ; 4-byte Folded Spill
	s_branch .LBB237_11
.LBB237_786:
	s_or_b32 exec_lo, exec_lo, s23
	s_clause 0x10
	scratch_load_b32 v16, off, s32 offset:692
	scratch_load_b32 v15, off, s32 offset:696
	;; [unrolled: 1-line block ×11, first 2 shown]
	scratch_load_b64 v[11:12], off, s32 offset:736
	scratch_load_b32 v13, off, s32 offset:744
	scratch_load_b32 v17, off, s32 offset:748
	;; [unrolled: 1-line block ×5, first 2 shown]
.LBB237_787:
	s_or_b32 exec_lo, exec_lo, s22
	v_mbcnt_lo_u32_b32 v6, -1, 0
	s_waitcnt lgkmcnt(0)
	s_lshr_b32 s8, s21, 16
	s_waitcnt vmcnt(16)
	v_and_b32_e32 v21, 31, v16
	v_xor_b32_e32 v0, 16, v6
	v_xor_b32_e32 v1, 8, v6
	;; [unrolled: 1-line block ×3, first 2 shown]
	s_delay_alu instid0(VALU_DEP_3) | instskip(SKIP_1) | instid1(VALU_DEP_4)
	v_cmp_gt_i32_e32 vcc_lo, 32, v0
	v_cndmask_b32_e32 v0, v6, v0, vcc_lo
	v_cmp_gt_i32_e32 vcc_lo, 32, v1
	s_waitcnt vmcnt(0)
	v_dual_max_f32 v4, v20, v20 :: v_dual_cndmask_b32 v1, v6, v1
	s_delay_alu instid0(VALU_DEP_1) | instskip(SKIP_4) | instid1(VALU_DEP_1)
	v_lshlrev_b32_e32 v3, 2, v1
	v_lshlrev_b32_e32 v2, 2, v0
	ds_bpermute_b32 v0, v2, v20
	s_waitcnt lgkmcnt(0)
	v_max_f32_e32 v0, v0, v0
	v_max_f32_e32 v0, v4, v0
	v_xor_b32_e32 v4, 4, v6
	s_delay_alu instid0(VALU_DEP_1)
	v_cmp_gt_i32_e32 vcc_lo, 32, v4
	v_cndmask_b32_e32 v4, v6, v4, vcc_lo
	v_cmp_gt_i32_e32 vcc_lo, 32, v5
	v_cndmask_b32_e32 v5, v6, v5, vcc_lo
	ds_bpermute_b32 v1, v3, v0
	v_cmp_eq_u32_e32 vcc_lo, 0, v21
	v_lshlrev_b32_e32 v22, 2, v5
	scratch_load_b32 v5, off, s32 offset:680 ; 4-byte Folded Reload
	s_waitcnt lgkmcnt(0)
	v_max_f32_e32 v1, v1, v1
	s_delay_alu instid0(VALU_DEP_1)
	v_max_f32_e32 v0, v0, v1
	s_waitcnt vmcnt(0)
	v_lshlrev_b32_e32 v5, 2, v5
	v_lshlrev_b32_e32 v4, 2, v4
	ds_bpermute_b32 v1, v4, v0
	s_waitcnt lgkmcnt(0)
	v_max_f32_e32 v1, v1, v1
	s_delay_alu instid0(VALU_DEP_1)
	v_max_f32_e32 v0, v0, v1
	ds_bpermute_b32 v1, v22, v0
	s_and_saveexec_b32 s1, vcc_lo
	s_cbranch_execz .LBB237_789
; %bb.788:
	s_waitcnt lgkmcnt(0)
	v_dual_max_f32 v1, v1, v1 :: v_dual_max_f32 v0, v0, v0
	s_delay_alu instid0(VALU_DEP_1)
	v_max_f32_e32 v0, v0, v1
	ds_store_b32 v5, v0 offset:768
.LBB237_789:
	s_or_b32 exec_lo, exec_lo, s1
	v_cmp_gt_u32_e64 s1, 4, v21
	v_mov_b32_e32 v0, 0xff7fffff
	v_lshlrev_b32_e32 v6, 2, v21
	s_waitcnt lgkmcnt(0)
	s_waitcnt_vscnt null, 0x0
	s_barrier
	buffer_gl0_inv
	s_and_saveexec_b32 s2, s1
	s_cbranch_execz .LBB237_791
; %bb.790:
	ds_load_b32 v0, v6 offset:768
.LBB237_791:
	s_or_b32 exec_lo, exec_lo, s2
	s_waitcnt lgkmcnt(0)
	ds_bpermute_b32 v1, v22, v0
	v_mbcnt_lo_u32_b32 v8, -1, 0
	v_max_f32_e32 v0, v0, v0
	s_delay_alu instid0(VALU_DEP_2) | instskip(NEXT) | instid1(VALU_DEP_1)
	v_xor_b32_e32 v7, 1, v8
	v_cmp_gt_i32_e64 s2, 32, v7
	s_delay_alu instid0(VALU_DEP_1) | instskip(SKIP_2) | instid1(VALU_DEP_2)
	v_cndmask_b32_e64 v7, v8, v7, s2
	s_waitcnt lgkmcnt(0)
	v_max_f32_e32 v1, v1, v1
	v_lshlrev_b32_e32 v23, 2, v7
	scratch_load_b32 v7, off, s32 offset:344 ; 4-byte Folded Reload
	v_max_f32_e32 v0, v0, v1
	ds_bpermute_b32 v1, v23, v0
	s_waitcnt lgkmcnt(0)
	v_max_f32_e32 v1, v1, v1
	s_delay_alu instid0(VALU_DEP_1) | instskip(SKIP_3) | instid1(VALU_DEP_2)
	v_max_f32_e32 v0, v0, v1
	s_waitcnt vmcnt(0)
	v_subrev_nc_u32_e32 v8, s13, v7
	v_mov_b32_e32 v7, 0
	v_lshl_add_u32 v1, v8, 4, s15
	ds_bpermute_b32 v0, v7, v0
	v_min_i32_e32 v1, v1, v25
	s_delay_alu instid0(VALU_DEP_1) | instskip(NEXT) | instid1(VALU_DEP_1)
	v_subrev_nc_u32_e32 v1, s15, v1
	v_cmp_lt_i32_e64 s2, v16, v1
	s_delay_alu instid0(VALU_DEP_1)
	s_and_saveexec_b32 s9, s2
	s_cbranch_execz .LBB237_795
; %bb.792:
	s_getpc_b64 s[16:17]
	s_add_u32 s16, s16, llvm.amdgcn.dynlds.offset.table@rel32@lo+4
	s_addc_u32 s17, s17, llvm.amdgcn.dynlds.offset.table@rel32@hi+12
	s_ashr_i32 s7, s6, 31
	v_mov_b32_e32 v7, 0
	s_lshl_b64 s[18:19], s[6:7], 2
	v_mov_b32_e32 v9, v16
	s_add_u32 s16, s18, s16
	s_addc_u32 s17, s19, s17
	s_mov_b32 s7, 0
	s_load_b32 s3, s[16:17], 0x0
	s_waitcnt lgkmcnt(0)
	v_lshl_add_u32 v8, v16, 2, s3
	.p2align	6
.LBB237_793:                            ; =>This Inner Loop Header: Depth=1
	ds_load_b32 v10, v8
	v_add_nc_u32_e32 v9, 0x80, v9
	s_delay_alu instid0(VALU_DEP_1) | instskip(NEXT) | instid1(VALU_DEP_1)
	v_cmp_ge_i32_e64 s3, v9, v1
	s_or_b32 s7, s3, s7
	s_waitcnt lgkmcnt(0)
	v_sub_f32_e32 v10, v10, v0
	s_delay_alu instid0(VALU_DEP_1) | instskip(NEXT) | instid1(VALU_DEP_1)
	v_mul_f32_e32 v10, 0x3fb8aa3b, v10
	v_exp_f32_e32 v10, v10
	ds_store_b32 v8, v10
	v_dual_add_f32 v7, v7, v10 :: v_dual_add_nc_u32 v8, 0x200, v8
	s_and_not1_b32 exec_lo, exec_lo, s7
	s_cbranch_execnz .LBB237_793
; %bb.794:
	s_or_b32 exec_lo, exec_lo, s7
.LBB237_795:
	s_delay_alu instid0(SALU_CYCLE_1)
	s_or_b32 exec_lo, exec_lo, s9
	ds_bpermute_b32 v2, v2, v7
	s_waitcnt lgkmcnt(0)
	v_add_f32_e32 v2, v7, v2
	ds_bpermute_b32 v3, v3, v2
	s_waitcnt lgkmcnt(0)
	v_add_f32_e32 v2, v2, v3
	;; [unrolled: 3-line block ×5, first 2 shown]
	s_and_saveexec_b32 s3, vcc_lo
	s_cbranch_execz .LBB237_797
; %bb.796:
	ds_store_b32 v5, v2 offset:784
.LBB237_797:
	s_or_b32 exec_lo, exec_lo, s3
	s_waitcnt lgkmcnt(0)
	s_barrier
	buffer_gl0_inv
	s_and_saveexec_b32 s3, s1
	s_cbranch_execz .LBB237_799
; %bb.798:
	ds_load_b32 v2, v6 offset:784
.LBB237_799:
	s_or_b32 exec_lo, exec_lo, s3
	s_waitcnt lgkmcnt(0)
	ds_bpermute_b32 v3, v22, v2
	s_waitcnt lgkmcnt(0)
	v_add_f32_e32 v2, v2, v3
	ds_bpermute_b32 v3, v23, v2
	s_waitcnt lgkmcnt(0)
	v_dual_add_f32 v2, v2, v3 :: v_dual_mov_b32 v3, 0
	ds_bpermute_b32 v2, v3, v2
	s_and_saveexec_b32 s1, s2
	s_cbranch_execz .LBB237_802
; %bb.800:
	s_waitcnt lgkmcnt(0)
	v_add_f32_e32 v4, 0x358637bd, v2
	s_getpc_b64 s[2:3]
	s_add_u32 s2, s2, llvm.amdgcn.dynlds.offset.table@rel32@lo+4
	s_addc_u32 s3, s3, llvm.amdgcn.dynlds.offset.table@rel32@hi+12
	s_ashr_i32 s7, s6, 31
	s_delay_alu instid0(SALU_CYCLE_1) | instskip(SKIP_4) | instid1(VALU_DEP_1)
	s_lshl_b64 s[16:17], s[6:7], 2
	v_div_scale_f32 v3, null, v4, v4, 1.0
	s_add_u32 s2, s16, s2
	s_addc_u32 s3, s17, s3
	s_load_b32 s2, s[2:3], 0x0
	v_rcp_f32_e32 v5, v3
	s_waitcnt_depctr 0xfff
	v_fma_f32 v6, -v3, v5, 1.0
	s_delay_alu instid0(VALU_DEP_1) | instskip(SKIP_1) | instid1(VALU_DEP_1)
	v_fmac_f32_e32 v5, v6, v5
	v_div_scale_f32 v7, vcc_lo, 1.0, v4, 1.0
	v_mul_f32_e32 v6, v7, v5
	s_delay_alu instid0(VALU_DEP_1) | instskip(NEXT) | instid1(VALU_DEP_1)
	v_fma_f32 v8, -v3, v6, v7
	v_fmac_f32_e32 v6, v8, v5
	s_delay_alu instid0(VALU_DEP_1) | instskip(NEXT) | instid1(VALU_DEP_1)
	v_fma_f32 v3, -v3, v6, v7
	v_div_fmas_f32 v5, v3, v5, v6
	s_waitcnt lgkmcnt(0)
	v_lshl_add_u32 v3, v16, 2, s2
	s_mov_b32 s2, 0
	s_delay_alu instid0(VALU_DEP_2)
	v_div_fixup_f32 v4, v5, v4, 1.0
	v_mov_b32_e32 v5, v16
.LBB237_801:                            ; =>This Inner Loop Header: Depth=1
	ds_load_b32 v6, v3
	s_waitcnt lgkmcnt(0)
	v_dual_mul_f32 v6, v4, v6 :: v_dual_add_nc_u32 v5, 0x80, v5
	s_delay_alu instid0(VALU_DEP_1) | instskip(SKIP_3) | instid1(SALU_CYCLE_1)
	v_cmp_ge_i32_e32 vcc_lo, v5, v1
	ds_store_b32 v3, v6
	v_add_nc_u32_e32 v3, 0x200, v3
	s_or_b32 s2, vcc_lo, s2
	s_and_not1_b32 exec_lo, exec_lo, s2
	s_cbranch_execnz .LBB237_801
.LBB237_802:
	s_or_b32 exec_lo, exec_lo, s1
	v_cmp_ne_u16_e64 s1, s8, 0
	s_waitcnt lgkmcnt(0)
	s_barrier
	buffer_gl0_inv
	s_cmp_lg_u32 s1, 0
	s_addc_u32 s1, s5, 0
	s_mov_b32 s5, exec_lo
	s_mul_i32 s2, s1, s10
	s_delay_alu instid0(SALU_CYCLE_1)
	s_mul_i32 s2, s2, s11
	v_cmpx_eq_u32_e32 0, v16
	s_cbranch_execz .LBB237_804
; %bb.803:
	s_mul_i32 s8, s1, s12
	s_ashr_i32 s15, s14, 31
	s_ashr_i32 s9, s8, 31
	;; [unrolled: 1-line block ×3, first 2 shown]
	s_lshl_b64 s[8:9], s[8:9], 2
	s_lshl_b64 s[10:11], s[14:15], 2
	;; [unrolled: 1-line block ×3, first 2 shown]
	s_add_u32 s3, s10, s8
	s_addc_u32 s7, s11, s9
	s_add_u32 s3, s3, s12
	s_addc_u32 s7, s7, s13
	v_add_co_u32 v3, vcc_lo, s3, v32
	v_add_co_ci_u32_e32 v4, vcc_lo, s7, v27, vcc_lo
	v_add_co_u32 v5, vcc_lo, s3, v26
	v_add_co_ci_u32_e32 v6, vcc_lo, s7, v24, vcc_lo
	flat_store_b32 v[3:4], v0
	flat_store_b32 v[5:6], v2
.LBB237_804:
	s_or_b32 exec_lo, exec_lo, s5
	s_ashr_i32 s7, s6, 31
	s_getpc_b64 s[8:9]
	s_add_u32 s8, s8, llvm.amdgcn.dynlds.offset.table@rel32@lo+4
	s_addc_u32 s9, s9, llvm.amdgcn.dynlds.offset.table@rel32@hi+12
	s_lshl_b64 s[6:7], s[6:7], 2
	v_dual_mov_b32 v55, 0 :: v_dual_and_b32 v24, 3, v16
	v_dual_mov_b32 v64, 0 :: v_dual_mov_b32 v53, 0
	v_dual_mov_b32 v54, 0 :: v_dual_mov_b32 v51, 0
	;; [unrolled: 1-line block ×11, first 2 shown]
	v_mov_b32_e32 v20, 0
	s_add_u32 s6, s6, s8
	s_addc_u32 s7, s7, s9
	s_mov_b32 s8, 0
	s_and_saveexec_b32 s3, s0
	s_cbranch_execz .LBB237_1626
; %bb.805:
	v_max_i32_e32 v65, v30, v18
	v_add_co_u32 v3, vcc_lo, v68, v13
	v_dual_mov_b32 v26, 0 :: v_dual_and_b32 v5, 0x7c, v69
	s_delay_alu instid0(VALU_DEP_3) | instskip(SKIP_3) | instid1(VALU_DEP_3)
	v_cvt_f32_u32_e32 v0, v65
	v_sub_nc_u32_e32 v8, 0, v65
	v_add_co_ci_u32_e32 v4, vcc_lo, v67, v19, vcc_lo
	s_load_b32 s0, s[6:7], 0x0
	v_rcp_iflag_f32_e32 v2, v0
	v_lshlrev_b64 v[0:1], 2, v[112:113]
	v_dual_mov_b32 v27, 0 :: v_dual_lshlrev_b32 v6, 4, v24
	v_dual_mov_b32 v7, 0 :: v_dual_and_b32 v66, 12, v69
	v_dual_mov_b32 v20, 0 :: v_dual_add_nc_u32 v67, -1, v17
	v_dual_mov_b32 v28, 0 :: v_dual_mov_b32 v123, 0
	s_waitcnt_depctr 0xfff
	v_dual_mul_f32 v2, 0x4f7ffffe, v2 :: v_dual_mov_b32 v29, 0
	v_dual_mov_b32 v31, 0 :: v_dual_mov_b32 v32, 0
	v_dual_mov_b32 v33, 0 :: v_dual_mov_b32 v34, 0
	s_delay_alu instid0(VALU_DEP_3) | instskip(SKIP_2) | instid1(VALU_DEP_3)
	v_cvt_u32_f32_e32 v2, v2
	v_dual_mov_b32 v35, 0 :: v_dual_mov_b32 v36, 0
	v_dual_mov_b32 v39, 0 :: v_dual_mov_b32 v48, 0
	v_mul_lo_u32 v10, v8, v2
	v_add_co_u32 v8, vcc_lo, v3, v5
	v_add_co_ci_u32_e32 v9, vcc_lo, 0, v4, vcc_lo
	scratch_load_b32 v4, off, s32 offset:680 ; 4-byte Folded Reload
	v_add_co_u32 v0, vcc_lo, v11, v0
	v_mul_hi_u32 v3, v2, v10
	v_add_co_ci_u32_e32 v1, vcc_lo, v12, v1, vcc_lo
	s_delay_alu instid0(VALU_DEP_3) | instskip(SKIP_1) | instid1(VALU_DEP_3)
	v_add_co_u32 v10, vcc_lo, v14, v0
	v_dual_mov_b32 v49, 0 :: v_dual_mov_b32 v50, 0
	v_add_co_ci_u32_e32 v11, vcc_lo, v15, v1, vcc_lo
	v_dual_mov_b32 v38, 0 :: v_dual_add_nc_u32 v69, v2, v3
	v_dual_mov_b32 v51, 0 :: v_dual_mov_b32 v52, 0
	v_dual_mov_b32 v53, 0 :: v_dual_mov_b32 v54, 0
	;; [unrolled: 1-line block ×3, first 2 shown]
	s_brev_b32 s9, 1
	s_mov_b32 s11, 0x7f800001
	s_mov_b32 s5, s8
	s_waitcnt vmcnt(0)
	v_lshl_or_b32 v4, v4, 6, v6
	s_waitcnt lgkmcnt(0)
	s_delay_alu instid0(VALU_DEP_1)
	v_dual_mov_b32 v37, 0 :: v_dual_add_nc_u32 v68, s0, v4
	s_branch .LBB237_808
.LBB237_806:                            ;   in Loop: Header=BB237_808 Depth=1
	s_or_b32 exec_lo, exec_lo, s0
	v_mul_f32_e32 v16, v1, v92
	v_mul_f32_e32 v15, v1, v104
	;; [unrolled: 1-line block ×4, first 2 shown]
	s_delay_alu instid0(VALU_DEP_4) | instskip(NEXT) | instid1(VALU_DEP_4)
	v_dual_mul_f32 v17, v1, v88 :: v_dual_fmac_f32 v16, v0, v91
	v_fmac_f32_e32 v15, v0, v95
	s_delay_alu instid0(VALU_DEP_4) | instskip(NEXT) | instid1(VALU_DEP_4)
	v_fmac_f32_e32 v14, v0, v107
	v_fmac_f32_e32 v13, v0, v109
	s_delay_alu instid0(VALU_DEP_4) | instskip(NEXT) | instid1(VALU_DEP_1)
	v_dual_fmac_f32 v17, v0, v79 :: v_dual_fmac_f32 v16, v2, v90
	v_dual_fmac_f32 v15, v2, v94 :: v_dual_fmac_f32 v16, v3, v89
	s_delay_alu instid0(VALU_DEP_1) | instskip(NEXT) | instid1(VALU_DEP_1)
	v_dual_fmac_f32 v14, v2, v106 :: v_dual_fmac_f32 v15, v3, v93
	v_dual_fmac_f32 v13, v2, v19 :: v_dual_fmac_f32 v14, v3, v105
	s_delay_alu instid0(VALU_DEP_1) | instskip(NEXT) | instid1(VALU_DEP_2)
	v_dual_add_f32 v28, v28, v15 :: v_dual_fmac_f32 v13, v3, v18
	v_dual_add_f32 v27, v27, v14 :: v_dual_mul_f32 v14, v1, v72
	s_delay_alu instid0(VALU_DEP_2) | instskip(SKIP_1) | instid1(VALU_DEP_3)
	v_dual_add_f32 v26, v26, v13 :: v_dual_add_f32 v29, v29, v16
	v_mul_f32_e32 v16, v1, v56
	v_dual_mul_f32 v13, v1, v76 :: v_dual_fmac_f32 v14, v0, v63
	s_delay_alu instid0(VALU_DEP_2) | instskip(NEXT) | instid1(VALU_DEP_2)
	v_dual_mul_f32 v15, v1, v60 :: v_dual_fmac_f32 v16, v0, v46
	v_dual_fmac_f32 v13, v0, v75 :: v_dual_fmac_f32 v14, v2, v62
	s_delay_alu instid0(VALU_DEP_2) | instskip(SKIP_1) | instid1(VALU_DEP_4)
	v_fmac_f32_e32 v15, v0, v59
	v_fmac_f32_e32 v17, v2, v78
	;; [unrolled: 1-line block ×3, first 2 shown]
	s_delay_alu instid0(VALU_DEP_4) | instskip(NEXT) | instid1(VALU_DEP_4)
	v_dual_fmac_f32 v13, v2, v74 :: v_dual_fmac_f32 v14, v3, v61
	v_fmac_f32_e32 v15, v2, v58
	s_delay_alu instid0(VALU_DEP_4) | instskip(NEXT) | instid1(VALU_DEP_4)
	v_fmac_f32_e32 v17, v3, v77
	v_fmac_f32_e32 v16, v3, v44
	s_delay_alu instid0(VALU_DEP_4) | instskip(NEXT) | instid1(VALU_DEP_4)
	v_dual_fmac_f32 v13, v3, v73 :: v_dual_add_f32 v32, v32, v14
	v_dual_mul_f32 v14, v1, v183 :: v_dual_fmac_f32 v15, v3, v57
	s_delay_alu instid0(VALU_DEP_3) | instskip(SKIP_1) | instid1(VALU_DEP_3)
	v_add_f32_e32 v34, v34, v16
	v_dual_mul_f32 v16, v1, v167 :: v_dual_add_f32 v123, v123, v17
	v_dual_fmac_f32 v14, v0, v182 :: v_dual_add_f32 v31, v31, v13
	s_delay_alu instid0(VALU_DEP_2) | instskip(NEXT) | instid1(VALU_DEP_2)
	v_dual_add_f32 v33, v33, v15 :: v_dual_fmac_f32 v16, v0, v166
	v_dual_mul_f32 v13, v1, v43 :: v_dual_fmac_f32 v14, v2, v181
	s_delay_alu instid0(VALU_DEP_2) | instskip(NEXT) | instid1(VALU_DEP_2)
	v_dual_mul_f32 v15, v1, v179 :: v_dual_fmac_f32 v16, v2, v165
	v_dual_mul_f32 v17, v1, v163 :: v_dual_fmac_f32 v14, v3, v180
	s_delay_alu instid0(VALU_DEP_2) | instskip(NEXT) | instid1(VALU_DEP_4)
	v_dual_fmac_f32 v15, v0, v178 :: v_dual_fmac_f32 v16, v3, v164
	v_fmac_f32_e32 v13, v0, v42
	s_delay_alu instid0(VALU_DEP_3) | instskip(NEXT) | instid1(VALU_DEP_4)
	v_fmac_f32_e32 v17, v0, v162
	v_add_f32_e32 v36, v36, v14
	s_delay_alu instid0(VALU_DEP_4) | instskip(SKIP_2) | instid1(VALU_DEP_3)
	v_dual_mul_f32 v14, v1, v147 :: v_dual_fmac_f32 v15, v2, v177
	v_add_f32_e32 v38, v38, v16
	v_dual_fmac_f32 v13, v2, v41 :: v_dual_mul_f32 v16, v1, v131
	v_dual_fmac_f32 v17, v2, v161 :: v_dual_fmac_f32 v14, v0, v146
	s_delay_alu instid0(VALU_DEP_2) | instskip(NEXT) | instid1(VALU_DEP_2)
	v_dual_fmac_f32 v13, v3, v40 :: v_dual_fmac_f32 v16, v0, v130
	v_dual_fmac_f32 v15, v3, v176 :: v_dual_fmac_f32 v14, v2, v145
	s_delay_alu instid0(VALU_DEP_1) | instskip(NEXT) | instid1(VALU_DEP_2)
	v_dual_fmac_f32 v16, v2, v129 :: v_dual_add_f32 v37, v37, v15
	v_dual_fmac_f32 v14, v3, v144 :: v_dual_mul_f32 v15, v1, v135
	s_delay_alu instid0(VALU_DEP_1) | instskip(NEXT) | instid1(VALU_DEP_2)
	v_dual_fmac_f32 v16, v3, v128 :: v_dual_add_f32 v49, v49, v14
	v_fmac_f32_e32 v15, v0, v134
	s_delay_alu instid0(VALU_DEP_2) | instskip(NEXT) | instid1(VALU_DEP_2)
	v_dual_mul_f32 v14, v1, v102 :: v_dual_add_f32 v51, v51, v16
	v_dual_mul_f32 v16, v1, v82 :: v_dual_fmac_f32 v15, v2, v133
	s_delay_alu instid0(VALU_DEP_2) | instskip(NEXT) | instid1(VALU_DEP_2)
	v_fmac_f32_e32 v14, v0, v101
	v_dual_fmac_f32 v16, v0, v81 :: v_dual_fmac_f32 v15, v3, v132
	v_add_f32_e32 v35, v35, v13
	s_delay_alu instid0(VALU_DEP_2) | instskip(NEXT) | instid1(VALU_DEP_1)
	v_dual_mul_f32 v13, v1, v151 :: v_dual_fmac_f32 v16, v2, v80
	v_dual_fmac_f32 v14, v2, v100 :: v_dual_fmac_f32 v13, v0, v150
	s_delay_alu instid0(VALU_DEP_2) | instskip(NEXT) | instid1(VALU_DEP_2)
	v_fmac_f32_e32 v16, v3, v71
	v_dual_fmac_f32 v14, v3, v99 :: v_dual_fmac_f32 v13, v2, v149
	s_delay_alu instid0(VALU_DEP_1) | instskip(SKIP_1) | instid1(VALU_DEP_3)
	v_dual_add_f32 v55, v55, v16 :: v_dual_add_f32 v54, v54, v14
	v_dual_add_f32 v50, v50, v15 :: v_dual_mul_f32 v15, v1, v98
	v_fmac_f32_e32 v13, v3, v148
	v_fmac_f32_e32 v17, v3, v160
	s_delay_alu instid0(VALU_DEP_3) | instskip(NEXT) | instid1(VALU_DEP_3)
	v_fmac_f32_e32 v15, v0, v97
	v_add_f32_e32 v48, v48, v13
	s_delay_alu instid0(VALU_DEP_3) | instskip(SKIP_4) | instid1(VALU_DEP_4)
	v_add_f32_e32 v39, v39, v17
	v_mul_f32_e32 v17, v1, v119
	v_mul_f32_e32 v13, v1, v115
	;; [unrolled: 1-line block ×3, first 2 shown]
	v_fmac_f32_e32 v15, v2, v96
	v_fmac_f32_e32 v17, v0, v118
	s_delay_alu instid0(VALU_DEP_4) | instskip(NEXT) | instid1(VALU_DEP_4)
	v_fmac_f32_e32 v13, v0, v114
	v_fmac_f32_e32 v1, v0, v6
	s_delay_alu instid0(VALU_DEP_4) | instskip(NEXT) | instid1(VALU_DEP_4)
	v_fmac_f32_e32 v15, v3, v87
	v_fmac_f32_e32 v17, v2, v117
	s_delay_alu instid0(VALU_DEP_4) | instskip(NEXT) | instid1(VALU_DEP_3)
	v_fmac_f32_e32 v13, v2, v113
	v_dual_fmac_f32 v1, v2, v5 :: v_dual_add_f32 v64, v64, v15
	s_delay_alu instid0(VALU_DEP_2) | instskip(NEXT) | instid1(VALU_DEP_2)
	v_fmac_f32_e32 v13, v3, v103
	v_fmac_f32_e32 v1, v3, v4
	;; [unrolled: 1-line block ×3, first 2 shown]
	s_delay_alu instid0(VALU_DEP_3) | instskip(NEXT) | instid1(VALU_DEP_3)
	v_add_f32_e32 v53, v53, v13
	v_add_f32_e32 v20, v20, v1
	s_delay_alu instid0(VALU_DEP_3)
	v_add_f32_e32 v52, v52, v17
.LBB237_807:                            ;   in Loop: Header=BB237_808 Depth=1
	s_or_b32 exec_lo, exec_lo, s12
	scratch_load_b32 v0, off, s32 offset:344 ; 4-byte Folded Reload
	v_add_nc_u32_e32 v112, 4, v112
	v_add_co_u32 v10, s0, v10, 16
	s_delay_alu instid0(VALU_DEP_1)
	v_add_co_ci_u32_e64 v11, s0, 0, v11, s0
	v_add_nc_u32_e32 v47, 64, v47
	v_add_nc_u32_e32 v68, 0x100, v68
	s_waitcnt vmcnt(0)
	v_cmp_ge_i32_e32 vcc_lo, v112, v0
	s_or_b32 s5, vcc_lo, s5
	s_delay_alu instid0(SALU_CYCLE_1)
	s_and_not1_b32 exec_lo, exec_lo, s5
	s_cbranch_execz .LBB237_1625
.LBB237_808:                            ; =>This Inner Loop Header: Depth=1
	s_clause 0x2
	scratch_load_b32 v1, off, s32 offset:348
	scratch_load_b32 v5, off, s32 offset:340
	;; [unrolled: 1-line block ×3, first 2 shown]
	v_sub_nc_u32_e32 v0, 0, v47
	s_delay_alu instid0(VALU_DEP_1) | instskip(SKIP_1) | instid1(VALU_DEP_1)
	v_max_i32_e32 v0, v47, v0
	s_waitcnt vmcnt(2)
	v_mul_hi_u32 v1, v0, v1
	s_waitcnt vmcnt(0)
	s_delay_alu instid0(VALU_DEP_1) | instskip(NEXT) | instid1(VALU_DEP_1)
	v_mul_lo_u32 v2, v1, v4
	v_sub_nc_u32_e32 v0, v0, v2
	v_add_nc_u32_e32 v2, 1, v1
	s_delay_alu instid0(VALU_DEP_2) | instskip(SKIP_1) | instid1(VALU_DEP_2)
	v_sub_nc_u32_e32 v3, v0, v4
	v_cmp_ge_u32_e32 vcc_lo, v0, v4
	v_dual_cndmask_b32 v1, v1, v2 :: v_dual_cndmask_b32 v0, v0, v3
	v_ashrrev_i32_e32 v2, 31, v47
	s_delay_alu instid0(VALU_DEP_2) | instskip(NEXT) | instid1(VALU_DEP_3)
	v_add_nc_u32_e32 v3, 1, v1
	v_cmp_ge_u32_e32 vcc_lo, v0, v4
	s_delay_alu instid0(VALU_DEP_3) | instskip(NEXT) | instid1(VALU_DEP_3)
	v_xor_b32_e32 v2, v2, v5
	v_cndmask_b32_e32 v0, v1, v3, vcc_lo
	s_delay_alu instid0(VALU_DEP_1) | instskip(NEXT) | instid1(VALU_DEP_1)
	v_xor_b32_e32 v0, v0, v2
	v_sub_nc_u32_e32 v0, v0, v2
	scratch_load_b64 v[1:2], off, s32 offset:332 ; 8-byte Folded Reload
	s_waitcnt vmcnt(0)
	v_add_nc_u32_e32 v1, v0, v1
	s_delay_alu instid0(VALU_DEP_1) | instskip(NEXT) | instid1(VALU_DEP_1)
	v_sub_nc_u32_e32 v2, 0, v1
	v_max_i32_e32 v2, v1, v2
	s_delay_alu instid0(VALU_DEP_1) | instskip(NEXT) | instid1(VALU_DEP_1)
	v_mul_hi_u32 v3, v2, v69
	v_mul_lo_u32 v3, v3, v65
	s_delay_alu instid0(VALU_DEP_1) | instskip(NEXT) | instid1(VALU_DEP_1)
	v_sub_nc_u32_e32 v2, v2, v3
	v_sub_nc_u32_e32 v3, v2, v65
	v_cmp_ge_u32_e32 vcc_lo, v2, v65
	s_delay_alu instid0(VALU_DEP_2) | instskip(SKIP_1) | instid1(VALU_DEP_2)
	v_cndmask_b32_e32 v2, v2, v3, vcc_lo
	v_ashrrev_i32_e32 v1, 31, v1
	v_sub_nc_u32_e32 v3, v2, v65
	v_cmp_ge_u32_e32 vcc_lo, v2, v65
	s_delay_alu instid0(VALU_DEP_2) | instskip(NEXT) | instid1(VALU_DEP_1)
	v_cndmask_b32_e32 v2, v2, v3, vcc_lo
	v_xor_b32_e32 v2, v2, v1
	s_delay_alu instid0(VALU_DEP_1) | instskip(NEXT) | instid1(VALU_DEP_1)
	v_sub_nc_u32_e32 v1, v2, v1
	v_cmp_eq_u32_e32 vcc_lo, 0, v1
	scratch_load_b32 v1, off, s32 offset:352 ; 4-byte Folded Reload
	s_waitcnt vmcnt(0)
	v_cmp_gt_i32_e64 s0, v0, v1
	s_delay_alu instid0(VALU_DEP_1) | instskip(NEXT) | instid1(SALU_CYCLE_1)
	s_or_b32 s0, vcc_lo, s0
	s_and_saveexec_b32 s12, s0
	s_cbranch_execz .LBB237_807
; %bb.809:                              ;   in Loop: Header=BB237_808 Depth=1
	flat_load_b32 v0, v[10:11]
	scratch_load_b32 v1, off, s32 offset:436 ; 4-byte Folded Reload
	v_mov_b32_e32 v14, 0
	s_mov_b32 s0, exec_lo
	s_waitcnt vmcnt(0) lgkmcnt(0)
	v_mad_i64_i32 v[12:13], null, v0, v1, v[8:9]
	flat_load_b32 v71, v[12:13]
	scratch_load_b64 v[0:1], off, s32 offset:632 ; 8-byte Folded Reload
	s_waitcnt vmcnt(1) lgkmcnt(0)
	v_dual_mov_b32 v15, 0 :: v_dual_and_b32 v6, 0xff, v71
	s_waitcnt vmcnt(0)
	flat_load_b32 v70, v[0:1]
	ds_load_b128 v[0:3], v68
	v_dual_mov_b32 v4, v14 :: v_dual_mov_b32 v5, v15
	v_cmpx_ne_u16_e32 0, v6
	s_cbranch_execz .LBB237_817
; %bb.810:                              ;   in Loop: Header=BB237_808 Depth=1
	v_bfrev_b32_e32 v4, 1
	v_mov_b32_e32 v5, 0
	s_mov_b32 s10, exec_lo
	v_cmpx_ne_u16_e32 0x80, v6
	s_cbranch_execz .LBB237_816
; %bb.811:                              ;   in Loop: Header=BB237_808 Depth=1
	v_mov_b32_e32 v4, 0x7f800001
	v_dual_mov_b32 v5, 0 :: v_dual_and_b32 v16, 0x7f, v71
	s_mov_b32 s13, exec_lo
	s_delay_alu instid0(VALU_DEP_1)
	v_cmpx_ne_u32_e32 0x7f, v16
	s_cbranch_execz .LBB237_815
; %bb.812:                              ;   in Loop: Header=BB237_808 Depth=1
	v_and_b32_e32 v6, 7, v71
	v_lshrrev_b32_e32 v4, 3, v16
	s_mov_b32 s15, exec_lo
	v_cmpx_gt_u32_e32 8, v16
; %bb.813:                              ;   in Loop: Header=BB237_808 Depth=1
	s_delay_alu instid0(VALU_DEP_3) | instskip(NEXT) | instid1(VALU_DEP_1)
	v_clz_i32_u32_e32 v4, v6
	v_min_u32_e32 v4, 32, v4
	s_delay_alu instid0(VALU_DEP_1) | instskip(SKIP_1) | instid1(VALU_DEP_2)
	v_subrev_nc_u32_e32 v5, 28, v4
	v_sub_nc_u32_e32 v4, 29, v4
	v_lshlrev_b64 v[5:6], v5, v[6:7]
	s_delay_alu instid0(VALU_DEP_1)
	v_and_b32_e32 v6, 7, v5
; %bb.814:                              ;   in Loop: Header=BB237_808 Depth=1
	s_or_b32 exec_lo, exec_lo, s15
	v_lshlrev_b32_e32 v5, 24, v71
	s_delay_alu instid0(VALU_DEP_2) | instskip(SKIP_1) | instid1(VALU_DEP_3)
	v_lshlrev_b32_e32 v6, 20, v6
	v_lshl_add_u32 v4, v4, 23, 0x3c000000
	v_and_b32_e32 v5, 0x80000000, v5
	s_delay_alu instid0(VALU_DEP_1) | instskip(NEXT) | instid1(VALU_DEP_1)
	v_or3_b32 v6, v6, v5, v4
	v_dual_mov_b32 v4, v6 :: v_dual_mov_b32 v5, v7
.LBB237_815:                            ;   in Loop: Header=BB237_808 Depth=1
	s_or_b32 exec_lo, exec_lo, s13
.LBB237_816:                            ;   in Loop: Header=BB237_808 Depth=1
	s_delay_alu instid0(SALU_CYCLE_1)
	s_or_b32 exec_lo, exec_lo, s10
.LBB237_817:                            ;   in Loop: Header=BB237_808 Depth=1
	s_delay_alu instid0(SALU_CYCLE_1) | instskip(SKIP_2) | instid1(VALU_DEP_1)
	s_or_b32 exec_lo, exec_lo, s0
	v_lshrrev_b16 v6, 8, v71
	s_mov_b32 s0, exec_lo
	v_cmpx_ne_u16_e32 0, v6
	s_cbranch_execz .LBB237_825
; %bb.818:                              ;   in Loop: Header=BB237_808 Depth=1
	v_dual_mov_b32 v15, s9 :: v_dual_mov_b32 v14, s8
	s_mov_b32 s13, exec_lo
	v_cmpx_ne_u16_e32 0x80, v6
	s_cbranch_execz .LBB237_824
; %bb.819:                              ;   in Loop: Header=BB237_808 Depth=1
	s_mov_b32 s10, s8
	v_dual_mov_b32 v15, s11 :: v_dual_and_b32 v6, 0xffff, v6
	v_mov_b32_e32 v14, s10
	s_mov_b32 s10, exec_lo
	s_delay_alu instid0(VALU_DEP_2) | instskip(NEXT) | instid1(VALU_DEP_1)
	v_and_b32_e32 v16, 0x7f, v6
	v_cmpx_ne_u32_e32 0x7f, v16
	s_cbranch_execz .LBB237_823
; %bb.820:                              ;   in Loop: Header=BB237_808 Depth=1
	v_and_b32_e32 v6, 7, v6
	v_lshrrev_b32_e32 v14, 3, v16
	s_mov_b32 s15, exec_lo
	v_cmpx_gt_u32_e32 8, v16
; %bb.821:                              ;   in Loop: Header=BB237_808 Depth=1
	s_delay_alu instid0(VALU_DEP_3) | instskip(NEXT) | instid1(VALU_DEP_1)
	v_clz_i32_u32_e32 v14, v6
	v_min_u32_e32 v14, 32, v14
	s_delay_alu instid0(VALU_DEP_1) | instskip(SKIP_1) | instid1(VALU_DEP_2)
	v_subrev_nc_u32_e32 v15, 28, v14
	v_sub_nc_u32_e32 v14, 29, v14
	v_lshlrev_b64 v[15:16], v15, v[6:7]
	s_delay_alu instid0(VALU_DEP_1)
	v_and_b32_e32 v6, 7, v15
; %bb.822:                              ;   in Loop: Header=BB237_808 Depth=1
	s_or_b32 exec_lo, exec_lo, s15
	v_lshlrev_b32_e32 v15, 16, v71
	s_delay_alu instid0(VALU_DEP_2) | instskip(SKIP_1) | instid1(VALU_DEP_3)
	v_lshlrev_b32_e32 v6, 20, v6
	v_lshl_add_u32 v14, v14, 23, 0x3c000000
	v_and_b32_e32 v15, 0x80000000, v15
	s_delay_alu instid0(VALU_DEP_1)
	v_or3_b32 v15, v6, v15, v14
	v_mov_b32_e32 v14, v7
.LBB237_823:                            ;   in Loop: Header=BB237_808 Depth=1
	s_or_b32 exec_lo, exec_lo, s10
.LBB237_824:                            ;   in Loop: Header=BB237_808 Depth=1
	s_delay_alu instid0(SALU_CYCLE_1)
	s_or_b32 exec_lo, exec_lo, s13
.LBB237_825:                            ;   in Loop: Header=BB237_808 Depth=1
	s_delay_alu instid0(SALU_CYCLE_1) | instskip(SKIP_4) | instid1(VALU_DEP_2)
	s_or_b32 exec_lo, exec_lo, s0
	v_mov_b32_e32 v18, 0
	v_lshrrev_b32_e32 v80, 16, v71
	v_mov_b32_e32 v19, 0
	s_mov_b32 s0, exec_lo
	v_and_b32_e32 v6, 0xff, v80
	s_delay_alu instid0(VALU_DEP_2) | instskip(NEXT) | instid1(VALU_DEP_2)
	v_dual_mov_b32 v16, v18 :: v_dual_mov_b32 v17, v19
	v_cmpx_ne_u16_e32 0, v6
	s_cbranch_execz .LBB237_833
; %bb.826:                              ;   in Loop: Header=BB237_808 Depth=1
	v_bfrev_b32_e32 v16, 1
	v_mov_b32_e32 v17, 0
	s_mov_b32 s10, exec_lo
	v_cmpx_ne_u16_e32 0x80, v6
	s_cbranch_execz .LBB237_832
; %bb.827:                              ;   in Loop: Header=BB237_808 Depth=1
	v_mov_b32_e32 v16, 0x7f800001
	v_bfe_u32 v81, v71, 16, 7
	v_mov_b32_e32 v17, 0
	s_mov_b32 s13, exec_lo
	s_delay_alu instid0(VALU_DEP_2)
	v_cmpx_ne_u32_e32 0x7f, v81
	s_cbranch_execz .LBB237_831
; %bb.828:                              ;   in Loop: Header=BB237_808 Depth=1
	v_and_b32_e32 v6, 7, v80
	v_lshrrev_b32_e32 v16, 3, v81
	s_mov_b32 s15, exec_lo
	v_cmpx_gt_u32_e32 8, v81
; %bb.829:                              ;   in Loop: Header=BB237_808 Depth=1
	s_delay_alu instid0(VALU_DEP_3) | instskip(NEXT) | instid1(VALU_DEP_1)
	v_clz_i32_u32_e32 v16, v6
	v_min_u32_e32 v16, 32, v16
	s_delay_alu instid0(VALU_DEP_1) | instskip(SKIP_1) | instid1(VALU_DEP_2)
	v_subrev_nc_u32_e32 v17, 28, v16
	v_sub_nc_u32_e32 v16, 29, v16
	v_lshlrev_b64 v[81:82], v17, v[6:7]
	s_delay_alu instid0(VALU_DEP_1)
	v_and_b32_e32 v6, 7, v81
; %bb.830:                              ;   in Loop: Header=BB237_808 Depth=1
	s_or_b32 exec_lo, exec_lo, s15
	v_lshlrev_b32_e32 v17, 24, v80
	s_delay_alu instid0(VALU_DEP_2) | instskip(SKIP_1) | instid1(VALU_DEP_3)
	v_lshlrev_b32_e32 v6, 20, v6
	v_lshl_add_u32 v16, v16, 23, 0x3c000000
	v_and_b32_e32 v17, 0x80000000, v17
	s_delay_alu instid0(VALU_DEP_1) | instskip(NEXT) | instid1(VALU_DEP_1)
	v_or3_b32 v6, v6, v17, v16
	v_dual_mov_b32 v17, v7 :: v_dual_mov_b32 v16, v6
.LBB237_831:                            ;   in Loop: Header=BB237_808 Depth=1
	s_or_b32 exec_lo, exec_lo, s13
.LBB237_832:                            ;   in Loop: Header=BB237_808 Depth=1
	s_delay_alu instid0(SALU_CYCLE_1)
	s_or_b32 exec_lo, exec_lo, s10
.LBB237_833:                            ;   in Loop: Header=BB237_808 Depth=1
	s_delay_alu instid0(SALU_CYCLE_1) | instskip(NEXT) | instid1(SALU_CYCLE_1)
	s_or_b32 exec_lo, exec_lo, s0
	s_mov_b32 s0, exec_lo
	v_cmpx_lt_u32_e32 0xffffff, v71
	s_cbranch_execz .LBB237_841
; %bb.834:                              ;   in Loop: Header=BB237_808 Depth=1
	v_lshrrev_b32_e32 v80, 24, v71
	v_dual_mov_b32 v19, s9 :: v_dual_mov_b32 v18, s8
	s_mov_b32 s13, exec_lo
	s_delay_alu instid0(VALU_DEP_2)
	v_cmpx_ne_u32_e32 0x80, v80
	s_cbranch_execz .LBB237_840
; %bb.835:                              ;   in Loop: Header=BB237_808 Depth=1
	s_mov_b32 s10, s8
	v_bfe_u32 v71, v71, 24, 7
	v_dual_mov_b32 v19, s11 :: v_dual_mov_b32 v18, s10
	s_mov_b32 s10, exec_lo
	s_delay_alu instid0(VALU_DEP_2)
	v_cmpx_ne_u32_e32 0x7f, v71
	s_cbranch_execz .LBB237_839
; %bb.836:                              ;   in Loop: Header=BB237_808 Depth=1
	v_and_b32_e32 v6, 7, v80
	v_lshrrev_b32_e32 v18, 3, v71
	s_mov_b32 s15, exec_lo
	v_cmpx_gt_u32_e32 8, v71
; %bb.837:                              ;   in Loop: Header=BB237_808 Depth=1
	s_delay_alu instid0(VALU_DEP_3) | instskip(NEXT) | instid1(VALU_DEP_1)
	v_clz_i32_u32_e32 v18, v6
	v_min_u32_e32 v18, 32, v18
	s_delay_alu instid0(VALU_DEP_1) | instskip(SKIP_1) | instid1(VALU_DEP_2)
	v_subrev_nc_u32_e32 v19, 28, v18
	v_sub_nc_u32_e32 v18, 29, v18
	v_lshlrev_b64 v[81:82], v19, v[6:7]
	s_delay_alu instid0(VALU_DEP_1)
	v_and_b32_e32 v6, 7, v81
; %bb.838:                              ;   in Loop: Header=BB237_808 Depth=1
	s_or_b32 exec_lo, exec_lo, s15
	v_lshlrev_b32_e32 v19, 24, v80
	s_delay_alu instid0(VALU_DEP_2) | instskip(SKIP_1) | instid1(VALU_DEP_3)
	v_lshlrev_b32_e32 v6, 20, v6
	v_lshl_add_u32 v18, v18, 23, 0x3c000000
	v_and_b32_e32 v19, 0x80000000, v19
	s_delay_alu instid0(VALU_DEP_1)
	v_or3_b32 v19, v6, v19, v18
	v_mov_b32_e32 v18, v7
.LBB237_839:                            ;   in Loop: Header=BB237_808 Depth=1
	s_or_b32 exec_lo, exec_lo, s10
.LBB237_840:                            ;   in Loop: Header=BB237_808 Depth=1
	s_delay_alu instid0(SALU_CYCLE_1)
	s_or_b32 exec_lo, exec_lo, s13
.LBB237_841:                            ;   in Loop: Header=BB237_808 Depth=1
	s_delay_alu instid0(SALU_CYCLE_1)
	s_or_b32 exec_lo, exec_lo, s0
	v_add_nc_u32_e32 v83, v66, v47
	v_or_b32_e32 v5, v15, v5
	v_or_b32_e32 v4, v14, v4
	;; [unrolled: 1-line block ×4, first 2 shown]
	v_cmp_eq_u32_e32 vcc_lo, v67, v112
	s_waitcnt vmcnt(0) lgkmcnt(1)
	v_dual_mul_f32 v82, v70, v5 :: v_dual_add_nc_u32 v85, 2, v83
	v_dual_mul_f32 v81, v70, v4 :: v_dual_add_nc_u32 v86, 1, v83
	;; [unrolled: 1-line block ×3, first 2 shown]
	v_mul_f32_e32 v80, v70, v14
	s_and_saveexec_b32 s10, vcc_lo
; %bb.842:                              ;   in Loop: Header=BB237_808 Depth=1
	v_cmp_lt_i32_e64 s0, v83, v25
	s_delay_alu instid0(VALU_DEP_1) | instskip(SKIP_1) | instid1(VALU_DEP_1)
	v_cndmask_b32_e64 v81, 0, v81, s0
	v_cmp_lt_i32_e64 s0, v86, v25
	v_cndmask_b32_e64 v82, 0, v82, s0
	v_cmp_lt_i32_e64 s0, v85, v25
	s_delay_alu instid0(VALU_DEP_1) | instskip(SKIP_1) | instid1(VALU_DEP_1)
	v_cndmask_b32_e64 v80, 0, v80, s0
	v_cmp_lt_i32_e64 s0, v84, v25
	v_cndmask_b32_e64 v71, 0, v71, s0
; %bb.843:                              ;   in Loop: Header=BB237_808 Depth=1
	s_or_b32 exec_lo, exec_lo, s10
	flat_load_b32 v87, v[12:13] offset:128
	v_mov_b32_e32 v14, 0
	v_mov_b32_e32 v15, 0
	s_mov_b32 s10, exec_lo
	s_waitcnt vmcnt(0) lgkmcnt(0)
	v_and_b32_e32 v6, 0xff, v87
	s_delay_alu instid0(VALU_DEP_2) | instskip(NEXT) | instid1(VALU_DEP_2)
	v_dual_mov_b32 v4, v14 :: v_dual_mov_b32 v5, v15
	v_cmpx_ne_u16_e32 0, v6
	s_cbranch_execz .LBB237_851
; %bb.844:                              ;   in Loop: Header=BB237_808 Depth=1
	v_bfrev_b32_e32 v4, 1
	v_mov_b32_e32 v5, 0
	s_mov_b32 s13, exec_lo
	v_cmpx_ne_u16_e32 0x80, v6
	s_cbranch_execz .LBB237_850
; %bb.845:                              ;   in Loop: Header=BB237_808 Depth=1
	v_mov_b32_e32 v4, 0x7f800001
	v_dual_mov_b32 v5, 0 :: v_dual_and_b32 v16, 0x7f, v87
	s_mov_b32 s15, exec_lo
	s_delay_alu instid0(VALU_DEP_1)
	v_cmpx_ne_u32_e32 0x7f, v16
	s_cbranch_execz .LBB237_849
; %bb.846:                              ;   in Loop: Header=BB237_808 Depth=1
	v_and_b32_e32 v6, 7, v87
	v_lshrrev_b32_e32 v4, 3, v16
	s_mov_b32 s16, exec_lo
	v_cmpx_gt_u32_e32 8, v16
; %bb.847:                              ;   in Loop: Header=BB237_808 Depth=1
	s_delay_alu instid0(VALU_DEP_3) | instskip(NEXT) | instid1(VALU_DEP_1)
	v_clz_i32_u32_e32 v4, v6
	v_min_u32_e32 v4, 32, v4
	s_delay_alu instid0(VALU_DEP_1) | instskip(SKIP_1) | instid1(VALU_DEP_2)
	v_subrev_nc_u32_e32 v5, 28, v4
	v_sub_nc_u32_e32 v4, 29, v4
	v_lshlrev_b64 v[5:6], v5, v[6:7]
	s_delay_alu instid0(VALU_DEP_1)
	v_and_b32_e32 v6, 7, v5
; %bb.848:                              ;   in Loop: Header=BB237_808 Depth=1
	s_or_b32 exec_lo, exec_lo, s16
	v_lshlrev_b32_e32 v5, 24, v87
	s_delay_alu instid0(VALU_DEP_2) | instskip(SKIP_1) | instid1(VALU_DEP_3)
	v_lshlrev_b32_e32 v6, 20, v6
	v_lshl_add_u32 v4, v4, 23, 0x3c000000
	v_and_b32_e32 v5, 0x80000000, v5
	s_delay_alu instid0(VALU_DEP_1) | instskip(NEXT) | instid1(VALU_DEP_1)
	v_or3_b32 v6, v6, v5, v4
	v_dual_mov_b32 v4, v6 :: v_dual_mov_b32 v5, v7
.LBB237_849:                            ;   in Loop: Header=BB237_808 Depth=1
	s_or_b32 exec_lo, exec_lo, s15
.LBB237_850:                            ;   in Loop: Header=BB237_808 Depth=1
	s_delay_alu instid0(SALU_CYCLE_1)
	s_or_b32 exec_lo, exec_lo, s13
.LBB237_851:                            ;   in Loop: Header=BB237_808 Depth=1
	s_delay_alu instid0(SALU_CYCLE_1) | instskip(SKIP_2) | instid1(VALU_DEP_1)
	s_or_b32 exec_lo, exec_lo, s10
	v_lshrrev_b16 v6, 8, v87
	s_mov_b32 s13, exec_lo
	v_cmpx_ne_u16_e32 0, v6
	s_cbranch_execz .LBB237_859
; %bb.852:                              ;   in Loop: Header=BB237_808 Depth=1
	v_dual_mov_b32 v15, s9 :: v_dual_mov_b32 v14, s8
	s_mov_b32 s15, exec_lo
	v_cmpx_ne_u16_e32 0x80, v6
	s_cbranch_execz .LBB237_858
; %bb.853:                              ;   in Loop: Header=BB237_808 Depth=1
	s_mov_b32 s10, s8
	v_dual_mov_b32 v15, s11 :: v_dual_and_b32 v6, 0xffff, v6
	v_mov_b32_e32 v14, s10
	s_mov_b32 s10, exec_lo
	s_delay_alu instid0(VALU_DEP_2) | instskip(NEXT) | instid1(VALU_DEP_1)
	v_and_b32_e32 v16, 0x7f, v6
	v_cmpx_ne_u32_e32 0x7f, v16
	s_cbranch_execz .LBB237_857
; %bb.854:                              ;   in Loop: Header=BB237_808 Depth=1
	v_and_b32_e32 v6, 7, v6
	v_lshrrev_b32_e32 v14, 3, v16
	s_mov_b32 s16, exec_lo
	v_cmpx_gt_u32_e32 8, v16
; %bb.855:                              ;   in Loop: Header=BB237_808 Depth=1
	s_delay_alu instid0(VALU_DEP_3) | instskip(NEXT) | instid1(VALU_DEP_1)
	v_clz_i32_u32_e32 v14, v6
	v_min_u32_e32 v14, 32, v14
	s_delay_alu instid0(VALU_DEP_1) | instskip(SKIP_1) | instid1(VALU_DEP_2)
	v_subrev_nc_u32_e32 v15, 28, v14
	v_sub_nc_u32_e32 v14, 29, v14
	v_lshlrev_b64 v[15:16], v15, v[6:7]
	s_delay_alu instid0(VALU_DEP_1)
	v_and_b32_e32 v6, 7, v15
; %bb.856:                              ;   in Loop: Header=BB237_808 Depth=1
	s_or_b32 exec_lo, exec_lo, s16
	v_lshlrev_b32_e32 v15, 16, v87
	s_delay_alu instid0(VALU_DEP_2) | instskip(SKIP_1) | instid1(VALU_DEP_3)
	v_lshlrev_b32_e32 v6, 20, v6
	v_lshl_add_u32 v14, v14, 23, 0x3c000000
	v_and_b32_e32 v15, 0x80000000, v15
	s_delay_alu instid0(VALU_DEP_1)
	v_or3_b32 v15, v6, v15, v14
	v_mov_b32_e32 v14, v7
.LBB237_857:                            ;   in Loop: Header=BB237_808 Depth=1
	s_or_b32 exec_lo, exec_lo, s10
.LBB237_858:                            ;   in Loop: Header=BB237_808 Depth=1
	s_delay_alu instid0(SALU_CYCLE_1)
	s_or_b32 exec_lo, exec_lo, s15
.LBB237_859:                            ;   in Loop: Header=BB237_808 Depth=1
	s_delay_alu instid0(SALU_CYCLE_1) | instskip(SKIP_4) | instid1(VALU_DEP_2)
	s_or_b32 exec_lo, exec_lo, s13
	v_mov_b32_e32 v18, 0
	v_lshrrev_b32_e32 v96, 16, v87
	v_mov_b32_e32 v19, 0
	s_mov_b32 s10, exec_lo
	v_and_b32_e32 v6, 0xff, v96
	s_delay_alu instid0(VALU_DEP_2) | instskip(NEXT) | instid1(VALU_DEP_2)
	v_dual_mov_b32 v16, v18 :: v_dual_mov_b32 v17, v19
	v_cmpx_ne_u16_e32 0, v6
	s_cbranch_execz .LBB237_867
; %bb.860:                              ;   in Loop: Header=BB237_808 Depth=1
	v_bfrev_b32_e32 v16, 1
	v_mov_b32_e32 v17, 0
	s_mov_b32 s13, exec_lo
	v_cmpx_ne_u16_e32 0x80, v6
	s_cbranch_execz .LBB237_866
; %bb.861:                              ;   in Loop: Header=BB237_808 Depth=1
	v_mov_b32_e32 v16, 0x7f800001
	v_bfe_u32 v97, v87, 16, 7
	v_mov_b32_e32 v17, 0
	s_mov_b32 s15, exec_lo
	s_delay_alu instid0(VALU_DEP_2)
	v_cmpx_ne_u32_e32 0x7f, v97
	s_cbranch_execz .LBB237_865
; %bb.862:                              ;   in Loop: Header=BB237_808 Depth=1
	v_and_b32_e32 v6, 7, v96
	v_lshrrev_b32_e32 v16, 3, v97
	s_mov_b32 s16, exec_lo
	v_cmpx_gt_u32_e32 8, v97
; %bb.863:                              ;   in Loop: Header=BB237_808 Depth=1
	s_delay_alu instid0(VALU_DEP_3) | instskip(NEXT) | instid1(VALU_DEP_1)
	v_clz_i32_u32_e32 v16, v6
	v_min_u32_e32 v16, 32, v16
	s_delay_alu instid0(VALU_DEP_1) | instskip(SKIP_1) | instid1(VALU_DEP_2)
	v_subrev_nc_u32_e32 v17, 28, v16
	v_sub_nc_u32_e32 v16, 29, v16
	v_lshlrev_b64 v[97:98], v17, v[6:7]
	s_delay_alu instid0(VALU_DEP_1)
	v_and_b32_e32 v6, 7, v97
; %bb.864:                              ;   in Loop: Header=BB237_808 Depth=1
	s_or_b32 exec_lo, exec_lo, s16
	v_lshlrev_b32_e32 v17, 24, v96
	s_delay_alu instid0(VALU_DEP_2) | instskip(SKIP_1) | instid1(VALU_DEP_3)
	v_lshlrev_b32_e32 v6, 20, v6
	v_lshl_add_u32 v16, v16, 23, 0x3c000000
	v_and_b32_e32 v17, 0x80000000, v17
	s_delay_alu instid0(VALU_DEP_1) | instskip(NEXT) | instid1(VALU_DEP_1)
	v_or3_b32 v6, v6, v17, v16
	v_dual_mov_b32 v17, v7 :: v_dual_mov_b32 v16, v6
.LBB237_865:                            ;   in Loop: Header=BB237_808 Depth=1
	s_or_b32 exec_lo, exec_lo, s15
.LBB237_866:                            ;   in Loop: Header=BB237_808 Depth=1
	s_delay_alu instid0(SALU_CYCLE_1)
	s_or_b32 exec_lo, exec_lo, s13
.LBB237_867:                            ;   in Loop: Header=BB237_808 Depth=1
	s_delay_alu instid0(SALU_CYCLE_1) | instskip(NEXT) | instid1(SALU_CYCLE_1)
	s_or_b32 exec_lo, exec_lo, s10
	s_mov_b32 s13, exec_lo
	v_cmpx_lt_u32_e32 0xffffff, v87
	s_cbranch_execz .LBB237_875
; %bb.868:                              ;   in Loop: Header=BB237_808 Depth=1
	v_lshrrev_b32_e32 v96, 24, v87
	v_dual_mov_b32 v19, s9 :: v_dual_mov_b32 v18, s8
	s_mov_b32 s15, exec_lo
	s_delay_alu instid0(VALU_DEP_2)
	v_cmpx_ne_u32_e32 0x80, v96
	s_cbranch_execz .LBB237_874
; %bb.869:                              ;   in Loop: Header=BB237_808 Depth=1
	s_mov_b32 s10, s8
	v_bfe_u32 v87, v87, 24, 7
	v_dual_mov_b32 v19, s11 :: v_dual_mov_b32 v18, s10
	s_mov_b32 s10, exec_lo
	s_delay_alu instid0(VALU_DEP_2)
	v_cmpx_ne_u32_e32 0x7f, v87
	s_cbranch_execz .LBB237_873
; %bb.870:                              ;   in Loop: Header=BB237_808 Depth=1
	v_and_b32_e32 v6, 7, v96
	v_lshrrev_b32_e32 v18, 3, v87
	s_mov_b32 s16, exec_lo
	v_cmpx_gt_u32_e32 8, v87
; %bb.871:                              ;   in Loop: Header=BB237_808 Depth=1
	s_delay_alu instid0(VALU_DEP_3) | instskip(NEXT) | instid1(VALU_DEP_1)
	v_clz_i32_u32_e32 v18, v6
	v_min_u32_e32 v18, 32, v18
	s_delay_alu instid0(VALU_DEP_1) | instskip(SKIP_1) | instid1(VALU_DEP_2)
	v_subrev_nc_u32_e32 v19, 28, v18
	v_sub_nc_u32_e32 v18, 29, v18
	v_lshlrev_b64 v[97:98], v19, v[6:7]
	s_delay_alu instid0(VALU_DEP_1)
	v_and_b32_e32 v6, 7, v97
; %bb.872:                              ;   in Loop: Header=BB237_808 Depth=1
	s_or_b32 exec_lo, exec_lo, s16
	v_lshlrev_b32_e32 v19, 24, v96
	s_delay_alu instid0(VALU_DEP_2) | instskip(SKIP_1) | instid1(VALU_DEP_3)
	v_lshlrev_b32_e32 v6, 20, v6
	v_lshl_add_u32 v18, v18, 23, 0x3c000000
	v_and_b32_e32 v19, 0x80000000, v19
	s_delay_alu instid0(VALU_DEP_1)
	v_or3_b32 v19, v6, v19, v18
	v_mov_b32_e32 v18, v7
.LBB237_873:                            ;   in Loop: Header=BB237_808 Depth=1
	s_or_b32 exec_lo, exec_lo, s10
.LBB237_874:                            ;   in Loop: Header=BB237_808 Depth=1
	s_delay_alu instid0(SALU_CYCLE_1)
	s_or_b32 exec_lo, exec_lo, s15
.LBB237_875:                            ;   in Loop: Header=BB237_808 Depth=1
	s_delay_alu instid0(SALU_CYCLE_1) | instskip(SKIP_4) | instid1(VALU_DEP_4)
	s_or_b32 exec_lo, exec_lo, s13
	v_or_b32_e32 v5, v15, v5
	v_or_b32_e32 v4, v14, v4
	;; [unrolled: 1-line block ×4, first 2 shown]
	v_mul_f32_e32 v98, v70, v5
	s_delay_alu instid0(VALU_DEP_4) | instskip(NEXT) | instid1(VALU_DEP_4)
	v_mul_f32_e32 v97, v70, v4
	v_mul_f32_e32 v87, v70, v6
	s_delay_alu instid0(VALU_DEP_4)
	v_mul_f32_e32 v96, v70, v14
	s_and_saveexec_b32 s10, vcc_lo
; %bb.876:                              ;   in Loop: Header=BB237_808 Depth=1
	v_cmp_lt_i32_e64 s0, v83, v25
	s_delay_alu instid0(VALU_DEP_1) | instskip(SKIP_1) | instid1(VALU_DEP_1)
	v_cndmask_b32_e64 v97, 0, v97, s0
	v_cmp_lt_i32_e64 s0, v86, v25
	v_cndmask_b32_e64 v98, 0, v98, s0
	v_cmp_lt_i32_e64 s0, v85, v25
	s_delay_alu instid0(VALU_DEP_1) | instskip(SKIP_1) | instid1(VALU_DEP_1)
	v_cndmask_b32_e64 v96, 0, v96, s0
	v_cmp_lt_i32_e64 s0, v84, v25
	v_cndmask_b32_e64 v87, 0, v87, s0
; %bb.877:                              ;   in Loop: Header=BB237_808 Depth=1
	s_or_b32 exec_lo, exec_lo, s10
	flat_load_b32 v99, v[12:13] offset:256
	v_mov_b32_e32 v14, 0
	v_mov_b32_e32 v15, 0
	s_mov_b32 s10, exec_lo
	s_waitcnt vmcnt(0) lgkmcnt(0)
	v_and_b32_e32 v6, 0xff, v99
	s_delay_alu instid0(VALU_DEP_2) | instskip(NEXT) | instid1(VALU_DEP_2)
	v_dual_mov_b32 v4, v14 :: v_dual_mov_b32 v5, v15
	v_cmpx_ne_u16_e32 0, v6
	s_cbranch_execz .LBB237_885
; %bb.878:                              ;   in Loop: Header=BB237_808 Depth=1
	v_bfrev_b32_e32 v4, 1
	v_mov_b32_e32 v5, 0
	s_mov_b32 s13, exec_lo
	v_cmpx_ne_u16_e32 0x80, v6
	s_cbranch_execz .LBB237_884
; %bb.879:                              ;   in Loop: Header=BB237_808 Depth=1
	v_mov_b32_e32 v4, 0x7f800001
	v_dual_mov_b32 v5, 0 :: v_dual_and_b32 v16, 0x7f, v99
	s_mov_b32 s15, exec_lo
	s_delay_alu instid0(VALU_DEP_1)
	v_cmpx_ne_u32_e32 0x7f, v16
	s_cbranch_execz .LBB237_883
; %bb.880:                              ;   in Loop: Header=BB237_808 Depth=1
	v_and_b32_e32 v6, 7, v99
	v_lshrrev_b32_e32 v4, 3, v16
	s_mov_b32 s16, exec_lo
	v_cmpx_gt_u32_e32 8, v16
; %bb.881:                              ;   in Loop: Header=BB237_808 Depth=1
	s_delay_alu instid0(VALU_DEP_3) | instskip(NEXT) | instid1(VALU_DEP_1)
	v_clz_i32_u32_e32 v4, v6
	v_min_u32_e32 v4, 32, v4
	s_delay_alu instid0(VALU_DEP_1) | instskip(SKIP_1) | instid1(VALU_DEP_2)
	v_subrev_nc_u32_e32 v5, 28, v4
	v_sub_nc_u32_e32 v4, 29, v4
	v_lshlrev_b64 v[5:6], v5, v[6:7]
	s_delay_alu instid0(VALU_DEP_1)
	v_and_b32_e32 v6, 7, v5
; %bb.882:                              ;   in Loop: Header=BB237_808 Depth=1
	s_or_b32 exec_lo, exec_lo, s16
	v_lshlrev_b32_e32 v5, 24, v99
	s_delay_alu instid0(VALU_DEP_2) | instskip(SKIP_1) | instid1(VALU_DEP_3)
	v_lshlrev_b32_e32 v6, 20, v6
	v_lshl_add_u32 v4, v4, 23, 0x3c000000
	v_and_b32_e32 v5, 0x80000000, v5
	s_delay_alu instid0(VALU_DEP_1) | instskip(NEXT) | instid1(VALU_DEP_1)
	v_or3_b32 v6, v6, v5, v4
	v_dual_mov_b32 v4, v6 :: v_dual_mov_b32 v5, v7
.LBB237_883:                            ;   in Loop: Header=BB237_808 Depth=1
	s_or_b32 exec_lo, exec_lo, s15
.LBB237_884:                            ;   in Loop: Header=BB237_808 Depth=1
	s_delay_alu instid0(SALU_CYCLE_1)
	s_or_b32 exec_lo, exec_lo, s13
.LBB237_885:                            ;   in Loop: Header=BB237_808 Depth=1
	s_delay_alu instid0(SALU_CYCLE_1) | instskip(SKIP_2) | instid1(VALU_DEP_1)
	s_or_b32 exec_lo, exec_lo, s10
	v_lshrrev_b16 v6, 8, v99
	s_mov_b32 s13, exec_lo
	v_cmpx_ne_u16_e32 0, v6
	s_cbranch_execz .LBB237_893
; %bb.886:                              ;   in Loop: Header=BB237_808 Depth=1
	v_dual_mov_b32 v15, s9 :: v_dual_mov_b32 v14, s8
	s_mov_b32 s15, exec_lo
	v_cmpx_ne_u16_e32 0x80, v6
	s_cbranch_execz .LBB237_892
; %bb.887:                              ;   in Loop: Header=BB237_808 Depth=1
	s_mov_b32 s10, s8
	v_dual_mov_b32 v15, s11 :: v_dual_and_b32 v6, 0xffff, v6
	v_mov_b32_e32 v14, s10
	s_mov_b32 s10, exec_lo
	s_delay_alu instid0(VALU_DEP_2) | instskip(NEXT) | instid1(VALU_DEP_1)
	v_and_b32_e32 v16, 0x7f, v6
	v_cmpx_ne_u32_e32 0x7f, v16
	s_cbranch_execz .LBB237_891
; %bb.888:                              ;   in Loop: Header=BB237_808 Depth=1
	v_and_b32_e32 v6, 7, v6
	v_lshrrev_b32_e32 v14, 3, v16
	s_mov_b32 s16, exec_lo
	v_cmpx_gt_u32_e32 8, v16
; %bb.889:                              ;   in Loop: Header=BB237_808 Depth=1
	s_delay_alu instid0(VALU_DEP_3) | instskip(NEXT) | instid1(VALU_DEP_1)
	v_clz_i32_u32_e32 v14, v6
	v_min_u32_e32 v14, 32, v14
	s_delay_alu instid0(VALU_DEP_1) | instskip(SKIP_1) | instid1(VALU_DEP_2)
	v_subrev_nc_u32_e32 v15, 28, v14
	v_sub_nc_u32_e32 v14, 29, v14
	v_lshlrev_b64 v[15:16], v15, v[6:7]
	s_delay_alu instid0(VALU_DEP_1)
	v_and_b32_e32 v6, 7, v15
; %bb.890:                              ;   in Loop: Header=BB237_808 Depth=1
	s_or_b32 exec_lo, exec_lo, s16
	v_lshlrev_b32_e32 v15, 16, v99
	s_delay_alu instid0(VALU_DEP_2) | instskip(SKIP_1) | instid1(VALU_DEP_3)
	v_lshlrev_b32_e32 v6, 20, v6
	v_lshl_add_u32 v14, v14, 23, 0x3c000000
	v_and_b32_e32 v15, 0x80000000, v15
	s_delay_alu instid0(VALU_DEP_1)
	v_or3_b32 v15, v6, v15, v14
	v_mov_b32_e32 v14, v7
.LBB237_891:                            ;   in Loop: Header=BB237_808 Depth=1
	s_or_b32 exec_lo, exec_lo, s10
.LBB237_892:                            ;   in Loop: Header=BB237_808 Depth=1
	s_delay_alu instid0(SALU_CYCLE_1)
	s_or_b32 exec_lo, exec_lo, s15
.LBB237_893:                            ;   in Loop: Header=BB237_808 Depth=1
	s_delay_alu instid0(SALU_CYCLE_1) | instskip(SKIP_4) | instid1(VALU_DEP_2)
	s_or_b32 exec_lo, exec_lo, s13
	v_mov_b32_e32 v18, 0
	v_lshrrev_b32_e32 v100, 16, v99
	v_mov_b32_e32 v19, 0
	s_mov_b32 s10, exec_lo
	v_and_b32_e32 v6, 0xff, v100
	s_delay_alu instid0(VALU_DEP_2) | instskip(NEXT) | instid1(VALU_DEP_2)
	v_dual_mov_b32 v16, v18 :: v_dual_mov_b32 v17, v19
	v_cmpx_ne_u16_e32 0, v6
	s_cbranch_execz .LBB237_901
; %bb.894:                              ;   in Loop: Header=BB237_808 Depth=1
	v_bfrev_b32_e32 v16, 1
	v_mov_b32_e32 v17, 0
	s_mov_b32 s13, exec_lo
	v_cmpx_ne_u16_e32 0x80, v6
	s_cbranch_execz .LBB237_900
; %bb.895:                              ;   in Loop: Header=BB237_808 Depth=1
	v_mov_b32_e32 v16, 0x7f800001
	v_bfe_u32 v101, v99, 16, 7
	v_mov_b32_e32 v17, 0
	s_mov_b32 s15, exec_lo
	s_delay_alu instid0(VALU_DEP_2)
	v_cmpx_ne_u32_e32 0x7f, v101
	s_cbranch_execz .LBB237_899
; %bb.896:                              ;   in Loop: Header=BB237_808 Depth=1
	v_and_b32_e32 v6, 7, v100
	v_lshrrev_b32_e32 v16, 3, v101
	s_mov_b32 s16, exec_lo
	v_cmpx_gt_u32_e32 8, v101
; %bb.897:                              ;   in Loop: Header=BB237_808 Depth=1
	s_delay_alu instid0(VALU_DEP_3) | instskip(NEXT) | instid1(VALU_DEP_1)
	v_clz_i32_u32_e32 v16, v6
	v_min_u32_e32 v16, 32, v16
	s_delay_alu instid0(VALU_DEP_1) | instskip(SKIP_1) | instid1(VALU_DEP_2)
	v_subrev_nc_u32_e32 v17, 28, v16
	v_sub_nc_u32_e32 v16, 29, v16
	v_lshlrev_b64 v[101:102], v17, v[6:7]
	s_delay_alu instid0(VALU_DEP_1)
	v_and_b32_e32 v6, 7, v101
; %bb.898:                              ;   in Loop: Header=BB237_808 Depth=1
	s_or_b32 exec_lo, exec_lo, s16
	v_lshlrev_b32_e32 v17, 24, v100
	s_delay_alu instid0(VALU_DEP_2) | instskip(SKIP_1) | instid1(VALU_DEP_3)
	v_lshlrev_b32_e32 v6, 20, v6
	v_lshl_add_u32 v16, v16, 23, 0x3c000000
	v_and_b32_e32 v17, 0x80000000, v17
	s_delay_alu instid0(VALU_DEP_1) | instskip(NEXT) | instid1(VALU_DEP_1)
	v_or3_b32 v6, v6, v17, v16
	v_dual_mov_b32 v17, v7 :: v_dual_mov_b32 v16, v6
.LBB237_899:                            ;   in Loop: Header=BB237_808 Depth=1
	s_or_b32 exec_lo, exec_lo, s15
.LBB237_900:                            ;   in Loop: Header=BB237_808 Depth=1
	s_delay_alu instid0(SALU_CYCLE_1)
	s_or_b32 exec_lo, exec_lo, s13
.LBB237_901:                            ;   in Loop: Header=BB237_808 Depth=1
	s_delay_alu instid0(SALU_CYCLE_1) | instskip(NEXT) | instid1(SALU_CYCLE_1)
	s_or_b32 exec_lo, exec_lo, s10
	s_mov_b32 s13, exec_lo
	v_cmpx_lt_u32_e32 0xffffff, v99
	s_cbranch_execz .LBB237_909
; %bb.902:                              ;   in Loop: Header=BB237_808 Depth=1
	v_lshrrev_b32_e32 v100, 24, v99
	v_dual_mov_b32 v19, s9 :: v_dual_mov_b32 v18, s8
	s_mov_b32 s15, exec_lo
	s_delay_alu instid0(VALU_DEP_2)
	v_cmpx_ne_u32_e32 0x80, v100
	s_cbranch_execz .LBB237_908
; %bb.903:                              ;   in Loop: Header=BB237_808 Depth=1
	s_mov_b32 s10, s8
	v_bfe_u32 v99, v99, 24, 7
	v_dual_mov_b32 v19, s11 :: v_dual_mov_b32 v18, s10
	s_mov_b32 s10, exec_lo
	s_delay_alu instid0(VALU_DEP_2)
	v_cmpx_ne_u32_e32 0x7f, v99
	s_cbranch_execz .LBB237_907
; %bb.904:                              ;   in Loop: Header=BB237_808 Depth=1
	v_and_b32_e32 v6, 7, v100
	v_lshrrev_b32_e32 v18, 3, v99
	s_mov_b32 s16, exec_lo
	v_cmpx_gt_u32_e32 8, v99
; %bb.905:                              ;   in Loop: Header=BB237_808 Depth=1
	s_delay_alu instid0(VALU_DEP_3) | instskip(NEXT) | instid1(VALU_DEP_1)
	v_clz_i32_u32_e32 v18, v6
	v_min_u32_e32 v18, 32, v18
	s_delay_alu instid0(VALU_DEP_1) | instskip(SKIP_1) | instid1(VALU_DEP_2)
	v_subrev_nc_u32_e32 v19, 28, v18
	v_sub_nc_u32_e32 v18, 29, v18
	v_lshlrev_b64 v[101:102], v19, v[6:7]
	s_delay_alu instid0(VALU_DEP_1)
	v_and_b32_e32 v6, 7, v101
; %bb.906:                              ;   in Loop: Header=BB237_808 Depth=1
	s_or_b32 exec_lo, exec_lo, s16
	v_lshlrev_b32_e32 v19, 24, v100
	s_delay_alu instid0(VALU_DEP_2) | instskip(SKIP_1) | instid1(VALU_DEP_3)
	v_lshlrev_b32_e32 v6, 20, v6
	v_lshl_add_u32 v18, v18, 23, 0x3c000000
	v_and_b32_e32 v19, 0x80000000, v19
	s_delay_alu instid0(VALU_DEP_1)
	v_or3_b32 v19, v6, v19, v18
	v_mov_b32_e32 v18, v7
.LBB237_907:                            ;   in Loop: Header=BB237_808 Depth=1
	s_or_b32 exec_lo, exec_lo, s10
.LBB237_908:                            ;   in Loop: Header=BB237_808 Depth=1
	s_delay_alu instid0(SALU_CYCLE_1)
	s_or_b32 exec_lo, exec_lo, s15
.LBB237_909:                            ;   in Loop: Header=BB237_808 Depth=1
	s_delay_alu instid0(SALU_CYCLE_1) | instskip(SKIP_4) | instid1(VALU_DEP_4)
	s_or_b32 exec_lo, exec_lo, s13
	v_or_b32_e32 v5, v15, v5
	v_or_b32_e32 v4, v14, v4
	;; [unrolled: 1-line block ×4, first 2 shown]
	v_mul_f32_e32 v102, v70, v5
	s_delay_alu instid0(VALU_DEP_4) | instskip(NEXT) | instid1(VALU_DEP_4)
	v_mul_f32_e32 v101, v70, v4
	v_mul_f32_e32 v99, v70, v6
	s_delay_alu instid0(VALU_DEP_4)
	v_mul_f32_e32 v100, v70, v14
	s_and_saveexec_b32 s10, vcc_lo
; %bb.910:                              ;   in Loop: Header=BB237_808 Depth=1
	v_cmp_lt_i32_e64 s0, v83, v25
	s_delay_alu instid0(VALU_DEP_1) | instskip(SKIP_1) | instid1(VALU_DEP_1)
	v_cndmask_b32_e64 v101, 0, v101, s0
	v_cmp_lt_i32_e64 s0, v86, v25
	v_cndmask_b32_e64 v102, 0, v102, s0
	v_cmp_lt_i32_e64 s0, v85, v25
	s_delay_alu instid0(VALU_DEP_1) | instskip(SKIP_1) | instid1(VALU_DEP_1)
	v_cndmask_b32_e64 v100, 0, v100, s0
	v_cmp_lt_i32_e64 s0, v84, v25
	v_cndmask_b32_e64 v99, 0, v99, s0
; %bb.911:                              ;   in Loop: Header=BB237_808 Depth=1
	s_or_b32 exec_lo, exec_lo, s10
	flat_load_b32 v103, v[12:13] offset:384
	v_mov_b32_e32 v14, 0
	v_mov_b32_e32 v15, 0
	s_mov_b32 s10, exec_lo
	s_waitcnt vmcnt(0) lgkmcnt(0)
	v_and_b32_e32 v6, 0xff, v103
	s_delay_alu instid0(VALU_DEP_2) | instskip(NEXT) | instid1(VALU_DEP_2)
	v_dual_mov_b32 v4, v14 :: v_dual_mov_b32 v5, v15
	v_cmpx_ne_u16_e32 0, v6
	s_cbranch_execz .LBB237_919
; %bb.912:                              ;   in Loop: Header=BB237_808 Depth=1
	v_bfrev_b32_e32 v4, 1
	v_mov_b32_e32 v5, 0
	s_mov_b32 s13, exec_lo
	v_cmpx_ne_u16_e32 0x80, v6
	s_cbranch_execz .LBB237_918
; %bb.913:                              ;   in Loop: Header=BB237_808 Depth=1
	v_mov_b32_e32 v4, 0x7f800001
	v_dual_mov_b32 v5, 0 :: v_dual_and_b32 v16, 0x7f, v103
	s_mov_b32 s15, exec_lo
	s_delay_alu instid0(VALU_DEP_1)
	v_cmpx_ne_u32_e32 0x7f, v16
	s_cbranch_execz .LBB237_917
; %bb.914:                              ;   in Loop: Header=BB237_808 Depth=1
	v_and_b32_e32 v6, 7, v103
	v_lshrrev_b32_e32 v4, 3, v16
	s_mov_b32 s16, exec_lo
	v_cmpx_gt_u32_e32 8, v16
; %bb.915:                              ;   in Loop: Header=BB237_808 Depth=1
	s_delay_alu instid0(VALU_DEP_3) | instskip(NEXT) | instid1(VALU_DEP_1)
	v_clz_i32_u32_e32 v4, v6
	v_min_u32_e32 v4, 32, v4
	s_delay_alu instid0(VALU_DEP_1) | instskip(SKIP_1) | instid1(VALU_DEP_2)
	v_subrev_nc_u32_e32 v5, 28, v4
	v_sub_nc_u32_e32 v4, 29, v4
	v_lshlrev_b64 v[5:6], v5, v[6:7]
	s_delay_alu instid0(VALU_DEP_1)
	v_and_b32_e32 v6, 7, v5
; %bb.916:                              ;   in Loop: Header=BB237_808 Depth=1
	s_or_b32 exec_lo, exec_lo, s16
	v_lshlrev_b32_e32 v5, 24, v103
	s_delay_alu instid0(VALU_DEP_2) | instskip(SKIP_1) | instid1(VALU_DEP_3)
	v_lshlrev_b32_e32 v6, 20, v6
	v_lshl_add_u32 v4, v4, 23, 0x3c000000
	v_and_b32_e32 v5, 0x80000000, v5
	s_delay_alu instid0(VALU_DEP_1) | instskip(NEXT) | instid1(VALU_DEP_1)
	v_or3_b32 v6, v6, v5, v4
	v_dual_mov_b32 v4, v6 :: v_dual_mov_b32 v5, v7
.LBB237_917:                            ;   in Loop: Header=BB237_808 Depth=1
	s_or_b32 exec_lo, exec_lo, s15
.LBB237_918:                            ;   in Loop: Header=BB237_808 Depth=1
	s_delay_alu instid0(SALU_CYCLE_1)
	s_or_b32 exec_lo, exec_lo, s13
.LBB237_919:                            ;   in Loop: Header=BB237_808 Depth=1
	s_delay_alu instid0(SALU_CYCLE_1) | instskip(SKIP_2) | instid1(VALU_DEP_1)
	s_or_b32 exec_lo, exec_lo, s10
	v_lshrrev_b16 v6, 8, v103
	s_mov_b32 s13, exec_lo
	v_cmpx_ne_u16_e32 0, v6
	s_cbranch_execz .LBB237_927
; %bb.920:                              ;   in Loop: Header=BB237_808 Depth=1
	v_dual_mov_b32 v15, s9 :: v_dual_mov_b32 v14, s8
	s_mov_b32 s15, exec_lo
	v_cmpx_ne_u16_e32 0x80, v6
	s_cbranch_execz .LBB237_926
; %bb.921:                              ;   in Loop: Header=BB237_808 Depth=1
	s_mov_b32 s10, s8
	v_dual_mov_b32 v15, s11 :: v_dual_and_b32 v6, 0xffff, v6
	v_mov_b32_e32 v14, s10
	s_mov_b32 s10, exec_lo
	s_delay_alu instid0(VALU_DEP_2) | instskip(NEXT) | instid1(VALU_DEP_1)
	v_and_b32_e32 v16, 0x7f, v6
	v_cmpx_ne_u32_e32 0x7f, v16
	s_cbranch_execz .LBB237_925
; %bb.922:                              ;   in Loop: Header=BB237_808 Depth=1
	v_and_b32_e32 v6, 7, v6
	v_lshrrev_b32_e32 v14, 3, v16
	s_mov_b32 s16, exec_lo
	v_cmpx_gt_u32_e32 8, v16
; %bb.923:                              ;   in Loop: Header=BB237_808 Depth=1
	s_delay_alu instid0(VALU_DEP_3) | instskip(NEXT) | instid1(VALU_DEP_1)
	v_clz_i32_u32_e32 v14, v6
	v_min_u32_e32 v14, 32, v14
	s_delay_alu instid0(VALU_DEP_1) | instskip(SKIP_1) | instid1(VALU_DEP_2)
	v_subrev_nc_u32_e32 v15, 28, v14
	v_sub_nc_u32_e32 v14, 29, v14
	v_lshlrev_b64 v[15:16], v15, v[6:7]
	s_delay_alu instid0(VALU_DEP_1)
	v_and_b32_e32 v6, 7, v15
; %bb.924:                              ;   in Loop: Header=BB237_808 Depth=1
	s_or_b32 exec_lo, exec_lo, s16
	v_lshlrev_b32_e32 v15, 16, v103
	s_delay_alu instid0(VALU_DEP_2) | instskip(SKIP_1) | instid1(VALU_DEP_3)
	v_lshlrev_b32_e32 v6, 20, v6
	v_lshl_add_u32 v14, v14, 23, 0x3c000000
	v_and_b32_e32 v15, 0x80000000, v15
	s_delay_alu instid0(VALU_DEP_1)
	v_or3_b32 v15, v6, v15, v14
	v_mov_b32_e32 v14, v7
.LBB237_925:                            ;   in Loop: Header=BB237_808 Depth=1
	s_or_b32 exec_lo, exec_lo, s10
.LBB237_926:                            ;   in Loop: Header=BB237_808 Depth=1
	s_delay_alu instid0(SALU_CYCLE_1)
	s_or_b32 exec_lo, exec_lo, s15
.LBB237_927:                            ;   in Loop: Header=BB237_808 Depth=1
	s_delay_alu instid0(SALU_CYCLE_1) | instskip(SKIP_4) | instid1(VALU_DEP_2)
	s_or_b32 exec_lo, exec_lo, s13
	v_mov_b32_e32 v18, 0
	v_lshrrev_b32_e32 v113, 16, v103
	v_mov_b32_e32 v19, 0
	s_mov_b32 s10, exec_lo
	v_and_b32_e32 v6, 0xff, v113
	s_delay_alu instid0(VALU_DEP_2) | instskip(NEXT) | instid1(VALU_DEP_2)
	v_dual_mov_b32 v16, v18 :: v_dual_mov_b32 v17, v19
	v_cmpx_ne_u16_e32 0, v6
	s_cbranch_execz .LBB237_935
; %bb.928:                              ;   in Loop: Header=BB237_808 Depth=1
	v_bfrev_b32_e32 v16, 1
	v_mov_b32_e32 v17, 0
	s_mov_b32 s13, exec_lo
	v_cmpx_ne_u16_e32 0x80, v6
	s_cbranch_execz .LBB237_934
; %bb.929:                              ;   in Loop: Header=BB237_808 Depth=1
	v_mov_b32_e32 v16, 0x7f800001
	v_bfe_u32 v114, v103, 16, 7
	v_mov_b32_e32 v17, 0
	s_mov_b32 s15, exec_lo
	s_delay_alu instid0(VALU_DEP_2)
	v_cmpx_ne_u32_e32 0x7f, v114
	s_cbranch_execz .LBB237_933
; %bb.930:                              ;   in Loop: Header=BB237_808 Depth=1
	v_and_b32_e32 v6, 7, v113
	v_lshrrev_b32_e32 v16, 3, v114
	s_mov_b32 s16, exec_lo
	v_cmpx_gt_u32_e32 8, v114
; %bb.931:                              ;   in Loop: Header=BB237_808 Depth=1
	s_delay_alu instid0(VALU_DEP_3) | instskip(NEXT) | instid1(VALU_DEP_1)
	v_clz_i32_u32_e32 v16, v6
	v_min_u32_e32 v16, 32, v16
	s_delay_alu instid0(VALU_DEP_1) | instskip(SKIP_1) | instid1(VALU_DEP_2)
	v_subrev_nc_u32_e32 v17, 28, v16
	v_sub_nc_u32_e32 v16, 29, v16
	v_lshlrev_b64 v[114:115], v17, v[6:7]
	s_delay_alu instid0(VALU_DEP_1)
	v_and_b32_e32 v6, 7, v114
; %bb.932:                              ;   in Loop: Header=BB237_808 Depth=1
	s_or_b32 exec_lo, exec_lo, s16
	v_lshlrev_b32_e32 v17, 24, v113
	s_delay_alu instid0(VALU_DEP_2) | instskip(SKIP_1) | instid1(VALU_DEP_3)
	v_lshlrev_b32_e32 v6, 20, v6
	v_lshl_add_u32 v16, v16, 23, 0x3c000000
	v_and_b32_e32 v17, 0x80000000, v17
	s_delay_alu instid0(VALU_DEP_1) | instskip(NEXT) | instid1(VALU_DEP_1)
	v_or3_b32 v6, v6, v17, v16
	v_dual_mov_b32 v17, v7 :: v_dual_mov_b32 v16, v6
.LBB237_933:                            ;   in Loop: Header=BB237_808 Depth=1
	s_or_b32 exec_lo, exec_lo, s15
.LBB237_934:                            ;   in Loop: Header=BB237_808 Depth=1
	s_delay_alu instid0(SALU_CYCLE_1)
	s_or_b32 exec_lo, exec_lo, s13
.LBB237_935:                            ;   in Loop: Header=BB237_808 Depth=1
	s_delay_alu instid0(SALU_CYCLE_1) | instskip(NEXT) | instid1(SALU_CYCLE_1)
	s_or_b32 exec_lo, exec_lo, s10
	s_mov_b32 s13, exec_lo
	v_cmpx_lt_u32_e32 0xffffff, v103
	s_cbranch_execz .LBB237_943
; %bb.936:                              ;   in Loop: Header=BB237_808 Depth=1
	v_lshrrev_b32_e32 v113, 24, v103
	v_dual_mov_b32 v19, s9 :: v_dual_mov_b32 v18, s8
	s_mov_b32 s15, exec_lo
	s_delay_alu instid0(VALU_DEP_2)
	v_cmpx_ne_u32_e32 0x80, v113
	s_cbranch_execz .LBB237_942
; %bb.937:                              ;   in Loop: Header=BB237_808 Depth=1
	s_mov_b32 s10, s8
	v_bfe_u32 v103, v103, 24, 7
	v_dual_mov_b32 v19, s11 :: v_dual_mov_b32 v18, s10
	s_mov_b32 s10, exec_lo
	s_delay_alu instid0(VALU_DEP_2)
	v_cmpx_ne_u32_e32 0x7f, v103
	s_cbranch_execz .LBB237_941
; %bb.938:                              ;   in Loop: Header=BB237_808 Depth=1
	v_and_b32_e32 v6, 7, v113
	v_lshrrev_b32_e32 v18, 3, v103
	s_mov_b32 s16, exec_lo
	v_cmpx_gt_u32_e32 8, v103
; %bb.939:                              ;   in Loop: Header=BB237_808 Depth=1
	s_delay_alu instid0(VALU_DEP_3) | instskip(NEXT) | instid1(VALU_DEP_1)
	v_clz_i32_u32_e32 v18, v6
	v_min_u32_e32 v18, 32, v18
	s_delay_alu instid0(VALU_DEP_1) | instskip(SKIP_1) | instid1(VALU_DEP_2)
	v_subrev_nc_u32_e32 v19, 28, v18
	v_sub_nc_u32_e32 v18, 29, v18
	v_lshlrev_b64 v[114:115], v19, v[6:7]
	s_delay_alu instid0(VALU_DEP_1)
	v_and_b32_e32 v6, 7, v114
; %bb.940:                              ;   in Loop: Header=BB237_808 Depth=1
	s_or_b32 exec_lo, exec_lo, s16
	v_lshlrev_b32_e32 v19, 24, v113
	s_delay_alu instid0(VALU_DEP_2) | instskip(SKIP_1) | instid1(VALU_DEP_3)
	v_lshlrev_b32_e32 v6, 20, v6
	v_lshl_add_u32 v18, v18, 23, 0x3c000000
	v_and_b32_e32 v19, 0x80000000, v19
	s_delay_alu instid0(VALU_DEP_1)
	v_or3_b32 v19, v6, v19, v18
	v_mov_b32_e32 v18, v7
.LBB237_941:                            ;   in Loop: Header=BB237_808 Depth=1
	s_or_b32 exec_lo, exec_lo, s10
.LBB237_942:                            ;   in Loop: Header=BB237_808 Depth=1
	s_delay_alu instid0(SALU_CYCLE_1)
	s_or_b32 exec_lo, exec_lo, s15
.LBB237_943:                            ;   in Loop: Header=BB237_808 Depth=1
	s_delay_alu instid0(SALU_CYCLE_1) | instskip(SKIP_4) | instid1(VALU_DEP_4)
	s_or_b32 exec_lo, exec_lo, s13
	v_or_b32_e32 v5, v15, v5
	v_or_b32_e32 v4, v14, v4
	;; [unrolled: 1-line block ×4, first 2 shown]
	v_mul_f32_e32 v115, v70, v5
	s_delay_alu instid0(VALU_DEP_4) | instskip(NEXT) | instid1(VALU_DEP_4)
	v_mul_f32_e32 v114, v70, v4
	v_mul_f32_e32 v103, v70, v6
	s_delay_alu instid0(VALU_DEP_4)
	v_mul_f32_e32 v113, v70, v14
	s_and_saveexec_b32 s10, vcc_lo
; %bb.944:                              ;   in Loop: Header=BB237_808 Depth=1
	v_cmp_lt_i32_e64 s0, v83, v25
	s_delay_alu instid0(VALU_DEP_1) | instskip(SKIP_1) | instid1(VALU_DEP_1)
	v_cndmask_b32_e64 v114, 0, v114, s0
	v_cmp_lt_i32_e64 s0, v86, v25
	v_cndmask_b32_e64 v115, 0, v115, s0
	v_cmp_lt_i32_e64 s0, v85, v25
	s_delay_alu instid0(VALU_DEP_1) | instskip(SKIP_1) | instid1(VALU_DEP_1)
	v_cndmask_b32_e64 v113, 0, v113, s0
	v_cmp_lt_i32_e64 s0, v84, v25
	v_cndmask_b32_e64 v103, 0, v103, s0
; %bb.945:                              ;   in Loop: Header=BB237_808 Depth=1
	s_or_b32 exec_lo, exec_lo, s10
	flat_load_b32 v116, v[12:13] offset:512
	v_mov_b32_e32 v14, 0
	v_mov_b32_e32 v15, 0
	s_mov_b32 s10, exec_lo
	s_waitcnt vmcnt(0) lgkmcnt(0)
	v_and_b32_e32 v6, 0xff, v116
	s_delay_alu instid0(VALU_DEP_2) | instskip(NEXT) | instid1(VALU_DEP_2)
	v_dual_mov_b32 v4, v14 :: v_dual_mov_b32 v5, v15
	v_cmpx_ne_u16_e32 0, v6
	s_cbranch_execz .LBB237_953
; %bb.946:                              ;   in Loop: Header=BB237_808 Depth=1
	v_bfrev_b32_e32 v4, 1
	v_mov_b32_e32 v5, 0
	s_mov_b32 s13, exec_lo
	v_cmpx_ne_u16_e32 0x80, v6
	s_cbranch_execz .LBB237_952
; %bb.947:                              ;   in Loop: Header=BB237_808 Depth=1
	v_mov_b32_e32 v4, 0x7f800001
	v_dual_mov_b32 v5, 0 :: v_dual_and_b32 v16, 0x7f, v116
	s_mov_b32 s15, exec_lo
	s_delay_alu instid0(VALU_DEP_1)
	v_cmpx_ne_u32_e32 0x7f, v16
	s_cbranch_execz .LBB237_951
; %bb.948:                              ;   in Loop: Header=BB237_808 Depth=1
	v_and_b32_e32 v6, 7, v116
	v_lshrrev_b32_e32 v4, 3, v16
	s_mov_b32 s16, exec_lo
	v_cmpx_gt_u32_e32 8, v16
; %bb.949:                              ;   in Loop: Header=BB237_808 Depth=1
	s_delay_alu instid0(VALU_DEP_3) | instskip(NEXT) | instid1(VALU_DEP_1)
	v_clz_i32_u32_e32 v4, v6
	v_min_u32_e32 v4, 32, v4
	s_delay_alu instid0(VALU_DEP_1) | instskip(SKIP_1) | instid1(VALU_DEP_2)
	v_subrev_nc_u32_e32 v5, 28, v4
	v_sub_nc_u32_e32 v4, 29, v4
	v_lshlrev_b64 v[5:6], v5, v[6:7]
	s_delay_alu instid0(VALU_DEP_1)
	v_and_b32_e32 v6, 7, v5
; %bb.950:                              ;   in Loop: Header=BB237_808 Depth=1
	s_or_b32 exec_lo, exec_lo, s16
	v_lshlrev_b32_e32 v5, 24, v116
	s_delay_alu instid0(VALU_DEP_2) | instskip(SKIP_1) | instid1(VALU_DEP_3)
	v_lshlrev_b32_e32 v6, 20, v6
	v_lshl_add_u32 v4, v4, 23, 0x3c000000
	v_and_b32_e32 v5, 0x80000000, v5
	s_delay_alu instid0(VALU_DEP_1) | instskip(NEXT) | instid1(VALU_DEP_1)
	v_or3_b32 v6, v6, v5, v4
	v_dual_mov_b32 v4, v6 :: v_dual_mov_b32 v5, v7
.LBB237_951:                            ;   in Loop: Header=BB237_808 Depth=1
	s_or_b32 exec_lo, exec_lo, s15
.LBB237_952:                            ;   in Loop: Header=BB237_808 Depth=1
	s_delay_alu instid0(SALU_CYCLE_1)
	s_or_b32 exec_lo, exec_lo, s13
.LBB237_953:                            ;   in Loop: Header=BB237_808 Depth=1
	s_delay_alu instid0(SALU_CYCLE_1) | instskip(SKIP_2) | instid1(VALU_DEP_1)
	s_or_b32 exec_lo, exec_lo, s10
	v_lshrrev_b16 v6, 8, v116
	s_mov_b32 s13, exec_lo
	v_cmpx_ne_u16_e32 0, v6
	s_cbranch_execz .LBB237_961
; %bb.954:                              ;   in Loop: Header=BB237_808 Depth=1
	v_dual_mov_b32 v15, s9 :: v_dual_mov_b32 v14, s8
	s_mov_b32 s15, exec_lo
	v_cmpx_ne_u16_e32 0x80, v6
	s_cbranch_execz .LBB237_960
; %bb.955:                              ;   in Loop: Header=BB237_808 Depth=1
	s_mov_b32 s10, s8
	v_dual_mov_b32 v15, s11 :: v_dual_and_b32 v6, 0xffff, v6
	v_mov_b32_e32 v14, s10
	s_mov_b32 s10, exec_lo
	s_delay_alu instid0(VALU_DEP_2) | instskip(NEXT) | instid1(VALU_DEP_1)
	v_and_b32_e32 v16, 0x7f, v6
	v_cmpx_ne_u32_e32 0x7f, v16
	s_cbranch_execz .LBB237_959
; %bb.956:                              ;   in Loop: Header=BB237_808 Depth=1
	v_and_b32_e32 v6, 7, v6
	v_lshrrev_b32_e32 v14, 3, v16
	s_mov_b32 s16, exec_lo
	v_cmpx_gt_u32_e32 8, v16
; %bb.957:                              ;   in Loop: Header=BB237_808 Depth=1
	s_delay_alu instid0(VALU_DEP_3) | instskip(NEXT) | instid1(VALU_DEP_1)
	v_clz_i32_u32_e32 v14, v6
	v_min_u32_e32 v14, 32, v14
	s_delay_alu instid0(VALU_DEP_1) | instskip(SKIP_1) | instid1(VALU_DEP_2)
	v_subrev_nc_u32_e32 v15, 28, v14
	v_sub_nc_u32_e32 v14, 29, v14
	v_lshlrev_b64 v[15:16], v15, v[6:7]
	s_delay_alu instid0(VALU_DEP_1)
	v_and_b32_e32 v6, 7, v15
; %bb.958:                              ;   in Loop: Header=BB237_808 Depth=1
	s_or_b32 exec_lo, exec_lo, s16
	v_lshlrev_b32_e32 v15, 16, v116
	s_delay_alu instid0(VALU_DEP_2) | instskip(SKIP_1) | instid1(VALU_DEP_3)
	v_lshlrev_b32_e32 v6, 20, v6
	v_lshl_add_u32 v14, v14, 23, 0x3c000000
	v_and_b32_e32 v15, 0x80000000, v15
	s_delay_alu instid0(VALU_DEP_1)
	v_or3_b32 v15, v6, v15, v14
	v_mov_b32_e32 v14, v7
.LBB237_959:                            ;   in Loop: Header=BB237_808 Depth=1
	s_or_b32 exec_lo, exec_lo, s10
.LBB237_960:                            ;   in Loop: Header=BB237_808 Depth=1
	s_delay_alu instid0(SALU_CYCLE_1)
	s_or_b32 exec_lo, exec_lo, s15
.LBB237_961:                            ;   in Loop: Header=BB237_808 Depth=1
	s_delay_alu instid0(SALU_CYCLE_1) | instskip(SKIP_4) | instid1(VALU_DEP_2)
	s_or_b32 exec_lo, exec_lo, s13
	v_mov_b32_e32 v18, 0
	v_lshrrev_b32_e32 v117, 16, v116
	v_mov_b32_e32 v19, 0
	s_mov_b32 s10, exec_lo
	v_and_b32_e32 v6, 0xff, v117
	s_delay_alu instid0(VALU_DEP_2) | instskip(NEXT) | instid1(VALU_DEP_2)
	v_dual_mov_b32 v16, v18 :: v_dual_mov_b32 v17, v19
	v_cmpx_ne_u16_e32 0, v6
	s_cbranch_execz .LBB237_969
; %bb.962:                              ;   in Loop: Header=BB237_808 Depth=1
	v_bfrev_b32_e32 v16, 1
	v_mov_b32_e32 v17, 0
	s_mov_b32 s13, exec_lo
	v_cmpx_ne_u16_e32 0x80, v6
	s_cbranch_execz .LBB237_968
; %bb.963:                              ;   in Loop: Header=BB237_808 Depth=1
	v_mov_b32_e32 v16, 0x7f800001
	v_bfe_u32 v118, v116, 16, 7
	v_mov_b32_e32 v17, 0
	s_mov_b32 s15, exec_lo
	s_delay_alu instid0(VALU_DEP_2)
	v_cmpx_ne_u32_e32 0x7f, v118
	s_cbranch_execz .LBB237_967
; %bb.964:                              ;   in Loop: Header=BB237_808 Depth=1
	v_and_b32_e32 v6, 7, v117
	v_lshrrev_b32_e32 v16, 3, v118
	s_mov_b32 s16, exec_lo
	v_cmpx_gt_u32_e32 8, v118
; %bb.965:                              ;   in Loop: Header=BB237_808 Depth=1
	s_delay_alu instid0(VALU_DEP_3) | instskip(NEXT) | instid1(VALU_DEP_1)
	v_clz_i32_u32_e32 v16, v6
	v_min_u32_e32 v16, 32, v16
	s_delay_alu instid0(VALU_DEP_1) | instskip(SKIP_1) | instid1(VALU_DEP_2)
	v_subrev_nc_u32_e32 v17, 28, v16
	v_sub_nc_u32_e32 v16, 29, v16
	v_lshlrev_b64 v[118:119], v17, v[6:7]
	s_delay_alu instid0(VALU_DEP_1)
	v_and_b32_e32 v6, 7, v118
; %bb.966:                              ;   in Loop: Header=BB237_808 Depth=1
	s_or_b32 exec_lo, exec_lo, s16
	v_lshlrev_b32_e32 v17, 24, v117
	s_delay_alu instid0(VALU_DEP_2) | instskip(SKIP_1) | instid1(VALU_DEP_3)
	v_lshlrev_b32_e32 v6, 20, v6
	v_lshl_add_u32 v16, v16, 23, 0x3c000000
	v_and_b32_e32 v17, 0x80000000, v17
	s_delay_alu instid0(VALU_DEP_1) | instskip(NEXT) | instid1(VALU_DEP_1)
	v_or3_b32 v6, v6, v17, v16
	v_dual_mov_b32 v17, v7 :: v_dual_mov_b32 v16, v6
.LBB237_967:                            ;   in Loop: Header=BB237_808 Depth=1
	s_or_b32 exec_lo, exec_lo, s15
.LBB237_968:                            ;   in Loop: Header=BB237_808 Depth=1
	s_delay_alu instid0(SALU_CYCLE_1)
	s_or_b32 exec_lo, exec_lo, s13
.LBB237_969:                            ;   in Loop: Header=BB237_808 Depth=1
	s_delay_alu instid0(SALU_CYCLE_1) | instskip(NEXT) | instid1(SALU_CYCLE_1)
	s_or_b32 exec_lo, exec_lo, s10
	s_mov_b32 s13, exec_lo
	v_cmpx_lt_u32_e32 0xffffff, v116
	s_cbranch_execz .LBB237_977
; %bb.970:                              ;   in Loop: Header=BB237_808 Depth=1
	v_lshrrev_b32_e32 v117, 24, v116
	v_dual_mov_b32 v19, s9 :: v_dual_mov_b32 v18, s8
	s_mov_b32 s15, exec_lo
	s_delay_alu instid0(VALU_DEP_2)
	v_cmpx_ne_u32_e32 0x80, v117
	s_cbranch_execz .LBB237_976
; %bb.971:                              ;   in Loop: Header=BB237_808 Depth=1
	s_mov_b32 s10, s8
	v_bfe_u32 v116, v116, 24, 7
	v_dual_mov_b32 v19, s11 :: v_dual_mov_b32 v18, s10
	s_mov_b32 s10, exec_lo
	s_delay_alu instid0(VALU_DEP_2)
	v_cmpx_ne_u32_e32 0x7f, v116
	s_cbranch_execz .LBB237_975
; %bb.972:                              ;   in Loop: Header=BB237_808 Depth=1
	v_and_b32_e32 v6, 7, v117
	v_lshrrev_b32_e32 v18, 3, v116
	s_mov_b32 s16, exec_lo
	v_cmpx_gt_u32_e32 8, v116
; %bb.973:                              ;   in Loop: Header=BB237_808 Depth=1
	s_delay_alu instid0(VALU_DEP_3) | instskip(NEXT) | instid1(VALU_DEP_1)
	v_clz_i32_u32_e32 v18, v6
	v_min_u32_e32 v18, 32, v18
	s_delay_alu instid0(VALU_DEP_1) | instskip(SKIP_1) | instid1(VALU_DEP_2)
	v_subrev_nc_u32_e32 v19, 28, v18
	v_sub_nc_u32_e32 v18, 29, v18
	v_lshlrev_b64 v[118:119], v19, v[6:7]
	s_delay_alu instid0(VALU_DEP_1)
	v_and_b32_e32 v6, 7, v118
; %bb.974:                              ;   in Loop: Header=BB237_808 Depth=1
	s_or_b32 exec_lo, exec_lo, s16
	v_lshlrev_b32_e32 v19, 24, v117
	s_delay_alu instid0(VALU_DEP_2) | instskip(SKIP_1) | instid1(VALU_DEP_3)
	v_lshlrev_b32_e32 v6, 20, v6
	v_lshl_add_u32 v18, v18, 23, 0x3c000000
	v_and_b32_e32 v19, 0x80000000, v19
	s_delay_alu instid0(VALU_DEP_1)
	v_or3_b32 v19, v6, v19, v18
	v_mov_b32_e32 v18, v7
.LBB237_975:                            ;   in Loop: Header=BB237_808 Depth=1
	s_or_b32 exec_lo, exec_lo, s10
.LBB237_976:                            ;   in Loop: Header=BB237_808 Depth=1
	s_delay_alu instid0(SALU_CYCLE_1)
	s_or_b32 exec_lo, exec_lo, s15
.LBB237_977:                            ;   in Loop: Header=BB237_808 Depth=1
	s_delay_alu instid0(SALU_CYCLE_1) | instskip(SKIP_4) | instid1(VALU_DEP_4)
	s_or_b32 exec_lo, exec_lo, s13
	v_or_b32_e32 v5, v15, v5
	v_or_b32_e32 v4, v14, v4
	;; [unrolled: 1-line block ×4, first 2 shown]
	v_mul_f32_e32 v119, v70, v5
	s_delay_alu instid0(VALU_DEP_4) | instskip(NEXT) | instid1(VALU_DEP_4)
	v_mul_f32_e32 v118, v70, v4
	v_mul_f32_e32 v116, v70, v6
	s_delay_alu instid0(VALU_DEP_4)
	v_mul_f32_e32 v117, v70, v14
	s_and_saveexec_b32 s10, vcc_lo
; %bb.978:                              ;   in Loop: Header=BB237_808 Depth=1
	v_cmp_lt_i32_e64 s0, v83, v25
	s_delay_alu instid0(VALU_DEP_1) | instskip(SKIP_1) | instid1(VALU_DEP_1)
	v_cndmask_b32_e64 v118, 0, v118, s0
	v_cmp_lt_i32_e64 s0, v86, v25
	v_cndmask_b32_e64 v119, 0, v119, s0
	v_cmp_lt_i32_e64 s0, v85, v25
	s_delay_alu instid0(VALU_DEP_1) | instskip(SKIP_1) | instid1(VALU_DEP_1)
	v_cndmask_b32_e64 v117, 0, v117, s0
	v_cmp_lt_i32_e64 s0, v84, v25
	v_cndmask_b32_e64 v116, 0, v116, s0
; %bb.979:                              ;   in Loop: Header=BB237_808 Depth=1
	s_or_b32 exec_lo, exec_lo, s10
	flat_load_b32 v128, v[12:13] offset:640
	v_mov_b32_e32 v14, 0
	v_mov_b32_e32 v15, 0
	s_mov_b32 s10, exec_lo
	s_waitcnt vmcnt(0) lgkmcnt(0)
	v_and_b32_e32 v6, 0xff, v128
	s_delay_alu instid0(VALU_DEP_2) | instskip(NEXT) | instid1(VALU_DEP_2)
	v_dual_mov_b32 v4, v14 :: v_dual_mov_b32 v5, v15
	v_cmpx_ne_u16_e32 0, v6
	s_cbranch_execz .LBB237_987
; %bb.980:                              ;   in Loop: Header=BB237_808 Depth=1
	v_bfrev_b32_e32 v4, 1
	v_mov_b32_e32 v5, 0
	s_mov_b32 s13, exec_lo
	v_cmpx_ne_u16_e32 0x80, v6
	s_cbranch_execz .LBB237_986
; %bb.981:                              ;   in Loop: Header=BB237_808 Depth=1
	v_mov_b32_e32 v4, 0x7f800001
	v_dual_mov_b32 v5, 0 :: v_dual_and_b32 v16, 0x7f, v128
	s_mov_b32 s15, exec_lo
	s_delay_alu instid0(VALU_DEP_1)
	v_cmpx_ne_u32_e32 0x7f, v16
	s_cbranch_execz .LBB237_985
; %bb.982:                              ;   in Loop: Header=BB237_808 Depth=1
	v_and_b32_e32 v6, 7, v128
	v_lshrrev_b32_e32 v4, 3, v16
	s_mov_b32 s16, exec_lo
	v_cmpx_gt_u32_e32 8, v16
; %bb.983:                              ;   in Loop: Header=BB237_808 Depth=1
	s_delay_alu instid0(VALU_DEP_3) | instskip(NEXT) | instid1(VALU_DEP_1)
	v_clz_i32_u32_e32 v4, v6
	v_min_u32_e32 v4, 32, v4
	s_delay_alu instid0(VALU_DEP_1) | instskip(SKIP_1) | instid1(VALU_DEP_2)
	v_subrev_nc_u32_e32 v5, 28, v4
	v_sub_nc_u32_e32 v4, 29, v4
	v_lshlrev_b64 v[5:6], v5, v[6:7]
	s_delay_alu instid0(VALU_DEP_1)
	v_and_b32_e32 v6, 7, v5
; %bb.984:                              ;   in Loop: Header=BB237_808 Depth=1
	s_or_b32 exec_lo, exec_lo, s16
	v_lshlrev_b32_e32 v5, 24, v128
	s_delay_alu instid0(VALU_DEP_2) | instskip(SKIP_1) | instid1(VALU_DEP_3)
	v_lshlrev_b32_e32 v6, 20, v6
	v_lshl_add_u32 v4, v4, 23, 0x3c000000
	v_and_b32_e32 v5, 0x80000000, v5
	s_delay_alu instid0(VALU_DEP_1) | instskip(NEXT) | instid1(VALU_DEP_1)
	v_or3_b32 v6, v6, v5, v4
	v_dual_mov_b32 v4, v6 :: v_dual_mov_b32 v5, v7
.LBB237_985:                            ;   in Loop: Header=BB237_808 Depth=1
	s_or_b32 exec_lo, exec_lo, s15
.LBB237_986:                            ;   in Loop: Header=BB237_808 Depth=1
	s_delay_alu instid0(SALU_CYCLE_1)
	s_or_b32 exec_lo, exec_lo, s13
.LBB237_987:                            ;   in Loop: Header=BB237_808 Depth=1
	s_delay_alu instid0(SALU_CYCLE_1) | instskip(SKIP_2) | instid1(VALU_DEP_1)
	s_or_b32 exec_lo, exec_lo, s10
	v_lshrrev_b16 v6, 8, v128
	s_mov_b32 s13, exec_lo
	v_cmpx_ne_u16_e32 0, v6
	s_cbranch_execz .LBB237_995
; %bb.988:                              ;   in Loop: Header=BB237_808 Depth=1
	v_dual_mov_b32 v15, s9 :: v_dual_mov_b32 v14, s8
	s_mov_b32 s15, exec_lo
	v_cmpx_ne_u16_e32 0x80, v6
	s_cbranch_execz .LBB237_994
; %bb.989:                              ;   in Loop: Header=BB237_808 Depth=1
	s_mov_b32 s10, s8
	v_dual_mov_b32 v15, s11 :: v_dual_and_b32 v6, 0xffff, v6
	v_mov_b32_e32 v14, s10
	s_mov_b32 s10, exec_lo
	s_delay_alu instid0(VALU_DEP_2) | instskip(NEXT) | instid1(VALU_DEP_1)
	v_and_b32_e32 v16, 0x7f, v6
	v_cmpx_ne_u32_e32 0x7f, v16
	s_cbranch_execz .LBB237_993
; %bb.990:                              ;   in Loop: Header=BB237_808 Depth=1
	v_and_b32_e32 v6, 7, v6
	v_lshrrev_b32_e32 v14, 3, v16
	s_mov_b32 s16, exec_lo
	v_cmpx_gt_u32_e32 8, v16
; %bb.991:                              ;   in Loop: Header=BB237_808 Depth=1
	s_delay_alu instid0(VALU_DEP_3) | instskip(NEXT) | instid1(VALU_DEP_1)
	v_clz_i32_u32_e32 v14, v6
	v_min_u32_e32 v14, 32, v14
	s_delay_alu instid0(VALU_DEP_1) | instskip(SKIP_1) | instid1(VALU_DEP_2)
	v_subrev_nc_u32_e32 v15, 28, v14
	v_sub_nc_u32_e32 v14, 29, v14
	v_lshlrev_b64 v[15:16], v15, v[6:7]
	s_delay_alu instid0(VALU_DEP_1)
	v_and_b32_e32 v6, 7, v15
; %bb.992:                              ;   in Loop: Header=BB237_808 Depth=1
	s_or_b32 exec_lo, exec_lo, s16
	v_lshlrev_b32_e32 v15, 16, v128
	s_delay_alu instid0(VALU_DEP_2) | instskip(SKIP_1) | instid1(VALU_DEP_3)
	v_lshlrev_b32_e32 v6, 20, v6
	v_lshl_add_u32 v14, v14, 23, 0x3c000000
	v_and_b32_e32 v15, 0x80000000, v15
	s_delay_alu instid0(VALU_DEP_1)
	v_or3_b32 v15, v6, v15, v14
	v_mov_b32_e32 v14, v7
.LBB237_993:                            ;   in Loop: Header=BB237_808 Depth=1
	s_or_b32 exec_lo, exec_lo, s10
.LBB237_994:                            ;   in Loop: Header=BB237_808 Depth=1
	s_delay_alu instid0(SALU_CYCLE_1)
	s_or_b32 exec_lo, exec_lo, s15
.LBB237_995:                            ;   in Loop: Header=BB237_808 Depth=1
	s_delay_alu instid0(SALU_CYCLE_1) | instskip(SKIP_4) | instid1(VALU_DEP_2)
	s_or_b32 exec_lo, exec_lo, s13
	v_mov_b32_e32 v18, 0
	v_lshrrev_b32_e32 v129, 16, v128
	v_mov_b32_e32 v19, 0
	s_mov_b32 s10, exec_lo
	v_and_b32_e32 v6, 0xff, v129
	s_delay_alu instid0(VALU_DEP_2) | instskip(NEXT) | instid1(VALU_DEP_2)
	v_dual_mov_b32 v16, v18 :: v_dual_mov_b32 v17, v19
	v_cmpx_ne_u16_e32 0, v6
	s_cbranch_execz .LBB237_1003
; %bb.996:                              ;   in Loop: Header=BB237_808 Depth=1
	v_bfrev_b32_e32 v16, 1
	v_mov_b32_e32 v17, 0
	s_mov_b32 s13, exec_lo
	v_cmpx_ne_u16_e32 0x80, v6
	s_cbranch_execz .LBB237_1002
; %bb.997:                              ;   in Loop: Header=BB237_808 Depth=1
	v_mov_b32_e32 v16, 0x7f800001
	v_bfe_u32 v130, v128, 16, 7
	v_mov_b32_e32 v17, 0
	s_mov_b32 s15, exec_lo
	s_delay_alu instid0(VALU_DEP_2)
	v_cmpx_ne_u32_e32 0x7f, v130
	s_cbranch_execz .LBB237_1001
; %bb.998:                              ;   in Loop: Header=BB237_808 Depth=1
	v_and_b32_e32 v6, 7, v129
	v_lshrrev_b32_e32 v16, 3, v130
	s_mov_b32 s16, exec_lo
	v_cmpx_gt_u32_e32 8, v130
; %bb.999:                              ;   in Loop: Header=BB237_808 Depth=1
	s_delay_alu instid0(VALU_DEP_3) | instskip(NEXT) | instid1(VALU_DEP_1)
	v_clz_i32_u32_e32 v16, v6
	v_min_u32_e32 v16, 32, v16
	s_delay_alu instid0(VALU_DEP_1) | instskip(SKIP_1) | instid1(VALU_DEP_2)
	v_subrev_nc_u32_e32 v17, 28, v16
	v_sub_nc_u32_e32 v16, 29, v16
	v_lshlrev_b64 v[130:131], v17, v[6:7]
	s_delay_alu instid0(VALU_DEP_1)
	v_and_b32_e32 v6, 7, v130
; %bb.1000:                             ;   in Loop: Header=BB237_808 Depth=1
	s_or_b32 exec_lo, exec_lo, s16
	v_lshlrev_b32_e32 v17, 24, v129
	s_delay_alu instid0(VALU_DEP_2) | instskip(SKIP_1) | instid1(VALU_DEP_3)
	v_lshlrev_b32_e32 v6, 20, v6
	v_lshl_add_u32 v16, v16, 23, 0x3c000000
	v_and_b32_e32 v17, 0x80000000, v17
	s_delay_alu instid0(VALU_DEP_1) | instskip(NEXT) | instid1(VALU_DEP_1)
	v_or3_b32 v6, v6, v17, v16
	v_dual_mov_b32 v17, v7 :: v_dual_mov_b32 v16, v6
.LBB237_1001:                           ;   in Loop: Header=BB237_808 Depth=1
	s_or_b32 exec_lo, exec_lo, s15
.LBB237_1002:                           ;   in Loop: Header=BB237_808 Depth=1
	s_delay_alu instid0(SALU_CYCLE_1)
	s_or_b32 exec_lo, exec_lo, s13
.LBB237_1003:                           ;   in Loop: Header=BB237_808 Depth=1
	s_delay_alu instid0(SALU_CYCLE_1) | instskip(NEXT) | instid1(SALU_CYCLE_1)
	s_or_b32 exec_lo, exec_lo, s10
	s_mov_b32 s13, exec_lo
	v_cmpx_lt_u32_e32 0xffffff, v128
	s_cbranch_execz .LBB237_1011
; %bb.1004:                             ;   in Loop: Header=BB237_808 Depth=1
	v_lshrrev_b32_e32 v129, 24, v128
	v_dual_mov_b32 v19, s9 :: v_dual_mov_b32 v18, s8
	s_mov_b32 s15, exec_lo
	s_delay_alu instid0(VALU_DEP_2)
	v_cmpx_ne_u32_e32 0x80, v129
	s_cbranch_execz .LBB237_1010
; %bb.1005:                             ;   in Loop: Header=BB237_808 Depth=1
	s_mov_b32 s10, s8
	v_bfe_u32 v128, v128, 24, 7
	v_dual_mov_b32 v19, s11 :: v_dual_mov_b32 v18, s10
	s_mov_b32 s10, exec_lo
	s_delay_alu instid0(VALU_DEP_2)
	v_cmpx_ne_u32_e32 0x7f, v128
	s_cbranch_execz .LBB237_1009
; %bb.1006:                             ;   in Loop: Header=BB237_808 Depth=1
	v_and_b32_e32 v6, 7, v129
	v_lshrrev_b32_e32 v18, 3, v128
	s_mov_b32 s16, exec_lo
	v_cmpx_gt_u32_e32 8, v128
; %bb.1007:                             ;   in Loop: Header=BB237_808 Depth=1
	s_delay_alu instid0(VALU_DEP_3) | instskip(NEXT) | instid1(VALU_DEP_1)
	v_clz_i32_u32_e32 v18, v6
	v_min_u32_e32 v18, 32, v18
	s_delay_alu instid0(VALU_DEP_1) | instskip(SKIP_1) | instid1(VALU_DEP_2)
	v_subrev_nc_u32_e32 v19, 28, v18
	v_sub_nc_u32_e32 v18, 29, v18
	v_lshlrev_b64 v[130:131], v19, v[6:7]
	s_delay_alu instid0(VALU_DEP_1)
	v_and_b32_e32 v6, 7, v130
; %bb.1008:                             ;   in Loop: Header=BB237_808 Depth=1
	s_or_b32 exec_lo, exec_lo, s16
	v_lshlrev_b32_e32 v19, 24, v129
	s_delay_alu instid0(VALU_DEP_2) | instskip(SKIP_1) | instid1(VALU_DEP_3)
	v_lshlrev_b32_e32 v6, 20, v6
	v_lshl_add_u32 v18, v18, 23, 0x3c000000
	v_and_b32_e32 v19, 0x80000000, v19
	s_delay_alu instid0(VALU_DEP_1)
	v_or3_b32 v19, v6, v19, v18
	v_mov_b32_e32 v18, v7
.LBB237_1009:                           ;   in Loop: Header=BB237_808 Depth=1
	s_or_b32 exec_lo, exec_lo, s10
.LBB237_1010:                           ;   in Loop: Header=BB237_808 Depth=1
	s_delay_alu instid0(SALU_CYCLE_1)
	s_or_b32 exec_lo, exec_lo, s15
.LBB237_1011:                           ;   in Loop: Header=BB237_808 Depth=1
	s_delay_alu instid0(SALU_CYCLE_1) | instskip(SKIP_4) | instid1(VALU_DEP_4)
	s_or_b32 exec_lo, exec_lo, s13
	v_or_b32_e32 v5, v15, v5
	v_or_b32_e32 v4, v14, v4
	;; [unrolled: 1-line block ×4, first 2 shown]
	v_mul_f32_e32 v131, v70, v5
	s_delay_alu instid0(VALU_DEP_4) | instskip(NEXT) | instid1(VALU_DEP_4)
	v_mul_f32_e32 v130, v70, v4
	v_mul_f32_e32 v128, v70, v6
	s_delay_alu instid0(VALU_DEP_4)
	v_mul_f32_e32 v129, v70, v14
	s_and_saveexec_b32 s10, vcc_lo
; %bb.1012:                             ;   in Loop: Header=BB237_808 Depth=1
	v_cmp_lt_i32_e64 s0, v83, v25
	s_delay_alu instid0(VALU_DEP_1) | instskip(SKIP_1) | instid1(VALU_DEP_1)
	v_cndmask_b32_e64 v130, 0, v130, s0
	v_cmp_lt_i32_e64 s0, v86, v25
	v_cndmask_b32_e64 v131, 0, v131, s0
	v_cmp_lt_i32_e64 s0, v85, v25
	s_delay_alu instid0(VALU_DEP_1) | instskip(SKIP_1) | instid1(VALU_DEP_1)
	v_cndmask_b32_e64 v129, 0, v129, s0
	v_cmp_lt_i32_e64 s0, v84, v25
	v_cndmask_b32_e64 v128, 0, v128, s0
; %bb.1013:                             ;   in Loop: Header=BB237_808 Depth=1
	s_or_b32 exec_lo, exec_lo, s10
	flat_load_b32 v132, v[12:13] offset:768
	v_mov_b32_e32 v14, 0
	v_mov_b32_e32 v15, 0
	s_mov_b32 s10, exec_lo
	s_waitcnt vmcnt(0) lgkmcnt(0)
	v_and_b32_e32 v6, 0xff, v132
	s_delay_alu instid0(VALU_DEP_2) | instskip(NEXT) | instid1(VALU_DEP_2)
	v_dual_mov_b32 v4, v14 :: v_dual_mov_b32 v5, v15
	v_cmpx_ne_u16_e32 0, v6
	s_cbranch_execz .LBB237_1021
; %bb.1014:                             ;   in Loop: Header=BB237_808 Depth=1
	v_bfrev_b32_e32 v4, 1
	v_mov_b32_e32 v5, 0
	s_mov_b32 s13, exec_lo
	v_cmpx_ne_u16_e32 0x80, v6
	s_cbranch_execz .LBB237_1020
; %bb.1015:                             ;   in Loop: Header=BB237_808 Depth=1
	v_mov_b32_e32 v4, 0x7f800001
	v_dual_mov_b32 v5, 0 :: v_dual_and_b32 v16, 0x7f, v132
	s_mov_b32 s15, exec_lo
	s_delay_alu instid0(VALU_DEP_1)
	v_cmpx_ne_u32_e32 0x7f, v16
	s_cbranch_execz .LBB237_1019
; %bb.1016:                             ;   in Loop: Header=BB237_808 Depth=1
	v_and_b32_e32 v6, 7, v132
	v_lshrrev_b32_e32 v4, 3, v16
	s_mov_b32 s16, exec_lo
	v_cmpx_gt_u32_e32 8, v16
; %bb.1017:                             ;   in Loop: Header=BB237_808 Depth=1
	s_delay_alu instid0(VALU_DEP_3) | instskip(NEXT) | instid1(VALU_DEP_1)
	v_clz_i32_u32_e32 v4, v6
	v_min_u32_e32 v4, 32, v4
	s_delay_alu instid0(VALU_DEP_1) | instskip(SKIP_1) | instid1(VALU_DEP_2)
	v_subrev_nc_u32_e32 v5, 28, v4
	v_sub_nc_u32_e32 v4, 29, v4
	v_lshlrev_b64 v[5:6], v5, v[6:7]
	s_delay_alu instid0(VALU_DEP_1)
	v_and_b32_e32 v6, 7, v5
; %bb.1018:                             ;   in Loop: Header=BB237_808 Depth=1
	s_or_b32 exec_lo, exec_lo, s16
	v_lshlrev_b32_e32 v5, 24, v132
	s_delay_alu instid0(VALU_DEP_2) | instskip(SKIP_1) | instid1(VALU_DEP_3)
	v_lshlrev_b32_e32 v6, 20, v6
	v_lshl_add_u32 v4, v4, 23, 0x3c000000
	v_and_b32_e32 v5, 0x80000000, v5
	s_delay_alu instid0(VALU_DEP_1) | instskip(NEXT) | instid1(VALU_DEP_1)
	v_or3_b32 v6, v6, v5, v4
	v_dual_mov_b32 v4, v6 :: v_dual_mov_b32 v5, v7
.LBB237_1019:                           ;   in Loop: Header=BB237_808 Depth=1
	s_or_b32 exec_lo, exec_lo, s15
.LBB237_1020:                           ;   in Loop: Header=BB237_808 Depth=1
	s_delay_alu instid0(SALU_CYCLE_1)
	s_or_b32 exec_lo, exec_lo, s13
.LBB237_1021:                           ;   in Loop: Header=BB237_808 Depth=1
	s_delay_alu instid0(SALU_CYCLE_1) | instskip(SKIP_2) | instid1(VALU_DEP_1)
	s_or_b32 exec_lo, exec_lo, s10
	v_lshrrev_b16 v6, 8, v132
	s_mov_b32 s13, exec_lo
	v_cmpx_ne_u16_e32 0, v6
	s_cbranch_execz .LBB237_1029
; %bb.1022:                             ;   in Loop: Header=BB237_808 Depth=1
	v_dual_mov_b32 v15, s9 :: v_dual_mov_b32 v14, s8
	s_mov_b32 s15, exec_lo
	v_cmpx_ne_u16_e32 0x80, v6
	s_cbranch_execz .LBB237_1028
; %bb.1023:                             ;   in Loop: Header=BB237_808 Depth=1
	s_mov_b32 s10, s8
	v_dual_mov_b32 v15, s11 :: v_dual_and_b32 v6, 0xffff, v6
	v_mov_b32_e32 v14, s10
	s_mov_b32 s10, exec_lo
	s_delay_alu instid0(VALU_DEP_2) | instskip(NEXT) | instid1(VALU_DEP_1)
	v_and_b32_e32 v16, 0x7f, v6
	v_cmpx_ne_u32_e32 0x7f, v16
	s_cbranch_execz .LBB237_1027
; %bb.1024:                             ;   in Loop: Header=BB237_808 Depth=1
	v_and_b32_e32 v6, 7, v6
	v_lshrrev_b32_e32 v14, 3, v16
	s_mov_b32 s16, exec_lo
	v_cmpx_gt_u32_e32 8, v16
; %bb.1025:                             ;   in Loop: Header=BB237_808 Depth=1
	s_delay_alu instid0(VALU_DEP_3) | instskip(NEXT) | instid1(VALU_DEP_1)
	v_clz_i32_u32_e32 v14, v6
	v_min_u32_e32 v14, 32, v14
	s_delay_alu instid0(VALU_DEP_1) | instskip(SKIP_1) | instid1(VALU_DEP_2)
	v_subrev_nc_u32_e32 v15, 28, v14
	v_sub_nc_u32_e32 v14, 29, v14
	v_lshlrev_b64 v[15:16], v15, v[6:7]
	s_delay_alu instid0(VALU_DEP_1)
	v_and_b32_e32 v6, 7, v15
; %bb.1026:                             ;   in Loop: Header=BB237_808 Depth=1
	s_or_b32 exec_lo, exec_lo, s16
	v_lshlrev_b32_e32 v15, 16, v132
	s_delay_alu instid0(VALU_DEP_2) | instskip(SKIP_1) | instid1(VALU_DEP_3)
	v_lshlrev_b32_e32 v6, 20, v6
	v_lshl_add_u32 v14, v14, 23, 0x3c000000
	v_and_b32_e32 v15, 0x80000000, v15
	s_delay_alu instid0(VALU_DEP_1)
	v_or3_b32 v15, v6, v15, v14
	v_mov_b32_e32 v14, v7
.LBB237_1027:                           ;   in Loop: Header=BB237_808 Depth=1
	s_or_b32 exec_lo, exec_lo, s10
.LBB237_1028:                           ;   in Loop: Header=BB237_808 Depth=1
	s_delay_alu instid0(SALU_CYCLE_1)
	s_or_b32 exec_lo, exec_lo, s15
.LBB237_1029:                           ;   in Loop: Header=BB237_808 Depth=1
	s_delay_alu instid0(SALU_CYCLE_1) | instskip(SKIP_4) | instid1(VALU_DEP_2)
	s_or_b32 exec_lo, exec_lo, s13
	v_mov_b32_e32 v18, 0
	v_lshrrev_b32_e32 v133, 16, v132
	v_mov_b32_e32 v19, 0
	s_mov_b32 s10, exec_lo
	v_and_b32_e32 v6, 0xff, v133
	s_delay_alu instid0(VALU_DEP_2) | instskip(NEXT) | instid1(VALU_DEP_2)
	v_dual_mov_b32 v16, v18 :: v_dual_mov_b32 v17, v19
	v_cmpx_ne_u16_e32 0, v6
	s_cbranch_execz .LBB237_1037
; %bb.1030:                             ;   in Loop: Header=BB237_808 Depth=1
	v_bfrev_b32_e32 v16, 1
	v_mov_b32_e32 v17, 0
	s_mov_b32 s13, exec_lo
	v_cmpx_ne_u16_e32 0x80, v6
	s_cbranch_execz .LBB237_1036
; %bb.1031:                             ;   in Loop: Header=BB237_808 Depth=1
	v_mov_b32_e32 v16, 0x7f800001
	v_bfe_u32 v134, v132, 16, 7
	v_mov_b32_e32 v17, 0
	s_mov_b32 s15, exec_lo
	s_delay_alu instid0(VALU_DEP_2)
	v_cmpx_ne_u32_e32 0x7f, v134
	s_cbranch_execz .LBB237_1035
; %bb.1032:                             ;   in Loop: Header=BB237_808 Depth=1
	v_and_b32_e32 v6, 7, v133
	v_lshrrev_b32_e32 v16, 3, v134
	s_mov_b32 s16, exec_lo
	v_cmpx_gt_u32_e32 8, v134
; %bb.1033:                             ;   in Loop: Header=BB237_808 Depth=1
	s_delay_alu instid0(VALU_DEP_3) | instskip(NEXT) | instid1(VALU_DEP_1)
	v_clz_i32_u32_e32 v16, v6
	v_min_u32_e32 v16, 32, v16
	s_delay_alu instid0(VALU_DEP_1) | instskip(SKIP_1) | instid1(VALU_DEP_2)
	v_subrev_nc_u32_e32 v17, 28, v16
	v_sub_nc_u32_e32 v16, 29, v16
	v_lshlrev_b64 v[134:135], v17, v[6:7]
	s_delay_alu instid0(VALU_DEP_1)
	v_and_b32_e32 v6, 7, v134
; %bb.1034:                             ;   in Loop: Header=BB237_808 Depth=1
	s_or_b32 exec_lo, exec_lo, s16
	v_lshlrev_b32_e32 v17, 24, v133
	s_delay_alu instid0(VALU_DEP_2) | instskip(SKIP_1) | instid1(VALU_DEP_3)
	v_lshlrev_b32_e32 v6, 20, v6
	v_lshl_add_u32 v16, v16, 23, 0x3c000000
	v_and_b32_e32 v17, 0x80000000, v17
	s_delay_alu instid0(VALU_DEP_1) | instskip(NEXT) | instid1(VALU_DEP_1)
	v_or3_b32 v6, v6, v17, v16
	v_dual_mov_b32 v17, v7 :: v_dual_mov_b32 v16, v6
.LBB237_1035:                           ;   in Loop: Header=BB237_808 Depth=1
	s_or_b32 exec_lo, exec_lo, s15
.LBB237_1036:                           ;   in Loop: Header=BB237_808 Depth=1
	s_delay_alu instid0(SALU_CYCLE_1)
	s_or_b32 exec_lo, exec_lo, s13
.LBB237_1037:                           ;   in Loop: Header=BB237_808 Depth=1
	s_delay_alu instid0(SALU_CYCLE_1) | instskip(NEXT) | instid1(SALU_CYCLE_1)
	s_or_b32 exec_lo, exec_lo, s10
	s_mov_b32 s13, exec_lo
	v_cmpx_lt_u32_e32 0xffffff, v132
	s_cbranch_execz .LBB237_1045
; %bb.1038:                             ;   in Loop: Header=BB237_808 Depth=1
	v_lshrrev_b32_e32 v133, 24, v132
	v_dual_mov_b32 v19, s9 :: v_dual_mov_b32 v18, s8
	s_mov_b32 s15, exec_lo
	s_delay_alu instid0(VALU_DEP_2)
	v_cmpx_ne_u32_e32 0x80, v133
	s_cbranch_execz .LBB237_1044
; %bb.1039:                             ;   in Loop: Header=BB237_808 Depth=1
	s_mov_b32 s10, s8
	v_bfe_u32 v132, v132, 24, 7
	v_dual_mov_b32 v19, s11 :: v_dual_mov_b32 v18, s10
	s_mov_b32 s10, exec_lo
	s_delay_alu instid0(VALU_DEP_2)
	v_cmpx_ne_u32_e32 0x7f, v132
	s_cbranch_execz .LBB237_1043
; %bb.1040:                             ;   in Loop: Header=BB237_808 Depth=1
	v_and_b32_e32 v6, 7, v133
	v_lshrrev_b32_e32 v18, 3, v132
	s_mov_b32 s16, exec_lo
	v_cmpx_gt_u32_e32 8, v132
; %bb.1041:                             ;   in Loop: Header=BB237_808 Depth=1
	s_delay_alu instid0(VALU_DEP_3) | instskip(NEXT) | instid1(VALU_DEP_1)
	v_clz_i32_u32_e32 v18, v6
	v_min_u32_e32 v18, 32, v18
	s_delay_alu instid0(VALU_DEP_1) | instskip(SKIP_1) | instid1(VALU_DEP_2)
	v_subrev_nc_u32_e32 v19, 28, v18
	v_sub_nc_u32_e32 v18, 29, v18
	v_lshlrev_b64 v[134:135], v19, v[6:7]
	s_delay_alu instid0(VALU_DEP_1)
	v_and_b32_e32 v6, 7, v134
; %bb.1042:                             ;   in Loop: Header=BB237_808 Depth=1
	s_or_b32 exec_lo, exec_lo, s16
	v_lshlrev_b32_e32 v19, 24, v133
	s_delay_alu instid0(VALU_DEP_2) | instskip(SKIP_1) | instid1(VALU_DEP_3)
	v_lshlrev_b32_e32 v6, 20, v6
	v_lshl_add_u32 v18, v18, 23, 0x3c000000
	v_and_b32_e32 v19, 0x80000000, v19
	s_delay_alu instid0(VALU_DEP_1)
	v_or3_b32 v19, v6, v19, v18
	v_mov_b32_e32 v18, v7
.LBB237_1043:                           ;   in Loop: Header=BB237_808 Depth=1
	s_or_b32 exec_lo, exec_lo, s10
.LBB237_1044:                           ;   in Loop: Header=BB237_808 Depth=1
	s_delay_alu instid0(SALU_CYCLE_1)
	s_or_b32 exec_lo, exec_lo, s15
.LBB237_1045:                           ;   in Loop: Header=BB237_808 Depth=1
	s_delay_alu instid0(SALU_CYCLE_1) | instskip(SKIP_4) | instid1(VALU_DEP_4)
	s_or_b32 exec_lo, exec_lo, s13
	v_or_b32_e32 v5, v15, v5
	v_or_b32_e32 v4, v14, v4
	;; [unrolled: 1-line block ×4, first 2 shown]
	v_mul_f32_e32 v135, v70, v5
	s_delay_alu instid0(VALU_DEP_4) | instskip(NEXT) | instid1(VALU_DEP_4)
	v_mul_f32_e32 v134, v70, v4
	v_mul_f32_e32 v132, v70, v6
	s_delay_alu instid0(VALU_DEP_4)
	v_mul_f32_e32 v133, v70, v14
	s_and_saveexec_b32 s10, vcc_lo
; %bb.1046:                             ;   in Loop: Header=BB237_808 Depth=1
	v_cmp_lt_i32_e64 s0, v83, v25
	s_delay_alu instid0(VALU_DEP_1) | instskip(SKIP_1) | instid1(VALU_DEP_1)
	v_cndmask_b32_e64 v134, 0, v134, s0
	v_cmp_lt_i32_e64 s0, v86, v25
	v_cndmask_b32_e64 v135, 0, v135, s0
	v_cmp_lt_i32_e64 s0, v85, v25
	s_delay_alu instid0(VALU_DEP_1) | instskip(SKIP_1) | instid1(VALU_DEP_1)
	v_cndmask_b32_e64 v133, 0, v133, s0
	v_cmp_lt_i32_e64 s0, v84, v25
	v_cndmask_b32_e64 v132, 0, v132, s0
; %bb.1047:                             ;   in Loop: Header=BB237_808 Depth=1
	s_or_b32 exec_lo, exec_lo, s10
	flat_load_b32 v144, v[12:13] offset:896
	v_mov_b32_e32 v14, 0
	v_mov_b32_e32 v15, 0
	s_mov_b32 s10, exec_lo
	s_waitcnt vmcnt(0) lgkmcnt(0)
	v_and_b32_e32 v6, 0xff, v144
	s_delay_alu instid0(VALU_DEP_2) | instskip(NEXT) | instid1(VALU_DEP_2)
	v_dual_mov_b32 v4, v14 :: v_dual_mov_b32 v5, v15
	v_cmpx_ne_u16_e32 0, v6
	s_cbranch_execz .LBB237_1055
; %bb.1048:                             ;   in Loop: Header=BB237_808 Depth=1
	v_bfrev_b32_e32 v4, 1
	v_mov_b32_e32 v5, 0
	s_mov_b32 s13, exec_lo
	v_cmpx_ne_u16_e32 0x80, v6
	s_cbranch_execz .LBB237_1054
; %bb.1049:                             ;   in Loop: Header=BB237_808 Depth=1
	v_mov_b32_e32 v4, 0x7f800001
	v_dual_mov_b32 v5, 0 :: v_dual_and_b32 v16, 0x7f, v144
	s_mov_b32 s15, exec_lo
	s_delay_alu instid0(VALU_DEP_1)
	v_cmpx_ne_u32_e32 0x7f, v16
	s_cbranch_execz .LBB237_1053
; %bb.1050:                             ;   in Loop: Header=BB237_808 Depth=1
	v_and_b32_e32 v6, 7, v144
	v_lshrrev_b32_e32 v4, 3, v16
	s_mov_b32 s16, exec_lo
	v_cmpx_gt_u32_e32 8, v16
; %bb.1051:                             ;   in Loop: Header=BB237_808 Depth=1
	s_delay_alu instid0(VALU_DEP_3) | instskip(NEXT) | instid1(VALU_DEP_1)
	v_clz_i32_u32_e32 v4, v6
	v_min_u32_e32 v4, 32, v4
	s_delay_alu instid0(VALU_DEP_1) | instskip(SKIP_1) | instid1(VALU_DEP_2)
	v_subrev_nc_u32_e32 v5, 28, v4
	v_sub_nc_u32_e32 v4, 29, v4
	v_lshlrev_b64 v[5:6], v5, v[6:7]
	s_delay_alu instid0(VALU_DEP_1)
	v_and_b32_e32 v6, 7, v5
; %bb.1052:                             ;   in Loop: Header=BB237_808 Depth=1
	s_or_b32 exec_lo, exec_lo, s16
	v_lshlrev_b32_e32 v5, 24, v144
	s_delay_alu instid0(VALU_DEP_2) | instskip(SKIP_1) | instid1(VALU_DEP_3)
	v_lshlrev_b32_e32 v6, 20, v6
	v_lshl_add_u32 v4, v4, 23, 0x3c000000
	v_and_b32_e32 v5, 0x80000000, v5
	s_delay_alu instid0(VALU_DEP_1) | instskip(NEXT) | instid1(VALU_DEP_1)
	v_or3_b32 v6, v6, v5, v4
	v_dual_mov_b32 v4, v6 :: v_dual_mov_b32 v5, v7
.LBB237_1053:                           ;   in Loop: Header=BB237_808 Depth=1
	s_or_b32 exec_lo, exec_lo, s15
.LBB237_1054:                           ;   in Loop: Header=BB237_808 Depth=1
	s_delay_alu instid0(SALU_CYCLE_1)
	s_or_b32 exec_lo, exec_lo, s13
.LBB237_1055:                           ;   in Loop: Header=BB237_808 Depth=1
	s_delay_alu instid0(SALU_CYCLE_1) | instskip(SKIP_2) | instid1(VALU_DEP_1)
	s_or_b32 exec_lo, exec_lo, s10
	v_lshrrev_b16 v6, 8, v144
	s_mov_b32 s13, exec_lo
	v_cmpx_ne_u16_e32 0, v6
	s_cbranch_execz .LBB237_1063
; %bb.1056:                             ;   in Loop: Header=BB237_808 Depth=1
	v_dual_mov_b32 v15, s9 :: v_dual_mov_b32 v14, s8
	s_mov_b32 s15, exec_lo
	v_cmpx_ne_u16_e32 0x80, v6
	s_cbranch_execz .LBB237_1062
; %bb.1057:                             ;   in Loop: Header=BB237_808 Depth=1
	s_mov_b32 s10, s8
	v_dual_mov_b32 v15, s11 :: v_dual_and_b32 v6, 0xffff, v6
	v_mov_b32_e32 v14, s10
	s_mov_b32 s10, exec_lo
	s_delay_alu instid0(VALU_DEP_2) | instskip(NEXT) | instid1(VALU_DEP_1)
	v_and_b32_e32 v16, 0x7f, v6
	v_cmpx_ne_u32_e32 0x7f, v16
	s_cbranch_execz .LBB237_1061
; %bb.1058:                             ;   in Loop: Header=BB237_808 Depth=1
	v_and_b32_e32 v6, 7, v6
	v_lshrrev_b32_e32 v14, 3, v16
	s_mov_b32 s16, exec_lo
	v_cmpx_gt_u32_e32 8, v16
; %bb.1059:                             ;   in Loop: Header=BB237_808 Depth=1
	s_delay_alu instid0(VALU_DEP_3) | instskip(NEXT) | instid1(VALU_DEP_1)
	v_clz_i32_u32_e32 v14, v6
	v_min_u32_e32 v14, 32, v14
	s_delay_alu instid0(VALU_DEP_1) | instskip(SKIP_1) | instid1(VALU_DEP_2)
	v_subrev_nc_u32_e32 v15, 28, v14
	v_sub_nc_u32_e32 v14, 29, v14
	v_lshlrev_b64 v[15:16], v15, v[6:7]
	s_delay_alu instid0(VALU_DEP_1)
	v_and_b32_e32 v6, 7, v15
; %bb.1060:                             ;   in Loop: Header=BB237_808 Depth=1
	s_or_b32 exec_lo, exec_lo, s16
	v_lshlrev_b32_e32 v15, 16, v144
	s_delay_alu instid0(VALU_DEP_2) | instskip(SKIP_1) | instid1(VALU_DEP_3)
	v_lshlrev_b32_e32 v6, 20, v6
	v_lshl_add_u32 v14, v14, 23, 0x3c000000
	v_and_b32_e32 v15, 0x80000000, v15
	s_delay_alu instid0(VALU_DEP_1)
	v_or3_b32 v15, v6, v15, v14
	v_mov_b32_e32 v14, v7
.LBB237_1061:                           ;   in Loop: Header=BB237_808 Depth=1
	s_or_b32 exec_lo, exec_lo, s10
.LBB237_1062:                           ;   in Loop: Header=BB237_808 Depth=1
	s_delay_alu instid0(SALU_CYCLE_1)
	s_or_b32 exec_lo, exec_lo, s15
.LBB237_1063:                           ;   in Loop: Header=BB237_808 Depth=1
	s_delay_alu instid0(SALU_CYCLE_1) | instskip(SKIP_4) | instid1(VALU_DEP_2)
	s_or_b32 exec_lo, exec_lo, s13
	v_mov_b32_e32 v18, 0
	v_lshrrev_b32_e32 v145, 16, v144
	v_mov_b32_e32 v19, 0
	s_mov_b32 s10, exec_lo
	v_and_b32_e32 v6, 0xff, v145
	s_delay_alu instid0(VALU_DEP_2) | instskip(NEXT) | instid1(VALU_DEP_2)
	v_dual_mov_b32 v16, v18 :: v_dual_mov_b32 v17, v19
	v_cmpx_ne_u16_e32 0, v6
	s_cbranch_execz .LBB237_1071
; %bb.1064:                             ;   in Loop: Header=BB237_808 Depth=1
	v_bfrev_b32_e32 v16, 1
	v_mov_b32_e32 v17, 0
	s_mov_b32 s13, exec_lo
	v_cmpx_ne_u16_e32 0x80, v6
	s_cbranch_execz .LBB237_1070
; %bb.1065:                             ;   in Loop: Header=BB237_808 Depth=1
	v_mov_b32_e32 v16, 0x7f800001
	v_bfe_u32 v146, v144, 16, 7
	v_mov_b32_e32 v17, 0
	s_mov_b32 s15, exec_lo
	s_delay_alu instid0(VALU_DEP_2)
	v_cmpx_ne_u32_e32 0x7f, v146
	s_cbranch_execz .LBB237_1069
; %bb.1066:                             ;   in Loop: Header=BB237_808 Depth=1
	v_and_b32_e32 v6, 7, v145
	v_lshrrev_b32_e32 v16, 3, v146
	s_mov_b32 s16, exec_lo
	v_cmpx_gt_u32_e32 8, v146
; %bb.1067:                             ;   in Loop: Header=BB237_808 Depth=1
	s_delay_alu instid0(VALU_DEP_3) | instskip(NEXT) | instid1(VALU_DEP_1)
	v_clz_i32_u32_e32 v16, v6
	v_min_u32_e32 v16, 32, v16
	s_delay_alu instid0(VALU_DEP_1) | instskip(SKIP_1) | instid1(VALU_DEP_2)
	v_subrev_nc_u32_e32 v17, 28, v16
	v_sub_nc_u32_e32 v16, 29, v16
	v_lshlrev_b64 v[146:147], v17, v[6:7]
	s_delay_alu instid0(VALU_DEP_1)
	v_and_b32_e32 v6, 7, v146
; %bb.1068:                             ;   in Loop: Header=BB237_808 Depth=1
	s_or_b32 exec_lo, exec_lo, s16
	v_lshlrev_b32_e32 v17, 24, v145
	s_delay_alu instid0(VALU_DEP_2) | instskip(SKIP_1) | instid1(VALU_DEP_3)
	v_lshlrev_b32_e32 v6, 20, v6
	v_lshl_add_u32 v16, v16, 23, 0x3c000000
	v_and_b32_e32 v17, 0x80000000, v17
	s_delay_alu instid0(VALU_DEP_1) | instskip(NEXT) | instid1(VALU_DEP_1)
	v_or3_b32 v6, v6, v17, v16
	v_dual_mov_b32 v17, v7 :: v_dual_mov_b32 v16, v6
.LBB237_1069:                           ;   in Loop: Header=BB237_808 Depth=1
	s_or_b32 exec_lo, exec_lo, s15
.LBB237_1070:                           ;   in Loop: Header=BB237_808 Depth=1
	s_delay_alu instid0(SALU_CYCLE_1)
	s_or_b32 exec_lo, exec_lo, s13
.LBB237_1071:                           ;   in Loop: Header=BB237_808 Depth=1
	s_delay_alu instid0(SALU_CYCLE_1) | instskip(NEXT) | instid1(SALU_CYCLE_1)
	s_or_b32 exec_lo, exec_lo, s10
	s_mov_b32 s13, exec_lo
	v_cmpx_lt_u32_e32 0xffffff, v144
	s_cbranch_execz .LBB237_1079
; %bb.1072:                             ;   in Loop: Header=BB237_808 Depth=1
	v_lshrrev_b32_e32 v145, 24, v144
	v_dual_mov_b32 v19, s9 :: v_dual_mov_b32 v18, s8
	s_mov_b32 s15, exec_lo
	s_delay_alu instid0(VALU_DEP_2)
	v_cmpx_ne_u32_e32 0x80, v145
	s_cbranch_execz .LBB237_1078
; %bb.1073:                             ;   in Loop: Header=BB237_808 Depth=1
	s_mov_b32 s10, s8
	v_bfe_u32 v144, v144, 24, 7
	v_dual_mov_b32 v19, s11 :: v_dual_mov_b32 v18, s10
	s_mov_b32 s10, exec_lo
	s_delay_alu instid0(VALU_DEP_2)
	v_cmpx_ne_u32_e32 0x7f, v144
	s_cbranch_execz .LBB237_1077
; %bb.1074:                             ;   in Loop: Header=BB237_808 Depth=1
	v_and_b32_e32 v6, 7, v145
	v_lshrrev_b32_e32 v18, 3, v144
	s_mov_b32 s16, exec_lo
	v_cmpx_gt_u32_e32 8, v144
; %bb.1075:                             ;   in Loop: Header=BB237_808 Depth=1
	s_delay_alu instid0(VALU_DEP_3) | instskip(NEXT) | instid1(VALU_DEP_1)
	v_clz_i32_u32_e32 v18, v6
	v_min_u32_e32 v18, 32, v18
	s_delay_alu instid0(VALU_DEP_1) | instskip(SKIP_1) | instid1(VALU_DEP_2)
	v_subrev_nc_u32_e32 v19, 28, v18
	v_sub_nc_u32_e32 v18, 29, v18
	v_lshlrev_b64 v[146:147], v19, v[6:7]
	s_delay_alu instid0(VALU_DEP_1)
	v_and_b32_e32 v6, 7, v146
; %bb.1076:                             ;   in Loop: Header=BB237_808 Depth=1
	s_or_b32 exec_lo, exec_lo, s16
	v_lshlrev_b32_e32 v19, 24, v145
	s_delay_alu instid0(VALU_DEP_2) | instskip(SKIP_1) | instid1(VALU_DEP_3)
	v_lshlrev_b32_e32 v6, 20, v6
	v_lshl_add_u32 v18, v18, 23, 0x3c000000
	v_and_b32_e32 v19, 0x80000000, v19
	s_delay_alu instid0(VALU_DEP_1)
	v_or3_b32 v19, v6, v19, v18
	v_mov_b32_e32 v18, v7
.LBB237_1077:                           ;   in Loop: Header=BB237_808 Depth=1
	s_or_b32 exec_lo, exec_lo, s10
.LBB237_1078:                           ;   in Loop: Header=BB237_808 Depth=1
	s_delay_alu instid0(SALU_CYCLE_1)
	s_or_b32 exec_lo, exec_lo, s15
.LBB237_1079:                           ;   in Loop: Header=BB237_808 Depth=1
	s_delay_alu instid0(SALU_CYCLE_1) | instskip(SKIP_4) | instid1(VALU_DEP_4)
	s_or_b32 exec_lo, exec_lo, s13
	v_or_b32_e32 v5, v15, v5
	v_or_b32_e32 v4, v14, v4
	;; [unrolled: 1-line block ×4, first 2 shown]
	v_mul_f32_e32 v147, v70, v5
	s_delay_alu instid0(VALU_DEP_4) | instskip(NEXT) | instid1(VALU_DEP_4)
	v_mul_f32_e32 v146, v70, v4
	v_mul_f32_e32 v144, v70, v6
	s_delay_alu instid0(VALU_DEP_4)
	v_mul_f32_e32 v145, v70, v14
	s_and_saveexec_b32 s10, vcc_lo
; %bb.1080:                             ;   in Loop: Header=BB237_808 Depth=1
	v_cmp_lt_i32_e64 s0, v83, v25
	s_delay_alu instid0(VALU_DEP_1) | instskip(SKIP_1) | instid1(VALU_DEP_1)
	v_cndmask_b32_e64 v146, 0, v146, s0
	v_cmp_lt_i32_e64 s0, v86, v25
	v_cndmask_b32_e64 v147, 0, v147, s0
	v_cmp_lt_i32_e64 s0, v85, v25
	s_delay_alu instid0(VALU_DEP_1) | instskip(SKIP_1) | instid1(VALU_DEP_1)
	v_cndmask_b32_e64 v145, 0, v145, s0
	v_cmp_lt_i32_e64 s0, v84, v25
	v_cndmask_b32_e64 v144, 0, v144, s0
; %bb.1081:                             ;   in Loop: Header=BB237_808 Depth=1
	s_or_b32 exec_lo, exec_lo, s10
	flat_load_b32 v148, v[12:13] offset:1024
	v_mov_b32_e32 v14, 0
	v_mov_b32_e32 v15, 0
	s_mov_b32 s10, exec_lo
	s_waitcnt vmcnt(0) lgkmcnt(0)
	v_and_b32_e32 v6, 0xff, v148
	s_delay_alu instid0(VALU_DEP_2) | instskip(NEXT) | instid1(VALU_DEP_2)
	v_dual_mov_b32 v4, v14 :: v_dual_mov_b32 v5, v15
	v_cmpx_ne_u16_e32 0, v6
	s_cbranch_execz .LBB237_1089
; %bb.1082:                             ;   in Loop: Header=BB237_808 Depth=1
	v_bfrev_b32_e32 v4, 1
	v_mov_b32_e32 v5, 0
	s_mov_b32 s13, exec_lo
	v_cmpx_ne_u16_e32 0x80, v6
	s_cbranch_execz .LBB237_1088
; %bb.1083:                             ;   in Loop: Header=BB237_808 Depth=1
	v_mov_b32_e32 v4, 0x7f800001
	v_dual_mov_b32 v5, 0 :: v_dual_and_b32 v16, 0x7f, v148
	s_mov_b32 s15, exec_lo
	s_delay_alu instid0(VALU_DEP_1)
	v_cmpx_ne_u32_e32 0x7f, v16
	s_cbranch_execz .LBB237_1087
; %bb.1084:                             ;   in Loop: Header=BB237_808 Depth=1
	v_and_b32_e32 v6, 7, v148
	v_lshrrev_b32_e32 v4, 3, v16
	s_mov_b32 s16, exec_lo
	v_cmpx_gt_u32_e32 8, v16
; %bb.1085:                             ;   in Loop: Header=BB237_808 Depth=1
	s_delay_alu instid0(VALU_DEP_3) | instskip(NEXT) | instid1(VALU_DEP_1)
	v_clz_i32_u32_e32 v4, v6
	v_min_u32_e32 v4, 32, v4
	s_delay_alu instid0(VALU_DEP_1) | instskip(SKIP_1) | instid1(VALU_DEP_2)
	v_subrev_nc_u32_e32 v5, 28, v4
	v_sub_nc_u32_e32 v4, 29, v4
	v_lshlrev_b64 v[5:6], v5, v[6:7]
	s_delay_alu instid0(VALU_DEP_1)
	v_and_b32_e32 v6, 7, v5
; %bb.1086:                             ;   in Loop: Header=BB237_808 Depth=1
	s_or_b32 exec_lo, exec_lo, s16
	v_lshlrev_b32_e32 v5, 24, v148
	s_delay_alu instid0(VALU_DEP_2) | instskip(SKIP_1) | instid1(VALU_DEP_3)
	v_lshlrev_b32_e32 v6, 20, v6
	v_lshl_add_u32 v4, v4, 23, 0x3c000000
	v_and_b32_e32 v5, 0x80000000, v5
	s_delay_alu instid0(VALU_DEP_1) | instskip(NEXT) | instid1(VALU_DEP_1)
	v_or3_b32 v6, v6, v5, v4
	v_dual_mov_b32 v4, v6 :: v_dual_mov_b32 v5, v7
.LBB237_1087:                           ;   in Loop: Header=BB237_808 Depth=1
	s_or_b32 exec_lo, exec_lo, s15
.LBB237_1088:                           ;   in Loop: Header=BB237_808 Depth=1
	s_delay_alu instid0(SALU_CYCLE_1)
	s_or_b32 exec_lo, exec_lo, s13
.LBB237_1089:                           ;   in Loop: Header=BB237_808 Depth=1
	s_delay_alu instid0(SALU_CYCLE_1) | instskip(SKIP_2) | instid1(VALU_DEP_1)
	s_or_b32 exec_lo, exec_lo, s10
	v_lshrrev_b16 v6, 8, v148
	s_mov_b32 s13, exec_lo
	v_cmpx_ne_u16_e32 0, v6
	s_cbranch_execz .LBB237_1097
; %bb.1090:                             ;   in Loop: Header=BB237_808 Depth=1
	v_dual_mov_b32 v15, s9 :: v_dual_mov_b32 v14, s8
	s_mov_b32 s15, exec_lo
	v_cmpx_ne_u16_e32 0x80, v6
	s_cbranch_execz .LBB237_1096
; %bb.1091:                             ;   in Loop: Header=BB237_808 Depth=1
	s_mov_b32 s10, s8
	v_dual_mov_b32 v15, s11 :: v_dual_and_b32 v6, 0xffff, v6
	v_mov_b32_e32 v14, s10
	s_mov_b32 s10, exec_lo
	s_delay_alu instid0(VALU_DEP_2) | instskip(NEXT) | instid1(VALU_DEP_1)
	v_and_b32_e32 v16, 0x7f, v6
	v_cmpx_ne_u32_e32 0x7f, v16
	s_cbranch_execz .LBB237_1095
; %bb.1092:                             ;   in Loop: Header=BB237_808 Depth=1
	v_and_b32_e32 v6, 7, v6
	v_lshrrev_b32_e32 v14, 3, v16
	s_mov_b32 s16, exec_lo
	v_cmpx_gt_u32_e32 8, v16
; %bb.1093:                             ;   in Loop: Header=BB237_808 Depth=1
	s_delay_alu instid0(VALU_DEP_3) | instskip(NEXT) | instid1(VALU_DEP_1)
	v_clz_i32_u32_e32 v14, v6
	v_min_u32_e32 v14, 32, v14
	s_delay_alu instid0(VALU_DEP_1) | instskip(SKIP_1) | instid1(VALU_DEP_2)
	v_subrev_nc_u32_e32 v15, 28, v14
	v_sub_nc_u32_e32 v14, 29, v14
	v_lshlrev_b64 v[15:16], v15, v[6:7]
	s_delay_alu instid0(VALU_DEP_1)
	v_and_b32_e32 v6, 7, v15
; %bb.1094:                             ;   in Loop: Header=BB237_808 Depth=1
	s_or_b32 exec_lo, exec_lo, s16
	v_lshlrev_b32_e32 v15, 16, v148
	s_delay_alu instid0(VALU_DEP_2) | instskip(SKIP_1) | instid1(VALU_DEP_3)
	v_lshlrev_b32_e32 v6, 20, v6
	v_lshl_add_u32 v14, v14, 23, 0x3c000000
	v_and_b32_e32 v15, 0x80000000, v15
	s_delay_alu instid0(VALU_DEP_1)
	v_or3_b32 v15, v6, v15, v14
	v_mov_b32_e32 v14, v7
.LBB237_1095:                           ;   in Loop: Header=BB237_808 Depth=1
	s_or_b32 exec_lo, exec_lo, s10
.LBB237_1096:                           ;   in Loop: Header=BB237_808 Depth=1
	s_delay_alu instid0(SALU_CYCLE_1)
	s_or_b32 exec_lo, exec_lo, s15
.LBB237_1097:                           ;   in Loop: Header=BB237_808 Depth=1
	s_delay_alu instid0(SALU_CYCLE_1) | instskip(SKIP_4) | instid1(VALU_DEP_2)
	s_or_b32 exec_lo, exec_lo, s13
	v_mov_b32_e32 v18, 0
	v_lshrrev_b32_e32 v149, 16, v148
	v_mov_b32_e32 v19, 0
	s_mov_b32 s10, exec_lo
	v_and_b32_e32 v6, 0xff, v149
	s_delay_alu instid0(VALU_DEP_2) | instskip(NEXT) | instid1(VALU_DEP_2)
	v_dual_mov_b32 v16, v18 :: v_dual_mov_b32 v17, v19
	v_cmpx_ne_u16_e32 0, v6
	s_cbranch_execz .LBB237_1105
; %bb.1098:                             ;   in Loop: Header=BB237_808 Depth=1
	v_bfrev_b32_e32 v16, 1
	v_mov_b32_e32 v17, 0
	s_mov_b32 s13, exec_lo
	v_cmpx_ne_u16_e32 0x80, v6
	s_cbranch_execz .LBB237_1104
; %bb.1099:                             ;   in Loop: Header=BB237_808 Depth=1
	v_mov_b32_e32 v16, 0x7f800001
	v_bfe_u32 v150, v148, 16, 7
	v_mov_b32_e32 v17, 0
	s_mov_b32 s15, exec_lo
	s_delay_alu instid0(VALU_DEP_2)
	v_cmpx_ne_u32_e32 0x7f, v150
	s_cbranch_execz .LBB237_1103
; %bb.1100:                             ;   in Loop: Header=BB237_808 Depth=1
	v_and_b32_e32 v6, 7, v149
	v_lshrrev_b32_e32 v16, 3, v150
	s_mov_b32 s16, exec_lo
	v_cmpx_gt_u32_e32 8, v150
; %bb.1101:                             ;   in Loop: Header=BB237_808 Depth=1
	s_delay_alu instid0(VALU_DEP_3) | instskip(NEXT) | instid1(VALU_DEP_1)
	v_clz_i32_u32_e32 v16, v6
	v_min_u32_e32 v16, 32, v16
	s_delay_alu instid0(VALU_DEP_1) | instskip(SKIP_1) | instid1(VALU_DEP_2)
	v_subrev_nc_u32_e32 v17, 28, v16
	v_sub_nc_u32_e32 v16, 29, v16
	v_lshlrev_b64 v[150:151], v17, v[6:7]
	s_delay_alu instid0(VALU_DEP_1)
	v_and_b32_e32 v6, 7, v150
; %bb.1102:                             ;   in Loop: Header=BB237_808 Depth=1
	s_or_b32 exec_lo, exec_lo, s16
	v_lshlrev_b32_e32 v17, 24, v149
	s_delay_alu instid0(VALU_DEP_2) | instskip(SKIP_1) | instid1(VALU_DEP_3)
	v_lshlrev_b32_e32 v6, 20, v6
	v_lshl_add_u32 v16, v16, 23, 0x3c000000
	v_and_b32_e32 v17, 0x80000000, v17
	s_delay_alu instid0(VALU_DEP_1) | instskip(NEXT) | instid1(VALU_DEP_1)
	v_or3_b32 v6, v6, v17, v16
	v_dual_mov_b32 v17, v7 :: v_dual_mov_b32 v16, v6
.LBB237_1103:                           ;   in Loop: Header=BB237_808 Depth=1
	s_or_b32 exec_lo, exec_lo, s15
.LBB237_1104:                           ;   in Loop: Header=BB237_808 Depth=1
	s_delay_alu instid0(SALU_CYCLE_1)
	s_or_b32 exec_lo, exec_lo, s13
.LBB237_1105:                           ;   in Loop: Header=BB237_808 Depth=1
	s_delay_alu instid0(SALU_CYCLE_1) | instskip(NEXT) | instid1(SALU_CYCLE_1)
	s_or_b32 exec_lo, exec_lo, s10
	s_mov_b32 s13, exec_lo
	v_cmpx_lt_u32_e32 0xffffff, v148
	s_cbranch_execz .LBB237_1113
; %bb.1106:                             ;   in Loop: Header=BB237_808 Depth=1
	v_lshrrev_b32_e32 v149, 24, v148
	v_dual_mov_b32 v19, s9 :: v_dual_mov_b32 v18, s8
	s_mov_b32 s15, exec_lo
	s_delay_alu instid0(VALU_DEP_2)
	v_cmpx_ne_u32_e32 0x80, v149
	s_cbranch_execz .LBB237_1112
; %bb.1107:                             ;   in Loop: Header=BB237_808 Depth=1
	s_mov_b32 s10, s8
	v_bfe_u32 v148, v148, 24, 7
	v_dual_mov_b32 v19, s11 :: v_dual_mov_b32 v18, s10
	s_mov_b32 s10, exec_lo
	s_delay_alu instid0(VALU_DEP_2)
	v_cmpx_ne_u32_e32 0x7f, v148
	s_cbranch_execz .LBB237_1111
; %bb.1108:                             ;   in Loop: Header=BB237_808 Depth=1
	v_and_b32_e32 v6, 7, v149
	v_lshrrev_b32_e32 v18, 3, v148
	s_mov_b32 s16, exec_lo
	v_cmpx_gt_u32_e32 8, v148
; %bb.1109:                             ;   in Loop: Header=BB237_808 Depth=1
	s_delay_alu instid0(VALU_DEP_3) | instskip(NEXT) | instid1(VALU_DEP_1)
	v_clz_i32_u32_e32 v18, v6
	v_min_u32_e32 v18, 32, v18
	s_delay_alu instid0(VALU_DEP_1) | instskip(SKIP_1) | instid1(VALU_DEP_2)
	v_subrev_nc_u32_e32 v19, 28, v18
	v_sub_nc_u32_e32 v18, 29, v18
	v_lshlrev_b64 v[150:151], v19, v[6:7]
	s_delay_alu instid0(VALU_DEP_1)
	v_and_b32_e32 v6, 7, v150
; %bb.1110:                             ;   in Loop: Header=BB237_808 Depth=1
	s_or_b32 exec_lo, exec_lo, s16
	v_lshlrev_b32_e32 v19, 24, v149
	s_delay_alu instid0(VALU_DEP_2) | instskip(SKIP_1) | instid1(VALU_DEP_3)
	v_lshlrev_b32_e32 v6, 20, v6
	v_lshl_add_u32 v18, v18, 23, 0x3c000000
	v_and_b32_e32 v19, 0x80000000, v19
	s_delay_alu instid0(VALU_DEP_1)
	v_or3_b32 v19, v6, v19, v18
	v_mov_b32_e32 v18, v7
.LBB237_1111:                           ;   in Loop: Header=BB237_808 Depth=1
	s_or_b32 exec_lo, exec_lo, s10
.LBB237_1112:                           ;   in Loop: Header=BB237_808 Depth=1
	s_delay_alu instid0(SALU_CYCLE_1)
	s_or_b32 exec_lo, exec_lo, s15
.LBB237_1113:                           ;   in Loop: Header=BB237_808 Depth=1
	s_delay_alu instid0(SALU_CYCLE_1) | instskip(SKIP_4) | instid1(VALU_DEP_4)
	s_or_b32 exec_lo, exec_lo, s13
	v_or_b32_e32 v5, v15, v5
	v_or_b32_e32 v4, v14, v4
	;; [unrolled: 1-line block ×4, first 2 shown]
	v_mul_f32_e32 v151, v70, v5
	s_delay_alu instid0(VALU_DEP_4) | instskip(NEXT) | instid1(VALU_DEP_4)
	v_mul_f32_e32 v150, v70, v4
	v_mul_f32_e32 v148, v70, v6
	s_delay_alu instid0(VALU_DEP_4)
	v_mul_f32_e32 v149, v70, v14
	s_and_saveexec_b32 s10, vcc_lo
; %bb.1114:                             ;   in Loop: Header=BB237_808 Depth=1
	v_cmp_lt_i32_e64 s0, v83, v25
	s_delay_alu instid0(VALU_DEP_1) | instskip(SKIP_1) | instid1(VALU_DEP_1)
	v_cndmask_b32_e64 v150, 0, v150, s0
	v_cmp_lt_i32_e64 s0, v86, v25
	v_cndmask_b32_e64 v151, 0, v151, s0
	v_cmp_lt_i32_e64 s0, v85, v25
	s_delay_alu instid0(VALU_DEP_1) | instskip(SKIP_1) | instid1(VALU_DEP_1)
	v_cndmask_b32_e64 v149, 0, v149, s0
	v_cmp_lt_i32_e64 s0, v84, v25
	v_cndmask_b32_e64 v148, 0, v148, s0
; %bb.1115:                             ;   in Loop: Header=BB237_808 Depth=1
	s_or_b32 exec_lo, exec_lo, s10
	flat_load_b32 v160, v[12:13] offset:1152
	v_mov_b32_e32 v14, 0
	v_mov_b32_e32 v15, 0
	s_mov_b32 s10, exec_lo
	s_waitcnt vmcnt(0) lgkmcnt(0)
	v_and_b32_e32 v6, 0xff, v160
	s_delay_alu instid0(VALU_DEP_2) | instskip(NEXT) | instid1(VALU_DEP_2)
	v_dual_mov_b32 v4, v14 :: v_dual_mov_b32 v5, v15
	v_cmpx_ne_u16_e32 0, v6
	s_cbranch_execz .LBB237_1123
; %bb.1116:                             ;   in Loop: Header=BB237_808 Depth=1
	v_bfrev_b32_e32 v4, 1
	v_mov_b32_e32 v5, 0
	s_mov_b32 s13, exec_lo
	v_cmpx_ne_u16_e32 0x80, v6
	s_cbranch_execz .LBB237_1122
; %bb.1117:                             ;   in Loop: Header=BB237_808 Depth=1
	v_mov_b32_e32 v4, 0x7f800001
	v_dual_mov_b32 v5, 0 :: v_dual_and_b32 v16, 0x7f, v160
	s_mov_b32 s15, exec_lo
	s_delay_alu instid0(VALU_DEP_1)
	v_cmpx_ne_u32_e32 0x7f, v16
	s_cbranch_execz .LBB237_1121
; %bb.1118:                             ;   in Loop: Header=BB237_808 Depth=1
	v_and_b32_e32 v6, 7, v160
	v_lshrrev_b32_e32 v4, 3, v16
	s_mov_b32 s16, exec_lo
	v_cmpx_gt_u32_e32 8, v16
; %bb.1119:                             ;   in Loop: Header=BB237_808 Depth=1
	s_delay_alu instid0(VALU_DEP_3) | instskip(NEXT) | instid1(VALU_DEP_1)
	v_clz_i32_u32_e32 v4, v6
	v_min_u32_e32 v4, 32, v4
	s_delay_alu instid0(VALU_DEP_1) | instskip(SKIP_1) | instid1(VALU_DEP_2)
	v_subrev_nc_u32_e32 v5, 28, v4
	v_sub_nc_u32_e32 v4, 29, v4
	v_lshlrev_b64 v[5:6], v5, v[6:7]
	s_delay_alu instid0(VALU_DEP_1)
	v_and_b32_e32 v6, 7, v5
; %bb.1120:                             ;   in Loop: Header=BB237_808 Depth=1
	s_or_b32 exec_lo, exec_lo, s16
	v_lshlrev_b32_e32 v5, 24, v160
	s_delay_alu instid0(VALU_DEP_2) | instskip(SKIP_1) | instid1(VALU_DEP_3)
	v_lshlrev_b32_e32 v6, 20, v6
	v_lshl_add_u32 v4, v4, 23, 0x3c000000
	v_and_b32_e32 v5, 0x80000000, v5
	s_delay_alu instid0(VALU_DEP_1) | instskip(NEXT) | instid1(VALU_DEP_1)
	v_or3_b32 v6, v6, v5, v4
	v_dual_mov_b32 v4, v6 :: v_dual_mov_b32 v5, v7
.LBB237_1121:                           ;   in Loop: Header=BB237_808 Depth=1
	s_or_b32 exec_lo, exec_lo, s15
.LBB237_1122:                           ;   in Loop: Header=BB237_808 Depth=1
	s_delay_alu instid0(SALU_CYCLE_1)
	s_or_b32 exec_lo, exec_lo, s13
.LBB237_1123:                           ;   in Loop: Header=BB237_808 Depth=1
	s_delay_alu instid0(SALU_CYCLE_1) | instskip(SKIP_2) | instid1(VALU_DEP_1)
	s_or_b32 exec_lo, exec_lo, s10
	v_lshrrev_b16 v6, 8, v160
	s_mov_b32 s13, exec_lo
	v_cmpx_ne_u16_e32 0, v6
	s_cbranch_execz .LBB237_1131
; %bb.1124:                             ;   in Loop: Header=BB237_808 Depth=1
	v_dual_mov_b32 v15, s9 :: v_dual_mov_b32 v14, s8
	s_mov_b32 s15, exec_lo
	v_cmpx_ne_u16_e32 0x80, v6
	s_cbranch_execz .LBB237_1130
; %bb.1125:                             ;   in Loop: Header=BB237_808 Depth=1
	s_mov_b32 s10, s8
	v_dual_mov_b32 v15, s11 :: v_dual_and_b32 v6, 0xffff, v6
	v_mov_b32_e32 v14, s10
	s_mov_b32 s10, exec_lo
	s_delay_alu instid0(VALU_DEP_2) | instskip(NEXT) | instid1(VALU_DEP_1)
	v_and_b32_e32 v16, 0x7f, v6
	v_cmpx_ne_u32_e32 0x7f, v16
	s_cbranch_execz .LBB237_1129
; %bb.1126:                             ;   in Loop: Header=BB237_808 Depth=1
	v_and_b32_e32 v6, 7, v6
	v_lshrrev_b32_e32 v14, 3, v16
	s_mov_b32 s16, exec_lo
	v_cmpx_gt_u32_e32 8, v16
; %bb.1127:                             ;   in Loop: Header=BB237_808 Depth=1
	s_delay_alu instid0(VALU_DEP_3) | instskip(NEXT) | instid1(VALU_DEP_1)
	v_clz_i32_u32_e32 v14, v6
	v_min_u32_e32 v14, 32, v14
	s_delay_alu instid0(VALU_DEP_1) | instskip(SKIP_1) | instid1(VALU_DEP_2)
	v_subrev_nc_u32_e32 v15, 28, v14
	v_sub_nc_u32_e32 v14, 29, v14
	v_lshlrev_b64 v[15:16], v15, v[6:7]
	s_delay_alu instid0(VALU_DEP_1)
	v_and_b32_e32 v6, 7, v15
; %bb.1128:                             ;   in Loop: Header=BB237_808 Depth=1
	s_or_b32 exec_lo, exec_lo, s16
	v_lshlrev_b32_e32 v15, 16, v160
	s_delay_alu instid0(VALU_DEP_2) | instskip(SKIP_1) | instid1(VALU_DEP_3)
	v_lshlrev_b32_e32 v6, 20, v6
	v_lshl_add_u32 v14, v14, 23, 0x3c000000
	v_and_b32_e32 v15, 0x80000000, v15
	s_delay_alu instid0(VALU_DEP_1)
	v_or3_b32 v15, v6, v15, v14
	v_mov_b32_e32 v14, v7
.LBB237_1129:                           ;   in Loop: Header=BB237_808 Depth=1
	s_or_b32 exec_lo, exec_lo, s10
.LBB237_1130:                           ;   in Loop: Header=BB237_808 Depth=1
	s_delay_alu instid0(SALU_CYCLE_1)
	s_or_b32 exec_lo, exec_lo, s15
.LBB237_1131:                           ;   in Loop: Header=BB237_808 Depth=1
	s_delay_alu instid0(SALU_CYCLE_1) | instskip(SKIP_4) | instid1(VALU_DEP_2)
	s_or_b32 exec_lo, exec_lo, s13
	v_mov_b32_e32 v18, 0
	v_lshrrev_b32_e32 v161, 16, v160
	v_mov_b32_e32 v19, 0
	s_mov_b32 s10, exec_lo
	v_and_b32_e32 v6, 0xff, v161
	s_delay_alu instid0(VALU_DEP_2) | instskip(NEXT) | instid1(VALU_DEP_2)
	v_dual_mov_b32 v16, v18 :: v_dual_mov_b32 v17, v19
	v_cmpx_ne_u16_e32 0, v6
	s_cbranch_execz .LBB237_1139
; %bb.1132:                             ;   in Loop: Header=BB237_808 Depth=1
	v_bfrev_b32_e32 v16, 1
	v_mov_b32_e32 v17, 0
	s_mov_b32 s13, exec_lo
	v_cmpx_ne_u16_e32 0x80, v6
	s_cbranch_execz .LBB237_1138
; %bb.1133:                             ;   in Loop: Header=BB237_808 Depth=1
	v_mov_b32_e32 v16, 0x7f800001
	v_bfe_u32 v162, v160, 16, 7
	v_mov_b32_e32 v17, 0
	s_mov_b32 s15, exec_lo
	s_delay_alu instid0(VALU_DEP_2)
	v_cmpx_ne_u32_e32 0x7f, v162
	s_cbranch_execz .LBB237_1137
; %bb.1134:                             ;   in Loop: Header=BB237_808 Depth=1
	v_and_b32_e32 v6, 7, v161
	v_lshrrev_b32_e32 v16, 3, v162
	s_mov_b32 s16, exec_lo
	v_cmpx_gt_u32_e32 8, v162
; %bb.1135:                             ;   in Loop: Header=BB237_808 Depth=1
	s_delay_alu instid0(VALU_DEP_3) | instskip(NEXT) | instid1(VALU_DEP_1)
	v_clz_i32_u32_e32 v16, v6
	v_min_u32_e32 v16, 32, v16
	s_delay_alu instid0(VALU_DEP_1) | instskip(SKIP_1) | instid1(VALU_DEP_2)
	v_subrev_nc_u32_e32 v17, 28, v16
	v_sub_nc_u32_e32 v16, 29, v16
	v_lshlrev_b64 v[162:163], v17, v[6:7]
	s_delay_alu instid0(VALU_DEP_1)
	v_and_b32_e32 v6, 7, v162
; %bb.1136:                             ;   in Loop: Header=BB237_808 Depth=1
	s_or_b32 exec_lo, exec_lo, s16
	v_lshlrev_b32_e32 v17, 24, v161
	s_delay_alu instid0(VALU_DEP_2) | instskip(SKIP_1) | instid1(VALU_DEP_3)
	v_lshlrev_b32_e32 v6, 20, v6
	v_lshl_add_u32 v16, v16, 23, 0x3c000000
	v_and_b32_e32 v17, 0x80000000, v17
	s_delay_alu instid0(VALU_DEP_1) | instskip(NEXT) | instid1(VALU_DEP_1)
	v_or3_b32 v6, v6, v17, v16
	v_dual_mov_b32 v17, v7 :: v_dual_mov_b32 v16, v6
.LBB237_1137:                           ;   in Loop: Header=BB237_808 Depth=1
	s_or_b32 exec_lo, exec_lo, s15
.LBB237_1138:                           ;   in Loop: Header=BB237_808 Depth=1
	s_delay_alu instid0(SALU_CYCLE_1)
	s_or_b32 exec_lo, exec_lo, s13
.LBB237_1139:                           ;   in Loop: Header=BB237_808 Depth=1
	s_delay_alu instid0(SALU_CYCLE_1) | instskip(NEXT) | instid1(SALU_CYCLE_1)
	s_or_b32 exec_lo, exec_lo, s10
	s_mov_b32 s13, exec_lo
	v_cmpx_lt_u32_e32 0xffffff, v160
	s_cbranch_execz .LBB237_1147
; %bb.1140:                             ;   in Loop: Header=BB237_808 Depth=1
	v_lshrrev_b32_e32 v161, 24, v160
	v_dual_mov_b32 v19, s9 :: v_dual_mov_b32 v18, s8
	s_mov_b32 s15, exec_lo
	s_delay_alu instid0(VALU_DEP_2)
	v_cmpx_ne_u32_e32 0x80, v161
	s_cbranch_execz .LBB237_1146
; %bb.1141:                             ;   in Loop: Header=BB237_808 Depth=1
	s_mov_b32 s10, s8
	v_bfe_u32 v160, v160, 24, 7
	v_dual_mov_b32 v19, s11 :: v_dual_mov_b32 v18, s10
	s_mov_b32 s10, exec_lo
	s_delay_alu instid0(VALU_DEP_2)
	v_cmpx_ne_u32_e32 0x7f, v160
	s_cbranch_execz .LBB237_1145
; %bb.1142:                             ;   in Loop: Header=BB237_808 Depth=1
	v_and_b32_e32 v6, 7, v161
	v_lshrrev_b32_e32 v18, 3, v160
	s_mov_b32 s16, exec_lo
	v_cmpx_gt_u32_e32 8, v160
; %bb.1143:                             ;   in Loop: Header=BB237_808 Depth=1
	s_delay_alu instid0(VALU_DEP_3) | instskip(NEXT) | instid1(VALU_DEP_1)
	v_clz_i32_u32_e32 v18, v6
	v_min_u32_e32 v18, 32, v18
	s_delay_alu instid0(VALU_DEP_1) | instskip(SKIP_1) | instid1(VALU_DEP_2)
	v_subrev_nc_u32_e32 v19, 28, v18
	v_sub_nc_u32_e32 v18, 29, v18
	v_lshlrev_b64 v[162:163], v19, v[6:7]
	s_delay_alu instid0(VALU_DEP_1)
	v_and_b32_e32 v6, 7, v162
; %bb.1144:                             ;   in Loop: Header=BB237_808 Depth=1
	s_or_b32 exec_lo, exec_lo, s16
	v_lshlrev_b32_e32 v19, 24, v161
	s_delay_alu instid0(VALU_DEP_2) | instskip(SKIP_1) | instid1(VALU_DEP_3)
	v_lshlrev_b32_e32 v6, 20, v6
	v_lshl_add_u32 v18, v18, 23, 0x3c000000
	v_and_b32_e32 v19, 0x80000000, v19
	s_delay_alu instid0(VALU_DEP_1)
	v_or3_b32 v19, v6, v19, v18
	v_mov_b32_e32 v18, v7
.LBB237_1145:                           ;   in Loop: Header=BB237_808 Depth=1
	s_or_b32 exec_lo, exec_lo, s10
.LBB237_1146:                           ;   in Loop: Header=BB237_808 Depth=1
	s_delay_alu instid0(SALU_CYCLE_1)
	s_or_b32 exec_lo, exec_lo, s15
.LBB237_1147:                           ;   in Loop: Header=BB237_808 Depth=1
	s_delay_alu instid0(SALU_CYCLE_1) | instskip(SKIP_4) | instid1(VALU_DEP_4)
	s_or_b32 exec_lo, exec_lo, s13
	v_or_b32_e32 v5, v15, v5
	v_or_b32_e32 v4, v14, v4
	;; [unrolled: 1-line block ×4, first 2 shown]
	v_mul_f32_e32 v163, v70, v5
	s_delay_alu instid0(VALU_DEP_4) | instskip(NEXT) | instid1(VALU_DEP_4)
	v_mul_f32_e32 v162, v70, v4
	v_mul_f32_e32 v160, v70, v6
	s_delay_alu instid0(VALU_DEP_4)
	v_mul_f32_e32 v161, v70, v14
	s_and_saveexec_b32 s10, vcc_lo
; %bb.1148:                             ;   in Loop: Header=BB237_808 Depth=1
	v_cmp_lt_i32_e64 s0, v83, v25
	s_delay_alu instid0(VALU_DEP_1) | instskip(SKIP_1) | instid1(VALU_DEP_1)
	v_cndmask_b32_e64 v162, 0, v162, s0
	v_cmp_lt_i32_e64 s0, v86, v25
	v_cndmask_b32_e64 v163, 0, v163, s0
	v_cmp_lt_i32_e64 s0, v85, v25
	s_delay_alu instid0(VALU_DEP_1) | instskip(SKIP_1) | instid1(VALU_DEP_1)
	v_cndmask_b32_e64 v161, 0, v161, s0
	v_cmp_lt_i32_e64 s0, v84, v25
	v_cndmask_b32_e64 v160, 0, v160, s0
; %bb.1149:                             ;   in Loop: Header=BB237_808 Depth=1
	s_or_b32 exec_lo, exec_lo, s10
	flat_load_b32 v164, v[12:13] offset:1280
	v_mov_b32_e32 v14, 0
	v_mov_b32_e32 v15, 0
	s_mov_b32 s10, exec_lo
	s_waitcnt vmcnt(0) lgkmcnt(0)
	v_and_b32_e32 v6, 0xff, v164
	s_delay_alu instid0(VALU_DEP_2) | instskip(NEXT) | instid1(VALU_DEP_2)
	v_dual_mov_b32 v4, v14 :: v_dual_mov_b32 v5, v15
	v_cmpx_ne_u16_e32 0, v6
	s_cbranch_execz .LBB237_1157
; %bb.1150:                             ;   in Loop: Header=BB237_808 Depth=1
	v_bfrev_b32_e32 v4, 1
	v_mov_b32_e32 v5, 0
	s_mov_b32 s13, exec_lo
	v_cmpx_ne_u16_e32 0x80, v6
	s_cbranch_execz .LBB237_1156
; %bb.1151:                             ;   in Loop: Header=BB237_808 Depth=1
	v_mov_b32_e32 v4, 0x7f800001
	v_dual_mov_b32 v5, 0 :: v_dual_and_b32 v16, 0x7f, v164
	s_mov_b32 s15, exec_lo
	s_delay_alu instid0(VALU_DEP_1)
	v_cmpx_ne_u32_e32 0x7f, v16
	s_cbranch_execz .LBB237_1155
; %bb.1152:                             ;   in Loop: Header=BB237_808 Depth=1
	v_and_b32_e32 v6, 7, v164
	v_lshrrev_b32_e32 v4, 3, v16
	s_mov_b32 s16, exec_lo
	v_cmpx_gt_u32_e32 8, v16
; %bb.1153:                             ;   in Loop: Header=BB237_808 Depth=1
	s_delay_alu instid0(VALU_DEP_3) | instskip(NEXT) | instid1(VALU_DEP_1)
	v_clz_i32_u32_e32 v4, v6
	v_min_u32_e32 v4, 32, v4
	s_delay_alu instid0(VALU_DEP_1) | instskip(SKIP_1) | instid1(VALU_DEP_2)
	v_subrev_nc_u32_e32 v5, 28, v4
	v_sub_nc_u32_e32 v4, 29, v4
	v_lshlrev_b64 v[5:6], v5, v[6:7]
	s_delay_alu instid0(VALU_DEP_1)
	v_and_b32_e32 v6, 7, v5
; %bb.1154:                             ;   in Loop: Header=BB237_808 Depth=1
	s_or_b32 exec_lo, exec_lo, s16
	v_lshlrev_b32_e32 v5, 24, v164
	s_delay_alu instid0(VALU_DEP_2) | instskip(SKIP_1) | instid1(VALU_DEP_3)
	v_lshlrev_b32_e32 v6, 20, v6
	v_lshl_add_u32 v4, v4, 23, 0x3c000000
	v_and_b32_e32 v5, 0x80000000, v5
	s_delay_alu instid0(VALU_DEP_1) | instskip(NEXT) | instid1(VALU_DEP_1)
	v_or3_b32 v6, v6, v5, v4
	v_dual_mov_b32 v4, v6 :: v_dual_mov_b32 v5, v7
.LBB237_1155:                           ;   in Loop: Header=BB237_808 Depth=1
	s_or_b32 exec_lo, exec_lo, s15
.LBB237_1156:                           ;   in Loop: Header=BB237_808 Depth=1
	s_delay_alu instid0(SALU_CYCLE_1)
	s_or_b32 exec_lo, exec_lo, s13
.LBB237_1157:                           ;   in Loop: Header=BB237_808 Depth=1
	s_delay_alu instid0(SALU_CYCLE_1) | instskip(SKIP_2) | instid1(VALU_DEP_1)
	s_or_b32 exec_lo, exec_lo, s10
	v_lshrrev_b16 v6, 8, v164
	s_mov_b32 s13, exec_lo
	v_cmpx_ne_u16_e32 0, v6
	s_cbranch_execz .LBB237_1165
; %bb.1158:                             ;   in Loop: Header=BB237_808 Depth=1
	v_dual_mov_b32 v15, s9 :: v_dual_mov_b32 v14, s8
	s_mov_b32 s15, exec_lo
	v_cmpx_ne_u16_e32 0x80, v6
	s_cbranch_execz .LBB237_1164
; %bb.1159:                             ;   in Loop: Header=BB237_808 Depth=1
	s_mov_b32 s10, s8
	v_dual_mov_b32 v15, s11 :: v_dual_and_b32 v6, 0xffff, v6
	v_mov_b32_e32 v14, s10
	s_mov_b32 s10, exec_lo
	s_delay_alu instid0(VALU_DEP_2) | instskip(NEXT) | instid1(VALU_DEP_1)
	v_and_b32_e32 v16, 0x7f, v6
	v_cmpx_ne_u32_e32 0x7f, v16
	s_cbranch_execz .LBB237_1163
; %bb.1160:                             ;   in Loop: Header=BB237_808 Depth=1
	v_and_b32_e32 v6, 7, v6
	v_lshrrev_b32_e32 v14, 3, v16
	s_mov_b32 s16, exec_lo
	v_cmpx_gt_u32_e32 8, v16
; %bb.1161:                             ;   in Loop: Header=BB237_808 Depth=1
	s_delay_alu instid0(VALU_DEP_3) | instskip(NEXT) | instid1(VALU_DEP_1)
	v_clz_i32_u32_e32 v14, v6
	v_min_u32_e32 v14, 32, v14
	s_delay_alu instid0(VALU_DEP_1) | instskip(SKIP_1) | instid1(VALU_DEP_2)
	v_subrev_nc_u32_e32 v15, 28, v14
	v_sub_nc_u32_e32 v14, 29, v14
	v_lshlrev_b64 v[15:16], v15, v[6:7]
	s_delay_alu instid0(VALU_DEP_1)
	v_and_b32_e32 v6, 7, v15
; %bb.1162:                             ;   in Loop: Header=BB237_808 Depth=1
	s_or_b32 exec_lo, exec_lo, s16
	v_lshlrev_b32_e32 v15, 16, v164
	s_delay_alu instid0(VALU_DEP_2) | instskip(SKIP_1) | instid1(VALU_DEP_3)
	v_lshlrev_b32_e32 v6, 20, v6
	v_lshl_add_u32 v14, v14, 23, 0x3c000000
	v_and_b32_e32 v15, 0x80000000, v15
	s_delay_alu instid0(VALU_DEP_1)
	v_or3_b32 v15, v6, v15, v14
	v_mov_b32_e32 v14, v7
.LBB237_1163:                           ;   in Loop: Header=BB237_808 Depth=1
	s_or_b32 exec_lo, exec_lo, s10
.LBB237_1164:                           ;   in Loop: Header=BB237_808 Depth=1
	s_delay_alu instid0(SALU_CYCLE_1)
	s_or_b32 exec_lo, exec_lo, s15
.LBB237_1165:                           ;   in Loop: Header=BB237_808 Depth=1
	s_delay_alu instid0(SALU_CYCLE_1) | instskip(SKIP_4) | instid1(VALU_DEP_2)
	s_or_b32 exec_lo, exec_lo, s13
	v_mov_b32_e32 v18, 0
	v_lshrrev_b32_e32 v165, 16, v164
	v_mov_b32_e32 v19, 0
	s_mov_b32 s10, exec_lo
	v_and_b32_e32 v6, 0xff, v165
	s_delay_alu instid0(VALU_DEP_2) | instskip(NEXT) | instid1(VALU_DEP_2)
	v_dual_mov_b32 v16, v18 :: v_dual_mov_b32 v17, v19
	v_cmpx_ne_u16_e32 0, v6
	s_cbranch_execz .LBB237_1173
; %bb.1166:                             ;   in Loop: Header=BB237_808 Depth=1
	v_bfrev_b32_e32 v16, 1
	v_mov_b32_e32 v17, 0
	s_mov_b32 s13, exec_lo
	v_cmpx_ne_u16_e32 0x80, v6
	s_cbranch_execz .LBB237_1172
; %bb.1167:                             ;   in Loop: Header=BB237_808 Depth=1
	v_mov_b32_e32 v16, 0x7f800001
	v_bfe_u32 v166, v164, 16, 7
	v_mov_b32_e32 v17, 0
	s_mov_b32 s15, exec_lo
	s_delay_alu instid0(VALU_DEP_2)
	v_cmpx_ne_u32_e32 0x7f, v166
	s_cbranch_execz .LBB237_1171
; %bb.1168:                             ;   in Loop: Header=BB237_808 Depth=1
	v_and_b32_e32 v6, 7, v165
	v_lshrrev_b32_e32 v16, 3, v166
	s_mov_b32 s16, exec_lo
	v_cmpx_gt_u32_e32 8, v166
; %bb.1169:                             ;   in Loop: Header=BB237_808 Depth=1
	s_delay_alu instid0(VALU_DEP_3) | instskip(NEXT) | instid1(VALU_DEP_1)
	v_clz_i32_u32_e32 v16, v6
	v_min_u32_e32 v16, 32, v16
	s_delay_alu instid0(VALU_DEP_1) | instskip(SKIP_1) | instid1(VALU_DEP_2)
	v_subrev_nc_u32_e32 v17, 28, v16
	v_sub_nc_u32_e32 v16, 29, v16
	v_lshlrev_b64 v[166:167], v17, v[6:7]
	s_delay_alu instid0(VALU_DEP_1)
	v_and_b32_e32 v6, 7, v166
; %bb.1170:                             ;   in Loop: Header=BB237_808 Depth=1
	s_or_b32 exec_lo, exec_lo, s16
	v_lshlrev_b32_e32 v17, 24, v165
	s_delay_alu instid0(VALU_DEP_2) | instskip(SKIP_1) | instid1(VALU_DEP_3)
	v_lshlrev_b32_e32 v6, 20, v6
	v_lshl_add_u32 v16, v16, 23, 0x3c000000
	v_and_b32_e32 v17, 0x80000000, v17
	s_delay_alu instid0(VALU_DEP_1) | instskip(NEXT) | instid1(VALU_DEP_1)
	v_or3_b32 v6, v6, v17, v16
	v_dual_mov_b32 v17, v7 :: v_dual_mov_b32 v16, v6
.LBB237_1171:                           ;   in Loop: Header=BB237_808 Depth=1
	s_or_b32 exec_lo, exec_lo, s15
.LBB237_1172:                           ;   in Loop: Header=BB237_808 Depth=1
	s_delay_alu instid0(SALU_CYCLE_1)
	s_or_b32 exec_lo, exec_lo, s13
.LBB237_1173:                           ;   in Loop: Header=BB237_808 Depth=1
	s_delay_alu instid0(SALU_CYCLE_1) | instskip(NEXT) | instid1(SALU_CYCLE_1)
	s_or_b32 exec_lo, exec_lo, s10
	s_mov_b32 s13, exec_lo
	v_cmpx_lt_u32_e32 0xffffff, v164
	s_cbranch_execz .LBB237_1181
; %bb.1174:                             ;   in Loop: Header=BB237_808 Depth=1
	v_lshrrev_b32_e32 v165, 24, v164
	v_dual_mov_b32 v19, s9 :: v_dual_mov_b32 v18, s8
	s_mov_b32 s15, exec_lo
	s_delay_alu instid0(VALU_DEP_2)
	v_cmpx_ne_u32_e32 0x80, v165
	s_cbranch_execz .LBB237_1180
; %bb.1175:                             ;   in Loop: Header=BB237_808 Depth=1
	s_mov_b32 s10, s8
	v_bfe_u32 v164, v164, 24, 7
	v_dual_mov_b32 v19, s11 :: v_dual_mov_b32 v18, s10
	s_mov_b32 s10, exec_lo
	s_delay_alu instid0(VALU_DEP_2)
	v_cmpx_ne_u32_e32 0x7f, v164
	s_cbranch_execz .LBB237_1179
; %bb.1176:                             ;   in Loop: Header=BB237_808 Depth=1
	v_and_b32_e32 v6, 7, v165
	v_lshrrev_b32_e32 v18, 3, v164
	s_mov_b32 s16, exec_lo
	v_cmpx_gt_u32_e32 8, v164
; %bb.1177:                             ;   in Loop: Header=BB237_808 Depth=1
	s_delay_alu instid0(VALU_DEP_3) | instskip(NEXT) | instid1(VALU_DEP_1)
	v_clz_i32_u32_e32 v18, v6
	v_min_u32_e32 v18, 32, v18
	s_delay_alu instid0(VALU_DEP_1) | instskip(SKIP_1) | instid1(VALU_DEP_2)
	v_subrev_nc_u32_e32 v19, 28, v18
	v_sub_nc_u32_e32 v18, 29, v18
	v_lshlrev_b64 v[166:167], v19, v[6:7]
	s_delay_alu instid0(VALU_DEP_1)
	v_and_b32_e32 v6, 7, v166
; %bb.1178:                             ;   in Loop: Header=BB237_808 Depth=1
	s_or_b32 exec_lo, exec_lo, s16
	v_lshlrev_b32_e32 v19, 24, v165
	s_delay_alu instid0(VALU_DEP_2) | instskip(SKIP_1) | instid1(VALU_DEP_3)
	v_lshlrev_b32_e32 v6, 20, v6
	v_lshl_add_u32 v18, v18, 23, 0x3c000000
	v_and_b32_e32 v19, 0x80000000, v19
	s_delay_alu instid0(VALU_DEP_1)
	v_or3_b32 v19, v6, v19, v18
	v_mov_b32_e32 v18, v7
.LBB237_1179:                           ;   in Loop: Header=BB237_808 Depth=1
	s_or_b32 exec_lo, exec_lo, s10
.LBB237_1180:                           ;   in Loop: Header=BB237_808 Depth=1
	s_delay_alu instid0(SALU_CYCLE_1)
	s_or_b32 exec_lo, exec_lo, s15
.LBB237_1181:                           ;   in Loop: Header=BB237_808 Depth=1
	s_delay_alu instid0(SALU_CYCLE_1) | instskip(SKIP_4) | instid1(VALU_DEP_4)
	s_or_b32 exec_lo, exec_lo, s13
	v_or_b32_e32 v5, v15, v5
	v_or_b32_e32 v4, v14, v4
	;; [unrolled: 1-line block ×4, first 2 shown]
	v_mul_f32_e32 v167, v70, v5
	s_delay_alu instid0(VALU_DEP_4) | instskip(NEXT) | instid1(VALU_DEP_4)
	v_mul_f32_e32 v166, v70, v4
	v_mul_f32_e32 v164, v70, v6
	s_delay_alu instid0(VALU_DEP_4)
	v_mul_f32_e32 v165, v70, v14
	s_and_saveexec_b32 s10, vcc_lo
; %bb.1182:                             ;   in Loop: Header=BB237_808 Depth=1
	v_cmp_lt_i32_e64 s0, v83, v25
	s_delay_alu instid0(VALU_DEP_1) | instskip(SKIP_1) | instid1(VALU_DEP_1)
	v_cndmask_b32_e64 v166, 0, v166, s0
	v_cmp_lt_i32_e64 s0, v86, v25
	v_cndmask_b32_e64 v167, 0, v167, s0
	v_cmp_lt_i32_e64 s0, v85, v25
	s_delay_alu instid0(VALU_DEP_1) | instskip(SKIP_1) | instid1(VALU_DEP_1)
	v_cndmask_b32_e64 v165, 0, v165, s0
	v_cmp_lt_i32_e64 s0, v84, v25
	v_cndmask_b32_e64 v164, 0, v164, s0
; %bb.1183:                             ;   in Loop: Header=BB237_808 Depth=1
	s_or_b32 exec_lo, exec_lo, s10
	flat_load_b32 v176, v[12:13] offset:1408
	v_mov_b32_e32 v14, 0
	v_mov_b32_e32 v15, 0
	s_mov_b32 s10, exec_lo
	s_waitcnt vmcnt(0) lgkmcnt(0)
	v_and_b32_e32 v6, 0xff, v176
	s_delay_alu instid0(VALU_DEP_2) | instskip(NEXT) | instid1(VALU_DEP_2)
	v_dual_mov_b32 v4, v14 :: v_dual_mov_b32 v5, v15
	v_cmpx_ne_u16_e32 0, v6
	s_cbranch_execz .LBB237_1191
; %bb.1184:                             ;   in Loop: Header=BB237_808 Depth=1
	v_bfrev_b32_e32 v4, 1
	v_mov_b32_e32 v5, 0
	s_mov_b32 s13, exec_lo
	v_cmpx_ne_u16_e32 0x80, v6
	s_cbranch_execz .LBB237_1190
; %bb.1185:                             ;   in Loop: Header=BB237_808 Depth=1
	v_mov_b32_e32 v4, 0x7f800001
	v_dual_mov_b32 v5, 0 :: v_dual_and_b32 v16, 0x7f, v176
	s_mov_b32 s15, exec_lo
	s_delay_alu instid0(VALU_DEP_1)
	v_cmpx_ne_u32_e32 0x7f, v16
	s_cbranch_execz .LBB237_1189
; %bb.1186:                             ;   in Loop: Header=BB237_808 Depth=1
	v_and_b32_e32 v6, 7, v176
	v_lshrrev_b32_e32 v4, 3, v16
	s_mov_b32 s16, exec_lo
	v_cmpx_gt_u32_e32 8, v16
; %bb.1187:                             ;   in Loop: Header=BB237_808 Depth=1
	s_delay_alu instid0(VALU_DEP_3) | instskip(NEXT) | instid1(VALU_DEP_1)
	v_clz_i32_u32_e32 v4, v6
	v_min_u32_e32 v4, 32, v4
	s_delay_alu instid0(VALU_DEP_1) | instskip(SKIP_1) | instid1(VALU_DEP_2)
	v_subrev_nc_u32_e32 v5, 28, v4
	v_sub_nc_u32_e32 v4, 29, v4
	v_lshlrev_b64 v[5:6], v5, v[6:7]
	s_delay_alu instid0(VALU_DEP_1)
	v_and_b32_e32 v6, 7, v5
; %bb.1188:                             ;   in Loop: Header=BB237_808 Depth=1
	s_or_b32 exec_lo, exec_lo, s16
	v_lshlrev_b32_e32 v5, 24, v176
	s_delay_alu instid0(VALU_DEP_2) | instskip(SKIP_1) | instid1(VALU_DEP_3)
	v_lshlrev_b32_e32 v6, 20, v6
	v_lshl_add_u32 v4, v4, 23, 0x3c000000
	v_and_b32_e32 v5, 0x80000000, v5
	s_delay_alu instid0(VALU_DEP_1) | instskip(NEXT) | instid1(VALU_DEP_1)
	v_or3_b32 v6, v6, v5, v4
	v_dual_mov_b32 v4, v6 :: v_dual_mov_b32 v5, v7
.LBB237_1189:                           ;   in Loop: Header=BB237_808 Depth=1
	s_or_b32 exec_lo, exec_lo, s15
.LBB237_1190:                           ;   in Loop: Header=BB237_808 Depth=1
	s_delay_alu instid0(SALU_CYCLE_1)
	s_or_b32 exec_lo, exec_lo, s13
.LBB237_1191:                           ;   in Loop: Header=BB237_808 Depth=1
	s_delay_alu instid0(SALU_CYCLE_1) | instskip(SKIP_2) | instid1(VALU_DEP_1)
	s_or_b32 exec_lo, exec_lo, s10
	v_lshrrev_b16 v6, 8, v176
	s_mov_b32 s13, exec_lo
	v_cmpx_ne_u16_e32 0, v6
	s_cbranch_execz .LBB237_1199
; %bb.1192:                             ;   in Loop: Header=BB237_808 Depth=1
	v_dual_mov_b32 v15, s9 :: v_dual_mov_b32 v14, s8
	s_mov_b32 s15, exec_lo
	v_cmpx_ne_u16_e32 0x80, v6
	s_cbranch_execz .LBB237_1198
; %bb.1193:                             ;   in Loop: Header=BB237_808 Depth=1
	s_mov_b32 s10, s8
	v_dual_mov_b32 v15, s11 :: v_dual_and_b32 v6, 0xffff, v6
	v_mov_b32_e32 v14, s10
	s_mov_b32 s10, exec_lo
	s_delay_alu instid0(VALU_DEP_2) | instskip(NEXT) | instid1(VALU_DEP_1)
	v_and_b32_e32 v16, 0x7f, v6
	v_cmpx_ne_u32_e32 0x7f, v16
	s_cbranch_execz .LBB237_1197
; %bb.1194:                             ;   in Loop: Header=BB237_808 Depth=1
	v_and_b32_e32 v6, 7, v6
	v_lshrrev_b32_e32 v14, 3, v16
	s_mov_b32 s16, exec_lo
	v_cmpx_gt_u32_e32 8, v16
; %bb.1195:                             ;   in Loop: Header=BB237_808 Depth=1
	s_delay_alu instid0(VALU_DEP_3) | instskip(NEXT) | instid1(VALU_DEP_1)
	v_clz_i32_u32_e32 v14, v6
	v_min_u32_e32 v14, 32, v14
	s_delay_alu instid0(VALU_DEP_1) | instskip(SKIP_1) | instid1(VALU_DEP_2)
	v_subrev_nc_u32_e32 v15, 28, v14
	v_sub_nc_u32_e32 v14, 29, v14
	v_lshlrev_b64 v[15:16], v15, v[6:7]
	s_delay_alu instid0(VALU_DEP_1)
	v_and_b32_e32 v6, 7, v15
; %bb.1196:                             ;   in Loop: Header=BB237_808 Depth=1
	s_or_b32 exec_lo, exec_lo, s16
	v_lshlrev_b32_e32 v15, 16, v176
	s_delay_alu instid0(VALU_DEP_2) | instskip(SKIP_1) | instid1(VALU_DEP_3)
	v_lshlrev_b32_e32 v6, 20, v6
	v_lshl_add_u32 v14, v14, 23, 0x3c000000
	v_and_b32_e32 v15, 0x80000000, v15
	s_delay_alu instid0(VALU_DEP_1)
	v_or3_b32 v15, v6, v15, v14
	v_mov_b32_e32 v14, v7
.LBB237_1197:                           ;   in Loop: Header=BB237_808 Depth=1
	s_or_b32 exec_lo, exec_lo, s10
.LBB237_1198:                           ;   in Loop: Header=BB237_808 Depth=1
	s_delay_alu instid0(SALU_CYCLE_1)
	s_or_b32 exec_lo, exec_lo, s15
.LBB237_1199:                           ;   in Loop: Header=BB237_808 Depth=1
	s_delay_alu instid0(SALU_CYCLE_1) | instskip(SKIP_4) | instid1(VALU_DEP_2)
	s_or_b32 exec_lo, exec_lo, s13
	v_mov_b32_e32 v18, 0
	v_lshrrev_b32_e32 v177, 16, v176
	v_mov_b32_e32 v19, 0
	s_mov_b32 s10, exec_lo
	v_and_b32_e32 v6, 0xff, v177
	s_delay_alu instid0(VALU_DEP_2) | instskip(NEXT) | instid1(VALU_DEP_2)
	v_dual_mov_b32 v16, v18 :: v_dual_mov_b32 v17, v19
	v_cmpx_ne_u16_e32 0, v6
	s_cbranch_execz .LBB237_1207
; %bb.1200:                             ;   in Loop: Header=BB237_808 Depth=1
	v_bfrev_b32_e32 v16, 1
	v_mov_b32_e32 v17, 0
	s_mov_b32 s13, exec_lo
	v_cmpx_ne_u16_e32 0x80, v6
	s_cbranch_execz .LBB237_1206
; %bb.1201:                             ;   in Loop: Header=BB237_808 Depth=1
	v_mov_b32_e32 v16, 0x7f800001
	v_bfe_u32 v178, v176, 16, 7
	v_mov_b32_e32 v17, 0
	s_mov_b32 s15, exec_lo
	s_delay_alu instid0(VALU_DEP_2)
	v_cmpx_ne_u32_e32 0x7f, v178
	s_cbranch_execz .LBB237_1205
; %bb.1202:                             ;   in Loop: Header=BB237_808 Depth=1
	v_and_b32_e32 v6, 7, v177
	v_lshrrev_b32_e32 v16, 3, v178
	s_mov_b32 s16, exec_lo
	v_cmpx_gt_u32_e32 8, v178
; %bb.1203:                             ;   in Loop: Header=BB237_808 Depth=1
	s_delay_alu instid0(VALU_DEP_3) | instskip(NEXT) | instid1(VALU_DEP_1)
	v_clz_i32_u32_e32 v16, v6
	v_min_u32_e32 v16, 32, v16
	s_delay_alu instid0(VALU_DEP_1) | instskip(SKIP_1) | instid1(VALU_DEP_2)
	v_subrev_nc_u32_e32 v17, 28, v16
	v_sub_nc_u32_e32 v16, 29, v16
	v_lshlrev_b64 v[178:179], v17, v[6:7]
	s_delay_alu instid0(VALU_DEP_1)
	v_and_b32_e32 v6, 7, v178
; %bb.1204:                             ;   in Loop: Header=BB237_808 Depth=1
	s_or_b32 exec_lo, exec_lo, s16
	v_lshlrev_b32_e32 v17, 24, v177
	s_delay_alu instid0(VALU_DEP_2) | instskip(SKIP_1) | instid1(VALU_DEP_3)
	v_lshlrev_b32_e32 v6, 20, v6
	v_lshl_add_u32 v16, v16, 23, 0x3c000000
	v_and_b32_e32 v17, 0x80000000, v17
	s_delay_alu instid0(VALU_DEP_1) | instskip(NEXT) | instid1(VALU_DEP_1)
	v_or3_b32 v6, v6, v17, v16
	v_dual_mov_b32 v17, v7 :: v_dual_mov_b32 v16, v6
.LBB237_1205:                           ;   in Loop: Header=BB237_808 Depth=1
	s_or_b32 exec_lo, exec_lo, s15
.LBB237_1206:                           ;   in Loop: Header=BB237_808 Depth=1
	s_delay_alu instid0(SALU_CYCLE_1)
	s_or_b32 exec_lo, exec_lo, s13
.LBB237_1207:                           ;   in Loop: Header=BB237_808 Depth=1
	s_delay_alu instid0(SALU_CYCLE_1) | instskip(NEXT) | instid1(SALU_CYCLE_1)
	s_or_b32 exec_lo, exec_lo, s10
	s_mov_b32 s13, exec_lo
	v_cmpx_lt_u32_e32 0xffffff, v176
	s_cbranch_execz .LBB237_1215
; %bb.1208:                             ;   in Loop: Header=BB237_808 Depth=1
	v_lshrrev_b32_e32 v177, 24, v176
	v_dual_mov_b32 v19, s9 :: v_dual_mov_b32 v18, s8
	s_mov_b32 s15, exec_lo
	s_delay_alu instid0(VALU_DEP_2)
	v_cmpx_ne_u32_e32 0x80, v177
	s_cbranch_execz .LBB237_1214
; %bb.1209:                             ;   in Loop: Header=BB237_808 Depth=1
	s_mov_b32 s10, s8
	v_bfe_u32 v176, v176, 24, 7
	v_dual_mov_b32 v19, s11 :: v_dual_mov_b32 v18, s10
	s_mov_b32 s10, exec_lo
	s_delay_alu instid0(VALU_DEP_2)
	v_cmpx_ne_u32_e32 0x7f, v176
	s_cbranch_execz .LBB237_1213
; %bb.1210:                             ;   in Loop: Header=BB237_808 Depth=1
	v_and_b32_e32 v6, 7, v177
	v_lshrrev_b32_e32 v18, 3, v176
	s_mov_b32 s16, exec_lo
	v_cmpx_gt_u32_e32 8, v176
; %bb.1211:                             ;   in Loop: Header=BB237_808 Depth=1
	s_delay_alu instid0(VALU_DEP_3) | instskip(NEXT) | instid1(VALU_DEP_1)
	v_clz_i32_u32_e32 v18, v6
	v_min_u32_e32 v18, 32, v18
	s_delay_alu instid0(VALU_DEP_1) | instskip(SKIP_1) | instid1(VALU_DEP_2)
	v_subrev_nc_u32_e32 v19, 28, v18
	v_sub_nc_u32_e32 v18, 29, v18
	v_lshlrev_b64 v[178:179], v19, v[6:7]
	s_delay_alu instid0(VALU_DEP_1)
	v_and_b32_e32 v6, 7, v178
; %bb.1212:                             ;   in Loop: Header=BB237_808 Depth=1
	s_or_b32 exec_lo, exec_lo, s16
	v_lshlrev_b32_e32 v19, 24, v177
	s_delay_alu instid0(VALU_DEP_2) | instskip(SKIP_1) | instid1(VALU_DEP_3)
	v_lshlrev_b32_e32 v6, 20, v6
	v_lshl_add_u32 v18, v18, 23, 0x3c000000
	v_and_b32_e32 v19, 0x80000000, v19
	s_delay_alu instid0(VALU_DEP_1)
	v_or3_b32 v19, v6, v19, v18
	v_mov_b32_e32 v18, v7
.LBB237_1213:                           ;   in Loop: Header=BB237_808 Depth=1
	s_or_b32 exec_lo, exec_lo, s10
.LBB237_1214:                           ;   in Loop: Header=BB237_808 Depth=1
	s_delay_alu instid0(SALU_CYCLE_1)
	s_or_b32 exec_lo, exec_lo, s15
.LBB237_1215:                           ;   in Loop: Header=BB237_808 Depth=1
	s_delay_alu instid0(SALU_CYCLE_1) | instskip(SKIP_4) | instid1(VALU_DEP_4)
	s_or_b32 exec_lo, exec_lo, s13
	v_or_b32_e32 v5, v15, v5
	v_or_b32_e32 v4, v14, v4
	;; [unrolled: 1-line block ×4, first 2 shown]
	v_mul_f32_e32 v179, v70, v5
	s_delay_alu instid0(VALU_DEP_4) | instskip(NEXT) | instid1(VALU_DEP_4)
	v_mul_f32_e32 v178, v70, v4
	v_mul_f32_e32 v176, v70, v6
	s_delay_alu instid0(VALU_DEP_4)
	v_mul_f32_e32 v177, v70, v14
	s_and_saveexec_b32 s10, vcc_lo
; %bb.1216:                             ;   in Loop: Header=BB237_808 Depth=1
	v_cmp_lt_i32_e64 s0, v83, v25
	s_delay_alu instid0(VALU_DEP_1) | instskip(SKIP_1) | instid1(VALU_DEP_1)
	v_cndmask_b32_e64 v178, 0, v178, s0
	v_cmp_lt_i32_e64 s0, v86, v25
	v_cndmask_b32_e64 v179, 0, v179, s0
	v_cmp_lt_i32_e64 s0, v85, v25
	s_delay_alu instid0(VALU_DEP_1) | instskip(SKIP_1) | instid1(VALU_DEP_1)
	v_cndmask_b32_e64 v177, 0, v177, s0
	v_cmp_lt_i32_e64 s0, v84, v25
	v_cndmask_b32_e64 v176, 0, v176, s0
; %bb.1217:                             ;   in Loop: Header=BB237_808 Depth=1
	s_or_b32 exec_lo, exec_lo, s10
	flat_load_b32 v180, v[12:13] offset:1536
	v_mov_b32_e32 v14, 0
	v_mov_b32_e32 v15, 0
	s_mov_b32 s10, exec_lo
	s_waitcnt vmcnt(0) lgkmcnt(0)
	v_and_b32_e32 v6, 0xff, v180
	s_delay_alu instid0(VALU_DEP_2) | instskip(NEXT) | instid1(VALU_DEP_2)
	v_dual_mov_b32 v4, v14 :: v_dual_mov_b32 v5, v15
	v_cmpx_ne_u16_e32 0, v6
	s_cbranch_execz .LBB237_1225
; %bb.1218:                             ;   in Loop: Header=BB237_808 Depth=1
	v_bfrev_b32_e32 v4, 1
	v_mov_b32_e32 v5, 0
	s_mov_b32 s13, exec_lo
	v_cmpx_ne_u16_e32 0x80, v6
	s_cbranch_execz .LBB237_1224
; %bb.1219:                             ;   in Loop: Header=BB237_808 Depth=1
	v_mov_b32_e32 v4, 0x7f800001
	v_dual_mov_b32 v5, 0 :: v_dual_and_b32 v16, 0x7f, v180
	s_mov_b32 s15, exec_lo
	s_delay_alu instid0(VALU_DEP_1)
	v_cmpx_ne_u32_e32 0x7f, v16
	s_cbranch_execz .LBB237_1223
; %bb.1220:                             ;   in Loop: Header=BB237_808 Depth=1
	v_and_b32_e32 v6, 7, v180
	v_lshrrev_b32_e32 v4, 3, v16
	s_mov_b32 s16, exec_lo
	v_cmpx_gt_u32_e32 8, v16
; %bb.1221:                             ;   in Loop: Header=BB237_808 Depth=1
	s_delay_alu instid0(VALU_DEP_3) | instskip(NEXT) | instid1(VALU_DEP_1)
	v_clz_i32_u32_e32 v4, v6
	v_min_u32_e32 v4, 32, v4
	s_delay_alu instid0(VALU_DEP_1) | instskip(SKIP_1) | instid1(VALU_DEP_2)
	v_subrev_nc_u32_e32 v5, 28, v4
	v_sub_nc_u32_e32 v4, 29, v4
	v_lshlrev_b64 v[5:6], v5, v[6:7]
	s_delay_alu instid0(VALU_DEP_1)
	v_and_b32_e32 v6, 7, v5
; %bb.1222:                             ;   in Loop: Header=BB237_808 Depth=1
	s_or_b32 exec_lo, exec_lo, s16
	v_lshlrev_b32_e32 v5, 24, v180
	s_delay_alu instid0(VALU_DEP_2) | instskip(SKIP_1) | instid1(VALU_DEP_3)
	v_lshlrev_b32_e32 v6, 20, v6
	v_lshl_add_u32 v4, v4, 23, 0x3c000000
	v_and_b32_e32 v5, 0x80000000, v5
	s_delay_alu instid0(VALU_DEP_1) | instskip(NEXT) | instid1(VALU_DEP_1)
	v_or3_b32 v6, v6, v5, v4
	v_dual_mov_b32 v4, v6 :: v_dual_mov_b32 v5, v7
.LBB237_1223:                           ;   in Loop: Header=BB237_808 Depth=1
	s_or_b32 exec_lo, exec_lo, s15
.LBB237_1224:                           ;   in Loop: Header=BB237_808 Depth=1
	s_delay_alu instid0(SALU_CYCLE_1)
	s_or_b32 exec_lo, exec_lo, s13
.LBB237_1225:                           ;   in Loop: Header=BB237_808 Depth=1
	s_delay_alu instid0(SALU_CYCLE_1) | instskip(SKIP_2) | instid1(VALU_DEP_1)
	s_or_b32 exec_lo, exec_lo, s10
	v_lshrrev_b16 v6, 8, v180
	s_mov_b32 s13, exec_lo
	v_cmpx_ne_u16_e32 0, v6
	s_cbranch_execz .LBB237_1233
; %bb.1226:                             ;   in Loop: Header=BB237_808 Depth=1
	v_dual_mov_b32 v15, s9 :: v_dual_mov_b32 v14, s8
	s_mov_b32 s15, exec_lo
	v_cmpx_ne_u16_e32 0x80, v6
	s_cbranch_execz .LBB237_1232
; %bb.1227:                             ;   in Loop: Header=BB237_808 Depth=1
	s_mov_b32 s10, s8
	v_dual_mov_b32 v15, s11 :: v_dual_and_b32 v6, 0xffff, v6
	v_mov_b32_e32 v14, s10
	s_mov_b32 s10, exec_lo
	s_delay_alu instid0(VALU_DEP_2) | instskip(NEXT) | instid1(VALU_DEP_1)
	v_and_b32_e32 v16, 0x7f, v6
	v_cmpx_ne_u32_e32 0x7f, v16
	s_cbranch_execz .LBB237_1231
; %bb.1228:                             ;   in Loop: Header=BB237_808 Depth=1
	v_and_b32_e32 v6, 7, v6
	v_lshrrev_b32_e32 v14, 3, v16
	s_mov_b32 s16, exec_lo
	v_cmpx_gt_u32_e32 8, v16
; %bb.1229:                             ;   in Loop: Header=BB237_808 Depth=1
	s_delay_alu instid0(VALU_DEP_3) | instskip(NEXT) | instid1(VALU_DEP_1)
	v_clz_i32_u32_e32 v14, v6
	v_min_u32_e32 v14, 32, v14
	s_delay_alu instid0(VALU_DEP_1) | instskip(SKIP_1) | instid1(VALU_DEP_2)
	v_subrev_nc_u32_e32 v15, 28, v14
	v_sub_nc_u32_e32 v14, 29, v14
	v_lshlrev_b64 v[15:16], v15, v[6:7]
	s_delay_alu instid0(VALU_DEP_1)
	v_and_b32_e32 v6, 7, v15
; %bb.1230:                             ;   in Loop: Header=BB237_808 Depth=1
	s_or_b32 exec_lo, exec_lo, s16
	v_lshlrev_b32_e32 v15, 16, v180
	s_delay_alu instid0(VALU_DEP_2) | instskip(SKIP_1) | instid1(VALU_DEP_3)
	v_lshlrev_b32_e32 v6, 20, v6
	v_lshl_add_u32 v14, v14, 23, 0x3c000000
	v_and_b32_e32 v15, 0x80000000, v15
	s_delay_alu instid0(VALU_DEP_1)
	v_or3_b32 v15, v6, v15, v14
	v_mov_b32_e32 v14, v7
.LBB237_1231:                           ;   in Loop: Header=BB237_808 Depth=1
	s_or_b32 exec_lo, exec_lo, s10
.LBB237_1232:                           ;   in Loop: Header=BB237_808 Depth=1
	s_delay_alu instid0(SALU_CYCLE_1)
	s_or_b32 exec_lo, exec_lo, s15
.LBB237_1233:                           ;   in Loop: Header=BB237_808 Depth=1
	s_delay_alu instid0(SALU_CYCLE_1) | instskip(SKIP_4) | instid1(VALU_DEP_2)
	s_or_b32 exec_lo, exec_lo, s13
	v_mov_b32_e32 v18, 0
	v_lshrrev_b32_e32 v181, 16, v180
	v_mov_b32_e32 v19, 0
	s_mov_b32 s10, exec_lo
	v_and_b32_e32 v6, 0xff, v181
	s_delay_alu instid0(VALU_DEP_2) | instskip(NEXT) | instid1(VALU_DEP_2)
	v_dual_mov_b32 v16, v18 :: v_dual_mov_b32 v17, v19
	v_cmpx_ne_u16_e32 0, v6
	s_cbranch_execz .LBB237_1241
; %bb.1234:                             ;   in Loop: Header=BB237_808 Depth=1
	v_bfrev_b32_e32 v16, 1
	v_mov_b32_e32 v17, 0
	s_mov_b32 s13, exec_lo
	v_cmpx_ne_u16_e32 0x80, v6
	s_cbranch_execz .LBB237_1240
; %bb.1235:                             ;   in Loop: Header=BB237_808 Depth=1
	v_mov_b32_e32 v16, 0x7f800001
	v_bfe_u32 v182, v180, 16, 7
	v_mov_b32_e32 v17, 0
	s_mov_b32 s15, exec_lo
	s_delay_alu instid0(VALU_DEP_2)
	v_cmpx_ne_u32_e32 0x7f, v182
	s_cbranch_execz .LBB237_1239
; %bb.1236:                             ;   in Loop: Header=BB237_808 Depth=1
	v_and_b32_e32 v6, 7, v181
	v_lshrrev_b32_e32 v16, 3, v182
	s_mov_b32 s16, exec_lo
	v_cmpx_gt_u32_e32 8, v182
; %bb.1237:                             ;   in Loop: Header=BB237_808 Depth=1
	s_delay_alu instid0(VALU_DEP_3) | instskip(NEXT) | instid1(VALU_DEP_1)
	v_clz_i32_u32_e32 v16, v6
	v_min_u32_e32 v16, 32, v16
	s_delay_alu instid0(VALU_DEP_1) | instskip(SKIP_1) | instid1(VALU_DEP_2)
	v_subrev_nc_u32_e32 v17, 28, v16
	v_sub_nc_u32_e32 v16, 29, v16
	v_lshlrev_b64 v[182:183], v17, v[6:7]
	s_delay_alu instid0(VALU_DEP_1)
	v_and_b32_e32 v6, 7, v182
; %bb.1238:                             ;   in Loop: Header=BB237_808 Depth=1
	s_or_b32 exec_lo, exec_lo, s16
	v_lshlrev_b32_e32 v17, 24, v181
	s_delay_alu instid0(VALU_DEP_2) | instskip(SKIP_1) | instid1(VALU_DEP_3)
	v_lshlrev_b32_e32 v6, 20, v6
	v_lshl_add_u32 v16, v16, 23, 0x3c000000
	v_and_b32_e32 v17, 0x80000000, v17
	s_delay_alu instid0(VALU_DEP_1) | instskip(NEXT) | instid1(VALU_DEP_1)
	v_or3_b32 v6, v6, v17, v16
	v_dual_mov_b32 v17, v7 :: v_dual_mov_b32 v16, v6
.LBB237_1239:                           ;   in Loop: Header=BB237_808 Depth=1
	s_or_b32 exec_lo, exec_lo, s15
.LBB237_1240:                           ;   in Loop: Header=BB237_808 Depth=1
	s_delay_alu instid0(SALU_CYCLE_1)
	s_or_b32 exec_lo, exec_lo, s13
.LBB237_1241:                           ;   in Loop: Header=BB237_808 Depth=1
	s_delay_alu instid0(SALU_CYCLE_1) | instskip(NEXT) | instid1(SALU_CYCLE_1)
	s_or_b32 exec_lo, exec_lo, s10
	s_mov_b32 s13, exec_lo
	v_cmpx_lt_u32_e32 0xffffff, v180
	s_cbranch_execz .LBB237_1249
; %bb.1242:                             ;   in Loop: Header=BB237_808 Depth=1
	v_lshrrev_b32_e32 v181, 24, v180
	v_dual_mov_b32 v19, s9 :: v_dual_mov_b32 v18, s8
	s_mov_b32 s15, exec_lo
	s_delay_alu instid0(VALU_DEP_2)
	v_cmpx_ne_u32_e32 0x80, v181
	s_cbranch_execz .LBB237_1248
; %bb.1243:                             ;   in Loop: Header=BB237_808 Depth=1
	s_mov_b32 s10, s8
	v_bfe_u32 v180, v180, 24, 7
	v_dual_mov_b32 v19, s11 :: v_dual_mov_b32 v18, s10
	s_mov_b32 s10, exec_lo
	s_delay_alu instid0(VALU_DEP_2)
	v_cmpx_ne_u32_e32 0x7f, v180
	s_cbranch_execz .LBB237_1247
; %bb.1244:                             ;   in Loop: Header=BB237_808 Depth=1
	v_and_b32_e32 v6, 7, v181
	v_lshrrev_b32_e32 v18, 3, v180
	s_mov_b32 s16, exec_lo
	v_cmpx_gt_u32_e32 8, v180
; %bb.1245:                             ;   in Loop: Header=BB237_808 Depth=1
	s_delay_alu instid0(VALU_DEP_3) | instskip(NEXT) | instid1(VALU_DEP_1)
	v_clz_i32_u32_e32 v18, v6
	v_min_u32_e32 v18, 32, v18
	s_delay_alu instid0(VALU_DEP_1) | instskip(SKIP_1) | instid1(VALU_DEP_2)
	v_subrev_nc_u32_e32 v19, 28, v18
	v_sub_nc_u32_e32 v18, 29, v18
	v_lshlrev_b64 v[182:183], v19, v[6:7]
	s_delay_alu instid0(VALU_DEP_1)
	v_and_b32_e32 v6, 7, v182
; %bb.1246:                             ;   in Loop: Header=BB237_808 Depth=1
	s_or_b32 exec_lo, exec_lo, s16
	v_lshlrev_b32_e32 v19, 24, v181
	s_delay_alu instid0(VALU_DEP_2) | instskip(SKIP_1) | instid1(VALU_DEP_3)
	v_lshlrev_b32_e32 v6, 20, v6
	v_lshl_add_u32 v18, v18, 23, 0x3c000000
	v_and_b32_e32 v19, 0x80000000, v19
	s_delay_alu instid0(VALU_DEP_1)
	v_or3_b32 v19, v6, v19, v18
	v_mov_b32_e32 v18, v7
.LBB237_1247:                           ;   in Loop: Header=BB237_808 Depth=1
	s_or_b32 exec_lo, exec_lo, s10
.LBB237_1248:                           ;   in Loop: Header=BB237_808 Depth=1
	s_delay_alu instid0(SALU_CYCLE_1)
	s_or_b32 exec_lo, exec_lo, s15
.LBB237_1249:                           ;   in Loop: Header=BB237_808 Depth=1
	s_delay_alu instid0(SALU_CYCLE_1) | instskip(SKIP_4) | instid1(VALU_DEP_4)
	s_or_b32 exec_lo, exec_lo, s13
	v_or_b32_e32 v5, v15, v5
	v_or_b32_e32 v4, v14, v4
	;; [unrolled: 1-line block ×4, first 2 shown]
	v_mul_f32_e32 v183, v70, v5
	s_delay_alu instid0(VALU_DEP_4) | instskip(NEXT) | instid1(VALU_DEP_4)
	v_mul_f32_e32 v182, v70, v4
	v_mul_f32_e32 v180, v70, v6
	s_delay_alu instid0(VALU_DEP_4)
	v_mul_f32_e32 v181, v70, v14
	s_and_saveexec_b32 s10, vcc_lo
; %bb.1250:                             ;   in Loop: Header=BB237_808 Depth=1
	v_cmp_lt_i32_e64 s0, v83, v25
	s_delay_alu instid0(VALU_DEP_1) | instskip(SKIP_1) | instid1(VALU_DEP_1)
	v_cndmask_b32_e64 v182, 0, v182, s0
	v_cmp_lt_i32_e64 s0, v86, v25
	v_cndmask_b32_e64 v183, 0, v183, s0
	v_cmp_lt_i32_e64 s0, v85, v25
	s_delay_alu instid0(VALU_DEP_1) | instskip(SKIP_1) | instid1(VALU_DEP_1)
	v_cndmask_b32_e64 v181, 0, v181, s0
	v_cmp_lt_i32_e64 s0, v84, v25
	v_cndmask_b32_e64 v180, 0, v180, s0
; %bb.1251:                             ;   in Loop: Header=BB237_808 Depth=1
	s_or_b32 exec_lo, exec_lo, s10
	flat_load_b32 v40, v[12:13] offset:1664
	v_mov_b32_e32 v14, 0
	v_mov_b32_e32 v15, 0
	s_mov_b32 s10, exec_lo
	s_waitcnt vmcnt(0) lgkmcnt(0)
	v_and_b32_e32 v6, 0xff, v40
	s_delay_alu instid0(VALU_DEP_2) | instskip(NEXT) | instid1(VALU_DEP_2)
	v_dual_mov_b32 v4, v14 :: v_dual_mov_b32 v5, v15
	v_cmpx_ne_u16_e32 0, v6
	s_cbranch_execz .LBB237_1259
; %bb.1252:                             ;   in Loop: Header=BB237_808 Depth=1
	v_bfrev_b32_e32 v4, 1
	v_mov_b32_e32 v5, 0
	s_mov_b32 s13, exec_lo
	v_cmpx_ne_u16_e32 0x80, v6
	s_cbranch_execz .LBB237_1258
; %bb.1253:                             ;   in Loop: Header=BB237_808 Depth=1
	v_mov_b32_e32 v4, 0x7f800001
	v_dual_mov_b32 v5, 0 :: v_dual_and_b32 v16, 0x7f, v40
	s_mov_b32 s15, exec_lo
	s_delay_alu instid0(VALU_DEP_1)
	v_cmpx_ne_u32_e32 0x7f, v16
	s_cbranch_execz .LBB237_1257
; %bb.1254:                             ;   in Loop: Header=BB237_808 Depth=1
	v_and_b32_e32 v6, 7, v40
	v_lshrrev_b32_e32 v4, 3, v16
	s_mov_b32 s16, exec_lo
	v_cmpx_gt_u32_e32 8, v16
; %bb.1255:                             ;   in Loop: Header=BB237_808 Depth=1
	s_delay_alu instid0(VALU_DEP_3) | instskip(NEXT) | instid1(VALU_DEP_1)
	v_clz_i32_u32_e32 v4, v6
	v_min_u32_e32 v4, 32, v4
	s_delay_alu instid0(VALU_DEP_1) | instskip(SKIP_1) | instid1(VALU_DEP_2)
	v_subrev_nc_u32_e32 v5, 28, v4
	v_sub_nc_u32_e32 v4, 29, v4
	v_lshlrev_b64 v[5:6], v5, v[6:7]
	s_delay_alu instid0(VALU_DEP_1)
	v_and_b32_e32 v6, 7, v5
; %bb.1256:                             ;   in Loop: Header=BB237_808 Depth=1
	s_or_b32 exec_lo, exec_lo, s16
	v_lshlrev_b32_e32 v5, 24, v40
	s_delay_alu instid0(VALU_DEP_2) | instskip(SKIP_1) | instid1(VALU_DEP_3)
	v_lshlrev_b32_e32 v6, 20, v6
	v_lshl_add_u32 v4, v4, 23, 0x3c000000
	v_and_b32_e32 v5, 0x80000000, v5
	s_delay_alu instid0(VALU_DEP_1) | instskip(NEXT) | instid1(VALU_DEP_1)
	v_or3_b32 v6, v6, v5, v4
	v_dual_mov_b32 v4, v6 :: v_dual_mov_b32 v5, v7
.LBB237_1257:                           ;   in Loop: Header=BB237_808 Depth=1
	s_or_b32 exec_lo, exec_lo, s15
.LBB237_1258:                           ;   in Loop: Header=BB237_808 Depth=1
	s_delay_alu instid0(SALU_CYCLE_1)
	s_or_b32 exec_lo, exec_lo, s13
.LBB237_1259:                           ;   in Loop: Header=BB237_808 Depth=1
	s_delay_alu instid0(SALU_CYCLE_1) | instskip(SKIP_2) | instid1(VALU_DEP_1)
	s_or_b32 exec_lo, exec_lo, s10
	v_lshrrev_b16 v6, 8, v40
	s_mov_b32 s13, exec_lo
	v_cmpx_ne_u16_e32 0, v6
	s_cbranch_execz .LBB237_1267
; %bb.1260:                             ;   in Loop: Header=BB237_808 Depth=1
	v_dual_mov_b32 v15, s9 :: v_dual_mov_b32 v14, s8
	s_mov_b32 s15, exec_lo
	v_cmpx_ne_u16_e32 0x80, v6
	s_cbranch_execz .LBB237_1266
; %bb.1261:                             ;   in Loop: Header=BB237_808 Depth=1
	s_mov_b32 s10, s8
	v_dual_mov_b32 v15, s11 :: v_dual_and_b32 v6, 0xffff, v6
	v_mov_b32_e32 v14, s10
	s_mov_b32 s10, exec_lo
	s_delay_alu instid0(VALU_DEP_2) | instskip(NEXT) | instid1(VALU_DEP_1)
	v_and_b32_e32 v16, 0x7f, v6
	v_cmpx_ne_u32_e32 0x7f, v16
	s_cbranch_execz .LBB237_1265
; %bb.1262:                             ;   in Loop: Header=BB237_808 Depth=1
	v_and_b32_e32 v6, 7, v6
	v_lshrrev_b32_e32 v14, 3, v16
	s_mov_b32 s16, exec_lo
	v_cmpx_gt_u32_e32 8, v16
; %bb.1263:                             ;   in Loop: Header=BB237_808 Depth=1
	s_delay_alu instid0(VALU_DEP_3) | instskip(NEXT) | instid1(VALU_DEP_1)
	v_clz_i32_u32_e32 v14, v6
	v_min_u32_e32 v14, 32, v14
	s_delay_alu instid0(VALU_DEP_1) | instskip(SKIP_1) | instid1(VALU_DEP_2)
	v_subrev_nc_u32_e32 v15, 28, v14
	v_sub_nc_u32_e32 v14, 29, v14
	v_lshlrev_b64 v[15:16], v15, v[6:7]
	s_delay_alu instid0(VALU_DEP_1)
	v_and_b32_e32 v6, 7, v15
; %bb.1264:                             ;   in Loop: Header=BB237_808 Depth=1
	s_or_b32 exec_lo, exec_lo, s16
	v_lshlrev_b32_e32 v15, 16, v40
	s_delay_alu instid0(VALU_DEP_2) | instskip(SKIP_1) | instid1(VALU_DEP_3)
	v_lshlrev_b32_e32 v6, 20, v6
	v_lshl_add_u32 v14, v14, 23, 0x3c000000
	v_and_b32_e32 v15, 0x80000000, v15
	s_delay_alu instid0(VALU_DEP_1)
	v_or3_b32 v15, v6, v15, v14
	v_mov_b32_e32 v14, v7
.LBB237_1265:                           ;   in Loop: Header=BB237_808 Depth=1
	s_or_b32 exec_lo, exec_lo, s10
.LBB237_1266:                           ;   in Loop: Header=BB237_808 Depth=1
	s_delay_alu instid0(SALU_CYCLE_1)
	s_or_b32 exec_lo, exec_lo, s15
.LBB237_1267:                           ;   in Loop: Header=BB237_808 Depth=1
	s_delay_alu instid0(SALU_CYCLE_1) | instskip(SKIP_4) | instid1(VALU_DEP_2)
	s_or_b32 exec_lo, exec_lo, s13
	v_mov_b32_e32 v18, 0
	v_lshrrev_b32_e32 v41, 16, v40
	v_mov_b32_e32 v19, 0
	s_mov_b32 s10, exec_lo
	v_and_b32_e32 v6, 0xff, v41
	s_delay_alu instid0(VALU_DEP_2) | instskip(NEXT) | instid1(VALU_DEP_2)
	v_dual_mov_b32 v16, v18 :: v_dual_mov_b32 v17, v19
	v_cmpx_ne_u16_e32 0, v6
	s_cbranch_execz .LBB237_1275
; %bb.1268:                             ;   in Loop: Header=BB237_808 Depth=1
	v_bfrev_b32_e32 v16, 1
	v_mov_b32_e32 v17, 0
	s_mov_b32 s13, exec_lo
	v_cmpx_ne_u16_e32 0x80, v6
	s_cbranch_execz .LBB237_1274
; %bb.1269:                             ;   in Loop: Header=BB237_808 Depth=1
	v_mov_b32_e32 v16, 0x7f800001
	v_bfe_u32 v42, v40, 16, 7
	v_mov_b32_e32 v17, 0
	s_mov_b32 s15, exec_lo
	s_delay_alu instid0(VALU_DEP_2)
	v_cmpx_ne_u32_e32 0x7f, v42
	s_cbranch_execz .LBB237_1273
; %bb.1270:                             ;   in Loop: Header=BB237_808 Depth=1
	v_and_b32_e32 v6, 7, v41
	v_lshrrev_b32_e32 v16, 3, v42
	s_mov_b32 s16, exec_lo
	v_cmpx_gt_u32_e32 8, v42
; %bb.1271:                             ;   in Loop: Header=BB237_808 Depth=1
	s_delay_alu instid0(VALU_DEP_3) | instskip(NEXT) | instid1(VALU_DEP_1)
	v_clz_i32_u32_e32 v16, v6
	v_min_u32_e32 v16, 32, v16
	s_delay_alu instid0(VALU_DEP_1) | instskip(SKIP_1) | instid1(VALU_DEP_2)
	v_subrev_nc_u32_e32 v17, 28, v16
	v_sub_nc_u32_e32 v16, 29, v16
	v_lshlrev_b64 v[42:43], v17, v[6:7]
	s_delay_alu instid0(VALU_DEP_1)
	v_and_b32_e32 v6, 7, v42
; %bb.1272:                             ;   in Loop: Header=BB237_808 Depth=1
	s_or_b32 exec_lo, exec_lo, s16
	v_lshlrev_b32_e32 v17, 24, v41
	s_delay_alu instid0(VALU_DEP_2) | instskip(SKIP_1) | instid1(VALU_DEP_3)
	v_lshlrev_b32_e32 v6, 20, v6
	v_lshl_add_u32 v16, v16, 23, 0x3c000000
	v_and_b32_e32 v17, 0x80000000, v17
	s_delay_alu instid0(VALU_DEP_1) | instskip(NEXT) | instid1(VALU_DEP_1)
	v_or3_b32 v6, v6, v17, v16
	v_dual_mov_b32 v17, v7 :: v_dual_mov_b32 v16, v6
.LBB237_1273:                           ;   in Loop: Header=BB237_808 Depth=1
	s_or_b32 exec_lo, exec_lo, s15
.LBB237_1274:                           ;   in Loop: Header=BB237_808 Depth=1
	s_delay_alu instid0(SALU_CYCLE_1)
	s_or_b32 exec_lo, exec_lo, s13
.LBB237_1275:                           ;   in Loop: Header=BB237_808 Depth=1
	s_delay_alu instid0(SALU_CYCLE_1) | instskip(NEXT) | instid1(SALU_CYCLE_1)
	s_or_b32 exec_lo, exec_lo, s10
	s_mov_b32 s13, exec_lo
	v_cmpx_lt_u32_e32 0xffffff, v40
	s_cbranch_execz .LBB237_1283
; %bb.1276:                             ;   in Loop: Header=BB237_808 Depth=1
	v_lshrrev_b32_e32 v41, 24, v40
	v_dual_mov_b32 v19, s9 :: v_dual_mov_b32 v18, s8
	s_mov_b32 s15, exec_lo
	s_delay_alu instid0(VALU_DEP_2)
	v_cmpx_ne_u32_e32 0x80, v41
	s_cbranch_execz .LBB237_1282
; %bb.1277:                             ;   in Loop: Header=BB237_808 Depth=1
	s_mov_b32 s10, s8
	v_bfe_u32 v40, v40, 24, 7
	v_dual_mov_b32 v19, s11 :: v_dual_mov_b32 v18, s10
	s_mov_b32 s10, exec_lo
	s_delay_alu instid0(VALU_DEP_2)
	v_cmpx_ne_u32_e32 0x7f, v40
	s_cbranch_execz .LBB237_1281
; %bb.1278:                             ;   in Loop: Header=BB237_808 Depth=1
	v_and_b32_e32 v6, 7, v41
	v_lshrrev_b32_e32 v18, 3, v40
	s_mov_b32 s16, exec_lo
	v_cmpx_gt_u32_e32 8, v40
; %bb.1279:                             ;   in Loop: Header=BB237_808 Depth=1
	s_delay_alu instid0(VALU_DEP_3) | instskip(NEXT) | instid1(VALU_DEP_1)
	v_clz_i32_u32_e32 v18, v6
	v_min_u32_e32 v18, 32, v18
	s_delay_alu instid0(VALU_DEP_1) | instskip(SKIP_1) | instid1(VALU_DEP_2)
	v_subrev_nc_u32_e32 v19, 28, v18
	v_sub_nc_u32_e32 v18, 29, v18
	v_lshlrev_b64 v[42:43], v19, v[6:7]
	s_delay_alu instid0(VALU_DEP_1)
	v_and_b32_e32 v6, 7, v42
; %bb.1280:                             ;   in Loop: Header=BB237_808 Depth=1
	s_or_b32 exec_lo, exec_lo, s16
	v_lshlrev_b32_e32 v19, 24, v41
	s_delay_alu instid0(VALU_DEP_2) | instskip(SKIP_1) | instid1(VALU_DEP_3)
	v_lshlrev_b32_e32 v6, 20, v6
	v_lshl_add_u32 v18, v18, 23, 0x3c000000
	v_and_b32_e32 v19, 0x80000000, v19
	s_delay_alu instid0(VALU_DEP_1)
	v_or3_b32 v19, v6, v19, v18
	v_mov_b32_e32 v18, v7
.LBB237_1281:                           ;   in Loop: Header=BB237_808 Depth=1
	s_or_b32 exec_lo, exec_lo, s10
.LBB237_1282:                           ;   in Loop: Header=BB237_808 Depth=1
	s_delay_alu instid0(SALU_CYCLE_1)
	s_or_b32 exec_lo, exec_lo, s15
.LBB237_1283:                           ;   in Loop: Header=BB237_808 Depth=1
	s_delay_alu instid0(SALU_CYCLE_1) | instskip(SKIP_4) | instid1(VALU_DEP_4)
	s_or_b32 exec_lo, exec_lo, s13
	v_or_b32_e32 v5, v15, v5
	v_or_b32_e32 v4, v14, v4
	;; [unrolled: 1-line block ×4, first 2 shown]
	v_mul_f32_e32 v43, v70, v5
	s_delay_alu instid0(VALU_DEP_4) | instskip(NEXT) | instid1(VALU_DEP_4)
	v_mul_f32_e32 v42, v70, v4
	v_mul_f32_e32 v40, v70, v6
	s_delay_alu instid0(VALU_DEP_4)
	v_mul_f32_e32 v41, v70, v14
	s_and_saveexec_b32 s10, vcc_lo
; %bb.1284:                             ;   in Loop: Header=BB237_808 Depth=1
	v_cmp_lt_i32_e64 s0, v83, v25
	s_delay_alu instid0(VALU_DEP_1) | instskip(SKIP_1) | instid1(VALU_DEP_1)
	v_cndmask_b32_e64 v42, 0, v42, s0
	v_cmp_lt_i32_e64 s0, v86, v25
	v_cndmask_b32_e64 v43, 0, v43, s0
	v_cmp_lt_i32_e64 s0, v85, v25
	s_delay_alu instid0(VALU_DEP_1) | instskip(SKIP_1) | instid1(VALU_DEP_1)
	v_cndmask_b32_e64 v41, 0, v41, s0
	v_cmp_lt_i32_e64 s0, v84, v25
	v_cndmask_b32_e64 v40, 0, v40, s0
; %bb.1285:                             ;   in Loop: Header=BB237_808 Depth=1
	s_or_b32 exec_lo, exec_lo, s10
	flat_load_b32 v44, v[12:13] offset:1792
	v_mov_b32_e32 v14, 0
	v_mov_b32_e32 v15, 0
	s_mov_b32 s10, exec_lo
	s_waitcnt vmcnt(0) lgkmcnt(0)
	v_and_b32_e32 v6, 0xff, v44
	s_delay_alu instid0(VALU_DEP_2) | instskip(NEXT) | instid1(VALU_DEP_2)
	v_dual_mov_b32 v4, v14 :: v_dual_mov_b32 v5, v15
	v_cmpx_ne_u16_e32 0, v6
	s_cbranch_execz .LBB237_1293
; %bb.1286:                             ;   in Loop: Header=BB237_808 Depth=1
	v_bfrev_b32_e32 v4, 1
	v_mov_b32_e32 v5, 0
	s_mov_b32 s13, exec_lo
	v_cmpx_ne_u16_e32 0x80, v6
	s_cbranch_execz .LBB237_1292
; %bb.1287:                             ;   in Loop: Header=BB237_808 Depth=1
	v_mov_b32_e32 v4, 0x7f800001
	v_dual_mov_b32 v5, 0 :: v_dual_and_b32 v16, 0x7f, v44
	s_mov_b32 s15, exec_lo
	s_delay_alu instid0(VALU_DEP_1)
	v_cmpx_ne_u32_e32 0x7f, v16
	s_cbranch_execz .LBB237_1291
; %bb.1288:                             ;   in Loop: Header=BB237_808 Depth=1
	v_and_b32_e32 v6, 7, v44
	v_lshrrev_b32_e32 v4, 3, v16
	s_mov_b32 s16, exec_lo
	v_cmpx_gt_u32_e32 8, v16
; %bb.1289:                             ;   in Loop: Header=BB237_808 Depth=1
	s_delay_alu instid0(VALU_DEP_3) | instskip(NEXT) | instid1(VALU_DEP_1)
	v_clz_i32_u32_e32 v4, v6
	v_min_u32_e32 v4, 32, v4
	s_delay_alu instid0(VALU_DEP_1) | instskip(SKIP_1) | instid1(VALU_DEP_2)
	v_subrev_nc_u32_e32 v5, 28, v4
	v_sub_nc_u32_e32 v4, 29, v4
	v_lshlrev_b64 v[5:6], v5, v[6:7]
	s_delay_alu instid0(VALU_DEP_1)
	v_and_b32_e32 v6, 7, v5
; %bb.1290:                             ;   in Loop: Header=BB237_808 Depth=1
	s_or_b32 exec_lo, exec_lo, s16
	v_lshlrev_b32_e32 v5, 24, v44
	s_delay_alu instid0(VALU_DEP_2) | instskip(SKIP_1) | instid1(VALU_DEP_3)
	v_lshlrev_b32_e32 v6, 20, v6
	v_lshl_add_u32 v4, v4, 23, 0x3c000000
	v_and_b32_e32 v5, 0x80000000, v5
	s_delay_alu instid0(VALU_DEP_1) | instskip(NEXT) | instid1(VALU_DEP_1)
	v_or3_b32 v6, v6, v5, v4
	v_dual_mov_b32 v4, v6 :: v_dual_mov_b32 v5, v7
.LBB237_1291:                           ;   in Loop: Header=BB237_808 Depth=1
	s_or_b32 exec_lo, exec_lo, s15
.LBB237_1292:                           ;   in Loop: Header=BB237_808 Depth=1
	s_delay_alu instid0(SALU_CYCLE_1)
	s_or_b32 exec_lo, exec_lo, s13
.LBB237_1293:                           ;   in Loop: Header=BB237_808 Depth=1
	s_delay_alu instid0(SALU_CYCLE_1) | instskip(SKIP_2) | instid1(VALU_DEP_1)
	s_or_b32 exec_lo, exec_lo, s10
	v_lshrrev_b16 v6, 8, v44
	s_mov_b32 s13, exec_lo
	v_cmpx_ne_u16_e32 0, v6
	s_cbranch_execz .LBB237_1301
; %bb.1294:                             ;   in Loop: Header=BB237_808 Depth=1
	v_dual_mov_b32 v15, s9 :: v_dual_mov_b32 v14, s8
	s_mov_b32 s15, exec_lo
	v_cmpx_ne_u16_e32 0x80, v6
	s_cbranch_execz .LBB237_1300
; %bb.1295:                             ;   in Loop: Header=BB237_808 Depth=1
	s_mov_b32 s10, s8
	v_dual_mov_b32 v15, s11 :: v_dual_and_b32 v6, 0xffff, v6
	v_mov_b32_e32 v14, s10
	s_mov_b32 s10, exec_lo
	s_delay_alu instid0(VALU_DEP_2) | instskip(NEXT) | instid1(VALU_DEP_1)
	v_and_b32_e32 v16, 0x7f, v6
	v_cmpx_ne_u32_e32 0x7f, v16
	s_cbranch_execz .LBB237_1299
; %bb.1296:                             ;   in Loop: Header=BB237_808 Depth=1
	v_and_b32_e32 v6, 7, v6
	v_lshrrev_b32_e32 v14, 3, v16
	s_mov_b32 s16, exec_lo
	v_cmpx_gt_u32_e32 8, v16
; %bb.1297:                             ;   in Loop: Header=BB237_808 Depth=1
	s_delay_alu instid0(VALU_DEP_3) | instskip(NEXT) | instid1(VALU_DEP_1)
	v_clz_i32_u32_e32 v14, v6
	v_min_u32_e32 v14, 32, v14
	s_delay_alu instid0(VALU_DEP_1) | instskip(SKIP_1) | instid1(VALU_DEP_2)
	v_subrev_nc_u32_e32 v15, 28, v14
	v_sub_nc_u32_e32 v14, 29, v14
	v_lshlrev_b64 v[15:16], v15, v[6:7]
	s_delay_alu instid0(VALU_DEP_1)
	v_and_b32_e32 v6, 7, v15
; %bb.1298:                             ;   in Loop: Header=BB237_808 Depth=1
	s_or_b32 exec_lo, exec_lo, s16
	v_lshlrev_b32_e32 v15, 16, v44
	s_delay_alu instid0(VALU_DEP_2) | instskip(SKIP_1) | instid1(VALU_DEP_3)
	v_lshlrev_b32_e32 v6, 20, v6
	v_lshl_add_u32 v14, v14, 23, 0x3c000000
	v_and_b32_e32 v15, 0x80000000, v15
	s_delay_alu instid0(VALU_DEP_1)
	v_or3_b32 v15, v6, v15, v14
	v_mov_b32_e32 v14, v7
.LBB237_1299:                           ;   in Loop: Header=BB237_808 Depth=1
	s_or_b32 exec_lo, exec_lo, s10
.LBB237_1300:                           ;   in Loop: Header=BB237_808 Depth=1
	s_delay_alu instid0(SALU_CYCLE_1)
	s_or_b32 exec_lo, exec_lo, s15
.LBB237_1301:                           ;   in Loop: Header=BB237_808 Depth=1
	s_delay_alu instid0(SALU_CYCLE_1) | instskip(SKIP_4) | instid1(VALU_DEP_2)
	s_or_b32 exec_lo, exec_lo, s13
	v_mov_b32_e32 v18, 0
	v_lshrrev_b32_e32 v45, 16, v44
	v_mov_b32_e32 v19, 0
	s_mov_b32 s10, exec_lo
	v_and_b32_e32 v6, 0xff, v45
	s_delay_alu instid0(VALU_DEP_2) | instskip(NEXT) | instid1(VALU_DEP_2)
	v_dual_mov_b32 v16, v18 :: v_dual_mov_b32 v17, v19
	v_cmpx_ne_u16_e32 0, v6
	s_cbranch_execz .LBB237_1309
; %bb.1302:                             ;   in Loop: Header=BB237_808 Depth=1
	v_bfrev_b32_e32 v16, 1
	v_mov_b32_e32 v17, 0
	s_mov_b32 s13, exec_lo
	v_cmpx_ne_u16_e32 0x80, v6
	s_cbranch_execz .LBB237_1308
; %bb.1303:                             ;   in Loop: Header=BB237_808 Depth=1
	v_mov_b32_e32 v16, 0x7f800001
	v_bfe_u32 v46, v44, 16, 7
	v_mov_b32_e32 v17, 0
	s_mov_b32 s15, exec_lo
	s_delay_alu instid0(VALU_DEP_2)
	v_cmpx_ne_u32_e32 0x7f, v46
	s_cbranch_execz .LBB237_1307
; %bb.1304:                             ;   in Loop: Header=BB237_808 Depth=1
	v_and_b32_e32 v6, 7, v45
	v_lshrrev_b32_e32 v16, 3, v46
	s_mov_b32 s16, exec_lo
	v_cmpx_gt_u32_e32 8, v46
; %bb.1305:                             ;   in Loop: Header=BB237_808 Depth=1
	s_delay_alu instid0(VALU_DEP_3) | instskip(NEXT) | instid1(VALU_DEP_1)
	v_clz_i32_u32_e32 v16, v6
	v_min_u32_e32 v16, 32, v16
	s_delay_alu instid0(VALU_DEP_1) | instskip(SKIP_1) | instid1(VALU_DEP_2)
	v_subrev_nc_u32_e32 v17, 28, v16
	v_sub_nc_u32_e32 v16, 29, v16
	v_lshlrev_b64 v[56:57], v17, v[6:7]
	s_delay_alu instid0(VALU_DEP_1)
	v_and_b32_e32 v6, 7, v56
; %bb.1306:                             ;   in Loop: Header=BB237_808 Depth=1
	s_or_b32 exec_lo, exec_lo, s16
	v_lshlrev_b32_e32 v17, 24, v45
	s_delay_alu instid0(VALU_DEP_2) | instskip(SKIP_1) | instid1(VALU_DEP_3)
	v_lshlrev_b32_e32 v6, 20, v6
	v_lshl_add_u32 v16, v16, 23, 0x3c000000
	v_and_b32_e32 v17, 0x80000000, v17
	s_delay_alu instid0(VALU_DEP_1) | instskip(NEXT) | instid1(VALU_DEP_1)
	v_or3_b32 v6, v6, v17, v16
	v_dual_mov_b32 v17, v7 :: v_dual_mov_b32 v16, v6
.LBB237_1307:                           ;   in Loop: Header=BB237_808 Depth=1
	s_or_b32 exec_lo, exec_lo, s15
.LBB237_1308:                           ;   in Loop: Header=BB237_808 Depth=1
	s_delay_alu instid0(SALU_CYCLE_1)
	s_or_b32 exec_lo, exec_lo, s13
.LBB237_1309:                           ;   in Loop: Header=BB237_808 Depth=1
	s_delay_alu instid0(SALU_CYCLE_1) | instskip(NEXT) | instid1(SALU_CYCLE_1)
	s_or_b32 exec_lo, exec_lo, s10
	s_mov_b32 s13, exec_lo
	v_cmpx_lt_u32_e32 0xffffff, v44
	s_cbranch_execz .LBB237_1317
; %bb.1310:                             ;   in Loop: Header=BB237_808 Depth=1
	v_lshrrev_b32_e32 v45, 24, v44
	v_dual_mov_b32 v19, s9 :: v_dual_mov_b32 v18, s8
	s_mov_b32 s15, exec_lo
	s_delay_alu instid0(VALU_DEP_2)
	v_cmpx_ne_u32_e32 0x80, v45
	s_cbranch_execz .LBB237_1316
; %bb.1311:                             ;   in Loop: Header=BB237_808 Depth=1
	s_mov_b32 s10, s8
	v_bfe_u32 v44, v44, 24, 7
	v_dual_mov_b32 v19, s11 :: v_dual_mov_b32 v18, s10
	s_mov_b32 s10, exec_lo
	s_delay_alu instid0(VALU_DEP_2)
	v_cmpx_ne_u32_e32 0x7f, v44
	s_cbranch_execz .LBB237_1315
; %bb.1312:                             ;   in Loop: Header=BB237_808 Depth=1
	v_and_b32_e32 v6, 7, v45
	v_lshrrev_b32_e32 v18, 3, v44
	s_mov_b32 s16, exec_lo
	v_cmpx_gt_u32_e32 8, v44
; %bb.1313:                             ;   in Loop: Header=BB237_808 Depth=1
	s_delay_alu instid0(VALU_DEP_3) | instskip(NEXT) | instid1(VALU_DEP_1)
	v_clz_i32_u32_e32 v18, v6
	v_min_u32_e32 v18, 32, v18
	s_delay_alu instid0(VALU_DEP_1) | instskip(SKIP_1) | instid1(VALU_DEP_2)
	v_subrev_nc_u32_e32 v19, 28, v18
	v_sub_nc_u32_e32 v18, 29, v18
	v_lshlrev_b64 v[56:57], v19, v[6:7]
	s_delay_alu instid0(VALU_DEP_1)
	v_and_b32_e32 v6, 7, v56
; %bb.1314:                             ;   in Loop: Header=BB237_808 Depth=1
	s_or_b32 exec_lo, exec_lo, s16
	v_lshlrev_b32_e32 v19, 24, v45
	s_delay_alu instid0(VALU_DEP_2) | instskip(SKIP_1) | instid1(VALU_DEP_3)
	v_lshlrev_b32_e32 v6, 20, v6
	v_lshl_add_u32 v18, v18, 23, 0x3c000000
	v_and_b32_e32 v19, 0x80000000, v19
	s_delay_alu instid0(VALU_DEP_1)
	v_or3_b32 v19, v6, v19, v18
	v_mov_b32_e32 v18, v7
.LBB237_1315:                           ;   in Loop: Header=BB237_808 Depth=1
	s_or_b32 exec_lo, exec_lo, s10
.LBB237_1316:                           ;   in Loop: Header=BB237_808 Depth=1
	s_delay_alu instid0(SALU_CYCLE_1)
	s_or_b32 exec_lo, exec_lo, s15
.LBB237_1317:                           ;   in Loop: Header=BB237_808 Depth=1
	s_delay_alu instid0(SALU_CYCLE_1) | instskip(SKIP_4) | instid1(VALU_DEP_4)
	s_or_b32 exec_lo, exec_lo, s13
	v_or_b32_e32 v5, v15, v5
	v_or_b32_e32 v4, v14, v4
	;; [unrolled: 1-line block ×4, first 2 shown]
	v_mul_f32_e32 v56, v70, v5
	s_delay_alu instid0(VALU_DEP_4) | instskip(NEXT) | instid1(VALU_DEP_4)
	v_mul_f32_e32 v46, v70, v4
	v_mul_f32_e32 v44, v70, v6
	s_delay_alu instid0(VALU_DEP_4)
	v_mul_f32_e32 v45, v70, v14
	s_and_saveexec_b32 s10, vcc_lo
; %bb.1318:                             ;   in Loop: Header=BB237_808 Depth=1
	v_cmp_lt_i32_e64 s0, v83, v25
	s_delay_alu instid0(VALU_DEP_1) | instskip(SKIP_1) | instid1(VALU_DEP_1)
	v_cndmask_b32_e64 v46, 0, v46, s0
	v_cmp_lt_i32_e64 s0, v86, v25
	v_cndmask_b32_e64 v56, 0, v56, s0
	v_cmp_lt_i32_e64 s0, v85, v25
	s_delay_alu instid0(VALU_DEP_1) | instskip(SKIP_1) | instid1(VALU_DEP_1)
	v_cndmask_b32_e64 v45, 0, v45, s0
	v_cmp_lt_i32_e64 s0, v84, v25
	v_cndmask_b32_e64 v44, 0, v44, s0
; %bb.1319:                             ;   in Loop: Header=BB237_808 Depth=1
	s_or_b32 exec_lo, exec_lo, s10
	flat_load_b32 v57, v[12:13] offset:1920
	v_mov_b32_e32 v14, 0
	v_mov_b32_e32 v15, 0
	s_mov_b32 s10, exec_lo
	s_waitcnt vmcnt(0) lgkmcnt(0)
	v_and_b32_e32 v6, 0xff, v57
	s_delay_alu instid0(VALU_DEP_2) | instskip(NEXT) | instid1(VALU_DEP_2)
	v_dual_mov_b32 v4, v14 :: v_dual_mov_b32 v5, v15
	v_cmpx_ne_u16_e32 0, v6
	s_cbranch_execz .LBB237_1327
; %bb.1320:                             ;   in Loop: Header=BB237_808 Depth=1
	v_bfrev_b32_e32 v4, 1
	v_mov_b32_e32 v5, 0
	s_mov_b32 s13, exec_lo
	v_cmpx_ne_u16_e32 0x80, v6
	s_cbranch_execz .LBB237_1326
; %bb.1321:                             ;   in Loop: Header=BB237_808 Depth=1
	v_mov_b32_e32 v4, 0x7f800001
	v_dual_mov_b32 v5, 0 :: v_dual_and_b32 v16, 0x7f, v57
	s_mov_b32 s15, exec_lo
	s_delay_alu instid0(VALU_DEP_1)
	v_cmpx_ne_u32_e32 0x7f, v16
	s_cbranch_execz .LBB237_1325
; %bb.1322:                             ;   in Loop: Header=BB237_808 Depth=1
	v_and_b32_e32 v6, 7, v57
	v_lshrrev_b32_e32 v4, 3, v16
	s_mov_b32 s16, exec_lo
	v_cmpx_gt_u32_e32 8, v16
; %bb.1323:                             ;   in Loop: Header=BB237_808 Depth=1
	s_delay_alu instid0(VALU_DEP_3) | instskip(NEXT) | instid1(VALU_DEP_1)
	v_clz_i32_u32_e32 v4, v6
	v_min_u32_e32 v4, 32, v4
	s_delay_alu instid0(VALU_DEP_1) | instskip(SKIP_1) | instid1(VALU_DEP_2)
	v_subrev_nc_u32_e32 v5, 28, v4
	v_sub_nc_u32_e32 v4, 29, v4
	v_lshlrev_b64 v[5:6], v5, v[6:7]
	s_delay_alu instid0(VALU_DEP_1)
	v_and_b32_e32 v6, 7, v5
; %bb.1324:                             ;   in Loop: Header=BB237_808 Depth=1
	s_or_b32 exec_lo, exec_lo, s16
	v_lshlrev_b32_e32 v5, 24, v57
	s_delay_alu instid0(VALU_DEP_2) | instskip(SKIP_1) | instid1(VALU_DEP_3)
	v_lshlrev_b32_e32 v6, 20, v6
	v_lshl_add_u32 v4, v4, 23, 0x3c000000
	v_and_b32_e32 v5, 0x80000000, v5
	s_delay_alu instid0(VALU_DEP_1) | instskip(NEXT) | instid1(VALU_DEP_1)
	v_or3_b32 v6, v6, v5, v4
	v_dual_mov_b32 v4, v6 :: v_dual_mov_b32 v5, v7
.LBB237_1325:                           ;   in Loop: Header=BB237_808 Depth=1
	s_or_b32 exec_lo, exec_lo, s15
.LBB237_1326:                           ;   in Loop: Header=BB237_808 Depth=1
	s_delay_alu instid0(SALU_CYCLE_1)
	s_or_b32 exec_lo, exec_lo, s13
.LBB237_1327:                           ;   in Loop: Header=BB237_808 Depth=1
	s_delay_alu instid0(SALU_CYCLE_1) | instskip(SKIP_2) | instid1(VALU_DEP_1)
	s_or_b32 exec_lo, exec_lo, s10
	v_lshrrev_b16 v6, 8, v57
	s_mov_b32 s13, exec_lo
	v_cmpx_ne_u16_e32 0, v6
	s_cbranch_execz .LBB237_1335
; %bb.1328:                             ;   in Loop: Header=BB237_808 Depth=1
	v_dual_mov_b32 v15, s9 :: v_dual_mov_b32 v14, s8
	s_mov_b32 s15, exec_lo
	v_cmpx_ne_u16_e32 0x80, v6
	s_cbranch_execz .LBB237_1334
; %bb.1329:                             ;   in Loop: Header=BB237_808 Depth=1
	s_mov_b32 s10, s8
	v_dual_mov_b32 v15, s11 :: v_dual_and_b32 v6, 0xffff, v6
	v_mov_b32_e32 v14, s10
	s_mov_b32 s10, exec_lo
	s_delay_alu instid0(VALU_DEP_2) | instskip(NEXT) | instid1(VALU_DEP_1)
	v_and_b32_e32 v16, 0x7f, v6
	v_cmpx_ne_u32_e32 0x7f, v16
	s_cbranch_execz .LBB237_1333
; %bb.1330:                             ;   in Loop: Header=BB237_808 Depth=1
	v_and_b32_e32 v6, 7, v6
	v_lshrrev_b32_e32 v14, 3, v16
	s_mov_b32 s16, exec_lo
	v_cmpx_gt_u32_e32 8, v16
; %bb.1331:                             ;   in Loop: Header=BB237_808 Depth=1
	s_delay_alu instid0(VALU_DEP_3) | instskip(NEXT) | instid1(VALU_DEP_1)
	v_clz_i32_u32_e32 v14, v6
	v_min_u32_e32 v14, 32, v14
	s_delay_alu instid0(VALU_DEP_1) | instskip(SKIP_1) | instid1(VALU_DEP_2)
	v_subrev_nc_u32_e32 v15, 28, v14
	v_sub_nc_u32_e32 v14, 29, v14
	v_lshlrev_b64 v[15:16], v15, v[6:7]
	s_delay_alu instid0(VALU_DEP_1)
	v_and_b32_e32 v6, 7, v15
; %bb.1332:                             ;   in Loop: Header=BB237_808 Depth=1
	s_or_b32 exec_lo, exec_lo, s16
	v_lshlrev_b32_e32 v15, 16, v57
	s_delay_alu instid0(VALU_DEP_2) | instskip(SKIP_1) | instid1(VALU_DEP_3)
	v_lshlrev_b32_e32 v6, 20, v6
	v_lshl_add_u32 v14, v14, 23, 0x3c000000
	v_and_b32_e32 v15, 0x80000000, v15
	s_delay_alu instid0(VALU_DEP_1)
	v_or3_b32 v15, v6, v15, v14
	v_mov_b32_e32 v14, v7
.LBB237_1333:                           ;   in Loop: Header=BB237_808 Depth=1
	s_or_b32 exec_lo, exec_lo, s10
.LBB237_1334:                           ;   in Loop: Header=BB237_808 Depth=1
	s_delay_alu instid0(SALU_CYCLE_1)
	s_or_b32 exec_lo, exec_lo, s15
.LBB237_1335:                           ;   in Loop: Header=BB237_808 Depth=1
	s_delay_alu instid0(SALU_CYCLE_1) | instskip(SKIP_4) | instid1(VALU_DEP_2)
	s_or_b32 exec_lo, exec_lo, s13
	v_mov_b32_e32 v18, 0
	v_lshrrev_b32_e32 v58, 16, v57
	v_mov_b32_e32 v19, 0
	s_mov_b32 s10, exec_lo
	v_and_b32_e32 v6, 0xff, v58
	s_delay_alu instid0(VALU_DEP_2) | instskip(NEXT) | instid1(VALU_DEP_2)
	v_dual_mov_b32 v16, v18 :: v_dual_mov_b32 v17, v19
	v_cmpx_ne_u16_e32 0, v6
	s_cbranch_execz .LBB237_1343
; %bb.1336:                             ;   in Loop: Header=BB237_808 Depth=1
	v_bfrev_b32_e32 v16, 1
	v_mov_b32_e32 v17, 0
	s_mov_b32 s13, exec_lo
	v_cmpx_ne_u16_e32 0x80, v6
	s_cbranch_execz .LBB237_1342
; %bb.1337:                             ;   in Loop: Header=BB237_808 Depth=1
	v_mov_b32_e32 v16, 0x7f800001
	v_bfe_u32 v59, v57, 16, 7
	v_mov_b32_e32 v17, 0
	s_mov_b32 s15, exec_lo
	s_delay_alu instid0(VALU_DEP_2)
	v_cmpx_ne_u32_e32 0x7f, v59
	s_cbranch_execz .LBB237_1341
; %bb.1338:                             ;   in Loop: Header=BB237_808 Depth=1
	v_and_b32_e32 v6, 7, v58
	v_lshrrev_b32_e32 v16, 3, v59
	s_mov_b32 s16, exec_lo
	v_cmpx_gt_u32_e32 8, v59
; %bb.1339:                             ;   in Loop: Header=BB237_808 Depth=1
	s_delay_alu instid0(VALU_DEP_3) | instskip(NEXT) | instid1(VALU_DEP_1)
	v_clz_i32_u32_e32 v16, v6
	v_min_u32_e32 v16, 32, v16
	s_delay_alu instid0(VALU_DEP_1) | instskip(SKIP_1) | instid1(VALU_DEP_2)
	v_subrev_nc_u32_e32 v17, 28, v16
	v_sub_nc_u32_e32 v16, 29, v16
	v_lshlrev_b64 v[59:60], v17, v[6:7]
	s_delay_alu instid0(VALU_DEP_1)
	v_and_b32_e32 v6, 7, v59
; %bb.1340:                             ;   in Loop: Header=BB237_808 Depth=1
	s_or_b32 exec_lo, exec_lo, s16
	v_lshlrev_b32_e32 v17, 24, v58
	s_delay_alu instid0(VALU_DEP_2) | instskip(SKIP_1) | instid1(VALU_DEP_3)
	v_lshlrev_b32_e32 v6, 20, v6
	v_lshl_add_u32 v16, v16, 23, 0x3c000000
	v_and_b32_e32 v17, 0x80000000, v17
	s_delay_alu instid0(VALU_DEP_1) | instskip(NEXT) | instid1(VALU_DEP_1)
	v_or3_b32 v6, v6, v17, v16
	v_dual_mov_b32 v17, v7 :: v_dual_mov_b32 v16, v6
.LBB237_1341:                           ;   in Loop: Header=BB237_808 Depth=1
	s_or_b32 exec_lo, exec_lo, s15
.LBB237_1342:                           ;   in Loop: Header=BB237_808 Depth=1
	s_delay_alu instid0(SALU_CYCLE_1)
	s_or_b32 exec_lo, exec_lo, s13
.LBB237_1343:                           ;   in Loop: Header=BB237_808 Depth=1
	s_delay_alu instid0(SALU_CYCLE_1) | instskip(NEXT) | instid1(SALU_CYCLE_1)
	s_or_b32 exec_lo, exec_lo, s10
	s_mov_b32 s13, exec_lo
	v_cmpx_lt_u32_e32 0xffffff, v57
	s_cbranch_execz .LBB237_1351
; %bb.1344:                             ;   in Loop: Header=BB237_808 Depth=1
	v_lshrrev_b32_e32 v58, 24, v57
	v_dual_mov_b32 v19, s9 :: v_dual_mov_b32 v18, s8
	s_mov_b32 s15, exec_lo
	s_delay_alu instid0(VALU_DEP_2)
	v_cmpx_ne_u32_e32 0x80, v58
	s_cbranch_execz .LBB237_1350
; %bb.1345:                             ;   in Loop: Header=BB237_808 Depth=1
	s_mov_b32 s10, s8
	v_bfe_u32 v57, v57, 24, 7
	v_dual_mov_b32 v19, s11 :: v_dual_mov_b32 v18, s10
	s_mov_b32 s10, exec_lo
	s_delay_alu instid0(VALU_DEP_2)
	v_cmpx_ne_u32_e32 0x7f, v57
	s_cbranch_execz .LBB237_1349
; %bb.1346:                             ;   in Loop: Header=BB237_808 Depth=1
	v_and_b32_e32 v6, 7, v58
	v_lshrrev_b32_e32 v18, 3, v57
	s_mov_b32 s16, exec_lo
	v_cmpx_gt_u32_e32 8, v57
; %bb.1347:                             ;   in Loop: Header=BB237_808 Depth=1
	s_delay_alu instid0(VALU_DEP_3) | instskip(NEXT) | instid1(VALU_DEP_1)
	v_clz_i32_u32_e32 v18, v6
	v_min_u32_e32 v18, 32, v18
	s_delay_alu instid0(VALU_DEP_1) | instskip(SKIP_1) | instid1(VALU_DEP_2)
	v_subrev_nc_u32_e32 v19, 28, v18
	v_sub_nc_u32_e32 v18, 29, v18
	v_lshlrev_b64 v[59:60], v19, v[6:7]
	s_delay_alu instid0(VALU_DEP_1)
	v_and_b32_e32 v6, 7, v59
; %bb.1348:                             ;   in Loop: Header=BB237_808 Depth=1
	s_or_b32 exec_lo, exec_lo, s16
	v_lshlrev_b32_e32 v19, 24, v58
	s_delay_alu instid0(VALU_DEP_2) | instskip(SKIP_1) | instid1(VALU_DEP_3)
	v_lshlrev_b32_e32 v6, 20, v6
	v_lshl_add_u32 v18, v18, 23, 0x3c000000
	v_and_b32_e32 v19, 0x80000000, v19
	s_delay_alu instid0(VALU_DEP_1)
	v_or3_b32 v19, v6, v19, v18
	v_mov_b32_e32 v18, v7
.LBB237_1349:                           ;   in Loop: Header=BB237_808 Depth=1
	s_or_b32 exec_lo, exec_lo, s10
.LBB237_1350:                           ;   in Loop: Header=BB237_808 Depth=1
	s_delay_alu instid0(SALU_CYCLE_1)
	s_or_b32 exec_lo, exec_lo, s15
.LBB237_1351:                           ;   in Loop: Header=BB237_808 Depth=1
	s_delay_alu instid0(SALU_CYCLE_1) | instskip(SKIP_4) | instid1(VALU_DEP_4)
	s_or_b32 exec_lo, exec_lo, s13
	v_or_b32_e32 v5, v15, v5
	v_or_b32_e32 v4, v14, v4
	;; [unrolled: 1-line block ×4, first 2 shown]
	v_mul_f32_e32 v60, v70, v5
	s_delay_alu instid0(VALU_DEP_4) | instskip(NEXT) | instid1(VALU_DEP_4)
	v_mul_f32_e32 v59, v70, v4
	v_mul_f32_e32 v57, v70, v6
	s_delay_alu instid0(VALU_DEP_4)
	v_mul_f32_e32 v58, v70, v14
	s_and_saveexec_b32 s10, vcc_lo
; %bb.1352:                             ;   in Loop: Header=BB237_808 Depth=1
	v_cmp_lt_i32_e64 s0, v83, v25
	s_delay_alu instid0(VALU_DEP_1) | instskip(SKIP_1) | instid1(VALU_DEP_1)
	v_cndmask_b32_e64 v59, 0, v59, s0
	v_cmp_lt_i32_e64 s0, v86, v25
	v_cndmask_b32_e64 v60, 0, v60, s0
	v_cmp_lt_i32_e64 s0, v85, v25
	s_delay_alu instid0(VALU_DEP_1) | instskip(SKIP_1) | instid1(VALU_DEP_1)
	v_cndmask_b32_e64 v58, 0, v58, s0
	v_cmp_lt_i32_e64 s0, v84, v25
	v_cndmask_b32_e64 v57, 0, v57, s0
; %bb.1353:                             ;   in Loop: Header=BB237_808 Depth=1
	s_or_b32 exec_lo, exec_lo, s10
	flat_load_b32 v61, v[12:13] offset:2048
	v_mov_b32_e32 v14, 0
	v_mov_b32_e32 v15, 0
	s_mov_b32 s10, exec_lo
	s_waitcnt vmcnt(0) lgkmcnt(0)
	v_and_b32_e32 v6, 0xff, v61
	s_delay_alu instid0(VALU_DEP_2) | instskip(NEXT) | instid1(VALU_DEP_2)
	v_dual_mov_b32 v4, v14 :: v_dual_mov_b32 v5, v15
	v_cmpx_ne_u16_e32 0, v6
	s_cbranch_execz .LBB237_1361
; %bb.1354:                             ;   in Loop: Header=BB237_808 Depth=1
	v_bfrev_b32_e32 v4, 1
	v_mov_b32_e32 v5, 0
	s_mov_b32 s13, exec_lo
	v_cmpx_ne_u16_e32 0x80, v6
	s_cbranch_execz .LBB237_1360
; %bb.1355:                             ;   in Loop: Header=BB237_808 Depth=1
	v_mov_b32_e32 v4, 0x7f800001
	v_dual_mov_b32 v5, 0 :: v_dual_and_b32 v16, 0x7f, v61
	s_mov_b32 s15, exec_lo
	s_delay_alu instid0(VALU_DEP_1)
	v_cmpx_ne_u32_e32 0x7f, v16
	s_cbranch_execz .LBB237_1359
; %bb.1356:                             ;   in Loop: Header=BB237_808 Depth=1
	v_and_b32_e32 v6, 7, v61
	v_lshrrev_b32_e32 v4, 3, v16
	s_mov_b32 s16, exec_lo
	v_cmpx_gt_u32_e32 8, v16
; %bb.1357:                             ;   in Loop: Header=BB237_808 Depth=1
	s_delay_alu instid0(VALU_DEP_3) | instskip(NEXT) | instid1(VALU_DEP_1)
	v_clz_i32_u32_e32 v4, v6
	v_min_u32_e32 v4, 32, v4
	s_delay_alu instid0(VALU_DEP_1) | instskip(SKIP_1) | instid1(VALU_DEP_2)
	v_subrev_nc_u32_e32 v5, 28, v4
	v_sub_nc_u32_e32 v4, 29, v4
	v_lshlrev_b64 v[5:6], v5, v[6:7]
	s_delay_alu instid0(VALU_DEP_1)
	v_and_b32_e32 v6, 7, v5
; %bb.1358:                             ;   in Loop: Header=BB237_808 Depth=1
	s_or_b32 exec_lo, exec_lo, s16
	v_lshlrev_b32_e32 v5, 24, v61
	s_delay_alu instid0(VALU_DEP_2) | instskip(SKIP_1) | instid1(VALU_DEP_3)
	v_lshlrev_b32_e32 v6, 20, v6
	v_lshl_add_u32 v4, v4, 23, 0x3c000000
	v_and_b32_e32 v5, 0x80000000, v5
	s_delay_alu instid0(VALU_DEP_1) | instskip(NEXT) | instid1(VALU_DEP_1)
	v_or3_b32 v6, v6, v5, v4
	v_dual_mov_b32 v4, v6 :: v_dual_mov_b32 v5, v7
.LBB237_1359:                           ;   in Loop: Header=BB237_808 Depth=1
	s_or_b32 exec_lo, exec_lo, s15
.LBB237_1360:                           ;   in Loop: Header=BB237_808 Depth=1
	s_delay_alu instid0(SALU_CYCLE_1)
	s_or_b32 exec_lo, exec_lo, s13
.LBB237_1361:                           ;   in Loop: Header=BB237_808 Depth=1
	s_delay_alu instid0(SALU_CYCLE_1) | instskip(SKIP_2) | instid1(VALU_DEP_1)
	s_or_b32 exec_lo, exec_lo, s10
	v_lshrrev_b16 v6, 8, v61
	s_mov_b32 s13, exec_lo
	v_cmpx_ne_u16_e32 0, v6
	s_cbranch_execz .LBB237_1369
; %bb.1362:                             ;   in Loop: Header=BB237_808 Depth=1
	v_dual_mov_b32 v15, s9 :: v_dual_mov_b32 v14, s8
	s_mov_b32 s15, exec_lo
	v_cmpx_ne_u16_e32 0x80, v6
	s_cbranch_execz .LBB237_1368
; %bb.1363:                             ;   in Loop: Header=BB237_808 Depth=1
	s_mov_b32 s10, s8
	v_dual_mov_b32 v15, s11 :: v_dual_and_b32 v6, 0xffff, v6
	v_mov_b32_e32 v14, s10
	s_mov_b32 s10, exec_lo
	s_delay_alu instid0(VALU_DEP_2) | instskip(NEXT) | instid1(VALU_DEP_1)
	v_and_b32_e32 v16, 0x7f, v6
	v_cmpx_ne_u32_e32 0x7f, v16
	s_cbranch_execz .LBB237_1367
; %bb.1364:                             ;   in Loop: Header=BB237_808 Depth=1
	v_and_b32_e32 v6, 7, v6
	v_lshrrev_b32_e32 v14, 3, v16
	s_mov_b32 s16, exec_lo
	v_cmpx_gt_u32_e32 8, v16
; %bb.1365:                             ;   in Loop: Header=BB237_808 Depth=1
	s_delay_alu instid0(VALU_DEP_3) | instskip(NEXT) | instid1(VALU_DEP_1)
	v_clz_i32_u32_e32 v14, v6
	v_min_u32_e32 v14, 32, v14
	s_delay_alu instid0(VALU_DEP_1) | instskip(SKIP_1) | instid1(VALU_DEP_2)
	v_subrev_nc_u32_e32 v15, 28, v14
	v_sub_nc_u32_e32 v14, 29, v14
	v_lshlrev_b64 v[15:16], v15, v[6:7]
	s_delay_alu instid0(VALU_DEP_1)
	v_and_b32_e32 v6, 7, v15
; %bb.1366:                             ;   in Loop: Header=BB237_808 Depth=1
	s_or_b32 exec_lo, exec_lo, s16
	v_lshlrev_b32_e32 v15, 16, v61
	s_delay_alu instid0(VALU_DEP_2) | instskip(SKIP_1) | instid1(VALU_DEP_3)
	v_lshlrev_b32_e32 v6, 20, v6
	v_lshl_add_u32 v14, v14, 23, 0x3c000000
	v_and_b32_e32 v15, 0x80000000, v15
	s_delay_alu instid0(VALU_DEP_1)
	v_or3_b32 v15, v6, v15, v14
	v_mov_b32_e32 v14, v7
.LBB237_1367:                           ;   in Loop: Header=BB237_808 Depth=1
	s_or_b32 exec_lo, exec_lo, s10
.LBB237_1368:                           ;   in Loop: Header=BB237_808 Depth=1
	s_delay_alu instid0(SALU_CYCLE_1)
	s_or_b32 exec_lo, exec_lo, s15
.LBB237_1369:                           ;   in Loop: Header=BB237_808 Depth=1
	s_delay_alu instid0(SALU_CYCLE_1) | instskip(SKIP_4) | instid1(VALU_DEP_2)
	s_or_b32 exec_lo, exec_lo, s13
	v_mov_b32_e32 v18, 0
	v_lshrrev_b32_e32 v62, 16, v61
	v_mov_b32_e32 v19, 0
	s_mov_b32 s10, exec_lo
	v_and_b32_e32 v6, 0xff, v62
	s_delay_alu instid0(VALU_DEP_2) | instskip(NEXT) | instid1(VALU_DEP_2)
	v_dual_mov_b32 v16, v18 :: v_dual_mov_b32 v17, v19
	v_cmpx_ne_u16_e32 0, v6
	s_cbranch_execz .LBB237_1377
; %bb.1370:                             ;   in Loop: Header=BB237_808 Depth=1
	v_bfrev_b32_e32 v16, 1
	v_mov_b32_e32 v17, 0
	s_mov_b32 s13, exec_lo
	v_cmpx_ne_u16_e32 0x80, v6
	s_cbranch_execz .LBB237_1376
; %bb.1371:                             ;   in Loop: Header=BB237_808 Depth=1
	v_mov_b32_e32 v16, 0x7f800001
	v_bfe_u32 v63, v61, 16, 7
	v_mov_b32_e32 v17, 0
	s_mov_b32 s15, exec_lo
	s_delay_alu instid0(VALU_DEP_2)
	v_cmpx_ne_u32_e32 0x7f, v63
	s_cbranch_execz .LBB237_1375
; %bb.1372:                             ;   in Loop: Header=BB237_808 Depth=1
	v_and_b32_e32 v6, 7, v62
	v_lshrrev_b32_e32 v16, 3, v63
	s_mov_b32 s16, exec_lo
	v_cmpx_gt_u32_e32 8, v63
; %bb.1373:                             ;   in Loop: Header=BB237_808 Depth=1
	s_delay_alu instid0(VALU_DEP_3) | instskip(NEXT) | instid1(VALU_DEP_1)
	v_clz_i32_u32_e32 v16, v6
	v_min_u32_e32 v16, 32, v16
	s_delay_alu instid0(VALU_DEP_1) | instskip(SKIP_1) | instid1(VALU_DEP_2)
	v_subrev_nc_u32_e32 v17, 28, v16
	v_sub_nc_u32_e32 v16, 29, v16
	v_lshlrev_b64 v[72:73], v17, v[6:7]
	s_delay_alu instid0(VALU_DEP_1)
	v_and_b32_e32 v6, 7, v72
; %bb.1374:                             ;   in Loop: Header=BB237_808 Depth=1
	s_or_b32 exec_lo, exec_lo, s16
	v_lshlrev_b32_e32 v17, 24, v62
	s_delay_alu instid0(VALU_DEP_2) | instskip(SKIP_1) | instid1(VALU_DEP_3)
	v_lshlrev_b32_e32 v6, 20, v6
	v_lshl_add_u32 v16, v16, 23, 0x3c000000
	v_and_b32_e32 v17, 0x80000000, v17
	s_delay_alu instid0(VALU_DEP_1) | instskip(NEXT) | instid1(VALU_DEP_1)
	v_or3_b32 v6, v6, v17, v16
	v_dual_mov_b32 v17, v7 :: v_dual_mov_b32 v16, v6
.LBB237_1375:                           ;   in Loop: Header=BB237_808 Depth=1
	s_or_b32 exec_lo, exec_lo, s15
.LBB237_1376:                           ;   in Loop: Header=BB237_808 Depth=1
	s_delay_alu instid0(SALU_CYCLE_1)
	s_or_b32 exec_lo, exec_lo, s13
.LBB237_1377:                           ;   in Loop: Header=BB237_808 Depth=1
	s_delay_alu instid0(SALU_CYCLE_1) | instskip(NEXT) | instid1(SALU_CYCLE_1)
	s_or_b32 exec_lo, exec_lo, s10
	s_mov_b32 s13, exec_lo
	v_cmpx_lt_u32_e32 0xffffff, v61
	s_cbranch_execz .LBB237_1385
; %bb.1378:                             ;   in Loop: Header=BB237_808 Depth=1
	v_lshrrev_b32_e32 v62, 24, v61
	v_dual_mov_b32 v19, s9 :: v_dual_mov_b32 v18, s8
	s_mov_b32 s15, exec_lo
	s_delay_alu instid0(VALU_DEP_2)
	v_cmpx_ne_u32_e32 0x80, v62
	s_cbranch_execz .LBB237_1384
; %bb.1379:                             ;   in Loop: Header=BB237_808 Depth=1
	s_mov_b32 s10, s8
	v_bfe_u32 v61, v61, 24, 7
	v_dual_mov_b32 v19, s11 :: v_dual_mov_b32 v18, s10
	s_mov_b32 s10, exec_lo
	s_delay_alu instid0(VALU_DEP_2)
	v_cmpx_ne_u32_e32 0x7f, v61
	s_cbranch_execz .LBB237_1383
; %bb.1380:                             ;   in Loop: Header=BB237_808 Depth=1
	v_and_b32_e32 v6, 7, v62
	v_lshrrev_b32_e32 v18, 3, v61
	s_mov_b32 s16, exec_lo
	v_cmpx_gt_u32_e32 8, v61
; %bb.1381:                             ;   in Loop: Header=BB237_808 Depth=1
	s_delay_alu instid0(VALU_DEP_3) | instskip(NEXT) | instid1(VALU_DEP_1)
	v_clz_i32_u32_e32 v18, v6
	v_min_u32_e32 v18, 32, v18
	s_delay_alu instid0(VALU_DEP_1) | instskip(SKIP_1) | instid1(VALU_DEP_2)
	v_subrev_nc_u32_e32 v19, 28, v18
	v_sub_nc_u32_e32 v18, 29, v18
	v_lshlrev_b64 v[72:73], v19, v[6:7]
	s_delay_alu instid0(VALU_DEP_1)
	v_and_b32_e32 v6, 7, v72
; %bb.1382:                             ;   in Loop: Header=BB237_808 Depth=1
	s_or_b32 exec_lo, exec_lo, s16
	v_lshlrev_b32_e32 v19, 24, v62
	s_delay_alu instid0(VALU_DEP_2) | instskip(SKIP_1) | instid1(VALU_DEP_3)
	v_lshlrev_b32_e32 v6, 20, v6
	v_lshl_add_u32 v18, v18, 23, 0x3c000000
	v_and_b32_e32 v19, 0x80000000, v19
	s_delay_alu instid0(VALU_DEP_1)
	v_or3_b32 v19, v6, v19, v18
	v_mov_b32_e32 v18, v7
.LBB237_1383:                           ;   in Loop: Header=BB237_808 Depth=1
	s_or_b32 exec_lo, exec_lo, s10
.LBB237_1384:                           ;   in Loop: Header=BB237_808 Depth=1
	s_delay_alu instid0(SALU_CYCLE_1)
	s_or_b32 exec_lo, exec_lo, s15
.LBB237_1385:                           ;   in Loop: Header=BB237_808 Depth=1
	s_delay_alu instid0(SALU_CYCLE_1) | instskip(SKIP_4) | instid1(VALU_DEP_4)
	s_or_b32 exec_lo, exec_lo, s13
	v_or_b32_e32 v5, v15, v5
	v_or_b32_e32 v4, v14, v4
	;; [unrolled: 1-line block ×4, first 2 shown]
	v_mul_f32_e32 v72, v70, v5
	s_delay_alu instid0(VALU_DEP_4) | instskip(NEXT) | instid1(VALU_DEP_4)
	v_mul_f32_e32 v63, v70, v4
	v_mul_f32_e32 v61, v70, v6
	s_delay_alu instid0(VALU_DEP_4)
	v_mul_f32_e32 v62, v70, v14
	s_and_saveexec_b32 s10, vcc_lo
; %bb.1386:                             ;   in Loop: Header=BB237_808 Depth=1
	v_cmp_lt_i32_e64 s0, v83, v25
	s_delay_alu instid0(VALU_DEP_1) | instskip(SKIP_1) | instid1(VALU_DEP_1)
	v_cndmask_b32_e64 v63, 0, v63, s0
	v_cmp_lt_i32_e64 s0, v86, v25
	v_cndmask_b32_e64 v72, 0, v72, s0
	v_cmp_lt_i32_e64 s0, v85, v25
	s_delay_alu instid0(VALU_DEP_1) | instskip(SKIP_1) | instid1(VALU_DEP_1)
	v_cndmask_b32_e64 v62, 0, v62, s0
	v_cmp_lt_i32_e64 s0, v84, v25
	v_cndmask_b32_e64 v61, 0, v61, s0
; %bb.1387:                             ;   in Loop: Header=BB237_808 Depth=1
	s_or_b32 exec_lo, exec_lo, s10
	flat_load_b32 v73, v[12:13] offset:2176
	v_mov_b32_e32 v14, 0
	v_mov_b32_e32 v15, 0
	s_mov_b32 s10, exec_lo
	s_waitcnt vmcnt(0) lgkmcnt(0)
	v_and_b32_e32 v6, 0xff, v73
	s_delay_alu instid0(VALU_DEP_2) | instskip(NEXT) | instid1(VALU_DEP_2)
	v_dual_mov_b32 v4, v14 :: v_dual_mov_b32 v5, v15
	v_cmpx_ne_u16_e32 0, v6
	s_cbranch_execz .LBB237_1395
; %bb.1388:                             ;   in Loop: Header=BB237_808 Depth=1
	v_bfrev_b32_e32 v4, 1
	v_mov_b32_e32 v5, 0
	s_mov_b32 s13, exec_lo
	v_cmpx_ne_u16_e32 0x80, v6
	s_cbranch_execz .LBB237_1394
; %bb.1389:                             ;   in Loop: Header=BB237_808 Depth=1
	v_mov_b32_e32 v4, 0x7f800001
	v_dual_mov_b32 v5, 0 :: v_dual_and_b32 v16, 0x7f, v73
	s_mov_b32 s15, exec_lo
	s_delay_alu instid0(VALU_DEP_1)
	v_cmpx_ne_u32_e32 0x7f, v16
	s_cbranch_execz .LBB237_1393
; %bb.1390:                             ;   in Loop: Header=BB237_808 Depth=1
	v_and_b32_e32 v6, 7, v73
	v_lshrrev_b32_e32 v4, 3, v16
	s_mov_b32 s16, exec_lo
	v_cmpx_gt_u32_e32 8, v16
; %bb.1391:                             ;   in Loop: Header=BB237_808 Depth=1
	s_delay_alu instid0(VALU_DEP_3) | instskip(NEXT) | instid1(VALU_DEP_1)
	v_clz_i32_u32_e32 v4, v6
	v_min_u32_e32 v4, 32, v4
	s_delay_alu instid0(VALU_DEP_1) | instskip(SKIP_1) | instid1(VALU_DEP_2)
	v_subrev_nc_u32_e32 v5, 28, v4
	v_sub_nc_u32_e32 v4, 29, v4
	v_lshlrev_b64 v[5:6], v5, v[6:7]
	s_delay_alu instid0(VALU_DEP_1)
	v_and_b32_e32 v6, 7, v5
; %bb.1392:                             ;   in Loop: Header=BB237_808 Depth=1
	s_or_b32 exec_lo, exec_lo, s16
	v_lshlrev_b32_e32 v5, 24, v73
	s_delay_alu instid0(VALU_DEP_2) | instskip(SKIP_1) | instid1(VALU_DEP_3)
	v_lshlrev_b32_e32 v6, 20, v6
	v_lshl_add_u32 v4, v4, 23, 0x3c000000
	v_and_b32_e32 v5, 0x80000000, v5
	s_delay_alu instid0(VALU_DEP_1) | instskip(NEXT) | instid1(VALU_DEP_1)
	v_or3_b32 v6, v6, v5, v4
	v_dual_mov_b32 v4, v6 :: v_dual_mov_b32 v5, v7
.LBB237_1393:                           ;   in Loop: Header=BB237_808 Depth=1
	s_or_b32 exec_lo, exec_lo, s15
.LBB237_1394:                           ;   in Loop: Header=BB237_808 Depth=1
	s_delay_alu instid0(SALU_CYCLE_1)
	s_or_b32 exec_lo, exec_lo, s13
.LBB237_1395:                           ;   in Loop: Header=BB237_808 Depth=1
	s_delay_alu instid0(SALU_CYCLE_1) | instskip(SKIP_2) | instid1(VALU_DEP_1)
	s_or_b32 exec_lo, exec_lo, s10
	v_lshrrev_b16 v6, 8, v73
	s_mov_b32 s13, exec_lo
	v_cmpx_ne_u16_e32 0, v6
	s_cbranch_execz .LBB237_1403
; %bb.1396:                             ;   in Loop: Header=BB237_808 Depth=1
	v_dual_mov_b32 v15, s9 :: v_dual_mov_b32 v14, s8
	s_mov_b32 s15, exec_lo
	v_cmpx_ne_u16_e32 0x80, v6
	s_cbranch_execz .LBB237_1402
; %bb.1397:                             ;   in Loop: Header=BB237_808 Depth=1
	s_mov_b32 s10, s8
	v_dual_mov_b32 v15, s11 :: v_dual_and_b32 v6, 0xffff, v6
	v_mov_b32_e32 v14, s10
	s_mov_b32 s10, exec_lo
	s_delay_alu instid0(VALU_DEP_2) | instskip(NEXT) | instid1(VALU_DEP_1)
	v_and_b32_e32 v16, 0x7f, v6
	v_cmpx_ne_u32_e32 0x7f, v16
	s_cbranch_execz .LBB237_1401
; %bb.1398:                             ;   in Loop: Header=BB237_808 Depth=1
	v_and_b32_e32 v6, 7, v6
	v_lshrrev_b32_e32 v14, 3, v16
	s_mov_b32 s16, exec_lo
	v_cmpx_gt_u32_e32 8, v16
; %bb.1399:                             ;   in Loop: Header=BB237_808 Depth=1
	s_delay_alu instid0(VALU_DEP_3) | instskip(NEXT) | instid1(VALU_DEP_1)
	v_clz_i32_u32_e32 v14, v6
	v_min_u32_e32 v14, 32, v14
	s_delay_alu instid0(VALU_DEP_1) | instskip(SKIP_1) | instid1(VALU_DEP_2)
	v_subrev_nc_u32_e32 v15, 28, v14
	v_sub_nc_u32_e32 v14, 29, v14
	v_lshlrev_b64 v[15:16], v15, v[6:7]
	s_delay_alu instid0(VALU_DEP_1)
	v_and_b32_e32 v6, 7, v15
; %bb.1400:                             ;   in Loop: Header=BB237_808 Depth=1
	s_or_b32 exec_lo, exec_lo, s16
	v_lshlrev_b32_e32 v15, 16, v73
	s_delay_alu instid0(VALU_DEP_2) | instskip(SKIP_1) | instid1(VALU_DEP_3)
	v_lshlrev_b32_e32 v6, 20, v6
	v_lshl_add_u32 v14, v14, 23, 0x3c000000
	v_and_b32_e32 v15, 0x80000000, v15
	s_delay_alu instid0(VALU_DEP_1)
	v_or3_b32 v15, v6, v15, v14
	v_mov_b32_e32 v14, v7
.LBB237_1401:                           ;   in Loop: Header=BB237_808 Depth=1
	s_or_b32 exec_lo, exec_lo, s10
.LBB237_1402:                           ;   in Loop: Header=BB237_808 Depth=1
	s_delay_alu instid0(SALU_CYCLE_1)
	s_or_b32 exec_lo, exec_lo, s15
.LBB237_1403:                           ;   in Loop: Header=BB237_808 Depth=1
	s_delay_alu instid0(SALU_CYCLE_1) | instskip(SKIP_4) | instid1(VALU_DEP_2)
	s_or_b32 exec_lo, exec_lo, s13
	v_mov_b32_e32 v18, 0
	v_lshrrev_b32_e32 v74, 16, v73
	v_mov_b32_e32 v19, 0
	s_mov_b32 s10, exec_lo
	v_and_b32_e32 v6, 0xff, v74
	s_delay_alu instid0(VALU_DEP_2) | instskip(NEXT) | instid1(VALU_DEP_2)
	v_dual_mov_b32 v16, v18 :: v_dual_mov_b32 v17, v19
	v_cmpx_ne_u16_e32 0, v6
	s_cbranch_execz .LBB237_1411
; %bb.1404:                             ;   in Loop: Header=BB237_808 Depth=1
	v_bfrev_b32_e32 v16, 1
	v_mov_b32_e32 v17, 0
	s_mov_b32 s13, exec_lo
	v_cmpx_ne_u16_e32 0x80, v6
	s_cbranch_execz .LBB237_1410
; %bb.1405:                             ;   in Loop: Header=BB237_808 Depth=1
	v_mov_b32_e32 v16, 0x7f800001
	v_bfe_u32 v75, v73, 16, 7
	v_mov_b32_e32 v17, 0
	s_mov_b32 s15, exec_lo
	s_delay_alu instid0(VALU_DEP_2)
	v_cmpx_ne_u32_e32 0x7f, v75
	s_cbranch_execz .LBB237_1409
; %bb.1406:                             ;   in Loop: Header=BB237_808 Depth=1
	v_and_b32_e32 v6, 7, v74
	v_lshrrev_b32_e32 v16, 3, v75
	s_mov_b32 s16, exec_lo
	v_cmpx_gt_u32_e32 8, v75
; %bb.1407:                             ;   in Loop: Header=BB237_808 Depth=1
	s_delay_alu instid0(VALU_DEP_3) | instskip(NEXT) | instid1(VALU_DEP_1)
	v_clz_i32_u32_e32 v16, v6
	v_min_u32_e32 v16, 32, v16
	s_delay_alu instid0(VALU_DEP_1) | instskip(SKIP_1) | instid1(VALU_DEP_2)
	v_subrev_nc_u32_e32 v17, 28, v16
	v_sub_nc_u32_e32 v16, 29, v16
	v_lshlrev_b64 v[75:76], v17, v[6:7]
	s_delay_alu instid0(VALU_DEP_1)
	v_and_b32_e32 v6, 7, v75
; %bb.1408:                             ;   in Loop: Header=BB237_808 Depth=1
	s_or_b32 exec_lo, exec_lo, s16
	v_lshlrev_b32_e32 v17, 24, v74
	s_delay_alu instid0(VALU_DEP_2) | instskip(SKIP_1) | instid1(VALU_DEP_3)
	v_lshlrev_b32_e32 v6, 20, v6
	v_lshl_add_u32 v16, v16, 23, 0x3c000000
	v_and_b32_e32 v17, 0x80000000, v17
	s_delay_alu instid0(VALU_DEP_1) | instskip(NEXT) | instid1(VALU_DEP_1)
	v_or3_b32 v6, v6, v17, v16
	v_dual_mov_b32 v17, v7 :: v_dual_mov_b32 v16, v6
.LBB237_1409:                           ;   in Loop: Header=BB237_808 Depth=1
	s_or_b32 exec_lo, exec_lo, s15
.LBB237_1410:                           ;   in Loop: Header=BB237_808 Depth=1
	s_delay_alu instid0(SALU_CYCLE_1)
	s_or_b32 exec_lo, exec_lo, s13
.LBB237_1411:                           ;   in Loop: Header=BB237_808 Depth=1
	s_delay_alu instid0(SALU_CYCLE_1) | instskip(NEXT) | instid1(SALU_CYCLE_1)
	s_or_b32 exec_lo, exec_lo, s10
	s_mov_b32 s13, exec_lo
	v_cmpx_lt_u32_e32 0xffffff, v73
	s_cbranch_execz .LBB237_1419
; %bb.1412:                             ;   in Loop: Header=BB237_808 Depth=1
	v_lshrrev_b32_e32 v74, 24, v73
	v_dual_mov_b32 v19, s9 :: v_dual_mov_b32 v18, s8
	s_mov_b32 s15, exec_lo
	s_delay_alu instid0(VALU_DEP_2)
	v_cmpx_ne_u32_e32 0x80, v74
	s_cbranch_execz .LBB237_1418
; %bb.1413:                             ;   in Loop: Header=BB237_808 Depth=1
	s_mov_b32 s10, s8
	v_bfe_u32 v73, v73, 24, 7
	v_dual_mov_b32 v19, s11 :: v_dual_mov_b32 v18, s10
	s_mov_b32 s10, exec_lo
	s_delay_alu instid0(VALU_DEP_2)
	v_cmpx_ne_u32_e32 0x7f, v73
	s_cbranch_execz .LBB237_1417
; %bb.1414:                             ;   in Loop: Header=BB237_808 Depth=1
	v_and_b32_e32 v6, 7, v74
	v_lshrrev_b32_e32 v18, 3, v73
	s_mov_b32 s16, exec_lo
	v_cmpx_gt_u32_e32 8, v73
; %bb.1415:                             ;   in Loop: Header=BB237_808 Depth=1
	s_delay_alu instid0(VALU_DEP_3) | instskip(NEXT) | instid1(VALU_DEP_1)
	v_clz_i32_u32_e32 v18, v6
	v_min_u32_e32 v18, 32, v18
	s_delay_alu instid0(VALU_DEP_1) | instskip(SKIP_1) | instid1(VALU_DEP_2)
	v_subrev_nc_u32_e32 v19, 28, v18
	v_sub_nc_u32_e32 v18, 29, v18
	v_lshlrev_b64 v[75:76], v19, v[6:7]
	s_delay_alu instid0(VALU_DEP_1)
	v_and_b32_e32 v6, 7, v75
; %bb.1416:                             ;   in Loop: Header=BB237_808 Depth=1
	s_or_b32 exec_lo, exec_lo, s16
	v_lshlrev_b32_e32 v19, 24, v74
	s_delay_alu instid0(VALU_DEP_2) | instskip(SKIP_1) | instid1(VALU_DEP_3)
	v_lshlrev_b32_e32 v6, 20, v6
	v_lshl_add_u32 v18, v18, 23, 0x3c000000
	v_and_b32_e32 v19, 0x80000000, v19
	s_delay_alu instid0(VALU_DEP_1)
	v_or3_b32 v19, v6, v19, v18
	v_mov_b32_e32 v18, v7
.LBB237_1417:                           ;   in Loop: Header=BB237_808 Depth=1
	s_or_b32 exec_lo, exec_lo, s10
.LBB237_1418:                           ;   in Loop: Header=BB237_808 Depth=1
	s_delay_alu instid0(SALU_CYCLE_1)
	s_or_b32 exec_lo, exec_lo, s15
.LBB237_1419:                           ;   in Loop: Header=BB237_808 Depth=1
	s_delay_alu instid0(SALU_CYCLE_1) | instskip(SKIP_4) | instid1(VALU_DEP_4)
	s_or_b32 exec_lo, exec_lo, s13
	v_or_b32_e32 v5, v15, v5
	v_or_b32_e32 v4, v14, v4
	;; [unrolled: 1-line block ×4, first 2 shown]
	v_mul_f32_e32 v76, v70, v5
	s_delay_alu instid0(VALU_DEP_4) | instskip(NEXT) | instid1(VALU_DEP_4)
	v_mul_f32_e32 v75, v70, v4
	v_mul_f32_e32 v73, v70, v6
	s_delay_alu instid0(VALU_DEP_4)
	v_mul_f32_e32 v74, v70, v14
	s_and_saveexec_b32 s10, vcc_lo
; %bb.1420:                             ;   in Loop: Header=BB237_808 Depth=1
	v_cmp_lt_i32_e64 s0, v83, v25
	s_delay_alu instid0(VALU_DEP_1) | instskip(SKIP_1) | instid1(VALU_DEP_1)
	v_cndmask_b32_e64 v75, 0, v75, s0
	v_cmp_lt_i32_e64 s0, v86, v25
	v_cndmask_b32_e64 v76, 0, v76, s0
	v_cmp_lt_i32_e64 s0, v85, v25
	s_delay_alu instid0(VALU_DEP_1) | instskip(SKIP_1) | instid1(VALU_DEP_1)
	v_cndmask_b32_e64 v74, 0, v74, s0
	v_cmp_lt_i32_e64 s0, v84, v25
	v_cndmask_b32_e64 v73, 0, v73, s0
; %bb.1421:                             ;   in Loop: Header=BB237_808 Depth=1
	s_or_b32 exec_lo, exec_lo, s10
	flat_load_b32 v77, v[12:13] offset:2304
	v_mov_b32_e32 v14, 0
	v_mov_b32_e32 v15, 0
	s_mov_b32 s10, exec_lo
	s_waitcnt vmcnt(0) lgkmcnt(0)
	v_and_b32_e32 v6, 0xff, v77
	s_delay_alu instid0(VALU_DEP_2) | instskip(NEXT) | instid1(VALU_DEP_2)
	v_dual_mov_b32 v4, v14 :: v_dual_mov_b32 v5, v15
	v_cmpx_ne_u16_e32 0, v6
	s_cbranch_execz .LBB237_1429
; %bb.1422:                             ;   in Loop: Header=BB237_808 Depth=1
	v_bfrev_b32_e32 v4, 1
	v_mov_b32_e32 v5, 0
	s_mov_b32 s13, exec_lo
	v_cmpx_ne_u16_e32 0x80, v6
	s_cbranch_execz .LBB237_1428
; %bb.1423:                             ;   in Loop: Header=BB237_808 Depth=1
	v_mov_b32_e32 v4, 0x7f800001
	v_dual_mov_b32 v5, 0 :: v_dual_and_b32 v16, 0x7f, v77
	s_mov_b32 s15, exec_lo
	s_delay_alu instid0(VALU_DEP_1)
	v_cmpx_ne_u32_e32 0x7f, v16
	s_cbranch_execz .LBB237_1427
; %bb.1424:                             ;   in Loop: Header=BB237_808 Depth=1
	v_and_b32_e32 v6, 7, v77
	v_lshrrev_b32_e32 v4, 3, v16
	s_mov_b32 s16, exec_lo
	v_cmpx_gt_u32_e32 8, v16
; %bb.1425:                             ;   in Loop: Header=BB237_808 Depth=1
	s_delay_alu instid0(VALU_DEP_3) | instskip(NEXT) | instid1(VALU_DEP_1)
	v_clz_i32_u32_e32 v4, v6
	v_min_u32_e32 v4, 32, v4
	s_delay_alu instid0(VALU_DEP_1) | instskip(SKIP_1) | instid1(VALU_DEP_2)
	v_subrev_nc_u32_e32 v5, 28, v4
	v_sub_nc_u32_e32 v4, 29, v4
	v_lshlrev_b64 v[5:6], v5, v[6:7]
	s_delay_alu instid0(VALU_DEP_1)
	v_and_b32_e32 v6, 7, v5
; %bb.1426:                             ;   in Loop: Header=BB237_808 Depth=1
	s_or_b32 exec_lo, exec_lo, s16
	v_lshlrev_b32_e32 v5, 24, v77
	s_delay_alu instid0(VALU_DEP_2) | instskip(SKIP_1) | instid1(VALU_DEP_3)
	v_lshlrev_b32_e32 v6, 20, v6
	v_lshl_add_u32 v4, v4, 23, 0x3c000000
	v_and_b32_e32 v5, 0x80000000, v5
	s_delay_alu instid0(VALU_DEP_1) | instskip(NEXT) | instid1(VALU_DEP_1)
	v_or3_b32 v6, v6, v5, v4
	v_dual_mov_b32 v4, v6 :: v_dual_mov_b32 v5, v7
.LBB237_1427:                           ;   in Loop: Header=BB237_808 Depth=1
	s_or_b32 exec_lo, exec_lo, s15
.LBB237_1428:                           ;   in Loop: Header=BB237_808 Depth=1
	s_delay_alu instid0(SALU_CYCLE_1)
	s_or_b32 exec_lo, exec_lo, s13
.LBB237_1429:                           ;   in Loop: Header=BB237_808 Depth=1
	s_delay_alu instid0(SALU_CYCLE_1) | instskip(SKIP_2) | instid1(VALU_DEP_1)
	s_or_b32 exec_lo, exec_lo, s10
	v_lshrrev_b16 v6, 8, v77
	s_mov_b32 s13, exec_lo
	v_cmpx_ne_u16_e32 0, v6
	s_cbranch_execz .LBB237_1437
; %bb.1430:                             ;   in Loop: Header=BB237_808 Depth=1
	v_dual_mov_b32 v15, s9 :: v_dual_mov_b32 v14, s8
	s_mov_b32 s15, exec_lo
	v_cmpx_ne_u16_e32 0x80, v6
	s_cbranch_execz .LBB237_1436
; %bb.1431:                             ;   in Loop: Header=BB237_808 Depth=1
	s_mov_b32 s10, s8
	v_dual_mov_b32 v15, s11 :: v_dual_and_b32 v6, 0xffff, v6
	v_mov_b32_e32 v14, s10
	s_mov_b32 s10, exec_lo
	s_delay_alu instid0(VALU_DEP_2) | instskip(NEXT) | instid1(VALU_DEP_1)
	v_and_b32_e32 v16, 0x7f, v6
	v_cmpx_ne_u32_e32 0x7f, v16
	s_cbranch_execz .LBB237_1435
; %bb.1432:                             ;   in Loop: Header=BB237_808 Depth=1
	v_and_b32_e32 v6, 7, v6
	v_lshrrev_b32_e32 v14, 3, v16
	s_mov_b32 s16, exec_lo
	v_cmpx_gt_u32_e32 8, v16
; %bb.1433:                             ;   in Loop: Header=BB237_808 Depth=1
	s_delay_alu instid0(VALU_DEP_3) | instskip(NEXT) | instid1(VALU_DEP_1)
	v_clz_i32_u32_e32 v14, v6
	v_min_u32_e32 v14, 32, v14
	s_delay_alu instid0(VALU_DEP_1) | instskip(SKIP_1) | instid1(VALU_DEP_2)
	v_subrev_nc_u32_e32 v15, 28, v14
	v_sub_nc_u32_e32 v14, 29, v14
	v_lshlrev_b64 v[15:16], v15, v[6:7]
	s_delay_alu instid0(VALU_DEP_1)
	v_and_b32_e32 v6, 7, v15
; %bb.1434:                             ;   in Loop: Header=BB237_808 Depth=1
	s_or_b32 exec_lo, exec_lo, s16
	v_lshlrev_b32_e32 v15, 16, v77
	s_delay_alu instid0(VALU_DEP_2) | instskip(SKIP_1) | instid1(VALU_DEP_3)
	v_lshlrev_b32_e32 v6, 20, v6
	v_lshl_add_u32 v14, v14, 23, 0x3c000000
	v_and_b32_e32 v15, 0x80000000, v15
	s_delay_alu instid0(VALU_DEP_1)
	v_or3_b32 v15, v6, v15, v14
	v_mov_b32_e32 v14, v7
.LBB237_1435:                           ;   in Loop: Header=BB237_808 Depth=1
	s_or_b32 exec_lo, exec_lo, s10
.LBB237_1436:                           ;   in Loop: Header=BB237_808 Depth=1
	s_delay_alu instid0(SALU_CYCLE_1)
	s_or_b32 exec_lo, exec_lo, s15
.LBB237_1437:                           ;   in Loop: Header=BB237_808 Depth=1
	s_delay_alu instid0(SALU_CYCLE_1) | instskip(SKIP_4) | instid1(VALU_DEP_2)
	s_or_b32 exec_lo, exec_lo, s13
	v_mov_b32_e32 v18, 0
	v_lshrrev_b32_e32 v78, 16, v77
	v_mov_b32_e32 v19, 0
	s_mov_b32 s10, exec_lo
	v_and_b32_e32 v6, 0xff, v78
	s_delay_alu instid0(VALU_DEP_2) | instskip(NEXT) | instid1(VALU_DEP_2)
	v_dual_mov_b32 v16, v18 :: v_dual_mov_b32 v17, v19
	v_cmpx_ne_u16_e32 0, v6
	s_cbranch_execz .LBB237_1445
; %bb.1438:                             ;   in Loop: Header=BB237_808 Depth=1
	v_bfrev_b32_e32 v16, 1
	v_mov_b32_e32 v17, 0
	s_mov_b32 s13, exec_lo
	v_cmpx_ne_u16_e32 0x80, v6
	s_cbranch_execz .LBB237_1444
; %bb.1439:                             ;   in Loop: Header=BB237_808 Depth=1
	v_mov_b32_e32 v16, 0x7f800001
	v_bfe_u32 v79, v77, 16, 7
	v_mov_b32_e32 v17, 0
	s_mov_b32 s15, exec_lo
	s_delay_alu instid0(VALU_DEP_2)
	v_cmpx_ne_u32_e32 0x7f, v79
	s_cbranch_execz .LBB237_1443
; %bb.1440:                             ;   in Loop: Header=BB237_808 Depth=1
	v_and_b32_e32 v6, 7, v78
	v_lshrrev_b32_e32 v16, 3, v79
	s_mov_b32 s16, exec_lo
	v_cmpx_gt_u32_e32 8, v79
; %bb.1441:                             ;   in Loop: Header=BB237_808 Depth=1
	s_delay_alu instid0(VALU_DEP_3) | instskip(NEXT) | instid1(VALU_DEP_1)
	v_clz_i32_u32_e32 v16, v6
	v_min_u32_e32 v16, 32, v16
	s_delay_alu instid0(VALU_DEP_1) | instskip(SKIP_1) | instid1(VALU_DEP_2)
	v_subrev_nc_u32_e32 v17, 28, v16
	v_sub_nc_u32_e32 v16, 29, v16
	v_lshlrev_b64 v[88:89], v17, v[6:7]
	s_delay_alu instid0(VALU_DEP_1)
	v_and_b32_e32 v6, 7, v88
; %bb.1442:                             ;   in Loop: Header=BB237_808 Depth=1
	s_or_b32 exec_lo, exec_lo, s16
	v_lshlrev_b32_e32 v17, 24, v78
	s_delay_alu instid0(VALU_DEP_2) | instskip(SKIP_1) | instid1(VALU_DEP_3)
	v_lshlrev_b32_e32 v6, 20, v6
	v_lshl_add_u32 v16, v16, 23, 0x3c000000
	v_and_b32_e32 v17, 0x80000000, v17
	s_delay_alu instid0(VALU_DEP_1) | instskip(NEXT) | instid1(VALU_DEP_1)
	v_or3_b32 v6, v6, v17, v16
	v_dual_mov_b32 v17, v7 :: v_dual_mov_b32 v16, v6
.LBB237_1443:                           ;   in Loop: Header=BB237_808 Depth=1
	s_or_b32 exec_lo, exec_lo, s15
.LBB237_1444:                           ;   in Loop: Header=BB237_808 Depth=1
	s_delay_alu instid0(SALU_CYCLE_1)
	s_or_b32 exec_lo, exec_lo, s13
.LBB237_1445:                           ;   in Loop: Header=BB237_808 Depth=1
	s_delay_alu instid0(SALU_CYCLE_1) | instskip(NEXT) | instid1(SALU_CYCLE_1)
	s_or_b32 exec_lo, exec_lo, s10
	s_mov_b32 s13, exec_lo
	v_cmpx_lt_u32_e32 0xffffff, v77
	s_cbranch_execz .LBB237_1453
; %bb.1446:                             ;   in Loop: Header=BB237_808 Depth=1
	v_lshrrev_b32_e32 v78, 24, v77
	v_dual_mov_b32 v19, s9 :: v_dual_mov_b32 v18, s8
	s_mov_b32 s15, exec_lo
	s_delay_alu instid0(VALU_DEP_2)
	v_cmpx_ne_u32_e32 0x80, v78
	s_cbranch_execz .LBB237_1452
; %bb.1447:                             ;   in Loop: Header=BB237_808 Depth=1
	s_mov_b32 s10, s8
	v_bfe_u32 v77, v77, 24, 7
	v_dual_mov_b32 v19, s11 :: v_dual_mov_b32 v18, s10
	s_mov_b32 s10, exec_lo
	s_delay_alu instid0(VALU_DEP_2)
	v_cmpx_ne_u32_e32 0x7f, v77
	s_cbranch_execz .LBB237_1451
; %bb.1448:                             ;   in Loop: Header=BB237_808 Depth=1
	v_and_b32_e32 v6, 7, v78
	v_lshrrev_b32_e32 v18, 3, v77
	s_mov_b32 s16, exec_lo
	v_cmpx_gt_u32_e32 8, v77
; %bb.1449:                             ;   in Loop: Header=BB237_808 Depth=1
	s_delay_alu instid0(VALU_DEP_3) | instskip(NEXT) | instid1(VALU_DEP_1)
	v_clz_i32_u32_e32 v18, v6
	v_min_u32_e32 v18, 32, v18
	s_delay_alu instid0(VALU_DEP_1) | instskip(SKIP_1) | instid1(VALU_DEP_2)
	v_subrev_nc_u32_e32 v19, 28, v18
	v_sub_nc_u32_e32 v18, 29, v18
	v_lshlrev_b64 v[88:89], v19, v[6:7]
	s_delay_alu instid0(VALU_DEP_1)
	v_and_b32_e32 v6, 7, v88
; %bb.1450:                             ;   in Loop: Header=BB237_808 Depth=1
	s_or_b32 exec_lo, exec_lo, s16
	v_lshlrev_b32_e32 v19, 24, v78
	s_delay_alu instid0(VALU_DEP_2) | instskip(SKIP_1) | instid1(VALU_DEP_3)
	v_lshlrev_b32_e32 v6, 20, v6
	v_lshl_add_u32 v18, v18, 23, 0x3c000000
	v_and_b32_e32 v19, 0x80000000, v19
	s_delay_alu instid0(VALU_DEP_1)
	v_or3_b32 v19, v6, v19, v18
	v_mov_b32_e32 v18, v7
.LBB237_1451:                           ;   in Loop: Header=BB237_808 Depth=1
	s_or_b32 exec_lo, exec_lo, s10
.LBB237_1452:                           ;   in Loop: Header=BB237_808 Depth=1
	s_delay_alu instid0(SALU_CYCLE_1)
	s_or_b32 exec_lo, exec_lo, s15
.LBB237_1453:                           ;   in Loop: Header=BB237_808 Depth=1
	s_delay_alu instid0(SALU_CYCLE_1) | instskip(SKIP_4) | instid1(VALU_DEP_4)
	s_or_b32 exec_lo, exec_lo, s13
	v_or_b32_e32 v5, v15, v5
	v_or_b32_e32 v4, v14, v4
	;; [unrolled: 1-line block ×4, first 2 shown]
	v_mul_f32_e32 v88, v70, v5
	s_delay_alu instid0(VALU_DEP_4) | instskip(NEXT) | instid1(VALU_DEP_4)
	v_mul_f32_e32 v79, v70, v4
	v_mul_f32_e32 v77, v70, v6
	s_delay_alu instid0(VALU_DEP_4)
	v_mul_f32_e32 v78, v70, v14
	s_and_saveexec_b32 s10, vcc_lo
; %bb.1454:                             ;   in Loop: Header=BB237_808 Depth=1
	v_cmp_lt_i32_e64 s0, v83, v25
	s_delay_alu instid0(VALU_DEP_1) | instskip(SKIP_1) | instid1(VALU_DEP_1)
	v_cndmask_b32_e64 v79, 0, v79, s0
	v_cmp_lt_i32_e64 s0, v86, v25
	v_cndmask_b32_e64 v88, 0, v88, s0
	v_cmp_lt_i32_e64 s0, v85, v25
	s_delay_alu instid0(VALU_DEP_1) | instskip(SKIP_1) | instid1(VALU_DEP_1)
	v_cndmask_b32_e64 v78, 0, v78, s0
	v_cmp_lt_i32_e64 s0, v84, v25
	v_cndmask_b32_e64 v77, 0, v77, s0
; %bb.1455:                             ;   in Loop: Header=BB237_808 Depth=1
	s_or_b32 exec_lo, exec_lo, s10
	flat_load_b32 v89, v[12:13] offset:2432
	v_mov_b32_e32 v14, 0
	v_mov_b32_e32 v15, 0
	s_mov_b32 s10, exec_lo
	s_waitcnt vmcnt(0) lgkmcnt(0)
	v_and_b32_e32 v6, 0xff, v89
	s_delay_alu instid0(VALU_DEP_2) | instskip(NEXT) | instid1(VALU_DEP_2)
	v_dual_mov_b32 v4, v14 :: v_dual_mov_b32 v5, v15
	v_cmpx_ne_u16_e32 0, v6
	s_cbranch_execz .LBB237_1463
; %bb.1456:                             ;   in Loop: Header=BB237_808 Depth=1
	v_bfrev_b32_e32 v4, 1
	v_mov_b32_e32 v5, 0
	s_mov_b32 s13, exec_lo
	v_cmpx_ne_u16_e32 0x80, v6
	s_cbranch_execz .LBB237_1462
; %bb.1457:                             ;   in Loop: Header=BB237_808 Depth=1
	v_mov_b32_e32 v4, 0x7f800001
	v_dual_mov_b32 v5, 0 :: v_dual_and_b32 v16, 0x7f, v89
	s_mov_b32 s15, exec_lo
	s_delay_alu instid0(VALU_DEP_1)
	v_cmpx_ne_u32_e32 0x7f, v16
	s_cbranch_execz .LBB237_1461
; %bb.1458:                             ;   in Loop: Header=BB237_808 Depth=1
	v_and_b32_e32 v6, 7, v89
	v_lshrrev_b32_e32 v4, 3, v16
	s_mov_b32 s16, exec_lo
	v_cmpx_gt_u32_e32 8, v16
; %bb.1459:                             ;   in Loop: Header=BB237_808 Depth=1
	s_delay_alu instid0(VALU_DEP_3) | instskip(NEXT) | instid1(VALU_DEP_1)
	v_clz_i32_u32_e32 v4, v6
	v_min_u32_e32 v4, 32, v4
	s_delay_alu instid0(VALU_DEP_1) | instskip(SKIP_1) | instid1(VALU_DEP_2)
	v_subrev_nc_u32_e32 v5, 28, v4
	v_sub_nc_u32_e32 v4, 29, v4
	v_lshlrev_b64 v[5:6], v5, v[6:7]
	s_delay_alu instid0(VALU_DEP_1)
	v_and_b32_e32 v6, 7, v5
; %bb.1460:                             ;   in Loop: Header=BB237_808 Depth=1
	s_or_b32 exec_lo, exec_lo, s16
	v_lshlrev_b32_e32 v5, 24, v89
	s_delay_alu instid0(VALU_DEP_2) | instskip(SKIP_1) | instid1(VALU_DEP_3)
	v_lshlrev_b32_e32 v6, 20, v6
	v_lshl_add_u32 v4, v4, 23, 0x3c000000
	v_and_b32_e32 v5, 0x80000000, v5
	s_delay_alu instid0(VALU_DEP_1) | instskip(NEXT) | instid1(VALU_DEP_1)
	v_or3_b32 v6, v6, v5, v4
	v_dual_mov_b32 v4, v6 :: v_dual_mov_b32 v5, v7
.LBB237_1461:                           ;   in Loop: Header=BB237_808 Depth=1
	s_or_b32 exec_lo, exec_lo, s15
.LBB237_1462:                           ;   in Loop: Header=BB237_808 Depth=1
	s_delay_alu instid0(SALU_CYCLE_1)
	s_or_b32 exec_lo, exec_lo, s13
.LBB237_1463:                           ;   in Loop: Header=BB237_808 Depth=1
	s_delay_alu instid0(SALU_CYCLE_1) | instskip(SKIP_2) | instid1(VALU_DEP_1)
	s_or_b32 exec_lo, exec_lo, s10
	v_lshrrev_b16 v6, 8, v89
	s_mov_b32 s13, exec_lo
	v_cmpx_ne_u16_e32 0, v6
	s_cbranch_execz .LBB237_1471
; %bb.1464:                             ;   in Loop: Header=BB237_808 Depth=1
	v_dual_mov_b32 v15, s9 :: v_dual_mov_b32 v14, s8
	s_mov_b32 s15, exec_lo
	v_cmpx_ne_u16_e32 0x80, v6
	s_cbranch_execz .LBB237_1470
; %bb.1465:                             ;   in Loop: Header=BB237_808 Depth=1
	s_mov_b32 s10, s8
	v_dual_mov_b32 v15, s11 :: v_dual_and_b32 v6, 0xffff, v6
	v_mov_b32_e32 v14, s10
	s_mov_b32 s10, exec_lo
	s_delay_alu instid0(VALU_DEP_2) | instskip(NEXT) | instid1(VALU_DEP_1)
	v_and_b32_e32 v16, 0x7f, v6
	v_cmpx_ne_u32_e32 0x7f, v16
	s_cbranch_execz .LBB237_1469
; %bb.1466:                             ;   in Loop: Header=BB237_808 Depth=1
	v_and_b32_e32 v6, 7, v6
	v_lshrrev_b32_e32 v14, 3, v16
	s_mov_b32 s16, exec_lo
	v_cmpx_gt_u32_e32 8, v16
; %bb.1467:                             ;   in Loop: Header=BB237_808 Depth=1
	s_delay_alu instid0(VALU_DEP_3) | instskip(NEXT) | instid1(VALU_DEP_1)
	v_clz_i32_u32_e32 v14, v6
	v_min_u32_e32 v14, 32, v14
	s_delay_alu instid0(VALU_DEP_1) | instskip(SKIP_1) | instid1(VALU_DEP_2)
	v_subrev_nc_u32_e32 v15, 28, v14
	v_sub_nc_u32_e32 v14, 29, v14
	v_lshlrev_b64 v[15:16], v15, v[6:7]
	s_delay_alu instid0(VALU_DEP_1)
	v_and_b32_e32 v6, 7, v15
; %bb.1468:                             ;   in Loop: Header=BB237_808 Depth=1
	s_or_b32 exec_lo, exec_lo, s16
	v_lshlrev_b32_e32 v15, 16, v89
	s_delay_alu instid0(VALU_DEP_2) | instskip(SKIP_1) | instid1(VALU_DEP_3)
	v_lshlrev_b32_e32 v6, 20, v6
	v_lshl_add_u32 v14, v14, 23, 0x3c000000
	v_and_b32_e32 v15, 0x80000000, v15
	s_delay_alu instid0(VALU_DEP_1)
	v_or3_b32 v15, v6, v15, v14
	v_mov_b32_e32 v14, v7
.LBB237_1469:                           ;   in Loop: Header=BB237_808 Depth=1
	s_or_b32 exec_lo, exec_lo, s10
.LBB237_1470:                           ;   in Loop: Header=BB237_808 Depth=1
	s_delay_alu instid0(SALU_CYCLE_1)
	s_or_b32 exec_lo, exec_lo, s15
.LBB237_1471:                           ;   in Loop: Header=BB237_808 Depth=1
	s_delay_alu instid0(SALU_CYCLE_1) | instskip(SKIP_4) | instid1(VALU_DEP_2)
	s_or_b32 exec_lo, exec_lo, s13
	v_mov_b32_e32 v18, 0
	v_lshrrev_b32_e32 v90, 16, v89
	v_mov_b32_e32 v19, 0
	s_mov_b32 s10, exec_lo
	v_and_b32_e32 v6, 0xff, v90
	s_delay_alu instid0(VALU_DEP_2) | instskip(NEXT) | instid1(VALU_DEP_2)
	v_dual_mov_b32 v16, v18 :: v_dual_mov_b32 v17, v19
	v_cmpx_ne_u16_e32 0, v6
	s_cbranch_execz .LBB237_1479
; %bb.1472:                             ;   in Loop: Header=BB237_808 Depth=1
	v_bfrev_b32_e32 v16, 1
	v_mov_b32_e32 v17, 0
	s_mov_b32 s13, exec_lo
	v_cmpx_ne_u16_e32 0x80, v6
	s_cbranch_execz .LBB237_1478
; %bb.1473:                             ;   in Loop: Header=BB237_808 Depth=1
	v_mov_b32_e32 v16, 0x7f800001
	v_bfe_u32 v91, v89, 16, 7
	v_mov_b32_e32 v17, 0
	s_mov_b32 s15, exec_lo
	s_delay_alu instid0(VALU_DEP_2)
	v_cmpx_ne_u32_e32 0x7f, v91
	s_cbranch_execz .LBB237_1477
; %bb.1474:                             ;   in Loop: Header=BB237_808 Depth=1
	v_and_b32_e32 v6, 7, v90
	v_lshrrev_b32_e32 v16, 3, v91
	s_mov_b32 s16, exec_lo
	v_cmpx_gt_u32_e32 8, v91
; %bb.1475:                             ;   in Loop: Header=BB237_808 Depth=1
	s_delay_alu instid0(VALU_DEP_3) | instskip(NEXT) | instid1(VALU_DEP_1)
	v_clz_i32_u32_e32 v16, v6
	v_min_u32_e32 v16, 32, v16
	s_delay_alu instid0(VALU_DEP_1) | instskip(SKIP_1) | instid1(VALU_DEP_2)
	v_subrev_nc_u32_e32 v17, 28, v16
	v_sub_nc_u32_e32 v16, 29, v16
	v_lshlrev_b64 v[91:92], v17, v[6:7]
	s_delay_alu instid0(VALU_DEP_1)
	v_and_b32_e32 v6, 7, v91
; %bb.1476:                             ;   in Loop: Header=BB237_808 Depth=1
	s_or_b32 exec_lo, exec_lo, s16
	v_lshlrev_b32_e32 v17, 24, v90
	s_delay_alu instid0(VALU_DEP_2) | instskip(SKIP_1) | instid1(VALU_DEP_3)
	v_lshlrev_b32_e32 v6, 20, v6
	v_lshl_add_u32 v16, v16, 23, 0x3c000000
	v_and_b32_e32 v17, 0x80000000, v17
	s_delay_alu instid0(VALU_DEP_1) | instskip(NEXT) | instid1(VALU_DEP_1)
	v_or3_b32 v6, v6, v17, v16
	v_dual_mov_b32 v17, v7 :: v_dual_mov_b32 v16, v6
.LBB237_1477:                           ;   in Loop: Header=BB237_808 Depth=1
	s_or_b32 exec_lo, exec_lo, s15
.LBB237_1478:                           ;   in Loop: Header=BB237_808 Depth=1
	s_delay_alu instid0(SALU_CYCLE_1)
	s_or_b32 exec_lo, exec_lo, s13
.LBB237_1479:                           ;   in Loop: Header=BB237_808 Depth=1
	s_delay_alu instid0(SALU_CYCLE_1) | instskip(NEXT) | instid1(SALU_CYCLE_1)
	s_or_b32 exec_lo, exec_lo, s10
	s_mov_b32 s13, exec_lo
	v_cmpx_lt_u32_e32 0xffffff, v89
	s_cbranch_execz .LBB237_1487
; %bb.1480:                             ;   in Loop: Header=BB237_808 Depth=1
	v_lshrrev_b32_e32 v90, 24, v89
	v_dual_mov_b32 v19, s9 :: v_dual_mov_b32 v18, s8
	s_mov_b32 s15, exec_lo
	s_delay_alu instid0(VALU_DEP_2)
	v_cmpx_ne_u32_e32 0x80, v90
	s_cbranch_execz .LBB237_1486
; %bb.1481:                             ;   in Loop: Header=BB237_808 Depth=1
	s_mov_b32 s10, s8
	v_bfe_u32 v89, v89, 24, 7
	v_dual_mov_b32 v19, s11 :: v_dual_mov_b32 v18, s10
	s_mov_b32 s10, exec_lo
	s_delay_alu instid0(VALU_DEP_2)
	v_cmpx_ne_u32_e32 0x7f, v89
	s_cbranch_execz .LBB237_1485
; %bb.1482:                             ;   in Loop: Header=BB237_808 Depth=1
	v_and_b32_e32 v6, 7, v90
	v_lshrrev_b32_e32 v18, 3, v89
	s_mov_b32 s16, exec_lo
	v_cmpx_gt_u32_e32 8, v89
; %bb.1483:                             ;   in Loop: Header=BB237_808 Depth=1
	s_delay_alu instid0(VALU_DEP_3) | instskip(NEXT) | instid1(VALU_DEP_1)
	v_clz_i32_u32_e32 v18, v6
	v_min_u32_e32 v18, 32, v18
	s_delay_alu instid0(VALU_DEP_1) | instskip(SKIP_1) | instid1(VALU_DEP_2)
	v_subrev_nc_u32_e32 v19, 28, v18
	v_sub_nc_u32_e32 v18, 29, v18
	v_lshlrev_b64 v[91:92], v19, v[6:7]
	s_delay_alu instid0(VALU_DEP_1)
	v_and_b32_e32 v6, 7, v91
; %bb.1484:                             ;   in Loop: Header=BB237_808 Depth=1
	s_or_b32 exec_lo, exec_lo, s16
	v_lshlrev_b32_e32 v19, 24, v90
	s_delay_alu instid0(VALU_DEP_2) | instskip(SKIP_1) | instid1(VALU_DEP_3)
	v_lshlrev_b32_e32 v6, 20, v6
	v_lshl_add_u32 v18, v18, 23, 0x3c000000
	v_and_b32_e32 v19, 0x80000000, v19
	s_delay_alu instid0(VALU_DEP_1)
	v_or3_b32 v19, v6, v19, v18
	v_mov_b32_e32 v18, v7
.LBB237_1485:                           ;   in Loop: Header=BB237_808 Depth=1
	s_or_b32 exec_lo, exec_lo, s10
.LBB237_1486:                           ;   in Loop: Header=BB237_808 Depth=1
	s_delay_alu instid0(SALU_CYCLE_1)
	s_or_b32 exec_lo, exec_lo, s15
.LBB237_1487:                           ;   in Loop: Header=BB237_808 Depth=1
	s_delay_alu instid0(SALU_CYCLE_1) | instskip(SKIP_4) | instid1(VALU_DEP_4)
	s_or_b32 exec_lo, exec_lo, s13
	v_or_b32_e32 v5, v15, v5
	v_or_b32_e32 v4, v14, v4
	;; [unrolled: 1-line block ×4, first 2 shown]
	v_mul_f32_e32 v92, v70, v5
	s_delay_alu instid0(VALU_DEP_4) | instskip(NEXT) | instid1(VALU_DEP_4)
	v_mul_f32_e32 v91, v70, v4
	v_mul_f32_e32 v89, v70, v6
	s_delay_alu instid0(VALU_DEP_4)
	v_mul_f32_e32 v90, v70, v14
	s_and_saveexec_b32 s10, vcc_lo
; %bb.1488:                             ;   in Loop: Header=BB237_808 Depth=1
	v_cmp_lt_i32_e64 s0, v83, v25
	s_delay_alu instid0(VALU_DEP_1) | instskip(SKIP_1) | instid1(VALU_DEP_1)
	v_cndmask_b32_e64 v91, 0, v91, s0
	v_cmp_lt_i32_e64 s0, v86, v25
	v_cndmask_b32_e64 v92, 0, v92, s0
	v_cmp_lt_i32_e64 s0, v85, v25
	s_delay_alu instid0(VALU_DEP_1) | instskip(SKIP_1) | instid1(VALU_DEP_1)
	v_cndmask_b32_e64 v90, 0, v90, s0
	v_cmp_lt_i32_e64 s0, v84, v25
	v_cndmask_b32_e64 v89, 0, v89, s0
; %bb.1489:                             ;   in Loop: Header=BB237_808 Depth=1
	s_or_b32 exec_lo, exec_lo, s10
	flat_load_b32 v93, v[12:13] offset:2560
	v_mov_b32_e32 v14, 0
	v_mov_b32_e32 v15, 0
	s_mov_b32 s10, exec_lo
	s_waitcnt vmcnt(0) lgkmcnt(0)
	v_and_b32_e32 v6, 0xff, v93
	s_delay_alu instid0(VALU_DEP_2) | instskip(NEXT) | instid1(VALU_DEP_2)
	v_dual_mov_b32 v4, v14 :: v_dual_mov_b32 v5, v15
	v_cmpx_ne_u16_e32 0, v6
	s_cbranch_execz .LBB237_1497
; %bb.1490:                             ;   in Loop: Header=BB237_808 Depth=1
	v_bfrev_b32_e32 v4, 1
	v_mov_b32_e32 v5, 0
	s_mov_b32 s13, exec_lo
	v_cmpx_ne_u16_e32 0x80, v6
	s_cbranch_execz .LBB237_1496
; %bb.1491:                             ;   in Loop: Header=BB237_808 Depth=1
	v_mov_b32_e32 v4, 0x7f800001
	v_dual_mov_b32 v5, 0 :: v_dual_and_b32 v16, 0x7f, v93
	s_mov_b32 s15, exec_lo
	s_delay_alu instid0(VALU_DEP_1)
	v_cmpx_ne_u32_e32 0x7f, v16
	s_cbranch_execz .LBB237_1495
; %bb.1492:                             ;   in Loop: Header=BB237_808 Depth=1
	v_and_b32_e32 v6, 7, v93
	v_lshrrev_b32_e32 v4, 3, v16
	s_mov_b32 s16, exec_lo
	v_cmpx_gt_u32_e32 8, v16
; %bb.1493:                             ;   in Loop: Header=BB237_808 Depth=1
	s_delay_alu instid0(VALU_DEP_3) | instskip(NEXT) | instid1(VALU_DEP_1)
	v_clz_i32_u32_e32 v4, v6
	v_min_u32_e32 v4, 32, v4
	s_delay_alu instid0(VALU_DEP_1) | instskip(SKIP_1) | instid1(VALU_DEP_2)
	v_subrev_nc_u32_e32 v5, 28, v4
	v_sub_nc_u32_e32 v4, 29, v4
	v_lshlrev_b64 v[5:6], v5, v[6:7]
	s_delay_alu instid0(VALU_DEP_1)
	v_and_b32_e32 v6, 7, v5
; %bb.1494:                             ;   in Loop: Header=BB237_808 Depth=1
	s_or_b32 exec_lo, exec_lo, s16
	v_lshlrev_b32_e32 v5, 24, v93
	s_delay_alu instid0(VALU_DEP_2) | instskip(SKIP_1) | instid1(VALU_DEP_3)
	v_lshlrev_b32_e32 v6, 20, v6
	v_lshl_add_u32 v4, v4, 23, 0x3c000000
	v_and_b32_e32 v5, 0x80000000, v5
	s_delay_alu instid0(VALU_DEP_1) | instskip(NEXT) | instid1(VALU_DEP_1)
	v_or3_b32 v6, v6, v5, v4
	v_dual_mov_b32 v4, v6 :: v_dual_mov_b32 v5, v7
.LBB237_1495:                           ;   in Loop: Header=BB237_808 Depth=1
	s_or_b32 exec_lo, exec_lo, s15
.LBB237_1496:                           ;   in Loop: Header=BB237_808 Depth=1
	s_delay_alu instid0(SALU_CYCLE_1)
	s_or_b32 exec_lo, exec_lo, s13
.LBB237_1497:                           ;   in Loop: Header=BB237_808 Depth=1
	s_delay_alu instid0(SALU_CYCLE_1) | instskip(SKIP_2) | instid1(VALU_DEP_1)
	s_or_b32 exec_lo, exec_lo, s10
	v_lshrrev_b16 v6, 8, v93
	s_mov_b32 s13, exec_lo
	v_cmpx_ne_u16_e32 0, v6
	s_cbranch_execz .LBB237_1505
; %bb.1498:                             ;   in Loop: Header=BB237_808 Depth=1
	v_dual_mov_b32 v15, s9 :: v_dual_mov_b32 v14, s8
	s_mov_b32 s15, exec_lo
	v_cmpx_ne_u16_e32 0x80, v6
	s_cbranch_execz .LBB237_1504
; %bb.1499:                             ;   in Loop: Header=BB237_808 Depth=1
	s_mov_b32 s10, s8
	v_dual_mov_b32 v15, s11 :: v_dual_and_b32 v6, 0xffff, v6
	v_mov_b32_e32 v14, s10
	s_mov_b32 s10, exec_lo
	s_delay_alu instid0(VALU_DEP_2) | instskip(NEXT) | instid1(VALU_DEP_1)
	v_and_b32_e32 v16, 0x7f, v6
	v_cmpx_ne_u32_e32 0x7f, v16
	s_cbranch_execz .LBB237_1503
; %bb.1500:                             ;   in Loop: Header=BB237_808 Depth=1
	v_and_b32_e32 v6, 7, v6
	v_lshrrev_b32_e32 v14, 3, v16
	s_mov_b32 s16, exec_lo
	v_cmpx_gt_u32_e32 8, v16
; %bb.1501:                             ;   in Loop: Header=BB237_808 Depth=1
	s_delay_alu instid0(VALU_DEP_3) | instskip(NEXT) | instid1(VALU_DEP_1)
	v_clz_i32_u32_e32 v14, v6
	v_min_u32_e32 v14, 32, v14
	s_delay_alu instid0(VALU_DEP_1) | instskip(SKIP_1) | instid1(VALU_DEP_2)
	v_subrev_nc_u32_e32 v15, 28, v14
	v_sub_nc_u32_e32 v14, 29, v14
	v_lshlrev_b64 v[15:16], v15, v[6:7]
	s_delay_alu instid0(VALU_DEP_1)
	v_and_b32_e32 v6, 7, v15
; %bb.1502:                             ;   in Loop: Header=BB237_808 Depth=1
	s_or_b32 exec_lo, exec_lo, s16
	v_lshlrev_b32_e32 v15, 16, v93
	s_delay_alu instid0(VALU_DEP_2) | instskip(SKIP_1) | instid1(VALU_DEP_3)
	v_lshlrev_b32_e32 v6, 20, v6
	v_lshl_add_u32 v14, v14, 23, 0x3c000000
	v_and_b32_e32 v15, 0x80000000, v15
	s_delay_alu instid0(VALU_DEP_1)
	v_or3_b32 v15, v6, v15, v14
	v_mov_b32_e32 v14, v7
.LBB237_1503:                           ;   in Loop: Header=BB237_808 Depth=1
	s_or_b32 exec_lo, exec_lo, s10
.LBB237_1504:                           ;   in Loop: Header=BB237_808 Depth=1
	s_delay_alu instid0(SALU_CYCLE_1)
	s_or_b32 exec_lo, exec_lo, s15
.LBB237_1505:                           ;   in Loop: Header=BB237_808 Depth=1
	s_delay_alu instid0(SALU_CYCLE_1) | instskip(SKIP_4) | instid1(VALU_DEP_2)
	s_or_b32 exec_lo, exec_lo, s13
	v_mov_b32_e32 v18, 0
	v_lshrrev_b32_e32 v94, 16, v93
	v_mov_b32_e32 v19, 0
	s_mov_b32 s10, exec_lo
	v_and_b32_e32 v6, 0xff, v94
	s_delay_alu instid0(VALU_DEP_2) | instskip(NEXT) | instid1(VALU_DEP_2)
	v_dual_mov_b32 v16, v18 :: v_dual_mov_b32 v17, v19
	v_cmpx_ne_u16_e32 0, v6
	s_cbranch_execz .LBB237_1513
; %bb.1506:                             ;   in Loop: Header=BB237_808 Depth=1
	v_bfrev_b32_e32 v16, 1
	v_mov_b32_e32 v17, 0
	s_mov_b32 s13, exec_lo
	v_cmpx_ne_u16_e32 0x80, v6
	s_cbranch_execz .LBB237_1512
; %bb.1507:                             ;   in Loop: Header=BB237_808 Depth=1
	v_mov_b32_e32 v16, 0x7f800001
	v_bfe_u32 v95, v93, 16, 7
	v_mov_b32_e32 v17, 0
	s_mov_b32 s15, exec_lo
	s_delay_alu instid0(VALU_DEP_2)
	v_cmpx_ne_u32_e32 0x7f, v95
	s_cbranch_execz .LBB237_1511
; %bb.1508:                             ;   in Loop: Header=BB237_808 Depth=1
	v_and_b32_e32 v6, 7, v94
	v_lshrrev_b32_e32 v16, 3, v95
	s_mov_b32 s16, exec_lo
	v_cmpx_gt_u32_e32 8, v95
; %bb.1509:                             ;   in Loop: Header=BB237_808 Depth=1
	s_delay_alu instid0(VALU_DEP_3) | instskip(NEXT) | instid1(VALU_DEP_1)
	v_clz_i32_u32_e32 v16, v6
	v_min_u32_e32 v16, 32, v16
	s_delay_alu instid0(VALU_DEP_1) | instskip(SKIP_1) | instid1(VALU_DEP_2)
	v_subrev_nc_u32_e32 v17, 28, v16
	v_sub_nc_u32_e32 v16, 29, v16
	v_lshlrev_b64 v[104:105], v17, v[6:7]
	s_delay_alu instid0(VALU_DEP_1)
	v_and_b32_e32 v6, 7, v104
; %bb.1510:                             ;   in Loop: Header=BB237_808 Depth=1
	s_or_b32 exec_lo, exec_lo, s16
	v_lshlrev_b32_e32 v17, 24, v94
	s_delay_alu instid0(VALU_DEP_2) | instskip(SKIP_1) | instid1(VALU_DEP_3)
	v_lshlrev_b32_e32 v6, 20, v6
	v_lshl_add_u32 v16, v16, 23, 0x3c000000
	v_and_b32_e32 v17, 0x80000000, v17
	s_delay_alu instid0(VALU_DEP_1) | instskip(NEXT) | instid1(VALU_DEP_1)
	v_or3_b32 v6, v6, v17, v16
	v_dual_mov_b32 v17, v7 :: v_dual_mov_b32 v16, v6
.LBB237_1511:                           ;   in Loop: Header=BB237_808 Depth=1
	s_or_b32 exec_lo, exec_lo, s15
.LBB237_1512:                           ;   in Loop: Header=BB237_808 Depth=1
	s_delay_alu instid0(SALU_CYCLE_1)
	s_or_b32 exec_lo, exec_lo, s13
.LBB237_1513:                           ;   in Loop: Header=BB237_808 Depth=1
	s_delay_alu instid0(SALU_CYCLE_1) | instskip(NEXT) | instid1(SALU_CYCLE_1)
	s_or_b32 exec_lo, exec_lo, s10
	s_mov_b32 s13, exec_lo
	v_cmpx_lt_u32_e32 0xffffff, v93
	s_cbranch_execz .LBB237_1521
; %bb.1514:                             ;   in Loop: Header=BB237_808 Depth=1
	v_lshrrev_b32_e32 v94, 24, v93
	v_dual_mov_b32 v19, s9 :: v_dual_mov_b32 v18, s8
	s_mov_b32 s15, exec_lo
	s_delay_alu instid0(VALU_DEP_2)
	v_cmpx_ne_u32_e32 0x80, v94
	s_cbranch_execz .LBB237_1520
; %bb.1515:                             ;   in Loop: Header=BB237_808 Depth=1
	s_mov_b32 s10, s8
	v_bfe_u32 v93, v93, 24, 7
	v_dual_mov_b32 v19, s11 :: v_dual_mov_b32 v18, s10
	s_mov_b32 s10, exec_lo
	s_delay_alu instid0(VALU_DEP_2)
	v_cmpx_ne_u32_e32 0x7f, v93
	s_cbranch_execz .LBB237_1519
; %bb.1516:                             ;   in Loop: Header=BB237_808 Depth=1
	v_and_b32_e32 v6, 7, v94
	v_lshrrev_b32_e32 v18, 3, v93
	s_mov_b32 s16, exec_lo
	v_cmpx_gt_u32_e32 8, v93
; %bb.1517:                             ;   in Loop: Header=BB237_808 Depth=1
	s_delay_alu instid0(VALU_DEP_3) | instskip(NEXT) | instid1(VALU_DEP_1)
	v_clz_i32_u32_e32 v18, v6
	v_min_u32_e32 v18, 32, v18
	s_delay_alu instid0(VALU_DEP_1) | instskip(SKIP_1) | instid1(VALU_DEP_2)
	v_subrev_nc_u32_e32 v19, 28, v18
	v_sub_nc_u32_e32 v18, 29, v18
	v_lshlrev_b64 v[104:105], v19, v[6:7]
	s_delay_alu instid0(VALU_DEP_1)
	v_and_b32_e32 v6, 7, v104
; %bb.1518:                             ;   in Loop: Header=BB237_808 Depth=1
	s_or_b32 exec_lo, exec_lo, s16
	v_lshlrev_b32_e32 v19, 24, v94
	s_delay_alu instid0(VALU_DEP_2) | instskip(SKIP_1) | instid1(VALU_DEP_3)
	v_lshlrev_b32_e32 v6, 20, v6
	v_lshl_add_u32 v18, v18, 23, 0x3c000000
	v_and_b32_e32 v19, 0x80000000, v19
	s_delay_alu instid0(VALU_DEP_1)
	v_or3_b32 v19, v6, v19, v18
	v_mov_b32_e32 v18, v7
.LBB237_1519:                           ;   in Loop: Header=BB237_808 Depth=1
	s_or_b32 exec_lo, exec_lo, s10
.LBB237_1520:                           ;   in Loop: Header=BB237_808 Depth=1
	s_delay_alu instid0(SALU_CYCLE_1)
	s_or_b32 exec_lo, exec_lo, s15
.LBB237_1521:                           ;   in Loop: Header=BB237_808 Depth=1
	s_delay_alu instid0(SALU_CYCLE_1) | instskip(SKIP_4) | instid1(VALU_DEP_4)
	s_or_b32 exec_lo, exec_lo, s13
	v_or_b32_e32 v5, v15, v5
	v_or_b32_e32 v4, v14, v4
	;; [unrolled: 1-line block ×4, first 2 shown]
	v_mul_f32_e32 v104, v70, v5
	s_delay_alu instid0(VALU_DEP_4) | instskip(NEXT) | instid1(VALU_DEP_4)
	v_mul_f32_e32 v95, v70, v4
	v_mul_f32_e32 v93, v70, v6
	s_delay_alu instid0(VALU_DEP_4)
	v_mul_f32_e32 v94, v70, v14
	s_and_saveexec_b32 s10, vcc_lo
; %bb.1522:                             ;   in Loop: Header=BB237_808 Depth=1
	v_cmp_lt_i32_e64 s0, v83, v25
	s_delay_alu instid0(VALU_DEP_1) | instskip(SKIP_1) | instid1(VALU_DEP_1)
	v_cndmask_b32_e64 v95, 0, v95, s0
	v_cmp_lt_i32_e64 s0, v86, v25
	v_cndmask_b32_e64 v104, 0, v104, s0
	v_cmp_lt_i32_e64 s0, v85, v25
	s_delay_alu instid0(VALU_DEP_1) | instskip(SKIP_1) | instid1(VALU_DEP_1)
	v_cndmask_b32_e64 v94, 0, v94, s0
	v_cmp_lt_i32_e64 s0, v84, v25
	v_cndmask_b32_e64 v93, 0, v93, s0
; %bb.1523:                             ;   in Loop: Header=BB237_808 Depth=1
	s_or_b32 exec_lo, exec_lo, s10
	flat_load_b32 v105, v[12:13] offset:2688
	v_mov_b32_e32 v14, 0
	v_mov_b32_e32 v15, 0
	s_mov_b32 s10, exec_lo
	s_waitcnt vmcnt(0) lgkmcnt(0)
	v_and_b32_e32 v6, 0xff, v105
	s_delay_alu instid0(VALU_DEP_2) | instskip(NEXT) | instid1(VALU_DEP_2)
	v_dual_mov_b32 v4, v14 :: v_dual_mov_b32 v5, v15
	v_cmpx_ne_u16_e32 0, v6
	s_cbranch_execz .LBB237_1531
; %bb.1524:                             ;   in Loop: Header=BB237_808 Depth=1
	v_bfrev_b32_e32 v4, 1
	v_mov_b32_e32 v5, 0
	s_mov_b32 s13, exec_lo
	v_cmpx_ne_u16_e32 0x80, v6
	s_cbranch_execz .LBB237_1530
; %bb.1525:                             ;   in Loop: Header=BB237_808 Depth=1
	v_mov_b32_e32 v4, 0x7f800001
	v_dual_mov_b32 v5, 0 :: v_dual_and_b32 v16, 0x7f, v105
	s_mov_b32 s15, exec_lo
	s_delay_alu instid0(VALU_DEP_1)
	v_cmpx_ne_u32_e32 0x7f, v16
	s_cbranch_execz .LBB237_1529
; %bb.1526:                             ;   in Loop: Header=BB237_808 Depth=1
	v_and_b32_e32 v6, 7, v105
	v_lshrrev_b32_e32 v4, 3, v16
	s_mov_b32 s16, exec_lo
	v_cmpx_gt_u32_e32 8, v16
; %bb.1527:                             ;   in Loop: Header=BB237_808 Depth=1
	s_delay_alu instid0(VALU_DEP_3) | instskip(NEXT) | instid1(VALU_DEP_1)
	v_clz_i32_u32_e32 v4, v6
	v_min_u32_e32 v4, 32, v4
	s_delay_alu instid0(VALU_DEP_1) | instskip(SKIP_1) | instid1(VALU_DEP_2)
	v_subrev_nc_u32_e32 v5, 28, v4
	v_sub_nc_u32_e32 v4, 29, v4
	v_lshlrev_b64 v[5:6], v5, v[6:7]
	s_delay_alu instid0(VALU_DEP_1)
	v_and_b32_e32 v6, 7, v5
; %bb.1528:                             ;   in Loop: Header=BB237_808 Depth=1
	s_or_b32 exec_lo, exec_lo, s16
	v_lshlrev_b32_e32 v5, 24, v105
	s_delay_alu instid0(VALU_DEP_2) | instskip(SKIP_1) | instid1(VALU_DEP_3)
	v_lshlrev_b32_e32 v6, 20, v6
	v_lshl_add_u32 v4, v4, 23, 0x3c000000
	v_and_b32_e32 v5, 0x80000000, v5
	s_delay_alu instid0(VALU_DEP_1) | instskip(NEXT) | instid1(VALU_DEP_1)
	v_or3_b32 v6, v6, v5, v4
	v_dual_mov_b32 v4, v6 :: v_dual_mov_b32 v5, v7
.LBB237_1529:                           ;   in Loop: Header=BB237_808 Depth=1
	s_or_b32 exec_lo, exec_lo, s15
.LBB237_1530:                           ;   in Loop: Header=BB237_808 Depth=1
	s_delay_alu instid0(SALU_CYCLE_1)
	s_or_b32 exec_lo, exec_lo, s13
.LBB237_1531:                           ;   in Loop: Header=BB237_808 Depth=1
	s_delay_alu instid0(SALU_CYCLE_1) | instskip(SKIP_2) | instid1(VALU_DEP_1)
	s_or_b32 exec_lo, exec_lo, s10
	v_lshrrev_b16 v6, 8, v105
	s_mov_b32 s13, exec_lo
	v_cmpx_ne_u16_e32 0, v6
	s_cbranch_execz .LBB237_1539
; %bb.1532:                             ;   in Loop: Header=BB237_808 Depth=1
	v_dual_mov_b32 v15, s9 :: v_dual_mov_b32 v14, s8
	s_mov_b32 s15, exec_lo
	v_cmpx_ne_u16_e32 0x80, v6
	s_cbranch_execz .LBB237_1538
; %bb.1533:                             ;   in Loop: Header=BB237_808 Depth=1
	s_mov_b32 s10, s8
	v_dual_mov_b32 v15, s11 :: v_dual_and_b32 v6, 0xffff, v6
	v_mov_b32_e32 v14, s10
	s_mov_b32 s10, exec_lo
	s_delay_alu instid0(VALU_DEP_2) | instskip(NEXT) | instid1(VALU_DEP_1)
	v_and_b32_e32 v16, 0x7f, v6
	v_cmpx_ne_u32_e32 0x7f, v16
	s_cbranch_execz .LBB237_1537
; %bb.1534:                             ;   in Loop: Header=BB237_808 Depth=1
	v_and_b32_e32 v6, 7, v6
	v_lshrrev_b32_e32 v14, 3, v16
	s_mov_b32 s16, exec_lo
	v_cmpx_gt_u32_e32 8, v16
; %bb.1535:                             ;   in Loop: Header=BB237_808 Depth=1
	s_delay_alu instid0(VALU_DEP_3) | instskip(NEXT) | instid1(VALU_DEP_1)
	v_clz_i32_u32_e32 v14, v6
	v_min_u32_e32 v14, 32, v14
	s_delay_alu instid0(VALU_DEP_1) | instskip(SKIP_1) | instid1(VALU_DEP_2)
	v_subrev_nc_u32_e32 v15, 28, v14
	v_sub_nc_u32_e32 v14, 29, v14
	v_lshlrev_b64 v[15:16], v15, v[6:7]
	s_delay_alu instid0(VALU_DEP_1)
	v_and_b32_e32 v6, 7, v15
; %bb.1536:                             ;   in Loop: Header=BB237_808 Depth=1
	s_or_b32 exec_lo, exec_lo, s16
	v_lshlrev_b32_e32 v15, 16, v105
	s_delay_alu instid0(VALU_DEP_2) | instskip(SKIP_1) | instid1(VALU_DEP_3)
	v_lshlrev_b32_e32 v6, 20, v6
	v_lshl_add_u32 v14, v14, 23, 0x3c000000
	v_and_b32_e32 v15, 0x80000000, v15
	s_delay_alu instid0(VALU_DEP_1)
	v_or3_b32 v15, v6, v15, v14
	v_mov_b32_e32 v14, v7
.LBB237_1537:                           ;   in Loop: Header=BB237_808 Depth=1
	s_or_b32 exec_lo, exec_lo, s10
.LBB237_1538:                           ;   in Loop: Header=BB237_808 Depth=1
	s_delay_alu instid0(SALU_CYCLE_1)
	s_or_b32 exec_lo, exec_lo, s15
.LBB237_1539:                           ;   in Loop: Header=BB237_808 Depth=1
	s_delay_alu instid0(SALU_CYCLE_1) | instskip(SKIP_4) | instid1(VALU_DEP_2)
	s_or_b32 exec_lo, exec_lo, s13
	v_mov_b32_e32 v18, 0
	v_lshrrev_b32_e32 v106, 16, v105
	v_mov_b32_e32 v19, 0
	s_mov_b32 s10, exec_lo
	v_and_b32_e32 v6, 0xff, v106
	s_delay_alu instid0(VALU_DEP_2) | instskip(NEXT) | instid1(VALU_DEP_2)
	v_dual_mov_b32 v16, v18 :: v_dual_mov_b32 v17, v19
	v_cmpx_ne_u16_e32 0, v6
	s_cbranch_execz .LBB237_1547
; %bb.1540:                             ;   in Loop: Header=BB237_808 Depth=1
	v_bfrev_b32_e32 v16, 1
	v_mov_b32_e32 v17, 0
	s_mov_b32 s13, exec_lo
	v_cmpx_ne_u16_e32 0x80, v6
	s_cbranch_execz .LBB237_1546
; %bb.1541:                             ;   in Loop: Header=BB237_808 Depth=1
	v_mov_b32_e32 v16, 0x7f800001
	v_bfe_u32 v107, v105, 16, 7
	v_mov_b32_e32 v17, 0
	s_mov_b32 s15, exec_lo
	s_delay_alu instid0(VALU_DEP_2)
	v_cmpx_ne_u32_e32 0x7f, v107
	s_cbranch_execz .LBB237_1545
; %bb.1542:                             ;   in Loop: Header=BB237_808 Depth=1
	v_and_b32_e32 v6, 7, v106
	v_lshrrev_b32_e32 v16, 3, v107
	s_mov_b32 s16, exec_lo
	v_cmpx_gt_u32_e32 8, v107
; %bb.1543:                             ;   in Loop: Header=BB237_808 Depth=1
	s_delay_alu instid0(VALU_DEP_3) | instskip(NEXT) | instid1(VALU_DEP_1)
	v_clz_i32_u32_e32 v16, v6
	v_min_u32_e32 v16, 32, v16
	s_delay_alu instid0(VALU_DEP_1) | instskip(SKIP_1) | instid1(VALU_DEP_2)
	v_subrev_nc_u32_e32 v17, 28, v16
	v_sub_nc_u32_e32 v16, 29, v16
	v_lshlrev_b64 v[107:108], v17, v[6:7]
	s_delay_alu instid0(VALU_DEP_1)
	v_and_b32_e32 v6, 7, v107
; %bb.1544:                             ;   in Loop: Header=BB237_808 Depth=1
	s_or_b32 exec_lo, exec_lo, s16
	v_lshlrev_b32_e32 v17, 24, v106
	s_delay_alu instid0(VALU_DEP_2) | instskip(SKIP_1) | instid1(VALU_DEP_3)
	v_lshlrev_b32_e32 v6, 20, v6
	v_lshl_add_u32 v16, v16, 23, 0x3c000000
	v_and_b32_e32 v17, 0x80000000, v17
	s_delay_alu instid0(VALU_DEP_1) | instskip(NEXT) | instid1(VALU_DEP_1)
	v_or3_b32 v6, v6, v17, v16
	v_dual_mov_b32 v17, v7 :: v_dual_mov_b32 v16, v6
.LBB237_1545:                           ;   in Loop: Header=BB237_808 Depth=1
	s_or_b32 exec_lo, exec_lo, s15
.LBB237_1546:                           ;   in Loop: Header=BB237_808 Depth=1
	s_delay_alu instid0(SALU_CYCLE_1)
	s_or_b32 exec_lo, exec_lo, s13
.LBB237_1547:                           ;   in Loop: Header=BB237_808 Depth=1
	s_delay_alu instid0(SALU_CYCLE_1) | instskip(NEXT) | instid1(SALU_CYCLE_1)
	s_or_b32 exec_lo, exec_lo, s10
	s_mov_b32 s13, exec_lo
	v_cmpx_lt_u32_e32 0xffffff, v105
	s_cbranch_execz .LBB237_1555
; %bb.1548:                             ;   in Loop: Header=BB237_808 Depth=1
	v_lshrrev_b32_e32 v106, 24, v105
	v_dual_mov_b32 v19, s9 :: v_dual_mov_b32 v18, s8
	s_mov_b32 s15, exec_lo
	s_delay_alu instid0(VALU_DEP_2)
	v_cmpx_ne_u32_e32 0x80, v106
	s_cbranch_execz .LBB237_1554
; %bb.1549:                             ;   in Loop: Header=BB237_808 Depth=1
	s_mov_b32 s10, s8
	v_bfe_u32 v105, v105, 24, 7
	v_dual_mov_b32 v19, s11 :: v_dual_mov_b32 v18, s10
	s_mov_b32 s10, exec_lo
	s_delay_alu instid0(VALU_DEP_2)
	v_cmpx_ne_u32_e32 0x7f, v105
	s_cbranch_execz .LBB237_1553
; %bb.1550:                             ;   in Loop: Header=BB237_808 Depth=1
	v_and_b32_e32 v6, 7, v106
	v_lshrrev_b32_e32 v18, 3, v105
	s_mov_b32 s16, exec_lo
	v_cmpx_gt_u32_e32 8, v105
; %bb.1551:                             ;   in Loop: Header=BB237_808 Depth=1
	s_delay_alu instid0(VALU_DEP_3) | instskip(NEXT) | instid1(VALU_DEP_1)
	v_clz_i32_u32_e32 v18, v6
	v_min_u32_e32 v18, 32, v18
	s_delay_alu instid0(VALU_DEP_1) | instskip(SKIP_1) | instid1(VALU_DEP_2)
	v_subrev_nc_u32_e32 v19, 28, v18
	v_sub_nc_u32_e32 v18, 29, v18
	v_lshlrev_b64 v[107:108], v19, v[6:7]
	s_delay_alu instid0(VALU_DEP_1)
	v_and_b32_e32 v6, 7, v107
; %bb.1552:                             ;   in Loop: Header=BB237_808 Depth=1
	s_or_b32 exec_lo, exec_lo, s16
	v_lshlrev_b32_e32 v19, 24, v106
	s_delay_alu instid0(VALU_DEP_2) | instskip(SKIP_1) | instid1(VALU_DEP_3)
	v_lshlrev_b32_e32 v6, 20, v6
	v_lshl_add_u32 v18, v18, 23, 0x3c000000
	v_and_b32_e32 v19, 0x80000000, v19
	s_delay_alu instid0(VALU_DEP_1)
	v_or3_b32 v19, v6, v19, v18
	v_mov_b32_e32 v18, v7
.LBB237_1553:                           ;   in Loop: Header=BB237_808 Depth=1
	s_or_b32 exec_lo, exec_lo, s10
.LBB237_1554:                           ;   in Loop: Header=BB237_808 Depth=1
	s_delay_alu instid0(SALU_CYCLE_1)
	s_or_b32 exec_lo, exec_lo, s15
.LBB237_1555:                           ;   in Loop: Header=BB237_808 Depth=1
	s_delay_alu instid0(SALU_CYCLE_1) | instskip(SKIP_4) | instid1(VALU_DEP_4)
	s_or_b32 exec_lo, exec_lo, s13
	v_or_b32_e32 v5, v15, v5
	v_or_b32_e32 v4, v14, v4
	;; [unrolled: 1-line block ×4, first 2 shown]
	v_mul_f32_e32 v108, v70, v5
	s_delay_alu instid0(VALU_DEP_4) | instskip(NEXT) | instid1(VALU_DEP_4)
	v_mul_f32_e32 v107, v70, v4
	v_mul_f32_e32 v105, v70, v6
	s_delay_alu instid0(VALU_DEP_4)
	v_mul_f32_e32 v106, v70, v14
	s_and_saveexec_b32 s10, vcc_lo
; %bb.1556:                             ;   in Loop: Header=BB237_808 Depth=1
	v_cmp_lt_i32_e64 s0, v83, v25
	s_delay_alu instid0(VALU_DEP_1) | instskip(SKIP_1) | instid1(VALU_DEP_1)
	v_cndmask_b32_e64 v107, 0, v107, s0
	v_cmp_lt_i32_e64 s0, v86, v25
	v_cndmask_b32_e64 v108, 0, v108, s0
	v_cmp_lt_i32_e64 s0, v85, v25
	s_delay_alu instid0(VALU_DEP_1) | instskip(SKIP_1) | instid1(VALU_DEP_1)
	v_cndmask_b32_e64 v106, 0, v106, s0
	v_cmp_lt_i32_e64 s0, v84, v25
	v_cndmask_b32_e64 v105, 0, v105, s0
; %bb.1557:                             ;   in Loop: Header=BB237_808 Depth=1
	s_or_b32 exec_lo, exec_lo, s10
	flat_load_b32 v109, v[12:13] offset:2816
	v_mov_b32_e32 v14, 0
	v_mov_b32_e32 v15, 0
	s_mov_b32 s10, exec_lo
	s_waitcnt vmcnt(0) lgkmcnt(0)
	v_and_b32_e32 v6, 0xff, v109
	s_delay_alu instid0(VALU_DEP_2) | instskip(NEXT) | instid1(VALU_DEP_2)
	v_dual_mov_b32 v4, v14 :: v_dual_mov_b32 v5, v15
	v_cmpx_ne_u16_e32 0, v6
	s_cbranch_execz .LBB237_1565
; %bb.1558:                             ;   in Loop: Header=BB237_808 Depth=1
	v_bfrev_b32_e32 v4, 1
	v_mov_b32_e32 v5, 0
	s_mov_b32 s13, exec_lo
	v_cmpx_ne_u16_e32 0x80, v6
	s_cbranch_execz .LBB237_1564
; %bb.1559:                             ;   in Loop: Header=BB237_808 Depth=1
	v_mov_b32_e32 v4, 0x7f800001
	v_dual_mov_b32 v5, 0 :: v_dual_and_b32 v16, 0x7f, v109
	s_mov_b32 s15, exec_lo
	s_delay_alu instid0(VALU_DEP_1)
	v_cmpx_ne_u32_e32 0x7f, v16
	s_cbranch_execz .LBB237_1563
; %bb.1560:                             ;   in Loop: Header=BB237_808 Depth=1
	v_and_b32_e32 v6, 7, v109
	v_lshrrev_b32_e32 v4, 3, v16
	s_mov_b32 s16, exec_lo
	v_cmpx_gt_u32_e32 8, v16
; %bb.1561:                             ;   in Loop: Header=BB237_808 Depth=1
	s_delay_alu instid0(VALU_DEP_3) | instskip(NEXT) | instid1(VALU_DEP_1)
	v_clz_i32_u32_e32 v4, v6
	v_min_u32_e32 v4, 32, v4
	s_delay_alu instid0(VALU_DEP_1) | instskip(SKIP_1) | instid1(VALU_DEP_2)
	v_subrev_nc_u32_e32 v5, 28, v4
	v_sub_nc_u32_e32 v4, 29, v4
	v_lshlrev_b64 v[5:6], v5, v[6:7]
	s_delay_alu instid0(VALU_DEP_1)
	v_and_b32_e32 v6, 7, v5
; %bb.1562:                             ;   in Loop: Header=BB237_808 Depth=1
	s_or_b32 exec_lo, exec_lo, s16
	v_lshlrev_b32_e32 v5, 24, v109
	s_delay_alu instid0(VALU_DEP_2) | instskip(SKIP_1) | instid1(VALU_DEP_3)
	v_lshlrev_b32_e32 v6, 20, v6
	v_lshl_add_u32 v4, v4, 23, 0x3c000000
	v_and_b32_e32 v5, 0x80000000, v5
	s_delay_alu instid0(VALU_DEP_1) | instskip(NEXT) | instid1(VALU_DEP_1)
	v_or3_b32 v6, v6, v5, v4
	v_dual_mov_b32 v4, v6 :: v_dual_mov_b32 v5, v7
.LBB237_1563:                           ;   in Loop: Header=BB237_808 Depth=1
	s_or_b32 exec_lo, exec_lo, s15
.LBB237_1564:                           ;   in Loop: Header=BB237_808 Depth=1
	s_delay_alu instid0(SALU_CYCLE_1)
	s_or_b32 exec_lo, exec_lo, s13
.LBB237_1565:                           ;   in Loop: Header=BB237_808 Depth=1
	s_delay_alu instid0(SALU_CYCLE_1) | instskip(SKIP_2) | instid1(VALU_DEP_1)
	s_or_b32 exec_lo, exec_lo, s10
	v_lshrrev_b16 v6, 8, v109
	s_mov_b32 s13, exec_lo
	v_cmpx_ne_u16_e32 0, v6
	s_cbranch_execz .LBB237_1573
; %bb.1566:                             ;   in Loop: Header=BB237_808 Depth=1
	v_dual_mov_b32 v15, s9 :: v_dual_mov_b32 v14, s8
	s_mov_b32 s15, exec_lo
	v_cmpx_ne_u16_e32 0x80, v6
	s_cbranch_execz .LBB237_1572
; %bb.1567:                             ;   in Loop: Header=BB237_808 Depth=1
	s_mov_b32 s10, s8
	v_dual_mov_b32 v15, s11 :: v_dual_and_b32 v6, 0xffff, v6
	v_mov_b32_e32 v14, s10
	s_mov_b32 s10, exec_lo
	s_delay_alu instid0(VALU_DEP_2) | instskip(NEXT) | instid1(VALU_DEP_1)
	v_and_b32_e32 v16, 0x7f, v6
	v_cmpx_ne_u32_e32 0x7f, v16
	s_cbranch_execz .LBB237_1571
; %bb.1568:                             ;   in Loop: Header=BB237_808 Depth=1
	v_and_b32_e32 v6, 7, v6
	v_lshrrev_b32_e32 v14, 3, v16
	s_mov_b32 s16, exec_lo
	v_cmpx_gt_u32_e32 8, v16
; %bb.1569:                             ;   in Loop: Header=BB237_808 Depth=1
	s_delay_alu instid0(VALU_DEP_3) | instskip(NEXT) | instid1(VALU_DEP_1)
	v_clz_i32_u32_e32 v14, v6
	v_min_u32_e32 v14, 32, v14
	s_delay_alu instid0(VALU_DEP_1) | instskip(SKIP_1) | instid1(VALU_DEP_2)
	v_subrev_nc_u32_e32 v15, 28, v14
	v_sub_nc_u32_e32 v14, 29, v14
	v_lshlrev_b64 v[15:16], v15, v[6:7]
	s_delay_alu instid0(VALU_DEP_1)
	v_and_b32_e32 v6, 7, v15
; %bb.1570:                             ;   in Loop: Header=BB237_808 Depth=1
	s_or_b32 exec_lo, exec_lo, s16
	v_lshlrev_b32_e32 v15, 16, v109
	s_delay_alu instid0(VALU_DEP_2) | instskip(SKIP_1) | instid1(VALU_DEP_3)
	v_lshlrev_b32_e32 v6, 20, v6
	v_lshl_add_u32 v14, v14, 23, 0x3c000000
	v_and_b32_e32 v15, 0x80000000, v15
	s_delay_alu instid0(VALU_DEP_1)
	v_or3_b32 v15, v6, v15, v14
	v_mov_b32_e32 v14, v7
.LBB237_1571:                           ;   in Loop: Header=BB237_808 Depth=1
	s_or_b32 exec_lo, exec_lo, s10
.LBB237_1572:                           ;   in Loop: Header=BB237_808 Depth=1
	s_delay_alu instid0(SALU_CYCLE_1)
	s_or_b32 exec_lo, exec_lo, s15
.LBB237_1573:                           ;   in Loop: Header=BB237_808 Depth=1
	s_delay_alu instid0(SALU_CYCLE_1) | instskip(SKIP_4) | instid1(VALU_DEP_2)
	s_or_b32 exec_lo, exec_lo, s13
	v_mov_b32_e32 v18, 0
	v_lshrrev_b32_e32 v110, 16, v109
	v_mov_b32_e32 v19, 0
	s_mov_b32 s10, exec_lo
	v_and_b32_e32 v6, 0xff, v110
	s_delay_alu instid0(VALU_DEP_2) | instskip(NEXT) | instid1(VALU_DEP_2)
	v_dual_mov_b32 v16, v18 :: v_dual_mov_b32 v17, v19
	v_cmpx_ne_u16_e32 0, v6
	s_cbranch_execz .LBB237_1581
; %bb.1574:                             ;   in Loop: Header=BB237_808 Depth=1
	v_bfrev_b32_e32 v16, 1
	v_mov_b32_e32 v17, 0
	s_mov_b32 s13, exec_lo
	v_cmpx_ne_u16_e32 0x80, v6
	s_cbranch_execz .LBB237_1580
; %bb.1575:                             ;   in Loop: Header=BB237_808 Depth=1
	v_mov_b32_e32 v16, 0x7f800001
	v_bfe_u32 v111, v109, 16, 7
	v_mov_b32_e32 v17, 0
	s_mov_b32 s15, exec_lo
	s_delay_alu instid0(VALU_DEP_2)
	v_cmpx_ne_u32_e32 0x7f, v111
	s_cbranch_execz .LBB237_1579
; %bb.1576:                             ;   in Loop: Header=BB237_808 Depth=1
	v_and_b32_e32 v6, 7, v110
	v_lshrrev_b32_e32 v16, 3, v111
	s_mov_b32 s16, exec_lo
	v_cmpx_gt_u32_e32 8, v111
; %bb.1577:                             ;   in Loop: Header=BB237_808 Depth=1
	s_delay_alu instid0(VALU_DEP_3) | instskip(NEXT) | instid1(VALU_DEP_1)
	v_clz_i32_u32_e32 v16, v6
	v_min_u32_e32 v16, 32, v16
	s_delay_alu instid0(VALU_DEP_1) | instskip(SKIP_1) | instid1(VALU_DEP_2)
	v_subrev_nc_u32_e32 v17, 28, v16
	v_sub_nc_u32_e32 v16, 29, v16
	v_lshlrev_b64 v[120:121], v17, v[6:7]
	s_delay_alu instid0(VALU_DEP_1)
	v_and_b32_e32 v6, 7, v120
; %bb.1578:                             ;   in Loop: Header=BB237_808 Depth=1
	s_or_b32 exec_lo, exec_lo, s16
	v_lshlrev_b32_e32 v17, 24, v110
	s_delay_alu instid0(VALU_DEP_2) | instskip(SKIP_1) | instid1(VALU_DEP_3)
	v_lshlrev_b32_e32 v6, 20, v6
	v_lshl_add_u32 v16, v16, 23, 0x3c000000
	v_and_b32_e32 v17, 0x80000000, v17
	s_delay_alu instid0(VALU_DEP_1) | instskip(NEXT) | instid1(VALU_DEP_1)
	v_or3_b32 v6, v6, v17, v16
	v_dual_mov_b32 v17, v7 :: v_dual_mov_b32 v16, v6
.LBB237_1579:                           ;   in Loop: Header=BB237_808 Depth=1
	s_or_b32 exec_lo, exec_lo, s15
.LBB237_1580:                           ;   in Loop: Header=BB237_808 Depth=1
	s_delay_alu instid0(SALU_CYCLE_1)
	s_or_b32 exec_lo, exec_lo, s13
.LBB237_1581:                           ;   in Loop: Header=BB237_808 Depth=1
	s_delay_alu instid0(SALU_CYCLE_1) | instskip(NEXT) | instid1(SALU_CYCLE_1)
	s_or_b32 exec_lo, exec_lo, s10
	s_mov_b32 s13, exec_lo
	v_cmpx_lt_u32_e32 0xffffff, v109
	s_cbranch_execz .LBB237_1589
; %bb.1582:                             ;   in Loop: Header=BB237_808 Depth=1
	v_lshrrev_b32_e32 v110, 24, v109
	v_dual_mov_b32 v19, s9 :: v_dual_mov_b32 v18, s8
	s_mov_b32 s15, exec_lo
	s_delay_alu instid0(VALU_DEP_2)
	v_cmpx_ne_u32_e32 0x80, v110
	s_cbranch_execz .LBB237_1588
; %bb.1583:                             ;   in Loop: Header=BB237_808 Depth=1
	s_mov_b32 s10, s8
	v_bfe_u32 v109, v109, 24, 7
	v_dual_mov_b32 v19, s11 :: v_dual_mov_b32 v18, s10
	s_mov_b32 s10, exec_lo
	s_delay_alu instid0(VALU_DEP_2)
	v_cmpx_ne_u32_e32 0x7f, v109
	s_cbranch_execz .LBB237_1587
; %bb.1584:                             ;   in Loop: Header=BB237_808 Depth=1
	v_and_b32_e32 v6, 7, v110
	v_lshrrev_b32_e32 v18, 3, v109
	s_mov_b32 s16, exec_lo
	v_cmpx_gt_u32_e32 8, v109
; %bb.1585:                             ;   in Loop: Header=BB237_808 Depth=1
	s_delay_alu instid0(VALU_DEP_3) | instskip(NEXT) | instid1(VALU_DEP_1)
	v_clz_i32_u32_e32 v18, v6
	v_min_u32_e32 v18, 32, v18
	s_delay_alu instid0(VALU_DEP_1) | instskip(SKIP_1) | instid1(VALU_DEP_2)
	v_subrev_nc_u32_e32 v19, 28, v18
	v_sub_nc_u32_e32 v18, 29, v18
	v_lshlrev_b64 v[120:121], v19, v[6:7]
	s_delay_alu instid0(VALU_DEP_1)
	v_and_b32_e32 v6, 7, v120
; %bb.1586:                             ;   in Loop: Header=BB237_808 Depth=1
	s_or_b32 exec_lo, exec_lo, s16
	v_lshlrev_b32_e32 v19, 24, v110
	s_delay_alu instid0(VALU_DEP_2) | instskip(SKIP_1) | instid1(VALU_DEP_3)
	v_lshlrev_b32_e32 v6, 20, v6
	v_lshl_add_u32 v18, v18, 23, 0x3c000000
	v_and_b32_e32 v19, 0x80000000, v19
	s_delay_alu instid0(VALU_DEP_1)
	v_or3_b32 v19, v6, v19, v18
	v_mov_b32_e32 v18, v7
.LBB237_1587:                           ;   in Loop: Header=BB237_808 Depth=1
	s_or_b32 exec_lo, exec_lo, s10
.LBB237_1588:                           ;   in Loop: Header=BB237_808 Depth=1
	s_delay_alu instid0(SALU_CYCLE_1)
	s_or_b32 exec_lo, exec_lo, s15
.LBB237_1589:                           ;   in Loop: Header=BB237_808 Depth=1
	s_delay_alu instid0(SALU_CYCLE_1) | instskip(SKIP_4) | instid1(VALU_DEP_4)
	s_or_b32 exec_lo, exec_lo, s13
	v_or_b32_e32 v5, v15, v5
	v_or_b32_e32 v4, v14, v4
	;; [unrolled: 1-line block ×4, first 2 shown]
	v_mul_f32_e32 v110, v70, v5
	s_delay_alu instid0(VALU_DEP_4) | instskip(NEXT) | instid1(VALU_DEP_4)
	v_mul_f32_e32 v109, v70, v4
	v_mul_f32_e32 v18, v70, v6
	s_delay_alu instid0(VALU_DEP_4)
	v_mul_f32_e32 v19, v70, v14
	s_and_saveexec_b32 s10, vcc_lo
; %bb.1590:                             ;   in Loop: Header=BB237_808 Depth=1
	v_cmp_lt_i32_e64 s0, v83, v25
	s_delay_alu instid0(VALU_DEP_1) | instskip(SKIP_1) | instid1(VALU_DEP_1)
	v_cndmask_b32_e64 v109, 0, v109, s0
	v_cmp_lt_i32_e64 s0, v86, v25
	v_cndmask_b32_e64 v110, 0, v110, s0
	v_cmp_lt_i32_e64 s0, v85, v25
	s_delay_alu instid0(VALU_DEP_1) | instskip(SKIP_1) | instid1(VALU_DEP_1)
	v_cndmask_b32_e64 v19, 0, v19, s0
	v_cmp_lt_i32_e64 s0, v84, v25
	v_cndmask_b32_e64 v18, 0, v18, s0
; %bb.1591:                             ;   in Loop: Header=BB237_808 Depth=1
	s_or_b32 exec_lo, exec_lo, s10
	flat_load_b32 v111, v[12:13] offset:2944
	v_mov_b32_e32 v12, 0
	v_mov_b32_e32 v13, 0
	s_mov_b32 s10, exec_lo
	s_waitcnt vmcnt(0) lgkmcnt(0)
	v_and_b32_e32 v6, 0xff, v111
	s_delay_alu instid0(VALU_DEP_2) | instskip(NEXT) | instid1(VALU_DEP_2)
	v_dual_mov_b32 v4, v12 :: v_dual_mov_b32 v5, v13
	v_cmpx_ne_u16_e32 0, v6
	s_cbranch_execz .LBB237_1599
; %bb.1592:                             ;   in Loop: Header=BB237_808 Depth=1
	v_bfrev_b32_e32 v4, 1
	v_mov_b32_e32 v5, 0
	s_mov_b32 s13, exec_lo
	v_cmpx_ne_u16_e32 0x80, v6
	s_cbranch_execz .LBB237_1598
; %bb.1593:                             ;   in Loop: Header=BB237_808 Depth=1
	v_mov_b32_e32 v4, 0x7f800001
	v_dual_mov_b32 v5, 0 :: v_dual_and_b32 v14, 0x7f, v111
	s_mov_b32 s15, exec_lo
	s_delay_alu instid0(VALU_DEP_1)
	v_cmpx_ne_u32_e32 0x7f, v14
	s_cbranch_execz .LBB237_1597
; %bb.1594:                             ;   in Loop: Header=BB237_808 Depth=1
	v_and_b32_e32 v6, 7, v111
	v_lshrrev_b32_e32 v4, 3, v14
	s_mov_b32 s16, exec_lo
	v_cmpx_gt_u32_e32 8, v14
; %bb.1595:                             ;   in Loop: Header=BB237_808 Depth=1
	s_delay_alu instid0(VALU_DEP_3) | instskip(NEXT) | instid1(VALU_DEP_1)
	v_clz_i32_u32_e32 v4, v6
	v_min_u32_e32 v4, 32, v4
	s_delay_alu instid0(VALU_DEP_1) | instskip(SKIP_1) | instid1(VALU_DEP_2)
	v_subrev_nc_u32_e32 v5, 28, v4
	v_sub_nc_u32_e32 v4, 29, v4
	v_lshlrev_b64 v[5:6], v5, v[6:7]
	s_delay_alu instid0(VALU_DEP_1)
	v_and_b32_e32 v6, 7, v5
; %bb.1596:                             ;   in Loop: Header=BB237_808 Depth=1
	s_or_b32 exec_lo, exec_lo, s16
	v_lshlrev_b32_e32 v5, 24, v111
	s_delay_alu instid0(VALU_DEP_2) | instskip(SKIP_1) | instid1(VALU_DEP_3)
	v_lshlrev_b32_e32 v6, 20, v6
	v_lshl_add_u32 v4, v4, 23, 0x3c000000
	v_and_b32_e32 v5, 0x80000000, v5
	s_delay_alu instid0(VALU_DEP_1) | instskip(NEXT) | instid1(VALU_DEP_1)
	v_or3_b32 v6, v6, v5, v4
	v_dual_mov_b32 v4, v6 :: v_dual_mov_b32 v5, v7
.LBB237_1597:                           ;   in Loop: Header=BB237_808 Depth=1
	s_or_b32 exec_lo, exec_lo, s15
.LBB237_1598:                           ;   in Loop: Header=BB237_808 Depth=1
	s_delay_alu instid0(SALU_CYCLE_1)
	s_or_b32 exec_lo, exec_lo, s13
.LBB237_1599:                           ;   in Loop: Header=BB237_808 Depth=1
	s_delay_alu instid0(SALU_CYCLE_1) | instskip(SKIP_2) | instid1(VALU_DEP_1)
	s_or_b32 exec_lo, exec_lo, s10
	v_lshrrev_b16 v6, 8, v111
	s_mov_b32 s13, exec_lo
	v_cmpx_ne_u16_e32 0, v6
	s_cbranch_execz .LBB237_1607
; %bb.1600:                             ;   in Loop: Header=BB237_808 Depth=1
	v_dual_mov_b32 v13, s9 :: v_dual_mov_b32 v12, s8
	s_mov_b32 s15, exec_lo
	v_cmpx_ne_u16_e32 0x80, v6
	s_cbranch_execz .LBB237_1606
; %bb.1601:                             ;   in Loop: Header=BB237_808 Depth=1
	s_mov_b32 s10, s8
	v_dual_mov_b32 v13, s11 :: v_dual_and_b32 v6, 0xffff, v6
	v_mov_b32_e32 v12, s10
	s_mov_b32 s10, exec_lo
	s_delay_alu instid0(VALU_DEP_2) | instskip(NEXT) | instid1(VALU_DEP_1)
	v_and_b32_e32 v14, 0x7f, v6
	v_cmpx_ne_u32_e32 0x7f, v14
	s_cbranch_execz .LBB237_1605
; %bb.1602:                             ;   in Loop: Header=BB237_808 Depth=1
	v_and_b32_e32 v6, 7, v6
	v_lshrrev_b32_e32 v12, 3, v14
	s_mov_b32 s16, exec_lo
	v_cmpx_gt_u32_e32 8, v14
; %bb.1603:                             ;   in Loop: Header=BB237_808 Depth=1
	s_delay_alu instid0(VALU_DEP_3) | instskip(NEXT) | instid1(VALU_DEP_1)
	v_clz_i32_u32_e32 v12, v6
	v_min_u32_e32 v12, 32, v12
	s_delay_alu instid0(VALU_DEP_1) | instskip(SKIP_1) | instid1(VALU_DEP_2)
	v_subrev_nc_u32_e32 v13, 28, v12
	v_sub_nc_u32_e32 v12, 29, v12
	v_lshlrev_b64 v[13:14], v13, v[6:7]
	s_delay_alu instid0(VALU_DEP_1)
	v_and_b32_e32 v6, 7, v13
; %bb.1604:                             ;   in Loop: Header=BB237_808 Depth=1
	s_or_b32 exec_lo, exec_lo, s16
	v_lshlrev_b32_e32 v13, 16, v111
	s_delay_alu instid0(VALU_DEP_2) | instskip(SKIP_1) | instid1(VALU_DEP_3)
	v_lshlrev_b32_e32 v6, 20, v6
	v_lshl_add_u32 v12, v12, 23, 0x3c000000
	v_and_b32_e32 v13, 0x80000000, v13
	s_delay_alu instid0(VALU_DEP_1)
	v_or3_b32 v13, v6, v13, v12
	v_mov_b32_e32 v12, v7
.LBB237_1605:                           ;   in Loop: Header=BB237_808 Depth=1
	s_or_b32 exec_lo, exec_lo, s10
.LBB237_1606:                           ;   in Loop: Header=BB237_808 Depth=1
	s_delay_alu instid0(SALU_CYCLE_1)
	s_or_b32 exec_lo, exec_lo, s15
.LBB237_1607:                           ;   in Loop: Header=BB237_808 Depth=1
	s_delay_alu instid0(SALU_CYCLE_1) | instskip(SKIP_4) | instid1(VALU_DEP_2)
	s_or_b32 exec_lo, exec_lo, s13
	v_mov_b32_e32 v16, 0
	v_lshrrev_b32_e32 v120, 16, v111
	v_mov_b32_e32 v17, 0
	s_mov_b32 s10, exec_lo
	v_and_b32_e32 v6, 0xff, v120
	s_delay_alu instid0(VALU_DEP_2) | instskip(NEXT) | instid1(VALU_DEP_2)
	v_dual_mov_b32 v14, v16 :: v_dual_mov_b32 v15, v17
	v_cmpx_ne_u16_e32 0, v6
	s_cbranch_execz .LBB237_1615
; %bb.1608:                             ;   in Loop: Header=BB237_808 Depth=1
	v_bfrev_b32_e32 v14, 1
	v_mov_b32_e32 v15, 0
	s_mov_b32 s13, exec_lo
	v_cmpx_ne_u16_e32 0x80, v6
	s_cbranch_execz .LBB237_1614
; %bb.1609:                             ;   in Loop: Header=BB237_808 Depth=1
	v_mov_b32_e32 v14, 0x7f800001
	v_bfe_u32 v121, v111, 16, 7
	v_mov_b32_e32 v15, 0
	s_mov_b32 s15, exec_lo
	s_delay_alu instid0(VALU_DEP_2)
	v_cmpx_ne_u32_e32 0x7f, v121
	s_cbranch_execz .LBB237_1613
; %bb.1610:                             ;   in Loop: Header=BB237_808 Depth=1
	v_and_b32_e32 v6, 7, v120
	v_lshrrev_b32_e32 v14, 3, v121
	s_mov_b32 s16, exec_lo
	v_cmpx_gt_u32_e32 8, v121
; %bb.1611:                             ;   in Loop: Header=BB237_808 Depth=1
	s_delay_alu instid0(VALU_DEP_3) | instskip(NEXT) | instid1(VALU_DEP_1)
	v_clz_i32_u32_e32 v14, v6
	v_min_u32_e32 v14, 32, v14
	s_delay_alu instid0(VALU_DEP_1) | instskip(SKIP_1) | instid1(VALU_DEP_2)
	v_subrev_nc_u32_e32 v15, 28, v14
	v_sub_nc_u32_e32 v14, 29, v14
	v_lshlrev_b64 v[121:122], v15, v[6:7]
	s_delay_alu instid0(VALU_DEP_1)
	v_and_b32_e32 v6, 7, v121
; %bb.1612:                             ;   in Loop: Header=BB237_808 Depth=1
	s_or_b32 exec_lo, exec_lo, s16
	v_lshlrev_b32_e32 v15, 24, v120
	s_delay_alu instid0(VALU_DEP_2) | instskip(SKIP_1) | instid1(VALU_DEP_3)
	v_lshlrev_b32_e32 v6, 20, v6
	v_lshl_add_u32 v14, v14, 23, 0x3c000000
	v_and_b32_e32 v15, 0x80000000, v15
	s_delay_alu instid0(VALU_DEP_1) | instskip(NEXT) | instid1(VALU_DEP_1)
	v_or3_b32 v6, v6, v15, v14
	v_dual_mov_b32 v15, v7 :: v_dual_mov_b32 v14, v6
.LBB237_1613:                           ;   in Loop: Header=BB237_808 Depth=1
	s_or_b32 exec_lo, exec_lo, s15
.LBB237_1614:                           ;   in Loop: Header=BB237_808 Depth=1
	s_delay_alu instid0(SALU_CYCLE_1)
	s_or_b32 exec_lo, exec_lo, s13
.LBB237_1615:                           ;   in Loop: Header=BB237_808 Depth=1
	s_delay_alu instid0(SALU_CYCLE_1) | instskip(NEXT) | instid1(SALU_CYCLE_1)
	s_or_b32 exec_lo, exec_lo, s10
	s_mov_b32 s13, exec_lo
	v_cmpx_lt_u32_e32 0xffffff, v111
	s_cbranch_execz .LBB237_1623
; %bb.1616:                             ;   in Loop: Header=BB237_808 Depth=1
	v_lshrrev_b32_e32 v120, 24, v111
	v_dual_mov_b32 v17, s9 :: v_dual_mov_b32 v16, s8
	s_mov_b32 s15, exec_lo
	s_delay_alu instid0(VALU_DEP_2)
	v_cmpx_ne_u32_e32 0x80, v120
	s_cbranch_execz .LBB237_1622
; %bb.1617:                             ;   in Loop: Header=BB237_808 Depth=1
	s_mov_b32 s10, s8
	v_bfe_u32 v111, v111, 24, 7
	v_dual_mov_b32 v17, s11 :: v_dual_mov_b32 v16, s10
	s_mov_b32 s10, exec_lo
	s_delay_alu instid0(VALU_DEP_2)
	v_cmpx_ne_u32_e32 0x7f, v111
	s_cbranch_execz .LBB237_1621
; %bb.1618:                             ;   in Loop: Header=BB237_808 Depth=1
	v_and_b32_e32 v6, 7, v120
	v_lshrrev_b32_e32 v16, 3, v111
	s_mov_b32 s16, exec_lo
	v_cmpx_gt_u32_e32 8, v111
; %bb.1619:                             ;   in Loop: Header=BB237_808 Depth=1
	s_delay_alu instid0(VALU_DEP_3) | instskip(NEXT) | instid1(VALU_DEP_1)
	v_clz_i32_u32_e32 v16, v6
	v_min_u32_e32 v16, 32, v16
	s_delay_alu instid0(VALU_DEP_1) | instskip(SKIP_1) | instid1(VALU_DEP_2)
	v_subrev_nc_u32_e32 v17, 28, v16
	v_sub_nc_u32_e32 v16, 29, v16
	v_lshlrev_b64 v[121:122], v17, v[6:7]
	s_delay_alu instid0(VALU_DEP_1)
	v_and_b32_e32 v6, 7, v121
; %bb.1620:                             ;   in Loop: Header=BB237_808 Depth=1
	s_or_b32 exec_lo, exec_lo, s16
	v_lshlrev_b32_e32 v17, 24, v120
	s_delay_alu instid0(VALU_DEP_2) | instskip(SKIP_1) | instid1(VALU_DEP_3)
	v_lshlrev_b32_e32 v6, 20, v6
	v_lshl_add_u32 v16, v16, 23, 0x3c000000
	v_and_b32_e32 v17, 0x80000000, v17
	s_delay_alu instid0(VALU_DEP_1)
	v_or3_b32 v17, v6, v17, v16
	v_mov_b32_e32 v16, v7
.LBB237_1621:                           ;   in Loop: Header=BB237_808 Depth=1
	s_or_b32 exec_lo, exec_lo, s10
.LBB237_1622:                           ;   in Loop: Header=BB237_808 Depth=1
	s_delay_alu instid0(SALU_CYCLE_1)
	s_or_b32 exec_lo, exec_lo, s15
.LBB237_1623:                           ;   in Loop: Header=BB237_808 Depth=1
	s_delay_alu instid0(SALU_CYCLE_1) | instskip(SKIP_4) | instid1(VALU_DEP_4)
	s_or_b32 exec_lo, exec_lo, s13
	v_or_b32_e32 v5, v13, v5
	v_or_b32_e32 v4, v12, v4
	;; [unrolled: 1-line block ×4, first 2 shown]
	v_mul_f32_e32 v12, v70, v5
	s_delay_alu instid0(VALU_DEP_4) | instskip(NEXT) | instid1(VALU_DEP_4)
	v_mul_f32_e32 v6, v70, v4
	v_mul_f32_e32 v4, v70, v13
	s_delay_alu instid0(VALU_DEP_4)
	v_mul_f32_e32 v5, v70, v14
	s_and_saveexec_b32 s0, vcc_lo
	s_cbranch_execz .LBB237_806
; %bb.1624:                             ;   in Loop: Header=BB237_808 Depth=1
	v_cmp_lt_i32_e32 vcc_lo, v83, v25
	v_cndmask_b32_e32 v6, 0, v6, vcc_lo
	v_cmp_lt_i32_e32 vcc_lo, v86, v25
	v_cndmask_b32_e32 v12, 0, v12, vcc_lo
	;; [unrolled: 2-line block ×4, first 2 shown]
	s_branch .LBB237_806
.LBB237_1625:
	s_or_b32 exec_lo, exec_lo, s5
.LBB237_1626:
	s_delay_alu instid0(SALU_CYCLE_1)
	s_or_b32 exec_lo, exec_lo, s3
	ds_bpermute_b32 v2, v22, v54
	ds_bpermute_b32 v3, v22, v53
	;; [unrolled: 1-line block ×14, first 2 shown]
	s_waitcnt lgkmcnt(0)
	s_waitcnt_vscnt null, 0x0
	s_barrier
	buffer_gl0_inv
	s_load_b32 s0, s[6:7], 0x0
	v_dual_add_f32 v2, v54, v2 :: v_dual_add_f32 v3, v53, v3
	v_dual_add_f32 v4, v52, v4 :: v_dual_add_f32 v5, v51, v5
	;; [unrolled: 1-line block ×3, first 2 shown]
	ds_bpermute_b32 v14, v23, v2
	v_dual_add_f32 v0, v55, v0 :: v_dual_add_f32 v1, v64, v1
	ds_bpermute_b32 v17, v23, v5
	ds_bpermute_b32 v18, v23, v6
	;; [unrolled: 1-line block ×9, first 2 shown]
	v_add_f32_e32 v10, v38, v10
	ds_bpermute_b32 v38, v23, v7
	v_dual_add_f32 v8, v48, v8 :: v_dual_add_f32 v9, v39, v9
	ds_bpermute_b32 v53, v22, v31
	ds_bpermute_b32 v48, v22, v123
	v_add_f32_e32 v11, v37, v11
	ds_bpermute_b32 v39, v23, v8
	s_waitcnt lgkmcnt(0)
	v_add_f32_e32 v2, v2, v14
	ds_bpermute_b32 v14, v22, v29
	v_dual_add_f32 v5, v5, v17 :: v_dual_add_f32 v6, v6, v18
	ds_bpermute_b32 v17, v22, v26
	ds_bpermute_b32 v18, v22, v20
	v_add_f32_e32 v4, v4, v16
	v_add_f32_e32 v34, v34, v50
	;; [unrolled: 1-line block ×3, first 2 shown]
	v_dual_add_f32 v0, v0, v12 :: v_dual_add_f32 v3, v3, v15
	v_dual_add_f32 v1, v1, v13 :: v_dual_add_f32 v12, v36, v19
	v_add_f32_e32 v13, v35, v25
	ds_bpermute_b32 v19, v23, v9
	v_add_f32_e32 v31, v31, v53
	ds_bpermute_b32 v25, v23, v11
	;; [unrolled: 2-line block ×3, first 2 shown]
	ds_bpermute_b32 v15, v22, v28
	s_waitcnt lgkmcnt(6)
	v_add_f32_e32 v29, v29, v14
	ds_bpermute_b32 v16, v22, v27
	ds_bpermute_b32 v49, v23, v32
	s_waitcnt lgkmcnt(7)
	v_dual_add_f32 v7, v7, v38 :: v_dual_add_f32 v26, v26, v17
	s_waitcnt lgkmcnt(6)
	v_add_f32_e32 v52, v20, v18
	ds_bpermute_b32 v20, v23, v29
	v_add_f32_e32 v30, v123, v48
	ds_bpermute_b32 v22, v23, v10
	ds_bpermute_b32 v55, v23, v26
	;; [unrolled: 1-line block ×6, first 2 shown]
	s_waitcnt lgkmcnt(12)
	v_add_f32_e32 v9, v9, v19
	ds_bpermute_b32 v51, v23, v30
	s_waitcnt lgkmcnt(12)
	v_add_f32_e32 v11, v11, v25
	v_lshrrev_b32_e32 v25, 2, v21
	s_waitcnt lgkmcnt(11)
	v_add_f32_e32 v14, v34, v37
	s_waitcnt lgkmcnt(10)
	v_add_f32_e32 v28, v28, v15
	s_waitcnt lgkmcnt(9)
	v_dual_add_f32 v8, v8, v39 :: v_dual_add_f32 v27, v27, v16
	s_waitcnt lgkmcnt(8)
	v_add_f32_e32 v16, v32, v49
	ds_bpermute_b32 v53, v23, v28
	s_waitcnt lgkmcnt(8)
	v_add_f32_e32 v19, v29, v20
	scratch_load_b32 v29, off, s32 offset:692 ; 4-byte Folded Reload
	ds_bpermute_b32 v54, v23, v27
	s_waitcnt lgkmcnt(7)
	v_add_f32_e32 v21, v26, v55
	scratch_load_b32 v26, off, s32 offset:680 ; 4-byte Folded Reload
	ds_bpermute_b32 v23, v23, v52
	s_waitcnt lgkmcnt(5)
	v_dual_add_f32 v10, v10, v22 :: v_dual_add_f32 v15, v33, v48
	s_waitcnt lgkmcnt(4)
	v_dual_add_f32 v12, v12, v35 :: v_dual_add_f32 v17, v31, v50
	s_waitcnt lgkmcnt(3)
	v_dual_add_f32 v18, v30, v51 :: v_dual_add_f32 v13, v13, v36
	s_waitcnt lgkmcnt(2)
	v_add_f32_e32 v20, v28, v53
	s_waitcnt lgkmcnt(0)
	v_dual_add_f32 v22, v27, v54 :: v_dual_add_f32 v23, v52, v23
	s_waitcnt vmcnt(1)
	v_and_b32_e32 v27, 0x3c3, v29
	s_waitcnt vmcnt(0)
	v_mad_u32_u24 v26, 0x300, v26, s0
	s_delay_alu instid0(VALU_DEP_2)
	v_cmp_eq_u32_e32 vcc_lo, 64, v27
	v_lshlrev_b32_e32 v27, 2, v25
	s_and_saveexec_b32 s0, vcc_lo
	s_cbranch_execz .LBB237_1628
; %bb.1627:
	s_delay_alu instid0(VALU_DEP_1)
	v_add3_u32 v28, v26, v27, 0xfffffa00
	ds_store_2addr_b32 v28, v0, v1 offset1:8
	ds_store_2addr_b32 v28, v2, v3 offset0:16 offset1:24
	ds_store_2addr_b32 v28, v4, v5 offset0:32 offset1:40
	;; [unrolled: 1-line block ×11, first 2 shown]
.LBB237_1628:
	s_or_b32 exec_lo, exec_lo, s0
	v_cmp_eq_u32_e32 vcc_lo, 0, v24
	s_mov_b32 s3, exec_lo
	s_waitcnt lgkmcnt(0)
	s_barrier
	buffer_gl0_inv
	v_cmpx_gt_u32_e32 64, v29
	s_cbranch_execz .LBB237_1655
; %bb.1629:
	s_and_saveexec_b32 s0, vcc_lo
	s_cbranch_execnz .LBB237_1687
; %bb.1630:
	s_or_b32 exec_lo, exec_lo, s0
	s_and_saveexec_b32 s0, vcc_lo
	s_cbranch_execnz .LBB237_1688
.LBB237_1631:
	s_or_b32 exec_lo, exec_lo, s0
	s_and_saveexec_b32 s0, vcc_lo
	s_cbranch_execnz .LBB237_1689
.LBB237_1632:
	s_or_b32 exec_lo, exec_lo, s0
	s_and_saveexec_b32 s0, vcc_lo
	s_cbranch_execnz .LBB237_1690
.LBB237_1633:
	s_or_b32 exec_lo, exec_lo, s0
	s_and_saveexec_b32 s0, vcc_lo
	s_cbranch_execnz .LBB237_1691
.LBB237_1634:
	s_or_b32 exec_lo, exec_lo, s0
	s_and_saveexec_b32 s0, vcc_lo
	s_cbranch_execnz .LBB237_1692
.LBB237_1635:
	s_or_b32 exec_lo, exec_lo, s0
	s_and_saveexec_b32 s0, vcc_lo
	s_cbranch_execnz .LBB237_1693
.LBB237_1636:
	s_or_b32 exec_lo, exec_lo, s0
	s_and_saveexec_b32 s0, vcc_lo
	s_cbranch_execnz .LBB237_1694
.LBB237_1637:
	s_or_b32 exec_lo, exec_lo, s0
	s_and_saveexec_b32 s0, vcc_lo
	s_cbranch_execnz .LBB237_1695
.LBB237_1638:
	s_or_b32 exec_lo, exec_lo, s0
	s_and_saveexec_b32 s0, vcc_lo
	s_cbranch_execnz .LBB237_1696
.LBB237_1639:
	s_or_b32 exec_lo, exec_lo, s0
	s_and_saveexec_b32 s0, vcc_lo
	s_cbranch_execnz .LBB237_1697
.LBB237_1640:
	s_or_b32 exec_lo, exec_lo, s0
	s_and_saveexec_b32 s0, vcc_lo
	s_cbranch_execnz .LBB237_1698
.LBB237_1641:
	s_or_b32 exec_lo, exec_lo, s0
	s_and_saveexec_b32 s0, vcc_lo
	s_cbranch_execnz .LBB237_1699
.LBB237_1642:
	s_or_b32 exec_lo, exec_lo, s0
	s_and_saveexec_b32 s0, vcc_lo
	s_cbranch_execnz .LBB237_1700
.LBB237_1643:
	s_or_b32 exec_lo, exec_lo, s0
	s_and_saveexec_b32 s0, vcc_lo
	s_cbranch_execnz .LBB237_1701
.LBB237_1644:
	s_or_b32 exec_lo, exec_lo, s0
	s_and_saveexec_b32 s0, vcc_lo
	s_cbranch_execnz .LBB237_1702
.LBB237_1645:
	s_or_b32 exec_lo, exec_lo, s0
	s_and_saveexec_b32 s0, vcc_lo
	s_cbranch_execnz .LBB237_1703
.LBB237_1646:
	s_or_b32 exec_lo, exec_lo, s0
	s_and_saveexec_b32 s0, vcc_lo
	s_cbranch_execnz .LBB237_1704
.LBB237_1647:
	s_or_b32 exec_lo, exec_lo, s0
	s_and_saveexec_b32 s0, vcc_lo
	s_cbranch_execnz .LBB237_1705
.LBB237_1648:
	s_or_b32 exec_lo, exec_lo, s0
	s_and_saveexec_b32 s0, vcc_lo
	s_cbranch_execnz .LBB237_1706
.LBB237_1649:
	s_or_b32 exec_lo, exec_lo, s0
	s_and_saveexec_b32 s0, vcc_lo
	s_cbranch_execnz .LBB237_1707
.LBB237_1650:
	s_or_b32 exec_lo, exec_lo, s0
	s_and_saveexec_b32 s0, vcc_lo
	s_cbranch_execnz .LBB237_1708
.LBB237_1651:
	s_or_b32 exec_lo, exec_lo, s0
	s_and_saveexec_b32 s0, vcc_lo
	s_cbranch_execnz .LBB237_1709
.LBB237_1652:
	s_or_b32 exec_lo, exec_lo, s0
	s_and_saveexec_b32 s0, vcc_lo
	s_cbranch_execz .LBB237_1654
.LBB237_1653:
	v_lshl_add_u32 v24, v25, 2, v26
	ds_load_b32 v24, v24 offset:736
	s_waitcnt lgkmcnt(0)
	v_add_f32_e32 v23, v24, v23
.LBB237_1654:
	s_or_b32 exec_lo, exec_lo, s0
.LBB237_1655:
	s_delay_alu instid0(SALU_CYCLE_1)
	s_or_b32 exec_lo, exec_lo, s3
	v_and_b32_e32 v24, 0x3e3, v29
	s_mov_b32 s3, exec_lo
	s_barrier
	buffer_gl0_inv
	v_cmpx_eq_u32_e32 32, v24
	s_cbranch_execz .LBB237_1657
; %bb.1656:
	v_add3_u32 v27, v26, v27, 0xfffffd00
	ds_store_2addr_b32 v27, v0, v1 offset1:8
	ds_store_2addr_b32 v27, v2, v3 offset0:16 offset1:24
	ds_store_2addr_b32 v27, v4, v5 offset0:32 offset1:40
	;; [unrolled: 1-line block ×11, first 2 shown]
.LBB237_1657:
	s_or_b32 exec_lo, exec_lo, s3
	s_delay_alu instid0(SALU_CYCLE_1)
	s_mov_b32 s3, exec_lo
	s_waitcnt lgkmcnt(0)
	s_barrier
	buffer_gl0_inv
	v_cmpx_gt_u32_e32 32, v29
	s_cbranch_execz .LBB237_1684
; %bb.1658:
	v_lshl_add_u32 v25, v25, 2, v26
	s_and_saveexec_b32 s0, vcc_lo
	s_cbranch_execnz .LBB237_1710
; %bb.1659:
	s_or_b32 exec_lo, exec_lo, s0
	s_and_saveexec_b32 s0, vcc_lo
	s_cbranch_execnz .LBB237_1711
.LBB237_1660:
	s_or_b32 exec_lo, exec_lo, s0
	s_and_saveexec_b32 s0, vcc_lo
	s_cbranch_execnz .LBB237_1712
.LBB237_1661:
	s_or_b32 exec_lo, exec_lo, s0
	s_and_saveexec_b32 s0, vcc_lo
	s_cbranch_execnz .LBB237_1713
.LBB237_1662:
	s_or_b32 exec_lo, exec_lo, s0
	s_and_saveexec_b32 s0, vcc_lo
	s_cbranch_execnz .LBB237_1714
.LBB237_1663:
	s_or_b32 exec_lo, exec_lo, s0
	s_and_saveexec_b32 s0, vcc_lo
	s_cbranch_execnz .LBB237_1715
.LBB237_1664:
	s_or_b32 exec_lo, exec_lo, s0
	s_and_saveexec_b32 s0, vcc_lo
	s_cbranch_execnz .LBB237_1716
.LBB237_1665:
	s_or_b32 exec_lo, exec_lo, s0
	s_and_saveexec_b32 s0, vcc_lo
	s_cbranch_execnz .LBB237_1717
.LBB237_1666:
	s_or_b32 exec_lo, exec_lo, s0
	s_and_saveexec_b32 s0, vcc_lo
	s_cbranch_execnz .LBB237_1718
.LBB237_1667:
	s_or_b32 exec_lo, exec_lo, s0
	s_and_saveexec_b32 s0, vcc_lo
	s_cbranch_execnz .LBB237_1719
.LBB237_1668:
	s_or_b32 exec_lo, exec_lo, s0
	s_and_saveexec_b32 s0, vcc_lo
	s_cbranch_execnz .LBB237_1720
.LBB237_1669:
	s_or_b32 exec_lo, exec_lo, s0
	s_and_saveexec_b32 s0, vcc_lo
	s_cbranch_execnz .LBB237_1721
.LBB237_1670:
	s_or_b32 exec_lo, exec_lo, s0
	s_and_saveexec_b32 s0, vcc_lo
	s_cbranch_execnz .LBB237_1722
.LBB237_1671:
	s_or_b32 exec_lo, exec_lo, s0
	s_and_saveexec_b32 s0, vcc_lo
	s_cbranch_execnz .LBB237_1723
.LBB237_1672:
	s_or_b32 exec_lo, exec_lo, s0
	s_and_saveexec_b32 s0, vcc_lo
	s_cbranch_execnz .LBB237_1724
.LBB237_1673:
	s_or_b32 exec_lo, exec_lo, s0
	s_and_saveexec_b32 s0, vcc_lo
	s_cbranch_execnz .LBB237_1725
.LBB237_1674:
	s_or_b32 exec_lo, exec_lo, s0
	s_and_saveexec_b32 s0, vcc_lo
	s_cbranch_execnz .LBB237_1726
.LBB237_1675:
	s_or_b32 exec_lo, exec_lo, s0
	s_and_saveexec_b32 s0, vcc_lo
	s_cbranch_execnz .LBB237_1727
.LBB237_1676:
	s_or_b32 exec_lo, exec_lo, s0
	s_and_saveexec_b32 s0, vcc_lo
	s_cbranch_execnz .LBB237_1728
.LBB237_1677:
	s_or_b32 exec_lo, exec_lo, s0
	s_and_saveexec_b32 s0, vcc_lo
	s_cbranch_execnz .LBB237_1729
.LBB237_1678:
	s_or_b32 exec_lo, exec_lo, s0
	s_and_saveexec_b32 s0, vcc_lo
	s_cbranch_execnz .LBB237_1730
.LBB237_1679:
	s_or_b32 exec_lo, exec_lo, s0
	s_and_saveexec_b32 s0, vcc_lo
	s_cbranch_execnz .LBB237_1731
.LBB237_1680:
	s_or_b32 exec_lo, exec_lo, s0
	s_and_saveexec_b32 s0, vcc_lo
	s_cbranch_execnz .LBB237_1732
.LBB237_1681:
	s_or_b32 exec_lo, exec_lo, s0
	s_and_saveexec_b32 s0, vcc_lo
	s_cbranch_execz .LBB237_1683
.LBB237_1682:
	ds_load_b32 v25, v25 offset:736
	s_waitcnt lgkmcnt(0)
	v_add_f32_e32 v23, v25, v23
.LBB237_1683:
	s_or_b32 exec_lo, exec_lo, s0
.LBB237_1684:
	s_delay_alu instid0(SALU_CYCLE_1)
	s_or_b32 exec_lo, exec_lo, s3
	v_cmp_eq_u32_e32 vcc_lo, 0, v24
	s_barrier
	buffer_gl0_inv
	s_and_b32 exec_lo, exec_lo, vcc_lo
	s_cbranch_execz .LBB237_1686
; %bb.1685:
	s_clause 0x1
	scratch_load_b32 v24, off, s32 offset:688
	scratch_load_b32 v25, off, s32 offset:684
	s_mul_i32 s0, s2, 0xc0
	s_mul_i32 s2, s4, s1
	;; [unrolled: 1-line block ×3, first 2 shown]
	s_ashr_i32 s3, s2, 31
	s_ashr_i32 s5, s4, 31
	;; [unrolled: 1-line block ×3, first 2 shown]
	s_lshl_b64 s[2:3], s[2:3], 2
	s_lshl_b64 s[4:5], s[4:5], 2
	;; [unrolled: 1-line block ×3, first 2 shown]
	s_add_u32 s2, s4, s2
	s_addc_u32 s3, s5, s3
	s_add_u32 s0, s2, s0
	s_addc_u32 s1, s3, s1
	s_waitcnt vmcnt(1)
	v_add_co_u32 v24, vcc_lo, s0, v24
	s_waitcnt vmcnt(0)
	v_add_co_ci_u32_e32 v25, vcc_lo, s1, v25, vcc_lo
	s_delay_alu instid0(VALU_DEP_2) | instskip(NEXT) | instid1(VALU_DEP_2)
	v_add_co_u32 v24, vcc_lo, v24, v29
	v_add_co_ci_u32_e32 v25, vcc_lo, 0, v25, vcc_lo
	s_clause 0x17
	flat_store_b32 v[24:25], v0
	flat_store_b32 v[24:25], v1 offset:32
	flat_store_b32 v[24:25], v2 offset:64
	;; [unrolled: 1-line block ×23, first 2 shown]
.LBB237_1686:
	s_or_b32 exec_lo, exec_lo, s20
	s_clause 0x1f
	scratch_load_b32 v191, off, s32 offset:8
	scratch_load_b32 v190, off, s32 offset:12
	scratch_load_b32 v189, off, s32 offset:16
	scratch_load_b32 v188, off, s32 offset:20
	scratch_load_b32 v187, off, s32 offset:24
	scratch_load_b32 v186, off, s32 offset:28
	scratch_load_b32 v185, off, s32 offset:32
	scratch_load_b32 v184, off, s32 offset:36
	scratch_load_b32 v175, off, s32 offset:40
	scratch_load_b32 v174, off, s32 offset:44
	scratch_load_b32 v173, off, s32 offset:48
	scratch_load_b32 v172, off, s32 offset:52
	scratch_load_b32 v171, off, s32 offset:56
	scratch_load_b32 v170, off, s32 offset:60
	scratch_load_b32 v169, off, s32 offset:64
	scratch_load_b32 v168, off, s32 offset:68
	scratch_load_b32 v159, off, s32 offset:72
	scratch_load_b32 v158, off, s32 offset:76
	scratch_load_b32 v157, off, s32 offset:80
	scratch_load_b32 v156, off, s32 offset:84
	scratch_load_b32 v155, off, s32 offset:88
	scratch_load_b32 v154, off, s32 offset:92
	scratch_load_b32 v153, off, s32 offset:96
	scratch_load_b32 v152, off, s32 offset:100
	scratch_load_b32 v143, off, s32 offset:104
	scratch_load_b32 v142, off, s32 offset:108
	scratch_load_b32 v141, off, s32 offset:112
	scratch_load_b32 v140, off, s32 offset:116
	scratch_load_b32 v139, off, s32 offset:120
	scratch_load_b32 v138, off, s32 offset:124
	scratch_load_b32 v137, off, s32 offset:128
	scratch_load_b32 v136, off, s32 offset:132
	s_clause 0x1f
	scratch_load_b32 v127, off, s32 offset:136
	scratch_load_b32 v126, off, s32 offset:140
	;; [unrolled: 1-line block ×32, first 2 shown]
	s_clause 0xf
	scratch_load_b32 v63, off, s32 offset:264
	scratch_load_b32 v62, off, s32 offset:268
	;; [unrolled: 1-line block ×16, first 2 shown]
	s_waitcnt vmcnt(0) lgkmcnt(0)
	s_setpc_b64 s[30:31]
.LBB237_1687:
	v_lshl_add_u32 v24, v25, 2, v26
	ds_load_b32 v24, v24
	s_waitcnt lgkmcnt(0)
	v_add_f32_e32 v0, v24, v0
	s_or_b32 exec_lo, exec_lo, s0
	s_and_saveexec_b32 s0, vcc_lo
	s_cbranch_execz .LBB237_1631
.LBB237_1688:
	v_lshl_add_u32 v24, v25, 2, v26
	ds_load_b32 v24, v24 offset:32
	s_waitcnt lgkmcnt(0)
	v_add_f32_e32 v1, v24, v1
	s_or_b32 exec_lo, exec_lo, s0
	s_and_saveexec_b32 s0, vcc_lo
	s_cbranch_execz .LBB237_1632
.LBB237_1689:
	v_lshl_add_u32 v24, v25, 2, v26
	ds_load_b32 v24, v24 offset:64
	s_waitcnt lgkmcnt(0)
	v_add_f32_e32 v2, v24, v2
	s_or_b32 exec_lo, exec_lo, s0
	s_and_saveexec_b32 s0, vcc_lo
	s_cbranch_execz .LBB237_1633
.LBB237_1690:
	v_lshl_add_u32 v24, v25, 2, v26
	ds_load_b32 v24, v24 offset:96
	s_waitcnt lgkmcnt(0)
	v_add_f32_e32 v3, v24, v3
	s_or_b32 exec_lo, exec_lo, s0
	s_and_saveexec_b32 s0, vcc_lo
	s_cbranch_execz .LBB237_1634
.LBB237_1691:
	v_lshl_add_u32 v24, v25, 2, v26
	ds_load_b32 v24, v24 offset:128
	s_waitcnt lgkmcnt(0)
	v_add_f32_e32 v4, v24, v4
	s_or_b32 exec_lo, exec_lo, s0
	s_and_saveexec_b32 s0, vcc_lo
	s_cbranch_execz .LBB237_1635
.LBB237_1692:
	v_lshl_add_u32 v24, v25, 2, v26
	ds_load_b32 v24, v24 offset:160
	s_waitcnt lgkmcnt(0)
	v_add_f32_e32 v5, v24, v5
	s_or_b32 exec_lo, exec_lo, s0
	s_and_saveexec_b32 s0, vcc_lo
	s_cbranch_execz .LBB237_1636
.LBB237_1693:
	v_lshl_add_u32 v24, v25, 2, v26
	ds_load_b32 v24, v24 offset:192
	s_waitcnt lgkmcnt(0)
	v_add_f32_e32 v6, v24, v6
	s_or_b32 exec_lo, exec_lo, s0
	s_and_saveexec_b32 s0, vcc_lo
	s_cbranch_execz .LBB237_1637
.LBB237_1694:
	v_lshl_add_u32 v24, v25, 2, v26
	ds_load_b32 v24, v24 offset:224
	s_waitcnt lgkmcnt(0)
	v_add_f32_e32 v7, v24, v7
	s_or_b32 exec_lo, exec_lo, s0
	s_and_saveexec_b32 s0, vcc_lo
	s_cbranch_execz .LBB237_1638
.LBB237_1695:
	v_lshl_add_u32 v24, v25, 2, v26
	ds_load_b32 v24, v24 offset:256
	s_waitcnt lgkmcnt(0)
	v_add_f32_e32 v8, v24, v8
	s_or_b32 exec_lo, exec_lo, s0
	s_and_saveexec_b32 s0, vcc_lo
	s_cbranch_execz .LBB237_1639
.LBB237_1696:
	v_lshl_add_u32 v24, v25, 2, v26
	ds_load_b32 v24, v24 offset:288
	s_waitcnt lgkmcnt(0)
	v_add_f32_e32 v9, v24, v9
	s_or_b32 exec_lo, exec_lo, s0
	s_and_saveexec_b32 s0, vcc_lo
	s_cbranch_execz .LBB237_1640
.LBB237_1697:
	v_lshl_add_u32 v24, v25, 2, v26
	ds_load_b32 v24, v24 offset:320
	s_waitcnt lgkmcnt(0)
	v_add_f32_e32 v10, v24, v10
	s_or_b32 exec_lo, exec_lo, s0
	s_and_saveexec_b32 s0, vcc_lo
	s_cbranch_execz .LBB237_1641
.LBB237_1698:
	v_lshl_add_u32 v24, v25, 2, v26
	ds_load_b32 v24, v24 offset:352
	s_waitcnt lgkmcnt(0)
	v_add_f32_e32 v11, v24, v11
	s_or_b32 exec_lo, exec_lo, s0
	s_and_saveexec_b32 s0, vcc_lo
	s_cbranch_execz .LBB237_1642
.LBB237_1699:
	v_lshl_add_u32 v24, v25, 2, v26
	ds_load_b32 v24, v24 offset:384
	s_waitcnt lgkmcnt(0)
	v_add_f32_e32 v12, v24, v12
	s_or_b32 exec_lo, exec_lo, s0
	s_and_saveexec_b32 s0, vcc_lo
	s_cbranch_execz .LBB237_1643
.LBB237_1700:
	v_lshl_add_u32 v24, v25, 2, v26
	ds_load_b32 v24, v24 offset:416
	s_waitcnt lgkmcnt(0)
	v_add_f32_e32 v13, v24, v13
	s_or_b32 exec_lo, exec_lo, s0
	s_and_saveexec_b32 s0, vcc_lo
	s_cbranch_execz .LBB237_1644
.LBB237_1701:
	v_lshl_add_u32 v24, v25, 2, v26
	ds_load_b32 v24, v24 offset:448
	s_waitcnt lgkmcnt(0)
	v_add_f32_e32 v14, v24, v14
	s_or_b32 exec_lo, exec_lo, s0
	s_and_saveexec_b32 s0, vcc_lo
	s_cbranch_execz .LBB237_1645
.LBB237_1702:
	v_lshl_add_u32 v24, v25, 2, v26
	ds_load_b32 v24, v24 offset:480
	s_waitcnt lgkmcnt(0)
	v_add_f32_e32 v15, v24, v15
	s_or_b32 exec_lo, exec_lo, s0
	s_and_saveexec_b32 s0, vcc_lo
	s_cbranch_execz .LBB237_1646
.LBB237_1703:
	v_lshl_add_u32 v24, v25, 2, v26
	ds_load_b32 v24, v24 offset:512
	s_waitcnt lgkmcnt(0)
	v_add_f32_e32 v16, v24, v16
	s_or_b32 exec_lo, exec_lo, s0
	s_and_saveexec_b32 s0, vcc_lo
	s_cbranch_execz .LBB237_1647
.LBB237_1704:
	v_lshl_add_u32 v24, v25, 2, v26
	ds_load_b32 v24, v24 offset:544
	s_waitcnt lgkmcnt(0)
	v_add_f32_e32 v17, v24, v17
	s_or_b32 exec_lo, exec_lo, s0
	s_and_saveexec_b32 s0, vcc_lo
	s_cbranch_execz .LBB237_1648
.LBB237_1705:
	v_lshl_add_u32 v24, v25, 2, v26
	ds_load_b32 v24, v24 offset:576
	s_waitcnt lgkmcnt(0)
	v_add_f32_e32 v18, v24, v18
	s_or_b32 exec_lo, exec_lo, s0
	s_and_saveexec_b32 s0, vcc_lo
	s_cbranch_execz .LBB237_1649
.LBB237_1706:
	v_lshl_add_u32 v24, v25, 2, v26
	ds_load_b32 v24, v24 offset:608
	s_waitcnt lgkmcnt(0)
	v_add_f32_e32 v19, v24, v19
	s_or_b32 exec_lo, exec_lo, s0
	s_and_saveexec_b32 s0, vcc_lo
	s_cbranch_execz .LBB237_1650
.LBB237_1707:
	v_lshl_add_u32 v24, v25, 2, v26
	ds_load_b32 v24, v24 offset:640
	s_waitcnt lgkmcnt(0)
	v_add_f32_e32 v20, v24, v20
	s_or_b32 exec_lo, exec_lo, s0
	s_and_saveexec_b32 s0, vcc_lo
	s_cbranch_execz .LBB237_1651
.LBB237_1708:
	v_lshl_add_u32 v24, v25, 2, v26
	ds_load_b32 v24, v24 offset:672
	s_waitcnt lgkmcnt(0)
	v_add_f32_e32 v22, v24, v22
	s_or_b32 exec_lo, exec_lo, s0
	s_and_saveexec_b32 s0, vcc_lo
	s_cbranch_execz .LBB237_1652
.LBB237_1709:
	v_lshl_add_u32 v24, v25, 2, v26
	ds_load_b32 v24, v24 offset:704
	s_waitcnt lgkmcnt(0)
	v_add_f32_e32 v21, v24, v21
	s_or_b32 exec_lo, exec_lo, s0
	s_and_saveexec_b32 s0, vcc_lo
	s_cbranch_execnz .LBB237_1653
	s_branch .LBB237_1654
.LBB237_1710:
	ds_load_b32 v26, v25
	s_waitcnt lgkmcnt(0)
	v_add_f32_e32 v0, v26, v0
	s_or_b32 exec_lo, exec_lo, s0
	s_and_saveexec_b32 s0, vcc_lo
	s_cbranch_execz .LBB237_1660
.LBB237_1711:
	ds_load_b32 v26, v25 offset:32
	s_waitcnt lgkmcnt(0)
	v_add_f32_e32 v1, v26, v1
	s_or_b32 exec_lo, exec_lo, s0
	s_and_saveexec_b32 s0, vcc_lo
	s_cbranch_execz .LBB237_1661
.LBB237_1712:
	ds_load_b32 v26, v25 offset:64
	s_waitcnt lgkmcnt(0)
	v_add_f32_e32 v2, v26, v2
	s_or_b32 exec_lo, exec_lo, s0
	s_and_saveexec_b32 s0, vcc_lo
	s_cbranch_execz .LBB237_1662
.LBB237_1713:
	ds_load_b32 v26, v25 offset:96
	s_waitcnt lgkmcnt(0)
	v_add_f32_e32 v3, v26, v3
	s_or_b32 exec_lo, exec_lo, s0
	s_and_saveexec_b32 s0, vcc_lo
	s_cbranch_execz .LBB237_1663
.LBB237_1714:
	ds_load_b32 v26, v25 offset:128
	s_waitcnt lgkmcnt(0)
	v_add_f32_e32 v4, v26, v4
	s_or_b32 exec_lo, exec_lo, s0
	s_and_saveexec_b32 s0, vcc_lo
	s_cbranch_execz .LBB237_1664
.LBB237_1715:
	ds_load_b32 v26, v25 offset:160
	s_waitcnt lgkmcnt(0)
	v_add_f32_e32 v5, v26, v5
	s_or_b32 exec_lo, exec_lo, s0
	s_and_saveexec_b32 s0, vcc_lo
	s_cbranch_execz .LBB237_1665
.LBB237_1716:
	ds_load_b32 v26, v25 offset:192
	s_waitcnt lgkmcnt(0)
	v_add_f32_e32 v6, v26, v6
	s_or_b32 exec_lo, exec_lo, s0
	s_and_saveexec_b32 s0, vcc_lo
	s_cbranch_execz .LBB237_1666
.LBB237_1717:
	ds_load_b32 v26, v25 offset:224
	s_waitcnt lgkmcnt(0)
	v_add_f32_e32 v7, v26, v7
	s_or_b32 exec_lo, exec_lo, s0
	s_and_saveexec_b32 s0, vcc_lo
	s_cbranch_execz .LBB237_1667
.LBB237_1718:
	ds_load_b32 v26, v25 offset:256
	s_waitcnt lgkmcnt(0)
	v_add_f32_e32 v8, v26, v8
	s_or_b32 exec_lo, exec_lo, s0
	s_and_saveexec_b32 s0, vcc_lo
	s_cbranch_execz .LBB237_1668
.LBB237_1719:
	ds_load_b32 v26, v25 offset:288
	s_waitcnt lgkmcnt(0)
	v_add_f32_e32 v9, v26, v9
	s_or_b32 exec_lo, exec_lo, s0
	s_and_saveexec_b32 s0, vcc_lo
	s_cbranch_execz .LBB237_1669
.LBB237_1720:
	ds_load_b32 v26, v25 offset:320
	s_waitcnt lgkmcnt(0)
	v_add_f32_e32 v10, v26, v10
	s_or_b32 exec_lo, exec_lo, s0
	s_and_saveexec_b32 s0, vcc_lo
	s_cbranch_execz .LBB237_1670
.LBB237_1721:
	ds_load_b32 v26, v25 offset:352
	s_waitcnt lgkmcnt(0)
	v_add_f32_e32 v11, v26, v11
	s_or_b32 exec_lo, exec_lo, s0
	s_and_saveexec_b32 s0, vcc_lo
	s_cbranch_execz .LBB237_1671
.LBB237_1722:
	ds_load_b32 v26, v25 offset:384
	s_waitcnt lgkmcnt(0)
	v_add_f32_e32 v12, v26, v12
	s_or_b32 exec_lo, exec_lo, s0
	s_and_saveexec_b32 s0, vcc_lo
	s_cbranch_execz .LBB237_1672
.LBB237_1723:
	ds_load_b32 v26, v25 offset:416
	s_waitcnt lgkmcnt(0)
	v_add_f32_e32 v13, v26, v13
	s_or_b32 exec_lo, exec_lo, s0
	s_and_saveexec_b32 s0, vcc_lo
	s_cbranch_execz .LBB237_1673
.LBB237_1724:
	ds_load_b32 v26, v25 offset:448
	s_waitcnt lgkmcnt(0)
	v_add_f32_e32 v14, v26, v14
	s_or_b32 exec_lo, exec_lo, s0
	s_and_saveexec_b32 s0, vcc_lo
	s_cbranch_execz .LBB237_1674
.LBB237_1725:
	ds_load_b32 v26, v25 offset:480
	s_waitcnt lgkmcnt(0)
	v_add_f32_e32 v15, v26, v15
	s_or_b32 exec_lo, exec_lo, s0
	s_and_saveexec_b32 s0, vcc_lo
	s_cbranch_execz .LBB237_1675
.LBB237_1726:
	ds_load_b32 v26, v25 offset:512
	s_waitcnt lgkmcnt(0)
	v_add_f32_e32 v16, v26, v16
	s_or_b32 exec_lo, exec_lo, s0
	s_and_saveexec_b32 s0, vcc_lo
	s_cbranch_execz .LBB237_1676
.LBB237_1727:
	ds_load_b32 v26, v25 offset:544
	s_waitcnt lgkmcnt(0)
	v_add_f32_e32 v17, v26, v17
	s_or_b32 exec_lo, exec_lo, s0
	s_and_saveexec_b32 s0, vcc_lo
	s_cbranch_execz .LBB237_1677
.LBB237_1728:
	ds_load_b32 v26, v25 offset:576
	s_waitcnt lgkmcnt(0)
	v_add_f32_e32 v18, v26, v18
	s_or_b32 exec_lo, exec_lo, s0
	s_and_saveexec_b32 s0, vcc_lo
	s_cbranch_execz .LBB237_1678
.LBB237_1729:
	ds_load_b32 v26, v25 offset:608
	s_waitcnt lgkmcnt(0)
	v_add_f32_e32 v19, v26, v19
	s_or_b32 exec_lo, exec_lo, s0
	s_and_saveexec_b32 s0, vcc_lo
	s_cbranch_execz .LBB237_1679
.LBB237_1730:
	ds_load_b32 v26, v25 offset:640
	s_waitcnt lgkmcnt(0)
	v_add_f32_e32 v20, v26, v20
	s_or_b32 exec_lo, exec_lo, s0
	s_and_saveexec_b32 s0, vcc_lo
	s_cbranch_execz .LBB237_1680
.LBB237_1731:
	ds_load_b32 v26, v25 offset:672
	s_waitcnt lgkmcnt(0)
	v_add_f32_e32 v22, v26, v22
	s_or_b32 exec_lo, exec_lo, s0
	s_and_saveexec_b32 s0, vcc_lo
	s_cbranch_execz .LBB237_1681
.LBB237_1732:
	ds_load_b32 v26, v25 offset:704
	s_waitcnt lgkmcnt(0)
	v_add_f32_e32 v21, v26, v21
	s_or_b32 exec_lo, exec_lo, s0
	s_and_saveexec_b32 s0, vcc_lo
	s_cbranch_execnz .LBB237_1682
	s_branch .LBB237_1683
.Lfunc_end237:
	.size	_ZN4vllm22paged_attention_kernelIfhLi192ELi16ELi128ELNS_18Fp8KVCacheDataTypeE1ELb1ELi512EEEvPfS2_PT_PKS3_PKT0_S9_ifPKiSB_iPKfiiiSD_SD_iiiii, .Lfunc_end237-_ZN4vllm22paged_attention_kernelIfhLi192ELi16ELi128ELNS_18Fp8KVCacheDataTypeE1ELb1ELi512EEEvPfS2_PT_PKS3_PKT0_S9_ifPKiSB_iPKfiiiSD_SD_iiiii
                                        ; -- End function
	.section	.AMDGPU.csdata,"",@progbits
; Function info:
; codeLenInByte = 61076
; NumSgprs: 35
; NumVgprs: 192
; ScratchSize: 764
; MemoryBound: 0
	.section	.text._ZN4vllm25paged_attention_v2_kernelIfhLi192ELi16ELi128ELNS_18Fp8KVCacheDataTypeE1ELb1ELi512EEEvPfS2_PT_PKS3_PKT0_S9_ifPKiSB_iPKfiiiSD_SD_iiiii,"axG",@progbits,_ZN4vllm25paged_attention_v2_kernelIfhLi192ELi16ELi128ELNS_18Fp8KVCacheDataTypeE1ELb1ELi512EEEvPfS2_PT_PKS3_PKT0_S9_ifPKiSB_iPKfiiiSD_SD_iiiii,comdat
	.protected	_ZN4vllm25paged_attention_v2_kernelIfhLi192ELi16ELi128ELNS_18Fp8KVCacheDataTypeE1ELb1ELi512EEEvPfS2_PT_PKS3_PKT0_S9_ifPKiSB_iPKfiiiSD_SD_iiiii ; -- Begin function _ZN4vllm25paged_attention_v2_kernelIfhLi192ELi16ELi128ELNS_18Fp8KVCacheDataTypeE1ELb1ELi512EEEvPfS2_PT_PKS3_PKT0_S9_ifPKiSB_iPKfiiiSD_SD_iiiii
	.globl	_ZN4vllm25paged_attention_v2_kernelIfhLi192ELi16ELi128ELNS_18Fp8KVCacheDataTypeE1ELb1ELi512EEEvPfS2_PT_PKS3_PKT0_S9_ifPKiSB_iPKfiiiSD_SD_iiiii
	.p2align	8
	.type	_ZN4vllm25paged_attention_v2_kernelIfhLi192ELi16ELi128ELNS_18Fp8KVCacheDataTypeE1ELb1ELi512EEEvPfS2_PT_PKS3_PKT0_S9_ifPKiSB_iPKfiiiSD_SD_iiiii,@function
_ZN4vllm25paged_attention_v2_kernelIfhLi192ELi16ELi128ELNS_18Fp8KVCacheDataTypeE1ELb1ELi512EEEvPfS2_PT_PKS3_PKT0_S9_ifPKiSB_iPKfiiiSD_SD_iiiii: ; @_ZN4vllm25paged_attention_v2_kernelIfhLi192ELi16ELi128ELNS_18Fp8KVCacheDataTypeE1ELb1ELi512EEEvPfS2_PT_PKS3_PKT0_S9_ifPKiSB_iPKfiiiSD_SD_iiiii
; %bb.0:
	s_mov_b32 s12, s13
	s_clause 0x7
	s_load_b128 s[4:7], s[0:1], 0x78
	s_load_b32 s8, s[0:1], 0x88
	s_load_b256 s[24:31], s[0:1], 0x0
	s_load_b256 s[36:43], s[0:1], 0x20
	s_load_b64 s[2:3], s[0:1], 0x40
	s_load_b64 s[10:11], s[0:1], 0x50
	s_load_b32 s13, s[0:1], 0x48
	s_load_b256 s[16:23], s[0:1], 0x58
	s_mov_b32 s32, 0
	v_mov_b32_e32 v31, v0
	s_waitcnt lgkmcnt(0)
	v_dual_mov_b32 v1, s7 :: v_dual_mov_b32 v2, s8
	v_dual_mov_b32 v0, s24 :: v_dual_mov_b32 v3, s27
	;; [unrolled: 1-line block ×3, first 2 shown]
	v_mov_b32_e32 v6, s30
	scratch_store_b64 off, v[1:2], s32
	v_dual_mov_b32 v1, s25 :: v_dual_mov_b32 v2, s26
	v_dual_mov_b32 v7, s31 :: v_dual_mov_b32 v8, s36
	v_dual_mov_b32 v9, s37 :: v_dual_mov_b32 v10, s38
	v_dual_mov_b32 v11, s39 :: v_dual_mov_b32 v12, s40
	v_dual_mov_b32 v13, s41 :: v_dual_mov_b32 v14, s42
	v_dual_mov_b32 v15, s43 :: v_dual_mov_b32 v16, s2
	v_dual_mov_b32 v17, s3 :: v_dual_mov_b32 v18, s13
	v_dual_mov_b32 v19, s10 :: v_dual_mov_b32 v20, s11
	v_dual_mov_b32 v21, s16 :: v_dual_mov_b32 v22, s17
	v_dual_mov_b32 v23, s18 :: v_dual_mov_b32 v24, s20
	v_dual_mov_b32 v25, s21 :: v_dual_mov_b32 v26, s22
	v_dual_mov_b32 v27, s23 :: v_dual_mov_b32 v28, s4
	v_dual_mov_b32 v29, s5 :: v_dual_mov_b32 v30, s6
	s_add_u32 s8, s0, 0x90
	s_addc_u32 s9, s1, 0
	s_mov_b32 s13, s14
	s_mov_b32 s14, s15
	s_movk_i32 s15, 0x44
	s_getpc_b64 s[0:1]
	s_add_u32 s0, s0, _ZN4vllm22paged_attention_kernelIfhLi192ELi16ELi128ELNS_18Fp8KVCacheDataTypeE1ELb1ELi512EEEvPfS2_PT_PKS3_PKT0_S9_ifPKiSB_iPKfiiiSD_SD_iiiii@rel32@lo+4
	s_addc_u32 s1, s1, _ZN4vllm22paged_attention_kernelIfhLi192ELi16ELi128ELNS_18Fp8KVCacheDataTypeE1ELb1ELi512EEEvPfS2_PT_PKS3_PKT0_S9_ifPKiSB_iPKfiiiSD_SD_iiiii@rel32@hi+12
	s_delay_alu instid0(SALU_CYCLE_1)
	s_swappc_b64 s[30:31], s[0:1]
	s_endpgm
	.section	.rodata,"a",@progbits
	.p2align	6, 0x0
	.amdhsa_kernel _ZN4vllm25paged_attention_v2_kernelIfhLi192ELi16ELi128ELNS_18Fp8KVCacheDataTypeE1ELb1ELi512EEEvPfS2_PT_PKS3_PKT0_S9_ifPKiSB_iPKfiiiSD_SD_iiiii
		.amdhsa_group_segment_fixed_size 800
		.amdhsa_private_segment_fixed_size 764
		.amdhsa_kernarg_size 400
		.amdhsa_user_sgpr_count 13
		.amdhsa_user_sgpr_dispatch_ptr 0
		.amdhsa_user_sgpr_queue_ptr 0
		.amdhsa_user_sgpr_kernarg_segment_ptr 1
		.amdhsa_user_sgpr_dispatch_id 0
		.amdhsa_user_sgpr_private_segment_size 0
		.amdhsa_wavefront_size32 1
		.amdhsa_uses_dynamic_stack 0
		.amdhsa_enable_private_segment 1
		.amdhsa_system_sgpr_workgroup_id_x 1
		.amdhsa_system_sgpr_workgroup_id_y 1
		.amdhsa_system_sgpr_workgroup_id_z 1
		.amdhsa_system_sgpr_workgroup_info 0
		.amdhsa_system_vgpr_workitem_id 0
		.amdhsa_next_free_vgpr 192
		.amdhsa_next_free_sgpr 44
		.amdhsa_reserve_vcc 1
		.amdhsa_float_round_mode_32 0
		.amdhsa_float_round_mode_16_64 0
		.amdhsa_float_denorm_mode_32 3
		.amdhsa_float_denorm_mode_16_64 3
		.amdhsa_dx10_clamp 1
		.amdhsa_ieee_mode 1
		.amdhsa_fp16_overflow 0
		.amdhsa_workgroup_processor_mode 1
		.amdhsa_memory_ordered 1
		.amdhsa_forward_progress 0
		.amdhsa_shared_vgpr_count 0
		.amdhsa_exception_fp_ieee_invalid_op 0
		.amdhsa_exception_fp_denorm_src 0
		.amdhsa_exception_fp_ieee_div_zero 0
		.amdhsa_exception_fp_ieee_overflow 0
		.amdhsa_exception_fp_ieee_underflow 0
		.amdhsa_exception_fp_ieee_inexact 0
		.amdhsa_exception_int_div_zero 0
	.end_amdhsa_kernel
	.section	.text._ZN4vllm25paged_attention_v2_kernelIfhLi192ELi16ELi128ELNS_18Fp8KVCacheDataTypeE1ELb1ELi512EEEvPfS2_PT_PKS3_PKT0_S9_ifPKiSB_iPKfiiiSD_SD_iiiii,"axG",@progbits,_ZN4vllm25paged_attention_v2_kernelIfhLi192ELi16ELi128ELNS_18Fp8KVCacheDataTypeE1ELb1ELi512EEEvPfS2_PT_PKS3_PKT0_S9_ifPKiSB_iPKfiiiSD_SD_iiiii,comdat
.Lfunc_end238:
	.size	_ZN4vllm25paged_attention_v2_kernelIfhLi192ELi16ELi128ELNS_18Fp8KVCacheDataTypeE1ELb1ELi512EEEvPfS2_PT_PKS3_PKT0_S9_ifPKiSB_iPKfiiiSD_SD_iiiii, .Lfunc_end238-_ZN4vllm25paged_attention_v2_kernelIfhLi192ELi16ELi128ELNS_18Fp8KVCacheDataTypeE1ELb1ELi512EEEvPfS2_PT_PKS3_PKT0_S9_ifPKiSB_iPKfiiiSD_SD_iiiii
                                        ; -- End function
	.section	.AMDGPU.csdata,"",@progbits
; Kernel info:
; codeLenInByte = 280
; NumSgprs: 46
; NumVgprs: 192
; ScratchSize: 764
; MemoryBound: 0
; FloatMode: 240
; IeeeMode: 1
; LDSByteSize: 800 bytes/workgroup (compile time only)
; SGPRBlocks: 5
; VGPRBlocks: 23
; NumSGPRsForWavesPerEU: 46
; NumVGPRsForWavesPerEU: 192
; Occupancy: 8
; WaveLimiterHint : 1
; COMPUTE_PGM_RSRC2:SCRATCH_EN: 1
; COMPUTE_PGM_RSRC2:USER_SGPR: 13
; COMPUTE_PGM_RSRC2:TRAP_HANDLER: 0
; COMPUTE_PGM_RSRC2:TGID_X_EN: 1
; COMPUTE_PGM_RSRC2:TGID_Y_EN: 1
; COMPUTE_PGM_RSRC2:TGID_Z_EN: 1
; COMPUTE_PGM_RSRC2:TIDIG_COMP_CNT: 0
	.text
	.p2align	2                               ; -- Begin function _ZN4vllm22paged_attention_kernelIfhLi256ELi16ELi128ELNS_18Fp8KVCacheDataTypeE1ELb1ELi512EEEvPfS2_PT_PKS3_PKT0_S9_ifPKiSB_iPKfiiiSD_SD_iiiii
	.type	_ZN4vllm22paged_attention_kernelIfhLi256ELi16ELi128ELNS_18Fp8KVCacheDataTypeE1ELb1ELi512EEEvPfS2_PT_PKS3_PKT0_S9_ifPKiSB_iPKfiiiSD_SD_iiiii,@function
_ZN4vllm22paged_attention_kernelIfhLi256ELi16ELi128ELNS_18Fp8KVCacheDataTypeE1ELb1ELi512EEEvPfS2_PT_PKS3_PKT0_S9_ifPKiSB_iPKfiiiSD_SD_iiiii: ; @_ZN4vllm22paged_attention_kernelIfhLi256ELi16ELi128ELNS_18Fp8KVCacheDataTypeE1ELb1ELi512EEEvPfS2_PT_PKS3_PKT0_S9_ifPKiSB_iPKfiiiSD_SD_iiiii
; %bb.0:
	s_waitcnt vmcnt(0) expcnt(0) lgkmcnt(0)
	s_clause 0x1f
	scratch_store_b32 off, v40, s32 offset:324
	; meta instruction
	scratch_store_b32 off, v41, s32 offset:320
	; meta instruction
	;; [unrolled: 2-line block ×31, first 2 shown]
	scratch_store_b32 off, v95, s32 offset:200
	s_clause 0x1f
	scratch_store_b32 off, v104, s32 offset:196
	; meta instruction
	scratch_store_b32 off, v105, s32 offset:192
	; meta instruction
	;; [unrolled: 2-line block ×31, first 2 shown]
	scratch_store_b32 off, v159, s32 offset:72
	s_clause 0xf
	scratch_store_b32 off, v168, s32 offset:68
	; meta instruction
	scratch_store_b32 off, v169, s32 offset:64
	; meta instruction
	;; [unrolled: 2-line block ×15, first 2 shown]
	scratch_store_b32 off, v191, s32 offset:8
	s_mov_b32 s10, s13
	s_ashr_i32 s11, s13, 31
	v_dual_mov_b32 v32, v1 :: v_dual_mov_b32 v33, v0
	s_lshl_b64 s[0:1], s[10:11], 2
	s_clause 0x3
	scratch_store_b64 off, v[26:27], s32 offset:888
	scratch_store_b64 off, v[24:25], s32 offset:896
	scratch_store_b32 off, v22, s32 offset:676
	scratch_store_b32 off, v13, s32 offset:924
	v_add_co_u32 v0, vcc_lo, v16, s0
	v_add_co_ci_u32_e32 v1, vcc_lo, s1, v17, vcc_lo
	s_clause 0x1
	scratch_store_b32 off, v5, s32 offset:944
	scratch_store_b32 off, v4, s32 offset:948
	v_dual_mov_b32 v34, v3 :: v_dual_mov_b32 v35, v2
	flat_load_b32 v25, v[0:1]
	s_clause 0x1
	scratch_load_b32 v3, off, s32 offset:4
	scratch_load_b32 v4, off, s32
	v_dual_mov_b32 v22, v11 :: v_dual_mov_b32 v27, v10
	s_mov_b32 s6, s15
	s_lshl_b32 s15, s14, 9
	s_mov_b32 s20, exec_lo
	s_waitcnt vmcnt(2) lgkmcnt(0)
	v_cmpx_lt_i32_e64 s15, v25
	s_cbranch_execz .LBB239_2230
; %bb.1:
	v_sub_nc_u32_e32 v0, 0, v12
	s_clause 0x1
	s_load_b32 s0, s[8:9], 0x10
	s_load_b32 s1, s[8:9], 0x0
	s_delay_alu instid0(VALU_DEP_1) | instskip(NEXT) | instid1(VALU_DEP_1)
	v_max_i32_e32 v0, v12, v0
	v_cvt_f32_u32_e32 v1, v0
	v_sub_nc_u32_e32 v2, 0, v0
	s_delay_alu instid0(VALU_DEP_2) | instskip(SKIP_2) | instid1(SALU_CYCLE_1)
	v_rcp_iflag_f32_e32 v1, v1
	s_waitcnt lgkmcnt(0)
	s_lshr_b32 s0, s0, 16
	s_cmp_lg_u32 s0, 0
	s_cselect_b32 s0, -1, 0
	s_waitcnt_depctr 0xfff
	v_mul_f32_e32 v1, 0x4f7ffffe, v1
	s_cmp_lg_u32 s0, 0
	s_addc_u32 s11, s1, 0
	s_mov_b32 s1, exec_lo
	s_delay_alu instid0(VALU_DEP_1) | instskip(SKIP_1) | instid1(VALU_DEP_1)
	v_cvt_u32_f32_e32 v1, v1
	s_abs_i32 s0, s11
	v_mul_lo_u32 v2, v2, v1
	s_delay_alu instid0(VALU_DEP_1) | instskip(NEXT) | instid1(VALU_DEP_1)
	v_mul_hi_u32 v2, v1, v2
	v_add_nc_u32_e32 v1, v1, v2
	s_delay_alu instid0(VALU_DEP_1) | instskip(NEXT) | instid1(VALU_DEP_1)
	v_mul_hi_u32 v1, s0, v1
	v_mul_lo_u32 v2, v1, v0
	v_add_nc_u32_e32 v5, 1, v1
	s_delay_alu instid0(VALU_DEP_2) | instskip(SKIP_1) | instid1(VALU_DEP_1)
	v_sub_nc_u32_e32 v2, s0, v2
	s_abs_i32 s0, s12
	v_sub_nc_u32_e32 v10, v2, v0
	v_cmp_ge_u32_e32 vcc_lo, v2, v0
	s_delay_alu instid0(VALU_DEP_2) | instskip(SKIP_1) | instid1(VALU_DEP_2)
	v_dual_cndmask_b32 v1, v1, v5 :: v_dual_cndmask_b32 v2, v2, v10
	v_xor_b32_e32 v5, s11, v12
	v_add_nc_u32_e32 v10, 1, v1
	s_delay_alu instid0(VALU_DEP_3) | instskip(NEXT) | instid1(VALU_DEP_3)
	v_cmp_ge_u32_e32 vcc_lo, v2, v0
	v_ashrrev_i32_e32 v5, 31, v5
	s_delay_alu instid0(VALU_DEP_3) | instskip(NEXT) | instid1(VALU_DEP_1)
	v_cndmask_b32_e32 v0, v1, v10, vcc_lo
	v_xor_b32_e32 v0, v0, v5
	s_delay_alu instid0(VALU_DEP_1) | instskip(NEXT) | instid1(VALU_DEP_1)
	v_sub_nc_u32_e32 v2, v0, v5
	v_sub_nc_u32_e32 v0, 0, v2
	s_delay_alu instid0(VALU_DEP_1) | instskip(NEXT) | instid1(VALU_DEP_1)
	v_max_i32_e32 v5, v2, v0
	v_cvt_f32_u32_e32 v0, v5
	v_sub_nc_u32_e32 v1, 0, v5
	s_delay_alu instid0(VALU_DEP_2) | instskip(SKIP_2) | instid1(VALU_DEP_1)
	v_rcp_iflag_f32_e32 v0, v0
	s_waitcnt_depctr 0xfff
	v_mul_f32_e32 v0, 0x4f7ffffe, v0
	v_cvt_u32_f32_e32 v0, v0
	s_delay_alu instid0(VALU_DEP_1) | instskip(NEXT) | instid1(VALU_DEP_1)
	v_mul_lo_u32 v1, v1, v0
	v_mul_hi_u32 v1, v0, v1
	s_delay_alu instid0(VALU_DEP_1) | instskip(NEXT) | instid1(VALU_DEP_1)
	v_add_nc_u32_e32 v10, v0, v1
	v_mad_u64_u32 v[0:1], null, s0, v10, 0
	v_mov_b32_e32 v0, 0
	scratch_store_b32 off, v0, s32 offset:928 ; 4-byte Folded Spill
	v_cmpx_ne_u64_e32 0, v[19:20]
	s_cbranch_execz .LBB239_3
; %bb.2:
	s_ashr_i32 s13, s12, 31
	s_delay_alu instid0(SALU_CYCLE_1) | instskip(NEXT) | instid1(SALU_CYCLE_1)
	s_lshl_b64 s[2:3], s[12:13], 2
	v_add_co_u32 v10, vcc_lo, v19, s2
	v_add_co_ci_u32_e32 v11, vcc_lo, s3, v20, vcc_lo
	flat_load_b32 v0, v[10:11]
	s_waitcnt vmcnt(0) lgkmcnt(0)
	scratch_store_b32 off, v0, s32 offset:928 ; 4-byte Folded Spill
.LBB239_3:
	s_or_b32 exec_lo, exec_lo, s1
	v_and_b32_e32 v16, 0x3ff, v31
	v_ashrrev_i32_e32 v0, 31, v2
	s_ashr_i32 s1, s12, 31
	s_lshl_b32 s4, s12, 8
	s_mov_b32 s2, exec_lo
	v_and_b32_e32 v2, 1, v16
	v_lshlrev_b32_e32 v85, 2, v16
	v_cmpx_gt_u32_e32 0x80, v16
	s_cbranch_execz .LBB239_5
; %bb.4:
	v_mul_lo_u32 v10, s10, v21
	s_ashr_i32 s5, s4, 31
	v_lshlrev_b32_e32 v13, 3, v16
	s_lshl_b64 s[16:17], s[4:5], 2
	s_delay_alu instid0(VALU_DEP_2) | instskip(NEXT) | instid1(VALU_DEP_1)
	v_ashrrev_i32_e32 v11, 31, v10
	v_lshlrev_b64 v[10:11], 2, v[10:11]
	s_delay_alu instid0(VALU_DEP_1) | instskip(NEXT) | instid1(VALU_DEP_2)
	v_add_co_u32 v6, vcc_lo, v6, v10
	v_add_co_ci_u32_e32 v7, vcc_lo, v7, v11, vcc_lo
	v_and_b32_e32 v10, 0xff8, v85
	s_delay_alu instid0(VALU_DEP_3) | instskip(NEXT) | instid1(VALU_DEP_3)
	v_add_co_u32 v6, vcc_lo, v6, s16
	v_add_co_ci_u32_e32 v7, vcc_lo, s17, v7, vcc_lo
	s_delay_alu instid0(VALU_DEP_3) | instskip(NEXT) | instid1(VALU_DEP_3)
	v_lshl_add_u32 v10, v2, 9, v10
	v_add_co_u32 v6, vcc_lo, v6, v13
	s_delay_alu instid0(VALU_DEP_3)
	v_add_co_ci_u32_e32 v7, vcc_lo, 0, v7, vcc_lo
	flat_load_b64 v[6:7], v[6:7]
	s_waitcnt vmcnt(0) lgkmcnt(0)
	ds_store_b64 v10, v[6:7]
.LBB239_5:
	s_or_b32 exec_lo, exec_lo, s2
	s_waitcnt vmcnt(0)
	v_sub_nc_u32_e32 v6, 0, v4
	v_mul_lo_u32 v7, v1, v5
	s_delay_alu instid0(VALU_DEP_2) | instskip(NEXT) | instid1(VALU_DEP_2)
	v_max_i32_e32 v11, v4, v6
	v_sub_nc_u32_e32 v7, s0, v7
	s_delay_alu instid0(VALU_DEP_2) | instskip(SKIP_1) | instid1(VALU_DEP_2)
	v_cvt_f32_u32_e32 v6, v11
	s_mov_b32 s0, exec_lo
	v_sub_nc_u32_e32 v13, v7, v5
	s_delay_alu instid0(VALU_DEP_2) | instskip(SKIP_3) | instid1(VALU_DEP_1)
	v_rcp_iflag_f32_e32 v6, v6
	v_cmp_ge_u32_e32 vcc_lo, v7, v5
	s_waitcnt_depctr 0xfff
	v_dual_cndmask_b32 v7, v7, v13 :: v_dual_mul_f32 v6, 0x4f7ffffe, v6
	v_cvt_u32_f32_e32 v10, v6
	v_sub_nc_u32_e32 v6, 0, v11
	s_delay_alu instid0(VALU_DEP_1) | instskip(SKIP_1) | instid1(VALU_DEP_1)
	v_mul_lo_u32 v17, v6, v10
	v_add_nc_u32_e32 v6, -1, v25
	v_sub_nc_u32_e32 v19, 0, v6
	s_delay_alu instid0(VALU_DEP_3) | instskip(SKIP_1) | instid1(VALU_DEP_2)
	v_mul_hi_u32 v13, v10, v17
	v_xor_b32_e32 v17, s1, v0
	v_add_nc_u32_e32 v10, v10, v13
	scratch_store_b32 off, v11, s32 offset:328 ; 4-byte Folded Spill
	v_add_nc_u32_e32 v11, 1, v1
	scratch_store_b32 off, v10, s32 offset:348 ; 4-byte Folded Spill
	s_waitcnt lgkmcnt(0)
	s_waitcnt_vscnt null, 0x0
	v_cndmask_b32_e32 v1, v1, v11, vcc_lo
	v_cmp_ge_u32_e32 vcc_lo, v7, v5
	s_barrier
	buffer_gl0_inv
	v_max_i32_e32 v5, v6, v19
	v_add_nc_u32_e32 v11, 1, v1
	s_delay_alu instid0(VALU_DEP_1) | instskip(NEXT) | instid1(VALU_DEP_1)
	v_cndmask_b32_e32 v0, v1, v11, vcc_lo
	v_xor_b32_e32 v7, v0, v17
	s_delay_alu instid0(VALU_DEP_4) | instskip(NEXT) | instid1(VALU_DEP_2)
	v_mad_u64_u32 v[0:1], null, v5, v10, 0
	v_sub_nc_u32_e32 v0, v7, v17
                                        ; implicit-def: $vgpr7
	scratch_store_b64 off, v[7:8], s32 offset:332 ; 8-byte Folded Spill
	v_cmpx_gt_i32_e32 0, v3
	s_xor_b32 s0, exec_lo, s0
	s_cbranch_execz .LBB239_7
; %bb.6:
	v_mad_u64_u32 v[10:11], null, v28, v12, v[0:1]
                                        ; implicit-def: $vgpr28
	s_delay_alu instid0(VALU_DEP_1) | instskip(NEXT) | instid1(VALU_DEP_1)
	v_mul_lo_u32 v3, v10, v3
	v_sub_nc_u32_e32 v3, 1, v3
	scratch_store_b64 off, v[3:4], s32 offset:332 ; 8-byte Folded Spill
                                        ; implicit-def: $vgpr3
.LBB239_7:
	s_or_saveexec_b32 s0, s0
	v_ashrrev_i32_e32 v6, 31, v6
	v_ashrrev_i32_e32 v4, 31, v4
	scratch_store_b32 off, v4, s32 offset:340 ; 4-byte Folded Spill
	s_xor_b32 exec_lo, exec_lo, s0
	s_cbranch_execz .LBB239_9
; %bb.8:
	v_mad_u64_u32 v[10:11], null, s11, v28, s[12:13]
	s_delay_alu instid0(VALU_DEP_1)
	v_mad_u64_u32 v[11:12], null, v10, v3, 1
	scratch_store_b64 off, v[11:12], s32 offset:332 ; 8-byte Folded Spill
.LBB239_9:
	s_or_b32 exec_lo, exec_lo, s0
	scratch_load_b32 v12, off, s32 offset:328 ; 4-byte Folded Reload
	v_dual_mov_b32 v20, 0xff7fffff :: v_dual_add_nc_u32 v7, 1, v1
	s_clause 0x1
	s_load_b32 s21, s[8:9], 0x14
	s_load_b32 s5, s[8:9], 0x8
	v_mul_lo_u32 v13, v0, v23
	s_lshl_b32 s13, s14, 5
	s_delay_alu instid0(SALU_CYCLE_1) | instskip(NEXT) | instid1(VALU_DEP_1)
	s_add_i32 s0, s13, 32
	v_ashrrev_i32_e32 v19, 31, v13
	s_waitcnt vmcnt(0)
	v_mul_lo_u32 v3, v1, v12
	s_delay_alu instid0(VALU_DEP_1) | instskip(SKIP_2) | instid1(VALU_DEP_3)
	v_sub_nc_u32_e32 v5, v5, v3
	v_mul_lo_u32 v3, s10, v18
	v_sub_nc_u32_e32 v18, 0, v30
	v_cmp_ge_u32_e32 vcc_lo, v5, v12
	v_add_nc_u32_e32 v4, 15, v25
	v_sub_nc_u32_e32 v11, v5, v12
	v_cndmask_b32_e32 v1, v1, v7, vcc_lo
	scratch_load_b32 v7, off, s32 offset:340 ; 4-byte Folded Reload
	v_ashrrev_i32_e32 v10, 31, v4
	v_cndmask_b32_e32 v5, v5, v11, vcc_lo
	v_lshrrev_b32_e32 v11, 5, v16
	s_delay_alu instid0(VALU_DEP_1) | instskip(SKIP_1) | instid1(VALU_DEP_2)
	v_or_b32_e32 v112, s13, v11
	v_lshl_add_u32 v47, v11, 4, s15
	v_ashrrev_i32_e32 v113, 31, v112
	s_waitcnt vmcnt(0)
	v_xor_b32_e32 v6, v6, v7
	v_lshrrev_b32_e32 v7, 28, v10
	v_add_nc_u32_e32 v10, 1, v1
	v_cmp_ge_u32_e32 vcc_lo, v5, v12
	s_delay_alu instid0(VALU_DEP_2) | instskip(NEXT) | instid1(VALU_DEP_1)
	v_dual_cndmask_b32 v1, v1, v10 :: v_dual_add_nc_u32 v4, v4, v7
	v_ashrrev_i32_e32 v17, 4, v4
	v_ashrrev_i32_e32 v4, 31, v3
	s_delay_alu instid0(VALU_DEP_3) | instskip(NEXT) | instid1(VALU_DEP_3)
	v_xor_b32_e32 v0, v1, v6
	v_min_i32_e32 v1, s0, v17
	s_delay_alu instid0(VALU_DEP_2) | instskip(NEXT) | instid1(VALU_DEP_2)
	v_sub_nc_u32_e32 v0, v0, v6
	v_cmp_lt_i32_e64 s0, v112, v1
	s_delay_alu instid0(VALU_DEP_2)
	v_sub_nc_u32_e32 v0, v0, v29
	s_clause 0x1
	scratch_store_b32 off, v1, s32 offset:344
	scratch_store_b32 off, v11, s32 offset:940
	v_lshlrev_b64 v[11:12], 2, v[3:4]
	scratch_store_b32 off, v0, s32 offset:352 ; 4-byte Folded Spill
	s_mov_b32 s22, exec_lo
	s_delay_alu instid0(SALU_CYCLE_1)
	s_and_b32 s1, s22, s0
	scratch_store_b32 off, v16, s32 offset:920 ; 4-byte Folded Spill
	s_mov_b32 exec_lo, s1
	s_cbranch_execz .LBB239_1043
; %bb.10:
	v_max_i32_e32 v6, v30, v18
	v_mov_b32_e32 v29, 0
	s_clause 0x9
	scratch_store_b32 off, v17, s32 offset:1004
	scratch_store_b32 off, v85, s32 offset:988
	;; [unrolled: 1-line block ×10, first 2 shown]
	v_cmp_eq_u32_e32 vcc_lo, 0, v2
	v_bfe_u32 v16, v16, 1, 4
	v_cvt_f32_u32_e32 v0, v6
	v_lshlrev_b32_e32 v10, 9, v2
	v_add_co_u32 v4, s1, v8, v13
	s_delay_alu instid0(VALU_DEP_1) | instskip(NEXT) | instid1(VALU_DEP_4)
	v_add_co_ci_u32_e64 v5, s1, v9, v19, s1
	v_rcp_iflag_f32_e32 v3, v0
	v_lshlrev_b32_e32 v0, 1, v2
	s_ashr_i32 s7, s6, 31
	s_getpc_b64 s[2:3]
	s_add_u32 s2, s2, llvm.amdgcn.dynlds.offset.table@rel32@lo+4
	s_addc_u32 s3, s3, llvm.amdgcn.dynlds.offset.table@rel32@hi+12
	s_lshl_b64 s[8:9], s[6:7], 2
	v_sub_nc_u32_e32 v8, v16, v25
	s_add_u32 s8, s8, s2
	s_addc_u32 s9, s9, s3
	v_mov_b32_e32 v30, v112
	scratch_load_b32 v9, off, s32 offset:940 ; 4-byte Folded Reload
	v_dual_mul_f32 v2, 0x4f7ffffe, v3 :: v_dual_lshlrev_b32 v7, 2, v16
	v_mov_b32_e32 v3, 0xff7fffff
	s_clause 0x1
	scratch_store_b32 off, v0, s32 offset:908
	scratch_store_b32 off, v16, s32 offset:932
	scratch_load_b32 v0, off, s32 offset:928 ; 4-byte Folded Reload
	v_cvt_u32_f32_e32 v2, v2
	s_clause 0x1
	scratch_store_b32 off, v3, s32 offset:904
	scratch_store_b32 off, v6, s32 offset:680
	v_sub_nc_u32_e32 v3, 0, v6
	s_load_b32 s7, s[8:9], 0x0
	v_lshlrev_b32_e32 v6, 4, v16
	scratch_store_b32 off, v13, s32 offset:1000 ; 4-byte Folded Spill
	s_mov_b32 s16, 0
	v_mul_lo_u32 v3, v3, v2
	s_brev_b32 s17, 1
	s_mov_b32 s19, 0x7f800001
	s_mov_b32 s23, s16
	s_delay_alu instid0(VALU_DEP_1)
	v_mul_hi_u32 v3, v2, v3
	s_waitcnt vmcnt(1)
	v_lshl_add_u32 v20, v9, 4, s15
	v_lshl_or_b32 v13, v9, 6, v7
	s_waitcnt vmcnt(0)
	v_cmp_neq_f32_e64 s1, 0, v0
	v_lshlrev_b64 v[0:1], 2, v[112:113]
	s_delay_alu instid0(VALU_DEP_1) | instskip(NEXT) | instid1(VALU_DEP_1)
	v_add_co_u32 v0, s2, v11, v0
	v_add_co_ci_u32_e64 v1, s2, v12, v1, s2
	v_add_co_u32 v4, s2, v4, v6
	s_delay_alu instid0(VALU_DEP_1) | instskip(NEXT) | instid1(VALU_DEP_4)
	v_add_co_ci_u32_e64 v5, s2, 0, v5, s2
	v_add_co_u32 v118, s2, v14, v0
	s_clause 0x2
	scratch_store_b32 off, v19, s32 offset:1012
	scratch_store_b64 off, v[11:12], s32 offset:992
	scratch_store_b64 off, v[4:5], s32 offset:912
	v_add_nc_u32_e32 v4, 1, v8
	v_add_co_ci_u32_e64 v119, s2, v15, v1, s2
	v_add_nc_u32_e32 v0, v2, v3
	s_clause 0x3
	scratch_store_b32 off, v4, s32 offset:936
	scratch_store_b32 off, v14, s32 offset:956
	;; [unrolled: 1-line block ×4, first 2 shown]
	s_branch .LBB239_13
.LBB239_11:                             ;   in Loop: Header=BB239_13 Depth=1
	s_or_b32 exec_lo, exec_lo, s18
.LBB239_12:                             ;   in Loop: Header=BB239_13 Depth=1
	s_delay_alu instid0(SALU_CYCLE_1) | instskip(SKIP_3) | instid1(VALU_DEP_1)
	s_or_b32 exec_lo, exec_lo, s3
	scratch_load_b32 v0, off, s32 offset:344 ; 4-byte Folded Reload
	v_add_nc_u32_e32 v30, 4, v30
	v_add_co_u32 v118, s3, v118, 16
	v_add_co_ci_u32_e64 v119, s3, 0, v119, s3
	v_add_nc_u32_e32 v20, 64, v20
	v_add_nc_u32_e32 v13, 0x100, v13
	s_waitcnt vmcnt(0)
	v_cmp_ge_i32_e64 s2, v30, v0
	s_delay_alu instid0(VALU_DEP_1) | instskip(NEXT) | instid1(SALU_CYCLE_1)
	s_or_b32 s23, s2, s23
	s_and_not1_b32 exec_lo, exec_lo, s23
	s_cbranch_execz .LBB239_1042
.LBB239_13:                             ; =>This Inner Loop Header: Depth=1
	s_waitcnt lgkmcnt(0)
	s_clause 0x2
	scratch_load_b32 v1, off, s32 offset:348
	scratch_load_b32 v5, off, s32 offset:340
	scratch_load_b32 v4, off, s32 offset:328
	v_sub_nc_u32_e32 v0, 0, v20
	s_delay_alu instid0(VALU_DEP_1) | instskip(SKIP_1) | instid1(VALU_DEP_1)
	v_max_i32_e32 v0, v20, v0
	s_waitcnt vmcnt(2)
	v_mul_hi_u32 v1, v0, v1
	s_waitcnt vmcnt(0)
	s_delay_alu instid0(VALU_DEP_1) | instskip(NEXT) | instid1(VALU_DEP_1)
	v_mul_lo_u32 v2, v1, v4
	v_sub_nc_u32_e32 v0, v0, v2
	v_add_nc_u32_e32 v2, 1, v1
	s_delay_alu instid0(VALU_DEP_2) | instskip(SKIP_1) | instid1(VALU_DEP_1)
	v_sub_nc_u32_e32 v3, v0, v4
	v_cmp_ge_u32_e64 s2, v0, v4
	v_cndmask_b32_e64 v1, v1, v2, s2
	s_delay_alu instid0(VALU_DEP_3) | instskip(SKIP_1) | instid1(VALU_DEP_3)
	v_cndmask_b32_e64 v0, v0, v3, s2
	v_ashrrev_i32_e32 v2, 31, v20
	v_add_nc_u32_e32 v3, 1, v1
	s_delay_alu instid0(VALU_DEP_3) | instskip(NEXT) | instid1(VALU_DEP_3)
	v_cmp_ge_u32_e64 s2, v0, v4
	v_xor_b32_e32 v2, v2, v5
	scratch_load_b32 v4, off, s32 offset:680 ; 4-byte Folded Reload
	v_cndmask_b32_e64 v0, v1, v3, s2
	scratch_load_b32 v3, off, s32 offset:684 ; 4-byte Folded Reload
	v_xor_b32_e32 v0, v0, v2
	s_delay_alu instid0(VALU_DEP_1) | instskip(SKIP_3) | instid1(VALU_DEP_1)
	v_sub_nc_u32_e32 v0, v0, v2
	scratch_load_b64 v[1:2], off, s32 offset:332 ; 8-byte Folded Reload
	s_waitcnt vmcnt(0)
	v_add_nc_u32_e32 v1, v0, v1
	v_sub_nc_u32_e32 v2, 0, v1
	s_delay_alu instid0(VALU_DEP_1) | instskip(SKIP_1) | instid1(VALU_DEP_2)
	v_max_i32_e32 v2, v1, v2
	v_ashrrev_i32_e32 v1, 31, v1
	v_mul_hi_u32 v3, v2, v3
	s_delay_alu instid0(VALU_DEP_1) | instskip(NEXT) | instid1(VALU_DEP_1)
	v_mul_lo_u32 v3, v3, v4
	v_sub_nc_u32_e32 v2, v2, v3
	s_delay_alu instid0(VALU_DEP_1) | instskip(SKIP_1) | instid1(VALU_DEP_1)
	v_sub_nc_u32_e32 v3, v2, v4
	v_cmp_ge_u32_e64 s2, v2, v4
	v_cndmask_b32_e64 v2, v2, v3, s2
	s_delay_alu instid0(VALU_DEP_1) | instskip(SKIP_1) | instid1(VALU_DEP_1)
	v_sub_nc_u32_e32 v3, v2, v4
	v_cmp_ge_u32_e64 s2, v2, v4
	v_cndmask_b32_e64 v2, v2, v3, s2
	s_delay_alu instid0(VALU_DEP_1) | instskip(NEXT) | instid1(VALU_DEP_1)
	v_xor_b32_e32 v2, v2, v1
	v_sub_nc_u32_e32 v1, v2, v1
	s_delay_alu instid0(VALU_DEP_1) | instskip(SKIP_3) | instid1(VALU_DEP_1)
	v_cmp_ne_u32_e64 s2, 0, v1
	scratch_load_b32 v1, off, s32 offset:352 ; 4-byte Folded Reload
	s_waitcnt vmcnt(0)
	v_cmp_le_i32_e64 s3, v0, v1
	s_and_b32 s2, s2, s3
	s_delay_alu instid0(SALU_CYCLE_1) | instskip(NEXT) | instid1(SALU_CYCLE_1)
	s_and_b32 s18, vcc_lo, s2
	s_and_saveexec_b32 s3, s18
	s_cbranch_execz .LBB239_15
; %bb.14:                               ;   in Loop: Header=BB239_13 Depth=1
	s_waitcnt lgkmcnt(0)
	v_dual_mov_b32 v1, 0xff7fffff :: v_dual_add_nc_u32 v0, s7, v13
	ds_store_b32 v0, v1
.LBB239_15:                             ;   in Loop: Header=BB239_13 Depth=1
	s_or_b32 exec_lo, exec_lo, s3
	s_xor_b32 s2, s2, -1
	s_delay_alu instid0(SALU_CYCLE_1)
	s_and_saveexec_b32 s3, s2
	s_cbranch_execz .LBB239_12
; %bb.16:                               ;   in Loop: Header=BB239_13 Depth=1
	flat_load_b32 v2, v[118:119]
	s_clause 0x1
	scratch_load_b32 v3, off, s32 offset:676
	scratch_load_b64 v[4:5], off, s32 offset:912
	s_mov_b32 s18, exec_lo
	s_waitcnt vmcnt(0) lgkmcnt(0)
	v_mad_i64_i32 v[0:1], null, v2, v3, v[4:5]
	scratch_load_b32 v2, off, s32 offset:908 ; 4-byte Folded Reload
	s_waitcnt vmcnt(0)
	v_add_co_u32 v162, s2, v0, v2
	s_delay_alu instid0(VALU_DEP_1)
	v_add_co_ci_u32_e64 v163, s2, 0, v1, s2
	flat_load_u16 v0, v[162:163]
	scratch_load_b64 v[1:2], off, s32 offset:896 ; 8-byte Folded Reload
	v_mov_b32_e32 v166, 0
	v_mov_b32_e32 v167, 0
	s_waitcnt vmcnt(0)
	flat_load_b32 v72, v[1:2]
	ds_load_b128 v[1:4], v10
	s_waitcnt lgkmcnt(0)
	scratch_store_b128 off, v[1:4], s32 offset:872 ; 16-byte Folded Spill
	ds_load_b128 v[1:4], v10 offset:16
	s_waitcnt lgkmcnt(0)
	scratch_store_b128 off, v[1:4], s32 offset:840 ; 16-byte Folded Spill
	ds_load_b128 v[1:4], v10 offset:32
	;; [unrolled: 3-line block ×11, first 2 shown]
	s_waitcnt lgkmcnt(0)
	scratch_store_b128 off, v[1:4], s32 offset:696 ; 16-byte Folded Spill
	ds_load_b64 v[1:2], v10 offset:192
	s_waitcnt lgkmcnt(0)
	scratch_store_b64 off, v[1:2], s32 offset:688 ; 8-byte Folded Spill
	v_and_b32_e32 v1, 0xff, v0
	v_and_b32_e32 v0, 0xffff, v0
	scratch_store_b64 off, v[166:167], s32 offset:356 ; 8-byte Folded Spill
	v_cmpx_ne_u16_e32 0, v1
	s_cbranch_execz .LBB239_24
; %bb.17:                               ;   in Loop: Header=BB239_13 Depth=1
	v_bfrev_b32_e32 v2, 1
	v_and_b32_e32 v1, 0xff, v0
	v_mov_b32_e32 v3, 0
	s_mov_b32 s24, exec_lo
	scratch_store_b64 off, v[2:3], s32 offset:356 ; 8-byte Folded Spill
	v_cmpx_ne_u16_e32 0x80, v1
	s_cbranch_execz .LBB239_23
; %bb.18:                               ;   in Loop: Header=BB239_13 Depth=1
	v_mov_b32_e32 v3, 0x7f800001
	v_and_b32_e32 v2, 0x7f, v0
	v_mov_b32_e32 v4, 0
	s_mov_b32 s25, exec_lo
	scratch_store_b64 off, v[3:4], s32 offset:356 ; 8-byte Folded Spill
	v_cmpx_ne_u32_e32 0x7f, v2
	s_cbranch_execz .LBB239_22
; %bb.19:                               ;   in Loop: Header=BB239_13 Depth=1
	v_and_b32_e32 v28, 7, v0
	v_lshrrev_b32_e32 v1, 3, v2
	s_mov_b32 s26, exec_lo
	v_cmpx_gt_u32_e32 8, v2
; %bb.20:                               ;   in Loop: Header=BB239_13 Depth=1
	s_delay_alu instid0(VALU_DEP_3) | instskip(NEXT) | instid1(VALU_DEP_1)
	v_clz_i32_u32_e32 v1, v28
	v_min_u32_e32 v1, 32, v1
	s_delay_alu instid0(VALU_DEP_1) | instskip(SKIP_1) | instid1(VALU_DEP_2)
	v_subrev_nc_u32_e32 v2, 28, v1
	v_sub_nc_u32_e32 v1, 29, v1
	v_lshlrev_b64 v[2:3], v2, v[28:29]
	s_delay_alu instid0(VALU_DEP_1)
	v_and_b32_e32 v28, 7, v2
; %bb.21:                               ;   in Loop: Header=BB239_13 Depth=1
	s_or_b32 exec_lo, exec_lo, s26
	v_lshlrev_b32_e32 v2, 24, v0
	s_delay_alu instid0(VALU_DEP_2) | instskip(SKIP_1) | instid1(VALU_DEP_3)
	v_lshlrev_b32_e32 v3, 20, v28
	v_lshl_add_u32 v1, v1, 23, 0x3c000000
	v_and_b32_e32 v2, 0x80000000, v2
	s_delay_alu instid0(VALU_DEP_1)
	v_or3_b32 v28, v3, v2, v1
	scratch_store_b64 off, v[28:29], s32 offset:356 ; 8-byte Folded Spill
.LBB239_22:                             ;   in Loop: Header=BB239_13 Depth=1
	s_or_b32 exec_lo, exec_lo, s25
.LBB239_23:                             ;   in Loop: Header=BB239_13 Depth=1
	s_delay_alu instid0(SALU_CYCLE_1)
	s_or_b32 exec_lo, exec_lo, s24
.LBB239_24:                             ;   in Loop: Header=BB239_13 Depth=1
	s_delay_alu instid0(SALU_CYCLE_1) | instskip(SKIP_2) | instid1(VALU_DEP_1)
	s_or_b32 exec_lo, exec_lo, s18
	v_lshrrev_b16 v1, 8, v0
	s_mov_b32 s24, exec_lo
	v_cmpx_ne_u16_e32 0, v1
	s_cbranch_execz .LBB239_32
; %bb.25:                               ;   in Loop: Header=BB239_13 Depth=1
	v_dual_mov_b32 v167, s17 :: v_dual_mov_b32 v166, s16
	s_mov_b32 s25, exec_lo
	v_cmpx_ne_u16_e32 0x80, v1
	s_cbranch_execz .LBB239_31
; %bb.26:                               ;   in Loop: Header=BB239_13 Depth=1
	s_mov_b32 s18, s16
	v_and_b32_e32 v1, 0xffff, v1
	v_dual_mov_b32 v167, s19 :: v_dual_mov_b32 v166, s18
	s_mov_b32 s18, exec_lo
	s_delay_alu instid0(VALU_DEP_2) | instskip(NEXT) | instid1(VALU_DEP_1)
	v_and_b32_e32 v2, 0x7f, v1
	v_cmpx_ne_u32_e32 0x7f, v2
	s_cbranch_execz .LBB239_30
; %bb.27:                               ;   in Loop: Header=BB239_13 Depth=1
	v_and_b32_e32 v28, 7, v1
	v_lshrrev_b32_e32 v1, 3, v2
	s_mov_b32 s26, exec_lo
	v_cmpx_gt_u32_e32 8, v2
; %bb.28:                               ;   in Loop: Header=BB239_13 Depth=1
	s_delay_alu instid0(VALU_DEP_3) | instskip(NEXT) | instid1(VALU_DEP_1)
	v_clz_i32_u32_e32 v1, v28
	v_min_u32_e32 v1, 32, v1
	s_delay_alu instid0(VALU_DEP_1) | instskip(SKIP_1) | instid1(VALU_DEP_2)
	v_subrev_nc_u32_e32 v2, 28, v1
	v_sub_nc_u32_e32 v1, 29, v1
	v_lshlrev_b64 v[2:3], v2, v[28:29]
	s_delay_alu instid0(VALU_DEP_1)
	v_and_b32_e32 v28, 7, v2
; %bb.29:                               ;   in Loop: Header=BB239_13 Depth=1
	s_or_b32 exec_lo, exec_lo, s26
	v_lshlrev_b32_e32 v0, 16, v0
	s_delay_alu instid0(VALU_DEP_2) | instskip(SKIP_2) | instid1(VALU_DEP_4)
	v_lshlrev_b32_e32 v2, 20, v28
	v_lshl_add_u32 v1, v1, 23, 0x3c000000
	v_mov_b32_e32 v166, v29
	v_and_b32_e32 v0, 0x80000000, v0
	s_delay_alu instid0(VALU_DEP_1)
	v_or3_b32 v167, v2, v0, v1
.LBB239_30:                             ;   in Loop: Header=BB239_13 Depth=1
	s_or_b32 exec_lo, exec_lo, s18
.LBB239_31:                             ;   in Loop: Header=BB239_13 Depth=1
	s_delay_alu instid0(SALU_CYCLE_1)
	s_or_b32 exec_lo, exec_lo, s25
.LBB239_32:                             ;   in Loop: Header=BB239_13 Depth=1
	s_delay_alu instid0(SALU_CYCLE_1)
	s_or_b32 exec_lo, exec_lo, s24
	flat_load_u16 v0, v[162:163] offset:4
	v_mov_b32_e32 v182, 0
	v_mov_b32_e32 v183, 0
	s_mov_b32 s18, exec_lo
	s_waitcnt vmcnt(0) lgkmcnt(0)
	v_and_b32_e32 v1, 0xff, v0
	s_delay_alu instid0(VALU_DEP_2) | instskip(SKIP_1) | instid1(VALU_DEP_3)
	v_dual_mov_b32 v185, v183 :: v_dual_and_b32 v0, 0xffff, v0
	v_mov_b32_e32 v184, v182
	v_cmpx_ne_u16_e32 0, v1
	s_cbranch_execz .LBB239_40
; %bb.33:                               ;   in Loop: Header=BB239_13 Depth=1
	v_bfrev_b32_e32 v184, 1
	v_and_b32_e32 v1, 0xff, v0
	v_mov_b32_e32 v185, 0
	s_mov_b32 s24, exec_lo
	s_delay_alu instid0(VALU_DEP_2)
	v_cmpx_ne_u16_e32 0x80, v1
	s_cbranch_execz .LBB239_39
; %bb.34:                               ;   in Loop: Header=BB239_13 Depth=1
	v_mov_b32_e32 v184, 0x7f800001
	v_dual_mov_b32 v185, 0 :: v_dual_and_b32 v2, 0x7f, v0
	s_mov_b32 s25, exec_lo
	s_delay_alu instid0(VALU_DEP_1)
	v_cmpx_ne_u32_e32 0x7f, v2
	s_cbranch_execz .LBB239_38
; %bb.35:                               ;   in Loop: Header=BB239_13 Depth=1
	v_and_b32_e32 v28, 7, v0
	v_lshrrev_b32_e32 v1, 3, v2
	s_mov_b32 s26, exec_lo
	v_cmpx_gt_u32_e32 8, v2
; %bb.36:                               ;   in Loop: Header=BB239_13 Depth=1
	s_delay_alu instid0(VALU_DEP_3) | instskip(NEXT) | instid1(VALU_DEP_1)
	v_clz_i32_u32_e32 v1, v28
	v_min_u32_e32 v1, 32, v1
	s_delay_alu instid0(VALU_DEP_1) | instskip(SKIP_1) | instid1(VALU_DEP_2)
	v_subrev_nc_u32_e32 v2, 28, v1
	v_sub_nc_u32_e32 v1, 29, v1
	v_lshlrev_b64 v[2:3], v2, v[28:29]
	s_delay_alu instid0(VALU_DEP_1)
	v_and_b32_e32 v28, 7, v2
; %bb.37:                               ;   in Loop: Header=BB239_13 Depth=1
	s_or_b32 exec_lo, exec_lo, s26
	v_lshlrev_b32_e32 v2, 24, v0
	s_delay_alu instid0(VALU_DEP_2) | instskip(SKIP_1) | instid1(VALU_DEP_3)
	v_lshlrev_b32_e32 v3, 20, v28
	v_lshl_add_u32 v1, v1, 23, 0x3c000000
	v_and_b32_e32 v2, 0x80000000, v2
	s_delay_alu instid0(VALU_DEP_1) | instskip(NEXT) | instid1(VALU_DEP_1)
	v_or3_b32 v28, v3, v2, v1
	v_dual_mov_b32 v185, v29 :: v_dual_mov_b32 v184, v28
.LBB239_38:                             ;   in Loop: Header=BB239_13 Depth=1
	s_or_b32 exec_lo, exec_lo, s25
.LBB239_39:                             ;   in Loop: Header=BB239_13 Depth=1
	s_delay_alu instid0(SALU_CYCLE_1)
	s_or_b32 exec_lo, exec_lo, s24
.LBB239_40:                             ;   in Loop: Header=BB239_13 Depth=1
	s_delay_alu instid0(SALU_CYCLE_1) | instskip(SKIP_2) | instid1(VALU_DEP_1)
	s_or_b32 exec_lo, exec_lo, s18
	v_lshrrev_b16 v1, 8, v0
	s_mov_b32 s24, exec_lo
	v_cmpx_ne_u16_e32 0, v1
	s_cbranch_execz .LBB239_48
; %bb.41:                               ;   in Loop: Header=BB239_13 Depth=1
	v_dual_mov_b32 v183, s17 :: v_dual_mov_b32 v182, s16
	s_mov_b32 s25, exec_lo
	v_cmpx_ne_u16_e32 0x80, v1
	s_cbranch_execz .LBB239_47
; %bb.42:                               ;   in Loop: Header=BB239_13 Depth=1
	s_mov_b32 s18, s16
	v_and_b32_e32 v1, 0xffff, v1
	v_dual_mov_b32 v183, s19 :: v_dual_mov_b32 v182, s18
	s_mov_b32 s18, exec_lo
	s_delay_alu instid0(VALU_DEP_2) | instskip(NEXT) | instid1(VALU_DEP_1)
	v_and_b32_e32 v2, 0x7f, v1
	v_cmpx_ne_u32_e32 0x7f, v2
	s_cbranch_execz .LBB239_46
; %bb.43:                               ;   in Loop: Header=BB239_13 Depth=1
	v_and_b32_e32 v28, 7, v1
	v_lshrrev_b32_e32 v1, 3, v2
	s_mov_b32 s26, exec_lo
	v_cmpx_gt_u32_e32 8, v2
; %bb.44:                               ;   in Loop: Header=BB239_13 Depth=1
	s_delay_alu instid0(VALU_DEP_3) | instskip(NEXT) | instid1(VALU_DEP_1)
	v_clz_i32_u32_e32 v1, v28
	v_min_u32_e32 v1, 32, v1
	s_delay_alu instid0(VALU_DEP_1) | instskip(SKIP_1) | instid1(VALU_DEP_2)
	v_subrev_nc_u32_e32 v2, 28, v1
	v_sub_nc_u32_e32 v1, 29, v1
	v_lshlrev_b64 v[2:3], v2, v[28:29]
	s_delay_alu instid0(VALU_DEP_1)
	v_and_b32_e32 v28, 7, v2
; %bb.45:                               ;   in Loop: Header=BB239_13 Depth=1
	s_or_b32 exec_lo, exec_lo, s26
	v_lshlrev_b32_e32 v0, 16, v0
	s_delay_alu instid0(VALU_DEP_2) | instskip(SKIP_2) | instid1(VALU_DEP_4)
	v_lshlrev_b32_e32 v2, 20, v28
	v_lshl_add_u32 v1, v1, 23, 0x3c000000
	v_mov_b32_e32 v182, v29
	v_and_b32_e32 v0, 0x80000000, v0
	s_delay_alu instid0(VALU_DEP_1)
	v_or3_b32 v183, v2, v0, v1
.LBB239_46:                             ;   in Loop: Header=BB239_13 Depth=1
	s_or_b32 exec_lo, exec_lo, s18
.LBB239_47:                             ;   in Loop: Header=BB239_13 Depth=1
	s_delay_alu instid0(SALU_CYCLE_1)
	s_or_b32 exec_lo, exec_lo, s25
.LBB239_48:                             ;   in Loop: Header=BB239_13 Depth=1
	s_delay_alu instid0(SALU_CYCLE_1)
	s_or_b32 exec_lo, exec_lo, s24
	flat_load_u16 v0, v[162:163] offset:8
	v_mov_b32_e32 v2, 0
	v_mov_b32_e32 v3, 0
	s_mov_b32 s18, exec_lo
	s_waitcnt vmcnt(0) lgkmcnt(0)
	v_and_b32_e32 v1, 0xff, v0
	v_and_b32_e32 v0, 0xffff, v0
	s_clause 0x1
	scratch_store_b64 off, v[2:3], s32 offset:364
	scratch_store_b64 off, v[2:3], s32 offset:372
	v_cmpx_ne_u16_e32 0, v1
	s_cbranch_execz .LBB239_56
; %bb.49:                               ;   in Loop: Header=BB239_13 Depth=1
	v_and_b32_e32 v1, 0xff, v0
	s_delay_alu instid0(VALU_DEP_1)
	v_cmp_ne_u16_e64 s2, 0x80, v1
	v_bfrev_b32_e32 v1, 1
	v_mov_b32_e32 v2, 0
	scratch_store_b64 off, v[1:2], s32 offset:372 ; 8-byte Folded Spill
	s_and_saveexec_b32 s24, s2
	s_cbranch_execz .LBB239_55
; %bb.50:                               ;   in Loop: Header=BB239_13 Depth=1
	v_mov_b32_e32 v3, 0x7f800001
	v_and_b32_e32 v2, 0x7f, v0
	v_mov_b32_e32 v4, 0
	s_mov_b32 s25, exec_lo
	scratch_store_b64 off, v[3:4], s32 offset:372 ; 8-byte Folded Spill
	v_cmpx_ne_u32_e32 0x7f, v2
	s_cbranch_execz .LBB239_54
; %bb.51:                               ;   in Loop: Header=BB239_13 Depth=1
	v_and_b32_e32 v28, 7, v0
	v_lshrrev_b32_e32 v1, 3, v2
	s_mov_b32 s26, exec_lo
	v_cmpx_gt_u32_e32 8, v2
; %bb.52:                               ;   in Loop: Header=BB239_13 Depth=1
	s_delay_alu instid0(VALU_DEP_3) | instskip(NEXT) | instid1(VALU_DEP_1)
	v_clz_i32_u32_e32 v1, v28
	v_min_u32_e32 v1, 32, v1
	s_delay_alu instid0(VALU_DEP_1) | instskip(SKIP_1) | instid1(VALU_DEP_2)
	v_subrev_nc_u32_e32 v2, 28, v1
	v_sub_nc_u32_e32 v1, 29, v1
	v_lshlrev_b64 v[2:3], v2, v[28:29]
	s_delay_alu instid0(VALU_DEP_1)
	v_and_b32_e32 v28, 7, v2
; %bb.53:                               ;   in Loop: Header=BB239_13 Depth=1
	s_or_b32 exec_lo, exec_lo, s26
	v_lshlrev_b32_e32 v2, 24, v0
	s_delay_alu instid0(VALU_DEP_2) | instskip(SKIP_1) | instid1(VALU_DEP_3)
	v_lshlrev_b32_e32 v3, 20, v28
	v_lshl_add_u32 v1, v1, 23, 0x3c000000
	v_and_b32_e32 v2, 0x80000000, v2
	s_delay_alu instid0(VALU_DEP_1)
	v_or3_b32 v28, v3, v2, v1
	scratch_store_b64 off, v[28:29], s32 offset:372 ; 8-byte Folded Spill
.LBB239_54:                             ;   in Loop: Header=BB239_13 Depth=1
	s_or_b32 exec_lo, exec_lo, s25
.LBB239_55:                             ;   in Loop: Header=BB239_13 Depth=1
	s_delay_alu instid0(SALU_CYCLE_1)
	s_or_b32 exec_lo, exec_lo, s24
.LBB239_56:                             ;   in Loop: Header=BB239_13 Depth=1
	s_delay_alu instid0(SALU_CYCLE_1) | instskip(SKIP_2) | instid1(VALU_DEP_1)
	s_or_b32 exec_lo, exec_lo, s18
	v_lshrrev_b16 v1, 8, v0
	s_mov_b32 s24, exec_lo
	v_cmpx_ne_u16_e32 0, v1
	s_cbranch_execz .LBB239_64
; %bb.57:                               ;   in Loop: Header=BB239_13 Depth=1
	v_dual_mov_b32 v2, s16 :: v_dual_mov_b32 v3, s17
	s_mov_b32 s25, exec_lo
	scratch_store_b64 off, v[2:3], s32 offset:364 ; 8-byte Folded Spill
	v_cmpx_ne_u16_e32 0x80, v1
	s_cbranch_execz .LBB239_63
; %bb.58:                               ;   in Loop: Header=BB239_13 Depth=1
	s_mov_b32 s18, s16
	v_and_b32_e32 v1, 0xffff, v1
	v_dual_mov_b32 v3, s18 :: v_dual_mov_b32 v4, s19
	s_mov_b32 s18, exec_lo
	s_delay_alu instid0(VALU_DEP_2)
	v_and_b32_e32 v2, 0x7f, v1
	scratch_store_b64 off, v[3:4], s32 offset:364 ; 8-byte Folded Spill
	v_cmpx_ne_u32_e32 0x7f, v2
	s_cbranch_execz .LBB239_62
; %bb.59:                               ;   in Loop: Header=BB239_13 Depth=1
	v_and_b32_e32 v28, 7, v1
	v_lshrrev_b32_e32 v1, 3, v2
	s_mov_b32 s26, exec_lo
	v_cmpx_gt_u32_e32 8, v2
; %bb.60:                               ;   in Loop: Header=BB239_13 Depth=1
	s_delay_alu instid0(VALU_DEP_3) | instskip(NEXT) | instid1(VALU_DEP_1)
	v_clz_i32_u32_e32 v1, v28
	v_min_u32_e32 v1, 32, v1
	s_delay_alu instid0(VALU_DEP_1) | instskip(SKIP_1) | instid1(VALU_DEP_2)
	v_subrev_nc_u32_e32 v2, 28, v1
	v_sub_nc_u32_e32 v1, 29, v1
	v_lshlrev_b64 v[2:3], v2, v[28:29]
	s_delay_alu instid0(VALU_DEP_1)
	v_and_b32_e32 v28, 7, v2
; %bb.61:                               ;   in Loop: Header=BB239_13 Depth=1
	s_or_b32 exec_lo, exec_lo, s26
	v_lshlrev_b32_e32 v0, 16, v0
	s_delay_alu instid0(VALU_DEP_2) | instskip(SKIP_1) | instid1(VALU_DEP_3)
	v_lshlrev_b32_e32 v2, 20, v28
	v_lshl_add_u32 v1, v1, 23, 0x3c000000
	v_and_b32_e32 v0, 0x80000000, v0
	s_delay_alu instid0(VALU_DEP_1)
	v_or3_b32 v1, v2, v0, v1
	v_mov_b32_e32 v0, v29
	scratch_store_b64 off, v[0:1], s32 offset:364 ; 8-byte Folded Spill
.LBB239_62:                             ;   in Loop: Header=BB239_13 Depth=1
	s_or_b32 exec_lo, exec_lo, s18
.LBB239_63:                             ;   in Loop: Header=BB239_13 Depth=1
	s_delay_alu instid0(SALU_CYCLE_1)
	s_or_b32 exec_lo, exec_lo, s25
.LBB239_64:                             ;   in Loop: Header=BB239_13 Depth=1
	s_delay_alu instid0(SALU_CYCLE_1)
	s_or_b32 exec_lo, exec_lo, s24
	flat_load_u16 v0, v[162:163] offset:12
	v_mov_b32_e32 v2, 0
	v_mov_b32_e32 v3, 0
	s_mov_b32 s18, exec_lo
	s_waitcnt vmcnt(0) lgkmcnt(0)
	v_and_b32_e32 v1, 0xff, v0
	v_and_b32_e32 v0, 0xffff, v0
	s_clause 0x1
	scratch_store_b64 off, v[2:3], s32 offset:380
	scratch_store_b64 off, v[2:3], s32 offset:388
	v_cmpx_ne_u16_e32 0, v1
	s_cbranch_execz .LBB239_72
; %bb.65:                               ;   in Loop: Header=BB239_13 Depth=1
	v_bfrev_b32_e32 v2, 1
	v_and_b32_e32 v1, 0xff, v0
	v_mov_b32_e32 v3, 0
	s_mov_b32 s24, exec_lo
	scratch_store_b64 off, v[2:3], s32 offset:388 ; 8-byte Folded Spill
	v_cmpx_ne_u16_e32 0x80, v1
	s_cbranch_execz .LBB239_71
; %bb.66:                               ;   in Loop: Header=BB239_13 Depth=1
	v_mov_b32_e32 v3, 0x7f800001
	v_and_b32_e32 v2, 0x7f, v0
	v_mov_b32_e32 v4, 0
	s_mov_b32 s25, exec_lo
	scratch_store_b64 off, v[3:4], s32 offset:388 ; 8-byte Folded Spill
	v_cmpx_ne_u32_e32 0x7f, v2
	s_cbranch_execz .LBB239_70
; %bb.67:                               ;   in Loop: Header=BB239_13 Depth=1
	v_and_b32_e32 v28, 7, v0
	v_lshrrev_b32_e32 v1, 3, v2
	s_mov_b32 s26, exec_lo
	v_cmpx_gt_u32_e32 8, v2
; %bb.68:                               ;   in Loop: Header=BB239_13 Depth=1
	s_delay_alu instid0(VALU_DEP_3) | instskip(NEXT) | instid1(VALU_DEP_1)
	v_clz_i32_u32_e32 v1, v28
	v_min_u32_e32 v1, 32, v1
	s_delay_alu instid0(VALU_DEP_1) | instskip(SKIP_1) | instid1(VALU_DEP_2)
	v_subrev_nc_u32_e32 v2, 28, v1
	v_sub_nc_u32_e32 v1, 29, v1
	v_lshlrev_b64 v[2:3], v2, v[28:29]
	s_delay_alu instid0(VALU_DEP_1)
	v_and_b32_e32 v28, 7, v2
; %bb.69:                               ;   in Loop: Header=BB239_13 Depth=1
	s_or_b32 exec_lo, exec_lo, s26
	v_lshlrev_b32_e32 v2, 24, v0
	s_delay_alu instid0(VALU_DEP_2) | instskip(SKIP_1) | instid1(VALU_DEP_3)
	v_lshlrev_b32_e32 v3, 20, v28
	v_lshl_add_u32 v1, v1, 23, 0x3c000000
	v_and_b32_e32 v2, 0x80000000, v2
	s_delay_alu instid0(VALU_DEP_1)
	v_or3_b32 v28, v3, v2, v1
	scratch_store_b64 off, v[28:29], s32 offset:388 ; 8-byte Folded Spill
.LBB239_70:                             ;   in Loop: Header=BB239_13 Depth=1
	s_or_b32 exec_lo, exec_lo, s25
.LBB239_71:                             ;   in Loop: Header=BB239_13 Depth=1
	s_delay_alu instid0(SALU_CYCLE_1)
	s_or_b32 exec_lo, exec_lo, s24
.LBB239_72:                             ;   in Loop: Header=BB239_13 Depth=1
	s_delay_alu instid0(SALU_CYCLE_1) | instskip(SKIP_2) | instid1(VALU_DEP_1)
	s_or_b32 exec_lo, exec_lo, s18
	v_lshrrev_b16 v1, 8, v0
	s_mov_b32 s24, exec_lo
	v_cmpx_ne_u16_e32 0, v1
	s_cbranch_execz .LBB239_80
; %bb.73:                               ;   in Loop: Header=BB239_13 Depth=1
	v_dual_mov_b32 v2, s16 :: v_dual_mov_b32 v3, s17
	s_mov_b32 s25, exec_lo
	scratch_store_b64 off, v[2:3], s32 offset:380 ; 8-byte Folded Spill
	v_cmpx_ne_u16_e32 0x80, v1
	s_cbranch_execz .LBB239_79
; %bb.74:                               ;   in Loop: Header=BB239_13 Depth=1
	s_mov_b32 s18, s16
	v_and_b32_e32 v1, 0xffff, v1
	v_dual_mov_b32 v3, s18 :: v_dual_mov_b32 v4, s19
	s_mov_b32 s18, exec_lo
	s_delay_alu instid0(VALU_DEP_2)
	v_and_b32_e32 v2, 0x7f, v1
	scratch_store_b64 off, v[3:4], s32 offset:380 ; 8-byte Folded Spill
	v_cmpx_ne_u32_e32 0x7f, v2
	s_cbranch_execz .LBB239_78
; %bb.75:                               ;   in Loop: Header=BB239_13 Depth=1
	v_and_b32_e32 v28, 7, v1
	v_lshrrev_b32_e32 v1, 3, v2
	s_mov_b32 s26, exec_lo
	v_cmpx_gt_u32_e32 8, v2
; %bb.76:                               ;   in Loop: Header=BB239_13 Depth=1
	s_delay_alu instid0(VALU_DEP_3) | instskip(NEXT) | instid1(VALU_DEP_1)
	v_clz_i32_u32_e32 v1, v28
	v_min_u32_e32 v1, 32, v1
	s_delay_alu instid0(VALU_DEP_1) | instskip(SKIP_1) | instid1(VALU_DEP_2)
	v_subrev_nc_u32_e32 v2, 28, v1
	v_sub_nc_u32_e32 v1, 29, v1
	v_lshlrev_b64 v[2:3], v2, v[28:29]
	s_delay_alu instid0(VALU_DEP_1)
	v_and_b32_e32 v28, 7, v2
; %bb.77:                               ;   in Loop: Header=BB239_13 Depth=1
	s_or_b32 exec_lo, exec_lo, s26
	v_lshlrev_b32_e32 v0, 16, v0
	s_delay_alu instid0(VALU_DEP_2) | instskip(SKIP_1) | instid1(VALU_DEP_3)
	v_lshlrev_b32_e32 v2, 20, v28
	v_lshl_add_u32 v1, v1, 23, 0x3c000000
	v_and_b32_e32 v0, 0x80000000, v0
	s_delay_alu instid0(VALU_DEP_1)
	v_or3_b32 v1, v2, v0, v1
	v_mov_b32_e32 v0, v29
	scratch_store_b64 off, v[0:1], s32 offset:380 ; 8-byte Folded Spill
.LBB239_78:                             ;   in Loop: Header=BB239_13 Depth=1
	s_or_b32 exec_lo, exec_lo, s18
.LBB239_79:                             ;   in Loop: Header=BB239_13 Depth=1
	s_delay_alu instid0(SALU_CYCLE_1)
	s_or_b32 exec_lo, exec_lo, s25
.LBB239_80:                             ;   in Loop: Header=BB239_13 Depth=1
	s_delay_alu instid0(SALU_CYCLE_1)
	s_or_b32 exec_lo, exec_lo, s24
	flat_load_u16 v0, v[162:163] offset:256
	v_mov_b32_e32 v2, 0
	v_mov_b32_e32 v3, 0
	s_mov_b32 s18, exec_lo
	s_waitcnt vmcnt(0) lgkmcnt(0)
	v_and_b32_e32 v1, 0xff, v0
	v_and_b32_e32 v0, 0xffff, v0
	s_clause 0x1
	scratch_store_b64 off, v[2:3], s32 offset:396
	scratch_store_b64 off, v[2:3], s32 offset:404
	v_cmpx_ne_u16_e32 0, v1
	s_cbranch_execz .LBB239_88
; %bb.81:                               ;   in Loop: Header=BB239_13 Depth=1
	v_bfrev_b32_e32 v2, 1
	v_and_b32_e32 v1, 0xff, v0
	v_mov_b32_e32 v3, 0
	s_mov_b32 s24, exec_lo
	scratch_store_b64 off, v[2:3], s32 offset:404 ; 8-byte Folded Spill
	v_cmpx_ne_u16_e32 0x80, v1
	s_cbranch_execz .LBB239_87
; %bb.82:                               ;   in Loop: Header=BB239_13 Depth=1
	v_mov_b32_e32 v3, 0x7f800001
	v_and_b32_e32 v2, 0x7f, v0
	v_mov_b32_e32 v4, 0
	s_mov_b32 s25, exec_lo
	scratch_store_b64 off, v[3:4], s32 offset:404 ; 8-byte Folded Spill
	v_cmpx_ne_u32_e32 0x7f, v2
	s_cbranch_execz .LBB239_86
; %bb.83:                               ;   in Loop: Header=BB239_13 Depth=1
	v_and_b32_e32 v28, 7, v0
	v_lshrrev_b32_e32 v1, 3, v2
	s_mov_b32 s26, exec_lo
	v_cmpx_gt_u32_e32 8, v2
; %bb.84:                               ;   in Loop: Header=BB239_13 Depth=1
	s_delay_alu instid0(VALU_DEP_3) | instskip(NEXT) | instid1(VALU_DEP_1)
	v_clz_i32_u32_e32 v1, v28
	v_min_u32_e32 v1, 32, v1
	s_delay_alu instid0(VALU_DEP_1) | instskip(SKIP_1) | instid1(VALU_DEP_2)
	v_subrev_nc_u32_e32 v2, 28, v1
	v_sub_nc_u32_e32 v1, 29, v1
	v_lshlrev_b64 v[2:3], v2, v[28:29]
	s_delay_alu instid0(VALU_DEP_1)
	v_and_b32_e32 v28, 7, v2
; %bb.85:                               ;   in Loop: Header=BB239_13 Depth=1
	s_or_b32 exec_lo, exec_lo, s26
	v_lshlrev_b32_e32 v2, 24, v0
	s_delay_alu instid0(VALU_DEP_2) | instskip(SKIP_1) | instid1(VALU_DEP_3)
	v_lshlrev_b32_e32 v3, 20, v28
	v_lshl_add_u32 v1, v1, 23, 0x3c000000
	v_and_b32_e32 v2, 0x80000000, v2
	s_delay_alu instid0(VALU_DEP_1)
	v_or3_b32 v28, v3, v2, v1
	scratch_store_b64 off, v[28:29], s32 offset:404 ; 8-byte Folded Spill
.LBB239_86:                             ;   in Loop: Header=BB239_13 Depth=1
	s_or_b32 exec_lo, exec_lo, s25
.LBB239_87:                             ;   in Loop: Header=BB239_13 Depth=1
	s_delay_alu instid0(SALU_CYCLE_1)
	s_or_b32 exec_lo, exec_lo, s24
.LBB239_88:                             ;   in Loop: Header=BB239_13 Depth=1
	s_delay_alu instid0(SALU_CYCLE_1) | instskip(SKIP_2) | instid1(VALU_DEP_1)
	s_or_b32 exec_lo, exec_lo, s18
	v_lshrrev_b16 v1, 8, v0
	s_mov_b32 s24, exec_lo
	v_cmpx_ne_u16_e32 0, v1
	s_cbranch_execz .LBB239_96
; %bb.89:                               ;   in Loop: Header=BB239_13 Depth=1
	v_dual_mov_b32 v2, s16 :: v_dual_mov_b32 v3, s17
	s_mov_b32 s25, exec_lo
	scratch_store_b64 off, v[2:3], s32 offset:396 ; 8-byte Folded Spill
	v_cmpx_ne_u16_e32 0x80, v1
	s_cbranch_execz .LBB239_95
; %bb.90:                               ;   in Loop: Header=BB239_13 Depth=1
	s_mov_b32 s18, s16
	v_and_b32_e32 v1, 0xffff, v1
	v_dual_mov_b32 v3, s18 :: v_dual_mov_b32 v4, s19
	s_mov_b32 s18, exec_lo
	s_delay_alu instid0(VALU_DEP_2)
	v_and_b32_e32 v2, 0x7f, v1
	scratch_store_b64 off, v[3:4], s32 offset:396 ; 8-byte Folded Spill
	v_cmpx_ne_u32_e32 0x7f, v2
	s_cbranch_execz .LBB239_94
; %bb.91:                               ;   in Loop: Header=BB239_13 Depth=1
	v_and_b32_e32 v28, 7, v1
	v_lshrrev_b32_e32 v1, 3, v2
	s_mov_b32 s26, exec_lo
	v_cmpx_gt_u32_e32 8, v2
; %bb.92:                               ;   in Loop: Header=BB239_13 Depth=1
	s_delay_alu instid0(VALU_DEP_3) | instskip(NEXT) | instid1(VALU_DEP_1)
	v_clz_i32_u32_e32 v1, v28
	v_min_u32_e32 v1, 32, v1
	s_delay_alu instid0(VALU_DEP_1) | instskip(SKIP_1) | instid1(VALU_DEP_2)
	v_subrev_nc_u32_e32 v2, 28, v1
	v_sub_nc_u32_e32 v1, 29, v1
	v_lshlrev_b64 v[2:3], v2, v[28:29]
	s_delay_alu instid0(VALU_DEP_1)
	v_and_b32_e32 v28, 7, v2
; %bb.93:                               ;   in Loop: Header=BB239_13 Depth=1
	s_or_b32 exec_lo, exec_lo, s26
	v_lshlrev_b32_e32 v0, 16, v0
	s_delay_alu instid0(VALU_DEP_2) | instskip(SKIP_1) | instid1(VALU_DEP_3)
	v_lshlrev_b32_e32 v2, 20, v28
	v_lshl_add_u32 v1, v1, 23, 0x3c000000
	v_and_b32_e32 v0, 0x80000000, v0
	s_delay_alu instid0(VALU_DEP_1)
	v_or3_b32 v1, v2, v0, v1
	v_mov_b32_e32 v0, v29
	scratch_store_b64 off, v[0:1], s32 offset:396 ; 8-byte Folded Spill
.LBB239_94:                             ;   in Loop: Header=BB239_13 Depth=1
	s_or_b32 exec_lo, exec_lo, s18
.LBB239_95:                             ;   in Loop: Header=BB239_13 Depth=1
	s_delay_alu instid0(SALU_CYCLE_1)
	s_or_b32 exec_lo, exec_lo, s25
.LBB239_96:                             ;   in Loop: Header=BB239_13 Depth=1
	s_delay_alu instid0(SALU_CYCLE_1)
	s_or_b32 exec_lo, exec_lo, s24
	flat_load_u16 v0, v[162:163] offset:260
	v_mov_b32_e32 v2, 0
	v_mov_b32_e32 v3, 0
	s_mov_b32 s18, exec_lo
	s_waitcnt vmcnt(0) lgkmcnt(0)
	v_and_b32_e32 v1, 0xff, v0
	v_and_b32_e32 v0, 0xffff, v0
	s_clause 0x1
	scratch_store_b64 off, v[2:3], s32 offset:412
	scratch_store_b64 off, v[2:3], s32 offset:420
	v_cmpx_ne_u16_e32 0, v1
	s_cbranch_execz .LBB239_104
; %bb.97:                               ;   in Loop: Header=BB239_13 Depth=1
	v_bfrev_b32_e32 v2, 1
	v_and_b32_e32 v1, 0xff, v0
	v_mov_b32_e32 v3, 0
	s_mov_b32 s24, exec_lo
	scratch_store_b64 off, v[2:3], s32 offset:420 ; 8-byte Folded Spill
	v_cmpx_ne_u16_e32 0x80, v1
	s_cbranch_execz .LBB239_103
; %bb.98:                               ;   in Loop: Header=BB239_13 Depth=1
	v_mov_b32_e32 v3, 0x7f800001
	v_and_b32_e32 v2, 0x7f, v0
	v_mov_b32_e32 v4, 0
	s_mov_b32 s25, exec_lo
	scratch_store_b64 off, v[3:4], s32 offset:420 ; 8-byte Folded Spill
	v_cmpx_ne_u32_e32 0x7f, v2
	s_cbranch_execz .LBB239_102
; %bb.99:                               ;   in Loop: Header=BB239_13 Depth=1
	v_and_b32_e32 v28, 7, v0
	v_lshrrev_b32_e32 v1, 3, v2
	s_mov_b32 s26, exec_lo
	v_cmpx_gt_u32_e32 8, v2
; %bb.100:                              ;   in Loop: Header=BB239_13 Depth=1
	s_delay_alu instid0(VALU_DEP_3) | instskip(NEXT) | instid1(VALU_DEP_1)
	v_clz_i32_u32_e32 v1, v28
	v_min_u32_e32 v1, 32, v1
	s_delay_alu instid0(VALU_DEP_1) | instskip(SKIP_1) | instid1(VALU_DEP_2)
	v_subrev_nc_u32_e32 v2, 28, v1
	v_sub_nc_u32_e32 v1, 29, v1
	v_lshlrev_b64 v[2:3], v2, v[28:29]
	s_delay_alu instid0(VALU_DEP_1)
	v_and_b32_e32 v28, 7, v2
; %bb.101:                              ;   in Loop: Header=BB239_13 Depth=1
	s_or_b32 exec_lo, exec_lo, s26
	v_lshlrev_b32_e32 v2, 24, v0
	s_delay_alu instid0(VALU_DEP_2) | instskip(SKIP_1) | instid1(VALU_DEP_3)
	v_lshlrev_b32_e32 v3, 20, v28
	v_lshl_add_u32 v1, v1, 23, 0x3c000000
	v_and_b32_e32 v2, 0x80000000, v2
	s_delay_alu instid0(VALU_DEP_1)
	v_or3_b32 v28, v3, v2, v1
	scratch_store_b64 off, v[28:29], s32 offset:420 ; 8-byte Folded Spill
.LBB239_102:                            ;   in Loop: Header=BB239_13 Depth=1
	s_or_b32 exec_lo, exec_lo, s25
.LBB239_103:                            ;   in Loop: Header=BB239_13 Depth=1
	s_delay_alu instid0(SALU_CYCLE_1)
	s_or_b32 exec_lo, exec_lo, s24
.LBB239_104:                            ;   in Loop: Header=BB239_13 Depth=1
	s_delay_alu instid0(SALU_CYCLE_1) | instskip(SKIP_2) | instid1(VALU_DEP_1)
	s_or_b32 exec_lo, exec_lo, s18
	v_lshrrev_b16 v1, 8, v0
	s_mov_b32 s24, exec_lo
	v_cmpx_ne_u16_e32 0, v1
	s_cbranch_execz .LBB239_112
; %bb.105:                              ;   in Loop: Header=BB239_13 Depth=1
	v_dual_mov_b32 v2, s16 :: v_dual_mov_b32 v3, s17
	s_mov_b32 s25, exec_lo
	scratch_store_b64 off, v[2:3], s32 offset:412 ; 8-byte Folded Spill
	v_cmpx_ne_u16_e32 0x80, v1
	s_cbranch_execz .LBB239_111
; %bb.106:                              ;   in Loop: Header=BB239_13 Depth=1
	s_mov_b32 s18, s16
	v_and_b32_e32 v1, 0xffff, v1
	v_dual_mov_b32 v3, s18 :: v_dual_mov_b32 v4, s19
	s_mov_b32 s18, exec_lo
	s_delay_alu instid0(VALU_DEP_2)
	v_and_b32_e32 v2, 0x7f, v1
	scratch_store_b64 off, v[3:4], s32 offset:412 ; 8-byte Folded Spill
	v_cmpx_ne_u32_e32 0x7f, v2
	s_cbranch_execz .LBB239_110
; %bb.107:                              ;   in Loop: Header=BB239_13 Depth=1
	v_and_b32_e32 v28, 7, v1
	v_lshrrev_b32_e32 v1, 3, v2
	s_mov_b32 s26, exec_lo
	v_cmpx_gt_u32_e32 8, v2
; %bb.108:                              ;   in Loop: Header=BB239_13 Depth=1
	s_delay_alu instid0(VALU_DEP_3) | instskip(NEXT) | instid1(VALU_DEP_1)
	v_clz_i32_u32_e32 v1, v28
	v_min_u32_e32 v1, 32, v1
	s_delay_alu instid0(VALU_DEP_1) | instskip(SKIP_1) | instid1(VALU_DEP_2)
	v_subrev_nc_u32_e32 v2, 28, v1
	v_sub_nc_u32_e32 v1, 29, v1
	v_lshlrev_b64 v[2:3], v2, v[28:29]
	s_delay_alu instid0(VALU_DEP_1)
	v_and_b32_e32 v28, 7, v2
; %bb.109:                              ;   in Loop: Header=BB239_13 Depth=1
	s_or_b32 exec_lo, exec_lo, s26
	v_lshlrev_b32_e32 v0, 16, v0
	s_delay_alu instid0(VALU_DEP_2) | instskip(SKIP_1) | instid1(VALU_DEP_3)
	v_lshlrev_b32_e32 v2, 20, v28
	v_lshl_add_u32 v1, v1, 23, 0x3c000000
	v_and_b32_e32 v0, 0x80000000, v0
	s_delay_alu instid0(VALU_DEP_1)
	v_or3_b32 v1, v2, v0, v1
	v_mov_b32_e32 v0, v29
	scratch_store_b64 off, v[0:1], s32 offset:412 ; 8-byte Folded Spill
.LBB239_110:                            ;   in Loop: Header=BB239_13 Depth=1
	s_or_b32 exec_lo, exec_lo, s18
.LBB239_111:                            ;   in Loop: Header=BB239_13 Depth=1
	s_delay_alu instid0(SALU_CYCLE_1)
	s_or_b32 exec_lo, exec_lo, s25
.LBB239_112:                            ;   in Loop: Header=BB239_13 Depth=1
	s_delay_alu instid0(SALU_CYCLE_1) | instskip(SKIP_1) | instid1(VALU_DEP_1)
	s_or_b32 exec_lo, exec_lo, s24
	v_add_co_u32 v0, s2, 0x100, v162
	v_add_co_ci_u32_e64 v1, s2, 0, v163, s2
	s_mov_b32 s18, exec_lo
	flat_load_u16 v2, v[0:1] offset:8
	v_mov_b32_e32 v4, 0
	v_mov_b32_e32 v5, 0
	s_waitcnt vmcnt(0) lgkmcnt(0)
	v_and_b32_e32 v3, 0xff, v2
	v_and_b32_e32 v2, 0xffff, v2
	s_clause 0x1
	scratch_store_b64 off, v[4:5], s32 offset:428
	scratch_store_b64 off, v[4:5], s32 offset:436
	v_cmpx_ne_u16_e32 0, v3
	s_cbranch_execz .LBB239_120
; %bb.113:                              ;   in Loop: Header=BB239_13 Depth=1
	v_bfrev_b32_e32 v4, 1
	v_and_b32_e32 v3, 0xff, v2
	v_mov_b32_e32 v5, 0
	s_mov_b32 s24, exec_lo
	scratch_store_b64 off, v[4:5], s32 offset:436 ; 8-byte Folded Spill
	v_cmpx_ne_u16_e32 0x80, v3
	s_cbranch_execz .LBB239_119
; %bb.114:                              ;   in Loop: Header=BB239_13 Depth=1
	v_mov_b32_e32 v5, 0x7f800001
	v_and_b32_e32 v4, 0x7f, v2
	v_mov_b32_e32 v6, 0
	s_mov_b32 s25, exec_lo
	scratch_store_b64 off, v[5:6], s32 offset:436 ; 8-byte Folded Spill
	v_cmpx_ne_u32_e32 0x7f, v4
	s_cbranch_execz .LBB239_118
; %bb.115:                              ;   in Loop: Header=BB239_13 Depth=1
	v_and_b32_e32 v28, 7, v2
	v_lshrrev_b32_e32 v3, 3, v4
	s_mov_b32 s26, exec_lo
	v_cmpx_gt_u32_e32 8, v4
; %bb.116:                              ;   in Loop: Header=BB239_13 Depth=1
	s_delay_alu instid0(VALU_DEP_3) | instskip(NEXT) | instid1(VALU_DEP_1)
	v_clz_i32_u32_e32 v3, v28
	v_min_u32_e32 v3, 32, v3
	s_delay_alu instid0(VALU_DEP_1) | instskip(SKIP_1) | instid1(VALU_DEP_2)
	v_subrev_nc_u32_e32 v4, 28, v3
	v_sub_nc_u32_e32 v3, 29, v3
	v_lshlrev_b64 v[4:5], v4, v[28:29]
	s_delay_alu instid0(VALU_DEP_1)
	v_and_b32_e32 v28, 7, v4
; %bb.117:                              ;   in Loop: Header=BB239_13 Depth=1
	s_or_b32 exec_lo, exec_lo, s26
	v_lshlrev_b32_e32 v4, 24, v2
	s_delay_alu instid0(VALU_DEP_2) | instskip(SKIP_1) | instid1(VALU_DEP_3)
	v_lshlrev_b32_e32 v5, 20, v28
	v_lshl_add_u32 v3, v3, 23, 0x3c000000
	v_and_b32_e32 v4, 0x80000000, v4
	s_delay_alu instid0(VALU_DEP_1)
	v_or3_b32 v28, v5, v4, v3
	scratch_store_b64 off, v[28:29], s32 offset:436 ; 8-byte Folded Spill
.LBB239_118:                            ;   in Loop: Header=BB239_13 Depth=1
	s_or_b32 exec_lo, exec_lo, s25
.LBB239_119:                            ;   in Loop: Header=BB239_13 Depth=1
	s_delay_alu instid0(SALU_CYCLE_1)
	s_or_b32 exec_lo, exec_lo, s24
.LBB239_120:                            ;   in Loop: Header=BB239_13 Depth=1
	s_delay_alu instid0(SALU_CYCLE_1) | instskip(SKIP_2) | instid1(VALU_DEP_1)
	s_or_b32 exec_lo, exec_lo, s18
	v_lshrrev_b16 v3, 8, v2
	s_mov_b32 s24, exec_lo
	v_cmpx_ne_u16_e32 0, v3
	s_cbranch_execz .LBB239_128
; %bb.121:                              ;   in Loop: Header=BB239_13 Depth=1
	v_dual_mov_b32 v4, s16 :: v_dual_mov_b32 v5, s17
	s_mov_b32 s25, exec_lo
	scratch_store_b64 off, v[4:5], s32 offset:428 ; 8-byte Folded Spill
	v_cmpx_ne_u16_e32 0x80, v3
	s_cbranch_execz .LBB239_127
; %bb.122:                              ;   in Loop: Header=BB239_13 Depth=1
	s_mov_b32 s18, s16
	v_and_b32_e32 v3, 0xffff, v3
	v_dual_mov_b32 v5, s18 :: v_dual_mov_b32 v6, s19
	s_mov_b32 s18, exec_lo
	s_delay_alu instid0(VALU_DEP_2)
	v_and_b32_e32 v4, 0x7f, v3
	scratch_store_b64 off, v[5:6], s32 offset:428 ; 8-byte Folded Spill
	v_cmpx_ne_u32_e32 0x7f, v4
	s_cbranch_execz .LBB239_126
; %bb.123:                              ;   in Loop: Header=BB239_13 Depth=1
	v_and_b32_e32 v28, 7, v3
	v_lshrrev_b32_e32 v3, 3, v4
	s_mov_b32 s26, exec_lo
	v_cmpx_gt_u32_e32 8, v4
; %bb.124:                              ;   in Loop: Header=BB239_13 Depth=1
	s_delay_alu instid0(VALU_DEP_3) | instskip(NEXT) | instid1(VALU_DEP_1)
	v_clz_i32_u32_e32 v3, v28
	v_min_u32_e32 v3, 32, v3
	s_delay_alu instid0(VALU_DEP_1) | instskip(SKIP_1) | instid1(VALU_DEP_2)
	v_subrev_nc_u32_e32 v4, 28, v3
	v_sub_nc_u32_e32 v3, 29, v3
	v_lshlrev_b64 v[4:5], v4, v[28:29]
	s_delay_alu instid0(VALU_DEP_1)
	v_and_b32_e32 v28, 7, v4
; %bb.125:                              ;   in Loop: Header=BB239_13 Depth=1
	s_or_b32 exec_lo, exec_lo, s26
	v_lshlrev_b32_e32 v2, 16, v2
	s_delay_alu instid0(VALU_DEP_2) | instskip(SKIP_1) | instid1(VALU_DEP_3)
	v_lshlrev_b32_e32 v4, 20, v28
	v_lshl_add_u32 v3, v3, 23, 0x3c000000
	v_and_b32_e32 v2, 0x80000000, v2
	s_delay_alu instid0(VALU_DEP_1)
	v_or3_b32 v3, v4, v2, v3
	v_mov_b32_e32 v2, v29
	scratch_store_b64 off, v[2:3], s32 offset:428 ; 8-byte Folded Spill
.LBB239_126:                            ;   in Loop: Header=BB239_13 Depth=1
	s_or_b32 exec_lo, exec_lo, s18
.LBB239_127:                            ;   in Loop: Header=BB239_13 Depth=1
	s_delay_alu instid0(SALU_CYCLE_1)
	s_or_b32 exec_lo, exec_lo, s25
.LBB239_128:                            ;   in Loop: Header=BB239_13 Depth=1
	s_delay_alu instid0(SALU_CYCLE_1)
	s_or_b32 exec_lo, exec_lo, s24
	flat_load_u16 v0, v[0:1] offset:12
	v_mov_b32_e32 v2, 0
	v_mov_b32_e32 v3, 0
	s_mov_b32 s18, exec_lo
	s_waitcnt vmcnt(0) lgkmcnt(0)
	v_and_b32_e32 v1, 0xff, v0
	v_and_b32_e32 v0, 0xffff, v0
	s_clause 0x1
	scratch_store_b64 off, v[2:3], s32 offset:444
	scratch_store_b64 off, v[2:3], s32 offset:452
	v_cmpx_ne_u16_e32 0, v1
	s_cbranch_execz .LBB239_136
; %bb.129:                              ;   in Loop: Header=BB239_13 Depth=1
	v_bfrev_b32_e32 v2, 1
	v_and_b32_e32 v1, 0xff, v0
	v_mov_b32_e32 v3, 0
	s_mov_b32 s24, exec_lo
	scratch_store_b64 off, v[2:3], s32 offset:452 ; 8-byte Folded Spill
	v_cmpx_ne_u16_e32 0x80, v1
	s_cbranch_execz .LBB239_135
; %bb.130:                              ;   in Loop: Header=BB239_13 Depth=1
	v_mov_b32_e32 v3, 0x7f800001
	v_and_b32_e32 v2, 0x7f, v0
	v_mov_b32_e32 v4, 0
	s_mov_b32 s25, exec_lo
	scratch_store_b64 off, v[3:4], s32 offset:452 ; 8-byte Folded Spill
	v_cmpx_ne_u32_e32 0x7f, v2
	s_cbranch_execz .LBB239_134
; %bb.131:                              ;   in Loop: Header=BB239_13 Depth=1
	v_and_b32_e32 v28, 7, v0
	v_lshrrev_b32_e32 v1, 3, v2
	s_mov_b32 s26, exec_lo
	v_cmpx_gt_u32_e32 8, v2
; %bb.132:                              ;   in Loop: Header=BB239_13 Depth=1
	s_delay_alu instid0(VALU_DEP_3) | instskip(NEXT) | instid1(VALU_DEP_1)
	v_clz_i32_u32_e32 v1, v28
	v_min_u32_e32 v1, 32, v1
	s_delay_alu instid0(VALU_DEP_1) | instskip(SKIP_1) | instid1(VALU_DEP_2)
	v_subrev_nc_u32_e32 v2, 28, v1
	v_sub_nc_u32_e32 v1, 29, v1
	v_lshlrev_b64 v[2:3], v2, v[28:29]
	s_delay_alu instid0(VALU_DEP_1)
	v_and_b32_e32 v28, 7, v2
; %bb.133:                              ;   in Loop: Header=BB239_13 Depth=1
	s_or_b32 exec_lo, exec_lo, s26
	v_lshlrev_b32_e32 v2, 24, v0
	s_delay_alu instid0(VALU_DEP_2) | instskip(SKIP_1) | instid1(VALU_DEP_3)
	v_lshlrev_b32_e32 v3, 20, v28
	v_lshl_add_u32 v1, v1, 23, 0x3c000000
	v_and_b32_e32 v2, 0x80000000, v2
	s_delay_alu instid0(VALU_DEP_1)
	v_or3_b32 v28, v3, v2, v1
	scratch_store_b64 off, v[28:29], s32 offset:452 ; 8-byte Folded Spill
.LBB239_134:                            ;   in Loop: Header=BB239_13 Depth=1
	s_or_b32 exec_lo, exec_lo, s25
.LBB239_135:                            ;   in Loop: Header=BB239_13 Depth=1
	s_delay_alu instid0(SALU_CYCLE_1)
	s_or_b32 exec_lo, exec_lo, s24
.LBB239_136:                            ;   in Loop: Header=BB239_13 Depth=1
	s_delay_alu instid0(SALU_CYCLE_1) | instskip(SKIP_2) | instid1(VALU_DEP_1)
	s_or_b32 exec_lo, exec_lo, s18
	v_lshrrev_b16 v1, 8, v0
	s_mov_b32 s24, exec_lo
	v_cmpx_ne_u16_e32 0, v1
	s_cbranch_execz .LBB239_144
; %bb.137:                              ;   in Loop: Header=BB239_13 Depth=1
	v_dual_mov_b32 v2, s16 :: v_dual_mov_b32 v3, s17
	s_mov_b32 s25, exec_lo
	scratch_store_b64 off, v[2:3], s32 offset:444 ; 8-byte Folded Spill
	v_cmpx_ne_u16_e32 0x80, v1
	s_cbranch_execz .LBB239_143
; %bb.138:                              ;   in Loop: Header=BB239_13 Depth=1
	s_mov_b32 s18, s16
	v_and_b32_e32 v1, 0xffff, v1
	v_dual_mov_b32 v3, s18 :: v_dual_mov_b32 v4, s19
	s_mov_b32 s18, exec_lo
	s_delay_alu instid0(VALU_DEP_2)
	v_and_b32_e32 v2, 0x7f, v1
	scratch_store_b64 off, v[3:4], s32 offset:444 ; 8-byte Folded Spill
	v_cmpx_ne_u32_e32 0x7f, v2
	s_cbranch_execz .LBB239_142
; %bb.139:                              ;   in Loop: Header=BB239_13 Depth=1
	v_and_b32_e32 v28, 7, v1
	v_lshrrev_b32_e32 v1, 3, v2
	s_mov_b32 s26, exec_lo
	v_cmpx_gt_u32_e32 8, v2
; %bb.140:                              ;   in Loop: Header=BB239_13 Depth=1
	s_delay_alu instid0(VALU_DEP_3) | instskip(NEXT) | instid1(VALU_DEP_1)
	v_clz_i32_u32_e32 v1, v28
	v_min_u32_e32 v1, 32, v1
	s_delay_alu instid0(VALU_DEP_1) | instskip(SKIP_1) | instid1(VALU_DEP_2)
	v_subrev_nc_u32_e32 v2, 28, v1
	v_sub_nc_u32_e32 v1, 29, v1
	v_lshlrev_b64 v[2:3], v2, v[28:29]
	s_delay_alu instid0(VALU_DEP_1)
	v_and_b32_e32 v28, 7, v2
; %bb.141:                              ;   in Loop: Header=BB239_13 Depth=1
	s_or_b32 exec_lo, exec_lo, s26
	v_lshlrev_b32_e32 v0, 16, v0
	s_delay_alu instid0(VALU_DEP_2) | instskip(SKIP_1) | instid1(VALU_DEP_3)
	v_lshlrev_b32_e32 v2, 20, v28
	v_lshl_add_u32 v1, v1, 23, 0x3c000000
	v_and_b32_e32 v0, 0x80000000, v0
	s_delay_alu instid0(VALU_DEP_1)
	v_or3_b32 v1, v2, v0, v1
	v_mov_b32_e32 v0, v29
	scratch_store_b64 off, v[0:1], s32 offset:444 ; 8-byte Folded Spill
.LBB239_142:                            ;   in Loop: Header=BB239_13 Depth=1
	s_or_b32 exec_lo, exec_lo, s18
.LBB239_143:                            ;   in Loop: Header=BB239_13 Depth=1
	s_delay_alu instid0(SALU_CYCLE_1)
	s_or_b32 exec_lo, exec_lo, s25
.LBB239_144:                            ;   in Loop: Header=BB239_13 Depth=1
	s_delay_alu instid0(SALU_CYCLE_1)
	s_or_b32 exec_lo, exec_lo, s24
	flat_load_u16 v0, v[162:163] offset:512
	v_mov_b32_e32 v2, 0
	v_mov_b32_e32 v3, 0
	s_mov_b32 s18, exec_lo
	s_waitcnt vmcnt(0) lgkmcnt(0)
	v_and_b32_e32 v1, 0xff, v0
	v_and_b32_e32 v0, 0xffff, v0
	s_clause 0x1
	scratch_store_b64 off, v[2:3], s32 offset:460
	scratch_store_b64 off, v[2:3], s32 offset:468
	v_cmpx_ne_u16_e32 0, v1
	s_cbranch_execz .LBB239_152
; %bb.145:                              ;   in Loop: Header=BB239_13 Depth=1
	v_and_b32_e32 v1, 0xff, v0
	s_delay_alu instid0(VALU_DEP_1)
	v_cmp_ne_u16_e64 s2, 0x80, v1
	v_bfrev_b32_e32 v1, 1
	v_mov_b32_e32 v2, 0
	scratch_store_b64 off, v[1:2], s32 offset:468 ; 8-byte Folded Spill
	s_and_saveexec_b32 s24, s2
	s_cbranch_execz .LBB239_151
; %bb.146:                              ;   in Loop: Header=BB239_13 Depth=1
	v_mov_b32_e32 v3, 0x7f800001
	v_and_b32_e32 v2, 0x7f, v0
	v_mov_b32_e32 v4, 0
	s_mov_b32 s25, exec_lo
	scratch_store_b64 off, v[3:4], s32 offset:468 ; 8-byte Folded Spill
	v_cmpx_ne_u32_e32 0x7f, v2
	s_cbranch_execz .LBB239_150
; %bb.147:                              ;   in Loop: Header=BB239_13 Depth=1
	v_and_b32_e32 v28, 7, v0
	v_lshrrev_b32_e32 v1, 3, v2
	s_mov_b32 s26, exec_lo
	v_cmpx_gt_u32_e32 8, v2
; %bb.148:                              ;   in Loop: Header=BB239_13 Depth=1
	s_delay_alu instid0(VALU_DEP_3) | instskip(NEXT) | instid1(VALU_DEP_1)
	v_clz_i32_u32_e32 v1, v28
	v_min_u32_e32 v1, 32, v1
	s_delay_alu instid0(VALU_DEP_1) | instskip(SKIP_1) | instid1(VALU_DEP_2)
	v_subrev_nc_u32_e32 v2, 28, v1
	v_sub_nc_u32_e32 v1, 29, v1
	v_lshlrev_b64 v[2:3], v2, v[28:29]
	s_delay_alu instid0(VALU_DEP_1)
	v_and_b32_e32 v28, 7, v2
; %bb.149:                              ;   in Loop: Header=BB239_13 Depth=1
	s_or_b32 exec_lo, exec_lo, s26
	v_lshlrev_b32_e32 v2, 24, v0
	s_delay_alu instid0(VALU_DEP_2) | instskip(SKIP_1) | instid1(VALU_DEP_3)
	v_lshlrev_b32_e32 v3, 20, v28
	v_lshl_add_u32 v1, v1, 23, 0x3c000000
	v_and_b32_e32 v2, 0x80000000, v2
	s_delay_alu instid0(VALU_DEP_1)
	v_or3_b32 v28, v3, v2, v1
	scratch_store_b64 off, v[28:29], s32 offset:468 ; 8-byte Folded Spill
.LBB239_150:                            ;   in Loop: Header=BB239_13 Depth=1
	s_or_b32 exec_lo, exec_lo, s25
.LBB239_151:                            ;   in Loop: Header=BB239_13 Depth=1
	s_delay_alu instid0(SALU_CYCLE_1)
	s_or_b32 exec_lo, exec_lo, s24
.LBB239_152:                            ;   in Loop: Header=BB239_13 Depth=1
	s_delay_alu instid0(SALU_CYCLE_1) | instskip(SKIP_2) | instid1(VALU_DEP_1)
	s_or_b32 exec_lo, exec_lo, s18
	v_lshrrev_b16 v1, 8, v0
	s_mov_b32 s24, exec_lo
	v_cmpx_ne_u16_e32 0, v1
	s_cbranch_execz .LBB239_160
; %bb.153:                              ;   in Loop: Header=BB239_13 Depth=1
	v_dual_mov_b32 v2, s16 :: v_dual_mov_b32 v3, s17
	s_mov_b32 s25, exec_lo
	scratch_store_b64 off, v[2:3], s32 offset:460 ; 8-byte Folded Spill
	v_cmpx_ne_u16_e32 0x80, v1
	s_cbranch_execz .LBB239_159
; %bb.154:                              ;   in Loop: Header=BB239_13 Depth=1
	s_mov_b32 s18, s16
	v_and_b32_e32 v1, 0xffff, v1
	v_dual_mov_b32 v3, s18 :: v_dual_mov_b32 v4, s19
	s_mov_b32 s18, exec_lo
	s_delay_alu instid0(VALU_DEP_2)
	v_and_b32_e32 v2, 0x7f, v1
	scratch_store_b64 off, v[3:4], s32 offset:460 ; 8-byte Folded Spill
	v_cmpx_ne_u32_e32 0x7f, v2
	s_cbranch_execz .LBB239_158
; %bb.155:                              ;   in Loop: Header=BB239_13 Depth=1
	v_and_b32_e32 v28, 7, v1
	v_lshrrev_b32_e32 v1, 3, v2
	s_mov_b32 s26, exec_lo
	v_cmpx_gt_u32_e32 8, v2
; %bb.156:                              ;   in Loop: Header=BB239_13 Depth=1
	s_delay_alu instid0(VALU_DEP_3) | instskip(NEXT) | instid1(VALU_DEP_1)
	v_clz_i32_u32_e32 v1, v28
	v_min_u32_e32 v1, 32, v1
	s_delay_alu instid0(VALU_DEP_1) | instskip(SKIP_1) | instid1(VALU_DEP_2)
	v_subrev_nc_u32_e32 v2, 28, v1
	v_sub_nc_u32_e32 v1, 29, v1
	v_lshlrev_b64 v[2:3], v2, v[28:29]
	s_delay_alu instid0(VALU_DEP_1)
	v_and_b32_e32 v28, 7, v2
; %bb.157:                              ;   in Loop: Header=BB239_13 Depth=1
	s_or_b32 exec_lo, exec_lo, s26
	v_lshlrev_b32_e32 v0, 16, v0
	s_delay_alu instid0(VALU_DEP_2) | instskip(SKIP_1) | instid1(VALU_DEP_3)
	v_lshlrev_b32_e32 v2, 20, v28
	v_lshl_add_u32 v1, v1, 23, 0x3c000000
	v_and_b32_e32 v0, 0x80000000, v0
	s_delay_alu instid0(VALU_DEP_1)
	v_or3_b32 v1, v2, v0, v1
	v_mov_b32_e32 v0, v29
	scratch_store_b64 off, v[0:1], s32 offset:460 ; 8-byte Folded Spill
.LBB239_158:                            ;   in Loop: Header=BB239_13 Depth=1
	s_or_b32 exec_lo, exec_lo, s18
.LBB239_159:                            ;   in Loop: Header=BB239_13 Depth=1
	s_delay_alu instid0(SALU_CYCLE_1)
	s_or_b32 exec_lo, exec_lo, s25
.LBB239_160:                            ;   in Loop: Header=BB239_13 Depth=1
	s_delay_alu instid0(SALU_CYCLE_1)
	s_or_b32 exec_lo, exec_lo, s24
	flat_load_u16 v0, v[162:163] offset:516
	v_mov_b32_e32 v2, 0
	v_mov_b32_e32 v3, 0
	s_mov_b32 s18, exec_lo
	s_waitcnt vmcnt(0) lgkmcnt(0)
	v_and_b32_e32 v1, 0xff, v0
	v_and_b32_e32 v0, 0xffff, v0
	s_clause 0x1
	scratch_store_b64 off, v[2:3], s32 offset:476
	scratch_store_b64 off, v[2:3], s32 offset:484
	v_cmpx_ne_u16_e32 0, v1
	s_cbranch_execz .LBB239_168
; %bb.161:                              ;   in Loop: Header=BB239_13 Depth=1
	v_bfrev_b32_e32 v2, 1
	v_and_b32_e32 v1, 0xff, v0
	v_mov_b32_e32 v3, 0
	s_mov_b32 s24, exec_lo
	scratch_store_b64 off, v[2:3], s32 offset:484 ; 8-byte Folded Spill
	v_cmpx_ne_u16_e32 0x80, v1
	s_cbranch_execz .LBB239_167
; %bb.162:                              ;   in Loop: Header=BB239_13 Depth=1
	v_mov_b32_e32 v3, 0x7f800001
	v_and_b32_e32 v2, 0x7f, v0
	v_mov_b32_e32 v4, 0
	s_mov_b32 s25, exec_lo
	scratch_store_b64 off, v[3:4], s32 offset:484 ; 8-byte Folded Spill
	v_cmpx_ne_u32_e32 0x7f, v2
	s_cbranch_execz .LBB239_166
; %bb.163:                              ;   in Loop: Header=BB239_13 Depth=1
	v_and_b32_e32 v28, 7, v0
	v_lshrrev_b32_e32 v1, 3, v2
	s_mov_b32 s26, exec_lo
	v_cmpx_gt_u32_e32 8, v2
; %bb.164:                              ;   in Loop: Header=BB239_13 Depth=1
	s_delay_alu instid0(VALU_DEP_3) | instskip(NEXT) | instid1(VALU_DEP_1)
	v_clz_i32_u32_e32 v1, v28
	v_min_u32_e32 v1, 32, v1
	s_delay_alu instid0(VALU_DEP_1) | instskip(SKIP_1) | instid1(VALU_DEP_2)
	v_subrev_nc_u32_e32 v2, 28, v1
	v_sub_nc_u32_e32 v1, 29, v1
	v_lshlrev_b64 v[2:3], v2, v[28:29]
	s_delay_alu instid0(VALU_DEP_1)
	v_and_b32_e32 v28, 7, v2
; %bb.165:                              ;   in Loop: Header=BB239_13 Depth=1
	s_or_b32 exec_lo, exec_lo, s26
	v_lshlrev_b32_e32 v2, 24, v0
	s_delay_alu instid0(VALU_DEP_2) | instskip(SKIP_1) | instid1(VALU_DEP_3)
	v_lshlrev_b32_e32 v3, 20, v28
	v_lshl_add_u32 v1, v1, 23, 0x3c000000
	v_and_b32_e32 v2, 0x80000000, v2
	s_delay_alu instid0(VALU_DEP_1)
	v_or3_b32 v28, v3, v2, v1
	scratch_store_b64 off, v[28:29], s32 offset:484 ; 8-byte Folded Spill
.LBB239_166:                            ;   in Loop: Header=BB239_13 Depth=1
	s_or_b32 exec_lo, exec_lo, s25
.LBB239_167:                            ;   in Loop: Header=BB239_13 Depth=1
	s_delay_alu instid0(SALU_CYCLE_1)
	s_or_b32 exec_lo, exec_lo, s24
.LBB239_168:                            ;   in Loop: Header=BB239_13 Depth=1
	s_delay_alu instid0(SALU_CYCLE_1) | instskip(SKIP_2) | instid1(VALU_DEP_1)
	s_or_b32 exec_lo, exec_lo, s18
	v_lshrrev_b16 v1, 8, v0
	s_mov_b32 s24, exec_lo
	v_cmpx_ne_u16_e32 0, v1
	s_cbranch_execz .LBB239_176
; %bb.169:                              ;   in Loop: Header=BB239_13 Depth=1
	v_dual_mov_b32 v2, s16 :: v_dual_mov_b32 v3, s17
	s_mov_b32 s25, exec_lo
	scratch_store_b64 off, v[2:3], s32 offset:476 ; 8-byte Folded Spill
	v_cmpx_ne_u16_e32 0x80, v1
	s_cbranch_execz .LBB239_175
; %bb.170:                              ;   in Loop: Header=BB239_13 Depth=1
	s_mov_b32 s18, s16
	v_and_b32_e32 v1, 0xffff, v1
	v_dual_mov_b32 v3, s18 :: v_dual_mov_b32 v4, s19
	s_mov_b32 s18, exec_lo
	s_delay_alu instid0(VALU_DEP_2)
	v_and_b32_e32 v2, 0x7f, v1
	scratch_store_b64 off, v[3:4], s32 offset:476 ; 8-byte Folded Spill
	v_cmpx_ne_u32_e32 0x7f, v2
	s_cbranch_execz .LBB239_174
; %bb.171:                              ;   in Loop: Header=BB239_13 Depth=1
	v_and_b32_e32 v28, 7, v1
	v_lshrrev_b32_e32 v1, 3, v2
	s_mov_b32 s26, exec_lo
	v_cmpx_gt_u32_e32 8, v2
; %bb.172:                              ;   in Loop: Header=BB239_13 Depth=1
	s_delay_alu instid0(VALU_DEP_3) | instskip(NEXT) | instid1(VALU_DEP_1)
	v_clz_i32_u32_e32 v1, v28
	v_min_u32_e32 v1, 32, v1
	s_delay_alu instid0(VALU_DEP_1) | instskip(SKIP_1) | instid1(VALU_DEP_2)
	v_subrev_nc_u32_e32 v2, 28, v1
	v_sub_nc_u32_e32 v1, 29, v1
	v_lshlrev_b64 v[2:3], v2, v[28:29]
	s_delay_alu instid0(VALU_DEP_1)
	v_and_b32_e32 v28, 7, v2
; %bb.173:                              ;   in Loop: Header=BB239_13 Depth=1
	s_or_b32 exec_lo, exec_lo, s26
	v_lshlrev_b32_e32 v0, 16, v0
	s_delay_alu instid0(VALU_DEP_2) | instskip(SKIP_1) | instid1(VALU_DEP_3)
	v_lshlrev_b32_e32 v2, 20, v28
	v_lshl_add_u32 v1, v1, 23, 0x3c000000
	v_and_b32_e32 v0, 0x80000000, v0
	s_delay_alu instid0(VALU_DEP_1)
	v_or3_b32 v1, v2, v0, v1
	v_mov_b32_e32 v0, v29
	scratch_store_b64 off, v[0:1], s32 offset:476 ; 8-byte Folded Spill
.LBB239_174:                            ;   in Loop: Header=BB239_13 Depth=1
	s_or_b32 exec_lo, exec_lo, s18
.LBB239_175:                            ;   in Loop: Header=BB239_13 Depth=1
	s_delay_alu instid0(SALU_CYCLE_1)
	s_or_b32 exec_lo, exec_lo, s25
.LBB239_176:                            ;   in Loop: Header=BB239_13 Depth=1
	s_delay_alu instid0(SALU_CYCLE_1) | instskip(SKIP_1) | instid1(VALU_DEP_1)
	s_or_b32 exec_lo, exec_lo, s24
	v_add_co_u32 v0, s2, 0x200, v162
	v_add_co_ci_u32_e64 v1, s2, 0, v163, s2
	s_mov_b32 s18, exec_lo
	flat_load_u16 v2, v[0:1] offset:8
	v_mov_b32_e32 v4, 0
	v_mov_b32_e32 v5, 0
	s_waitcnt vmcnt(0) lgkmcnt(0)
	v_and_b32_e32 v3, 0xff, v2
	v_and_b32_e32 v2, 0xffff, v2
	s_clause 0x1
	scratch_store_b64 off, v[4:5], s32 offset:492
	scratch_store_b64 off, v[4:5], s32 offset:500
	v_cmpx_ne_u16_e32 0, v3
	s_cbranch_execz .LBB239_184
; %bb.177:                              ;   in Loop: Header=BB239_13 Depth=1
	v_bfrev_b32_e32 v4, 1
	v_and_b32_e32 v3, 0xff, v2
	v_mov_b32_e32 v5, 0
	s_mov_b32 s24, exec_lo
	scratch_store_b64 off, v[4:5], s32 offset:500 ; 8-byte Folded Spill
	v_cmpx_ne_u16_e32 0x80, v3
	s_cbranch_execz .LBB239_183
; %bb.178:                              ;   in Loop: Header=BB239_13 Depth=1
	v_mov_b32_e32 v5, 0x7f800001
	v_and_b32_e32 v4, 0x7f, v2
	v_mov_b32_e32 v6, 0
	s_mov_b32 s25, exec_lo
	scratch_store_b64 off, v[5:6], s32 offset:500 ; 8-byte Folded Spill
	v_cmpx_ne_u32_e32 0x7f, v4
	s_cbranch_execz .LBB239_182
; %bb.179:                              ;   in Loop: Header=BB239_13 Depth=1
	v_and_b32_e32 v28, 7, v2
	v_lshrrev_b32_e32 v3, 3, v4
	s_mov_b32 s26, exec_lo
	v_cmpx_gt_u32_e32 8, v4
; %bb.180:                              ;   in Loop: Header=BB239_13 Depth=1
	s_delay_alu instid0(VALU_DEP_3) | instskip(NEXT) | instid1(VALU_DEP_1)
	v_clz_i32_u32_e32 v3, v28
	v_min_u32_e32 v3, 32, v3
	s_delay_alu instid0(VALU_DEP_1) | instskip(SKIP_1) | instid1(VALU_DEP_2)
	v_subrev_nc_u32_e32 v4, 28, v3
	v_sub_nc_u32_e32 v3, 29, v3
	v_lshlrev_b64 v[4:5], v4, v[28:29]
	s_delay_alu instid0(VALU_DEP_1)
	v_and_b32_e32 v28, 7, v4
; %bb.181:                              ;   in Loop: Header=BB239_13 Depth=1
	s_or_b32 exec_lo, exec_lo, s26
	v_lshlrev_b32_e32 v4, 24, v2
	s_delay_alu instid0(VALU_DEP_2) | instskip(SKIP_1) | instid1(VALU_DEP_3)
	v_lshlrev_b32_e32 v5, 20, v28
	v_lshl_add_u32 v3, v3, 23, 0x3c000000
	v_and_b32_e32 v4, 0x80000000, v4
	s_delay_alu instid0(VALU_DEP_1)
	v_or3_b32 v28, v5, v4, v3
	scratch_store_b64 off, v[28:29], s32 offset:500 ; 8-byte Folded Spill
.LBB239_182:                            ;   in Loop: Header=BB239_13 Depth=1
	s_or_b32 exec_lo, exec_lo, s25
.LBB239_183:                            ;   in Loop: Header=BB239_13 Depth=1
	s_delay_alu instid0(SALU_CYCLE_1)
	s_or_b32 exec_lo, exec_lo, s24
.LBB239_184:                            ;   in Loop: Header=BB239_13 Depth=1
	s_delay_alu instid0(SALU_CYCLE_1) | instskip(SKIP_2) | instid1(VALU_DEP_1)
	s_or_b32 exec_lo, exec_lo, s18
	v_lshrrev_b16 v3, 8, v2
	s_mov_b32 s24, exec_lo
	v_cmpx_ne_u16_e32 0, v3
	s_cbranch_execz .LBB239_192
; %bb.185:                              ;   in Loop: Header=BB239_13 Depth=1
	v_dual_mov_b32 v4, s16 :: v_dual_mov_b32 v5, s17
	s_mov_b32 s25, exec_lo
	scratch_store_b64 off, v[4:5], s32 offset:492 ; 8-byte Folded Spill
	v_cmpx_ne_u16_e32 0x80, v3
	s_cbranch_execz .LBB239_191
; %bb.186:                              ;   in Loop: Header=BB239_13 Depth=1
	s_mov_b32 s18, s16
	v_and_b32_e32 v3, 0xffff, v3
	v_dual_mov_b32 v5, s18 :: v_dual_mov_b32 v6, s19
	s_mov_b32 s18, exec_lo
	s_delay_alu instid0(VALU_DEP_2)
	v_and_b32_e32 v4, 0x7f, v3
	scratch_store_b64 off, v[5:6], s32 offset:492 ; 8-byte Folded Spill
	v_cmpx_ne_u32_e32 0x7f, v4
	s_cbranch_execz .LBB239_190
; %bb.187:                              ;   in Loop: Header=BB239_13 Depth=1
	v_and_b32_e32 v28, 7, v3
	v_lshrrev_b32_e32 v3, 3, v4
	s_mov_b32 s26, exec_lo
	v_cmpx_gt_u32_e32 8, v4
; %bb.188:                              ;   in Loop: Header=BB239_13 Depth=1
	s_delay_alu instid0(VALU_DEP_3) | instskip(NEXT) | instid1(VALU_DEP_1)
	v_clz_i32_u32_e32 v3, v28
	v_min_u32_e32 v3, 32, v3
	s_delay_alu instid0(VALU_DEP_1) | instskip(SKIP_1) | instid1(VALU_DEP_2)
	v_subrev_nc_u32_e32 v4, 28, v3
	v_sub_nc_u32_e32 v3, 29, v3
	v_lshlrev_b64 v[4:5], v4, v[28:29]
	s_delay_alu instid0(VALU_DEP_1)
	v_and_b32_e32 v28, 7, v4
; %bb.189:                              ;   in Loop: Header=BB239_13 Depth=1
	s_or_b32 exec_lo, exec_lo, s26
	v_lshlrev_b32_e32 v2, 16, v2
	s_delay_alu instid0(VALU_DEP_2) | instskip(SKIP_1) | instid1(VALU_DEP_3)
	v_lshlrev_b32_e32 v4, 20, v28
	v_lshl_add_u32 v3, v3, 23, 0x3c000000
	v_and_b32_e32 v2, 0x80000000, v2
	s_delay_alu instid0(VALU_DEP_1)
	v_or3_b32 v3, v4, v2, v3
	v_mov_b32_e32 v2, v29
	scratch_store_b64 off, v[2:3], s32 offset:492 ; 8-byte Folded Spill
.LBB239_190:                            ;   in Loop: Header=BB239_13 Depth=1
	s_or_b32 exec_lo, exec_lo, s18
.LBB239_191:                            ;   in Loop: Header=BB239_13 Depth=1
	s_delay_alu instid0(SALU_CYCLE_1)
	s_or_b32 exec_lo, exec_lo, s25
.LBB239_192:                            ;   in Loop: Header=BB239_13 Depth=1
	s_delay_alu instid0(SALU_CYCLE_1)
	s_or_b32 exec_lo, exec_lo, s24
	flat_load_u16 v0, v[0:1] offset:12
	v_mov_b32_e32 v2, 0
	v_mov_b32_e32 v3, 0
	s_mov_b32 s18, exec_lo
	s_waitcnt vmcnt(0) lgkmcnt(0)
	v_and_b32_e32 v1, 0xff, v0
	v_and_b32_e32 v0, 0xffff, v0
	s_clause 0x1
	scratch_store_b64 off, v[2:3], s32 offset:508
	scratch_store_b64 off, v[2:3], s32 offset:516
	v_cmpx_ne_u16_e32 0, v1
	s_cbranch_execz .LBB239_200
; %bb.193:                              ;   in Loop: Header=BB239_13 Depth=1
	v_bfrev_b32_e32 v2, 1
	v_and_b32_e32 v1, 0xff, v0
	v_mov_b32_e32 v3, 0
	s_mov_b32 s24, exec_lo
	scratch_store_b64 off, v[2:3], s32 offset:516 ; 8-byte Folded Spill
	v_cmpx_ne_u16_e32 0x80, v1
	s_cbranch_execz .LBB239_199
; %bb.194:                              ;   in Loop: Header=BB239_13 Depth=1
	v_mov_b32_e32 v3, 0x7f800001
	v_and_b32_e32 v2, 0x7f, v0
	v_mov_b32_e32 v4, 0
	s_mov_b32 s25, exec_lo
	scratch_store_b64 off, v[3:4], s32 offset:516 ; 8-byte Folded Spill
	v_cmpx_ne_u32_e32 0x7f, v2
	s_cbranch_execz .LBB239_198
; %bb.195:                              ;   in Loop: Header=BB239_13 Depth=1
	v_and_b32_e32 v28, 7, v0
	v_lshrrev_b32_e32 v1, 3, v2
	s_mov_b32 s26, exec_lo
	v_cmpx_gt_u32_e32 8, v2
; %bb.196:                              ;   in Loop: Header=BB239_13 Depth=1
	s_delay_alu instid0(VALU_DEP_3) | instskip(NEXT) | instid1(VALU_DEP_1)
	v_clz_i32_u32_e32 v1, v28
	v_min_u32_e32 v1, 32, v1
	s_delay_alu instid0(VALU_DEP_1) | instskip(SKIP_1) | instid1(VALU_DEP_2)
	v_subrev_nc_u32_e32 v2, 28, v1
	v_sub_nc_u32_e32 v1, 29, v1
	v_lshlrev_b64 v[2:3], v2, v[28:29]
	s_delay_alu instid0(VALU_DEP_1)
	v_and_b32_e32 v28, 7, v2
; %bb.197:                              ;   in Loop: Header=BB239_13 Depth=1
	s_or_b32 exec_lo, exec_lo, s26
	v_lshlrev_b32_e32 v2, 24, v0
	s_delay_alu instid0(VALU_DEP_2) | instskip(SKIP_1) | instid1(VALU_DEP_3)
	v_lshlrev_b32_e32 v3, 20, v28
	v_lshl_add_u32 v1, v1, 23, 0x3c000000
	v_and_b32_e32 v2, 0x80000000, v2
	s_delay_alu instid0(VALU_DEP_1)
	v_or3_b32 v28, v3, v2, v1
	scratch_store_b64 off, v[28:29], s32 offset:516 ; 8-byte Folded Spill
.LBB239_198:                            ;   in Loop: Header=BB239_13 Depth=1
	s_or_b32 exec_lo, exec_lo, s25
.LBB239_199:                            ;   in Loop: Header=BB239_13 Depth=1
	s_delay_alu instid0(SALU_CYCLE_1)
	s_or_b32 exec_lo, exec_lo, s24
.LBB239_200:                            ;   in Loop: Header=BB239_13 Depth=1
	s_delay_alu instid0(SALU_CYCLE_1) | instskip(SKIP_2) | instid1(VALU_DEP_1)
	s_or_b32 exec_lo, exec_lo, s18
	v_lshrrev_b16 v1, 8, v0
	s_mov_b32 s24, exec_lo
	v_cmpx_ne_u16_e32 0, v1
	s_cbranch_execz .LBB239_208
; %bb.201:                              ;   in Loop: Header=BB239_13 Depth=1
	v_dual_mov_b32 v2, s16 :: v_dual_mov_b32 v3, s17
	s_mov_b32 s25, exec_lo
	scratch_store_b64 off, v[2:3], s32 offset:508 ; 8-byte Folded Spill
	v_cmpx_ne_u16_e32 0x80, v1
	s_cbranch_execz .LBB239_207
; %bb.202:                              ;   in Loop: Header=BB239_13 Depth=1
	s_mov_b32 s18, s16
	v_and_b32_e32 v1, 0xffff, v1
	v_dual_mov_b32 v3, s18 :: v_dual_mov_b32 v4, s19
	s_mov_b32 s18, exec_lo
	s_delay_alu instid0(VALU_DEP_2)
	v_and_b32_e32 v2, 0x7f, v1
	scratch_store_b64 off, v[3:4], s32 offset:508 ; 8-byte Folded Spill
	v_cmpx_ne_u32_e32 0x7f, v2
	s_cbranch_execz .LBB239_206
; %bb.203:                              ;   in Loop: Header=BB239_13 Depth=1
	v_and_b32_e32 v28, 7, v1
	v_lshrrev_b32_e32 v1, 3, v2
	s_mov_b32 s26, exec_lo
	v_cmpx_gt_u32_e32 8, v2
; %bb.204:                              ;   in Loop: Header=BB239_13 Depth=1
	s_delay_alu instid0(VALU_DEP_3) | instskip(NEXT) | instid1(VALU_DEP_1)
	v_clz_i32_u32_e32 v1, v28
	v_min_u32_e32 v1, 32, v1
	s_delay_alu instid0(VALU_DEP_1) | instskip(SKIP_1) | instid1(VALU_DEP_2)
	v_subrev_nc_u32_e32 v2, 28, v1
	v_sub_nc_u32_e32 v1, 29, v1
	v_lshlrev_b64 v[2:3], v2, v[28:29]
	s_delay_alu instid0(VALU_DEP_1)
	v_and_b32_e32 v28, 7, v2
; %bb.205:                              ;   in Loop: Header=BB239_13 Depth=1
	s_or_b32 exec_lo, exec_lo, s26
	v_lshlrev_b32_e32 v0, 16, v0
	s_delay_alu instid0(VALU_DEP_2) | instskip(SKIP_1) | instid1(VALU_DEP_3)
	v_lshlrev_b32_e32 v2, 20, v28
	v_lshl_add_u32 v1, v1, 23, 0x3c000000
	v_and_b32_e32 v0, 0x80000000, v0
	s_delay_alu instid0(VALU_DEP_1)
	v_or3_b32 v1, v2, v0, v1
	v_mov_b32_e32 v0, v29
	scratch_store_b64 off, v[0:1], s32 offset:508 ; 8-byte Folded Spill
.LBB239_206:                            ;   in Loop: Header=BB239_13 Depth=1
	s_or_b32 exec_lo, exec_lo, s18
.LBB239_207:                            ;   in Loop: Header=BB239_13 Depth=1
	s_delay_alu instid0(SALU_CYCLE_1)
	s_or_b32 exec_lo, exec_lo, s25
.LBB239_208:                            ;   in Loop: Header=BB239_13 Depth=1
	s_delay_alu instid0(SALU_CYCLE_1)
	s_or_b32 exec_lo, exec_lo, s24
	flat_load_u16 v0, v[162:163] offset:768
	v_mov_b32_e32 v2, 0
	v_mov_b32_e32 v3, 0
	s_mov_b32 s18, exec_lo
	s_waitcnt vmcnt(0) lgkmcnt(0)
	v_and_b32_e32 v1, 0xff, v0
	v_and_b32_e32 v0, 0xffff, v0
	s_clause 0x1
	scratch_store_b64 off, v[2:3], s32 offset:524
	scratch_store_b64 off, v[2:3], s32 offset:532
	v_cmpx_ne_u16_e32 0, v1
	s_cbranch_execz .LBB239_216
; %bb.209:                              ;   in Loop: Header=BB239_13 Depth=1
	v_bfrev_b32_e32 v2, 1
	v_and_b32_e32 v1, 0xff, v0
	v_mov_b32_e32 v3, 0
	s_mov_b32 s24, exec_lo
	scratch_store_b64 off, v[2:3], s32 offset:532 ; 8-byte Folded Spill
	v_cmpx_ne_u16_e32 0x80, v1
	s_cbranch_execz .LBB239_215
; %bb.210:                              ;   in Loop: Header=BB239_13 Depth=1
	v_mov_b32_e32 v3, 0x7f800001
	v_and_b32_e32 v2, 0x7f, v0
	v_mov_b32_e32 v4, 0
	s_mov_b32 s25, exec_lo
	scratch_store_b64 off, v[3:4], s32 offset:532 ; 8-byte Folded Spill
	v_cmpx_ne_u32_e32 0x7f, v2
	s_cbranch_execz .LBB239_214
; %bb.211:                              ;   in Loop: Header=BB239_13 Depth=1
	v_and_b32_e32 v28, 7, v0
	v_lshrrev_b32_e32 v1, 3, v2
	s_mov_b32 s26, exec_lo
	v_cmpx_gt_u32_e32 8, v2
; %bb.212:                              ;   in Loop: Header=BB239_13 Depth=1
	s_delay_alu instid0(VALU_DEP_3) | instskip(NEXT) | instid1(VALU_DEP_1)
	v_clz_i32_u32_e32 v1, v28
	v_min_u32_e32 v1, 32, v1
	s_delay_alu instid0(VALU_DEP_1) | instskip(SKIP_1) | instid1(VALU_DEP_2)
	v_subrev_nc_u32_e32 v2, 28, v1
	v_sub_nc_u32_e32 v1, 29, v1
	v_lshlrev_b64 v[2:3], v2, v[28:29]
	s_delay_alu instid0(VALU_DEP_1)
	v_and_b32_e32 v28, 7, v2
; %bb.213:                              ;   in Loop: Header=BB239_13 Depth=1
	s_or_b32 exec_lo, exec_lo, s26
	v_lshlrev_b32_e32 v2, 24, v0
	s_delay_alu instid0(VALU_DEP_2) | instskip(SKIP_1) | instid1(VALU_DEP_3)
	v_lshlrev_b32_e32 v3, 20, v28
	v_lshl_add_u32 v1, v1, 23, 0x3c000000
	v_and_b32_e32 v2, 0x80000000, v2
	s_delay_alu instid0(VALU_DEP_1)
	v_or3_b32 v28, v3, v2, v1
	scratch_store_b64 off, v[28:29], s32 offset:532 ; 8-byte Folded Spill
.LBB239_214:                            ;   in Loop: Header=BB239_13 Depth=1
	s_or_b32 exec_lo, exec_lo, s25
.LBB239_215:                            ;   in Loop: Header=BB239_13 Depth=1
	s_delay_alu instid0(SALU_CYCLE_1)
	s_or_b32 exec_lo, exec_lo, s24
.LBB239_216:                            ;   in Loop: Header=BB239_13 Depth=1
	s_delay_alu instid0(SALU_CYCLE_1) | instskip(SKIP_2) | instid1(VALU_DEP_1)
	s_or_b32 exec_lo, exec_lo, s18
	v_lshrrev_b16 v1, 8, v0
	s_mov_b32 s24, exec_lo
	v_cmpx_ne_u16_e32 0, v1
	s_cbranch_execz .LBB239_224
; %bb.217:                              ;   in Loop: Header=BB239_13 Depth=1
	v_dual_mov_b32 v2, s16 :: v_dual_mov_b32 v3, s17
	s_mov_b32 s25, exec_lo
	scratch_store_b64 off, v[2:3], s32 offset:524 ; 8-byte Folded Spill
	v_cmpx_ne_u16_e32 0x80, v1
	s_cbranch_execz .LBB239_223
; %bb.218:                              ;   in Loop: Header=BB239_13 Depth=1
	s_mov_b32 s18, s16
	v_and_b32_e32 v1, 0xffff, v1
	v_dual_mov_b32 v3, s18 :: v_dual_mov_b32 v4, s19
	s_mov_b32 s18, exec_lo
	s_delay_alu instid0(VALU_DEP_2)
	v_and_b32_e32 v2, 0x7f, v1
	scratch_store_b64 off, v[3:4], s32 offset:524 ; 8-byte Folded Spill
	v_cmpx_ne_u32_e32 0x7f, v2
	s_cbranch_execz .LBB239_222
; %bb.219:                              ;   in Loop: Header=BB239_13 Depth=1
	v_and_b32_e32 v28, 7, v1
	v_lshrrev_b32_e32 v1, 3, v2
	s_mov_b32 s26, exec_lo
	v_cmpx_gt_u32_e32 8, v2
; %bb.220:                              ;   in Loop: Header=BB239_13 Depth=1
	s_delay_alu instid0(VALU_DEP_3) | instskip(NEXT) | instid1(VALU_DEP_1)
	v_clz_i32_u32_e32 v1, v28
	v_min_u32_e32 v1, 32, v1
	s_delay_alu instid0(VALU_DEP_1) | instskip(SKIP_1) | instid1(VALU_DEP_2)
	v_subrev_nc_u32_e32 v2, 28, v1
	v_sub_nc_u32_e32 v1, 29, v1
	v_lshlrev_b64 v[2:3], v2, v[28:29]
	s_delay_alu instid0(VALU_DEP_1)
	v_and_b32_e32 v28, 7, v2
; %bb.221:                              ;   in Loop: Header=BB239_13 Depth=1
	s_or_b32 exec_lo, exec_lo, s26
	v_lshlrev_b32_e32 v0, 16, v0
	s_delay_alu instid0(VALU_DEP_2) | instskip(SKIP_1) | instid1(VALU_DEP_3)
	v_lshlrev_b32_e32 v2, 20, v28
	v_lshl_add_u32 v1, v1, 23, 0x3c000000
	v_and_b32_e32 v0, 0x80000000, v0
	s_delay_alu instid0(VALU_DEP_1)
	v_or3_b32 v1, v2, v0, v1
	v_mov_b32_e32 v0, v29
	scratch_store_b64 off, v[0:1], s32 offset:524 ; 8-byte Folded Spill
.LBB239_222:                            ;   in Loop: Header=BB239_13 Depth=1
	s_or_b32 exec_lo, exec_lo, s18
.LBB239_223:                            ;   in Loop: Header=BB239_13 Depth=1
	s_delay_alu instid0(SALU_CYCLE_1)
	s_or_b32 exec_lo, exec_lo, s25
.LBB239_224:                            ;   in Loop: Header=BB239_13 Depth=1
	s_delay_alu instid0(SALU_CYCLE_1)
	s_or_b32 exec_lo, exec_lo, s24
	flat_load_u16 v0, v[162:163] offset:772
	v_mov_b32_e32 v2, 0
	v_mov_b32_e32 v3, 0
	s_mov_b32 s18, exec_lo
	s_waitcnt vmcnt(0) lgkmcnt(0)
	v_and_b32_e32 v1, 0xff, v0
	v_and_b32_e32 v0, 0xffff, v0
	s_clause 0x1
	scratch_store_b64 off, v[2:3], s32 offset:540
	scratch_store_b64 off, v[2:3], s32 offset:548
	v_cmpx_ne_u16_e32 0, v1
	s_cbranch_execz .LBB239_232
; %bb.225:                              ;   in Loop: Header=BB239_13 Depth=1
	v_bfrev_b32_e32 v2, 1
	v_and_b32_e32 v1, 0xff, v0
	v_mov_b32_e32 v3, 0
	s_mov_b32 s24, exec_lo
	scratch_store_b64 off, v[2:3], s32 offset:548 ; 8-byte Folded Spill
	v_cmpx_ne_u16_e32 0x80, v1
	s_cbranch_execz .LBB239_231
; %bb.226:                              ;   in Loop: Header=BB239_13 Depth=1
	v_mov_b32_e32 v3, 0x7f800001
	v_and_b32_e32 v2, 0x7f, v0
	v_mov_b32_e32 v4, 0
	s_mov_b32 s25, exec_lo
	scratch_store_b64 off, v[3:4], s32 offset:548 ; 8-byte Folded Spill
	v_cmpx_ne_u32_e32 0x7f, v2
	s_cbranch_execz .LBB239_230
; %bb.227:                              ;   in Loop: Header=BB239_13 Depth=1
	v_and_b32_e32 v28, 7, v0
	v_lshrrev_b32_e32 v1, 3, v2
	s_mov_b32 s26, exec_lo
	v_cmpx_gt_u32_e32 8, v2
; %bb.228:                              ;   in Loop: Header=BB239_13 Depth=1
	s_delay_alu instid0(VALU_DEP_3) | instskip(NEXT) | instid1(VALU_DEP_1)
	v_clz_i32_u32_e32 v1, v28
	v_min_u32_e32 v1, 32, v1
	s_delay_alu instid0(VALU_DEP_1) | instskip(SKIP_1) | instid1(VALU_DEP_2)
	v_subrev_nc_u32_e32 v2, 28, v1
	v_sub_nc_u32_e32 v1, 29, v1
	v_lshlrev_b64 v[2:3], v2, v[28:29]
	s_delay_alu instid0(VALU_DEP_1)
	v_and_b32_e32 v28, 7, v2
; %bb.229:                              ;   in Loop: Header=BB239_13 Depth=1
	s_or_b32 exec_lo, exec_lo, s26
	v_lshlrev_b32_e32 v2, 24, v0
	s_delay_alu instid0(VALU_DEP_2) | instskip(SKIP_1) | instid1(VALU_DEP_3)
	v_lshlrev_b32_e32 v3, 20, v28
	v_lshl_add_u32 v1, v1, 23, 0x3c000000
	v_and_b32_e32 v2, 0x80000000, v2
	s_delay_alu instid0(VALU_DEP_1)
	v_or3_b32 v28, v3, v2, v1
	scratch_store_b64 off, v[28:29], s32 offset:548 ; 8-byte Folded Spill
.LBB239_230:                            ;   in Loop: Header=BB239_13 Depth=1
	s_or_b32 exec_lo, exec_lo, s25
.LBB239_231:                            ;   in Loop: Header=BB239_13 Depth=1
	s_delay_alu instid0(SALU_CYCLE_1)
	s_or_b32 exec_lo, exec_lo, s24
.LBB239_232:                            ;   in Loop: Header=BB239_13 Depth=1
	s_delay_alu instid0(SALU_CYCLE_1) | instskip(SKIP_2) | instid1(VALU_DEP_1)
	s_or_b32 exec_lo, exec_lo, s18
	v_lshrrev_b16 v1, 8, v0
	s_mov_b32 s24, exec_lo
	v_cmpx_ne_u16_e32 0, v1
	s_cbranch_execz .LBB239_240
; %bb.233:                              ;   in Loop: Header=BB239_13 Depth=1
	v_dual_mov_b32 v2, s16 :: v_dual_mov_b32 v3, s17
	s_mov_b32 s25, exec_lo
	scratch_store_b64 off, v[2:3], s32 offset:540 ; 8-byte Folded Spill
	v_cmpx_ne_u16_e32 0x80, v1
	s_cbranch_execz .LBB239_239
; %bb.234:                              ;   in Loop: Header=BB239_13 Depth=1
	s_mov_b32 s18, s16
	v_and_b32_e32 v1, 0xffff, v1
	v_dual_mov_b32 v3, s18 :: v_dual_mov_b32 v4, s19
	s_mov_b32 s18, exec_lo
	s_delay_alu instid0(VALU_DEP_2)
	v_and_b32_e32 v2, 0x7f, v1
	scratch_store_b64 off, v[3:4], s32 offset:540 ; 8-byte Folded Spill
	v_cmpx_ne_u32_e32 0x7f, v2
	s_cbranch_execz .LBB239_238
; %bb.235:                              ;   in Loop: Header=BB239_13 Depth=1
	v_and_b32_e32 v28, 7, v1
	v_lshrrev_b32_e32 v1, 3, v2
	s_mov_b32 s26, exec_lo
	v_cmpx_gt_u32_e32 8, v2
; %bb.236:                              ;   in Loop: Header=BB239_13 Depth=1
	s_delay_alu instid0(VALU_DEP_3) | instskip(NEXT) | instid1(VALU_DEP_1)
	v_clz_i32_u32_e32 v1, v28
	v_min_u32_e32 v1, 32, v1
	s_delay_alu instid0(VALU_DEP_1) | instskip(SKIP_1) | instid1(VALU_DEP_2)
	v_subrev_nc_u32_e32 v2, 28, v1
	v_sub_nc_u32_e32 v1, 29, v1
	v_lshlrev_b64 v[2:3], v2, v[28:29]
	s_delay_alu instid0(VALU_DEP_1)
	v_and_b32_e32 v28, 7, v2
; %bb.237:                              ;   in Loop: Header=BB239_13 Depth=1
	s_or_b32 exec_lo, exec_lo, s26
	v_lshlrev_b32_e32 v0, 16, v0
	s_delay_alu instid0(VALU_DEP_2) | instskip(SKIP_1) | instid1(VALU_DEP_3)
	v_lshlrev_b32_e32 v2, 20, v28
	v_lshl_add_u32 v1, v1, 23, 0x3c000000
	v_and_b32_e32 v0, 0x80000000, v0
	s_delay_alu instid0(VALU_DEP_1)
	v_or3_b32 v1, v2, v0, v1
	v_mov_b32_e32 v0, v29
	scratch_store_b64 off, v[0:1], s32 offset:540 ; 8-byte Folded Spill
.LBB239_238:                            ;   in Loop: Header=BB239_13 Depth=1
	s_or_b32 exec_lo, exec_lo, s18
.LBB239_239:                            ;   in Loop: Header=BB239_13 Depth=1
	s_delay_alu instid0(SALU_CYCLE_1)
	s_or_b32 exec_lo, exec_lo, s25
.LBB239_240:                            ;   in Loop: Header=BB239_13 Depth=1
	s_delay_alu instid0(SALU_CYCLE_1) | instskip(SKIP_1) | instid1(VALU_DEP_1)
	s_or_b32 exec_lo, exec_lo, s24
	v_add_co_u32 v0, s2, 0x300, v162
	v_add_co_ci_u32_e64 v1, s2, 0, v163, s2
	s_mov_b32 s18, exec_lo
	flat_load_u16 v2, v[0:1] offset:8
	v_mov_b32_e32 v92, 0
	v_mov_b32_e32 v93, 0
	s_waitcnt vmcnt(0) lgkmcnt(0)
	v_and_b32_e32 v3, 0xff, v2
	v_and_b32_e32 v2, 0xffff, v2
	scratch_store_b64 off, v[92:93], s32 offset:556 ; 8-byte Folded Spill
	v_cmpx_ne_u16_e32 0, v3
	s_cbranch_execz .LBB239_248
; %bb.241:                              ;   in Loop: Header=BB239_13 Depth=1
	v_bfrev_b32_e32 v4, 1
	v_and_b32_e32 v3, 0xff, v2
	v_mov_b32_e32 v5, 0
	s_mov_b32 s24, exec_lo
	scratch_store_b64 off, v[4:5], s32 offset:556 ; 8-byte Folded Spill
	v_cmpx_ne_u16_e32 0x80, v3
	s_cbranch_execz .LBB239_247
; %bb.242:                              ;   in Loop: Header=BB239_13 Depth=1
	v_mov_b32_e32 v5, 0x7f800001
	v_and_b32_e32 v4, 0x7f, v2
	v_mov_b32_e32 v6, 0
	s_mov_b32 s25, exec_lo
	scratch_store_b64 off, v[5:6], s32 offset:556 ; 8-byte Folded Spill
	v_cmpx_ne_u32_e32 0x7f, v4
	s_cbranch_execz .LBB239_246
; %bb.243:                              ;   in Loop: Header=BB239_13 Depth=1
	v_and_b32_e32 v28, 7, v2
	v_lshrrev_b32_e32 v3, 3, v4
	s_mov_b32 s26, exec_lo
	v_cmpx_gt_u32_e32 8, v4
; %bb.244:                              ;   in Loop: Header=BB239_13 Depth=1
	s_delay_alu instid0(VALU_DEP_3) | instskip(NEXT) | instid1(VALU_DEP_1)
	v_clz_i32_u32_e32 v3, v28
	v_min_u32_e32 v3, 32, v3
	s_delay_alu instid0(VALU_DEP_1) | instskip(SKIP_1) | instid1(VALU_DEP_2)
	v_subrev_nc_u32_e32 v4, 28, v3
	v_sub_nc_u32_e32 v3, 29, v3
	v_lshlrev_b64 v[4:5], v4, v[28:29]
	s_delay_alu instid0(VALU_DEP_1)
	v_and_b32_e32 v28, 7, v4
; %bb.245:                              ;   in Loop: Header=BB239_13 Depth=1
	s_or_b32 exec_lo, exec_lo, s26
	v_lshlrev_b32_e32 v4, 24, v2
	s_delay_alu instid0(VALU_DEP_2) | instskip(SKIP_1) | instid1(VALU_DEP_3)
	v_lshlrev_b32_e32 v5, 20, v28
	v_lshl_add_u32 v3, v3, 23, 0x3c000000
	v_and_b32_e32 v4, 0x80000000, v4
	s_delay_alu instid0(VALU_DEP_1)
	v_or3_b32 v28, v5, v4, v3
	scratch_store_b64 off, v[28:29], s32 offset:556 ; 8-byte Folded Spill
.LBB239_246:                            ;   in Loop: Header=BB239_13 Depth=1
	s_or_b32 exec_lo, exec_lo, s25
.LBB239_247:                            ;   in Loop: Header=BB239_13 Depth=1
	s_delay_alu instid0(SALU_CYCLE_1)
	s_or_b32 exec_lo, exec_lo, s24
.LBB239_248:                            ;   in Loop: Header=BB239_13 Depth=1
	s_delay_alu instid0(SALU_CYCLE_1) | instskip(SKIP_2) | instid1(VALU_DEP_1)
	s_or_b32 exec_lo, exec_lo, s18
	v_lshrrev_b16 v3, 8, v2
	s_mov_b32 s24, exec_lo
	v_cmpx_ne_u16_e32 0, v3
	s_cbranch_execz .LBB239_256
; %bb.249:                              ;   in Loop: Header=BB239_13 Depth=1
	v_dual_mov_b32 v93, s17 :: v_dual_mov_b32 v92, s16
	s_mov_b32 s25, exec_lo
	v_cmpx_ne_u16_e32 0x80, v3
	s_cbranch_execz .LBB239_255
; %bb.250:                              ;   in Loop: Header=BB239_13 Depth=1
	s_mov_b32 s18, s16
	v_and_b32_e32 v3, 0xffff, v3
	v_dual_mov_b32 v93, s19 :: v_dual_mov_b32 v92, s18
	s_mov_b32 s18, exec_lo
	s_delay_alu instid0(VALU_DEP_2) | instskip(NEXT) | instid1(VALU_DEP_1)
	v_and_b32_e32 v4, 0x7f, v3
	v_cmpx_ne_u32_e32 0x7f, v4
	s_cbranch_execz .LBB239_254
; %bb.251:                              ;   in Loop: Header=BB239_13 Depth=1
	v_and_b32_e32 v28, 7, v3
	v_lshrrev_b32_e32 v3, 3, v4
	s_mov_b32 s26, exec_lo
	v_cmpx_gt_u32_e32 8, v4
; %bb.252:                              ;   in Loop: Header=BB239_13 Depth=1
	s_delay_alu instid0(VALU_DEP_3) | instskip(NEXT) | instid1(VALU_DEP_1)
	v_clz_i32_u32_e32 v3, v28
	v_min_u32_e32 v3, 32, v3
	s_delay_alu instid0(VALU_DEP_1) | instskip(SKIP_1) | instid1(VALU_DEP_2)
	v_subrev_nc_u32_e32 v4, 28, v3
	v_sub_nc_u32_e32 v3, 29, v3
	v_lshlrev_b64 v[4:5], v4, v[28:29]
	s_delay_alu instid0(VALU_DEP_1)
	v_and_b32_e32 v28, 7, v4
; %bb.253:                              ;   in Loop: Header=BB239_13 Depth=1
	s_or_b32 exec_lo, exec_lo, s26
	v_lshlrev_b32_e32 v2, 16, v2
	s_delay_alu instid0(VALU_DEP_2) | instskip(SKIP_2) | instid1(VALU_DEP_4)
	v_lshlrev_b32_e32 v4, 20, v28
	v_lshl_add_u32 v3, v3, 23, 0x3c000000
	v_mov_b32_e32 v92, v29
	v_and_b32_e32 v2, 0x80000000, v2
	s_delay_alu instid0(VALU_DEP_1)
	v_or3_b32 v93, v4, v2, v3
.LBB239_254:                            ;   in Loop: Header=BB239_13 Depth=1
	s_or_b32 exec_lo, exec_lo, s18
.LBB239_255:                            ;   in Loop: Header=BB239_13 Depth=1
	s_delay_alu instid0(SALU_CYCLE_1)
	s_or_b32 exec_lo, exec_lo, s25
.LBB239_256:                            ;   in Loop: Header=BB239_13 Depth=1
	s_delay_alu instid0(SALU_CYCLE_1)
	s_or_b32 exec_lo, exec_lo, s24
	flat_load_u16 v0, v[0:1] offset:12
	v_mov_b32_e32 v104, 0
	v_mov_b32_e32 v105, 0
	s_mov_b32 s18, exec_lo
	s_waitcnt vmcnt(0) lgkmcnt(0)
	v_and_b32_e32 v1, 0xff, v0
	v_and_b32_e32 v0, 0xffff, v0
	scratch_store_b64 off, v[104:105], s32 offset:564 ; 8-byte Folded Spill
	v_cmpx_ne_u16_e32 0, v1
	s_cbranch_execz .LBB239_264
; %bb.257:                              ;   in Loop: Header=BB239_13 Depth=1
	v_bfrev_b32_e32 v2, 1
	v_and_b32_e32 v1, 0xff, v0
	v_mov_b32_e32 v3, 0
	s_mov_b32 s24, exec_lo
	scratch_store_b64 off, v[2:3], s32 offset:564 ; 8-byte Folded Spill
	v_cmpx_ne_u16_e32 0x80, v1
	s_cbranch_execz .LBB239_263
; %bb.258:                              ;   in Loop: Header=BB239_13 Depth=1
	v_mov_b32_e32 v3, 0x7f800001
	v_and_b32_e32 v2, 0x7f, v0
	v_mov_b32_e32 v4, 0
	s_mov_b32 s25, exec_lo
	scratch_store_b64 off, v[3:4], s32 offset:564 ; 8-byte Folded Spill
	v_cmpx_ne_u32_e32 0x7f, v2
	s_cbranch_execz .LBB239_262
; %bb.259:                              ;   in Loop: Header=BB239_13 Depth=1
	v_and_b32_e32 v28, 7, v0
	v_lshrrev_b32_e32 v1, 3, v2
	s_mov_b32 s26, exec_lo
	v_cmpx_gt_u32_e32 8, v2
; %bb.260:                              ;   in Loop: Header=BB239_13 Depth=1
	s_delay_alu instid0(VALU_DEP_3) | instskip(NEXT) | instid1(VALU_DEP_1)
	v_clz_i32_u32_e32 v1, v28
	v_min_u32_e32 v1, 32, v1
	s_delay_alu instid0(VALU_DEP_1) | instskip(SKIP_1) | instid1(VALU_DEP_2)
	v_subrev_nc_u32_e32 v2, 28, v1
	v_sub_nc_u32_e32 v1, 29, v1
	v_lshlrev_b64 v[2:3], v2, v[28:29]
	s_delay_alu instid0(VALU_DEP_1)
	v_and_b32_e32 v28, 7, v2
; %bb.261:                              ;   in Loop: Header=BB239_13 Depth=1
	s_or_b32 exec_lo, exec_lo, s26
	v_lshlrev_b32_e32 v2, 24, v0
	s_delay_alu instid0(VALU_DEP_2) | instskip(SKIP_1) | instid1(VALU_DEP_3)
	v_lshlrev_b32_e32 v3, 20, v28
	v_lshl_add_u32 v1, v1, 23, 0x3c000000
	v_and_b32_e32 v2, 0x80000000, v2
	s_delay_alu instid0(VALU_DEP_1)
	v_or3_b32 v28, v3, v2, v1
	scratch_store_b64 off, v[28:29], s32 offset:564 ; 8-byte Folded Spill
.LBB239_262:                            ;   in Loop: Header=BB239_13 Depth=1
	s_or_b32 exec_lo, exec_lo, s25
.LBB239_263:                            ;   in Loop: Header=BB239_13 Depth=1
	s_delay_alu instid0(SALU_CYCLE_1)
	s_or_b32 exec_lo, exec_lo, s24
.LBB239_264:                            ;   in Loop: Header=BB239_13 Depth=1
	s_delay_alu instid0(SALU_CYCLE_1) | instskip(SKIP_2) | instid1(VALU_DEP_1)
	s_or_b32 exec_lo, exec_lo, s18
	v_lshrrev_b16 v1, 8, v0
	s_mov_b32 s24, exec_lo
	v_cmpx_ne_u16_e32 0, v1
	s_cbranch_execz .LBB239_272
; %bb.265:                              ;   in Loop: Header=BB239_13 Depth=1
	v_dual_mov_b32 v105, s17 :: v_dual_mov_b32 v104, s16
	s_mov_b32 s25, exec_lo
	v_cmpx_ne_u16_e32 0x80, v1
	s_cbranch_execz .LBB239_271
; %bb.266:                              ;   in Loop: Header=BB239_13 Depth=1
	s_mov_b32 s18, s16
	v_and_b32_e32 v1, 0xffff, v1
	v_dual_mov_b32 v105, s19 :: v_dual_mov_b32 v104, s18
	s_mov_b32 s18, exec_lo
	s_delay_alu instid0(VALU_DEP_2) | instskip(NEXT) | instid1(VALU_DEP_1)
	v_and_b32_e32 v2, 0x7f, v1
	v_cmpx_ne_u32_e32 0x7f, v2
	s_cbranch_execz .LBB239_270
; %bb.267:                              ;   in Loop: Header=BB239_13 Depth=1
	v_and_b32_e32 v28, 7, v1
	v_lshrrev_b32_e32 v1, 3, v2
	s_mov_b32 s26, exec_lo
	v_cmpx_gt_u32_e32 8, v2
; %bb.268:                              ;   in Loop: Header=BB239_13 Depth=1
	s_delay_alu instid0(VALU_DEP_3) | instskip(NEXT) | instid1(VALU_DEP_1)
	v_clz_i32_u32_e32 v1, v28
	v_min_u32_e32 v1, 32, v1
	s_delay_alu instid0(VALU_DEP_1) | instskip(SKIP_1) | instid1(VALU_DEP_2)
	v_subrev_nc_u32_e32 v2, 28, v1
	v_sub_nc_u32_e32 v1, 29, v1
	v_lshlrev_b64 v[2:3], v2, v[28:29]
	s_delay_alu instid0(VALU_DEP_1)
	v_and_b32_e32 v28, 7, v2
; %bb.269:                              ;   in Loop: Header=BB239_13 Depth=1
	s_or_b32 exec_lo, exec_lo, s26
	v_lshlrev_b32_e32 v0, 16, v0
	s_delay_alu instid0(VALU_DEP_2) | instskip(SKIP_2) | instid1(VALU_DEP_4)
	v_lshlrev_b32_e32 v2, 20, v28
	v_lshl_add_u32 v1, v1, 23, 0x3c000000
	v_mov_b32_e32 v104, v29
	v_and_b32_e32 v0, 0x80000000, v0
	s_delay_alu instid0(VALU_DEP_1)
	v_or3_b32 v105, v2, v0, v1
.LBB239_270:                            ;   in Loop: Header=BB239_13 Depth=1
	s_or_b32 exec_lo, exec_lo, s18
.LBB239_271:                            ;   in Loop: Header=BB239_13 Depth=1
	s_delay_alu instid0(SALU_CYCLE_1)
	s_or_b32 exec_lo, exec_lo, s25
.LBB239_272:                            ;   in Loop: Header=BB239_13 Depth=1
	s_delay_alu instid0(SALU_CYCLE_1)
	s_or_b32 exec_lo, exec_lo, s24
	flat_load_u16 v0, v[162:163] offset:1024
	v_mov_b32_e32 v108, 0
	v_mov_b32_e32 v109, 0
	s_mov_b32 s18, exec_lo
	s_waitcnt vmcnt(0) lgkmcnt(0)
	v_and_b32_e32 v1, 0xff, v0
	v_and_b32_e32 v0, 0xffff, v0
	scratch_store_b64 off, v[108:109], s32 offset:572 ; 8-byte Folded Spill
	v_cmpx_ne_u16_e32 0, v1
	s_cbranch_execz .LBB239_280
; %bb.273:                              ;   in Loop: Header=BB239_13 Depth=1
	v_bfrev_b32_e32 v2, 1
	v_and_b32_e32 v1, 0xff, v0
	v_mov_b32_e32 v3, 0
	s_mov_b32 s24, exec_lo
	scratch_store_b64 off, v[2:3], s32 offset:572 ; 8-byte Folded Spill
	v_cmpx_ne_u16_e32 0x80, v1
	s_cbranch_execz .LBB239_279
; %bb.274:                              ;   in Loop: Header=BB239_13 Depth=1
	v_mov_b32_e32 v3, 0x7f800001
	v_and_b32_e32 v2, 0x7f, v0
	v_mov_b32_e32 v4, 0
	s_mov_b32 s25, exec_lo
	scratch_store_b64 off, v[3:4], s32 offset:572 ; 8-byte Folded Spill
	v_cmpx_ne_u32_e32 0x7f, v2
	s_cbranch_execz .LBB239_278
; %bb.275:                              ;   in Loop: Header=BB239_13 Depth=1
	v_and_b32_e32 v28, 7, v0
	v_lshrrev_b32_e32 v1, 3, v2
	s_mov_b32 s26, exec_lo
	v_cmpx_gt_u32_e32 8, v2
; %bb.276:                              ;   in Loop: Header=BB239_13 Depth=1
	s_delay_alu instid0(VALU_DEP_3) | instskip(NEXT) | instid1(VALU_DEP_1)
	v_clz_i32_u32_e32 v1, v28
	v_min_u32_e32 v1, 32, v1
	s_delay_alu instid0(VALU_DEP_1) | instskip(SKIP_1) | instid1(VALU_DEP_2)
	v_subrev_nc_u32_e32 v2, 28, v1
	v_sub_nc_u32_e32 v1, 29, v1
	v_lshlrev_b64 v[2:3], v2, v[28:29]
	s_delay_alu instid0(VALU_DEP_1)
	v_and_b32_e32 v28, 7, v2
; %bb.277:                              ;   in Loop: Header=BB239_13 Depth=1
	s_or_b32 exec_lo, exec_lo, s26
	v_lshlrev_b32_e32 v2, 24, v0
	s_delay_alu instid0(VALU_DEP_2) | instskip(SKIP_1) | instid1(VALU_DEP_3)
	v_lshlrev_b32_e32 v3, 20, v28
	v_lshl_add_u32 v1, v1, 23, 0x3c000000
	v_and_b32_e32 v2, 0x80000000, v2
	s_delay_alu instid0(VALU_DEP_1)
	v_or3_b32 v28, v3, v2, v1
	scratch_store_b64 off, v[28:29], s32 offset:572 ; 8-byte Folded Spill
.LBB239_278:                            ;   in Loop: Header=BB239_13 Depth=1
	s_or_b32 exec_lo, exec_lo, s25
.LBB239_279:                            ;   in Loop: Header=BB239_13 Depth=1
	s_delay_alu instid0(SALU_CYCLE_1)
	s_or_b32 exec_lo, exec_lo, s24
.LBB239_280:                            ;   in Loop: Header=BB239_13 Depth=1
	s_delay_alu instid0(SALU_CYCLE_1) | instskip(SKIP_2) | instid1(VALU_DEP_1)
	s_or_b32 exec_lo, exec_lo, s18
	v_lshrrev_b16 v1, 8, v0
	s_mov_b32 s24, exec_lo
	v_cmpx_ne_u16_e32 0, v1
	s_cbranch_execz .LBB239_288
; %bb.281:                              ;   in Loop: Header=BB239_13 Depth=1
	v_dual_mov_b32 v109, s17 :: v_dual_mov_b32 v108, s16
	s_mov_b32 s25, exec_lo
	v_cmpx_ne_u16_e32 0x80, v1
	s_cbranch_execz .LBB239_287
; %bb.282:                              ;   in Loop: Header=BB239_13 Depth=1
	s_mov_b32 s18, s16
	v_and_b32_e32 v1, 0xffff, v1
	v_dual_mov_b32 v109, s19 :: v_dual_mov_b32 v108, s18
	s_mov_b32 s18, exec_lo
	s_delay_alu instid0(VALU_DEP_2) | instskip(NEXT) | instid1(VALU_DEP_1)
	v_and_b32_e32 v2, 0x7f, v1
	v_cmpx_ne_u32_e32 0x7f, v2
	s_cbranch_execz .LBB239_286
; %bb.283:                              ;   in Loop: Header=BB239_13 Depth=1
	v_and_b32_e32 v28, 7, v1
	v_lshrrev_b32_e32 v1, 3, v2
	s_mov_b32 s26, exec_lo
	v_cmpx_gt_u32_e32 8, v2
; %bb.284:                              ;   in Loop: Header=BB239_13 Depth=1
	s_delay_alu instid0(VALU_DEP_3) | instskip(NEXT) | instid1(VALU_DEP_1)
	v_clz_i32_u32_e32 v1, v28
	v_min_u32_e32 v1, 32, v1
	s_delay_alu instid0(VALU_DEP_1) | instskip(SKIP_1) | instid1(VALU_DEP_2)
	v_subrev_nc_u32_e32 v2, 28, v1
	v_sub_nc_u32_e32 v1, 29, v1
	v_lshlrev_b64 v[2:3], v2, v[28:29]
	s_delay_alu instid0(VALU_DEP_1)
	v_and_b32_e32 v28, 7, v2
; %bb.285:                              ;   in Loop: Header=BB239_13 Depth=1
	s_or_b32 exec_lo, exec_lo, s26
	v_lshlrev_b32_e32 v0, 16, v0
	s_delay_alu instid0(VALU_DEP_2) | instskip(SKIP_2) | instid1(VALU_DEP_4)
	v_lshlrev_b32_e32 v2, 20, v28
	v_lshl_add_u32 v1, v1, 23, 0x3c000000
	v_mov_b32_e32 v108, v29
	v_and_b32_e32 v0, 0x80000000, v0
	s_delay_alu instid0(VALU_DEP_1)
	v_or3_b32 v109, v2, v0, v1
.LBB239_286:                            ;   in Loop: Header=BB239_13 Depth=1
	s_or_b32 exec_lo, exec_lo, s18
.LBB239_287:                            ;   in Loop: Header=BB239_13 Depth=1
	s_delay_alu instid0(SALU_CYCLE_1)
	s_or_b32 exec_lo, exec_lo, s25
.LBB239_288:                            ;   in Loop: Header=BB239_13 Depth=1
	s_delay_alu instid0(SALU_CYCLE_1)
	s_or_b32 exec_lo, exec_lo, s24
	flat_load_u16 v0, v[162:163] offset:1028
	v_mov_b32_e32 v120, 0
	v_mov_b32_e32 v121, 0
	s_mov_b32 s18, exec_lo
	s_waitcnt vmcnt(0) lgkmcnt(0)
	v_and_b32_e32 v1, 0xff, v0
	v_and_b32_e32 v0, 0xffff, v0
	scratch_store_b64 off, v[120:121], s32 offset:580 ; 8-byte Folded Spill
	v_cmpx_ne_u16_e32 0, v1
	s_cbranch_execz .LBB239_296
; %bb.289:                              ;   in Loop: Header=BB239_13 Depth=1
	v_bfrev_b32_e32 v2, 1
	v_and_b32_e32 v1, 0xff, v0
	v_mov_b32_e32 v3, 0
	s_mov_b32 s24, exec_lo
	scratch_store_b64 off, v[2:3], s32 offset:580 ; 8-byte Folded Spill
	v_cmpx_ne_u16_e32 0x80, v1
	s_cbranch_execz .LBB239_295
; %bb.290:                              ;   in Loop: Header=BB239_13 Depth=1
	v_mov_b32_e32 v3, 0x7f800001
	v_and_b32_e32 v2, 0x7f, v0
	v_mov_b32_e32 v4, 0
	s_mov_b32 s25, exec_lo
	scratch_store_b64 off, v[3:4], s32 offset:580 ; 8-byte Folded Spill
	v_cmpx_ne_u32_e32 0x7f, v2
	s_cbranch_execz .LBB239_294
; %bb.291:                              ;   in Loop: Header=BB239_13 Depth=1
	v_and_b32_e32 v28, 7, v0
	v_lshrrev_b32_e32 v1, 3, v2
	s_mov_b32 s26, exec_lo
	v_cmpx_gt_u32_e32 8, v2
; %bb.292:                              ;   in Loop: Header=BB239_13 Depth=1
	s_delay_alu instid0(VALU_DEP_3) | instskip(NEXT) | instid1(VALU_DEP_1)
	v_clz_i32_u32_e32 v1, v28
	v_min_u32_e32 v1, 32, v1
	s_delay_alu instid0(VALU_DEP_1) | instskip(SKIP_1) | instid1(VALU_DEP_2)
	v_subrev_nc_u32_e32 v2, 28, v1
	v_sub_nc_u32_e32 v1, 29, v1
	v_lshlrev_b64 v[2:3], v2, v[28:29]
	s_delay_alu instid0(VALU_DEP_1)
	v_and_b32_e32 v28, 7, v2
; %bb.293:                              ;   in Loop: Header=BB239_13 Depth=1
	s_or_b32 exec_lo, exec_lo, s26
	v_lshlrev_b32_e32 v2, 24, v0
	s_delay_alu instid0(VALU_DEP_2) | instskip(SKIP_1) | instid1(VALU_DEP_3)
	v_lshlrev_b32_e32 v3, 20, v28
	v_lshl_add_u32 v1, v1, 23, 0x3c000000
	v_and_b32_e32 v2, 0x80000000, v2
	s_delay_alu instid0(VALU_DEP_1)
	v_or3_b32 v28, v3, v2, v1
	scratch_store_b64 off, v[28:29], s32 offset:580 ; 8-byte Folded Spill
.LBB239_294:                            ;   in Loop: Header=BB239_13 Depth=1
	s_or_b32 exec_lo, exec_lo, s25
.LBB239_295:                            ;   in Loop: Header=BB239_13 Depth=1
	s_delay_alu instid0(SALU_CYCLE_1)
	s_or_b32 exec_lo, exec_lo, s24
.LBB239_296:                            ;   in Loop: Header=BB239_13 Depth=1
	s_delay_alu instid0(SALU_CYCLE_1) | instskip(SKIP_2) | instid1(VALU_DEP_1)
	s_or_b32 exec_lo, exec_lo, s18
	v_lshrrev_b16 v1, 8, v0
	s_mov_b32 s24, exec_lo
	v_cmpx_ne_u16_e32 0, v1
	s_cbranch_execz .LBB239_304
; %bb.297:                              ;   in Loop: Header=BB239_13 Depth=1
	v_dual_mov_b32 v121, s17 :: v_dual_mov_b32 v120, s16
	s_mov_b32 s25, exec_lo
	v_cmpx_ne_u16_e32 0x80, v1
	s_cbranch_execz .LBB239_303
; %bb.298:                              ;   in Loop: Header=BB239_13 Depth=1
	s_mov_b32 s18, s16
	v_and_b32_e32 v1, 0xffff, v1
	v_dual_mov_b32 v121, s19 :: v_dual_mov_b32 v120, s18
	s_mov_b32 s18, exec_lo
	s_delay_alu instid0(VALU_DEP_2) | instskip(NEXT) | instid1(VALU_DEP_1)
	v_and_b32_e32 v2, 0x7f, v1
	v_cmpx_ne_u32_e32 0x7f, v2
	s_cbranch_execz .LBB239_302
; %bb.299:                              ;   in Loop: Header=BB239_13 Depth=1
	v_and_b32_e32 v28, 7, v1
	v_lshrrev_b32_e32 v1, 3, v2
	s_mov_b32 s26, exec_lo
	v_cmpx_gt_u32_e32 8, v2
; %bb.300:                              ;   in Loop: Header=BB239_13 Depth=1
	s_delay_alu instid0(VALU_DEP_3) | instskip(NEXT) | instid1(VALU_DEP_1)
	v_clz_i32_u32_e32 v1, v28
	v_min_u32_e32 v1, 32, v1
	s_delay_alu instid0(VALU_DEP_1) | instskip(SKIP_1) | instid1(VALU_DEP_2)
	v_subrev_nc_u32_e32 v2, 28, v1
	v_sub_nc_u32_e32 v1, 29, v1
	v_lshlrev_b64 v[2:3], v2, v[28:29]
	s_delay_alu instid0(VALU_DEP_1)
	v_and_b32_e32 v28, 7, v2
; %bb.301:                              ;   in Loop: Header=BB239_13 Depth=1
	s_or_b32 exec_lo, exec_lo, s26
	v_lshlrev_b32_e32 v0, 16, v0
	s_delay_alu instid0(VALU_DEP_2) | instskip(SKIP_2) | instid1(VALU_DEP_4)
	v_lshlrev_b32_e32 v2, 20, v28
	v_lshl_add_u32 v1, v1, 23, 0x3c000000
	v_mov_b32_e32 v120, v29
	v_and_b32_e32 v0, 0x80000000, v0
	s_delay_alu instid0(VALU_DEP_1)
	v_or3_b32 v121, v2, v0, v1
.LBB239_302:                            ;   in Loop: Header=BB239_13 Depth=1
	s_or_b32 exec_lo, exec_lo, s18
.LBB239_303:                            ;   in Loop: Header=BB239_13 Depth=1
	s_delay_alu instid0(SALU_CYCLE_1)
	s_or_b32 exec_lo, exec_lo, s25
.LBB239_304:                            ;   in Loop: Header=BB239_13 Depth=1
	s_delay_alu instid0(SALU_CYCLE_1) | instskip(SKIP_1) | instid1(VALU_DEP_1)
	s_or_b32 exec_lo, exec_lo, s24
	v_add_co_u32 v0, s2, 0x400, v162
	v_add_co_ci_u32_e64 v1, s2, 0, v163, s2
	s_mov_b32 s18, exec_lo
	flat_load_u16 v2, v[0:1] offset:8
	v_mov_b32_e32 v124, 0
	v_mov_b32_e32 v125, 0
	s_waitcnt vmcnt(0) lgkmcnt(0)
	v_and_b32_e32 v3, 0xff, v2
	v_and_b32_e32 v2, 0xffff, v2
	scratch_store_b64 off, v[124:125], s32 offset:588 ; 8-byte Folded Spill
	v_cmpx_ne_u16_e32 0, v3
	s_cbranch_execz .LBB239_312
; %bb.305:                              ;   in Loop: Header=BB239_13 Depth=1
	v_bfrev_b32_e32 v4, 1
	v_and_b32_e32 v3, 0xff, v2
	v_mov_b32_e32 v5, 0
	s_mov_b32 s24, exec_lo
	scratch_store_b64 off, v[4:5], s32 offset:588 ; 8-byte Folded Spill
	v_cmpx_ne_u16_e32 0x80, v3
	s_cbranch_execz .LBB239_311
; %bb.306:                              ;   in Loop: Header=BB239_13 Depth=1
	v_mov_b32_e32 v5, 0x7f800001
	v_and_b32_e32 v4, 0x7f, v2
	v_mov_b32_e32 v6, 0
	s_mov_b32 s25, exec_lo
	scratch_store_b64 off, v[5:6], s32 offset:588 ; 8-byte Folded Spill
	v_cmpx_ne_u32_e32 0x7f, v4
	s_cbranch_execz .LBB239_310
; %bb.307:                              ;   in Loop: Header=BB239_13 Depth=1
	v_and_b32_e32 v28, 7, v2
	v_lshrrev_b32_e32 v3, 3, v4
	s_mov_b32 s26, exec_lo
	v_cmpx_gt_u32_e32 8, v4
; %bb.308:                              ;   in Loop: Header=BB239_13 Depth=1
	s_delay_alu instid0(VALU_DEP_3) | instskip(NEXT) | instid1(VALU_DEP_1)
	v_clz_i32_u32_e32 v3, v28
	v_min_u32_e32 v3, 32, v3
	s_delay_alu instid0(VALU_DEP_1) | instskip(SKIP_1) | instid1(VALU_DEP_2)
	v_subrev_nc_u32_e32 v4, 28, v3
	v_sub_nc_u32_e32 v3, 29, v3
	v_lshlrev_b64 v[4:5], v4, v[28:29]
	s_delay_alu instid0(VALU_DEP_1)
	v_and_b32_e32 v28, 7, v4
; %bb.309:                              ;   in Loop: Header=BB239_13 Depth=1
	s_or_b32 exec_lo, exec_lo, s26
	v_lshlrev_b32_e32 v4, 24, v2
	s_delay_alu instid0(VALU_DEP_2) | instskip(SKIP_1) | instid1(VALU_DEP_3)
	v_lshlrev_b32_e32 v5, 20, v28
	v_lshl_add_u32 v3, v3, 23, 0x3c000000
	v_and_b32_e32 v4, 0x80000000, v4
	s_delay_alu instid0(VALU_DEP_1)
	v_or3_b32 v28, v5, v4, v3
	scratch_store_b64 off, v[28:29], s32 offset:588 ; 8-byte Folded Spill
.LBB239_310:                            ;   in Loop: Header=BB239_13 Depth=1
	s_or_b32 exec_lo, exec_lo, s25
.LBB239_311:                            ;   in Loop: Header=BB239_13 Depth=1
	s_delay_alu instid0(SALU_CYCLE_1)
	s_or_b32 exec_lo, exec_lo, s24
.LBB239_312:                            ;   in Loop: Header=BB239_13 Depth=1
	s_delay_alu instid0(SALU_CYCLE_1) | instskip(SKIP_2) | instid1(VALU_DEP_1)
	s_or_b32 exec_lo, exec_lo, s18
	v_lshrrev_b16 v3, 8, v2
	s_mov_b32 s24, exec_lo
	v_cmpx_ne_u16_e32 0, v3
	s_cbranch_execz .LBB239_320
; %bb.313:                              ;   in Loop: Header=BB239_13 Depth=1
	v_dual_mov_b32 v125, s17 :: v_dual_mov_b32 v124, s16
	s_mov_b32 s25, exec_lo
	v_cmpx_ne_u16_e32 0x80, v3
	s_cbranch_execz .LBB239_319
; %bb.314:                              ;   in Loop: Header=BB239_13 Depth=1
	s_mov_b32 s18, s16
	v_and_b32_e32 v3, 0xffff, v3
	v_dual_mov_b32 v125, s19 :: v_dual_mov_b32 v124, s18
	s_mov_b32 s18, exec_lo
	s_delay_alu instid0(VALU_DEP_2) | instskip(NEXT) | instid1(VALU_DEP_1)
	v_and_b32_e32 v4, 0x7f, v3
	v_cmpx_ne_u32_e32 0x7f, v4
	s_cbranch_execz .LBB239_318
; %bb.315:                              ;   in Loop: Header=BB239_13 Depth=1
	v_and_b32_e32 v28, 7, v3
	v_lshrrev_b32_e32 v3, 3, v4
	s_mov_b32 s26, exec_lo
	v_cmpx_gt_u32_e32 8, v4
; %bb.316:                              ;   in Loop: Header=BB239_13 Depth=1
	s_delay_alu instid0(VALU_DEP_3) | instskip(NEXT) | instid1(VALU_DEP_1)
	v_clz_i32_u32_e32 v3, v28
	v_min_u32_e32 v3, 32, v3
	s_delay_alu instid0(VALU_DEP_1) | instskip(SKIP_1) | instid1(VALU_DEP_2)
	v_subrev_nc_u32_e32 v4, 28, v3
	v_sub_nc_u32_e32 v3, 29, v3
	v_lshlrev_b64 v[4:5], v4, v[28:29]
	s_delay_alu instid0(VALU_DEP_1)
	v_and_b32_e32 v28, 7, v4
; %bb.317:                              ;   in Loop: Header=BB239_13 Depth=1
	s_or_b32 exec_lo, exec_lo, s26
	v_lshlrev_b32_e32 v2, 16, v2
	s_delay_alu instid0(VALU_DEP_2) | instskip(SKIP_2) | instid1(VALU_DEP_4)
	v_lshlrev_b32_e32 v4, 20, v28
	v_lshl_add_u32 v3, v3, 23, 0x3c000000
	v_mov_b32_e32 v124, v29
	v_and_b32_e32 v2, 0x80000000, v2
	s_delay_alu instid0(VALU_DEP_1)
	v_or3_b32 v125, v4, v2, v3
.LBB239_318:                            ;   in Loop: Header=BB239_13 Depth=1
	s_or_b32 exec_lo, exec_lo, s18
.LBB239_319:                            ;   in Loop: Header=BB239_13 Depth=1
	s_delay_alu instid0(SALU_CYCLE_1)
	s_or_b32 exec_lo, exec_lo, s25
.LBB239_320:                            ;   in Loop: Header=BB239_13 Depth=1
	s_delay_alu instid0(SALU_CYCLE_1)
	s_or_b32 exec_lo, exec_lo, s24
	flat_load_u16 v0, v[0:1] offset:12
	v_mov_b32_e32 v136, 0
	v_mov_b32_e32 v137, 0
	s_mov_b32 s18, exec_lo
	s_waitcnt vmcnt(0) lgkmcnt(0)
	v_and_b32_e32 v1, 0xff, v0
	v_and_b32_e32 v0, 0xffff, v0
	scratch_store_b64 off, v[136:137], s32 offset:596 ; 8-byte Folded Spill
	v_cmpx_ne_u16_e32 0, v1
	s_cbranch_execz .LBB239_328
; %bb.321:                              ;   in Loop: Header=BB239_13 Depth=1
	v_bfrev_b32_e32 v2, 1
	v_and_b32_e32 v1, 0xff, v0
	v_mov_b32_e32 v3, 0
	s_mov_b32 s24, exec_lo
	scratch_store_b64 off, v[2:3], s32 offset:596 ; 8-byte Folded Spill
	v_cmpx_ne_u16_e32 0x80, v1
	s_cbranch_execz .LBB239_327
; %bb.322:                              ;   in Loop: Header=BB239_13 Depth=1
	v_mov_b32_e32 v3, 0x7f800001
	v_and_b32_e32 v2, 0x7f, v0
	v_mov_b32_e32 v4, 0
	s_mov_b32 s25, exec_lo
	scratch_store_b64 off, v[3:4], s32 offset:596 ; 8-byte Folded Spill
	v_cmpx_ne_u32_e32 0x7f, v2
	s_cbranch_execz .LBB239_326
; %bb.323:                              ;   in Loop: Header=BB239_13 Depth=1
	v_and_b32_e32 v28, 7, v0
	v_lshrrev_b32_e32 v1, 3, v2
	s_mov_b32 s26, exec_lo
	v_cmpx_gt_u32_e32 8, v2
; %bb.324:                              ;   in Loop: Header=BB239_13 Depth=1
	s_delay_alu instid0(VALU_DEP_3) | instskip(NEXT) | instid1(VALU_DEP_1)
	v_clz_i32_u32_e32 v1, v28
	v_min_u32_e32 v1, 32, v1
	s_delay_alu instid0(VALU_DEP_1) | instskip(SKIP_1) | instid1(VALU_DEP_2)
	v_subrev_nc_u32_e32 v2, 28, v1
	v_sub_nc_u32_e32 v1, 29, v1
	v_lshlrev_b64 v[2:3], v2, v[28:29]
	s_delay_alu instid0(VALU_DEP_1)
	v_and_b32_e32 v28, 7, v2
; %bb.325:                              ;   in Loop: Header=BB239_13 Depth=1
	s_or_b32 exec_lo, exec_lo, s26
	v_lshlrev_b32_e32 v2, 24, v0
	s_delay_alu instid0(VALU_DEP_2) | instskip(SKIP_1) | instid1(VALU_DEP_3)
	v_lshlrev_b32_e32 v3, 20, v28
	v_lshl_add_u32 v1, v1, 23, 0x3c000000
	v_and_b32_e32 v2, 0x80000000, v2
	s_delay_alu instid0(VALU_DEP_1)
	v_or3_b32 v28, v3, v2, v1
	scratch_store_b64 off, v[28:29], s32 offset:596 ; 8-byte Folded Spill
.LBB239_326:                            ;   in Loop: Header=BB239_13 Depth=1
	s_or_b32 exec_lo, exec_lo, s25
.LBB239_327:                            ;   in Loop: Header=BB239_13 Depth=1
	s_delay_alu instid0(SALU_CYCLE_1)
	s_or_b32 exec_lo, exec_lo, s24
.LBB239_328:                            ;   in Loop: Header=BB239_13 Depth=1
	s_delay_alu instid0(SALU_CYCLE_1) | instskip(SKIP_2) | instid1(VALU_DEP_1)
	s_or_b32 exec_lo, exec_lo, s18
	v_lshrrev_b16 v1, 8, v0
	s_mov_b32 s24, exec_lo
	v_cmpx_ne_u16_e32 0, v1
	s_cbranch_execz .LBB239_336
; %bb.329:                              ;   in Loop: Header=BB239_13 Depth=1
	v_dual_mov_b32 v137, s17 :: v_dual_mov_b32 v136, s16
	s_mov_b32 s25, exec_lo
	v_cmpx_ne_u16_e32 0x80, v1
	s_cbranch_execz .LBB239_335
; %bb.330:                              ;   in Loop: Header=BB239_13 Depth=1
	s_mov_b32 s18, s16
	v_and_b32_e32 v1, 0xffff, v1
	v_dual_mov_b32 v137, s19 :: v_dual_mov_b32 v136, s18
	s_mov_b32 s18, exec_lo
	s_delay_alu instid0(VALU_DEP_2) | instskip(NEXT) | instid1(VALU_DEP_1)
	v_and_b32_e32 v2, 0x7f, v1
	v_cmpx_ne_u32_e32 0x7f, v2
	s_cbranch_execz .LBB239_334
; %bb.331:                              ;   in Loop: Header=BB239_13 Depth=1
	v_and_b32_e32 v28, 7, v1
	v_lshrrev_b32_e32 v1, 3, v2
	s_mov_b32 s26, exec_lo
	v_cmpx_gt_u32_e32 8, v2
; %bb.332:                              ;   in Loop: Header=BB239_13 Depth=1
	s_delay_alu instid0(VALU_DEP_3) | instskip(NEXT) | instid1(VALU_DEP_1)
	v_clz_i32_u32_e32 v1, v28
	v_min_u32_e32 v1, 32, v1
	s_delay_alu instid0(VALU_DEP_1) | instskip(SKIP_1) | instid1(VALU_DEP_2)
	v_subrev_nc_u32_e32 v2, 28, v1
	v_sub_nc_u32_e32 v1, 29, v1
	v_lshlrev_b64 v[2:3], v2, v[28:29]
	s_delay_alu instid0(VALU_DEP_1)
	v_and_b32_e32 v28, 7, v2
; %bb.333:                              ;   in Loop: Header=BB239_13 Depth=1
	s_or_b32 exec_lo, exec_lo, s26
	v_lshlrev_b32_e32 v0, 16, v0
	s_delay_alu instid0(VALU_DEP_2) | instskip(SKIP_2) | instid1(VALU_DEP_4)
	v_lshlrev_b32_e32 v2, 20, v28
	v_lshl_add_u32 v1, v1, 23, 0x3c000000
	v_mov_b32_e32 v136, v29
	v_and_b32_e32 v0, 0x80000000, v0
	s_delay_alu instid0(VALU_DEP_1)
	v_or3_b32 v137, v2, v0, v1
.LBB239_334:                            ;   in Loop: Header=BB239_13 Depth=1
	s_or_b32 exec_lo, exec_lo, s18
.LBB239_335:                            ;   in Loop: Header=BB239_13 Depth=1
	s_delay_alu instid0(SALU_CYCLE_1)
	s_or_b32 exec_lo, exec_lo, s25
.LBB239_336:                            ;   in Loop: Header=BB239_13 Depth=1
	s_delay_alu instid0(SALU_CYCLE_1)
	s_or_b32 exec_lo, exec_lo, s24
	flat_load_u16 v0, v[162:163] offset:1280
	v_mov_b32_e32 v140, 0
	v_mov_b32_e32 v141, 0
	s_mov_b32 s18, exec_lo
	s_waitcnt vmcnt(0) lgkmcnt(0)
	v_and_b32_e32 v1, 0xff, v0
	v_and_b32_e32 v0, 0xffff, v0
	scratch_store_b64 off, v[140:141], s32 offset:604 ; 8-byte Folded Spill
	v_cmpx_ne_u16_e32 0, v1
	s_cbranch_execz .LBB239_344
; %bb.337:                              ;   in Loop: Header=BB239_13 Depth=1
	v_and_b32_e32 v1, 0xff, v0
	s_delay_alu instid0(VALU_DEP_1)
	v_cmp_ne_u16_e64 s2, 0x80, v1
	v_bfrev_b32_e32 v1, 1
	v_mov_b32_e32 v2, 0
	scratch_store_b64 off, v[1:2], s32 offset:604 ; 8-byte Folded Spill
	s_and_saveexec_b32 s24, s2
	s_cbranch_execz .LBB239_343
; %bb.338:                              ;   in Loop: Header=BB239_13 Depth=1
	v_mov_b32_e32 v3, 0x7f800001
	v_and_b32_e32 v2, 0x7f, v0
	v_mov_b32_e32 v4, 0
	s_mov_b32 s25, exec_lo
	scratch_store_b64 off, v[3:4], s32 offset:604 ; 8-byte Folded Spill
	v_cmpx_ne_u32_e32 0x7f, v2
	s_cbranch_execz .LBB239_342
; %bb.339:                              ;   in Loop: Header=BB239_13 Depth=1
	v_and_b32_e32 v28, 7, v0
	v_lshrrev_b32_e32 v1, 3, v2
	s_mov_b32 s26, exec_lo
	v_cmpx_gt_u32_e32 8, v2
; %bb.340:                              ;   in Loop: Header=BB239_13 Depth=1
	s_delay_alu instid0(VALU_DEP_3) | instskip(NEXT) | instid1(VALU_DEP_1)
	v_clz_i32_u32_e32 v1, v28
	v_min_u32_e32 v1, 32, v1
	s_delay_alu instid0(VALU_DEP_1) | instskip(SKIP_1) | instid1(VALU_DEP_2)
	v_subrev_nc_u32_e32 v2, 28, v1
	v_sub_nc_u32_e32 v1, 29, v1
	v_lshlrev_b64 v[2:3], v2, v[28:29]
	s_delay_alu instid0(VALU_DEP_1)
	v_and_b32_e32 v28, 7, v2
; %bb.341:                              ;   in Loop: Header=BB239_13 Depth=1
	s_or_b32 exec_lo, exec_lo, s26
	v_lshlrev_b32_e32 v2, 24, v0
	s_delay_alu instid0(VALU_DEP_2) | instskip(SKIP_1) | instid1(VALU_DEP_3)
	v_lshlrev_b32_e32 v3, 20, v28
	v_lshl_add_u32 v1, v1, 23, 0x3c000000
	v_and_b32_e32 v2, 0x80000000, v2
	s_delay_alu instid0(VALU_DEP_1)
	v_or3_b32 v28, v3, v2, v1
	scratch_store_b64 off, v[28:29], s32 offset:604 ; 8-byte Folded Spill
.LBB239_342:                            ;   in Loop: Header=BB239_13 Depth=1
	s_or_b32 exec_lo, exec_lo, s25
.LBB239_343:                            ;   in Loop: Header=BB239_13 Depth=1
	s_delay_alu instid0(SALU_CYCLE_1)
	s_or_b32 exec_lo, exec_lo, s24
.LBB239_344:                            ;   in Loop: Header=BB239_13 Depth=1
	s_delay_alu instid0(SALU_CYCLE_1) | instskip(SKIP_2) | instid1(VALU_DEP_1)
	s_or_b32 exec_lo, exec_lo, s18
	v_lshrrev_b16 v1, 8, v0
	s_mov_b32 s24, exec_lo
	v_cmpx_ne_u16_e32 0, v1
	s_cbranch_execz .LBB239_352
; %bb.345:                              ;   in Loop: Header=BB239_13 Depth=1
	v_dual_mov_b32 v141, s17 :: v_dual_mov_b32 v140, s16
	s_mov_b32 s25, exec_lo
	v_cmpx_ne_u16_e32 0x80, v1
	s_cbranch_execz .LBB239_351
; %bb.346:                              ;   in Loop: Header=BB239_13 Depth=1
	s_mov_b32 s18, s16
	v_and_b32_e32 v1, 0xffff, v1
	v_dual_mov_b32 v141, s19 :: v_dual_mov_b32 v140, s18
	s_mov_b32 s18, exec_lo
	s_delay_alu instid0(VALU_DEP_2) | instskip(NEXT) | instid1(VALU_DEP_1)
	v_and_b32_e32 v2, 0x7f, v1
	v_cmpx_ne_u32_e32 0x7f, v2
	s_cbranch_execz .LBB239_350
; %bb.347:                              ;   in Loop: Header=BB239_13 Depth=1
	v_and_b32_e32 v28, 7, v1
	v_lshrrev_b32_e32 v1, 3, v2
	s_mov_b32 s26, exec_lo
	v_cmpx_gt_u32_e32 8, v2
; %bb.348:                              ;   in Loop: Header=BB239_13 Depth=1
	s_delay_alu instid0(VALU_DEP_3) | instskip(NEXT) | instid1(VALU_DEP_1)
	v_clz_i32_u32_e32 v1, v28
	v_min_u32_e32 v1, 32, v1
	s_delay_alu instid0(VALU_DEP_1) | instskip(SKIP_1) | instid1(VALU_DEP_2)
	v_subrev_nc_u32_e32 v2, 28, v1
	v_sub_nc_u32_e32 v1, 29, v1
	v_lshlrev_b64 v[2:3], v2, v[28:29]
	s_delay_alu instid0(VALU_DEP_1)
	v_and_b32_e32 v28, 7, v2
; %bb.349:                              ;   in Loop: Header=BB239_13 Depth=1
	s_or_b32 exec_lo, exec_lo, s26
	v_lshlrev_b32_e32 v0, 16, v0
	s_delay_alu instid0(VALU_DEP_2) | instskip(SKIP_2) | instid1(VALU_DEP_4)
	v_lshlrev_b32_e32 v2, 20, v28
	v_lshl_add_u32 v1, v1, 23, 0x3c000000
	v_mov_b32_e32 v140, v29
	v_and_b32_e32 v0, 0x80000000, v0
	s_delay_alu instid0(VALU_DEP_1)
	v_or3_b32 v141, v2, v0, v1
.LBB239_350:                            ;   in Loop: Header=BB239_13 Depth=1
	s_or_b32 exec_lo, exec_lo, s18
.LBB239_351:                            ;   in Loop: Header=BB239_13 Depth=1
	s_delay_alu instid0(SALU_CYCLE_1)
	s_or_b32 exec_lo, exec_lo, s25
.LBB239_352:                            ;   in Loop: Header=BB239_13 Depth=1
	s_delay_alu instid0(SALU_CYCLE_1)
	s_or_b32 exec_lo, exec_lo, s24
	flat_load_u16 v0, v[162:163] offset:1284
	v_mov_b32_e32 v152, 0
	v_mov_b32_e32 v153, 0
	s_mov_b32 s18, exec_lo
	s_waitcnt vmcnt(0) lgkmcnt(0)
	v_and_b32_e32 v1, 0xff, v0
	v_and_b32_e32 v0, 0xffff, v0
	scratch_store_b64 off, v[152:153], s32 offset:612 ; 8-byte Folded Spill
	v_cmpx_ne_u16_e32 0, v1
	s_cbranch_execz .LBB239_360
; %bb.353:                              ;   in Loop: Header=BB239_13 Depth=1
	v_and_b32_e32 v1, 0xff, v0
	s_delay_alu instid0(VALU_DEP_1)
	v_cmp_ne_u16_e64 s2, 0x80, v1
	v_bfrev_b32_e32 v1, 1
	v_mov_b32_e32 v2, 0
	scratch_store_b64 off, v[1:2], s32 offset:612 ; 8-byte Folded Spill
	s_and_saveexec_b32 s24, s2
	s_cbranch_execz .LBB239_359
; %bb.354:                              ;   in Loop: Header=BB239_13 Depth=1
	v_mov_b32_e32 v3, 0x7f800001
	v_and_b32_e32 v2, 0x7f, v0
	v_mov_b32_e32 v4, 0
	s_mov_b32 s25, exec_lo
	scratch_store_b64 off, v[3:4], s32 offset:612 ; 8-byte Folded Spill
	v_cmpx_ne_u32_e32 0x7f, v2
	s_cbranch_execz .LBB239_358
; %bb.355:                              ;   in Loop: Header=BB239_13 Depth=1
	v_and_b32_e32 v28, 7, v0
	v_lshrrev_b32_e32 v1, 3, v2
	s_mov_b32 s26, exec_lo
	v_cmpx_gt_u32_e32 8, v2
; %bb.356:                              ;   in Loop: Header=BB239_13 Depth=1
	s_delay_alu instid0(VALU_DEP_3) | instskip(NEXT) | instid1(VALU_DEP_1)
	v_clz_i32_u32_e32 v1, v28
	v_min_u32_e32 v1, 32, v1
	s_delay_alu instid0(VALU_DEP_1) | instskip(SKIP_1) | instid1(VALU_DEP_2)
	v_subrev_nc_u32_e32 v2, 28, v1
	v_sub_nc_u32_e32 v1, 29, v1
	v_lshlrev_b64 v[2:3], v2, v[28:29]
	s_delay_alu instid0(VALU_DEP_1)
	v_and_b32_e32 v28, 7, v2
; %bb.357:                              ;   in Loop: Header=BB239_13 Depth=1
	s_or_b32 exec_lo, exec_lo, s26
	v_lshlrev_b32_e32 v2, 24, v0
	s_delay_alu instid0(VALU_DEP_2) | instskip(SKIP_1) | instid1(VALU_DEP_3)
	v_lshlrev_b32_e32 v3, 20, v28
	v_lshl_add_u32 v1, v1, 23, 0x3c000000
	v_and_b32_e32 v2, 0x80000000, v2
	s_delay_alu instid0(VALU_DEP_1)
	v_or3_b32 v28, v3, v2, v1
	scratch_store_b64 off, v[28:29], s32 offset:612 ; 8-byte Folded Spill
.LBB239_358:                            ;   in Loop: Header=BB239_13 Depth=1
	s_or_b32 exec_lo, exec_lo, s25
.LBB239_359:                            ;   in Loop: Header=BB239_13 Depth=1
	s_delay_alu instid0(SALU_CYCLE_1)
	s_or_b32 exec_lo, exec_lo, s24
.LBB239_360:                            ;   in Loop: Header=BB239_13 Depth=1
	s_delay_alu instid0(SALU_CYCLE_1) | instskip(SKIP_2) | instid1(VALU_DEP_1)
	s_or_b32 exec_lo, exec_lo, s18
	v_lshrrev_b16 v1, 8, v0
	s_mov_b32 s24, exec_lo
	v_cmpx_ne_u16_e32 0, v1
	s_cbranch_execz .LBB239_368
; %bb.361:                              ;   in Loop: Header=BB239_13 Depth=1
	v_dual_mov_b32 v153, s17 :: v_dual_mov_b32 v152, s16
	s_mov_b32 s25, exec_lo
	v_cmpx_ne_u16_e32 0x80, v1
	s_cbranch_execz .LBB239_367
; %bb.362:                              ;   in Loop: Header=BB239_13 Depth=1
	s_mov_b32 s18, s16
	v_and_b32_e32 v1, 0xffff, v1
	v_dual_mov_b32 v153, s19 :: v_dual_mov_b32 v152, s18
	s_mov_b32 s18, exec_lo
	s_delay_alu instid0(VALU_DEP_2) | instskip(NEXT) | instid1(VALU_DEP_1)
	v_and_b32_e32 v2, 0x7f, v1
	v_cmpx_ne_u32_e32 0x7f, v2
	s_cbranch_execz .LBB239_366
; %bb.363:                              ;   in Loop: Header=BB239_13 Depth=1
	v_and_b32_e32 v28, 7, v1
	v_lshrrev_b32_e32 v1, 3, v2
	s_mov_b32 s26, exec_lo
	v_cmpx_gt_u32_e32 8, v2
; %bb.364:                              ;   in Loop: Header=BB239_13 Depth=1
	s_delay_alu instid0(VALU_DEP_3) | instskip(NEXT) | instid1(VALU_DEP_1)
	v_clz_i32_u32_e32 v1, v28
	v_min_u32_e32 v1, 32, v1
	s_delay_alu instid0(VALU_DEP_1) | instskip(SKIP_1) | instid1(VALU_DEP_2)
	v_subrev_nc_u32_e32 v2, 28, v1
	v_sub_nc_u32_e32 v1, 29, v1
	v_lshlrev_b64 v[2:3], v2, v[28:29]
	s_delay_alu instid0(VALU_DEP_1)
	v_and_b32_e32 v28, 7, v2
; %bb.365:                              ;   in Loop: Header=BB239_13 Depth=1
	s_or_b32 exec_lo, exec_lo, s26
	v_lshlrev_b32_e32 v0, 16, v0
	s_delay_alu instid0(VALU_DEP_2) | instskip(SKIP_2) | instid1(VALU_DEP_4)
	v_lshlrev_b32_e32 v2, 20, v28
	v_lshl_add_u32 v1, v1, 23, 0x3c000000
	v_mov_b32_e32 v152, v29
	v_and_b32_e32 v0, 0x80000000, v0
	s_delay_alu instid0(VALU_DEP_1)
	v_or3_b32 v153, v2, v0, v1
.LBB239_366:                            ;   in Loop: Header=BB239_13 Depth=1
	s_or_b32 exec_lo, exec_lo, s18
.LBB239_367:                            ;   in Loop: Header=BB239_13 Depth=1
	s_delay_alu instid0(SALU_CYCLE_1)
	s_or_b32 exec_lo, exec_lo, s25
.LBB239_368:                            ;   in Loop: Header=BB239_13 Depth=1
	s_delay_alu instid0(SALU_CYCLE_1) | instskip(SKIP_1) | instid1(VALU_DEP_1)
	s_or_b32 exec_lo, exec_lo, s24
	v_add_co_u32 v0, s2, 0x500, v162
	v_add_co_ci_u32_e64 v1, s2, 0, v163, s2
	s_mov_b32 s18, exec_lo
	flat_load_u16 v2, v[0:1] offset:8
	v_mov_b32_e32 v156, 0
	v_mov_b32_e32 v157, 0
	s_waitcnt vmcnt(0) lgkmcnt(0)
	v_and_b32_e32 v3, 0xff, v2
	v_and_b32_e32 v2, 0xffff, v2
	scratch_store_b64 off, v[156:157], s32 offset:620 ; 8-byte Folded Spill
	v_cmpx_ne_u16_e32 0, v3
	s_cbranch_execz .LBB239_376
; %bb.369:                              ;   in Loop: Header=BB239_13 Depth=1
	v_and_b32_e32 v3, 0xff, v2
	s_delay_alu instid0(VALU_DEP_1)
	v_cmp_ne_u16_e64 s2, 0x80, v3
	v_bfrev_b32_e32 v3, 1
	v_mov_b32_e32 v4, 0
	scratch_store_b64 off, v[3:4], s32 offset:620 ; 8-byte Folded Spill
	s_and_saveexec_b32 s24, s2
	s_cbranch_execz .LBB239_375
; %bb.370:                              ;   in Loop: Header=BB239_13 Depth=1
	v_mov_b32_e32 v5, 0x7f800001
	v_and_b32_e32 v4, 0x7f, v2
	v_mov_b32_e32 v6, 0
	s_mov_b32 s25, exec_lo
	scratch_store_b64 off, v[5:6], s32 offset:620 ; 8-byte Folded Spill
	v_cmpx_ne_u32_e32 0x7f, v4
	s_cbranch_execz .LBB239_374
; %bb.371:                              ;   in Loop: Header=BB239_13 Depth=1
	v_and_b32_e32 v28, 7, v2
	v_lshrrev_b32_e32 v3, 3, v4
	s_mov_b32 s26, exec_lo
	v_cmpx_gt_u32_e32 8, v4
; %bb.372:                              ;   in Loop: Header=BB239_13 Depth=1
	s_delay_alu instid0(VALU_DEP_3) | instskip(NEXT) | instid1(VALU_DEP_1)
	v_clz_i32_u32_e32 v3, v28
	v_min_u32_e32 v3, 32, v3
	s_delay_alu instid0(VALU_DEP_1) | instskip(SKIP_1) | instid1(VALU_DEP_2)
	v_subrev_nc_u32_e32 v4, 28, v3
	v_sub_nc_u32_e32 v3, 29, v3
	v_lshlrev_b64 v[4:5], v4, v[28:29]
	s_delay_alu instid0(VALU_DEP_1)
	v_and_b32_e32 v28, 7, v4
; %bb.373:                              ;   in Loop: Header=BB239_13 Depth=1
	s_or_b32 exec_lo, exec_lo, s26
	v_lshlrev_b32_e32 v4, 24, v2
	s_delay_alu instid0(VALU_DEP_2) | instskip(SKIP_1) | instid1(VALU_DEP_3)
	v_lshlrev_b32_e32 v5, 20, v28
	v_lshl_add_u32 v3, v3, 23, 0x3c000000
	v_and_b32_e32 v4, 0x80000000, v4
	s_delay_alu instid0(VALU_DEP_1)
	v_or3_b32 v28, v5, v4, v3
	scratch_store_b64 off, v[28:29], s32 offset:620 ; 8-byte Folded Spill
.LBB239_374:                            ;   in Loop: Header=BB239_13 Depth=1
	s_or_b32 exec_lo, exec_lo, s25
.LBB239_375:                            ;   in Loop: Header=BB239_13 Depth=1
	s_delay_alu instid0(SALU_CYCLE_1)
	s_or_b32 exec_lo, exec_lo, s24
.LBB239_376:                            ;   in Loop: Header=BB239_13 Depth=1
	s_delay_alu instid0(SALU_CYCLE_1) | instskip(SKIP_2) | instid1(VALU_DEP_1)
	s_or_b32 exec_lo, exec_lo, s18
	v_lshrrev_b16 v3, 8, v2
	s_mov_b32 s24, exec_lo
	v_cmpx_ne_u16_e32 0, v3
	s_cbranch_execz .LBB239_384
; %bb.377:                              ;   in Loop: Header=BB239_13 Depth=1
	v_dual_mov_b32 v157, s17 :: v_dual_mov_b32 v156, s16
	s_mov_b32 s25, exec_lo
	v_cmpx_ne_u16_e32 0x80, v3
	s_cbranch_execz .LBB239_383
; %bb.378:                              ;   in Loop: Header=BB239_13 Depth=1
	s_mov_b32 s18, s16
	v_and_b32_e32 v3, 0xffff, v3
	v_dual_mov_b32 v157, s19 :: v_dual_mov_b32 v156, s18
	s_mov_b32 s18, exec_lo
	s_delay_alu instid0(VALU_DEP_2) | instskip(NEXT) | instid1(VALU_DEP_1)
	v_and_b32_e32 v4, 0x7f, v3
	v_cmpx_ne_u32_e32 0x7f, v4
	s_cbranch_execz .LBB239_382
; %bb.379:                              ;   in Loop: Header=BB239_13 Depth=1
	v_and_b32_e32 v28, 7, v3
	v_lshrrev_b32_e32 v3, 3, v4
	s_mov_b32 s26, exec_lo
	v_cmpx_gt_u32_e32 8, v4
; %bb.380:                              ;   in Loop: Header=BB239_13 Depth=1
	s_delay_alu instid0(VALU_DEP_3) | instskip(NEXT) | instid1(VALU_DEP_1)
	v_clz_i32_u32_e32 v3, v28
	v_min_u32_e32 v3, 32, v3
	s_delay_alu instid0(VALU_DEP_1) | instskip(SKIP_1) | instid1(VALU_DEP_2)
	v_subrev_nc_u32_e32 v4, 28, v3
	v_sub_nc_u32_e32 v3, 29, v3
	v_lshlrev_b64 v[4:5], v4, v[28:29]
	s_delay_alu instid0(VALU_DEP_1)
	v_and_b32_e32 v28, 7, v4
; %bb.381:                              ;   in Loop: Header=BB239_13 Depth=1
	s_or_b32 exec_lo, exec_lo, s26
	v_lshlrev_b32_e32 v2, 16, v2
	s_delay_alu instid0(VALU_DEP_2) | instskip(SKIP_2) | instid1(VALU_DEP_4)
	v_lshlrev_b32_e32 v4, 20, v28
	v_lshl_add_u32 v3, v3, 23, 0x3c000000
	v_mov_b32_e32 v156, v29
	v_and_b32_e32 v2, 0x80000000, v2
	s_delay_alu instid0(VALU_DEP_1)
	v_or3_b32 v157, v4, v2, v3
.LBB239_382:                            ;   in Loop: Header=BB239_13 Depth=1
	s_or_b32 exec_lo, exec_lo, s18
.LBB239_383:                            ;   in Loop: Header=BB239_13 Depth=1
	s_delay_alu instid0(SALU_CYCLE_1)
	s_or_b32 exec_lo, exec_lo, s25
.LBB239_384:                            ;   in Loop: Header=BB239_13 Depth=1
	s_delay_alu instid0(SALU_CYCLE_1)
	s_or_b32 exec_lo, exec_lo, s24
	flat_load_u16 v0, v[0:1] offset:12
	v_mov_b32_e32 v168, 0
	v_mov_b32_e32 v169, 0
	s_mov_b32 s18, exec_lo
	s_waitcnt vmcnt(0) lgkmcnt(0)
	v_and_b32_e32 v1, 0xff, v0
	v_and_b32_e32 v0, 0xffff, v0
	scratch_store_b64 off, v[168:169], s32 offset:628 ; 8-byte Folded Spill
	v_cmpx_ne_u16_e32 0, v1
	s_cbranch_execz .LBB239_392
; %bb.385:                              ;   in Loop: Header=BB239_13 Depth=1
	v_and_b32_e32 v1, 0xff, v0
	s_delay_alu instid0(VALU_DEP_1)
	v_cmp_ne_u16_e64 s2, 0x80, v1
	v_bfrev_b32_e32 v1, 1
	v_mov_b32_e32 v2, 0
	scratch_store_b64 off, v[1:2], s32 offset:628 ; 8-byte Folded Spill
	s_and_saveexec_b32 s24, s2
	s_cbranch_execz .LBB239_391
; %bb.386:                              ;   in Loop: Header=BB239_13 Depth=1
	v_mov_b32_e32 v3, 0x7f800001
	v_and_b32_e32 v2, 0x7f, v0
	v_mov_b32_e32 v4, 0
	s_mov_b32 s25, exec_lo
	scratch_store_b64 off, v[3:4], s32 offset:628 ; 8-byte Folded Spill
	v_cmpx_ne_u32_e32 0x7f, v2
	s_cbranch_execz .LBB239_390
; %bb.387:                              ;   in Loop: Header=BB239_13 Depth=1
	v_and_b32_e32 v28, 7, v0
	v_lshrrev_b32_e32 v1, 3, v2
	s_mov_b32 s26, exec_lo
	v_cmpx_gt_u32_e32 8, v2
; %bb.388:                              ;   in Loop: Header=BB239_13 Depth=1
	s_delay_alu instid0(VALU_DEP_3) | instskip(NEXT) | instid1(VALU_DEP_1)
	v_clz_i32_u32_e32 v1, v28
	v_min_u32_e32 v1, 32, v1
	s_delay_alu instid0(VALU_DEP_1) | instskip(SKIP_1) | instid1(VALU_DEP_2)
	v_subrev_nc_u32_e32 v2, 28, v1
	v_sub_nc_u32_e32 v1, 29, v1
	v_lshlrev_b64 v[2:3], v2, v[28:29]
	s_delay_alu instid0(VALU_DEP_1)
	v_and_b32_e32 v28, 7, v2
; %bb.389:                              ;   in Loop: Header=BB239_13 Depth=1
	s_or_b32 exec_lo, exec_lo, s26
	v_lshlrev_b32_e32 v2, 24, v0
	s_delay_alu instid0(VALU_DEP_2) | instskip(SKIP_1) | instid1(VALU_DEP_3)
	v_lshlrev_b32_e32 v3, 20, v28
	v_lshl_add_u32 v1, v1, 23, 0x3c000000
	v_and_b32_e32 v2, 0x80000000, v2
	s_delay_alu instid0(VALU_DEP_1)
	v_or3_b32 v28, v3, v2, v1
	scratch_store_b64 off, v[28:29], s32 offset:628 ; 8-byte Folded Spill
.LBB239_390:                            ;   in Loop: Header=BB239_13 Depth=1
	s_or_b32 exec_lo, exec_lo, s25
.LBB239_391:                            ;   in Loop: Header=BB239_13 Depth=1
	s_delay_alu instid0(SALU_CYCLE_1)
	s_or_b32 exec_lo, exec_lo, s24
.LBB239_392:                            ;   in Loop: Header=BB239_13 Depth=1
	s_delay_alu instid0(SALU_CYCLE_1) | instskip(SKIP_2) | instid1(VALU_DEP_1)
	s_or_b32 exec_lo, exec_lo, s18
	v_lshrrev_b16 v1, 8, v0
	s_mov_b32 s24, exec_lo
	v_cmpx_ne_u16_e32 0, v1
	s_cbranch_execz .LBB239_400
; %bb.393:                              ;   in Loop: Header=BB239_13 Depth=1
	v_dual_mov_b32 v169, s17 :: v_dual_mov_b32 v168, s16
	s_mov_b32 s25, exec_lo
	v_cmpx_ne_u16_e32 0x80, v1
	s_cbranch_execz .LBB239_399
; %bb.394:                              ;   in Loop: Header=BB239_13 Depth=1
	s_mov_b32 s18, s16
	v_and_b32_e32 v1, 0xffff, v1
	v_dual_mov_b32 v169, s19 :: v_dual_mov_b32 v168, s18
	s_mov_b32 s18, exec_lo
	s_delay_alu instid0(VALU_DEP_2) | instskip(NEXT) | instid1(VALU_DEP_1)
	v_and_b32_e32 v2, 0x7f, v1
	v_cmpx_ne_u32_e32 0x7f, v2
	s_cbranch_execz .LBB239_398
; %bb.395:                              ;   in Loop: Header=BB239_13 Depth=1
	v_and_b32_e32 v28, 7, v1
	v_lshrrev_b32_e32 v1, 3, v2
	s_mov_b32 s26, exec_lo
	v_cmpx_gt_u32_e32 8, v2
; %bb.396:                              ;   in Loop: Header=BB239_13 Depth=1
	s_delay_alu instid0(VALU_DEP_3) | instskip(NEXT) | instid1(VALU_DEP_1)
	v_clz_i32_u32_e32 v1, v28
	v_min_u32_e32 v1, 32, v1
	s_delay_alu instid0(VALU_DEP_1) | instskip(SKIP_1) | instid1(VALU_DEP_2)
	v_subrev_nc_u32_e32 v2, 28, v1
	v_sub_nc_u32_e32 v1, 29, v1
	v_lshlrev_b64 v[2:3], v2, v[28:29]
	s_delay_alu instid0(VALU_DEP_1)
	v_and_b32_e32 v28, 7, v2
; %bb.397:                              ;   in Loop: Header=BB239_13 Depth=1
	s_or_b32 exec_lo, exec_lo, s26
	v_lshlrev_b32_e32 v0, 16, v0
	s_delay_alu instid0(VALU_DEP_2) | instskip(SKIP_2) | instid1(VALU_DEP_4)
	v_lshlrev_b32_e32 v2, 20, v28
	v_lshl_add_u32 v1, v1, 23, 0x3c000000
	v_mov_b32_e32 v168, v29
	v_and_b32_e32 v0, 0x80000000, v0
	s_delay_alu instid0(VALU_DEP_1)
	v_or3_b32 v169, v2, v0, v1
.LBB239_398:                            ;   in Loop: Header=BB239_13 Depth=1
	s_or_b32 exec_lo, exec_lo, s18
.LBB239_399:                            ;   in Loop: Header=BB239_13 Depth=1
	s_delay_alu instid0(SALU_CYCLE_1)
	s_or_b32 exec_lo, exec_lo, s25
.LBB239_400:                            ;   in Loop: Header=BB239_13 Depth=1
	s_delay_alu instid0(SALU_CYCLE_1)
	s_or_b32 exec_lo, exec_lo, s24
	flat_load_u16 v0, v[162:163] offset:1536
	v_mov_b32_e32 v172, 0
	v_mov_b32_e32 v173, 0
	s_mov_b32 s18, exec_lo
	s_waitcnt vmcnt(0) lgkmcnt(0)
	v_and_b32_e32 v1, 0xff, v0
	v_and_b32_e32 v0, 0xffff, v0
	scratch_store_b64 off, v[172:173], s32 offset:636 ; 8-byte Folded Spill
	v_cmpx_ne_u16_e32 0, v1
	s_cbranch_execz .LBB239_408
; %bb.401:                              ;   in Loop: Header=BB239_13 Depth=1
	v_and_b32_e32 v1, 0xff, v0
	s_delay_alu instid0(VALU_DEP_1)
	v_cmp_ne_u16_e64 s2, 0x80, v1
	v_bfrev_b32_e32 v1, 1
	v_mov_b32_e32 v2, 0
	scratch_store_b64 off, v[1:2], s32 offset:636 ; 8-byte Folded Spill
	s_and_saveexec_b32 s24, s2
	s_cbranch_execz .LBB239_407
; %bb.402:                              ;   in Loop: Header=BB239_13 Depth=1
	v_mov_b32_e32 v3, 0x7f800001
	v_and_b32_e32 v2, 0x7f, v0
	v_mov_b32_e32 v4, 0
	s_mov_b32 s25, exec_lo
	scratch_store_b64 off, v[3:4], s32 offset:636 ; 8-byte Folded Spill
	v_cmpx_ne_u32_e32 0x7f, v2
	s_cbranch_execz .LBB239_406
; %bb.403:                              ;   in Loop: Header=BB239_13 Depth=1
	v_and_b32_e32 v28, 7, v0
	v_lshrrev_b32_e32 v1, 3, v2
	s_mov_b32 s26, exec_lo
	v_cmpx_gt_u32_e32 8, v2
; %bb.404:                              ;   in Loop: Header=BB239_13 Depth=1
	s_delay_alu instid0(VALU_DEP_3) | instskip(NEXT) | instid1(VALU_DEP_1)
	v_clz_i32_u32_e32 v1, v28
	v_min_u32_e32 v1, 32, v1
	s_delay_alu instid0(VALU_DEP_1) | instskip(SKIP_1) | instid1(VALU_DEP_2)
	v_subrev_nc_u32_e32 v2, 28, v1
	v_sub_nc_u32_e32 v1, 29, v1
	v_lshlrev_b64 v[2:3], v2, v[28:29]
	s_delay_alu instid0(VALU_DEP_1)
	v_and_b32_e32 v28, 7, v2
; %bb.405:                              ;   in Loop: Header=BB239_13 Depth=1
	s_or_b32 exec_lo, exec_lo, s26
	v_lshlrev_b32_e32 v2, 24, v0
	s_delay_alu instid0(VALU_DEP_2) | instskip(SKIP_1) | instid1(VALU_DEP_3)
	v_lshlrev_b32_e32 v3, 20, v28
	v_lshl_add_u32 v1, v1, 23, 0x3c000000
	v_and_b32_e32 v2, 0x80000000, v2
	s_delay_alu instid0(VALU_DEP_1)
	v_or3_b32 v28, v3, v2, v1
	scratch_store_b64 off, v[28:29], s32 offset:636 ; 8-byte Folded Spill
.LBB239_406:                            ;   in Loop: Header=BB239_13 Depth=1
	s_or_b32 exec_lo, exec_lo, s25
.LBB239_407:                            ;   in Loop: Header=BB239_13 Depth=1
	s_delay_alu instid0(SALU_CYCLE_1)
	s_or_b32 exec_lo, exec_lo, s24
.LBB239_408:                            ;   in Loop: Header=BB239_13 Depth=1
	s_delay_alu instid0(SALU_CYCLE_1) | instskip(SKIP_2) | instid1(VALU_DEP_1)
	s_or_b32 exec_lo, exec_lo, s18
	v_lshrrev_b16 v1, 8, v0
	s_mov_b32 s24, exec_lo
	v_cmpx_ne_u16_e32 0, v1
	s_cbranch_execz .LBB239_416
; %bb.409:                              ;   in Loop: Header=BB239_13 Depth=1
	v_dual_mov_b32 v173, s17 :: v_dual_mov_b32 v172, s16
	s_mov_b32 s25, exec_lo
	v_cmpx_ne_u16_e32 0x80, v1
	s_cbranch_execz .LBB239_415
; %bb.410:                              ;   in Loop: Header=BB239_13 Depth=1
	s_mov_b32 s18, s16
	v_and_b32_e32 v1, 0xffff, v1
	v_dual_mov_b32 v173, s19 :: v_dual_mov_b32 v172, s18
	s_mov_b32 s18, exec_lo
	s_delay_alu instid0(VALU_DEP_2) | instskip(NEXT) | instid1(VALU_DEP_1)
	v_and_b32_e32 v2, 0x7f, v1
	v_cmpx_ne_u32_e32 0x7f, v2
	s_cbranch_execz .LBB239_414
; %bb.411:                              ;   in Loop: Header=BB239_13 Depth=1
	v_and_b32_e32 v28, 7, v1
	v_lshrrev_b32_e32 v1, 3, v2
	s_mov_b32 s26, exec_lo
	v_cmpx_gt_u32_e32 8, v2
; %bb.412:                              ;   in Loop: Header=BB239_13 Depth=1
	s_delay_alu instid0(VALU_DEP_3) | instskip(NEXT) | instid1(VALU_DEP_1)
	v_clz_i32_u32_e32 v1, v28
	v_min_u32_e32 v1, 32, v1
	s_delay_alu instid0(VALU_DEP_1) | instskip(SKIP_1) | instid1(VALU_DEP_2)
	v_subrev_nc_u32_e32 v2, 28, v1
	v_sub_nc_u32_e32 v1, 29, v1
	v_lshlrev_b64 v[2:3], v2, v[28:29]
	s_delay_alu instid0(VALU_DEP_1)
	v_and_b32_e32 v28, 7, v2
; %bb.413:                              ;   in Loop: Header=BB239_13 Depth=1
	s_or_b32 exec_lo, exec_lo, s26
	v_lshlrev_b32_e32 v0, 16, v0
	s_delay_alu instid0(VALU_DEP_2) | instskip(SKIP_2) | instid1(VALU_DEP_4)
	v_lshlrev_b32_e32 v2, 20, v28
	v_lshl_add_u32 v1, v1, 23, 0x3c000000
	v_mov_b32_e32 v172, v29
	v_and_b32_e32 v0, 0x80000000, v0
	s_delay_alu instid0(VALU_DEP_1)
	v_or3_b32 v173, v2, v0, v1
.LBB239_414:                            ;   in Loop: Header=BB239_13 Depth=1
	s_or_b32 exec_lo, exec_lo, s18
.LBB239_415:                            ;   in Loop: Header=BB239_13 Depth=1
	s_delay_alu instid0(SALU_CYCLE_1)
	s_or_b32 exec_lo, exec_lo, s25
.LBB239_416:                            ;   in Loop: Header=BB239_13 Depth=1
	s_delay_alu instid0(SALU_CYCLE_1)
	s_or_b32 exec_lo, exec_lo, s24
	flat_load_u16 v0, v[162:163] offset:1540
	v_mov_b32_e32 v11, 0
	v_mov_b32_e32 v12, 0
	s_mov_b32 s18, exec_lo
	s_waitcnt vmcnt(0) lgkmcnt(0)
	v_and_b32_e32 v1, 0xff, v0
	v_and_b32_e32 v0, 0xffff, v0
	scratch_store_b64 off, v[11:12], s32 offset:644 ; 8-byte Folded Spill
	v_cmpx_ne_u16_e32 0, v1
	s_cbranch_execz .LBB239_424
; %bb.417:                              ;   in Loop: Header=BB239_13 Depth=1
	v_and_b32_e32 v1, 0xff, v0
	s_delay_alu instid0(VALU_DEP_1)
	v_cmp_ne_u16_e64 s2, 0x80, v1
	v_bfrev_b32_e32 v1, 1
	v_mov_b32_e32 v2, 0
	scratch_store_b64 off, v[1:2], s32 offset:644 ; 8-byte Folded Spill
	s_and_saveexec_b32 s24, s2
	s_cbranch_execz .LBB239_423
; %bb.418:                              ;   in Loop: Header=BB239_13 Depth=1
	v_mov_b32_e32 v3, 0x7f800001
	v_and_b32_e32 v2, 0x7f, v0
	v_mov_b32_e32 v4, 0
	s_mov_b32 s25, exec_lo
	scratch_store_b64 off, v[3:4], s32 offset:644 ; 8-byte Folded Spill
	v_cmpx_ne_u32_e32 0x7f, v2
	s_cbranch_execz .LBB239_422
; %bb.419:                              ;   in Loop: Header=BB239_13 Depth=1
	v_and_b32_e32 v28, 7, v0
	v_lshrrev_b32_e32 v1, 3, v2
	s_mov_b32 s26, exec_lo
	v_cmpx_gt_u32_e32 8, v2
; %bb.420:                              ;   in Loop: Header=BB239_13 Depth=1
	s_delay_alu instid0(VALU_DEP_3) | instskip(NEXT) | instid1(VALU_DEP_1)
	v_clz_i32_u32_e32 v1, v28
	v_min_u32_e32 v1, 32, v1
	s_delay_alu instid0(VALU_DEP_1) | instskip(SKIP_1) | instid1(VALU_DEP_2)
	v_subrev_nc_u32_e32 v2, 28, v1
	v_sub_nc_u32_e32 v1, 29, v1
	v_lshlrev_b64 v[2:3], v2, v[28:29]
	s_delay_alu instid0(VALU_DEP_1)
	v_and_b32_e32 v28, 7, v2
; %bb.421:                              ;   in Loop: Header=BB239_13 Depth=1
	s_or_b32 exec_lo, exec_lo, s26
	v_lshlrev_b32_e32 v2, 24, v0
	s_delay_alu instid0(VALU_DEP_2) | instskip(SKIP_1) | instid1(VALU_DEP_3)
	v_lshlrev_b32_e32 v3, 20, v28
	v_lshl_add_u32 v1, v1, 23, 0x3c000000
	v_and_b32_e32 v2, 0x80000000, v2
	s_delay_alu instid0(VALU_DEP_1)
	v_or3_b32 v28, v3, v2, v1
	scratch_store_b64 off, v[28:29], s32 offset:644 ; 8-byte Folded Spill
.LBB239_422:                            ;   in Loop: Header=BB239_13 Depth=1
	s_or_b32 exec_lo, exec_lo, s25
.LBB239_423:                            ;   in Loop: Header=BB239_13 Depth=1
	s_delay_alu instid0(SALU_CYCLE_1)
	s_or_b32 exec_lo, exec_lo, s24
.LBB239_424:                            ;   in Loop: Header=BB239_13 Depth=1
	s_delay_alu instid0(SALU_CYCLE_1) | instskip(SKIP_2) | instid1(VALU_DEP_1)
	s_or_b32 exec_lo, exec_lo, s18
	v_lshrrev_b16 v1, 8, v0
	s_mov_b32 s24, exec_lo
	v_cmpx_ne_u16_e32 0, v1
	s_cbranch_execz .LBB239_432
; %bb.425:                              ;   in Loop: Header=BB239_13 Depth=1
	v_dual_mov_b32 v11, s16 :: v_dual_mov_b32 v12, s17
	s_mov_b32 s25, exec_lo
	v_cmpx_ne_u16_e32 0x80, v1
	s_cbranch_execz .LBB239_431
; %bb.426:                              ;   in Loop: Header=BB239_13 Depth=1
	s_mov_b32 s18, s16
	v_and_b32_e32 v1, 0xffff, v1
	v_dual_mov_b32 v11, s18 :: v_dual_mov_b32 v12, s19
	s_mov_b32 s18, exec_lo
	s_delay_alu instid0(VALU_DEP_2) | instskip(NEXT) | instid1(VALU_DEP_1)
	v_and_b32_e32 v2, 0x7f, v1
	v_cmpx_ne_u32_e32 0x7f, v2
	s_cbranch_execz .LBB239_430
; %bb.427:                              ;   in Loop: Header=BB239_13 Depth=1
	v_and_b32_e32 v28, 7, v1
	v_lshrrev_b32_e32 v1, 3, v2
	s_mov_b32 s26, exec_lo
	v_cmpx_gt_u32_e32 8, v2
; %bb.428:                              ;   in Loop: Header=BB239_13 Depth=1
	s_delay_alu instid0(VALU_DEP_3) | instskip(NEXT) | instid1(VALU_DEP_1)
	v_clz_i32_u32_e32 v1, v28
	v_min_u32_e32 v1, 32, v1
	s_delay_alu instid0(VALU_DEP_1) | instskip(SKIP_1) | instid1(VALU_DEP_2)
	v_subrev_nc_u32_e32 v2, 28, v1
	v_sub_nc_u32_e32 v1, 29, v1
	v_lshlrev_b64 v[2:3], v2, v[28:29]
	s_delay_alu instid0(VALU_DEP_1)
	v_and_b32_e32 v28, 7, v2
; %bb.429:                              ;   in Loop: Header=BB239_13 Depth=1
	s_or_b32 exec_lo, exec_lo, s26
	v_dual_mov_b32 v11, v29 :: v_dual_lshlrev_b32 v0, 16, v0
	s_delay_alu instid0(VALU_DEP_2) | instskip(SKIP_1) | instid1(VALU_DEP_3)
	v_lshlrev_b32_e32 v2, 20, v28
	v_lshl_add_u32 v1, v1, 23, 0x3c000000
	v_and_b32_e32 v0, 0x80000000, v0
	s_delay_alu instid0(VALU_DEP_1)
	v_or3_b32 v12, v2, v0, v1
.LBB239_430:                            ;   in Loop: Header=BB239_13 Depth=1
	s_or_b32 exec_lo, exec_lo, s18
.LBB239_431:                            ;   in Loop: Header=BB239_13 Depth=1
	s_delay_alu instid0(SALU_CYCLE_1)
	s_or_b32 exec_lo, exec_lo, s25
.LBB239_432:                            ;   in Loop: Header=BB239_13 Depth=1
	s_delay_alu instid0(SALU_CYCLE_1) | instskip(SKIP_1) | instid1(VALU_DEP_1)
	s_or_b32 exec_lo, exec_lo, s24
	v_add_co_u32 v0, s2, 0x600, v162
	v_add_co_ci_u32_e64 v1, s2, 0, v163, s2
	s_mov_b32 s18, exec_lo
	flat_load_u16 v2, v[0:1] offset:8
	v_mov_b32_e32 v188, 0
	v_mov_b32_e32 v189, 0
	s_waitcnt vmcnt(0) lgkmcnt(0)
	v_and_b32_e32 v3, 0xff, v2
	v_and_b32_e32 v2, 0xffff, v2
	scratch_store_b64 off, v[188:189], s32 offset:652 ; 8-byte Folded Spill
	v_cmpx_ne_u16_e32 0, v3
	s_cbranch_execz .LBB239_440
; %bb.433:                              ;   in Loop: Header=BB239_13 Depth=1
	v_and_b32_e32 v3, 0xff, v2
	s_delay_alu instid0(VALU_DEP_1)
	v_cmp_ne_u16_e64 s2, 0x80, v3
	v_bfrev_b32_e32 v3, 1
	v_mov_b32_e32 v4, 0
	scratch_store_b64 off, v[3:4], s32 offset:652 ; 8-byte Folded Spill
	s_and_saveexec_b32 s24, s2
	s_cbranch_execz .LBB239_439
; %bb.434:                              ;   in Loop: Header=BB239_13 Depth=1
	v_mov_b32_e32 v5, 0x7f800001
	v_and_b32_e32 v4, 0x7f, v2
	v_mov_b32_e32 v6, 0
	s_mov_b32 s25, exec_lo
	scratch_store_b64 off, v[5:6], s32 offset:652 ; 8-byte Folded Spill
	v_cmpx_ne_u32_e32 0x7f, v4
	s_cbranch_execz .LBB239_438
; %bb.435:                              ;   in Loop: Header=BB239_13 Depth=1
	v_and_b32_e32 v28, 7, v2
	v_lshrrev_b32_e32 v3, 3, v4
	s_mov_b32 s26, exec_lo
	v_cmpx_gt_u32_e32 8, v4
; %bb.436:                              ;   in Loop: Header=BB239_13 Depth=1
	s_delay_alu instid0(VALU_DEP_3) | instskip(NEXT) | instid1(VALU_DEP_1)
	v_clz_i32_u32_e32 v3, v28
	v_min_u32_e32 v3, 32, v3
	s_delay_alu instid0(VALU_DEP_1) | instskip(SKIP_1) | instid1(VALU_DEP_2)
	v_subrev_nc_u32_e32 v4, 28, v3
	v_sub_nc_u32_e32 v3, 29, v3
	v_lshlrev_b64 v[4:5], v4, v[28:29]
	s_delay_alu instid0(VALU_DEP_1)
	v_and_b32_e32 v28, 7, v4
; %bb.437:                              ;   in Loop: Header=BB239_13 Depth=1
	s_or_b32 exec_lo, exec_lo, s26
	v_lshlrev_b32_e32 v4, 24, v2
	s_delay_alu instid0(VALU_DEP_2) | instskip(SKIP_1) | instid1(VALU_DEP_3)
	v_lshlrev_b32_e32 v5, 20, v28
	v_lshl_add_u32 v3, v3, 23, 0x3c000000
	v_and_b32_e32 v4, 0x80000000, v4
	s_delay_alu instid0(VALU_DEP_1)
	v_or3_b32 v28, v5, v4, v3
	scratch_store_b64 off, v[28:29], s32 offset:652 ; 8-byte Folded Spill
.LBB239_438:                            ;   in Loop: Header=BB239_13 Depth=1
	s_or_b32 exec_lo, exec_lo, s25
.LBB239_439:                            ;   in Loop: Header=BB239_13 Depth=1
	s_delay_alu instid0(SALU_CYCLE_1)
	s_or_b32 exec_lo, exec_lo, s24
.LBB239_440:                            ;   in Loop: Header=BB239_13 Depth=1
	s_delay_alu instid0(SALU_CYCLE_1) | instskip(SKIP_2) | instid1(VALU_DEP_1)
	s_or_b32 exec_lo, exec_lo, s18
	v_lshrrev_b16 v3, 8, v2
	s_mov_b32 s24, exec_lo
	v_cmpx_ne_u16_e32 0, v3
	s_cbranch_execz .LBB239_448
; %bb.441:                              ;   in Loop: Header=BB239_13 Depth=1
	v_dual_mov_b32 v189, s17 :: v_dual_mov_b32 v188, s16
	s_mov_b32 s25, exec_lo
	v_cmpx_ne_u16_e32 0x80, v3
	s_cbranch_execz .LBB239_447
; %bb.442:                              ;   in Loop: Header=BB239_13 Depth=1
	s_mov_b32 s18, s16
	v_and_b32_e32 v3, 0xffff, v3
	v_dual_mov_b32 v189, s19 :: v_dual_mov_b32 v188, s18
	s_mov_b32 s18, exec_lo
	s_delay_alu instid0(VALU_DEP_2) | instskip(NEXT) | instid1(VALU_DEP_1)
	v_and_b32_e32 v4, 0x7f, v3
	v_cmpx_ne_u32_e32 0x7f, v4
	s_cbranch_execz .LBB239_446
; %bb.443:                              ;   in Loop: Header=BB239_13 Depth=1
	v_and_b32_e32 v28, 7, v3
	v_lshrrev_b32_e32 v3, 3, v4
	s_mov_b32 s26, exec_lo
	v_cmpx_gt_u32_e32 8, v4
; %bb.444:                              ;   in Loop: Header=BB239_13 Depth=1
	s_delay_alu instid0(VALU_DEP_3) | instskip(NEXT) | instid1(VALU_DEP_1)
	v_clz_i32_u32_e32 v3, v28
	v_min_u32_e32 v3, 32, v3
	s_delay_alu instid0(VALU_DEP_1) | instskip(SKIP_1) | instid1(VALU_DEP_2)
	v_subrev_nc_u32_e32 v4, 28, v3
	v_sub_nc_u32_e32 v3, 29, v3
	v_lshlrev_b64 v[4:5], v4, v[28:29]
	s_delay_alu instid0(VALU_DEP_1)
	v_and_b32_e32 v28, 7, v4
; %bb.445:                              ;   in Loop: Header=BB239_13 Depth=1
	s_or_b32 exec_lo, exec_lo, s26
	v_lshlrev_b32_e32 v2, 16, v2
	s_delay_alu instid0(VALU_DEP_2) | instskip(SKIP_2) | instid1(VALU_DEP_4)
	v_lshlrev_b32_e32 v4, 20, v28
	v_lshl_add_u32 v3, v3, 23, 0x3c000000
	v_mov_b32_e32 v188, v29
	v_and_b32_e32 v2, 0x80000000, v2
	s_delay_alu instid0(VALU_DEP_1)
	v_or3_b32 v189, v4, v2, v3
.LBB239_446:                            ;   in Loop: Header=BB239_13 Depth=1
	s_or_b32 exec_lo, exec_lo, s18
.LBB239_447:                            ;   in Loop: Header=BB239_13 Depth=1
	s_delay_alu instid0(SALU_CYCLE_1)
	s_or_b32 exec_lo, exec_lo, s25
.LBB239_448:                            ;   in Loop: Header=BB239_13 Depth=1
	s_delay_alu instid0(SALU_CYCLE_1)
	s_or_b32 exec_lo, exec_lo, s24
	flat_load_u16 v0, v[0:1] offset:12
	v_mov_b32_e32 v114, 0
	v_mov_b32_e32 v115, 0
	s_mov_b32 s18, exec_lo
	s_waitcnt vmcnt(0) lgkmcnt(0)
	v_and_b32_e32 v1, 0xff, v0
	v_and_b32_e32 v0, 0xffff, v0
	scratch_store_b64 off, v[114:115], s32 offset:660 ; 8-byte Folded Spill
	v_cmpx_ne_u16_e32 0, v1
	s_cbranch_execz .LBB239_456
; %bb.449:                              ;   in Loop: Header=BB239_13 Depth=1
	v_and_b32_e32 v1, 0xff, v0
	s_delay_alu instid0(VALU_DEP_1)
	v_cmp_ne_u16_e64 s2, 0x80, v1
	v_bfrev_b32_e32 v1, 1
	v_mov_b32_e32 v2, 0
	scratch_store_b64 off, v[1:2], s32 offset:660 ; 8-byte Folded Spill
	s_and_saveexec_b32 s24, s2
	s_cbranch_execz .LBB239_455
; %bb.450:                              ;   in Loop: Header=BB239_13 Depth=1
	v_mov_b32_e32 v3, 0x7f800001
	v_and_b32_e32 v2, 0x7f, v0
	v_mov_b32_e32 v4, 0
	s_mov_b32 s25, exec_lo
	scratch_store_b64 off, v[3:4], s32 offset:660 ; 8-byte Folded Spill
	v_cmpx_ne_u32_e32 0x7f, v2
	s_cbranch_execz .LBB239_454
; %bb.451:                              ;   in Loop: Header=BB239_13 Depth=1
	v_and_b32_e32 v28, 7, v0
	v_lshrrev_b32_e32 v1, 3, v2
	s_mov_b32 s26, exec_lo
	v_cmpx_gt_u32_e32 8, v2
; %bb.452:                              ;   in Loop: Header=BB239_13 Depth=1
	s_delay_alu instid0(VALU_DEP_3) | instskip(NEXT) | instid1(VALU_DEP_1)
	v_clz_i32_u32_e32 v1, v28
	v_min_u32_e32 v1, 32, v1
	s_delay_alu instid0(VALU_DEP_1) | instskip(SKIP_1) | instid1(VALU_DEP_2)
	v_subrev_nc_u32_e32 v2, 28, v1
	v_sub_nc_u32_e32 v1, 29, v1
	v_lshlrev_b64 v[2:3], v2, v[28:29]
	s_delay_alu instid0(VALU_DEP_1)
	v_and_b32_e32 v28, 7, v2
; %bb.453:                              ;   in Loop: Header=BB239_13 Depth=1
	s_or_b32 exec_lo, exec_lo, s26
	v_lshlrev_b32_e32 v2, 24, v0
	s_delay_alu instid0(VALU_DEP_2) | instskip(SKIP_1) | instid1(VALU_DEP_3)
	v_lshlrev_b32_e32 v3, 20, v28
	v_lshl_add_u32 v1, v1, 23, 0x3c000000
	v_and_b32_e32 v2, 0x80000000, v2
	s_delay_alu instid0(VALU_DEP_1)
	v_or3_b32 v28, v3, v2, v1
	scratch_store_b64 off, v[28:29], s32 offset:660 ; 8-byte Folded Spill
.LBB239_454:                            ;   in Loop: Header=BB239_13 Depth=1
	s_or_b32 exec_lo, exec_lo, s25
.LBB239_455:                            ;   in Loop: Header=BB239_13 Depth=1
	s_delay_alu instid0(SALU_CYCLE_1)
	s_or_b32 exec_lo, exec_lo, s24
.LBB239_456:                            ;   in Loop: Header=BB239_13 Depth=1
	s_delay_alu instid0(SALU_CYCLE_1) | instskip(SKIP_2) | instid1(VALU_DEP_1)
	s_or_b32 exec_lo, exec_lo, s18
	v_lshrrev_b16 v1, 8, v0
	s_mov_b32 s24, exec_lo
	v_cmpx_ne_u16_e32 0, v1
	s_cbranch_execz .LBB239_464
; %bb.457:                              ;   in Loop: Header=BB239_13 Depth=1
	v_dual_mov_b32 v115, s17 :: v_dual_mov_b32 v114, s16
	s_mov_b32 s25, exec_lo
	v_cmpx_ne_u16_e32 0x80, v1
	s_cbranch_execz .LBB239_463
; %bb.458:                              ;   in Loop: Header=BB239_13 Depth=1
	s_mov_b32 s18, s16
	v_and_b32_e32 v1, 0xffff, v1
	v_dual_mov_b32 v115, s19 :: v_dual_mov_b32 v114, s18
	s_mov_b32 s18, exec_lo
	s_delay_alu instid0(VALU_DEP_2) | instskip(NEXT) | instid1(VALU_DEP_1)
	v_and_b32_e32 v2, 0x7f, v1
	v_cmpx_ne_u32_e32 0x7f, v2
	s_cbranch_execz .LBB239_462
; %bb.459:                              ;   in Loop: Header=BB239_13 Depth=1
	v_and_b32_e32 v28, 7, v1
	v_lshrrev_b32_e32 v1, 3, v2
	s_mov_b32 s26, exec_lo
	v_cmpx_gt_u32_e32 8, v2
; %bb.460:                              ;   in Loop: Header=BB239_13 Depth=1
	s_delay_alu instid0(VALU_DEP_3) | instskip(NEXT) | instid1(VALU_DEP_1)
	v_clz_i32_u32_e32 v1, v28
	v_min_u32_e32 v1, 32, v1
	s_delay_alu instid0(VALU_DEP_1) | instskip(SKIP_1) | instid1(VALU_DEP_2)
	v_subrev_nc_u32_e32 v2, 28, v1
	v_sub_nc_u32_e32 v1, 29, v1
	v_lshlrev_b64 v[2:3], v2, v[28:29]
	s_delay_alu instid0(VALU_DEP_1)
	v_and_b32_e32 v28, 7, v2
; %bb.461:                              ;   in Loop: Header=BB239_13 Depth=1
	s_or_b32 exec_lo, exec_lo, s26
	v_lshlrev_b32_e32 v0, 16, v0
	s_delay_alu instid0(VALU_DEP_2) | instskip(SKIP_2) | instid1(VALU_DEP_4)
	v_lshlrev_b32_e32 v2, 20, v28
	v_lshl_add_u32 v1, v1, 23, 0x3c000000
	v_mov_b32_e32 v114, v29
	v_and_b32_e32 v0, 0x80000000, v0
	s_delay_alu instid0(VALU_DEP_1)
	v_or3_b32 v115, v2, v0, v1
.LBB239_462:                            ;   in Loop: Header=BB239_13 Depth=1
	s_or_b32 exec_lo, exec_lo, s18
.LBB239_463:                            ;   in Loop: Header=BB239_13 Depth=1
	s_delay_alu instid0(SALU_CYCLE_1)
	s_or_b32 exec_lo, exec_lo, s25
.LBB239_464:                            ;   in Loop: Header=BB239_13 Depth=1
	s_delay_alu instid0(SALU_CYCLE_1)
	s_or_b32 exec_lo, exec_lo, s24
	flat_load_u16 v0, v[162:163] offset:1792
	v_mov_b32_e32 v116, 0
	v_mov_b32_e32 v117, 0
	s_mov_b32 s18, exec_lo
	s_waitcnt vmcnt(0) lgkmcnt(0)
	v_and_b32_e32 v1, 0xff, v0
	v_and_b32_e32 v0, 0xffff, v0
	scratch_store_b64 off, v[116:117], s32 offset:668 ; 8-byte Folded Spill
	v_cmpx_ne_u16_e32 0, v1
	s_cbranch_execz .LBB239_472
; %bb.465:                              ;   in Loop: Header=BB239_13 Depth=1
	v_and_b32_e32 v1, 0xff, v0
	s_delay_alu instid0(VALU_DEP_1)
	v_cmp_ne_u16_e64 s2, 0x80, v1
	v_bfrev_b32_e32 v1, 1
	v_mov_b32_e32 v2, 0
	scratch_store_b64 off, v[1:2], s32 offset:668 ; 8-byte Folded Spill
	s_and_saveexec_b32 s24, s2
	s_cbranch_execz .LBB239_471
; %bb.466:                              ;   in Loop: Header=BB239_13 Depth=1
	v_mov_b32_e32 v3, 0x7f800001
	v_and_b32_e32 v2, 0x7f, v0
	v_mov_b32_e32 v4, 0
	s_mov_b32 s25, exec_lo
	scratch_store_b64 off, v[3:4], s32 offset:668 ; 8-byte Folded Spill
	v_cmpx_ne_u32_e32 0x7f, v2
	s_cbranch_execz .LBB239_470
; %bb.467:                              ;   in Loop: Header=BB239_13 Depth=1
	v_and_b32_e32 v28, 7, v0
	v_lshrrev_b32_e32 v1, 3, v2
	s_mov_b32 s26, exec_lo
	v_cmpx_gt_u32_e32 8, v2
; %bb.468:                              ;   in Loop: Header=BB239_13 Depth=1
	s_delay_alu instid0(VALU_DEP_3) | instskip(NEXT) | instid1(VALU_DEP_1)
	v_clz_i32_u32_e32 v1, v28
	v_min_u32_e32 v1, 32, v1
	s_delay_alu instid0(VALU_DEP_1) | instskip(SKIP_1) | instid1(VALU_DEP_2)
	v_subrev_nc_u32_e32 v2, 28, v1
	v_sub_nc_u32_e32 v1, 29, v1
	v_lshlrev_b64 v[2:3], v2, v[28:29]
	s_delay_alu instid0(VALU_DEP_1)
	v_and_b32_e32 v28, 7, v2
; %bb.469:                              ;   in Loop: Header=BB239_13 Depth=1
	s_or_b32 exec_lo, exec_lo, s26
	v_lshlrev_b32_e32 v2, 24, v0
	s_delay_alu instid0(VALU_DEP_2) | instskip(SKIP_1) | instid1(VALU_DEP_3)
	v_lshlrev_b32_e32 v3, 20, v28
	v_lshl_add_u32 v1, v1, 23, 0x3c000000
	v_and_b32_e32 v2, 0x80000000, v2
	s_delay_alu instid0(VALU_DEP_1)
	v_or3_b32 v28, v3, v2, v1
	scratch_store_b64 off, v[28:29], s32 offset:668 ; 8-byte Folded Spill
.LBB239_470:                            ;   in Loop: Header=BB239_13 Depth=1
	s_or_b32 exec_lo, exec_lo, s25
.LBB239_471:                            ;   in Loop: Header=BB239_13 Depth=1
	s_delay_alu instid0(SALU_CYCLE_1)
	s_or_b32 exec_lo, exec_lo, s24
.LBB239_472:                            ;   in Loop: Header=BB239_13 Depth=1
	s_delay_alu instid0(SALU_CYCLE_1) | instskip(SKIP_2) | instid1(VALU_DEP_1)
	s_or_b32 exec_lo, exec_lo, s18
	v_lshrrev_b16 v1, 8, v0
	s_mov_b32 s24, exec_lo
	v_cmpx_ne_u16_e32 0, v1
	s_cbranch_execz .LBB239_480
; %bb.473:                              ;   in Loop: Header=BB239_13 Depth=1
	v_dual_mov_b32 v117, s17 :: v_dual_mov_b32 v116, s16
	s_mov_b32 s25, exec_lo
	v_cmpx_ne_u16_e32 0x80, v1
	s_cbranch_execz .LBB239_479
; %bb.474:                              ;   in Loop: Header=BB239_13 Depth=1
	s_mov_b32 s18, s16
	v_and_b32_e32 v1, 0xffff, v1
	v_dual_mov_b32 v117, s19 :: v_dual_mov_b32 v116, s18
	s_mov_b32 s18, exec_lo
	s_delay_alu instid0(VALU_DEP_2) | instskip(NEXT) | instid1(VALU_DEP_1)
	v_and_b32_e32 v2, 0x7f, v1
	v_cmpx_ne_u32_e32 0x7f, v2
	s_cbranch_execz .LBB239_478
; %bb.475:                              ;   in Loop: Header=BB239_13 Depth=1
	v_and_b32_e32 v28, 7, v1
	v_lshrrev_b32_e32 v1, 3, v2
	s_mov_b32 s26, exec_lo
	v_cmpx_gt_u32_e32 8, v2
; %bb.476:                              ;   in Loop: Header=BB239_13 Depth=1
	s_delay_alu instid0(VALU_DEP_3) | instskip(NEXT) | instid1(VALU_DEP_1)
	v_clz_i32_u32_e32 v1, v28
	v_min_u32_e32 v1, 32, v1
	s_delay_alu instid0(VALU_DEP_1) | instskip(SKIP_1) | instid1(VALU_DEP_2)
	v_subrev_nc_u32_e32 v2, 28, v1
	v_sub_nc_u32_e32 v1, 29, v1
	v_lshlrev_b64 v[2:3], v2, v[28:29]
	s_delay_alu instid0(VALU_DEP_1)
	v_and_b32_e32 v28, 7, v2
; %bb.477:                              ;   in Loop: Header=BB239_13 Depth=1
	s_or_b32 exec_lo, exec_lo, s26
	v_lshlrev_b32_e32 v0, 16, v0
	s_delay_alu instid0(VALU_DEP_2) | instskip(SKIP_2) | instid1(VALU_DEP_4)
	v_lshlrev_b32_e32 v2, 20, v28
	v_lshl_add_u32 v1, v1, 23, 0x3c000000
	v_mov_b32_e32 v116, v29
	v_and_b32_e32 v0, 0x80000000, v0
	s_delay_alu instid0(VALU_DEP_1)
	v_or3_b32 v117, v2, v0, v1
.LBB239_478:                            ;   in Loop: Header=BB239_13 Depth=1
	s_or_b32 exec_lo, exec_lo, s18
.LBB239_479:                            ;   in Loop: Header=BB239_13 Depth=1
	s_delay_alu instid0(SALU_CYCLE_1)
	s_or_b32 exec_lo, exec_lo, s25
.LBB239_480:                            ;   in Loop: Header=BB239_13 Depth=1
	s_delay_alu instid0(SALU_CYCLE_1)
	s_or_b32 exec_lo, exec_lo, s24
	flat_load_u16 v0, v[162:163] offset:1796
	v_mov_b32_e32 v21, 0
	s_waitcnt vmcnt(0) lgkmcnt(0)
	v_dual_mov_b32 v22, 0 :: v_dual_and_b32 v1, 0xff, v0
	v_and_b32_e32 v2, 0xffff, v0
	s_delay_alu instid0(VALU_DEP_2) | instskip(NEXT) | instid1(VALU_DEP_3)
	v_cmp_ne_u16_e64 s2, 0, v1
	v_dual_mov_b32 v0, v21 :: v_dual_mov_b32 v1, v22
	s_delay_alu instid0(VALU_DEP_2)
	s_and_saveexec_b32 s18, s2
	s_cbranch_execz .LBB239_488
; %bb.481:                              ;   in Loop: Header=BB239_13 Depth=1
	v_and_b32_e32 v0, 0xff, v2
	s_delay_alu instid0(VALU_DEP_1) | instskip(SKIP_2) | instid1(VALU_DEP_3)
	v_cmp_ne_u16_e64 s2, 0x80, v0
	v_bfrev_b32_e32 v0, 1
	v_mov_b32_e32 v1, 0
	s_and_saveexec_b32 s24, s2
	s_cbranch_execz .LBB239_487
; %bb.482:                              ;   in Loop: Header=BB239_13 Depth=1
	v_mov_b32_e32 v0, 0x7f800001
	v_and_b32_e32 v3, 0x7f, v2
	v_mov_b32_e32 v1, 0
	s_mov_b32 s25, exec_lo
	s_delay_alu instid0(VALU_DEP_2)
	v_cmpx_ne_u32_e32 0x7f, v3
	s_cbranch_execz .LBB239_486
; %bb.483:                              ;   in Loop: Header=BB239_13 Depth=1
	v_and_b32_e32 v28, 7, v2
	v_lshrrev_b32_e32 v0, 3, v3
	s_mov_b32 s26, exec_lo
	v_cmpx_gt_u32_e32 8, v3
; %bb.484:                              ;   in Loop: Header=BB239_13 Depth=1
	s_delay_alu instid0(VALU_DEP_3) | instskip(NEXT) | instid1(VALU_DEP_1)
	v_clz_i32_u32_e32 v0, v28
	v_min_u32_e32 v0, 32, v0
	s_delay_alu instid0(VALU_DEP_1) | instskip(SKIP_1) | instid1(VALU_DEP_2)
	v_subrev_nc_u32_e32 v1, 28, v0
	v_sub_nc_u32_e32 v0, 29, v0
	v_lshlrev_b64 v[3:4], v1, v[28:29]
	s_delay_alu instid0(VALU_DEP_1)
	v_and_b32_e32 v28, 7, v3
; %bb.485:                              ;   in Loop: Header=BB239_13 Depth=1
	s_or_b32 exec_lo, exec_lo, s26
	v_lshlrev_b32_e32 v1, 24, v2
	s_delay_alu instid0(VALU_DEP_2) | instskip(SKIP_1) | instid1(VALU_DEP_3)
	v_lshlrev_b32_e32 v3, 20, v28
	v_lshl_add_u32 v0, v0, 23, 0x3c000000
	v_and_b32_e32 v1, 0x80000000, v1
	s_delay_alu instid0(VALU_DEP_1) | instskip(NEXT) | instid1(VALU_DEP_1)
	v_or3_b32 v28, v3, v1, v0
	v_dual_mov_b32 v0, v28 :: v_dual_mov_b32 v1, v29
.LBB239_486:                            ;   in Loop: Header=BB239_13 Depth=1
	s_or_b32 exec_lo, exec_lo, s25
.LBB239_487:                            ;   in Loop: Header=BB239_13 Depth=1
	s_delay_alu instid0(SALU_CYCLE_1)
	s_or_b32 exec_lo, exec_lo, s24
.LBB239_488:                            ;   in Loop: Header=BB239_13 Depth=1
	s_delay_alu instid0(SALU_CYCLE_1) | instskip(SKIP_2) | instid1(VALU_DEP_1)
	s_or_b32 exec_lo, exec_lo, s18
	v_lshrrev_b16 v3, 8, v2
	s_mov_b32 s24, exec_lo
	v_cmpx_ne_u16_e32 0, v3
	s_cbranch_execz .LBB239_496
; %bb.489:                              ;   in Loop: Header=BB239_13 Depth=1
	v_dual_mov_b32 v22, s17 :: v_dual_mov_b32 v21, s16
	s_mov_b32 s25, exec_lo
	v_cmpx_ne_u16_e32 0x80, v3
	s_cbranch_execz .LBB239_495
; %bb.490:                              ;   in Loop: Header=BB239_13 Depth=1
	s_mov_b32 s18, s16
	v_dual_mov_b32 v22, s19 :: v_dual_and_b32 v3, 0xffff, v3
	v_mov_b32_e32 v21, s18
	s_mov_b32 s18, exec_lo
	s_delay_alu instid0(VALU_DEP_2) | instskip(NEXT) | instid1(VALU_DEP_1)
	v_and_b32_e32 v6, 0x7f, v3
	v_cmpx_ne_u32_e32 0x7f, v6
	s_cbranch_execz .LBB239_494
; %bb.491:                              ;   in Loop: Header=BB239_13 Depth=1
	v_and_b32_e32 v28, 7, v3
	v_lshrrev_b32_e32 v3, 3, v6
	s_mov_b32 s26, exec_lo
	v_cmpx_gt_u32_e32 8, v6
; %bb.492:                              ;   in Loop: Header=BB239_13 Depth=1
	s_delay_alu instid0(VALU_DEP_3) | instskip(NEXT) | instid1(VALU_DEP_1)
	v_clz_i32_u32_e32 v3, v28
	v_min_u32_e32 v3, 32, v3
	s_delay_alu instid0(VALU_DEP_1) | instskip(SKIP_1) | instid1(VALU_DEP_2)
	v_subrev_nc_u32_e32 v4, 28, v3
	v_sub_nc_u32_e32 v3, 29, v3
	v_lshlrev_b64 v[4:5], v4, v[28:29]
	s_delay_alu instid0(VALU_DEP_1)
	v_and_b32_e32 v28, 7, v4
; %bb.493:                              ;   in Loop: Header=BB239_13 Depth=1
	s_or_b32 exec_lo, exec_lo, s26
	v_dual_mov_b32 v21, v29 :: v_dual_lshlrev_b32 v2, 16, v2
	s_delay_alu instid0(VALU_DEP_2) | instskip(SKIP_1) | instid1(VALU_DEP_3)
	v_lshlrev_b32_e32 v4, 20, v28
	v_lshl_add_u32 v3, v3, 23, 0x3c000000
	v_and_b32_e32 v2, 0x80000000, v2
	s_delay_alu instid0(VALU_DEP_1)
	v_or3_b32 v22, v4, v2, v3
.LBB239_494:                            ;   in Loop: Header=BB239_13 Depth=1
	s_or_b32 exec_lo, exec_lo, s18
.LBB239_495:                            ;   in Loop: Header=BB239_13 Depth=1
	s_delay_alu instid0(SALU_CYCLE_1)
	s_or_b32 exec_lo, exec_lo, s25
.LBB239_496:                            ;   in Loop: Header=BB239_13 Depth=1
	s_delay_alu instid0(SALU_CYCLE_1) | instskip(SKIP_1) | instid1(VALU_DEP_1)
	s_or_b32 exec_lo, exec_lo, s24
	v_add_co_u32 v6, s2, 0x700, v162
	v_add_co_ci_u32_e64 v7, s2, 0, v163, s2
	s_mov_b32 s18, exec_lo
	flat_load_u16 v4, v[6:7] offset:8
	v_mov_b32_e32 v2, 0
	s_waitcnt vmcnt(0) lgkmcnt(0)
	v_dual_mov_b32 v3, 0 :: v_dual_and_b32 v8, 0xffff, v4
	v_and_b32_e32 v5, 0xff, v4
	s_delay_alu instid0(VALU_DEP_2) | instskip(NEXT) | instid1(VALU_DEP_2)
	v_dual_mov_b32 v15, v3 :: v_dual_mov_b32 v14, v2
	v_cmpx_ne_u16_e32 0, v5
	s_cbranch_execz .LBB239_504
; %bb.497:                              ;   in Loop: Header=BB239_13 Depth=1
	v_bfrev_b32_e32 v14, 1
	v_dual_mov_b32 v15, 0 :: v_dual_and_b32 v4, 0xff, v8
	s_mov_b32 s24, exec_lo
	s_delay_alu instid0(VALU_DEP_1)
	v_cmpx_ne_u16_e32 0x80, v4
	s_cbranch_execz .LBB239_503
; %bb.498:                              ;   in Loop: Header=BB239_13 Depth=1
	v_mov_b32_e32 v14, 0x7f800001
	v_dual_mov_b32 v15, 0 :: v_dual_and_b32 v4, 0x7f, v8
	s_mov_b32 s25, exec_lo
	s_delay_alu instid0(VALU_DEP_1)
	v_cmpx_ne_u32_e32 0x7f, v4
	s_cbranch_execz .LBB239_502
; %bb.499:                              ;   in Loop: Header=BB239_13 Depth=1
	v_and_b32_e32 v28, 7, v8
	v_lshrrev_b32_e32 v9, 3, v4
	s_mov_b32 s26, exec_lo
	v_cmpx_gt_u32_e32 8, v4
; %bb.500:                              ;   in Loop: Header=BB239_13 Depth=1
	s_delay_alu instid0(VALU_DEP_3) | instskip(NEXT) | instid1(VALU_DEP_1)
	v_clz_i32_u32_e32 v4, v28
	v_min_u32_e32 v9, 32, v4
	s_delay_alu instid0(VALU_DEP_1) | instskip(SKIP_1) | instid1(VALU_DEP_2)
	v_subrev_nc_u32_e32 v4, 28, v9
	v_sub_nc_u32_e32 v9, 29, v9
	v_lshlrev_b64 v[4:5], v4, v[28:29]
	s_delay_alu instid0(VALU_DEP_1)
	v_and_b32_e32 v28, 7, v4
; %bb.501:                              ;   in Loop: Header=BB239_13 Depth=1
	s_or_b32 exec_lo, exec_lo, s26
	v_lshlrev_b32_e32 v4, 24, v8
	s_delay_alu instid0(VALU_DEP_2) | instskip(SKIP_1) | instid1(VALU_DEP_3)
	v_lshlrev_b32_e32 v5, 20, v28
	v_lshl_add_u32 v9, v9, 23, 0x3c000000
	v_and_b32_e32 v4, 0x80000000, v4
	s_delay_alu instid0(VALU_DEP_1) | instskip(NEXT) | instid1(VALU_DEP_1)
	v_or3_b32 v28, v5, v4, v9
	v_dual_mov_b32 v14, v28 :: v_dual_mov_b32 v15, v29
.LBB239_502:                            ;   in Loop: Header=BB239_13 Depth=1
	s_or_b32 exec_lo, exec_lo, s25
.LBB239_503:                            ;   in Loop: Header=BB239_13 Depth=1
	s_delay_alu instid0(SALU_CYCLE_1)
	s_or_b32 exec_lo, exec_lo, s24
.LBB239_504:                            ;   in Loop: Header=BB239_13 Depth=1
	s_delay_alu instid0(SALU_CYCLE_1) | instskip(SKIP_2) | instid1(VALU_DEP_1)
	s_or_b32 exec_lo, exec_lo, s18
	v_lshrrev_b16 v9, 8, v8
	s_mov_b32 s24, exec_lo
	v_cmpx_ne_u16_e32 0, v9
	s_cbranch_execz .LBB239_512
; %bb.505:                              ;   in Loop: Header=BB239_13 Depth=1
	v_dual_mov_b32 v2, s16 :: v_dual_mov_b32 v3, s17
	s_mov_b32 s25, exec_lo
	v_cmpx_ne_u16_e32 0x80, v9
	s_cbranch_execz .LBB239_511
; %bb.506:                              ;   in Loop: Header=BB239_13 Depth=1
	s_mov_b32 s18, s16
	v_and_b32_e32 v4, 0xffff, v9
	v_dual_mov_b32 v2, s18 :: v_dual_mov_b32 v3, s19
	s_mov_b32 s18, exec_lo
	s_delay_alu instid0(VALU_DEP_2) | instskip(NEXT) | instid1(VALU_DEP_1)
	v_and_b32_e32 v9, 0x7f, v4
	v_cmpx_ne_u32_e32 0x7f, v9
	s_cbranch_execz .LBB239_510
; %bb.507:                              ;   in Loop: Header=BB239_13 Depth=1
	v_and_b32_e32 v28, 7, v4
	v_lshrrev_b32_e32 v2, 3, v9
	s_mov_b32 s26, exec_lo
	v_cmpx_gt_u32_e32 8, v9
; %bb.508:                              ;   in Loop: Header=BB239_13 Depth=1
	s_delay_alu instid0(VALU_DEP_3) | instskip(NEXT) | instid1(VALU_DEP_1)
	v_clz_i32_u32_e32 v2, v28
	v_min_u32_e32 v2, 32, v2
	s_delay_alu instid0(VALU_DEP_1) | instskip(SKIP_1) | instid1(VALU_DEP_2)
	v_subrev_nc_u32_e32 v3, 28, v2
	v_sub_nc_u32_e32 v2, 29, v2
	v_lshlrev_b64 v[3:4], v3, v[28:29]
	s_delay_alu instid0(VALU_DEP_1)
	v_and_b32_e32 v28, 7, v3
; %bb.509:                              ;   in Loop: Header=BB239_13 Depth=1
	s_or_b32 exec_lo, exec_lo, s26
	v_lshlrev_b32_e32 v3, 16, v8
	s_delay_alu instid0(VALU_DEP_2) | instskip(SKIP_1) | instid1(VALU_DEP_3)
	v_lshlrev_b32_e32 v4, 20, v28
	v_lshl_add_u32 v2, v2, 23, 0x3c000000
	v_and_b32_e32 v3, 0x80000000, v3
	s_delay_alu instid0(VALU_DEP_1)
	v_or3_b32 v3, v4, v3, v2
	v_mov_b32_e32 v2, v29
.LBB239_510:                            ;   in Loop: Header=BB239_13 Depth=1
	s_or_b32 exec_lo, exec_lo, s18
.LBB239_511:                            ;   in Loop: Header=BB239_13 Depth=1
	s_delay_alu instid0(SALU_CYCLE_1)
	s_or_b32 exec_lo, exec_lo, s25
.LBB239_512:                            ;   in Loop: Header=BB239_13 Depth=1
	s_delay_alu instid0(SALU_CYCLE_1)
	s_or_b32 exec_lo, exec_lo, s24
	flat_load_u16 v4, v[6:7] offset:12
	v_mov_b32_e32 v26, 0
	v_mov_b32_e32 v27, 0
	s_mov_b32 s18, exec_lo
	s_waitcnt vmcnt(0) lgkmcnt(0)
	v_and_b32_e32 v6, 0xffff, v4
	v_and_b32_e32 v5, 0xff, v4
	v_dual_mov_b32 v129, v27 :: v_dual_mov_b32 v128, v26
	s_delay_alu instid0(VALU_DEP_2)
	v_cmpx_ne_u16_e32 0, v5
	s_cbranch_execz .LBB239_520
; %bb.513:                              ;   in Loop: Header=BB239_13 Depth=1
	v_bfrev_b32_e32 v128, 1
	v_dual_mov_b32 v129, 0 :: v_dual_and_b32 v4, 0xff, v6
	s_mov_b32 s24, exec_lo
	s_delay_alu instid0(VALU_DEP_1)
	v_cmpx_ne_u16_e32 0x80, v4
	s_cbranch_execz .LBB239_519
; %bb.514:                              ;   in Loop: Header=BB239_13 Depth=1
	v_mov_b32_e32 v128, 0x7f800001
	v_dual_mov_b32 v129, 0 :: v_dual_and_b32 v4, 0x7f, v6
	s_mov_b32 s25, exec_lo
	s_delay_alu instid0(VALU_DEP_1)
	v_cmpx_ne_u32_e32 0x7f, v4
	s_cbranch_execz .LBB239_518
; %bb.515:                              ;   in Loop: Header=BB239_13 Depth=1
	v_and_b32_e32 v28, 7, v6
	v_lshrrev_b32_e32 v7, 3, v4
	s_mov_b32 s26, exec_lo
	v_cmpx_gt_u32_e32 8, v4
; %bb.516:                              ;   in Loop: Header=BB239_13 Depth=1
	s_delay_alu instid0(VALU_DEP_3) | instskip(NEXT) | instid1(VALU_DEP_1)
	v_clz_i32_u32_e32 v4, v28
	v_min_u32_e32 v7, 32, v4
	s_delay_alu instid0(VALU_DEP_1) | instskip(SKIP_1) | instid1(VALU_DEP_2)
	v_subrev_nc_u32_e32 v4, 28, v7
	v_sub_nc_u32_e32 v7, 29, v7
	v_lshlrev_b64 v[4:5], v4, v[28:29]
	s_delay_alu instid0(VALU_DEP_1)
	v_and_b32_e32 v28, 7, v4
; %bb.517:                              ;   in Loop: Header=BB239_13 Depth=1
	s_or_b32 exec_lo, exec_lo, s26
	v_lshlrev_b32_e32 v4, 24, v6
	s_delay_alu instid0(VALU_DEP_2) | instskip(SKIP_1) | instid1(VALU_DEP_3)
	v_lshlrev_b32_e32 v5, 20, v28
	v_lshl_add_u32 v7, v7, 23, 0x3c000000
	v_and_b32_e32 v4, 0x80000000, v4
	s_delay_alu instid0(VALU_DEP_1) | instskip(NEXT) | instid1(VALU_DEP_1)
	v_or3_b32 v28, v5, v4, v7
	v_dual_mov_b32 v129, v29 :: v_dual_mov_b32 v128, v28
.LBB239_518:                            ;   in Loop: Header=BB239_13 Depth=1
	s_or_b32 exec_lo, exec_lo, s25
.LBB239_519:                            ;   in Loop: Header=BB239_13 Depth=1
	s_delay_alu instid0(SALU_CYCLE_1)
	s_or_b32 exec_lo, exec_lo, s24
.LBB239_520:                            ;   in Loop: Header=BB239_13 Depth=1
	s_delay_alu instid0(SALU_CYCLE_1) | instskip(SKIP_2) | instid1(VALU_DEP_1)
	s_or_b32 exec_lo, exec_lo, s18
	v_lshrrev_b16 v7, 8, v6
	s_mov_b32 s24, exec_lo
	v_cmpx_ne_u16_e32 0, v7
	s_cbranch_execz .LBB239_528
; %bb.521:                              ;   in Loop: Header=BB239_13 Depth=1
	v_dual_mov_b32 v27, s17 :: v_dual_mov_b32 v26, s16
	s_mov_b32 s25, exec_lo
	v_cmpx_ne_u16_e32 0x80, v7
	s_cbranch_execz .LBB239_527
; %bb.522:                              ;   in Loop: Header=BB239_13 Depth=1
	s_mov_b32 s18, s16
	v_dual_mov_b32 v27, s19 :: v_dual_and_b32 v4, 0xffff, v7
	v_mov_b32_e32 v26, s18
	s_mov_b32 s18, exec_lo
	s_delay_alu instid0(VALU_DEP_2) | instskip(NEXT) | instid1(VALU_DEP_1)
	v_and_b32_e32 v8, 0x7f, v4
	v_cmpx_ne_u32_e32 0x7f, v8
	s_cbranch_execz .LBB239_526
; %bb.523:                              ;   in Loop: Header=BB239_13 Depth=1
	v_and_b32_e32 v28, 7, v4
	v_lshrrev_b32_e32 v7, 3, v8
	s_mov_b32 s26, exec_lo
	v_cmpx_gt_u32_e32 8, v8
; %bb.524:                              ;   in Loop: Header=BB239_13 Depth=1
	s_delay_alu instid0(VALU_DEP_3) | instskip(NEXT) | instid1(VALU_DEP_1)
	v_clz_i32_u32_e32 v4, v28
	v_min_u32_e32 v7, 32, v4
	s_delay_alu instid0(VALU_DEP_1) | instskip(SKIP_1) | instid1(VALU_DEP_2)
	v_subrev_nc_u32_e32 v4, 28, v7
	v_sub_nc_u32_e32 v7, 29, v7
	v_lshlrev_b64 v[4:5], v4, v[28:29]
	s_delay_alu instid0(VALU_DEP_1)
	v_and_b32_e32 v28, 7, v4
; %bb.525:                              ;   in Loop: Header=BB239_13 Depth=1
	s_or_b32 exec_lo, exec_lo, s26
	v_lshlrev_b32_e32 v4, 16, v6
	s_delay_alu instid0(VALU_DEP_2) | instskip(SKIP_1) | instid1(VALU_DEP_3)
	v_dual_mov_b32 v26, v29 :: v_dual_lshlrev_b32 v5, 20, v28
	v_lshl_add_u32 v6, v7, 23, 0x3c000000
	v_and_b32_e32 v4, 0x80000000, v4
	s_delay_alu instid0(VALU_DEP_1)
	v_or3_b32 v27, v5, v4, v6
.LBB239_526:                            ;   in Loop: Header=BB239_13 Depth=1
	s_or_b32 exec_lo, exec_lo, s18
.LBB239_527:                            ;   in Loop: Header=BB239_13 Depth=1
	s_delay_alu instid0(SALU_CYCLE_1)
	s_or_b32 exec_lo, exec_lo, s25
.LBB239_528:                            ;   in Loop: Header=BB239_13 Depth=1
	s_delay_alu instid0(SALU_CYCLE_1)
	s_or_b32 exec_lo, exec_lo, s24
	flat_load_u16 v4, v[162:163] offset:2048
	v_mov_b32_e32 v23, 0
	v_mov_b32_e32 v24, 0
	s_mov_b32 s18, exec_lo
	s_waitcnt vmcnt(0) lgkmcnt(0)
	v_and_b32_e32 v5, 0xff, v4
	s_delay_alu instid0(VALU_DEP_2) | instskip(SKIP_1) | instid1(VALU_DEP_3)
	v_dual_mov_b32 v133, v24 :: v_dual_and_b32 v6, 0xffff, v4
	v_mov_b32_e32 v132, v23
	v_cmpx_ne_u16_e32 0, v5
	s_cbranch_execz .LBB239_536
; %bb.529:                              ;   in Loop: Header=BB239_13 Depth=1
	v_bfrev_b32_e32 v132, 1
	v_dual_mov_b32 v133, 0 :: v_dual_and_b32 v4, 0xff, v6
	s_mov_b32 s24, exec_lo
	s_delay_alu instid0(VALU_DEP_1)
	v_cmpx_ne_u16_e32 0x80, v4
	s_cbranch_execz .LBB239_535
; %bb.530:                              ;   in Loop: Header=BB239_13 Depth=1
	v_mov_b32_e32 v132, 0x7f800001
	v_dual_mov_b32 v133, 0 :: v_dual_and_b32 v4, 0x7f, v6
	s_mov_b32 s25, exec_lo
	s_delay_alu instid0(VALU_DEP_1)
	v_cmpx_ne_u32_e32 0x7f, v4
	s_cbranch_execz .LBB239_534
; %bb.531:                              ;   in Loop: Header=BB239_13 Depth=1
	v_and_b32_e32 v28, 7, v6
	v_lshrrev_b32_e32 v7, 3, v4
	s_mov_b32 s26, exec_lo
	v_cmpx_gt_u32_e32 8, v4
; %bb.532:                              ;   in Loop: Header=BB239_13 Depth=1
	s_delay_alu instid0(VALU_DEP_3) | instskip(NEXT) | instid1(VALU_DEP_1)
	v_clz_i32_u32_e32 v4, v28
	v_min_u32_e32 v7, 32, v4
	s_delay_alu instid0(VALU_DEP_1) | instskip(SKIP_1) | instid1(VALU_DEP_2)
	v_subrev_nc_u32_e32 v4, 28, v7
	v_sub_nc_u32_e32 v7, 29, v7
	v_lshlrev_b64 v[4:5], v4, v[28:29]
	s_delay_alu instid0(VALU_DEP_1)
	v_and_b32_e32 v28, 7, v4
; %bb.533:                              ;   in Loop: Header=BB239_13 Depth=1
	s_or_b32 exec_lo, exec_lo, s26
	v_lshlrev_b32_e32 v4, 24, v6
	s_delay_alu instid0(VALU_DEP_2) | instskip(SKIP_1) | instid1(VALU_DEP_3)
	v_lshlrev_b32_e32 v5, 20, v28
	v_lshl_add_u32 v7, v7, 23, 0x3c000000
	v_and_b32_e32 v4, 0x80000000, v4
	s_delay_alu instid0(VALU_DEP_1) | instskip(NEXT) | instid1(VALU_DEP_1)
	v_or3_b32 v28, v5, v4, v7
	v_dual_mov_b32 v133, v29 :: v_dual_mov_b32 v132, v28
.LBB239_534:                            ;   in Loop: Header=BB239_13 Depth=1
	s_or_b32 exec_lo, exec_lo, s25
.LBB239_535:                            ;   in Loop: Header=BB239_13 Depth=1
	s_delay_alu instid0(SALU_CYCLE_1)
	s_or_b32 exec_lo, exec_lo, s24
.LBB239_536:                            ;   in Loop: Header=BB239_13 Depth=1
	s_delay_alu instid0(SALU_CYCLE_1) | instskip(SKIP_2) | instid1(VALU_DEP_1)
	s_or_b32 exec_lo, exec_lo, s18
	v_lshrrev_b16 v7, 8, v6
	s_mov_b32 s24, exec_lo
	v_cmpx_ne_u16_e32 0, v7
	s_cbranch_execz .LBB239_544
; %bb.537:                              ;   in Loop: Header=BB239_13 Depth=1
	v_dual_mov_b32 v24, s17 :: v_dual_mov_b32 v23, s16
	s_mov_b32 s25, exec_lo
	v_cmpx_ne_u16_e32 0x80, v7
	s_cbranch_execz .LBB239_543
; %bb.538:                              ;   in Loop: Header=BB239_13 Depth=1
	s_mov_b32 s18, s16
	v_and_b32_e32 v4, 0xffff, v7
	v_dual_mov_b32 v24, s19 :: v_dual_mov_b32 v23, s18
	s_mov_b32 s18, exec_lo
	s_delay_alu instid0(VALU_DEP_2) | instskip(NEXT) | instid1(VALU_DEP_1)
	v_and_b32_e32 v8, 0x7f, v4
	v_cmpx_ne_u32_e32 0x7f, v8
	s_cbranch_execz .LBB239_542
; %bb.539:                              ;   in Loop: Header=BB239_13 Depth=1
	v_and_b32_e32 v28, 7, v4
	v_lshrrev_b32_e32 v7, 3, v8
	s_mov_b32 s26, exec_lo
	v_cmpx_gt_u32_e32 8, v8
; %bb.540:                              ;   in Loop: Header=BB239_13 Depth=1
	s_delay_alu instid0(VALU_DEP_3) | instskip(NEXT) | instid1(VALU_DEP_1)
	v_clz_i32_u32_e32 v4, v28
	v_min_u32_e32 v7, 32, v4
	s_delay_alu instid0(VALU_DEP_1) | instskip(SKIP_1) | instid1(VALU_DEP_2)
	v_subrev_nc_u32_e32 v4, 28, v7
	v_sub_nc_u32_e32 v7, 29, v7
	v_lshlrev_b64 v[4:5], v4, v[28:29]
	s_delay_alu instid0(VALU_DEP_1)
	v_and_b32_e32 v28, 7, v4
; %bb.541:                              ;   in Loop: Header=BB239_13 Depth=1
	s_or_b32 exec_lo, exec_lo, s26
	v_dual_mov_b32 v23, v29 :: v_dual_lshlrev_b32 v4, 16, v6
	s_delay_alu instid0(VALU_DEP_2) | instskip(SKIP_1) | instid1(VALU_DEP_3)
	v_lshlrev_b32_e32 v5, 20, v28
	v_lshl_add_u32 v6, v7, 23, 0x3c000000
	v_and_b32_e32 v4, 0x80000000, v4
	s_delay_alu instid0(VALU_DEP_1)
	v_or3_b32 v24, v5, v4, v6
.LBB239_542:                            ;   in Loop: Header=BB239_13 Depth=1
	s_or_b32 exec_lo, exec_lo, s18
.LBB239_543:                            ;   in Loop: Header=BB239_13 Depth=1
	s_delay_alu instid0(SALU_CYCLE_1)
	s_or_b32 exec_lo, exec_lo, s25
.LBB239_544:                            ;   in Loop: Header=BB239_13 Depth=1
	s_delay_alu instid0(SALU_CYCLE_1)
	s_or_b32 exec_lo, exec_lo, s24
	flat_load_u16 v4, v[162:163] offset:2052
	v_mov_b32_e32 v144, 0
	v_mov_b32_e32 v145, 0
	s_mov_b32 s18, exec_lo
	s_waitcnt vmcnt(0) lgkmcnt(0)
	v_and_b32_e32 v6, 0xffff, v4
	v_and_b32_e32 v5, 0xff, v4
	v_dual_mov_b32 v149, v145 :: v_dual_mov_b32 v148, v144
	s_delay_alu instid0(VALU_DEP_2)
	v_cmpx_ne_u16_e32 0, v5
	s_cbranch_execz .LBB239_552
; %bb.545:                              ;   in Loop: Header=BB239_13 Depth=1
	v_bfrev_b32_e32 v148, 1
	v_dual_mov_b32 v149, 0 :: v_dual_and_b32 v4, 0xff, v6
	s_mov_b32 s24, exec_lo
	s_delay_alu instid0(VALU_DEP_1)
	v_cmpx_ne_u16_e32 0x80, v4
	s_cbranch_execz .LBB239_551
; %bb.546:                              ;   in Loop: Header=BB239_13 Depth=1
	v_mov_b32_e32 v148, 0x7f800001
	v_dual_mov_b32 v149, 0 :: v_dual_and_b32 v4, 0x7f, v6
	s_mov_b32 s25, exec_lo
	s_delay_alu instid0(VALU_DEP_1)
	v_cmpx_ne_u32_e32 0x7f, v4
	s_cbranch_execz .LBB239_550
; %bb.547:                              ;   in Loop: Header=BB239_13 Depth=1
	v_and_b32_e32 v28, 7, v6
	v_lshrrev_b32_e32 v7, 3, v4
	s_mov_b32 s26, exec_lo
	v_cmpx_gt_u32_e32 8, v4
; %bb.548:                              ;   in Loop: Header=BB239_13 Depth=1
	s_delay_alu instid0(VALU_DEP_3) | instskip(NEXT) | instid1(VALU_DEP_1)
	v_clz_i32_u32_e32 v4, v28
	v_min_u32_e32 v7, 32, v4
	s_delay_alu instid0(VALU_DEP_1) | instskip(SKIP_1) | instid1(VALU_DEP_2)
	v_subrev_nc_u32_e32 v4, 28, v7
	v_sub_nc_u32_e32 v7, 29, v7
	v_lshlrev_b64 v[4:5], v4, v[28:29]
	s_delay_alu instid0(VALU_DEP_1)
	v_and_b32_e32 v28, 7, v4
; %bb.549:                              ;   in Loop: Header=BB239_13 Depth=1
	s_or_b32 exec_lo, exec_lo, s26
	v_lshlrev_b32_e32 v4, 24, v6
	s_delay_alu instid0(VALU_DEP_2) | instskip(SKIP_1) | instid1(VALU_DEP_3)
	v_lshlrev_b32_e32 v5, 20, v28
	v_lshl_add_u32 v7, v7, 23, 0x3c000000
	v_and_b32_e32 v4, 0x80000000, v4
	s_delay_alu instid0(VALU_DEP_1) | instskip(NEXT) | instid1(VALU_DEP_1)
	v_or3_b32 v28, v5, v4, v7
	v_dual_mov_b32 v149, v29 :: v_dual_mov_b32 v148, v28
.LBB239_550:                            ;   in Loop: Header=BB239_13 Depth=1
	s_or_b32 exec_lo, exec_lo, s25
.LBB239_551:                            ;   in Loop: Header=BB239_13 Depth=1
	s_delay_alu instid0(SALU_CYCLE_1)
	s_or_b32 exec_lo, exec_lo, s24
.LBB239_552:                            ;   in Loop: Header=BB239_13 Depth=1
	s_delay_alu instid0(SALU_CYCLE_1) | instskip(SKIP_2) | instid1(VALU_DEP_1)
	s_or_b32 exec_lo, exec_lo, s18
	v_lshrrev_b16 v7, 8, v6
	s_mov_b32 s24, exec_lo
	v_cmpx_ne_u16_e32 0, v7
	s_cbranch_execz .LBB239_560
; %bb.553:                              ;   in Loop: Header=BB239_13 Depth=1
	v_dual_mov_b32 v145, s17 :: v_dual_mov_b32 v144, s16
	s_mov_b32 s25, exec_lo
	v_cmpx_ne_u16_e32 0x80, v7
	s_cbranch_execz .LBB239_559
; %bb.554:                              ;   in Loop: Header=BB239_13 Depth=1
	s_mov_b32 s18, s16
	v_dual_mov_b32 v145, s19 :: v_dual_and_b32 v4, 0xffff, v7
	v_mov_b32_e32 v144, s18
	s_mov_b32 s18, exec_lo
	s_delay_alu instid0(VALU_DEP_2) | instskip(NEXT) | instid1(VALU_DEP_1)
	v_and_b32_e32 v8, 0x7f, v4
	v_cmpx_ne_u32_e32 0x7f, v8
	s_cbranch_execz .LBB239_558
; %bb.555:                              ;   in Loop: Header=BB239_13 Depth=1
	v_and_b32_e32 v28, 7, v4
	v_lshrrev_b32_e32 v7, 3, v8
	s_mov_b32 s26, exec_lo
	v_cmpx_gt_u32_e32 8, v8
; %bb.556:                              ;   in Loop: Header=BB239_13 Depth=1
	s_delay_alu instid0(VALU_DEP_3) | instskip(NEXT) | instid1(VALU_DEP_1)
	v_clz_i32_u32_e32 v4, v28
	v_min_u32_e32 v7, 32, v4
	s_delay_alu instid0(VALU_DEP_1) | instskip(SKIP_1) | instid1(VALU_DEP_2)
	v_subrev_nc_u32_e32 v4, 28, v7
	v_sub_nc_u32_e32 v7, 29, v7
	v_lshlrev_b64 v[4:5], v4, v[28:29]
	s_delay_alu instid0(VALU_DEP_1)
	v_and_b32_e32 v28, 7, v4
; %bb.557:                              ;   in Loop: Header=BB239_13 Depth=1
	s_or_b32 exec_lo, exec_lo, s26
	v_lshlrev_b32_e32 v4, 16, v6
	s_delay_alu instid0(VALU_DEP_2) | instskip(SKIP_1) | instid1(VALU_DEP_3)
	v_dual_mov_b32 v144, v29 :: v_dual_lshlrev_b32 v5, 20, v28
	v_lshl_add_u32 v6, v7, 23, 0x3c000000
	v_and_b32_e32 v4, 0x80000000, v4
	s_delay_alu instid0(VALU_DEP_1)
	v_or3_b32 v145, v5, v4, v6
.LBB239_558:                            ;   in Loop: Header=BB239_13 Depth=1
	s_or_b32 exec_lo, exec_lo, s18
.LBB239_559:                            ;   in Loop: Header=BB239_13 Depth=1
	s_delay_alu instid0(SALU_CYCLE_1)
	s_or_b32 exec_lo, exec_lo, s25
.LBB239_560:                            ;   in Loop: Header=BB239_13 Depth=1
	s_delay_alu instid0(SALU_CYCLE_1) | instskip(SKIP_1) | instid1(VALU_DEP_1)
	s_or_b32 exec_lo, exec_lo, s24
	v_add_co_u32 v6, s2, 0x800, v162
	v_add_co_ci_u32_e64 v7, s2, 0, v163, s2
	s_mov_b32 s18, exec_lo
	flat_load_u16 v4, v[6:7] offset:8
	v_mov_b32_e32 v160, 0
	s_waitcnt vmcnt(0) lgkmcnt(0)
	v_dual_mov_b32 v161, 0 :: v_dual_and_b32 v8, 0xffff, v4
	s_delay_alu instid0(VALU_DEP_2) | instskip(NEXT) | instid1(VALU_DEP_2)
	v_dual_mov_b32 v76, v160 :: v_dual_and_b32 v5, 0xff, v4
	v_mov_b32_e32 v77, v161
	s_delay_alu instid0(VALU_DEP_2)
	v_cmpx_ne_u16_e32 0, v5
	s_cbranch_execz .LBB239_568
; %bb.561:                              ;   in Loop: Header=BB239_13 Depth=1
	v_bfrev_b32_e32 v76, 1
	v_dual_mov_b32 v77, 0 :: v_dual_and_b32 v4, 0xff, v8
	s_mov_b32 s24, exec_lo
	s_delay_alu instid0(VALU_DEP_1)
	v_cmpx_ne_u16_e32 0x80, v4
	s_cbranch_execz .LBB239_567
; %bb.562:                              ;   in Loop: Header=BB239_13 Depth=1
	v_mov_b32_e32 v76, 0x7f800001
	v_dual_mov_b32 v77, 0 :: v_dual_and_b32 v4, 0x7f, v8
	s_mov_b32 s25, exec_lo
	s_delay_alu instid0(VALU_DEP_1)
	v_cmpx_ne_u32_e32 0x7f, v4
	s_cbranch_execz .LBB239_566
; %bb.563:                              ;   in Loop: Header=BB239_13 Depth=1
	v_and_b32_e32 v28, 7, v8
	v_lshrrev_b32_e32 v9, 3, v4
	s_mov_b32 s26, exec_lo
	v_cmpx_gt_u32_e32 8, v4
; %bb.564:                              ;   in Loop: Header=BB239_13 Depth=1
	s_delay_alu instid0(VALU_DEP_3) | instskip(NEXT) | instid1(VALU_DEP_1)
	v_clz_i32_u32_e32 v4, v28
	v_min_u32_e32 v9, 32, v4
	s_delay_alu instid0(VALU_DEP_1) | instskip(SKIP_1) | instid1(VALU_DEP_2)
	v_subrev_nc_u32_e32 v4, 28, v9
	v_sub_nc_u32_e32 v9, 29, v9
	v_lshlrev_b64 v[4:5], v4, v[28:29]
	s_delay_alu instid0(VALU_DEP_1)
	v_and_b32_e32 v28, 7, v4
; %bb.565:                              ;   in Loop: Header=BB239_13 Depth=1
	s_or_b32 exec_lo, exec_lo, s26
	v_lshlrev_b32_e32 v4, 24, v8
	s_delay_alu instid0(VALU_DEP_2) | instskip(SKIP_1) | instid1(VALU_DEP_3)
	v_lshlrev_b32_e32 v5, 20, v28
	v_lshl_add_u32 v9, v9, 23, 0x3c000000
	v_and_b32_e32 v4, 0x80000000, v4
	s_delay_alu instid0(VALU_DEP_1) | instskip(NEXT) | instid1(VALU_DEP_1)
	v_or3_b32 v28, v5, v4, v9
	v_dual_mov_b32 v77, v29 :: v_dual_mov_b32 v76, v28
.LBB239_566:                            ;   in Loop: Header=BB239_13 Depth=1
	s_or_b32 exec_lo, exec_lo, s25
.LBB239_567:                            ;   in Loop: Header=BB239_13 Depth=1
	s_delay_alu instid0(SALU_CYCLE_1)
	s_or_b32 exec_lo, exec_lo, s24
.LBB239_568:                            ;   in Loop: Header=BB239_13 Depth=1
	s_delay_alu instid0(SALU_CYCLE_1) | instskip(SKIP_2) | instid1(VALU_DEP_1)
	s_or_b32 exec_lo, exec_lo, s18
	v_lshrrev_b16 v9, 8, v8
	s_mov_b32 s24, exec_lo
	v_cmpx_ne_u16_e32 0, v9
	s_cbranch_execz .LBB239_576
; %bb.569:                              ;   in Loop: Header=BB239_13 Depth=1
	v_dual_mov_b32 v161, s17 :: v_dual_mov_b32 v160, s16
	s_mov_b32 s25, exec_lo
	v_cmpx_ne_u16_e32 0x80, v9
	s_cbranch_execz .LBB239_575
; %bb.570:                              ;   in Loop: Header=BB239_13 Depth=1
	s_mov_b32 s18, s16
	v_dual_mov_b32 v161, s19 :: v_dual_and_b32 v4, 0xffff, v9
	v_mov_b32_e32 v160, s18
	s_mov_b32 s18, exec_lo
	s_delay_alu instid0(VALU_DEP_2) | instskip(NEXT) | instid1(VALU_DEP_1)
	v_and_b32_e32 v16, 0x7f, v4
	v_cmpx_ne_u32_e32 0x7f, v16
	s_cbranch_execz .LBB239_574
; %bb.571:                              ;   in Loop: Header=BB239_13 Depth=1
	v_and_b32_e32 v28, 7, v4
	v_lshrrev_b32_e32 v9, 3, v16
	s_mov_b32 s26, exec_lo
	v_cmpx_gt_u32_e32 8, v16
; %bb.572:                              ;   in Loop: Header=BB239_13 Depth=1
	s_delay_alu instid0(VALU_DEP_3) | instskip(NEXT) | instid1(VALU_DEP_1)
	v_clz_i32_u32_e32 v4, v28
	v_min_u32_e32 v9, 32, v4
	s_delay_alu instid0(VALU_DEP_1) | instskip(SKIP_1) | instid1(VALU_DEP_2)
	v_subrev_nc_u32_e32 v4, 28, v9
	v_sub_nc_u32_e32 v9, 29, v9
	v_lshlrev_b64 v[4:5], v4, v[28:29]
	s_delay_alu instid0(VALU_DEP_1)
	v_and_b32_e32 v28, 7, v4
; %bb.573:                              ;   in Loop: Header=BB239_13 Depth=1
	s_or_b32 exec_lo, exec_lo, s26
	v_lshlrev_b32_e32 v4, 16, v8
	s_delay_alu instid0(VALU_DEP_2) | instskip(SKIP_1) | instid1(VALU_DEP_3)
	v_dual_mov_b32 v160, v29 :: v_dual_lshlrev_b32 v5, 20, v28
	v_lshl_add_u32 v8, v9, 23, 0x3c000000
	v_and_b32_e32 v4, 0x80000000, v4
	s_delay_alu instid0(VALU_DEP_1)
	v_or3_b32 v161, v5, v4, v8
.LBB239_574:                            ;   in Loop: Header=BB239_13 Depth=1
	s_or_b32 exec_lo, exec_lo, s18
.LBB239_575:                            ;   in Loop: Header=BB239_13 Depth=1
	s_delay_alu instid0(SALU_CYCLE_1)
	s_or_b32 exec_lo, exec_lo, s25
.LBB239_576:                            ;   in Loop: Header=BB239_13 Depth=1
	s_delay_alu instid0(SALU_CYCLE_1)
	s_or_b32 exec_lo, exec_lo, s24
	flat_load_u16 v4, v[6:7] offset:12
	v_mov_b32_e32 v178, 0
	v_mov_b32_e32 v179, 0
	s_mov_b32 s18, exec_lo
	s_waitcnt vmcnt(0) lgkmcnt(0)
	v_and_b32_e32 v6, 0xffff, v4
	v_dual_mov_b32 v88, v178 :: v_dual_and_b32 v5, 0xff, v4
	v_mov_b32_e32 v89, v179
	s_delay_alu instid0(VALU_DEP_2)
	v_cmpx_ne_u16_e32 0, v5
	s_cbranch_execz .LBB239_584
; %bb.577:                              ;   in Loop: Header=BB239_13 Depth=1
	v_bfrev_b32_e32 v88, 1
	v_dual_mov_b32 v89, 0 :: v_dual_and_b32 v4, 0xff, v6
	s_mov_b32 s24, exec_lo
	s_delay_alu instid0(VALU_DEP_1)
	v_cmpx_ne_u16_e32 0x80, v4
	s_cbranch_execz .LBB239_583
; %bb.578:                              ;   in Loop: Header=BB239_13 Depth=1
	v_mov_b32_e32 v88, 0x7f800001
	v_dual_mov_b32 v89, 0 :: v_dual_and_b32 v4, 0x7f, v6
	s_mov_b32 s25, exec_lo
	s_delay_alu instid0(VALU_DEP_1)
	v_cmpx_ne_u32_e32 0x7f, v4
	s_cbranch_execz .LBB239_582
; %bb.579:                              ;   in Loop: Header=BB239_13 Depth=1
	v_and_b32_e32 v28, 7, v6
	v_lshrrev_b32_e32 v7, 3, v4
	s_mov_b32 s26, exec_lo
	v_cmpx_gt_u32_e32 8, v4
; %bb.580:                              ;   in Loop: Header=BB239_13 Depth=1
	s_delay_alu instid0(VALU_DEP_3) | instskip(NEXT) | instid1(VALU_DEP_1)
	v_clz_i32_u32_e32 v4, v28
	v_min_u32_e32 v7, 32, v4
	s_delay_alu instid0(VALU_DEP_1) | instskip(SKIP_1) | instid1(VALU_DEP_2)
	v_subrev_nc_u32_e32 v4, 28, v7
	v_sub_nc_u32_e32 v7, 29, v7
	v_lshlrev_b64 v[4:5], v4, v[28:29]
	s_delay_alu instid0(VALU_DEP_1)
	v_and_b32_e32 v28, 7, v4
; %bb.581:                              ;   in Loop: Header=BB239_13 Depth=1
	s_or_b32 exec_lo, exec_lo, s26
	v_lshlrev_b32_e32 v4, 24, v6
	s_delay_alu instid0(VALU_DEP_2) | instskip(SKIP_1) | instid1(VALU_DEP_3)
	v_lshlrev_b32_e32 v5, 20, v28
	v_lshl_add_u32 v7, v7, 23, 0x3c000000
	v_and_b32_e32 v4, 0x80000000, v4
	s_delay_alu instid0(VALU_DEP_1) | instskip(NEXT) | instid1(VALU_DEP_1)
	v_or3_b32 v28, v5, v4, v7
	v_dual_mov_b32 v89, v29 :: v_dual_mov_b32 v88, v28
.LBB239_582:                            ;   in Loop: Header=BB239_13 Depth=1
	s_or_b32 exec_lo, exec_lo, s25
.LBB239_583:                            ;   in Loop: Header=BB239_13 Depth=1
	s_delay_alu instid0(SALU_CYCLE_1)
	s_or_b32 exec_lo, exec_lo, s24
.LBB239_584:                            ;   in Loop: Header=BB239_13 Depth=1
	s_delay_alu instid0(SALU_CYCLE_1) | instskip(SKIP_2) | instid1(VALU_DEP_1)
	s_or_b32 exec_lo, exec_lo, s18
	v_lshrrev_b16 v7, 8, v6
	s_mov_b32 s24, exec_lo
	v_cmpx_ne_u16_e32 0, v7
	s_cbranch_execz .LBB239_592
; %bb.585:                              ;   in Loop: Header=BB239_13 Depth=1
	v_dual_mov_b32 v179, s17 :: v_dual_mov_b32 v178, s16
	s_mov_b32 s25, exec_lo
	v_cmpx_ne_u16_e32 0x80, v7
	s_cbranch_execz .LBB239_591
; %bb.586:                              ;   in Loop: Header=BB239_13 Depth=1
	s_mov_b32 s18, s16
	v_dual_mov_b32 v179, s19 :: v_dual_and_b32 v4, 0xffff, v7
	v_mov_b32_e32 v178, s18
	s_mov_b32 s18, exec_lo
	s_delay_alu instid0(VALU_DEP_2) | instskip(NEXT) | instid1(VALU_DEP_1)
	v_and_b32_e32 v8, 0x7f, v4
	v_cmpx_ne_u32_e32 0x7f, v8
	s_cbranch_execz .LBB239_590
; %bb.587:                              ;   in Loop: Header=BB239_13 Depth=1
	v_and_b32_e32 v28, 7, v4
	v_lshrrev_b32_e32 v7, 3, v8
	s_mov_b32 s26, exec_lo
	v_cmpx_gt_u32_e32 8, v8
; %bb.588:                              ;   in Loop: Header=BB239_13 Depth=1
	s_delay_alu instid0(VALU_DEP_3) | instskip(NEXT) | instid1(VALU_DEP_1)
	v_clz_i32_u32_e32 v4, v28
	v_min_u32_e32 v7, 32, v4
	s_delay_alu instid0(VALU_DEP_1) | instskip(SKIP_1) | instid1(VALU_DEP_2)
	v_subrev_nc_u32_e32 v4, 28, v7
	v_sub_nc_u32_e32 v7, 29, v7
	v_lshlrev_b64 v[4:5], v4, v[28:29]
	s_delay_alu instid0(VALU_DEP_1)
	v_and_b32_e32 v28, 7, v4
; %bb.589:                              ;   in Loop: Header=BB239_13 Depth=1
	s_or_b32 exec_lo, exec_lo, s26
	v_lshlrev_b32_e32 v4, 16, v6
	s_delay_alu instid0(VALU_DEP_2) | instskip(SKIP_1) | instid1(VALU_DEP_3)
	v_dual_mov_b32 v178, v29 :: v_dual_lshlrev_b32 v5, 20, v28
	v_lshl_add_u32 v6, v7, 23, 0x3c000000
	v_and_b32_e32 v4, 0x80000000, v4
	s_delay_alu instid0(VALU_DEP_1)
	v_or3_b32 v179, v5, v4, v6
.LBB239_590:                            ;   in Loop: Header=BB239_13 Depth=1
	s_or_b32 exec_lo, exec_lo, s18
.LBB239_591:                            ;   in Loop: Header=BB239_13 Depth=1
	s_delay_alu instid0(SALU_CYCLE_1)
	s_or_b32 exec_lo, exec_lo, s25
.LBB239_592:                            ;   in Loop: Header=BB239_13 Depth=1
	s_delay_alu instid0(SALU_CYCLE_1)
	s_or_b32 exec_lo, exec_lo, s24
	flat_load_u16 v4, v[162:163] offset:2304
	v_mov_b32_e32 v41, 0
	v_mov_b32_e32 v42, 0
	s_mov_b32 s18, exec_lo
	s_waitcnt vmcnt(0) lgkmcnt(0)
	v_and_b32_e32 v5, 0xff, v4
	v_and_b32_e32 v6, 0xffff, v4
	v_dual_mov_b32 v46, v42 :: v_dual_mov_b32 v45, v41
	s_delay_alu instid0(VALU_DEP_3)
	v_cmpx_ne_u16_e32 0, v5
	s_cbranch_execz .LBB239_600
; %bb.593:                              ;   in Loop: Header=BB239_13 Depth=1
	v_bfrev_b32_e32 v45, 1
	v_and_b32_e32 v4, 0xff, v6
	v_mov_b32_e32 v46, 0
	s_mov_b32 s24, exec_lo
	s_delay_alu instid0(VALU_DEP_2)
	v_cmpx_ne_u16_e32 0x80, v4
	s_cbranch_execz .LBB239_599
; %bb.594:                              ;   in Loop: Header=BB239_13 Depth=1
	v_mov_b32_e32 v45, 0x7f800001
	v_and_b32_e32 v4, 0x7f, v6
	v_mov_b32_e32 v46, 0
	s_mov_b32 s25, exec_lo
	s_delay_alu instid0(VALU_DEP_2)
	v_cmpx_ne_u32_e32 0x7f, v4
	s_cbranch_execz .LBB239_598
; %bb.595:                              ;   in Loop: Header=BB239_13 Depth=1
	v_and_b32_e32 v28, 7, v6
	v_lshrrev_b32_e32 v7, 3, v4
	s_mov_b32 s26, exec_lo
	v_cmpx_gt_u32_e32 8, v4
; %bb.596:                              ;   in Loop: Header=BB239_13 Depth=1
	s_delay_alu instid0(VALU_DEP_3) | instskip(NEXT) | instid1(VALU_DEP_1)
	v_clz_i32_u32_e32 v4, v28
	v_min_u32_e32 v7, 32, v4
	s_delay_alu instid0(VALU_DEP_1) | instskip(SKIP_1) | instid1(VALU_DEP_2)
	v_subrev_nc_u32_e32 v4, 28, v7
	v_sub_nc_u32_e32 v7, 29, v7
	v_lshlrev_b64 v[4:5], v4, v[28:29]
	s_delay_alu instid0(VALU_DEP_1)
	v_and_b32_e32 v28, 7, v4
; %bb.597:                              ;   in Loop: Header=BB239_13 Depth=1
	s_or_b32 exec_lo, exec_lo, s26
	v_lshlrev_b32_e32 v4, 24, v6
	s_delay_alu instid0(VALU_DEP_2) | instskip(SKIP_1) | instid1(VALU_DEP_3)
	v_lshlrev_b32_e32 v5, 20, v28
	v_lshl_add_u32 v7, v7, 23, 0x3c000000
	v_and_b32_e32 v4, 0x80000000, v4
	s_delay_alu instid0(VALU_DEP_1) | instskip(NEXT) | instid1(VALU_DEP_1)
	v_or3_b32 v28, v5, v4, v7
	v_dual_mov_b32 v46, v29 :: v_dual_mov_b32 v45, v28
.LBB239_598:                            ;   in Loop: Header=BB239_13 Depth=1
	s_or_b32 exec_lo, exec_lo, s25
.LBB239_599:                            ;   in Loop: Header=BB239_13 Depth=1
	s_delay_alu instid0(SALU_CYCLE_1)
	s_or_b32 exec_lo, exec_lo, s24
.LBB239_600:                            ;   in Loop: Header=BB239_13 Depth=1
	s_delay_alu instid0(SALU_CYCLE_1) | instskip(SKIP_2) | instid1(VALU_DEP_1)
	s_or_b32 exec_lo, exec_lo, s18
	v_lshrrev_b16 v7, 8, v6
	s_mov_b32 s24, exec_lo
	v_cmpx_ne_u16_e32 0, v7
	s_cbranch_execz .LBB239_608
; %bb.601:                              ;   in Loop: Header=BB239_13 Depth=1
	v_dual_mov_b32 v42, s17 :: v_dual_mov_b32 v41, s16
	s_mov_b32 s25, exec_lo
	v_cmpx_ne_u16_e32 0x80, v7
	s_cbranch_execz .LBB239_607
; %bb.602:                              ;   in Loop: Header=BB239_13 Depth=1
	s_mov_b32 s18, s16
	v_and_b32_e32 v4, 0xffff, v7
	v_dual_mov_b32 v42, s19 :: v_dual_mov_b32 v41, s18
	s_mov_b32 s18, exec_lo
	s_delay_alu instid0(VALU_DEP_2) | instskip(NEXT) | instid1(VALU_DEP_1)
	v_and_b32_e32 v8, 0x7f, v4
	v_cmpx_ne_u32_e32 0x7f, v8
	s_cbranch_execz .LBB239_606
; %bb.603:                              ;   in Loop: Header=BB239_13 Depth=1
	v_and_b32_e32 v28, 7, v4
	v_lshrrev_b32_e32 v7, 3, v8
	s_mov_b32 s26, exec_lo
	v_cmpx_gt_u32_e32 8, v8
; %bb.604:                              ;   in Loop: Header=BB239_13 Depth=1
	s_delay_alu instid0(VALU_DEP_3) | instskip(NEXT) | instid1(VALU_DEP_1)
	v_clz_i32_u32_e32 v4, v28
	v_min_u32_e32 v7, 32, v4
	s_delay_alu instid0(VALU_DEP_1) | instskip(SKIP_1) | instid1(VALU_DEP_2)
	v_subrev_nc_u32_e32 v4, 28, v7
	v_sub_nc_u32_e32 v7, 29, v7
	v_lshlrev_b64 v[4:5], v4, v[28:29]
	s_delay_alu instid0(VALU_DEP_1)
	v_and_b32_e32 v28, 7, v4
; %bb.605:                              ;   in Loop: Header=BB239_13 Depth=1
	s_or_b32 exec_lo, exec_lo, s26
	v_dual_mov_b32 v41, v29 :: v_dual_lshlrev_b32 v4, 16, v6
	s_delay_alu instid0(VALU_DEP_2) | instskip(SKIP_1) | instid1(VALU_DEP_3)
	v_lshlrev_b32_e32 v5, 20, v28
	v_lshl_add_u32 v6, v7, 23, 0x3c000000
	v_and_b32_e32 v4, 0x80000000, v4
	s_delay_alu instid0(VALU_DEP_1)
	v_or3_b32 v42, v5, v4, v6
.LBB239_606:                            ;   in Loop: Header=BB239_13 Depth=1
	s_or_b32 exec_lo, exec_lo, s18
.LBB239_607:                            ;   in Loop: Header=BB239_13 Depth=1
	s_delay_alu instid0(SALU_CYCLE_1)
	s_or_b32 exec_lo, exec_lo, s25
.LBB239_608:                            ;   in Loop: Header=BB239_13 Depth=1
	s_delay_alu instid0(SALU_CYCLE_1)
	s_or_b32 exec_lo, exec_lo, s24
	flat_load_u16 v4, v[162:163] offset:2308
	v_mov_b32_e32 v58, 0
	v_mov_b32_e32 v59, 0
	s_mov_b32 s18, exec_lo
	s_waitcnt vmcnt(0) lgkmcnt(0)
	v_and_b32_e32 v6, 0xffff, v4
	v_and_b32_e32 v5, 0xff, v4
	v_dual_mov_b32 v63, v59 :: v_dual_mov_b32 v62, v58
	s_delay_alu instid0(VALU_DEP_2)
	v_cmpx_ne_u16_e32 0, v5
	s_cbranch_execz .LBB239_616
; %bb.609:                              ;   in Loop: Header=BB239_13 Depth=1
	v_bfrev_b32_e32 v62, 1
	v_dual_mov_b32 v63, 0 :: v_dual_and_b32 v4, 0xff, v6
	s_mov_b32 s24, exec_lo
	s_delay_alu instid0(VALU_DEP_1)
	v_cmpx_ne_u16_e32 0x80, v4
	s_cbranch_execz .LBB239_615
; %bb.610:                              ;   in Loop: Header=BB239_13 Depth=1
	v_mov_b32_e32 v62, 0x7f800001
	v_dual_mov_b32 v63, 0 :: v_dual_and_b32 v4, 0x7f, v6
	s_mov_b32 s25, exec_lo
	s_delay_alu instid0(VALU_DEP_1)
	v_cmpx_ne_u32_e32 0x7f, v4
	s_cbranch_execz .LBB239_614
; %bb.611:                              ;   in Loop: Header=BB239_13 Depth=1
	v_and_b32_e32 v28, 7, v6
	v_lshrrev_b32_e32 v7, 3, v4
	s_mov_b32 s26, exec_lo
	v_cmpx_gt_u32_e32 8, v4
; %bb.612:                              ;   in Loop: Header=BB239_13 Depth=1
	s_delay_alu instid0(VALU_DEP_3) | instskip(NEXT) | instid1(VALU_DEP_1)
	v_clz_i32_u32_e32 v4, v28
	v_min_u32_e32 v7, 32, v4
	s_delay_alu instid0(VALU_DEP_1) | instskip(SKIP_1) | instid1(VALU_DEP_2)
	v_subrev_nc_u32_e32 v4, 28, v7
	v_sub_nc_u32_e32 v7, 29, v7
	v_lshlrev_b64 v[4:5], v4, v[28:29]
	s_delay_alu instid0(VALU_DEP_1)
	v_and_b32_e32 v28, 7, v4
; %bb.613:                              ;   in Loop: Header=BB239_13 Depth=1
	s_or_b32 exec_lo, exec_lo, s26
	v_lshlrev_b32_e32 v4, 24, v6
	s_delay_alu instid0(VALU_DEP_2) | instskip(SKIP_1) | instid1(VALU_DEP_3)
	v_lshlrev_b32_e32 v5, 20, v28
	v_lshl_add_u32 v7, v7, 23, 0x3c000000
	v_and_b32_e32 v4, 0x80000000, v4
	s_delay_alu instid0(VALU_DEP_1) | instskip(NEXT) | instid1(VALU_DEP_1)
	v_or3_b32 v28, v5, v4, v7
	v_dual_mov_b32 v63, v29 :: v_dual_mov_b32 v62, v28
.LBB239_614:                            ;   in Loop: Header=BB239_13 Depth=1
	s_or_b32 exec_lo, exec_lo, s25
.LBB239_615:                            ;   in Loop: Header=BB239_13 Depth=1
	s_delay_alu instid0(SALU_CYCLE_1)
	s_or_b32 exec_lo, exec_lo, s24
.LBB239_616:                            ;   in Loop: Header=BB239_13 Depth=1
	s_delay_alu instid0(SALU_CYCLE_1) | instskip(SKIP_2) | instid1(VALU_DEP_1)
	s_or_b32 exec_lo, exec_lo, s18
	v_lshrrev_b16 v7, 8, v6
	s_mov_b32 s24, exec_lo
	v_cmpx_ne_u16_e32 0, v7
	s_cbranch_execz .LBB239_624
; %bb.617:                              ;   in Loop: Header=BB239_13 Depth=1
	v_dual_mov_b32 v59, s17 :: v_dual_mov_b32 v58, s16
	s_mov_b32 s25, exec_lo
	v_cmpx_ne_u16_e32 0x80, v7
	s_cbranch_execz .LBB239_623
; %bb.618:                              ;   in Loop: Header=BB239_13 Depth=1
	s_mov_b32 s18, s16
	v_dual_mov_b32 v59, s19 :: v_dual_and_b32 v4, 0xffff, v7
	v_mov_b32_e32 v58, s18
	s_mov_b32 s18, exec_lo
	s_delay_alu instid0(VALU_DEP_2) | instskip(NEXT) | instid1(VALU_DEP_1)
	v_and_b32_e32 v8, 0x7f, v4
	v_cmpx_ne_u32_e32 0x7f, v8
	s_cbranch_execz .LBB239_622
; %bb.619:                              ;   in Loop: Header=BB239_13 Depth=1
	v_and_b32_e32 v28, 7, v4
	v_lshrrev_b32_e32 v7, 3, v8
	s_mov_b32 s26, exec_lo
	v_cmpx_gt_u32_e32 8, v8
; %bb.620:                              ;   in Loop: Header=BB239_13 Depth=1
	s_delay_alu instid0(VALU_DEP_3) | instskip(NEXT) | instid1(VALU_DEP_1)
	v_clz_i32_u32_e32 v4, v28
	v_min_u32_e32 v7, 32, v4
	s_delay_alu instid0(VALU_DEP_1) | instskip(SKIP_1) | instid1(VALU_DEP_2)
	v_subrev_nc_u32_e32 v4, 28, v7
	v_sub_nc_u32_e32 v7, 29, v7
	v_lshlrev_b64 v[4:5], v4, v[28:29]
	s_delay_alu instid0(VALU_DEP_1)
	v_and_b32_e32 v28, 7, v4
; %bb.621:                              ;   in Loop: Header=BB239_13 Depth=1
	s_or_b32 exec_lo, exec_lo, s26
	v_lshlrev_b32_e32 v4, 16, v6
	s_delay_alu instid0(VALU_DEP_2) | instskip(SKIP_1) | instid1(VALU_DEP_3)
	v_dual_mov_b32 v58, v29 :: v_dual_lshlrev_b32 v5, 20, v28
	v_lshl_add_u32 v6, v7, 23, 0x3c000000
	v_and_b32_e32 v4, 0x80000000, v4
	s_delay_alu instid0(VALU_DEP_1)
	v_or3_b32 v59, v5, v4, v6
.LBB239_622:                            ;   in Loop: Header=BB239_13 Depth=1
	s_or_b32 exec_lo, exec_lo, s18
.LBB239_623:                            ;   in Loop: Header=BB239_13 Depth=1
	s_delay_alu instid0(SALU_CYCLE_1)
	s_or_b32 exec_lo, exec_lo, s25
.LBB239_624:                            ;   in Loop: Header=BB239_13 Depth=1
	s_delay_alu instid0(SALU_CYCLE_1) | instskip(SKIP_1) | instid1(VALU_DEP_1)
	s_or_b32 exec_lo, exec_lo, s24
	v_add_co_u32 v6, s2, 0x900, v162
	v_add_co_ci_u32_e64 v7, s2, 0, v163, s2
	s_mov_b32 s18, exec_lo
	flat_load_u16 v4, v[6:7] offset:8
	v_mov_b32_e32 v74, 0
	s_waitcnt vmcnt(0) lgkmcnt(0)
	v_dual_mov_b32 v75, 0 :: v_dual_and_b32 v8, 0xffff, v4
	v_and_b32_e32 v5, 0xff, v4
	s_delay_alu instid0(VALU_DEP_2) | instskip(NEXT) | instid1(VALU_DEP_2)
	v_dual_mov_b32 v79, v75 :: v_dual_mov_b32 v78, v74
	v_cmpx_ne_u16_e32 0, v5
	s_cbranch_execz .LBB239_632
; %bb.625:                              ;   in Loop: Header=BB239_13 Depth=1
	v_bfrev_b32_e32 v78, 1
	v_dual_mov_b32 v79, 0 :: v_dual_and_b32 v4, 0xff, v8
	s_mov_b32 s24, exec_lo
	s_delay_alu instid0(VALU_DEP_1)
	v_cmpx_ne_u16_e32 0x80, v4
	s_cbranch_execz .LBB239_631
; %bb.626:                              ;   in Loop: Header=BB239_13 Depth=1
	v_mov_b32_e32 v78, 0x7f800001
	v_dual_mov_b32 v79, 0 :: v_dual_and_b32 v4, 0x7f, v8
	s_mov_b32 s25, exec_lo
	s_delay_alu instid0(VALU_DEP_1)
	v_cmpx_ne_u32_e32 0x7f, v4
	s_cbranch_execz .LBB239_630
; %bb.627:                              ;   in Loop: Header=BB239_13 Depth=1
	v_and_b32_e32 v28, 7, v8
	v_lshrrev_b32_e32 v9, 3, v4
	s_mov_b32 s26, exec_lo
	v_cmpx_gt_u32_e32 8, v4
; %bb.628:                              ;   in Loop: Header=BB239_13 Depth=1
	s_delay_alu instid0(VALU_DEP_3) | instskip(NEXT) | instid1(VALU_DEP_1)
	v_clz_i32_u32_e32 v4, v28
	v_min_u32_e32 v9, 32, v4
	s_delay_alu instid0(VALU_DEP_1) | instskip(SKIP_1) | instid1(VALU_DEP_2)
	v_subrev_nc_u32_e32 v4, 28, v9
	v_sub_nc_u32_e32 v9, 29, v9
	v_lshlrev_b64 v[4:5], v4, v[28:29]
	s_delay_alu instid0(VALU_DEP_1)
	v_and_b32_e32 v28, 7, v4
; %bb.629:                              ;   in Loop: Header=BB239_13 Depth=1
	s_or_b32 exec_lo, exec_lo, s26
	v_lshlrev_b32_e32 v4, 24, v8
	s_delay_alu instid0(VALU_DEP_2) | instskip(SKIP_1) | instid1(VALU_DEP_3)
	v_lshlrev_b32_e32 v5, 20, v28
	v_lshl_add_u32 v9, v9, 23, 0x3c000000
	v_and_b32_e32 v4, 0x80000000, v4
	s_delay_alu instid0(VALU_DEP_1) | instskip(NEXT) | instid1(VALU_DEP_1)
	v_or3_b32 v28, v5, v4, v9
	v_dual_mov_b32 v79, v29 :: v_dual_mov_b32 v78, v28
.LBB239_630:                            ;   in Loop: Header=BB239_13 Depth=1
	s_or_b32 exec_lo, exec_lo, s25
.LBB239_631:                            ;   in Loop: Header=BB239_13 Depth=1
	s_delay_alu instid0(SALU_CYCLE_1)
	s_or_b32 exec_lo, exec_lo, s24
.LBB239_632:                            ;   in Loop: Header=BB239_13 Depth=1
	s_delay_alu instid0(SALU_CYCLE_1) | instskip(SKIP_2) | instid1(VALU_DEP_1)
	s_or_b32 exec_lo, exec_lo, s18
	v_lshrrev_b16 v9, 8, v8
	s_mov_b32 s24, exec_lo
	v_cmpx_ne_u16_e32 0, v9
	s_cbranch_execz .LBB239_640
; %bb.633:                              ;   in Loop: Header=BB239_13 Depth=1
	v_dual_mov_b32 v75, s17 :: v_dual_mov_b32 v74, s16
	s_mov_b32 s25, exec_lo
	v_cmpx_ne_u16_e32 0x80, v9
	s_cbranch_execz .LBB239_639
; %bb.634:                              ;   in Loop: Header=BB239_13 Depth=1
	s_mov_b32 s18, s16
	v_dual_mov_b32 v75, s19 :: v_dual_and_b32 v4, 0xffff, v9
	v_mov_b32_e32 v74, s18
	s_mov_b32 s18, exec_lo
	s_delay_alu instid0(VALU_DEP_2) | instskip(NEXT) | instid1(VALU_DEP_1)
	v_and_b32_e32 v16, 0x7f, v4
	v_cmpx_ne_u32_e32 0x7f, v16
	s_cbranch_execz .LBB239_638
; %bb.635:                              ;   in Loop: Header=BB239_13 Depth=1
	v_and_b32_e32 v28, 7, v4
	v_lshrrev_b32_e32 v9, 3, v16
	s_mov_b32 s26, exec_lo
	v_cmpx_gt_u32_e32 8, v16
; %bb.636:                              ;   in Loop: Header=BB239_13 Depth=1
	s_delay_alu instid0(VALU_DEP_3) | instskip(NEXT) | instid1(VALU_DEP_1)
	v_clz_i32_u32_e32 v4, v28
	v_min_u32_e32 v9, 32, v4
	s_delay_alu instid0(VALU_DEP_1) | instskip(SKIP_1) | instid1(VALU_DEP_2)
	v_subrev_nc_u32_e32 v4, 28, v9
	v_sub_nc_u32_e32 v9, 29, v9
	v_lshlrev_b64 v[4:5], v4, v[28:29]
	s_delay_alu instid0(VALU_DEP_1)
	v_and_b32_e32 v28, 7, v4
; %bb.637:                              ;   in Loop: Header=BB239_13 Depth=1
	s_or_b32 exec_lo, exec_lo, s26
	v_lshlrev_b32_e32 v4, 16, v8
	s_delay_alu instid0(VALU_DEP_2) | instskip(SKIP_1) | instid1(VALU_DEP_3)
	v_dual_mov_b32 v74, v29 :: v_dual_lshlrev_b32 v5, 20, v28
	v_lshl_add_u32 v8, v9, 23, 0x3c000000
	v_and_b32_e32 v4, 0x80000000, v4
	s_delay_alu instid0(VALU_DEP_1)
	v_or3_b32 v75, v5, v4, v8
.LBB239_638:                            ;   in Loop: Header=BB239_13 Depth=1
	s_or_b32 exec_lo, exec_lo, s18
.LBB239_639:                            ;   in Loop: Header=BB239_13 Depth=1
	s_delay_alu instid0(SALU_CYCLE_1)
	s_or_b32 exec_lo, exec_lo, s25
.LBB239_640:                            ;   in Loop: Header=BB239_13 Depth=1
	s_delay_alu instid0(SALU_CYCLE_1)
	s_or_b32 exec_lo, exec_lo, s24
	flat_load_u16 v4, v[6:7] offset:12
	v_mov_b32_e32 v90, 0
	v_mov_b32_e32 v91, 0
	s_mov_b32 s18, exec_lo
	s_waitcnt vmcnt(0) lgkmcnt(0)
	v_and_b32_e32 v8, 0xffff, v4
	v_dual_mov_b32 v6, v90 :: v_dual_and_b32 v5, 0xff, v4
	v_mov_b32_e32 v7, v91
	s_delay_alu instid0(VALU_DEP_2)
	v_cmpx_ne_u16_e32 0, v5
	s_cbranch_execz .LBB239_648
; %bb.641:                              ;   in Loop: Header=BB239_13 Depth=1
	v_bfrev_b32_e32 v6, 1
	v_dual_mov_b32 v7, 0 :: v_dual_and_b32 v4, 0xff, v8
	s_mov_b32 s24, exec_lo
	s_delay_alu instid0(VALU_DEP_1)
	v_cmpx_ne_u16_e32 0x80, v4
	s_cbranch_execz .LBB239_647
; %bb.642:                              ;   in Loop: Header=BB239_13 Depth=1
	v_mov_b32_e32 v6, 0x7f800001
	v_dual_mov_b32 v7, 0 :: v_dual_and_b32 v4, 0x7f, v8
	s_mov_b32 s25, exec_lo
	s_delay_alu instid0(VALU_DEP_1)
	v_cmpx_ne_u32_e32 0x7f, v4
	s_cbranch_execz .LBB239_646
; %bb.643:                              ;   in Loop: Header=BB239_13 Depth=1
	v_and_b32_e32 v28, 7, v8
	v_lshrrev_b32_e32 v6, 3, v4
	s_mov_b32 s26, exec_lo
	v_cmpx_gt_u32_e32 8, v4
; %bb.644:                              ;   in Loop: Header=BB239_13 Depth=1
	s_delay_alu instid0(VALU_DEP_3) | instskip(NEXT) | instid1(VALU_DEP_1)
	v_clz_i32_u32_e32 v4, v28
	v_min_u32_e32 v6, 32, v4
	s_delay_alu instid0(VALU_DEP_1) | instskip(SKIP_1) | instid1(VALU_DEP_2)
	v_subrev_nc_u32_e32 v4, 28, v6
	v_sub_nc_u32_e32 v6, 29, v6
	v_lshlrev_b64 v[4:5], v4, v[28:29]
	s_delay_alu instid0(VALU_DEP_1)
	v_and_b32_e32 v28, 7, v4
; %bb.645:                              ;   in Loop: Header=BB239_13 Depth=1
	s_or_b32 exec_lo, exec_lo, s26
	v_lshlrev_b32_e32 v4, 24, v8
	s_delay_alu instid0(VALU_DEP_2) | instskip(SKIP_1) | instid1(VALU_DEP_3)
	v_lshlrev_b32_e32 v5, 20, v28
	v_lshl_add_u32 v6, v6, 23, 0x3c000000
	v_and_b32_e32 v4, 0x80000000, v4
	s_delay_alu instid0(VALU_DEP_1) | instskip(NEXT) | instid1(VALU_DEP_1)
	v_or3_b32 v28, v5, v4, v6
	v_dual_mov_b32 v6, v28 :: v_dual_mov_b32 v7, v29
.LBB239_646:                            ;   in Loop: Header=BB239_13 Depth=1
	s_or_b32 exec_lo, exec_lo, s25
.LBB239_647:                            ;   in Loop: Header=BB239_13 Depth=1
	s_delay_alu instid0(SALU_CYCLE_1)
	s_or_b32 exec_lo, exec_lo, s24
.LBB239_648:                            ;   in Loop: Header=BB239_13 Depth=1
	s_delay_alu instid0(SALU_CYCLE_1) | instskip(SKIP_2) | instid1(VALU_DEP_1)
	s_or_b32 exec_lo, exec_lo, s18
	v_lshrrev_b16 v9, 8, v8
	s_mov_b32 s24, exec_lo
	v_cmpx_ne_u16_e32 0, v9
	s_cbranch_execz .LBB239_656
; %bb.649:                              ;   in Loop: Header=BB239_13 Depth=1
	v_dual_mov_b32 v91, s17 :: v_dual_mov_b32 v90, s16
	s_mov_b32 s25, exec_lo
	v_cmpx_ne_u16_e32 0x80, v9
	s_cbranch_execz .LBB239_655
; %bb.650:                              ;   in Loop: Header=BB239_13 Depth=1
	s_mov_b32 s18, s16
	v_dual_mov_b32 v91, s19 :: v_dual_and_b32 v4, 0xffff, v9
	v_mov_b32_e32 v90, s18
	s_mov_b32 s18, exec_lo
	s_delay_alu instid0(VALU_DEP_2) | instskip(NEXT) | instid1(VALU_DEP_1)
	v_and_b32_e32 v16, 0x7f, v4
	v_cmpx_ne_u32_e32 0x7f, v16
	s_cbranch_execz .LBB239_654
; %bb.651:                              ;   in Loop: Header=BB239_13 Depth=1
	v_and_b32_e32 v28, 7, v4
	v_lshrrev_b32_e32 v9, 3, v16
	s_mov_b32 s26, exec_lo
	v_cmpx_gt_u32_e32 8, v16
; %bb.652:                              ;   in Loop: Header=BB239_13 Depth=1
	s_delay_alu instid0(VALU_DEP_3) | instskip(NEXT) | instid1(VALU_DEP_1)
	v_clz_i32_u32_e32 v4, v28
	v_min_u32_e32 v9, 32, v4
	s_delay_alu instid0(VALU_DEP_1) | instskip(SKIP_1) | instid1(VALU_DEP_2)
	v_subrev_nc_u32_e32 v4, 28, v9
	v_sub_nc_u32_e32 v9, 29, v9
	v_lshlrev_b64 v[4:5], v4, v[28:29]
	s_delay_alu instid0(VALU_DEP_1)
	v_and_b32_e32 v28, 7, v4
; %bb.653:                              ;   in Loop: Header=BB239_13 Depth=1
	s_or_b32 exec_lo, exec_lo, s26
	v_lshlrev_b32_e32 v4, 16, v8
	s_delay_alu instid0(VALU_DEP_2) | instskip(SKIP_1) | instid1(VALU_DEP_3)
	v_dual_mov_b32 v90, v29 :: v_dual_lshlrev_b32 v5, 20, v28
	v_lshl_add_u32 v8, v9, 23, 0x3c000000
	v_and_b32_e32 v4, 0x80000000, v4
	s_delay_alu instid0(VALU_DEP_1)
	v_or3_b32 v91, v5, v4, v8
.LBB239_654:                            ;   in Loop: Header=BB239_13 Depth=1
	s_or_b32 exec_lo, exec_lo, s18
.LBB239_655:                            ;   in Loop: Header=BB239_13 Depth=1
	s_delay_alu instid0(SALU_CYCLE_1)
	s_or_b32 exec_lo, exec_lo, s25
.LBB239_656:                            ;   in Loop: Header=BB239_13 Depth=1
	s_delay_alu instid0(SALU_CYCLE_1)
	s_or_b32 exec_lo, exec_lo, s24
	flat_load_u16 v4, v[162:163] offset:2560
	v_mov_b32_e32 v8, 0
	v_mov_b32_e32 v9, 0
	s_mov_b32 s18, exec_lo
	s_waitcnt vmcnt(0) lgkmcnt(0)
	v_and_b32_e32 v18, 0xffff, v4
	v_and_b32_e32 v5, 0xff, v4
	v_dual_mov_b32 v17, v9 :: v_dual_mov_b32 v16, v8
	s_delay_alu instid0(VALU_DEP_2)
	v_cmpx_ne_u16_e32 0, v5
	s_cbranch_execz .LBB239_664
; %bb.657:                              ;   in Loop: Header=BB239_13 Depth=1
	v_bfrev_b32_e32 v16, 1
	v_dual_mov_b32 v17, 0 :: v_dual_and_b32 v4, 0xff, v18
	s_mov_b32 s24, exec_lo
	s_delay_alu instid0(VALU_DEP_1)
	v_cmpx_ne_u16_e32 0x80, v4
	s_cbranch_execz .LBB239_663
; %bb.658:                              ;   in Loop: Header=BB239_13 Depth=1
	v_mov_b32_e32 v16, 0x7f800001
	v_dual_mov_b32 v17, 0 :: v_dual_and_b32 v4, 0x7f, v18
	s_mov_b32 s25, exec_lo
	s_delay_alu instid0(VALU_DEP_1)
	v_cmpx_ne_u32_e32 0x7f, v4
	s_cbranch_execz .LBB239_662
; %bb.659:                              ;   in Loop: Header=BB239_13 Depth=1
	v_and_b32_e32 v28, 7, v18
	v_lshrrev_b32_e32 v16, 3, v4
	s_mov_b32 s26, exec_lo
	v_cmpx_gt_u32_e32 8, v4
; %bb.660:                              ;   in Loop: Header=BB239_13 Depth=1
	s_delay_alu instid0(VALU_DEP_3) | instskip(NEXT) | instid1(VALU_DEP_1)
	v_clz_i32_u32_e32 v4, v28
	v_min_u32_e32 v16, 32, v4
	s_delay_alu instid0(VALU_DEP_1) | instskip(SKIP_1) | instid1(VALU_DEP_2)
	v_subrev_nc_u32_e32 v4, 28, v16
	v_sub_nc_u32_e32 v16, 29, v16
	v_lshlrev_b64 v[4:5], v4, v[28:29]
	s_delay_alu instid0(VALU_DEP_1)
	v_and_b32_e32 v28, 7, v4
; %bb.661:                              ;   in Loop: Header=BB239_13 Depth=1
	s_or_b32 exec_lo, exec_lo, s26
	v_lshlrev_b32_e32 v4, 24, v18
	s_delay_alu instid0(VALU_DEP_2) | instskip(SKIP_1) | instid1(VALU_DEP_3)
	v_lshlrev_b32_e32 v5, 20, v28
	v_lshl_add_u32 v16, v16, 23, 0x3c000000
	v_and_b32_e32 v4, 0x80000000, v4
	s_delay_alu instid0(VALU_DEP_1) | instskip(NEXT) | instid1(VALU_DEP_1)
	v_or3_b32 v28, v5, v4, v16
	v_dual_mov_b32 v16, v28 :: v_dual_mov_b32 v17, v29
.LBB239_662:                            ;   in Loop: Header=BB239_13 Depth=1
	s_or_b32 exec_lo, exec_lo, s25
.LBB239_663:                            ;   in Loop: Header=BB239_13 Depth=1
	s_delay_alu instid0(SALU_CYCLE_1)
	s_or_b32 exec_lo, exec_lo, s24
.LBB239_664:                            ;   in Loop: Header=BB239_13 Depth=1
	s_delay_alu instid0(SALU_CYCLE_1) | instskip(SKIP_2) | instid1(VALU_DEP_1)
	s_or_b32 exec_lo, exec_lo, s18
	v_lshrrev_b16 v19, 8, v18
	s_mov_b32 s24, exec_lo
	v_cmpx_ne_u16_e32 0, v19
	s_cbranch_execz .LBB239_672
; %bb.665:                              ;   in Loop: Header=BB239_13 Depth=1
	v_dual_mov_b32 v8, s16 :: v_dual_mov_b32 v9, s17
	s_mov_b32 s25, exec_lo
	v_cmpx_ne_u16_e32 0x80, v19
	s_cbranch_execz .LBB239_671
; %bb.666:                              ;   in Loop: Header=BB239_13 Depth=1
	s_mov_b32 s18, s16
	v_and_b32_e32 v4, 0xffff, v19
	v_dual_mov_b32 v8, s18 :: v_dual_mov_b32 v9, s19
	s_mov_b32 s18, exec_lo
	s_delay_alu instid0(VALU_DEP_2) | instskip(NEXT) | instid1(VALU_DEP_1)
	v_and_b32_e32 v19, 0x7f, v4
	v_cmpx_ne_u32_e32 0x7f, v19
	s_cbranch_execz .LBB239_670
; %bb.667:                              ;   in Loop: Header=BB239_13 Depth=1
	v_and_b32_e32 v28, 7, v4
	v_lshrrev_b32_e32 v8, 3, v19
	s_mov_b32 s26, exec_lo
	v_cmpx_gt_u32_e32 8, v19
; %bb.668:                              ;   in Loop: Header=BB239_13 Depth=1
	s_delay_alu instid0(VALU_DEP_3) | instskip(NEXT) | instid1(VALU_DEP_1)
	v_clz_i32_u32_e32 v4, v28
	v_min_u32_e32 v8, 32, v4
	s_delay_alu instid0(VALU_DEP_1) | instskip(SKIP_1) | instid1(VALU_DEP_2)
	v_subrev_nc_u32_e32 v4, 28, v8
	v_sub_nc_u32_e32 v8, 29, v8
	v_lshlrev_b64 v[4:5], v4, v[28:29]
	s_delay_alu instid0(VALU_DEP_1)
	v_and_b32_e32 v28, 7, v4
; %bb.669:                              ;   in Loop: Header=BB239_13 Depth=1
	s_or_b32 exec_lo, exec_lo, s26
	v_lshlrev_b32_e32 v4, 16, v18
	s_delay_alu instid0(VALU_DEP_2) | instskip(SKIP_1) | instid1(VALU_DEP_3)
	v_lshlrev_b32_e32 v5, 20, v28
	v_lshl_add_u32 v8, v8, 23, 0x3c000000
	v_and_b32_e32 v4, 0x80000000, v4
	s_delay_alu instid0(VALU_DEP_1)
	v_or3_b32 v9, v5, v4, v8
	v_mov_b32_e32 v8, v29
.LBB239_670:                            ;   in Loop: Header=BB239_13 Depth=1
	s_or_b32 exec_lo, exec_lo, s18
.LBB239_671:                            ;   in Loop: Header=BB239_13 Depth=1
	s_delay_alu instid0(SALU_CYCLE_1)
	s_or_b32 exec_lo, exec_lo, s25
.LBB239_672:                            ;   in Loop: Header=BB239_13 Depth=1
	s_delay_alu instid0(SALU_CYCLE_1) | instskip(SKIP_4) | instid1(VALU_DEP_1)
	s_or_b32 exec_lo, exec_lo, s24
	flat_load_u16 v4, v[162:163] offset:2564
	v_mov_b32_e32 v18, 0
	v_mov_b32_e32 v19, 0
	s_mov_b32 s18, exec_lo
	v_dual_mov_b32 v95, v19 :: v_dual_mov_b32 v94, v18
	s_waitcnt vmcnt(0) lgkmcnt(0)
	v_and_b32_e32 v5, 0xff, v4
	v_and_b32_e32 v31, 0xffff, v4
	s_delay_alu instid0(VALU_DEP_2)
	v_cmpx_ne_u16_e32 0, v5
	s_cbranch_execz .LBB239_680
; %bb.673:                              ;   in Loop: Header=BB239_13 Depth=1
	v_bfrev_b32_e32 v94, 1
	s_delay_alu instid0(VALU_DEP_3) | instskip(SKIP_1) | instid1(VALU_DEP_1)
	v_dual_mov_b32 v95, 0 :: v_dual_and_b32 v4, 0xff, v31
	s_mov_b32 s24, exec_lo
	v_cmpx_ne_u16_e32 0x80, v4
	s_cbranch_execz .LBB239_679
; %bb.674:                              ;   in Loop: Header=BB239_13 Depth=1
	v_mov_b32_e32 v94, 0x7f800001
	v_dual_mov_b32 v95, 0 :: v_dual_and_b32 v4, 0x7f, v31
	s_mov_b32 s25, exec_lo
	s_delay_alu instid0(VALU_DEP_1)
	v_cmpx_ne_u32_e32 0x7f, v4
	s_cbranch_execz .LBB239_678
; %bb.675:                              ;   in Loop: Header=BB239_13 Depth=1
	v_and_b32_e32 v28, 7, v31
	v_lshrrev_b32_e32 v32, 3, v4
	s_mov_b32 s26, exec_lo
	v_cmpx_gt_u32_e32 8, v4
; %bb.676:                              ;   in Loop: Header=BB239_13 Depth=1
	s_delay_alu instid0(VALU_DEP_3) | instskip(NEXT) | instid1(VALU_DEP_1)
	v_clz_i32_u32_e32 v4, v28
	v_min_u32_e32 v32, 32, v4
	s_delay_alu instid0(VALU_DEP_1) | instskip(SKIP_1) | instid1(VALU_DEP_2)
	v_subrev_nc_u32_e32 v4, 28, v32
	v_sub_nc_u32_e32 v32, 29, v32
	v_lshlrev_b64 v[4:5], v4, v[28:29]
	s_delay_alu instid0(VALU_DEP_1)
	v_and_b32_e32 v28, 7, v4
; %bb.677:                              ;   in Loop: Header=BB239_13 Depth=1
	s_or_b32 exec_lo, exec_lo, s26
	v_lshlrev_b32_e32 v4, 24, v31
	s_delay_alu instid0(VALU_DEP_2) | instskip(SKIP_1) | instid1(VALU_DEP_3)
	v_lshlrev_b32_e32 v5, 20, v28
	v_lshl_add_u32 v28, v32, 23, 0x3c000000
	v_and_b32_e32 v4, 0x80000000, v4
	s_delay_alu instid0(VALU_DEP_1) | instskip(NEXT) | instid1(VALU_DEP_1)
	v_or3_b32 v28, v5, v4, v28
	v_dual_mov_b32 v95, v29 :: v_dual_mov_b32 v94, v28
.LBB239_678:                            ;   in Loop: Header=BB239_13 Depth=1
	s_or_b32 exec_lo, exec_lo, s25
.LBB239_679:                            ;   in Loop: Header=BB239_13 Depth=1
	s_delay_alu instid0(SALU_CYCLE_1)
	s_or_b32 exec_lo, exec_lo, s24
.LBB239_680:                            ;   in Loop: Header=BB239_13 Depth=1
	s_delay_alu instid0(SALU_CYCLE_1) | instskip(NEXT) | instid1(VALU_DEP_2)
	s_or_b32 exec_lo, exec_lo, s18
	v_lshrrev_b16 v28, 8, v31
	s_mov_b32 s24, exec_lo
	s_delay_alu instid0(VALU_DEP_1)
	v_cmpx_ne_u16_e32 0, v28
	s_cbranch_execz .LBB239_688
; %bb.681:                              ;   in Loop: Header=BB239_13 Depth=1
	v_dual_mov_b32 v19, s17 :: v_dual_mov_b32 v18, s16
	s_mov_b32 s25, exec_lo
	v_cmpx_ne_u16_e32 0x80, v28
	s_cbranch_execz .LBB239_687
; %bb.682:                              ;   in Loop: Header=BB239_13 Depth=1
	s_mov_b32 s18, s16
	v_and_b32_e32 v4, 0xffff, v28
	v_dual_mov_b32 v18, s18 :: v_dual_mov_b32 v19, s19
	s_mov_b32 s18, exec_lo
	s_delay_alu instid0(VALU_DEP_2) | instskip(NEXT) | instid1(VALU_DEP_1)
	v_and_b32_e32 v32, 0x7f, v4
	v_cmpx_ne_u32_e32 0x7f, v32
	s_cbranch_execz .LBB239_686
; %bb.683:                              ;   in Loop: Header=BB239_13 Depth=1
	v_and_b32_e32 v28, 7, v4
	v_lshrrev_b32_e32 v18, 3, v32
	s_mov_b32 s26, exec_lo
	v_cmpx_gt_u32_e32 8, v32
; %bb.684:                              ;   in Loop: Header=BB239_13 Depth=1
	s_delay_alu instid0(VALU_DEP_3) | instskip(NEXT) | instid1(VALU_DEP_1)
	v_clz_i32_u32_e32 v4, v28
	v_min_u32_e32 v18, 32, v4
	s_delay_alu instid0(VALU_DEP_1) | instskip(SKIP_1) | instid1(VALU_DEP_2)
	v_subrev_nc_u32_e32 v4, 28, v18
	v_sub_nc_u32_e32 v18, 29, v18
	v_lshlrev_b64 v[4:5], v4, v[28:29]
	s_delay_alu instid0(VALU_DEP_1)
	v_and_b32_e32 v28, 7, v4
; %bb.685:                              ;   in Loop: Header=BB239_13 Depth=1
	s_or_b32 exec_lo, exec_lo, s26
	v_lshlrev_b32_e32 v4, 16, v31
	s_delay_alu instid0(VALU_DEP_2) | instskip(SKIP_1) | instid1(VALU_DEP_3)
	v_lshlrev_b32_e32 v5, 20, v28
	v_lshl_add_u32 v18, v18, 23, 0x3c000000
	v_and_b32_e32 v4, 0x80000000, v4
	s_delay_alu instid0(VALU_DEP_1)
	v_or3_b32 v19, v5, v4, v18
	v_mov_b32_e32 v18, v29
.LBB239_686:                            ;   in Loop: Header=BB239_13 Depth=1
	s_or_b32 exec_lo, exec_lo, s18
.LBB239_687:                            ;   in Loop: Header=BB239_13 Depth=1
	s_delay_alu instid0(SALU_CYCLE_1)
	s_or_b32 exec_lo, exec_lo, s25
.LBB239_688:                            ;   in Loop: Header=BB239_13 Depth=1
	s_delay_alu instid0(SALU_CYCLE_1) | instskip(SKIP_1) | instid1(VALU_DEP_1)
	s_or_b32 exec_lo, exec_lo, s24
	v_add_co_u32 v35, s2, 0xa00, v162
	v_add_co_ci_u32_e64 v36, s2, 0, v163, s2
	v_mov_b32_e32 v31, 0
	s_mov_b32 s18, exec_lo
	flat_load_u16 v4, v[35:36] offset:8
	s_waitcnt vmcnt(0) lgkmcnt(0)
	v_dual_mov_b32 v32, 0 :: v_dual_and_b32 v5, 0xff, v4
	s_delay_alu instid0(VALU_DEP_1) | instskip(SKIP_1) | instid1(VALU_DEP_3)
	v_dual_mov_b32 v34, v32 :: v_dual_and_b32 v37, 0xffff, v4
	v_mov_b32_e32 v33, v31
	v_cmpx_ne_u16_e32 0, v5
	s_cbranch_execz .LBB239_696
; %bb.689:                              ;   in Loop: Header=BB239_13 Depth=1
	v_bfrev_b32_e32 v33, 1
	v_and_b32_e32 v4, 0xff, v37
	v_mov_b32_e32 v34, 0
	s_mov_b32 s24, exec_lo
	s_delay_alu instid0(VALU_DEP_2)
	v_cmpx_ne_u16_e32 0x80, v4
	s_cbranch_execz .LBB239_695
; %bb.690:                              ;   in Loop: Header=BB239_13 Depth=1
	v_mov_b32_e32 v33, 0x7f800001
	v_and_b32_e32 v4, 0x7f, v37
	v_mov_b32_e32 v34, 0
	s_mov_b32 s25, exec_lo
	s_delay_alu instid0(VALU_DEP_2)
	v_cmpx_ne_u32_e32 0x7f, v4
	s_cbranch_execz .LBB239_694
; %bb.691:                              ;   in Loop: Header=BB239_13 Depth=1
	v_and_b32_e32 v28, 7, v37
	v_lshrrev_b32_e32 v33, 3, v4
	s_mov_b32 s26, exec_lo
	v_cmpx_gt_u32_e32 8, v4
; %bb.692:                              ;   in Loop: Header=BB239_13 Depth=1
	s_delay_alu instid0(VALU_DEP_3) | instskip(NEXT) | instid1(VALU_DEP_1)
	v_clz_i32_u32_e32 v4, v28
	v_min_u32_e32 v33, 32, v4
	s_delay_alu instid0(VALU_DEP_1) | instskip(SKIP_1) | instid1(VALU_DEP_2)
	v_subrev_nc_u32_e32 v4, 28, v33
	v_sub_nc_u32_e32 v33, 29, v33
	v_lshlrev_b64 v[4:5], v4, v[28:29]
	s_delay_alu instid0(VALU_DEP_1)
	v_and_b32_e32 v28, 7, v4
; %bb.693:                              ;   in Loop: Header=BB239_13 Depth=1
	s_or_b32 exec_lo, exec_lo, s26
	v_lshlrev_b32_e32 v4, 24, v37
	s_delay_alu instid0(VALU_DEP_2) | instskip(SKIP_1) | instid1(VALU_DEP_3)
	v_lshlrev_b32_e32 v5, 20, v28
	v_lshl_add_u32 v28, v33, 23, 0x3c000000
	v_and_b32_e32 v4, 0x80000000, v4
	s_delay_alu instid0(VALU_DEP_1) | instskip(NEXT) | instid1(VALU_DEP_1)
	v_or3_b32 v28, v5, v4, v28
	v_dual_mov_b32 v34, v29 :: v_dual_mov_b32 v33, v28
.LBB239_694:                            ;   in Loop: Header=BB239_13 Depth=1
	s_or_b32 exec_lo, exec_lo, s25
.LBB239_695:                            ;   in Loop: Header=BB239_13 Depth=1
	s_delay_alu instid0(SALU_CYCLE_1)
	s_or_b32 exec_lo, exec_lo, s24
.LBB239_696:                            ;   in Loop: Header=BB239_13 Depth=1
	s_delay_alu instid0(SALU_CYCLE_1) | instskip(SKIP_2) | instid1(VALU_DEP_1)
	s_or_b32 exec_lo, exec_lo, s18
	v_lshrrev_b16 v28, 8, v37
	s_mov_b32 s24, exec_lo
	v_cmpx_ne_u16_e32 0, v28
	s_cbranch_execz .LBB239_704
; %bb.697:                              ;   in Loop: Header=BB239_13 Depth=1
	v_dual_mov_b32 v32, s17 :: v_dual_mov_b32 v31, s16
	s_mov_b32 s25, exec_lo
	v_cmpx_ne_u16_e32 0x80, v28
	s_cbranch_execz .LBB239_703
; %bb.698:                              ;   in Loop: Header=BB239_13 Depth=1
	s_mov_b32 s18, s16
	v_and_b32_e32 v4, 0xffff, v28
	v_dual_mov_b32 v32, s19 :: v_dual_mov_b32 v31, s18
	s_mov_b32 s18, exec_lo
	s_delay_alu instid0(VALU_DEP_2) | instskip(NEXT) | instid1(VALU_DEP_1)
	v_and_b32_e32 v38, 0x7f, v4
	v_cmpx_ne_u32_e32 0x7f, v38
	s_cbranch_execz .LBB239_702
; %bb.699:                              ;   in Loop: Header=BB239_13 Depth=1
	v_and_b32_e32 v28, 7, v4
	v_lshrrev_b32_e32 v31, 3, v38
	s_mov_b32 s26, exec_lo
	v_cmpx_gt_u32_e32 8, v38
; %bb.700:                              ;   in Loop: Header=BB239_13 Depth=1
	s_delay_alu instid0(VALU_DEP_3) | instskip(NEXT) | instid1(VALU_DEP_1)
	v_clz_i32_u32_e32 v4, v28
	v_min_u32_e32 v31, 32, v4
	s_delay_alu instid0(VALU_DEP_1) | instskip(SKIP_1) | instid1(VALU_DEP_2)
	v_subrev_nc_u32_e32 v4, 28, v31
	v_sub_nc_u32_e32 v31, 29, v31
	v_lshlrev_b64 v[4:5], v4, v[28:29]
	s_delay_alu instid0(VALU_DEP_1)
	v_and_b32_e32 v28, 7, v4
; %bb.701:                              ;   in Loop: Header=BB239_13 Depth=1
	s_or_b32 exec_lo, exec_lo, s26
	v_lshlrev_b32_e32 v4, 16, v37
	s_delay_alu instid0(VALU_DEP_2) | instskip(SKIP_1) | instid1(VALU_DEP_3)
	v_lshlrev_b32_e32 v5, 20, v28
	v_lshl_add_u32 v28, v31, 23, 0x3c000000
	v_dual_mov_b32 v31, v29 :: v_dual_and_b32 v4, 0x80000000, v4
	s_delay_alu instid0(VALU_DEP_1)
	v_or3_b32 v32, v5, v4, v28
.LBB239_702:                            ;   in Loop: Header=BB239_13 Depth=1
	s_or_b32 exec_lo, exec_lo, s18
.LBB239_703:                            ;   in Loop: Header=BB239_13 Depth=1
	s_delay_alu instid0(SALU_CYCLE_1)
	s_or_b32 exec_lo, exec_lo, s25
.LBB239_704:                            ;   in Loop: Header=BB239_13 Depth=1
	s_delay_alu instid0(SALU_CYCLE_1)
	s_or_b32 exec_lo, exec_lo, s24
	flat_load_u16 v4, v[35:36] offset:12
	v_mov_b32_e32 v35, 0
	v_mov_b32_e32 v36, 0
	s_mov_b32 s18, exec_lo
	s_waitcnt vmcnt(0) lgkmcnt(0)
	v_and_b32_e32 v5, 0xff, v4
	s_delay_alu instid0(VALU_DEP_2) | instskip(SKIP_1) | instid1(VALU_DEP_3)
	v_dual_mov_b32 v38, v36 :: v_dual_and_b32 v39, 0xffff, v4
	v_mov_b32_e32 v37, v35
	v_cmpx_ne_u16_e32 0, v5
	s_cbranch_execz .LBB239_712
; %bb.705:                              ;   in Loop: Header=BB239_13 Depth=1
	v_bfrev_b32_e32 v37, 1
	v_and_b32_e32 v4, 0xff, v39
	v_mov_b32_e32 v38, 0
	s_mov_b32 s24, exec_lo
	s_delay_alu instid0(VALU_DEP_2)
	v_cmpx_ne_u16_e32 0x80, v4
	s_cbranch_execz .LBB239_711
; %bb.706:                              ;   in Loop: Header=BB239_13 Depth=1
	v_mov_b32_e32 v37, 0x7f800001
	v_and_b32_e32 v4, 0x7f, v39
	v_mov_b32_e32 v38, 0
	s_mov_b32 s25, exec_lo
	s_delay_alu instid0(VALU_DEP_2)
	v_cmpx_ne_u32_e32 0x7f, v4
	s_cbranch_execz .LBB239_710
; %bb.707:                              ;   in Loop: Header=BB239_13 Depth=1
	v_and_b32_e32 v28, 7, v39
	v_lshrrev_b32_e32 v37, 3, v4
	s_mov_b32 s26, exec_lo
	v_cmpx_gt_u32_e32 8, v4
; %bb.708:                              ;   in Loop: Header=BB239_13 Depth=1
	s_delay_alu instid0(VALU_DEP_3) | instskip(NEXT) | instid1(VALU_DEP_1)
	v_clz_i32_u32_e32 v4, v28
	v_min_u32_e32 v37, 32, v4
	s_delay_alu instid0(VALU_DEP_1) | instskip(SKIP_1) | instid1(VALU_DEP_2)
	v_subrev_nc_u32_e32 v4, 28, v37
	v_sub_nc_u32_e32 v37, 29, v37
	v_lshlrev_b64 v[4:5], v4, v[28:29]
	s_delay_alu instid0(VALU_DEP_1)
	v_and_b32_e32 v28, 7, v4
; %bb.709:                              ;   in Loop: Header=BB239_13 Depth=1
	s_or_b32 exec_lo, exec_lo, s26
	v_lshlrev_b32_e32 v4, 24, v39
	s_delay_alu instid0(VALU_DEP_2) | instskip(SKIP_1) | instid1(VALU_DEP_3)
	v_lshlrev_b32_e32 v5, 20, v28
	v_lshl_add_u32 v28, v37, 23, 0x3c000000
	v_and_b32_e32 v4, 0x80000000, v4
	s_delay_alu instid0(VALU_DEP_1) | instskip(NEXT) | instid1(VALU_DEP_1)
	v_or3_b32 v28, v5, v4, v28
	v_dual_mov_b32 v38, v29 :: v_dual_mov_b32 v37, v28
.LBB239_710:                            ;   in Loop: Header=BB239_13 Depth=1
	s_or_b32 exec_lo, exec_lo, s25
.LBB239_711:                            ;   in Loop: Header=BB239_13 Depth=1
	s_delay_alu instid0(SALU_CYCLE_1)
	s_or_b32 exec_lo, exec_lo, s24
.LBB239_712:                            ;   in Loop: Header=BB239_13 Depth=1
	s_delay_alu instid0(SALU_CYCLE_1) | instskip(SKIP_2) | instid1(VALU_DEP_1)
	s_or_b32 exec_lo, exec_lo, s18
	v_lshrrev_b16 v28, 8, v39
	s_mov_b32 s24, exec_lo
	v_cmpx_ne_u16_e32 0, v28
	s_cbranch_execz .LBB239_720
; %bb.713:                              ;   in Loop: Header=BB239_13 Depth=1
	v_dual_mov_b32 v36, s17 :: v_dual_mov_b32 v35, s16
	s_mov_b32 s25, exec_lo
	v_cmpx_ne_u16_e32 0x80, v28
	s_cbranch_execz .LBB239_719
; %bb.714:                              ;   in Loop: Header=BB239_13 Depth=1
	s_mov_b32 s18, s16
	v_and_b32_e32 v4, 0xffff, v28
	v_dual_mov_b32 v36, s19 :: v_dual_mov_b32 v35, s18
	s_mov_b32 s18, exec_lo
	s_delay_alu instid0(VALU_DEP_2) | instskip(NEXT) | instid1(VALU_DEP_1)
	v_and_b32_e32 v48, 0x7f, v4
	v_cmpx_ne_u32_e32 0x7f, v48
	s_cbranch_execz .LBB239_718
; %bb.715:                              ;   in Loop: Header=BB239_13 Depth=1
	v_and_b32_e32 v28, 7, v4
	v_lshrrev_b32_e32 v35, 3, v48
	s_mov_b32 s26, exec_lo
	v_cmpx_gt_u32_e32 8, v48
; %bb.716:                              ;   in Loop: Header=BB239_13 Depth=1
	s_delay_alu instid0(VALU_DEP_3) | instskip(NEXT) | instid1(VALU_DEP_1)
	v_clz_i32_u32_e32 v4, v28
	v_min_u32_e32 v35, 32, v4
	s_delay_alu instid0(VALU_DEP_1) | instskip(SKIP_1) | instid1(VALU_DEP_2)
	v_subrev_nc_u32_e32 v4, 28, v35
	v_sub_nc_u32_e32 v35, 29, v35
	v_lshlrev_b64 v[4:5], v4, v[28:29]
	s_delay_alu instid0(VALU_DEP_1)
	v_and_b32_e32 v28, 7, v4
; %bb.717:                              ;   in Loop: Header=BB239_13 Depth=1
	s_or_b32 exec_lo, exec_lo, s26
	v_lshlrev_b32_e32 v4, 16, v39
	s_delay_alu instid0(VALU_DEP_2) | instskip(SKIP_1) | instid1(VALU_DEP_3)
	v_lshlrev_b32_e32 v5, 20, v28
	v_lshl_add_u32 v28, v35, 23, 0x3c000000
	v_dual_mov_b32 v35, v29 :: v_dual_and_b32 v4, 0x80000000, v4
	s_delay_alu instid0(VALU_DEP_1)
	v_or3_b32 v36, v5, v4, v28
.LBB239_718:                            ;   in Loop: Header=BB239_13 Depth=1
	s_or_b32 exec_lo, exec_lo, s18
.LBB239_719:                            ;   in Loop: Header=BB239_13 Depth=1
	s_delay_alu instid0(SALU_CYCLE_1)
	s_or_b32 exec_lo, exec_lo, s25
.LBB239_720:                            ;   in Loop: Header=BB239_13 Depth=1
	s_delay_alu instid0(SALU_CYCLE_1) | instskip(SKIP_4) | instid1(VALU_DEP_1)
	s_or_b32 exec_lo, exec_lo, s24
	flat_load_u16 v4, v[162:163] offset:2816
	v_mov_b32_e32 v48, 0
	v_mov_b32_e32 v49, 0
	s_mov_b32 s18, exec_lo
	v_dual_mov_b32 v51, v49 :: v_dual_mov_b32 v50, v48
	s_waitcnt vmcnt(0) lgkmcnt(0)
	v_and_b32_e32 v5, 0xff, v4
	v_and_b32_e32 v39, 0xffff, v4
	s_delay_alu instid0(VALU_DEP_2)
	v_cmpx_ne_u16_e32 0, v5
	s_cbranch_execz .LBB239_728
; %bb.721:                              ;   in Loop: Header=BB239_13 Depth=1
	v_bfrev_b32_e32 v50, 1
	s_delay_alu instid0(VALU_DEP_3) | instskip(SKIP_1) | instid1(VALU_DEP_1)
	v_dual_mov_b32 v51, 0 :: v_dual_and_b32 v4, 0xff, v39
	s_mov_b32 s24, exec_lo
	v_cmpx_ne_u16_e32 0x80, v4
	s_cbranch_execz .LBB239_727
; %bb.722:                              ;   in Loop: Header=BB239_13 Depth=1
	v_mov_b32_e32 v50, 0x7f800001
	v_dual_mov_b32 v51, 0 :: v_dual_and_b32 v4, 0x7f, v39
	s_mov_b32 s25, exec_lo
	s_delay_alu instid0(VALU_DEP_1)
	v_cmpx_ne_u32_e32 0x7f, v4
	s_cbranch_execz .LBB239_726
; %bb.723:                              ;   in Loop: Header=BB239_13 Depth=1
	v_and_b32_e32 v28, 7, v39
	v_lshrrev_b32_e32 v50, 3, v4
	s_mov_b32 s26, exec_lo
	v_cmpx_gt_u32_e32 8, v4
; %bb.724:                              ;   in Loop: Header=BB239_13 Depth=1
	s_delay_alu instid0(VALU_DEP_3) | instskip(NEXT) | instid1(VALU_DEP_1)
	v_clz_i32_u32_e32 v4, v28
	v_min_u32_e32 v50, 32, v4
	s_delay_alu instid0(VALU_DEP_1) | instskip(SKIP_1) | instid1(VALU_DEP_2)
	v_subrev_nc_u32_e32 v4, 28, v50
	v_sub_nc_u32_e32 v50, 29, v50
	v_lshlrev_b64 v[4:5], v4, v[28:29]
	s_delay_alu instid0(VALU_DEP_1)
	v_and_b32_e32 v28, 7, v4
; %bb.725:                              ;   in Loop: Header=BB239_13 Depth=1
	s_or_b32 exec_lo, exec_lo, s26
	v_lshlrev_b32_e32 v4, 24, v39
	s_delay_alu instid0(VALU_DEP_2) | instskip(SKIP_1) | instid1(VALU_DEP_3)
	v_lshlrev_b32_e32 v5, 20, v28
	v_lshl_add_u32 v28, v50, 23, 0x3c000000
	v_and_b32_e32 v4, 0x80000000, v4
	s_delay_alu instid0(VALU_DEP_1) | instskip(NEXT) | instid1(VALU_DEP_1)
	v_or3_b32 v28, v5, v4, v28
	v_dual_mov_b32 v51, v29 :: v_dual_mov_b32 v50, v28
.LBB239_726:                            ;   in Loop: Header=BB239_13 Depth=1
	s_or_b32 exec_lo, exec_lo, s25
.LBB239_727:                            ;   in Loop: Header=BB239_13 Depth=1
	s_delay_alu instid0(SALU_CYCLE_1)
	s_or_b32 exec_lo, exec_lo, s24
.LBB239_728:                            ;   in Loop: Header=BB239_13 Depth=1
	s_delay_alu instid0(SALU_CYCLE_1) | instskip(NEXT) | instid1(VALU_DEP_2)
	s_or_b32 exec_lo, exec_lo, s18
	v_lshrrev_b16 v28, 8, v39
	s_mov_b32 s24, exec_lo
	s_delay_alu instid0(VALU_DEP_1)
	v_cmpx_ne_u16_e32 0, v28
	s_cbranch_execz .LBB239_736
; %bb.729:                              ;   in Loop: Header=BB239_13 Depth=1
	v_dual_mov_b32 v49, s17 :: v_dual_mov_b32 v48, s16
	s_mov_b32 s25, exec_lo
	v_cmpx_ne_u16_e32 0x80, v28
	s_cbranch_execz .LBB239_735
; %bb.730:                              ;   in Loop: Header=BB239_13 Depth=1
	s_mov_b32 s18, s16
	v_dual_mov_b32 v49, s19 :: v_dual_and_b32 v4, 0xffff, v28
	v_mov_b32_e32 v48, s18
	s_mov_b32 s18, exec_lo
	s_delay_alu instid0(VALU_DEP_2) | instskip(NEXT) | instid1(VALU_DEP_1)
	v_and_b32_e32 v52, 0x7f, v4
	v_cmpx_ne_u32_e32 0x7f, v52
	s_cbranch_execz .LBB239_734
; %bb.731:                              ;   in Loop: Header=BB239_13 Depth=1
	v_and_b32_e32 v28, 7, v4
	v_lshrrev_b32_e32 v48, 3, v52
	s_mov_b32 s26, exec_lo
	v_cmpx_gt_u32_e32 8, v52
; %bb.732:                              ;   in Loop: Header=BB239_13 Depth=1
	s_delay_alu instid0(VALU_DEP_3) | instskip(NEXT) | instid1(VALU_DEP_1)
	v_clz_i32_u32_e32 v4, v28
	v_min_u32_e32 v48, 32, v4
	s_delay_alu instid0(VALU_DEP_1) | instskip(SKIP_1) | instid1(VALU_DEP_2)
	v_subrev_nc_u32_e32 v4, 28, v48
	v_sub_nc_u32_e32 v48, 29, v48
	v_lshlrev_b64 v[4:5], v4, v[28:29]
	s_delay_alu instid0(VALU_DEP_1)
	v_and_b32_e32 v28, 7, v4
; %bb.733:                              ;   in Loop: Header=BB239_13 Depth=1
	s_or_b32 exec_lo, exec_lo, s26
	v_lshlrev_b32_e32 v4, 16, v39
	s_delay_alu instid0(VALU_DEP_2) | instskip(SKIP_2) | instid1(VALU_DEP_4)
	v_lshlrev_b32_e32 v5, 20, v28
	v_lshl_add_u32 v28, v48, 23, 0x3c000000
	v_mov_b32_e32 v48, v29
	v_and_b32_e32 v4, 0x80000000, v4
	s_delay_alu instid0(VALU_DEP_1)
	v_or3_b32 v49, v5, v4, v28
.LBB239_734:                            ;   in Loop: Header=BB239_13 Depth=1
	s_or_b32 exec_lo, exec_lo, s18
.LBB239_735:                            ;   in Loop: Header=BB239_13 Depth=1
	s_delay_alu instid0(SALU_CYCLE_1)
	s_or_b32 exec_lo, exec_lo, s25
.LBB239_736:                            ;   in Loop: Header=BB239_13 Depth=1
	s_delay_alu instid0(SALU_CYCLE_1) | instskip(SKIP_4) | instid1(VALU_DEP_1)
	s_or_b32 exec_lo, exec_lo, s24
	flat_load_u16 v4, v[162:163] offset:2820
	v_mov_b32_e32 v52, 0
	v_mov_b32_e32 v53, 0
	s_mov_b32 s18, exec_lo
	v_dual_mov_b32 v55, v53 :: v_dual_mov_b32 v54, v52
	s_waitcnt vmcnt(0) lgkmcnt(0)
	v_and_b32_e32 v5, 0xff, v4
	v_and_b32_e32 v39, 0xffff, v4
	s_delay_alu instid0(VALU_DEP_2)
	v_cmpx_ne_u16_e32 0, v5
	s_cbranch_execz .LBB239_744
; %bb.737:                              ;   in Loop: Header=BB239_13 Depth=1
	v_bfrev_b32_e32 v54, 1
	s_delay_alu instid0(VALU_DEP_3) | instskip(SKIP_1) | instid1(VALU_DEP_1)
	v_dual_mov_b32 v55, 0 :: v_dual_and_b32 v4, 0xff, v39
	s_mov_b32 s24, exec_lo
	v_cmpx_ne_u16_e32 0x80, v4
	s_cbranch_execz .LBB239_743
; %bb.738:                              ;   in Loop: Header=BB239_13 Depth=1
	v_mov_b32_e32 v54, 0x7f800001
	v_dual_mov_b32 v55, 0 :: v_dual_and_b32 v4, 0x7f, v39
	s_mov_b32 s25, exec_lo
	s_delay_alu instid0(VALU_DEP_1)
	v_cmpx_ne_u32_e32 0x7f, v4
	s_cbranch_execz .LBB239_742
; %bb.739:                              ;   in Loop: Header=BB239_13 Depth=1
	v_and_b32_e32 v28, 7, v39
	v_lshrrev_b32_e32 v54, 3, v4
	s_mov_b32 s26, exec_lo
	v_cmpx_gt_u32_e32 8, v4
; %bb.740:                              ;   in Loop: Header=BB239_13 Depth=1
	s_delay_alu instid0(VALU_DEP_3) | instskip(NEXT) | instid1(VALU_DEP_1)
	v_clz_i32_u32_e32 v4, v28
	v_min_u32_e32 v54, 32, v4
	s_delay_alu instid0(VALU_DEP_1) | instskip(SKIP_1) | instid1(VALU_DEP_2)
	v_subrev_nc_u32_e32 v4, 28, v54
	v_sub_nc_u32_e32 v54, 29, v54
	v_lshlrev_b64 v[4:5], v4, v[28:29]
	s_delay_alu instid0(VALU_DEP_1)
	v_and_b32_e32 v28, 7, v4
; %bb.741:                              ;   in Loop: Header=BB239_13 Depth=1
	s_or_b32 exec_lo, exec_lo, s26
	v_lshlrev_b32_e32 v4, 24, v39
	s_delay_alu instid0(VALU_DEP_2) | instskip(SKIP_1) | instid1(VALU_DEP_3)
	v_lshlrev_b32_e32 v5, 20, v28
	v_lshl_add_u32 v28, v54, 23, 0x3c000000
	v_and_b32_e32 v4, 0x80000000, v4
	s_delay_alu instid0(VALU_DEP_1) | instskip(NEXT) | instid1(VALU_DEP_1)
	v_or3_b32 v28, v5, v4, v28
	v_dual_mov_b32 v55, v29 :: v_dual_mov_b32 v54, v28
.LBB239_742:                            ;   in Loop: Header=BB239_13 Depth=1
	s_or_b32 exec_lo, exec_lo, s25
.LBB239_743:                            ;   in Loop: Header=BB239_13 Depth=1
	s_delay_alu instid0(SALU_CYCLE_1)
	s_or_b32 exec_lo, exec_lo, s24
.LBB239_744:                            ;   in Loop: Header=BB239_13 Depth=1
	s_delay_alu instid0(SALU_CYCLE_1) | instskip(NEXT) | instid1(VALU_DEP_2)
	s_or_b32 exec_lo, exec_lo, s18
	v_lshrrev_b16 v28, 8, v39
	s_mov_b32 s24, exec_lo
	s_delay_alu instid0(VALU_DEP_1)
	v_cmpx_ne_u16_e32 0, v28
	s_cbranch_execz .LBB239_752
; %bb.745:                              ;   in Loop: Header=BB239_13 Depth=1
	v_dual_mov_b32 v53, s17 :: v_dual_mov_b32 v52, s16
	s_mov_b32 s25, exec_lo
	v_cmpx_ne_u16_e32 0x80, v28
	s_cbranch_execz .LBB239_751
; %bb.746:                              ;   in Loop: Header=BB239_13 Depth=1
	s_mov_b32 s18, s16
	v_dual_mov_b32 v53, s19 :: v_dual_and_b32 v4, 0xffff, v28
	v_mov_b32_e32 v52, s18
	s_mov_b32 s18, exec_lo
	s_delay_alu instid0(VALU_DEP_2) | instskip(NEXT) | instid1(VALU_DEP_1)
	v_and_b32_e32 v64, 0x7f, v4
	v_cmpx_ne_u32_e32 0x7f, v64
	s_cbranch_execz .LBB239_750
; %bb.747:                              ;   in Loop: Header=BB239_13 Depth=1
	v_and_b32_e32 v28, 7, v4
	v_lshrrev_b32_e32 v52, 3, v64
	s_mov_b32 s26, exec_lo
	v_cmpx_gt_u32_e32 8, v64
; %bb.748:                              ;   in Loop: Header=BB239_13 Depth=1
	s_delay_alu instid0(VALU_DEP_3) | instskip(NEXT) | instid1(VALU_DEP_1)
	v_clz_i32_u32_e32 v4, v28
	v_min_u32_e32 v52, 32, v4
	s_delay_alu instid0(VALU_DEP_1) | instskip(SKIP_1) | instid1(VALU_DEP_2)
	v_subrev_nc_u32_e32 v4, 28, v52
	v_sub_nc_u32_e32 v52, 29, v52
	v_lshlrev_b64 v[4:5], v4, v[28:29]
	s_delay_alu instid0(VALU_DEP_1)
	v_and_b32_e32 v28, 7, v4
; %bb.749:                              ;   in Loop: Header=BB239_13 Depth=1
	s_or_b32 exec_lo, exec_lo, s26
	v_lshlrev_b32_e32 v4, 16, v39
	s_delay_alu instid0(VALU_DEP_2) | instskip(SKIP_2) | instid1(VALU_DEP_4)
	v_lshlrev_b32_e32 v5, 20, v28
	v_lshl_add_u32 v28, v52, 23, 0x3c000000
	v_mov_b32_e32 v52, v29
	v_and_b32_e32 v4, 0x80000000, v4
	s_delay_alu instid0(VALU_DEP_1)
	v_or3_b32 v53, v5, v4, v28
.LBB239_750:                            ;   in Loop: Header=BB239_13 Depth=1
	s_or_b32 exec_lo, exec_lo, s18
.LBB239_751:                            ;   in Loop: Header=BB239_13 Depth=1
	s_delay_alu instid0(SALU_CYCLE_1)
	s_or_b32 exec_lo, exec_lo, s25
.LBB239_752:                            ;   in Loop: Header=BB239_13 Depth=1
	s_delay_alu instid0(SALU_CYCLE_1) | instskip(SKIP_1) | instid1(VALU_DEP_1)
	s_or_b32 exec_lo, exec_lo, s24
	v_add_co_u32 v68, s2, 0xb00, v162
	v_add_co_ci_u32_e64 v69, s2, 0, v163, s2
	s_mov_b32 s18, exec_lo
	flat_load_u16 v4, v[68:69] offset:8
	v_mov_b32_e32 v64, 0
	v_mov_b32_e32 v65, 0
	s_delay_alu instid0(VALU_DEP_1) | instskip(SKIP_3) | instid1(VALU_DEP_2)
	v_dual_mov_b32 v67, v65 :: v_dual_mov_b32 v66, v64
	s_waitcnt vmcnt(0) lgkmcnt(0)
	v_and_b32_e32 v5, 0xff, v4
	v_and_b32_e32 v39, 0xffff, v4
	v_cmpx_ne_u16_e32 0, v5
	s_cbranch_execz .LBB239_760
; %bb.753:                              ;   in Loop: Header=BB239_13 Depth=1
	v_bfrev_b32_e32 v66, 1
	s_delay_alu instid0(VALU_DEP_3) | instskip(SKIP_1) | instid1(VALU_DEP_1)
	v_dual_mov_b32 v67, 0 :: v_dual_and_b32 v4, 0xff, v39
	s_mov_b32 s24, exec_lo
	v_cmpx_ne_u16_e32 0x80, v4
	s_cbranch_execz .LBB239_759
; %bb.754:                              ;   in Loop: Header=BB239_13 Depth=1
	v_mov_b32_e32 v66, 0x7f800001
	v_dual_mov_b32 v67, 0 :: v_dual_and_b32 v4, 0x7f, v39
	s_mov_b32 s25, exec_lo
	s_delay_alu instid0(VALU_DEP_1)
	v_cmpx_ne_u32_e32 0x7f, v4
	s_cbranch_execz .LBB239_758
; %bb.755:                              ;   in Loop: Header=BB239_13 Depth=1
	v_and_b32_e32 v28, 7, v39
	v_lshrrev_b32_e32 v66, 3, v4
	s_mov_b32 s26, exec_lo
	v_cmpx_gt_u32_e32 8, v4
; %bb.756:                              ;   in Loop: Header=BB239_13 Depth=1
	s_delay_alu instid0(VALU_DEP_3) | instskip(NEXT) | instid1(VALU_DEP_1)
	v_clz_i32_u32_e32 v4, v28
	v_min_u32_e32 v66, 32, v4
	s_delay_alu instid0(VALU_DEP_1) | instskip(SKIP_1) | instid1(VALU_DEP_2)
	v_subrev_nc_u32_e32 v4, 28, v66
	v_sub_nc_u32_e32 v66, 29, v66
	v_lshlrev_b64 v[4:5], v4, v[28:29]
	s_delay_alu instid0(VALU_DEP_1)
	v_and_b32_e32 v28, 7, v4
; %bb.757:                              ;   in Loop: Header=BB239_13 Depth=1
	s_or_b32 exec_lo, exec_lo, s26
	v_lshlrev_b32_e32 v4, 24, v39
	s_delay_alu instid0(VALU_DEP_2) | instskip(SKIP_1) | instid1(VALU_DEP_3)
	v_lshlrev_b32_e32 v5, 20, v28
	v_lshl_add_u32 v28, v66, 23, 0x3c000000
	v_and_b32_e32 v4, 0x80000000, v4
	s_delay_alu instid0(VALU_DEP_1) | instskip(NEXT) | instid1(VALU_DEP_1)
	v_or3_b32 v28, v5, v4, v28
	v_dual_mov_b32 v67, v29 :: v_dual_mov_b32 v66, v28
.LBB239_758:                            ;   in Loop: Header=BB239_13 Depth=1
	s_or_b32 exec_lo, exec_lo, s25
.LBB239_759:                            ;   in Loop: Header=BB239_13 Depth=1
	s_delay_alu instid0(SALU_CYCLE_1)
	s_or_b32 exec_lo, exec_lo, s24
.LBB239_760:                            ;   in Loop: Header=BB239_13 Depth=1
	s_delay_alu instid0(SALU_CYCLE_1) | instskip(NEXT) | instid1(VALU_DEP_2)
	s_or_b32 exec_lo, exec_lo, s18
	v_lshrrev_b16 v28, 8, v39
	s_mov_b32 s24, exec_lo
	s_delay_alu instid0(VALU_DEP_1)
	v_cmpx_ne_u16_e32 0, v28
	s_cbranch_execz .LBB239_768
; %bb.761:                              ;   in Loop: Header=BB239_13 Depth=1
	v_dual_mov_b32 v65, s17 :: v_dual_mov_b32 v64, s16
	s_mov_b32 s25, exec_lo
	v_cmpx_ne_u16_e32 0x80, v28
	s_cbranch_execz .LBB239_767
; %bb.762:                              ;   in Loop: Header=BB239_13 Depth=1
	s_mov_b32 s18, s16
	v_dual_mov_b32 v65, s19 :: v_dual_and_b32 v4, 0xffff, v28
	v_mov_b32_e32 v64, s18
	s_mov_b32 s18, exec_lo
	s_delay_alu instid0(VALU_DEP_2) | instskip(NEXT) | instid1(VALU_DEP_1)
	v_and_b32_e32 v70, 0x7f, v4
	v_cmpx_ne_u32_e32 0x7f, v70
	s_cbranch_execz .LBB239_766
; %bb.763:                              ;   in Loop: Header=BB239_13 Depth=1
	v_and_b32_e32 v28, 7, v4
	v_lshrrev_b32_e32 v64, 3, v70
	s_mov_b32 s26, exec_lo
	v_cmpx_gt_u32_e32 8, v70
; %bb.764:                              ;   in Loop: Header=BB239_13 Depth=1
	s_delay_alu instid0(VALU_DEP_3) | instskip(NEXT) | instid1(VALU_DEP_1)
	v_clz_i32_u32_e32 v4, v28
	v_min_u32_e32 v64, 32, v4
	s_delay_alu instid0(VALU_DEP_1) | instskip(SKIP_1) | instid1(VALU_DEP_2)
	v_subrev_nc_u32_e32 v4, 28, v64
	v_sub_nc_u32_e32 v64, 29, v64
	v_lshlrev_b64 v[4:5], v4, v[28:29]
	s_delay_alu instid0(VALU_DEP_1)
	v_and_b32_e32 v28, 7, v4
; %bb.765:                              ;   in Loop: Header=BB239_13 Depth=1
	s_or_b32 exec_lo, exec_lo, s26
	v_lshlrev_b32_e32 v4, 16, v39
	s_delay_alu instid0(VALU_DEP_2) | instskip(SKIP_2) | instid1(VALU_DEP_4)
	v_lshlrev_b32_e32 v5, 20, v28
	v_lshl_add_u32 v28, v64, 23, 0x3c000000
	v_mov_b32_e32 v64, v29
	v_and_b32_e32 v4, 0x80000000, v4
	s_delay_alu instid0(VALU_DEP_1)
	v_or3_b32 v65, v5, v4, v28
.LBB239_766:                            ;   in Loop: Header=BB239_13 Depth=1
	s_or_b32 exec_lo, exec_lo, s18
.LBB239_767:                            ;   in Loop: Header=BB239_13 Depth=1
	s_delay_alu instid0(SALU_CYCLE_1)
	s_or_b32 exec_lo, exec_lo, s25
.LBB239_768:                            ;   in Loop: Header=BB239_13 Depth=1
	s_delay_alu instid0(SALU_CYCLE_1) | instskip(SKIP_4) | instid1(VALU_DEP_1)
	s_or_b32 exec_lo, exec_lo, s24
	flat_load_u16 v4, v[68:69] offset:12
	v_mov_b32_e32 v68, 0
	v_mov_b32_e32 v69, 0
	s_mov_b32 s18, exec_lo
	v_dual_mov_b32 v71, v69 :: v_dual_mov_b32 v70, v68
	s_waitcnt vmcnt(0) lgkmcnt(0)
	v_and_b32_e32 v5, 0xff, v4
	v_and_b32_e32 v39, 0xffff, v4
	s_delay_alu instid0(VALU_DEP_2)
	v_cmpx_ne_u16_e32 0, v5
	s_cbranch_execz .LBB239_776
; %bb.769:                              ;   in Loop: Header=BB239_13 Depth=1
	v_bfrev_b32_e32 v70, 1
	s_delay_alu instid0(VALU_DEP_3) | instskip(SKIP_1) | instid1(VALU_DEP_1)
	v_dual_mov_b32 v71, 0 :: v_dual_and_b32 v4, 0xff, v39
	s_mov_b32 s24, exec_lo
	v_cmpx_ne_u16_e32 0x80, v4
	s_cbranch_execz .LBB239_775
; %bb.770:                              ;   in Loop: Header=BB239_13 Depth=1
	v_mov_b32_e32 v70, 0x7f800001
	v_dual_mov_b32 v71, 0 :: v_dual_and_b32 v4, 0x7f, v39
	s_mov_b32 s25, exec_lo
	s_delay_alu instid0(VALU_DEP_1)
	v_cmpx_ne_u32_e32 0x7f, v4
	s_cbranch_execz .LBB239_774
; %bb.771:                              ;   in Loop: Header=BB239_13 Depth=1
	v_and_b32_e32 v28, 7, v39
	v_lshrrev_b32_e32 v70, 3, v4
	s_mov_b32 s26, exec_lo
	v_cmpx_gt_u32_e32 8, v4
; %bb.772:                              ;   in Loop: Header=BB239_13 Depth=1
	s_delay_alu instid0(VALU_DEP_3) | instskip(NEXT) | instid1(VALU_DEP_1)
	v_clz_i32_u32_e32 v4, v28
	v_min_u32_e32 v70, 32, v4
	s_delay_alu instid0(VALU_DEP_1) | instskip(SKIP_1) | instid1(VALU_DEP_2)
	v_subrev_nc_u32_e32 v4, 28, v70
	v_sub_nc_u32_e32 v70, 29, v70
	v_lshlrev_b64 v[4:5], v4, v[28:29]
	s_delay_alu instid0(VALU_DEP_1)
	v_and_b32_e32 v28, 7, v4
; %bb.773:                              ;   in Loop: Header=BB239_13 Depth=1
	s_or_b32 exec_lo, exec_lo, s26
	v_lshlrev_b32_e32 v4, 24, v39
	s_delay_alu instid0(VALU_DEP_2) | instskip(SKIP_1) | instid1(VALU_DEP_3)
	v_lshlrev_b32_e32 v5, 20, v28
	v_lshl_add_u32 v28, v70, 23, 0x3c000000
	v_and_b32_e32 v4, 0x80000000, v4
	s_delay_alu instid0(VALU_DEP_1) | instskip(NEXT) | instid1(VALU_DEP_1)
	v_or3_b32 v28, v5, v4, v28
	v_dual_mov_b32 v71, v29 :: v_dual_mov_b32 v70, v28
.LBB239_774:                            ;   in Loop: Header=BB239_13 Depth=1
	s_or_b32 exec_lo, exec_lo, s25
.LBB239_775:                            ;   in Loop: Header=BB239_13 Depth=1
	s_delay_alu instid0(SALU_CYCLE_1)
	s_or_b32 exec_lo, exec_lo, s24
.LBB239_776:                            ;   in Loop: Header=BB239_13 Depth=1
	s_delay_alu instid0(SALU_CYCLE_1) | instskip(NEXT) | instid1(VALU_DEP_2)
	s_or_b32 exec_lo, exec_lo, s18
	v_lshrrev_b16 v28, 8, v39
	s_mov_b32 s24, exec_lo
	s_delay_alu instid0(VALU_DEP_1)
	v_cmpx_ne_u16_e32 0, v28
	s_cbranch_execz .LBB239_784
; %bb.777:                              ;   in Loop: Header=BB239_13 Depth=1
	v_dual_mov_b32 v69, s17 :: v_dual_mov_b32 v68, s16
	s_mov_b32 s25, exec_lo
	v_cmpx_ne_u16_e32 0x80, v28
	s_cbranch_execz .LBB239_783
; %bb.778:                              ;   in Loop: Header=BB239_13 Depth=1
	s_mov_b32 s18, s16
	v_dual_mov_b32 v69, s19 :: v_dual_and_b32 v4, 0xffff, v28
	v_mov_b32_e32 v68, s18
	s_mov_b32 s18, exec_lo
	s_delay_alu instid0(VALU_DEP_2) | instskip(NEXT) | instid1(VALU_DEP_1)
	v_and_b32_e32 v80, 0x7f, v4
	v_cmpx_ne_u32_e32 0x7f, v80
	s_cbranch_execz .LBB239_782
; %bb.779:                              ;   in Loop: Header=BB239_13 Depth=1
	v_and_b32_e32 v28, 7, v4
	v_lshrrev_b32_e32 v68, 3, v80
	s_mov_b32 s26, exec_lo
	v_cmpx_gt_u32_e32 8, v80
; %bb.780:                              ;   in Loop: Header=BB239_13 Depth=1
	s_delay_alu instid0(VALU_DEP_3) | instskip(NEXT) | instid1(VALU_DEP_1)
	v_clz_i32_u32_e32 v4, v28
	v_min_u32_e32 v68, 32, v4
	s_delay_alu instid0(VALU_DEP_1) | instskip(SKIP_1) | instid1(VALU_DEP_2)
	v_subrev_nc_u32_e32 v4, 28, v68
	v_sub_nc_u32_e32 v68, 29, v68
	v_lshlrev_b64 v[4:5], v4, v[28:29]
	s_delay_alu instid0(VALU_DEP_1)
	v_and_b32_e32 v28, 7, v4
; %bb.781:                              ;   in Loop: Header=BB239_13 Depth=1
	s_or_b32 exec_lo, exec_lo, s26
	v_lshlrev_b32_e32 v4, 16, v39
	s_delay_alu instid0(VALU_DEP_2) | instskip(SKIP_2) | instid1(VALU_DEP_4)
	v_lshlrev_b32_e32 v5, 20, v28
	v_lshl_add_u32 v28, v68, 23, 0x3c000000
	v_mov_b32_e32 v68, v29
	v_and_b32_e32 v4, 0x80000000, v4
	s_delay_alu instid0(VALU_DEP_1)
	v_or3_b32 v69, v5, v4, v28
.LBB239_782:                            ;   in Loop: Header=BB239_13 Depth=1
	s_or_b32 exec_lo, exec_lo, s18
.LBB239_783:                            ;   in Loop: Header=BB239_13 Depth=1
	s_delay_alu instid0(SALU_CYCLE_1)
	s_or_b32 exec_lo, exec_lo, s25
.LBB239_784:                            ;   in Loop: Header=BB239_13 Depth=1
	s_delay_alu instid0(SALU_CYCLE_1) | instskip(SKIP_4) | instid1(VALU_DEP_1)
	s_or_b32 exec_lo, exec_lo, s24
	flat_load_u16 v4, v[162:163] offset:3072
	v_mov_b32_e32 v80, 0
	v_mov_b32_e32 v81, 0
	s_mov_b32 s18, exec_lo
	v_dual_mov_b32 v83, v81 :: v_dual_mov_b32 v82, v80
	s_waitcnt vmcnt(0) lgkmcnt(0)
	v_and_b32_e32 v5, 0xff, v4
	v_and_b32_e32 v39, 0xffff, v4
	s_delay_alu instid0(VALU_DEP_2)
	v_cmpx_ne_u16_e32 0, v5
	s_cbranch_execz .LBB239_792
; %bb.785:                              ;   in Loop: Header=BB239_13 Depth=1
	v_bfrev_b32_e32 v82, 1
	s_delay_alu instid0(VALU_DEP_3) | instskip(SKIP_1) | instid1(VALU_DEP_1)
	v_dual_mov_b32 v83, 0 :: v_dual_and_b32 v4, 0xff, v39
	s_mov_b32 s24, exec_lo
	v_cmpx_ne_u16_e32 0x80, v4
	s_cbranch_execz .LBB239_791
; %bb.786:                              ;   in Loop: Header=BB239_13 Depth=1
	v_mov_b32_e32 v82, 0x7f800001
	v_dual_mov_b32 v83, 0 :: v_dual_and_b32 v4, 0x7f, v39
	s_mov_b32 s25, exec_lo
	s_delay_alu instid0(VALU_DEP_1)
	v_cmpx_ne_u32_e32 0x7f, v4
	s_cbranch_execz .LBB239_790
; %bb.787:                              ;   in Loop: Header=BB239_13 Depth=1
	v_and_b32_e32 v28, 7, v39
	v_lshrrev_b32_e32 v82, 3, v4
	s_mov_b32 s26, exec_lo
	v_cmpx_gt_u32_e32 8, v4
; %bb.788:                              ;   in Loop: Header=BB239_13 Depth=1
	s_delay_alu instid0(VALU_DEP_3) | instskip(NEXT) | instid1(VALU_DEP_1)
	v_clz_i32_u32_e32 v4, v28
	v_min_u32_e32 v82, 32, v4
	s_delay_alu instid0(VALU_DEP_1) | instskip(SKIP_1) | instid1(VALU_DEP_2)
	v_subrev_nc_u32_e32 v4, 28, v82
	v_sub_nc_u32_e32 v82, 29, v82
	v_lshlrev_b64 v[4:5], v4, v[28:29]
	s_delay_alu instid0(VALU_DEP_1)
	v_and_b32_e32 v28, 7, v4
; %bb.789:                              ;   in Loop: Header=BB239_13 Depth=1
	s_or_b32 exec_lo, exec_lo, s26
	v_lshlrev_b32_e32 v4, 24, v39
	s_delay_alu instid0(VALU_DEP_2) | instskip(SKIP_1) | instid1(VALU_DEP_3)
	v_lshlrev_b32_e32 v5, 20, v28
	v_lshl_add_u32 v28, v82, 23, 0x3c000000
	v_and_b32_e32 v4, 0x80000000, v4
	s_delay_alu instid0(VALU_DEP_1) | instskip(NEXT) | instid1(VALU_DEP_1)
	v_or3_b32 v28, v5, v4, v28
	v_dual_mov_b32 v83, v29 :: v_dual_mov_b32 v82, v28
.LBB239_790:                            ;   in Loop: Header=BB239_13 Depth=1
	s_or_b32 exec_lo, exec_lo, s25
.LBB239_791:                            ;   in Loop: Header=BB239_13 Depth=1
	s_delay_alu instid0(SALU_CYCLE_1)
	s_or_b32 exec_lo, exec_lo, s24
.LBB239_792:                            ;   in Loop: Header=BB239_13 Depth=1
	s_delay_alu instid0(SALU_CYCLE_1) | instskip(NEXT) | instid1(VALU_DEP_2)
	s_or_b32 exec_lo, exec_lo, s18
	v_lshrrev_b16 v28, 8, v39
	s_mov_b32 s24, exec_lo
	s_delay_alu instid0(VALU_DEP_1)
	v_cmpx_ne_u16_e32 0, v28
	s_cbranch_execz .LBB239_800
; %bb.793:                              ;   in Loop: Header=BB239_13 Depth=1
	v_dual_mov_b32 v81, s17 :: v_dual_mov_b32 v80, s16
	s_mov_b32 s25, exec_lo
	v_cmpx_ne_u16_e32 0x80, v28
	s_cbranch_execz .LBB239_799
; %bb.794:                              ;   in Loop: Header=BB239_13 Depth=1
	s_mov_b32 s18, s16
	v_dual_mov_b32 v81, s19 :: v_dual_and_b32 v4, 0xffff, v28
	v_mov_b32_e32 v80, s18
	s_mov_b32 s18, exec_lo
	s_delay_alu instid0(VALU_DEP_2) | instskip(NEXT) | instid1(VALU_DEP_1)
	v_and_b32_e32 v84, 0x7f, v4
	v_cmpx_ne_u32_e32 0x7f, v84
	s_cbranch_execz .LBB239_798
; %bb.795:                              ;   in Loop: Header=BB239_13 Depth=1
	v_and_b32_e32 v28, 7, v4
	v_lshrrev_b32_e32 v80, 3, v84
	s_mov_b32 s26, exec_lo
	v_cmpx_gt_u32_e32 8, v84
; %bb.796:                              ;   in Loop: Header=BB239_13 Depth=1
	s_delay_alu instid0(VALU_DEP_3) | instskip(NEXT) | instid1(VALU_DEP_1)
	v_clz_i32_u32_e32 v4, v28
	v_min_u32_e32 v80, 32, v4
	s_delay_alu instid0(VALU_DEP_1) | instskip(SKIP_1) | instid1(VALU_DEP_2)
	v_subrev_nc_u32_e32 v4, 28, v80
	v_sub_nc_u32_e32 v80, 29, v80
	v_lshlrev_b64 v[4:5], v4, v[28:29]
	s_delay_alu instid0(VALU_DEP_1)
	v_and_b32_e32 v28, 7, v4
; %bb.797:                              ;   in Loop: Header=BB239_13 Depth=1
	s_or_b32 exec_lo, exec_lo, s26
	v_lshlrev_b32_e32 v4, 16, v39
	s_delay_alu instid0(VALU_DEP_2) | instskip(SKIP_2) | instid1(VALU_DEP_4)
	v_lshlrev_b32_e32 v5, 20, v28
	v_lshl_add_u32 v28, v80, 23, 0x3c000000
	v_mov_b32_e32 v80, v29
	v_and_b32_e32 v4, 0x80000000, v4
	s_delay_alu instid0(VALU_DEP_1)
	v_or3_b32 v81, v5, v4, v28
.LBB239_798:                            ;   in Loop: Header=BB239_13 Depth=1
	s_or_b32 exec_lo, exec_lo, s18
.LBB239_799:                            ;   in Loop: Header=BB239_13 Depth=1
	s_delay_alu instid0(SALU_CYCLE_1)
	s_or_b32 exec_lo, exec_lo, s25
.LBB239_800:                            ;   in Loop: Header=BB239_13 Depth=1
	s_delay_alu instid0(SALU_CYCLE_1) | instskip(SKIP_4) | instid1(VALU_DEP_1)
	s_or_b32 exec_lo, exec_lo, s24
	flat_load_u16 v4, v[162:163] offset:3076
	v_mov_b32_e32 v84, 0
	v_mov_b32_e32 v85, 0
	s_mov_b32 s18, exec_lo
	v_dual_mov_b32 v87, v85 :: v_dual_mov_b32 v86, v84
	s_waitcnt vmcnt(0) lgkmcnt(0)
	v_and_b32_e32 v5, 0xff, v4
	v_and_b32_e32 v39, 0xffff, v4
	s_delay_alu instid0(VALU_DEP_2)
	v_cmpx_ne_u16_e32 0, v5
	s_cbranch_execz .LBB239_808
; %bb.801:                              ;   in Loop: Header=BB239_13 Depth=1
	v_bfrev_b32_e32 v86, 1
	s_delay_alu instid0(VALU_DEP_3) | instskip(SKIP_1) | instid1(VALU_DEP_1)
	v_dual_mov_b32 v87, 0 :: v_dual_and_b32 v4, 0xff, v39
	s_mov_b32 s24, exec_lo
	v_cmpx_ne_u16_e32 0x80, v4
	s_cbranch_execz .LBB239_807
; %bb.802:                              ;   in Loop: Header=BB239_13 Depth=1
	v_mov_b32_e32 v86, 0x7f800001
	v_dual_mov_b32 v87, 0 :: v_dual_and_b32 v4, 0x7f, v39
	s_mov_b32 s25, exec_lo
	s_delay_alu instid0(VALU_DEP_1)
	v_cmpx_ne_u32_e32 0x7f, v4
	s_cbranch_execz .LBB239_806
; %bb.803:                              ;   in Loop: Header=BB239_13 Depth=1
	v_and_b32_e32 v28, 7, v39
	v_lshrrev_b32_e32 v86, 3, v4
	s_mov_b32 s26, exec_lo
	v_cmpx_gt_u32_e32 8, v4
; %bb.804:                              ;   in Loop: Header=BB239_13 Depth=1
	s_delay_alu instid0(VALU_DEP_3) | instskip(NEXT) | instid1(VALU_DEP_1)
	v_clz_i32_u32_e32 v4, v28
	v_min_u32_e32 v86, 32, v4
	s_delay_alu instid0(VALU_DEP_1) | instskip(SKIP_1) | instid1(VALU_DEP_2)
	v_subrev_nc_u32_e32 v4, 28, v86
	v_sub_nc_u32_e32 v86, 29, v86
	v_lshlrev_b64 v[4:5], v4, v[28:29]
	s_delay_alu instid0(VALU_DEP_1)
	v_and_b32_e32 v28, 7, v4
; %bb.805:                              ;   in Loop: Header=BB239_13 Depth=1
	s_or_b32 exec_lo, exec_lo, s26
	v_lshlrev_b32_e32 v4, 24, v39
	s_delay_alu instid0(VALU_DEP_2) | instskip(SKIP_1) | instid1(VALU_DEP_3)
	v_lshlrev_b32_e32 v5, 20, v28
	v_lshl_add_u32 v28, v86, 23, 0x3c000000
	v_and_b32_e32 v4, 0x80000000, v4
	s_delay_alu instid0(VALU_DEP_1) | instskip(NEXT) | instid1(VALU_DEP_1)
	v_or3_b32 v28, v5, v4, v28
	v_dual_mov_b32 v87, v29 :: v_dual_mov_b32 v86, v28
.LBB239_806:                            ;   in Loop: Header=BB239_13 Depth=1
	s_or_b32 exec_lo, exec_lo, s25
.LBB239_807:                            ;   in Loop: Header=BB239_13 Depth=1
	s_delay_alu instid0(SALU_CYCLE_1)
	s_or_b32 exec_lo, exec_lo, s24
.LBB239_808:                            ;   in Loop: Header=BB239_13 Depth=1
	s_delay_alu instid0(SALU_CYCLE_1) | instskip(NEXT) | instid1(VALU_DEP_2)
	s_or_b32 exec_lo, exec_lo, s18
	v_lshrrev_b16 v28, 8, v39
	s_mov_b32 s24, exec_lo
	s_delay_alu instid0(VALU_DEP_1)
	v_cmpx_ne_u16_e32 0, v28
	s_cbranch_execz .LBB239_816
; %bb.809:                              ;   in Loop: Header=BB239_13 Depth=1
	v_dual_mov_b32 v85, s17 :: v_dual_mov_b32 v84, s16
	s_mov_b32 s25, exec_lo
	v_cmpx_ne_u16_e32 0x80, v28
	s_cbranch_execz .LBB239_815
; %bb.810:                              ;   in Loop: Header=BB239_13 Depth=1
	s_mov_b32 s18, s16
	v_dual_mov_b32 v85, s19 :: v_dual_and_b32 v4, 0xffff, v28
	v_mov_b32_e32 v84, s18
	s_mov_b32 s18, exec_lo
	s_delay_alu instid0(VALU_DEP_2) | instskip(NEXT) | instid1(VALU_DEP_1)
	v_and_b32_e32 v96, 0x7f, v4
	v_cmpx_ne_u32_e32 0x7f, v96
	s_cbranch_execz .LBB239_814
; %bb.811:                              ;   in Loop: Header=BB239_13 Depth=1
	v_and_b32_e32 v28, 7, v4
	v_lshrrev_b32_e32 v84, 3, v96
	s_mov_b32 s26, exec_lo
	v_cmpx_gt_u32_e32 8, v96
; %bb.812:                              ;   in Loop: Header=BB239_13 Depth=1
	s_delay_alu instid0(VALU_DEP_3) | instskip(NEXT) | instid1(VALU_DEP_1)
	v_clz_i32_u32_e32 v4, v28
	v_min_u32_e32 v84, 32, v4
	s_delay_alu instid0(VALU_DEP_1) | instskip(SKIP_1) | instid1(VALU_DEP_2)
	v_subrev_nc_u32_e32 v4, 28, v84
	v_sub_nc_u32_e32 v84, 29, v84
	v_lshlrev_b64 v[4:5], v4, v[28:29]
	s_delay_alu instid0(VALU_DEP_1)
	v_and_b32_e32 v28, 7, v4
; %bb.813:                              ;   in Loop: Header=BB239_13 Depth=1
	s_or_b32 exec_lo, exec_lo, s26
	v_lshlrev_b32_e32 v4, 16, v39
	s_delay_alu instid0(VALU_DEP_2) | instskip(SKIP_2) | instid1(VALU_DEP_4)
	v_lshlrev_b32_e32 v5, 20, v28
	v_lshl_add_u32 v28, v84, 23, 0x3c000000
	v_mov_b32_e32 v84, v29
	v_and_b32_e32 v4, 0x80000000, v4
	s_delay_alu instid0(VALU_DEP_1)
	v_or3_b32 v85, v5, v4, v28
.LBB239_814:                            ;   in Loop: Header=BB239_13 Depth=1
	s_or_b32 exec_lo, exec_lo, s18
.LBB239_815:                            ;   in Loop: Header=BB239_13 Depth=1
	s_delay_alu instid0(SALU_CYCLE_1)
	s_or_b32 exec_lo, exec_lo, s25
.LBB239_816:                            ;   in Loop: Header=BB239_13 Depth=1
	s_delay_alu instid0(SALU_CYCLE_1) | instskip(SKIP_1) | instid1(VALU_DEP_1)
	s_or_b32 exec_lo, exec_lo, s24
	v_add_co_u32 v100, s2, 0xc00, v162
	v_add_co_ci_u32_e64 v101, s2, 0, v163, s2
	s_mov_b32 s18, exec_lo
	flat_load_u16 v4, v[100:101] offset:8
	v_mov_b32_e32 v96, 0
	v_mov_b32_e32 v97, 0
	s_delay_alu instid0(VALU_DEP_1) | instskip(SKIP_3) | instid1(VALU_DEP_2)
	v_dual_mov_b32 v99, v97 :: v_dual_mov_b32 v98, v96
	s_waitcnt vmcnt(0) lgkmcnt(0)
	v_and_b32_e32 v5, 0xff, v4
	v_and_b32_e32 v39, 0xffff, v4
	v_cmpx_ne_u16_e32 0, v5
	s_cbranch_execz .LBB239_824
; %bb.817:                              ;   in Loop: Header=BB239_13 Depth=1
	v_bfrev_b32_e32 v98, 1
	s_delay_alu instid0(VALU_DEP_3) | instskip(SKIP_1) | instid1(VALU_DEP_1)
	v_dual_mov_b32 v99, 0 :: v_dual_and_b32 v4, 0xff, v39
	s_mov_b32 s24, exec_lo
	v_cmpx_ne_u16_e32 0x80, v4
	s_cbranch_execz .LBB239_823
; %bb.818:                              ;   in Loop: Header=BB239_13 Depth=1
	v_mov_b32_e32 v98, 0x7f800001
	v_dual_mov_b32 v99, 0 :: v_dual_and_b32 v4, 0x7f, v39
	s_mov_b32 s25, exec_lo
	s_delay_alu instid0(VALU_DEP_1)
	v_cmpx_ne_u32_e32 0x7f, v4
	s_cbranch_execz .LBB239_822
; %bb.819:                              ;   in Loop: Header=BB239_13 Depth=1
	v_and_b32_e32 v28, 7, v39
	v_lshrrev_b32_e32 v98, 3, v4
	s_mov_b32 s26, exec_lo
	v_cmpx_gt_u32_e32 8, v4
; %bb.820:                              ;   in Loop: Header=BB239_13 Depth=1
	s_delay_alu instid0(VALU_DEP_3) | instskip(NEXT) | instid1(VALU_DEP_1)
	v_clz_i32_u32_e32 v4, v28
	v_min_u32_e32 v98, 32, v4
	s_delay_alu instid0(VALU_DEP_1) | instskip(SKIP_1) | instid1(VALU_DEP_2)
	v_subrev_nc_u32_e32 v4, 28, v98
	v_sub_nc_u32_e32 v98, 29, v98
	v_lshlrev_b64 v[4:5], v4, v[28:29]
	s_delay_alu instid0(VALU_DEP_1)
	v_and_b32_e32 v28, 7, v4
; %bb.821:                              ;   in Loop: Header=BB239_13 Depth=1
	s_or_b32 exec_lo, exec_lo, s26
	v_lshlrev_b32_e32 v4, 24, v39
	s_delay_alu instid0(VALU_DEP_2) | instskip(SKIP_1) | instid1(VALU_DEP_3)
	v_lshlrev_b32_e32 v5, 20, v28
	v_lshl_add_u32 v28, v98, 23, 0x3c000000
	v_and_b32_e32 v4, 0x80000000, v4
	s_delay_alu instid0(VALU_DEP_1) | instskip(NEXT) | instid1(VALU_DEP_1)
	v_or3_b32 v28, v5, v4, v28
	v_dual_mov_b32 v99, v29 :: v_dual_mov_b32 v98, v28
.LBB239_822:                            ;   in Loop: Header=BB239_13 Depth=1
	s_or_b32 exec_lo, exec_lo, s25
.LBB239_823:                            ;   in Loop: Header=BB239_13 Depth=1
	s_delay_alu instid0(SALU_CYCLE_1)
	s_or_b32 exec_lo, exec_lo, s24
.LBB239_824:                            ;   in Loop: Header=BB239_13 Depth=1
	s_delay_alu instid0(SALU_CYCLE_1) | instskip(NEXT) | instid1(VALU_DEP_2)
	s_or_b32 exec_lo, exec_lo, s18
	v_lshrrev_b16 v28, 8, v39
	s_mov_b32 s24, exec_lo
	s_delay_alu instid0(VALU_DEP_1)
	v_cmpx_ne_u16_e32 0, v28
	s_cbranch_execz .LBB239_832
; %bb.825:                              ;   in Loop: Header=BB239_13 Depth=1
	v_dual_mov_b32 v97, s17 :: v_dual_mov_b32 v96, s16
	s_mov_b32 s25, exec_lo
	v_cmpx_ne_u16_e32 0x80, v28
	s_cbranch_execz .LBB239_831
; %bb.826:                              ;   in Loop: Header=BB239_13 Depth=1
	s_mov_b32 s18, s16
	v_dual_mov_b32 v97, s19 :: v_dual_and_b32 v4, 0xffff, v28
	v_mov_b32_e32 v96, s18
	s_mov_b32 s18, exec_lo
	s_delay_alu instid0(VALU_DEP_2) | instskip(NEXT) | instid1(VALU_DEP_1)
	v_and_b32_e32 v102, 0x7f, v4
	v_cmpx_ne_u32_e32 0x7f, v102
	s_cbranch_execz .LBB239_830
; %bb.827:                              ;   in Loop: Header=BB239_13 Depth=1
	v_and_b32_e32 v28, 7, v4
	v_lshrrev_b32_e32 v96, 3, v102
	s_mov_b32 s26, exec_lo
	v_cmpx_gt_u32_e32 8, v102
; %bb.828:                              ;   in Loop: Header=BB239_13 Depth=1
	s_delay_alu instid0(VALU_DEP_3) | instskip(NEXT) | instid1(VALU_DEP_1)
	v_clz_i32_u32_e32 v4, v28
	v_min_u32_e32 v96, 32, v4
	s_delay_alu instid0(VALU_DEP_1) | instskip(SKIP_1) | instid1(VALU_DEP_2)
	v_subrev_nc_u32_e32 v4, 28, v96
	v_sub_nc_u32_e32 v96, 29, v96
	v_lshlrev_b64 v[4:5], v4, v[28:29]
	s_delay_alu instid0(VALU_DEP_1)
	v_and_b32_e32 v28, 7, v4
; %bb.829:                              ;   in Loop: Header=BB239_13 Depth=1
	s_or_b32 exec_lo, exec_lo, s26
	v_lshlrev_b32_e32 v4, 16, v39
	s_delay_alu instid0(VALU_DEP_2) | instskip(SKIP_2) | instid1(VALU_DEP_4)
	v_lshlrev_b32_e32 v5, 20, v28
	v_lshl_add_u32 v28, v96, 23, 0x3c000000
	v_mov_b32_e32 v96, v29
	v_and_b32_e32 v4, 0x80000000, v4
	s_delay_alu instid0(VALU_DEP_1)
	v_or3_b32 v97, v5, v4, v28
.LBB239_830:                            ;   in Loop: Header=BB239_13 Depth=1
	s_or_b32 exec_lo, exec_lo, s18
.LBB239_831:                            ;   in Loop: Header=BB239_13 Depth=1
	s_delay_alu instid0(SALU_CYCLE_1)
	s_or_b32 exec_lo, exec_lo, s25
.LBB239_832:                            ;   in Loop: Header=BB239_13 Depth=1
	s_delay_alu instid0(SALU_CYCLE_1) | instskip(SKIP_4) | instid1(VALU_DEP_1)
	s_or_b32 exec_lo, exec_lo, s24
	flat_load_u16 v4, v[100:101] offset:12
	v_mov_b32_e32 v100, 0
	v_mov_b32_e32 v101, 0
	s_mov_b32 s18, exec_lo
	v_dual_mov_b32 v103, v101 :: v_dual_mov_b32 v102, v100
	s_waitcnt vmcnt(0) lgkmcnt(0)
	v_and_b32_e32 v5, 0xff, v4
	v_and_b32_e32 v39, 0xffff, v4
	s_delay_alu instid0(VALU_DEP_2)
	v_cmpx_ne_u16_e32 0, v5
	s_cbranch_execz .LBB239_840
; %bb.833:                              ;   in Loop: Header=BB239_13 Depth=1
	v_bfrev_b32_e32 v102, 1
	s_delay_alu instid0(VALU_DEP_3) | instskip(SKIP_1) | instid1(VALU_DEP_1)
	v_dual_mov_b32 v103, 0 :: v_dual_and_b32 v4, 0xff, v39
	s_mov_b32 s24, exec_lo
	v_cmpx_ne_u16_e32 0x80, v4
	s_cbranch_execz .LBB239_839
; %bb.834:                              ;   in Loop: Header=BB239_13 Depth=1
	v_mov_b32_e32 v102, 0x7f800001
	v_dual_mov_b32 v103, 0 :: v_dual_and_b32 v4, 0x7f, v39
	s_mov_b32 s25, exec_lo
	s_delay_alu instid0(VALU_DEP_1)
	v_cmpx_ne_u32_e32 0x7f, v4
	s_cbranch_execz .LBB239_838
; %bb.835:                              ;   in Loop: Header=BB239_13 Depth=1
	v_and_b32_e32 v28, 7, v39
	v_lshrrev_b32_e32 v102, 3, v4
	s_mov_b32 s26, exec_lo
	v_cmpx_gt_u32_e32 8, v4
; %bb.836:                              ;   in Loop: Header=BB239_13 Depth=1
	s_delay_alu instid0(VALU_DEP_3) | instskip(NEXT) | instid1(VALU_DEP_1)
	v_clz_i32_u32_e32 v4, v28
	v_min_u32_e32 v102, 32, v4
	s_delay_alu instid0(VALU_DEP_1) | instskip(SKIP_1) | instid1(VALU_DEP_2)
	v_subrev_nc_u32_e32 v4, 28, v102
	v_sub_nc_u32_e32 v102, 29, v102
	v_lshlrev_b64 v[4:5], v4, v[28:29]
	s_delay_alu instid0(VALU_DEP_1)
	v_and_b32_e32 v28, 7, v4
; %bb.837:                              ;   in Loop: Header=BB239_13 Depth=1
	s_or_b32 exec_lo, exec_lo, s26
	v_lshlrev_b32_e32 v4, 24, v39
	s_delay_alu instid0(VALU_DEP_2) | instskip(SKIP_1) | instid1(VALU_DEP_3)
	v_lshlrev_b32_e32 v5, 20, v28
	v_lshl_add_u32 v28, v102, 23, 0x3c000000
	v_and_b32_e32 v4, 0x80000000, v4
	s_delay_alu instid0(VALU_DEP_1) | instskip(NEXT) | instid1(VALU_DEP_1)
	v_or3_b32 v28, v5, v4, v28
	v_dual_mov_b32 v103, v29 :: v_dual_mov_b32 v102, v28
.LBB239_838:                            ;   in Loop: Header=BB239_13 Depth=1
	s_or_b32 exec_lo, exec_lo, s25
.LBB239_839:                            ;   in Loop: Header=BB239_13 Depth=1
	s_delay_alu instid0(SALU_CYCLE_1)
	s_or_b32 exec_lo, exec_lo, s24
.LBB239_840:                            ;   in Loop: Header=BB239_13 Depth=1
	s_delay_alu instid0(SALU_CYCLE_1) | instskip(NEXT) | instid1(VALU_DEP_2)
	s_or_b32 exec_lo, exec_lo, s18
	v_lshrrev_b16 v28, 8, v39
	s_mov_b32 s24, exec_lo
	s_delay_alu instid0(VALU_DEP_1)
	v_cmpx_ne_u16_e32 0, v28
	s_cbranch_execz .LBB239_848
; %bb.841:                              ;   in Loop: Header=BB239_13 Depth=1
	v_dual_mov_b32 v101, s17 :: v_dual_mov_b32 v100, s16
	s_mov_b32 s25, exec_lo
	v_cmpx_ne_u16_e32 0x80, v28
	s_cbranch_execz .LBB239_847
; %bb.842:                              ;   in Loop: Header=BB239_13 Depth=1
	s_mov_b32 s18, s16
	v_dual_mov_b32 v101, s19 :: v_dual_and_b32 v4, 0xffff, v28
	v_mov_b32_e32 v100, s18
	s_mov_b32 s18, exec_lo
	s_delay_alu instid0(VALU_DEP_2) | instskip(NEXT) | instid1(VALU_DEP_1)
	v_and_b32_e32 v130, 0x7f, v4
	v_cmpx_ne_u32_e32 0x7f, v130
	s_cbranch_execz .LBB239_846
; %bb.843:                              ;   in Loop: Header=BB239_13 Depth=1
	v_and_b32_e32 v28, 7, v4
	v_lshrrev_b32_e32 v100, 3, v130
	s_mov_b32 s26, exec_lo
	v_cmpx_gt_u32_e32 8, v130
; %bb.844:                              ;   in Loop: Header=BB239_13 Depth=1
	s_delay_alu instid0(VALU_DEP_3) | instskip(NEXT) | instid1(VALU_DEP_1)
	v_clz_i32_u32_e32 v4, v28
	v_min_u32_e32 v100, 32, v4
	s_delay_alu instid0(VALU_DEP_1) | instskip(SKIP_1) | instid1(VALU_DEP_2)
	v_subrev_nc_u32_e32 v4, 28, v100
	v_sub_nc_u32_e32 v100, 29, v100
	v_lshlrev_b64 v[4:5], v4, v[28:29]
	s_delay_alu instid0(VALU_DEP_1)
	v_and_b32_e32 v28, 7, v4
; %bb.845:                              ;   in Loop: Header=BB239_13 Depth=1
	s_or_b32 exec_lo, exec_lo, s26
	v_lshlrev_b32_e32 v4, 16, v39
	s_delay_alu instid0(VALU_DEP_2) | instskip(SKIP_2) | instid1(VALU_DEP_4)
	v_lshlrev_b32_e32 v5, 20, v28
	v_lshl_add_u32 v28, v100, 23, 0x3c000000
	v_mov_b32_e32 v100, v29
	v_and_b32_e32 v4, 0x80000000, v4
	s_delay_alu instid0(VALU_DEP_1)
	v_or3_b32 v101, v5, v4, v28
.LBB239_846:                            ;   in Loop: Header=BB239_13 Depth=1
	s_or_b32 exec_lo, exec_lo, s18
.LBB239_847:                            ;   in Loop: Header=BB239_13 Depth=1
	s_delay_alu instid0(SALU_CYCLE_1)
	s_or_b32 exec_lo, exec_lo, s25
.LBB239_848:                            ;   in Loop: Header=BB239_13 Depth=1
	s_delay_alu instid0(SALU_CYCLE_1) | instskip(SKIP_4) | instid1(VALU_DEP_1)
	s_or_b32 exec_lo, exec_lo, s24
	flat_load_u16 v4, v[162:163] offset:3328
	v_mov_b32_e32 v106, 0
	v_mov_b32_e32 v107, 0
	s_mov_b32 s18, exec_lo
	v_dual_mov_b32 v111, v107 :: v_dual_mov_b32 v110, v106
	s_waitcnt vmcnt(0) lgkmcnt(0)
	v_and_b32_e32 v5, 0xff, v4
	v_and_b32_e32 v39, 0xffff, v4
	s_delay_alu instid0(VALU_DEP_2)
	v_cmpx_ne_u16_e32 0, v5
	s_cbranch_execz .LBB239_856
; %bb.849:                              ;   in Loop: Header=BB239_13 Depth=1
	v_bfrev_b32_e32 v110, 1
	s_delay_alu instid0(VALU_DEP_3) | instskip(SKIP_1) | instid1(VALU_DEP_1)
	v_dual_mov_b32 v111, 0 :: v_dual_and_b32 v4, 0xff, v39
	s_mov_b32 s24, exec_lo
	v_cmpx_ne_u16_e32 0x80, v4
	s_cbranch_execz .LBB239_855
; %bb.850:                              ;   in Loop: Header=BB239_13 Depth=1
	v_mov_b32_e32 v110, 0x7f800001
	v_dual_mov_b32 v111, 0 :: v_dual_and_b32 v4, 0x7f, v39
	s_mov_b32 s25, exec_lo
	s_delay_alu instid0(VALU_DEP_1)
	v_cmpx_ne_u32_e32 0x7f, v4
	s_cbranch_execz .LBB239_854
; %bb.851:                              ;   in Loop: Header=BB239_13 Depth=1
	v_and_b32_e32 v28, 7, v39
	v_lshrrev_b32_e32 v130, 3, v4
	s_mov_b32 s26, exec_lo
	v_cmpx_gt_u32_e32 8, v4
; %bb.852:                              ;   in Loop: Header=BB239_13 Depth=1
	s_delay_alu instid0(VALU_DEP_3) | instskip(NEXT) | instid1(VALU_DEP_1)
	v_clz_i32_u32_e32 v4, v28
	v_min_u32_e32 v130, 32, v4
	s_delay_alu instid0(VALU_DEP_1) | instskip(SKIP_1) | instid1(VALU_DEP_2)
	v_subrev_nc_u32_e32 v4, 28, v130
	v_sub_nc_u32_e32 v130, 29, v130
	v_lshlrev_b64 v[4:5], v4, v[28:29]
	s_delay_alu instid0(VALU_DEP_1)
	v_and_b32_e32 v28, 7, v4
; %bb.853:                              ;   in Loop: Header=BB239_13 Depth=1
	s_or_b32 exec_lo, exec_lo, s26
	v_lshlrev_b32_e32 v4, 24, v39
	s_delay_alu instid0(VALU_DEP_2) | instskip(SKIP_1) | instid1(VALU_DEP_3)
	v_lshlrev_b32_e32 v5, 20, v28
	v_lshl_add_u32 v28, v130, 23, 0x3c000000
	v_and_b32_e32 v4, 0x80000000, v4
	s_delay_alu instid0(VALU_DEP_1) | instskip(NEXT) | instid1(VALU_DEP_1)
	v_or3_b32 v28, v5, v4, v28
	v_dual_mov_b32 v111, v29 :: v_dual_mov_b32 v110, v28
.LBB239_854:                            ;   in Loop: Header=BB239_13 Depth=1
	s_or_b32 exec_lo, exec_lo, s25
.LBB239_855:                            ;   in Loop: Header=BB239_13 Depth=1
	s_delay_alu instid0(SALU_CYCLE_1)
	s_or_b32 exec_lo, exec_lo, s24
.LBB239_856:                            ;   in Loop: Header=BB239_13 Depth=1
	s_delay_alu instid0(SALU_CYCLE_1) | instskip(NEXT) | instid1(VALU_DEP_2)
	s_or_b32 exec_lo, exec_lo, s18
	v_lshrrev_b16 v28, 8, v39
	s_mov_b32 s24, exec_lo
	s_delay_alu instid0(VALU_DEP_1)
	v_cmpx_ne_u16_e32 0, v28
	s_cbranch_execz .LBB239_864
; %bb.857:                              ;   in Loop: Header=BB239_13 Depth=1
	v_dual_mov_b32 v107, s17 :: v_dual_mov_b32 v106, s16
	s_mov_b32 s25, exec_lo
	v_cmpx_ne_u16_e32 0x80, v28
	s_cbranch_execz .LBB239_863
; %bb.858:                              ;   in Loop: Header=BB239_13 Depth=1
	s_mov_b32 s18, s16
	v_dual_mov_b32 v107, s19 :: v_dual_and_b32 v4, 0xffff, v28
	v_mov_b32_e32 v106, s18
	s_mov_b32 s18, exec_lo
	s_delay_alu instid0(VALU_DEP_2) | instskip(NEXT) | instid1(VALU_DEP_1)
	v_and_b32_e32 v131, 0x7f, v4
	v_cmpx_ne_u32_e32 0x7f, v131
	s_cbranch_execz .LBB239_862
; %bb.859:                              ;   in Loop: Header=BB239_13 Depth=1
	v_and_b32_e32 v28, 7, v4
	v_lshrrev_b32_e32 v130, 3, v131
	s_mov_b32 s26, exec_lo
	v_cmpx_gt_u32_e32 8, v131
; %bb.860:                              ;   in Loop: Header=BB239_13 Depth=1
	s_delay_alu instid0(VALU_DEP_3) | instskip(NEXT) | instid1(VALU_DEP_1)
	v_clz_i32_u32_e32 v4, v28
	v_min_u32_e32 v130, 32, v4
	s_delay_alu instid0(VALU_DEP_1) | instskip(SKIP_1) | instid1(VALU_DEP_2)
	v_subrev_nc_u32_e32 v4, 28, v130
	v_sub_nc_u32_e32 v130, 29, v130
	v_lshlrev_b64 v[4:5], v4, v[28:29]
	s_delay_alu instid0(VALU_DEP_1)
	v_and_b32_e32 v28, 7, v4
; %bb.861:                              ;   in Loop: Header=BB239_13 Depth=1
	s_or_b32 exec_lo, exec_lo, s26
	v_lshlrev_b32_e32 v4, 16, v39
	s_delay_alu instid0(VALU_DEP_2) | instskip(SKIP_1) | instid1(VALU_DEP_3)
	v_dual_mov_b32 v106, v29 :: v_dual_lshlrev_b32 v5, 20, v28
	v_lshl_add_u32 v28, v130, 23, 0x3c000000
	v_and_b32_e32 v4, 0x80000000, v4
	s_delay_alu instid0(VALU_DEP_1)
	v_or3_b32 v107, v5, v4, v28
.LBB239_862:                            ;   in Loop: Header=BB239_13 Depth=1
	s_or_b32 exec_lo, exec_lo, s18
.LBB239_863:                            ;   in Loop: Header=BB239_13 Depth=1
	s_delay_alu instid0(SALU_CYCLE_1)
	s_or_b32 exec_lo, exec_lo, s25
.LBB239_864:                            ;   in Loop: Header=BB239_13 Depth=1
	s_delay_alu instid0(SALU_CYCLE_1) | instskip(SKIP_4) | instid1(VALU_DEP_1)
	s_or_b32 exec_lo, exec_lo, s24
	flat_load_u16 v4, v[162:163] offset:3332
	v_mov_b32_e32 v130, 0
	v_mov_b32_e32 v131, 0
	s_mov_b32 s18, exec_lo
	v_dual_mov_b32 v122, v130 :: v_dual_mov_b32 v123, v131
	s_waitcnt vmcnt(0) lgkmcnt(0)
	v_and_b32_e32 v5, 0xff, v4
	v_and_b32_e32 v39, 0xffff, v4
	s_delay_alu instid0(VALU_DEP_2)
	v_cmpx_ne_u16_e32 0, v5
	s_cbranch_execz .LBB239_872
; %bb.865:                              ;   in Loop: Header=BB239_13 Depth=1
	v_bfrev_b32_e32 v122, 1
	s_delay_alu instid0(VALU_DEP_3) | instskip(SKIP_1) | instid1(VALU_DEP_1)
	v_dual_mov_b32 v123, 0 :: v_dual_and_b32 v4, 0xff, v39
	s_mov_b32 s24, exec_lo
	v_cmpx_ne_u16_e32 0x80, v4
	s_cbranch_execz .LBB239_871
; %bb.866:                              ;   in Loop: Header=BB239_13 Depth=1
	v_mov_b32_e32 v122, 0x7f800001
	v_dual_mov_b32 v123, 0 :: v_dual_and_b32 v4, 0x7f, v39
	s_mov_b32 s25, exec_lo
	s_delay_alu instid0(VALU_DEP_1)
	v_cmpx_ne_u32_e32 0x7f, v4
	s_cbranch_execz .LBB239_870
; %bb.867:                              ;   in Loop: Header=BB239_13 Depth=1
	v_and_b32_e32 v28, 7, v39
	v_lshrrev_b32_e32 v134, 3, v4
	s_mov_b32 s26, exec_lo
	v_cmpx_gt_u32_e32 8, v4
; %bb.868:                              ;   in Loop: Header=BB239_13 Depth=1
	s_delay_alu instid0(VALU_DEP_3) | instskip(NEXT) | instid1(VALU_DEP_1)
	v_clz_i32_u32_e32 v4, v28
	v_min_u32_e32 v134, 32, v4
	s_delay_alu instid0(VALU_DEP_1) | instskip(SKIP_1) | instid1(VALU_DEP_2)
	v_subrev_nc_u32_e32 v4, 28, v134
	v_sub_nc_u32_e32 v134, 29, v134
	v_lshlrev_b64 v[4:5], v4, v[28:29]
	s_delay_alu instid0(VALU_DEP_1)
	v_and_b32_e32 v28, 7, v4
; %bb.869:                              ;   in Loop: Header=BB239_13 Depth=1
	s_or_b32 exec_lo, exec_lo, s26
	v_lshlrev_b32_e32 v4, 24, v39
	s_delay_alu instid0(VALU_DEP_2) | instskip(SKIP_1) | instid1(VALU_DEP_3)
	v_lshlrev_b32_e32 v5, 20, v28
	v_lshl_add_u32 v28, v134, 23, 0x3c000000
	v_and_b32_e32 v4, 0x80000000, v4
	s_delay_alu instid0(VALU_DEP_1) | instskip(NEXT) | instid1(VALU_DEP_1)
	v_or3_b32 v28, v5, v4, v28
	v_dual_mov_b32 v123, v29 :: v_dual_mov_b32 v122, v28
.LBB239_870:                            ;   in Loop: Header=BB239_13 Depth=1
	s_or_b32 exec_lo, exec_lo, s25
.LBB239_871:                            ;   in Loop: Header=BB239_13 Depth=1
	s_delay_alu instid0(SALU_CYCLE_1)
	s_or_b32 exec_lo, exec_lo, s24
.LBB239_872:                            ;   in Loop: Header=BB239_13 Depth=1
	s_delay_alu instid0(SALU_CYCLE_1) | instskip(NEXT) | instid1(VALU_DEP_2)
	s_or_b32 exec_lo, exec_lo, s18
	v_lshrrev_b16 v28, 8, v39
	s_mov_b32 s24, exec_lo
	s_delay_alu instid0(VALU_DEP_1)
	v_cmpx_ne_u16_e32 0, v28
	s_cbranch_execz .LBB239_880
; %bb.873:                              ;   in Loop: Header=BB239_13 Depth=1
	v_dual_mov_b32 v131, s17 :: v_dual_mov_b32 v130, s16
	s_mov_b32 s25, exec_lo
	v_cmpx_ne_u16_e32 0x80, v28
	s_cbranch_execz .LBB239_879
; %bb.874:                              ;   in Loop: Header=BB239_13 Depth=1
	s_mov_b32 s18, s16
	v_dual_mov_b32 v131, s19 :: v_dual_and_b32 v4, 0xffff, v28
	v_mov_b32_e32 v130, s18
	s_mov_b32 s18, exec_lo
	s_delay_alu instid0(VALU_DEP_2) | instskip(NEXT) | instid1(VALU_DEP_1)
	v_and_b32_e32 v134, 0x7f, v4
	v_cmpx_ne_u32_e32 0x7f, v134
	s_cbranch_execz .LBB239_878
; %bb.875:                              ;   in Loop: Header=BB239_13 Depth=1
	v_and_b32_e32 v28, 7, v4
	v_lshrrev_b32_e32 v130, 3, v134
	s_mov_b32 s26, exec_lo
	v_cmpx_gt_u32_e32 8, v134
; %bb.876:                              ;   in Loop: Header=BB239_13 Depth=1
	s_delay_alu instid0(VALU_DEP_3) | instskip(NEXT) | instid1(VALU_DEP_1)
	v_clz_i32_u32_e32 v4, v28
	v_min_u32_e32 v130, 32, v4
	s_delay_alu instid0(VALU_DEP_1) | instskip(SKIP_1) | instid1(VALU_DEP_2)
	v_subrev_nc_u32_e32 v4, 28, v130
	v_sub_nc_u32_e32 v130, 29, v130
	v_lshlrev_b64 v[4:5], v4, v[28:29]
	s_delay_alu instid0(VALU_DEP_1)
	v_and_b32_e32 v28, 7, v4
; %bb.877:                              ;   in Loop: Header=BB239_13 Depth=1
	s_or_b32 exec_lo, exec_lo, s26
	v_lshlrev_b32_e32 v4, 16, v39
	s_delay_alu instid0(VALU_DEP_2) | instskip(SKIP_2) | instid1(VALU_DEP_4)
	v_lshlrev_b32_e32 v5, 20, v28
	v_lshl_add_u32 v28, v130, 23, 0x3c000000
	v_mov_b32_e32 v130, v29
	v_and_b32_e32 v4, 0x80000000, v4
	s_delay_alu instid0(VALU_DEP_1)
	v_or3_b32 v131, v5, v4, v28
.LBB239_878:                            ;   in Loop: Header=BB239_13 Depth=1
	s_or_b32 exec_lo, exec_lo, s18
.LBB239_879:                            ;   in Loop: Header=BB239_13 Depth=1
	s_delay_alu instid0(SALU_CYCLE_1)
	s_or_b32 exec_lo, exec_lo, s25
.LBB239_880:                            ;   in Loop: Header=BB239_13 Depth=1
	s_delay_alu instid0(SALU_CYCLE_1) | instskip(SKIP_1) | instid1(VALU_DEP_1)
	s_or_b32 exec_lo, exec_lo, s24
	v_add_co_u32 v146, s2, 0xd00, v162
	v_add_co_ci_u32_e64 v147, s2, 0, v163, s2
	s_mov_b32 s18, exec_lo
	flat_load_u16 v4, v[146:147] offset:8
	v_mov_b32_e32 v134, 0
	v_mov_b32_e32 v135, 0
	s_delay_alu instid0(VALU_DEP_1) | instskip(SKIP_3) | instid1(VALU_DEP_2)
	v_dual_mov_b32 v126, v134 :: v_dual_mov_b32 v127, v135
	s_waitcnt vmcnt(0) lgkmcnt(0)
	v_and_b32_e32 v5, 0xff, v4
	v_and_b32_e32 v39, 0xffff, v4
	v_cmpx_ne_u16_e32 0, v5
	s_cbranch_execz .LBB239_888
; %bb.881:                              ;   in Loop: Header=BB239_13 Depth=1
	v_bfrev_b32_e32 v126, 1
	s_delay_alu instid0(VALU_DEP_3) | instskip(SKIP_1) | instid1(VALU_DEP_1)
	v_dual_mov_b32 v127, 0 :: v_dual_and_b32 v4, 0xff, v39
	s_mov_b32 s24, exec_lo
	v_cmpx_ne_u16_e32 0x80, v4
	s_cbranch_execz .LBB239_887
; %bb.882:                              ;   in Loop: Header=BB239_13 Depth=1
	v_mov_b32_e32 v126, 0x7f800001
	v_dual_mov_b32 v127, 0 :: v_dual_and_b32 v4, 0x7f, v39
	s_mov_b32 s25, exec_lo
	s_delay_alu instid0(VALU_DEP_1)
	v_cmpx_ne_u32_e32 0x7f, v4
	s_cbranch_execz .LBB239_886
; %bb.883:                              ;   in Loop: Header=BB239_13 Depth=1
	v_and_b32_e32 v28, 7, v39
	v_lshrrev_b32_e32 v150, 3, v4
	s_mov_b32 s26, exec_lo
	v_cmpx_gt_u32_e32 8, v4
; %bb.884:                              ;   in Loop: Header=BB239_13 Depth=1
	s_delay_alu instid0(VALU_DEP_3) | instskip(NEXT) | instid1(VALU_DEP_1)
	v_clz_i32_u32_e32 v4, v28
	v_min_u32_e32 v150, 32, v4
	s_delay_alu instid0(VALU_DEP_1) | instskip(SKIP_1) | instid1(VALU_DEP_2)
	v_subrev_nc_u32_e32 v4, 28, v150
	v_sub_nc_u32_e32 v150, 29, v150
	v_lshlrev_b64 v[4:5], v4, v[28:29]
	s_delay_alu instid0(VALU_DEP_1)
	v_and_b32_e32 v28, 7, v4
; %bb.885:                              ;   in Loop: Header=BB239_13 Depth=1
	s_or_b32 exec_lo, exec_lo, s26
	v_lshlrev_b32_e32 v4, 24, v39
	s_delay_alu instid0(VALU_DEP_2) | instskip(SKIP_1) | instid1(VALU_DEP_3)
	v_lshlrev_b32_e32 v5, 20, v28
	v_lshl_add_u32 v28, v150, 23, 0x3c000000
	v_and_b32_e32 v4, 0x80000000, v4
	s_delay_alu instid0(VALU_DEP_1) | instskip(NEXT) | instid1(VALU_DEP_1)
	v_or3_b32 v28, v5, v4, v28
	v_dual_mov_b32 v127, v29 :: v_dual_mov_b32 v126, v28
.LBB239_886:                            ;   in Loop: Header=BB239_13 Depth=1
	s_or_b32 exec_lo, exec_lo, s25
.LBB239_887:                            ;   in Loop: Header=BB239_13 Depth=1
	s_delay_alu instid0(SALU_CYCLE_1)
	s_or_b32 exec_lo, exec_lo, s24
.LBB239_888:                            ;   in Loop: Header=BB239_13 Depth=1
	s_delay_alu instid0(SALU_CYCLE_1) | instskip(NEXT) | instid1(VALU_DEP_2)
	s_or_b32 exec_lo, exec_lo, s18
	v_lshrrev_b16 v28, 8, v39
	s_mov_b32 s24, exec_lo
	s_delay_alu instid0(VALU_DEP_1)
	v_cmpx_ne_u16_e32 0, v28
	s_cbranch_execz .LBB239_896
; %bb.889:                              ;   in Loop: Header=BB239_13 Depth=1
	v_dual_mov_b32 v135, s17 :: v_dual_mov_b32 v134, s16
	s_mov_b32 s25, exec_lo
	v_cmpx_ne_u16_e32 0x80, v28
	s_cbranch_execz .LBB239_895
; %bb.890:                              ;   in Loop: Header=BB239_13 Depth=1
	s_mov_b32 s18, s16
	v_dual_mov_b32 v135, s19 :: v_dual_and_b32 v4, 0xffff, v28
	v_mov_b32_e32 v134, s18
	s_mov_b32 s18, exec_lo
	s_delay_alu instid0(VALU_DEP_2) | instskip(NEXT) | instid1(VALU_DEP_1)
	v_and_b32_e32 v150, 0x7f, v4
	v_cmpx_ne_u32_e32 0x7f, v150
	s_cbranch_execz .LBB239_894
; %bb.891:                              ;   in Loop: Header=BB239_13 Depth=1
	v_and_b32_e32 v28, 7, v4
	v_lshrrev_b32_e32 v134, 3, v150
	s_mov_b32 s26, exec_lo
	v_cmpx_gt_u32_e32 8, v150
; %bb.892:                              ;   in Loop: Header=BB239_13 Depth=1
	s_delay_alu instid0(VALU_DEP_3) | instskip(NEXT) | instid1(VALU_DEP_1)
	v_clz_i32_u32_e32 v4, v28
	v_min_u32_e32 v134, 32, v4
	s_delay_alu instid0(VALU_DEP_1) | instskip(SKIP_1) | instid1(VALU_DEP_2)
	v_subrev_nc_u32_e32 v4, 28, v134
	v_sub_nc_u32_e32 v134, 29, v134
	v_lshlrev_b64 v[4:5], v4, v[28:29]
	s_delay_alu instid0(VALU_DEP_1)
	v_and_b32_e32 v28, 7, v4
; %bb.893:                              ;   in Loop: Header=BB239_13 Depth=1
	s_or_b32 exec_lo, exec_lo, s26
	v_lshlrev_b32_e32 v4, 16, v39
	s_delay_alu instid0(VALU_DEP_2) | instskip(SKIP_2) | instid1(VALU_DEP_4)
	v_lshlrev_b32_e32 v5, 20, v28
	v_lshl_add_u32 v28, v134, 23, 0x3c000000
	v_mov_b32_e32 v134, v29
	v_and_b32_e32 v4, 0x80000000, v4
	s_delay_alu instid0(VALU_DEP_1)
	v_or3_b32 v135, v5, v4, v28
.LBB239_894:                            ;   in Loop: Header=BB239_13 Depth=1
	s_or_b32 exec_lo, exec_lo, s18
.LBB239_895:                            ;   in Loop: Header=BB239_13 Depth=1
	s_delay_alu instid0(SALU_CYCLE_1)
	s_or_b32 exec_lo, exec_lo, s25
.LBB239_896:                            ;   in Loop: Header=BB239_13 Depth=1
	s_delay_alu instid0(SALU_CYCLE_1) | instskip(SKIP_4) | instid1(VALU_DEP_1)
	s_or_b32 exec_lo, exec_lo, s24
	flat_load_u16 v4, v[146:147] offset:12
	v_mov_b32_e32 v146, 0
	v_mov_b32_e32 v147, 0
	s_mov_b32 s18, exec_lo
	v_dual_mov_b32 v138, v146 :: v_dual_mov_b32 v139, v147
	s_waitcnt vmcnt(0) lgkmcnt(0)
	v_and_b32_e32 v5, 0xff, v4
	v_and_b32_e32 v39, 0xffff, v4
	s_delay_alu instid0(VALU_DEP_2)
	v_cmpx_ne_u16_e32 0, v5
	s_cbranch_execz .LBB239_904
; %bb.897:                              ;   in Loop: Header=BB239_13 Depth=1
	v_bfrev_b32_e32 v138, 1
	s_delay_alu instid0(VALU_DEP_3) | instskip(SKIP_1) | instid1(VALU_DEP_1)
	v_dual_mov_b32 v139, 0 :: v_dual_and_b32 v4, 0xff, v39
	s_mov_b32 s24, exec_lo
	v_cmpx_ne_u16_e32 0x80, v4
	s_cbranch_execz .LBB239_903
; %bb.898:                              ;   in Loop: Header=BB239_13 Depth=1
	v_mov_b32_e32 v138, 0x7f800001
	v_dual_mov_b32 v139, 0 :: v_dual_and_b32 v4, 0x7f, v39
	s_mov_b32 s25, exec_lo
	s_delay_alu instid0(VALU_DEP_1)
	v_cmpx_ne_u32_e32 0x7f, v4
	s_cbranch_execz .LBB239_902
; %bb.899:                              ;   in Loop: Header=BB239_13 Depth=1
	v_and_b32_e32 v28, 7, v39
	v_lshrrev_b32_e32 v150, 3, v4
	s_mov_b32 s26, exec_lo
	v_cmpx_gt_u32_e32 8, v4
; %bb.900:                              ;   in Loop: Header=BB239_13 Depth=1
	s_delay_alu instid0(VALU_DEP_3) | instskip(NEXT) | instid1(VALU_DEP_1)
	v_clz_i32_u32_e32 v4, v28
	v_min_u32_e32 v150, 32, v4
	s_delay_alu instid0(VALU_DEP_1) | instskip(SKIP_1) | instid1(VALU_DEP_2)
	v_subrev_nc_u32_e32 v4, 28, v150
	v_sub_nc_u32_e32 v150, 29, v150
	v_lshlrev_b64 v[4:5], v4, v[28:29]
	s_delay_alu instid0(VALU_DEP_1)
	v_and_b32_e32 v28, 7, v4
; %bb.901:                              ;   in Loop: Header=BB239_13 Depth=1
	s_or_b32 exec_lo, exec_lo, s26
	v_lshlrev_b32_e32 v4, 24, v39
	s_delay_alu instid0(VALU_DEP_2) | instskip(SKIP_1) | instid1(VALU_DEP_3)
	v_lshlrev_b32_e32 v5, 20, v28
	v_lshl_add_u32 v28, v150, 23, 0x3c000000
	v_and_b32_e32 v4, 0x80000000, v4
	s_delay_alu instid0(VALU_DEP_1) | instskip(NEXT) | instid1(VALU_DEP_1)
	v_or3_b32 v28, v5, v4, v28
	v_dual_mov_b32 v139, v29 :: v_dual_mov_b32 v138, v28
.LBB239_902:                            ;   in Loop: Header=BB239_13 Depth=1
	s_or_b32 exec_lo, exec_lo, s25
.LBB239_903:                            ;   in Loop: Header=BB239_13 Depth=1
	s_delay_alu instid0(SALU_CYCLE_1)
	s_or_b32 exec_lo, exec_lo, s24
.LBB239_904:                            ;   in Loop: Header=BB239_13 Depth=1
	s_delay_alu instid0(SALU_CYCLE_1) | instskip(NEXT) | instid1(VALU_DEP_2)
	s_or_b32 exec_lo, exec_lo, s18
	v_lshrrev_b16 v28, 8, v39
	s_mov_b32 s24, exec_lo
	s_delay_alu instid0(VALU_DEP_1)
	v_cmpx_ne_u16_e32 0, v28
	s_cbranch_execz .LBB239_912
; %bb.905:                              ;   in Loop: Header=BB239_13 Depth=1
	v_dual_mov_b32 v147, s17 :: v_dual_mov_b32 v146, s16
	s_mov_b32 s25, exec_lo
	v_cmpx_ne_u16_e32 0x80, v28
	s_cbranch_execz .LBB239_911
; %bb.906:                              ;   in Loop: Header=BB239_13 Depth=1
	s_mov_b32 s18, s16
	v_dual_mov_b32 v147, s19 :: v_dual_and_b32 v4, 0xffff, v28
	v_mov_b32_e32 v146, s18
	s_mov_b32 s18, exec_lo
	s_delay_alu instid0(VALU_DEP_2) | instskip(NEXT) | instid1(VALU_DEP_1)
	v_and_b32_e32 v150, 0x7f, v4
	v_cmpx_ne_u32_e32 0x7f, v150
	s_cbranch_execz .LBB239_910
; %bb.907:                              ;   in Loop: Header=BB239_13 Depth=1
	v_and_b32_e32 v28, 7, v4
	v_lshrrev_b32_e32 v146, 3, v150
	s_mov_b32 s26, exec_lo
	v_cmpx_gt_u32_e32 8, v150
; %bb.908:                              ;   in Loop: Header=BB239_13 Depth=1
	s_delay_alu instid0(VALU_DEP_3) | instskip(NEXT) | instid1(VALU_DEP_1)
	v_clz_i32_u32_e32 v4, v28
	v_min_u32_e32 v146, 32, v4
	s_delay_alu instid0(VALU_DEP_1) | instskip(SKIP_1) | instid1(VALU_DEP_2)
	v_subrev_nc_u32_e32 v4, 28, v146
	v_sub_nc_u32_e32 v146, 29, v146
	v_lshlrev_b64 v[4:5], v4, v[28:29]
	s_delay_alu instid0(VALU_DEP_1)
	v_and_b32_e32 v28, 7, v4
; %bb.909:                              ;   in Loop: Header=BB239_13 Depth=1
	s_or_b32 exec_lo, exec_lo, s26
	v_lshlrev_b32_e32 v4, 16, v39
	s_delay_alu instid0(VALU_DEP_2) | instskip(SKIP_2) | instid1(VALU_DEP_4)
	v_lshlrev_b32_e32 v5, 20, v28
	v_lshl_add_u32 v28, v146, 23, 0x3c000000
	v_mov_b32_e32 v146, v29
	v_and_b32_e32 v4, 0x80000000, v4
	s_delay_alu instid0(VALU_DEP_1)
	v_or3_b32 v147, v5, v4, v28
.LBB239_910:                            ;   in Loop: Header=BB239_13 Depth=1
	s_or_b32 exec_lo, exec_lo, s18
.LBB239_911:                            ;   in Loop: Header=BB239_13 Depth=1
	s_delay_alu instid0(SALU_CYCLE_1)
	s_or_b32 exec_lo, exec_lo, s25
.LBB239_912:                            ;   in Loop: Header=BB239_13 Depth=1
	s_delay_alu instid0(SALU_CYCLE_1) | instskip(SKIP_4) | instid1(VALU_DEP_1)
	s_or_b32 exec_lo, exec_lo, s24
	flat_load_u16 v4, v[162:163] offset:3584
	v_mov_b32_e32 v150, 0
	v_mov_b32_e32 v151, 0
	s_mov_b32 s18, exec_lo
	v_dual_mov_b32 v142, v150 :: v_dual_mov_b32 v143, v151
	s_waitcnt vmcnt(0) lgkmcnt(0)
	v_and_b32_e32 v5, 0xff, v4
	v_and_b32_e32 v39, 0xffff, v4
	s_delay_alu instid0(VALU_DEP_2)
	v_cmpx_ne_u16_e32 0, v5
	s_cbranch_execz .LBB239_920
; %bb.913:                              ;   in Loop: Header=BB239_13 Depth=1
	v_bfrev_b32_e32 v142, 1
	s_delay_alu instid0(VALU_DEP_3) | instskip(SKIP_1) | instid1(VALU_DEP_1)
	v_dual_mov_b32 v143, 0 :: v_dual_and_b32 v4, 0xff, v39
	s_mov_b32 s24, exec_lo
	v_cmpx_ne_u16_e32 0x80, v4
	s_cbranch_execz .LBB239_919
; %bb.914:                              ;   in Loop: Header=BB239_13 Depth=1
	v_mov_b32_e32 v142, 0x7f800001
	v_dual_mov_b32 v143, 0 :: v_dual_and_b32 v4, 0x7f, v39
	s_mov_b32 s25, exec_lo
	s_delay_alu instid0(VALU_DEP_1)
	v_cmpx_ne_u32_e32 0x7f, v4
	s_cbranch_execz .LBB239_918
; %bb.915:                              ;   in Loop: Header=BB239_13 Depth=1
	v_and_b32_e32 v28, 7, v39
	v_lshrrev_b32_e32 v164, 3, v4
	s_mov_b32 s26, exec_lo
	v_cmpx_gt_u32_e32 8, v4
; %bb.916:                              ;   in Loop: Header=BB239_13 Depth=1
	s_delay_alu instid0(VALU_DEP_3) | instskip(NEXT) | instid1(VALU_DEP_1)
	v_clz_i32_u32_e32 v4, v28
	v_min_u32_e32 v164, 32, v4
	s_delay_alu instid0(VALU_DEP_1) | instskip(SKIP_1) | instid1(VALU_DEP_2)
	v_subrev_nc_u32_e32 v4, 28, v164
	v_sub_nc_u32_e32 v164, 29, v164
	v_lshlrev_b64 v[4:5], v4, v[28:29]
	s_delay_alu instid0(VALU_DEP_1)
	v_and_b32_e32 v28, 7, v4
; %bb.917:                              ;   in Loop: Header=BB239_13 Depth=1
	s_or_b32 exec_lo, exec_lo, s26
	v_lshlrev_b32_e32 v4, 24, v39
	s_delay_alu instid0(VALU_DEP_2) | instskip(SKIP_1) | instid1(VALU_DEP_3)
	v_lshlrev_b32_e32 v5, 20, v28
	v_lshl_add_u32 v28, v164, 23, 0x3c000000
	v_and_b32_e32 v4, 0x80000000, v4
	s_delay_alu instid0(VALU_DEP_1) | instskip(NEXT) | instid1(VALU_DEP_1)
	v_or3_b32 v28, v5, v4, v28
	v_dual_mov_b32 v143, v29 :: v_dual_mov_b32 v142, v28
.LBB239_918:                            ;   in Loop: Header=BB239_13 Depth=1
	s_or_b32 exec_lo, exec_lo, s25
.LBB239_919:                            ;   in Loop: Header=BB239_13 Depth=1
	s_delay_alu instid0(SALU_CYCLE_1)
	s_or_b32 exec_lo, exec_lo, s24
.LBB239_920:                            ;   in Loop: Header=BB239_13 Depth=1
	s_delay_alu instid0(SALU_CYCLE_1) | instskip(NEXT) | instid1(VALU_DEP_2)
	s_or_b32 exec_lo, exec_lo, s18
	v_lshrrev_b16 v28, 8, v39
	s_mov_b32 s24, exec_lo
	s_delay_alu instid0(VALU_DEP_1)
	v_cmpx_ne_u16_e32 0, v28
	s_cbranch_execz .LBB239_928
; %bb.921:                              ;   in Loop: Header=BB239_13 Depth=1
	v_dual_mov_b32 v151, s17 :: v_dual_mov_b32 v150, s16
	s_mov_b32 s25, exec_lo
	v_cmpx_ne_u16_e32 0x80, v28
	s_cbranch_execz .LBB239_927
; %bb.922:                              ;   in Loop: Header=BB239_13 Depth=1
	s_mov_b32 s18, s16
	v_dual_mov_b32 v151, s19 :: v_dual_and_b32 v4, 0xffff, v28
	v_mov_b32_e32 v150, s18
	s_mov_b32 s18, exec_lo
	s_delay_alu instid0(VALU_DEP_2) | instskip(NEXT) | instid1(VALU_DEP_1)
	v_and_b32_e32 v164, 0x7f, v4
	v_cmpx_ne_u32_e32 0x7f, v164
	s_cbranch_execz .LBB239_926
; %bb.923:                              ;   in Loop: Header=BB239_13 Depth=1
	v_and_b32_e32 v28, 7, v4
	v_lshrrev_b32_e32 v150, 3, v164
	s_mov_b32 s26, exec_lo
	v_cmpx_gt_u32_e32 8, v164
; %bb.924:                              ;   in Loop: Header=BB239_13 Depth=1
	s_delay_alu instid0(VALU_DEP_3) | instskip(NEXT) | instid1(VALU_DEP_1)
	v_clz_i32_u32_e32 v4, v28
	v_min_u32_e32 v150, 32, v4
	s_delay_alu instid0(VALU_DEP_1) | instskip(SKIP_1) | instid1(VALU_DEP_2)
	v_subrev_nc_u32_e32 v4, 28, v150
	v_sub_nc_u32_e32 v150, 29, v150
	v_lshlrev_b64 v[4:5], v4, v[28:29]
	s_delay_alu instid0(VALU_DEP_1)
	v_and_b32_e32 v28, 7, v4
; %bb.925:                              ;   in Loop: Header=BB239_13 Depth=1
	s_or_b32 exec_lo, exec_lo, s26
	v_lshlrev_b32_e32 v4, 16, v39
	s_delay_alu instid0(VALU_DEP_2) | instskip(SKIP_2) | instid1(VALU_DEP_4)
	v_lshlrev_b32_e32 v5, 20, v28
	v_lshl_add_u32 v28, v150, 23, 0x3c000000
	v_mov_b32_e32 v150, v29
	v_and_b32_e32 v4, 0x80000000, v4
	s_delay_alu instid0(VALU_DEP_1)
	v_or3_b32 v151, v5, v4, v28
.LBB239_926:                            ;   in Loop: Header=BB239_13 Depth=1
	s_or_b32 exec_lo, exec_lo, s18
.LBB239_927:                            ;   in Loop: Header=BB239_13 Depth=1
	s_delay_alu instid0(SALU_CYCLE_1)
	s_or_b32 exec_lo, exec_lo, s25
.LBB239_928:                            ;   in Loop: Header=BB239_13 Depth=1
	s_delay_alu instid0(SALU_CYCLE_1) | instskip(SKIP_4) | instid1(VALU_DEP_1)
	s_or_b32 exec_lo, exec_lo, s24
	flat_load_u16 v4, v[162:163] offset:3588
	v_mov_b32_e32 v164, 0
	v_mov_b32_e32 v165, 0
	s_mov_b32 s18, exec_lo
	v_dual_mov_b32 v154, v164 :: v_dual_mov_b32 v155, v165
	s_waitcnt vmcnt(0) lgkmcnt(0)
	v_and_b32_e32 v5, 0xff, v4
	v_and_b32_e32 v39, 0xffff, v4
	s_delay_alu instid0(VALU_DEP_2)
	v_cmpx_ne_u16_e32 0, v5
	s_cbranch_execz .LBB239_936
; %bb.929:                              ;   in Loop: Header=BB239_13 Depth=1
	v_bfrev_b32_e32 v154, 1
	s_delay_alu instid0(VALU_DEP_3) | instskip(SKIP_1) | instid1(VALU_DEP_1)
	v_dual_mov_b32 v155, 0 :: v_dual_and_b32 v4, 0xff, v39
	s_mov_b32 s24, exec_lo
	v_cmpx_ne_u16_e32 0x80, v4
	s_cbranch_execz .LBB239_935
; %bb.930:                              ;   in Loop: Header=BB239_13 Depth=1
	v_mov_b32_e32 v154, 0x7f800001
	v_dual_mov_b32 v155, 0 :: v_dual_and_b32 v4, 0x7f, v39
	s_mov_b32 s25, exec_lo
	s_delay_alu instid0(VALU_DEP_1)
	v_cmpx_ne_u32_e32 0x7f, v4
	s_cbranch_execz .LBB239_934
; %bb.931:                              ;   in Loop: Header=BB239_13 Depth=1
	v_and_b32_e32 v28, 7, v39
	v_lshrrev_b32_e32 v176, 3, v4
	s_mov_b32 s26, exec_lo
	v_cmpx_gt_u32_e32 8, v4
; %bb.932:                              ;   in Loop: Header=BB239_13 Depth=1
	s_delay_alu instid0(VALU_DEP_3) | instskip(NEXT) | instid1(VALU_DEP_1)
	v_clz_i32_u32_e32 v4, v28
	v_min_u32_e32 v176, 32, v4
	s_delay_alu instid0(VALU_DEP_1) | instskip(SKIP_1) | instid1(VALU_DEP_2)
	v_subrev_nc_u32_e32 v4, 28, v176
	v_sub_nc_u32_e32 v176, 29, v176
	v_lshlrev_b64 v[4:5], v4, v[28:29]
	s_delay_alu instid0(VALU_DEP_1)
	v_and_b32_e32 v28, 7, v4
; %bb.933:                              ;   in Loop: Header=BB239_13 Depth=1
	s_or_b32 exec_lo, exec_lo, s26
	v_lshlrev_b32_e32 v4, 24, v39
	s_delay_alu instid0(VALU_DEP_2) | instskip(SKIP_1) | instid1(VALU_DEP_3)
	v_lshlrev_b32_e32 v5, 20, v28
	v_lshl_add_u32 v28, v176, 23, 0x3c000000
	v_and_b32_e32 v4, 0x80000000, v4
	s_delay_alu instid0(VALU_DEP_1) | instskip(NEXT) | instid1(VALU_DEP_1)
	v_or3_b32 v28, v5, v4, v28
	v_dual_mov_b32 v155, v29 :: v_dual_mov_b32 v154, v28
.LBB239_934:                            ;   in Loop: Header=BB239_13 Depth=1
	s_or_b32 exec_lo, exec_lo, s25
.LBB239_935:                            ;   in Loop: Header=BB239_13 Depth=1
	s_delay_alu instid0(SALU_CYCLE_1)
	s_or_b32 exec_lo, exec_lo, s24
.LBB239_936:                            ;   in Loop: Header=BB239_13 Depth=1
	s_delay_alu instid0(SALU_CYCLE_1) | instskip(NEXT) | instid1(VALU_DEP_2)
	s_or_b32 exec_lo, exec_lo, s18
	v_lshrrev_b16 v28, 8, v39
	s_mov_b32 s24, exec_lo
	s_delay_alu instid0(VALU_DEP_1)
	v_cmpx_ne_u16_e32 0, v28
	s_cbranch_execz .LBB239_944
; %bb.937:                              ;   in Loop: Header=BB239_13 Depth=1
	v_dual_mov_b32 v165, s17 :: v_dual_mov_b32 v164, s16
	s_mov_b32 s25, exec_lo
	v_cmpx_ne_u16_e32 0x80, v28
	s_cbranch_execz .LBB239_943
; %bb.938:                              ;   in Loop: Header=BB239_13 Depth=1
	s_mov_b32 s18, s16
	v_dual_mov_b32 v165, s19 :: v_dual_and_b32 v4, 0xffff, v28
	v_mov_b32_e32 v164, s18
	s_mov_b32 s18, exec_lo
	s_delay_alu instid0(VALU_DEP_2) | instskip(NEXT) | instid1(VALU_DEP_1)
	v_and_b32_e32 v176, 0x7f, v4
	v_cmpx_ne_u32_e32 0x7f, v176
	s_cbranch_execz .LBB239_942
; %bb.939:                              ;   in Loop: Header=BB239_13 Depth=1
	v_and_b32_e32 v28, 7, v4
	v_lshrrev_b32_e32 v164, 3, v176
	s_mov_b32 s26, exec_lo
	v_cmpx_gt_u32_e32 8, v176
; %bb.940:                              ;   in Loop: Header=BB239_13 Depth=1
	s_delay_alu instid0(VALU_DEP_3) | instskip(NEXT) | instid1(VALU_DEP_1)
	v_clz_i32_u32_e32 v4, v28
	v_min_u32_e32 v164, 32, v4
	s_delay_alu instid0(VALU_DEP_1) | instskip(SKIP_1) | instid1(VALU_DEP_2)
	v_subrev_nc_u32_e32 v4, 28, v164
	v_sub_nc_u32_e32 v164, 29, v164
	v_lshlrev_b64 v[4:5], v4, v[28:29]
	s_delay_alu instid0(VALU_DEP_1)
	v_and_b32_e32 v28, 7, v4
; %bb.941:                              ;   in Loop: Header=BB239_13 Depth=1
	s_or_b32 exec_lo, exec_lo, s26
	v_lshlrev_b32_e32 v4, 16, v39
	s_delay_alu instid0(VALU_DEP_2) | instskip(SKIP_2) | instid1(VALU_DEP_4)
	v_lshlrev_b32_e32 v5, 20, v28
	v_lshl_add_u32 v28, v164, 23, 0x3c000000
	v_mov_b32_e32 v164, v29
	v_and_b32_e32 v4, 0x80000000, v4
	s_delay_alu instid0(VALU_DEP_1)
	v_or3_b32 v165, v5, v4, v28
.LBB239_942:                            ;   in Loop: Header=BB239_13 Depth=1
	s_or_b32 exec_lo, exec_lo, s18
.LBB239_943:                            ;   in Loop: Header=BB239_13 Depth=1
	s_delay_alu instid0(SALU_CYCLE_1)
	s_or_b32 exec_lo, exec_lo, s25
.LBB239_944:                            ;   in Loop: Header=BB239_13 Depth=1
	s_delay_alu instid0(SALU_CYCLE_1) | instskip(SKIP_1) | instid1(VALU_DEP_1)
	s_or_b32 exec_lo, exec_lo, s24
	v_add_co_u32 v180, s2, 0xe00, v162
	v_add_co_ci_u32_e64 v181, s2, 0, v163, s2
	s_mov_b32 s18, exec_lo
	flat_load_u16 v4, v[180:181] offset:8
	v_mov_b32_e32 v176, 0
	v_mov_b32_e32 v177, 0
	s_delay_alu instid0(VALU_DEP_1) | instskip(SKIP_3) | instid1(VALU_DEP_2)
	v_dual_mov_b32 v158, v176 :: v_dual_mov_b32 v159, v177
	s_waitcnt vmcnt(0) lgkmcnt(0)
	v_and_b32_e32 v5, 0xff, v4
	v_and_b32_e32 v39, 0xffff, v4
	v_cmpx_ne_u16_e32 0, v5
	s_cbranch_execz .LBB239_952
; %bb.945:                              ;   in Loop: Header=BB239_13 Depth=1
	v_bfrev_b32_e32 v158, 1
	s_delay_alu instid0(VALU_DEP_3) | instskip(SKIP_1) | instid1(VALU_DEP_1)
	v_dual_mov_b32 v159, 0 :: v_dual_and_b32 v4, 0xff, v39
	s_mov_b32 s24, exec_lo
	v_cmpx_ne_u16_e32 0x80, v4
	s_cbranch_execz .LBB239_951
; %bb.946:                              ;   in Loop: Header=BB239_13 Depth=1
	v_mov_b32_e32 v158, 0x7f800001
	v_dual_mov_b32 v159, 0 :: v_dual_and_b32 v4, 0x7f, v39
	s_mov_b32 s25, exec_lo
	s_delay_alu instid0(VALU_DEP_1)
	v_cmpx_ne_u32_e32 0x7f, v4
	s_cbranch_execz .LBB239_950
; %bb.947:                              ;   in Loop: Header=BB239_13 Depth=1
	v_and_b32_e32 v28, 7, v39
	v_lshrrev_b32_e32 v40, 3, v4
	s_mov_b32 s26, exec_lo
	v_cmpx_gt_u32_e32 8, v4
; %bb.948:                              ;   in Loop: Header=BB239_13 Depth=1
	s_delay_alu instid0(VALU_DEP_3) | instskip(NEXT) | instid1(VALU_DEP_1)
	v_clz_i32_u32_e32 v4, v28
	v_min_u32_e32 v40, 32, v4
	s_delay_alu instid0(VALU_DEP_1) | instskip(SKIP_1) | instid1(VALU_DEP_2)
	v_subrev_nc_u32_e32 v4, 28, v40
	v_sub_nc_u32_e32 v40, 29, v40
	v_lshlrev_b64 v[4:5], v4, v[28:29]
	s_delay_alu instid0(VALU_DEP_1)
	v_and_b32_e32 v28, 7, v4
; %bb.949:                              ;   in Loop: Header=BB239_13 Depth=1
	s_or_b32 exec_lo, exec_lo, s26
	v_lshlrev_b32_e32 v4, 24, v39
	s_delay_alu instid0(VALU_DEP_2) | instskip(SKIP_1) | instid1(VALU_DEP_3)
	v_lshlrev_b32_e32 v5, 20, v28
	v_lshl_add_u32 v28, v40, 23, 0x3c000000
	v_and_b32_e32 v4, 0x80000000, v4
	s_delay_alu instid0(VALU_DEP_1) | instskip(NEXT) | instid1(VALU_DEP_1)
	v_or3_b32 v28, v5, v4, v28
	v_dual_mov_b32 v159, v29 :: v_dual_mov_b32 v158, v28
.LBB239_950:                            ;   in Loop: Header=BB239_13 Depth=1
	s_or_b32 exec_lo, exec_lo, s25
.LBB239_951:                            ;   in Loop: Header=BB239_13 Depth=1
	s_delay_alu instid0(SALU_CYCLE_1)
	s_or_b32 exec_lo, exec_lo, s24
.LBB239_952:                            ;   in Loop: Header=BB239_13 Depth=1
	s_delay_alu instid0(SALU_CYCLE_1) | instskip(NEXT) | instid1(VALU_DEP_2)
	s_or_b32 exec_lo, exec_lo, s18
	v_lshrrev_b16 v28, 8, v39
	s_mov_b32 s24, exec_lo
	s_delay_alu instid0(VALU_DEP_1)
	v_cmpx_ne_u16_e32 0, v28
	s_cbranch_execz .LBB239_960
; %bb.953:                              ;   in Loop: Header=BB239_13 Depth=1
	v_dual_mov_b32 v177, s17 :: v_dual_mov_b32 v176, s16
	s_mov_b32 s25, exec_lo
	v_cmpx_ne_u16_e32 0x80, v28
	s_cbranch_execz .LBB239_959
; %bb.954:                              ;   in Loop: Header=BB239_13 Depth=1
	s_mov_b32 s18, s16
	v_dual_mov_b32 v177, s19 :: v_dual_and_b32 v4, 0xffff, v28
	v_mov_b32_e32 v176, s18
	s_mov_b32 s18, exec_lo
	s_delay_alu instid0(VALU_DEP_2) | instskip(NEXT) | instid1(VALU_DEP_1)
	v_and_b32_e32 v40, 0x7f, v4
	v_cmpx_ne_u32_e32 0x7f, v40
	s_cbranch_execz .LBB239_958
; %bb.955:                              ;   in Loop: Header=BB239_13 Depth=1
	v_and_b32_e32 v28, 7, v4
	v_lshrrev_b32_e32 v176, 3, v40
	s_mov_b32 s26, exec_lo
	v_cmpx_gt_u32_e32 8, v40
; %bb.956:                              ;   in Loop: Header=BB239_13 Depth=1
	s_delay_alu instid0(VALU_DEP_3) | instskip(NEXT) | instid1(VALU_DEP_1)
	v_clz_i32_u32_e32 v4, v28
	v_min_u32_e32 v176, 32, v4
	s_delay_alu instid0(VALU_DEP_1) | instskip(SKIP_1) | instid1(VALU_DEP_2)
	v_subrev_nc_u32_e32 v4, 28, v176
	v_sub_nc_u32_e32 v176, 29, v176
	v_lshlrev_b64 v[4:5], v4, v[28:29]
	s_delay_alu instid0(VALU_DEP_1)
	v_and_b32_e32 v28, 7, v4
; %bb.957:                              ;   in Loop: Header=BB239_13 Depth=1
	s_or_b32 exec_lo, exec_lo, s26
	v_lshlrev_b32_e32 v4, 16, v39
	s_delay_alu instid0(VALU_DEP_2) | instskip(SKIP_2) | instid1(VALU_DEP_4)
	v_lshlrev_b32_e32 v5, 20, v28
	v_lshl_add_u32 v28, v176, 23, 0x3c000000
	v_mov_b32_e32 v176, v29
	v_and_b32_e32 v4, 0x80000000, v4
	s_delay_alu instid0(VALU_DEP_1)
	v_or3_b32 v177, v5, v4, v28
.LBB239_958:                            ;   in Loop: Header=BB239_13 Depth=1
	s_or_b32 exec_lo, exec_lo, s18
.LBB239_959:                            ;   in Loop: Header=BB239_13 Depth=1
	s_delay_alu instid0(SALU_CYCLE_1)
	s_or_b32 exec_lo, exec_lo, s25
.LBB239_960:                            ;   in Loop: Header=BB239_13 Depth=1
	s_delay_alu instid0(SALU_CYCLE_1) | instskip(SKIP_3) | instid1(VALU_DEP_2)
	s_or_b32 exec_lo, exec_lo, s24
	flat_load_u16 v4, v[180:181] offset:12
	v_mov_b32_e32 v180, 0
	v_mov_b32_e32 v181, 0
	;; [unrolled: 1-line block ×3, first 2 shown]
	s_mov_b32 s18, exec_lo
	s_waitcnt vmcnt(0) lgkmcnt(0)
	s_delay_alu instid0(VALU_DEP_2) | instskip(SKIP_1) | instid1(VALU_DEP_2)
	v_dual_mov_b32 v40, v181 :: v_dual_and_b32 v5, 0xff, v4
	v_and_b32_e32 v43, 0xffff, v4
	v_cmpx_ne_u16_e32 0, v5
	s_cbranch_execz .LBB239_968
; %bb.961:                              ;   in Loop: Header=BB239_13 Depth=1
	v_bfrev_b32_e32 v39, 1
	s_delay_alu instid0(VALU_DEP_3) | instskip(SKIP_2) | instid1(VALU_DEP_2)
	v_and_b32_e32 v4, 0xff, v43
	v_mov_b32_e32 v40, 0
	s_mov_b32 s24, exec_lo
	v_cmpx_ne_u16_e32 0x80, v4
	s_cbranch_execz .LBB239_967
; %bb.962:                              ;   in Loop: Header=BB239_13 Depth=1
	v_mov_b32_e32 v39, 0x7f800001
	v_and_b32_e32 v4, 0x7f, v43
	v_mov_b32_e32 v40, 0
	s_mov_b32 s25, exec_lo
	s_delay_alu instid0(VALU_DEP_2)
	v_cmpx_ne_u32_e32 0x7f, v4
	s_cbranch_execz .LBB239_966
; %bb.963:                              ;   in Loop: Header=BB239_13 Depth=1
	v_and_b32_e32 v28, 7, v43
	v_lshrrev_b32_e32 v39, 3, v4
	s_mov_b32 s26, exec_lo
	v_cmpx_gt_u32_e32 8, v4
; %bb.964:                              ;   in Loop: Header=BB239_13 Depth=1
	s_delay_alu instid0(VALU_DEP_3) | instskip(NEXT) | instid1(VALU_DEP_1)
	v_clz_i32_u32_e32 v4, v28
	v_min_u32_e32 v39, 32, v4
	s_delay_alu instid0(VALU_DEP_1) | instskip(SKIP_1) | instid1(VALU_DEP_2)
	v_subrev_nc_u32_e32 v4, 28, v39
	v_sub_nc_u32_e32 v39, 29, v39
	v_lshlrev_b64 v[4:5], v4, v[28:29]
	s_delay_alu instid0(VALU_DEP_1)
	v_and_b32_e32 v28, 7, v4
; %bb.965:                              ;   in Loop: Header=BB239_13 Depth=1
	s_or_b32 exec_lo, exec_lo, s26
	v_lshlrev_b32_e32 v4, 24, v43
	s_delay_alu instid0(VALU_DEP_2) | instskip(SKIP_1) | instid1(VALU_DEP_3)
	v_lshlrev_b32_e32 v5, 20, v28
	v_lshl_add_u32 v28, v39, 23, 0x3c000000
	v_and_b32_e32 v4, 0x80000000, v4
	s_delay_alu instid0(VALU_DEP_1) | instskip(NEXT) | instid1(VALU_DEP_1)
	v_or3_b32 v28, v5, v4, v28
	v_dual_mov_b32 v40, v29 :: v_dual_mov_b32 v39, v28
.LBB239_966:                            ;   in Loop: Header=BB239_13 Depth=1
	s_or_b32 exec_lo, exec_lo, s25
.LBB239_967:                            ;   in Loop: Header=BB239_13 Depth=1
	s_delay_alu instid0(SALU_CYCLE_1)
	s_or_b32 exec_lo, exec_lo, s24
.LBB239_968:                            ;   in Loop: Header=BB239_13 Depth=1
	s_delay_alu instid0(SALU_CYCLE_1) | instskip(NEXT) | instid1(VALU_DEP_2)
	s_or_b32 exec_lo, exec_lo, s18
	v_lshrrev_b16 v28, 8, v43
	s_mov_b32 s24, exec_lo
	s_delay_alu instid0(VALU_DEP_1)
	v_cmpx_ne_u16_e32 0, v28
	s_cbranch_execz .LBB239_976
; %bb.969:                              ;   in Loop: Header=BB239_13 Depth=1
	v_dual_mov_b32 v181, s17 :: v_dual_mov_b32 v180, s16
	s_mov_b32 s25, exec_lo
	v_cmpx_ne_u16_e32 0x80, v28
	s_cbranch_execz .LBB239_975
; %bb.970:                              ;   in Loop: Header=BB239_13 Depth=1
	s_mov_b32 s18, s16
	v_dual_mov_b32 v181, s19 :: v_dual_and_b32 v4, 0xffff, v28
	v_mov_b32_e32 v180, s18
	s_mov_b32 s18, exec_lo
	s_delay_alu instid0(VALU_DEP_2) | instskip(NEXT) | instid1(VALU_DEP_1)
	v_and_b32_e32 v44, 0x7f, v4
	v_cmpx_ne_u32_e32 0x7f, v44
	s_cbranch_execz .LBB239_974
; %bb.971:                              ;   in Loop: Header=BB239_13 Depth=1
	v_and_b32_e32 v28, 7, v4
	v_lshrrev_b32_e32 v180, 3, v44
	s_mov_b32 s26, exec_lo
	v_cmpx_gt_u32_e32 8, v44
; %bb.972:                              ;   in Loop: Header=BB239_13 Depth=1
	s_delay_alu instid0(VALU_DEP_3) | instskip(NEXT) | instid1(VALU_DEP_1)
	v_clz_i32_u32_e32 v4, v28
	v_min_u32_e32 v180, 32, v4
	s_delay_alu instid0(VALU_DEP_1) | instskip(SKIP_1) | instid1(VALU_DEP_2)
	v_subrev_nc_u32_e32 v4, 28, v180
	v_sub_nc_u32_e32 v180, 29, v180
	v_lshlrev_b64 v[4:5], v4, v[28:29]
	s_delay_alu instid0(VALU_DEP_1)
	v_and_b32_e32 v28, 7, v4
; %bb.973:                              ;   in Loop: Header=BB239_13 Depth=1
	s_or_b32 exec_lo, exec_lo, s26
	v_lshlrev_b32_e32 v4, 16, v43
	s_delay_alu instid0(VALU_DEP_2) | instskip(SKIP_2) | instid1(VALU_DEP_4)
	v_lshlrev_b32_e32 v5, 20, v28
	v_lshl_add_u32 v28, v180, 23, 0x3c000000
	v_mov_b32_e32 v180, v29
	v_and_b32_e32 v4, 0x80000000, v4
	s_delay_alu instid0(VALU_DEP_1)
	v_or3_b32 v181, v5, v4, v28
.LBB239_974:                            ;   in Loop: Header=BB239_13 Depth=1
	s_or_b32 exec_lo, exec_lo, s18
.LBB239_975:                            ;   in Loop: Header=BB239_13 Depth=1
	s_delay_alu instid0(SALU_CYCLE_1)
	s_or_b32 exec_lo, exec_lo, s25
.LBB239_976:                            ;   in Loop: Header=BB239_13 Depth=1
	s_delay_alu instid0(SALU_CYCLE_1)
	s_or_b32 exec_lo, exec_lo, s24
	flat_load_u16 v4, v[162:163] offset:3840
	v_mov_b32_e32 v170, 0
	v_mov_b32_e32 v171, 0
	s_mov_b32 s18, exec_lo
	s_waitcnt vmcnt(0) lgkmcnt(0)
	v_and_b32_e32 v56, 0xffff, v4
	v_and_b32_e32 v5, 0xff, v4
	v_dual_mov_b32 v43, v170 :: v_dual_mov_b32 v44, v171
	s_delay_alu instid0(VALU_DEP_2)
	v_cmpx_ne_u16_e32 0, v5
	s_cbranch_execz .LBB239_984
; %bb.977:                              ;   in Loop: Header=BB239_13 Depth=1
	v_bfrev_b32_e32 v43, 1
	v_and_b32_e32 v4, 0xff, v56
	v_mov_b32_e32 v44, 0
	s_mov_b32 s24, exec_lo
	s_delay_alu instid0(VALU_DEP_2)
	v_cmpx_ne_u16_e32 0x80, v4
	s_cbranch_execz .LBB239_983
; %bb.978:                              ;   in Loop: Header=BB239_13 Depth=1
	v_mov_b32_e32 v43, 0x7f800001
	v_and_b32_e32 v4, 0x7f, v56
	v_mov_b32_e32 v44, 0
	s_mov_b32 s25, exec_lo
	s_delay_alu instid0(VALU_DEP_2)
	v_cmpx_ne_u32_e32 0x7f, v4
	s_cbranch_execz .LBB239_982
; %bb.979:                              ;   in Loop: Header=BB239_13 Depth=1
	v_and_b32_e32 v28, 7, v56
	v_lshrrev_b32_e32 v43, 3, v4
	s_mov_b32 s26, exec_lo
	v_cmpx_gt_u32_e32 8, v4
; %bb.980:                              ;   in Loop: Header=BB239_13 Depth=1
	s_delay_alu instid0(VALU_DEP_3) | instskip(NEXT) | instid1(VALU_DEP_1)
	v_clz_i32_u32_e32 v4, v28
	v_min_u32_e32 v43, 32, v4
	s_delay_alu instid0(VALU_DEP_1) | instskip(SKIP_1) | instid1(VALU_DEP_2)
	v_subrev_nc_u32_e32 v4, 28, v43
	v_sub_nc_u32_e32 v43, 29, v43
	v_lshlrev_b64 v[4:5], v4, v[28:29]
	s_delay_alu instid0(VALU_DEP_1)
	v_and_b32_e32 v28, 7, v4
; %bb.981:                              ;   in Loop: Header=BB239_13 Depth=1
	s_or_b32 exec_lo, exec_lo, s26
	v_lshlrev_b32_e32 v4, 24, v56
	s_delay_alu instid0(VALU_DEP_2) | instskip(SKIP_1) | instid1(VALU_DEP_3)
	v_lshlrev_b32_e32 v5, 20, v28
	v_lshl_add_u32 v28, v43, 23, 0x3c000000
	v_and_b32_e32 v4, 0x80000000, v4
	s_delay_alu instid0(VALU_DEP_1) | instskip(NEXT) | instid1(VALU_DEP_1)
	v_or3_b32 v28, v5, v4, v28
	v_dual_mov_b32 v44, v29 :: v_dual_mov_b32 v43, v28
.LBB239_982:                            ;   in Loop: Header=BB239_13 Depth=1
	s_or_b32 exec_lo, exec_lo, s25
.LBB239_983:                            ;   in Loop: Header=BB239_13 Depth=1
	s_delay_alu instid0(SALU_CYCLE_1)
	s_or_b32 exec_lo, exec_lo, s24
.LBB239_984:                            ;   in Loop: Header=BB239_13 Depth=1
	s_delay_alu instid0(SALU_CYCLE_1) | instskip(SKIP_2) | instid1(VALU_DEP_1)
	s_or_b32 exec_lo, exec_lo, s18
	v_lshrrev_b16 v28, 8, v56
	s_mov_b32 s24, exec_lo
	v_cmpx_ne_u16_e32 0, v28
	s_cbranch_execz .LBB239_992
; %bb.985:                              ;   in Loop: Header=BB239_13 Depth=1
	v_dual_mov_b32 v171, s17 :: v_dual_mov_b32 v170, s16
	s_mov_b32 s25, exec_lo
	v_cmpx_ne_u16_e32 0x80, v28
	s_cbranch_execz .LBB239_991
; %bb.986:                              ;   in Loop: Header=BB239_13 Depth=1
	s_mov_b32 s18, s16
	v_dual_mov_b32 v171, s19 :: v_dual_and_b32 v4, 0xffff, v28
	v_mov_b32_e32 v170, s18
	s_mov_b32 s18, exec_lo
	s_delay_alu instid0(VALU_DEP_2) | instskip(NEXT) | instid1(VALU_DEP_1)
	v_and_b32_e32 v60, 0x7f, v4
	v_cmpx_ne_u32_e32 0x7f, v60
	s_cbranch_execz .LBB239_990
; %bb.987:                              ;   in Loop: Header=BB239_13 Depth=1
	v_and_b32_e32 v28, 7, v4
	v_lshrrev_b32_e32 v57, 3, v60
	s_mov_b32 s26, exec_lo
	v_cmpx_gt_u32_e32 8, v60
; %bb.988:                              ;   in Loop: Header=BB239_13 Depth=1
	s_delay_alu instid0(VALU_DEP_3) | instskip(NEXT) | instid1(VALU_DEP_1)
	v_clz_i32_u32_e32 v4, v28
	v_min_u32_e32 v57, 32, v4
	s_delay_alu instid0(VALU_DEP_1) | instskip(SKIP_1) | instid1(VALU_DEP_2)
	v_subrev_nc_u32_e32 v4, 28, v57
	v_sub_nc_u32_e32 v57, 29, v57
	v_lshlrev_b64 v[4:5], v4, v[28:29]
	s_delay_alu instid0(VALU_DEP_1)
	v_and_b32_e32 v28, 7, v4
; %bb.989:                              ;   in Loop: Header=BB239_13 Depth=1
	s_or_b32 exec_lo, exec_lo, s26
	v_lshlrev_b32_e32 v4, 16, v56
	s_delay_alu instid0(VALU_DEP_2) | instskip(SKIP_1) | instid1(VALU_DEP_3)
	v_dual_mov_b32 v170, v29 :: v_dual_lshlrev_b32 v5, 20, v28
	v_lshl_add_u32 v28, v57, 23, 0x3c000000
	v_and_b32_e32 v4, 0x80000000, v4
	s_delay_alu instid0(VALU_DEP_1)
	v_or3_b32 v171, v5, v4, v28
.LBB239_990:                            ;   in Loop: Header=BB239_13 Depth=1
	s_or_b32 exec_lo, exec_lo, s18
.LBB239_991:                            ;   in Loop: Header=BB239_13 Depth=1
	s_delay_alu instid0(SALU_CYCLE_1)
	s_or_b32 exec_lo, exec_lo, s25
.LBB239_992:                            ;   in Loop: Header=BB239_13 Depth=1
	s_delay_alu instid0(SALU_CYCLE_1)
	s_or_b32 exec_lo, exec_lo, s24
	flat_load_u16 v4, v[162:163] offset:3844
	v_mov_b32_e32 v174, 0
	v_mov_b32_e32 v175, 0
	s_mov_b32 s18, exec_lo
	s_waitcnt vmcnt(0) lgkmcnt(0)
	v_and_b32_e32 v60, 0xffff, v4
	v_dual_mov_b32 v56, v174 :: v_dual_and_b32 v5, 0xff, v4
	v_mov_b32_e32 v57, v175
	s_delay_alu instid0(VALU_DEP_2)
	v_cmpx_ne_u16_e32 0, v5
	s_cbranch_execz .LBB239_1000
; %bb.993:                              ;   in Loop: Header=BB239_13 Depth=1
	v_bfrev_b32_e32 v56, 1
	v_dual_mov_b32 v57, 0 :: v_dual_and_b32 v4, 0xff, v60
	s_mov_b32 s24, exec_lo
	s_delay_alu instid0(VALU_DEP_1)
	v_cmpx_ne_u16_e32 0x80, v4
	s_cbranch_execz .LBB239_999
; %bb.994:                              ;   in Loop: Header=BB239_13 Depth=1
	v_mov_b32_e32 v56, 0x7f800001
	v_dual_mov_b32 v57, 0 :: v_dual_and_b32 v4, 0x7f, v60
	s_mov_b32 s25, exec_lo
	s_delay_alu instid0(VALU_DEP_1)
	v_cmpx_ne_u32_e32 0x7f, v4
	s_cbranch_execz .LBB239_998
; %bb.995:                              ;   in Loop: Header=BB239_13 Depth=1
	v_and_b32_e32 v28, 7, v60
	v_lshrrev_b32_e32 v56, 3, v4
	s_mov_b32 s26, exec_lo
	v_cmpx_gt_u32_e32 8, v4
; %bb.996:                              ;   in Loop: Header=BB239_13 Depth=1
	s_delay_alu instid0(VALU_DEP_3) | instskip(NEXT) | instid1(VALU_DEP_1)
	v_clz_i32_u32_e32 v4, v28
	v_min_u32_e32 v56, 32, v4
	s_delay_alu instid0(VALU_DEP_1) | instskip(SKIP_1) | instid1(VALU_DEP_2)
	v_subrev_nc_u32_e32 v4, 28, v56
	v_sub_nc_u32_e32 v56, 29, v56
	v_lshlrev_b64 v[4:5], v4, v[28:29]
	s_delay_alu instid0(VALU_DEP_1)
	v_and_b32_e32 v28, 7, v4
; %bb.997:                              ;   in Loop: Header=BB239_13 Depth=1
	s_or_b32 exec_lo, exec_lo, s26
	v_lshlrev_b32_e32 v4, 24, v60
	s_delay_alu instid0(VALU_DEP_2) | instskip(SKIP_1) | instid1(VALU_DEP_3)
	v_lshlrev_b32_e32 v5, 20, v28
	v_lshl_add_u32 v28, v56, 23, 0x3c000000
	v_and_b32_e32 v4, 0x80000000, v4
	s_delay_alu instid0(VALU_DEP_1) | instskip(NEXT) | instid1(VALU_DEP_1)
	v_or3_b32 v28, v5, v4, v28
	v_dual_mov_b32 v57, v29 :: v_dual_mov_b32 v56, v28
.LBB239_998:                            ;   in Loop: Header=BB239_13 Depth=1
	s_or_b32 exec_lo, exec_lo, s25
.LBB239_999:                            ;   in Loop: Header=BB239_13 Depth=1
	s_delay_alu instid0(SALU_CYCLE_1)
	s_or_b32 exec_lo, exec_lo, s24
.LBB239_1000:                           ;   in Loop: Header=BB239_13 Depth=1
	s_delay_alu instid0(SALU_CYCLE_1) | instskip(SKIP_2) | instid1(VALU_DEP_1)
	s_or_b32 exec_lo, exec_lo, s18
	v_lshrrev_b16 v28, 8, v60
	s_mov_b32 s24, exec_lo
	v_cmpx_ne_u16_e32 0, v28
	s_cbranch_execz .LBB239_1008
; %bb.1001:                             ;   in Loop: Header=BB239_13 Depth=1
	v_dual_mov_b32 v175, s17 :: v_dual_mov_b32 v174, s16
	s_mov_b32 s25, exec_lo
	v_cmpx_ne_u16_e32 0x80, v28
	s_cbranch_execz .LBB239_1007
; %bb.1002:                             ;   in Loop: Header=BB239_13 Depth=1
	s_mov_b32 s18, s16
	v_dual_mov_b32 v175, s19 :: v_dual_and_b32 v4, 0xffff, v28
	v_mov_b32_e32 v174, s18
	s_mov_b32 s18, exec_lo
	s_delay_alu instid0(VALU_DEP_2) | instskip(NEXT) | instid1(VALU_DEP_1)
	v_and_b32_e32 v73, 0x7f, v4
	v_cmpx_ne_u32_e32 0x7f, v73
	s_cbranch_execz .LBB239_1006
; %bb.1003:                             ;   in Loop: Header=BB239_13 Depth=1
	v_and_b32_e32 v28, 7, v4
	v_lshrrev_b32_e32 v61, 3, v73
	s_mov_b32 s26, exec_lo
	v_cmpx_gt_u32_e32 8, v73
; %bb.1004:                             ;   in Loop: Header=BB239_13 Depth=1
	s_delay_alu instid0(VALU_DEP_3) | instskip(NEXT) | instid1(VALU_DEP_1)
	v_clz_i32_u32_e32 v4, v28
	v_min_u32_e32 v61, 32, v4
	s_delay_alu instid0(VALU_DEP_1) | instskip(SKIP_1) | instid1(VALU_DEP_2)
	v_subrev_nc_u32_e32 v4, 28, v61
	v_sub_nc_u32_e32 v61, 29, v61
	v_lshlrev_b64 v[4:5], v4, v[28:29]
	s_delay_alu instid0(VALU_DEP_1)
	v_and_b32_e32 v28, 7, v4
; %bb.1005:                             ;   in Loop: Header=BB239_13 Depth=1
	s_or_b32 exec_lo, exec_lo, s26
	v_lshlrev_b32_e32 v4, 16, v60
	s_delay_alu instid0(VALU_DEP_2) | instskip(SKIP_1) | instid1(VALU_DEP_3)
	v_dual_mov_b32 v174, v29 :: v_dual_lshlrev_b32 v5, 20, v28
	v_lshl_add_u32 v28, v61, 23, 0x3c000000
	v_and_b32_e32 v4, 0x80000000, v4
	s_delay_alu instid0(VALU_DEP_1)
	v_or3_b32 v175, v5, v4, v28
.LBB239_1006:                           ;   in Loop: Header=BB239_13 Depth=1
	s_or_b32 exec_lo, exec_lo, s18
.LBB239_1007:                           ;   in Loop: Header=BB239_13 Depth=1
	s_delay_alu instid0(SALU_CYCLE_1)
	s_or_b32 exec_lo, exec_lo, s25
.LBB239_1008:                           ;   in Loop: Header=BB239_13 Depth=1
	s_delay_alu instid0(SALU_CYCLE_1) | instskip(SKIP_1) | instid1(VALU_DEP_1)
	s_or_b32 exec_lo, exec_lo, s24
	v_add_co_u32 v186, s2, 0xf00, v162
	v_add_co_ci_u32_e64 v187, s2, 0, v163, s2
	s_mov_b32 s18, exec_lo
	flat_load_u16 v4, v[186:187] offset:8
	v_mov_b32_e32 v162, 0
	v_mov_b32_e32 v163, 0
	s_delay_alu instid0(VALU_DEP_1) | instskip(SKIP_3) | instid1(VALU_DEP_2)
	v_dual_mov_b32 v60, v162 :: v_dual_mov_b32 v61, v163
	s_waitcnt vmcnt(0) lgkmcnt(0)
	v_and_b32_e32 v5, 0xff, v4
	v_and_b32_e32 v73, 0xffff, v4
	v_cmpx_ne_u16_e32 0, v5
	s_cbranch_execz .LBB239_1016
; %bb.1009:                             ;   in Loop: Header=BB239_13 Depth=1
	v_bfrev_b32_e32 v60, 1
	s_delay_alu instid0(VALU_DEP_3) | instskip(SKIP_1) | instid1(VALU_DEP_1)
	v_dual_mov_b32 v61, 0 :: v_dual_and_b32 v4, 0xff, v73
	s_mov_b32 s24, exec_lo
	v_cmpx_ne_u16_e32 0x80, v4
	s_cbranch_execz .LBB239_1015
; %bb.1010:                             ;   in Loop: Header=BB239_13 Depth=1
	v_mov_b32_e32 v60, 0x7f800001
	v_dual_mov_b32 v61, 0 :: v_dual_and_b32 v4, 0x7f, v73
	s_mov_b32 s25, exec_lo
	s_delay_alu instid0(VALU_DEP_1)
	v_cmpx_ne_u32_e32 0x7f, v4
	s_cbranch_execz .LBB239_1014
; %bb.1011:                             ;   in Loop: Header=BB239_13 Depth=1
	v_and_b32_e32 v28, 7, v73
	v_lshrrev_b32_e32 v60, 3, v4
	s_mov_b32 s26, exec_lo
	v_cmpx_gt_u32_e32 8, v4
; %bb.1012:                             ;   in Loop: Header=BB239_13 Depth=1
	s_delay_alu instid0(VALU_DEP_3) | instskip(NEXT) | instid1(VALU_DEP_1)
	v_clz_i32_u32_e32 v4, v28
	v_min_u32_e32 v60, 32, v4
	s_delay_alu instid0(VALU_DEP_1) | instskip(SKIP_1) | instid1(VALU_DEP_2)
	v_subrev_nc_u32_e32 v4, 28, v60
	v_sub_nc_u32_e32 v60, 29, v60
	v_lshlrev_b64 v[4:5], v4, v[28:29]
	s_delay_alu instid0(VALU_DEP_1)
	v_and_b32_e32 v28, 7, v4
; %bb.1013:                             ;   in Loop: Header=BB239_13 Depth=1
	s_or_b32 exec_lo, exec_lo, s26
	v_lshlrev_b32_e32 v4, 24, v73
	s_delay_alu instid0(VALU_DEP_2) | instskip(SKIP_1) | instid1(VALU_DEP_3)
	v_lshlrev_b32_e32 v5, 20, v28
	v_lshl_add_u32 v28, v60, 23, 0x3c000000
	v_and_b32_e32 v4, 0x80000000, v4
	s_delay_alu instid0(VALU_DEP_1) | instskip(NEXT) | instid1(VALU_DEP_1)
	v_or3_b32 v28, v5, v4, v28
	v_dual_mov_b32 v61, v29 :: v_dual_mov_b32 v60, v28
.LBB239_1014:                           ;   in Loop: Header=BB239_13 Depth=1
	s_or_b32 exec_lo, exec_lo, s25
.LBB239_1015:                           ;   in Loop: Header=BB239_13 Depth=1
	s_delay_alu instid0(SALU_CYCLE_1)
	s_or_b32 exec_lo, exec_lo, s24
.LBB239_1016:                           ;   in Loop: Header=BB239_13 Depth=1
	s_delay_alu instid0(SALU_CYCLE_1) | instskip(NEXT) | instid1(VALU_DEP_2)
	s_or_b32 exec_lo, exec_lo, s18
	v_lshrrev_b16 v28, 8, v73
	s_mov_b32 s24, exec_lo
	s_delay_alu instid0(VALU_DEP_1)
	v_cmpx_ne_u16_e32 0, v28
	s_cbranch_execz .LBB239_1024
; %bb.1017:                             ;   in Loop: Header=BB239_13 Depth=1
	v_dual_mov_b32 v163, s17 :: v_dual_mov_b32 v162, s16
	s_mov_b32 s25, exec_lo
	v_cmpx_ne_u16_e32 0x80, v28
	s_cbranch_execz .LBB239_1023
; %bb.1018:                             ;   in Loop: Header=BB239_13 Depth=1
	s_mov_b32 s18, s16
	v_dual_mov_b32 v163, s19 :: v_dual_and_b32 v4, 0xffff, v28
	v_mov_b32_e32 v162, s18
	s_mov_b32 s18, exec_lo
	s_delay_alu instid0(VALU_DEP_2) | instskip(NEXT) | instid1(VALU_DEP_1)
	v_and_b32_e32 v190, 0x7f, v4
	v_cmpx_ne_u32_e32 0x7f, v190
	s_cbranch_execz .LBB239_1022
; %bb.1019:                             ;   in Loop: Header=BB239_13 Depth=1
	v_and_b32_e32 v28, 7, v4
	v_lshrrev_b32_e32 v162, 3, v190
	s_mov_b32 s26, exec_lo
	v_cmpx_gt_u32_e32 8, v190
; %bb.1020:                             ;   in Loop: Header=BB239_13 Depth=1
	s_delay_alu instid0(VALU_DEP_3) | instskip(NEXT) | instid1(VALU_DEP_1)
	v_clz_i32_u32_e32 v4, v28
	v_min_u32_e32 v162, 32, v4
	s_delay_alu instid0(VALU_DEP_1) | instskip(SKIP_1) | instid1(VALU_DEP_2)
	v_subrev_nc_u32_e32 v4, 28, v162
	v_sub_nc_u32_e32 v162, 29, v162
	v_lshlrev_b64 v[4:5], v4, v[28:29]
	s_delay_alu instid0(VALU_DEP_1)
	v_and_b32_e32 v28, 7, v4
; %bb.1021:                             ;   in Loop: Header=BB239_13 Depth=1
	s_or_b32 exec_lo, exec_lo, s26
	v_lshlrev_b32_e32 v4, 16, v73
	s_delay_alu instid0(VALU_DEP_2) | instskip(SKIP_2) | instid1(VALU_DEP_4)
	v_lshlrev_b32_e32 v5, 20, v28
	v_lshl_add_u32 v28, v162, 23, 0x3c000000
	v_mov_b32_e32 v162, v29
	v_and_b32_e32 v4, 0x80000000, v4
	s_delay_alu instid0(VALU_DEP_1)
	v_or3_b32 v163, v5, v4, v28
.LBB239_1022:                           ;   in Loop: Header=BB239_13 Depth=1
	s_or_b32 exec_lo, exec_lo, s18
.LBB239_1023:                           ;   in Loop: Header=BB239_13 Depth=1
	s_delay_alu instid0(SALU_CYCLE_1)
	s_or_b32 exec_lo, exec_lo, s25
.LBB239_1024:                           ;   in Loop: Header=BB239_13 Depth=1
	s_delay_alu instid0(SALU_CYCLE_1) | instskip(SKIP_4) | instid1(VALU_DEP_1)
	s_or_b32 exec_lo, exec_lo, s24
	flat_load_u16 v4, v[186:187] offset:12
	v_mov_b32_e32 v186, 0
	v_mov_b32_e32 v187, 0
	s_mov_b32 s18, exec_lo
	v_dual_mov_b32 v191, v187 :: v_dual_mov_b32 v190, v186
	s_waitcnt vmcnt(0) lgkmcnt(0)
	v_and_b32_e32 v5, 0xff, v4
	v_and_b32_e32 v73, 0xffff, v4
	s_delay_alu instid0(VALU_DEP_2)
	v_cmpx_ne_u16_e32 0, v5
	s_cbranch_execz .LBB239_1032
; %bb.1025:                             ;   in Loop: Header=BB239_13 Depth=1
	v_bfrev_b32_e32 v190, 1
	s_delay_alu instid0(VALU_DEP_3) | instskip(SKIP_1) | instid1(VALU_DEP_1)
	v_dual_mov_b32 v191, 0 :: v_dual_and_b32 v4, 0xff, v73
	s_mov_b32 s24, exec_lo
	v_cmpx_ne_u16_e32 0x80, v4
	s_cbranch_execz .LBB239_1031
; %bb.1026:                             ;   in Loop: Header=BB239_13 Depth=1
	v_mov_b32_e32 v190, 0x7f800001
	v_dual_mov_b32 v191, 0 :: v_dual_and_b32 v4, 0x7f, v73
	s_mov_b32 s25, exec_lo
	s_delay_alu instid0(VALU_DEP_1)
	v_cmpx_ne_u32_e32 0x7f, v4
	s_cbranch_execz .LBB239_1030
; %bb.1027:                             ;   in Loop: Header=BB239_13 Depth=1
	v_and_b32_e32 v28, 7, v73
	v_lshrrev_b32_e32 v190, 3, v4
	s_mov_b32 s26, exec_lo
	v_cmpx_gt_u32_e32 8, v4
; %bb.1028:                             ;   in Loop: Header=BB239_13 Depth=1
	s_delay_alu instid0(VALU_DEP_3) | instskip(NEXT) | instid1(VALU_DEP_1)
	v_clz_i32_u32_e32 v4, v28
	v_min_u32_e32 v190, 32, v4
	s_delay_alu instid0(VALU_DEP_1) | instskip(SKIP_1) | instid1(VALU_DEP_2)
	v_subrev_nc_u32_e32 v4, 28, v190
	v_sub_nc_u32_e32 v190, 29, v190
	v_lshlrev_b64 v[4:5], v4, v[28:29]
	s_delay_alu instid0(VALU_DEP_1)
	v_and_b32_e32 v28, 7, v4
; %bb.1029:                             ;   in Loop: Header=BB239_13 Depth=1
	s_or_b32 exec_lo, exec_lo, s26
	v_lshlrev_b32_e32 v4, 24, v73
	s_delay_alu instid0(VALU_DEP_2) | instskip(SKIP_1) | instid1(VALU_DEP_3)
	v_lshlrev_b32_e32 v5, 20, v28
	v_lshl_add_u32 v28, v190, 23, 0x3c000000
	v_and_b32_e32 v4, 0x80000000, v4
	s_delay_alu instid0(VALU_DEP_1) | instskip(NEXT) | instid1(VALU_DEP_1)
	v_or3_b32 v28, v5, v4, v28
	v_dual_mov_b32 v191, v29 :: v_dual_mov_b32 v190, v28
.LBB239_1030:                           ;   in Loop: Header=BB239_13 Depth=1
	s_or_b32 exec_lo, exec_lo, s25
.LBB239_1031:                           ;   in Loop: Header=BB239_13 Depth=1
	s_delay_alu instid0(SALU_CYCLE_1)
	s_or_b32 exec_lo, exec_lo, s24
.LBB239_1032:                           ;   in Loop: Header=BB239_13 Depth=1
	s_delay_alu instid0(SALU_CYCLE_1) | instskip(NEXT) | instid1(VALU_DEP_2)
	s_or_b32 exec_lo, exec_lo, s18
	v_lshrrev_b16 v28, 8, v73
	s_mov_b32 s24, exec_lo
	s_delay_alu instid0(VALU_DEP_1)
	v_cmpx_ne_u16_e32 0, v28
	s_cbranch_execz .LBB239_1040
; %bb.1033:                             ;   in Loop: Header=BB239_13 Depth=1
	v_dual_mov_b32 v187, s17 :: v_dual_mov_b32 v186, s16
	s_mov_b32 s25, exec_lo
	v_cmpx_ne_u16_e32 0x80, v28
	s_cbranch_execz .LBB239_1039
; %bb.1034:                             ;   in Loop: Header=BB239_13 Depth=1
	s_mov_b32 s18, s16
	v_and_b32_e32 v5, 0xffff, v28
	v_dual_mov_b32 v187, s19 :: v_dual_mov_b32 v186, s18
	s_mov_b32 s18, exec_lo
	s_delay_alu instid0(VALU_DEP_2) | instskip(NEXT) | instid1(VALU_DEP_1)
	v_and_b32_e32 v4, 0x7f, v5
	v_cmpx_ne_u32_e32 0x7f, v4
	s_cbranch_execz .LBB239_1038
; %bb.1035:                             ;   in Loop: Header=BB239_13 Depth=1
	v_and_b32_e32 v28, 7, v5
	v_lshrrev_b32_e32 v186, 3, v4
	s_mov_b32 s26, exec_lo
	v_cmpx_gt_u32_e32 8, v4
; %bb.1036:                             ;   in Loop: Header=BB239_13 Depth=1
	s_delay_alu instid0(VALU_DEP_3) | instskip(NEXT) | instid1(VALU_DEP_1)
	v_clz_i32_u32_e32 v4, v28
	v_min_u32_e32 v186, 32, v4
	s_delay_alu instid0(VALU_DEP_1) | instskip(SKIP_1) | instid1(VALU_DEP_2)
	v_subrev_nc_u32_e32 v4, 28, v186
	v_sub_nc_u32_e32 v186, 29, v186
	v_lshlrev_b64 v[4:5], v4, v[28:29]
	s_delay_alu instid0(VALU_DEP_1)
	v_and_b32_e32 v28, 7, v4
; %bb.1037:                             ;   in Loop: Header=BB239_13 Depth=1
	s_or_b32 exec_lo, exec_lo, s26
	v_lshlrev_b32_e32 v4, 16, v73
	s_delay_alu instid0(VALU_DEP_2) | instskip(SKIP_2) | instid1(VALU_DEP_4)
	v_lshlrev_b32_e32 v5, 20, v28
	v_lshl_add_u32 v28, v186, 23, 0x3c000000
	v_mov_b32_e32 v186, v29
	v_and_b32_e32 v4, 0x80000000, v4
	s_delay_alu instid0(VALU_DEP_1)
	v_or3_b32 v187, v5, v4, v28
.LBB239_1038:                           ;   in Loop: Header=BB239_13 Depth=1
	s_or_b32 exec_lo, exec_lo, s18
.LBB239_1039:                           ;   in Loop: Header=BB239_13 Depth=1
	s_delay_alu instid0(SALU_CYCLE_1)
	s_or_b32 exec_lo, exec_lo, s25
.LBB239_1040:                           ;   in Loop: Header=BB239_13 Depth=1
	s_delay_alu instid0(SALU_CYCLE_1)
	s_or_b32 exec_lo, exec_lo, s24
	v_or_b32_e32 v4, v182, v184
	v_or_b32_e32 v5, v183, v185
	scratch_load_b64 v[182:183], off, s32 offset:356 ; 8-byte Folded Reload
	v_or_b32_e32 v0, v21, v0
	s_waitcnt vmcnt(0)
	v_or_b32_e32 v73, v167, v183
	v_or_b32_e32 v28, v166, v182
	scratch_load_b128 v[182:185], off, s32 offset:872 ; 16-byte Folded Reload
	v_mul_f32_e32 v4, v72, v4
	v_mul_f32_e32 v166, v72, v28
	s_waitcnt vmcnt(0)
	s_delay_alu instid0(VALU_DEP_2) | instskip(SKIP_1) | instid1(VALU_DEP_2)
	v_mul_f32_e32 v28, v184, v4
	v_mul_f32_e32 v4, v72, v5
	v_dual_mul_f32 v5, v72, v73 :: v_dual_fmac_f32 v28, v182, v166
	s_delay_alu instid0(VALU_DEP_2) | instskip(NEXT) | instid1(VALU_DEP_1)
	v_mul_f32_e32 v73, v185, v4
	v_fmac_f32_e32 v73, v183, v5
	s_clause 0x1
	scratch_load_b64 v[166:167], off, s32 offset:380
	scratch_load_b64 v[182:183], off, s32 offset:388
	s_waitcnt vmcnt(0)
	v_or_b32_e32 v4, v167, v183
	v_or_b32_e32 v5, v166, v182
	s_clause 0x1
	scratch_load_b64 v[166:167], off, s32 offset:364
	scratch_load_b64 v[182:183], off, s32 offset:372
	v_mul_f32_e32 v4, v72, v4
	v_mul_f32_e32 v5, v72, v5
	s_waitcnt vmcnt(0)
	v_or_b32_e32 v166, v166, v182
	v_or_b32_e32 v167, v167, v183
	scratch_load_b128 v[182:185], off, s32 offset:840 ; 16-byte Folded Reload
	v_mul_f32_e32 v166, v72, v166
	s_waitcnt vmcnt(0)
	s_delay_alu instid0(VALU_DEP_1) | instskip(SKIP_1) | instid1(VALU_DEP_1)
	v_fmac_f32_e32 v28, v182, v166
	v_mul_f32_e32 v166, v72, v167
	v_fmac_f32_e32 v73, v183, v166
	s_clause 0x1
	scratch_load_b64 v[166:167], off, s32 offset:412
	scratch_load_b64 v[182:183], off, s32 offset:420
	v_fmac_f32_e32 v73, v185, v4
	s_waitcnt vmcnt(0)
	v_or_b32_e32 v4, v167, v183
	s_delay_alu instid0(VALU_DEP_1)
	v_mul_f32_e32 v4, v72, v4
	v_fmac_f32_e32 v28, v184, v5
	v_or_b32_e32 v5, v166, v182
	s_clause 0x1
	scratch_load_b64 v[166:167], off, s32 offset:396
	scratch_load_b64 v[182:183], off, s32 offset:404
	v_mul_f32_e32 v5, v72, v5
	s_waitcnt vmcnt(0)
	v_or_b32_e32 v166, v166, v182
	v_or_b32_e32 v167, v167, v183
	scratch_load_b128 v[182:185], off, s32 offset:856 ; 16-byte Folded Reload
	v_mul_f32_e32 v166, v72, v166
	s_waitcnt vmcnt(0)
	s_delay_alu instid0(VALU_DEP_1) | instskip(SKIP_1) | instid1(VALU_DEP_1)
	v_fmac_f32_e32 v28, v182, v166
	v_mul_f32_e32 v166, v72, v167
	v_dual_fmac_f32 v28, v184, v5 :: v_dual_fmac_f32 v73, v183, v166
	s_clause 0x1
	scratch_load_b64 v[166:167], off, s32 offset:444
	scratch_load_b64 v[182:183], off, s32 offset:452
	v_fmac_f32_e32 v73, v185, v4
	s_waitcnt vmcnt(0)
	v_or_b32_e32 v4, v167, v183
	v_or_b32_e32 v5, v166, v182
	s_clause 0x1
	scratch_load_b64 v[166:167], off, s32 offset:428
	scratch_load_b64 v[182:183], off, s32 offset:436
	v_mul_f32_e32 v4, v72, v4
	v_mul_f32_e32 v5, v72, v5
	s_waitcnt vmcnt(0)
	v_or_b32_e32 v166, v166, v182
	v_or_b32_e32 v167, v167, v183
	scratch_load_b128 v[182:185], off, s32 offset:808 ; 16-byte Folded Reload
	v_mul_f32_e32 v166, v72, v166
	s_waitcnt vmcnt(0)
	s_delay_alu instid0(VALU_DEP_1) | instskip(SKIP_1) | instid1(VALU_DEP_1)
	v_fmac_f32_e32 v28, v182, v166
	v_mul_f32_e32 v166, v72, v167
	v_dual_fmac_f32 v28, v184, v5 :: v_dual_fmac_f32 v73, v183, v166
	s_clause 0x1
	scratch_load_b64 v[166:167], off, s32 offset:476
	scratch_load_b64 v[182:183], off, s32 offset:484
	v_fmac_f32_e32 v73, v185, v4
	s_waitcnt vmcnt(0)
	v_or_b32_e32 v4, v167, v183
	v_or_b32_e32 v5, v166, v182
	s_clause 0x1
	scratch_load_b64 v[166:167], off, s32 offset:460
	scratch_load_b64 v[182:183], off, s32 offset:468
	v_mul_f32_e32 v4, v72, v4
	;; [unrolled: 22-line block ×4, first 2 shown]
	v_mul_f32_e32 v5, v72, v5
	s_waitcnt vmcnt(0)
	v_or_b32_e32 v166, v166, v182
	v_or_b32_e32 v167, v167, v183
	scratch_load_b128 v[182:185], off, s32 offset:776 ; 16-byte Folded Reload
	v_mul_f32_e32 v166, v72, v166
	s_waitcnt vmcnt(0)
	s_delay_alu instid0(VALU_DEP_1) | instskip(SKIP_1) | instid1(VALU_DEP_1)
	v_fmac_f32_e32 v28, v182, v166
	v_mul_f32_e32 v166, v72, v167
	v_dual_fmac_f32 v28, v184, v5 :: v_dual_fmac_f32 v73, v183, v166
	scratch_load_b64 v[166:167], off, s32 offset:564 ; 8-byte Folded Reload
	v_fmac_f32_e32 v73, v185, v4
	scratch_load_b128 v[182:185], off, s32 offset:760 ; 16-byte Folded Reload
	s_waitcnt vmcnt(1)
	v_or_b32_e32 v4, v105, v167
	v_or_b32_e32 v5, v104, v166
	scratch_load_b64 v[166:167], off, s32 offset:556 ; 8-byte Folded Reload
	v_mul_f32_e32 v4, v72, v4
	v_mul_f32_e32 v5, v72, v5
	s_waitcnt vmcnt(0)
	v_or_b32_e32 v166, v92, v166
	v_or_b32_e32 v167, v93, v167
	s_delay_alu instid0(VALU_DEP_2) | instskip(NEXT) | instid1(VALU_DEP_1)
	v_mul_f32_e32 v166, v72, v166
	v_fmac_f32_e32 v28, v182, v166
	s_delay_alu instid0(VALU_DEP_3) | instskip(NEXT) | instid1(VALU_DEP_1)
	v_mul_f32_e32 v166, v72, v167
	v_dual_fmac_f32 v28, v184, v5 :: v_dual_fmac_f32 v73, v183, v166
	scratch_load_b64 v[166:167], off, s32 offset:580 ; 8-byte Folded Reload
	v_fmac_f32_e32 v73, v185, v4
	scratch_load_b128 v[182:185], off, s32 offset:744 ; 16-byte Folded Reload
	s_waitcnt vmcnt(1)
	v_or_b32_e32 v4, v121, v167
	v_or_b32_e32 v5, v120, v166
	scratch_load_b64 v[166:167], off, s32 offset:572 ; 8-byte Folded Reload
	v_mul_f32_e32 v4, v72, v4
	v_mul_f32_e32 v5, v72, v5
	s_waitcnt vmcnt(0)
	v_or_b32_e32 v166, v108, v166
	v_or_b32_e32 v167, v109, v167
	s_delay_alu instid0(VALU_DEP_2) | instskip(NEXT) | instid1(VALU_DEP_1)
	v_mul_f32_e32 v166, v72, v166
	v_fmac_f32_e32 v28, v182, v166
	s_delay_alu instid0(VALU_DEP_3) | instskip(NEXT) | instid1(VALU_DEP_1)
	;; [unrolled: 18-line block ×5, first 2 shown]
	v_mul_f32_e32 v166, v72, v167
	v_dual_fmac_f32 v28, v184, v5 :: v_dual_fmac_f32 v73, v183, v166
	s_clause 0x1
	scratch_load_b64 v[166:167], off, s32 offset:644
	scratch_load_b64 v[182:183], off, s32 offset:688
	v_fmac_f32_e32 v73, v185, v4
	scratch_load_b64 v[4:5], off, s32 offset:636 ; 8-byte Folded Reload
	s_waitcnt vmcnt(2)
	v_or_b32_e32 v166, v11, v166
	v_or_b32_e32 v92, v12, v167
	scratch_load_b64 v[11:12], off, s32 offset:652 ; 8-byte Folded Reload
	s_waitcnt vmcnt(1)
	v_or_b32_e32 v4, v172, v4
	v_or_b32_e32 v5, v173, v5
	s_delay_alu instid0(VALU_DEP_2) | instskip(NEXT) | instid1(VALU_DEP_1)
	v_mul_f32_e32 v4, v72, v4
	v_fmac_f32_e32 v28, v182, v4
	s_delay_alu instid0(VALU_DEP_3) | instskip(NEXT) | instid1(VALU_DEP_1)
	v_mul_f32_e32 v4, v72, v5
	v_dual_fmac_f32 v73, v183, v4 :: v_dual_mul_f32 v4, v72, v166
	ds_load_2addr_b64 v[166:169], v10 offset0:25 offset1:26
	ds_load_2addr_b64 v[182:185], v10 offset0:27 offset1:28
	s_waitcnt lgkmcnt(1)
	v_fmac_f32_e32 v28, v166, v4
	v_mul_f32_e32 v4, v72, v92
	s_delay_alu instid0(VALU_DEP_1)
	v_fmac_f32_e32 v73, v167, v4
	s_waitcnt vmcnt(0)
	v_or_b32_e32 v93, v188, v11
	v_or_b32_e32 v104, v189, v12
	scratch_load_b64 v[11:12], off, s32 offset:668 ; 8-byte Folded Reload
	v_mul_f32_e32 v4, v72, v93
	s_delay_alu instid0(VALU_DEP_1) | instskip(SKIP_1) | instid1(VALU_DEP_1)
	v_fmac_f32_e32 v28, v168, v4
	v_mul_f32_e32 v4, v72, v104
	v_fmac_f32_e32 v73, v169, v4
	scratch_load_b64 v[4:5], off, s32 offset:660 ; 8-byte Folded Reload
	s_waitcnt vmcnt(1)
	v_or_b32_e32 v11, v116, v11
	v_or_b32_e32 v12, v117, v12
	s_waitcnt vmcnt(0)
	v_or_b32_e32 v4, v114, v4
	v_or_b32_e32 v5, v115, v5
	s_delay_alu instid0(VALU_DEP_2) | instskip(SKIP_1) | instid1(VALU_DEP_1)
	v_mul_f32_e32 v4, v72, v4
	s_waitcnt lgkmcnt(0)
	v_fmac_f32_e32 v28, v182, v4
	s_delay_alu instid0(VALU_DEP_3) | instskip(SKIP_2) | instid1(VALU_DEP_3)
	v_mul_f32_e32 v4, v72, v5
	v_or_b32_e32 v5, v2, v14
	v_or_b32_e32 v14, v107, v111
	v_dual_fmac_f32 v73, v183, v4 :: v_dual_mul_f32 v4, v72, v11
	v_or_b32_e32 v11, v3, v15
	v_or_b32_e32 v15, v130, v122
	s_delay_alu instid0(VALU_DEP_3) | instskip(SKIP_2) | instid1(VALU_DEP_2)
	v_fmac_f32_e32 v28, v184, v4
	v_mul_f32_e32 v4, v72, v12
	v_mul_f32_e32 v12, v72, v0
	v_fmac_f32_e32 v73, v185, v4
	v_or_b32_e32 v4, v22, v1
	ds_load_2addr_b64 v[0:3], v10 offset0:29 offset1:30
	ds_load_2addr_b64 v[114:117], v10 offset0:31 offset1:32
	s_waitcnt lgkmcnt(1)
	v_fmac_f32_e32 v28, v0, v12
	v_mul_f32_e32 v0, v72, v4
	v_or_b32_e32 v4, v145, v149
	s_delay_alu instid0(VALU_DEP_2) | instskip(SKIP_3) | instid1(VALU_DEP_4)
	v_dual_fmac_f32 v73, v1, v0 :: v_dual_mul_f32 v0, v72, v5
	v_or_b32_e32 v1, v27, v129
	v_or_b32_e32 v5, v160, v76
	;; [unrolled: 1-line block ×3, first 2 shown]
	v_fmac_f32_e32 v28, v2, v0
	v_mul_f32_e32 v0, v72, v11
	v_or_b32_e32 v2, v23, v132
	v_or_b32_e32 v11, v161, v77
	s_delay_alu instid0(VALU_DEP_3) | instskip(SKIP_3) | instid1(VALU_DEP_3)
	v_fmac_f32_e32 v73, v3, v0
	v_or_b32_e32 v0, v26, v128
	v_or_b32_e32 v3, v24, v133
	v_or_b32_e32 v26, v135, v127
	v_mul_f32_e32 v0, v72, v0
	s_waitcnt lgkmcnt(0)
	s_delay_alu instid0(VALU_DEP_1) | instskip(SKIP_1) | instid1(VALU_DEP_1)
	v_fmac_f32_e32 v28, v114, v0
	v_mul_f32_e32 v0, v72, v1
	v_dual_fmac_f32 v73, v115, v0 :: v_dual_mul_f32 v0, v72, v2
	s_delay_alu instid0(VALU_DEP_1) | instskip(SKIP_1) | instid1(VALU_DEP_1)
	v_fmac_f32_e32 v28, v116, v0
	v_mul_f32_e32 v0, v72, v3
	v_fmac_f32_e32 v73, v117, v0
	v_or_b32_e32 v0, v144, v148
	s_delay_alu instid0(VALU_DEP_1)
	v_mul_f32_e32 v12, v72, v0
	ds_load_2addr_b64 v[0:3], v10 offset0:33 offset1:34
	ds_load_2addr_b64 v[21:24], v10 offset0:35 offset1:36
	s_waitcnt lgkmcnt(1)
	v_fmac_f32_e32 v28, v0, v12
	v_mul_f32_e32 v0, v72, v4
	v_or_b32_e32 v4, v59, v63
	s_delay_alu instid0(VALU_DEP_2) | instskip(SKIP_2) | instid1(VALU_DEP_3)
	v_dual_fmac_f32 v73, v1, v0 :: v_dual_mul_f32 v0, v72, v5
	v_or_b32_e32 v1, v179, v89
	v_or_b32_e32 v5, v74, v78
	v_fmac_f32_e32 v28, v2, v0
	v_mul_f32_e32 v0, v72, v11
	v_or_b32_e32 v2, v41, v45
	v_or_b32_e32 v11, v75, v79
	s_delay_alu instid0(VALU_DEP_3) | instskip(SKIP_2) | instid1(VALU_DEP_2)
	v_fmac_f32_e32 v73, v3, v0
	v_or_b32_e32 v0, v178, v88
	v_or_b32_e32 v3, v42, v46
	v_mul_f32_e32 v0, v72, v0
	s_waitcnt lgkmcnt(0)
	s_delay_alu instid0(VALU_DEP_1) | instskip(SKIP_1) | instid1(VALU_DEP_1)
	v_fmac_f32_e32 v28, v21, v0
	v_mul_f32_e32 v0, v72, v1
	v_dual_fmac_f32 v73, v22, v0 :: v_dual_mul_f32 v0, v72, v2
	s_delay_alu instid0(VALU_DEP_1) | instskip(SKIP_1) | instid1(VALU_DEP_1)
	v_fmac_f32_e32 v28, v23, v0
	v_mul_f32_e32 v0, v72, v3
	v_fmac_f32_e32 v73, v24, v0
	v_or_b32_e32 v0, v58, v62
	s_delay_alu instid0(VALU_DEP_1)
	v_mul_f32_e32 v12, v72, v0
	ds_load_2addr_b64 v[0:3], v10 offset0:37 offset1:38
	ds_load_2addr_b64 v[21:24], v10 offset0:39 offset1:40
	s_waitcnt lgkmcnt(1)
	v_fmac_f32_e32 v28, v0, v12
	v_mul_f32_e32 v0, v72, v4
	s_delay_alu instid0(VALU_DEP_1) | instskip(SKIP_1) | instid1(VALU_DEP_2)
	v_dual_fmac_f32 v73, v1, v0 :: v_dual_mul_f32 v0, v72, v5
	v_or_b32_e32 v1, v91, v7
	v_fmac_f32_e32 v28, v2, v0
	v_mul_f32_e32 v0, v72, v11
	v_or_b32_e32 v2, v8, v16
	v_or_b32_e32 v8, v19, v95
	;; [unrolled: 1-line block ×4, first 2 shown]
	v_fmac_f32_e32 v73, v3, v0
	v_or_b32_e32 v0, v90, v6
	v_or_b32_e32 v3, v9, v17
	;; [unrolled: 1-line block ×5, first 2 shown]
	v_mul_f32_e32 v0, v72, v0
	v_or_b32_e32 v19, v174, v56
	v_mul_f32_e32 v31, v72, v17
	v_or_b32_e32 v33, v171, v44
	s_waitcnt lgkmcnt(0)
	v_fmac_f32_e32 v28, v21, v0
	v_mul_f32_e32 v0, v72, v1
	v_or_b32_e32 v21, v165, v155
	s_delay_alu instid0(VALU_DEP_2) | instskip(SKIP_1) | instid1(VALU_DEP_2)
	v_dual_fmac_f32 v73, v22, v0 :: v_dual_mul_f32 v0, v72, v2
	v_or_b32_e32 v22, v164, v154
	v_dual_mul_f32 v21, v72, v21 :: v_dual_fmac_f32 v28, v23, v0
	v_mul_f32_e32 v0, v72, v3
	s_delay_alu instid0(VALU_DEP_3) | instskip(SKIP_1) | instid1(VALU_DEP_3)
	v_mul_f32_e32 v22, v72, v22
	v_or_b32_e32 v23, v147, v139
	v_fmac_f32_e32 v73, v24, v0
	v_or_b32_e32 v0, v18, v94
	v_or_b32_e32 v24, v146, v138
	s_delay_alu instid0(VALU_DEP_4) | instskip(SKIP_1) | instid1(VALU_DEP_4)
	v_mul_f32_e32 v23, v72, v23
	v_or_b32_e32 v18, v175, v57
	v_mul_f32_e32 v12, v72, v0
	ds_load_2addr_b64 v[0:3], v10 offset0:41 offset1:42
	ds_load_2addr_b64 v[4:7], v10 offset0:43 offset1:44
	s_waitcnt lgkmcnt(1)
	v_fmac_f32_e32 v28, v0, v12
	v_mul_f32_e32 v0, v72, v8
	v_or_b32_e32 v8, v53, v55
	s_delay_alu instid0(VALU_DEP_2) | instskip(SKIP_2) | instid1(VALU_DEP_3)
	v_dual_fmac_f32 v73, v1, v0 :: v_dual_mul_f32 v0, v72, v9
	v_or_b32_e32 v1, v36, v38
	v_or_b32_e32 v9, v64, v66
	v_fmac_f32_e32 v28, v2, v0
	v_mul_f32_e32 v0, v72, v11
	v_or_b32_e32 v2, v48, v50
	v_or_b32_e32 v11, v65, v67
	s_delay_alu instid0(VALU_DEP_3) | instskip(SKIP_2) | instid1(VALU_DEP_2)
	v_fmac_f32_e32 v73, v3, v0
	v_or_b32_e32 v0, v35, v37
	v_or_b32_e32 v3, v49, v51
	v_mul_f32_e32 v0, v72, v0
	s_waitcnt lgkmcnt(0)
	s_delay_alu instid0(VALU_DEP_1) | instskip(SKIP_1) | instid1(VALU_DEP_1)
	v_fmac_f32_e32 v28, v4, v0
	v_mul_f32_e32 v0, v72, v1
	v_dual_fmac_f32 v73, v5, v0 :: v_dual_mul_f32 v0, v72, v2
	s_delay_alu instid0(VALU_DEP_1) | instskip(SKIP_1) | instid1(VALU_DEP_1)
	v_fmac_f32_e32 v28, v6, v0
	v_mul_f32_e32 v0, v72, v3
	v_fmac_f32_e32 v73, v7, v0
	v_or_b32_e32 v0, v52, v54
	s_delay_alu instid0(VALU_DEP_1)
	v_mul_f32_e32 v12, v72, v0
	ds_load_2addr_b64 v[0:3], v10 offset0:45 offset1:46
	ds_load_2addr_b64 v[4:7], v10 offset0:47 offset1:48
	s_waitcnt lgkmcnt(1)
	v_fmac_f32_e32 v28, v0, v12
	v_mul_f32_e32 v0, v72, v8
	v_or_b32_e32 v8, v85, v87
	s_delay_alu instid0(VALU_DEP_2) | instskip(SKIP_2) | instid1(VALU_DEP_3)
	v_dual_fmac_f32 v73, v1, v0 :: v_dual_mul_f32 v0, v72, v9
	v_or_b32_e32 v1, v69, v71
	v_or_b32_e32 v9, v96, v98
	v_fmac_f32_e32 v28, v2, v0
	v_mul_f32_e32 v0, v72, v11
	v_or_b32_e32 v2, v80, v82
	v_or_b32_e32 v11, v97, v99
	s_delay_alu instid0(VALU_DEP_3) | instskip(SKIP_2) | instid1(VALU_DEP_2)
	v_fmac_f32_e32 v73, v3, v0
	v_or_b32_e32 v0, v68, v70
	v_or_b32_e32 v3, v81, v83
	v_mul_f32_e32 v0, v72, v0
	s_waitcnt lgkmcnt(0)
	s_delay_alu instid0(VALU_DEP_1) | instskip(SKIP_1) | instid1(VALU_DEP_1)
	v_fmac_f32_e32 v28, v4, v0
	v_mul_f32_e32 v0, v72, v1
	v_dual_fmac_f32 v73, v5, v0 :: v_dual_mul_f32 v0, v72, v2
	s_delay_alu instid0(VALU_DEP_1) | instskip(SKIP_1) | instid1(VALU_DEP_1)
	v_fmac_f32_e32 v28, v6, v0
	v_mul_f32_e32 v0, v72, v3
	v_fmac_f32_e32 v73, v7, v0
	v_or_b32_e32 v0, v84, v86
	s_delay_alu instid0(VALU_DEP_1)
	v_mul_f32_e32 v12, v72, v0
	ds_load_2addr_b64 v[0:3], v10 offset0:49 offset1:50
	ds_load_2addr_b64 v[4:7], v10 offset0:51 offset1:52
	s_waitcnt lgkmcnt(1)
	v_fmac_f32_e32 v28, v0, v12
	v_mul_f32_e32 v0, v72, v8
	v_or_b32_e32 v12, v162, v60
	v_or_b32_e32 v8, v181, v40
	s_delay_alu instid0(VALU_DEP_3) | instskip(SKIP_2) | instid1(VALU_DEP_3)
	v_dual_fmac_f32 v73, v1, v0 :: v_dual_mul_f32 v0, v72, v9
	v_or_b32_e32 v1, v100, v102
	v_or_b32_e32 v9, v180, v39
	v_fmac_f32_e32 v28, v2, v0
	v_mul_f32_e32 v0, v72, v11
	v_or_b32_e32 v2, v106, v110
	v_mul_f32_e32 v1, v72, v1
	v_mul_f32_e32 v9, v72, v9
	v_or_b32_e32 v11, v163, v61
	v_fmac_f32_e32 v73, v3, v0
	v_or_b32_e32 v0, v101, v103
	s_waitcnt lgkmcnt(0)
	v_fmac_f32_e32 v28, v4, v1
	v_mul_f32_e32 v1, v72, v2
	v_mul_f32_e32 v4, v72, v14
	;; [unrolled: 1-line block ×3, first 2 shown]
	s_delay_alu instid0(VALU_DEP_1)
	v_dual_fmac_f32 v28, v6, v1 :: v_dual_fmac_f32 v73, v5, v0
	ds_load_2addr_b64 v[0:3], v10 offset0:53 offset1:54
	v_fmac_f32_e32 v73, v7, v4
	ds_load_2addr_b64 v[4:7], v10 offset0:55 offset1:56
	v_mul_f32_e32 v14, v72, v15
	s_waitcnt lgkmcnt(1)
	s_delay_alu instid0(VALU_DEP_1) | instskip(SKIP_2) | instid1(VALU_DEP_3)
	v_fmac_f32_e32 v28, v0, v14
	v_mul_f32_e32 v0, v72, v26
	v_mul_f32_e32 v26, v72, v27
	v_dual_mul_f32 v15, v72, v16 :: v_dual_fmac_f32 v28, v2, v31
	s_delay_alu instid0(VALU_DEP_1) | instskip(SKIP_4) | instid1(VALU_DEP_2)
	v_fmac_f32_e32 v73, v1, v15
	ds_load_2addr_b64 v[14:17], v10 offset0:57 offset1:58
	v_mul_f32_e32 v1, v72, v24
	v_or_b32_e32 v24, v177, v159
	s_waitcnt lgkmcnt(1)
	v_dual_fmac_f32 v73, v3, v0 :: v_dual_fmac_f32 v28, v4, v1
	ds_load_2addr_b64 v[0:3], v10 offset0:59 offset1:60
	v_dual_mul_f32 v4, v72, v32 :: v_dual_fmac_f32 v73, v5, v23
	v_or_b32_e32 v5, v176, v158
	s_delay_alu instid0(VALU_DEP_2) | instskip(SKIP_1) | instid1(VALU_DEP_1)
	v_dual_fmac_f32 v28, v6, v26 :: v_dual_fmac_f32 v73, v7, v4
	s_waitcnt lgkmcnt(1)
	v_fmac_f32_e32 v28, v14, v22
	v_or_b32_e32 v14, v170, v43
	s_delay_alu instid0(VALU_DEP_1)
	v_dual_fmac_f32 v73, v15, v21 :: v_dual_mul_f32 v14, v72, v14
	v_mul_f32_e32 v23, v72, v24
	v_mul_f32_e32 v24, v72, v5
	ds_load_2addr_b64 v[4:7], v10 offset0:61 offset1:62
	v_fmac_f32_e32 v28, v16, v24
	v_mul_f32_e32 v16, v72, v33
	s_waitcnt lgkmcnt(1)
	s_delay_alu instid0(VALU_DEP_2) | instskip(SKIP_1) | instid1(VALU_DEP_2)
	v_fmac_f32_e32 v28, v0, v9
	v_mul_f32_e32 v0, v72, v11
	v_dual_mul_f32 v11, v72, v19 :: v_dual_fmac_f32 v28, v2, v14
	v_dual_fmac_f32 v73, v17, v23 :: v_dual_mul_f32 v2, v72, v12
	v_mul_f32_e32 v15, v72, v8
	ds_load_b64 v[8:9], v10 offset:504
	v_or_b32_e32 v12, v186, v190
	s_waitcnt lgkmcnt(1)
	v_fmac_f32_e32 v28, v4, v11
	s_delay_alu instid0(VALU_DEP_2) | instskip(NEXT) | instid1(VALU_DEP_2)
	v_mul_f32_e32 v4, v72, v12
	v_dual_fmac_f32 v28, v6, v2 :: v_dual_fmac_f32 v73, v1, v15
	v_mul_f32_e32 v1, v72, v18
	s_delay_alu instid0(VALU_DEP_2) | instskip(SKIP_1) | instid1(VALU_DEP_2)
	v_fmac_f32_e32 v73, v3, v16
	v_or_b32_e32 v3, v187, v191
	v_fmac_f32_e32 v73, v5, v1
	v_mbcnt_lo_u32_b32 v5, -1, 0
	s_delay_alu instid0(VALU_DEP_3) | instskip(SKIP_4) | instid1(VALU_DEP_2)
	v_mul_f32_e32 v3, v72, v3
	s_waitcnt lgkmcnt(0)
	v_fmac_f32_e32 v28, v8, v4
	v_fmac_f32_e32 v73, v7, v0
	v_xor_b32_e32 v1, 1, v5
	v_fmac_f32_e32 v73, v9, v3
	s_delay_alu instid0(VALU_DEP_2) | instskip(NEXT) | instid1(VALU_DEP_1)
	v_cmp_gt_i32_e64 s2, 32, v1
	v_cndmask_b32_e64 v0, v5, v1, s2
	s_delay_alu instid0(VALU_DEP_1)
	v_dual_add_f32 v0, v28, v73 :: v_dual_lshlrev_b32 v1, 2, v0
	ds_bpermute_b32 v1, v1, v0
	s_and_saveexec_b32 s18, vcc_lo
	s_cbranch_execz .LBB239_11
; %bb.1041:                             ;   in Loop: Header=BB239_13 Depth=1
	s_clause 0x1
	scratch_load_b32 v2, off, s32 offset:936
	scratch_load_b32 v3, off, s32 offset:928
	s_waitcnt lgkmcnt(0)
	v_add_f32_e32 v0, v0, v1
	scratch_load_b32 v4, off, s32 offset:904 ; 4-byte Folded Reload
	s_load_b32 s24, s[8:9], 0x0
	s_waitcnt vmcnt(2)
	v_add_nc_u32_e32 v2, v2, v20
	s_delay_alu instid0(VALU_DEP_1) | instskip(SKIP_1) | instid1(VALU_DEP_1)
	v_cvt_f32_i32_e32 v2, v2
	s_waitcnt vmcnt(1)
	v_mul_f32_e32 v2, v3, v2
	scratch_load_b32 v3, off, s32 offset:924 ; 4-byte Folded Reload
	v_cndmask_b32_e64 v1, 0, v2, s1
	s_waitcnt vmcnt(1)
	v_max_f32_e32 v2, v4, v4
	s_waitcnt vmcnt(0)
	s_delay_alu instid0(VALU_DEP_2) | instskip(SKIP_4) | instid1(VALU_DEP_1)
	v_fmac_f32_e32 v1, v0, v3
	scratch_load_b32 v0, off, s32 offset:932 ; 4-byte Folded Reload
	v_max_f32_e32 v2, v2, v1
	s_waitcnt vmcnt(0)
	v_add_nc_u32_e32 v0, v0, v20
	v_cmp_lt_i32_e64 s2, v0, v25
	s_waitcnt lgkmcnt(0)
	v_add_nc_u32_e32 v0, s24, v13
	s_delay_alu instid0(VALU_DEP_2)
	v_cndmask_b32_e64 v1, 0, v1, s2
	v_cndmask_b32_e64 v4, v4, v2, s2
	ds_store_b32 v0, v1
	scratch_store_b32 off, v4, s32 offset:904 ; 4-byte Folded Spill
	s_branch .LBB239_11
.LBB239_1042:
	s_or_b32 exec_lo, exec_lo, s23
	s_clause 0x10
	scratch_load_b32 v16, off, s32 offset:920
	scratch_load_b32 v15, off, s32 offset:952
	;; [unrolled: 1-line block ×11, first 2 shown]
	scratch_load_b64 v[11:12], off, s32 offset:992
	scratch_load_b32 v13, off, s32 offset:1000
	scratch_load_b32 v17, off, s32 offset:1004
	;; [unrolled: 1-line block ×5, first 2 shown]
.LBB239_1043:
	s_or_b32 exec_lo, exec_lo, s22
	v_mbcnt_lo_u32_b32 v6, -1, 0
	s_waitcnt vmcnt(16)
	v_and_b32_e32 v86, 31, v16
	s_waitcnt lgkmcnt(0)
	s_lshr_b32 s8, s21, 16
	v_xor_b32_e32 v0, 16, v6
	v_xor_b32_e32 v1, 8, v6
	;; [unrolled: 1-line block ×3, first 2 shown]
	s_delay_alu instid0(VALU_DEP_3) | instskip(SKIP_1) | instid1(VALU_DEP_4)
	v_cmp_gt_i32_e32 vcc_lo, 32, v0
	v_cndmask_b32_e32 v0, v6, v0, vcc_lo
	v_cmp_gt_i32_e32 vcc_lo, 32, v1
	s_waitcnt vmcnt(0)
	v_dual_max_f32 v4, v20, v20 :: v_dual_cndmask_b32 v1, v6, v1
	s_delay_alu instid0(VALU_DEP_1) | instskip(SKIP_4) | instid1(VALU_DEP_1)
	v_lshlrev_b32_e32 v3, 2, v1
	v_lshlrev_b32_e32 v2, 2, v0
	ds_bpermute_b32 v0, v2, v20
	s_waitcnt lgkmcnt(0)
	v_max_f32_e32 v0, v0, v0
	v_max_f32_e32 v0, v4, v0
	v_xor_b32_e32 v4, 4, v6
	s_delay_alu instid0(VALU_DEP_1)
	v_cmp_gt_i32_e32 vcc_lo, 32, v4
	v_cndmask_b32_e32 v4, v6, v4, vcc_lo
	v_cmp_gt_i32_e32 vcc_lo, 32, v5
	v_cndmask_b32_e32 v5, v6, v5, vcc_lo
	ds_bpermute_b32 v1, v3, v0
	v_cmp_eq_u32_e32 vcc_lo, 0, v86
	v_lshlrev_b32_e32 v24, 2, v5
	scratch_load_b32 v5, off, s32 offset:940 ; 4-byte Folded Reload
	s_waitcnt lgkmcnt(0)
	v_max_f32_e32 v1, v1, v1
	s_delay_alu instid0(VALU_DEP_1)
	v_max_f32_e32 v0, v0, v1
	s_waitcnt vmcnt(0)
	v_lshlrev_b32_e32 v5, 2, v5
	v_lshlrev_b32_e32 v4, 2, v4
	ds_bpermute_b32 v1, v4, v0
	s_waitcnt lgkmcnt(0)
	v_max_f32_e32 v1, v1, v1
	s_delay_alu instid0(VALU_DEP_1)
	v_max_f32_e32 v0, v0, v1
	ds_bpermute_b32 v1, v24, v0
	s_and_saveexec_b32 s1, vcc_lo
	s_cbranch_execz .LBB239_1045
; %bb.1044:
	s_waitcnt lgkmcnt(0)
	v_dual_max_f32 v1, v1, v1 :: v_dual_max_f32 v0, v0, v0
	s_delay_alu instid0(VALU_DEP_1)
	v_max_f32_e32 v0, v0, v1
	ds_store_b32 v5, v0 offset:1024
.LBB239_1045:
	s_or_b32 exec_lo, exec_lo, s1
	v_cmp_gt_u32_e64 s1, 4, v86
	v_mov_b32_e32 v0, 0xff7fffff
	v_lshlrev_b32_e32 v6, 2, v86
	s_waitcnt lgkmcnt(0)
	s_waitcnt_vscnt null, 0x0
	s_barrier
	buffer_gl0_inv
	s_and_saveexec_b32 s2, s1
	s_cbranch_execz .LBB239_1047
; %bb.1046:
	ds_load_b32 v0, v6 offset:1024
.LBB239_1047:
	s_or_b32 exec_lo, exec_lo, s2
	v_mbcnt_lo_u32_b32 v8, -1, 0
	s_waitcnt lgkmcnt(0)
	ds_bpermute_b32 v1, v24, v0
	v_max_f32_e32 v0, v0, v0
	v_xor_b32_e32 v7, 1, v8
	s_delay_alu instid0(VALU_DEP_1) | instskip(NEXT) | instid1(VALU_DEP_1)
	v_cmp_gt_i32_e64 s2, 32, v7
	v_cndmask_b32_e64 v7, v8, v7, s2
	s_delay_alu instid0(VALU_DEP_1) | instskip(SKIP_3) | instid1(VALU_DEP_1)
	v_lshlrev_b32_e32 v26, 2, v7
	scratch_load_b32 v7, off, s32 offset:344 ; 4-byte Folded Reload
	s_waitcnt lgkmcnt(0)
	v_max_f32_e32 v1, v1, v1
	v_max_f32_e32 v0, v0, v1
	s_waitcnt vmcnt(0)
	v_subrev_nc_u32_e32 v8, s13, v7
	v_mov_b32_e32 v7, 0
	ds_bpermute_b32 v1, v26, v0
	s_waitcnt lgkmcnt(0)
	v_max_f32_e32 v1, v1, v1
	s_delay_alu instid0(VALU_DEP_1) | instskip(SKIP_3) | instid1(VALU_DEP_1)
	v_max_f32_e32 v0, v0, v1
	v_lshl_add_u32 v1, v8, 4, s15
	ds_bpermute_b32 v0, v7, v0
	v_min_i32_e32 v1, v1, v25
	v_subrev_nc_u32_e32 v1, s15, v1
	s_delay_alu instid0(VALU_DEP_1) | instskip(NEXT) | instid1(VALU_DEP_1)
	v_cmp_lt_i32_e64 s2, v16, v1
	s_and_saveexec_b32 s9, s2
	s_cbranch_execz .LBB239_1051
; %bb.1048:
	s_getpc_b64 s[16:17]
	s_add_u32 s16, s16, llvm.amdgcn.dynlds.offset.table@rel32@lo+4
	s_addc_u32 s17, s17, llvm.amdgcn.dynlds.offset.table@rel32@hi+12
	s_ashr_i32 s7, s6, 31
	v_mov_b32_e32 v7, 0
	s_lshl_b64 s[18:19], s[6:7], 2
	v_mov_b32_e32 v9, v16
	s_add_u32 s16, s18, s16
	s_addc_u32 s17, s19, s17
	s_mov_b32 s7, 0
	s_load_b32 s3, s[16:17], 0x0
	s_waitcnt lgkmcnt(0)
	v_lshl_add_u32 v8, v16, 2, s3
	.p2align	6
.LBB239_1049:                           ; =>This Inner Loop Header: Depth=1
	ds_load_b32 v10, v8
	v_add_nc_u32_e32 v9, 0x80, v9
	s_delay_alu instid0(VALU_DEP_1) | instskip(NEXT) | instid1(VALU_DEP_1)
	v_cmp_ge_i32_e64 s3, v9, v1
	s_or_b32 s7, s3, s7
	s_waitcnt lgkmcnt(0)
	v_sub_f32_e32 v10, v10, v0
	s_delay_alu instid0(VALU_DEP_1) | instskip(NEXT) | instid1(VALU_DEP_1)
	v_mul_f32_e32 v10, 0x3fb8aa3b, v10
	v_exp_f32_e32 v10, v10
	ds_store_b32 v8, v10
	v_dual_add_f32 v7, v7, v10 :: v_dual_add_nc_u32 v8, 0x200, v8
	s_and_not1_b32 exec_lo, exec_lo, s7
	s_cbranch_execnz .LBB239_1049
; %bb.1050:
	s_or_b32 exec_lo, exec_lo, s7
.LBB239_1051:
	s_delay_alu instid0(SALU_CYCLE_1)
	s_or_b32 exec_lo, exec_lo, s9
	ds_bpermute_b32 v2, v2, v7
	s_waitcnt lgkmcnt(0)
	v_add_f32_e32 v2, v7, v2
	ds_bpermute_b32 v3, v3, v2
	s_waitcnt lgkmcnt(0)
	v_add_f32_e32 v2, v2, v3
	;; [unrolled: 3-line block ×5, first 2 shown]
	s_and_saveexec_b32 s3, vcc_lo
	s_cbranch_execz .LBB239_1053
; %bb.1052:
	ds_store_b32 v5, v2 offset:1040
.LBB239_1053:
	s_or_b32 exec_lo, exec_lo, s3
	s_waitcnt lgkmcnt(0)
	s_barrier
	buffer_gl0_inv
	s_and_saveexec_b32 s3, s1
	s_cbranch_execz .LBB239_1055
; %bb.1054:
	ds_load_b32 v2, v6 offset:1040
.LBB239_1055:
	s_or_b32 exec_lo, exec_lo, s3
	s_waitcnt lgkmcnt(0)
	ds_bpermute_b32 v3, v24, v2
	s_waitcnt lgkmcnt(0)
	v_add_f32_e32 v2, v2, v3
	ds_bpermute_b32 v3, v26, v2
	s_waitcnt lgkmcnt(0)
	v_dual_add_f32 v2, v2, v3 :: v_dual_mov_b32 v3, 0
	ds_bpermute_b32 v2, v3, v2
	s_and_saveexec_b32 s1, s2
	s_cbranch_execz .LBB239_1058
; %bb.1056:
	s_waitcnt lgkmcnt(0)
	v_add_f32_e32 v4, 0x358637bd, v2
	s_getpc_b64 s[2:3]
	s_add_u32 s2, s2, llvm.amdgcn.dynlds.offset.table@rel32@lo+4
	s_addc_u32 s3, s3, llvm.amdgcn.dynlds.offset.table@rel32@hi+12
	s_ashr_i32 s7, s6, 31
	s_delay_alu instid0(SALU_CYCLE_1) | instskip(SKIP_4) | instid1(VALU_DEP_1)
	s_lshl_b64 s[16:17], s[6:7], 2
	v_div_scale_f32 v3, null, v4, v4, 1.0
	s_add_u32 s2, s16, s2
	s_addc_u32 s3, s17, s3
	s_load_b32 s2, s[2:3], 0x0
	v_rcp_f32_e32 v5, v3
	s_waitcnt_depctr 0xfff
	v_fma_f32 v6, -v3, v5, 1.0
	s_delay_alu instid0(VALU_DEP_1) | instskip(SKIP_1) | instid1(VALU_DEP_1)
	v_fmac_f32_e32 v5, v6, v5
	v_div_scale_f32 v7, vcc_lo, 1.0, v4, 1.0
	v_mul_f32_e32 v6, v7, v5
	s_delay_alu instid0(VALU_DEP_1) | instskip(NEXT) | instid1(VALU_DEP_1)
	v_fma_f32 v8, -v3, v6, v7
	v_fmac_f32_e32 v6, v8, v5
	s_delay_alu instid0(VALU_DEP_1) | instskip(NEXT) | instid1(VALU_DEP_1)
	v_fma_f32 v3, -v3, v6, v7
	v_div_fmas_f32 v5, v3, v5, v6
	s_waitcnt lgkmcnt(0)
	v_lshl_add_u32 v3, v16, 2, s2
	s_mov_b32 s2, 0
	s_delay_alu instid0(VALU_DEP_2)
	v_div_fixup_f32 v4, v5, v4, 1.0
	v_mov_b32_e32 v5, v16
.LBB239_1057:                           ; =>This Inner Loop Header: Depth=1
	ds_load_b32 v6, v3
	s_waitcnt lgkmcnt(0)
	v_dual_mul_f32 v6, v4, v6 :: v_dual_add_nc_u32 v5, 0x80, v5
	s_delay_alu instid0(VALU_DEP_1) | instskip(SKIP_3) | instid1(SALU_CYCLE_1)
	v_cmp_ge_i32_e32 vcc_lo, v5, v1
	ds_store_b32 v3, v6
	v_add_nc_u32_e32 v3, 0x200, v3
	s_or_b32 s2, vcc_lo, s2
	s_and_not1_b32 exec_lo, exec_lo, s2
	s_cbranch_execnz .LBB239_1057
.LBB239_1058:
	s_or_b32 exec_lo, exec_lo, s1
	v_cmp_ne_u16_e64 s1, s8, 0
	s_waitcnt lgkmcnt(0)
	s_barrier
	buffer_gl0_inv
	s_cmp_lg_u32 s1, 0
	s_addc_u32 s1, s5, 0
	s_mov_b32 s5, exec_lo
	s_mul_i32 s2, s1, s10
	s_delay_alu instid0(SALU_CYCLE_1)
	s_mul_i32 s2, s2, s11
	v_cmpx_eq_u32_e32 0, v16
	s_cbranch_execz .LBB239_1060
; %bb.1059:
	s_mul_i32 s8, s1, s12
	s_ashr_i32 s15, s14, 31
	s_ashr_i32 s9, s8, 31
	;; [unrolled: 1-line block ×3, first 2 shown]
	s_lshl_b64 s[8:9], s[8:9], 2
	s_lshl_b64 s[10:11], s[14:15], 2
	;; [unrolled: 1-line block ×3, first 2 shown]
	s_add_u32 s3, s10, s8
	s_addc_u32 s7, s11, s9
	s_add_u32 s3, s3, s12
	s_addc_u32 s7, s7, s13
	v_add_co_u32 v3, vcc_lo, s3, v35
	v_add_co_ci_u32_e32 v4, vcc_lo, s7, v34, vcc_lo
	v_add_co_u32 v5, vcc_lo, s3, v33
	v_add_co_ci_u32_e32 v6, vcc_lo, s7, v32, vcc_lo
	flat_store_b32 v[3:4], v0
	flat_store_b32 v[5:6], v2
.LBB239_1060:
	s_or_b32 exec_lo, exec_lo, s5
	s_ashr_i32 s7, s6, 31
	s_getpc_b64 s[8:9]
	s_add_u32 s8, s8, llvm.amdgcn.dynlds.offset.table@rel32@lo+4
	s_addc_u32 s9, s9, llvm.amdgcn.dynlds.offset.table@rel32@hi+12
	s_lshl_b64 s[6:7], s[6:7], 2
	v_dual_mov_b32 v83, 0 :: v_dual_mov_b32 v84, 0
	v_dual_mov_b32 v82, 0 :: v_dual_and_b32 v87, 3, v16
	v_dual_mov_b32 v81, 0 :: v_dual_mov_b32 v80, 0
	v_dual_mov_b32 v71, 0 :: v_dual_mov_b32 v70, 0
	;; [unrolled: 1-line block ×14, first 2 shown]
	v_mov_b32_e32 v29, 0
	s_add_u32 s6, s6, s8
	s_addc_u32 s7, s7, s9
	s_mov_b32 s8, 0
	s_and_saveexec_b32 s3, s0
	s_cbranch_execz .LBB239_2154
; %bb.1061:
	scratch_load_b32 v5, off, s32 offset:940 ; 4-byte Folded Reload
	v_max_i32_e32 v20, v30, v18
	v_dual_mov_b32 v9, 0 :: v_dual_and_b32 v4, 12, v85
	scratch_store_b32 off, v87, s32 offset:388 ; 4-byte Folded Spill
	v_dual_mov_b32 v28, 0 :: v_dual_lshlrev_b32 v3, 4, v87
	v_cvt_f32_u32_e32 v0, v20
	s_load_b32 s0, s[6:7], 0x0
	v_add_co_u32 v6, vcc_lo, v27, v13
	v_mov_b32_e32 v87, v4
	s_delay_alu instid0(VALU_DEP_3)
	v_rcp_iflag_f32_e32 v2, v0
	v_add_nc_u32_e32 v0, -1, v17
	v_sub_nc_u32_e32 v4, 0, v20
	v_mov_b32_e32 v29, 0
	v_add_co_ci_u32_e32 v7, vcc_lo, v22, v19, vcc_lo
	s_clause 0x1
	scratch_store_b32 off, v0, s32 offset:356
	scratch_store_b32 off, v87, s32 offset:372
	v_dual_mov_b32 v31, 0 :: v_dual_and_b32 v0, 0x7c, v85
	v_mul_f32_e32 v2, 0x4f7ffffe, v2
	scratch_store_b32 off, v86, s32 offset:380 ; 4-byte Folded Spill
	v_or_b32_e32 v96, 0xf80, v85
	v_dual_mov_b32 v32, 0 :: v_dual_mov_b32 v33, 0
	v_cvt_u32_f32_e32 v2, v2
	scratch_store_b32 off, v0, s32 offset:364 ; 4-byte Folded Spill
	v_lshlrev_b64 v[0:1], 2, v[112:113]
	v_dual_mov_b32 v34, 0 :: v_dual_mov_b32 v35, 0
	v_mul_lo_u32 v4, v4, v2
	v_dual_mov_b32 v36, 0 :: v_dual_mov_b32 v37, 0
	s_delay_alu instid0(VALU_DEP_4) | instskip(SKIP_3) | instid1(VALU_DEP_4)
	v_add_co_u32 v0, vcc_lo, v11, v0
	v_add_co_ci_u32_e32 v1, vcc_lo, v12, v1, vcc_lo
	v_dual_mov_b32 v38, 0 :: v_dual_mov_b32 v39, 0
	v_mul_hi_u32 v4, v2, v4
	v_add_co_u32 v10, vcc_lo, v14, v0
	v_dual_mov_b32 v48, 0 :: v_dual_mov_b32 v49, 0
	v_dual_mov_b32 v50, 0 :: v_dual_mov_b32 v51, 0
	s_delay_alu instid0(VALU_DEP_4)
	v_dual_mov_b32 v52, 0 :: v_dual_add_nc_u32 v97, v2, v4
	v_add_co_ci_u32_e32 v11, vcc_lo, v15, v1, vcc_lo
	v_dual_mov_b32 v54, 0 :: v_dual_mov_b32 v55, 0
	v_dual_mov_b32 v64, 0 :: v_dual_mov_b32 v65, 0
	v_dual_mov_b32 v66, 0 :: v_dual_mov_b32 v67, 0
	v_dual_mov_b32 v68, 0 :: v_dual_mov_b32 v69, 0
	v_dual_mov_b32 v70, 0 :: v_dual_mov_b32 v71, 0
	v_dual_mov_b32 v80, 0 :: v_dual_mov_b32 v81, 0
	v_dual_mov_b32 v82, 0 :: v_dual_mov_b32 v83, 0
	v_mov_b32_e32 v84, 0
	s_brev_b32 s9, 1
	s_mov_b32 s11, 0x7f800001
	s_mov_b32 s5, s8
	v_mov_b32_e32 v53, 0
	s_waitcnt vmcnt(0)
	v_lshl_or_b32 v3, v5, 6, v3
	s_waitcnt lgkmcnt(0)
	s_delay_alu instid0(VALU_DEP_1)
	v_add_nc_u32_e32 v30, s0, v3
	s_branch .LBB239_1064
.LBB239_1062:                           ;   in Loop: Header=BB239_1064 Depth=1
	s_or_b32 exec_lo, exec_lo, s0
	v_mul_f32_e32 v15, v1, v188
	v_mul_f32_e32 v14, v1, v190
	;; [unrolled: 1-line block ×4, first 2 shown]
	s_delay_alu instid0(VALU_DEP_4) | instskip(NEXT) | instid1(VALU_DEP_4)
	v_fmac_f32_e32 v15, v0, v187
	v_dual_mul_f32 v13, v1, v27 :: v_dual_fmac_f32 v14, v0, v189
	s_delay_alu instid0(VALU_DEP_4) | instskip(NEXT) | instid1(VALU_DEP_4)
	v_fmac_f32_e32 v16, v0, v175
	v_fmac_f32_e32 v17, v0, v171
	s_delay_alu instid0(VALU_DEP_4) | instskip(NEXT) | instid1(VALU_DEP_4)
	v_fmac_f32_e32 v15, v2, v186
	v_dual_fmac_f32 v13, v0, v191 :: v_dual_fmac_f32 v14, v2, v22
	s_delay_alu instid0(VALU_DEP_2) | instskip(NEXT) | instid1(VALU_DEP_2)
	v_dual_fmac_f32 v16, v2, v174 :: v_dual_fmac_f32 v15, v3, v185
	v_dual_fmac_f32 v13, v2, v19 :: v_dual_fmac_f32 v14, v3, v21
	s_delay_alu instid0(VALU_DEP_2) | instskip(NEXT) | instid1(VALU_DEP_2)
	v_fmac_f32_e32 v16, v3, v173
	v_dual_add_f32 v32, v32, v15 :: v_dual_fmac_f32 v13, v3, v18
	v_mul_f32_e32 v18, v1, v156
	v_mul_f32_e32 v19, v1, v168
	s_delay_alu instid0(VALU_DEP_4) | instskip(SKIP_1) | instid1(VALU_DEP_4)
	v_add_f32_e32 v33, v33, v16
	v_mul_f32_e32 v16, v1, v124
	v_fmac_f32_e32 v18, v0, v155
	s_delay_alu instid0(VALU_DEP_4) | instskip(NEXT) | instid1(VALU_DEP_3)
	v_fmac_f32_e32 v19, v0, v159
	v_dual_add_f32 v29, v29, v13 :: v_dual_fmac_f32 v16, v0, v123
	s_delay_alu instid0(VALU_DEP_3) | instskip(SKIP_1) | instid1(VALU_DEP_4)
	v_dual_mul_f32 v13, v1, v152 :: v_dual_fmac_f32 v18, v2, v154
	v_fmac_f32_e32 v17, v2, v170
	v_fmac_f32_e32 v19, v2, v158
	s_delay_alu instid0(VALU_DEP_4) | instskip(NEXT) | instid1(VALU_DEP_4)
	v_dual_fmac_f32 v16, v2, v122 :: v_dual_mul_f32 v15, v1, v136
	v_fmac_f32_e32 v18, v3, v153
	s_delay_alu instid0(VALU_DEP_4) | instskip(SKIP_1) | instid1(VALU_DEP_3)
	v_fmac_f32_e32 v17, v3, v169
	v_dual_add_f32 v31, v31, v14 :: v_dual_mul_f32 v14, v1, v140
	v_dual_fmac_f32 v19, v3, v157 :: v_dual_add_f32 v36, v36, v18
	v_fmac_f32_e32 v16, v3, v121
	s_delay_alu instid0(VALU_DEP_3) | instskip(NEXT) | instid1(VALU_DEP_3)
	v_fmac_f32_e32 v14, v0, v139
	v_dual_add_f32 v35, v35, v19 :: v_dual_add_f32 v34, v34, v17
	s_delay_alu instid0(VALU_DEP_3) | instskip(SKIP_1) | instid1(VALU_DEP_4)
	v_add_f32_e32 v48, v48, v16
	v_mul_f32_e32 v16, v1, v88
	v_dual_fmac_f32 v14, v2, v138 :: v_dual_fmac_f32 v13, v0, v143
	s_delay_alu instid0(VALU_DEP_2) | instskip(NEXT) | instid1(VALU_DEP_2)
	v_fmac_f32_e32 v16, v0, v79
	v_dual_fmac_f32 v14, v3, v137 :: v_dual_fmac_f32 v15, v0, v127
	s_delay_alu instid0(VALU_DEP_3) | instskip(NEXT) | instid1(VALU_DEP_3)
	v_fmac_f32_e32 v13, v2, v142
	v_fmac_f32_e32 v16, v2, v78
	s_delay_alu instid0(VALU_DEP_3) | instskip(NEXT) | instid1(VALU_DEP_4)
	v_add_f32_e32 v38, v38, v14
	v_dual_fmac_f32 v15, v2, v126 :: v_dual_mul_f32 v14, v1, v104
	s_delay_alu instid0(VALU_DEP_3) | instskip(NEXT) | instid1(VALU_DEP_2)
	v_dual_mul_f32 v17, v1, v120 :: v_dual_fmac_f32 v16, v3, v77
	v_dual_fmac_f32 v15, v3, v125 :: v_dual_fmac_f32 v14, v0, v95
	s_delay_alu instid0(VALU_DEP_2) | instskip(SKIP_1) | instid1(VALU_DEP_4)
	v_fmac_f32_e32 v17, v0, v111
	v_fmac_f32_e32 v13, v3, v141
	v_add_f32_e32 v53, v53, v16
	v_mul_f32_e32 v16, v1, v43
	v_fmac_f32_e32 v14, v2, v94
	v_fmac_f32_e32 v17, v2, v110
	s_delay_alu instid0(VALU_DEP_3) | instskip(NEXT) | instid1(VALU_DEP_3)
	v_fmac_f32_e32 v16, v0, v42
	v_fmac_f32_e32 v14, v3, v93
	s_delay_alu instid0(VALU_DEP_1) | instskip(SKIP_3) | instid1(VALU_DEP_4)
	v_dual_fmac_f32 v16, v2, v41 :: v_dual_add_f32 v51, v51, v14
	v_mul_f32_e32 v14, v1, v60
	v_add_f32_e32 v37, v37, v13
	v_mul_f32_e32 v13, v1, v108
	v_fmac_f32_e32 v16, v3, v40
	s_delay_alu instid0(VALU_DEP_4) | instskip(NEXT) | instid1(VALU_DEP_2)
	v_fmac_f32_e32 v14, v0, v59
	v_dual_fmac_f32 v13, v0, v107 :: v_dual_add_f32 v66, v66, v16
	v_mul_f32_e32 v16, v1, v151
	s_delay_alu instid0(VALU_DEP_3) | instskip(NEXT) | instid1(VALU_DEP_3)
	v_fmac_f32_e32 v14, v2, v58
	v_fmac_f32_e32 v13, v2, v106
	s_delay_alu instid0(VALU_DEP_3) | instskip(NEXT) | instid1(VALU_DEP_3)
	v_fmac_f32_e32 v16, v0, v150
	v_fmac_f32_e32 v14, v3, v57
	s_delay_alu instid0(VALU_DEP_3) | instskip(SKIP_1) | instid1(VALU_DEP_3)
	v_fmac_f32_e32 v13, v3, v105
	v_add_f32_e32 v39, v39, v15
	v_dual_mul_f32 v15, v1, v92 :: v_dual_add_f32 v64, v64, v14
	v_mul_f32_e32 v14, v1, v167
	s_delay_alu instid0(VALU_DEP_4) | instskip(NEXT) | instid1(VALU_DEP_3)
	v_dual_add_f32 v50, v50, v13 :: v_dual_mul_f32 v13, v1, v72
	v_dual_fmac_f32 v15, v0, v91 :: v_dual_fmac_f32 v16, v2, v149
	s_delay_alu instid0(VALU_DEP_3) | instskip(NEXT) | instid1(VALU_DEP_3)
	v_fmac_f32_e32 v14, v0, v166
	v_fmac_f32_e32 v13, v0, v63
	s_delay_alu instid0(VALU_DEP_3) | instskip(NEXT) | instid1(VALU_DEP_3)
	v_dual_fmac_f32 v15, v2, v90 :: v_dual_fmac_f32 v16, v3, v148
	v_fmac_f32_e32 v14, v2, v165
	s_delay_alu instid0(VALU_DEP_2) | instskip(SKIP_1) | instid1(VALU_DEP_3)
	v_fmac_f32_e32 v15, v3, v89
	v_fmac_f32_e32 v17, v3, v109
	;; [unrolled: 1-line block ×3, first 2 shown]
	v_dual_add_f32 v71, v71, v16 :: v_dual_mul_f32 v16, v1, v101
	s_delay_alu instid0(VALU_DEP_3)
	v_dual_add_f32 v52, v52, v15 :: v_dual_add_f32 v49, v49, v17
	v_mul_f32_e32 v17, v1, v76
	v_mul_f32_e32 v15, v1, v56
	v_add_f32_e32 v69, v69, v14
	v_mul_f32_e32 v14, v1, v131
	v_fmac_f32_e32 v16, v0, v100
	v_fmac_f32_e32 v17, v0, v75
	v_fmac_f32_e32 v15, v0, v46
	s_delay_alu instid0(VALU_DEP_4) | instskip(NEXT) | instid1(VALU_DEP_4)
	v_fmac_f32_e32 v14, v0, v130
	v_fmac_f32_e32 v16, v2, v99
	s_delay_alu instid0(VALU_DEP_4) | instskip(NEXT) | instid1(VALU_DEP_4)
	v_fmac_f32_e32 v17, v2, v74
	v_fmac_f32_e32 v15, v2, v45
	;; [unrolled: 3-line block ×4, first 2 shown]
	s_delay_alu instid0(VALU_DEP_4) | instskip(NEXT) | instid1(VALU_DEP_3)
	v_fmac_f32_e32 v14, v3, v128
	v_dual_add_f32 v83, v83, v16 :: v_dual_add_f32 v54, v54, v17
	s_delay_alu instid0(VALU_DEP_3) | instskip(SKIP_1) | instid1(VALU_DEP_4)
	v_add_f32_e32 v65, v65, v15
	v_mul_f32_e32 v15, v1, v163
	v_dual_mul_f32 v17, v1, v183 :: v_dual_add_f32 v82, v82, v14
	s_delay_alu instid0(VALU_DEP_2) | instskip(NEXT) | instid1(VALU_DEP_1)
	v_fmac_f32_e32 v15, v0, v162
	v_fmac_f32_e32 v15, v2, v161
	s_delay_alu instid0(VALU_DEP_1) | instskip(NEXT) | instid1(VALU_DEP_1)
	v_fmac_f32_e32 v15, v3, v160
	v_dual_fmac_f32 v17, v0, v182 :: v_dual_add_f32 v70, v70, v15
	s_delay_alu instid0(VALU_DEP_1) | instskip(SKIP_1) | instid1(VALU_DEP_2)
	v_fmac_f32_e32 v17, v2, v181
	v_mul_f32_e32 v15, v1, v115
	v_fmac_f32_e32 v17, v3, v180
	s_delay_alu instid0(VALU_DEP_2) | instskip(NEXT) | instid1(VALU_DEP_2)
	v_fmac_f32_e32 v15, v0, v114
	v_add_f32_e32 v67, v67, v17
	v_mul_f32_e32 v17, v1, v147
	s_delay_alu instid0(VALU_DEP_3) | instskip(NEXT) | instid1(VALU_DEP_2)
	v_fmac_f32_e32 v15, v2, v113
	v_fmac_f32_e32 v17, v0, v146
	s_delay_alu instid0(VALU_DEP_2) | instskip(NEXT) | instid1(VALU_DEP_1)
	v_fmac_f32_e32 v15, v3, v103
	v_dual_fmac_f32 v17, v2, v145 :: v_dual_add_f32 v84, v84, v15
	s_delay_alu instid0(VALU_DEP_1) | instskip(NEXT) | instid1(VALU_DEP_1)
	v_fmac_f32_e32 v17, v3, v144
	v_dual_fmac_f32 v13, v2, v62 :: v_dual_add_f32 v80, v80, v17
	s_delay_alu instid0(VALU_DEP_1) | instskip(NEXT) | instid1(VALU_DEP_1)
	v_fmac_f32_e32 v13, v3, v61
	v_add_f32_e32 v55, v55, v13
	v_mul_f32_e32 v13, v1, v179
	s_delay_alu instid0(VALU_DEP_1) | instskip(NEXT) | instid1(VALU_DEP_1)
	v_fmac_f32_e32 v13, v0, v178
	v_fmac_f32_e32 v13, v2, v177
	s_delay_alu instid0(VALU_DEP_1) | instskip(NEXT) | instid1(VALU_DEP_1)
	v_fmac_f32_e32 v13, v3, v176
	v_dual_add_f32 v68, v68, v13 :: v_dual_mul_f32 v13, v1, v135
	v_mul_f32_e32 v1, v1, v12
	s_delay_alu instid0(VALU_DEP_2) | instskip(NEXT) | instid1(VALU_DEP_2)
	v_fmac_f32_e32 v13, v0, v134
	v_fmac_f32_e32 v1, v0, v8
	s_delay_alu instid0(VALU_DEP_2) | instskip(NEXT) | instid1(VALU_DEP_2)
	v_fmac_f32_e32 v13, v2, v133
	v_fmac_f32_e32 v1, v2, v5
	;; [unrolled: 3-line block ×3, first 2 shown]
	s_delay_alu instid0(VALU_DEP_2) | instskip(NEXT) | instid1(VALU_DEP_2)
	v_add_f32_e32 v81, v81, v13
	v_add_f32_e32 v28, v28, v1
.LBB239_1063:                           ;   in Loop: Header=BB239_1064 Depth=1
	s_or_b32 exec_lo, exec_lo, s12
	scratch_load_b32 v0, off, s32 offset:344 ; 4-byte Folded Reload
	v_add_nc_u32_e32 v112, 4, v112
	v_add_co_u32 v10, s0, v10, 16
	s_delay_alu instid0(VALU_DEP_1)
	v_add_co_ci_u32_e64 v11, s0, 0, v11, s0
	v_add_nc_u32_e32 v47, 64, v47
	v_add_nc_u32_e32 v30, 0x100, v30
	s_waitcnt vmcnt(0)
	v_cmp_ge_i32_e32 vcc_lo, v112, v0
	s_or_b32 s5, vcc_lo, s5
	s_delay_alu instid0(SALU_CYCLE_1)
	s_and_not1_b32 exec_lo, exec_lo, s5
	s_cbranch_execz .LBB239_2153
.LBB239_1064:                           ; =>This Inner Loop Header: Depth=1
	s_clause 0x2
	scratch_load_b32 v1, off, s32 offset:348
	scratch_load_b32 v5, off, s32 offset:340
	;; [unrolled: 1-line block ×3, first 2 shown]
	v_sub_nc_u32_e32 v0, 0, v47
	s_delay_alu instid0(VALU_DEP_1) | instskip(SKIP_1) | instid1(VALU_DEP_1)
	v_max_i32_e32 v0, v47, v0
	s_waitcnt vmcnt(2)
	v_mul_hi_u32 v1, v0, v1
	s_waitcnt vmcnt(0)
	s_delay_alu instid0(VALU_DEP_1) | instskip(NEXT) | instid1(VALU_DEP_1)
	v_mul_lo_u32 v2, v1, v4
	v_sub_nc_u32_e32 v0, v0, v2
	v_add_nc_u32_e32 v2, 1, v1
	s_delay_alu instid0(VALU_DEP_2) | instskip(SKIP_1) | instid1(VALU_DEP_2)
	v_sub_nc_u32_e32 v3, v0, v4
	v_cmp_ge_u32_e32 vcc_lo, v0, v4
	v_dual_cndmask_b32 v1, v1, v2 :: v_dual_cndmask_b32 v0, v0, v3
	v_ashrrev_i32_e32 v2, 31, v47
	s_delay_alu instid0(VALU_DEP_2) | instskip(NEXT) | instid1(VALU_DEP_3)
	v_add_nc_u32_e32 v3, 1, v1
	v_cmp_ge_u32_e32 vcc_lo, v0, v4
	s_delay_alu instid0(VALU_DEP_3) | instskip(NEXT) | instid1(VALU_DEP_3)
	v_xor_b32_e32 v2, v2, v5
	v_cndmask_b32_e32 v0, v1, v3, vcc_lo
	s_delay_alu instid0(VALU_DEP_1) | instskip(NEXT) | instid1(VALU_DEP_1)
	v_xor_b32_e32 v0, v0, v2
	v_sub_nc_u32_e32 v0, v0, v2
	scratch_load_b64 v[1:2], off, s32 offset:332 ; 8-byte Folded Reload
	s_waitcnt vmcnt(0)
	v_add_nc_u32_e32 v1, v0, v1
	s_delay_alu instid0(VALU_DEP_1) | instskip(NEXT) | instid1(VALU_DEP_1)
	v_sub_nc_u32_e32 v2, 0, v1
	v_max_i32_e32 v2, v1, v2
	s_delay_alu instid0(VALU_DEP_1) | instskip(NEXT) | instid1(VALU_DEP_1)
	v_mul_hi_u32 v3, v2, v97
	v_mul_lo_u32 v3, v3, v20
	s_delay_alu instid0(VALU_DEP_1) | instskip(NEXT) | instid1(VALU_DEP_1)
	v_sub_nc_u32_e32 v2, v2, v3
	v_sub_nc_u32_e32 v3, v2, v20
	v_cmp_ge_u32_e32 vcc_lo, v2, v20
	s_delay_alu instid0(VALU_DEP_2) | instskip(SKIP_1) | instid1(VALU_DEP_2)
	v_cndmask_b32_e32 v2, v2, v3, vcc_lo
	v_ashrrev_i32_e32 v1, 31, v1
	v_sub_nc_u32_e32 v3, v2, v20
	v_cmp_ge_u32_e32 vcc_lo, v2, v20
	s_delay_alu instid0(VALU_DEP_2) | instskip(NEXT) | instid1(VALU_DEP_1)
	v_cndmask_b32_e32 v2, v2, v3, vcc_lo
	v_xor_b32_e32 v2, v2, v1
	s_delay_alu instid0(VALU_DEP_1) | instskip(NEXT) | instid1(VALU_DEP_1)
	v_sub_nc_u32_e32 v1, v2, v1
	v_cmp_eq_u32_e32 vcc_lo, 0, v1
	scratch_load_b32 v1, off, s32 offset:352 ; 4-byte Folded Reload
	s_waitcnt vmcnt(0)
	v_cmp_gt_i32_e64 s0, v0, v1
	s_delay_alu instid0(VALU_DEP_1) | instskip(NEXT) | instid1(SALU_CYCLE_1)
	s_or_b32 s0, vcc_lo, s0
	s_and_saveexec_b32 s12, s0
	s_cbranch_execz .LBB239_1063
; %bb.1065:                             ;   in Loop: Header=BB239_1064 Depth=1
	flat_load_b32 v0, v[10:11]
	scratch_load_b32 v1, off, s32 offset:676 ; 4-byte Folded Reload
	v_mov_b32_e32 v16, 0
	s_mov_b32 s0, exec_lo
	s_waitcnt vmcnt(0) lgkmcnt(0)
	v_mad_i64_i32 v[12:13], null, v0, v1, v[6:7]
	scratch_load_b32 v0, off, s32 offset:364 ; 4-byte Folded Reload
	s_waitcnt vmcnt(0)
	v_add_co_u32 v14, vcc_lo, v12, v0
	v_add_co_ci_u32_e32 v15, vcc_lo, 0, v13, vcc_lo
	flat_load_b32 v23, v[14:15]
	scratch_load_b64 v[0:1], off, s32 offset:888 ; 8-byte Folded Reload
	s_waitcnt vmcnt(1) lgkmcnt(0)
	v_dual_mov_b32 v17, 0 :: v_dual_and_b32 v8, 0xff, v23
	s_waitcnt vmcnt(0)
	flat_load_b32 v102, v[0:1]
	ds_load_b128 v[0:3], v30
	v_dual_mov_b32 v4, v16 :: v_dual_mov_b32 v5, v17
	v_cmpx_ne_u16_e32 0, v8
	s_cbranch_execz .LBB239_1073
; %bb.1066:                             ;   in Loop: Header=BB239_1064 Depth=1
	v_bfrev_b32_e32 v4, 1
	v_mov_b32_e32 v5, 0
	s_mov_b32 s10, exec_lo
	v_cmpx_ne_u16_e32 0x80, v8
	s_cbranch_execz .LBB239_1072
; %bb.1067:                             ;   in Loop: Header=BB239_1064 Depth=1
	v_mov_b32_e32 v4, 0x7f800001
	v_dual_mov_b32 v5, 0 :: v_dual_and_b32 v18, 0x7f, v23
	s_mov_b32 s13, exec_lo
	s_delay_alu instid0(VALU_DEP_1)
	v_cmpx_ne_u32_e32 0x7f, v18
	s_cbranch_execz .LBB239_1071
; %bb.1068:                             ;   in Loop: Header=BB239_1064 Depth=1
	v_and_b32_e32 v8, 7, v23
	v_lshrrev_b32_e32 v4, 3, v18
	s_mov_b32 s15, exec_lo
	v_cmpx_gt_u32_e32 8, v18
; %bb.1069:                             ;   in Loop: Header=BB239_1064 Depth=1
	s_delay_alu instid0(VALU_DEP_3) | instskip(NEXT) | instid1(VALU_DEP_1)
	v_clz_i32_u32_e32 v4, v8
	v_min_u32_e32 v4, 32, v4
	s_delay_alu instid0(VALU_DEP_1) | instskip(SKIP_1) | instid1(VALU_DEP_2)
	v_subrev_nc_u32_e32 v5, 28, v4
	v_sub_nc_u32_e32 v4, 29, v4
	v_lshlrev_b64 v[18:19], v5, v[8:9]
	s_delay_alu instid0(VALU_DEP_1)
	v_and_b32_e32 v8, 7, v18
; %bb.1070:                             ;   in Loop: Header=BB239_1064 Depth=1
	s_or_b32 exec_lo, exec_lo, s15
	v_lshlrev_b32_e32 v5, 24, v23
	s_delay_alu instid0(VALU_DEP_2) | instskip(SKIP_1) | instid1(VALU_DEP_3)
	v_lshlrev_b32_e32 v8, 20, v8
	v_lshl_add_u32 v4, v4, 23, 0x3c000000
	v_and_b32_e32 v5, 0x80000000, v5
	s_delay_alu instid0(VALU_DEP_1) | instskip(NEXT) | instid1(VALU_DEP_1)
	v_or3_b32 v8, v8, v5, v4
	v_dual_mov_b32 v4, v8 :: v_dual_mov_b32 v5, v9
.LBB239_1071:                           ;   in Loop: Header=BB239_1064 Depth=1
	s_or_b32 exec_lo, exec_lo, s13
.LBB239_1072:                           ;   in Loop: Header=BB239_1064 Depth=1
	s_delay_alu instid0(SALU_CYCLE_1)
	s_or_b32 exec_lo, exec_lo, s10
.LBB239_1073:                           ;   in Loop: Header=BB239_1064 Depth=1
	s_delay_alu instid0(SALU_CYCLE_1) | instskip(SKIP_2) | instid1(VALU_DEP_1)
	s_or_b32 exec_lo, exec_lo, s0
	v_lshrrev_b16 v8, 8, v23
	s_mov_b32 s0, exec_lo
	v_cmpx_ne_u16_e32 0, v8
	s_cbranch_execz .LBB239_1081
; %bb.1074:                             ;   in Loop: Header=BB239_1064 Depth=1
	v_dual_mov_b32 v17, s9 :: v_dual_mov_b32 v16, s8
	s_mov_b32 s13, exec_lo
	v_cmpx_ne_u16_e32 0x80, v8
	s_cbranch_execz .LBB239_1080
; %bb.1075:                             ;   in Loop: Header=BB239_1064 Depth=1
	s_mov_b32 s10, s8
	v_dual_mov_b32 v17, s11 :: v_dual_and_b32 v8, 0xffff, v8
	v_mov_b32_e32 v16, s10
	s_mov_b32 s10, exec_lo
	s_delay_alu instid0(VALU_DEP_2) | instskip(NEXT) | instid1(VALU_DEP_1)
	v_and_b32_e32 v18, 0x7f, v8
	v_cmpx_ne_u32_e32 0x7f, v18
	s_cbranch_execz .LBB239_1079
; %bb.1076:                             ;   in Loop: Header=BB239_1064 Depth=1
	v_and_b32_e32 v8, 7, v8
	v_lshrrev_b32_e32 v16, 3, v18
	s_mov_b32 s15, exec_lo
	v_cmpx_gt_u32_e32 8, v18
; %bb.1077:                             ;   in Loop: Header=BB239_1064 Depth=1
	s_delay_alu instid0(VALU_DEP_3) | instskip(NEXT) | instid1(VALU_DEP_1)
	v_clz_i32_u32_e32 v16, v8
	v_min_u32_e32 v16, 32, v16
	s_delay_alu instid0(VALU_DEP_1) | instskip(SKIP_1) | instid1(VALU_DEP_2)
	v_subrev_nc_u32_e32 v17, 28, v16
	v_sub_nc_u32_e32 v16, 29, v16
	v_lshlrev_b64 v[17:18], v17, v[8:9]
	s_delay_alu instid0(VALU_DEP_1)
	v_and_b32_e32 v8, 7, v17
; %bb.1078:                             ;   in Loop: Header=BB239_1064 Depth=1
	s_or_b32 exec_lo, exec_lo, s15
	v_lshlrev_b32_e32 v17, 16, v23
	s_delay_alu instid0(VALU_DEP_2) | instskip(SKIP_1) | instid1(VALU_DEP_3)
	v_lshlrev_b32_e32 v8, 20, v8
	v_lshl_add_u32 v16, v16, 23, 0x3c000000
	v_and_b32_e32 v17, 0x80000000, v17
	s_delay_alu instid0(VALU_DEP_1)
	v_or3_b32 v17, v8, v17, v16
	v_mov_b32_e32 v16, v9
.LBB239_1079:                           ;   in Loop: Header=BB239_1064 Depth=1
	s_or_b32 exec_lo, exec_lo, s10
.LBB239_1080:                           ;   in Loop: Header=BB239_1064 Depth=1
	s_delay_alu instid0(SALU_CYCLE_1)
	s_or_b32 exec_lo, exec_lo, s13
.LBB239_1081:                           ;   in Loop: Header=BB239_1064 Depth=1
	s_delay_alu instid0(SALU_CYCLE_1) | instskip(SKIP_3) | instid1(VALU_DEP_2)
	s_or_b32 exec_lo, exec_lo, s0
	v_lshrrev_b32_e32 v27, 16, v23
	v_mov_b32_e32 v21, 0
	v_mov_b32_e32 v22, 0
	;; [unrolled: 1-line block ×3, first 2 shown]
	s_mov_b32 s0, exec_lo
	s_delay_alu instid0(VALU_DEP_2) | instskip(NEXT) | instid1(VALU_DEP_1)
	v_dual_mov_b32 v19, v22 :: v_dual_and_b32 v8, 0xff, v27
	v_cmpx_ne_u16_e32 0, v8
	s_cbranch_execz .LBB239_1089
; %bb.1082:                             ;   in Loop: Header=BB239_1064 Depth=1
	v_bfrev_b32_e32 v18, 1
	v_mov_b32_e32 v19, 0
	s_mov_b32 s10, exec_lo
	v_cmpx_ne_u16_e32 0x80, v8
	s_cbranch_execz .LBB239_1088
; %bb.1083:                             ;   in Loop: Header=BB239_1064 Depth=1
	v_mov_b32_e32 v18, 0x7f800001
	v_bfe_u32 v85, v23, 16, 7
	v_mov_b32_e32 v19, 0
	s_mov_b32 s13, exec_lo
	s_delay_alu instid0(VALU_DEP_2)
	v_cmpx_ne_u32_e32 0x7f, v85
	s_cbranch_execz .LBB239_1087
; %bb.1084:                             ;   in Loop: Header=BB239_1064 Depth=1
	v_and_b32_e32 v8, 7, v27
	v_lshrrev_b32_e32 v18, 3, v85
	s_mov_b32 s15, exec_lo
	v_cmpx_gt_u32_e32 8, v85
; %bb.1085:                             ;   in Loop: Header=BB239_1064 Depth=1
	s_delay_alu instid0(VALU_DEP_3) | instskip(NEXT) | instid1(VALU_DEP_1)
	v_clz_i32_u32_e32 v18, v8
	v_min_u32_e32 v18, 32, v18
	s_delay_alu instid0(VALU_DEP_1) | instskip(SKIP_1) | instid1(VALU_DEP_2)
	v_subrev_nc_u32_e32 v19, 28, v18
	v_sub_nc_u32_e32 v18, 29, v18
	v_lshlrev_b64 v[85:86], v19, v[8:9]
	s_delay_alu instid0(VALU_DEP_1)
	v_and_b32_e32 v8, 7, v85
; %bb.1086:                             ;   in Loop: Header=BB239_1064 Depth=1
	s_or_b32 exec_lo, exec_lo, s15
	v_lshlrev_b32_e32 v19, 24, v27
	s_delay_alu instid0(VALU_DEP_2) | instskip(SKIP_1) | instid1(VALU_DEP_3)
	v_lshlrev_b32_e32 v8, 20, v8
	v_lshl_add_u32 v18, v18, 23, 0x3c000000
	v_and_b32_e32 v19, 0x80000000, v19
	s_delay_alu instid0(VALU_DEP_1) | instskip(NEXT) | instid1(VALU_DEP_1)
	v_or3_b32 v8, v8, v19, v18
	v_dual_mov_b32 v19, v9 :: v_dual_mov_b32 v18, v8
.LBB239_1087:                           ;   in Loop: Header=BB239_1064 Depth=1
	s_or_b32 exec_lo, exec_lo, s13
.LBB239_1088:                           ;   in Loop: Header=BB239_1064 Depth=1
	s_delay_alu instid0(SALU_CYCLE_1)
	s_or_b32 exec_lo, exec_lo, s10
.LBB239_1089:                           ;   in Loop: Header=BB239_1064 Depth=1
	s_delay_alu instid0(SALU_CYCLE_1) | instskip(NEXT) | instid1(SALU_CYCLE_1)
	s_or_b32 exec_lo, exec_lo, s0
	s_mov_b32 s0, exec_lo
	v_cmpx_lt_u32_e32 0xffffff, v23
	s_cbranch_execz .LBB239_1097
; %bb.1090:                             ;   in Loop: Header=BB239_1064 Depth=1
	v_lshrrev_b32_e32 v27, 24, v23
	v_dual_mov_b32 v22, s9 :: v_dual_mov_b32 v21, s8
	s_mov_b32 s13, exec_lo
	s_delay_alu instid0(VALU_DEP_2)
	v_cmpx_ne_u32_e32 0x80, v27
	s_cbranch_execz .LBB239_1096
; %bb.1091:                             ;   in Loop: Header=BB239_1064 Depth=1
	s_mov_b32 s10, s8
	v_bfe_u32 v23, v23, 24, 7
	v_dual_mov_b32 v22, s11 :: v_dual_mov_b32 v21, s10
	s_mov_b32 s10, exec_lo
	s_delay_alu instid0(VALU_DEP_2)
	v_cmpx_ne_u32_e32 0x7f, v23
	s_cbranch_execz .LBB239_1095
; %bb.1092:                             ;   in Loop: Header=BB239_1064 Depth=1
	v_and_b32_e32 v8, 7, v27
	v_lshrrev_b32_e32 v21, 3, v23
	s_mov_b32 s15, exec_lo
	v_cmpx_gt_u32_e32 8, v23
; %bb.1093:                             ;   in Loop: Header=BB239_1064 Depth=1
	s_delay_alu instid0(VALU_DEP_3) | instskip(NEXT) | instid1(VALU_DEP_1)
	v_clz_i32_u32_e32 v21, v8
	v_min_u32_e32 v21, 32, v21
	s_delay_alu instid0(VALU_DEP_1) | instskip(SKIP_1) | instid1(VALU_DEP_2)
	v_subrev_nc_u32_e32 v22, 28, v21
	v_sub_nc_u32_e32 v21, 29, v21
	v_lshlrev_b64 v[22:23], v22, v[8:9]
	s_delay_alu instid0(VALU_DEP_1)
	v_and_b32_e32 v8, 7, v22
; %bb.1094:                             ;   in Loop: Header=BB239_1064 Depth=1
	s_or_b32 exec_lo, exec_lo, s15
	v_lshlrev_b32_e32 v22, 24, v27
	s_delay_alu instid0(VALU_DEP_2) | instskip(SKIP_1) | instid1(VALU_DEP_3)
	v_lshlrev_b32_e32 v8, 20, v8
	v_lshl_add_u32 v21, v21, 23, 0x3c000000
	v_and_b32_e32 v22, 0x80000000, v22
	s_delay_alu instid0(VALU_DEP_1)
	v_or3_b32 v22, v8, v22, v21
	v_mov_b32_e32 v21, v9
.LBB239_1095:                           ;   in Loop: Header=BB239_1064 Depth=1
	s_or_b32 exec_lo, exec_lo, s10
.LBB239_1096:                           ;   in Loop: Header=BB239_1064 Depth=1
	s_delay_alu instid0(SALU_CYCLE_1)
	s_or_b32 exec_lo, exec_lo, s13
.LBB239_1097:                           ;   in Loop: Header=BB239_1064 Depth=1
	s_delay_alu instid0(SALU_CYCLE_1)
	s_or_b32 exec_lo, exec_lo, s0
	v_or_b32_e32 v5, v17, v5
	scratch_load_b32 v17, off, s32 offset:356 ; 4-byte Folded Reload
	v_add_nc_u32_e32 v116, v87, v47
	v_or_b32_e32 v4, v16, v4
	v_or_b32_e32 v8, v22, v19
	s_waitcnt vmcnt(1) lgkmcnt(1)
	v_mul_f32_e32 v101, v102, v5
	v_or_b32_e32 v16, v21, v18
	v_add_nc_u32_e32 v119, 1, v116
	v_mul_f32_e32 v100, v102, v4
	v_mul_f32_e32 v98, v102, v8
	v_add_nc_u32_e32 v118, 2, v116
	v_mul_f32_e32 v99, v102, v16
	v_add_nc_u32_e32 v117, 3, v116
	s_waitcnt vmcnt(0)
	v_cmp_eq_u32_e32 vcc_lo, v17, v112
	s_and_saveexec_b32 s10, vcc_lo
; %bb.1098:                             ;   in Loop: Header=BB239_1064 Depth=1
	v_cmp_lt_i32_e64 s0, v116, v25
	s_delay_alu instid0(VALU_DEP_1) | instskip(SKIP_1) | instid1(VALU_DEP_1)
	v_cndmask_b32_e64 v100, 0, v100, s0
	v_cmp_lt_i32_e64 s0, v119, v25
	v_cndmask_b32_e64 v101, 0, v101, s0
	v_cmp_lt_i32_e64 s0, v118, v25
	s_delay_alu instid0(VALU_DEP_1) | instskip(SKIP_1) | instid1(VALU_DEP_1)
	v_cndmask_b32_e64 v99, 0, v99, s0
	v_cmp_lt_i32_e64 s0, v117, v25
	v_cndmask_b32_e64 v98, 0, v98, s0
; %bb.1099:                             ;   in Loop: Header=BB239_1064 Depth=1
	s_or_b32 exec_lo, exec_lo, s10
	flat_load_b32 v23, v[14:15] offset:128
	v_mov_b32_e32 v16, 0
	v_mov_b32_e32 v17, 0
	s_mov_b32 s10, exec_lo
	s_waitcnt vmcnt(0) lgkmcnt(0)
	v_and_b32_e32 v8, 0xff, v23
	s_delay_alu instid0(VALU_DEP_2) | instskip(NEXT) | instid1(VALU_DEP_2)
	v_dual_mov_b32 v4, v16 :: v_dual_mov_b32 v5, v17
	v_cmpx_ne_u16_e32 0, v8
	s_cbranch_execz .LBB239_1107
; %bb.1100:                             ;   in Loop: Header=BB239_1064 Depth=1
	v_bfrev_b32_e32 v4, 1
	v_mov_b32_e32 v5, 0
	s_mov_b32 s13, exec_lo
	v_cmpx_ne_u16_e32 0x80, v8
	s_cbranch_execz .LBB239_1106
; %bb.1101:                             ;   in Loop: Header=BB239_1064 Depth=1
	v_mov_b32_e32 v4, 0x7f800001
	v_dual_mov_b32 v5, 0 :: v_dual_and_b32 v18, 0x7f, v23
	s_mov_b32 s15, exec_lo
	s_delay_alu instid0(VALU_DEP_1)
	v_cmpx_ne_u32_e32 0x7f, v18
	s_cbranch_execz .LBB239_1105
; %bb.1102:                             ;   in Loop: Header=BB239_1064 Depth=1
	v_and_b32_e32 v8, 7, v23
	v_lshrrev_b32_e32 v4, 3, v18
	s_mov_b32 s16, exec_lo
	v_cmpx_gt_u32_e32 8, v18
; %bb.1103:                             ;   in Loop: Header=BB239_1064 Depth=1
	s_delay_alu instid0(VALU_DEP_3) | instskip(NEXT) | instid1(VALU_DEP_1)
	v_clz_i32_u32_e32 v4, v8
	v_min_u32_e32 v4, 32, v4
	s_delay_alu instid0(VALU_DEP_1) | instskip(SKIP_1) | instid1(VALU_DEP_2)
	v_subrev_nc_u32_e32 v5, 28, v4
	v_sub_nc_u32_e32 v4, 29, v4
	v_lshlrev_b64 v[18:19], v5, v[8:9]
	s_delay_alu instid0(VALU_DEP_1)
	v_and_b32_e32 v8, 7, v18
; %bb.1104:                             ;   in Loop: Header=BB239_1064 Depth=1
	s_or_b32 exec_lo, exec_lo, s16
	v_lshlrev_b32_e32 v5, 24, v23
	s_delay_alu instid0(VALU_DEP_2) | instskip(SKIP_1) | instid1(VALU_DEP_3)
	v_lshlrev_b32_e32 v8, 20, v8
	v_lshl_add_u32 v4, v4, 23, 0x3c000000
	v_and_b32_e32 v5, 0x80000000, v5
	s_delay_alu instid0(VALU_DEP_1) | instskip(NEXT) | instid1(VALU_DEP_1)
	v_or3_b32 v8, v8, v5, v4
	v_dual_mov_b32 v4, v8 :: v_dual_mov_b32 v5, v9
.LBB239_1105:                           ;   in Loop: Header=BB239_1064 Depth=1
	s_or_b32 exec_lo, exec_lo, s15
.LBB239_1106:                           ;   in Loop: Header=BB239_1064 Depth=1
	s_delay_alu instid0(SALU_CYCLE_1)
	s_or_b32 exec_lo, exec_lo, s13
.LBB239_1107:                           ;   in Loop: Header=BB239_1064 Depth=1
	s_delay_alu instid0(SALU_CYCLE_1) | instskip(SKIP_2) | instid1(VALU_DEP_1)
	s_or_b32 exec_lo, exec_lo, s10
	v_lshrrev_b16 v8, 8, v23
	s_mov_b32 s13, exec_lo
	v_cmpx_ne_u16_e32 0, v8
	s_cbranch_execz .LBB239_1115
; %bb.1108:                             ;   in Loop: Header=BB239_1064 Depth=1
	v_dual_mov_b32 v17, s9 :: v_dual_mov_b32 v16, s8
	s_mov_b32 s15, exec_lo
	v_cmpx_ne_u16_e32 0x80, v8
	s_cbranch_execz .LBB239_1114
; %bb.1109:                             ;   in Loop: Header=BB239_1064 Depth=1
	s_mov_b32 s10, s8
	v_dual_mov_b32 v17, s11 :: v_dual_and_b32 v8, 0xffff, v8
	v_mov_b32_e32 v16, s10
	s_mov_b32 s10, exec_lo
	s_delay_alu instid0(VALU_DEP_2) | instskip(NEXT) | instid1(VALU_DEP_1)
	v_and_b32_e32 v18, 0x7f, v8
	v_cmpx_ne_u32_e32 0x7f, v18
	s_cbranch_execz .LBB239_1113
; %bb.1110:                             ;   in Loop: Header=BB239_1064 Depth=1
	v_and_b32_e32 v8, 7, v8
	v_lshrrev_b32_e32 v16, 3, v18
	s_mov_b32 s16, exec_lo
	v_cmpx_gt_u32_e32 8, v18
; %bb.1111:                             ;   in Loop: Header=BB239_1064 Depth=1
	s_delay_alu instid0(VALU_DEP_3) | instskip(NEXT) | instid1(VALU_DEP_1)
	v_clz_i32_u32_e32 v16, v8
	v_min_u32_e32 v16, 32, v16
	s_delay_alu instid0(VALU_DEP_1) | instskip(SKIP_1) | instid1(VALU_DEP_2)
	v_subrev_nc_u32_e32 v17, 28, v16
	v_sub_nc_u32_e32 v16, 29, v16
	v_lshlrev_b64 v[17:18], v17, v[8:9]
	s_delay_alu instid0(VALU_DEP_1)
	v_and_b32_e32 v8, 7, v17
; %bb.1112:                             ;   in Loop: Header=BB239_1064 Depth=1
	s_or_b32 exec_lo, exec_lo, s16
	v_lshlrev_b32_e32 v17, 16, v23
	s_delay_alu instid0(VALU_DEP_2) | instskip(SKIP_1) | instid1(VALU_DEP_3)
	v_lshlrev_b32_e32 v8, 20, v8
	v_lshl_add_u32 v16, v16, 23, 0x3c000000
	v_and_b32_e32 v17, 0x80000000, v17
	s_delay_alu instid0(VALU_DEP_1)
	v_or3_b32 v17, v8, v17, v16
	v_mov_b32_e32 v16, v9
.LBB239_1113:                           ;   in Loop: Header=BB239_1064 Depth=1
	s_or_b32 exec_lo, exec_lo, s10
.LBB239_1114:                           ;   in Loop: Header=BB239_1064 Depth=1
	s_delay_alu instid0(SALU_CYCLE_1)
	s_or_b32 exec_lo, exec_lo, s15
.LBB239_1115:                           ;   in Loop: Header=BB239_1064 Depth=1
	s_delay_alu instid0(SALU_CYCLE_1) | instskip(SKIP_3) | instid1(VALU_DEP_2)
	s_or_b32 exec_lo, exec_lo, s13
	v_lshrrev_b32_e32 v27, 16, v23
	v_mov_b32_e32 v21, 0
	v_mov_b32_e32 v22, 0
	;; [unrolled: 1-line block ×3, first 2 shown]
	s_mov_b32 s10, exec_lo
	s_delay_alu instid0(VALU_DEP_2) | instskip(NEXT) | instid1(VALU_DEP_1)
	v_dual_mov_b32 v19, v22 :: v_dual_and_b32 v8, 0xff, v27
	v_cmpx_ne_u16_e32 0, v8
	s_cbranch_execz .LBB239_1123
; %bb.1116:                             ;   in Loop: Header=BB239_1064 Depth=1
	v_bfrev_b32_e32 v18, 1
	v_mov_b32_e32 v19, 0
	s_mov_b32 s13, exec_lo
	v_cmpx_ne_u16_e32 0x80, v8
	s_cbranch_execz .LBB239_1122
; %bb.1117:                             ;   in Loop: Header=BB239_1064 Depth=1
	v_mov_b32_e32 v18, 0x7f800001
	v_bfe_u32 v85, v23, 16, 7
	v_mov_b32_e32 v19, 0
	s_mov_b32 s15, exec_lo
	s_delay_alu instid0(VALU_DEP_2)
	v_cmpx_ne_u32_e32 0x7f, v85
	s_cbranch_execz .LBB239_1121
; %bb.1118:                             ;   in Loop: Header=BB239_1064 Depth=1
	v_and_b32_e32 v8, 7, v27
	v_lshrrev_b32_e32 v18, 3, v85
	s_mov_b32 s16, exec_lo
	v_cmpx_gt_u32_e32 8, v85
; %bb.1119:                             ;   in Loop: Header=BB239_1064 Depth=1
	s_delay_alu instid0(VALU_DEP_3) | instskip(NEXT) | instid1(VALU_DEP_1)
	v_clz_i32_u32_e32 v18, v8
	v_min_u32_e32 v18, 32, v18
	s_delay_alu instid0(VALU_DEP_1) | instskip(SKIP_1) | instid1(VALU_DEP_2)
	v_subrev_nc_u32_e32 v19, 28, v18
	v_sub_nc_u32_e32 v18, 29, v18
	v_lshlrev_b64 v[85:86], v19, v[8:9]
	s_delay_alu instid0(VALU_DEP_1)
	v_and_b32_e32 v8, 7, v85
; %bb.1120:                             ;   in Loop: Header=BB239_1064 Depth=1
	s_or_b32 exec_lo, exec_lo, s16
	v_lshlrev_b32_e32 v19, 24, v27
	s_delay_alu instid0(VALU_DEP_2) | instskip(SKIP_1) | instid1(VALU_DEP_3)
	v_lshlrev_b32_e32 v8, 20, v8
	v_lshl_add_u32 v18, v18, 23, 0x3c000000
	v_and_b32_e32 v19, 0x80000000, v19
	s_delay_alu instid0(VALU_DEP_1) | instskip(NEXT) | instid1(VALU_DEP_1)
	v_or3_b32 v8, v8, v19, v18
	v_dual_mov_b32 v19, v9 :: v_dual_mov_b32 v18, v8
.LBB239_1121:                           ;   in Loop: Header=BB239_1064 Depth=1
	s_or_b32 exec_lo, exec_lo, s15
.LBB239_1122:                           ;   in Loop: Header=BB239_1064 Depth=1
	s_delay_alu instid0(SALU_CYCLE_1)
	s_or_b32 exec_lo, exec_lo, s13
.LBB239_1123:                           ;   in Loop: Header=BB239_1064 Depth=1
	s_delay_alu instid0(SALU_CYCLE_1) | instskip(NEXT) | instid1(SALU_CYCLE_1)
	s_or_b32 exec_lo, exec_lo, s10
	s_mov_b32 s13, exec_lo
	v_cmpx_lt_u32_e32 0xffffff, v23
	s_cbranch_execz .LBB239_1131
; %bb.1124:                             ;   in Loop: Header=BB239_1064 Depth=1
	v_lshrrev_b32_e32 v27, 24, v23
	v_dual_mov_b32 v22, s9 :: v_dual_mov_b32 v21, s8
	s_mov_b32 s15, exec_lo
	s_delay_alu instid0(VALU_DEP_2)
	v_cmpx_ne_u32_e32 0x80, v27
	s_cbranch_execz .LBB239_1130
; %bb.1125:                             ;   in Loop: Header=BB239_1064 Depth=1
	s_mov_b32 s10, s8
	v_bfe_u32 v23, v23, 24, 7
	v_dual_mov_b32 v22, s11 :: v_dual_mov_b32 v21, s10
	s_mov_b32 s10, exec_lo
	s_delay_alu instid0(VALU_DEP_2)
	v_cmpx_ne_u32_e32 0x7f, v23
	s_cbranch_execz .LBB239_1129
; %bb.1126:                             ;   in Loop: Header=BB239_1064 Depth=1
	v_and_b32_e32 v8, 7, v27
	v_lshrrev_b32_e32 v21, 3, v23
	s_mov_b32 s16, exec_lo
	v_cmpx_gt_u32_e32 8, v23
; %bb.1127:                             ;   in Loop: Header=BB239_1064 Depth=1
	s_delay_alu instid0(VALU_DEP_3) | instskip(NEXT) | instid1(VALU_DEP_1)
	v_clz_i32_u32_e32 v21, v8
	v_min_u32_e32 v21, 32, v21
	s_delay_alu instid0(VALU_DEP_1) | instskip(SKIP_1) | instid1(VALU_DEP_2)
	v_subrev_nc_u32_e32 v22, 28, v21
	v_sub_nc_u32_e32 v21, 29, v21
	v_lshlrev_b64 v[22:23], v22, v[8:9]
	s_delay_alu instid0(VALU_DEP_1)
	v_and_b32_e32 v8, 7, v22
; %bb.1128:                             ;   in Loop: Header=BB239_1064 Depth=1
	s_or_b32 exec_lo, exec_lo, s16
	v_lshlrev_b32_e32 v22, 24, v27
	s_delay_alu instid0(VALU_DEP_2) | instskip(SKIP_1) | instid1(VALU_DEP_3)
	v_lshlrev_b32_e32 v8, 20, v8
	v_lshl_add_u32 v21, v21, 23, 0x3c000000
	v_and_b32_e32 v22, 0x80000000, v22
	s_delay_alu instid0(VALU_DEP_1)
	v_or3_b32 v22, v8, v22, v21
	v_mov_b32_e32 v21, v9
.LBB239_1129:                           ;   in Loop: Header=BB239_1064 Depth=1
	s_or_b32 exec_lo, exec_lo, s10
.LBB239_1130:                           ;   in Loop: Header=BB239_1064 Depth=1
	s_delay_alu instid0(SALU_CYCLE_1)
	s_or_b32 exec_lo, exec_lo, s15
.LBB239_1131:                           ;   in Loop: Header=BB239_1064 Depth=1
	s_delay_alu instid0(SALU_CYCLE_1) | instskip(SKIP_4) | instid1(VALU_DEP_4)
	s_or_b32 exec_lo, exec_lo, s13
	v_or_b32_e32 v5, v17, v5
	v_or_b32_e32 v4, v16, v4
	;; [unrolled: 1-line block ×4, first 2 shown]
	v_mul_f32_e32 v115, v102, v5
	s_delay_alu instid0(VALU_DEP_4) | instskip(NEXT) | instid1(VALU_DEP_4)
	v_mul_f32_e32 v114, v102, v4
	v_mul_f32_e32 v103, v102, v8
	s_delay_alu instid0(VALU_DEP_4)
	v_mul_f32_e32 v113, v102, v16
	s_and_saveexec_b32 s10, vcc_lo
; %bb.1132:                             ;   in Loop: Header=BB239_1064 Depth=1
	v_cmp_lt_i32_e64 s0, v116, v25
	s_delay_alu instid0(VALU_DEP_1) | instskip(SKIP_1) | instid1(VALU_DEP_1)
	v_cndmask_b32_e64 v114, 0, v114, s0
	v_cmp_lt_i32_e64 s0, v119, v25
	v_cndmask_b32_e64 v115, 0, v115, s0
	v_cmp_lt_i32_e64 s0, v118, v25
	s_delay_alu instid0(VALU_DEP_1) | instskip(SKIP_1) | instid1(VALU_DEP_1)
	v_cndmask_b32_e64 v113, 0, v113, s0
	v_cmp_lt_i32_e64 s0, v117, v25
	v_cndmask_b32_e64 v103, 0, v103, s0
; %bb.1133:                             ;   in Loop: Header=BB239_1064 Depth=1
	s_or_b32 exec_lo, exec_lo, s10
	flat_load_b32 v23, v[14:15] offset:256
	v_mov_b32_e32 v16, 0
	v_mov_b32_e32 v17, 0
	s_mov_b32 s10, exec_lo
	s_waitcnt vmcnt(0) lgkmcnt(0)
	v_and_b32_e32 v8, 0xff, v23
	s_delay_alu instid0(VALU_DEP_2) | instskip(NEXT) | instid1(VALU_DEP_2)
	v_dual_mov_b32 v4, v16 :: v_dual_mov_b32 v5, v17
	v_cmpx_ne_u16_e32 0, v8
	s_cbranch_execz .LBB239_1141
; %bb.1134:                             ;   in Loop: Header=BB239_1064 Depth=1
	v_bfrev_b32_e32 v4, 1
	v_mov_b32_e32 v5, 0
	s_mov_b32 s13, exec_lo
	v_cmpx_ne_u16_e32 0x80, v8
	s_cbranch_execz .LBB239_1140
; %bb.1135:                             ;   in Loop: Header=BB239_1064 Depth=1
	v_mov_b32_e32 v4, 0x7f800001
	v_dual_mov_b32 v5, 0 :: v_dual_and_b32 v18, 0x7f, v23
	s_mov_b32 s15, exec_lo
	s_delay_alu instid0(VALU_DEP_1)
	v_cmpx_ne_u32_e32 0x7f, v18
	s_cbranch_execz .LBB239_1139
; %bb.1136:                             ;   in Loop: Header=BB239_1064 Depth=1
	v_and_b32_e32 v8, 7, v23
	v_lshrrev_b32_e32 v4, 3, v18
	s_mov_b32 s16, exec_lo
	v_cmpx_gt_u32_e32 8, v18
; %bb.1137:                             ;   in Loop: Header=BB239_1064 Depth=1
	s_delay_alu instid0(VALU_DEP_3) | instskip(NEXT) | instid1(VALU_DEP_1)
	v_clz_i32_u32_e32 v4, v8
	v_min_u32_e32 v4, 32, v4
	s_delay_alu instid0(VALU_DEP_1) | instskip(SKIP_1) | instid1(VALU_DEP_2)
	v_subrev_nc_u32_e32 v5, 28, v4
	v_sub_nc_u32_e32 v4, 29, v4
	v_lshlrev_b64 v[18:19], v5, v[8:9]
	s_delay_alu instid0(VALU_DEP_1)
	v_and_b32_e32 v8, 7, v18
; %bb.1138:                             ;   in Loop: Header=BB239_1064 Depth=1
	s_or_b32 exec_lo, exec_lo, s16
	v_lshlrev_b32_e32 v5, 24, v23
	s_delay_alu instid0(VALU_DEP_2) | instskip(SKIP_1) | instid1(VALU_DEP_3)
	v_lshlrev_b32_e32 v8, 20, v8
	v_lshl_add_u32 v4, v4, 23, 0x3c000000
	v_and_b32_e32 v5, 0x80000000, v5
	s_delay_alu instid0(VALU_DEP_1) | instskip(NEXT) | instid1(VALU_DEP_1)
	v_or3_b32 v8, v8, v5, v4
	v_dual_mov_b32 v4, v8 :: v_dual_mov_b32 v5, v9
.LBB239_1139:                           ;   in Loop: Header=BB239_1064 Depth=1
	s_or_b32 exec_lo, exec_lo, s15
.LBB239_1140:                           ;   in Loop: Header=BB239_1064 Depth=1
	s_delay_alu instid0(SALU_CYCLE_1)
	s_or_b32 exec_lo, exec_lo, s13
.LBB239_1141:                           ;   in Loop: Header=BB239_1064 Depth=1
	s_delay_alu instid0(SALU_CYCLE_1) | instskip(SKIP_2) | instid1(VALU_DEP_1)
	s_or_b32 exec_lo, exec_lo, s10
	v_lshrrev_b16 v8, 8, v23
	s_mov_b32 s13, exec_lo
	v_cmpx_ne_u16_e32 0, v8
	s_cbranch_execz .LBB239_1149
; %bb.1142:                             ;   in Loop: Header=BB239_1064 Depth=1
	v_dual_mov_b32 v17, s9 :: v_dual_mov_b32 v16, s8
	s_mov_b32 s15, exec_lo
	v_cmpx_ne_u16_e32 0x80, v8
	s_cbranch_execz .LBB239_1148
; %bb.1143:                             ;   in Loop: Header=BB239_1064 Depth=1
	s_mov_b32 s10, s8
	v_dual_mov_b32 v17, s11 :: v_dual_and_b32 v8, 0xffff, v8
	v_mov_b32_e32 v16, s10
	s_mov_b32 s10, exec_lo
	s_delay_alu instid0(VALU_DEP_2) | instskip(NEXT) | instid1(VALU_DEP_1)
	v_and_b32_e32 v18, 0x7f, v8
	v_cmpx_ne_u32_e32 0x7f, v18
	s_cbranch_execz .LBB239_1147
; %bb.1144:                             ;   in Loop: Header=BB239_1064 Depth=1
	v_and_b32_e32 v8, 7, v8
	v_lshrrev_b32_e32 v16, 3, v18
	s_mov_b32 s16, exec_lo
	v_cmpx_gt_u32_e32 8, v18
; %bb.1145:                             ;   in Loop: Header=BB239_1064 Depth=1
	s_delay_alu instid0(VALU_DEP_3) | instskip(NEXT) | instid1(VALU_DEP_1)
	v_clz_i32_u32_e32 v16, v8
	v_min_u32_e32 v16, 32, v16
	s_delay_alu instid0(VALU_DEP_1) | instskip(SKIP_1) | instid1(VALU_DEP_2)
	v_subrev_nc_u32_e32 v17, 28, v16
	v_sub_nc_u32_e32 v16, 29, v16
	v_lshlrev_b64 v[17:18], v17, v[8:9]
	s_delay_alu instid0(VALU_DEP_1)
	v_and_b32_e32 v8, 7, v17
; %bb.1146:                             ;   in Loop: Header=BB239_1064 Depth=1
	s_or_b32 exec_lo, exec_lo, s16
	v_lshlrev_b32_e32 v17, 16, v23
	s_delay_alu instid0(VALU_DEP_2) | instskip(SKIP_1) | instid1(VALU_DEP_3)
	v_lshlrev_b32_e32 v8, 20, v8
	v_lshl_add_u32 v16, v16, 23, 0x3c000000
	v_and_b32_e32 v17, 0x80000000, v17
	s_delay_alu instid0(VALU_DEP_1)
	v_or3_b32 v17, v8, v17, v16
	v_mov_b32_e32 v16, v9
.LBB239_1147:                           ;   in Loop: Header=BB239_1064 Depth=1
	s_or_b32 exec_lo, exec_lo, s10
.LBB239_1148:                           ;   in Loop: Header=BB239_1064 Depth=1
	s_delay_alu instid0(SALU_CYCLE_1)
	s_or_b32 exec_lo, exec_lo, s15
.LBB239_1149:                           ;   in Loop: Header=BB239_1064 Depth=1
	s_delay_alu instid0(SALU_CYCLE_1) | instskip(SKIP_3) | instid1(VALU_DEP_2)
	s_or_b32 exec_lo, exec_lo, s13
	v_lshrrev_b32_e32 v27, 16, v23
	v_mov_b32_e32 v21, 0
	v_mov_b32_e32 v22, 0
	;; [unrolled: 1-line block ×3, first 2 shown]
	s_mov_b32 s10, exec_lo
	s_delay_alu instid0(VALU_DEP_2) | instskip(NEXT) | instid1(VALU_DEP_1)
	v_dual_mov_b32 v19, v22 :: v_dual_and_b32 v8, 0xff, v27
	v_cmpx_ne_u16_e32 0, v8
	s_cbranch_execz .LBB239_1157
; %bb.1150:                             ;   in Loop: Header=BB239_1064 Depth=1
	v_bfrev_b32_e32 v18, 1
	v_mov_b32_e32 v19, 0
	s_mov_b32 s13, exec_lo
	v_cmpx_ne_u16_e32 0x80, v8
	s_cbranch_execz .LBB239_1156
; %bb.1151:                             ;   in Loop: Header=BB239_1064 Depth=1
	v_mov_b32_e32 v18, 0x7f800001
	v_bfe_u32 v85, v23, 16, 7
	v_mov_b32_e32 v19, 0
	s_mov_b32 s15, exec_lo
	s_delay_alu instid0(VALU_DEP_2)
	v_cmpx_ne_u32_e32 0x7f, v85
	s_cbranch_execz .LBB239_1155
; %bb.1152:                             ;   in Loop: Header=BB239_1064 Depth=1
	v_and_b32_e32 v8, 7, v27
	v_lshrrev_b32_e32 v18, 3, v85
	s_mov_b32 s16, exec_lo
	v_cmpx_gt_u32_e32 8, v85
; %bb.1153:                             ;   in Loop: Header=BB239_1064 Depth=1
	s_delay_alu instid0(VALU_DEP_3) | instskip(NEXT) | instid1(VALU_DEP_1)
	v_clz_i32_u32_e32 v18, v8
	v_min_u32_e32 v18, 32, v18
	s_delay_alu instid0(VALU_DEP_1) | instskip(SKIP_1) | instid1(VALU_DEP_2)
	v_subrev_nc_u32_e32 v19, 28, v18
	v_sub_nc_u32_e32 v18, 29, v18
	v_lshlrev_b64 v[85:86], v19, v[8:9]
	s_delay_alu instid0(VALU_DEP_1)
	v_and_b32_e32 v8, 7, v85
; %bb.1154:                             ;   in Loop: Header=BB239_1064 Depth=1
	s_or_b32 exec_lo, exec_lo, s16
	v_lshlrev_b32_e32 v19, 24, v27
	s_delay_alu instid0(VALU_DEP_2) | instskip(SKIP_1) | instid1(VALU_DEP_3)
	v_lshlrev_b32_e32 v8, 20, v8
	v_lshl_add_u32 v18, v18, 23, 0x3c000000
	v_and_b32_e32 v19, 0x80000000, v19
	s_delay_alu instid0(VALU_DEP_1) | instskip(NEXT) | instid1(VALU_DEP_1)
	v_or3_b32 v8, v8, v19, v18
	v_dual_mov_b32 v19, v9 :: v_dual_mov_b32 v18, v8
.LBB239_1155:                           ;   in Loop: Header=BB239_1064 Depth=1
	s_or_b32 exec_lo, exec_lo, s15
.LBB239_1156:                           ;   in Loop: Header=BB239_1064 Depth=1
	s_delay_alu instid0(SALU_CYCLE_1)
	s_or_b32 exec_lo, exec_lo, s13
.LBB239_1157:                           ;   in Loop: Header=BB239_1064 Depth=1
	s_delay_alu instid0(SALU_CYCLE_1) | instskip(NEXT) | instid1(SALU_CYCLE_1)
	s_or_b32 exec_lo, exec_lo, s10
	s_mov_b32 s13, exec_lo
	v_cmpx_lt_u32_e32 0xffffff, v23
	s_cbranch_execz .LBB239_1165
; %bb.1158:                             ;   in Loop: Header=BB239_1064 Depth=1
	v_lshrrev_b32_e32 v27, 24, v23
	v_dual_mov_b32 v22, s9 :: v_dual_mov_b32 v21, s8
	s_mov_b32 s15, exec_lo
	s_delay_alu instid0(VALU_DEP_2)
	v_cmpx_ne_u32_e32 0x80, v27
	s_cbranch_execz .LBB239_1164
; %bb.1159:                             ;   in Loop: Header=BB239_1064 Depth=1
	s_mov_b32 s10, s8
	v_bfe_u32 v23, v23, 24, 7
	v_dual_mov_b32 v22, s11 :: v_dual_mov_b32 v21, s10
	s_mov_b32 s10, exec_lo
	s_delay_alu instid0(VALU_DEP_2)
	v_cmpx_ne_u32_e32 0x7f, v23
	s_cbranch_execz .LBB239_1163
; %bb.1160:                             ;   in Loop: Header=BB239_1064 Depth=1
	v_and_b32_e32 v8, 7, v27
	v_lshrrev_b32_e32 v21, 3, v23
	s_mov_b32 s16, exec_lo
	v_cmpx_gt_u32_e32 8, v23
; %bb.1161:                             ;   in Loop: Header=BB239_1064 Depth=1
	s_delay_alu instid0(VALU_DEP_3) | instskip(NEXT) | instid1(VALU_DEP_1)
	v_clz_i32_u32_e32 v21, v8
	v_min_u32_e32 v21, 32, v21
	s_delay_alu instid0(VALU_DEP_1) | instskip(SKIP_1) | instid1(VALU_DEP_2)
	v_subrev_nc_u32_e32 v22, 28, v21
	v_sub_nc_u32_e32 v21, 29, v21
	v_lshlrev_b64 v[22:23], v22, v[8:9]
	s_delay_alu instid0(VALU_DEP_1)
	v_and_b32_e32 v8, 7, v22
; %bb.1162:                             ;   in Loop: Header=BB239_1064 Depth=1
	s_or_b32 exec_lo, exec_lo, s16
	v_lshlrev_b32_e32 v22, 24, v27
	s_delay_alu instid0(VALU_DEP_2) | instskip(SKIP_1) | instid1(VALU_DEP_3)
	v_lshlrev_b32_e32 v8, 20, v8
	v_lshl_add_u32 v21, v21, 23, 0x3c000000
	v_and_b32_e32 v22, 0x80000000, v22
	s_delay_alu instid0(VALU_DEP_1)
	v_or3_b32 v22, v8, v22, v21
	v_mov_b32_e32 v21, v9
.LBB239_1163:                           ;   in Loop: Header=BB239_1064 Depth=1
	s_or_b32 exec_lo, exec_lo, s10
.LBB239_1164:                           ;   in Loop: Header=BB239_1064 Depth=1
	s_delay_alu instid0(SALU_CYCLE_1)
	s_or_b32 exec_lo, exec_lo, s15
.LBB239_1165:                           ;   in Loop: Header=BB239_1064 Depth=1
	s_delay_alu instid0(SALU_CYCLE_1) | instskip(SKIP_4) | instid1(VALU_DEP_4)
	s_or_b32 exec_lo, exec_lo, s13
	v_or_b32_e32 v5, v17, v5
	v_or_b32_e32 v4, v16, v4
	v_or_b32_e32 v8, v22, v19
	v_or_b32_e32 v16, v21, v18
	v_mul_f32_e32 v131, v102, v5
	s_delay_alu instid0(VALU_DEP_4) | instskip(NEXT) | instid1(VALU_DEP_4)
	v_mul_f32_e32 v130, v102, v4
	v_mul_f32_e32 v128, v102, v8
	s_delay_alu instid0(VALU_DEP_4)
	v_mul_f32_e32 v129, v102, v16
	s_and_saveexec_b32 s10, vcc_lo
; %bb.1166:                             ;   in Loop: Header=BB239_1064 Depth=1
	v_cmp_lt_i32_e64 s0, v116, v25
	s_delay_alu instid0(VALU_DEP_1) | instskip(SKIP_1) | instid1(VALU_DEP_1)
	v_cndmask_b32_e64 v130, 0, v130, s0
	v_cmp_lt_i32_e64 s0, v119, v25
	v_cndmask_b32_e64 v131, 0, v131, s0
	v_cmp_lt_i32_e64 s0, v118, v25
	s_delay_alu instid0(VALU_DEP_1) | instskip(SKIP_1) | instid1(VALU_DEP_1)
	v_cndmask_b32_e64 v129, 0, v129, s0
	v_cmp_lt_i32_e64 s0, v117, v25
	v_cndmask_b32_e64 v128, 0, v128, s0
; %bb.1167:                             ;   in Loop: Header=BB239_1064 Depth=1
	s_or_b32 exec_lo, exec_lo, s10
	flat_load_b32 v23, v[14:15] offset:384
	v_mov_b32_e32 v16, 0
	v_mov_b32_e32 v17, 0
	s_mov_b32 s10, exec_lo
	s_waitcnt vmcnt(0) lgkmcnt(0)
	v_and_b32_e32 v8, 0xff, v23
	s_delay_alu instid0(VALU_DEP_2) | instskip(NEXT) | instid1(VALU_DEP_2)
	v_dual_mov_b32 v4, v16 :: v_dual_mov_b32 v5, v17
	v_cmpx_ne_u16_e32 0, v8
	s_cbranch_execz .LBB239_1175
; %bb.1168:                             ;   in Loop: Header=BB239_1064 Depth=1
	v_bfrev_b32_e32 v4, 1
	v_mov_b32_e32 v5, 0
	s_mov_b32 s13, exec_lo
	v_cmpx_ne_u16_e32 0x80, v8
	s_cbranch_execz .LBB239_1174
; %bb.1169:                             ;   in Loop: Header=BB239_1064 Depth=1
	v_mov_b32_e32 v4, 0x7f800001
	v_dual_mov_b32 v5, 0 :: v_dual_and_b32 v18, 0x7f, v23
	s_mov_b32 s15, exec_lo
	s_delay_alu instid0(VALU_DEP_1)
	v_cmpx_ne_u32_e32 0x7f, v18
	s_cbranch_execz .LBB239_1173
; %bb.1170:                             ;   in Loop: Header=BB239_1064 Depth=1
	v_and_b32_e32 v8, 7, v23
	v_lshrrev_b32_e32 v4, 3, v18
	s_mov_b32 s16, exec_lo
	v_cmpx_gt_u32_e32 8, v18
; %bb.1171:                             ;   in Loop: Header=BB239_1064 Depth=1
	s_delay_alu instid0(VALU_DEP_3) | instskip(NEXT) | instid1(VALU_DEP_1)
	v_clz_i32_u32_e32 v4, v8
	v_min_u32_e32 v4, 32, v4
	s_delay_alu instid0(VALU_DEP_1) | instskip(SKIP_1) | instid1(VALU_DEP_2)
	v_subrev_nc_u32_e32 v5, 28, v4
	v_sub_nc_u32_e32 v4, 29, v4
	v_lshlrev_b64 v[18:19], v5, v[8:9]
	s_delay_alu instid0(VALU_DEP_1)
	v_and_b32_e32 v8, 7, v18
; %bb.1172:                             ;   in Loop: Header=BB239_1064 Depth=1
	s_or_b32 exec_lo, exec_lo, s16
	v_lshlrev_b32_e32 v5, 24, v23
	s_delay_alu instid0(VALU_DEP_2) | instskip(SKIP_1) | instid1(VALU_DEP_3)
	v_lshlrev_b32_e32 v8, 20, v8
	v_lshl_add_u32 v4, v4, 23, 0x3c000000
	v_and_b32_e32 v5, 0x80000000, v5
	s_delay_alu instid0(VALU_DEP_1) | instskip(NEXT) | instid1(VALU_DEP_1)
	v_or3_b32 v8, v8, v5, v4
	v_dual_mov_b32 v4, v8 :: v_dual_mov_b32 v5, v9
.LBB239_1173:                           ;   in Loop: Header=BB239_1064 Depth=1
	s_or_b32 exec_lo, exec_lo, s15
.LBB239_1174:                           ;   in Loop: Header=BB239_1064 Depth=1
	s_delay_alu instid0(SALU_CYCLE_1)
	s_or_b32 exec_lo, exec_lo, s13
.LBB239_1175:                           ;   in Loop: Header=BB239_1064 Depth=1
	s_delay_alu instid0(SALU_CYCLE_1) | instskip(SKIP_2) | instid1(VALU_DEP_1)
	s_or_b32 exec_lo, exec_lo, s10
	v_lshrrev_b16 v8, 8, v23
	s_mov_b32 s13, exec_lo
	v_cmpx_ne_u16_e32 0, v8
	s_cbranch_execz .LBB239_1183
; %bb.1176:                             ;   in Loop: Header=BB239_1064 Depth=1
	v_dual_mov_b32 v17, s9 :: v_dual_mov_b32 v16, s8
	s_mov_b32 s15, exec_lo
	v_cmpx_ne_u16_e32 0x80, v8
	s_cbranch_execz .LBB239_1182
; %bb.1177:                             ;   in Loop: Header=BB239_1064 Depth=1
	s_mov_b32 s10, s8
	v_dual_mov_b32 v17, s11 :: v_dual_and_b32 v8, 0xffff, v8
	v_mov_b32_e32 v16, s10
	s_mov_b32 s10, exec_lo
	s_delay_alu instid0(VALU_DEP_2) | instskip(NEXT) | instid1(VALU_DEP_1)
	v_and_b32_e32 v18, 0x7f, v8
	v_cmpx_ne_u32_e32 0x7f, v18
	s_cbranch_execz .LBB239_1181
; %bb.1178:                             ;   in Loop: Header=BB239_1064 Depth=1
	v_and_b32_e32 v8, 7, v8
	v_lshrrev_b32_e32 v16, 3, v18
	s_mov_b32 s16, exec_lo
	v_cmpx_gt_u32_e32 8, v18
; %bb.1179:                             ;   in Loop: Header=BB239_1064 Depth=1
	s_delay_alu instid0(VALU_DEP_3) | instskip(NEXT) | instid1(VALU_DEP_1)
	v_clz_i32_u32_e32 v16, v8
	v_min_u32_e32 v16, 32, v16
	s_delay_alu instid0(VALU_DEP_1) | instskip(SKIP_1) | instid1(VALU_DEP_2)
	v_subrev_nc_u32_e32 v17, 28, v16
	v_sub_nc_u32_e32 v16, 29, v16
	v_lshlrev_b64 v[17:18], v17, v[8:9]
	s_delay_alu instid0(VALU_DEP_1)
	v_and_b32_e32 v8, 7, v17
; %bb.1180:                             ;   in Loop: Header=BB239_1064 Depth=1
	s_or_b32 exec_lo, exec_lo, s16
	v_lshlrev_b32_e32 v17, 16, v23
	s_delay_alu instid0(VALU_DEP_2) | instskip(SKIP_1) | instid1(VALU_DEP_3)
	v_lshlrev_b32_e32 v8, 20, v8
	v_lshl_add_u32 v16, v16, 23, 0x3c000000
	v_and_b32_e32 v17, 0x80000000, v17
	s_delay_alu instid0(VALU_DEP_1)
	v_or3_b32 v17, v8, v17, v16
	v_mov_b32_e32 v16, v9
.LBB239_1181:                           ;   in Loop: Header=BB239_1064 Depth=1
	s_or_b32 exec_lo, exec_lo, s10
.LBB239_1182:                           ;   in Loop: Header=BB239_1064 Depth=1
	s_delay_alu instid0(SALU_CYCLE_1)
	s_or_b32 exec_lo, exec_lo, s15
.LBB239_1183:                           ;   in Loop: Header=BB239_1064 Depth=1
	s_delay_alu instid0(SALU_CYCLE_1) | instskip(SKIP_3) | instid1(VALU_DEP_2)
	s_or_b32 exec_lo, exec_lo, s13
	v_lshrrev_b32_e32 v27, 16, v23
	v_mov_b32_e32 v21, 0
	v_mov_b32_e32 v22, 0
	;; [unrolled: 1-line block ×3, first 2 shown]
	s_mov_b32 s10, exec_lo
	s_delay_alu instid0(VALU_DEP_2) | instskip(NEXT) | instid1(VALU_DEP_1)
	v_dual_mov_b32 v19, v22 :: v_dual_and_b32 v8, 0xff, v27
	v_cmpx_ne_u16_e32 0, v8
	s_cbranch_execz .LBB239_1191
; %bb.1184:                             ;   in Loop: Header=BB239_1064 Depth=1
	v_bfrev_b32_e32 v18, 1
	v_mov_b32_e32 v19, 0
	s_mov_b32 s13, exec_lo
	v_cmpx_ne_u16_e32 0x80, v8
	s_cbranch_execz .LBB239_1190
; %bb.1185:                             ;   in Loop: Header=BB239_1064 Depth=1
	v_mov_b32_e32 v18, 0x7f800001
	v_bfe_u32 v85, v23, 16, 7
	v_mov_b32_e32 v19, 0
	s_mov_b32 s15, exec_lo
	s_delay_alu instid0(VALU_DEP_2)
	v_cmpx_ne_u32_e32 0x7f, v85
	s_cbranch_execz .LBB239_1189
; %bb.1186:                             ;   in Loop: Header=BB239_1064 Depth=1
	v_and_b32_e32 v8, 7, v27
	v_lshrrev_b32_e32 v18, 3, v85
	s_mov_b32 s16, exec_lo
	v_cmpx_gt_u32_e32 8, v85
; %bb.1187:                             ;   in Loop: Header=BB239_1064 Depth=1
	s_delay_alu instid0(VALU_DEP_3) | instskip(NEXT) | instid1(VALU_DEP_1)
	v_clz_i32_u32_e32 v18, v8
	v_min_u32_e32 v18, 32, v18
	s_delay_alu instid0(VALU_DEP_1) | instskip(SKIP_1) | instid1(VALU_DEP_2)
	v_subrev_nc_u32_e32 v19, 28, v18
	v_sub_nc_u32_e32 v18, 29, v18
	v_lshlrev_b64 v[85:86], v19, v[8:9]
	s_delay_alu instid0(VALU_DEP_1)
	v_and_b32_e32 v8, 7, v85
; %bb.1188:                             ;   in Loop: Header=BB239_1064 Depth=1
	s_or_b32 exec_lo, exec_lo, s16
	v_lshlrev_b32_e32 v19, 24, v27
	s_delay_alu instid0(VALU_DEP_2) | instskip(SKIP_1) | instid1(VALU_DEP_3)
	v_lshlrev_b32_e32 v8, 20, v8
	v_lshl_add_u32 v18, v18, 23, 0x3c000000
	v_and_b32_e32 v19, 0x80000000, v19
	s_delay_alu instid0(VALU_DEP_1) | instskip(NEXT) | instid1(VALU_DEP_1)
	v_or3_b32 v8, v8, v19, v18
	v_dual_mov_b32 v19, v9 :: v_dual_mov_b32 v18, v8
.LBB239_1189:                           ;   in Loop: Header=BB239_1064 Depth=1
	s_or_b32 exec_lo, exec_lo, s15
.LBB239_1190:                           ;   in Loop: Header=BB239_1064 Depth=1
	s_delay_alu instid0(SALU_CYCLE_1)
	s_or_b32 exec_lo, exec_lo, s13
.LBB239_1191:                           ;   in Loop: Header=BB239_1064 Depth=1
	s_delay_alu instid0(SALU_CYCLE_1) | instskip(NEXT) | instid1(SALU_CYCLE_1)
	s_or_b32 exec_lo, exec_lo, s10
	s_mov_b32 s13, exec_lo
	v_cmpx_lt_u32_e32 0xffffff, v23
	s_cbranch_execz .LBB239_1199
; %bb.1192:                             ;   in Loop: Header=BB239_1064 Depth=1
	v_lshrrev_b32_e32 v27, 24, v23
	v_dual_mov_b32 v22, s9 :: v_dual_mov_b32 v21, s8
	s_mov_b32 s15, exec_lo
	s_delay_alu instid0(VALU_DEP_2)
	v_cmpx_ne_u32_e32 0x80, v27
	s_cbranch_execz .LBB239_1198
; %bb.1193:                             ;   in Loop: Header=BB239_1064 Depth=1
	s_mov_b32 s10, s8
	v_bfe_u32 v23, v23, 24, 7
	v_dual_mov_b32 v22, s11 :: v_dual_mov_b32 v21, s10
	s_mov_b32 s10, exec_lo
	s_delay_alu instid0(VALU_DEP_2)
	v_cmpx_ne_u32_e32 0x7f, v23
	s_cbranch_execz .LBB239_1197
; %bb.1194:                             ;   in Loop: Header=BB239_1064 Depth=1
	v_and_b32_e32 v8, 7, v27
	v_lshrrev_b32_e32 v21, 3, v23
	s_mov_b32 s16, exec_lo
	v_cmpx_gt_u32_e32 8, v23
; %bb.1195:                             ;   in Loop: Header=BB239_1064 Depth=1
	s_delay_alu instid0(VALU_DEP_3) | instskip(NEXT) | instid1(VALU_DEP_1)
	v_clz_i32_u32_e32 v21, v8
	v_min_u32_e32 v21, 32, v21
	s_delay_alu instid0(VALU_DEP_1) | instskip(SKIP_1) | instid1(VALU_DEP_2)
	v_subrev_nc_u32_e32 v22, 28, v21
	v_sub_nc_u32_e32 v21, 29, v21
	v_lshlrev_b64 v[22:23], v22, v[8:9]
	s_delay_alu instid0(VALU_DEP_1)
	v_and_b32_e32 v8, 7, v22
; %bb.1196:                             ;   in Loop: Header=BB239_1064 Depth=1
	s_or_b32 exec_lo, exec_lo, s16
	v_lshlrev_b32_e32 v22, 24, v27
	s_delay_alu instid0(VALU_DEP_2) | instskip(SKIP_1) | instid1(VALU_DEP_3)
	v_lshlrev_b32_e32 v8, 20, v8
	v_lshl_add_u32 v21, v21, 23, 0x3c000000
	v_and_b32_e32 v22, 0x80000000, v22
	s_delay_alu instid0(VALU_DEP_1)
	v_or3_b32 v22, v8, v22, v21
	v_mov_b32_e32 v21, v9
.LBB239_1197:                           ;   in Loop: Header=BB239_1064 Depth=1
	s_or_b32 exec_lo, exec_lo, s10
.LBB239_1198:                           ;   in Loop: Header=BB239_1064 Depth=1
	s_delay_alu instid0(SALU_CYCLE_1)
	s_or_b32 exec_lo, exec_lo, s15
.LBB239_1199:                           ;   in Loop: Header=BB239_1064 Depth=1
	s_delay_alu instid0(SALU_CYCLE_1) | instskip(SKIP_4) | instid1(VALU_DEP_4)
	s_or_b32 exec_lo, exec_lo, s13
	v_or_b32_e32 v5, v17, v5
	v_or_b32_e32 v4, v16, v4
	;; [unrolled: 1-line block ×4, first 2 shown]
	v_mul_f32_e32 v135, v102, v5
	s_delay_alu instid0(VALU_DEP_4) | instskip(NEXT) | instid1(VALU_DEP_4)
	v_mul_f32_e32 v134, v102, v4
	v_mul_f32_e32 v132, v102, v8
	s_delay_alu instid0(VALU_DEP_4)
	v_mul_f32_e32 v133, v102, v16
	s_and_saveexec_b32 s10, vcc_lo
; %bb.1200:                             ;   in Loop: Header=BB239_1064 Depth=1
	v_cmp_lt_i32_e64 s0, v116, v25
	s_delay_alu instid0(VALU_DEP_1) | instskip(SKIP_1) | instid1(VALU_DEP_1)
	v_cndmask_b32_e64 v134, 0, v134, s0
	v_cmp_lt_i32_e64 s0, v119, v25
	v_cndmask_b32_e64 v135, 0, v135, s0
	v_cmp_lt_i32_e64 s0, v118, v25
	s_delay_alu instid0(VALU_DEP_1) | instskip(SKIP_1) | instid1(VALU_DEP_1)
	v_cndmask_b32_e64 v133, 0, v133, s0
	v_cmp_lt_i32_e64 s0, v117, v25
	v_cndmask_b32_e64 v132, 0, v132, s0
; %bb.1201:                             ;   in Loop: Header=BB239_1064 Depth=1
	s_or_b32 exec_lo, exec_lo, s10
	flat_load_b32 v23, v[14:15] offset:512
	v_mov_b32_e32 v16, 0
	v_mov_b32_e32 v17, 0
	s_mov_b32 s10, exec_lo
	s_waitcnt vmcnt(0) lgkmcnt(0)
	v_and_b32_e32 v8, 0xff, v23
	s_delay_alu instid0(VALU_DEP_2) | instskip(NEXT) | instid1(VALU_DEP_2)
	v_dual_mov_b32 v4, v16 :: v_dual_mov_b32 v5, v17
	v_cmpx_ne_u16_e32 0, v8
	s_cbranch_execz .LBB239_1209
; %bb.1202:                             ;   in Loop: Header=BB239_1064 Depth=1
	v_bfrev_b32_e32 v4, 1
	v_mov_b32_e32 v5, 0
	s_mov_b32 s13, exec_lo
	v_cmpx_ne_u16_e32 0x80, v8
	s_cbranch_execz .LBB239_1208
; %bb.1203:                             ;   in Loop: Header=BB239_1064 Depth=1
	v_mov_b32_e32 v4, 0x7f800001
	v_dual_mov_b32 v5, 0 :: v_dual_and_b32 v18, 0x7f, v23
	s_mov_b32 s15, exec_lo
	s_delay_alu instid0(VALU_DEP_1)
	v_cmpx_ne_u32_e32 0x7f, v18
	s_cbranch_execz .LBB239_1207
; %bb.1204:                             ;   in Loop: Header=BB239_1064 Depth=1
	v_and_b32_e32 v8, 7, v23
	v_lshrrev_b32_e32 v4, 3, v18
	s_mov_b32 s16, exec_lo
	v_cmpx_gt_u32_e32 8, v18
; %bb.1205:                             ;   in Loop: Header=BB239_1064 Depth=1
	s_delay_alu instid0(VALU_DEP_3) | instskip(NEXT) | instid1(VALU_DEP_1)
	v_clz_i32_u32_e32 v4, v8
	v_min_u32_e32 v4, 32, v4
	s_delay_alu instid0(VALU_DEP_1) | instskip(SKIP_1) | instid1(VALU_DEP_2)
	v_subrev_nc_u32_e32 v5, 28, v4
	v_sub_nc_u32_e32 v4, 29, v4
	v_lshlrev_b64 v[18:19], v5, v[8:9]
	s_delay_alu instid0(VALU_DEP_1)
	v_and_b32_e32 v8, 7, v18
; %bb.1206:                             ;   in Loop: Header=BB239_1064 Depth=1
	s_or_b32 exec_lo, exec_lo, s16
	v_lshlrev_b32_e32 v5, 24, v23
	s_delay_alu instid0(VALU_DEP_2) | instskip(SKIP_1) | instid1(VALU_DEP_3)
	v_lshlrev_b32_e32 v8, 20, v8
	v_lshl_add_u32 v4, v4, 23, 0x3c000000
	v_and_b32_e32 v5, 0x80000000, v5
	s_delay_alu instid0(VALU_DEP_1) | instskip(NEXT) | instid1(VALU_DEP_1)
	v_or3_b32 v8, v8, v5, v4
	v_dual_mov_b32 v4, v8 :: v_dual_mov_b32 v5, v9
.LBB239_1207:                           ;   in Loop: Header=BB239_1064 Depth=1
	s_or_b32 exec_lo, exec_lo, s15
.LBB239_1208:                           ;   in Loop: Header=BB239_1064 Depth=1
	s_delay_alu instid0(SALU_CYCLE_1)
	s_or_b32 exec_lo, exec_lo, s13
.LBB239_1209:                           ;   in Loop: Header=BB239_1064 Depth=1
	s_delay_alu instid0(SALU_CYCLE_1) | instskip(SKIP_2) | instid1(VALU_DEP_1)
	s_or_b32 exec_lo, exec_lo, s10
	v_lshrrev_b16 v8, 8, v23
	s_mov_b32 s13, exec_lo
	v_cmpx_ne_u16_e32 0, v8
	s_cbranch_execz .LBB239_1217
; %bb.1210:                             ;   in Loop: Header=BB239_1064 Depth=1
	v_dual_mov_b32 v17, s9 :: v_dual_mov_b32 v16, s8
	s_mov_b32 s15, exec_lo
	v_cmpx_ne_u16_e32 0x80, v8
	s_cbranch_execz .LBB239_1216
; %bb.1211:                             ;   in Loop: Header=BB239_1064 Depth=1
	s_mov_b32 s10, s8
	v_dual_mov_b32 v17, s11 :: v_dual_and_b32 v8, 0xffff, v8
	v_mov_b32_e32 v16, s10
	s_mov_b32 s10, exec_lo
	s_delay_alu instid0(VALU_DEP_2) | instskip(NEXT) | instid1(VALU_DEP_1)
	v_and_b32_e32 v18, 0x7f, v8
	v_cmpx_ne_u32_e32 0x7f, v18
	s_cbranch_execz .LBB239_1215
; %bb.1212:                             ;   in Loop: Header=BB239_1064 Depth=1
	v_and_b32_e32 v8, 7, v8
	v_lshrrev_b32_e32 v16, 3, v18
	s_mov_b32 s16, exec_lo
	v_cmpx_gt_u32_e32 8, v18
; %bb.1213:                             ;   in Loop: Header=BB239_1064 Depth=1
	s_delay_alu instid0(VALU_DEP_3) | instskip(NEXT) | instid1(VALU_DEP_1)
	v_clz_i32_u32_e32 v16, v8
	v_min_u32_e32 v16, 32, v16
	s_delay_alu instid0(VALU_DEP_1) | instskip(SKIP_1) | instid1(VALU_DEP_2)
	v_subrev_nc_u32_e32 v17, 28, v16
	v_sub_nc_u32_e32 v16, 29, v16
	v_lshlrev_b64 v[17:18], v17, v[8:9]
	s_delay_alu instid0(VALU_DEP_1)
	v_and_b32_e32 v8, 7, v17
; %bb.1214:                             ;   in Loop: Header=BB239_1064 Depth=1
	s_or_b32 exec_lo, exec_lo, s16
	v_lshlrev_b32_e32 v17, 16, v23
	s_delay_alu instid0(VALU_DEP_2) | instskip(SKIP_1) | instid1(VALU_DEP_3)
	v_lshlrev_b32_e32 v8, 20, v8
	v_lshl_add_u32 v16, v16, 23, 0x3c000000
	v_and_b32_e32 v17, 0x80000000, v17
	s_delay_alu instid0(VALU_DEP_1)
	v_or3_b32 v17, v8, v17, v16
	v_mov_b32_e32 v16, v9
.LBB239_1215:                           ;   in Loop: Header=BB239_1064 Depth=1
	s_or_b32 exec_lo, exec_lo, s10
.LBB239_1216:                           ;   in Loop: Header=BB239_1064 Depth=1
	s_delay_alu instid0(SALU_CYCLE_1)
	s_or_b32 exec_lo, exec_lo, s15
.LBB239_1217:                           ;   in Loop: Header=BB239_1064 Depth=1
	s_delay_alu instid0(SALU_CYCLE_1) | instskip(SKIP_3) | instid1(VALU_DEP_2)
	s_or_b32 exec_lo, exec_lo, s13
	v_lshrrev_b32_e32 v27, 16, v23
	v_mov_b32_e32 v21, 0
	v_mov_b32_e32 v22, 0
	v_mov_b32_e32 v18, v21
	s_mov_b32 s10, exec_lo
	s_delay_alu instid0(VALU_DEP_2) | instskip(NEXT) | instid1(VALU_DEP_1)
	v_dual_mov_b32 v19, v22 :: v_dual_and_b32 v8, 0xff, v27
	v_cmpx_ne_u16_e32 0, v8
	s_cbranch_execz .LBB239_1225
; %bb.1218:                             ;   in Loop: Header=BB239_1064 Depth=1
	v_bfrev_b32_e32 v18, 1
	v_mov_b32_e32 v19, 0
	s_mov_b32 s13, exec_lo
	v_cmpx_ne_u16_e32 0x80, v8
	s_cbranch_execz .LBB239_1224
; %bb.1219:                             ;   in Loop: Header=BB239_1064 Depth=1
	v_mov_b32_e32 v18, 0x7f800001
	v_bfe_u32 v85, v23, 16, 7
	v_mov_b32_e32 v19, 0
	s_mov_b32 s15, exec_lo
	s_delay_alu instid0(VALU_DEP_2)
	v_cmpx_ne_u32_e32 0x7f, v85
	s_cbranch_execz .LBB239_1223
; %bb.1220:                             ;   in Loop: Header=BB239_1064 Depth=1
	v_and_b32_e32 v8, 7, v27
	v_lshrrev_b32_e32 v18, 3, v85
	s_mov_b32 s16, exec_lo
	v_cmpx_gt_u32_e32 8, v85
; %bb.1221:                             ;   in Loop: Header=BB239_1064 Depth=1
	s_delay_alu instid0(VALU_DEP_3) | instskip(NEXT) | instid1(VALU_DEP_1)
	v_clz_i32_u32_e32 v18, v8
	v_min_u32_e32 v18, 32, v18
	s_delay_alu instid0(VALU_DEP_1) | instskip(SKIP_1) | instid1(VALU_DEP_2)
	v_subrev_nc_u32_e32 v19, 28, v18
	v_sub_nc_u32_e32 v18, 29, v18
	v_lshlrev_b64 v[85:86], v19, v[8:9]
	s_delay_alu instid0(VALU_DEP_1)
	v_and_b32_e32 v8, 7, v85
; %bb.1222:                             ;   in Loop: Header=BB239_1064 Depth=1
	s_or_b32 exec_lo, exec_lo, s16
	v_lshlrev_b32_e32 v19, 24, v27
	s_delay_alu instid0(VALU_DEP_2) | instskip(SKIP_1) | instid1(VALU_DEP_3)
	v_lshlrev_b32_e32 v8, 20, v8
	v_lshl_add_u32 v18, v18, 23, 0x3c000000
	v_and_b32_e32 v19, 0x80000000, v19
	s_delay_alu instid0(VALU_DEP_1) | instskip(NEXT) | instid1(VALU_DEP_1)
	v_or3_b32 v8, v8, v19, v18
	v_dual_mov_b32 v19, v9 :: v_dual_mov_b32 v18, v8
.LBB239_1223:                           ;   in Loop: Header=BB239_1064 Depth=1
	s_or_b32 exec_lo, exec_lo, s15
.LBB239_1224:                           ;   in Loop: Header=BB239_1064 Depth=1
	s_delay_alu instid0(SALU_CYCLE_1)
	s_or_b32 exec_lo, exec_lo, s13
.LBB239_1225:                           ;   in Loop: Header=BB239_1064 Depth=1
	s_delay_alu instid0(SALU_CYCLE_1) | instskip(NEXT) | instid1(SALU_CYCLE_1)
	s_or_b32 exec_lo, exec_lo, s10
	s_mov_b32 s13, exec_lo
	v_cmpx_lt_u32_e32 0xffffff, v23
	s_cbranch_execz .LBB239_1233
; %bb.1226:                             ;   in Loop: Header=BB239_1064 Depth=1
	v_lshrrev_b32_e32 v27, 24, v23
	v_dual_mov_b32 v22, s9 :: v_dual_mov_b32 v21, s8
	s_mov_b32 s15, exec_lo
	s_delay_alu instid0(VALU_DEP_2)
	v_cmpx_ne_u32_e32 0x80, v27
	s_cbranch_execz .LBB239_1232
; %bb.1227:                             ;   in Loop: Header=BB239_1064 Depth=1
	s_mov_b32 s10, s8
	v_bfe_u32 v23, v23, 24, 7
	v_dual_mov_b32 v22, s11 :: v_dual_mov_b32 v21, s10
	s_mov_b32 s10, exec_lo
	s_delay_alu instid0(VALU_DEP_2)
	v_cmpx_ne_u32_e32 0x7f, v23
	s_cbranch_execz .LBB239_1231
; %bb.1228:                             ;   in Loop: Header=BB239_1064 Depth=1
	v_and_b32_e32 v8, 7, v27
	v_lshrrev_b32_e32 v21, 3, v23
	s_mov_b32 s16, exec_lo
	v_cmpx_gt_u32_e32 8, v23
; %bb.1229:                             ;   in Loop: Header=BB239_1064 Depth=1
	s_delay_alu instid0(VALU_DEP_3) | instskip(NEXT) | instid1(VALU_DEP_1)
	v_clz_i32_u32_e32 v21, v8
	v_min_u32_e32 v21, 32, v21
	s_delay_alu instid0(VALU_DEP_1) | instskip(SKIP_1) | instid1(VALU_DEP_2)
	v_subrev_nc_u32_e32 v22, 28, v21
	v_sub_nc_u32_e32 v21, 29, v21
	v_lshlrev_b64 v[22:23], v22, v[8:9]
	s_delay_alu instid0(VALU_DEP_1)
	v_and_b32_e32 v8, 7, v22
; %bb.1230:                             ;   in Loop: Header=BB239_1064 Depth=1
	s_or_b32 exec_lo, exec_lo, s16
	v_lshlrev_b32_e32 v22, 24, v27
	s_delay_alu instid0(VALU_DEP_2) | instskip(SKIP_1) | instid1(VALU_DEP_3)
	v_lshlrev_b32_e32 v8, 20, v8
	v_lshl_add_u32 v21, v21, 23, 0x3c000000
	v_and_b32_e32 v22, 0x80000000, v22
	s_delay_alu instid0(VALU_DEP_1)
	v_or3_b32 v22, v8, v22, v21
	v_mov_b32_e32 v21, v9
.LBB239_1231:                           ;   in Loop: Header=BB239_1064 Depth=1
	s_or_b32 exec_lo, exec_lo, s10
.LBB239_1232:                           ;   in Loop: Header=BB239_1064 Depth=1
	s_delay_alu instid0(SALU_CYCLE_1)
	s_or_b32 exec_lo, exec_lo, s15
.LBB239_1233:                           ;   in Loop: Header=BB239_1064 Depth=1
	s_delay_alu instid0(SALU_CYCLE_1) | instskip(SKIP_4) | instid1(VALU_DEP_4)
	s_or_b32 exec_lo, exec_lo, s13
	v_or_b32_e32 v5, v17, v5
	v_or_b32_e32 v4, v16, v4
	;; [unrolled: 1-line block ×4, first 2 shown]
	v_mul_f32_e32 v147, v102, v5
	s_delay_alu instid0(VALU_DEP_4) | instskip(NEXT) | instid1(VALU_DEP_4)
	v_mul_f32_e32 v146, v102, v4
	v_mul_f32_e32 v144, v102, v8
	s_delay_alu instid0(VALU_DEP_4)
	v_mul_f32_e32 v145, v102, v16
	s_and_saveexec_b32 s10, vcc_lo
; %bb.1234:                             ;   in Loop: Header=BB239_1064 Depth=1
	v_cmp_lt_i32_e64 s0, v116, v25
	s_delay_alu instid0(VALU_DEP_1) | instskip(SKIP_1) | instid1(VALU_DEP_1)
	v_cndmask_b32_e64 v146, 0, v146, s0
	v_cmp_lt_i32_e64 s0, v119, v25
	v_cndmask_b32_e64 v147, 0, v147, s0
	v_cmp_lt_i32_e64 s0, v118, v25
	s_delay_alu instid0(VALU_DEP_1) | instskip(SKIP_1) | instid1(VALU_DEP_1)
	v_cndmask_b32_e64 v145, 0, v145, s0
	v_cmp_lt_i32_e64 s0, v117, v25
	v_cndmask_b32_e64 v144, 0, v144, s0
; %bb.1235:                             ;   in Loop: Header=BB239_1064 Depth=1
	s_or_b32 exec_lo, exec_lo, s10
	flat_load_b32 v23, v[14:15] offset:640
	v_mov_b32_e32 v16, 0
	v_mov_b32_e32 v17, 0
	s_mov_b32 s10, exec_lo
	s_waitcnt vmcnt(0) lgkmcnt(0)
	v_and_b32_e32 v8, 0xff, v23
	s_delay_alu instid0(VALU_DEP_2) | instskip(NEXT) | instid1(VALU_DEP_2)
	v_dual_mov_b32 v4, v16 :: v_dual_mov_b32 v5, v17
	v_cmpx_ne_u16_e32 0, v8
	s_cbranch_execz .LBB239_1243
; %bb.1236:                             ;   in Loop: Header=BB239_1064 Depth=1
	v_bfrev_b32_e32 v4, 1
	v_mov_b32_e32 v5, 0
	s_mov_b32 s13, exec_lo
	v_cmpx_ne_u16_e32 0x80, v8
	s_cbranch_execz .LBB239_1242
; %bb.1237:                             ;   in Loop: Header=BB239_1064 Depth=1
	v_mov_b32_e32 v4, 0x7f800001
	v_dual_mov_b32 v5, 0 :: v_dual_and_b32 v18, 0x7f, v23
	s_mov_b32 s15, exec_lo
	s_delay_alu instid0(VALU_DEP_1)
	v_cmpx_ne_u32_e32 0x7f, v18
	s_cbranch_execz .LBB239_1241
; %bb.1238:                             ;   in Loop: Header=BB239_1064 Depth=1
	v_and_b32_e32 v8, 7, v23
	v_lshrrev_b32_e32 v4, 3, v18
	s_mov_b32 s16, exec_lo
	v_cmpx_gt_u32_e32 8, v18
; %bb.1239:                             ;   in Loop: Header=BB239_1064 Depth=1
	s_delay_alu instid0(VALU_DEP_3) | instskip(NEXT) | instid1(VALU_DEP_1)
	v_clz_i32_u32_e32 v4, v8
	v_min_u32_e32 v4, 32, v4
	s_delay_alu instid0(VALU_DEP_1) | instskip(SKIP_1) | instid1(VALU_DEP_2)
	v_subrev_nc_u32_e32 v5, 28, v4
	v_sub_nc_u32_e32 v4, 29, v4
	v_lshlrev_b64 v[18:19], v5, v[8:9]
	s_delay_alu instid0(VALU_DEP_1)
	v_and_b32_e32 v8, 7, v18
; %bb.1240:                             ;   in Loop: Header=BB239_1064 Depth=1
	s_or_b32 exec_lo, exec_lo, s16
	v_lshlrev_b32_e32 v5, 24, v23
	s_delay_alu instid0(VALU_DEP_2) | instskip(SKIP_1) | instid1(VALU_DEP_3)
	v_lshlrev_b32_e32 v8, 20, v8
	v_lshl_add_u32 v4, v4, 23, 0x3c000000
	v_and_b32_e32 v5, 0x80000000, v5
	s_delay_alu instid0(VALU_DEP_1) | instskip(NEXT) | instid1(VALU_DEP_1)
	v_or3_b32 v8, v8, v5, v4
	v_dual_mov_b32 v4, v8 :: v_dual_mov_b32 v5, v9
.LBB239_1241:                           ;   in Loop: Header=BB239_1064 Depth=1
	s_or_b32 exec_lo, exec_lo, s15
.LBB239_1242:                           ;   in Loop: Header=BB239_1064 Depth=1
	s_delay_alu instid0(SALU_CYCLE_1)
	s_or_b32 exec_lo, exec_lo, s13
.LBB239_1243:                           ;   in Loop: Header=BB239_1064 Depth=1
	s_delay_alu instid0(SALU_CYCLE_1) | instskip(SKIP_2) | instid1(VALU_DEP_1)
	s_or_b32 exec_lo, exec_lo, s10
	v_lshrrev_b16 v8, 8, v23
	s_mov_b32 s13, exec_lo
	v_cmpx_ne_u16_e32 0, v8
	s_cbranch_execz .LBB239_1251
; %bb.1244:                             ;   in Loop: Header=BB239_1064 Depth=1
	v_dual_mov_b32 v17, s9 :: v_dual_mov_b32 v16, s8
	s_mov_b32 s15, exec_lo
	v_cmpx_ne_u16_e32 0x80, v8
	s_cbranch_execz .LBB239_1250
; %bb.1245:                             ;   in Loop: Header=BB239_1064 Depth=1
	s_mov_b32 s10, s8
	v_dual_mov_b32 v17, s11 :: v_dual_and_b32 v8, 0xffff, v8
	v_mov_b32_e32 v16, s10
	s_mov_b32 s10, exec_lo
	s_delay_alu instid0(VALU_DEP_2) | instskip(NEXT) | instid1(VALU_DEP_1)
	v_and_b32_e32 v18, 0x7f, v8
	v_cmpx_ne_u32_e32 0x7f, v18
	s_cbranch_execz .LBB239_1249
; %bb.1246:                             ;   in Loop: Header=BB239_1064 Depth=1
	v_and_b32_e32 v8, 7, v8
	v_lshrrev_b32_e32 v16, 3, v18
	s_mov_b32 s16, exec_lo
	v_cmpx_gt_u32_e32 8, v18
; %bb.1247:                             ;   in Loop: Header=BB239_1064 Depth=1
	s_delay_alu instid0(VALU_DEP_3) | instskip(NEXT) | instid1(VALU_DEP_1)
	v_clz_i32_u32_e32 v16, v8
	v_min_u32_e32 v16, 32, v16
	s_delay_alu instid0(VALU_DEP_1) | instskip(SKIP_1) | instid1(VALU_DEP_2)
	v_subrev_nc_u32_e32 v17, 28, v16
	v_sub_nc_u32_e32 v16, 29, v16
	v_lshlrev_b64 v[17:18], v17, v[8:9]
	s_delay_alu instid0(VALU_DEP_1)
	v_and_b32_e32 v8, 7, v17
; %bb.1248:                             ;   in Loop: Header=BB239_1064 Depth=1
	s_or_b32 exec_lo, exec_lo, s16
	v_lshlrev_b32_e32 v17, 16, v23
	s_delay_alu instid0(VALU_DEP_2) | instskip(SKIP_1) | instid1(VALU_DEP_3)
	v_lshlrev_b32_e32 v8, 20, v8
	v_lshl_add_u32 v16, v16, 23, 0x3c000000
	v_and_b32_e32 v17, 0x80000000, v17
	s_delay_alu instid0(VALU_DEP_1)
	v_or3_b32 v17, v8, v17, v16
	v_mov_b32_e32 v16, v9
.LBB239_1249:                           ;   in Loop: Header=BB239_1064 Depth=1
	s_or_b32 exec_lo, exec_lo, s10
.LBB239_1250:                           ;   in Loop: Header=BB239_1064 Depth=1
	s_delay_alu instid0(SALU_CYCLE_1)
	s_or_b32 exec_lo, exec_lo, s15
.LBB239_1251:                           ;   in Loop: Header=BB239_1064 Depth=1
	s_delay_alu instid0(SALU_CYCLE_1) | instskip(SKIP_3) | instid1(VALU_DEP_2)
	s_or_b32 exec_lo, exec_lo, s13
	v_lshrrev_b32_e32 v27, 16, v23
	v_mov_b32_e32 v21, 0
	v_mov_b32_e32 v22, 0
	;; [unrolled: 1-line block ×3, first 2 shown]
	s_mov_b32 s10, exec_lo
	s_delay_alu instid0(VALU_DEP_2) | instskip(NEXT) | instid1(VALU_DEP_1)
	v_dual_mov_b32 v19, v22 :: v_dual_and_b32 v8, 0xff, v27
	v_cmpx_ne_u16_e32 0, v8
	s_cbranch_execz .LBB239_1259
; %bb.1252:                             ;   in Loop: Header=BB239_1064 Depth=1
	v_bfrev_b32_e32 v18, 1
	v_mov_b32_e32 v19, 0
	s_mov_b32 s13, exec_lo
	v_cmpx_ne_u16_e32 0x80, v8
	s_cbranch_execz .LBB239_1258
; %bb.1253:                             ;   in Loop: Header=BB239_1064 Depth=1
	v_mov_b32_e32 v18, 0x7f800001
	v_bfe_u32 v85, v23, 16, 7
	v_mov_b32_e32 v19, 0
	s_mov_b32 s15, exec_lo
	s_delay_alu instid0(VALU_DEP_2)
	v_cmpx_ne_u32_e32 0x7f, v85
	s_cbranch_execz .LBB239_1257
; %bb.1254:                             ;   in Loop: Header=BB239_1064 Depth=1
	v_and_b32_e32 v8, 7, v27
	v_lshrrev_b32_e32 v18, 3, v85
	s_mov_b32 s16, exec_lo
	v_cmpx_gt_u32_e32 8, v85
; %bb.1255:                             ;   in Loop: Header=BB239_1064 Depth=1
	s_delay_alu instid0(VALU_DEP_3) | instskip(NEXT) | instid1(VALU_DEP_1)
	v_clz_i32_u32_e32 v18, v8
	v_min_u32_e32 v18, 32, v18
	s_delay_alu instid0(VALU_DEP_1) | instskip(SKIP_1) | instid1(VALU_DEP_2)
	v_subrev_nc_u32_e32 v19, 28, v18
	v_sub_nc_u32_e32 v18, 29, v18
	v_lshlrev_b64 v[85:86], v19, v[8:9]
	s_delay_alu instid0(VALU_DEP_1)
	v_and_b32_e32 v8, 7, v85
; %bb.1256:                             ;   in Loop: Header=BB239_1064 Depth=1
	s_or_b32 exec_lo, exec_lo, s16
	v_lshlrev_b32_e32 v19, 24, v27
	s_delay_alu instid0(VALU_DEP_2) | instskip(SKIP_1) | instid1(VALU_DEP_3)
	v_lshlrev_b32_e32 v8, 20, v8
	v_lshl_add_u32 v18, v18, 23, 0x3c000000
	v_and_b32_e32 v19, 0x80000000, v19
	s_delay_alu instid0(VALU_DEP_1) | instskip(NEXT) | instid1(VALU_DEP_1)
	v_or3_b32 v8, v8, v19, v18
	v_dual_mov_b32 v19, v9 :: v_dual_mov_b32 v18, v8
.LBB239_1257:                           ;   in Loop: Header=BB239_1064 Depth=1
	s_or_b32 exec_lo, exec_lo, s15
.LBB239_1258:                           ;   in Loop: Header=BB239_1064 Depth=1
	s_delay_alu instid0(SALU_CYCLE_1)
	s_or_b32 exec_lo, exec_lo, s13
.LBB239_1259:                           ;   in Loop: Header=BB239_1064 Depth=1
	s_delay_alu instid0(SALU_CYCLE_1) | instskip(NEXT) | instid1(SALU_CYCLE_1)
	s_or_b32 exec_lo, exec_lo, s10
	s_mov_b32 s13, exec_lo
	v_cmpx_lt_u32_e32 0xffffff, v23
	s_cbranch_execz .LBB239_1267
; %bb.1260:                             ;   in Loop: Header=BB239_1064 Depth=1
	v_lshrrev_b32_e32 v27, 24, v23
	v_dual_mov_b32 v22, s9 :: v_dual_mov_b32 v21, s8
	s_mov_b32 s15, exec_lo
	s_delay_alu instid0(VALU_DEP_2)
	v_cmpx_ne_u32_e32 0x80, v27
	s_cbranch_execz .LBB239_1266
; %bb.1261:                             ;   in Loop: Header=BB239_1064 Depth=1
	s_mov_b32 s10, s8
	v_bfe_u32 v23, v23, 24, 7
	v_dual_mov_b32 v22, s11 :: v_dual_mov_b32 v21, s10
	s_mov_b32 s10, exec_lo
	s_delay_alu instid0(VALU_DEP_2)
	v_cmpx_ne_u32_e32 0x7f, v23
	s_cbranch_execz .LBB239_1265
; %bb.1262:                             ;   in Loop: Header=BB239_1064 Depth=1
	v_and_b32_e32 v8, 7, v27
	v_lshrrev_b32_e32 v21, 3, v23
	s_mov_b32 s16, exec_lo
	v_cmpx_gt_u32_e32 8, v23
; %bb.1263:                             ;   in Loop: Header=BB239_1064 Depth=1
	s_delay_alu instid0(VALU_DEP_3) | instskip(NEXT) | instid1(VALU_DEP_1)
	v_clz_i32_u32_e32 v21, v8
	v_min_u32_e32 v21, 32, v21
	s_delay_alu instid0(VALU_DEP_1) | instskip(SKIP_1) | instid1(VALU_DEP_2)
	v_subrev_nc_u32_e32 v22, 28, v21
	v_sub_nc_u32_e32 v21, 29, v21
	v_lshlrev_b64 v[22:23], v22, v[8:9]
	s_delay_alu instid0(VALU_DEP_1)
	v_and_b32_e32 v8, 7, v22
; %bb.1264:                             ;   in Loop: Header=BB239_1064 Depth=1
	s_or_b32 exec_lo, exec_lo, s16
	v_lshlrev_b32_e32 v22, 24, v27
	s_delay_alu instid0(VALU_DEP_2) | instskip(SKIP_1) | instid1(VALU_DEP_3)
	v_lshlrev_b32_e32 v8, 20, v8
	v_lshl_add_u32 v21, v21, 23, 0x3c000000
	v_and_b32_e32 v22, 0x80000000, v22
	s_delay_alu instid0(VALU_DEP_1)
	v_or3_b32 v22, v8, v22, v21
	v_mov_b32_e32 v21, v9
.LBB239_1265:                           ;   in Loop: Header=BB239_1064 Depth=1
	s_or_b32 exec_lo, exec_lo, s10
.LBB239_1266:                           ;   in Loop: Header=BB239_1064 Depth=1
	s_delay_alu instid0(SALU_CYCLE_1)
	s_or_b32 exec_lo, exec_lo, s15
.LBB239_1267:                           ;   in Loop: Header=BB239_1064 Depth=1
	s_delay_alu instid0(SALU_CYCLE_1) | instskip(SKIP_4) | instid1(VALU_DEP_4)
	s_or_b32 exec_lo, exec_lo, s13
	v_or_b32_e32 v5, v17, v5
	v_or_b32_e32 v4, v16, v4
	;; [unrolled: 1-line block ×4, first 2 shown]
	v_mul_f32_e32 v151, v102, v5
	s_delay_alu instid0(VALU_DEP_4) | instskip(NEXT) | instid1(VALU_DEP_4)
	v_mul_f32_e32 v150, v102, v4
	v_mul_f32_e32 v148, v102, v8
	s_delay_alu instid0(VALU_DEP_4)
	v_mul_f32_e32 v149, v102, v16
	s_and_saveexec_b32 s10, vcc_lo
; %bb.1268:                             ;   in Loop: Header=BB239_1064 Depth=1
	v_cmp_lt_i32_e64 s0, v116, v25
	s_delay_alu instid0(VALU_DEP_1) | instskip(SKIP_1) | instid1(VALU_DEP_1)
	v_cndmask_b32_e64 v150, 0, v150, s0
	v_cmp_lt_i32_e64 s0, v119, v25
	v_cndmask_b32_e64 v151, 0, v151, s0
	v_cmp_lt_i32_e64 s0, v118, v25
	s_delay_alu instid0(VALU_DEP_1) | instskip(SKIP_1) | instid1(VALU_DEP_1)
	v_cndmask_b32_e64 v149, 0, v149, s0
	v_cmp_lt_i32_e64 s0, v117, v25
	v_cndmask_b32_e64 v148, 0, v148, s0
; %bb.1269:                             ;   in Loop: Header=BB239_1064 Depth=1
	s_or_b32 exec_lo, exec_lo, s10
	flat_load_b32 v23, v[14:15] offset:768
	v_mov_b32_e32 v16, 0
	v_mov_b32_e32 v17, 0
	s_mov_b32 s10, exec_lo
	s_waitcnt vmcnt(0) lgkmcnt(0)
	v_and_b32_e32 v8, 0xff, v23
	s_delay_alu instid0(VALU_DEP_2) | instskip(NEXT) | instid1(VALU_DEP_2)
	v_dual_mov_b32 v4, v16 :: v_dual_mov_b32 v5, v17
	v_cmpx_ne_u16_e32 0, v8
	s_cbranch_execz .LBB239_1277
; %bb.1270:                             ;   in Loop: Header=BB239_1064 Depth=1
	v_bfrev_b32_e32 v4, 1
	v_mov_b32_e32 v5, 0
	s_mov_b32 s13, exec_lo
	v_cmpx_ne_u16_e32 0x80, v8
	s_cbranch_execz .LBB239_1276
; %bb.1271:                             ;   in Loop: Header=BB239_1064 Depth=1
	v_mov_b32_e32 v4, 0x7f800001
	v_dual_mov_b32 v5, 0 :: v_dual_and_b32 v18, 0x7f, v23
	s_mov_b32 s15, exec_lo
	s_delay_alu instid0(VALU_DEP_1)
	v_cmpx_ne_u32_e32 0x7f, v18
	s_cbranch_execz .LBB239_1275
; %bb.1272:                             ;   in Loop: Header=BB239_1064 Depth=1
	v_and_b32_e32 v8, 7, v23
	v_lshrrev_b32_e32 v4, 3, v18
	s_mov_b32 s16, exec_lo
	v_cmpx_gt_u32_e32 8, v18
; %bb.1273:                             ;   in Loop: Header=BB239_1064 Depth=1
	s_delay_alu instid0(VALU_DEP_3) | instskip(NEXT) | instid1(VALU_DEP_1)
	v_clz_i32_u32_e32 v4, v8
	v_min_u32_e32 v4, 32, v4
	s_delay_alu instid0(VALU_DEP_1) | instskip(SKIP_1) | instid1(VALU_DEP_2)
	v_subrev_nc_u32_e32 v5, 28, v4
	v_sub_nc_u32_e32 v4, 29, v4
	v_lshlrev_b64 v[18:19], v5, v[8:9]
	s_delay_alu instid0(VALU_DEP_1)
	v_and_b32_e32 v8, 7, v18
; %bb.1274:                             ;   in Loop: Header=BB239_1064 Depth=1
	s_or_b32 exec_lo, exec_lo, s16
	v_lshlrev_b32_e32 v5, 24, v23
	s_delay_alu instid0(VALU_DEP_2) | instskip(SKIP_1) | instid1(VALU_DEP_3)
	v_lshlrev_b32_e32 v8, 20, v8
	v_lshl_add_u32 v4, v4, 23, 0x3c000000
	v_and_b32_e32 v5, 0x80000000, v5
	s_delay_alu instid0(VALU_DEP_1) | instskip(NEXT) | instid1(VALU_DEP_1)
	v_or3_b32 v8, v8, v5, v4
	v_dual_mov_b32 v4, v8 :: v_dual_mov_b32 v5, v9
.LBB239_1275:                           ;   in Loop: Header=BB239_1064 Depth=1
	s_or_b32 exec_lo, exec_lo, s15
.LBB239_1276:                           ;   in Loop: Header=BB239_1064 Depth=1
	s_delay_alu instid0(SALU_CYCLE_1)
	s_or_b32 exec_lo, exec_lo, s13
.LBB239_1277:                           ;   in Loop: Header=BB239_1064 Depth=1
	s_delay_alu instid0(SALU_CYCLE_1) | instskip(SKIP_2) | instid1(VALU_DEP_1)
	s_or_b32 exec_lo, exec_lo, s10
	v_lshrrev_b16 v8, 8, v23
	s_mov_b32 s13, exec_lo
	v_cmpx_ne_u16_e32 0, v8
	s_cbranch_execz .LBB239_1285
; %bb.1278:                             ;   in Loop: Header=BB239_1064 Depth=1
	v_dual_mov_b32 v17, s9 :: v_dual_mov_b32 v16, s8
	s_mov_b32 s15, exec_lo
	v_cmpx_ne_u16_e32 0x80, v8
	s_cbranch_execz .LBB239_1284
; %bb.1279:                             ;   in Loop: Header=BB239_1064 Depth=1
	s_mov_b32 s10, s8
	v_dual_mov_b32 v17, s11 :: v_dual_and_b32 v8, 0xffff, v8
	v_mov_b32_e32 v16, s10
	s_mov_b32 s10, exec_lo
	s_delay_alu instid0(VALU_DEP_2) | instskip(NEXT) | instid1(VALU_DEP_1)
	v_and_b32_e32 v18, 0x7f, v8
	v_cmpx_ne_u32_e32 0x7f, v18
	s_cbranch_execz .LBB239_1283
; %bb.1280:                             ;   in Loop: Header=BB239_1064 Depth=1
	v_and_b32_e32 v8, 7, v8
	v_lshrrev_b32_e32 v16, 3, v18
	s_mov_b32 s16, exec_lo
	v_cmpx_gt_u32_e32 8, v18
; %bb.1281:                             ;   in Loop: Header=BB239_1064 Depth=1
	s_delay_alu instid0(VALU_DEP_3) | instskip(NEXT) | instid1(VALU_DEP_1)
	v_clz_i32_u32_e32 v16, v8
	v_min_u32_e32 v16, 32, v16
	s_delay_alu instid0(VALU_DEP_1) | instskip(SKIP_1) | instid1(VALU_DEP_2)
	v_subrev_nc_u32_e32 v17, 28, v16
	v_sub_nc_u32_e32 v16, 29, v16
	v_lshlrev_b64 v[17:18], v17, v[8:9]
	s_delay_alu instid0(VALU_DEP_1)
	v_and_b32_e32 v8, 7, v17
; %bb.1282:                             ;   in Loop: Header=BB239_1064 Depth=1
	s_or_b32 exec_lo, exec_lo, s16
	v_lshlrev_b32_e32 v17, 16, v23
	s_delay_alu instid0(VALU_DEP_2) | instskip(SKIP_1) | instid1(VALU_DEP_3)
	v_lshlrev_b32_e32 v8, 20, v8
	v_lshl_add_u32 v16, v16, 23, 0x3c000000
	v_and_b32_e32 v17, 0x80000000, v17
	s_delay_alu instid0(VALU_DEP_1)
	v_or3_b32 v17, v8, v17, v16
	v_mov_b32_e32 v16, v9
.LBB239_1283:                           ;   in Loop: Header=BB239_1064 Depth=1
	s_or_b32 exec_lo, exec_lo, s10
.LBB239_1284:                           ;   in Loop: Header=BB239_1064 Depth=1
	s_delay_alu instid0(SALU_CYCLE_1)
	s_or_b32 exec_lo, exec_lo, s15
.LBB239_1285:                           ;   in Loop: Header=BB239_1064 Depth=1
	s_delay_alu instid0(SALU_CYCLE_1) | instskip(SKIP_3) | instid1(VALU_DEP_2)
	s_or_b32 exec_lo, exec_lo, s13
	v_lshrrev_b32_e32 v27, 16, v23
	v_mov_b32_e32 v21, 0
	v_mov_b32_e32 v22, 0
	;; [unrolled: 1-line block ×3, first 2 shown]
	s_mov_b32 s10, exec_lo
	s_delay_alu instid0(VALU_DEP_2) | instskip(NEXT) | instid1(VALU_DEP_1)
	v_dual_mov_b32 v19, v22 :: v_dual_and_b32 v8, 0xff, v27
	v_cmpx_ne_u16_e32 0, v8
	s_cbranch_execz .LBB239_1293
; %bb.1286:                             ;   in Loop: Header=BB239_1064 Depth=1
	v_bfrev_b32_e32 v18, 1
	v_mov_b32_e32 v19, 0
	s_mov_b32 s13, exec_lo
	v_cmpx_ne_u16_e32 0x80, v8
	s_cbranch_execz .LBB239_1292
; %bb.1287:                             ;   in Loop: Header=BB239_1064 Depth=1
	v_mov_b32_e32 v18, 0x7f800001
	v_bfe_u32 v85, v23, 16, 7
	v_mov_b32_e32 v19, 0
	s_mov_b32 s15, exec_lo
	s_delay_alu instid0(VALU_DEP_2)
	v_cmpx_ne_u32_e32 0x7f, v85
	s_cbranch_execz .LBB239_1291
; %bb.1288:                             ;   in Loop: Header=BB239_1064 Depth=1
	v_and_b32_e32 v8, 7, v27
	v_lshrrev_b32_e32 v18, 3, v85
	s_mov_b32 s16, exec_lo
	v_cmpx_gt_u32_e32 8, v85
; %bb.1289:                             ;   in Loop: Header=BB239_1064 Depth=1
	s_delay_alu instid0(VALU_DEP_3) | instskip(NEXT) | instid1(VALU_DEP_1)
	v_clz_i32_u32_e32 v18, v8
	v_min_u32_e32 v18, 32, v18
	s_delay_alu instid0(VALU_DEP_1) | instskip(SKIP_1) | instid1(VALU_DEP_2)
	v_subrev_nc_u32_e32 v19, 28, v18
	v_sub_nc_u32_e32 v18, 29, v18
	v_lshlrev_b64 v[85:86], v19, v[8:9]
	s_delay_alu instid0(VALU_DEP_1)
	v_and_b32_e32 v8, 7, v85
; %bb.1290:                             ;   in Loop: Header=BB239_1064 Depth=1
	s_or_b32 exec_lo, exec_lo, s16
	v_lshlrev_b32_e32 v19, 24, v27
	s_delay_alu instid0(VALU_DEP_2) | instskip(SKIP_1) | instid1(VALU_DEP_3)
	v_lshlrev_b32_e32 v8, 20, v8
	v_lshl_add_u32 v18, v18, 23, 0x3c000000
	v_and_b32_e32 v19, 0x80000000, v19
	s_delay_alu instid0(VALU_DEP_1) | instskip(NEXT) | instid1(VALU_DEP_1)
	v_or3_b32 v8, v8, v19, v18
	v_dual_mov_b32 v19, v9 :: v_dual_mov_b32 v18, v8
.LBB239_1291:                           ;   in Loop: Header=BB239_1064 Depth=1
	s_or_b32 exec_lo, exec_lo, s15
.LBB239_1292:                           ;   in Loop: Header=BB239_1064 Depth=1
	s_delay_alu instid0(SALU_CYCLE_1)
	s_or_b32 exec_lo, exec_lo, s13
.LBB239_1293:                           ;   in Loop: Header=BB239_1064 Depth=1
	s_delay_alu instid0(SALU_CYCLE_1) | instskip(NEXT) | instid1(SALU_CYCLE_1)
	s_or_b32 exec_lo, exec_lo, s10
	s_mov_b32 s13, exec_lo
	v_cmpx_lt_u32_e32 0xffffff, v23
	s_cbranch_execz .LBB239_1301
; %bb.1294:                             ;   in Loop: Header=BB239_1064 Depth=1
	v_lshrrev_b32_e32 v27, 24, v23
	v_dual_mov_b32 v22, s9 :: v_dual_mov_b32 v21, s8
	s_mov_b32 s15, exec_lo
	s_delay_alu instid0(VALU_DEP_2)
	v_cmpx_ne_u32_e32 0x80, v27
	s_cbranch_execz .LBB239_1300
; %bb.1295:                             ;   in Loop: Header=BB239_1064 Depth=1
	s_mov_b32 s10, s8
	v_bfe_u32 v23, v23, 24, 7
	v_dual_mov_b32 v22, s11 :: v_dual_mov_b32 v21, s10
	s_mov_b32 s10, exec_lo
	s_delay_alu instid0(VALU_DEP_2)
	v_cmpx_ne_u32_e32 0x7f, v23
	s_cbranch_execz .LBB239_1299
; %bb.1296:                             ;   in Loop: Header=BB239_1064 Depth=1
	v_and_b32_e32 v8, 7, v27
	v_lshrrev_b32_e32 v21, 3, v23
	s_mov_b32 s16, exec_lo
	v_cmpx_gt_u32_e32 8, v23
; %bb.1297:                             ;   in Loop: Header=BB239_1064 Depth=1
	s_delay_alu instid0(VALU_DEP_3) | instskip(NEXT) | instid1(VALU_DEP_1)
	v_clz_i32_u32_e32 v21, v8
	v_min_u32_e32 v21, 32, v21
	s_delay_alu instid0(VALU_DEP_1) | instskip(SKIP_1) | instid1(VALU_DEP_2)
	v_subrev_nc_u32_e32 v22, 28, v21
	v_sub_nc_u32_e32 v21, 29, v21
	v_lshlrev_b64 v[22:23], v22, v[8:9]
	s_delay_alu instid0(VALU_DEP_1)
	v_and_b32_e32 v8, 7, v22
; %bb.1298:                             ;   in Loop: Header=BB239_1064 Depth=1
	s_or_b32 exec_lo, exec_lo, s16
	v_lshlrev_b32_e32 v22, 24, v27
	s_delay_alu instid0(VALU_DEP_2) | instskip(SKIP_1) | instid1(VALU_DEP_3)
	v_lshlrev_b32_e32 v8, 20, v8
	v_lshl_add_u32 v21, v21, 23, 0x3c000000
	v_and_b32_e32 v22, 0x80000000, v22
	s_delay_alu instid0(VALU_DEP_1)
	v_or3_b32 v22, v8, v22, v21
	v_mov_b32_e32 v21, v9
.LBB239_1299:                           ;   in Loop: Header=BB239_1064 Depth=1
	s_or_b32 exec_lo, exec_lo, s10
.LBB239_1300:                           ;   in Loop: Header=BB239_1064 Depth=1
	s_delay_alu instid0(SALU_CYCLE_1)
	s_or_b32 exec_lo, exec_lo, s15
.LBB239_1301:                           ;   in Loop: Header=BB239_1064 Depth=1
	s_delay_alu instid0(SALU_CYCLE_1) | instskip(SKIP_4) | instid1(VALU_DEP_4)
	s_or_b32 exec_lo, exec_lo, s13
	v_or_b32_e32 v5, v17, v5
	v_or_b32_e32 v4, v16, v4
	;; [unrolled: 1-line block ×4, first 2 shown]
	v_mul_f32_e32 v163, v102, v5
	s_delay_alu instid0(VALU_DEP_4) | instskip(NEXT) | instid1(VALU_DEP_4)
	v_mul_f32_e32 v162, v102, v4
	v_mul_f32_e32 v160, v102, v8
	s_delay_alu instid0(VALU_DEP_4)
	v_mul_f32_e32 v161, v102, v16
	s_and_saveexec_b32 s10, vcc_lo
; %bb.1302:                             ;   in Loop: Header=BB239_1064 Depth=1
	v_cmp_lt_i32_e64 s0, v116, v25
	s_delay_alu instid0(VALU_DEP_1) | instskip(SKIP_1) | instid1(VALU_DEP_1)
	v_cndmask_b32_e64 v162, 0, v162, s0
	v_cmp_lt_i32_e64 s0, v119, v25
	v_cndmask_b32_e64 v163, 0, v163, s0
	v_cmp_lt_i32_e64 s0, v118, v25
	s_delay_alu instid0(VALU_DEP_1) | instskip(SKIP_1) | instid1(VALU_DEP_1)
	v_cndmask_b32_e64 v161, 0, v161, s0
	v_cmp_lt_i32_e64 s0, v117, v25
	v_cndmask_b32_e64 v160, 0, v160, s0
; %bb.1303:                             ;   in Loop: Header=BB239_1064 Depth=1
	s_or_b32 exec_lo, exec_lo, s10
	flat_load_b32 v23, v[14:15] offset:896
	v_mov_b32_e32 v16, 0
	v_mov_b32_e32 v17, 0
	s_mov_b32 s10, exec_lo
	s_waitcnt vmcnt(0) lgkmcnt(0)
	v_and_b32_e32 v8, 0xff, v23
	s_delay_alu instid0(VALU_DEP_2) | instskip(NEXT) | instid1(VALU_DEP_2)
	v_dual_mov_b32 v4, v16 :: v_dual_mov_b32 v5, v17
	v_cmpx_ne_u16_e32 0, v8
	s_cbranch_execz .LBB239_1311
; %bb.1304:                             ;   in Loop: Header=BB239_1064 Depth=1
	v_bfrev_b32_e32 v4, 1
	v_mov_b32_e32 v5, 0
	s_mov_b32 s13, exec_lo
	v_cmpx_ne_u16_e32 0x80, v8
	s_cbranch_execz .LBB239_1310
; %bb.1305:                             ;   in Loop: Header=BB239_1064 Depth=1
	v_mov_b32_e32 v4, 0x7f800001
	v_dual_mov_b32 v5, 0 :: v_dual_and_b32 v18, 0x7f, v23
	s_mov_b32 s15, exec_lo
	s_delay_alu instid0(VALU_DEP_1)
	v_cmpx_ne_u32_e32 0x7f, v18
	s_cbranch_execz .LBB239_1309
; %bb.1306:                             ;   in Loop: Header=BB239_1064 Depth=1
	v_and_b32_e32 v8, 7, v23
	v_lshrrev_b32_e32 v4, 3, v18
	s_mov_b32 s16, exec_lo
	v_cmpx_gt_u32_e32 8, v18
; %bb.1307:                             ;   in Loop: Header=BB239_1064 Depth=1
	s_delay_alu instid0(VALU_DEP_3) | instskip(NEXT) | instid1(VALU_DEP_1)
	v_clz_i32_u32_e32 v4, v8
	v_min_u32_e32 v4, 32, v4
	s_delay_alu instid0(VALU_DEP_1) | instskip(SKIP_1) | instid1(VALU_DEP_2)
	v_subrev_nc_u32_e32 v5, 28, v4
	v_sub_nc_u32_e32 v4, 29, v4
	v_lshlrev_b64 v[18:19], v5, v[8:9]
	s_delay_alu instid0(VALU_DEP_1)
	v_and_b32_e32 v8, 7, v18
; %bb.1308:                             ;   in Loop: Header=BB239_1064 Depth=1
	s_or_b32 exec_lo, exec_lo, s16
	v_lshlrev_b32_e32 v5, 24, v23
	s_delay_alu instid0(VALU_DEP_2) | instskip(SKIP_1) | instid1(VALU_DEP_3)
	v_lshlrev_b32_e32 v8, 20, v8
	v_lshl_add_u32 v4, v4, 23, 0x3c000000
	v_and_b32_e32 v5, 0x80000000, v5
	s_delay_alu instid0(VALU_DEP_1) | instskip(NEXT) | instid1(VALU_DEP_1)
	v_or3_b32 v8, v8, v5, v4
	v_dual_mov_b32 v4, v8 :: v_dual_mov_b32 v5, v9
.LBB239_1309:                           ;   in Loop: Header=BB239_1064 Depth=1
	s_or_b32 exec_lo, exec_lo, s15
.LBB239_1310:                           ;   in Loop: Header=BB239_1064 Depth=1
	s_delay_alu instid0(SALU_CYCLE_1)
	s_or_b32 exec_lo, exec_lo, s13
.LBB239_1311:                           ;   in Loop: Header=BB239_1064 Depth=1
	s_delay_alu instid0(SALU_CYCLE_1) | instskip(SKIP_2) | instid1(VALU_DEP_1)
	s_or_b32 exec_lo, exec_lo, s10
	v_lshrrev_b16 v8, 8, v23
	s_mov_b32 s13, exec_lo
	v_cmpx_ne_u16_e32 0, v8
	s_cbranch_execz .LBB239_1319
; %bb.1312:                             ;   in Loop: Header=BB239_1064 Depth=1
	v_dual_mov_b32 v17, s9 :: v_dual_mov_b32 v16, s8
	s_mov_b32 s15, exec_lo
	v_cmpx_ne_u16_e32 0x80, v8
	s_cbranch_execz .LBB239_1318
; %bb.1313:                             ;   in Loop: Header=BB239_1064 Depth=1
	s_mov_b32 s10, s8
	v_dual_mov_b32 v17, s11 :: v_dual_and_b32 v8, 0xffff, v8
	v_mov_b32_e32 v16, s10
	s_mov_b32 s10, exec_lo
	s_delay_alu instid0(VALU_DEP_2) | instskip(NEXT) | instid1(VALU_DEP_1)
	v_and_b32_e32 v18, 0x7f, v8
	v_cmpx_ne_u32_e32 0x7f, v18
	s_cbranch_execz .LBB239_1317
; %bb.1314:                             ;   in Loop: Header=BB239_1064 Depth=1
	v_and_b32_e32 v8, 7, v8
	v_lshrrev_b32_e32 v16, 3, v18
	s_mov_b32 s16, exec_lo
	v_cmpx_gt_u32_e32 8, v18
; %bb.1315:                             ;   in Loop: Header=BB239_1064 Depth=1
	s_delay_alu instid0(VALU_DEP_3) | instskip(NEXT) | instid1(VALU_DEP_1)
	v_clz_i32_u32_e32 v16, v8
	v_min_u32_e32 v16, 32, v16
	s_delay_alu instid0(VALU_DEP_1) | instskip(SKIP_1) | instid1(VALU_DEP_2)
	v_subrev_nc_u32_e32 v17, 28, v16
	v_sub_nc_u32_e32 v16, 29, v16
	v_lshlrev_b64 v[17:18], v17, v[8:9]
	s_delay_alu instid0(VALU_DEP_1)
	v_and_b32_e32 v8, 7, v17
; %bb.1316:                             ;   in Loop: Header=BB239_1064 Depth=1
	s_or_b32 exec_lo, exec_lo, s16
	v_lshlrev_b32_e32 v17, 16, v23
	s_delay_alu instid0(VALU_DEP_2) | instskip(SKIP_1) | instid1(VALU_DEP_3)
	v_lshlrev_b32_e32 v8, 20, v8
	v_lshl_add_u32 v16, v16, 23, 0x3c000000
	v_and_b32_e32 v17, 0x80000000, v17
	s_delay_alu instid0(VALU_DEP_1)
	v_or3_b32 v17, v8, v17, v16
	v_mov_b32_e32 v16, v9
.LBB239_1317:                           ;   in Loop: Header=BB239_1064 Depth=1
	s_or_b32 exec_lo, exec_lo, s10
.LBB239_1318:                           ;   in Loop: Header=BB239_1064 Depth=1
	s_delay_alu instid0(SALU_CYCLE_1)
	s_or_b32 exec_lo, exec_lo, s15
.LBB239_1319:                           ;   in Loop: Header=BB239_1064 Depth=1
	s_delay_alu instid0(SALU_CYCLE_1) | instskip(SKIP_3) | instid1(VALU_DEP_2)
	s_or_b32 exec_lo, exec_lo, s13
	v_lshrrev_b32_e32 v27, 16, v23
	v_mov_b32_e32 v21, 0
	v_mov_b32_e32 v22, 0
	;; [unrolled: 1-line block ×3, first 2 shown]
	s_mov_b32 s10, exec_lo
	s_delay_alu instid0(VALU_DEP_2) | instskip(NEXT) | instid1(VALU_DEP_1)
	v_dual_mov_b32 v19, v22 :: v_dual_and_b32 v8, 0xff, v27
	v_cmpx_ne_u16_e32 0, v8
	s_cbranch_execz .LBB239_1327
; %bb.1320:                             ;   in Loop: Header=BB239_1064 Depth=1
	v_bfrev_b32_e32 v18, 1
	v_mov_b32_e32 v19, 0
	s_mov_b32 s13, exec_lo
	v_cmpx_ne_u16_e32 0x80, v8
	s_cbranch_execz .LBB239_1326
; %bb.1321:                             ;   in Loop: Header=BB239_1064 Depth=1
	v_mov_b32_e32 v18, 0x7f800001
	v_bfe_u32 v85, v23, 16, 7
	v_mov_b32_e32 v19, 0
	s_mov_b32 s15, exec_lo
	s_delay_alu instid0(VALU_DEP_2)
	v_cmpx_ne_u32_e32 0x7f, v85
	s_cbranch_execz .LBB239_1325
; %bb.1322:                             ;   in Loop: Header=BB239_1064 Depth=1
	v_and_b32_e32 v8, 7, v27
	v_lshrrev_b32_e32 v18, 3, v85
	s_mov_b32 s16, exec_lo
	v_cmpx_gt_u32_e32 8, v85
; %bb.1323:                             ;   in Loop: Header=BB239_1064 Depth=1
	s_delay_alu instid0(VALU_DEP_3) | instskip(NEXT) | instid1(VALU_DEP_1)
	v_clz_i32_u32_e32 v18, v8
	v_min_u32_e32 v18, 32, v18
	s_delay_alu instid0(VALU_DEP_1) | instskip(SKIP_1) | instid1(VALU_DEP_2)
	v_subrev_nc_u32_e32 v19, 28, v18
	v_sub_nc_u32_e32 v18, 29, v18
	v_lshlrev_b64 v[85:86], v19, v[8:9]
	s_delay_alu instid0(VALU_DEP_1)
	v_and_b32_e32 v8, 7, v85
; %bb.1324:                             ;   in Loop: Header=BB239_1064 Depth=1
	s_or_b32 exec_lo, exec_lo, s16
	v_lshlrev_b32_e32 v19, 24, v27
	s_delay_alu instid0(VALU_DEP_2) | instskip(SKIP_1) | instid1(VALU_DEP_3)
	v_lshlrev_b32_e32 v8, 20, v8
	v_lshl_add_u32 v18, v18, 23, 0x3c000000
	v_and_b32_e32 v19, 0x80000000, v19
	s_delay_alu instid0(VALU_DEP_1) | instskip(NEXT) | instid1(VALU_DEP_1)
	v_or3_b32 v8, v8, v19, v18
	v_dual_mov_b32 v19, v9 :: v_dual_mov_b32 v18, v8
.LBB239_1325:                           ;   in Loop: Header=BB239_1064 Depth=1
	s_or_b32 exec_lo, exec_lo, s15
.LBB239_1326:                           ;   in Loop: Header=BB239_1064 Depth=1
	s_delay_alu instid0(SALU_CYCLE_1)
	s_or_b32 exec_lo, exec_lo, s13
.LBB239_1327:                           ;   in Loop: Header=BB239_1064 Depth=1
	s_delay_alu instid0(SALU_CYCLE_1) | instskip(NEXT) | instid1(SALU_CYCLE_1)
	s_or_b32 exec_lo, exec_lo, s10
	s_mov_b32 s13, exec_lo
	v_cmpx_lt_u32_e32 0xffffff, v23
	s_cbranch_execz .LBB239_1335
; %bb.1328:                             ;   in Loop: Header=BB239_1064 Depth=1
	v_lshrrev_b32_e32 v27, 24, v23
	v_dual_mov_b32 v22, s9 :: v_dual_mov_b32 v21, s8
	s_mov_b32 s15, exec_lo
	s_delay_alu instid0(VALU_DEP_2)
	v_cmpx_ne_u32_e32 0x80, v27
	s_cbranch_execz .LBB239_1334
; %bb.1329:                             ;   in Loop: Header=BB239_1064 Depth=1
	s_mov_b32 s10, s8
	v_bfe_u32 v23, v23, 24, 7
	v_dual_mov_b32 v22, s11 :: v_dual_mov_b32 v21, s10
	s_mov_b32 s10, exec_lo
	s_delay_alu instid0(VALU_DEP_2)
	v_cmpx_ne_u32_e32 0x7f, v23
	s_cbranch_execz .LBB239_1333
; %bb.1330:                             ;   in Loop: Header=BB239_1064 Depth=1
	v_and_b32_e32 v8, 7, v27
	v_lshrrev_b32_e32 v21, 3, v23
	s_mov_b32 s16, exec_lo
	v_cmpx_gt_u32_e32 8, v23
; %bb.1331:                             ;   in Loop: Header=BB239_1064 Depth=1
	s_delay_alu instid0(VALU_DEP_3) | instskip(NEXT) | instid1(VALU_DEP_1)
	v_clz_i32_u32_e32 v21, v8
	v_min_u32_e32 v21, 32, v21
	s_delay_alu instid0(VALU_DEP_1) | instskip(SKIP_1) | instid1(VALU_DEP_2)
	v_subrev_nc_u32_e32 v22, 28, v21
	v_sub_nc_u32_e32 v21, 29, v21
	v_lshlrev_b64 v[22:23], v22, v[8:9]
	s_delay_alu instid0(VALU_DEP_1)
	v_and_b32_e32 v8, 7, v22
; %bb.1332:                             ;   in Loop: Header=BB239_1064 Depth=1
	s_or_b32 exec_lo, exec_lo, s16
	v_lshlrev_b32_e32 v22, 24, v27
	s_delay_alu instid0(VALU_DEP_2) | instskip(SKIP_1) | instid1(VALU_DEP_3)
	v_lshlrev_b32_e32 v8, 20, v8
	v_lshl_add_u32 v21, v21, 23, 0x3c000000
	v_and_b32_e32 v22, 0x80000000, v22
	s_delay_alu instid0(VALU_DEP_1)
	v_or3_b32 v22, v8, v22, v21
	v_mov_b32_e32 v21, v9
.LBB239_1333:                           ;   in Loop: Header=BB239_1064 Depth=1
	s_or_b32 exec_lo, exec_lo, s10
.LBB239_1334:                           ;   in Loop: Header=BB239_1064 Depth=1
	s_delay_alu instid0(SALU_CYCLE_1)
	s_or_b32 exec_lo, exec_lo, s15
.LBB239_1335:                           ;   in Loop: Header=BB239_1064 Depth=1
	s_delay_alu instid0(SALU_CYCLE_1) | instskip(SKIP_4) | instid1(VALU_DEP_4)
	s_or_b32 exec_lo, exec_lo, s13
	v_or_b32_e32 v5, v17, v5
	v_or_b32_e32 v4, v16, v4
	;; [unrolled: 1-line block ×4, first 2 shown]
	v_mul_f32_e32 v167, v102, v5
	s_delay_alu instid0(VALU_DEP_4) | instskip(NEXT) | instid1(VALU_DEP_4)
	v_mul_f32_e32 v166, v102, v4
	v_mul_f32_e32 v164, v102, v8
	s_delay_alu instid0(VALU_DEP_4)
	v_mul_f32_e32 v165, v102, v16
	s_and_saveexec_b32 s10, vcc_lo
; %bb.1336:                             ;   in Loop: Header=BB239_1064 Depth=1
	v_cmp_lt_i32_e64 s0, v116, v25
	s_delay_alu instid0(VALU_DEP_1) | instskip(SKIP_1) | instid1(VALU_DEP_1)
	v_cndmask_b32_e64 v166, 0, v166, s0
	v_cmp_lt_i32_e64 s0, v119, v25
	v_cndmask_b32_e64 v167, 0, v167, s0
	v_cmp_lt_i32_e64 s0, v118, v25
	s_delay_alu instid0(VALU_DEP_1) | instskip(SKIP_1) | instid1(VALU_DEP_1)
	v_cndmask_b32_e64 v165, 0, v165, s0
	v_cmp_lt_i32_e64 s0, v117, v25
	v_cndmask_b32_e64 v164, 0, v164, s0
; %bb.1337:                             ;   in Loop: Header=BB239_1064 Depth=1
	s_or_b32 exec_lo, exec_lo, s10
	flat_load_b32 v23, v[14:15] offset:1024
	v_mov_b32_e32 v16, 0
	v_mov_b32_e32 v17, 0
	s_mov_b32 s10, exec_lo
	s_waitcnt vmcnt(0) lgkmcnt(0)
	v_and_b32_e32 v8, 0xff, v23
	s_delay_alu instid0(VALU_DEP_2) | instskip(NEXT) | instid1(VALU_DEP_2)
	v_dual_mov_b32 v4, v16 :: v_dual_mov_b32 v5, v17
	v_cmpx_ne_u16_e32 0, v8
	s_cbranch_execz .LBB239_1345
; %bb.1338:                             ;   in Loop: Header=BB239_1064 Depth=1
	v_bfrev_b32_e32 v4, 1
	v_mov_b32_e32 v5, 0
	s_mov_b32 s13, exec_lo
	v_cmpx_ne_u16_e32 0x80, v8
	s_cbranch_execz .LBB239_1344
; %bb.1339:                             ;   in Loop: Header=BB239_1064 Depth=1
	v_mov_b32_e32 v4, 0x7f800001
	v_dual_mov_b32 v5, 0 :: v_dual_and_b32 v18, 0x7f, v23
	s_mov_b32 s15, exec_lo
	s_delay_alu instid0(VALU_DEP_1)
	v_cmpx_ne_u32_e32 0x7f, v18
	s_cbranch_execz .LBB239_1343
; %bb.1340:                             ;   in Loop: Header=BB239_1064 Depth=1
	v_and_b32_e32 v8, 7, v23
	v_lshrrev_b32_e32 v4, 3, v18
	s_mov_b32 s16, exec_lo
	v_cmpx_gt_u32_e32 8, v18
; %bb.1341:                             ;   in Loop: Header=BB239_1064 Depth=1
	s_delay_alu instid0(VALU_DEP_3) | instskip(NEXT) | instid1(VALU_DEP_1)
	v_clz_i32_u32_e32 v4, v8
	v_min_u32_e32 v4, 32, v4
	s_delay_alu instid0(VALU_DEP_1) | instskip(SKIP_1) | instid1(VALU_DEP_2)
	v_subrev_nc_u32_e32 v5, 28, v4
	v_sub_nc_u32_e32 v4, 29, v4
	v_lshlrev_b64 v[18:19], v5, v[8:9]
	s_delay_alu instid0(VALU_DEP_1)
	v_and_b32_e32 v8, 7, v18
; %bb.1342:                             ;   in Loop: Header=BB239_1064 Depth=1
	s_or_b32 exec_lo, exec_lo, s16
	v_lshlrev_b32_e32 v5, 24, v23
	s_delay_alu instid0(VALU_DEP_2) | instskip(SKIP_1) | instid1(VALU_DEP_3)
	v_lshlrev_b32_e32 v8, 20, v8
	v_lshl_add_u32 v4, v4, 23, 0x3c000000
	v_and_b32_e32 v5, 0x80000000, v5
	s_delay_alu instid0(VALU_DEP_1) | instskip(NEXT) | instid1(VALU_DEP_1)
	v_or3_b32 v8, v8, v5, v4
	v_dual_mov_b32 v4, v8 :: v_dual_mov_b32 v5, v9
.LBB239_1343:                           ;   in Loop: Header=BB239_1064 Depth=1
	s_or_b32 exec_lo, exec_lo, s15
.LBB239_1344:                           ;   in Loop: Header=BB239_1064 Depth=1
	s_delay_alu instid0(SALU_CYCLE_1)
	s_or_b32 exec_lo, exec_lo, s13
.LBB239_1345:                           ;   in Loop: Header=BB239_1064 Depth=1
	s_delay_alu instid0(SALU_CYCLE_1) | instskip(SKIP_2) | instid1(VALU_DEP_1)
	s_or_b32 exec_lo, exec_lo, s10
	v_lshrrev_b16 v8, 8, v23
	s_mov_b32 s13, exec_lo
	v_cmpx_ne_u16_e32 0, v8
	s_cbranch_execz .LBB239_1353
; %bb.1346:                             ;   in Loop: Header=BB239_1064 Depth=1
	v_dual_mov_b32 v17, s9 :: v_dual_mov_b32 v16, s8
	s_mov_b32 s15, exec_lo
	v_cmpx_ne_u16_e32 0x80, v8
	s_cbranch_execz .LBB239_1352
; %bb.1347:                             ;   in Loop: Header=BB239_1064 Depth=1
	s_mov_b32 s10, s8
	v_dual_mov_b32 v17, s11 :: v_dual_and_b32 v8, 0xffff, v8
	v_mov_b32_e32 v16, s10
	s_mov_b32 s10, exec_lo
	s_delay_alu instid0(VALU_DEP_2) | instskip(NEXT) | instid1(VALU_DEP_1)
	v_and_b32_e32 v18, 0x7f, v8
	v_cmpx_ne_u32_e32 0x7f, v18
	s_cbranch_execz .LBB239_1351
; %bb.1348:                             ;   in Loop: Header=BB239_1064 Depth=1
	v_and_b32_e32 v8, 7, v8
	v_lshrrev_b32_e32 v16, 3, v18
	s_mov_b32 s16, exec_lo
	v_cmpx_gt_u32_e32 8, v18
; %bb.1349:                             ;   in Loop: Header=BB239_1064 Depth=1
	s_delay_alu instid0(VALU_DEP_3) | instskip(NEXT) | instid1(VALU_DEP_1)
	v_clz_i32_u32_e32 v16, v8
	v_min_u32_e32 v16, 32, v16
	s_delay_alu instid0(VALU_DEP_1) | instskip(SKIP_1) | instid1(VALU_DEP_2)
	v_subrev_nc_u32_e32 v17, 28, v16
	v_sub_nc_u32_e32 v16, 29, v16
	v_lshlrev_b64 v[17:18], v17, v[8:9]
	s_delay_alu instid0(VALU_DEP_1)
	v_and_b32_e32 v8, 7, v17
; %bb.1350:                             ;   in Loop: Header=BB239_1064 Depth=1
	s_or_b32 exec_lo, exec_lo, s16
	v_lshlrev_b32_e32 v17, 16, v23
	s_delay_alu instid0(VALU_DEP_2) | instskip(SKIP_1) | instid1(VALU_DEP_3)
	v_lshlrev_b32_e32 v8, 20, v8
	v_lshl_add_u32 v16, v16, 23, 0x3c000000
	v_and_b32_e32 v17, 0x80000000, v17
	s_delay_alu instid0(VALU_DEP_1)
	v_or3_b32 v17, v8, v17, v16
	v_mov_b32_e32 v16, v9
.LBB239_1351:                           ;   in Loop: Header=BB239_1064 Depth=1
	s_or_b32 exec_lo, exec_lo, s10
.LBB239_1352:                           ;   in Loop: Header=BB239_1064 Depth=1
	s_delay_alu instid0(SALU_CYCLE_1)
	s_or_b32 exec_lo, exec_lo, s15
.LBB239_1353:                           ;   in Loop: Header=BB239_1064 Depth=1
	s_delay_alu instid0(SALU_CYCLE_1) | instskip(SKIP_3) | instid1(VALU_DEP_2)
	s_or_b32 exec_lo, exec_lo, s13
	v_lshrrev_b32_e32 v27, 16, v23
	v_mov_b32_e32 v21, 0
	v_mov_b32_e32 v22, 0
	;; [unrolled: 1-line block ×3, first 2 shown]
	s_mov_b32 s10, exec_lo
	s_delay_alu instid0(VALU_DEP_2) | instskip(NEXT) | instid1(VALU_DEP_1)
	v_dual_mov_b32 v19, v22 :: v_dual_and_b32 v8, 0xff, v27
	v_cmpx_ne_u16_e32 0, v8
	s_cbranch_execz .LBB239_1361
; %bb.1354:                             ;   in Loop: Header=BB239_1064 Depth=1
	v_bfrev_b32_e32 v18, 1
	v_mov_b32_e32 v19, 0
	s_mov_b32 s13, exec_lo
	v_cmpx_ne_u16_e32 0x80, v8
	s_cbranch_execz .LBB239_1360
; %bb.1355:                             ;   in Loop: Header=BB239_1064 Depth=1
	v_mov_b32_e32 v18, 0x7f800001
	v_bfe_u32 v85, v23, 16, 7
	v_mov_b32_e32 v19, 0
	s_mov_b32 s15, exec_lo
	s_delay_alu instid0(VALU_DEP_2)
	v_cmpx_ne_u32_e32 0x7f, v85
	s_cbranch_execz .LBB239_1359
; %bb.1356:                             ;   in Loop: Header=BB239_1064 Depth=1
	v_and_b32_e32 v8, 7, v27
	v_lshrrev_b32_e32 v18, 3, v85
	s_mov_b32 s16, exec_lo
	v_cmpx_gt_u32_e32 8, v85
; %bb.1357:                             ;   in Loop: Header=BB239_1064 Depth=1
	s_delay_alu instid0(VALU_DEP_3) | instskip(NEXT) | instid1(VALU_DEP_1)
	v_clz_i32_u32_e32 v18, v8
	v_min_u32_e32 v18, 32, v18
	s_delay_alu instid0(VALU_DEP_1) | instskip(SKIP_1) | instid1(VALU_DEP_2)
	v_subrev_nc_u32_e32 v19, 28, v18
	v_sub_nc_u32_e32 v18, 29, v18
	v_lshlrev_b64 v[85:86], v19, v[8:9]
	s_delay_alu instid0(VALU_DEP_1)
	v_and_b32_e32 v8, 7, v85
; %bb.1358:                             ;   in Loop: Header=BB239_1064 Depth=1
	s_or_b32 exec_lo, exec_lo, s16
	v_lshlrev_b32_e32 v19, 24, v27
	s_delay_alu instid0(VALU_DEP_2) | instskip(SKIP_1) | instid1(VALU_DEP_3)
	v_lshlrev_b32_e32 v8, 20, v8
	v_lshl_add_u32 v18, v18, 23, 0x3c000000
	v_and_b32_e32 v19, 0x80000000, v19
	s_delay_alu instid0(VALU_DEP_1) | instskip(NEXT) | instid1(VALU_DEP_1)
	v_or3_b32 v8, v8, v19, v18
	v_dual_mov_b32 v19, v9 :: v_dual_mov_b32 v18, v8
.LBB239_1359:                           ;   in Loop: Header=BB239_1064 Depth=1
	s_or_b32 exec_lo, exec_lo, s15
.LBB239_1360:                           ;   in Loop: Header=BB239_1064 Depth=1
	s_delay_alu instid0(SALU_CYCLE_1)
	s_or_b32 exec_lo, exec_lo, s13
.LBB239_1361:                           ;   in Loop: Header=BB239_1064 Depth=1
	s_delay_alu instid0(SALU_CYCLE_1) | instskip(NEXT) | instid1(SALU_CYCLE_1)
	s_or_b32 exec_lo, exec_lo, s10
	s_mov_b32 s13, exec_lo
	v_cmpx_lt_u32_e32 0xffffff, v23
	s_cbranch_execz .LBB239_1369
; %bb.1362:                             ;   in Loop: Header=BB239_1064 Depth=1
	v_lshrrev_b32_e32 v27, 24, v23
	v_dual_mov_b32 v22, s9 :: v_dual_mov_b32 v21, s8
	s_mov_b32 s15, exec_lo
	s_delay_alu instid0(VALU_DEP_2)
	v_cmpx_ne_u32_e32 0x80, v27
	s_cbranch_execz .LBB239_1368
; %bb.1363:                             ;   in Loop: Header=BB239_1064 Depth=1
	s_mov_b32 s10, s8
	v_bfe_u32 v23, v23, 24, 7
	v_dual_mov_b32 v22, s11 :: v_dual_mov_b32 v21, s10
	s_mov_b32 s10, exec_lo
	s_delay_alu instid0(VALU_DEP_2)
	v_cmpx_ne_u32_e32 0x7f, v23
	s_cbranch_execz .LBB239_1367
; %bb.1364:                             ;   in Loop: Header=BB239_1064 Depth=1
	v_and_b32_e32 v8, 7, v27
	v_lshrrev_b32_e32 v21, 3, v23
	s_mov_b32 s16, exec_lo
	v_cmpx_gt_u32_e32 8, v23
; %bb.1365:                             ;   in Loop: Header=BB239_1064 Depth=1
	s_delay_alu instid0(VALU_DEP_3) | instskip(NEXT) | instid1(VALU_DEP_1)
	v_clz_i32_u32_e32 v21, v8
	v_min_u32_e32 v21, 32, v21
	s_delay_alu instid0(VALU_DEP_1) | instskip(SKIP_1) | instid1(VALU_DEP_2)
	v_subrev_nc_u32_e32 v22, 28, v21
	v_sub_nc_u32_e32 v21, 29, v21
	v_lshlrev_b64 v[22:23], v22, v[8:9]
	s_delay_alu instid0(VALU_DEP_1)
	v_and_b32_e32 v8, 7, v22
; %bb.1366:                             ;   in Loop: Header=BB239_1064 Depth=1
	s_or_b32 exec_lo, exec_lo, s16
	v_lshlrev_b32_e32 v22, 24, v27
	s_delay_alu instid0(VALU_DEP_2) | instskip(SKIP_1) | instid1(VALU_DEP_3)
	v_lshlrev_b32_e32 v8, 20, v8
	v_lshl_add_u32 v21, v21, 23, 0x3c000000
	v_and_b32_e32 v22, 0x80000000, v22
	s_delay_alu instid0(VALU_DEP_1)
	v_or3_b32 v22, v8, v22, v21
	v_mov_b32_e32 v21, v9
.LBB239_1367:                           ;   in Loop: Header=BB239_1064 Depth=1
	s_or_b32 exec_lo, exec_lo, s10
.LBB239_1368:                           ;   in Loop: Header=BB239_1064 Depth=1
	s_delay_alu instid0(SALU_CYCLE_1)
	s_or_b32 exec_lo, exec_lo, s15
.LBB239_1369:                           ;   in Loop: Header=BB239_1064 Depth=1
	s_delay_alu instid0(SALU_CYCLE_1) | instskip(SKIP_4) | instid1(VALU_DEP_4)
	s_or_b32 exec_lo, exec_lo, s13
	v_or_b32_e32 v5, v17, v5
	v_or_b32_e32 v4, v16, v4
	;; [unrolled: 1-line block ×4, first 2 shown]
	v_mul_f32_e32 v179, v102, v5
	s_delay_alu instid0(VALU_DEP_4) | instskip(NEXT) | instid1(VALU_DEP_4)
	v_mul_f32_e32 v178, v102, v4
	v_mul_f32_e32 v176, v102, v8
	s_delay_alu instid0(VALU_DEP_4)
	v_mul_f32_e32 v177, v102, v16
	s_and_saveexec_b32 s10, vcc_lo
; %bb.1370:                             ;   in Loop: Header=BB239_1064 Depth=1
	v_cmp_lt_i32_e64 s0, v116, v25
	s_delay_alu instid0(VALU_DEP_1) | instskip(SKIP_1) | instid1(VALU_DEP_1)
	v_cndmask_b32_e64 v178, 0, v178, s0
	v_cmp_lt_i32_e64 s0, v119, v25
	v_cndmask_b32_e64 v179, 0, v179, s0
	v_cmp_lt_i32_e64 s0, v118, v25
	s_delay_alu instid0(VALU_DEP_1) | instskip(SKIP_1) | instid1(VALU_DEP_1)
	v_cndmask_b32_e64 v177, 0, v177, s0
	v_cmp_lt_i32_e64 s0, v117, v25
	v_cndmask_b32_e64 v176, 0, v176, s0
; %bb.1371:                             ;   in Loop: Header=BB239_1064 Depth=1
	s_or_b32 exec_lo, exec_lo, s10
	flat_load_b32 v23, v[14:15] offset:1152
	v_mov_b32_e32 v16, 0
	v_mov_b32_e32 v17, 0
	s_mov_b32 s10, exec_lo
	s_waitcnt vmcnt(0) lgkmcnt(0)
	v_and_b32_e32 v8, 0xff, v23
	s_delay_alu instid0(VALU_DEP_2) | instskip(NEXT) | instid1(VALU_DEP_2)
	v_dual_mov_b32 v4, v16 :: v_dual_mov_b32 v5, v17
	v_cmpx_ne_u16_e32 0, v8
	s_cbranch_execz .LBB239_1379
; %bb.1372:                             ;   in Loop: Header=BB239_1064 Depth=1
	v_bfrev_b32_e32 v4, 1
	v_mov_b32_e32 v5, 0
	s_mov_b32 s13, exec_lo
	v_cmpx_ne_u16_e32 0x80, v8
	s_cbranch_execz .LBB239_1378
; %bb.1373:                             ;   in Loop: Header=BB239_1064 Depth=1
	v_mov_b32_e32 v4, 0x7f800001
	v_dual_mov_b32 v5, 0 :: v_dual_and_b32 v18, 0x7f, v23
	s_mov_b32 s15, exec_lo
	s_delay_alu instid0(VALU_DEP_1)
	v_cmpx_ne_u32_e32 0x7f, v18
	s_cbranch_execz .LBB239_1377
; %bb.1374:                             ;   in Loop: Header=BB239_1064 Depth=1
	v_and_b32_e32 v8, 7, v23
	v_lshrrev_b32_e32 v4, 3, v18
	s_mov_b32 s16, exec_lo
	v_cmpx_gt_u32_e32 8, v18
; %bb.1375:                             ;   in Loop: Header=BB239_1064 Depth=1
	s_delay_alu instid0(VALU_DEP_3) | instskip(NEXT) | instid1(VALU_DEP_1)
	v_clz_i32_u32_e32 v4, v8
	v_min_u32_e32 v4, 32, v4
	s_delay_alu instid0(VALU_DEP_1) | instskip(SKIP_1) | instid1(VALU_DEP_2)
	v_subrev_nc_u32_e32 v5, 28, v4
	v_sub_nc_u32_e32 v4, 29, v4
	v_lshlrev_b64 v[18:19], v5, v[8:9]
	s_delay_alu instid0(VALU_DEP_1)
	v_and_b32_e32 v8, 7, v18
; %bb.1376:                             ;   in Loop: Header=BB239_1064 Depth=1
	s_or_b32 exec_lo, exec_lo, s16
	v_lshlrev_b32_e32 v5, 24, v23
	s_delay_alu instid0(VALU_DEP_2) | instskip(SKIP_1) | instid1(VALU_DEP_3)
	v_lshlrev_b32_e32 v8, 20, v8
	v_lshl_add_u32 v4, v4, 23, 0x3c000000
	v_and_b32_e32 v5, 0x80000000, v5
	s_delay_alu instid0(VALU_DEP_1) | instskip(NEXT) | instid1(VALU_DEP_1)
	v_or3_b32 v8, v8, v5, v4
	v_dual_mov_b32 v4, v8 :: v_dual_mov_b32 v5, v9
.LBB239_1377:                           ;   in Loop: Header=BB239_1064 Depth=1
	s_or_b32 exec_lo, exec_lo, s15
.LBB239_1378:                           ;   in Loop: Header=BB239_1064 Depth=1
	s_delay_alu instid0(SALU_CYCLE_1)
	s_or_b32 exec_lo, exec_lo, s13
.LBB239_1379:                           ;   in Loop: Header=BB239_1064 Depth=1
	s_delay_alu instid0(SALU_CYCLE_1) | instskip(SKIP_2) | instid1(VALU_DEP_1)
	s_or_b32 exec_lo, exec_lo, s10
	v_lshrrev_b16 v8, 8, v23
	s_mov_b32 s13, exec_lo
	v_cmpx_ne_u16_e32 0, v8
	s_cbranch_execz .LBB239_1387
; %bb.1380:                             ;   in Loop: Header=BB239_1064 Depth=1
	v_dual_mov_b32 v17, s9 :: v_dual_mov_b32 v16, s8
	s_mov_b32 s15, exec_lo
	v_cmpx_ne_u16_e32 0x80, v8
	s_cbranch_execz .LBB239_1386
; %bb.1381:                             ;   in Loop: Header=BB239_1064 Depth=1
	s_mov_b32 s10, s8
	v_dual_mov_b32 v17, s11 :: v_dual_and_b32 v8, 0xffff, v8
	v_mov_b32_e32 v16, s10
	s_mov_b32 s10, exec_lo
	s_delay_alu instid0(VALU_DEP_2) | instskip(NEXT) | instid1(VALU_DEP_1)
	v_and_b32_e32 v18, 0x7f, v8
	v_cmpx_ne_u32_e32 0x7f, v18
	s_cbranch_execz .LBB239_1385
; %bb.1382:                             ;   in Loop: Header=BB239_1064 Depth=1
	v_and_b32_e32 v8, 7, v8
	v_lshrrev_b32_e32 v16, 3, v18
	s_mov_b32 s16, exec_lo
	v_cmpx_gt_u32_e32 8, v18
; %bb.1383:                             ;   in Loop: Header=BB239_1064 Depth=1
	s_delay_alu instid0(VALU_DEP_3) | instskip(NEXT) | instid1(VALU_DEP_1)
	v_clz_i32_u32_e32 v16, v8
	v_min_u32_e32 v16, 32, v16
	s_delay_alu instid0(VALU_DEP_1) | instskip(SKIP_1) | instid1(VALU_DEP_2)
	v_subrev_nc_u32_e32 v17, 28, v16
	v_sub_nc_u32_e32 v16, 29, v16
	v_lshlrev_b64 v[17:18], v17, v[8:9]
	s_delay_alu instid0(VALU_DEP_1)
	v_and_b32_e32 v8, 7, v17
; %bb.1384:                             ;   in Loop: Header=BB239_1064 Depth=1
	s_or_b32 exec_lo, exec_lo, s16
	v_lshlrev_b32_e32 v17, 16, v23
	s_delay_alu instid0(VALU_DEP_2) | instskip(SKIP_1) | instid1(VALU_DEP_3)
	v_lshlrev_b32_e32 v8, 20, v8
	v_lshl_add_u32 v16, v16, 23, 0x3c000000
	v_and_b32_e32 v17, 0x80000000, v17
	s_delay_alu instid0(VALU_DEP_1)
	v_or3_b32 v17, v8, v17, v16
	v_mov_b32_e32 v16, v9
.LBB239_1385:                           ;   in Loop: Header=BB239_1064 Depth=1
	s_or_b32 exec_lo, exec_lo, s10
.LBB239_1386:                           ;   in Loop: Header=BB239_1064 Depth=1
	s_delay_alu instid0(SALU_CYCLE_1)
	s_or_b32 exec_lo, exec_lo, s15
.LBB239_1387:                           ;   in Loop: Header=BB239_1064 Depth=1
	s_delay_alu instid0(SALU_CYCLE_1) | instskip(SKIP_3) | instid1(VALU_DEP_2)
	s_or_b32 exec_lo, exec_lo, s13
	v_lshrrev_b32_e32 v27, 16, v23
	v_mov_b32_e32 v21, 0
	v_mov_b32_e32 v22, 0
	v_mov_b32_e32 v18, v21
	s_mov_b32 s10, exec_lo
	s_delay_alu instid0(VALU_DEP_2) | instskip(NEXT) | instid1(VALU_DEP_1)
	v_dual_mov_b32 v19, v22 :: v_dual_and_b32 v8, 0xff, v27
	v_cmpx_ne_u16_e32 0, v8
	s_cbranch_execz .LBB239_1395
; %bb.1388:                             ;   in Loop: Header=BB239_1064 Depth=1
	v_bfrev_b32_e32 v18, 1
	v_mov_b32_e32 v19, 0
	s_mov_b32 s13, exec_lo
	v_cmpx_ne_u16_e32 0x80, v8
	s_cbranch_execz .LBB239_1394
; %bb.1389:                             ;   in Loop: Header=BB239_1064 Depth=1
	v_mov_b32_e32 v18, 0x7f800001
	v_bfe_u32 v85, v23, 16, 7
	v_mov_b32_e32 v19, 0
	s_mov_b32 s15, exec_lo
	s_delay_alu instid0(VALU_DEP_2)
	v_cmpx_ne_u32_e32 0x7f, v85
	s_cbranch_execz .LBB239_1393
; %bb.1390:                             ;   in Loop: Header=BB239_1064 Depth=1
	v_and_b32_e32 v8, 7, v27
	v_lshrrev_b32_e32 v18, 3, v85
	s_mov_b32 s16, exec_lo
	v_cmpx_gt_u32_e32 8, v85
; %bb.1391:                             ;   in Loop: Header=BB239_1064 Depth=1
	s_delay_alu instid0(VALU_DEP_3) | instskip(NEXT) | instid1(VALU_DEP_1)
	v_clz_i32_u32_e32 v18, v8
	v_min_u32_e32 v18, 32, v18
	s_delay_alu instid0(VALU_DEP_1) | instskip(SKIP_1) | instid1(VALU_DEP_2)
	v_subrev_nc_u32_e32 v19, 28, v18
	v_sub_nc_u32_e32 v18, 29, v18
	v_lshlrev_b64 v[85:86], v19, v[8:9]
	s_delay_alu instid0(VALU_DEP_1)
	v_and_b32_e32 v8, 7, v85
; %bb.1392:                             ;   in Loop: Header=BB239_1064 Depth=1
	s_or_b32 exec_lo, exec_lo, s16
	v_lshlrev_b32_e32 v19, 24, v27
	s_delay_alu instid0(VALU_DEP_2) | instskip(SKIP_1) | instid1(VALU_DEP_3)
	v_lshlrev_b32_e32 v8, 20, v8
	v_lshl_add_u32 v18, v18, 23, 0x3c000000
	v_and_b32_e32 v19, 0x80000000, v19
	s_delay_alu instid0(VALU_DEP_1) | instskip(NEXT) | instid1(VALU_DEP_1)
	v_or3_b32 v8, v8, v19, v18
	v_dual_mov_b32 v19, v9 :: v_dual_mov_b32 v18, v8
.LBB239_1393:                           ;   in Loop: Header=BB239_1064 Depth=1
	s_or_b32 exec_lo, exec_lo, s15
.LBB239_1394:                           ;   in Loop: Header=BB239_1064 Depth=1
	s_delay_alu instid0(SALU_CYCLE_1)
	s_or_b32 exec_lo, exec_lo, s13
.LBB239_1395:                           ;   in Loop: Header=BB239_1064 Depth=1
	s_delay_alu instid0(SALU_CYCLE_1) | instskip(NEXT) | instid1(SALU_CYCLE_1)
	s_or_b32 exec_lo, exec_lo, s10
	s_mov_b32 s13, exec_lo
	v_cmpx_lt_u32_e32 0xffffff, v23
	s_cbranch_execz .LBB239_1403
; %bb.1396:                             ;   in Loop: Header=BB239_1064 Depth=1
	v_lshrrev_b32_e32 v27, 24, v23
	v_dual_mov_b32 v22, s9 :: v_dual_mov_b32 v21, s8
	s_mov_b32 s15, exec_lo
	s_delay_alu instid0(VALU_DEP_2)
	v_cmpx_ne_u32_e32 0x80, v27
	s_cbranch_execz .LBB239_1402
; %bb.1397:                             ;   in Loop: Header=BB239_1064 Depth=1
	s_mov_b32 s10, s8
	v_bfe_u32 v23, v23, 24, 7
	v_dual_mov_b32 v22, s11 :: v_dual_mov_b32 v21, s10
	s_mov_b32 s10, exec_lo
	s_delay_alu instid0(VALU_DEP_2)
	v_cmpx_ne_u32_e32 0x7f, v23
	s_cbranch_execz .LBB239_1401
; %bb.1398:                             ;   in Loop: Header=BB239_1064 Depth=1
	v_and_b32_e32 v8, 7, v27
	v_lshrrev_b32_e32 v21, 3, v23
	s_mov_b32 s16, exec_lo
	v_cmpx_gt_u32_e32 8, v23
; %bb.1399:                             ;   in Loop: Header=BB239_1064 Depth=1
	s_delay_alu instid0(VALU_DEP_3) | instskip(NEXT) | instid1(VALU_DEP_1)
	v_clz_i32_u32_e32 v21, v8
	v_min_u32_e32 v21, 32, v21
	s_delay_alu instid0(VALU_DEP_1) | instskip(SKIP_1) | instid1(VALU_DEP_2)
	v_subrev_nc_u32_e32 v22, 28, v21
	v_sub_nc_u32_e32 v21, 29, v21
	v_lshlrev_b64 v[22:23], v22, v[8:9]
	s_delay_alu instid0(VALU_DEP_1)
	v_and_b32_e32 v8, 7, v22
; %bb.1400:                             ;   in Loop: Header=BB239_1064 Depth=1
	s_or_b32 exec_lo, exec_lo, s16
	v_lshlrev_b32_e32 v22, 24, v27
	s_delay_alu instid0(VALU_DEP_2) | instskip(SKIP_1) | instid1(VALU_DEP_3)
	v_lshlrev_b32_e32 v8, 20, v8
	v_lshl_add_u32 v21, v21, 23, 0x3c000000
	v_and_b32_e32 v22, 0x80000000, v22
	s_delay_alu instid0(VALU_DEP_1)
	v_or3_b32 v22, v8, v22, v21
	v_mov_b32_e32 v21, v9
.LBB239_1401:                           ;   in Loop: Header=BB239_1064 Depth=1
	s_or_b32 exec_lo, exec_lo, s10
.LBB239_1402:                           ;   in Loop: Header=BB239_1064 Depth=1
	s_delay_alu instid0(SALU_CYCLE_1)
	s_or_b32 exec_lo, exec_lo, s15
.LBB239_1403:                           ;   in Loop: Header=BB239_1064 Depth=1
	s_delay_alu instid0(SALU_CYCLE_1) | instskip(SKIP_4) | instid1(VALU_DEP_4)
	s_or_b32 exec_lo, exec_lo, s13
	v_or_b32_e32 v5, v17, v5
	v_or_b32_e32 v4, v16, v4
	;; [unrolled: 1-line block ×4, first 2 shown]
	v_mul_f32_e32 v183, v102, v5
	s_delay_alu instid0(VALU_DEP_4) | instskip(NEXT) | instid1(VALU_DEP_4)
	v_mul_f32_e32 v182, v102, v4
	v_mul_f32_e32 v180, v102, v8
	s_delay_alu instid0(VALU_DEP_4)
	v_mul_f32_e32 v181, v102, v16
	s_and_saveexec_b32 s10, vcc_lo
; %bb.1404:                             ;   in Loop: Header=BB239_1064 Depth=1
	v_cmp_lt_i32_e64 s0, v116, v25
	s_delay_alu instid0(VALU_DEP_1) | instskip(SKIP_1) | instid1(VALU_DEP_1)
	v_cndmask_b32_e64 v182, 0, v182, s0
	v_cmp_lt_i32_e64 s0, v119, v25
	v_cndmask_b32_e64 v183, 0, v183, s0
	v_cmp_lt_i32_e64 s0, v118, v25
	s_delay_alu instid0(VALU_DEP_1) | instskip(SKIP_1) | instid1(VALU_DEP_1)
	v_cndmask_b32_e64 v181, 0, v181, s0
	v_cmp_lt_i32_e64 s0, v117, v25
	v_cndmask_b32_e64 v180, 0, v180, s0
; %bb.1405:                             ;   in Loop: Header=BB239_1064 Depth=1
	s_or_b32 exec_lo, exec_lo, s10
	flat_load_b32 v23, v[14:15] offset:1280
	v_mov_b32_e32 v16, 0
	v_mov_b32_e32 v17, 0
	s_mov_b32 s10, exec_lo
	s_waitcnt vmcnt(0) lgkmcnt(0)
	v_and_b32_e32 v8, 0xff, v23
	s_delay_alu instid0(VALU_DEP_2) | instskip(NEXT) | instid1(VALU_DEP_2)
	v_dual_mov_b32 v4, v16 :: v_dual_mov_b32 v5, v17
	v_cmpx_ne_u16_e32 0, v8
	s_cbranch_execz .LBB239_1413
; %bb.1406:                             ;   in Loop: Header=BB239_1064 Depth=1
	v_bfrev_b32_e32 v4, 1
	v_mov_b32_e32 v5, 0
	s_mov_b32 s13, exec_lo
	v_cmpx_ne_u16_e32 0x80, v8
	s_cbranch_execz .LBB239_1412
; %bb.1407:                             ;   in Loop: Header=BB239_1064 Depth=1
	v_mov_b32_e32 v4, 0x7f800001
	v_dual_mov_b32 v5, 0 :: v_dual_and_b32 v18, 0x7f, v23
	s_mov_b32 s15, exec_lo
	s_delay_alu instid0(VALU_DEP_1)
	v_cmpx_ne_u32_e32 0x7f, v18
	s_cbranch_execz .LBB239_1411
; %bb.1408:                             ;   in Loop: Header=BB239_1064 Depth=1
	v_and_b32_e32 v8, 7, v23
	v_lshrrev_b32_e32 v4, 3, v18
	s_mov_b32 s16, exec_lo
	v_cmpx_gt_u32_e32 8, v18
; %bb.1409:                             ;   in Loop: Header=BB239_1064 Depth=1
	s_delay_alu instid0(VALU_DEP_3) | instskip(NEXT) | instid1(VALU_DEP_1)
	v_clz_i32_u32_e32 v4, v8
	v_min_u32_e32 v4, 32, v4
	s_delay_alu instid0(VALU_DEP_1) | instskip(SKIP_1) | instid1(VALU_DEP_2)
	v_subrev_nc_u32_e32 v5, 28, v4
	v_sub_nc_u32_e32 v4, 29, v4
	v_lshlrev_b64 v[18:19], v5, v[8:9]
	s_delay_alu instid0(VALU_DEP_1)
	v_and_b32_e32 v8, 7, v18
; %bb.1410:                             ;   in Loop: Header=BB239_1064 Depth=1
	s_or_b32 exec_lo, exec_lo, s16
	v_lshlrev_b32_e32 v5, 24, v23
	s_delay_alu instid0(VALU_DEP_2) | instskip(SKIP_1) | instid1(VALU_DEP_3)
	v_lshlrev_b32_e32 v8, 20, v8
	v_lshl_add_u32 v4, v4, 23, 0x3c000000
	v_and_b32_e32 v5, 0x80000000, v5
	s_delay_alu instid0(VALU_DEP_1) | instskip(NEXT) | instid1(VALU_DEP_1)
	v_or3_b32 v8, v8, v5, v4
	v_dual_mov_b32 v4, v8 :: v_dual_mov_b32 v5, v9
.LBB239_1411:                           ;   in Loop: Header=BB239_1064 Depth=1
	s_or_b32 exec_lo, exec_lo, s15
.LBB239_1412:                           ;   in Loop: Header=BB239_1064 Depth=1
	s_delay_alu instid0(SALU_CYCLE_1)
	s_or_b32 exec_lo, exec_lo, s13
.LBB239_1413:                           ;   in Loop: Header=BB239_1064 Depth=1
	s_delay_alu instid0(SALU_CYCLE_1) | instskip(SKIP_2) | instid1(VALU_DEP_1)
	s_or_b32 exec_lo, exec_lo, s10
	v_lshrrev_b16 v8, 8, v23
	s_mov_b32 s13, exec_lo
	v_cmpx_ne_u16_e32 0, v8
	s_cbranch_execz .LBB239_1421
; %bb.1414:                             ;   in Loop: Header=BB239_1064 Depth=1
	v_dual_mov_b32 v17, s9 :: v_dual_mov_b32 v16, s8
	s_mov_b32 s15, exec_lo
	v_cmpx_ne_u16_e32 0x80, v8
	s_cbranch_execz .LBB239_1420
; %bb.1415:                             ;   in Loop: Header=BB239_1064 Depth=1
	s_mov_b32 s10, s8
	v_dual_mov_b32 v17, s11 :: v_dual_and_b32 v8, 0xffff, v8
	v_mov_b32_e32 v16, s10
	s_mov_b32 s10, exec_lo
	s_delay_alu instid0(VALU_DEP_2) | instskip(NEXT) | instid1(VALU_DEP_1)
	v_and_b32_e32 v18, 0x7f, v8
	v_cmpx_ne_u32_e32 0x7f, v18
	s_cbranch_execz .LBB239_1419
; %bb.1416:                             ;   in Loop: Header=BB239_1064 Depth=1
	v_and_b32_e32 v8, 7, v8
	v_lshrrev_b32_e32 v16, 3, v18
	s_mov_b32 s16, exec_lo
	v_cmpx_gt_u32_e32 8, v18
; %bb.1417:                             ;   in Loop: Header=BB239_1064 Depth=1
	s_delay_alu instid0(VALU_DEP_3) | instskip(NEXT) | instid1(VALU_DEP_1)
	v_clz_i32_u32_e32 v16, v8
	v_min_u32_e32 v16, 32, v16
	s_delay_alu instid0(VALU_DEP_1) | instskip(SKIP_1) | instid1(VALU_DEP_2)
	v_subrev_nc_u32_e32 v17, 28, v16
	v_sub_nc_u32_e32 v16, 29, v16
	v_lshlrev_b64 v[17:18], v17, v[8:9]
	s_delay_alu instid0(VALU_DEP_1)
	v_and_b32_e32 v8, 7, v17
; %bb.1418:                             ;   in Loop: Header=BB239_1064 Depth=1
	s_or_b32 exec_lo, exec_lo, s16
	v_lshlrev_b32_e32 v17, 16, v23
	s_delay_alu instid0(VALU_DEP_2) | instskip(SKIP_1) | instid1(VALU_DEP_3)
	v_lshlrev_b32_e32 v8, 20, v8
	v_lshl_add_u32 v16, v16, 23, 0x3c000000
	v_and_b32_e32 v17, 0x80000000, v17
	s_delay_alu instid0(VALU_DEP_1)
	v_or3_b32 v17, v8, v17, v16
	v_mov_b32_e32 v16, v9
.LBB239_1419:                           ;   in Loop: Header=BB239_1064 Depth=1
	s_or_b32 exec_lo, exec_lo, s10
.LBB239_1420:                           ;   in Loop: Header=BB239_1064 Depth=1
	s_delay_alu instid0(SALU_CYCLE_1)
	s_or_b32 exec_lo, exec_lo, s15
.LBB239_1421:                           ;   in Loop: Header=BB239_1064 Depth=1
	s_delay_alu instid0(SALU_CYCLE_1) | instskip(SKIP_3) | instid1(VALU_DEP_2)
	s_or_b32 exec_lo, exec_lo, s13
	v_lshrrev_b32_e32 v27, 16, v23
	v_mov_b32_e32 v21, 0
	v_mov_b32_e32 v22, 0
	;; [unrolled: 1-line block ×3, first 2 shown]
	s_mov_b32 s10, exec_lo
	s_delay_alu instid0(VALU_DEP_2) | instskip(NEXT) | instid1(VALU_DEP_1)
	v_dual_mov_b32 v19, v22 :: v_dual_and_b32 v8, 0xff, v27
	v_cmpx_ne_u16_e32 0, v8
	s_cbranch_execz .LBB239_1429
; %bb.1422:                             ;   in Loop: Header=BB239_1064 Depth=1
	v_bfrev_b32_e32 v18, 1
	v_mov_b32_e32 v19, 0
	s_mov_b32 s13, exec_lo
	v_cmpx_ne_u16_e32 0x80, v8
	s_cbranch_execz .LBB239_1428
; %bb.1423:                             ;   in Loop: Header=BB239_1064 Depth=1
	v_mov_b32_e32 v18, 0x7f800001
	v_bfe_u32 v85, v23, 16, 7
	v_mov_b32_e32 v19, 0
	s_mov_b32 s15, exec_lo
	s_delay_alu instid0(VALU_DEP_2)
	v_cmpx_ne_u32_e32 0x7f, v85
	s_cbranch_execz .LBB239_1427
; %bb.1424:                             ;   in Loop: Header=BB239_1064 Depth=1
	v_and_b32_e32 v8, 7, v27
	v_lshrrev_b32_e32 v18, 3, v85
	s_mov_b32 s16, exec_lo
	v_cmpx_gt_u32_e32 8, v85
; %bb.1425:                             ;   in Loop: Header=BB239_1064 Depth=1
	s_delay_alu instid0(VALU_DEP_3) | instskip(NEXT) | instid1(VALU_DEP_1)
	v_clz_i32_u32_e32 v18, v8
	v_min_u32_e32 v18, 32, v18
	s_delay_alu instid0(VALU_DEP_1) | instskip(SKIP_1) | instid1(VALU_DEP_2)
	v_subrev_nc_u32_e32 v19, 28, v18
	v_sub_nc_u32_e32 v18, 29, v18
	v_lshlrev_b64 v[85:86], v19, v[8:9]
	s_delay_alu instid0(VALU_DEP_1)
	v_and_b32_e32 v8, 7, v85
; %bb.1426:                             ;   in Loop: Header=BB239_1064 Depth=1
	s_or_b32 exec_lo, exec_lo, s16
	v_lshlrev_b32_e32 v19, 24, v27
	s_delay_alu instid0(VALU_DEP_2) | instskip(SKIP_1) | instid1(VALU_DEP_3)
	v_lshlrev_b32_e32 v8, 20, v8
	v_lshl_add_u32 v18, v18, 23, 0x3c000000
	v_and_b32_e32 v19, 0x80000000, v19
	s_delay_alu instid0(VALU_DEP_1) | instskip(NEXT) | instid1(VALU_DEP_1)
	v_or3_b32 v8, v8, v19, v18
	v_dual_mov_b32 v19, v9 :: v_dual_mov_b32 v18, v8
.LBB239_1427:                           ;   in Loop: Header=BB239_1064 Depth=1
	s_or_b32 exec_lo, exec_lo, s15
.LBB239_1428:                           ;   in Loop: Header=BB239_1064 Depth=1
	s_delay_alu instid0(SALU_CYCLE_1)
	s_or_b32 exec_lo, exec_lo, s13
.LBB239_1429:                           ;   in Loop: Header=BB239_1064 Depth=1
	s_delay_alu instid0(SALU_CYCLE_1) | instskip(NEXT) | instid1(SALU_CYCLE_1)
	s_or_b32 exec_lo, exec_lo, s10
	s_mov_b32 s13, exec_lo
	v_cmpx_lt_u32_e32 0xffffff, v23
	s_cbranch_execz .LBB239_1437
; %bb.1430:                             ;   in Loop: Header=BB239_1064 Depth=1
	v_lshrrev_b32_e32 v27, 24, v23
	v_dual_mov_b32 v22, s9 :: v_dual_mov_b32 v21, s8
	s_mov_b32 s15, exec_lo
	s_delay_alu instid0(VALU_DEP_2)
	v_cmpx_ne_u32_e32 0x80, v27
	s_cbranch_execz .LBB239_1436
; %bb.1431:                             ;   in Loop: Header=BB239_1064 Depth=1
	s_mov_b32 s10, s8
	v_bfe_u32 v23, v23, 24, 7
	v_dual_mov_b32 v22, s11 :: v_dual_mov_b32 v21, s10
	s_mov_b32 s10, exec_lo
	s_delay_alu instid0(VALU_DEP_2)
	v_cmpx_ne_u32_e32 0x7f, v23
	s_cbranch_execz .LBB239_1435
; %bb.1432:                             ;   in Loop: Header=BB239_1064 Depth=1
	v_and_b32_e32 v8, 7, v27
	v_lshrrev_b32_e32 v21, 3, v23
	s_mov_b32 s16, exec_lo
	v_cmpx_gt_u32_e32 8, v23
; %bb.1433:                             ;   in Loop: Header=BB239_1064 Depth=1
	s_delay_alu instid0(VALU_DEP_3) | instskip(NEXT) | instid1(VALU_DEP_1)
	v_clz_i32_u32_e32 v21, v8
	v_min_u32_e32 v21, 32, v21
	s_delay_alu instid0(VALU_DEP_1) | instskip(SKIP_1) | instid1(VALU_DEP_2)
	v_subrev_nc_u32_e32 v22, 28, v21
	v_sub_nc_u32_e32 v21, 29, v21
	v_lshlrev_b64 v[22:23], v22, v[8:9]
	s_delay_alu instid0(VALU_DEP_1)
	v_and_b32_e32 v8, 7, v22
; %bb.1434:                             ;   in Loop: Header=BB239_1064 Depth=1
	s_or_b32 exec_lo, exec_lo, s16
	v_lshlrev_b32_e32 v22, 24, v27
	s_delay_alu instid0(VALU_DEP_2) | instskip(SKIP_1) | instid1(VALU_DEP_3)
	v_lshlrev_b32_e32 v8, 20, v8
	v_lshl_add_u32 v21, v21, 23, 0x3c000000
	v_and_b32_e32 v22, 0x80000000, v22
	s_delay_alu instid0(VALU_DEP_1)
	v_or3_b32 v22, v8, v22, v21
	v_mov_b32_e32 v21, v9
.LBB239_1435:                           ;   in Loop: Header=BB239_1064 Depth=1
	s_or_b32 exec_lo, exec_lo, s10
.LBB239_1436:                           ;   in Loop: Header=BB239_1064 Depth=1
	s_delay_alu instid0(SALU_CYCLE_1)
	s_or_b32 exec_lo, exec_lo, s15
.LBB239_1437:                           ;   in Loop: Header=BB239_1064 Depth=1
	s_delay_alu instid0(SALU_CYCLE_1) | instskip(SKIP_4) | instid1(VALU_DEP_4)
	s_or_b32 exec_lo, exec_lo, s13
	v_or_b32_e32 v5, v17, v5
	v_or_b32_e32 v4, v16, v4
	;; [unrolled: 1-line block ×4, first 2 shown]
	v_mul_f32_e32 v43, v102, v5
	s_delay_alu instid0(VALU_DEP_4) | instskip(NEXT) | instid1(VALU_DEP_4)
	v_mul_f32_e32 v42, v102, v4
	v_mul_f32_e32 v40, v102, v8
	s_delay_alu instid0(VALU_DEP_4)
	v_mul_f32_e32 v41, v102, v16
	s_and_saveexec_b32 s10, vcc_lo
; %bb.1438:                             ;   in Loop: Header=BB239_1064 Depth=1
	v_cmp_lt_i32_e64 s0, v116, v25
	s_delay_alu instid0(VALU_DEP_1) | instskip(SKIP_1) | instid1(VALU_DEP_1)
	v_cndmask_b32_e64 v42, 0, v42, s0
	v_cmp_lt_i32_e64 s0, v119, v25
	v_cndmask_b32_e64 v43, 0, v43, s0
	v_cmp_lt_i32_e64 s0, v118, v25
	s_delay_alu instid0(VALU_DEP_1) | instskip(SKIP_1) | instid1(VALU_DEP_1)
	v_cndmask_b32_e64 v41, 0, v41, s0
	v_cmp_lt_i32_e64 s0, v117, v25
	v_cndmask_b32_e64 v40, 0, v40, s0
; %bb.1439:                             ;   in Loop: Header=BB239_1064 Depth=1
	s_or_b32 exec_lo, exec_lo, s10
	flat_load_b32 v23, v[14:15] offset:1408
	v_mov_b32_e32 v16, 0
	v_mov_b32_e32 v17, 0
	s_mov_b32 s10, exec_lo
	s_waitcnt vmcnt(0) lgkmcnt(0)
	v_and_b32_e32 v8, 0xff, v23
	s_delay_alu instid0(VALU_DEP_2) | instskip(NEXT) | instid1(VALU_DEP_2)
	v_dual_mov_b32 v4, v16 :: v_dual_mov_b32 v5, v17
	v_cmpx_ne_u16_e32 0, v8
	s_cbranch_execz .LBB239_1447
; %bb.1440:                             ;   in Loop: Header=BB239_1064 Depth=1
	v_bfrev_b32_e32 v4, 1
	v_mov_b32_e32 v5, 0
	s_mov_b32 s13, exec_lo
	v_cmpx_ne_u16_e32 0x80, v8
	s_cbranch_execz .LBB239_1446
; %bb.1441:                             ;   in Loop: Header=BB239_1064 Depth=1
	v_mov_b32_e32 v4, 0x7f800001
	v_dual_mov_b32 v5, 0 :: v_dual_and_b32 v18, 0x7f, v23
	s_mov_b32 s15, exec_lo
	s_delay_alu instid0(VALU_DEP_1)
	v_cmpx_ne_u32_e32 0x7f, v18
	s_cbranch_execz .LBB239_1445
; %bb.1442:                             ;   in Loop: Header=BB239_1064 Depth=1
	v_and_b32_e32 v8, 7, v23
	v_lshrrev_b32_e32 v4, 3, v18
	s_mov_b32 s16, exec_lo
	v_cmpx_gt_u32_e32 8, v18
; %bb.1443:                             ;   in Loop: Header=BB239_1064 Depth=1
	s_delay_alu instid0(VALU_DEP_3) | instskip(NEXT) | instid1(VALU_DEP_1)
	v_clz_i32_u32_e32 v4, v8
	v_min_u32_e32 v4, 32, v4
	s_delay_alu instid0(VALU_DEP_1) | instskip(SKIP_1) | instid1(VALU_DEP_2)
	v_subrev_nc_u32_e32 v5, 28, v4
	v_sub_nc_u32_e32 v4, 29, v4
	v_lshlrev_b64 v[18:19], v5, v[8:9]
	s_delay_alu instid0(VALU_DEP_1)
	v_and_b32_e32 v8, 7, v18
; %bb.1444:                             ;   in Loop: Header=BB239_1064 Depth=1
	s_or_b32 exec_lo, exec_lo, s16
	v_lshlrev_b32_e32 v5, 24, v23
	s_delay_alu instid0(VALU_DEP_2) | instskip(SKIP_1) | instid1(VALU_DEP_3)
	v_lshlrev_b32_e32 v8, 20, v8
	v_lshl_add_u32 v4, v4, 23, 0x3c000000
	v_and_b32_e32 v5, 0x80000000, v5
	s_delay_alu instid0(VALU_DEP_1) | instskip(NEXT) | instid1(VALU_DEP_1)
	v_or3_b32 v8, v8, v5, v4
	v_dual_mov_b32 v4, v8 :: v_dual_mov_b32 v5, v9
.LBB239_1445:                           ;   in Loop: Header=BB239_1064 Depth=1
	s_or_b32 exec_lo, exec_lo, s15
.LBB239_1446:                           ;   in Loop: Header=BB239_1064 Depth=1
	s_delay_alu instid0(SALU_CYCLE_1)
	s_or_b32 exec_lo, exec_lo, s13
.LBB239_1447:                           ;   in Loop: Header=BB239_1064 Depth=1
	s_delay_alu instid0(SALU_CYCLE_1) | instskip(SKIP_2) | instid1(VALU_DEP_1)
	s_or_b32 exec_lo, exec_lo, s10
	v_lshrrev_b16 v8, 8, v23
	s_mov_b32 s13, exec_lo
	v_cmpx_ne_u16_e32 0, v8
	s_cbranch_execz .LBB239_1455
; %bb.1448:                             ;   in Loop: Header=BB239_1064 Depth=1
	v_dual_mov_b32 v17, s9 :: v_dual_mov_b32 v16, s8
	s_mov_b32 s15, exec_lo
	v_cmpx_ne_u16_e32 0x80, v8
	s_cbranch_execz .LBB239_1454
; %bb.1449:                             ;   in Loop: Header=BB239_1064 Depth=1
	s_mov_b32 s10, s8
	v_dual_mov_b32 v17, s11 :: v_dual_and_b32 v8, 0xffff, v8
	v_mov_b32_e32 v16, s10
	s_mov_b32 s10, exec_lo
	s_delay_alu instid0(VALU_DEP_2) | instskip(NEXT) | instid1(VALU_DEP_1)
	v_and_b32_e32 v18, 0x7f, v8
	v_cmpx_ne_u32_e32 0x7f, v18
	s_cbranch_execz .LBB239_1453
; %bb.1450:                             ;   in Loop: Header=BB239_1064 Depth=1
	v_and_b32_e32 v8, 7, v8
	v_lshrrev_b32_e32 v16, 3, v18
	s_mov_b32 s16, exec_lo
	v_cmpx_gt_u32_e32 8, v18
; %bb.1451:                             ;   in Loop: Header=BB239_1064 Depth=1
	s_delay_alu instid0(VALU_DEP_3) | instskip(NEXT) | instid1(VALU_DEP_1)
	v_clz_i32_u32_e32 v16, v8
	v_min_u32_e32 v16, 32, v16
	s_delay_alu instid0(VALU_DEP_1) | instskip(SKIP_1) | instid1(VALU_DEP_2)
	v_subrev_nc_u32_e32 v17, 28, v16
	v_sub_nc_u32_e32 v16, 29, v16
	v_lshlrev_b64 v[17:18], v17, v[8:9]
	s_delay_alu instid0(VALU_DEP_1)
	v_and_b32_e32 v8, 7, v17
; %bb.1452:                             ;   in Loop: Header=BB239_1064 Depth=1
	s_or_b32 exec_lo, exec_lo, s16
	v_lshlrev_b32_e32 v17, 16, v23
	s_delay_alu instid0(VALU_DEP_2) | instskip(SKIP_1) | instid1(VALU_DEP_3)
	v_lshlrev_b32_e32 v8, 20, v8
	v_lshl_add_u32 v16, v16, 23, 0x3c000000
	v_and_b32_e32 v17, 0x80000000, v17
	s_delay_alu instid0(VALU_DEP_1)
	v_or3_b32 v17, v8, v17, v16
	v_mov_b32_e32 v16, v9
.LBB239_1453:                           ;   in Loop: Header=BB239_1064 Depth=1
	s_or_b32 exec_lo, exec_lo, s10
.LBB239_1454:                           ;   in Loop: Header=BB239_1064 Depth=1
	s_delay_alu instid0(SALU_CYCLE_1)
	s_or_b32 exec_lo, exec_lo, s15
.LBB239_1455:                           ;   in Loop: Header=BB239_1064 Depth=1
	s_delay_alu instid0(SALU_CYCLE_1) | instskip(SKIP_3) | instid1(VALU_DEP_2)
	s_or_b32 exec_lo, exec_lo, s13
	v_lshrrev_b32_e32 v27, 16, v23
	v_mov_b32_e32 v21, 0
	v_mov_b32_e32 v22, 0
	;; [unrolled: 1-line block ×3, first 2 shown]
	s_mov_b32 s10, exec_lo
	s_delay_alu instid0(VALU_DEP_2) | instskip(NEXT) | instid1(VALU_DEP_1)
	v_dual_mov_b32 v19, v22 :: v_dual_and_b32 v8, 0xff, v27
	v_cmpx_ne_u16_e32 0, v8
	s_cbranch_execz .LBB239_1463
; %bb.1456:                             ;   in Loop: Header=BB239_1064 Depth=1
	v_bfrev_b32_e32 v18, 1
	v_mov_b32_e32 v19, 0
	s_mov_b32 s13, exec_lo
	v_cmpx_ne_u16_e32 0x80, v8
	s_cbranch_execz .LBB239_1462
; %bb.1457:                             ;   in Loop: Header=BB239_1064 Depth=1
	v_mov_b32_e32 v18, 0x7f800001
	v_bfe_u32 v85, v23, 16, 7
	v_mov_b32_e32 v19, 0
	s_mov_b32 s15, exec_lo
	s_delay_alu instid0(VALU_DEP_2)
	v_cmpx_ne_u32_e32 0x7f, v85
	s_cbranch_execz .LBB239_1461
; %bb.1458:                             ;   in Loop: Header=BB239_1064 Depth=1
	v_and_b32_e32 v8, 7, v27
	v_lshrrev_b32_e32 v18, 3, v85
	s_mov_b32 s16, exec_lo
	v_cmpx_gt_u32_e32 8, v85
; %bb.1459:                             ;   in Loop: Header=BB239_1064 Depth=1
	s_delay_alu instid0(VALU_DEP_3) | instskip(NEXT) | instid1(VALU_DEP_1)
	v_clz_i32_u32_e32 v18, v8
	v_min_u32_e32 v18, 32, v18
	s_delay_alu instid0(VALU_DEP_1) | instskip(SKIP_1) | instid1(VALU_DEP_2)
	v_subrev_nc_u32_e32 v19, 28, v18
	v_sub_nc_u32_e32 v18, 29, v18
	v_lshlrev_b64 v[85:86], v19, v[8:9]
	s_delay_alu instid0(VALU_DEP_1)
	v_and_b32_e32 v8, 7, v85
; %bb.1460:                             ;   in Loop: Header=BB239_1064 Depth=1
	s_or_b32 exec_lo, exec_lo, s16
	v_lshlrev_b32_e32 v19, 24, v27
	s_delay_alu instid0(VALU_DEP_2) | instskip(SKIP_1) | instid1(VALU_DEP_3)
	v_lshlrev_b32_e32 v8, 20, v8
	v_lshl_add_u32 v18, v18, 23, 0x3c000000
	v_and_b32_e32 v19, 0x80000000, v19
	s_delay_alu instid0(VALU_DEP_1) | instskip(NEXT) | instid1(VALU_DEP_1)
	v_or3_b32 v8, v8, v19, v18
	v_dual_mov_b32 v19, v9 :: v_dual_mov_b32 v18, v8
.LBB239_1461:                           ;   in Loop: Header=BB239_1064 Depth=1
	s_or_b32 exec_lo, exec_lo, s15
.LBB239_1462:                           ;   in Loop: Header=BB239_1064 Depth=1
	s_delay_alu instid0(SALU_CYCLE_1)
	s_or_b32 exec_lo, exec_lo, s13
.LBB239_1463:                           ;   in Loop: Header=BB239_1064 Depth=1
	s_delay_alu instid0(SALU_CYCLE_1) | instskip(NEXT) | instid1(SALU_CYCLE_1)
	s_or_b32 exec_lo, exec_lo, s10
	s_mov_b32 s13, exec_lo
	v_cmpx_lt_u32_e32 0xffffff, v23
	s_cbranch_execz .LBB239_1471
; %bb.1464:                             ;   in Loop: Header=BB239_1064 Depth=1
	v_lshrrev_b32_e32 v27, 24, v23
	v_dual_mov_b32 v22, s9 :: v_dual_mov_b32 v21, s8
	s_mov_b32 s15, exec_lo
	s_delay_alu instid0(VALU_DEP_2)
	v_cmpx_ne_u32_e32 0x80, v27
	s_cbranch_execz .LBB239_1470
; %bb.1465:                             ;   in Loop: Header=BB239_1064 Depth=1
	s_mov_b32 s10, s8
	v_bfe_u32 v23, v23, 24, 7
	v_dual_mov_b32 v22, s11 :: v_dual_mov_b32 v21, s10
	s_mov_b32 s10, exec_lo
	s_delay_alu instid0(VALU_DEP_2)
	v_cmpx_ne_u32_e32 0x7f, v23
	s_cbranch_execz .LBB239_1469
; %bb.1466:                             ;   in Loop: Header=BB239_1064 Depth=1
	v_and_b32_e32 v8, 7, v27
	v_lshrrev_b32_e32 v21, 3, v23
	s_mov_b32 s16, exec_lo
	v_cmpx_gt_u32_e32 8, v23
; %bb.1467:                             ;   in Loop: Header=BB239_1064 Depth=1
	s_delay_alu instid0(VALU_DEP_3) | instskip(NEXT) | instid1(VALU_DEP_1)
	v_clz_i32_u32_e32 v21, v8
	v_min_u32_e32 v21, 32, v21
	s_delay_alu instid0(VALU_DEP_1) | instskip(SKIP_1) | instid1(VALU_DEP_2)
	v_subrev_nc_u32_e32 v22, 28, v21
	v_sub_nc_u32_e32 v21, 29, v21
	v_lshlrev_b64 v[22:23], v22, v[8:9]
	s_delay_alu instid0(VALU_DEP_1)
	v_and_b32_e32 v8, 7, v22
; %bb.1468:                             ;   in Loop: Header=BB239_1064 Depth=1
	s_or_b32 exec_lo, exec_lo, s16
	v_lshlrev_b32_e32 v22, 24, v27
	s_delay_alu instid0(VALU_DEP_2) | instskip(SKIP_1) | instid1(VALU_DEP_3)
	v_lshlrev_b32_e32 v8, 20, v8
	v_lshl_add_u32 v21, v21, 23, 0x3c000000
	v_and_b32_e32 v22, 0x80000000, v22
	s_delay_alu instid0(VALU_DEP_1)
	v_or3_b32 v22, v8, v22, v21
	v_mov_b32_e32 v21, v9
.LBB239_1469:                           ;   in Loop: Header=BB239_1064 Depth=1
	s_or_b32 exec_lo, exec_lo, s10
.LBB239_1470:                           ;   in Loop: Header=BB239_1064 Depth=1
	s_delay_alu instid0(SALU_CYCLE_1)
	s_or_b32 exec_lo, exec_lo, s15
.LBB239_1471:                           ;   in Loop: Header=BB239_1064 Depth=1
	s_delay_alu instid0(SALU_CYCLE_1) | instskip(SKIP_4) | instid1(VALU_DEP_4)
	s_or_b32 exec_lo, exec_lo, s13
	v_or_b32_e32 v5, v17, v5
	v_or_b32_e32 v4, v16, v4
	;; [unrolled: 1-line block ×4, first 2 shown]
	v_mul_f32_e32 v56, v102, v5
	s_delay_alu instid0(VALU_DEP_4) | instskip(NEXT) | instid1(VALU_DEP_4)
	v_mul_f32_e32 v46, v102, v4
	v_mul_f32_e32 v44, v102, v8
	s_delay_alu instid0(VALU_DEP_4)
	v_mul_f32_e32 v45, v102, v16
	s_and_saveexec_b32 s10, vcc_lo
; %bb.1472:                             ;   in Loop: Header=BB239_1064 Depth=1
	v_cmp_lt_i32_e64 s0, v116, v25
	s_delay_alu instid0(VALU_DEP_1) | instskip(SKIP_1) | instid1(VALU_DEP_1)
	v_cndmask_b32_e64 v46, 0, v46, s0
	v_cmp_lt_i32_e64 s0, v119, v25
	v_cndmask_b32_e64 v56, 0, v56, s0
	v_cmp_lt_i32_e64 s0, v118, v25
	s_delay_alu instid0(VALU_DEP_1) | instskip(SKIP_1) | instid1(VALU_DEP_1)
	v_cndmask_b32_e64 v45, 0, v45, s0
	v_cmp_lt_i32_e64 s0, v117, v25
	v_cndmask_b32_e64 v44, 0, v44, s0
; %bb.1473:                             ;   in Loop: Header=BB239_1064 Depth=1
	s_or_b32 exec_lo, exec_lo, s10
	flat_load_b32 v23, v[14:15] offset:1536
	v_mov_b32_e32 v16, 0
	v_mov_b32_e32 v17, 0
	s_mov_b32 s10, exec_lo
	s_waitcnt vmcnt(0) lgkmcnt(0)
	v_and_b32_e32 v8, 0xff, v23
	s_delay_alu instid0(VALU_DEP_2) | instskip(NEXT) | instid1(VALU_DEP_2)
	v_dual_mov_b32 v4, v16 :: v_dual_mov_b32 v5, v17
	v_cmpx_ne_u16_e32 0, v8
	s_cbranch_execz .LBB239_1481
; %bb.1474:                             ;   in Loop: Header=BB239_1064 Depth=1
	v_bfrev_b32_e32 v4, 1
	v_mov_b32_e32 v5, 0
	s_mov_b32 s13, exec_lo
	v_cmpx_ne_u16_e32 0x80, v8
	s_cbranch_execz .LBB239_1480
; %bb.1475:                             ;   in Loop: Header=BB239_1064 Depth=1
	v_mov_b32_e32 v4, 0x7f800001
	v_dual_mov_b32 v5, 0 :: v_dual_and_b32 v18, 0x7f, v23
	s_mov_b32 s15, exec_lo
	s_delay_alu instid0(VALU_DEP_1)
	v_cmpx_ne_u32_e32 0x7f, v18
	s_cbranch_execz .LBB239_1479
; %bb.1476:                             ;   in Loop: Header=BB239_1064 Depth=1
	v_and_b32_e32 v8, 7, v23
	v_lshrrev_b32_e32 v4, 3, v18
	s_mov_b32 s16, exec_lo
	v_cmpx_gt_u32_e32 8, v18
; %bb.1477:                             ;   in Loop: Header=BB239_1064 Depth=1
	s_delay_alu instid0(VALU_DEP_3) | instskip(NEXT) | instid1(VALU_DEP_1)
	v_clz_i32_u32_e32 v4, v8
	v_min_u32_e32 v4, 32, v4
	s_delay_alu instid0(VALU_DEP_1) | instskip(SKIP_1) | instid1(VALU_DEP_2)
	v_subrev_nc_u32_e32 v5, 28, v4
	v_sub_nc_u32_e32 v4, 29, v4
	v_lshlrev_b64 v[18:19], v5, v[8:9]
	s_delay_alu instid0(VALU_DEP_1)
	v_and_b32_e32 v8, 7, v18
; %bb.1478:                             ;   in Loop: Header=BB239_1064 Depth=1
	s_or_b32 exec_lo, exec_lo, s16
	v_lshlrev_b32_e32 v5, 24, v23
	s_delay_alu instid0(VALU_DEP_2) | instskip(SKIP_1) | instid1(VALU_DEP_3)
	v_lshlrev_b32_e32 v8, 20, v8
	v_lshl_add_u32 v4, v4, 23, 0x3c000000
	v_and_b32_e32 v5, 0x80000000, v5
	s_delay_alu instid0(VALU_DEP_1) | instskip(NEXT) | instid1(VALU_DEP_1)
	v_or3_b32 v8, v8, v5, v4
	v_dual_mov_b32 v4, v8 :: v_dual_mov_b32 v5, v9
.LBB239_1479:                           ;   in Loop: Header=BB239_1064 Depth=1
	s_or_b32 exec_lo, exec_lo, s15
.LBB239_1480:                           ;   in Loop: Header=BB239_1064 Depth=1
	s_delay_alu instid0(SALU_CYCLE_1)
	s_or_b32 exec_lo, exec_lo, s13
.LBB239_1481:                           ;   in Loop: Header=BB239_1064 Depth=1
	s_delay_alu instid0(SALU_CYCLE_1) | instskip(SKIP_2) | instid1(VALU_DEP_1)
	s_or_b32 exec_lo, exec_lo, s10
	v_lshrrev_b16 v8, 8, v23
	s_mov_b32 s13, exec_lo
	v_cmpx_ne_u16_e32 0, v8
	s_cbranch_execz .LBB239_1489
; %bb.1482:                             ;   in Loop: Header=BB239_1064 Depth=1
	v_dual_mov_b32 v17, s9 :: v_dual_mov_b32 v16, s8
	s_mov_b32 s15, exec_lo
	v_cmpx_ne_u16_e32 0x80, v8
	s_cbranch_execz .LBB239_1488
; %bb.1483:                             ;   in Loop: Header=BB239_1064 Depth=1
	s_mov_b32 s10, s8
	v_dual_mov_b32 v17, s11 :: v_dual_and_b32 v8, 0xffff, v8
	v_mov_b32_e32 v16, s10
	s_mov_b32 s10, exec_lo
	s_delay_alu instid0(VALU_DEP_2) | instskip(NEXT) | instid1(VALU_DEP_1)
	v_and_b32_e32 v18, 0x7f, v8
	v_cmpx_ne_u32_e32 0x7f, v18
	s_cbranch_execz .LBB239_1487
; %bb.1484:                             ;   in Loop: Header=BB239_1064 Depth=1
	v_and_b32_e32 v8, 7, v8
	v_lshrrev_b32_e32 v16, 3, v18
	s_mov_b32 s16, exec_lo
	v_cmpx_gt_u32_e32 8, v18
; %bb.1485:                             ;   in Loop: Header=BB239_1064 Depth=1
	s_delay_alu instid0(VALU_DEP_3) | instskip(NEXT) | instid1(VALU_DEP_1)
	v_clz_i32_u32_e32 v16, v8
	v_min_u32_e32 v16, 32, v16
	s_delay_alu instid0(VALU_DEP_1) | instskip(SKIP_1) | instid1(VALU_DEP_2)
	v_subrev_nc_u32_e32 v17, 28, v16
	v_sub_nc_u32_e32 v16, 29, v16
	v_lshlrev_b64 v[17:18], v17, v[8:9]
	s_delay_alu instid0(VALU_DEP_1)
	v_and_b32_e32 v8, 7, v17
; %bb.1486:                             ;   in Loop: Header=BB239_1064 Depth=1
	s_or_b32 exec_lo, exec_lo, s16
	v_lshlrev_b32_e32 v17, 16, v23
	s_delay_alu instid0(VALU_DEP_2) | instskip(SKIP_1) | instid1(VALU_DEP_3)
	v_lshlrev_b32_e32 v8, 20, v8
	v_lshl_add_u32 v16, v16, 23, 0x3c000000
	v_and_b32_e32 v17, 0x80000000, v17
	s_delay_alu instid0(VALU_DEP_1)
	v_or3_b32 v17, v8, v17, v16
	v_mov_b32_e32 v16, v9
.LBB239_1487:                           ;   in Loop: Header=BB239_1064 Depth=1
	s_or_b32 exec_lo, exec_lo, s10
.LBB239_1488:                           ;   in Loop: Header=BB239_1064 Depth=1
	s_delay_alu instid0(SALU_CYCLE_1)
	s_or_b32 exec_lo, exec_lo, s15
.LBB239_1489:                           ;   in Loop: Header=BB239_1064 Depth=1
	s_delay_alu instid0(SALU_CYCLE_1) | instskip(SKIP_3) | instid1(VALU_DEP_2)
	s_or_b32 exec_lo, exec_lo, s13
	v_lshrrev_b32_e32 v27, 16, v23
	v_mov_b32_e32 v21, 0
	v_mov_b32_e32 v22, 0
	;; [unrolled: 1-line block ×3, first 2 shown]
	s_mov_b32 s10, exec_lo
	s_delay_alu instid0(VALU_DEP_2) | instskip(NEXT) | instid1(VALU_DEP_1)
	v_dual_mov_b32 v19, v22 :: v_dual_and_b32 v8, 0xff, v27
	v_cmpx_ne_u16_e32 0, v8
	s_cbranch_execz .LBB239_1497
; %bb.1490:                             ;   in Loop: Header=BB239_1064 Depth=1
	v_bfrev_b32_e32 v18, 1
	v_mov_b32_e32 v19, 0
	s_mov_b32 s13, exec_lo
	v_cmpx_ne_u16_e32 0x80, v8
	s_cbranch_execz .LBB239_1496
; %bb.1491:                             ;   in Loop: Header=BB239_1064 Depth=1
	v_mov_b32_e32 v18, 0x7f800001
	v_bfe_u32 v85, v23, 16, 7
	v_mov_b32_e32 v19, 0
	s_mov_b32 s15, exec_lo
	s_delay_alu instid0(VALU_DEP_2)
	v_cmpx_ne_u32_e32 0x7f, v85
	s_cbranch_execz .LBB239_1495
; %bb.1492:                             ;   in Loop: Header=BB239_1064 Depth=1
	v_and_b32_e32 v8, 7, v27
	v_lshrrev_b32_e32 v18, 3, v85
	s_mov_b32 s16, exec_lo
	v_cmpx_gt_u32_e32 8, v85
; %bb.1493:                             ;   in Loop: Header=BB239_1064 Depth=1
	s_delay_alu instid0(VALU_DEP_3) | instskip(NEXT) | instid1(VALU_DEP_1)
	v_clz_i32_u32_e32 v18, v8
	v_min_u32_e32 v18, 32, v18
	s_delay_alu instid0(VALU_DEP_1) | instskip(SKIP_1) | instid1(VALU_DEP_2)
	v_subrev_nc_u32_e32 v19, 28, v18
	v_sub_nc_u32_e32 v18, 29, v18
	v_lshlrev_b64 v[85:86], v19, v[8:9]
	s_delay_alu instid0(VALU_DEP_1)
	v_and_b32_e32 v8, 7, v85
; %bb.1494:                             ;   in Loop: Header=BB239_1064 Depth=1
	s_or_b32 exec_lo, exec_lo, s16
	v_lshlrev_b32_e32 v19, 24, v27
	s_delay_alu instid0(VALU_DEP_2) | instskip(SKIP_1) | instid1(VALU_DEP_3)
	v_lshlrev_b32_e32 v8, 20, v8
	v_lshl_add_u32 v18, v18, 23, 0x3c000000
	v_and_b32_e32 v19, 0x80000000, v19
	s_delay_alu instid0(VALU_DEP_1) | instskip(NEXT) | instid1(VALU_DEP_1)
	v_or3_b32 v8, v8, v19, v18
	v_dual_mov_b32 v19, v9 :: v_dual_mov_b32 v18, v8
.LBB239_1495:                           ;   in Loop: Header=BB239_1064 Depth=1
	s_or_b32 exec_lo, exec_lo, s15
.LBB239_1496:                           ;   in Loop: Header=BB239_1064 Depth=1
	s_delay_alu instid0(SALU_CYCLE_1)
	s_or_b32 exec_lo, exec_lo, s13
.LBB239_1497:                           ;   in Loop: Header=BB239_1064 Depth=1
	s_delay_alu instid0(SALU_CYCLE_1) | instskip(NEXT) | instid1(SALU_CYCLE_1)
	s_or_b32 exec_lo, exec_lo, s10
	s_mov_b32 s13, exec_lo
	v_cmpx_lt_u32_e32 0xffffff, v23
	s_cbranch_execz .LBB239_1505
; %bb.1498:                             ;   in Loop: Header=BB239_1064 Depth=1
	v_lshrrev_b32_e32 v27, 24, v23
	v_dual_mov_b32 v22, s9 :: v_dual_mov_b32 v21, s8
	s_mov_b32 s15, exec_lo
	s_delay_alu instid0(VALU_DEP_2)
	v_cmpx_ne_u32_e32 0x80, v27
	s_cbranch_execz .LBB239_1504
; %bb.1499:                             ;   in Loop: Header=BB239_1064 Depth=1
	s_mov_b32 s10, s8
	v_bfe_u32 v23, v23, 24, 7
	v_dual_mov_b32 v22, s11 :: v_dual_mov_b32 v21, s10
	s_mov_b32 s10, exec_lo
	s_delay_alu instid0(VALU_DEP_2)
	v_cmpx_ne_u32_e32 0x7f, v23
	s_cbranch_execz .LBB239_1503
; %bb.1500:                             ;   in Loop: Header=BB239_1064 Depth=1
	v_and_b32_e32 v8, 7, v27
	v_lshrrev_b32_e32 v21, 3, v23
	s_mov_b32 s16, exec_lo
	v_cmpx_gt_u32_e32 8, v23
; %bb.1501:                             ;   in Loop: Header=BB239_1064 Depth=1
	s_delay_alu instid0(VALU_DEP_3) | instskip(NEXT) | instid1(VALU_DEP_1)
	v_clz_i32_u32_e32 v21, v8
	v_min_u32_e32 v21, 32, v21
	s_delay_alu instid0(VALU_DEP_1) | instskip(SKIP_1) | instid1(VALU_DEP_2)
	v_subrev_nc_u32_e32 v22, 28, v21
	v_sub_nc_u32_e32 v21, 29, v21
	v_lshlrev_b64 v[22:23], v22, v[8:9]
	s_delay_alu instid0(VALU_DEP_1)
	v_and_b32_e32 v8, 7, v22
; %bb.1502:                             ;   in Loop: Header=BB239_1064 Depth=1
	s_or_b32 exec_lo, exec_lo, s16
	v_lshlrev_b32_e32 v22, 24, v27
	s_delay_alu instid0(VALU_DEP_2) | instskip(SKIP_1) | instid1(VALU_DEP_3)
	v_lshlrev_b32_e32 v8, 20, v8
	v_lshl_add_u32 v21, v21, 23, 0x3c000000
	v_and_b32_e32 v22, 0x80000000, v22
	s_delay_alu instid0(VALU_DEP_1)
	v_or3_b32 v22, v8, v22, v21
	v_mov_b32_e32 v21, v9
.LBB239_1503:                           ;   in Loop: Header=BB239_1064 Depth=1
	s_or_b32 exec_lo, exec_lo, s10
.LBB239_1504:                           ;   in Loop: Header=BB239_1064 Depth=1
	s_delay_alu instid0(SALU_CYCLE_1)
	s_or_b32 exec_lo, exec_lo, s15
.LBB239_1505:                           ;   in Loop: Header=BB239_1064 Depth=1
	s_delay_alu instid0(SALU_CYCLE_1) | instskip(SKIP_4) | instid1(VALU_DEP_4)
	s_or_b32 exec_lo, exec_lo, s13
	v_or_b32_e32 v5, v17, v5
	v_or_b32_e32 v4, v16, v4
	;; [unrolled: 1-line block ×4, first 2 shown]
	v_mul_f32_e32 v60, v102, v5
	s_delay_alu instid0(VALU_DEP_4) | instskip(NEXT) | instid1(VALU_DEP_4)
	v_mul_f32_e32 v59, v102, v4
	v_mul_f32_e32 v57, v102, v8
	s_delay_alu instid0(VALU_DEP_4)
	v_mul_f32_e32 v58, v102, v16
	s_and_saveexec_b32 s10, vcc_lo
; %bb.1506:                             ;   in Loop: Header=BB239_1064 Depth=1
	v_cmp_lt_i32_e64 s0, v116, v25
	s_delay_alu instid0(VALU_DEP_1) | instskip(SKIP_1) | instid1(VALU_DEP_1)
	v_cndmask_b32_e64 v59, 0, v59, s0
	v_cmp_lt_i32_e64 s0, v119, v25
	v_cndmask_b32_e64 v60, 0, v60, s0
	v_cmp_lt_i32_e64 s0, v118, v25
	s_delay_alu instid0(VALU_DEP_1) | instskip(SKIP_1) | instid1(VALU_DEP_1)
	v_cndmask_b32_e64 v58, 0, v58, s0
	v_cmp_lt_i32_e64 s0, v117, v25
	v_cndmask_b32_e64 v57, 0, v57, s0
; %bb.1507:                             ;   in Loop: Header=BB239_1064 Depth=1
	s_or_b32 exec_lo, exec_lo, s10
	flat_load_b32 v23, v[14:15] offset:1664
	v_mov_b32_e32 v16, 0
	v_mov_b32_e32 v17, 0
	s_mov_b32 s10, exec_lo
	s_waitcnt vmcnt(0) lgkmcnt(0)
	v_and_b32_e32 v8, 0xff, v23
	s_delay_alu instid0(VALU_DEP_2) | instskip(NEXT) | instid1(VALU_DEP_2)
	v_dual_mov_b32 v4, v16 :: v_dual_mov_b32 v5, v17
	v_cmpx_ne_u16_e32 0, v8
	s_cbranch_execz .LBB239_1515
; %bb.1508:                             ;   in Loop: Header=BB239_1064 Depth=1
	v_bfrev_b32_e32 v4, 1
	v_mov_b32_e32 v5, 0
	s_mov_b32 s13, exec_lo
	v_cmpx_ne_u16_e32 0x80, v8
	s_cbranch_execz .LBB239_1514
; %bb.1509:                             ;   in Loop: Header=BB239_1064 Depth=1
	v_mov_b32_e32 v4, 0x7f800001
	v_dual_mov_b32 v5, 0 :: v_dual_and_b32 v18, 0x7f, v23
	s_mov_b32 s15, exec_lo
	s_delay_alu instid0(VALU_DEP_1)
	v_cmpx_ne_u32_e32 0x7f, v18
	s_cbranch_execz .LBB239_1513
; %bb.1510:                             ;   in Loop: Header=BB239_1064 Depth=1
	v_and_b32_e32 v8, 7, v23
	v_lshrrev_b32_e32 v4, 3, v18
	s_mov_b32 s16, exec_lo
	v_cmpx_gt_u32_e32 8, v18
; %bb.1511:                             ;   in Loop: Header=BB239_1064 Depth=1
	s_delay_alu instid0(VALU_DEP_3) | instskip(NEXT) | instid1(VALU_DEP_1)
	v_clz_i32_u32_e32 v4, v8
	v_min_u32_e32 v4, 32, v4
	s_delay_alu instid0(VALU_DEP_1) | instskip(SKIP_1) | instid1(VALU_DEP_2)
	v_subrev_nc_u32_e32 v5, 28, v4
	v_sub_nc_u32_e32 v4, 29, v4
	v_lshlrev_b64 v[18:19], v5, v[8:9]
	s_delay_alu instid0(VALU_DEP_1)
	v_and_b32_e32 v8, 7, v18
; %bb.1512:                             ;   in Loop: Header=BB239_1064 Depth=1
	s_or_b32 exec_lo, exec_lo, s16
	v_lshlrev_b32_e32 v5, 24, v23
	s_delay_alu instid0(VALU_DEP_2) | instskip(SKIP_1) | instid1(VALU_DEP_3)
	v_lshlrev_b32_e32 v8, 20, v8
	v_lshl_add_u32 v4, v4, 23, 0x3c000000
	v_and_b32_e32 v5, 0x80000000, v5
	s_delay_alu instid0(VALU_DEP_1) | instskip(NEXT) | instid1(VALU_DEP_1)
	v_or3_b32 v8, v8, v5, v4
	v_dual_mov_b32 v4, v8 :: v_dual_mov_b32 v5, v9
.LBB239_1513:                           ;   in Loop: Header=BB239_1064 Depth=1
	s_or_b32 exec_lo, exec_lo, s15
.LBB239_1514:                           ;   in Loop: Header=BB239_1064 Depth=1
	s_delay_alu instid0(SALU_CYCLE_1)
	s_or_b32 exec_lo, exec_lo, s13
.LBB239_1515:                           ;   in Loop: Header=BB239_1064 Depth=1
	s_delay_alu instid0(SALU_CYCLE_1) | instskip(SKIP_2) | instid1(VALU_DEP_1)
	s_or_b32 exec_lo, exec_lo, s10
	v_lshrrev_b16 v8, 8, v23
	s_mov_b32 s13, exec_lo
	v_cmpx_ne_u16_e32 0, v8
	s_cbranch_execz .LBB239_1523
; %bb.1516:                             ;   in Loop: Header=BB239_1064 Depth=1
	v_dual_mov_b32 v17, s9 :: v_dual_mov_b32 v16, s8
	s_mov_b32 s15, exec_lo
	v_cmpx_ne_u16_e32 0x80, v8
	s_cbranch_execz .LBB239_1522
; %bb.1517:                             ;   in Loop: Header=BB239_1064 Depth=1
	s_mov_b32 s10, s8
	v_dual_mov_b32 v17, s11 :: v_dual_and_b32 v8, 0xffff, v8
	v_mov_b32_e32 v16, s10
	s_mov_b32 s10, exec_lo
	s_delay_alu instid0(VALU_DEP_2) | instskip(NEXT) | instid1(VALU_DEP_1)
	v_and_b32_e32 v18, 0x7f, v8
	v_cmpx_ne_u32_e32 0x7f, v18
	s_cbranch_execz .LBB239_1521
; %bb.1518:                             ;   in Loop: Header=BB239_1064 Depth=1
	v_and_b32_e32 v8, 7, v8
	v_lshrrev_b32_e32 v16, 3, v18
	s_mov_b32 s16, exec_lo
	v_cmpx_gt_u32_e32 8, v18
; %bb.1519:                             ;   in Loop: Header=BB239_1064 Depth=1
	s_delay_alu instid0(VALU_DEP_3) | instskip(NEXT) | instid1(VALU_DEP_1)
	v_clz_i32_u32_e32 v16, v8
	v_min_u32_e32 v16, 32, v16
	s_delay_alu instid0(VALU_DEP_1) | instskip(SKIP_1) | instid1(VALU_DEP_2)
	v_subrev_nc_u32_e32 v17, 28, v16
	v_sub_nc_u32_e32 v16, 29, v16
	v_lshlrev_b64 v[17:18], v17, v[8:9]
	s_delay_alu instid0(VALU_DEP_1)
	v_and_b32_e32 v8, 7, v17
; %bb.1520:                             ;   in Loop: Header=BB239_1064 Depth=1
	s_or_b32 exec_lo, exec_lo, s16
	v_lshlrev_b32_e32 v17, 16, v23
	s_delay_alu instid0(VALU_DEP_2) | instskip(SKIP_1) | instid1(VALU_DEP_3)
	v_lshlrev_b32_e32 v8, 20, v8
	v_lshl_add_u32 v16, v16, 23, 0x3c000000
	v_and_b32_e32 v17, 0x80000000, v17
	s_delay_alu instid0(VALU_DEP_1)
	v_or3_b32 v17, v8, v17, v16
	v_mov_b32_e32 v16, v9
.LBB239_1521:                           ;   in Loop: Header=BB239_1064 Depth=1
	s_or_b32 exec_lo, exec_lo, s10
.LBB239_1522:                           ;   in Loop: Header=BB239_1064 Depth=1
	s_delay_alu instid0(SALU_CYCLE_1)
	s_or_b32 exec_lo, exec_lo, s15
.LBB239_1523:                           ;   in Loop: Header=BB239_1064 Depth=1
	s_delay_alu instid0(SALU_CYCLE_1) | instskip(SKIP_3) | instid1(VALU_DEP_2)
	s_or_b32 exec_lo, exec_lo, s13
	v_lshrrev_b32_e32 v27, 16, v23
	v_mov_b32_e32 v21, 0
	v_mov_b32_e32 v22, 0
	;; [unrolled: 1-line block ×3, first 2 shown]
	s_mov_b32 s10, exec_lo
	s_delay_alu instid0(VALU_DEP_2) | instskip(NEXT) | instid1(VALU_DEP_1)
	v_dual_mov_b32 v19, v22 :: v_dual_and_b32 v8, 0xff, v27
	v_cmpx_ne_u16_e32 0, v8
	s_cbranch_execz .LBB239_1531
; %bb.1524:                             ;   in Loop: Header=BB239_1064 Depth=1
	v_bfrev_b32_e32 v18, 1
	v_mov_b32_e32 v19, 0
	s_mov_b32 s13, exec_lo
	v_cmpx_ne_u16_e32 0x80, v8
	s_cbranch_execz .LBB239_1530
; %bb.1525:                             ;   in Loop: Header=BB239_1064 Depth=1
	v_mov_b32_e32 v18, 0x7f800001
	v_bfe_u32 v85, v23, 16, 7
	v_mov_b32_e32 v19, 0
	s_mov_b32 s15, exec_lo
	s_delay_alu instid0(VALU_DEP_2)
	v_cmpx_ne_u32_e32 0x7f, v85
	s_cbranch_execz .LBB239_1529
; %bb.1526:                             ;   in Loop: Header=BB239_1064 Depth=1
	v_and_b32_e32 v8, 7, v27
	v_lshrrev_b32_e32 v18, 3, v85
	s_mov_b32 s16, exec_lo
	v_cmpx_gt_u32_e32 8, v85
; %bb.1527:                             ;   in Loop: Header=BB239_1064 Depth=1
	s_delay_alu instid0(VALU_DEP_3) | instskip(NEXT) | instid1(VALU_DEP_1)
	v_clz_i32_u32_e32 v18, v8
	v_min_u32_e32 v18, 32, v18
	s_delay_alu instid0(VALU_DEP_1) | instskip(SKIP_1) | instid1(VALU_DEP_2)
	v_subrev_nc_u32_e32 v19, 28, v18
	v_sub_nc_u32_e32 v18, 29, v18
	v_lshlrev_b64 v[85:86], v19, v[8:9]
	s_delay_alu instid0(VALU_DEP_1)
	v_and_b32_e32 v8, 7, v85
; %bb.1528:                             ;   in Loop: Header=BB239_1064 Depth=1
	s_or_b32 exec_lo, exec_lo, s16
	v_lshlrev_b32_e32 v19, 24, v27
	s_delay_alu instid0(VALU_DEP_2) | instskip(SKIP_1) | instid1(VALU_DEP_3)
	v_lshlrev_b32_e32 v8, 20, v8
	v_lshl_add_u32 v18, v18, 23, 0x3c000000
	v_and_b32_e32 v19, 0x80000000, v19
	s_delay_alu instid0(VALU_DEP_1) | instskip(NEXT) | instid1(VALU_DEP_1)
	v_or3_b32 v8, v8, v19, v18
	v_dual_mov_b32 v19, v9 :: v_dual_mov_b32 v18, v8
.LBB239_1529:                           ;   in Loop: Header=BB239_1064 Depth=1
	s_or_b32 exec_lo, exec_lo, s15
.LBB239_1530:                           ;   in Loop: Header=BB239_1064 Depth=1
	s_delay_alu instid0(SALU_CYCLE_1)
	s_or_b32 exec_lo, exec_lo, s13
.LBB239_1531:                           ;   in Loop: Header=BB239_1064 Depth=1
	s_delay_alu instid0(SALU_CYCLE_1) | instskip(NEXT) | instid1(SALU_CYCLE_1)
	s_or_b32 exec_lo, exec_lo, s10
	s_mov_b32 s13, exec_lo
	v_cmpx_lt_u32_e32 0xffffff, v23
	s_cbranch_execz .LBB239_1539
; %bb.1532:                             ;   in Loop: Header=BB239_1064 Depth=1
	v_lshrrev_b32_e32 v27, 24, v23
	v_dual_mov_b32 v22, s9 :: v_dual_mov_b32 v21, s8
	s_mov_b32 s15, exec_lo
	s_delay_alu instid0(VALU_DEP_2)
	v_cmpx_ne_u32_e32 0x80, v27
	s_cbranch_execz .LBB239_1538
; %bb.1533:                             ;   in Loop: Header=BB239_1064 Depth=1
	s_mov_b32 s10, s8
	v_bfe_u32 v23, v23, 24, 7
	v_dual_mov_b32 v22, s11 :: v_dual_mov_b32 v21, s10
	s_mov_b32 s10, exec_lo
	s_delay_alu instid0(VALU_DEP_2)
	v_cmpx_ne_u32_e32 0x7f, v23
	s_cbranch_execz .LBB239_1537
; %bb.1534:                             ;   in Loop: Header=BB239_1064 Depth=1
	v_and_b32_e32 v8, 7, v27
	v_lshrrev_b32_e32 v21, 3, v23
	s_mov_b32 s16, exec_lo
	v_cmpx_gt_u32_e32 8, v23
; %bb.1535:                             ;   in Loop: Header=BB239_1064 Depth=1
	s_delay_alu instid0(VALU_DEP_3) | instskip(NEXT) | instid1(VALU_DEP_1)
	v_clz_i32_u32_e32 v21, v8
	v_min_u32_e32 v21, 32, v21
	s_delay_alu instid0(VALU_DEP_1) | instskip(SKIP_1) | instid1(VALU_DEP_2)
	v_subrev_nc_u32_e32 v22, 28, v21
	v_sub_nc_u32_e32 v21, 29, v21
	v_lshlrev_b64 v[22:23], v22, v[8:9]
	s_delay_alu instid0(VALU_DEP_1)
	v_and_b32_e32 v8, 7, v22
; %bb.1536:                             ;   in Loop: Header=BB239_1064 Depth=1
	s_or_b32 exec_lo, exec_lo, s16
	v_lshlrev_b32_e32 v22, 24, v27
	s_delay_alu instid0(VALU_DEP_2) | instskip(SKIP_1) | instid1(VALU_DEP_3)
	v_lshlrev_b32_e32 v8, 20, v8
	v_lshl_add_u32 v21, v21, 23, 0x3c000000
	v_and_b32_e32 v22, 0x80000000, v22
	s_delay_alu instid0(VALU_DEP_1)
	v_or3_b32 v22, v8, v22, v21
	v_mov_b32_e32 v21, v9
.LBB239_1537:                           ;   in Loop: Header=BB239_1064 Depth=1
	s_or_b32 exec_lo, exec_lo, s10
.LBB239_1538:                           ;   in Loop: Header=BB239_1064 Depth=1
	s_delay_alu instid0(SALU_CYCLE_1)
	s_or_b32 exec_lo, exec_lo, s15
.LBB239_1539:                           ;   in Loop: Header=BB239_1064 Depth=1
	s_delay_alu instid0(SALU_CYCLE_1) | instskip(SKIP_4) | instid1(VALU_DEP_4)
	s_or_b32 exec_lo, exec_lo, s13
	v_or_b32_e32 v5, v17, v5
	v_or_b32_e32 v4, v16, v4
	;; [unrolled: 1-line block ×4, first 2 shown]
	v_mul_f32_e32 v72, v102, v5
	s_delay_alu instid0(VALU_DEP_4) | instskip(NEXT) | instid1(VALU_DEP_4)
	v_mul_f32_e32 v63, v102, v4
	v_mul_f32_e32 v61, v102, v8
	s_delay_alu instid0(VALU_DEP_4)
	v_mul_f32_e32 v62, v102, v16
	s_and_saveexec_b32 s10, vcc_lo
; %bb.1540:                             ;   in Loop: Header=BB239_1064 Depth=1
	v_cmp_lt_i32_e64 s0, v116, v25
	s_delay_alu instid0(VALU_DEP_1) | instskip(SKIP_1) | instid1(VALU_DEP_1)
	v_cndmask_b32_e64 v63, 0, v63, s0
	v_cmp_lt_i32_e64 s0, v119, v25
	v_cndmask_b32_e64 v72, 0, v72, s0
	v_cmp_lt_i32_e64 s0, v118, v25
	s_delay_alu instid0(VALU_DEP_1) | instskip(SKIP_1) | instid1(VALU_DEP_1)
	v_cndmask_b32_e64 v62, 0, v62, s0
	v_cmp_lt_i32_e64 s0, v117, v25
	v_cndmask_b32_e64 v61, 0, v61, s0
; %bb.1541:                             ;   in Loop: Header=BB239_1064 Depth=1
	s_or_b32 exec_lo, exec_lo, s10
	flat_load_b32 v23, v[14:15] offset:1792
	v_mov_b32_e32 v16, 0
	v_mov_b32_e32 v17, 0
	s_mov_b32 s10, exec_lo
	s_waitcnt vmcnt(0) lgkmcnt(0)
	v_and_b32_e32 v8, 0xff, v23
	s_delay_alu instid0(VALU_DEP_2) | instskip(NEXT) | instid1(VALU_DEP_2)
	v_dual_mov_b32 v4, v16 :: v_dual_mov_b32 v5, v17
	v_cmpx_ne_u16_e32 0, v8
	s_cbranch_execz .LBB239_1549
; %bb.1542:                             ;   in Loop: Header=BB239_1064 Depth=1
	v_bfrev_b32_e32 v4, 1
	v_mov_b32_e32 v5, 0
	s_mov_b32 s13, exec_lo
	v_cmpx_ne_u16_e32 0x80, v8
	s_cbranch_execz .LBB239_1548
; %bb.1543:                             ;   in Loop: Header=BB239_1064 Depth=1
	v_mov_b32_e32 v4, 0x7f800001
	v_dual_mov_b32 v5, 0 :: v_dual_and_b32 v18, 0x7f, v23
	s_mov_b32 s15, exec_lo
	s_delay_alu instid0(VALU_DEP_1)
	v_cmpx_ne_u32_e32 0x7f, v18
	s_cbranch_execz .LBB239_1547
; %bb.1544:                             ;   in Loop: Header=BB239_1064 Depth=1
	v_and_b32_e32 v8, 7, v23
	v_lshrrev_b32_e32 v4, 3, v18
	s_mov_b32 s16, exec_lo
	v_cmpx_gt_u32_e32 8, v18
; %bb.1545:                             ;   in Loop: Header=BB239_1064 Depth=1
	s_delay_alu instid0(VALU_DEP_3) | instskip(NEXT) | instid1(VALU_DEP_1)
	v_clz_i32_u32_e32 v4, v8
	v_min_u32_e32 v4, 32, v4
	s_delay_alu instid0(VALU_DEP_1) | instskip(SKIP_1) | instid1(VALU_DEP_2)
	v_subrev_nc_u32_e32 v5, 28, v4
	v_sub_nc_u32_e32 v4, 29, v4
	v_lshlrev_b64 v[18:19], v5, v[8:9]
	s_delay_alu instid0(VALU_DEP_1)
	v_and_b32_e32 v8, 7, v18
; %bb.1546:                             ;   in Loop: Header=BB239_1064 Depth=1
	s_or_b32 exec_lo, exec_lo, s16
	v_lshlrev_b32_e32 v5, 24, v23
	s_delay_alu instid0(VALU_DEP_2) | instskip(SKIP_1) | instid1(VALU_DEP_3)
	v_lshlrev_b32_e32 v8, 20, v8
	v_lshl_add_u32 v4, v4, 23, 0x3c000000
	v_and_b32_e32 v5, 0x80000000, v5
	s_delay_alu instid0(VALU_DEP_1) | instskip(NEXT) | instid1(VALU_DEP_1)
	v_or3_b32 v8, v8, v5, v4
	v_dual_mov_b32 v4, v8 :: v_dual_mov_b32 v5, v9
.LBB239_1547:                           ;   in Loop: Header=BB239_1064 Depth=1
	s_or_b32 exec_lo, exec_lo, s15
.LBB239_1548:                           ;   in Loop: Header=BB239_1064 Depth=1
	s_delay_alu instid0(SALU_CYCLE_1)
	s_or_b32 exec_lo, exec_lo, s13
.LBB239_1549:                           ;   in Loop: Header=BB239_1064 Depth=1
	s_delay_alu instid0(SALU_CYCLE_1) | instskip(SKIP_2) | instid1(VALU_DEP_1)
	s_or_b32 exec_lo, exec_lo, s10
	v_lshrrev_b16 v8, 8, v23
	s_mov_b32 s13, exec_lo
	v_cmpx_ne_u16_e32 0, v8
	s_cbranch_execz .LBB239_1557
; %bb.1550:                             ;   in Loop: Header=BB239_1064 Depth=1
	v_dual_mov_b32 v17, s9 :: v_dual_mov_b32 v16, s8
	s_mov_b32 s15, exec_lo
	v_cmpx_ne_u16_e32 0x80, v8
	s_cbranch_execz .LBB239_1556
; %bb.1551:                             ;   in Loop: Header=BB239_1064 Depth=1
	s_mov_b32 s10, s8
	v_dual_mov_b32 v17, s11 :: v_dual_and_b32 v8, 0xffff, v8
	v_mov_b32_e32 v16, s10
	s_mov_b32 s10, exec_lo
	s_delay_alu instid0(VALU_DEP_2) | instskip(NEXT) | instid1(VALU_DEP_1)
	v_and_b32_e32 v18, 0x7f, v8
	v_cmpx_ne_u32_e32 0x7f, v18
	s_cbranch_execz .LBB239_1555
; %bb.1552:                             ;   in Loop: Header=BB239_1064 Depth=1
	v_and_b32_e32 v8, 7, v8
	v_lshrrev_b32_e32 v16, 3, v18
	s_mov_b32 s16, exec_lo
	v_cmpx_gt_u32_e32 8, v18
; %bb.1553:                             ;   in Loop: Header=BB239_1064 Depth=1
	s_delay_alu instid0(VALU_DEP_3) | instskip(NEXT) | instid1(VALU_DEP_1)
	v_clz_i32_u32_e32 v16, v8
	v_min_u32_e32 v16, 32, v16
	s_delay_alu instid0(VALU_DEP_1) | instskip(SKIP_1) | instid1(VALU_DEP_2)
	v_subrev_nc_u32_e32 v17, 28, v16
	v_sub_nc_u32_e32 v16, 29, v16
	v_lshlrev_b64 v[17:18], v17, v[8:9]
	s_delay_alu instid0(VALU_DEP_1)
	v_and_b32_e32 v8, 7, v17
; %bb.1554:                             ;   in Loop: Header=BB239_1064 Depth=1
	s_or_b32 exec_lo, exec_lo, s16
	v_lshlrev_b32_e32 v17, 16, v23
	s_delay_alu instid0(VALU_DEP_2) | instskip(SKIP_1) | instid1(VALU_DEP_3)
	v_lshlrev_b32_e32 v8, 20, v8
	v_lshl_add_u32 v16, v16, 23, 0x3c000000
	v_and_b32_e32 v17, 0x80000000, v17
	s_delay_alu instid0(VALU_DEP_1)
	v_or3_b32 v17, v8, v17, v16
	v_mov_b32_e32 v16, v9
.LBB239_1555:                           ;   in Loop: Header=BB239_1064 Depth=1
	s_or_b32 exec_lo, exec_lo, s10
.LBB239_1556:                           ;   in Loop: Header=BB239_1064 Depth=1
	s_delay_alu instid0(SALU_CYCLE_1)
	s_or_b32 exec_lo, exec_lo, s15
.LBB239_1557:                           ;   in Loop: Header=BB239_1064 Depth=1
	s_delay_alu instid0(SALU_CYCLE_1) | instskip(SKIP_3) | instid1(VALU_DEP_2)
	s_or_b32 exec_lo, exec_lo, s13
	v_lshrrev_b32_e32 v27, 16, v23
	v_mov_b32_e32 v21, 0
	v_mov_b32_e32 v22, 0
	;; [unrolled: 1-line block ×3, first 2 shown]
	s_mov_b32 s10, exec_lo
	s_delay_alu instid0(VALU_DEP_2) | instskip(NEXT) | instid1(VALU_DEP_1)
	v_dual_mov_b32 v19, v22 :: v_dual_and_b32 v8, 0xff, v27
	v_cmpx_ne_u16_e32 0, v8
	s_cbranch_execz .LBB239_1565
; %bb.1558:                             ;   in Loop: Header=BB239_1064 Depth=1
	v_bfrev_b32_e32 v18, 1
	v_mov_b32_e32 v19, 0
	s_mov_b32 s13, exec_lo
	v_cmpx_ne_u16_e32 0x80, v8
	s_cbranch_execz .LBB239_1564
; %bb.1559:                             ;   in Loop: Header=BB239_1064 Depth=1
	v_mov_b32_e32 v18, 0x7f800001
	v_bfe_u32 v85, v23, 16, 7
	v_mov_b32_e32 v19, 0
	s_mov_b32 s15, exec_lo
	s_delay_alu instid0(VALU_DEP_2)
	v_cmpx_ne_u32_e32 0x7f, v85
	s_cbranch_execz .LBB239_1563
; %bb.1560:                             ;   in Loop: Header=BB239_1064 Depth=1
	v_and_b32_e32 v8, 7, v27
	v_lshrrev_b32_e32 v18, 3, v85
	s_mov_b32 s16, exec_lo
	v_cmpx_gt_u32_e32 8, v85
; %bb.1561:                             ;   in Loop: Header=BB239_1064 Depth=1
	s_delay_alu instid0(VALU_DEP_3) | instskip(NEXT) | instid1(VALU_DEP_1)
	v_clz_i32_u32_e32 v18, v8
	v_min_u32_e32 v18, 32, v18
	s_delay_alu instid0(VALU_DEP_1) | instskip(SKIP_1) | instid1(VALU_DEP_2)
	v_subrev_nc_u32_e32 v19, 28, v18
	v_sub_nc_u32_e32 v18, 29, v18
	v_lshlrev_b64 v[85:86], v19, v[8:9]
	s_delay_alu instid0(VALU_DEP_1)
	v_and_b32_e32 v8, 7, v85
; %bb.1562:                             ;   in Loop: Header=BB239_1064 Depth=1
	s_or_b32 exec_lo, exec_lo, s16
	v_lshlrev_b32_e32 v19, 24, v27
	s_delay_alu instid0(VALU_DEP_2) | instskip(SKIP_1) | instid1(VALU_DEP_3)
	v_lshlrev_b32_e32 v8, 20, v8
	v_lshl_add_u32 v18, v18, 23, 0x3c000000
	v_and_b32_e32 v19, 0x80000000, v19
	s_delay_alu instid0(VALU_DEP_1) | instskip(NEXT) | instid1(VALU_DEP_1)
	v_or3_b32 v8, v8, v19, v18
	v_dual_mov_b32 v19, v9 :: v_dual_mov_b32 v18, v8
.LBB239_1563:                           ;   in Loop: Header=BB239_1064 Depth=1
	s_or_b32 exec_lo, exec_lo, s15
.LBB239_1564:                           ;   in Loop: Header=BB239_1064 Depth=1
	s_delay_alu instid0(SALU_CYCLE_1)
	s_or_b32 exec_lo, exec_lo, s13
.LBB239_1565:                           ;   in Loop: Header=BB239_1064 Depth=1
	s_delay_alu instid0(SALU_CYCLE_1) | instskip(NEXT) | instid1(SALU_CYCLE_1)
	s_or_b32 exec_lo, exec_lo, s10
	s_mov_b32 s13, exec_lo
	v_cmpx_lt_u32_e32 0xffffff, v23
	s_cbranch_execz .LBB239_1573
; %bb.1566:                             ;   in Loop: Header=BB239_1064 Depth=1
	v_lshrrev_b32_e32 v27, 24, v23
	v_dual_mov_b32 v22, s9 :: v_dual_mov_b32 v21, s8
	s_mov_b32 s15, exec_lo
	s_delay_alu instid0(VALU_DEP_2)
	v_cmpx_ne_u32_e32 0x80, v27
	s_cbranch_execz .LBB239_1572
; %bb.1567:                             ;   in Loop: Header=BB239_1064 Depth=1
	s_mov_b32 s10, s8
	v_bfe_u32 v23, v23, 24, 7
	v_dual_mov_b32 v22, s11 :: v_dual_mov_b32 v21, s10
	s_mov_b32 s10, exec_lo
	s_delay_alu instid0(VALU_DEP_2)
	v_cmpx_ne_u32_e32 0x7f, v23
	s_cbranch_execz .LBB239_1571
; %bb.1568:                             ;   in Loop: Header=BB239_1064 Depth=1
	v_and_b32_e32 v8, 7, v27
	v_lshrrev_b32_e32 v21, 3, v23
	s_mov_b32 s16, exec_lo
	v_cmpx_gt_u32_e32 8, v23
; %bb.1569:                             ;   in Loop: Header=BB239_1064 Depth=1
	s_delay_alu instid0(VALU_DEP_3) | instskip(NEXT) | instid1(VALU_DEP_1)
	v_clz_i32_u32_e32 v21, v8
	v_min_u32_e32 v21, 32, v21
	s_delay_alu instid0(VALU_DEP_1) | instskip(SKIP_1) | instid1(VALU_DEP_2)
	v_subrev_nc_u32_e32 v22, 28, v21
	v_sub_nc_u32_e32 v21, 29, v21
	v_lshlrev_b64 v[22:23], v22, v[8:9]
	s_delay_alu instid0(VALU_DEP_1)
	v_and_b32_e32 v8, 7, v22
; %bb.1570:                             ;   in Loop: Header=BB239_1064 Depth=1
	s_or_b32 exec_lo, exec_lo, s16
	v_lshlrev_b32_e32 v22, 24, v27
	s_delay_alu instid0(VALU_DEP_2) | instskip(SKIP_1) | instid1(VALU_DEP_3)
	v_lshlrev_b32_e32 v8, 20, v8
	v_lshl_add_u32 v21, v21, 23, 0x3c000000
	v_and_b32_e32 v22, 0x80000000, v22
	s_delay_alu instid0(VALU_DEP_1)
	v_or3_b32 v22, v8, v22, v21
	v_mov_b32_e32 v21, v9
.LBB239_1571:                           ;   in Loop: Header=BB239_1064 Depth=1
	s_or_b32 exec_lo, exec_lo, s10
.LBB239_1572:                           ;   in Loop: Header=BB239_1064 Depth=1
	s_delay_alu instid0(SALU_CYCLE_1)
	s_or_b32 exec_lo, exec_lo, s15
.LBB239_1573:                           ;   in Loop: Header=BB239_1064 Depth=1
	s_delay_alu instid0(SALU_CYCLE_1) | instskip(SKIP_4) | instid1(VALU_DEP_4)
	s_or_b32 exec_lo, exec_lo, s13
	v_or_b32_e32 v5, v17, v5
	v_or_b32_e32 v4, v16, v4
	;; [unrolled: 1-line block ×4, first 2 shown]
	v_mul_f32_e32 v76, v102, v5
	s_delay_alu instid0(VALU_DEP_4) | instskip(NEXT) | instid1(VALU_DEP_4)
	v_mul_f32_e32 v75, v102, v4
	v_mul_f32_e32 v73, v102, v8
	s_delay_alu instid0(VALU_DEP_4)
	v_mul_f32_e32 v74, v102, v16
	s_and_saveexec_b32 s10, vcc_lo
; %bb.1574:                             ;   in Loop: Header=BB239_1064 Depth=1
	v_cmp_lt_i32_e64 s0, v116, v25
	s_delay_alu instid0(VALU_DEP_1) | instskip(SKIP_1) | instid1(VALU_DEP_1)
	v_cndmask_b32_e64 v75, 0, v75, s0
	v_cmp_lt_i32_e64 s0, v119, v25
	v_cndmask_b32_e64 v76, 0, v76, s0
	v_cmp_lt_i32_e64 s0, v118, v25
	s_delay_alu instid0(VALU_DEP_1) | instskip(SKIP_1) | instid1(VALU_DEP_1)
	v_cndmask_b32_e64 v74, 0, v74, s0
	v_cmp_lt_i32_e64 s0, v117, v25
	v_cndmask_b32_e64 v73, 0, v73, s0
; %bb.1575:                             ;   in Loop: Header=BB239_1064 Depth=1
	s_or_b32 exec_lo, exec_lo, s10
	flat_load_b32 v23, v[14:15] offset:1920
	v_mov_b32_e32 v16, 0
	v_mov_b32_e32 v17, 0
	s_mov_b32 s10, exec_lo
	s_waitcnt vmcnt(0) lgkmcnt(0)
	v_and_b32_e32 v8, 0xff, v23
	s_delay_alu instid0(VALU_DEP_2) | instskip(NEXT) | instid1(VALU_DEP_2)
	v_dual_mov_b32 v4, v16 :: v_dual_mov_b32 v5, v17
	v_cmpx_ne_u16_e32 0, v8
	s_cbranch_execz .LBB239_1583
; %bb.1576:                             ;   in Loop: Header=BB239_1064 Depth=1
	v_bfrev_b32_e32 v4, 1
	v_mov_b32_e32 v5, 0
	s_mov_b32 s13, exec_lo
	v_cmpx_ne_u16_e32 0x80, v8
	s_cbranch_execz .LBB239_1582
; %bb.1577:                             ;   in Loop: Header=BB239_1064 Depth=1
	v_mov_b32_e32 v4, 0x7f800001
	v_dual_mov_b32 v5, 0 :: v_dual_and_b32 v18, 0x7f, v23
	s_mov_b32 s15, exec_lo
	s_delay_alu instid0(VALU_DEP_1)
	v_cmpx_ne_u32_e32 0x7f, v18
	s_cbranch_execz .LBB239_1581
; %bb.1578:                             ;   in Loop: Header=BB239_1064 Depth=1
	v_and_b32_e32 v8, 7, v23
	v_lshrrev_b32_e32 v4, 3, v18
	s_mov_b32 s16, exec_lo
	v_cmpx_gt_u32_e32 8, v18
; %bb.1579:                             ;   in Loop: Header=BB239_1064 Depth=1
	s_delay_alu instid0(VALU_DEP_3) | instskip(NEXT) | instid1(VALU_DEP_1)
	v_clz_i32_u32_e32 v4, v8
	v_min_u32_e32 v4, 32, v4
	s_delay_alu instid0(VALU_DEP_1) | instskip(SKIP_1) | instid1(VALU_DEP_2)
	v_subrev_nc_u32_e32 v5, 28, v4
	v_sub_nc_u32_e32 v4, 29, v4
	v_lshlrev_b64 v[18:19], v5, v[8:9]
	s_delay_alu instid0(VALU_DEP_1)
	v_and_b32_e32 v8, 7, v18
; %bb.1580:                             ;   in Loop: Header=BB239_1064 Depth=1
	s_or_b32 exec_lo, exec_lo, s16
	v_lshlrev_b32_e32 v5, 24, v23
	s_delay_alu instid0(VALU_DEP_2) | instskip(SKIP_1) | instid1(VALU_DEP_3)
	v_lshlrev_b32_e32 v8, 20, v8
	v_lshl_add_u32 v4, v4, 23, 0x3c000000
	v_and_b32_e32 v5, 0x80000000, v5
	s_delay_alu instid0(VALU_DEP_1) | instskip(NEXT) | instid1(VALU_DEP_1)
	v_or3_b32 v8, v8, v5, v4
	v_dual_mov_b32 v4, v8 :: v_dual_mov_b32 v5, v9
.LBB239_1581:                           ;   in Loop: Header=BB239_1064 Depth=1
	s_or_b32 exec_lo, exec_lo, s15
.LBB239_1582:                           ;   in Loop: Header=BB239_1064 Depth=1
	s_delay_alu instid0(SALU_CYCLE_1)
	s_or_b32 exec_lo, exec_lo, s13
.LBB239_1583:                           ;   in Loop: Header=BB239_1064 Depth=1
	s_delay_alu instid0(SALU_CYCLE_1) | instskip(SKIP_2) | instid1(VALU_DEP_1)
	s_or_b32 exec_lo, exec_lo, s10
	v_lshrrev_b16 v8, 8, v23
	s_mov_b32 s13, exec_lo
	v_cmpx_ne_u16_e32 0, v8
	s_cbranch_execz .LBB239_1591
; %bb.1584:                             ;   in Loop: Header=BB239_1064 Depth=1
	v_dual_mov_b32 v17, s9 :: v_dual_mov_b32 v16, s8
	s_mov_b32 s15, exec_lo
	v_cmpx_ne_u16_e32 0x80, v8
	s_cbranch_execz .LBB239_1590
; %bb.1585:                             ;   in Loop: Header=BB239_1064 Depth=1
	s_mov_b32 s10, s8
	v_dual_mov_b32 v17, s11 :: v_dual_and_b32 v8, 0xffff, v8
	v_mov_b32_e32 v16, s10
	s_mov_b32 s10, exec_lo
	s_delay_alu instid0(VALU_DEP_2) | instskip(NEXT) | instid1(VALU_DEP_1)
	v_and_b32_e32 v18, 0x7f, v8
	v_cmpx_ne_u32_e32 0x7f, v18
	s_cbranch_execz .LBB239_1589
; %bb.1586:                             ;   in Loop: Header=BB239_1064 Depth=1
	v_and_b32_e32 v8, 7, v8
	v_lshrrev_b32_e32 v16, 3, v18
	s_mov_b32 s16, exec_lo
	v_cmpx_gt_u32_e32 8, v18
; %bb.1587:                             ;   in Loop: Header=BB239_1064 Depth=1
	s_delay_alu instid0(VALU_DEP_3) | instskip(NEXT) | instid1(VALU_DEP_1)
	v_clz_i32_u32_e32 v16, v8
	v_min_u32_e32 v16, 32, v16
	s_delay_alu instid0(VALU_DEP_1) | instskip(SKIP_1) | instid1(VALU_DEP_2)
	v_subrev_nc_u32_e32 v17, 28, v16
	v_sub_nc_u32_e32 v16, 29, v16
	v_lshlrev_b64 v[17:18], v17, v[8:9]
	s_delay_alu instid0(VALU_DEP_1)
	v_and_b32_e32 v8, 7, v17
; %bb.1588:                             ;   in Loop: Header=BB239_1064 Depth=1
	s_or_b32 exec_lo, exec_lo, s16
	v_lshlrev_b32_e32 v17, 16, v23
	s_delay_alu instid0(VALU_DEP_2) | instskip(SKIP_1) | instid1(VALU_DEP_3)
	v_lshlrev_b32_e32 v8, 20, v8
	v_lshl_add_u32 v16, v16, 23, 0x3c000000
	v_and_b32_e32 v17, 0x80000000, v17
	s_delay_alu instid0(VALU_DEP_1)
	v_or3_b32 v17, v8, v17, v16
	v_mov_b32_e32 v16, v9
.LBB239_1589:                           ;   in Loop: Header=BB239_1064 Depth=1
	s_or_b32 exec_lo, exec_lo, s10
.LBB239_1590:                           ;   in Loop: Header=BB239_1064 Depth=1
	s_delay_alu instid0(SALU_CYCLE_1)
	s_or_b32 exec_lo, exec_lo, s15
.LBB239_1591:                           ;   in Loop: Header=BB239_1064 Depth=1
	s_delay_alu instid0(SALU_CYCLE_1) | instskip(SKIP_3) | instid1(VALU_DEP_2)
	s_or_b32 exec_lo, exec_lo, s13
	v_lshrrev_b32_e32 v27, 16, v23
	v_mov_b32_e32 v21, 0
	v_mov_b32_e32 v22, 0
	;; [unrolled: 1-line block ×3, first 2 shown]
	s_mov_b32 s10, exec_lo
	s_delay_alu instid0(VALU_DEP_2) | instskip(NEXT) | instid1(VALU_DEP_1)
	v_dual_mov_b32 v19, v22 :: v_dual_and_b32 v8, 0xff, v27
	v_cmpx_ne_u16_e32 0, v8
	s_cbranch_execz .LBB239_1599
; %bb.1592:                             ;   in Loop: Header=BB239_1064 Depth=1
	v_bfrev_b32_e32 v18, 1
	v_mov_b32_e32 v19, 0
	s_mov_b32 s13, exec_lo
	v_cmpx_ne_u16_e32 0x80, v8
	s_cbranch_execz .LBB239_1598
; %bb.1593:                             ;   in Loop: Header=BB239_1064 Depth=1
	v_mov_b32_e32 v18, 0x7f800001
	v_bfe_u32 v85, v23, 16, 7
	v_mov_b32_e32 v19, 0
	s_mov_b32 s15, exec_lo
	s_delay_alu instid0(VALU_DEP_2)
	v_cmpx_ne_u32_e32 0x7f, v85
	s_cbranch_execz .LBB239_1597
; %bb.1594:                             ;   in Loop: Header=BB239_1064 Depth=1
	v_and_b32_e32 v8, 7, v27
	v_lshrrev_b32_e32 v18, 3, v85
	s_mov_b32 s16, exec_lo
	v_cmpx_gt_u32_e32 8, v85
; %bb.1595:                             ;   in Loop: Header=BB239_1064 Depth=1
	s_delay_alu instid0(VALU_DEP_3) | instskip(NEXT) | instid1(VALU_DEP_1)
	v_clz_i32_u32_e32 v18, v8
	v_min_u32_e32 v18, 32, v18
	s_delay_alu instid0(VALU_DEP_1) | instskip(SKIP_1) | instid1(VALU_DEP_2)
	v_subrev_nc_u32_e32 v19, 28, v18
	v_sub_nc_u32_e32 v18, 29, v18
	v_lshlrev_b64 v[85:86], v19, v[8:9]
	s_delay_alu instid0(VALU_DEP_1)
	v_and_b32_e32 v8, 7, v85
; %bb.1596:                             ;   in Loop: Header=BB239_1064 Depth=1
	s_or_b32 exec_lo, exec_lo, s16
	v_lshlrev_b32_e32 v19, 24, v27
	s_delay_alu instid0(VALU_DEP_2) | instskip(SKIP_1) | instid1(VALU_DEP_3)
	v_lshlrev_b32_e32 v8, 20, v8
	v_lshl_add_u32 v18, v18, 23, 0x3c000000
	v_and_b32_e32 v19, 0x80000000, v19
	s_delay_alu instid0(VALU_DEP_1) | instskip(NEXT) | instid1(VALU_DEP_1)
	v_or3_b32 v8, v8, v19, v18
	v_dual_mov_b32 v19, v9 :: v_dual_mov_b32 v18, v8
.LBB239_1597:                           ;   in Loop: Header=BB239_1064 Depth=1
	s_or_b32 exec_lo, exec_lo, s15
.LBB239_1598:                           ;   in Loop: Header=BB239_1064 Depth=1
	s_delay_alu instid0(SALU_CYCLE_1)
	s_or_b32 exec_lo, exec_lo, s13
.LBB239_1599:                           ;   in Loop: Header=BB239_1064 Depth=1
	s_delay_alu instid0(SALU_CYCLE_1) | instskip(NEXT) | instid1(SALU_CYCLE_1)
	s_or_b32 exec_lo, exec_lo, s10
	s_mov_b32 s13, exec_lo
	v_cmpx_lt_u32_e32 0xffffff, v23
	s_cbranch_execz .LBB239_1607
; %bb.1600:                             ;   in Loop: Header=BB239_1064 Depth=1
	v_lshrrev_b32_e32 v27, 24, v23
	v_dual_mov_b32 v22, s9 :: v_dual_mov_b32 v21, s8
	s_mov_b32 s15, exec_lo
	s_delay_alu instid0(VALU_DEP_2)
	v_cmpx_ne_u32_e32 0x80, v27
	s_cbranch_execz .LBB239_1606
; %bb.1601:                             ;   in Loop: Header=BB239_1064 Depth=1
	s_mov_b32 s10, s8
	v_bfe_u32 v23, v23, 24, 7
	v_dual_mov_b32 v22, s11 :: v_dual_mov_b32 v21, s10
	s_mov_b32 s10, exec_lo
	s_delay_alu instid0(VALU_DEP_2)
	v_cmpx_ne_u32_e32 0x7f, v23
	s_cbranch_execz .LBB239_1605
; %bb.1602:                             ;   in Loop: Header=BB239_1064 Depth=1
	v_and_b32_e32 v8, 7, v27
	v_lshrrev_b32_e32 v21, 3, v23
	s_mov_b32 s16, exec_lo
	v_cmpx_gt_u32_e32 8, v23
; %bb.1603:                             ;   in Loop: Header=BB239_1064 Depth=1
	s_delay_alu instid0(VALU_DEP_3) | instskip(NEXT) | instid1(VALU_DEP_1)
	v_clz_i32_u32_e32 v21, v8
	v_min_u32_e32 v21, 32, v21
	s_delay_alu instid0(VALU_DEP_1) | instskip(SKIP_1) | instid1(VALU_DEP_2)
	v_subrev_nc_u32_e32 v22, 28, v21
	v_sub_nc_u32_e32 v21, 29, v21
	v_lshlrev_b64 v[22:23], v22, v[8:9]
	s_delay_alu instid0(VALU_DEP_1)
	v_and_b32_e32 v8, 7, v22
; %bb.1604:                             ;   in Loop: Header=BB239_1064 Depth=1
	s_or_b32 exec_lo, exec_lo, s16
	v_lshlrev_b32_e32 v22, 24, v27
	s_delay_alu instid0(VALU_DEP_2) | instskip(SKIP_1) | instid1(VALU_DEP_3)
	v_lshlrev_b32_e32 v8, 20, v8
	v_lshl_add_u32 v21, v21, 23, 0x3c000000
	v_and_b32_e32 v22, 0x80000000, v22
	s_delay_alu instid0(VALU_DEP_1)
	v_or3_b32 v22, v8, v22, v21
	v_mov_b32_e32 v21, v9
.LBB239_1605:                           ;   in Loop: Header=BB239_1064 Depth=1
	s_or_b32 exec_lo, exec_lo, s10
.LBB239_1606:                           ;   in Loop: Header=BB239_1064 Depth=1
	s_delay_alu instid0(SALU_CYCLE_1)
	s_or_b32 exec_lo, exec_lo, s15
.LBB239_1607:                           ;   in Loop: Header=BB239_1064 Depth=1
	s_delay_alu instid0(SALU_CYCLE_1) | instskip(SKIP_4) | instid1(VALU_DEP_4)
	s_or_b32 exec_lo, exec_lo, s13
	v_or_b32_e32 v5, v17, v5
	v_or_b32_e32 v4, v16, v4
	;; [unrolled: 1-line block ×4, first 2 shown]
	v_mul_f32_e32 v88, v102, v5
	s_delay_alu instid0(VALU_DEP_4) | instskip(NEXT) | instid1(VALU_DEP_4)
	v_mul_f32_e32 v79, v102, v4
	v_mul_f32_e32 v77, v102, v8
	s_delay_alu instid0(VALU_DEP_4)
	v_mul_f32_e32 v78, v102, v16
	s_and_saveexec_b32 s10, vcc_lo
; %bb.1608:                             ;   in Loop: Header=BB239_1064 Depth=1
	v_cmp_lt_i32_e64 s0, v116, v25
	s_delay_alu instid0(VALU_DEP_1) | instskip(SKIP_1) | instid1(VALU_DEP_1)
	v_cndmask_b32_e64 v79, 0, v79, s0
	v_cmp_lt_i32_e64 s0, v119, v25
	v_cndmask_b32_e64 v88, 0, v88, s0
	v_cmp_lt_i32_e64 s0, v118, v25
	s_delay_alu instid0(VALU_DEP_1) | instskip(SKIP_1) | instid1(VALU_DEP_1)
	v_cndmask_b32_e64 v78, 0, v78, s0
	v_cmp_lt_i32_e64 s0, v117, v25
	v_cndmask_b32_e64 v77, 0, v77, s0
; %bb.1609:                             ;   in Loop: Header=BB239_1064 Depth=1
	s_or_b32 exec_lo, exec_lo, s10
	flat_load_b32 v23, v[14:15] offset:2048
	v_mov_b32_e32 v16, 0
	v_mov_b32_e32 v17, 0
	s_mov_b32 s10, exec_lo
	s_waitcnt vmcnt(0) lgkmcnt(0)
	v_and_b32_e32 v8, 0xff, v23
	s_delay_alu instid0(VALU_DEP_2) | instskip(NEXT) | instid1(VALU_DEP_2)
	v_dual_mov_b32 v4, v16 :: v_dual_mov_b32 v5, v17
	v_cmpx_ne_u16_e32 0, v8
	s_cbranch_execz .LBB239_1617
; %bb.1610:                             ;   in Loop: Header=BB239_1064 Depth=1
	v_bfrev_b32_e32 v4, 1
	v_mov_b32_e32 v5, 0
	s_mov_b32 s13, exec_lo
	v_cmpx_ne_u16_e32 0x80, v8
	s_cbranch_execz .LBB239_1616
; %bb.1611:                             ;   in Loop: Header=BB239_1064 Depth=1
	v_mov_b32_e32 v4, 0x7f800001
	v_dual_mov_b32 v5, 0 :: v_dual_and_b32 v18, 0x7f, v23
	s_mov_b32 s15, exec_lo
	s_delay_alu instid0(VALU_DEP_1)
	v_cmpx_ne_u32_e32 0x7f, v18
	s_cbranch_execz .LBB239_1615
; %bb.1612:                             ;   in Loop: Header=BB239_1064 Depth=1
	v_and_b32_e32 v8, 7, v23
	v_lshrrev_b32_e32 v4, 3, v18
	s_mov_b32 s16, exec_lo
	v_cmpx_gt_u32_e32 8, v18
; %bb.1613:                             ;   in Loop: Header=BB239_1064 Depth=1
	s_delay_alu instid0(VALU_DEP_3) | instskip(NEXT) | instid1(VALU_DEP_1)
	v_clz_i32_u32_e32 v4, v8
	v_min_u32_e32 v4, 32, v4
	s_delay_alu instid0(VALU_DEP_1) | instskip(SKIP_1) | instid1(VALU_DEP_2)
	v_subrev_nc_u32_e32 v5, 28, v4
	v_sub_nc_u32_e32 v4, 29, v4
	v_lshlrev_b64 v[18:19], v5, v[8:9]
	s_delay_alu instid0(VALU_DEP_1)
	v_and_b32_e32 v8, 7, v18
; %bb.1614:                             ;   in Loop: Header=BB239_1064 Depth=1
	s_or_b32 exec_lo, exec_lo, s16
	v_lshlrev_b32_e32 v5, 24, v23
	s_delay_alu instid0(VALU_DEP_2) | instskip(SKIP_1) | instid1(VALU_DEP_3)
	v_lshlrev_b32_e32 v8, 20, v8
	v_lshl_add_u32 v4, v4, 23, 0x3c000000
	v_and_b32_e32 v5, 0x80000000, v5
	s_delay_alu instid0(VALU_DEP_1) | instskip(NEXT) | instid1(VALU_DEP_1)
	v_or3_b32 v8, v8, v5, v4
	v_dual_mov_b32 v4, v8 :: v_dual_mov_b32 v5, v9
.LBB239_1615:                           ;   in Loop: Header=BB239_1064 Depth=1
	s_or_b32 exec_lo, exec_lo, s15
.LBB239_1616:                           ;   in Loop: Header=BB239_1064 Depth=1
	s_delay_alu instid0(SALU_CYCLE_1)
	s_or_b32 exec_lo, exec_lo, s13
.LBB239_1617:                           ;   in Loop: Header=BB239_1064 Depth=1
	s_delay_alu instid0(SALU_CYCLE_1) | instskip(SKIP_2) | instid1(VALU_DEP_1)
	s_or_b32 exec_lo, exec_lo, s10
	v_lshrrev_b16 v8, 8, v23
	s_mov_b32 s13, exec_lo
	v_cmpx_ne_u16_e32 0, v8
	s_cbranch_execz .LBB239_1625
; %bb.1618:                             ;   in Loop: Header=BB239_1064 Depth=1
	v_dual_mov_b32 v17, s9 :: v_dual_mov_b32 v16, s8
	s_mov_b32 s15, exec_lo
	v_cmpx_ne_u16_e32 0x80, v8
	s_cbranch_execz .LBB239_1624
; %bb.1619:                             ;   in Loop: Header=BB239_1064 Depth=1
	s_mov_b32 s10, s8
	v_dual_mov_b32 v17, s11 :: v_dual_and_b32 v8, 0xffff, v8
	v_mov_b32_e32 v16, s10
	s_mov_b32 s10, exec_lo
	s_delay_alu instid0(VALU_DEP_2) | instskip(NEXT) | instid1(VALU_DEP_1)
	v_and_b32_e32 v18, 0x7f, v8
	v_cmpx_ne_u32_e32 0x7f, v18
	s_cbranch_execz .LBB239_1623
; %bb.1620:                             ;   in Loop: Header=BB239_1064 Depth=1
	v_and_b32_e32 v8, 7, v8
	v_lshrrev_b32_e32 v16, 3, v18
	s_mov_b32 s16, exec_lo
	v_cmpx_gt_u32_e32 8, v18
; %bb.1621:                             ;   in Loop: Header=BB239_1064 Depth=1
	s_delay_alu instid0(VALU_DEP_3) | instskip(NEXT) | instid1(VALU_DEP_1)
	v_clz_i32_u32_e32 v16, v8
	v_min_u32_e32 v16, 32, v16
	s_delay_alu instid0(VALU_DEP_1) | instskip(SKIP_1) | instid1(VALU_DEP_2)
	v_subrev_nc_u32_e32 v17, 28, v16
	v_sub_nc_u32_e32 v16, 29, v16
	v_lshlrev_b64 v[17:18], v17, v[8:9]
	s_delay_alu instid0(VALU_DEP_1)
	v_and_b32_e32 v8, 7, v17
; %bb.1622:                             ;   in Loop: Header=BB239_1064 Depth=1
	s_or_b32 exec_lo, exec_lo, s16
	v_lshlrev_b32_e32 v17, 16, v23
	s_delay_alu instid0(VALU_DEP_2) | instskip(SKIP_1) | instid1(VALU_DEP_3)
	v_lshlrev_b32_e32 v8, 20, v8
	v_lshl_add_u32 v16, v16, 23, 0x3c000000
	v_and_b32_e32 v17, 0x80000000, v17
	s_delay_alu instid0(VALU_DEP_1)
	v_or3_b32 v17, v8, v17, v16
	v_mov_b32_e32 v16, v9
.LBB239_1623:                           ;   in Loop: Header=BB239_1064 Depth=1
	s_or_b32 exec_lo, exec_lo, s10
.LBB239_1624:                           ;   in Loop: Header=BB239_1064 Depth=1
	s_delay_alu instid0(SALU_CYCLE_1)
	s_or_b32 exec_lo, exec_lo, s15
.LBB239_1625:                           ;   in Loop: Header=BB239_1064 Depth=1
	s_delay_alu instid0(SALU_CYCLE_1) | instskip(SKIP_3) | instid1(VALU_DEP_2)
	s_or_b32 exec_lo, exec_lo, s13
	v_lshrrev_b32_e32 v27, 16, v23
	v_mov_b32_e32 v21, 0
	v_mov_b32_e32 v22, 0
	v_mov_b32_e32 v18, v21
	s_mov_b32 s10, exec_lo
	s_delay_alu instid0(VALU_DEP_2) | instskip(NEXT) | instid1(VALU_DEP_1)
	v_dual_mov_b32 v19, v22 :: v_dual_and_b32 v8, 0xff, v27
	v_cmpx_ne_u16_e32 0, v8
	s_cbranch_execz .LBB239_1633
; %bb.1626:                             ;   in Loop: Header=BB239_1064 Depth=1
	v_bfrev_b32_e32 v18, 1
	v_mov_b32_e32 v19, 0
	s_mov_b32 s13, exec_lo
	v_cmpx_ne_u16_e32 0x80, v8
	s_cbranch_execz .LBB239_1632
; %bb.1627:                             ;   in Loop: Header=BB239_1064 Depth=1
	v_mov_b32_e32 v18, 0x7f800001
	v_bfe_u32 v85, v23, 16, 7
	v_mov_b32_e32 v19, 0
	s_mov_b32 s15, exec_lo
	s_delay_alu instid0(VALU_DEP_2)
	v_cmpx_ne_u32_e32 0x7f, v85
	s_cbranch_execz .LBB239_1631
; %bb.1628:                             ;   in Loop: Header=BB239_1064 Depth=1
	v_and_b32_e32 v8, 7, v27
	v_lshrrev_b32_e32 v18, 3, v85
	s_mov_b32 s16, exec_lo
	v_cmpx_gt_u32_e32 8, v85
; %bb.1629:                             ;   in Loop: Header=BB239_1064 Depth=1
	s_delay_alu instid0(VALU_DEP_3) | instskip(NEXT) | instid1(VALU_DEP_1)
	v_clz_i32_u32_e32 v18, v8
	v_min_u32_e32 v18, 32, v18
	s_delay_alu instid0(VALU_DEP_1) | instskip(SKIP_1) | instid1(VALU_DEP_2)
	v_subrev_nc_u32_e32 v19, 28, v18
	v_sub_nc_u32_e32 v18, 29, v18
	v_lshlrev_b64 v[85:86], v19, v[8:9]
	s_delay_alu instid0(VALU_DEP_1)
	v_and_b32_e32 v8, 7, v85
; %bb.1630:                             ;   in Loop: Header=BB239_1064 Depth=1
	s_or_b32 exec_lo, exec_lo, s16
	v_lshlrev_b32_e32 v19, 24, v27
	s_delay_alu instid0(VALU_DEP_2) | instskip(SKIP_1) | instid1(VALU_DEP_3)
	v_lshlrev_b32_e32 v8, 20, v8
	v_lshl_add_u32 v18, v18, 23, 0x3c000000
	v_and_b32_e32 v19, 0x80000000, v19
	s_delay_alu instid0(VALU_DEP_1) | instskip(NEXT) | instid1(VALU_DEP_1)
	v_or3_b32 v8, v8, v19, v18
	v_dual_mov_b32 v19, v9 :: v_dual_mov_b32 v18, v8
.LBB239_1631:                           ;   in Loop: Header=BB239_1064 Depth=1
	s_or_b32 exec_lo, exec_lo, s15
.LBB239_1632:                           ;   in Loop: Header=BB239_1064 Depth=1
	s_delay_alu instid0(SALU_CYCLE_1)
	s_or_b32 exec_lo, exec_lo, s13
.LBB239_1633:                           ;   in Loop: Header=BB239_1064 Depth=1
	s_delay_alu instid0(SALU_CYCLE_1) | instskip(NEXT) | instid1(SALU_CYCLE_1)
	s_or_b32 exec_lo, exec_lo, s10
	s_mov_b32 s13, exec_lo
	v_cmpx_lt_u32_e32 0xffffff, v23
	s_cbranch_execz .LBB239_1641
; %bb.1634:                             ;   in Loop: Header=BB239_1064 Depth=1
	v_lshrrev_b32_e32 v27, 24, v23
	v_dual_mov_b32 v22, s9 :: v_dual_mov_b32 v21, s8
	s_mov_b32 s15, exec_lo
	s_delay_alu instid0(VALU_DEP_2)
	v_cmpx_ne_u32_e32 0x80, v27
	s_cbranch_execz .LBB239_1640
; %bb.1635:                             ;   in Loop: Header=BB239_1064 Depth=1
	s_mov_b32 s10, s8
	v_bfe_u32 v23, v23, 24, 7
	v_dual_mov_b32 v22, s11 :: v_dual_mov_b32 v21, s10
	s_mov_b32 s10, exec_lo
	s_delay_alu instid0(VALU_DEP_2)
	v_cmpx_ne_u32_e32 0x7f, v23
	s_cbranch_execz .LBB239_1639
; %bb.1636:                             ;   in Loop: Header=BB239_1064 Depth=1
	v_and_b32_e32 v8, 7, v27
	v_lshrrev_b32_e32 v21, 3, v23
	s_mov_b32 s16, exec_lo
	v_cmpx_gt_u32_e32 8, v23
; %bb.1637:                             ;   in Loop: Header=BB239_1064 Depth=1
	s_delay_alu instid0(VALU_DEP_3) | instskip(NEXT) | instid1(VALU_DEP_1)
	v_clz_i32_u32_e32 v21, v8
	v_min_u32_e32 v21, 32, v21
	s_delay_alu instid0(VALU_DEP_1) | instskip(SKIP_1) | instid1(VALU_DEP_2)
	v_subrev_nc_u32_e32 v22, 28, v21
	v_sub_nc_u32_e32 v21, 29, v21
	v_lshlrev_b64 v[22:23], v22, v[8:9]
	s_delay_alu instid0(VALU_DEP_1)
	v_and_b32_e32 v8, 7, v22
; %bb.1638:                             ;   in Loop: Header=BB239_1064 Depth=1
	s_or_b32 exec_lo, exec_lo, s16
	v_lshlrev_b32_e32 v22, 24, v27
	s_delay_alu instid0(VALU_DEP_2) | instskip(SKIP_1) | instid1(VALU_DEP_3)
	v_lshlrev_b32_e32 v8, 20, v8
	v_lshl_add_u32 v21, v21, 23, 0x3c000000
	v_and_b32_e32 v22, 0x80000000, v22
	s_delay_alu instid0(VALU_DEP_1)
	v_or3_b32 v22, v8, v22, v21
	v_mov_b32_e32 v21, v9
.LBB239_1639:                           ;   in Loop: Header=BB239_1064 Depth=1
	s_or_b32 exec_lo, exec_lo, s10
.LBB239_1640:                           ;   in Loop: Header=BB239_1064 Depth=1
	s_delay_alu instid0(SALU_CYCLE_1)
	s_or_b32 exec_lo, exec_lo, s15
.LBB239_1641:                           ;   in Loop: Header=BB239_1064 Depth=1
	s_delay_alu instid0(SALU_CYCLE_1) | instskip(SKIP_4) | instid1(VALU_DEP_4)
	s_or_b32 exec_lo, exec_lo, s13
	v_or_b32_e32 v5, v17, v5
	v_or_b32_e32 v4, v16, v4
	;; [unrolled: 1-line block ×4, first 2 shown]
	v_mul_f32_e32 v92, v102, v5
	s_delay_alu instid0(VALU_DEP_4) | instskip(NEXT) | instid1(VALU_DEP_4)
	v_mul_f32_e32 v91, v102, v4
	v_mul_f32_e32 v89, v102, v8
	s_delay_alu instid0(VALU_DEP_4)
	v_mul_f32_e32 v90, v102, v16
	s_and_saveexec_b32 s10, vcc_lo
; %bb.1642:                             ;   in Loop: Header=BB239_1064 Depth=1
	v_cmp_lt_i32_e64 s0, v116, v25
	s_delay_alu instid0(VALU_DEP_1) | instskip(SKIP_1) | instid1(VALU_DEP_1)
	v_cndmask_b32_e64 v91, 0, v91, s0
	v_cmp_lt_i32_e64 s0, v119, v25
	v_cndmask_b32_e64 v92, 0, v92, s0
	v_cmp_lt_i32_e64 s0, v118, v25
	s_delay_alu instid0(VALU_DEP_1) | instskip(SKIP_1) | instid1(VALU_DEP_1)
	v_cndmask_b32_e64 v90, 0, v90, s0
	v_cmp_lt_i32_e64 s0, v117, v25
	v_cndmask_b32_e64 v89, 0, v89, s0
; %bb.1643:                             ;   in Loop: Header=BB239_1064 Depth=1
	s_or_b32 exec_lo, exec_lo, s10
	flat_load_b32 v23, v[14:15] offset:2176
	v_mov_b32_e32 v16, 0
	v_mov_b32_e32 v17, 0
	s_mov_b32 s10, exec_lo
	s_waitcnt vmcnt(0) lgkmcnt(0)
	v_and_b32_e32 v8, 0xff, v23
	s_delay_alu instid0(VALU_DEP_2) | instskip(NEXT) | instid1(VALU_DEP_2)
	v_dual_mov_b32 v4, v16 :: v_dual_mov_b32 v5, v17
	v_cmpx_ne_u16_e32 0, v8
	s_cbranch_execz .LBB239_1651
; %bb.1644:                             ;   in Loop: Header=BB239_1064 Depth=1
	v_bfrev_b32_e32 v4, 1
	v_mov_b32_e32 v5, 0
	s_mov_b32 s13, exec_lo
	v_cmpx_ne_u16_e32 0x80, v8
	s_cbranch_execz .LBB239_1650
; %bb.1645:                             ;   in Loop: Header=BB239_1064 Depth=1
	v_mov_b32_e32 v4, 0x7f800001
	v_dual_mov_b32 v5, 0 :: v_dual_and_b32 v18, 0x7f, v23
	s_mov_b32 s15, exec_lo
	s_delay_alu instid0(VALU_DEP_1)
	v_cmpx_ne_u32_e32 0x7f, v18
	s_cbranch_execz .LBB239_1649
; %bb.1646:                             ;   in Loop: Header=BB239_1064 Depth=1
	v_and_b32_e32 v8, 7, v23
	v_lshrrev_b32_e32 v4, 3, v18
	s_mov_b32 s16, exec_lo
	v_cmpx_gt_u32_e32 8, v18
; %bb.1647:                             ;   in Loop: Header=BB239_1064 Depth=1
	s_delay_alu instid0(VALU_DEP_3) | instskip(NEXT) | instid1(VALU_DEP_1)
	v_clz_i32_u32_e32 v4, v8
	v_min_u32_e32 v4, 32, v4
	s_delay_alu instid0(VALU_DEP_1) | instskip(SKIP_1) | instid1(VALU_DEP_2)
	v_subrev_nc_u32_e32 v5, 28, v4
	v_sub_nc_u32_e32 v4, 29, v4
	v_lshlrev_b64 v[18:19], v5, v[8:9]
	s_delay_alu instid0(VALU_DEP_1)
	v_and_b32_e32 v8, 7, v18
; %bb.1648:                             ;   in Loop: Header=BB239_1064 Depth=1
	s_or_b32 exec_lo, exec_lo, s16
	v_lshlrev_b32_e32 v5, 24, v23
	s_delay_alu instid0(VALU_DEP_2) | instskip(SKIP_1) | instid1(VALU_DEP_3)
	v_lshlrev_b32_e32 v8, 20, v8
	v_lshl_add_u32 v4, v4, 23, 0x3c000000
	v_and_b32_e32 v5, 0x80000000, v5
	s_delay_alu instid0(VALU_DEP_1) | instskip(NEXT) | instid1(VALU_DEP_1)
	v_or3_b32 v8, v8, v5, v4
	v_dual_mov_b32 v4, v8 :: v_dual_mov_b32 v5, v9
.LBB239_1649:                           ;   in Loop: Header=BB239_1064 Depth=1
	s_or_b32 exec_lo, exec_lo, s15
.LBB239_1650:                           ;   in Loop: Header=BB239_1064 Depth=1
	s_delay_alu instid0(SALU_CYCLE_1)
	s_or_b32 exec_lo, exec_lo, s13
.LBB239_1651:                           ;   in Loop: Header=BB239_1064 Depth=1
	s_delay_alu instid0(SALU_CYCLE_1) | instskip(SKIP_2) | instid1(VALU_DEP_1)
	s_or_b32 exec_lo, exec_lo, s10
	v_lshrrev_b16 v8, 8, v23
	s_mov_b32 s13, exec_lo
	v_cmpx_ne_u16_e32 0, v8
	s_cbranch_execz .LBB239_1659
; %bb.1652:                             ;   in Loop: Header=BB239_1064 Depth=1
	v_dual_mov_b32 v17, s9 :: v_dual_mov_b32 v16, s8
	s_mov_b32 s15, exec_lo
	v_cmpx_ne_u16_e32 0x80, v8
	s_cbranch_execz .LBB239_1658
; %bb.1653:                             ;   in Loop: Header=BB239_1064 Depth=1
	s_mov_b32 s10, s8
	v_dual_mov_b32 v17, s11 :: v_dual_and_b32 v8, 0xffff, v8
	v_mov_b32_e32 v16, s10
	s_mov_b32 s10, exec_lo
	s_delay_alu instid0(VALU_DEP_2) | instskip(NEXT) | instid1(VALU_DEP_1)
	v_and_b32_e32 v18, 0x7f, v8
	v_cmpx_ne_u32_e32 0x7f, v18
	s_cbranch_execz .LBB239_1657
; %bb.1654:                             ;   in Loop: Header=BB239_1064 Depth=1
	v_and_b32_e32 v8, 7, v8
	v_lshrrev_b32_e32 v16, 3, v18
	s_mov_b32 s16, exec_lo
	v_cmpx_gt_u32_e32 8, v18
; %bb.1655:                             ;   in Loop: Header=BB239_1064 Depth=1
	s_delay_alu instid0(VALU_DEP_3) | instskip(NEXT) | instid1(VALU_DEP_1)
	v_clz_i32_u32_e32 v16, v8
	v_min_u32_e32 v16, 32, v16
	s_delay_alu instid0(VALU_DEP_1) | instskip(SKIP_1) | instid1(VALU_DEP_2)
	v_subrev_nc_u32_e32 v17, 28, v16
	v_sub_nc_u32_e32 v16, 29, v16
	v_lshlrev_b64 v[17:18], v17, v[8:9]
	s_delay_alu instid0(VALU_DEP_1)
	v_and_b32_e32 v8, 7, v17
; %bb.1656:                             ;   in Loop: Header=BB239_1064 Depth=1
	s_or_b32 exec_lo, exec_lo, s16
	v_lshlrev_b32_e32 v17, 16, v23
	s_delay_alu instid0(VALU_DEP_2) | instskip(SKIP_1) | instid1(VALU_DEP_3)
	v_lshlrev_b32_e32 v8, 20, v8
	v_lshl_add_u32 v16, v16, 23, 0x3c000000
	v_and_b32_e32 v17, 0x80000000, v17
	s_delay_alu instid0(VALU_DEP_1)
	v_or3_b32 v17, v8, v17, v16
	v_mov_b32_e32 v16, v9
.LBB239_1657:                           ;   in Loop: Header=BB239_1064 Depth=1
	s_or_b32 exec_lo, exec_lo, s10
.LBB239_1658:                           ;   in Loop: Header=BB239_1064 Depth=1
	s_delay_alu instid0(SALU_CYCLE_1)
	s_or_b32 exec_lo, exec_lo, s15
.LBB239_1659:                           ;   in Loop: Header=BB239_1064 Depth=1
	s_delay_alu instid0(SALU_CYCLE_1) | instskip(SKIP_3) | instid1(VALU_DEP_2)
	s_or_b32 exec_lo, exec_lo, s13
	v_lshrrev_b32_e32 v27, 16, v23
	v_mov_b32_e32 v21, 0
	v_mov_b32_e32 v22, 0
	;; [unrolled: 1-line block ×3, first 2 shown]
	s_mov_b32 s10, exec_lo
	s_delay_alu instid0(VALU_DEP_2) | instskip(NEXT) | instid1(VALU_DEP_1)
	v_dual_mov_b32 v19, v22 :: v_dual_and_b32 v8, 0xff, v27
	v_cmpx_ne_u16_e32 0, v8
	s_cbranch_execz .LBB239_1667
; %bb.1660:                             ;   in Loop: Header=BB239_1064 Depth=1
	v_bfrev_b32_e32 v18, 1
	v_mov_b32_e32 v19, 0
	s_mov_b32 s13, exec_lo
	v_cmpx_ne_u16_e32 0x80, v8
	s_cbranch_execz .LBB239_1666
; %bb.1661:                             ;   in Loop: Header=BB239_1064 Depth=1
	v_mov_b32_e32 v18, 0x7f800001
	v_bfe_u32 v85, v23, 16, 7
	v_mov_b32_e32 v19, 0
	s_mov_b32 s15, exec_lo
	s_delay_alu instid0(VALU_DEP_2)
	v_cmpx_ne_u32_e32 0x7f, v85
	s_cbranch_execz .LBB239_1665
; %bb.1662:                             ;   in Loop: Header=BB239_1064 Depth=1
	v_and_b32_e32 v8, 7, v27
	v_lshrrev_b32_e32 v18, 3, v85
	s_mov_b32 s16, exec_lo
	v_cmpx_gt_u32_e32 8, v85
; %bb.1663:                             ;   in Loop: Header=BB239_1064 Depth=1
	s_delay_alu instid0(VALU_DEP_3) | instskip(NEXT) | instid1(VALU_DEP_1)
	v_clz_i32_u32_e32 v18, v8
	v_min_u32_e32 v18, 32, v18
	s_delay_alu instid0(VALU_DEP_1) | instskip(SKIP_1) | instid1(VALU_DEP_2)
	v_subrev_nc_u32_e32 v19, 28, v18
	v_sub_nc_u32_e32 v18, 29, v18
	v_lshlrev_b64 v[85:86], v19, v[8:9]
	s_delay_alu instid0(VALU_DEP_1)
	v_and_b32_e32 v8, 7, v85
; %bb.1664:                             ;   in Loop: Header=BB239_1064 Depth=1
	s_or_b32 exec_lo, exec_lo, s16
	v_lshlrev_b32_e32 v19, 24, v27
	s_delay_alu instid0(VALU_DEP_2) | instskip(SKIP_1) | instid1(VALU_DEP_3)
	v_lshlrev_b32_e32 v8, 20, v8
	v_lshl_add_u32 v18, v18, 23, 0x3c000000
	v_and_b32_e32 v19, 0x80000000, v19
	s_delay_alu instid0(VALU_DEP_1) | instskip(NEXT) | instid1(VALU_DEP_1)
	v_or3_b32 v8, v8, v19, v18
	v_dual_mov_b32 v19, v9 :: v_dual_mov_b32 v18, v8
.LBB239_1665:                           ;   in Loop: Header=BB239_1064 Depth=1
	s_or_b32 exec_lo, exec_lo, s15
.LBB239_1666:                           ;   in Loop: Header=BB239_1064 Depth=1
	s_delay_alu instid0(SALU_CYCLE_1)
	s_or_b32 exec_lo, exec_lo, s13
.LBB239_1667:                           ;   in Loop: Header=BB239_1064 Depth=1
	s_delay_alu instid0(SALU_CYCLE_1) | instskip(NEXT) | instid1(SALU_CYCLE_1)
	s_or_b32 exec_lo, exec_lo, s10
	s_mov_b32 s13, exec_lo
	v_cmpx_lt_u32_e32 0xffffff, v23
	s_cbranch_execz .LBB239_1675
; %bb.1668:                             ;   in Loop: Header=BB239_1064 Depth=1
	v_lshrrev_b32_e32 v27, 24, v23
	v_dual_mov_b32 v22, s9 :: v_dual_mov_b32 v21, s8
	s_mov_b32 s15, exec_lo
	s_delay_alu instid0(VALU_DEP_2)
	v_cmpx_ne_u32_e32 0x80, v27
	s_cbranch_execz .LBB239_1674
; %bb.1669:                             ;   in Loop: Header=BB239_1064 Depth=1
	s_mov_b32 s10, s8
	v_bfe_u32 v23, v23, 24, 7
	v_dual_mov_b32 v22, s11 :: v_dual_mov_b32 v21, s10
	s_mov_b32 s10, exec_lo
	s_delay_alu instid0(VALU_DEP_2)
	v_cmpx_ne_u32_e32 0x7f, v23
	s_cbranch_execz .LBB239_1673
; %bb.1670:                             ;   in Loop: Header=BB239_1064 Depth=1
	v_and_b32_e32 v8, 7, v27
	v_lshrrev_b32_e32 v21, 3, v23
	s_mov_b32 s16, exec_lo
	v_cmpx_gt_u32_e32 8, v23
; %bb.1671:                             ;   in Loop: Header=BB239_1064 Depth=1
	s_delay_alu instid0(VALU_DEP_3) | instskip(NEXT) | instid1(VALU_DEP_1)
	v_clz_i32_u32_e32 v21, v8
	v_min_u32_e32 v21, 32, v21
	s_delay_alu instid0(VALU_DEP_1) | instskip(SKIP_1) | instid1(VALU_DEP_2)
	v_subrev_nc_u32_e32 v22, 28, v21
	v_sub_nc_u32_e32 v21, 29, v21
	v_lshlrev_b64 v[22:23], v22, v[8:9]
	s_delay_alu instid0(VALU_DEP_1)
	v_and_b32_e32 v8, 7, v22
; %bb.1672:                             ;   in Loop: Header=BB239_1064 Depth=1
	s_or_b32 exec_lo, exec_lo, s16
	v_lshlrev_b32_e32 v22, 24, v27
	s_delay_alu instid0(VALU_DEP_2) | instskip(SKIP_1) | instid1(VALU_DEP_3)
	v_lshlrev_b32_e32 v8, 20, v8
	v_lshl_add_u32 v21, v21, 23, 0x3c000000
	v_and_b32_e32 v22, 0x80000000, v22
	s_delay_alu instid0(VALU_DEP_1)
	v_or3_b32 v22, v8, v22, v21
	v_mov_b32_e32 v21, v9
.LBB239_1673:                           ;   in Loop: Header=BB239_1064 Depth=1
	s_or_b32 exec_lo, exec_lo, s10
.LBB239_1674:                           ;   in Loop: Header=BB239_1064 Depth=1
	s_delay_alu instid0(SALU_CYCLE_1)
	s_or_b32 exec_lo, exec_lo, s15
.LBB239_1675:                           ;   in Loop: Header=BB239_1064 Depth=1
	s_delay_alu instid0(SALU_CYCLE_1) | instskip(SKIP_4) | instid1(VALU_DEP_4)
	s_or_b32 exec_lo, exec_lo, s13
	v_or_b32_e32 v5, v17, v5
	v_or_b32_e32 v4, v16, v4
	;; [unrolled: 1-line block ×4, first 2 shown]
	v_mul_f32_e32 v104, v102, v5
	s_delay_alu instid0(VALU_DEP_4) | instskip(NEXT) | instid1(VALU_DEP_4)
	v_mul_f32_e32 v95, v102, v4
	v_mul_f32_e32 v93, v102, v8
	s_delay_alu instid0(VALU_DEP_4)
	v_mul_f32_e32 v94, v102, v16
	s_and_saveexec_b32 s10, vcc_lo
; %bb.1676:                             ;   in Loop: Header=BB239_1064 Depth=1
	v_cmp_lt_i32_e64 s0, v116, v25
	s_delay_alu instid0(VALU_DEP_1) | instskip(SKIP_1) | instid1(VALU_DEP_1)
	v_cndmask_b32_e64 v95, 0, v95, s0
	v_cmp_lt_i32_e64 s0, v119, v25
	v_cndmask_b32_e64 v104, 0, v104, s0
	v_cmp_lt_i32_e64 s0, v118, v25
	s_delay_alu instid0(VALU_DEP_1) | instskip(SKIP_1) | instid1(VALU_DEP_1)
	v_cndmask_b32_e64 v94, 0, v94, s0
	v_cmp_lt_i32_e64 s0, v117, v25
	v_cndmask_b32_e64 v93, 0, v93, s0
; %bb.1677:                             ;   in Loop: Header=BB239_1064 Depth=1
	s_or_b32 exec_lo, exec_lo, s10
	flat_load_b32 v23, v[14:15] offset:2304
	v_mov_b32_e32 v16, 0
	v_mov_b32_e32 v17, 0
	s_mov_b32 s10, exec_lo
	s_waitcnt vmcnt(0) lgkmcnt(0)
	v_and_b32_e32 v8, 0xff, v23
	s_delay_alu instid0(VALU_DEP_2) | instskip(NEXT) | instid1(VALU_DEP_2)
	v_dual_mov_b32 v4, v16 :: v_dual_mov_b32 v5, v17
	v_cmpx_ne_u16_e32 0, v8
	s_cbranch_execz .LBB239_1685
; %bb.1678:                             ;   in Loop: Header=BB239_1064 Depth=1
	v_bfrev_b32_e32 v4, 1
	v_mov_b32_e32 v5, 0
	s_mov_b32 s13, exec_lo
	v_cmpx_ne_u16_e32 0x80, v8
	s_cbranch_execz .LBB239_1684
; %bb.1679:                             ;   in Loop: Header=BB239_1064 Depth=1
	v_mov_b32_e32 v4, 0x7f800001
	v_dual_mov_b32 v5, 0 :: v_dual_and_b32 v18, 0x7f, v23
	s_mov_b32 s15, exec_lo
	s_delay_alu instid0(VALU_DEP_1)
	v_cmpx_ne_u32_e32 0x7f, v18
	s_cbranch_execz .LBB239_1683
; %bb.1680:                             ;   in Loop: Header=BB239_1064 Depth=1
	v_and_b32_e32 v8, 7, v23
	v_lshrrev_b32_e32 v4, 3, v18
	s_mov_b32 s16, exec_lo
	v_cmpx_gt_u32_e32 8, v18
; %bb.1681:                             ;   in Loop: Header=BB239_1064 Depth=1
	s_delay_alu instid0(VALU_DEP_3) | instskip(NEXT) | instid1(VALU_DEP_1)
	v_clz_i32_u32_e32 v4, v8
	v_min_u32_e32 v4, 32, v4
	s_delay_alu instid0(VALU_DEP_1) | instskip(SKIP_1) | instid1(VALU_DEP_2)
	v_subrev_nc_u32_e32 v5, 28, v4
	v_sub_nc_u32_e32 v4, 29, v4
	v_lshlrev_b64 v[18:19], v5, v[8:9]
	s_delay_alu instid0(VALU_DEP_1)
	v_and_b32_e32 v8, 7, v18
; %bb.1682:                             ;   in Loop: Header=BB239_1064 Depth=1
	s_or_b32 exec_lo, exec_lo, s16
	v_lshlrev_b32_e32 v5, 24, v23
	s_delay_alu instid0(VALU_DEP_2) | instskip(SKIP_1) | instid1(VALU_DEP_3)
	v_lshlrev_b32_e32 v8, 20, v8
	v_lshl_add_u32 v4, v4, 23, 0x3c000000
	v_and_b32_e32 v5, 0x80000000, v5
	s_delay_alu instid0(VALU_DEP_1) | instskip(NEXT) | instid1(VALU_DEP_1)
	v_or3_b32 v8, v8, v5, v4
	v_dual_mov_b32 v4, v8 :: v_dual_mov_b32 v5, v9
.LBB239_1683:                           ;   in Loop: Header=BB239_1064 Depth=1
	s_or_b32 exec_lo, exec_lo, s15
.LBB239_1684:                           ;   in Loop: Header=BB239_1064 Depth=1
	s_delay_alu instid0(SALU_CYCLE_1)
	s_or_b32 exec_lo, exec_lo, s13
.LBB239_1685:                           ;   in Loop: Header=BB239_1064 Depth=1
	s_delay_alu instid0(SALU_CYCLE_1) | instskip(SKIP_2) | instid1(VALU_DEP_1)
	s_or_b32 exec_lo, exec_lo, s10
	v_lshrrev_b16 v8, 8, v23
	s_mov_b32 s13, exec_lo
	v_cmpx_ne_u16_e32 0, v8
	s_cbranch_execz .LBB239_1693
; %bb.1686:                             ;   in Loop: Header=BB239_1064 Depth=1
	v_dual_mov_b32 v17, s9 :: v_dual_mov_b32 v16, s8
	s_mov_b32 s15, exec_lo
	v_cmpx_ne_u16_e32 0x80, v8
	s_cbranch_execz .LBB239_1692
; %bb.1687:                             ;   in Loop: Header=BB239_1064 Depth=1
	s_mov_b32 s10, s8
	v_dual_mov_b32 v17, s11 :: v_dual_and_b32 v8, 0xffff, v8
	v_mov_b32_e32 v16, s10
	s_mov_b32 s10, exec_lo
	s_delay_alu instid0(VALU_DEP_2) | instskip(NEXT) | instid1(VALU_DEP_1)
	v_and_b32_e32 v18, 0x7f, v8
	v_cmpx_ne_u32_e32 0x7f, v18
	s_cbranch_execz .LBB239_1691
; %bb.1688:                             ;   in Loop: Header=BB239_1064 Depth=1
	v_and_b32_e32 v8, 7, v8
	v_lshrrev_b32_e32 v16, 3, v18
	s_mov_b32 s16, exec_lo
	v_cmpx_gt_u32_e32 8, v18
; %bb.1689:                             ;   in Loop: Header=BB239_1064 Depth=1
	s_delay_alu instid0(VALU_DEP_3) | instskip(NEXT) | instid1(VALU_DEP_1)
	v_clz_i32_u32_e32 v16, v8
	v_min_u32_e32 v16, 32, v16
	s_delay_alu instid0(VALU_DEP_1) | instskip(SKIP_1) | instid1(VALU_DEP_2)
	v_subrev_nc_u32_e32 v17, 28, v16
	v_sub_nc_u32_e32 v16, 29, v16
	v_lshlrev_b64 v[17:18], v17, v[8:9]
	s_delay_alu instid0(VALU_DEP_1)
	v_and_b32_e32 v8, 7, v17
; %bb.1690:                             ;   in Loop: Header=BB239_1064 Depth=1
	s_or_b32 exec_lo, exec_lo, s16
	v_lshlrev_b32_e32 v17, 16, v23
	s_delay_alu instid0(VALU_DEP_2) | instskip(SKIP_1) | instid1(VALU_DEP_3)
	v_lshlrev_b32_e32 v8, 20, v8
	v_lshl_add_u32 v16, v16, 23, 0x3c000000
	v_and_b32_e32 v17, 0x80000000, v17
	s_delay_alu instid0(VALU_DEP_1)
	v_or3_b32 v17, v8, v17, v16
	v_mov_b32_e32 v16, v9
.LBB239_1691:                           ;   in Loop: Header=BB239_1064 Depth=1
	s_or_b32 exec_lo, exec_lo, s10
.LBB239_1692:                           ;   in Loop: Header=BB239_1064 Depth=1
	s_delay_alu instid0(SALU_CYCLE_1)
	s_or_b32 exec_lo, exec_lo, s15
.LBB239_1693:                           ;   in Loop: Header=BB239_1064 Depth=1
	s_delay_alu instid0(SALU_CYCLE_1) | instskip(SKIP_3) | instid1(VALU_DEP_2)
	s_or_b32 exec_lo, exec_lo, s13
	v_lshrrev_b32_e32 v27, 16, v23
	v_mov_b32_e32 v21, 0
	v_mov_b32_e32 v22, 0
	v_mov_b32_e32 v18, v21
	s_mov_b32 s10, exec_lo
	s_delay_alu instid0(VALU_DEP_2) | instskip(NEXT) | instid1(VALU_DEP_1)
	v_dual_mov_b32 v19, v22 :: v_dual_and_b32 v8, 0xff, v27
	v_cmpx_ne_u16_e32 0, v8
	s_cbranch_execz .LBB239_1701
; %bb.1694:                             ;   in Loop: Header=BB239_1064 Depth=1
	v_bfrev_b32_e32 v18, 1
	v_mov_b32_e32 v19, 0
	s_mov_b32 s13, exec_lo
	v_cmpx_ne_u16_e32 0x80, v8
	s_cbranch_execz .LBB239_1700
; %bb.1695:                             ;   in Loop: Header=BB239_1064 Depth=1
	v_mov_b32_e32 v18, 0x7f800001
	v_bfe_u32 v85, v23, 16, 7
	v_mov_b32_e32 v19, 0
	s_mov_b32 s15, exec_lo
	s_delay_alu instid0(VALU_DEP_2)
	v_cmpx_ne_u32_e32 0x7f, v85
	s_cbranch_execz .LBB239_1699
; %bb.1696:                             ;   in Loop: Header=BB239_1064 Depth=1
	v_and_b32_e32 v8, 7, v27
	v_lshrrev_b32_e32 v18, 3, v85
	s_mov_b32 s16, exec_lo
	v_cmpx_gt_u32_e32 8, v85
; %bb.1697:                             ;   in Loop: Header=BB239_1064 Depth=1
	s_delay_alu instid0(VALU_DEP_3) | instskip(NEXT) | instid1(VALU_DEP_1)
	v_clz_i32_u32_e32 v18, v8
	v_min_u32_e32 v18, 32, v18
	s_delay_alu instid0(VALU_DEP_1) | instskip(SKIP_1) | instid1(VALU_DEP_2)
	v_subrev_nc_u32_e32 v19, 28, v18
	v_sub_nc_u32_e32 v18, 29, v18
	v_lshlrev_b64 v[85:86], v19, v[8:9]
	s_delay_alu instid0(VALU_DEP_1)
	v_and_b32_e32 v8, 7, v85
; %bb.1698:                             ;   in Loop: Header=BB239_1064 Depth=1
	s_or_b32 exec_lo, exec_lo, s16
	v_lshlrev_b32_e32 v19, 24, v27
	s_delay_alu instid0(VALU_DEP_2) | instskip(SKIP_1) | instid1(VALU_DEP_3)
	v_lshlrev_b32_e32 v8, 20, v8
	v_lshl_add_u32 v18, v18, 23, 0x3c000000
	v_and_b32_e32 v19, 0x80000000, v19
	s_delay_alu instid0(VALU_DEP_1) | instskip(NEXT) | instid1(VALU_DEP_1)
	v_or3_b32 v8, v8, v19, v18
	v_dual_mov_b32 v19, v9 :: v_dual_mov_b32 v18, v8
.LBB239_1699:                           ;   in Loop: Header=BB239_1064 Depth=1
	s_or_b32 exec_lo, exec_lo, s15
.LBB239_1700:                           ;   in Loop: Header=BB239_1064 Depth=1
	s_delay_alu instid0(SALU_CYCLE_1)
	s_or_b32 exec_lo, exec_lo, s13
.LBB239_1701:                           ;   in Loop: Header=BB239_1064 Depth=1
	s_delay_alu instid0(SALU_CYCLE_1) | instskip(NEXT) | instid1(SALU_CYCLE_1)
	s_or_b32 exec_lo, exec_lo, s10
	s_mov_b32 s13, exec_lo
	v_cmpx_lt_u32_e32 0xffffff, v23
	s_cbranch_execz .LBB239_1709
; %bb.1702:                             ;   in Loop: Header=BB239_1064 Depth=1
	v_lshrrev_b32_e32 v27, 24, v23
	v_dual_mov_b32 v22, s9 :: v_dual_mov_b32 v21, s8
	s_mov_b32 s15, exec_lo
	s_delay_alu instid0(VALU_DEP_2)
	v_cmpx_ne_u32_e32 0x80, v27
	s_cbranch_execz .LBB239_1708
; %bb.1703:                             ;   in Loop: Header=BB239_1064 Depth=1
	s_mov_b32 s10, s8
	v_bfe_u32 v23, v23, 24, 7
	v_dual_mov_b32 v22, s11 :: v_dual_mov_b32 v21, s10
	s_mov_b32 s10, exec_lo
	s_delay_alu instid0(VALU_DEP_2)
	v_cmpx_ne_u32_e32 0x7f, v23
	s_cbranch_execz .LBB239_1707
; %bb.1704:                             ;   in Loop: Header=BB239_1064 Depth=1
	v_and_b32_e32 v8, 7, v27
	v_lshrrev_b32_e32 v21, 3, v23
	s_mov_b32 s16, exec_lo
	v_cmpx_gt_u32_e32 8, v23
; %bb.1705:                             ;   in Loop: Header=BB239_1064 Depth=1
	s_delay_alu instid0(VALU_DEP_3) | instskip(NEXT) | instid1(VALU_DEP_1)
	v_clz_i32_u32_e32 v21, v8
	v_min_u32_e32 v21, 32, v21
	s_delay_alu instid0(VALU_DEP_1) | instskip(SKIP_1) | instid1(VALU_DEP_2)
	v_subrev_nc_u32_e32 v22, 28, v21
	v_sub_nc_u32_e32 v21, 29, v21
	v_lshlrev_b64 v[22:23], v22, v[8:9]
	s_delay_alu instid0(VALU_DEP_1)
	v_and_b32_e32 v8, 7, v22
; %bb.1706:                             ;   in Loop: Header=BB239_1064 Depth=1
	s_or_b32 exec_lo, exec_lo, s16
	v_lshlrev_b32_e32 v22, 24, v27
	s_delay_alu instid0(VALU_DEP_2) | instskip(SKIP_1) | instid1(VALU_DEP_3)
	v_lshlrev_b32_e32 v8, 20, v8
	v_lshl_add_u32 v21, v21, 23, 0x3c000000
	v_and_b32_e32 v22, 0x80000000, v22
	s_delay_alu instid0(VALU_DEP_1)
	v_or3_b32 v22, v8, v22, v21
	v_mov_b32_e32 v21, v9
.LBB239_1707:                           ;   in Loop: Header=BB239_1064 Depth=1
	s_or_b32 exec_lo, exec_lo, s10
.LBB239_1708:                           ;   in Loop: Header=BB239_1064 Depth=1
	s_delay_alu instid0(SALU_CYCLE_1)
	s_or_b32 exec_lo, exec_lo, s15
.LBB239_1709:                           ;   in Loop: Header=BB239_1064 Depth=1
	s_delay_alu instid0(SALU_CYCLE_1) | instskip(SKIP_4) | instid1(VALU_DEP_4)
	s_or_b32 exec_lo, exec_lo, s13
	v_or_b32_e32 v5, v17, v5
	v_or_b32_e32 v4, v16, v4
	;; [unrolled: 1-line block ×4, first 2 shown]
	v_mul_f32_e32 v108, v102, v5
	s_delay_alu instid0(VALU_DEP_4) | instskip(NEXT) | instid1(VALU_DEP_4)
	v_mul_f32_e32 v107, v102, v4
	v_mul_f32_e32 v105, v102, v8
	s_delay_alu instid0(VALU_DEP_4)
	v_mul_f32_e32 v106, v102, v16
	s_and_saveexec_b32 s10, vcc_lo
; %bb.1710:                             ;   in Loop: Header=BB239_1064 Depth=1
	v_cmp_lt_i32_e64 s0, v116, v25
	s_delay_alu instid0(VALU_DEP_1) | instskip(SKIP_1) | instid1(VALU_DEP_1)
	v_cndmask_b32_e64 v107, 0, v107, s0
	v_cmp_lt_i32_e64 s0, v119, v25
	v_cndmask_b32_e64 v108, 0, v108, s0
	v_cmp_lt_i32_e64 s0, v118, v25
	s_delay_alu instid0(VALU_DEP_1) | instskip(SKIP_1) | instid1(VALU_DEP_1)
	v_cndmask_b32_e64 v106, 0, v106, s0
	v_cmp_lt_i32_e64 s0, v117, v25
	v_cndmask_b32_e64 v105, 0, v105, s0
; %bb.1711:                             ;   in Loop: Header=BB239_1064 Depth=1
	s_or_b32 exec_lo, exec_lo, s10
	flat_load_b32 v23, v[14:15] offset:2432
	v_mov_b32_e32 v16, 0
	v_mov_b32_e32 v17, 0
	s_mov_b32 s10, exec_lo
	s_waitcnt vmcnt(0) lgkmcnt(0)
	v_and_b32_e32 v8, 0xff, v23
	s_delay_alu instid0(VALU_DEP_2) | instskip(NEXT) | instid1(VALU_DEP_2)
	v_dual_mov_b32 v4, v16 :: v_dual_mov_b32 v5, v17
	v_cmpx_ne_u16_e32 0, v8
	s_cbranch_execz .LBB239_1719
; %bb.1712:                             ;   in Loop: Header=BB239_1064 Depth=1
	v_bfrev_b32_e32 v4, 1
	v_mov_b32_e32 v5, 0
	s_mov_b32 s13, exec_lo
	v_cmpx_ne_u16_e32 0x80, v8
	s_cbranch_execz .LBB239_1718
; %bb.1713:                             ;   in Loop: Header=BB239_1064 Depth=1
	v_mov_b32_e32 v4, 0x7f800001
	v_dual_mov_b32 v5, 0 :: v_dual_and_b32 v18, 0x7f, v23
	s_mov_b32 s15, exec_lo
	s_delay_alu instid0(VALU_DEP_1)
	v_cmpx_ne_u32_e32 0x7f, v18
	s_cbranch_execz .LBB239_1717
; %bb.1714:                             ;   in Loop: Header=BB239_1064 Depth=1
	v_and_b32_e32 v8, 7, v23
	v_lshrrev_b32_e32 v4, 3, v18
	s_mov_b32 s16, exec_lo
	v_cmpx_gt_u32_e32 8, v18
; %bb.1715:                             ;   in Loop: Header=BB239_1064 Depth=1
	s_delay_alu instid0(VALU_DEP_3) | instskip(NEXT) | instid1(VALU_DEP_1)
	v_clz_i32_u32_e32 v4, v8
	v_min_u32_e32 v4, 32, v4
	s_delay_alu instid0(VALU_DEP_1) | instskip(SKIP_1) | instid1(VALU_DEP_2)
	v_subrev_nc_u32_e32 v5, 28, v4
	v_sub_nc_u32_e32 v4, 29, v4
	v_lshlrev_b64 v[18:19], v5, v[8:9]
	s_delay_alu instid0(VALU_DEP_1)
	v_and_b32_e32 v8, 7, v18
; %bb.1716:                             ;   in Loop: Header=BB239_1064 Depth=1
	s_or_b32 exec_lo, exec_lo, s16
	v_lshlrev_b32_e32 v5, 24, v23
	s_delay_alu instid0(VALU_DEP_2) | instskip(SKIP_1) | instid1(VALU_DEP_3)
	v_lshlrev_b32_e32 v8, 20, v8
	v_lshl_add_u32 v4, v4, 23, 0x3c000000
	v_and_b32_e32 v5, 0x80000000, v5
	s_delay_alu instid0(VALU_DEP_1) | instskip(NEXT) | instid1(VALU_DEP_1)
	v_or3_b32 v8, v8, v5, v4
	v_dual_mov_b32 v4, v8 :: v_dual_mov_b32 v5, v9
.LBB239_1717:                           ;   in Loop: Header=BB239_1064 Depth=1
	s_or_b32 exec_lo, exec_lo, s15
.LBB239_1718:                           ;   in Loop: Header=BB239_1064 Depth=1
	s_delay_alu instid0(SALU_CYCLE_1)
	s_or_b32 exec_lo, exec_lo, s13
.LBB239_1719:                           ;   in Loop: Header=BB239_1064 Depth=1
	s_delay_alu instid0(SALU_CYCLE_1) | instskip(SKIP_2) | instid1(VALU_DEP_1)
	s_or_b32 exec_lo, exec_lo, s10
	v_lshrrev_b16 v8, 8, v23
	s_mov_b32 s13, exec_lo
	v_cmpx_ne_u16_e32 0, v8
	s_cbranch_execz .LBB239_1727
; %bb.1720:                             ;   in Loop: Header=BB239_1064 Depth=1
	v_dual_mov_b32 v17, s9 :: v_dual_mov_b32 v16, s8
	s_mov_b32 s15, exec_lo
	v_cmpx_ne_u16_e32 0x80, v8
	s_cbranch_execz .LBB239_1726
; %bb.1721:                             ;   in Loop: Header=BB239_1064 Depth=1
	s_mov_b32 s10, s8
	v_dual_mov_b32 v17, s11 :: v_dual_and_b32 v8, 0xffff, v8
	v_mov_b32_e32 v16, s10
	s_mov_b32 s10, exec_lo
	s_delay_alu instid0(VALU_DEP_2) | instskip(NEXT) | instid1(VALU_DEP_1)
	v_and_b32_e32 v18, 0x7f, v8
	v_cmpx_ne_u32_e32 0x7f, v18
	s_cbranch_execz .LBB239_1725
; %bb.1722:                             ;   in Loop: Header=BB239_1064 Depth=1
	v_and_b32_e32 v8, 7, v8
	v_lshrrev_b32_e32 v16, 3, v18
	s_mov_b32 s16, exec_lo
	v_cmpx_gt_u32_e32 8, v18
; %bb.1723:                             ;   in Loop: Header=BB239_1064 Depth=1
	s_delay_alu instid0(VALU_DEP_3) | instskip(NEXT) | instid1(VALU_DEP_1)
	v_clz_i32_u32_e32 v16, v8
	v_min_u32_e32 v16, 32, v16
	s_delay_alu instid0(VALU_DEP_1) | instskip(SKIP_1) | instid1(VALU_DEP_2)
	v_subrev_nc_u32_e32 v17, 28, v16
	v_sub_nc_u32_e32 v16, 29, v16
	v_lshlrev_b64 v[17:18], v17, v[8:9]
	s_delay_alu instid0(VALU_DEP_1)
	v_and_b32_e32 v8, 7, v17
; %bb.1724:                             ;   in Loop: Header=BB239_1064 Depth=1
	s_or_b32 exec_lo, exec_lo, s16
	v_lshlrev_b32_e32 v17, 16, v23
	s_delay_alu instid0(VALU_DEP_2) | instskip(SKIP_1) | instid1(VALU_DEP_3)
	v_lshlrev_b32_e32 v8, 20, v8
	v_lshl_add_u32 v16, v16, 23, 0x3c000000
	v_and_b32_e32 v17, 0x80000000, v17
	s_delay_alu instid0(VALU_DEP_1)
	v_or3_b32 v17, v8, v17, v16
	v_mov_b32_e32 v16, v9
.LBB239_1725:                           ;   in Loop: Header=BB239_1064 Depth=1
	s_or_b32 exec_lo, exec_lo, s10
.LBB239_1726:                           ;   in Loop: Header=BB239_1064 Depth=1
	s_delay_alu instid0(SALU_CYCLE_1)
	s_or_b32 exec_lo, exec_lo, s15
.LBB239_1727:                           ;   in Loop: Header=BB239_1064 Depth=1
	s_delay_alu instid0(SALU_CYCLE_1) | instskip(SKIP_3) | instid1(VALU_DEP_2)
	s_or_b32 exec_lo, exec_lo, s13
	v_lshrrev_b32_e32 v27, 16, v23
	v_mov_b32_e32 v21, 0
	v_mov_b32_e32 v22, 0
	;; [unrolled: 1-line block ×3, first 2 shown]
	s_mov_b32 s10, exec_lo
	s_delay_alu instid0(VALU_DEP_2) | instskip(NEXT) | instid1(VALU_DEP_1)
	v_dual_mov_b32 v19, v22 :: v_dual_and_b32 v8, 0xff, v27
	v_cmpx_ne_u16_e32 0, v8
	s_cbranch_execz .LBB239_1735
; %bb.1728:                             ;   in Loop: Header=BB239_1064 Depth=1
	v_bfrev_b32_e32 v18, 1
	v_mov_b32_e32 v19, 0
	s_mov_b32 s13, exec_lo
	v_cmpx_ne_u16_e32 0x80, v8
	s_cbranch_execz .LBB239_1734
; %bb.1729:                             ;   in Loop: Header=BB239_1064 Depth=1
	v_mov_b32_e32 v18, 0x7f800001
	v_bfe_u32 v85, v23, 16, 7
	v_mov_b32_e32 v19, 0
	s_mov_b32 s15, exec_lo
	s_delay_alu instid0(VALU_DEP_2)
	v_cmpx_ne_u32_e32 0x7f, v85
	s_cbranch_execz .LBB239_1733
; %bb.1730:                             ;   in Loop: Header=BB239_1064 Depth=1
	v_and_b32_e32 v8, 7, v27
	v_lshrrev_b32_e32 v18, 3, v85
	s_mov_b32 s16, exec_lo
	v_cmpx_gt_u32_e32 8, v85
; %bb.1731:                             ;   in Loop: Header=BB239_1064 Depth=1
	s_delay_alu instid0(VALU_DEP_3) | instskip(NEXT) | instid1(VALU_DEP_1)
	v_clz_i32_u32_e32 v18, v8
	v_min_u32_e32 v18, 32, v18
	s_delay_alu instid0(VALU_DEP_1) | instskip(SKIP_1) | instid1(VALU_DEP_2)
	v_subrev_nc_u32_e32 v19, 28, v18
	v_sub_nc_u32_e32 v18, 29, v18
	v_lshlrev_b64 v[85:86], v19, v[8:9]
	s_delay_alu instid0(VALU_DEP_1)
	v_and_b32_e32 v8, 7, v85
; %bb.1732:                             ;   in Loop: Header=BB239_1064 Depth=1
	s_or_b32 exec_lo, exec_lo, s16
	v_lshlrev_b32_e32 v19, 24, v27
	s_delay_alu instid0(VALU_DEP_2) | instskip(SKIP_1) | instid1(VALU_DEP_3)
	v_lshlrev_b32_e32 v8, 20, v8
	v_lshl_add_u32 v18, v18, 23, 0x3c000000
	v_and_b32_e32 v19, 0x80000000, v19
	s_delay_alu instid0(VALU_DEP_1) | instskip(NEXT) | instid1(VALU_DEP_1)
	v_or3_b32 v8, v8, v19, v18
	v_dual_mov_b32 v19, v9 :: v_dual_mov_b32 v18, v8
.LBB239_1733:                           ;   in Loop: Header=BB239_1064 Depth=1
	s_or_b32 exec_lo, exec_lo, s15
.LBB239_1734:                           ;   in Loop: Header=BB239_1064 Depth=1
	s_delay_alu instid0(SALU_CYCLE_1)
	s_or_b32 exec_lo, exec_lo, s13
.LBB239_1735:                           ;   in Loop: Header=BB239_1064 Depth=1
	s_delay_alu instid0(SALU_CYCLE_1) | instskip(NEXT) | instid1(SALU_CYCLE_1)
	s_or_b32 exec_lo, exec_lo, s10
	s_mov_b32 s13, exec_lo
	v_cmpx_lt_u32_e32 0xffffff, v23
	s_cbranch_execz .LBB239_1743
; %bb.1736:                             ;   in Loop: Header=BB239_1064 Depth=1
	v_lshrrev_b32_e32 v27, 24, v23
	v_dual_mov_b32 v22, s9 :: v_dual_mov_b32 v21, s8
	s_mov_b32 s15, exec_lo
	s_delay_alu instid0(VALU_DEP_2)
	v_cmpx_ne_u32_e32 0x80, v27
	s_cbranch_execz .LBB239_1742
; %bb.1737:                             ;   in Loop: Header=BB239_1064 Depth=1
	s_mov_b32 s10, s8
	v_bfe_u32 v23, v23, 24, 7
	v_dual_mov_b32 v22, s11 :: v_dual_mov_b32 v21, s10
	s_mov_b32 s10, exec_lo
	s_delay_alu instid0(VALU_DEP_2)
	v_cmpx_ne_u32_e32 0x7f, v23
	s_cbranch_execz .LBB239_1741
; %bb.1738:                             ;   in Loop: Header=BB239_1064 Depth=1
	v_and_b32_e32 v8, 7, v27
	v_lshrrev_b32_e32 v21, 3, v23
	s_mov_b32 s16, exec_lo
	v_cmpx_gt_u32_e32 8, v23
; %bb.1739:                             ;   in Loop: Header=BB239_1064 Depth=1
	s_delay_alu instid0(VALU_DEP_3) | instskip(NEXT) | instid1(VALU_DEP_1)
	v_clz_i32_u32_e32 v21, v8
	v_min_u32_e32 v21, 32, v21
	s_delay_alu instid0(VALU_DEP_1) | instskip(SKIP_1) | instid1(VALU_DEP_2)
	v_subrev_nc_u32_e32 v22, 28, v21
	v_sub_nc_u32_e32 v21, 29, v21
	v_lshlrev_b64 v[22:23], v22, v[8:9]
	s_delay_alu instid0(VALU_DEP_1)
	v_and_b32_e32 v8, 7, v22
; %bb.1740:                             ;   in Loop: Header=BB239_1064 Depth=1
	s_or_b32 exec_lo, exec_lo, s16
	v_lshlrev_b32_e32 v22, 24, v27
	s_delay_alu instid0(VALU_DEP_2) | instskip(SKIP_1) | instid1(VALU_DEP_3)
	v_lshlrev_b32_e32 v8, 20, v8
	v_lshl_add_u32 v21, v21, 23, 0x3c000000
	v_and_b32_e32 v22, 0x80000000, v22
	s_delay_alu instid0(VALU_DEP_1)
	v_or3_b32 v22, v8, v22, v21
	v_mov_b32_e32 v21, v9
.LBB239_1741:                           ;   in Loop: Header=BB239_1064 Depth=1
	s_or_b32 exec_lo, exec_lo, s10
.LBB239_1742:                           ;   in Loop: Header=BB239_1064 Depth=1
	s_delay_alu instid0(SALU_CYCLE_1)
	s_or_b32 exec_lo, exec_lo, s15
.LBB239_1743:                           ;   in Loop: Header=BB239_1064 Depth=1
	s_delay_alu instid0(SALU_CYCLE_1) | instskip(SKIP_4) | instid1(VALU_DEP_4)
	s_or_b32 exec_lo, exec_lo, s13
	v_or_b32_e32 v5, v17, v5
	v_or_b32_e32 v4, v16, v4
	;; [unrolled: 1-line block ×4, first 2 shown]
	v_mul_f32_e32 v120, v102, v5
	s_delay_alu instid0(VALU_DEP_4) | instskip(NEXT) | instid1(VALU_DEP_4)
	v_mul_f32_e32 v111, v102, v4
	v_mul_f32_e32 v109, v102, v8
	s_delay_alu instid0(VALU_DEP_4)
	v_mul_f32_e32 v110, v102, v16
	s_and_saveexec_b32 s10, vcc_lo
; %bb.1744:                             ;   in Loop: Header=BB239_1064 Depth=1
	v_cmp_lt_i32_e64 s0, v116, v25
	s_delay_alu instid0(VALU_DEP_1) | instskip(SKIP_1) | instid1(VALU_DEP_1)
	v_cndmask_b32_e64 v111, 0, v111, s0
	v_cmp_lt_i32_e64 s0, v119, v25
	v_cndmask_b32_e64 v120, 0, v120, s0
	v_cmp_lt_i32_e64 s0, v118, v25
	s_delay_alu instid0(VALU_DEP_1) | instskip(SKIP_1) | instid1(VALU_DEP_1)
	v_cndmask_b32_e64 v110, 0, v110, s0
	v_cmp_lt_i32_e64 s0, v117, v25
	v_cndmask_b32_e64 v109, 0, v109, s0
; %bb.1745:                             ;   in Loop: Header=BB239_1064 Depth=1
	s_or_b32 exec_lo, exec_lo, s10
	flat_load_b32 v23, v[14:15] offset:2560
	v_mov_b32_e32 v16, 0
	v_mov_b32_e32 v17, 0
	s_mov_b32 s10, exec_lo
	s_waitcnt vmcnt(0) lgkmcnt(0)
	v_and_b32_e32 v8, 0xff, v23
	s_delay_alu instid0(VALU_DEP_2) | instskip(NEXT) | instid1(VALU_DEP_2)
	v_dual_mov_b32 v4, v16 :: v_dual_mov_b32 v5, v17
	v_cmpx_ne_u16_e32 0, v8
	s_cbranch_execz .LBB239_1753
; %bb.1746:                             ;   in Loop: Header=BB239_1064 Depth=1
	v_bfrev_b32_e32 v4, 1
	v_mov_b32_e32 v5, 0
	s_mov_b32 s13, exec_lo
	v_cmpx_ne_u16_e32 0x80, v8
	s_cbranch_execz .LBB239_1752
; %bb.1747:                             ;   in Loop: Header=BB239_1064 Depth=1
	v_mov_b32_e32 v4, 0x7f800001
	v_dual_mov_b32 v5, 0 :: v_dual_and_b32 v18, 0x7f, v23
	s_mov_b32 s15, exec_lo
	s_delay_alu instid0(VALU_DEP_1)
	v_cmpx_ne_u32_e32 0x7f, v18
	s_cbranch_execz .LBB239_1751
; %bb.1748:                             ;   in Loop: Header=BB239_1064 Depth=1
	v_and_b32_e32 v8, 7, v23
	v_lshrrev_b32_e32 v4, 3, v18
	s_mov_b32 s16, exec_lo
	v_cmpx_gt_u32_e32 8, v18
; %bb.1749:                             ;   in Loop: Header=BB239_1064 Depth=1
	s_delay_alu instid0(VALU_DEP_3) | instskip(NEXT) | instid1(VALU_DEP_1)
	v_clz_i32_u32_e32 v4, v8
	v_min_u32_e32 v4, 32, v4
	s_delay_alu instid0(VALU_DEP_1) | instskip(SKIP_1) | instid1(VALU_DEP_2)
	v_subrev_nc_u32_e32 v5, 28, v4
	v_sub_nc_u32_e32 v4, 29, v4
	v_lshlrev_b64 v[18:19], v5, v[8:9]
	s_delay_alu instid0(VALU_DEP_1)
	v_and_b32_e32 v8, 7, v18
; %bb.1750:                             ;   in Loop: Header=BB239_1064 Depth=1
	s_or_b32 exec_lo, exec_lo, s16
	v_lshlrev_b32_e32 v5, 24, v23
	s_delay_alu instid0(VALU_DEP_2) | instskip(SKIP_1) | instid1(VALU_DEP_3)
	v_lshlrev_b32_e32 v8, 20, v8
	v_lshl_add_u32 v4, v4, 23, 0x3c000000
	v_and_b32_e32 v5, 0x80000000, v5
	s_delay_alu instid0(VALU_DEP_1) | instskip(NEXT) | instid1(VALU_DEP_1)
	v_or3_b32 v8, v8, v5, v4
	v_dual_mov_b32 v4, v8 :: v_dual_mov_b32 v5, v9
.LBB239_1751:                           ;   in Loop: Header=BB239_1064 Depth=1
	s_or_b32 exec_lo, exec_lo, s15
.LBB239_1752:                           ;   in Loop: Header=BB239_1064 Depth=1
	s_delay_alu instid0(SALU_CYCLE_1)
	s_or_b32 exec_lo, exec_lo, s13
.LBB239_1753:                           ;   in Loop: Header=BB239_1064 Depth=1
	s_delay_alu instid0(SALU_CYCLE_1) | instskip(SKIP_2) | instid1(VALU_DEP_1)
	s_or_b32 exec_lo, exec_lo, s10
	v_lshrrev_b16 v8, 8, v23
	s_mov_b32 s13, exec_lo
	v_cmpx_ne_u16_e32 0, v8
	s_cbranch_execz .LBB239_1761
; %bb.1754:                             ;   in Loop: Header=BB239_1064 Depth=1
	v_dual_mov_b32 v17, s9 :: v_dual_mov_b32 v16, s8
	s_mov_b32 s15, exec_lo
	v_cmpx_ne_u16_e32 0x80, v8
	s_cbranch_execz .LBB239_1760
; %bb.1755:                             ;   in Loop: Header=BB239_1064 Depth=1
	s_mov_b32 s10, s8
	v_dual_mov_b32 v17, s11 :: v_dual_and_b32 v8, 0xffff, v8
	v_mov_b32_e32 v16, s10
	s_mov_b32 s10, exec_lo
	s_delay_alu instid0(VALU_DEP_2) | instskip(NEXT) | instid1(VALU_DEP_1)
	v_and_b32_e32 v18, 0x7f, v8
	v_cmpx_ne_u32_e32 0x7f, v18
	s_cbranch_execz .LBB239_1759
; %bb.1756:                             ;   in Loop: Header=BB239_1064 Depth=1
	v_and_b32_e32 v8, 7, v8
	v_lshrrev_b32_e32 v16, 3, v18
	s_mov_b32 s16, exec_lo
	v_cmpx_gt_u32_e32 8, v18
; %bb.1757:                             ;   in Loop: Header=BB239_1064 Depth=1
	s_delay_alu instid0(VALU_DEP_3) | instskip(NEXT) | instid1(VALU_DEP_1)
	v_clz_i32_u32_e32 v16, v8
	v_min_u32_e32 v16, 32, v16
	s_delay_alu instid0(VALU_DEP_1) | instskip(SKIP_1) | instid1(VALU_DEP_2)
	v_subrev_nc_u32_e32 v17, 28, v16
	v_sub_nc_u32_e32 v16, 29, v16
	v_lshlrev_b64 v[17:18], v17, v[8:9]
	s_delay_alu instid0(VALU_DEP_1)
	v_and_b32_e32 v8, 7, v17
; %bb.1758:                             ;   in Loop: Header=BB239_1064 Depth=1
	s_or_b32 exec_lo, exec_lo, s16
	v_lshlrev_b32_e32 v17, 16, v23
	s_delay_alu instid0(VALU_DEP_2) | instskip(SKIP_1) | instid1(VALU_DEP_3)
	v_lshlrev_b32_e32 v8, 20, v8
	v_lshl_add_u32 v16, v16, 23, 0x3c000000
	v_and_b32_e32 v17, 0x80000000, v17
	s_delay_alu instid0(VALU_DEP_1)
	v_or3_b32 v17, v8, v17, v16
	v_mov_b32_e32 v16, v9
.LBB239_1759:                           ;   in Loop: Header=BB239_1064 Depth=1
	s_or_b32 exec_lo, exec_lo, s10
.LBB239_1760:                           ;   in Loop: Header=BB239_1064 Depth=1
	s_delay_alu instid0(SALU_CYCLE_1)
	s_or_b32 exec_lo, exec_lo, s15
.LBB239_1761:                           ;   in Loop: Header=BB239_1064 Depth=1
	s_delay_alu instid0(SALU_CYCLE_1) | instskip(SKIP_3) | instid1(VALU_DEP_2)
	s_or_b32 exec_lo, exec_lo, s13
	v_lshrrev_b32_e32 v27, 16, v23
	v_mov_b32_e32 v21, 0
	v_mov_b32_e32 v22, 0
	;; [unrolled: 1-line block ×3, first 2 shown]
	s_mov_b32 s10, exec_lo
	s_delay_alu instid0(VALU_DEP_2) | instskip(NEXT) | instid1(VALU_DEP_1)
	v_dual_mov_b32 v19, v22 :: v_dual_and_b32 v8, 0xff, v27
	v_cmpx_ne_u16_e32 0, v8
	s_cbranch_execz .LBB239_1769
; %bb.1762:                             ;   in Loop: Header=BB239_1064 Depth=1
	v_bfrev_b32_e32 v18, 1
	v_mov_b32_e32 v19, 0
	s_mov_b32 s13, exec_lo
	v_cmpx_ne_u16_e32 0x80, v8
	s_cbranch_execz .LBB239_1768
; %bb.1763:                             ;   in Loop: Header=BB239_1064 Depth=1
	v_mov_b32_e32 v18, 0x7f800001
	v_bfe_u32 v85, v23, 16, 7
	v_mov_b32_e32 v19, 0
	s_mov_b32 s15, exec_lo
	s_delay_alu instid0(VALU_DEP_2)
	v_cmpx_ne_u32_e32 0x7f, v85
	s_cbranch_execz .LBB239_1767
; %bb.1764:                             ;   in Loop: Header=BB239_1064 Depth=1
	v_and_b32_e32 v8, 7, v27
	v_lshrrev_b32_e32 v18, 3, v85
	s_mov_b32 s16, exec_lo
	v_cmpx_gt_u32_e32 8, v85
; %bb.1765:                             ;   in Loop: Header=BB239_1064 Depth=1
	s_delay_alu instid0(VALU_DEP_3) | instskip(NEXT) | instid1(VALU_DEP_1)
	v_clz_i32_u32_e32 v18, v8
	v_min_u32_e32 v18, 32, v18
	s_delay_alu instid0(VALU_DEP_1) | instskip(SKIP_1) | instid1(VALU_DEP_2)
	v_subrev_nc_u32_e32 v19, 28, v18
	v_sub_nc_u32_e32 v18, 29, v18
	v_lshlrev_b64 v[85:86], v19, v[8:9]
	s_delay_alu instid0(VALU_DEP_1)
	v_and_b32_e32 v8, 7, v85
; %bb.1766:                             ;   in Loop: Header=BB239_1064 Depth=1
	s_or_b32 exec_lo, exec_lo, s16
	v_lshlrev_b32_e32 v19, 24, v27
	s_delay_alu instid0(VALU_DEP_2) | instskip(SKIP_1) | instid1(VALU_DEP_3)
	v_lshlrev_b32_e32 v8, 20, v8
	v_lshl_add_u32 v18, v18, 23, 0x3c000000
	v_and_b32_e32 v19, 0x80000000, v19
	s_delay_alu instid0(VALU_DEP_1) | instskip(NEXT) | instid1(VALU_DEP_1)
	v_or3_b32 v8, v8, v19, v18
	v_dual_mov_b32 v19, v9 :: v_dual_mov_b32 v18, v8
.LBB239_1767:                           ;   in Loop: Header=BB239_1064 Depth=1
	s_or_b32 exec_lo, exec_lo, s15
.LBB239_1768:                           ;   in Loop: Header=BB239_1064 Depth=1
	s_delay_alu instid0(SALU_CYCLE_1)
	s_or_b32 exec_lo, exec_lo, s13
.LBB239_1769:                           ;   in Loop: Header=BB239_1064 Depth=1
	s_delay_alu instid0(SALU_CYCLE_1) | instskip(NEXT) | instid1(SALU_CYCLE_1)
	s_or_b32 exec_lo, exec_lo, s10
	s_mov_b32 s13, exec_lo
	v_cmpx_lt_u32_e32 0xffffff, v23
	s_cbranch_execz .LBB239_1777
; %bb.1770:                             ;   in Loop: Header=BB239_1064 Depth=1
	v_lshrrev_b32_e32 v27, 24, v23
	v_dual_mov_b32 v22, s9 :: v_dual_mov_b32 v21, s8
	s_mov_b32 s15, exec_lo
	s_delay_alu instid0(VALU_DEP_2)
	v_cmpx_ne_u32_e32 0x80, v27
	s_cbranch_execz .LBB239_1776
; %bb.1771:                             ;   in Loop: Header=BB239_1064 Depth=1
	s_mov_b32 s10, s8
	v_bfe_u32 v23, v23, 24, 7
	v_dual_mov_b32 v22, s11 :: v_dual_mov_b32 v21, s10
	s_mov_b32 s10, exec_lo
	s_delay_alu instid0(VALU_DEP_2)
	v_cmpx_ne_u32_e32 0x7f, v23
	s_cbranch_execz .LBB239_1775
; %bb.1772:                             ;   in Loop: Header=BB239_1064 Depth=1
	v_and_b32_e32 v8, 7, v27
	v_lshrrev_b32_e32 v21, 3, v23
	s_mov_b32 s16, exec_lo
	v_cmpx_gt_u32_e32 8, v23
; %bb.1773:                             ;   in Loop: Header=BB239_1064 Depth=1
	s_delay_alu instid0(VALU_DEP_3) | instskip(NEXT) | instid1(VALU_DEP_1)
	v_clz_i32_u32_e32 v21, v8
	v_min_u32_e32 v21, 32, v21
	s_delay_alu instid0(VALU_DEP_1) | instskip(SKIP_1) | instid1(VALU_DEP_2)
	v_subrev_nc_u32_e32 v22, 28, v21
	v_sub_nc_u32_e32 v21, 29, v21
	v_lshlrev_b64 v[22:23], v22, v[8:9]
	s_delay_alu instid0(VALU_DEP_1)
	v_and_b32_e32 v8, 7, v22
; %bb.1774:                             ;   in Loop: Header=BB239_1064 Depth=1
	s_or_b32 exec_lo, exec_lo, s16
	v_lshlrev_b32_e32 v22, 24, v27
	s_delay_alu instid0(VALU_DEP_2) | instskip(SKIP_1) | instid1(VALU_DEP_3)
	v_lshlrev_b32_e32 v8, 20, v8
	v_lshl_add_u32 v21, v21, 23, 0x3c000000
	v_and_b32_e32 v22, 0x80000000, v22
	s_delay_alu instid0(VALU_DEP_1)
	v_or3_b32 v22, v8, v22, v21
	v_mov_b32_e32 v21, v9
.LBB239_1775:                           ;   in Loop: Header=BB239_1064 Depth=1
	s_or_b32 exec_lo, exec_lo, s10
.LBB239_1776:                           ;   in Loop: Header=BB239_1064 Depth=1
	s_delay_alu instid0(SALU_CYCLE_1)
	s_or_b32 exec_lo, exec_lo, s15
.LBB239_1777:                           ;   in Loop: Header=BB239_1064 Depth=1
	s_delay_alu instid0(SALU_CYCLE_1) | instskip(SKIP_4) | instid1(VALU_DEP_4)
	s_or_b32 exec_lo, exec_lo, s13
	v_or_b32_e32 v5, v17, v5
	v_or_b32_e32 v4, v16, v4
	;; [unrolled: 1-line block ×4, first 2 shown]
	v_mul_f32_e32 v124, v102, v5
	s_delay_alu instid0(VALU_DEP_4) | instskip(NEXT) | instid1(VALU_DEP_4)
	v_mul_f32_e32 v123, v102, v4
	v_mul_f32_e32 v121, v102, v8
	s_delay_alu instid0(VALU_DEP_4)
	v_mul_f32_e32 v122, v102, v16
	s_and_saveexec_b32 s10, vcc_lo
; %bb.1778:                             ;   in Loop: Header=BB239_1064 Depth=1
	v_cmp_lt_i32_e64 s0, v116, v25
	s_delay_alu instid0(VALU_DEP_1) | instskip(SKIP_1) | instid1(VALU_DEP_1)
	v_cndmask_b32_e64 v123, 0, v123, s0
	v_cmp_lt_i32_e64 s0, v119, v25
	v_cndmask_b32_e64 v124, 0, v124, s0
	v_cmp_lt_i32_e64 s0, v118, v25
	s_delay_alu instid0(VALU_DEP_1) | instskip(SKIP_1) | instid1(VALU_DEP_1)
	v_cndmask_b32_e64 v122, 0, v122, s0
	v_cmp_lt_i32_e64 s0, v117, v25
	v_cndmask_b32_e64 v121, 0, v121, s0
; %bb.1779:                             ;   in Loop: Header=BB239_1064 Depth=1
	s_or_b32 exec_lo, exec_lo, s10
	flat_load_b32 v23, v[14:15] offset:2688
	v_mov_b32_e32 v16, 0
	v_mov_b32_e32 v17, 0
	s_mov_b32 s10, exec_lo
	s_waitcnt vmcnt(0) lgkmcnt(0)
	v_and_b32_e32 v8, 0xff, v23
	s_delay_alu instid0(VALU_DEP_2) | instskip(NEXT) | instid1(VALU_DEP_2)
	v_dual_mov_b32 v4, v16 :: v_dual_mov_b32 v5, v17
	v_cmpx_ne_u16_e32 0, v8
	s_cbranch_execz .LBB239_1787
; %bb.1780:                             ;   in Loop: Header=BB239_1064 Depth=1
	v_bfrev_b32_e32 v4, 1
	v_mov_b32_e32 v5, 0
	s_mov_b32 s13, exec_lo
	v_cmpx_ne_u16_e32 0x80, v8
	s_cbranch_execz .LBB239_1786
; %bb.1781:                             ;   in Loop: Header=BB239_1064 Depth=1
	v_mov_b32_e32 v4, 0x7f800001
	v_dual_mov_b32 v5, 0 :: v_dual_and_b32 v18, 0x7f, v23
	s_mov_b32 s15, exec_lo
	s_delay_alu instid0(VALU_DEP_1)
	v_cmpx_ne_u32_e32 0x7f, v18
	s_cbranch_execz .LBB239_1785
; %bb.1782:                             ;   in Loop: Header=BB239_1064 Depth=1
	v_and_b32_e32 v8, 7, v23
	v_lshrrev_b32_e32 v4, 3, v18
	s_mov_b32 s16, exec_lo
	v_cmpx_gt_u32_e32 8, v18
; %bb.1783:                             ;   in Loop: Header=BB239_1064 Depth=1
	s_delay_alu instid0(VALU_DEP_3) | instskip(NEXT) | instid1(VALU_DEP_1)
	v_clz_i32_u32_e32 v4, v8
	v_min_u32_e32 v4, 32, v4
	s_delay_alu instid0(VALU_DEP_1) | instskip(SKIP_1) | instid1(VALU_DEP_2)
	v_subrev_nc_u32_e32 v5, 28, v4
	v_sub_nc_u32_e32 v4, 29, v4
	v_lshlrev_b64 v[18:19], v5, v[8:9]
	s_delay_alu instid0(VALU_DEP_1)
	v_and_b32_e32 v8, 7, v18
; %bb.1784:                             ;   in Loop: Header=BB239_1064 Depth=1
	s_or_b32 exec_lo, exec_lo, s16
	v_lshlrev_b32_e32 v5, 24, v23
	s_delay_alu instid0(VALU_DEP_2) | instskip(SKIP_1) | instid1(VALU_DEP_3)
	v_lshlrev_b32_e32 v8, 20, v8
	v_lshl_add_u32 v4, v4, 23, 0x3c000000
	v_and_b32_e32 v5, 0x80000000, v5
	s_delay_alu instid0(VALU_DEP_1) | instskip(NEXT) | instid1(VALU_DEP_1)
	v_or3_b32 v8, v8, v5, v4
	v_dual_mov_b32 v4, v8 :: v_dual_mov_b32 v5, v9
.LBB239_1785:                           ;   in Loop: Header=BB239_1064 Depth=1
	s_or_b32 exec_lo, exec_lo, s15
.LBB239_1786:                           ;   in Loop: Header=BB239_1064 Depth=1
	s_delay_alu instid0(SALU_CYCLE_1)
	s_or_b32 exec_lo, exec_lo, s13
.LBB239_1787:                           ;   in Loop: Header=BB239_1064 Depth=1
	s_delay_alu instid0(SALU_CYCLE_1) | instskip(SKIP_2) | instid1(VALU_DEP_1)
	s_or_b32 exec_lo, exec_lo, s10
	v_lshrrev_b16 v8, 8, v23
	s_mov_b32 s13, exec_lo
	v_cmpx_ne_u16_e32 0, v8
	s_cbranch_execz .LBB239_1795
; %bb.1788:                             ;   in Loop: Header=BB239_1064 Depth=1
	v_dual_mov_b32 v17, s9 :: v_dual_mov_b32 v16, s8
	s_mov_b32 s15, exec_lo
	v_cmpx_ne_u16_e32 0x80, v8
	s_cbranch_execz .LBB239_1794
; %bb.1789:                             ;   in Loop: Header=BB239_1064 Depth=1
	s_mov_b32 s10, s8
	v_dual_mov_b32 v17, s11 :: v_dual_and_b32 v8, 0xffff, v8
	v_mov_b32_e32 v16, s10
	s_mov_b32 s10, exec_lo
	s_delay_alu instid0(VALU_DEP_2) | instskip(NEXT) | instid1(VALU_DEP_1)
	v_and_b32_e32 v18, 0x7f, v8
	v_cmpx_ne_u32_e32 0x7f, v18
	s_cbranch_execz .LBB239_1793
; %bb.1790:                             ;   in Loop: Header=BB239_1064 Depth=1
	v_and_b32_e32 v8, 7, v8
	v_lshrrev_b32_e32 v16, 3, v18
	s_mov_b32 s16, exec_lo
	v_cmpx_gt_u32_e32 8, v18
; %bb.1791:                             ;   in Loop: Header=BB239_1064 Depth=1
	s_delay_alu instid0(VALU_DEP_3) | instskip(NEXT) | instid1(VALU_DEP_1)
	v_clz_i32_u32_e32 v16, v8
	v_min_u32_e32 v16, 32, v16
	s_delay_alu instid0(VALU_DEP_1) | instskip(SKIP_1) | instid1(VALU_DEP_2)
	v_subrev_nc_u32_e32 v17, 28, v16
	v_sub_nc_u32_e32 v16, 29, v16
	v_lshlrev_b64 v[17:18], v17, v[8:9]
	s_delay_alu instid0(VALU_DEP_1)
	v_and_b32_e32 v8, 7, v17
; %bb.1792:                             ;   in Loop: Header=BB239_1064 Depth=1
	s_or_b32 exec_lo, exec_lo, s16
	v_lshlrev_b32_e32 v17, 16, v23
	s_delay_alu instid0(VALU_DEP_2) | instskip(SKIP_1) | instid1(VALU_DEP_3)
	v_lshlrev_b32_e32 v8, 20, v8
	v_lshl_add_u32 v16, v16, 23, 0x3c000000
	v_and_b32_e32 v17, 0x80000000, v17
	s_delay_alu instid0(VALU_DEP_1)
	v_or3_b32 v17, v8, v17, v16
	v_mov_b32_e32 v16, v9
.LBB239_1793:                           ;   in Loop: Header=BB239_1064 Depth=1
	s_or_b32 exec_lo, exec_lo, s10
.LBB239_1794:                           ;   in Loop: Header=BB239_1064 Depth=1
	s_delay_alu instid0(SALU_CYCLE_1)
	s_or_b32 exec_lo, exec_lo, s15
.LBB239_1795:                           ;   in Loop: Header=BB239_1064 Depth=1
	s_delay_alu instid0(SALU_CYCLE_1) | instskip(SKIP_3) | instid1(VALU_DEP_2)
	s_or_b32 exec_lo, exec_lo, s13
	v_lshrrev_b32_e32 v27, 16, v23
	v_mov_b32_e32 v21, 0
	v_mov_b32_e32 v22, 0
	;; [unrolled: 1-line block ×3, first 2 shown]
	s_mov_b32 s10, exec_lo
	s_delay_alu instid0(VALU_DEP_2) | instskip(NEXT) | instid1(VALU_DEP_1)
	v_dual_mov_b32 v19, v22 :: v_dual_and_b32 v8, 0xff, v27
	v_cmpx_ne_u16_e32 0, v8
	s_cbranch_execz .LBB239_1803
; %bb.1796:                             ;   in Loop: Header=BB239_1064 Depth=1
	v_bfrev_b32_e32 v18, 1
	v_mov_b32_e32 v19, 0
	s_mov_b32 s13, exec_lo
	v_cmpx_ne_u16_e32 0x80, v8
	s_cbranch_execz .LBB239_1802
; %bb.1797:                             ;   in Loop: Header=BB239_1064 Depth=1
	v_mov_b32_e32 v18, 0x7f800001
	v_bfe_u32 v85, v23, 16, 7
	v_mov_b32_e32 v19, 0
	s_mov_b32 s15, exec_lo
	s_delay_alu instid0(VALU_DEP_2)
	v_cmpx_ne_u32_e32 0x7f, v85
	s_cbranch_execz .LBB239_1801
; %bb.1798:                             ;   in Loop: Header=BB239_1064 Depth=1
	v_and_b32_e32 v8, 7, v27
	v_lshrrev_b32_e32 v18, 3, v85
	s_mov_b32 s16, exec_lo
	v_cmpx_gt_u32_e32 8, v85
; %bb.1799:                             ;   in Loop: Header=BB239_1064 Depth=1
	s_delay_alu instid0(VALU_DEP_3) | instskip(NEXT) | instid1(VALU_DEP_1)
	v_clz_i32_u32_e32 v18, v8
	v_min_u32_e32 v18, 32, v18
	s_delay_alu instid0(VALU_DEP_1) | instskip(SKIP_1) | instid1(VALU_DEP_2)
	v_subrev_nc_u32_e32 v19, 28, v18
	v_sub_nc_u32_e32 v18, 29, v18
	v_lshlrev_b64 v[85:86], v19, v[8:9]
	s_delay_alu instid0(VALU_DEP_1)
	v_and_b32_e32 v8, 7, v85
; %bb.1800:                             ;   in Loop: Header=BB239_1064 Depth=1
	s_or_b32 exec_lo, exec_lo, s16
	v_lshlrev_b32_e32 v19, 24, v27
	s_delay_alu instid0(VALU_DEP_2) | instskip(SKIP_1) | instid1(VALU_DEP_3)
	v_lshlrev_b32_e32 v8, 20, v8
	v_lshl_add_u32 v18, v18, 23, 0x3c000000
	v_and_b32_e32 v19, 0x80000000, v19
	s_delay_alu instid0(VALU_DEP_1) | instskip(NEXT) | instid1(VALU_DEP_1)
	v_or3_b32 v8, v8, v19, v18
	v_dual_mov_b32 v19, v9 :: v_dual_mov_b32 v18, v8
.LBB239_1801:                           ;   in Loop: Header=BB239_1064 Depth=1
	s_or_b32 exec_lo, exec_lo, s15
.LBB239_1802:                           ;   in Loop: Header=BB239_1064 Depth=1
	s_delay_alu instid0(SALU_CYCLE_1)
	s_or_b32 exec_lo, exec_lo, s13
.LBB239_1803:                           ;   in Loop: Header=BB239_1064 Depth=1
	s_delay_alu instid0(SALU_CYCLE_1) | instskip(NEXT) | instid1(SALU_CYCLE_1)
	s_or_b32 exec_lo, exec_lo, s10
	s_mov_b32 s13, exec_lo
	v_cmpx_lt_u32_e32 0xffffff, v23
	s_cbranch_execz .LBB239_1811
; %bb.1804:                             ;   in Loop: Header=BB239_1064 Depth=1
	v_lshrrev_b32_e32 v27, 24, v23
	v_dual_mov_b32 v22, s9 :: v_dual_mov_b32 v21, s8
	s_mov_b32 s15, exec_lo
	s_delay_alu instid0(VALU_DEP_2)
	v_cmpx_ne_u32_e32 0x80, v27
	s_cbranch_execz .LBB239_1810
; %bb.1805:                             ;   in Loop: Header=BB239_1064 Depth=1
	s_mov_b32 s10, s8
	v_bfe_u32 v23, v23, 24, 7
	v_dual_mov_b32 v22, s11 :: v_dual_mov_b32 v21, s10
	s_mov_b32 s10, exec_lo
	s_delay_alu instid0(VALU_DEP_2)
	v_cmpx_ne_u32_e32 0x7f, v23
	s_cbranch_execz .LBB239_1809
; %bb.1806:                             ;   in Loop: Header=BB239_1064 Depth=1
	v_and_b32_e32 v8, 7, v27
	v_lshrrev_b32_e32 v21, 3, v23
	s_mov_b32 s16, exec_lo
	v_cmpx_gt_u32_e32 8, v23
; %bb.1807:                             ;   in Loop: Header=BB239_1064 Depth=1
	s_delay_alu instid0(VALU_DEP_3) | instskip(NEXT) | instid1(VALU_DEP_1)
	v_clz_i32_u32_e32 v21, v8
	v_min_u32_e32 v21, 32, v21
	s_delay_alu instid0(VALU_DEP_1) | instskip(SKIP_1) | instid1(VALU_DEP_2)
	v_subrev_nc_u32_e32 v22, 28, v21
	v_sub_nc_u32_e32 v21, 29, v21
	v_lshlrev_b64 v[22:23], v22, v[8:9]
	s_delay_alu instid0(VALU_DEP_1)
	v_and_b32_e32 v8, 7, v22
; %bb.1808:                             ;   in Loop: Header=BB239_1064 Depth=1
	s_or_b32 exec_lo, exec_lo, s16
	v_lshlrev_b32_e32 v22, 24, v27
	s_delay_alu instid0(VALU_DEP_2) | instskip(SKIP_1) | instid1(VALU_DEP_3)
	v_lshlrev_b32_e32 v8, 20, v8
	v_lshl_add_u32 v21, v21, 23, 0x3c000000
	v_and_b32_e32 v22, 0x80000000, v22
	s_delay_alu instid0(VALU_DEP_1)
	v_or3_b32 v22, v8, v22, v21
	v_mov_b32_e32 v21, v9
.LBB239_1809:                           ;   in Loop: Header=BB239_1064 Depth=1
	s_or_b32 exec_lo, exec_lo, s10
.LBB239_1810:                           ;   in Loop: Header=BB239_1064 Depth=1
	s_delay_alu instid0(SALU_CYCLE_1)
	s_or_b32 exec_lo, exec_lo, s15
.LBB239_1811:                           ;   in Loop: Header=BB239_1064 Depth=1
	s_delay_alu instid0(SALU_CYCLE_1) | instskip(SKIP_4) | instid1(VALU_DEP_4)
	s_or_b32 exec_lo, exec_lo, s13
	v_or_b32_e32 v5, v17, v5
	v_or_b32_e32 v4, v16, v4
	;; [unrolled: 1-line block ×4, first 2 shown]
	v_mul_f32_e32 v136, v102, v5
	s_delay_alu instid0(VALU_DEP_4) | instskip(NEXT) | instid1(VALU_DEP_4)
	v_mul_f32_e32 v127, v102, v4
	v_mul_f32_e32 v125, v102, v8
	s_delay_alu instid0(VALU_DEP_4)
	v_mul_f32_e32 v126, v102, v16
	s_and_saveexec_b32 s10, vcc_lo
; %bb.1812:                             ;   in Loop: Header=BB239_1064 Depth=1
	v_cmp_lt_i32_e64 s0, v116, v25
	s_delay_alu instid0(VALU_DEP_1) | instskip(SKIP_1) | instid1(VALU_DEP_1)
	v_cndmask_b32_e64 v127, 0, v127, s0
	v_cmp_lt_i32_e64 s0, v119, v25
	v_cndmask_b32_e64 v136, 0, v136, s0
	v_cmp_lt_i32_e64 s0, v118, v25
	s_delay_alu instid0(VALU_DEP_1) | instskip(SKIP_1) | instid1(VALU_DEP_1)
	v_cndmask_b32_e64 v126, 0, v126, s0
	v_cmp_lt_i32_e64 s0, v117, v25
	v_cndmask_b32_e64 v125, 0, v125, s0
; %bb.1813:                             ;   in Loop: Header=BB239_1064 Depth=1
	s_or_b32 exec_lo, exec_lo, s10
	flat_load_b32 v23, v[14:15] offset:2816
	v_mov_b32_e32 v16, 0
	v_mov_b32_e32 v17, 0
	s_mov_b32 s10, exec_lo
	s_waitcnt vmcnt(0) lgkmcnt(0)
	v_and_b32_e32 v8, 0xff, v23
	s_delay_alu instid0(VALU_DEP_2) | instskip(NEXT) | instid1(VALU_DEP_2)
	v_dual_mov_b32 v4, v16 :: v_dual_mov_b32 v5, v17
	v_cmpx_ne_u16_e32 0, v8
	s_cbranch_execz .LBB239_1821
; %bb.1814:                             ;   in Loop: Header=BB239_1064 Depth=1
	v_bfrev_b32_e32 v4, 1
	v_mov_b32_e32 v5, 0
	s_mov_b32 s13, exec_lo
	v_cmpx_ne_u16_e32 0x80, v8
	s_cbranch_execz .LBB239_1820
; %bb.1815:                             ;   in Loop: Header=BB239_1064 Depth=1
	v_mov_b32_e32 v4, 0x7f800001
	v_dual_mov_b32 v5, 0 :: v_dual_and_b32 v18, 0x7f, v23
	s_mov_b32 s15, exec_lo
	s_delay_alu instid0(VALU_DEP_1)
	v_cmpx_ne_u32_e32 0x7f, v18
	s_cbranch_execz .LBB239_1819
; %bb.1816:                             ;   in Loop: Header=BB239_1064 Depth=1
	v_and_b32_e32 v8, 7, v23
	v_lshrrev_b32_e32 v4, 3, v18
	s_mov_b32 s16, exec_lo
	v_cmpx_gt_u32_e32 8, v18
; %bb.1817:                             ;   in Loop: Header=BB239_1064 Depth=1
	s_delay_alu instid0(VALU_DEP_3) | instskip(NEXT) | instid1(VALU_DEP_1)
	v_clz_i32_u32_e32 v4, v8
	v_min_u32_e32 v4, 32, v4
	s_delay_alu instid0(VALU_DEP_1) | instskip(SKIP_1) | instid1(VALU_DEP_2)
	v_subrev_nc_u32_e32 v5, 28, v4
	v_sub_nc_u32_e32 v4, 29, v4
	v_lshlrev_b64 v[18:19], v5, v[8:9]
	s_delay_alu instid0(VALU_DEP_1)
	v_and_b32_e32 v8, 7, v18
; %bb.1818:                             ;   in Loop: Header=BB239_1064 Depth=1
	s_or_b32 exec_lo, exec_lo, s16
	v_lshlrev_b32_e32 v5, 24, v23
	s_delay_alu instid0(VALU_DEP_2) | instskip(SKIP_1) | instid1(VALU_DEP_3)
	v_lshlrev_b32_e32 v8, 20, v8
	v_lshl_add_u32 v4, v4, 23, 0x3c000000
	v_and_b32_e32 v5, 0x80000000, v5
	s_delay_alu instid0(VALU_DEP_1) | instskip(NEXT) | instid1(VALU_DEP_1)
	v_or3_b32 v8, v8, v5, v4
	v_dual_mov_b32 v4, v8 :: v_dual_mov_b32 v5, v9
.LBB239_1819:                           ;   in Loop: Header=BB239_1064 Depth=1
	s_or_b32 exec_lo, exec_lo, s15
.LBB239_1820:                           ;   in Loop: Header=BB239_1064 Depth=1
	s_delay_alu instid0(SALU_CYCLE_1)
	s_or_b32 exec_lo, exec_lo, s13
.LBB239_1821:                           ;   in Loop: Header=BB239_1064 Depth=1
	s_delay_alu instid0(SALU_CYCLE_1) | instskip(SKIP_2) | instid1(VALU_DEP_1)
	s_or_b32 exec_lo, exec_lo, s10
	v_lshrrev_b16 v8, 8, v23
	s_mov_b32 s13, exec_lo
	v_cmpx_ne_u16_e32 0, v8
	s_cbranch_execz .LBB239_1829
; %bb.1822:                             ;   in Loop: Header=BB239_1064 Depth=1
	v_dual_mov_b32 v17, s9 :: v_dual_mov_b32 v16, s8
	s_mov_b32 s15, exec_lo
	v_cmpx_ne_u16_e32 0x80, v8
	s_cbranch_execz .LBB239_1828
; %bb.1823:                             ;   in Loop: Header=BB239_1064 Depth=1
	s_mov_b32 s10, s8
	v_dual_mov_b32 v17, s11 :: v_dual_and_b32 v8, 0xffff, v8
	v_mov_b32_e32 v16, s10
	s_mov_b32 s10, exec_lo
	s_delay_alu instid0(VALU_DEP_2) | instskip(NEXT) | instid1(VALU_DEP_1)
	v_and_b32_e32 v18, 0x7f, v8
	v_cmpx_ne_u32_e32 0x7f, v18
	s_cbranch_execz .LBB239_1827
; %bb.1824:                             ;   in Loop: Header=BB239_1064 Depth=1
	v_and_b32_e32 v8, 7, v8
	v_lshrrev_b32_e32 v16, 3, v18
	s_mov_b32 s16, exec_lo
	v_cmpx_gt_u32_e32 8, v18
; %bb.1825:                             ;   in Loop: Header=BB239_1064 Depth=1
	s_delay_alu instid0(VALU_DEP_3) | instskip(NEXT) | instid1(VALU_DEP_1)
	v_clz_i32_u32_e32 v16, v8
	v_min_u32_e32 v16, 32, v16
	s_delay_alu instid0(VALU_DEP_1) | instskip(SKIP_1) | instid1(VALU_DEP_2)
	v_subrev_nc_u32_e32 v17, 28, v16
	v_sub_nc_u32_e32 v16, 29, v16
	v_lshlrev_b64 v[17:18], v17, v[8:9]
	s_delay_alu instid0(VALU_DEP_1)
	v_and_b32_e32 v8, 7, v17
; %bb.1826:                             ;   in Loop: Header=BB239_1064 Depth=1
	s_or_b32 exec_lo, exec_lo, s16
	v_lshlrev_b32_e32 v17, 16, v23
	s_delay_alu instid0(VALU_DEP_2) | instskip(SKIP_1) | instid1(VALU_DEP_3)
	v_lshlrev_b32_e32 v8, 20, v8
	v_lshl_add_u32 v16, v16, 23, 0x3c000000
	v_and_b32_e32 v17, 0x80000000, v17
	s_delay_alu instid0(VALU_DEP_1)
	v_or3_b32 v17, v8, v17, v16
	v_mov_b32_e32 v16, v9
.LBB239_1827:                           ;   in Loop: Header=BB239_1064 Depth=1
	s_or_b32 exec_lo, exec_lo, s10
.LBB239_1828:                           ;   in Loop: Header=BB239_1064 Depth=1
	s_delay_alu instid0(SALU_CYCLE_1)
	s_or_b32 exec_lo, exec_lo, s15
.LBB239_1829:                           ;   in Loop: Header=BB239_1064 Depth=1
	s_delay_alu instid0(SALU_CYCLE_1) | instskip(SKIP_3) | instid1(VALU_DEP_2)
	s_or_b32 exec_lo, exec_lo, s13
	v_lshrrev_b32_e32 v27, 16, v23
	v_mov_b32_e32 v21, 0
	v_mov_b32_e32 v22, 0
	;; [unrolled: 1-line block ×3, first 2 shown]
	s_mov_b32 s10, exec_lo
	s_delay_alu instid0(VALU_DEP_2) | instskip(NEXT) | instid1(VALU_DEP_1)
	v_dual_mov_b32 v19, v22 :: v_dual_and_b32 v8, 0xff, v27
	v_cmpx_ne_u16_e32 0, v8
	s_cbranch_execz .LBB239_1837
; %bb.1830:                             ;   in Loop: Header=BB239_1064 Depth=1
	v_bfrev_b32_e32 v18, 1
	v_mov_b32_e32 v19, 0
	s_mov_b32 s13, exec_lo
	v_cmpx_ne_u16_e32 0x80, v8
	s_cbranch_execz .LBB239_1836
; %bb.1831:                             ;   in Loop: Header=BB239_1064 Depth=1
	v_mov_b32_e32 v18, 0x7f800001
	v_bfe_u32 v85, v23, 16, 7
	v_mov_b32_e32 v19, 0
	s_mov_b32 s15, exec_lo
	s_delay_alu instid0(VALU_DEP_2)
	v_cmpx_ne_u32_e32 0x7f, v85
	s_cbranch_execz .LBB239_1835
; %bb.1832:                             ;   in Loop: Header=BB239_1064 Depth=1
	v_and_b32_e32 v8, 7, v27
	v_lshrrev_b32_e32 v18, 3, v85
	s_mov_b32 s16, exec_lo
	v_cmpx_gt_u32_e32 8, v85
; %bb.1833:                             ;   in Loop: Header=BB239_1064 Depth=1
	s_delay_alu instid0(VALU_DEP_3) | instskip(NEXT) | instid1(VALU_DEP_1)
	v_clz_i32_u32_e32 v18, v8
	v_min_u32_e32 v18, 32, v18
	s_delay_alu instid0(VALU_DEP_1) | instskip(SKIP_1) | instid1(VALU_DEP_2)
	v_subrev_nc_u32_e32 v19, 28, v18
	v_sub_nc_u32_e32 v18, 29, v18
	v_lshlrev_b64 v[85:86], v19, v[8:9]
	s_delay_alu instid0(VALU_DEP_1)
	v_and_b32_e32 v8, 7, v85
; %bb.1834:                             ;   in Loop: Header=BB239_1064 Depth=1
	s_or_b32 exec_lo, exec_lo, s16
	v_lshlrev_b32_e32 v19, 24, v27
	s_delay_alu instid0(VALU_DEP_2) | instskip(SKIP_1) | instid1(VALU_DEP_3)
	v_lshlrev_b32_e32 v8, 20, v8
	v_lshl_add_u32 v18, v18, 23, 0x3c000000
	v_and_b32_e32 v19, 0x80000000, v19
	s_delay_alu instid0(VALU_DEP_1) | instskip(NEXT) | instid1(VALU_DEP_1)
	v_or3_b32 v8, v8, v19, v18
	v_dual_mov_b32 v19, v9 :: v_dual_mov_b32 v18, v8
.LBB239_1835:                           ;   in Loop: Header=BB239_1064 Depth=1
	s_or_b32 exec_lo, exec_lo, s15
.LBB239_1836:                           ;   in Loop: Header=BB239_1064 Depth=1
	s_delay_alu instid0(SALU_CYCLE_1)
	s_or_b32 exec_lo, exec_lo, s13
.LBB239_1837:                           ;   in Loop: Header=BB239_1064 Depth=1
	s_delay_alu instid0(SALU_CYCLE_1) | instskip(NEXT) | instid1(SALU_CYCLE_1)
	s_or_b32 exec_lo, exec_lo, s10
	s_mov_b32 s13, exec_lo
	v_cmpx_lt_u32_e32 0xffffff, v23
	s_cbranch_execz .LBB239_1845
; %bb.1838:                             ;   in Loop: Header=BB239_1064 Depth=1
	v_lshrrev_b32_e32 v27, 24, v23
	v_dual_mov_b32 v22, s9 :: v_dual_mov_b32 v21, s8
	s_mov_b32 s15, exec_lo
	s_delay_alu instid0(VALU_DEP_2)
	v_cmpx_ne_u32_e32 0x80, v27
	s_cbranch_execz .LBB239_1844
; %bb.1839:                             ;   in Loop: Header=BB239_1064 Depth=1
	s_mov_b32 s10, s8
	v_bfe_u32 v23, v23, 24, 7
	v_dual_mov_b32 v22, s11 :: v_dual_mov_b32 v21, s10
	s_mov_b32 s10, exec_lo
	s_delay_alu instid0(VALU_DEP_2)
	v_cmpx_ne_u32_e32 0x7f, v23
	s_cbranch_execz .LBB239_1843
; %bb.1840:                             ;   in Loop: Header=BB239_1064 Depth=1
	v_and_b32_e32 v8, 7, v27
	v_lshrrev_b32_e32 v21, 3, v23
	s_mov_b32 s16, exec_lo
	v_cmpx_gt_u32_e32 8, v23
; %bb.1841:                             ;   in Loop: Header=BB239_1064 Depth=1
	s_delay_alu instid0(VALU_DEP_3) | instskip(NEXT) | instid1(VALU_DEP_1)
	v_clz_i32_u32_e32 v21, v8
	v_min_u32_e32 v21, 32, v21
	s_delay_alu instid0(VALU_DEP_1) | instskip(SKIP_1) | instid1(VALU_DEP_2)
	v_subrev_nc_u32_e32 v22, 28, v21
	v_sub_nc_u32_e32 v21, 29, v21
	v_lshlrev_b64 v[22:23], v22, v[8:9]
	s_delay_alu instid0(VALU_DEP_1)
	v_and_b32_e32 v8, 7, v22
; %bb.1842:                             ;   in Loop: Header=BB239_1064 Depth=1
	s_or_b32 exec_lo, exec_lo, s16
	v_lshlrev_b32_e32 v22, 24, v27
	s_delay_alu instid0(VALU_DEP_2) | instskip(SKIP_1) | instid1(VALU_DEP_3)
	v_lshlrev_b32_e32 v8, 20, v8
	v_lshl_add_u32 v21, v21, 23, 0x3c000000
	v_and_b32_e32 v22, 0x80000000, v22
	s_delay_alu instid0(VALU_DEP_1)
	v_or3_b32 v22, v8, v22, v21
	v_mov_b32_e32 v21, v9
.LBB239_1843:                           ;   in Loop: Header=BB239_1064 Depth=1
	s_or_b32 exec_lo, exec_lo, s10
.LBB239_1844:                           ;   in Loop: Header=BB239_1064 Depth=1
	s_delay_alu instid0(SALU_CYCLE_1)
	s_or_b32 exec_lo, exec_lo, s15
.LBB239_1845:                           ;   in Loop: Header=BB239_1064 Depth=1
	s_delay_alu instid0(SALU_CYCLE_1) | instskip(SKIP_4) | instid1(VALU_DEP_4)
	s_or_b32 exec_lo, exec_lo, s13
	v_or_b32_e32 v5, v17, v5
	v_or_b32_e32 v4, v16, v4
	;; [unrolled: 1-line block ×4, first 2 shown]
	v_mul_f32_e32 v140, v102, v5
	s_delay_alu instid0(VALU_DEP_4) | instskip(NEXT) | instid1(VALU_DEP_4)
	v_mul_f32_e32 v139, v102, v4
	v_mul_f32_e32 v137, v102, v8
	s_delay_alu instid0(VALU_DEP_4)
	v_mul_f32_e32 v138, v102, v16
	s_and_saveexec_b32 s10, vcc_lo
; %bb.1846:                             ;   in Loop: Header=BB239_1064 Depth=1
	v_cmp_lt_i32_e64 s0, v116, v25
	s_delay_alu instid0(VALU_DEP_1) | instskip(SKIP_1) | instid1(VALU_DEP_1)
	v_cndmask_b32_e64 v139, 0, v139, s0
	v_cmp_lt_i32_e64 s0, v119, v25
	v_cndmask_b32_e64 v140, 0, v140, s0
	v_cmp_lt_i32_e64 s0, v118, v25
	s_delay_alu instid0(VALU_DEP_1) | instskip(SKIP_1) | instid1(VALU_DEP_1)
	v_cndmask_b32_e64 v138, 0, v138, s0
	v_cmp_lt_i32_e64 s0, v117, v25
	v_cndmask_b32_e64 v137, 0, v137, s0
; %bb.1847:                             ;   in Loop: Header=BB239_1064 Depth=1
	s_or_b32 exec_lo, exec_lo, s10
	flat_load_b32 v23, v[14:15] offset:2944
	v_mov_b32_e32 v16, 0
	v_mov_b32_e32 v17, 0
	s_mov_b32 s10, exec_lo
	s_waitcnt vmcnt(0) lgkmcnt(0)
	v_and_b32_e32 v8, 0xff, v23
	s_delay_alu instid0(VALU_DEP_2) | instskip(NEXT) | instid1(VALU_DEP_2)
	v_dual_mov_b32 v4, v16 :: v_dual_mov_b32 v5, v17
	v_cmpx_ne_u16_e32 0, v8
	s_cbranch_execz .LBB239_1855
; %bb.1848:                             ;   in Loop: Header=BB239_1064 Depth=1
	v_bfrev_b32_e32 v4, 1
	v_mov_b32_e32 v5, 0
	s_mov_b32 s13, exec_lo
	v_cmpx_ne_u16_e32 0x80, v8
	s_cbranch_execz .LBB239_1854
; %bb.1849:                             ;   in Loop: Header=BB239_1064 Depth=1
	v_mov_b32_e32 v4, 0x7f800001
	v_dual_mov_b32 v5, 0 :: v_dual_and_b32 v18, 0x7f, v23
	s_mov_b32 s15, exec_lo
	s_delay_alu instid0(VALU_DEP_1)
	v_cmpx_ne_u32_e32 0x7f, v18
	s_cbranch_execz .LBB239_1853
; %bb.1850:                             ;   in Loop: Header=BB239_1064 Depth=1
	v_and_b32_e32 v8, 7, v23
	v_lshrrev_b32_e32 v4, 3, v18
	s_mov_b32 s16, exec_lo
	v_cmpx_gt_u32_e32 8, v18
; %bb.1851:                             ;   in Loop: Header=BB239_1064 Depth=1
	s_delay_alu instid0(VALU_DEP_3) | instskip(NEXT) | instid1(VALU_DEP_1)
	v_clz_i32_u32_e32 v4, v8
	v_min_u32_e32 v4, 32, v4
	s_delay_alu instid0(VALU_DEP_1) | instskip(SKIP_1) | instid1(VALU_DEP_2)
	v_subrev_nc_u32_e32 v5, 28, v4
	v_sub_nc_u32_e32 v4, 29, v4
	v_lshlrev_b64 v[18:19], v5, v[8:9]
	s_delay_alu instid0(VALU_DEP_1)
	v_and_b32_e32 v8, 7, v18
; %bb.1852:                             ;   in Loop: Header=BB239_1064 Depth=1
	s_or_b32 exec_lo, exec_lo, s16
	v_lshlrev_b32_e32 v5, 24, v23
	s_delay_alu instid0(VALU_DEP_2) | instskip(SKIP_1) | instid1(VALU_DEP_3)
	v_lshlrev_b32_e32 v8, 20, v8
	v_lshl_add_u32 v4, v4, 23, 0x3c000000
	v_and_b32_e32 v5, 0x80000000, v5
	s_delay_alu instid0(VALU_DEP_1) | instskip(NEXT) | instid1(VALU_DEP_1)
	v_or3_b32 v8, v8, v5, v4
	v_dual_mov_b32 v4, v8 :: v_dual_mov_b32 v5, v9
.LBB239_1853:                           ;   in Loop: Header=BB239_1064 Depth=1
	s_or_b32 exec_lo, exec_lo, s15
.LBB239_1854:                           ;   in Loop: Header=BB239_1064 Depth=1
	s_delay_alu instid0(SALU_CYCLE_1)
	s_or_b32 exec_lo, exec_lo, s13
.LBB239_1855:                           ;   in Loop: Header=BB239_1064 Depth=1
	s_delay_alu instid0(SALU_CYCLE_1) | instskip(SKIP_2) | instid1(VALU_DEP_1)
	s_or_b32 exec_lo, exec_lo, s10
	v_lshrrev_b16 v8, 8, v23
	s_mov_b32 s13, exec_lo
	v_cmpx_ne_u16_e32 0, v8
	s_cbranch_execz .LBB239_1863
; %bb.1856:                             ;   in Loop: Header=BB239_1064 Depth=1
	v_dual_mov_b32 v17, s9 :: v_dual_mov_b32 v16, s8
	s_mov_b32 s15, exec_lo
	v_cmpx_ne_u16_e32 0x80, v8
	s_cbranch_execz .LBB239_1862
; %bb.1857:                             ;   in Loop: Header=BB239_1064 Depth=1
	s_mov_b32 s10, s8
	v_dual_mov_b32 v17, s11 :: v_dual_and_b32 v8, 0xffff, v8
	v_mov_b32_e32 v16, s10
	s_mov_b32 s10, exec_lo
	s_delay_alu instid0(VALU_DEP_2) | instskip(NEXT) | instid1(VALU_DEP_1)
	v_and_b32_e32 v18, 0x7f, v8
	v_cmpx_ne_u32_e32 0x7f, v18
	s_cbranch_execz .LBB239_1861
; %bb.1858:                             ;   in Loop: Header=BB239_1064 Depth=1
	v_and_b32_e32 v8, 7, v8
	v_lshrrev_b32_e32 v16, 3, v18
	s_mov_b32 s16, exec_lo
	v_cmpx_gt_u32_e32 8, v18
; %bb.1859:                             ;   in Loop: Header=BB239_1064 Depth=1
	s_delay_alu instid0(VALU_DEP_3) | instskip(NEXT) | instid1(VALU_DEP_1)
	v_clz_i32_u32_e32 v16, v8
	v_min_u32_e32 v16, 32, v16
	s_delay_alu instid0(VALU_DEP_1) | instskip(SKIP_1) | instid1(VALU_DEP_2)
	v_subrev_nc_u32_e32 v17, 28, v16
	v_sub_nc_u32_e32 v16, 29, v16
	v_lshlrev_b64 v[17:18], v17, v[8:9]
	s_delay_alu instid0(VALU_DEP_1)
	v_and_b32_e32 v8, 7, v17
; %bb.1860:                             ;   in Loop: Header=BB239_1064 Depth=1
	s_or_b32 exec_lo, exec_lo, s16
	v_lshlrev_b32_e32 v17, 16, v23
	s_delay_alu instid0(VALU_DEP_2) | instskip(SKIP_1) | instid1(VALU_DEP_3)
	v_lshlrev_b32_e32 v8, 20, v8
	v_lshl_add_u32 v16, v16, 23, 0x3c000000
	v_and_b32_e32 v17, 0x80000000, v17
	s_delay_alu instid0(VALU_DEP_1)
	v_or3_b32 v17, v8, v17, v16
	v_mov_b32_e32 v16, v9
.LBB239_1861:                           ;   in Loop: Header=BB239_1064 Depth=1
	s_or_b32 exec_lo, exec_lo, s10
.LBB239_1862:                           ;   in Loop: Header=BB239_1064 Depth=1
	s_delay_alu instid0(SALU_CYCLE_1)
	s_or_b32 exec_lo, exec_lo, s15
.LBB239_1863:                           ;   in Loop: Header=BB239_1064 Depth=1
	s_delay_alu instid0(SALU_CYCLE_1) | instskip(SKIP_3) | instid1(VALU_DEP_2)
	s_or_b32 exec_lo, exec_lo, s13
	v_lshrrev_b32_e32 v27, 16, v23
	v_mov_b32_e32 v21, 0
	v_mov_b32_e32 v22, 0
	;; [unrolled: 1-line block ×3, first 2 shown]
	s_mov_b32 s10, exec_lo
	s_delay_alu instid0(VALU_DEP_2) | instskip(NEXT) | instid1(VALU_DEP_1)
	v_dual_mov_b32 v19, v22 :: v_dual_and_b32 v8, 0xff, v27
	v_cmpx_ne_u16_e32 0, v8
	s_cbranch_execz .LBB239_1871
; %bb.1864:                             ;   in Loop: Header=BB239_1064 Depth=1
	v_bfrev_b32_e32 v18, 1
	v_mov_b32_e32 v19, 0
	s_mov_b32 s13, exec_lo
	v_cmpx_ne_u16_e32 0x80, v8
	s_cbranch_execz .LBB239_1870
; %bb.1865:                             ;   in Loop: Header=BB239_1064 Depth=1
	v_mov_b32_e32 v18, 0x7f800001
	v_bfe_u32 v85, v23, 16, 7
	v_mov_b32_e32 v19, 0
	s_mov_b32 s15, exec_lo
	s_delay_alu instid0(VALU_DEP_2)
	v_cmpx_ne_u32_e32 0x7f, v85
	s_cbranch_execz .LBB239_1869
; %bb.1866:                             ;   in Loop: Header=BB239_1064 Depth=1
	v_and_b32_e32 v8, 7, v27
	v_lshrrev_b32_e32 v18, 3, v85
	s_mov_b32 s16, exec_lo
	v_cmpx_gt_u32_e32 8, v85
; %bb.1867:                             ;   in Loop: Header=BB239_1064 Depth=1
	s_delay_alu instid0(VALU_DEP_3) | instskip(NEXT) | instid1(VALU_DEP_1)
	v_clz_i32_u32_e32 v18, v8
	v_min_u32_e32 v18, 32, v18
	s_delay_alu instid0(VALU_DEP_1) | instskip(SKIP_1) | instid1(VALU_DEP_2)
	v_subrev_nc_u32_e32 v19, 28, v18
	v_sub_nc_u32_e32 v18, 29, v18
	v_lshlrev_b64 v[85:86], v19, v[8:9]
	s_delay_alu instid0(VALU_DEP_1)
	v_and_b32_e32 v8, 7, v85
; %bb.1868:                             ;   in Loop: Header=BB239_1064 Depth=1
	s_or_b32 exec_lo, exec_lo, s16
	v_lshlrev_b32_e32 v19, 24, v27
	s_delay_alu instid0(VALU_DEP_2) | instskip(SKIP_1) | instid1(VALU_DEP_3)
	v_lshlrev_b32_e32 v8, 20, v8
	v_lshl_add_u32 v18, v18, 23, 0x3c000000
	v_and_b32_e32 v19, 0x80000000, v19
	s_delay_alu instid0(VALU_DEP_1) | instskip(NEXT) | instid1(VALU_DEP_1)
	v_or3_b32 v8, v8, v19, v18
	v_dual_mov_b32 v19, v9 :: v_dual_mov_b32 v18, v8
.LBB239_1869:                           ;   in Loop: Header=BB239_1064 Depth=1
	s_or_b32 exec_lo, exec_lo, s15
.LBB239_1870:                           ;   in Loop: Header=BB239_1064 Depth=1
	s_delay_alu instid0(SALU_CYCLE_1)
	s_or_b32 exec_lo, exec_lo, s13
.LBB239_1871:                           ;   in Loop: Header=BB239_1064 Depth=1
	s_delay_alu instid0(SALU_CYCLE_1) | instskip(NEXT) | instid1(SALU_CYCLE_1)
	s_or_b32 exec_lo, exec_lo, s10
	s_mov_b32 s13, exec_lo
	v_cmpx_lt_u32_e32 0xffffff, v23
	s_cbranch_execz .LBB239_1879
; %bb.1872:                             ;   in Loop: Header=BB239_1064 Depth=1
	v_lshrrev_b32_e32 v27, 24, v23
	v_dual_mov_b32 v22, s9 :: v_dual_mov_b32 v21, s8
	s_mov_b32 s15, exec_lo
	s_delay_alu instid0(VALU_DEP_2)
	v_cmpx_ne_u32_e32 0x80, v27
	s_cbranch_execz .LBB239_1878
; %bb.1873:                             ;   in Loop: Header=BB239_1064 Depth=1
	s_mov_b32 s10, s8
	v_bfe_u32 v23, v23, 24, 7
	v_dual_mov_b32 v22, s11 :: v_dual_mov_b32 v21, s10
	s_mov_b32 s10, exec_lo
	s_delay_alu instid0(VALU_DEP_2)
	v_cmpx_ne_u32_e32 0x7f, v23
	s_cbranch_execz .LBB239_1877
; %bb.1874:                             ;   in Loop: Header=BB239_1064 Depth=1
	v_and_b32_e32 v8, 7, v27
	v_lshrrev_b32_e32 v21, 3, v23
	s_mov_b32 s16, exec_lo
	v_cmpx_gt_u32_e32 8, v23
; %bb.1875:                             ;   in Loop: Header=BB239_1064 Depth=1
	s_delay_alu instid0(VALU_DEP_3) | instskip(NEXT) | instid1(VALU_DEP_1)
	v_clz_i32_u32_e32 v21, v8
	v_min_u32_e32 v21, 32, v21
	s_delay_alu instid0(VALU_DEP_1) | instskip(SKIP_1) | instid1(VALU_DEP_2)
	v_subrev_nc_u32_e32 v22, 28, v21
	v_sub_nc_u32_e32 v21, 29, v21
	v_lshlrev_b64 v[22:23], v22, v[8:9]
	s_delay_alu instid0(VALU_DEP_1)
	v_and_b32_e32 v8, 7, v22
; %bb.1876:                             ;   in Loop: Header=BB239_1064 Depth=1
	s_or_b32 exec_lo, exec_lo, s16
	v_lshlrev_b32_e32 v22, 24, v27
	s_delay_alu instid0(VALU_DEP_2) | instskip(SKIP_1) | instid1(VALU_DEP_3)
	v_lshlrev_b32_e32 v8, 20, v8
	v_lshl_add_u32 v21, v21, 23, 0x3c000000
	v_and_b32_e32 v22, 0x80000000, v22
	s_delay_alu instid0(VALU_DEP_1)
	v_or3_b32 v22, v8, v22, v21
	v_mov_b32_e32 v21, v9
.LBB239_1877:                           ;   in Loop: Header=BB239_1064 Depth=1
	s_or_b32 exec_lo, exec_lo, s10
.LBB239_1878:                           ;   in Loop: Header=BB239_1064 Depth=1
	s_delay_alu instid0(SALU_CYCLE_1)
	s_or_b32 exec_lo, exec_lo, s15
.LBB239_1879:                           ;   in Loop: Header=BB239_1064 Depth=1
	s_delay_alu instid0(SALU_CYCLE_1) | instskip(SKIP_4) | instid1(VALU_DEP_4)
	s_or_b32 exec_lo, exec_lo, s13
	v_or_b32_e32 v5, v17, v5
	v_or_b32_e32 v4, v16, v4
	v_or_b32_e32 v8, v22, v19
	v_or_b32_e32 v16, v21, v18
	v_mul_f32_e32 v152, v102, v5
	s_delay_alu instid0(VALU_DEP_4) | instskip(NEXT) | instid1(VALU_DEP_4)
	v_mul_f32_e32 v143, v102, v4
	v_mul_f32_e32 v141, v102, v8
	s_delay_alu instid0(VALU_DEP_4)
	v_mul_f32_e32 v142, v102, v16
	s_and_saveexec_b32 s10, vcc_lo
; %bb.1880:                             ;   in Loop: Header=BB239_1064 Depth=1
	v_cmp_lt_i32_e64 s0, v116, v25
	s_delay_alu instid0(VALU_DEP_1) | instskip(SKIP_1) | instid1(VALU_DEP_1)
	v_cndmask_b32_e64 v143, 0, v143, s0
	v_cmp_lt_i32_e64 s0, v119, v25
	v_cndmask_b32_e64 v152, 0, v152, s0
	v_cmp_lt_i32_e64 s0, v118, v25
	s_delay_alu instid0(VALU_DEP_1) | instskip(SKIP_1) | instid1(VALU_DEP_1)
	v_cndmask_b32_e64 v142, 0, v142, s0
	v_cmp_lt_i32_e64 s0, v117, v25
	v_cndmask_b32_e64 v141, 0, v141, s0
; %bb.1881:                             ;   in Loop: Header=BB239_1064 Depth=1
	s_or_b32 exec_lo, exec_lo, s10
	flat_load_b32 v23, v[14:15] offset:3072
	v_mov_b32_e32 v16, 0
	v_mov_b32_e32 v17, 0
	s_mov_b32 s10, exec_lo
	s_waitcnt vmcnt(0) lgkmcnt(0)
	v_and_b32_e32 v8, 0xff, v23
	s_delay_alu instid0(VALU_DEP_2) | instskip(NEXT) | instid1(VALU_DEP_2)
	v_dual_mov_b32 v4, v16 :: v_dual_mov_b32 v5, v17
	v_cmpx_ne_u16_e32 0, v8
	s_cbranch_execz .LBB239_1889
; %bb.1882:                             ;   in Loop: Header=BB239_1064 Depth=1
	v_bfrev_b32_e32 v4, 1
	v_mov_b32_e32 v5, 0
	s_mov_b32 s13, exec_lo
	v_cmpx_ne_u16_e32 0x80, v8
	s_cbranch_execz .LBB239_1888
; %bb.1883:                             ;   in Loop: Header=BB239_1064 Depth=1
	v_mov_b32_e32 v4, 0x7f800001
	v_dual_mov_b32 v5, 0 :: v_dual_and_b32 v18, 0x7f, v23
	s_mov_b32 s15, exec_lo
	s_delay_alu instid0(VALU_DEP_1)
	v_cmpx_ne_u32_e32 0x7f, v18
	s_cbranch_execz .LBB239_1887
; %bb.1884:                             ;   in Loop: Header=BB239_1064 Depth=1
	v_and_b32_e32 v8, 7, v23
	v_lshrrev_b32_e32 v4, 3, v18
	s_mov_b32 s16, exec_lo
	v_cmpx_gt_u32_e32 8, v18
; %bb.1885:                             ;   in Loop: Header=BB239_1064 Depth=1
	s_delay_alu instid0(VALU_DEP_3) | instskip(NEXT) | instid1(VALU_DEP_1)
	v_clz_i32_u32_e32 v4, v8
	v_min_u32_e32 v4, 32, v4
	s_delay_alu instid0(VALU_DEP_1) | instskip(SKIP_1) | instid1(VALU_DEP_2)
	v_subrev_nc_u32_e32 v5, 28, v4
	v_sub_nc_u32_e32 v4, 29, v4
	v_lshlrev_b64 v[18:19], v5, v[8:9]
	s_delay_alu instid0(VALU_DEP_1)
	v_and_b32_e32 v8, 7, v18
; %bb.1886:                             ;   in Loop: Header=BB239_1064 Depth=1
	s_or_b32 exec_lo, exec_lo, s16
	v_lshlrev_b32_e32 v5, 24, v23
	s_delay_alu instid0(VALU_DEP_2) | instskip(SKIP_1) | instid1(VALU_DEP_3)
	v_lshlrev_b32_e32 v8, 20, v8
	v_lshl_add_u32 v4, v4, 23, 0x3c000000
	v_and_b32_e32 v5, 0x80000000, v5
	s_delay_alu instid0(VALU_DEP_1) | instskip(NEXT) | instid1(VALU_DEP_1)
	v_or3_b32 v8, v8, v5, v4
	v_dual_mov_b32 v4, v8 :: v_dual_mov_b32 v5, v9
.LBB239_1887:                           ;   in Loop: Header=BB239_1064 Depth=1
	s_or_b32 exec_lo, exec_lo, s15
.LBB239_1888:                           ;   in Loop: Header=BB239_1064 Depth=1
	s_delay_alu instid0(SALU_CYCLE_1)
	s_or_b32 exec_lo, exec_lo, s13
.LBB239_1889:                           ;   in Loop: Header=BB239_1064 Depth=1
	s_delay_alu instid0(SALU_CYCLE_1) | instskip(SKIP_2) | instid1(VALU_DEP_1)
	s_or_b32 exec_lo, exec_lo, s10
	v_lshrrev_b16 v8, 8, v23
	s_mov_b32 s13, exec_lo
	v_cmpx_ne_u16_e32 0, v8
	s_cbranch_execz .LBB239_1897
; %bb.1890:                             ;   in Loop: Header=BB239_1064 Depth=1
	v_dual_mov_b32 v17, s9 :: v_dual_mov_b32 v16, s8
	s_mov_b32 s15, exec_lo
	v_cmpx_ne_u16_e32 0x80, v8
	s_cbranch_execz .LBB239_1896
; %bb.1891:                             ;   in Loop: Header=BB239_1064 Depth=1
	s_mov_b32 s10, s8
	v_dual_mov_b32 v17, s11 :: v_dual_and_b32 v8, 0xffff, v8
	v_mov_b32_e32 v16, s10
	s_mov_b32 s10, exec_lo
	s_delay_alu instid0(VALU_DEP_2) | instskip(NEXT) | instid1(VALU_DEP_1)
	v_and_b32_e32 v18, 0x7f, v8
	v_cmpx_ne_u32_e32 0x7f, v18
	s_cbranch_execz .LBB239_1895
; %bb.1892:                             ;   in Loop: Header=BB239_1064 Depth=1
	v_and_b32_e32 v8, 7, v8
	v_lshrrev_b32_e32 v16, 3, v18
	s_mov_b32 s16, exec_lo
	v_cmpx_gt_u32_e32 8, v18
; %bb.1893:                             ;   in Loop: Header=BB239_1064 Depth=1
	s_delay_alu instid0(VALU_DEP_3) | instskip(NEXT) | instid1(VALU_DEP_1)
	v_clz_i32_u32_e32 v16, v8
	v_min_u32_e32 v16, 32, v16
	s_delay_alu instid0(VALU_DEP_1) | instskip(SKIP_1) | instid1(VALU_DEP_2)
	v_subrev_nc_u32_e32 v17, 28, v16
	v_sub_nc_u32_e32 v16, 29, v16
	v_lshlrev_b64 v[17:18], v17, v[8:9]
	s_delay_alu instid0(VALU_DEP_1)
	v_and_b32_e32 v8, 7, v17
; %bb.1894:                             ;   in Loop: Header=BB239_1064 Depth=1
	s_or_b32 exec_lo, exec_lo, s16
	v_lshlrev_b32_e32 v17, 16, v23
	s_delay_alu instid0(VALU_DEP_2) | instskip(SKIP_1) | instid1(VALU_DEP_3)
	v_lshlrev_b32_e32 v8, 20, v8
	v_lshl_add_u32 v16, v16, 23, 0x3c000000
	v_and_b32_e32 v17, 0x80000000, v17
	s_delay_alu instid0(VALU_DEP_1)
	v_or3_b32 v17, v8, v17, v16
	v_mov_b32_e32 v16, v9
.LBB239_1895:                           ;   in Loop: Header=BB239_1064 Depth=1
	s_or_b32 exec_lo, exec_lo, s10
.LBB239_1896:                           ;   in Loop: Header=BB239_1064 Depth=1
	s_delay_alu instid0(SALU_CYCLE_1)
	s_or_b32 exec_lo, exec_lo, s15
.LBB239_1897:                           ;   in Loop: Header=BB239_1064 Depth=1
	s_delay_alu instid0(SALU_CYCLE_1) | instskip(SKIP_3) | instid1(VALU_DEP_2)
	s_or_b32 exec_lo, exec_lo, s13
	v_lshrrev_b32_e32 v27, 16, v23
	v_mov_b32_e32 v21, 0
	v_mov_b32_e32 v22, 0
	v_mov_b32_e32 v18, v21
	s_mov_b32 s10, exec_lo
	s_delay_alu instid0(VALU_DEP_2) | instskip(NEXT) | instid1(VALU_DEP_1)
	v_dual_mov_b32 v19, v22 :: v_dual_and_b32 v8, 0xff, v27
	v_cmpx_ne_u16_e32 0, v8
	s_cbranch_execz .LBB239_1905
; %bb.1898:                             ;   in Loop: Header=BB239_1064 Depth=1
	v_bfrev_b32_e32 v18, 1
	v_mov_b32_e32 v19, 0
	s_mov_b32 s13, exec_lo
	v_cmpx_ne_u16_e32 0x80, v8
	s_cbranch_execz .LBB239_1904
; %bb.1899:                             ;   in Loop: Header=BB239_1064 Depth=1
	v_mov_b32_e32 v18, 0x7f800001
	v_bfe_u32 v85, v23, 16, 7
	v_mov_b32_e32 v19, 0
	s_mov_b32 s15, exec_lo
	s_delay_alu instid0(VALU_DEP_2)
	v_cmpx_ne_u32_e32 0x7f, v85
	s_cbranch_execz .LBB239_1903
; %bb.1900:                             ;   in Loop: Header=BB239_1064 Depth=1
	v_and_b32_e32 v8, 7, v27
	v_lshrrev_b32_e32 v18, 3, v85
	s_mov_b32 s16, exec_lo
	v_cmpx_gt_u32_e32 8, v85
; %bb.1901:                             ;   in Loop: Header=BB239_1064 Depth=1
	s_delay_alu instid0(VALU_DEP_3) | instskip(NEXT) | instid1(VALU_DEP_1)
	v_clz_i32_u32_e32 v18, v8
	v_min_u32_e32 v18, 32, v18
	s_delay_alu instid0(VALU_DEP_1) | instskip(SKIP_1) | instid1(VALU_DEP_2)
	v_subrev_nc_u32_e32 v19, 28, v18
	v_sub_nc_u32_e32 v18, 29, v18
	v_lshlrev_b64 v[85:86], v19, v[8:9]
	s_delay_alu instid0(VALU_DEP_1)
	v_and_b32_e32 v8, 7, v85
; %bb.1902:                             ;   in Loop: Header=BB239_1064 Depth=1
	s_or_b32 exec_lo, exec_lo, s16
	v_lshlrev_b32_e32 v19, 24, v27
	s_delay_alu instid0(VALU_DEP_2) | instskip(SKIP_1) | instid1(VALU_DEP_3)
	v_lshlrev_b32_e32 v8, 20, v8
	v_lshl_add_u32 v18, v18, 23, 0x3c000000
	v_and_b32_e32 v19, 0x80000000, v19
	s_delay_alu instid0(VALU_DEP_1) | instskip(NEXT) | instid1(VALU_DEP_1)
	v_or3_b32 v8, v8, v19, v18
	v_dual_mov_b32 v19, v9 :: v_dual_mov_b32 v18, v8
.LBB239_1903:                           ;   in Loop: Header=BB239_1064 Depth=1
	s_or_b32 exec_lo, exec_lo, s15
.LBB239_1904:                           ;   in Loop: Header=BB239_1064 Depth=1
	s_delay_alu instid0(SALU_CYCLE_1)
	s_or_b32 exec_lo, exec_lo, s13
.LBB239_1905:                           ;   in Loop: Header=BB239_1064 Depth=1
	s_delay_alu instid0(SALU_CYCLE_1) | instskip(NEXT) | instid1(SALU_CYCLE_1)
	s_or_b32 exec_lo, exec_lo, s10
	s_mov_b32 s13, exec_lo
	v_cmpx_lt_u32_e32 0xffffff, v23
	s_cbranch_execz .LBB239_1913
; %bb.1906:                             ;   in Loop: Header=BB239_1064 Depth=1
	v_lshrrev_b32_e32 v27, 24, v23
	v_dual_mov_b32 v22, s9 :: v_dual_mov_b32 v21, s8
	s_mov_b32 s15, exec_lo
	s_delay_alu instid0(VALU_DEP_2)
	v_cmpx_ne_u32_e32 0x80, v27
	s_cbranch_execz .LBB239_1912
; %bb.1907:                             ;   in Loop: Header=BB239_1064 Depth=1
	s_mov_b32 s10, s8
	v_bfe_u32 v23, v23, 24, 7
	v_dual_mov_b32 v22, s11 :: v_dual_mov_b32 v21, s10
	s_mov_b32 s10, exec_lo
	s_delay_alu instid0(VALU_DEP_2)
	v_cmpx_ne_u32_e32 0x7f, v23
	s_cbranch_execz .LBB239_1911
; %bb.1908:                             ;   in Loop: Header=BB239_1064 Depth=1
	v_and_b32_e32 v8, 7, v27
	v_lshrrev_b32_e32 v21, 3, v23
	s_mov_b32 s16, exec_lo
	v_cmpx_gt_u32_e32 8, v23
; %bb.1909:                             ;   in Loop: Header=BB239_1064 Depth=1
	s_delay_alu instid0(VALU_DEP_3) | instskip(NEXT) | instid1(VALU_DEP_1)
	v_clz_i32_u32_e32 v21, v8
	v_min_u32_e32 v21, 32, v21
	s_delay_alu instid0(VALU_DEP_1) | instskip(SKIP_1) | instid1(VALU_DEP_2)
	v_subrev_nc_u32_e32 v22, 28, v21
	v_sub_nc_u32_e32 v21, 29, v21
	v_lshlrev_b64 v[22:23], v22, v[8:9]
	s_delay_alu instid0(VALU_DEP_1)
	v_and_b32_e32 v8, 7, v22
; %bb.1910:                             ;   in Loop: Header=BB239_1064 Depth=1
	s_or_b32 exec_lo, exec_lo, s16
	v_lshlrev_b32_e32 v22, 24, v27
	s_delay_alu instid0(VALU_DEP_2) | instskip(SKIP_1) | instid1(VALU_DEP_3)
	v_lshlrev_b32_e32 v8, 20, v8
	v_lshl_add_u32 v21, v21, 23, 0x3c000000
	v_and_b32_e32 v22, 0x80000000, v22
	s_delay_alu instid0(VALU_DEP_1)
	v_or3_b32 v22, v8, v22, v21
	v_mov_b32_e32 v21, v9
.LBB239_1911:                           ;   in Loop: Header=BB239_1064 Depth=1
	s_or_b32 exec_lo, exec_lo, s10
.LBB239_1912:                           ;   in Loop: Header=BB239_1064 Depth=1
	s_delay_alu instid0(SALU_CYCLE_1)
	s_or_b32 exec_lo, exec_lo, s15
.LBB239_1913:                           ;   in Loop: Header=BB239_1064 Depth=1
	s_delay_alu instid0(SALU_CYCLE_1) | instskip(SKIP_4) | instid1(VALU_DEP_4)
	s_or_b32 exec_lo, exec_lo, s13
	v_or_b32_e32 v5, v17, v5
	v_or_b32_e32 v4, v16, v4
	;; [unrolled: 1-line block ×4, first 2 shown]
	v_mul_f32_e32 v156, v102, v5
	s_delay_alu instid0(VALU_DEP_4) | instskip(NEXT) | instid1(VALU_DEP_4)
	v_mul_f32_e32 v155, v102, v4
	v_mul_f32_e32 v153, v102, v8
	s_delay_alu instid0(VALU_DEP_4)
	v_mul_f32_e32 v154, v102, v16
	s_and_saveexec_b32 s10, vcc_lo
; %bb.1914:                             ;   in Loop: Header=BB239_1064 Depth=1
	v_cmp_lt_i32_e64 s0, v116, v25
	s_delay_alu instid0(VALU_DEP_1) | instskip(SKIP_1) | instid1(VALU_DEP_1)
	v_cndmask_b32_e64 v155, 0, v155, s0
	v_cmp_lt_i32_e64 s0, v119, v25
	v_cndmask_b32_e64 v156, 0, v156, s0
	v_cmp_lt_i32_e64 s0, v118, v25
	s_delay_alu instid0(VALU_DEP_1) | instskip(SKIP_1) | instid1(VALU_DEP_1)
	v_cndmask_b32_e64 v154, 0, v154, s0
	v_cmp_lt_i32_e64 s0, v117, v25
	v_cndmask_b32_e64 v153, 0, v153, s0
; %bb.1915:                             ;   in Loop: Header=BB239_1064 Depth=1
	s_or_b32 exec_lo, exec_lo, s10
	flat_load_b32 v23, v[14:15] offset:3200
	v_mov_b32_e32 v16, 0
	v_mov_b32_e32 v17, 0
	s_mov_b32 s10, exec_lo
	s_waitcnt vmcnt(0) lgkmcnt(0)
	v_and_b32_e32 v8, 0xff, v23
	s_delay_alu instid0(VALU_DEP_2) | instskip(NEXT) | instid1(VALU_DEP_2)
	v_dual_mov_b32 v4, v16 :: v_dual_mov_b32 v5, v17
	v_cmpx_ne_u16_e32 0, v8
	s_cbranch_execz .LBB239_1923
; %bb.1916:                             ;   in Loop: Header=BB239_1064 Depth=1
	v_bfrev_b32_e32 v4, 1
	v_mov_b32_e32 v5, 0
	s_mov_b32 s13, exec_lo
	v_cmpx_ne_u16_e32 0x80, v8
	s_cbranch_execz .LBB239_1922
; %bb.1917:                             ;   in Loop: Header=BB239_1064 Depth=1
	v_mov_b32_e32 v4, 0x7f800001
	v_dual_mov_b32 v5, 0 :: v_dual_and_b32 v18, 0x7f, v23
	s_mov_b32 s15, exec_lo
	s_delay_alu instid0(VALU_DEP_1)
	v_cmpx_ne_u32_e32 0x7f, v18
	s_cbranch_execz .LBB239_1921
; %bb.1918:                             ;   in Loop: Header=BB239_1064 Depth=1
	v_and_b32_e32 v8, 7, v23
	v_lshrrev_b32_e32 v4, 3, v18
	s_mov_b32 s16, exec_lo
	v_cmpx_gt_u32_e32 8, v18
; %bb.1919:                             ;   in Loop: Header=BB239_1064 Depth=1
	s_delay_alu instid0(VALU_DEP_3) | instskip(NEXT) | instid1(VALU_DEP_1)
	v_clz_i32_u32_e32 v4, v8
	v_min_u32_e32 v4, 32, v4
	s_delay_alu instid0(VALU_DEP_1) | instskip(SKIP_1) | instid1(VALU_DEP_2)
	v_subrev_nc_u32_e32 v5, 28, v4
	v_sub_nc_u32_e32 v4, 29, v4
	v_lshlrev_b64 v[18:19], v5, v[8:9]
	s_delay_alu instid0(VALU_DEP_1)
	v_and_b32_e32 v8, 7, v18
; %bb.1920:                             ;   in Loop: Header=BB239_1064 Depth=1
	s_or_b32 exec_lo, exec_lo, s16
	v_lshlrev_b32_e32 v5, 24, v23
	s_delay_alu instid0(VALU_DEP_2) | instskip(SKIP_1) | instid1(VALU_DEP_3)
	v_lshlrev_b32_e32 v8, 20, v8
	v_lshl_add_u32 v4, v4, 23, 0x3c000000
	v_and_b32_e32 v5, 0x80000000, v5
	s_delay_alu instid0(VALU_DEP_1) | instskip(NEXT) | instid1(VALU_DEP_1)
	v_or3_b32 v8, v8, v5, v4
	v_dual_mov_b32 v4, v8 :: v_dual_mov_b32 v5, v9
.LBB239_1921:                           ;   in Loop: Header=BB239_1064 Depth=1
	s_or_b32 exec_lo, exec_lo, s15
.LBB239_1922:                           ;   in Loop: Header=BB239_1064 Depth=1
	s_delay_alu instid0(SALU_CYCLE_1)
	s_or_b32 exec_lo, exec_lo, s13
.LBB239_1923:                           ;   in Loop: Header=BB239_1064 Depth=1
	s_delay_alu instid0(SALU_CYCLE_1) | instskip(SKIP_2) | instid1(VALU_DEP_1)
	s_or_b32 exec_lo, exec_lo, s10
	v_lshrrev_b16 v8, 8, v23
	s_mov_b32 s13, exec_lo
	v_cmpx_ne_u16_e32 0, v8
	s_cbranch_execz .LBB239_1931
; %bb.1924:                             ;   in Loop: Header=BB239_1064 Depth=1
	v_dual_mov_b32 v17, s9 :: v_dual_mov_b32 v16, s8
	s_mov_b32 s15, exec_lo
	v_cmpx_ne_u16_e32 0x80, v8
	s_cbranch_execz .LBB239_1930
; %bb.1925:                             ;   in Loop: Header=BB239_1064 Depth=1
	s_mov_b32 s10, s8
	v_dual_mov_b32 v17, s11 :: v_dual_and_b32 v8, 0xffff, v8
	v_mov_b32_e32 v16, s10
	s_mov_b32 s10, exec_lo
	s_delay_alu instid0(VALU_DEP_2) | instskip(NEXT) | instid1(VALU_DEP_1)
	v_and_b32_e32 v18, 0x7f, v8
	v_cmpx_ne_u32_e32 0x7f, v18
	s_cbranch_execz .LBB239_1929
; %bb.1926:                             ;   in Loop: Header=BB239_1064 Depth=1
	v_and_b32_e32 v8, 7, v8
	v_lshrrev_b32_e32 v16, 3, v18
	s_mov_b32 s16, exec_lo
	v_cmpx_gt_u32_e32 8, v18
; %bb.1927:                             ;   in Loop: Header=BB239_1064 Depth=1
	s_delay_alu instid0(VALU_DEP_3) | instskip(NEXT) | instid1(VALU_DEP_1)
	v_clz_i32_u32_e32 v16, v8
	v_min_u32_e32 v16, 32, v16
	s_delay_alu instid0(VALU_DEP_1) | instskip(SKIP_1) | instid1(VALU_DEP_2)
	v_subrev_nc_u32_e32 v17, 28, v16
	v_sub_nc_u32_e32 v16, 29, v16
	v_lshlrev_b64 v[17:18], v17, v[8:9]
	s_delay_alu instid0(VALU_DEP_1)
	v_and_b32_e32 v8, 7, v17
; %bb.1928:                             ;   in Loop: Header=BB239_1064 Depth=1
	s_or_b32 exec_lo, exec_lo, s16
	v_lshlrev_b32_e32 v17, 16, v23
	s_delay_alu instid0(VALU_DEP_2) | instskip(SKIP_1) | instid1(VALU_DEP_3)
	v_lshlrev_b32_e32 v8, 20, v8
	v_lshl_add_u32 v16, v16, 23, 0x3c000000
	v_and_b32_e32 v17, 0x80000000, v17
	s_delay_alu instid0(VALU_DEP_1)
	v_or3_b32 v17, v8, v17, v16
	v_mov_b32_e32 v16, v9
.LBB239_1929:                           ;   in Loop: Header=BB239_1064 Depth=1
	s_or_b32 exec_lo, exec_lo, s10
.LBB239_1930:                           ;   in Loop: Header=BB239_1064 Depth=1
	s_delay_alu instid0(SALU_CYCLE_1)
	s_or_b32 exec_lo, exec_lo, s15
.LBB239_1931:                           ;   in Loop: Header=BB239_1064 Depth=1
	s_delay_alu instid0(SALU_CYCLE_1) | instskip(SKIP_3) | instid1(VALU_DEP_2)
	s_or_b32 exec_lo, exec_lo, s13
	v_lshrrev_b32_e32 v27, 16, v23
	v_mov_b32_e32 v21, 0
	v_mov_b32_e32 v22, 0
	;; [unrolled: 1-line block ×3, first 2 shown]
	s_mov_b32 s10, exec_lo
	s_delay_alu instid0(VALU_DEP_2) | instskip(NEXT) | instid1(VALU_DEP_1)
	v_dual_mov_b32 v19, v22 :: v_dual_and_b32 v8, 0xff, v27
	v_cmpx_ne_u16_e32 0, v8
	s_cbranch_execz .LBB239_1939
; %bb.1932:                             ;   in Loop: Header=BB239_1064 Depth=1
	v_bfrev_b32_e32 v18, 1
	v_mov_b32_e32 v19, 0
	s_mov_b32 s13, exec_lo
	v_cmpx_ne_u16_e32 0x80, v8
	s_cbranch_execz .LBB239_1938
; %bb.1933:                             ;   in Loop: Header=BB239_1064 Depth=1
	v_mov_b32_e32 v18, 0x7f800001
	v_bfe_u32 v85, v23, 16, 7
	v_mov_b32_e32 v19, 0
	s_mov_b32 s15, exec_lo
	s_delay_alu instid0(VALU_DEP_2)
	v_cmpx_ne_u32_e32 0x7f, v85
	s_cbranch_execz .LBB239_1937
; %bb.1934:                             ;   in Loop: Header=BB239_1064 Depth=1
	v_and_b32_e32 v8, 7, v27
	v_lshrrev_b32_e32 v18, 3, v85
	s_mov_b32 s16, exec_lo
	v_cmpx_gt_u32_e32 8, v85
; %bb.1935:                             ;   in Loop: Header=BB239_1064 Depth=1
	s_delay_alu instid0(VALU_DEP_3) | instskip(NEXT) | instid1(VALU_DEP_1)
	v_clz_i32_u32_e32 v18, v8
	v_min_u32_e32 v18, 32, v18
	s_delay_alu instid0(VALU_DEP_1) | instskip(SKIP_1) | instid1(VALU_DEP_2)
	v_subrev_nc_u32_e32 v19, 28, v18
	v_sub_nc_u32_e32 v18, 29, v18
	v_lshlrev_b64 v[85:86], v19, v[8:9]
	s_delay_alu instid0(VALU_DEP_1)
	v_and_b32_e32 v8, 7, v85
; %bb.1936:                             ;   in Loop: Header=BB239_1064 Depth=1
	s_or_b32 exec_lo, exec_lo, s16
	v_lshlrev_b32_e32 v19, 24, v27
	s_delay_alu instid0(VALU_DEP_2) | instskip(SKIP_1) | instid1(VALU_DEP_3)
	v_lshlrev_b32_e32 v8, 20, v8
	v_lshl_add_u32 v18, v18, 23, 0x3c000000
	v_and_b32_e32 v19, 0x80000000, v19
	s_delay_alu instid0(VALU_DEP_1) | instskip(NEXT) | instid1(VALU_DEP_1)
	v_or3_b32 v8, v8, v19, v18
	v_dual_mov_b32 v19, v9 :: v_dual_mov_b32 v18, v8
.LBB239_1937:                           ;   in Loop: Header=BB239_1064 Depth=1
	s_or_b32 exec_lo, exec_lo, s15
.LBB239_1938:                           ;   in Loop: Header=BB239_1064 Depth=1
	s_delay_alu instid0(SALU_CYCLE_1)
	s_or_b32 exec_lo, exec_lo, s13
.LBB239_1939:                           ;   in Loop: Header=BB239_1064 Depth=1
	s_delay_alu instid0(SALU_CYCLE_1) | instskip(NEXT) | instid1(SALU_CYCLE_1)
	s_or_b32 exec_lo, exec_lo, s10
	s_mov_b32 s13, exec_lo
	v_cmpx_lt_u32_e32 0xffffff, v23
	s_cbranch_execz .LBB239_1947
; %bb.1940:                             ;   in Loop: Header=BB239_1064 Depth=1
	v_lshrrev_b32_e32 v27, 24, v23
	v_dual_mov_b32 v22, s9 :: v_dual_mov_b32 v21, s8
	s_mov_b32 s15, exec_lo
	s_delay_alu instid0(VALU_DEP_2)
	v_cmpx_ne_u32_e32 0x80, v27
	s_cbranch_execz .LBB239_1946
; %bb.1941:                             ;   in Loop: Header=BB239_1064 Depth=1
	s_mov_b32 s10, s8
	v_bfe_u32 v23, v23, 24, 7
	v_dual_mov_b32 v22, s11 :: v_dual_mov_b32 v21, s10
	s_mov_b32 s10, exec_lo
	s_delay_alu instid0(VALU_DEP_2)
	v_cmpx_ne_u32_e32 0x7f, v23
	s_cbranch_execz .LBB239_1945
; %bb.1942:                             ;   in Loop: Header=BB239_1064 Depth=1
	v_and_b32_e32 v8, 7, v27
	v_lshrrev_b32_e32 v21, 3, v23
	s_mov_b32 s16, exec_lo
	v_cmpx_gt_u32_e32 8, v23
; %bb.1943:                             ;   in Loop: Header=BB239_1064 Depth=1
	s_delay_alu instid0(VALU_DEP_3) | instskip(NEXT) | instid1(VALU_DEP_1)
	v_clz_i32_u32_e32 v21, v8
	v_min_u32_e32 v21, 32, v21
	s_delay_alu instid0(VALU_DEP_1) | instskip(SKIP_1) | instid1(VALU_DEP_2)
	v_subrev_nc_u32_e32 v22, 28, v21
	v_sub_nc_u32_e32 v21, 29, v21
	v_lshlrev_b64 v[22:23], v22, v[8:9]
	s_delay_alu instid0(VALU_DEP_1)
	v_and_b32_e32 v8, 7, v22
; %bb.1944:                             ;   in Loop: Header=BB239_1064 Depth=1
	s_or_b32 exec_lo, exec_lo, s16
	v_lshlrev_b32_e32 v22, 24, v27
	s_delay_alu instid0(VALU_DEP_2) | instskip(SKIP_1) | instid1(VALU_DEP_3)
	v_lshlrev_b32_e32 v8, 20, v8
	v_lshl_add_u32 v21, v21, 23, 0x3c000000
	v_and_b32_e32 v22, 0x80000000, v22
	s_delay_alu instid0(VALU_DEP_1)
	v_or3_b32 v22, v8, v22, v21
	v_mov_b32_e32 v21, v9
.LBB239_1945:                           ;   in Loop: Header=BB239_1064 Depth=1
	s_or_b32 exec_lo, exec_lo, s10
.LBB239_1946:                           ;   in Loop: Header=BB239_1064 Depth=1
	s_delay_alu instid0(SALU_CYCLE_1)
	s_or_b32 exec_lo, exec_lo, s15
.LBB239_1947:                           ;   in Loop: Header=BB239_1064 Depth=1
	s_delay_alu instid0(SALU_CYCLE_1) | instskip(SKIP_4) | instid1(VALU_DEP_4)
	s_or_b32 exec_lo, exec_lo, s13
	v_or_b32_e32 v5, v17, v5
	v_or_b32_e32 v4, v16, v4
	v_or_b32_e32 v8, v22, v19
	v_or_b32_e32 v16, v21, v18
	v_mul_f32_e32 v168, v102, v5
	s_delay_alu instid0(VALU_DEP_4) | instskip(NEXT) | instid1(VALU_DEP_4)
	v_mul_f32_e32 v159, v102, v4
	v_mul_f32_e32 v157, v102, v8
	s_delay_alu instid0(VALU_DEP_4)
	v_mul_f32_e32 v158, v102, v16
	s_and_saveexec_b32 s10, vcc_lo
; %bb.1948:                             ;   in Loop: Header=BB239_1064 Depth=1
	v_cmp_lt_i32_e64 s0, v116, v25
	s_delay_alu instid0(VALU_DEP_1) | instskip(SKIP_1) | instid1(VALU_DEP_1)
	v_cndmask_b32_e64 v159, 0, v159, s0
	v_cmp_lt_i32_e64 s0, v119, v25
	v_cndmask_b32_e64 v168, 0, v168, s0
	v_cmp_lt_i32_e64 s0, v118, v25
	s_delay_alu instid0(VALU_DEP_1) | instskip(SKIP_1) | instid1(VALU_DEP_1)
	v_cndmask_b32_e64 v158, 0, v158, s0
	v_cmp_lt_i32_e64 s0, v117, v25
	v_cndmask_b32_e64 v157, 0, v157, s0
; %bb.1949:                             ;   in Loop: Header=BB239_1064 Depth=1
	s_or_b32 exec_lo, exec_lo, s10
	flat_load_b32 v23, v[14:15] offset:3328
	v_mov_b32_e32 v16, 0
	v_mov_b32_e32 v17, 0
	s_mov_b32 s10, exec_lo
	s_waitcnt vmcnt(0) lgkmcnt(0)
	v_and_b32_e32 v8, 0xff, v23
	s_delay_alu instid0(VALU_DEP_2) | instskip(NEXT) | instid1(VALU_DEP_2)
	v_dual_mov_b32 v4, v16 :: v_dual_mov_b32 v5, v17
	v_cmpx_ne_u16_e32 0, v8
	s_cbranch_execz .LBB239_1957
; %bb.1950:                             ;   in Loop: Header=BB239_1064 Depth=1
	v_bfrev_b32_e32 v4, 1
	v_mov_b32_e32 v5, 0
	s_mov_b32 s13, exec_lo
	v_cmpx_ne_u16_e32 0x80, v8
	s_cbranch_execz .LBB239_1956
; %bb.1951:                             ;   in Loop: Header=BB239_1064 Depth=1
	v_mov_b32_e32 v4, 0x7f800001
	v_dual_mov_b32 v5, 0 :: v_dual_and_b32 v18, 0x7f, v23
	s_mov_b32 s15, exec_lo
	s_delay_alu instid0(VALU_DEP_1)
	v_cmpx_ne_u32_e32 0x7f, v18
	s_cbranch_execz .LBB239_1955
; %bb.1952:                             ;   in Loop: Header=BB239_1064 Depth=1
	v_and_b32_e32 v8, 7, v23
	v_lshrrev_b32_e32 v4, 3, v18
	s_mov_b32 s16, exec_lo
	v_cmpx_gt_u32_e32 8, v18
; %bb.1953:                             ;   in Loop: Header=BB239_1064 Depth=1
	s_delay_alu instid0(VALU_DEP_3) | instskip(NEXT) | instid1(VALU_DEP_1)
	v_clz_i32_u32_e32 v4, v8
	v_min_u32_e32 v4, 32, v4
	s_delay_alu instid0(VALU_DEP_1) | instskip(SKIP_1) | instid1(VALU_DEP_2)
	v_subrev_nc_u32_e32 v5, 28, v4
	v_sub_nc_u32_e32 v4, 29, v4
	v_lshlrev_b64 v[18:19], v5, v[8:9]
	s_delay_alu instid0(VALU_DEP_1)
	v_and_b32_e32 v8, 7, v18
; %bb.1954:                             ;   in Loop: Header=BB239_1064 Depth=1
	s_or_b32 exec_lo, exec_lo, s16
	v_lshlrev_b32_e32 v5, 24, v23
	s_delay_alu instid0(VALU_DEP_2) | instskip(SKIP_1) | instid1(VALU_DEP_3)
	v_lshlrev_b32_e32 v8, 20, v8
	v_lshl_add_u32 v4, v4, 23, 0x3c000000
	v_and_b32_e32 v5, 0x80000000, v5
	s_delay_alu instid0(VALU_DEP_1) | instskip(NEXT) | instid1(VALU_DEP_1)
	v_or3_b32 v8, v8, v5, v4
	v_dual_mov_b32 v4, v8 :: v_dual_mov_b32 v5, v9
.LBB239_1955:                           ;   in Loop: Header=BB239_1064 Depth=1
	s_or_b32 exec_lo, exec_lo, s15
.LBB239_1956:                           ;   in Loop: Header=BB239_1064 Depth=1
	s_delay_alu instid0(SALU_CYCLE_1)
	s_or_b32 exec_lo, exec_lo, s13
.LBB239_1957:                           ;   in Loop: Header=BB239_1064 Depth=1
	s_delay_alu instid0(SALU_CYCLE_1) | instskip(SKIP_2) | instid1(VALU_DEP_1)
	s_or_b32 exec_lo, exec_lo, s10
	v_lshrrev_b16 v8, 8, v23
	s_mov_b32 s13, exec_lo
	v_cmpx_ne_u16_e32 0, v8
	s_cbranch_execz .LBB239_1965
; %bb.1958:                             ;   in Loop: Header=BB239_1064 Depth=1
	v_dual_mov_b32 v17, s9 :: v_dual_mov_b32 v16, s8
	s_mov_b32 s15, exec_lo
	v_cmpx_ne_u16_e32 0x80, v8
	s_cbranch_execz .LBB239_1964
; %bb.1959:                             ;   in Loop: Header=BB239_1064 Depth=1
	s_mov_b32 s10, s8
	v_dual_mov_b32 v17, s11 :: v_dual_and_b32 v8, 0xffff, v8
	v_mov_b32_e32 v16, s10
	s_mov_b32 s10, exec_lo
	s_delay_alu instid0(VALU_DEP_2) | instskip(NEXT) | instid1(VALU_DEP_1)
	v_and_b32_e32 v18, 0x7f, v8
	v_cmpx_ne_u32_e32 0x7f, v18
	s_cbranch_execz .LBB239_1963
; %bb.1960:                             ;   in Loop: Header=BB239_1064 Depth=1
	v_and_b32_e32 v8, 7, v8
	v_lshrrev_b32_e32 v16, 3, v18
	s_mov_b32 s16, exec_lo
	v_cmpx_gt_u32_e32 8, v18
; %bb.1961:                             ;   in Loop: Header=BB239_1064 Depth=1
	s_delay_alu instid0(VALU_DEP_3) | instskip(NEXT) | instid1(VALU_DEP_1)
	v_clz_i32_u32_e32 v16, v8
	v_min_u32_e32 v16, 32, v16
	s_delay_alu instid0(VALU_DEP_1) | instskip(SKIP_1) | instid1(VALU_DEP_2)
	v_subrev_nc_u32_e32 v17, 28, v16
	v_sub_nc_u32_e32 v16, 29, v16
	v_lshlrev_b64 v[17:18], v17, v[8:9]
	s_delay_alu instid0(VALU_DEP_1)
	v_and_b32_e32 v8, 7, v17
; %bb.1962:                             ;   in Loop: Header=BB239_1064 Depth=1
	s_or_b32 exec_lo, exec_lo, s16
	v_lshlrev_b32_e32 v17, 16, v23
	s_delay_alu instid0(VALU_DEP_2) | instskip(SKIP_1) | instid1(VALU_DEP_3)
	v_lshlrev_b32_e32 v8, 20, v8
	v_lshl_add_u32 v16, v16, 23, 0x3c000000
	v_and_b32_e32 v17, 0x80000000, v17
	s_delay_alu instid0(VALU_DEP_1)
	v_or3_b32 v17, v8, v17, v16
	v_mov_b32_e32 v16, v9
.LBB239_1963:                           ;   in Loop: Header=BB239_1064 Depth=1
	s_or_b32 exec_lo, exec_lo, s10
.LBB239_1964:                           ;   in Loop: Header=BB239_1064 Depth=1
	s_delay_alu instid0(SALU_CYCLE_1)
	s_or_b32 exec_lo, exec_lo, s15
.LBB239_1965:                           ;   in Loop: Header=BB239_1064 Depth=1
	s_delay_alu instid0(SALU_CYCLE_1) | instskip(SKIP_3) | instid1(VALU_DEP_2)
	s_or_b32 exec_lo, exec_lo, s13
	v_lshrrev_b32_e32 v27, 16, v23
	v_mov_b32_e32 v21, 0
	v_mov_b32_e32 v22, 0
	;; [unrolled: 1-line block ×3, first 2 shown]
	s_mov_b32 s10, exec_lo
	s_delay_alu instid0(VALU_DEP_2) | instskip(NEXT) | instid1(VALU_DEP_1)
	v_dual_mov_b32 v19, v22 :: v_dual_and_b32 v8, 0xff, v27
	v_cmpx_ne_u16_e32 0, v8
	s_cbranch_execz .LBB239_1973
; %bb.1966:                             ;   in Loop: Header=BB239_1064 Depth=1
	v_bfrev_b32_e32 v18, 1
	v_mov_b32_e32 v19, 0
	s_mov_b32 s13, exec_lo
	v_cmpx_ne_u16_e32 0x80, v8
	s_cbranch_execz .LBB239_1972
; %bb.1967:                             ;   in Loop: Header=BB239_1064 Depth=1
	v_mov_b32_e32 v18, 0x7f800001
	v_bfe_u32 v85, v23, 16, 7
	v_mov_b32_e32 v19, 0
	s_mov_b32 s15, exec_lo
	s_delay_alu instid0(VALU_DEP_2)
	v_cmpx_ne_u32_e32 0x7f, v85
	s_cbranch_execz .LBB239_1971
; %bb.1968:                             ;   in Loop: Header=BB239_1064 Depth=1
	v_and_b32_e32 v8, 7, v27
	v_lshrrev_b32_e32 v18, 3, v85
	s_mov_b32 s16, exec_lo
	v_cmpx_gt_u32_e32 8, v85
; %bb.1969:                             ;   in Loop: Header=BB239_1064 Depth=1
	s_delay_alu instid0(VALU_DEP_3) | instskip(NEXT) | instid1(VALU_DEP_1)
	v_clz_i32_u32_e32 v18, v8
	v_min_u32_e32 v18, 32, v18
	s_delay_alu instid0(VALU_DEP_1) | instskip(SKIP_1) | instid1(VALU_DEP_2)
	v_subrev_nc_u32_e32 v19, 28, v18
	v_sub_nc_u32_e32 v18, 29, v18
	v_lshlrev_b64 v[85:86], v19, v[8:9]
	s_delay_alu instid0(VALU_DEP_1)
	v_and_b32_e32 v8, 7, v85
; %bb.1970:                             ;   in Loop: Header=BB239_1064 Depth=1
	s_or_b32 exec_lo, exec_lo, s16
	v_lshlrev_b32_e32 v19, 24, v27
	s_delay_alu instid0(VALU_DEP_2) | instskip(SKIP_1) | instid1(VALU_DEP_3)
	v_lshlrev_b32_e32 v8, 20, v8
	v_lshl_add_u32 v18, v18, 23, 0x3c000000
	v_and_b32_e32 v19, 0x80000000, v19
	s_delay_alu instid0(VALU_DEP_1) | instskip(NEXT) | instid1(VALU_DEP_1)
	v_or3_b32 v8, v8, v19, v18
	v_dual_mov_b32 v19, v9 :: v_dual_mov_b32 v18, v8
.LBB239_1971:                           ;   in Loop: Header=BB239_1064 Depth=1
	s_or_b32 exec_lo, exec_lo, s15
.LBB239_1972:                           ;   in Loop: Header=BB239_1064 Depth=1
	s_delay_alu instid0(SALU_CYCLE_1)
	s_or_b32 exec_lo, exec_lo, s13
.LBB239_1973:                           ;   in Loop: Header=BB239_1064 Depth=1
	s_delay_alu instid0(SALU_CYCLE_1) | instskip(NEXT) | instid1(SALU_CYCLE_1)
	s_or_b32 exec_lo, exec_lo, s10
	s_mov_b32 s13, exec_lo
	v_cmpx_lt_u32_e32 0xffffff, v23
	s_cbranch_execz .LBB239_1981
; %bb.1974:                             ;   in Loop: Header=BB239_1064 Depth=1
	v_lshrrev_b32_e32 v27, 24, v23
	v_dual_mov_b32 v22, s9 :: v_dual_mov_b32 v21, s8
	s_mov_b32 s15, exec_lo
	s_delay_alu instid0(VALU_DEP_2)
	v_cmpx_ne_u32_e32 0x80, v27
	s_cbranch_execz .LBB239_1980
; %bb.1975:                             ;   in Loop: Header=BB239_1064 Depth=1
	s_mov_b32 s10, s8
	v_bfe_u32 v23, v23, 24, 7
	v_dual_mov_b32 v22, s11 :: v_dual_mov_b32 v21, s10
	s_mov_b32 s10, exec_lo
	s_delay_alu instid0(VALU_DEP_2)
	v_cmpx_ne_u32_e32 0x7f, v23
	s_cbranch_execz .LBB239_1979
; %bb.1976:                             ;   in Loop: Header=BB239_1064 Depth=1
	v_and_b32_e32 v8, 7, v27
	v_lshrrev_b32_e32 v21, 3, v23
	s_mov_b32 s16, exec_lo
	v_cmpx_gt_u32_e32 8, v23
; %bb.1977:                             ;   in Loop: Header=BB239_1064 Depth=1
	s_delay_alu instid0(VALU_DEP_3) | instskip(NEXT) | instid1(VALU_DEP_1)
	v_clz_i32_u32_e32 v21, v8
	v_min_u32_e32 v21, 32, v21
	s_delay_alu instid0(VALU_DEP_1) | instskip(SKIP_1) | instid1(VALU_DEP_2)
	v_subrev_nc_u32_e32 v22, 28, v21
	v_sub_nc_u32_e32 v21, 29, v21
	v_lshlrev_b64 v[22:23], v22, v[8:9]
	s_delay_alu instid0(VALU_DEP_1)
	v_and_b32_e32 v8, 7, v22
; %bb.1978:                             ;   in Loop: Header=BB239_1064 Depth=1
	s_or_b32 exec_lo, exec_lo, s16
	v_lshlrev_b32_e32 v22, 24, v27
	s_delay_alu instid0(VALU_DEP_2) | instskip(SKIP_1) | instid1(VALU_DEP_3)
	v_lshlrev_b32_e32 v8, 20, v8
	v_lshl_add_u32 v21, v21, 23, 0x3c000000
	v_and_b32_e32 v22, 0x80000000, v22
	s_delay_alu instid0(VALU_DEP_1)
	v_or3_b32 v22, v8, v22, v21
	v_mov_b32_e32 v21, v9
.LBB239_1979:                           ;   in Loop: Header=BB239_1064 Depth=1
	s_or_b32 exec_lo, exec_lo, s10
.LBB239_1980:                           ;   in Loop: Header=BB239_1064 Depth=1
	s_delay_alu instid0(SALU_CYCLE_1)
	s_or_b32 exec_lo, exec_lo, s15
.LBB239_1981:                           ;   in Loop: Header=BB239_1064 Depth=1
	s_delay_alu instid0(SALU_CYCLE_1) | instskip(SKIP_4) | instid1(VALU_DEP_4)
	s_or_b32 exec_lo, exec_lo, s13
	v_or_b32_e32 v5, v17, v5
	v_or_b32_e32 v4, v16, v4
	;; [unrolled: 1-line block ×4, first 2 shown]
	v_mul_f32_e32 v172, v102, v5
	s_delay_alu instid0(VALU_DEP_4) | instskip(NEXT) | instid1(VALU_DEP_4)
	v_mul_f32_e32 v171, v102, v4
	v_mul_f32_e32 v169, v102, v8
	s_delay_alu instid0(VALU_DEP_4)
	v_mul_f32_e32 v170, v102, v16
	s_and_saveexec_b32 s10, vcc_lo
; %bb.1982:                             ;   in Loop: Header=BB239_1064 Depth=1
	v_cmp_lt_i32_e64 s0, v116, v25
	s_delay_alu instid0(VALU_DEP_1) | instskip(SKIP_1) | instid1(VALU_DEP_1)
	v_cndmask_b32_e64 v171, 0, v171, s0
	v_cmp_lt_i32_e64 s0, v119, v25
	v_cndmask_b32_e64 v172, 0, v172, s0
	v_cmp_lt_i32_e64 s0, v118, v25
	s_delay_alu instid0(VALU_DEP_1) | instskip(SKIP_1) | instid1(VALU_DEP_1)
	v_cndmask_b32_e64 v170, 0, v170, s0
	v_cmp_lt_i32_e64 s0, v117, v25
	v_cndmask_b32_e64 v169, 0, v169, s0
; %bb.1983:                             ;   in Loop: Header=BB239_1064 Depth=1
	s_or_b32 exec_lo, exec_lo, s10
	flat_load_b32 v23, v[14:15] offset:3456
	v_mov_b32_e32 v16, 0
	v_mov_b32_e32 v17, 0
	s_mov_b32 s10, exec_lo
	s_waitcnt vmcnt(0) lgkmcnt(0)
	v_and_b32_e32 v8, 0xff, v23
	s_delay_alu instid0(VALU_DEP_2) | instskip(NEXT) | instid1(VALU_DEP_2)
	v_dual_mov_b32 v4, v16 :: v_dual_mov_b32 v5, v17
	v_cmpx_ne_u16_e32 0, v8
	s_cbranch_execz .LBB239_1991
; %bb.1984:                             ;   in Loop: Header=BB239_1064 Depth=1
	v_bfrev_b32_e32 v4, 1
	v_mov_b32_e32 v5, 0
	s_mov_b32 s13, exec_lo
	v_cmpx_ne_u16_e32 0x80, v8
	s_cbranch_execz .LBB239_1990
; %bb.1985:                             ;   in Loop: Header=BB239_1064 Depth=1
	v_mov_b32_e32 v4, 0x7f800001
	v_dual_mov_b32 v5, 0 :: v_dual_and_b32 v18, 0x7f, v23
	s_mov_b32 s15, exec_lo
	s_delay_alu instid0(VALU_DEP_1)
	v_cmpx_ne_u32_e32 0x7f, v18
	s_cbranch_execz .LBB239_1989
; %bb.1986:                             ;   in Loop: Header=BB239_1064 Depth=1
	v_and_b32_e32 v8, 7, v23
	v_lshrrev_b32_e32 v4, 3, v18
	s_mov_b32 s16, exec_lo
	v_cmpx_gt_u32_e32 8, v18
; %bb.1987:                             ;   in Loop: Header=BB239_1064 Depth=1
	s_delay_alu instid0(VALU_DEP_3) | instskip(NEXT) | instid1(VALU_DEP_1)
	v_clz_i32_u32_e32 v4, v8
	v_min_u32_e32 v4, 32, v4
	s_delay_alu instid0(VALU_DEP_1) | instskip(SKIP_1) | instid1(VALU_DEP_2)
	v_subrev_nc_u32_e32 v5, 28, v4
	v_sub_nc_u32_e32 v4, 29, v4
	v_lshlrev_b64 v[18:19], v5, v[8:9]
	s_delay_alu instid0(VALU_DEP_1)
	v_and_b32_e32 v8, 7, v18
; %bb.1988:                             ;   in Loop: Header=BB239_1064 Depth=1
	s_or_b32 exec_lo, exec_lo, s16
	v_lshlrev_b32_e32 v5, 24, v23
	s_delay_alu instid0(VALU_DEP_2) | instskip(SKIP_1) | instid1(VALU_DEP_3)
	v_lshlrev_b32_e32 v8, 20, v8
	v_lshl_add_u32 v4, v4, 23, 0x3c000000
	v_and_b32_e32 v5, 0x80000000, v5
	s_delay_alu instid0(VALU_DEP_1) | instskip(NEXT) | instid1(VALU_DEP_1)
	v_or3_b32 v8, v8, v5, v4
	v_dual_mov_b32 v4, v8 :: v_dual_mov_b32 v5, v9
.LBB239_1989:                           ;   in Loop: Header=BB239_1064 Depth=1
	s_or_b32 exec_lo, exec_lo, s15
.LBB239_1990:                           ;   in Loop: Header=BB239_1064 Depth=1
	s_delay_alu instid0(SALU_CYCLE_1)
	s_or_b32 exec_lo, exec_lo, s13
.LBB239_1991:                           ;   in Loop: Header=BB239_1064 Depth=1
	s_delay_alu instid0(SALU_CYCLE_1) | instskip(SKIP_2) | instid1(VALU_DEP_1)
	s_or_b32 exec_lo, exec_lo, s10
	v_lshrrev_b16 v8, 8, v23
	s_mov_b32 s13, exec_lo
	v_cmpx_ne_u16_e32 0, v8
	s_cbranch_execz .LBB239_1999
; %bb.1992:                             ;   in Loop: Header=BB239_1064 Depth=1
	v_dual_mov_b32 v17, s9 :: v_dual_mov_b32 v16, s8
	s_mov_b32 s15, exec_lo
	v_cmpx_ne_u16_e32 0x80, v8
	s_cbranch_execz .LBB239_1998
; %bb.1993:                             ;   in Loop: Header=BB239_1064 Depth=1
	s_mov_b32 s10, s8
	v_dual_mov_b32 v17, s11 :: v_dual_and_b32 v8, 0xffff, v8
	v_mov_b32_e32 v16, s10
	s_mov_b32 s10, exec_lo
	s_delay_alu instid0(VALU_DEP_2) | instskip(NEXT) | instid1(VALU_DEP_1)
	v_and_b32_e32 v18, 0x7f, v8
	v_cmpx_ne_u32_e32 0x7f, v18
	s_cbranch_execz .LBB239_1997
; %bb.1994:                             ;   in Loop: Header=BB239_1064 Depth=1
	v_and_b32_e32 v8, 7, v8
	v_lshrrev_b32_e32 v16, 3, v18
	s_mov_b32 s16, exec_lo
	v_cmpx_gt_u32_e32 8, v18
; %bb.1995:                             ;   in Loop: Header=BB239_1064 Depth=1
	s_delay_alu instid0(VALU_DEP_3) | instskip(NEXT) | instid1(VALU_DEP_1)
	v_clz_i32_u32_e32 v16, v8
	v_min_u32_e32 v16, 32, v16
	s_delay_alu instid0(VALU_DEP_1) | instskip(SKIP_1) | instid1(VALU_DEP_2)
	v_subrev_nc_u32_e32 v17, 28, v16
	v_sub_nc_u32_e32 v16, 29, v16
	v_lshlrev_b64 v[17:18], v17, v[8:9]
	s_delay_alu instid0(VALU_DEP_1)
	v_and_b32_e32 v8, 7, v17
; %bb.1996:                             ;   in Loop: Header=BB239_1064 Depth=1
	s_or_b32 exec_lo, exec_lo, s16
	v_lshlrev_b32_e32 v17, 16, v23
	s_delay_alu instid0(VALU_DEP_2) | instskip(SKIP_1) | instid1(VALU_DEP_3)
	v_lshlrev_b32_e32 v8, 20, v8
	v_lshl_add_u32 v16, v16, 23, 0x3c000000
	v_and_b32_e32 v17, 0x80000000, v17
	s_delay_alu instid0(VALU_DEP_1)
	v_or3_b32 v17, v8, v17, v16
	v_mov_b32_e32 v16, v9
.LBB239_1997:                           ;   in Loop: Header=BB239_1064 Depth=1
	s_or_b32 exec_lo, exec_lo, s10
.LBB239_1998:                           ;   in Loop: Header=BB239_1064 Depth=1
	s_delay_alu instid0(SALU_CYCLE_1)
	s_or_b32 exec_lo, exec_lo, s15
.LBB239_1999:                           ;   in Loop: Header=BB239_1064 Depth=1
	s_delay_alu instid0(SALU_CYCLE_1) | instskip(SKIP_4) | instid1(VALU_DEP_2)
	s_or_b32 exec_lo, exec_lo, s13
	v_mov_b32_e32 v18, 0
	v_lshrrev_b32_e32 v27, 16, v23
	v_mov_b32_e32 v19, 0
	s_mov_b32 s10, exec_lo
	v_and_b32_e32 v8, 0xff, v27
	s_delay_alu instid0(VALU_DEP_2) | instskip(NEXT) | instid1(VALU_DEP_2)
	v_dual_mov_b32 v22, v19 :: v_dual_mov_b32 v21, v18
	v_cmpx_ne_u16_e32 0, v8
	s_cbranch_execz .LBB239_2007
; %bb.2000:                             ;   in Loop: Header=BB239_1064 Depth=1
	v_bfrev_b32_e32 v21, 1
	v_mov_b32_e32 v22, 0
	s_mov_b32 s13, exec_lo
	v_cmpx_ne_u16_e32 0x80, v8
	s_cbranch_execz .LBB239_2006
; %bb.2001:                             ;   in Loop: Header=BB239_1064 Depth=1
	v_mov_b32_e32 v21, 0x7f800001
	v_bfe_u32 v85, v23, 16, 7
	v_mov_b32_e32 v22, 0
	s_mov_b32 s15, exec_lo
	s_delay_alu instid0(VALU_DEP_2)
	v_cmpx_ne_u32_e32 0x7f, v85
	s_cbranch_execz .LBB239_2005
; %bb.2002:                             ;   in Loop: Header=BB239_1064 Depth=1
	v_and_b32_e32 v8, 7, v27
	v_lshrrev_b32_e32 v21, 3, v85
	s_mov_b32 s16, exec_lo
	v_cmpx_gt_u32_e32 8, v85
; %bb.2003:                             ;   in Loop: Header=BB239_1064 Depth=1
	s_delay_alu instid0(VALU_DEP_3) | instskip(NEXT) | instid1(VALU_DEP_1)
	v_clz_i32_u32_e32 v21, v8
	v_min_u32_e32 v21, 32, v21
	s_delay_alu instid0(VALU_DEP_1) | instskip(SKIP_1) | instid1(VALU_DEP_2)
	v_subrev_nc_u32_e32 v22, 28, v21
	v_sub_nc_u32_e32 v21, 29, v21
	v_lshlrev_b64 v[85:86], v22, v[8:9]
	s_delay_alu instid0(VALU_DEP_1)
	v_and_b32_e32 v8, 7, v85
; %bb.2004:                             ;   in Loop: Header=BB239_1064 Depth=1
	s_or_b32 exec_lo, exec_lo, s16
	v_lshlrev_b32_e32 v22, 24, v27
	s_delay_alu instid0(VALU_DEP_2) | instskip(SKIP_1) | instid1(VALU_DEP_3)
	v_lshlrev_b32_e32 v8, 20, v8
	v_lshl_add_u32 v21, v21, 23, 0x3c000000
	v_and_b32_e32 v22, 0x80000000, v22
	s_delay_alu instid0(VALU_DEP_1) | instskip(NEXT) | instid1(VALU_DEP_1)
	v_or3_b32 v8, v8, v22, v21
	v_dual_mov_b32 v22, v9 :: v_dual_mov_b32 v21, v8
.LBB239_2005:                           ;   in Loop: Header=BB239_1064 Depth=1
	s_or_b32 exec_lo, exec_lo, s15
.LBB239_2006:                           ;   in Loop: Header=BB239_1064 Depth=1
	s_delay_alu instid0(SALU_CYCLE_1)
	s_or_b32 exec_lo, exec_lo, s13
.LBB239_2007:                           ;   in Loop: Header=BB239_1064 Depth=1
	s_delay_alu instid0(SALU_CYCLE_1) | instskip(NEXT) | instid1(SALU_CYCLE_1)
	s_or_b32 exec_lo, exec_lo, s10
	s_mov_b32 s13, exec_lo
	v_cmpx_lt_u32_e32 0xffffff, v23
	s_cbranch_execz .LBB239_2015
; %bb.2008:                             ;   in Loop: Header=BB239_1064 Depth=1
	v_lshrrev_b32_e32 v27, 24, v23
	v_dual_mov_b32 v19, s9 :: v_dual_mov_b32 v18, s8
	s_mov_b32 s15, exec_lo
	s_delay_alu instid0(VALU_DEP_2)
	v_cmpx_ne_u32_e32 0x80, v27
	s_cbranch_execz .LBB239_2014
; %bb.2009:                             ;   in Loop: Header=BB239_1064 Depth=1
	s_mov_b32 s10, s8
	v_bfe_u32 v23, v23, 24, 7
	v_dual_mov_b32 v19, s11 :: v_dual_mov_b32 v18, s10
	s_mov_b32 s10, exec_lo
	s_delay_alu instid0(VALU_DEP_2)
	v_cmpx_ne_u32_e32 0x7f, v23
	s_cbranch_execz .LBB239_2013
; %bb.2010:                             ;   in Loop: Header=BB239_1064 Depth=1
	v_and_b32_e32 v8, 7, v27
	v_lshrrev_b32_e32 v18, 3, v23
	s_mov_b32 s16, exec_lo
	v_cmpx_gt_u32_e32 8, v23
; %bb.2011:                             ;   in Loop: Header=BB239_1064 Depth=1
	s_delay_alu instid0(VALU_DEP_3) | instskip(NEXT) | instid1(VALU_DEP_1)
	v_clz_i32_u32_e32 v18, v8
	v_min_u32_e32 v18, 32, v18
	s_delay_alu instid0(VALU_DEP_1) | instskip(SKIP_1) | instid1(VALU_DEP_2)
	v_subrev_nc_u32_e32 v19, 28, v18
	v_sub_nc_u32_e32 v18, 29, v18
	v_lshlrev_b64 v[85:86], v19, v[8:9]
	s_delay_alu instid0(VALU_DEP_1)
	v_and_b32_e32 v8, 7, v85
; %bb.2012:                             ;   in Loop: Header=BB239_1064 Depth=1
	s_or_b32 exec_lo, exec_lo, s16
	v_lshlrev_b32_e32 v19, 24, v27
	s_delay_alu instid0(VALU_DEP_2) | instskip(SKIP_1) | instid1(VALU_DEP_3)
	v_lshlrev_b32_e32 v8, 20, v8
	v_lshl_add_u32 v18, v18, 23, 0x3c000000
	v_and_b32_e32 v19, 0x80000000, v19
	s_delay_alu instid0(VALU_DEP_1)
	v_or3_b32 v19, v8, v19, v18
	v_mov_b32_e32 v18, v9
.LBB239_2013:                           ;   in Loop: Header=BB239_1064 Depth=1
	s_or_b32 exec_lo, exec_lo, s10
.LBB239_2014:                           ;   in Loop: Header=BB239_1064 Depth=1
	s_delay_alu instid0(SALU_CYCLE_1)
	s_or_b32 exec_lo, exec_lo, s15
.LBB239_2015:                           ;   in Loop: Header=BB239_1064 Depth=1
	s_delay_alu instid0(SALU_CYCLE_1) | instskip(SKIP_4) | instid1(VALU_DEP_4)
	s_or_b32 exec_lo, exec_lo, s13
	v_or_b32_e32 v5, v17, v5
	v_or_b32_e32 v4, v16, v4
	;; [unrolled: 1-line block ×4, first 2 shown]
	v_mul_f32_e32 v184, v102, v5
	s_delay_alu instid0(VALU_DEP_4) | instskip(NEXT) | instid1(VALU_DEP_4)
	v_mul_f32_e32 v175, v102, v4
	v_mul_f32_e32 v173, v102, v8
	s_delay_alu instid0(VALU_DEP_4)
	v_mul_f32_e32 v174, v102, v16
	s_and_saveexec_b32 s10, vcc_lo
; %bb.2016:                             ;   in Loop: Header=BB239_1064 Depth=1
	v_cmp_lt_i32_e64 s0, v116, v25
	s_delay_alu instid0(VALU_DEP_1) | instskip(SKIP_1) | instid1(VALU_DEP_1)
	v_cndmask_b32_e64 v175, 0, v175, s0
	v_cmp_lt_i32_e64 s0, v119, v25
	v_cndmask_b32_e64 v184, 0, v184, s0
	v_cmp_lt_i32_e64 s0, v118, v25
	s_delay_alu instid0(VALU_DEP_1) | instskip(SKIP_1) | instid1(VALU_DEP_1)
	v_cndmask_b32_e64 v174, 0, v174, s0
	v_cmp_lt_i32_e64 s0, v117, v25
	v_cndmask_b32_e64 v173, 0, v173, s0
; %bb.2017:                             ;   in Loop: Header=BB239_1064 Depth=1
	s_or_b32 exec_lo, exec_lo, s10
	flat_load_b32 v27, v[14:15] offset:3584
	v_mov_b32_e32 v4, 0
	v_mov_b32_e32 v5, 0
	s_mov_b32 s10, exec_lo
	s_waitcnt vmcnt(0) lgkmcnt(0)
	s_delay_alu instid0(VALU_DEP_1) | instskip(SKIP_1) | instid1(VALU_DEP_2)
	v_dual_mov_b32 v17, v5 :: v_dual_and_b32 v8, 0xff, v27
	v_mov_b32_e32 v16, v4
	v_cmpx_ne_u16_e32 0, v8
	s_cbranch_execz .LBB239_2025
; %bb.2018:                             ;   in Loop: Header=BB239_1064 Depth=1
	v_bfrev_b32_e32 v16, 1
	v_mov_b32_e32 v17, 0
	s_mov_b32 s13, exec_lo
	v_cmpx_ne_u16_e32 0x80, v8
	s_cbranch_execz .LBB239_2024
; %bb.2019:                             ;   in Loop: Header=BB239_1064 Depth=1
	v_mov_b32_e32 v16, 0x7f800001
	v_dual_mov_b32 v17, 0 :: v_dual_and_b32 v18, 0x7f, v27
	s_mov_b32 s15, exec_lo
	s_delay_alu instid0(VALU_DEP_1)
	v_cmpx_ne_u32_e32 0x7f, v18
	s_cbranch_execz .LBB239_2023
; %bb.2020:                             ;   in Loop: Header=BB239_1064 Depth=1
	v_and_b32_e32 v8, 7, v27
	v_lshrrev_b32_e32 v16, 3, v18
	s_mov_b32 s16, exec_lo
	v_cmpx_gt_u32_e32 8, v18
; %bb.2021:                             ;   in Loop: Header=BB239_1064 Depth=1
	s_delay_alu instid0(VALU_DEP_3) | instskip(NEXT) | instid1(VALU_DEP_1)
	v_clz_i32_u32_e32 v16, v8
	v_min_u32_e32 v16, 32, v16
	s_delay_alu instid0(VALU_DEP_1) | instskip(SKIP_1) | instid1(VALU_DEP_2)
	v_subrev_nc_u32_e32 v17, 28, v16
	v_sub_nc_u32_e32 v16, 29, v16
	v_lshlrev_b64 v[17:18], v17, v[8:9]
	s_delay_alu instid0(VALU_DEP_1)
	v_and_b32_e32 v8, 7, v17
; %bb.2022:                             ;   in Loop: Header=BB239_1064 Depth=1
	s_or_b32 exec_lo, exec_lo, s16
	v_lshlrev_b32_e32 v17, 24, v27
	s_delay_alu instid0(VALU_DEP_2) | instskip(SKIP_1) | instid1(VALU_DEP_3)
	v_lshlrev_b32_e32 v8, 20, v8
	v_lshl_add_u32 v16, v16, 23, 0x3c000000
	v_and_b32_e32 v17, 0x80000000, v17
	s_delay_alu instid0(VALU_DEP_1) | instskip(NEXT) | instid1(VALU_DEP_1)
	v_or3_b32 v8, v8, v17, v16
	v_dual_mov_b32 v17, v9 :: v_dual_mov_b32 v16, v8
.LBB239_2023:                           ;   in Loop: Header=BB239_1064 Depth=1
	s_or_b32 exec_lo, exec_lo, s15
.LBB239_2024:                           ;   in Loop: Header=BB239_1064 Depth=1
	s_delay_alu instid0(SALU_CYCLE_1)
	s_or_b32 exec_lo, exec_lo, s13
.LBB239_2025:                           ;   in Loop: Header=BB239_1064 Depth=1
	s_delay_alu instid0(SALU_CYCLE_1) | instskip(SKIP_2) | instid1(VALU_DEP_1)
	s_or_b32 exec_lo, exec_lo, s10
	v_lshrrev_b16 v8, 8, v27
	s_mov_b32 s13, exec_lo
	v_cmpx_ne_u16_e32 0, v8
	s_cbranch_execz .LBB239_2033
; %bb.2026:                             ;   in Loop: Header=BB239_1064 Depth=1
	v_dual_mov_b32 v4, s8 :: v_dual_mov_b32 v5, s9
	s_mov_b32 s15, exec_lo
	v_cmpx_ne_u16_e32 0x80, v8
	s_cbranch_execz .LBB239_2032
; %bb.2027:                             ;   in Loop: Header=BB239_1064 Depth=1
	s_mov_b32 s10, s8
	v_and_b32_e32 v8, 0xffff, v8
	v_dual_mov_b32 v4, s10 :: v_dual_mov_b32 v5, s11
	s_mov_b32 s10, exec_lo
	s_delay_alu instid0(VALU_DEP_2) | instskip(NEXT) | instid1(VALU_DEP_1)
	v_and_b32_e32 v18, 0x7f, v8
	v_cmpx_ne_u32_e32 0x7f, v18
	s_cbranch_execz .LBB239_2031
; %bb.2028:                             ;   in Loop: Header=BB239_1064 Depth=1
	v_and_b32_e32 v8, 7, v8
	v_lshrrev_b32_e32 v4, 3, v18
	s_mov_b32 s16, exec_lo
	v_cmpx_gt_u32_e32 8, v18
; %bb.2029:                             ;   in Loop: Header=BB239_1064 Depth=1
	s_delay_alu instid0(VALU_DEP_3) | instskip(NEXT) | instid1(VALU_DEP_1)
	v_clz_i32_u32_e32 v4, v8
	v_min_u32_e32 v4, 32, v4
	s_delay_alu instid0(VALU_DEP_1) | instskip(SKIP_1) | instid1(VALU_DEP_2)
	v_subrev_nc_u32_e32 v5, 28, v4
	v_sub_nc_u32_e32 v4, 29, v4
	v_lshlrev_b64 v[18:19], v5, v[8:9]
	s_delay_alu instid0(VALU_DEP_1)
	v_and_b32_e32 v8, 7, v18
; %bb.2030:                             ;   in Loop: Header=BB239_1064 Depth=1
	s_or_b32 exec_lo, exec_lo, s16
	v_lshlrev_b32_e32 v5, 16, v27
	s_delay_alu instid0(VALU_DEP_2) | instskip(SKIP_1) | instid1(VALU_DEP_3)
	v_lshlrev_b32_e32 v8, 20, v8
	v_lshl_add_u32 v4, v4, 23, 0x3c000000
	v_and_b32_e32 v5, 0x80000000, v5
	s_delay_alu instid0(VALU_DEP_1)
	v_or3_b32 v5, v8, v5, v4
	v_mov_b32_e32 v4, v9
.LBB239_2031:                           ;   in Loop: Header=BB239_1064 Depth=1
	s_or_b32 exec_lo, exec_lo, s10
.LBB239_2032:                           ;   in Loop: Header=BB239_1064 Depth=1
	s_delay_alu instid0(SALU_CYCLE_1)
	s_or_b32 exec_lo, exec_lo, s15
.LBB239_2033:                           ;   in Loop: Header=BB239_1064 Depth=1
	s_delay_alu instid0(SALU_CYCLE_1) | instskip(SKIP_4) | instid1(VALU_DEP_2)
	s_or_b32 exec_lo, exec_lo, s13
	v_mov_b32_e32 v18, 0
	v_lshrrev_b32_e32 v23, 16, v27
	v_mov_b32_e32 v19, 0
	s_mov_b32 s10, exec_lo
	v_and_b32_e32 v8, 0xff, v23
	s_delay_alu instid0(VALU_DEP_2) | instskip(NEXT) | instid1(VALU_DEP_2)
	v_dual_mov_b32 v22, v19 :: v_dual_mov_b32 v21, v18
	v_cmpx_ne_u16_e32 0, v8
	s_cbranch_execz .LBB239_2041
; %bb.2034:                             ;   in Loop: Header=BB239_1064 Depth=1
	v_bfrev_b32_e32 v21, 1
	v_mov_b32_e32 v22, 0
	s_mov_b32 s13, exec_lo
	v_cmpx_ne_u16_e32 0x80, v8
	s_cbranch_execz .LBB239_2040
; %bb.2035:                             ;   in Loop: Header=BB239_1064 Depth=1
	v_mov_b32_e32 v21, 0x7f800001
	v_bfe_u32 v85, v27, 16, 7
	v_mov_b32_e32 v22, 0
	s_mov_b32 s15, exec_lo
	s_delay_alu instid0(VALU_DEP_2)
	v_cmpx_ne_u32_e32 0x7f, v85
	s_cbranch_execz .LBB239_2039
; %bb.2036:                             ;   in Loop: Header=BB239_1064 Depth=1
	v_and_b32_e32 v8, 7, v23
	v_lshrrev_b32_e32 v21, 3, v85
	s_mov_b32 s16, exec_lo
	v_cmpx_gt_u32_e32 8, v85
; %bb.2037:                             ;   in Loop: Header=BB239_1064 Depth=1
	s_delay_alu instid0(VALU_DEP_3) | instskip(NEXT) | instid1(VALU_DEP_1)
	v_clz_i32_u32_e32 v21, v8
	v_min_u32_e32 v21, 32, v21
	s_delay_alu instid0(VALU_DEP_1) | instskip(SKIP_1) | instid1(VALU_DEP_2)
	v_subrev_nc_u32_e32 v22, 28, v21
	v_sub_nc_u32_e32 v21, 29, v21
	v_lshlrev_b64 v[85:86], v22, v[8:9]
	s_delay_alu instid0(VALU_DEP_1)
	v_and_b32_e32 v8, 7, v85
; %bb.2038:                             ;   in Loop: Header=BB239_1064 Depth=1
	s_or_b32 exec_lo, exec_lo, s16
	v_lshlrev_b32_e32 v22, 24, v23
	s_delay_alu instid0(VALU_DEP_2) | instskip(SKIP_1) | instid1(VALU_DEP_3)
	v_lshlrev_b32_e32 v8, 20, v8
	v_lshl_add_u32 v21, v21, 23, 0x3c000000
	v_and_b32_e32 v22, 0x80000000, v22
	s_delay_alu instid0(VALU_DEP_1) | instskip(NEXT) | instid1(VALU_DEP_1)
	v_or3_b32 v8, v8, v22, v21
	v_dual_mov_b32 v22, v9 :: v_dual_mov_b32 v21, v8
.LBB239_2039:                           ;   in Loop: Header=BB239_1064 Depth=1
	s_or_b32 exec_lo, exec_lo, s15
.LBB239_2040:                           ;   in Loop: Header=BB239_1064 Depth=1
	s_delay_alu instid0(SALU_CYCLE_1)
	s_or_b32 exec_lo, exec_lo, s13
.LBB239_2041:                           ;   in Loop: Header=BB239_1064 Depth=1
	s_delay_alu instid0(SALU_CYCLE_1) | instskip(NEXT) | instid1(SALU_CYCLE_1)
	s_or_b32 exec_lo, exec_lo, s10
	s_mov_b32 s13, exec_lo
	v_cmpx_lt_u32_e32 0xffffff, v27
	s_cbranch_execz .LBB239_2049
; %bb.2042:                             ;   in Loop: Header=BB239_1064 Depth=1
	v_lshrrev_b32_e32 v23, 24, v27
	v_dual_mov_b32 v19, s9 :: v_dual_mov_b32 v18, s8
	s_mov_b32 s15, exec_lo
	s_delay_alu instid0(VALU_DEP_2)
	v_cmpx_ne_u32_e32 0x80, v23
	s_cbranch_execz .LBB239_2048
; %bb.2043:                             ;   in Loop: Header=BB239_1064 Depth=1
	s_mov_b32 s10, s8
	v_bfe_u32 v27, v27, 24, 7
	v_dual_mov_b32 v19, s11 :: v_dual_mov_b32 v18, s10
	s_mov_b32 s10, exec_lo
	s_delay_alu instid0(VALU_DEP_2)
	v_cmpx_ne_u32_e32 0x7f, v27
	s_cbranch_execz .LBB239_2047
; %bb.2044:                             ;   in Loop: Header=BB239_1064 Depth=1
	v_and_b32_e32 v8, 7, v23
	v_lshrrev_b32_e32 v18, 3, v27
	s_mov_b32 s16, exec_lo
	v_cmpx_gt_u32_e32 8, v27
; %bb.2045:                             ;   in Loop: Header=BB239_1064 Depth=1
	s_delay_alu instid0(VALU_DEP_3) | instskip(NEXT) | instid1(VALU_DEP_1)
	v_clz_i32_u32_e32 v18, v8
	v_min_u32_e32 v18, 32, v18
	s_delay_alu instid0(VALU_DEP_1) | instskip(SKIP_1) | instid1(VALU_DEP_2)
	v_subrev_nc_u32_e32 v19, 28, v18
	v_sub_nc_u32_e32 v18, 29, v18
	v_lshlrev_b64 v[85:86], v19, v[8:9]
	s_delay_alu instid0(VALU_DEP_1)
	v_and_b32_e32 v8, 7, v85
; %bb.2046:                             ;   in Loop: Header=BB239_1064 Depth=1
	s_or_b32 exec_lo, exec_lo, s16
	v_lshlrev_b32_e32 v19, 24, v23
	s_delay_alu instid0(VALU_DEP_2) | instskip(SKIP_1) | instid1(VALU_DEP_3)
	v_lshlrev_b32_e32 v8, 20, v8
	v_lshl_add_u32 v18, v18, 23, 0x3c000000
	v_and_b32_e32 v19, 0x80000000, v19
	s_delay_alu instid0(VALU_DEP_1)
	v_or3_b32 v19, v8, v19, v18
	v_mov_b32_e32 v18, v9
.LBB239_2047:                           ;   in Loop: Header=BB239_1064 Depth=1
	s_or_b32 exec_lo, exec_lo, s10
.LBB239_2048:                           ;   in Loop: Header=BB239_1064 Depth=1
	s_delay_alu instid0(SALU_CYCLE_1)
	s_or_b32 exec_lo, exec_lo, s15
.LBB239_2049:                           ;   in Loop: Header=BB239_1064 Depth=1
	s_delay_alu instid0(SALU_CYCLE_1) | instskip(SKIP_4) | instid1(VALU_DEP_4)
	s_or_b32 exec_lo, exec_lo, s13
	v_or_b32_e32 v5, v5, v17
	v_or_b32_e32 v4, v4, v16
	;; [unrolled: 1-line block ×4, first 2 shown]
	v_mul_f32_e32 v188, v102, v5
	s_delay_alu instid0(VALU_DEP_4) | instskip(NEXT) | instid1(VALU_DEP_4)
	v_mul_f32_e32 v187, v102, v4
	v_mul_f32_e32 v185, v102, v8
	s_delay_alu instid0(VALU_DEP_4)
	v_mul_f32_e32 v186, v102, v16
	s_and_saveexec_b32 s10, vcc_lo
; %bb.2050:                             ;   in Loop: Header=BB239_1064 Depth=1
	v_cmp_lt_i32_e64 s0, v116, v25
	s_delay_alu instid0(VALU_DEP_1) | instskip(SKIP_1) | instid1(VALU_DEP_1)
	v_cndmask_b32_e64 v187, 0, v187, s0
	v_cmp_lt_i32_e64 s0, v119, v25
	v_cndmask_b32_e64 v188, 0, v188, s0
	v_cmp_lt_i32_e64 s0, v118, v25
	s_delay_alu instid0(VALU_DEP_1) | instskip(SKIP_1) | instid1(VALU_DEP_1)
	v_cndmask_b32_e64 v186, 0, v186, s0
	v_cmp_lt_i32_e64 s0, v117, v25
	v_cndmask_b32_e64 v185, 0, v185, s0
; %bb.2051:                             ;   in Loop: Header=BB239_1064 Depth=1
	s_or_b32 exec_lo, exec_lo, s10
	flat_load_b32 v27, v[14:15] offset:3712
	v_mov_b32_e32 v4, 0
	v_mov_b32_e32 v5, 0
	s_mov_b32 s10, exec_lo
	s_waitcnt vmcnt(0) lgkmcnt(0)
	s_delay_alu instid0(VALU_DEP_1) | instskip(SKIP_1) | instid1(VALU_DEP_2)
	v_dual_mov_b32 v17, v5 :: v_dual_and_b32 v8, 0xff, v27
	v_mov_b32_e32 v16, v4
	v_cmpx_ne_u16_e32 0, v8
	s_cbranch_execz .LBB239_2059
; %bb.2052:                             ;   in Loop: Header=BB239_1064 Depth=1
	v_bfrev_b32_e32 v16, 1
	v_mov_b32_e32 v17, 0
	s_mov_b32 s13, exec_lo
	v_cmpx_ne_u16_e32 0x80, v8
	s_cbranch_execz .LBB239_2058
; %bb.2053:                             ;   in Loop: Header=BB239_1064 Depth=1
	v_mov_b32_e32 v16, 0x7f800001
	v_dual_mov_b32 v17, 0 :: v_dual_and_b32 v18, 0x7f, v27
	s_mov_b32 s15, exec_lo
	s_delay_alu instid0(VALU_DEP_1)
	v_cmpx_ne_u32_e32 0x7f, v18
	s_cbranch_execz .LBB239_2057
; %bb.2054:                             ;   in Loop: Header=BB239_1064 Depth=1
	v_and_b32_e32 v8, 7, v27
	v_lshrrev_b32_e32 v16, 3, v18
	s_mov_b32 s16, exec_lo
	v_cmpx_gt_u32_e32 8, v18
; %bb.2055:                             ;   in Loop: Header=BB239_1064 Depth=1
	s_delay_alu instid0(VALU_DEP_3) | instskip(NEXT) | instid1(VALU_DEP_1)
	v_clz_i32_u32_e32 v16, v8
	v_min_u32_e32 v16, 32, v16
	s_delay_alu instid0(VALU_DEP_1) | instskip(SKIP_1) | instid1(VALU_DEP_2)
	v_subrev_nc_u32_e32 v17, 28, v16
	v_sub_nc_u32_e32 v16, 29, v16
	v_lshlrev_b64 v[17:18], v17, v[8:9]
	s_delay_alu instid0(VALU_DEP_1)
	v_and_b32_e32 v8, 7, v17
; %bb.2056:                             ;   in Loop: Header=BB239_1064 Depth=1
	s_or_b32 exec_lo, exec_lo, s16
	v_lshlrev_b32_e32 v17, 24, v27
	s_delay_alu instid0(VALU_DEP_2) | instskip(SKIP_1) | instid1(VALU_DEP_3)
	v_lshlrev_b32_e32 v8, 20, v8
	v_lshl_add_u32 v16, v16, 23, 0x3c000000
	v_and_b32_e32 v17, 0x80000000, v17
	s_delay_alu instid0(VALU_DEP_1) | instskip(NEXT) | instid1(VALU_DEP_1)
	v_or3_b32 v8, v8, v17, v16
	v_dual_mov_b32 v17, v9 :: v_dual_mov_b32 v16, v8
.LBB239_2057:                           ;   in Loop: Header=BB239_1064 Depth=1
	s_or_b32 exec_lo, exec_lo, s15
.LBB239_2058:                           ;   in Loop: Header=BB239_1064 Depth=1
	s_delay_alu instid0(SALU_CYCLE_1)
	s_or_b32 exec_lo, exec_lo, s13
.LBB239_2059:                           ;   in Loop: Header=BB239_1064 Depth=1
	s_delay_alu instid0(SALU_CYCLE_1) | instskip(SKIP_2) | instid1(VALU_DEP_1)
	s_or_b32 exec_lo, exec_lo, s10
	v_lshrrev_b16 v8, 8, v27
	s_mov_b32 s13, exec_lo
	v_cmpx_ne_u16_e32 0, v8
	s_cbranch_execz .LBB239_2067
; %bb.2060:                             ;   in Loop: Header=BB239_1064 Depth=1
	v_dual_mov_b32 v4, s8 :: v_dual_mov_b32 v5, s9
	s_mov_b32 s15, exec_lo
	v_cmpx_ne_u16_e32 0x80, v8
	s_cbranch_execz .LBB239_2066
; %bb.2061:                             ;   in Loop: Header=BB239_1064 Depth=1
	s_mov_b32 s10, s8
	v_and_b32_e32 v8, 0xffff, v8
	v_dual_mov_b32 v4, s10 :: v_dual_mov_b32 v5, s11
	s_mov_b32 s10, exec_lo
	s_delay_alu instid0(VALU_DEP_2) | instskip(NEXT) | instid1(VALU_DEP_1)
	v_and_b32_e32 v18, 0x7f, v8
	v_cmpx_ne_u32_e32 0x7f, v18
	s_cbranch_execz .LBB239_2065
; %bb.2062:                             ;   in Loop: Header=BB239_1064 Depth=1
	v_and_b32_e32 v8, 7, v8
	v_lshrrev_b32_e32 v4, 3, v18
	s_mov_b32 s16, exec_lo
	v_cmpx_gt_u32_e32 8, v18
; %bb.2063:                             ;   in Loop: Header=BB239_1064 Depth=1
	s_delay_alu instid0(VALU_DEP_3) | instskip(NEXT) | instid1(VALU_DEP_1)
	v_clz_i32_u32_e32 v4, v8
	v_min_u32_e32 v4, 32, v4
	s_delay_alu instid0(VALU_DEP_1) | instskip(SKIP_1) | instid1(VALU_DEP_2)
	v_subrev_nc_u32_e32 v5, 28, v4
	v_sub_nc_u32_e32 v4, 29, v4
	v_lshlrev_b64 v[18:19], v5, v[8:9]
	s_delay_alu instid0(VALU_DEP_1)
	v_and_b32_e32 v8, 7, v18
; %bb.2064:                             ;   in Loop: Header=BB239_1064 Depth=1
	s_or_b32 exec_lo, exec_lo, s16
	v_lshlrev_b32_e32 v5, 16, v27
	s_delay_alu instid0(VALU_DEP_2) | instskip(SKIP_1) | instid1(VALU_DEP_3)
	v_lshlrev_b32_e32 v8, 20, v8
	v_lshl_add_u32 v4, v4, 23, 0x3c000000
	v_and_b32_e32 v5, 0x80000000, v5
	s_delay_alu instid0(VALU_DEP_1)
	v_or3_b32 v5, v8, v5, v4
	v_mov_b32_e32 v4, v9
.LBB239_2065:                           ;   in Loop: Header=BB239_1064 Depth=1
	s_or_b32 exec_lo, exec_lo, s10
.LBB239_2066:                           ;   in Loop: Header=BB239_1064 Depth=1
	s_delay_alu instid0(SALU_CYCLE_1)
	s_or_b32 exec_lo, exec_lo, s15
.LBB239_2067:                           ;   in Loop: Header=BB239_1064 Depth=1
	s_delay_alu instid0(SALU_CYCLE_1) | instskip(SKIP_4) | instid1(VALU_DEP_2)
	s_or_b32 exec_lo, exec_lo, s13
	v_mov_b32_e32 v18, 0
	v_lshrrev_b32_e32 v23, 16, v27
	v_mov_b32_e32 v19, 0
	s_mov_b32 s10, exec_lo
	v_and_b32_e32 v8, 0xff, v23
	s_delay_alu instid0(VALU_DEP_2) | instskip(NEXT) | instid1(VALU_DEP_2)
	v_dual_mov_b32 v22, v19 :: v_dual_mov_b32 v21, v18
	v_cmpx_ne_u16_e32 0, v8
	s_cbranch_execz .LBB239_2075
; %bb.2068:                             ;   in Loop: Header=BB239_1064 Depth=1
	v_bfrev_b32_e32 v21, 1
	v_mov_b32_e32 v22, 0
	s_mov_b32 s13, exec_lo
	v_cmpx_ne_u16_e32 0x80, v8
	s_cbranch_execz .LBB239_2074
; %bb.2069:                             ;   in Loop: Header=BB239_1064 Depth=1
	v_mov_b32_e32 v21, 0x7f800001
	v_bfe_u32 v85, v27, 16, 7
	v_mov_b32_e32 v22, 0
	s_mov_b32 s15, exec_lo
	s_delay_alu instid0(VALU_DEP_2)
	v_cmpx_ne_u32_e32 0x7f, v85
	s_cbranch_execz .LBB239_2073
; %bb.2070:                             ;   in Loop: Header=BB239_1064 Depth=1
	v_and_b32_e32 v8, 7, v23
	v_lshrrev_b32_e32 v21, 3, v85
	s_mov_b32 s16, exec_lo
	v_cmpx_gt_u32_e32 8, v85
; %bb.2071:                             ;   in Loop: Header=BB239_1064 Depth=1
	s_delay_alu instid0(VALU_DEP_3) | instskip(NEXT) | instid1(VALU_DEP_1)
	v_clz_i32_u32_e32 v21, v8
	v_min_u32_e32 v21, 32, v21
	s_delay_alu instid0(VALU_DEP_1) | instskip(SKIP_1) | instid1(VALU_DEP_2)
	v_subrev_nc_u32_e32 v22, 28, v21
	v_sub_nc_u32_e32 v21, 29, v21
	v_lshlrev_b64 v[85:86], v22, v[8:9]
	s_delay_alu instid0(VALU_DEP_1)
	v_and_b32_e32 v8, 7, v85
; %bb.2072:                             ;   in Loop: Header=BB239_1064 Depth=1
	s_or_b32 exec_lo, exec_lo, s16
	v_lshlrev_b32_e32 v22, 24, v23
	s_delay_alu instid0(VALU_DEP_2) | instskip(SKIP_1) | instid1(VALU_DEP_3)
	v_lshlrev_b32_e32 v8, 20, v8
	v_lshl_add_u32 v21, v21, 23, 0x3c000000
	v_and_b32_e32 v22, 0x80000000, v22
	s_delay_alu instid0(VALU_DEP_1) | instskip(NEXT) | instid1(VALU_DEP_1)
	v_or3_b32 v8, v8, v22, v21
	v_dual_mov_b32 v22, v9 :: v_dual_mov_b32 v21, v8
.LBB239_2073:                           ;   in Loop: Header=BB239_1064 Depth=1
	s_or_b32 exec_lo, exec_lo, s15
.LBB239_2074:                           ;   in Loop: Header=BB239_1064 Depth=1
	s_delay_alu instid0(SALU_CYCLE_1)
	s_or_b32 exec_lo, exec_lo, s13
.LBB239_2075:                           ;   in Loop: Header=BB239_1064 Depth=1
	s_delay_alu instid0(SALU_CYCLE_1) | instskip(NEXT) | instid1(SALU_CYCLE_1)
	s_or_b32 exec_lo, exec_lo, s10
	s_mov_b32 s13, exec_lo
	v_cmpx_lt_u32_e32 0xffffff, v27
	s_cbranch_execz .LBB239_2083
; %bb.2076:                             ;   in Loop: Header=BB239_1064 Depth=1
	v_lshrrev_b32_e32 v23, 24, v27
	v_dual_mov_b32 v19, s9 :: v_dual_mov_b32 v18, s8
	s_mov_b32 s15, exec_lo
	s_delay_alu instid0(VALU_DEP_2)
	v_cmpx_ne_u32_e32 0x80, v23
	s_cbranch_execz .LBB239_2082
; %bb.2077:                             ;   in Loop: Header=BB239_1064 Depth=1
	s_mov_b32 s10, s8
	v_bfe_u32 v27, v27, 24, 7
	v_dual_mov_b32 v19, s11 :: v_dual_mov_b32 v18, s10
	s_mov_b32 s10, exec_lo
	s_delay_alu instid0(VALU_DEP_2)
	v_cmpx_ne_u32_e32 0x7f, v27
	s_cbranch_execz .LBB239_2081
; %bb.2078:                             ;   in Loop: Header=BB239_1064 Depth=1
	v_and_b32_e32 v8, 7, v23
	v_lshrrev_b32_e32 v18, 3, v27
	s_mov_b32 s16, exec_lo
	v_cmpx_gt_u32_e32 8, v27
; %bb.2079:                             ;   in Loop: Header=BB239_1064 Depth=1
	s_delay_alu instid0(VALU_DEP_3) | instskip(NEXT) | instid1(VALU_DEP_1)
	v_clz_i32_u32_e32 v18, v8
	v_min_u32_e32 v18, 32, v18
	s_delay_alu instid0(VALU_DEP_1) | instskip(SKIP_1) | instid1(VALU_DEP_2)
	v_subrev_nc_u32_e32 v19, 28, v18
	v_sub_nc_u32_e32 v18, 29, v18
	v_lshlrev_b64 v[85:86], v19, v[8:9]
	s_delay_alu instid0(VALU_DEP_1)
	v_and_b32_e32 v8, 7, v85
; %bb.2080:                             ;   in Loop: Header=BB239_1064 Depth=1
	s_or_b32 exec_lo, exec_lo, s16
	v_lshlrev_b32_e32 v19, 24, v23
	s_delay_alu instid0(VALU_DEP_2) | instskip(SKIP_1) | instid1(VALU_DEP_3)
	v_lshlrev_b32_e32 v8, 20, v8
	v_lshl_add_u32 v18, v18, 23, 0x3c000000
	v_and_b32_e32 v19, 0x80000000, v19
	s_delay_alu instid0(VALU_DEP_1)
	v_or3_b32 v19, v8, v19, v18
	v_mov_b32_e32 v18, v9
.LBB239_2081:                           ;   in Loop: Header=BB239_1064 Depth=1
	s_or_b32 exec_lo, exec_lo, s10
.LBB239_2082:                           ;   in Loop: Header=BB239_1064 Depth=1
	s_delay_alu instid0(SALU_CYCLE_1)
	s_or_b32 exec_lo, exec_lo, s15
.LBB239_2083:                           ;   in Loop: Header=BB239_1064 Depth=1
	s_delay_alu instid0(SALU_CYCLE_1) | instskip(SKIP_4) | instid1(VALU_DEP_4)
	s_or_b32 exec_lo, exec_lo, s13
	v_or_b32_e32 v5, v5, v17
	v_or_b32_e32 v4, v4, v16
	;; [unrolled: 1-line block ×4, first 2 shown]
	v_mul_f32_e32 v190, v102, v5
	s_delay_alu instid0(VALU_DEP_4) | instskip(NEXT) | instid1(VALU_DEP_4)
	v_mul_f32_e32 v189, v102, v4
	v_mul_f32_e32 v21, v102, v8
	s_delay_alu instid0(VALU_DEP_4)
	v_mul_f32_e32 v22, v102, v16
	s_and_saveexec_b32 s10, vcc_lo
; %bb.2084:                             ;   in Loop: Header=BB239_1064 Depth=1
	v_cmp_lt_i32_e64 s0, v116, v25
	s_delay_alu instid0(VALU_DEP_1) | instskip(SKIP_1) | instid1(VALU_DEP_1)
	v_cndmask_b32_e64 v189, 0, v189, s0
	v_cmp_lt_i32_e64 s0, v119, v25
	v_cndmask_b32_e64 v190, 0, v190, s0
	v_cmp_lt_i32_e64 s0, v118, v25
	s_delay_alu instid0(VALU_DEP_1) | instskip(SKIP_1) | instid1(VALU_DEP_1)
	v_cndmask_b32_e64 v22, 0, v22, s0
	v_cmp_lt_i32_e64 s0, v117, v25
	v_cndmask_b32_e64 v21, 0, v21, s0
; %bb.2085:                             ;   in Loop: Header=BB239_1064 Depth=1
	s_or_b32 exec_lo, exec_lo, s10
	flat_load_b32 v27, v[14:15] offset:3840
	v_mov_b32_e32 v4, 0
	v_mov_b32_e32 v5, 0
	s_mov_b32 s10, exec_lo
	s_waitcnt vmcnt(0) lgkmcnt(0)
	s_delay_alu instid0(VALU_DEP_1) | instskip(SKIP_1) | instid1(VALU_DEP_2)
	v_dual_mov_b32 v15, v5 :: v_dual_and_b32 v8, 0xff, v27
	v_mov_b32_e32 v14, v4
	v_cmpx_ne_u16_e32 0, v8
	s_cbranch_execz .LBB239_2093
; %bb.2086:                             ;   in Loop: Header=BB239_1064 Depth=1
	v_bfrev_b32_e32 v14, 1
	v_mov_b32_e32 v15, 0
	s_mov_b32 s13, exec_lo
	v_cmpx_ne_u16_e32 0x80, v8
	s_cbranch_execz .LBB239_2092
; %bb.2087:                             ;   in Loop: Header=BB239_1064 Depth=1
	v_mov_b32_e32 v14, 0x7f800001
	v_dual_mov_b32 v15, 0 :: v_dual_and_b32 v16, 0x7f, v27
	s_mov_b32 s15, exec_lo
	s_delay_alu instid0(VALU_DEP_1)
	v_cmpx_ne_u32_e32 0x7f, v16
	s_cbranch_execz .LBB239_2091
; %bb.2088:                             ;   in Loop: Header=BB239_1064 Depth=1
	v_and_b32_e32 v8, 7, v27
	v_lshrrev_b32_e32 v14, 3, v16
	s_mov_b32 s16, exec_lo
	v_cmpx_gt_u32_e32 8, v16
; %bb.2089:                             ;   in Loop: Header=BB239_1064 Depth=1
	s_delay_alu instid0(VALU_DEP_3) | instskip(NEXT) | instid1(VALU_DEP_1)
	v_clz_i32_u32_e32 v14, v8
	v_min_u32_e32 v14, 32, v14
	s_delay_alu instid0(VALU_DEP_1) | instskip(SKIP_1) | instid1(VALU_DEP_2)
	v_subrev_nc_u32_e32 v15, 28, v14
	v_sub_nc_u32_e32 v14, 29, v14
	v_lshlrev_b64 v[15:16], v15, v[8:9]
	s_delay_alu instid0(VALU_DEP_1)
	v_and_b32_e32 v8, 7, v15
; %bb.2090:                             ;   in Loop: Header=BB239_1064 Depth=1
	s_or_b32 exec_lo, exec_lo, s16
	v_lshlrev_b32_e32 v15, 24, v27
	s_delay_alu instid0(VALU_DEP_2) | instskip(SKIP_1) | instid1(VALU_DEP_3)
	v_lshlrev_b32_e32 v8, 20, v8
	v_lshl_add_u32 v14, v14, 23, 0x3c000000
	v_and_b32_e32 v15, 0x80000000, v15
	s_delay_alu instid0(VALU_DEP_1) | instskip(NEXT) | instid1(VALU_DEP_1)
	v_or3_b32 v8, v8, v15, v14
	v_dual_mov_b32 v15, v9 :: v_dual_mov_b32 v14, v8
.LBB239_2091:                           ;   in Loop: Header=BB239_1064 Depth=1
	s_or_b32 exec_lo, exec_lo, s15
.LBB239_2092:                           ;   in Loop: Header=BB239_1064 Depth=1
	s_delay_alu instid0(SALU_CYCLE_1)
	s_or_b32 exec_lo, exec_lo, s13
.LBB239_2093:                           ;   in Loop: Header=BB239_1064 Depth=1
	s_delay_alu instid0(SALU_CYCLE_1) | instskip(SKIP_2) | instid1(VALU_DEP_1)
	s_or_b32 exec_lo, exec_lo, s10
	v_lshrrev_b16 v8, 8, v27
	s_mov_b32 s13, exec_lo
	v_cmpx_ne_u16_e32 0, v8
	s_cbranch_execz .LBB239_2101
; %bb.2094:                             ;   in Loop: Header=BB239_1064 Depth=1
	v_dual_mov_b32 v4, s8 :: v_dual_mov_b32 v5, s9
	s_mov_b32 s15, exec_lo
	v_cmpx_ne_u16_e32 0x80, v8
	s_cbranch_execz .LBB239_2100
; %bb.2095:                             ;   in Loop: Header=BB239_1064 Depth=1
	s_mov_b32 s10, s8
	v_and_b32_e32 v8, 0xffff, v8
	v_dual_mov_b32 v4, s10 :: v_dual_mov_b32 v5, s11
	s_mov_b32 s10, exec_lo
	s_delay_alu instid0(VALU_DEP_2) | instskip(NEXT) | instid1(VALU_DEP_1)
	v_and_b32_e32 v16, 0x7f, v8
	v_cmpx_ne_u32_e32 0x7f, v16
	s_cbranch_execz .LBB239_2099
; %bb.2096:                             ;   in Loop: Header=BB239_1064 Depth=1
	v_and_b32_e32 v8, 7, v8
	v_lshrrev_b32_e32 v4, 3, v16
	s_mov_b32 s16, exec_lo
	v_cmpx_gt_u32_e32 8, v16
; %bb.2097:                             ;   in Loop: Header=BB239_1064 Depth=1
	s_delay_alu instid0(VALU_DEP_3) | instskip(NEXT) | instid1(VALU_DEP_1)
	v_clz_i32_u32_e32 v4, v8
	v_min_u32_e32 v4, 32, v4
	s_delay_alu instid0(VALU_DEP_1) | instskip(SKIP_1) | instid1(VALU_DEP_2)
	v_subrev_nc_u32_e32 v5, 28, v4
	v_sub_nc_u32_e32 v4, 29, v4
	v_lshlrev_b64 v[16:17], v5, v[8:9]
	s_delay_alu instid0(VALU_DEP_1)
	v_and_b32_e32 v8, 7, v16
; %bb.2098:                             ;   in Loop: Header=BB239_1064 Depth=1
	s_or_b32 exec_lo, exec_lo, s16
	v_lshlrev_b32_e32 v5, 16, v27
	s_delay_alu instid0(VALU_DEP_2) | instskip(SKIP_1) | instid1(VALU_DEP_3)
	v_lshlrev_b32_e32 v8, 20, v8
	v_lshl_add_u32 v4, v4, 23, 0x3c000000
	v_and_b32_e32 v5, 0x80000000, v5
	s_delay_alu instid0(VALU_DEP_1)
	v_or3_b32 v5, v8, v5, v4
	v_mov_b32_e32 v4, v9
.LBB239_2099:                           ;   in Loop: Header=BB239_1064 Depth=1
	s_or_b32 exec_lo, exec_lo, s10
.LBB239_2100:                           ;   in Loop: Header=BB239_1064 Depth=1
	s_delay_alu instid0(SALU_CYCLE_1)
	s_or_b32 exec_lo, exec_lo, s15
.LBB239_2101:                           ;   in Loop: Header=BB239_1064 Depth=1
	s_delay_alu instid0(SALU_CYCLE_1) | instskip(SKIP_4) | instid1(VALU_DEP_1)
	s_or_b32 exec_lo, exec_lo, s13
	v_mov_b32_e32 v16, 0
	v_lshrrev_b32_e32 v23, 16, v27
	v_mov_b32_e32 v17, 0
	s_mov_b32 s10, exec_lo
	v_dual_mov_b32 v19, v17 :: v_dual_and_b32 v8, 0xff, v23
	v_mov_b32_e32 v18, v16
	s_delay_alu instid0(VALU_DEP_2)
	v_cmpx_ne_u16_e32 0, v8
	s_cbranch_execz .LBB239_2109
; %bb.2102:                             ;   in Loop: Header=BB239_1064 Depth=1
	v_bfrev_b32_e32 v18, 1
	v_mov_b32_e32 v19, 0
	s_mov_b32 s13, exec_lo
	v_cmpx_ne_u16_e32 0x80, v8
	s_cbranch_execz .LBB239_2108
; %bb.2103:                             ;   in Loop: Header=BB239_1064 Depth=1
	v_mov_b32_e32 v18, 0x7f800001
	v_bfe_u32 v85, v27, 16, 7
	v_mov_b32_e32 v19, 0
	s_mov_b32 s15, exec_lo
	s_delay_alu instid0(VALU_DEP_2)
	v_cmpx_ne_u32_e32 0x7f, v85
	s_cbranch_execz .LBB239_2107
; %bb.2104:                             ;   in Loop: Header=BB239_1064 Depth=1
	v_and_b32_e32 v8, 7, v23
	v_lshrrev_b32_e32 v18, 3, v85
	s_mov_b32 s16, exec_lo
	v_cmpx_gt_u32_e32 8, v85
; %bb.2105:                             ;   in Loop: Header=BB239_1064 Depth=1
	s_delay_alu instid0(VALU_DEP_3) | instskip(NEXT) | instid1(VALU_DEP_1)
	v_clz_i32_u32_e32 v18, v8
	v_min_u32_e32 v18, 32, v18
	s_delay_alu instid0(VALU_DEP_1) | instskip(SKIP_1) | instid1(VALU_DEP_2)
	v_subrev_nc_u32_e32 v19, 28, v18
	v_sub_nc_u32_e32 v18, 29, v18
	v_lshlrev_b64 v[85:86], v19, v[8:9]
	s_delay_alu instid0(VALU_DEP_1)
	v_and_b32_e32 v8, 7, v85
; %bb.2106:                             ;   in Loop: Header=BB239_1064 Depth=1
	s_or_b32 exec_lo, exec_lo, s16
	v_lshlrev_b32_e32 v19, 24, v23
	s_delay_alu instid0(VALU_DEP_2) | instskip(SKIP_1) | instid1(VALU_DEP_3)
	v_lshlrev_b32_e32 v8, 20, v8
	v_lshl_add_u32 v18, v18, 23, 0x3c000000
	v_and_b32_e32 v19, 0x80000000, v19
	s_delay_alu instid0(VALU_DEP_1) | instskip(NEXT) | instid1(VALU_DEP_1)
	v_or3_b32 v8, v8, v19, v18
	v_dual_mov_b32 v19, v9 :: v_dual_mov_b32 v18, v8
.LBB239_2107:                           ;   in Loop: Header=BB239_1064 Depth=1
	s_or_b32 exec_lo, exec_lo, s15
.LBB239_2108:                           ;   in Loop: Header=BB239_1064 Depth=1
	s_delay_alu instid0(SALU_CYCLE_1)
	s_or_b32 exec_lo, exec_lo, s13
.LBB239_2109:                           ;   in Loop: Header=BB239_1064 Depth=1
	s_delay_alu instid0(SALU_CYCLE_1) | instskip(NEXT) | instid1(SALU_CYCLE_1)
	s_or_b32 exec_lo, exec_lo, s10
	s_mov_b32 s13, exec_lo
	v_cmpx_lt_u32_e32 0xffffff, v27
	s_cbranch_execz .LBB239_2117
; %bb.2110:                             ;   in Loop: Header=BB239_1064 Depth=1
	v_lshrrev_b32_e32 v23, 24, v27
	v_dual_mov_b32 v17, s9 :: v_dual_mov_b32 v16, s8
	s_mov_b32 s15, exec_lo
	s_delay_alu instid0(VALU_DEP_2)
	v_cmpx_ne_u32_e32 0x80, v23
	s_cbranch_execz .LBB239_2116
; %bb.2111:                             ;   in Loop: Header=BB239_1064 Depth=1
	s_mov_b32 s10, s8
	v_bfe_u32 v27, v27, 24, 7
	v_dual_mov_b32 v17, s11 :: v_dual_mov_b32 v16, s10
	s_mov_b32 s10, exec_lo
	s_delay_alu instid0(VALU_DEP_2)
	v_cmpx_ne_u32_e32 0x7f, v27
	s_cbranch_execz .LBB239_2115
; %bb.2112:                             ;   in Loop: Header=BB239_1064 Depth=1
	v_and_b32_e32 v8, 7, v23
	v_lshrrev_b32_e32 v16, 3, v27
	s_mov_b32 s16, exec_lo
	v_cmpx_gt_u32_e32 8, v27
; %bb.2113:                             ;   in Loop: Header=BB239_1064 Depth=1
	s_delay_alu instid0(VALU_DEP_3) | instskip(NEXT) | instid1(VALU_DEP_1)
	v_clz_i32_u32_e32 v16, v8
	v_min_u32_e32 v16, 32, v16
	s_delay_alu instid0(VALU_DEP_1) | instskip(SKIP_1) | instid1(VALU_DEP_2)
	v_subrev_nc_u32_e32 v17, 28, v16
	v_sub_nc_u32_e32 v16, 29, v16
	v_lshlrev_b64 v[85:86], v17, v[8:9]
	s_delay_alu instid0(VALU_DEP_1)
	v_and_b32_e32 v8, 7, v85
; %bb.2114:                             ;   in Loop: Header=BB239_1064 Depth=1
	s_or_b32 exec_lo, exec_lo, s16
	v_lshlrev_b32_e32 v17, 24, v23
	s_delay_alu instid0(VALU_DEP_2) | instskip(SKIP_1) | instid1(VALU_DEP_3)
	v_lshlrev_b32_e32 v8, 20, v8
	v_lshl_add_u32 v16, v16, 23, 0x3c000000
	v_and_b32_e32 v17, 0x80000000, v17
	s_delay_alu instid0(VALU_DEP_1)
	v_or3_b32 v17, v8, v17, v16
	v_mov_b32_e32 v16, v9
.LBB239_2115:                           ;   in Loop: Header=BB239_1064 Depth=1
	s_or_b32 exec_lo, exec_lo, s10
.LBB239_2116:                           ;   in Loop: Header=BB239_1064 Depth=1
	s_delay_alu instid0(SALU_CYCLE_1)
	s_or_b32 exec_lo, exec_lo, s15
.LBB239_2117:                           ;   in Loop: Header=BB239_1064 Depth=1
	s_delay_alu instid0(SALU_CYCLE_1) | instskip(SKIP_4) | instid1(VALU_DEP_4)
	s_or_b32 exec_lo, exec_lo, s13
	v_or_b32_e32 v5, v5, v15
	v_or_b32_e32 v4, v4, v14
	;; [unrolled: 1-line block ×4, first 2 shown]
	v_mul_f32_e32 v27, v102, v5
	s_delay_alu instid0(VALU_DEP_4) | instskip(NEXT) | instid1(VALU_DEP_4)
	v_mul_f32_e32 v191, v102, v4
	v_mul_f32_e32 v18, v102, v8
	s_delay_alu instid0(VALU_DEP_4)
	v_mul_f32_e32 v19, v102, v14
	s_and_saveexec_b32 s10, vcc_lo
; %bb.2118:                             ;   in Loop: Header=BB239_1064 Depth=1
	v_cmp_lt_i32_e64 s0, v116, v25
	s_delay_alu instid0(VALU_DEP_1) | instskip(SKIP_1) | instid1(VALU_DEP_1)
	v_cndmask_b32_e64 v191, 0, v191, s0
	v_cmp_lt_i32_e64 s0, v119, v25
	v_cndmask_b32_e64 v27, 0, v27, s0
	v_cmp_lt_i32_e64 s0, v118, v25
	s_delay_alu instid0(VALU_DEP_1) | instskip(SKIP_1) | instid1(VALU_DEP_1)
	v_cndmask_b32_e64 v19, 0, v19, s0
	v_cmp_lt_i32_e64 s0, v117, v25
	v_cndmask_b32_e64 v18, 0, v18, s0
; %bb.2119:                             ;   in Loop: Header=BB239_1064 Depth=1
	s_or_b32 exec_lo, exec_lo, s10
	v_add_co_u32 v4, s0, v12, v96
	s_delay_alu instid0(VALU_DEP_1)
	v_add_co_ci_u32_e64 v5, s0, 0, v13, s0
	s_mov_b32 s10, exec_lo
	flat_load_b32 v23, v[4:5]
	v_mov_b32_e32 v4, 0
	s_waitcnt vmcnt(0) lgkmcnt(0)
	v_dual_mov_b32 v5, 0 :: v_dual_and_b32 v8, 0xff, v23
	s_delay_alu instid0(VALU_DEP_1) | instskip(NEXT) | instid1(VALU_DEP_2)
	v_dual_mov_b32 v13, v5 :: v_dual_mov_b32 v12, v4
	v_cmpx_ne_u16_e32 0, v8
	s_cbranch_execz .LBB239_2127
; %bb.2120:                             ;   in Loop: Header=BB239_1064 Depth=1
	v_bfrev_b32_e32 v12, 1
	v_mov_b32_e32 v13, 0
	s_mov_b32 s13, exec_lo
	v_cmpx_ne_u16_e32 0x80, v8
	s_cbranch_execz .LBB239_2126
; %bb.2121:                             ;   in Loop: Header=BB239_1064 Depth=1
	v_mov_b32_e32 v12, 0x7f800001
	v_dual_mov_b32 v13, 0 :: v_dual_and_b32 v14, 0x7f, v23
	s_mov_b32 s15, exec_lo
	s_delay_alu instid0(VALU_DEP_1)
	v_cmpx_ne_u32_e32 0x7f, v14
	s_cbranch_execz .LBB239_2125
; %bb.2122:                             ;   in Loop: Header=BB239_1064 Depth=1
	v_and_b32_e32 v8, 7, v23
	v_lshrrev_b32_e32 v12, 3, v14
	s_mov_b32 s16, exec_lo
	v_cmpx_gt_u32_e32 8, v14
; %bb.2123:                             ;   in Loop: Header=BB239_1064 Depth=1
	s_delay_alu instid0(VALU_DEP_3) | instskip(NEXT) | instid1(VALU_DEP_1)
	v_clz_i32_u32_e32 v12, v8
	v_min_u32_e32 v12, 32, v12
	s_delay_alu instid0(VALU_DEP_1) | instskip(SKIP_1) | instid1(VALU_DEP_2)
	v_subrev_nc_u32_e32 v13, 28, v12
	v_sub_nc_u32_e32 v12, 29, v12
	v_lshlrev_b64 v[13:14], v13, v[8:9]
	s_delay_alu instid0(VALU_DEP_1)
	v_and_b32_e32 v8, 7, v13
; %bb.2124:                             ;   in Loop: Header=BB239_1064 Depth=1
	s_or_b32 exec_lo, exec_lo, s16
	v_lshlrev_b32_e32 v13, 24, v23
	s_delay_alu instid0(VALU_DEP_2) | instskip(SKIP_1) | instid1(VALU_DEP_3)
	v_lshlrev_b32_e32 v8, 20, v8
	v_lshl_add_u32 v12, v12, 23, 0x3c000000
	v_and_b32_e32 v13, 0x80000000, v13
	s_delay_alu instid0(VALU_DEP_1) | instskip(NEXT) | instid1(VALU_DEP_1)
	v_or3_b32 v8, v8, v13, v12
	v_dual_mov_b32 v13, v9 :: v_dual_mov_b32 v12, v8
.LBB239_2125:                           ;   in Loop: Header=BB239_1064 Depth=1
	s_or_b32 exec_lo, exec_lo, s15
.LBB239_2126:                           ;   in Loop: Header=BB239_1064 Depth=1
	s_delay_alu instid0(SALU_CYCLE_1)
	s_or_b32 exec_lo, exec_lo, s13
.LBB239_2127:                           ;   in Loop: Header=BB239_1064 Depth=1
	s_delay_alu instid0(SALU_CYCLE_1) | instskip(SKIP_2) | instid1(VALU_DEP_1)
	s_or_b32 exec_lo, exec_lo, s10
	v_lshrrev_b16 v8, 8, v23
	s_mov_b32 s13, exec_lo
	v_cmpx_ne_u16_e32 0, v8
	s_cbranch_execz .LBB239_2135
; %bb.2128:                             ;   in Loop: Header=BB239_1064 Depth=1
	v_dual_mov_b32 v4, s8 :: v_dual_mov_b32 v5, s9
	s_mov_b32 s15, exec_lo
	v_cmpx_ne_u16_e32 0x80, v8
	s_cbranch_execz .LBB239_2134
; %bb.2129:                             ;   in Loop: Header=BB239_1064 Depth=1
	s_mov_b32 s10, s8
	v_and_b32_e32 v8, 0xffff, v8
	v_dual_mov_b32 v4, s10 :: v_dual_mov_b32 v5, s11
	s_mov_b32 s10, exec_lo
	s_delay_alu instid0(VALU_DEP_2) | instskip(NEXT) | instid1(VALU_DEP_1)
	v_and_b32_e32 v14, 0x7f, v8
	v_cmpx_ne_u32_e32 0x7f, v14
	s_cbranch_execz .LBB239_2133
; %bb.2130:                             ;   in Loop: Header=BB239_1064 Depth=1
	v_and_b32_e32 v8, 7, v8
	v_lshrrev_b32_e32 v4, 3, v14
	s_mov_b32 s16, exec_lo
	v_cmpx_gt_u32_e32 8, v14
; %bb.2131:                             ;   in Loop: Header=BB239_1064 Depth=1
	s_delay_alu instid0(VALU_DEP_3) | instskip(NEXT) | instid1(VALU_DEP_1)
	v_clz_i32_u32_e32 v4, v8
	v_min_u32_e32 v4, 32, v4
	s_delay_alu instid0(VALU_DEP_1) | instskip(SKIP_1) | instid1(VALU_DEP_2)
	v_subrev_nc_u32_e32 v5, 28, v4
	v_sub_nc_u32_e32 v4, 29, v4
	v_lshlrev_b64 v[14:15], v5, v[8:9]
	s_delay_alu instid0(VALU_DEP_1)
	v_and_b32_e32 v8, 7, v14
; %bb.2132:                             ;   in Loop: Header=BB239_1064 Depth=1
	s_or_b32 exec_lo, exec_lo, s16
	v_lshlrev_b32_e32 v5, 16, v23
	s_delay_alu instid0(VALU_DEP_2) | instskip(SKIP_1) | instid1(VALU_DEP_3)
	v_lshlrev_b32_e32 v8, 20, v8
	v_lshl_add_u32 v4, v4, 23, 0x3c000000
	v_and_b32_e32 v5, 0x80000000, v5
	s_delay_alu instid0(VALU_DEP_1)
	v_or3_b32 v5, v8, v5, v4
	v_mov_b32_e32 v4, v9
.LBB239_2133:                           ;   in Loop: Header=BB239_1064 Depth=1
	s_or_b32 exec_lo, exec_lo, s10
.LBB239_2134:                           ;   in Loop: Header=BB239_1064 Depth=1
	s_delay_alu instid0(SALU_CYCLE_1)
	s_or_b32 exec_lo, exec_lo, s15
.LBB239_2135:                           ;   in Loop: Header=BB239_1064 Depth=1
	s_delay_alu instid0(SALU_CYCLE_1) | instskip(SKIP_4) | instid1(VALU_DEP_1)
	s_or_b32 exec_lo, exec_lo, s13
	v_mov_b32_e32 v14, 0
	v_lshrrev_b32_e32 v85, 16, v23
	v_mov_b32_e32 v15, 0
	s_mov_b32 s10, exec_lo
	v_dual_mov_b32 v17, v15 :: v_dual_and_b32 v8, 0xff, v85
	v_mov_b32_e32 v16, v14
	s_delay_alu instid0(VALU_DEP_2)
	v_cmpx_ne_u16_e32 0, v8
	s_cbranch_execz .LBB239_2143
; %bb.2136:                             ;   in Loop: Header=BB239_1064 Depth=1
	v_bfrev_b32_e32 v16, 1
	v_mov_b32_e32 v17, 0
	s_mov_b32 s13, exec_lo
	v_cmpx_ne_u16_e32 0x80, v8
	s_cbranch_execz .LBB239_2142
; %bb.2137:                             ;   in Loop: Header=BB239_1064 Depth=1
	v_mov_b32_e32 v16, 0x7f800001
	v_bfe_u32 v86, v23, 16, 7
	v_mov_b32_e32 v17, 0
	s_mov_b32 s15, exec_lo
	s_delay_alu instid0(VALU_DEP_2)
	v_cmpx_ne_u32_e32 0x7f, v86
	s_cbranch_execz .LBB239_2141
; %bb.2138:                             ;   in Loop: Header=BB239_1064 Depth=1
	v_and_b32_e32 v8, 7, v85
	v_lshrrev_b32_e32 v16, 3, v86
	s_mov_b32 s16, exec_lo
	v_cmpx_gt_u32_e32 8, v86
	s_cbranch_execz .LBB239_2140
; %bb.2139:                             ;   in Loop: Header=BB239_1064 Depth=1
	v_clz_i32_u32_e32 v16, v8
	s_delay_alu instid0(VALU_DEP_1) | instskip(NEXT) | instid1(VALU_DEP_1)
	v_min_u32_e32 v16, 32, v16
	v_subrev_nc_u32_e32 v17, 28, v16
	v_sub_nc_u32_e32 v16, 29, v16
	s_delay_alu instid0(VALU_DEP_2)
	v_lshlrev_b64 v[86:87], v17, v[8:9]
	scratch_load_b32 v87, off, s32 offset:372 ; 4-byte Folded Reload
	v_and_b32_e32 v8, 7, v86
.LBB239_2140:                           ;   in Loop: Header=BB239_1064 Depth=1
	s_or_b32 exec_lo, exec_lo, s16
	v_lshlrev_b32_e32 v17, 24, v85
	s_delay_alu instid0(VALU_DEP_2) | instskip(SKIP_1) | instid1(VALU_DEP_3)
	v_lshlrev_b32_e32 v8, 20, v8
	v_lshl_add_u32 v16, v16, 23, 0x3c000000
	v_and_b32_e32 v17, 0x80000000, v17
	s_delay_alu instid0(VALU_DEP_1) | instskip(NEXT) | instid1(VALU_DEP_1)
	v_or3_b32 v8, v8, v17, v16
	v_dual_mov_b32 v17, v9 :: v_dual_mov_b32 v16, v8
.LBB239_2141:                           ;   in Loop: Header=BB239_1064 Depth=1
	s_or_b32 exec_lo, exec_lo, s15
.LBB239_2142:                           ;   in Loop: Header=BB239_1064 Depth=1
	s_delay_alu instid0(SALU_CYCLE_1)
	s_or_b32 exec_lo, exec_lo, s13
.LBB239_2143:                           ;   in Loop: Header=BB239_1064 Depth=1
	s_delay_alu instid0(SALU_CYCLE_1) | instskip(NEXT) | instid1(SALU_CYCLE_1)
	s_or_b32 exec_lo, exec_lo, s10
	s_mov_b32 s13, exec_lo
	v_cmpx_lt_u32_e32 0xffffff, v23
	s_cbranch_execz .LBB239_2151
; %bb.2144:                             ;   in Loop: Header=BB239_1064 Depth=1
	v_lshrrev_b32_e32 v85, 24, v23
	v_dual_mov_b32 v15, s9 :: v_dual_mov_b32 v14, s8
	s_mov_b32 s15, exec_lo
	s_delay_alu instid0(VALU_DEP_2)
	v_cmpx_ne_u32_e32 0x80, v85
	s_cbranch_execz .LBB239_2150
; %bb.2145:                             ;   in Loop: Header=BB239_1064 Depth=1
	s_mov_b32 s10, s8
	v_bfe_u32 v23, v23, 24, 7
	v_dual_mov_b32 v15, s11 :: v_dual_mov_b32 v14, s10
	s_mov_b32 s10, exec_lo
	s_delay_alu instid0(VALU_DEP_2)
	v_cmpx_ne_u32_e32 0x7f, v23
	s_cbranch_execz .LBB239_2149
; %bb.2146:                             ;   in Loop: Header=BB239_1064 Depth=1
	v_and_b32_e32 v8, 7, v85
	v_lshrrev_b32_e32 v14, 3, v23
	s_mov_b32 s16, exec_lo
	v_cmpx_gt_u32_e32 8, v23
	s_cbranch_execz .LBB239_2148
; %bb.2147:                             ;   in Loop: Header=BB239_1064 Depth=1
	v_clz_i32_u32_e32 v14, v8
	s_delay_alu instid0(VALU_DEP_1) | instskip(NEXT) | instid1(VALU_DEP_1)
	v_min_u32_e32 v14, 32, v14
	v_subrev_nc_u32_e32 v15, 28, v14
	v_sub_nc_u32_e32 v14, 29, v14
	s_waitcnt vmcnt(0)
	s_delay_alu instid0(VALU_DEP_2)
	v_lshlrev_b64 v[86:87], v15, v[8:9]
	scratch_load_b32 v87, off, s32 offset:372 ; 4-byte Folded Reload
	v_and_b32_e32 v8, 7, v86
.LBB239_2148:                           ;   in Loop: Header=BB239_1064 Depth=1
	s_or_b32 exec_lo, exec_lo, s16
	v_lshlrev_b32_e32 v15, 24, v85
	s_delay_alu instid0(VALU_DEP_2) | instskip(SKIP_1) | instid1(VALU_DEP_3)
	v_lshlrev_b32_e32 v8, 20, v8
	v_lshl_add_u32 v14, v14, 23, 0x3c000000
	v_and_b32_e32 v15, 0x80000000, v15
	s_delay_alu instid0(VALU_DEP_1)
	v_or3_b32 v15, v8, v15, v14
	v_mov_b32_e32 v14, v9
.LBB239_2149:                           ;   in Loop: Header=BB239_1064 Depth=1
	s_or_b32 exec_lo, exec_lo, s10
.LBB239_2150:                           ;   in Loop: Header=BB239_1064 Depth=1
	s_delay_alu instid0(SALU_CYCLE_1)
	s_or_b32 exec_lo, exec_lo, s15
.LBB239_2151:                           ;   in Loop: Header=BB239_1064 Depth=1
	s_delay_alu instid0(SALU_CYCLE_1) | instskip(SKIP_4) | instid1(VALU_DEP_4)
	s_or_b32 exec_lo, exec_lo, s13
	v_or_b32_e32 v5, v5, v13
	v_or_b32_e32 v4, v4, v12
	;; [unrolled: 1-line block ×4, first 2 shown]
	v_mul_f32_e32 v12, v102, v5
	s_delay_alu instid0(VALU_DEP_4) | instskip(NEXT) | instid1(VALU_DEP_4)
	v_mul_f32_e32 v8, v102, v4
	v_mul_f32_e32 v4, v102, v13
	s_delay_alu instid0(VALU_DEP_4)
	v_mul_f32_e32 v5, v102, v14
	s_and_saveexec_b32 s0, vcc_lo
	s_cbranch_execz .LBB239_1062
; %bb.2152:                             ;   in Loop: Header=BB239_1064 Depth=1
	v_cmp_lt_i32_e32 vcc_lo, v116, v25
	v_cndmask_b32_e32 v8, 0, v8, vcc_lo
	v_cmp_lt_i32_e32 vcc_lo, v119, v25
	v_cndmask_b32_e32 v12, 0, v12, vcc_lo
	;; [unrolled: 2-line block ×4, first 2 shown]
	s_branch .LBB239_1062
.LBB239_2153:
	s_or_b32 exec_lo, exec_lo, s5
	s_clause 0x1
	scratch_load_b32 v86, off, s32 offset:380
	scratch_load_b32 v87, off, s32 offset:388
.LBB239_2154:
	s_or_b32 exec_lo, exec_lo, s3
	ds_bpermute_b32 v0, v24, v83
	ds_bpermute_b32 v2, v24, v82
	;; [unrolled: 1-line block ×17, first 2 shown]
	s_waitcnt vmcnt(0) lgkmcnt(0)
	s_waitcnt_vscnt null, 0x0
	s_barrier
	buffer_gl0_inv
	v_add_f32_e32 v0, v83, v0
	v_dual_add_f32 v2, v82, v2 :: v_dual_add_f32 v3, v81, v3
	v_add_f32_e32 v4, v80, v4
	v_dual_add_f32 v6, v70, v6 :: v_dual_add_f32 v1, v84, v1
	v_add_f32_e32 v5, v71, v5
	v_add_f32_e32 v7, v69, v7
	ds_bpermute_b32 v17, v26, v0
	ds_bpermute_b32 v19, v26, v2
	;; [unrolled: 1-line block ×6, first 2 shown]
	v_dual_add_f32 v8, v68, v8 :: v_dual_add_f32 v9, v67, v9
	v_dual_add_f32 v12, v64, v12 :: v_dual_add_f32 v13, v55, v13
	v_add_f32_e32 v14, v54, v14
	ds_bpermute_b32 v18, v26, v1
	ds_bpermute_b32 v25, v26, v7
	;; [unrolled: 1-line block ×3, first 2 shown]
	v_dual_add_f32 v10, v66, v10 :: v_dual_add_f32 v11, v65, v11
	ds_bpermute_b32 v30, v26, v9
	v_dual_add_f32 v15, v53, v15 :: v_dual_add_f32 v16, v52, v16
	ds_bpermute_b32 v52, v24, v35
	s_waitcnt lgkmcnt(10)
	v_add_f32_e32 v0, v0, v17
	ds_bpermute_b32 v17, v26, v12
	s_waitcnt lgkmcnt(9)
	v_dual_add_f32 v2, v2, v19 :: v_dual_add_f32 v3, v3, v20
	ds_bpermute_b32 v64, v26, v14
	s_waitcnt lgkmcnt(7)
	v_dual_add_f32 v5, v5, v22 :: v_dual_add_f32 v4, v4, v21
	v_add_f32_e32 v6, v6, v23
	ds_bpermute_b32 v19, v24, v51
	ds_bpermute_b32 v20, v24, v50
	;; [unrolled: 1-line block ×4, first 2 shown]
	s_waitcnt lgkmcnt(9)
	v_add_f32_e32 v7, v7, v25
	ds_bpermute_b32 v53, v24, v34
	ds_bpermute_b32 v54, v26, v10
	;; [unrolled: 1-line block ×4, first 2 shown]
	v_add_f32_e32 v1, v1, v18
	ds_bpermute_b32 v18, v26, v13
	s_waitcnt lgkmcnt(13)
	v_add_f32_e32 v8, v8, v27
	ds_bpermute_b32 v25, v24, v38
	s_waitcnt lgkmcnt(11)
	v_add_f32_e32 v12, v12, v17
	ds_bpermute_b32 v27, v24, v37
	v_add_f32_e32 v35, v35, v52
	s_waitcnt lgkmcnt(11)
	v_dual_add_f32 v14, v14, v64 :: v_dual_add_f32 v9, v9, v30
	ds_bpermute_b32 v17, v26, v15
	ds_bpermute_b32 v30, v24, v36
	s_waitcnt lgkmcnt(11)
	v_dual_add_f32 v19, v51, v19 :: v_dual_add_f32 v20, v50, v20
	s_waitcnt lgkmcnt(10)
	v_add_f32_e32 v21, v49, v21
	s_waitcnt lgkmcnt(9)
	v_add_f32_e32 v23, v39, v23
	ds_bpermute_b32 v49, v24, v31
	s_waitcnt lgkmcnt(9)
	v_add_f32_e32 v34, v34, v53
	s_waitcnt lgkmcnt(7)
	v_dual_add_f32 v10, v10, v54 :: v_dual_add_f32 v11, v11, v55
	s_waitcnt lgkmcnt(6)
	v_add_f32_e32 v22, v48, v22
	ds_bpermute_b32 v39, v24, v33
	ds_bpermute_b32 v48, v24, v32
	;; [unrolled: 1-line block ×3, first 2 shown]
	s_waitcnt lgkmcnt(7)
	v_add_f32_e32 v25, v38, v25
	ds_bpermute_b32 v24, v24, v28
	ds_bpermute_b32 v51, v26, v19
	;; [unrolled: 1-line block ×5, first 2 shown]
	s_waitcnt lgkmcnt(9)
	v_dual_add_f32 v27, v37, v27 :: v_dual_add_f32 v30, v36, v30
	v_add_f32_e32 v13, v13, v18
	ds_bpermute_b32 v18, v26, v16
	ds_bpermute_b32 v54, v26, v20
	;; [unrolled: 1-line block ×3, first 2 shown]
	s_waitcnt lgkmcnt(11)
	v_add_f32_e32 v31, v31, v49
	ds_bpermute_b32 v36, v26, v25
	ds_bpermute_b32 v37, v26, v27
	v_add_f32_e32 v15, v15, v17
	ds_bpermute_b32 v38, v26, v30
	s_waitcnt lgkmcnt(12)
	v_dual_add_f32 v33, v33, v39 :: v_dual_add_f32 v32, v32, v48
	s_waitcnt lgkmcnt(11)
	v_add_f32_e32 v39, v29, v50
	ds_bpermute_b32 v52, v26, v35
	s_waitcnt lgkmcnt(11)
	v_add_f32_e32 v48, v28, v24
	ds_bpermute_b32 v50, v26, v31
	s_waitcnt lgkmcnt(11)
	v_add_f32_e32 v17, v19, v51
	s_waitcnt lgkmcnt(10)
	v_add_f32_e32 v19, v21, v55
	;; [unrolled: 2-line block ×4, first 2 shown]
	s_clause 0x1
	scratch_load_b32 v23, off, s32 offset:920
	scratch_load_b32 v34, off, s32 offset:940
	ds_bpermute_b32 v29, v26, v33
	ds_bpermute_b32 v49, v26, v32
	;; [unrolled: 1-line block ×3, first 2 shown]
	s_load_b32 s3, s[6:7], 0x0
	s_waitcnt lgkmcnt(0)
	v_add_f32_e32 v16, v16, v18
	v_add_f32_e32 v18, v20, v54
	;; [unrolled: 1-line block ×3, first 2 shown]
	ds_bpermute_b32 v66, v26, v39
	v_add_f32_e32 v22, v25, v36
	v_dual_add_f32 v24, v27, v37 :: v_dual_add_f32 v25, v30, v38
	v_add_f32_e32 v26, v35, v52
	s_mov_b32 s0, exec_lo
	v_add_f32_e32 v31, v31, v50
	v_add_f32_e32 v29, v33, v29
	;; [unrolled: 1-line block ×3, first 2 shown]
	s_waitcnt lgkmcnt(0)
	v_dual_add_f32 v33, v48, v67 :: v_dual_add_f32 v32, v39, v66
	s_waitcnt vmcnt(1)
	v_and_b32_e32 v27, 0x3c3, v23
	v_lshrrev_b32_e32 v23, 2, v86
	s_waitcnt vmcnt(0)
	v_lshl_add_u32 v34, v34, 10, s3
	s_delay_alu instid0(VALU_DEP_3)
	v_cmpx_eq_u32_e32 64, v27
	s_cbranch_execz .LBB239_2156
; %bb.2155:
	v_lshlrev_b32_e32 v27, 2, v23
	s_delay_alu instid0(VALU_DEP_1)
	v_add3_u32 v27, v34, v27, 0xfffff800
	ds_store_2addr_b32 v27, v0, v1 offset1:8
	ds_store_2addr_b32 v27, v2, v3 offset0:16 offset1:24
	ds_store_2addr_b32 v27, v4, v5 offset0:32 offset1:40
	;; [unrolled: 1-line block ×15, first 2 shown]
.LBB239_2156:
	s_or_b32 exec_lo, exec_lo, s0
	scratch_load_b32 v27, off, s32 offset:920 ; 4-byte Folded Reload
	v_cmp_eq_u32_e32 vcc_lo, 0, v87
	s_mov_b32 s5, exec_lo
	s_waitcnt vmcnt(0) lgkmcnt(0)
	s_barrier
	buffer_gl0_inv
	v_cmpx_gt_u32_e32 64, v27
	s_cbranch_execz .LBB239_2191
; %bb.2157:
	s_and_saveexec_b32 s0, vcc_lo
	s_cbranch_execnz .LBB239_2231
; %bb.2158:
	s_or_b32 exec_lo, exec_lo, s0
	s_and_saveexec_b32 s0, vcc_lo
	s_cbranch_execnz .LBB239_2232
.LBB239_2159:
	s_or_b32 exec_lo, exec_lo, s0
	s_and_saveexec_b32 s0, vcc_lo
	s_cbranch_execnz .LBB239_2233
.LBB239_2160:
	s_or_b32 exec_lo, exec_lo, s0
	s_and_saveexec_b32 s0, vcc_lo
	s_cbranch_execnz .LBB239_2234
.LBB239_2161:
	s_or_b32 exec_lo, exec_lo, s0
	s_and_saveexec_b32 s0, vcc_lo
	s_cbranch_execnz .LBB239_2235
.LBB239_2162:
	s_or_b32 exec_lo, exec_lo, s0
	s_and_saveexec_b32 s0, vcc_lo
	s_cbranch_execnz .LBB239_2236
.LBB239_2163:
	s_or_b32 exec_lo, exec_lo, s0
	s_and_saveexec_b32 s0, vcc_lo
	s_cbranch_execnz .LBB239_2237
.LBB239_2164:
	s_or_b32 exec_lo, exec_lo, s0
	s_and_saveexec_b32 s0, vcc_lo
	s_cbranch_execnz .LBB239_2238
.LBB239_2165:
	s_or_b32 exec_lo, exec_lo, s0
	s_and_saveexec_b32 s0, vcc_lo
	s_cbranch_execnz .LBB239_2239
.LBB239_2166:
	s_or_b32 exec_lo, exec_lo, s0
	s_and_saveexec_b32 s0, vcc_lo
	s_cbranch_execnz .LBB239_2240
.LBB239_2167:
	s_or_b32 exec_lo, exec_lo, s0
	s_and_saveexec_b32 s0, vcc_lo
	s_cbranch_execnz .LBB239_2241
.LBB239_2168:
	s_or_b32 exec_lo, exec_lo, s0
	s_and_saveexec_b32 s0, vcc_lo
	s_cbranch_execnz .LBB239_2242
.LBB239_2169:
	s_or_b32 exec_lo, exec_lo, s0
	s_and_saveexec_b32 s0, vcc_lo
	s_cbranch_execnz .LBB239_2243
.LBB239_2170:
	s_or_b32 exec_lo, exec_lo, s0
	s_and_saveexec_b32 s0, vcc_lo
	s_cbranch_execnz .LBB239_2244
.LBB239_2171:
	s_or_b32 exec_lo, exec_lo, s0
	s_and_saveexec_b32 s0, vcc_lo
	s_cbranch_execnz .LBB239_2245
.LBB239_2172:
	s_or_b32 exec_lo, exec_lo, s0
	s_and_saveexec_b32 s0, vcc_lo
	s_cbranch_execnz .LBB239_2246
.LBB239_2173:
	s_or_b32 exec_lo, exec_lo, s0
	s_and_saveexec_b32 s0, vcc_lo
	s_cbranch_execnz .LBB239_2247
.LBB239_2174:
	s_or_b32 exec_lo, exec_lo, s0
	s_and_saveexec_b32 s0, vcc_lo
	s_cbranch_execnz .LBB239_2248
.LBB239_2175:
	s_or_b32 exec_lo, exec_lo, s0
	s_and_saveexec_b32 s0, vcc_lo
	s_cbranch_execnz .LBB239_2249
.LBB239_2176:
	s_or_b32 exec_lo, exec_lo, s0
	s_and_saveexec_b32 s0, vcc_lo
	s_cbranch_execnz .LBB239_2250
.LBB239_2177:
	s_or_b32 exec_lo, exec_lo, s0
	s_and_saveexec_b32 s0, vcc_lo
	s_cbranch_execnz .LBB239_2251
.LBB239_2178:
	s_or_b32 exec_lo, exec_lo, s0
	s_and_saveexec_b32 s0, vcc_lo
	s_cbranch_execnz .LBB239_2252
.LBB239_2179:
	s_or_b32 exec_lo, exec_lo, s0
	s_and_saveexec_b32 s0, vcc_lo
	s_cbranch_execnz .LBB239_2253
.LBB239_2180:
	s_or_b32 exec_lo, exec_lo, s0
	s_and_saveexec_b32 s0, vcc_lo
	s_cbranch_execnz .LBB239_2254
.LBB239_2181:
	s_or_b32 exec_lo, exec_lo, s0
	s_and_saveexec_b32 s0, vcc_lo
	s_cbranch_execnz .LBB239_2255
.LBB239_2182:
	s_or_b32 exec_lo, exec_lo, s0
	s_and_saveexec_b32 s0, vcc_lo
	s_cbranch_execnz .LBB239_2256
.LBB239_2183:
	s_or_b32 exec_lo, exec_lo, s0
	s_and_saveexec_b32 s0, vcc_lo
	s_cbranch_execnz .LBB239_2257
.LBB239_2184:
	s_or_b32 exec_lo, exec_lo, s0
	s_and_saveexec_b32 s0, vcc_lo
	s_cbranch_execnz .LBB239_2258
.LBB239_2185:
	s_or_b32 exec_lo, exec_lo, s0
	s_and_saveexec_b32 s0, vcc_lo
	s_cbranch_execnz .LBB239_2259
.LBB239_2186:
	s_or_b32 exec_lo, exec_lo, s0
	s_and_saveexec_b32 s0, vcc_lo
	s_cbranch_execnz .LBB239_2260
.LBB239_2187:
	s_or_b32 exec_lo, exec_lo, s0
	s_and_saveexec_b32 s0, vcc_lo
	s_cbranch_execnz .LBB239_2261
.LBB239_2188:
	s_or_b32 exec_lo, exec_lo, s0
	s_and_saveexec_b32 s0, vcc_lo
	s_cbranch_execz .LBB239_2190
.LBB239_2189:
	v_lshl_add_u32 v27, v23, 2, v34
	ds_load_b32 v27, v27 offset:992
	s_waitcnt lgkmcnt(0)
	v_add_f32_e32 v33, v27, v33
.LBB239_2190:
	s_or_b32 exec_lo, exec_lo, s0
.LBB239_2191:
	s_delay_alu instid0(SALU_CYCLE_1)
	s_or_b32 exec_lo, exec_lo, s5
	scratch_load_b32 v27, off, s32 offset:920 ; 4-byte Folded Reload
	s_mov_b32 s5, exec_lo
	s_waitcnt vmcnt(0)
	s_barrier
	buffer_gl0_inv
	v_and_b32_e32 v27, 0x3e3, v27
	s_delay_alu instid0(VALU_DEP_1)
	v_cmpx_eq_u32_e32 32, v27
	s_cbranch_execz .LBB239_2193
; %bb.2192:
	v_lshl_add_u32 v35, v23, 2, s3
	ds_store_2addr_b32 v35, v0, v1 offset1:8
	ds_store_2addr_b32 v35, v2, v3 offset0:16 offset1:24
	ds_store_2addr_b32 v35, v4, v5 offset0:32 offset1:40
	;; [unrolled: 1-line block ×15, first 2 shown]
.LBB239_2193:
	s_or_b32 exec_lo, exec_lo, s5
	scratch_load_b32 v35, off, s32 offset:920 ; 4-byte Folded Reload
	s_mov_b32 s3, exec_lo
	s_waitcnt vmcnt(0) lgkmcnt(0)
	s_barrier
	buffer_gl0_inv
	v_cmpx_gt_u32_e32 32, v35
	s_cbranch_execz .LBB239_2228
; %bb.2194:
	v_lshl_add_u32 v23, v23, 2, v34
	s_and_saveexec_b32 s0, vcc_lo
	s_cbranch_execnz .LBB239_2262
; %bb.2195:
	s_or_b32 exec_lo, exec_lo, s0
	s_and_saveexec_b32 s0, vcc_lo
	s_cbranch_execnz .LBB239_2263
.LBB239_2196:
	s_or_b32 exec_lo, exec_lo, s0
	s_and_saveexec_b32 s0, vcc_lo
	s_cbranch_execnz .LBB239_2264
.LBB239_2197:
	s_or_b32 exec_lo, exec_lo, s0
	s_and_saveexec_b32 s0, vcc_lo
	s_cbranch_execnz .LBB239_2265
.LBB239_2198:
	s_or_b32 exec_lo, exec_lo, s0
	s_and_saveexec_b32 s0, vcc_lo
	s_cbranch_execnz .LBB239_2266
.LBB239_2199:
	s_or_b32 exec_lo, exec_lo, s0
	s_and_saveexec_b32 s0, vcc_lo
	s_cbranch_execnz .LBB239_2267
.LBB239_2200:
	s_or_b32 exec_lo, exec_lo, s0
	s_and_saveexec_b32 s0, vcc_lo
	s_cbranch_execnz .LBB239_2268
.LBB239_2201:
	s_or_b32 exec_lo, exec_lo, s0
	s_and_saveexec_b32 s0, vcc_lo
	s_cbranch_execnz .LBB239_2269
.LBB239_2202:
	s_or_b32 exec_lo, exec_lo, s0
	s_and_saveexec_b32 s0, vcc_lo
	s_cbranch_execnz .LBB239_2270
.LBB239_2203:
	s_or_b32 exec_lo, exec_lo, s0
	s_and_saveexec_b32 s0, vcc_lo
	s_cbranch_execnz .LBB239_2271
.LBB239_2204:
	s_or_b32 exec_lo, exec_lo, s0
	s_and_saveexec_b32 s0, vcc_lo
	s_cbranch_execnz .LBB239_2272
.LBB239_2205:
	s_or_b32 exec_lo, exec_lo, s0
	s_and_saveexec_b32 s0, vcc_lo
	s_cbranch_execnz .LBB239_2273
.LBB239_2206:
	s_or_b32 exec_lo, exec_lo, s0
	s_and_saveexec_b32 s0, vcc_lo
	s_cbranch_execnz .LBB239_2274
.LBB239_2207:
	s_or_b32 exec_lo, exec_lo, s0
	s_and_saveexec_b32 s0, vcc_lo
	s_cbranch_execnz .LBB239_2275
.LBB239_2208:
	s_or_b32 exec_lo, exec_lo, s0
	s_and_saveexec_b32 s0, vcc_lo
	s_cbranch_execnz .LBB239_2276
.LBB239_2209:
	s_or_b32 exec_lo, exec_lo, s0
	s_and_saveexec_b32 s0, vcc_lo
	s_cbranch_execnz .LBB239_2277
.LBB239_2210:
	s_or_b32 exec_lo, exec_lo, s0
	s_and_saveexec_b32 s0, vcc_lo
	s_cbranch_execnz .LBB239_2278
.LBB239_2211:
	s_or_b32 exec_lo, exec_lo, s0
	s_and_saveexec_b32 s0, vcc_lo
	s_cbranch_execnz .LBB239_2279
.LBB239_2212:
	s_or_b32 exec_lo, exec_lo, s0
	s_and_saveexec_b32 s0, vcc_lo
	s_cbranch_execnz .LBB239_2280
.LBB239_2213:
	s_or_b32 exec_lo, exec_lo, s0
	s_and_saveexec_b32 s0, vcc_lo
	s_cbranch_execnz .LBB239_2281
.LBB239_2214:
	s_or_b32 exec_lo, exec_lo, s0
	s_and_saveexec_b32 s0, vcc_lo
	s_cbranch_execnz .LBB239_2282
.LBB239_2215:
	s_or_b32 exec_lo, exec_lo, s0
	s_and_saveexec_b32 s0, vcc_lo
	s_cbranch_execnz .LBB239_2283
.LBB239_2216:
	s_or_b32 exec_lo, exec_lo, s0
	s_and_saveexec_b32 s0, vcc_lo
	s_cbranch_execnz .LBB239_2284
.LBB239_2217:
	s_or_b32 exec_lo, exec_lo, s0
	s_and_saveexec_b32 s0, vcc_lo
	s_cbranch_execnz .LBB239_2285
.LBB239_2218:
	s_or_b32 exec_lo, exec_lo, s0
	s_and_saveexec_b32 s0, vcc_lo
	s_cbranch_execnz .LBB239_2286
.LBB239_2219:
	s_or_b32 exec_lo, exec_lo, s0
	s_and_saveexec_b32 s0, vcc_lo
	s_cbranch_execnz .LBB239_2287
.LBB239_2220:
	s_or_b32 exec_lo, exec_lo, s0
	s_and_saveexec_b32 s0, vcc_lo
	s_cbranch_execnz .LBB239_2288
.LBB239_2221:
	s_or_b32 exec_lo, exec_lo, s0
	s_and_saveexec_b32 s0, vcc_lo
	s_cbranch_execnz .LBB239_2289
.LBB239_2222:
	s_or_b32 exec_lo, exec_lo, s0
	s_and_saveexec_b32 s0, vcc_lo
	s_cbranch_execnz .LBB239_2290
.LBB239_2223:
	s_or_b32 exec_lo, exec_lo, s0
	s_and_saveexec_b32 s0, vcc_lo
	s_cbranch_execnz .LBB239_2291
.LBB239_2224:
	s_or_b32 exec_lo, exec_lo, s0
	s_and_saveexec_b32 s0, vcc_lo
	s_cbranch_execnz .LBB239_2292
.LBB239_2225:
	s_or_b32 exec_lo, exec_lo, s0
	s_and_saveexec_b32 s0, vcc_lo
	s_cbranch_execz .LBB239_2227
.LBB239_2226:
	ds_load_b32 v23, v23 offset:992
	s_waitcnt lgkmcnt(0)
	v_add_f32_e32 v33, v23, v33
.LBB239_2227:
	s_or_b32 exec_lo, exec_lo, s0
.LBB239_2228:
	s_delay_alu instid0(SALU_CYCLE_1)
	s_or_b32 exec_lo, exec_lo, s3
	v_cmp_eq_u32_e32 vcc_lo, 0, v27
	s_barrier
	buffer_gl0_inv
	s_and_b32 exec_lo, exec_lo, vcc_lo
	s_cbranch_execz .LBB239_2230
; %bb.2229:
	s_clause 0x2
	scratch_load_b32 v23, off, s32 offset:948
	scratch_load_b32 v27, off, s32 offset:944
	;; [unrolled: 1-line block ×3, first 2 shown]
	s_lshl_b32 s0, s2, 8
	s_mul_i32 s2, s4, s1
	s_lshl_b32 s4, s14, 8
	s_ashr_i32 s3, s2, 31
	s_ashr_i32 s5, s4, 31
	;; [unrolled: 1-line block ×3, first 2 shown]
	s_lshl_b64 s[2:3], s[2:3], 2
	s_lshl_b64 s[4:5], s[4:5], 2
	;; [unrolled: 1-line block ×3, first 2 shown]
	s_add_u32 s2, s4, s2
	s_addc_u32 s3, s5, s3
	s_add_u32 s0, s2, s0
	s_addc_u32 s1, s3, s1
	s_waitcnt vmcnt(2)
	v_add_co_u32 v23, vcc_lo, s0, v23
	s_waitcnt vmcnt(1)
	v_add_co_ci_u32_e32 v27, vcc_lo, s1, v27, vcc_lo
	s_waitcnt vmcnt(0)
	s_delay_alu instid0(VALU_DEP_2) | instskip(NEXT) | instid1(VALU_DEP_2)
	v_add_co_u32 v34, vcc_lo, v23, v34
	v_add_co_ci_u32_e32 v35, vcc_lo, 0, v27, vcc_lo
	s_clause 0x1f
	flat_store_b32 v[34:35], v0
	flat_store_b32 v[34:35], v1 offset:32
	flat_store_b32 v[34:35], v2 offset:64
	;; [unrolled: 1-line block ×31, first 2 shown]
.LBB239_2230:
	s_or_b32 exec_lo, exec_lo, s20
	s_clause 0x1f
	scratch_load_b32 v191, off, s32 offset:8
	scratch_load_b32 v190, off, s32 offset:12
	;; [unrolled: 1-line block ×32, first 2 shown]
	s_clause 0x1f
	scratch_load_b32 v127, off, s32 offset:136
	scratch_load_b32 v126, off, s32 offset:140
	;; [unrolled: 1-line block ×32, first 2 shown]
	s_clause 0xf
	scratch_load_b32 v63, off, s32 offset:264
	scratch_load_b32 v62, off, s32 offset:268
	;; [unrolled: 1-line block ×16, first 2 shown]
	s_waitcnt vmcnt(0) lgkmcnt(0)
	s_setpc_b64 s[30:31]
.LBB239_2231:
	v_lshl_add_u32 v27, v23, 2, v34
	ds_load_b32 v27, v27
	s_waitcnt lgkmcnt(0)
	v_add_f32_e32 v0, v27, v0
	s_or_b32 exec_lo, exec_lo, s0
	s_and_saveexec_b32 s0, vcc_lo
	s_cbranch_execz .LBB239_2159
.LBB239_2232:
	v_lshl_add_u32 v27, v23, 2, v34
	ds_load_b32 v27, v27 offset:32
	s_waitcnt lgkmcnt(0)
	v_add_f32_e32 v1, v27, v1
	s_or_b32 exec_lo, exec_lo, s0
	s_and_saveexec_b32 s0, vcc_lo
	s_cbranch_execz .LBB239_2160
.LBB239_2233:
	v_lshl_add_u32 v27, v23, 2, v34
	ds_load_b32 v27, v27 offset:64
	s_waitcnt lgkmcnt(0)
	v_add_f32_e32 v2, v27, v2
	s_or_b32 exec_lo, exec_lo, s0
	s_and_saveexec_b32 s0, vcc_lo
	s_cbranch_execz .LBB239_2161
.LBB239_2234:
	v_lshl_add_u32 v27, v23, 2, v34
	ds_load_b32 v27, v27 offset:96
	s_waitcnt lgkmcnt(0)
	v_add_f32_e32 v3, v27, v3
	s_or_b32 exec_lo, exec_lo, s0
	s_and_saveexec_b32 s0, vcc_lo
	s_cbranch_execz .LBB239_2162
.LBB239_2235:
	v_lshl_add_u32 v27, v23, 2, v34
	ds_load_b32 v27, v27 offset:128
	s_waitcnt lgkmcnt(0)
	v_add_f32_e32 v4, v27, v4
	s_or_b32 exec_lo, exec_lo, s0
	s_and_saveexec_b32 s0, vcc_lo
	s_cbranch_execz .LBB239_2163
.LBB239_2236:
	v_lshl_add_u32 v27, v23, 2, v34
	ds_load_b32 v27, v27 offset:160
	s_waitcnt lgkmcnt(0)
	v_add_f32_e32 v5, v27, v5
	s_or_b32 exec_lo, exec_lo, s0
	s_and_saveexec_b32 s0, vcc_lo
	s_cbranch_execz .LBB239_2164
.LBB239_2237:
	v_lshl_add_u32 v27, v23, 2, v34
	ds_load_b32 v27, v27 offset:192
	s_waitcnt lgkmcnt(0)
	v_add_f32_e32 v6, v27, v6
	s_or_b32 exec_lo, exec_lo, s0
	s_and_saveexec_b32 s0, vcc_lo
	s_cbranch_execz .LBB239_2165
.LBB239_2238:
	v_lshl_add_u32 v27, v23, 2, v34
	ds_load_b32 v27, v27 offset:224
	s_waitcnt lgkmcnt(0)
	v_add_f32_e32 v7, v27, v7
	s_or_b32 exec_lo, exec_lo, s0
	s_and_saveexec_b32 s0, vcc_lo
	s_cbranch_execz .LBB239_2166
.LBB239_2239:
	v_lshl_add_u32 v27, v23, 2, v34
	ds_load_b32 v27, v27 offset:256
	s_waitcnt lgkmcnt(0)
	v_add_f32_e32 v8, v27, v8
	s_or_b32 exec_lo, exec_lo, s0
	s_and_saveexec_b32 s0, vcc_lo
	s_cbranch_execz .LBB239_2167
.LBB239_2240:
	v_lshl_add_u32 v27, v23, 2, v34
	ds_load_b32 v27, v27 offset:288
	s_waitcnt lgkmcnt(0)
	v_add_f32_e32 v9, v27, v9
	s_or_b32 exec_lo, exec_lo, s0
	s_and_saveexec_b32 s0, vcc_lo
	s_cbranch_execz .LBB239_2168
.LBB239_2241:
	v_lshl_add_u32 v27, v23, 2, v34
	ds_load_b32 v27, v27 offset:320
	s_waitcnt lgkmcnt(0)
	v_add_f32_e32 v10, v27, v10
	s_or_b32 exec_lo, exec_lo, s0
	s_and_saveexec_b32 s0, vcc_lo
	s_cbranch_execz .LBB239_2169
.LBB239_2242:
	v_lshl_add_u32 v27, v23, 2, v34
	ds_load_b32 v27, v27 offset:352
	s_waitcnt lgkmcnt(0)
	v_add_f32_e32 v11, v27, v11
	s_or_b32 exec_lo, exec_lo, s0
	s_and_saveexec_b32 s0, vcc_lo
	s_cbranch_execz .LBB239_2170
.LBB239_2243:
	v_lshl_add_u32 v27, v23, 2, v34
	ds_load_b32 v27, v27 offset:384
	s_waitcnt lgkmcnt(0)
	v_add_f32_e32 v12, v27, v12
	s_or_b32 exec_lo, exec_lo, s0
	s_and_saveexec_b32 s0, vcc_lo
	s_cbranch_execz .LBB239_2171
.LBB239_2244:
	v_lshl_add_u32 v27, v23, 2, v34
	ds_load_b32 v27, v27 offset:416
	s_waitcnt lgkmcnt(0)
	v_add_f32_e32 v13, v27, v13
	s_or_b32 exec_lo, exec_lo, s0
	s_and_saveexec_b32 s0, vcc_lo
	s_cbranch_execz .LBB239_2172
.LBB239_2245:
	v_lshl_add_u32 v27, v23, 2, v34
	ds_load_b32 v27, v27 offset:448
	s_waitcnt lgkmcnt(0)
	v_add_f32_e32 v14, v27, v14
	s_or_b32 exec_lo, exec_lo, s0
	s_and_saveexec_b32 s0, vcc_lo
	s_cbranch_execz .LBB239_2173
.LBB239_2246:
	v_lshl_add_u32 v27, v23, 2, v34
	ds_load_b32 v27, v27 offset:480
	s_waitcnt lgkmcnt(0)
	v_add_f32_e32 v15, v27, v15
	s_or_b32 exec_lo, exec_lo, s0
	s_and_saveexec_b32 s0, vcc_lo
	s_cbranch_execz .LBB239_2174
.LBB239_2247:
	v_lshl_add_u32 v27, v23, 2, v34
	ds_load_b32 v27, v27 offset:512
	s_waitcnt lgkmcnt(0)
	v_add_f32_e32 v16, v27, v16
	s_or_b32 exec_lo, exec_lo, s0
	s_and_saveexec_b32 s0, vcc_lo
	s_cbranch_execz .LBB239_2175
.LBB239_2248:
	v_lshl_add_u32 v27, v23, 2, v34
	ds_load_b32 v27, v27 offset:544
	s_waitcnt lgkmcnt(0)
	v_add_f32_e32 v17, v27, v17
	s_or_b32 exec_lo, exec_lo, s0
	s_and_saveexec_b32 s0, vcc_lo
	s_cbranch_execz .LBB239_2176
.LBB239_2249:
	v_lshl_add_u32 v27, v23, 2, v34
	ds_load_b32 v27, v27 offset:576
	s_waitcnt lgkmcnt(0)
	v_add_f32_e32 v18, v27, v18
	s_or_b32 exec_lo, exec_lo, s0
	s_and_saveexec_b32 s0, vcc_lo
	s_cbranch_execz .LBB239_2177
.LBB239_2250:
	v_lshl_add_u32 v27, v23, 2, v34
	ds_load_b32 v27, v27 offset:608
	s_waitcnt lgkmcnt(0)
	v_add_f32_e32 v19, v27, v19
	s_or_b32 exec_lo, exec_lo, s0
	s_and_saveexec_b32 s0, vcc_lo
	s_cbranch_execz .LBB239_2178
.LBB239_2251:
	v_lshl_add_u32 v27, v23, 2, v34
	ds_load_b32 v27, v27 offset:640
	s_waitcnt lgkmcnt(0)
	v_add_f32_e32 v20, v27, v20
	s_or_b32 exec_lo, exec_lo, s0
	s_and_saveexec_b32 s0, vcc_lo
	s_cbranch_execz .LBB239_2179
.LBB239_2252:
	v_lshl_add_u32 v27, v23, 2, v34
	ds_load_b32 v27, v27 offset:672
	s_waitcnt lgkmcnt(0)
	v_add_f32_e32 v21, v27, v21
	s_or_b32 exec_lo, exec_lo, s0
	s_and_saveexec_b32 s0, vcc_lo
	s_cbranch_execz .LBB239_2180
.LBB239_2253:
	v_lshl_add_u32 v27, v23, 2, v34
	ds_load_b32 v27, v27 offset:704
	s_waitcnt lgkmcnt(0)
	v_add_f32_e32 v22, v27, v22
	s_or_b32 exec_lo, exec_lo, s0
	s_and_saveexec_b32 s0, vcc_lo
	s_cbranch_execz .LBB239_2181
.LBB239_2254:
	v_lshl_add_u32 v27, v23, 2, v34
	ds_load_b32 v27, v27 offset:736
	s_waitcnt lgkmcnt(0)
	v_add_f32_e32 v24, v27, v24
	s_or_b32 exec_lo, exec_lo, s0
	s_and_saveexec_b32 s0, vcc_lo
	s_cbranch_execz .LBB239_2182
.LBB239_2255:
	v_lshl_add_u32 v27, v23, 2, v34
	ds_load_b32 v27, v27 offset:768
	s_waitcnt lgkmcnt(0)
	v_add_f32_e32 v25, v27, v25
	s_or_b32 exec_lo, exec_lo, s0
	s_and_saveexec_b32 s0, vcc_lo
	s_cbranch_execz .LBB239_2183
.LBB239_2256:
	v_lshl_add_u32 v27, v23, 2, v34
	ds_load_b32 v27, v27 offset:800
	s_waitcnt lgkmcnt(0)
	v_add_f32_e32 v26, v27, v26
	s_or_b32 exec_lo, exec_lo, s0
	s_and_saveexec_b32 s0, vcc_lo
	s_cbranch_execz .LBB239_2184
.LBB239_2257:
	v_lshl_add_u32 v27, v23, 2, v34
	ds_load_b32 v27, v27 offset:832
	s_waitcnt lgkmcnt(0)
	v_add_f32_e32 v28, v27, v28
	s_or_b32 exec_lo, exec_lo, s0
	s_and_saveexec_b32 s0, vcc_lo
	s_cbranch_execz .LBB239_2185
.LBB239_2258:
	v_lshl_add_u32 v27, v23, 2, v34
	ds_load_b32 v27, v27 offset:864
	s_waitcnt lgkmcnt(0)
	v_add_f32_e32 v29, v27, v29
	s_or_b32 exec_lo, exec_lo, s0
	s_and_saveexec_b32 s0, vcc_lo
	s_cbranch_execz .LBB239_2186
.LBB239_2259:
	v_lshl_add_u32 v27, v23, 2, v34
	ds_load_b32 v27, v27 offset:896
	s_waitcnt lgkmcnt(0)
	v_add_f32_e32 v30, v27, v30
	s_or_b32 exec_lo, exec_lo, s0
	s_and_saveexec_b32 s0, vcc_lo
	s_cbranch_execz .LBB239_2187
.LBB239_2260:
	v_lshl_add_u32 v27, v23, 2, v34
	ds_load_b32 v27, v27 offset:928
	s_waitcnt lgkmcnt(0)
	v_add_f32_e32 v31, v27, v31
	s_or_b32 exec_lo, exec_lo, s0
	s_and_saveexec_b32 s0, vcc_lo
	s_cbranch_execz .LBB239_2188
.LBB239_2261:
	v_lshl_add_u32 v27, v23, 2, v34
	ds_load_b32 v27, v27 offset:960
	s_waitcnt lgkmcnt(0)
	v_add_f32_e32 v32, v27, v32
	s_or_b32 exec_lo, exec_lo, s0
	s_and_saveexec_b32 s0, vcc_lo
	s_cbranch_execnz .LBB239_2189
	s_branch .LBB239_2190
.LBB239_2262:
	ds_load_b32 v34, v23
	s_waitcnt lgkmcnt(0)
	v_add_f32_e32 v0, v34, v0
	s_or_b32 exec_lo, exec_lo, s0
	s_and_saveexec_b32 s0, vcc_lo
	s_cbranch_execz .LBB239_2196
.LBB239_2263:
	ds_load_b32 v34, v23 offset:32
	s_waitcnt lgkmcnt(0)
	v_add_f32_e32 v1, v34, v1
	s_or_b32 exec_lo, exec_lo, s0
	s_and_saveexec_b32 s0, vcc_lo
	s_cbranch_execz .LBB239_2197
.LBB239_2264:
	ds_load_b32 v34, v23 offset:64
	s_waitcnt lgkmcnt(0)
	v_add_f32_e32 v2, v34, v2
	s_or_b32 exec_lo, exec_lo, s0
	s_and_saveexec_b32 s0, vcc_lo
	s_cbranch_execz .LBB239_2198
.LBB239_2265:
	ds_load_b32 v34, v23 offset:96
	s_waitcnt lgkmcnt(0)
	v_add_f32_e32 v3, v34, v3
	s_or_b32 exec_lo, exec_lo, s0
	s_and_saveexec_b32 s0, vcc_lo
	s_cbranch_execz .LBB239_2199
.LBB239_2266:
	ds_load_b32 v34, v23 offset:128
	s_waitcnt lgkmcnt(0)
	v_add_f32_e32 v4, v34, v4
	s_or_b32 exec_lo, exec_lo, s0
	s_and_saveexec_b32 s0, vcc_lo
	s_cbranch_execz .LBB239_2200
.LBB239_2267:
	ds_load_b32 v34, v23 offset:160
	s_waitcnt lgkmcnt(0)
	v_add_f32_e32 v5, v34, v5
	s_or_b32 exec_lo, exec_lo, s0
	s_and_saveexec_b32 s0, vcc_lo
	s_cbranch_execz .LBB239_2201
.LBB239_2268:
	ds_load_b32 v34, v23 offset:192
	s_waitcnt lgkmcnt(0)
	v_add_f32_e32 v6, v34, v6
	s_or_b32 exec_lo, exec_lo, s0
	s_and_saveexec_b32 s0, vcc_lo
	s_cbranch_execz .LBB239_2202
.LBB239_2269:
	ds_load_b32 v34, v23 offset:224
	s_waitcnt lgkmcnt(0)
	v_add_f32_e32 v7, v34, v7
	s_or_b32 exec_lo, exec_lo, s0
	s_and_saveexec_b32 s0, vcc_lo
	s_cbranch_execz .LBB239_2203
.LBB239_2270:
	ds_load_b32 v34, v23 offset:256
	s_waitcnt lgkmcnt(0)
	v_add_f32_e32 v8, v34, v8
	s_or_b32 exec_lo, exec_lo, s0
	s_and_saveexec_b32 s0, vcc_lo
	s_cbranch_execz .LBB239_2204
.LBB239_2271:
	ds_load_b32 v34, v23 offset:288
	s_waitcnt lgkmcnt(0)
	v_add_f32_e32 v9, v34, v9
	s_or_b32 exec_lo, exec_lo, s0
	s_and_saveexec_b32 s0, vcc_lo
	s_cbranch_execz .LBB239_2205
.LBB239_2272:
	ds_load_b32 v34, v23 offset:320
	s_waitcnt lgkmcnt(0)
	v_add_f32_e32 v10, v34, v10
	s_or_b32 exec_lo, exec_lo, s0
	s_and_saveexec_b32 s0, vcc_lo
	s_cbranch_execz .LBB239_2206
.LBB239_2273:
	ds_load_b32 v34, v23 offset:352
	s_waitcnt lgkmcnt(0)
	v_add_f32_e32 v11, v34, v11
	s_or_b32 exec_lo, exec_lo, s0
	s_and_saveexec_b32 s0, vcc_lo
	s_cbranch_execz .LBB239_2207
.LBB239_2274:
	ds_load_b32 v34, v23 offset:384
	s_waitcnt lgkmcnt(0)
	v_add_f32_e32 v12, v34, v12
	s_or_b32 exec_lo, exec_lo, s0
	s_and_saveexec_b32 s0, vcc_lo
	s_cbranch_execz .LBB239_2208
.LBB239_2275:
	ds_load_b32 v34, v23 offset:416
	s_waitcnt lgkmcnt(0)
	v_add_f32_e32 v13, v34, v13
	s_or_b32 exec_lo, exec_lo, s0
	s_and_saveexec_b32 s0, vcc_lo
	s_cbranch_execz .LBB239_2209
.LBB239_2276:
	ds_load_b32 v34, v23 offset:448
	s_waitcnt lgkmcnt(0)
	v_add_f32_e32 v14, v34, v14
	s_or_b32 exec_lo, exec_lo, s0
	s_and_saveexec_b32 s0, vcc_lo
	s_cbranch_execz .LBB239_2210
.LBB239_2277:
	ds_load_b32 v34, v23 offset:480
	s_waitcnt lgkmcnt(0)
	v_add_f32_e32 v15, v34, v15
	s_or_b32 exec_lo, exec_lo, s0
	s_and_saveexec_b32 s0, vcc_lo
	s_cbranch_execz .LBB239_2211
.LBB239_2278:
	ds_load_b32 v34, v23 offset:512
	s_waitcnt lgkmcnt(0)
	v_add_f32_e32 v16, v34, v16
	s_or_b32 exec_lo, exec_lo, s0
	s_and_saveexec_b32 s0, vcc_lo
	s_cbranch_execz .LBB239_2212
.LBB239_2279:
	ds_load_b32 v34, v23 offset:544
	s_waitcnt lgkmcnt(0)
	v_add_f32_e32 v17, v34, v17
	s_or_b32 exec_lo, exec_lo, s0
	s_and_saveexec_b32 s0, vcc_lo
	s_cbranch_execz .LBB239_2213
.LBB239_2280:
	ds_load_b32 v34, v23 offset:576
	s_waitcnt lgkmcnt(0)
	v_add_f32_e32 v18, v34, v18
	s_or_b32 exec_lo, exec_lo, s0
	s_and_saveexec_b32 s0, vcc_lo
	s_cbranch_execz .LBB239_2214
.LBB239_2281:
	ds_load_b32 v34, v23 offset:608
	s_waitcnt lgkmcnt(0)
	v_add_f32_e32 v19, v34, v19
	s_or_b32 exec_lo, exec_lo, s0
	s_and_saveexec_b32 s0, vcc_lo
	s_cbranch_execz .LBB239_2215
.LBB239_2282:
	ds_load_b32 v34, v23 offset:640
	s_waitcnt lgkmcnt(0)
	v_add_f32_e32 v20, v34, v20
	s_or_b32 exec_lo, exec_lo, s0
	s_and_saveexec_b32 s0, vcc_lo
	s_cbranch_execz .LBB239_2216
.LBB239_2283:
	ds_load_b32 v34, v23 offset:672
	s_waitcnt lgkmcnt(0)
	v_add_f32_e32 v21, v34, v21
	s_or_b32 exec_lo, exec_lo, s0
	s_and_saveexec_b32 s0, vcc_lo
	s_cbranch_execz .LBB239_2217
.LBB239_2284:
	ds_load_b32 v34, v23 offset:704
	s_waitcnt lgkmcnt(0)
	v_add_f32_e32 v22, v34, v22
	s_or_b32 exec_lo, exec_lo, s0
	s_and_saveexec_b32 s0, vcc_lo
	s_cbranch_execz .LBB239_2218
.LBB239_2285:
	ds_load_b32 v34, v23 offset:736
	s_waitcnt lgkmcnt(0)
	v_add_f32_e32 v24, v34, v24
	s_or_b32 exec_lo, exec_lo, s0
	s_and_saveexec_b32 s0, vcc_lo
	s_cbranch_execz .LBB239_2219
.LBB239_2286:
	ds_load_b32 v34, v23 offset:768
	s_waitcnt lgkmcnt(0)
	v_add_f32_e32 v25, v34, v25
	s_or_b32 exec_lo, exec_lo, s0
	s_and_saveexec_b32 s0, vcc_lo
	s_cbranch_execz .LBB239_2220
.LBB239_2287:
	ds_load_b32 v34, v23 offset:800
	s_waitcnt lgkmcnt(0)
	v_add_f32_e32 v26, v34, v26
	s_or_b32 exec_lo, exec_lo, s0
	s_and_saveexec_b32 s0, vcc_lo
	s_cbranch_execz .LBB239_2221
.LBB239_2288:
	ds_load_b32 v34, v23 offset:832
	s_waitcnt lgkmcnt(0)
	v_add_f32_e32 v28, v34, v28
	s_or_b32 exec_lo, exec_lo, s0
	s_and_saveexec_b32 s0, vcc_lo
	s_cbranch_execz .LBB239_2222
.LBB239_2289:
	ds_load_b32 v34, v23 offset:864
	s_waitcnt lgkmcnt(0)
	v_add_f32_e32 v29, v34, v29
	s_or_b32 exec_lo, exec_lo, s0
	s_and_saveexec_b32 s0, vcc_lo
	s_cbranch_execz .LBB239_2223
.LBB239_2290:
	ds_load_b32 v34, v23 offset:896
	s_waitcnt lgkmcnt(0)
	v_add_f32_e32 v30, v34, v30
	s_or_b32 exec_lo, exec_lo, s0
	s_and_saveexec_b32 s0, vcc_lo
	s_cbranch_execz .LBB239_2224
.LBB239_2291:
	ds_load_b32 v34, v23 offset:928
	s_waitcnt lgkmcnt(0)
	v_add_f32_e32 v31, v34, v31
	s_or_b32 exec_lo, exec_lo, s0
	s_and_saveexec_b32 s0, vcc_lo
	s_cbranch_execz .LBB239_2225
.LBB239_2292:
	ds_load_b32 v34, v23 offset:960
	s_waitcnt lgkmcnt(0)
	v_add_f32_e32 v32, v34, v32
	s_or_b32 exec_lo, exec_lo, s0
	s_and_saveexec_b32 s0, vcc_lo
	s_cbranch_execnz .LBB239_2226
	s_branch .LBB239_2227
.Lfunc_end239:
	.size	_ZN4vllm22paged_attention_kernelIfhLi256ELi16ELi128ELNS_18Fp8KVCacheDataTypeE1ELb1ELi512EEEvPfS2_PT_PKS3_PKT0_S9_ifPKiSB_iPKfiiiSD_SD_iiiii, .Lfunc_end239-_ZN4vllm22paged_attention_kernelIfhLi256ELi16ELi128ELNS_18Fp8KVCacheDataTypeE1ELb1ELi512EEEvPfS2_PT_PKS3_PKT0_S9_ifPKiSB_iPKfiiiSD_SD_iiiii
                                        ; -- End function
	.section	.AMDGPU.csdata,"",@progbits
; Function info:
; codeLenInByte = 80304
; NumSgprs: 35
; NumVgprs: 192
; ScratchSize: 1020
; MemoryBound: 0
	.section	.text._ZN4vllm25paged_attention_v2_kernelIfhLi256ELi16ELi128ELNS_18Fp8KVCacheDataTypeE1ELb1ELi512EEEvPfS2_PT_PKS3_PKT0_S9_ifPKiSB_iPKfiiiSD_SD_iiiii,"axG",@progbits,_ZN4vllm25paged_attention_v2_kernelIfhLi256ELi16ELi128ELNS_18Fp8KVCacheDataTypeE1ELb1ELi512EEEvPfS2_PT_PKS3_PKT0_S9_ifPKiSB_iPKfiiiSD_SD_iiiii,comdat
	.protected	_ZN4vllm25paged_attention_v2_kernelIfhLi256ELi16ELi128ELNS_18Fp8KVCacheDataTypeE1ELb1ELi512EEEvPfS2_PT_PKS3_PKT0_S9_ifPKiSB_iPKfiiiSD_SD_iiiii ; -- Begin function _ZN4vllm25paged_attention_v2_kernelIfhLi256ELi16ELi128ELNS_18Fp8KVCacheDataTypeE1ELb1ELi512EEEvPfS2_PT_PKS3_PKT0_S9_ifPKiSB_iPKfiiiSD_SD_iiiii
	.globl	_ZN4vllm25paged_attention_v2_kernelIfhLi256ELi16ELi128ELNS_18Fp8KVCacheDataTypeE1ELb1ELi512EEEvPfS2_PT_PKS3_PKT0_S9_ifPKiSB_iPKfiiiSD_SD_iiiii
	.p2align	8
	.type	_ZN4vllm25paged_attention_v2_kernelIfhLi256ELi16ELi128ELNS_18Fp8KVCacheDataTypeE1ELb1ELi512EEEvPfS2_PT_PKS3_PKT0_S9_ifPKiSB_iPKfiiiSD_SD_iiiii,@function
_ZN4vllm25paged_attention_v2_kernelIfhLi256ELi16ELi128ELNS_18Fp8KVCacheDataTypeE1ELb1ELi512EEEvPfS2_PT_PKS3_PKT0_S9_ifPKiSB_iPKfiiiSD_SD_iiiii: ; @_ZN4vllm25paged_attention_v2_kernelIfhLi256ELi16ELi128ELNS_18Fp8KVCacheDataTypeE1ELb1ELi512EEEvPfS2_PT_PKS3_PKT0_S9_ifPKiSB_iPKfiiiSD_SD_iiiii
; %bb.0:
	s_mov_b32 s12, s13
	s_clause 0x7
	s_load_b128 s[4:7], s[0:1], 0x78
	s_load_b32 s8, s[0:1], 0x88
	s_load_b256 s[24:31], s[0:1], 0x0
	s_load_b256 s[36:43], s[0:1], 0x20
	s_load_b64 s[2:3], s[0:1], 0x40
	s_load_b64 s[10:11], s[0:1], 0x50
	s_load_b32 s13, s[0:1], 0x48
	s_load_b256 s[16:23], s[0:1], 0x58
	s_mov_b32 s32, 0
	v_mov_b32_e32 v31, v0
	s_waitcnt lgkmcnt(0)
	v_dual_mov_b32 v1, s7 :: v_dual_mov_b32 v2, s8
	v_dual_mov_b32 v0, s24 :: v_dual_mov_b32 v3, s27
	v_dual_mov_b32 v4, s28 :: v_dual_mov_b32 v5, s29
	v_mov_b32_e32 v6, s30
	scratch_store_b64 off, v[1:2], s32
	v_dual_mov_b32 v1, s25 :: v_dual_mov_b32 v2, s26
	v_dual_mov_b32 v7, s31 :: v_dual_mov_b32 v8, s36
	v_dual_mov_b32 v9, s37 :: v_dual_mov_b32 v10, s38
	v_dual_mov_b32 v11, s39 :: v_dual_mov_b32 v12, s40
	v_dual_mov_b32 v13, s41 :: v_dual_mov_b32 v14, s42
	v_dual_mov_b32 v15, s43 :: v_dual_mov_b32 v16, s2
	v_dual_mov_b32 v17, s3 :: v_dual_mov_b32 v18, s13
	v_dual_mov_b32 v19, s10 :: v_dual_mov_b32 v20, s11
	v_dual_mov_b32 v21, s16 :: v_dual_mov_b32 v22, s17
	v_dual_mov_b32 v23, s18 :: v_dual_mov_b32 v24, s20
	v_dual_mov_b32 v25, s21 :: v_dual_mov_b32 v26, s22
	v_dual_mov_b32 v27, s23 :: v_dual_mov_b32 v28, s4
	v_dual_mov_b32 v29, s5 :: v_dual_mov_b32 v30, s6
	s_add_u32 s8, s0, 0x90
	s_addc_u32 s9, s1, 0
	s_mov_b32 s13, s14
	s_mov_b32 s14, s15
	s_movk_i32 s15, 0x48
	s_getpc_b64 s[0:1]
	s_add_u32 s0, s0, _ZN4vllm22paged_attention_kernelIfhLi256ELi16ELi128ELNS_18Fp8KVCacheDataTypeE1ELb1ELi512EEEvPfS2_PT_PKS3_PKT0_S9_ifPKiSB_iPKfiiiSD_SD_iiiii@rel32@lo+4
	s_addc_u32 s1, s1, _ZN4vllm22paged_attention_kernelIfhLi256ELi16ELi128ELNS_18Fp8KVCacheDataTypeE1ELb1ELi512EEEvPfS2_PT_PKS3_PKT0_S9_ifPKiSB_iPKfiiiSD_SD_iiiii@rel32@hi+12
	s_delay_alu instid0(SALU_CYCLE_1)
	s_swappc_b64 s[30:31], s[0:1]
	s_endpgm
	.section	.rodata,"a",@progbits
	.p2align	6, 0x0
	.amdhsa_kernel _ZN4vllm25paged_attention_v2_kernelIfhLi256ELi16ELi128ELNS_18Fp8KVCacheDataTypeE1ELb1ELi512EEEvPfS2_PT_PKS3_PKT0_S9_ifPKiSB_iPKfiiiSD_SD_iiiii
		.amdhsa_group_segment_fixed_size 1056
		.amdhsa_private_segment_fixed_size 1020
		.amdhsa_kernarg_size 400
		.amdhsa_user_sgpr_count 13
		.amdhsa_user_sgpr_dispatch_ptr 0
		.amdhsa_user_sgpr_queue_ptr 0
		.amdhsa_user_sgpr_kernarg_segment_ptr 1
		.amdhsa_user_sgpr_dispatch_id 0
		.amdhsa_user_sgpr_private_segment_size 0
		.amdhsa_wavefront_size32 1
		.amdhsa_uses_dynamic_stack 0
		.amdhsa_enable_private_segment 1
		.amdhsa_system_sgpr_workgroup_id_x 1
		.amdhsa_system_sgpr_workgroup_id_y 1
		.amdhsa_system_sgpr_workgroup_id_z 1
		.amdhsa_system_sgpr_workgroup_info 0
		.amdhsa_system_vgpr_workitem_id 0
		.amdhsa_next_free_vgpr 192
		.amdhsa_next_free_sgpr 44
		.amdhsa_reserve_vcc 1
		.amdhsa_float_round_mode_32 0
		.amdhsa_float_round_mode_16_64 0
		.amdhsa_float_denorm_mode_32 3
		.amdhsa_float_denorm_mode_16_64 3
		.amdhsa_dx10_clamp 1
		.amdhsa_ieee_mode 1
		.amdhsa_fp16_overflow 0
		.amdhsa_workgroup_processor_mode 1
		.amdhsa_memory_ordered 1
		.amdhsa_forward_progress 0
		.amdhsa_shared_vgpr_count 0
		.amdhsa_exception_fp_ieee_invalid_op 0
		.amdhsa_exception_fp_denorm_src 0
		.amdhsa_exception_fp_ieee_div_zero 0
		.amdhsa_exception_fp_ieee_overflow 0
		.amdhsa_exception_fp_ieee_underflow 0
		.amdhsa_exception_fp_ieee_inexact 0
		.amdhsa_exception_int_div_zero 0
	.end_amdhsa_kernel
	.section	.text._ZN4vllm25paged_attention_v2_kernelIfhLi256ELi16ELi128ELNS_18Fp8KVCacheDataTypeE1ELb1ELi512EEEvPfS2_PT_PKS3_PKT0_S9_ifPKiSB_iPKfiiiSD_SD_iiiii,"axG",@progbits,_ZN4vllm25paged_attention_v2_kernelIfhLi256ELi16ELi128ELNS_18Fp8KVCacheDataTypeE1ELb1ELi512EEEvPfS2_PT_PKS3_PKT0_S9_ifPKiSB_iPKfiiiSD_SD_iiiii,comdat
.Lfunc_end240:
	.size	_ZN4vllm25paged_attention_v2_kernelIfhLi256ELi16ELi128ELNS_18Fp8KVCacheDataTypeE1ELb1ELi512EEEvPfS2_PT_PKS3_PKT0_S9_ifPKiSB_iPKfiiiSD_SD_iiiii, .Lfunc_end240-_ZN4vllm25paged_attention_v2_kernelIfhLi256ELi16ELi128ELNS_18Fp8KVCacheDataTypeE1ELb1ELi512EEEvPfS2_PT_PKS3_PKT0_S9_ifPKiSB_iPKfiiiSD_SD_iiiii
                                        ; -- End function
	.section	.AMDGPU.csdata,"",@progbits
; Kernel info:
; codeLenInByte = 280
; NumSgprs: 46
; NumVgprs: 192
; ScratchSize: 1020
; MemoryBound: 0
; FloatMode: 240
; IeeeMode: 1
; LDSByteSize: 1056 bytes/workgroup (compile time only)
; SGPRBlocks: 5
; VGPRBlocks: 23
; NumSGPRsForWavesPerEU: 46
; NumVGPRsForWavesPerEU: 192
; Occupancy: 8
; WaveLimiterHint : 1
; COMPUTE_PGM_RSRC2:SCRATCH_EN: 1
; COMPUTE_PGM_RSRC2:USER_SGPR: 13
; COMPUTE_PGM_RSRC2:TRAP_HANDLER: 0
; COMPUTE_PGM_RSRC2:TGID_X_EN: 1
; COMPUTE_PGM_RSRC2:TGID_Y_EN: 1
; COMPUTE_PGM_RSRC2:TGID_Z_EN: 1
; COMPUTE_PGM_RSRC2:TIDIG_COMP_CNT: 0
	.section	.text._ZN4vllm25paged_attention_v2_kernelIfhLi32ELi16ELi128ELNS_18Fp8KVCacheDataTypeE1ELb0ELi512EEEvPfS2_PT_PKS3_PKT0_S9_ifPKiSB_iPKfiiiSD_SD_iiiii,"axG",@progbits,_ZN4vllm25paged_attention_v2_kernelIfhLi32ELi16ELi128ELNS_18Fp8KVCacheDataTypeE1ELb0ELi512EEEvPfS2_PT_PKS3_PKT0_S9_ifPKiSB_iPKfiiiSD_SD_iiiii,comdat
	.protected	_ZN4vllm25paged_attention_v2_kernelIfhLi32ELi16ELi128ELNS_18Fp8KVCacheDataTypeE1ELb0ELi512EEEvPfS2_PT_PKS3_PKT0_S9_ifPKiSB_iPKfiiiSD_SD_iiiii ; -- Begin function _ZN4vllm25paged_attention_v2_kernelIfhLi32ELi16ELi128ELNS_18Fp8KVCacheDataTypeE1ELb0ELi512EEEvPfS2_PT_PKS3_PKT0_S9_ifPKiSB_iPKfiiiSD_SD_iiiii
	.globl	_ZN4vllm25paged_attention_v2_kernelIfhLi32ELi16ELi128ELNS_18Fp8KVCacheDataTypeE1ELb0ELi512EEEvPfS2_PT_PKS3_PKT0_S9_ifPKiSB_iPKfiiiSD_SD_iiiii
	.p2align	8
	.type	_ZN4vllm25paged_attention_v2_kernelIfhLi32ELi16ELi128ELNS_18Fp8KVCacheDataTypeE1ELb0ELi512EEEvPfS2_PT_PKS3_PKT0_S9_ifPKiSB_iPKfiiiSD_SD_iiiii,@function
_ZN4vllm25paged_attention_v2_kernelIfhLi32ELi16ELi128ELNS_18Fp8KVCacheDataTypeE1ELb0ELi512EEEvPfS2_PT_PKS3_PKT0_S9_ifPKiSB_iPKfiiiSD_SD_iiiii: ; @_ZN4vllm25paged_attention_v2_kernelIfhLi32ELi16ELi128ELNS_18Fp8KVCacheDataTypeE1ELb0ELi512EEEvPfS2_PT_PKS3_PKT0_S9_ifPKiSB_iPKfiiiSD_SD_iiiii
; %bb.0:
	s_load_b64 s[2:3], s[0:1], 0x40
	s_mov_b32 s22, s15
	s_ashr_i32 s15, s14, 31
	s_delay_alu instid0(SALU_CYCLE_1)
	s_lshl_b64 s[4:5], s[14:15], 2
	s_waitcnt lgkmcnt(0)
	s_add_u32 s2, s2, s4
	s_addc_u32 s3, s3, s5
	s_lshl_b32 s33, s22, 9
	s_load_b32 s15, s[2:3], 0x0
	s_waitcnt lgkmcnt(0)
	s_cmp_ge_i32 s33, s15
	s_cbranch_scc1 .LBB241_318
; %bb.1:
	s_clause 0x1
	s_load_b32 s23, s[0:1], 0x90
	s_load_b64 s[34:35], s[0:1], 0x30
	s_mov_b32 s24, s13
	s_mov_b32 s37, 0
	s_waitcnt lgkmcnt(0)
	s_abs_i32 s5, s23
	s_abs_i32 s2, s34
	s_delay_alu instid0(SALU_CYCLE_1) | instskip(SKIP_1) | instid1(VALU_DEP_1)
	v_cvt_f32_u32_e32 v1, s2
	s_sub_i32 s4, 0, s2
	v_rcp_iflag_f32_e32 v1, v1
	s_waitcnt_depctr 0xfff
	v_mul_f32_e32 v1, 0x4f7ffffe, v1
	s_delay_alu instid0(VALU_DEP_1) | instskip(NEXT) | instid1(VALU_DEP_1)
	v_cvt_u32_f32_e32 v1, v1
	v_readfirstlane_b32 s3, v1
	s_delay_alu instid0(VALU_DEP_1) | instskip(NEXT) | instid1(SALU_CYCLE_1)
	s_mul_i32 s4, s4, s3
	s_mul_hi_u32 s4, s3, s4
	s_delay_alu instid0(SALU_CYCLE_1) | instskip(SKIP_4) | instid1(SALU_CYCLE_1)
	s_add_i32 s3, s3, s4
	s_xor_b32 s4, s23, s34
	s_mul_hi_u32 s3, s5, s3
	s_ashr_i32 s4, s4, 31
	s_mul_i32 s6, s3, s2
	s_sub_i32 s5, s5, s6
	s_add_i32 s6, s3, 1
	s_sub_i32 s7, s5, s2
	s_cmp_ge_u32 s5, s2
	s_cselect_b32 s3, s6, s3
	s_cselect_b32 s5, s7, s5
	s_add_i32 s6, s3, 1
	s_cmp_ge_u32 s5, s2
	s_cselect_b32 s2, s6, s3
	s_abs_i32 s10, s13
	s_xor_b32 s2, s2, s4
	s_delay_alu instid0(SALU_CYCLE_1) | instskip(SKIP_2) | instid1(SALU_CYCLE_1)
	s_sub_i32 s11, s2, s4
	s_load_b64 s[2:3], s[0:1], 0x50
	s_abs_i32 s8, s11
	v_cvt_f32_u32_e32 v1, s8
	s_sub_i32 s5, 0, s8
	s_delay_alu instid0(VALU_DEP_1) | instskip(SKIP_2) | instid1(VALU_DEP_1)
	v_rcp_iflag_f32_e32 v1, v1
	s_waitcnt_depctr 0xfff
	v_mul_f32_e32 v1, 0x4f7ffffe, v1
	v_cvt_u32_f32_e32 v1, v1
	s_delay_alu instid0(VALU_DEP_1) | instskip(NEXT) | instid1(VALU_DEP_1)
	v_readfirstlane_b32 s4, v1
	s_mul_i32 s5, s5, s4
	s_delay_alu instid0(SALU_CYCLE_1) | instskip(NEXT) | instid1(SALU_CYCLE_1)
	s_mul_hi_u32 s5, s4, s5
	s_add_i32 s4, s4, s5
	s_waitcnt lgkmcnt(0)
	s_cmp_eq_u64 s[2:3], 0
	s_mul_hi_u32 s9, s10, s4
	s_cbranch_scc1 .LBB241_3
; %bb.2:
	s_ashr_i32 s25, s24, 31
	s_delay_alu instid0(SALU_CYCLE_1) | instskip(NEXT) | instid1(SALU_CYCLE_1)
	s_lshl_b64 s[4:5], s[24:25], 2
	s_add_u32 s2, s2, s4
	s_addc_u32 s3, s3, s5
	s_load_b32 s37, s[2:3], 0x0
.LBB241_3:
	s_load_b128 s[4:7], s[0:1], 0x58
	v_and_b32_e32 v19, 1, v0
	v_lshlrev_b32_e32 v58, 2, v0
	s_ashr_i32 s2, s24, 31
	s_ashr_i32 s3, s11, 31
	s_lshl_b32 s12, s24, 5
	s_waitcnt lgkmcnt(0)
	s_mov_b32 s7, exec_lo
	v_cmpx_gt_u32_e32 16, v0
	s_cbranch_execz .LBB241_5
; %bb.4:
	s_load_b64 s[16:17], s[0:1], 0x18
	s_mul_i32 s18, s14, s4
	v_lshlrev_b32_e32 v1, 3, v0
	s_ashr_i32 s19, s18, 31
	v_and_b32_e32 v3, 0xff8, v58
	s_lshl_b64 s[18:19], s[18:19], 2
	s_delay_alu instid0(VALU_DEP_1) | instskip(SKIP_4) | instid1(SALU_CYCLE_1)
	v_lshl_add_u32 v3, v19, 6, v3
	s_waitcnt lgkmcnt(0)
	s_add_u32 s4, s16, s18
	s_addc_u32 s11, s17, s19
	s_ashr_i32 s13, s12, 31
	s_lshl_b64 s[16:17], s[12:13], 2
	s_delay_alu instid0(SALU_CYCLE_1)
	s_add_u32 s16, s4, s16
	s_addc_u32 s17, s11, s17
	global_load_b64 v[1:2], v1, s[16:17]
	s_waitcnt vmcnt(0)
	ds_store_b64 v3, v[1:2]
.LBB241_5:
	s_or_b32 exec_lo, exec_lo, s7
	s_add_i32 s7, s15, 15
	s_lshl_b32 s4, s22, 5
	s_ashr_i32 s11, s7, 31
	s_xor_b32 s2, s2, s3
	s_lshr_b32 s11, s11, 28
	s_add_i32 s3, s4, 32
	s_add_i32 s7, s7, s11
	v_lshrrev_b32_e32 v57, 5, v0
	s_ashr_i32 s34, s7, 4
	s_mul_i32 s7, s9, s8
	s_min_i32 s25, s3, s34
	s_clause 0x1
	s_load_b64 s[26:27], s[0:1], 0x38
	s_load_b32 s3, s[0:1], 0x48
	s_sub_i32 s7, s10, s7
	s_add_i32 s10, s9, 1
	s_sub_i32 s11, s7, s8
	s_cmp_ge_u32 s7, s8
	v_or_b32_e32 v17, s4, v57
	s_cselect_b32 s9, s10, s9
	s_cselect_b32 s7, s11, s7
	s_add_i32 s10, s9, 1
	s_cmp_ge_u32 s7, s8
	v_mbcnt_lo_u32_b32 v59, -1, 0
	s_cselect_b32 s7, s10, s9
	s_waitcnt lgkmcnt(0)
	s_xor_b32 s7, s7, s2
	s_barrier
	s_sub_i32 s36, s7, s2
	v_cmp_gt_i32_e64 s2, s25, v17
	s_mov_b32 s7, exec_lo
	buffer_gl0_inv
                                        ; implicit-def: $vgpr60
	s_mul_i32 s28, s14, s3
                                        ; implicit-def: $sgpr3
	s_delay_alu instid0(SALU_CYCLE_1)
	s_ashr_i32 s29, s28, 31
	v_cmpx_le_i32_e64 s25, v17
	s_xor_b32 s7, exec_lo, s7
; %bb.6:
	v_mbcnt_lo_u32_b32 v59, -1, 0
	v_mov_b32_e32 v60, 32
	s_mov_b32 s3, 0xff7fffff
                                        ; implicit-def: $vgpr19
; %bb.7:
	s_or_saveexec_b32 s38, s7
	s_clause 0x4
	s_load_b128 s[16:19], s[0:1], 0x0
	s_load_b64 s[20:21], s[0:1], 0x10
	s_load_b32 s13, s[0:1], 0x98
	s_load_b64 s[30:31], s[0:1], 0x28
	s_load_b128 s[8:11], s[0:1], 0x68
	v_mov_b32_e32 v62, s3
	v_ashrrev_i32_e32 v18, 31, v17
	s_mul_i32 s36, s36, s6
	s_xor_b32 exec_lo, exec_lo, s38
	s_cbranch_execz .LBB241_141
; %bb.8:
	s_load_b64 s[0:1], s[0:1], 0x20
	v_xor_b32_e32 v21, 1, v59
	v_dual_mov_b32 v20, 0 :: v_dual_lshlrev_b32 v13, 6, v19
	v_bfe_u32 v23, v0, 1, 4
	ds_load_b128 v[1:4], v13
	ds_load_b128 v[5:8], v13 offset:16
	ds_load_b128 v[9:12], v13 offset:32
	;; [unrolled: 1-line block ×3, first 2 shown]
	v_cmp_gt_i32_e32 vcc_lo, 32, v21
	s_waitcnt lgkmcnt(0)
	s_load_b32 s40, s[8:9], 0x0
	v_lshlrev_b32_e32 v25, 2, v23
	v_lshlrev_b32_e32 v22, 4, v23
	s_ashr_i32 s3, s36, 31
	v_dual_cndmask_b32 v24, v59, v21 :: v_dual_lshlrev_b32 v61, 1, v19
	v_mov_b32_e32 v60, 32
	v_cmp_eq_u32_e32 vcc_lo, 0, v19
	v_lshl_or_b32 v19, v57, 6, v25
	s_delay_alu instid0(VALU_DEP_4) | instskip(SKIP_4) | instid1(VALU_DEP_2)
	v_dual_mov_b32 v62, 0xff7fffff :: v_dual_lshlrev_b32 v63, 2, v24
	v_lshlrev_b32_e32 v24, 4, v57
	s_add_u32 s0, s0, s36
	s_addc_u32 s1, s1, s3
	v_add_co_u32 v21, s0, s0, v22
	v_add3_u32 v64, s33, v24, v23
	v_lshlrev_b64 v[23:24], 2, v[17:18]
	s_lshl_b64 s[8:9], s[28:29], 2
	s_sub_i32 s41, 1, s15
	v_add_co_ci_u32_e64 v22, null, s1, 0, s0
	s_add_u32 s1, s26, s8
	s_addc_u32 s3, s27, s9
	v_add_co_u32 v23, s1, s1, v23
	v_cmp_neq_f32_e64 s0, s37, 0
	v_dual_mov_b32 v66, v17 :: v_dual_add_nc_u32 v65, 0xa0, v19
	v_add_co_ci_u32_e64 v24, s1, s3, v24, s1
	s_mov_b32 s6, 0
	s_mov_b32 s39, s5
	s_brev_b32 s7, 1
	s_waitcnt lgkmcnt(0)
	s_mov_b32 s42, s40
	s_mov_b32 s9, 0x7f800001
	;; [unrolled: 1-line block ×3, first 2 shown]
	s_branch .LBB241_10
.LBB241_9:                              ;   in Loop: Header=BB241_10 Depth=1
	s_or_b32 exec_lo, exec_lo, s3
	v_add_nc_u32_e32 v66, 4, v66
	v_add_co_u32 v23, s3, v23, 16
	v_add_nc_u32_e32 v64, 64, v64
	v_add_nc_u32_e32 v65, 0x100, v65
	s_delay_alu instid0(VALU_DEP_4) | instskip(SKIP_1) | instid1(VALU_DEP_2)
	v_cmp_le_i32_e64 s1, s25, v66
	v_add_co_ci_u32_e64 v24, s3, 0, v24, s3
	s_or_b32 s43, s1, s43
	s_delay_alu instid0(SALU_CYCLE_1)
	s_and_not1_b32 exec_lo, exec_lo, s43
	s_cbranch_execz .LBB241_140
.LBB241_10:                             ; =>This Inner Loop Header: Depth=1
	global_load_b32 v19, v[23:24], off
	s_waitcnt vmcnt(0) lgkmcnt(0)
	v_mad_i64_i32 v[25:26], null, v19, s39, v[21:22]
	s_delay_alu instid0(VALU_DEP_1) | instskip(NEXT) | instid1(VALU_DEP_1)
	v_add_co_u32 v33, s1, v25, v61
	v_add_co_ci_u32_e64 v34, s1, 0, v26, s1
	v_mov_b32_e32 v25, 0
	global_load_u16 v19, v[33:34], off
	s_waitcnt vmcnt(0)
	v_dual_mov_b32 v26, 0 :: v_dual_and_b32 v27, 0xff, v19
	v_and_b32_e32 v29, 0xffff, v19
	s_delay_alu instid0(VALU_DEP_2) | instskip(NEXT) | instid1(VALU_DEP_3)
	v_cmp_ne_u16_e64 s1, 0, v27
	v_dual_mov_b32 v28, v26 :: v_dual_mov_b32 v27, v25
	s_delay_alu instid0(VALU_DEP_2)
	s_and_saveexec_b32 s3, s1
	s_cbranch_execz .LBB241_18
; %bb.11:                               ;   in Loop: Header=BB241_10 Depth=1
	v_bfrev_b32_e32 v27, 1
	v_dual_mov_b32 v28, 0 :: v_dual_and_b32 v19, 0xff, v29
	s_mov_b32 s8, exec_lo
	s_delay_alu instid0(VALU_DEP_1)
	v_cmpx_ne_u16_e32 0x80, v19
	s_cbranch_execz .LBB241_17
; %bb.12:                               ;   in Loop: Header=BB241_10 Depth=1
	v_mov_b32_e32 v27, 0x7f800001
	v_and_b32_e32 v30, 0x7f, v29
	v_mov_b32_e32 v28, 0
	s_mov_b32 s44, exec_lo
	s_delay_alu instid0(VALU_DEP_2)
	v_cmpx_ne_u32_e32 0x7f, v30
	s_cbranch_execz .LBB241_16
; %bb.13:                               ;   in Loop: Header=BB241_10 Depth=1
	v_and_b32_e32 v19, 7, v29
	v_lshrrev_b32_e32 v27, 3, v30
	s_mov_b32 s45, exec_lo
	v_cmpx_gt_u32_e32 8, v30
; %bb.14:                               ;   in Loop: Header=BB241_10 Depth=1
	s_delay_alu instid0(VALU_DEP_3) | instskip(NEXT) | instid1(VALU_DEP_1)
	v_clz_i32_u32_e32 v27, v19
	v_min_u32_e32 v27, 32, v27
	s_delay_alu instid0(VALU_DEP_1) | instskip(SKIP_1) | instid1(VALU_DEP_2)
	v_subrev_nc_u32_e32 v28, 28, v27
	v_sub_nc_u32_e32 v27, 29, v27
	v_lshlrev_b64 v[30:31], v28, v[19:20]
	s_delay_alu instid0(VALU_DEP_1)
	v_and_b32_e32 v19, 7, v30
; %bb.15:                               ;   in Loop: Header=BB241_10 Depth=1
	s_or_b32 exec_lo, exec_lo, s45
	v_lshlrev_b32_e32 v28, 24, v29
	s_delay_alu instid0(VALU_DEP_2) | instskip(SKIP_1) | instid1(VALU_DEP_3)
	v_lshlrev_b32_e32 v19, 20, v19
	v_lshl_add_u32 v27, v27, 23, 0x3c000000
	v_and_b32_e32 v28, 0x80000000, v28
	s_delay_alu instid0(VALU_DEP_1) | instskip(NEXT) | instid1(VALU_DEP_1)
	v_or3_b32 v19, v19, v28, v27
	v_dual_mov_b32 v28, v20 :: v_dual_mov_b32 v27, v19
.LBB241_16:                             ;   in Loop: Header=BB241_10 Depth=1
	s_or_b32 exec_lo, exec_lo, s44
.LBB241_17:                             ;   in Loop: Header=BB241_10 Depth=1
	s_delay_alu instid0(SALU_CYCLE_1)
	s_or_b32 exec_lo, exec_lo, s8
.LBB241_18:                             ;   in Loop: Header=BB241_10 Depth=1
	s_delay_alu instid0(SALU_CYCLE_1) | instskip(SKIP_2) | instid1(VALU_DEP_1)
	s_or_b32 exec_lo, exec_lo, s3
	v_lshrrev_b16 v19, 8, v29
	s_mov_b32 s3, exec_lo
	v_cmpx_ne_u16_e32 0, v19
	s_cbranch_execz .LBB241_26
; %bb.19:                               ;   in Loop: Header=BB241_10 Depth=1
	v_dual_mov_b32 v26, s7 :: v_dual_mov_b32 v25, s6
	s_mov_b32 s44, exec_lo
	v_cmpx_ne_u16_e32 0x80, v19
	s_cbranch_execz .LBB241_25
; %bb.20:                               ;   in Loop: Header=BB241_10 Depth=1
	s_mov_b32 s8, s6
	v_dual_mov_b32 v26, s9 :: v_dual_and_b32 v19, 0xffff, v19
	v_mov_b32_e32 v25, s8
	s_mov_b32 s8, exec_lo
	s_delay_alu instid0(VALU_DEP_2) | instskip(NEXT) | instid1(VALU_DEP_1)
	v_and_b32_e32 v30, 0x7f, v19
	v_cmpx_ne_u32_e32 0x7f, v30
	s_cbranch_execz .LBB241_24
; %bb.21:                               ;   in Loop: Header=BB241_10 Depth=1
	v_and_b32_e32 v19, 7, v19
	v_lshrrev_b32_e32 v25, 3, v30
	s_mov_b32 s45, exec_lo
	v_cmpx_gt_u32_e32 8, v30
; %bb.22:                               ;   in Loop: Header=BB241_10 Depth=1
	s_delay_alu instid0(VALU_DEP_3) | instskip(NEXT) | instid1(VALU_DEP_1)
	v_clz_i32_u32_e32 v25, v19
	v_min_u32_e32 v25, 32, v25
	s_delay_alu instid0(VALU_DEP_1) | instskip(SKIP_1) | instid1(VALU_DEP_2)
	v_subrev_nc_u32_e32 v26, 28, v25
	v_sub_nc_u32_e32 v25, 29, v25
	v_lshlrev_b64 v[30:31], v26, v[19:20]
	s_delay_alu instid0(VALU_DEP_1)
	v_and_b32_e32 v19, 7, v30
; %bb.23:                               ;   in Loop: Header=BB241_10 Depth=1
	s_or_b32 exec_lo, exec_lo, s45
	v_lshlrev_b32_e32 v26, 16, v29
	s_delay_alu instid0(VALU_DEP_2) | instskip(SKIP_1) | instid1(VALU_DEP_3)
	v_lshlrev_b32_e32 v19, 20, v19
	v_lshl_add_u32 v25, v25, 23, 0x3c000000
	v_and_b32_e32 v26, 0x80000000, v26
	s_delay_alu instid0(VALU_DEP_1)
	v_or3_b32 v26, v19, v26, v25
	v_mov_b32_e32 v25, v20
.LBB241_24:                             ;   in Loop: Header=BB241_10 Depth=1
	s_or_b32 exec_lo, exec_lo, s8
.LBB241_25:                             ;   in Loop: Header=BB241_10 Depth=1
	s_delay_alu instid0(SALU_CYCLE_1)
	s_or_b32 exec_lo, exec_lo, s44
.LBB241_26:                             ;   in Loop: Header=BB241_10 Depth=1
	s_delay_alu instid0(SALU_CYCLE_1)
	s_or_b32 exec_lo, exec_lo, s3
	global_load_u16 v19, v[33:34], off offset:4
	v_mov_b32_e32 v29, 0
	s_waitcnt vmcnt(0)
	v_dual_mov_b32 v30, 0 :: v_dual_and_b32 v31, 0xff, v19
	v_and_b32_e32 v35, 0xffff, v19
	s_delay_alu instid0(VALU_DEP_2) | instskip(NEXT) | instid1(VALU_DEP_3)
	v_cmp_ne_u16_e64 s1, 0, v31
	v_dual_mov_b32 v32, v30 :: v_dual_mov_b32 v31, v29
	s_delay_alu instid0(VALU_DEP_2)
	s_and_saveexec_b32 s3, s1
	s_cbranch_execz .LBB241_34
; %bb.27:                               ;   in Loop: Header=BB241_10 Depth=1
	v_bfrev_b32_e32 v31, 1
	v_dual_mov_b32 v32, 0 :: v_dual_and_b32 v19, 0xff, v35
	s_mov_b32 s8, exec_lo
	s_delay_alu instid0(VALU_DEP_1)
	v_cmpx_ne_u16_e32 0x80, v19
	s_cbranch_execz .LBB241_33
; %bb.28:                               ;   in Loop: Header=BB241_10 Depth=1
	v_mov_b32_e32 v31, 0x7f800001
	v_and_b32_e32 v36, 0x7f, v35
	v_mov_b32_e32 v32, 0
	s_mov_b32 s44, exec_lo
	s_delay_alu instid0(VALU_DEP_2)
	v_cmpx_ne_u32_e32 0x7f, v36
	s_cbranch_execz .LBB241_32
; %bb.29:                               ;   in Loop: Header=BB241_10 Depth=1
	v_and_b32_e32 v19, 7, v35
	v_lshrrev_b32_e32 v31, 3, v36
	s_mov_b32 s45, exec_lo
	v_cmpx_gt_u32_e32 8, v36
; %bb.30:                               ;   in Loop: Header=BB241_10 Depth=1
	s_delay_alu instid0(VALU_DEP_3) | instskip(NEXT) | instid1(VALU_DEP_1)
	v_clz_i32_u32_e32 v31, v19
	v_min_u32_e32 v31, 32, v31
	s_delay_alu instid0(VALU_DEP_1) | instskip(SKIP_1) | instid1(VALU_DEP_2)
	v_subrev_nc_u32_e32 v32, 28, v31
	v_sub_nc_u32_e32 v31, 29, v31
	v_lshlrev_b64 v[36:37], v32, v[19:20]
	s_delay_alu instid0(VALU_DEP_1)
	v_and_b32_e32 v19, 7, v36
; %bb.31:                               ;   in Loop: Header=BB241_10 Depth=1
	s_or_b32 exec_lo, exec_lo, s45
	v_lshlrev_b32_e32 v32, 24, v35
	s_delay_alu instid0(VALU_DEP_2) | instskip(SKIP_1) | instid1(VALU_DEP_3)
	v_lshlrev_b32_e32 v19, 20, v19
	v_lshl_add_u32 v31, v31, 23, 0x3c000000
	v_and_b32_e32 v32, 0x80000000, v32
	s_delay_alu instid0(VALU_DEP_1) | instskip(NEXT) | instid1(VALU_DEP_1)
	v_or3_b32 v19, v19, v32, v31
	v_dual_mov_b32 v32, v20 :: v_dual_mov_b32 v31, v19
.LBB241_32:                             ;   in Loop: Header=BB241_10 Depth=1
	s_or_b32 exec_lo, exec_lo, s44
.LBB241_33:                             ;   in Loop: Header=BB241_10 Depth=1
	s_delay_alu instid0(SALU_CYCLE_1)
	s_or_b32 exec_lo, exec_lo, s8
.LBB241_34:                             ;   in Loop: Header=BB241_10 Depth=1
	s_delay_alu instid0(SALU_CYCLE_1) | instskip(SKIP_2) | instid1(VALU_DEP_1)
	s_or_b32 exec_lo, exec_lo, s3
	v_lshrrev_b16 v19, 8, v35
	s_mov_b32 s3, exec_lo
	v_cmpx_ne_u16_e32 0, v19
	s_cbranch_execz .LBB241_42
; %bb.35:                               ;   in Loop: Header=BB241_10 Depth=1
	v_dual_mov_b32 v30, s7 :: v_dual_mov_b32 v29, s6
	s_mov_b32 s44, exec_lo
	v_cmpx_ne_u16_e32 0x80, v19
	s_cbranch_execz .LBB241_41
; %bb.36:                               ;   in Loop: Header=BB241_10 Depth=1
	s_mov_b32 s8, s6
	v_dual_mov_b32 v30, s9 :: v_dual_and_b32 v19, 0xffff, v19
	v_mov_b32_e32 v29, s8
	s_mov_b32 s8, exec_lo
	s_delay_alu instid0(VALU_DEP_2) | instskip(NEXT) | instid1(VALU_DEP_1)
	v_and_b32_e32 v36, 0x7f, v19
	v_cmpx_ne_u32_e32 0x7f, v36
	s_cbranch_execz .LBB241_40
; %bb.37:                               ;   in Loop: Header=BB241_10 Depth=1
	v_and_b32_e32 v19, 7, v19
	v_lshrrev_b32_e32 v29, 3, v36
	s_mov_b32 s45, exec_lo
	v_cmpx_gt_u32_e32 8, v36
; %bb.38:                               ;   in Loop: Header=BB241_10 Depth=1
	s_delay_alu instid0(VALU_DEP_3) | instskip(NEXT) | instid1(VALU_DEP_1)
	v_clz_i32_u32_e32 v29, v19
	v_min_u32_e32 v29, 32, v29
	s_delay_alu instid0(VALU_DEP_1) | instskip(SKIP_1) | instid1(VALU_DEP_2)
	v_subrev_nc_u32_e32 v30, 28, v29
	v_sub_nc_u32_e32 v29, 29, v29
	v_lshlrev_b64 v[36:37], v30, v[19:20]
	s_delay_alu instid0(VALU_DEP_1)
	v_and_b32_e32 v19, 7, v36
; %bb.39:                               ;   in Loop: Header=BB241_10 Depth=1
	s_or_b32 exec_lo, exec_lo, s45
	v_lshlrev_b32_e32 v30, 16, v35
	s_delay_alu instid0(VALU_DEP_2) | instskip(SKIP_1) | instid1(VALU_DEP_3)
	v_lshlrev_b32_e32 v19, 20, v19
	v_lshl_add_u32 v29, v29, 23, 0x3c000000
	v_and_b32_e32 v30, 0x80000000, v30
	s_delay_alu instid0(VALU_DEP_1)
	v_or3_b32 v30, v19, v30, v29
	v_mov_b32_e32 v29, v20
.LBB241_40:                             ;   in Loop: Header=BB241_10 Depth=1
	s_or_b32 exec_lo, exec_lo, s8
.LBB241_41:                             ;   in Loop: Header=BB241_10 Depth=1
	s_delay_alu instid0(SALU_CYCLE_1)
	s_or_b32 exec_lo, exec_lo, s44
.LBB241_42:                             ;   in Loop: Header=BB241_10 Depth=1
	s_delay_alu instid0(SALU_CYCLE_1)
	s_or_b32 exec_lo, exec_lo, s3
	global_load_u16 v19, v[33:34], off offset:8
	v_mov_b32_e32 v35, 0
	s_waitcnt vmcnt(0)
	v_dual_mov_b32 v36, 0 :: v_dual_and_b32 v37, 0xff, v19
	v_and_b32_e32 v39, 0xffff, v19
	s_delay_alu instid0(VALU_DEP_2) | instskip(NEXT) | instid1(VALU_DEP_3)
	v_cmp_ne_u16_e64 s1, 0, v37
	v_dual_mov_b32 v38, v36 :: v_dual_mov_b32 v37, v35
	s_delay_alu instid0(VALU_DEP_2)
	s_and_saveexec_b32 s3, s1
	s_cbranch_execz .LBB241_50
; %bb.43:                               ;   in Loop: Header=BB241_10 Depth=1
	v_bfrev_b32_e32 v37, 1
	v_dual_mov_b32 v38, 0 :: v_dual_and_b32 v19, 0xff, v39
	s_mov_b32 s8, exec_lo
	s_delay_alu instid0(VALU_DEP_1)
	v_cmpx_ne_u16_e32 0x80, v19
	s_cbranch_execz .LBB241_49
; %bb.44:                               ;   in Loop: Header=BB241_10 Depth=1
	v_mov_b32_e32 v37, 0x7f800001
	v_and_b32_e32 v40, 0x7f, v39
	v_mov_b32_e32 v38, 0
	s_mov_b32 s44, exec_lo
	s_delay_alu instid0(VALU_DEP_2)
	v_cmpx_ne_u32_e32 0x7f, v40
	s_cbranch_execz .LBB241_48
; %bb.45:                               ;   in Loop: Header=BB241_10 Depth=1
	v_and_b32_e32 v19, 7, v39
	v_lshrrev_b32_e32 v37, 3, v40
	s_mov_b32 s45, exec_lo
	v_cmpx_gt_u32_e32 8, v40
; %bb.46:                               ;   in Loop: Header=BB241_10 Depth=1
	s_delay_alu instid0(VALU_DEP_3) | instskip(NEXT) | instid1(VALU_DEP_1)
	v_clz_i32_u32_e32 v37, v19
	v_min_u32_e32 v37, 32, v37
	s_delay_alu instid0(VALU_DEP_1) | instskip(SKIP_1) | instid1(VALU_DEP_2)
	v_subrev_nc_u32_e32 v38, 28, v37
	v_sub_nc_u32_e32 v37, 29, v37
	v_lshlrev_b64 v[40:41], v38, v[19:20]
	s_delay_alu instid0(VALU_DEP_1)
	v_and_b32_e32 v19, 7, v40
; %bb.47:                               ;   in Loop: Header=BB241_10 Depth=1
	s_or_b32 exec_lo, exec_lo, s45
	v_lshlrev_b32_e32 v38, 24, v39
	s_delay_alu instid0(VALU_DEP_2) | instskip(SKIP_1) | instid1(VALU_DEP_3)
	v_lshlrev_b32_e32 v19, 20, v19
	v_lshl_add_u32 v37, v37, 23, 0x3c000000
	v_and_b32_e32 v38, 0x80000000, v38
	s_delay_alu instid0(VALU_DEP_1) | instskip(NEXT) | instid1(VALU_DEP_1)
	v_or3_b32 v19, v19, v38, v37
	v_dual_mov_b32 v38, v20 :: v_dual_mov_b32 v37, v19
.LBB241_48:                             ;   in Loop: Header=BB241_10 Depth=1
	s_or_b32 exec_lo, exec_lo, s44
.LBB241_49:                             ;   in Loop: Header=BB241_10 Depth=1
	s_delay_alu instid0(SALU_CYCLE_1)
	s_or_b32 exec_lo, exec_lo, s8
.LBB241_50:                             ;   in Loop: Header=BB241_10 Depth=1
	s_delay_alu instid0(SALU_CYCLE_1) | instskip(SKIP_2) | instid1(VALU_DEP_1)
	s_or_b32 exec_lo, exec_lo, s3
	v_lshrrev_b16 v19, 8, v39
	s_mov_b32 s3, exec_lo
	v_cmpx_ne_u16_e32 0, v19
	s_cbranch_execz .LBB241_58
; %bb.51:                               ;   in Loop: Header=BB241_10 Depth=1
	v_dual_mov_b32 v36, s7 :: v_dual_mov_b32 v35, s6
	s_mov_b32 s44, exec_lo
	v_cmpx_ne_u16_e32 0x80, v19
	s_cbranch_execz .LBB241_57
; %bb.52:                               ;   in Loop: Header=BB241_10 Depth=1
	s_mov_b32 s8, s6
	v_dual_mov_b32 v36, s9 :: v_dual_and_b32 v19, 0xffff, v19
	v_mov_b32_e32 v35, s8
	s_mov_b32 s8, exec_lo
	s_delay_alu instid0(VALU_DEP_2) | instskip(NEXT) | instid1(VALU_DEP_1)
	v_and_b32_e32 v40, 0x7f, v19
	v_cmpx_ne_u32_e32 0x7f, v40
	s_cbranch_execz .LBB241_56
; %bb.53:                               ;   in Loop: Header=BB241_10 Depth=1
	v_and_b32_e32 v19, 7, v19
	v_lshrrev_b32_e32 v35, 3, v40
	s_mov_b32 s45, exec_lo
	v_cmpx_gt_u32_e32 8, v40
; %bb.54:                               ;   in Loop: Header=BB241_10 Depth=1
	s_delay_alu instid0(VALU_DEP_3) | instskip(NEXT) | instid1(VALU_DEP_1)
	v_clz_i32_u32_e32 v35, v19
	v_min_u32_e32 v35, 32, v35
	s_delay_alu instid0(VALU_DEP_1) | instskip(SKIP_1) | instid1(VALU_DEP_2)
	v_subrev_nc_u32_e32 v36, 28, v35
	v_sub_nc_u32_e32 v35, 29, v35
	v_lshlrev_b64 v[40:41], v36, v[19:20]
	s_delay_alu instid0(VALU_DEP_1)
	v_and_b32_e32 v19, 7, v40
; %bb.55:                               ;   in Loop: Header=BB241_10 Depth=1
	s_or_b32 exec_lo, exec_lo, s45
	v_lshlrev_b32_e32 v36, 16, v39
	s_delay_alu instid0(VALU_DEP_2) | instskip(SKIP_1) | instid1(VALU_DEP_3)
	v_lshlrev_b32_e32 v19, 20, v19
	v_lshl_add_u32 v35, v35, 23, 0x3c000000
	v_and_b32_e32 v36, 0x80000000, v36
	s_delay_alu instid0(VALU_DEP_1)
	v_or3_b32 v36, v19, v36, v35
	v_mov_b32_e32 v35, v20
.LBB241_56:                             ;   in Loop: Header=BB241_10 Depth=1
	s_or_b32 exec_lo, exec_lo, s8
.LBB241_57:                             ;   in Loop: Header=BB241_10 Depth=1
	s_delay_alu instid0(SALU_CYCLE_1)
	s_or_b32 exec_lo, exec_lo, s44
.LBB241_58:                             ;   in Loop: Header=BB241_10 Depth=1
	s_delay_alu instid0(SALU_CYCLE_1)
	s_or_b32 exec_lo, exec_lo, s3
	global_load_u16 v19, v[33:34], off offset:12
	v_mov_b32_e32 v39, 0
	s_waitcnt vmcnt(0)
	v_dual_mov_b32 v40, 0 :: v_dual_and_b32 v41, 0xff, v19
	v_and_b32_e32 v43, 0xffff, v19
	s_delay_alu instid0(VALU_DEP_2) | instskip(NEXT) | instid1(VALU_DEP_3)
	v_cmp_ne_u16_e64 s1, 0, v41
	v_dual_mov_b32 v42, v40 :: v_dual_mov_b32 v41, v39
	s_delay_alu instid0(VALU_DEP_2)
	s_and_saveexec_b32 s3, s1
	s_cbranch_execz .LBB241_66
; %bb.59:                               ;   in Loop: Header=BB241_10 Depth=1
	v_bfrev_b32_e32 v41, 1
	v_dual_mov_b32 v42, 0 :: v_dual_and_b32 v19, 0xff, v43
	s_mov_b32 s8, exec_lo
	s_delay_alu instid0(VALU_DEP_1)
	v_cmpx_ne_u16_e32 0x80, v19
	s_cbranch_execz .LBB241_65
; %bb.60:                               ;   in Loop: Header=BB241_10 Depth=1
	v_mov_b32_e32 v41, 0x7f800001
	v_and_b32_e32 v44, 0x7f, v43
	v_mov_b32_e32 v42, 0
	s_mov_b32 s44, exec_lo
	s_delay_alu instid0(VALU_DEP_2)
	v_cmpx_ne_u32_e32 0x7f, v44
	s_cbranch_execz .LBB241_64
; %bb.61:                               ;   in Loop: Header=BB241_10 Depth=1
	v_and_b32_e32 v19, 7, v43
	v_lshrrev_b32_e32 v41, 3, v44
	s_mov_b32 s45, exec_lo
	v_cmpx_gt_u32_e32 8, v44
; %bb.62:                               ;   in Loop: Header=BB241_10 Depth=1
	s_delay_alu instid0(VALU_DEP_3) | instskip(NEXT) | instid1(VALU_DEP_1)
	v_clz_i32_u32_e32 v41, v19
	v_min_u32_e32 v41, 32, v41
	s_delay_alu instid0(VALU_DEP_1) | instskip(SKIP_1) | instid1(VALU_DEP_2)
	v_subrev_nc_u32_e32 v42, 28, v41
	v_sub_nc_u32_e32 v41, 29, v41
	v_lshlrev_b64 v[44:45], v42, v[19:20]
	s_delay_alu instid0(VALU_DEP_1)
	v_and_b32_e32 v19, 7, v44
; %bb.63:                               ;   in Loop: Header=BB241_10 Depth=1
	s_or_b32 exec_lo, exec_lo, s45
	v_lshlrev_b32_e32 v42, 24, v43
	s_delay_alu instid0(VALU_DEP_2) | instskip(SKIP_1) | instid1(VALU_DEP_3)
	v_lshlrev_b32_e32 v19, 20, v19
	v_lshl_add_u32 v41, v41, 23, 0x3c000000
	v_and_b32_e32 v42, 0x80000000, v42
	s_delay_alu instid0(VALU_DEP_1) | instskip(NEXT) | instid1(VALU_DEP_1)
	v_or3_b32 v19, v19, v42, v41
	v_dual_mov_b32 v42, v20 :: v_dual_mov_b32 v41, v19
.LBB241_64:                             ;   in Loop: Header=BB241_10 Depth=1
	s_or_b32 exec_lo, exec_lo, s44
.LBB241_65:                             ;   in Loop: Header=BB241_10 Depth=1
	s_delay_alu instid0(SALU_CYCLE_1)
	s_or_b32 exec_lo, exec_lo, s8
.LBB241_66:                             ;   in Loop: Header=BB241_10 Depth=1
	s_delay_alu instid0(SALU_CYCLE_1) | instskip(SKIP_2) | instid1(VALU_DEP_1)
	s_or_b32 exec_lo, exec_lo, s3
	v_lshrrev_b16 v19, 8, v43
	s_mov_b32 s3, exec_lo
	v_cmpx_ne_u16_e32 0, v19
	s_cbranch_execz .LBB241_74
; %bb.67:                               ;   in Loop: Header=BB241_10 Depth=1
	v_dual_mov_b32 v40, s7 :: v_dual_mov_b32 v39, s6
	s_mov_b32 s44, exec_lo
	v_cmpx_ne_u16_e32 0x80, v19
	s_cbranch_execz .LBB241_73
; %bb.68:                               ;   in Loop: Header=BB241_10 Depth=1
	s_mov_b32 s8, s6
	v_dual_mov_b32 v40, s9 :: v_dual_and_b32 v19, 0xffff, v19
	v_mov_b32_e32 v39, s8
	s_mov_b32 s8, exec_lo
	s_delay_alu instid0(VALU_DEP_2) | instskip(NEXT) | instid1(VALU_DEP_1)
	v_and_b32_e32 v44, 0x7f, v19
	v_cmpx_ne_u32_e32 0x7f, v44
	s_cbranch_execz .LBB241_72
; %bb.69:                               ;   in Loop: Header=BB241_10 Depth=1
	v_and_b32_e32 v19, 7, v19
	v_lshrrev_b32_e32 v39, 3, v44
	s_mov_b32 s45, exec_lo
	v_cmpx_gt_u32_e32 8, v44
; %bb.70:                               ;   in Loop: Header=BB241_10 Depth=1
	s_delay_alu instid0(VALU_DEP_3) | instskip(NEXT) | instid1(VALU_DEP_1)
	v_clz_i32_u32_e32 v39, v19
	v_min_u32_e32 v39, 32, v39
	s_delay_alu instid0(VALU_DEP_1) | instskip(SKIP_1) | instid1(VALU_DEP_2)
	v_subrev_nc_u32_e32 v40, 28, v39
	v_sub_nc_u32_e32 v39, 29, v39
	v_lshlrev_b64 v[44:45], v40, v[19:20]
	s_delay_alu instid0(VALU_DEP_1)
	v_and_b32_e32 v19, 7, v44
; %bb.71:                               ;   in Loop: Header=BB241_10 Depth=1
	s_or_b32 exec_lo, exec_lo, s45
	v_lshlrev_b32_e32 v40, 16, v43
	s_delay_alu instid0(VALU_DEP_2) | instskip(SKIP_1) | instid1(VALU_DEP_3)
	v_lshlrev_b32_e32 v19, 20, v19
	v_lshl_add_u32 v39, v39, 23, 0x3c000000
	v_and_b32_e32 v40, 0x80000000, v40
	s_delay_alu instid0(VALU_DEP_1)
	v_or3_b32 v40, v19, v40, v39
	v_mov_b32_e32 v39, v20
.LBB241_72:                             ;   in Loop: Header=BB241_10 Depth=1
	s_or_b32 exec_lo, exec_lo, s8
.LBB241_73:                             ;   in Loop: Header=BB241_10 Depth=1
	s_delay_alu instid0(SALU_CYCLE_1)
	s_or_b32 exec_lo, exec_lo, s44
.LBB241_74:                             ;   in Loop: Header=BB241_10 Depth=1
	s_delay_alu instid0(SALU_CYCLE_1)
	s_or_b32 exec_lo, exec_lo, s3
	global_load_u16 v19, v[33:34], off offset:256
	v_mov_b32_e32 v43, 0
	s_waitcnt vmcnt(0)
	v_dual_mov_b32 v44, 0 :: v_dual_and_b32 v45, 0xff, v19
	v_and_b32_e32 v47, 0xffff, v19
	s_delay_alu instid0(VALU_DEP_2) | instskip(NEXT) | instid1(VALU_DEP_3)
	v_cmp_ne_u16_e64 s1, 0, v45
	v_dual_mov_b32 v46, v44 :: v_dual_mov_b32 v45, v43
	s_delay_alu instid0(VALU_DEP_2)
	s_and_saveexec_b32 s3, s1
	s_cbranch_execz .LBB241_82
; %bb.75:                               ;   in Loop: Header=BB241_10 Depth=1
	v_bfrev_b32_e32 v45, 1
	v_dual_mov_b32 v46, 0 :: v_dual_and_b32 v19, 0xff, v47
	s_mov_b32 s8, exec_lo
	s_delay_alu instid0(VALU_DEP_1)
	v_cmpx_ne_u16_e32 0x80, v19
	s_cbranch_execz .LBB241_81
; %bb.76:                               ;   in Loop: Header=BB241_10 Depth=1
	v_mov_b32_e32 v45, 0x7f800001
	v_and_b32_e32 v48, 0x7f, v47
	v_mov_b32_e32 v46, 0
	s_mov_b32 s44, exec_lo
	s_delay_alu instid0(VALU_DEP_2)
	v_cmpx_ne_u32_e32 0x7f, v48
	s_cbranch_execz .LBB241_80
; %bb.77:                               ;   in Loop: Header=BB241_10 Depth=1
	v_and_b32_e32 v19, 7, v47
	v_lshrrev_b32_e32 v45, 3, v48
	s_mov_b32 s45, exec_lo
	v_cmpx_gt_u32_e32 8, v48
; %bb.78:                               ;   in Loop: Header=BB241_10 Depth=1
	s_delay_alu instid0(VALU_DEP_3) | instskip(NEXT) | instid1(VALU_DEP_1)
	v_clz_i32_u32_e32 v45, v19
	v_min_u32_e32 v45, 32, v45
	s_delay_alu instid0(VALU_DEP_1) | instskip(SKIP_1) | instid1(VALU_DEP_2)
	v_subrev_nc_u32_e32 v46, 28, v45
	v_sub_nc_u32_e32 v45, 29, v45
	v_lshlrev_b64 v[48:49], v46, v[19:20]
	s_delay_alu instid0(VALU_DEP_1)
	v_and_b32_e32 v19, 7, v48
; %bb.79:                               ;   in Loop: Header=BB241_10 Depth=1
	s_or_b32 exec_lo, exec_lo, s45
	v_lshlrev_b32_e32 v46, 24, v47
	s_delay_alu instid0(VALU_DEP_2) | instskip(SKIP_1) | instid1(VALU_DEP_3)
	v_lshlrev_b32_e32 v19, 20, v19
	v_lshl_add_u32 v45, v45, 23, 0x3c000000
	v_and_b32_e32 v46, 0x80000000, v46
	s_delay_alu instid0(VALU_DEP_1) | instskip(NEXT) | instid1(VALU_DEP_1)
	v_or3_b32 v19, v19, v46, v45
	v_dual_mov_b32 v46, v20 :: v_dual_mov_b32 v45, v19
.LBB241_80:                             ;   in Loop: Header=BB241_10 Depth=1
	s_or_b32 exec_lo, exec_lo, s44
.LBB241_81:                             ;   in Loop: Header=BB241_10 Depth=1
	s_delay_alu instid0(SALU_CYCLE_1)
	s_or_b32 exec_lo, exec_lo, s8
.LBB241_82:                             ;   in Loop: Header=BB241_10 Depth=1
	s_delay_alu instid0(SALU_CYCLE_1) | instskip(SKIP_2) | instid1(VALU_DEP_1)
	s_or_b32 exec_lo, exec_lo, s3
	v_lshrrev_b16 v19, 8, v47
	s_mov_b32 s3, exec_lo
	v_cmpx_ne_u16_e32 0, v19
	s_cbranch_execz .LBB241_90
; %bb.83:                               ;   in Loop: Header=BB241_10 Depth=1
	v_dual_mov_b32 v44, s7 :: v_dual_mov_b32 v43, s6
	s_mov_b32 s44, exec_lo
	v_cmpx_ne_u16_e32 0x80, v19
	s_cbranch_execz .LBB241_89
; %bb.84:                               ;   in Loop: Header=BB241_10 Depth=1
	s_mov_b32 s8, s6
	v_dual_mov_b32 v44, s9 :: v_dual_and_b32 v19, 0xffff, v19
	v_mov_b32_e32 v43, s8
	s_mov_b32 s8, exec_lo
	s_delay_alu instid0(VALU_DEP_2) | instskip(NEXT) | instid1(VALU_DEP_1)
	v_and_b32_e32 v48, 0x7f, v19
	v_cmpx_ne_u32_e32 0x7f, v48
	s_cbranch_execz .LBB241_88
; %bb.85:                               ;   in Loop: Header=BB241_10 Depth=1
	v_and_b32_e32 v19, 7, v19
	v_lshrrev_b32_e32 v43, 3, v48
	s_mov_b32 s45, exec_lo
	v_cmpx_gt_u32_e32 8, v48
; %bb.86:                               ;   in Loop: Header=BB241_10 Depth=1
	s_delay_alu instid0(VALU_DEP_3) | instskip(NEXT) | instid1(VALU_DEP_1)
	v_clz_i32_u32_e32 v43, v19
	v_min_u32_e32 v43, 32, v43
	s_delay_alu instid0(VALU_DEP_1) | instskip(SKIP_1) | instid1(VALU_DEP_2)
	v_subrev_nc_u32_e32 v44, 28, v43
	v_sub_nc_u32_e32 v43, 29, v43
	v_lshlrev_b64 v[48:49], v44, v[19:20]
	s_delay_alu instid0(VALU_DEP_1)
	v_and_b32_e32 v19, 7, v48
; %bb.87:                               ;   in Loop: Header=BB241_10 Depth=1
	s_or_b32 exec_lo, exec_lo, s45
	v_lshlrev_b32_e32 v44, 16, v47
	s_delay_alu instid0(VALU_DEP_2) | instskip(SKIP_1) | instid1(VALU_DEP_3)
	v_lshlrev_b32_e32 v19, 20, v19
	v_lshl_add_u32 v43, v43, 23, 0x3c000000
	v_and_b32_e32 v44, 0x80000000, v44
	s_delay_alu instid0(VALU_DEP_1)
	v_or3_b32 v44, v19, v44, v43
	v_mov_b32_e32 v43, v20
.LBB241_88:                             ;   in Loop: Header=BB241_10 Depth=1
	s_or_b32 exec_lo, exec_lo, s8
.LBB241_89:                             ;   in Loop: Header=BB241_10 Depth=1
	s_delay_alu instid0(SALU_CYCLE_1)
	s_or_b32 exec_lo, exec_lo, s44
.LBB241_90:                             ;   in Loop: Header=BB241_10 Depth=1
	s_delay_alu instid0(SALU_CYCLE_1)
	s_or_b32 exec_lo, exec_lo, s3
	global_load_u16 v19, v[33:34], off offset:260
	v_mov_b32_e32 v47, 0
	s_waitcnt vmcnt(0)
	v_dual_mov_b32 v48, 0 :: v_dual_and_b32 v49, 0xff, v19
	v_and_b32_e32 v51, 0xffff, v19
	s_delay_alu instid0(VALU_DEP_2) | instskip(NEXT) | instid1(VALU_DEP_3)
	v_cmp_ne_u16_e64 s1, 0, v49
	v_dual_mov_b32 v50, v48 :: v_dual_mov_b32 v49, v47
	s_delay_alu instid0(VALU_DEP_2)
	s_and_saveexec_b32 s3, s1
	s_cbranch_execz .LBB241_98
; %bb.91:                               ;   in Loop: Header=BB241_10 Depth=1
	v_bfrev_b32_e32 v49, 1
	v_dual_mov_b32 v50, 0 :: v_dual_and_b32 v19, 0xff, v51
	s_mov_b32 s8, exec_lo
	s_delay_alu instid0(VALU_DEP_1)
	v_cmpx_ne_u16_e32 0x80, v19
	s_cbranch_execz .LBB241_97
; %bb.92:                               ;   in Loop: Header=BB241_10 Depth=1
	v_mov_b32_e32 v49, 0x7f800001
	v_and_b32_e32 v52, 0x7f, v51
	v_mov_b32_e32 v50, 0
	s_mov_b32 s44, exec_lo
	s_delay_alu instid0(VALU_DEP_2)
	v_cmpx_ne_u32_e32 0x7f, v52
	s_cbranch_execz .LBB241_96
; %bb.93:                               ;   in Loop: Header=BB241_10 Depth=1
	v_and_b32_e32 v19, 7, v51
	v_lshrrev_b32_e32 v49, 3, v52
	s_mov_b32 s45, exec_lo
	v_cmpx_gt_u32_e32 8, v52
; %bb.94:                               ;   in Loop: Header=BB241_10 Depth=1
	s_delay_alu instid0(VALU_DEP_3) | instskip(NEXT) | instid1(VALU_DEP_1)
	v_clz_i32_u32_e32 v49, v19
	v_min_u32_e32 v49, 32, v49
	s_delay_alu instid0(VALU_DEP_1) | instskip(SKIP_1) | instid1(VALU_DEP_2)
	v_subrev_nc_u32_e32 v50, 28, v49
	v_sub_nc_u32_e32 v49, 29, v49
	v_lshlrev_b64 v[52:53], v50, v[19:20]
	s_delay_alu instid0(VALU_DEP_1)
	v_and_b32_e32 v19, 7, v52
; %bb.95:                               ;   in Loop: Header=BB241_10 Depth=1
	s_or_b32 exec_lo, exec_lo, s45
	v_lshlrev_b32_e32 v50, 24, v51
	s_delay_alu instid0(VALU_DEP_2) | instskip(SKIP_1) | instid1(VALU_DEP_3)
	v_lshlrev_b32_e32 v19, 20, v19
	v_lshl_add_u32 v49, v49, 23, 0x3c000000
	v_and_b32_e32 v50, 0x80000000, v50
	s_delay_alu instid0(VALU_DEP_1) | instskip(NEXT) | instid1(VALU_DEP_1)
	v_or3_b32 v19, v19, v50, v49
	v_dual_mov_b32 v50, v20 :: v_dual_mov_b32 v49, v19
.LBB241_96:                             ;   in Loop: Header=BB241_10 Depth=1
	s_or_b32 exec_lo, exec_lo, s44
.LBB241_97:                             ;   in Loop: Header=BB241_10 Depth=1
	s_delay_alu instid0(SALU_CYCLE_1)
	s_or_b32 exec_lo, exec_lo, s8
.LBB241_98:                             ;   in Loop: Header=BB241_10 Depth=1
	s_delay_alu instid0(SALU_CYCLE_1) | instskip(SKIP_2) | instid1(VALU_DEP_1)
	s_or_b32 exec_lo, exec_lo, s3
	v_lshrrev_b16 v19, 8, v51
	s_mov_b32 s3, exec_lo
	v_cmpx_ne_u16_e32 0, v19
	s_cbranch_execz .LBB241_106
; %bb.99:                               ;   in Loop: Header=BB241_10 Depth=1
	v_dual_mov_b32 v48, s7 :: v_dual_mov_b32 v47, s6
	s_mov_b32 s44, exec_lo
	v_cmpx_ne_u16_e32 0x80, v19
	s_cbranch_execz .LBB241_105
; %bb.100:                              ;   in Loop: Header=BB241_10 Depth=1
	s_mov_b32 s8, s6
	v_dual_mov_b32 v48, s9 :: v_dual_and_b32 v19, 0xffff, v19
	v_mov_b32_e32 v47, s8
	s_mov_b32 s8, exec_lo
	s_delay_alu instid0(VALU_DEP_2) | instskip(NEXT) | instid1(VALU_DEP_1)
	v_and_b32_e32 v52, 0x7f, v19
	v_cmpx_ne_u32_e32 0x7f, v52
	s_cbranch_execz .LBB241_104
; %bb.101:                              ;   in Loop: Header=BB241_10 Depth=1
	v_and_b32_e32 v19, 7, v19
	v_lshrrev_b32_e32 v47, 3, v52
	s_mov_b32 s45, exec_lo
	v_cmpx_gt_u32_e32 8, v52
; %bb.102:                              ;   in Loop: Header=BB241_10 Depth=1
	s_delay_alu instid0(VALU_DEP_3) | instskip(NEXT) | instid1(VALU_DEP_1)
	v_clz_i32_u32_e32 v47, v19
	v_min_u32_e32 v47, 32, v47
	s_delay_alu instid0(VALU_DEP_1) | instskip(SKIP_1) | instid1(VALU_DEP_2)
	v_subrev_nc_u32_e32 v48, 28, v47
	v_sub_nc_u32_e32 v47, 29, v47
	v_lshlrev_b64 v[52:53], v48, v[19:20]
	s_delay_alu instid0(VALU_DEP_1)
	v_and_b32_e32 v19, 7, v52
; %bb.103:                              ;   in Loop: Header=BB241_10 Depth=1
	s_or_b32 exec_lo, exec_lo, s45
	v_lshlrev_b32_e32 v48, 16, v51
	s_delay_alu instid0(VALU_DEP_2) | instskip(SKIP_1) | instid1(VALU_DEP_3)
	v_lshlrev_b32_e32 v19, 20, v19
	v_lshl_add_u32 v47, v47, 23, 0x3c000000
	v_and_b32_e32 v48, 0x80000000, v48
	s_delay_alu instid0(VALU_DEP_1)
	v_or3_b32 v48, v19, v48, v47
	v_mov_b32_e32 v47, v20
.LBB241_104:                            ;   in Loop: Header=BB241_10 Depth=1
	s_or_b32 exec_lo, exec_lo, s8
.LBB241_105:                            ;   in Loop: Header=BB241_10 Depth=1
	s_delay_alu instid0(SALU_CYCLE_1)
	s_or_b32 exec_lo, exec_lo, s44
.LBB241_106:                            ;   in Loop: Header=BB241_10 Depth=1
	s_delay_alu instid0(SALU_CYCLE_1) | instskip(SKIP_1) | instid1(VALU_DEP_1)
	s_or_b32 exec_lo, exec_lo, s3
	v_add_co_u32 v53, s1, 0x100, v33
	v_add_co_ci_u32_e64 v54, s1, 0, v34, s1
	v_mov_b32_e32 v33, 0
	global_load_u16 v19, v[53:54], off offset:8
	s_waitcnt vmcnt(0)
	v_dual_mov_b32 v34, 0 :: v_dual_and_b32 v51, 0xff, v19
	v_and_b32_e32 v55, 0xffff, v19
	s_delay_alu instid0(VALU_DEP_2) | instskip(NEXT) | instid1(VALU_DEP_3)
	v_cmp_ne_u16_e64 s1, 0, v51
	v_dual_mov_b32 v52, v34 :: v_dual_mov_b32 v51, v33
	s_delay_alu instid0(VALU_DEP_2)
	s_and_saveexec_b32 s3, s1
	s_cbranch_execz .LBB241_114
; %bb.107:                              ;   in Loop: Header=BB241_10 Depth=1
	v_bfrev_b32_e32 v51, 1
	v_dual_mov_b32 v52, 0 :: v_dual_and_b32 v19, 0xff, v55
	s_mov_b32 s8, exec_lo
	s_delay_alu instid0(VALU_DEP_1)
	v_cmpx_ne_u16_e32 0x80, v19
	s_cbranch_execz .LBB241_113
; %bb.108:                              ;   in Loop: Header=BB241_10 Depth=1
	v_mov_b32_e32 v51, 0x7f800001
	v_and_b32_e32 v56, 0x7f, v55
	v_mov_b32_e32 v52, 0
	s_mov_b32 s44, exec_lo
	s_delay_alu instid0(VALU_DEP_2)
	v_cmpx_ne_u32_e32 0x7f, v56
	s_cbranch_execz .LBB241_112
; %bb.109:                              ;   in Loop: Header=BB241_10 Depth=1
	v_and_b32_e32 v19, 7, v55
	v_lshrrev_b32_e32 v51, 3, v56
	s_mov_b32 s45, exec_lo
	v_cmpx_gt_u32_e32 8, v56
; %bb.110:                              ;   in Loop: Header=BB241_10 Depth=1
	s_delay_alu instid0(VALU_DEP_3) | instskip(NEXT) | instid1(VALU_DEP_1)
	v_clz_i32_u32_e32 v51, v19
	v_min_u32_e32 v51, 32, v51
	s_delay_alu instid0(VALU_DEP_1) | instskip(SKIP_1) | instid1(VALU_DEP_2)
	v_subrev_nc_u32_e32 v52, 28, v51
	v_sub_nc_u32_e32 v51, 29, v51
	v_lshlrev_b64 v[67:68], v52, v[19:20]
	s_delay_alu instid0(VALU_DEP_1)
	v_and_b32_e32 v19, 7, v67
; %bb.111:                              ;   in Loop: Header=BB241_10 Depth=1
	s_or_b32 exec_lo, exec_lo, s45
	v_lshlrev_b32_e32 v52, 24, v55
	s_delay_alu instid0(VALU_DEP_2) | instskip(SKIP_1) | instid1(VALU_DEP_3)
	v_lshlrev_b32_e32 v19, 20, v19
	v_lshl_add_u32 v51, v51, 23, 0x3c000000
	v_and_b32_e32 v52, 0x80000000, v52
	s_delay_alu instid0(VALU_DEP_1) | instskip(NEXT) | instid1(VALU_DEP_1)
	v_or3_b32 v19, v19, v52, v51
	v_dual_mov_b32 v52, v20 :: v_dual_mov_b32 v51, v19
.LBB241_112:                            ;   in Loop: Header=BB241_10 Depth=1
	s_or_b32 exec_lo, exec_lo, s44
.LBB241_113:                            ;   in Loop: Header=BB241_10 Depth=1
	s_delay_alu instid0(SALU_CYCLE_1)
	s_or_b32 exec_lo, exec_lo, s8
.LBB241_114:                            ;   in Loop: Header=BB241_10 Depth=1
	s_delay_alu instid0(SALU_CYCLE_1) | instskip(SKIP_2) | instid1(VALU_DEP_1)
	s_or_b32 exec_lo, exec_lo, s3
	v_lshrrev_b16 v19, 8, v55
	s_mov_b32 s3, exec_lo
	v_cmpx_ne_u16_e32 0, v19
	s_cbranch_execz .LBB241_122
; %bb.115:                              ;   in Loop: Header=BB241_10 Depth=1
	v_dual_mov_b32 v34, s7 :: v_dual_mov_b32 v33, s6
	s_mov_b32 s44, exec_lo
	v_cmpx_ne_u16_e32 0x80, v19
	s_cbranch_execz .LBB241_121
; %bb.116:                              ;   in Loop: Header=BB241_10 Depth=1
	s_mov_b32 s8, s6
	v_dual_mov_b32 v34, s9 :: v_dual_and_b32 v19, 0xffff, v19
	v_mov_b32_e32 v33, s8
	s_mov_b32 s8, exec_lo
	s_delay_alu instid0(VALU_DEP_2) | instskip(NEXT) | instid1(VALU_DEP_1)
	v_and_b32_e32 v56, 0x7f, v19
	v_cmpx_ne_u32_e32 0x7f, v56
	s_cbranch_execz .LBB241_120
; %bb.117:                              ;   in Loop: Header=BB241_10 Depth=1
	v_and_b32_e32 v19, 7, v19
	v_lshrrev_b32_e32 v33, 3, v56
	s_mov_b32 s45, exec_lo
	v_cmpx_gt_u32_e32 8, v56
; %bb.118:                              ;   in Loop: Header=BB241_10 Depth=1
	s_delay_alu instid0(VALU_DEP_3) | instskip(NEXT) | instid1(VALU_DEP_1)
	v_clz_i32_u32_e32 v33, v19
	v_min_u32_e32 v33, 32, v33
	s_delay_alu instid0(VALU_DEP_1) | instskip(SKIP_1) | instid1(VALU_DEP_2)
	v_subrev_nc_u32_e32 v34, 28, v33
	v_sub_nc_u32_e32 v33, 29, v33
	v_lshlrev_b64 v[67:68], v34, v[19:20]
	s_delay_alu instid0(VALU_DEP_1)
	v_and_b32_e32 v19, 7, v67
; %bb.119:                              ;   in Loop: Header=BB241_10 Depth=1
	s_or_b32 exec_lo, exec_lo, s45
	v_lshlrev_b32_e32 v34, 16, v55
	s_delay_alu instid0(VALU_DEP_2) | instskip(SKIP_1) | instid1(VALU_DEP_3)
	v_lshlrev_b32_e32 v19, 20, v19
	v_lshl_add_u32 v33, v33, 23, 0x3c000000
	v_and_b32_e32 v34, 0x80000000, v34
	s_delay_alu instid0(VALU_DEP_1)
	v_or3_b32 v34, v19, v34, v33
	v_mov_b32_e32 v33, v20
.LBB241_120:                            ;   in Loop: Header=BB241_10 Depth=1
	s_or_b32 exec_lo, exec_lo, s8
.LBB241_121:                            ;   in Loop: Header=BB241_10 Depth=1
	s_delay_alu instid0(SALU_CYCLE_1)
	s_or_b32 exec_lo, exec_lo, s44
.LBB241_122:                            ;   in Loop: Header=BB241_10 Depth=1
	s_delay_alu instid0(SALU_CYCLE_1)
	s_or_b32 exec_lo, exec_lo, s3
	global_load_u16 v19, v[53:54], off offset:12
	v_mov_b32_e32 v53, 0
	s_waitcnt vmcnt(0)
	v_dual_mov_b32 v54, 0 :: v_dual_and_b32 v55, 0xff, v19
	v_and_b32_e32 v67, 0xffff, v19
	s_delay_alu instid0(VALU_DEP_2) | instskip(NEXT) | instid1(VALU_DEP_3)
	v_cmp_ne_u16_e64 s1, 0, v55
	v_dual_mov_b32 v56, v54 :: v_dual_mov_b32 v55, v53
	s_delay_alu instid0(VALU_DEP_2)
	s_and_saveexec_b32 s3, s1
	s_cbranch_execz .LBB241_130
; %bb.123:                              ;   in Loop: Header=BB241_10 Depth=1
	v_bfrev_b32_e32 v55, 1
	v_dual_mov_b32 v56, 0 :: v_dual_and_b32 v19, 0xff, v67
	s_mov_b32 s8, exec_lo
	s_delay_alu instid0(VALU_DEP_1)
	v_cmpx_ne_u16_e32 0x80, v19
	s_cbranch_execz .LBB241_129
; %bb.124:                              ;   in Loop: Header=BB241_10 Depth=1
	v_mov_b32_e32 v55, 0x7f800001
	v_and_b32_e32 v68, 0x7f, v67
	v_mov_b32_e32 v56, 0
	s_mov_b32 s44, exec_lo
	s_delay_alu instid0(VALU_DEP_2)
	v_cmpx_ne_u32_e32 0x7f, v68
	s_cbranch_execz .LBB241_128
; %bb.125:                              ;   in Loop: Header=BB241_10 Depth=1
	v_and_b32_e32 v19, 7, v67
	v_lshrrev_b32_e32 v55, 3, v68
	s_mov_b32 s45, exec_lo
	v_cmpx_gt_u32_e32 8, v68
; %bb.126:                              ;   in Loop: Header=BB241_10 Depth=1
	s_delay_alu instid0(VALU_DEP_3) | instskip(NEXT) | instid1(VALU_DEP_1)
	v_clz_i32_u32_e32 v55, v19
	v_min_u32_e32 v55, 32, v55
	s_delay_alu instid0(VALU_DEP_1) | instskip(SKIP_1) | instid1(VALU_DEP_2)
	v_subrev_nc_u32_e32 v56, 28, v55
	v_sub_nc_u32_e32 v55, 29, v55
	v_lshlrev_b64 v[68:69], v56, v[19:20]
	s_delay_alu instid0(VALU_DEP_1)
	v_and_b32_e32 v19, 7, v68
; %bb.127:                              ;   in Loop: Header=BB241_10 Depth=1
	s_or_b32 exec_lo, exec_lo, s45
	v_lshlrev_b32_e32 v56, 24, v67
	s_delay_alu instid0(VALU_DEP_2) | instskip(SKIP_1) | instid1(VALU_DEP_3)
	v_lshlrev_b32_e32 v19, 20, v19
	v_lshl_add_u32 v55, v55, 23, 0x3c000000
	v_and_b32_e32 v56, 0x80000000, v56
	s_delay_alu instid0(VALU_DEP_1) | instskip(NEXT) | instid1(VALU_DEP_1)
	v_or3_b32 v19, v19, v56, v55
	v_dual_mov_b32 v56, v20 :: v_dual_mov_b32 v55, v19
.LBB241_128:                            ;   in Loop: Header=BB241_10 Depth=1
	s_or_b32 exec_lo, exec_lo, s44
.LBB241_129:                            ;   in Loop: Header=BB241_10 Depth=1
	s_delay_alu instid0(SALU_CYCLE_1)
	s_or_b32 exec_lo, exec_lo, s8
.LBB241_130:                            ;   in Loop: Header=BB241_10 Depth=1
	s_delay_alu instid0(SALU_CYCLE_1) | instskip(SKIP_2) | instid1(VALU_DEP_1)
	s_or_b32 exec_lo, exec_lo, s3
	v_lshrrev_b16 v19, 8, v67
	s_mov_b32 s3, exec_lo
	v_cmpx_ne_u16_e32 0, v19
	s_cbranch_execz .LBB241_138
; %bb.131:                              ;   in Loop: Header=BB241_10 Depth=1
	v_dual_mov_b32 v54, s7 :: v_dual_mov_b32 v53, s6
	s_mov_b32 s44, exec_lo
	v_cmpx_ne_u16_e32 0x80, v19
	s_cbranch_execz .LBB241_137
; %bb.132:                              ;   in Loop: Header=BB241_10 Depth=1
	s_mov_b32 s8, s6
	v_dual_mov_b32 v54, s9 :: v_dual_and_b32 v19, 0xffff, v19
	v_mov_b32_e32 v53, s8
	s_mov_b32 s8, exec_lo
	s_delay_alu instid0(VALU_DEP_2) | instskip(NEXT) | instid1(VALU_DEP_1)
	v_and_b32_e32 v68, 0x7f, v19
	v_cmpx_ne_u32_e32 0x7f, v68
	s_cbranch_execz .LBB241_136
; %bb.133:                              ;   in Loop: Header=BB241_10 Depth=1
	v_and_b32_e32 v19, 7, v19
	v_lshrrev_b32_e32 v53, 3, v68
	s_mov_b32 s45, exec_lo
	v_cmpx_gt_u32_e32 8, v68
; %bb.134:                              ;   in Loop: Header=BB241_10 Depth=1
	s_delay_alu instid0(VALU_DEP_3) | instskip(NEXT) | instid1(VALU_DEP_1)
	v_clz_i32_u32_e32 v53, v19
	v_min_u32_e32 v53, 32, v53
	s_delay_alu instid0(VALU_DEP_1) | instskip(SKIP_1) | instid1(VALU_DEP_2)
	v_subrev_nc_u32_e32 v54, 28, v53
	v_sub_nc_u32_e32 v53, 29, v53
	v_lshlrev_b64 v[68:69], v54, v[19:20]
	s_delay_alu instid0(VALU_DEP_1)
	v_and_b32_e32 v19, 7, v68
; %bb.135:                              ;   in Loop: Header=BB241_10 Depth=1
	s_or_b32 exec_lo, exec_lo, s45
	v_lshlrev_b32_e32 v54, 16, v67
	s_delay_alu instid0(VALU_DEP_2) | instskip(SKIP_1) | instid1(VALU_DEP_3)
	v_lshlrev_b32_e32 v19, 20, v19
	v_lshl_add_u32 v53, v53, 23, 0x3c000000
	v_and_b32_e32 v54, 0x80000000, v54
	s_delay_alu instid0(VALU_DEP_1)
	v_or3_b32 v54, v19, v54, v53
	v_mov_b32_e32 v53, v20
.LBB241_136:                            ;   in Loop: Header=BB241_10 Depth=1
	s_or_b32 exec_lo, exec_lo, s8
.LBB241_137:                            ;   in Loop: Header=BB241_10 Depth=1
	s_delay_alu instid0(SALU_CYCLE_1)
	s_or_b32 exec_lo, exec_lo, s44
.LBB241_138:                            ;   in Loop: Header=BB241_10 Depth=1
	s_delay_alu instid0(SALU_CYCLE_1)
	s_or_b32 exec_lo, exec_lo, s3
	v_or_b32_e32 v29, v29, v31
	v_or_b32_e32 v30, v30, v32
	;; [unrolled: 1-line block ×5, first 2 shown]
	s_delay_alu instid0(VALU_DEP_4) | instskip(SKIP_1) | instid1(VALU_DEP_4)
	v_dual_mul_f32 v27, s40, v29 :: v_dual_mul_f32 v28, s42, v30
	v_or_b32_e32 v29, v35, v37
	v_dual_mul_f32 v26, s42, v26 :: v_dual_mul_f32 v25, s40, v25
	s_delay_alu instid0(VALU_DEP_3)
	v_dual_mul_f32 v27, v3, v27 :: v_dual_mul_f32 v28, v4, v28
	v_or_b32_e32 v40, v40, v42
	v_or_b32_e32 v30, v39, v41
	v_mul_f32_e32 v31, s42, v31
	v_mul_f32_e32 v29, s40, v29
	v_dual_fmac_f32 v27, v1, v25 :: v_dual_fmac_f32 v28, v2, v26
	s_delay_alu instid0(VALU_DEP_4) | instskip(SKIP_1) | instid1(VALU_DEP_3)
	v_mul_f32_e32 v30, s40, v30
	v_or_b32_e32 v44, v44, v46
	v_dual_mul_f32 v26, s42, v40 :: v_dual_fmac_f32 v27, v5, v29
	s_delay_alu instid0(VALU_DEP_4) | instskip(SKIP_3) | instid1(VALU_DEP_4)
	v_fmac_f32_e32 v28, v6, v31
	v_or_b32_e32 v19, v34, v52
	v_or_b32_e32 v34, v48, v50
	v_or_b32_e32 v25, v43, v45
	v_dual_mul_f32 v31, s42, v44 :: v_dual_fmac_f32 v28, v8, v26
	v_or_b32_e32 v29, v47, v49
	v_fmac_f32_e32 v27, v7, v30
	s_delay_alu instid0(VALU_DEP_4) | instskip(NEXT) | instid1(VALU_DEP_4)
	v_dual_mul_f32 v25, s40, v25 :: v_dual_mul_f32 v26, s42, v34
	v_fmac_f32_e32 v28, v10, v31
	v_or_b32_e32 v33, v33, v51
	v_mul_f32_e32 v19, s42, v19
	v_or_b32_e32 v30, v54, v56
	s_delay_alu instid0(VALU_DEP_4) | instskip(SKIP_2) | instid1(VALU_DEP_4)
	v_dual_mul_f32 v29, s40, v29 :: v_dual_fmac_f32 v28, v12, v26
	v_fmac_f32_e32 v27, v9, v25
	v_or_b32_e32 v31, v53, v55
	v_mul_f32_e32 v26, s42, v30
	s_delay_alu instid0(VALU_DEP_4) | instskip(NEXT) | instid1(VALU_DEP_4)
	v_dual_fmac_f32 v28, v14, v19 :: v_dual_mul_f32 v25, s40, v33
	v_fmac_f32_e32 v27, v11, v29
	s_delay_alu instid0(VALU_DEP_2) | instskip(NEXT) | instid1(VALU_DEP_2)
	v_dual_mul_f32 v29, s40, v31 :: v_dual_fmac_f32 v28, v16, v26
	v_fmac_f32_e32 v27, v13, v25
	s_delay_alu instid0(VALU_DEP_1) | instskip(NEXT) | instid1(VALU_DEP_1)
	v_fmac_f32_e32 v27, v15, v29
	v_add_f32_e32 v19, v27, v28
	ds_bpermute_b32 v25, v63, v19
	s_and_saveexec_b32 s3, vcc_lo
	s_cbranch_execz .LBB241_9
; %bb.139:                              ;   in Loop: Header=BB241_10 Depth=1
	s_waitcnt lgkmcnt(0)
	v_dual_add_f32 v19, v19, v25 :: v_dual_add_nc_u32 v26, s41, v64
	v_cmp_gt_i32_e64 s1, s15, v64
	s_delay_alu instid0(VALU_DEP_2) | instskip(NEXT) | instid1(VALU_DEP_1)
	v_cvt_f32_i32_e32 v26, v26
	v_mul_f32_e32 v26, s37, v26
	s_delay_alu instid0(VALU_DEP_1) | instskip(NEXT) | instid1(VALU_DEP_1)
	v_cndmask_b32_e64 v25, 0, v26, s0
	v_dual_max_f32 v26, v62, v62 :: v_dual_fmac_f32 v25, s35, v19
	s_delay_alu instid0(VALU_DEP_1) | instskip(SKIP_1) | instid1(VALU_DEP_2)
	v_max_f32_e32 v19, v26, v25
	v_cndmask_b32_e64 v25, 0, v25, s1
	v_cndmask_b32_e64 v62, v62, v19, s1
	ds_store_b32 v65, v25
	s_branch .LBB241_9
.LBB241_140:
	s_or_b32 exec_lo, exec_lo, s43
.LBB241_141:
	s_delay_alu instid0(SALU_CYCLE_1)
	s_or_b32 exec_lo, exec_lo, s38
	v_xor_b32_e32 v1, 16, v59
	v_xor_b32_e32 v3, 8, v59
	;; [unrolled: 1-line block ×4, first 2 shown]
	v_max_f32_e32 v4, v62, v62
	v_cmp_lt_i32_e32 vcc_lo, v1, v60
	v_dual_cndmask_b32 v1, v59, v1 :: v_dual_and_b32 v22, 31, v0
	v_cmp_lt_i32_e32 vcc_lo, v3, v60
	s_delay_alu instid0(VALU_DEP_2)
	v_dual_cndmask_b32 v3, v59, v3 :: v_dual_lshlrev_b32 v2, 2, v1
	v_cmp_lt_i32_e32 vcc_lo, v5, v60
	ds_bpermute_b32 v1, v2, v62
	v_lshlrev_b32_e32 v3, 2, v3
	v_cndmask_b32_e32 v5, v59, v5, vcc_lo
	v_cmp_lt_i32_e32 vcc_lo, v6, v60
	s_delay_alu instid0(VALU_DEP_2) | instskip(SKIP_1) | instid1(VALU_DEP_2)
	v_dual_cndmask_b32 v6, v59, v6 :: v_dual_lshlrev_b32 v5, 2, v5
	v_cmp_eq_u32_e32 vcc_lo, 0, v22
	v_lshlrev_b32_e32 v23, 2, v6
	v_lshlrev_b32_e32 v6, 2, v57
	s_waitcnt lgkmcnt(0)
	v_max_f32_e32 v1, v1, v1
	s_delay_alu instid0(VALU_DEP_1) | instskip(SKIP_3) | instid1(VALU_DEP_1)
	v_max_f32_e32 v1, v4, v1
	ds_bpermute_b32 v4, v3, v1
	s_waitcnt lgkmcnt(0)
	v_max_f32_e32 v4, v4, v4
	v_max_f32_e32 v1, v1, v4
	ds_bpermute_b32 v4, v5, v1
	s_waitcnt lgkmcnt(0)
	v_max_f32_e32 v4, v4, v4
	s_delay_alu instid0(VALU_DEP_1)
	v_max_f32_e32 v1, v1, v4
	ds_bpermute_b32 v4, v23, v1
	s_and_saveexec_b32 s0, vcc_lo
	s_cbranch_execz .LBB241_143
; %bb.142:
	s_waitcnt lgkmcnt(0)
	v_dual_max_f32 v4, v4, v4 :: v_dual_max_f32 v1, v1, v1
	s_delay_alu instid0(VALU_DEP_1)
	v_max_f32_e32 v1, v1, v4
	ds_store_b32 v6, v1 offset:128
.LBB241_143:
	s_or_b32 exec_lo, exec_lo, s0
	v_cmp_gt_u32_e64 s0, 4, v22
	v_mov_b32_e32 v1, 0xff7fffff
	v_lshlrev_b32_e32 v7, 2, v22
	s_waitcnt lgkmcnt(0)
	s_barrier
	buffer_gl0_inv
	s_and_saveexec_b32 s1, s0
	s_cbranch_execz .LBB241_145
; %bb.144:
	ds_load_b32 v1, v7 offset:128
.LBB241_145:
	s_or_b32 exec_lo, exec_lo, s1
	s_waitcnt lgkmcnt(0)
	ds_bpermute_b32 v4, v23, v1
	v_xor_b32_e32 v8, 1, v59
	v_max_f32_e32 v1, v1, v1
	v_mov_b32_e32 v9, 0
	s_delay_alu instid0(VALU_DEP_3) | instskip(NEXT) | instid1(VALU_DEP_1)
	v_cmp_lt_i32_e64 s1, v8, v60
	v_cndmask_b32_e64 v8, v59, v8, s1
	s_sub_i32 s1, s25, s4
	s_delay_alu instid0(SALU_CYCLE_1) | instskip(NEXT) | instid1(VALU_DEP_1)
	s_lshl_b32 s1, s1, 4
	v_lshlrev_b32_e32 v24, 2, v8
	s_add_i32 s1, s1, s33
	v_lshlrev_b32_e32 v8, 2, v59
	s_min_i32 s1, s1, s15
	s_waitcnt lgkmcnt(0)
	v_max_f32_e32 v4, v4, v4
	s_sub_i32 s6, s1, s33
	s_delay_alu instid0(SALU_CYCLE_1) | instskip(SKIP_1) | instid1(VALU_DEP_3)
	v_cmp_gt_i32_e64 s1, s6, v0
	v_and_b32_e32 v8, 0xffffff80, v8
	v_max_f32_e32 v1, v1, v4
	ds_bpermute_b32 v4, v24, v1
	s_waitcnt lgkmcnt(0)
	v_max_f32_e32 v4, v4, v4
	s_delay_alu instid0(VALU_DEP_1)
	v_max_f32_e32 v1, v1, v4
	v_lshl_add_u32 v4, v0, 2, 0xa0
	ds_bpermute_b32 v1, v8, v1
	s_and_saveexec_b32 s7, s1
	s_cbranch_execz .LBB241_149
; %bb.146:
	v_lshl_add_u32 v10, v0, 2, 0xa0
	v_mov_b32_e32 v9, 0
	v_mov_b32_e32 v11, v0
	s_mov_b32 s8, 0
	.p2align	6
.LBB241_147:                            ; =>This Inner Loop Header: Depth=1
	ds_load_b32 v12, v10
	v_add_nc_u32_e32 v11, 0x80, v11
	s_delay_alu instid0(VALU_DEP_1) | instskip(NEXT) | instid1(VALU_DEP_1)
	v_cmp_le_i32_e64 s3, s6, v11
	s_or_b32 s8, s3, s8
	s_waitcnt lgkmcnt(0)
	v_sub_f32_e32 v12, v12, v1
	s_delay_alu instid0(VALU_DEP_1) | instskip(NEXT) | instid1(VALU_DEP_1)
	v_mul_f32_e32 v12, 0x3fb8aa3b, v12
	v_exp_f32_e32 v12, v12
	ds_store_b32 v10, v12
	v_dual_add_f32 v9, v9, v12 :: v_dual_add_nc_u32 v10, 0x200, v10
	s_and_not1_b32 exec_lo, exec_lo, s8
	s_cbranch_execnz .LBB241_147
; %bb.148:
	s_or_b32 exec_lo, exec_lo, s8
.LBB241_149:
	s_delay_alu instid0(SALU_CYCLE_1)
	s_or_b32 exec_lo, exec_lo, s7
	ds_bpermute_b32 v2, v2, v9
	s_waitcnt lgkmcnt(0)
	v_add_f32_e32 v2, v9, v2
	ds_bpermute_b32 v3, v3, v2
	s_waitcnt lgkmcnt(0)
	v_add_f32_e32 v2, v2, v3
	;; [unrolled: 3-line block ×5, first 2 shown]
	s_and_saveexec_b32 s3, vcc_lo
	s_cbranch_execz .LBB241_151
; %bb.150:
	ds_store_b32 v6, v2 offset:144
.LBB241_151:
	s_or_b32 exec_lo, exec_lo, s3
	s_waitcnt lgkmcnt(0)
	s_barrier
	buffer_gl0_inv
	s_and_saveexec_b32 s3, s0
	s_cbranch_execz .LBB241_153
; %bb.152:
	ds_load_b32 v2, v7 offset:144
.LBB241_153:
	s_or_b32 exec_lo, exec_lo, s3
	s_waitcnt lgkmcnt(0)
	ds_bpermute_b32 v3, v23, v2
	s_waitcnt lgkmcnt(0)
	v_add_f32_e32 v2, v2, v3
	ds_bpermute_b32 v3, v24, v2
	s_waitcnt lgkmcnt(0)
	v_add_f32_e32 v2, v2, v3
	ds_bpermute_b32 v2, v8, v2
	s_and_saveexec_b32 s0, s1
	s_cbranch_execz .LBB241_156
; %bb.154:
	s_waitcnt lgkmcnt(0)
	v_add_f32_e32 v3, 0x358637bd, v2
	s_mov_b32 s1, 0
	s_delay_alu instid0(VALU_DEP_1) | instskip(SKIP_1) | instid1(VALU_DEP_2)
	v_div_scale_f32 v5, null, v3, v3, 1.0
	v_div_scale_f32 v8, vcc_lo, 1.0, v3, 1.0
	v_rcp_f32_e32 v6, v5
	s_waitcnt_depctr 0xfff
	v_fma_f32 v7, -v5, v6, 1.0
	s_delay_alu instid0(VALU_DEP_1) | instskip(NEXT) | instid1(VALU_DEP_1)
	v_fmac_f32_e32 v6, v7, v6
	v_mul_f32_e32 v7, v8, v6
	s_delay_alu instid0(VALU_DEP_1) | instskip(NEXT) | instid1(VALU_DEP_1)
	v_fma_f32 v9, -v5, v7, v8
	v_fmac_f32_e32 v7, v9, v6
	s_delay_alu instid0(VALU_DEP_1) | instskip(NEXT) | instid1(VALU_DEP_1)
	v_fma_f32 v5, -v5, v7, v8
	v_div_fmas_f32 v5, v5, v6, v7
	s_delay_alu instid0(VALU_DEP_1)
	v_div_fixup_f32 v3, v5, v3, 1.0
	v_mov_b32_e32 v5, v0
.LBB241_155:                            ; =>This Inner Loop Header: Depth=1
	ds_load_b32 v6, v4
	s_waitcnt lgkmcnt(0)
	v_dual_mul_f32 v6, v3, v6 :: v_dual_add_nc_u32 v5, 0x80, v5
	s_delay_alu instid0(VALU_DEP_1) | instskip(SKIP_3) | instid1(SALU_CYCLE_1)
	v_cmp_le_i32_e32 vcc_lo, s6, v5
	ds_store_b32 v4, v6
	v_add_nc_u32_e32 v4, 0x200, v4
	s_or_b32 s1, vcc_lo, s1
	s_and_not1_b32 exec_lo, exec_lo, s1
	s_cbranch_execnz .LBB241_155
.LBB241_156:
	s_or_b32 exec_lo, exec_lo, s0
	s_mul_i32 s0, s13, s14
	s_waitcnt lgkmcnt(0)
	s_mul_i32 s6, s0, s23
	s_mov_b32 s0, exec_lo
	s_barrier
	buffer_gl0_inv
	v_cmpx_eq_u32_e32 0, v0
	s_cbranch_execz .LBB241_158
; %bb.157:
	s_ashr_i32 s7, s6, 31
	s_mul_i32 s38, s13, s24
	s_lshl_b64 s[8:9], s[6:7], 2
	v_mov_b32_e32 v3, 0
	s_add_u32 s1, s18, s8
	s_addc_u32 s3, s19, s9
	s_ashr_i32 s39, s38, 31
	s_delay_alu instid0(SALU_CYCLE_1) | instskip(NEXT) | instid1(SALU_CYCLE_1)
	s_lshl_b64 s[18:19], s[38:39], 2
	s_add_u32 s1, s1, s18
	s_addc_u32 s3, s3, s19
	s_ashr_i32 s23, s22, 31
	s_delay_alu instid0(SALU_CYCLE_1) | instskip(NEXT) | instid1(SALU_CYCLE_1)
	s_lshl_b64 s[22:23], s[22:23], 2
	s_add_u32 s38, s1, s22
	s_addc_u32 s39, s3, s23
	s_add_u32 s1, s16, s8
	s_addc_u32 s3, s17, s9
	;; [unrolled: 2-line block ×4, first 2 shown]
	s_clause 0x1
	global_store_b32 v3, v1, s[38:39]
	global_store_b32 v3, v2, s[8:9]
.LBB241_158:
	s_or_b32 exec_lo, exec_lo, s0
	v_dual_mov_b32 v26, 0 :: v_dual_and_b32 v25, 3, v0
	v_dual_mov_b32 v27, 0 :: v_dual_mov_b32 v28, 0
	v_mov_b32_e32 v29, 0
	s_mov_b32 s8, 0
	s_and_saveexec_b32 s1, s2
	s_cbranch_execz .LBB241_298
; %bb.159:
	s_load_b32 s7, s[10:11], 0x0
	v_dual_mov_b32 v28, 0 :: v_dual_lshlrev_b32 v7, 4, v25
	v_dual_mov_b32 v29, 0 :: v_dual_and_b32 v4, 0x7c, v58
	s_ashr_i32 s0, s36, 31
	v_lshlrev_b64 v[1:2], 2, v[17:18]
	s_add_u32 s9, s30, s36
	v_lshl_or_b32 v9, v57, 6, v7
	s_addc_u32 s0, s31, s0
	s_lshl_b64 s[2:3], s[28:29], 2
	v_add_co_u32 v7, s9, s9, v4
	v_dual_mov_b32 v6, 0 :: v_dual_and_b32 v3, 12, v58
	v_lshl_add_u32 v5, v57, 4, s33
	s_add_i32 s34, s34, -1
	v_add_co_ci_u32_e64 v8, null, s0, 0, s9
	s_add_u32 s0, s26, s2
	v_dual_mov_b32 v26, 0 :: v_dual_add_nc_u32 v31, 0xa0, v9
	s_addc_u32 s2, s27, s3
	v_add_co_u32 v9, vcc_lo, s0, v1
	v_add3_u32 v30, v5, v3, 3
	v_add_co_ci_u32_e32 v10, vcc_lo, s2, v2, vcc_lo
	v_mov_b32_e32 v27, 0
	s_waitcnt lgkmcnt(0)
	s_mov_b32 s10, s7
	s_brev_b32 s9, 1
	s_mov_b32 s3, 0x7f800001
	s_mov_b32 s11, s8
	s_branch .LBB241_161
.LBB241_160:                            ;   in Loop: Header=BB241_161 Depth=1
	s_or_b32 exec_lo, exec_lo, s0
	s_waitcnt lgkmcnt(0)
	v_mul_f32_e32 v16, v2, v44
	v_mul_f32_e32 v15, v2, v42
	v_add_co_u32 v9, s0, v9, 16
	v_add_nc_u32_e32 v30, 64, v30
	s_delay_alu instid0(VALU_DEP_4) | instskip(NEXT) | instid1(VALU_DEP_4)
	v_fmac_f32_e32 v16, v1, v43
	v_dual_mul_f32 v14, v2, v35 :: v_dual_fmac_f32 v15, v1, v41
	v_mul_f32_e32 v2, v2, v13
	v_add_co_ci_u32_e64 v10, s0, 0, v10, s0
	s_delay_alu instid0(VALU_DEP_3) | instskip(NEXT) | instid1(VALU_DEP_4)
	v_dual_fmac_f32 v14, v1, v34 :: v_dual_add_nc_u32 v17, 4, v17
	v_fmac_f32_e32 v15, v3, v40
	s_delay_alu instid0(VALU_DEP_4) | instskip(NEXT) | instid1(VALU_DEP_3)
	v_dual_fmac_f32 v2, v1, v12 :: v_dual_add_nc_u32 v31, 0x100, v31
	v_fmac_f32_e32 v14, v3, v33
	s_delay_alu instid0(VALU_DEP_4) | instskip(NEXT) | instid1(VALU_DEP_4)
	v_cmp_le_i32_e32 vcc_lo, s25, v17
	v_fmac_f32_e32 v15, v4, v39
	s_delay_alu instid0(VALU_DEP_4) | instskip(NEXT) | instid1(VALU_DEP_4)
	v_fmac_f32_e32 v2, v3, v11
	v_fmac_f32_e32 v14, v4, v32
	;; [unrolled: 1-line block ×3, first 2 shown]
	s_delay_alu instid0(VALU_DEP_4) | instskip(SKIP_1) | instid1(VALU_DEP_2)
	v_add_f32_e32 v28, v28, v15
	s_or_b32 s11, vcc_lo, s11
	v_dual_add_f32 v29, v29, v14 :: v_dual_fmac_f32 v16, v4, v20
	s_delay_alu instid0(VALU_DEP_1) | instskip(NEXT) | instid1(VALU_DEP_1)
	v_dual_fmac_f32 v2, v4, v5 :: v_dual_add_f32 v27, v27, v16
	v_add_f32_e32 v26, v26, v2
	s_and_not1_b32 exec_lo, exec_lo, s11
	s_cbranch_execz .LBB241_297
.LBB241_161:                            ; =>This Inner Loop Header: Depth=1
	global_load_b32 v1, v[9:10], off
	v_mov_b32_e32 v15, 0
	s_mov_b32 s0, exec_lo
	s_waitcnt vmcnt(0)
	v_mad_i64_i32 v[11:12], null, v1, s5, v[7:8]
	ds_load_b128 v[1:4], v31
	global_load_b32 v32, v[11:12], off
	s_waitcnt vmcnt(0)
	v_dual_mov_b32 v16, 0 :: v_dual_and_b32 v5, 0xff, v32
	s_delay_alu instid0(VALU_DEP_1) | instskip(NEXT) | instid1(VALU_DEP_2)
	v_dual_mov_b32 v13, v15 :: v_dual_mov_b32 v14, v16
	v_cmpx_ne_u16_e32 0, v5
	s_cbranch_execz .LBB241_169
; %bb.162:                              ;   in Loop: Header=BB241_161 Depth=1
	v_bfrev_b32_e32 v13, 1
	v_mov_b32_e32 v14, 0
	s_mov_b32 s2, exec_lo
	v_cmpx_ne_u16_e32 0x80, v5
	s_cbranch_execz .LBB241_168
; %bb.163:                              ;   in Loop: Header=BB241_161 Depth=1
	v_mov_b32_e32 v13, 0x7f800001
	v_and_b32_e32 v18, 0x7f, v32
	v_mov_b32_e32 v14, 0
	s_mov_b32 s14, exec_lo
	s_delay_alu instid0(VALU_DEP_2)
	v_cmpx_ne_u32_e32 0x7f, v18
	s_cbranch_execz .LBB241_167
; %bb.164:                              ;   in Loop: Header=BB241_161 Depth=1
	v_and_b32_e32 v5, 7, v32
	v_lshrrev_b32_e32 v13, 3, v18
	s_mov_b32 s16, exec_lo
	v_cmpx_gt_u32_e32 8, v18
; %bb.165:                              ;   in Loop: Header=BB241_161 Depth=1
	s_delay_alu instid0(VALU_DEP_3) | instskip(NEXT) | instid1(VALU_DEP_1)
	v_clz_i32_u32_e32 v13, v5
	v_min_u32_e32 v13, 32, v13
	s_delay_alu instid0(VALU_DEP_1) | instskip(SKIP_1) | instid1(VALU_DEP_2)
	v_subrev_nc_u32_e32 v14, 28, v13
	v_sub_nc_u32_e32 v13, 29, v13
	v_lshlrev_b64 v[18:19], v14, v[5:6]
	s_delay_alu instid0(VALU_DEP_1)
	v_and_b32_e32 v5, 7, v18
; %bb.166:                              ;   in Loop: Header=BB241_161 Depth=1
	s_or_b32 exec_lo, exec_lo, s16
	v_lshlrev_b32_e32 v14, 24, v32
	s_delay_alu instid0(VALU_DEP_2) | instskip(SKIP_1) | instid1(VALU_DEP_3)
	v_lshlrev_b32_e32 v5, 20, v5
	v_lshl_add_u32 v13, v13, 23, 0x3c000000
	v_and_b32_e32 v14, 0x80000000, v14
	s_delay_alu instid0(VALU_DEP_1) | instskip(NEXT) | instid1(VALU_DEP_1)
	v_or3_b32 v5, v5, v14, v13
	v_dual_mov_b32 v14, v6 :: v_dual_mov_b32 v13, v5
.LBB241_167:                            ;   in Loop: Header=BB241_161 Depth=1
	s_or_b32 exec_lo, exec_lo, s14
.LBB241_168:                            ;   in Loop: Header=BB241_161 Depth=1
	s_delay_alu instid0(SALU_CYCLE_1)
	s_or_b32 exec_lo, exec_lo, s2
.LBB241_169:                            ;   in Loop: Header=BB241_161 Depth=1
	s_delay_alu instid0(SALU_CYCLE_1) | instskip(SKIP_2) | instid1(VALU_DEP_1)
	s_or_b32 exec_lo, exec_lo, s0
	v_lshrrev_b16 v5, 8, v32
	s_mov_b32 s0, exec_lo
	v_cmpx_ne_u16_e32 0, v5
	s_cbranch_execz .LBB241_177
; %bb.170:                              ;   in Loop: Header=BB241_161 Depth=1
	v_dual_mov_b32 v16, s9 :: v_dual_mov_b32 v15, s8
	s_mov_b32 s14, exec_lo
	v_cmpx_ne_u16_e32 0x80, v5
	s_cbranch_execz .LBB241_176
; %bb.171:                              ;   in Loop: Header=BB241_161 Depth=1
	s_mov_b32 s2, s8
	v_dual_mov_b32 v16, s3 :: v_dual_and_b32 v5, 0xffff, v5
	v_mov_b32_e32 v15, s2
	s_mov_b32 s2, exec_lo
	s_delay_alu instid0(VALU_DEP_2) | instskip(NEXT) | instid1(VALU_DEP_1)
	v_and_b32_e32 v18, 0x7f, v5
	v_cmpx_ne_u32_e32 0x7f, v18
	s_cbranch_execz .LBB241_175
; %bb.172:                              ;   in Loop: Header=BB241_161 Depth=1
	v_and_b32_e32 v5, 7, v5
	v_lshrrev_b32_e32 v15, 3, v18
	s_mov_b32 s16, exec_lo
	v_cmpx_gt_u32_e32 8, v18
; %bb.173:                              ;   in Loop: Header=BB241_161 Depth=1
	s_delay_alu instid0(VALU_DEP_3) | instskip(NEXT) | instid1(VALU_DEP_1)
	v_clz_i32_u32_e32 v15, v5
	v_min_u32_e32 v15, 32, v15
	s_delay_alu instid0(VALU_DEP_1) | instskip(SKIP_1) | instid1(VALU_DEP_2)
	v_subrev_nc_u32_e32 v16, 28, v15
	v_sub_nc_u32_e32 v15, 29, v15
	v_lshlrev_b64 v[18:19], v16, v[5:6]
	s_delay_alu instid0(VALU_DEP_1)
	v_and_b32_e32 v5, 7, v18
; %bb.174:                              ;   in Loop: Header=BB241_161 Depth=1
	s_or_b32 exec_lo, exec_lo, s16
	v_lshlrev_b32_e32 v16, 16, v32
	s_delay_alu instid0(VALU_DEP_2) | instskip(SKIP_1) | instid1(VALU_DEP_3)
	v_lshlrev_b32_e32 v5, 20, v5
	v_lshl_add_u32 v15, v15, 23, 0x3c000000
	v_and_b32_e32 v16, 0x80000000, v16
	s_delay_alu instid0(VALU_DEP_1)
	v_or3_b32 v16, v5, v16, v15
	v_mov_b32_e32 v15, v6
.LBB241_175:                            ;   in Loop: Header=BB241_161 Depth=1
	s_or_b32 exec_lo, exec_lo, s2
.LBB241_176:                            ;   in Loop: Header=BB241_161 Depth=1
	s_delay_alu instid0(SALU_CYCLE_1)
	s_or_b32 exec_lo, exec_lo, s14
.LBB241_177:                            ;   in Loop: Header=BB241_161 Depth=1
	s_delay_alu instid0(SALU_CYCLE_1) | instskip(SKIP_3) | instid1(VALU_DEP_2)
	s_or_b32 exec_lo, exec_lo, s0
	v_lshrrev_b32_e32 v33, 16, v32
	v_mov_b32_e32 v20, 0
	v_mov_b32_e32 v21, 0
	;; [unrolled: 1-line block ×3, first 2 shown]
	s_mov_b32 s0, exec_lo
	v_and_b32_e32 v5, 0xff, v33
	s_delay_alu instid0(VALU_DEP_3) | instskip(NEXT) | instid1(VALU_DEP_2)
	v_mov_b32_e32 v19, v21
	v_cmpx_ne_u16_e32 0, v5
	s_cbranch_execz .LBB241_185
; %bb.178:                              ;   in Loop: Header=BB241_161 Depth=1
	v_bfrev_b32_e32 v18, 1
	v_mov_b32_e32 v19, 0
	s_mov_b32 s2, exec_lo
	v_cmpx_ne_u16_e32 0x80, v5
	s_cbranch_execz .LBB241_184
; %bb.179:                              ;   in Loop: Header=BB241_161 Depth=1
	v_mov_b32_e32 v18, 0x7f800001
	v_bfe_u32 v34, v32, 16, 7
	v_mov_b32_e32 v19, 0
	s_mov_b32 s14, exec_lo
	s_delay_alu instid0(VALU_DEP_2)
	v_cmpx_ne_u32_e32 0x7f, v34
	s_cbranch_execz .LBB241_183
; %bb.180:                              ;   in Loop: Header=BB241_161 Depth=1
	v_and_b32_e32 v5, 7, v33
	v_lshrrev_b32_e32 v18, 3, v34
	s_mov_b32 s16, exec_lo
	v_cmpx_gt_u32_e32 8, v34
; %bb.181:                              ;   in Loop: Header=BB241_161 Depth=1
	s_delay_alu instid0(VALU_DEP_3) | instskip(NEXT) | instid1(VALU_DEP_1)
	v_clz_i32_u32_e32 v18, v5
	v_min_u32_e32 v18, 32, v18
	s_delay_alu instid0(VALU_DEP_1) | instskip(SKIP_1) | instid1(VALU_DEP_2)
	v_subrev_nc_u32_e32 v19, 28, v18
	v_sub_nc_u32_e32 v18, 29, v18
	v_lshlrev_b64 v[34:35], v19, v[5:6]
	s_delay_alu instid0(VALU_DEP_1)
	v_and_b32_e32 v5, 7, v34
; %bb.182:                              ;   in Loop: Header=BB241_161 Depth=1
	s_or_b32 exec_lo, exec_lo, s16
	v_lshlrev_b32_e32 v19, 24, v33
	s_delay_alu instid0(VALU_DEP_2) | instskip(SKIP_1) | instid1(VALU_DEP_3)
	v_lshlrev_b32_e32 v5, 20, v5
	v_lshl_add_u32 v18, v18, 23, 0x3c000000
	v_and_b32_e32 v19, 0x80000000, v19
	s_delay_alu instid0(VALU_DEP_1) | instskip(NEXT) | instid1(VALU_DEP_1)
	v_or3_b32 v5, v5, v19, v18
	v_dual_mov_b32 v19, v6 :: v_dual_mov_b32 v18, v5
.LBB241_183:                            ;   in Loop: Header=BB241_161 Depth=1
	s_or_b32 exec_lo, exec_lo, s14
.LBB241_184:                            ;   in Loop: Header=BB241_161 Depth=1
	s_delay_alu instid0(SALU_CYCLE_1)
	s_or_b32 exec_lo, exec_lo, s2
.LBB241_185:                            ;   in Loop: Header=BB241_161 Depth=1
	s_delay_alu instid0(SALU_CYCLE_1) | instskip(NEXT) | instid1(SALU_CYCLE_1)
	s_or_b32 exec_lo, exec_lo, s0
	s_mov_b32 s0, exec_lo
	v_cmpx_lt_u32_e32 0xffffff, v32
	s_cbranch_execz .LBB241_193
; %bb.186:                              ;   in Loop: Header=BB241_161 Depth=1
	v_lshrrev_b32_e32 v33, 24, v32
	v_dual_mov_b32 v21, s9 :: v_dual_mov_b32 v20, s8
	s_mov_b32 s14, exec_lo
	s_delay_alu instid0(VALU_DEP_2)
	v_cmpx_ne_u32_e32 0x80, v33
	s_cbranch_execz .LBB241_192
; %bb.187:                              ;   in Loop: Header=BB241_161 Depth=1
	s_mov_b32 s2, s8
	v_bfe_u32 v32, v32, 24, 7
	v_dual_mov_b32 v21, s3 :: v_dual_mov_b32 v20, s2
	s_mov_b32 s2, exec_lo
	s_delay_alu instid0(VALU_DEP_2)
	v_cmpx_ne_u32_e32 0x7f, v32
	s_cbranch_execz .LBB241_191
; %bb.188:                              ;   in Loop: Header=BB241_161 Depth=1
	v_and_b32_e32 v5, 7, v33
	v_lshrrev_b32_e32 v20, 3, v32
	s_mov_b32 s16, exec_lo
	v_cmpx_gt_u32_e32 8, v32
; %bb.189:                              ;   in Loop: Header=BB241_161 Depth=1
	s_delay_alu instid0(VALU_DEP_3) | instskip(NEXT) | instid1(VALU_DEP_1)
	v_clz_i32_u32_e32 v20, v5
	v_min_u32_e32 v20, 32, v20
	s_delay_alu instid0(VALU_DEP_1) | instskip(SKIP_1) | instid1(VALU_DEP_2)
	v_subrev_nc_u32_e32 v21, 28, v20
	v_sub_nc_u32_e32 v20, 29, v20
	v_lshlrev_b64 v[34:35], v21, v[5:6]
	s_delay_alu instid0(VALU_DEP_1)
	v_and_b32_e32 v5, 7, v34
; %bb.190:                              ;   in Loop: Header=BB241_161 Depth=1
	s_or_b32 exec_lo, exec_lo, s16
	v_lshlrev_b32_e32 v21, 24, v33
	s_delay_alu instid0(VALU_DEP_2) | instskip(SKIP_1) | instid1(VALU_DEP_3)
	v_lshlrev_b32_e32 v5, 20, v5
	v_lshl_add_u32 v20, v20, 23, 0x3c000000
	v_and_b32_e32 v21, 0x80000000, v21
	s_delay_alu instid0(VALU_DEP_1)
	v_or3_b32 v21, v5, v21, v20
	v_mov_b32_e32 v20, v6
.LBB241_191:                            ;   in Loop: Header=BB241_161 Depth=1
	s_or_b32 exec_lo, exec_lo, s2
.LBB241_192:                            ;   in Loop: Header=BB241_161 Depth=1
	s_delay_alu instid0(SALU_CYCLE_1)
	s_or_b32 exec_lo, exec_lo, s14
.LBB241_193:                            ;   in Loop: Header=BB241_161 Depth=1
	s_delay_alu instid0(SALU_CYCLE_1) | instskip(SKIP_4) | instid1(VALU_DEP_4)
	s_or_b32 exec_lo, exec_lo, s0
	v_or_b32_e32 v5, v16, v14
	v_or_b32_e32 v13, v15, v13
	;; [unrolled: 1-line block ×4, first 2 shown]
	v_dual_mul_f32 v35, s10, v5 :: v_dual_add_nc_u32 v36, -3, v30
	v_cmp_eq_u32_e32 vcc_lo, s34, v17
	s_delay_alu instid0(VALU_DEP_3)
	v_dual_mul_f32 v34, s7, v13 :: v_dual_mul_f32 v33, s7, v15
	v_mul_f32_e32 v32, s10, v14
	v_add_nc_u32_e32 v38, -2, v30
	v_add_nc_u32_e32 v37, -1, v30
	s_and_saveexec_b32 s2, vcc_lo
; %bb.194:                              ;   in Loop: Header=BB241_161 Depth=1
	v_cmp_gt_i32_e64 s0, s15, v36
	s_delay_alu instid0(VALU_DEP_1) | instskip(SKIP_1) | instid1(VALU_DEP_1)
	v_cndmask_b32_e64 v34, 0, v34, s0
	v_cmp_gt_i32_e64 s0, s15, v38
	v_cndmask_b32_e64 v35, 0, v35, s0
	v_cmp_gt_i32_e64 s0, s15, v37
	s_delay_alu instid0(VALU_DEP_1) | instskip(SKIP_1) | instid1(VALU_DEP_1)
	v_cndmask_b32_e64 v33, 0, v33, s0
	v_cmp_gt_i32_e64 s0, s15, v30
	v_cndmask_b32_e64 v32, 0, v32, s0
; %bb.195:                              ;   in Loop: Header=BB241_161 Depth=1
	s_or_b32 exec_lo, exec_lo, s2
	global_load_b32 v39, v[11:12], off offset:128
	v_mov_b32_e32 v15, 0
	v_mov_b32_e32 v16, 0
	s_mov_b32 s2, exec_lo
	s_waitcnt vmcnt(0)
	v_and_b32_e32 v5, 0xff, v39
	s_delay_alu instid0(VALU_DEP_2) | instskip(NEXT) | instid1(VALU_DEP_2)
	v_dual_mov_b32 v13, v15 :: v_dual_mov_b32 v14, v16
	v_cmpx_ne_u16_e32 0, v5
	s_cbranch_execz .LBB241_203
; %bb.196:                              ;   in Loop: Header=BB241_161 Depth=1
	v_bfrev_b32_e32 v13, 1
	v_mov_b32_e32 v14, 0
	s_mov_b32 s14, exec_lo
	v_cmpx_ne_u16_e32 0x80, v5
	s_cbranch_execz .LBB241_202
; %bb.197:                              ;   in Loop: Header=BB241_161 Depth=1
	v_mov_b32_e32 v13, 0x7f800001
	v_and_b32_e32 v18, 0x7f, v39
	v_mov_b32_e32 v14, 0
	s_mov_b32 s16, exec_lo
	s_delay_alu instid0(VALU_DEP_2)
	v_cmpx_ne_u32_e32 0x7f, v18
	s_cbranch_execz .LBB241_201
; %bb.198:                              ;   in Loop: Header=BB241_161 Depth=1
	v_and_b32_e32 v5, 7, v39
	v_lshrrev_b32_e32 v13, 3, v18
	s_mov_b32 s17, exec_lo
	v_cmpx_gt_u32_e32 8, v18
; %bb.199:                              ;   in Loop: Header=BB241_161 Depth=1
	s_delay_alu instid0(VALU_DEP_3) | instskip(NEXT) | instid1(VALU_DEP_1)
	v_clz_i32_u32_e32 v13, v5
	v_min_u32_e32 v13, 32, v13
	s_delay_alu instid0(VALU_DEP_1) | instskip(SKIP_1) | instid1(VALU_DEP_2)
	v_subrev_nc_u32_e32 v14, 28, v13
	v_sub_nc_u32_e32 v13, 29, v13
	v_lshlrev_b64 v[18:19], v14, v[5:6]
	s_delay_alu instid0(VALU_DEP_1)
	v_and_b32_e32 v5, 7, v18
; %bb.200:                              ;   in Loop: Header=BB241_161 Depth=1
	s_or_b32 exec_lo, exec_lo, s17
	v_lshlrev_b32_e32 v14, 24, v39
	s_delay_alu instid0(VALU_DEP_2) | instskip(SKIP_1) | instid1(VALU_DEP_3)
	v_lshlrev_b32_e32 v5, 20, v5
	v_lshl_add_u32 v13, v13, 23, 0x3c000000
	v_and_b32_e32 v14, 0x80000000, v14
	s_delay_alu instid0(VALU_DEP_1) | instskip(NEXT) | instid1(VALU_DEP_1)
	v_or3_b32 v5, v5, v14, v13
	v_dual_mov_b32 v14, v6 :: v_dual_mov_b32 v13, v5
.LBB241_201:                            ;   in Loop: Header=BB241_161 Depth=1
	s_or_b32 exec_lo, exec_lo, s16
.LBB241_202:                            ;   in Loop: Header=BB241_161 Depth=1
	s_delay_alu instid0(SALU_CYCLE_1)
	s_or_b32 exec_lo, exec_lo, s14
.LBB241_203:                            ;   in Loop: Header=BB241_161 Depth=1
	s_delay_alu instid0(SALU_CYCLE_1) | instskip(SKIP_2) | instid1(VALU_DEP_1)
	s_or_b32 exec_lo, exec_lo, s2
	v_lshrrev_b16 v5, 8, v39
	s_mov_b32 s14, exec_lo
	v_cmpx_ne_u16_e32 0, v5
	s_cbranch_execz .LBB241_211
; %bb.204:                              ;   in Loop: Header=BB241_161 Depth=1
	v_dual_mov_b32 v16, s9 :: v_dual_mov_b32 v15, s8
	s_mov_b32 s16, exec_lo
	v_cmpx_ne_u16_e32 0x80, v5
	s_cbranch_execz .LBB241_210
; %bb.205:                              ;   in Loop: Header=BB241_161 Depth=1
	s_mov_b32 s2, s8
	v_dual_mov_b32 v16, s3 :: v_dual_and_b32 v5, 0xffff, v5
	v_mov_b32_e32 v15, s2
	s_mov_b32 s2, exec_lo
	s_delay_alu instid0(VALU_DEP_2) | instskip(NEXT) | instid1(VALU_DEP_1)
	v_and_b32_e32 v18, 0x7f, v5
	v_cmpx_ne_u32_e32 0x7f, v18
	s_cbranch_execz .LBB241_209
; %bb.206:                              ;   in Loop: Header=BB241_161 Depth=1
	v_and_b32_e32 v5, 7, v5
	v_lshrrev_b32_e32 v15, 3, v18
	s_mov_b32 s17, exec_lo
	v_cmpx_gt_u32_e32 8, v18
; %bb.207:                              ;   in Loop: Header=BB241_161 Depth=1
	s_delay_alu instid0(VALU_DEP_3) | instskip(NEXT) | instid1(VALU_DEP_1)
	v_clz_i32_u32_e32 v15, v5
	v_min_u32_e32 v15, 32, v15
	s_delay_alu instid0(VALU_DEP_1) | instskip(SKIP_1) | instid1(VALU_DEP_2)
	v_subrev_nc_u32_e32 v16, 28, v15
	v_sub_nc_u32_e32 v15, 29, v15
	v_lshlrev_b64 v[18:19], v16, v[5:6]
	s_delay_alu instid0(VALU_DEP_1)
	v_and_b32_e32 v5, 7, v18
; %bb.208:                              ;   in Loop: Header=BB241_161 Depth=1
	s_or_b32 exec_lo, exec_lo, s17
	v_lshlrev_b32_e32 v16, 16, v39
	s_delay_alu instid0(VALU_DEP_2) | instskip(SKIP_1) | instid1(VALU_DEP_3)
	v_lshlrev_b32_e32 v5, 20, v5
	v_lshl_add_u32 v15, v15, 23, 0x3c000000
	v_and_b32_e32 v16, 0x80000000, v16
	s_delay_alu instid0(VALU_DEP_1)
	v_or3_b32 v16, v5, v16, v15
	v_mov_b32_e32 v15, v6
.LBB241_209:                            ;   in Loop: Header=BB241_161 Depth=1
	s_or_b32 exec_lo, exec_lo, s2
.LBB241_210:                            ;   in Loop: Header=BB241_161 Depth=1
	s_delay_alu instid0(SALU_CYCLE_1)
	s_or_b32 exec_lo, exec_lo, s16
.LBB241_211:                            ;   in Loop: Header=BB241_161 Depth=1
	s_delay_alu instid0(SALU_CYCLE_1) | instskip(SKIP_3) | instid1(VALU_DEP_2)
	s_or_b32 exec_lo, exec_lo, s14
	v_lshrrev_b32_e32 v40, 16, v39
	v_mov_b32_e32 v20, 0
	v_mov_b32_e32 v21, 0
	;; [unrolled: 1-line block ×3, first 2 shown]
	s_mov_b32 s2, exec_lo
	v_and_b32_e32 v5, 0xff, v40
	s_delay_alu instid0(VALU_DEP_3) | instskip(NEXT) | instid1(VALU_DEP_2)
	v_mov_b32_e32 v19, v21
	v_cmpx_ne_u16_e32 0, v5
	s_cbranch_execz .LBB241_219
; %bb.212:                              ;   in Loop: Header=BB241_161 Depth=1
	v_bfrev_b32_e32 v18, 1
	v_mov_b32_e32 v19, 0
	s_mov_b32 s14, exec_lo
	v_cmpx_ne_u16_e32 0x80, v5
	s_cbranch_execz .LBB241_218
; %bb.213:                              ;   in Loop: Header=BB241_161 Depth=1
	v_mov_b32_e32 v18, 0x7f800001
	v_bfe_u32 v41, v39, 16, 7
	v_mov_b32_e32 v19, 0
	s_mov_b32 s16, exec_lo
	s_delay_alu instid0(VALU_DEP_2)
	v_cmpx_ne_u32_e32 0x7f, v41
	s_cbranch_execz .LBB241_217
; %bb.214:                              ;   in Loop: Header=BB241_161 Depth=1
	v_and_b32_e32 v5, 7, v40
	v_lshrrev_b32_e32 v18, 3, v41
	s_mov_b32 s17, exec_lo
	v_cmpx_gt_u32_e32 8, v41
; %bb.215:                              ;   in Loop: Header=BB241_161 Depth=1
	s_delay_alu instid0(VALU_DEP_3) | instskip(NEXT) | instid1(VALU_DEP_1)
	v_clz_i32_u32_e32 v18, v5
	v_min_u32_e32 v18, 32, v18
	s_delay_alu instid0(VALU_DEP_1) | instskip(SKIP_1) | instid1(VALU_DEP_2)
	v_subrev_nc_u32_e32 v19, 28, v18
	v_sub_nc_u32_e32 v18, 29, v18
	v_lshlrev_b64 v[41:42], v19, v[5:6]
	s_delay_alu instid0(VALU_DEP_1)
	v_and_b32_e32 v5, 7, v41
; %bb.216:                              ;   in Loop: Header=BB241_161 Depth=1
	s_or_b32 exec_lo, exec_lo, s17
	v_lshlrev_b32_e32 v19, 24, v40
	s_delay_alu instid0(VALU_DEP_2) | instskip(SKIP_1) | instid1(VALU_DEP_3)
	v_lshlrev_b32_e32 v5, 20, v5
	v_lshl_add_u32 v18, v18, 23, 0x3c000000
	v_and_b32_e32 v19, 0x80000000, v19
	s_delay_alu instid0(VALU_DEP_1) | instskip(NEXT) | instid1(VALU_DEP_1)
	v_or3_b32 v5, v5, v19, v18
	v_dual_mov_b32 v19, v6 :: v_dual_mov_b32 v18, v5
.LBB241_217:                            ;   in Loop: Header=BB241_161 Depth=1
	s_or_b32 exec_lo, exec_lo, s16
.LBB241_218:                            ;   in Loop: Header=BB241_161 Depth=1
	s_delay_alu instid0(SALU_CYCLE_1)
	s_or_b32 exec_lo, exec_lo, s14
.LBB241_219:                            ;   in Loop: Header=BB241_161 Depth=1
	s_delay_alu instid0(SALU_CYCLE_1) | instskip(NEXT) | instid1(SALU_CYCLE_1)
	s_or_b32 exec_lo, exec_lo, s2
	s_mov_b32 s14, exec_lo
	v_cmpx_lt_u32_e32 0xffffff, v39
	s_cbranch_execz .LBB241_227
; %bb.220:                              ;   in Loop: Header=BB241_161 Depth=1
	v_lshrrev_b32_e32 v40, 24, v39
	v_dual_mov_b32 v21, s9 :: v_dual_mov_b32 v20, s8
	s_mov_b32 s16, exec_lo
	s_delay_alu instid0(VALU_DEP_2)
	v_cmpx_ne_u32_e32 0x80, v40
	s_cbranch_execz .LBB241_226
; %bb.221:                              ;   in Loop: Header=BB241_161 Depth=1
	s_mov_b32 s2, s8
	v_bfe_u32 v39, v39, 24, 7
	v_dual_mov_b32 v21, s3 :: v_dual_mov_b32 v20, s2
	s_mov_b32 s2, exec_lo
	s_delay_alu instid0(VALU_DEP_2)
	v_cmpx_ne_u32_e32 0x7f, v39
	s_cbranch_execz .LBB241_225
; %bb.222:                              ;   in Loop: Header=BB241_161 Depth=1
	v_and_b32_e32 v5, 7, v40
	v_lshrrev_b32_e32 v20, 3, v39
	s_mov_b32 s17, exec_lo
	v_cmpx_gt_u32_e32 8, v39
; %bb.223:                              ;   in Loop: Header=BB241_161 Depth=1
	s_delay_alu instid0(VALU_DEP_3) | instskip(NEXT) | instid1(VALU_DEP_1)
	v_clz_i32_u32_e32 v20, v5
	v_min_u32_e32 v20, 32, v20
	s_delay_alu instid0(VALU_DEP_1) | instskip(SKIP_1) | instid1(VALU_DEP_2)
	v_subrev_nc_u32_e32 v21, 28, v20
	v_sub_nc_u32_e32 v20, 29, v20
	v_lshlrev_b64 v[41:42], v21, v[5:6]
	s_delay_alu instid0(VALU_DEP_1)
	v_and_b32_e32 v5, 7, v41
; %bb.224:                              ;   in Loop: Header=BB241_161 Depth=1
	s_or_b32 exec_lo, exec_lo, s17
	v_lshlrev_b32_e32 v21, 24, v40
	s_delay_alu instid0(VALU_DEP_2) | instskip(SKIP_1) | instid1(VALU_DEP_3)
	v_lshlrev_b32_e32 v5, 20, v5
	v_lshl_add_u32 v20, v20, 23, 0x3c000000
	v_and_b32_e32 v21, 0x80000000, v21
	s_delay_alu instid0(VALU_DEP_1)
	v_or3_b32 v21, v5, v21, v20
	v_mov_b32_e32 v20, v6
.LBB241_225:                            ;   in Loop: Header=BB241_161 Depth=1
	s_or_b32 exec_lo, exec_lo, s2
.LBB241_226:                            ;   in Loop: Header=BB241_161 Depth=1
	s_delay_alu instid0(SALU_CYCLE_1)
	s_or_b32 exec_lo, exec_lo, s16
.LBB241_227:                            ;   in Loop: Header=BB241_161 Depth=1
	s_delay_alu instid0(SALU_CYCLE_1) | instskip(SKIP_4) | instid1(VALU_DEP_4)
	s_or_b32 exec_lo, exec_lo, s14
	v_or_b32_e32 v5, v16, v14
	v_or_b32_e32 v13, v15, v13
	;; [unrolled: 1-line block ×4, first 2 shown]
	v_mul_f32_e32 v42, s10, v5
	s_delay_alu instid0(VALU_DEP_4) | instskip(NEXT) | instid1(VALU_DEP_3)
	v_mul_f32_e32 v41, s7, v13
	v_dual_mul_f32 v39, s10, v14 :: v_dual_mul_f32 v40, s7, v15
	s_and_saveexec_b32 s2, vcc_lo
; %bb.228:                              ;   in Loop: Header=BB241_161 Depth=1
	v_cmp_gt_i32_e64 s0, s15, v36
	s_delay_alu instid0(VALU_DEP_1) | instskip(SKIP_1) | instid1(VALU_DEP_1)
	v_cndmask_b32_e64 v41, 0, v41, s0
	v_cmp_gt_i32_e64 s0, s15, v38
	v_cndmask_b32_e64 v42, 0, v42, s0
	v_cmp_gt_i32_e64 s0, s15, v37
	s_delay_alu instid0(VALU_DEP_1) | instskip(SKIP_1) | instid1(VALU_DEP_1)
	v_cndmask_b32_e64 v40, 0, v40, s0
	v_cmp_gt_i32_e64 s0, s15, v30
	v_cndmask_b32_e64 v39, 0, v39, s0
; %bb.229:                              ;   in Loop: Header=BB241_161 Depth=1
	s_or_b32 exec_lo, exec_lo, s2
	global_load_b32 v43, v[11:12], off offset:256
	v_mov_b32_e32 v15, 0
	v_mov_b32_e32 v16, 0
	s_mov_b32 s2, exec_lo
	s_waitcnt vmcnt(0)
	v_and_b32_e32 v5, 0xff, v43
	s_delay_alu instid0(VALU_DEP_2) | instskip(NEXT) | instid1(VALU_DEP_2)
	v_dual_mov_b32 v13, v15 :: v_dual_mov_b32 v14, v16
	v_cmpx_ne_u16_e32 0, v5
	s_cbranch_execz .LBB241_237
; %bb.230:                              ;   in Loop: Header=BB241_161 Depth=1
	v_bfrev_b32_e32 v13, 1
	v_mov_b32_e32 v14, 0
	s_mov_b32 s14, exec_lo
	v_cmpx_ne_u16_e32 0x80, v5
	s_cbranch_execz .LBB241_236
; %bb.231:                              ;   in Loop: Header=BB241_161 Depth=1
	v_mov_b32_e32 v13, 0x7f800001
	v_and_b32_e32 v18, 0x7f, v43
	v_mov_b32_e32 v14, 0
	s_mov_b32 s16, exec_lo
	s_delay_alu instid0(VALU_DEP_2)
	v_cmpx_ne_u32_e32 0x7f, v18
	s_cbranch_execz .LBB241_235
; %bb.232:                              ;   in Loop: Header=BB241_161 Depth=1
	v_and_b32_e32 v5, 7, v43
	v_lshrrev_b32_e32 v13, 3, v18
	s_mov_b32 s17, exec_lo
	v_cmpx_gt_u32_e32 8, v18
; %bb.233:                              ;   in Loop: Header=BB241_161 Depth=1
	s_delay_alu instid0(VALU_DEP_3) | instskip(NEXT) | instid1(VALU_DEP_1)
	v_clz_i32_u32_e32 v13, v5
	v_min_u32_e32 v13, 32, v13
	s_delay_alu instid0(VALU_DEP_1) | instskip(SKIP_1) | instid1(VALU_DEP_2)
	v_subrev_nc_u32_e32 v14, 28, v13
	v_sub_nc_u32_e32 v13, 29, v13
	v_lshlrev_b64 v[18:19], v14, v[5:6]
	s_delay_alu instid0(VALU_DEP_1)
	v_and_b32_e32 v5, 7, v18
; %bb.234:                              ;   in Loop: Header=BB241_161 Depth=1
	s_or_b32 exec_lo, exec_lo, s17
	v_lshlrev_b32_e32 v14, 24, v43
	s_delay_alu instid0(VALU_DEP_2) | instskip(SKIP_1) | instid1(VALU_DEP_3)
	v_lshlrev_b32_e32 v5, 20, v5
	v_lshl_add_u32 v13, v13, 23, 0x3c000000
	v_and_b32_e32 v14, 0x80000000, v14
	s_delay_alu instid0(VALU_DEP_1) | instskip(NEXT) | instid1(VALU_DEP_1)
	v_or3_b32 v5, v5, v14, v13
	v_dual_mov_b32 v14, v6 :: v_dual_mov_b32 v13, v5
.LBB241_235:                            ;   in Loop: Header=BB241_161 Depth=1
	s_or_b32 exec_lo, exec_lo, s16
.LBB241_236:                            ;   in Loop: Header=BB241_161 Depth=1
	s_delay_alu instid0(SALU_CYCLE_1)
	s_or_b32 exec_lo, exec_lo, s14
.LBB241_237:                            ;   in Loop: Header=BB241_161 Depth=1
	s_delay_alu instid0(SALU_CYCLE_1) | instskip(SKIP_2) | instid1(VALU_DEP_1)
	s_or_b32 exec_lo, exec_lo, s2
	v_lshrrev_b16 v5, 8, v43
	s_mov_b32 s14, exec_lo
	v_cmpx_ne_u16_e32 0, v5
	s_cbranch_execz .LBB241_245
; %bb.238:                              ;   in Loop: Header=BB241_161 Depth=1
	v_dual_mov_b32 v16, s9 :: v_dual_mov_b32 v15, s8
	s_mov_b32 s16, exec_lo
	v_cmpx_ne_u16_e32 0x80, v5
	s_cbranch_execz .LBB241_244
; %bb.239:                              ;   in Loop: Header=BB241_161 Depth=1
	s_mov_b32 s2, s8
	v_dual_mov_b32 v16, s3 :: v_dual_and_b32 v5, 0xffff, v5
	v_mov_b32_e32 v15, s2
	s_mov_b32 s2, exec_lo
	s_delay_alu instid0(VALU_DEP_2) | instskip(NEXT) | instid1(VALU_DEP_1)
	v_and_b32_e32 v18, 0x7f, v5
	v_cmpx_ne_u32_e32 0x7f, v18
	s_cbranch_execz .LBB241_243
; %bb.240:                              ;   in Loop: Header=BB241_161 Depth=1
	v_and_b32_e32 v5, 7, v5
	v_lshrrev_b32_e32 v15, 3, v18
	s_mov_b32 s17, exec_lo
	v_cmpx_gt_u32_e32 8, v18
; %bb.241:                              ;   in Loop: Header=BB241_161 Depth=1
	s_delay_alu instid0(VALU_DEP_3) | instskip(NEXT) | instid1(VALU_DEP_1)
	v_clz_i32_u32_e32 v15, v5
	v_min_u32_e32 v15, 32, v15
	s_delay_alu instid0(VALU_DEP_1) | instskip(SKIP_1) | instid1(VALU_DEP_2)
	v_subrev_nc_u32_e32 v16, 28, v15
	v_sub_nc_u32_e32 v15, 29, v15
	v_lshlrev_b64 v[18:19], v16, v[5:6]
	s_delay_alu instid0(VALU_DEP_1)
	v_and_b32_e32 v5, 7, v18
; %bb.242:                              ;   in Loop: Header=BB241_161 Depth=1
	s_or_b32 exec_lo, exec_lo, s17
	v_lshlrev_b32_e32 v16, 16, v43
	s_delay_alu instid0(VALU_DEP_2) | instskip(SKIP_1) | instid1(VALU_DEP_3)
	v_lshlrev_b32_e32 v5, 20, v5
	v_lshl_add_u32 v15, v15, 23, 0x3c000000
	v_and_b32_e32 v16, 0x80000000, v16
	s_delay_alu instid0(VALU_DEP_1)
	v_or3_b32 v16, v5, v16, v15
	v_mov_b32_e32 v15, v6
.LBB241_243:                            ;   in Loop: Header=BB241_161 Depth=1
	s_or_b32 exec_lo, exec_lo, s2
.LBB241_244:                            ;   in Loop: Header=BB241_161 Depth=1
	s_delay_alu instid0(SALU_CYCLE_1)
	s_or_b32 exec_lo, exec_lo, s16
.LBB241_245:                            ;   in Loop: Header=BB241_161 Depth=1
	s_delay_alu instid0(SALU_CYCLE_1) | instskip(SKIP_3) | instid1(VALU_DEP_2)
	s_or_b32 exec_lo, exec_lo, s14
	v_lshrrev_b32_e32 v44, 16, v43
	v_mov_b32_e32 v20, 0
	v_mov_b32_e32 v21, 0
	;; [unrolled: 1-line block ×3, first 2 shown]
	s_mov_b32 s2, exec_lo
	v_and_b32_e32 v5, 0xff, v44
	s_delay_alu instid0(VALU_DEP_3) | instskip(NEXT) | instid1(VALU_DEP_2)
	v_mov_b32_e32 v19, v21
	v_cmpx_ne_u16_e32 0, v5
	s_cbranch_execz .LBB241_253
; %bb.246:                              ;   in Loop: Header=BB241_161 Depth=1
	v_bfrev_b32_e32 v18, 1
	v_mov_b32_e32 v19, 0
	s_mov_b32 s14, exec_lo
	v_cmpx_ne_u16_e32 0x80, v5
	s_cbranch_execz .LBB241_252
; %bb.247:                              ;   in Loop: Header=BB241_161 Depth=1
	v_mov_b32_e32 v18, 0x7f800001
	v_bfe_u32 v45, v43, 16, 7
	v_mov_b32_e32 v19, 0
	s_mov_b32 s16, exec_lo
	s_delay_alu instid0(VALU_DEP_2)
	v_cmpx_ne_u32_e32 0x7f, v45
	s_cbranch_execz .LBB241_251
; %bb.248:                              ;   in Loop: Header=BB241_161 Depth=1
	v_and_b32_e32 v5, 7, v44
	v_lshrrev_b32_e32 v18, 3, v45
	s_mov_b32 s17, exec_lo
	v_cmpx_gt_u32_e32 8, v45
; %bb.249:                              ;   in Loop: Header=BB241_161 Depth=1
	s_delay_alu instid0(VALU_DEP_3) | instskip(NEXT) | instid1(VALU_DEP_1)
	v_clz_i32_u32_e32 v18, v5
	v_min_u32_e32 v18, 32, v18
	s_delay_alu instid0(VALU_DEP_1) | instskip(SKIP_1) | instid1(VALU_DEP_2)
	v_subrev_nc_u32_e32 v19, 28, v18
	v_sub_nc_u32_e32 v18, 29, v18
	v_lshlrev_b64 v[45:46], v19, v[5:6]
	s_delay_alu instid0(VALU_DEP_1)
	v_and_b32_e32 v5, 7, v45
; %bb.250:                              ;   in Loop: Header=BB241_161 Depth=1
	s_or_b32 exec_lo, exec_lo, s17
	v_lshlrev_b32_e32 v19, 24, v44
	s_delay_alu instid0(VALU_DEP_2) | instskip(SKIP_1) | instid1(VALU_DEP_3)
	v_lshlrev_b32_e32 v5, 20, v5
	v_lshl_add_u32 v18, v18, 23, 0x3c000000
	v_and_b32_e32 v19, 0x80000000, v19
	s_delay_alu instid0(VALU_DEP_1) | instskip(NEXT) | instid1(VALU_DEP_1)
	v_or3_b32 v5, v5, v19, v18
	v_dual_mov_b32 v19, v6 :: v_dual_mov_b32 v18, v5
.LBB241_251:                            ;   in Loop: Header=BB241_161 Depth=1
	s_or_b32 exec_lo, exec_lo, s16
.LBB241_252:                            ;   in Loop: Header=BB241_161 Depth=1
	s_delay_alu instid0(SALU_CYCLE_1)
	s_or_b32 exec_lo, exec_lo, s14
.LBB241_253:                            ;   in Loop: Header=BB241_161 Depth=1
	s_delay_alu instid0(SALU_CYCLE_1) | instskip(NEXT) | instid1(SALU_CYCLE_1)
	s_or_b32 exec_lo, exec_lo, s2
	s_mov_b32 s14, exec_lo
	v_cmpx_lt_u32_e32 0xffffff, v43
	s_cbranch_execz .LBB241_261
; %bb.254:                              ;   in Loop: Header=BB241_161 Depth=1
	v_lshrrev_b32_e32 v44, 24, v43
	v_dual_mov_b32 v21, s9 :: v_dual_mov_b32 v20, s8
	s_mov_b32 s16, exec_lo
	s_delay_alu instid0(VALU_DEP_2)
	v_cmpx_ne_u32_e32 0x80, v44
	s_cbranch_execz .LBB241_260
; %bb.255:                              ;   in Loop: Header=BB241_161 Depth=1
	s_mov_b32 s2, s8
	v_bfe_u32 v43, v43, 24, 7
	v_dual_mov_b32 v21, s3 :: v_dual_mov_b32 v20, s2
	s_mov_b32 s2, exec_lo
	s_delay_alu instid0(VALU_DEP_2)
	v_cmpx_ne_u32_e32 0x7f, v43
	s_cbranch_execz .LBB241_259
; %bb.256:                              ;   in Loop: Header=BB241_161 Depth=1
	v_and_b32_e32 v5, 7, v44
	v_lshrrev_b32_e32 v20, 3, v43
	s_mov_b32 s17, exec_lo
	v_cmpx_gt_u32_e32 8, v43
; %bb.257:                              ;   in Loop: Header=BB241_161 Depth=1
	s_delay_alu instid0(VALU_DEP_3) | instskip(NEXT) | instid1(VALU_DEP_1)
	v_clz_i32_u32_e32 v20, v5
	v_min_u32_e32 v20, 32, v20
	s_delay_alu instid0(VALU_DEP_1) | instskip(SKIP_1) | instid1(VALU_DEP_2)
	v_subrev_nc_u32_e32 v21, 28, v20
	v_sub_nc_u32_e32 v20, 29, v20
	v_lshlrev_b64 v[45:46], v21, v[5:6]
	s_delay_alu instid0(VALU_DEP_1)
	v_and_b32_e32 v5, 7, v45
; %bb.258:                              ;   in Loop: Header=BB241_161 Depth=1
	s_or_b32 exec_lo, exec_lo, s17
	v_lshlrev_b32_e32 v21, 24, v44
	s_delay_alu instid0(VALU_DEP_2) | instskip(SKIP_1) | instid1(VALU_DEP_3)
	v_lshlrev_b32_e32 v5, 20, v5
	v_lshl_add_u32 v20, v20, 23, 0x3c000000
	v_and_b32_e32 v21, 0x80000000, v21
	s_delay_alu instid0(VALU_DEP_1)
	v_or3_b32 v21, v5, v21, v20
	v_mov_b32_e32 v20, v6
.LBB241_259:                            ;   in Loop: Header=BB241_161 Depth=1
	s_or_b32 exec_lo, exec_lo, s2
.LBB241_260:                            ;   in Loop: Header=BB241_161 Depth=1
	s_delay_alu instid0(SALU_CYCLE_1)
	s_or_b32 exec_lo, exec_lo, s16
.LBB241_261:                            ;   in Loop: Header=BB241_161 Depth=1
	s_delay_alu instid0(SALU_CYCLE_1) | instskip(SKIP_4) | instid1(VALU_DEP_4)
	s_or_b32 exec_lo, exec_lo, s14
	v_or_b32_e32 v5, v16, v14
	v_or_b32_e32 v13, v15, v13
	;; [unrolled: 1-line block ×4, first 2 shown]
	v_mul_f32_e32 v44, s10, v5
	s_delay_alu instid0(VALU_DEP_3) | instskip(NEXT) | instid1(VALU_DEP_3)
	v_dual_mul_f32 v43, s7, v13 :: v_dual_mul_f32 v20, s10, v14
	v_mul_f32_e32 v21, s7, v15
	s_and_saveexec_b32 s2, vcc_lo
; %bb.262:                              ;   in Loop: Header=BB241_161 Depth=1
	v_cmp_gt_i32_e64 s0, s15, v36
	s_delay_alu instid0(VALU_DEP_1) | instskip(SKIP_1) | instid1(VALU_DEP_1)
	v_cndmask_b32_e64 v43, 0, v43, s0
	v_cmp_gt_i32_e64 s0, s15, v38
	v_cndmask_b32_e64 v44, 0, v44, s0
	v_cmp_gt_i32_e64 s0, s15, v37
	s_delay_alu instid0(VALU_DEP_1) | instskip(SKIP_1) | instid1(VALU_DEP_1)
	v_cndmask_b32_e64 v21, 0, v21, s0
	v_cmp_gt_i32_e64 s0, s15, v30
	v_cndmask_b32_e64 v20, 0, v20, s0
; %bb.263:                              ;   in Loop: Header=BB241_161 Depth=1
	s_or_b32 exec_lo, exec_lo, s2
	global_load_b32 v45, v[11:12], off offset:384
	v_mov_b32_e32 v13, 0
	v_mov_b32_e32 v14, 0
	s_mov_b32 s2, exec_lo
	s_waitcnt vmcnt(0)
	v_and_b32_e32 v5, 0xff, v45
	s_delay_alu instid0(VALU_DEP_2) | instskip(NEXT) | instid1(VALU_DEP_2)
	v_dual_mov_b32 v11, v13 :: v_dual_mov_b32 v12, v14
	v_cmpx_ne_u16_e32 0, v5
	s_cbranch_execz .LBB241_271
; %bb.264:                              ;   in Loop: Header=BB241_161 Depth=1
	v_bfrev_b32_e32 v11, 1
	v_mov_b32_e32 v12, 0
	s_mov_b32 s14, exec_lo
	v_cmpx_ne_u16_e32 0x80, v5
	s_cbranch_execz .LBB241_270
; %bb.265:                              ;   in Loop: Header=BB241_161 Depth=1
	v_mov_b32_e32 v11, 0x7f800001
	v_dual_mov_b32 v12, 0 :: v_dual_and_b32 v15, 0x7f, v45
	s_mov_b32 s16, exec_lo
	s_delay_alu instid0(VALU_DEP_1)
	v_cmpx_ne_u32_e32 0x7f, v15
	s_cbranch_execz .LBB241_269
; %bb.266:                              ;   in Loop: Header=BB241_161 Depth=1
	v_and_b32_e32 v5, 7, v45
	v_lshrrev_b32_e32 v11, 3, v15
	s_mov_b32 s17, exec_lo
	v_cmpx_gt_u32_e32 8, v15
; %bb.267:                              ;   in Loop: Header=BB241_161 Depth=1
	s_delay_alu instid0(VALU_DEP_3) | instskip(NEXT) | instid1(VALU_DEP_1)
	v_clz_i32_u32_e32 v11, v5
	v_min_u32_e32 v11, 32, v11
	s_delay_alu instid0(VALU_DEP_1) | instskip(SKIP_1) | instid1(VALU_DEP_2)
	v_subrev_nc_u32_e32 v12, 28, v11
	v_sub_nc_u32_e32 v11, 29, v11
	v_lshlrev_b64 v[15:16], v12, v[5:6]
	s_delay_alu instid0(VALU_DEP_1)
	v_and_b32_e32 v5, 7, v15
; %bb.268:                              ;   in Loop: Header=BB241_161 Depth=1
	s_or_b32 exec_lo, exec_lo, s17
	v_lshlrev_b32_e32 v12, 24, v45
	s_delay_alu instid0(VALU_DEP_2) | instskip(SKIP_1) | instid1(VALU_DEP_3)
	v_lshlrev_b32_e32 v5, 20, v5
	v_lshl_add_u32 v11, v11, 23, 0x3c000000
	v_and_b32_e32 v12, 0x80000000, v12
	s_delay_alu instid0(VALU_DEP_1) | instskip(NEXT) | instid1(VALU_DEP_1)
	v_or3_b32 v5, v5, v12, v11
	v_dual_mov_b32 v12, v6 :: v_dual_mov_b32 v11, v5
.LBB241_269:                            ;   in Loop: Header=BB241_161 Depth=1
	s_or_b32 exec_lo, exec_lo, s16
.LBB241_270:                            ;   in Loop: Header=BB241_161 Depth=1
	s_delay_alu instid0(SALU_CYCLE_1)
	s_or_b32 exec_lo, exec_lo, s14
.LBB241_271:                            ;   in Loop: Header=BB241_161 Depth=1
	s_delay_alu instid0(SALU_CYCLE_1) | instskip(SKIP_2) | instid1(VALU_DEP_1)
	s_or_b32 exec_lo, exec_lo, s2
	v_lshrrev_b16 v5, 8, v45
	s_mov_b32 s14, exec_lo
	v_cmpx_ne_u16_e32 0, v5
	s_cbranch_execz .LBB241_279
; %bb.272:                              ;   in Loop: Header=BB241_161 Depth=1
	v_dual_mov_b32 v14, s9 :: v_dual_mov_b32 v13, s8
	s_mov_b32 s16, exec_lo
	v_cmpx_ne_u16_e32 0x80, v5
	s_cbranch_execz .LBB241_278
; %bb.273:                              ;   in Loop: Header=BB241_161 Depth=1
	s_mov_b32 s2, s8
	v_dual_mov_b32 v14, s3 :: v_dual_and_b32 v5, 0xffff, v5
	v_mov_b32_e32 v13, s2
	s_mov_b32 s2, exec_lo
	s_delay_alu instid0(VALU_DEP_2) | instskip(NEXT) | instid1(VALU_DEP_1)
	v_and_b32_e32 v15, 0x7f, v5
	v_cmpx_ne_u32_e32 0x7f, v15
	s_cbranch_execz .LBB241_277
; %bb.274:                              ;   in Loop: Header=BB241_161 Depth=1
	v_and_b32_e32 v5, 7, v5
	v_lshrrev_b32_e32 v13, 3, v15
	s_mov_b32 s17, exec_lo
	v_cmpx_gt_u32_e32 8, v15
; %bb.275:                              ;   in Loop: Header=BB241_161 Depth=1
	s_delay_alu instid0(VALU_DEP_3) | instskip(NEXT) | instid1(VALU_DEP_1)
	v_clz_i32_u32_e32 v13, v5
	v_min_u32_e32 v13, 32, v13
	s_delay_alu instid0(VALU_DEP_1) | instskip(SKIP_1) | instid1(VALU_DEP_2)
	v_subrev_nc_u32_e32 v14, 28, v13
	v_sub_nc_u32_e32 v13, 29, v13
	v_lshlrev_b64 v[14:15], v14, v[5:6]
	s_delay_alu instid0(VALU_DEP_1)
	v_and_b32_e32 v5, 7, v14
; %bb.276:                              ;   in Loop: Header=BB241_161 Depth=1
	s_or_b32 exec_lo, exec_lo, s17
	v_lshlrev_b32_e32 v14, 16, v45
	s_delay_alu instid0(VALU_DEP_2) | instskip(SKIP_1) | instid1(VALU_DEP_3)
	v_lshlrev_b32_e32 v5, 20, v5
	v_lshl_add_u32 v13, v13, 23, 0x3c000000
	v_and_b32_e32 v14, 0x80000000, v14
	s_delay_alu instid0(VALU_DEP_1)
	v_or3_b32 v14, v5, v14, v13
	v_mov_b32_e32 v13, v6
.LBB241_277:                            ;   in Loop: Header=BB241_161 Depth=1
	s_or_b32 exec_lo, exec_lo, s2
.LBB241_278:                            ;   in Loop: Header=BB241_161 Depth=1
	s_delay_alu instid0(SALU_CYCLE_1)
	s_or_b32 exec_lo, exec_lo, s16
.LBB241_279:                            ;   in Loop: Header=BB241_161 Depth=1
	s_delay_alu instid0(SALU_CYCLE_1) | instskip(SKIP_3) | instid1(VALU_DEP_2)
	s_or_b32 exec_lo, exec_lo, s14
	v_lshrrev_b32_e32 v46, 16, v45
	v_mov_b32_e32 v18, 0
	v_mov_b32_e32 v19, 0
	;; [unrolled: 1-line block ×3, first 2 shown]
	s_mov_b32 s2, exec_lo
	s_delay_alu instid0(VALU_DEP_2) | instskip(NEXT) | instid1(VALU_DEP_1)
	v_dual_mov_b32 v16, v19 :: v_dual_and_b32 v5, 0xff, v46
	v_cmpx_ne_u16_e32 0, v5
	s_cbranch_execz .LBB241_287
; %bb.280:                              ;   in Loop: Header=BB241_161 Depth=1
	v_bfrev_b32_e32 v15, 1
	v_mov_b32_e32 v16, 0
	s_mov_b32 s14, exec_lo
	v_cmpx_ne_u16_e32 0x80, v5
	s_cbranch_execz .LBB241_286
; %bb.281:                              ;   in Loop: Header=BB241_161 Depth=1
	v_mov_b32_e32 v15, 0x7f800001
	v_bfe_u32 v47, v45, 16, 7
	v_mov_b32_e32 v16, 0
	s_mov_b32 s16, exec_lo
	s_delay_alu instid0(VALU_DEP_2)
	v_cmpx_ne_u32_e32 0x7f, v47
	s_cbranch_execz .LBB241_285
; %bb.282:                              ;   in Loop: Header=BB241_161 Depth=1
	v_and_b32_e32 v5, 7, v46
	v_lshrrev_b32_e32 v15, 3, v47
	s_mov_b32 s17, exec_lo
	v_cmpx_gt_u32_e32 8, v47
; %bb.283:                              ;   in Loop: Header=BB241_161 Depth=1
	s_delay_alu instid0(VALU_DEP_3) | instskip(NEXT) | instid1(VALU_DEP_1)
	v_clz_i32_u32_e32 v15, v5
	v_min_u32_e32 v15, 32, v15
	s_delay_alu instid0(VALU_DEP_1) | instskip(SKIP_1) | instid1(VALU_DEP_2)
	v_subrev_nc_u32_e32 v16, 28, v15
	v_sub_nc_u32_e32 v15, 29, v15
	v_lshlrev_b64 v[47:48], v16, v[5:6]
	s_delay_alu instid0(VALU_DEP_1)
	v_and_b32_e32 v5, 7, v47
; %bb.284:                              ;   in Loop: Header=BB241_161 Depth=1
	s_or_b32 exec_lo, exec_lo, s17
	v_lshlrev_b32_e32 v16, 24, v46
	s_delay_alu instid0(VALU_DEP_2) | instskip(SKIP_1) | instid1(VALU_DEP_3)
	v_lshlrev_b32_e32 v5, 20, v5
	v_lshl_add_u32 v15, v15, 23, 0x3c000000
	v_and_b32_e32 v16, 0x80000000, v16
	s_delay_alu instid0(VALU_DEP_1) | instskip(NEXT) | instid1(VALU_DEP_1)
	v_or3_b32 v5, v5, v16, v15
	v_dual_mov_b32 v16, v6 :: v_dual_mov_b32 v15, v5
.LBB241_285:                            ;   in Loop: Header=BB241_161 Depth=1
	s_or_b32 exec_lo, exec_lo, s16
.LBB241_286:                            ;   in Loop: Header=BB241_161 Depth=1
	s_delay_alu instid0(SALU_CYCLE_1)
	s_or_b32 exec_lo, exec_lo, s14
.LBB241_287:                            ;   in Loop: Header=BB241_161 Depth=1
	s_delay_alu instid0(SALU_CYCLE_1) | instskip(NEXT) | instid1(SALU_CYCLE_1)
	s_or_b32 exec_lo, exec_lo, s2
	s_mov_b32 s14, exec_lo
	v_cmpx_lt_u32_e32 0xffffff, v45
	s_cbranch_execz .LBB241_295
; %bb.288:                              ;   in Loop: Header=BB241_161 Depth=1
	v_lshrrev_b32_e32 v46, 24, v45
	v_dual_mov_b32 v19, s9 :: v_dual_mov_b32 v18, s8
	s_mov_b32 s16, exec_lo
	s_delay_alu instid0(VALU_DEP_2)
	v_cmpx_ne_u32_e32 0x80, v46
	s_cbranch_execz .LBB241_294
; %bb.289:                              ;   in Loop: Header=BB241_161 Depth=1
	s_mov_b32 s2, s8
	v_bfe_u32 v45, v45, 24, 7
	v_dual_mov_b32 v19, s3 :: v_dual_mov_b32 v18, s2
	s_mov_b32 s2, exec_lo
	s_delay_alu instid0(VALU_DEP_2)
	v_cmpx_ne_u32_e32 0x7f, v45
	s_cbranch_execz .LBB241_293
; %bb.290:                              ;   in Loop: Header=BB241_161 Depth=1
	v_and_b32_e32 v5, 7, v46
	v_lshrrev_b32_e32 v18, 3, v45
	s_mov_b32 s17, exec_lo
	v_cmpx_gt_u32_e32 8, v45
; %bb.291:                              ;   in Loop: Header=BB241_161 Depth=1
	s_delay_alu instid0(VALU_DEP_3) | instskip(NEXT) | instid1(VALU_DEP_1)
	v_clz_i32_u32_e32 v18, v5
	v_min_u32_e32 v18, 32, v18
	s_delay_alu instid0(VALU_DEP_1) | instskip(SKIP_1) | instid1(VALU_DEP_2)
	v_subrev_nc_u32_e32 v19, 28, v18
	v_sub_nc_u32_e32 v18, 29, v18
	v_lshlrev_b64 v[47:48], v19, v[5:6]
	s_delay_alu instid0(VALU_DEP_1)
	v_and_b32_e32 v5, 7, v47
; %bb.292:                              ;   in Loop: Header=BB241_161 Depth=1
	s_or_b32 exec_lo, exec_lo, s17
	v_lshlrev_b32_e32 v19, 24, v46
	s_delay_alu instid0(VALU_DEP_2) | instskip(SKIP_1) | instid1(VALU_DEP_3)
	v_lshlrev_b32_e32 v5, 20, v5
	v_lshl_add_u32 v18, v18, 23, 0x3c000000
	v_and_b32_e32 v19, 0x80000000, v19
	s_delay_alu instid0(VALU_DEP_1)
	v_or3_b32 v19, v5, v19, v18
	v_mov_b32_e32 v18, v6
.LBB241_293:                            ;   in Loop: Header=BB241_161 Depth=1
	s_or_b32 exec_lo, exec_lo, s2
.LBB241_294:                            ;   in Loop: Header=BB241_161 Depth=1
	s_delay_alu instid0(SALU_CYCLE_1)
	s_or_b32 exec_lo, exec_lo, s16
.LBB241_295:                            ;   in Loop: Header=BB241_161 Depth=1
	s_delay_alu instid0(SALU_CYCLE_1) | instskip(SKIP_4) | instid1(VALU_DEP_3)
	s_or_b32 exec_lo, exec_lo, s14
	v_or_b32_e32 v5, v14, v12
	v_or_b32_e32 v11, v13, v11
	;; [unrolled: 1-line block ×4, first 2 shown]
	v_dual_mul_f32 v13, s10, v5 :: v_dual_mul_f32 v12, s7, v11
	s_delay_alu instid0(VALU_DEP_3) | instskip(NEXT) | instid1(VALU_DEP_3)
	v_mul_f32_e32 v5, s10, v14
	v_mul_f32_e32 v11, s7, v15
	s_and_saveexec_b32 s0, vcc_lo
	s_cbranch_execz .LBB241_160
; %bb.296:                              ;   in Loop: Header=BB241_161 Depth=1
	v_cmp_gt_i32_e32 vcc_lo, s15, v36
	v_cndmask_b32_e32 v12, 0, v12, vcc_lo
	v_cmp_gt_i32_e32 vcc_lo, s15, v38
	v_cndmask_b32_e32 v13, 0, v13, vcc_lo
	;; [unrolled: 2-line block ×4, first 2 shown]
	s_branch .LBB241_160
.LBB241_297:
	s_or_b32 exec_lo, exec_lo, s11
.LBB241_298:
	s_delay_alu instid0(SALU_CYCLE_1)
	s_or_b32 exec_lo, exec_lo, s1
	ds_bpermute_b32 v1, v23, v29
	ds_bpermute_b32 v2, v23, v28
	;; [unrolled: 1-line block ×4, first 2 shown]
	v_lshrrev_b32_e32 v5, 2, v22
	s_mov_b32 s0, exec_lo
	s_waitcnt lgkmcnt(0)
	s_waitcnt_vscnt null, 0x0
	s_barrier
	buffer_gl0_inv
	v_dual_add_f32 v1, v29, v1 :: v_dual_add_f32 v2, v28, v2
	v_dual_add_f32 v6, v27, v3 :: v_dual_add_f32 v7, v26, v4
	ds_bpermute_b32 v3, v24, v1
	ds_bpermute_b32 v8, v24, v2
	;; [unrolled: 1-line block ×4, first 2 shown]
	s_waitcnt lgkmcnt(3)
	v_dual_add_f32 v4, v1, v3 :: v_dual_and_b32 v11, 0x3c3, v0
	s_waitcnt lgkmcnt(2)
	v_add_f32_e32 v3, v2, v8
	s_waitcnt lgkmcnt(0)
	v_dual_add_f32 v2, v6, v9 :: v_dual_add_f32 v1, v7, v10
	v_cmpx_eq_u32_e32 64, v11
	s_cbranch_execz .LBB241_300
; %bb.299:
	v_lshl_add_u32 v6, v57, 7, 0xa0
	v_lshlrev_b32_e32 v7, 2, v5
	s_delay_alu instid0(VALU_DEP_1)
	v_add3_u32 v6, v6, v7, 0xffffff00
	ds_store_2addr_b32 v6, v4, v3 offset1:8
	ds_store_2addr_b32 v6, v2, v1 offset0:16 offset1:24
.LBB241_300:
	s_or_b32 exec_lo, exec_lo, s0
	v_and_b32_e32 v6, 0x3e0, v0
	v_cmp_eq_u32_e32 vcc_lo, 0, v25
	s_mov_b32 s1, exec_lo
	s_waitcnt lgkmcnt(0)
	s_barrier
	v_lshl_add_u32 v6, v6, 2, 0xa0
	buffer_gl0_inv
	v_cmpx_gt_u32_e32 64, v0
	s_cbranch_execz .LBB241_307
; %bb.301:
	s_and_saveexec_b32 s0, vcc_lo
	s_cbranch_execnz .LBB241_319
; %bb.302:
	s_or_b32 exec_lo, exec_lo, s0
	s_and_saveexec_b32 s0, vcc_lo
	s_cbranch_execnz .LBB241_320
.LBB241_303:
	s_or_b32 exec_lo, exec_lo, s0
	s_and_saveexec_b32 s0, vcc_lo
	s_cbranch_execnz .LBB241_321
.LBB241_304:
	s_or_b32 exec_lo, exec_lo, s0
	s_and_saveexec_b32 s0, vcc_lo
	s_cbranch_execz .LBB241_306
.LBB241_305:
	v_lshl_add_u32 v7, v5, 2, v6
	ds_load_b32 v7, v7 offset:96
	s_waitcnt lgkmcnt(0)
	v_add_f32_e32 v1, v1, v7
.LBB241_306:
	s_or_b32 exec_lo, exec_lo, s0
.LBB241_307:
	s_delay_alu instid0(SALU_CYCLE_1)
	s_or_b32 exec_lo, exec_lo, s1
	v_and_b32_e32 v7, 0x3e3, v0
	s_mov_b32 s1, exec_lo
	s_barrier
	buffer_gl0_inv
	v_cmpx_eq_u32_e32 32, v7
	s_cbranch_execz .LBB241_309
; %bb.308:
	v_lshl_add_u32 v8, v5, 2, 0xa0
	ds_store_2addr_b32 v8, v4, v3 offset1:8
	ds_store_2addr_b32 v8, v2, v1 offset0:16 offset1:24
.LBB241_309:
	s_or_b32 exec_lo, exec_lo, s1
	s_delay_alu instid0(SALU_CYCLE_1)
	s_mov_b32 s1, exec_lo
	s_waitcnt lgkmcnt(0)
	s_barrier
	buffer_gl0_inv
	v_cmpx_gt_u32_e32 32, v0
	s_cbranch_execz .LBB241_316
; %bb.310:
	v_lshl_add_u32 v5, v5, 2, v6
	s_and_saveexec_b32 s0, vcc_lo
	s_cbranch_execnz .LBB241_322
; %bb.311:
	s_or_b32 exec_lo, exec_lo, s0
	s_and_saveexec_b32 s0, vcc_lo
	s_cbranch_execnz .LBB241_323
.LBB241_312:
	s_or_b32 exec_lo, exec_lo, s0
	s_and_saveexec_b32 s0, vcc_lo
	s_cbranch_execnz .LBB241_324
.LBB241_313:
	s_or_b32 exec_lo, exec_lo, s0
	s_and_saveexec_b32 s0, vcc_lo
	s_cbranch_execz .LBB241_315
.LBB241_314:
	ds_load_b32 v5, v5 offset:96
	s_waitcnt lgkmcnt(0)
	v_add_f32_e32 v1, v1, v5
.LBB241_315:
	s_or_b32 exec_lo, exec_lo, s0
.LBB241_316:
	s_delay_alu instid0(SALU_CYCLE_1)
	s_or_b32 exec_lo, exec_lo, s1
	s_barrier
	buffer_gl0_inv
	s_mov_b32 s0, exec_lo
	v_cmpx_eq_u32_e32 0, v7
	s_cbranch_execz .LBB241_318
; %bb.317:
	s_lshl_b32 s0, s6, 5
	s_mul_i32 s2, s13, s12
	s_ashr_i32 s1, s0, 31
	s_delay_alu instid0(SALU_CYCLE_1) | instskip(NEXT) | instid1(SALU_CYCLE_1)
	s_lshl_b64 s[0:1], s[0:1], 2
	s_add_u32 s5, s20, s0
	s_addc_u32 s6, s21, s1
	s_ashr_i32 s3, s2, 31
	s_delay_alu instid0(SALU_CYCLE_1) | instskip(NEXT) | instid1(SALU_CYCLE_1)
	s_lshl_b64 s[0:1], s[2:3], 2
	s_add_u32 s2, s5, s0
	s_addc_u32 s3, s6, s1
	;; [unrolled: 5-line block ×3, first 2 shown]
	s_clause 0x3
	global_store_b32 v0, v4, s[0:1]
	global_store_b32 v0, v3, s[0:1] offset:32
	global_store_b32 v0, v2, s[0:1] offset:64
	;; [unrolled: 1-line block ×3, first 2 shown]
.LBB241_318:
	s_nop 0
	s_sendmsg sendmsg(MSG_DEALLOC_VGPRS)
	s_endpgm
.LBB241_319:
	v_lshl_add_u32 v7, v5, 2, v6
	ds_load_b32 v7, v7
	s_waitcnt lgkmcnt(0)
	v_add_f32_e32 v4, v4, v7
	s_or_b32 exec_lo, exec_lo, s0
	s_and_saveexec_b32 s0, vcc_lo
	s_cbranch_execz .LBB241_303
.LBB241_320:
	v_lshl_add_u32 v7, v5, 2, v6
	ds_load_b32 v7, v7 offset:32
	s_waitcnt lgkmcnt(0)
	v_add_f32_e32 v3, v3, v7
	s_or_b32 exec_lo, exec_lo, s0
	s_and_saveexec_b32 s0, vcc_lo
	s_cbranch_execz .LBB241_304
.LBB241_321:
	v_lshl_add_u32 v7, v5, 2, v6
	ds_load_b32 v7, v7 offset:64
	s_waitcnt lgkmcnt(0)
	v_add_f32_e32 v2, v2, v7
	s_or_b32 exec_lo, exec_lo, s0
	s_and_saveexec_b32 s0, vcc_lo
	s_cbranch_execnz .LBB241_305
	s_branch .LBB241_306
.LBB241_322:
	ds_load_b32 v6, v5
	s_waitcnt lgkmcnt(0)
	v_add_f32_e32 v4, v4, v6
	s_or_b32 exec_lo, exec_lo, s0
	s_and_saveexec_b32 s0, vcc_lo
	s_cbranch_execz .LBB241_312
.LBB241_323:
	ds_load_b32 v6, v5 offset:32
	s_waitcnt lgkmcnt(0)
	v_add_f32_e32 v3, v3, v6
	s_or_b32 exec_lo, exec_lo, s0
	s_and_saveexec_b32 s0, vcc_lo
	s_cbranch_execz .LBB241_313
.LBB241_324:
	ds_load_b32 v6, v5 offset:64
	s_waitcnt lgkmcnt(0)
	v_add_f32_e32 v2, v2, v6
	s_or_b32 exec_lo, exec_lo, s0
	s_and_saveexec_b32 s0, vcc_lo
	s_cbranch_execnz .LBB241_314
	s_branch .LBB241_315
	.section	.rodata,"a",@progbits
	.p2align	6, 0x0
	.amdhsa_kernel _ZN4vllm25paged_attention_v2_kernelIfhLi32ELi16ELi128ELNS_18Fp8KVCacheDataTypeE1ELb0ELi512EEEvPfS2_PT_PKS3_PKT0_S9_ifPKiSB_iPKfiiiSD_SD_iiiii
		.amdhsa_group_segment_fixed_size 160
		.amdhsa_private_segment_fixed_size 0
		.amdhsa_kernarg_size 400
		.amdhsa_user_sgpr_count 13
		.amdhsa_user_sgpr_dispatch_ptr 0
		.amdhsa_user_sgpr_queue_ptr 0
		.amdhsa_user_sgpr_kernarg_segment_ptr 1
		.amdhsa_user_sgpr_dispatch_id 0
		.amdhsa_user_sgpr_private_segment_size 0
		.amdhsa_wavefront_size32 1
		.amdhsa_uses_dynamic_stack 0
		.amdhsa_enable_private_segment 0
		.amdhsa_system_sgpr_workgroup_id_x 1
		.amdhsa_system_sgpr_workgroup_id_y 1
		.amdhsa_system_sgpr_workgroup_id_z 1
		.amdhsa_system_sgpr_workgroup_info 0
		.amdhsa_system_vgpr_workitem_id 0
		.amdhsa_next_free_vgpr 70
		.amdhsa_next_free_sgpr 46
		.amdhsa_reserve_vcc 1
		.amdhsa_float_round_mode_32 0
		.amdhsa_float_round_mode_16_64 0
		.amdhsa_float_denorm_mode_32 3
		.amdhsa_float_denorm_mode_16_64 3
		.amdhsa_dx10_clamp 1
		.amdhsa_ieee_mode 1
		.amdhsa_fp16_overflow 0
		.amdhsa_workgroup_processor_mode 1
		.amdhsa_memory_ordered 1
		.amdhsa_forward_progress 0
		.amdhsa_shared_vgpr_count 0
		.amdhsa_exception_fp_ieee_invalid_op 0
		.amdhsa_exception_fp_denorm_src 0
		.amdhsa_exception_fp_ieee_div_zero 0
		.amdhsa_exception_fp_ieee_overflow 0
		.amdhsa_exception_fp_ieee_underflow 0
		.amdhsa_exception_fp_ieee_inexact 0
		.amdhsa_exception_int_div_zero 0
	.end_amdhsa_kernel
	.section	.text._ZN4vllm25paged_attention_v2_kernelIfhLi32ELi16ELi128ELNS_18Fp8KVCacheDataTypeE1ELb0ELi512EEEvPfS2_PT_PKS3_PKT0_S9_ifPKiSB_iPKfiiiSD_SD_iiiii,"axG",@progbits,_ZN4vllm25paged_attention_v2_kernelIfhLi32ELi16ELi128ELNS_18Fp8KVCacheDataTypeE1ELb0ELi512EEEvPfS2_PT_PKS3_PKT0_S9_ifPKiSB_iPKfiiiSD_SD_iiiii,comdat
.Lfunc_end241:
	.size	_ZN4vllm25paged_attention_v2_kernelIfhLi32ELi16ELi128ELNS_18Fp8KVCacheDataTypeE1ELb0ELi512EEEvPfS2_PT_PKS3_PKT0_S9_ifPKiSB_iPKfiiiSD_SD_iiiii, .Lfunc_end241-_ZN4vllm25paged_attention_v2_kernelIfhLi32ELi16ELi128ELNS_18Fp8KVCacheDataTypeE1ELb0ELi512EEEvPfS2_PT_PKS3_PKT0_S9_ifPKiSB_iPKfiiiSD_SD_iiiii
                                        ; -- End function
	.section	.AMDGPU.csdata,"",@progbits
; Kernel info:
; codeLenInByte = 11896
; NumSgprs: 48
; NumVgprs: 70
; ScratchSize: 0
; MemoryBound: 0
; FloatMode: 240
; IeeeMode: 1
; LDSByteSize: 160 bytes/workgroup (compile time only)
; SGPRBlocks: 5
; VGPRBlocks: 8
; NumSGPRsForWavesPerEU: 48
; NumVGPRsForWavesPerEU: 70
; Occupancy: 16
; WaveLimiterHint : 1
; COMPUTE_PGM_RSRC2:SCRATCH_EN: 0
; COMPUTE_PGM_RSRC2:USER_SGPR: 13
; COMPUTE_PGM_RSRC2:TRAP_HANDLER: 0
; COMPUTE_PGM_RSRC2:TGID_X_EN: 1
; COMPUTE_PGM_RSRC2:TGID_Y_EN: 1
; COMPUTE_PGM_RSRC2:TGID_Z_EN: 1
; COMPUTE_PGM_RSRC2:TIDIG_COMP_CNT: 0
	.section	.text._ZN4vllm25paged_attention_v2_kernelIfhLi64ELi16ELi128ELNS_18Fp8KVCacheDataTypeE1ELb0ELi512EEEvPfS2_PT_PKS3_PKT0_S9_ifPKiSB_iPKfiiiSD_SD_iiiii,"axG",@progbits,_ZN4vllm25paged_attention_v2_kernelIfhLi64ELi16ELi128ELNS_18Fp8KVCacheDataTypeE1ELb0ELi512EEEvPfS2_PT_PKS3_PKT0_S9_ifPKiSB_iPKfiiiSD_SD_iiiii,comdat
	.protected	_ZN4vllm25paged_attention_v2_kernelIfhLi64ELi16ELi128ELNS_18Fp8KVCacheDataTypeE1ELb0ELi512EEEvPfS2_PT_PKS3_PKT0_S9_ifPKiSB_iPKfiiiSD_SD_iiiii ; -- Begin function _ZN4vllm25paged_attention_v2_kernelIfhLi64ELi16ELi128ELNS_18Fp8KVCacheDataTypeE1ELb0ELi512EEEvPfS2_PT_PKS3_PKT0_S9_ifPKiSB_iPKfiiiSD_SD_iiiii
	.globl	_ZN4vllm25paged_attention_v2_kernelIfhLi64ELi16ELi128ELNS_18Fp8KVCacheDataTypeE1ELb0ELi512EEEvPfS2_PT_PKS3_PKT0_S9_ifPKiSB_iPKfiiiSD_SD_iiiii
	.p2align	8
	.type	_ZN4vllm25paged_attention_v2_kernelIfhLi64ELi16ELi128ELNS_18Fp8KVCacheDataTypeE1ELb0ELi512EEEvPfS2_PT_PKS3_PKT0_S9_ifPKiSB_iPKfiiiSD_SD_iiiii,@function
_ZN4vllm25paged_attention_v2_kernelIfhLi64ELi16ELi128ELNS_18Fp8KVCacheDataTypeE1ELb0ELi512EEEvPfS2_PT_PKS3_PKT0_S9_ifPKiSB_iPKfiiiSD_SD_iiiii: ; @_ZN4vllm25paged_attention_v2_kernelIfhLi64ELi16ELi128ELNS_18Fp8KVCacheDataTypeE1ELb0ELi512EEEvPfS2_PT_PKS3_PKT0_S9_ifPKiSB_iPKfiiiSD_SD_iiiii
; %bb.0:
	s_load_b64 s[2:3], s[0:1], 0x40
	s_mov_b32 s12, s15
	s_ashr_i32 s15, s14, 31
	s_delay_alu instid0(SALU_CYCLE_1)
	s_lshl_b64 s[4:5], s[14:15], 2
	s_waitcnt lgkmcnt(0)
	s_add_u32 s2, s2, s4
	s_addc_u32 s3, s3, s5
	s_lshl_b32 s36, s12, 9
	s_load_b32 s33, s[2:3], 0x0
	s_waitcnt lgkmcnt(0)
	s_cmp_ge_i32 s36, s33
	s_cbranch_scc1 .LBB242_590
; %bb.1:
	s_mov_b32 s24, s13
	s_clause 0x1
	s_load_b32 s13, s[0:1], 0x90
	s_load_b64 s[34:35], s[0:1], 0x30
	s_mov_b32 s38, 0
	s_waitcnt lgkmcnt(0)
	s_abs_i32 s5, s13
	s_abs_i32 s2, s34
	s_delay_alu instid0(SALU_CYCLE_1) | instskip(SKIP_1) | instid1(VALU_DEP_1)
	v_cvt_f32_u32_e32 v1, s2
	s_sub_i32 s4, 0, s2
	v_rcp_iflag_f32_e32 v1, v1
	s_waitcnt_depctr 0xfff
	v_mul_f32_e32 v1, 0x4f7ffffe, v1
	s_delay_alu instid0(VALU_DEP_1) | instskip(NEXT) | instid1(VALU_DEP_1)
	v_cvt_u32_f32_e32 v1, v1
	v_readfirstlane_b32 s3, v1
	s_delay_alu instid0(VALU_DEP_1) | instskip(NEXT) | instid1(SALU_CYCLE_1)
	s_mul_i32 s4, s4, s3
	s_mul_hi_u32 s4, s3, s4
	s_delay_alu instid0(SALU_CYCLE_1) | instskip(SKIP_4) | instid1(SALU_CYCLE_1)
	s_add_i32 s3, s3, s4
	s_xor_b32 s4, s13, s34
	s_mul_hi_u32 s3, s5, s3
	s_ashr_i32 s4, s4, 31
	s_mul_i32 s6, s3, s2
	s_sub_i32 s5, s5, s6
	s_add_i32 s6, s3, 1
	s_sub_i32 s7, s5, s2
	s_cmp_ge_u32 s5, s2
	s_cselect_b32 s3, s6, s3
	s_cselect_b32 s5, s7, s5
	s_add_i32 s6, s3, 1
	s_cmp_ge_u32 s5, s2
	s_cselect_b32 s2, s6, s3
	s_abs_i32 s10, s24
	s_xor_b32 s2, s2, s4
	s_delay_alu instid0(SALU_CYCLE_1) | instskip(SKIP_2) | instid1(SALU_CYCLE_1)
	s_sub_i32 s11, s2, s4
	s_load_b64 s[2:3], s[0:1], 0x50
	s_abs_i32 s8, s11
	v_cvt_f32_u32_e32 v1, s8
	s_sub_i32 s5, 0, s8
	s_delay_alu instid0(VALU_DEP_1) | instskip(SKIP_2) | instid1(VALU_DEP_1)
	v_rcp_iflag_f32_e32 v1, v1
	s_waitcnt_depctr 0xfff
	v_mul_f32_e32 v1, 0x4f7ffffe, v1
	v_cvt_u32_f32_e32 v1, v1
	s_delay_alu instid0(VALU_DEP_1) | instskip(NEXT) | instid1(VALU_DEP_1)
	v_readfirstlane_b32 s4, v1
	s_mul_i32 s5, s5, s4
	s_delay_alu instid0(SALU_CYCLE_1) | instskip(NEXT) | instid1(SALU_CYCLE_1)
	s_mul_hi_u32 s5, s4, s5
	s_add_i32 s4, s4, s5
	s_waitcnt lgkmcnt(0)
	s_cmp_eq_u64 s[2:3], 0
	s_mul_hi_u32 s9, s10, s4
	s_cbranch_scc1 .LBB242_3
; %bb.2:
	s_ashr_i32 s25, s24, 31
	s_delay_alu instid0(SALU_CYCLE_1) | instskip(NEXT) | instid1(SALU_CYCLE_1)
	s_lshl_b64 s[4:5], s[24:25], 2
	s_add_u32 s2, s2, s4
	s_addc_u32 s3, s3, s5
	s_load_b32 s38, s[2:3], 0x0
.LBB242_3:
	s_load_b128 s[4:7], s[0:1], 0x58
	v_and_b32_e32 v35, 1, v0
	v_cmp_gt_u32_e64 s2, 32, v0
	v_lshlrev_b32_e32 v106, 2, v0
	s_ashr_i32 s3, s24, 31
	s_waitcnt lgkmcnt(0)
	s_ashr_i32 s7, s11, 31
	s_lshl_b32 s20, s24, 6
	s_and_saveexec_b32 s11, s2
	s_cbranch_execz .LBB242_5
; %bb.4:
	s_load_b64 s[16:17], s[0:1], 0x18
	s_mul_i32 s18, s14, s4
	v_lshlrev_b32_e32 v1, 3, v0
	s_ashr_i32 s19, s18, 31
	v_and_b32_e32 v3, 0xff8, v106
	s_lshl_b64 s[18:19], s[18:19], 2
	s_delay_alu instid0(VALU_DEP_1) | instskip(SKIP_4) | instid1(SALU_CYCLE_1)
	v_lshl_add_u32 v3, v35, 7, v3
	s_waitcnt lgkmcnt(0)
	s_add_u32 s4, s16, s18
	s_addc_u32 s15, s17, s19
	s_ashr_i32 s21, s20, 31
	s_lshl_b64 s[16:17], s[20:21], 2
	s_delay_alu instid0(SALU_CYCLE_1)
	s_add_u32 s16, s4, s16
	s_addc_u32 s17, s15, s17
	global_load_b64 v[1:2], v1, s[16:17]
	s_waitcnt vmcnt(0)
	ds_store_b64 v3, v[1:2]
.LBB242_5:
	s_or_b32 exec_lo, exec_lo, s11
	s_add_i32 s4, s33, 15
	s_lshl_b32 s37, s12, 5
	s_ashr_i32 s11, s4, 31
	s_xor_b32 s3, s3, s7
	s_lshr_b32 s11, s11, 28
	s_add_i32 s7, s37, 32
	s_add_i32 s4, s4, s11
	v_lshrrev_b32_e32 v105, 5, v0
	s_ashr_i32 s25, s4, 4
	s_mul_i32 s4, s9, s8
	s_min_i32 s21, s7, s25
	s_clause 0x1
	s_load_b64 s[26:27], s[0:1], 0x38
	s_load_b32 s7, s[0:1], 0x48
	s_sub_i32 s4, s10, s4
	s_add_i32 s10, s9, 1
	s_sub_i32 s11, s4, s8
	s_cmp_ge_u32 s4, s8
	v_or_b32_e32 v33, s37, v105
	s_cselect_b32 s9, s10, s9
	s_cselect_b32 s4, s11, s4
	s_add_i32 s10, s9, 1
	s_cmp_ge_u32 s4, s8
	v_mbcnt_lo_u32_b32 v107, -1, 0
	s_cselect_b32 s4, s10, s9
	s_waitcnt lgkmcnt(0)
	s_xor_b32 s4, s4, s3
	s_barrier
	s_sub_i32 s34, s4, s3
	v_cmp_gt_i32_e64 s3, s21, v33
	buffer_gl0_inv
                                        ; implicit-def: $sgpr4
                                        ; implicit-def: $vgpr108
	s_mul_i32 s28, s14, s7
	s_mov_b32 s7, exec_lo
	s_ashr_i32 s29, s28, 31
	v_cmpx_le_i32_e64 s21, v33
	s_xor_b32 s7, exec_lo, s7
; %bb.6:
	v_mbcnt_lo_u32_b32 v107, -1, 0
	v_mov_b32_e32 v108, 32
	s_mov_b32 s4, 0xff7fffff
                                        ; implicit-def: $vgpr35
; %bb.7:
	s_or_saveexec_b32 s39, s7
	s_clause 0x4
	s_load_b128 s[16:19], s[0:1], 0x0
	s_load_b64 s[22:23], s[0:1], 0x10
	s_load_b32 s15, s[0:1], 0x98
	s_load_b64 s[30:31], s[0:1], 0x28
	s_load_b128 s[8:11], s[0:1], 0x68
	v_mov_b32_e32 v110, s4
	v_ashrrev_i32_e32 v34, 31, v33
	s_mul_i32 s34, s34, s6
	s_xor_b32 exec_lo, exec_lo, s39
	s_cbranch_execz .LBB242_269
; %bb.8:
	s_load_b64 s[0:1], s[0:1], 0x20
	v_xor_b32_e32 v25, 1, v107
	v_bfe_u32 v39, v0, 1, 4
	v_dual_mov_b32 v36, 0 :: v_dual_lshlrev_b32 v29, 7, v35
	s_ashr_i32 s4, s34, 31
	s_delay_alu instid0(VALU_DEP_3) | instskip(NEXT) | instid1(VALU_DEP_3)
	v_cmp_gt_i32_e32 vcc_lo, 32, v25
	v_lshlrev_b32_e32 v26, 4, v39
	ds_load_b128 v[1:4], v29
	ds_load_b128 v[5:8], v29 offset:16
	ds_load_b128 v[9:12], v29 offset:32
	;; [unrolled: 1-line block ×5, first 2 shown]
	v_dual_mov_b32 v108, 32 :: v_dual_lshlrev_b32 v109, 1, v35
	v_dual_cndmask_b32 v40, v107, v25 :: v_dual_lshlrev_b32 v41, 2, v39
	v_cmp_eq_u32_e32 vcc_lo, 0, v35
	s_mov_b32 s6, 0
	v_mov_b32_e32 v110, 0xff7fffff
	s_delay_alu instid0(VALU_DEP_3)
	v_lshl_or_b32 v35, v105, 6, v41
	v_lshlrev_b32_e32 v111, 2, v40
	v_lshlrev_b32_e32 v40, 4, v105
	v_mov_b32_e32 v114, v33
	s_waitcnt lgkmcnt(0)
	s_add_u32 s0, s0, s34
	s_addc_u32 s1, s1, s4
	v_add_co_u32 v37, s0, s0, v26
	ds_load_b128 v[25:28], v29 offset:96
	ds_load_b128 v[29:32], v29 offset:112
	s_load_b32 s41, s[8:9], 0x0
	v_add3_u32 v112, s36, v40, v39
	v_lshlrev_b64 v[39:40], 2, v[33:34]
	s_lshl_b64 s[8:9], s[28:29], 2
	s_sub_i32 s42, 1, s33
	v_add_co_ci_u32_e64 v38, null, s1, 0, s0
	s_add_u32 s1, s26, s8
	s_addc_u32 s4, s27, s9
	v_add_co_u32 v39, s1, s1, v39
	v_cmp_neq_f32_e64 s0, s38, 0
	v_add_nc_u32_e32 v113, 0x120, v35
	v_add_co_ci_u32_e64 v40, s1, s4, v40, s1
	s_mov_b32 s40, s5
	s_brev_b32 s7, 1
	s_mov_b32 s9, 0x7f800001
	s_mov_b32 s44, s6
	s_waitcnt lgkmcnt(0)
	s_mov_b32 s43, s41
	s_branch .LBB242_10
.LBB242_9:                              ;   in Loop: Header=BB242_10 Depth=1
	s_or_b32 exec_lo, exec_lo, s4
	v_add_nc_u32_e32 v114, 4, v114
	v_add_co_u32 v39, s4, v39, 16
	v_add_nc_u32_e32 v112, 64, v112
	v_add_nc_u32_e32 v113, 0x100, v113
	s_delay_alu instid0(VALU_DEP_4) | instskip(SKIP_1) | instid1(VALU_DEP_2)
	v_cmp_le_i32_e64 s1, s21, v114
	v_add_co_ci_u32_e64 v40, s4, 0, v40, s4
	s_or_b32 s44, s1, s44
	s_delay_alu instid0(SALU_CYCLE_1)
	s_and_not1_b32 exec_lo, exec_lo, s44
	s_cbranch_execz .LBB242_268
.LBB242_10:                             ; =>This Inner Loop Header: Depth=1
	global_load_b32 v35, v[39:40], off
	s_waitcnt vmcnt(0) lgkmcnt(0)
	v_mad_i64_i32 v[41:42], null, v35, s40, v[37:38]
	s_delay_alu instid0(VALU_DEP_1) | instskip(NEXT) | instid1(VALU_DEP_1)
	v_add_co_u32 v53, s1, v41, v109
	v_add_co_ci_u32_e64 v54, s1, 0, v42, s1
	v_mov_b32_e32 v41, 0
	global_load_u16 v35, v[53:54], off
	s_waitcnt vmcnt(0)
	v_dual_mov_b32 v42, 0 :: v_dual_and_b32 v43, 0xff, v35
	v_and_b32_e32 v45, 0xffff, v35
	s_delay_alu instid0(VALU_DEP_2) | instskip(NEXT) | instid1(VALU_DEP_3)
	v_cmp_ne_u16_e64 s1, 0, v43
	v_dual_mov_b32 v44, v42 :: v_dual_mov_b32 v43, v41
	s_delay_alu instid0(VALU_DEP_2)
	s_and_saveexec_b32 s4, s1
	s_cbranch_execz .LBB242_18
; %bb.11:                               ;   in Loop: Header=BB242_10 Depth=1
	v_bfrev_b32_e32 v43, 1
	v_dual_mov_b32 v44, 0 :: v_dual_and_b32 v35, 0xff, v45
	s_mov_b32 s8, exec_lo
	s_delay_alu instid0(VALU_DEP_1)
	v_cmpx_ne_u16_e32 0x80, v35
	s_cbranch_execz .LBB242_17
; %bb.12:                               ;   in Loop: Header=BB242_10 Depth=1
	v_mov_b32_e32 v43, 0x7f800001
	v_and_b32_e32 v46, 0x7f, v45
	v_mov_b32_e32 v44, 0
	s_mov_b32 s45, exec_lo
	s_delay_alu instid0(VALU_DEP_2)
	v_cmpx_ne_u32_e32 0x7f, v46
	s_cbranch_execz .LBB242_16
; %bb.13:                               ;   in Loop: Header=BB242_10 Depth=1
	v_and_b32_e32 v35, 7, v45
	v_lshrrev_b32_e32 v43, 3, v46
	s_mov_b32 s46, exec_lo
	v_cmpx_gt_u32_e32 8, v46
; %bb.14:                               ;   in Loop: Header=BB242_10 Depth=1
	s_delay_alu instid0(VALU_DEP_3) | instskip(NEXT) | instid1(VALU_DEP_1)
	v_clz_i32_u32_e32 v43, v35
	v_min_u32_e32 v43, 32, v43
	s_delay_alu instid0(VALU_DEP_1) | instskip(SKIP_1) | instid1(VALU_DEP_2)
	v_subrev_nc_u32_e32 v44, 28, v43
	v_sub_nc_u32_e32 v43, 29, v43
	v_lshlrev_b64 v[46:47], v44, v[35:36]
	s_delay_alu instid0(VALU_DEP_1)
	v_and_b32_e32 v35, 7, v46
; %bb.15:                               ;   in Loop: Header=BB242_10 Depth=1
	s_or_b32 exec_lo, exec_lo, s46
	v_lshlrev_b32_e32 v44, 24, v45
	s_delay_alu instid0(VALU_DEP_2) | instskip(SKIP_1) | instid1(VALU_DEP_3)
	v_lshlrev_b32_e32 v35, 20, v35
	v_lshl_add_u32 v43, v43, 23, 0x3c000000
	v_and_b32_e32 v44, 0x80000000, v44
	s_delay_alu instid0(VALU_DEP_1) | instskip(NEXT) | instid1(VALU_DEP_1)
	v_or3_b32 v35, v35, v44, v43
	v_dual_mov_b32 v44, v36 :: v_dual_mov_b32 v43, v35
.LBB242_16:                             ;   in Loop: Header=BB242_10 Depth=1
	s_or_b32 exec_lo, exec_lo, s45
.LBB242_17:                             ;   in Loop: Header=BB242_10 Depth=1
	s_delay_alu instid0(SALU_CYCLE_1)
	s_or_b32 exec_lo, exec_lo, s8
.LBB242_18:                             ;   in Loop: Header=BB242_10 Depth=1
	s_delay_alu instid0(SALU_CYCLE_1) | instskip(SKIP_2) | instid1(VALU_DEP_1)
	s_or_b32 exec_lo, exec_lo, s4
	v_lshrrev_b16 v35, 8, v45
	s_mov_b32 s4, exec_lo
	v_cmpx_ne_u16_e32 0, v35
	s_cbranch_execz .LBB242_26
; %bb.19:                               ;   in Loop: Header=BB242_10 Depth=1
	v_dual_mov_b32 v42, s7 :: v_dual_mov_b32 v41, s6
	s_mov_b32 s45, exec_lo
	v_cmpx_ne_u16_e32 0x80, v35
	s_cbranch_execz .LBB242_25
; %bb.20:                               ;   in Loop: Header=BB242_10 Depth=1
	s_mov_b32 s8, s6
	v_dual_mov_b32 v42, s9 :: v_dual_and_b32 v35, 0xffff, v35
	v_mov_b32_e32 v41, s8
	s_mov_b32 s8, exec_lo
	s_delay_alu instid0(VALU_DEP_2) | instskip(NEXT) | instid1(VALU_DEP_1)
	v_and_b32_e32 v46, 0x7f, v35
	v_cmpx_ne_u32_e32 0x7f, v46
	s_cbranch_execz .LBB242_24
; %bb.21:                               ;   in Loop: Header=BB242_10 Depth=1
	v_and_b32_e32 v35, 7, v35
	v_lshrrev_b32_e32 v41, 3, v46
	s_mov_b32 s46, exec_lo
	v_cmpx_gt_u32_e32 8, v46
; %bb.22:                               ;   in Loop: Header=BB242_10 Depth=1
	s_delay_alu instid0(VALU_DEP_3) | instskip(NEXT) | instid1(VALU_DEP_1)
	v_clz_i32_u32_e32 v41, v35
	v_min_u32_e32 v41, 32, v41
	s_delay_alu instid0(VALU_DEP_1) | instskip(SKIP_1) | instid1(VALU_DEP_2)
	v_subrev_nc_u32_e32 v42, 28, v41
	v_sub_nc_u32_e32 v41, 29, v41
	v_lshlrev_b64 v[46:47], v42, v[35:36]
	s_delay_alu instid0(VALU_DEP_1)
	v_and_b32_e32 v35, 7, v46
; %bb.23:                               ;   in Loop: Header=BB242_10 Depth=1
	s_or_b32 exec_lo, exec_lo, s46
	v_lshlrev_b32_e32 v42, 16, v45
	s_delay_alu instid0(VALU_DEP_2) | instskip(SKIP_1) | instid1(VALU_DEP_3)
	v_lshlrev_b32_e32 v35, 20, v35
	v_lshl_add_u32 v41, v41, 23, 0x3c000000
	v_and_b32_e32 v42, 0x80000000, v42
	s_delay_alu instid0(VALU_DEP_1)
	v_or3_b32 v42, v35, v42, v41
	v_mov_b32_e32 v41, v36
.LBB242_24:                             ;   in Loop: Header=BB242_10 Depth=1
	s_or_b32 exec_lo, exec_lo, s8
.LBB242_25:                             ;   in Loop: Header=BB242_10 Depth=1
	s_delay_alu instid0(SALU_CYCLE_1)
	s_or_b32 exec_lo, exec_lo, s45
.LBB242_26:                             ;   in Loop: Header=BB242_10 Depth=1
	s_delay_alu instid0(SALU_CYCLE_1)
	s_or_b32 exec_lo, exec_lo, s4
	global_load_u16 v35, v[53:54], off offset:4
	v_mov_b32_e32 v45, 0
	s_waitcnt vmcnt(0)
	v_dual_mov_b32 v46, 0 :: v_dual_and_b32 v47, 0xff, v35
	v_and_b32_e32 v49, 0xffff, v35
	s_delay_alu instid0(VALU_DEP_2) | instskip(NEXT) | instid1(VALU_DEP_3)
	v_cmp_ne_u16_e64 s1, 0, v47
	v_dual_mov_b32 v48, v46 :: v_dual_mov_b32 v47, v45
	s_delay_alu instid0(VALU_DEP_2)
	s_and_saveexec_b32 s4, s1
	s_cbranch_execz .LBB242_34
; %bb.27:                               ;   in Loop: Header=BB242_10 Depth=1
	v_bfrev_b32_e32 v47, 1
	v_dual_mov_b32 v48, 0 :: v_dual_and_b32 v35, 0xff, v49
	s_mov_b32 s8, exec_lo
	s_delay_alu instid0(VALU_DEP_1)
	v_cmpx_ne_u16_e32 0x80, v35
	s_cbranch_execz .LBB242_33
; %bb.28:                               ;   in Loop: Header=BB242_10 Depth=1
	v_mov_b32_e32 v47, 0x7f800001
	v_and_b32_e32 v50, 0x7f, v49
	v_mov_b32_e32 v48, 0
	s_mov_b32 s45, exec_lo
	s_delay_alu instid0(VALU_DEP_2)
	v_cmpx_ne_u32_e32 0x7f, v50
	s_cbranch_execz .LBB242_32
; %bb.29:                               ;   in Loop: Header=BB242_10 Depth=1
	v_and_b32_e32 v35, 7, v49
	v_lshrrev_b32_e32 v47, 3, v50
	s_mov_b32 s46, exec_lo
	v_cmpx_gt_u32_e32 8, v50
; %bb.30:                               ;   in Loop: Header=BB242_10 Depth=1
	s_delay_alu instid0(VALU_DEP_3) | instskip(NEXT) | instid1(VALU_DEP_1)
	v_clz_i32_u32_e32 v47, v35
	v_min_u32_e32 v47, 32, v47
	s_delay_alu instid0(VALU_DEP_1) | instskip(SKIP_1) | instid1(VALU_DEP_2)
	v_subrev_nc_u32_e32 v48, 28, v47
	v_sub_nc_u32_e32 v47, 29, v47
	v_lshlrev_b64 v[50:51], v48, v[35:36]
	s_delay_alu instid0(VALU_DEP_1)
	v_and_b32_e32 v35, 7, v50
; %bb.31:                               ;   in Loop: Header=BB242_10 Depth=1
	s_or_b32 exec_lo, exec_lo, s46
	v_lshlrev_b32_e32 v48, 24, v49
	s_delay_alu instid0(VALU_DEP_2) | instskip(SKIP_1) | instid1(VALU_DEP_3)
	v_lshlrev_b32_e32 v35, 20, v35
	v_lshl_add_u32 v47, v47, 23, 0x3c000000
	v_and_b32_e32 v48, 0x80000000, v48
	s_delay_alu instid0(VALU_DEP_1) | instskip(NEXT) | instid1(VALU_DEP_1)
	v_or3_b32 v35, v35, v48, v47
	v_dual_mov_b32 v48, v36 :: v_dual_mov_b32 v47, v35
.LBB242_32:                             ;   in Loop: Header=BB242_10 Depth=1
	s_or_b32 exec_lo, exec_lo, s45
.LBB242_33:                             ;   in Loop: Header=BB242_10 Depth=1
	s_delay_alu instid0(SALU_CYCLE_1)
	s_or_b32 exec_lo, exec_lo, s8
.LBB242_34:                             ;   in Loop: Header=BB242_10 Depth=1
	s_delay_alu instid0(SALU_CYCLE_1) | instskip(SKIP_2) | instid1(VALU_DEP_1)
	s_or_b32 exec_lo, exec_lo, s4
	v_lshrrev_b16 v35, 8, v49
	s_mov_b32 s4, exec_lo
	v_cmpx_ne_u16_e32 0, v35
	s_cbranch_execz .LBB242_42
; %bb.35:                               ;   in Loop: Header=BB242_10 Depth=1
	v_dual_mov_b32 v46, s7 :: v_dual_mov_b32 v45, s6
	s_mov_b32 s45, exec_lo
	v_cmpx_ne_u16_e32 0x80, v35
	s_cbranch_execz .LBB242_41
; %bb.36:                               ;   in Loop: Header=BB242_10 Depth=1
	s_mov_b32 s8, s6
	v_dual_mov_b32 v46, s9 :: v_dual_and_b32 v35, 0xffff, v35
	v_mov_b32_e32 v45, s8
	s_mov_b32 s8, exec_lo
	s_delay_alu instid0(VALU_DEP_2) | instskip(NEXT) | instid1(VALU_DEP_1)
	v_and_b32_e32 v50, 0x7f, v35
	v_cmpx_ne_u32_e32 0x7f, v50
	s_cbranch_execz .LBB242_40
; %bb.37:                               ;   in Loop: Header=BB242_10 Depth=1
	v_and_b32_e32 v35, 7, v35
	v_lshrrev_b32_e32 v45, 3, v50
	s_mov_b32 s46, exec_lo
	v_cmpx_gt_u32_e32 8, v50
; %bb.38:                               ;   in Loop: Header=BB242_10 Depth=1
	s_delay_alu instid0(VALU_DEP_3) | instskip(NEXT) | instid1(VALU_DEP_1)
	v_clz_i32_u32_e32 v45, v35
	v_min_u32_e32 v45, 32, v45
	s_delay_alu instid0(VALU_DEP_1) | instskip(SKIP_1) | instid1(VALU_DEP_2)
	v_subrev_nc_u32_e32 v46, 28, v45
	v_sub_nc_u32_e32 v45, 29, v45
	v_lshlrev_b64 v[50:51], v46, v[35:36]
	s_delay_alu instid0(VALU_DEP_1)
	v_and_b32_e32 v35, 7, v50
; %bb.39:                               ;   in Loop: Header=BB242_10 Depth=1
	s_or_b32 exec_lo, exec_lo, s46
	v_lshlrev_b32_e32 v46, 16, v49
	s_delay_alu instid0(VALU_DEP_2) | instskip(SKIP_1) | instid1(VALU_DEP_3)
	v_lshlrev_b32_e32 v35, 20, v35
	v_lshl_add_u32 v45, v45, 23, 0x3c000000
	v_and_b32_e32 v46, 0x80000000, v46
	s_delay_alu instid0(VALU_DEP_1)
	v_or3_b32 v46, v35, v46, v45
	v_mov_b32_e32 v45, v36
.LBB242_40:                             ;   in Loop: Header=BB242_10 Depth=1
	s_or_b32 exec_lo, exec_lo, s8
.LBB242_41:                             ;   in Loop: Header=BB242_10 Depth=1
	s_delay_alu instid0(SALU_CYCLE_1)
	s_or_b32 exec_lo, exec_lo, s45
.LBB242_42:                             ;   in Loop: Header=BB242_10 Depth=1
	s_delay_alu instid0(SALU_CYCLE_1)
	s_or_b32 exec_lo, exec_lo, s4
	global_load_u16 v35, v[53:54], off offset:8
	v_mov_b32_e32 v49, 0
	s_waitcnt vmcnt(0)
	v_dual_mov_b32 v50, 0 :: v_dual_and_b32 v51, 0xff, v35
	v_and_b32_e32 v55, 0xffff, v35
	s_delay_alu instid0(VALU_DEP_2) | instskip(NEXT) | instid1(VALU_DEP_3)
	v_cmp_ne_u16_e64 s1, 0, v51
	v_dual_mov_b32 v52, v50 :: v_dual_mov_b32 v51, v49
	s_delay_alu instid0(VALU_DEP_2)
	s_and_saveexec_b32 s4, s1
	s_cbranch_execz .LBB242_50
; %bb.43:                               ;   in Loop: Header=BB242_10 Depth=1
	v_bfrev_b32_e32 v51, 1
	v_dual_mov_b32 v52, 0 :: v_dual_and_b32 v35, 0xff, v55
	s_mov_b32 s8, exec_lo
	s_delay_alu instid0(VALU_DEP_1)
	v_cmpx_ne_u16_e32 0x80, v35
	s_cbranch_execz .LBB242_49
; %bb.44:                               ;   in Loop: Header=BB242_10 Depth=1
	v_mov_b32_e32 v51, 0x7f800001
	v_and_b32_e32 v56, 0x7f, v55
	v_mov_b32_e32 v52, 0
	s_mov_b32 s45, exec_lo
	s_delay_alu instid0(VALU_DEP_2)
	v_cmpx_ne_u32_e32 0x7f, v56
	s_cbranch_execz .LBB242_48
; %bb.45:                               ;   in Loop: Header=BB242_10 Depth=1
	v_and_b32_e32 v35, 7, v55
	v_lshrrev_b32_e32 v51, 3, v56
	s_mov_b32 s46, exec_lo
	v_cmpx_gt_u32_e32 8, v56
; %bb.46:                               ;   in Loop: Header=BB242_10 Depth=1
	s_delay_alu instid0(VALU_DEP_3) | instskip(NEXT) | instid1(VALU_DEP_1)
	v_clz_i32_u32_e32 v51, v35
	v_min_u32_e32 v51, 32, v51
	s_delay_alu instid0(VALU_DEP_1) | instskip(SKIP_1) | instid1(VALU_DEP_2)
	v_subrev_nc_u32_e32 v52, 28, v51
	v_sub_nc_u32_e32 v51, 29, v51
	v_lshlrev_b64 v[56:57], v52, v[35:36]
	s_delay_alu instid0(VALU_DEP_1)
	v_and_b32_e32 v35, 7, v56
; %bb.47:                               ;   in Loop: Header=BB242_10 Depth=1
	s_or_b32 exec_lo, exec_lo, s46
	v_lshlrev_b32_e32 v52, 24, v55
	s_delay_alu instid0(VALU_DEP_2) | instskip(SKIP_1) | instid1(VALU_DEP_3)
	v_lshlrev_b32_e32 v35, 20, v35
	v_lshl_add_u32 v51, v51, 23, 0x3c000000
	v_and_b32_e32 v52, 0x80000000, v52
	s_delay_alu instid0(VALU_DEP_1) | instskip(NEXT) | instid1(VALU_DEP_1)
	v_or3_b32 v35, v35, v52, v51
	v_dual_mov_b32 v52, v36 :: v_dual_mov_b32 v51, v35
.LBB242_48:                             ;   in Loop: Header=BB242_10 Depth=1
	s_or_b32 exec_lo, exec_lo, s45
.LBB242_49:                             ;   in Loop: Header=BB242_10 Depth=1
	s_delay_alu instid0(SALU_CYCLE_1)
	s_or_b32 exec_lo, exec_lo, s8
.LBB242_50:                             ;   in Loop: Header=BB242_10 Depth=1
	s_delay_alu instid0(SALU_CYCLE_1) | instskip(SKIP_2) | instid1(VALU_DEP_1)
	s_or_b32 exec_lo, exec_lo, s4
	v_lshrrev_b16 v35, 8, v55
	s_mov_b32 s4, exec_lo
	v_cmpx_ne_u16_e32 0, v35
	s_cbranch_execz .LBB242_58
; %bb.51:                               ;   in Loop: Header=BB242_10 Depth=1
	v_dual_mov_b32 v50, s7 :: v_dual_mov_b32 v49, s6
	s_mov_b32 s45, exec_lo
	v_cmpx_ne_u16_e32 0x80, v35
	s_cbranch_execz .LBB242_57
; %bb.52:                               ;   in Loop: Header=BB242_10 Depth=1
	s_mov_b32 s8, s6
	v_dual_mov_b32 v50, s9 :: v_dual_and_b32 v35, 0xffff, v35
	v_mov_b32_e32 v49, s8
	s_mov_b32 s8, exec_lo
	s_delay_alu instid0(VALU_DEP_2) | instskip(NEXT) | instid1(VALU_DEP_1)
	v_and_b32_e32 v56, 0x7f, v35
	v_cmpx_ne_u32_e32 0x7f, v56
	s_cbranch_execz .LBB242_56
; %bb.53:                               ;   in Loop: Header=BB242_10 Depth=1
	v_and_b32_e32 v35, 7, v35
	v_lshrrev_b32_e32 v49, 3, v56
	s_mov_b32 s46, exec_lo
	v_cmpx_gt_u32_e32 8, v56
; %bb.54:                               ;   in Loop: Header=BB242_10 Depth=1
	s_delay_alu instid0(VALU_DEP_3) | instskip(NEXT) | instid1(VALU_DEP_1)
	v_clz_i32_u32_e32 v49, v35
	v_min_u32_e32 v49, 32, v49
	s_delay_alu instid0(VALU_DEP_1) | instskip(SKIP_1) | instid1(VALU_DEP_2)
	v_subrev_nc_u32_e32 v50, 28, v49
	v_sub_nc_u32_e32 v49, 29, v49
	v_lshlrev_b64 v[56:57], v50, v[35:36]
	s_delay_alu instid0(VALU_DEP_1)
	v_and_b32_e32 v35, 7, v56
; %bb.55:                               ;   in Loop: Header=BB242_10 Depth=1
	s_or_b32 exec_lo, exec_lo, s46
	v_lshlrev_b32_e32 v50, 16, v55
	s_delay_alu instid0(VALU_DEP_2) | instskip(SKIP_1) | instid1(VALU_DEP_3)
	v_lshlrev_b32_e32 v35, 20, v35
	v_lshl_add_u32 v49, v49, 23, 0x3c000000
	v_and_b32_e32 v50, 0x80000000, v50
	s_delay_alu instid0(VALU_DEP_1)
	v_or3_b32 v50, v35, v50, v49
	v_mov_b32_e32 v49, v36
.LBB242_56:                             ;   in Loop: Header=BB242_10 Depth=1
	s_or_b32 exec_lo, exec_lo, s8
.LBB242_57:                             ;   in Loop: Header=BB242_10 Depth=1
	s_delay_alu instid0(SALU_CYCLE_1)
	s_or_b32 exec_lo, exec_lo, s45
.LBB242_58:                             ;   in Loop: Header=BB242_10 Depth=1
	s_delay_alu instid0(SALU_CYCLE_1)
	s_or_b32 exec_lo, exec_lo, s4
	global_load_u16 v35, v[53:54], off offset:12
	v_mov_b32_e32 v55, 0
	s_waitcnt vmcnt(0)
	v_dual_mov_b32 v56, 0 :: v_dual_and_b32 v57, 0xff, v35
	v_and_b32_e32 v59, 0xffff, v35
	s_delay_alu instid0(VALU_DEP_2) | instskip(NEXT) | instid1(VALU_DEP_3)
	v_cmp_ne_u16_e64 s1, 0, v57
	v_dual_mov_b32 v58, v56 :: v_dual_mov_b32 v57, v55
	s_delay_alu instid0(VALU_DEP_2)
	s_and_saveexec_b32 s4, s1
	s_cbranch_execz .LBB242_66
; %bb.59:                               ;   in Loop: Header=BB242_10 Depth=1
	v_bfrev_b32_e32 v57, 1
	v_dual_mov_b32 v58, 0 :: v_dual_and_b32 v35, 0xff, v59
	s_mov_b32 s8, exec_lo
	s_delay_alu instid0(VALU_DEP_1)
	v_cmpx_ne_u16_e32 0x80, v35
	s_cbranch_execz .LBB242_65
; %bb.60:                               ;   in Loop: Header=BB242_10 Depth=1
	v_mov_b32_e32 v57, 0x7f800001
	v_and_b32_e32 v60, 0x7f, v59
	v_mov_b32_e32 v58, 0
	s_mov_b32 s45, exec_lo
	s_delay_alu instid0(VALU_DEP_2)
	v_cmpx_ne_u32_e32 0x7f, v60
	s_cbranch_execz .LBB242_64
; %bb.61:                               ;   in Loop: Header=BB242_10 Depth=1
	v_and_b32_e32 v35, 7, v59
	v_lshrrev_b32_e32 v57, 3, v60
	s_mov_b32 s46, exec_lo
	v_cmpx_gt_u32_e32 8, v60
; %bb.62:                               ;   in Loop: Header=BB242_10 Depth=1
	s_delay_alu instid0(VALU_DEP_3) | instskip(NEXT) | instid1(VALU_DEP_1)
	v_clz_i32_u32_e32 v57, v35
	v_min_u32_e32 v57, 32, v57
	s_delay_alu instid0(VALU_DEP_1) | instskip(SKIP_1) | instid1(VALU_DEP_2)
	v_subrev_nc_u32_e32 v58, 28, v57
	v_sub_nc_u32_e32 v57, 29, v57
	v_lshlrev_b64 v[60:61], v58, v[35:36]
	s_delay_alu instid0(VALU_DEP_1)
	v_and_b32_e32 v35, 7, v60
; %bb.63:                               ;   in Loop: Header=BB242_10 Depth=1
	s_or_b32 exec_lo, exec_lo, s46
	v_lshlrev_b32_e32 v58, 24, v59
	s_delay_alu instid0(VALU_DEP_2) | instskip(SKIP_1) | instid1(VALU_DEP_3)
	v_lshlrev_b32_e32 v35, 20, v35
	v_lshl_add_u32 v57, v57, 23, 0x3c000000
	v_and_b32_e32 v58, 0x80000000, v58
	s_delay_alu instid0(VALU_DEP_1) | instskip(NEXT) | instid1(VALU_DEP_1)
	v_or3_b32 v35, v35, v58, v57
	v_dual_mov_b32 v58, v36 :: v_dual_mov_b32 v57, v35
.LBB242_64:                             ;   in Loop: Header=BB242_10 Depth=1
	s_or_b32 exec_lo, exec_lo, s45
.LBB242_65:                             ;   in Loop: Header=BB242_10 Depth=1
	s_delay_alu instid0(SALU_CYCLE_1)
	s_or_b32 exec_lo, exec_lo, s8
.LBB242_66:                             ;   in Loop: Header=BB242_10 Depth=1
	s_delay_alu instid0(SALU_CYCLE_1) | instskip(SKIP_2) | instid1(VALU_DEP_1)
	s_or_b32 exec_lo, exec_lo, s4
	v_lshrrev_b16 v35, 8, v59
	s_mov_b32 s4, exec_lo
	v_cmpx_ne_u16_e32 0, v35
	s_cbranch_execz .LBB242_74
; %bb.67:                               ;   in Loop: Header=BB242_10 Depth=1
	v_dual_mov_b32 v56, s7 :: v_dual_mov_b32 v55, s6
	s_mov_b32 s45, exec_lo
	v_cmpx_ne_u16_e32 0x80, v35
	s_cbranch_execz .LBB242_73
; %bb.68:                               ;   in Loop: Header=BB242_10 Depth=1
	s_mov_b32 s8, s6
	v_dual_mov_b32 v56, s9 :: v_dual_and_b32 v35, 0xffff, v35
	v_mov_b32_e32 v55, s8
	s_mov_b32 s8, exec_lo
	s_delay_alu instid0(VALU_DEP_2) | instskip(NEXT) | instid1(VALU_DEP_1)
	v_and_b32_e32 v60, 0x7f, v35
	v_cmpx_ne_u32_e32 0x7f, v60
	s_cbranch_execz .LBB242_72
; %bb.69:                               ;   in Loop: Header=BB242_10 Depth=1
	v_and_b32_e32 v35, 7, v35
	v_lshrrev_b32_e32 v55, 3, v60
	s_mov_b32 s46, exec_lo
	v_cmpx_gt_u32_e32 8, v60
; %bb.70:                               ;   in Loop: Header=BB242_10 Depth=1
	s_delay_alu instid0(VALU_DEP_3) | instskip(NEXT) | instid1(VALU_DEP_1)
	v_clz_i32_u32_e32 v55, v35
	v_min_u32_e32 v55, 32, v55
	s_delay_alu instid0(VALU_DEP_1) | instskip(SKIP_1) | instid1(VALU_DEP_2)
	v_subrev_nc_u32_e32 v56, 28, v55
	v_sub_nc_u32_e32 v55, 29, v55
	v_lshlrev_b64 v[60:61], v56, v[35:36]
	s_delay_alu instid0(VALU_DEP_1)
	v_and_b32_e32 v35, 7, v60
; %bb.71:                               ;   in Loop: Header=BB242_10 Depth=1
	s_or_b32 exec_lo, exec_lo, s46
	v_lshlrev_b32_e32 v56, 16, v59
	s_delay_alu instid0(VALU_DEP_2) | instskip(SKIP_1) | instid1(VALU_DEP_3)
	v_lshlrev_b32_e32 v35, 20, v35
	v_lshl_add_u32 v55, v55, 23, 0x3c000000
	v_and_b32_e32 v56, 0x80000000, v56
	s_delay_alu instid0(VALU_DEP_1)
	v_or3_b32 v56, v35, v56, v55
	v_mov_b32_e32 v55, v36
.LBB242_72:                             ;   in Loop: Header=BB242_10 Depth=1
	s_or_b32 exec_lo, exec_lo, s8
.LBB242_73:                             ;   in Loop: Header=BB242_10 Depth=1
	s_delay_alu instid0(SALU_CYCLE_1)
	s_or_b32 exec_lo, exec_lo, s45
.LBB242_74:                             ;   in Loop: Header=BB242_10 Depth=1
	s_delay_alu instid0(SALU_CYCLE_1)
	s_or_b32 exec_lo, exec_lo, s4
	global_load_u16 v35, v[53:54], off offset:256
	v_mov_b32_e32 v59, 0
	s_waitcnt vmcnt(0)
	v_dual_mov_b32 v60, 0 :: v_dual_and_b32 v61, 0xff, v35
	v_and_b32_e32 v63, 0xffff, v35
	s_delay_alu instid0(VALU_DEP_2) | instskip(NEXT) | instid1(VALU_DEP_3)
	v_cmp_ne_u16_e64 s1, 0, v61
	v_dual_mov_b32 v62, v60 :: v_dual_mov_b32 v61, v59
	s_delay_alu instid0(VALU_DEP_2)
	s_and_saveexec_b32 s4, s1
	s_cbranch_execz .LBB242_82
; %bb.75:                               ;   in Loop: Header=BB242_10 Depth=1
	v_bfrev_b32_e32 v61, 1
	v_dual_mov_b32 v62, 0 :: v_dual_and_b32 v35, 0xff, v63
	s_mov_b32 s8, exec_lo
	s_delay_alu instid0(VALU_DEP_1)
	v_cmpx_ne_u16_e32 0x80, v35
	s_cbranch_execz .LBB242_81
; %bb.76:                               ;   in Loop: Header=BB242_10 Depth=1
	v_mov_b32_e32 v61, 0x7f800001
	v_and_b32_e32 v64, 0x7f, v63
	v_mov_b32_e32 v62, 0
	s_mov_b32 s45, exec_lo
	s_delay_alu instid0(VALU_DEP_2)
	v_cmpx_ne_u32_e32 0x7f, v64
	s_cbranch_execz .LBB242_80
; %bb.77:                               ;   in Loop: Header=BB242_10 Depth=1
	v_and_b32_e32 v35, 7, v63
	v_lshrrev_b32_e32 v61, 3, v64
	s_mov_b32 s46, exec_lo
	v_cmpx_gt_u32_e32 8, v64
; %bb.78:                               ;   in Loop: Header=BB242_10 Depth=1
	s_delay_alu instid0(VALU_DEP_3) | instskip(NEXT) | instid1(VALU_DEP_1)
	v_clz_i32_u32_e32 v61, v35
	v_min_u32_e32 v61, 32, v61
	s_delay_alu instid0(VALU_DEP_1) | instskip(SKIP_1) | instid1(VALU_DEP_2)
	v_subrev_nc_u32_e32 v62, 28, v61
	v_sub_nc_u32_e32 v61, 29, v61
	v_lshlrev_b64 v[64:65], v62, v[35:36]
	s_delay_alu instid0(VALU_DEP_1)
	v_and_b32_e32 v35, 7, v64
; %bb.79:                               ;   in Loop: Header=BB242_10 Depth=1
	s_or_b32 exec_lo, exec_lo, s46
	v_lshlrev_b32_e32 v62, 24, v63
	s_delay_alu instid0(VALU_DEP_2) | instskip(SKIP_1) | instid1(VALU_DEP_3)
	v_lshlrev_b32_e32 v35, 20, v35
	v_lshl_add_u32 v61, v61, 23, 0x3c000000
	v_and_b32_e32 v62, 0x80000000, v62
	s_delay_alu instid0(VALU_DEP_1) | instskip(NEXT) | instid1(VALU_DEP_1)
	v_or3_b32 v35, v35, v62, v61
	v_dual_mov_b32 v62, v36 :: v_dual_mov_b32 v61, v35
.LBB242_80:                             ;   in Loop: Header=BB242_10 Depth=1
	s_or_b32 exec_lo, exec_lo, s45
.LBB242_81:                             ;   in Loop: Header=BB242_10 Depth=1
	s_delay_alu instid0(SALU_CYCLE_1)
	s_or_b32 exec_lo, exec_lo, s8
.LBB242_82:                             ;   in Loop: Header=BB242_10 Depth=1
	s_delay_alu instid0(SALU_CYCLE_1) | instskip(SKIP_2) | instid1(VALU_DEP_1)
	s_or_b32 exec_lo, exec_lo, s4
	v_lshrrev_b16 v35, 8, v63
	s_mov_b32 s4, exec_lo
	v_cmpx_ne_u16_e32 0, v35
	s_cbranch_execz .LBB242_90
; %bb.83:                               ;   in Loop: Header=BB242_10 Depth=1
	v_dual_mov_b32 v60, s7 :: v_dual_mov_b32 v59, s6
	s_mov_b32 s45, exec_lo
	v_cmpx_ne_u16_e32 0x80, v35
	s_cbranch_execz .LBB242_89
; %bb.84:                               ;   in Loop: Header=BB242_10 Depth=1
	s_mov_b32 s8, s6
	v_dual_mov_b32 v60, s9 :: v_dual_and_b32 v35, 0xffff, v35
	v_mov_b32_e32 v59, s8
	s_mov_b32 s8, exec_lo
	s_delay_alu instid0(VALU_DEP_2) | instskip(NEXT) | instid1(VALU_DEP_1)
	v_and_b32_e32 v64, 0x7f, v35
	v_cmpx_ne_u32_e32 0x7f, v64
	s_cbranch_execz .LBB242_88
; %bb.85:                               ;   in Loop: Header=BB242_10 Depth=1
	v_and_b32_e32 v35, 7, v35
	v_lshrrev_b32_e32 v59, 3, v64
	s_mov_b32 s46, exec_lo
	v_cmpx_gt_u32_e32 8, v64
; %bb.86:                               ;   in Loop: Header=BB242_10 Depth=1
	s_delay_alu instid0(VALU_DEP_3) | instskip(NEXT) | instid1(VALU_DEP_1)
	v_clz_i32_u32_e32 v59, v35
	v_min_u32_e32 v59, 32, v59
	s_delay_alu instid0(VALU_DEP_1) | instskip(SKIP_1) | instid1(VALU_DEP_2)
	v_subrev_nc_u32_e32 v60, 28, v59
	v_sub_nc_u32_e32 v59, 29, v59
	v_lshlrev_b64 v[64:65], v60, v[35:36]
	s_delay_alu instid0(VALU_DEP_1)
	v_and_b32_e32 v35, 7, v64
; %bb.87:                               ;   in Loop: Header=BB242_10 Depth=1
	s_or_b32 exec_lo, exec_lo, s46
	v_lshlrev_b32_e32 v60, 16, v63
	s_delay_alu instid0(VALU_DEP_2) | instskip(SKIP_1) | instid1(VALU_DEP_3)
	v_lshlrev_b32_e32 v35, 20, v35
	v_lshl_add_u32 v59, v59, 23, 0x3c000000
	v_and_b32_e32 v60, 0x80000000, v60
	s_delay_alu instid0(VALU_DEP_1)
	v_or3_b32 v60, v35, v60, v59
	v_mov_b32_e32 v59, v36
.LBB242_88:                             ;   in Loop: Header=BB242_10 Depth=1
	s_or_b32 exec_lo, exec_lo, s8
.LBB242_89:                             ;   in Loop: Header=BB242_10 Depth=1
	s_delay_alu instid0(SALU_CYCLE_1)
	s_or_b32 exec_lo, exec_lo, s45
.LBB242_90:                             ;   in Loop: Header=BB242_10 Depth=1
	s_delay_alu instid0(SALU_CYCLE_1)
	s_or_b32 exec_lo, exec_lo, s4
	global_load_u16 v35, v[53:54], off offset:260
	v_mov_b32_e32 v63, 0
	s_waitcnt vmcnt(0)
	v_dual_mov_b32 v64, 0 :: v_dual_and_b32 v65, 0xff, v35
	v_and_b32_e32 v67, 0xffff, v35
	s_delay_alu instid0(VALU_DEP_2) | instskip(NEXT) | instid1(VALU_DEP_3)
	v_cmp_ne_u16_e64 s1, 0, v65
	v_dual_mov_b32 v66, v64 :: v_dual_mov_b32 v65, v63
	s_delay_alu instid0(VALU_DEP_2)
	s_and_saveexec_b32 s4, s1
	s_cbranch_execz .LBB242_98
; %bb.91:                               ;   in Loop: Header=BB242_10 Depth=1
	v_bfrev_b32_e32 v65, 1
	v_dual_mov_b32 v66, 0 :: v_dual_and_b32 v35, 0xff, v67
	s_mov_b32 s8, exec_lo
	s_delay_alu instid0(VALU_DEP_1)
	v_cmpx_ne_u16_e32 0x80, v35
	s_cbranch_execz .LBB242_97
; %bb.92:                               ;   in Loop: Header=BB242_10 Depth=1
	v_mov_b32_e32 v65, 0x7f800001
	v_and_b32_e32 v68, 0x7f, v67
	v_mov_b32_e32 v66, 0
	s_mov_b32 s45, exec_lo
	s_delay_alu instid0(VALU_DEP_2)
	v_cmpx_ne_u32_e32 0x7f, v68
	s_cbranch_execz .LBB242_96
; %bb.93:                               ;   in Loop: Header=BB242_10 Depth=1
	v_and_b32_e32 v35, 7, v67
	v_lshrrev_b32_e32 v65, 3, v68
	s_mov_b32 s46, exec_lo
	v_cmpx_gt_u32_e32 8, v68
; %bb.94:                               ;   in Loop: Header=BB242_10 Depth=1
	s_delay_alu instid0(VALU_DEP_3) | instskip(NEXT) | instid1(VALU_DEP_1)
	v_clz_i32_u32_e32 v65, v35
	v_min_u32_e32 v65, 32, v65
	s_delay_alu instid0(VALU_DEP_1) | instskip(SKIP_1) | instid1(VALU_DEP_2)
	v_subrev_nc_u32_e32 v66, 28, v65
	v_sub_nc_u32_e32 v65, 29, v65
	v_lshlrev_b64 v[68:69], v66, v[35:36]
	s_delay_alu instid0(VALU_DEP_1)
	v_and_b32_e32 v35, 7, v68
; %bb.95:                               ;   in Loop: Header=BB242_10 Depth=1
	s_or_b32 exec_lo, exec_lo, s46
	v_lshlrev_b32_e32 v66, 24, v67
	s_delay_alu instid0(VALU_DEP_2) | instskip(SKIP_1) | instid1(VALU_DEP_3)
	v_lshlrev_b32_e32 v35, 20, v35
	v_lshl_add_u32 v65, v65, 23, 0x3c000000
	v_and_b32_e32 v66, 0x80000000, v66
	s_delay_alu instid0(VALU_DEP_1) | instskip(NEXT) | instid1(VALU_DEP_1)
	v_or3_b32 v35, v35, v66, v65
	v_dual_mov_b32 v66, v36 :: v_dual_mov_b32 v65, v35
.LBB242_96:                             ;   in Loop: Header=BB242_10 Depth=1
	s_or_b32 exec_lo, exec_lo, s45
.LBB242_97:                             ;   in Loop: Header=BB242_10 Depth=1
	s_delay_alu instid0(SALU_CYCLE_1)
	s_or_b32 exec_lo, exec_lo, s8
.LBB242_98:                             ;   in Loop: Header=BB242_10 Depth=1
	s_delay_alu instid0(SALU_CYCLE_1) | instskip(SKIP_2) | instid1(VALU_DEP_1)
	s_or_b32 exec_lo, exec_lo, s4
	v_lshrrev_b16 v35, 8, v67
	s_mov_b32 s4, exec_lo
	v_cmpx_ne_u16_e32 0, v35
	s_cbranch_execz .LBB242_106
; %bb.99:                               ;   in Loop: Header=BB242_10 Depth=1
	v_dual_mov_b32 v64, s7 :: v_dual_mov_b32 v63, s6
	s_mov_b32 s45, exec_lo
	v_cmpx_ne_u16_e32 0x80, v35
	s_cbranch_execz .LBB242_105
; %bb.100:                              ;   in Loop: Header=BB242_10 Depth=1
	s_mov_b32 s8, s6
	v_dual_mov_b32 v64, s9 :: v_dual_and_b32 v35, 0xffff, v35
	v_mov_b32_e32 v63, s8
	s_mov_b32 s8, exec_lo
	s_delay_alu instid0(VALU_DEP_2) | instskip(NEXT) | instid1(VALU_DEP_1)
	v_and_b32_e32 v68, 0x7f, v35
	v_cmpx_ne_u32_e32 0x7f, v68
	s_cbranch_execz .LBB242_104
; %bb.101:                              ;   in Loop: Header=BB242_10 Depth=1
	v_and_b32_e32 v35, 7, v35
	v_lshrrev_b32_e32 v63, 3, v68
	s_mov_b32 s46, exec_lo
	v_cmpx_gt_u32_e32 8, v68
; %bb.102:                              ;   in Loop: Header=BB242_10 Depth=1
	s_delay_alu instid0(VALU_DEP_3) | instskip(NEXT) | instid1(VALU_DEP_1)
	v_clz_i32_u32_e32 v63, v35
	v_min_u32_e32 v63, 32, v63
	s_delay_alu instid0(VALU_DEP_1) | instskip(SKIP_1) | instid1(VALU_DEP_2)
	v_subrev_nc_u32_e32 v64, 28, v63
	v_sub_nc_u32_e32 v63, 29, v63
	v_lshlrev_b64 v[68:69], v64, v[35:36]
	s_delay_alu instid0(VALU_DEP_1)
	v_and_b32_e32 v35, 7, v68
; %bb.103:                              ;   in Loop: Header=BB242_10 Depth=1
	s_or_b32 exec_lo, exec_lo, s46
	v_lshlrev_b32_e32 v64, 16, v67
	s_delay_alu instid0(VALU_DEP_2) | instskip(SKIP_1) | instid1(VALU_DEP_3)
	v_lshlrev_b32_e32 v35, 20, v35
	v_lshl_add_u32 v63, v63, 23, 0x3c000000
	v_and_b32_e32 v64, 0x80000000, v64
	s_delay_alu instid0(VALU_DEP_1)
	v_or3_b32 v64, v35, v64, v63
	v_mov_b32_e32 v63, v36
.LBB242_104:                            ;   in Loop: Header=BB242_10 Depth=1
	s_or_b32 exec_lo, exec_lo, s8
.LBB242_105:                            ;   in Loop: Header=BB242_10 Depth=1
	s_delay_alu instid0(SALU_CYCLE_1)
	s_or_b32 exec_lo, exec_lo, s45
.LBB242_106:                            ;   in Loop: Header=BB242_10 Depth=1
	s_delay_alu instid0(SALU_CYCLE_1) | instskip(SKIP_1) | instid1(VALU_DEP_1)
	s_or_b32 exec_lo, exec_lo, s4
	v_add_co_u32 v71, s1, 0x100, v53
	v_add_co_ci_u32_e64 v72, s1, 0, v54, s1
	v_mov_b32_e32 v67, 0
	global_load_u16 v35, v[71:72], off offset:8
	s_waitcnt vmcnt(0)
	v_dual_mov_b32 v68, 0 :: v_dual_and_b32 v69, 0xff, v35
	v_and_b32_e32 v73, 0xffff, v35
	s_delay_alu instid0(VALU_DEP_2) | instskip(NEXT) | instid1(VALU_DEP_3)
	v_cmp_ne_u16_e64 s1, 0, v69
	v_dual_mov_b32 v70, v68 :: v_dual_mov_b32 v69, v67
	s_delay_alu instid0(VALU_DEP_2)
	s_and_saveexec_b32 s4, s1
	s_cbranch_execz .LBB242_114
; %bb.107:                              ;   in Loop: Header=BB242_10 Depth=1
	v_bfrev_b32_e32 v69, 1
	v_dual_mov_b32 v70, 0 :: v_dual_and_b32 v35, 0xff, v73
	s_mov_b32 s8, exec_lo
	s_delay_alu instid0(VALU_DEP_1)
	v_cmpx_ne_u16_e32 0x80, v35
	s_cbranch_execz .LBB242_113
; %bb.108:                              ;   in Loop: Header=BB242_10 Depth=1
	v_mov_b32_e32 v69, 0x7f800001
	v_and_b32_e32 v74, 0x7f, v73
	v_mov_b32_e32 v70, 0
	s_mov_b32 s45, exec_lo
	s_delay_alu instid0(VALU_DEP_2)
	v_cmpx_ne_u32_e32 0x7f, v74
	s_cbranch_execz .LBB242_112
; %bb.109:                              ;   in Loop: Header=BB242_10 Depth=1
	v_and_b32_e32 v35, 7, v73
	v_lshrrev_b32_e32 v69, 3, v74
	s_mov_b32 s46, exec_lo
	v_cmpx_gt_u32_e32 8, v74
; %bb.110:                              ;   in Loop: Header=BB242_10 Depth=1
	s_delay_alu instid0(VALU_DEP_3) | instskip(NEXT) | instid1(VALU_DEP_1)
	v_clz_i32_u32_e32 v69, v35
	v_min_u32_e32 v69, 32, v69
	s_delay_alu instid0(VALU_DEP_1) | instskip(SKIP_1) | instid1(VALU_DEP_2)
	v_subrev_nc_u32_e32 v70, 28, v69
	v_sub_nc_u32_e32 v69, 29, v69
	v_lshlrev_b64 v[74:75], v70, v[35:36]
	s_delay_alu instid0(VALU_DEP_1)
	v_and_b32_e32 v35, 7, v74
; %bb.111:                              ;   in Loop: Header=BB242_10 Depth=1
	s_or_b32 exec_lo, exec_lo, s46
	v_lshlrev_b32_e32 v70, 24, v73
	s_delay_alu instid0(VALU_DEP_2) | instskip(SKIP_1) | instid1(VALU_DEP_3)
	v_lshlrev_b32_e32 v35, 20, v35
	v_lshl_add_u32 v69, v69, 23, 0x3c000000
	v_and_b32_e32 v70, 0x80000000, v70
	s_delay_alu instid0(VALU_DEP_1) | instskip(NEXT) | instid1(VALU_DEP_1)
	v_or3_b32 v35, v35, v70, v69
	v_dual_mov_b32 v70, v36 :: v_dual_mov_b32 v69, v35
.LBB242_112:                            ;   in Loop: Header=BB242_10 Depth=1
	s_or_b32 exec_lo, exec_lo, s45
.LBB242_113:                            ;   in Loop: Header=BB242_10 Depth=1
	s_delay_alu instid0(SALU_CYCLE_1)
	s_or_b32 exec_lo, exec_lo, s8
.LBB242_114:                            ;   in Loop: Header=BB242_10 Depth=1
	s_delay_alu instid0(SALU_CYCLE_1) | instskip(SKIP_2) | instid1(VALU_DEP_1)
	s_or_b32 exec_lo, exec_lo, s4
	v_lshrrev_b16 v35, 8, v73
	s_mov_b32 s4, exec_lo
	v_cmpx_ne_u16_e32 0, v35
	s_cbranch_execz .LBB242_122
; %bb.115:                              ;   in Loop: Header=BB242_10 Depth=1
	v_dual_mov_b32 v68, s7 :: v_dual_mov_b32 v67, s6
	s_mov_b32 s45, exec_lo
	v_cmpx_ne_u16_e32 0x80, v35
	s_cbranch_execz .LBB242_121
; %bb.116:                              ;   in Loop: Header=BB242_10 Depth=1
	s_mov_b32 s8, s6
	v_dual_mov_b32 v68, s9 :: v_dual_and_b32 v35, 0xffff, v35
	v_mov_b32_e32 v67, s8
	s_mov_b32 s8, exec_lo
	s_delay_alu instid0(VALU_DEP_2) | instskip(NEXT) | instid1(VALU_DEP_1)
	v_and_b32_e32 v74, 0x7f, v35
	v_cmpx_ne_u32_e32 0x7f, v74
	s_cbranch_execz .LBB242_120
; %bb.117:                              ;   in Loop: Header=BB242_10 Depth=1
	v_and_b32_e32 v35, 7, v35
	v_lshrrev_b32_e32 v67, 3, v74
	s_mov_b32 s46, exec_lo
	v_cmpx_gt_u32_e32 8, v74
; %bb.118:                              ;   in Loop: Header=BB242_10 Depth=1
	s_delay_alu instid0(VALU_DEP_3) | instskip(NEXT) | instid1(VALU_DEP_1)
	v_clz_i32_u32_e32 v67, v35
	v_min_u32_e32 v67, 32, v67
	s_delay_alu instid0(VALU_DEP_1) | instskip(SKIP_1) | instid1(VALU_DEP_2)
	v_subrev_nc_u32_e32 v68, 28, v67
	v_sub_nc_u32_e32 v67, 29, v67
	v_lshlrev_b64 v[74:75], v68, v[35:36]
	s_delay_alu instid0(VALU_DEP_1)
	v_and_b32_e32 v35, 7, v74
; %bb.119:                              ;   in Loop: Header=BB242_10 Depth=1
	s_or_b32 exec_lo, exec_lo, s46
	v_lshlrev_b32_e32 v68, 16, v73
	s_delay_alu instid0(VALU_DEP_2) | instskip(SKIP_1) | instid1(VALU_DEP_3)
	v_lshlrev_b32_e32 v35, 20, v35
	v_lshl_add_u32 v67, v67, 23, 0x3c000000
	v_and_b32_e32 v68, 0x80000000, v68
	s_delay_alu instid0(VALU_DEP_1)
	v_or3_b32 v68, v35, v68, v67
	v_mov_b32_e32 v67, v36
.LBB242_120:                            ;   in Loop: Header=BB242_10 Depth=1
	s_or_b32 exec_lo, exec_lo, s8
.LBB242_121:                            ;   in Loop: Header=BB242_10 Depth=1
	s_delay_alu instid0(SALU_CYCLE_1)
	s_or_b32 exec_lo, exec_lo, s45
.LBB242_122:                            ;   in Loop: Header=BB242_10 Depth=1
	s_delay_alu instid0(SALU_CYCLE_1)
	s_or_b32 exec_lo, exec_lo, s4
	global_load_u16 v35, v[71:72], off offset:12
	v_mov_b32_e32 v71, 0
	s_waitcnt vmcnt(0)
	v_dual_mov_b32 v72, 0 :: v_dual_and_b32 v73, 0xff, v35
	v_and_b32_e32 v75, 0xffff, v35
	s_delay_alu instid0(VALU_DEP_2) | instskip(NEXT) | instid1(VALU_DEP_3)
	v_cmp_ne_u16_e64 s1, 0, v73
	v_dual_mov_b32 v74, v72 :: v_dual_mov_b32 v73, v71
	s_delay_alu instid0(VALU_DEP_2)
	s_and_saveexec_b32 s4, s1
	s_cbranch_execz .LBB242_130
; %bb.123:                              ;   in Loop: Header=BB242_10 Depth=1
	v_bfrev_b32_e32 v73, 1
	v_dual_mov_b32 v74, 0 :: v_dual_and_b32 v35, 0xff, v75
	s_mov_b32 s8, exec_lo
	s_delay_alu instid0(VALU_DEP_1)
	v_cmpx_ne_u16_e32 0x80, v35
	s_cbranch_execz .LBB242_129
; %bb.124:                              ;   in Loop: Header=BB242_10 Depth=1
	v_mov_b32_e32 v73, 0x7f800001
	v_and_b32_e32 v76, 0x7f, v75
	v_mov_b32_e32 v74, 0
	s_mov_b32 s45, exec_lo
	s_delay_alu instid0(VALU_DEP_2)
	v_cmpx_ne_u32_e32 0x7f, v76
	s_cbranch_execz .LBB242_128
; %bb.125:                              ;   in Loop: Header=BB242_10 Depth=1
	v_and_b32_e32 v35, 7, v75
	v_lshrrev_b32_e32 v73, 3, v76
	s_mov_b32 s46, exec_lo
	v_cmpx_gt_u32_e32 8, v76
; %bb.126:                              ;   in Loop: Header=BB242_10 Depth=1
	s_delay_alu instid0(VALU_DEP_3) | instskip(NEXT) | instid1(VALU_DEP_1)
	v_clz_i32_u32_e32 v73, v35
	v_min_u32_e32 v73, 32, v73
	s_delay_alu instid0(VALU_DEP_1) | instskip(SKIP_1) | instid1(VALU_DEP_2)
	v_subrev_nc_u32_e32 v74, 28, v73
	v_sub_nc_u32_e32 v73, 29, v73
	v_lshlrev_b64 v[76:77], v74, v[35:36]
	s_delay_alu instid0(VALU_DEP_1)
	v_and_b32_e32 v35, 7, v76
; %bb.127:                              ;   in Loop: Header=BB242_10 Depth=1
	s_or_b32 exec_lo, exec_lo, s46
	v_lshlrev_b32_e32 v74, 24, v75
	s_delay_alu instid0(VALU_DEP_2) | instskip(SKIP_1) | instid1(VALU_DEP_3)
	v_lshlrev_b32_e32 v35, 20, v35
	v_lshl_add_u32 v73, v73, 23, 0x3c000000
	v_and_b32_e32 v74, 0x80000000, v74
	s_delay_alu instid0(VALU_DEP_1) | instskip(NEXT) | instid1(VALU_DEP_1)
	v_or3_b32 v35, v35, v74, v73
	v_dual_mov_b32 v74, v36 :: v_dual_mov_b32 v73, v35
.LBB242_128:                            ;   in Loop: Header=BB242_10 Depth=1
	s_or_b32 exec_lo, exec_lo, s45
.LBB242_129:                            ;   in Loop: Header=BB242_10 Depth=1
	s_delay_alu instid0(SALU_CYCLE_1)
	s_or_b32 exec_lo, exec_lo, s8
.LBB242_130:                            ;   in Loop: Header=BB242_10 Depth=1
	s_delay_alu instid0(SALU_CYCLE_1) | instskip(SKIP_2) | instid1(VALU_DEP_1)
	s_or_b32 exec_lo, exec_lo, s4
	v_lshrrev_b16 v35, 8, v75
	s_mov_b32 s4, exec_lo
	v_cmpx_ne_u16_e32 0, v35
	s_cbranch_execz .LBB242_138
; %bb.131:                              ;   in Loop: Header=BB242_10 Depth=1
	v_dual_mov_b32 v72, s7 :: v_dual_mov_b32 v71, s6
	s_mov_b32 s45, exec_lo
	v_cmpx_ne_u16_e32 0x80, v35
	s_cbranch_execz .LBB242_137
; %bb.132:                              ;   in Loop: Header=BB242_10 Depth=1
	s_mov_b32 s8, s6
	v_dual_mov_b32 v72, s9 :: v_dual_and_b32 v35, 0xffff, v35
	v_mov_b32_e32 v71, s8
	s_mov_b32 s8, exec_lo
	s_delay_alu instid0(VALU_DEP_2) | instskip(NEXT) | instid1(VALU_DEP_1)
	v_and_b32_e32 v76, 0x7f, v35
	v_cmpx_ne_u32_e32 0x7f, v76
	s_cbranch_execz .LBB242_136
; %bb.133:                              ;   in Loop: Header=BB242_10 Depth=1
	v_and_b32_e32 v35, 7, v35
	v_lshrrev_b32_e32 v71, 3, v76
	s_mov_b32 s46, exec_lo
	v_cmpx_gt_u32_e32 8, v76
; %bb.134:                              ;   in Loop: Header=BB242_10 Depth=1
	s_delay_alu instid0(VALU_DEP_3) | instskip(NEXT) | instid1(VALU_DEP_1)
	v_clz_i32_u32_e32 v71, v35
	v_min_u32_e32 v71, 32, v71
	s_delay_alu instid0(VALU_DEP_1) | instskip(SKIP_1) | instid1(VALU_DEP_2)
	v_subrev_nc_u32_e32 v72, 28, v71
	v_sub_nc_u32_e32 v71, 29, v71
	v_lshlrev_b64 v[76:77], v72, v[35:36]
	s_delay_alu instid0(VALU_DEP_1)
	v_and_b32_e32 v35, 7, v76
; %bb.135:                              ;   in Loop: Header=BB242_10 Depth=1
	s_or_b32 exec_lo, exec_lo, s46
	v_lshlrev_b32_e32 v72, 16, v75
	s_delay_alu instid0(VALU_DEP_2) | instskip(SKIP_1) | instid1(VALU_DEP_3)
	v_lshlrev_b32_e32 v35, 20, v35
	v_lshl_add_u32 v71, v71, 23, 0x3c000000
	v_and_b32_e32 v72, 0x80000000, v72
	s_delay_alu instid0(VALU_DEP_1)
	v_or3_b32 v72, v35, v72, v71
	v_mov_b32_e32 v71, v36
.LBB242_136:                            ;   in Loop: Header=BB242_10 Depth=1
	s_or_b32 exec_lo, exec_lo, s8
.LBB242_137:                            ;   in Loop: Header=BB242_10 Depth=1
	s_delay_alu instid0(SALU_CYCLE_1)
	s_or_b32 exec_lo, exec_lo, s45
.LBB242_138:                            ;   in Loop: Header=BB242_10 Depth=1
	s_delay_alu instid0(SALU_CYCLE_1)
	s_or_b32 exec_lo, exec_lo, s4
	global_load_u16 v35, v[53:54], off offset:512
	v_mov_b32_e32 v75, 0
	s_waitcnt vmcnt(0)
	v_dual_mov_b32 v76, 0 :: v_dual_and_b32 v77, 0xff, v35
	v_and_b32_e32 v79, 0xffff, v35
	s_delay_alu instid0(VALU_DEP_2) | instskip(NEXT) | instid1(VALU_DEP_3)
	v_cmp_ne_u16_e64 s1, 0, v77
	v_dual_mov_b32 v78, v76 :: v_dual_mov_b32 v77, v75
	s_delay_alu instid0(VALU_DEP_2)
	s_and_saveexec_b32 s4, s1
	s_cbranch_execz .LBB242_146
; %bb.139:                              ;   in Loop: Header=BB242_10 Depth=1
	v_bfrev_b32_e32 v77, 1
	v_dual_mov_b32 v78, 0 :: v_dual_and_b32 v35, 0xff, v79
	s_mov_b32 s8, exec_lo
	s_delay_alu instid0(VALU_DEP_1)
	v_cmpx_ne_u16_e32 0x80, v35
	s_cbranch_execz .LBB242_145
; %bb.140:                              ;   in Loop: Header=BB242_10 Depth=1
	v_mov_b32_e32 v77, 0x7f800001
	v_and_b32_e32 v80, 0x7f, v79
	v_mov_b32_e32 v78, 0
	s_mov_b32 s45, exec_lo
	s_delay_alu instid0(VALU_DEP_2)
	v_cmpx_ne_u32_e32 0x7f, v80
	s_cbranch_execz .LBB242_144
; %bb.141:                              ;   in Loop: Header=BB242_10 Depth=1
	v_and_b32_e32 v35, 7, v79
	v_lshrrev_b32_e32 v77, 3, v80
	s_mov_b32 s46, exec_lo
	v_cmpx_gt_u32_e32 8, v80
; %bb.142:                              ;   in Loop: Header=BB242_10 Depth=1
	s_delay_alu instid0(VALU_DEP_3) | instskip(NEXT) | instid1(VALU_DEP_1)
	v_clz_i32_u32_e32 v77, v35
	v_min_u32_e32 v77, 32, v77
	s_delay_alu instid0(VALU_DEP_1) | instskip(SKIP_1) | instid1(VALU_DEP_2)
	v_subrev_nc_u32_e32 v78, 28, v77
	v_sub_nc_u32_e32 v77, 29, v77
	v_lshlrev_b64 v[80:81], v78, v[35:36]
	s_delay_alu instid0(VALU_DEP_1)
	v_and_b32_e32 v35, 7, v80
; %bb.143:                              ;   in Loop: Header=BB242_10 Depth=1
	s_or_b32 exec_lo, exec_lo, s46
	v_lshlrev_b32_e32 v78, 24, v79
	s_delay_alu instid0(VALU_DEP_2) | instskip(SKIP_1) | instid1(VALU_DEP_3)
	v_lshlrev_b32_e32 v35, 20, v35
	v_lshl_add_u32 v77, v77, 23, 0x3c000000
	v_and_b32_e32 v78, 0x80000000, v78
	s_delay_alu instid0(VALU_DEP_1) | instskip(NEXT) | instid1(VALU_DEP_1)
	v_or3_b32 v35, v35, v78, v77
	v_dual_mov_b32 v78, v36 :: v_dual_mov_b32 v77, v35
.LBB242_144:                            ;   in Loop: Header=BB242_10 Depth=1
	s_or_b32 exec_lo, exec_lo, s45
.LBB242_145:                            ;   in Loop: Header=BB242_10 Depth=1
	s_delay_alu instid0(SALU_CYCLE_1)
	s_or_b32 exec_lo, exec_lo, s8
.LBB242_146:                            ;   in Loop: Header=BB242_10 Depth=1
	s_delay_alu instid0(SALU_CYCLE_1) | instskip(SKIP_2) | instid1(VALU_DEP_1)
	s_or_b32 exec_lo, exec_lo, s4
	v_lshrrev_b16 v35, 8, v79
	s_mov_b32 s4, exec_lo
	v_cmpx_ne_u16_e32 0, v35
	s_cbranch_execz .LBB242_154
; %bb.147:                              ;   in Loop: Header=BB242_10 Depth=1
	v_dual_mov_b32 v76, s7 :: v_dual_mov_b32 v75, s6
	s_mov_b32 s45, exec_lo
	v_cmpx_ne_u16_e32 0x80, v35
	s_cbranch_execz .LBB242_153
; %bb.148:                              ;   in Loop: Header=BB242_10 Depth=1
	s_mov_b32 s8, s6
	v_dual_mov_b32 v76, s9 :: v_dual_and_b32 v35, 0xffff, v35
	v_mov_b32_e32 v75, s8
	s_mov_b32 s8, exec_lo
	s_delay_alu instid0(VALU_DEP_2) | instskip(NEXT) | instid1(VALU_DEP_1)
	v_and_b32_e32 v80, 0x7f, v35
	v_cmpx_ne_u32_e32 0x7f, v80
	s_cbranch_execz .LBB242_152
; %bb.149:                              ;   in Loop: Header=BB242_10 Depth=1
	v_and_b32_e32 v35, 7, v35
	v_lshrrev_b32_e32 v75, 3, v80
	s_mov_b32 s46, exec_lo
	v_cmpx_gt_u32_e32 8, v80
; %bb.150:                              ;   in Loop: Header=BB242_10 Depth=1
	s_delay_alu instid0(VALU_DEP_3) | instskip(NEXT) | instid1(VALU_DEP_1)
	v_clz_i32_u32_e32 v75, v35
	v_min_u32_e32 v75, 32, v75
	s_delay_alu instid0(VALU_DEP_1) | instskip(SKIP_1) | instid1(VALU_DEP_2)
	v_subrev_nc_u32_e32 v76, 28, v75
	v_sub_nc_u32_e32 v75, 29, v75
	v_lshlrev_b64 v[80:81], v76, v[35:36]
	s_delay_alu instid0(VALU_DEP_1)
	v_and_b32_e32 v35, 7, v80
; %bb.151:                              ;   in Loop: Header=BB242_10 Depth=1
	s_or_b32 exec_lo, exec_lo, s46
	v_lshlrev_b32_e32 v76, 16, v79
	s_delay_alu instid0(VALU_DEP_2) | instskip(SKIP_1) | instid1(VALU_DEP_3)
	v_lshlrev_b32_e32 v35, 20, v35
	v_lshl_add_u32 v75, v75, 23, 0x3c000000
	v_and_b32_e32 v76, 0x80000000, v76
	s_delay_alu instid0(VALU_DEP_1)
	v_or3_b32 v76, v35, v76, v75
	v_mov_b32_e32 v75, v36
.LBB242_152:                            ;   in Loop: Header=BB242_10 Depth=1
	s_or_b32 exec_lo, exec_lo, s8
.LBB242_153:                            ;   in Loop: Header=BB242_10 Depth=1
	s_delay_alu instid0(SALU_CYCLE_1)
	s_or_b32 exec_lo, exec_lo, s45
.LBB242_154:                            ;   in Loop: Header=BB242_10 Depth=1
	s_delay_alu instid0(SALU_CYCLE_1)
	s_or_b32 exec_lo, exec_lo, s4
	global_load_u16 v35, v[53:54], off offset:516
	v_mov_b32_e32 v79, 0
	s_waitcnt vmcnt(0)
	v_dual_mov_b32 v80, 0 :: v_dual_and_b32 v81, 0xff, v35
	v_and_b32_e32 v83, 0xffff, v35
	s_delay_alu instid0(VALU_DEP_2) | instskip(NEXT) | instid1(VALU_DEP_3)
	v_cmp_ne_u16_e64 s1, 0, v81
	v_dual_mov_b32 v82, v80 :: v_dual_mov_b32 v81, v79
	s_delay_alu instid0(VALU_DEP_2)
	s_and_saveexec_b32 s4, s1
	s_cbranch_execz .LBB242_162
; %bb.155:                              ;   in Loop: Header=BB242_10 Depth=1
	v_bfrev_b32_e32 v81, 1
	v_dual_mov_b32 v82, 0 :: v_dual_and_b32 v35, 0xff, v83
	s_mov_b32 s8, exec_lo
	s_delay_alu instid0(VALU_DEP_1)
	v_cmpx_ne_u16_e32 0x80, v35
	s_cbranch_execz .LBB242_161
; %bb.156:                              ;   in Loop: Header=BB242_10 Depth=1
	v_mov_b32_e32 v81, 0x7f800001
	v_and_b32_e32 v84, 0x7f, v83
	v_mov_b32_e32 v82, 0
	s_mov_b32 s45, exec_lo
	s_delay_alu instid0(VALU_DEP_2)
	v_cmpx_ne_u32_e32 0x7f, v84
	s_cbranch_execz .LBB242_160
; %bb.157:                              ;   in Loop: Header=BB242_10 Depth=1
	v_and_b32_e32 v35, 7, v83
	v_lshrrev_b32_e32 v81, 3, v84
	s_mov_b32 s46, exec_lo
	v_cmpx_gt_u32_e32 8, v84
; %bb.158:                              ;   in Loop: Header=BB242_10 Depth=1
	s_delay_alu instid0(VALU_DEP_3) | instskip(NEXT) | instid1(VALU_DEP_1)
	v_clz_i32_u32_e32 v81, v35
	v_min_u32_e32 v81, 32, v81
	s_delay_alu instid0(VALU_DEP_1) | instskip(SKIP_1) | instid1(VALU_DEP_2)
	v_subrev_nc_u32_e32 v82, 28, v81
	v_sub_nc_u32_e32 v81, 29, v81
	v_lshlrev_b64 v[84:85], v82, v[35:36]
	s_delay_alu instid0(VALU_DEP_1)
	v_and_b32_e32 v35, 7, v84
; %bb.159:                              ;   in Loop: Header=BB242_10 Depth=1
	s_or_b32 exec_lo, exec_lo, s46
	v_lshlrev_b32_e32 v82, 24, v83
	s_delay_alu instid0(VALU_DEP_2) | instskip(SKIP_1) | instid1(VALU_DEP_3)
	v_lshlrev_b32_e32 v35, 20, v35
	v_lshl_add_u32 v81, v81, 23, 0x3c000000
	v_and_b32_e32 v82, 0x80000000, v82
	s_delay_alu instid0(VALU_DEP_1) | instskip(NEXT) | instid1(VALU_DEP_1)
	v_or3_b32 v35, v35, v82, v81
	v_dual_mov_b32 v82, v36 :: v_dual_mov_b32 v81, v35
.LBB242_160:                            ;   in Loop: Header=BB242_10 Depth=1
	s_or_b32 exec_lo, exec_lo, s45
.LBB242_161:                            ;   in Loop: Header=BB242_10 Depth=1
	s_delay_alu instid0(SALU_CYCLE_1)
	s_or_b32 exec_lo, exec_lo, s8
.LBB242_162:                            ;   in Loop: Header=BB242_10 Depth=1
	s_delay_alu instid0(SALU_CYCLE_1) | instskip(SKIP_2) | instid1(VALU_DEP_1)
	s_or_b32 exec_lo, exec_lo, s4
	v_lshrrev_b16 v35, 8, v83
	s_mov_b32 s4, exec_lo
	v_cmpx_ne_u16_e32 0, v35
	s_cbranch_execz .LBB242_170
; %bb.163:                              ;   in Loop: Header=BB242_10 Depth=1
	v_dual_mov_b32 v80, s7 :: v_dual_mov_b32 v79, s6
	s_mov_b32 s45, exec_lo
	v_cmpx_ne_u16_e32 0x80, v35
	s_cbranch_execz .LBB242_169
; %bb.164:                              ;   in Loop: Header=BB242_10 Depth=1
	s_mov_b32 s8, s6
	v_dual_mov_b32 v80, s9 :: v_dual_and_b32 v35, 0xffff, v35
	v_mov_b32_e32 v79, s8
	s_mov_b32 s8, exec_lo
	s_delay_alu instid0(VALU_DEP_2) | instskip(NEXT) | instid1(VALU_DEP_1)
	v_and_b32_e32 v84, 0x7f, v35
	v_cmpx_ne_u32_e32 0x7f, v84
	s_cbranch_execz .LBB242_168
; %bb.165:                              ;   in Loop: Header=BB242_10 Depth=1
	v_and_b32_e32 v35, 7, v35
	v_lshrrev_b32_e32 v79, 3, v84
	s_mov_b32 s46, exec_lo
	v_cmpx_gt_u32_e32 8, v84
; %bb.166:                              ;   in Loop: Header=BB242_10 Depth=1
	s_delay_alu instid0(VALU_DEP_3) | instskip(NEXT) | instid1(VALU_DEP_1)
	v_clz_i32_u32_e32 v79, v35
	v_min_u32_e32 v79, 32, v79
	s_delay_alu instid0(VALU_DEP_1) | instskip(SKIP_1) | instid1(VALU_DEP_2)
	v_subrev_nc_u32_e32 v80, 28, v79
	v_sub_nc_u32_e32 v79, 29, v79
	v_lshlrev_b64 v[84:85], v80, v[35:36]
	s_delay_alu instid0(VALU_DEP_1)
	v_and_b32_e32 v35, 7, v84
; %bb.167:                              ;   in Loop: Header=BB242_10 Depth=1
	s_or_b32 exec_lo, exec_lo, s46
	v_lshlrev_b32_e32 v80, 16, v83
	s_delay_alu instid0(VALU_DEP_2) | instskip(SKIP_1) | instid1(VALU_DEP_3)
	v_lshlrev_b32_e32 v35, 20, v35
	v_lshl_add_u32 v79, v79, 23, 0x3c000000
	v_and_b32_e32 v80, 0x80000000, v80
	s_delay_alu instid0(VALU_DEP_1)
	v_or3_b32 v80, v35, v80, v79
	v_mov_b32_e32 v79, v36
.LBB242_168:                            ;   in Loop: Header=BB242_10 Depth=1
	s_or_b32 exec_lo, exec_lo, s8
.LBB242_169:                            ;   in Loop: Header=BB242_10 Depth=1
	s_delay_alu instid0(SALU_CYCLE_1)
	s_or_b32 exec_lo, exec_lo, s45
.LBB242_170:                            ;   in Loop: Header=BB242_10 Depth=1
	s_delay_alu instid0(SALU_CYCLE_1) | instskip(SKIP_1) | instid1(VALU_DEP_1)
	s_or_b32 exec_lo, exec_lo, s4
	v_add_co_u32 v87, s1, 0x200, v53
	v_add_co_ci_u32_e64 v88, s1, 0, v54, s1
	v_mov_b32_e32 v83, 0
	global_load_u16 v35, v[87:88], off offset:8
	s_waitcnt vmcnt(0)
	v_dual_mov_b32 v84, 0 :: v_dual_and_b32 v85, 0xff, v35
	v_and_b32_e32 v89, 0xffff, v35
	s_delay_alu instid0(VALU_DEP_2) | instskip(NEXT) | instid1(VALU_DEP_3)
	v_cmp_ne_u16_e64 s1, 0, v85
	v_dual_mov_b32 v86, v84 :: v_dual_mov_b32 v85, v83
	s_delay_alu instid0(VALU_DEP_2)
	s_and_saveexec_b32 s4, s1
	s_cbranch_execz .LBB242_178
; %bb.171:                              ;   in Loop: Header=BB242_10 Depth=1
	v_bfrev_b32_e32 v85, 1
	v_dual_mov_b32 v86, 0 :: v_dual_and_b32 v35, 0xff, v89
	s_mov_b32 s8, exec_lo
	s_delay_alu instid0(VALU_DEP_1)
	v_cmpx_ne_u16_e32 0x80, v35
	s_cbranch_execz .LBB242_177
; %bb.172:                              ;   in Loop: Header=BB242_10 Depth=1
	v_mov_b32_e32 v85, 0x7f800001
	v_and_b32_e32 v90, 0x7f, v89
	v_mov_b32_e32 v86, 0
	s_mov_b32 s45, exec_lo
	s_delay_alu instid0(VALU_DEP_2)
	v_cmpx_ne_u32_e32 0x7f, v90
	s_cbranch_execz .LBB242_176
; %bb.173:                              ;   in Loop: Header=BB242_10 Depth=1
	v_and_b32_e32 v35, 7, v89
	v_lshrrev_b32_e32 v85, 3, v90
	s_mov_b32 s46, exec_lo
	v_cmpx_gt_u32_e32 8, v90
; %bb.174:                              ;   in Loop: Header=BB242_10 Depth=1
	s_delay_alu instid0(VALU_DEP_3) | instskip(NEXT) | instid1(VALU_DEP_1)
	v_clz_i32_u32_e32 v85, v35
	v_min_u32_e32 v85, 32, v85
	s_delay_alu instid0(VALU_DEP_1) | instskip(SKIP_1) | instid1(VALU_DEP_2)
	v_subrev_nc_u32_e32 v86, 28, v85
	v_sub_nc_u32_e32 v85, 29, v85
	v_lshlrev_b64 v[90:91], v86, v[35:36]
	s_delay_alu instid0(VALU_DEP_1)
	v_and_b32_e32 v35, 7, v90
; %bb.175:                              ;   in Loop: Header=BB242_10 Depth=1
	s_or_b32 exec_lo, exec_lo, s46
	v_lshlrev_b32_e32 v86, 24, v89
	s_delay_alu instid0(VALU_DEP_2) | instskip(SKIP_1) | instid1(VALU_DEP_3)
	v_lshlrev_b32_e32 v35, 20, v35
	v_lshl_add_u32 v85, v85, 23, 0x3c000000
	v_and_b32_e32 v86, 0x80000000, v86
	s_delay_alu instid0(VALU_DEP_1) | instskip(NEXT) | instid1(VALU_DEP_1)
	v_or3_b32 v35, v35, v86, v85
	v_dual_mov_b32 v86, v36 :: v_dual_mov_b32 v85, v35
.LBB242_176:                            ;   in Loop: Header=BB242_10 Depth=1
	s_or_b32 exec_lo, exec_lo, s45
.LBB242_177:                            ;   in Loop: Header=BB242_10 Depth=1
	s_delay_alu instid0(SALU_CYCLE_1)
	s_or_b32 exec_lo, exec_lo, s8
.LBB242_178:                            ;   in Loop: Header=BB242_10 Depth=1
	s_delay_alu instid0(SALU_CYCLE_1) | instskip(SKIP_2) | instid1(VALU_DEP_1)
	s_or_b32 exec_lo, exec_lo, s4
	v_lshrrev_b16 v35, 8, v89
	s_mov_b32 s4, exec_lo
	v_cmpx_ne_u16_e32 0, v35
	s_cbranch_execz .LBB242_186
; %bb.179:                              ;   in Loop: Header=BB242_10 Depth=1
	v_dual_mov_b32 v84, s7 :: v_dual_mov_b32 v83, s6
	s_mov_b32 s45, exec_lo
	v_cmpx_ne_u16_e32 0x80, v35
	s_cbranch_execz .LBB242_185
; %bb.180:                              ;   in Loop: Header=BB242_10 Depth=1
	s_mov_b32 s8, s6
	v_dual_mov_b32 v84, s9 :: v_dual_and_b32 v35, 0xffff, v35
	v_mov_b32_e32 v83, s8
	s_mov_b32 s8, exec_lo
	s_delay_alu instid0(VALU_DEP_2) | instskip(NEXT) | instid1(VALU_DEP_1)
	v_and_b32_e32 v90, 0x7f, v35
	v_cmpx_ne_u32_e32 0x7f, v90
	s_cbranch_execz .LBB242_184
; %bb.181:                              ;   in Loop: Header=BB242_10 Depth=1
	v_and_b32_e32 v35, 7, v35
	v_lshrrev_b32_e32 v83, 3, v90
	s_mov_b32 s46, exec_lo
	v_cmpx_gt_u32_e32 8, v90
; %bb.182:                              ;   in Loop: Header=BB242_10 Depth=1
	s_delay_alu instid0(VALU_DEP_3) | instskip(NEXT) | instid1(VALU_DEP_1)
	v_clz_i32_u32_e32 v83, v35
	v_min_u32_e32 v83, 32, v83
	s_delay_alu instid0(VALU_DEP_1) | instskip(SKIP_1) | instid1(VALU_DEP_2)
	v_subrev_nc_u32_e32 v84, 28, v83
	v_sub_nc_u32_e32 v83, 29, v83
	v_lshlrev_b64 v[90:91], v84, v[35:36]
	s_delay_alu instid0(VALU_DEP_1)
	v_and_b32_e32 v35, 7, v90
; %bb.183:                              ;   in Loop: Header=BB242_10 Depth=1
	s_or_b32 exec_lo, exec_lo, s46
	v_lshlrev_b32_e32 v84, 16, v89
	s_delay_alu instid0(VALU_DEP_2) | instskip(SKIP_1) | instid1(VALU_DEP_3)
	v_lshlrev_b32_e32 v35, 20, v35
	v_lshl_add_u32 v83, v83, 23, 0x3c000000
	v_and_b32_e32 v84, 0x80000000, v84
	s_delay_alu instid0(VALU_DEP_1)
	v_or3_b32 v84, v35, v84, v83
	v_mov_b32_e32 v83, v36
.LBB242_184:                            ;   in Loop: Header=BB242_10 Depth=1
	s_or_b32 exec_lo, exec_lo, s8
.LBB242_185:                            ;   in Loop: Header=BB242_10 Depth=1
	s_delay_alu instid0(SALU_CYCLE_1)
	s_or_b32 exec_lo, exec_lo, s45
.LBB242_186:                            ;   in Loop: Header=BB242_10 Depth=1
	s_delay_alu instid0(SALU_CYCLE_1)
	s_or_b32 exec_lo, exec_lo, s4
	global_load_u16 v35, v[87:88], off offset:12
	v_mov_b32_e32 v87, 0
	s_waitcnt vmcnt(0)
	v_dual_mov_b32 v88, 0 :: v_dual_and_b32 v89, 0xff, v35
	v_and_b32_e32 v91, 0xffff, v35
	s_delay_alu instid0(VALU_DEP_2) | instskip(NEXT) | instid1(VALU_DEP_3)
	v_cmp_ne_u16_e64 s1, 0, v89
	v_dual_mov_b32 v90, v88 :: v_dual_mov_b32 v89, v87
	s_delay_alu instid0(VALU_DEP_2)
	s_and_saveexec_b32 s4, s1
	s_cbranch_execz .LBB242_194
; %bb.187:                              ;   in Loop: Header=BB242_10 Depth=1
	v_bfrev_b32_e32 v89, 1
	v_dual_mov_b32 v90, 0 :: v_dual_and_b32 v35, 0xff, v91
	s_mov_b32 s8, exec_lo
	s_delay_alu instid0(VALU_DEP_1)
	v_cmpx_ne_u16_e32 0x80, v35
	s_cbranch_execz .LBB242_193
; %bb.188:                              ;   in Loop: Header=BB242_10 Depth=1
	v_mov_b32_e32 v89, 0x7f800001
	v_and_b32_e32 v92, 0x7f, v91
	v_mov_b32_e32 v90, 0
	s_mov_b32 s45, exec_lo
	s_delay_alu instid0(VALU_DEP_2)
	v_cmpx_ne_u32_e32 0x7f, v92
	s_cbranch_execz .LBB242_192
; %bb.189:                              ;   in Loop: Header=BB242_10 Depth=1
	v_and_b32_e32 v35, 7, v91
	v_lshrrev_b32_e32 v89, 3, v92
	s_mov_b32 s46, exec_lo
	v_cmpx_gt_u32_e32 8, v92
; %bb.190:                              ;   in Loop: Header=BB242_10 Depth=1
	s_delay_alu instid0(VALU_DEP_3) | instskip(NEXT) | instid1(VALU_DEP_1)
	v_clz_i32_u32_e32 v89, v35
	v_min_u32_e32 v89, 32, v89
	s_delay_alu instid0(VALU_DEP_1) | instskip(SKIP_1) | instid1(VALU_DEP_2)
	v_subrev_nc_u32_e32 v90, 28, v89
	v_sub_nc_u32_e32 v89, 29, v89
	v_lshlrev_b64 v[92:93], v90, v[35:36]
	s_delay_alu instid0(VALU_DEP_1)
	v_and_b32_e32 v35, 7, v92
; %bb.191:                              ;   in Loop: Header=BB242_10 Depth=1
	s_or_b32 exec_lo, exec_lo, s46
	v_lshlrev_b32_e32 v90, 24, v91
	s_delay_alu instid0(VALU_DEP_2) | instskip(SKIP_1) | instid1(VALU_DEP_3)
	v_lshlrev_b32_e32 v35, 20, v35
	v_lshl_add_u32 v89, v89, 23, 0x3c000000
	v_and_b32_e32 v90, 0x80000000, v90
	s_delay_alu instid0(VALU_DEP_1) | instskip(NEXT) | instid1(VALU_DEP_1)
	v_or3_b32 v35, v35, v90, v89
	v_dual_mov_b32 v90, v36 :: v_dual_mov_b32 v89, v35
.LBB242_192:                            ;   in Loop: Header=BB242_10 Depth=1
	s_or_b32 exec_lo, exec_lo, s45
.LBB242_193:                            ;   in Loop: Header=BB242_10 Depth=1
	s_delay_alu instid0(SALU_CYCLE_1)
	s_or_b32 exec_lo, exec_lo, s8
.LBB242_194:                            ;   in Loop: Header=BB242_10 Depth=1
	s_delay_alu instid0(SALU_CYCLE_1) | instskip(SKIP_2) | instid1(VALU_DEP_1)
	s_or_b32 exec_lo, exec_lo, s4
	v_lshrrev_b16 v35, 8, v91
	s_mov_b32 s4, exec_lo
	v_cmpx_ne_u16_e32 0, v35
	s_cbranch_execz .LBB242_202
; %bb.195:                              ;   in Loop: Header=BB242_10 Depth=1
	v_dual_mov_b32 v88, s7 :: v_dual_mov_b32 v87, s6
	s_mov_b32 s45, exec_lo
	v_cmpx_ne_u16_e32 0x80, v35
	s_cbranch_execz .LBB242_201
; %bb.196:                              ;   in Loop: Header=BB242_10 Depth=1
	s_mov_b32 s8, s6
	v_dual_mov_b32 v88, s9 :: v_dual_and_b32 v35, 0xffff, v35
	v_mov_b32_e32 v87, s8
	s_mov_b32 s8, exec_lo
	s_delay_alu instid0(VALU_DEP_2) | instskip(NEXT) | instid1(VALU_DEP_1)
	v_and_b32_e32 v92, 0x7f, v35
	v_cmpx_ne_u32_e32 0x7f, v92
	s_cbranch_execz .LBB242_200
; %bb.197:                              ;   in Loop: Header=BB242_10 Depth=1
	v_and_b32_e32 v35, 7, v35
	v_lshrrev_b32_e32 v87, 3, v92
	s_mov_b32 s46, exec_lo
	v_cmpx_gt_u32_e32 8, v92
; %bb.198:                              ;   in Loop: Header=BB242_10 Depth=1
	s_delay_alu instid0(VALU_DEP_3) | instskip(NEXT) | instid1(VALU_DEP_1)
	v_clz_i32_u32_e32 v87, v35
	v_min_u32_e32 v87, 32, v87
	s_delay_alu instid0(VALU_DEP_1) | instskip(SKIP_1) | instid1(VALU_DEP_2)
	v_subrev_nc_u32_e32 v88, 28, v87
	v_sub_nc_u32_e32 v87, 29, v87
	v_lshlrev_b64 v[92:93], v88, v[35:36]
	s_delay_alu instid0(VALU_DEP_1)
	v_and_b32_e32 v35, 7, v92
; %bb.199:                              ;   in Loop: Header=BB242_10 Depth=1
	s_or_b32 exec_lo, exec_lo, s46
	v_lshlrev_b32_e32 v88, 16, v91
	s_delay_alu instid0(VALU_DEP_2) | instskip(SKIP_1) | instid1(VALU_DEP_3)
	v_lshlrev_b32_e32 v35, 20, v35
	v_lshl_add_u32 v87, v87, 23, 0x3c000000
	v_and_b32_e32 v88, 0x80000000, v88
	s_delay_alu instid0(VALU_DEP_1)
	v_or3_b32 v88, v35, v88, v87
	v_mov_b32_e32 v87, v36
.LBB242_200:                            ;   in Loop: Header=BB242_10 Depth=1
	s_or_b32 exec_lo, exec_lo, s8
.LBB242_201:                            ;   in Loop: Header=BB242_10 Depth=1
	s_delay_alu instid0(SALU_CYCLE_1)
	s_or_b32 exec_lo, exec_lo, s45
.LBB242_202:                            ;   in Loop: Header=BB242_10 Depth=1
	s_delay_alu instid0(SALU_CYCLE_1)
	s_or_b32 exec_lo, exec_lo, s4
	global_load_u16 v35, v[53:54], off offset:768
	v_mov_b32_e32 v91, 0
	s_waitcnt vmcnt(0)
	v_dual_mov_b32 v92, 0 :: v_dual_and_b32 v93, 0xff, v35
	v_and_b32_e32 v95, 0xffff, v35
	s_delay_alu instid0(VALU_DEP_2) | instskip(NEXT) | instid1(VALU_DEP_3)
	v_cmp_ne_u16_e64 s1, 0, v93
	v_dual_mov_b32 v94, v92 :: v_dual_mov_b32 v93, v91
	s_delay_alu instid0(VALU_DEP_2)
	s_and_saveexec_b32 s4, s1
	s_cbranch_execz .LBB242_210
; %bb.203:                              ;   in Loop: Header=BB242_10 Depth=1
	v_bfrev_b32_e32 v93, 1
	v_dual_mov_b32 v94, 0 :: v_dual_and_b32 v35, 0xff, v95
	s_mov_b32 s8, exec_lo
	s_delay_alu instid0(VALU_DEP_1)
	v_cmpx_ne_u16_e32 0x80, v35
	s_cbranch_execz .LBB242_209
; %bb.204:                              ;   in Loop: Header=BB242_10 Depth=1
	v_mov_b32_e32 v93, 0x7f800001
	v_and_b32_e32 v96, 0x7f, v95
	v_mov_b32_e32 v94, 0
	s_mov_b32 s45, exec_lo
	s_delay_alu instid0(VALU_DEP_2)
	v_cmpx_ne_u32_e32 0x7f, v96
	s_cbranch_execz .LBB242_208
; %bb.205:                              ;   in Loop: Header=BB242_10 Depth=1
	v_and_b32_e32 v35, 7, v95
	v_lshrrev_b32_e32 v93, 3, v96
	s_mov_b32 s46, exec_lo
	v_cmpx_gt_u32_e32 8, v96
; %bb.206:                              ;   in Loop: Header=BB242_10 Depth=1
	s_delay_alu instid0(VALU_DEP_3) | instskip(NEXT) | instid1(VALU_DEP_1)
	v_clz_i32_u32_e32 v93, v35
	v_min_u32_e32 v93, 32, v93
	s_delay_alu instid0(VALU_DEP_1) | instskip(SKIP_1) | instid1(VALU_DEP_2)
	v_subrev_nc_u32_e32 v94, 28, v93
	v_sub_nc_u32_e32 v93, 29, v93
	v_lshlrev_b64 v[96:97], v94, v[35:36]
	s_delay_alu instid0(VALU_DEP_1)
	v_and_b32_e32 v35, 7, v96
; %bb.207:                              ;   in Loop: Header=BB242_10 Depth=1
	s_or_b32 exec_lo, exec_lo, s46
	v_lshlrev_b32_e32 v94, 24, v95
	s_delay_alu instid0(VALU_DEP_2) | instskip(SKIP_1) | instid1(VALU_DEP_3)
	v_lshlrev_b32_e32 v35, 20, v35
	v_lshl_add_u32 v93, v93, 23, 0x3c000000
	v_and_b32_e32 v94, 0x80000000, v94
	s_delay_alu instid0(VALU_DEP_1) | instskip(NEXT) | instid1(VALU_DEP_1)
	v_or3_b32 v35, v35, v94, v93
	v_dual_mov_b32 v94, v36 :: v_dual_mov_b32 v93, v35
.LBB242_208:                            ;   in Loop: Header=BB242_10 Depth=1
	s_or_b32 exec_lo, exec_lo, s45
.LBB242_209:                            ;   in Loop: Header=BB242_10 Depth=1
	s_delay_alu instid0(SALU_CYCLE_1)
	s_or_b32 exec_lo, exec_lo, s8
.LBB242_210:                            ;   in Loop: Header=BB242_10 Depth=1
	s_delay_alu instid0(SALU_CYCLE_1) | instskip(SKIP_2) | instid1(VALU_DEP_1)
	s_or_b32 exec_lo, exec_lo, s4
	v_lshrrev_b16 v35, 8, v95
	s_mov_b32 s4, exec_lo
	v_cmpx_ne_u16_e32 0, v35
	s_cbranch_execz .LBB242_218
; %bb.211:                              ;   in Loop: Header=BB242_10 Depth=1
	v_dual_mov_b32 v92, s7 :: v_dual_mov_b32 v91, s6
	s_mov_b32 s45, exec_lo
	v_cmpx_ne_u16_e32 0x80, v35
	s_cbranch_execz .LBB242_217
; %bb.212:                              ;   in Loop: Header=BB242_10 Depth=1
	s_mov_b32 s8, s6
	v_dual_mov_b32 v92, s9 :: v_dual_and_b32 v35, 0xffff, v35
	v_mov_b32_e32 v91, s8
	s_mov_b32 s8, exec_lo
	s_delay_alu instid0(VALU_DEP_2) | instskip(NEXT) | instid1(VALU_DEP_1)
	v_and_b32_e32 v96, 0x7f, v35
	v_cmpx_ne_u32_e32 0x7f, v96
	s_cbranch_execz .LBB242_216
; %bb.213:                              ;   in Loop: Header=BB242_10 Depth=1
	v_and_b32_e32 v35, 7, v35
	v_lshrrev_b32_e32 v91, 3, v96
	s_mov_b32 s46, exec_lo
	v_cmpx_gt_u32_e32 8, v96
; %bb.214:                              ;   in Loop: Header=BB242_10 Depth=1
	s_delay_alu instid0(VALU_DEP_3) | instskip(NEXT) | instid1(VALU_DEP_1)
	v_clz_i32_u32_e32 v91, v35
	v_min_u32_e32 v91, 32, v91
	s_delay_alu instid0(VALU_DEP_1) | instskip(SKIP_1) | instid1(VALU_DEP_2)
	v_subrev_nc_u32_e32 v92, 28, v91
	v_sub_nc_u32_e32 v91, 29, v91
	v_lshlrev_b64 v[96:97], v92, v[35:36]
	s_delay_alu instid0(VALU_DEP_1)
	v_and_b32_e32 v35, 7, v96
; %bb.215:                              ;   in Loop: Header=BB242_10 Depth=1
	s_or_b32 exec_lo, exec_lo, s46
	v_lshlrev_b32_e32 v92, 16, v95
	s_delay_alu instid0(VALU_DEP_2) | instskip(SKIP_1) | instid1(VALU_DEP_3)
	v_lshlrev_b32_e32 v35, 20, v35
	v_lshl_add_u32 v91, v91, 23, 0x3c000000
	v_and_b32_e32 v92, 0x80000000, v92
	s_delay_alu instid0(VALU_DEP_1)
	v_or3_b32 v92, v35, v92, v91
	v_mov_b32_e32 v91, v36
.LBB242_216:                            ;   in Loop: Header=BB242_10 Depth=1
	s_or_b32 exec_lo, exec_lo, s8
.LBB242_217:                            ;   in Loop: Header=BB242_10 Depth=1
	s_delay_alu instid0(SALU_CYCLE_1)
	s_or_b32 exec_lo, exec_lo, s45
.LBB242_218:                            ;   in Loop: Header=BB242_10 Depth=1
	s_delay_alu instid0(SALU_CYCLE_1)
	s_or_b32 exec_lo, exec_lo, s4
	global_load_u16 v35, v[53:54], off offset:772
	v_mov_b32_e32 v95, 0
	s_waitcnt vmcnt(0)
	v_dual_mov_b32 v96, 0 :: v_dual_and_b32 v97, 0xff, v35
	v_and_b32_e32 v99, 0xffff, v35
	s_delay_alu instid0(VALU_DEP_2) | instskip(NEXT) | instid1(VALU_DEP_3)
	v_cmp_ne_u16_e64 s1, 0, v97
	v_dual_mov_b32 v98, v96 :: v_dual_mov_b32 v97, v95
	s_delay_alu instid0(VALU_DEP_2)
	s_and_saveexec_b32 s4, s1
	s_cbranch_execz .LBB242_226
; %bb.219:                              ;   in Loop: Header=BB242_10 Depth=1
	v_bfrev_b32_e32 v97, 1
	v_dual_mov_b32 v98, 0 :: v_dual_and_b32 v35, 0xff, v99
	s_mov_b32 s8, exec_lo
	s_delay_alu instid0(VALU_DEP_1)
	v_cmpx_ne_u16_e32 0x80, v35
	s_cbranch_execz .LBB242_225
; %bb.220:                              ;   in Loop: Header=BB242_10 Depth=1
	v_mov_b32_e32 v97, 0x7f800001
	v_and_b32_e32 v100, 0x7f, v99
	v_mov_b32_e32 v98, 0
	s_mov_b32 s45, exec_lo
	s_delay_alu instid0(VALU_DEP_2)
	v_cmpx_ne_u32_e32 0x7f, v100
	s_cbranch_execz .LBB242_224
; %bb.221:                              ;   in Loop: Header=BB242_10 Depth=1
	v_and_b32_e32 v35, 7, v99
	v_lshrrev_b32_e32 v97, 3, v100
	s_mov_b32 s46, exec_lo
	v_cmpx_gt_u32_e32 8, v100
; %bb.222:                              ;   in Loop: Header=BB242_10 Depth=1
	s_delay_alu instid0(VALU_DEP_3) | instskip(NEXT) | instid1(VALU_DEP_1)
	v_clz_i32_u32_e32 v97, v35
	v_min_u32_e32 v97, 32, v97
	s_delay_alu instid0(VALU_DEP_1) | instskip(SKIP_1) | instid1(VALU_DEP_2)
	v_subrev_nc_u32_e32 v98, 28, v97
	v_sub_nc_u32_e32 v97, 29, v97
	v_lshlrev_b64 v[100:101], v98, v[35:36]
	s_delay_alu instid0(VALU_DEP_1)
	v_and_b32_e32 v35, 7, v100
; %bb.223:                              ;   in Loop: Header=BB242_10 Depth=1
	s_or_b32 exec_lo, exec_lo, s46
	v_lshlrev_b32_e32 v98, 24, v99
	s_delay_alu instid0(VALU_DEP_2) | instskip(SKIP_1) | instid1(VALU_DEP_3)
	v_lshlrev_b32_e32 v35, 20, v35
	v_lshl_add_u32 v97, v97, 23, 0x3c000000
	v_and_b32_e32 v98, 0x80000000, v98
	s_delay_alu instid0(VALU_DEP_1) | instskip(NEXT) | instid1(VALU_DEP_1)
	v_or3_b32 v35, v35, v98, v97
	v_dual_mov_b32 v98, v36 :: v_dual_mov_b32 v97, v35
.LBB242_224:                            ;   in Loop: Header=BB242_10 Depth=1
	s_or_b32 exec_lo, exec_lo, s45
.LBB242_225:                            ;   in Loop: Header=BB242_10 Depth=1
	s_delay_alu instid0(SALU_CYCLE_1)
	s_or_b32 exec_lo, exec_lo, s8
.LBB242_226:                            ;   in Loop: Header=BB242_10 Depth=1
	s_delay_alu instid0(SALU_CYCLE_1) | instskip(SKIP_2) | instid1(VALU_DEP_1)
	s_or_b32 exec_lo, exec_lo, s4
	v_lshrrev_b16 v35, 8, v99
	s_mov_b32 s4, exec_lo
	v_cmpx_ne_u16_e32 0, v35
	s_cbranch_execz .LBB242_234
; %bb.227:                              ;   in Loop: Header=BB242_10 Depth=1
	v_dual_mov_b32 v96, s7 :: v_dual_mov_b32 v95, s6
	s_mov_b32 s45, exec_lo
	v_cmpx_ne_u16_e32 0x80, v35
	s_cbranch_execz .LBB242_233
; %bb.228:                              ;   in Loop: Header=BB242_10 Depth=1
	s_mov_b32 s8, s6
	v_dual_mov_b32 v96, s9 :: v_dual_and_b32 v35, 0xffff, v35
	v_mov_b32_e32 v95, s8
	s_mov_b32 s8, exec_lo
	s_delay_alu instid0(VALU_DEP_2) | instskip(NEXT) | instid1(VALU_DEP_1)
	v_and_b32_e32 v100, 0x7f, v35
	v_cmpx_ne_u32_e32 0x7f, v100
	s_cbranch_execz .LBB242_232
; %bb.229:                              ;   in Loop: Header=BB242_10 Depth=1
	v_and_b32_e32 v35, 7, v35
	v_lshrrev_b32_e32 v95, 3, v100
	s_mov_b32 s46, exec_lo
	v_cmpx_gt_u32_e32 8, v100
; %bb.230:                              ;   in Loop: Header=BB242_10 Depth=1
	s_delay_alu instid0(VALU_DEP_3) | instskip(NEXT) | instid1(VALU_DEP_1)
	v_clz_i32_u32_e32 v95, v35
	v_min_u32_e32 v95, 32, v95
	s_delay_alu instid0(VALU_DEP_1) | instskip(SKIP_1) | instid1(VALU_DEP_2)
	v_subrev_nc_u32_e32 v96, 28, v95
	v_sub_nc_u32_e32 v95, 29, v95
	v_lshlrev_b64 v[100:101], v96, v[35:36]
	s_delay_alu instid0(VALU_DEP_1)
	v_and_b32_e32 v35, 7, v100
; %bb.231:                              ;   in Loop: Header=BB242_10 Depth=1
	s_or_b32 exec_lo, exec_lo, s46
	v_lshlrev_b32_e32 v96, 16, v99
	s_delay_alu instid0(VALU_DEP_2) | instskip(SKIP_1) | instid1(VALU_DEP_3)
	v_lshlrev_b32_e32 v35, 20, v35
	v_lshl_add_u32 v95, v95, 23, 0x3c000000
	v_and_b32_e32 v96, 0x80000000, v96
	s_delay_alu instid0(VALU_DEP_1)
	v_or3_b32 v96, v35, v96, v95
	v_mov_b32_e32 v95, v36
.LBB242_232:                            ;   in Loop: Header=BB242_10 Depth=1
	s_or_b32 exec_lo, exec_lo, s8
.LBB242_233:                            ;   in Loop: Header=BB242_10 Depth=1
	s_delay_alu instid0(SALU_CYCLE_1)
	s_or_b32 exec_lo, exec_lo, s45
.LBB242_234:                            ;   in Loop: Header=BB242_10 Depth=1
	s_delay_alu instid0(SALU_CYCLE_1) | instskip(SKIP_1) | instid1(VALU_DEP_1)
	s_or_b32 exec_lo, exec_lo, s4
	v_add_co_u32 v101, s1, 0x300, v53
	v_add_co_ci_u32_e64 v102, s1, 0, v54, s1
	v_mov_b32_e32 v53, 0
	global_load_u16 v35, v[101:102], off offset:8
	s_waitcnt vmcnt(0)
	v_dual_mov_b32 v54, 0 :: v_dual_and_b32 v99, 0xff, v35
	v_and_b32_e32 v103, 0xffff, v35
	s_delay_alu instid0(VALU_DEP_2) | instskip(NEXT) | instid1(VALU_DEP_3)
	v_cmp_ne_u16_e64 s1, 0, v99
	v_dual_mov_b32 v100, v54 :: v_dual_mov_b32 v99, v53
	s_delay_alu instid0(VALU_DEP_2)
	s_and_saveexec_b32 s4, s1
	s_cbranch_execz .LBB242_242
; %bb.235:                              ;   in Loop: Header=BB242_10 Depth=1
	v_bfrev_b32_e32 v99, 1
	v_dual_mov_b32 v100, 0 :: v_dual_and_b32 v35, 0xff, v103
	s_mov_b32 s8, exec_lo
	s_delay_alu instid0(VALU_DEP_1)
	v_cmpx_ne_u16_e32 0x80, v35
	s_cbranch_execz .LBB242_241
; %bb.236:                              ;   in Loop: Header=BB242_10 Depth=1
	v_mov_b32_e32 v99, 0x7f800001
	v_and_b32_e32 v104, 0x7f, v103
	v_mov_b32_e32 v100, 0
	s_mov_b32 s45, exec_lo
	s_delay_alu instid0(VALU_DEP_2)
	v_cmpx_ne_u32_e32 0x7f, v104
	s_cbranch_execz .LBB242_240
; %bb.237:                              ;   in Loop: Header=BB242_10 Depth=1
	v_and_b32_e32 v35, 7, v103
	v_lshrrev_b32_e32 v99, 3, v104
	s_mov_b32 s46, exec_lo
	v_cmpx_gt_u32_e32 8, v104
; %bb.238:                              ;   in Loop: Header=BB242_10 Depth=1
	s_delay_alu instid0(VALU_DEP_3) | instskip(NEXT) | instid1(VALU_DEP_1)
	v_clz_i32_u32_e32 v99, v35
	v_min_u32_e32 v99, 32, v99
	s_delay_alu instid0(VALU_DEP_1) | instskip(SKIP_1) | instid1(VALU_DEP_2)
	v_subrev_nc_u32_e32 v100, 28, v99
	v_sub_nc_u32_e32 v99, 29, v99
	v_lshlrev_b64 v[115:116], v100, v[35:36]
	s_delay_alu instid0(VALU_DEP_1)
	v_and_b32_e32 v35, 7, v115
; %bb.239:                              ;   in Loop: Header=BB242_10 Depth=1
	s_or_b32 exec_lo, exec_lo, s46
	v_lshlrev_b32_e32 v100, 24, v103
	s_delay_alu instid0(VALU_DEP_2) | instskip(SKIP_1) | instid1(VALU_DEP_3)
	v_lshlrev_b32_e32 v35, 20, v35
	v_lshl_add_u32 v99, v99, 23, 0x3c000000
	v_and_b32_e32 v100, 0x80000000, v100
	s_delay_alu instid0(VALU_DEP_1) | instskip(NEXT) | instid1(VALU_DEP_1)
	v_or3_b32 v35, v35, v100, v99
	v_dual_mov_b32 v100, v36 :: v_dual_mov_b32 v99, v35
.LBB242_240:                            ;   in Loop: Header=BB242_10 Depth=1
	s_or_b32 exec_lo, exec_lo, s45
.LBB242_241:                            ;   in Loop: Header=BB242_10 Depth=1
	s_delay_alu instid0(SALU_CYCLE_1)
	s_or_b32 exec_lo, exec_lo, s8
.LBB242_242:                            ;   in Loop: Header=BB242_10 Depth=1
	s_delay_alu instid0(SALU_CYCLE_1) | instskip(SKIP_2) | instid1(VALU_DEP_1)
	s_or_b32 exec_lo, exec_lo, s4
	v_lshrrev_b16 v35, 8, v103
	s_mov_b32 s4, exec_lo
	v_cmpx_ne_u16_e32 0, v35
	s_cbranch_execz .LBB242_250
; %bb.243:                              ;   in Loop: Header=BB242_10 Depth=1
	v_dual_mov_b32 v54, s7 :: v_dual_mov_b32 v53, s6
	s_mov_b32 s45, exec_lo
	v_cmpx_ne_u16_e32 0x80, v35
	s_cbranch_execz .LBB242_249
; %bb.244:                              ;   in Loop: Header=BB242_10 Depth=1
	s_mov_b32 s8, s6
	v_dual_mov_b32 v54, s9 :: v_dual_and_b32 v35, 0xffff, v35
	v_mov_b32_e32 v53, s8
	s_mov_b32 s8, exec_lo
	s_delay_alu instid0(VALU_DEP_2) | instskip(NEXT) | instid1(VALU_DEP_1)
	v_and_b32_e32 v104, 0x7f, v35
	v_cmpx_ne_u32_e32 0x7f, v104
	s_cbranch_execz .LBB242_248
; %bb.245:                              ;   in Loop: Header=BB242_10 Depth=1
	v_and_b32_e32 v35, 7, v35
	v_lshrrev_b32_e32 v53, 3, v104
	s_mov_b32 s46, exec_lo
	v_cmpx_gt_u32_e32 8, v104
; %bb.246:                              ;   in Loop: Header=BB242_10 Depth=1
	s_delay_alu instid0(VALU_DEP_3) | instskip(NEXT) | instid1(VALU_DEP_1)
	v_clz_i32_u32_e32 v53, v35
	v_min_u32_e32 v53, 32, v53
	s_delay_alu instid0(VALU_DEP_1) | instskip(SKIP_1) | instid1(VALU_DEP_2)
	v_subrev_nc_u32_e32 v54, 28, v53
	v_sub_nc_u32_e32 v53, 29, v53
	v_lshlrev_b64 v[115:116], v54, v[35:36]
	s_delay_alu instid0(VALU_DEP_1)
	v_and_b32_e32 v35, 7, v115
; %bb.247:                              ;   in Loop: Header=BB242_10 Depth=1
	s_or_b32 exec_lo, exec_lo, s46
	v_lshlrev_b32_e32 v54, 16, v103
	s_delay_alu instid0(VALU_DEP_2) | instskip(SKIP_1) | instid1(VALU_DEP_3)
	v_lshlrev_b32_e32 v35, 20, v35
	v_lshl_add_u32 v53, v53, 23, 0x3c000000
	v_and_b32_e32 v54, 0x80000000, v54
	s_delay_alu instid0(VALU_DEP_1)
	v_or3_b32 v54, v35, v54, v53
	v_mov_b32_e32 v53, v36
.LBB242_248:                            ;   in Loop: Header=BB242_10 Depth=1
	s_or_b32 exec_lo, exec_lo, s8
.LBB242_249:                            ;   in Loop: Header=BB242_10 Depth=1
	s_delay_alu instid0(SALU_CYCLE_1)
	s_or_b32 exec_lo, exec_lo, s45
.LBB242_250:                            ;   in Loop: Header=BB242_10 Depth=1
	s_delay_alu instid0(SALU_CYCLE_1)
	s_or_b32 exec_lo, exec_lo, s4
	global_load_u16 v35, v[101:102], off offset:12
	v_mov_b32_e32 v101, 0
	s_waitcnt vmcnt(0)
	v_dual_mov_b32 v102, 0 :: v_dual_and_b32 v103, 0xff, v35
	v_and_b32_e32 v115, 0xffff, v35
	s_delay_alu instid0(VALU_DEP_2) | instskip(NEXT) | instid1(VALU_DEP_3)
	v_cmp_ne_u16_e64 s1, 0, v103
	v_dual_mov_b32 v104, v102 :: v_dual_mov_b32 v103, v101
	s_delay_alu instid0(VALU_DEP_2)
	s_and_saveexec_b32 s4, s1
	s_cbranch_execz .LBB242_258
; %bb.251:                              ;   in Loop: Header=BB242_10 Depth=1
	v_bfrev_b32_e32 v103, 1
	v_dual_mov_b32 v104, 0 :: v_dual_and_b32 v35, 0xff, v115
	s_mov_b32 s8, exec_lo
	s_delay_alu instid0(VALU_DEP_1)
	v_cmpx_ne_u16_e32 0x80, v35
	s_cbranch_execz .LBB242_257
; %bb.252:                              ;   in Loop: Header=BB242_10 Depth=1
	v_mov_b32_e32 v103, 0x7f800001
	v_and_b32_e32 v116, 0x7f, v115
	v_mov_b32_e32 v104, 0
	s_mov_b32 s45, exec_lo
	s_delay_alu instid0(VALU_DEP_2)
	v_cmpx_ne_u32_e32 0x7f, v116
	s_cbranch_execz .LBB242_256
; %bb.253:                              ;   in Loop: Header=BB242_10 Depth=1
	v_and_b32_e32 v35, 7, v115
	v_lshrrev_b32_e32 v103, 3, v116
	s_mov_b32 s46, exec_lo
	v_cmpx_gt_u32_e32 8, v116
; %bb.254:                              ;   in Loop: Header=BB242_10 Depth=1
	s_delay_alu instid0(VALU_DEP_3) | instskip(NEXT) | instid1(VALU_DEP_1)
	v_clz_i32_u32_e32 v103, v35
	v_min_u32_e32 v103, 32, v103
	s_delay_alu instid0(VALU_DEP_1) | instskip(SKIP_1) | instid1(VALU_DEP_2)
	v_subrev_nc_u32_e32 v104, 28, v103
	v_sub_nc_u32_e32 v103, 29, v103
	v_lshlrev_b64 v[116:117], v104, v[35:36]
	s_delay_alu instid0(VALU_DEP_1)
	v_and_b32_e32 v35, 7, v116
; %bb.255:                              ;   in Loop: Header=BB242_10 Depth=1
	s_or_b32 exec_lo, exec_lo, s46
	v_lshlrev_b32_e32 v104, 24, v115
	s_delay_alu instid0(VALU_DEP_2) | instskip(SKIP_1) | instid1(VALU_DEP_3)
	v_lshlrev_b32_e32 v35, 20, v35
	v_lshl_add_u32 v103, v103, 23, 0x3c000000
	v_and_b32_e32 v104, 0x80000000, v104
	s_delay_alu instid0(VALU_DEP_1) | instskip(NEXT) | instid1(VALU_DEP_1)
	v_or3_b32 v35, v35, v104, v103
	v_dual_mov_b32 v104, v36 :: v_dual_mov_b32 v103, v35
.LBB242_256:                            ;   in Loop: Header=BB242_10 Depth=1
	s_or_b32 exec_lo, exec_lo, s45
.LBB242_257:                            ;   in Loop: Header=BB242_10 Depth=1
	s_delay_alu instid0(SALU_CYCLE_1)
	s_or_b32 exec_lo, exec_lo, s8
.LBB242_258:                            ;   in Loop: Header=BB242_10 Depth=1
	s_delay_alu instid0(SALU_CYCLE_1) | instskip(SKIP_2) | instid1(VALU_DEP_1)
	s_or_b32 exec_lo, exec_lo, s4
	v_lshrrev_b16 v35, 8, v115
	s_mov_b32 s4, exec_lo
	v_cmpx_ne_u16_e32 0, v35
	s_cbranch_execz .LBB242_266
; %bb.259:                              ;   in Loop: Header=BB242_10 Depth=1
	v_dual_mov_b32 v102, s7 :: v_dual_mov_b32 v101, s6
	s_mov_b32 s45, exec_lo
	v_cmpx_ne_u16_e32 0x80, v35
	s_cbranch_execz .LBB242_265
; %bb.260:                              ;   in Loop: Header=BB242_10 Depth=1
	s_mov_b32 s8, s6
	v_dual_mov_b32 v102, s9 :: v_dual_and_b32 v35, 0xffff, v35
	v_mov_b32_e32 v101, s8
	s_mov_b32 s8, exec_lo
	s_delay_alu instid0(VALU_DEP_2) | instskip(NEXT) | instid1(VALU_DEP_1)
	v_and_b32_e32 v116, 0x7f, v35
	v_cmpx_ne_u32_e32 0x7f, v116
	s_cbranch_execz .LBB242_264
; %bb.261:                              ;   in Loop: Header=BB242_10 Depth=1
	v_and_b32_e32 v35, 7, v35
	v_lshrrev_b32_e32 v101, 3, v116
	s_mov_b32 s46, exec_lo
	v_cmpx_gt_u32_e32 8, v116
; %bb.262:                              ;   in Loop: Header=BB242_10 Depth=1
	s_delay_alu instid0(VALU_DEP_3) | instskip(NEXT) | instid1(VALU_DEP_1)
	v_clz_i32_u32_e32 v101, v35
	v_min_u32_e32 v101, 32, v101
	s_delay_alu instid0(VALU_DEP_1) | instskip(SKIP_1) | instid1(VALU_DEP_2)
	v_subrev_nc_u32_e32 v102, 28, v101
	v_sub_nc_u32_e32 v101, 29, v101
	v_lshlrev_b64 v[116:117], v102, v[35:36]
	s_delay_alu instid0(VALU_DEP_1)
	v_and_b32_e32 v35, 7, v116
; %bb.263:                              ;   in Loop: Header=BB242_10 Depth=1
	s_or_b32 exec_lo, exec_lo, s46
	v_lshlrev_b32_e32 v102, 16, v115
	s_delay_alu instid0(VALU_DEP_2) | instskip(SKIP_1) | instid1(VALU_DEP_3)
	v_lshlrev_b32_e32 v35, 20, v35
	v_lshl_add_u32 v101, v101, 23, 0x3c000000
	v_and_b32_e32 v102, 0x80000000, v102
	s_delay_alu instid0(VALU_DEP_1)
	v_or3_b32 v102, v35, v102, v101
	v_mov_b32_e32 v101, v36
.LBB242_264:                            ;   in Loop: Header=BB242_10 Depth=1
	s_or_b32 exec_lo, exec_lo, s8
.LBB242_265:                            ;   in Loop: Header=BB242_10 Depth=1
	s_delay_alu instid0(SALU_CYCLE_1)
	s_or_b32 exec_lo, exec_lo, s45
.LBB242_266:                            ;   in Loop: Header=BB242_10 Depth=1
	s_delay_alu instid0(SALU_CYCLE_1)
	s_or_b32 exec_lo, exec_lo, s4
	v_or_b32_e32 v45, v45, v47
	v_or_b32_e32 v46, v46, v48
	;; [unrolled: 1-line block ×5, first 2 shown]
	s_delay_alu instid0(VALU_DEP_4) | instskip(SKIP_1) | instid1(VALU_DEP_4)
	v_dual_mul_f32 v43, s41, v45 :: v_dual_mul_f32 v44, s43, v46
	v_or_b32_e32 v45, v49, v51
	v_dual_mul_f32 v42, s43, v42 :: v_dual_mul_f32 v41, s41, v41
	s_delay_alu instid0(VALU_DEP_3)
	v_dual_mul_f32 v43, v3, v43 :: v_dual_mul_f32 v44, v4, v44
	v_or_b32_e32 v56, v56, v58
	v_or_b32_e32 v46, v55, v57
	v_mul_f32_e32 v47, s43, v47
	v_mul_f32_e32 v45, s41, v45
	v_dual_fmac_f32 v43, v1, v41 :: v_dual_fmac_f32 v44, v2, v42
	s_delay_alu instid0(VALU_DEP_4) | instskip(SKIP_2) | instid1(VALU_DEP_4)
	v_mul_f32_e32 v46, s41, v46
	v_or_b32_e32 v60, v60, v62
	v_or_b32_e32 v41, v59, v61
	v_dual_mul_f32 v42, s43, v56 :: v_dual_fmac_f32 v43, v5, v45
	v_fmac_f32_e32 v44, v6, v47
	v_or_b32_e32 v64, v64, v66
	v_or_b32_e32 v45, v63, v65
	v_mul_f32_e32 v47, s43, v60
	s_delay_alu instid0(VALU_DEP_4)
	v_dual_mul_f32 v41, s41, v41 :: v_dual_fmac_f32 v44, v8, v42
	v_fmac_f32_e32 v43, v7, v46
	v_or_b32_e32 v72, v72, v74
	v_or_b32_e32 v68, v68, v70
	v_or_b32_e32 v42, v67, v69
	v_fmac_f32_e32 v44, v10, v47
	v_dual_mul_f32 v46, s43, v64 :: v_dual_mul_f32 v45, s41, v45
	v_fmac_f32_e32 v43, v9, v41
	v_or_b32_e32 v41, v71, v73
	v_mul_f32_e32 v42, s41, v42
	s_delay_alu instid0(VALU_DEP_4)
	v_fmac_f32_e32 v44, v12, v46
	v_mul_f32_e32 v46, s43, v72
	v_mul_f32_e32 v47, s43, v68
	v_fmac_f32_e32 v43, v11, v45
	v_or_b32_e32 v76, v76, v78
	v_mul_f32_e32 v41, s41, v41
	v_or_b32_e32 v80, v80, v82
	v_fmac_f32_e32 v44, v14, v47
	v_or_b32_e32 v45, v75, v77
	v_fmac_f32_e32 v43, v13, v42
	v_or_b32_e32 v42, v79, v81
	s_delay_alu instid0(VALU_DEP_4) | instskip(SKIP_2) | instid1(VALU_DEP_4)
	v_dual_mul_f32 v47, s43, v76 :: v_dual_fmac_f32 v44, v16, v46
	v_mul_f32_e32 v46, s43, v80
	v_or_b32_e32 v88, v88, v90
	v_dual_mul_f32 v42, s41, v42 :: v_dual_mul_f32 v45, s41, v45
	s_delay_alu instid0(VALU_DEP_4) | instskip(SKIP_3) | instid1(VALU_DEP_4)
	v_dual_fmac_f32 v44, v18, v47 :: v_dual_fmac_f32 v43, v15, v41
	v_or_b32_e32 v84, v84, v86
	v_or_b32_e32 v41, v83, v85
	;; [unrolled: 1-line block ×3, first 2 shown]
	v_dual_fmac_f32 v44, v20, v46 :: v_dual_fmac_f32 v43, v17, v45
	v_mul_f32_e32 v46, s43, v88
	v_or_b32_e32 v45, v87, v89
	v_or_b32_e32 v35, v54, v100
	;; [unrolled: 1-line block ×3, first 2 shown]
	v_fmac_f32_e32 v43, v19, v42
	v_or_b32_e32 v42, v91, v93
	v_mul_f32_e32 v47, s43, v84
	v_or_b32_e32 v54, v96, v98
	s_delay_alu instid0(VALU_DEP_3) | instskip(NEXT) | instid1(VALU_DEP_3)
	v_dual_mul_f32 v42, s41, v42 :: v_dual_mul_f32 v41, s41, v41
	v_dual_fmac_f32 v44, v22, v47 :: v_dual_mul_f32 v45, s41, v45
	s_delay_alu instid0(VALU_DEP_1) | instskip(SKIP_1) | instid1(VALU_DEP_2)
	v_dual_mul_f32 v47, s43, v92 :: v_dual_fmac_f32 v44, v24, v46
	v_or_b32_e32 v46, v102, v104
	v_fmac_f32_e32 v44, v26, v47
	v_mul_f32_e32 v35, s43, v35
	v_fmac_f32_e32 v43, v21, v41
	v_or_b32_e32 v41, v95, v97
	v_or_b32_e32 v47, v101, v103
	s_delay_alu instid0(VALU_DEP_3) | instskip(NEXT) | instid1(VALU_DEP_3)
	v_fmac_f32_e32 v43, v23, v45
	v_mul_f32_e32 v41, s41, v41
	s_delay_alu instid0(VALU_DEP_2) | instskip(NEXT) | instid1(VALU_DEP_1)
	v_dual_fmac_f32 v43, v25, v42 :: v_dual_mul_f32 v42, s41, v53
	v_fmac_f32_e32 v43, v27, v41
	v_mul_f32_e32 v41, s43, v46
	v_mul_f32_e32 v45, s43, v54
	s_delay_alu instid0(VALU_DEP_1) | instskip(SKIP_1) | instid1(VALU_DEP_1)
	v_dual_fmac_f32 v43, v29, v42 :: v_dual_fmac_f32 v44, v28, v45
	v_mul_f32_e32 v45, s41, v47
	v_dual_fmac_f32 v44, v30, v35 :: v_dual_fmac_f32 v43, v31, v45
	s_delay_alu instid0(VALU_DEP_1) | instskip(NEXT) | instid1(VALU_DEP_1)
	v_fmac_f32_e32 v44, v32, v41
	v_add_f32_e32 v35, v43, v44
	ds_bpermute_b32 v41, v111, v35
	s_and_saveexec_b32 s4, vcc_lo
	s_cbranch_execz .LBB242_9
; %bb.267:                              ;   in Loop: Header=BB242_10 Depth=1
	s_waitcnt lgkmcnt(0)
	v_dual_add_f32 v35, v35, v41 :: v_dual_add_nc_u32 v42, s42, v112
	v_cmp_gt_i32_e64 s1, s33, v112
	s_delay_alu instid0(VALU_DEP_2) | instskip(NEXT) | instid1(VALU_DEP_1)
	v_cvt_f32_i32_e32 v42, v42
	v_mul_f32_e32 v42, s38, v42
	s_delay_alu instid0(VALU_DEP_1) | instskip(NEXT) | instid1(VALU_DEP_1)
	v_cndmask_b32_e64 v41, 0, v42, s0
	v_dual_max_f32 v42, v110, v110 :: v_dual_fmac_f32 v41, s35, v35
	s_delay_alu instid0(VALU_DEP_1) | instskip(SKIP_1) | instid1(VALU_DEP_2)
	v_max_f32_e32 v35, v42, v41
	v_cndmask_b32_e64 v41, 0, v41, s1
	v_cndmask_b32_e64 v110, v110, v35, s1
	ds_store_b32 v113, v41
	s_branch .LBB242_9
.LBB242_268:
	s_or_b32 exec_lo, exec_lo, s44
.LBB242_269:
	s_delay_alu instid0(SALU_CYCLE_1)
	s_or_b32 exec_lo, exec_lo, s39
	v_xor_b32_e32 v1, 16, v107
	v_xor_b32_e32 v3, 8, v107
	;; [unrolled: 1-line block ×4, first 2 shown]
	v_and_b32_e32 v21, 31, v0
	v_cmp_lt_i32_e32 vcc_lo, v1, v108
	v_dual_max_f32 v4, v110, v110 :: v_dual_cndmask_b32 v1, v107, v1
	v_cmp_lt_i32_e32 vcc_lo, v3, v108
	s_delay_alu instid0(VALU_DEP_2)
	v_dual_cndmask_b32 v3, v107, v3 :: v_dual_lshlrev_b32 v2, 2, v1
	v_cmp_lt_i32_e32 vcc_lo, v5, v108
	ds_bpermute_b32 v1, v2, v110
	v_lshlrev_b32_e32 v3, 2, v3
	v_cndmask_b32_e32 v5, v107, v5, vcc_lo
	v_cmp_lt_i32_e32 vcc_lo, v6, v108
	v_cndmask_b32_e32 v6, v107, v6, vcc_lo
	v_cmp_eq_u32_e32 vcc_lo, 0, v21
	s_delay_alu instid0(VALU_DEP_2) | instskip(SKIP_4) | instid1(VALU_DEP_1)
	v_lshlrev_b32_e32 v22, 2, v6
	v_lshlrev_b32_e32 v5, 2, v5
	;; [unrolled: 1-line block ×3, first 2 shown]
	s_waitcnt lgkmcnt(0)
	v_max_f32_e32 v1, v1, v1
	v_max_f32_e32 v1, v4, v1
	ds_bpermute_b32 v4, v3, v1
	s_waitcnt lgkmcnt(0)
	v_max_f32_e32 v4, v4, v4
	s_delay_alu instid0(VALU_DEP_1) | instskip(SKIP_3) | instid1(VALU_DEP_1)
	v_max_f32_e32 v1, v1, v4
	ds_bpermute_b32 v4, v5, v1
	s_waitcnt lgkmcnt(0)
	v_max_f32_e32 v4, v4, v4
	v_max_f32_e32 v1, v1, v4
	ds_bpermute_b32 v4, v22, v1
	s_and_saveexec_b32 s0, vcc_lo
	s_cbranch_execz .LBB242_271
; %bb.270:
	s_waitcnt lgkmcnt(0)
	v_dual_max_f32 v4, v4, v4 :: v_dual_max_f32 v1, v1, v1
	s_delay_alu instid0(VALU_DEP_1)
	v_max_f32_e32 v1, v1, v4
	ds_store_b32 v6, v1 offset:256
.LBB242_271:
	s_or_b32 exec_lo, exec_lo, s0
	v_cmp_gt_u32_e64 s0, 4, v21
	v_mov_b32_e32 v1, 0xff7fffff
	v_lshlrev_b32_e32 v7, 2, v21
	s_waitcnt lgkmcnt(0)
	s_barrier
	buffer_gl0_inv
	s_and_saveexec_b32 s1, s0
	s_cbranch_execz .LBB242_273
; %bb.272:
	ds_load_b32 v1, v7 offset:256
.LBB242_273:
	s_or_b32 exec_lo, exec_lo, s1
	s_waitcnt lgkmcnt(0)
	ds_bpermute_b32 v4, v22, v1
	v_xor_b32_e32 v8, 1, v107
	v_max_f32_e32 v1, v1, v1
	v_mov_b32_e32 v9, 0
	s_delay_alu instid0(VALU_DEP_3) | instskip(NEXT) | instid1(VALU_DEP_1)
	v_cmp_lt_i32_e64 s1, v8, v108
	v_cndmask_b32_e64 v8, v107, v8, s1
	s_sub_i32 s1, s21, s37
	s_delay_alu instid0(SALU_CYCLE_1) | instskip(NEXT) | instid1(VALU_DEP_1)
	s_lshl_b32 s1, s1, 4
	v_lshlrev_b32_e32 v23, 2, v8
	v_lshlrev_b32_e32 v8, 2, v107
	s_add_i32 s1, s1, s36
	s_waitcnt lgkmcnt(0)
	v_max_f32_e32 v4, v4, v4
	s_min_i32 s1, s1, s33
	v_and_b32_e32 v8, 0xffffff80, v8
	s_sub_i32 s6, s1, s36
	s_delay_alu instid0(VALU_DEP_2) | instskip(SKIP_4) | instid1(VALU_DEP_1)
	v_max_f32_e32 v1, v1, v4
	v_cmp_gt_i32_e64 s1, s6, v0
	ds_bpermute_b32 v4, v23, v1
	s_waitcnt lgkmcnt(0)
	v_max_f32_e32 v4, v4, v4
	v_max_f32_e32 v1, v1, v4
	v_lshl_add_u32 v4, v0, 2, 0x120
	ds_bpermute_b32 v1, v8, v1
	s_and_saveexec_b32 s7, s1
	s_cbranch_execz .LBB242_277
; %bb.274:
	v_lshl_add_u32 v10, v0, 2, 0x120
	v_mov_b32_e32 v9, 0
	v_mov_b32_e32 v11, v0
	s_mov_b32 s8, 0
	.p2align	6
.LBB242_275:                            ; =>This Inner Loop Header: Depth=1
	ds_load_b32 v12, v10
	v_add_nc_u32_e32 v11, 0x80, v11
	s_delay_alu instid0(VALU_DEP_1) | instskip(NEXT) | instid1(VALU_DEP_1)
	v_cmp_le_i32_e64 s4, s6, v11
	s_or_b32 s8, s4, s8
	s_waitcnt lgkmcnt(0)
	v_sub_f32_e32 v12, v12, v1
	s_delay_alu instid0(VALU_DEP_1) | instskip(NEXT) | instid1(VALU_DEP_1)
	v_mul_f32_e32 v12, 0x3fb8aa3b, v12
	v_exp_f32_e32 v12, v12
	ds_store_b32 v10, v12
	v_dual_add_f32 v9, v9, v12 :: v_dual_add_nc_u32 v10, 0x200, v10
	s_and_not1_b32 exec_lo, exec_lo, s8
	s_cbranch_execnz .LBB242_275
; %bb.276:
	s_or_b32 exec_lo, exec_lo, s8
.LBB242_277:
	s_delay_alu instid0(SALU_CYCLE_1)
	s_or_b32 exec_lo, exec_lo, s7
	ds_bpermute_b32 v2, v2, v9
	s_waitcnt lgkmcnt(0)
	v_add_f32_e32 v2, v9, v2
	ds_bpermute_b32 v3, v3, v2
	s_waitcnt lgkmcnt(0)
	v_add_f32_e32 v2, v2, v3
	ds_bpermute_b32 v3, v5, v2
	s_waitcnt lgkmcnt(0)
	v_add_f32_e32 v2, v2, v3
	ds_bpermute_b32 v3, v22, v2
	s_waitcnt lgkmcnt(0)
	v_add_f32_e32 v2, v2, v3
	ds_bpermute_b32 v3, v23, v2
	s_waitcnt lgkmcnt(0)
	v_add_f32_e32 v2, v2, v3
	s_and_saveexec_b32 s4, vcc_lo
	s_cbranch_execz .LBB242_279
; %bb.278:
	ds_store_b32 v6, v2 offset:272
.LBB242_279:
	s_or_b32 exec_lo, exec_lo, s4
	s_waitcnt lgkmcnt(0)
	s_barrier
	buffer_gl0_inv
	s_and_saveexec_b32 s4, s0
	s_cbranch_execz .LBB242_281
; %bb.280:
	ds_load_b32 v2, v7 offset:272
.LBB242_281:
	s_or_b32 exec_lo, exec_lo, s4
	s_waitcnt lgkmcnt(0)
	ds_bpermute_b32 v3, v22, v2
	s_waitcnt lgkmcnt(0)
	v_add_f32_e32 v2, v2, v3
	ds_bpermute_b32 v3, v23, v2
	s_waitcnt lgkmcnt(0)
	v_add_f32_e32 v2, v2, v3
	ds_bpermute_b32 v2, v8, v2
	s_and_saveexec_b32 s0, s1
	s_cbranch_execz .LBB242_284
; %bb.282:
	s_waitcnt lgkmcnt(0)
	v_add_f32_e32 v3, 0x358637bd, v2
	s_mov_b32 s1, 0
	s_delay_alu instid0(VALU_DEP_1) | instskip(SKIP_1) | instid1(VALU_DEP_2)
	v_div_scale_f32 v5, null, v3, v3, 1.0
	v_div_scale_f32 v8, vcc_lo, 1.0, v3, 1.0
	v_rcp_f32_e32 v6, v5
	s_waitcnt_depctr 0xfff
	v_fma_f32 v7, -v5, v6, 1.0
	s_delay_alu instid0(VALU_DEP_1) | instskip(NEXT) | instid1(VALU_DEP_1)
	v_fmac_f32_e32 v6, v7, v6
	v_mul_f32_e32 v7, v8, v6
	s_delay_alu instid0(VALU_DEP_1) | instskip(NEXT) | instid1(VALU_DEP_1)
	v_fma_f32 v9, -v5, v7, v8
	v_fmac_f32_e32 v7, v9, v6
	s_delay_alu instid0(VALU_DEP_1) | instskip(NEXT) | instid1(VALU_DEP_1)
	v_fma_f32 v5, -v5, v7, v8
	v_div_fmas_f32 v5, v5, v6, v7
	s_delay_alu instid0(VALU_DEP_1)
	v_div_fixup_f32 v3, v5, v3, 1.0
	v_mov_b32_e32 v5, v0
.LBB242_283:                            ; =>This Inner Loop Header: Depth=1
	ds_load_b32 v6, v4
	s_waitcnt lgkmcnt(0)
	v_dual_mul_f32 v6, v3, v6 :: v_dual_add_nc_u32 v5, 0x80, v5
	s_delay_alu instid0(VALU_DEP_1) | instskip(SKIP_3) | instid1(SALU_CYCLE_1)
	v_cmp_le_i32_e32 vcc_lo, s6, v5
	ds_store_b32 v4, v6
	v_add_nc_u32_e32 v4, 0x200, v4
	s_or_b32 s1, vcc_lo, s1
	s_and_not1_b32 exec_lo, exec_lo, s1
	s_cbranch_execnz .LBB242_283
.LBB242_284:
	s_or_b32 exec_lo, exec_lo, s0
	s_mul_i32 s0, s15, s14
	s_waitcnt lgkmcnt(0)
	s_mul_i32 s6, s0, s13
	s_mov_b32 s0, exec_lo
	s_barrier
	buffer_gl0_inv
	v_cmpx_eq_u32_e32 0, v0
	s_cbranch_execz .LBB242_286
; %bb.285:
	s_ashr_i32 s7, s6, 31
	s_mul_i32 s38, s15, s24
	s_lshl_b64 s[8:9], s[6:7], 2
	v_mov_b32_e32 v3, 0
	s_add_u32 s1, s18, s8
	s_addc_u32 s4, s19, s9
	s_ashr_i32 s39, s38, 31
	s_delay_alu instid0(SALU_CYCLE_1) | instskip(NEXT) | instid1(SALU_CYCLE_1)
	s_lshl_b64 s[18:19], s[38:39], 2
	s_add_u32 s1, s1, s18
	s_addc_u32 s4, s4, s19
	s_ashr_i32 s13, s12, 31
	s_delay_alu instid0(SALU_CYCLE_1) | instskip(NEXT) | instid1(SALU_CYCLE_1)
	s_lshl_b64 s[38:39], s[12:13], 2
	s_add_u32 s40, s1, s38
	s_addc_u32 s41, s4, s39
	s_add_u32 s1, s16, s8
	s_addc_u32 s4, s17, s9
	;; [unrolled: 2-line block ×4, first 2 shown]
	s_clause 0x1
	global_store_b32 v3, v1, s[40:41]
	global_store_b32 v3, v2, s[8:9]
.LBB242_286:
	s_or_b32 exec_lo, exec_lo, s0
	v_dual_mov_b32 v25, 0 :: v_dual_and_b32 v24, 3, v0
	v_dual_mov_b32 v26, 0 :: v_dual_mov_b32 v27, 0
	v_dual_mov_b32 v28, 0 :: v_dual_mov_b32 v29, 0
	;; [unrolled: 1-line block ×3, first 2 shown]
	v_mov_b32_e32 v32, 0
	s_mov_b32 s4, 0
	s_and_saveexec_b32 s1, s3
	s_cbranch_execz .LBB242_562
; %bb.287:
	s_load_b32 s3, s[10:11], 0x0
	v_dual_mov_b32 v32, 0 :: v_dual_lshlrev_b32 v7, 4, v24
	v_dual_mov_b32 v31, 0 :: v_dual_and_b32 v4, 0x7c, v106
	s_ashr_i32 s0, s34, 31
	s_mov_b32 s7, s5
	v_lshlrev_b64 v[1:2], 2, v[33:34]
	s_add_u32 s5, s30, s34
	v_lshl_or_b32 v9, v105, 6, v7
	s_addc_u32 s0, s31, s0
	s_lshl_b64 s[8:9], s[28:29], 2
	v_add_co_u32 v7, s5, s5, v4
	v_dual_mov_b32 v6, 0 :: v_dual_and_b32 v3, 12, v106
	v_lshl_add_u32 v5, v105, 4, s36
	s_add_i32 s25, s25, -1
	v_add_co_ci_u32_e64 v8, null, s0, 0, s5
	s_add_u32 s0, s26, s8
	v_dual_mov_b32 v30, 0 :: v_dual_add_nc_u32 v35, 0x120, v9
	s_addc_u32 s5, s27, s9
	v_add_co_u32 v9, vcc_lo, s0, v1
	v_add3_u32 v34, v5, v3, 3
	v_add_co_ci_u32_e32 v10, vcc_lo, s5, v2, vcc_lo
	v_dual_mov_b32 v29, 0 :: v_dual_mov_b32 v28, 0
	v_dual_mov_b32 v27, 0 :: v_dual_mov_b32 v26, 0
	v_mov_b32_e32 v25, 0
	s_waitcnt lgkmcnt(0)
	s_mov_b32 s10, s3
	s_brev_b32 s5, 1
	s_mov_b32 s9, 0x7f800001
	s_mov_b32 s11, s4
	s_branch .LBB242_289
.LBB242_288:                            ;   in Loop: Header=BB242_289 Depth=1
	s_or_b32 exec_lo, exec_lo, s0
	s_waitcnt lgkmcnt(0)
	v_mul_f32_e32 v16, v2, v50
	v_mul_f32_e32 v15, v2, v46
	v_add_co_u32 v9, s0, v9, 16
	v_add_nc_u32_e32 v34, 64, v34
	s_delay_alu instid0(VALU_DEP_4) | instskip(NEXT) | instid1(VALU_DEP_4)
	v_fmac_f32_e32 v16, v1, v49
	v_dual_mul_f32 v14, v2, v39 :: v_dual_fmac_f32 v15, v1, v45
	v_add_co_ci_u32_e64 v10, s0, 0, v10, s0
	s_delay_alu instid0(VALU_DEP_3) | instskip(NEXT) | instid1(VALU_DEP_3)
	v_dual_fmac_f32 v16, v3, v48 :: v_dual_add_nc_u32 v33, 4, v33
	v_dual_fmac_f32 v15, v3, v44 :: v_dual_fmac_f32 v14, v1, v38
	v_add_nc_u32_e32 v35, 0x100, v35
	s_delay_alu instid0(VALU_DEP_3) | instskip(NEXT) | instid1(VALU_DEP_3)
	v_cmp_le_i32_e32 vcc_lo, s21, v33
	v_fmac_f32_e32 v15, v4, v43
	s_delay_alu instid0(VALU_DEP_4) | instskip(SKIP_2) | instid1(VALU_DEP_4)
	v_dual_mul_f32 v17, v2, v54 :: v_dual_fmac_f32 v14, v3, v37
	v_mul_f32_e32 v37, v2, v62
	v_mul_f32_e32 v18, v2, v58
	v_dual_mul_f32 v38, v2, v64 :: v_dual_add_f32 v31, v31, v15
	s_delay_alu instid0(VALU_DEP_3) | instskip(SKIP_3) | instid1(VALU_DEP_3)
	v_dual_fmac_f32 v14, v4, v36 :: v_dual_fmac_f32 v37, v1, v61
	v_mul_f32_e32 v2, v2, v13
	v_dual_fmac_f32 v17, v1, v53 :: v_dual_fmac_f32 v16, v4, v47
	s_or_b32 s11, vcc_lo, s11
	v_fmac_f32_e32 v37, v3, v60
	s_delay_alu instid0(VALU_DEP_3) | instskip(NEXT) | instid1(VALU_DEP_3)
	v_fmac_f32_e32 v2, v1, v12
	v_dual_fmac_f32 v18, v1, v57 :: v_dual_fmac_f32 v17, v3, v52
	s_delay_alu instid0(VALU_DEP_3) | instskip(SKIP_1) | instid1(VALU_DEP_4)
	v_dual_add_f32 v30, v30, v16 :: v_dual_fmac_f32 v37, v4, v59
	v_fmac_f32_e32 v38, v1, v63
	v_fmac_f32_e32 v2, v3, v11
	s_delay_alu instid0(VALU_DEP_4) | instskip(NEXT) | instid1(VALU_DEP_4)
	v_fmac_f32_e32 v17, v4, v51
	v_dual_add_f32 v32, v32, v14 :: v_dual_add_f32 v27, v27, v37
	s_delay_alu instid0(VALU_DEP_4) | instskip(NEXT) | instid1(VALU_DEP_4)
	v_fmac_f32_e32 v38, v3, v20
	v_fmac_f32_e32 v2, v4, v5
	s_delay_alu instid0(VALU_DEP_4) | instskip(NEXT) | instid1(VALU_DEP_2)
	v_dual_fmac_f32 v18, v3, v56 :: v_dual_add_f32 v29, v29, v17
	v_dual_fmac_f32 v38, v4, v19 :: v_dual_add_f32 v25, v25, v2
	s_delay_alu instid0(VALU_DEP_2) | instskip(NEXT) | instid1(VALU_DEP_2)
	v_fmac_f32_e32 v18, v4, v55
	v_add_f32_e32 v26, v26, v38
	s_delay_alu instid0(VALU_DEP_2)
	v_add_f32_e32 v28, v28, v18
	s_and_not1_b32 exec_lo, exec_lo, s11
	s_cbranch_execz .LBB242_561
.LBB242_289:                            ; =>This Inner Loop Header: Depth=1
	global_load_b32 v1, v[9:10], off
	v_mov_b32_e32 v15, 0
	s_mov_b32 s0, exec_lo
	s_waitcnt vmcnt(0)
	v_mad_i64_i32 v[11:12], null, v1, s7, v[7:8]
	ds_load_b128 v[1:4], v35
	global_load_b32 v36, v[11:12], off
	s_waitcnt vmcnt(0)
	v_dual_mov_b32 v16, 0 :: v_dual_and_b32 v5, 0xff, v36
	s_delay_alu instid0(VALU_DEP_1) | instskip(NEXT) | instid1(VALU_DEP_2)
	v_dual_mov_b32 v13, v15 :: v_dual_mov_b32 v14, v16
	v_cmpx_ne_u16_e32 0, v5
	s_cbranch_execz .LBB242_297
; %bb.290:                              ;   in Loop: Header=BB242_289 Depth=1
	v_bfrev_b32_e32 v13, 1
	v_mov_b32_e32 v14, 0
	s_mov_b32 s8, exec_lo
	v_cmpx_ne_u16_e32 0x80, v5
	s_cbranch_execz .LBB242_296
; %bb.291:                              ;   in Loop: Header=BB242_289 Depth=1
	v_mov_b32_e32 v13, 0x7f800001
	v_dual_mov_b32 v14, 0 :: v_dual_and_b32 v17, 0x7f, v36
	s_mov_b32 s13, exec_lo
	s_delay_alu instid0(VALU_DEP_1)
	v_cmpx_ne_u32_e32 0x7f, v17
	s_cbranch_execz .LBB242_295
; %bb.292:                              ;   in Loop: Header=BB242_289 Depth=1
	v_and_b32_e32 v5, 7, v36
	v_lshrrev_b32_e32 v13, 3, v17
	s_mov_b32 s14, exec_lo
	v_cmpx_gt_u32_e32 8, v17
; %bb.293:                              ;   in Loop: Header=BB242_289 Depth=1
	s_delay_alu instid0(VALU_DEP_3) | instskip(NEXT) | instid1(VALU_DEP_1)
	v_clz_i32_u32_e32 v13, v5
	v_min_u32_e32 v13, 32, v13
	s_delay_alu instid0(VALU_DEP_1) | instskip(SKIP_1) | instid1(VALU_DEP_2)
	v_subrev_nc_u32_e32 v14, 28, v13
	v_sub_nc_u32_e32 v13, 29, v13
	v_lshlrev_b64 v[17:18], v14, v[5:6]
	s_delay_alu instid0(VALU_DEP_1)
	v_and_b32_e32 v5, 7, v17
; %bb.294:                              ;   in Loop: Header=BB242_289 Depth=1
	s_or_b32 exec_lo, exec_lo, s14
	v_lshlrev_b32_e32 v14, 24, v36
	s_delay_alu instid0(VALU_DEP_2) | instskip(SKIP_1) | instid1(VALU_DEP_3)
	v_lshlrev_b32_e32 v5, 20, v5
	v_lshl_add_u32 v13, v13, 23, 0x3c000000
	v_and_b32_e32 v14, 0x80000000, v14
	s_delay_alu instid0(VALU_DEP_1) | instskip(NEXT) | instid1(VALU_DEP_1)
	v_or3_b32 v5, v5, v14, v13
	v_dual_mov_b32 v14, v6 :: v_dual_mov_b32 v13, v5
.LBB242_295:                            ;   in Loop: Header=BB242_289 Depth=1
	s_or_b32 exec_lo, exec_lo, s13
.LBB242_296:                            ;   in Loop: Header=BB242_289 Depth=1
	s_delay_alu instid0(SALU_CYCLE_1)
	s_or_b32 exec_lo, exec_lo, s8
.LBB242_297:                            ;   in Loop: Header=BB242_289 Depth=1
	s_delay_alu instid0(SALU_CYCLE_1) | instskip(SKIP_2) | instid1(VALU_DEP_1)
	s_or_b32 exec_lo, exec_lo, s0
	v_lshrrev_b16 v5, 8, v36
	s_mov_b32 s0, exec_lo
	v_cmpx_ne_u16_e32 0, v5
	s_cbranch_execz .LBB242_305
; %bb.298:                              ;   in Loop: Header=BB242_289 Depth=1
	v_dual_mov_b32 v16, s5 :: v_dual_mov_b32 v15, s4
	s_mov_b32 s13, exec_lo
	v_cmpx_ne_u16_e32 0x80, v5
	s_cbranch_execz .LBB242_304
; %bb.299:                              ;   in Loop: Header=BB242_289 Depth=1
	s_mov_b32 s8, s4
	v_dual_mov_b32 v16, s9 :: v_dual_and_b32 v5, 0xffff, v5
	v_mov_b32_e32 v15, s8
	s_mov_b32 s8, exec_lo
	s_delay_alu instid0(VALU_DEP_2) | instskip(NEXT) | instid1(VALU_DEP_1)
	v_and_b32_e32 v17, 0x7f, v5
	v_cmpx_ne_u32_e32 0x7f, v17
	s_cbranch_execz .LBB242_303
; %bb.300:                              ;   in Loop: Header=BB242_289 Depth=1
	v_and_b32_e32 v5, 7, v5
	v_lshrrev_b32_e32 v15, 3, v17
	s_mov_b32 s14, exec_lo
	v_cmpx_gt_u32_e32 8, v17
; %bb.301:                              ;   in Loop: Header=BB242_289 Depth=1
	s_delay_alu instid0(VALU_DEP_3) | instskip(NEXT) | instid1(VALU_DEP_1)
	v_clz_i32_u32_e32 v15, v5
	v_min_u32_e32 v15, 32, v15
	s_delay_alu instid0(VALU_DEP_1) | instskip(SKIP_1) | instid1(VALU_DEP_2)
	v_subrev_nc_u32_e32 v16, 28, v15
	v_sub_nc_u32_e32 v15, 29, v15
	v_lshlrev_b64 v[16:17], v16, v[5:6]
	s_delay_alu instid0(VALU_DEP_1)
	v_and_b32_e32 v5, 7, v16
; %bb.302:                              ;   in Loop: Header=BB242_289 Depth=1
	s_or_b32 exec_lo, exec_lo, s14
	v_lshlrev_b32_e32 v16, 16, v36
	s_delay_alu instid0(VALU_DEP_2) | instskip(SKIP_1) | instid1(VALU_DEP_3)
	v_lshlrev_b32_e32 v5, 20, v5
	v_lshl_add_u32 v15, v15, 23, 0x3c000000
	v_and_b32_e32 v16, 0x80000000, v16
	s_delay_alu instid0(VALU_DEP_1)
	v_or3_b32 v16, v5, v16, v15
	v_mov_b32_e32 v15, v6
.LBB242_303:                            ;   in Loop: Header=BB242_289 Depth=1
	s_or_b32 exec_lo, exec_lo, s8
.LBB242_304:                            ;   in Loop: Header=BB242_289 Depth=1
	s_delay_alu instid0(SALU_CYCLE_1)
	s_or_b32 exec_lo, exec_lo, s13
.LBB242_305:                            ;   in Loop: Header=BB242_289 Depth=1
	s_delay_alu instid0(SALU_CYCLE_1) | instskip(SKIP_4) | instid1(VALU_DEP_2)
	s_or_b32 exec_lo, exec_lo, s0
	v_mov_b32_e32 v19, 0
	v_lshrrev_b32_e32 v37, 16, v36
	v_mov_b32_e32 v20, 0
	s_mov_b32 s0, exec_lo
	v_and_b32_e32 v5, 0xff, v37
	s_delay_alu instid0(VALU_DEP_2) | instskip(NEXT) | instid1(VALU_DEP_2)
	v_dual_mov_b32 v17, v19 :: v_dual_mov_b32 v18, v20
	v_cmpx_ne_u16_e32 0, v5
	s_cbranch_execz .LBB242_313
; %bb.306:                              ;   in Loop: Header=BB242_289 Depth=1
	v_bfrev_b32_e32 v17, 1
	v_mov_b32_e32 v18, 0
	s_mov_b32 s8, exec_lo
	v_cmpx_ne_u16_e32 0x80, v5
	s_cbranch_execz .LBB242_312
; %bb.307:                              ;   in Loop: Header=BB242_289 Depth=1
	v_mov_b32_e32 v17, 0x7f800001
	v_bfe_u32 v38, v36, 16, 7
	v_mov_b32_e32 v18, 0
	s_mov_b32 s13, exec_lo
	s_delay_alu instid0(VALU_DEP_2)
	v_cmpx_ne_u32_e32 0x7f, v38
	s_cbranch_execz .LBB242_311
; %bb.308:                              ;   in Loop: Header=BB242_289 Depth=1
	v_and_b32_e32 v5, 7, v37
	v_lshrrev_b32_e32 v17, 3, v38
	s_mov_b32 s14, exec_lo
	v_cmpx_gt_u32_e32 8, v38
; %bb.309:                              ;   in Loop: Header=BB242_289 Depth=1
	s_delay_alu instid0(VALU_DEP_3) | instskip(NEXT) | instid1(VALU_DEP_1)
	v_clz_i32_u32_e32 v17, v5
	v_min_u32_e32 v17, 32, v17
	s_delay_alu instid0(VALU_DEP_1) | instskip(SKIP_1) | instid1(VALU_DEP_2)
	v_subrev_nc_u32_e32 v18, 28, v17
	v_sub_nc_u32_e32 v17, 29, v17
	v_lshlrev_b64 v[38:39], v18, v[5:6]
	s_delay_alu instid0(VALU_DEP_1)
	v_and_b32_e32 v5, 7, v38
; %bb.310:                              ;   in Loop: Header=BB242_289 Depth=1
	s_or_b32 exec_lo, exec_lo, s14
	v_lshlrev_b32_e32 v18, 24, v37
	s_delay_alu instid0(VALU_DEP_2) | instskip(SKIP_1) | instid1(VALU_DEP_3)
	v_lshlrev_b32_e32 v5, 20, v5
	v_lshl_add_u32 v17, v17, 23, 0x3c000000
	v_and_b32_e32 v18, 0x80000000, v18
	s_delay_alu instid0(VALU_DEP_1) | instskip(NEXT) | instid1(VALU_DEP_1)
	v_or3_b32 v5, v5, v18, v17
	v_dual_mov_b32 v18, v6 :: v_dual_mov_b32 v17, v5
.LBB242_311:                            ;   in Loop: Header=BB242_289 Depth=1
	s_or_b32 exec_lo, exec_lo, s13
.LBB242_312:                            ;   in Loop: Header=BB242_289 Depth=1
	s_delay_alu instid0(SALU_CYCLE_1)
	s_or_b32 exec_lo, exec_lo, s8
.LBB242_313:                            ;   in Loop: Header=BB242_289 Depth=1
	s_delay_alu instid0(SALU_CYCLE_1) | instskip(NEXT) | instid1(SALU_CYCLE_1)
	s_or_b32 exec_lo, exec_lo, s0
	s_mov_b32 s0, exec_lo
	v_cmpx_lt_u32_e32 0xffffff, v36
	s_cbranch_execz .LBB242_321
; %bb.314:                              ;   in Loop: Header=BB242_289 Depth=1
	v_lshrrev_b32_e32 v37, 24, v36
	v_dual_mov_b32 v20, s5 :: v_dual_mov_b32 v19, s4
	s_mov_b32 s13, exec_lo
	s_delay_alu instid0(VALU_DEP_2)
	v_cmpx_ne_u32_e32 0x80, v37
	s_cbranch_execz .LBB242_320
; %bb.315:                              ;   in Loop: Header=BB242_289 Depth=1
	s_mov_b32 s8, s4
	v_bfe_u32 v36, v36, 24, 7
	v_dual_mov_b32 v20, s9 :: v_dual_mov_b32 v19, s8
	s_mov_b32 s8, exec_lo
	s_delay_alu instid0(VALU_DEP_2)
	v_cmpx_ne_u32_e32 0x7f, v36
	s_cbranch_execz .LBB242_319
; %bb.316:                              ;   in Loop: Header=BB242_289 Depth=1
	v_and_b32_e32 v5, 7, v37
	v_lshrrev_b32_e32 v19, 3, v36
	s_mov_b32 s14, exec_lo
	v_cmpx_gt_u32_e32 8, v36
; %bb.317:                              ;   in Loop: Header=BB242_289 Depth=1
	s_delay_alu instid0(VALU_DEP_3) | instskip(NEXT) | instid1(VALU_DEP_1)
	v_clz_i32_u32_e32 v19, v5
	v_min_u32_e32 v19, 32, v19
	s_delay_alu instid0(VALU_DEP_1) | instskip(SKIP_1) | instid1(VALU_DEP_2)
	v_subrev_nc_u32_e32 v20, 28, v19
	v_sub_nc_u32_e32 v19, 29, v19
	v_lshlrev_b64 v[38:39], v20, v[5:6]
	s_delay_alu instid0(VALU_DEP_1)
	v_and_b32_e32 v5, 7, v38
; %bb.318:                              ;   in Loop: Header=BB242_289 Depth=1
	s_or_b32 exec_lo, exec_lo, s14
	v_lshlrev_b32_e32 v20, 24, v37
	s_delay_alu instid0(VALU_DEP_2) | instskip(SKIP_1) | instid1(VALU_DEP_3)
	v_lshlrev_b32_e32 v5, 20, v5
	v_lshl_add_u32 v19, v19, 23, 0x3c000000
	v_and_b32_e32 v20, 0x80000000, v20
	s_delay_alu instid0(VALU_DEP_1)
	v_or3_b32 v20, v5, v20, v19
	v_mov_b32_e32 v19, v6
.LBB242_319:                            ;   in Loop: Header=BB242_289 Depth=1
	s_or_b32 exec_lo, exec_lo, s8
.LBB242_320:                            ;   in Loop: Header=BB242_289 Depth=1
	s_delay_alu instid0(SALU_CYCLE_1)
	s_or_b32 exec_lo, exec_lo, s13
.LBB242_321:                            ;   in Loop: Header=BB242_289 Depth=1
	s_delay_alu instid0(SALU_CYCLE_1) | instskip(SKIP_4) | instid1(VALU_DEP_4)
	s_or_b32 exec_lo, exec_lo, s0
	v_or_b32_e32 v5, v16, v14
	v_or_b32_e32 v13, v15, v13
	;; [unrolled: 1-line block ×4, first 2 shown]
	v_dual_mul_f32 v39, s10, v5 :: v_dual_add_nc_u32 v40, -3, v34
	v_cmp_eq_u32_e32 vcc_lo, s25, v33
	s_delay_alu instid0(VALU_DEP_3)
	v_dual_mul_f32 v38, s3, v13 :: v_dual_mul_f32 v37, s3, v15
	v_mul_f32_e32 v36, s10, v14
	v_add_nc_u32_e32 v42, -2, v34
	v_add_nc_u32_e32 v41, -1, v34
	s_and_saveexec_b32 s8, vcc_lo
; %bb.322:                              ;   in Loop: Header=BB242_289 Depth=1
	v_cmp_gt_i32_e64 s0, s33, v40
	s_delay_alu instid0(VALU_DEP_1) | instskip(SKIP_1) | instid1(VALU_DEP_1)
	v_cndmask_b32_e64 v38, 0, v38, s0
	v_cmp_gt_i32_e64 s0, s33, v42
	v_cndmask_b32_e64 v39, 0, v39, s0
	v_cmp_gt_i32_e64 s0, s33, v41
	s_delay_alu instid0(VALU_DEP_1) | instskip(SKIP_1) | instid1(VALU_DEP_1)
	v_cndmask_b32_e64 v37, 0, v37, s0
	v_cmp_gt_i32_e64 s0, s33, v34
	v_cndmask_b32_e64 v36, 0, v36, s0
; %bb.323:                              ;   in Loop: Header=BB242_289 Depth=1
	s_or_b32 exec_lo, exec_lo, s8
	global_load_b32 v43, v[11:12], off offset:128
	v_mov_b32_e32 v15, 0
	v_mov_b32_e32 v16, 0
	s_mov_b32 s8, exec_lo
	s_waitcnt vmcnt(0)
	v_and_b32_e32 v5, 0xff, v43
	s_delay_alu instid0(VALU_DEP_2) | instskip(NEXT) | instid1(VALU_DEP_2)
	v_dual_mov_b32 v13, v15 :: v_dual_mov_b32 v14, v16
	v_cmpx_ne_u16_e32 0, v5
	s_cbranch_execz .LBB242_331
; %bb.324:                              ;   in Loop: Header=BB242_289 Depth=1
	v_bfrev_b32_e32 v13, 1
	v_mov_b32_e32 v14, 0
	s_mov_b32 s13, exec_lo
	v_cmpx_ne_u16_e32 0x80, v5
	s_cbranch_execz .LBB242_330
; %bb.325:                              ;   in Loop: Header=BB242_289 Depth=1
	v_mov_b32_e32 v13, 0x7f800001
	v_dual_mov_b32 v14, 0 :: v_dual_and_b32 v17, 0x7f, v43
	s_mov_b32 s14, exec_lo
	s_delay_alu instid0(VALU_DEP_1)
	v_cmpx_ne_u32_e32 0x7f, v17
	s_cbranch_execz .LBB242_329
; %bb.326:                              ;   in Loop: Header=BB242_289 Depth=1
	v_and_b32_e32 v5, 7, v43
	v_lshrrev_b32_e32 v13, 3, v17
	s_mov_b32 s16, exec_lo
	v_cmpx_gt_u32_e32 8, v17
; %bb.327:                              ;   in Loop: Header=BB242_289 Depth=1
	s_delay_alu instid0(VALU_DEP_3) | instskip(NEXT) | instid1(VALU_DEP_1)
	v_clz_i32_u32_e32 v13, v5
	v_min_u32_e32 v13, 32, v13
	s_delay_alu instid0(VALU_DEP_1) | instskip(SKIP_1) | instid1(VALU_DEP_2)
	v_subrev_nc_u32_e32 v14, 28, v13
	v_sub_nc_u32_e32 v13, 29, v13
	v_lshlrev_b64 v[17:18], v14, v[5:6]
	s_delay_alu instid0(VALU_DEP_1)
	v_and_b32_e32 v5, 7, v17
; %bb.328:                              ;   in Loop: Header=BB242_289 Depth=1
	s_or_b32 exec_lo, exec_lo, s16
	v_lshlrev_b32_e32 v14, 24, v43
	s_delay_alu instid0(VALU_DEP_2) | instskip(SKIP_1) | instid1(VALU_DEP_3)
	v_lshlrev_b32_e32 v5, 20, v5
	v_lshl_add_u32 v13, v13, 23, 0x3c000000
	v_and_b32_e32 v14, 0x80000000, v14
	s_delay_alu instid0(VALU_DEP_1) | instskip(NEXT) | instid1(VALU_DEP_1)
	v_or3_b32 v5, v5, v14, v13
	v_dual_mov_b32 v14, v6 :: v_dual_mov_b32 v13, v5
.LBB242_329:                            ;   in Loop: Header=BB242_289 Depth=1
	s_or_b32 exec_lo, exec_lo, s14
.LBB242_330:                            ;   in Loop: Header=BB242_289 Depth=1
	s_delay_alu instid0(SALU_CYCLE_1)
	s_or_b32 exec_lo, exec_lo, s13
.LBB242_331:                            ;   in Loop: Header=BB242_289 Depth=1
	s_delay_alu instid0(SALU_CYCLE_1) | instskip(SKIP_2) | instid1(VALU_DEP_1)
	s_or_b32 exec_lo, exec_lo, s8
	v_lshrrev_b16 v5, 8, v43
	s_mov_b32 s13, exec_lo
	v_cmpx_ne_u16_e32 0, v5
	s_cbranch_execz .LBB242_339
; %bb.332:                              ;   in Loop: Header=BB242_289 Depth=1
	v_dual_mov_b32 v16, s5 :: v_dual_mov_b32 v15, s4
	s_mov_b32 s14, exec_lo
	v_cmpx_ne_u16_e32 0x80, v5
	s_cbranch_execz .LBB242_338
; %bb.333:                              ;   in Loop: Header=BB242_289 Depth=1
	s_mov_b32 s8, s4
	v_dual_mov_b32 v16, s9 :: v_dual_and_b32 v5, 0xffff, v5
	v_mov_b32_e32 v15, s8
	s_mov_b32 s8, exec_lo
	s_delay_alu instid0(VALU_DEP_2) | instskip(NEXT) | instid1(VALU_DEP_1)
	v_and_b32_e32 v17, 0x7f, v5
	v_cmpx_ne_u32_e32 0x7f, v17
	s_cbranch_execz .LBB242_337
; %bb.334:                              ;   in Loop: Header=BB242_289 Depth=1
	v_and_b32_e32 v5, 7, v5
	v_lshrrev_b32_e32 v15, 3, v17
	s_mov_b32 s16, exec_lo
	v_cmpx_gt_u32_e32 8, v17
; %bb.335:                              ;   in Loop: Header=BB242_289 Depth=1
	s_delay_alu instid0(VALU_DEP_3) | instskip(NEXT) | instid1(VALU_DEP_1)
	v_clz_i32_u32_e32 v15, v5
	v_min_u32_e32 v15, 32, v15
	s_delay_alu instid0(VALU_DEP_1) | instskip(SKIP_1) | instid1(VALU_DEP_2)
	v_subrev_nc_u32_e32 v16, 28, v15
	v_sub_nc_u32_e32 v15, 29, v15
	v_lshlrev_b64 v[16:17], v16, v[5:6]
	s_delay_alu instid0(VALU_DEP_1)
	v_and_b32_e32 v5, 7, v16
; %bb.336:                              ;   in Loop: Header=BB242_289 Depth=1
	s_or_b32 exec_lo, exec_lo, s16
	v_lshlrev_b32_e32 v16, 16, v43
	s_delay_alu instid0(VALU_DEP_2) | instskip(SKIP_1) | instid1(VALU_DEP_3)
	v_lshlrev_b32_e32 v5, 20, v5
	v_lshl_add_u32 v15, v15, 23, 0x3c000000
	v_and_b32_e32 v16, 0x80000000, v16
	s_delay_alu instid0(VALU_DEP_1)
	v_or3_b32 v16, v5, v16, v15
	v_mov_b32_e32 v15, v6
.LBB242_337:                            ;   in Loop: Header=BB242_289 Depth=1
	s_or_b32 exec_lo, exec_lo, s8
.LBB242_338:                            ;   in Loop: Header=BB242_289 Depth=1
	s_delay_alu instid0(SALU_CYCLE_1)
	s_or_b32 exec_lo, exec_lo, s14
.LBB242_339:                            ;   in Loop: Header=BB242_289 Depth=1
	s_delay_alu instid0(SALU_CYCLE_1) | instskip(SKIP_4) | instid1(VALU_DEP_2)
	s_or_b32 exec_lo, exec_lo, s13
	v_mov_b32_e32 v19, 0
	v_lshrrev_b32_e32 v44, 16, v43
	v_mov_b32_e32 v20, 0
	s_mov_b32 s8, exec_lo
	v_and_b32_e32 v5, 0xff, v44
	s_delay_alu instid0(VALU_DEP_2) | instskip(NEXT) | instid1(VALU_DEP_2)
	v_dual_mov_b32 v17, v19 :: v_dual_mov_b32 v18, v20
	v_cmpx_ne_u16_e32 0, v5
	s_cbranch_execz .LBB242_347
; %bb.340:                              ;   in Loop: Header=BB242_289 Depth=1
	v_bfrev_b32_e32 v17, 1
	v_mov_b32_e32 v18, 0
	s_mov_b32 s13, exec_lo
	v_cmpx_ne_u16_e32 0x80, v5
	s_cbranch_execz .LBB242_346
; %bb.341:                              ;   in Loop: Header=BB242_289 Depth=1
	v_mov_b32_e32 v17, 0x7f800001
	v_bfe_u32 v45, v43, 16, 7
	v_mov_b32_e32 v18, 0
	s_mov_b32 s14, exec_lo
	s_delay_alu instid0(VALU_DEP_2)
	v_cmpx_ne_u32_e32 0x7f, v45
	s_cbranch_execz .LBB242_345
; %bb.342:                              ;   in Loop: Header=BB242_289 Depth=1
	v_and_b32_e32 v5, 7, v44
	v_lshrrev_b32_e32 v17, 3, v45
	s_mov_b32 s16, exec_lo
	v_cmpx_gt_u32_e32 8, v45
; %bb.343:                              ;   in Loop: Header=BB242_289 Depth=1
	s_delay_alu instid0(VALU_DEP_3) | instskip(NEXT) | instid1(VALU_DEP_1)
	v_clz_i32_u32_e32 v17, v5
	v_min_u32_e32 v17, 32, v17
	s_delay_alu instid0(VALU_DEP_1) | instskip(SKIP_1) | instid1(VALU_DEP_2)
	v_subrev_nc_u32_e32 v18, 28, v17
	v_sub_nc_u32_e32 v17, 29, v17
	v_lshlrev_b64 v[45:46], v18, v[5:6]
	s_delay_alu instid0(VALU_DEP_1)
	v_and_b32_e32 v5, 7, v45
; %bb.344:                              ;   in Loop: Header=BB242_289 Depth=1
	s_or_b32 exec_lo, exec_lo, s16
	v_lshlrev_b32_e32 v18, 24, v44
	s_delay_alu instid0(VALU_DEP_2) | instskip(SKIP_1) | instid1(VALU_DEP_3)
	v_lshlrev_b32_e32 v5, 20, v5
	v_lshl_add_u32 v17, v17, 23, 0x3c000000
	v_and_b32_e32 v18, 0x80000000, v18
	s_delay_alu instid0(VALU_DEP_1) | instskip(NEXT) | instid1(VALU_DEP_1)
	v_or3_b32 v5, v5, v18, v17
	v_dual_mov_b32 v18, v6 :: v_dual_mov_b32 v17, v5
.LBB242_345:                            ;   in Loop: Header=BB242_289 Depth=1
	s_or_b32 exec_lo, exec_lo, s14
.LBB242_346:                            ;   in Loop: Header=BB242_289 Depth=1
	s_delay_alu instid0(SALU_CYCLE_1)
	s_or_b32 exec_lo, exec_lo, s13
.LBB242_347:                            ;   in Loop: Header=BB242_289 Depth=1
	s_delay_alu instid0(SALU_CYCLE_1) | instskip(NEXT) | instid1(SALU_CYCLE_1)
	s_or_b32 exec_lo, exec_lo, s8
	s_mov_b32 s13, exec_lo
	v_cmpx_lt_u32_e32 0xffffff, v43
	s_cbranch_execz .LBB242_355
; %bb.348:                              ;   in Loop: Header=BB242_289 Depth=1
	v_lshrrev_b32_e32 v44, 24, v43
	v_dual_mov_b32 v20, s5 :: v_dual_mov_b32 v19, s4
	s_mov_b32 s14, exec_lo
	s_delay_alu instid0(VALU_DEP_2)
	v_cmpx_ne_u32_e32 0x80, v44
	s_cbranch_execz .LBB242_354
; %bb.349:                              ;   in Loop: Header=BB242_289 Depth=1
	s_mov_b32 s8, s4
	v_bfe_u32 v43, v43, 24, 7
	v_dual_mov_b32 v20, s9 :: v_dual_mov_b32 v19, s8
	s_mov_b32 s8, exec_lo
	s_delay_alu instid0(VALU_DEP_2)
	v_cmpx_ne_u32_e32 0x7f, v43
	s_cbranch_execz .LBB242_353
; %bb.350:                              ;   in Loop: Header=BB242_289 Depth=1
	v_and_b32_e32 v5, 7, v44
	v_lshrrev_b32_e32 v19, 3, v43
	s_mov_b32 s16, exec_lo
	v_cmpx_gt_u32_e32 8, v43
; %bb.351:                              ;   in Loop: Header=BB242_289 Depth=1
	s_delay_alu instid0(VALU_DEP_3) | instskip(NEXT) | instid1(VALU_DEP_1)
	v_clz_i32_u32_e32 v19, v5
	v_min_u32_e32 v19, 32, v19
	s_delay_alu instid0(VALU_DEP_1) | instskip(SKIP_1) | instid1(VALU_DEP_2)
	v_subrev_nc_u32_e32 v20, 28, v19
	v_sub_nc_u32_e32 v19, 29, v19
	v_lshlrev_b64 v[45:46], v20, v[5:6]
	s_delay_alu instid0(VALU_DEP_1)
	v_and_b32_e32 v5, 7, v45
; %bb.352:                              ;   in Loop: Header=BB242_289 Depth=1
	s_or_b32 exec_lo, exec_lo, s16
	v_lshlrev_b32_e32 v20, 24, v44
	s_delay_alu instid0(VALU_DEP_2) | instskip(SKIP_1) | instid1(VALU_DEP_3)
	v_lshlrev_b32_e32 v5, 20, v5
	v_lshl_add_u32 v19, v19, 23, 0x3c000000
	v_and_b32_e32 v20, 0x80000000, v20
	s_delay_alu instid0(VALU_DEP_1)
	v_or3_b32 v20, v5, v20, v19
	v_mov_b32_e32 v19, v6
.LBB242_353:                            ;   in Loop: Header=BB242_289 Depth=1
	s_or_b32 exec_lo, exec_lo, s8
.LBB242_354:                            ;   in Loop: Header=BB242_289 Depth=1
	s_delay_alu instid0(SALU_CYCLE_1)
	s_or_b32 exec_lo, exec_lo, s14
.LBB242_355:                            ;   in Loop: Header=BB242_289 Depth=1
	s_delay_alu instid0(SALU_CYCLE_1) | instskip(SKIP_4) | instid1(VALU_DEP_4)
	s_or_b32 exec_lo, exec_lo, s13
	v_or_b32_e32 v5, v16, v14
	v_or_b32_e32 v13, v15, v13
	;; [unrolled: 1-line block ×4, first 2 shown]
	v_mul_f32_e32 v46, s10, v5
	s_delay_alu instid0(VALU_DEP_4) | instskip(NEXT) | instid1(VALU_DEP_3)
	v_mul_f32_e32 v45, s3, v13
	v_dual_mul_f32 v43, s10, v14 :: v_dual_mul_f32 v44, s3, v15
	s_and_saveexec_b32 s8, vcc_lo
; %bb.356:                              ;   in Loop: Header=BB242_289 Depth=1
	v_cmp_gt_i32_e64 s0, s33, v40
	s_delay_alu instid0(VALU_DEP_1) | instskip(SKIP_1) | instid1(VALU_DEP_1)
	v_cndmask_b32_e64 v45, 0, v45, s0
	v_cmp_gt_i32_e64 s0, s33, v42
	v_cndmask_b32_e64 v46, 0, v46, s0
	v_cmp_gt_i32_e64 s0, s33, v41
	s_delay_alu instid0(VALU_DEP_1) | instskip(SKIP_1) | instid1(VALU_DEP_1)
	v_cndmask_b32_e64 v44, 0, v44, s0
	v_cmp_gt_i32_e64 s0, s33, v34
	v_cndmask_b32_e64 v43, 0, v43, s0
; %bb.357:                              ;   in Loop: Header=BB242_289 Depth=1
	s_or_b32 exec_lo, exec_lo, s8
	global_load_b32 v47, v[11:12], off offset:256
	v_mov_b32_e32 v15, 0
	v_mov_b32_e32 v16, 0
	s_mov_b32 s8, exec_lo
	s_waitcnt vmcnt(0)
	v_and_b32_e32 v5, 0xff, v47
	s_delay_alu instid0(VALU_DEP_2) | instskip(NEXT) | instid1(VALU_DEP_2)
	v_dual_mov_b32 v13, v15 :: v_dual_mov_b32 v14, v16
	v_cmpx_ne_u16_e32 0, v5
	s_cbranch_execz .LBB242_365
; %bb.358:                              ;   in Loop: Header=BB242_289 Depth=1
	v_bfrev_b32_e32 v13, 1
	v_mov_b32_e32 v14, 0
	s_mov_b32 s13, exec_lo
	v_cmpx_ne_u16_e32 0x80, v5
	s_cbranch_execz .LBB242_364
; %bb.359:                              ;   in Loop: Header=BB242_289 Depth=1
	v_mov_b32_e32 v13, 0x7f800001
	v_dual_mov_b32 v14, 0 :: v_dual_and_b32 v17, 0x7f, v47
	s_mov_b32 s14, exec_lo
	s_delay_alu instid0(VALU_DEP_1)
	v_cmpx_ne_u32_e32 0x7f, v17
	s_cbranch_execz .LBB242_363
; %bb.360:                              ;   in Loop: Header=BB242_289 Depth=1
	v_and_b32_e32 v5, 7, v47
	v_lshrrev_b32_e32 v13, 3, v17
	s_mov_b32 s16, exec_lo
	v_cmpx_gt_u32_e32 8, v17
; %bb.361:                              ;   in Loop: Header=BB242_289 Depth=1
	s_delay_alu instid0(VALU_DEP_3) | instskip(NEXT) | instid1(VALU_DEP_1)
	v_clz_i32_u32_e32 v13, v5
	v_min_u32_e32 v13, 32, v13
	s_delay_alu instid0(VALU_DEP_1) | instskip(SKIP_1) | instid1(VALU_DEP_2)
	v_subrev_nc_u32_e32 v14, 28, v13
	v_sub_nc_u32_e32 v13, 29, v13
	v_lshlrev_b64 v[17:18], v14, v[5:6]
	s_delay_alu instid0(VALU_DEP_1)
	v_and_b32_e32 v5, 7, v17
; %bb.362:                              ;   in Loop: Header=BB242_289 Depth=1
	s_or_b32 exec_lo, exec_lo, s16
	v_lshlrev_b32_e32 v14, 24, v47
	s_delay_alu instid0(VALU_DEP_2) | instskip(SKIP_1) | instid1(VALU_DEP_3)
	v_lshlrev_b32_e32 v5, 20, v5
	v_lshl_add_u32 v13, v13, 23, 0x3c000000
	v_and_b32_e32 v14, 0x80000000, v14
	s_delay_alu instid0(VALU_DEP_1) | instskip(NEXT) | instid1(VALU_DEP_1)
	v_or3_b32 v5, v5, v14, v13
	v_dual_mov_b32 v14, v6 :: v_dual_mov_b32 v13, v5
.LBB242_363:                            ;   in Loop: Header=BB242_289 Depth=1
	s_or_b32 exec_lo, exec_lo, s14
.LBB242_364:                            ;   in Loop: Header=BB242_289 Depth=1
	s_delay_alu instid0(SALU_CYCLE_1)
	s_or_b32 exec_lo, exec_lo, s13
.LBB242_365:                            ;   in Loop: Header=BB242_289 Depth=1
	s_delay_alu instid0(SALU_CYCLE_1) | instskip(SKIP_2) | instid1(VALU_DEP_1)
	s_or_b32 exec_lo, exec_lo, s8
	v_lshrrev_b16 v5, 8, v47
	s_mov_b32 s13, exec_lo
	v_cmpx_ne_u16_e32 0, v5
	s_cbranch_execz .LBB242_373
; %bb.366:                              ;   in Loop: Header=BB242_289 Depth=1
	v_dual_mov_b32 v16, s5 :: v_dual_mov_b32 v15, s4
	s_mov_b32 s14, exec_lo
	v_cmpx_ne_u16_e32 0x80, v5
	s_cbranch_execz .LBB242_372
; %bb.367:                              ;   in Loop: Header=BB242_289 Depth=1
	s_mov_b32 s8, s4
	v_dual_mov_b32 v16, s9 :: v_dual_and_b32 v5, 0xffff, v5
	v_mov_b32_e32 v15, s8
	s_mov_b32 s8, exec_lo
	s_delay_alu instid0(VALU_DEP_2) | instskip(NEXT) | instid1(VALU_DEP_1)
	v_and_b32_e32 v17, 0x7f, v5
	v_cmpx_ne_u32_e32 0x7f, v17
	s_cbranch_execz .LBB242_371
; %bb.368:                              ;   in Loop: Header=BB242_289 Depth=1
	v_and_b32_e32 v5, 7, v5
	v_lshrrev_b32_e32 v15, 3, v17
	s_mov_b32 s16, exec_lo
	v_cmpx_gt_u32_e32 8, v17
; %bb.369:                              ;   in Loop: Header=BB242_289 Depth=1
	s_delay_alu instid0(VALU_DEP_3) | instskip(NEXT) | instid1(VALU_DEP_1)
	v_clz_i32_u32_e32 v15, v5
	v_min_u32_e32 v15, 32, v15
	s_delay_alu instid0(VALU_DEP_1) | instskip(SKIP_1) | instid1(VALU_DEP_2)
	v_subrev_nc_u32_e32 v16, 28, v15
	v_sub_nc_u32_e32 v15, 29, v15
	v_lshlrev_b64 v[16:17], v16, v[5:6]
	s_delay_alu instid0(VALU_DEP_1)
	v_and_b32_e32 v5, 7, v16
; %bb.370:                              ;   in Loop: Header=BB242_289 Depth=1
	s_or_b32 exec_lo, exec_lo, s16
	v_lshlrev_b32_e32 v16, 16, v47
	s_delay_alu instid0(VALU_DEP_2) | instskip(SKIP_1) | instid1(VALU_DEP_3)
	v_lshlrev_b32_e32 v5, 20, v5
	v_lshl_add_u32 v15, v15, 23, 0x3c000000
	v_and_b32_e32 v16, 0x80000000, v16
	s_delay_alu instid0(VALU_DEP_1)
	v_or3_b32 v16, v5, v16, v15
	v_mov_b32_e32 v15, v6
.LBB242_371:                            ;   in Loop: Header=BB242_289 Depth=1
	s_or_b32 exec_lo, exec_lo, s8
.LBB242_372:                            ;   in Loop: Header=BB242_289 Depth=1
	s_delay_alu instid0(SALU_CYCLE_1)
	s_or_b32 exec_lo, exec_lo, s14
.LBB242_373:                            ;   in Loop: Header=BB242_289 Depth=1
	s_delay_alu instid0(SALU_CYCLE_1) | instskip(SKIP_4) | instid1(VALU_DEP_2)
	s_or_b32 exec_lo, exec_lo, s13
	v_mov_b32_e32 v19, 0
	v_lshrrev_b32_e32 v48, 16, v47
	v_mov_b32_e32 v20, 0
	s_mov_b32 s8, exec_lo
	v_and_b32_e32 v5, 0xff, v48
	s_delay_alu instid0(VALU_DEP_2) | instskip(NEXT) | instid1(VALU_DEP_2)
	v_dual_mov_b32 v17, v19 :: v_dual_mov_b32 v18, v20
	v_cmpx_ne_u16_e32 0, v5
	s_cbranch_execz .LBB242_381
; %bb.374:                              ;   in Loop: Header=BB242_289 Depth=1
	v_bfrev_b32_e32 v17, 1
	v_mov_b32_e32 v18, 0
	s_mov_b32 s13, exec_lo
	v_cmpx_ne_u16_e32 0x80, v5
	s_cbranch_execz .LBB242_380
; %bb.375:                              ;   in Loop: Header=BB242_289 Depth=1
	v_mov_b32_e32 v17, 0x7f800001
	v_bfe_u32 v49, v47, 16, 7
	v_mov_b32_e32 v18, 0
	s_mov_b32 s14, exec_lo
	s_delay_alu instid0(VALU_DEP_2)
	v_cmpx_ne_u32_e32 0x7f, v49
	s_cbranch_execz .LBB242_379
; %bb.376:                              ;   in Loop: Header=BB242_289 Depth=1
	v_and_b32_e32 v5, 7, v48
	v_lshrrev_b32_e32 v17, 3, v49
	s_mov_b32 s16, exec_lo
	v_cmpx_gt_u32_e32 8, v49
; %bb.377:                              ;   in Loop: Header=BB242_289 Depth=1
	s_delay_alu instid0(VALU_DEP_3) | instskip(NEXT) | instid1(VALU_DEP_1)
	v_clz_i32_u32_e32 v17, v5
	v_min_u32_e32 v17, 32, v17
	s_delay_alu instid0(VALU_DEP_1) | instskip(SKIP_1) | instid1(VALU_DEP_2)
	v_subrev_nc_u32_e32 v18, 28, v17
	v_sub_nc_u32_e32 v17, 29, v17
	v_lshlrev_b64 v[49:50], v18, v[5:6]
	s_delay_alu instid0(VALU_DEP_1)
	v_and_b32_e32 v5, 7, v49
; %bb.378:                              ;   in Loop: Header=BB242_289 Depth=1
	s_or_b32 exec_lo, exec_lo, s16
	v_lshlrev_b32_e32 v18, 24, v48
	s_delay_alu instid0(VALU_DEP_2) | instskip(SKIP_1) | instid1(VALU_DEP_3)
	v_lshlrev_b32_e32 v5, 20, v5
	v_lshl_add_u32 v17, v17, 23, 0x3c000000
	v_and_b32_e32 v18, 0x80000000, v18
	s_delay_alu instid0(VALU_DEP_1) | instskip(NEXT) | instid1(VALU_DEP_1)
	v_or3_b32 v5, v5, v18, v17
	v_dual_mov_b32 v18, v6 :: v_dual_mov_b32 v17, v5
.LBB242_379:                            ;   in Loop: Header=BB242_289 Depth=1
	s_or_b32 exec_lo, exec_lo, s14
.LBB242_380:                            ;   in Loop: Header=BB242_289 Depth=1
	s_delay_alu instid0(SALU_CYCLE_1)
	s_or_b32 exec_lo, exec_lo, s13
.LBB242_381:                            ;   in Loop: Header=BB242_289 Depth=1
	s_delay_alu instid0(SALU_CYCLE_1) | instskip(NEXT) | instid1(SALU_CYCLE_1)
	s_or_b32 exec_lo, exec_lo, s8
	s_mov_b32 s13, exec_lo
	v_cmpx_lt_u32_e32 0xffffff, v47
	s_cbranch_execz .LBB242_389
; %bb.382:                              ;   in Loop: Header=BB242_289 Depth=1
	v_lshrrev_b32_e32 v48, 24, v47
	v_dual_mov_b32 v20, s5 :: v_dual_mov_b32 v19, s4
	s_mov_b32 s14, exec_lo
	s_delay_alu instid0(VALU_DEP_2)
	v_cmpx_ne_u32_e32 0x80, v48
	s_cbranch_execz .LBB242_388
; %bb.383:                              ;   in Loop: Header=BB242_289 Depth=1
	s_mov_b32 s8, s4
	v_bfe_u32 v47, v47, 24, 7
	v_dual_mov_b32 v20, s9 :: v_dual_mov_b32 v19, s8
	s_mov_b32 s8, exec_lo
	s_delay_alu instid0(VALU_DEP_2)
	v_cmpx_ne_u32_e32 0x7f, v47
	s_cbranch_execz .LBB242_387
; %bb.384:                              ;   in Loop: Header=BB242_289 Depth=1
	v_and_b32_e32 v5, 7, v48
	v_lshrrev_b32_e32 v19, 3, v47
	s_mov_b32 s16, exec_lo
	v_cmpx_gt_u32_e32 8, v47
; %bb.385:                              ;   in Loop: Header=BB242_289 Depth=1
	s_delay_alu instid0(VALU_DEP_3) | instskip(NEXT) | instid1(VALU_DEP_1)
	v_clz_i32_u32_e32 v19, v5
	v_min_u32_e32 v19, 32, v19
	s_delay_alu instid0(VALU_DEP_1) | instskip(SKIP_1) | instid1(VALU_DEP_2)
	v_subrev_nc_u32_e32 v20, 28, v19
	v_sub_nc_u32_e32 v19, 29, v19
	v_lshlrev_b64 v[49:50], v20, v[5:6]
	s_delay_alu instid0(VALU_DEP_1)
	v_and_b32_e32 v5, 7, v49
; %bb.386:                              ;   in Loop: Header=BB242_289 Depth=1
	s_or_b32 exec_lo, exec_lo, s16
	v_lshlrev_b32_e32 v20, 24, v48
	s_delay_alu instid0(VALU_DEP_2) | instskip(SKIP_1) | instid1(VALU_DEP_3)
	v_lshlrev_b32_e32 v5, 20, v5
	v_lshl_add_u32 v19, v19, 23, 0x3c000000
	v_and_b32_e32 v20, 0x80000000, v20
	s_delay_alu instid0(VALU_DEP_1)
	v_or3_b32 v20, v5, v20, v19
	v_mov_b32_e32 v19, v6
.LBB242_387:                            ;   in Loop: Header=BB242_289 Depth=1
	s_or_b32 exec_lo, exec_lo, s8
.LBB242_388:                            ;   in Loop: Header=BB242_289 Depth=1
	s_delay_alu instid0(SALU_CYCLE_1)
	s_or_b32 exec_lo, exec_lo, s14
.LBB242_389:                            ;   in Loop: Header=BB242_289 Depth=1
	s_delay_alu instid0(SALU_CYCLE_1) | instskip(SKIP_4) | instid1(VALU_DEP_4)
	s_or_b32 exec_lo, exec_lo, s13
	v_or_b32_e32 v5, v16, v14
	v_or_b32_e32 v13, v15, v13
	;; [unrolled: 1-line block ×4, first 2 shown]
	v_mul_f32_e32 v50, s10, v5
	s_delay_alu instid0(VALU_DEP_4) | instskip(NEXT) | instid1(VALU_DEP_3)
	v_mul_f32_e32 v49, s3, v13
	v_dual_mul_f32 v47, s10, v14 :: v_dual_mul_f32 v48, s3, v15
	s_and_saveexec_b32 s8, vcc_lo
; %bb.390:                              ;   in Loop: Header=BB242_289 Depth=1
	v_cmp_gt_i32_e64 s0, s33, v40
	s_delay_alu instid0(VALU_DEP_1) | instskip(SKIP_1) | instid1(VALU_DEP_1)
	v_cndmask_b32_e64 v49, 0, v49, s0
	v_cmp_gt_i32_e64 s0, s33, v42
	v_cndmask_b32_e64 v50, 0, v50, s0
	v_cmp_gt_i32_e64 s0, s33, v41
	s_delay_alu instid0(VALU_DEP_1) | instskip(SKIP_1) | instid1(VALU_DEP_1)
	v_cndmask_b32_e64 v48, 0, v48, s0
	v_cmp_gt_i32_e64 s0, s33, v34
	v_cndmask_b32_e64 v47, 0, v47, s0
; %bb.391:                              ;   in Loop: Header=BB242_289 Depth=1
	s_or_b32 exec_lo, exec_lo, s8
	global_load_b32 v51, v[11:12], off offset:384
	v_mov_b32_e32 v15, 0
	v_mov_b32_e32 v16, 0
	s_mov_b32 s8, exec_lo
	s_waitcnt vmcnt(0)
	v_and_b32_e32 v5, 0xff, v51
	s_delay_alu instid0(VALU_DEP_2) | instskip(NEXT) | instid1(VALU_DEP_2)
	v_dual_mov_b32 v13, v15 :: v_dual_mov_b32 v14, v16
	v_cmpx_ne_u16_e32 0, v5
	s_cbranch_execz .LBB242_399
; %bb.392:                              ;   in Loop: Header=BB242_289 Depth=1
	v_bfrev_b32_e32 v13, 1
	v_mov_b32_e32 v14, 0
	s_mov_b32 s13, exec_lo
	v_cmpx_ne_u16_e32 0x80, v5
	s_cbranch_execz .LBB242_398
; %bb.393:                              ;   in Loop: Header=BB242_289 Depth=1
	v_mov_b32_e32 v13, 0x7f800001
	v_dual_mov_b32 v14, 0 :: v_dual_and_b32 v17, 0x7f, v51
	s_mov_b32 s14, exec_lo
	s_delay_alu instid0(VALU_DEP_1)
	v_cmpx_ne_u32_e32 0x7f, v17
	s_cbranch_execz .LBB242_397
; %bb.394:                              ;   in Loop: Header=BB242_289 Depth=1
	v_and_b32_e32 v5, 7, v51
	v_lshrrev_b32_e32 v13, 3, v17
	s_mov_b32 s16, exec_lo
	v_cmpx_gt_u32_e32 8, v17
; %bb.395:                              ;   in Loop: Header=BB242_289 Depth=1
	s_delay_alu instid0(VALU_DEP_3) | instskip(NEXT) | instid1(VALU_DEP_1)
	v_clz_i32_u32_e32 v13, v5
	v_min_u32_e32 v13, 32, v13
	s_delay_alu instid0(VALU_DEP_1) | instskip(SKIP_1) | instid1(VALU_DEP_2)
	v_subrev_nc_u32_e32 v14, 28, v13
	v_sub_nc_u32_e32 v13, 29, v13
	v_lshlrev_b64 v[17:18], v14, v[5:6]
	s_delay_alu instid0(VALU_DEP_1)
	v_and_b32_e32 v5, 7, v17
; %bb.396:                              ;   in Loop: Header=BB242_289 Depth=1
	s_or_b32 exec_lo, exec_lo, s16
	v_lshlrev_b32_e32 v14, 24, v51
	s_delay_alu instid0(VALU_DEP_2) | instskip(SKIP_1) | instid1(VALU_DEP_3)
	v_lshlrev_b32_e32 v5, 20, v5
	v_lshl_add_u32 v13, v13, 23, 0x3c000000
	v_and_b32_e32 v14, 0x80000000, v14
	s_delay_alu instid0(VALU_DEP_1) | instskip(NEXT) | instid1(VALU_DEP_1)
	v_or3_b32 v5, v5, v14, v13
	v_dual_mov_b32 v14, v6 :: v_dual_mov_b32 v13, v5
.LBB242_397:                            ;   in Loop: Header=BB242_289 Depth=1
	s_or_b32 exec_lo, exec_lo, s14
.LBB242_398:                            ;   in Loop: Header=BB242_289 Depth=1
	s_delay_alu instid0(SALU_CYCLE_1)
	s_or_b32 exec_lo, exec_lo, s13
.LBB242_399:                            ;   in Loop: Header=BB242_289 Depth=1
	s_delay_alu instid0(SALU_CYCLE_1) | instskip(SKIP_2) | instid1(VALU_DEP_1)
	s_or_b32 exec_lo, exec_lo, s8
	v_lshrrev_b16 v5, 8, v51
	s_mov_b32 s13, exec_lo
	v_cmpx_ne_u16_e32 0, v5
	s_cbranch_execz .LBB242_407
; %bb.400:                              ;   in Loop: Header=BB242_289 Depth=1
	v_dual_mov_b32 v16, s5 :: v_dual_mov_b32 v15, s4
	s_mov_b32 s14, exec_lo
	v_cmpx_ne_u16_e32 0x80, v5
	s_cbranch_execz .LBB242_406
; %bb.401:                              ;   in Loop: Header=BB242_289 Depth=1
	s_mov_b32 s8, s4
	v_dual_mov_b32 v16, s9 :: v_dual_and_b32 v5, 0xffff, v5
	v_mov_b32_e32 v15, s8
	s_mov_b32 s8, exec_lo
	s_delay_alu instid0(VALU_DEP_2) | instskip(NEXT) | instid1(VALU_DEP_1)
	v_and_b32_e32 v17, 0x7f, v5
	v_cmpx_ne_u32_e32 0x7f, v17
	s_cbranch_execz .LBB242_405
; %bb.402:                              ;   in Loop: Header=BB242_289 Depth=1
	v_and_b32_e32 v5, 7, v5
	v_lshrrev_b32_e32 v15, 3, v17
	s_mov_b32 s16, exec_lo
	v_cmpx_gt_u32_e32 8, v17
; %bb.403:                              ;   in Loop: Header=BB242_289 Depth=1
	s_delay_alu instid0(VALU_DEP_3) | instskip(NEXT) | instid1(VALU_DEP_1)
	v_clz_i32_u32_e32 v15, v5
	v_min_u32_e32 v15, 32, v15
	s_delay_alu instid0(VALU_DEP_1) | instskip(SKIP_1) | instid1(VALU_DEP_2)
	v_subrev_nc_u32_e32 v16, 28, v15
	v_sub_nc_u32_e32 v15, 29, v15
	v_lshlrev_b64 v[16:17], v16, v[5:6]
	s_delay_alu instid0(VALU_DEP_1)
	v_and_b32_e32 v5, 7, v16
; %bb.404:                              ;   in Loop: Header=BB242_289 Depth=1
	s_or_b32 exec_lo, exec_lo, s16
	v_lshlrev_b32_e32 v16, 16, v51
	s_delay_alu instid0(VALU_DEP_2) | instskip(SKIP_1) | instid1(VALU_DEP_3)
	v_lshlrev_b32_e32 v5, 20, v5
	v_lshl_add_u32 v15, v15, 23, 0x3c000000
	v_and_b32_e32 v16, 0x80000000, v16
	s_delay_alu instid0(VALU_DEP_1)
	v_or3_b32 v16, v5, v16, v15
	v_mov_b32_e32 v15, v6
.LBB242_405:                            ;   in Loop: Header=BB242_289 Depth=1
	s_or_b32 exec_lo, exec_lo, s8
.LBB242_406:                            ;   in Loop: Header=BB242_289 Depth=1
	s_delay_alu instid0(SALU_CYCLE_1)
	s_or_b32 exec_lo, exec_lo, s14
.LBB242_407:                            ;   in Loop: Header=BB242_289 Depth=1
	s_delay_alu instid0(SALU_CYCLE_1) | instskip(SKIP_4) | instid1(VALU_DEP_2)
	s_or_b32 exec_lo, exec_lo, s13
	v_mov_b32_e32 v19, 0
	v_lshrrev_b32_e32 v52, 16, v51
	v_mov_b32_e32 v20, 0
	s_mov_b32 s8, exec_lo
	v_and_b32_e32 v5, 0xff, v52
	s_delay_alu instid0(VALU_DEP_2) | instskip(NEXT) | instid1(VALU_DEP_2)
	v_dual_mov_b32 v17, v19 :: v_dual_mov_b32 v18, v20
	v_cmpx_ne_u16_e32 0, v5
	s_cbranch_execz .LBB242_415
; %bb.408:                              ;   in Loop: Header=BB242_289 Depth=1
	v_bfrev_b32_e32 v17, 1
	v_mov_b32_e32 v18, 0
	s_mov_b32 s13, exec_lo
	v_cmpx_ne_u16_e32 0x80, v5
	s_cbranch_execz .LBB242_414
; %bb.409:                              ;   in Loop: Header=BB242_289 Depth=1
	v_mov_b32_e32 v17, 0x7f800001
	v_bfe_u32 v53, v51, 16, 7
	v_mov_b32_e32 v18, 0
	s_mov_b32 s14, exec_lo
	s_delay_alu instid0(VALU_DEP_2)
	v_cmpx_ne_u32_e32 0x7f, v53
	s_cbranch_execz .LBB242_413
; %bb.410:                              ;   in Loop: Header=BB242_289 Depth=1
	v_and_b32_e32 v5, 7, v52
	v_lshrrev_b32_e32 v17, 3, v53
	s_mov_b32 s16, exec_lo
	v_cmpx_gt_u32_e32 8, v53
; %bb.411:                              ;   in Loop: Header=BB242_289 Depth=1
	s_delay_alu instid0(VALU_DEP_3) | instskip(NEXT) | instid1(VALU_DEP_1)
	v_clz_i32_u32_e32 v17, v5
	v_min_u32_e32 v17, 32, v17
	s_delay_alu instid0(VALU_DEP_1) | instskip(SKIP_1) | instid1(VALU_DEP_2)
	v_subrev_nc_u32_e32 v18, 28, v17
	v_sub_nc_u32_e32 v17, 29, v17
	v_lshlrev_b64 v[53:54], v18, v[5:6]
	s_delay_alu instid0(VALU_DEP_1)
	v_and_b32_e32 v5, 7, v53
; %bb.412:                              ;   in Loop: Header=BB242_289 Depth=1
	s_or_b32 exec_lo, exec_lo, s16
	v_lshlrev_b32_e32 v18, 24, v52
	s_delay_alu instid0(VALU_DEP_2) | instskip(SKIP_1) | instid1(VALU_DEP_3)
	v_lshlrev_b32_e32 v5, 20, v5
	v_lshl_add_u32 v17, v17, 23, 0x3c000000
	v_and_b32_e32 v18, 0x80000000, v18
	s_delay_alu instid0(VALU_DEP_1) | instskip(NEXT) | instid1(VALU_DEP_1)
	v_or3_b32 v5, v5, v18, v17
	v_dual_mov_b32 v18, v6 :: v_dual_mov_b32 v17, v5
.LBB242_413:                            ;   in Loop: Header=BB242_289 Depth=1
	s_or_b32 exec_lo, exec_lo, s14
.LBB242_414:                            ;   in Loop: Header=BB242_289 Depth=1
	s_delay_alu instid0(SALU_CYCLE_1)
	s_or_b32 exec_lo, exec_lo, s13
.LBB242_415:                            ;   in Loop: Header=BB242_289 Depth=1
	s_delay_alu instid0(SALU_CYCLE_1) | instskip(NEXT) | instid1(SALU_CYCLE_1)
	s_or_b32 exec_lo, exec_lo, s8
	s_mov_b32 s13, exec_lo
	v_cmpx_lt_u32_e32 0xffffff, v51
	s_cbranch_execz .LBB242_423
; %bb.416:                              ;   in Loop: Header=BB242_289 Depth=1
	v_lshrrev_b32_e32 v52, 24, v51
	v_dual_mov_b32 v20, s5 :: v_dual_mov_b32 v19, s4
	s_mov_b32 s14, exec_lo
	s_delay_alu instid0(VALU_DEP_2)
	v_cmpx_ne_u32_e32 0x80, v52
	s_cbranch_execz .LBB242_422
; %bb.417:                              ;   in Loop: Header=BB242_289 Depth=1
	s_mov_b32 s8, s4
	v_bfe_u32 v51, v51, 24, 7
	v_dual_mov_b32 v20, s9 :: v_dual_mov_b32 v19, s8
	s_mov_b32 s8, exec_lo
	s_delay_alu instid0(VALU_DEP_2)
	v_cmpx_ne_u32_e32 0x7f, v51
	s_cbranch_execz .LBB242_421
; %bb.418:                              ;   in Loop: Header=BB242_289 Depth=1
	v_and_b32_e32 v5, 7, v52
	v_lshrrev_b32_e32 v19, 3, v51
	s_mov_b32 s16, exec_lo
	v_cmpx_gt_u32_e32 8, v51
; %bb.419:                              ;   in Loop: Header=BB242_289 Depth=1
	s_delay_alu instid0(VALU_DEP_3) | instskip(NEXT) | instid1(VALU_DEP_1)
	v_clz_i32_u32_e32 v19, v5
	v_min_u32_e32 v19, 32, v19
	s_delay_alu instid0(VALU_DEP_1) | instskip(SKIP_1) | instid1(VALU_DEP_2)
	v_subrev_nc_u32_e32 v20, 28, v19
	v_sub_nc_u32_e32 v19, 29, v19
	v_lshlrev_b64 v[53:54], v20, v[5:6]
	s_delay_alu instid0(VALU_DEP_1)
	v_and_b32_e32 v5, 7, v53
; %bb.420:                              ;   in Loop: Header=BB242_289 Depth=1
	s_or_b32 exec_lo, exec_lo, s16
	v_lshlrev_b32_e32 v20, 24, v52
	s_delay_alu instid0(VALU_DEP_2) | instskip(SKIP_1) | instid1(VALU_DEP_3)
	v_lshlrev_b32_e32 v5, 20, v5
	v_lshl_add_u32 v19, v19, 23, 0x3c000000
	v_and_b32_e32 v20, 0x80000000, v20
	s_delay_alu instid0(VALU_DEP_1)
	v_or3_b32 v20, v5, v20, v19
	v_mov_b32_e32 v19, v6
.LBB242_421:                            ;   in Loop: Header=BB242_289 Depth=1
	s_or_b32 exec_lo, exec_lo, s8
.LBB242_422:                            ;   in Loop: Header=BB242_289 Depth=1
	s_delay_alu instid0(SALU_CYCLE_1)
	s_or_b32 exec_lo, exec_lo, s14
.LBB242_423:                            ;   in Loop: Header=BB242_289 Depth=1
	s_delay_alu instid0(SALU_CYCLE_1) | instskip(SKIP_4) | instid1(VALU_DEP_4)
	s_or_b32 exec_lo, exec_lo, s13
	v_or_b32_e32 v5, v16, v14
	v_or_b32_e32 v13, v15, v13
	;; [unrolled: 1-line block ×4, first 2 shown]
	v_mul_f32_e32 v54, s10, v5
	s_delay_alu instid0(VALU_DEP_4) | instskip(NEXT) | instid1(VALU_DEP_3)
	v_mul_f32_e32 v53, s3, v13
	v_dual_mul_f32 v51, s10, v14 :: v_dual_mul_f32 v52, s3, v15
	s_and_saveexec_b32 s8, vcc_lo
; %bb.424:                              ;   in Loop: Header=BB242_289 Depth=1
	v_cmp_gt_i32_e64 s0, s33, v40
	s_delay_alu instid0(VALU_DEP_1) | instskip(SKIP_1) | instid1(VALU_DEP_1)
	v_cndmask_b32_e64 v53, 0, v53, s0
	v_cmp_gt_i32_e64 s0, s33, v42
	v_cndmask_b32_e64 v54, 0, v54, s0
	v_cmp_gt_i32_e64 s0, s33, v41
	s_delay_alu instid0(VALU_DEP_1) | instskip(SKIP_1) | instid1(VALU_DEP_1)
	v_cndmask_b32_e64 v52, 0, v52, s0
	v_cmp_gt_i32_e64 s0, s33, v34
	v_cndmask_b32_e64 v51, 0, v51, s0
; %bb.425:                              ;   in Loop: Header=BB242_289 Depth=1
	s_or_b32 exec_lo, exec_lo, s8
	global_load_b32 v55, v[11:12], off offset:512
	v_mov_b32_e32 v15, 0
	v_mov_b32_e32 v16, 0
	s_mov_b32 s8, exec_lo
	s_waitcnt vmcnt(0)
	v_and_b32_e32 v5, 0xff, v55
	s_delay_alu instid0(VALU_DEP_2) | instskip(NEXT) | instid1(VALU_DEP_2)
	v_dual_mov_b32 v13, v15 :: v_dual_mov_b32 v14, v16
	v_cmpx_ne_u16_e32 0, v5
	s_cbranch_execz .LBB242_433
; %bb.426:                              ;   in Loop: Header=BB242_289 Depth=1
	v_bfrev_b32_e32 v13, 1
	v_mov_b32_e32 v14, 0
	s_mov_b32 s13, exec_lo
	v_cmpx_ne_u16_e32 0x80, v5
	s_cbranch_execz .LBB242_432
; %bb.427:                              ;   in Loop: Header=BB242_289 Depth=1
	v_mov_b32_e32 v13, 0x7f800001
	v_dual_mov_b32 v14, 0 :: v_dual_and_b32 v17, 0x7f, v55
	s_mov_b32 s14, exec_lo
	s_delay_alu instid0(VALU_DEP_1)
	v_cmpx_ne_u32_e32 0x7f, v17
	s_cbranch_execz .LBB242_431
; %bb.428:                              ;   in Loop: Header=BB242_289 Depth=1
	v_and_b32_e32 v5, 7, v55
	v_lshrrev_b32_e32 v13, 3, v17
	s_mov_b32 s16, exec_lo
	v_cmpx_gt_u32_e32 8, v17
; %bb.429:                              ;   in Loop: Header=BB242_289 Depth=1
	s_delay_alu instid0(VALU_DEP_3) | instskip(NEXT) | instid1(VALU_DEP_1)
	v_clz_i32_u32_e32 v13, v5
	v_min_u32_e32 v13, 32, v13
	s_delay_alu instid0(VALU_DEP_1) | instskip(SKIP_1) | instid1(VALU_DEP_2)
	v_subrev_nc_u32_e32 v14, 28, v13
	v_sub_nc_u32_e32 v13, 29, v13
	v_lshlrev_b64 v[17:18], v14, v[5:6]
	s_delay_alu instid0(VALU_DEP_1)
	v_and_b32_e32 v5, 7, v17
; %bb.430:                              ;   in Loop: Header=BB242_289 Depth=1
	s_or_b32 exec_lo, exec_lo, s16
	v_lshlrev_b32_e32 v14, 24, v55
	s_delay_alu instid0(VALU_DEP_2) | instskip(SKIP_1) | instid1(VALU_DEP_3)
	v_lshlrev_b32_e32 v5, 20, v5
	v_lshl_add_u32 v13, v13, 23, 0x3c000000
	v_and_b32_e32 v14, 0x80000000, v14
	s_delay_alu instid0(VALU_DEP_1) | instskip(NEXT) | instid1(VALU_DEP_1)
	v_or3_b32 v5, v5, v14, v13
	v_dual_mov_b32 v14, v6 :: v_dual_mov_b32 v13, v5
.LBB242_431:                            ;   in Loop: Header=BB242_289 Depth=1
	s_or_b32 exec_lo, exec_lo, s14
.LBB242_432:                            ;   in Loop: Header=BB242_289 Depth=1
	s_delay_alu instid0(SALU_CYCLE_1)
	s_or_b32 exec_lo, exec_lo, s13
.LBB242_433:                            ;   in Loop: Header=BB242_289 Depth=1
	s_delay_alu instid0(SALU_CYCLE_1) | instskip(SKIP_2) | instid1(VALU_DEP_1)
	s_or_b32 exec_lo, exec_lo, s8
	v_lshrrev_b16 v5, 8, v55
	s_mov_b32 s13, exec_lo
	v_cmpx_ne_u16_e32 0, v5
	s_cbranch_execz .LBB242_441
; %bb.434:                              ;   in Loop: Header=BB242_289 Depth=1
	v_dual_mov_b32 v16, s5 :: v_dual_mov_b32 v15, s4
	s_mov_b32 s14, exec_lo
	v_cmpx_ne_u16_e32 0x80, v5
	s_cbranch_execz .LBB242_440
; %bb.435:                              ;   in Loop: Header=BB242_289 Depth=1
	s_mov_b32 s8, s4
	v_dual_mov_b32 v16, s9 :: v_dual_and_b32 v5, 0xffff, v5
	v_mov_b32_e32 v15, s8
	s_mov_b32 s8, exec_lo
	s_delay_alu instid0(VALU_DEP_2) | instskip(NEXT) | instid1(VALU_DEP_1)
	v_and_b32_e32 v17, 0x7f, v5
	v_cmpx_ne_u32_e32 0x7f, v17
	s_cbranch_execz .LBB242_439
; %bb.436:                              ;   in Loop: Header=BB242_289 Depth=1
	v_and_b32_e32 v5, 7, v5
	v_lshrrev_b32_e32 v15, 3, v17
	s_mov_b32 s16, exec_lo
	v_cmpx_gt_u32_e32 8, v17
; %bb.437:                              ;   in Loop: Header=BB242_289 Depth=1
	s_delay_alu instid0(VALU_DEP_3) | instskip(NEXT) | instid1(VALU_DEP_1)
	v_clz_i32_u32_e32 v15, v5
	v_min_u32_e32 v15, 32, v15
	s_delay_alu instid0(VALU_DEP_1) | instskip(SKIP_1) | instid1(VALU_DEP_2)
	v_subrev_nc_u32_e32 v16, 28, v15
	v_sub_nc_u32_e32 v15, 29, v15
	v_lshlrev_b64 v[16:17], v16, v[5:6]
	s_delay_alu instid0(VALU_DEP_1)
	v_and_b32_e32 v5, 7, v16
; %bb.438:                              ;   in Loop: Header=BB242_289 Depth=1
	s_or_b32 exec_lo, exec_lo, s16
	v_lshlrev_b32_e32 v16, 16, v55
	s_delay_alu instid0(VALU_DEP_2) | instskip(SKIP_1) | instid1(VALU_DEP_3)
	v_lshlrev_b32_e32 v5, 20, v5
	v_lshl_add_u32 v15, v15, 23, 0x3c000000
	v_and_b32_e32 v16, 0x80000000, v16
	s_delay_alu instid0(VALU_DEP_1)
	v_or3_b32 v16, v5, v16, v15
	v_mov_b32_e32 v15, v6
.LBB242_439:                            ;   in Loop: Header=BB242_289 Depth=1
	s_or_b32 exec_lo, exec_lo, s8
.LBB242_440:                            ;   in Loop: Header=BB242_289 Depth=1
	s_delay_alu instid0(SALU_CYCLE_1)
	s_or_b32 exec_lo, exec_lo, s14
.LBB242_441:                            ;   in Loop: Header=BB242_289 Depth=1
	s_delay_alu instid0(SALU_CYCLE_1) | instskip(SKIP_4) | instid1(VALU_DEP_2)
	s_or_b32 exec_lo, exec_lo, s13
	v_mov_b32_e32 v19, 0
	v_lshrrev_b32_e32 v56, 16, v55
	v_mov_b32_e32 v20, 0
	s_mov_b32 s8, exec_lo
	v_and_b32_e32 v5, 0xff, v56
	s_delay_alu instid0(VALU_DEP_2) | instskip(NEXT) | instid1(VALU_DEP_2)
	v_dual_mov_b32 v17, v19 :: v_dual_mov_b32 v18, v20
	v_cmpx_ne_u16_e32 0, v5
	s_cbranch_execz .LBB242_449
; %bb.442:                              ;   in Loop: Header=BB242_289 Depth=1
	v_bfrev_b32_e32 v17, 1
	v_mov_b32_e32 v18, 0
	s_mov_b32 s13, exec_lo
	v_cmpx_ne_u16_e32 0x80, v5
	s_cbranch_execz .LBB242_448
; %bb.443:                              ;   in Loop: Header=BB242_289 Depth=1
	v_mov_b32_e32 v17, 0x7f800001
	v_bfe_u32 v57, v55, 16, 7
	v_mov_b32_e32 v18, 0
	s_mov_b32 s14, exec_lo
	s_delay_alu instid0(VALU_DEP_2)
	v_cmpx_ne_u32_e32 0x7f, v57
	s_cbranch_execz .LBB242_447
; %bb.444:                              ;   in Loop: Header=BB242_289 Depth=1
	v_and_b32_e32 v5, 7, v56
	v_lshrrev_b32_e32 v17, 3, v57
	s_mov_b32 s16, exec_lo
	v_cmpx_gt_u32_e32 8, v57
; %bb.445:                              ;   in Loop: Header=BB242_289 Depth=1
	s_delay_alu instid0(VALU_DEP_3) | instskip(NEXT) | instid1(VALU_DEP_1)
	v_clz_i32_u32_e32 v17, v5
	v_min_u32_e32 v17, 32, v17
	s_delay_alu instid0(VALU_DEP_1) | instskip(SKIP_1) | instid1(VALU_DEP_2)
	v_subrev_nc_u32_e32 v18, 28, v17
	v_sub_nc_u32_e32 v17, 29, v17
	v_lshlrev_b64 v[57:58], v18, v[5:6]
	s_delay_alu instid0(VALU_DEP_1)
	v_and_b32_e32 v5, 7, v57
; %bb.446:                              ;   in Loop: Header=BB242_289 Depth=1
	s_or_b32 exec_lo, exec_lo, s16
	v_lshlrev_b32_e32 v18, 24, v56
	s_delay_alu instid0(VALU_DEP_2) | instskip(SKIP_1) | instid1(VALU_DEP_3)
	v_lshlrev_b32_e32 v5, 20, v5
	v_lshl_add_u32 v17, v17, 23, 0x3c000000
	v_and_b32_e32 v18, 0x80000000, v18
	s_delay_alu instid0(VALU_DEP_1) | instskip(NEXT) | instid1(VALU_DEP_1)
	v_or3_b32 v5, v5, v18, v17
	v_dual_mov_b32 v18, v6 :: v_dual_mov_b32 v17, v5
.LBB242_447:                            ;   in Loop: Header=BB242_289 Depth=1
	s_or_b32 exec_lo, exec_lo, s14
.LBB242_448:                            ;   in Loop: Header=BB242_289 Depth=1
	s_delay_alu instid0(SALU_CYCLE_1)
	s_or_b32 exec_lo, exec_lo, s13
.LBB242_449:                            ;   in Loop: Header=BB242_289 Depth=1
	s_delay_alu instid0(SALU_CYCLE_1) | instskip(NEXT) | instid1(SALU_CYCLE_1)
	s_or_b32 exec_lo, exec_lo, s8
	s_mov_b32 s13, exec_lo
	v_cmpx_lt_u32_e32 0xffffff, v55
	s_cbranch_execz .LBB242_457
; %bb.450:                              ;   in Loop: Header=BB242_289 Depth=1
	v_lshrrev_b32_e32 v56, 24, v55
	v_dual_mov_b32 v20, s5 :: v_dual_mov_b32 v19, s4
	s_mov_b32 s14, exec_lo
	s_delay_alu instid0(VALU_DEP_2)
	v_cmpx_ne_u32_e32 0x80, v56
	s_cbranch_execz .LBB242_456
; %bb.451:                              ;   in Loop: Header=BB242_289 Depth=1
	s_mov_b32 s8, s4
	v_bfe_u32 v55, v55, 24, 7
	v_dual_mov_b32 v20, s9 :: v_dual_mov_b32 v19, s8
	s_mov_b32 s8, exec_lo
	s_delay_alu instid0(VALU_DEP_2)
	v_cmpx_ne_u32_e32 0x7f, v55
	s_cbranch_execz .LBB242_455
; %bb.452:                              ;   in Loop: Header=BB242_289 Depth=1
	v_and_b32_e32 v5, 7, v56
	v_lshrrev_b32_e32 v19, 3, v55
	s_mov_b32 s16, exec_lo
	v_cmpx_gt_u32_e32 8, v55
; %bb.453:                              ;   in Loop: Header=BB242_289 Depth=1
	s_delay_alu instid0(VALU_DEP_3) | instskip(NEXT) | instid1(VALU_DEP_1)
	v_clz_i32_u32_e32 v19, v5
	v_min_u32_e32 v19, 32, v19
	s_delay_alu instid0(VALU_DEP_1) | instskip(SKIP_1) | instid1(VALU_DEP_2)
	v_subrev_nc_u32_e32 v20, 28, v19
	v_sub_nc_u32_e32 v19, 29, v19
	v_lshlrev_b64 v[57:58], v20, v[5:6]
	s_delay_alu instid0(VALU_DEP_1)
	v_and_b32_e32 v5, 7, v57
; %bb.454:                              ;   in Loop: Header=BB242_289 Depth=1
	s_or_b32 exec_lo, exec_lo, s16
	v_lshlrev_b32_e32 v20, 24, v56
	s_delay_alu instid0(VALU_DEP_2) | instskip(SKIP_1) | instid1(VALU_DEP_3)
	v_lshlrev_b32_e32 v5, 20, v5
	v_lshl_add_u32 v19, v19, 23, 0x3c000000
	v_and_b32_e32 v20, 0x80000000, v20
	s_delay_alu instid0(VALU_DEP_1)
	v_or3_b32 v20, v5, v20, v19
	v_mov_b32_e32 v19, v6
.LBB242_455:                            ;   in Loop: Header=BB242_289 Depth=1
	s_or_b32 exec_lo, exec_lo, s8
.LBB242_456:                            ;   in Loop: Header=BB242_289 Depth=1
	s_delay_alu instid0(SALU_CYCLE_1)
	s_or_b32 exec_lo, exec_lo, s14
.LBB242_457:                            ;   in Loop: Header=BB242_289 Depth=1
	s_delay_alu instid0(SALU_CYCLE_1) | instskip(SKIP_4) | instid1(VALU_DEP_4)
	s_or_b32 exec_lo, exec_lo, s13
	v_or_b32_e32 v5, v16, v14
	v_or_b32_e32 v13, v15, v13
	;; [unrolled: 1-line block ×4, first 2 shown]
	v_mul_f32_e32 v58, s10, v5
	s_delay_alu instid0(VALU_DEP_4) | instskip(NEXT) | instid1(VALU_DEP_3)
	v_mul_f32_e32 v57, s3, v13
	v_dual_mul_f32 v55, s10, v14 :: v_dual_mul_f32 v56, s3, v15
	s_and_saveexec_b32 s8, vcc_lo
; %bb.458:                              ;   in Loop: Header=BB242_289 Depth=1
	v_cmp_gt_i32_e64 s0, s33, v40
	s_delay_alu instid0(VALU_DEP_1) | instskip(SKIP_1) | instid1(VALU_DEP_1)
	v_cndmask_b32_e64 v57, 0, v57, s0
	v_cmp_gt_i32_e64 s0, s33, v42
	v_cndmask_b32_e64 v58, 0, v58, s0
	v_cmp_gt_i32_e64 s0, s33, v41
	s_delay_alu instid0(VALU_DEP_1) | instskip(SKIP_1) | instid1(VALU_DEP_1)
	v_cndmask_b32_e64 v56, 0, v56, s0
	v_cmp_gt_i32_e64 s0, s33, v34
	v_cndmask_b32_e64 v55, 0, v55, s0
; %bb.459:                              ;   in Loop: Header=BB242_289 Depth=1
	s_or_b32 exec_lo, exec_lo, s8
	global_load_b32 v59, v[11:12], off offset:640
	v_mov_b32_e32 v15, 0
	v_mov_b32_e32 v16, 0
	s_mov_b32 s8, exec_lo
	s_waitcnt vmcnt(0)
	v_and_b32_e32 v5, 0xff, v59
	s_delay_alu instid0(VALU_DEP_2) | instskip(NEXT) | instid1(VALU_DEP_2)
	v_dual_mov_b32 v13, v15 :: v_dual_mov_b32 v14, v16
	v_cmpx_ne_u16_e32 0, v5
	s_cbranch_execz .LBB242_467
; %bb.460:                              ;   in Loop: Header=BB242_289 Depth=1
	v_bfrev_b32_e32 v13, 1
	v_mov_b32_e32 v14, 0
	s_mov_b32 s13, exec_lo
	v_cmpx_ne_u16_e32 0x80, v5
	s_cbranch_execz .LBB242_466
; %bb.461:                              ;   in Loop: Header=BB242_289 Depth=1
	v_mov_b32_e32 v13, 0x7f800001
	v_dual_mov_b32 v14, 0 :: v_dual_and_b32 v17, 0x7f, v59
	s_mov_b32 s14, exec_lo
	s_delay_alu instid0(VALU_DEP_1)
	v_cmpx_ne_u32_e32 0x7f, v17
	s_cbranch_execz .LBB242_465
; %bb.462:                              ;   in Loop: Header=BB242_289 Depth=1
	v_and_b32_e32 v5, 7, v59
	v_lshrrev_b32_e32 v13, 3, v17
	s_mov_b32 s16, exec_lo
	v_cmpx_gt_u32_e32 8, v17
; %bb.463:                              ;   in Loop: Header=BB242_289 Depth=1
	s_delay_alu instid0(VALU_DEP_3) | instskip(NEXT) | instid1(VALU_DEP_1)
	v_clz_i32_u32_e32 v13, v5
	v_min_u32_e32 v13, 32, v13
	s_delay_alu instid0(VALU_DEP_1) | instskip(SKIP_1) | instid1(VALU_DEP_2)
	v_subrev_nc_u32_e32 v14, 28, v13
	v_sub_nc_u32_e32 v13, 29, v13
	v_lshlrev_b64 v[17:18], v14, v[5:6]
	s_delay_alu instid0(VALU_DEP_1)
	v_and_b32_e32 v5, 7, v17
; %bb.464:                              ;   in Loop: Header=BB242_289 Depth=1
	s_or_b32 exec_lo, exec_lo, s16
	v_lshlrev_b32_e32 v14, 24, v59
	s_delay_alu instid0(VALU_DEP_2) | instskip(SKIP_1) | instid1(VALU_DEP_3)
	v_lshlrev_b32_e32 v5, 20, v5
	v_lshl_add_u32 v13, v13, 23, 0x3c000000
	v_and_b32_e32 v14, 0x80000000, v14
	s_delay_alu instid0(VALU_DEP_1) | instskip(NEXT) | instid1(VALU_DEP_1)
	v_or3_b32 v5, v5, v14, v13
	v_dual_mov_b32 v14, v6 :: v_dual_mov_b32 v13, v5
.LBB242_465:                            ;   in Loop: Header=BB242_289 Depth=1
	s_or_b32 exec_lo, exec_lo, s14
.LBB242_466:                            ;   in Loop: Header=BB242_289 Depth=1
	s_delay_alu instid0(SALU_CYCLE_1)
	s_or_b32 exec_lo, exec_lo, s13
.LBB242_467:                            ;   in Loop: Header=BB242_289 Depth=1
	s_delay_alu instid0(SALU_CYCLE_1) | instskip(SKIP_2) | instid1(VALU_DEP_1)
	s_or_b32 exec_lo, exec_lo, s8
	v_lshrrev_b16 v5, 8, v59
	s_mov_b32 s13, exec_lo
	v_cmpx_ne_u16_e32 0, v5
	s_cbranch_execz .LBB242_475
; %bb.468:                              ;   in Loop: Header=BB242_289 Depth=1
	v_dual_mov_b32 v16, s5 :: v_dual_mov_b32 v15, s4
	s_mov_b32 s14, exec_lo
	v_cmpx_ne_u16_e32 0x80, v5
	s_cbranch_execz .LBB242_474
; %bb.469:                              ;   in Loop: Header=BB242_289 Depth=1
	s_mov_b32 s8, s4
	v_dual_mov_b32 v16, s9 :: v_dual_and_b32 v5, 0xffff, v5
	v_mov_b32_e32 v15, s8
	s_mov_b32 s8, exec_lo
	s_delay_alu instid0(VALU_DEP_2) | instskip(NEXT) | instid1(VALU_DEP_1)
	v_and_b32_e32 v17, 0x7f, v5
	v_cmpx_ne_u32_e32 0x7f, v17
	s_cbranch_execz .LBB242_473
; %bb.470:                              ;   in Loop: Header=BB242_289 Depth=1
	v_and_b32_e32 v5, 7, v5
	v_lshrrev_b32_e32 v15, 3, v17
	s_mov_b32 s16, exec_lo
	v_cmpx_gt_u32_e32 8, v17
; %bb.471:                              ;   in Loop: Header=BB242_289 Depth=1
	s_delay_alu instid0(VALU_DEP_3) | instskip(NEXT) | instid1(VALU_DEP_1)
	v_clz_i32_u32_e32 v15, v5
	v_min_u32_e32 v15, 32, v15
	s_delay_alu instid0(VALU_DEP_1) | instskip(SKIP_1) | instid1(VALU_DEP_2)
	v_subrev_nc_u32_e32 v16, 28, v15
	v_sub_nc_u32_e32 v15, 29, v15
	v_lshlrev_b64 v[16:17], v16, v[5:6]
	s_delay_alu instid0(VALU_DEP_1)
	v_and_b32_e32 v5, 7, v16
; %bb.472:                              ;   in Loop: Header=BB242_289 Depth=1
	s_or_b32 exec_lo, exec_lo, s16
	v_lshlrev_b32_e32 v16, 16, v59
	s_delay_alu instid0(VALU_DEP_2) | instskip(SKIP_1) | instid1(VALU_DEP_3)
	v_lshlrev_b32_e32 v5, 20, v5
	v_lshl_add_u32 v15, v15, 23, 0x3c000000
	v_and_b32_e32 v16, 0x80000000, v16
	s_delay_alu instid0(VALU_DEP_1)
	v_or3_b32 v16, v5, v16, v15
	v_mov_b32_e32 v15, v6
.LBB242_473:                            ;   in Loop: Header=BB242_289 Depth=1
	s_or_b32 exec_lo, exec_lo, s8
.LBB242_474:                            ;   in Loop: Header=BB242_289 Depth=1
	s_delay_alu instid0(SALU_CYCLE_1)
	s_or_b32 exec_lo, exec_lo, s14
.LBB242_475:                            ;   in Loop: Header=BB242_289 Depth=1
	s_delay_alu instid0(SALU_CYCLE_1) | instskip(SKIP_4) | instid1(VALU_DEP_2)
	s_or_b32 exec_lo, exec_lo, s13
	v_mov_b32_e32 v19, 0
	v_lshrrev_b32_e32 v60, 16, v59
	v_mov_b32_e32 v20, 0
	s_mov_b32 s8, exec_lo
	v_and_b32_e32 v5, 0xff, v60
	s_delay_alu instid0(VALU_DEP_2) | instskip(NEXT) | instid1(VALU_DEP_2)
	v_dual_mov_b32 v17, v19 :: v_dual_mov_b32 v18, v20
	v_cmpx_ne_u16_e32 0, v5
	s_cbranch_execz .LBB242_483
; %bb.476:                              ;   in Loop: Header=BB242_289 Depth=1
	v_bfrev_b32_e32 v17, 1
	v_mov_b32_e32 v18, 0
	s_mov_b32 s13, exec_lo
	v_cmpx_ne_u16_e32 0x80, v5
	s_cbranch_execz .LBB242_482
; %bb.477:                              ;   in Loop: Header=BB242_289 Depth=1
	v_mov_b32_e32 v17, 0x7f800001
	v_bfe_u32 v61, v59, 16, 7
	v_mov_b32_e32 v18, 0
	s_mov_b32 s14, exec_lo
	s_delay_alu instid0(VALU_DEP_2)
	v_cmpx_ne_u32_e32 0x7f, v61
	s_cbranch_execz .LBB242_481
; %bb.478:                              ;   in Loop: Header=BB242_289 Depth=1
	v_and_b32_e32 v5, 7, v60
	v_lshrrev_b32_e32 v17, 3, v61
	s_mov_b32 s16, exec_lo
	v_cmpx_gt_u32_e32 8, v61
; %bb.479:                              ;   in Loop: Header=BB242_289 Depth=1
	s_delay_alu instid0(VALU_DEP_3) | instskip(NEXT) | instid1(VALU_DEP_1)
	v_clz_i32_u32_e32 v17, v5
	v_min_u32_e32 v17, 32, v17
	s_delay_alu instid0(VALU_DEP_1) | instskip(SKIP_1) | instid1(VALU_DEP_2)
	v_subrev_nc_u32_e32 v18, 28, v17
	v_sub_nc_u32_e32 v17, 29, v17
	v_lshlrev_b64 v[61:62], v18, v[5:6]
	s_delay_alu instid0(VALU_DEP_1)
	v_and_b32_e32 v5, 7, v61
; %bb.480:                              ;   in Loop: Header=BB242_289 Depth=1
	s_or_b32 exec_lo, exec_lo, s16
	v_lshlrev_b32_e32 v18, 24, v60
	s_delay_alu instid0(VALU_DEP_2) | instskip(SKIP_1) | instid1(VALU_DEP_3)
	v_lshlrev_b32_e32 v5, 20, v5
	v_lshl_add_u32 v17, v17, 23, 0x3c000000
	v_and_b32_e32 v18, 0x80000000, v18
	s_delay_alu instid0(VALU_DEP_1) | instskip(NEXT) | instid1(VALU_DEP_1)
	v_or3_b32 v5, v5, v18, v17
	v_dual_mov_b32 v18, v6 :: v_dual_mov_b32 v17, v5
.LBB242_481:                            ;   in Loop: Header=BB242_289 Depth=1
	s_or_b32 exec_lo, exec_lo, s14
.LBB242_482:                            ;   in Loop: Header=BB242_289 Depth=1
	s_delay_alu instid0(SALU_CYCLE_1)
	s_or_b32 exec_lo, exec_lo, s13
.LBB242_483:                            ;   in Loop: Header=BB242_289 Depth=1
	s_delay_alu instid0(SALU_CYCLE_1) | instskip(NEXT) | instid1(SALU_CYCLE_1)
	s_or_b32 exec_lo, exec_lo, s8
	s_mov_b32 s13, exec_lo
	v_cmpx_lt_u32_e32 0xffffff, v59
	s_cbranch_execz .LBB242_491
; %bb.484:                              ;   in Loop: Header=BB242_289 Depth=1
	v_lshrrev_b32_e32 v60, 24, v59
	v_dual_mov_b32 v20, s5 :: v_dual_mov_b32 v19, s4
	s_mov_b32 s14, exec_lo
	s_delay_alu instid0(VALU_DEP_2)
	v_cmpx_ne_u32_e32 0x80, v60
	s_cbranch_execz .LBB242_490
; %bb.485:                              ;   in Loop: Header=BB242_289 Depth=1
	s_mov_b32 s8, s4
	v_bfe_u32 v59, v59, 24, 7
	v_dual_mov_b32 v20, s9 :: v_dual_mov_b32 v19, s8
	s_mov_b32 s8, exec_lo
	s_delay_alu instid0(VALU_DEP_2)
	v_cmpx_ne_u32_e32 0x7f, v59
	s_cbranch_execz .LBB242_489
; %bb.486:                              ;   in Loop: Header=BB242_289 Depth=1
	v_and_b32_e32 v5, 7, v60
	v_lshrrev_b32_e32 v19, 3, v59
	s_mov_b32 s16, exec_lo
	v_cmpx_gt_u32_e32 8, v59
; %bb.487:                              ;   in Loop: Header=BB242_289 Depth=1
	s_delay_alu instid0(VALU_DEP_3) | instskip(NEXT) | instid1(VALU_DEP_1)
	v_clz_i32_u32_e32 v19, v5
	v_min_u32_e32 v19, 32, v19
	s_delay_alu instid0(VALU_DEP_1) | instskip(SKIP_1) | instid1(VALU_DEP_2)
	v_subrev_nc_u32_e32 v20, 28, v19
	v_sub_nc_u32_e32 v19, 29, v19
	v_lshlrev_b64 v[61:62], v20, v[5:6]
	s_delay_alu instid0(VALU_DEP_1)
	v_and_b32_e32 v5, 7, v61
; %bb.488:                              ;   in Loop: Header=BB242_289 Depth=1
	s_or_b32 exec_lo, exec_lo, s16
	v_lshlrev_b32_e32 v20, 24, v60
	s_delay_alu instid0(VALU_DEP_2) | instskip(SKIP_1) | instid1(VALU_DEP_3)
	v_lshlrev_b32_e32 v5, 20, v5
	v_lshl_add_u32 v19, v19, 23, 0x3c000000
	v_and_b32_e32 v20, 0x80000000, v20
	s_delay_alu instid0(VALU_DEP_1)
	v_or3_b32 v20, v5, v20, v19
	v_mov_b32_e32 v19, v6
.LBB242_489:                            ;   in Loop: Header=BB242_289 Depth=1
	s_or_b32 exec_lo, exec_lo, s8
.LBB242_490:                            ;   in Loop: Header=BB242_289 Depth=1
	s_delay_alu instid0(SALU_CYCLE_1)
	s_or_b32 exec_lo, exec_lo, s14
.LBB242_491:                            ;   in Loop: Header=BB242_289 Depth=1
	s_delay_alu instid0(SALU_CYCLE_1) | instskip(SKIP_4) | instid1(VALU_DEP_4)
	s_or_b32 exec_lo, exec_lo, s13
	v_or_b32_e32 v5, v16, v14
	v_or_b32_e32 v13, v15, v13
	;; [unrolled: 1-line block ×4, first 2 shown]
	v_mul_f32_e32 v62, s10, v5
	s_delay_alu instid0(VALU_DEP_4) | instskip(NEXT) | instid1(VALU_DEP_3)
	v_mul_f32_e32 v61, s3, v13
	v_dual_mul_f32 v59, s10, v14 :: v_dual_mul_f32 v60, s3, v15
	s_and_saveexec_b32 s8, vcc_lo
; %bb.492:                              ;   in Loop: Header=BB242_289 Depth=1
	v_cmp_gt_i32_e64 s0, s33, v40
	s_delay_alu instid0(VALU_DEP_1) | instskip(SKIP_1) | instid1(VALU_DEP_1)
	v_cndmask_b32_e64 v61, 0, v61, s0
	v_cmp_gt_i32_e64 s0, s33, v42
	v_cndmask_b32_e64 v62, 0, v62, s0
	v_cmp_gt_i32_e64 s0, s33, v41
	s_delay_alu instid0(VALU_DEP_1) | instskip(SKIP_1) | instid1(VALU_DEP_1)
	v_cndmask_b32_e64 v60, 0, v60, s0
	v_cmp_gt_i32_e64 s0, s33, v34
	v_cndmask_b32_e64 v59, 0, v59, s0
; %bb.493:                              ;   in Loop: Header=BB242_289 Depth=1
	s_or_b32 exec_lo, exec_lo, s8
	global_load_b32 v63, v[11:12], off offset:768
	v_mov_b32_e32 v15, 0
	v_mov_b32_e32 v16, 0
	s_mov_b32 s8, exec_lo
	s_waitcnt vmcnt(0)
	v_and_b32_e32 v5, 0xff, v63
	s_delay_alu instid0(VALU_DEP_2) | instskip(NEXT) | instid1(VALU_DEP_2)
	v_dual_mov_b32 v13, v15 :: v_dual_mov_b32 v14, v16
	v_cmpx_ne_u16_e32 0, v5
	s_cbranch_execz .LBB242_501
; %bb.494:                              ;   in Loop: Header=BB242_289 Depth=1
	v_bfrev_b32_e32 v13, 1
	v_mov_b32_e32 v14, 0
	s_mov_b32 s13, exec_lo
	v_cmpx_ne_u16_e32 0x80, v5
	s_cbranch_execz .LBB242_500
; %bb.495:                              ;   in Loop: Header=BB242_289 Depth=1
	v_mov_b32_e32 v13, 0x7f800001
	v_dual_mov_b32 v14, 0 :: v_dual_and_b32 v17, 0x7f, v63
	s_mov_b32 s14, exec_lo
	s_delay_alu instid0(VALU_DEP_1)
	v_cmpx_ne_u32_e32 0x7f, v17
	s_cbranch_execz .LBB242_499
; %bb.496:                              ;   in Loop: Header=BB242_289 Depth=1
	v_and_b32_e32 v5, 7, v63
	v_lshrrev_b32_e32 v13, 3, v17
	s_mov_b32 s16, exec_lo
	v_cmpx_gt_u32_e32 8, v17
; %bb.497:                              ;   in Loop: Header=BB242_289 Depth=1
	s_delay_alu instid0(VALU_DEP_3) | instskip(NEXT) | instid1(VALU_DEP_1)
	v_clz_i32_u32_e32 v13, v5
	v_min_u32_e32 v13, 32, v13
	s_delay_alu instid0(VALU_DEP_1) | instskip(SKIP_1) | instid1(VALU_DEP_2)
	v_subrev_nc_u32_e32 v14, 28, v13
	v_sub_nc_u32_e32 v13, 29, v13
	v_lshlrev_b64 v[17:18], v14, v[5:6]
	s_delay_alu instid0(VALU_DEP_1)
	v_and_b32_e32 v5, 7, v17
; %bb.498:                              ;   in Loop: Header=BB242_289 Depth=1
	s_or_b32 exec_lo, exec_lo, s16
	v_lshlrev_b32_e32 v14, 24, v63
	s_delay_alu instid0(VALU_DEP_2) | instskip(SKIP_1) | instid1(VALU_DEP_3)
	v_lshlrev_b32_e32 v5, 20, v5
	v_lshl_add_u32 v13, v13, 23, 0x3c000000
	v_and_b32_e32 v14, 0x80000000, v14
	s_delay_alu instid0(VALU_DEP_1) | instskip(NEXT) | instid1(VALU_DEP_1)
	v_or3_b32 v5, v5, v14, v13
	v_dual_mov_b32 v14, v6 :: v_dual_mov_b32 v13, v5
.LBB242_499:                            ;   in Loop: Header=BB242_289 Depth=1
	s_or_b32 exec_lo, exec_lo, s14
.LBB242_500:                            ;   in Loop: Header=BB242_289 Depth=1
	s_delay_alu instid0(SALU_CYCLE_1)
	s_or_b32 exec_lo, exec_lo, s13
.LBB242_501:                            ;   in Loop: Header=BB242_289 Depth=1
	s_delay_alu instid0(SALU_CYCLE_1) | instskip(SKIP_2) | instid1(VALU_DEP_1)
	s_or_b32 exec_lo, exec_lo, s8
	v_lshrrev_b16 v5, 8, v63
	s_mov_b32 s13, exec_lo
	v_cmpx_ne_u16_e32 0, v5
	s_cbranch_execz .LBB242_509
; %bb.502:                              ;   in Loop: Header=BB242_289 Depth=1
	v_dual_mov_b32 v16, s5 :: v_dual_mov_b32 v15, s4
	s_mov_b32 s14, exec_lo
	v_cmpx_ne_u16_e32 0x80, v5
	s_cbranch_execz .LBB242_508
; %bb.503:                              ;   in Loop: Header=BB242_289 Depth=1
	s_mov_b32 s8, s4
	v_dual_mov_b32 v16, s9 :: v_dual_and_b32 v5, 0xffff, v5
	v_mov_b32_e32 v15, s8
	s_mov_b32 s8, exec_lo
	s_delay_alu instid0(VALU_DEP_2) | instskip(NEXT) | instid1(VALU_DEP_1)
	v_and_b32_e32 v17, 0x7f, v5
	v_cmpx_ne_u32_e32 0x7f, v17
	s_cbranch_execz .LBB242_507
; %bb.504:                              ;   in Loop: Header=BB242_289 Depth=1
	v_and_b32_e32 v5, 7, v5
	v_lshrrev_b32_e32 v15, 3, v17
	s_mov_b32 s16, exec_lo
	v_cmpx_gt_u32_e32 8, v17
; %bb.505:                              ;   in Loop: Header=BB242_289 Depth=1
	s_delay_alu instid0(VALU_DEP_3) | instskip(NEXT) | instid1(VALU_DEP_1)
	v_clz_i32_u32_e32 v15, v5
	v_min_u32_e32 v15, 32, v15
	s_delay_alu instid0(VALU_DEP_1) | instskip(SKIP_1) | instid1(VALU_DEP_2)
	v_subrev_nc_u32_e32 v16, 28, v15
	v_sub_nc_u32_e32 v15, 29, v15
	v_lshlrev_b64 v[16:17], v16, v[5:6]
	s_delay_alu instid0(VALU_DEP_1)
	v_and_b32_e32 v5, 7, v16
; %bb.506:                              ;   in Loop: Header=BB242_289 Depth=1
	s_or_b32 exec_lo, exec_lo, s16
	v_lshlrev_b32_e32 v16, 16, v63
	s_delay_alu instid0(VALU_DEP_2) | instskip(SKIP_1) | instid1(VALU_DEP_3)
	v_lshlrev_b32_e32 v5, 20, v5
	v_lshl_add_u32 v15, v15, 23, 0x3c000000
	v_and_b32_e32 v16, 0x80000000, v16
	s_delay_alu instid0(VALU_DEP_1)
	v_or3_b32 v16, v5, v16, v15
	v_mov_b32_e32 v15, v6
.LBB242_507:                            ;   in Loop: Header=BB242_289 Depth=1
	s_or_b32 exec_lo, exec_lo, s8
.LBB242_508:                            ;   in Loop: Header=BB242_289 Depth=1
	s_delay_alu instid0(SALU_CYCLE_1)
	s_or_b32 exec_lo, exec_lo, s14
.LBB242_509:                            ;   in Loop: Header=BB242_289 Depth=1
	s_delay_alu instid0(SALU_CYCLE_1) | instskip(SKIP_4) | instid1(VALU_DEP_2)
	s_or_b32 exec_lo, exec_lo, s13
	v_mov_b32_e32 v19, 0
	v_lshrrev_b32_e32 v64, 16, v63
	v_mov_b32_e32 v20, 0
	s_mov_b32 s8, exec_lo
	v_and_b32_e32 v5, 0xff, v64
	s_delay_alu instid0(VALU_DEP_2) | instskip(NEXT) | instid1(VALU_DEP_2)
	v_dual_mov_b32 v17, v19 :: v_dual_mov_b32 v18, v20
	v_cmpx_ne_u16_e32 0, v5
	s_cbranch_execz .LBB242_517
; %bb.510:                              ;   in Loop: Header=BB242_289 Depth=1
	v_bfrev_b32_e32 v17, 1
	v_mov_b32_e32 v18, 0
	s_mov_b32 s13, exec_lo
	v_cmpx_ne_u16_e32 0x80, v5
	s_cbranch_execz .LBB242_516
; %bb.511:                              ;   in Loop: Header=BB242_289 Depth=1
	v_mov_b32_e32 v17, 0x7f800001
	v_bfe_u32 v65, v63, 16, 7
	v_mov_b32_e32 v18, 0
	s_mov_b32 s14, exec_lo
	s_delay_alu instid0(VALU_DEP_2)
	v_cmpx_ne_u32_e32 0x7f, v65
	s_cbranch_execz .LBB242_515
; %bb.512:                              ;   in Loop: Header=BB242_289 Depth=1
	v_and_b32_e32 v5, 7, v64
	v_lshrrev_b32_e32 v17, 3, v65
	s_mov_b32 s16, exec_lo
	v_cmpx_gt_u32_e32 8, v65
; %bb.513:                              ;   in Loop: Header=BB242_289 Depth=1
	s_delay_alu instid0(VALU_DEP_3) | instskip(NEXT) | instid1(VALU_DEP_1)
	v_clz_i32_u32_e32 v17, v5
	v_min_u32_e32 v17, 32, v17
	s_delay_alu instid0(VALU_DEP_1) | instskip(SKIP_1) | instid1(VALU_DEP_2)
	v_subrev_nc_u32_e32 v18, 28, v17
	v_sub_nc_u32_e32 v17, 29, v17
	v_lshlrev_b64 v[65:66], v18, v[5:6]
	s_delay_alu instid0(VALU_DEP_1)
	v_and_b32_e32 v5, 7, v65
; %bb.514:                              ;   in Loop: Header=BB242_289 Depth=1
	s_or_b32 exec_lo, exec_lo, s16
	v_lshlrev_b32_e32 v18, 24, v64
	s_delay_alu instid0(VALU_DEP_2) | instskip(SKIP_1) | instid1(VALU_DEP_3)
	v_lshlrev_b32_e32 v5, 20, v5
	v_lshl_add_u32 v17, v17, 23, 0x3c000000
	v_and_b32_e32 v18, 0x80000000, v18
	s_delay_alu instid0(VALU_DEP_1) | instskip(NEXT) | instid1(VALU_DEP_1)
	v_or3_b32 v5, v5, v18, v17
	v_dual_mov_b32 v18, v6 :: v_dual_mov_b32 v17, v5
.LBB242_515:                            ;   in Loop: Header=BB242_289 Depth=1
	s_or_b32 exec_lo, exec_lo, s14
.LBB242_516:                            ;   in Loop: Header=BB242_289 Depth=1
	s_delay_alu instid0(SALU_CYCLE_1)
	s_or_b32 exec_lo, exec_lo, s13
.LBB242_517:                            ;   in Loop: Header=BB242_289 Depth=1
	s_delay_alu instid0(SALU_CYCLE_1) | instskip(NEXT) | instid1(SALU_CYCLE_1)
	s_or_b32 exec_lo, exec_lo, s8
	s_mov_b32 s13, exec_lo
	v_cmpx_lt_u32_e32 0xffffff, v63
	s_cbranch_execz .LBB242_525
; %bb.518:                              ;   in Loop: Header=BB242_289 Depth=1
	v_lshrrev_b32_e32 v64, 24, v63
	v_dual_mov_b32 v20, s5 :: v_dual_mov_b32 v19, s4
	s_mov_b32 s14, exec_lo
	s_delay_alu instid0(VALU_DEP_2)
	v_cmpx_ne_u32_e32 0x80, v64
	s_cbranch_execz .LBB242_524
; %bb.519:                              ;   in Loop: Header=BB242_289 Depth=1
	s_mov_b32 s8, s4
	v_bfe_u32 v63, v63, 24, 7
	v_dual_mov_b32 v20, s9 :: v_dual_mov_b32 v19, s8
	s_mov_b32 s8, exec_lo
	s_delay_alu instid0(VALU_DEP_2)
	v_cmpx_ne_u32_e32 0x7f, v63
	s_cbranch_execz .LBB242_523
; %bb.520:                              ;   in Loop: Header=BB242_289 Depth=1
	v_and_b32_e32 v5, 7, v64
	v_lshrrev_b32_e32 v19, 3, v63
	s_mov_b32 s16, exec_lo
	v_cmpx_gt_u32_e32 8, v63
; %bb.521:                              ;   in Loop: Header=BB242_289 Depth=1
	s_delay_alu instid0(VALU_DEP_3) | instskip(NEXT) | instid1(VALU_DEP_1)
	v_clz_i32_u32_e32 v19, v5
	v_min_u32_e32 v19, 32, v19
	s_delay_alu instid0(VALU_DEP_1) | instskip(SKIP_1) | instid1(VALU_DEP_2)
	v_subrev_nc_u32_e32 v20, 28, v19
	v_sub_nc_u32_e32 v19, 29, v19
	v_lshlrev_b64 v[65:66], v20, v[5:6]
	s_delay_alu instid0(VALU_DEP_1)
	v_and_b32_e32 v5, 7, v65
; %bb.522:                              ;   in Loop: Header=BB242_289 Depth=1
	s_or_b32 exec_lo, exec_lo, s16
	v_lshlrev_b32_e32 v20, 24, v64
	s_delay_alu instid0(VALU_DEP_2) | instskip(SKIP_1) | instid1(VALU_DEP_3)
	v_lshlrev_b32_e32 v5, 20, v5
	v_lshl_add_u32 v19, v19, 23, 0x3c000000
	v_and_b32_e32 v20, 0x80000000, v20
	s_delay_alu instid0(VALU_DEP_1)
	v_or3_b32 v20, v5, v20, v19
	v_mov_b32_e32 v19, v6
.LBB242_523:                            ;   in Loop: Header=BB242_289 Depth=1
	s_or_b32 exec_lo, exec_lo, s8
.LBB242_524:                            ;   in Loop: Header=BB242_289 Depth=1
	s_delay_alu instid0(SALU_CYCLE_1)
	s_or_b32 exec_lo, exec_lo, s14
.LBB242_525:                            ;   in Loop: Header=BB242_289 Depth=1
	s_delay_alu instid0(SALU_CYCLE_1) | instskip(SKIP_4) | instid1(VALU_DEP_4)
	s_or_b32 exec_lo, exec_lo, s13
	v_or_b32_e32 v5, v16, v14
	v_or_b32_e32 v13, v15, v13
	;; [unrolled: 1-line block ×4, first 2 shown]
	v_mul_f32_e32 v64, s10, v5
	s_delay_alu instid0(VALU_DEP_4) | instskip(NEXT) | instid1(VALU_DEP_3)
	v_mul_f32_e32 v63, s3, v13
	v_dual_mul_f32 v19, s10, v14 :: v_dual_mul_f32 v20, s3, v15
	s_and_saveexec_b32 s8, vcc_lo
; %bb.526:                              ;   in Loop: Header=BB242_289 Depth=1
	v_cmp_gt_i32_e64 s0, s33, v40
	s_delay_alu instid0(VALU_DEP_1) | instskip(SKIP_1) | instid1(VALU_DEP_1)
	v_cndmask_b32_e64 v63, 0, v63, s0
	v_cmp_gt_i32_e64 s0, s33, v42
	v_cndmask_b32_e64 v64, 0, v64, s0
	v_cmp_gt_i32_e64 s0, s33, v41
	s_delay_alu instid0(VALU_DEP_1) | instskip(SKIP_1) | instid1(VALU_DEP_1)
	v_cndmask_b32_e64 v20, 0, v20, s0
	v_cmp_gt_i32_e64 s0, s33, v34
	v_cndmask_b32_e64 v19, 0, v19, s0
; %bb.527:                              ;   in Loop: Header=BB242_289 Depth=1
	s_or_b32 exec_lo, exec_lo, s8
	global_load_b32 v65, v[11:12], off offset:896
	v_mov_b32_e32 v13, 0
	v_mov_b32_e32 v14, 0
	s_mov_b32 s8, exec_lo
	s_waitcnt vmcnt(0)
	v_and_b32_e32 v5, 0xff, v65
	s_delay_alu instid0(VALU_DEP_2) | instskip(NEXT) | instid1(VALU_DEP_2)
	v_dual_mov_b32 v11, v13 :: v_dual_mov_b32 v12, v14
	v_cmpx_ne_u16_e32 0, v5
	s_cbranch_execz .LBB242_535
; %bb.528:                              ;   in Loop: Header=BB242_289 Depth=1
	v_bfrev_b32_e32 v11, 1
	v_mov_b32_e32 v12, 0
	s_mov_b32 s13, exec_lo
	v_cmpx_ne_u16_e32 0x80, v5
	s_cbranch_execz .LBB242_534
; %bb.529:                              ;   in Loop: Header=BB242_289 Depth=1
	v_mov_b32_e32 v11, 0x7f800001
	v_dual_mov_b32 v12, 0 :: v_dual_and_b32 v15, 0x7f, v65
	s_mov_b32 s14, exec_lo
	s_delay_alu instid0(VALU_DEP_1)
	v_cmpx_ne_u32_e32 0x7f, v15
	s_cbranch_execz .LBB242_533
; %bb.530:                              ;   in Loop: Header=BB242_289 Depth=1
	v_and_b32_e32 v5, 7, v65
	v_lshrrev_b32_e32 v11, 3, v15
	s_mov_b32 s16, exec_lo
	v_cmpx_gt_u32_e32 8, v15
; %bb.531:                              ;   in Loop: Header=BB242_289 Depth=1
	s_delay_alu instid0(VALU_DEP_3) | instskip(NEXT) | instid1(VALU_DEP_1)
	v_clz_i32_u32_e32 v11, v5
	v_min_u32_e32 v11, 32, v11
	s_delay_alu instid0(VALU_DEP_1) | instskip(SKIP_1) | instid1(VALU_DEP_2)
	v_subrev_nc_u32_e32 v12, 28, v11
	v_sub_nc_u32_e32 v11, 29, v11
	v_lshlrev_b64 v[15:16], v12, v[5:6]
	s_delay_alu instid0(VALU_DEP_1)
	v_and_b32_e32 v5, 7, v15
; %bb.532:                              ;   in Loop: Header=BB242_289 Depth=1
	s_or_b32 exec_lo, exec_lo, s16
	v_lshlrev_b32_e32 v12, 24, v65
	s_delay_alu instid0(VALU_DEP_2) | instskip(SKIP_1) | instid1(VALU_DEP_3)
	v_lshlrev_b32_e32 v5, 20, v5
	v_lshl_add_u32 v11, v11, 23, 0x3c000000
	v_and_b32_e32 v12, 0x80000000, v12
	s_delay_alu instid0(VALU_DEP_1) | instskip(NEXT) | instid1(VALU_DEP_1)
	v_or3_b32 v5, v5, v12, v11
	v_dual_mov_b32 v12, v6 :: v_dual_mov_b32 v11, v5
.LBB242_533:                            ;   in Loop: Header=BB242_289 Depth=1
	s_or_b32 exec_lo, exec_lo, s14
.LBB242_534:                            ;   in Loop: Header=BB242_289 Depth=1
	s_delay_alu instid0(SALU_CYCLE_1)
	s_or_b32 exec_lo, exec_lo, s13
.LBB242_535:                            ;   in Loop: Header=BB242_289 Depth=1
	s_delay_alu instid0(SALU_CYCLE_1) | instskip(SKIP_2) | instid1(VALU_DEP_1)
	s_or_b32 exec_lo, exec_lo, s8
	v_lshrrev_b16 v5, 8, v65
	s_mov_b32 s13, exec_lo
	v_cmpx_ne_u16_e32 0, v5
	s_cbranch_execz .LBB242_543
; %bb.536:                              ;   in Loop: Header=BB242_289 Depth=1
	v_dual_mov_b32 v14, s5 :: v_dual_mov_b32 v13, s4
	s_mov_b32 s14, exec_lo
	v_cmpx_ne_u16_e32 0x80, v5
	s_cbranch_execz .LBB242_542
; %bb.537:                              ;   in Loop: Header=BB242_289 Depth=1
	s_mov_b32 s8, s4
	v_dual_mov_b32 v14, s9 :: v_dual_and_b32 v5, 0xffff, v5
	v_mov_b32_e32 v13, s8
	s_mov_b32 s8, exec_lo
	s_delay_alu instid0(VALU_DEP_2) | instskip(NEXT) | instid1(VALU_DEP_1)
	v_and_b32_e32 v15, 0x7f, v5
	v_cmpx_ne_u32_e32 0x7f, v15
	s_cbranch_execz .LBB242_541
; %bb.538:                              ;   in Loop: Header=BB242_289 Depth=1
	v_and_b32_e32 v5, 7, v5
	v_lshrrev_b32_e32 v13, 3, v15
	s_mov_b32 s16, exec_lo
	v_cmpx_gt_u32_e32 8, v15
; %bb.539:                              ;   in Loop: Header=BB242_289 Depth=1
	s_delay_alu instid0(VALU_DEP_3) | instskip(NEXT) | instid1(VALU_DEP_1)
	v_clz_i32_u32_e32 v13, v5
	v_min_u32_e32 v13, 32, v13
	s_delay_alu instid0(VALU_DEP_1) | instskip(SKIP_1) | instid1(VALU_DEP_2)
	v_subrev_nc_u32_e32 v14, 28, v13
	v_sub_nc_u32_e32 v13, 29, v13
	v_lshlrev_b64 v[14:15], v14, v[5:6]
	s_delay_alu instid0(VALU_DEP_1)
	v_and_b32_e32 v5, 7, v14
; %bb.540:                              ;   in Loop: Header=BB242_289 Depth=1
	s_or_b32 exec_lo, exec_lo, s16
	v_lshlrev_b32_e32 v14, 16, v65
	s_delay_alu instid0(VALU_DEP_2) | instskip(SKIP_1) | instid1(VALU_DEP_3)
	v_lshlrev_b32_e32 v5, 20, v5
	v_lshl_add_u32 v13, v13, 23, 0x3c000000
	v_and_b32_e32 v14, 0x80000000, v14
	s_delay_alu instid0(VALU_DEP_1)
	v_or3_b32 v14, v5, v14, v13
	v_mov_b32_e32 v13, v6
.LBB242_541:                            ;   in Loop: Header=BB242_289 Depth=1
	s_or_b32 exec_lo, exec_lo, s8
.LBB242_542:                            ;   in Loop: Header=BB242_289 Depth=1
	s_delay_alu instid0(SALU_CYCLE_1)
	s_or_b32 exec_lo, exec_lo, s14
.LBB242_543:                            ;   in Loop: Header=BB242_289 Depth=1
	s_delay_alu instid0(SALU_CYCLE_1) | instskip(SKIP_4) | instid1(VALU_DEP_2)
	s_or_b32 exec_lo, exec_lo, s13
	v_mov_b32_e32 v17, 0
	v_lshrrev_b32_e32 v66, 16, v65
	v_mov_b32_e32 v18, 0
	s_mov_b32 s8, exec_lo
	v_and_b32_e32 v5, 0xff, v66
	s_delay_alu instid0(VALU_DEP_2) | instskip(NEXT) | instid1(VALU_DEP_2)
	v_dual_mov_b32 v15, v17 :: v_dual_mov_b32 v16, v18
	v_cmpx_ne_u16_e32 0, v5
	s_cbranch_execz .LBB242_551
; %bb.544:                              ;   in Loop: Header=BB242_289 Depth=1
	v_bfrev_b32_e32 v15, 1
	v_mov_b32_e32 v16, 0
	s_mov_b32 s13, exec_lo
	v_cmpx_ne_u16_e32 0x80, v5
	s_cbranch_execz .LBB242_550
; %bb.545:                              ;   in Loop: Header=BB242_289 Depth=1
	v_mov_b32_e32 v15, 0x7f800001
	v_bfe_u32 v67, v65, 16, 7
	v_mov_b32_e32 v16, 0
	s_mov_b32 s14, exec_lo
	s_delay_alu instid0(VALU_DEP_2)
	v_cmpx_ne_u32_e32 0x7f, v67
	s_cbranch_execz .LBB242_549
; %bb.546:                              ;   in Loop: Header=BB242_289 Depth=1
	v_and_b32_e32 v5, 7, v66
	v_lshrrev_b32_e32 v15, 3, v67
	s_mov_b32 s16, exec_lo
	v_cmpx_gt_u32_e32 8, v67
; %bb.547:                              ;   in Loop: Header=BB242_289 Depth=1
	s_delay_alu instid0(VALU_DEP_3) | instskip(NEXT) | instid1(VALU_DEP_1)
	v_clz_i32_u32_e32 v15, v5
	v_min_u32_e32 v15, 32, v15
	s_delay_alu instid0(VALU_DEP_1) | instskip(SKIP_1) | instid1(VALU_DEP_2)
	v_subrev_nc_u32_e32 v16, 28, v15
	v_sub_nc_u32_e32 v15, 29, v15
	v_lshlrev_b64 v[67:68], v16, v[5:6]
	s_delay_alu instid0(VALU_DEP_1)
	v_and_b32_e32 v5, 7, v67
; %bb.548:                              ;   in Loop: Header=BB242_289 Depth=1
	s_or_b32 exec_lo, exec_lo, s16
	v_lshlrev_b32_e32 v16, 24, v66
	s_delay_alu instid0(VALU_DEP_2) | instskip(SKIP_1) | instid1(VALU_DEP_3)
	v_lshlrev_b32_e32 v5, 20, v5
	v_lshl_add_u32 v15, v15, 23, 0x3c000000
	v_and_b32_e32 v16, 0x80000000, v16
	s_delay_alu instid0(VALU_DEP_1) | instskip(NEXT) | instid1(VALU_DEP_1)
	v_or3_b32 v5, v5, v16, v15
	v_dual_mov_b32 v16, v6 :: v_dual_mov_b32 v15, v5
.LBB242_549:                            ;   in Loop: Header=BB242_289 Depth=1
	s_or_b32 exec_lo, exec_lo, s14
.LBB242_550:                            ;   in Loop: Header=BB242_289 Depth=1
	s_delay_alu instid0(SALU_CYCLE_1)
	s_or_b32 exec_lo, exec_lo, s13
.LBB242_551:                            ;   in Loop: Header=BB242_289 Depth=1
	s_delay_alu instid0(SALU_CYCLE_1) | instskip(NEXT) | instid1(SALU_CYCLE_1)
	s_or_b32 exec_lo, exec_lo, s8
	s_mov_b32 s13, exec_lo
	v_cmpx_lt_u32_e32 0xffffff, v65
	s_cbranch_execz .LBB242_559
; %bb.552:                              ;   in Loop: Header=BB242_289 Depth=1
	v_lshrrev_b32_e32 v66, 24, v65
	v_dual_mov_b32 v18, s5 :: v_dual_mov_b32 v17, s4
	s_mov_b32 s14, exec_lo
	s_delay_alu instid0(VALU_DEP_2)
	v_cmpx_ne_u32_e32 0x80, v66
	s_cbranch_execz .LBB242_558
; %bb.553:                              ;   in Loop: Header=BB242_289 Depth=1
	s_mov_b32 s8, s4
	v_bfe_u32 v65, v65, 24, 7
	v_dual_mov_b32 v18, s9 :: v_dual_mov_b32 v17, s8
	s_mov_b32 s8, exec_lo
	s_delay_alu instid0(VALU_DEP_2)
	v_cmpx_ne_u32_e32 0x7f, v65
	s_cbranch_execz .LBB242_557
; %bb.554:                              ;   in Loop: Header=BB242_289 Depth=1
	v_and_b32_e32 v5, 7, v66
	v_lshrrev_b32_e32 v17, 3, v65
	s_mov_b32 s16, exec_lo
	v_cmpx_gt_u32_e32 8, v65
; %bb.555:                              ;   in Loop: Header=BB242_289 Depth=1
	s_delay_alu instid0(VALU_DEP_3) | instskip(NEXT) | instid1(VALU_DEP_1)
	v_clz_i32_u32_e32 v17, v5
	v_min_u32_e32 v17, 32, v17
	s_delay_alu instid0(VALU_DEP_1) | instskip(SKIP_1) | instid1(VALU_DEP_2)
	v_subrev_nc_u32_e32 v18, 28, v17
	v_sub_nc_u32_e32 v17, 29, v17
	v_lshlrev_b64 v[67:68], v18, v[5:6]
	s_delay_alu instid0(VALU_DEP_1)
	v_and_b32_e32 v5, 7, v67
; %bb.556:                              ;   in Loop: Header=BB242_289 Depth=1
	s_or_b32 exec_lo, exec_lo, s16
	v_lshlrev_b32_e32 v18, 24, v66
	s_delay_alu instid0(VALU_DEP_2) | instskip(SKIP_1) | instid1(VALU_DEP_3)
	v_lshlrev_b32_e32 v5, 20, v5
	v_lshl_add_u32 v17, v17, 23, 0x3c000000
	v_and_b32_e32 v18, 0x80000000, v18
	s_delay_alu instid0(VALU_DEP_1)
	v_or3_b32 v18, v5, v18, v17
	v_mov_b32_e32 v17, v6
.LBB242_557:                            ;   in Loop: Header=BB242_289 Depth=1
	s_or_b32 exec_lo, exec_lo, s8
.LBB242_558:                            ;   in Loop: Header=BB242_289 Depth=1
	s_delay_alu instid0(SALU_CYCLE_1)
	s_or_b32 exec_lo, exec_lo, s14
.LBB242_559:                            ;   in Loop: Header=BB242_289 Depth=1
	s_delay_alu instid0(SALU_CYCLE_1) | instskip(SKIP_4) | instid1(VALU_DEP_3)
	s_or_b32 exec_lo, exec_lo, s13
	v_or_b32_e32 v5, v14, v12
	v_or_b32_e32 v11, v13, v11
	;; [unrolled: 1-line block ×4, first 2 shown]
	v_dual_mul_f32 v13, s10, v5 :: v_dual_mul_f32 v12, s3, v11
	s_delay_alu instid0(VALU_DEP_3) | instskip(NEXT) | instid1(VALU_DEP_3)
	v_mul_f32_e32 v5, s10, v14
	v_mul_f32_e32 v11, s3, v15
	s_and_saveexec_b32 s0, vcc_lo
	s_cbranch_execz .LBB242_288
; %bb.560:                              ;   in Loop: Header=BB242_289 Depth=1
	v_cmp_gt_i32_e32 vcc_lo, s33, v40
	v_cndmask_b32_e32 v12, 0, v12, vcc_lo
	v_cmp_gt_i32_e32 vcc_lo, s33, v42
	v_cndmask_b32_e32 v13, 0, v13, vcc_lo
	;; [unrolled: 2-line block ×4, first 2 shown]
	s_branch .LBB242_288
.LBB242_561:
	s_or_b32 exec_lo, exec_lo, s11
.LBB242_562:
	s_delay_alu instid0(SALU_CYCLE_1)
	s_or_b32 exec_lo, exec_lo, s1
	ds_bpermute_b32 v1, v22, v32
	ds_bpermute_b32 v2, v22, v31
	ds_bpermute_b32 v3, v22, v30
	ds_bpermute_b32 v4, v22, v29
	ds_bpermute_b32 v5, v22, v28
	ds_bpermute_b32 v6, v22, v27
	ds_bpermute_b32 v7, v22, v26
	ds_bpermute_b32 v8, v22, v25
	v_lshrrev_b32_e32 v9, 2, v21
	v_lshl_add_u32 v10, v105, 8, 0x120
	s_mov_b32 s0, exec_lo
	s_waitcnt lgkmcnt(0)
	s_waitcnt_vscnt null, 0x0
	s_barrier
	buffer_gl0_inv
	v_dual_add_f32 v1, v32, v1 :: v_dual_add_f32 v2, v31, v2
	v_dual_add_f32 v3, v30, v3 :: v_dual_add_f32 v4, v29, v4
	;; [unrolled: 1-line block ×4, first 2 shown]
	ds_bpermute_b32 v5, v23, v1
	ds_bpermute_b32 v6, v23, v2
	;; [unrolled: 1-line block ×8, first 2 shown]
	s_waitcnt lgkmcnt(7)
	v_dual_add_f32 v8, v1, v5 :: v_dual_and_b32 v21, 0x3c3, v0
	s_waitcnt lgkmcnt(5)
	v_dual_add_f32 v7, v2, v6 :: v_dual_add_f32 v6, v3, v15
	s_waitcnt lgkmcnt(3)
	v_dual_add_f32 v5, v4, v16 :: v_dual_add_f32 v4, v11, v17
	;; [unrolled: 2-line block ×3, first 2 shown]
	s_waitcnt lgkmcnt(0)
	v_add_f32_e32 v1, v14, v20
	v_cmpx_eq_u32_e32 64, v21
	s_cbranch_execz .LBB242_564
; %bb.563:
	v_lshlrev_b32_e32 v11, 2, v9
	s_delay_alu instid0(VALU_DEP_1)
	v_add3_u32 v11, v10, v11, 0xfffffe00
	ds_store_2addr_b32 v11, v8, v7 offset1:8
	ds_store_2addr_b32 v11, v6, v5 offset0:16 offset1:24
	ds_store_2addr_b32 v11, v4, v3 offset0:32 offset1:40
	;; [unrolled: 1-line block ×3, first 2 shown]
.LBB242_564:
	s_or_b32 exec_lo, exec_lo, s0
	v_cmp_eq_u32_e32 vcc_lo, 0, v24
	s_mov_b32 s1, exec_lo
	s_waitcnt lgkmcnt(0)
	s_barrier
	buffer_gl0_inv
	v_cmpx_gt_u32_e32 64, v0
	s_cbranch_execz .LBB242_575
; %bb.565:
	s_and_saveexec_b32 s0, vcc_lo
	s_cbranch_execnz .LBB242_591
; %bb.566:
	s_or_b32 exec_lo, exec_lo, s0
	s_and_saveexec_b32 s0, vcc_lo
	s_cbranch_execnz .LBB242_592
.LBB242_567:
	s_or_b32 exec_lo, exec_lo, s0
	s_and_saveexec_b32 s0, vcc_lo
	s_cbranch_execnz .LBB242_593
.LBB242_568:
	s_or_b32 exec_lo, exec_lo, s0
	s_and_saveexec_b32 s0, vcc_lo
	s_cbranch_execnz .LBB242_594
.LBB242_569:
	s_or_b32 exec_lo, exec_lo, s0
	s_and_saveexec_b32 s0, vcc_lo
	s_cbranch_execnz .LBB242_595
.LBB242_570:
	s_or_b32 exec_lo, exec_lo, s0
	s_and_saveexec_b32 s0, vcc_lo
	s_cbranch_execnz .LBB242_596
.LBB242_571:
	s_or_b32 exec_lo, exec_lo, s0
	s_and_saveexec_b32 s0, vcc_lo
	s_cbranch_execnz .LBB242_597
.LBB242_572:
	s_or_b32 exec_lo, exec_lo, s0
	s_and_saveexec_b32 s0, vcc_lo
	s_cbranch_execz .LBB242_574
.LBB242_573:
	v_lshl_add_u32 v11, v9, 2, v10
	ds_load_b32 v11, v11 offset:224
	s_waitcnt lgkmcnt(0)
	v_add_f32_e32 v1, v1, v11
.LBB242_574:
	s_or_b32 exec_lo, exec_lo, s0
.LBB242_575:
	s_delay_alu instid0(SALU_CYCLE_1)
	s_or_b32 exec_lo, exec_lo, s1
	v_and_b32_e32 v11, 0x3e3, v0
	s_mov_b32 s1, exec_lo
	s_barrier
	buffer_gl0_inv
	v_cmpx_eq_u32_e32 32, v11
	s_cbranch_execz .LBB242_577
; %bb.576:
	v_lshl_add_u32 v12, v9, 2, 0x120
	ds_store_2addr_b32 v12, v8, v7 offset1:8
	ds_store_2addr_b32 v12, v6, v5 offset0:16 offset1:24
	ds_store_2addr_b32 v12, v4, v3 offset0:32 offset1:40
	;; [unrolled: 1-line block ×3, first 2 shown]
.LBB242_577:
	s_or_b32 exec_lo, exec_lo, s1
	s_waitcnt lgkmcnt(0)
	s_barrier
	buffer_gl0_inv
	s_and_saveexec_b32 s0, s2
	s_cbranch_execz .LBB242_588
; %bb.578:
	v_lshl_add_u32 v9, v9, 2, v10
	s_and_saveexec_b32 s1, vcc_lo
	s_cbranch_execnz .LBB242_598
; %bb.579:
	s_or_b32 exec_lo, exec_lo, s1
	s_and_saveexec_b32 s1, vcc_lo
	s_cbranch_execnz .LBB242_599
.LBB242_580:
	s_or_b32 exec_lo, exec_lo, s1
	s_and_saveexec_b32 s1, vcc_lo
	s_cbranch_execnz .LBB242_600
.LBB242_581:
	s_or_b32 exec_lo, exec_lo, s1
	s_and_saveexec_b32 s1, vcc_lo
	s_cbranch_execnz .LBB242_601
.LBB242_582:
	s_or_b32 exec_lo, exec_lo, s1
	s_and_saveexec_b32 s1, vcc_lo
	s_cbranch_execnz .LBB242_602
.LBB242_583:
	s_or_b32 exec_lo, exec_lo, s1
	s_and_saveexec_b32 s1, vcc_lo
	s_cbranch_execnz .LBB242_603
.LBB242_584:
	s_or_b32 exec_lo, exec_lo, s1
	s_and_saveexec_b32 s1, vcc_lo
	s_cbranch_execnz .LBB242_604
.LBB242_585:
	s_or_b32 exec_lo, exec_lo, s1
	s_and_saveexec_b32 s1, vcc_lo
	s_cbranch_execz .LBB242_587
.LBB242_586:
	ds_load_b32 v9, v9 offset:224
	s_waitcnt lgkmcnt(0)
	v_add_f32_e32 v1, v1, v9
.LBB242_587:
	s_or_b32 exec_lo, exec_lo, s1
.LBB242_588:
	s_delay_alu instid0(SALU_CYCLE_1)
	s_or_b32 exec_lo, exec_lo, s0
	s_barrier
	buffer_gl0_inv
	s_mov_b32 s0, exec_lo
	v_cmpx_eq_u32_e32 0, v11
	s_cbranch_execz .LBB242_590
; %bb.589:
	s_lshl_b32 s0, s6, 6
	s_mul_i32 s2, s15, s20
	s_ashr_i32 s1, s0, 31
	s_delay_alu instid0(SALU_CYCLE_1) | instskip(NEXT) | instid1(SALU_CYCLE_1)
	s_lshl_b64 s[0:1], s[0:1], 2
	s_add_u32 s4, s22, s0
	s_addc_u32 s5, s23, s1
	s_ashr_i32 s3, s2, 31
	s_delay_alu instid0(SALU_CYCLE_1) | instskip(NEXT) | instid1(SALU_CYCLE_1)
	s_lshl_b64 s[0:1], s[2:3], 2
	s_add_u32 s2, s4, s0
	s_addc_u32 s3, s5, s1
	s_lshl_b32 s0, s12, 6
	s_delay_alu instid0(SALU_CYCLE_1) | instskip(NEXT) | instid1(SALU_CYCLE_1)
	s_ashr_i32 s1, s0, 31
	s_lshl_b64 s[0:1], s[0:1], 2
	s_delay_alu instid0(SALU_CYCLE_1)
	s_add_u32 s0, s2, s0
	s_addc_u32 s1, s3, s1
	s_clause 0x7
	global_store_b32 v0, v8, s[0:1]
	global_store_b32 v0, v7, s[0:1] offset:32
	global_store_b32 v0, v6, s[0:1] offset:64
	;; [unrolled: 1-line block ×7, first 2 shown]
.LBB242_590:
	s_nop 0
	s_sendmsg sendmsg(MSG_DEALLOC_VGPRS)
	s_endpgm
.LBB242_591:
	v_lshl_add_u32 v11, v9, 2, v10
	ds_load_b32 v11, v11
	s_waitcnt lgkmcnt(0)
	v_add_f32_e32 v8, v8, v11
	s_or_b32 exec_lo, exec_lo, s0
	s_and_saveexec_b32 s0, vcc_lo
	s_cbranch_execz .LBB242_567
.LBB242_592:
	v_lshl_add_u32 v11, v9, 2, v10
	ds_load_b32 v11, v11 offset:32
	s_waitcnt lgkmcnt(0)
	v_add_f32_e32 v7, v7, v11
	s_or_b32 exec_lo, exec_lo, s0
	s_and_saveexec_b32 s0, vcc_lo
	s_cbranch_execz .LBB242_568
.LBB242_593:
	v_lshl_add_u32 v11, v9, 2, v10
	ds_load_b32 v11, v11 offset:64
	s_waitcnt lgkmcnt(0)
	v_add_f32_e32 v6, v6, v11
	s_or_b32 exec_lo, exec_lo, s0
	s_and_saveexec_b32 s0, vcc_lo
	s_cbranch_execz .LBB242_569
.LBB242_594:
	v_lshl_add_u32 v11, v9, 2, v10
	ds_load_b32 v11, v11 offset:96
	s_waitcnt lgkmcnt(0)
	v_add_f32_e32 v5, v5, v11
	s_or_b32 exec_lo, exec_lo, s0
	s_and_saveexec_b32 s0, vcc_lo
	s_cbranch_execz .LBB242_570
.LBB242_595:
	v_lshl_add_u32 v11, v9, 2, v10
	ds_load_b32 v11, v11 offset:128
	s_waitcnt lgkmcnt(0)
	v_add_f32_e32 v4, v4, v11
	s_or_b32 exec_lo, exec_lo, s0
	s_and_saveexec_b32 s0, vcc_lo
	s_cbranch_execz .LBB242_571
.LBB242_596:
	v_lshl_add_u32 v11, v9, 2, v10
	ds_load_b32 v11, v11 offset:160
	s_waitcnt lgkmcnt(0)
	v_add_f32_e32 v3, v3, v11
	s_or_b32 exec_lo, exec_lo, s0
	s_and_saveexec_b32 s0, vcc_lo
	s_cbranch_execz .LBB242_572
.LBB242_597:
	v_lshl_add_u32 v11, v9, 2, v10
	ds_load_b32 v11, v11 offset:192
	s_waitcnt lgkmcnt(0)
	v_add_f32_e32 v2, v2, v11
	s_or_b32 exec_lo, exec_lo, s0
	s_and_saveexec_b32 s0, vcc_lo
	s_cbranch_execnz .LBB242_573
	s_branch .LBB242_574
.LBB242_598:
	ds_load_b32 v10, v9
	s_waitcnt lgkmcnt(0)
	v_add_f32_e32 v8, v8, v10
	s_or_b32 exec_lo, exec_lo, s1
	s_and_saveexec_b32 s1, vcc_lo
	s_cbranch_execz .LBB242_580
.LBB242_599:
	ds_load_b32 v10, v9 offset:32
	s_waitcnt lgkmcnt(0)
	v_add_f32_e32 v7, v7, v10
	s_or_b32 exec_lo, exec_lo, s1
	s_and_saveexec_b32 s1, vcc_lo
	s_cbranch_execz .LBB242_581
.LBB242_600:
	ds_load_b32 v10, v9 offset:64
	s_waitcnt lgkmcnt(0)
	v_add_f32_e32 v6, v6, v10
	s_or_b32 exec_lo, exec_lo, s1
	s_and_saveexec_b32 s1, vcc_lo
	s_cbranch_execz .LBB242_582
.LBB242_601:
	ds_load_b32 v10, v9 offset:96
	s_waitcnt lgkmcnt(0)
	v_add_f32_e32 v5, v5, v10
	s_or_b32 exec_lo, exec_lo, s1
	s_and_saveexec_b32 s1, vcc_lo
	s_cbranch_execz .LBB242_583
.LBB242_602:
	ds_load_b32 v10, v9 offset:128
	s_waitcnt lgkmcnt(0)
	v_add_f32_e32 v4, v4, v10
	s_or_b32 exec_lo, exec_lo, s1
	s_and_saveexec_b32 s1, vcc_lo
	s_cbranch_execz .LBB242_584
.LBB242_603:
	ds_load_b32 v10, v9 offset:160
	s_waitcnt lgkmcnt(0)
	v_add_f32_e32 v3, v3, v10
	s_or_b32 exec_lo, exec_lo, s1
	s_and_saveexec_b32 s1, vcc_lo
	s_cbranch_execz .LBB242_585
.LBB242_604:
	ds_load_b32 v10, v9 offset:192
	s_waitcnt lgkmcnt(0)
	v_add_f32_e32 v2, v2, v10
	s_or_b32 exec_lo, exec_lo, s1
	s_and_saveexec_b32 s1, vcc_lo
	s_cbranch_execnz .LBB242_586
	s_branch .LBB242_587
	.section	.rodata,"a",@progbits
	.p2align	6, 0x0
	.amdhsa_kernel _ZN4vllm25paged_attention_v2_kernelIfhLi64ELi16ELi128ELNS_18Fp8KVCacheDataTypeE1ELb0ELi512EEEvPfS2_PT_PKS3_PKT0_S9_ifPKiSB_iPKfiiiSD_SD_iiiii
		.amdhsa_group_segment_fixed_size 288
		.amdhsa_private_segment_fixed_size 0
		.amdhsa_kernarg_size 400
		.amdhsa_user_sgpr_count 13
		.amdhsa_user_sgpr_dispatch_ptr 0
		.amdhsa_user_sgpr_queue_ptr 0
		.amdhsa_user_sgpr_kernarg_segment_ptr 1
		.amdhsa_user_sgpr_dispatch_id 0
		.amdhsa_user_sgpr_private_segment_size 0
		.amdhsa_wavefront_size32 1
		.amdhsa_uses_dynamic_stack 0
		.amdhsa_enable_private_segment 0
		.amdhsa_system_sgpr_workgroup_id_x 1
		.amdhsa_system_sgpr_workgroup_id_y 1
		.amdhsa_system_sgpr_workgroup_id_z 1
		.amdhsa_system_sgpr_workgroup_info 0
		.amdhsa_system_vgpr_workitem_id 0
		.amdhsa_next_free_vgpr 118
		.amdhsa_next_free_sgpr 47
		.amdhsa_reserve_vcc 1
		.amdhsa_float_round_mode_32 0
		.amdhsa_float_round_mode_16_64 0
		.amdhsa_float_denorm_mode_32 3
		.amdhsa_float_denorm_mode_16_64 3
		.amdhsa_dx10_clamp 1
		.amdhsa_ieee_mode 1
		.amdhsa_fp16_overflow 0
		.amdhsa_workgroup_processor_mode 1
		.amdhsa_memory_ordered 1
		.amdhsa_forward_progress 0
		.amdhsa_shared_vgpr_count 0
		.amdhsa_exception_fp_ieee_invalid_op 0
		.amdhsa_exception_fp_denorm_src 0
		.amdhsa_exception_fp_ieee_div_zero 0
		.amdhsa_exception_fp_ieee_overflow 0
		.amdhsa_exception_fp_ieee_underflow 0
		.amdhsa_exception_fp_ieee_inexact 0
		.amdhsa_exception_int_div_zero 0
	.end_amdhsa_kernel
	.section	.text._ZN4vllm25paged_attention_v2_kernelIfhLi64ELi16ELi128ELNS_18Fp8KVCacheDataTypeE1ELb0ELi512EEEvPfS2_PT_PKS3_PKT0_S9_ifPKiSB_iPKfiiiSD_SD_iiiii,"axG",@progbits,_ZN4vllm25paged_attention_v2_kernelIfhLi64ELi16ELi128ELNS_18Fp8KVCacheDataTypeE1ELb0ELi512EEEvPfS2_PT_PKS3_PKT0_S9_ifPKiSB_iPKfiiiSD_SD_iiiii,comdat
.Lfunc_end242:
	.size	_ZN4vllm25paged_attention_v2_kernelIfhLi64ELi16ELi128ELNS_18Fp8KVCacheDataTypeE1ELb0ELi512EEEvPfS2_PT_PKS3_PKT0_S9_ifPKiSB_iPKfiiiSD_SD_iiiii, .Lfunc_end242-_ZN4vllm25paged_attention_v2_kernelIfhLi64ELi16ELi128ELNS_18Fp8KVCacheDataTypeE1ELb0ELi512EEEvPfS2_PT_PKS3_PKT0_S9_ifPKiSB_iPKfiiiSD_SD_iiiii
                                        ; -- End function
	.section	.AMDGPU.csdata,"",@progbits
; Kernel info:
; codeLenInByte = 20936
; NumSgprs: 49
; NumVgprs: 118
; ScratchSize: 0
; MemoryBound: 0
; FloatMode: 240
; IeeeMode: 1
; LDSByteSize: 288 bytes/workgroup (compile time only)
; SGPRBlocks: 6
; VGPRBlocks: 14
; NumSGPRsForWavesPerEU: 49
; NumVGPRsForWavesPerEU: 118
; Occupancy: 12
; WaveLimiterHint : 1
; COMPUTE_PGM_RSRC2:SCRATCH_EN: 0
; COMPUTE_PGM_RSRC2:USER_SGPR: 13
; COMPUTE_PGM_RSRC2:TRAP_HANDLER: 0
; COMPUTE_PGM_RSRC2:TGID_X_EN: 1
; COMPUTE_PGM_RSRC2:TGID_Y_EN: 1
; COMPUTE_PGM_RSRC2:TGID_Z_EN: 1
; COMPUTE_PGM_RSRC2:TIDIG_COMP_CNT: 0
	.section	.text._ZN4vllm25paged_attention_v2_kernelIfhLi80ELi16ELi128ELNS_18Fp8KVCacheDataTypeE1ELb0ELi512EEEvPfS2_PT_PKS3_PKT0_S9_ifPKiSB_iPKfiiiSD_SD_iiiii,"axG",@progbits,_ZN4vllm25paged_attention_v2_kernelIfhLi80ELi16ELi128ELNS_18Fp8KVCacheDataTypeE1ELb0ELi512EEEvPfS2_PT_PKS3_PKT0_S9_ifPKiSB_iPKfiiiSD_SD_iiiii,comdat
	.protected	_ZN4vllm25paged_attention_v2_kernelIfhLi80ELi16ELi128ELNS_18Fp8KVCacheDataTypeE1ELb0ELi512EEEvPfS2_PT_PKS3_PKT0_S9_ifPKiSB_iPKfiiiSD_SD_iiiii ; -- Begin function _ZN4vllm25paged_attention_v2_kernelIfhLi80ELi16ELi128ELNS_18Fp8KVCacheDataTypeE1ELb0ELi512EEEvPfS2_PT_PKS3_PKT0_S9_ifPKiSB_iPKfiiiSD_SD_iiiii
	.globl	_ZN4vllm25paged_attention_v2_kernelIfhLi80ELi16ELi128ELNS_18Fp8KVCacheDataTypeE1ELb0ELi512EEEvPfS2_PT_PKS3_PKT0_S9_ifPKiSB_iPKfiiiSD_SD_iiiii
	.p2align	8
	.type	_ZN4vllm25paged_attention_v2_kernelIfhLi80ELi16ELi128ELNS_18Fp8KVCacheDataTypeE1ELb0ELi512EEEvPfS2_PT_PKS3_PKT0_S9_ifPKiSB_iPKfiiiSD_SD_iiiii,@function
_ZN4vllm25paged_attention_v2_kernelIfhLi80ELi16ELi128ELNS_18Fp8KVCacheDataTypeE1ELb0ELi512EEEvPfS2_PT_PKS3_PKT0_S9_ifPKiSB_iPKfiiiSD_SD_iiiii: ; @_ZN4vllm25paged_attention_v2_kernelIfhLi80ELi16ELi128ELNS_18Fp8KVCacheDataTypeE1ELb0ELi512EEEvPfS2_PT_PKS3_PKT0_S9_ifPKiSB_iPKfiiiSD_SD_iiiii
; %bb.0:
	s_load_b64 s[2:3], s[0:1], 0x40
	s_mov_b32 s12, s15
	s_ashr_i32 s15, s14, 31
	s_delay_alu instid0(SALU_CYCLE_1)
	s_lshl_b64 s[4:5], s[14:15], 2
	s_waitcnt lgkmcnt(0)
	s_add_u32 s2, s2, s4
	s_addc_u32 s3, s3, s5
	s_lshl_b32 s36, s12, 9
	s_load_b32 s33, s[2:3], 0x0
	s_waitcnt lgkmcnt(0)
	s_cmp_ge_i32 s36, s33
	s_cbranch_scc1 .LBB243_726
; %bb.1:
	s_mov_b32 s24, s13
	s_clause 0x1
	s_load_b32 s13, s[0:1], 0x90
	s_load_b64 s[34:35], s[0:1], 0x30
	s_mov_b32 s37, 0
	s_waitcnt lgkmcnt(0)
	s_abs_i32 s5, s13
	s_abs_i32 s2, s34
	s_delay_alu instid0(SALU_CYCLE_1) | instskip(SKIP_1) | instid1(VALU_DEP_1)
	v_cvt_f32_u32_e32 v1, s2
	s_sub_i32 s4, 0, s2
	v_rcp_iflag_f32_e32 v1, v1
	s_waitcnt_depctr 0xfff
	v_mul_f32_e32 v1, 0x4f7ffffe, v1
	s_delay_alu instid0(VALU_DEP_1) | instskip(NEXT) | instid1(VALU_DEP_1)
	v_cvt_u32_f32_e32 v1, v1
	v_readfirstlane_b32 s3, v1
	s_delay_alu instid0(VALU_DEP_1) | instskip(NEXT) | instid1(SALU_CYCLE_1)
	s_mul_i32 s4, s4, s3
	s_mul_hi_u32 s4, s3, s4
	s_delay_alu instid0(SALU_CYCLE_1) | instskip(SKIP_4) | instid1(SALU_CYCLE_1)
	s_add_i32 s3, s3, s4
	s_xor_b32 s4, s13, s34
	s_mul_hi_u32 s3, s5, s3
	s_ashr_i32 s4, s4, 31
	s_mul_i32 s6, s3, s2
	s_sub_i32 s5, s5, s6
	s_add_i32 s6, s3, 1
	s_sub_i32 s7, s5, s2
	s_cmp_ge_u32 s5, s2
	s_cselect_b32 s3, s6, s3
	s_cselect_b32 s5, s7, s5
	s_add_i32 s6, s3, 1
	s_cmp_ge_u32 s5, s2
	s_cselect_b32 s2, s6, s3
	s_abs_i32 s10, s24
	s_xor_b32 s2, s2, s4
	s_delay_alu instid0(SALU_CYCLE_1) | instskip(SKIP_2) | instid1(SALU_CYCLE_1)
	s_sub_i32 s11, s2, s4
	s_load_b64 s[2:3], s[0:1], 0x50
	s_abs_i32 s8, s11
	v_cvt_f32_u32_e32 v1, s8
	s_sub_i32 s5, 0, s8
	s_delay_alu instid0(VALU_DEP_1) | instskip(SKIP_2) | instid1(VALU_DEP_1)
	v_rcp_iflag_f32_e32 v1, v1
	s_waitcnt_depctr 0xfff
	v_mul_f32_e32 v1, 0x4f7ffffe, v1
	v_cvt_u32_f32_e32 v1, v1
	s_delay_alu instid0(VALU_DEP_1) | instskip(NEXT) | instid1(VALU_DEP_1)
	v_readfirstlane_b32 s4, v1
	s_mul_i32 s5, s5, s4
	s_delay_alu instid0(SALU_CYCLE_1) | instskip(NEXT) | instid1(SALU_CYCLE_1)
	s_mul_hi_u32 s5, s4, s5
	s_add_i32 s4, s4, s5
	s_waitcnt lgkmcnt(0)
	s_cmp_eq_u64 s[2:3], 0
	s_mul_hi_u32 s9, s10, s4
	s_cbranch_scc1 .LBB243_3
; %bb.2:
	s_ashr_i32 s25, s24, 31
	s_delay_alu instid0(SALU_CYCLE_1) | instskip(NEXT) | instid1(SALU_CYCLE_1)
	s_lshl_b64 s[4:5], s[24:25], 2
	s_add_u32 s2, s2, s4
	s_addc_u32 s3, s3, s5
	s_load_b32 s37, s[2:3], 0x0
.LBB243_3:
	s_load_b128 s[4:7], s[0:1], 0x58
	v_and_b32_e32 v43, 1, v0
	v_lshlrev_b32_e32 v130, 2, v0
	s_ashr_i32 s2, s24, 31
	s_ashr_i32 s3, s11, 31
	s_mul_i32 s20, s24, 0x50
	s_waitcnt lgkmcnt(0)
	s_mov_b32 s7, exec_lo
	v_cmpx_gt_u32_e32 40, v0
	s_cbranch_execz .LBB243_5
; %bb.4:
	s_load_b64 s[16:17], s[0:1], 0x18
	s_mul_i32 s18, s14, s4
	v_lshlrev_b32_e32 v1, 3, v0
	s_ashr_i32 s19, s18, 31
	v_and_b32_e32 v3, 0xff8, v130
	s_lshl_b64 s[18:19], s[18:19], 2
	s_delay_alu instid0(VALU_DEP_1) | instskip(SKIP_4) | instid1(SALU_CYCLE_1)
	v_mad_u32_u24 v3, 0xa0, v43, v3
	s_waitcnt lgkmcnt(0)
	s_add_u32 s4, s16, s18
	s_addc_u32 s11, s17, s19
	s_ashr_i32 s21, s20, 31
	s_lshl_b64 s[16:17], s[20:21], 2
	s_delay_alu instid0(SALU_CYCLE_1)
	s_add_u32 s16, s4, s16
	s_addc_u32 s17, s11, s17
	global_load_b64 v[1:2], v1, s[16:17]
	s_waitcnt vmcnt(0)
	ds_store_b64 v3, v[1:2]
.LBB243_5:
	s_or_b32 exec_lo, exec_lo, s7
	s_add_i32 s7, s33, 15
	s_lshl_b32 s4, s12, 5
	s_ashr_i32 s11, s7, 31
	s_xor_b32 s2, s2, s3
	s_lshr_b32 s11, s11, 28
	s_add_i32 s3, s4, 32
	s_add_i32 s7, s7, s11
	v_lshrrev_b32_e32 v129, 5, v0
	s_ashr_i32 s25, s7, 4
	s_mul_i32 s7, s9, s8
	s_min_i32 s21, s3, s25
	s_clause 0x1
	s_load_b64 s[26:27], s[0:1], 0x38
	s_load_b32 s3, s[0:1], 0x48
	s_sub_i32 s7, s10, s7
	s_add_i32 s10, s9, 1
	s_sub_i32 s11, s7, s8
	s_cmp_ge_u32 s7, s8
	v_or_b32_e32 v41, s4, v129
	s_cselect_b32 s9, s10, s9
	s_cselect_b32 s7, s11, s7
	s_add_i32 s10, s9, 1
	s_cmp_ge_u32 s7, s8
	v_mbcnt_lo_u32_b32 v131, -1, 0
	s_cselect_b32 s7, s10, s9
	s_waitcnt lgkmcnt(0)
	s_xor_b32 s7, s7, s2
	s_barrier
	s_sub_i32 s34, s7, s2
	v_cmp_gt_i32_e64 s2, s21, v41
	s_mov_b32 s7, exec_lo
	buffer_gl0_inv
                                        ; implicit-def: $vgpr132
	s_mul_i32 s28, s14, s3
                                        ; implicit-def: $sgpr3
	s_delay_alu instid0(SALU_CYCLE_1)
	s_ashr_i32 s29, s28, 31
	v_cmpx_le_i32_e64 s21, v41
	s_xor_b32 s7, exec_lo, s7
; %bb.6:
	v_mbcnt_lo_u32_b32 v131, -1, 0
	v_mov_b32_e32 v132, 32
	s_mov_b32 s3, 0xff7fffff
                                        ; implicit-def: $vgpr43
; %bb.7:
	s_or_saveexec_b32 s38, s7
	s_clause 0x4
	s_load_b128 s[16:19], s[0:1], 0x0
	s_load_b64 s[22:23], s[0:1], 0x10
	s_load_b32 s15, s[0:1], 0x98
	s_load_b64 s[30:31], s[0:1], 0x28
	s_load_b128 s[8:11], s[0:1], 0x68
	v_mov_b32_e32 v134, s3
	v_ashrrev_i32_e32 v42, 31, v41
	s_mul_i32 s34, s34, s6
	s_xor_b32 exec_lo, exec_lo, s38
	s_cbranch_execz .LBB243_333
; %bb.8:
	s_load_b64 s[0:1], s[0:1], 0x20
	v_xor_b32_e32 v33, 1, v131
	v_bfe_u32 v47, v0, 1, 4
	v_mul_u32_u24_e32 v37, 0xa0, v43
	s_ashr_i32 s3, s34, 31
	ds_load_b128 v[1:4], v37
	ds_load_b128 v[5:8], v37 offset:16
	ds_load_b128 v[9:12], v37 offset:32
	;; [unrolled: 1-line block ×5, first 2 shown]
	v_cmp_gt_i32_e32 vcc_lo, 32, v33
	v_dual_mov_b32 v132, 32 :: v_dual_lshlrev_b32 v25, 4, v47
	v_dual_mov_b32 v44, 0 :: v_dual_lshlrev_b32 v49, 2, v47
	v_dual_cndmask_b32 v48, v131, v33 :: v_dual_lshlrev_b32 v133, 1, v43
	v_cmp_eq_u32_e32 vcc_lo, 0, v43
	s_delay_alu instid0(VALU_DEP_3)
	v_lshl_or_b32 v43, v129, 6, v49
	v_mov_b32_e32 v134, 0xff7fffff
	v_mov_b32_e32 v138, v41
	s_waitcnt lgkmcnt(0)
	s_add_u32 s0, s0, s34
	v_lshlrev_b32_e32 v135, 2, v48
	v_add_co_u32 v45, s0, s0, v25
	ds_load_b128 v[25:28], v37 offset:96
	ds_load_b128 v[29:32], v37 offset:112
	;; [unrolled: 1-line block ×4, first 2 shown]
	s_load_b32 s40, s[8:9], 0x0
	v_lshlrev_b32_e32 v48, 4, v129
	s_addc_u32 s1, s1, s3
	s_lshl_b64 s[8:9], s[28:29], 2
	s_sub_i32 s41, 1, s33
	v_add_co_ci_u32_e64 v46, null, s1, 0, s0
	v_add3_u32 v136, s36, v48, v47
	v_lshlrev_b64 v[47:48], 2, v[41:42]
	s_add_u32 s1, s26, s8
	s_addc_u32 s3, s27, s9
	v_cmp_neq_f32_e64 s0, s37, 0
	v_add_nc_u32_e32 v137, 0x160, v43
	s_mov_b32 s6, 0
	v_add_co_u32 v47, s1, s1, v47
	s_delay_alu instid0(VALU_DEP_1)
	v_add_co_ci_u32_e64 v48, s1, s3, v48, s1
	s_mov_b32 s39, s5
	s_brev_b32 s7, 1
	s_waitcnt lgkmcnt(0)
	s_mov_b32 s42, s40
	s_mov_b32 s9, 0x7f800001
	;; [unrolled: 1-line block ×3, first 2 shown]
	s_branch .LBB243_10
.LBB243_9:                              ;   in Loop: Header=BB243_10 Depth=1
	s_or_b32 exec_lo, exec_lo, s3
	v_add_nc_u32_e32 v138, 4, v138
	v_add_co_u32 v47, s3, v47, 16
	v_add_nc_u32_e32 v136, 64, v136
	v_add_nc_u32_e32 v137, 0x100, v137
	s_delay_alu instid0(VALU_DEP_4) | instskip(SKIP_1) | instid1(VALU_DEP_2)
	v_cmp_le_i32_e64 s1, s21, v138
	v_add_co_ci_u32_e64 v48, s3, 0, v48, s3
	s_or_b32 s43, s1, s43
	s_delay_alu instid0(SALU_CYCLE_1)
	s_and_not1_b32 exec_lo, exec_lo, s43
	s_cbranch_execz .LBB243_332
.LBB243_10:                             ; =>This Inner Loop Header: Depth=1
	global_load_b32 v43, v[47:48], off
	s_waitcnt vmcnt(0) lgkmcnt(0)
	v_mad_i64_i32 v[49:50], null, v43, s39, v[45:46]
	s_delay_alu instid0(VALU_DEP_1) | instskip(NEXT) | instid1(VALU_DEP_1)
	v_add_co_u32 v61, s1, v49, v133
	v_add_co_ci_u32_e64 v62, s1, 0, v50, s1
	v_mov_b32_e32 v49, 0
	global_load_u16 v43, v[61:62], off
	s_waitcnt vmcnt(0)
	v_dual_mov_b32 v50, 0 :: v_dual_and_b32 v51, 0xff, v43
	v_and_b32_e32 v53, 0xffff, v43
	s_delay_alu instid0(VALU_DEP_2) | instskip(NEXT) | instid1(VALU_DEP_3)
	v_cmp_ne_u16_e64 s1, 0, v51
	v_dual_mov_b32 v52, v50 :: v_dual_mov_b32 v51, v49
	s_delay_alu instid0(VALU_DEP_2)
	s_and_saveexec_b32 s3, s1
	s_cbranch_execz .LBB243_18
; %bb.11:                               ;   in Loop: Header=BB243_10 Depth=1
	v_bfrev_b32_e32 v51, 1
	v_dual_mov_b32 v52, 0 :: v_dual_and_b32 v43, 0xff, v53
	s_mov_b32 s8, exec_lo
	s_delay_alu instid0(VALU_DEP_1)
	v_cmpx_ne_u16_e32 0x80, v43
	s_cbranch_execz .LBB243_17
; %bb.12:                               ;   in Loop: Header=BB243_10 Depth=1
	v_mov_b32_e32 v51, 0x7f800001
	v_and_b32_e32 v54, 0x7f, v53
	v_mov_b32_e32 v52, 0
	s_mov_b32 s44, exec_lo
	s_delay_alu instid0(VALU_DEP_2)
	v_cmpx_ne_u32_e32 0x7f, v54
	s_cbranch_execz .LBB243_16
; %bb.13:                               ;   in Loop: Header=BB243_10 Depth=1
	v_and_b32_e32 v43, 7, v53
	v_lshrrev_b32_e32 v51, 3, v54
	s_mov_b32 s45, exec_lo
	v_cmpx_gt_u32_e32 8, v54
; %bb.14:                               ;   in Loop: Header=BB243_10 Depth=1
	s_delay_alu instid0(VALU_DEP_3) | instskip(NEXT) | instid1(VALU_DEP_1)
	v_clz_i32_u32_e32 v51, v43
	v_min_u32_e32 v51, 32, v51
	s_delay_alu instid0(VALU_DEP_1) | instskip(SKIP_1) | instid1(VALU_DEP_2)
	v_subrev_nc_u32_e32 v52, 28, v51
	v_sub_nc_u32_e32 v51, 29, v51
	v_lshlrev_b64 v[54:55], v52, v[43:44]
	s_delay_alu instid0(VALU_DEP_1)
	v_and_b32_e32 v43, 7, v54
; %bb.15:                               ;   in Loop: Header=BB243_10 Depth=1
	s_or_b32 exec_lo, exec_lo, s45
	v_lshlrev_b32_e32 v52, 24, v53
	s_delay_alu instid0(VALU_DEP_2) | instskip(SKIP_1) | instid1(VALU_DEP_3)
	v_lshlrev_b32_e32 v43, 20, v43
	v_lshl_add_u32 v51, v51, 23, 0x3c000000
	v_and_b32_e32 v52, 0x80000000, v52
	s_delay_alu instid0(VALU_DEP_1) | instskip(NEXT) | instid1(VALU_DEP_1)
	v_or3_b32 v43, v43, v52, v51
	v_dual_mov_b32 v52, v44 :: v_dual_mov_b32 v51, v43
.LBB243_16:                             ;   in Loop: Header=BB243_10 Depth=1
	s_or_b32 exec_lo, exec_lo, s44
.LBB243_17:                             ;   in Loop: Header=BB243_10 Depth=1
	s_delay_alu instid0(SALU_CYCLE_1)
	s_or_b32 exec_lo, exec_lo, s8
.LBB243_18:                             ;   in Loop: Header=BB243_10 Depth=1
	s_delay_alu instid0(SALU_CYCLE_1) | instskip(SKIP_2) | instid1(VALU_DEP_1)
	s_or_b32 exec_lo, exec_lo, s3
	v_lshrrev_b16 v43, 8, v53
	s_mov_b32 s3, exec_lo
	v_cmpx_ne_u16_e32 0, v43
	s_cbranch_execz .LBB243_26
; %bb.19:                               ;   in Loop: Header=BB243_10 Depth=1
	v_dual_mov_b32 v50, s7 :: v_dual_mov_b32 v49, s6
	s_mov_b32 s44, exec_lo
	v_cmpx_ne_u16_e32 0x80, v43
	s_cbranch_execz .LBB243_25
; %bb.20:                               ;   in Loop: Header=BB243_10 Depth=1
	s_mov_b32 s8, s6
	v_dual_mov_b32 v50, s9 :: v_dual_and_b32 v43, 0xffff, v43
	v_mov_b32_e32 v49, s8
	s_mov_b32 s8, exec_lo
	s_delay_alu instid0(VALU_DEP_2) | instskip(NEXT) | instid1(VALU_DEP_1)
	v_and_b32_e32 v54, 0x7f, v43
	v_cmpx_ne_u32_e32 0x7f, v54
	s_cbranch_execz .LBB243_24
; %bb.21:                               ;   in Loop: Header=BB243_10 Depth=1
	v_and_b32_e32 v43, 7, v43
	v_lshrrev_b32_e32 v49, 3, v54
	s_mov_b32 s45, exec_lo
	v_cmpx_gt_u32_e32 8, v54
; %bb.22:                               ;   in Loop: Header=BB243_10 Depth=1
	s_delay_alu instid0(VALU_DEP_3) | instskip(NEXT) | instid1(VALU_DEP_1)
	v_clz_i32_u32_e32 v49, v43
	v_min_u32_e32 v49, 32, v49
	s_delay_alu instid0(VALU_DEP_1) | instskip(SKIP_1) | instid1(VALU_DEP_2)
	v_subrev_nc_u32_e32 v50, 28, v49
	v_sub_nc_u32_e32 v49, 29, v49
	v_lshlrev_b64 v[54:55], v50, v[43:44]
	s_delay_alu instid0(VALU_DEP_1)
	v_and_b32_e32 v43, 7, v54
; %bb.23:                               ;   in Loop: Header=BB243_10 Depth=1
	s_or_b32 exec_lo, exec_lo, s45
	v_lshlrev_b32_e32 v50, 16, v53
	s_delay_alu instid0(VALU_DEP_2) | instskip(SKIP_1) | instid1(VALU_DEP_3)
	v_lshlrev_b32_e32 v43, 20, v43
	v_lshl_add_u32 v49, v49, 23, 0x3c000000
	v_and_b32_e32 v50, 0x80000000, v50
	s_delay_alu instid0(VALU_DEP_1)
	v_or3_b32 v50, v43, v50, v49
	v_mov_b32_e32 v49, v44
.LBB243_24:                             ;   in Loop: Header=BB243_10 Depth=1
	s_or_b32 exec_lo, exec_lo, s8
.LBB243_25:                             ;   in Loop: Header=BB243_10 Depth=1
	s_delay_alu instid0(SALU_CYCLE_1)
	s_or_b32 exec_lo, exec_lo, s44
.LBB243_26:                             ;   in Loop: Header=BB243_10 Depth=1
	s_delay_alu instid0(SALU_CYCLE_1)
	s_or_b32 exec_lo, exec_lo, s3
	global_load_u16 v43, v[61:62], off offset:4
	v_mov_b32_e32 v53, 0
	s_waitcnt vmcnt(0)
	v_dual_mov_b32 v54, 0 :: v_dual_and_b32 v55, 0xff, v43
	v_and_b32_e32 v57, 0xffff, v43
	s_delay_alu instid0(VALU_DEP_2) | instskip(NEXT) | instid1(VALU_DEP_3)
	v_cmp_ne_u16_e64 s1, 0, v55
	v_dual_mov_b32 v56, v54 :: v_dual_mov_b32 v55, v53
	s_delay_alu instid0(VALU_DEP_2)
	s_and_saveexec_b32 s3, s1
	s_cbranch_execz .LBB243_34
; %bb.27:                               ;   in Loop: Header=BB243_10 Depth=1
	v_bfrev_b32_e32 v55, 1
	v_dual_mov_b32 v56, 0 :: v_dual_and_b32 v43, 0xff, v57
	s_mov_b32 s8, exec_lo
	s_delay_alu instid0(VALU_DEP_1)
	v_cmpx_ne_u16_e32 0x80, v43
	s_cbranch_execz .LBB243_33
; %bb.28:                               ;   in Loop: Header=BB243_10 Depth=1
	v_mov_b32_e32 v55, 0x7f800001
	v_and_b32_e32 v58, 0x7f, v57
	v_mov_b32_e32 v56, 0
	s_mov_b32 s44, exec_lo
	s_delay_alu instid0(VALU_DEP_2)
	v_cmpx_ne_u32_e32 0x7f, v58
	s_cbranch_execz .LBB243_32
; %bb.29:                               ;   in Loop: Header=BB243_10 Depth=1
	v_and_b32_e32 v43, 7, v57
	v_lshrrev_b32_e32 v55, 3, v58
	s_mov_b32 s45, exec_lo
	v_cmpx_gt_u32_e32 8, v58
; %bb.30:                               ;   in Loop: Header=BB243_10 Depth=1
	s_delay_alu instid0(VALU_DEP_3) | instskip(NEXT) | instid1(VALU_DEP_1)
	v_clz_i32_u32_e32 v55, v43
	v_min_u32_e32 v55, 32, v55
	s_delay_alu instid0(VALU_DEP_1) | instskip(SKIP_1) | instid1(VALU_DEP_2)
	v_subrev_nc_u32_e32 v56, 28, v55
	v_sub_nc_u32_e32 v55, 29, v55
	v_lshlrev_b64 v[58:59], v56, v[43:44]
	s_delay_alu instid0(VALU_DEP_1)
	v_and_b32_e32 v43, 7, v58
; %bb.31:                               ;   in Loop: Header=BB243_10 Depth=1
	s_or_b32 exec_lo, exec_lo, s45
	v_lshlrev_b32_e32 v56, 24, v57
	s_delay_alu instid0(VALU_DEP_2) | instskip(SKIP_1) | instid1(VALU_DEP_3)
	v_lshlrev_b32_e32 v43, 20, v43
	v_lshl_add_u32 v55, v55, 23, 0x3c000000
	v_and_b32_e32 v56, 0x80000000, v56
	s_delay_alu instid0(VALU_DEP_1) | instskip(NEXT) | instid1(VALU_DEP_1)
	v_or3_b32 v43, v43, v56, v55
	v_dual_mov_b32 v56, v44 :: v_dual_mov_b32 v55, v43
.LBB243_32:                             ;   in Loop: Header=BB243_10 Depth=1
	s_or_b32 exec_lo, exec_lo, s44
.LBB243_33:                             ;   in Loop: Header=BB243_10 Depth=1
	s_delay_alu instid0(SALU_CYCLE_1)
	s_or_b32 exec_lo, exec_lo, s8
.LBB243_34:                             ;   in Loop: Header=BB243_10 Depth=1
	s_delay_alu instid0(SALU_CYCLE_1) | instskip(SKIP_2) | instid1(VALU_DEP_1)
	s_or_b32 exec_lo, exec_lo, s3
	v_lshrrev_b16 v43, 8, v57
	s_mov_b32 s3, exec_lo
	v_cmpx_ne_u16_e32 0, v43
	s_cbranch_execz .LBB243_42
; %bb.35:                               ;   in Loop: Header=BB243_10 Depth=1
	v_dual_mov_b32 v54, s7 :: v_dual_mov_b32 v53, s6
	s_mov_b32 s44, exec_lo
	v_cmpx_ne_u16_e32 0x80, v43
	s_cbranch_execz .LBB243_41
; %bb.36:                               ;   in Loop: Header=BB243_10 Depth=1
	s_mov_b32 s8, s6
	v_dual_mov_b32 v54, s9 :: v_dual_and_b32 v43, 0xffff, v43
	v_mov_b32_e32 v53, s8
	s_mov_b32 s8, exec_lo
	s_delay_alu instid0(VALU_DEP_2) | instskip(NEXT) | instid1(VALU_DEP_1)
	v_and_b32_e32 v58, 0x7f, v43
	v_cmpx_ne_u32_e32 0x7f, v58
	s_cbranch_execz .LBB243_40
; %bb.37:                               ;   in Loop: Header=BB243_10 Depth=1
	v_and_b32_e32 v43, 7, v43
	v_lshrrev_b32_e32 v53, 3, v58
	s_mov_b32 s45, exec_lo
	v_cmpx_gt_u32_e32 8, v58
; %bb.38:                               ;   in Loop: Header=BB243_10 Depth=1
	s_delay_alu instid0(VALU_DEP_3) | instskip(NEXT) | instid1(VALU_DEP_1)
	v_clz_i32_u32_e32 v53, v43
	v_min_u32_e32 v53, 32, v53
	s_delay_alu instid0(VALU_DEP_1) | instskip(SKIP_1) | instid1(VALU_DEP_2)
	v_subrev_nc_u32_e32 v54, 28, v53
	v_sub_nc_u32_e32 v53, 29, v53
	v_lshlrev_b64 v[58:59], v54, v[43:44]
	s_delay_alu instid0(VALU_DEP_1)
	v_and_b32_e32 v43, 7, v58
; %bb.39:                               ;   in Loop: Header=BB243_10 Depth=1
	s_or_b32 exec_lo, exec_lo, s45
	v_lshlrev_b32_e32 v54, 16, v57
	s_delay_alu instid0(VALU_DEP_2) | instskip(SKIP_1) | instid1(VALU_DEP_3)
	v_lshlrev_b32_e32 v43, 20, v43
	v_lshl_add_u32 v53, v53, 23, 0x3c000000
	v_and_b32_e32 v54, 0x80000000, v54
	s_delay_alu instid0(VALU_DEP_1)
	v_or3_b32 v54, v43, v54, v53
	v_mov_b32_e32 v53, v44
.LBB243_40:                             ;   in Loop: Header=BB243_10 Depth=1
	s_or_b32 exec_lo, exec_lo, s8
.LBB243_41:                             ;   in Loop: Header=BB243_10 Depth=1
	s_delay_alu instid0(SALU_CYCLE_1)
	s_or_b32 exec_lo, exec_lo, s44
.LBB243_42:                             ;   in Loop: Header=BB243_10 Depth=1
	s_delay_alu instid0(SALU_CYCLE_1)
	s_or_b32 exec_lo, exec_lo, s3
	global_load_u16 v43, v[61:62], off offset:8
	v_mov_b32_e32 v57, 0
	s_waitcnt vmcnt(0)
	v_dual_mov_b32 v58, 0 :: v_dual_and_b32 v59, 0xff, v43
	v_and_b32_e32 v63, 0xffff, v43
	s_delay_alu instid0(VALU_DEP_2) | instskip(NEXT) | instid1(VALU_DEP_3)
	v_cmp_ne_u16_e64 s1, 0, v59
	v_dual_mov_b32 v60, v58 :: v_dual_mov_b32 v59, v57
	s_delay_alu instid0(VALU_DEP_2)
	s_and_saveexec_b32 s3, s1
	s_cbranch_execz .LBB243_50
; %bb.43:                               ;   in Loop: Header=BB243_10 Depth=1
	v_bfrev_b32_e32 v59, 1
	v_dual_mov_b32 v60, 0 :: v_dual_and_b32 v43, 0xff, v63
	s_mov_b32 s8, exec_lo
	s_delay_alu instid0(VALU_DEP_1)
	v_cmpx_ne_u16_e32 0x80, v43
	s_cbranch_execz .LBB243_49
; %bb.44:                               ;   in Loop: Header=BB243_10 Depth=1
	v_mov_b32_e32 v59, 0x7f800001
	v_and_b32_e32 v64, 0x7f, v63
	v_mov_b32_e32 v60, 0
	s_mov_b32 s44, exec_lo
	s_delay_alu instid0(VALU_DEP_2)
	v_cmpx_ne_u32_e32 0x7f, v64
	s_cbranch_execz .LBB243_48
; %bb.45:                               ;   in Loop: Header=BB243_10 Depth=1
	v_and_b32_e32 v43, 7, v63
	v_lshrrev_b32_e32 v59, 3, v64
	s_mov_b32 s45, exec_lo
	v_cmpx_gt_u32_e32 8, v64
; %bb.46:                               ;   in Loop: Header=BB243_10 Depth=1
	s_delay_alu instid0(VALU_DEP_3) | instskip(NEXT) | instid1(VALU_DEP_1)
	v_clz_i32_u32_e32 v59, v43
	v_min_u32_e32 v59, 32, v59
	s_delay_alu instid0(VALU_DEP_1) | instskip(SKIP_1) | instid1(VALU_DEP_2)
	v_subrev_nc_u32_e32 v60, 28, v59
	v_sub_nc_u32_e32 v59, 29, v59
	v_lshlrev_b64 v[64:65], v60, v[43:44]
	s_delay_alu instid0(VALU_DEP_1)
	v_and_b32_e32 v43, 7, v64
; %bb.47:                               ;   in Loop: Header=BB243_10 Depth=1
	s_or_b32 exec_lo, exec_lo, s45
	v_lshlrev_b32_e32 v60, 24, v63
	s_delay_alu instid0(VALU_DEP_2) | instskip(SKIP_1) | instid1(VALU_DEP_3)
	v_lshlrev_b32_e32 v43, 20, v43
	v_lshl_add_u32 v59, v59, 23, 0x3c000000
	v_and_b32_e32 v60, 0x80000000, v60
	s_delay_alu instid0(VALU_DEP_1) | instskip(NEXT) | instid1(VALU_DEP_1)
	v_or3_b32 v43, v43, v60, v59
	v_dual_mov_b32 v60, v44 :: v_dual_mov_b32 v59, v43
.LBB243_48:                             ;   in Loop: Header=BB243_10 Depth=1
	s_or_b32 exec_lo, exec_lo, s44
.LBB243_49:                             ;   in Loop: Header=BB243_10 Depth=1
	s_delay_alu instid0(SALU_CYCLE_1)
	s_or_b32 exec_lo, exec_lo, s8
.LBB243_50:                             ;   in Loop: Header=BB243_10 Depth=1
	s_delay_alu instid0(SALU_CYCLE_1) | instskip(SKIP_2) | instid1(VALU_DEP_1)
	s_or_b32 exec_lo, exec_lo, s3
	v_lshrrev_b16 v43, 8, v63
	s_mov_b32 s3, exec_lo
	v_cmpx_ne_u16_e32 0, v43
	s_cbranch_execz .LBB243_58
; %bb.51:                               ;   in Loop: Header=BB243_10 Depth=1
	v_dual_mov_b32 v58, s7 :: v_dual_mov_b32 v57, s6
	s_mov_b32 s44, exec_lo
	v_cmpx_ne_u16_e32 0x80, v43
	s_cbranch_execz .LBB243_57
; %bb.52:                               ;   in Loop: Header=BB243_10 Depth=1
	s_mov_b32 s8, s6
	v_dual_mov_b32 v58, s9 :: v_dual_and_b32 v43, 0xffff, v43
	v_mov_b32_e32 v57, s8
	s_mov_b32 s8, exec_lo
	s_delay_alu instid0(VALU_DEP_2) | instskip(NEXT) | instid1(VALU_DEP_1)
	v_and_b32_e32 v64, 0x7f, v43
	v_cmpx_ne_u32_e32 0x7f, v64
	s_cbranch_execz .LBB243_56
; %bb.53:                               ;   in Loop: Header=BB243_10 Depth=1
	v_and_b32_e32 v43, 7, v43
	v_lshrrev_b32_e32 v57, 3, v64
	s_mov_b32 s45, exec_lo
	v_cmpx_gt_u32_e32 8, v64
; %bb.54:                               ;   in Loop: Header=BB243_10 Depth=1
	s_delay_alu instid0(VALU_DEP_3) | instskip(NEXT) | instid1(VALU_DEP_1)
	v_clz_i32_u32_e32 v57, v43
	v_min_u32_e32 v57, 32, v57
	s_delay_alu instid0(VALU_DEP_1) | instskip(SKIP_1) | instid1(VALU_DEP_2)
	v_subrev_nc_u32_e32 v58, 28, v57
	v_sub_nc_u32_e32 v57, 29, v57
	v_lshlrev_b64 v[64:65], v58, v[43:44]
	s_delay_alu instid0(VALU_DEP_1)
	v_and_b32_e32 v43, 7, v64
; %bb.55:                               ;   in Loop: Header=BB243_10 Depth=1
	s_or_b32 exec_lo, exec_lo, s45
	v_lshlrev_b32_e32 v58, 16, v63
	s_delay_alu instid0(VALU_DEP_2) | instskip(SKIP_1) | instid1(VALU_DEP_3)
	v_lshlrev_b32_e32 v43, 20, v43
	v_lshl_add_u32 v57, v57, 23, 0x3c000000
	v_and_b32_e32 v58, 0x80000000, v58
	s_delay_alu instid0(VALU_DEP_1)
	v_or3_b32 v58, v43, v58, v57
	v_mov_b32_e32 v57, v44
.LBB243_56:                             ;   in Loop: Header=BB243_10 Depth=1
	s_or_b32 exec_lo, exec_lo, s8
.LBB243_57:                             ;   in Loop: Header=BB243_10 Depth=1
	s_delay_alu instid0(SALU_CYCLE_1)
	s_or_b32 exec_lo, exec_lo, s44
.LBB243_58:                             ;   in Loop: Header=BB243_10 Depth=1
	s_delay_alu instid0(SALU_CYCLE_1)
	s_or_b32 exec_lo, exec_lo, s3
	global_load_u16 v43, v[61:62], off offset:12
	v_mov_b32_e32 v63, 0
	s_waitcnt vmcnt(0)
	v_dual_mov_b32 v64, 0 :: v_dual_and_b32 v65, 0xff, v43
	v_and_b32_e32 v67, 0xffff, v43
	s_delay_alu instid0(VALU_DEP_2) | instskip(NEXT) | instid1(VALU_DEP_3)
	v_cmp_ne_u16_e64 s1, 0, v65
	v_dual_mov_b32 v66, v64 :: v_dual_mov_b32 v65, v63
	s_delay_alu instid0(VALU_DEP_2)
	s_and_saveexec_b32 s3, s1
	s_cbranch_execz .LBB243_66
; %bb.59:                               ;   in Loop: Header=BB243_10 Depth=1
	v_bfrev_b32_e32 v65, 1
	v_dual_mov_b32 v66, 0 :: v_dual_and_b32 v43, 0xff, v67
	s_mov_b32 s8, exec_lo
	s_delay_alu instid0(VALU_DEP_1)
	v_cmpx_ne_u16_e32 0x80, v43
	s_cbranch_execz .LBB243_65
; %bb.60:                               ;   in Loop: Header=BB243_10 Depth=1
	v_mov_b32_e32 v65, 0x7f800001
	v_and_b32_e32 v68, 0x7f, v67
	v_mov_b32_e32 v66, 0
	s_mov_b32 s44, exec_lo
	s_delay_alu instid0(VALU_DEP_2)
	v_cmpx_ne_u32_e32 0x7f, v68
	s_cbranch_execz .LBB243_64
; %bb.61:                               ;   in Loop: Header=BB243_10 Depth=1
	v_and_b32_e32 v43, 7, v67
	v_lshrrev_b32_e32 v65, 3, v68
	s_mov_b32 s45, exec_lo
	v_cmpx_gt_u32_e32 8, v68
; %bb.62:                               ;   in Loop: Header=BB243_10 Depth=1
	s_delay_alu instid0(VALU_DEP_3) | instskip(NEXT) | instid1(VALU_DEP_1)
	v_clz_i32_u32_e32 v65, v43
	v_min_u32_e32 v65, 32, v65
	s_delay_alu instid0(VALU_DEP_1) | instskip(SKIP_1) | instid1(VALU_DEP_2)
	v_subrev_nc_u32_e32 v66, 28, v65
	v_sub_nc_u32_e32 v65, 29, v65
	v_lshlrev_b64 v[68:69], v66, v[43:44]
	s_delay_alu instid0(VALU_DEP_1)
	v_and_b32_e32 v43, 7, v68
; %bb.63:                               ;   in Loop: Header=BB243_10 Depth=1
	s_or_b32 exec_lo, exec_lo, s45
	v_lshlrev_b32_e32 v66, 24, v67
	s_delay_alu instid0(VALU_DEP_2) | instskip(SKIP_1) | instid1(VALU_DEP_3)
	v_lshlrev_b32_e32 v43, 20, v43
	v_lshl_add_u32 v65, v65, 23, 0x3c000000
	v_and_b32_e32 v66, 0x80000000, v66
	s_delay_alu instid0(VALU_DEP_1) | instskip(NEXT) | instid1(VALU_DEP_1)
	v_or3_b32 v43, v43, v66, v65
	v_dual_mov_b32 v66, v44 :: v_dual_mov_b32 v65, v43
.LBB243_64:                             ;   in Loop: Header=BB243_10 Depth=1
	s_or_b32 exec_lo, exec_lo, s44
.LBB243_65:                             ;   in Loop: Header=BB243_10 Depth=1
	s_delay_alu instid0(SALU_CYCLE_1)
	s_or_b32 exec_lo, exec_lo, s8
.LBB243_66:                             ;   in Loop: Header=BB243_10 Depth=1
	s_delay_alu instid0(SALU_CYCLE_1) | instskip(SKIP_2) | instid1(VALU_DEP_1)
	s_or_b32 exec_lo, exec_lo, s3
	v_lshrrev_b16 v43, 8, v67
	s_mov_b32 s3, exec_lo
	v_cmpx_ne_u16_e32 0, v43
	s_cbranch_execz .LBB243_74
; %bb.67:                               ;   in Loop: Header=BB243_10 Depth=1
	v_dual_mov_b32 v64, s7 :: v_dual_mov_b32 v63, s6
	s_mov_b32 s44, exec_lo
	v_cmpx_ne_u16_e32 0x80, v43
	s_cbranch_execz .LBB243_73
; %bb.68:                               ;   in Loop: Header=BB243_10 Depth=1
	s_mov_b32 s8, s6
	v_dual_mov_b32 v64, s9 :: v_dual_and_b32 v43, 0xffff, v43
	v_mov_b32_e32 v63, s8
	s_mov_b32 s8, exec_lo
	s_delay_alu instid0(VALU_DEP_2) | instskip(NEXT) | instid1(VALU_DEP_1)
	v_and_b32_e32 v68, 0x7f, v43
	v_cmpx_ne_u32_e32 0x7f, v68
	s_cbranch_execz .LBB243_72
; %bb.69:                               ;   in Loop: Header=BB243_10 Depth=1
	v_and_b32_e32 v43, 7, v43
	v_lshrrev_b32_e32 v63, 3, v68
	s_mov_b32 s45, exec_lo
	v_cmpx_gt_u32_e32 8, v68
; %bb.70:                               ;   in Loop: Header=BB243_10 Depth=1
	s_delay_alu instid0(VALU_DEP_3) | instskip(NEXT) | instid1(VALU_DEP_1)
	v_clz_i32_u32_e32 v63, v43
	v_min_u32_e32 v63, 32, v63
	s_delay_alu instid0(VALU_DEP_1) | instskip(SKIP_1) | instid1(VALU_DEP_2)
	v_subrev_nc_u32_e32 v64, 28, v63
	v_sub_nc_u32_e32 v63, 29, v63
	v_lshlrev_b64 v[68:69], v64, v[43:44]
	s_delay_alu instid0(VALU_DEP_1)
	v_and_b32_e32 v43, 7, v68
; %bb.71:                               ;   in Loop: Header=BB243_10 Depth=1
	s_or_b32 exec_lo, exec_lo, s45
	v_lshlrev_b32_e32 v64, 16, v67
	s_delay_alu instid0(VALU_DEP_2) | instskip(SKIP_1) | instid1(VALU_DEP_3)
	v_lshlrev_b32_e32 v43, 20, v43
	v_lshl_add_u32 v63, v63, 23, 0x3c000000
	v_and_b32_e32 v64, 0x80000000, v64
	s_delay_alu instid0(VALU_DEP_1)
	v_or3_b32 v64, v43, v64, v63
	v_mov_b32_e32 v63, v44
.LBB243_72:                             ;   in Loop: Header=BB243_10 Depth=1
	s_or_b32 exec_lo, exec_lo, s8
.LBB243_73:                             ;   in Loop: Header=BB243_10 Depth=1
	s_delay_alu instid0(SALU_CYCLE_1)
	s_or_b32 exec_lo, exec_lo, s44
.LBB243_74:                             ;   in Loop: Header=BB243_10 Depth=1
	s_delay_alu instid0(SALU_CYCLE_1)
	s_or_b32 exec_lo, exec_lo, s3
	global_load_u16 v43, v[61:62], off offset:256
	v_mov_b32_e32 v67, 0
	s_waitcnt vmcnt(0)
	v_dual_mov_b32 v68, 0 :: v_dual_and_b32 v69, 0xff, v43
	v_and_b32_e32 v71, 0xffff, v43
	s_delay_alu instid0(VALU_DEP_2) | instskip(NEXT) | instid1(VALU_DEP_3)
	v_cmp_ne_u16_e64 s1, 0, v69
	v_dual_mov_b32 v70, v68 :: v_dual_mov_b32 v69, v67
	s_delay_alu instid0(VALU_DEP_2)
	s_and_saveexec_b32 s3, s1
	s_cbranch_execz .LBB243_82
; %bb.75:                               ;   in Loop: Header=BB243_10 Depth=1
	v_bfrev_b32_e32 v69, 1
	v_dual_mov_b32 v70, 0 :: v_dual_and_b32 v43, 0xff, v71
	s_mov_b32 s8, exec_lo
	s_delay_alu instid0(VALU_DEP_1)
	v_cmpx_ne_u16_e32 0x80, v43
	s_cbranch_execz .LBB243_81
; %bb.76:                               ;   in Loop: Header=BB243_10 Depth=1
	v_mov_b32_e32 v69, 0x7f800001
	v_and_b32_e32 v72, 0x7f, v71
	v_mov_b32_e32 v70, 0
	s_mov_b32 s44, exec_lo
	s_delay_alu instid0(VALU_DEP_2)
	v_cmpx_ne_u32_e32 0x7f, v72
	s_cbranch_execz .LBB243_80
; %bb.77:                               ;   in Loop: Header=BB243_10 Depth=1
	v_and_b32_e32 v43, 7, v71
	v_lshrrev_b32_e32 v69, 3, v72
	s_mov_b32 s45, exec_lo
	v_cmpx_gt_u32_e32 8, v72
; %bb.78:                               ;   in Loop: Header=BB243_10 Depth=1
	s_delay_alu instid0(VALU_DEP_3) | instskip(NEXT) | instid1(VALU_DEP_1)
	v_clz_i32_u32_e32 v69, v43
	v_min_u32_e32 v69, 32, v69
	s_delay_alu instid0(VALU_DEP_1) | instskip(SKIP_1) | instid1(VALU_DEP_2)
	v_subrev_nc_u32_e32 v70, 28, v69
	v_sub_nc_u32_e32 v69, 29, v69
	v_lshlrev_b64 v[72:73], v70, v[43:44]
	s_delay_alu instid0(VALU_DEP_1)
	v_and_b32_e32 v43, 7, v72
; %bb.79:                               ;   in Loop: Header=BB243_10 Depth=1
	s_or_b32 exec_lo, exec_lo, s45
	v_lshlrev_b32_e32 v70, 24, v71
	s_delay_alu instid0(VALU_DEP_2) | instskip(SKIP_1) | instid1(VALU_DEP_3)
	v_lshlrev_b32_e32 v43, 20, v43
	v_lshl_add_u32 v69, v69, 23, 0x3c000000
	v_and_b32_e32 v70, 0x80000000, v70
	s_delay_alu instid0(VALU_DEP_1) | instskip(NEXT) | instid1(VALU_DEP_1)
	v_or3_b32 v43, v43, v70, v69
	v_dual_mov_b32 v70, v44 :: v_dual_mov_b32 v69, v43
.LBB243_80:                             ;   in Loop: Header=BB243_10 Depth=1
	s_or_b32 exec_lo, exec_lo, s44
.LBB243_81:                             ;   in Loop: Header=BB243_10 Depth=1
	s_delay_alu instid0(SALU_CYCLE_1)
	s_or_b32 exec_lo, exec_lo, s8
.LBB243_82:                             ;   in Loop: Header=BB243_10 Depth=1
	s_delay_alu instid0(SALU_CYCLE_1) | instskip(SKIP_2) | instid1(VALU_DEP_1)
	s_or_b32 exec_lo, exec_lo, s3
	v_lshrrev_b16 v43, 8, v71
	s_mov_b32 s3, exec_lo
	v_cmpx_ne_u16_e32 0, v43
	s_cbranch_execz .LBB243_90
; %bb.83:                               ;   in Loop: Header=BB243_10 Depth=1
	v_dual_mov_b32 v68, s7 :: v_dual_mov_b32 v67, s6
	s_mov_b32 s44, exec_lo
	v_cmpx_ne_u16_e32 0x80, v43
	s_cbranch_execz .LBB243_89
; %bb.84:                               ;   in Loop: Header=BB243_10 Depth=1
	s_mov_b32 s8, s6
	v_dual_mov_b32 v68, s9 :: v_dual_and_b32 v43, 0xffff, v43
	v_mov_b32_e32 v67, s8
	s_mov_b32 s8, exec_lo
	s_delay_alu instid0(VALU_DEP_2) | instskip(NEXT) | instid1(VALU_DEP_1)
	v_and_b32_e32 v72, 0x7f, v43
	v_cmpx_ne_u32_e32 0x7f, v72
	s_cbranch_execz .LBB243_88
; %bb.85:                               ;   in Loop: Header=BB243_10 Depth=1
	v_and_b32_e32 v43, 7, v43
	v_lshrrev_b32_e32 v67, 3, v72
	s_mov_b32 s45, exec_lo
	v_cmpx_gt_u32_e32 8, v72
; %bb.86:                               ;   in Loop: Header=BB243_10 Depth=1
	s_delay_alu instid0(VALU_DEP_3) | instskip(NEXT) | instid1(VALU_DEP_1)
	v_clz_i32_u32_e32 v67, v43
	v_min_u32_e32 v67, 32, v67
	s_delay_alu instid0(VALU_DEP_1) | instskip(SKIP_1) | instid1(VALU_DEP_2)
	v_subrev_nc_u32_e32 v68, 28, v67
	v_sub_nc_u32_e32 v67, 29, v67
	v_lshlrev_b64 v[72:73], v68, v[43:44]
	s_delay_alu instid0(VALU_DEP_1)
	v_and_b32_e32 v43, 7, v72
; %bb.87:                               ;   in Loop: Header=BB243_10 Depth=1
	s_or_b32 exec_lo, exec_lo, s45
	v_lshlrev_b32_e32 v68, 16, v71
	s_delay_alu instid0(VALU_DEP_2) | instskip(SKIP_1) | instid1(VALU_DEP_3)
	v_lshlrev_b32_e32 v43, 20, v43
	v_lshl_add_u32 v67, v67, 23, 0x3c000000
	v_and_b32_e32 v68, 0x80000000, v68
	s_delay_alu instid0(VALU_DEP_1)
	v_or3_b32 v68, v43, v68, v67
	v_mov_b32_e32 v67, v44
.LBB243_88:                             ;   in Loop: Header=BB243_10 Depth=1
	s_or_b32 exec_lo, exec_lo, s8
.LBB243_89:                             ;   in Loop: Header=BB243_10 Depth=1
	s_delay_alu instid0(SALU_CYCLE_1)
	s_or_b32 exec_lo, exec_lo, s44
.LBB243_90:                             ;   in Loop: Header=BB243_10 Depth=1
	s_delay_alu instid0(SALU_CYCLE_1)
	s_or_b32 exec_lo, exec_lo, s3
	global_load_u16 v43, v[61:62], off offset:260
	v_mov_b32_e32 v71, 0
	s_waitcnt vmcnt(0)
	v_dual_mov_b32 v72, 0 :: v_dual_and_b32 v73, 0xff, v43
	v_and_b32_e32 v75, 0xffff, v43
	s_delay_alu instid0(VALU_DEP_2) | instskip(NEXT) | instid1(VALU_DEP_3)
	v_cmp_ne_u16_e64 s1, 0, v73
	v_dual_mov_b32 v74, v72 :: v_dual_mov_b32 v73, v71
	s_delay_alu instid0(VALU_DEP_2)
	s_and_saveexec_b32 s3, s1
	s_cbranch_execz .LBB243_98
; %bb.91:                               ;   in Loop: Header=BB243_10 Depth=1
	v_bfrev_b32_e32 v73, 1
	v_dual_mov_b32 v74, 0 :: v_dual_and_b32 v43, 0xff, v75
	s_mov_b32 s8, exec_lo
	s_delay_alu instid0(VALU_DEP_1)
	v_cmpx_ne_u16_e32 0x80, v43
	s_cbranch_execz .LBB243_97
; %bb.92:                               ;   in Loop: Header=BB243_10 Depth=1
	v_mov_b32_e32 v73, 0x7f800001
	v_and_b32_e32 v76, 0x7f, v75
	v_mov_b32_e32 v74, 0
	s_mov_b32 s44, exec_lo
	s_delay_alu instid0(VALU_DEP_2)
	v_cmpx_ne_u32_e32 0x7f, v76
	s_cbranch_execz .LBB243_96
; %bb.93:                               ;   in Loop: Header=BB243_10 Depth=1
	v_and_b32_e32 v43, 7, v75
	v_lshrrev_b32_e32 v73, 3, v76
	s_mov_b32 s45, exec_lo
	v_cmpx_gt_u32_e32 8, v76
; %bb.94:                               ;   in Loop: Header=BB243_10 Depth=1
	s_delay_alu instid0(VALU_DEP_3) | instskip(NEXT) | instid1(VALU_DEP_1)
	v_clz_i32_u32_e32 v73, v43
	v_min_u32_e32 v73, 32, v73
	s_delay_alu instid0(VALU_DEP_1) | instskip(SKIP_1) | instid1(VALU_DEP_2)
	v_subrev_nc_u32_e32 v74, 28, v73
	v_sub_nc_u32_e32 v73, 29, v73
	v_lshlrev_b64 v[76:77], v74, v[43:44]
	s_delay_alu instid0(VALU_DEP_1)
	v_and_b32_e32 v43, 7, v76
; %bb.95:                               ;   in Loop: Header=BB243_10 Depth=1
	s_or_b32 exec_lo, exec_lo, s45
	v_lshlrev_b32_e32 v74, 24, v75
	s_delay_alu instid0(VALU_DEP_2) | instskip(SKIP_1) | instid1(VALU_DEP_3)
	v_lshlrev_b32_e32 v43, 20, v43
	v_lshl_add_u32 v73, v73, 23, 0x3c000000
	v_and_b32_e32 v74, 0x80000000, v74
	s_delay_alu instid0(VALU_DEP_1) | instskip(NEXT) | instid1(VALU_DEP_1)
	v_or3_b32 v43, v43, v74, v73
	v_dual_mov_b32 v74, v44 :: v_dual_mov_b32 v73, v43
.LBB243_96:                             ;   in Loop: Header=BB243_10 Depth=1
	s_or_b32 exec_lo, exec_lo, s44
.LBB243_97:                             ;   in Loop: Header=BB243_10 Depth=1
	s_delay_alu instid0(SALU_CYCLE_1)
	s_or_b32 exec_lo, exec_lo, s8
.LBB243_98:                             ;   in Loop: Header=BB243_10 Depth=1
	s_delay_alu instid0(SALU_CYCLE_1) | instskip(SKIP_2) | instid1(VALU_DEP_1)
	s_or_b32 exec_lo, exec_lo, s3
	v_lshrrev_b16 v43, 8, v75
	s_mov_b32 s3, exec_lo
	v_cmpx_ne_u16_e32 0, v43
	s_cbranch_execz .LBB243_106
; %bb.99:                               ;   in Loop: Header=BB243_10 Depth=1
	v_dual_mov_b32 v72, s7 :: v_dual_mov_b32 v71, s6
	s_mov_b32 s44, exec_lo
	v_cmpx_ne_u16_e32 0x80, v43
	s_cbranch_execz .LBB243_105
; %bb.100:                              ;   in Loop: Header=BB243_10 Depth=1
	s_mov_b32 s8, s6
	v_dual_mov_b32 v72, s9 :: v_dual_and_b32 v43, 0xffff, v43
	v_mov_b32_e32 v71, s8
	s_mov_b32 s8, exec_lo
	s_delay_alu instid0(VALU_DEP_2) | instskip(NEXT) | instid1(VALU_DEP_1)
	v_and_b32_e32 v76, 0x7f, v43
	v_cmpx_ne_u32_e32 0x7f, v76
	s_cbranch_execz .LBB243_104
; %bb.101:                              ;   in Loop: Header=BB243_10 Depth=1
	v_and_b32_e32 v43, 7, v43
	v_lshrrev_b32_e32 v71, 3, v76
	s_mov_b32 s45, exec_lo
	v_cmpx_gt_u32_e32 8, v76
; %bb.102:                              ;   in Loop: Header=BB243_10 Depth=1
	s_delay_alu instid0(VALU_DEP_3) | instskip(NEXT) | instid1(VALU_DEP_1)
	v_clz_i32_u32_e32 v71, v43
	v_min_u32_e32 v71, 32, v71
	s_delay_alu instid0(VALU_DEP_1) | instskip(SKIP_1) | instid1(VALU_DEP_2)
	v_subrev_nc_u32_e32 v72, 28, v71
	v_sub_nc_u32_e32 v71, 29, v71
	v_lshlrev_b64 v[76:77], v72, v[43:44]
	s_delay_alu instid0(VALU_DEP_1)
	v_and_b32_e32 v43, 7, v76
; %bb.103:                              ;   in Loop: Header=BB243_10 Depth=1
	s_or_b32 exec_lo, exec_lo, s45
	v_lshlrev_b32_e32 v72, 16, v75
	s_delay_alu instid0(VALU_DEP_2) | instskip(SKIP_1) | instid1(VALU_DEP_3)
	v_lshlrev_b32_e32 v43, 20, v43
	v_lshl_add_u32 v71, v71, 23, 0x3c000000
	v_and_b32_e32 v72, 0x80000000, v72
	s_delay_alu instid0(VALU_DEP_1)
	v_or3_b32 v72, v43, v72, v71
	v_mov_b32_e32 v71, v44
.LBB243_104:                            ;   in Loop: Header=BB243_10 Depth=1
	s_or_b32 exec_lo, exec_lo, s8
.LBB243_105:                            ;   in Loop: Header=BB243_10 Depth=1
	s_delay_alu instid0(SALU_CYCLE_1)
	s_or_b32 exec_lo, exec_lo, s44
.LBB243_106:                            ;   in Loop: Header=BB243_10 Depth=1
	s_delay_alu instid0(SALU_CYCLE_1) | instskip(SKIP_1) | instid1(VALU_DEP_1)
	s_or_b32 exec_lo, exec_lo, s3
	v_add_co_u32 v79, s1, 0x100, v61
	v_add_co_ci_u32_e64 v80, s1, 0, v62, s1
	v_mov_b32_e32 v75, 0
	global_load_u16 v43, v[79:80], off offset:8
	s_waitcnt vmcnt(0)
	v_dual_mov_b32 v76, 0 :: v_dual_and_b32 v77, 0xff, v43
	v_and_b32_e32 v81, 0xffff, v43
	s_delay_alu instid0(VALU_DEP_2) | instskip(NEXT) | instid1(VALU_DEP_3)
	v_cmp_ne_u16_e64 s1, 0, v77
	v_dual_mov_b32 v78, v76 :: v_dual_mov_b32 v77, v75
	s_delay_alu instid0(VALU_DEP_2)
	s_and_saveexec_b32 s3, s1
	s_cbranch_execz .LBB243_114
; %bb.107:                              ;   in Loop: Header=BB243_10 Depth=1
	v_bfrev_b32_e32 v77, 1
	v_dual_mov_b32 v78, 0 :: v_dual_and_b32 v43, 0xff, v81
	s_mov_b32 s8, exec_lo
	s_delay_alu instid0(VALU_DEP_1)
	v_cmpx_ne_u16_e32 0x80, v43
	s_cbranch_execz .LBB243_113
; %bb.108:                              ;   in Loop: Header=BB243_10 Depth=1
	v_mov_b32_e32 v77, 0x7f800001
	v_and_b32_e32 v82, 0x7f, v81
	v_mov_b32_e32 v78, 0
	s_mov_b32 s44, exec_lo
	s_delay_alu instid0(VALU_DEP_2)
	v_cmpx_ne_u32_e32 0x7f, v82
	s_cbranch_execz .LBB243_112
; %bb.109:                              ;   in Loop: Header=BB243_10 Depth=1
	v_and_b32_e32 v43, 7, v81
	v_lshrrev_b32_e32 v77, 3, v82
	s_mov_b32 s45, exec_lo
	v_cmpx_gt_u32_e32 8, v82
; %bb.110:                              ;   in Loop: Header=BB243_10 Depth=1
	s_delay_alu instid0(VALU_DEP_3) | instskip(NEXT) | instid1(VALU_DEP_1)
	v_clz_i32_u32_e32 v77, v43
	v_min_u32_e32 v77, 32, v77
	s_delay_alu instid0(VALU_DEP_1) | instskip(SKIP_1) | instid1(VALU_DEP_2)
	v_subrev_nc_u32_e32 v78, 28, v77
	v_sub_nc_u32_e32 v77, 29, v77
	v_lshlrev_b64 v[82:83], v78, v[43:44]
	s_delay_alu instid0(VALU_DEP_1)
	v_and_b32_e32 v43, 7, v82
; %bb.111:                              ;   in Loop: Header=BB243_10 Depth=1
	s_or_b32 exec_lo, exec_lo, s45
	v_lshlrev_b32_e32 v78, 24, v81
	s_delay_alu instid0(VALU_DEP_2) | instskip(SKIP_1) | instid1(VALU_DEP_3)
	v_lshlrev_b32_e32 v43, 20, v43
	v_lshl_add_u32 v77, v77, 23, 0x3c000000
	v_and_b32_e32 v78, 0x80000000, v78
	s_delay_alu instid0(VALU_DEP_1) | instskip(NEXT) | instid1(VALU_DEP_1)
	v_or3_b32 v43, v43, v78, v77
	v_dual_mov_b32 v78, v44 :: v_dual_mov_b32 v77, v43
.LBB243_112:                            ;   in Loop: Header=BB243_10 Depth=1
	s_or_b32 exec_lo, exec_lo, s44
.LBB243_113:                            ;   in Loop: Header=BB243_10 Depth=1
	s_delay_alu instid0(SALU_CYCLE_1)
	s_or_b32 exec_lo, exec_lo, s8
.LBB243_114:                            ;   in Loop: Header=BB243_10 Depth=1
	s_delay_alu instid0(SALU_CYCLE_1) | instskip(SKIP_2) | instid1(VALU_DEP_1)
	s_or_b32 exec_lo, exec_lo, s3
	v_lshrrev_b16 v43, 8, v81
	s_mov_b32 s3, exec_lo
	v_cmpx_ne_u16_e32 0, v43
	s_cbranch_execz .LBB243_122
; %bb.115:                              ;   in Loop: Header=BB243_10 Depth=1
	v_dual_mov_b32 v76, s7 :: v_dual_mov_b32 v75, s6
	s_mov_b32 s44, exec_lo
	v_cmpx_ne_u16_e32 0x80, v43
	s_cbranch_execz .LBB243_121
; %bb.116:                              ;   in Loop: Header=BB243_10 Depth=1
	s_mov_b32 s8, s6
	v_dual_mov_b32 v76, s9 :: v_dual_and_b32 v43, 0xffff, v43
	v_mov_b32_e32 v75, s8
	s_mov_b32 s8, exec_lo
	s_delay_alu instid0(VALU_DEP_2) | instskip(NEXT) | instid1(VALU_DEP_1)
	v_and_b32_e32 v82, 0x7f, v43
	v_cmpx_ne_u32_e32 0x7f, v82
	s_cbranch_execz .LBB243_120
; %bb.117:                              ;   in Loop: Header=BB243_10 Depth=1
	v_and_b32_e32 v43, 7, v43
	v_lshrrev_b32_e32 v75, 3, v82
	s_mov_b32 s45, exec_lo
	v_cmpx_gt_u32_e32 8, v82
; %bb.118:                              ;   in Loop: Header=BB243_10 Depth=1
	s_delay_alu instid0(VALU_DEP_3) | instskip(NEXT) | instid1(VALU_DEP_1)
	v_clz_i32_u32_e32 v75, v43
	v_min_u32_e32 v75, 32, v75
	s_delay_alu instid0(VALU_DEP_1) | instskip(SKIP_1) | instid1(VALU_DEP_2)
	v_subrev_nc_u32_e32 v76, 28, v75
	v_sub_nc_u32_e32 v75, 29, v75
	v_lshlrev_b64 v[82:83], v76, v[43:44]
	s_delay_alu instid0(VALU_DEP_1)
	v_and_b32_e32 v43, 7, v82
; %bb.119:                              ;   in Loop: Header=BB243_10 Depth=1
	s_or_b32 exec_lo, exec_lo, s45
	v_lshlrev_b32_e32 v76, 16, v81
	s_delay_alu instid0(VALU_DEP_2) | instskip(SKIP_1) | instid1(VALU_DEP_3)
	v_lshlrev_b32_e32 v43, 20, v43
	v_lshl_add_u32 v75, v75, 23, 0x3c000000
	v_and_b32_e32 v76, 0x80000000, v76
	s_delay_alu instid0(VALU_DEP_1)
	v_or3_b32 v76, v43, v76, v75
	v_mov_b32_e32 v75, v44
.LBB243_120:                            ;   in Loop: Header=BB243_10 Depth=1
	s_or_b32 exec_lo, exec_lo, s8
.LBB243_121:                            ;   in Loop: Header=BB243_10 Depth=1
	s_delay_alu instid0(SALU_CYCLE_1)
	s_or_b32 exec_lo, exec_lo, s44
.LBB243_122:                            ;   in Loop: Header=BB243_10 Depth=1
	s_delay_alu instid0(SALU_CYCLE_1)
	s_or_b32 exec_lo, exec_lo, s3
	global_load_u16 v43, v[79:80], off offset:12
	v_mov_b32_e32 v79, 0
	s_waitcnt vmcnt(0)
	v_dual_mov_b32 v80, 0 :: v_dual_and_b32 v81, 0xff, v43
	v_and_b32_e32 v83, 0xffff, v43
	s_delay_alu instid0(VALU_DEP_2) | instskip(NEXT) | instid1(VALU_DEP_3)
	v_cmp_ne_u16_e64 s1, 0, v81
	v_dual_mov_b32 v82, v80 :: v_dual_mov_b32 v81, v79
	s_delay_alu instid0(VALU_DEP_2)
	s_and_saveexec_b32 s3, s1
	s_cbranch_execz .LBB243_130
; %bb.123:                              ;   in Loop: Header=BB243_10 Depth=1
	v_bfrev_b32_e32 v81, 1
	v_dual_mov_b32 v82, 0 :: v_dual_and_b32 v43, 0xff, v83
	s_mov_b32 s8, exec_lo
	s_delay_alu instid0(VALU_DEP_1)
	v_cmpx_ne_u16_e32 0x80, v43
	s_cbranch_execz .LBB243_129
; %bb.124:                              ;   in Loop: Header=BB243_10 Depth=1
	v_mov_b32_e32 v81, 0x7f800001
	v_and_b32_e32 v84, 0x7f, v83
	v_mov_b32_e32 v82, 0
	s_mov_b32 s44, exec_lo
	s_delay_alu instid0(VALU_DEP_2)
	v_cmpx_ne_u32_e32 0x7f, v84
	s_cbranch_execz .LBB243_128
; %bb.125:                              ;   in Loop: Header=BB243_10 Depth=1
	v_and_b32_e32 v43, 7, v83
	v_lshrrev_b32_e32 v81, 3, v84
	s_mov_b32 s45, exec_lo
	v_cmpx_gt_u32_e32 8, v84
; %bb.126:                              ;   in Loop: Header=BB243_10 Depth=1
	s_delay_alu instid0(VALU_DEP_3) | instskip(NEXT) | instid1(VALU_DEP_1)
	v_clz_i32_u32_e32 v81, v43
	v_min_u32_e32 v81, 32, v81
	s_delay_alu instid0(VALU_DEP_1) | instskip(SKIP_1) | instid1(VALU_DEP_2)
	v_subrev_nc_u32_e32 v82, 28, v81
	v_sub_nc_u32_e32 v81, 29, v81
	v_lshlrev_b64 v[84:85], v82, v[43:44]
	s_delay_alu instid0(VALU_DEP_1)
	v_and_b32_e32 v43, 7, v84
; %bb.127:                              ;   in Loop: Header=BB243_10 Depth=1
	s_or_b32 exec_lo, exec_lo, s45
	v_lshlrev_b32_e32 v82, 24, v83
	s_delay_alu instid0(VALU_DEP_2) | instskip(SKIP_1) | instid1(VALU_DEP_3)
	v_lshlrev_b32_e32 v43, 20, v43
	v_lshl_add_u32 v81, v81, 23, 0x3c000000
	v_and_b32_e32 v82, 0x80000000, v82
	s_delay_alu instid0(VALU_DEP_1) | instskip(NEXT) | instid1(VALU_DEP_1)
	v_or3_b32 v43, v43, v82, v81
	v_dual_mov_b32 v82, v44 :: v_dual_mov_b32 v81, v43
.LBB243_128:                            ;   in Loop: Header=BB243_10 Depth=1
	s_or_b32 exec_lo, exec_lo, s44
.LBB243_129:                            ;   in Loop: Header=BB243_10 Depth=1
	s_delay_alu instid0(SALU_CYCLE_1)
	s_or_b32 exec_lo, exec_lo, s8
.LBB243_130:                            ;   in Loop: Header=BB243_10 Depth=1
	s_delay_alu instid0(SALU_CYCLE_1) | instskip(SKIP_2) | instid1(VALU_DEP_1)
	s_or_b32 exec_lo, exec_lo, s3
	v_lshrrev_b16 v43, 8, v83
	s_mov_b32 s3, exec_lo
	v_cmpx_ne_u16_e32 0, v43
	s_cbranch_execz .LBB243_138
; %bb.131:                              ;   in Loop: Header=BB243_10 Depth=1
	v_dual_mov_b32 v80, s7 :: v_dual_mov_b32 v79, s6
	s_mov_b32 s44, exec_lo
	v_cmpx_ne_u16_e32 0x80, v43
	s_cbranch_execz .LBB243_137
; %bb.132:                              ;   in Loop: Header=BB243_10 Depth=1
	s_mov_b32 s8, s6
	v_dual_mov_b32 v80, s9 :: v_dual_and_b32 v43, 0xffff, v43
	v_mov_b32_e32 v79, s8
	s_mov_b32 s8, exec_lo
	s_delay_alu instid0(VALU_DEP_2) | instskip(NEXT) | instid1(VALU_DEP_1)
	v_and_b32_e32 v84, 0x7f, v43
	v_cmpx_ne_u32_e32 0x7f, v84
	s_cbranch_execz .LBB243_136
; %bb.133:                              ;   in Loop: Header=BB243_10 Depth=1
	v_and_b32_e32 v43, 7, v43
	v_lshrrev_b32_e32 v79, 3, v84
	s_mov_b32 s45, exec_lo
	v_cmpx_gt_u32_e32 8, v84
; %bb.134:                              ;   in Loop: Header=BB243_10 Depth=1
	s_delay_alu instid0(VALU_DEP_3) | instskip(NEXT) | instid1(VALU_DEP_1)
	v_clz_i32_u32_e32 v79, v43
	v_min_u32_e32 v79, 32, v79
	s_delay_alu instid0(VALU_DEP_1) | instskip(SKIP_1) | instid1(VALU_DEP_2)
	v_subrev_nc_u32_e32 v80, 28, v79
	v_sub_nc_u32_e32 v79, 29, v79
	v_lshlrev_b64 v[84:85], v80, v[43:44]
	s_delay_alu instid0(VALU_DEP_1)
	v_and_b32_e32 v43, 7, v84
; %bb.135:                              ;   in Loop: Header=BB243_10 Depth=1
	s_or_b32 exec_lo, exec_lo, s45
	v_lshlrev_b32_e32 v80, 16, v83
	s_delay_alu instid0(VALU_DEP_2) | instskip(SKIP_1) | instid1(VALU_DEP_3)
	v_lshlrev_b32_e32 v43, 20, v43
	v_lshl_add_u32 v79, v79, 23, 0x3c000000
	v_and_b32_e32 v80, 0x80000000, v80
	s_delay_alu instid0(VALU_DEP_1)
	v_or3_b32 v80, v43, v80, v79
	v_mov_b32_e32 v79, v44
.LBB243_136:                            ;   in Loop: Header=BB243_10 Depth=1
	s_or_b32 exec_lo, exec_lo, s8
.LBB243_137:                            ;   in Loop: Header=BB243_10 Depth=1
	s_delay_alu instid0(SALU_CYCLE_1)
	s_or_b32 exec_lo, exec_lo, s44
.LBB243_138:                            ;   in Loop: Header=BB243_10 Depth=1
	s_delay_alu instid0(SALU_CYCLE_1)
	s_or_b32 exec_lo, exec_lo, s3
	global_load_u16 v43, v[61:62], off offset:512
	v_mov_b32_e32 v83, 0
	s_waitcnt vmcnt(0)
	v_dual_mov_b32 v84, 0 :: v_dual_and_b32 v85, 0xff, v43
	v_and_b32_e32 v87, 0xffff, v43
	s_delay_alu instid0(VALU_DEP_2) | instskip(NEXT) | instid1(VALU_DEP_3)
	v_cmp_ne_u16_e64 s1, 0, v85
	v_dual_mov_b32 v86, v84 :: v_dual_mov_b32 v85, v83
	s_delay_alu instid0(VALU_DEP_2)
	s_and_saveexec_b32 s3, s1
	s_cbranch_execz .LBB243_146
; %bb.139:                              ;   in Loop: Header=BB243_10 Depth=1
	v_bfrev_b32_e32 v85, 1
	v_dual_mov_b32 v86, 0 :: v_dual_and_b32 v43, 0xff, v87
	s_mov_b32 s8, exec_lo
	s_delay_alu instid0(VALU_DEP_1)
	v_cmpx_ne_u16_e32 0x80, v43
	s_cbranch_execz .LBB243_145
; %bb.140:                              ;   in Loop: Header=BB243_10 Depth=1
	v_mov_b32_e32 v85, 0x7f800001
	v_and_b32_e32 v88, 0x7f, v87
	v_mov_b32_e32 v86, 0
	s_mov_b32 s44, exec_lo
	s_delay_alu instid0(VALU_DEP_2)
	v_cmpx_ne_u32_e32 0x7f, v88
	s_cbranch_execz .LBB243_144
; %bb.141:                              ;   in Loop: Header=BB243_10 Depth=1
	v_and_b32_e32 v43, 7, v87
	v_lshrrev_b32_e32 v85, 3, v88
	s_mov_b32 s45, exec_lo
	v_cmpx_gt_u32_e32 8, v88
; %bb.142:                              ;   in Loop: Header=BB243_10 Depth=1
	s_delay_alu instid0(VALU_DEP_3) | instskip(NEXT) | instid1(VALU_DEP_1)
	v_clz_i32_u32_e32 v85, v43
	v_min_u32_e32 v85, 32, v85
	s_delay_alu instid0(VALU_DEP_1) | instskip(SKIP_1) | instid1(VALU_DEP_2)
	v_subrev_nc_u32_e32 v86, 28, v85
	v_sub_nc_u32_e32 v85, 29, v85
	v_lshlrev_b64 v[88:89], v86, v[43:44]
	s_delay_alu instid0(VALU_DEP_1)
	v_and_b32_e32 v43, 7, v88
; %bb.143:                              ;   in Loop: Header=BB243_10 Depth=1
	s_or_b32 exec_lo, exec_lo, s45
	v_lshlrev_b32_e32 v86, 24, v87
	s_delay_alu instid0(VALU_DEP_2) | instskip(SKIP_1) | instid1(VALU_DEP_3)
	v_lshlrev_b32_e32 v43, 20, v43
	v_lshl_add_u32 v85, v85, 23, 0x3c000000
	v_and_b32_e32 v86, 0x80000000, v86
	s_delay_alu instid0(VALU_DEP_1) | instskip(NEXT) | instid1(VALU_DEP_1)
	v_or3_b32 v43, v43, v86, v85
	v_dual_mov_b32 v86, v44 :: v_dual_mov_b32 v85, v43
.LBB243_144:                            ;   in Loop: Header=BB243_10 Depth=1
	s_or_b32 exec_lo, exec_lo, s44
.LBB243_145:                            ;   in Loop: Header=BB243_10 Depth=1
	s_delay_alu instid0(SALU_CYCLE_1)
	s_or_b32 exec_lo, exec_lo, s8
.LBB243_146:                            ;   in Loop: Header=BB243_10 Depth=1
	s_delay_alu instid0(SALU_CYCLE_1) | instskip(SKIP_2) | instid1(VALU_DEP_1)
	s_or_b32 exec_lo, exec_lo, s3
	v_lshrrev_b16 v43, 8, v87
	s_mov_b32 s3, exec_lo
	v_cmpx_ne_u16_e32 0, v43
	s_cbranch_execz .LBB243_154
; %bb.147:                              ;   in Loop: Header=BB243_10 Depth=1
	v_dual_mov_b32 v84, s7 :: v_dual_mov_b32 v83, s6
	s_mov_b32 s44, exec_lo
	v_cmpx_ne_u16_e32 0x80, v43
	s_cbranch_execz .LBB243_153
; %bb.148:                              ;   in Loop: Header=BB243_10 Depth=1
	s_mov_b32 s8, s6
	v_dual_mov_b32 v84, s9 :: v_dual_and_b32 v43, 0xffff, v43
	v_mov_b32_e32 v83, s8
	s_mov_b32 s8, exec_lo
	s_delay_alu instid0(VALU_DEP_2) | instskip(NEXT) | instid1(VALU_DEP_1)
	v_and_b32_e32 v88, 0x7f, v43
	v_cmpx_ne_u32_e32 0x7f, v88
	s_cbranch_execz .LBB243_152
; %bb.149:                              ;   in Loop: Header=BB243_10 Depth=1
	v_and_b32_e32 v43, 7, v43
	v_lshrrev_b32_e32 v83, 3, v88
	s_mov_b32 s45, exec_lo
	v_cmpx_gt_u32_e32 8, v88
; %bb.150:                              ;   in Loop: Header=BB243_10 Depth=1
	s_delay_alu instid0(VALU_DEP_3) | instskip(NEXT) | instid1(VALU_DEP_1)
	v_clz_i32_u32_e32 v83, v43
	v_min_u32_e32 v83, 32, v83
	s_delay_alu instid0(VALU_DEP_1) | instskip(SKIP_1) | instid1(VALU_DEP_2)
	v_subrev_nc_u32_e32 v84, 28, v83
	v_sub_nc_u32_e32 v83, 29, v83
	v_lshlrev_b64 v[88:89], v84, v[43:44]
	s_delay_alu instid0(VALU_DEP_1)
	v_and_b32_e32 v43, 7, v88
; %bb.151:                              ;   in Loop: Header=BB243_10 Depth=1
	s_or_b32 exec_lo, exec_lo, s45
	v_lshlrev_b32_e32 v84, 16, v87
	s_delay_alu instid0(VALU_DEP_2) | instskip(SKIP_1) | instid1(VALU_DEP_3)
	v_lshlrev_b32_e32 v43, 20, v43
	v_lshl_add_u32 v83, v83, 23, 0x3c000000
	v_and_b32_e32 v84, 0x80000000, v84
	s_delay_alu instid0(VALU_DEP_1)
	v_or3_b32 v84, v43, v84, v83
	v_mov_b32_e32 v83, v44
.LBB243_152:                            ;   in Loop: Header=BB243_10 Depth=1
	s_or_b32 exec_lo, exec_lo, s8
.LBB243_153:                            ;   in Loop: Header=BB243_10 Depth=1
	s_delay_alu instid0(SALU_CYCLE_1)
	s_or_b32 exec_lo, exec_lo, s44
.LBB243_154:                            ;   in Loop: Header=BB243_10 Depth=1
	s_delay_alu instid0(SALU_CYCLE_1)
	s_or_b32 exec_lo, exec_lo, s3
	global_load_u16 v43, v[61:62], off offset:516
	v_mov_b32_e32 v87, 0
	s_waitcnt vmcnt(0)
	v_dual_mov_b32 v88, 0 :: v_dual_and_b32 v89, 0xff, v43
	v_and_b32_e32 v91, 0xffff, v43
	s_delay_alu instid0(VALU_DEP_2) | instskip(NEXT) | instid1(VALU_DEP_3)
	v_cmp_ne_u16_e64 s1, 0, v89
	v_dual_mov_b32 v90, v88 :: v_dual_mov_b32 v89, v87
	s_delay_alu instid0(VALU_DEP_2)
	s_and_saveexec_b32 s3, s1
	s_cbranch_execz .LBB243_162
; %bb.155:                              ;   in Loop: Header=BB243_10 Depth=1
	v_bfrev_b32_e32 v89, 1
	v_dual_mov_b32 v90, 0 :: v_dual_and_b32 v43, 0xff, v91
	s_mov_b32 s8, exec_lo
	s_delay_alu instid0(VALU_DEP_1)
	v_cmpx_ne_u16_e32 0x80, v43
	s_cbranch_execz .LBB243_161
; %bb.156:                              ;   in Loop: Header=BB243_10 Depth=1
	v_mov_b32_e32 v89, 0x7f800001
	v_and_b32_e32 v92, 0x7f, v91
	v_mov_b32_e32 v90, 0
	s_mov_b32 s44, exec_lo
	s_delay_alu instid0(VALU_DEP_2)
	v_cmpx_ne_u32_e32 0x7f, v92
	s_cbranch_execz .LBB243_160
; %bb.157:                              ;   in Loop: Header=BB243_10 Depth=1
	v_and_b32_e32 v43, 7, v91
	v_lshrrev_b32_e32 v89, 3, v92
	s_mov_b32 s45, exec_lo
	v_cmpx_gt_u32_e32 8, v92
; %bb.158:                              ;   in Loop: Header=BB243_10 Depth=1
	s_delay_alu instid0(VALU_DEP_3) | instskip(NEXT) | instid1(VALU_DEP_1)
	v_clz_i32_u32_e32 v89, v43
	v_min_u32_e32 v89, 32, v89
	s_delay_alu instid0(VALU_DEP_1) | instskip(SKIP_1) | instid1(VALU_DEP_2)
	v_subrev_nc_u32_e32 v90, 28, v89
	v_sub_nc_u32_e32 v89, 29, v89
	v_lshlrev_b64 v[92:93], v90, v[43:44]
	s_delay_alu instid0(VALU_DEP_1)
	v_and_b32_e32 v43, 7, v92
; %bb.159:                              ;   in Loop: Header=BB243_10 Depth=1
	s_or_b32 exec_lo, exec_lo, s45
	v_lshlrev_b32_e32 v90, 24, v91
	s_delay_alu instid0(VALU_DEP_2) | instskip(SKIP_1) | instid1(VALU_DEP_3)
	v_lshlrev_b32_e32 v43, 20, v43
	v_lshl_add_u32 v89, v89, 23, 0x3c000000
	v_and_b32_e32 v90, 0x80000000, v90
	s_delay_alu instid0(VALU_DEP_1) | instskip(NEXT) | instid1(VALU_DEP_1)
	v_or3_b32 v43, v43, v90, v89
	v_dual_mov_b32 v90, v44 :: v_dual_mov_b32 v89, v43
.LBB243_160:                            ;   in Loop: Header=BB243_10 Depth=1
	s_or_b32 exec_lo, exec_lo, s44
.LBB243_161:                            ;   in Loop: Header=BB243_10 Depth=1
	s_delay_alu instid0(SALU_CYCLE_1)
	s_or_b32 exec_lo, exec_lo, s8
.LBB243_162:                            ;   in Loop: Header=BB243_10 Depth=1
	s_delay_alu instid0(SALU_CYCLE_1) | instskip(SKIP_2) | instid1(VALU_DEP_1)
	s_or_b32 exec_lo, exec_lo, s3
	v_lshrrev_b16 v43, 8, v91
	s_mov_b32 s3, exec_lo
	v_cmpx_ne_u16_e32 0, v43
	s_cbranch_execz .LBB243_170
; %bb.163:                              ;   in Loop: Header=BB243_10 Depth=1
	v_dual_mov_b32 v88, s7 :: v_dual_mov_b32 v87, s6
	s_mov_b32 s44, exec_lo
	v_cmpx_ne_u16_e32 0x80, v43
	s_cbranch_execz .LBB243_169
; %bb.164:                              ;   in Loop: Header=BB243_10 Depth=1
	s_mov_b32 s8, s6
	v_dual_mov_b32 v88, s9 :: v_dual_and_b32 v43, 0xffff, v43
	v_mov_b32_e32 v87, s8
	s_mov_b32 s8, exec_lo
	s_delay_alu instid0(VALU_DEP_2) | instskip(NEXT) | instid1(VALU_DEP_1)
	v_and_b32_e32 v92, 0x7f, v43
	v_cmpx_ne_u32_e32 0x7f, v92
	s_cbranch_execz .LBB243_168
; %bb.165:                              ;   in Loop: Header=BB243_10 Depth=1
	v_and_b32_e32 v43, 7, v43
	v_lshrrev_b32_e32 v87, 3, v92
	s_mov_b32 s45, exec_lo
	v_cmpx_gt_u32_e32 8, v92
; %bb.166:                              ;   in Loop: Header=BB243_10 Depth=1
	s_delay_alu instid0(VALU_DEP_3) | instskip(NEXT) | instid1(VALU_DEP_1)
	v_clz_i32_u32_e32 v87, v43
	v_min_u32_e32 v87, 32, v87
	s_delay_alu instid0(VALU_DEP_1) | instskip(SKIP_1) | instid1(VALU_DEP_2)
	v_subrev_nc_u32_e32 v88, 28, v87
	v_sub_nc_u32_e32 v87, 29, v87
	v_lshlrev_b64 v[92:93], v88, v[43:44]
	s_delay_alu instid0(VALU_DEP_1)
	v_and_b32_e32 v43, 7, v92
; %bb.167:                              ;   in Loop: Header=BB243_10 Depth=1
	s_or_b32 exec_lo, exec_lo, s45
	v_lshlrev_b32_e32 v88, 16, v91
	s_delay_alu instid0(VALU_DEP_2) | instskip(SKIP_1) | instid1(VALU_DEP_3)
	v_lshlrev_b32_e32 v43, 20, v43
	v_lshl_add_u32 v87, v87, 23, 0x3c000000
	v_and_b32_e32 v88, 0x80000000, v88
	s_delay_alu instid0(VALU_DEP_1)
	v_or3_b32 v88, v43, v88, v87
	v_mov_b32_e32 v87, v44
.LBB243_168:                            ;   in Loop: Header=BB243_10 Depth=1
	s_or_b32 exec_lo, exec_lo, s8
.LBB243_169:                            ;   in Loop: Header=BB243_10 Depth=1
	s_delay_alu instid0(SALU_CYCLE_1)
	s_or_b32 exec_lo, exec_lo, s44
.LBB243_170:                            ;   in Loop: Header=BB243_10 Depth=1
	s_delay_alu instid0(SALU_CYCLE_1) | instskip(SKIP_1) | instid1(VALU_DEP_1)
	s_or_b32 exec_lo, exec_lo, s3
	v_add_co_u32 v95, s1, 0x200, v61
	v_add_co_ci_u32_e64 v96, s1, 0, v62, s1
	v_mov_b32_e32 v91, 0
	global_load_u16 v43, v[95:96], off offset:8
	s_waitcnt vmcnt(0)
	v_dual_mov_b32 v92, 0 :: v_dual_and_b32 v93, 0xff, v43
	v_and_b32_e32 v97, 0xffff, v43
	s_delay_alu instid0(VALU_DEP_2) | instskip(NEXT) | instid1(VALU_DEP_3)
	v_cmp_ne_u16_e64 s1, 0, v93
	v_dual_mov_b32 v94, v92 :: v_dual_mov_b32 v93, v91
	s_delay_alu instid0(VALU_DEP_2)
	s_and_saveexec_b32 s3, s1
	s_cbranch_execz .LBB243_178
; %bb.171:                              ;   in Loop: Header=BB243_10 Depth=1
	v_bfrev_b32_e32 v93, 1
	v_dual_mov_b32 v94, 0 :: v_dual_and_b32 v43, 0xff, v97
	s_mov_b32 s8, exec_lo
	s_delay_alu instid0(VALU_DEP_1)
	v_cmpx_ne_u16_e32 0x80, v43
	s_cbranch_execz .LBB243_177
; %bb.172:                              ;   in Loop: Header=BB243_10 Depth=1
	v_mov_b32_e32 v93, 0x7f800001
	v_and_b32_e32 v98, 0x7f, v97
	v_mov_b32_e32 v94, 0
	s_mov_b32 s44, exec_lo
	s_delay_alu instid0(VALU_DEP_2)
	v_cmpx_ne_u32_e32 0x7f, v98
	s_cbranch_execz .LBB243_176
; %bb.173:                              ;   in Loop: Header=BB243_10 Depth=1
	v_and_b32_e32 v43, 7, v97
	v_lshrrev_b32_e32 v93, 3, v98
	s_mov_b32 s45, exec_lo
	v_cmpx_gt_u32_e32 8, v98
; %bb.174:                              ;   in Loop: Header=BB243_10 Depth=1
	s_delay_alu instid0(VALU_DEP_3) | instskip(NEXT) | instid1(VALU_DEP_1)
	v_clz_i32_u32_e32 v93, v43
	v_min_u32_e32 v93, 32, v93
	s_delay_alu instid0(VALU_DEP_1) | instskip(SKIP_1) | instid1(VALU_DEP_2)
	v_subrev_nc_u32_e32 v94, 28, v93
	v_sub_nc_u32_e32 v93, 29, v93
	v_lshlrev_b64 v[98:99], v94, v[43:44]
	s_delay_alu instid0(VALU_DEP_1)
	v_and_b32_e32 v43, 7, v98
; %bb.175:                              ;   in Loop: Header=BB243_10 Depth=1
	s_or_b32 exec_lo, exec_lo, s45
	v_lshlrev_b32_e32 v94, 24, v97
	s_delay_alu instid0(VALU_DEP_2) | instskip(SKIP_1) | instid1(VALU_DEP_3)
	v_lshlrev_b32_e32 v43, 20, v43
	v_lshl_add_u32 v93, v93, 23, 0x3c000000
	v_and_b32_e32 v94, 0x80000000, v94
	s_delay_alu instid0(VALU_DEP_1) | instskip(NEXT) | instid1(VALU_DEP_1)
	v_or3_b32 v43, v43, v94, v93
	v_dual_mov_b32 v94, v44 :: v_dual_mov_b32 v93, v43
.LBB243_176:                            ;   in Loop: Header=BB243_10 Depth=1
	s_or_b32 exec_lo, exec_lo, s44
.LBB243_177:                            ;   in Loop: Header=BB243_10 Depth=1
	s_delay_alu instid0(SALU_CYCLE_1)
	s_or_b32 exec_lo, exec_lo, s8
.LBB243_178:                            ;   in Loop: Header=BB243_10 Depth=1
	s_delay_alu instid0(SALU_CYCLE_1) | instskip(SKIP_2) | instid1(VALU_DEP_1)
	s_or_b32 exec_lo, exec_lo, s3
	v_lshrrev_b16 v43, 8, v97
	s_mov_b32 s3, exec_lo
	v_cmpx_ne_u16_e32 0, v43
	s_cbranch_execz .LBB243_186
; %bb.179:                              ;   in Loop: Header=BB243_10 Depth=1
	v_dual_mov_b32 v92, s7 :: v_dual_mov_b32 v91, s6
	s_mov_b32 s44, exec_lo
	v_cmpx_ne_u16_e32 0x80, v43
	s_cbranch_execz .LBB243_185
; %bb.180:                              ;   in Loop: Header=BB243_10 Depth=1
	s_mov_b32 s8, s6
	v_dual_mov_b32 v92, s9 :: v_dual_and_b32 v43, 0xffff, v43
	v_mov_b32_e32 v91, s8
	s_mov_b32 s8, exec_lo
	s_delay_alu instid0(VALU_DEP_2) | instskip(NEXT) | instid1(VALU_DEP_1)
	v_and_b32_e32 v98, 0x7f, v43
	v_cmpx_ne_u32_e32 0x7f, v98
	s_cbranch_execz .LBB243_184
; %bb.181:                              ;   in Loop: Header=BB243_10 Depth=1
	v_and_b32_e32 v43, 7, v43
	v_lshrrev_b32_e32 v91, 3, v98
	s_mov_b32 s45, exec_lo
	v_cmpx_gt_u32_e32 8, v98
; %bb.182:                              ;   in Loop: Header=BB243_10 Depth=1
	s_delay_alu instid0(VALU_DEP_3) | instskip(NEXT) | instid1(VALU_DEP_1)
	v_clz_i32_u32_e32 v91, v43
	v_min_u32_e32 v91, 32, v91
	s_delay_alu instid0(VALU_DEP_1) | instskip(SKIP_1) | instid1(VALU_DEP_2)
	v_subrev_nc_u32_e32 v92, 28, v91
	v_sub_nc_u32_e32 v91, 29, v91
	v_lshlrev_b64 v[98:99], v92, v[43:44]
	s_delay_alu instid0(VALU_DEP_1)
	v_and_b32_e32 v43, 7, v98
; %bb.183:                              ;   in Loop: Header=BB243_10 Depth=1
	s_or_b32 exec_lo, exec_lo, s45
	v_lshlrev_b32_e32 v92, 16, v97
	s_delay_alu instid0(VALU_DEP_2) | instskip(SKIP_1) | instid1(VALU_DEP_3)
	v_lshlrev_b32_e32 v43, 20, v43
	v_lshl_add_u32 v91, v91, 23, 0x3c000000
	v_and_b32_e32 v92, 0x80000000, v92
	s_delay_alu instid0(VALU_DEP_1)
	v_or3_b32 v92, v43, v92, v91
	v_mov_b32_e32 v91, v44
.LBB243_184:                            ;   in Loop: Header=BB243_10 Depth=1
	s_or_b32 exec_lo, exec_lo, s8
.LBB243_185:                            ;   in Loop: Header=BB243_10 Depth=1
	s_delay_alu instid0(SALU_CYCLE_1)
	s_or_b32 exec_lo, exec_lo, s44
.LBB243_186:                            ;   in Loop: Header=BB243_10 Depth=1
	s_delay_alu instid0(SALU_CYCLE_1)
	s_or_b32 exec_lo, exec_lo, s3
	global_load_u16 v43, v[95:96], off offset:12
	v_mov_b32_e32 v95, 0
	s_waitcnt vmcnt(0)
	v_dual_mov_b32 v96, 0 :: v_dual_and_b32 v97, 0xff, v43
	v_and_b32_e32 v99, 0xffff, v43
	s_delay_alu instid0(VALU_DEP_2) | instskip(NEXT) | instid1(VALU_DEP_3)
	v_cmp_ne_u16_e64 s1, 0, v97
	v_dual_mov_b32 v98, v96 :: v_dual_mov_b32 v97, v95
	s_delay_alu instid0(VALU_DEP_2)
	s_and_saveexec_b32 s3, s1
	s_cbranch_execz .LBB243_194
; %bb.187:                              ;   in Loop: Header=BB243_10 Depth=1
	v_bfrev_b32_e32 v97, 1
	v_dual_mov_b32 v98, 0 :: v_dual_and_b32 v43, 0xff, v99
	s_mov_b32 s8, exec_lo
	s_delay_alu instid0(VALU_DEP_1)
	v_cmpx_ne_u16_e32 0x80, v43
	s_cbranch_execz .LBB243_193
; %bb.188:                              ;   in Loop: Header=BB243_10 Depth=1
	v_mov_b32_e32 v97, 0x7f800001
	v_and_b32_e32 v100, 0x7f, v99
	v_mov_b32_e32 v98, 0
	s_mov_b32 s44, exec_lo
	s_delay_alu instid0(VALU_DEP_2)
	v_cmpx_ne_u32_e32 0x7f, v100
	s_cbranch_execz .LBB243_192
; %bb.189:                              ;   in Loop: Header=BB243_10 Depth=1
	v_and_b32_e32 v43, 7, v99
	v_lshrrev_b32_e32 v97, 3, v100
	s_mov_b32 s45, exec_lo
	v_cmpx_gt_u32_e32 8, v100
; %bb.190:                              ;   in Loop: Header=BB243_10 Depth=1
	s_delay_alu instid0(VALU_DEP_3) | instskip(NEXT) | instid1(VALU_DEP_1)
	v_clz_i32_u32_e32 v97, v43
	v_min_u32_e32 v97, 32, v97
	s_delay_alu instid0(VALU_DEP_1) | instskip(SKIP_1) | instid1(VALU_DEP_2)
	v_subrev_nc_u32_e32 v98, 28, v97
	v_sub_nc_u32_e32 v97, 29, v97
	v_lshlrev_b64 v[100:101], v98, v[43:44]
	s_delay_alu instid0(VALU_DEP_1)
	v_and_b32_e32 v43, 7, v100
; %bb.191:                              ;   in Loop: Header=BB243_10 Depth=1
	s_or_b32 exec_lo, exec_lo, s45
	v_lshlrev_b32_e32 v98, 24, v99
	s_delay_alu instid0(VALU_DEP_2) | instskip(SKIP_1) | instid1(VALU_DEP_3)
	v_lshlrev_b32_e32 v43, 20, v43
	v_lshl_add_u32 v97, v97, 23, 0x3c000000
	v_and_b32_e32 v98, 0x80000000, v98
	s_delay_alu instid0(VALU_DEP_1) | instskip(NEXT) | instid1(VALU_DEP_1)
	v_or3_b32 v43, v43, v98, v97
	v_dual_mov_b32 v98, v44 :: v_dual_mov_b32 v97, v43
.LBB243_192:                            ;   in Loop: Header=BB243_10 Depth=1
	s_or_b32 exec_lo, exec_lo, s44
.LBB243_193:                            ;   in Loop: Header=BB243_10 Depth=1
	s_delay_alu instid0(SALU_CYCLE_1)
	s_or_b32 exec_lo, exec_lo, s8
.LBB243_194:                            ;   in Loop: Header=BB243_10 Depth=1
	s_delay_alu instid0(SALU_CYCLE_1) | instskip(SKIP_2) | instid1(VALU_DEP_1)
	s_or_b32 exec_lo, exec_lo, s3
	v_lshrrev_b16 v43, 8, v99
	s_mov_b32 s3, exec_lo
	v_cmpx_ne_u16_e32 0, v43
	s_cbranch_execz .LBB243_202
; %bb.195:                              ;   in Loop: Header=BB243_10 Depth=1
	v_dual_mov_b32 v96, s7 :: v_dual_mov_b32 v95, s6
	s_mov_b32 s44, exec_lo
	v_cmpx_ne_u16_e32 0x80, v43
	s_cbranch_execz .LBB243_201
; %bb.196:                              ;   in Loop: Header=BB243_10 Depth=1
	s_mov_b32 s8, s6
	v_dual_mov_b32 v96, s9 :: v_dual_and_b32 v43, 0xffff, v43
	v_mov_b32_e32 v95, s8
	s_mov_b32 s8, exec_lo
	s_delay_alu instid0(VALU_DEP_2) | instskip(NEXT) | instid1(VALU_DEP_1)
	v_and_b32_e32 v100, 0x7f, v43
	v_cmpx_ne_u32_e32 0x7f, v100
	s_cbranch_execz .LBB243_200
; %bb.197:                              ;   in Loop: Header=BB243_10 Depth=1
	v_and_b32_e32 v43, 7, v43
	v_lshrrev_b32_e32 v95, 3, v100
	s_mov_b32 s45, exec_lo
	v_cmpx_gt_u32_e32 8, v100
; %bb.198:                              ;   in Loop: Header=BB243_10 Depth=1
	s_delay_alu instid0(VALU_DEP_3) | instskip(NEXT) | instid1(VALU_DEP_1)
	v_clz_i32_u32_e32 v95, v43
	v_min_u32_e32 v95, 32, v95
	s_delay_alu instid0(VALU_DEP_1) | instskip(SKIP_1) | instid1(VALU_DEP_2)
	v_subrev_nc_u32_e32 v96, 28, v95
	v_sub_nc_u32_e32 v95, 29, v95
	v_lshlrev_b64 v[100:101], v96, v[43:44]
	s_delay_alu instid0(VALU_DEP_1)
	v_and_b32_e32 v43, 7, v100
; %bb.199:                              ;   in Loop: Header=BB243_10 Depth=1
	s_or_b32 exec_lo, exec_lo, s45
	v_lshlrev_b32_e32 v96, 16, v99
	s_delay_alu instid0(VALU_DEP_2) | instskip(SKIP_1) | instid1(VALU_DEP_3)
	v_lshlrev_b32_e32 v43, 20, v43
	v_lshl_add_u32 v95, v95, 23, 0x3c000000
	v_and_b32_e32 v96, 0x80000000, v96
	s_delay_alu instid0(VALU_DEP_1)
	v_or3_b32 v96, v43, v96, v95
	v_mov_b32_e32 v95, v44
.LBB243_200:                            ;   in Loop: Header=BB243_10 Depth=1
	s_or_b32 exec_lo, exec_lo, s8
.LBB243_201:                            ;   in Loop: Header=BB243_10 Depth=1
	s_delay_alu instid0(SALU_CYCLE_1)
	s_or_b32 exec_lo, exec_lo, s44
.LBB243_202:                            ;   in Loop: Header=BB243_10 Depth=1
	s_delay_alu instid0(SALU_CYCLE_1)
	s_or_b32 exec_lo, exec_lo, s3
	global_load_u16 v43, v[61:62], off offset:768
	v_mov_b32_e32 v99, 0
	s_waitcnt vmcnt(0)
	v_dual_mov_b32 v100, 0 :: v_dual_and_b32 v101, 0xff, v43
	v_and_b32_e32 v103, 0xffff, v43
	s_delay_alu instid0(VALU_DEP_2) | instskip(NEXT) | instid1(VALU_DEP_3)
	v_cmp_ne_u16_e64 s1, 0, v101
	v_dual_mov_b32 v102, v100 :: v_dual_mov_b32 v101, v99
	s_delay_alu instid0(VALU_DEP_2)
	s_and_saveexec_b32 s3, s1
	s_cbranch_execz .LBB243_210
; %bb.203:                              ;   in Loop: Header=BB243_10 Depth=1
	v_bfrev_b32_e32 v101, 1
	v_dual_mov_b32 v102, 0 :: v_dual_and_b32 v43, 0xff, v103
	s_mov_b32 s8, exec_lo
	s_delay_alu instid0(VALU_DEP_1)
	v_cmpx_ne_u16_e32 0x80, v43
	s_cbranch_execz .LBB243_209
; %bb.204:                              ;   in Loop: Header=BB243_10 Depth=1
	v_mov_b32_e32 v101, 0x7f800001
	v_and_b32_e32 v104, 0x7f, v103
	v_mov_b32_e32 v102, 0
	s_mov_b32 s44, exec_lo
	s_delay_alu instid0(VALU_DEP_2)
	v_cmpx_ne_u32_e32 0x7f, v104
	s_cbranch_execz .LBB243_208
; %bb.205:                              ;   in Loop: Header=BB243_10 Depth=1
	v_and_b32_e32 v43, 7, v103
	v_lshrrev_b32_e32 v101, 3, v104
	s_mov_b32 s45, exec_lo
	v_cmpx_gt_u32_e32 8, v104
; %bb.206:                              ;   in Loop: Header=BB243_10 Depth=1
	s_delay_alu instid0(VALU_DEP_3) | instskip(NEXT) | instid1(VALU_DEP_1)
	v_clz_i32_u32_e32 v101, v43
	v_min_u32_e32 v101, 32, v101
	s_delay_alu instid0(VALU_DEP_1) | instskip(SKIP_1) | instid1(VALU_DEP_2)
	v_subrev_nc_u32_e32 v102, 28, v101
	v_sub_nc_u32_e32 v101, 29, v101
	v_lshlrev_b64 v[104:105], v102, v[43:44]
	s_delay_alu instid0(VALU_DEP_1)
	v_and_b32_e32 v43, 7, v104
; %bb.207:                              ;   in Loop: Header=BB243_10 Depth=1
	s_or_b32 exec_lo, exec_lo, s45
	v_lshlrev_b32_e32 v102, 24, v103
	s_delay_alu instid0(VALU_DEP_2) | instskip(SKIP_1) | instid1(VALU_DEP_3)
	v_lshlrev_b32_e32 v43, 20, v43
	v_lshl_add_u32 v101, v101, 23, 0x3c000000
	v_and_b32_e32 v102, 0x80000000, v102
	s_delay_alu instid0(VALU_DEP_1) | instskip(NEXT) | instid1(VALU_DEP_1)
	v_or3_b32 v43, v43, v102, v101
	v_dual_mov_b32 v102, v44 :: v_dual_mov_b32 v101, v43
.LBB243_208:                            ;   in Loop: Header=BB243_10 Depth=1
	s_or_b32 exec_lo, exec_lo, s44
.LBB243_209:                            ;   in Loop: Header=BB243_10 Depth=1
	s_delay_alu instid0(SALU_CYCLE_1)
	s_or_b32 exec_lo, exec_lo, s8
.LBB243_210:                            ;   in Loop: Header=BB243_10 Depth=1
	s_delay_alu instid0(SALU_CYCLE_1) | instskip(SKIP_2) | instid1(VALU_DEP_1)
	s_or_b32 exec_lo, exec_lo, s3
	v_lshrrev_b16 v43, 8, v103
	s_mov_b32 s3, exec_lo
	v_cmpx_ne_u16_e32 0, v43
	s_cbranch_execz .LBB243_218
; %bb.211:                              ;   in Loop: Header=BB243_10 Depth=1
	v_dual_mov_b32 v100, s7 :: v_dual_mov_b32 v99, s6
	s_mov_b32 s44, exec_lo
	v_cmpx_ne_u16_e32 0x80, v43
	s_cbranch_execz .LBB243_217
; %bb.212:                              ;   in Loop: Header=BB243_10 Depth=1
	s_mov_b32 s8, s6
	v_dual_mov_b32 v100, s9 :: v_dual_and_b32 v43, 0xffff, v43
	v_mov_b32_e32 v99, s8
	s_mov_b32 s8, exec_lo
	s_delay_alu instid0(VALU_DEP_2) | instskip(NEXT) | instid1(VALU_DEP_1)
	v_and_b32_e32 v104, 0x7f, v43
	v_cmpx_ne_u32_e32 0x7f, v104
	s_cbranch_execz .LBB243_216
; %bb.213:                              ;   in Loop: Header=BB243_10 Depth=1
	v_and_b32_e32 v43, 7, v43
	v_lshrrev_b32_e32 v99, 3, v104
	s_mov_b32 s45, exec_lo
	v_cmpx_gt_u32_e32 8, v104
; %bb.214:                              ;   in Loop: Header=BB243_10 Depth=1
	s_delay_alu instid0(VALU_DEP_3) | instskip(NEXT) | instid1(VALU_DEP_1)
	v_clz_i32_u32_e32 v99, v43
	v_min_u32_e32 v99, 32, v99
	s_delay_alu instid0(VALU_DEP_1) | instskip(SKIP_1) | instid1(VALU_DEP_2)
	v_subrev_nc_u32_e32 v100, 28, v99
	v_sub_nc_u32_e32 v99, 29, v99
	v_lshlrev_b64 v[104:105], v100, v[43:44]
	s_delay_alu instid0(VALU_DEP_1)
	v_and_b32_e32 v43, 7, v104
; %bb.215:                              ;   in Loop: Header=BB243_10 Depth=1
	s_or_b32 exec_lo, exec_lo, s45
	v_lshlrev_b32_e32 v100, 16, v103
	s_delay_alu instid0(VALU_DEP_2) | instskip(SKIP_1) | instid1(VALU_DEP_3)
	v_lshlrev_b32_e32 v43, 20, v43
	v_lshl_add_u32 v99, v99, 23, 0x3c000000
	v_and_b32_e32 v100, 0x80000000, v100
	s_delay_alu instid0(VALU_DEP_1)
	v_or3_b32 v100, v43, v100, v99
	v_mov_b32_e32 v99, v44
.LBB243_216:                            ;   in Loop: Header=BB243_10 Depth=1
	s_or_b32 exec_lo, exec_lo, s8
.LBB243_217:                            ;   in Loop: Header=BB243_10 Depth=1
	s_delay_alu instid0(SALU_CYCLE_1)
	s_or_b32 exec_lo, exec_lo, s44
.LBB243_218:                            ;   in Loop: Header=BB243_10 Depth=1
	s_delay_alu instid0(SALU_CYCLE_1)
	s_or_b32 exec_lo, exec_lo, s3
	global_load_u16 v43, v[61:62], off offset:772
	v_mov_b32_e32 v103, 0
	s_waitcnt vmcnt(0)
	v_dual_mov_b32 v104, 0 :: v_dual_and_b32 v105, 0xff, v43
	v_and_b32_e32 v107, 0xffff, v43
	s_delay_alu instid0(VALU_DEP_2) | instskip(NEXT) | instid1(VALU_DEP_3)
	v_cmp_ne_u16_e64 s1, 0, v105
	v_dual_mov_b32 v106, v104 :: v_dual_mov_b32 v105, v103
	s_delay_alu instid0(VALU_DEP_2)
	s_and_saveexec_b32 s3, s1
	s_cbranch_execz .LBB243_226
; %bb.219:                              ;   in Loop: Header=BB243_10 Depth=1
	v_bfrev_b32_e32 v105, 1
	v_dual_mov_b32 v106, 0 :: v_dual_and_b32 v43, 0xff, v107
	s_mov_b32 s8, exec_lo
	s_delay_alu instid0(VALU_DEP_1)
	v_cmpx_ne_u16_e32 0x80, v43
	s_cbranch_execz .LBB243_225
; %bb.220:                              ;   in Loop: Header=BB243_10 Depth=1
	v_mov_b32_e32 v105, 0x7f800001
	v_and_b32_e32 v108, 0x7f, v107
	v_mov_b32_e32 v106, 0
	s_mov_b32 s44, exec_lo
	s_delay_alu instid0(VALU_DEP_2)
	v_cmpx_ne_u32_e32 0x7f, v108
	s_cbranch_execz .LBB243_224
; %bb.221:                              ;   in Loop: Header=BB243_10 Depth=1
	v_and_b32_e32 v43, 7, v107
	v_lshrrev_b32_e32 v105, 3, v108
	s_mov_b32 s45, exec_lo
	v_cmpx_gt_u32_e32 8, v108
; %bb.222:                              ;   in Loop: Header=BB243_10 Depth=1
	s_delay_alu instid0(VALU_DEP_3) | instskip(NEXT) | instid1(VALU_DEP_1)
	v_clz_i32_u32_e32 v105, v43
	v_min_u32_e32 v105, 32, v105
	s_delay_alu instid0(VALU_DEP_1) | instskip(SKIP_1) | instid1(VALU_DEP_2)
	v_subrev_nc_u32_e32 v106, 28, v105
	v_sub_nc_u32_e32 v105, 29, v105
	v_lshlrev_b64 v[108:109], v106, v[43:44]
	s_delay_alu instid0(VALU_DEP_1)
	v_and_b32_e32 v43, 7, v108
; %bb.223:                              ;   in Loop: Header=BB243_10 Depth=1
	s_or_b32 exec_lo, exec_lo, s45
	v_lshlrev_b32_e32 v106, 24, v107
	s_delay_alu instid0(VALU_DEP_2) | instskip(SKIP_1) | instid1(VALU_DEP_3)
	v_lshlrev_b32_e32 v43, 20, v43
	v_lshl_add_u32 v105, v105, 23, 0x3c000000
	v_and_b32_e32 v106, 0x80000000, v106
	s_delay_alu instid0(VALU_DEP_1) | instskip(NEXT) | instid1(VALU_DEP_1)
	v_or3_b32 v43, v43, v106, v105
	v_dual_mov_b32 v106, v44 :: v_dual_mov_b32 v105, v43
.LBB243_224:                            ;   in Loop: Header=BB243_10 Depth=1
	s_or_b32 exec_lo, exec_lo, s44
.LBB243_225:                            ;   in Loop: Header=BB243_10 Depth=1
	s_delay_alu instid0(SALU_CYCLE_1)
	s_or_b32 exec_lo, exec_lo, s8
.LBB243_226:                            ;   in Loop: Header=BB243_10 Depth=1
	s_delay_alu instid0(SALU_CYCLE_1) | instskip(SKIP_2) | instid1(VALU_DEP_1)
	s_or_b32 exec_lo, exec_lo, s3
	v_lshrrev_b16 v43, 8, v107
	s_mov_b32 s3, exec_lo
	v_cmpx_ne_u16_e32 0, v43
	s_cbranch_execz .LBB243_234
; %bb.227:                              ;   in Loop: Header=BB243_10 Depth=1
	v_dual_mov_b32 v104, s7 :: v_dual_mov_b32 v103, s6
	s_mov_b32 s44, exec_lo
	v_cmpx_ne_u16_e32 0x80, v43
	s_cbranch_execz .LBB243_233
; %bb.228:                              ;   in Loop: Header=BB243_10 Depth=1
	s_mov_b32 s8, s6
	v_dual_mov_b32 v104, s9 :: v_dual_and_b32 v43, 0xffff, v43
	v_mov_b32_e32 v103, s8
	s_mov_b32 s8, exec_lo
	s_delay_alu instid0(VALU_DEP_2) | instskip(NEXT) | instid1(VALU_DEP_1)
	v_and_b32_e32 v108, 0x7f, v43
	v_cmpx_ne_u32_e32 0x7f, v108
	s_cbranch_execz .LBB243_232
; %bb.229:                              ;   in Loop: Header=BB243_10 Depth=1
	v_and_b32_e32 v43, 7, v43
	v_lshrrev_b32_e32 v103, 3, v108
	s_mov_b32 s45, exec_lo
	v_cmpx_gt_u32_e32 8, v108
; %bb.230:                              ;   in Loop: Header=BB243_10 Depth=1
	s_delay_alu instid0(VALU_DEP_3) | instskip(NEXT) | instid1(VALU_DEP_1)
	v_clz_i32_u32_e32 v103, v43
	v_min_u32_e32 v103, 32, v103
	s_delay_alu instid0(VALU_DEP_1) | instskip(SKIP_1) | instid1(VALU_DEP_2)
	v_subrev_nc_u32_e32 v104, 28, v103
	v_sub_nc_u32_e32 v103, 29, v103
	v_lshlrev_b64 v[108:109], v104, v[43:44]
	s_delay_alu instid0(VALU_DEP_1)
	v_and_b32_e32 v43, 7, v108
; %bb.231:                              ;   in Loop: Header=BB243_10 Depth=1
	s_or_b32 exec_lo, exec_lo, s45
	v_lshlrev_b32_e32 v104, 16, v107
	s_delay_alu instid0(VALU_DEP_2) | instskip(SKIP_1) | instid1(VALU_DEP_3)
	v_lshlrev_b32_e32 v43, 20, v43
	v_lshl_add_u32 v103, v103, 23, 0x3c000000
	v_and_b32_e32 v104, 0x80000000, v104
	s_delay_alu instid0(VALU_DEP_1)
	v_or3_b32 v104, v43, v104, v103
	v_mov_b32_e32 v103, v44
.LBB243_232:                            ;   in Loop: Header=BB243_10 Depth=1
	s_or_b32 exec_lo, exec_lo, s8
.LBB243_233:                            ;   in Loop: Header=BB243_10 Depth=1
	s_delay_alu instid0(SALU_CYCLE_1)
	s_or_b32 exec_lo, exec_lo, s44
.LBB243_234:                            ;   in Loop: Header=BB243_10 Depth=1
	s_delay_alu instid0(SALU_CYCLE_1) | instskip(SKIP_1) | instid1(VALU_DEP_1)
	s_or_b32 exec_lo, exec_lo, s3
	v_add_co_u32 v111, s1, 0x300, v61
	v_add_co_ci_u32_e64 v112, s1, 0, v62, s1
	v_mov_b32_e32 v107, 0
	global_load_u16 v43, v[111:112], off offset:8
	s_waitcnt vmcnt(0)
	v_dual_mov_b32 v108, 0 :: v_dual_and_b32 v109, 0xff, v43
	v_and_b32_e32 v113, 0xffff, v43
	s_delay_alu instid0(VALU_DEP_2) | instskip(NEXT) | instid1(VALU_DEP_3)
	v_cmp_ne_u16_e64 s1, 0, v109
	v_dual_mov_b32 v110, v108 :: v_dual_mov_b32 v109, v107
	s_delay_alu instid0(VALU_DEP_2)
	s_and_saveexec_b32 s3, s1
	s_cbranch_execz .LBB243_242
; %bb.235:                              ;   in Loop: Header=BB243_10 Depth=1
	v_bfrev_b32_e32 v109, 1
	v_dual_mov_b32 v110, 0 :: v_dual_and_b32 v43, 0xff, v113
	s_mov_b32 s8, exec_lo
	s_delay_alu instid0(VALU_DEP_1)
	v_cmpx_ne_u16_e32 0x80, v43
	s_cbranch_execz .LBB243_241
; %bb.236:                              ;   in Loop: Header=BB243_10 Depth=1
	v_mov_b32_e32 v109, 0x7f800001
	v_and_b32_e32 v114, 0x7f, v113
	v_mov_b32_e32 v110, 0
	s_mov_b32 s44, exec_lo
	s_delay_alu instid0(VALU_DEP_2)
	v_cmpx_ne_u32_e32 0x7f, v114
	s_cbranch_execz .LBB243_240
; %bb.237:                              ;   in Loop: Header=BB243_10 Depth=1
	v_and_b32_e32 v43, 7, v113
	v_lshrrev_b32_e32 v109, 3, v114
	s_mov_b32 s45, exec_lo
	v_cmpx_gt_u32_e32 8, v114
; %bb.238:                              ;   in Loop: Header=BB243_10 Depth=1
	s_delay_alu instid0(VALU_DEP_3) | instskip(NEXT) | instid1(VALU_DEP_1)
	v_clz_i32_u32_e32 v109, v43
	v_min_u32_e32 v109, 32, v109
	s_delay_alu instid0(VALU_DEP_1) | instskip(SKIP_1) | instid1(VALU_DEP_2)
	v_subrev_nc_u32_e32 v110, 28, v109
	v_sub_nc_u32_e32 v109, 29, v109
	v_lshlrev_b64 v[114:115], v110, v[43:44]
	s_delay_alu instid0(VALU_DEP_1)
	v_and_b32_e32 v43, 7, v114
; %bb.239:                              ;   in Loop: Header=BB243_10 Depth=1
	s_or_b32 exec_lo, exec_lo, s45
	v_lshlrev_b32_e32 v110, 24, v113
	s_delay_alu instid0(VALU_DEP_2) | instskip(SKIP_1) | instid1(VALU_DEP_3)
	v_lshlrev_b32_e32 v43, 20, v43
	v_lshl_add_u32 v109, v109, 23, 0x3c000000
	v_and_b32_e32 v110, 0x80000000, v110
	s_delay_alu instid0(VALU_DEP_1) | instskip(NEXT) | instid1(VALU_DEP_1)
	v_or3_b32 v43, v43, v110, v109
	v_dual_mov_b32 v110, v44 :: v_dual_mov_b32 v109, v43
.LBB243_240:                            ;   in Loop: Header=BB243_10 Depth=1
	s_or_b32 exec_lo, exec_lo, s44
.LBB243_241:                            ;   in Loop: Header=BB243_10 Depth=1
	s_delay_alu instid0(SALU_CYCLE_1)
	s_or_b32 exec_lo, exec_lo, s8
.LBB243_242:                            ;   in Loop: Header=BB243_10 Depth=1
	s_delay_alu instid0(SALU_CYCLE_1) | instskip(SKIP_2) | instid1(VALU_DEP_1)
	s_or_b32 exec_lo, exec_lo, s3
	v_lshrrev_b16 v43, 8, v113
	s_mov_b32 s3, exec_lo
	v_cmpx_ne_u16_e32 0, v43
	s_cbranch_execz .LBB243_250
; %bb.243:                              ;   in Loop: Header=BB243_10 Depth=1
	v_dual_mov_b32 v108, s7 :: v_dual_mov_b32 v107, s6
	s_mov_b32 s44, exec_lo
	v_cmpx_ne_u16_e32 0x80, v43
	s_cbranch_execz .LBB243_249
; %bb.244:                              ;   in Loop: Header=BB243_10 Depth=1
	s_mov_b32 s8, s6
	v_dual_mov_b32 v108, s9 :: v_dual_and_b32 v43, 0xffff, v43
	v_mov_b32_e32 v107, s8
	s_mov_b32 s8, exec_lo
	s_delay_alu instid0(VALU_DEP_2) | instskip(NEXT) | instid1(VALU_DEP_1)
	v_and_b32_e32 v114, 0x7f, v43
	v_cmpx_ne_u32_e32 0x7f, v114
	s_cbranch_execz .LBB243_248
; %bb.245:                              ;   in Loop: Header=BB243_10 Depth=1
	v_and_b32_e32 v43, 7, v43
	v_lshrrev_b32_e32 v107, 3, v114
	s_mov_b32 s45, exec_lo
	v_cmpx_gt_u32_e32 8, v114
; %bb.246:                              ;   in Loop: Header=BB243_10 Depth=1
	s_delay_alu instid0(VALU_DEP_3) | instskip(NEXT) | instid1(VALU_DEP_1)
	v_clz_i32_u32_e32 v107, v43
	v_min_u32_e32 v107, 32, v107
	s_delay_alu instid0(VALU_DEP_1) | instskip(SKIP_1) | instid1(VALU_DEP_2)
	v_subrev_nc_u32_e32 v108, 28, v107
	v_sub_nc_u32_e32 v107, 29, v107
	v_lshlrev_b64 v[114:115], v108, v[43:44]
	s_delay_alu instid0(VALU_DEP_1)
	v_and_b32_e32 v43, 7, v114
; %bb.247:                              ;   in Loop: Header=BB243_10 Depth=1
	s_or_b32 exec_lo, exec_lo, s45
	v_lshlrev_b32_e32 v108, 16, v113
	s_delay_alu instid0(VALU_DEP_2) | instskip(SKIP_1) | instid1(VALU_DEP_3)
	v_lshlrev_b32_e32 v43, 20, v43
	v_lshl_add_u32 v107, v107, 23, 0x3c000000
	v_and_b32_e32 v108, 0x80000000, v108
	s_delay_alu instid0(VALU_DEP_1)
	v_or3_b32 v108, v43, v108, v107
	v_mov_b32_e32 v107, v44
.LBB243_248:                            ;   in Loop: Header=BB243_10 Depth=1
	s_or_b32 exec_lo, exec_lo, s8
.LBB243_249:                            ;   in Loop: Header=BB243_10 Depth=1
	s_delay_alu instid0(SALU_CYCLE_1)
	s_or_b32 exec_lo, exec_lo, s44
.LBB243_250:                            ;   in Loop: Header=BB243_10 Depth=1
	s_delay_alu instid0(SALU_CYCLE_1)
	s_or_b32 exec_lo, exec_lo, s3
	global_load_u16 v43, v[111:112], off offset:12
	v_mov_b32_e32 v111, 0
	s_waitcnt vmcnt(0)
	v_dual_mov_b32 v112, 0 :: v_dual_and_b32 v113, 0xff, v43
	v_and_b32_e32 v115, 0xffff, v43
	s_delay_alu instid0(VALU_DEP_2) | instskip(NEXT) | instid1(VALU_DEP_3)
	v_cmp_ne_u16_e64 s1, 0, v113
	v_dual_mov_b32 v114, v112 :: v_dual_mov_b32 v113, v111
	s_delay_alu instid0(VALU_DEP_2)
	s_and_saveexec_b32 s3, s1
	s_cbranch_execz .LBB243_258
; %bb.251:                              ;   in Loop: Header=BB243_10 Depth=1
	v_bfrev_b32_e32 v113, 1
	v_dual_mov_b32 v114, 0 :: v_dual_and_b32 v43, 0xff, v115
	s_mov_b32 s8, exec_lo
	s_delay_alu instid0(VALU_DEP_1)
	v_cmpx_ne_u16_e32 0x80, v43
	s_cbranch_execz .LBB243_257
; %bb.252:                              ;   in Loop: Header=BB243_10 Depth=1
	v_mov_b32_e32 v113, 0x7f800001
	v_and_b32_e32 v116, 0x7f, v115
	v_mov_b32_e32 v114, 0
	s_mov_b32 s44, exec_lo
	s_delay_alu instid0(VALU_DEP_2)
	v_cmpx_ne_u32_e32 0x7f, v116
	s_cbranch_execz .LBB243_256
; %bb.253:                              ;   in Loop: Header=BB243_10 Depth=1
	v_and_b32_e32 v43, 7, v115
	v_lshrrev_b32_e32 v113, 3, v116
	s_mov_b32 s45, exec_lo
	v_cmpx_gt_u32_e32 8, v116
; %bb.254:                              ;   in Loop: Header=BB243_10 Depth=1
	s_delay_alu instid0(VALU_DEP_3) | instskip(NEXT) | instid1(VALU_DEP_1)
	v_clz_i32_u32_e32 v113, v43
	v_min_u32_e32 v113, 32, v113
	s_delay_alu instid0(VALU_DEP_1) | instskip(SKIP_1) | instid1(VALU_DEP_2)
	v_subrev_nc_u32_e32 v114, 28, v113
	v_sub_nc_u32_e32 v113, 29, v113
	v_lshlrev_b64 v[116:117], v114, v[43:44]
	s_delay_alu instid0(VALU_DEP_1)
	v_and_b32_e32 v43, 7, v116
; %bb.255:                              ;   in Loop: Header=BB243_10 Depth=1
	s_or_b32 exec_lo, exec_lo, s45
	v_lshlrev_b32_e32 v114, 24, v115
	s_delay_alu instid0(VALU_DEP_2) | instskip(SKIP_1) | instid1(VALU_DEP_3)
	v_lshlrev_b32_e32 v43, 20, v43
	v_lshl_add_u32 v113, v113, 23, 0x3c000000
	v_and_b32_e32 v114, 0x80000000, v114
	s_delay_alu instid0(VALU_DEP_1) | instskip(NEXT) | instid1(VALU_DEP_1)
	v_or3_b32 v43, v43, v114, v113
	v_dual_mov_b32 v114, v44 :: v_dual_mov_b32 v113, v43
.LBB243_256:                            ;   in Loop: Header=BB243_10 Depth=1
	s_or_b32 exec_lo, exec_lo, s44
.LBB243_257:                            ;   in Loop: Header=BB243_10 Depth=1
	s_delay_alu instid0(SALU_CYCLE_1)
	s_or_b32 exec_lo, exec_lo, s8
.LBB243_258:                            ;   in Loop: Header=BB243_10 Depth=1
	s_delay_alu instid0(SALU_CYCLE_1) | instskip(SKIP_2) | instid1(VALU_DEP_1)
	s_or_b32 exec_lo, exec_lo, s3
	v_lshrrev_b16 v43, 8, v115
	s_mov_b32 s3, exec_lo
	v_cmpx_ne_u16_e32 0, v43
	s_cbranch_execz .LBB243_266
; %bb.259:                              ;   in Loop: Header=BB243_10 Depth=1
	v_dual_mov_b32 v112, s7 :: v_dual_mov_b32 v111, s6
	s_mov_b32 s44, exec_lo
	v_cmpx_ne_u16_e32 0x80, v43
	s_cbranch_execz .LBB243_265
; %bb.260:                              ;   in Loop: Header=BB243_10 Depth=1
	s_mov_b32 s8, s6
	v_dual_mov_b32 v112, s9 :: v_dual_and_b32 v43, 0xffff, v43
	v_mov_b32_e32 v111, s8
	s_mov_b32 s8, exec_lo
	s_delay_alu instid0(VALU_DEP_2) | instskip(NEXT) | instid1(VALU_DEP_1)
	v_and_b32_e32 v116, 0x7f, v43
	v_cmpx_ne_u32_e32 0x7f, v116
	s_cbranch_execz .LBB243_264
; %bb.261:                              ;   in Loop: Header=BB243_10 Depth=1
	v_and_b32_e32 v43, 7, v43
	v_lshrrev_b32_e32 v111, 3, v116
	s_mov_b32 s45, exec_lo
	v_cmpx_gt_u32_e32 8, v116
; %bb.262:                              ;   in Loop: Header=BB243_10 Depth=1
	s_delay_alu instid0(VALU_DEP_3) | instskip(NEXT) | instid1(VALU_DEP_1)
	v_clz_i32_u32_e32 v111, v43
	v_min_u32_e32 v111, 32, v111
	s_delay_alu instid0(VALU_DEP_1) | instskip(SKIP_1) | instid1(VALU_DEP_2)
	v_subrev_nc_u32_e32 v112, 28, v111
	v_sub_nc_u32_e32 v111, 29, v111
	v_lshlrev_b64 v[116:117], v112, v[43:44]
	s_delay_alu instid0(VALU_DEP_1)
	v_and_b32_e32 v43, 7, v116
; %bb.263:                              ;   in Loop: Header=BB243_10 Depth=1
	s_or_b32 exec_lo, exec_lo, s45
	v_lshlrev_b32_e32 v112, 16, v115
	s_delay_alu instid0(VALU_DEP_2) | instskip(SKIP_1) | instid1(VALU_DEP_3)
	v_lshlrev_b32_e32 v43, 20, v43
	v_lshl_add_u32 v111, v111, 23, 0x3c000000
	v_and_b32_e32 v112, 0x80000000, v112
	s_delay_alu instid0(VALU_DEP_1)
	v_or3_b32 v112, v43, v112, v111
	v_mov_b32_e32 v111, v44
.LBB243_264:                            ;   in Loop: Header=BB243_10 Depth=1
	s_or_b32 exec_lo, exec_lo, s8
.LBB243_265:                            ;   in Loop: Header=BB243_10 Depth=1
	s_delay_alu instid0(SALU_CYCLE_1)
	s_or_b32 exec_lo, exec_lo, s44
.LBB243_266:                            ;   in Loop: Header=BB243_10 Depth=1
	s_delay_alu instid0(SALU_CYCLE_1)
	s_or_b32 exec_lo, exec_lo, s3
	global_load_u16 v43, v[61:62], off offset:1024
	v_mov_b32_e32 v115, 0
	s_waitcnt vmcnt(0)
	v_dual_mov_b32 v116, 0 :: v_dual_and_b32 v117, 0xff, v43
	v_and_b32_e32 v119, 0xffff, v43
	s_delay_alu instid0(VALU_DEP_2) | instskip(NEXT) | instid1(VALU_DEP_3)
	v_cmp_ne_u16_e64 s1, 0, v117
	v_dual_mov_b32 v118, v116 :: v_dual_mov_b32 v117, v115
	s_delay_alu instid0(VALU_DEP_2)
	s_and_saveexec_b32 s3, s1
	s_cbranch_execz .LBB243_274
; %bb.267:                              ;   in Loop: Header=BB243_10 Depth=1
	v_bfrev_b32_e32 v117, 1
	v_dual_mov_b32 v118, 0 :: v_dual_and_b32 v43, 0xff, v119
	s_mov_b32 s8, exec_lo
	s_delay_alu instid0(VALU_DEP_1)
	v_cmpx_ne_u16_e32 0x80, v43
	s_cbranch_execz .LBB243_273
; %bb.268:                              ;   in Loop: Header=BB243_10 Depth=1
	v_mov_b32_e32 v117, 0x7f800001
	v_and_b32_e32 v120, 0x7f, v119
	v_mov_b32_e32 v118, 0
	s_mov_b32 s44, exec_lo
	s_delay_alu instid0(VALU_DEP_2)
	v_cmpx_ne_u32_e32 0x7f, v120
	s_cbranch_execz .LBB243_272
; %bb.269:                              ;   in Loop: Header=BB243_10 Depth=1
	v_and_b32_e32 v43, 7, v119
	v_lshrrev_b32_e32 v117, 3, v120
	s_mov_b32 s45, exec_lo
	v_cmpx_gt_u32_e32 8, v120
; %bb.270:                              ;   in Loop: Header=BB243_10 Depth=1
	s_delay_alu instid0(VALU_DEP_3) | instskip(NEXT) | instid1(VALU_DEP_1)
	v_clz_i32_u32_e32 v117, v43
	v_min_u32_e32 v117, 32, v117
	s_delay_alu instid0(VALU_DEP_1) | instskip(SKIP_1) | instid1(VALU_DEP_2)
	v_subrev_nc_u32_e32 v118, 28, v117
	v_sub_nc_u32_e32 v117, 29, v117
	v_lshlrev_b64 v[120:121], v118, v[43:44]
	s_delay_alu instid0(VALU_DEP_1)
	v_and_b32_e32 v43, 7, v120
; %bb.271:                              ;   in Loop: Header=BB243_10 Depth=1
	s_or_b32 exec_lo, exec_lo, s45
	v_lshlrev_b32_e32 v118, 24, v119
	s_delay_alu instid0(VALU_DEP_2) | instskip(SKIP_1) | instid1(VALU_DEP_3)
	v_lshlrev_b32_e32 v43, 20, v43
	v_lshl_add_u32 v117, v117, 23, 0x3c000000
	v_and_b32_e32 v118, 0x80000000, v118
	s_delay_alu instid0(VALU_DEP_1) | instskip(NEXT) | instid1(VALU_DEP_1)
	v_or3_b32 v43, v43, v118, v117
	v_dual_mov_b32 v118, v44 :: v_dual_mov_b32 v117, v43
.LBB243_272:                            ;   in Loop: Header=BB243_10 Depth=1
	s_or_b32 exec_lo, exec_lo, s44
.LBB243_273:                            ;   in Loop: Header=BB243_10 Depth=1
	s_delay_alu instid0(SALU_CYCLE_1)
	s_or_b32 exec_lo, exec_lo, s8
.LBB243_274:                            ;   in Loop: Header=BB243_10 Depth=1
	s_delay_alu instid0(SALU_CYCLE_1) | instskip(SKIP_2) | instid1(VALU_DEP_1)
	s_or_b32 exec_lo, exec_lo, s3
	v_lshrrev_b16 v43, 8, v119
	s_mov_b32 s3, exec_lo
	v_cmpx_ne_u16_e32 0, v43
	s_cbranch_execz .LBB243_282
; %bb.275:                              ;   in Loop: Header=BB243_10 Depth=1
	v_dual_mov_b32 v116, s7 :: v_dual_mov_b32 v115, s6
	s_mov_b32 s44, exec_lo
	v_cmpx_ne_u16_e32 0x80, v43
	s_cbranch_execz .LBB243_281
; %bb.276:                              ;   in Loop: Header=BB243_10 Depth=1
	s_mov_b32 s8, s6
	v_dual_mov_b32 v116, s9 :: v_dual_and_b32 v43, 0xffff, v43
	v_mov_b32_e32 v115, s8
	s_mov_b32 s8, exec_lo
	s_delay_alu instid0(VALU_DEP_2) | instskip(NEXT) | instid1(VALU_DEP_1)
	v_and_b32_e32 v120, 0x7f, v43
	v_cmpx_ne_u32_e32 0x7f, v120
	s_cbranch_execz .LBB243_280
; %bb.277:                              ;   in Loop: Header=BB243_10 Depth=1
	v_and_b32_e32 v43, 7, v43
	v_lshrrev_b32_e32 v115, 3, v120
	s_mov_b32 s45, exec_lo
	v_cmpx_gt_u32_e32 8, v120
; %bb.278:                              ;   in Loop: Header=BB243_10 Depth=1
	s_delay_alu instid0(VALU_DEP_3) | instskip(NEXT) | instid1(VALU_DEP_1)
	v_clz_i32_u32_e32 v115, v43
	v_min_u32_e32 v115, 32, v115
	s_delay_alu instid0(VALU_DEP_1) | instskip(SKIP_1) | instid1(VALU_DEP_2)
	v_subrev_nc_u32_e32 v116, 28, v115
	v_sub_nc_u32_e32 v115, 29, v115
	v_lshlrev_b64 v[120:121], v116, v[43:44]
	s_delay_alu instid0(VALU_DEP_1)
	v_and_b32_e32 v43, 7, v120
; %bb.279:                              ;   in Loop: Header=BB243_10 Depth=1
	s_or_b32 exec_lo, exec_lo, s45
	v_lshlrev_b32_e32 v116, 16, v119
	s_delay_alu instid0(VALU_DEP_2) | instskip(SKIP_1) | instid1(VALU_DEP_3)
	v_lshlrev_b32_e32 v43, 20, v43
	v_lshl_add_u32 v115, v115, 23, 0x3c000000
	v_and_b32_e32 v116, 0x80000000, v116
	s_delay_alu instid0(VALU_DEP_1)
	v_or3_b32 v116, v43, v116, v115
	v_mov_b32_e32 v115, v44
.LBB243_280:                            ;   in Loop: Header=BB243_10 Depth=1
	s_or_b32 exec_lo, exec_lo, s8
.LBB243_281:                            ;   in Loop: Header=BB243_10 Depth=1
	s_delay_alu instid0(SALU_CYCLE_1)
	s_or_b32 exec_lo, exec_lo, s44
.LBB243_282:                            ;   in Loop: Header=BB243_10 Depth=1
	s_delay_alu instid0(SALU_CYCLE_1)
	s_or_b32 exec_lo, exec_lo, s3
	global_load_u16 v43, v[61:62], off offset:1028
	v_mov_b32_e32 v119, 0
	s_waitcnt vmcnt(0)
	v_dual_mov_b32 v120, 0 :: v_dual_and_b32 v121, 0xff, v43
	v_and_b32_e32 v123, 0xffff, v43
	s_delay_alu instid0(VALU_DEP_2) | instskip(NEXT) | instid1(VALU_DEP_3)
	v_cmp_ne_u16_e64 s1, 0, v121
	v_dual_mov_b32 v122, v120 :: v_dual_mov_b32 v121, v119
	s_delay_alu instid0(VALU_DEP_2)
	s_and_saveexec_b32 s3, s1
	s_cbranch_execz .LBB243_290
; %bb.283:                              ;   in Loop: Header=BB243_10 Depth=1
	v_bfrev_b32_e32 v121, 1
	v_dual_mov_b32 v122, 0 :: v_dual_and_b32 v43, 0xff, v123
	s_mov_b32 s8, exec_lo
	s_delay_alu instid0(VALU_DEP_1)
	v_cmpx_ne_u16_e32 0x80, v43
	s_cbranch_execz .LBB243_289
; %bb.284:                              ;   in Loop: Header=BB243_10 Depth=1
	v_mov_b32_e32 v121, 0x7f800001
	v_and_b32_e32 v124, 0x7f, v123
	v_mov_b32_e32 v122, 0
	s_mov_b32 s44, exec_lo
	s_delay_alu instid0(VALU_DEP_2)
	v_cmpx_ne_u32_e32 0x7f, v124
	s_cbranch_execz .LBB243_288
; %bb.285:                              ;   in Loop: Header=BB243_10 Depth=1
	v_and_b32_e32 v43, 7, v123
	v_lshrrev_b32_e32 v121, 3, v124
	s_mov_b32 s45, exec_lo
	v_cmpx_gt_u32_e32 8, v124
; %bb.286:                              ;   in Loop: Header=BB243_10 Depth=1
	s_delay_alu instid0(VALU_DEP_3) | instskip(NEXT) | instid1(VALU_DEP_1)
	v_clz_i32_u32_e32 v121, v43
	v_min_u32_e32 v121, 32, v121
	s_delay_alu instid0(VALU_DEP_1) | instskip(SKIP_1) | instid1(VALU_DEP_2)
	v_subrev_nc_u32_e32 v122, 28, v121
	v_sub_nc_u32_e32 v121, 29, v121
	v_lshlrev_b64 v[124:125], v122, v[43:44]
	s_delay_alu instid0(VALU_DEP_1)
	v_and_b32_e32 v43, 7, v124
; %bb.287:                              ;   in Loop: Header=BB243_10 Depth=1
	s_or_b32 exec_lo, exec_lo, s45
	v_lshlrev_b32_e32 v122, 24, v123
	s_delay_alu instid0(VALU_DEP_2) | instskip(SKIP_1) | instid1(VALU_DEP_3)
	v_lshlrev_b32_e32 v43, 20, v43
	v_lshl_add_u32 v121, v121, 23, 0x3c000000
	v_and_b32_e32 v122, 0x80000000, v122
	s_delay_alu instid0(VALU_DEP_1) | instskip(NEXT) | instid1(VALU_DEP_1)
	v_or3_b32 v43, v43, v122, v121
	v_dual_mov_b32 v122, v44 :: v_dual_mov_b32 v121, v43
.LBB243_288:                            ;   in Loop: Header=BB243_10 Depth=1
	s_or_b32 exec_lo, exec_lo, s44
.LBB243_289:                            ;   in Loop: Header=BB243_10 Depth=1
	s_delay_alu instid0(SALU_CYCLE_1)
	s_or_b32 exec_lo, exec_lo, s8
.LBB243_290:                            ;   in Loop: Header=BB243_10 Depth=1
	s_delay_alu instid0(SALU_CYCLE_1) | instskip(SKIP_2) | instid1(VALU_DEP_1)
	s_or_b32 exec_lo, exec_lo, s3
	v_lshrrev_b16 v43, 8, v123
	s_mov_b32 s3, exec_lo
	v_cmpx_ne_u16_e32 0, v43
	s_cbranch_execz .LBB243_298
; %bb.291:                              ;   in Loop: Header=BB243_10 Depth=1
	v_dual_mov_b32 v120, s7 :: v_dual_mov_b32 v119, s6
	s_mov_b32 s44, exec_lo
	v_cmpx_ne_u16_e32 0x80, v43
	s_cbranch_execz .LBB243_297
; %bb.292:                              ;   in Loop: Header=BB243_10 Depth=1
	s_mov_b32 s8, s6
	v_dual_mov_b32 v120, s9 :: v_dual_and_b32 v43, 0xffff, v43
	v_mov_b32_e32 v119, s8
	s_mov_b32 s8, exec_lo
	s_delay_alu instid0(VALU_DEP_2) | instskip(NEXT) | instid1(VALU_DEP_1)
	v_and_b32_e32 v124, 0x7f, v43
	v_cmpx_ne_u32_e32 0x7f, v124
	s_cbranch_execz .LBB243_296
; %bb.293:                              ;   in Loop: Header=BB243_10 Depth=1
	v_and_b32_e32 v43, 7, v43
	v_lshrrev_b32_e32 v119, 3, v124
	s_mov_b32 s45, exec_lo
	v_cmpx_gt_u32_e32 8, v124
; %bb.294:                              ;   in Loop: Header=BB243_10 Depth=1
	s_delay_alu instid0(VALU_DEP_3) | instskip(NEXT) | instid1(VALU_DEP_1)
	v_clz_i32_u32_e32 v119, v43
	v_min_u32_e32 v119, 32, v119
	s_delay_alu instid0(VALU_DEP_1) | instskip(SKIP_1) | instid1(VALU_DEP_2)
	v_subrev_nc_u32_e32 v120, 28, v119
	v_sub_nc_u32_e32 v119, 29, v119
	v_lshlrev_b64 v[124:125], v120, v[43:44]
	s_delay_alu instid0(VALU_DEP_1)
	v_and_b32_e32 v43, 7, v124
; %bb.295:                              ;   in Loop: Header=BB243_10 Depth=1
	s_or_b32 exec_lo, exec_lo, s45
	v_lshlrev_b32_e32 v120, 16, v123
	s_delay_alu instid0(VALU_DEP_2) | instskip(SKIP_1) | instid1(VALU_DEP_3)
	v_lshlrev_b32_e32 v43, 20, v43
	v_lshl_add_u32 v119, v119, 23, 0x3c000000
	v_and_b32_e32 v120, 0x80000000, v120
	s_delay_alu instid0(VALU_DEP_1)
	v_or3_b32 v120, v43, v120, v119
	v_mov_b32_e32 v119, v44
.LBB243_296:                            ;   in Loop: Header=BB243_10 Depth=1
	s_or_b32 exec_lo, exec_lo, s8
.LBB243_297:                            ;   in Loop: Header=BB243_10 Depth=1
	s_delay_alu instid0(SALU_CYCLE_1)
	s_or_b32 exec_lo, exec_lo, s44
.LBB243_298:                            ;   in Loop: Header=BB243_10 Depth=1
	s_delay_alu instid0(SALU_CYCLE_1) | instskip(SKIP_1) | instid1(VALU_DEP_1)
	s_or_b32 exec_lo, exec_lo, s3
	v_add_co_u32 v61, s1, 0x400, v61
	v_add_co_ci_u32_e64 v62, s1, 0, v62, s1
	s_mov_b32 s3, exec_lo
	global_load_u16 v43, v[61:62], off offset:8
	v_mov_b32_e32 v125, 0
	s_waitcnt vmcnt(0)
	v_dual_mov_b32 v126, 0 :: v_dual_and_b32 v123, 0xffff, v43
	v_and_b32_e32 v124, 0xff, v43
	s_delay_alu instid0(VALU_DEP_2) | instskip(NEXT) | instid1(VALU_DEP_2)
	v_dual_mov_b32 v128, v126 :: v_dual_mov_b32 v127, v125
	v_cmpx_ne_u16_e32 0, v124
	s_cbranch_execz .LBB243_306
; %bb.299:                              ;   in Loop: Header=BB243_10 Depth=1
	v_bfrev_b32_e32 v127, 1
	v_dual_mov_b32 v128, 0 :: v_dual_and_b32 v43, 0xff, v123
	s_mov_b32 s8, exec_lo
	s_delay_alu instid0(VALU_DEP_1)
	v_cmpx_ne_u16_e32 0x80, v43
	s_cbranch_execz .LBB243_305
; %bb.300:                              ;   in Loop: Header=BB243_10 Depth=1
	v_mov_b32_e32 v127, 0x7f800001
	v_dual_mov_b32 v128, 0 :: v_dual_and_b32 v139, 0x7f, v123
	s_mov_b32 s44, exec_lo
	s_delay_alu instid0(VALU_DEP_1)
	v_cmpx_ne_u32_e32 0x7f, v139
	s_cbranch_execz .LBB243_304
; %bb.301:                              ;   in Loop: Header=BB243_10 Depth=1
	v_and_b32_e32 v43, 7, v123
	v_lshrrev_b32_e32 v124, 3, v139
	s_mov_b32 s45, exec_lo
	v_cmpx_gt_u32_e32 8, v139
; %bb.302:                              ;   in Loop: Header=BB243_10 Depth=1
	s_delay_alu instid0(VALU_DEP_3) | instskip(NEXT) | instid1(VALU_DEP_1)
	v_clz_i32_u32_e32 v124, v43
	v_min_u32_e32 v124, 32, v124
	s_delay_alu instid0(VALU_DEP_1) | instskip(SKIP_1) | instid1(VALU_DEP_2)
	v_subrev_nc_u32_e32 v127, 28, v124
	v_sub_nc_u32_e32 v124, 29, v124
	v_lshlrev_b64 v[127:128], v127, v[43:44]
	s_delay_alu instid0(VALU_DEP_1)
	v_and_b32_e32 v43, 7, v127
; %bb.303:                              ;   in Loop: Header=BB243_10 Depth=1
	s_or_b32 exec_lo, exec_lo, s45
	v_lshlrev_b32_e32 v127, 24, v123
	s_delay_alu instid0(VALU_DEP_2) | instskip(SKIP_1) | instid1(VALU_DEP_3)
	v_lshlrev_b32_e32 v43, 20, v43
	v_lshl_add_u32 v124, v124, 23, 0x3c000000
	v_and_b32_e32 v127, 0x80000000, v127
	s_delay_alu instid0(VALU_DEP_1) | instskip(NEXT) | instid1(VALU_DEP_1)
	v_or3_b32 v43, v43, v127, v124
	v_dual_mov_b32 v128, v44 :: v_dual_mov_b32 v127, v43
.LBB243_304:                            ;   in Loop: Header=BB243_10 Depth=1
	s_or_b32 exec_lo, exec_lo, s44
.LBB243_305:                            ;   in Loop: Header=BB243_10 Depth=1
	s_delay_alu instid0(SALU_CYCLE_1)
	s_or_b32 exec_lo, exec_lo, s8
.LBB243_306:                            ;   in Loop: Header=BB243_10 Depth=1
	s_delay_alu instid0(SALU_CYCLE_1) | instskip(SKIP_2) | instid1(VALU_DEP_1)
	s_or_b32 exec_lo, exec_lo, s3
	v_lshrrev_b16 v43, 8, v123
	s_mov_b32 s3, exec_lo
	v_cmpx_ne_u16_e32 0, v43
	s_cbranch_execz .LBB243_314
; %bb.307:                              ;   in Loop: Header=BB243_10 Depth=1
	v_dual_mov_b32 v126, s7 :: v_dual_mov_b32 v125, s6
	s_mov_b32 s44, exec_lo
	v_cmpx_ne_u16_e32 0x80, v43
	s_cbranch_execz .LBB243_313
; %bb.308:                              ;   in Loop: Header=BB243_10 Depth=1
	s_mov_b32 s8, s6
	v_dual_mov_b32 v126, s9 :: v_dual_and_b32 v43, 0xffff, v43
	v_mov_b32_e32 v125, s8
	s_mov_b32 s8, exec_lo
	s_delay_alu instid0(VALU_DEP_2) | instskip(NEXT) | instid1(VALU_DEP_1)
	v_and_b32_e32 v139, 0x7f, v43
	v_cmpx_ne_u32_e32 0x7f, v139
	s_cbranch_execz .LBB243_312
; %bb.309:                              ;   in Loop: Header=BB243_10 Depth=1
	v_and_b32_e32 v43, 7, v43
	v_lshrrev_b32_e32 v124, 3, v139
	s_mov_b32 s45, exec_lo
	v_cmpx_gt_u32_e32 8, v139
; %bb.310:                              ;   in Loop: Header=BB243_10 Depth=1
	s_delay_alu instid0(VALU_DEP_3) | instskip(NEXT) | instid1(VALU_DEP_1)
	v_clz_i32_u32_e32 v124, v43
	v_min_u32_e32 v124, 32, v124
	s_delay_alu instid0(VALU_DEP_1) | instskip(SKIP_1) | instid1(VALU_DEP_2)
	v_subrev_nc_u32_e32 v125, 28, v124
	v_sub_nc_u32_e32 v124, 29, v124
	v_lshlrev_b64 v[125:126], v125, v[43:44]
	s_delay_alu instid0(VALU_DEP_1)
	v_and_b32_e32 v43, 7, v125
; %bb.311:                              ;   in Loop: Header=BB243_10 Depth=1
	s_or_b32 exec_lo, exec_lo, s45
	v_lshlrev_b32_e32 v123, 16, v123
	s_delay_alu instid0(VALU_DEP_2) | instskip(SKIP_2) | instid1(VALU_DEP_4)
	v_lshlrev_b32_e32 v43, 20, v43
	v_lshl_add_u32 v124, v124, 23, 0x3c000000
	v_mov_b32_e32 v125, v44
	v_and_b32_e32 v123, 0x80000000, v123
	s_delay_alu instid0(VALU_DEP_1)
	v_or3_b32 v126, v43, v123, v124
.LBB243_312:                            ;   in Loop: Header=BB243_10 Depth=1
	s_or_b32 exec_lo, exec_lo, s8
.LBB243_313:                            ;   in Loop: Header=BB243_10 Depth=1
	s_delay_alu instid0(SALU_CYCLE_1)
	s_or_b32 exec_lo, exec_lo, s44
.LBB243_314:                            ;   in Loop: Header=BB243_10 Depth=1
	s_delay_alu instid0(SALU_CYCLE_1)
	s_or_b32 exec_lo, exec_lo, s3
	global_load_u16 v43, v[61:62], off offset:12
	v_mov_b32_e32 v61, 0
	s_waitcnt vmcnt(0)
	v_dual_mov_b32 v62, 0 :: v_dual_and_b32 v123, 0xff, v43
	v_and_b32_e32 v139, 0xffff, v43
	s_delay_alu instid0(VALU_DEP_2) | instskip(NEXT) | instid1(VALU_DEP_3)
	v_cmp_ne_u16_e64 s1, 0, v123
	v_dual_mov_b32 v124, v62 :: v_dual_mov_b32 v123, v61
	s_delay_alu instid0(VALU_DEP_2)
	s_and_saveexec_b32 s3, s1
	s_cbranch_execz .LBB243_322
; %bb.315:                              ;   in Loop: Header=BB243_10 Depth=1
	v_bfrev_b32_e32 v123, 1
	v_dual_mov_b32 v124, 0 :: v_dual_and_b32 v43, 0xff, v139
	s_mov_b32 s8, exec_lo
	s_delay_alu instid0(VALU_DEP_1)
	v_cmpx_ne_u16_e32 0x80, v43
	s_cbranch_execz .LBB243_321
; %bb.316:                              ;   in Loop: Header=BB243_10 Depth=1
	v_mov_b32_e32 v123, 0x7f800001
	v_and_b32_e32 v140, 0x7f, v139
	v_mov_b32_e32 v124, 0
	s_mov_b32 s44, exec_lo
	s_delay_alu instid0(VALU_DEP_2)
	v_cmpx_ne_u32_e32 0x7f, v140
	s_cbranch_execz .LBB243_320
; %bb.317:                              ;   in Loop: Header=BB243_10 Depth=1
	v_and_b32_e32 v43, 7, v139
	v_lshrrev_b32_e32 v123, 3, v140
	s_mov_b32 s45, exec_lo
	v_cmpx_gt_u32_e32 8, v140
; %bb.318:                              ;   in Loop: Header=BB243_10 Depth=1
	s_delay_alu instid0(VALU_DEP_3) | instskip(NEXT) | instid1(VALU_DEP_1)
	v_clz_i32_u32_e32 v123, v43
	v_min_u32_e32 v123, 32, v123
	s_delay_alu instid0(VALU_DEP_1) | instskip(SKIP_1) | instid1(VALU_DEP_2)
	v_subrev_nc_u32_e32 v124, 28, v123
	v_sub_nc_u32_e32 v123, 29, v123
	v_lshlrev_b64 v[140:141], v124, v[43:44]
	s_delay_alu instid0(VALU_DEP_1)
	v_and_b32_e32 v43, 7, v140
; %bb.319:                              ;   in Loop: Header=BB243_10 Depth=1
	s_or_b32 exec_lo, exec_lo, s45
	v_lshlrev_b32_e32 v124, 24, v139
	s_delay_alu instid0(VALU_DEP_2) | instskip(SKIP_1) | instid1(VALU_DEP_3)
	v_lshlrev_b32_e32 v43, 20, v43
	v_lshl_add_u32 v123, v123, 23, 0x3c000000
	v_and_b32_e32 v124, 0x80000000, v124
	s_delay_alu instid0(VALU_DEP_1) | instskip(NEXT) | instid1(VALU_DEP_1)
	v_or3_b32 v43, v43, v124, v123
	v_dual_mov_b32 v124, v44 :: v_dual_mov_b32 v123, v43
.LBB243_320:                            ;   in Loop: Header=BB243_10 Depth=1
	s_or_b32 exec_lo, exec_lo, s44
.LBB243_321:                            ;   in Loop: Header=BB243_10 Depth=1
	s_delay_alu instid0(SALU_CYCLE_1)
	s_or_b32 exec_lo, exec_lo, s8
.LBB243_322:                            ;   in Loop: Header=BB243_10 Depth=1
	s_delay_alu instid0(SALU_CYCLE_1) | instskip(SKIP_2) | instid1(VALU_DEP_1)
	s_or_b32 exec_lo, exec_lo, s3
	v_lshrrev_b16 v43, 8, v139
	s_mov_b32 s3, exec_lo
	v_cmpx_ne_u16_e32 0, v43
	s_cbranch_execz .LBB243_330
; %bb.323:                              ;   in Loop: Header=BB243_10 Depth=1
	v_dual_mov_b32 v62, s7 :: v_dual_mov_b32 v61, s6
	s_mov_b32 s44, exec_lo
	v_cmpx_ne_u16_e32 0x80, v43
	s_cbranch_execz .LBB243_329
; %bb.324:                              ;   in Loop: Header=BB243_10 Depth=1
	s_mov_b32 s8, s6
	v_dual_mov_b32 v62, s9 :: v_dual_and_b32 v43, 0xffff, v43
	v_mov_b32_e32 v61, s8
	s_mov_b32 s8, exec_lo
	s_delay_alu instid0(VALU_DEP_2) | instskip(NEXT) | instid1(VALU_DEP_1)
	v_and_b32_e32 v140, 0x7f, v43
	v_cmpx_ne_u32_e32 0x7f, v140
	s_cbranch_execz .LBB243_328
; %bb.325:                              ;   in Loop: Header=BB243_10 Depth=1
	v_and_b32_e32 v43, 7, v43
	v_lshrrev_b32_e32 v61, 3, v140
	s_mov_b32 s45, exec_lo
	v_cmpx_gt_u32_e32 8, v140
; %bb.326:                              ;   in Loop: Header=BB243_10 Depth=1
	s_delay_alu instid0(VALU_DEP_3) | instskip(NEXT) | instid1(VALU_DEP_1)
	v_clz_i32_u32_e32 v61, v43
	v_min_u32_e32 v61, 32, v61
	s_delay_alu instid0(VALU_DEP_1) | instskip(SKIP_1) | instid1(VALU_DEP_2)
	v_subrev_nc_u32_e32 v62, 28, v61
	v_sub_nc_u32_e32 v61, 29, v61
	v_lshlrev_b64 v[140:141], v62, v[43:44]
	s_delay_alu instid0(VALU_DEP_1)
	v_and_b32_e32 v43, 7, v140
; %bb.327:                              ;   in Loop: Header=BB243_10 Depth=1
	s_or_b32 exec_lo, exec_lo, s45
	v_lshlrev_b32_e32 v62, 16, v139
	s_delay_alu instid0(VALU_DEP_2) | instskip(SKIP_1) | instid1(VALU_DEP_3)
	v_lshlrev_b32_e32 v43, 20, v43
	v_lshl_add_u32 v61, v61, 23, 0x3c000000
	v_and_b32_e32 v62, 0x80000000, v62
	s_delay_alu instid0(VALU_DEP_1)
	v_or3_b32 v62, v43, v62, v61
	v_mov_b32_e32 v61, v44
.LBB243_328:                            ;   in Loop: Header=BB243_10 Depth=1
	s_or_b32 exec_lo, exec_lo, s8
.LBB243_329:                            ;   in Loop: Header=BB243_10 Depth=1
	s_delay_alu instid0(SALU_CYCLE_1)
	s_or_b32 exec_lo, exec_lo, s44
.LBB243_330:                            ;   in Loop: Header=BB243_10 Depth=1
	s_delay_alu instid0(SALU_CYCLE_1)
	s_or_b32 exec_lo, exec_lo, s3
	v_or_b32_e32 v53, v53, v55
	v_or_b32_e32 v54, v54, v56
	;; [unrolled: 1-line block ×5, first 2 shown]
	s_delay_alu instid0(VALU_DEP_4) | instskip(SKIP_1) | instid1(VALU_DEP_4)
	v_dual_mul_f32 v51, s40, v53 :: v_dual_mul_f32 v52, s42, v54
	v_or_b32_e32 v53, v57, v59
	v_dual_mul_f32 v50, s42, v50 :: v_dual_mul_f32 v49, s40, v49
	s_delay_alu instid0(VALU_DEP_3)
	v_dual_mul_f32 v51, v3, v51 :: v_dual_mul_f32 v52, v4, v52
	v_or_b32_e32 v64, v64, v66
	v_or_b32_e32 v54, v63, v65
	v_mul_f32_e32 v55, s42, v55
	v_mul_f32_e32 v53, s40, v53
	v_dual_fmac_f32 v51, v1, v49 :: v_dual_fmac_f32 v52, v2, v50
	s_delay_alu instid0(VALU_DEP_4) | instskip(SKIP_2) | instid1(VALU_DEP_4)
	v_mul_f32_e32 v54, s40, v54
	v_or_b32_e32 v68, v68, v70
	v_or_b32_e32 v49, v67, v69
	v_dual_mul_f32 v50, s42, v64 :: v_dual_fmac_f32 v51, v5, v53
	v_fmac_f32_e32 v52, v6, v55
	v_or_b32_e32 v72, v72, v74
	v_or_b32_e32 v53, v71, v73
	v_mul_f32_e32 v55, s42, v68
	s_delay_alu instid0(VALU_DEP_4)
	v_dual_mul_f32 v49, s40, v49 :: v_dual_fmac_f32 v52, v8, v50
	v_fmac_f32_e32 v51, v7, v54
	v_or_b32_e32 v80, v80, v82
	v_or_b32_e32 v76, v76, v78
	v_or_b32_e32 v50, v75, v77
	v_fmac_f32_e32 v52, v10, v55
	v_dual_mul_f32 v54, s42, v72 :: v_dual_mul_f32 v53, s40, v53
	v_fmac_f32_e32 v51, v9, v49
	v_or_b32_e32 v49, v79, v81
	v_mul_f32_e32 v50, s40, v50
	s_delay_alu instid0(VALU_DEP_4)
	v_fmac_f32_e32 v52, v12, v54
	v_mul_f32_e32 v54, s42, v80
	v_mul_f32_e32 v55, s42, v76
	v_fmac_f32_e32 v51, v11, v53
	v_or_b32_e32 v84, v84, v86
	v_mul_f32_e32 v49, s40, v49
	v_or_b32_e32 v88, v88, v90
	v_fmac_f32_e32 v52, v14, v55
	v_or_b32_e32 v53, v83, v85
	v_fmac_f32_e32 v51, v13, v50
	v_or_b32_e32 v50, v87, v89
	s_delay_alu instid0(VALU_DEP_4) | instskip(SKIP_2) | instid1(VALU_DEP_4)
	v_dual_mul_f32 v55, s42, v84 :: v_dual_fmac_f32 v52, v16, v54
	v_mul_f32_e32 v54, s42, v88
	v_or_b32_e32 v96, v96, v98
	v_dual_mul_f32 v50, s40, v50 :: v_dual_mul_f32 v53, s40, v53
	s_delay_alu instid0(VALU_DEP_4) | instskip(SKIP_3) | instid1(VALU_DEP_4)
	v_dual_fmac_f32 v52, v18, v55 :: v_dual_fmac_f32 v51, v15, v49
	v_or_b32_e32 v92, v92, v94
	v_or_b32_e32 v104, v104, v106
	v_or_b32_e32 v49, v91, v93
	v_dual_fmac_f32 v52, v20, v54 :: v_dual_fmac_f32 v51, v17, v53
	v_mul_f32_e32 v54, s42, v96
	v_or_b32_e32 v100, v100, v102
	v_or_b32_e32 v53, v95, v97
	;; [unrolled: 1-line block ×3, first 2 shown]
	v_fmac_f32_e32 v51, v19, v50
	v_or_b32_e32 v50, v99, v101
	v_mul_f32_e32 v55, s42, v92
	v_or_b32_e32 v108, v108, v110
	v_or_b32_e32 v116, v116, v118
	;; [unrolled: 1-line block ×3, first 2 shown]
	v_dual_mul_f32 v50, s40, v50 :: v_dual_mul_f32 v49, s40, v49
	v_dual_fmac_f32 v52, v22, v55 :: v_dual_mul_f32 v53, s40, v53
	v_or_b32_e32 v43, v126, v128
	v_or_b32_e32 v125, v125, v127
	s_delay_alu instid0(VALU_DEP_3) | instskip(SKIP_4) | instid1(VALU_DEP_2)
	v_fmac_f32_e32 v52, v24, v54
	v_mul_f32_e32 v54, s42, v104
	v_mul_f32_e32 v55, s42, v100
	v_fmac_f32_e32 v51, v21, v49
	v_or_b32_e32 v49, v103, v105
	v_dual_fmac_f32 v52, v26, v55 :: v_dual_fmac_f32 v51, v23, v53
	v_or_b32_e32 v53, v107, v109
	s_delay_alu instid0(VALU_DEP_2)
	v_fmac_f32_e32 v52, v28, v54
	v_mul_f32_e32 v54, s42, v112
	v_mul_f32_e32 v55, s42, v108
	v_fmac_f32_e32 v51, v25, v50
	v_or_b32_e32 v50, v111, v113
	v_mul_f32_e32 v49, s40, v49
	s_delay_alu instid0(VALU_DEP_4) | instskip(NEXT) | instid1(VALU_DEP_3)
	v_dual_mul_f32 v53, s40, v53 :: v_dual_fmac_f32 v52, v30, v55
	v_mul_f32_e32 v50, s40, v50
	s_delay_alu instid0(VALU_DEP_2) | instskip(SKIP_4) | instid1(VALU_DEP_2)
	v_fmac_f32_e32 v52, v32, v54
	v_or_b32_e32 v54, v62, v124
	v_mul_f32_e32 v55, s42, v116
	v_fmac_f32_e32 v51, v27, v49
	v_or_b32_e32 v49, v115, v117
	v_dual_fmac_f32 v52, v34, v55 :: v_dual_fmac_f32 v51, v29, v53
	v_or_b32_e32 v53, v119, v121
	v_or_b32_e32 v55, v61, v123
	s_delay_alu instid0(VALU_DEP_3) | instskip(NEXT) | instid1(VALU_DEP_1)
	v_dual_fmac_f32 v51, v31, v50 :: v_dual_mul_f32 v50, s42, v120
	v_dual_mul_f32 v53, s40, v53 :: v_dual_fmac_f32 v52, v36, v50
	v_dual_mul_f32 v50, s42, v54 :: v_dual_mul_f32 v43, s42, v43
	s_delay_alu instid0(VALU_DEP_1) | instskip(NEXT) | instid1(VALU_DEP_1)
	v_dual_mul_f32 v49, s40, v49 :: v_dual_fmac_f32 v52, v38, v43
	v_fmac_f32_e32 v51, v33, v49
	s_delay_alu instid0(VALU_DEP_2) | instskip(NEXT) | instid1(VALU_DEP_2)
	v_dual_mul_f32 v49, s40, v125 :: v_dual_fmac_f32 v52, v40, v50
	v_fmac_f32_e32 v51, v35, v53
	v_mul_f32_e32 v53, s40, v55
	s_delay_alu instid0(VALU_DEP_2) | instskip(NEXT) | instid1(VALU_DEP_1)
	v_fmac_f32_e32 v51, v37, v49
	v_fmac_f32_e32 v51, v39, v53
	s_delay_alu instid0(VALU_DEP_1)
	v_add_f32_e32 v43, v51, v52
	ds_bpermute_b32 v49, v135, v43
	s_and_saveexec_b32 s3, vcc_lo
	s_cbranch_execz .LBB243_9
; %bb.331:                              ;   in Loop: Header=BB243_10 Depth=1
	s_waitcnt lgkmcnt(0)
	v_dual_add_f32 v43, v43, v49 :: v_dual_add_nc_u32 v50, s41, v136
	v_cmp_gt_i32_e64 s1, s33, v136
	s_delay_alu instid0(VALU_DEP_2) | instskip(NEXT) | instid1(VALU_DEP_1)
	v_cvt_f32_i32_e32 v50, v50
	v_mul_f32_e32 v50, s37, v50
	s_delay_alu instid0(VALU_DEP_1) | instskip(NEXT) | instid1(VALU_DEP_1)
	v_cndmask_b32_e64 v49, 0, v50, s0
	v_dual_max_f32 v50, v134, v134 :: v_dual_fmac_f32 v49, s35, v43
	s_delay_alu instid0(VALU_DEP_1) | instskip(SKIP_1) | instid1(VALU_DEP_2)
	v_max_f32_e32 v43, v50, v49
	v_cndmask_b32_e64 v49, 0, v49, s1
	v_cndmask_b32_e64 v134, v134, v43, s1
	ds_store_b32 v137, v49
	s_branch .LBB243_9
.LBB243_332:
	s_or_b32 exec_lo, exec_lo, s43
.LBB243_333:
	s_delay_alu instid0(SALU_CYCLE_1)
	s_or_b32 exec_lo, exec_lo, s38
	v_xor_b32_e32 v1, 16, v131
	v_xor_b32_e32 v3, 8, v131
	;; [unrolled: 1-line block ×4, first 2 shown]
	v_and_b32_e32 v21, 31, v0
	v_cmp_lt_i32_e32 vcc_lo, v1, v132
	v_dual_max_f32 v4, v134, v134 :: v_dual_cndmask_b32 v1, v131, v1
	v_cmp_lt_i32_e32 vcc_lo, v3, v132
	s_delay_alu instid0(VALU_DEP_2)
	v_dual_cndmask_b32 v3, v131, v3 :: v_dual_lshlrev_b32 v2, 2, v1
	v_cmp_lt_i32_e32 vcc_lo, v5, v132
	ds_bpermute_b32 v1, v2, v134
	v_lshlrev_b32_e32 v3, 2, v3
	v_cndmask_b32_e32 v5, v131, v5, vcc_lo
	v_cmp_lt_i32_e32 vcc_lo, v6, v132
	v_cndmask_b32_e32 v6, v131, v6, vcc_lo
	v_cmp_eq_u32_e32 vcc_lo, 0, v21
	s_delay_alu instid0(VALU_DEP_2) | instskip(SKIP_4) | instid1(VALU_DEP_1)
	v_lshlrev_b32_e32 v22, 2, v6
	v_lshlrev_b32_e32 v5, 2, v5
	v_lshlrev_b32_e32 v6, 2, v129
	s_waitcnt lgkmcnt(0)
	v_max_f32_e32 v1, v1, v1
	v_max_f32_e32 v1, v4, v1
	ds_bpermute_b32 v4, v3, v1
	s_waitcnt lgkmcnt(0)
	v_max_f32_e32 v4, v4, v4
	s_delay_alu instid0(VALU_DEP_1) | instskip(SKIP_3) | instid1(VALU_DEP_1)
	v_max_f32_e32 v1, v1, v4
	ds_bpermute_b32 v4, v5, v1
	s_waitcnt lgkmcnt(0)
	v_max_f32_e32 v4, v4, v4
	v_max_f32_e32 v1, v1, v4
	ds_bpermute_b32 v4, v22, v1
	s_and_saveexec_b32 s0, vcc_lo
	s_cbranch_execz .LBB243_335
; %bb.334:
	s_waitcnt lgkmcnt(0)
	v_dual_max_f32 v4, v4, v4 :: v_dual_max_f32 v1, v1, v1
	s_delay_alu instid0(VALU_DEP_1)
	v_max_f32_e32 v1, v1, v4
	ds_store_b32 v6, v1 offset:320
.LBB243_335:
	s_or_b32 exec_lo, exec_lo, s0
	v_cmp_gt_u32_e64 s0, 4, v21
	v_mov_b32_e32 v1, 0xff7fffff
	v_lshlrev_b32_e32 v7, 2, v21
	s_waitcnt lgkmcnt(0)
	s_barrier
	buffer_gl0_inv
	s_and_saveexec_b32 s1, s0
	s_cbranch_execz .LBB243_337
; %bb.336:
	ds_load_b32 v1, v7 offset:320
.LBB243_337:
	s_or_b32 exec_lo, exec_lo, s1
	s_waitcnt lgkmcnt(0)
	ds_bpermute_b32 v4, v22, v1
	v_xor_b32_e32 v8, 1, v131
	v_max_f32_e32 v1, v1, v1
	v_mov_b32_e32 v9, 0
	s_delay_alu instid0(VALU_DEP_3) | instskip(NEXT) | instid1(VALU_DEP_1)
	v_cmp_lt_i32_e64 s1, v8, v132
	v_cndmask_b32_e64 v8, v131, v8, s1
	s_sub_i32 s1, s21, s4
	s_delay_alu instid0(SALU_CYCLE_1) | instskip(NEXT) | instid1(VALU_DEP_1)
	s_lshl_b32 s1, s1, 4
	v_lshlrev_b32_e32 v23, 2, v8
	v_lshlrev_b32_e32 v8, 2, v131
	s_add_i32 s1, s1, s36
	s_waitcnt lgkmcnt(0)
	v_max_f32_e32 v4, v4, v4
	s_min_i32 s1, s1, s33
	v_and_b32_e32 v8, 0xffffff80, v8
	s_sub_i32 s4, s1, s36
	s_delay_alu instid0(VALU_DEP_2) | instskip(SKIP_4) | instid1(VALU_DEP_1)
	v_max_f32_e32 v1, v1, v4
	v_cmp_gt_i32_e64 s1, s4, v0
	ds_bpermute_b32 v4, v23, v1
	s_waitcnt lgkmcnt(0)
	v_max_f32_e32 v4, v4, v4
	v_max_f32_e32 v1, v1, v4
	v_lshl_add_u32 v4, v0, 2, 0x160
	ds_bpermute_b32 v1, v8, v1
	s_and_saveexec_b32 s6, s1
	s_cbranch_execz .LBB243_341
; %bb.338:
	v_lshl_add_u32 v10, v0, 2, 0x160
	v_mov_b32_e32 v9, 0
	v_mov_b32_e32 v11, v0
	s_mov_b32 s7, 0
	.p2align	6
.LBB243_339:                            ; =>This Inner Loop Header: Depth=1
	ds_load_b32 v12, v10
	v_add_nc_u32_e32 v11, 0x80, v11
	s_delay_alu instid0(VALU_DEP_1) | instskip(NEXT) | instid1(VALU_DEP_1)
	v_cmp_le_i32_e64 s3, s4, v11
	s_or_b32 s7, s3, s7
	s_waitcnt lgkmcnt(0)
	v_sub_f32_e32 v12, v12, v1
	s_delay_alu instid0(VALU_DEP_1) | instskip(NEXT) | instid1(VALU_DEP_1)
	v_mul_f32_e32 v12, 0x3fb8aa3b, v12
	v_exp_f32_e32 v12, v12
	ds_store_b32 v10, v12
	v_dual_add_f32 v9, v9, v12 :: v_dual_add_nc_u32 v10, 0x200, v10
	s_and_not1_b32 exec_lo, exec_lo, s7
	s_cbranch_execnz .LBB243_339
; %bb.340:
	s_or_b32 exec_lo, exec_lo, s7
.LBB243_341:
	s_delay_alu instid0(SALU_CYCLE_1)
	s_or_b32 exec_lo, exec_lo, s6
	ds_bpermute_b32 v2, v2, v9
	s_waitcnt lgkmcnt(0)
	v_add_f32_e32 v2, v9, v2
	ds_bpermute_b32 v3, v3, v2
	s_waitcnt lgkmcnt(0)
	v_add_f32_e32 v2, v2, v3
	;; [unrolled: 3-line block ×5, first 2 shown]
	s_and_saveexec_b32 s3, vcc_lo
	s_cbranch_execz .LBB243_343
; %bb.342:
	ds_store_b32 v6, v2 offset:336
.LBB243_343:
	s_or_b32 exec_lo, exec_lo, s3
	s_waitcnt lgkmcnt(0)
	s_barrier
	buffer_gl0_inv
	s_and_saveexec_b32 s3, s0
	s_cbranch_execz .LBB243_345
; %bb.344:
	ds_load_b32 v2, v7 offset:336
.LBB243_345:
	s_or_b32 exec_lo, exec_lo, s3
	s_waitcnt lgkmcnt(0)
	ds_bpermute_b32 v3, v22, v2
	s_waitcnt lgkmcnt(0)
	v_add_f32_e32 v2, v2, v3
	ds_bpermute_b32 v3, v23, v2
	s_waitcnt lgkmcnt(0)
	v_add_f32_e32 v2, v2, v3
	ds_bpermute_b32 v2, v8, v2
	s_and_saveexec_b32 s0, s1
	s_cbranch_execz .LBB243_348
; %bb.346:
	s_waitcnt lgkmcnt(0)
	v_add_f32_e32 v3, 0x358637bd, v2
	s_mov_b32 s1, 0
	s_delay_alu instid0(VALU_DEP_1) | instskip(SKIP_1) | instid1(VALU_DEP_2)
	v_div_scale_f32 v5, null, v3, v3, 1.0
	v_div_scale_f32 v8, vcc_lo, 1.0, v3, 1.0
	v_rcp_f32_e32 v6, v5
	s_waitcnt_depctr 0xfff
	v_fma_f32 v7, -v5, v6, 1.0
	s_delay_alu instid0(VALU_DEP_1) | instskip(NEXT) | instid1(VALU_DEP_1)
	v_fmac_f32_e32 v6, v7, v6
	v_mul_f32_e32 v7, v8, v6
	s_delay_alu instid0(VALU_DEP_1) | instskip(NEXT) | instid1(VALU_DEP_1)
	v_fma_f32 v9, -v5, v7, v8
	v_fmac_f32_e32 v7, v9, v6
	s_delay_alu instid0(VALU_DEP_1) | instskip(NEXT) | instid1(VALU_DEP_1)
	v_fma_f32 v5, -v5, v7, v8
	v_div_fmas_f32 v5, v5, v6, v7
	s_delay_alu instid0(VALU_DEP_1)
	v_div_fixup_f32 v3, v5, v3, 1.0
	v_mov_b32_e32 v5, v0
.LBB243_347:                            ; =>This Inner Loop Header: Depth=1
	ds_load_b32 v6, v4
	s_waitcnt lgkmcnt(0)
	v_dual_mul_f32 v6, v3, v6 :: v_dual_add_nc_u32 v5, 0x80, v5
	s_delay_alu instid0(VALU_DEP_1) | instskip(SKIP_3) | instid1(SALU_CYCLE_1)
	v_cmp_le_i32_e32 vcc_lo, s4, v5
	ds_store_b32 v4, v6
	v_add_nc_u32_e32 v4, 0x200, v4
	s_or_b32 s1, vcc_lo, s1
	s_and_not1_b32 exec_lo, exec_lo, s1
	s_cbranch_execnz .LBB243_347
.LBB243_348:
	s_or_b32 exec_lo, exec_lo, s0
	s_mul_i32 s0, s15, s14
	s_waitcnt lgkmcnt(0)
	s_mul_i32 s6, s0, s13
	s_mov_b32 s0, exec_lo
	s_barrier
	buffer_gl0_inv
	v_cmpx_eq_u32_e32 0, v0
	s_cbranch_execz .LBB243_350
; %bb.349:
	s_ashr_i32 s7, s6, 31
	s_mul_i32 s38, s15, s24
	s_lshl_b64 s[8:9], s[6:7], 2
	v_mov_b32_e32 v3, 0
	s_add_u32 s1, s18, s8
	s_addc_u32 s3, s19, s9
	s_ashr_i32 s39, s38, 31
	s_delay_alu instid0(SALU_CYCLE_1) | instskip(NEXT) | instid1(SALU_CYCLE_1)
	s_lshl_b64 s[18:19], s[38:39], 2
	s_add_u32 s1, s1, s18
	s_addc_u32 s3, s3, s19
	s_ashr_i32 s13, s12, 31
	s_delay_alu instid0(SALU_CYCLE_1) | instskip(NEXT) | instid1(SALU_CYCLE_1)
	s_lshl_b64 s[38:39], s[12:13], 2
	s_add_u32 s40, s1, s38
	s_addc_u32 s41, s3, s39
	s_add_u32 s1, s16, s8
	s_addc_u32 s3, s17, s9
	;; [unrolled: 2-line block ×4, first 2 shown]
	s_clause 0x1
	global_store_b32 v3, v1, s[40:41]
	global_store_b32 v3, v2, s[8:9]
.LBB243_350:
	s_or_b32 exec_lo, exec_lo, s0
	v_dual_mov_b32 v32, 0 :: v_dual_mov_b32 v33, 0
	v_dual_mov_b32 v31, 0 :: v_dual_and_b32 v24, 3, v0
	v_dual_mov_b32 v34, 0 :: v_dual_mov_b32 v29, 0
	v_dual_mov_b32 v30, 0 :: v_dual_mov_b32 v27, 0
	;; [unrolled: 1-line block ×3, first 2 shown]
	v_mov_b32_e32 v26, 0
	s_mov_b32 s4, 0
	s_and_saveexec_b32 s1, s2
	s_cbranch_execz .LBB243_694
; %bb.351:
	s_load_b32 s7, s[10:11], 0x0
	v_dual_mov_b32 v26, 0 :: v_dual_lshlrev_b32 v7, 4, v24
	v_dual_mov_b32 v25, 0 :: v_dual_and_b32 v4, 0x7c, v130
	s_ashr_i32 s0, s34, 31
	s_mov_b32 s8, s5
	v_lshlrev_b64 v[1:2], 2, v[41:42]
	s_add_u32 s5, s30, s34
	v_lshl_or_b32 v9, v129, 6, v7
	s_addc_u32 s0, s31, s0
	s_lshl_b64 s[2:3], s[28:29], 2
	v_add_co_u32 v7, s5, s5, v4
	v_dual_mov_b32 v6, 0 :: v_dual_and_b32 v3, 12, v130
	v_lshl_add_u32 v5, v129, 4, s36
	s_add_i32 s25, s25, -1
	v_add_co_ci_u32_e64 v8, null, s0, 0, s5
	s_add_u32 s0, s26, s2
	v_dual_mov_b32 v27, 0 :: v_dual_add_nc_u32 v36, 0x160, v9
	s_addc_u32 s2, s27, s3
	v_add_co_u32 v9, vcc_lo, s0, v1
	v_add3_u32 v35, v5, v3, 3
	v_add_co_ci_u32_e32 v10, vcc_lo, s2, v2, vcc_lo
	v_dual_mov_b32 v28, 0 :: v_dual_mov_b32 v29, 0
	v_dual_mov_b32 v30, 0 :: v_dual_mov_b32 v31, 0
	;; [unrolled: 1-line block ×3, first 2 shown]
	v_mov_b32_e32 v32, 0
	s_waitcnt lgkmcnt(0)
	s_mov_b32 s9, s7
	s_brev_b32 s5, 1
	s_mov_b32 s3, 0x7f800001
	s_mov_b32 s10, s4
	s_branch .LBB243_353
.LBB243_352:                            ;   in Loop: Header=BB243_353 Depth=1
	s_or_b32 exec_lo, exec_lo, s0
	s_waitcnt lgkmcnt(0)
	v_mul_f32_e32 v15, v2, v72
	v_mul_f32_e32 v17, v2, v64
	;; [unrolled: 1-line block ×4, first 2 shown]
	v_add_co_u32 v9, s0, v9, 16
	s_delay_alu instid0(VALU_DEP_4) | instskip(SKIP_2) | instid1(VALU_DEP_3)
	v_fmac_f32_e32 v17, v1, v63
	v_dual_fmac_f32 v15, v1, v71 :: v_dual_mul_f32 v18, v2, v60
	v_fmac_f32_e32 v14, v1, v73
	v_dual_fmac_f32 v16, v1, v67 :: v_dual_fmac_f32 v17, v3, v62
	s_delay_alu instid0(VALU_DEP_3) | instskip(NEXT) | instid1(VALU_DEP_3)
	v_dual_fmac_f32 v15, v3, v70 :: v_dual_fmac_f32 v18, v1, v59
	v_fmac_f32_e32 v14, v3, v20
	s_delay_alu instid0(VALU_DEP_3) | instskip(NEXT) | instid1(VALU_DEP_3)
	v_dual_fmac_f32 v16, v3, v66 :: v_dual_fmac_f32 v17, v4, v61
	v_dual_fmac_f32 v15, v4, v69 :: v_dual_fmac_f32 v18, v3, v58
	s_delay_alu instid0(VALU_DEP_3) | instskip(NEXT) | instid1(VALU_DEP_3)
	v_fmac_f32_e32 v14, v4, v19
	v_fmac_f32_e32 v16, v4, v65
	s_delay_alu instid0(VALU_DEP_4) | instskip(NEXT) | instid1(VALU_DEP_4)
	v_add_f32_e32 v29, v29, v17
	v_dual_add_f32 v27, v27, v15 :: v_dual_fmac_f32 v18, v4, v57
	v_mul_f32_e32 v17, v2, v40
	v_mul_f32_e32 v15, v2, v52
	v_add_f32_e32 v26, v26, v14
	v_add_f32_e32 v28, v28, v16
	s_delay_alu instid0(VALU_DEP_4) | instskip(NEXT) | instid1(VALU_DEP_4)
	v_dual_fmac_f32 v17, v1, v39 :: v_dual_add_nc_u32 v36, 0x100, v36
	v_dual_fmac_f32 v15, v1, v51 :: v_dual_mul_f32 v14, v2, v56
	v_dual_mul_f32 v16, v2, v48 :: v_dual_add_nc_u32 v41, 4, v41
	s_delay_alu instid0(VALU_DEP_3) | instskip(NEXT) | instid1(VALU_DEP_3)
	v_fmac_f32_e32 v17, v3, v38
	v_dual_fmac_f32 v15, v3, v50 :: v_dual_fmac_f32 v14, v1, v55
	v_add_f32_e32 v30, v30, v18
	s_delay_alu instid0(VALU_DEP_3) | instskip(NEXT) | instid1(VALU_DEP_3)
	v_dual_fmac_f32 v16, v1, v47 :: v_dual_fmac_f32 v17, v4, v37
	v_dual_fmac_f32 v15, v4, v49 :: v_dual_fmac_f32 v14, v3, v54
	v_cmp_le_i32_e32 vcc_lo, s21, v41
	s_delay_alu instid0(VALU_DEP_3) | instskip(NEXT) | instid1(VALU_DEP_3)
	v_fmac_f32_e32 v16, v3, v46
	v_dual_add_f32 v32, v32, v17 :: v_dual_add_f32 v33, v33, v15
	s_delay_alu instid0(VALU_DEP_4) | instskip(SKIP_1) | instid1(VALU_DEP_4)
	v_fmac_f32_e32 v14, v4, v53
	v_dual_mul_f32 v2, v2, v13 :: v_dual_add_nc_u32 v35, 64, v35
	v_fmac_f32_e32 v16, v4, v45
	v_add_co_ci_u32_e64 v10, s0, 0, v10, s0
	s_delay_alu instid0(VALU_DEP_3) | instskip(NEXT) | instid1(VALU_DEP_3)
	v_dual_add_f32 v31, v31, v14 :: v_dual_fmac_f32 v2, v1, v12
	v_add_f32_e32 v34, v34, v16
	s_or_b32 s10, vcc_lo, s10
	s_delay_alu instid0(VALU_DEP_2) | instskip(NEXT) | instid1(VALU_DEP_1)
	v_fmac_f32_e32 v2, v3, v11
	v_fmac_f32_e32 v2, v4, v5
	s_delay_alu instid0(VALU_DEP_1)
	v_add_f32_e32 v25, v25, v2
	s_and_not1_b32 exec_lo, exec_lo, s10
	s_cbranch_execz .LBB243_693
.LBB243_353:                            ; =>This Inner Loop Header: Depth=1
	global_load_b32 v1, v[9:10], off
	v_mov_b32_e32 v15, 0
	s_mov_b32 s0, exec_lo
	s_waitcnt vmcnt(0)
	v_mad_i64_i32 v[11:12], null, v1, s8, v[7:8]
	ds_load_b128 v[1:4], v36
	global_load_b32 v37, v[11:12], off
	s_waitcnt vmcnt(0)
	v_dual_mov_b32 v16, 0 :: v_dual_and_b32 v5, 0xff, v37
	s_delay_alu instid0(VALU_DEP_1) | instskip(NEXT) | instid1(VALU_DEP_2)
	v_dual_mov_b32 v13, v15 :: v_dual_mov_b32 v14, v16
	v_cmpx_ne_u16_e32 0, v5
	s_cbranch_execz .LBB243_361
; %bb.354:                              ;   in Loop: Header=BB243_353 Depth=1
	v_bfrev_b32_e32 v13, 1
	v_mov_b32_e32 v14, 0
	s_mov_b32 s2, exec_lo
	v_cmpx_ne_u16_e32 0x80, v5
	s_cbranch_execz .LBB243_360
; %bb.355:                              ;   in Loop: Header=BB243_353 Depth=1
	v_mov_b32_e32 v13, 0x7f800001
	v_dual_mov_b32 v14, 0 :: v_dual_and_b32 v17, 0x7f, v37
	s_mov_b32 s11, exec_lo
	s_delay_alu instid0(VALU_DEP_1)
	v_cmpx_ne_u32_e32 0x7f, v17
	s_cbranch_execz .LBB243_359
; %bb.356:                              ;   in Loop: Header=BB243_353 Depth=1
	v_and_b32_e32 v5, 7, v37
	v_lshrrev_b32_e32 v13, 3, v17
	s_mov_b32 s13, exec_lo
	v_cmpx_gt_u32_e32 8, v17
; %bb.357:                              ;   in Loop: Header=BB243_353 Depth=1
	s_delay_alu instid0(VALU_DEP_3) | instskip(NEXT) | instid1(VALU_DEP_1)
	v_clz_i32_u32_e32 v13, v5
	v_min_u32_e32 v13, 32, v13
	s_delay_alu instid0(VALU_DEP_1) | instskip(SKIP_1) | instid1(VALU_DEP_2)
	v_subrev_nc_u32_e32 v14, 28, v13
	v_sub_nc_u32_e32 v13, 29, v13
	v_lshlrev_b64 v[17:18], v14, v[5:6]
	s_delay_alu instid0(VALU_DEP_1)
	v_and_b32_e32 v5, 7, v17
; %bb.358:                              ;   in Loop: Header=BB243_353 Depth=1
	s_or_b32 exec_lo, exec_lo, s13
	v_lshlrev_b32_e32 v14, 24, v37
	s_delay_alu instid0(VALU_DEP_2) | instskip(SKIP_1) | instid1(VALU_DEP_3)
	v_lshlrev_b32_e32 v5, 20, v5
	v_lshl_add_u32 v13, v13, 23, 0x3c000000
	v_and_b32_e32 v14, 0x80000000, v14
	s_delay_alu instid0(VALU_DEP_1) | instskip(NEXT) | instid1(VALU_DEP_1)
	v_or3_b32 v5, v5, v14, v13
	v_dual_mov_b32 v14, v6 :: v_dual_mov_b32 v13, v5
.LBB243_359:                            ;   in Loop: Header=BB243_353 Depth=1
	s_or_b32 exec_lo, exec_lo, s11
.LBB243_360:                            ;   in Loop: Header=BB243_353 Depth=1
	s_delay_alu instid0(SALU_CYCLE_1)
	s_or_b32 exec_lo, exec_lo, s2
.LBB243_361:                            ;   in Loop: Header=BB243_353 Depth=1
	s_delay_alu instid0(SALU_CYCLE_1) | instskip(SKIP_2) | instid1(VALU_DEP_1)
	s_or_b32 exec_lo, exec_lo, s0
	v_lshrrev_b16 v5, 8, v37
	s_mov_b32 s0, exec_lo
	v_cmpx_ne_u16_e32 0, v5
	s_cbranch_execz .LBB243_369
; %bb.362:                              ;   in Loop: Header=BB243_353 Depth=1
	v_dual_mov_b32 v16, s5 :: v_dual_mov_b32 v15, s4
	s_mov_b32 s11, exec_lo
	v_cmpx_ne_u16_e32 0x80, v5
	s_cbranch_execz .LBB243_368
; %bb.363:                              ;   in Loop: Header=BB243_353 Depth=1
	s_mov_b32 s2, s4
	v_dual_mov_b32 v16, s3 :: v_dual_and_b32 v5, 0xffff, v5
	v_mov_b32_e32 v15, s2
	s_mov_b32 s2, exec_lo
	s_delay_alu instid0(VALU_DEP_2) | instskip(NEXT) | instid1(VALU_DEP_1)
	v_and_b32_e32 v17, 0x7f, v5
	v_cmpx_ne_u32_e32 0x7f, v17
	s_cbranch_execz .LBB243_367
; %bb.364:                              ;   in Loop: Header=BB243_353 Depth=1
	v_and_b32_e32 v5, 7, v5
	v_lshrrev_b32_e32 v15, 3, v17
	s_mov_b32 s13, exec_lo
	v_cmpx_gt_u32_e32 8, v17
; %bb.365:                              ;   in Loop: Header=BB243_353 Depth=1
	s_delay_alu instid0(VALU_DEP_3) | instskip(NEXT) | instid1(VALU_DEP_1)
	v_clz_i32_u32_e32 v15, v5
	v_min_u32_e32 v15, 32, v15
	s_delay_alu instid0(VALU_DEP_1) | instskip(SKIP_1) | instid1(VALU_DEP_2)
	v_subrev_nc_u32_e32 v16, 28, v15
	v_sub_nc_u32_e32 v15, 29, v15
	v_lshlrev_b64 v[16:17], v16, v[5:6]
	s_delay_alu instid0(VALU_DEP_1)
	v_and_b32_e32 v5, 7, v16
; %bb.366:                              ;   in Loop: Header=BB243_353 Depth=1
	s_or_b32 exec_lo, exec_lo, s13
	v_lshlrev_b32_e32 v16, 16, v37
	s_delay_alu instid0(VALU_DEP_2) | instskip(SKIP_1) | instid1(VALU_DEP_3)
	v_lshlrev_b32_e32 v5, 20, v5
	v_lshl_add_u32 v15, v15, 23, 0x3c000000
	v_and_b32_e32 v16, 0x80000000, v16
	s_delay_alu instid0(VALU_DEP_1)
	v_or3_b32 v16, v5, v16, v15
	v_mov_b32_e32 v15, v6
.LBB243_367:                            ;   in Loop: Header=BB243_353 Depth=1
	s_or_b32 exec_lo, exec_lo, s2
.LBB243_368:                            ;   in Loop: Header=BB243_353 Depth=1
	s_delay_alu instid0(SALU_CYCLE_1)
	s_or_b32 exec_lo, exec_lo, s11
.LBB243_369:                            ;   in Loop: Header=BB243_353 Depth=1
	s_delay_alu instid0(SALU_CYCLE_1) | instskip(SKIP_4) | instid1(VALU_DEP_2)
	s_or_b32 exec_lo, exec_lo, s0
	v_mov_b32_e32 v19, 0
	v_lshrrev_b32_e32 v38, 16, v37
	v_mov_b32_e32 v20, 0
	s_mov_b32 s0, exec_lo
	v_and_b32_e32 v5, 0xff, v38
	s_delay_alu instid0(VALU_DEP_2) | instskip(NEXT) | instid1(VALU_DEP_2)
	v_dual_mov_b32 v17, v19 :: v_dual_mov_b32 v18, v20
	v_cmpx_ne_u16_e32 0, v5
	s_cbranch_execz .LBB243_377
; %bb.370:                              ;   in Loop: Header=BB243_353 Depth=1
	v_bfrev_b32_e32 v17, 1
	v_mov_b32_e32 v18, 0
	s_mov_b32 s2, exec_lo
	v_cmpx_ne_u16_e32 0x80, v5
	s_cbranch_execz .LBB243_376
; %bb.371:                              ;   in Loop: Header=BB243_353 Depth=1
	v_mov_b32_e32 v17, 0x7f800001
	v_bfe_u32 v39, v37, 16, 7
	v_mov_b32_e32 v18, 0
	s_mov_b32 s11, exec_lo
	s_delay_alu instid0(VALU_DEP_2)
	v_cmpx_ne_u32_e32 0x7f, v39
	s_cbranch_execz .LBB243_375
; %bb.372:                              ;   in Loop: Header=BB243_353 Depth=1
	v_and_b32_e32 v5, 7, v38
	v_lshrrev_b32_e32 v17, 3, v39
	s_mov_b32 s13, exec_lo
	v_cmpx_gt_u32_e32 8, v39
; %bb.373:                              ;   in Loop: Header=BB243_353 Depth=1
	s_delay_alu instid0(VALU_DEP_3) | instskip(NEXT) | instid1(VALU_DEP_1)
	v_clz_i32_u32_e32 v17, v5
	v_min_u32_e32 v17, 32, v17
	s_delay_alu instid0(VALU_DEP_1) | instskip(SKIP_1) | instid1(VALU_DEP_2)
	v_subrev_nc_u32_e32 v18, 28, v17
	v_sub_nc_u32_e32 v17, 29, v17
	v_lshlrev_b64 v[39:40], v18, v[5:6]
	s_delay_alu instid0(VALU_DEP_1)
	v_and_b32_e32 v5, 7, v39
; %bb.374:                              ;   in Loop: Header=BB243_353 Depth=1
	s_or_b32 exec_lo, exec_lo, s13
	v_lshlrev_b32_e32 v18, 24, v38
	s_delay_alu instid0(VALU_DEP_2) | instskip(SKIP_1) | instid1(VALU_DEP_3)
	v_lshlrev_b32_e32 v5, 20, v5
	v_lshl_add_u32 v17, v17, 23, 0x3c000000
	v_and_b32_e32 v18, 0x80000000, v18
	s_delay_alu instid0(VALU_DEP_1) | instskip(NEXT) | instid1(VALU_DEP_1)
	v_or3_b32 v5, v5, v18, v17
	v_dual_mov_b32 v18, v6 :: v_dual_mov_b32 v17, v5
.LBB243_375:                            ;   in Loop: Header=BB243_353 Depth=1
	s_or_b32 exec_lo, exec_lo, s11
.LBB243_376:                            ;   in Loop: Header=BB243_353 Depth=1
	s_delay_alu instid0(SALU_CYCLE_1)
	s_or_b32 exec_lo, exec_lo, s2
.LBB243_377:                            ;   in Loop: Header=BB243_353 Depth=1
	s_delay_alu instid0(SALU_CYCLE_1) | instskip(NEXT) | instid1(SALU_CYCLE_1)
	s_or_b32 exec_lo, exec_lo, s0
	s_mov_b32 s0, exec_lo
	v_cmpx_lt_u32_e32 0xffffff, v37
	s_cbranch_execz .LBB243_385
; %bb.378:                              ;   in Loop: Header=BB243_353 Depth=1
	v_lshrrev_b32_e32 v38, 24, v37
	v_dual_mov_b32 v20, s5 :: v_dual_mov_b32 v19, s4
	s_mov_b32 s11, exec_lo
	s_delay_alu instid0(VALU_DEP_2)
	v_cmpx_ne_u32_e32 0x80, v38
	s_cbranch_execz .LBB243_384
; %bb.379:                              ;   in Loop: Header=BB243_353 Depth=1
	s_mov_b32 s2, s4
	v_bfe_u32 v37, v37, 24, 7
	v_dual_mov_b32 v20, s3 :: v_dual_mov_b32 v19, s2
	s_mov_b32 s2, exec_lo
	s_delay_alu instid0(VALU_DEP_2)
	v_cmpx_ne_u32_e32 0x7f, v37
	s_cbranch_execz .LBB243_383
; %bb.380:                              ;   in Loop: Header=BB243_353 Depth=1
	v_and_b32_e32 v5, 7, v38
	v_lshrrev_b32_e32 v19, 3, v37
	s_mov_b32 s13, exec_lo
	v_cmpx_gt_u32_e32 8, v37
; %bb.381:                              ;   in Loop: Header=BB243_353 Depth=1
	s_delay_alu instid0(VALU_DEP_3) | instskip(NEXT) | instid1(VALU_DEP_1)
	v_clz_i32_u32_e32 v19, v5
	v_min_u32_e32 v19, 32, v19
	s_delay_alu instid0(VALU_DEP_1) | instskip(SKIP_1) | instid1(VALU_DEP_2)
	v_subrev_nc_u32_e32 v20, 28, v19
	v_sub_nc_u32_e32 v19, 29, v19
	v_lshlrev_b64 v[39:40], v20, v[5:6]
	s_delay_alu instid0(VALU_DEP_1)
	v_and_b32_e32 v5, 7, v39
; %bb.382:                              ;   in Loop: Header=BB243_353 Depth=1
	s_or_b32 exec_lo, exec_lo, s13
	v_lshlrev_b32_e32 v20, 24, v38
	s_delay_alu instid0(VALU_DEP_2) | instskip(SKIP_1) | instid1(VALU_DEP_3)
	v_lshlrev_b32_e32 v5, 20, v5
	v_lshl_add_u32 v19, v19, 23, 0x3c000000
	v_and_b32_e32 v20, 0x80000000, v20
	s_delay_alu instid0(VALU_DEP_1)
	v_or3_b32 v20, v5, v20, v19
	v_mov_b32_e32 v19, v6
.LBB243_383:                            ;   in Loop: Header=BB243_353 Depth=1
	s_or_b32 exec_lo, exec_lo, s2
.LBB243_384:                            ;   in Loop: Header=BB243_353 Depth=1
	s_delay_alu instid0(SALU_CYCLE_1)
	s_or_b32 exec_lo, exec_lo, s11
.LBB243_385:                            ;   in Loop: Header=BB243_353 Depth=1
	s_delay_alu instid0(SALU_CYCLE_1)
	s_or_b32 exec_lo, exec_lo, s0
	v_or_b32_e32 v5, v16, v14
	v_or_b32_e32 v13, v15, v13
	;; [unrolled: 1-line block ×4, first 2 shown]
	v_add_nc_u32_e32 v42, -3, v35
	v_cmp_eq_u32_e32 vcc_lo, s25, v41
	v_mul_f32_e32 v39, s7, v13
	v_dual_mul_f32 v40, s9, v5 :: v_dual_mul_f32 v37, s9, v14
	v_mul_f32_e32 v38, s7, v15
	v_add_nc_u32_e32 v44, -2, v35
	v_add_nc_u32_e32 v43, -1, v35
	s_and_saveexec_b32 s2, vcc_lo
; %bb.386:                              ;   in Loop: Header=BB243_353 Depth=1
	v_cmp_gt_i32_e64 s0, s33, v42
	s_delay_alu instid0(VALU_DEP_1) | instskip(SKIP_1) | instid1(VALU_DEP_1)
	v_cndmask_b32_e64 v39, 0, v39, s0
	v_cmp_gt_i32_e64 s0, s33, v44
	v_cndmask_b32_e64 v40, 0, v40, s0
	v_cmp_gt_i32_e64 s0, s33, v43
	s_delay_alu instid0(VALU_DEP_1) | instskip(SKIP_1) | instid1(VALU_DEP_1)
	v_cndmask_b32_e64 v38, 0, v38, s0
	v_cmp_gt_i32_e64 s0, s33, v35
	v_cndmask_b32_e64 v37, 0, v37, s0
; %bb.387:                              ;   in Loop: Header=BB243_353 Depth=1
	s_or_b32 exec_lo, exec_lo, s2
	global_load_b32 v45, v[11:12], off offset:128
	v_mov_b32_e32 v15, 0
	v_mov_b32_e32 v16, 0
	s_mov_b32 s2, exec_lo
	s_waitcnt vmcnt(0)
	v_and_b32_e32 v5, 0xff, v45
	s_delay_alu instid0(VALU_DEP_2) | instskip(NEXT) | instid1(VALU_DEP_2)
	v_dual_mov_b32 v13, v15 :: v_dual_mov_b32 v14, v16
	v_cmpx_ne_u16_e32 0, v5
	s_cbranch_execz .LBB243_395
; %bb.388:                              ;   in Loop: Header=BB243_353 Depth=1
	v_bfrev_b32_e32 v13, 1
	v_mov_b32_e32 v14, 0
	s_mov_b32 s11, exec_lo
	v_cmpx_ne_u16_e32 0x80, v5
	s_cbranch_execz .LBB243_394
; %bb.389:                              ;   in Loop: Header=BB243_353 Depth=1
	v_mov_b32_e32 v13, 0x7f800001
	v_dual_mov_b32 v14, 0 :: v_dual_and_b32 v17, 0x7f, v45
	s_mov_b32 s13, exec_lo
	s_delay_alu instid0(VALU_DEP_1)
	v_cmpx_ne_u32_e32 0x7f, v17
	s_cbranch_execz .LBB243_393
; %bb.390:                              ;   in Loop: Header=BB243_353 Depth=1
	v_and_b32_e32 v5, 7, v45
	v_lshrrev_b32_e32 v13, 3, v17
	s_mov_b32 s14, exec_lo
	v_cmpx_gt_u32_e32 8, v17
; %bb.391:                              ;   in Loop: Header=BB243_353 Depth=1
	s_delay_alu instid0(VALU_DEP_3) | instskip(NEXT) | instid1(VALU_DEP_1)
	v_clz_i32_u32_e32 v13, v5
	v_min_u32_e32 v13, 32, v13
	s_delay_alu instid0(VALU_DEP_1) | instskip(SKIP_1) | instid1(VALU_DEP_2)
	v_subrev_nc_u32_e32 v14, 28, v13
	v_sub_nc_u32_e32 v13, 29, v13
	v_lshlrev_b64 v[17:18], v14, v[5:6]
	s_delay_alu instid0(VALU_DEP_1)
	v_and_b32_e32 v5, 7, v17
; %bb.392:                              ;   in Loop: Header=BB243_353 Depth=1
	s_or_b32 exec_lo, exec_lo, s14
	v_lshlrev_b32_e32 v14, 24, v45
	s_delay_alu instid0(VALU_DEP_2) | instskip(SKIP_1) | instid1(VALU_DEP_3)
	v_lshlrev_b32_e32 v5, 20, v5
	v_lshl_add_u32 v13, v13, 23, 0x3c000000
	v_and_b32_e32 v14, 0x80000000, v14
	s_delay_alu instid0(VALU_DEP_1) | instskip(NEXT) | instid1(VALU_DEP_1)
	v_or3_b32 v5, v5, v14, v13
	v_dual_mov_b32 v14, v6 :: v_dual_mov_b32 v13, v5
.LBB243_393:                            ;   in Loop: Header=BB243_353 Depth=1
	s_or_b32 exec_lo, exec_lo, s13
.LBB243_394:                            ;   in Loop: Header=BB243_353 Depth=1
	s_delay_alu instid0(SALU_CYCLE_1)
	s_or_b32 exec_lo, exec_lo, s11
.LBB243_395:                            ;   in Loop: Header=BB243_353 Depth=1
	s_delay_alu instid0(SALU_CYCLE_1) | instskip(SKIP_2) | instid1(VALU_DEP_1)
	s_or_b32 exec_lo, exec_lo, s2
	v_lshrrev_b16 v5, 8, v45
	s_mov_b32 s11, exec_lo
	v_cmpx_ne_u16_e32 0, v5
	s_cbranch_execz .LBB243_403
; %bb.396:                              ;   in Loop: Header=BB243_353 Depth=1
	v_dual_mov_b32 v16, s5 :: v_dual_mov_b32 v15, s4
	s_mov_b32 s13, exec_lo
	v_cmpx_ne_u16_e32 0x80, v5
	s_cbranch_execz .LBB243_402
; %bb.397:                              ;   in Loop: Header=BB243_353 Depth=1
	s_mov_b32 s2, s4
	v_dual_mov_b32 v16, s3 :: v_dual_and_b32 v5, 0xffff, v5
	v_mov_b32_e32 v15, s2
	s_mov_b32 s2, exec_lo
	s_delay_alu instid0(VALU_DEP_2) | instskip(NEXT) | instid1(VALU_DEP_1)
	v_and_b32_e32 v17, 0x7f, v5
	v_cmpx_ne_u32_e32 0x7f, v17
	s_cbranch_execz .LBB243_401
; %bb.398:                              ;   in Loop: Header=BB243_353 Depth=1
	v_and_b32_e32 v5, 7, v5
	v_lshrrev_b32_e32 v15, 3, v17
	s_mov_b32 s14, exec_lo
	v_cmpx_gt_u32_e32 8, v17
; %bb.399:                              ;   in Loop: Header=BB243_353 Depth=1
	s_delay_alu instid0(VALU_DEP_3) | instskip(NEXT) | instid1(VALU_DEP_1)
	v_clz_i32_u32_e32 v15, v5
	v_min_u32_e32 v15, 32, v15
	s_delay_alu instid0(VALU_DEP_1) | instskip(SKIP_1) | instid1(VALU_DEP_2)
	v_subrev_nc_u32_e32 v16, 28, v15
	v_sub_nc_u32_e32 v15, 29, v15
	v_lshlrev_b64 v[16:17], v16, v[5:6]
	s_delay_alu instid0(VALU_DEP_1)
	v_and_b32_e32 v5, 7, v16
; %bb.400:                              ;   in Loop: Header=BB243_353 Depth=1
	s_or_b32 exec_lo, exec_lo, s14
	v_lshlrev_b32_e32 v16, 16, v45
	s_delay_alu instid0(VALU_DEP_2) | instskip(SKIP_1) | instid1(VALU_DEP_3)
	v_lshlrev_b32_e32 v5, 20, v5
	v_lshl_add_u32 v15, v15, 23, 0x3c000000
	v_and_b32_e32 v16, 0x80000000, v16
	s_delay_alu instid0(VALU_DEP_1)
	v_or3_b32 v16, v5, v16, v15
	v_mov_b32_e32 v15, v6
.LBB243_401:                            ;   in Loop: Header=BB243_353 Depth=1
	s_or_b32 exec_lo, exec_lo, s2
.LBB243_402:                            ;   in Loop: Header=BB243_353 Depth=1
	s_delay_alu instid0(SALU_CYCLE_1)
	s_or_b32 exec_lo, exec_lo, s13
.LBB243_403:                            ;   in Loop: Header=BB243_353 Depth=1
	s_delay_alu instid0(SALU_CYCLE_1) | instskip(SKIP_4) | instid1(VALU_DEP_2)
	s_or_b32 exec_lo, exec_lo, s11
	v_mov_b32_e32 v19, 0
	v_lshrrev_b32_e32 v46, 16, v45
	v_mov_b32_e32 v20, 0
	s_mov_b32 s2, exec_lo
	v_and_b32_e32 v5, 0xff, v46
	s_delay_alu instid0(VALU_DEP_2) | instskip(NEXT) | instid1(VALU_DEP_2)
	v_dual_mov_b32 v17, v19 :: v_dual_mov_b32 v18, v20
	v_cmpx_ne_u16_e32 0, v5
	s_cbranch_execz .LBB243_411
; %bb.404:                              ;   in Loop: Header=BB243_353 Depth=1
	v_bfrev_b32_e32 v17, 1
	v_mov_b32_e32 v18, 0
	s_mov_b32 s11, exec_lo
	v_cmpx_ne_u16_e32 0x80, v5
	s_cbranch_execz .LBB243_410
; %bb.405:                              ;   in Loop: Header=BB243_353 Depth=1
	v_mov_b32_e32 v17, 0x7f800001
	v_bfe_u32 v47, v45, 16, 7
	v_mov_b32_e32 v18, 0
	s_mov_b32 s13, exec_lo
	s_delay_alu instid0(VALU_DEP_2)
	v_cmpx_ne_u32_e32 0x7f, v47
	s_cbranch_execz .LBB243_409
; %bb.406:                              ;   in Loop: Header=BB243_353 Depth=1
	v_and_b32_e32 v5, 7, v46
	v_lshrrev_b32_e32 v17, 3, v47
	s_mov_b32 s14, exec_lo
	v_cmpx_gt_u32_e32 8, v47
; %bb.407:                              ;   in Loop: Header=BB243_353 Depth=1
	s_delay_alu instid0(VALU_DEP_3) | instskip(NEXT) | instid1(VALU_DEP_1)
	v_clz_i32_u32_e32 v17, v5
	v_min_u32_e32 v17, 32, v17
	s_delay_alu instid0(VALU_DEP_1) | instskip(SKIP_1) | instid1(VALU_DEP_2)
	v_subrev_nc_u32_e32 v18, 28, v17
	v_sub_nc_u32_e32 v17, 29, v17
	v_lshlrev_b64 v[47:48], v18, v[5:6]
	s_delay_alu instid0(VALU_DEP_1)
	v_and_b32_e32 v5, 7, v47
; %bb.408:                              ;   in Loop: Header=BB243_353 Depth=1
	s_or_b32 exec_lo, exec_lo, s14
	v_lshlrev_b32_e32 v18, 24, v46
	s_delay_alu instid0(VALU_DEP_2) | instskip(SKIP_1) | instid1(VALU_DEP_3)
	v_lshlrev_b32_e32 v5, 20, v5
	v_lshl_add_u32 v17, v17, 23, 0x3c000000
	v_and_b32_e32 v18, 0x80000000, v18
	s_delay_alu instid0(VALU_DEP_1) | instskip(NEXT) | instid1(VALU_DEP_1)
	v_or3_b32 v5, v5, v18, v17
	v_dual_mov_b32 v18, v6 :: v_dual_mov_b32 v17, v5
.LBB243_409:                            ;   in Loop: Header=BB243_353 Depth=1
	s_or_b32 exec_lo, exec_lo, s13
.LBB243_410:                            ;   in Loop: Header=BB243_353 Depth=1
	s_delay_alu instid0(SALU_CYCLE_1)
	s_or_b32 exec_lo, exec_lo, s11
.LBB243_411:                            ;   in Loop: Header=BB243_353 Depth=1
	s_delay_alu instid0(SALU_CYCLE_1) | instskip(NEXT) | instid1(SALU_CYCLE_1)
	s_or_b32 exec_lo, exec_lo, s2
	s_mov_b32 s11, exec_lo
	v_cmpx_lt_u32_e32 0xffffff, v45
	s_cbranch_execz .LBB243_419
; %bb.412:                              ;   in Loop: Header=BB243_353 Depth=1
	v_lshrrev_b32_e32 v46, 24, v45
	v_dual_mov_b32 v20, s5 :: v_dual_mov_b32 v19, s4
	s_mov_b32 s13, exec_lo
	s_delay_alu instid0(VALU_DEP_2)
	v_cmpx_ne_u32_e32 0x80, v46
	s_cbranch_execz .LBB243_418
; %bb.413:                              ;   in Loop: Header=BB243_353 Depth=1
	s_mov_b32 s2, s4
	v_bfe_u32 v45, v45, 24, 7
	v_dual_mov_b32 v20, s3 :: v_dual_mov_b32 v19, s2
	s_mov_b32 s2, exec_lo
	s_delay_alu instid0(VALU_DEP_2)
	v_cmpx_ne_u32_e32 0x7f, v45
	s_cbranch_execz .LBB243_417
; %bb.414:                              ;   in Loop: Header=BB243_353 Depth=1
	v_and_b32_e32 v5, 7, v46
	v_lshrrev_b32_e32 v19, 3, v45
	s_mov_b32 s14, exec_lo
	v_cmpx_gt_u32_e32 8, v45
; %bb.415:                              ;   in Loop: Header=BB243_353 Depth=1
	s_delay_alu instid0(VALU_DEP_3) | instskip(NEXT) | instid1(VALU_DEP_1)
	v_clz_i32_u32_e32 v19, v5
	v_min_u32_e32 v19, 32, v19
	s_delay_alu instid0(VALU_DEP_1) | instskip(SKIP_1) | instid1(VALU_DEP_2)
	v_subrev_nc_u32_e32 v20, 28, v19
	v_sub_nc_u32_e32 v19, 29, v19
	v_lshlrev_b64 v[47:48], v20, v[5:6]
	s_delay_alu instid0(VALU_DEP_1)
	v_and_b32_e32 v5, 7, v47
; %bb.416:                              ;   in Loop: Header=BB243_353 Depth=1
	s_or_b32 exec_lo, exec_lo, s14
	v_lshlrev_b32_e32 v20, 24, v46
	s_delay_alu instid0(VALU_DEP_2) | instskip(SKIP_1) | instid1(VALU_DEP_3)
	v_lshlrev_b32_e32 v5, 20, v5
	v_lshl_add_u32 v19, v19, 23, 0x3c000000
	v_and_b32_e32 v20, 0x80000000, v20
	s_delay_alu instid0(VALU_DEP_1)
	v_or3_b32 v20, v5, v20, v19
	v_mov_b32_e32 v19, v6
.LBB243_417:                            ;   in Loop: Header=BB243_353 Depth=1
	s_or_b32 exec_lo, exec_lo, s2
.LBB243_418:                            ;   in Loop: Header=BB243_353 Depth=1
	s_delay_alu instid0(SALU_CYCLE_1)
	s_or_b32 exec_lo, exec_lo, s13
.LBB243_419:                            ;   in Loop: Header=BB243_353 Depth=1
	s_delay_alu instid0(SALU_CYCLE_1) | instskip(SKIP_4) | instid1(VALU_DEP_4)
	s_or_b32 exec_lo, exec_lo, s11
	v_or_b32_e32 v5, v16, v14
	v_or_b32_e32 v13, v15, v13
	;; [unrolled: 1-line block ×4, first 2 shown]
	v_mul_f32_e32 v48, s9, v5
	s_delay_alu instid0(VALU_DEP_4) | instskip(NEXT) | instid1(VALU_DEP_3)
	v_mul_f32_e32 v47, s7, v13
	v_dual_mul_f32 v45, s9, v14 :: v_dual_mul_f32 v46, s7, v15
	s_and_saveexec_b32 s2, vcc_lo
; %bb.420:                              ;   in Loop: Header=BB243_353 Depth=1
	v_cmp_gt_i32_e64 s0, s33, v42
	s_delay_alu instid0(VALU_DEP_1) | instskip(SKIP_1) | instid1(VALU_DEP_1)
	v_cndmask_b32_e64 v47, 0, v47, s0
	v_cmp_gt_i32_e64 s0, s33, v44
	v_cndmask_b32_e64 v48, 0, v48, s0
	v_cmp_gt_i32_e64 s0, s33, v43
	s_delay_alu instid0(VALU_DEP_1) | instskip(SKIP_1) | instid1(VALU_DEP_1)
	v_cndmask_b32_e64 v46, 0, v46, s0
	v_cmp_gt_i32_e64 s0, s33, v35
	v_cndmask_b32_e64 v45, 0, v45, s0
; %bb.421:                              ;   in Loop: Header=BB243_353 Depth=1
	s_or_b32 exec_lo, exec_lo, s2
	global_load_b32 v49, v[11:12], off offset:256
	v_mov_b32_e32 v15, 0
	v_mov_b32_e32 v16, 0
	s_mov_b32 s2, exec_lo
	s_waitcnt vmcnt(0)
	v_and_b32_e32 v5, 0xff, v49
	s_delay_alu instid0(VALU_DEP_2) | instskip(NEXT) | instid1(VALU_DEP_2)
	v_dual_mov_b32 v13, v15 :: v_dual_mov_b32 v14, v16
	v_cmpx_ne_u16_e32 0, v5
	s_cbranch_execz .LBB243_429
; %bb.422:                              ;   in Loop: Header=BB243_353 Depth=1
	v_bfrev_b32_e32 v13, 1
	v_mov_b32_e32 v14, 0
	s_mov_b32 s11, exec_lo
	v_cmpx_ne_u16_e32 0x80, v5
	s_cbranch_execz .LBB243_428
; %bb.423:                              ;   in Loop: Header=BB243_353 Depth=1
	v_mov_b32_e32 v13, 0x7f800001
	v_dual_mov_b32 v14, 0 :: v_dual_and_b32 v17, 0x7f, v49
	s_mov_b32 s13, exec_lo
	s_delay_alu instid0(VALU_DEP_1)
	v_cmpx_ne_u32_e32 0x7f, v17
	s_cbranch_execz .LBB243_427
; %bb.424:                              ;   in Loop: Header=BB243_353 Depth=1
	v_and_b32_e32 v5, 7, v49
	v_lshrrev_b32_e32 v13, 3, v17
	s_mov_b32 s14, exec_lo
	v_cmpx_gt_u32_e32 8, v17
; %bb.425:                              ;   in Loop: Header=BB243_353 Depth=1
	s_delay_alu instid0(VALU_DEP_3) | instskip(NEXT) | instid1(VALU_DEP_1)
	v_clz_i32_u32_e32 v13, v5
	v_min_u32_e32 v13, 32, v13
	s_delay_alu instid0(VALU_DEP_1) | instskip(SKIP_1) | instid1(VALU_DEP_2)
	v_subrev_nc_u32_e32 v14, 28, v13
	v_sub_nc_u32_e32 v13, 29, v13
	v_lshlrev_b64 v[17:18], v14, v[5:6]
	s_delay_alu instid0(VALU_DEP_1)
	v_and_b32_e32 v5, 7, v17
; %bb.426:                              ;   in Loop: Header=BB243_353 Depth=1
	s_or_b32 exec_lo, exec_lo, s14
	v_lshlrev_b32_e32 v14, 24, v49
	s_delay_alu instid0(VALU_DEP_2) | instskip(SKIP_1) | instid1(VALU_DEP_3)
	v_lshlrev_b32_e32 v5, 20, v5
	v_lshl_add_u32 v13, v13, 23, 0x3c000000
	v_and_b32_e32 v14, 0x80000000, v14
	s_delay_alu instid0(VALU_DEP_1) | instskip(NEXT) | instid1(VALU_DEP_1)
	v_or3_b32 v5, v5, v14, v13
	v_dual_mov_b32 v14, v6 :: v_dual_mov_b32 v13, v5
.LBB243_427:                            ;   in Loop: Header=BB243_353 Depth=1
	s_or_b32 exec_lo, exec_lo, s13
.LBB243_428:                            ;   in Loop: Header=BB243_353 Depth=1
	s_delay_alu instid0(SALU_CYCLE_1)
	s_or_b32 exec_lo, exec_lo, s11
.LBB243_429:                            ;   in Loop: Header=BB243_353 Depth=1
	s_delay_alu instid0(SALU_CYCLE_1) | instskip(SKIP_2) | instid1(VALU_DEP_1)
	s_or_b32 exec_lo, exec_lo, s2
	v_lshrrev_b16 v5, 8, v49
	s_mov_b32 s11, exec_lo
	v_cmpx_ne_u16_e32 0, v5
	s_cbranch_execz .LBB243_437
; %bb.430:                              ;   in Loop: Header=BB243_353 Depth=1
	v_dual_mov_b32 v16, s5 :: v_dual_mov_b32 v15, s4
	s_mov_b32 s13, exec_lo
	v_cmpx_ne_u16_e32 0x80, v5
	s_cbranch_execz .LBB243_436
; %bb.431:                              ;   in Loop: Header=BB243_353 Depth=1
	s_mov_b32 s2, s4
	v_dual_mov_b32 v16, s3 :: v_dual_and_b32 v5, 0xffff, v5
	v_mov_b32_e32 v15, s2
	s_mov_b32 s2, exec_lo
	s_delay_alu instid0(VALU_DEP_2) | instskip(NEXT) | instid1(VALU_DEP_1)
	v_and_b32_e32 v17, 0x7f, v5
	v_cmpx_ne_u32_e32 0x7f, v17
	s_cbranch_execz .LBB243_435
; %bb.432:                              ;   in Loop: Header=BB243_353 Depth=1
	v_and_b32_e32 v5, 7, v5
	v_lshrrev_b32_e32 v15, 3, v17
	s_mov_b32 s14, exec_lo
	v_cmpx_gt_u32_e32 8, v17
; %bb.433:                              ;   in Loop: Header=BB243_353 Depth=1
	s_delay_alu instid0(VALU_DEP_3) | instskip(NEXT) | instid1(VALU_DEP_1)
	v_clz_i32_u32_e32 v15, v5
	v_min_u32_e32 v15, 32, v15
	s_delay_alu instid0(VALU_DEP_1) | instskip(SKIP_1) | instid1(VALU_DEP_2)
	v_subrev_nc_u32_e32 v16, 28, v15
	v_sub_nc_u32_e32 v15, 29, v15
	v_lshlrev_b64 v[16:17], v16, v[5:6]
	s_delay_alu instid0(VALU_DEP_1)
	v_and_b32_e32 v5, 7, v16
; %bb.434:                              ;   in Loop: Header=BB243_353 Depth=1
	s_or_b32 exec_lo, exec_lo, s14
	v_lshlrev_b32_e32 v16, 16, v49
	s_delay_alu instid0(VALU_DEP_2) | instskip(SKIP_1) | instid1(VALU_DEP_3)
	v_lshlrev_b32_e32 v5, 20, v5
	v_lshl_add_u32 v15, v15, 23, 0x3c000000
	v_and_b32_e32 v16, 0x80000000, v16
	s_delay_alu instid0(VALU_DEP_1)
	v_or3_b32 v16, v5, v16, v15
	v_mov_b32_e32 v15, v6
.LBB243_435:                            ;   in Loop: Header=BB243_353 Depth=1
	s_or_b32 exec_lo, exec_lo, s2
.LBB243_436:                            ;   in Loop: Header=BB243_353 Depth=1
	s_delay_alu instid0(SALU_CYCLE_1)
	s_or_b32 exec_lo, exec_lo, s13
.LBB243_437:                            ;   in Loop: Header=BB243_353 Depth=1
	s_delay_alu instid0(SALU_CYCLE_1) | instskip(SKIP_4) | instid1(VALU_DEP_2)
	s_or_b32 exec_lo, exec_lo, s11
	v_mov_b32_e32 v19, 0
	v_lshrrev_b32_e32 v50, 16, v49
	v_mov_b32_e32 v20, 0
	s_mov_b32 s2, exec_lo
	v_and_b32_e32 v5, 0xff, v50
	s_delay_alu instid0(VALU_DEP_2) | instskip(NEXT) | instid1(VALU_DEP_2)
	v_dual_mov_b32 v17, v19 :: v_dual_mov_b32 v18, v20
	v_cmpx_ne_u16_e32 0, v5
	s_cbranch_execz .LBB243_445
; %bb.438:                              ;   in Loop: Header=BB243_353 Depth=1
	v_bfrev_b32_e32 v17, 1
	v_mov_b32_e32 v18, 0
	s_mov_b32 s11, exec_lo
	v_cmpx_ne_u16_e32 0x80, v5
	s_cbranch_execz .LBB243_444
; %bb.439:                              ;   in Loop: Header=BB243_353 Depth=1
	v_mov_b32_e32 v17, 0x7f800001
	v_bfe_u32 v51, v49, 16, 7
	v_mov_b32_e32 v18, 0
	s_mov_b32 s13, exec_lo
	s_delay_alu instid0(VALU_DEP_2)
	v_cmpx_ne_u32_e32 0x7f, v51
	s_cbranch_execz .LBB243_443
; %bb.440:                              ;   in Loop: Header=BB243_353 Depth=1
	v_and_b32_e32 v5, 7, v50
	v_lshrrev_b32_e32 v17, 3, v51
	s_mov_b32 s14, exec_lo
	v_cmpx_gt_u32_e32 8, v51
; %bb.441:                              ;   in Loop: Header=BB243_353 Depth=1
	s_delay_alu instid0(VALU_DEP_3) | instskip(NEXT) | instid1(VALU_DEP_1)
	v_clz_i32_u32_e32 v17, v5
	v_min_u32_e32 v17, 32, v17
	s_delay_alu instid0(VALU_DEP_1) | instskip(SKIP_1) | instid1(VALU_DEP_2)
	v_subrev_nc_u32_e32 v18, 28, v17
	v_sub_nc_u32_e32 v17, 29, v17
	v_lshlrev_b64 v[51:52], v18, v[5:6]
	s_delay_alu instid0(VALU_DEP_1)
	v_and_b32_e32 v5, 7, v51
; %bb.442:                              ;   in Loop: Header=BB243_353 Depth=1
	s_or_b32 exec_lo, exec_lo, s14
	v_lshlrev_b32_e32 v18, 24, v50
	s_delay_alu instid0(VALU_DEP_2) | instskip(SKIP_1) | instid1(VALU_DEP_3)
	v_lshlrev_b32_e32 v5, 20, v5
	v_lshl_add_u32 v17, v17, 23, 0x3c000000
	v_and_b32_e32 v18, 0x80000000, v18
	s_delay_alu instid0(VALU_DEP_1) | instskip(NEXT) | instid1(VALU_DEP_1)
	v_or3_b32 v5, v5, v18, v17
	v_dual_mov_b32 v18, v6 :: v_dual_mov_b32 v17, v5
.LBB243_443:                            ;   in Loop: Header=BB243_353 Depth=1
	s_or_b32 exec_lo, exec_lo, s13
.LBB243_444:                            ;   in Loop: Header=BB243_353 Depth=1
	s_delay_alu instid0(SALU_CYCLE_1)
	s_or_b32 exec_lo, exec_lo, s11
.LBB243_445:                            ;   in Loop: Header=BB243_353 Depth=1
	s_delay_alu instid0(SALU_CYCLE_1) | instskip(NEXT) | instid1(SALU_CYCLE_1)
	s_or_b32 exec_lo, exec_lo, s2
	s_mov_b32 s11, exec_lo
	v_cmpx_lt_u32_e32 0xffffff, v49
	s_cbranch_execz .LBB243_453
; %bb.446:                              ;   in Loop: Header=BB243_353 Depth=1
	v_lshrrev_b32_e32 v50, 24, v49
	v_dual_mov_b32 v20, s5 :: v_dual_mov_b32 v19, s4
	s_mov_b32 s13, exec_lo
	s_delay_alu instid0(VALU_DEP_2)
	v_cmpx_ne_u32_e32 0x80, v50
	s_cbranch_execz .LBB243_452
; %bb.447:                              ;   in Loop: Header=BB243_353 Depth=1
	s_mov_b32 s2, s4
	v_bfe_u32 v49, v49, 24, 7
	v_dual_mov_b32 v20, s3 :: v_dual_mov_b32 v19, s2
	s_mov_b32 s2, exec_lo
	s_delay_alu instid0(VALU_DEP_2)
	v_cmpx_ne_u32_e32 0x7f, v49
	s_cbranch_execz .LBB243_451
; %bb.448:                              ;   in Loop: Header=BB243_353 Depth=1
	v_and_b32_e32 v5, 7, v50
	v_lshrrev_b32_e32 v19, 3, v49
	s_mov_b32 s14, exec_lo
	v_cmpx_gt_u32_e32 8, v49
; %bb.449:                              ;   in Loop: Header=BB243_353 Depth=1
	s_delay_alu instid0(VALU_DEP_3) | instskip(NEXT) | instid1(VALU_DEP_1)
	v_clz_i32_u32_e32 v19, v5
	v_min_u32_e32 v19, 32, v19
	s_delay_alu instid0(VALU_DEP_1) | instskip(SKIP_1) | instid1(VALU_DEP_2)
	v_subrev_nc_u32_e32 v20, 28, v19
	v_sub_nc_u32_e32 v19, 29, v19
	v_lshlrev_b64 v[51:52], v20, v[5:6]
	s_delay_alu instid0(VALU_DEP_1)
	v_and_b32_e32 v5, 7, v51
; %bb.450:                              ;   in Loop: Header=BB243_353 Depth=1
	s_or_b32 exec_lo, exec_lo, s14
	v_lshlrev_b32_e32 v20, 24, v50
	s_delay_alu instid0(VALU_DEP_2) | instskip(SKIP_1) | instid1(VALU_DEP_3)
	v_lshlrev_b32_e32 v5, 20, v5
	v_lshl_add_u32 v19, v19, 23, 0x3c000000
	v_and_b32_e32 v20, 0x80000000, v20
	s_delay_alu instid0(VALU_DEP_1)
	v_or3_b32 v20, v5, v20, v19
	v_mov_b32_e32 v19, v6
.LBB243_451:                            ;   in Loop: Header=BB243_353 Depth=1
	s_or_b32 exec_lo, exec_lo, s2
.LBB243_452:                            ;   in Loop: Header=BB243_353 Depth=1
	s_delay_alu instid0(SALU_CYCLE_1)
	s_or_b32 exec_lo, exec_lo, s13
.LBB243_453:                            ;   in Loop: Header=BB243_353 Depth=1
	s_delay_alu instid0(SALU_CYCLE_1) | instskip(SKIP_4) | instid1(VALU_DEP_4)
	s_or_b32 exec_lo, exec_lo, s11
	v_or_b32_e32 v5, v16, v14
	v_or_b32_e32 v13, v15, v13
	;; [unrolled: 1-line block ×4, first 2 shown]
	v_mul_f32_e32 v52, s9, v5
	s_delay_alu instid0(VALU_DEP_4) | instskip(NEXT) | instid1(VALU_DEP_3)
	v_mul_f32_e32 v51, s7, v13
	v_dual_mul_f32 v49, s9, v14 :: v_dual_mul_f32 v50, s7, v15
	s_and_saveexec_b32 s2, vcc_lo
; %bb.454:                              ;   in Loop: Header=BB243_353 Depth=1
	v_cmp_gt_i32_e64 s0, s33, v42
	s_delay_alu instid0(VALU_DEP_1) | instskip(SKIP_1) | instid1(VALU_DEP_1)
	v_cndmask_b32_e64 v51, 0, v51, s0
	v_cmp_gt_i32_e64 s0, s33, v44
	v_cndmask_b32_e64 v52, 0, v52, s0
	v_cmp_gt_i32_e64 s0, s33, v43
	s_delay_alu instid0(VALU_DEP_1) | instskip(SKIP_1) | instid1(VALU_DEP_1)
	v_cndmask_b32_e64 v50, 0, v50, s0
	v_cmp_gt_i32_e64 s0, s33, v35
	v_cndmask_b32_e64 v49, 0, v49, s0
; %bb.455:                              ;   in Loop: Header=BB243_353 Depth=1
	s_or_b32 exec_lo, exec_lo, s2
	global_load_b32 v53, v[11:12], off offset:384
	v_mov_b32_e32 v15, 0
	v_mov_b32_e32 v16, 0
	s_mov_b32 s2, exec_lo
	s_waitcnt vmcnt(0)
	v_and_b32_e32 v5, 0xff, v53
	s_delay_alu instid0(VALU_DEP_2) | instskip(NEXT) | instid1(VALU_DEP_2)
	v_dual_mov_b32 v13, v15 :: v_dual_mov_b32 v14, v16
	v_cmpx_ne_u16_e32 0, v5
	s_cbranch_execz .LBB243_463
; %bb.456:                              ;   in Loop: Header=BB243_353 Depth=1
	v_bfrev_b32_e32 v13, 1
	v_mov_b32_e32 v14, 0
	s_mov_b32 s11, exec_lo
	v_cmpx_ne_u16_e32 0x80, v5
	s_cbranch_execz .LBB243_462
; %bb.457:                              ;   in Loop: Header=BB243_353 Depth=1
	v_mov_b32_e32 v13, 0x7f800001
	v_dual_mov_b32 v14, 0 :: v_dual_and_b32 v17, 0x7f, v53
	s_mov_b32 s13, exec_lo
	s_delay_alu instid0(VALU_DEP_1)
	v_cmpx_ne_u32_e32 0x7f, v17
	s_cbranch_execz .LBB243_461
; %bb.458:                              ;   in Loop: Header=BB243_353 Depth=1
	v_and_b32_e32 v5, 7, v53
	v_lshrrev_b32_e32 v13, 3, v17
	s_mov_b32 s14, exec_lo
	v_cmpx_gt_u32_e32 8, v17
; %bb.459:                              ;   in Loop: Header=BB243_353 Depth=1
	s_delay_alu instid0(VALU_DEP_3) | instskip(NEXT) | instid1(VALU_DEP_1)
	v_clz_i32_u32_e32 v13, v5
	v_min_u32_e32 v13, 32, v13
	s_delay_alu instid0(VALU_DEP_1) | instskip(SKIP_1) | instid1(VALU_DEP_2)
	v_subrev_nc_u32_e32 v14, 28, v13
	v_sub_nc_u32_e32 v13, 29, v13
	v_lshlrev_b64 v[17:18], v14, v[5:6]
	s_delay_alu instid0(VALU_DEP_1)
	v_and_b32_e32 v5, 7, v17
; %bb.460:                              ;   in Loop: Header=BB243_353 Depth=1
	s_or_b32 exec_lo, exec_lo, s14
	v_lshlrev_b32_e32 v14, 24, v53
	s_delay_alu instid0(VALU_DEP_2) | instskip(SKIP_1) | instid1(VALU_DEP_3)
	v_lshlrev_b32_e32 v5, 20, v5
	v_lshl_add_u32 v13, v13, 23, 0x3c000000
	v_and_b32_e32 v14, 0x80000000, v14
	s_delay_alu instid0(VALU_DEP_1) | instskip(NEXT) | instid1(VALU_DEP_1)
	v_or3_b32 v5, v5, v14, v13
	v_dual_mov_b32 v14, v6 :: v_dual_mov_b32 v13, v5
.LBB243_461:                            ;   in Loop: Header=BB243_353 Depth=1
	s_or_b32 exec_lo, exec_lo, s13
.LBB243_462:                            ;   in Loop: Header=BB243_353 Depth=1
	s_delay_alu instid0(SALU_CYCLE_1)
	s_or_b32 exec_lo, exec_lo, s11
.LBB243_463:                            ;   in Loop: Header=BB243_353 Depth=1
	s_delay_alu instid0(SALU_CYCLE_1) | instskip(SKIP_2) | instid1(VALU_DEP_1)
	s_or_b32 exec_lo, exec_lo, s2
	v_lshrrev_b16 v5, 8, v53
	s_mov_b32 s11, exec_lo
	v_cmpx_ne_u16_e32 0, v5
	s_cbranch_execz .LBB243_471
; %bb.464:                              ;   in Loop: Header=BB243_353 Depth=1
	v_dual_mov_b32 v16, s5 :: v_dual_mov_b32 v15, s4
	s_mov_b32 s13, exec_lo
	v_cmpx_ne_u16_e32 0x80, v5
	s_cbranch_execz .LBB243_470
; %bb.465:                              ;   in Loop: Header=BB243_353 Depth=1
	s_mov_b32 s2, s4
	v_dual_mov_b32 v16, s3 :: v_dual_and_b32 v5, 0xffff, v5
	v_mov_b32_e32 v15, s2
	s_mov_b32 s2, exec_lo
	s_delay_alu instid0(VALU_DEP_2) | instskip(NEXT) | instid1(VALU_DEP_1)
	v_and_b32_e32 v17, 0x7f, v5
	v_cmpx_ne_u32_e32 0x7f, v17
	s_cbranch_execz .LBB243_469
; %bb.466:                              ;   in Loop: Header=BB243_353 Depth=1
	v_and_b32_e32 v5, 7, v5
	v_lshrrev_b32_e32 v15, 3, v17
	s_mov_b32 s14, exec_lo
	v_cmpx_gt_u32_e32 8, v17
; %bb.467:                              ;   in Loop: Header=BB243_353 Depth=1
	s_delay_alu instid0(VALU_DEP_3) | instskip(NEXT) | instid1(VALU_DEP_1)
	v_clz_i32_u32_e32 v15, v5
	v_min_u32_e32 v15, 32, v15
	s_delay_alu instid0(VALU_DEP_1) | instskip(SKIP_1) | instid1(VALU_DEP_2)
	v_subrev_nc_u32_e32 v16, 28, v15
	v_sub_nc_u32_e32 v15, 29, v15
	v_lshlrev_b64 v[16:17], v16, v[5:6]
	s_delay_alu instid0(VALU_DEP_1)
	v_and_b32_e32 v5, 7, v16
; %bb.468:                              ;   in Loop: Header=BB243_353 Depth=1
	s_or_b32 exec_lo, exec_lo, s14
	v_lshlrev_b32_e32 v16, 16, v53
	s_delay_alu instid0(VALU_DEP_2) | instskip(SKIP_1) | instid1(VALU_DEP_3)
	v_lshlrev_b32_e32 v5, 20, v5
	v_lshl_add_u32 v15, v15, 23, 0x3c000000
	v_and_b32_e32 v16, 0x80000000, v16
	s_delay_alu instid0(VALU_DEP_1)
	v_or3_b32 v16, v5, v16, v15
	v_mov_b32_e32 v15, v6
.LBB243_469:                            ;   in Loop: Header=BB243_353 Depth=1
	s_or_b32 exec_lo, exec_lo, s2
.LBB243_470:                            ;   in Loop: Header=BB243_353 Depth=1
	s_delay_alu instid0(SALU_CYCLE_1)
	s_or_b32 exec_lo, exec_lo, s13
.LBB243_471:                            ;   in Loop: Header=BB243_353 Depth=1
	s_delay_alu instid0(SALU_CYCLE_1) | instskip(SKIP_4) | instid1(VALU_DEP_2)
	s_or_b32 exec_lo, exec_lo, s11
	v_mov_b32_e32 v19, 0
	v_lshrrev_b32_e32 v54, 16, v53
	v_mov_b32_e32 v20, 0
	s_mov_b32 s2, exec_lo
	v_and_b32_e32 v5, 0xff, v54
	s_delay_alu instid0(VALU_DEP_2) | instskip(NEXT) | instid1(VALU_DEP_2)
	v_dual_mov_b32 v17, v19 :: v_dual_mov_b32 v18, v20
	v_cmpx_ne_u16_e32 0, v5
	s_cbranch_execz .LBB243_479
; %bb.472:                              ;   in Loop: Header=BB243_353 Depth=1
	v_bfrev_b32_e32 v17, 1
	v_mov_b32_e32 v18, 0
	s_mov_b32 s11, exec_lo
	v_cmpx_ne_u16_e32 0x80, v5
	s_cbranch_execz .LBB243_478
; %bb.473:                              ;   in Loop: Header=BB243_353 Depth=1
	v_mov_b32_e32 v17, 0x7f800001
	v_bfe_u32 v55, v53, 16, 7
	v_mov_b32_e32 v18, 0
	s_mov_b32 s13, exec_lo
	s_delay_alu instid0(VALU_DEP_2)
	v_cmpx_ne_u32_e32 0x7f, v55
	s_cbranch_execz .LBB243_477
; %bb.474:                              ;   in Loop: Header=BB243_353 Depth=1
	v_and_b32_e32 v5, 7, v54
	v_lshrrev_b32_e32 v17, 3, v55
	s_mov_b32 s14, exec_lo
	v_cmpx_gt_u32_e32 8, v55
; %bb.475:                              ;   in Loop: Header=BB243_353 Depth=1
	s_delay_alu instid0(VALU_DEP_3) | instskip(NEXT) | instid1(VALU_DEP_1)
	v_clz_i32_u32_e32 v17, v5
	v_min_u32_e32 v17, 32, v17
	s_delay_alu instid0(VALU_DEP_1) | instskip(SKIP_1) | instid1(VALU_DEP_2)
	v_subrev_nc_u32_e32 v18, 28, v17
	v_sub_nc_u32_e32 v17, 29, v17
	v_lshlrev_b64 v[55:56], v18, v[5:6]
	s_delay_alu instid0(VALU_DEP_1)
	v_and_b32_e32 v5, 7, v55
; %bb.476:                              ;   in Loop: Header=BB243_353 Depth=1
	s_or_b32 exec_lo, exec_lo, s14
	v_lshlrev_b32_e32 v18, 24, v54
	s_delay_alu instid0(VALU_DEP_2) | instskip(SKIP_1) | instid1(VALU_DEP_3)
	v_lshlrev_b32_e32 v5, 20, v5
	v_lshl_add_u32 v17, v17, 23, 0x3c000000
	v_and_b32_e32 v18, 0x80000000, v18
	s_delay_alu instid0(VALU_DEP_1) | instskip(NEXT) | instid1(VALU_DEP_1)
	v_or3_b32 v5, v5, v18, v17
	v_dual_mov_b32 v18, v6 :: v_dual_mov_b32 v17, v5
.LBB243_477:                            ;   in Loop: Header=BB243_353 Depth=1
	s_or_b32 exec_lo, exec_lo, s13
.LBB243_478:                            ;   in Loop: Header=BB243_353 Depth=1
	s_delay_alu instid0(SALU_CYCLE_1)
	s_or_b32 exec_lo, exec_lo, s11
.LBB243_479:                            ;   in Loop: Header=BB243_353 Depth=1
	s_delay_alu instid0(SALU_CYCLE_1) | instskip(NEXT) | instid1(SALU_CYCLE_1)
	s_or_b32 exec_lo, exec_lo, s2
	s_mov_b32 s11, exec_lo
	v_cmpx_lt_u32_e32 0xffffff, v53
	s_cbranch_execz .LBB243_487
; %bb.480:                              ;   in Loop: Header=BB243_353 Depth=1
	v_lshrrev_b32_e32 v54, 24, v53
	v_dual_mov_b32 v20, s5 :: v_dual_mov_b32 v19, s4
	s_mov_b32 s13, exec_lo
	s_delay_alu instid0(VALU_DEP_2)
	v_cmpx_ne_u32_e32 0x80, v54
	s_cbranch_execz .LBB243_486
; %bb.481:                              ;   in Loop: Header=BB243_353 Depth=1
	s_mov_b32 s2, s4
	v_bfe_u32 v53, v53, 24, 7
	v_dual_mov_b32 v20, s3 :: v_dual_mov_b32 v19, s2
	s_mov_b32 s2, exec_lo
	s_delay_alu instid0(VALU_DEP_2)
	v_cmpx_ne_u32_e32 0x7f, v53
	s_cbranch_execz .LBB243_485
; %bb.482:                              ;   in Loop: Header=BB243_353 Depth=1
	v_and_b32_e32 v5, 7, v54
	v_lshrrev_b32_e32 v19, 3, v53
	s_mov_b32 s14, exec_lo
	v_cmpx_gt_u32_e32 8, v53
; %bb.483:                              ;   in Loop: Header=BB243_353 Depth=1
	s_delay_alu instid0(VALU_DEP_3) | instskip(NEXT) | instid1(VALU_DEP_1)
	v_clz_i32_u32_e32 v19, v5
	v_min_u32_e32 v19, 32, v19
	s_delay_alu instid0(VALU_DEP_1) | instskip(SKIP_1) | instid1(VALU_DEP_2)
	v_subrev_nc_u32_e32 v20, 28, v19
	v_sub_nc_u32_e32 v19, 29, v19
	v_lshlrev_b64 v[55:56], v20, v[5:6]
	s_delay_alu instid0(VALU_DEP_1)
	v_and_b32_e32 v5, 7, v55
; %bb.484:                              ;   in Loop: Header=BB243_353 Depth=1
	s_or_b32 exec_lo, exec_lo, s14
	v_lshlrev_b32_e32 v20, 24, v54
	s_delay_alu instid0(VALU_DEP_2) | instskip(SKIP_1) | instid1(VALU_DEP_3)
	v_lshlrev_b32_e32 v5, 20, v5
	v_lshl_add_u32 v19, v19, 23, 0x3c000000
	v_and_b32_e32 v20, 0x80000000, v20
	s_delay_alu instid0(VALU_DEP_1)
	v_or3_b32 v20, v5, v20, v19
	v_mov_b32_e32 v19, v6
.LBB243_485:                            ;   in Loop: Header=BB243_353 Depth=1
	s_or_b32 exec_lo, exec_lo, s2
.LBB243_486:                            ;   in Loop: Header=BB243_353 Depth=1
	s_delay_alu instid0(SALU_CYCLE_1)
	s_or_b32 exec_lo, exec_lo, s13
.LBB243_487:                            ;   in Loop: Header=BB243_353 Depth=1
	s_delay_alu instid0(SALU_CYCLE_1) | instskip(SKIP_4) | instid1(VALU_DEP_4)
	s_or_b32 exec_lo, exec_lo, s11
	v_or_b32_e32 v5, v16, v14
	v_or_b32_e32 v13, v15, v13
	;; [unrolled: 1-line block ×4, first 2 shown]
	v_mul_f32_e32 v56, s9, v5
	s_delay_alu instid0(VALU_DEP_4) | instskip(NEXT) | instid1(VALU_DEP_3)
	v_mul_f32_e32 v55, s7, v13
	v_dual_mul_f32 v53, s9, v14 :: v_dual_mul_f32 v54, s7, v15
	s_and_saveexec_b32 s2, vcc_lo
; %bb.488:                              ;   in Loop: Header=BB243_353 Depth=1
	v_cmp_gt_i32_e64 s0, s33, v42
	s_delay_alu instid0(VALU_DEP_1) | instskip(SKIP_1) | instid1(VALU_DEP_1)
	v_cndmask_b32_e64 v55, 0, v55, s0
	v_cmp_gt_i32_e64 s0, s33, v44
	v_cndmask_b32_e64 v56, 0, v56, s0
	v_cmp_gt_i32_e64 s0, s33, v43
	s_delay_alu instid0(VALU_DEP_1) | instskip(SKIP_1) | instid1(VALU_DEP_1)
	v_cndmask_b32_e64 v54, 0, v54, s0
	v_cmp_gt_i32_e64 s0, s33, v35
	v_cndmask_b32_e64 v53, 0, v53, s0
; %bb.489:                              ;   in Loop: Header=BB243_353 Depth=1
	s_or_b32 exec_lo, exec_lo, s2
	global_load_b32 v57, v[11:12], off offset:512
	v_mov_b32_e32 v15, 0
	v_mov_b32_e32 v16, 0
	s_mov_b32 s2, exec_lo
	s_waitcnt vmcnt(0)
	v_and_b32_e32 v5, 0xff, v57
	s_delay_alu instid0(VALU_DEP_2) | instskip(NEXT) | instid1(VALU_DEP_2)
	v_dual_mov_b32 v13, v15 :: v_dual_mov_b32 v14, v16
	v_cmpx_ne_u16_e32 0, v5
	s_cbranch_execz .LBB243_497
; %bb.490:                              ;   in Loop: Header=BB243_353 Depth=1
	v_bfrev_b32_e32 v13, 1
	v_mov_b32_e32 v14, 0
	s_mov_b32 s11, exec_lo
	v_cmpx_ne_u16_e32 0x80, v5
	s_cbranch_execz .LBB243_496
; %bb.491:                              ;   in Loop: Header=BB243_353 Depth=1
	v_mov_b32_e32 v13, 0x7f800001
	v_dual_mov_b32 v14, 0 :: v_dual_and_b32 v17, 0x7f, v57
	s_mov_b32 s13, exec_lo
	s_delay_alu instid0(VALU_DEP_1)
	v_cmpx_ne_u32_e32 0x7f, v17
	s_cbranch_execz .LBB243_495
; %bb.492:                              ;   in Loop: Header=BB243_353 Depth=1
	v_and_b32_e32 v5, 7, v57
	v_lshrrev_b32_e32 v13, 3, v17
	s_mov_b32 s14, exec_lo
	v_cmpx_gt_u32_e32 8, v17
; %bb.493:                              ;   in Loop: Header=BB243_353 Depth=1
	s_delay_alu instid0(VALU_DEP_3) | instskip(NEXT) | instid1(VALU_DEP_1)
	v_clz_i32_u32_e32 v13, v5
	v_min_u32_e32 v13, 32, v13
	s_delay_alu instid0(VALU_DEP_1) | instskip(SKIP_1) | instid1(VALU_DEP_2)
	v_subrev_nc_u32_e32 v14, 28, v13
	v_sub_nc_u32_e32 v13, 29, v13
	v_lshlrev_b64 v[17:18], v14, v[5:6]
	s_delay_alu instid0(VALU_DEP_1)
	v_and_b32_e32 v5, 7, v17
; %bb.494:                              ;   in Loop: Header=BB243_353 Depth=1
	s_or_b32 exec_lo, exec_lo, s14
	v_lshlrev_b32_e32 v14, 24, v57
	s_delay_alu instid0(VALU_DEP_2) | instskip(SKIP_1) | instid1(VALU_DEP_3)
	v_lshlrev_b32_e32 v5, 20, v5
	v_lshl_add_u32 v13, v13, 23, 0x3c000000
	v_and_b32_e32 v14, 0x80000000, v14
	s_delay_alu instid0(VALU_DEP_1) | instskip(NEXT) | instid1(VALU_DEP_1)
	v_or3_b32 v5, v5, v14, v13
	v_dual_mov_b32 v14, v6 :: v_dual_mov_b32 v13, v5
.LBB243_495:                            ;   in Loop: Header=BB243_353 Depth=1
	s_or_b32 exec_lo, exec_lo, s13
.LBB243_496:                            ;   in Loop: Header=BB243_353 Depth=1
	s_delay_alu instid0(SALU_CYCLE_1)
	s_or_b32 exec_lo, exec_lo, s11
.LBB243_497:                            ;   in Loop: Header=BB243_353 Depth=1
	s_delay_alu instid0(SALU_CYCLE_1) | instskip(SKIP_2) | instid1(VALU_DEP_1)
	s_or_b32 exec_lo, exec_lo, s2
	v_lshrrev_b16 v5, 8, v57
	s_mov_b32 s11, exec_lo
	v_cmpx_ne_u16_e32 0, v5
	s_cbranch_execz .LBB243_505
; %bb.498:                              ;   in Loop: Header=BB243_353 Depth=1
	v_dual_mov_b32 v16, s5 :: v_dual_mov_b32 v15, s4
	s_mov_b32 s13, exec_lo
	v_cmpx_ne_u16_e32 0x80, v5
	s_cbranch_execz .LBB243_504
; %bb.499:                              ;   in Loop: Header=BB243_353 Depth=1
	s_mov_b32 s2, s4
	v_dual_mov_b32 v16, s3 :: v_dual_and_b32 v5, 0xffff, v5
	v_mov_b32_e32 v15, s2
	s_mov_b32 s2, exec_lo
	s_delay_alu instid0(VALU_DEP_2) | instskip(NEXT) | instid1(VALU_DEP_1)
	v_and_b32_e32 v17, 0x7f, v5
	v_cmpx_ne_u32_e32 0x7f, v17
	s_cbranch_execz .LBB243_503
; %bb.500:                              ;   in Loop: Header=BB243_353 Depth=1
	v_and_b32_e32 v5, 7, v5
	v_lshrrev_b32_e32 v15, 3, v17
	s_mov_b32 s14, exec_lo
	v_cmpx_gt_u32_e32 8, v17
; %bb.501:                              ;   in Loop: Header=BB243_353 Depth=1
	s_delay_alu instid0(VALU_DEP_3) | instskip(NEXT) | instid1(VALU_DEP_1)
	v_clz_i32_u32_e32 v15, v5
	v_min_u32_e32 v15, 32, v15
	s_delay_alu instid0(VALU_DEP_1) | instskip(SKIP_1) | instid1(VALU_DEP_2)
	v_subrev_nc_u32_e32 v16, 28, v15
	v_sub_nc_u32_e32 v15, 29, v15
	v_lshlrev_b64 v[16:17], v16, v[5:6]
	s_delay_alu instid0(VALU_DEP_1)
	v_and_b32_e32 v5, 7, v16
; %bb.502:                              ;   in Loop: Header=BB243_353 Depth=1
	s_or_b32 exec_lo, exec_lo, s14
	v_lshlrev_b32_e32 v16, 16, v57
	s_delay_alu instid0(VALU_DEP_2) | instskip(SKIP_1) | instid1(VALU_DEP_3)
	v_lshlrev_b32_e32 v5, 20, v5
	v_lshl_add_u32 v15, v15, 23, 0x3c000000
	v_and_b32_e32 v16, 0x80000000, v16
	s_delay_alu instid0(VALU_DEP_1)
	v_or3_b32 v16, v5, v16, v15
	v_mov_b32_e32 v15, v6
.LBB243_503:                            ;   in Loop: Header=BB243_353 Depth=1
	s_or_b32 exec_lo, exec_lo, s2
.LBB243_504:                            ;   in Loop: Header=BB243_353 Depth=1
	s_delay_alu instid0(SALU_CYCLE_1)
	s_or_b32 exec_lo, exec_lo, s13
.LBB243_505:                            ;   in Loop: Header=BB243_353 Depth=1
	s_delay_alu instid0(SALU_CYCLE_1) | instskip(SKIP_4) | instid1(VALU_DEP_2)
	s_or_b32 exec_lo, exec_lo, s11
	v_mov_b32_e32 v19, 0
	v_lshrrev_b32_e32 v58, 16, v57
	v_mov_b32_e32 v20, 0
	s_mov_b32 s2, exec_lo
	v_and_b32_e32 v5, 0xff, v58
	s_delay_alu instid0(VALU_DEP_2) | instskip(NEXT) | instid1(VALU_DEP_2)
	v_dual_mov_b32 v17, v19 :: v_dual_mov_b32 v18, v20
	v_cmpx_ne_u16_e32 0, v5
	s_cbranch_execz .LBB243_513
; %bb.506:                              ;   in Loop: Header=BB243_353 Depth=1
	v_bfrev_b32_e32 v17, 1
	v_mov_b32_e32 v18, 0
	s_mov_b32 s11, exec_lo
	v_cmpx_ne_u16_e32 0x80, v5
	s_cbranch_execz .LBB243_512
; %bb.507:                              ;   in Loop: Header=BB243_353 Depth=1
	v_mov_b32_e32 v17, 0x7f800001
	v_bfe_u32 v59, v57, 16, 7
	v_mov_b32_e32 v18, 0
	s_mov_b32 s13, exec_lo
	s_delay_alu instid0(VALU_DEP_2)
	v_cmpx_ne_u32_e32 0x7f, v59
	s_cbranch_execz .LBB243_511
; %bb.508:                              ;   in Loop: Header=BB243_353 Depth=1
	v_and_b32_e32 v5, 7, v58
	v_lshrrev_b32_e32 v17, 3, v59
	s_mov_b32 s14, exec_lo
	v_cmpx_gt_u32_e32 8, v59
; %bb.509:                              ;   in Loop: Header=BB243_353 Depth=1
	s_delay_alu instid0(VALU_DEP_3) | instskip(NEXT) | instid1(VALU_DEP_1)
	v_clz_i32_u32_e32 v17, v5
	v_min_u32_e32 v17, 32, v17
	s_delay_alu instid0(VALU_DEP_1) | instskip(SKIP_1) | instid1(VALU_DEP_2)
	v_subrev_nc_u32_e32 v18, 28, v17
	v_sub_nc_u32_e32 v17, 29, v17
	v_lshlrev_b64 v[59:60], v18, v[5:6]
	s_delay_alu instid0(VALU_DEP_1)
	v_and_b32_e32 v5, 7, v59
; %bb.510:                              ;   in Loop: Header=BB243_353 Depth=1
	s_or_b32 exec_lo, exec_lo, s14
	v_lshlrev_b32_e32 v18, 24, v58
	s_delay_alu instid0(VALU_DEP_2) | instskip(SKIP_1) | instid1(VALU_DEP_3)
	v_lshlrev_b32_e32 v5, 20, v5
	v_lshl_add_u32 v17, v17, 23, 0x3c000000
	v_and_b32_e32 v18, 0x80000000, v18
	s_delay_alu instid0(VALU_DEP_1) | instskip(NEXT) | instid1(VALU_DEP_1)
	v_or3_b32 v5, v5, v18, v17
	v_dual_mov_b32 v18, v6 :: v_dual_mov_b32 v17, v5
.LBB243_511:                            ;   in Loop: Header=BB243_353 Depth=1
	s_or_b32 exec_lo, exec_lo, s13
.LBB243_512:                            ;   in Loop: Header=BB243_353 Depth=1
	s_delay_alu instid0(SALU_CYCLE_1)
	s_or_b32 exec_lo, exec_lo, s11
.LBB243_513:                            ;   in Loop: Header=BB243_353 Depth=1
	s_delay_alu instid0(SALU_CYCLE_1) | instskip(NEXT) | instid1(SALU_CYCLE_1)
	s_or_b32 exec_lo, exec_lo, s2
	s_mov_b32 s11, exec_lo
	v_cmpx_lt_u32_e32 0xffffff, v57
	s_cbranch_execz .LBB243_521
; %bb.514:                              ;   in Loop: Header=BB243_353 Depth=1
	v_lshrrev_b32_e32 v58, 24, v57
	v_dual_mov_b32 v20, s5 :: v_dual_mov_b32 v19, s4
	s_mov_b32 s13, exec_lo
	s_delay_alu instid0(VALU_DEP_2)
	v_cmpx_ne_u32_e32 0x80, v58
	s_cbranch_execz .LBB243_520
; %bb.515:                              ;   in Loop: Header=BB243_353 Depth=1
	s_mov_b32 s2, s4
	v_bfe_u32 v57, v57, 24, 7
	v_dual_mov_b32 v20, s3 :: v_dual_mov_b32 v19, s2
	s_mov_b32 s2, exec_lo
	s_delay_alu instid0(VALU_DEP_2)
	v_cmpx_ne_u32_e32 0x7f, v57
	s_cbranch_execz .LBB243_519
; %bb.516:                              ;   in Loop: Header=BB243_353 Depth=1
	v_and_b32_e32 v5, 7, v58
	v_lshrrev_b32_e32 v19, 3, v57
	s_mov_b32 s14, exec_lo
	v_cmpx_gt_u32_e32 8, v57
; %bb.517:                              ;   in Loop: Header=BB243_353 Depth=1
	s_delay_alu instid0(VALU_DEP_3) | instskip(NEXT) | instid1(VALU_DEP_1)
	v_clz_i32_u32_e32 v19, v5
	v_min_u32_e32 v19, 32, v19
	s_delay_alu instid0(VALU_DEP_1) | instskip(SKIP_1) | instid1(VALU_DEP_2)
	v_subrev_nc_u32_e32 v20, 28, v19
	v_sub_nc_u32_e32 v19, 29, v19
	v_lshlrev_b64 v[59:60], v20, v[5:6]
	s_delay_alu instid0(VALU_DEP_1)
	v_and_b32_e32 v5, 7, v59
; %bb.518:                              ;   in Loop: Header=BB243_353 Depth=1
	s_or_b32 exec_lo, exec_lo, s14
	v_lshlrev_b32_e32 v20, 24, v58
	s_delay_alu instid0(VALU_DEP_2) | instskip(SKIP_1) | instid1(VALU_DEP_3)
	v_lshlrev_b32_e32 v5, 20, v5
	v_lshl_add_u32 v19, v19, 23, 0x3c000000
	v_and_b32_e32 v20, 0x80000000, v20
	s_delay_alu instid0(VALU_DEP_1)
	v_or3_b32 v20, v5, v20, v19
	v_mov_b32_e32 v19, v6
.LBB243_519:                            ;   in Loop: Header=BB243_353 Depth=1
	s_or_b32 exec_lo, exec_lo, s2
.LBB243_520:                            ;   in Loop: Header=BB243_353 Depth=1
	s_delay_alu instid0(SALU_CYCLE_1)
	s_or_b32 exec_lo, exec_lo, s13
.LBB243_521:                            ;   in Loop: Header=BB243_353 Depth=1
	s_delay_alu instid0(SALU_CYCLE_1) | instskip(SKIP_4) | instid1(VALU_DEP_4)
	s_or_b32 exec_lo, exec_lo, s11
	v_or_b32_e32 v5, v16, v14
	v_or_b32_e32 v13, v15, v13
	;; [unrolled: 1-line block ×4, first 2 shown]
	v_mul_f32_e32 v60, s9, v5
	s_delay_alu instid0(VALU_DEP_4) | instskip(NEXT) | instid1(VALU_DEP_3)
	v_mul_f32_e32 v59, s7, v13
	v_dual_mul_f32 v57, s9, v14 :: v_dual_mul_f32 v58, s7, v15
	s_and_saveexec_b32 s2, vcc_lo
; %bb.522:                              ;   in Loop: Header=BB243_353 Depth=1
	v_cmp_gt_i32_e64 s0, s33, v42
	s_delay_alu instid0(VALU_DEP_1) | instskip(SKIP_1) | instid1(VALU_DEP_1)
	v_cndmask_b32_e64 v59, 0, v59, s0
	v_cmp_gt_i32_e64 s0, s33, v44
	v_cndmask_b32_e64 v60, 0, v60, s0
	v_cmp_gt_i32_e64 s0, s33, v43
	s_delay_alu instid0(VALU_DEP_1) | instskip(SKIP_1) | instid1(VALU_DEP_1)
	v_cndmask_b32_e64 v58, 0, v58, s0
	v_cmp_gt_i32_e64 s0, s33, v35
	v_cndmask_b32_e64 v57, 0, v57, s0
; %bb.523:                              ;   in Loop: Header=BB243_353 Depth=1
	s_or_b32 exec_lo, exec_lo, s2
	global_load_b32 v61, v[11:12], off offset:640
	v_mov_b32_e32 v15, 0
	v_mov_b32_e32 v16, 0
	s_mov_b32 s2, exec_lo
	s_waitcnt vmcnt(0)
	v_and_b32_e32 v5, 0xff, v61
	s_delay_alu instid0(VALU_DEP_2) | instskip(NEXT) | instid1(VALU_DEP_2)
	v_dual_mov_b32 v13, v15 :: v_dual_mov_b32 v14, v16
	v_cmpx_ne_u16_e32 0, v5
	s_cbranch_execz .LBB243_531
; %bb.524:                              ;   in Loop: Header=BB243_353 Depth=1
	v_bfrev_b32_e32 v13, 1
	v_mov_b32_e32 v14, 0
	s_mov_b32 s11, exec_lo
	v_cmpx_ne_u16_e32 0x80, v5
	s_cbranch_execz .LBB243_530
; %bb.525:                              ;   in Loop: Header=BB243_353 Depth=1
	v_mov_b32_e32 v13, 0x7f800001
	v_dual_mov_b32 v14, 0 :: v_dual_and_b32 v17, 0x7f, v61
	s_mov_b32 s13, exec_lo
	s_delay_alu instid0(VALU_DEP_1)
	v_cmpx_ne_u32_e32 0x7f, v17
	s_cbranch_execz .LBB243_529
; %bb.526:                              ;   in Loop: Header=BB243_353 Depth=1
	v_and_b32_e32 v5, 7, v61
	v_lshrrev_b32_e32 v13, 3, v17
	s_mov_b32 s14, exec_lo
	v_cmpx_gt_u32_e32 8, v17
; %bb.527:                              ;   in Loop: Header=BB243_353 Depth=1
	s_delay_alu instid0(VALU_DEP_3) | instskip(NEXT) | instid1(VALU_DEP_1)
	v_clz_i32_u32_e32 v13, v5
	v_min_u32_e32 v13, 32, v13
	s_delay_alu instid0(VALU_DEP_1) | instskip(SKIP_1) | instid1(VALU_DEP_2)
	v_subrev_nc_u32_e32 v14, 28, v13
	v_sub_nc_u32_e32 v13, 29, v13
	v_lshlrev_b64 v[17:18], v14, v[5:6]
	s_delay_alu instid0(VALU_DEP_1)
	v_and_b32_e32 v5, 7, v17
; %bb.528:                              ;   in Loop: Header=BB243_353 Depth=1
	s_or_b32 exec_lo, exec_lo, s14
	v_lshlrev_b32_e32 v14, 24, v61
	s_delay_alu instid0(VALU_DEP_2) | instskip(SKIP_1) | instid1(VALU_DEP_3)
	v_lshlrev_b32_e32 v5, 20, v5
	v_lshl_add_u32 v13, v13, 23, 0x3c000000
	v_and_b32_e32 v14, 0x80000000, v14
	s_delay_alu instid0(VALU_DEP_1) | instskip(NEXT) | instid1(VALU_DEP_1)
	v_or3_b32 v5, v5, v14, v13
	v_dual_mov_b32 v14, v6 :: v_dual_mov_b32 v13, v5
.LBB243_529:                            ;   in Loop: Header=BB243_353 Depth=1
	s_or_b32 exec_lo, exec_lo, s13
.LBB243_530:                            ;   in Loop: Header=BB243_353 Depth=1
	s_delay_alu instid0(SALU_CYCLE_1)
	s_or_b32 exec_lo, exec_lo, s11
.LBB243_531:                            ;   in Loop: Header=BB243_353 Depth=1
	s_delay_alu instid0(SALU_CYCLE_1) | instskip(SKIP_2) | instid1(VALU_DEP_1)
	s_or_b32 exec_lo, exec_lo, s2
	v_lshrrev_b16 v5, 8, v61
	s_mov_b32 s11, exec_lo
	v_cmpx_ne_u16_e32 0, v5
	s_cbranch_execz .LBB243_539
; %bb.532:                              ;   in Loop: Header=BB243_353 Depth=1
	v_dual_mov_b32 v16, s5 :: v_dual_mov_b32 v15, s4
	s_mov_b32 s13, exec_lo
	v_cmpx_ne_u16_e32 0x80, v5
	s_cbranch_execz .LBB243_538
; %bb.533:                              ;   in Loop: Header=BB243_353 Depth=1
	s_mov_b32 s2, s4
	v_dual_mov_b32 v16, s3 :: v_dual_and_b32 v5, 0xffff, v5
	v_mov_b32_e32 v15, s2
	s_mov_b32 s2, exec_lo
	s_delay_alu instid0(VALU_DEP_2) | instskip(NEXT) | instid1(VALU_DEP_1)
	v_and_b32_e32 v17, 0x7f, v5
	v_cmpx_ne_u32_e32 0x7f, v17
	s_cbranch_execz .LBB243_537
; %bb.534:                              ;   in Loop: Header=BB243_353 Depth=1
	v_and_b32_e32 v5, 7, v5
	v_lshrrev_b32_e32 v15, 3, v17
	s_mov_b32 s14, exec_lo
	v_cmpx_gt_u32_e32 8, v17
; %bb.535:                              ;   in Loop: Header=BB243_353 Depth=1
	s_delay_alu instid0(VALU_DEP_3) | instskip(NEXT) | instid1(VALU_DEP_1)
	v_clz_i32_u32_e32 v15, v5
	v_min_u32_e32 v15, 32, v15
	s_delay_alu instid0(VALU_DEP_1) | instskip(SKIP_1) | instid1(VALU_DEP_2)
	v_subrev_nc_u32_e32 v16, 28, v15
	v_sub_nc_u32_e32 v15, 29, v15
	v_lshlrev_b64 v[16:17], v16, v[5:6]
	s_delay_alu instid0(VALU_DEP_1)
	v_and_b32_e32 v5, 7, v16
; %bb.536:                              ;   in Loop: Header=BB243_353 Depth=1
	s_or_b32 exec_lo, exec_lo, s14
	v_lshlrev_b32_e32 v16, 16, v61
	s_delay_alu instid0(VALU_DEP_2) | instskip(SKIP_1) | instid1(VALU_DEP_3)
	v_lshlrev_b32_e32 v5, 20, v5
	v_lshl_add_u32 v15, v15, 23, 0x3c000000
	v_and_b32_e32 v16, 0x80000000, v16
	s_delay_alu instid0(VALU_DEP_1)
	v_or3_b32 v16, v5, v16, v15
	v_mov_b32_e32 v15, v6
.LBB243_537:                            ;   in Loop: Header=BB243_353 Depth=1
	s_or_b32 exec_lo, exec_lo, s2
.LBB243_538:                            ;   in Loop: Header=BB243_353 Depth=1
	s_delay_alu instid0(SALU_CYCLE_1)
	s_or_b32 exec_lo, exec_lo, s13
.LBB243_539:                            ;   in Loop: Header=BB243_353 Depth=1
	s_delay_alu instid0(SALU_CYCLE_1) | instskip(SKIP_4) | instid1(VALU_DEP_2)
	s_or_b32 exec_lo, exec_lo, s11
	v_mov_b32_e32 v19, 0
	v_lshrrev_b32_e32 v62, 16, v61
	v_mov_b32_e32 v20, 0
	s_mov_b32 s2, exec_lo
	v_and_b32_e32 v5, 0xff, v62
	s_delay_alu instid0(VALU_DEP_2) | instskip(NEXT) | instid1(VALU_DEP_2)
	v_dual_mov_b32 v17, v19 :: v_dual_mov_b32 v18, v20
	v_cmpx_ne_u16_e32 0, v5
	s_cbranch_execz .LBB243_547
; %bb.540:                              ;   in Loop: Header=BB243_353 Depth=1
	v_bfrev_b32_e32 v17, 1
	v_mov_b32_e32 v18, 0
	s_mov_b32 s11, exec_lo
	v_cmpx_ne_u16_e32 0x80, v5
	s_cbranch_execz .LBB243_546
; %bb.541:                              ;   in Loop: Header=BB243_353 Depth=1
	v_mov_b32_e32 v17, 0x7f800001
	v_bfe_u32 v63, v61, 16, 7
	v_mov_b32_e32 v18, 0
	s_mov_b32 s13, exec_lo
	s_delay_alu instid0(VALU_DEP_2)
	v_cmpx_ne_u32_e32 0x7f, v63
	s_cbranch_execz .LBB243_545
; %bb.542:                              ;   in Loop: Header=BB243_353 Depth=1
	v_and_b32_e32 v5, 7, v62
	v_lshrrev_b32_e32 v17, 3, v63
	s_mov_b32 s14, exec_lo
	v_cmpx_gt_u32_e32 8, v63
; %bb.543:                              ;   in Loop: Header=BB243_353 Depth=1
	s_delay_alu instid0(VALU_DEP_3) | instskip(NEXT) | instid1(VALU_DEP_1)
	v_clz_i32_u32_e32 v17, v5
	v_min_u32_e32 v17, 32, v17
	s_delay_alu instid0(VALU_DEP_1) | instskip(SKIP_1) | instid1(VALU_DEP_2)
	v_subrev_nc_u32_e32 v18, 28, v17
	v_sub_nc_u32_e32 v17, 29, v17
	v_lshlrev_b64 v[63:64], v18, v[5:6]
	s_delay_alu instid0(VALU_DEP_1)
	v_and_b32_e32 v5, 7, v63
; %bb.544:                              ;   in Loop: Header=BB243_353 Depth=1
	s_or_b32 exec_lo, exec_lo, s14
	v_lshlrev_b32_e32 v18, 24, v62
	s_delay_alu instid0(VALU_DEP_2) | instskip(SKIP_1) | instid1(VALU_DEP_3)
	v_lshlrev_b32_e32 v5, 20, v5
	v_lshl_add_u32 v17, v17, 23, 0x3c000000
	v_and_b32_e32 v18, 0x80000000, v18
	s_delay_alu instid0(VALU_DEP_1) | instskip(NEXT) | instid1(VALU_DEP_1)
	v_or3_b32 v5, v5, v18, v17
	v_dual_mov_b32 v18, v6 :: v_dual_mov_b32 v17, v5
.LBB243_545:                            ;   in Loop: Header=BB243_353 Depth=1
	s_or_b32 exec_lo, exec_lo, s13
.LBB243_546:                            ;   in Loop: Header=BB243_353 Depth=1
	s_delay_alu instid0(SALU_CYCLE_1)
	s_or_b32 exec_lo, exec_lo, s11
.LBB243_547:                            ;   in Loop: Header=BB243_353 Depth=1
	s_delay_alu instid0(SALU_CYCLE_1) | instskip(NEXT) | instid1(SALU_CYCLE_1)
	s_or_b32 exec_lo, exec_lo, s2
	s_mov_b32 s11, exec_lo
	v_cmpx_lt_u32_e32 0xffffff, v61
	s_cbranch_execz .LBB243_555
; %bb.548:                              ;   in Loop: Header=BB243_353 Depth=1
	v_lshrrev_b32_e32 v62, 24, v61
	v_dual_mov_b32 v20, s5 :: v_dual_mov_b32 v19, s4
	s_mov_b32 s13, exec_lo
	s_delay_alu instid0(VALU_DEP_2)
	v_cmpx_ne_u32_e32 0x80, v62
	s_cbranch_execz .LBB243_554
; %bb.549:                              ;   in Loop: Header=BB243_353 Depth=1
	s_mov_b32 s2, s4
	v_bfe_u32 v61, v61, 24, 7
	v_dual_mov_b32 v20, s3 :: v_dual_mov_b32 v19, s2
	s_mov_b32 s2, exec_lo
	s_delay_alu instid0(VALU_DEP_2)
	v_cmpx_ne_u32_e32 0x7f, v61
	s_cbranch_execz .LBB243_553
; %bb.550:                              ;   in Loop: Header=BB243_353 Depth=1
	v_and_b32_e32 v5, 7, v62
	v_lshrrev_b32_e32 v19, 3, v61
	s_mov_b32 s14, exec_lo
	v_cmpx_gt_u32_e32 8, v61
; %bb.551:                              ;   in Loop: Header=BB243_353 Depth=1
	s_delay_alu instid0(VALU_DEP_3) | instskip(NEXT) | instid1(VALU_DEP_1)
	v_clz_i32_u32_e32 v19, v5
	v_min_u32_e32 v19, 32, v19
	s_delay_alu instid0(VALU_DEP_1) | instskip(SKIP_1) | instid1(VALU_DEP_2)
	v_subrev_nc_u32_e32 v20, 28, v19
	v_sub_nc_u32_e32 v19, 29, v19
	v_lshlrev_b64 v[63:64], v20, v[5:6]
	s_delay_alu instid0(VALU_DEP_1)
	v_and_b32_e32 v5, 7, v63
; %bb.552:                              ;   in Loop: Header=BB243_353 Depth=1
	s_or_b32 exec_lo, exec_lo, s14
	v_lshlrev_b32_e32 v20, 24, v62
	s_delay_alu instid0(VALU_DEP_2) | instskip(SKIP_1) | instid1(VALU_DEP_3)
	v_lshlrev_b32_e32 v5, 20, v5
	v_lshl_add_u32 v19, v19, 23, 0x3c000000
	v_and_b32_e32 v20, 0x80000000, v20
	s_delay_alu instid0(VALU_DEP_1)
	v_or3_b32 v20, v5, v20, v19
	v_mov_b32_e32 v19, v6
.LBB243_553:                            ;   in Loop: Header=BB243_353 Depth=1
	s_or_b32 exec_lo, exec_lo, s2
.LBB243_554:                            ;   in Loop: Header=BB243_353 Depth=1
	s_delay_alu instid0(SALU_CYCLE_1)
	s_or_b32 exec_lo, exec_lo, s13
.LBB243_555:                            ;   in Loop: Header=BB243_353 Depth=1
	s_delay_alu instid0(SALU_CYCLE_1) | instskip(SKIP_4) | instid1(VALU_DEP_4)
	s_or_b32 exec_lo, exec_lo, s11
	v_or_b32_e32 v5, v16, v14
	v_or_b32_e32 v13, v15, v13
	;; [unrolled: 1-line block ×4, first 2 shown]
	v_mul_f32_e32 v64, s9, v5
	s_delay_alu instid0(VALU_DEP_4) | instskip(NEXT) | instid1(VALU_DEP_3)
	v_mul_f32_e32 v63, s7, v13
	v_dual_mul_f32 v61, s9, v14 :: v_dual_mul_f32 v62, s7, v15
	s_and_saveexec_b32 s2, vcc_lo
; %bb.556:                              ;   in Loop: Header=BB243_353 Depth=1
	v_cmp_gt_i32_e64 s0, s33, v42
	s_delay_alu instid0(VALU_DEP_1) | instskip(SKIP_1) | instid1(VALU_DEP_1)
	v_cndmask_b32_e64 v63, 0, v63, s0
	v_cmp_gt_i32_e64 s0, s33, v44
	v_cndmask_b32_e64 v64, 0, v64, s0
	v_cmp_gt_i32_e64 s0, s33, v43
	s_delay_alu instid0(VALU_DEP_1) | instskip(SKIP_1) | instid1(VALU_DEP_1)
	v_cndmask_b32_e64 v62, 0, v62, s0
	v_cmp_gt_i32_e64 s0, s33, v35
	v_cndmask_b32_e64 v61, 0, v61, s0
; %bb.557:                              ;   in Loop: Header=BB243_353 Depth=1
	s_or_b32 exec_lo, exec_lo, s2
	global_load_b32 v65, v[11:12], off offset:768
	v_mov_b32_e32 v15, 0
	v_mov_b32_e32 v16, 0
	s_mov_b32 s2, exec_lo
	s_waitcnt vmcnt(0)
	v_and_b32_e32 v5, 0xff, v65
	s_delay_alu instid0(VALU_DEP_2) | instskip(NEXT) | instid1(VALU_DEP_2)
	v_dual_mov_b32 v13, v15 :: v_dual_mov_b32 v14, v16
	v_cmpx_ne_u16_e32 0, v5
	s_cbranch_execz .LBB243_565
; %bb.558:                              ;   in Loop: Header=BB243_353 Depth=1
	v_bfrev_b32_e32 v13, 1
	v_mov_b32_e32 v14, 0
	s_mov_b32 s11, exec_lo
	v_cmpx_ne_u16_e32 0x80, v5
	s_cbranch_execz .LBB243_564
; %bb.559:                              ;   in Loop: Header=BB243_353 Depth=1
	v_mov_b32_e32 v13, 0x7f800001
	v_dual_mov_b32 v14, 0 :: v_dual_and_b32 v17, 0x7f, v65
	s_mov_b32 s13, exec_lo
	s_delay_alu instid0(VALU_DEP_1)
	v_cmpx_ne_u32_e32 0x7f, v17
	s_cbranch_execz .LBB243_563
; %bb.560:                              ;   in Loop: Header=BB243_353 Depth=1
	v_and_b32_e32 v5, 7, v65
	v_lshrrev_b32_e32 v13, 3, v17
	s_mov_b32 s14, exec_lo
	v_cmpx_gt_u32_e32 8, v17
; %bb.561:                              ;   in Loop: Header=BB243_353 Depth=1
	s_delay_alu instid0(VALU_DEP_3) | instskip(NEXT) | instid1(VALU_DEP_1)
	v_clz_i32_u32_e32 v13, v5
	v_min_u32_e32 v13, 32, v13
	s_delay_alu instid0(VALU_DEP_1) | instskip(SKIP_1) | instid1(VALU_DEP_2)
	v_subrev_nc_u32_e32 v14, 28, v13
	v_sub_nc_u32_e32 v13, 29, v13
	v_lshlrev_b64 v[17:18], v14, v[5:6]
	s_delay_alu instid0(VALU_DEP_1)
	v_and_b32_e32 v5, 7, v17
; %bb.562:                              ;   in Loop: Header=BB243_353 Depth=1
	s_or_b32 exec_lo, exec_lo, s14
	v_lshlrev_b32_e32 v14, 24, v65
	s_delay_alu instid0(VALU_DEP_2) | instskip(SKIP_1) | instid1(VALU_DEP_3)
	v_lshlrev_b32_e32 v5, 20, v5
	v_lshl_add_u32 v13, v13, 23, 0x3c000000
	v_and_b32_e32 v14, 0x80000000, v14
	s_delay_alu instid0(VALU_DEP_1) | instskip(NEXT) | instid1(VALU_DEP_1)
	v_or3_b32 v5, v5, v14, v13
	v_dual_mov_b32 v14, v6 :: v_dual_mov_b32 v13, v5
.LBB243_563:                            ;   in Loop: Header=BB243_353 Depth=1
	s_or_b32 exec_lo, exec_lo, s13
.LBB243_564:                            ;   in Loop: Header=BB243_353 Depth=1
	s_delay_alu instid0(SALU_CYCLE_1)
	s_or_b32 exec_lo, exec_lo, s11
.LBB243_565:                            ;   in Loop: Header=BB243_353 Depth=1
	s_delay_alu instid0(SALU_CYCLE_1) | instskip(SKIP_2) | instid1(VALU_DEP_1)
	s_or_b32 exec_lo, exec_lo, s2
	v_lshrrev_b16 v5, 8, v65
	s_mov_b32 s11, exec_lo
	v_cmpx_ne_u16_e32 0, v5
	s_cbranch_execz .LBB243_573
; %bb.566:                              ;   in Loop: Header=BB243_353 Depth=1
	v_dual_mov_b32 v16, s5 :: v_dual_mov_b32 v15, s4
	s_mov_b32 s13, exec_lo
	v_cmpx_ne_u16_e32 0x80, v5
	s_cbranch_execz .LBB243_572
; %bb.567:                              ;   in Loop: Header=BB243_353 Depth=1
	s_mov_b32 s2, s4
	v_dual_mov_b32 v16, s3 :: v_dual_and_b32 v5, 0xffff, v5
	v_mov_b32_e32 v15, s2
	s_mov_b32 s2, exec_lo
	s_delay_alu instid0(VALU_DEP_2) | instskip(NEXT) | instid1(VALU_DEP_1)
	v_and_b32_e32 v17, 0x7f, v5
	v_cmpx_ne_u32_e32 0x7f, v17
	s_cbranch_execz .LBB243_571
; %bb.568:                              ;   in Loop: Header=BB243_353 Depth=1
	v_and_b32_e32 v5, 7, v5
	v_lshrrev_b32_e32 v15, 3, v17
	s_mov_b32 s14, exec_lo
	v_cmpx_gt_u32_e32 8, v17
; %bb.569:                              ;   in Loop: Header=BB243_353 Depth=1
	s_delay_alu instid0(VALU_DEP_3) | instskip(NEXT) | instid1(VALU_DEP_1)
	v_clz_i32_u32_e32 v15, v5
	v_min_u32_e32 v15, 32, v15
	s_delay_alu instid0(VALU_DEP_1) | instskip(SKIP_1) | instid1(VALU_DEP_2)
	v_subrev_nc_u32_e32 v16, 28, v15
	v_sub_nc_u32_e32 v15, 29, v15
	v_lshlrev_b64 v[16:17], v16, v[5:6]
	s_delay_alu instid0(VALU_DEP_1)
	v_and_b32_e32 v5, 7, v16
; %bb.570:                              ;   in Loop: Header=BB243_353 Depth=1
	s_or_b32 exec_lo, exec_lo, s14
	v_lshlrev_b32_e32 v16, 16, v65
	s_delay_alu instid0(VALU_DEP_2) | instskip(SKIP_1) | instid1(VALU_DEP_3)
	v_lshlrev_b32_e32 v5, 20, v5
	v_lshl_add_u32 v15, v15, 23, 0x3c000000
	v_and_b32_e32 v16, 0x80000000, v16
	s_delay_alu instid0(VALU_DEP_1)
	v_or3_b32 v16, v5, v16, v15
	v_mov_b32_e32 v15, v6
.LBB243_571:                            ;   in Loop: Header=BB243_353 Depth=1
	s_or_b32 exec_lo, exec_lo, s2
.LBB243_572:                            ;   in Loop: Header=BB243_353 Depth=1
	s_delay_alu instid0(SALU_CYCLE_1)
	s_or_b32 exec_lo, exec_lo, s13
.LBB243_573:                            ;   in Loop: Header=BB243_353 Depth=1
	s_delay_alu instid0(SALU_CYCLE_1) | instskip(SKIP_4) | instid1(VALU_DEP_2)
	s_or_b32 exec_lo, exec_lo, s11
	v_mov_b32_e32 v19, 0
	v_lshrrev_b32_e32 v66, 16, v65
	v_mov_b32_e32 v20, 0
	s_mov_b32 s2, exec_lo
	v_and_b32_e32 v5, 0xff, v66
	s_delay_alu instid0(VALU_DEP_2) | instskip(NEXT) | instid1(VALU_DEP_2)
	v_dual_mov_b32 v17, v19 :: v_dual_mov_b32 v18, v20
	v_cmpx_ne_u16_e32 0, v5
	s_cbranch_execz .LBB243_581
; %bb.574:                              ;   in Loop: Header=BB243_353 Depth=1
	v_bfrev_b32_e32 v17, 1
	v_mov_b32_e32 v18, 0
	s_mov_b32 s11, exec_lo
	v_cmpx_ne_u16_e32 0x80, v5
	s_cbranch_execz .LBB243_580
; %bb.575:                              ;   in Loop: Header=BB243_353 Depth=1
	v_mov_b32_e32 v17, 0x7f800001
	v_bfe_u32 v67, v65, 16, 7
	v_mov_b32_e32 v18, 0
	s_mov_b32 s13, exec_lo
	s_delay_alu instid0(VALU_DEP_2)
	v_cmpx_ne_u32_e32 0x7f, v67
	s_cbranch_execz .LBB243_579
; %bb.576:                              ;   in Loop: Header=BB243_353 Depth=1
	v_and_b32_e32 v5, 7, v66
	v_lshrrev_b32_e32 v17, 3, v67
	s_mov_b32 s14, exec_lo
	v_cmpx_gt_u32_e32 8, v67
; %bb.577:                              ;   in Loop: Header=BB243_353 Depth=1
	s_delay_alu instid0(VALU_DEP_3) | instskip(NEXT) | instid1(VALU_DEP_1)
	v_clz_i32_u32_e32 v17, v5
	v_min_u32_e32 v17, 32, v17
	s_delay_alu instid0(VALU_DEP_1) | instskip(SKIP_1) | instid1(VALU_DEP_2)
	v_subrev_nc_u32_e32 v18, 28, v17
	v_sub_nc_u32_e32 v17, 29, v17
	v_lshlrev_b64 v[67:68], v18, v[5:6]
	s_delay_alu instid0(VALU_DEP_1)
	v_and_b32_e32 v5, 7, v67
; %bb.578:                              ;   in Loop: Header=BB243_353 Depth=1
	s_or_b32 exec_lo, exec_lo, s14
	v_lshlrev_b32_e32 v18, 24, v66
	s_delay_alu instid0(VALU_DEP_2) | instskip(SKIP_1) | instid1(VALU_DEP_3)
	v_lshlrev_b32_e32 v5, 20, v5
	v_lshl_add_u32 v17, v17, 23, 0x3c000000
	v_and_b32_e32 v18, 0x80000000, v18
	s_delay_alu instid0(VALU_DEP_1) | instskip(NEXT) | instid1(VALU_DEP_1)
	v_or3_b32 v5, v5, v18, v17
	v_dual_mov_b32 v18, v6 :: v_dual_mov_b32 v17, v5
.LBB243_579:                            ;   in Loop: Header=BB243_353 Depth=1
	s_or_b32 exec_lo, exec_lo, s13
.LBB243_580:                            ;   in Loop: Header=BB243_353 Depth=1
	s_delay_alu instid0(SALU_CYCLE_1)
	s_or_b32 exec_lo, exec_lo, s11
.LBB243_581:                            ;   in Loop: Header=BB243_353 Depth=1
	s_delay_alu instid0(SALU_CYCLE_1) | instskip(NEXT) | instid1(SALU_CYCLE_1)
	s_or_b32 exec_lo, exec_lo, s2
	s_mov_b32 s11, exec_lo
	v_cmpx_lt_u32_e32 0xffffff, v65
	s_cbranch_execz .LBB243_589
; %bb.582:                              ;   in Loop: Header=BB243_353 Depth=1
	v_lshrrev_b32_e32 v66, 24, v65
	v_dual_mov_b32 v20, s5 :: v_dual_mov_b32 v19, s4
	s_mov_b32 s13, exec_lo
	s_delay_alu instid0(VALU_DEP_2)
	v_cmpx_ne_u32_e32 0x80, v66
	s_cbranch_execz .LBB243_588
; %bb.583:                              ;   in Loop: Header=BB243_353 Depth=1
	s_mov_b32 s2, s4
	v_bfe_u32 v65, v65, 24, 7
	v_dual_mov_b32 v20, s3 :: v_dual_mov_b32 v19, s2
	s_mov_b32 s2, exec_lo
	s_delay_alu instid0(VALU_DEP_2)
	v_cmpx_ne_u32_e32 0x7f, v65
	s_cbranch_execz .LBB243_587
; %bb.584:                              ;   in Loop: Header=BB243_353 Depth=1
	v_and_b32_e32 v5, 7, v66
	v_lshrrev_b32_e32 v19, 3, v65
	s_mov_b32 s14, exec_lo
	v_cmpx_gt_u32_e32 8, v65
; %bb.585:                              ;   in Loop: Header=BB243_353 Depth=1
	s_delay_alu instid0(VALU_DEP_3) | instskip(NEXT) | instid1(VALU_DEP_1)
	v_clz_i32_u32_e32 v19, v5
	v_min_u32_e32 v19, 32, v19
	s_delay_alu instid0(VALU_DEP_1) | instskip(SKIP_1) | instid1(VALU_DEP_2)
	v_subrev_nc_u32_e32 v20, 28, v19
	v_sub_nc_u32_e32 v19, 29, v19
	v_lshlrev_b64 v[67:68], v20, v[5:6]
	s_delay_alu instid0(VALU_DEP_1)
	v_and_b32_e32 v5, 7, v67
; %bb.586:                              ;   in Loop: Header=BB243_353 Depth=1
	s_or_b32 exec_lo, exec_lo, s14
	v_lshlrev_b32_e32 v20, 24, v66
	s_delay_alu instid0(VALU_DEP_2) | instskip(SKIP_1) | instid1(VALU_DEP_3)
	v_lshlrev_b32_e32 v5, 20, v5
	v_lshl_add_u32 v19, v19, 23, 0x3c000000
	v_and_b32_e32 v20, 0x80000000, v20
	s_delay_alu instid0(VALU_DEP_1)
	v_or3_b32 v20, v5, v20, v19
	v_mov_b32_e32 v19, v6
.LBB243_587:                            ;   in Loop: Header=BB243_353 Depth=1
	s_or_b32 exec_lo, exec_lo, s2
.LBB243_588:                            ;   in Loop: Header=BB243_353 Depth=1
	s_delay_alu instid0(SALU_CYCLE_1)
	s_or_b32 exec_lo, exec_lo, s13
.LBB243_589:                            ;   in Loop: Header=BB243_353 Depth=1
	s_delay_alu instid0(SALU_CYCLE_1) | instskip(SKIP_4) | instid1(VALU_DEP_4)
	s_or_b32 exec_lo, exec_lo, s11
	v_or_b32_e32 v5, v16, v14
	v_or_b32_e32 v13, v15, v13
	;; [unrolled: 1-line block ×4, first 2 shown]
	v_mul_f32_e32 v68, s9, v5
	s_delay_alu instid0(VALU_DEP_4) | instskip(NEXT) | instid1(VALU_DEP_3)
	v_mul_f32_e32 v67, s7, v13
	v_dual_mul_f32 v65, s9, v14 :: v_dual_mul_f32 v66, s7, v15
	s_and_saveexec_b32 s2, vcc_lo
; %bb.590:                              ;   in Loop: Header=BB243_353 Depth=1
	v_cmp_gt_i32_e64 s0, s33, v42
	s_delay_alu instid0(VALU_DEP_1) | instskip(SKIP_1) | instid1(VALU_DEP_1)
	v_cndmask_b32_e64 v67, 0, v67, s0
	v_cmp_gt_i32_e64 s0, s33, v44
	v_cndmask_b32_e64 v68, 0, v68, s0
	v_cmp_gt_i32_e64 s0, s33, v43
	s_delay_alu instid0(VALU_DEP_1) | instskip(SKIP_1) | instid1(VALU_DEP_1)
	v_cndmask_b32_e64 v66, 0, v66, s0
	v_cmp_gt_i32_e64 s0, s33, v35
	v_cndmask_b32_e64 v65, 0, v65, s0
; %bb.591:                              ;   in Loop: Header=BB243_353 Depth=1
	s_or_b32 exec_lo, exec_lo, s2
	global_load_b32 v69, v[11:12], off offset:896
	v_mov_b32_e32 v15, 0
	v_mov_b32_e32 v16, 0
	s_mov_b32 s2, exec_lo
	s_waitcnt vmcnt(0)
	v_and_b32_e32 v5, 0xff, v69
	s_delay_alu instid0(VALU_DEP_2) | instskip(NEXT) | instid1(VALU_DEP_2)
	v_dual_mov_b32 v13, v15 :: v_dual_mov_b32 v14, v16
	v_cmpx_ne_u16_e32 0, v5
	s_cbranch_execz .LBB243_599
; %bb.592:                              ;   in Loop: Header=BB243_353 Depth=1
	v_bfrev_b32_e32 v13, 1
	v_mov_b32_e32 v14, 0
	s_mov_b32 s11, exec_lo
	v_cmpx_ne_u16_e32 0x80, v5
	s_cbranch_execz .LBB243_598
; %bb.593:                              ;   in Loop: Header=BB243_353 Depth=1
	v_mov_b32_e32 v13, 0x7f800001
	v_dual_mov_b32 v14, 0 :: v_dual_and_b32 v17, 0x7f, v69
	s_mov_b32 s13, exec_lo
	s_delay_alu instid0(VALU_DEP_1)
	v_cmpx_ne_u32_e32 0x7f, v17
	s_cbranch_execz .LBB243_597
; %bb.594:                              ;   in Loop: Header=BB243_353 Depth=1
	v_and_b32_e32 v5, 7, v69
	v_lshrrev_b32_e32 v13, 3, v17
	s_mov_b32 s14, exec_lo
	v_cmpx_gt_u32_e32 8, v17
; %bb.595:                              ;   in Loop: Header=BB243_353 Depth=1
	s_delay_alu instid0(VALU_DEP_3) | instskip(NEXT) | instid1(VALU_DEP_1)
	v_clz_i32_u32_e32 v13, v5
	v_min_u32_e32 v13, 32, v13
	s_delay_alu instid0(VALU_DEP_1) | instskip(SKIP_1) | instid1(VALU_DEP_2)
	v_subrev_nc_u32_e32 v14, 28, v13
	v_sub_nc_u32_e32 v13, 29, v13
	v_lshlrev_b64 v[17:18], v14, v[5:6]
	s_delay_alu instid0(VALU_DEP_1)
	v_and_b32_e32 v5, 7, v17
; %bb.596:                              ;   in Loop: Header=BB243_353 Depth=1
	s_or_b32 exec_lo, exec_lo, s14
	v_lshlrev_b32_e32 v14, 24, v69
	s_delay_alu instid0(VALU_DEP_2) | instskip(SKIP_1) | instid1(VALU_DEP_3)
	v_lshlrev_b32_e32 v5, 20, v5
	v_lshl_add_u32 v13, v13, 23, 0x3c000000
	v_and_b32_e32 v14, 0x80000000, v14
	s_delay_alu instid0(VALU_DEP_1) | instskip(NEXT) | instid1(VALU_DEP_1)
	v_or3_b32 v5, v5, v14, v13
	v_dual_mov_b32 v14, v6 :: v_dual_mov_b32 v13, v5
.LBB243_597:                            ;   in Loop: Header=BB243_353 Depth=1
	s_or_b32 exec_lo, exec_lo, s13
.LBB243_598:                            ;   in Loop: Header=BB243_353 Depth=1
	s_delay_alu instid0(SALU_CYCLE_1)
	s_or_b32 exec_lo, exec_lo, s11
.LBB243_599:                            ;   in Loop: Header=BB243_353 Depth=1
	s_delay_alu instid0(SALU_CYCLE_1) | instskip(SKIP_2) | instid1(VALU_DEP_1)
	s_or_b32 exec_lo, exec_lo, s2
	v_lshrrev_b16 v5, 8, v69
	s_mov_b32 s11, exec_lo
	v_cmpx_ne_u16_e32 0, v5
	s_cbranch_execz .LBB243_607
; %bb.600:                              ;   in Loop: Header=BB243_353 Depth=1
	v_dual_mov_b32 v16, s5 :: v_dual_mov_b32 v15, s4
	s_mov_b32 s13, exec_lo
	v_cmpx_ne_u16_e32 0x80, v5
	s_cbranch_execz .LBB243_606
; %bb.601:                              ;   in Loop: Header=BB243_353 Depth=1
	s_mov_b32 s2, s4
	v_dual_mov_b32 v16, s3 :: v_dual_and_b32 v5, 0xffff, v5
	v_mov_b32_e32 v15, s2
	s_mov_b32 s2, exec_lo
	s_delay_alu instid0(VALU_DEP_2) | instskip(NEXT) | instid1(VALU_DEP_1)
	v_and_b32_e32 v17, 0x7f, v5
	v_cmpx_ne_u32_e32 0x7f, v17
	s_cbranch_execz .LBB243_605
; %bb.602:                              ;   in Loop: Header=BB243_353 Depth=1
	v_and_b32_e32 v5, 7, v5
	v_lshrrev_b32_e32 v15, 3, v17
	s_mov_b32 s14, exec_lo
	v_cmpx_gt_u32_e32 8, v17
; %bb.603:                              ;   in Loop: Header=BB243_353 Depth=1
	s_delay_alu instid0(VALU_DEP_3) | instskip(NEXT) | instid1(VALU_DEP_1)
	v_clz_i32_u32_e32 v15, v5
	v_min_u32_e32 v15, 32, v15
	s_delay_alu instid0(VALU_DEP_1) | instskip(SKIP_1) | instid1(VALU_DEP_2)
	v_subrev_nc_u32_e32 v16, 28, v15
	v_sub_nc_u32_e32 v15, 29, v15
	v_lshlrev_b64 v[16:17], v16, v[5:6]
	s_delay_alu instid0(VALU_DEP_1)
	v_and_b32_e32 v5, 7, v16
; %bb.604:                              ;   in Loop: Header=BB243_353 Depth=1
	s_or_b32 exec_lo, exec_lo, s14
	v_lshlrev_b32_e32 v16, 16, v69
	s_delay_alu instid0(VALU_DEP_2) | instskip(SKIP_1) | instid1(VALU_DEP_3)
	v_lshlrev_b32_e32 v5, 20, v5
	v_lshl_add_u32 v15, v15, 23, 0x3c000000
	v_and_b32_e32 v16, 0x80000000, v16
	s_delay_alu instid0(VALU_DEP_1)
	v_or3_b32 v16, v5, v16, v15
	v_mov_b32_e32 v15, v6
.LBB243_605:                            ;   in Loop: Header=BB243_353 Depth=1
	s_or_b32 exec_lo, exec_lo, s2
.LBB243_606:                            ;   in Loop: Header=BB243_353 Depth=1
	s_delay_alu instid0(SALU_CYCLE_1)
	s_or_b32 exec_lo, exec_lo, s13
.LBB243_607:                            ;   in Loop: Header=BB243_353 Depth=1
	s_delay_alu instid0(SALU_CYCLE_1) | instskip(SKIP_4) | instid1(VALU_DEP_2)
	s_or_b32 exec_lo, exec_lo, s11
	v_mov_b32_e32 v19, 0
	v_lshrrev_b32_e32 v70, 16, v69
	v_mov_b32_e32 v20, 0
	s_mov_b32 s2, exec_lo
	v_and_b32_e32 v5, 0xff, v70
	s_delay_alu instid0(VALU_DEP_2) | instskip(NEXT) | instid1(VALU_DEP_2)
	v_dual_mov_b32 v17, v19 :: v_dual_mov_b32 v18, v20
	v_cmpx_ne_u16_e32 0, v5
	s_cbranch_execz .LBB243_615
; %bb.608:                              ;   in Loop: Header=BB243_353 Depth=1
	v_bfrev_b32_e32 v17, 1
	v_mov_b32_e32 v18, 0
	s_mov_b32 s11, exec_lo
	v_cmpx_ne_u16_e32 0x80, v5
	s_cbranch_execz .LBB243_614
; %bb.609:                              ;   in Loop: Header=BB243_353 Depth=1
	v_mov_b32_e32 v17, 0x7f800001
	v_bfe_u32 v71, v69, 16, 7
	v_mov_b32_e32 v18, 0
	s_mov_b32 s13, exec_lo
	s_delay_alu instid0(VALU_DEP_2)
	v_cmpx_ne_u32_e32 0x7f, v71
	s_cbranch_execz .LBB243_613
; %bb.610:                              ;   in Loop: Header=BB243_353 Depth=1
	v_and_b32_e32 v5, 7, v70
	v_lshrrev_b32_e32 v17, 3, v71
	s_mov_b32 s14, exec_lo
	v_cmpx_gt_u32_e32 8, v71
; %bb.611:                              ;   in Loop: Header=BB243_353 Depth=1
	s_delay_alu instid0(VALU_DEP_3) | instskip(NEXT) | instid1(VALU_DEP_1)
	v_clz_i32_u32_e32 v17, v5
	v_min_u32_e32 v17, 32, v17
	s_delay_alu instid0(VALU_DEP_1) | instskip(SKIP_1) | instid1(VALU_DEP_2)
	v_subrev_nc_u32_e32 v18, 28, v17
	v_sub_nc_u32_e32 v17, 29, v17
	v_lshlrev_b64 v[71:72], v18, v[5:6]
	s_delay_alu instid0(VALU_DEP_1)
	v_and_b32_e32 v5, 7, v71
; %bb.612:                              ;   in Loop: Header=BB243_353 Depth=1
	s_or_b32 exec_lo, exec_lo, s14
	v_lshlrev_b32_e32 v18, 24, v70
	s_delay_alu instid0(VALU_DEP_2) | instskip(SKIP_1) | instid1(VALU_DEP_3)
	v_lshlrev_b32_e32 v5, 20, v5
	v_lshl_add_u32 v17, v17, 23, 0x3c000000
	v_and_b32_e32 v18, 0x80000000, v18
	s_delay_alu instid0(VALU_DEP_1) | instskip(NEXT) | instid1(VALU_DEP_1)
	v_or3_b32 v5, v5, v18, v17
	v_dual_mov_b32 v18, v6 :: v_dual_mov_b32 v17, v5
.LBB243_613:                            ;   in Loop: Header=BB243_353 Depth=1
	s_or_b32 exec_lo, exec_lo, s13
.LBB243_614:                            ;   in Loop: Header=BB243_353 Depth=1
	s_delay_alu instid0(SALU_CYCLE_1)
	s_or_b32 exec_lo, exec_lo, s11
.LBB243_615:                            ;   in Loop: Header=BB243_353 Depth=1
	s_delay_alu instid0(SALU_CYCLE_1) | instskip(NEXT) | instid1(SALU_CYCLE_1)
	s_or_b32 exec_lo, exec_lo, s2
	s_mov_b32 s11, exec_lo
	v_cmpx_lt_u32_e32 0xffffff, v69
	s_cbranch_execz .LBB243_623
; %bb.616:                              ;   in Loop: Header=BB243_353 Depth=1
	v_lshrrev_b32_e32 v70, 24, v69
	v_dual_mov_b32 v20, s5 :: v_dual_mov_b32 v19, s4
	s_mov_b32 s13, exec_lo
	s_delay_alu instid0(VALU_DEP_2)
	v_cmpx_ne_u32_e32 0x80, v70
	s_cbranch_execz .LBB243_622
; %bb.617:                              ;   in Loop: Header=BB243_353 Depth=1
	s_mov_b32 s2, s4
	v_bfe_u32 v69, v69, 24, 7
	v_dual_mov_b32 v20, s3 :: v_dual_mov_b32 v19, s2
	s_mov_b32 s2, exec_lo
	s_delay_alu instid0(VALU_DEP_2)
	v_cmpx_ne_u32_e32 0x7f, v69
	s_cbranch_execz .LBB243_621
; %bb.618:                              ;   in Loop: Header=BB243_353 Depth=1
	v_and_b32_e32 v5, 7, v70
	v_lshrrev_b32_e32 v19, 3, v69
	s_mov_b32 s14, exec_lo
	v_cmpx_gt_u32_e32 8, v69
; %bb.619:                              ;   in Loop: Header=BB243_353 Depth=1
	s_delay_alu instid0(VALU_DEP_3) | instskip(NEXT) | instid1(VALU_DEP_1)
	v_clz_i32_u32_e32 v19, v5
	v_min_u32_e32 v19, 32, v19
	s_delay_alu instid0(VALU_DEP_1) | instskip(SKIP_1) | instid1(VALU_DEP_2)
	v_subrev_nc_u32_e32 v20, 28, v19
	v_sub_nc_u32_e32 v19, 29, v19
	v_lshlrev_b64 v[71:72], v20, v[5:6]
	s_delay_alu instid0(VALU_DEP_1)
	v_and_b32_e32 v5, 7, v71
; %bb.620:                              ;   in Loop: Header=BB243_353 Depth=1
	s_or_b32 exec_lo, exec_lo, s14
	v_lshlrev_b32_e32 v20, 24, v70
	s_delay_alu instid0(VALU_DEP_2) | instskip(SKIP_1) | instid1(VALU_DEP_3)
	v_lshlrev_b32_e32 v5, 20, v5
	v_lshl_add_u32 v19, v19, 23, 0x3c000000
	v_and_b32_e32 v20, 0x80000000, v20
	s_delay_alu instid0(VALU_DEP_1)
	v_or3_b32 v20, v5, v20, v19
	v_mov_b32_e32 v19, v6
.LBB243_621:                            ;   in Loop: Header=BB243_353 Depth=1
	s_or_b32 exec_lo, exec_lo, s2
.LBB243_622:                            ;   in Loop: Header=BB243_353 Depth=1
	s_delay_alu instid0(SALU_CYCLE_1)
	s_or_b32 exec_lo, exec_lo, s13
.LBB243_623:                            ;   in Loop: Header=BB243_353 Depth=1
	s_delay_alu instid0(SALU_CYCLE_1) | instskip(SKIP_4) | instid1(VALU_DEP_4)
	s_or_b32 exec_lo, exec_lo, s11
	v_or_b32_e32 v5, v16, v14
	v_or_b32_e32 v13, v15, v13
	;; [unrolled: 1-line block ×4, first 2 shown]
	v_mul_f32_e32 v72, s9, v5
	s_delay_alu instid0(VALU_DEP_4) | instskip(NEXT) | instid1(VALU_DEP_3)
	v_mul_f32_e32 v71, s7, v13
	v_dual_mul_f32 v69, s9, v14 :: v_dual_mul_f32 v70, s7, v15
	s_and_saveexec_b32 s2, vcc_lo
; %bb.624:                              ;   in Loop: Header=BB243_353 Depth=1
	v_cmp_gt_i32_e64 s0, s33, v42
	s_delay_alu instid0(VALU_DEP_1) | instskip(SKIP_1) | instid1(VALU_DEP_1)
	v_cndmask_b32_e64 v71, 0, v71, s0
	v_cmp_gt_i32_e64 s0, s33, v44
	v_cndmask_b32_e64 v72, 0, v72, s0
	v_cmp_gt_i32_e64 s0, s33, v43
	s_delay_alu instid0(VALU_DEP_1) | instskip(SKIP_1) | instid1(VALU_DEP_1)
	v_cndmask_b32_e64 v70, 0, v70, s0
	v_cmp_gt_i32_e64 s0, s33, v35
	v_cndmask_b32_e64 v69, 0, v69, s0
; %bb.625:                              ;   in Loop: Header=BB243_353 Depth=1
	s_or_b32 exec_lo, exec_lo, s2
	global_load_b32 v73, v[11:12], off offset:1024
	v_mov_b32_e32 v15, 0
	v_mov_b32_e32 v16, 0
	s_mov_b32 s2, exec_lo
	s_waitcnt vmcnt(0)
	v_and_b32_e32 v5, 0xff, v73
	s_delay_alu instid0(VALU_DEP_2) | instskip(NEXT) | instid1(VALU_DEP_2)
	v_dual_mov_b32 v13, v15 :: v_dual_mov_b32 v14, v16
	v_cmpx_ne_u16_e32 0, v5
	s_cbranch_execz .LBB243_633
; %bb.626:                              ;   in Loop: Header=BB243_353 Depth=1
	v_bfrev_b32_e32 v13, 1
	v_mov_b32_e32 v14, 0
	s_mov_b32 s11, exec_lo
	v_cmpx_ne_u16_e32 0x80, v5
	s_cbranch_execz .LBB243_632
; %bb.627:                              ;   in Loop: Header=BB243_353 Depth=1
	v_mov_b32_e32 v13, 0x7f800001
	v_dual_mov_b32 v14, 0 :: v_dual_and_b32 v17, 0x7f, v73
	s_mov_b32 s13, exec_lo
	s_delay_alu instid0(VALU_DEP_1)
	v_cmpx_ne_u32_e32 0x7f, v17
	s_cbranch_execz .LBB243_631
; %bb.628:                              ;   in Loop: Header=BB243_353 Depth=1
	v_and_b32_e32 v5, 7, v73
	v_lshrrev_b32_e32 v13, 3, v17
	s_mov_b32 s14, exec_lo
	v_cmpx_gt_u32_e32 8, v17
; %bb.629:                              ;   in Loop: Header=BB243_353 Depth=1
	s_delay_alu instid0(VALU_DEP_3) | instskip(NEXT) | instid1(VALU_DEP_1)
	v_clz_i32_u32_e32 v13, v5
	v_min_u32_e32 v13, 32, v13
	s_delay_alu instid0(VALU_DEP_1) | instskip(SKIP_1) | instid1(VALU_DEP_2)
	v_subrev_nc_u32_e32 v14, 28, v13
	v_sub_nc_u32_e32 v13, 29, v13
	v_lshlrev_b64 v[17:18], v14, v[5:6]
	s_delay_alu instid0(VALU_DEP_1)
	v_and_b32_e32 v5, 7, v17
; %bb.630:                              ;   in Loop: Header=BB243_353 Depth=1
	s_or_b32 exec_lo, exec_lo, s14
	v_lshlrev_b32_e32 v14, 24, v73
	s_delay_alu instid0(VALU_DEP_2) | instskip(SKIP_1) | instid1(VALU_DEP_3)
	v_lshlrev_b32_e32 v5, 20, v5
	v_lshl_add_u32 v13, v13, 23, 0x3c000000
	v_and_b32_e32 v14, 0x80000000, v14
	s_delay_alu instid0(VALU_DEP_1) | instskip(NEXT) | instid1(VALU_DEP_1)
	v_or3_b32 v5, v5, v14, v13
	v_dual_mov_b32 v14, v6 :: v_dual_mov_b32 v13, v5
.LBB243_631:                            ;   in Loop: Header=BB243_353 Depth=1
	s_or_b32 exec_lo, exec_lo, s13
.LBB243_632:                            ;   in Loop: Header=BB243_353 Depth=1
	s_delay_alu instid0(SALU_CYCLE_1)
	s_or_b32 exec_lo, exec_lo, s11
.LBB243_633:                            ;   in Loop: Header=BB243_353 Depth=1
	s_delay_alu instid0(SALU_CYCLE_1) | instskip(SKIP_2) | instid1(VALU_DEP_1)
	s_or_b32 exec_lo, exec_lo, s2
	v_lshrrev_b16 v5, 8, v73
	s_mov_b32 s11, exec_lo
	v_cmpx_ne_u16_e32 0, v5
	s_cbranch_execz .LBB243_641
; %bb.634:                              ;   in Loop: Header=BB243_353 Depth=1
	v_dual_mov_b32 v16, s5 :: v_dual_mov_b32 v15, s4
	s_mov_b32 s13, exec_lo
	v_cmpx_ne_u16_e32 0x80, v5
	s_cbranch_execz .LBB243_640
; %bb.635:                              ;   in Loop: Header=BB243_353 Depth=1
	s_mov_b32 s2, s4
	v_dual_mov_b32 v16, s3 :: v_dual_and_b32 v5, 0xffff, v5
	v_mov_b32_e32 v15, s2
	s_mov_b32 s2, exec_lo
	s_delay_alu instid0(VALU_DEP_2) | instskip(NEXT) | instid1(VALU_DEP_1)
	v_and_b32_e32 v17, 0x7f, v5
	v_cmpx_ne_u32_e32 0x7f, v17
	s_cbranch_execz .LBB243_639
; %bb.636:                              ;   in Loop: Header=BB243_353 Depth=1
	v_and_b32_e32 v5, 7, v5
	v_lshrrev_b32_e32 v15, 3, v17
	s_mov_b32 s14, exec_lo
	v_cmpx_gt_u32_e32 8, v17
; %bb.637:                              ;   in Loop: Header=BB243_353 Depth=1
	s_delay_alu instid0(VALU_DEP_3) | instskip(NEXT) | instid1(VALU_DEP_1)
	v_clz_i32_u32_e32 v15, v5
	v_min_u32_e32 v15, 32, v15
	s_delay_alu instid0(VALU_DEP_1) | instskip(SKIP_1) | instid1(VALU_DEP_2)
	v_subrev_nc_u32_e32 v16, 28, v15
	v_sub_nc_u32_e32 v15, 29, v15
	v_lshlrev_b64 v[16:17], v16, v[5:6]
	s_delay_alu instid0(VALU_DEP_1)
	v_and_b32_e32 v5, 7, v16
; %bb.638:                              ;   in Loop: Header=BB243_353 Depth=1
	s_or_b32 exec_lo, exec_lo, s14
	v_lshlrev_b32_e32 v16, 16, v73
	s_delay_alu instid0(VALU_DEP_2) | instskip(SKIP_1) | instid1(VALU_DEP_3)
	v_lshlrev_b32_e32 v5, 20, v5
	v_lshl_add_u32 v15, v15, 23, 0x3c000000
	v_and_b32_e32 v16, 0x80000000, v16
	s_delay_alu instid0(VALU_DEP_1)
	v_or3_b32 v16, v5, v16, v15
	v_mov_b32_e32 v15, v6
.LBB243_639:                            ;   in Loop: Header=BB243_353 Depth=1
	s_or_b32 exec_lo, exec_lo, s2
.LBB243_640:                            ;   in Loop: Header=BB243_353 Depth=1
	s_delay_alu instid0(SALU_CYCLE_1)
	s_or_b32 exec_lo, exec_lo, s13
.LBB243_641:                            ;   in Loop: Header=BB243_353 Depth=1
	s_delay_alu instid0(SALU_CYCLE_1) | instskip(SKIP_4) | instid1(VALU_DEP_2)
	s_or_b32 exec_lo, exec_lo, s11
	v_mov_b32_e32 v19, 0
	v_lshrrev_b32_e32 v74, 16, v73
	v_mov_b32_e32 v20, 0
	s_mov_b32 s2, exec_lo
	v_and_b32_e32 v5, 0xff, v74
	s_delay_alu instid0(VALU_DEP_2) | instskip(NEXT) | instid1(VALU_DEP_2)
	v_dual_mov_b32 v17, v19 :: v_dual_mov_b32 v18, v20
	v_cmpx_ne_u16_e32 0, v5
	s_cbranch_execz .LBB243_649
; %bb.642:                              ;   in Loop: Header=BB243_353 Depth=1
	v_bfrev_b32_e32 v17, 1
	v_mov_b32_e32 v18, 0
	s_mov_b32 s11, exec_lo
	v_cmpx_ne_u16_e32 0x80, v5
	s_cbranch_execz .LBB243_648
; %bb.643:                              ;   in Loop: Header=BB243_353 Depth=1
	v_mov_b32_e32 v17, 0x7f800001
	v_bfe_u32 v75, v73, 16, 7
	v_mov_b32_e32 v18, 0
	s_mov_b32 s13, exec_lo
	s_delay_alu instid0(VALU_DEP_2)
	v_cmpx_ne_u32_e32 0x7f, v75
	s_cbranch_execz .LBB243_647
; %bb.644:                              ;   in Loop: Header=BB243_353 Depth=1
	v_and_b32_e32 v5, 7, v74
	v_lshrrev_b32_e32 v17, 3, v75
	s_mov_b32 s14, exec_lo
	v_cmpx_gt_u32_e32 8, v75
; %bb.645:                              ;   in Loop: Header=BB243_353 Depth=1
	s_delay_alu instid0(VALU_DEP_3) | instskip(NEXT) | instid1(VALU_DEP_1)
	v_clz_i32_u32_e32 v17, v5
	v_min_u32_e32 v17, 32, v17
	s_delay_alu instid0(VALU_DEP_1) | instskip(SKIP_1) | instid1(VALU_DEP_2)
	v_subrev_nc_u32_e32 v18, 28, v17
	v_sub_nc_u32_e32 v17, 29, v17
	v_lshlrev_b64 v[75:76], v18, v[5:6]
	s_delay_alu instid0(VALU_DEP_1)
	v_and_b32_e32 v5, 7, v75
; %bb.646:                              ;   in Loop: Header=BB243_353 Depth=1
	s_or_b32 exec_lo, exec_lo, s14
	v_lshlrev_b32_e32 v18, 24, v74
	s_delay_alu instid0(VALU_DEP_2) | instskip(SKIP_1) | instid1(VALU_DEP_3)
	v_lshlrev_b32_e32 v5, 20, v5
	v_lshl_add_u32 v17, v17, 23, 0x3c000000
	v_and_b32_e32 v18, 0x80000000, v18
	s_delay_alu instid0(VALU_DEP_1) | instskip(NEXT) | instid1(VALU_DEP_1)
	v_or3_b32 v5, v5, v18, v17
	v_dual_mov_b32 v18, v6 :: v_dual_mov_b32 v17, v5
.LBB243_647:                            ;   in Loop: Header=BB243_353 Depth=1
	s_or_b32 exec_lo, exec_lo, s13
.LBB243_648:                            ;   in Loop: Header=BB243_353 Depth=1
	s_delay_alu instid0(SALU_CYCLE_1)
	s_or_b32 exec_lo, exec_lo, s11
.LBB243_649:                            ;   in Loop: Header=BB243_353 Depth=1
	s_delay_alu instid0(SALU_CYCLE_1) | instskip(NEXT) | instid1(SALU_CYCLE_1)
	s_or_b32 exec_lo, exec_lo, s2
	s_mov_b32 s11, exec_lo
	v_cmpx_lt_u32_e32 0xffffff, v73
	s_cbranch_execz .LBB243_657
; %bb.650:                              ;   in Loop: Header=BB243_353 Depth=1
	v_lshrrev_b32_e32 v74, 24, v73
	v_dual_mov_b32 v20, s5 :: v_dual_mov_b32 v19, s4
	s_mov_b32 s13, exec_lo
	s_delay_alu instid0(VALU_DEP_2)
	v_cmpx_ne_u32_e32 0x80, v74
	s_cbranch_execz .LBB243_656
; %bb.651:                              ;   in Loop: Header=BB243_353 Depth=1
	s_mov_b32 s2, s4
	v_bfe_u32 v73, v73, 24, 7
	v_dual_mov_b32 v20, s3 :: v_dual_mov_b32 v19, s2
	s_mov_b32 s2, exec_lo
	s_delay_alu instid0(VALU_DEP_2)
	v_cmpx_ne_u32_e32 0x7f, v73
	s_cbranch_execz .LBB243_655
; %bb.652:                              ;   in Loop: Header=BB243_353 Depth=1
	v_and_b32_e32 v5, 7, v74
	v_lshrrev_b32_e32 v19, 3, v73
	s_mov_b32 s14, exec_lo
	v_cmpx_gt_u32_e32 8, v73
; %bb.653:                              ;   in Loop: Header=BB243_353 Depth=1
	s_delay_alu instid0(VALU_DEP_3) | instskip(NEXT) | instid1(VALU_DEP_1)
	v_clz_i32_u32_e32 v19, v5
	v_min_u32_e32 v19, 32, v19
	s_delay_alu instid0(VALU_DEP_1) | instskip(SKIP_1) | instid1(VALU_DEP_2)
	v_subrev_nc_u32_e32 v20, 28, v19
	v_sub_nc_u32_e32 v19, 29, v19
	v_lshlrev_b64 v[75:76], v20, v[5:6]
	s_delay_alu instid0(VALU_DEP_1)
	v_and_b32_e32 v5, 7, v75
; %bb.654:                              ;   in Loop: Header=BB243_353 Depth=1
	s_or_b32 exec_lo, exec_lo, s14
	v_lshlrev_b32_e32 v20, 24, v74
	s_delay_alu instid0(VALU_DEP_2) | instskip(SKIP_1) | instid1(VALU_DEP_3)
	v_lshlrev_b32_e32 v5, 20, v5
	v_lshl_add_u32 v19, v19, 23, 0x3c000000
	v_and_b32_e32 v20, 0x80000000, v20
	s_delay_alu instid0(VALU_DEP_1)
	v_or3_b32 v20, v5, v20, v19
	v_mov_b32_e32 v19, v6
.LBB243_655:                            ;   in Loop: Header=BB243_353 Depth=1
	s_or_b32 exec_lo, exec_lo, s2
.LBB243_656:                            ;   in Loop: Header=BB243_353 Depth=1
	s_delay_alu instid0(SALU_CYCLE_1)
	s_or_b32 exec_lo, exec_lo, s13
.LBB243_657:                            ;   in Loop: Header=BB243_353 Depth=1
	s_delay_alu instid0(SALU_CYCLE_1) | instskip(SKIP_4) | instid1(VALU_DEP_4)
	s_or_b32 exec_lo, exec_lo, s11
	v_or_b32_e32 v5, v16, v14
	v_or_b32_e32 v13, v15, v13
	;; [unrolled: 1-line block ×4, first 2 shown]
	v_mul_f32_e32 v74, s9, v5
	s_delay_alu instid0(VALU_DEP_4) | instskip(NEXT) | instid1(VALU_DEP_3)
	v_mul_f32_e32 v73, s7, v13
	v_dual_mul_f32 v19, s9, v14 :: v_dual_mul_f32 v20, s7, v15
	s_and_saveexec_b32 s2, vcc_lo
; %bb.658:                              ;   in Loop: Header=BB243_353 Depth=1
	v_cmp_gt_i32_e64 s0, s33, v42
	s_delay_alu instid0(VALU_DEP_1) | instskip(SKIP_1) | instid1(VALU_DEP_1)
	v_cndmask_b32_e64 v73, 0, v73, s0
	v_cmp_gt_i32_e64 s0, s33, v44
	v_cndmask_b32_e64 v74, 0, v74, s0
	v_cmp_gt_i32_e64 s0, s33, v43
	s_delay_alu instid0(VALU_DEP_1) | instskip(SKIP_1) | instid1(VALU_DEP_1)
	v_cndmask_b32_e64 v20, 0, v20, s0
	v_cmp_gt_i32_e64 s0, s33, v35
	v_cndmask_b32_e64 v19, 0, v19, s0
; %bb.659:                              ;   in Loop: Header=BB243_353 Depth=1
	s_or_b32 exec_lo, exec_lo, s2
	global_load_b32 v75, v[11:12], off offset:1152
	v_mov_b32_e32 v13, 0
	v_mov_b32_e32 v14, 0
	s_mov_b32 s2, exec_lo
	s_waitcnt vmcnt(0)
	v_and_b32_e32 v5, 0xff, v75
	s_delay_alu instid0(VALU_DEP_2) | instskip(NEXT) | instid1(VALU_DEP_2)
	v_dual_mov_b32 v11, v13 :: v_dual_mov_b32 v12, v14
	v_cmpx_ne_u16_e32 0, v5
	s_cbranch_execz .LBB243_667
; %bb.660:                              ;   in Loop: Header=BB243_353 Depth=1
	v_bfrev_b32_e32 v11, 1
	v_mov_b32_e32 v12, 0
	s_mov_b32 s11, exec_lo
	v_cmpx_ne_u16_e32 0x80, v5
	s_cbranch_execz .LBB243_666
; %bb.661:                              ;   in Loop: Header=BB243_353 Depth=1
	v_mov_b32_e32 v11, 0x7f800001
	v_dual_mov_b32 v12, 0 :: v_dual_and_b32 v15, 0x7f, v75
	s_mov_b32 s13, exec_lo
	s_delay_alu instid0(VALU_DEP_1)
	v_cmpx_ne_u32_e32 0x7f, v15
	s_cbranch_execz .LBB243_665
; %bb.662:                              ;   in Loop: Header=BB243_353 Depth=1
	v_and_b32_e32 v5, 7, v75
	v_lshrrev_b32_e32 v11, 3, v15
	s_mov_b32 s14, exec_lo
	v_cmpx_gt_u32_e32 8, v15
; %bb.663:                              ;   in Loop: Header=BB243_353 Depth=1
	s_delay_alu instid0(VALU_DEP_3) | instskip(NEXT) | instid1(VALU_DEP_1)
	v_clz_i32_u32_e32 v11, v5
	v_min_u32_e32 v11, 32, v11
	s_delay_alu instid0(VALU_DEP_1) | instskip(SKIP_1) | instid1(VALU_DEP_2)
	v_subrev_nc_u32_e32 v12, 28, v11
	v_sub_nc_u32_e32 v11, 29, v11
	v_lshlrev_b64 v[15:16], v12, v[5:6]
	s_delay_alu instid0(VALU_DEP_1)
	v_and_b32_e32 v5, 7, v15
; %bb.664:                              ;   in Loop: Header=BB243_353 Depth=1
	s_or_b32 exec_lo, exec_lo, s14
	v_lshlrev_b32_e32 v12, 24, v75
	s_delay_alu instid0(VALU_DEP_2) | instskip(SKIP_1) | instid1(VALU_DEP_3)
	v_lshlrev_b32_e32 v5, 20, v5
	v_lshl_add_u32 v11, v11, 23, 0x3c000000
	v_and_b32_e32 v12, 0x80000000, v12
	s_delay_alu instid0(VALU_DEP_1) | instskip(NEXT) | instid1(VALU_DEP_1)
	v_or3_b32 v5, v5, v12, v11
	v_dual_mov_b32 v12, v6 :: v_dual_mov_b32 v11, v5
.LBB243_665:                            ;   in Loop: Header=BB243_353 Depth=1
	s_or_b32 exec_lo, exec_lo, s13
.LBB243_666:                            ;   in Loop: Header=BB243_353 Depth=1
	s_delay_alu instid0(SALU_CYCLE_1)
	s_or_b32 exec_lo, exec_lo, s11
.LBB243_667:                            ;   in Loop: Header=BB243_353 Depth=1
	s_delay_alu instid0(SALU_CYCLE_1) | instskip(SKIP_2) | instid1(VALU_DEP_1)
	s_or_b32 exec_lo, exec_lo, s2
	v_lshrrev_b16 v5, 8, v75
	s_mov_b32 s11, exec_lo
	v_cmpx_ne_u16_e32 0, v5
	s_cbranch_execz .LBB243_675
; %bb.668:                              ;   in Loop: Header=BB243_353 Depth=1
	v_dual_mov_b32 v14, s5 :: v_dual_mov_b32 v13, s4
	s_mov_b32 s13, exec_lo
	v_cmpx_ne_u16_e32 0x80, v5
	s_cbranch_execz .LBB243_674
; %bb.669:                              ;   in Loop: Header=BB243_353 Depth=1
	s_mov_b32 s2, s4
	v_dual_mov_b32 v14, s3 :: v_dual_and_b32 v5, 0xffff, v5
	v_mov_b32_e32 v13, s2
	s_mov_b32 s2, exec_lo
	s_delay_alu instid0(VALU_DEP_2) | instskip(NEXT) | instid1(VALU_DEP_1)
	v_and_b32_e32 v15, 0x7f, v5
	v_cmpx_ne_u32_e32 0x7f, v15
	s_cbranch_execz .LBB243_673
; %bb.670:                              ;   in Loop: Header=BB243_353 Depth=1
	v_and_b32_e32 v5, 7, v5
	v_lshrrev_b32_e32 v13, 3, v15
	s_mov_b32 s14, exec_lo
	v_cmpx_gt_u32_e32 8, v15
; %bb.671:                              ;   in Loop: Header=BB243_353 Depth=1
	s_delay_alu instid0(VALU_DEP_3) | instskip(NEXT) | instid1(VALU_DEP_1)
	v_clz_i32_u32_e32 v13, v5
	v_min_u32_e32 v13, 32, v13
	s_delay_alu instid0(VALU_DEP_1) | instskip(SKIP_1) | instid1(VALU_DEP_2)
	v_subrev_nc_u32_e32 v14, 28, v13
	v_sub_nc_u32_e32 v13, 29, v13
	v_lshlrev_b64 v[14:15], v14, v[5:6]
	s_delay_alu instid0(VALU_DEP_1)
	v_and_b32_e32 v5, 7, v14
; %bb.672:                              ;   in Loop: Header=BB243_353 Depth=1
	s_or_b32 exec_lo, exec_lo, s14
	v_lshlrev_b32_e32 v14, 16, v75
	s_delay_alu instid0(VALU_DEP_2) | instskip(SKIP_1) | instid1(VALU_DEP_3)
	v_lshlrev_b32_e32 v5, 20, v5
	v_lshl_add_u32 v13, v13, 23, 0x3c000000
	v_and_b32_e32 v14, 0x80000000, v14
	s_delay_alu instid0(VALU_DEP_1)
	v_or3_b32 v14, v5, v14, v13
	v_mov_b32_e32 v13, v6
.LBB243_673:                            ;   in Loop: Header=BB243_353 Depth=1
	s_or_b32 exec_lo, exec_lo, s2
.LBB243_674:                            ;   in Loop: Header=BB243_353 Depth=1
	s_delay_alu instid0(SALU_CYCLE_1)
	s_or_b32 exec_lo, exec_lo, s13
.LBB243_675:                            ;   in Loop: Header=BB243_353 Depth=1
	s_delay_alu instid0(SALU_CYCLE_1) | instskip(SKIP_4) | instid1(VALU_DEP_2)
	s_or_b32 exec_lo, exec_lo, s11
	v_mov_b32_e32 v17, 0
	v_lshrrev_b32_e32 v76, 16, v75
	v_mov_b32_e32 v18, 0
	s_mov_b32 s2, exec_lo
	v_and_b32_e32 v5, 0xff, v76
	s_delay_alu instid0(VALU_DEP_2) | instskip(NEXT) | instid1(VALU_DEP_2)
	v_dual_mov_b32 v15, v17 :: v_dual_mov_b32 v16, v18
	v_cmpx_ne_u16_e32 0, v5
	s_cbranch_execz .LBB243_683
; %bb.676:                              ;   in Loop: Header=BB243_353 Depth=1
	v_bfrev_b32_e32 v15, 1
	v_mov_b32_e32 v16, 0
	s_mov_b32 s11, exec_lo
	v_cmpx_ne_u16_e32 0x80, v5
	s_cbranch_execz .LBB243_682
; %bb.677:                              ;   in Loop: Header=BB243_353 Depth=1
	v_mov_b32_e32 v15, 0x7f800001
	v_bfe_u32 v77, v75, 16, 7
	v_mov_b32_e32 v16, 0
	s_mov_b32 s13, exec_lo
	s_delay_alu instid0(VALU_DEP_2)
	v_cmpx_ne_u32_e32 0x7f, v77
	s_cbranch_execz .LBB243_681
; %bb.678:                              ;   in Loop: Header=BB243_353 Depth=1
	v_and_b32_e32 v5, 7, v76
	v_lshrrev_b32_e32 v15, 3, v77
	s_mov_b32 s14, exec_lo
	v_cmpx_gt_u32_e32 8, v77
; %bb.679:                              ;   in Loop: Header=BB243_353 Depth=1
	s_delay_alu instid0(VALU_DEP_3) | instskip(NEXT) | instid1(VALU_DEP_1)
	v_clz_i32_u32_e32 v15, v5
	v_min_u32_e32 v15, 32, v15
	s_delay_alu instid0(VALU_DEP_1) | instskip(SKIP_1) | instid1(VALU_DEP_2)
	v_subrev_nc_u32_e32 v16, 28, v15
	v_sub_nc_u32_e32 v15, 29, v15
	v_lshlrev_b64 v[77:78], v16, v[5:6]
	s_delay_alu instid0(VALU_DEP_1)
	v_and_b32_e32 v5, 7, v77
; %bb.680:                              ;   in Loop: Header=BB243_353 Depth=1
	s_or_b32 exec_lo, exec_lo, s14
	v_lshlrev_b32_e32 v16, 24, v76
	s_delay_alu instid0(VALU_DEP_2) | instskip(SKIP_1) | instid1(VALU_DEP_3)
	v_lshlrev_b32_e32 v5, 20, v5
	v_lshl_add_u32 v15, v15, 23, 0x3c000000
	v_and_b32_e32 v16, 0x80000000, v16
	s_delay_alu instid0(VALU_DEP_1) | instskip(NEXT) | instid1(VALU_DEP_1)
	v_or3_b32 v5, v5, v16, v15
	v_dual_mov_b32 v16, v6 :: v_dual_mov_b32 v15, v5
.LBB243_681:                            ;   in Loop: Header=BB243_353 Depth=1
	s_or_b32 exec_lo, exec_lo, s13
.LBB243_682:                            ;   in Loop: Header=BB243_353 Depth=1
	s_delay_alu instid0(SALU_CYCLE_1)
	s_or_b32 exec_lo, exec_lo, s11
.LBB243_683:                            ;   in Loop: Header=BB243_353 Depth=1
	s_delay_alu instid0(SALU_CYCLE_1) | instskip(NEXT) | instid1(SALU_CYCLE_1)
	s_or_b32 exec_lo, exec_lo, s2
	s_mov_b32 s11, exec_lo
	v_cmpx_lt_u32_e32 0xffffff, v75
	s_cbranch_execz .LBB243_691
; %bb.684:                              ;   in Loop: Header=BB243_353 Depth=1
	v_lshrrev_b32_e32 v76, 24, v75
	v_dual_mov_b32 v18, s5 :: v_dual_mov_b32 v17, s4
	s_mov_b32 s13, exec_lo
	s_delay_alu instid0(VALU_DEP_2)
	v_cmpx_ne_u32_e32 0x80, v76
	s_cbranch_execz .LBB243_690
; %bb.685:                              ;   in Loop: Header=BB243_353 Depth=1
	s_mov_b32 s2, s4
	v_bfe_u32 v75, v75, 24, 7
	v_dual_mov_b32 v18, s3 :: v_dual_mov_b32 v17, s2
	s_mov_b32 s2, exec_lo
	s_delay_alu instid0(VALU_DEP_2)
	v_cmpx_ne_u32_e32 0x7f, v75
	s_cbranch_execz .LBB243_689
; %bb.686:                              ;   in Loop: Header=BB243_353 Depth=1
	v_and_b32_e32 v5, 7, v76
	v_lshrrev_b32_e32 v17, 3, v75
	s_mov_b32 s14, exec_lo
	v_cmpx_gt_u32_e32 8, v75
; %bb.687:                              ;   in Loop: Header=BB243_353 Depth=1
	s_delay_alu instid0(VALU_DEP_3) | instskip(NEXT) | instid1(VALU_DEP_1)
	v_clz_i32_u32_e32 v17, v5
	v_min_u32_e32 v17, 32, v17
	s_delay_alu instid0(VALU_DEP_1) | instskip(SKIP_1) | instid1(VALU_DEP_2)
	v_subrev_nc_u32_e32 v18, 28, v17
	v_sub_nc_u32_e32 v17, 29, v17
	v_lshlrev_b64 v[77:78], v18, v[5:6]
	s_delay_alu instid0(VALU_DEP_1)
	v_and_b32_e32 v5, 7, v77
; %bb.688:                              ;   in Loop: Header=BB243_353 Depth=1
	s_or_b32 exec_lo, exec_lo, s14
	v_lshlrev_b32_e32 v18, 24, v76
	s_delay_alu instid0(VALU_DEP_2) | instskip(SKIP_1) | instid1(VALU_DEP_3)
	v_lshlrev_b32_e32 v5, 20, v5
	v_lshl_add_u32 v17, v17, 23, 0x3c000000
	v_and_b32_e32 v18, 0x80000000, v18
	s_delay_alu instid0(VALU_DEP_1)
	v_or3_b32 v18, v5, v18, v17
	v_mov_b32_e32 v17, v6
.LBB243_689:                            ;   in Loop: Header=BB243_353 Depth=1
	s_or_b32 exec_lo, exec_lo, s2
.LBB243_690:                            ;   in Loop: Header=BB243_353 Depth=1
	s_delay_alu instid0(SALU_CYCLE_1)
	s_or_b32 exec_lo, exec_lo, s13
.LBB243_691:                            ;   in Loop: Header=BB243_353 Depth=1
	s_delay_alu instid0(SALU_CYCLE_1) | instskip(SKIP_4) | instid1(VALU_DEP_3)
	s_or_b32 exec_lo, exec_lo, s11
	v_or_b32_e32 v5, v14, v12
	v_or_b32_e32 v11, v13, v11
	;; [unrolled: 1-line block ×4, first 2 shown]
	v_dual_mul_f32 v13, s9, v5 :: v_dual_mul_f32 v12, s7, v11
	s_delay_alu instid0(VALU_DEP_3) | instskip(NEXT) | instid1(VALU_DEP_3)
	v_mul_f32_e32 v5, s9, v14
	v_mul_f32_e32 v11, s7, v15
	s_and_saveexec_b32 s0, vcc_lo
	s_cbranch_execz .LBB243_352
; %bb.692:                              ;   in Loop: Header=BB243_353 Depth=1
	v_cmp_gt_i32_e32 vcc_lo, s33, v42
	v_cndmask_b32_e32 v12, 0, v12, vcc_lo
	v_cmp_gt_i32_e32 vcc_lo, s33, v44
	v_cndmask_b32_e32 v13, 0, v13, vcc_lo
	;; [unrolled: 2-line block ×4, first 2 shown]
	s_branch .LBB243_352
.LBB243_693:
	s_or_b32 exec_lo, exec_lo, s10
.LBB243_694:
	s_delay_alu instid0(SALU_CYCLE_1)
	s_or_b32 exec_lo, exec_lo, s1
	ds_bpermute_b32 v1, v22, v32
	ds_bpermute_b32 v2, v22, v34
	ds_bpermute_b32 v3, v22, v33
	ds_bpermute_b32 v4, v22, v31
	ds_bpermute_b32 v5, v22, v30
	ds_bpermute_b32 v6, v22, v29
	ds_bpermute_b32 v7, v22, v28
	ds_bpermute_b32 v8, v22, v27
	ds_bpermute_b32 v9, v22, v26
	ds_bpermute_b32 v10, v22, v25
	v_lshrrev_b32_e32 v11, 2, v21
	s_movk_i32 s0, 0x140
	s_waitcnt lgkmcnt(0)
	s_waitcnt_vscnt null, 0x0
	v_mad_u32_u24 v12, v129, s0, 0x160
	s_mov_b32 s0, exec_lo
	s_barrier
	buffer_gl0_inv
	v_dual_add_f32 v1, v32, v1 :: v_dual_add_f32 v2, v34, v2
	v_dual_add_f32 v3, v33, v3 :: v_dual_add_f32 v4, v31, v4
	v_dual_add_f32 v5, v30, v5 :: v_dual_add_f32 v6, v29, v6
	v_dual_add_f32 v7, v28, v7 :: v_dual_add_f32 v8, v27, v8
	v_dual_add_f32 v9, v26, v9 :: v_dual_add_f32 v10, v25, v10
	ds_bpermute_b32 v13, v23, v1
	ds_bpermute_b32 v14, v23, v2
	;; [unrolled: 1-line block ×10, first 2 shown]
	v_and_b32_e32 v25, 0x3c3, v0
	s_waitcnt lgkmcnt(8)
	v_dual_add_f32 v1, v1, v13 :: v_dual_add_f32 v2, v2, v14
	s_waitcnt lgkmcnt(6)
	v_dual_add_f32 v3, v3, v15 :: v_dual_add_f32 v4, v4, v16
	;; [unrolled: 2-line block ×5, first 2 shown]
	v_lshlrev_b32_e32 v13, 2, v11
	v_cmpx_eq_u32_e32 64, v25
	s_cbranch_execz .LBB243_696
; %bb.695:
	s_delay_alu instid0(VALU_DEP_2)
	v_add3_u32 v14, v12, v13, 0xfffffd80
	ds_store_2addr_b32 v14, v1, v2 offset1:8
	ds_store_2addr_b32 v14, v3, v4 offset0:16 offset1:24
	ds_store_2addr_b32 v14, v5, v6 offset0:32 offset1:40
	;; [unrolled: 1-line block ×4, first 2 shown]
.LBB243_696:
	s_or_b32 exec_lo, exec_lo, s0
	v_cmp_eq_u32_e32 vcc_lo, 0, v24
	s_mov_b32 s1, exec_lo
	s_waitcnt lgkmcnt(0)
	s_barrier
	buffer_gl0_inv
	v_cmpx_gt_u32_e32 64, v0
	s_cbranch_execz .LBB243_709
; %bb.697:
	s_and_saveexec_b32 s0, vcc_lo
	s_cbranch_execnz .LBB243_727
; %bb.698:
	s_or_b32 exec_lo, exec_lo, s0
	s_and_saveexec_b32 s0, vcc_lo
	s_cbranch_execnz .LBB243_728
.LBB243_699:
	s_or_b32 exec_lo, exec_lo, s0
	s_and_saveexec_b32 s0, vcc_lo
	s_cbranch_execnz .LBB243_729
.LBB243_700:
	s_or_b32 exec_lo, exec_lo, s0
	s_and_saveexec_b32 s0, vcc_lo
	s_cbranch_execnz .LBB243_730
.LBB243_701:
	s_or_b32 exec_lo, exec_lo, s0
	s_and_saveexec_b32 s0, vcc_lo
	s_cbranch_execnz .LBB243_731
.LBB243_702:
	s_or_b32 exec_lo, exec_lo, s0
	s_and_saveexec_b32 s0, vcc_lo
	s_cbranch_execnz .LBB243_732
.LBB243_703:
	s_or_b32 exec_lo, exec_lo, s0
	s_and_saveexec_b32 s0, vcc_lo
	s_cbranch_execnz .LBB243_733
.LBB243_704:
	s_or_b32 exec_lo, exec_lo, s0
	s_and_saveexec_b32 s0, vcc_lo
	s_cbranch_execnz .LBB243_734
.LBB243_705:
	s_or_b32 exec_lo, exec_lo, s0
	s_and_saveexec_b32 s0, vcc_lo
	s_cbranch_execnz .LBB243_735
.LBB243_706:
	s_or_b32 exec_lo, exec_lo, s0
	s_and_saveexec_b32 s0, vcc_lo
	s_cbranch_execz .LBB243_708
.LBB243_707:
	v_lshl_add_u32 v14, v11, 2, v12
	ds_load_b32 v14, v14 offset:288
	s_waitcnt lgkmcnt(0)
	v_add_f32_e32 v10, v10, v14
.LBB243_708:
	s_or_b32 exec_lo, exec_lo, s0
.LBB243_709:
	s_delay_alu instid0(SALU_CYCLE_1)
	s_or_b32 exec_lo, exec_lo, s1
	v_and_b32_e32 v14, 0x3e3, v0
	s_mov_b32 s1, exec_lo
	s_barrier
	buffer_gl0_inv
	v_cmpx_eq_u32_e32 32, v14
	s_cbranch_execz .LBB243_711
; %bb.710:
	v_add3_u32 v13, v12, v13, 0xfffffec0
	ds_store_2addr_b32 v13, v1, v2 offset1:8
	ds_store_2addr_b32 v13, v3, v4 offset0:16 offset1:24
	ds_store_2addr_b32 v13, v5, v6 offset0:32 offset1:40
	;; [unrolled: 1-line block ×4, first 2 shown]
.LBB243_711:
	s_or_b32 exec_lo, exec_lo, s1
	s_delay_alu instid0(SALU_CYCLE_1)
	s_mov_b32 s1, exec_lo
	s_waitcnt lgkmcnt(0)
	s_barrier
	buffer_gl0_inv
	v_cmpx_gt_u32_e32 32, v0
	s_cbranch_execz .LBB243_724
; %bb.712:
	v_lshl_add_u32 v11, v11, 2, v12
	s_and_saveexec_b32 s0, vcc_lo
	s_cbranch_execnz .LBB243_736
; %bb.713:
	s_or_b32 exec_lo, exec_lo, s0
	s_and_saveexec_b32 s0, vcc_lo
	s_cbranch_execnz .LBB243_737
.LBB243_714:
	s_or_b32 exec_lo, exec_lo, s0
	s_and_saveexec_b32 s0, vcc_lo
	s_cbranch_execnz .LBB243_738
.LBB243_715:
	s_or_b32 exec_lo, exec_lo, s0
	s_and_saveexec_b32 s0, vcc_lo
	s_cbranch_execnz .LBB243_739
.LBB243_716:
	s_or_b32 exec_lo, exec_lo, s0
	s_and_saveexec_b32 s0, vcc_lo
	s_cbranch_execnz .LBB243_740
.LBB243_717:
	s_or_b32 exec_lo, exec_lo, s0
	s_and_saveexec_b32 s0, vcc_lo
	s_cbranch_execnz .LBB243_741
.LBB243_718:
	s_or_b32 exec_lo, exec_lo, s0
	s_and_saveexec_b32 s0, vcc_lo
	s_cbranch_execnz .LBB243_742
.LBB243_719:
	s_or_b32 exec_lo, exec_lo, s0
	s_and_saveexec_b32 s0, vcc_lo
	s_cbranch_execnz .LBB243_743
.LBB243_720:
	s_or_b32 exec_lo, exec_lo, s0
	s_and_saveexec_b32 s0, vcc_lo
	s_cbranch_execnz .LBB243_744
.LBB243_721:
	s_or_b32 exec_lo, exec_lo, s0
	s_and_saveexec_b32 s0, vcc_lo
	s_cbranch_execz .LBB243_723
.LBB243_722:
	ds_load_b32 v11, v11 offset:288
	s_waitcnt lgkmcnt(0)
	v_add_f32_e32 v10, v10, v11
.LBB243_723:
	s_or_b32 exec_lo, exec_lo, s0
.LBB243_724:
	s_delay_alu instid0(SALU_CYCLE_1)
	s_or_b32 exec_lo, exec_lo, s1
	s_barrier
	buffer_gl0_inv
	s_mov_b32 s0, exec_lo
	v_cmpx_eq_u32_e32 0, v14
	s_cbranch_execz .LBB243_726
; %bb.725:
	s_mul_i32 s0, s6, 0x50
	s_mul_i32 s2, s15, s20
	s_ashr_i32 s1, s0, 31
	s_delay_alu instid0(SALU_CYCLE_1) | instskip(NEXT) | instid1(SALU_CYCLE_1)
	s_lshl_b64 s[0:1], s[0:1], 2
	s_add_u32 s4, s22, s0
	s_addc_u32 s5, s23, s1
	s_ashr_i32 s3, s2, 31
	s_delay_alu instid0(SALU_CYCLE_1) | instskip(SKIP_4) | instid1(SALU_CYCLE_1)
	s_lshl_b64 s[0:1], s[2:3], 2
	s_mul_i32 s2, s12, 0x50
	s_add_u32 s4, s4, s0
	s_addc_u32 s5, s5, s1
	s_ashr_i32 s3, s2, 31
	s_lshl_b64 s[0:1], s[2:3], 2
	s_delay_alu instid0(SALU_CYCLE_1)
	s_add_u32 s0, s4, s0
	s_addc_u32 s1, s5, s1
	s_clause 0x9
	global_store_b32 v0, v1, s[0:1]
	global_store_b32 v0, v2, s[0:1] offset:32
	global_store_b32 v0, v3, s[0:1] offset:64
	;; [unrolled: 1-line block ×9, first 2 shown]
.LBB243_726:
	s_nop 0
	s_sendmsg sendmsg(MSG_DEALLOC_VGPRS)
	s_endpgm
.LBB243_727:
	v_lshl_add_u32 v14, v11, 2, v12
	ds_load_b32 v14, v14
	s_waitcnt lgkmcnt(0)
	v_add_f32_e32 v1, v1, v14
	s_or_b32 exec_lo, exec_lo, s0
	s_and_saveexec_b32 s0, vcc_lo
	s_cbranch_execz .LBB243_699
.LBB243_728:
	v_lshl_add_u32 v14, v11, 2, v12
	ds_load_b32 v14, v14 offset:32
	s_waitcnt lgkmcnt(0)
	v_add_f32_e32 v2, v2, v14
	s_or_b32 exec_lo, exec_lo, s0
	s_and_saveexec_b32 s0, vcc_lo
	s_cbranch_execz .LBB243_700
.LBB243_729:
	v_lshl_add_u32 v14, v11, 2, v12
	ds_load_b32 v14, v14 offset:64
	s_waitcnt lgkmcnt(0)
	v_add_f32_e32 v3, v3, v14
	s_or_b32 exec_lo, exec_lo, s0
	s_and_saveexec_b32 s0, vcc_lo
	s_cbranch_execz .LBB243_701
.LBB243_730:
	v_lshl_add_u32 v14, v11, 2, v12
	ds_load_b32 v14, v14 offset:96
	s_waitcnt lgkmcnt(0)
	v_add_f32_e32 v4, v4, v14
	s_or_b32 exec_lo, exec_lo, s0
	s_and_saveexec_b32 s0, vcc_lo
	s_cbranch_execz .LBB243_702
.LBB243_731:
	v_lshl_add_u32 v14, v11, 2, v12
	ds_load_b32 v14, v14 offset:128
	s_waitcnt lgkmcnt(0)
	v_add_f32_e32 v5, v5, v14
	s_or_b32 exec_lo, exec_lo, s0
	s_and_saveexec_b32 s0, vcc_lo
	s_cbranch_execz .LBB243_703
.LBB243_732:
	v_lshl_add_u32 v14, v11, 2, v12
	ds_load_b32 v14, v14 offset:160
	s_waitcnt lgkmcnt(0)
	v_add_f32_e32 v6, v6, v14
	s_or_b32 exec_lo, exec_lo, s0
	s_and_saveexec_b32 s0, vcc_lo
	s_cbranch_execz .LBB243_704
.LBB243_733:
	v_lshl_add_u32 v14, v11, 2, v12
	ds_load_b32 v14, v14 offset:192
	s_waitcnt lgkmcnt(0)
	v_add_f32_e32 v7, v7, v14
	s_or_b32 exec_lo, exec_lo, s0
	s_and_saveexec_b32 s0, vcc_lo
	s_cbranch_execz .LBB243_705
.LBB243_734:
	v_lshl_add_u32 v14, v11, 2, v12
	ds_load_b32 v14, v14 offset:224
	s_waitcnt lgkmcnt(0)
	v_add_f32_e32 v8, v8, v14
	s_or_b32 exec_lo, exec_lo, s0
	s_and_saveexec_b32 s0, vcc_lo
	s_cbranch_execz .LBB243_706
.LBB243_735:
	v_lshl_add_u32 v14, v11, 2, v12
	ds_load_b32 v14, v14 offset:256
	s_waitcnt lgkmcnt(0)
	v_add_f32_e32 v9, v9, v14
	s_or_b32 exec_lo, exec_lo, s0
	s_and_saveexec_b32 s0, vcc_lo
	s_cbranch_execnz .LBB243_707
	s_branch .LBB243_708
.LBB243_736:
	ds_load_b32 v12, v11
	s_waitcnt lgkmcnt(0)
	v_add_f32_e32 v1, v1, v12
	s_or_b32 exec_lo, exec_lo, s0
	s_and_saveexec_b32 s0, vcc_lo
	s_cbranch_execz .LBB243_714
.LBB243_737:
	ds_load_b32 v12, v11 offset:32
	s_waitcnt lgkmcnt(0)
	v_add_f32_e32 v2, v2, v12
	s_or_b32 exec_lo, exec_lo, s0
	s_and_saveexec_b32 s0, vcc_lo
	s_cbranch_execz .LBB243_715
.LBB243_738:
	ds_load_b32 v12, v11 offset:64
	s_waitcnt lgkmcnt(0)
	v_add_f32_e32 v3, v3, v12
	s_or_b32 exec_lo, exec_lo, s0
	s_and_saveexec_b32 s0, vcc_lo
	s_cbranch_execz .LBB243_716
.LBB243_739:
	ds_load_b32 v12, v11 offset:96
	s_waitcnt lgkmcnt(0)
	v_add_f32_e32 v4, v4, v12
	s_or_b32 exec_lo, exec_lo, s0
	s_and_saveexec_b32 s0, vcc_lo
	s_cbranch_execz .LBB243_717
.LBB243_740:
	ds_load_b32 v12, v11 offset:128
	s_waitcnt lgkmcnt(0)
	v_add_f32_e32 v5, v5, v12
	s_or_b32 exec_lo, exec_lo, s0
	s_and_saveexec_b32 s0, vcc_lo
	s_cbranch_execz .LBB243_718
.LBB243_741:
	ds_load_b32 v12, v11 offset:160
	s_waitcnt lgkmcnt(0)
	v_add_f32_e32 v6, v6, v12
	s_or_b32 exec_lo, exec_lo, s0
	s_and_saveexec_b32 s0, vcc_lo
	s_cbranch_execz .LBB243_719
.LBB243_742:
	ds_load_b32 v12, v11 offset:192
	s_waitcnt lgkmcnt(0)
	v_add_f32_e32 v7, v7, v12
	s_or_b32 exec_lo, exec_lo, s0
	s_and_saveexec_b32 s0, vcc_lo
	s_cbranch_execz .LBB243_720
.LBB243_743:
	ds_load_b32 v12, v11 offset:224
	s_waitcnt lgkmcnt(0)
	v_add_f32_e32 v8, v8, v12
	s_or_b32 exec_lo, exec_lo, s0
	s_and_saveexec_b32 s0, vcc_lo
	s_cbranch_execz .LBB243_721
.LBB243_744:
	ds_load_b32 v12, v11 offset:256
	s_waitcnt lgkmcnt(0)
	v_add_f32_e32 v9, v9, v12
	s_or_b32 exec_lo, exec_lo, s0
	s_and_saveexec_b32 s0, vcc_lo
	s_cbranch_execnz .LBB243_722
	s_branch .LBB243_723
	.section	.rodata,"a",@progbits
	.p2align	6, 0x0
	.amdhsa_kernel _ZN4vllm25paged_attention_v2_kernelIfhLi80ELi16ELi128ELNS_18Fp8KVCacheDataTypeE1ELb0ELi512EEEvPfS2_PT_PKS3_PKT0_S9_ifPKiSB_iPKfiiiSD_SD_iiiii
		.amdhsa_group_segment_fixed_size 352
		.amdhsa_private_segment_fixed_size 0
		.amdhsa_kernarg_size 400
		.amdhsa_user_sgpr_count 13
		.amdhsa_user_sgpr_dispatch_ptr 0
		.amdhsa_user_sgpr_queue_ptr 0
		.amdhsa_user_sgpr_kernarg_segment_ptr 1
		.amdhsa_user_sgpr_dispatch_id 0
		.amdhsa_user_sgpr_private_segment_size 0
		.amdhsa_wavefront_size32 1
		.amdhsa_uses_dynamic_stack 0
		.amdhsa_enable_private_segment 0
		.amdhsa_system_sgpr_workgroup_id_x 1
		.amdhsa_system_sgpr_workgroup_id_y 1
		.amdhsa_system_sgpr_workgroup_id_z 1
		.amdhsa_system_sgpr_workgroup_info 0
		.amdhsa_system_vgpr_workitem_id 0
		.amdhsa_next_free_vgpr 142
		.amdhsa_next_free_sgpr 46
		.amdhsa_reserve_vcc 1
		.amdhsa_float_round_mode_32 0
		.amdhsa_float_round_mode_16_64 0
		.amdhsa_float_denorm_mode_32 3
		.amdhsa_float_denorm_mode_16_64 3
		.amdhsa_dx10_clamp 1
		.amdhsa_ieee_mode 1
		.amdhsa_fp16_overflow 0
		.amdhsa_workgroup_processor_mode 1
		.amdhsa_memory_ordered 1
		.amdhsa_forward_progress 0
		.amdhsa_shared_vgpr_count 0
		.amdhsa_exception_fp_ieee_invalid_op 0
		.amdhsa_exception_fp_denorm_src 0
		.amdhsa_exception_fp_ieee_div_zero 0
		.amdhsa_exception_fp_ieee_overflow 0
		.amdhsa_exception_fp_ieee_underflow 0
		.amdhsa_exception_fp_ieee_inexact 0
		.amdhsa_exception_int_div_zero 0
	.end_amdhsa_kernel
	.section	.text._ZN4vllm25paged_attention_v2_kernelIfhLi80ELi16ELi128ELNS_18Fp8KVCacheDataTypeE1ELb0ELi512EEEvPfS2_PT_PKS3_PKT0_S9_ifPKiSB_iPKfiiiSD_SD_iiiii,"axG",@progbits,_ZN4vllm25paged_attention_v2_kernelIfhLi80ELi16ELi128ELNS_18Fp8KVCacheDataTypeE1ELb0ELi512EEEvPfS2_PT_PKS3_PKT0_S9_ifPKiSB_iPKfiiiSD_SD_iiiii,comdat
.Lfunc_end243:
	.size	_ZN4vllm25paged_attention_v2_kernelIfhLi80ELi16ELi128ELNS_18Fp8KVCacheDataTypeE1ELb0ELi512EEEvPfS2_PT_PKS3_PKT0_S9_ifPKiSB_iPKfiiiSD_SD_iiiii, .Lfunc_end243-_ZN4vllm25paged_attention_v2_kernelIfhLi80ELi16ELi128ELNS_18Fp8KVCacheDataTypeE1ELb0ELi512EEEvPfS2_PT_PKS3_PKT0_S9_ifPKiSB_iPKfiiiSD_SD_iiiii
                                        ; -- End function
	.section	.AMDGPU.csdata,"",@progbits
; Kernel info:
; codeLenInByte = 25476
; NumSgprs: 48
; NumVgprs: 142
; ScratchSize: 0
; MemoryBound: 0
; FloatMode: 240
; IeeeMode: 1
; LDSByteSize: 352 bytes/workgroup (compile time only)
; SGPRBlocks: 5
; VGPRBlocks: 17
; NumSGPRsForWavesPerEU: 48
; NumVGPRsForWavesPerEU: 142
; Occupancy: 10
; WaveLimiterHint : 1
; COMPUTE_PGM_RSRC2:SCRATCH_EN: 0
; COMPUTE_PGM_RSRC2:USER_SGPR: 13
; COMPUTE_PGM_RSRC2:TRAP_HANDLER: 0
; COMPUTE_PGM_RSRC2:TGID_X_EN: 1
; COMPUTE_PGM_RSRC2:TGID_Y_EN: 1
; COMPUTE_PGM_RSRC2:TGID_Z_EN: 1
; COMPUTE_PGM_RSRC2:TIDIG_COMP_CNT: 0
	.section	.text._ZN4vllm25paged_attention_v2_kernelIfhLi96ELi16ELi128ELNS_18Fp8KVCacheDataTypeE1ELb0ELi512EEEvPfS2_PT_PKS3_PKT0_S9_ifPKiSB_iPKfiiiSD_SD_iiiii,"axG",@progbits,_ZN4vllm25paged_attention_v2_kernelIfhLi96ELi16ELi128ELNS_18Fp8KVCacheDataTypeE1ELb0ELi512EEEvPfS2_PT_PKS3_PKT0_S9_ifPKiSB_iPKfiiiSD_SD_iiiii,comdat
	.protected	_ZN4vllm25paged_attention_v2_kernelIfhLi96ELi16ELi128ELNS_18Fp8KVCacheDataTypeE1ELb0ELi512EEEvPfS2_PT_PKS3_PKT0_S9_ifPKiSB_iPKfiiiSD_SD_iiiii ; -- Begin function _ZN4vllm25paged_attention_v2_kernelIfhLi96ELi16ELi128ELNS_18Fp8KVCacheDataTypeE1ELb0ELi512EEEvPfS2_PT_PKS3_PKT0_S9_ifPKiSB_iPKfiiiSD_SD_iiiii
	.globl	_ZN4vllm25paged_attention_v2_kernelIfhLi96ELi16ELi128ELNS_18Fp8KVCacheDataTypeE1ELb0ELi512EEEvPfS2_PT_PKS3_PKT0_S9_ifPKiSB_iPKfiiiSD_SD_iiiii
	.p2align	8
	.type	_ZN4vllm25paged_attention_v2_kernelIfhLi96ELi16ELi128ELNS_18Fp8KVCacheDataTypeE1ELb0ELi512EEEvPfS2_PT_PKS3_PKT0_S9_ifPKiSB_iPKfiiiSD_SD_iiiii,@function
_ZN4vllm25paged_attention_v2_kernelIfhLi96ELi16ELi128ELNS_18Fp8KVCacheDataTypeE1ELb0ELi512EEEvPfS2_PT_PKS3_PKT0_S9_ifPKiSB_iPKfiiiSD_SD_iiiii: ; @_ZN4vllm25paged_attention_v2_kernelIfhLi96ELi16ELi128ELNS_18Fp8KVCacheDataTypeE1ELb0ELi512EEEvPfS2_PT_PKS3_PKT0_S9_ifPKiSB_iPKfiiiSD_SD_iiiii
; %bb.0:
	s_load_b64 s[2:3], s[0:1], 0x40
	s_mov_b32 s12, s15
	s_ashr_i32 s15, s14, 31
	s_delay_alu instid0(SALU_CYCLE_1)
	s_lshl_b64 s[4:5], s[14:15], 2
	s_waitcnt lgkmcnt(0)
	s_add_u32 s2, s2, s4
	s_addc_u32 s3, s3, s5
	s_lshl_b32 s36, s12, 9
	s_load_b32 s33, s[2:3], 0x0
	s_waitcnt lgkmcnt(0)
	s_cmp_ge_i32 s36, s33
	s_cbranch_scc1 .LBB244_862
; %bb.1:
	s_mov_b32 s24, s13
	s_clause 0x1
	s_load_b32 s13, s[0:1], 0x90
	s_load_b64 s[34:35], s[0:1], 0x30
	s_mov_b32 s37, 0
	s_waitcnt lgkmcnt(0)
	s_abs_i32 s5, s13
	s_abs_i32 s2, s34
	s_delay_alu instid0(SALU_CYCLE_1) | instskip(SKIP_1) | instid1(VALU_DEP_1)
	v_cvt_f32_u32_e32 v1, s2
	s_sub_i32 s4, 0, s2
	v_rcp_iflag_f32_e32 v1, v1
	s_waitcnt_depctr 0xfff
	v_mul_f32_e32 v1, 0x4f7ffffe, v1
	s_delay_alu instid0(VALU_DEP_1) | instskip(NEXT) | instid1(VALU_DEP_1)
	v_cvt_u32_f32_e32 v1, v1
	v_readfirstlane_b32 s3, v1
	s_delay_alu instid0(VALU_DEP_1) | instskip(NEXT) | instid1(SALU_CYCLE_1)
	s_mul_i32 s4, s4, s3
	s_mul_hi_u32 s4, s3, s4
	s_delay_alu instid0(SALU_CYCLE_1) | instskip(SKIP_4) | instid1(SALU_CYCLE_1)
	s_add_i32 s3, s3, s4
	s_xor_b32 s4, s13, s34
	s_mul_hi_u32 s3, s5, s3
	s_ashr_i32 s4, s4, 31
	s_mul_i32 s6, s3, s2
	s_sub_i32 s5, s5, s6
	s_add_i32 s6, s3, 1
	s_sub_i32 s7, s5, s2
	s_cmp_ge_u32 s5, s2
	s_cselect_b32 s3, s6, s3
	s_cselect_b32 s5, s7, s5
	s_add_i32 s6, s3, 1
	s_cmp_ge_u32 s5, s2
	s_cselect_b32 s2, s6, s3
	s_abs_i32 s10, s24
	s_xor_b32 s2, s2, s4
	s_delay_alu instid0(SALU_CYCLE_1) | instskip(SKIP_2) | instid1(SALU_CYCLE_1)
	s_sub_i32 s11, s2, s4
	s_load_b64 s[2:3], s[0:1], 0x50
	s_abs_i32 s8, s11
	v_cvt_f32_u32_e32 v1, s8
	s_sub_i32 s5, 0, s8
	s_delay_alu instid0(VALU_DEP_1) | instskip(SKIP_2) | instid1(VALU_DEP_1)
	v_rcp_iflag_f32_e32 v1, v1
	s_waitcnt_depctr 0xfff
	v_mul_f32_e32 v1, 0x4f7ffffe, v1
	v_cvt_u32_f32_e32 v1, v1
	s_delay_alu instid0(VALU_DEP_1) | instskip(NEXT) | instid1(VALU_DEP_1)
	v_readfirstlane_b32 s4, v1
	s_mul_i32 s5, s5, s4
	s_delay_alu instid0(SALU_CYCLE_1) | instskip(NEXT) | instid1(SALU_CYCLE_1)
	s_mul_hi_u32 s5, s4, s5
	s_add_i32 s4, s4, s5
	s_waitcnt lgkmcnt(0)
	s_cmp_eq_u64 s[2:3], 0
	s_mul_hi_u32 s9, s10, s4
	s_cbranch_scc1 .LBB244_3
; %bb.2:
	s_ashr_i32 s25, s24, 31
	s_delay_alu instid0(SALU_CYCLE_1) | instskip(NEXT) | instid1(SALU_CYCLE_1)
	s_lshl_b64 s[4:5], s[24:25], 2
	s_add_u32 s2, s2, s4
	s_addc_u32 s3, s3, s5
	s_load_b32 s37, s[2:3], 0x0
.LBB244_3:
	s_load_b128 s[4:7], s[0:1], 0x58
	v_and_b32_e32 v51, 1, v0
	v_lshlrev_b32_e32 v154, 2, v0
	s_ashr_i32 s2, s24, 31
	s_ashr_i32 s3, s11, 31
	s_mul_i32 s20, s24, 0x60
	s_waitcnt lgkmcnt(0)
	s_mov_b32 s7, exec_lo
	v_cmpx_gt_u32_e32 48, v0
	s_cbranch_execz .LBB244_5
; %bb.4:
	s_load_b64 s[16:17], s[0:1], 0x18
	s_mul_i32 s18, s14, s4
	v_lshlrev_b32_e32 v1, 3, v0
	s_ashr_i32 s19, s18, 31
	v_and_b32_e32 v3, 0xff8, v154
	s_lshl_b64 s[18:19], s[18:19], 2
	s_delay_alu instid0(VALU_DEP_1) | instskip(SKIP_4) | instid1(SALU_CYCLE_1)
	v_mad_u32_u24 v3, 0xc0, v51, v3
	s_waitcnt lgkmcnt(0)
	s_add_u32 s4, s16, s18
	s_addc_u32 s11, s17, s19
	s_ashr_i32 s21, s20, 31
	s_lshl_b64 s[16:17], s[20:21], 2
	s_delay_alu instid0(SALU_CYCLE_1)
	s_add_u32 s16, s4, s16
	s_addc_u32 s17, s11, s17
	global_load_b64 v[1:2], v1, s[16:17]
	s_waitcnt vmcnt(0)
	ds_store_b64 v3, v[1:2]
.LBB244_5:
	s_or_b32 exec_lo, exec_lo, s7
	s_add_i32 s7, s33, 15
	s_lshl_b32 s4, s12, 5
	s_ashr_i32 s11, s7, 31
	s_xor_b32 s2, s2, s3
	s_lshr_b32 s11, s11, 28
	s_add_i32 s3, s4, 32
	s_add_i32 s7, s7, s11
	v_lshrrev_b32_e32 v153, 5, v0
	s_ashr_i32 s25, s7, 4
	s_mul_i32 s7, s9, s8
	s_min_i32 s21, s3, s25
	s_clause 0x1
	s_load_b64 s[26:27], s[0:1], 0x38
	s_load_b32 s3, s[0:1], 0x48
	s_sub_i32 s7, s10, s7
	s_add_i32 s10, s9, 1
	s_sub_i32 s11, s7, s8
	s_cmp_ge_u32 s7, s8
	v_or_b32_e32 v49, s4, v153
	s_cselect_b32 s9, s10, s9
	s_cselect_b32 s7, s11, s7
	s_add_i32 s10, s9, 1
	s_cmp_ge_u32 s7, s8
	v_mbcnt_lo_u32_b32 v155, -1, 0
	s_cselect_b32 s7, s10, s9
	s_waitcnt lgkmcnt(0)
	s_xor_b32 s7, s7, s2
	s_barrier
	s_sub_i32 s34, s7, s2
	v_cmp_gt_i32_e64 s2, s21, v49
	s_mov_b32 s7, exec_lo
	buffer_gl0_inv
                                        ; implicit-def: $vgpr156
	s_mul_i32 s28, s14, s3
                                        ; implicit-def: $sgpr3
	s_delay_alu instid0(SALU_CYCLE_1)
	s_ashr_i32 s29, s28, 31
	v_cmpx_le_i32_e64 s21, v49
	s_xor_b32 s7, exec_lo, s7
; %bb.6:
	v_mbcnt_lo_u32_b32 v155, -1, 0
	v_mov_b32_e32 v156, 32
	s_mov_b32 s3, 0xff7fffff
                                        ; implicit-def: $vgpr51
; %bb.7:
	s_or_saveexec_b32 s38, s7
	s_clause 0x4
	s_load_b128 s[16:19], s[0:1], 0x0
	s_load_b64 s[22:23], s[0:1], 0x10
	s_load_b32 s15, s[0:1], 0x98
	s_load_b64 s[30:31], s[0:1], 0x28
	s_load_b128 s[8:11], s[0:1], 0x68
	v_mov_b32_e32 v158, s3
	v_ashrrev_i32_e32 v50, 31, v49
	s_mul_i32 s34, s34, s6
	s_xor_b32 exec_lo, exec_lo, s38
	s_cbranch_execz .LBB244_397
; %bb.8:
	s_load_b64 s[0:1], s[0:1], 0x20
	v_xor_b32_e32 v41, 1, v155
	v_bfe_u32 v55, v0, 1, 4
	v_mul_u32_u24_e32 v45, 0xc0, v51
	s_ashr_i32 s3, s34, 31
	ds_load_b128 v[1:4], v45
	ds_load_b128 v[5:8], v45 offset:16
	ds_load_b128 v[9:12], v45 offset:32
	;; [unrolled: 1-line block ×5, first 2 shown]
	v_cmp_gt_i32_e32 vcc_lo, 32, v41
	v_dual_mov_b32 v156, 32 :: v_dual_lshlrev_b32 v25, 4, v55
	v_dual_mov_b32 v52, 0 :: v_dual_lshlrev_b32 v57, 2, v55
	v_dual_cndmask_b32 v56, v155, v41 :: v_dual_lshlrev_b32 v157, 1, v51
	v_cmp_eq_u32_e32 vcc_lo, 0, v51
	s_delay_alu instid0(VALU_DEP_3)
	v_lshl_or_b32 v51, v153, 6, v57
	v_mov_b32_e32 v158, 0xff7fffff
	v_mov_b32_e32 v162, v49
	s_waitcnt lgkmcnt(0)
	s_add_u32 s0, s0, s34
	v_lshlrev_b32_e32 v159, 2, v56
	v_add_co_u32 v53, s0, s0, v25
	ds_load_b128 v[25:28], v45 offset:96
	ds_load_b128 v[29:32], v45 offset:112
	;; [unrolled: 1-line block ×6, first 2 shown]
	s_load_b32 s40, s[8:9], 0x0
	v_lshlrev_b32_e32 v56, 4, v153
	s_addc_u32 s1, s1, s3
	s_lshl_b64 s[8:9], s[28:29], 2
	s_sub_i32 s41, 1, s33
	v_add_co_ci_u32_e64 v54, null, s1, 0, s0
	v_add3_u32 v160, s36, v56, v55
	v_lshlrev_b64 v[55:56], 2, v[49:50]
	s_add_u32 s1, s26, s8
	s_addc_u32 s3, s27, s9
	v_cmp_neq_f32_e64 s0, s37, 0
	v_add_nc_u32_e32 v161, 0x1a0, v51
	s_mov_b32 s6, 0
	v_add_co_u32 v55, s1, s1, v55
	s_delay_alu instid0(VALU_DEP_1)
	v_add_co_ci_u32_e64 v56, s1, s3, v56, s1
	s_mov_b32 s39, s5
	s_brev_b32 s7, 1
	s_waitcnt lgkmcnt(0)
	s_mov_b32 s42, s40
	s_mov_b32 s9, 0x7f800001
	;; [unrolled: 1-line block ×3, first 2 shown]
	s_branch .LBB244_10
.LBB244_9:                              ;   in Loop: Header=BB244_10 Depth=1
	s_or_b32 exec_lo, exec_lo, s3
	v_add_nc_u32_e32 v162, 4, v162
	v_add_co_u32 v55, s3, v55, 16
	v_add_nc_u32_e32 v160, 64, v160
	v_add_nc_u32_e32 v161, 0x100, v161
	s_delay_alu instid0(VALU_DEP_4) | instskip(SKIP_1) | instid1(VALU_DEP_2)
	v_cmp_le_i32_e64 s1, s21, v162
	v_add_co_ci_u32_e64 v56, s3, 0, v56, s3
	s_or_b32 s43, s1, s43
	s_delay_alu instid0(SALU_CYCLE_1)
	s_and_not1_b32 exec_lo, exec_lo, s43
	s_cbranch_execz .LBB244_396
.LBB244_10:                             ; =>This Inner Loop Header: Depth=1
	global_load_b32 v51, v[55:56], off
	s_waitcnt vmcnt(0) lgkmcnt(0)
	v_mad_i64_i32 v[57:58], null, v51, s39, v[53:54]
	s_delay_alu instid0(VALU_DEP_1) | instskip(NEXT) | instid1(VALU_DEP_1)
	v_add_co_u32 v69, s1, v57, v157
	v_add_co_ci_u32_e64 v70, s1, 0, v58, s1
	v_mov_b32_e32 v57, 0
	global_load_u16 v51, v[69:70], off
	s_waitcnt vmcnt(0)
	v_dual_mov_b32 v58, 0 :: v_dual_and_b32 v59, 0xff, v51
	v_and_b32_e32 v61, 0xffff, v51
	s_delay_alu instid0(VALU_DEP_2) | instskip(NEXT) | instid1(VALU_DEP_3)
	v_cmp_ne_u16_e64 s1, 0, v59
	v_dual_mov_b32 v60, v58 :: v_dual_mov_b32 v59, v57
	s_delay_alu instid0(VALU_DEP_2)
	s_and_saveexec_b32 s3, s1
	s_cbranch_execz .LBB244_18
; %bb.11:                               ;   in Loop: Header=BB244_10 Depth=1
	v_bfrev_b32_e32 v59, 1
	v_dual_mov_b32 v60, 0 :: v_dual_and_b32 v51, 0xff, v61
	s_mov_b32 s8, exec_lo
	s_delay_alu instid0(VALU_DEP_1)
	v_cmpx_ne_u16_e32 0x80, v51
	s_cbranch_execz .LBB244_17
; %bb.12:                               ;   in Loop: Header=BB244_10 Depth=1
	v_mov_b32_e32 v59, 0x7f800001
	v_and_b32_e32 v62, 0x7f, v61
	v_mov_b32_e32 v60, 0
	s_mov_b32 s44, exec_lo
	s_delay_alu instid0(VALU_DEP_2)
	v_cmpx_ne_u32_e32 0x7f, v62
	s_cbranch_execz .LBB244_16
; %bb.13:                               ;   in Loop: Header=BB244_10 Depth=1
	v_and_b32_e32 v51, 7, v61
	v_lshrrev_b32_e32 v59, 3, v62
	s_mov_b32 s45, exec_lo
	v_cmpx_gt_u32_e32 8, v62
; %bb.14:                               ;   in Loop: Header=BB244_10 Depth=1
	s_delay_alu instid0(VALU_DEP_3) | instskip(NEXT) | instid1(VALU_DEP_1)
	v_clz_i32_u32_e32 v59, v51
	v_min_u32_e32 v59, 32, v59
	s_delay_alu instid0(VALU_DEP_1) | instskip(SKIP_1) | instid1(VALU_DEP_2)
	v_subrev_nc_u32_e32 v60, 28, v59
	v_sub_nc_u32_e32 v59, 29, v59
	v_lshlrev_b64 v[62:63], v60, v[51:52]
	s_delay_alu instid0(VALU_DEP_1)
	v_and_b32_e32 v51, 7, v62
; %bb.15:                               ;   in Loop: Header=BB244_10 Depth=1
	s_or_b32 exec_lo, exec_lo, s45
	v_lshlrev_b32_e32 v60, 24, v61
	s_delay_alu instid0(VALU_DEP_2) | instskip(SKIP_1) | instid1(VALU_DEP_3)
	v_lshlrev_b32_e32 v51, 20, v51
	v_lshl_add_u32 v59, v59, 23, 0x3c000000
	v_and_b32_e32 v60, 0x80000000, v60
	s_delay_alu instid0(VALU_DEP_1) | instskip(NEXT) | instid1(VALU_DEP_1)
	v_or3_b32 v51, v51, v60, v59
	v_dual_mov_b32 v60, v52 :: v_dual_mov_b32 v59, v51
.LBB244_16:                             ;   in Loop: Header=BB244_10 Depth=1
	s_or_b32 exec_lo, exec_lo, s44
.LBB244_17:                             ;   in Loop: Header=BB244_10 Depth=1
	s_delay_alu instid0(SALU_CYCLE_1)
	s_or_b32 exec_lo, exec_lo, s8
.LBB244_18:                             ;   in Loop: Header=BB244_10 Depth=1
	s_delay_alu instid0(SALU_CYCLE_1) | instskip(SKIP_2) | instid1(VALU_DEP_1)
	s_or_b32 exec_lo, exec_lo, s3
	v_lshrrev_b16 v51, 8, v61
	s_mov_b32 s3, exec_lo
	v_cmpx_ne_u16_e32 0, v51
	s_cbranch_execz .LBB244_26
; %bb.19:                               ;   in Loop: Header=BB244_10 Depth=1
	v_dual_mov_b32 v58, s7 :: v_dual_mov_b32 v57, s6
	s_mov_b32 s44, exec_lo
	v_cmpx_ne_u16_e32 0x80, v51
	s_cbranch_execz .LBB244_25
; %bb.20:                               ;   in Loop: Header=BB244_10 Depth=1
	s_mov_b32 s8, s6
	v_dual_mov_b32 v58, s9 :: v_dual_and_b32 v51, 0xffff, v51
	v_mov_b32_e32 v57, s8
	s_mov_b32 s8, exec_lo
	s_delay_alu instid0(VALU_DEP_2) | instskip(NEXT) | instid1(VALU_DEP_1)
	v_and_b32_e32 v62, 0x7f, v51
	v_cmpx_ne_u32_e32 0x7f, v62
	s_cbranch_execz .LBB244_24
; %bb.21:                               ;   in Loop: Header=BB244_10 Depth=1
	v_and_b32_e32 v51, 7, v51
	v_lshrrev_b32_e32 v57, 3, v62
	s_mov_b32 s45, exec_lo
	v_cmpx_gt_u32_e32 8, v62
; %bb.22:                               ;   in Loop: Header=BB244_10 Depth=1
	s_delay_alu instid0(VALU_DEP_3) | instskip(NEXT) | instid1(VALU_DEP_1)
	v_clz_i32_u32_e32 v57, v51
	v_min_u32_e32 v57, 32, v57
	s_delay_alu instid0(VALU_DEP_1) | instskip(SKIP_1) | instid1(VALU_DEP_2)
	v_subrev_nc_u32_e32 v58, 28, v57
	v_sub_nc_u32_e32 v57, 29, v57
	v_lshlrev_b64 v[62:63], v58, v[51:52]
	s_delay_alu instid0(VALU_DEP_1)
	v_and_b32_e32 v51, 7, v62
; %bb.23:                               ;   in Loop: Header=BB244_10 Depth=1
	s_or_b32 exec_lo, exec_lo, s45
	v_lshlrev_b32_e32 v58, 16, v61
	s_delay_alu instid0(VALU_DEP_2) | instskip(SKIP_1) | instid1(VALU_DEP_3)
	v_lshlrev_b32_e32 v51, 20, v51
	v_lshl_add_u32 v57, v57, 23, 0x3c000000
	v_and_b32_e32 v58, 0x80000000, v58
	s_delay_alu instid0(VALU_DEP_1)
	v_or3_b32 v58, v51, v58, v57
	v_mov_b32_e32 v57, v52
.LBB244_24:                             ;   in Loop: Header=BB244_10 Depth=1
	s_or_b32 exec_lo, exec_lo, s8
.LBB244_25:                             ;   in Loop: Header=BB244_10 Depth=1
	s_delay_alu instid0(SALU_CYCLE_1)
	s_or_b32 exec_lo, exec_lo, s44
.LBB244_26:                             ;   in Loop: Header=BB244_10 Depth=1
	s_delay_alu instid0(SALU_CYCLE_1)
	s_or_b32 exec_lo, exec_lo, s3
	global_load_u16 v51, v[69:70], off offset:4
	v_mov_b32_e32 v61, 0
	s_waitcnt vmcnt(0)
	v_dual_mov_b32 v62, 0 :: v_dual_and_b32 v63, 0xff, v51
	v_and_b32_e32 v65, 0xffff, v51
	s_delay_alu instid0(VALU_DEP_2) | instskip(NEXT) | instid1(VALU_DEP_3)
	v_cmp_ne_u16_e64 s1, 0, v63
	v_dual_mov_b32 v64, v62 :: v_dual_mov_b32 v63, v61
	s_delay_alu instid0(VALU_DEP_2)
	s_and_saveexec_b32 s3, s1
	s_cbranch_execz .LBB244_34
; %bb.27:                               ;   in Loop: Header=BB244_10 Depth=1
	v_bfrev_b32_e32 v63, 1
	v_dual_mov_b32 v64, 0 :: v_dual_and_b32 v51, 0xff, v65
	s_mov_b32 s8, exec_lo
	s_delay_alu instid0(VALU_DEP_1)
	v_cmpx_ne_u16_e32 0x80, v51
	s_cbranch_execz .LBB244_33
; %bb.28:                               ;   in Loop: Header=BB244_10 Depth=1
	v_mov_b32_e32 v63, 0x7f800001
	v_and_b32_e32 v66, 0x7f, v65
	v_mov_b32_e32 v64, 0
	s_mov_b32 s44, exec_lo
	s_delay_alu instid0(VALU_DEP_2)
	v_cmpx_ne_u32_e32 0x7f, v66
	s_cbranch_execz .LBB244_32
; %bb.29:                               ;   in Loop: Header=BB244_10 Depth=1
	v_and_b32_e32 v51, 7, v65
	v_lshrrev_b32_e32 v63, 3, v66
	s_mov_b32 s45, exec_lo
	v_cmpx_gt_u32_e32 8, v66
; %bb.30:                               ;   in Loop: Header=BB244_10 Depth=1
	s_delay_alu instid0(VALU_DEP_3) | instskip(NEXT) | instid1(VALU_DEP_1)
	v_clz_i32_u32_e32 v63, v51
	v_min_u32_e32 v63, 32, v63
	s_delay_alu instid0(VALU_DEP_1) | instskip(SKIP_1) | instid1(VALU_DEP_2)
	v_subrev_nc_u32_e32 v64, 28, v63
	v_sub_nc_u32_e32 v63, 29, v63
	v_lshlrev_b64 v[66:67], v64, v[51:52]
	s_delay_alu instid0(VALU_DEP_1)
	v_and_b32_e32 v51, 7, v66
; %bb.31:                               ;   in Loop: Header=BB244_10 Depth=1
	s_or_b32 exec_lo, exec_lo, s45
	v_lshlrev_b32_e32 v64, 24, v65
	s_delay_alu instid0(VALU_DEP_2) | instskip(SKIP_1) | instid1(VALU_DEP_3)
	v_lshlrev_b32_e32 v51, 20, v51
	v_lshl_add_u32 v63, v63, 23, 0x3c000000
	v_and_b32_e32 v64, 0x80000000, v64
	s_delay_alu instid0(VALU_DEP_1) | instskip(NEXT) | instid1(VALU_DEP_1)
	v_or3_b32 v51, v51, v64, v63
	v_dual_mov_b32 v64, v52 :: v_dual_mov_b32 v63, v51
.LBB244_32:                             ;   in Loop: Header=BB244_10 Depth=1
	s_or_b32 exec_lo, exec_lo, s44
.LBB244_33:                             ;   in Loop: Header=BB244_10 Depth=1
	s_delay_alu instid0(SALU_CYCLE_1)
	s_or_b32 exec_lo, exec_lo, s8
.LBB244_34:                             ;   in Loop: Header=BB244_10 Depth=1
	s_delay_alu instid0(SALU_CYCLE_1) | instskip(SKIP_2) | instid1(VALU_DEP_1)
	s_or_b32 exec_lo, exec_lo, s3
	v_lshrrev_b16 v51, 8, v65
	s_mov_b32 s3, exec_lo
	v_cmpx_ne_u16_e32 0, v51
	s_cbranch_execz .LBB244_42
; %bb.35:                               ;   in Loop: Header=BB244_10 Depth=1
	v_dual_mov_b32 v62, s7 :: v_dual_mov_b32 v61, s6
	s_mov_b32 s44, exec_lo
	v_cmpx_ne_u16_e32 0x80, v51
	s_cbranch_execz .LBB244_41
; %bb.36:                               ;   in Loop: Header=BB244_10 Depth=1
	s_mov_b32 s8, s6
	v_dual_mov_b32 v62, s9 :: v_dual_and_b32 v51, 0xffff, v51
	v_mov_b32_e32 v61, s8
	s_mov_b32 s8, exec_lo
	s_delay_alu instid0(VALU_DEP_2) | instskip(NEXT) | instid1(VALU_DEP_1)
	v_and_b32_e32 v66, 0x7f, v51
	v_cmpx_ne_u32_e32 0x7f, v66
	s_cbranch_execz .LBB244_40
; %bb.37:                               ;   in Loop: Header=BB244_10 Depth=1
	v_and_b32_e32 v51, 7, v51
	v_lshrrev_b32_e32 v61, 3, v66
	s_mov_b32 s45, exec_lo
	v_cmpx_gt_u32_e32 8, v66
; %bb.38:                               ;   in Loop: Header=BB244_10 Depth=1
	s_delay_alu instid0(VALU_DEP_3) | instskip(NEXT) | instid1(VALU_DEP_1)
	v_clz_i32_u32_e32 v61, v51
	v_min_u32_e32 v61, 32, v61
	s_delay_alu instid0(VALU_DEP_1) | instskip(SKIP_1) | instid1(VALU_DEP_2)
	v_subrev_nc_u32_e32 v62, 28, v61
	v_sub_nc_u32_e32 v61, 29, v61
	v_lshlrev_b64 v[66:67], v62, v[51:52]
	s_delay_alu instid0(VALU_DEP_1)
	v_and_b32_e32 v51, 7, v66
; %bb.39:                               ;   in Loop: Header=BB244_10 Depth=1
	s_or_b32 exec_lo, exec_lo, s45
	v_lshlrev_b32_e32 v62, 16, v65
	s_delay_alu instid0(VALU_DEP_2) | instskip(SKIP_1) | instid1(VALU_DEP_3)
	v_lshlrev_b32_e32 v51, 20, v51
	v_lshl_add_u32 v61, v61, 23, 0x3c000000
	v_and_b32_e32 v62, 0x80000000, v62
	s_delay_alu instid0(VALU_DEP_1)
	v_or3_b32 v62, v51, v62, v61
	v_mov_b32_e32 v61, v52
.LBB244_40:                             ;   in Loop: Header=BB244_10 Depth=1
	s_or_b32 exec_lo, exec_lo, s8
.LBB244_41:                             ;   in Loop: Header=BB244_10 Depth=1
	s_delay_alu instid0(SALU_CYCLE_1)
	s_or_b32 exec_lo, exec_lo, s44
.LBB244_42:                             ;   in Loop: Header=BB244_10 Depth=1
	s_delay_alu instid0(SALU_CYCLE_1)
	s_or_b32 exec_lo, exec_lo, s3
	global_load_u16 v51, v[69:70], off offset:8
	v_mov_b32_e32 v65, 0
	s_waitcnt vmcnt(0)
	v_dual_mov_b32 v66, 0 :: v_dual_and_b32 v67, 0xff, v51
	v_and_b32_e32 v71, 0xffff, v51
	s_delay_alu instid0(VALU_DEP_2) | instskip(NEXT) | instid1(VALU_DEP_3)
	v_cmp_ne_u16_e64 s1, 0, v67
	v_dual_mov_b32 v68, v66 :: v_dual_mov_b32 v67, v65
	s_delay_alu instid0(VALU_DEP_2)
	s_and_saveexec_b32 s3, s1
	s_cbranch_execz .LBB244_50
; %bb.43:                               ;   in Loop: Header=BB244_10 Depth=1
	v_bfrev_b32_e32 v67, 1
	v_dual_mov_b32 v68, 0 :: v_dual_and_b32 v51, 0xff, v71
	s_mov_b32 s8, exec_lo
	s_delay_alu instid0(VALU_DEP_1)
	v_cmpx_ne_u16_e32 0x80, v51
	s_cbranch_execz .LBB244_49
; %bb.44:                               ;   in Loop: Header=BB244_10 Depth=1
	v_mov_b32_e32 v67, 0x7f800001
	v_and_b32_e32 v72, 0x7f, v71
	v_mov_b32_e32 v68, 0
	s_mov_b32 s44, exec_lo
	s_delay_alu instid0(VALU_DEP_2)
	v_cmpx_ne_u32_e32 0x7f, v72
	s_cbranch_execz .LBB244_48
; %bb.45:                               ;   in Loop: Header=BB244_10 Depth=1
	v_and_b32_e32 v51, 7, v71
	v_lshrrev_b32_e32 v67, 3, v72
	s_mov_b32 s45, exec_lo
	v_cmpx_gt_u32_e32 8, v72
; %bb.46:                               ;   in Loop: Header=BB244_10 Depth=1
	s_delay_alu instid0(VALU_DEP_3) | instskip(NEXT) | instid1(VALU_DEP_1)
	v_clz_i32_u32_e32 v67, v51
	v_min_u32_e32 v67, 32, v67
	s_delay_alu instid0(VALU_DEP_1) | instskip(SKIP_1) | instid1(VALU_DEP_2)
	v_subrev_nc_u32_e32 v68, 28, v67
	v_sub_nc_u32_e32 v67, 29, v67
	v_lshlrev_b64 v[72:73], v68, v[51:52]
	s_delay_alu instid0(VALU_DEP_1)
	v_and_b32_e32 v51, 7, v72
; %bb.47:                               ;   in Loop: Header=BB244_10 Depth=1
	s_or_b32 exec_lo, exec_lo, s45
	v_lshlrev_b32_e32 v68, 24, v71
	s_delay_alu instid0(VALU_DEP_2) | instskip(SKIP_1) | instid1(VALU_DEP_3)
	v_lshlrev_b32_e32 v51, 20, v51
	v_lshl_add_u32 v67, v67, 23, 0x3c000000
	v_and_b32_e32 v68, 0x80000000, v68
	s_delay_alu instid0(VALU_DEP_1) | instskip(NEXT) | instid1(VALU_DEP_1)
	v_or3_b32 v51, v51, v68, v67
	v_dual_mov_b32 v68, v52 :: v_dual_mov_b32 v67, v51
.LBB244_48:                             ;   in Loop: Header=BB244_10 Depth=1
	s_or_b32 exec_lo, exec_lo, s44
.LBB244_49:                             ;   in Loop: Header=BB244_10 Depth=1
	s_delay_alu instid0(SALU_CYCLE_1)
	s_or_b32 exec_lo, exec_lo, s8
.LBB244_50:                             ;   in Loop: Header=BB244_10 Depth=1
	s_delay_alu instid0(SALU_CYCLE_1) | instskip(SKIP_2) | instid1(VALU_DEP_1)
	s_or_b32 exec_lo, exec_lo, s3
	v_lshrrev_b16 v51, 8, v71
	s_mov_b32 s3, exec_lo
	v_cmpx_ne_u16_e32 0, v51
	s_cbranch_execz .LBB244_58
; %bb.51:                               ;   in Loop: Header=BB244_10 Depth=1
	v_dual_mov_b32 v66, s7 :: v_dual_mov_b32 v65, s6
	s_mov_b32 s44, exec_lo
	v_cmpx_ne_u16_e32 0x80, v51
	s_cbranch_execz .LBB244_57
; %bb.52:                               ;   in Loop: Header=BB244_10 Depth=1
	s_mov_b32 s8, s6
	v_dual_mov_b32 v66, s9 :: v_dual_and_b32 v51, 0xffff, v51
	v_mov_b32_e32 v65, s8
	s_mov_b32 s8, exec_lo
	s_delay_alu instid0(VALU_DEP_2) | instskip(NEXT) | instid1(VALU_DEP_1)
	v_and_b32_e32 v72, 0x7f, v51
	v_cmpx_ne_u32_e32 0x7f, v72
	s_cbranch_execz .LBB244_56
; %bb.53:                               ;   in Loop: Header=BB244_10 Depth=1
	v_and_b32_e32 v51, 7, v51
	v_lshrrev_b32_e32 v65, 3, v72
	s_mov_b32 s45, exec_lo
	v_cmpx_gt_u32_e32 8, v72
; %bb.54:                               ;   in Loop: Header=BB244_10 Depth=1
	s_delay_alu instid0(VALU_DEP_3) | instskip(NEXT) | instid1(VALU_DEP_1)
	v_clz_i32_u32_e32 v65, v51
	v_min_u32_e32 v65, 32, v65
	s_delay_alu instid0(VALU_DEP_1) | instskip(SKIP_1) | instid1(VALU_DEP_2)
	v_subrev_nc_u32_e32 v66, 28, v65
	v_sub_nc_u32_e32 v65, 29, v65
	v_lshlrev_b64 v[72:73], v66, v[51:52]
	s_delay_alu instid0(VALU_DEP_1)
	v_and_b32_e32 v51, 7, v72
; %bb.55:                               ;   in Loop: Header=BB244_10 Depth=1
	s_or_b32 exec_lo, exec_lo, s45
	v_lshlrev_b32_e32 v66, 16, v71
	s_delay_alu instid0(VALU_DEP_2) | instskip(SKIP_1) | instid1(VALU_DEP_3)
	v_lshlrev_b32_e32 v51, 20, v51
	v_lshl_add_u32 v65, v65, 23, 0x3c000000
	v_and_b32_e32 v66, 0x80000000, v66
	s_delay_alu instid0(VALU_DEP_1)
	v_or3_b32 v66, v51, v66, v65
	v_mov_b32_e32 v65, v52
.LBB244_56:                             ;   in Loop: Header=BB244_10 Depth=1
	s_or_b32 exec_lo, exec_lo, s8
.LBB244_57:                             ;   in Loop: Header=BB244_10 Depth=1
	s_delay_alu instid0(SALU_CYCLE_1)
	s_or_b32 exec_lo, exec_lo, s44
.LBB244_58:                             ;   in Loop: Header=BB244_10 Depth=1
	s_delay_alu instid0(SALU_CYCLE_1)
	s_or_b32 exec_lo, exec_lo, s3
	global_load_u16 v51, v[69:70], off offset:12
	v_mov_b32_e32 v71, 0
	s_waitcnt vmcnt(0)
	v_dual_mov_b32 v72, 0 :: v_dual_and_b32 v73, 0xff, v51
	v_and_b32_e32 v75, 0xffff, v51
	s_delay_alu instid0(VALU_DEP_2) | instskip(NEXT) | instid1(VALU_DEP_3)
	v_cmp_ne_u16_e64 s1, 0, v73
	v_dual_mov_b32 v74, v72 :: v_dual_mov_b32 v73, v71
	s_delay_alu instid0(VALU_DEP_2)
	s_and_saveexec_b32 s3, s1
	s_cbranch_execz .LBB244_66
; %bb.59:                               ;   in Loop: Header=BB244_10 Depth=1
	v_bfrev_b32_e32 v73, 1
	v_dual_mov_b32 v74, 0 :: v_dual_and_b32 v51, 0xff, v75
	s_mov_b32 s8, exec_lo
	s_delay_alu instid0(VALU_DEP_1)
	v_cmpx_ne_u16_e32 0x80, v51
	s_cbranch_execz .LBB244_65
; %bb.60:                               ;   in Loop: Header=BB244_10 Depth=1
	v_mov_b32_e32 v73, 0x7f800001
	v_and_b32_e32 v76, 0x7f, v75
	v_mov_b32_e32 v74, 0
	s_mov_b32 s44, exec_lo
	s_delay_alu instid0(VALU_DEP_2)
	v_cmpx_ne_u32_e32 0x7f, v76
	s_cbranch_execz .LBB244_64
; %bb.61:                               ;   in Loop: Header=BB244_10 Depth=1
	v_and_b32_e32 v51, 7, v75
	v_lshrrev_b32_e32 v73, 3, v76
	s_mov_b32 s45, exec_lo
	v_cmpx_gt_u32_e32 8, v76
; %bb.62:                               ;   in Loop: Header=BB244_10 Depth=1
	s_delay_alu instid0(VALU_DEP_3) | instskip(NEXT) | instid1(VALU_DEP_1)
	v_clz_i32_u32_e32 v73, v51
	v_min_u32_e32 v73, 32, v73
	s_delay_alu instid0(VALU_DEP_1) | instskip(SKIP_1) | instid1(VALU_DEP_2)
	v_subrev_nc_u32_e32 v74, 28, v73
	v_sub_nc_u32_e32 v73, 29, v73
	v_lshlrev_b64 v[76:77], v74, v[51:52]
	s_delay_alu instid0(VALU_DEP_1)
	v_and_b32_e32 v51, 7, v76
; %bb.63:                               ;   in Loop: Header=BB244_10 Depth=1
	s_or_b32 exec_lo, exec_lo, s45
	v_lshlrev_b32_e32 v74, 24, v75
	s_delay_alu instid0(VALU_DEP_2) | instskip(SKIP_1) | instid1(VALU_DEP_3)
	v_lshlrev_b32_e32 v51, 20, v51
	v_lshl_add_u32 v73, v73, 23, 0x3c000000
	v_and_b32_e32 v74, 0x80000000, v74
	s_delay_alu instid0(VALU_DEP_1) | instskip(NEXT) | instid1(VALU_DEP_1)
	v_or3_b32 v51, v51, v74, v73
	v_dual_mov_b32 v74, v52 :: v_dual_mov_b32 v73, v51
.LBB244_64:                             ;   in Loop: Header=BB244_10 Depth=1
	s_or_b32 exec_lo, exec_lo, s44
.LBB244_65:                             ;   in Loop: Header=BB244_10 Depth=1
	s_delay_alu instid0(SALU_CYCLE_1)
	s_or_b32 exec_lo, exec_lo, s8
.LBB244_66:                             ;   in Loop: Header=BB244_10 Depth=1
	s_delay_alu instid0(SALU_CYCLE_1) | instskip(SKIP_2) | instid1(VALU_DEP_1)
	s_or_b32 exec_lo, exec_lo, s3
	v_lshrrev_b16 v51, 8, v75
	s_mov_b32 s3, exec_lo
	v_cmpx_ne_u16_e32 0, v51
	s_cbranch_execz .LBB244_74
; %bb.67:                               ;   in Loop: Header=BB244_10 Depth=1
	v_dual_mov_b32 v72, s7 :: v_dual_mov_b32 v71, s6
	s_mov_b32 s44, exec_lo
	v_cmpx_ne_u16_e32 0x80, v51
	s_cbranch_execz .LBB244_73
; %bb.68:                               ;   in Loop: Header=BB244_10 Depth=1
	s_mov_b32 s8, s6
	v_dual_mov_b32 v72, s9 :: v_dual_and_b32 v51, 0xffff, v51
	v_mov_b32_e32 v71, s8
	s_mov_b32 s8, exec_lo
	s_delay_alu instid0(VALU_DEP_2) | instskip(NEXT) | instid1(VALU_DEP_1)
	v_and_b32_e32 v76, 0x7f, v51
	v_cmpx_ne_u32_e32 0x7f, v76
	s_cbranch_execz .LBB244_72
; %bb.69:                               ;   in Loop: Header=BB244_10 Depth=1
	v_and_b32_e32 v51, 7, v51
	v_lshrrev_b32_e32 v71, 3, v76
	s_mov_b32 s45, exec_lo
	v_cmpx_gt_u32_e32 8, v76
; %bb.70:                               ;   in Loop: Header=BB244_10 Depth=1
	s_delay_alu instid0(VALU_DEP_3) | instskip(NEXT) | instid1(VALU_DEP_1)
	v_clz_i32_u32_e32 v71, v51
	v_min_u32_e32 v71, 32, v71
	s_delay_alu instid0(VALU_DEP_1) | instskip(SKIP_1) | instid1(VALU_DEP_2)
	v_subrev_nc_u32_e32 v72, 28, v71
	v_sub_nc_u32_e32 v71, 29, v71
	v_lshlrev_b64 v[76:77], v72, v[51:52]
	s_delay_alu instid0(VALU_DEP_1)
	v_and_b32_e32 v51, 7, v76
; %bb.71:                               ;   in Loop: Header=BB244_10 Depth=1
	s_or_b32 exec_lo, exec_lo, s45
	v_lshlrev_b32_e32 v72, 16, v75
	s_delay_alu instid0(VALU_DEP_2) | instskip(SKIP_1) | instid1(VALU_DEP_3)
	v_lshlrev_b32_e32 v51, 20, v51
	v_lshl_add_u32 v71, v71, 23, 0x3c000000
	v_and_b32_e32 v72, 0x80000000, v72
	s_delay_alu instid0(VALU_DEP_1)
	v_or3_b32 v72, v51, v72, v71
	v_mov_b32_e32 v71, v52
.LBB244_72:                             ;   in Loop: Header=BB244_10 Depth=1
	s_or_b32 exec_lo, exec_lo, s8
.LBB244_73:                             ;   in Loop: Header=BB244_10 Depth=1
	s_delay_alu instid0(SALU_CYCLE_1)
	s_or_b32 exec_lo, exec_lo, s44
.LBB244_74:                             ;   in Loop: Header=BB244_10 Depth=1
	s_delay_alu instid0(SALU_CYCLE_1)
	s_or_b32 exec_lo, exec_lo, s3
	global_load_u16 v51, v[69:70], off offset:256
	v_mov_b32_e32 v75, 0
	s_waitcnt vmcnt(0)
	v_dual_mov_b32 v76, 0 :: v_dual_and_b32 v77, 0xff, v51
	v_and_b32_e32 v79, 0xffff, v51
	s_delay_alu instid0(VALU_DEP_2) | instskip(NEXT) | instid1(VALU_DEP_3)
	v_cmp_ne_u16_e64 s1, 0, v77
	v_dual_mov_b32 v78, v76 :: v_dual_mov_b32 v77, v75
	s_delay_alu instid0(VALU_DEP_2)
	s_and_saveexec_b32 s3, s1
	s_cbranch_execz .LBB244_82
; %bb.75:                               ;   in Loop: Header=BB244_10 Depth=1
	v_bfrev_b32_e32 v77, 1
	v_dual_mov_b32 v78, 0 :: v_dual_and_b32 v51, 0xff, v79
	s_mov_b32 s8, exec_lo
	s_delay_alu instid0(VALU_DEP_1)
	v_cmpx_ne_u16_e32 0x80, v51
	s_cbranch_execz .LBB244_81
; %bb.76:                               ;   in Loop: Header=BB244_10 Depth=1
	v_mov_b32_e32 v77, 0x7f800001
	v_and_b32_e32 v80, 0x7f, v79
	v_mov_b32_e32 v78, 0
	s_mov_b32 s44, exec_lo
	s_delay_alu instid0(VALU_DEP_2)
	v_cmpx_ne_u32_e32 0x7f, v80
	s_cbranch_execz .LBB244_80
; %bb.77:                               ;   in Loop: Header=BB244_10 Depth=1
	v_and_b32_e32 v51, 7, v79
	v_lshrrev_b32_e32 v77, 3, v80
	s_mov_b32 s45, exec_lo
	v_cmpx_gt_u32_e32 8, v80
; %bb.78:                               ;   in Loop: Header=BB244_10 Depth=1
	s_delay_alu instid0(VALU_DEP_3) | instskip(NEXT) | instid1(VALU_DEP_1)
	v_clz_i32_u32_e32 v77, v51
	v_min_u32_e32 v77, 32, v77
	s_delay_alu instid0(VALU_DEP_1) | instskip(SKIP_1) | instid1(VALU_DEP_2)
	v_subrev_nc_u32_e32 v78, 28, v77
	v_sub_nc_u32_e32 v77, 29, v77
	v_lshlrev_b64 v[80:81], v78, v[51:52]
	s_delay_alu instid0(VALU_DEP_1)
	v_and_b32_e32 v51, 7, v80
; %bb.79:                               ;   in Loop: Header=BB244_10 Depth=1
	s_or_b32 exec_lo, exec_lo, s45
	v_lshlrev_b32_e32 v78, 24, v79
	s_delay_alu instid0(VALU_DEP_2) | instskip(SKIP_1) | instid1(VALU_DEP_3)
	v_lshlrev_b32_e32 v51, 20, v51
	v_lshl_add_u32 v77, v77, 23, 0x3c000000
	v_and_b32_e32 v78, 0x80000000, v78
	s_delay_alu instid0(VALU_DEP_1) | instskip(NEXT) | instid1(VALU_DEP_1)
	v_or3_b32 v51, v51, v78, v77
	v_dual_mov_b32 v78, v52 :: v_dual_mov_b32 v77, v51
.LBB244_80:                             ;   in Loop: Header=BB244_10 Depth=1
	s_or_b32 exec_lo, exec_lo, s44
.LBB244_81:                             ;   in Loop: Header=BB244_10 Depth=1
	s_delay_alu instid0(SALU_CYCLE_1)
	s_or_b32 exec_lo, exec_lo, s8
.LBB244_82:                             ;   in Loop: Header=BB244_10 Depth=1
	s_delay_alu instid0(SALU_CYCLE_1) | instskip(SKIP_2) | instid1(VALU_DEP_1)
	s_or_b32 exec_lo, exec_lo, s3
	v_lshrrev_b16 v51, 8, v79
	s_mov_b32 s3, exec_lo
	v_cmpx_ne_u16_e32 0, v51
	s_cbranch_execz .LBB244_90
; %bb.83:                               ;   in Loop: Header=BB244_10 Depth=1
	v_dual_mov_b32 v76, s7 :: v_dual_mov_b32 v75, s6
	s_mov_b32 s44, exec_lo
	v_cmpx_ne_u16_e32 0x80, v51
	s_cbranch_execz .LBB244_89
; %bb.84:                               ;   in Loop: Header=BB244_10 Depth=1
	s_mov_b32 s8, s6
	v_dual_mov_b32 v76, s9 :: v_dual_and_b32 v51, 0xffff, v51
	v_mov_b32_e32 v75, s8
	s_mov_b32 s8, exec_lo
	s_delay_alu instid0(VALU_DEP_2) | instskip(NEXT) | instid1(VALU_DEP_1)
	v_and_b32_e32 v80, 0x7f, v51
	v_cmpx_ne_u32_e32 0x7f, v80
	s_cbranch_execz .LBB244_88
; %bb.85:                               ;   in Loop: Header=BB244_10 Depth=1
	v_and_b32_e32 v51, 7, v51
	v_lshrrev_b32_e32 v75, 3, v80
	s_mov_b32 s45, exec_lo
	v_cmpx_gt_u32_e32 8, v80
; %bb.86:                               ;   in Loop: Header=BB244_10 Depth=1
	s_delay_alu instid0(VALU_DEP_3) | instskip(NEXT) | instid1(VALU_DEP_1)
	v_clz_i32_u32_e32 v75, v51
	v_min_u32_e32 v75, 32, v75
	s_delay_alu instid0(VALU_DEP_1) | instskip(SKIP_1) | instid1(VALU_DEP_2)
	v_subrev_nc_u32_e32 v76, 28, v75
	v_sub_nc_u32_e32 v75, 29, v75
	v_lshlrev_b64 v[80:81], v76, v[51:52]
	s_delay_alu instid0(VALU_DEP_1)
	v_and_b32_e32 v51, 7, v80
; %bb.87:                               ;   in Loop: Header=BB244_10 Depth=1
	s_or_b32 exec_lo, exec_lo, s45
	v_lshlrev_b32_e32 v76, 16, v79
	s_delay_alu instid0(VALU_DEP_2) | instskip(SKIP_1) | instid1(VALU_DEP_3)
	v_lshlrev_b32_e32 v51, 20, v51
	v_lshl_add_u32 v75, v75, 23, 0x3c000000
	v_and_b32_e32 v76, 0x80000000, v76
	s_delay_alu instid0(VALU_DEP_1)
	v_or3_b32 v76, v51, v76, v75
	v_mov_b32_e32 v75, v52
.LBB244_88:                             ;   in Loop: Header=BB244_10 Depth=1
	s_or_b32 exec_lo, exec_lo, s8
.LBB244_89:                             ;   in Loop: Header=BB244_10 Depth=1
	s_delay_alu instid0(SALU_CYCLE_1)
	s_or_b32 exec_lo, exec_lo, s44
.LBB244_90:                             ;   in Loop: Header=BB244_10 Depth=1
	s_delay_alu instid0(SALU_CYCLE_1)
	s_or_b32 exec_lo, exec_lo, s3
	global_load_u16 v51, v[69:70], off offset:260
	v_mov_b32_e32 v79, 0
	s_waitcnt vmcnt(0)
	v_dual_mov_b32 v80, 0 :: v_dual_and_b32 v81, 0xff, v51
	v_and_b32_e32 v83, 0xffff, v51
	s_delay_alu instid0(VALU_DEP_2) | instskip(NEXT) | instid1(VALU_DEP_3)
	v_cmp_ne_u16_e64 s1, 0, v81
	v_dual_mov_b32 v82, v80 :: v_dual_mov_b32 v81, v79
	s_delay_alu instid0(VALU_DEP_2)
	s_and_saveexec_b32 s3, s1
	s_cbranch_execz .LBB244_98
; %bb.91:                               ;   in Loop: Header=BB244_10 Depth=1
	v_bfrev_b32_e32 v81, 1
	v_dual_mov_b32 v82, 0 :: v_dual_and_b32 v51, 0xff, v83
	s_mov_b32 s8, exec_lo
	s_delay_alu instid0(VALU_DEP_1)
	v_cmpx_ne_u16_e32 0x80, v51
	s_cbranch_execz .LBB244_97
; %bb.92:                               ;   in Loop: Header=BB244_10 Depth=1
	v_mov_b32_e32 v81, 0x7f800001
	v_and_b32_e32 v84, 0x7f, v83
	v_mov_b32_e32 v82, 0
	s_mov_b32 s44, exec_lo
	s_delay_alu instid0(VALU_DEP_2)
	v_cmpx_ne_u32_e32 0x7f, v84
	s_cbranch_execz .LBB244_96
; %bb.93:                               ;   in Loop: Header=BB244_10 Depth=1
	v_and_b32_e32 v51, 7, v83
	v_lshrrev_b32_e32 v81, 3, v84
	s_mov_b32 s45, exec_lo
	v_cmpx_gt_u32_e32 8, v84
; %bb.94:                               ;   in Loop: Header=BB244_10 Depth=1
	s_delay_alu instid0(VALU_DEP_3) | instskip(NEXT) | instid1(VALU_DEP_1)
	v_clz_i32_u32_e32 v81, v51
	v_min_u32_e32 v81, 32, v81
	s_delay_alu instid0(VALU_DEP_1) | instskip(SKIP_1) | instid1(VALU_DEP_2)
	v_subrev_nc_u32_e32 v82, 28, v81
	v_sub_nc_u32_e32 v81, 29, v81
	v_lshlrev_b64 v[84:85], v82, v[51:52]
	s_delay_alu instid0(VALU_DEP_1)
	v_and_b32_e32 v51, 7, v84
; %bb.95:                               ;   in Loop: Header=BB244_10 Depth=1
	s_or_b32 exec_lo, exec_lo, s45
	v_lshlrev_b32_e32 v82, 24, v83
	s_delay_alu instid0(VALU_DEP_2) | instskip(SKIP_1) | instid1(VALU_DEP_3)
	v_lshlrev_b32_e32 v51, 20, v51
	v_lshl_add_u32 v81, v81, 23, 0x3c000000
	v_and_b32_e32 v82, 0x80000000, v82
	s_delay_alu instid0(VALU_DEP_1) | instskip(NEXT) | instid1(VALU_DEP_1)
	v_or3_b32 v51, v51, v82, v81
	v_dual_mov_b32 v82, v52 :: v_dual_mov_b32 v81, v51
.LBB244_96:                             ;   in Loop: Header=BB244_10 Depth=1
	s_or_b32 exec_lo, exec_lo, s44
.LBB244_97:                             ;   in Loop: Header=BB244_10 Depth=1
	s_delay_alu instid0(SALU_CYCLE_1)
	s_or_b32 exec_lo, exec_lo, s8
.LBB244_98:                             ;   in Loop: Header=BB244_10 Depth=1
	s_delay_alu instid0(SALU_CYCLE_1) | instskip(SKIP_2) | instid1(VALU_DEP_1)
	s_or_b32 exec_lo, exec_lo, s3
	v_lshrrev_b16 v51, 8, v83
	s_mov_b32 s3, exec_lo
	v_cmpx_ne_u16_e32 0, v51
	s_cbranch_execz .LBB244_106
; %bb.99:                               ;   in Loop: Header=BB244_10 Depth=1
	v_dual_mov_b32 v80, s7 :: v_dual_mov_b32 v79, s6
	s_mov_b32 s44, exec_lo
	v_cmpx_ne_u16_e32 0x80, v51
	s_cbranch_execz .LBB244_105
; %bb.100:                              ;   in Loop: Header=BB244_10 Depth=1
	s_mov_b32 s8, s6
	v_dual_mov_b32 v80, s9 :: v_dual_and_b32 v51, 0xffff, v51
	v_mov_b32_e32 v79, s8
	s_mov_b32 s8, exec_lo
	s_delay_alu instid0(VALU_DEP_2) | instskip(NEXT) | instid1(VALU_DEP_1)
	v_and_b32_e32 v84, 0x7f, v51
	v_cmpx_ne_u32_e32 0x7f, v84
	s_cbranch_execz .LBB244_104
; %bb.101:                              ;   in Loop: Header=BB244_10 Depth=1
	v_and_b32_e32 v51, 7, v51
	v_lshrrev_b32_e32 v79, 3, v84
	s_mov_b32 s45, exec_lo
	v_cmpx_gt_u32_e32 8, v84
; %bb.102:                              ;   in Loop: Header=BB244_10 Depth=1
	s_delay_alu instid0(VALU_DEP_3) | instskip(NEXT) | instid1(VALU_DEP_1)
	v_clz_i32_u32_e32 v79, v51
	v_min_u32_e32 v79, 32, v79
	s_delay_alu instid0(VALU_DEP_1) | instskip(SKIP_1) | instid1(VALU_DEP_2)
	v_subrev_nc_u32_e32 v80, 28, v79
	v_sub_nc_u32_e32 v79, 29, v79
	v_lshlrev_b64 v[84:85], v80, v[51:52]
	s_delay_alu instid0(VALU_DEP_1)
	v_and_b32_e32 v51, 7, v84
; %bb.103:                              ;   in Loop: Header=BB244_10 Depth=1
	s_or_b32 exec_lo, exec_lo, s45
	v_lshlrev_b32_e32 v80, 16, v83
	s_delay_alu instid0(VALU_DEP_2) | instskip(SKIP_1) | instid1(VALU_DEP_3)
	v_lshlrev_b32_e32 v51, 20, v51
	v_lshl_add_u32 v79, v79, 23, 0x3c000000
	v_and_b32_e32 v80, 0x80000000, v80
	s_delay_alu instid0(VALU_DEP_1)
	v_or3_b32 v80, v51, v80, v79
	v_mov_b32_e32 v79, v52
.LBB244_104:                            ;   in Loop: Header=BB244_10 Depth=1
	s_or_b32 exec_lo, exec_lo, s8
.LBB244_105:                            ;   in Loop: Header=BB244_10 Depth=1
	s_delay_alu instid0(SALU_CYCLE_1)
	s_or_b32 exec_lo, exec_lo, s44
.LBB244_106:                            ;   in Loop: Header=BB244_10 Depth=1
	s_delay_alu instid0(SALU_CYCLE_1) | instskip(SKIP_1) | instid1(VALU_DEP_1)
	s_or_b32 exec_lo, exec_lo, s3
	v_add_co_u32 v87, s1, 0x100, v69
	v_add_co_ci_u32_e64 v88, s1, 0, v70, s1
	v_mov_b32_e32 v83, 0
	global_load_u16 v51, v[87:88], off offset:8
	s_waitcnt vmcnt(0)
	v_dual_mov_b32 v84, 0 :: v_dual_and_b32 v85, 0xff, v51
	v_and_b32_e32 v89, 0xffff, v51
	s_delay_alu instid0(VALU_DEP_2) | instskip(NEXT) | instid1(VALU_DEP_3)
	v_cmp_ne_u16_e64 s1, 0, v85
	v_dual_mov_b32 v86, v84 :: v_dual_mov_b32 v85, v83
	s_delay_alu instid0(VALU_DEP_2)
	s_and_saveexec_b32 s3, s1
	s_cbranch_execz .LBB244_114
; %bb.107:                              ;   in Loop: Header=BB244_10 Depth=1
	v_bfrev_b32_e32 v85, 1
	v_dual_mov_b32 v86, 0 :: v_dual_and_b32 v51, 0xff, v89
	s_mov_b32 s8, exec_lo
	s_delay_alu instid0(VALU_DEP_1)
	v_cmpx_ne_u16_e32 0x80, v51
	s_cbranch_execz .LBB244_113
; %bb.108:                              ;   in Loop: Header=BB244_10 Depth=1
	v_mov_b32_e32 v85, 0x7f800001
	v_and_b32_e32 v90, 0x7f, v89
	v_mov_b32_e32 v86, 0
	s_mov_b32 s44, exec_lo
	s_delay_alu instid0(VALU_DEP_2)
	v_cmpx_ne_u32_e32 0x7f, v90
	s_cbranch_execz .LBB244_112
; %bb.109:                              ;   in Loop: Header=BB244_10 Depth=1
	v_and_b32_e32 v51, 7, v89
	v_lshrrev_b32_e32 v85, 3, v90
	s_mov_b32 s45, exec_lo
	v_cmpx_gt_u32_e32 8, v90
; %bb.110:                              ;   in Loop: Header=BB244_10 Depth=1
	s_delay_alu instid0(VALU_DEP_3) | instskip(NEXT) | instid1(VALU_DEP_1)
	v_clz_i32_u32_e32 v85, v51
	v_min_u32_e32 v85, 32, v85
	s_delay_alu instid0(VALU_DEP_1) | instskip(SKIP_1) | instid1(VALU_DEP_2)
	v_subrev_nc_u32_e32 v86, 28, v85
	v_sub_nc_u32_e32 v85, 29, v85
	v_lshlrev_b64 v[90:91], v86, v[51:52]
	s_delay_alu instid0(VALU_DEP_1)
	v_and_b32_e32 v51, 7, v90
; %bb.111:                              ;   in Loop: Header=BB244_10 Depth=1
	s_or_b32 exec_lo, exec_lo, s45
	v_lshlrev_b32_e32 v86, 24, v89
	s_delay_alu instid0(VALU_DEP_2) | instskip(SKIP_1) | instid1(VALU_DEP_3)
	v_lshlrev_b32_e32 v51, 20, v51
	v_lshl_add_u32 v85, v85, 23, 0x3c000000
	v_and_b32_e32 v86, 0x80000000, v86
	s_delay_alu instid0(VALU_DEP_1) | instskip(NEXT) | instid1(VALU_DEP_1)
	v_or3_b32 v51, v51, v86, v85
	v_dual_mov_b32 v86, v52 :: v_dual_mov_b32 v85, v51
.LBB244_112:                            ;   in Loop: Header=BB244_10 Depth=1
	s_or_b32 exec_lo, exec_lo, s44
.LBB244_113:                            ;   in Loop: Header=BB244_10 Depth=1
	s_delay_alu instid0(SALU_CYCLE_1)
	s_or_b32 exec_lo, exec_lo, s8
.LBB244_114:                            ;   in Loop: Header=BB244_10 Depth=1
	s_delay_alu instid0(SALU_CYCLE_1) | instskip(SKIP_2) | instid1(VALU_DEP_1)
	s_or_b32 exec_lo, exec_lo, s3
	v_lshrrev_b16 v51, 8, v89
	s_mov_b32 s3, exec_lo
	v_cmpx_ne_u16_e32 0, v51
	s_cbranch_execz .LBB244_122
; %bb.115:                              ;   in Loop: Header=BB244_10 Depth=1
	v_dual_mov_b32 v84, s7 :: v_dual_mov_b32 v83, s6
	s_mov_b32 s44, exec_lo
	v_cmpx_ne_u16_e32 0x80, v51
	s_cbranch_execz .LBB244_121
; %bb.116:                              ;   in Loop: Header=BB244_10 Depth=1
	s_mov_b32 s8, s6
	v_dual_mov_b32 v84, s9 :: v_dual_and_b32 v51, 0xffff, v51
	v_mov_b32_e32 v83, s8
	s_mov_b32 s8, exec_lo
	s_delay_alu instid0(VALU_DEP_2) | instskip(NEXT) | instid1(VALU_DEP_1)
	v_and_b32_e32 v90, 0x7f, v51
	v_cmpx_ne_u32_e32 0x7f, v90
	s_cbranch_execz .LBB244_120
; %bb.117:                              ;   in Loop: Header=BB244_10 Depth=1
	v_and_b32_e32 v51, 7, v51
	v_lshrrev_b32_e32 v83, 3, v90
	s_mov_b32 s45, exec_lo
	v_cmpx_gt_u32_e32 8, v90
; %bb.118:                              ;   in Loop: Header=BB244_10 Depth=1
	s_delay_alu instid0(VALU_DEP_3) | instskip(NEXT) | instid1(VALU_DEP_1)
	v_clz_i32_u32_e32 v83, v51
	v_min_u32_e32 v83, 32, v83
	s_delay_alu instid0(VALU_DEP_1) | instskip(SKIP_1) | instid1(VALU_DEP_2)
	v_subrev_nc_u32_e32 v84, 28, v83
	v_sub_nc_u32_e32 v83, 29, v83
	v_lshlrev_b64 v[90:91], v84, v[51:52]
	s_delay_alu instid0(VALU_DEP_1)
	v_and_b32_e32 v51, 7, v90
; %bb.119:                              ;   in Loop: Header=BB244_10 Depth=1
	s_or_b32 exec_lo, exec_lo, s45
	v_lshlrev_b32_e32 v84, 16, v89
	s_delay_alu instid0(VALU_DEP_2) | instskip(SKIP_1) | instid1(VALU_DEP_3)
	v_lshlrev_b32_e32 v51, 20, v51
	v_lshl_add_u32 v83, v83, 23, 0x3c000000
	v_and_b32_e32 v84, 0x80000000, v84
	s_delay_alu instid0(VALU_DEP_1)
	v_or3_b32 v84, v51, v84, v83
	v_mov_b32_e32 v83, v52
.LBB244_120:                            ;   in Loop: Header=BB244_10 Depth=1
	s_or_b32 exec_lo, exec_lo, s8
.LBB244_121:                            ;   in Loop: Header=BB244_10 Depth=1
	s_delay_alu instid0(SALU_CYCLE_1)
	s_or_b32 exec_lo, exec_lo, s44
.LBB244_122:                            ;   in Loop: Header=BB244_10 Depth=1
	s_delay_alu instid0(SALU_CYCLE_1)
	s_or_b32 exec_lo, exec_lo, s3
	global_load_u16 v51, v[87:88], off offset:12
	v_mov_b32_e32 v87, 0
	s_waitcnt vmcnt(0)
	v_dual_mov_b32 v88, 0 :: v_dual_and_b32 v89, 0xff, v51
	v_and_b32_e32 v91, 0xffff, v51
	s_delay_alu instid0(VALU_DEP_2) | instskip(NEXT) | instid1(VALU_DEP_3)
	v_cmp_ne_u16_e64 s1, 0, v89
	v_dual_mov_b32 v90, v88 :: v_dual_mov_b32 v89, v87
	s_delay_alu instid0(VALU_DEP_2)
	s_and_saveexec_b32 s3, s1
	s_cbranch_execz .LBB244_130
; %bb.123:                              ;   in Loop: Header=BB244_10 Depth=1
	v_bfrev_b32_e32 v89, 1
	v_dual_mov_b32 v90, 0 :: v_dual_and_b32 v51, 0xff, v91
	s_mov_b32 s8, exec_lo
	s_delay_alu instid0(VALU_DEP_1)
	v_cmpx_ne_u16_e32 0x80, v51
	s_cbranch_execz .LBB244_129
; %bb.124:                              ;   in Loop: Header=BB244_10 Depth=1
	v_mov_b32_e32 v89, 0x7f800001
	v_and_b32_e32 v92, 0x7f, v91
	v_mov_b32_e32 v90, 0
	s_mov_b32 s44, exec_lo
	s_delay_alu instid0(VALU_DEP_2)
	v_cmpx_ne_u32_e32 0x7f, v92
	s_cbranch_execz .LBB244_128
; %bb.125:                              ;   in Loop: Header=BB244_10 Depth=1
	v_and_b32_e32 v51, 7, v91
	v_lshrrev_b32_e32 v89, 3, v92
	s_mov_b32 s45, exec_lo
	v_cmpx_gt_u32_e32 8, v92
; %bb.126:                              ;   in Loop: Header=BB244_10 Depth=1
	s_delay_alu instid0(VALU_DEP_3) | instskip(NEXT) | instid1(VALU_DEP_1)
	v_clz_i32_u32_e32 v89, v51
	v_min_u32_e32 v89, 32, v89
	s_delay_alu instid0(VALU_DEP_1) | instskip(SKIP_1) | instid1(VALU_DEP_2)
	v_subrev_nc_u32_e32 v90, 28, v89
	v_sub_nc_u32_e32 v89, 29, v89
	v_lshlrev_b64 v[92:93], v90, v[51:52]
	s_delay_alu instid0(VALU_DEP_1)
	v_and_b32_e32 v51, 7, v92
; %bb.127:                              ;   in Loop: Header=BB244_10 Depth=1
	s_or_b32 exec_lo, exec_lo, s45
	v_lshlrev_b32_e32 v90, 24, v91
	s_delay_alu instid0(VALU_DEP_2) | instskip(SKIP_1) | instid1(VALU_DEP_3)
	v_lshlrev_b32_e32 v51, 20, v51
	v_lshl_add_u32 v89, v89, 23, 0x3c000000
	v_and_b32_e32 v90, 0x80000000, v90
	s_delay_alu instid0(VALU_DEP_1) | instskip(NEXT) | instid1(VALU_DEP_1)
	v_or3_b32 v51, v51, v90, v89
	v_dual_mov_b32 v90, v52 :: v_dual_mov_b32 v89, v51
.LBB244_128:                            ;   in Loop: Header=BB244_10 Depth=1
	s_or_b32 exec_lo, exec_lo, s44
.LBB244_129:                            ;   in Loop: Header=BB244_10 Depth=1
	s_delay_alu instid0(SALU_CYCLE_1)
	s_or_b32 exec_lo, exec_lo, s8
.LBB244_130:                            ;   in Loop: Header=BB244_10 Depth=1
	s_delay_alu instid0(SALU_CYCLE_1) | instskip(SKIP_2) | instid1(VALU_DEP_1)
	s_or_b32 exec_lo, exec_lo, s3
	v_lshrrev_b16 v51, 8, v91
	s_mov_b32 s3, exec_lo
	v_cmpx_ne_u16_e32 0, v51
	s_cbranch_execz .LBB244_138
; %bb.131:                              ;   in Loop: Header=BB244_10 Depth=1
	v_dual_mov_b32 v88, s7 :: v_dual_mov_b32 v87, s6
	s_mov_b32 s44, exec_lo
	v_cmpx_ne_u16_e32 0x80, v51
	s_cbranch_execz .LBB244_137
; %bb.132:                              ;   in Loop: Header=BB244_10 Depth=1
	s_mov_b32 s8, s6
	v_dual_mov_b32 v88, s9 :: v_dual_and_b32 v51, 0xffff, v51
	v_mov_b32_e32 v87, s8
	s_mov_b32 s8, exec_lo
	s_delay_alu instid0(VALU_DEP_2) | instskip(NEXT) | instid1(VALU_DEP_1)
	v_and_b32_e32 v92, 0x7f, v51
	v_cmpx_ne_u32_e32 0x7f, v92
	s_cbranch_execz .LBB244_136
; %bb.133:                              ;   in Loop: Header=BB244_10 Depth=1
	v_and_b32_e32 v51, 7, v51
	v_lshrrev_b32_e32 v87, 3, v92
	s_mov_b32 s45, exec_lo
	v_cmpx_gt_u32_e32 8, v92
; %bb.134:                              ;   in Loop: Header=BB244_10 Depth=1
	s_delay_alu instid0(VALU_DEP_3) | instskip(NEXT) | instid1(VALU_DEP_1)
	v_clz_i32_u32_e32 v87, v51
	v_min_u32_e32 v87, 32, v87
	s_delay_alu instid0(VALU_DEP_1) | instskip(SKIP_1) | instid1(VALU_DEP_2)
	v_subrev_nc_u32_e32 v88, 28, v87
	v_sub_nc_u32_e32 v87, 29, v87
	v_lshlrev_b64 v[92:93], v88, v[51:52]
	s_delay_alu instid0(VALU_DEP_1)
	v_and_b32_e32 v51, 7, v92
; %bb.135:                              ;   in Loop: Header=BB244_10 Depth=1
	s_or_b32 exec_lo, exec_lo, s45
	v_lshlrev_b32_e32 v88, 16, v91
	s_delay_alu instid0(VALU_DEP_2) | instskip(SKIP_1) | instid1(VALU_DEP_3)
	v_lshlrev_b32_e32 v51, 20, v51
	v_lshl_add_u32 v87, v87, 23, 0x3c000000
	v_and_b32_e32 v88, 0x80000000, v88
	s_delay_alu instid0(VALU_DEP_1)
	v_or3_b32 v88, v51, v88, v87
	v_mov_b32_e32 v87, v52
.LBB244_136:                            ;   in Loop: Header=BB244_10 Depth=1
	s_or_b32 exec_lo, exec_lo, s8
.LBB244_137:                            ;   in Loop: Header=BB244_10 Depth=1
	s_delay_alu instid0(SALU_CYCLE_1)
	s_or_b32 exec_lo, exec_lo, s44
.LBB244_138:                            ;   in Loop: Header=BB244_10 Depth=1
	s_delay_alu instid0(SALU_CYCLE_1)
	s_or_b32 exec_lo, exec_lo, s3
	global_load_u16 v51, v[69:70], off offset:512
	v_mov_b32_e32 v91, 0
	s_waitcnt vmcnt(0)
	v_dual_mov_b32 v92, 0 :: v_dual_and_b32 v93, 0xff, v51
	v_and_b32_e32 v95, 0xffff, v51
	s_delay_alu instid0(VALU_DEP_2) | instskip(NEXT) | instid1(VALU_DEP_3)
	v_cmp_ne_u16_e64 s1, 0, v93
	v_dual_mov_b32 v94, v92 :: v_dual_mov_b32 v93, v91
	s_delay_alu instid0(VALU_DEP_2)
	s_and_saveexec_b32 s3, s1
	s_cbranch_execz .LBB244_146
; %bb.139:                              ;   in Loop: Header=BB244_10 Depth=1
	v_bfrev_b32_e32 v93, 1
	v_dual_mov_b32 v94, 0 :: v_dual_and_b32 v51, 0xff, v95
	s_mov_b32 s8, exec_lo
	s_delay_alu instid0(VALU_DEP_1)
	v_cmpx_ne_u16_e32 0x80, v51
	s_cbranch_execz .LBB244_145
; %bb.140:                              ;   in Loop: Header=BB244_10 Depth=1
	v_mov_b32_e32 v93, 0x7f800001
	v_and_b32_e32 v96, 0x7f, v95
	v_mov_b32_e32 v94, 0
	s_mov_b32 s44, exec_lo
	s_delay_alu instid0(VALU_DEP_2)
	v_cmpx_ne_u32_e32 0x7f, v96
	s_cbranch_execz .LBB244_144
; %bb.141:                              ;   in Loop: Header=BB244_10 Depth=1
	v_and_b32_e32 v51, 7, v95
	v_lshrrev_b32_e32 v93, 3, v96
	s_mov_b32 s45, exec_lo
	v_cmpx_gt_u32_e32 8, v96
; %bb.142:                              ;   in Loop: Header=BB244_10 Depth=1
	s_delay_alu instid0(VALU_DEP_3) | instskip(NEXT) | instid1(VALU_DEP_1)
	v_clz_i32_u32_e32 v93, v51
	v_min_u32_e32 v93, 32, v93
	s_delay_alu instid0(VALU_DEP_1) | instskip(SKIP_1) | instid1(VALU_DEP_2)
	v_subrev_nc_u32_e32 v94, 28, v93
	v_sub_nc_u32_e32 v93, 29, v93
	v_lshlrev_b64 v[96:97], v94, v[51:52]
	s_delay_alu instid0(VALU_DEP_1)
	v_and_b32_e32 v51, 7, v96
; %bb.143:                              ;   in Loop: Header=BB244_10 Depth=1
	s_or_b32 exec_lo, exec_lo, s45
	v_lshlrev_b32_e32 v94, 24, v95
	s_delay_alu instid0(VALU_DEP_2) | instskip(SKIP_1) | instid1(VALU_DEP_3)
	v_lshlrev_b32_e32 v51, 20, v51
	v_lshl_add_u32 v93, v93, 23, 0x3c000000
	v_and_b32_e32 v94, 0x80000000, v94
	s_delay_alu instid0(VALU_DEP_1) | instskip(NEXT) | instid1(VALU_DEP_1)
	v_or3_b32 v51, v51, v94, v93
	v_dual_mov_b32 v94, v52 :: v_dual_mov_b32 v93, v51
.LBB244_144:                            ;   in Loop: Header=BB244_10 Depth=1
	s_or_b32 exec_lo, exec_lo, s44
.LBB244_145:                            ;   in Loop: Header=BB244_10 Depth=1
	s_delay_alu instid0(SALU_CYCLE_1)
	s_or_b32 exec_lo, exec_lo, s8
.LBB244_146:                            ;   in Loop: Header=BB244_10 Depth=1
	s_delay_alu instid0(SALU_CYCLE_1) | instskip(SKIP_2) | instid1(VALU_DEP_1)
	s_or_b32 exec_lo, exec_lo, s3
	v_lshrrev_b16 v51, 8, v95
	s_mov_b32 s3, exec_lo
	v_cmpx_ne_u16_e32 0, v51
	s_cbranch_execz .LBB244_154
; %bb.147:                              ;   in Loop: Header=BB244_10 Depth=1
	v_dual_mov_b32 v92, s7 :: v_dual_mov_b32 v91, s6
	s_mov_b32 s44, exec_lo
	v_cmpx_ne_u16_e32 0x80, v51
	s_cbranch_execz .LBB244_153
; %bb.148:                              ;   in Loop: Header=BB244_10 Depth=1
	s_mov_b32 s8, s6
	v_dual_mov_b32 v92, s9 :: v_dual_and_b32 v51, 0xffff, v51
	v_mov_b32_e32 v91, s8
	s_mov_b32 s8, exec_lo
	s_delay_alu instid0(VALU_DEP_2) | instskip(NEXT) | instid1(VALU_DEP_1)
	v_and_b32_e32 v96, 0x7f, v51
	v_cmpx_ne_u32_e32 0x7f, v96
	s_cbranch_execz .LBB244_152
; %bb.149:                              ;   in Loop: Header=BB244_10 Depth=1
	v_and_b32_e32 v51, 7, v51
	v_lshrrev_b32_e32 v91, 3, v96
	s_mov_b32 s45, exec_lo
	v_cmpx_gt_u32_e32 8, v96
; %bb.150:                              ;   in Loop: Header=BB244_10 Depth=1
	s_delay_alu instid0(VALU_DEP_3) | instskip(NEXT) | instid1(VALU_DEP_1)
	v_clz_i32_u32_e32 v91, v51
	v_min_u32_e32 v91, 32, v91
	s_delay_alu instid0(VALU_DEP_1) | instskip(SKIP_1) | instid1(VALU_DEP_2)
	v_subrev_nc_u32_e32 v92, 28, v91
	v_sub_nc_u32_e32 v91, 29, v91
	v_lshlrev_b64 v[96:97], v92, v[51:52]
	s_delay_alu instid0(VALU_DEP_1)
	v_and_b32_e32 v51, 7, v96
; %bb.151:                              ;   in Loop: Header=BB244_10 Depth=1
	s_or_b32 exec_lo, exec_lo, s45
	v_lshlrev_b32_e32 v92, 16, v95
	s_delay_alu instid0(VALU_DEP_2) | instskip(SKIP_1) | instid1(VALU_DEP_3)
	v_lshlrev_b32_e32 v51, 20, v51
	v_lshl_add_u32 v91, v91, 23, 0x3c000000
	v_and_b32_e32 v92, 0x80000000, v92
	s_delay_alu instid0(VALU_DEP_1)
	v_or3_b32 v92, v51, v92, v91
	v_mov_b32_e32 v91, v52
.LBB244_152:                            ;   in Loop: Header=BB244_10 Depth=1
	s_or_b32 exec_lo, exec_lo, s8
.LBB244_153:                            ;   in Loop: Header=BB244_10 Depth=1
	s_delay_alu instid0(SALU_CYCLE_1)
	s_or_b32 exec_lo, exec_lo, s44
.LBB244_154:                            ;   in Loop: Header=BB244_10 Depth=1
	s_delay_alu instid0(SALU_CYCLE_1)
	s_or_b32 exec_lo, exec_lo, s3
	global_load_u16 v51, v[69:70], off offset:516
	v_mov_b32_e32 v95, 0
	s_waitcnt vmcnt(0)
	v_dual_mov_b32 v96, 0 :: v_dual_and_b32 v97, 0xff, v51
	v_and_b32_e32 v99, 0xffff, v51
	s_delay_alu instid0(VALU_DEP_2) | instskip(NEXT) | instid1(VALU_DEP_3)
	v_cmp_ne_u16_e64 s1, 0, v97
	v_dual_mov_b32 v98, v96 :: v_dual_mov_b32 v97, v95
	s_delay_alu instid0(VALU_DEP_2)
	s_and_saveexec_b32 s3, s1
	s_cbranch_execz .LBB244_162
; %bb.155:                              ;   in Loop: Header=BB244_10 Depth=1
	v_bfrev_b32_e32 v97, 1
	v_dual_mov_b32 v98, 0 :: v_dual_and_b32 v51, 0xff, v99
	s_mov_b32 s8, exec_lo
	s_delay_alu instid0(VALU_DEP_1)
	v_cmpx_ne_u16_e32 0x80, v51
	s_cbranch_execz .LBB244_161
; %bb.156:                              ;   in Loop: Header=BB244_10 Depth=1
	v_mov_b32_e32 v97, 0x7f800001
	v_and_b32_e32 v100, 0x7f, v99
	v_mov_b32_e32 v98, 0
	s_mov_b32 s44, exec_lo
	s_delay_alu instid0(VALU_DEP_2)
	v_cmpx_ne_u32_e32 0x7f, v100
	s_cbranch_execz .LBB244_160
; %bb.157:                              ;   in Loop: Header=BB244_10 Depth=1
	v_and_b32_e32 v51, 7, v99
	v_lshrrev_b32_e32 v97, 3, v100
	s_mov_b32 s45, exec_lo
	v_cmpx_gt_u32_e32 8, v100
; %bb.158:                              ;   in Loop: Header=BB244_10 Depth=1
	s_delay_alu instid0(VALU_DEP_3) | instskip(NEXT) | instid1(VALU_DEP_1)
	v_clz_i32_u32_e32 v97, v51
	v_min_u32_e32 v97, 32, v97
	s_delay_alu instid0(VALU_DEP_1) | instskip(SKIP_1) | instid1(VALU_DEP_2)
	v_subrev_nc_u32_e32 v98, 28, v97
	v_sub_nc_u32_e32 v97, 29, v97
	v_lshlrev_b64 v[100:101], v98, v[51:52]
	s_delay_alu instid0(VALU_DEP_1)
	v_and_b32_e32 v51, 7, v100
; %bb.159:                              ;   in Loop: Header=BB244_10 Depth=1
	s_or_b32 exec_lo, exec_lo, s45
	v_lshlrev_b32_e32 v98, 24, v99
	s_delay_alu instid0(VALU_DEP_2) | instskip(SKIP_1) | instid1(VALU_DEP_3)
	v_lshlrev_b32_e32 v51, 20, v51
	v_lshl_add_u32 v97, v97, 23, 0x3c000000
	v_and_b32_e32 v98, 0x80000000, v98
	s_delay_alu instid0(VALU_DEP_1) | instskip(NEXT) | instid1(VALU_DEP_1)
	v_or3_b32 v51, v51, v98, v97
	v_dual_mov_b32 v98, v52 :: v_dual_mov_b32 v97, v51
.LBB244_160:                            ;   in Loop: Header=BB244_10 Depth=1
	s_or_b32 exec_lo, exec_lo, s44
.LBB244_161:                            ;   in Loop: Header=BB244_10 Depth=1
	s_delay_alu instid0(SALU_CYCLE_1)
	s_or_b32 exec_lo, exec_lo, s8
.LBB244_162:                            ;   in Loop: Header=BB244_10 Depth=1
	s_delay_alu instid0(SALU_CYCLE_1) | instskip(SKIP_2) | instid1(VALU_DEP_1)
	s_or_b32 exec_lo, exec_lo, s3
	v_lshrrev_b16 v51, 8, v99
	s_mov_b32 s3, exec_lo
	v_cmpx_ne_u16_e32 0, v51
	s_cbranch_execz .LBB244_170
; %bb.163:                              ;   in Loop: Header=BB244_10 Depth=1
	v_dual_mov_b32 v96, s7 :: v_dual_mov_b32 v95, s6
	s_mov_b32 s44, exec_lo
	v_cmpx_ne_u16_e32 0x80, v51
	s_cbranch_execz .LBB244_169
; %bb.164:                              ;   in Loop: Header=BB244_10 Depth=1
	s_mov_b32 s8, s6
	v_dual_mov_b32 v96, s9 :: v_dual_and_b32 v51, 0xffff, v51
	v_mov_b32_e32 v95, s8
	s_mov_b32 s8, exec_lo
	s_delay_alu instid0(VALU_DEP_2) | instskip(NEXT) | instid1(VALU_DEP_1)
	v_and_b32_e32 v100, 0x7f, v51
	v_cmpx_ne_u32_e32 0x7f, v100
	s_cbranch_execz .LBB244_168
; %bb.165:                              ;   in Loop: Header=BB244_10 Depth=1
	v_and_b32_e32 v51, 7, v51
	v_lshrrev_b32_e32 v95, 3, v100
	s_mov_b32 s45, exec_lo
	v_cmpx_gt_u32_e32 8, v100
; %bb.166:                              ;   in Loop: Header=BB244_10 Depth=1
	s_delay_alu instid0(VALU_DEP_3) | instskip(NEXT) | instid1(VALU_DEP_1)
	v_clz_i32_u32_e32 v95, v51
	v_min_u32_e32 v95, 32, v95
	s_delay_alu instid0(VALU_DEP_1) | instskip(SKIP_1) | instid1(VALU_DEP_2)
	v_subrev_nc_u32_e32 v96, 28, v95
	v_sub_nc_u32_e32 v95, 29, v95
	v_lshlrev_b64 v[100:101], v96, v[51:52]
	s_delay_alu instid0(VALU_DEP_1)
	v_and_b32_e32 v51, 7, v100
; %bb.167:                              ;   in Loop: Header=BB244_10 Depth=1
	s_or_b32 exec_lo, exec_lo, s45
	v_lshlrev_b32_e32 v96, 16, v99
	s_delay_alu instid0(VALU_DEP_2) | instskip(SKIP_1) | instid1(VALU_DEP_3)
	v_lshlrev_b32_e32 v51, 20, v51
	v_lshl_add_u32 v95, v95, 23, 0x3c000000
	v_and_b32_e32 v96, 0x80000000, v96
	s_delay_alu instid0(VALU_DEP_1)
	v_or3_b32 v96, v51, v96, v95
	v_mov_b32_e32 v95, v52
.LBB244_168:                            ;   in Loop: Header=BB244_10 Depth=1
	s_or_b32 exec_lo, exec_lo, s8
.LBB244_169:                            ;   in Loop: Header=BB244_10 Depth=1
	s_delay_alu instid0(SALU_CYCLE_1)
	s_or_b32 exec_lo, exec_lo, s44
.LBB244_170:                            ;   in Loop: Header=BB244_10 Depth=1
	s_delay_alu instid0(SALU_CYCLE_1) | instskip(SKIP_1) | instid1(VALU_DEP_1)
	s_or_b32 exec_lo, exec_lo, s3
	v_add_co_u32 v103, s1, 0x200, v69
	v_add_co_ci_u32_e64 v104, s1, 0, v70, s1
	v_mov_b32_e32 v99, 0
	global_load_u16 v51, v[103:104], off offset:8
	s_waitcnt vmcnt(0)
	v_dual_mov_b32 v100, 0 :: v_dual_and_b32 v101, 0xff, v51
	v_and_b32_e32 v105, 0xffff, v51
	s_delay_alu instid0(VALU_DEP_2) | instskip(NEXT) | instid1(VALU_DEP_3)
	v_cmp_ne_u16_e64 s1, 0, v101
	v_dual_mov_b32 v102, v100 :: v_dual_mov_b32 v101, v99
	s_delay_alu instid0(VALU_DEP_2)
	s_and_saveexec_b32 s3, s1
	s_cbranch_execz .LBB244_178
; %bb.171:                              ;   in Loop: Header=BB244_10 Depth=1
	v_bfrev_b32_e32 v101, 1
	v_dual_mov_b32 v102, 0 :: v_dual_and_b32 v51, 0xff, v105
	s_mov_b32 s8, exec_lo
	s_delay_alu instid0(VALU_DEP_1)
	v_cmpx_ne_u16_e32 0x80, v51
	s_cbranch_execz .LBB244_177
; %bb.172:                              ;   in Loop: Header=BB244_10 Depth=1
	v_mov_b32_e32 v101, 0x7f800001
	v_and_b32_e32 v106, 0x7f, v105
	v_mov_b32_e32 v102, 0
	s_mov_b32 s44, exec_lo
	s_delay_alu instid0(VALU_DEP_2)
	v_cmpx_ne_u32_e32 0x7f, v106
	s_cbranch_execz .LBB244_176
; %bb.173:                              ;   in Loop: Header=BB244_10 Depth=1
	v_and_b32_e32 v51, 7, v105
	v_lshrrev_b32_e32 v101, 3, v106
	s_mov_b32 s45, exec_lo
	v_cmpx_gt_u32_e32 8, v106
; %bb.174:                              ;   in Loop: Header=BB244_10 Depth=1
	s_delay_alu instid0(VALU_DEP_3) | instskip(NEXT) | instid1(VALU_DEP_1)
	v_clz_i32_u32_e32 v101, v51
	v_min_u32_e32 v101, 32, v101
	s_delay_alu instid0(VALU_DEP_1) | instskip(SKIP_1) | instid1(VALU_DEP_2)
	v_subrev_nc_u32_e32 v102, 28, v101
	v_sub_nc_u32_e32 v101, 29, v101
	v_lshlrev_b64 v[106:107], v102, v[51:52]
	s_delay_alu instid0(VALU_DEP_1)
	v_and_b32_e32 v51, 7, v106
; %bb.175:                              ;   in Loop: Header=BB244_10 Depth=1
	s_or_b32 exec_lo, exec_lo, s45
	v_lshlrev_b32_e32 v102, 24, v105
	s_delay_alu instid0(VALU_DEP_2) | instskip(SKIP_1) | instid1(VALU_DEP_3)
	v_lshlrev_b32_e32 v51, 20, v51
	v_lshl_add_u32 v101, v101, 23, 0x3c000000
	v_and_b32_e32 v102, 0x80000000, v102
	s_delay_alu instid0(VALU_DEP_1) | instskip(NEXT) | instid1(VALU_DEP_1)
	v_or3_b32 v51, v51, v102, v101
	v_dual_mov_b32 v102, v52 :: v_dual_mov_b32 v101, v51
.LBB244_176:                            ;   in Loop: Header=BB244_10 Depth=1
	s_or_b32 exec_lo, exec_lo, s44
.LBB244_177:                            ;   in Loop: Header=BB244_10 Depth=1
	s_delay_alu instid0(SALU_CYCLE_1)
	s_or_b32 exec_lo, exec_lo, s8
.LBB244_178:                            ;   in Loop: Header=BB244_10 Depth=1
	s_delay_alu instid0(SALU_CYCLE_1) | instskip(SKIP_2) | instid1(VALU_DEP_1)
	s_or_b32 exec_lo, exec_lo, s3
	v_lshrrev_b16 v51, 8, v105
	s_mov_b32 s3, exec_lo
	v_cmpx_ne_u16_e32 0, v51
	s_cbranch_execz .LBB244_186
; %bb.179:                              ;   in Loop: Header=BB244_10 Depth=1
	v_dual_mov_b32 v100, s7 :: v_dual_mov_b32 v99, s6
	s_mov_b32 s44, exec_lo
	v_cmpx_ne_u16_e32 0x80, v51
	s_cbranch_execz .LBB244_185
; %bb.180:                              ;   in Loop: Header=BB244_10 Depth=1
	s_mov_b32 s8, s6
	v_dual_mov_b32 v100, s9 :: v_dual_and_b32 v51, 0xffff, v51
	v_mov_b32_e32 v99, s8
	s_mov_b32 s8, exec_lo
	s_delay_alu instid0(VALU_DEP_2) | instskip(NEXT) | instid1(VALU_DEP_1)
	v_and_b32_e32 v106, 0x7f, v51
	v_cmpx_ne_u32_e32 0x7f, v106
	s_cbranch_execz .LBB244_184
; %bb.181:                              ;   in Loop: Header=BB244_10 Depth=1
	v_and_b32_e32 v51, 7, v51
	v_lshrrev_b32_e32 v99, 3, v106
	s_mov_b32 s45, exec_lo
	v_cmpx_gt_u32_e32 8, v106
; %bb.182:                              ;   in Loop: Header=BB244_10 Depth=1
	s_delay_alu instid0(VALU_DEP_3) | instskip(NEXT) | instid1(VALU_DEP_1)
	v_clz_i32_u32_e32 v99, v51
	v_min_u32_e32 v99, 32, v99
	s_delay_alu instid0(VALU_DEP_1) | instskip(SKIP_1) | instid1(VALU_DEP_2)
	v_subrev_nc_u32_e32 v100, 28, v99
	v_sub_nc_u32_e32 v99, 29, v99
	v_lshlrev_b64 v[106:107], v100, v[51:52]
	s_delay_alu instid0(VALU_DEP_1)
	v_and_b32_e32 v51, 7, v106
; %bb.183:                              ;   in Loop: Header=BB244_10 Depth=1
	s_or_b32 exec_lo, exec_lo, s45
	v_lshlrev_b32_e32 v100, 16, v105
	s_delay_alu instid0(VALU_DEP_2) | instskip(SKIP_1) | instid1(VALU_DEP_3)
	v_lshlrev_b32_e32 v51, 20, v51
	v_lshl_add_u32 v99, v99, 23, 0x3c000000
	v_and_b32_e32 v100, 0x80000000, v100
	s_delay_alu instid0(VALU_DEP_1)
	v_or3_b32 v100, v51, v100, v99
	v_mov_b32_e32 v99, v52
.LBB244_184:                            ;   in Loop: Header=BB244_10 Depth=1
	s_or_b32 exec_lo, exec_lo, s8
.LBB244_185:                            ;   in Loop: Header=BB244_10 Depth=1
	s_delay_alu instid0(SALU_CYCLE_1)
	s_or_b32 exec_lo, exec_lo, s44
.LBB244_186:                            ;   in Loop: Header=BB244_10 Depth=1
	s_delay_alu instid0(SALU_CYCLE_1)
	s_or_b32 exec_lo, exec_lo, s3
	global_load_u16 v51, v[103:104], off offset:12
	v_mov_b32_e32 v103, 0
	s_waitcnt vmcnt(0)
	v_dual_mov_b32 v104, 0 :: v_dual_and_b32 v105, 0xff, v51
	v_and_b32_e32 v107, 0xffff, v51
	s_delay_alu instid0(VALU_DEP_2) | instskip(NEXT) | instid1(VALU_DEP_3)
	v_cmp_ne_u16_e64 s1, 0, v105
	v_dual_mov_b32 v106, v104 :: v_dual_mov_b32 v105, v103
	s_delay_alu instid0(VALU_DEP_2)
	s_and_saveexec_b32 s3, s1
	s_cbranch_execz .LBB244_194
; %bb.187:                              ;   in Loop: Header=BB244_10 Depth=1
	v_bfrev_b32_e32 v105, 1
	v_dual_mov_b32 v106, 0 :: v_dual_and_b32 v51, 0xff, v107
	s_mov_b32 s8, exec_lo
	s_delay_alu instid0(VALU_DEP_1)
	v_cmpx_ne_u16_e32 0x80, v51
	s_cbranch_execz .LBB244_193
; %bb.188:                              ;   in Loop: Header=BB244_10 Depth=1
	v_mov_b32_e32 v105, 0x7f800001
	v_and_b32_e32 v108, 0x7f, v107
	v_mov_b32_e32 v106, 0
	s_mov_b32 s44, exec_lo
	s_delay_alu instid0(VALU_DEP_2)
	v_cmpx_ne_u32_e32 0x7f, v108
	s_cbranch_execz .LBB244_192
; %bb.189:                              ;   in Loop: Header=BB244_10 Depth=1
	v_and_b32_e32 v51, 7, v107
	v_lshrrev_b32_e32 v105, 3, v108
	s_mov_b32 s45, exec_lo
	v_cmpx_gt_u32_e32 8, v108
; %bb.190:                              ;   in Loop: Header=BB244_10 Depth=1
	s_delay_alu instid0(VALU_DEP_3) | instskip(NEXT) | instid1(VALU_DEP_1)
	v_clz_i32_u32_e32 v105, v51
	v_min_u32_e32 v105, 32, v105
	s_delay_alu instid0(VALU_DEP_1) | instskip(SKIP_1) | instid1(VALU_DEP_2)
	v_subrev_nc_u32_e32 v106, 28, v105
	v_sub_nc_u32_e32 v105, 29, v105
	v_lshlrev_b64 v[108:109], v106, v[51:52]
	s_delay_alu instid0(VALU_DEP_1)
	v_and_b32_e32 v51, 7, v108
; %bb.191:                              ;   in Loop: Header=BB244_10 Depth=1
	s_or_b32 exec_lo, exec_lo, s45
	v_lshlrev_b32_e32 v106, 24, v107
	s_delay_alu instid0(VALU_DEP_2) | instskip(SKIP_1) | instid1(VALU_DEP_3)
	v_lshlrev_b32_e32 v51, 20, v51
	v_lshl_add_u32 v105, v105, 23, 0x3c000000
	v_and_b32_e32 v106, 0x80000000, v106
	s_delay_alu instid0(VALU_DEP_1) | instskip(NEXT) | instid1(VALU_DEP_1)
	v_or3_b32 v51, v51, v106, v105
	v_dual_mov_b32 v106, v52 :: v_dual_mov_b32 v105, v51
.LBB244_192:                            ;   in Loop: Header=BB244_10 Depth=1
	s_or_b32 exec_lo, exec_lo, s44
.LBB244_193:                            ;   in Loop: Header=BB244_10 Depth=1
	s_delay_alu instid0(SALU_CYCLE_1)
	s_or_b32 exec_lo, exec_lo, s8
.LBB244_194:                            ;   in Loop: Header=BB244_10 Depth=1
	s_delay_alu instid0(SALU_CYCLE_1) | instskip(SKIP_2) | instid1(VALU_DEP_1)
	s_or_b32 exec_lo, exec_lo, s3
	v_lshrrev_b16 v51, 8, v107
	s_mov_b32 s3, exec_lo
	v_cmpx_ne_u16_e32 0, v51
	s_cbranch_execz .LBB244_202
; %bb.195:                              ;   in Loop: Header=BB244_10 Depth=1
	v_dual_mov_b32 v104, s7 :: v_dual_mov_b32 v103, s6
	s_mov_b32 s44, exec_lo
	v_cmpx_ne_u16_e32 0x80, v51
	s_cbranch_execz .LBB244_201
; %bb.196:                              ;   in Loop: Header=BB244_10 Depth=1
	s_mov_b32 s8, s6
	v_dual_mov_b32 v104, s9 :: v_dual_and_b32 v51, 0xffff, v51
	v_mov_b32_e32 v103, s8
	s_mov_b32 s8, exec_lo
	s_delay_alu instid0(VALU_DEP_2) | instskip(NEXT) | instid1(VALU_DEP_1)
	v_and_b32_e32 v108, 0x7f, v51
	v_cmpx_ne_u32_e32 0x7f, v108
	s_cbranch_execz .LBB244_200
; %bb.197:                              ;   in Loop: Header=BB244_10 Depth=1
	v_and_b32_e32 v51, 7, v51
	v_lshrrev_b32_e32 v103, 3, v108
	s_mov_b32 s45, exec_lo
	v_cmpx_gt_u32_e32 8, v108
; %bb.198:                              ;   in Loop: Header=BB244_10 Depth=1
	s_delay_alu instid0(VALU_DEP_3) | instskip(NEXT) | instid1(VALU_DEP_1)
	v_clz_i32_u32_e32 v103, v51
	v_min_u32_e32 v103, 32, v103
	s_delay_alu instid0(VALU_DEP_1) | instskip(SKIP_1) | instid1(VALU_DEP_2)
	v_subrev_nc_u32_e32 v104, 28, v103
	v_sub_nc_u32_e32 v103, 29, v103
	v_lshlrev_b64 v[108:109], v104, v[51:52]
	s_delay_alu instid0(VALU_DEP_1)
	v_and_b32_e32 v51, 7, v108
; %bb.199:                              ;   in Loop: Header=BB244_10 Depth=1
	s_or_b32 exec_lo, exec_lo, s45
	v_lshlrev_b32_e32 v104, 16, v107
	s_delay_alu instid0(VALU_DEP_2) | instskip(SKIP_1) | instid1(VALU_DEP_3)
	v_lshlrev_b32_e32 v51, 20, v51
	v_lshl_add_u32 v103, v103, 23, 0x3c000000
	v_and_b32_e32 v104, 0x80000000, v104
	s_delay_alu instid0(VALU_DEP_1)
	v_or3_b32 v104, v51, v104, v103
	v_mov_b32_e32 v103, v52
.LBB244_200:                            ;   in Loop: Header=BB244_10 Depth=1
	s_or_b32 exec_lo, exec_lo, s8
.LBB244_201:                            ;   in Loop: Header=BB244_10 Depth=1
	s_delay_alu instid0(SALU_CYCLE_1)
	s_or_b32 exec_lo, exec_lo, s44
.LBB244_202:                            ;   in Loop: Header=BB244_10 Depth=1
	s_delay_alu instid0(SALU_CYCLE_1)
	s_or_b32 exec_lo, exec_lo, s3
	global_load_u16 v51, v[69:70], off offset:768
	v_mov_b32_e32 v107, 0
	s_waitcnt vmcnt(0)
	v_dual_mov_b32 v108, 0 :: v_dual_and_b32 v109, 0xff, v51
	v_and_b32_e32 v111, 0xffff, v51
	s_delay_alu instid0(VALU_DEP_2) | instskip(NEXT) | instid1(VALU_DEP_3)
	v_cmp_ne_u16_e64 s1, 0, v109
	v_dual_mov_b32 v110, v108 :: v_dual_mov_b32 v109, v107
	s_delay_alu instid0(VALU_DEP_2)
	s_and_saveexec_b32 s3, s1
	s_cbranch_execz .LBB244_210
; %bb.203:                              ;   in Loop: Header=BB244_10 Depth=1
	v_bfrev_b32_e32 v109, 1
	v_dual_mov_b32 v110, 0 :: v_dual_and_b32 v51, 0xff, v111
	s_mov_b32 s8, exec_lo
	s_delay_alu instid0(VALU_DEP_1)
	v_cmpx_ne_u16_e32 0x80, v51
	s_cbranch_execz .LBB244_209
; %bb.204:                              ;   in Loop: Header=BB244_10 Depth=1
	v_mov_b32_e32 v109, 0x7f800001
	v_and_b32_e32 v112, 0x7f, v111
	v_mov_b32_e32 v110, 0
	s_mov_b32 s44, exec_lo
	s_delay_alu instid0(VALU_DEP_2)
	v_cmpx_ne_u32_e32 0x7f, v112
	s_cbranch_execz .LBB244_208
; %bb.205:                              ;   in Loop: Header=BB244_10 Depth=1
	v_and_b32_e32 v51, 7, v111
	v_lshrrev_b32_e32 v109, 3, v112
	s_mov_b32 s45, exec_lo
	v_cmpx_gt_u32_e32 8, v112
; %bb.206:                              ;   in Loop: Header=BB244_10 Depth=1
	s_delay_alu instid0(VALU_DEP_3) | instskip(NEXT) | instid1(VALU_DEP_1)
	v_clz_i32_u32_e32 v109, v51
	v_min_u32_e32 v109, 32, v109
	s_delay_alu instid0(VALU_DEP_1) | instskip(SKIP_1) | instid1(VALU_DEP_2)
	v_subrev_nc_u32_e32 v110, 28, v109
	v_sub_nc_u32_e32 v109, 29, v109
	v_lshlrev_b64 v[112:113], v110, v[51:52]
	s_delay_alu instid0(VALU_DEP_1)
	v_and_b32_e32 v51, 7, v112
; %bb.207:                              ;   in Loop: Header=BB244_10 Depth=1
	s_or_b32 exec_lo, exec_lo, s45
	v_lshlrev_b32_e32 v110, 24, v111
	s_delay_alu instid0(VALU_DEP_2) | instskip(SKIP_1) | instid1(VALU_DEP_3)
	v_lshlrev_b32_e32 v51, 20, v51
	v_lshl_add_u32 v109, v109, 23, 0x3c000000
	v_and_b32_e32 v110, 0x80000000, v110
	s_delay_alu instid0(VALU_DEP_1) | instskip(NEXT) | instid1(VALU_DEP_1)
	v_or3_b32 v51, v51, v110, v109
	v_dual_mov_b32 v110, v52 :: v_dual_mov_b32 v109, v51
.LBB244_208:                            ;   in Loop: Header=BB244_10 Depth=1
	s_or_b32 exec_lo, exec_lo, s44
.LBB244_209:                            ;   in Loop: Header=BB244_10 Depth=1
	s_delay_alu instid0(SALU_CYCLE_1)
	s_or_b32 exec_lo, exec_lo, s8
.LBB244_210:                            ;   in Loop: Header=BB244_10 Depth=1
	s_delay_alu instid0(SALU_CYCLE_1) | instskip(SKIP_2) | instid1(VALU_DEP_1)
	s_or_b32 exec_lo, exec_lo, s3
	v_lshrrev_b16 v51, 8, v111
	s_mov_b32 s3, exec_lo
	v_cmpx_ne_u16_e32 0, v51
	s_cbranch_execz .LBB244_218
; %bb.211:                              ;   in Loop: Header=BB244_10 Depth=1
	v_dual_mov_b32 v108, s7 :: v_dual_mov_b32 v107, s6
	s_mov_b32 s44, exec_lo
	v_cmpx_ne_u16_e32 0x80, v51
	s_cbranch_execz .LBB244_217
; %bb.212:                              ;   in Loop: Header=BB244_10 Depth=1
	s_mov_b32 s8, s6
	v_dual_mov_b32 v108, s9 :: v_dual_and_b32 v51, 0xffff, v51
	v_mov_b32_e32 v107, s8
	s_mov_b32 s8, exec_lo
	s_delay_alu instid0(VALU_DEP_2) | instskip(NEXT) | instid1(VALU_DEP_1)
	v_and_b32_e32 v112, 0x7f, v51
	v_cmpx_ne_u32_e32 0x7f, v112
	s_cbranch_execz .LBB244_216
; %bb.213:                              ;   in Loop: Header=BB244_10 Depth=1
	v_and_b32_e32 v51, 7, v51
	v_lshrrev_b32_e32 v107, 3, v112
	s_mov_b32 s45, exec_lo
	v_cmpx_gt_u32_e32 8, v112
; %bb.214:                              ;   in Loop: Header=BB244_10 Depth=1
	s_delay_alu instid0(VALU_DEP_3) | instskip(NEXT) | instid1(VALU_DEP_1)
	v_clz_i32_u32_e32 v107, v51
	v_min_u32_e32 v107, 32, v107
	s_delay_alu instid0(VALU_DEP_1) | instskip(SKIP_1) | instid1(VALU_DEP_2)
	v_subrev_nc_u32_e32 v108, 28, v107
	v_sub_nc_u32_e32 v107, 29, v107
	v_lshlrev_b64 v[112:113], v108, v[51:52]
	s_delay_alu instid0(VALU_DEP_1)
	v_and_b32_e32 v51, 7, v112
; %bb.215:                              ;   in Loop: Header=BB244_10 Depth=1
	s_or_b32 exec_lo, exec_lo, s45
	v_lshlrev_b32_e32 v108, 16, v111
	s_delay_alu instid0(VALU_DEP_2) | instskip(SKIP_1) | instid1(VALU_DEP_3)
	v_lshlrev_b32_e32 v51, 20, v51
	v_lshl_add_u32 v107, v107, 23, 0x3c000000
	v_and_b32_e32 v108, 0x80000000, v108
	s_delay_alu instid0(VALU_DEP_1)
	v_or3_b32 v108, v51, v108, v107
	v_mov_b32_e32 v107, v52
.LBB244_216:                            ;   in Loop: Header=BB244_10 Depth=1
	s_or_b32 exec_lo, exec_lo, s8
.LBB244_217:                            ;   in Loop: Header=BB244_10 Depth=1
	s_delay_alu instid0(SALU_CYCLE_1)
	s_or_b32 exec_lo, exec_lo, s44
.LBB244_218:                            ;   in Loop: Header=BB244_10 Depth=1
	s_delay_alu instid0(SALU_CYCLE_1)
	s_or_b32 exec_lo, exec_lo, s3
	global_load_u16 v51, v[69:70], off offset:772
	v_mov_b32_e32 v111, 0
	s_waitcnt vmcnt(0)
	v_dual_mov_b32 v112, 0 :: v_dual_and_b32 v113, 0xff, v51
	v_and_b32_e32 v115, 0xffff, v51
	s_delay_alu instid0(VALU_DEP_2) | instskip(NEXT) | instid1(VALU_DEP_3)
	v_cmp_ne_u16_e64 s1, 0, v113
	v_dual_mov_b32 v114, v112 :: v_dual_mov_b32 v113, v111
	s_delay_alu instid0(VALU_DEP_2)
	s_and_saveexec_b32 s3, s1
	s_cbranch_execz .LBB244_226
; %bb.219:                              ;   in Loop: Header=BB244_10 Depth=1
	v_bfrev_b32_e32 v113, 1
	v_dual_mov_b32 v114, 0 :: v_dual_and_b32 v51, 0xff, v115
	s_mov_b32 s8, exec_lo
	s_delay_alu instid0(VALU_DEP_1)
	v_cmpx_ne_u16_e32 0x80, v51
	s_cbranch_execz .LBB244_225
; %bb.220:                              ;   in Loop: Header=BB244_10 Depth=1
	v_mov_b32_e32 v113, 0x7f800001
	v_and_b32_e32 v116, 0x7f, v115
	v_mov_b32_e32 v114, 0
	s_mov_b32 s44, exec_lo
	s_delay_alu instid0(VALU_DEP_2)
	v_cmpx_ne_u32_e32 0x7f, v116
	s_cbranch_execz .LBB244_224
; %bb.221:                              ;   in Loop: Header=BB244_10 Depth=1
	v_and_b32_e32 v51, 7, v115
	v_lshrrev_b32_e32 v113, 3, v116
	s_mov_b32 s45, exec_lo
	v_cmpx_gt_u32_e32 8, v116
; %bb.222:                              ;   in Loop: Header=BB244_10 Depth=1
	s_delay_alu instid0(VALU_DEP_3) | instskip(NEXT) | instid1(VALU_DEP_1)
	v_clz_i32_u32_e32 v113, v51
	v_min_u32_e32 v113, 32, v113
	s_delay_alu instid0(VALU_DEP_1) | instskip(SKIP_1) | instid1(VALU_DEP_2)
	v_subrev_nc_u32_e32 v114, 28, v113
	v_sub_nc_u32_e32 v113, 29, v113
	v_lshlrev_b64 v[116:117], v114, v[51:52]
	s_delay_alu instid0(VALU_DEP_1)
	v_and_b32_e32 v51, 7, v116
; %bb.223:                              ;   in Loop: Header=BB244_10 Depth=1
	s_or_b32 exec_lo, exec_lo, s45
	v_lshlrev_b32_e32 v114, 24, v115
	s_delay_alu instid0(VALU_DEP_2) | instskip(SKIP_1) | instid1(VALU_DEP_3)
	v_lshlrev_b32_e32 v51, 20, v51
	v_lshl_add_u32 v113, v113, 23, 0x3c000000
	v_and_b32_e32 v114, 0x80000000, v114
	s_delay_alu instid0(VALU_DEP_1) | instskip(NEXT) | instid1(VALU_DEP_1)
	v_or3_b32 v51, v51, v114, v113
	v_dual_mov_b32 v114, v52 :: v_dual_mov_b32 v113, v51
.LBB244_224:                            ;   in Loop: Header=BB244_10 Depth=1
	s_or_b32 exec_lo, exec_lo, s44
.LBB244_225:                            ;   in Loop: Header=BB244_10 Depth=1
	s_delay_alu instid0(SALU_CYCLE_1)
	s_or_b32 exec_lo, exec_lo, s8
.LBB244_226:                            ;   in Loop: Header=BB244_10 Depth=1
	s_delay_alu instid0(SALU_CYCLE_1) | instskip(SKIP_2) | instid1(VALU_DEP_1)
	s_or_b32 exec_lo, exec_lo, s3
	v_lshrrev_b16 v51, 8, v115
	s_mov_b32 s3, exec_lo
	v_cmpx_ne_u16_e32 0, v51
	s_cbranch_execz .LBB244_234
; %bb.227:                              ;   in Loop: Header=BB244_10 Depth=1
	v_dual_mov_b32 v112, s7 :: v_dual_mov_b32 v111, s6
	s_mov_b32 s44, exec_lo
	v_cmpx_ne_u16_e32 0x80, v51
	s_cbranch_execz .LBB244_233
; %bb.228:                              ;   in Loop: Header=BB244_10 Depth=1
	s_mov_b32 s8, s6
	v_dual_mov_b32 v112, s9 :: v_dual_and_b32 v51, 0xffff, v51
	v_mov_b32_e32 v111, s8
	s_mov_b32 s8, exec_lo
	s_delay_alu instid0(VALU_DEP_2) | instskip(NEXT) | instid1(VALU_DEP_1)
	v_and_b32_e32 v116, 0x7f, v51
	v_cmpx_ne_u32_e32 0x7f, v116
	s_cbranch_execz .LBB244_232
; %bb.229:                              ;   in Loop: Header=BB244_10 Depth=1
	v_and_b32_e32 v51, 7, v51
	v_lshrrev_b32_e32 v111, 3, v116
	s_mov_b32 s45, exec_lo
	v_cmpx_gt_u32_e32 8, v116
; %bb.230:                              ;   in Loop: Header=BB244_10 Depth=1
	s_delay_alu instid0(VALU_DEP_3) | instskip(NEXT) | instid1(VALU_DEP_1)
	v_clz_i32_u32_e32 v111, v51
	v_min_u32_e32 v111, 32, v111
	s_delay_alu instid0(VALU_DEP_1) | instskip(SKIP_1) | instid1(VALU_DEP_2)
	v_subrev_nc_u32_e32 v112, 28, v111
	v_sub_nc_u32_e32 v111, 29, v111
	v_lshlrev_b64 v[116:117], v112, v[51:52]
	s_delay_alu instid0(VALU_DEP_1)
	v_and_b32_e32 v51, 7, v116
; %bb.231:                              ;   in Loop: Header=BB244_10 Depth=1
	s_or_b32 exec_lo, exec_lo, s45
	v_lshlrev_b32_e32 v112, 16, v115
	s_delay_alu instid0(VALU_DEP_2) | instskip(SKIP_1) | instid1(VALU_DEP_3)
	v_lshlrev_b32_e32 v51, 20, v51
	v_lshl_add_u32 v111, v111, 23, 0x3c000000
	v_and_b32_e32 v112, 0x80000000, v112
	s_delay_alu instid0(VALU_DEP_1)
	v_or3_b32 v112, v51, v112, v111
	v_mov_b32_e32 v111, v52
.LBB244_232:                            ;   in Loop: Header=BB244_10 Depth=1
	s_or_b32 exec_lo, exec_lo, s8
.LBB244_233:                            ;   in Loop: Header=BB244_10 Depth=1
	s_delay_alu instid0(SALU_CYCLE_1)
	s_or_b32 exec_lo, exec_lo, s44
.LBB244_234:                            ;   in Loop: Header=BB244_10 Depth=1
	s_delay_alu instid0(SALU_CYCLE_1) | instskip(SKIP_1) | instid1(VALU_DEP_1)
	s_or_b32 exec_lo, exec_lo, s3
	v_add_co_u32 v119, s1, 0x300, v69
	v_add_co_ci_u32_e64 v120, s1, 0, v70, s1
	v_mov_b32_e32 v115, 0
	global_load_u16 v51, v[119:120], off offset:8
	s_waitcnt vmcnt(0)
	v_dual_mov_b32 v116, 0 :: v_dual_and_b32 v117, 0xff, v51
	v_and_b32_e32 v121, 0xffff, v51
	s_delay_alu instid0(VALU_DEP_2) | instskip(NEXT) | instid1(VALU_DEP_3)
	v_cmp_ne_u16_e64 s1, 0, v117
	v_dual_mov_b32 v118, v116 :: v_dual_mov_b32 v117, v115
	s_delay_alu instid0(VALU_DEP_2)
	s_and_saveexec_b32 s3, s1
	s_cbranch_execz .LBB244_242
; %bb.235:                              ;   in Loop: Header=BB244_10 Depth=1
	v_bfrev_b32_e32 v117, 1
	v_dual_mov_b32 v118, 0 :: v_dual_and_b32 v51, 0xff, v121
	s_mov_b32 s8, exec_lo
	s_delay_alu instid0(VALU_DEP_1)
	v_cmpx_ne_u16_e32 0x80, v51
	s_cbranch_execz .LBB244_241
; %bb.236:                              ;   in Loop: Header=BB244_10 Depth=1
	v_mov_b32_e32 v117, 0x7f800001
	v_and_b32_e32 v122, 0x7f, v121
	v_mov_b32_e32 v118, 0
	s_mov_b32 s44, exec_lo
	s_delay_alu instid0(VALU_DEP_2)
	v_cmpx_ne_u32_e32 0x7f, v122
	s_cbranch_execz .LBB244_240
; %bb.237:                              ;   in Loop: Header=BB244_10 Depth=1
	v_and_b32_e32 v51, 7, v121
	v_lshrrev_b32_e32 v117, 3, v122
	s_mov_b32 s45, exec_lo
	v_cmpx_gt_u32_e32 8, v122
; %bb.238:                              ;   in Loop: Header=BB244_10 Depth=1
	s_delay_alu instid0(VALU_DEP_3) | instskip(NEXT) | instid1(VALU_DEP_1)
	v_clz_i32_u32_e32 v117, v51
	v_min_u32_e32 v117, 32, v117
	s_delay_alu instid0(VALU_DEP_1) | instskip(SKIP_1) | instid1(VALU_DEP_2)
	v_subrev_nc_u32_e32 v118, 28, v117
	v_sub_nc_u32_e32 v117, 29, v117
	v_lshlrev_b64 v[122:123], v118, v[51:52]
	s_delay_alu instid0(VALU_DEP_1)
	v_and_b32_e32 v51, 7, v122
; %bb.239:                              ;   in Loop: Header=BB244_10 Depth=1
	s_or_b32 exec_lo, exec_lo, s45
	v_lshlrev_b32_e32 v118, 24, v121
	s_delay_alu instid0(VALU_DEP_2) | instskip(SKIP_1) | instid1(VALU_DEP_3)
	v_lshlrev_b32_e32 v51, 20, v51
	v_lshl_add_u32 v117, v117, 23, 0x3c000000
	v_and_b32_e32 v118, 0x80000000, v118
	s_delay_alu instid0(VALU_DEP_1) | instskip(NEXT) | instid1(VALU_DEP_1)
	v_or3_b32 v51, v51, v118, v117
	v_dual_mov_b32 v118, v52 :: v_dual_mov_b32 v117, v51
.LBB244_240:                            ;   in Loop: Header=BB244_10 Depth=1
	s_or_b32 exec_lo, exec_lo, s44
.LBB244_241:                            ;   in Loop: Header=BB244_10 Depth=1
	s_delay_alu instid0(SALU_CYCLE_1)
	s_or_b32 exec_lo, exec_lo, s8
.LBB244_242:                            ;   in Loop: Header=BB244_10 Depth=1
	s_delay_alu instid0(SALU_CYCLE_1) | instskip(SKIP_2) | instid1(VALU_DEP_1)
	s_or_b32 exec_lo, exec_lo, s3
	v_lshrrev_b16 v51, 8, v121
	s_mov_b32 s3, exec_lo
	v_cmpx_ne_u16_e32 0, v51
	s_cbranch_execz .LBB244_250
; %bb.243:                              ;   in Loop: Header=BB244_10 Depth=1
	v_dual_mov_b32 v116, s7 :: v_dual_mov_b32 v115, s6
	s_mov_b32 s44, exec_lo
	v_cmpx_ne_u16_e32 0x80, v51
	s_cbranch_execz .LBB244_249
; %bb.244:                              ;   in Loop: Header=BB244_10 Depth=1
	s_mov_b32 s8, s6
	v_dual_mov_b32 v116, s9 :: v_dual_and_b32 v51, 0xffff, v51
	v_mov_b32_e32 v115, s8
	s_mov_b32 s8, exec_lo
	s_delay_alu instid0(VALU_DEP_2) | instskip(NEXT) | instid1(VALU_DEP_1)
	v_and_b32_e32 v122, 0x7f, v51
	v_cmpx_ne_u32_e32 0x7f, v122
	s_cbranch_execz .LBB244_248
; %bb.245:                              ;   in Loop: Header=BB244_10 Depth=1
	v_and_b32_e32 v51, 7, v51
	v_lshrrev_b32_e32 v115, 3, v122
	s_mov_b32 s45, exec_lo
	v_cmpx_gt_u32_e32 8, v122
; %bb.246:                              ;   in Loop: Header=BB244_10 Depth=1
	s_delay_alu instid0(VALU_DEP_3) | instskip(NEXT) | instid1(VALU_DEP_1)
	v_clz_i32_u32_e32 v115, v51
	v_min_u32_e32 v115, 32, v115
	s_delay_alu instid0(VALU_DEP_1) | instskip(SKIP_1) | instid1(VALU_DEP_2)
	v_subrev_nc_u32_e32 v116, 28, v115
	v_sub_nc_u32_e32 v115, 29, v115
	v_lshlrev_b64 v[122:123], v116, v[51:52]
	s_delay_alu instid0(VALU_DEP_1)
	v_and_b32_e32 v51, 7, v122
; %bb.247:                              ;   in Loop: Header=BB244_10 Depth=1
	s_or_b32 exec_lo, exec_lo, s45
	v_lshlrev_b32_e32 v116, 16, v121
	s_delay_alu instid0(VALU_DEP_2) | instskip(SKIP_1) | instid1(VALU_DEP_3)
	v_lshlrev_b32_e32 v51, 20, v51
	v_lshl_add_u32 v115, v115, 23, 0x3c000000
	v_and_b32_e32 v116, 0x80000000, v116
	s_delay_alu instid0(VALU_DEP_1)
	v_or3_b32 v116, v51, v116, v115
	v_mov_b32_e32 v115, v52
.LBB244_248:                            ;   in Loop: Header=BB244_10 Depth=1
	s_or_b32 exec_lo, exec_lo, s8
.LBB244_249:                            ;   in Loop: Header=BB244_10 Depth=1
	s_delay_alu instid0(SALU_CYCLE_1)
	s_or_b32 exec_lo, exec_lo, s44
.LBB244_250:                            ;   in Loop: Header=BB244_10 Depth=1
	s_delay_alu instid0(SALU_CYCLE_1)
	s_or_b32 exec_lo, exec_lo, s3
	global_load_u16 v51, v[119:120], off offset:12
	v_mov_b32_e32 v119, 0
	s_waitcnt vmcnt(0)
	v_dual_mov_b32 v120, 0 :: v_dual_and_b32 v121, 0xff, v51
	v_and_b32_e32 v123, 0xffff, v51
	s_delay_alu instid0(VALU_DEP_2) | instskip(NEXT) | instid1(VALU_DEP_3)
	v_cmp_ne_u16_e64 s1, 0, v121
	v_dual_mov_b32 v122, v120 :: v_dual_mov_b32 v121, v119
	s_delay_alu instid0(VALU_DEP_2)
	s_and_saveexec_b32 s3, s1
	s_cbranch_execz .LBB244_258
; %bb.251:                              ;   in Loop: Header=BB244_10 Depth=1
	v_bfrev_b32_e32 v121, 1
	v_dual_mov_b32 v122, 0 :: v_dual_and_b32 v51, 0xff, v123
	s_mov_b32 s8, exec_lo
	s_delay_alu instid0(VALU_DEP_1)
	v_cmpx_ne_u16_e32 0x80, v51
	s_cbranch_execz .LBB244_257
; %bb.252:                              ;   in Loop: Header=BB244_10 Depth=1
	v_mov_b32_e32 v121, 0x7f800001
	v_and_b32_e32 v124, 0x7f, v123
	v_mov_b32_e32 v122, 0
	s_mov_b32 s44, exec_lo
	s_delay_alu instid0(VALU_DEP_2)
	v_cmpx_ne_u32_e32 0x7f, v124
	s_cbranch_execz .LBB244_256
; %bb.253:                              ;   in Loop: Header=BB244_10 Depth=1
	v_and_b32_e32 v51, 7, v123
	v_lshrrev_b32_e32 v121, 3, v124
	s_mov_b32 s45, exec_lo
	v_cmpx_gt_u32_e32 8, v124
; %bb.254:                              ;   in Loop: Header=BB244_10 Depth=1
	s_delay_alu instid0(VALU_DEP_3) | instskip(NEXT) | instid1(VALU_DEP_1)
	v_clz_i32_u32_e32 v121, v51
	v_min_u32_e32 v121, 32, v121
	s_delay_alu instid0(VALU_DEP_1) | instskip(SKIP_1) | instid1(VALU_DEP_2)
	v_subrev_nc_u32_e32 v122, 28, v121
	v_sub_nc_u32_e32 v121, 29, v121
	v_lshlrev_b64 v[124:125], v122, v[51:52]
	s_delay_alu instid0(VALU_DEP_1)
	v_and_b32_e32 v51, 7, v124
; %bb.255:                              ;   in Loop: Header=BB244_10 Depth=1
	s_or_b32 exec_lo, exec_lo, s45
	v_lshlrev_b32_e32 v122, 24, v123
	s_delay_alu instid0(VALU_DEP_2) | instskip(SKIP_1) | instid1(VALU_DEP_3)
	v_lshlrev_b32_e32 v51, 20, v51
	v_lshl_add_u32 v121, v121, 23, 0x3c000000
	v_and_b32_e32 v122, 0x80000000, v122
	s_delay_alu instid0(VALU_DEP_1) | instskip(NEXT) | instid1(VALU_DEP_1)
	v_or3_b32 v51, v51, v122, v121
	v_dual_mov_b32 v122, v52 :: v_dual_mov_b32 v121, v51
.LBB244_256:                            ;   in Loop: Header=BB244_10 Depth=1
	s_or_b32 exec_lo, exec_lo, s44
.LBB244_257:                            ;   in Loop: Header=BB244_10 Depth=1
	s_delay_alu instid0(SALU_CYCLE_1)
	s_or_b32 exec_lo, exec_lo, s8
.LBB244_258:                            ;   in Loop: Header=BB244_10 Depth=1
	s_delay_alu instid0(SALU_CYCLE_1) | instskip(SKIP_2) | instid1(VALU_DEP_1)
	s_or_b32 exec_lo, exec_lo, s3
	v_lshrrev_b16 v51, 8, v123
	s_mov_b32 s3, exec_lo
	v_cmpx_ne_u16_e32 0, v51
	s_cbranch_execz .LBB244_266
; %bb.259:                              ;   in Loop: Header=BB244_10 Depth=1
	v_dual_mov_b32 v120, s7 :: v_dual_mov_b32 v119, s6
	s_mov_b32 s44, exec_lo
	v_cmpx_ne_u16_e32 0x80, v51
	s_cbranch_execz .LBB244_265
; %bb.260:                              ;   in Loop: Header=BB244_10 Depth=1
	s_mov_b32 s8, s6
	v_dual_mov_b32 v120, s9 :: v_dual_and_b32 v51, 0xffff, v51
	v_mov_b32_e32 v119, s8
	s_mov_b32 s8, exec_lo
	s_delay_alu instid0(VALU_DEP_2) | instskip(NEXT) | instid1(VALU_DEP_1)
	v_and_b32_e32 v124, 0x7f, v51
	v_cmpx_ne_u32_e32 0x7f, v124
	s_cbranch_execz .LBB244_264
; %bb.261:                              ;   in Loop: Header=BB244_10 Depth=1
	v_and_b32_e32 v51, 7, v51
	v_lshrrev_b32_e32 v119, 3, v124
	s_mov_b32 s45, exec_lo
	v_cmpx_gt_u32_e32 8, v124
; %bb.262:                              ;   in Loop: Header=BB244_10 Depth=1
	s_delay_alu instid0(VALU_DEP_3) | instskip(NEXT) | instid1(VALU_DEP_1)
	v_clz_i32_u32_e32 v119, v51
	v_min_u32_e32 v119, 32, v119
	s_delay_alu instid0(VALU_DEP_1) | instskip(SKIP_1) | instid1(VALU_DEP_2)
	v_subrev_nc_u32_e32 v120, 28, v119
	v_sub_nc_u32_e32 v119, 29, v119
	v_lshlrev_b64 v[124:125], v120, v[51:52]
	s_delay_alu instid0(VALU_DEP_1)
	v_and_b32_e32 v51, 7, v124
; %bb.263:                              ;   in Loop: Header=BB244_10 Depth=1
	s_or_b32 exec_lo, exec_lo, s45
	v_lshlrev_b32_e32 v120, 16, v123
	s_delay_alu instid0(VALU_DEP_2) | instskip(SKIP_1) | instid1(VALU_DEP_3)
	v_lshlrev_b32_e32 v51, 20, v51
	v_lshl_add_u32 v119, v119, 23, 0x3c000000
	v_and_b32_e32 v120, 0x80000000, v120
	s_delay_alu instid0(VALU_DEP_1)
	v_or3_b32 v120, v51, v120, v119
	v_mov_b32_e32 v119, v52
.LBB244_264:                            ;   in Loop: Header=BB244_10 Depth=1
	s_or_b32 exec_lo, exec_lo, s8
.LBB244_265:                            ;   in Loop: Header=BB244_10 Depth=1
	s_delay_alu instid0(SALU_CYCLE_1)
	s_or_b32 exec_lo, exec_lo, s44
.LBB244_266:                            ;   in Loop: Header=BB244_10 Depth=1
	s_delay_alu instid0(SALU_CYCLE_1)
	s_or_b32 exec_lo, exec_lo, s3
	global_load_u16 v51, v[69:70], off offset:1024
	v_mov_b32_e32 v123, 0
	s_waitcnt vmcnt(0)
	v_dual_mov_b32 v124, 0 :: v_dual_and_b32 v125, 0xff, v51
	v_and_b32_e32 v127, 0xffff, v51
	s_delay_alu instid0(VALU_DEP_2) | instskip(NEXT) | instid1(VALU_DEP_3)
	v_cmp_ne_u16_e64 s1, 0, v125
	v_dual_mov_b32 v126, v124 :: v_dual_mov_b32 v125, v123
	s_delay_alu instid0(VALU_DEP_2)
	s_and_saveexec_b32 s3, s1
	s_cbranch_execz .LBB244_274
; %bb.267:                              ;   in Loop: Header=BB244_10 Depth=1
	v_bfrev_b32_e32 v125, 1
	v_dual_mov_b32 v126, 0 :: v_dual_and_b32 v51, 0xff, v127
	s_mov_b32 s8, exec_lo
	s_delay_alu instid0(VALU_DEP_1)
	v_cmpx_ne_u16_e32 0x80, v51
	s_cbranch_execz .LBB244_273
; %bb.268:                              ;   in Loop: Header=BB244_10 Depth=1
	v_mov_b32_e32 v125, 0x7f800001
	v_and_b32_e32 v128, 0x7f, v127
	v_mov_b32_e32 v126, 0
	s_mov_b32 s44, exec_lo
	s_delay_alu instid0(VALU_DEP_2)
	v_cmpx_ne_u32_e32 0x7f, v128
	s_cbranch_execz .LBB244_272
; %bb.269:                              ;   in Loop: Header=BB244_10 Depth=1
	v_and_b32_e32 v51, 7, v127
	v_lshrrev_b32_e32 v125, 3, v128
	s_mov_b32 s45, exec_lo
	v_cmpx_gt_u32_e32 8, v128
; %bb.270:                              ;   in Loop: Header=BB244_10 Depth=1
	s_delay_alu instid0(VALU_DEP_3) | instskip(NEXT) | instid1(VALU_DEP_1)
	v_clz_i32_u32_e32 v125, v51
	v_min_u32_e32 v125, 32, v125
	s_delay_alu instid0(VALU_DEP_1) | instskip(SKIP_1) | instid1(VALU_DEP_2)
	v_subrev_nc_u32_e32 v126, 28, v125
	v_sub_nc_u32_e32 v125, 29, v125
	v_lshlrev_b64 v[128:129], v126, v[51:52]
	s_delay_alu instid0(VALU_DEP_1)
	v_and_b32_e32 v51, 7, v128
; %bb.271:                              ;   in Loop: Header=BB244_10 Depth=1
	s_or_b32 exec_lo, exec_lo, s45
	v_lshlrev_b32_e32 v126, 24, v127
	s_delay_alu instid0(VALU_DEP_2) | instskip(SKIP_1) | instid1(VALU_DEP_3)
	v_lshlrev_b32_e32 v51, 20, v51
	v_lshl_add_u32 v125, v125, 23, 0x3c000000
	v_and_b32_e32 v126, 0x80000000, v126
	s_delay_alu instid0(VALU_DEP_1) | instskip(NEXT) | instid1(VALU_DEP_1)
	v_or3_b32 v51, v51, v126, v125
	v_dual_mov_b32 v126, v52 :: v_dual_mov_b32 v125, v51
.LBB244_272:                            ;   in Loop: Header=BB244_10 Depth=1
	s_or_b32 exec_lo, exec_lo, s44
.LBB244_273:                            ;   in Loop: Header=BB244_10 Depth=1
	s_delay_alu instid0(SALU_CYCLE_1)
	s_or_b32 exec_lo, exec_lo, s8
.LBB244_274:                            ;   in Loop: Header=BB244_10 Depth=1
	s_delay_alu instid0(SALU_CYCLE_1) | instskip(SKIP_2) | instid1(VALU_DEP_1)
	s_or_b32 exec_lo, exec_lo, s3
	v_lshrrev_b16 v51, 8, v127
	s_mov_b32 s3, exec_lo
	v_cmpx_ne_u16_e32 0, v51
	s_cbranch_execz .LBB244_282
; %bb.275:                              ;   in Loop: Header=BB244_10 Depth=1
	v_dual_mov_b32 v124, s7 :: v_dual_mov_b32 v123, s6
	s_mov_b32 s44, exec_lo
	v_cmpx_ne_u16_e32 0x80, v51
	s_cbranch_execz .LBB244_281
; %bb.276:                              ;   in Loop: Header=BB244_10 Depth=1
	s_mov_b32 s8, s6
	v_dual_mov_b32 v124, s9 :: v_dual_and_b32 v51, 0xffff, v51
	v_mov_b32_e32 v123, s8
	s_mov_b32 s8, exec_lo
	s_delay_alu instid0(VALU_DEP_2) | instskip(NEXT) | instid1(VALU_DEP_1)
	v_and_b32_e32 v128, 0x7f, v51
	v_cmpx_ne_u32_e32 0x7f, v128
	s_cbranch_execz .LBB244_280
; %bb.277:                              ;   in Loop: Header=BB244_10 Depth=1
	v_and_b32_e32 v51, 7, v51
	v_lshrrev_b32_e32 v123, 3, v128
	s_mov_b32 s45, exec_lo
	v_cmpx_gt_u32_e32 8, v128
; %bb.278:                              ;   in Loop: Header=BB244_10 Depth=1
	s_delay_alu instid0(VALU_DEP_3) | instskip(NEXT) | instid1(VALU_DEP_1)
	v_clz_i32_u32_e32 v123, v51
	v_min_u32_e32 v123, 32, v123
	s_delay_alu instid0(VALU_DEP_1) | instskip(SKIP_1) | instid1(VALU_DEP_2)
	v_subrev_nc_u32_e32 v124, 28, v123
	v_sub_nc_u32_e32 v123, 29, v123
	v_lshlrev_b64 v[128:129], v124, v[51:52]
	s_delay_alu instid0(VALU_DEP_1)
	v_and_b32_e32 v51, 7, v128
; %bb.279:                              ;   in Loop: Header=BB244_10 Depth=1
	s_or_b32 exec_lo, exec_lo, s45
	v_lshlrev_b32_e32 v124, 16, v127
	s_delay_alu instid0(VALU_DEP_2) | instskip(SKIP_1) | instid1(VALU_DEP_3)
	v_lshlrev_b32_e32 v51, 20, v51
	v_lshl_add_u32 v123, v123, 23, 0x3c000000
	v_and_b32_e32 v124, 0x80000000, v124
	s_delay_alu instid0(VALU_DEP_1)
	v_or3_b32 v124, v51, v124, v123
	v_mov_b32_e32 v123, v52
.LBB244_280:                            ;   in Loop: Header=BB244_10 Depth=1
	s_or_b32 exec_lo, exec_lo, s8
.LBB244_281:                            ;   in Loop: Header=BB244_10 Depth=1
	s_delay_alu instid0(SALU_CYCLE_1)
	s_or_b32 exec_lo, exec_lo, s44
.LBB244_282:                            ;   in Loop: Header=BB244_10 Depth=1
	s_delay_alu instid0(SALU_CYCLE_1)
	s_or_b32 exec_lo, exec_lo, s3
	global_load_u16 v51, v[69:70], off offset:1028
	v_mov_b32_e32 v127, 0
	s_waitcnt vmcnt(0)
	v_dual_mov_b32 v128, 0 :: v_dual_and_b32 v129, 0xff, v51
	v_and_b32_e32 v131, 0xffff, v51
	s_delay_alu instid0(VALU_DEP_2) | instskip(NEXT) | instid1(VALU_DEP_3)
	v_cmp_ne_u16_e64 s1, 0, v129
	v_dual_mov_b32 v130, v128 :: v_dual_mov_b32 v129, v127
	s_delay_alu instid0(VALU_DEP_2)
	s_and_saveexec_b32 s3, s1
	s_cbranch_execz .LBB244_290
; %bb.283:                              ;   in Loop: Header=BB244_10 Depth=1
	v_bfrev_b32_e32 v129, 1
	v_dual_mov_b32 v130, 0 :: v_dual_and_b32 v51, 0xff, v131
	s_mov_b32 s8, exec_lo
	s_delay_alu instid0(VALU_DEP_1)
	v_cmpx_ne_u16_e32 0x80, v51
	s_cbranch_execz .LBB244_289
; %bb.284:                              ;   in Loop: Header=BB244_10 Depth=1
	v_mov_b32_e32 v129, 0x7f800001
	v_and_b32_e32 v132, 0x7f, v131
	v_mov_b32_e32 v130, 0
	s_mov_b32 s44, exec_lo
	s_delay_alu instid0(VALU_DEP_2)
	v_cmpx_ne_u32_e32 0x7f, v132
	s_cbranch_execz .LBB244_288
; %bb.285:                              ;   in Loop: Header=BB244_10 Depth=1
	v_and_b32_e32 v51, 7, v131
	v_lshrrev_b32_e32 v129, 3, v132
	s_mov_b32 s45, exec_lo
	v_cmpx_gt_u32_e32 8, v132
; %bb.286:                              ;   in Loop: Header=BB244_10 Depth=1
	s_delay_alu instid0(VALU_DEP_3) | instskip(NEXT) | instid1(VALU_DEP_1)
	v_clz_i32_u32_e32 v129, v51
	v_min_u32_e32 v129, 32, v129
	s_delay_alu instid0(VALU_DEP_1) | instskip(SKIP_1) | instid1(VALU_DEP_2)
	v_subrev_nc_u32_e32 v130, 28, v129
	v_sub_nc_u32_e32 v129, 29, v129
	v_lshlrev_b64 v[132:133], v130, v[51:52]
	s_delay_alu instid0(VALU_DEP_1)
	v_and_b32_e32 v51, 7, v132
; %bb.287:                              ;   in Loop: Header=BB244_10 Depth=1
	s_or_b32 exec_lo, exec_lo, s45
	v_lshlrev_b32_e32 v130, 24, v131
	s_delay_alu instid0(VALU_DEP_2) | instskip(SKIP_1) | instid1(VALU_DEP_3)
	v_lshlrev_b32_e32 v51, 20, v51
	v_lshl_add_u32 v129, v129, 23, 0x3c000000
	v_and_b32_e32 v130, 0x80000000, v130
	s_delay_alu instid0(VALU_DEP_1) | instskip(NEXT) | instid1(VALU_DEP_1)
	v_or3_b32 v51, v51, v130, v129
	v_dual_mov_b32 v130, v52 :: v_dual_mov_b32 v129, v51
.LBB244_288:                            ;   in Loop: Header=BB244_10 Depth=1
	s_or_b32 exec_lo, exec_lo, s44
.LBB244_289:                            ;   in Loop: Header=BB244_10 Depth=1
	s_delay_alu instid0(SALU_CYCLE_1)
	s_or_b32 exec_lo, exec_lo, s8
.LBB244_290:                            ;   in Loop: Header=BB244_10 Depth=1
	s_delay_alu instid0(SALU_CYCLE_1) | instskip(SKIP_2) | instid1(VALU_DEP_1)
	s_or_b32 exec_lo, exec_lo, s3
	v_lshrrev_b16 v51, 8, v131
	s_mov_b32 s3, exec_lo
	v_cmpx_ne_u16_e32 0, v51
	s_cbranch_execz .LBB244_298
; %bb.291:                              ;   in Loop: Header=BB244_10 Depth=1
	v_dual_mov_b32 v128, s7 :: v_dual_mov_b32 v127, s6
	s_mov_b32 s44, exec_lo
	v_cmpx_ne_u16_e32 0x80, v51
	s_cbranch_execz .LBB244_297
; %bb.292:                              ;   in Loop: Header=BB244_10 Depth=1
	s_mov_b32 s8, s6
	v_dual_mov_b32 v128, s9 :: v_dual_and_b32 v51, 0xffff, v51
	v_mov_b32_e32 v127, s8
	s_mov_b32 s8, exec_lo
	s_delay_alu instid0(VALU_DEP_2) | instskip(NEXT) | instid1(VALU_DEP_1)
	v_and_b32_e32 v132, 0x7f, v51
	v_cmpx_ne_u32_e32 0x7f, v132
	s_cbranch_execz .LBB244_296
; %bb.293:                              ;   in Loop: Header=BB244_10 Depth=1
	v_and_b32_e32 v51, 7, v51
	v_lshrrev_b32_e32 v127, 3, v132
	s_mov_b32 s45, exec_lo
	v_cmpx_gt_u32_e32 8, v132
; %bb.294:                              ;   in Loop: Header=BB244_10 Depth=1
	s_delay_alu instid0(VALU_DEP_3) | instskip(NEXT) | instid1(VALU_DEP_1)
	v_clz_i32_u32_e32 v127, v51
	v_min_u32_e32 v127, 32, v127
	s_delay_alu instid0(VALU_DEP_1) | instskip(SKIP_1) | instid1(VALU_DEP_2)
	v_subrev_nc_u32_e32 v128, 28, v127
	v_sub_nc_u32_e32 v127, 29, v127
	v_lshlrev_b64 v[132:133], v128, v[51:52]
	s_delay_alu instid0(VALU_DEP_1)
	v_and_b32_e32 v51, 7, v132
; %bb.295:                              ;   in Loop: Header=BB244_10 Depth=1
	s_or_b32 exec_lo, exec_lo, s45
	v_lshlrev_b32_e32 v128, 16, v131
	s_delay_alu instid0(VALU_DEP_2) | instskip(SKIP_1) | instid1(VALU_DEP_3)
	v_lshlrev_b32_e32 v51, 20, v51
	v_lshl_add_u32 v127, v127, 23, 0x3c000000
	v_and_b32_e32 v128, 0x80000000, v128
	s_delay_alu instid0(VALU_DEP_1)
	v_or3_b32 v128, v51, v128, v127
	v_mov_b32_e32 v127, v52
.LBB244_296:                            ;   in Loop: Header=BB244_10 Depth=1
	s_or_b32 exec_lo, exec_lo, s8
.LBB244_297:                            ;   in Loop: Header=BB244_10 Depth=1
	s_delay_alu instid0(SALU_CYCLE_1)
	s_or_b32 exec_lo, exec_lo, s44
.LBB244_298:                            ;   in Loop: Header=BB244_10 Depth=1
	s_delay_alu instid0(SALU_CYCLE_1) | instskip(SKIP_1) | instid1(VALU_DEP_1)
	s_or_b32 exec_lo, exec_lo, s3
	v_add_co_u32 v135, s1, 0x400, v69
	v_add_co_ci_u32_e64 v136, s1, 0, v70, s1
	v_mov_b32_e32 v131, 0
	global_load_u16 v51, v[135:136], off offset:8
	s_waitcnt vmcnt(0)
	v_dual_mov_b32 v132, 0 :: v_dual_and_b32 v133, 0xff, v51
	v_and_b32_e32 v137, 0xffff, v51
	s_delay_alu instid0(VALU_DEP_2) | instskip(NEXT) | instid1(VALU_DEP_3)
	v_cmp_ne_u16_e64 s1, 0, v133
	v_dual_mov_b32 v134, v132 :: v_dual_mov_b32 v133, v131
	s_delay_alu instid0(VALU_DEP_2)
	s_and_saveexec_b32 s3, s1
	s_cbranch_execz .LBB244_306
; %bb.299:                              ;   in Loop: Header=BB244_10 Depth=1
	v_bfrev_b32_e32 v133, 1
	v_dual_mov_b32 v134, 0 :: v_dual_and_b32 v51, 0xff, v137
	s_mov_b32 s8, exec_lo
	s_delay_alu instid0(VALU_DEP_1)
	v_cmpx_ne_u16_e32 0x80, v51
	s_cbranch_execz .LBB244_305
; %bb.300:                              ;   in Loop: Header=BB244_10 Depth=1
	v_mov_b32_e32 v133, 0x7f800001
	v_and_b32_e32 v138, 0x7f, v137
	v_mov_b32_e32 v134, 0
	s_mov_b32 s44, exec_lo
	s_delay_alu instid0(VALU_DEP_2)
	v_cmpx_ne_u32_e32 0x7f, v138
	s_cbranch_execz .LBB244_304
; %bb.301:                              ;   in Loop: Header=BB244_10 Depth=1
	v_and_b32_e32 v51, 7, v137
	v_lshrrev_b32_e32 v133, 3, v138
	s_mov_b32 s45, exec_lo
	v_cmpx_gt_u32_e32 8, v138
; %bb.302:                              ;   in Loop: Header=BB244_10 Depth=1
	s_delay_alu instid0(VALU_DEP_3) | instskip(NEXT) | instid1(VALU_DEP_1)
	v_clz_i32_u32_e32 v133, v51
	v_min_u32_e32 v133, 32, v133
	s_delay_alu instid0(VALU_DEP_1) | instskip(SKIP_1) | instid1(VALU_DEP_2)
	v_subrev_nc_u32_e32 v134, 28, v133
	v_sub_nc_u32_e32 v133, 29, v133
	v_lshlrev_b64 v[138:139], v134, v[51:52]
	s_delay_alu instid0(VALU_DEP_1)
	v_and_b32_e32 v51, 7, v138
; %bb.303:                              ;   in Loop: Header=BB244_10 Depth=1
	s_or_b32 exec_lo, exec_lo, s45
	v_lshlrev_b32_e32 v134, 24, v137
	s_delay_alu instid0(VALU_DEP_2) | instskip(SKIP_1) | instid1(VALU_DEP_3)
	v_lshlrev_b32_e32 v51, 20, v51
	v_lshl_add_u32 v133, v133, 23, 0x3c000000
	v_and_b32_e32 v134, 0x80000000, v134
	s_delay_alu instid0(VALU_DEP_1) | instskip(NEXT) | instid1(VALU_DEP_1)
	v_or3_b32 v51, v51, v134, v133
	v_dual_mov_b32 v134, v52 :: v_dual_mov_b32 v133, v51
.LBB244_304:                            ;   in Loop: Header=BB244_10 Depth=1
	s_or_b32 exec_lo, exec_lo, s44
.LBB244_305:                            ;   in Loop: Header=BB244_10 Depth=1
	s_delay_alu instid0(SALU_CYCLE_1)
	s_or_b32 exec_lo, exec_lo, s8
.LBB244_306:                            ;   in Loop: Header=BB244_10 Depth=1
	s_delay_alu instid0(SALU_CYCLE_1) | instskip(SKIP_2) | instid1(VALU_DEP_1)
	s_or_b32 exec_lo, exec_lo, s3
	v_lshrrev_b16 v51, 8, v137
	s_mov_b32 s3, exec_lo
	v_cmpx_ne_u16_e32 0, v51
	s_cbranch_execz .LBB244_314
; %bb.307:                              ;   in Loop: Header=BB244_10 Depth=1
	v_dual_mov_b32 v132, s7 :: v_dual_mov_b32 v131, s6
	s_mov_b32 s44, exec_lo
	v_cmpx_ne_u16_e32 0x80, v51
	s_cbranch_execz .LBB244_313
; %bb.308:                              ;   in Loop: Header=BB244_10 Depth=1
	s_mov_b32 s8, s6
	v_dual_mov_b32 v132, s9 :: v_dual_and_b32 v51, 0xffff, v51
	v_mov_b32_e32 v131, s8
	s_mov_b32 s8, exec_lo
	s_delay_alu instid0(VALU_DEP_2) | instskip(NEXT) | instid1(VALU_DEP_1)
	v_and_b32_e32 v138, 0x7f, v51
	v_cmpx_ne_u32_e32 0x7f, v138
	s_cbranch_execz .LBB244_312
; %bb.309:                              ;   in Loop: Header=BB244_10 Depth=1
	v_and_b32_e32 v51, 7, v51
	v_lshrrev_b32_e32 v131, 3, v138
	s_mov_b32 s45, exec_lo
	v_cmpx_gt_u32_e32 8, v138
; %bb.310:                              ;   in Loop: Header=BB244_10 Depth=1
	s_delay_alu instid0(VALU_DEP_3) | instskip(NEXT) | instid1(VALU_DEP_1)
	v_clz_i32_u32_e32 v131, v51
	v_min_u32_e32 v131, 32, v131
	s_delay_alu instid0(VALU_DEP_1) | instskip(SKIP_1) | instid1(VALU_DEP_2)
	v_subrev_nc_u32_e32 v132, 28, v131
	v_sub_nc_u32_e32 v131, 29, v131
	v_lshlrev_b64 v[138:139], v132, v[51:52]
	s_delay_alu instid0(VALU_DEP_1)
	v_and_b32_e32 v51, 7, v138
; %bb.311:                              ;   in Loop: Header=BB244_10 Depth=1
	s_or_b32 exec_lo, exec_lo, s45
	v_lshlrev_b32_e32 v132, 16, v137
	s_delay_alu instid0(VALU_DEP_2) | instskip(SKIP_1) | instid1(VALU_DEP_3)
	v_lshlrev_b32_e32 v51, 20, v51
	v_lshl_add_u32 v131, v131, 23, 0x3c000000
	v_and_b32_e32 v132, 0x80000000, v132
	s_delay_alu instid0(VALU_DEP_1)
	v_or3_b32 v132, v51, v132, v131
	v_mov_b32_e32 v131, v52
.LBB244_312:                            ;   in Loop: Header=BB244_10 Depth=1
	s_or_b32 exec_lo, exec_lo, s8
.LBB244_313:                            ;   in Loop: Header=BB244_10 Depth=1
	s_delay_alu instid0(SALU_CYCLE_1)
	s_or_b32 exec_lo, exec_lo, s44
.LBB244_314:                            ;   in Loop: Header=BB244_10 Depth=1
	s_delay_alu instid0(SALU_CYCLE_1)
	s_or_b32 exec_lo, exec_lo, s3
	global_load_u16 v51, v[135:136], off offset:12
	v_mov_b32_e32 v135, 0
	s_waitcnt vmcnt(0)
	v_dual_mov_b32 v136, 0 :: v_dual_and_b32 v137, 0xff, v51
	v_and_b32_e32 v139, 0xffff, v51
	s_delay_alu instid0(VALU_DEP_2) | instskip(NEXT) | instid1(VALU_DEP_3)
	v_cmp_ne_u16_e64 s1, 0, v137
	v_dual_mov_b32 v138, v136 :: v_dual_mov_b32 v137, v135
	s_delay_alu instid0(VALU_DEP_2)
	s_and_saveexec_b32 s3, s1
	s_cbranch_execz .LBB244_322
; %bb.315:                              ;   in Loop: Header=BB244_10 Depth=1
	v_bfrev_b32_e32 v137, 1
	v_dual_mov_b32 v138, 0 :: v_dual_and_b32 v51, 0xff, v139
	s_mov_b32 s8, exec_lo
	s_delay_alu instid0(VALU_DEP_1)
	v_cmpx_ne_u16_e32 0x80, v51
	s_cbranch_execz .LBB244_321
; %bb.316:                              ;   in Loop: Header=BB244_10 Depth=1
	v_mov_b32_e32 v137, 0x7f800001
	v_and_b32_e32 v140, 0x7f, v139
	v_mov_b32_e32 v138, 0
	s_mov_b32 s44, exec_lo
	s_delay_alu instid0(VALU_DEP_2)
	v_cmpx_ne_u32_e32 0x7f, v140
	s_cbranch_execz .LBB244_320
; %bb.317:                              ;   in Loop: Header=BB244_10 Depth=1
	v_and_b32_e32 v51, 7, v139
	v_lshrrev_b32_e32 v137, 3, v140
	s_mov_b32 s45, exec_lo
	v_cmpx_gt_u32_e32 8, v140
; %bb.318:                              ;   in Loop: Header=BB244_10 Depth=1
	s_delay_alu instid0(VALU_DEP_3) | instskip(NEXT) | instid1(VALU_DEP_1)
	v_clz_i32_u32_e32 v137, v51
	v_min_u32_e32 v137, 32, v137
	s_delay_alu instid0(VALU_DEP_1) | instskip(SKIP_1) | instid1(VALU_DEP_2)
	v_subrev_nc_u32_e32 v138, 28, v137
	v_sub_nc_u32_e32 v137, 29, v137
	v_lshlrev_b64 v[140:141], v138, v[51:52]
	s_delay_alu instid0(VALU_DEP_1)
	v_and_b32_e32 v51, 7, v140
; %bb.319:                              ;   in Loop: Header=BB244_10 Depth=1
	s_or_b32 exec_lo, exec_lo, s45
	v_lshlrev_b32_e32 v138, 24, v139
	s_delay_alu instid0(VALU_DEP_2) | instskip(SKIP_1) | instid1(VALU_DEP_3)
	v_lshlrev_b32_e32 v51, 20, v51
	v_lshl_add_u32 v137, v137, 23, 0x3c000000
	v_and_b32_e32 v138, 0x80000000, v138
	s_delay_alu instid0(VALU_DEP_1) | instskip(NEXT) | instid1(VALU_DEP_1)
	v_or3_b32 v51, v51, v138, v137
	v_dual_mov_b32 v138, v52 :: v_dual_mov_b32 v137, v51
.LBB244_320:                            ;   in Loop: Header=BB244_10 Depth=1
	s_or_b32 exec_lo, exec_lo, s44
.LBB244_321:                            ;   in Loop: Header=BB244_10 Depth=1
	s_delay_alu instid0(SALU_CYCLE_1)
	s_or_b32 exec_lo, exec_lo, s8
.LBB244_322:                            ;   in Loop: Header=BB244_10 Depth=1
	s_delay_alu instid0(SALU_CYCLE_1) | instskip(SKIP_2) | instid1(VALU_DEP_1)
	s_or_b32 exec_lo, exec_lo, s3
	v_lshrrev_b16 v51, 8, v139
	s_mov_b32 s3, exec_lo
	v_cmpx_ne_u16_e32 0, v51
	s_cbranch_execz .LBB244_330
; %bb.323:                              ;   in Loop: Header=BB244_10 Depth=1
	v_dual_mov_b32 v136, s7 :: v_dual_mov_b32 v135, s6
	s_mov_b32 s44, exec_lo
	v_cmpx_ne_u16_e32 0x80, v51
	s_cbranch_execz .LBB244_329
; %bb.324:                              ;   in Loop: Header=BB244_10 Depth=1
	s_mov_b32 s8, s6
	v_dual_mov_b32 v136, s9 :: v_dual_and_b32 v51, 0xffff, v51
	v_mov_b32_e32 v135, s8
	s_mov_b32 s8, exec_lo
	s_delay_alu instid0(VALU_DEP_2) | instskip(NEXT) | instid1(VALU_DEP_1)
	v_and_b32_e32 v140, 0x7f, v51
	v_cmpx_ne_u32_e32 0x7f, v140
	s_cbranch_execz .LBB244_328
; %bb.325:                              ;   in Loop: Header=BB244_10 Depth=1
	v_and_b32_e32 v51, 7, v51
	v_lshrrev_b32_e32 v135, 3, v140
	s_mov_b32 s45, exec_lo
	v_cmpx_gt_u32_e32 8, v140
; %bb.326:                              ;   in Loop: Header=BB244_10 Depth=1
	s_delay_alu instid0(VALU_DEP_3) | instskip(NEXT) | instid1(VALU_DEP_1)
	v_clz_i32_u32_e32 v135, v51
	v_min_u32_e32 v135, 32, v135
	s_delay_alu instid0(VALU_DEP_1) | instskip(SKIP_1) | instid1(VALU_DEP_2)
	v_subrev_nc_u32_e32 v136, 28, v135
	v_sub_nc_u32_e32 v135, 29, v135
	v_lshlrev_b64 v[140:141], v136, v[51:52]
	s_delay_alu instid0(VALU_DEP_1)
	v_and_b32_e32 v51, 7, v140
; %bb.327:                              ;   in Loop: Header=BB244_10 Depth=1
	s_or_b32 exec_lo, exec_lo, s45
	v_lshlrev_b32_e32 v136, 16, v139
	s_delay_alu instid0(VALU_DEP_2) | instskip(SKIP_1) | instid1(VALU_DEP_3)
	v_lshlrev_b32_e32 v51, 20, v51
	v_lshl_add_u32 v135, v135, 23, 0x3c000000
	v_and_b32_e32 v136, 0x80000000, v136
	s_delay_alu instid0(VALU_DEP_1)
	v_or3_b32 v136, v51, v136, v135
	v_mov_b32_e32 v135, v52
.LBB244_328:                            ;   in Loop: Header=BB244_10 Depth=1
	s_or_b32 exec_lo, exec_lo, s8
.LBB244_329:                            ;   in Loop: Header=BB244_10 Depth=1
	s_delay_alu instid0(SALU_CYCLE_1)
	s_or_b32 exec_lo, exec_lo, s44
.LBB244_330:                            ;   in Loop: Header=BB244_10 Depth=1
	s_delay_alu instid0(SALU_CYCLE_1)
	s_or_b32 exec_lo, exec_lo, s3
	global_load_u16 v51, v[69:70], off offset:1280
	v_mov_b32_e32 v139, 0
	s_waitcnt vmcnt(0)
	v_dual_mov_b32 v140, 0 :: v_dual_and_b32 v141, 0xff, v51
	v_and_b32_e32 v143, 0xffff, v51
	s_delay_alu instid0(VALU_DEP_2) | instskip(NEXT) | instid1(VALU_DEP_3)
	v_cmp_ne_u16_e64 s1, 0, v141
	v_dual_mov_b32 v142, v140 :: v_dual_mov_b32 v141, v139
	s_delay_alu instid0(VALU_DEP_2)
	s_and_saveexec_b32 s3, s1
	s_cbranch_execz .LBB244_338
; %bb.331:                              ;   in Loop: Header=BB244_10 Depth=1
	v_bfrev_b32_e32 v141, 1
	v_dual_mov_b32 v142, 0 :: v_dual_and_b32 v51, 0xff, v143
	s_mov_b32 s8, exec_lo
	s_delay_alu instid0(VALU_DEP_1)
	v_cmpx_ne_u16_e32 0x80, v51
	s_cbranch_execz .LBB244_337
; %bb.332:                              ;   in Loop: Header=BB244_10 Depth=1
	v_mov_b32_e32 v141, 0x7f800001
	v_and_b32_e32 v144, 0x7f, v143
	v_mov_b32_e32 v142, 0
	s_mov_b32 s44, exec_lo
	s_delay_alu instid0(VALU_DEP_2)
	v_cmpx_ne_u32_e32 0x7f, v144
	s_cbranch_execz .LBB244_336
; %bb.333:                              ;   in Loop: Header=BB244_10 Depth=1
	v_and_b32_e32 v51, 7, v143
	v_lshrrev_b32_e32 v141, 3, v144
	s_mov_b32 s45, exec_lo
	v_cmpx_gt_u32_e32 8, v144
; %bb.334:                              ;   in Loop: Header=BB244_10 Depth=1
	s_delay_alu instid0(VALU_DEP_3) | instskip(NEXT) | instid1(VALU_DEP_1)
	v_clz_i32_u32_e32 v141, v51
	v_min_u32_e32 v141, 32, v141
	s_delay_alu instid0(VALU_DEP_1) | instskip(SKIP_1) | instid1(VALU_DEP_2)
	v_subrev_nc_u32_e32 v142, 28, v141
	v_sub_nc_u32_e32 v141, 29, v141
	v_lshlrev_b64 v[144:145], v142, v[51:52]
	s_delay_alu instid0(VALU_DEP_1)
	v_and_b32_e32 v51, 7, v144
; %bb.335:                              ;   in Loop: Header=BB244_10 Depth=1
	s_or_b32 exec_lo, exec_lo, s45
	v_lshlrev_b32_e32 v142, 24, v143
	s_delay_alu instid0(VALU_DEP_2) | instskip(SKIP_1) | instid1(VALU_DEP_3)
	v_lshlrev_b32_e32 v51, 20, v51
	v_lshl_add_u32 v141, v141, 23, 0x3c000000
	v_and_b32_e32 v142, 0x80000000, v142
	s_delay_alu instid0(VALU_DEP_1) | instskip(NEXT) | instid1(VALU_DEP_1)
	v_or3_b32 v51, v51, v142, v141
	v_dual_mov_b32 v142, v52 :: v_dual_mov_b32 v141, v51
.LBB244_336:                            ;   in Loop: Header=BB244_10 Depth=1
	s_or_b32 exec_lo, exec_lo, s44
.LBB244_337:                            ;   in Loop: Header=BB244_10 Depth=1
	s_delay_alu instid0(SALU_CYCLE_1)
	s_or_b32 exec_lo, exec_lo, s8
.LBB244_338:                            ;   in Loop: Header=BB244_10 Depth=1
	s_delay_alu instid0(SALU_CYCLE_1) | instskip(SKIP_2) | instid1(VALU_DEP_1)
	s_or_b32 exec_lo, exec_lo, s3
	v_lshrrev_b16 v51, 8, v143
	s_mov_b32 s3, exec_lo
	v_cmpx_ne_u16_e32 0, v51
	s_cbranch_execz .LBB244_346
; %bb.339:                              ;   in Loop: Header=BB244_10 Depth=1
	v_dual_mov_b32 v140, s7 :: v_dual_mov_b32 v139, s6
	s_mov_b32 s44, exec_lo
	v_cmpx_ne_u16_e32 0x80, v51
	s_cbranch_execz .LBB244_345
; %bb.340:                              ;   in Loop: Header=BB244_10 Depth=1
	s_mov_b32 s8, s6
	v_dual_mov_b32 v140, s9 :: v_dual_and_b32 v51, 0xffff, v51
	v_mov_b32_e32 v139, s8
	s_mov_b32 s8, exec_lo
	s_delay_alu instid0(VALU_DEP_2) | instskip(NEXT) | instid1(VALU_DEP_1)
	v_and_b32_e32 v144, 0x7f, v51
	v_cmpx_ne_u32_e32 0x7f, v144
	s_cbranch_execz .LBB244_344
; %bb.341:                              ;   in Loop: Header=BB244_10 Depth=1
	v_and_b32_e32 v51, 7, v51
	v_lshrrev_b32_e32 v139, 3, v144
	s_mov_b32 s45, exec_lo
	v_cmpx_gt_u32_e32 8, v144
; %bb.342:                              ;   in Loop: Header=BB244_10 Depth=1
	s_delay_alu instid0(VALU_DEP_3) | instskip(NEXT) | instid1(VALU_DEP_1)
	v_clz_i32_u32_e32 v139, v51
	v_min_u32_e32 v139, 32, v139
	s_delay_alu instid0(VALU_DEP_1) | instskip(SKIP_1) | instid1(VALU_DEP_2)
	v_subrev_nc_u32_e32 v140, 28, v139
	v_sub_nc_u32_e32 v139, 29, v139
	v_lshlrev_b64 v[144:145], v140, v[51:52]
	s_delay_alu instid0(VALU_DEP_1)
	v_and_b32_e32 v51, 7, v144
; %bb.343:                              ;   in Loop: Header=BB244_10 Depth=1
	s_or_b32 exec_lo, exec_lo, s45
	v_lshlrev_b32_e32 v140, 16, v143
	s_delay_alu instid0(VALU_DEP_2) | instskip(SKIP_1) | instid1(VALU_DEP_3)
	v_lshlrev_b32_e32 v51, 20, v51
	v_lshl_add_u32 v139, v139, 23, 0x3c000000
	v_and_b32_e32 v140, 0x80000000, v140
	s_delay_alu instid0(VALU_DEP_1)
	v_or3_b32 v140, v51, v140, v139
	v_mov_b32_e32 v139, v52
.LBB244_344:                            ;   in Loop: Header=BB244_10 Depth=1
	s_or_b32 exec_lo, exec_lo, s8
.LBB244_345:                            ;   in Loop: Header=BB244_10 Depth=1
	s_delay_alu instid0(SALU_CYCLE_1)
	s_or_b32 exec_lo, exec_lo, s44
.LBB244_346:                            ;   in Loop: Header=BB244_10 Depth=1
	s_delay_alu instid0(SALU_CYCLE_1)
	s_or_b32 exec_lo, exec_lo, s3
	global_load_u16 v51, v[69:70], off offset:1284
	v_mov_b32_e32 v143, 0
	s_waitcnt vmcnt(0)
	v_dual_mov_b32 v144, 0 :: v_dual_and_b32 v145, 0xff, v51
	v_and_b32_e32 v147, 0xffff, v51
	s_delay_alu instid0(VALU_DEP_2) | instskip(NEXT) | instid1(VALU_DEP_3)
	v_cmp_ne_u16_e64 s1, 0, v145
	v_dual_mov_b32 v146, v144 :: v_dual_mov_b32 v145, v143
	s_delay_alu instid0(VALU_DEP_2)
	s_and_saveexec_b32 s3, s1
	s_cbranch_execz .LBB244_354
; %bb.347:                              ;   in Loop: Header=BB244_10 Depth=1
	v_bfrev_b32_e32 v145, 1
	v_dual_mov_b32 v146, 0 :: v_dual_and_b32 v51, 0xff, v147
	s_mov_b32 s8, exec_lo
	s_delay_alu instid0(VALU_DEP_1)
	v_cmpx_ne_u16_e32 0x80, v51
	s_cbranch_execz .LBB244_353
; %bb.348:                              ;   in Loop: Header=BB244_10 Depth=1
	v_mov_b32_e32 v145, 0x7f800001
	v_and_b32_e32 v148, 0x7f, v147
	v_mov_b32_e32 v146, 0
	s_mov_b32 s44, exec_lo
	s_delay_alu instid0(VALU_DEP_2)
	v_cmpx_ne_u32_e32 0x7f, v148
	s_cbranch_execz .LBB244_352
; %bb.349:                              ;   in Loop: Header=BB244_10 Depth=1
	v_and_b32_e32 v51, 7, v147
	v_lshrrev_b32_e32 v145, 3, v148
	s_mov_b32 s45, exec_lo
	v_cmpx_gt_u32_e32 8, v148
; %bb.350:                              ;   in Loop: Header=BB244_10 Depth=1
	s_delay_alu instid0(VALU_DEP_3) | instskip(NEXT) | instid1(VALU_DEP_1)
	v_clz_i32_u32_e32 v145, v51
	v_min_u32_e32 v145, 32, v145
	s_delay_alu instid0(VALU_DEP_1) | instskip(SKIP_1) | instid1(VALU_DEP_2)
	v_subrev_nc_u32_e32 v146, 28, v145
	v_sub_nc_u32_e32 v145, 29, v145
	v_lshlrev_b64 v[148:149], v146, v[51:52]
	s_delay_alu instid0(VALU_DEP_1)
	v_and_b32_e32 v51, 7, v148
; %bb.351:                              ;   in Loop: Header=BB244_10 Depth=1
	s_or_b32 exec_lo, exec_lo, s45
	v_lshlrev_b32_e32 v146, 24, v147
	s_delay_alu instid0(VALU_DEP_2) | instskip(SKIP_1) | instid1(VALU_DEP_3)
	v_lshlrev_b32_e32 v51, 20, v51
	v_lshl_add_u32 v145, v145, 23, 0x3c000000
	v_and_b32_e32 v146, 0x80000000, v146
	s_delay_alu instid0(VALU_DEP_1) | instskip(NEXT) | instid1(VALU_DEP_1)
	v_or3_b32 v51, v51, v146, v145
	v_dual_mov_b32 v146, v52 :: v_dual_mov_b32 v145, v51
.LBB244_352:                            ;   in Loop: Header=BB244_10 Depth=1
	s_or_b32 exec_lo, exec_lo, s44
.LBB244_353:                            ;   in Loop: Header=BB244_10 Depth=1
	s_delay_alu instid0(SALU_CYCLE_1)
	s_or_b32 exec_lo, exec_lo, s8
.LBB244_354:                            ;   in Loop: Header=BB244_10 Depth=1
	s_delay_alu instid0(SALU_CYCLE_1) | instskip(SKIP_2) | instid1(VALU_DEP_1)
	s_or_b32 exec_lo, exec_lo, s3
	v_lshrrev_b16 v51, 8, v147
	s_mov_b32 s3, exec_lo
	v_cmpx_ne_u16_e32 0, v51
	s_cbranch_execz .LBB244_362
; %bb.355:                              ;   in Loop: Header=BB244_10 Depth=1
	v_dual_mov_b32 v144, s7 :: v_dual_mov_b32 v143, s6
	s_mov_b32 s44, exec_lo
	v_cmpx_ne_u16_e32 0x80, v51
	s_cbranch_execz .LBB244_361
; %bb.356:                              ;   in Loop: Header=BB244_10 Depth=1
	s_mov_b32 s8, s6
	v_dual_mov_b32 v144, s9 :: v_dual_and_b32 v51, 0xffff, v51
	v_mov_b32_e32 v143, s8
	s_mov_b32 s8, exec_lo
	s_delay_alu instid0(VALU_DEP_2) | instskip(NEXT) | instid1(VALU_DEP_1)
	v_and_b32_e32 v148, 0x7f, v51
	v_cmpx_ne_u32_e32 0x7f, v148
	s_cbranch_execz .LBB244_360
; %bb.357:                              ;   in Loop: Header=BB244_10 Depth=1
	v_and_b32_e32 v51, 7, v51
	v_lshrrev_b32_e32 v143, 3, v148
	s_mov_b32 s45, exec_lo
	v_cmpx_gt_u32_e32 8, v148
; %bb.358:                              ;   in Loop: Header=BB244_10 Depth=1
	s_delay_alu instid0(VALU_DEP_3) | instskip(NEXT) | instid1(VALU_DEP_1)
	v_clz_i32_u32_e32 v143, v51
	v_min_u32_e32 v143, 32, v143
	s_delay_alu instid0(VALU_DEP_1) | instskip(SKIP_1) | instid1(VALU_DEP_2)
	v_subrev_nc_u32_e32 v144, 28, v143
	v_sub_nc_u32_e32 v143, 29, v143
	v_lshlrev_b64 v[148:149], v144, v[51:52]
	s_delay_alu instid0(VALU_DEP_1)
	v_and_b32_e32 v51, 7, v148
; %bb.359:                              ;   in Loop: Header=BB244_10 Depth=1
	s_or_b32 exec_lo, exec_lo, s45
	v_lshlrev_b32_e32 v144, 16, v147
	s_delay_alu instid0(VALU_DEP_2) | instskip(SKIP_1) | instid1(VALU_DEP_3)
	v_lshlrev_b32_e32 v51, 20, v51
	v_lshl_add_u32 v143, v143, 23, 0x3c000000
	v_and_b32_e32 v144, 0x80000000, v144
	s_delay_alu instid0(VALU_DEP_1)
	v_or3_b32 v144, v51, v144, v143
	v_mov_b32_e32 v143, v52
.LBB244_360:                            ;   in Loop: Header=BB244_10 Depth=1
	s_or_b32 exec_lo, exec_lo, s8
.LBB244_361:                            ;   in Loop: Header=BB244_10 Depth=1
	s_delay_alu instid0(SALU_CYCLE_1)
	s_or_b32 exec_lo, exec_lo, s44
.LBB244_362:                            ;   in Loop: Header=BB244_10 Depth=1
	s_delay_alu instid0(SALU_CYCLE_1) | instskip(SKIP_1) | instid1(VALU_DEP_1)
	s_or_b32 exec_lo, exec_lo, s3
	v_add_co_u32 v69, s1, 0x500, v69
	v_add_co_ci_u32_e64 v70, s1, 0, v70, s1
	s_mov_b32 s3, exec_lo
	global_load_u16 v51, v[69:70], off offset:8
	v_mov_b32_e32 v149, 0
	s_waitcnt vmcnt(0)
	v_dual_mov_b32 v150, 0 :: v_dual_and_b32 v147, 0xffff, v51
	v_and_b32_e32 v148, 0xff, v51
	s_delay_alu instid0(VALU_DEP_2) | instskip(NEXT) | instid1(VALU_DEP_2)
	v_dual_mov_b32 v152, v150 :: v_dual_mov_b32 v151, v149
	v_cmpx_ne_u16_e64 0, v148
	s_cbranch_execz .LBB244_370
; %bb.363:                              ;   in Loop: Header=BB244_10 Depth=1
	v_bfrev_b32_e32 v151, 1
	v_dual_mov_b32 v152, 0 :: v_dual_and_b32 v51, 0xff, v147
	s_mov_b32 s8, exec_lo
	s_delay_alu instid0(VALU_DEP_1)
	v_cmpx_ne_u16_e32 0x80, v51
	s_cbranch_execz .LBB244_369
; %bb.364:                              ;   in Loop: Header=BB244_10 Depth=1
	v_mov_b32_e32 v151, 0x7f800001
	v_dual_mov_b32 v152, 0 :: v_dual_and_b32 v163, 0x7f, v147
	s_mov_b32 s44, exec_lo
	s_delay_alu instid0(VALU_DEP_1)
	v_cmpx_ne_u32_e32 0x7f, v163
	s_cbranch_execz .LBB244_368
; %bb.365:                              ;   in Loop: Header=BB244_10 Depth=1
	v_and_b32_e32 v51, 7, v147
	v_lshrrev_b32_e32 v148, 3, v163
	s_mov_b32 s45, exec_lo
	v_cmpx_gt_u32_e32 8, v163
; %bb.366:                              ;   in Loop: Header=BB244_10 Depth=1
	s_delay_alu instid0(VALU_DEP_3) | instskip(NEXT) | instid1(VALU_DEP_1)
	v_clz_i32_u32_e32 v148, v51
	v_min_u32_e32 v148, 32, v148
	s_delay_alu instid0(VALU_DEP_1) | instskip(SKIP_1) | instid1(VALU_DEP_2)
	v_subrev_nc_u32_e32 v151, 28, v148
	v_sub_nc_u32_e32 v148, 29, v148
	v_lshlrev_b64 v[151:152], v151, v[51:52]
	s_delay_alu instid0(VALU_DEP_1)
	v_and_b32_e32 v51, 7, v151
; %bb.367:                              ;   in Loop: Header=BB244_10 Depth=1
	s_or_b32 exec_lo, exec_lo, s45
	v_lshlrev_b32_e32 v151, 24, v147
	s_delay_alu instid0(VALU_DEP_2) | instskip(SKIP_1) | instid1(VALU_DEP_3)
	v_lshlrev_b32_e32 v51, 20, v51
	v_lshl_add_u32 v148, v148, 23, 0x3c000000
	v_and_b32_e32 v151, 0x80000000, v151
	s_delay_alu instid0(VALU_DEP_1) | instskip(NEXT) | instid1(VALU_DEP_1)
	v_or3_b32 v51, v51, v151, v148
	v_dual_mov_b32 v152, v52 :: v_dual_mov_b32 v151, v51
.LBB244_368:                            ;   in Loop: Header=BB244_10 Depth=1
	s_or_b32 exec_lo, exec_lo, s44
.LBB244_369:                            ;   in Loop: Header=BB244_10 Depth=1
	s_delay_alu instid0(SALU_CYCLE_1)
	s_or_b32 exec_lo, exec_lo, s8
.LBB244_370:                            ;   in Loop: Header=BB244_10 Depth=1
	s_delay_alu instid0(SALU_CYCLE_1) | instskip(SKIP_2) | instid1(VALU_DEP_1)
	s_or_b32 exec_lo, exec_lo, s3
	v_lshrrev_b16 v51, 8, v147
	s_mov_b32 s3, exec_lo
	v_cmpx_ne_u16_e32 0, v51
	s_cbranch_execz .LBB244_378
; %bb.371:                              ;   in Loop: Header=BB244_10 Depth=1
	v_dual_mov_b32 v150, s7 :: v_dual_mov_b32 v149, s6
	s_mov_b32 s44, exec_lo
	v_cmpx_ne_u16_e32 0x80, v51
	s_cbranch_execz .LBB244_377
; %bb.372:                              ;   in Loop: Header=BB244_10 Depth=1
	s_mov_b32 s8, s6
	v_dual_mov_b32 v150, s9 :: v_dual_and_b32 v51, 0xffff, v51
	v_mov_b32_e32 v149, s8
	s_mov_b32 s8, exec_lo
	s_delay_alu instid0(VALU_DEP_2) | instskip(NEXT) | instid1(VALU_DEP_1)
	v_and_b32_e32 v163, 0x7f, v51
	v_cmpx_ne_u32_e32 0x7f, v163
	s_cbranch_execz .LBB244_376
; %bb.373:                              ;   in Loop: Header=BB244_10 Depth=1
	v_and_b32_e32 v51, 7, v51
	v_lshrrev_b32_e32 v148, 3, v163
	s_mov_b32 s45, exec_lo
	v_cmpx_gt_u32_e32 8, v163
; %bb.374:                              ;   in Loop: Header=BB244_10 Depth=1
	s_delay_alu instid0(VALU_DEP_3) | instskip(NEXT) | instid1(VALU_DEP_1)
	v_clz_i32_u32_e32 v148, v51
	v_min_u32_e32 v148, 32, v148
	s_delay_alu instid0(VALU_DEP_1) | instskip(SKIP_1) | instid1(VALU_DEP_2)
	v_subrev_nc_u32_e32 v149, 28, v148
	v_sub_nc_u32_e32 v148, 29, v148
	v_lshlrev_b64 v[149:150], v149, v[51:52]
	s_delay_alu instid0(VALU_DEP_1)
	v_and_b32_e32 v51, 7, v149
; %bb.375:                              ;   in Loop: Header=BB244_10 Depth=1
	s_or_b32 exec_lo, exec_lo, s45
	v_lshlrev_b32_e32 v147, 16, v147
	s_delay_alu instid0(VALU_DEP_2) | instskip(SKIP_2) | instid1(VALU_DEP_4)
	v_lshlrev_b32_e32 v51, 20, v51
	v_lshl_add_u32 v148, v148, 23, 0x3c000000
	v_mov_b32_e32 v149, v52
	v_and_b32_e32 v147, 0x80000000, v147
	s_delay_alu instid0(VALU_DEP_1)
	v_or3_b32 v150, v51, v147, v148
.LBB244_376:                            ;   in Loop: Header=BB244_10 Depth=1
	s_or_b32 exec_lo, exec_lo, s8
.LBB244_377:                            ;   in Loop: Header=BB244_10 Depth=1
	s_delay_alu instid0(SALU_CYCLE_1)
	s_or_b32 exec_lo, exec_lo, s44
.LBB244_378:                            ;   in Loop: Header=BB244_10 Depth=1
	s_delay_alu instid0(SALU_CYCLE_1)
	s_or_b32 exec_lo, exec_lo, s3
	global_load_u16 v51, v[69:70], off offset:12
	v_mov_b32_e32 v69, 0
	s_waitcnt vmcnt(0)
	v_dual_mov_b32 v70, 0 :: v_dual_and_b32 v147, 0xff, v51
	v_and_b32_e32 v163, 0xffff, v51
	s_delay_alu instid0(VALU_DEP_2) | instskip(NEXT) | instid1(VALU_DEP_3)
	v_cmp_ne_u16_e64 s1, 0, v147
	v_dual_mov_b32 v148, v70 :: v_dual_mov_b32 v147, v69
	s_delay_alu instid0(VALU_DEP_2)
	s_and_saveexec_b32 s3, s1
	s_cbranch_execz .LBB244_386
; %bb.379:                              ;   in Loop: Header=BB244_10 Depth=1
	v_bfrev_b32_e32 v147, 1
	v_dual_mov_b32 v148, 0 :: v_dual_and_b32 v51, 0xff, v163
	s_mov_b32 s8, exec_lo
	s_delay_alu instid0(VALU_DEP_1)
	v_cmpx_ne_u16_e32 0x80, v51
	s_cbranch_execz .LBB244_385
; %bb.380:                              ;   in Loop: Header=BB244_10 Depth=1
	v_mov_b32_e32 v147, 0x7f800001
	v_and_b32_e32 v164, 0x7f, v163
	v_mov_b32_e32 v148, 0
	s_mov_b32 s44, exec_lo
	s_delay_alu instid0(VALU_DEP_2)
	v_cmpx_ne_u32_e32 0x7f, v164
	s_cbranch_execz .LBB244_384
; %bb.381:                              ;   in Loop: Header=BB244_10 Depth=1
	v_and_b32_e32 v51, 7, v163
	v_lshrrev_b32_e32 v147, 3, v164
	s_mov_b32 s45, exec_lo
	v_cmpx_gt_u32_e32 8, v164
; %bb.382:                              ;   in Loop: Header=BB244_10 Depth=1
	s_delay_alu instid0(VALU_DEP_3) | instskip(NEXT) | instid1(VALU_DEP_1)
	v_clz_i32_u32_e32 v147, v51
	v_min_u32_e32 v147, 32, v147
	s_delay_alu instid0(VALU_DEP_1) | instskip(SKIP_1) | instid1(VALU_DEP_2)
	v_subrev_nc_u32_e32 v148, 28, v147
	v_sub_nc_u32_e32 v147, 29, v147
	v_lshlrev_b64 v[164:165], v148, v[51:52]
	s_delay_alu instid0(VALU_DEP_1)
	v_and_b32_e32 v51, 7, v164
; %bb.383:                              ;   in Loop: Header=BB244_10 Depth=1
	s_or_b32 exec_lo, exec_lo, s45
	v_lshlrev_b32_e32 v148, 24, v163
	s_delay_alu instid0(VALU_DEP_2) | instskip(SKIP_1) | instid1(VALU_DEP_3)
	v_lshlrev_b32_e32 v51, 20, v51
	v_lshl_add_u32 v147, v147, 23, 0x3c000000
	v_and_b32_e32 v148, 0x80000000, v148
	s_delay_alu instid0(VALU_DEP_1) | instskip(NEXT) | instid1(VALU_DEP_1)
	v_or3_b32 v51, v51, v148, v147
	v_dual_mov_b32 v148, v52 :: v_dual_mov_b32 v147, v51
.LBB244_384:                            ;   in Loop: Header=BB244_10 Depth=1
	s_or_b32 exec_lo, exec_lo, s44
.LBB244_385:                            ;   in Loop: Header=BB244_10 Depth=1
	s_delay_alu instid0(SALU_CYCLE_1)
	s_or_b32 exec_lo, exec_lo, s8
.LBB244_386:                            ;   in Loop: Header=BB244_10 Depth=1
	s_delay_alu instid0(SALU_CYCLE_1) | instskip(SKIP_2) | instid1(VALU_DEP_1)
	s_or_b32 exec_lo, exec_lo, s3
	v_lshrrev_b16 v51, 8, v163
	s_mov_b32 s3, exec_lo
	v_cmpx_ne_u16_e32 0, v51
	s_cbranch_execz .LBB244_394
; %bb.387:                              ;   in Loop: Header=BB244_10 Depth=1
	v_dual_mov_b32 v70, s7 :: v_dual_mov_b32 v69, s6
	s_mov_b32 s44, exec_lo
	v_cmpx_ne_u16_e32 0x80, v51
	s_cbranch_execz .LBB244_393
; %bb.388:                              ;   in Loop: Header=BB244_10 Depth=1
	s_mov_b32 s8, s6
	v_dual_mov_b32 v70, s9 :: v_dual_and_b32 v51, 0xffff, v51
	v_mov_b32_e32 v69, s8
	s_mov_b32 s8, exec_lo
	s_delay_alu instid0(VALU_DEP_2) | instskip(NEXT) | instid1(VALU_DEP_1)
	v_and_b32_e32 v164, 0x7f, v51
	v_cmpx_ne_u32_e32 0x7f, v164
	s_cbranch_execz .LBB244_392
; %bb.389:                              ;   in Loop: Header=BB244_10 Depth=1
	v_and_b32_e32 v51, 7, v51
	v_lshrrev_b32_e32 v69, 3, v164
	s_mov_b32 s45, exec_lo
	v_cmpx_gt_u32_e32 8, v164
; %bb.390:                              ;   in Loop: Header=BB244_10 Depth=1
	s_delay_alu instid0(VALU_DEP_3) | instskip(NEXT) | instid1(VALU_DEP_1)
	v_clz_i32_u32_e32 v69, v51
	v_min_u32_e32 v69, 32, v69
	s_delay_alu instid0(VALU_DEP_1) | instskip(SKIP_1) | instid1(VALU_DEP_2)
	v_subrev_nc_u32_e32 v70, 28, v69
	v_sub_nc_u32_e32 v69, 29, v69
	v_lshlrev_b64 v[164:165], v70, v[51:52]
	s_delay_alu instid0(VALU_DEP_1)
	v_and_b32_e32 v51, 7, v164
; %bb.391:                              ;   in Loop: Header=BB244_10 Depth=1
	s_or_b32 exec_lo, exec_lo, s45
	v_lshlrev_b32_e32 v70, 16, v163
	s_delay_alu instid0(VALU_DEP_2) | instskip(SKIP_1) | instid1(VALU_DEP_3)
	v_lshlrev_b32_e32 v51, 20, v51
	v_lshl_add_u32 v69, v69, 23, 0x3c000000
	v_and_b32_e32 v70, 0x80000000, v70
	s_delay_alu instid0(VALU_DEP_1)
	v_or3_b32 v70, v51, v70, v69
	v_mov_b32_e32 v69, v52
.LBB244_392:                            ;   in Loop: Header=BB244_10 Depth=1
	s_or_b32 exec_lo, exec_lo, s8
.LBB244_393:                            ;   in Loop: Header=BB244_10 Depth=1
	s_delay_alu instid0(SALU_CYCLE_1)
	s_or_b32 exec_lo, exec_lo, s44
.LBB244_394:                            ;   in Loop: Header=BB244_10 Depth=1
	s_delay_alu instid0(SALU_CYCLE_1)
	s_or_b32 exec_lo, exec_lo, s3
	v_or_b32_e32 v61, v61, v63
	v_or_b32_e32 v62, v62, v64
	;; [unrolled: 1-line block ×5, first 2 shown]
	s_delay_alu instid0(VALU_DEP_4) | instskip(SKIP_1) | instid1(VALU_DEP_4)
	v_dual_mul_f32 v59, s40, v61 :: v_dual_mul_f32 v60, s42, v62
	v_or_b32_e32 v61, v65, v67
	v_dual_mul_f32 v58, s42, v58 :: v_dual_mul_f32 v57, s40, v57
	s_delay_alu instid0(VALU_DEP_3)
	v_dual_mul_f32 v59, v3, v59 :: v_dual_mul_f32 v60, v4, v60
	v_or_b32_e32 v72, v72, v74
	v_or_b32_e32 v62, v71, v73
	v_mul_f32_e32 v63, s42, v63
	v_mul_f32_e32 v61, s40, v61
	v_dual_fmac_f32 v59, v1, v57 :: v_dual_fmac_f32 v60, v2, v58
	s_delay_alu instid0(VALU_DEP_4) | instskip(SKIP_2) | instid1(VALU_DEP_4)
	v_mul_f32_e32 v62, s40, v62
	v_or_b32_e32 v76, v76, v78
	v_or_b32_e32 v57, v75, v77
	v_dual_mul_f32 v58, s42, v72 :: v_dual_fmac_f32 v59, v5, v61
	v_fmac_f32_e32 v60, v6, v63
	v_or_b32_e32 v80, v80, v82
	v_or_b32_e32 v61, v79, v81
	v_mul_f32_e32 v63, s42, v76
	s_delay_alu instid0(VALU_DEP_4)
	v_dual_mul_f32 v57, s40, v57 :: v_dual_fmac_f32 v60, v8, v58
	v_fmac_f32_e32 v59, v7, v62
	v_or_b32_e32 v88, v88, v90
	v_or_b32_e32 v84, v84, v86
	;; [unrolled: 1-line block ×3, first 2 shown]
	v_fmac_f32_e32 v60, v10, v63
	v_dual_mul_f32 v62, s42, v80 :: v_dual_mul_f32 v61, s40, v61
	v_fmac_f32_e32 v59, v9, v57
	v_or_b32_e32 v57, v87, v89
	v_mul_f32_e32 v58, s40, v58
	s_delay_alu instid0(VALU_DEP_4)
	v_fmac_f32_e32 v60, v12, v62
	v_mul_f32_e32 v62, s42, v88
	v_mul_f32_e32 v63, s42, v84
	v_fmac_f32_e32 v59, v11, v61
	v_or_b32_e32 v92, v92, v94
	v_mul_f32_e32 v57, s40, v57
	v_or_b32_e32 v96, v96, v98
	v_fmac_f32_e32 v60, v14, v63
	v_or_b32_e32 v61, v91, v93
	v_fmac_f32_e32 v59, v13, v58
	v_or_b32_e32 v58, v95, v97
	s_delay_alu instid0(VALU_DEP_4) | instskip(SKIP_2) | instid1(VALU_DEP_4)
	v_dual_mul_f32 v63, s42, v92 :: v_dual_fmac_f32 v60, v16, v62
	v_mul_f32_e32 v62, s42, v96
	v_or_b32_e32 v104, v104, v106
	v_dual_mul_f32 v58, s40, v58 :: v_dual_mul_f32 v61, s40, v61
	s_delay_alu instid0(VALU_DEP_4) | instskip(SKIP_3) | instid1(VALU_DEP_4)
	v_dual_fmac_f32 v60, v18, v63 :: v_dual_fmac_f32 v59, v15, v57
	v_or_b32_e32 v100, v100, v102
	v_or_b32_e32 v112, v112, v114
	;; [unrolled: 1-line block ×3, first 2 shown]
	v_dual_fmac_f32 v60, v20, v62 :: v_dual_fmac_f32 v59, v17, v61
	v_mul_f32_e32 v62, s42, v104
	v_or_b32_e32 v108, v108, v110
	v_or_b32_e32 v61, v103, v105
	;; [unrolled: 1-line block ×3, first 2 shown]
	v_fmac_f32_e32 v59, v19, v58
	v_or_b32_e32 v58, v107, v109
	v_mul_f32_e32 v63, s42, v100
	v_or_b32_e32 v116, v116, v118
	v_or_b32_e32 v128, v128, v130
	;; [unrolled: 1-line block ×3, first 2 shown]
	v_dual_mul_f32 v58, s40, v58 :: v_dual_mul_f32 v57, s40, v57
	v_dual_fmac_f32 v60, v22, v63 :: v_dual_mul_f32 v61, s40, v61
	v_or_b32_e32 v132, v132, v134
	v_or_b32_e32 v136, v136, v138
	;; [unrolled: 1-line block ×3, first 2 shown]
	s_delay_alu instid0(VALU_DEP_4)
	v_fmac_f32_e32 v60, v24, v62
	v_mul_f32_e32 v62, s42, v112
	v_mul_f32_e32 v63, s42, v108
	v_fmac_f32_e32 v59, v21, v57
	v_or_b32_e32 v57, v111, v113
	v_or_b32_e32 v51, v150, v152
	;; [unrolled: 1-line block ×3, first 2 shown]
	s_delay_alu instid0(VALU_DEP_4) | instskip(SKIP_1) | instid1(VALU_DEP_4)
	v_dual_fmac_f32 v60, v26, v63 :: v_dual_fmac_f32 v59, v23, v61
	v_or_b32_e32 v61, v115, v117
	v_mul_f32_e32 v51, s42, v51
	v_or_b32_e32 v149, v149, v151
	s_delay_alu instid0(VALU_DEP_4)
	v_fmac_f32_e32 v60, v28, v62
	v_mul_f32_e32 v62, s42, v120
	v_mul_f32_e32 v63, s42, v116
	v_fmac_f32_e32 v59, v25, v58
	v_or_b32_e32 v58, v119, v121
	v_mul_f32_e32 v57, s40, v57
	s_delay_alu instid0(VALU_DEP_4) | instskip(NEXT) | instid1(VALU_DEP_3)
	v_dual_mul_f32 v61, s40, v61 :: v_dual_fmac_f32 v60, v30, v63
	v_mul_f32_e32 v58, s40, v58
	s_delay_alu instid0(VALU_DEP_2) | instskip(SKIP_4) | instid1(VALU_DEP_2)
	v_fmac_f32_e32 v60, v32, v62
	v_mul_f32_e32 v62, s42, v128
	v_mul_f32_e32 v63, s42, v124
	v_fmac_f32_e32 v59, v27, v57
	v_or_b32_e32 v57, v123, v125
	v_dual_fmac_f32 v60, v34, v63 :: v_dual_fmac_f32 v59, v29, v61
	v_or_b32_e32 v61, v127, v129
	s_delay_alu instid0(VALU_DEP_3) | instskip(NEXT) | instid1(VALU_DEP_3)
	v_mul_f32_e32 v57, s40, v57
	v_dual_mul_f32 v63, s42, v132 :: v_dual_fmac_f32 v60, v36, v62
	s_delay_alu instid0(VALU_DEP_4) | instskip(SKIP_2) | instid1(VALU_DEP_4)
	v_fmac_f32_e32 v59, v31, v58
	v_or_b32_e32 v58, v131, v133
	v_mul_f32_e32 v62, s42, v136
	v_dual_fmac_f32 v60, v38, v63 :: v_dual_mul_f32 v61, s40, v61
	s_delay_alu instid0(VALU_DEP_4) | instskip(SKIP_2) | instid1(VALU_DEP_3)
	v_fmac_f32_e32 v59, v33, v57
	v_or_b32_e32 v57, v135, v137
	v_dual_mul_f32 v58, s40, v58 :: v_dual_mul_f32 v63, s42, v140
	v_dual_fmac_f32 v60, v40, v62 :: v_dual_fmac_f32 v59, v35, v61
	v_or_b32_e32 v61, v139, v141
	v_or_b32_e32 v62, v70, v148
	s_delay_alu instid0(VALU_DEP_3) | instskip(SKIP_4) | instid1(VALU_DEP_3)
	v_dual_fmac_f32 v60, v42, v63 :: v_dual_fmac_f32 v59, v37, v58
	v_or_b32_e32 v63, v69, v147
	v_mul_f32_e32 v57, s40, v57
	v_or_b32_e32 v58, v143, v145
	v_mul_f32_e32 v61, s40, v61
	v_fmac_f32_e32 v59, v39, v57
	s_delay_alu instid0(VALU_DEP_3) | instskip(NEXT) | instid1(VALU_DEP_2)
	v_dual_mul_f32 v57, s42, v144 :: v_dual_mul_f32 v58, s40, v58
	v_fmac_f32_e32 v59, v41, v61
	v_mul_f32_e32 v61, s40, v149
	s_delay_alu instid0(VALU_DEP_3) | instskip(NEXT) | instid1(VALU_DEP_3)
	v_dual_fmac_f32 v60, v44, v57 :: v_dual_mul_f32 v57, s42, v62
	v_dual_fmac_f32 v59, v43, v58 :: v_dual_mul_f32 v58, s40, v63
	s_delay_alu instid0(VALU_DEP_1) | instskip(NEXT) | instid1(VALU_DEP_1)
	v_dual_fmac_f32 v60, v46, v51 :: v_dual_fmac_f32 v59, v45, v61
	v_dual_fmac_f32 v60, v48, v57 :: v_dual_fmac_f32 v59, v47, v58
	s_delay_alu instid0(VALU_DEP_1)
	v_add_f32_e32 v51, v59, v60
	ds_bpermute_b32 v57, v159, v51
	s_and_saveexec_b32 s3, vcc_lo
	s_cbranch_execz .LBB244_9
; %bb.395:                              ;   in Loop: Header=BB244_10 Depth=1
	s_waitcnt lgkmcnt(0)
	v_dual_add_f32 v51, v51, v57 :: v_dual_add_nc_u32 v58, s41, v160
	v_cmp_gt_i32_e64 s1, s33, v160
	s_delay_alu instid0(VALU_DEP_2) | instskip(NEXT) | instid1(VALU_DEP_1)
	v_cvt_f32_i32_e32 v58, v58
	v_mul_f32_e32 v58, s37, v58
	s_delay_alu instid0(VALU_DEP_1) | instskip(NEXT) | instid1(VALU_DEP_1)
	v_cndmask_b32_e64 v57, 0, v58, s0
	v_dual_max_f32 v58, v158, v158 :: v_dual_fmac_f32 v57, s35, v51
	s_delay_alu instid0(VALU_DEP_1) | instskip(SKIP_1) | instid1(VALU_DEP_2)
	v_max_f32_e32 v51, v58, v57
	v_cndmask_b32_e64 v57, 0, v57, s1
	v_cndmask_b32_e64 v158, v158, v51, s1
	ds_store_b32 v161, v57
	s_branch .LBB244_9
.LBB244_396:
	s_or_b32 exec_lo, exec_lo, s43
.LBB244_397:
	s_delay_alu instid0(SALU_CYCLE_1)
	s_or_b32 exec_lo, exec_lo, s38
	v_xor_b32_e32 v1, 16, v155
	v_xor_b32_e32 v3, 8, v155
	;; [unrolled: 1-line block ×4, first 2 shown]
	v_and_b32_e32 v21, 31, v0
	v_cmp_lt_i32_e32 vcc_lo, v1, v156
	v_dual_max_f32 v4, v158, v158 :: v_dual_cndmask_b32 v1, v155, v1
	v_cmp_lt_i32_e32 vcc_lo, v3, v156
	s_delay_alu instid0(VALU_DEP_2)
	v_dual_cndmask_b32 v3, v155, v3 :: v_dual_lshlrev_b32 v2, 2, v1
	v_cmp_lt_i32_e32 vcc_lo, v5, v156
	ds_bpermute_b32 v1, v2, v158
	v_lshlrev_b32_e32 v3, 2, v3
	v_cndmask_b32_e32 v5, v155, v5, vcc_lo
	v_cmp_lt_i32_e32 vcc_lo, v6, v156
	v_cndmask_b32_e32 v6, v155, v6, vcc_lo
	v_cmp_eq_u32_e32 vcc_lo, 0, v21
	s_delay_alu instid0(VALU_DEP_2) | instskip(SKIP_4) | instid1(VALU_DEP_1)
	v_lshlrev_b32_e32 v22, 2, v6
	v_lshlrev_b32_e32 v5, 2, v5
	;; [unrolled: 1-line block ×3, first 2 shown]
	s_waitcnt lgkmcnt(0)
	v_max_f32_e32 v1, v1, v1
	v_max_f32_e32 v1, v4, v1
	ds_bpermute_b32 v4, v3, v1
	s_waitcnt lgkmcnt(0)
	v_max_f32_e32 v4, v4, v4
	s_delay_alu instid0(VALU_DEP_1) | instskip(SKIP_3) | instid1(VALU_DEP_1)
	v_max_f32_e32 v1, v1, v4
	ds_bpermute_b32 v4, v5, v1
	s_waitcnt lgkmcnt(0)
	v_max_f32_e32 v4, v4, v4
	v_max_f32_e32 v1, v1, v4
	ds_bpermute_b32 v4, v22, v1
	s_and_saveexec_b32 s0, vcc_lo
	s_cbranch_execz .LBB244_399
; %bb.398:
	s_waitcnt lgkmcnt(0)
	v_dual_max_f32 v4, v4, v4 :: v_dual_max_f32 v1, v1, v1
	s_delay_alu instid0(VALU_DEP_1)
	v_max_f32_e32 v1, v1, v4
	ds_store_b32 v6, v1 offset:384
.LBB244_399:
	s_or_b32 exec_lo, exec_lo, s0
	v_cmp_gt_u32_e64 s0, 4, v21
	v_mov_b32_e32 v1, 0xff7fffff
	v_lshlrev_b32_e32 v7, 2, v21
	s_waitcnt lgkmcnt(0)
	s_barrier
	buffer_gl0_inv
	s_and_saveexec_b32 s1, s0
	s_cbranch_execz .LBB244_401
; %bb.400:
	ds_load_b32 v1, v7 offset:384
.LBB244_401:
	s_or_b32 exec_lo, exec_lo, s1
	s_waitcnt lgkmcnt(0)
	ds_bpermute_b32 v4, v22, v1
	v_xor_b32_e32 v8, 1, v155
	v_max_f32_e32 v1, v1, v1
	v_mov_b32_e32 v9, 0
	s_delay_alu instid0(VALU_DEP_3) | instskip(NEXT) | instid1(VALU_DEP_1)
	v_cmp_lt_i32_e64 s1, v8, v156
	v_cndmask_b32_e64 v8, v155, v8, s1
	s_sub_i32 s1, s21, s4
	s_delay_alu instid0(SALU_CYCLE_1) | instskip(NEXT) | instid1(VALU_DEP_1)
	s_lshl_b32 s1, s1, 4
	v_lshlrev_b32_e32 v23, 2, v8
	v_lshlrev_b32_e32 v8, 2, v155
	s_add_i32 s1, s1, s36
	s_waitcnt lgkmcnt(0)
	v_max_f32_e32 v4, v4, v4
	s_min_i32 s1, s1, s33
	v_and_b32_e32 v8, 0xffffff80, v8
	s_sub_i32 s4, s1, s36
	s_delay_alu instid0(VALU_DEP_2) | instskip(SKIP_4) | instid1(VALU_DEP_1)
	v_max_f32_e32 v1, v1, v4
	v_cmp_gt_i32_e64 s1, s4, v0
	ds_bpermute_b32 v4, v23, v1
	s_waitcnt lgkmcnt(0)
	v_max_f32_e32 v4, v4, v4
	v_max_f32_e32 v1, v1, v4
	v_lshl_add_u32 v4, v0, 2, 0x1a0
	ds_bpermute_b32 v1, v8, v1
	s_and_saveexec_b32 s6, s1
	s_cbranch_execz .LBB244_405
; %bb.402:
	v_lshl_add_u32 v10, v0, 2, 0x1a0
	v_mov_b32_e32 v9, 0
	v_mov_b32_e32 v11, v0
	s_mov_b32 s7, 0
	.p2align	6
.LBB244_403:                            ; =>This Inner Loop Header: Depth=1
	ds_load_b32 v12, v10
	v_add_nc_u32_e32 v11, 0x80, v11
	s_delay_alu instid0(VALU_DEP_1) | instskip(NEXT) | instid1(VALU_DEP_1)
	v_cmp_le_i32_e64 s3, s4, v11
	s_or_b32 s7, s3, s7
	s_waitcnt lgkmcnt(0)
	v_sub_f32_e32 v12, v12, v1
	s_delay_alu instid0(VALU_DEP_1) | instskip(NEXT) | instid1(VALU_DEP_1)
	v_mul_f32_e32 v12, 0x3fb8aa3b, v12
	v_exp_f32_e32 v12, v12
	ds_store_b32 v10, v12
	v_dual_add_f32 v9, v9, v12 :: v_dual_add_nc_u32 v10, 0x200, v10
	s_and_not1_b32 exec_lo, exec_lo, s7
	s_cbranch_execnz .LBB244_403
; %bb.404:
	s_or_b32 exec_lo, exec_lo, s7
.LBB244_405:
	s_delay_alu instid0(SALU_CYCLE_1)
	s_or_b32 exec_lo, exec_lo, s6
	ds_bpermute_b32 v2, v2, v9
	s_waitcnt lgkmcnt(0)
	v_add_f32_e32 v2, v9, v2
	ds_bpermute_b32 v3, v3, v2
	s_waitcnt lgkmcnt(0)
	v_add_f32_e32 v2, v2, v3
	;; [unrolled: 3-line block ×5, first 2 shown]
	s_and_saveexec_b32 s3, vcc_lo
	s_cbranch_execz .LBB244_407
; %bb.406:
	ds_store_b32 v6, v2 offset:400
.LBB244_407:
	s_or_b32 exec_lo, exec_lo, s3
	s_waitcnt lgkmcnt(0)
	s_barrier
	buffer_gl0_inv
	s_and_saveexec_b32 s3, s0
	s_cbranch_execz .LBB244_409
; %bb.408:
	ds_load_b32 v2, v7 offset:400
.LBB244_409:
	s_or_b32 exec_lo, exec_lo, s3
	s_waitcnt lgkmcnt(0)
	ds_bpermute_b32 v3, v22, v2
	s_waitcnt lgkmcnt(0)
	v_add_f32_e32 v2, v2, v3
	ds_bpermute_b32 v3, v23, v2
	s_waitcnt lgkmcnt(0)
	v_add_f32_e32 v2, v2, v3
	ds_bpermute_b32 v2, v8, v2
	s_and_saveexec_b32 s0, s1
	s_cbranch_execz .LBB244_412
; %bb.410:
	s_waitcnt lgkmcnt(0)
	v_add_f32_e32 v3, 0x358637bd, v2
	s_mov_b32 s1, 0
	s_delay_alu instid0(VALU_DEP_1) | instskip(SKIP_1) | instid1(VALU_DEP_2)
	v_div_scale_f32 v5, null, v3, v3, 1.0
	v_div_scale_f32 v8, vcc_lo, 1.0, v3, 1.0
	v_rcp_f32_e32 v6, v5
	s_waitcnt_depctr 0xfff
	v_fma_f32 v7, -v5, v6, 1.0
	s_delay_alu instid0(VALU_DEP_1) | instskip(NEXT) | instid1(VALU_DEP_1)
	v_fmac_f32_e32 v6, v7, v6
	v_mul_f32_e32 v7, v8, v6
	s_delay_alu instid0(VALU_DEP_1) | instskip(NEXT) | instid1(VALU_DEP_1)
	v_fma_f32 v9, -v5, v7, v8
	v_fmac_f32_e32 v7, v9, v6
	s_delay_alu instid0(VALU_DEP_1) | instskip(NEXT) | instid1(VALU_DEP_1)
	v_fma_f32 v5, -v5, v7, v8
	v_div_fmas_f32 v5, v5, v6, v7
	s_delay_alu instid0(VALU_DEP_1)
	v_div_fixup_f32 v3, v5, v3, 1.0
	v_mov_b32_e32 v5, v0
.LBB244_411:                            ; =>This Inner Loop Header: Depth=1
	ds_load_b32 v6, v4
	s_waitcnt lgkmcnt(0)
	v_dual_mul_f32 v6, v3, v6 :: v_dual_add_nc_u32 v5, 0x80, v5
	s_delay_alu instid0(VALU_DEP_1) | instskip(SKIP_3) | instid1(SALU_CYCLE_1)
	v_cmp_le_i32_e32 vcc_lo, s4, v5
	ds_store_b32 v4, v6
	v_add_nc_u32_e32 v4, 0x200, v4
	s_or_b32 s1, vcc_lo, s1
	s_and_not1_b32 exec_lo, exec_lo, s1
	s_cbranch_execnz .LBB244_411
.LBB244_412:
	s_or_b32 exec_lo, exec_lo, s0
	s_mul_i32 s0, s15, s14
	s_waitcnt lgkmcnt(0)
	s_mul_i32 s6, s0, s13
	s_mov_b32 s0, exec_lo
	s_barrier
	buffer_gl0_inv
	v_cmpx_eq_u32_e32 0, v0
	s_cbranch_execz .LBB244_414
; %bb.413:
	s_ashr_i32 s7, s6, 31
	s_mul_i32 s38, s15, s24
	s_lshl_b64 s[8:9], s[6:7], 2
	v_mov_b32_e32 v3, 0
	s_add_u32 s1, s18, s8
	s_addc_u32 s3, s19, s9
	s_ashr_i32 s39, s38, 31
	s_delay_alu instid0(SALU_CYCLE_1) | instskip(NEXT) | instid1(SALU_CYCLE_1)
	s_lshl_b64 s[18:19], s[38:39], 2
	s_add_u32 s1, s1, s18
	s_addc_u32 s3, s3, s19
	s_ashr_i32 s13, s12, 31
	s_delay_alu instid0(SALU_CYCLE_1) | instskip(NEXT) | instid1(SALU_CYCLE_1)
	s_lshl_b64 s[38:39], s[12:13], 2
	s_add_u32 s40, s1, s38
	s_addc_u32 s41, s3, s39
	s_add_u32 s1, s16, s8
	s_addc_u32 s3, s17, s9
	;; [unrolled: 2-line block ×4, first 2 shown]
	s_clause 0x1
	global_store_b32 v3, v1, s[40:41]
	global_store_b32 v3, v2, s[8:9]
.LBB244_414:
	s_or_b32 exec_lo, exec_lo, s0
	v_dual_mov_b32 v34, 0 :: v_dual_mov_b32 v35, 0
	v_dual_mov_b32 v33, 0 :: v_dual_and_b32 v24, 3, v0
	v_dual_mov_b32 v36, 0 :: v_dual_mov_b32 v31, 0
	v_dual_mov_b32 v32, 0 :: v_dual_mov_b32 v29, 0
	v_dual_mov_b32 v30, 0 :: v_dual_mov_b32 v27, 0
	v_dual_mov_b32 v28, 0 :: v_dual_mov_b32 v25, 0
	v_mov_b32_e32 v26, 0
	s_mov_b32 s4, 0
	s_and_saveexec_b32 s1, s2
	s_cbranch_execz .LBB244_826
; %bb.415:
	s_load_b32 s7, s[10:11], 0x0
	v_dual_mov_b32 v26, 0 :: v_dual_lshlrev_b32 v7, 4, v24
	v_dual_mov_b32 v25, 0 :: v_dual_and_b32 v4, 0x7c, v154
	s_ashr_i32 s0, s34, 31
	s_mov_b32 s8, s5
	v_lshlrev_b64 v[1:2], 2, v[49:50]
	s_add_u32 s5, s30, s34
	v_lshl_or_b32 v9, v153, 6, v7
	s_addc_u32 s0, s31, s0
	s_lshl_b64 s[2:3], s[28:29], 2
	v_add_co_u32 v7, s5, s5, v4
	v_dual_mov_b32 v6, 0 :: v_dual_and_b32 v3, 12, v154
	v_lshl_add_u32 v5, v153, 4, s36
	s_add_i32 s25, s25, -1
	v_add_co_ci_u32_e64 v8, null, s0, 0, s5
	s_add_u32 s0, s26, s2
	v_dual_mov_b32 v27, 0 :: v_dual_add_nc_u32 v38, 0x1a0, v9
	s_addc_u32 s2, s27, s3
	v_add_co_u32 v9, vcc_lo, s0, v1
	v_add3_u32 v37, v5, v3, 3
	v_add_co_ci_u32_e32 v10, vcc_lo, s2, v2, vcc_lo
	v_dual_mov_b32 v28, 0 :: v_dual_mov_b32 v29, 0
	v_dual_mov_b32 v30, 0 :: v_dual_mov_b32 v31, 0
	;; [unrolled: 1-line block ×4, first 2 shown]
	v_mov_b32_e32 v34, 0
	s_waitcnt lgkmcnt(0)
	s_mov_b32 s9, s7
	s_brev_b32 s5, 1
	s_mov_b32 s3, 0x7f800001
	s_mov_b32 s10, s4
	s_branch .LBB244_417
.LBB244_416:                            ;   in Loop: Header=BB244_417 Depth=1
	s_or_b32 exec_lo, exec_lo, s0
	s_waitcnt lgkmcnt(0)
	v_mul_f32_e32 v15, v2, v82
	v_mul_f32_e32 v14, v2, v84
	v_add_co_u32 v9, s0, v9, 16
	s_delay_alu instid0(VALU_DEP_3) | instskip(NEXT) | instid1(VALU_DEP_3)
	v_dual_fmac_f32 v15, v1, v81 :: v_dual_add_nc_u32 v38, 0x100, v38
	v_dual_fmac_f32 v14, v1, v83 :: v_dual_mul_f32 v17, v2, v74
	v_mul_f32_e32 v16, v2, v78
	v_add_co_ci_u32_e64 v10, s0, 0, v10, s0
	s_delay_alu instid0(VALU_DEP_4) | instskip(NEXT) | instid1(VALU_DEP_3)
	v_fmac_f32_e32 v15, v3, v80
	v_dual_mul_f32 v43, v2, v66 :: v_dual_fmac_f32 v16, v1, v77
	v_mul_f32_e32 v44, v2, v62
	s_delay_alu instid0(VALU_DEP_3) | instskip(SKIP_1) | instid1(VALU_DEP_2)
	v_dual_fmac_f32 v14, v3, v20 :: v_dual_fmac_f32 v15, v4, v79
	v_dual_mul_f32 v18, v2, v70 :: v_dual_fmac_f32 v17, v1, v73
	v_dual_fmac_f32 v43, v1, v65 :: v_dual_fmac_f32 v14, v4, v19
	s_delay_alu instid0(VALU_DEP_4) | instskip(NEXT) | instid1(VALU_DEP_3)
	v_fmac_f32_e32 v44, v1, v61
	v_dual_fmac_f32 v18, v1, v69 :: v_dual_add_f32 v27, v27, v15
	s_delay_alu instid0(VALU_DEP_4) | instskip(SKIP_2) | instid1(VALU_DEP_3)
	v_fmac_f32_e32 v17, v3, v72
	v_fmac_f32_e32 v16, v3, v76
	v_dual_add_f32 v26, v26, v14 :: v_dual_fmac_f32 v43, v3, v64
	v_dual_fmac_f32 v18, v3, v68 :: v_dual_fmac_f32 v17, v4, v71
	s_delay_alu instid0(VALU_DEP_3) | instskip(SKIP_1) | instid1(VALU_DEP_4)
	v_fmac_f32_e32 v16, v4, v75
	v_dual_fmac_f32 v44, v3, v60 :: v_dual_mul_f32 v15, v2, v54
	v_fmac_f32_e32 v43, v4, v63
	s_delay_alu instid0(VALU_DEP_4) | instskip(NEXT) | instid1(VALU_DEP_4)
	v_dual_fmac_f32 v18, v4, v67 :: v_dual_add_f32 v29, v29, v17
	v_dual_mul_f32 v17, v2, v42 :: v_dual_add_f32 v28, v28, v16
	s_delay_alu instid0(VALU_DEP_2) | instskip(SKIP_1) | instid1(VALU_DEP_3)
	v_dual_add_f32 v31, v31, v43 :: v_dual_add_f32 v30, v30, v18
	v_dual_fmac_f32 v44, v4, v59 :: v_dual_fmac_f32 v15, v1, v53
	v_dual_fmac_f32 v17, v1, v41 :: v_dual_mul_f32 v14, v2, v58
	v_dual_mul_f32 v16, v2, v50 :: v_dual_add_nc_u32 v37, 64, v37
	s_delay_alu instid0(VALU_DEP_3) | instskip(NEXT) | instid1(VALU_DEP_3)
	v_fmac_f32_e32 v15, v3, v52
	v_dual_fmac_f32 v17, v3, v40 :: v_dual_mul_f32 v2, v2, v13
	s_delay_alu instid0(VALU_DEP_4) | instskip(SKIP_1) | instid1(VALU_DEP_4)
	v_fmac_f32_e32 v14, v1, v57
	v_add_nc_u32_e32 v49, 4, v49
	v_fmac_f32_e32 v15, v4, v51
	s_delay_alu instid0(VALU_DEP_4) | instskip(SKIP_2) | instid1(VALU_DEP_4)
	v_dual_fmac_f32 v17, v4, v39 :: v_dual_fmac_f32 v2, v1, v12
	v_fmac_f32_e32 v16, v1, v48
	v_fmac_f32_e32 v14, v3, v56
	v_add_f32_e32 v35, v35, v15
	v_cmp_le_i32_e32 vcc_lo, s21, v49
	v_fmac_f32_e32 v2, v3, v11
	v_add_f32_e32 v34, v34, v17
	v_fmac_f32_e32 v14, v4, v55
	v_add_f32_e32 v32, v32, v44
	s_or_b32 s10, vcc_lo, s10
	v_fmac_f32_e32 v2, v4, v5
	s_delay_alu instid0(VALU_DEP_3) | instskip(NEXT) | instid1(VALU_DEP_2)
	v_dual_fmac_f32 v16, v3, v47 :: v_dual_add_f32 v33, v33, v14
	v_add_f32_e32 v25, v25, v2
	s_delay_alu instid0(VALU_DEP_2) | instskip(NEXT) | instid1(VALU_DEP_1)
	v_fmac_f32_e32 v16, v4, v46
	v_add_f32_e32 v36, v36, v16
	s_and_not1_b32 exec_lo, exec_lo, s10
	s_cbranch_execz .LBB244_825
.LBB244_417:                            ; =>This Inner Loop Header: Depth=1
	global_load_b32 v1, v[9:10], off
	v_mov_b32_e32 v15, 0
	s_mov_b32 s0, exec_lo
	s_waitcnt vmcnt(0)
	v_mad_i64_i32 v[11:12], null, v1, s8, v[7:8]
	ds_load_b128 v[1:4], v38
	global_load_b32 v39, v[11:12], off
	s_waitcnt vmcnt(0)
	v_dual_mov_b32 v16, 0 :: v_dual_and_b32 v5, 0xff, v39
	s_delay_alu instid0(VALU_DEP_1) | instskip(NEXT) | instid1(VALU_DEP_2)
	v_dual_mov_b32 v13, v15 :: v_dual_mov_b32 v14, v16
	v_cmpx_ne_u16_e32 0, v5
	s_cbranch_execz .LBB244_425
; %bb.418:                              ;   in Loop: Header=BB244_417 Depth=1
	v_bfrev_b32_e32 v13, 1
	v_mov_b32_e32 v14, 0
	s_mov_b32 s2, exec_lo
	v_cmpx_ne_u16_e32 0x80, v5
	s_cbranch_execz .LBB244_424
; %bb.419:                              ;   in Loop: Header=BB244_417 Depth=1
	v_mov_b32_e32 v13, 0x7f800001
	v_dual_mov_b32 v14, 0 :: v_dual_and_b32 v17, 0x7f, v39
	s_mov_b32 s11, exec_lo
	s_delay_alu instid0(VALU_DEP_1)
	v_cmpx_ne_u32_e32 0x7f, v17
	s_cbranch_execz .LBB244_423
; %bb.420:                              ;   in Loop: Header=BB244_417 Depth=1
	v_and_b32_e32 v5, 7, v39
	v_lshrrev_b32_e32 v13, 3, v17
	s_mov_b32 s13, exec_lo
	v_cmpx_gt_u32_e32 8, v17
; %bb.421:                              ;   in Loop: Header=BB244_417 Depth=1
	s_delay_alu instid0(VALU_DEP_3) | instskip(NEXT) | instid1(VALU_DEP_1)
	v_clz_i32_u32_e32 v13, v5
	v_min_u32_e32 v13, 32, v13
	s_delay_alu instid0(VALU_DEP_1) | instskip(SKIP_1) | instid1(VALU_DEP_2)
	v_subrev_nc_u32_e32 v14, 28, v13
	v_sub_nc_u32_e32 v13, 29, v13
	v_lshlrev_b64 v[17:18], v14, v[5:6]
	s_delay_alu instid0(VALU_DEP_1)
	v_and_b32_e32 v5, 7, v17
; %bb.422:                              ;   in Loop: Header=BB244_417 Depth=1
	s_or_b32 exec_lo, exec_lo, s13
	v_lshlrev_b32_e32 v14, 24, v39
	s_delay_alu instid0(VALU_DEP_2) | instskip(SKIP_1) | instid1(VALU_DEP_3)
	v_lshlrev_b32_e32 v5, 20, v5
	v_lshl_add_u32 v13, v13, 23, 0x3c000000
	v_and_b32_e32 v14, 0x80000000, v14
	s_delay_alu instid0(VALU_DEP_1) | instskip(NEXT) | instid1(VALU_DEP_1)
	v_or3_b32 v5, v5, v14, v13
	v_dual_mov_b32 v14, v6 :: v_dual_mov_b32 v13, v5
.LBB244_423:                            ;   in Loop: Header=BB244_417 Depth=1
	s_or_b32 exec_lo, exec_lo, s11
.LBB244_424:                            ;   in Loop: Header=BB244_417 Depth=1
	s_delay_alu instid0(SALU_CYCLE_1)
	s_or_b32 exec_lo, exec_lo, s2
.LBB244_425:                            ;   in Loop: Header=BB244_417 Depth=1
	s_delay_alu instid0(SALU_CYCLE_1) | instskip(SKIP_2) | instid1(VALU_DEP_1)
	s_or_b32 exec_lo, exec_lo, s0
	v_lshrrev_b16 v5, 8, v39
	s_mov_b32 s0, exec_lo
	v_cmpx_ne_u16_e32 0, v5
	s_cbranch_execz .LBB244_433
; %bb.426:                              ;   in Loop: Header=BB244_417 Depth=1
	v_dual_mov_b32 v16, s5 :: v_dual_mov_b32 v15, s4
	s_mov_b32 s11, exec_lo
	v_cmpx_ne_u16_e32 0x80, v5
	s_cbranch_execz .LBB244_432
; %bb.427:                              ;   in Loop: Header=BB244_417 Depth=1
	s_mov_b32 s2, s4
	v_dual_mov_b32 v16, s3 :: v_dual_and_b32 v5, 0xffff, v5
	v_mov_b32_e32 v15, s2
	s_mov_b32 s2, exec_lo
	s_delay_alu instid0(VALU_DEP_2) | instskip(NEXT) | instid1(VALU_DEP_1)
	v_and_b32_e32 v17, 0x7f, v5
	v_cmpx_ne_u32_e32 0x7f, v17
	s_cbranch_execz .LBB244_431
; %bb.428:                              ;   in Loop: Header=BB244_417 Depth=1
	v_and_b32_e32 v5, 7, v5
	v_lshrrev_b32_e32 v15, 3, v17
	s_mov_b32 s13, exec_lo
	v_cmpx_gt_u32_e32 8, v17
; %bb.429:                              ;   in Loop: Header=BB244_417 Depth=1
	s_delay_alu instid0(VALU_DEP_3) | instskip(NEXT) | instid1(VALU_DEP_1)
	v_clz_i32_u32_e32 v15, v5
	v_min_u32_e32 v15, 32, v15
	s_delay_alu instid0(VALU_DEP_1) | instskip(SKIP_1) | instid1(VALU_DEP_2)
	v_subrev_nc_u32_e32 v16, 28, v15
	v_sub_nc_u32_e32 v15, 29, v15
	v_lshlrev_b64 v[16:17], v16, v[5:6]
	s_delay_alu instid0(VALU_DEP_1)
	v_and_b32_e32 v5, 7, v16
; %bb.430:                              ;   in Loop: Header=BB244_417 Depth=1
	s_or_b32 exec_lo, exec_lo, s13
	v_lshlrev_b32_e32 v16, 16, v39
	s_delay_alu instid0(VALU_DEP_2) | instskip(SKIP_1) | instid1(VALU_DEP_3)
	v_lshlrev_b32_e32 v5, 20, v5
	v_lshl_add_u32 v15, v15, 23, 0x3c000000
	v_and_b32_e32 v16, 0x80000000, v16
	s_delay_alu instid0(VALU_DEP_1)
	v_or3_b32 v16, v5, v16, v15
	v_mov_b32_e32 v15, v6
.LBB244_431:                            ;   in Loop: Header=BB244_417 Depth=1
	s_or_b32 exec_lo, exec_lo, s2
.LBB244_432:                            ;   in Loop: Header=BB244_417 Depth=1
	s_delay_alu instid0(SALU_CYCLE_1)
	s_or_b32 exec_lo, exec_lo, s11
.LBB244_433:                            ;   in Loop: Header=BB244_417 Depth=1
	s_delay_alu instid0(SALU_CYCLE_1) | instskip(SKIP_4) | instid1(VALU_DEP_2)
	s_or_b32 exec_lo, exec_lo, s0
	v_mov_b32_e32 v19, 0
	v_lshrrev_b32_e32 v40, 16, v39
	v_mov_b32_e32 v20, 0
	s_mov_b32 s0, exec_lo
	v_and_b32_e32 v5, 0xff, v40
	s_delay_alu instid0(VALU_DEP_2) | instskip(NEXT) | instid1(VALU_DEP_2)
	v_dual_mov_b32 v17, v19 :: v_dual_mov_b32 v18, v20
	v_cmpx_ne_u16_e32 0, v5
	s_cbranch_execz .LBB244_441
; %bb.434:                              ;   in Loop: Header=BB244_417 Depth=1
	v_bfrev_b32_e32 v17, 1
	v_mov_b32_e32 v18, 0
	s_mov_b32 s2, exec_lo
	v_cmpx_ne_u16_e32 0x80, v5
	s_cbranch_execz .LBB244_440
; %bb.435:                              ;   in Loop: Header=BB244_417 Depth=1
	v_mov_b32_e32 v17, 0x7f800001
	v_bfe_u32 v41, v39, 16, 7
	v_mov_b32_e32 v18, 0
	s_mov_b32 s11, exec_lo
	s_delay_alu instid0(VALU_DEP_2)
	v_cmpx_ne_u32_e32 0x7f, v41
	s_cbranch_execz .LBB244_439
; %bb.436:                              ;   in Loop: Header=BB244_417 Depth=1
	v_and_b32_e32 v5, 7, v40
	v_lshrrev_b32_e32 v17, 3, v41
	s_mov_b32 s13, exec_lo
	v_cmpx_gt_u32_e32 8, v41
; %bb.437:                              ;   in Loop: Header=BB244_417 Depth=1
	s_delay_alu instid0(VALU_DEP_3) | instskip(NEXT) | instid1(VALU_DEP_1)
	v_clz_i32_u32_e32 v17, v5
	v_min_u32_e32 v17, 32, v17
	s_delay_alu instid0(VALU_DEP_1) | instskip(SKIP_1) | instid1(VALU_DEP_2)
	v_subrev_nc_u32_e32 v18, 28, v17
	v_sub_nc_u32_e32 v17, 29, v17
	v_lshlrev_b64 v[41:42], v18, v[5:6]
	s_delay_alu instid0(VALU_DEP_1)
	v_and_b32_e32 v5, 7, v41
; %bb.438:                              ;   in Loop: Header=BB244_417 Depth=1
	s_or_b32 exec_lo, exec_lo, s13
	v_lshlrev_b32_e32 v18, 24, v40
	s_delay_alu instid0(VALU_DEP_2) | instskip(SKIP_1) | instid1(VALU_DEP_3)
	v_lshlrev_b32_e32 v5, 20, v5
	v_lshl_add_u32 v17, v17, 23, 0x3c000000
	v_and_b32_e32 v18, 0x80000000, v18
	s_delay_alu instid0(VALU_DEP_1) | instskip(NEXT) | instid1(VALU_DEP_1)
	v_or3_b32 v5, v5, v18, v17
	v_dual_mov_b32 v18, v6 :: v_dual_mov_b32 v17, v5
.LBB244_439:                            ;   in Loop: Header=BB244_417 Depth=1
	s_or_b32 exec_lo, exec_lo, s11
.LBB244_440:                            ;   in Loop: Header=BB244_417 Depth=1
	s_delay_alu instid0(SALU_CYCLE_1)
	s_or_b32 exec_lo, exec_lo, s2
.LBB244_441:                            ;   in Loop: Header=BB244_417 Depth=1
	s_delay_alu instid0(SALU_CYCLE_1) | instskip(NEXT) | instid1(SALU_CYCLE_1)
	s_or_b32 exec_lo, exec_lo, s0
	s_mov_b32 s0, exec_lo
	v_cmpx_lt_u32_e32 0xffffff, v39
	s_cbranch_execz .LBB244_449
; %bb.442:                              ;   in Loop: Header=BB244_417 Depth=1
	v_lshrrev_b32_e32 v40, 24, v39
	v_dual_mov_b32 v20, s5 :: v_dual_mov_b32 v19, s4
	s_mov_b32 s11, exec_lo
	s_delay_alu instid0(VALU_DEP_2)
	v_cmpx_ne_u32_e32 0x80, v40
	s_cbranch_execz .LBB244_448
; %bb.443:                              ;   in Loop: Header=BB244_417 Depth=1
	s_mov_b32 s2, s4
	v_bfe_u32 v39, v39, 24, 7
	v_dual_mov_b32 v20, s3 :: v_dual_mov_b32 v19, s2
	s_mov_b32 s2, exec_lo
	s_delay_alu instid0(VALU_DEP_2)
	v_cmpx_ne_u32_e32 0x7f, v39
	s_cbranch_execz .LBB244_447
; %bb.444:                              ;   in Loop: Header=BB244_417 Depth=1
	v_and_b32_e32 v5, 7, v40
	v_lshrrev_b32_e32 v19, 3, v39
	s_mov_b32 s13, exec_lo
	v_cmpx_gt_u32_e32 8, v39
; %bb.445:                              ;   in Loop: Header=BB244_417 Depth=1
	s_delay_alu instid0(VALU_DEP_3) | instskip(NEXT) | instid1(VALU_DEP_1)
	v_clz_i32_u32_e32 v19, v5
	v_min_u32_e32 v19, 32, v19
	s_delay_alu instid0(VALU_DEP_1) | instskip(SKIP_1) | instid1(VALU_DEP_2)
	v_subrev_nc_u32_e32 v20, 28, v19
	v_sub_nc_u32_e32 v19, 29, v19
	v_lshlrev_b64 v[41:42], v20, v[5:6]
	s_delay_alu instid0(VALU_DEP_1)
	v_and_b32_e32 v5, 7, v41
; %bb.446:                              ;   in Loop: Header=BB244_417 Depth=1
	s_or_b32 exec_lo, exec_lo, s13
	v_lshlrev_b32_e32 v20, 24, v40
	s_delay_alu instid0(VALU_DEP_2) | instskip(SKIP_1) | instid1(VALU_DEP_3)
	v_lshlrev_b32_e32 v5, 20, v5
	v_lshl_add_u32 v19, v19, 23, 0x3c000000
	v_and_b32_e32 v20, 0x80000000, v20
	s_delay_alu instid0(VALU_DEP_1)
	v_or3_b32 v20, v5, v20, v19
	v_mov_b32_e32 v19, v6
.LBB244_447:                            ;   in Loop: Header=BB244_417 Depth=1
	s_or_b32 exec_lo, exec_lo, s2
.LBB244_448:                            ;   in Loop: Header=BB244_417 Depth=1
	s_delay_alu instid0(SALU_CYCLE_1)
	s_or_b32 exec_lo, exec_lo, s11
.LBB244_449:                            ;   in Loop: Header=BB244_417 Depth=1
	s_delay_alu instid0(SALU_CYCLE_1)
	s_or_b32 exec_lo, exec_lo, s0
	v_or_b32_e32 v5, v16, v14
	v_or_b32_e32 v13, v15, v13
	;; [unrolled: 1-line block ×4, first 2 shown]
	v_add_nc_u32_e32 v43, -3, v37
	v_cmp_eq_u32_e32 vcc_lo, s25, v49
	s_delay_alu instid0(VALU_DEP_4) | instskip(NEXT) | instid1(VALU_DEP_4)
	v_dual_mul_f32 v42, s9, v5 :: v_dual_mul_f32 v39, s9, v14
	v_dual_mul_f32 v41, s7, v13 :: v_dual_mul_f32 v40, s7, v15
	v_add_nc_u32_e32 v45, -2, v37
	v_add_nc_u32_e32 v44, -1, v37
	s_and_saveexec_b32 s2, vcc_lo
; %bb.450:                              ;   in Loop: Header=BB244_417 Depth=1
	v_cmp_gt_i32_e64 s0, s33, v43
	s_delay_alu instid0(VALU_DEP_1) | instskip(SKIP_1) | instid1(VALU_DEP_1)
	v_cndmask_b32_e64 v41, 0, v41, s0
	v_cmp_gt_i32_e64 s0, s33, v45
	v_cndmask_b32_e64 v42, 0, v42, s0
	v_cmp_gt_i32_e64 s0, s33, v44
	s_delay_alu instid0(VALU_DEP_1) | instskip(SKIP_1) | instid1(VALU_DEP_1)
	v_cndmask_b32_e64 v40, 0, v40, s0
	v_cmp_gt_i32_e64 s0, s33, v37
	v_cndmask_b32_e64 v39, 0, v39, s0
; %bb.451:                              ;   in Loop: Header=BB244_417 Depth=1
	s_or_b32 exec_lo, exec_lo, s2
	global_load_b32 v46, v[11:12], off offset:128
	v_mov_b32_e32 v15, 0
	v_mov_b32_e32 v16, 0
	s_mov_b32 s2, exec_lo
	s_waitcnt vmcnt(0)
	v_and_b32_e32 v5, 0xff, v46
	s_delay_alu instid0(VALU_DEP_2) | instskip(NEXT) | instid1(VALU_DEP_2)
	v_dual_mov_b32 v13, v15 :: v_dual_mov_b32 v14, v16
	v_cmpx_ne_u16_e32 0, v5
	s_cbranch_execz .LBB244_459
; %bb.452:                              ;   in Loop: Header=BB244_417 Depth=1
	v_bfrev_b32_e32 v13, 1
	v_mov_b32_e32 v14, 0
	s_mov_b32 s11, exec_lo
	v_cmpx_ne_u16_e32 0x80, v5
	s_cbranch_execz .LBB244_458
; %bb.453:                              ;   in Loop: Header=BB244_417 Depth=1
	v_mov_b32_e32 v13, 0x7f800001
	v_dual_mov_b32 v14, 0 :: v_dual_and_b32 v17, 0x7f, v46
	s_mov_b32 s13, exec_lo
	s_delay_alu instid0(VALU_DEP_1)
	v_cmpx_ne_u32_e32 0x7f, v17
	s_cbranch_execz .LBB244_457
; %bb.454:                              ;   in Loop: Header=BB244_417 Depth=1
	v_and_b32_e32 v5, 7, v46
	v_lshrrev_b32_e32 v13, 3, v17
	s_mov_b32 s14, exec_lo
	v_cmpx_gt_u32_e32 8, v17
; %bb.455:                              ;   in Loop: Header=BB244_417 Depth=1
	s_delay_alu instid0(VALU_DEP_3) | instskip(NEXT) | instid1(VALU_DEP_1)
	v_clz_i32_u32_e32 v13, v5
	v_min_u32_e32 v13, 32, v13
	s_delay_alu instid0(VALU_DEP_1) | instskip(SKIP_1) | instid1(VALU_DEP_2)
	v_subrev_nc_u32_e32 v14, 28, v13
	v_sub_nc_u32_e32 v13, 29, v13
	v_lshlrev_b64 v[17:18], v14, v[5:6]
	s_delay_alu instid0(VALU_DEP_1)
	v_and_b32_e32 v5, 7, v17
; %bb.456:                              ;   in Loop: Header=BB244_417 Depth=1
	s_or_b32 exec_lo, exec_lo, s14
	v_lshlrev_b32_e32 v14, 24, v46
	s_delay_alu instid0(VALU_DEP_2) | instskip(SKIP_1) | instid1(VALU_DEP_3)
	v_lshlrev_b32_e32 v5, 20, v5
	v_lshl_add_u32 v13, v13, 23, 0x3c000000
	v_and_b32_e32 v14, 0x80000000, v14
	s_delay_alu instid0(VALU_DEP_1) | instskip(NEXT) | instid1(VALU_DEP_1)
	v_or3_b32 v5, v5, v14, v13
	v_dual_mov_b32 v14, v6 :: v_dual_mov_b32 v13, v5
.LBB244_457:                            ;   in Loop: Header=BB244_417 Depth=1
	s_or_b32 exec_lo, exec_lo, s13
.LBB244_458:                            ;   in Loop: Header=BB244_417 Depth=1
	s_delay_alu instid0(SALU_CYCLE_1)
	s_or_b32 exec_lo, exec_lo, s11
.LBB244_459:                            ;   in Loop: Header=BB244_417 Depth=1
	s_delay_alu instid0(SALU_CYCLE_1) | instskip(SKIP_2) | instid1(VALU_DEP_1)
	s_or_b32 exec_lo, exec_lo, s2
	v_lshrrev_b16 v5, 8, v46
	s_mov_b32 s11, exec_lo
	v_cmpx_ne_u16_e32 0, v5
	s_cbranch_execz .LBB244_467
; %bb.460:                              ;   in Loop: Header=BB244_417 Depth=1
	v_dual_mov_b32 v16, s5 :: v_dual_mov_b32 v15, s4
	s_mov_b32 s13, exec_lo
	v_cmpx_ne_u16_e32 0x80, v5
	s_cbranch_execz .LBB244_466
; %bb.461:                              ;   in Loop: Header=BB244_417 Depth=1
	s_mov_b32 s2, s4
	v_dual_mov_b32 v16, s3 :: v_dual_and_b32 v5, 0xffff, v5
	v_mov_b32_e32 v15, s2
	s_mov_b32 s2, exec_lo
	s_delay_alu instid0(VALU_DEP_2) | instskip(NEXT) | instid1(VALU_DEP_1)
	v_and_b32_e32 v17, 0x7f, v5
	v_cmpx_ne_u32_e32 0x7f, v17
	s_cbranch_execz .LBB244_465
; %bb.462:                              ;   in Loop: Header=BB244_417 Depth=1
	v_and_b32_e32 v5, 7, v5
	v_lshrrev_b32_e32 v15, 3, v17
	s_mov_b32 s14, exec_lo
	v_cmpx_gt_u32_e32 8, v17
; %bb.463:                              ;   in Loop: Header=BB244_417 Depth=1
	s_delay_alu instid0(VALU_DEP_3) | instskip(NEXT) | instid1(VALU_DEP_1)
	v_clz_i32_u32_e32 v15, v5
	v_min_u32_e32 v15, 32, v15
	s_delay_alu instid0(VALU_DEP_1) | instskip(SKIP_1) | instid1(VALU_DEP_2)
	v_subrev_nc_u32_e32 v16, 28, v15
	v_sub_nc_u32_e32 v15, 29, v15
	v_lshlrev_b64 v[16:17], v16, v[5:6]
	s_delay_alu instid0(VALU_DEP_1)
	v_and_b32_e32 v5, 7, v16
; %bb.464:                              ;   in Loop: Header=BB244_417 Depth=1
	s_or_b32 exec_lo, exec_lo, s14
	v_lshlrev_b32_e32 v16, 16, v46
	s_delay_alu instid0(VALU_DEP_2) | instskip(SKIP_1) | instid1(VALU_DEP_3)
	v_lshlrev_b32_e32 v5, 20, v5
	v_lshl_add_u32 v15, v15, 23, 0x3c000000
	v_and_b32_e32 v16, 0x80000000, v16
	s_delay_alu instid0(VALU_DEP_1)
	v_or3_b32 v16, v5, v16, v15
	v_mov_b32_e32 v15, v6
.LBB244_465:                            ;   in Loop: Header=BB244_417 Depth=1
	s_or_b32 exec_lo, exec_lo, s2
.LBB244_466:                            ;   in Loop: Header=BB244_417 Depth=1
	s_delay_alu instid0(SALU_CYCLE_1)
	s_or_b32 exec_lo, exec_lo, s13
.LBB244_467:                            ;   in Loop: Header=BB244_417 Depth=1
	s_delay_alu instid0(SALU_CYCLE_1) | instskip(SKIP_4) | instid1(VALU_DEP_2)
	s_or_b32 exec_lo, exec_lo, s11
	v_mov_b32_e32 v19, 0
	v_lshrrev_b32_e32 v47, 16, v46
	v_mov_b32_e32 v20, 0
	s_mov_b32 s2, exec_lo
	v_and_b32_e32 v5, 0xff, v47
	s_delay_alu instid0(VALU_DEP_2) | instskip(NEXT) | instid1(VALU_DEP_2)
	v_dual_mov_b32 v17, v19 :: v_dual_mov_b32 v18, v20
	v_cmpx_ne_u16_e32 0, v5
	s_cbranch_execz .LBB244_475
; %bb.468:                              ;   in Loop: Header=BB244_417 Depth=1
	v_bfrev_b32_e32 v17, 1
	v_mov_b32_e32 v18, 0
	s_mov_b32 s11, exec_lo
	v_cmpx_ne_u16_e32 0x80, v5
	s_cbranch_execz .LBB244_474
; %bb.469:                              ;   in Loop: Header=BB244_417 Depth=1
	v_mov_b32_e32 v17, 0x7f800001
	v_bfe_u32 v48, v46, 16, 7
	v_mov_b32_e32 v18, 0
	s_mov_b32 s13, exec_lo
	s_delay_alu instid0(VALU_DEP_2)
	v_cmpx_ne_u32_e32 0x7f, v48
	s_cbranch_execz .LBB244_473
; %bb.470:                              ;   in Loop: Header=BB244_417 Depth=1
	v_and_b32_e32 v5, 7, v47
	v_lshrrev_b32_e32 v17, 3, v48
	s_mov_b32 s14, exec_lo
	v_cmpx_gt_u32_e32 8, v48
; %bb.471:                              ;   in Loop: Header=BB244_417 Depth=1
	s_delay_alu instid0(VALU_DEP_3) | instskip(NEXT) | instid1(VALU_DEP_1)
	v_clz_i32_u32_e32 v17, v5
	v_min_u32_e32 v17, 32, v17
	s_delay_alu instid0(VALU_DEP_1) | instskip(SKIP_1) | instid1(VALU_DEP_2)
	v_subrev_nc_u32_e32 v18, 28, v17
	v_sub_nc_u32_e32 v17, 29, v17
	v_lshlrev_b64 v[50:51], v18, v[5:6]
	s_delay_alu instid0(VALU_DEP_1)
	v_and_b32_e32 v5, 7, v50
; %bb.472:                              ;   in Loop: Header=BB244_417 Depth=1
	s_or_b32 exec_lo, exec_lo, s14
	v_lshlrev_b32_e32 v18, 24, v47
	s_delay_alu instid0(VALU_DEP_2) | instskip(SKIP_1) | instid1(VALU_DEP_3)
	v_lshlrev_b32_e32 v5, 20, v5
	v_lshl_add_u32 v17, v17, 23, 0x3c000000
	v_and_b32_e32 v18, 0x80000000, v18
	s_delay_alu instid0(VALU_DEP_1) | instskip(NEXT) | instid1(VALU_DEP_1)
	v_or3_b32 v5, v5, v18, v17
	v_dual_mov_b32 v18, v6 :: v_dual_mov_b32 v17, v5
.LBB244_473:                            ;   in Loop: Header=BB244_417 Depth=1
	s_or_b32 exec_lo, exec_lo, s13
.LBB244_474:                            ;   in Loop: Header=BB244_417 Depth=1
	s_delay_alu instid0(SALU_CYCLE_1)
	s_or_b32 exec_lo, exec_lo, s11
.LBB244_475:                            ;   in Loop: Header=BB244_417 Depth=1
	s_delay_alu instid0(SALU_CYCLE_1) | instskip(NEXT) | instid1(SALU_CYCLE_1)
	s_or_b32 exec_lo, exec_lo, s2
	s_mov_b32 s11, exec_lo
	v_cmpx_lt_u32_e32 0xffffff, v46
	s_cbranch_execz .LBB244_483
; %bb.476:                              ;   in Loop: Header=BB244_417 Depth=1
	v_lshrrev_b32_e32 v47, 24, v46
	v_dual_mov_b32 v20, s5 :: v_dual_mov_b32 v19, s4
	s_mov_b32 s13, exec_lo
	s_delay_alu instid0(VALU_DEP_2)
	v_cmpx_ne_u32_e32 0x80, v47
	s_cbranch_execz .LBB244_482
; %bb.477:                              ;   in Loop: Header=BB244_417 Depth=1
	s_mov_b32 s2, s4
	v_bfe_u32 v46, v46, 24, 7
	v_dual_mov_b32 v20, s3 :: v_dual_mov_b32 v19, s2
	s_mov_b32 s2, exec_lo
	s_delay_alu instid0(VALU_DEP_2)
	v_cmpx_ne_u32_e32 0x7f, v46
	s_cbranch_execz .LBB244_481
; %bb.478:                              ;   in Loop: Header=BB244_417 Depth=1
	v_and_b32_e32 v5, 7, v47
	v_lshrrev_b32_e32 v19, 3, v46
	s_mov_b32 s14, exec_lo
	v_cmpx_gt_u32_e32 8, v46
; %bb.479:                              ;   in Loop: Header=BB244_417 Depth=1
	s_delay_alu instid0(VALU_DEP_3) | instskip(NEXT) | instid1(VALU_DEP_1)
	v_clz_i32_u32_e32 v19, v5
	v_min_u32_e32 v19, 32, v19
	s_delay_alu instid0(VALU_DEP_1) | instskip(SKIP_1) | instid1(VALU_DEP_2)
	v_subrev_nc_u32_e32 v20, 28, v19
	v_sub_nc_u32_e32 v19, 29, v19
	v_lshlrev_b64 v[50:51], v20, v[5:6]
	s_delay_alu instid0(VALU_DEP_1)
	v_and_b32_e32 v5, 7, v50
; %bb.480:                              ;   in Loop: Header=BB244_417 Depth=1
	s_or_b32 exec_lo, exec_lo, s14
	v_lshlrev_b32_e32 v20, 24, v47
	s_delay_alu instid0(VALU_DEP_2) | instskip(SKIP_1) | instid1(VALU_DEP_3)
	v_lshlrev_b32_e32 v5, 20, v5
	v_lshl_add_u32 v19, v19, 23, 0x3c000000
	v_and_b32_e32 v20, 0x80000000, v20
	s_delay_alu instid0(VALU_DEP_1)
	v_or3_b32 v20, v5, v20, v19
	v_mov_b32_e32 v19, v6
.LBB244_481:                            ;   in Loop: Header=BB244_417 Depth=1
	s_or_b32 exec_lo, exec_lo, s2
.LBB244_482:                            ;   in Loop: Header=BB244_417 Depth=1
	s_delay_alu instid0(SALU_CYCLE_1)
	s_or_b32 exec_lo, exec_lo, s13
.LBB244_483:                            ;   in Loop: Header=BB244_417 Depth=1
	s_delay_alu instid0(SALU_CYCLE_1) | instskip(SKIP_4) | instid1(VALU_DEP_4)
	s_or_b32 exec_lo, exec_lo, s11
	v_or_b32_e32 v5, v16, v14
	v_or_b32_e32 v13, v15, v13
	;; [unrolled: 1-line block ×4, first 2 shown]
	v_mul_f32_e32 v50, s9, v5
	s_delay_alu instid0(VALU_DEP_4) | instskip(NEXT) | instid1(VALU_DEP_3)
	v_mul_f32_e32 v48, s7, v13
	v_dual_mul_f32 v46, s9, v14 :: v_dual_mul_f32 v47, s7, v15
	s_and_saveexec_b32 s2, vcc_lo
; %bb.484:                              ;   in Loop: Header=BB244_417 Depth=1
	v_cmp_gt_i32_e64 s0, s33, v43
	s_delay_alu instid0(VALU_DEP_1) | instskip(SKIP_1) | instid1(VALU_DEP_1)
	v_cndmask_b32_e64 v48, 0, v48, s0
	v_cmp_gt_i32_e64 s0, s33, v45
	v_cndmask_b32_e64 v50, 0, v50, s0
	v_cmp_gt_i32_e64 s0, s33, v44
	s_delay_alu instid0(VALU_DEP_1) | instskip(SKIP_1) | instid1(VALU_DEP_1)
	v_cndmask_b32_e64 v47, 0, v47, s0
	v_cmp_gt_i32_e64 s0, s33, v37
	v_cndmask_b32_e64 v46, 0, v46, s0
; %bb.485:                              ;   in Loop: Header=BB244_417 Depth=1
	s_or_b32 exec_lo, exec_lo, s2
	global_load_b32 v51, v[11:12], off offset:256
	v_mov_b32_e32 v15, 0
	v_mov_b32_e32 v16, 0
	s_mov_b32 s2, exec_lo
	s_waitcnt vmcnt(0)
	v_and_b32_e32 v5, 0xff, v51
	s_delay_alu instid0(VALU_DEP_2) | instskip(NEXT) | instid1(VALU_DEP_2)
	v_dual_mov_b32 v13, v15 :: v_dual_mov_b32 v14, v16
	v_cmpx_ne_u16_e32 0, v5
	s_cbranch_execz .LBB244_493
; %bb.486:                              ;   in Loop: Header=BB244_417 Depth=1
	v_bfrev_b32_e32 v13, 1
	v_mov_b32_e32 v14, 0
	s_mov_b32 s11, exec_lo
	v_cmpx_ne_u16_e32 0x80, v5
	s_cbranch_execz .LBB244_492
; %bb.487:                              ;   in Loop: Header=BB244_417 Depth=1
	v_mov_b32_e32 v13, 0x7f800001
	v_dual_mov_b32 v14, 0 :: v_dual_and_b32 v17, 0x7f, v51
	s_mov_b32 s13, exec_lo
	s_delay_alu instid0(VALU_DEP_1)
	v_cmpx_ne_u32_e32 0x7f, v17
	s_cbranch_execz .LBB244_491
; %bb.488:                              ;   in Loop: Header=BB244_417 Depth=1
	v_and_b32_e32 v5, 7, v51
	v_lshrrev_b32_e32 v13, 3, v17
	s_mov_b32 s14, exec_lo
	v_cmpx_gt_u32_e32 8, v17
; %bb.489:                              ;   in Loop: Header=BB244_417 Depth=1
	s_delay_alu instid0(VALU_DEP_3) | instskip(NEXT) | instid1(VALU_DEP_1)
	v_clz_i32_u32_e32 v13, v5
	v_min_u32_e32 v13, 32, v13
	s_delay_alu instid0(VALU_DEP_1) | instskip(SKIP_1) | instid1(VALU_DEP_2)
	v_subrev_nc_u32_e32 v14, 28, v13
	v_sub_nc_u32_e32 v13, 29, v13
	v_lshlrev_b64 v[17:18], v14, v[5:6]
	s_delay_alu instid0(VALU_DEP_1)
	v_and_b32_e32 v5, 7, v17
; %bb.490:                              ;   in Loop: Header=BB244_417 Depth=1
	s_or_b32 exec_lo, exec_lo, s14
	v_lshlrev_b32_e32 v14, 24, v51
	s_delay_alu instid0(VALU_DEP_2) | instskip(SKIP_1) | instid1(VALU_DEP_3)
	v_lshlrev_b32_e32 v5, 20, v5
	v_lshl_add_u32 v13, v13, 23, 0x3c000000
	v_and_b32_e32 v14, 0x80000000, v14
	s_delay_alu instid0(VALU_DEP_1) | instskip(NEXT) | instid1(VALU_DEP_1)
	v_or3_b32 v5, v5, v14, v13
	v_dual_mov_b32 v14, v6 :: v_dual_mov_b32 v13, v5
.LBB244_491:                            ;   in Loop: Header=BB244_417 Depth=1
	s_or_b32 exec_lo, exec_lo, s13
.LBB244_492:                            ;   in Loop: Header=BB244_417 Depth=1
	s_delay_alu instid0(SALU_CYCLE_1)
	s_or_b32 exec_lo, exec_lo, s11
.LBB244_493:                            ;   in Loop: Header=BB244_417 Depth=1
	s_delay_alu instid0(SALU_CYCLE_1) | instskip(SKIP_2) | instid1(VALU_DEP_1)
	s_or_b32 exec_lo, exec_lo, s2
	v_lshrrev_b16 v5, 8, v51
	s_mov_b32 s11, exec_lo
	v_cmpx_ne_u16_e32 0, v5
	s_cbranch_execz .LBB244_501
; %bb.494:                              ;   in Loop: Header=BB244_417 Depth=1
	v_dual_mov_b32 v16, s5 :: v_dual_mov_b32 v15, s4
	s_mov_b32 s13, exec_lo
	v_cmpx_ne_u16_e32 0x80, v5
	s_cbranch_execz .LBB244_500
; %bb.495:                              ;   in Loop: Header=BB244_417 Depth=1
	s_mov_b32 s2, s4
	v_dual_mov_b32 v16, s3 :: v_dual_and_b32 v5, 0xffff, v5
	v_mov_b32_e32 v15, s2
	s_mov_b32 s2, exec_lo
	s_delay_alu instid0(VALU_DEP_2) | instskip(NEXT) | instid1(VALU_DEP_1)
	v_and_b32_e32 v17, 0x7f, v5
	v_cmpx_ne_u32_e32 0x7f, v17
	s_cbranch_execz .LBB244_499
; %bb.496:                              ;   in Loop: Header=BB244_417 Depth=1
	v_and_b32_e32 v5, 7, v5
	v_lshrrev_b32_e32 v15, 3, v17
	s_mov_b32 s14, exec_lo
	v_cmpx_gt_u32_e32 8, v17
; %bb.497:                              ;   in Loop: Header=BB244_417 Depth=1
	s_delay_alu instid0(VALU_DEP_3) | instskip(NEXT) | instid1(VALU_DEP_1)
	v_clz_i32_u32_e32 v15, v5
	v_min_u32_e32 v15, 32, v15
	s_delay_alu instid0(VALU_DEP_1) | instskip(SKIP_1) | instid1(VALU_DEP_2)
	v_subrev_nc_u32_e32 v16, 28, v15
	v_sub_nc_u32_e32 v15, 29, v15
	v_lshlrev_b64 v[16:17], v16, v[5:6]
	s_delay_alu instid0(VALU_DEP_1)
	v_and_b32_e32 v5, 7, v16
; %bb.498:                              ;   in Loop: Header=BB244_417 Depth=1
	s_or_b32 exec_lo, exec_lo, s14
	v_lshlrev_b32_e32 v16, 16, v51
	s_delay_alu instid0(VALU_DEP_2) | instskip(SKIP_1) | instid1(VALU_DEP_3)
	v_lshlrev_b32_e32 v5, 20, v5
	v_lshl_add_u32 v15, v15, 23, 0x3c000000
	v_and_b32_e32 v16, 0x80000000, v16
	s_delay_alu instid0(VALU_DEP_1)
	v_or3_b32 v16, v5, v16, v15
	v_mov_b32_e32 v15, v6
.LBB244_499:                            ;   in Loop: Header=BB244_417 Depth=1
	s_or_b32 exec_lo, exec_lo, s2
.LBB244_500:                            ;   in Loop: Header=BB244_417 Depth=1
	s_delay_alu instid0(SALU_CYCLE_1)
	s_or_b32 exec_lo, exec_lo, s13
.LBB244_501:                            ;   in Loop: Header=BB244_417 Depth=1
	s_delay_alu instid0(SALU_CYCLE_1) | instskip(SKIP_4) | instid1(VALU_DEP_2)
	s_or_b32 exec_lo, exec_lo, s11
	v_mov_b32_e32 v19, 0
	v_lshrrev_b32_e32 v52, 16, v51
	v_mov_b32_e32 v20, 0
	s_mov_b32 s2, exec_lo
	v_and_b32_e32 v5, 0xff, v52
	s_delay_alu instid0(VALU_DEP_2) | instskip(NEXT) | instid1(VALU_DEP_2)
	v_dual_mov_b32 v17, v19 :: v_dual_mov_b32 v18, v20
	v_cmpx_ne_u16_e32 0, v5
	s_cbranch_execz .LBB244_509
; %bb.502:                              ;   in Loop: Header=BB244_417 Depth=1
	v_bfrev_b32_e32 v17, 1
	v_mov_b32_e32 v18, 0
	s_mov_b32 s11, exec_lo
	v_cmpx_ne_u16_e32 0x80, v5
	s_cbranch_execz .LBB244_508
; %bb.503:                              ;   in Loop: Header=BB244_417 Depth=1
	v_mov_b32_e32 v17, 0x7f800001
	v_bfe_u32 v53, v51, 16, 7
	v_mov_b32_e32 v18, 0
	s_mov_b32 s13, exec_lo
	s_delay_alu instid0(VALU_DEP_2)
	v_cmpx_ne_u32_e32 0x7f, v53
	s_cbranch_execz .LBB244_507
; %bb.504:                              ;   in Loop: Header=BB244_417 Depth=1
	v_and_b32_e32 v5, 7, v52
	v_lshrrev_b32_e32 v17, 3, v53
	s_mov_b32 s14, exec_lo
	v_cmpx_gt_u32_e32 8, v53
; %bb.505:                              ;   in Loop: Header=BB244_417 Depth=1
	s_delay_alu instid0(VALU_DEP_3) | instskip(NEXT) | instid1(VALU_DEP_1)
	v_clz_i32_u32_e32 v17, v5
	v_min_u32_e32 v17, 32, v17
	s_delay_alu instid0(VALU_DEP_1) | instskip(SKIP_1) | instid1(VALU_DEP_2)
	v_subrev_nc_u32_e32 v18, 28, v17
	v_sub_nc_u32_e32 v17, 29, v17
	v_lshlrev_b64 v[53:54], v18, v[5:6]
	s_delay_alu instid0(VALU_DEP_1)
	v_and_b32_e32 v5, 7, v53
; %bb.506:                              ;   in Loop: Header=BB244_417 Depth=1
	s_or_b32 exec_lo, exec_lo, s14
	v_lshlrev_b32_e32 v18, 24, v52
	s_delay_alu instid0(VALU_DEP_2) | instskip(SKIP_1) | instid1(VALU_DEP_3)
	v_lshlrev_b32_e32 v5, 20, v5
	v_lshl_add_u32 v17, v17, 23, 0x3c000000
	v_and_b32_e32 v18, 0x80000000, v18
	s_delay_alu instid0(VALU_DEP_1) | instskip(NEXT) | instid1(VALU_DEP_1)
	v_or3_b32 v5, v5, v18, v17
	v_dual_mov_b32 v18, v6 :: v_dual_mov_b32 v17, v5
.LBB244_507:                            ;   in Loop: Header=BB244_417 Depth=1
	s_or_b32 exec_lo, exec_lo, s13
.LBB244_508:                            ;   in Loop: Header=BB244_417 Depth=1
	s_delay_alu instid0(SALU_CYCLE_1)
	s_or_b32 exec_lo, exec_lo, s11
.LBB244_509:                            ;   in Loop: Header=BB244_417 Depth=1
	s_delay_alu instid0(SALU_CYCLE_1) | instskip(NEXT) | instid1(SALU_CYCLE_1)
	s_or_b32 exec_lo, exec_lo, s2
	s_mov_b32 s11, exec_lo
	v_cmpx_lt_u32_e32 0xffffff, v51
	s_cbranch_execz .LBB244_517
; %bb.510:                              ;   in Loop: Header=BB244_417 Depth=1
	v_lshrrev_b32_e32 v52, 24, v51
	v_dual_mov_b32 v20, s5 :: v_dual_mov_b32 v19, s4
	s_mov_b32 s13, exec_lo
	s_delay_alu instid0(VALU_DEP_2)
	v_cmpx_ne_u32_e32 0x80, v52
	s_cbranch_execz .LBB244_516
; %bb.511:                              ;   in Loop: Header=BB244_417 Depth=1
	s_mov_b32 s2, s4
	v_bfe_u32 v51, v51, 24, 7
	v_dual_mov_b32 v20, s3 :: v_dual_mov_b32 v19, s2
	s_mov_b32 s2, exec_lo
	s_delay_alu instid0(VALU_DEP_2)
	v_cmpx_ne_u32_e32 0x7f, v51
	s_cbranch_execz .LBB244_515
; %bb.512:                              ;   in Loop: Header=BB244_417 Depth=1
	v_and_b32_e32 v5, 7, v52
	v_lshrrev_b32_e32 v19, 3, v51
	s_mov_b32 s14, exec_lo
	v_cmpx_gt_u32_e32 8, v51
; %bb.513:                              ;   in Loop: Header=BB244_417 Depth=1
	s_delay_alu instid0(VALU_DEP_3) | instskip(NEXT) | instid1(VALU_DEP_1)
	v_clz_i32_u32_e32 v19, v5
	v_min_u32_e32 v19, 32, v19
	s_delay_alu instid0(VALU_DEP_1) | instskip(SKIP_1) | instid1(VALU_DEP_2)
	v_subrev_nc_u32_e32 v20, 28, v19
	v_sub_nc_u32_e32 v19, 29, v19
	v_lshlrev_b64 v[53:54], v20, v[5:6]
	s_delay_alu instid0(VALU_DEP_1)
	v_and_b32_e32 v5, 7, v53
; %bb.514:                              ;   in Loop: Header=BB244_417 Depth=1
	s_or_b32 exec_lo, exec_lo, s14
	v_lshlrev_b32_e32 v20, 24, v52
	s_delay_alu instid0(VALU_DEP_2) | instskip(SKIP_1) | instid1(VALU_DEP_3)
	v_lshlrev_b32_e32 v5, 20, v5
	v_lshl_add_u32 v19, v19, 23, 0x3c000000
	v_and_b32_e32 v20, 0x80000000, v20
	s_delay_alu instid0(VALU_DEP_1)
	v_or3_b32 v20, v5, v20, v19
	v_mov_b32_e32 v19, v6
.LBB244_515:                            ;   in Loop: Header=BB244_417 Depth=1
	s_or_b32 exec_lo, exec_lo, s2
.LBB244_516:                            ;   in Loop: Header=BB244_417 Depth=1
	s_delay_alu instid0(SALU_CYCLE_1)
	s_or_b32 exec_lo, exec_lo, s13
.LBB244_517:                            ;   in Loop: Header=BB244_417 Depth=1
	s_delay_alu instid0(SALU_CYCLE_1) | instskip(SKIP_4) | instid1(VALU_DEP_4)
	s_or_b32 exec_lo, exec_lo, s11
	v_or_b32_e32 v5, v16, v14
	v_or_b32_e32 v13, v15, v13
	;; [unrolled: 1-line block ×4, first 2 shown]
	v_mul_f32_e32 v54, s9, v5
	s_delay_alu instid0(VALU_DEP_4) | instskip(NEXT) | instid1(VALU_DEP_3)
	v_mul_f32_e32 v53, s7, v13
	v_dual_mul_f32 v51, s9, v14 :: v_dual_mul_f32 v52, s7, v15
	s_and_saveexec_b32 s2, vcc_lo
; %bb.518:                              ;   in Loop: Header=BB244_417 Depth=1
	v_cmp_gt_i32_e64 s0, s33, v43
	s_delay_alu instid0(VALU_DEP_1) | instskip(SKIP_1) | instid1(VALU_DEP_1)
	v_cndmask_b32_e64 v53, 0, v53, s0
	v_cmp_gt_i32_e64 s0, s33, v45
	v_cndmask_b32_e64 v54, 0, v54, s0
	v_cmp_gt_i32_e64 s0, s33, v44
	s_delay_alu instid0(VALU_DEP_1) | instskip(SKIP_1) | instid1(VALU_DEP_1)
	v_cndmask_b32_e64 v52, 0, v52, s0
	v_cmp_gt_i32_e64 s0, s33, v37
	v_cndmask_b32_e64 v51, 0, v51, s0
; %bb.519:                              ;   in Loop: Header=BB244_417 Depth=1
	s_or_b32 exec_lo, exec_lo, s2
	global_load_b32 v55, v[11:12], off offset:384
	v_mov_b32_e32 v15, 0
	v_mov_b32_e32 v16, 0
	s_mov_b32 s2, exec_lo
	s_waitcnt vmcnt(0)
	v_and_b32_e32 v5, 0xff, v55
	s_delay_alu instid0(VALU_DEP_2) | instskip(NEXT) | instid1(VALU_DEP_2)
	v_dual_mov_b32 v13, v15 :: v_dual_mov_b32 v14, v16
	v_cmpx_ne_u16_e32 0, v5
	s_cbranch_execz .LBB244_527
; %bb.520:                              ;   in Loop: Header=BB244_417 Depth=1
	v_bfrev_b32_e32 v13, 1
	v_mov_b32_e32 v14, 0
	s_mov_b32 s11, exec_lo
	v_cmpx_ne_u16_e32 0x80, v5
	s_cbranch_execz .LBB244_526
; %bb.521:                              ;   in Loop: Header=BB244_417 Depth=1
	v_mov_b32_e32 v13, 0x7f800001
	v_dual_mov_b32 v14, 0 :: v_dual_and_b32 v17, 0x7f, v55
	s_mov_b32 s13, exec_lo
	s_delay_alu instid0(VALU_DEP_1)
	v_cmpx_ne_u32_e32 0x7f, v17
	s_cbranch_execz .LBB244_525
; %bb.522:                              ;   in Loop: Header=BB244_417 Depth=1
	v_and_b32_e32 v5, 7, v55
	v_lshrrev_b32_e32 v13, 3, v17
	s_mov_b32 s14, exec_lo
	v_cmpx_gt_u32_e32 8, v17
; %bb.523:                              ;   in Loop: Header=BB244_417 Depth=1
	s_delay_alu instid0(VALU_DEP_3) | instskip(NEXT) | instid1(VALU_DEP_1)
	v_clz_i32_u32_e32 v13, v5
	v_min_u32_e32 v13, 32, v13
	s_delay_alu instid0(VALU_DEP_1) | instskip(SKIP_1) | instid1(VALU_DEP_2)
	v_subrev_nc_u32_e32 v14, 28, v13
	v_sub_nc_u32_e32 v13, 29, v13
	v_lshlrev_b64 v[17:18], v14, v[5:6]
	s_delay_alu instid0(VALU_DEP_1)
	v_and_b32_e32 v5, 7, v17
; %bb.524:                              ;   in Loop: Header=BB244_417 Depth=1
	s_or_b32 exec_lo, exec_lo, s14
	v_lshlrev_b32_e32 v14, 24, v55
	s_delay_alu instid0(VALU_DEP_2) | instskip(SKIP_1) | instid1(VALU_DEP_3)
	v_lshlrev_b32_e32 v5, 20, v5
	v_lshl_add_u32 v13, v13, 23, 0x3c000000
	v_and_b32_e32 v14, 0x80000000, v14
	s_delay_alu instid0(VALU_DEP_1) | instskip(NEXT) | instid1(VALU_DEP_1)
	v_or3_b32 v5, v5, v14, v13
	v_dual_mov_b32 v14, v6 :: v_dual_mov_b32 v13, v5
.LBB244_525:                            ;   in Loop: Header=BB244_417 Depth=1
	s_or_b32 exec_lo, exec_lo, s13
.LBB244_526:                            ;   in Loop: Header=BB244_417 Depth=1
	s_delay_alu instid0(SALU_CYCLE_1)
	s_or_b32 exec_lo, exec_lo, s11
.LBB244_527:                            ;   in Loop: Header=BB244_417 Depth=1
	s_delay_alu instid0(SALU_CYCLE_1) | instskip(SKIP_2) | instid1(VALU_DEP_1)
	s_or_b32 exec_lo, exec_lo, s2
	v_lshrrev_b16 v5, 8, v55
	s_mov_b32 s11, exec_lo
	v_cmpx_ne_u16_e32 0, v5
	s_cbranch_execz .LBB244_535
; %bb.528:                              ;   in Loop: Header=BB244_417 Depth=1
	v_dual_mov_b32 v16, s5 :: v_dual_mov_b32 v15, s4
	s_mov_b32 s13, exec_lo
	v_cmpx_ne_u16_e32 0x80, v5
	s_cbranch_execz .LBB244_534
; %bb.529:                              ;   in Loop: Header=BB244_417 Depth=1
	s_mov_b32 s2, s4
	v_dual_mov_b32 v16, s3 :: v_dual_and_b32 v5, 0xffff, v5
	v_mov_b32_e32 v15, s2
	s_mov_b32 s2, exec_lo
	s_delay_alu instid0(VALU_DEP_2) | instskip(NEXT) | instid1(VALU_DEP_1)
	v_and_b32_e32 v17, 0x7f, v5
	v_cmpx_ne_u32_e32 0x7f, v17
	s_cbranch_execz .LBB244_533
; %bb.530:                              ;   in Loop: Header=BB244_417 Depth=1
	v_and_b32_e32 v5, 7, v5
	v_lshrrev_b32_e32 v15, 3, v17
	s_mov_b32 s14, exec_lo
	v_cmpx_gt_u32_e32 8, v17
; %bb.531:                              ;   in Loop: Header=BB244_417 Depth=1
	s_delay_alu instid0(VALU_DEP_3) | instskip(NEXT) | instid1(VALU_DEP_1)
	v_clz_i32_u32_e32 v15, v5
	v_min_u32_e32 v15, 32, v15
	s_delay_alu instid0(VALU_DEP_1) | instskip(SKIP_1) | instid1(VALU_DEP_2)
	v_subrev_nc_u32_e32 v16, 28, v15
	v_sub_nc_u32_e32 v15, 29, v15
	v_lshlrev_b64 v[16:17], v16, v[5:6]
	s_delay_alu instid0(VALU_DEP_1)
	v_and_b32_e32 v5, 7, v16
; %bb.532:                              ;   in Loop: Header=BB244_417 Depth=1
	s_or_b32 exec_lo, exec_lo, s14
	v_lshlrev_b32_e32 v16, 16, v55
	s_delay_alu instid0(VALU_DEP_2) | instskip(SKIP_1) | instid1(VALU_DEP_3)
	v_lshlrev_b32_e32 v5, 20, v5
	v_lshl_add_u32 v15, v15, 23, 0x3c000000
	v_and_b32_e32 v16, 0x80000000, v16
	s_delay_alu instid0(VALU_DEP_1)
	v_or3_b32 v16, v5, v16, v15
	v_mov_b32_e32 v15, v6
.LBB244_533:                            ;   in Loop: Header=BB244_417 Depth=1
	s_or_b32 exec_lo, exec_lo, s2
.LBB244_534:                            ;   in Loop: Header=BB244_417 Depth=1
	s_delay_alu instid0(SALU_CYCLE_1)
	s_or_b32 exec_lo, exec_lo, s13
.LBB244_535:                            ;   in Loop: Header=BB244_417 Depth=1
	s_delay_alu instid0(SALU_CYCLE_1) | instskip(SKIP_4) | instid1(VALU_DEP_2)
	s_or_b32 exec_lo, exec_lo, s11
	v_mov_b32_e32 v19, 0
	v_lshrrev_b32_e32 v56, 16, v55
	v_mov_b32_e32 v20, 0
	s_mov_b32 s2, exec_lo
	v_and_b32_e32 v5, 0xff, v56
	s_delay_alu instid0(VALU_DEP_2) | instskip(NEXT) | instid1(VALU_DEP_2)
	v_dual_mov_b32 v17, v19 :: v_dual_mov_b32 v18, v20
	v_cmpx_ne_u16_e32 0, v5
	s_cbranch_execz .LBB244_543
; %bb.536:                              ;   in Loop: Header=BB244_417 Depth=1
	v_bfrev_b32_e32 v17, 1
	v_mov_b32_e32 v18, 0
	s_mov_b32 s11, exec_lo
	v_cmpx_ne_u16_e32 0x80, v5
	s_cbranch_execz .LBB244_542
; %bb.537:                              ;   in Loop: Header=BB244_417 Depth=1
	v_mov_b32_e32 v17, 0x7f800001
	v_bfe_u32 v57, v55, 16, 7
	v_mov_b32_e32 v18, 0
	s_mov_b32 s13, exec_lo
	s_delay_alu instid0(VALU_DEP_2)
	v_cmpx_ne_u32_e32 0x7f, v57
	s_cbranch_execz .LBB244_541
; %bb.538:                              ;   in Loop: Header=BB244_417 Depth=1
	v_and_b32_e32 v5, 7, v56
	v_lshrrev_b32_e32 v17, 3, v57
	s_mov_b32 s14, exec_lo
	v_cmpx_gt_u32_e32 8, v57
; %bb.539:                              ;   in Loop: Header=BB244_417 Depth=1
	s_delay_alu instid0(VALU_DEP_3) | instskip(NEXT) | instid1(VALU_DEP_1)
	v_clz_i32_u32_e32 v17, v5
	v_min_u32_e32 v17, 32, v17
	s_delay_alu instid0(VALU_DEP_1) | instskip(SKIP_1) | instid1(VALU_DEP_2)
	v_subrev_nc_u32_e32 v18, 28, v17
	v_sub_nc_u32_e32 v17, 29, v17
	v_lshlrev_b64 v[57:58], v18, v[5:6]
	s_delay_alu instid0(VALU_DEP_1)
	v_and_b32_e32 v5, 7, v57
; %bb.540:                              ;   in Loop: Header=BB244_417 Depth=1
	s_or_b32 exec_lo, exec_lo, s14
	v_lshlrev_b32_e32 v18, 24, v56
	s_delay_alu instid0(VALU_DEP_2) | instskip(SKIP_1) | instid1(VALU_DEP_3)
	v_lshlrev_b32_e32 v5, 20, v5
	v_lshl_add_u32 v17, v17, 23, 0x3c000000
	v_and_b32_e32 v18, 0x80000000, v18
	s_delay_alu instid0(VALU_DEP_1) | instskip(NEXT) | instid1(VALU_DEP_1)
	v_or3_b32 v5, v5, v18, v17
	v_dual_mov_b32 v18, v6 :: v_dual_mov_b32 v17, v5
.LBB244_541:                            ;   in Loop: Header=BB244_417 Depth=1
	s_or_b32 exec_lo, exec_lo, s13
.LBB244_542:                            ;   in Loop: Header=BB244_417 Depth=1
	s_delay_alu instid0(SALU_CYCLE_1)
	s_or_b32 exec_lo, exec_lo, s11
.LBB244_543:                            ;   in Loop: Header=BB244_417 Depth=1
	s_delay_alu instid0(SALU_CYCLE_1) | instskip(NEXT) | instid1(SALU_CYCLE_1)
	s_or_b32 exec_lo, exec_lo, s2
	s_mov_b32 s11, exec_lo
	v_cmpx_lt_u32_e32 0xffffff, v55
	s_cbranch_execz .LBB244_551
; %bb.544:                              ;   in Loop: Header=BB244_417 Depth=1
	v_lshrrev_b32_e32 v56, 24, v55
	v_dual_mov_b32 v20, s5 :: v_dual_mov_b32 v19, s4
	s_mov_b32 s13, exec_lo
	s_delay_alu instid0(VALU_DEP_2)
	v_cmpx_ne_u32_e32 0x80, v56
	s_cbranch_execz .LBB244_550
; %bb.545:                              ;   in Loop: Header=BB244_417 Depth=1
	s_mov_b32 s2, s4
	v_bfe_u32 v55, v55, 24, 7
	v_dual_mov_b32 v20, s3 :: v_dual_mov_b32 v19, s2
	s_mov_b32 s2, exec_lo
	s_delay_alu instid0(VALU_DEP_2)
	v_cmpx_ne_u32_e32 0x7f, v55
	s_cbranch_execz .LBB244_549
; %bb.546:                              ;   in Loop: Header=BB244_417 Depth=1
	v_and_b32_e32 v5, 7, v56
	v_lshrrev_b32_e32 v19, 3, v55
	s_mov_b32 s14, exec_lo
	v_cmpx_gt_u32_e32 8, v55
; %bb.547:                              ;   in Loop: Header=BB244_417 Depth=1
	s_delay_alu instid0(VALU_DEP_3) | instskip(NEXT) | instid1(VALU_DEP_1)
	v_clz_i32_u32_e32 v19, v5
	v_min_u32_e32 v19, 32, v19
	s_delay_alu instid0(VALU_DEP_1) | instskip(SKIP_1) | instid1(VALU_DEP_2)
	v_subrev_nc_u32_e32 v20, 28, v19
	v_sub_nc_u32_e32 v19, 29, v19
	v_lshlrev_b64 v[57:58], v20, v[5:6]
	s_delay_alu instid0(VALU_DEP_1)
	v_and_b32_e32 v5, 7, v57
; %bb.548:                              ;   in Loop: Header=BB244_417 Depth=1
	s_or_b32 exec_lo, exec_lo, s14
	v_lshlrev_b32_e32 v20, 24, v56
	s_delay_alu instid0(VALU_DEP_2) | instskip(SKIP_1) | instid1(VALU_DEP_3)
	v_lshlrev_b32_e32 v5, 20, v5
	v_lshl_add_u32 v19, v19, 23, 0x3c000000
	v_and_b32_e32 v20, 0x80000000, v20
	s_delay_alu instid0(VALU_DEP_1)
	v_or3_b32 v20, v5, v20, v19
	v_mov_b32_e32 v19, v6
.LBB244_549:                            ;   in Loop: Header=BB244_417 Depth=1
	s_or_b32 exec_lo, exec_lo, s2
.LBB244_550:                            ;   in Loop: Header=BB244_417 Depth=1
	s_delay_alu instid0(SALU_CYCLE_1)
	s_or_b32 exec_lo, exec_lo, s13
.LBB244_551:                            ;   in Loop: Header=BB244_417 Depth=1
	s_delay_alu instid0(SALU_CYCLE_1) | instskip(SKIP_4) | instid1(VALU_DEP_4)
	s_or_b32 exec_lo, exec_lo, s11
	v_or_b32_e32 v5, v16, v14
	v_or_b32_e32 v13, v15, v13
	;; [unrolled: 1-line block ×4, first 2 shown]
	v_mul_f32_e32 v58, s9, v5
	s_delay_alu instid0(VALU_DEP_4) | instskip(NEXT) | instid1(VALU_DEP_3)
	v_mul_f32_e32 v57, s7, v13
	v_dual_mul_f32 v55, s9, v14 :: v_dual_mul_f32 v56, s7, v15
	s_and_saveexec_b32 s2, vcc_lo
; %bb.552:                              ;   in Loop: Header=BB244_417 Depth=1
	v_cmp_gt_i32_e64 s0, s33, v43
	s_delay_alu instid0(VALU_DEP_1) | instskip(SKIP_1) | instid1(VALU_DEP_1)
	v_cndmask_b32_e64 v57, 0, v57, s0
	v_cmp_gt_i32_e64 s0, s33, v45
	v_cndmask_b32_e64 v58, 0, v58, s0
	v_cmp_gt_i32_e64 s0, s33, v44
	s_delay_alu instid0(VALU_DEP_1) | instskip(SKIP_1) | instid1(VALU_DEP_1)
	v_cndmask_b32_e64 v56, 0, v56, s0
	v_cmp_gt_i32_e64 s0, s33, v37
	v_cndmask_b32_e64 v55, 0, v55, s0
; %bb.553:                              ;   in Loop: Header=BB244_417 Depth=1
	s_or_b32 exec_lo, exec_lo, s2
	global_load_b32 v59, v[11:12], off offset:512
	v_mov_b32_e32 v15, 0
	v_mov_b32_e32 v16, 0
	s_mov_b32 s2, exec_lo
	s_waitcnt vmcnt(0)
	v_and_b32_e32 v5, 0xff, v59
	s_delay_alu instid0(VALU_DEP_2) | instskip(NEXT) | instid1(VALU_DEP_2)
	v_dual_mov_b32 v13, v15 :: v_dual_mov_b32 v14, v16
	v_cmpx_ne_u16_e32 0, v5
	s_cbranch_execz .LBB244_561
; %bb.554:                              ;   in Loop: Header=BB244_417 Depth=1
	v_bfrev_b32_e32 v13, 1
	v_mov_b32_e32 v14, 0
	s_mov_b32 s11, exec_lo
	v_cmpx_ne_u16_e32 0x80, v5
	s_cbranch_execz .LBB244_560
; %bb.555:                              ;   in Loop: Header=BB244_417 Depth=1
	v_mov_b32_e32 v13, 0x7f800001
	v_dual_mov_b32 v14, 0 :: v_dual_and_b32 v17, 0x7f, v59
	s_mov_b32 s13, exec_lo
	s_delay_alu instid0(VALU_DEP_1)
	v_cmpx_ne_u32_e32 0x7f, v17
	s_cbranch_execz .LBB244_559
; %bb.556:                              ;   in Loop: Header=BB244_417 Depth=1
	v_and_b32_e32 v5, 7, v59
	v_lshrrev_b32_e32 v13, 3, v17
	s_mov_b32 s14, exec_lo
	v_cmpx_gt_u32_e32 8, v17
; %bb.557:                              ;   in Loop: Header=BB244_417 Depth=1
	s_delay_alu instid0(VALU_DEP_3) | instskip(NEXT) | instid1(VALU_DEP_1)
	v_clz_i32_u32_e32 v13, v5
	v_min_u32_e32 v13, 32, v13
	s_delay_alu instid0(VALU_DEP_1) | instskip(SKIP_1) | instid1(VALU_DEP_2)
	v_subrev_nc_u32_e32 v14, 28, v13
	v_sub_nc_u32_e32 v13, 29, v13
	v_lshlrev_b64 v[17:18], v14, v[5:6]
	s_delay_alu instid0(VALU_DEP_1)
	v_and_b32_e32 v5, 7, v17
; %bb.558:                              ;   in Loop: Header=BB244_417 Depth=1
	s_or_b32 exec_lo, exec_lo, s14
	v_lshlrev_b32_e32 v14, 24, v59
	s_delay_alu instid0(VALU_DEP_2) | instskip(SKIP_1) | instid1(VALU_DEP_3)
	v_lshlrev_b32_e32 v5, 20, v5
	v_lshl_add_u32 v13, v13, 23, 0x3c000000
	v_and_b32_e32 v14, 0x80000000, v14
	s_delay_alu instid0(VALU_DEP_1) | instskip(NEXT) | instid1(VALU_DEP_1)
	v_or3_b32 v5, v5, v14, v13
	v_dual_mov_b32 v14, v6 :: v_dual_mov_b32 v13, v5
.LBB244_559:                            ;   in Loop: Header=BB244_417 Depth=1
	s_or_b32 exec_lo, exec_lo, s13
.LBB244_560:                            ;   in Loop: Header=BB244_417 Depth=1
	s_delay_alu instid0(SALU_CYCLE_1)
	s_or_b32 exec_lo, exec_lo, s11
.LBB244_561:                            ;   in Loop: Header=BB244_417 Depth=1
	s_delay_alu instid0(SALU_CYCLE_1) | instskip(SKIP_2) | instid1(VALU_DEP_1)
	s_or_b32 exec_lo, exec_lo, s2
	v_lshrrev_b16 v5, 8, v59
	s_mov_b32 s11, exec_lo
	v_cmpx_ne_u16_e32 0, v5
	s_cbranch_execz .LBB244_569
; %bb.562:                              ;   in Loop: Header=BB244_417 Depth=1
	v_dual_mov_b32 v16, s5 :: v_dual_mov_b32 v15, s4
	s_mov_b32 s13, exec_lo
	v_cmpx_ne_u16_e32 0x80, v5
	s_cbranch_execz .LBB244_568
; %bb.563:                              ;   in Loop: Header=BB244_417 Depth=1
	s_mov_b32 s2, s4
	v_dual_mov_b32 v16, s3 :: v_dual_and_b32 v5, 0xffff, v5
	v_mov_b32_e32 v15, s2
	s_mov_b32 s2, exec_lo
	s_delay_alu instid0(VALU_DEP_2) | instskip(NEXT) | instid1(VALU_DEP_1)
	v_and_b32_e32 v17, 0x7f, v5
	v_cmpx_ne_u32_e32 0x7f, v17
	s_cbranch_execz .LBB244_567
; %bb.564:                              ;   in Loop: Header=BB244_417 Depth=1
	v_and_b32_e32 v5, 7, v5
	v_lshrrev_b32_e32 v15, 3, v17
	s_mov_b32 s14, exec_lo
	v_cmpx_gt_u32_e32 8, v17
; %bb.565:                              ;   in Loop: Header=BB244_417 Depth=1
	s_delay_alu instid0(VALU_DEP_3) | instskip(NEXT) | instid1(VALU_DEP_1)
	v_clz_i32_u32_e32 v15, v5
	v_min_u32_e32 v15, 32, v15
	s_delay_alu instid0(VALU_DEP_1) | instskip(SKIP_1) | instid1(VALU_DEP_2)
	v_subrev_nc_u32_e32 v16, 28, v15
	v_sub_nc_u32_e32 v15, 29, v15
	v_lshlrev_b64 v[16:17], v16, v[5:6]
	s_delay_alu instid0(VALU_DEP_1)
	v_and_b32_e32 v5, 7, v16
; %bb.566:                              ;   in Loop: Header=BB244_417 Depth=1
	s_or_b32 exec_lo, exec_lo, s14
	v_lshlrev_b32_e32 v16, 16, v59
	s_delay_alu instid0(VALU_DEP_2) | instskip(SKIP_1) | instid1(VALU_DEP_3)
	v_lshlrev_b32_e32 v5, 20, v5
	v_lshl_add_u32 v15, v15, 23, 0x3c000000
	v_and_b32_e32 v16, 0x80000000, v16
	s_delay_alu instid0(VALU_DEP_1)
	v_or3_b32 v16, v5, v16, v15
	v_mov_b32_e32 v15, v6
.LBB244_567:                            ;   in Loop: Header=BB244_417 Depth=1
	s_or_b32 exec_lo, exec_lo, s2
.LBB244_568:                            ;   in Loop: Header=BB244_417 Depth=1
	s_delay_alu instid0(SALU_CYCLE_1)
	s_or_b32 exec_lo, exec_lo, s13
.LBB244_569:                            ;   in Loop: Header=BB244_417 Depth=1
	s_delay_alu instid0(SALU_CYCLE_1) | instskip(SKIP_4) | instid1(VALU_DEP_2)
	s_or_b32 exec_lo, exec_lo, s11
	v_mov_b32_e32 v19, 0
	v_lshrrev_b32_e32 v60, 16, v59
	v_mov_b32_e32 v20, 0
	s_mov_b32 s2, exec_lo
	v_and_b32_e32 v5, 0xff, v60
	s_delay_alu instid0(VALU_DEP_2) | instskip(NEXT) | instid1(VALU_DEP_2)
	v_dual_mov_b32 v17, v19 :: v_dual_mov_b32 v18, v20
	v_cmpx_ne_u16_e32 0, v5
	s_cbranch_execz .LBB244_577
; %bb.570:                              ;   in Loop: Header=BB244_417 Depth=1
	v_bfrev_b32_e32 v17, 1
	v_mov_b32_e32 v18, 0
	s_mov_b32 s11, exec_lo
	v_cmpx_ne_u16_e32 0x80, v5
	s_cbranch_execz .LBB244_576
; %bb.571:                              ;   in Loop: Header=BB244_417 Depth=1
	v_mov_b32_e32 v17, 0x7f800001
	v_bfe_u32 v61, v59, 16, 7
	v_mov_b32_e32 v18, 0
	s_mov_b32 s13, exec_lo
	s_delay_alu instid0(VALU_DEP_2)
	v_cmpx_ne_u32_e32 0x7f, v61
	s_cbranch_execz .LBB244_575
; %bb.572:                              ;   in Loop: Header=BB244_417 Depth=1
	v_and_b32_e32 v5, 7, v60
	v_lshrrev_b32_e32 v17, 3, v61
	s_mov_b32 s14, exec_lo
	v_cmpx_gt_u32_e32 8, v61
; %bb.573:                              ;   in Loop: Header=BB244_417 Depth=1
	s_delay_alu instid0(VALU_DEP_3) | instskip(NEXT) | instid1(VALU_DEP_1)
	v_clz_i32_u32_e32 v17, v5
	v_min_u32_e32 v17, 32, v17
	s_delay_alu instid0(VALU_DEP_1) | instskip(SKIP_1) | instid1(VALU_DEP_2)
	v_subrev_nc_u32_e32 v18, 28, v17
	v_sub_nc_u32_e32 v17, 29, v17
	v_lshlrev_b64 v[61:62], v18, v[5:6]
	s_delay_alu instid0(VALU_DEP_1)
	v_and_b32_e32 v5, 7, v61
; %bb.574:                              ;   in Loop: Header=BB244_417 Depth=1
	s_or_b32 exec_lo, exec_lo, s14
	v_lshlrev_b32_e32 v18, 24, v60
	s_delay_alu instid0(VALU_DEP_2) | instskip(SKIP_1) | instid1(VALU_DEP_3)
	v_lshlrev_b32_e32 v5, 20, v5
	v_lshl_add_u32 v17, v17, 23, 0x3c000000
	v_and_b32_e32 v18, 0x80000000, v18
	s_delay_alu instid0(VALU_DEP_1) | instskip(NEXT) | instid1(VALU_DEP_1)
	v_or3_b32 v5, v5, v18, v17
	v_dual_mov_b32 v18, v6 :: v_dual_mov_b32 v17, v5
.LBB244_575:                            ;   in Loop: Header=BB244_417 Depth=1
	s_or_b32 exec_lo, exec_lo, s13
.LBB244_576:                            ;   in Loop: Header=BB244_417 Depth=1
	s_delay_alu instid0(SALU_CYCLE_1)
	s_or_b32 exec_lo, exec_lo, s11
.LBB244_577:                            ;   in Loop: Header=BB244_417 Depth=1
	s_delay_alu instid0(SALU_CYCLE_1) | instskip(NEXT) | instid1(SALU_CYCLE_1)
	s_or_b32 exec_lo, exec_lo, s2
	s_mov_b32 s11, exec_lo
	v_cmpx_lt_u32_e32 0xffffff, v59
	s_cbranch_execz .LBB244_585
; %bb.578:                              ;   in Loop: Header=BB244_417 Depth=1
	v_lshrrev_b32_e32 v60, 24, v59
	v_dual_mov_b32 v20, s5 :: v_dual_mov_b32 v19, s4
	s_mov_b32 s13, exec_lo
	s_delay_alu instid0(VALU_DEP_2)
	v_cmpx_ne_u32_e32 0x80, v60
	s_cbranch_execz .LBB244_584
; %bb.579:                              ;   in Loop: Header=BB244_417 Depth=1
	s_mov_b32 s2, s4
	v_bfe_u32 v59, v59, 24, 7
	v_dual_mov_b32 v20, s3 :: v_dual_mov_b32 v19, s2
	s_mov_b32 s2, exec_lo
	s_delay_alu instid0(VALU_DEP_2)
	v_cmpx_ne_u32_e32 0x7f, v59
	s_cbranch_execz .LBB244_583
; %bb.580:                              ;   in Loop: Header=BB244_417 Depth=1
	v_and_b32_e32 v5, 7, v60
	v_lshrrev_b32_e32 v19, 3, v59
	s_mov_b32 s14, exec_lo
	v_cmpx_gt_u32_e32 8, v59
; %bb.581:                              ;   in Loop: Header=BB244_417 Depth=1
	s_delay_alu instid0(VALU_DEP_3) | instskip(NEXT) | instid1(VALU_DEP_1)
	v_clz_i32_u32_e32 v19, v5
	v_min_u32_e32 v19, 32, v19
	s_delay_alu instid0(VALU_DEP_1) | instskip(SKIP_1) | instid1(VALU_DEP_2)
	v_subrev_nc_u32_e32 v20, 28, v19
	v_sub_nc_u32_e32 v19, 29, v19
	v_lshlrev_b64 v[61:62], v20, v[5:6]
	s_delay_alu instid0(VALU_DEP_1)
	v_and_b32_e32 v5, 7, v61
; %bb.582:                              ;   in Loop: Header=BB244_417 Depth=1
	s_or_b32 exec_lo, exec_lo, s14
	v_lshlrev_b32_e32 v20, 24, v60
	s_delay_alu instid0(VALU_DEP_2) | instskip(SKIP_1) | instid1(VALU_DEP_3)
	v_lshlrev_b32_e32 v5, 20, v5
	v_lshl_add_u32 v19, v19, 23, 0x3c000000
	v_and_b32_e32 v20, 0x80000000, v20
	s_delay_alu instid0(VALU_DEP_1)
	v_or3_b32 v20, v5, v20, v19
	v_mov_b32_e32 v19, v6
.LBB244_583:                            ;   in Loop: Header=BB244_417 Depth=1
	s_or_b32 exec_lo, exec_lo, s2
.LBB244_584:                            ;   in Loop: Header=BB244_417 Depth=1
	s_delay_alu instid0(SALU_CYCLE_1)
	s_or_b32 exec_lo, exec_lo, s13
.LBB244_585:                            ;   in Loop: Header=BB244_417 Depth=1
	s_delay_alu instid0(SALU_CYCLE_1) | instskip(SKIP_4) | instid1(VALU_DEP_4)
	s_or_b32 exec_lo, exec_lo, s11
	v_or_b32_e32 v5, v16, v14
	v_or_b32_e32 v13, v15, v13
	;; [unrolled: 1-line block ×4, first 2 shown]
	v_mul_f32_e32 v62, s9, v5
	s_delay_alu instid0(VALU_DEP_4) | instskip(NEXT) | instid1(VALU_DEP_3)
	v_mul_f32_e32 v61, s7, v13
	v_dual_mul_f32 v59, s9, v14 :: v_dual_mul_f32 v60, s7, v15
	s_and_saveexec_b32 s2, vcc_lo
; %bb.586:                              ;   in Loop: Header=BB244_417 Depth=1
	v_cmp_gt_i32_e64 s0, s33, v43
	s_delay_alu instid0(VALU_DEP_1) | instskip(SKIP_1) | instid1(VALU_DEP_1)
	v_cndmask_b32_e64 v61, 0, v61, s0
	v_cmp_gt_i32_e64 s0, s33, v45
	v_cndmask_b32_e64 v62, 0, v62, s0
	v_cmp_gt_i32_e64 s0, s33, v44
	s_delay_alu instid0(VALU_DEP_1) | instskip(SKIP_1) | instid1(VALU_DEP_1)
	v_cndmask_b32_e64 v60, 0, v60, s0
	v_cmp_gt_i32_e64 s0, s33, v37
	v_cndmask_b32_e64 v59, 0, v59, s0
; %bb.587:                              ;   in Loop: Header=BB244_417 Depth=1
	s_or_b32 exec_lo, exec_lo, s2
	global_load_b32 v63, v[11:12], off offset:640
	v_mov_b32_e32 v15, 0
	v_mov_b32_e32 v16, 0
	s_mov_b32 s2, exec_lo
	s_waitcnt vmcnt(0)
	v_and_b32_e32 v5, 0xff, v63
	s_delay_alu instid0(VALU_DEP_2) | instskip(NEXT) | instid1(VALU_DEP_2)
	v_dual_mov_b32 v13, v15 :: v_dual_mov_b32 v14, v16
	v_cmpx_ne_u16_e32 0, v5
	s_cbranch_execz .LBB244_595
; %bb.588:                              ;   in Loop: Header=BB244_417 Depth=1
	v_bfrev_b32_e32 v13, 1
	v_mov_b32_e32 v14, 0
	s_mov_b32 s11, exec_lo
	v_cmpx_ne_u16_e32 0x80, v5
	s_cbranch_execz .LBB244_594
; %bb.589:                              ;   in Loop: Header=BB244_417 Depth=1
	v_mov_b32_e32 v13, 0x7f800001
	v_dual_mov_b32 v14, 0 :: v_dual_and_b32 v17, 0x7f, v63
	s_mov_b32 s13, exec_lo
	s_delay_alu instid0(VALU_DEP_1)
	v_cmpx_ne_u32_e32 0x7f, v17
	s_cbranch_execz .LBB244_593
; %bb.590:                              ;   in Loop: Header=BB244_417 Depth=1
	v_and_b32_e32 v5, 7, v63
	v_lshrrev_b32_e32 v13, 3, v17
	s_mov_b32 s14, exec_lo
	v_cmpx_gt_u32_e32 8, v17
; %bb.591:                              ;   in Loop: Header=BB244_417 Depth=1
	s_delay_alu instid0(VALU_DEP_3) | instskip(NEXT) | instid1(VALU_DEP_1)
	v_clz_i32_u32_e32 v13, v5
	v_min_u32_e32 v13, 32, v13
	s_delay_alu instid0(VALU_DEP_1) | instskip(SKIP_1) | instid1(VALU_DEP_2)
	v_subrev_nc_u32_e32 v14, 28, v13
	v_sub_nc_u32_e32 v13, 29, v13
	v_lshlrev_b64 v[17:18], v14, v[5:6]
	s_delay_alu instid0(VALU_DEP_1)
	v_and_b32_e32 v5, 7, v17
; %bb.592:                              ;   in Loop: Header=BB244_417 Depth=1
	s_or_b32 exec_lo, exec_lo, s14
	v_lshlrev_b32_e32 v14, 24, v63
	s_delay_alu instid0(VALU_DEP_2) | instskip(SKIP_1) | instid1(VALU_DEP_3)
	v_lshlrev_b32_e32 v5, 20, v5
	v_lshl_add_u32 v13, v13, 23, 0x3c000000
	v_and_b32_e32 v14, 0x80000000, v14
	s_delay_alu instid0(VALU_DEP_1) | instskip(NEXT) | instid1(VALU_DEP_1)
	v_or3_b32 v5, v5, v14, v13
	v_dual_mov_b32 v14, v6 :: v_dual_mov_b32 v13, v5
.LBB244_593:                            ;   in Loop: Header=BB244_417 Depth=1
	s_or_b32 exec_lo, exec_lo, s13
.LBB244_594:                            ;   in Loop: Header=BB244_417 Depth=1
	s_delay_alu instid0(SALU_CYCLE_1)
	s_or_b32 exec_lo, exec_lo, s11
.LBB244_595:                            ;   in Loop: Header=BB244_417 Depth=1
	s_delay_alu instid0(SALU_CYCLE_1) | instskip(SKIP_2) | instid1(VALU_DEP_1)
	s_or_b32 exec_lo, exec_lo, s2
	v_lshrrev_b16 v5, 8, v63
	s_mov_b32 s11, exec_lo
	v_cmpx_ne_u16_e32 0, v5
	s_cbranch_execz .LBB244_603
; %bb.596:                              ;   in Loop: Header=BB244_417 Depth=1
	v_dual_mov_b32 v16, s5 :: v_dual_mov_b32 v15, s4
	s_mov_b32 s13, exec_lo
	v_cmpx_ne_u16_e32 0x80, v5
	s_cbranch_execz .LBB244_602
; %bb.597:                              ;   in Loop: Header=BB244_417 Depth=1
	s_mov_b32 s2, s4
	v_dual_mov_b32 v16, s3 :: v_dual_and_b32 v5, 0xffff, v5
	v_mov_b32_e32 v15, s2
	s_mov_b32 s2, exec_lo
	s_delay_alu instid0(VALU_DEP_2) | instskip(NEXT) | instid1(VALU_DEP_1)
	v_and_b32_e32 v17, 0x7f, v5
	v_cmpx_ne_u32_e32 0x7f, v17
	s_cbranch_execz .LBB244_601
; %bb.598:                              ;   in Loop: Header=BB244_417 Depth=1
	v_and_b32_e32 v5, 7, v5
	v_lshrrev_b32_e32 v15, 3, v17
	s_mov_b32 s14, exec_lo
	v_cmpx_gt_u32_e32 8, v17
; %bb.599:                              ;   in Loop: Header=BB244_417 Depth=1
	s_delay_alu instid0(VALU_DEP_3) | instskip(NEXT) | instid1(VALU_DEP_1)
	v_clz_i32_u32_e32 v15, v5
	v_min_u32_e32 v15, 32, v15
	s_delay_alu instid0(VALU_DEP_1) | instskip(SKIP_1) | instid1(VALU_DEP_2)
	v_subrev_nc_u32_e32 v16, 28, v15
	v_sub_nc_u32_e32 v15, 29, v15
	v_lshlrev_b64 v[16:17], v16, v[5:6]
	s_delay_alu instid0(VALU_DEP_1)
	v_and_b32_e32 v5, 7, v16
; %bb.600:                              ;   in Loop: Header=BB244_417 Depth=1
	s_or_b32 exec_lo, exec_lo, s14
	v_lshlrev_b32_e32 v16, 16, v63
	s_delay_alu instid0(VALU_DEP_2) | instskip(SKIP_1) | instid1(VALU_DEP_3)
	v_lshlrev_b32_e32 v5, 20, v5
	v_lshl_add_u32 v15, v15, 23, 0x3c000000
	v_and_b32_e32 v16, 0x80000000, v16
	s_delay_alu instid0(VALU_DEP_1)
	v_or3_b32 v16, v5, v16, v15
	v_mov_b32_e32 v15, v6
.LBB244_601:                            ;   in Loop: Header=BB244_417 Depth=1
	s_or_b32 exec_lo, exec_lo, s2
.LBB244_602:                            ;   in Loop: Header=BB244_417 Depth=1
	s_delay_alu instid0(SALU_CYCLE_1)
	s_or_b32 exec_lo, exec_lo, s13
.LBB244_603:                            ;   in Loop: Header=BB244_417 Depth=1
	s_delay_alu instid0(SALU_CYCLE_1) | instskip(SKIP_4) | instid1(VALU_DEP_2)
	s_or_b32 exec_lo, exec_lo, s11
	v_mov_b32_e32 v19, 0
	v_lshrrev_b32_e32 v64, 16, v63
	v_mov_b32_e32 v20, 0
	s_mov_b32 s2, exec_lo
	v_and_b32_e32 v5, 0xff, v64
	s_delay_alu instid0(VALU_DEP_2) | instskip(NEXT) | instid1(VALU_DEP_2)
	v_dual_mov_b32 v17, v19 :: v_dual_mov_b32 v18, v20
	v_cmpx_ne_u16_e32 0, v5
	s_cbranch_execz .LBB244_611
; %bb.604:                              ;   in Loop: Header=BB244_417 Depth=1
	v_bfrev_b32_e32 v17, 1
	v_mov_b32_e32 v18, 0
	s_mov_b32 s11, exec_lo
	v_cmpx_ne_u16_e32 0x80, v5
	s_cbranch_execz .LBB244_610
; %bb.605:                              ;   in Loop: Header=BB244_417 Depth=1
	v_mov_b32_e32 v17, 0x7f800001
	v_bfe_u32 v65, v63, 16, 7
	v_mov_b32_e32 v18, 0
	s_mov_b32 s13, exec_lo
	s_delay_alu instid0(VALU_DEP_2)
	v_cmpx_ne_u32_e32 0x7f, v65
	s_cbranch_execz .LBB244_609
; %bb.606:                              ;   in Loop: Header=BB244_417 Depth=1
	v_and_b32_e32 v5, 7, v64
	v_lshrrev_b32_e32 v17, 3, v65
	s_mov_b32 s14, exec_lo
	v_cmpx_gt_u32_e32 8, v65
; %bb.607:                              ;   in Loop: Header=BB244_417 Depth=1
	s_delay_alu instid0(VALU_DEP_3) | instskip(NEXT) | instid1(VALU_DEP_1)
	v_clz_i32_u32_e32 v17, v5
	v_min_u32_e32 v17, 32, v17
	s_delay_alu instid0(VALU_DEP_1) | instskip(SKIP_1) | instid1(VALU_DEP_2)
	v_subrev_nc_u32_e32 v18, 28, v17
	v_sub_nc_u32_e32 v17, 29, v17
	v_lshlrev_b64 v[65:66], v18, v[5:6]
	s_delay_alu instid0(VALU_DEP_1)
	v_and_b32_e32 v5, 7, v65
; %bb.608:                              ;   in Loop: Header=BB244_417 Depth=1
	s_or_b32 exec_lo, exec_lo, s14
	v_lshlrev_b32_e32 v18, 24, v64
	s_delay_alu instid0(VALU_DEP_2) | instskip(SKIP_1) | instid1(VALU_DEP_3)
	v_lshlrev_b32_e32 v5, 20, v5
	v_lshl_add_u32 v17, v17, 23, 0x3c000000
	v_and_b32_e32 v18, 0x80000000, v18
	s_delay_alu instid0(VALU_DEP_1) | instskip(NEXT) | instid1(VALU_DEP_1)
	v_or3_b32 v5, v5, v18, v17
	v_dual_mov_b32 v18, v6 :: v_dual_mov_b32 v17, v5
.LBB244_609:                            ;   in Loop: Header=BB244_417 Depth=1
	s_or_b32 exec_lo, exec_lo, s13
.LBB244_610:                            ;   in Loop: Header=BB244_417 Depth=1
	s_delay_alu instid0(SALU_CYCLE_1)
	s_or_b32 exec_lo, exec_lo, s11
.LBB244_611:                            ;   in Loop: Header=BB244_417 Depth=1
	s_delay_alu instid0(SALU_CYCLE_1) | instskip(NEXT) | instid1(SALU_CYCLE_1)
	s_or_b32 exec_lo, exec_lo, s2
	s_mov_b32 s11, exec_lo
	v_cmpx_lt_u32_e32 0xffffff, v63
	s_cbranch_execz .LBB244_619
; %bb.612:                              ;   in Loop: Header=BB244_417 Depth=1
	v_lshrrev_b32_e32 v64, 24, v63
	v_dual_mov_b32 v20, s5 :: v_dual_mov_b32 v19, s4
	s_mov_b32 s13, exec_lo
	s_delay_alu instid0(VALU_DEP_2)
	v_cmpx_ne_u32_e32 0x80, v64
	s_cbranch_execz .LBB244_618
; %bb.613:                              ;   in Loop: Header=BB244_417 Depth=1
	s_mov_b32 s2, s4
	v_bfe_u32 v63, v63, 24, 7
	v_dual_mov_b32 v20, s3 :: v_dual_mov_b32 v19, s2
	s_mov_b32 s2, exec_lo
	s_delay_alu instid0(VALU_DEP_2)
	v_cmpx_ne_u32_e32 0x7f, v63
	s_cbranch_execz .LBB244_617
; %bb.614:                              ;   in Loop: Header=BB244_417 Depth=1
	v_and_b32_e32 v5, 7, v64
	v_lshrrev_b32_e32 v19, 3, v63
	s_mov_b32 s14, exec_lo
	v_cmpx_gt_u32_e32 8, v63
; %bb.615:                              ;   in Loop: Header=BB244_417 Depth=1
	s_delay_alu instid0(VALU_DEP_3) | instskip(NEXT) | instid1(VALU_DEP_1)
	v_clz_i32_u32_e32 v19, v5
	v_min_u32_e32 v19, 32, v19
	s_delay_alu instid0(VALU_DEP_1) | instskip(SKIP_1) | instid1(VALU_DEP_2)
	v_subrev_nc_u32_e32 v20, 28, v19
	v_sub_nc_u32_e32 v19, 29, v19
	v_lshlrev_b64 v[65:66], v20, v[5:6]
	s_delay_alu instid0(VALU_DEP_1)
	v_and_b32_e32 v5, 7, v65
; %bb.616:                              ;   in Loop: Header=BB244_417 Depth=1
	s_or_b32 exec_lo, exec_lo, s14
	v_lshlrev_b32_e32 v20, 24, v64
	s_delay_alu instid0(VALU_DEP_2) | instskip(SKIP_1) | instid1(VALU_DEP_3)
	v_lshlrev_b32_e32 v5, 20, v5
	v_lshl_add_u32 v19, v19, 23, 0x3c000000
	v_and_b32_e32 v20, 0x80000000, v20
	s_delay_alu instid0(VALU_DEP_1)
	v_or3_b32 v20, v5, v20, v19
	v_mov_b32_e32 v19, v6
.LBB244_617:                            ;   in Loop: Header=BB244_417 Depth=1
	s_or_b32 exec_lo, exec_lo, s2
.LBB244_618:                            ;   in Loop: Header=BB244_417 Depth=1
	s_delay_alu instid0(SALU_CYCLE_1)
	s_or_b32 exec_lo, exec_lo, s13
.LBB244_619:                            ;   in Loop: Header=BB244_417 Depth=1
	s_delay_alu instid0(SALU_CYCLE_1) | instskip(SKIP_4) | instid1(VALU_DEP_4)
	s_or_b32 exec_lo, exec_lo, s11
	v_or_b32_e32 v5, v16, v14
	v_or_b32_e32 v13, v15, v13
	;; [unrolled: 1-line block ×4, first 2 shown]
	v_mul_f32_e32 v66, s9, v5
	s_delay_alu instid0(VALU_DEP_4) | instskip(NEXT) | instid1(VALU_DEP_3)
	v_mul_f32_e32 v65, s7, v13
	v_dual_mul_f32 v63, s9, v14 :: v_dual_mul_f32 v64, s7, v15
	s_and_saveexec_b32 s2, vcc_lo
; %bb.620:                              ;   in Loop: Header=BB244_417 Depth=1
	v_cmp_gt_i32_e64 s0, s33, v43
	s_delay_alu instid0(VALU_DEP_1) | instskip(SKIP_1) | instid1(VALU_DEP_1)
	v_cndmask_b32_e64 v65, 0, v65, s0
	v_cmp_gt_i32_e64 s0, s33, v45
	v_cndmask_b32_e64 v66, 0, v66, s0
	v_cmp_gt_i32_e64 s0, s33, v44
	s_delay_alu instid0(VALU_DEP_1) | instskip(SKIP_1) | instid1(VALU_DEP_1)
	v_cndmask_b32_e64 v64, 0, v64, s0
	v_cmp_gt_i32_e64 s0, s33, v37
	v_cndmask_b32_e64 v63, 0, v63, s0
; %bb.621:                              ;   in Loop: Header=BB244_417 Depth=1
	s_or_b32 exec_lo, exec_lo, s2
	global_load_b32 v67, v[11:12], off offset:768
	v_mov_b32_e32 v15, 0
	v_mov_b32_e32 v16, 0
	s_mov_b32 s2, exec_lo
	s_waitcnt vmcnt(0)
	v_and_b32_e32 v5, 0xff, v67
	s_delay_alu instid0(VALU_DEP_2) | instskip(NEXT) | instid1(VALU_DEP_2)
	v_dual_mov_b32 v13, v15 :: v_dual_mov_b32 v14, v16
	v_cmpx_ne_u16_e32 0, v5
	s_cbranch_execz .LBB244_629
; %bb.622:                              ;   in Loop: Header=BB244_417 Depth=1
	v_bfrev_b32_e32 v13, 1
	v_mov_b32_e32 v14, 0
	s_mov_b32 s11, exec_lo
	v_cmpx_ne_u16_e32 0x80, v5
	s_cbranch_execz .LBB244_628
; %bb.623:                              ;   in Loop: Header=BB244_417 Depth=1
	v_mov_b32_e32 v13, 0x7f800001
	v_dual_mov_b32 v14, 0 :: v_dual_and_b32 v17, 0x7f, v67
	s_mov_b32 s13, exec_lo
	s_delay_alu instid0(VALU_DEP_1)
	v_cmpx_ne_u32_e32 0x7f, v17
	s_cbranch_execz .LBB244_627
; %bb.624:                              ;   in Loop: Header=BB244_417 Depth=1
	v_and_b32_e32 v5, 7, v67
	v_lshrrev_b32_e32 v13, 3, v17
	s_mov_b32 s14, exec_lo
	v_cmpx_gt_u32_e32 8, v17
; %bb.625:                              ;   in Loop: Header=BB244_417 Depth=1
	s_delay_alu instid0(VALU_DEP_3) | instskip(NEXT) | instid1(VALU_DEP_1)
	v_clz_i32_u32_e32 v13, v5
	v_min_u32_e32 v13, 32, v13
	s_delay_alu instid0(VALU_DEP_1) | instskip(SKIP_1) | instid1(VALU_DEP_2)
	v_subrev_nc_u32_e32 v14, 28, v13
	v_sub_nc_u32_e32 v13, 29, v13
	v_lshlrev_b64 v[17:18], v14, v[5:6]
	s_delay_alu instid0(VALU_DEP_1)
	v_and_b32_e32 v5, 7, v17
; %bb.626:                              ;   in Loop: Header=BB244_417 Depth=1
	s_or_b32 exec_lo, exec_lo, s14
	v_lshlrev_b32_e32 v14, 24, v67
	s_delay_alu instid0(VALU_DEP_2) | instskip(SKIP_1) | instid1(VALU_DEP_3)
	v_lshlrev_b32_e32 v5, 20, v5
	v_lshl_add_u32 v13, v13, 23, 0x3c000000
	v_and_b32_e32 v14, 0x80000000, v14
	s_delay_alu instid0(VALU_DEP_1) | instskip(NEXT) | instid1(VALU_DEP_1)
	v_or3_b32 v5, v5, v14, v13
	v_dual_mov_b32 v14, v6 :: v_dual_mov_b32 v13, v5
.LBB244_627:                            ;   in Loop: Header=BB244_417 Depth=1
	s_or_b32 exec_lo, exec_lo, s13
.LBB244_628:                            ;   in Loop: Header=BB244_417 Depth=1
	s_delay_alu instid0(SALU_CYCLE_1)
	s_or_b32 exec_lo, exec_lo, s11
.LBB244_629:                            ;   in Loop: Header=BB244_417 Depth=1
	s_delay_alu instid0(SALU_CYCLE_1) | instskip(SKIP_2) | instid1(VALU_DEP_1)
	s_or_b32 exec_lo, exec_lo, s2
	v_lshrrev_b16 v5, 8, v67
	s_mov_b32 s11, exec_lo
	v_cmpx_ne_u16_e32 0, v5
	s_cbranch_execz .LBB244_637
; %bb.630:                              ;   in Loop: Header=BB244_417 Depth=1
	v_dual_mov_b32 v16, s5 :: v_dual_mov_b32 v15, s4
	s_mov_b32 s13, exec_lo
	v_cmpx_ne_u16_e32 0x80, v5
	s_cbranch_execz .LBB244_636
; %bb.631:                              ;   in Loop: Header=BB244_417 Depth=1
	s_mov_b32 s2, s4
	v_dual_mov_b32 v16, s3 :: v_dual_and_b32 v5, 0xffff, v5
	v_mov_b32_e32 v15, s2
	s_mov_b32 s2, exec_lo
	s_delay_alu instid0(VALU_DEP_2) | instskip(NEXT) | instid1(VALU_DEP_1)
	v_and_b32_e32 v17, 0x7f, v5
	v_cmpx_ne_u32_e32 0x7f, v17
	s_cbranch_execz .LBB244_635
; %bb.632:                              ;   in Loop: Header=BB244_417 Depth=1
	v_and_b32_e32 v5, 7, v5
	v_lshrrev_b32_e32 v15, 3, v17
	s_mov_b32 s14, exec_lo
	v_cmpx_gt_u32_e32 8, v17
; %bb.633:                              ;   in Loop: Header=BB244_417 Depth=1
	s_delay_alu instid0(VALU_DEP_3) | instskip(NEXT) | instid1(VALU_DEP_1)
	v_clz_i32_u32_e32 v15, v5
	v_min_u32_e32 v15, 32, v15
	s_delay_alu instid0(VALU_DEP_1) | instskip(SKIP_1) | instid1(VALU_DEP_2)
	v_subrev_nc_u32_e32 v16, 28, v15
	v_sub_nc_u32_e32 v15, 29, v15
	v_lshlrev_b64 v[16:17], v16, v[5:6]
	s_delay_alu instid0(VALU_DEP_1)
	v_and_b32_e32 v5, 7, v16
; %bb.634:                              ;   in Loop: Header=BB244_417 Depth=1
	s_or_b32 exec_lo, exec_lo, s14
	v_lshlrev_b32_e32 v16, 16, v67
	s_delay_alu instid0(VALU_DEP_2) | instskip(SKIP_1) | instid1(VALU_DEP_3)
	v_lshlrev_b32_e32 v5, 20, v5
	v_lshl_add_u32 v15, v15, 23, 0x3c000000
	v_and_b32_e32 v16, 0x80000000, v16
	s_delay_alu instid0(VALU_DEP_1)
	v_or3_b32 v16, v5, v16, v15
	v_mov_b32_e32 v15, v6
.LBB244_635:                            ;   in Loop: Header=BB244_417 Depth=1
	s_or_b32 exec_lo, exec_lo, s2
.LBB244_636:                            ;   in Loop: Header=BB244_417 Depth=1
	s_delay_alu instid0(SALU_CYCLE_1)
	s_or_b32 exec_lo, exec_lo, s13
.LBB244_637:                            ;   in Loop: Header=BB244_417 Depth=1
	s_delay_alu instid0(SALU_CYCLE_1) | instskip(SKIP_4) | instid1(VALU_DEP_2)
	s_or_b32 exec_lo, exec_lo, s11
	v_mov_b32_e32 v19, 0
	v_lshrrev_b32_e32 v68, 16, v67
	v_mov_b32_e32 v20, 0
	s_mov_b32 s2, exec_lo
	v_and_b32_e32 v5, 0xff, v68
	s_delay_alu instid0(VALU_DEP_2) | instskip(NEXT) | instid1(VALU_DEP_2)
	v_dual_mov_b32 v17, v19 :: v_dual_mov_b32 v18, v20
	v_cmpx_ne_u16_e32 0, v5
	s_cbranch_execz .LBB244_645
; %bb.638:                              ;   in Loop: Header=BB244_417 Depth=1
	v_bfrev_b32_e32 v17, 1
	v_mov_b32_e32 v18, 0
	s_mov_b32 s11, exec_lo
	v_cmpx_ne_u16_e32 0x80, v5
	s_cbranch_execz .LBB244_644
; %bb.639:                              ;   in Loop: Header=BB244_417 Depth=1
	v_mov_b32_e32 v17, 0x7f800001
	v_bfe_u32 v69, v67, 16, 7
	v_mov_b32_e32 v18, 0
	s_mov_b32 s13, exec_lo
	s_delay_alu instid0(VALU_DEP_2)
	v_cmpx_ne_u32_e32 0x7f, v69
	s_cbranch_execz .LBB244_643
; %bb.640:                              ;   in Loop: Header=BB244_417 Depth=1
	v_and_b32_e32 v5, 7, v68
	v_lshrrev_b32_e32 v17, 3, v69
	s_mov_b32 s14, exec_lo
	v_cmpx_gt_u32_e32 8, v69
; %bb.641:                              ;   in Loop: Header=BB244_417 Depth=1
	s_delay_alu instid0(VALU_DEP_3) | instskip(NEXT) | instid1(VALU_DEP_1)
	v_clz_i32_u32_e32 v17, v5
	v_min_u32_e32 v17, 32, v17
	s_delay_alu instid0(VALU_DEP_1) | instskip(SKIP_1) | instid1(VALU_DEP_2)
	v_subrev_nc_u32_e32 v18, 28, v17
	v_sub_nc_u32_e32 v17, 29, v17
	v_lshlrev_b64 v[69:70], v18, v[5:6]
	s_delay_alu instid0(VALU_DEP_1)
	v_and_b32_e32 v5, 7, v69
; %bb.642:                              ;   in Loop: Header=BB244_417 Depth=1
	s_or_b32 exec_lo, exec_lo, s14
	v_lshlrev_b32_e32 v18, 24, v68
	s_delay_alu instid0(VALU_DEP_2) | instskip(SKIP_1) | instid1(VALU_DEP_3)
	v_lshlrev_b32_e32 v5, 20, v5
	v_lshl_add_u32 v17, v17, 23, 0x3c000000
	v_and_b32_e32 v18, 0x80000000, v18
	s_delay_alu instid0(VALU_DEP_1) | instskip(NEXT) | instid1(VALU_DEP_1)
	v_or3_b32 v5, v5, v18, v17
	v_dual_mov_b32 v18, v6 :: v_dual_mov_b32 v17, v5
.LBB244_643:                            ;   in Loop: Header=BB244_417 Depth=1
	s_or_b32 exec_lo, exec_lo, s13
.LBB244_644:                            ;   in Loop: Header=BB244_417 Depth=1
	s_delay_alu instid0(SALU_CYCLE_1)
	s_or_b32 exec_lo, exec_lo, s11
.LBB244_645:                            ;   in Loop: Header=BB244_417 Depth=1
	s_delay_alu instid0(SALU_CYCLE_1) | instskip(NEXT) | instid1(SALU_CYCLE_1)
	s_or_b32 exec_lo, exec_lo, s2
	s_mov_b32 s11, exec_lo
	v_cmpx_lt_u32_e32 0xffffff, v67
	s_cbranch_execz .LBB244_653
; %bb.646:                              ;   in Loop: Header=BB244_417 Depth=1
	v_lshrrev_b32_e32 v68, 24, v67
	v_dual_mov_b32 v20, s5 :: v_dual_mov_b32 v19, s4
	s_mov_b32 s13, exec_lo
	s_delay_alu instid0(VALU_DEP_2)
	v_cmpx_ne_u32_e32 0x80, v68
	s_cbranch_execz .LBB244_652
; %bb.647:                              ;   in Loop: Header=BB244_417 Depth=1
	s_mov_b32 s2, s4
	v_bfe_u32 v67, v67, 24, 7
	v_dual_mov_b32 v20, s3 :: v_dual_mov_b32 v19, s2
	s_mov_b32 s2, exec_lo
	s_delay_alu instid0(VALU_DEP_2)
	v_cmpx_ne_u32_e32 0x7f, v67
	s_cbranch_execz .LBB244_651
; %bb.648:                              ;   in Loop: Header=BB244_417 Depth=1
	v_and_b32_e32 v5, 7, v68
	v_lshrrev_b32_e32 v19, 3, v67
	s_mov_b32 s14, exec_lo
	v_cmpx_gt_u32_e32 8, v67
; %bb.649:                              ;   in Loop: Header=BB244_417 Depth=1
	s_delay_alu instid0(VALU_DEP_3) | instskip(NEXT) | instid1(VALU_DEP_1)
	v_clz_i32_u32_e32 v19, v5
	v_min_u32_e32 v19, 32, v19
	s_delay_alu instid0(VALU_DEP_1) | instskip(SKIP_1) | instid1(VALU_DEP_2)
	v_subrev_nc_u32_e32 v20, 28, v19
	v_sub_nc_u32_e32 v19, 29, v19
	v_lshlrev_b64 v[69:70], v20, v[5:6]
	s_delay_alu instid0(VALU_DEP_1)
	v_and_b32_e32 v5, 7, v69
; %bb.650:                              ;   in Loop: Header=BB244_417 Depth=1
	s_or_b32 exec_lo, exec_lo, s14
	v_lshlrev_b32_e32 v20, 24, v68
	s_delay_alu instid0(VALU_DEP_2) | instskip(SKIP_1) | instid1(VALU_DEP_3)
	v_lshlrev_b32_e32 v5, 20, v5
	v_lshl_add_u32 v19, v19, 23, 0x3c000000
	v_and_b32_e32 v20, 0x80000000, v20
	s_delay_alu instid0(VALU_DEP_1)
	v_or3_b32 v20, v5, v20, v19
	v_mov_b32_e32 v19, v6
.LBB244_651:                            ;   in Loop: Header=BB244_417 Depth=1
	s_or_b32 exec_lo, exec_lo, s2
.LBB244_652:                            ;   in Loop: Header=BB244_417 Depth=1
	s_delay_alu instid0(SALU_CYCLE_1)
	s_or_b32 exec_lo, exec_lo, s13
.LBB244_653:                            ;   in Loop: Header=BB244_417 Depth=1
	s_delay_alu instid0(SALU_CYCLE_1) | instskip(SKIP_4) | instid1(VALU_DEP_4)
	s_or_b32 exec_lo, exec_lo, s11
	v_or_b32_e32 v5, v16, v14
	v_or_b32_e32 v13, v15, v13
	;; [unrolled: 1-line block ×4, first 2 shown]
	v_mul_f32_e32 v70, s9, v5
	s_delay_alu instid0(VALU_DEP_4) | instskip(NEXT) | instid1(VALU_DEP_3)
	v_mul_f32_e32 v69, s7, v13
	v_dual_mul_f32 v67, s9, v14 :: v_dual_mul_f32 v68, s7, v15
	s_and_saveexec_b32 s2, vcc_lo
; %bb.654:                              ;   in Loop: Header=BB244_417 Depth=1
	v_cmp_gt_i32_e64 s0, s33, v43
	s_delay_alu instid0(VALU_DEP_1) | instskip(SKIP_1) | instid1(VALU_DEP_1)
	v_cndmask_b32_e64 v69, 0, v69, s0
	v_cmp_gt_i32_e64 s0, s33, v45
	v_cndmask_b32_e64 v70, 0, v70, s0
	v_cmp_gt_i32_e64 s0, s33, v44
	s_delay_alu instid0(VALU_DEP_1) | instskip(SKIP_1) | instid1(VALU_DEP_1)
	v_cndmask_b32_e64 v68, 0, v68, s0
	v_cmp_gt_i32_e64 s0, s33, v37
	v_cndmask_b32_e64 v67, 0, v67, s0
; %bb.655:                              ;   in Loop: Header=BB244_417 Depth=1
	s_or_b32 exec_lo, exec_lo, s2
	global_load_b32 v71, v[11:12], off offset:896
	v_mov_b32_e32 v15, 0
	v_mov_b32_e32 v16, 0
	s_mov_b32 s2, exec_lo
	s_waitcnt vmcnt(0)
	v_and_b32_e32 v5, 0xff, v71
	s_delay_alu instid0(VALU_DEP_2) | instskip(NEXT) | instid1(VALU_DEP_2)
	v_dual_mov_b32 v13, v15 :: v_dual_mov_b32 v14, v16
	v_cmpx_ne_u16_e32 0, v5
	s_cbranch_execz .LBB244_663
; %bb.656:                              ;   in Loop: Header=BB244_417 Depth=1
	v_bfrev_b32_e32 v13, 1
	v_mov_b32_e32 v14, 0
	s_mov_b32 s11, exec_lo
	v_cmpx_ne_u16_e32 0x80, v5
	s_cbranch_execz .LBB244_662
; %bb.657:                              ;   in Loop: Header=BB244_417 Depth=1
	v_mov_b32_e32 v13, 0x7f800001
	v_dual_mov_b32 v14, 0 :: v_dual_and_b32 v17, 0x7f, v71
	s_mov_b32 s13, exec_lo
	s_delay_alu instid0(VALU_DEP_1)
	v_cmpx_ne_u32_e32 0x7f, v17
	s_cbranch_execz .LBB244_661
; %bb.658:                              ;   in Loop: Header=BB244_417 Depth=1
	v_and_b32_e32 v5, 7, v71
	v_lshrrev_b32_e32 v13, 3, v17
	s_mov_b32 s14, exec_lo
	v_cmpx_gt_u32_e32 8, v17
; %bb.659:                              ;   in Loop: Header=BB244_417 Depth=1
	s_delay_alu instid0(VALU_DEP_3) | instskip(NEXT) | instid1(VALU_DEP_1)
	v_clz_i32_u32_e32 v13, v5
	v_min_u32_e32 v13, 32, v13
	s_delay_alu instid0(VALU_DEP_1) | instskip(SKIP_1) | instid1(VALU_DEP_2)
	v_subrev_nc_u32_e32 v14, 28, v13
	v_sub_nc_u32_e32 v13, 29, v13
	v_lshlrev_b64 v[17:18], v14, v[5:6]
	s_delay_alu instid0(VALU_DEP_1)
	v_and_b32_e32 v5, 7, v17
; %bb.660:                              ;   in Loop: Header=BB244_417 Depth=1
	s_or_b32 exec_lo, exec_lo, s14
	v_lshlrev_b32_e32 v14, 24, v71
	s_delay_alu instid0(VALU_DEP_2) | instskip(SKIP_1) | instid1(VALU_DEP_3)
	v_lshlrev_b32_e32 v5, 20, v5
	v_lshl_add_u32 v13, v13, 23, 0x3c000000
	v_and_b32_e32 v14, 0x80000000, v14
	s_delay_alu instid0(VALU_DEP_1) | instskip(NEXT) | instid1(VALU_DEP_1)
	v_or3_b32 v5, v5, v14, v13
	v_dual_mov_b32 v14, v6 :: v_dual_mov_b32 v13, v5
.LBB244_661:                            ;   in Loop: Header=BB244_417 Depth=1
	s_or_b32 exec_lo, exec_lo, s13
.LBB244_662:                            ;   in Loop: Header=BB244_417 Depth=1
	s_delay_alu instid0(SALU_CYCLE_1)
	s_or_b32 exec_lo, exec_lo, s11
.LBB244_663:                            ;   in Loop: Header=BB244_417 Depth=1
	s_delay_alu instid0(SALU_CYCLE_1) | instskip(SKIP_2) | instid1(VALU_DEP_1)
	s_or_b32 exec_lo, exec_lo, s2
	v_lshrrev_b16 v5, 8, v71
	s_mov_b32 s11, exec_lo
	v_cmpx_ne_u16_e32 0, v5
	s_cbranch_execz .LBB244_671
; %bb.664:                              ;   in Loop: Header=BB244_417 Depth=1
	v_dual_mov_b32 v16, s5 :: v_dual_mov_b32 v15, s4
	s_mov_b32 s13, exec_lo
	v_cmpx_ne_u16_e32 0x80, v5
	s_cbranch_execz .LBB244_670
; %bb.665:                              ;   in Loop: Header=BB244_417 Depth=1
	s_mov_b32 s2, s4
	v_dual_mov_b32 v16, s3 :: v_dual_and_b32 v5, 0xffff, v5
	v_mov_b32_e32 v15, s2
	s_mov_b32 s2, exec_lo
	s_delay_alu instid0(VALU_DEP_2) | instskip(NEXT) | instid1(VALU_DEP_1)
	v_and_b32_e32 v17, 0x7f, v5
	v_cmpx_ne_u32_e32 0x7f, v17
	s_cbranch_execz .LBB244_669
; %bb.666:                              ;   in Loop: Header=BB244_417 Depth=1
	v_and_b32_e32 v5, 7, v5
	v_lshrrev_b32_e32 v15, 3, v17
	s_mov_b32 s14, exec_lo
	v_cmpx_gt_u32_e32 8, v17
; %bb.667:                              ;   in Loop: Header=BB244_417 Depth=1
	s_delay_alu instid0(VALU_DEP_3) | instskip(NEXT) | instid1(VALU_DEP_1)
	v_clz_i32_u32_e32 v15, v5
	v_min_u32_e32 v15, 32, v15
	s_delay_alu instid0(VALU_DEP_1) | instskip(SKIP_1) | instid1(VALU_DEP_2)
	v_subrev_nc_u32_e32 v16, 28, v15
	v_sub_nc_u32_e32 v15, 29, v15
	v_lshlrev_b64 v[16:17], v16, v[5:6]
	s_delay_alu instid0(VALU_DEP_1)
	v_and_b32_e32 v5, 7, v16
; %bb.668:                              ;   in Loop: Header=BB244_417 Depth=1
	s_or_b32 exec_lo, exec_lo, s14
	v_lshlrev_b32_e32 v16, 16, v71
	s_delay_alu instid0(VALU_DEP_2) | instskip(SKIP_1) | instid1(VALU_DEP_3)
	v_lshlrev_b32_e32 v5, 20, v5
	v_lshl_add_u32 v15, v15, 23, 0x3c000000
	v_and_b32_e32 v16, 0x80000000, v16
	s_delay_alu instid0(VALU_DEP_1)
	v_or3_b32 v16, v5, v16, v15
	v_mov_b32_e32 v15, v6
.LBB244_669:                            ;   in Loop: Header=BB244_417 Depth=1
	s_or_b32 exec_lo, exec_lo, s2
.LBB244_670:                            ;   in Loop: Header=BB244_417 Depth=1
	s_delay_alu instid0(SALU_CYCLE_1)
	s_or_b32 exec_lo, exec_lo, s13
.LBB244_671:                            ;   in Loop: Header=BB244_417 Depth=1
	s_delay_alu instid0(SALU_CYCLE_1) | instskip(SKIP_4) | instid1(VALU_DEP_2)
	s_or_b32 exec_lo, exec_lo, s11
	v_mov_b32_e32 v19, 0
	v_lshrrev_b32_e32 v72, 16, v71
	v_mov_b32_e32 v20, 0
	s_mov_b32 s2, exec_lo
	v_and_b32_e32 v5, 0xff, v72
	s_delay_alu instid0(VALU_DEP_2) | instskip(NEXT) | instid1(VALU_DEP_2)
	v_dual_mov_b32 v17, v19 :: v_dual_mov_b32 v18, v20
	v_cmpx_ne_u16_e32 0, v5
	s_cbranch_execz .LBB244_679
; %bb.672:                              ;   in Loop: Header=BB244_417 Depth=1
	v_bfrev_b32_e32 v17, 1
	v_mov_b32_e32 v18, 0
	s_mov_b32 s11, exec_lo
	v_cmpx_ne_u16_e32 0x80, v5
	s_cbranch_execz .LBB244_678
; %bb.673:                              ;   in Loop: Header=BB244_417 Depth=1
	v_mov_b32_e32 v17, 0x7f800001
	v_bfe_u32 v73, v71, 16, 7
	v_mov_b32_e32 v18, 0
	s_mov_b32 s13, exec_lo
	s_delay_alu instid0(VALU_DEP_2)
	v_cmpx_ne_u32_e32 0x7f, v73
	s_cbranch_execz .LBB244_677
; %bb.674:                              ;   in Loop: Header=BB244_417 Depth=1
	v_and_b32_e32 v5, 7, v72
	v_lshrrev_b32_e32 v17, 3, v73
	s_mov_b32 s14, exec_lo
	v_cmpx_gt_u32_e32 8, v73
; %bb.675:                              ;   in Loop: Header=BB244_417 Depth=1
	s_delay_alu instid0(VALU_DEP_3) | instskip(NEXT) | instid1(VALU_DEP_1)
	v_clz_i32_u32_e32 v17, v5
	v_min_u32_e32 v17, 32, v17
	s_delay_alu instid0(VALU_DEP_1) | instskip(SKIP_1) | instid1(VALU_DEP_2)
	v_subrev_nc_u32_e32 v18, 28, v17
	v_sub_nc_u32_e32 v17, 29, v17
	v_lshlrev_b64 v[73:74], v18, v[5:6]
	s_delay_alu instid0(VALU_DEP_1)
	v_and_b32_e32 v5, 7, v73
; %bb.676:                              ;   in Loop: Header=BB244_417 Depth=1
	s_or_b32 exec_lo, exec_lo, s14
	v_lshlrev_b32_e32 v18, 24, v72
	s_delay_alu instid0(VALU_DEP_2) | instskip(SKIP_1) | instid1(VALU_DEP_3)
	v_lshlrev_b32_e32 v5, 20, v5
	v_lshl_add_u32 v17, v17, 23, 0x3c000000
	v_and_b32_e32 v18, 0x80000000, v18
	s_delay_alu instid0(VALU_DEP_1) | instskip(NEXT) | instid1(VALU_DEP_1)
	v_or3_b32 v5, v5, v18, v17
	v_dual_mov_b32 v18, v6 :: v_dual_mov_b32 v17, v5
.LBB244_677:                            ;   in Loop: Header=BB244_417 Depth=1
	s_or_b32 exec_lo, exec_lo, s13
.LBB244_678:                            ;   in Loop: Header=BB244_417 Depth=1
	s_delay_alu instid0(SALU_CYCLE_1)
	s_or_b32 exec_lo, exec_lo, s11
.LBB244_679:                            ;   in Loop: Header=BB244_417 Depth=1
	s_delay_alu instid0(SALU_CYCLE_1) | instskip(NEXT) | instid1(SALU_CYCLE_1)
	s_or_b32 exec_lo, exec_lo, s2
	s_mov_b32 s11, exec_lo
	v_cmpx_lt_u32_e32 0xffffff, v71
	s_cbranch_execz .LBB244_687
; %bb.680:                              ;   in Loop: Header=BB244_417 Depth=1
	v_lshrrev_b32_e32 v72, 24, v71
	v_dual_mov_b32 v20, s5 :: v_dual_mov_b32 v19, s4
	s_mov_b32 s13, exec_lo
	s_delay_alu instid0(VALU_DEP_2)
	v_cmpx_ne_u32_e32 0x80, v72
	s_cbranch_execz .LBB244_686
; %bb.681:                              ;   in Loop: Header=BB244_417 Depth=1
	s_mov_b32 s2, s4
	v_bfe_u32 v71, v71, 24, 7
	v_dual_mov_b32 v20, s3 :: v_dual_mov_b32 v19, s2
	s_mov_b32 s2, exec_lo
	s_delay_alu instid0(VALU_DEP_2)
	v_cmpx_ne_u32_e32 0x7f, v71
	s_cbranch_execz .LBB244_685
; %bb.682:                              ;   in Loop: Header=BB244_417 Depth=1
	v_and_b32_e32 v5, 7, v72
	v_lshrrev_b32_e32 v19, 3, v71
	s_mov_b32 s14, exec_lo
	v_cmpx_gt_u32_e32 8, v71
; %bb.683:                              ;   in Loop: Header=BB244_417 Depth=1
	s_delay_alu instid0(VALU_DEP_3) | instskip(NEXT) | instid1(VALU_DEP_1)
	v_clz_i32_u32_e32 v19, v5
	v_min_u32_e32 v19, 32, v19
	s_delay_alu instid0(VALU_DEP_1) | instskip(SKIP_1) | instid1(VALU_DEP_2)
	v_subrev_nc_u32_e32 v20, 28, v19
	v_sub_nc_u32_e32 v19, 29, v19
	v_lshlrev_b64 v[73:74], v20, v[5:6]
	s_delay_alu instid0(VALU_DEP_1)
	v_and_b32_e32 v5, 7, v73
; %bb.684:                              ;   in Loop: Header=BB244_417 Depth=1
	s_or_b32 exec_lo, exec_lo, s14
	v_lshlrev_b32_e32 v20, 24, v72
	s_delay_alu instid0(VALU_DEP_2) | instskip(SKIP_1) | instid1(VALU_DEP_3)
	v_lshlrev_b32_e32 v5, 20, v5
	v_lshl_add_u32 v19, v19, 23, 0x3c000000
	v_and_b32_e32 v20, 0x80000000, v20
	s_delay_alu instid0(VALU_DEP_1)
	v_or3_b32 v20, v5, v20, v19
	v_mov_b32_e32 v19, v6
.LBB244_685:                            ;   in Loop: Header=BB244_417 Depth=1
	s_or_b32 exec_lo, exec_lo, s2
.LBB244_686:                            ;   in Loop: Header=BB244_417 Depth=1
	s_delay_alu instid0(SALU_CYCLE_1)
	s_or_b32 exec_lo, exec_lo, s13
.LBB244_687:                            ;   in Loop: Header=BB244_417 Depth=1
	s_delay_alu instid0(SALU_CYCLE_1) | instskip(SKIP_4) | instid1(VALU_DEP_4)
	s_or_b32 exec_lo, exec_lo, s11
	v_or_b32_e32 v5, v16, v14
	v_or_b32_e32 v13, v15, v13
	v_or_b32_e32 v14, v20, v18
	v_or_b32_e32 v15, v19, v17
	v_mul_f32_e32 v74, s9, v5
	s_delay_alu instid0(VALU_DEP_4) | instskip(NEXT) | instid1(VALU_DEP_3)
	v_mul_f32_e32 v73, s7, v13
	v_dual_mul_f32 v71, s9, v14 :: v_dual_mul_f32 v72, s7, v15
	s_and_saveexec_b32 s2, vcc_lo
; %bb.688:                              ;   in Loop: Header=BB244_417 Depth=1
	v_cmp_gt_i32_e64 s0, s33, v43
	s_delay_alu instid0(VALU_DEP_1) | instskip(SKIP_1) | instid1(VALU_DEP_1)
	v_cndmask_b32_e64 v73, 0, v73, s0
	v_cmp_gt_i32_e64 s0, s33, v45
	v_cndmask_b32_e64 v74, 0, v74, s0
	v_cmp_gt_i32_e64 s0, s33, v44
	s_delay_alu instid0(VALU_DEP_1) | instskip(SKIP_1) | instid1(VALU_DEP_1)
	v_cndmask_b32_e64 v72, 0, v72, s0
	v_cmp_gt_i32_e64 s0, s33, v37
	v_cndmask_b32_e64 v71, 0, v71, s0
; %bb.689:                              ;   in Loop: Header=BB244_417 Depth=1
	s_or_b32 exec_lo, exec_lo, s2
	global_load_b32 v75, v[11:12], off offset:1024
	v_mov_b32_e32 v15, 0
	v_mov_b32_e32 v16, 0
	s_mov_b32 s2, exec_lo
	s_waitcnt vmcnt(0)
	v_and_b32_e32 v5, 0xff, v75
	s_delay_alu instid0(VALU_DEP_2) | instskip(NEXT) | instid1(VALU_DEP_2)
	v_dual_mov_b32 v13, v15 :: v_dual_mov_b32 v14, v16
	v_cmpx_ne_u16_e32 0, v5
	s_cbranch_execz .LBB244_697
; %bb.690:                              ;   in Loop: Header=BB244_417 Depth=1
	v_bfrev_b32_e32 v13, 1
	v_mov_b32_e32 v14, 0
	s_mov_b32 s11, exec_lo
	v_cmpx_ne_u16_e32 0x80, v5
	s_cbranch_execz .LBB244_696
; %bb.691:                              ;   in Loop: Header=BB244_417 Depth=1
	v_mov_b32_e32 v13, 0x7f800001
	v_dual_mov_b32 v14, 0 :: v_dual_and_b32 v17, 0x7f, v75
	s_mov_b32 s13, exec_lo
	s_delay_alu instid0(VALU_DEP_1)
	v_cmpx_ne_u32_e32 0x7f, v17
	s_cbranch_execz .LBB244_695
; %bb.692:                              ;   in Loop: Header=BB244_417 Depth=1
	v_and_b32_e32 v5, 7, v75
	v_lshrrev_b32_e32 v13, 3, v17
	s_mov_b32 s14, exec_lo
	v_cmpx_gt_u32_e32 8, v17
; %bb.693:                              ;   in Loop: Header=BB244_417 Depth=1
	s_delay_alu instid0(VALU_DEP_3) | instskip(NEXT) | instid1(VALU_DEP_1)
	v_clz_i32_u32_e32 v13, v5
	v_min_u32_e32 v13, 32, v13
	s_delay_alu instid0(VALU_DEP_1) | instskip(SKIP_1) | instid1(VALU_DEP_2)
	v_subrev_nc_u32_e32 v14, 28, v13
	v_sub_nc_u32_e32 v13, 29, v13
	v_lshlrev_b64 v[17:18], v14, v[5:6]
	s_delay_alu instid0(VALU_DEP_1)
	v_and_b32_e32 v5, 7, v17
; %bb.694:                              ;   in Loop: Header=BB244_417 Depth=1
	s_or_b32 exec_lo, exec_lo, s14
	v_lshlrev_b32_e32 v14, 24, v75
	s_delay_alu instid0(VALU_DEP_2) | instskip(SKIP_1) | instid1(VALU_DEP_3)
	v_lshlrev_b32_e32 v5, 20, v5
	v_lshl_add_u32 v13, v13, 23, 0x3c000000
	v_and_b32_e32 v14, 0x80000000, v14
	s_delay_alu instid0(VALU_DEP_1) | instskip(NEXT) | instid1(VALU_DEP_1)
	v_or3_b32 v5, v5, v14, v13
	v_dual_mov_b32 v14, v6 :: v_dual_mov_b32 v13, v5
.LBB244_695:                            ;   in Loop: Header=BB244_417 Depth=1
	s_or_b32 exec_lo, exec_lo, s13
.LBB244_696:                            ;   in Loop: Header=BB244_417 Depth=1
	s_delay_alu instid0(SALU_CYCLE_1)
	s_or_b32 exec_lo, exec_lo, s11
.LBB244_697:                            ;   in Loop: Header=BB244_417 Depth=1
	s_delay_alu instid0(SALU_CYCLE_1) | instskip(SKIP_2) | instid1(VALU_DEP_1)
	s_or_b32 exec_lo, exec_lo, s2
	v_lshrrev_b16 v5, 8, v75
	s_mov_b32 s11, exec_lo
	v_cmpx_ne_u16_e32 0, v5
	s_cbranch_execz .LBB244_705
; %bb.698:                              ;   in Loop: Header=BB244_417 Depth=1
	v_dual_mov_b32 v16, s5 :: v_dual_mov_b32 v15, s4
	s_mov_b32 s13, exec_lo
	v_cmpx_ne_u16_e32 0x80, v5
	s_cbranch_execz .LBB244_704
; %bb.699:                              ;   in Loop: Header=BB244_417 Depth=1
	s_mov_b32 s2, s4
	v_dual_mov_b32 v16, s3 :: v_dual_and_b32 v5, 0xffff, v5
	v_mov_b32_e32 v15, s2
	s_mov_b32 s2, exec_lo
	s_delay_alu instid0(VALU_DEP_2) | instskip(NEXT) | instid1(VALU_DEP_1)
	v_and_b32_e32 v17, 0x7f, v5
	v_cmpx_ne_u32_e32 0x7f, v17
	s_cbranch_execz .LBB244_703
; %bb.700:                              ;   in Loop: Header=BB244_417 Depth=1
	v_and_b32_e32 v5, 7, v5
	v_lshrrev_b32_e32 v15, 3, v17
	s_mov_b32 s14, exec_lo
	v_cmpx_gt_u32_e32 8, v17
; %bb.701:                              ;   in Loop: Header=BB244_417 Depth=1
	s_delay_alu instid0(VALU_DEP_3) | instskip(NEXT) | instid1(VALU_DEP_1)
	v_clz_i32_u32_e32 v15, v5
	v_min_u32_e32 v15, 32, v15
	s_delay_alu instid0(VALU_DEP_1) | instskip(SKIP_1) | instid1(VALU_DEP_2)
	v_subrev_nc_u32_e32 v16, 28, v15
	v_sub_nc_u32_e32 v15, 29, v15
	v_lshlrev_b64 v[16:17], v16, v[5:6]
	s_delay_alu instid0(VALU_DEP_1)
	v_and_b32_e32 v5, 7, v16
; %bb.702:                              ;   in Loop: Header=BB244_417 Depth=1
	s_or_b32 exec_lo, exec_lo, s14
	v_lshlrev_b32_e32 v16, 16, v75
	s_delay_alu instid0(VALU_DEP_2) | instskip(SKIP_1) | instid1(VALU_DEP_3)
	v_lshlrev_b32_e32 v5, 20, v5
	v_lshl_add_u32 v15, v15, 23, 0x3c000000
	v_and_b32_e32 v16, 0x80000000, v16
	s_delay_alu instid0(VALU_DEP_1)
	v_or3_b32 v16, v5, v16, v15
	v_mov_b32_e32 v15, v6
.LBB244_703:                            ;   in Loop: Header=BB244_417 Depth=1
	s_or_b32 exec_lo, exec_lo, s2
.LBB244_704:                            ;   in Loop: Header=BB244_417 Depth=1
	s_delay_alu instid0(SALU_CYCLE_1)
	s_or_b32 exec_lo, exec_lo, s13
.LBB244_705:                            ;   in Loop: Header=BB244_417 Depth=1
	s_delay_alu instid0(SALU_CYCLE_1) | instskip(SKIP_4) | instid1(VALU_DEP_2)
	s_or_b32 exec_lo, exec_lo, s11
	v_mov_b32_e32 v19, 0
	v_lshrrev_b32_e32 v76, 16, v75
	v_mov_b32_e32 v20, 0
	s_mov_b32 s2, exec_lo
	v_and_b32_e32 v5, 0xff, v76
	s_delay_alu instid0(VALU_DEP_2) | instskip(NEXT) | instid1(VALU_DEP_2)
	v_dual_mov_b32 v17, v19 :: v_dual_mov_b32 v18, v20
	v_cmpx_ne_u16_e32 0, v5
	s_cbranch_execz .LBB244_713
; %bb.706:                              ;   in Loop: Header=BB244_417 Depth=1
	v_bfrev_b32_e32 v17, 1
	v_mov_b32_e32 v18, 0
	s_mov_b32 s11, exec_lo
	v_cmpx_ne_u16_e32 0x80, v5
	s_cbranch_execz .LBB244_712
; %bb.707:                              ;   in Loop: Header=BB244_417 Depth=1
	v_mov_b32_e32 v17, 0x7f800001
	v_bfe_u32 v77, v75, 16, 7
	v_mov_b32_e32 v18, 0
	s_mov_b32 s13, exec_lo
	s_delay_alu instid0(VALU_DEP_2)
	v_cmpx_ne_u32_e32 0x7f, v77
	s_cbranch_execz .LBB244_711
; %bb.708:                              ;   in Loop: Header=BB244_417 Depth=1
	v_and_b32_e32 v5, 7, v76
	v_lshrrev_b32_e32 v17, 3, v77
	s_mov_b32 s14, exec_lo
	v_cmpx_gt_u32_e32 8, v77
; %bb.709:                              ;   in Loop: Header=BB244_417 Depth=1
	s_delay_alu instid0(VALU_DEP_3) | instskip(NEXT) | instid1(VALU_DEP_1)
	v_clz_i32_u32_e32 v17, v5
	v_min_u32_e32 v17, 32, v17
	s_delay_alu instid0(VALU_DEP_1) | instskip(SKIP_1) | instid1(VALU_DEP_2)
	v_subrev_nc_u32_e32 v18, 28, v17
	v_sub_nc_u32_e32 v17, 29, v17
	v_lshlrev_b64 v[77:78], v18, v[5:6]
	s_delay_alu instid0(VALU_DEP_1)
	v_and_b32_e32 v5, 7, v77
; %bb.710:                              ;   in Loop: Header=BB244_417 Depth=1
	s_or_b32 exec_lo, exec_lo, s14
	v_lshlrev_b32_e32 v18, 24, v76
	s_delay_alu instid0(VALU_DEP_2) | instskip(SKIP_1) | instid1(VALU_DEP_3)
	v_lshlrev_b32_e32 v5, 20, v5
	v_lshl_add_u32 v17, v17, 23, 0x3c000000
	v_and_b32_e32 v18, 0x80000000, v18
	s_delay_alu instid0(VALU_DEP_1) | instskip(NEXT) | instid1(VALU_DEP_1)
	v_or3_b32 v5, v5, v18, v17
	v_dual_mov_b32 v18, v6 :: v_dual_mov_b32 v17, v5
.LBB244_711:                            ;   in Loop: Header=BB244_417 Depth=1
	s_or_b32 exec_lo, exec_lo, s13
.LBB244_712:                            ;   in Loop: Header=BB244_417 Depth=1
	s_delay_alu instid0(SALU_CYCLE_1)
	s_or_b32 exec_lo, exec_lo, s11
.LBB244_713:                            ;   in Loop: Header=BB244_417 Depth=1
	s_delay_alu instid0(SALU_CYCLE_1) | instskip(NEXT) | instid1(SALU_CYCLE_1)
	s_or_b32 exec_lo, exec_lo, s2
	s_mov_b32 s11, exec_lo
	v_cmpx_lt_u32_e32 0xffffff, v75
	s_cbranch_execz .LBB244_721
; %bb.714:                              ;   in Loop: Header=BB244_417 Depth=1
	v_lshrrev_b32_e32 v76, 24, v75
	v_dual_mov_b32 v20, s5 :: v_dual_mov_b32 v19, s4
	s_mov_b32 s13, exec_lo
	s_delay_alu instid0(VALU_DEP_2)
	v_cmpx_ne_u32_e32 0x80, v76
	s_cbranch_execz .LBB244_720
; %bb.715:                              ;   in Loop: Header=BB244_417 Depth=1
	s_mov_b32 s2, s4
	v_bfe_u32 v75, v75, 24, 7
	v_dual_mov_b32 v20, s3 :: v_dual_mov_b32 v19, s2
	s_mov_b32 s2, exec_lo
	s_delay_alu instid0(VALU_DEP_2)
	v_cmpx_ne_u32_e32 0x7f, v75
	s_cbranch_execz .LBB244_719
; %bb.716:                              ;   in Loop: Header=BB244_417 Depth=1
	v_and_b32_e32 v5, 7, v76
	v_lshrrev_b32_e32 v19, 3, v75
	s_mov_b32 s14, exec_lo
	v_cmpx_gt_u32_e32 8, v75
; %bb.717:                              ;   in Loop: Header=BB244_417 Depth=1
	s_delay_alu instid0(VALU_DEP_3) | instskip(NEXT) | instid1(VALU_DEP_1)
	v_clz_i32_u32_e32 v19, v5
	v_min_u32_e32 v19, 32, v19
	s_delay_alu instid0(VALU_DEP_1) | instskip(SKIP_1) | instid1(VALU_DEP_2)
	v_subrev_nc_u32_e32 v20, 28, v19
	v_sub_nc_u32_e32 v19, 29, v19
	v_lshlrev_b64 v[77:78], v20, v[5:6]
	s_delay_alu instid0(VALU_DEP_1)
	v_and_b32_e32 v5, 7, v77
; %bb.718:                              ;   in Loop: Header=BB244_417 Depth=1
	s_or_b32 exec_lo, exec_lo, s14
	v_lshlrev_b32_e32 v20, 24, v76
	s_delay_alu instid0(VALU_DEP_2) | instskip(SKIP_1) | instid1(VALU_DEP_3)
	v_lshlrev_b32_e32 v5, 20, v5
	v_lshl_add_u32 v19, v19, 23, 0x3c000000
	v_and_b32_e32 v20, 0x80000000, v20
	s_delay_alu instid0(VALU_DEP_1)
	v_or3_b32 v20, v5, v20, v19
	v_mov_b32_e32 v19, v6
.LBB244_719:                            ;   in Loop: Header=BB244_417 Depth=1
	s_or_b32 exec_lo, exec_lo, s2
.LBB244_720:                            ;   in Loop: Header=BB244_417 Depth=1
	s_delay_alu instid0(SALU_CYCLE_1)
	s_or_b32 exec_lo, exec_lo, s13
.LBB244_721:                            ;   in Loop: Header=BB244_417 Depth=1
	s_delay_alu instid0(SALU_CYCLE_1) | instskip(SKIP_4) | instid1(VALU_DEP_4)
	s_or_b32 exec_lo, exec_lo, s11
	v_or_b32_e32 v5, v16, v14
	v_or_b32_e32 v13, v15, v13
	;; [unrolled: 1-line block ×4, first 2 shown]
	v_mul_f32_e32 v78, s9, v5
	s_delay_alu instid0(VALU_DEP_4) | instskip(NEXT) | instid1(VALU_DEP_3)
	v_mul_f32_e32 v77, s7, v13
	v_dual_mul_f32 v75, s9, v14 :: v_dual_mul_f32 v76, s7, v15
	s_and_saveexec_b32 s2, vcc_lo
; %bb.722:                              ;   in Loop: Header=BB244_417 Depth=1
	v_cmp_gt_i32_e64 s0, s33, v43
	s_delay_alu instid0(VALU_DEP_1) | instskip(SKIP_1) | instid1(VALU_DEP_1)
	v_cndmask_b32_e64 v77, 0, v77, s0
	v_cmp_gt_i32_e64 s0, s33, v45
	v_cndmask_b32_e64 v78, 0, v78, s0
	v_cmp_gt_i32_e64 s0, s33, v44
	s_delay_alu instid0(VALU_DEP_1) | instskip(SKIP_1) | instid1(VALU_DEP_1)
	v_cndmask_b32_e64 v76, 0, v76, s0
	v_cmp_gt_i32_e64 s0, s33, v37
	v_cndmask_b32_e64 v75, 0, v75, s0
; %bb.723:                              ;   in Loop: Header=BB244_417 Depth=1
	s_or_b32 exec_lo, exec_lo, s2
	global_load_b32 v79, v[11:12], off offset:1152
	v_mov_b32_e32 v15, 0
	v_mov_b32_e32 v16, 0
	s_mov_b32 s2, exec_lo
	s_waitcnt vmcnt(0)
	v_and_b32_e32 v5, 0xff, v79
	s_delay_alu instid0(VALU_DEP_2) | instskip(NEXT) | instid1(VALU_DEP_2)
	v_dual_mov_b32 v13, v15 :: v_dual_mov_b32 v14, v16
	v_cmpx_ne_u16_e32 0, v5
	s_cbranch_execz .LBB244_731
; %bb.724:                              ;   in Loop: Header=BB244_417 Depth=1
	v_bfrev_b32_e32 v13, 1
	v_mov_b32_e32 v14, 0
	s_mov_b32 s11, exec_lo
	v_cmpx_ne_u16_e32 0x80, v5
	s_cbranch_execz .LBB244_730
; %bb.725:                              ;   in Loop: Header=BB244_417 Depth=1
	v_mov_b32_e32 v13, 0x7f800001
	v_dual_mov_b32 v14, 0 :: v_dual_and_b32 v17, 0x7f, v79
	s_mov_b32 s13, exec_lo
	s_delay_alu instid0(VALU_DEP_1)
	v_cmpx_ne_u32_e32 0x7f, v17
	s_cbranch_execz .LBB244_729
; %bb.726:                              ;   in Loop: Header=BB244_417 Depth=1
	v_and_b32_e32 v5, 7, v79
	v_lshrrev_b32_e32 v13, 3, v17
	s_mov_b32 s14, exec_lo
	v_cmpx_gt_u32_e32 8, v17
; %bb.727:                              ;   in Loop: Header=BB244_417 Depth=1
	s_delay_alu instid0(VALU_DEP_3) | instskip(NEXT) | instid1(VALU_DEP_1)
	v_clz_i32_u32_e32 v13, v5
	v_min_u32_e32 v13, 32, v13
	s_delay_alu instid0(VALU_DEP_1) | instskip(SKIP_1) | instid1(VALU_DEP_2)
	v_subrev_nc_u32_e32 v14, 28, v13
	v_sub_nc_u32_e32 v13, 29, v13
	v_lshlrev_b64 v[17:18], v14, v[5:6]
	s_delay_alu instid0(VALU_DEP_1)
	v_and_b32_e32 v5, 7, v17
; %bb.728:                              ;   in Loop: Header=BB244_417 Depth=1
	s_or_b32 exec_lo, exec_lo, s14
	v_lshlrev_b32_e32 v14, 24, v79
	s_delay_alu instid0(VALU_DEP_2) | instskip(SKIP_1) | instid1(VALU_DEP_3)
	v_lshlrev_b32_e32 v5, 20, v5
	v_lshl_add_u32 v13, v13, 23, 0x3c000000
	v_and_b32_e32 v14, 0x80000000, v14
	s_delay_alu instid0(VALU_DEP_1) | instskip(NEXT) | instid1(VALU_DEP_1)
	v_or3_b32 v5, v5, v14, v13
	v_dual_mov_b32 v14, v6 :: v_dual_mov_b32 v13, v5
.LBB244_729:                            ;   in Loop: Header=BB244_417 Depth=1
	s_or_b32 exec_lo, exec_lo, s13
.LBB244_730:                            ;   in Loop: Header=BB244_417 Depth=1
	s_delay_alu instid0(SALU_CYCLE_1)
	s_or_b32 exec_lo, exec_lo, s11
.LBB244_731:                            ;   in Loop: Header=BB244_417 Depth=1
	s_delay_alu instid0(SALU_CYCLE_1) | instskip(SKIP_2) | instid1(VALU_DEP_1)
	s_or_b32 exec_lo, exec_lo, s2
	v_lshrrev_b16 v5, 8, v79
	s_mov_b32 s11, exec_lo
	v_cmpx_ne_u16_e32 0, v5
	s_cbranch_execz .LBB244_739
; %bb.732:                              ;   in Loop: Header=BB244_417 Depth=1
	v_dual_mov_b32 v16, s5 :: v_dual_mov_b32 v15, s4
	s_mov_b32 s13, exec_lo
	v_cmpx_ne_u16_e32 0x80, v5
	s_cbranch_execz .LBB244_738
; %bb.733:                              ;   in Loop: Header=BB244_417 Depth=1
	s_mov_b32 s2, s4
	v_dual_mov_b32 v16, s3 :: v_dual_and_b32 v5, 0xffff, v5
	v_mov_b32_e32 v15, s2
	s_mov_b32 s2, exec_lo
	s_delay_alu instid0(VALU_DEP_2) | instskip(NEXT) | instid1(VALU_DEP_1)
	v_and_b32_e32 v17, 0x7f, v5
	v_cmpx_ne_u32_e32 0x7f, v17
	s_cbranch_execz .LBB244_737
; %bb.734:                              ;   in Loop: Header=BB244_417 Depth=1
	v_and_b32_e32 v5, 7, v5
	v_lshrrev_b32_e32 v15, 3, v17
	s_mov_b32 s14, exec_lo
	v_cmpx_gt_u32_e32 8, v17
; %bb.735:                              ;   in Loop: Header=BB244_417 Depth=1
	s_delay_alu instid0(VALU_DEP_3) | instskip(NEXT) | instid1(VALU_DEP_1)
	v_clz_i32_u32_e32 v15, v5
	v_min_u32_e32 v15, 32, v15
	s_delay_alu instid0(VALU_DEP_1) | instskip(SKIP_1) | instid1(VALU_DEP_2)
	v_subrev_nc_u32_e32 v16, 28, v15
	v_sub_nc_u32_e32 v15, 29, v15
	v_lshlrev_b64 v[16:17], v16, v[5:6]
	s_delay_alu instid0(VALU_DEP_1)
	v_and_b32_e32 v5, 7, v16
; %bb.736:                              ;   in Loop: Header=BB244_417 Depth=1
	s_or_b32 exec_lo, exec_lo, s14
	v_lshlrev_b32_e32 v16, 16, v79
	s_delay_alu instid0(VALU_DEP_2) | instskip(SKIP_1) | instid1(VALU_DEP_3)
	v_lshlrev_b32_e32 v5, 20, v5
	v_lshl_add_u32 v15, v15, 23, 0x3c000000
	v_and_b32_e32 v16, 0x80000000, v16
	s_delay_alu instid0(VALU_DEP_1)
	v_or3_b32 v16, v5, v16, v15
	v_mov_b32_e32 v15, v6
.LBB244_737:                            ;   in Loop: Header=BB244_417 Depth=1
	s_or_b32 exec_lo, exec_lo, s2
.LBB244_738:                            ;   in Loop: Header=BB244_417 Depth=1
	s_delay_alu instid0(SALU_CYCLE_1)
	s_or_b32 exec_lo, exec_lo, s13
.LBB244_739:                            ;   in Loop: Header=BB244_417 Depth=1
	s_delay_alu instid0(SALU_CYCLE_1) | instskip(SKIP_4) | instid1(VALU_DEP_2)
	s_or_b32 exec_lo, exec_lo, s11
	v_mov_b32_e32 v19, 0
	v_lshrrev_b32_e32 v80, 16, v79
	v_mov_b32_e32 v20, 0
	s_mov_b32 s2, exec_lo
	v_and_b32_e32 v5, 0xff, v80
	s_delay_alu instid0(VALU_DEP_2) | instskip(NEXT) | instid1(VALU_DEP_2)
	v_dual_mov_b32 v17, v19 :: v_dual_mov_b32 v18, v20
	v_cmpx_ne_u16_e32 0, v5
	s_cbranch_execz .LBB244_747
; %bb.740:                              ;   in Loop: Header=BB244_417 Depth=1
	v_bfrev_b32_e32 v17, 1
	v_mov_b32_e32 v18, 0
	s_mov_b32 s11, exec_lo
	v_cmpx_ne_u16_e32 0x80, v5
	s_cbranch_execz .LBB244_746
; %bb.741:                              ;   in Loop: Header=BB244_417 Depth=1
	v_mov_b32_e32 v17, 0x7f800001
	v_bfe_u32 v81, v79, 16, 7
	v_mov_b32_e32 v18, 0
	s_mov_b32 s13, exec_lo
	s_delay_alu instid0(VALU_DEP_2)
	v_cmpx_ne_u32_e32 0x7f, v81
	s_cbranch_execz .LBB244_745
; %bb.742:                              ;   in Loop: Header=BB244_417 Depth=1
	v_and_b32_e32 v5, 7, v80
	v_lshrrev_b32_e32 v17, 3, v81
	s_mov_b32 s14, exec_lo
	v_cmpx_gt_u32_e32 8, v81
; %bb.743:                              ;   in Loop: Header=BB244_417 Depth=1
	s_delay_alu instid0(VALU_DEP_3) | instskip(NEXT) | instid1(VALU_DEP_1)
	v_clz_i32_u32_e32 v17, v5
	v_min_u32_e32 v17, 32, v17
	s_delay_alu instid0(VALU_DEP_1) | instskip(SKIP_1) | instid1(VALU_DEP_2)
	v_subrev_nc_u32_e32 v18, 28, v17
	v_sub_nc_u32_e32 v17, 29, v17
	v_lshlrev_b64 v[81:82], v18, v[5:6]
	s_delay_alu instid0(VALU_DEP_1)
	v_and_b32_e32 v5, 7, v81
; %bb.744:                              ;   in Loop: Header=BB244_417 Depth=1
	s_or_b32 exec_lo, exec_lo, s14
	v_lshlrev_b32_e32 v18, 24, v80
	s_delay_alu instid0(VALU_DEP_2) | instskip(SKIP_1) | instid1(VALU_DEP_3)
	v_lshlrev_b32_e32 v5, 20, v5
	v_lshl_add_u32 v17, v17, 23, 0x3c000000
	v_and_b32_e32 v18, 0x80000000, v18
	s_delay_alu instid0(VALU_DEP_1) | instskip(NEXT) | instid1(VALU_DEP_1)
	v_or3_b32 v5, v5, v18, v17
	v_dual_mov_b32 v18, v6 :: v_dual_mov_b32 v17, v5
.LBB244_745:                            ;   in Loop: Header=BB244_417 Depth=1
	s_or_b32 exec_lo, exec_lo, s13
.LBB244_746:                            ;   in Loop: Header=BB244_417 Depth=1
	s_delay_alu instid0(SALU_CYCLE_1)
	s_or_b32 exec_lo, exec_lo, s11
.LBB244_747:                            ;   in Loop: Header=BB244_417 Depth=1
	s_delay_alu instid0(SALU_CYCLE_1) | instskip(NEXT) | instid1(SALU_CYCLE_1)
	s_or_b32 exec_lo, exec_lo, s2
	s_mov_b32 s11, exec_lo
	v_cmpx_lt_u32_e32 0xffffff, v79
	s_cbranch_execz .LBB244_755
; %bb.748:                              ;   in Loop: Header=BB244_417 Depth=1
	v_lshrrev_b32_e32 v80, 24, v79
	v_dual_mov_b32 v20, s5 :: v_dual_mov_b32 v19, s4
	s_mov_b32 s13, exec_lo
	s_delay_alu instid0(VALU_DEP_2)
	v_cmpx_ne_u32_e32 0x80, v80
	s_cbranch_execz .LBB244_754
; %bb.749:                              ;   in Loop: Header=BB244_417 Depth=1
	s_mov_b32 s2, s4
	v_bfe_u32 v79, v79, 24, 7
	v_dual_mov_b32 v20, s3 :: v_dual_mov_b32 v19, s2
	s_mov_b32 s2, exec_lo
	s_delay_alu instid0(VALU_DEP_2)
	v_cmpx_ne_u32_e32 0x7f, v79
	s_cbranch_execz .LBB244_753
; %bb.750:                              ;   in Loop: Header=BB244_417 Depth=1
	v_and_b32_e32 v5, 7, v80
	v_lshrrev_b32_e32 v19, 3, v79
	s_mov_b32 s14, exec_lo
	v_cmpx_gt_u32_e32 8, v79
; %bb.751:                              ;   in Loop: Header=BB244_417 Depth=1
	s_delay_alu instid0(VALU_DEP_3) | instskip(NEXT) | instid1(VALU_DEP_1)
	v_clz_i32_u32_e32 v19, v5
	v_min_u32_e32 v19, 32, v19
	s_delay_alu instid0(VALU_DEP_1) | instskip(SKIP_1) | instid1(VALU_DEP_2)
	v_subrev_nc_u32_e32 v20, 28, v19
	v_sub_nc_u32_e32 v19, 29, v19
	v_lshlrev_b64 v[81:82], v20, v[5:6]
	s_delay_alu instid0(VALU_DEP_1)
	v_and_b32_e32 v5, 7, v81
; %bb.752:                              ;   in Loop: Header=BB244_417 Depth=1
	s_or_b32 exec_lo, exec_lo, s14
	v_lshlrev_b32_e32 v20, 24, v80
	s_delay_alu instid0(VALU_DEP_2) | instskip(SKIP_1) | instid1(VALU_DEP_3)
	v_lshlrev_b32_e32 v5, 20, v5
	v_lshl_add_u32 v19, v19, 23, 0x3c000000
	v_and_b32_e32 v20, 0x80000000, v20
	s_delay_alu instid0(VALU_DEP_1)
	v_or3_b32 v20, v5, v20, v19
	v_mov_b32_e32 v19, v6
.LBB244_753:                            ;   in Loop: Header=BB244_417 Depth=1
	s_or_b32 exec_lo, exec_lo, s2
.LBB244_754:                            ;   in Loop: Header=BB244_417 Depth=1
	s_delay_alu instid0(SALU_CYCLE_1)
	s_or_b32 exec_lo, exec_lo, s13
.LBB244_755:                            ;   in Loop: Header=BB244_417 Depth=1
	s_delay_alu instid0(SALU_CYCLE_1) | instskip(SKIP_4) | instid1(VALU_DEP_4)
	s_or_b32 exec_lo, exec_lo, s11
	v_or_b32_e32 v5, v16, v14
	v_or_b32_e32 v13, v15, v13
	;; [unrolled: 1-line block ×4, first 2 shown]
	v_mul_f32_e32 v82, s9, v5
	s_delay_alu instid0(VALU_DEP_4) | instskip(NEXT) | instid1(VALU_DEP_3)
	v_mul_f32_e32 v81, s7, v13
	v_dual_mul_f32 v79, s9, v14 :: v_dual_mul_f32 v80, s7, v15
	s_and_saveexec_b32 s2, vcc_lo
; %bb.756:                              ;   in Loop: Header=BB244_417 Depth=1
	v_cmp_gt_i32_e64 s0, s33, v43
	s_delay_alu instid0(VALU_DEP_1) | instskip(SKIP_1) | instid1(VALU_DEP_1)
	v_cndmask_b32_e64 v81, 0, v81, s0
	v_cmp_gt_i32_e64 s0, s33, v45
	v_cndmask_b32_e64 v82, 0, v82, s0
	v_cmp_gt_i32_e64 s0, s33, v44
	s_delay_alu instid0(VALU_DEP_1) | instskip(SKIP_1) | instid1(VALU_DEP_1)
	v_cndmask_b32_e64 v80, 0, v80, s0
	v_cmp_gt_i32_e64 s0, s33, v37
	v_cndmask_b32_e64 v79, 0, v79, s0
; %bb.757:                              ;   in Loop: Header=BB244_417 Depth=1
	s_or_b32 exec_lo, exec_lo, s2
	global_load_b32 v83, v[11:12], off offset:1280
	v_mov_b32_e32 v15, 0
	v_mov_b32_e32 v16, 0
	s_mov_b32 s2, exec_lo
	s_waitcnt vmcnt(0)
	v_and_b32_e32 v5, 0xff, v83
	s_delay_alu instid0(VALU_DEP_2) | instskip(NEXT) | instid1(VALU_DEP_2)
	v_dual_mov_b32 v13, v15 :: v_dual_mov_b32 v14, v16
	v_cmpx_ne_u16_e32 0, v5
	s_cbranch_execz .LBB244_765
; %bb.758:                              ;   in Loop: Header=BB244_417 Depth=1
	v_bfrev_b32_e32 v13, 1
	v_mov_b32_e32 v14, 0
	s_mov_b32 s11, exec_lo
	v_cmpx_ne_u16_e32 0x80, v5
	s_cbranch_execz .LBB244_764
; %bb.759:                              ;   in Loop: Header=BB244_417 Depth=1
	v_mov_b32_e32 v13, 0x7f800001
	v_dual_mov_b32 v14, 0 :: v_dual_and_b32 v17, 0x7f, v83
	s_mov_b32 s13, exec_lo
	s_delay_alu instid0(VALU_DEP_1)
	v_cmpx_ne_u32_e32 0x7f, v17
	s_cbranch_execz .LBB244_763
; %bb.760:                              ;   in Loop: Header=BB244_417 Depth=1
	v_and_b32_e32 v5, 7, v83
	v_lshrrev_b32_e32 v13, 3, v17
	s_mov_b32 s14, exec_lo
	v_cmpx_gt_u32_e32 8, v17
; %bb.761:                              ;   in Loop: Header=BB244_417 Depth=1
	s_delay_alu instid0(VALU_DEP_3) | instskip(NEXT) | instid1(VALU_DEP_1)
	v_clz_i32_u32_e32 v13, v5
	v_min_u32_e32 v13, 32, v13
	s_delay_alu instid0(VALU_DEP_1) | instskip(SKIP_1) | instid1(VALU_DEP_2)
	v_subrev_nc_u32_e32 v14, 28, v13
	v_sub_nc_u32_e32 v13, 29, v13
	v_lshlrev_b64 v[17:18], v14, v[5:6]
	s_delay_alu instid0(VALU_DEP_1)
	v_and_b32_e32 v5, 7, v17
; %bb.762:                              ;   in Loop: Header=BB244_417 Depth=1
	s_or_b32 exec_lo, exec_lo, s14
	v_lshlrev_b32_e32 v14, 24, v83
	s_delay_alu instid0(VALU_DEP_2) | instskip(SKIP_1) | instid1(VALU_DEP_3)
	v_lshlrev_b32_e32 v5, 20, v5
	v_lshl_add_u32 v13, v13, 23, 0x3c000000
	v_and_b32_e32 v14, 0x80000000, v14
	s_delay_alu instid0(VALU_DEP_1) | instskip(NEXT) | instid1(VALU_DEP_1)
	v_or3_b32 v5, v5, v14, v13
	v_dual_mov_b32 v14, v6 :: v_dual_mov_b32 v13, v5
.LBB244_763:                            ;   in Loop: Header=BB244_417 Depth=1
	s_or_b32 exec_lo, exec_lo, s13
.LBB244_764:                            ;   in Loop: Header=BB244_417 Depth=1
	s_delay_alu instid0(SALU_CYCLE_1)
	s_or_b32 exec_lo, exec_lo, s11
.LBB244_765:                            ;   in Loop: Header=BB244_417 Depth=1
	s_delay_alu instid0(SALU_CYCLE_1) | instskip(SKIP_2) | instid1(VALU_DEP_1)
	s_or_b32 exec_lo, exec_lo, s2
	v_lshrrev_b16 v5, 8, v83
	s_mov_b32 s11, exec_lo
	v_cmpx_ne_u16_e32 0, v5
	s_cbranch_execz .LBB244_773
; %bb.766:                              ;   in Loop: Header=BB244_417 Depth=1
	v_dual_mov_b32 v16, s5 :: v_dual_mov_b32 v15, s4
	s_mov_b32 s13, exec_lo
	v_cmpx_ne_u16_e32 0x80, v5
	s_cbranch_execz .LBB244_772
; %bb.767:                              ;   in Loop: Header=BB244_417 Depth=1
	s_mov_b32 s2, s4
	v_dual_mov_b32 v16, s3 :: v_dual_and_b32 v5, 0xffff, v5
	v_mov_b32_e32 v15, s2
	s_mov_b32 s2, exec_lo
	s_delay_alu instid0(VALU_DEP_2) | instskip(NEXT) | instid1(VALU_DEP_1)
	v_and_b32_e32 v17, 0x7f, v5
	v_cmpx_ne_u32_e32 0x7f, v17
	s_cbranch_execz .LBB244_771
; %bb.768:                              ;   in Loop: Header=BB244_417 Depth=1
	v_and_b32_e32 v5, 7, v5
	v_lshrrev_b32_e32 v15, 3, v17
	s_mov_b32 s14, exec_lo
	v_cmpx_gt_u32_e32 8, v17
; %bb.769:                              ;   in Loop: Header=BB244_417 Depth=1
	s_delay_alu instid0(VALU_DEP_3) | instskip(NEXT) | instid1(VALU_DEP_1)
	v_clz_i32_u32_e32 v15, v5
	v_min_u32_e32 v15, 32, v15
	s_delay_alu instid0(VALU_DEP_1) | instskip(SKIP_1) | instid1(VALU_DEP_2)
	v_subrev_nc_u32_e32 v16, 28, v15
	v_sub_nc_u32_e32 v15, 29, v15
	v_lshlrev_b64 v[16:17], v16, v[5:6]
	s_delay_alu instid0(VALU_DEP_1)
	v_and_b32_e32 v5, 7, v16
; %bb.770:                              ;   in Loop: Header=BB244_417 Depth=1
	s_or_b32 exec_lo, exec_lo, s14
	v_lshlrev_b32_e32 v16, 16, v83
	s_delay_alu instid0(VALU_DEP_2) | instskip(SKIP_1) | instid1(VALU_DEP_3)
	v_lshlrev_b32_e32 v5, 20, v5
	v_lshl_add_u32 v15, v15, 23, 0x3c000000
	v_and_b32_e32 v16, 0x80000000, v16
	s_delay_alu instid0(VALU_DEP_1)
	v_or3_b32 v16, v5, v16, v15
	v_mov_b32_e32 v15, v6
.LBB244_771:                            ;   in Loop: Header=BB244_417 Depth=1
	s_or_b32 exec_lo, exec_lo, s2
.LBB244_772:                            ;   in Loop: Header=BB244_417 Depth=1
	s_delay_alu instid0(SALU_CYCLE_1)
	s_or_b32 exec_lo, exec_lo, s13
.LBB244_773:                            ;   in Loop: Header=BB244_417 Depth=1
	s_delay_alu instid0(SALU_CYCLE_1) | instskip(SKIP_4) | instid1(VALU_DEP_2)
	s_or_b32 exec_lo, exec_lo, s11
	v_mov_b32_e32 v19, 0
	v_lshrrev_b32_e32 v84, 16, v83
	v_mov_b32_e32 v20, 0
	s_mov_b32 s2, exec_lo
	v_and_b32_e32 v5, 0xff, v84
	s_delay_alu instid0(VALU_DEP_2) | instskip(NEXT) | instid1(VALU_DEP_2)
	v_dual_mov_b32 v17, v19 :: v_dual_mov_b32 v18, v20
	v_cmpx_ne_u16_e32 0, v5
	s_cbranch_execz .LBB244_781
; %bb.774:                              ;   in Loop: Header=BB244_417 Depth=1
	v_bfrev_b32_e32 v17, 1
	v_mov_b32_e32 v18, 0
	s_mov_b32 s11, exec_lo
	v_cmpx_ne_u16_e32 0x80, v5
	s_cbranch_execz .LBB244_780
; %bb.775:                              ;   in Loop: Header=BB244_417 Depth=1
	v_mov_b32_e32 v17, 0x7f800001
	v_bfe_u32 v85, v83, 16, 7
	v_mov_b32_e32 v18, 0
	s_mov_b32 s13, exec_lo
	s_delay_alu instid0(VALU_DEP_2)
	v_cmpx_ne_u32_e32 0x7f, v85
	s_cbranch_execz .LBB244_779
; %bb.776:                              ;   in Loop: Header=BB244_417 Depth=1
	v_and_b32_e32 v5, 7, v84
	v_lshrrev_b32_e32 v17, 3, v85
	s_mov_b32 s14, exec_lo
	v_cmpx_gt_u32_e32 8, v85
; %bb.777:                              ;   in Loop: Header=BB244_417 Depth=1
	s_delay_alu instid0(VALU_DEP_3) | instskip(NEXT) | instid1(VALU_DEP_1)
	v_clz_i32_u32_e32 v17, v5
	v_min_u32_e32 v17, 32, v17
	s_delay_alu instid0(VALU_DEP_1) | instskip(SKIP_1) | instid1(VALU_DEP_2)
	v_subrev_nc_u32_e32 v18, 28, v17
	v_sub_nc_u32_e32 v17, 29, v17
	v_lshlrev_b64 v[85:86], v18, v[5:6]
	s_delay_alu instid0(VALU_DEP_1)
	v_and_b32_e32 v5, 7, v85
; %bb.778:                              ;   in Loop: Header=BB244_417 Depth=1
	s_or_b32 exec_lo, exec_lo, s14
	v_lshlrev_b32_e32 v18, 24, v84
	s_delay_alu instid0(VALU_DEP_2) | instskip(SKIP_1) | instid1(VALU_DEP_3)
	v_lshlrev_b32_e32 v5, 20, v5
	v_lshl_add_u32 v17, v17, 23, 0x3c000000
	v_and_b32_e32 v18, 0x80000000, v18
	s_delay_alu instid0(VALU_DEP_1) | instskip(NEXT) | instid1(VALU_DEP_1)
	v_or3_b32 v5, v5, v18, v17
	v_dual_mov_b32 v18, v6 :: v_dual_mov_b32 v17, v5
.LBB244_779:                            ;   in Loop: Header=BB244_417 Depth=1
	s_or_b32 exec_lo, exec_lo, s13
.LBB244_780:                            ;   in Loop: Header=BB244_417 Depth=1
	s_delay_alu instid0(SALU_CYCLE_1)
	s_or_b32 exec_lo, exec_lo, s11
.LBB244_781:                            ;   in Loop: Header=BB244_417 Depth=1
	s_delay_alu instid0(SALU_CYCLE_1) | instskip(NEXT) | instid1(SALU_CYCLE_1)
	s_or_b32 exec_lo, exec_lo, s2
	s_mov_b32 s11, exec_lo
	v_cmpx_lt_u32_e32 0xffffff, v83
	s_cbranch_execz .LBB244_789
; %bb.782:                              ;   in Loop: Header=BB244_417 Depth=1
	v_lshrrev_b32_e32 v84, 24, v83
	v_dual_mov_b32 v20, s5 :: v_dual_mov_b32 v19, s4
	s_mov_b32 s13, exec_lo
	s_delay_alu instid0(VALU_DEP_2)
	v_cmpx_ne_u32_e32 0x80, v84
	s_cbranch_execz .LBB244_788
; %bb.783:                              ;   in Loop: Header=BB244_417 Depth=1
	s_mov_b32 s2, s4
	v_bfe_u32 v83, v83, 24, 7
	v_dual_mov_b32 v20, s3 :: v_dual_mov_b32 v19, s2
	s_mov_b32 s2, exec_lo
	s_delay_alu instid0(VALU_DEP_2)
	v_cmpx_ne_u32_e32 0x7f, v83
	s_cbranch_execz .LBB244_787
; %bb.784:                              ;   in Loop: Header=BB244_417 Depth=1
	v_and_b32_e32 v5, 7, v84
	v_lshrrev_b32_e32 v19, 3, v83
	s_mov_b32 s14, exec_lo
	v_cmpx_gt_u32_e32 8, v83
; %bb.785:                              ;   in Loop: Header=BB244_417 Depth=1
	s_delay_alu instid0(VALU_DEP_3) | instskip(NEXT) | instid1(VALU_DEP_1)
	v_clz_i32_u32_e32 v19, v5
	v_min_u32_e32 v19, 32, v19
	s_delay_alu instid0(VALU_DEP_1) | instskip(SKIP_1) | instid1(VALU_DEP_2)
	v_subrev_nc_u32_e32 v20, 28, v19
	v_sub_nc_u32_e32 v19, 29, v19
	v_lshlrev_b64 v[85:86], v20, v[5:6]
	s_delay_alu instid0(VALU_DEP_1)
	v_and_b32_e32 v5, 7, v85
; %bb.786:                              ;   in Loop: Header=BB244_417 Depth=1
	s_or_b32 exec_lo, exec_lo, s14
	v_lshlrev_b32_e32 v20, 24, v84
	s_delay_alu instid0(VALU_DEP_2) | instskip(SKIP_1) | instid1(VALU_DEP_3)
	v_lshlrev_b32_e32 v5, 20, v5
	v_lshl_add_u32 v19, v19, 23, 0x3c000000
	v_and_b32_e32 v20, 0x80000000, v20
	s_delay_alu instid0(VALU_DEP_1)
	v_or3_b32 v20, v5, v20, v19
	v_mov_b32_e32 v19, v6
.LBB244_787:                            ;   in Loop: Header=BB244_417 Depth=1
	s_or_b32 exec_lo, exec_lo, s2
.LBB244_788:                            ;   in Loop: Header=BB244_417 Depth=1
	s_delay_alu instid0(SALU_CYCLE_1)
	s_or_b32 exec_lo, exec_lo, s13
.LBB244_789:                            ;   in Loop: Header=BB244_417 Depth=1
	s_delay_alu instid0(SALU_CYCLE_1) | instskip(SKIP_4) | instid1(VALU_DEP_4)
	s_or_b32 exec_lo, exec_lo, s11
	v_or_b32_e32 v5, v16, v14
	v_or_b32_e32 v13, v15, v13
	;; [unrolled: 1-line block ×4, first 2 shown]
	v_mul_f32_e32 v84, s9, v5
	s_delay_alu instid0(VALU_DEP_4) | instskip(NEXT) | instid1(VALU_DEP_3)
	v_mul_f32_e32 v83, s7, v13
	v_dual_mul_f32 v19, s9, v14 :: v_dual_mul_f32 v20, s7, v15
	s_and_saveexec_b32 s2, vcc_lo
; %bb.790:                              ;   in Loop: Header=BB244_417 Depth=1
	v_cmp_gt_i32_e64 s0, s33, v43
	s_delay_alu instid0(VALU_DEP_1) | instskip(SKIP_1) | instid1(VALU_DEP_1)
	v_cndmask_b32_e64 v83, 0, v83, s0
	v_cmp_gt_i32_e64 s0, s33, v45
	v_cndmask_b32_e64 v84, 0, v84, s0
	v_cmp_gt_i32_e64 s0, s33, v44
	s_delay_alu instid0(VALU_DEP_1) | instskip(SKIP_1) | instid1(VALU_DEP_1)
	v_cndmask_b32_e64 v20, 0, v20, s0
	v_cmp_gt_i32_e64 s0, s33, v37
	v_cndmask_b32_e64 v19, 0, v19, s0
; %bb.791:                              ;   in Loop: Header=BB244_417 Depth=1
	s_or_b32 exec_lo, exec_lo, s2
	global_load_b32 v85, v[11:12], off offset:1408
	v_mov_b32_e32 v13, 0
	v_mov_b32_e32 v14, 0
	s_mov_b32 s2, exec_lo
	s_waitcnt vmcnt(0)
	v_and_b32_e32 v5, 0xff, v85
	s_delay_alu instid0(VALU_DEP_2) | instskip(NEXT) | instid1(VALU_DEP_2)
	v_dual_mov_b32 v11, v13 :: v_dual_mov_b32 v12, v14
	v_cmpx_ne_u16_e32 0, v5
	s_cbranch_execz .LBB244_799
; %bb.792:                              ;   in Loop: Header=BB244_417 Depth=1
	v_bfrev_b32_e32 v11, 1
	v_mov_b32_e32 v12, 0
	s_mov_b32 s11, exec_lo
	v_cmpx_ne_u16_e32 0x80, v5
	s_cbranch_execz .LBB244_798
; %bb.793:                              ;   in Loop: Header=BB244_417 Depth=1
	v_mov_b32_e32 v11, 0x7f800001
	v_dual_mov_b32 v12, 0 :: v_dual_and_b32 v15, 0x7f, v85
	s_mov_b32 s13, exec_lo
	s_delay_alu instid0(VALU_DEP_1)
	v_cmpx_ne_u32_e32 0x7f, v15
	s_cbranch_execz .LBB244_797
; %bb.794:                              ;   in Loop: Header=BB244_417 Depth=1
	v_and_b32_e32 v5, 7, v85
	v_lshrrev_b32_e32 v11, 3, v15
	s_mov_b32 s14, exec_lo
	v_cmpx_gt_u32_e32 8, v15
; %bb.795:                              ;   in Loop: Header=BB244_417 Depth=1
	s_delay_alu instid0(VALU_DEP_3) | instskip(NEXT) | instid1(VALU_DEP_1)
	v_clz_i32_u32_e32 v11, v5
	v_min_u32_e32 v11, 32, v11
	s_delay_alu instid0(VALU_DEP_1) | instskip(SKIP_1) | instid1(VALU_DEP_2)
	v_subrev_nc_u32_e32 v12, 28, v11
	v_sub_nc_u32_e32 v11, 29, v11
	v_lshlrev_b64 v[15:16], v12, v[5:6]
	s_delay_alu instid0(VALU_DEP_1)
	v_and_b32_e32 v5, 7, v15
; %bb.796:                              ;   in Loop: Header=BB244_417 Depth=1
	s_or_b32 exec_lo, exec_lo, s14
	v_lshlrev_b32_e32 v12, 24, v85
	s_delay_alu instid0(VALU_DEP_2) | instskip(SKIP_1) | instid1(VALU_DEP_3)
	v_lshlrev_b32_e32 v5, 20, v5
	v_lshl_add_u32 v11, v11, 23, 0x3c000000
	v_and_b32_e32 v12, 0x80000000, v12
	s_delay_alu instid0(VALU_DEP_1) | instskip(NEXT) | instid1(VALU_DEP_1)
	v_or3_b32 v5, v5, v12, v11
	v_dual_mov_b32 v12, v6 :: v_dual_mov_b32 v11, v5
.LBB244_797:                            ;   in Loop: Header=BB244_417 Depth=1
	s_or_b32 exec_lo, exec_lo, s13
.LBB244_798:                            ;   in Loop: Header=BB244_417 Depth=1
	s_delay_alu instid0(SALU_CYCLE_1)
	s_or_b32 exec_lo, exec_lo, s11
.LBB244_799:                            ;   in Loop: Header=BB244_417 Depth=1
	s_delay_alu instid0(SALU_CYCLE_1) | instskip(SKIP_2) | instid1(VALU_DEP_1)
	s_or_b32 exec_lo, exec_lo, s2
	v_lshrrev_b16 v5, 8, v85
	s_mov_b32 s11, exec_lo
	v_cmpx_ne_u16_e32 0, v5
	s_cbranch_execz .LBB244_807
; %bb.800:                              ;   in Loop: Header=BB244_417 Depth=1
	v_dual_mov_b32 v14, s5 :: v_dual_mov_b32 v13, s4
	s_mov_b32 s13, exec_lo
	v_cmpx_ne_u16_e32 0x80, v5
	s_cbranch_execz .LBB244_806
; %bb.801:                              ;   in Loop: Header=BB244_417 Depth=1
	s_mov_b32 s2, s4
	v_dual_mov_b32 v14, s3 :: v_dual_and_b32 v5, 0xffff, v5
	v_mov_b32_e32 v13, s2
	s_mov_b32 s2, exec_lo
	s_delay_alu instid0(VALU_DEP_2) | instskip(NEXT) | instid1(VALU_DEP_1)
	v_and_b32_e32 v15, 0x7f, v5
	v_cmpx_ne_u32_e32 0x7f, v15
	s_cbranch_execz .LBB244_805
; %bb.802:                              ;   in Loop: Header=BB244_417 Depth=1
	v_and_b32_e32 v5, 7, v5
	v_lshrrev_b32_e32 v13, 3, v15
	s_mov_b32 s14, exec_lo
	v_cmpx_gt_u32_e32 8, v15
; %bb.803:                              ;   in Loop: Header=BB244_417 Depth=1
	s_delay_alu instid0(VALU_DEP_3) | instskip(NEXT) | instid1(VALU_DEP_1)
	v_clz_i32_u32_e32 v13, v5
	v_min_u32_e32 v13, 32, v13
	s_delay_alu instid0(VALU_DEP_1) | instskip(SKIP_1) | instid1(VALU_DEP_2)
	v_subrev_nc_u32_e32 v14, 28, v13
	v_sub_nc_u32_e32 v13, 29, v13
	v_lshlrev_b64 v[14:15], v14, v[5:6]
	s_delay_alu instid0(VALU_DEP_1)
	v_and_b32_e32 v5, 7, v14
; %bb.804:                              ;   in Loop: Header=BB244_417 Depth=1
	s_or_b32 exec_lo, exec_lo, s14
	v_lshlrev_b32_e32 v14, 16, v85
	s_delay_alu instid0(VALU_DEP_2) | instskip(SKIP_1) | instid1(VALU_DEP_3)
	v_lshlrev_b32_e32 v5, 20, v5
	v_lshl_add_u32 v13, v13, 23, 0x3c000000
	v_and_b32_e32 v14, 0x80000000, v14
	s_delay_alu instid0(VALU_DEP_1)
	v_or3_b32 v14, v5, v14, v13
	v_mov_b32_e32 v13, v6
.LBB244_805:                            ;   in Loop: Header=BB244_417 Depth=1
	s_or_b32 exec_lo, exec_lo, s2
.LBB244_806:                            ;   in Loop: Header=BB244_417 Depth=1
	s_delay_alu instid0(SALU_CYCLE_1)
	s_or_b32 exec_lo, exec_lo, s13
.LBB244_807:                            ;   in Loop: Header=BB244_417 Depth=1
	s_delay_alu instid0(SALU_CYCLE_1) | instskip(SKIP_4) | instid1(VALU_DEP_2)
	s_or_b32 exec_lo, exec_lo, s11
	v_mov_b32_e32 v17, 0
	v_lshrrev_b32_e32 v86, 16, v85
	v_mov_b32_e32 v18, 0
	s_mov_b32 s2, exec_lo
	v_and_b32_e32 v5, 0xff, v86
	s_delay_alu instid0(VALU_DEP_2) | instskip(NEXT) | instid1(VALU_DEP_2)
	v_dual_mov_b32 v15, v17 :: v_dual_mov_b32 v16, v18
	v_cmpx_ne_u16_e32 0, v5
	s_cbranch_execz .LBB244_815
; %bb.808:                              ;   in Loop: Header=BB244_417 Depth=1
	v_bfrev_b32_e32 v15, 1
	v_mov_b32_e32 v16, 0
	s_mov_b32 s11, exec_lo
	v_cmpx_ne_u16_e32 0x80, v5
	s_cbranch_execz .LBB244_814
; %bb.809:                              ;   in Loop: Header=BB244_417 Depth=1
	v_mov_b32_e32 v15, 0x7f800001
	v_bfe_u32 v87, v85, 16, 7
	v_mov_b32_e32 v16, 0
	s_mov_b32 s13, exec_lo
	s_delay_alu instid0(VALU_DEP_2)
	v_cmpx_ne_u32_e32 0x7f, v87
	s_cbranch_execz .LBB244_813
; %bb.810:                              ;   in Loop: Header=BB244_417 Depth=1
	v_and_b32_e32 v5, 7, v86
	v_lshrrev_b32_e32 v15, 3, v87
	s_mov_b32 s14, exec_lo
	v_cmpx_gt_u32_e32 8, v87
; %bb.811:                              ;   in Loop: Header=BB244_417 Depth=1
	s_delay_alu instid0(VALU_DEP_3) | instskip(NEXT) | instid1(VALU_DEP_1)
	v_clz_i32_u32_e32 v15, v5
	v_min_u32_e32 v15, 32, v15
	s_delay_alu instid0(VALU_DEP_1) | instskip(SKIP_1) | instid1(VALU_DEP_2)
	v_subrev_nc_u32_e32 v16, 28, v15
	v_sub_nc_u32_e32 v15, 29, v15
	v_lshlrev_b64 v[87:88], v16, v[5:6]
	s_delay_alu instid0(VALU_DEP_1)
	v_and_b32_e32 v5, 7, v87
; %bb.812:                              ;   in Loop: Header=BB244_417 Depth=1
	s_or_b32 exec_lo, exec_lo, s14
	v_lshlrev_b32_e32 v16, 24, v86
	s_delay_alu instid0(VALU_DEP_2) | instskip(SKIP_1) | instid1(VALU_DEP_3)
	v_lshlrev_b32_e32 v5, 20, v5
	v_lshl_add_u32 v15, v15, 23, 0x3c000000
	v_and_b32_e32 v16, 0x80000000, v16
	s_delay_alu instid0(VALU_DEP_1) | instskip(NEXT) | instid1(VALU_DEP_1)
	v_or3_b32 v5, v5, v16, v15
	v_dual_mov_b32 v16, v6 :: v_dual_mov_b32 v15, v5
.LBB244_813:                            ;   in Loop: Header=BB244_417 Depth=1
	s_or_b32 exec_lo, exec_lo, s13
.LBB244_814:                            ;   in Loop: Header=BB244_417 Depth=1
	s_delay_alu instid0(SALU_CYCLE_1)
	s_or_b32 exec_lo, exec_lo, s11
.LBB244_815:                            ;   in Loop: Header=BB244_417 Depth=1
	s_delay_alu instid0(SALU_CYCLE_1) | instskip(NEXT) | instid1(SALU_CYCLE_1)
	s_or_b32 exec_lo, exec_lo, s2
	s_mov_b32 s11, exec_lo
	v_cmpx_lt_u32_e32 0xffffff, v85
	s_cbranch_execz .LBB244_823
; %bb.816:                              ;   in Loop: Header=BB244_417 Depth=1
	v_lshrrev_b32_e32 v86, 24, v85
	v_dual_mov_b32 v18, s5 :: v_dual_mov_b32 v17, s4
	s_mov_b32 s13, exec_lo
	s_delay_alu instid0(VALU_DEP_2)
	v_cmpx_ne_u32_e32 0x80, v86
	s_cbranch_execz .LBB244_822
; %bb.817:                              ;   in Loop: Header=BB244_417 Depth=1
	s_mov_b32 s2, s4
	v_bfe_u32 v85, v85, 24, 7
	v_dual_mov_b32 v18, s3 :: v_dual_mov_b32 v17, s2
	s_mov_b32 s2, exec_lo
	s_delay_alu instid0(VALU_DEP_2)
	v_cmpx_ne_u32_e32 0x7f, v85
	s_cbranch_execz .LBB244_821
; %bb.818:                              ;   in Loop: Header=BB244_417 Depth=1
	v_and_b32_e32 v5, 7, v86
	v_lshrrev_b32_e32 v17, 3, v85
	s_mov_b32 s14, exec_lo
	v_cmpx_gt_u32_e32 8, v85
; %bb.819:                              ;   in Loop: Header=BB244_417 Depth=1
	s_delay_alu instid0(VALU_DEP_3) | instskip(NEXT) | instid1(VALU_DEP_1)
	v_clz_i32_u32_e32 v17, v5
	v_min_u32_e32 v17, 32, v17
	s_delay_alu instid0(VALU_DEP_1) | instskip(SKIP_1) | instid1(VALU_DEP_2)
	v_subrev_nc_u32_e32 v18, 28, v17
	v_sub_nc_u32_e32 v17, 29, v17
	v_lshlrev_b64 v[87:88], v18, v[5:6]
	s_delay_alu instid0(VALU_DEP_1)
	v_and_b32_e32 v5, 7, v87
; %bb.820:                              ;   in Loop: Header=BB244_417 Depth=1
	s_or_b32 exec_lo, exec_lo, s14
	v_lshlrev_b32_e32 v18, 24, v86
	s_delay_alu instid0(VALU_DEP_2) | instskip(SKIP_1) | instid1(VALU_DEP_3)
	v_lshlrev_b32_e32 v5, 20, v5
	v_lshl_add_u32 v17, v17, 23, 0x3c000000
	v_and_b32_e32 v18, 0x80000000, v18
	s_delay_alu instid0(VALU_DEP_1)
	v_or3_b32 v18, v5, v18, v17
	v_mov_b32_e32 v17, v6
.LBB244_821:                            ;   in Loop: Header=BB244_417 Depth=1
	s_or_b32 exec_lo, exec_lo, s2
.LBB244_822:                            ;   in Loop: Header=BB244_417 Depth=1
	s_delay_alu instid0(SALU_CYCLE_1)
	s_or_b32 exec_lo, exec_lo, s13
.LBB244_823:                            ;   in Loop: Header=BB244_417 Depth=1
	s_delay_alu instid0(SALU_CYCLE_1) | instskip(SKIP_4) | instid1(VALU_DEP_3)
	s_or_b32 exec_lo, exec_lo, s11
	v_or_b32_e32 v5, v14, v12
	v_or_b32_e32 v11, v13, v11
	;; [unrolled: 1-line block ×4, first 2 shown]
	v_dual_mul_f32 v13, s9, v5 :: v_dual_mul_f32 v12, s7, v11
	s_delay_alu instid0(VALU_DEP_3) | instskip(NEXT) | instid1(VALU_DEP_3)
	v_mul_f32_e32 v5, s9, v14
	v_mul_f32_e32 v11, s7, v15
	s_and_saveexec_b32 s0, vcc_lo
	s_cbranch_execz .LBB244_416
; %bb.824:                              ;   in Loop: Header=BB244_417 Depth=1
	v_cmp_gt_i32_e32 vcc_lo, s33, v43
	v_cndmask_b32_e32 v12, 0, v12, vcc_lo
	v_cmp_gt_i32_e32 vcc_lo, s33, v45
	v_cndmask_b32_e32 v13, 0, v13, vcc_lo
	;; [unrolled: 2-line block ×4, first 2 shown]
	s_branch .LBB244_416
.LBB244_825:
	s_or_b32 exec_lo, exec_lo, s10
.LBB244_826:
	s_delay_alu instid0(SALU_CYCLE_1)
	s_or_b32 exec_lo, exec_lo, s1
	ds_bpermute_b32 v1, v22, v34
	ds_bpermute_b32 v3, v22, v35
	;; [unrolled: 1-line block ×12, first 2 shown]
	s_movk_i32 s0, 0x180
	s_waitcnt lgkmcnt(0)
	s_waitcnt_vscnt null, 0x0
	s_barrier
	buffer_gl0_inv
	v_add_f32_e32 v1, v34, v1
	v_dual_add_f32 v3, v35, v3 :: v_dual_add_f32 v2, v36, v2
	v_dual_add_f32 v4, v33, v4 :: v_dual_add_f32 v5, v32, v5
	v_dual_add_f32 v6, v31, v6 :: v_dual_add_f32 v7, v30, v7
	v_dual_add_f32 v8, v29, v8 :: v_dual_add_f32 v9, v28, v9
	v_dual_add_f32 v10, v27, v10 :: v_dual_add_f32 v11, v26, v11
	v_add_f32_e32 v12, v25, v12
	ds_bpermute_b32 v13, v23, v1
	ds_bpermute_b32 v15, v23, v3
	;; [unrolled: 1-line block ×12, first 2 shown]
	s_waitcnt lgkmcnt(11)
	v_add_f32_e32 v1, v1, v13
	s_waitcnt lgkmcnt(10)
	v_add_f32_e32 v3, v3, v15
	v_and_b32_e32 v15, 0x3c3, v0
	s_waitcnt lgkmcnt(8)
	v_add_f32_e32 v4, v4, v16
	v_lshrrev_b32_e32 v13, 2, v21
	s_waitcnt lgkmcnt(7)
	v_dual_add_f32 v2, v2, v14 :: v_dual_add_f32 v5, v5, v17
	s_waitcnt lgkmcnt(5)
	v_dual_add_f32 v6, v6, v18 :: v_dual_add_f32 v7, v7, v19
	;; [unrolled: 2-line block ×4, first 2 shown]
	s_waitcnt lgkmcnt(0)
	v_add_f32_e32 v12, v12, v23
	v_mad_u32_u24 v14, v153, s0, 0x1a0
	v_cmp_eq_u32_e32 vcc_lo, 64, v15
	v_lshlrev_b32_e32 v15, 2, v13
	s_and_saveexec_b32 s0, vcc_lo
	s_cbranch_execz .LBB244_828
; %bb.827:
	s_delay_alu instid0(VALU_DEP_1)
	v_add3_u32 v16, v14, v15, 0xfffffd00
	ds_store_2addr_b32 v16, v1, v2 offset1:8
	ds_store_2addr_b32 v16, v3, v4 offset0:16 offset1:24
	ds_store_2addr_b32 v16, v5, v6 offset0:32 offset1:40
	;; [unrolled: 1-line block ×5, first 2 shown]
.LBB244_828:
	s_or_b32 exec_lo, exec_lo, s0
	v_cmp_eq_u32_e32 vcc_lo, 0, v24
	s_mov_b32 s1, exec_lo
	s_waitcnt lgkmcnt(0)
	s_barrier
	buffer_gl0_inv
	v_cmpx_gt_u32_e32 64, v0
	s_cbranch_execz .LBB244_843
; %bb.829:
	s_and_saveexec_b32 s0, vcc_lo
	s_cbranch_execnz .LBB244_863
; %bb.830:
	s_or_b32 exec_lo, exec_lo, s0
	s_and_saveexec_b32 s0, vcc_lo
	s_cbranch_execnz .LBB244_864
.LBB244_831:
	s_or_b32 exec_lo, exec_lo, s0
	s_and_saveexec_b32 s0, vcc_lo
	s_cbranch_execnz .LBB244_865
.LBB244_832:
	s_or_b32 exec_lo, exec_lo, s0
	s_and_saveexec_b32 s0, vcc_lo
	s_cbranch_execnz .LBB244_866
.LBB244_833:
	s_or_b32 exec_lo, exec_lo, s0
	s_and_saveexec_b32 s0, vcc_lo
	s_cbranch_execnz .LBB244_867
.LBB244_834:
	s_or_b32 exec_lo, exec_lo, s0
	s_and_saveexec_b32 s0, vcc_lo
	s_cbranch_execnz .LBB244_868
.LBB244_835:
	s_or_b32 exec_lo, exec_lo, s0
	s_and_saveexec_b32 s0, vcc_lo
	s_cbranch_execnz .LBB244_869
.LBB244_836:
	s_or_b32 exec_lo, exec_lo, s0
	s_and_saveexec_b32 s0, vcc_lo
	s_cbranch_execnz .LBB244_870
.LBB244_837:
	s_or_b32 exec_lo, exec_lo, s0
	s_and_saveexec_b32 s0, vcc_lo
	s_cbranch_execnz .LBB244_871
.LBB244_838:
	s_or_b32 exec_lo, exec_lo, s0
	s_and_saveexec_b32 s0, vcc_lo
	s_cbranch_execnz .LBB244_872
.LBB244_839:
	s_or_b32 exec_lo, exec_lo, s0
	s_and_saveexec_b32 s0, vcc_lo
	s_cbranch_execnz .LBB244_873
.LBB244_840:
	s_or_b32 exec_lo, exec_lo, s0
	s_and_saveexec_b32 s0, vcc_lo
	s_cbranch_execz .LBB244_842
.LBB244_841:
	v_lshl_add_u32 v16, v13, 2, v14
	ds_load_b32 v16, v16 offset:352
	s_waitcnt lgkmcnt(0)
	v_add_f32_e32 v12, v12, v16
.LBB244_842:
	s_or_b32 exec_lo, exec_lo, s0
.LBB244_843:
	s_delay_alu instid0(SALU_CYCLE_1)
	s_or_b32 exec_lo, exec_lo, s1
	v_and_b32_e32 v16, 0x3e3, v0
	s_mov_b32 s1, exec_lo
	s_barrier
	buffer_gl0_inv
	v_cmpx_eq_u32_e32 32, v16
	s_cbranch_execz .LBB244_845
; %bb.844:
	v_add3_u32 v15, v14, v15, 0xfffffe80
	ds_store_2addr_b32 v15, v1, v2 offset1:8
	ds_store_2addr_b32 v15, v3, v4 offset0:16 offset1:24
	ds_store_2addr_b32 v15, v5, v6 offset0:32 offset1:40
	;; [unrolled: 1-line block ×5, first 2 shown]
.LBB244_845:
	s_or_b32 exec_lo, exec_lo, s1
	s_delay_alu instid0(SALU_CYCLE_1)
	s_mov_b32 s1, exec_lo
	s_waitcnt lgkmcnt(0)
	s_barrier
	buffer_gl0_inv
	v_cmpx_gt_u32_e32 32, v0
	s_cbranch_execz .LBB244_860
; %bb.846:
	v_lshl_add_u32 v13, v13, 2, v14
	s_and_saveexec_b32 s0, vcc_lo
	s_cbranch_execnz .LBB244_874
; %bb.847:
	s_or_b32 exec_lo, exec_lo, s0
	s_and_saveexec_b32 s0, vcc_lo
	s_cbranch_execnz .LBB244_875
.LBB244_848:
	s_or_b32 exec_lo, exec_lo, s0
	s_and_saveexec_b32 s0, vcc_lo
	s_cbranch_execnz .LBB244_876
.LBB244_849:
	s_or_b32 exec_lo, exec_lo, s0
	s_and_saveexec_b32 s0, vcc_lo
	s_cbranch_execnz .LBB244_877
.LBB244_850:
	s_or_b32 exec_lo, exec_lo, s0
	s_and_saveexec_b32 s0, vcc_lo
	s_cbranch_execnz .LBB244_878
.LBB244_851:
	s_or_b32 exec_lo, exec_lo, s0
	s_and_saveexec_b32 s0, vcc_lo
	s_cbranch_execnz .LBB244_879
.LBB244_852:
	s_or_b32 exec_lo, exec_lo, s0
	s_and_saveexec_b32 s0, vcc_lo
	s_cbranch_execnz .LBB244_880
.LBB244_853:
	s_or_b32 exec_lo, exec_lo, s0
	s_and_saveexec_b32 s0, vcc_lo
	s_cbranch_execnz .LBB244_881
.LBB244_854:
	s_or_b32 exec_lo, exec_lo, s0
	s_and_saveexec_b32 s0, vcc_lo
	s_cbranch_execnz .LBB244_882
.LBB244_855:
	s_or_b32 exec_lo, exec_lo, s0
	s_and_saveexec_b32 s0, vcc_lo
	s_cbranch_execnz .LBB244_883
.LBB244_856:
	s_or_b32 exec_lo, exec_lo, s0
	s_and_saveexec_b32 s0, vcc_lo
	s_cbranch_execnz .LBB244_884
.LBB244_857:
	s_or_b32 exec_lo, exec_lo, s0
	s_and_saveexec_b32 s0, vcc_lo
	s_cbranch_execz .LBB244_859
.LBB244_858:
	ds_load_b32 v13, v13 offset:352
	s_waitcnt lgkmcnt(0)
	v_add_f32_e32 v12, v12, v13
.LBB244_859:
	s_or_b32 exec_lo, exec_lo, s0
.LBB244_860:
	s_delay_alu instid0(SALU_CYCLE_1)
	s_or_b32 exec_lo, exec_lo, s1
	s_barrier
	buffer_gl0_inv
	s_mov_b32 s0, exec_lo
	v_cmpx_eq_u32_e32 0, v16
	s_cbranch_execz .LBB244_862
; %bb.861:
	s_mul_i32 s0, s6, 0x60
	s_mul_i32 s2, s15, s20
	s_ashr_i32 s1, s0, 31
	s_delay_alu instid0(SALU_CYCLE_1) | instskip(NEXT) | instid1(SALU_CYCLE_1)
	s_lshl_b64 s[0:1], s[0:1], 2
	s_add_u32 s4, s22, s0
	s_addc_u32 s5, s23, s1
	s_ashr_i32 s3, s2, 31
	s_delay_alu instid0(SALU_CYCLE_1) | instskip(SKIP_4) | instid1(SALU_CYCLE_1)
	s_lshl_b64 s[0:1], s[2:3], 2
	s_mul_i32 s2, s12, 0x60
	s_add_u32 s4, s4, s0
	s_addc_u32 s5, s5, s1
	s_ashr_i32 s3, s2, 31
	s_lshl_b64 s[0:1], s[2:3], 2
	s_delay_alu instid0(SALU_CYCLE_1)
	s_add_u32 s0, s4, s0
	s_addc_u32 s1, s5, s1
	s_clause 0xb
	global_store_b32 v0, v1, s[0:1]
	global_store_b32 v0, v2, s[0:1] offset:32
	global_store_b32 v0, v3, s[0:1] offset:64
	;; [unrolled: 1-line block ×11, first 2 shown]
.LBB244_862:
	s_nop 0
	s_sendmsg sendmsg(MSG_DEALLOC_VGPRS)
	s_endpgm
.LBB244_863:
	v_lshl_add_u32 v16, v13, 2, v14
	ds_load_b32 v16, v16
	s_waitcnt lgkmcnt(0)
	v_add_f32_e32 v1, v1, v16
	s_or_b32 exec_lo, exec_lo, s0
	s_and_saveexec_b32 s0, vcc_lo
	s_cbranch_execz .LBB244_831
.LBB244_864:
	v_lshl_add_u32 v16, v13, 2, v14
	ds_load_b32 v16, v16 offset:32
	s_waitcnt lgkmcnt(0)
	v_add_f32_e32 v2, v2, v16
	s_or_b32 exec_lo, exec_lo, s0
	s_and_saveexec_b32 s0, vcc_lo
	s_cbranch_execz .LBB244_832
.LBB244_865:
	v_lshl_add_u32 v16, v13, 2, v14
	ds_load_b32 v16, v16 offset:64
	s_waitcnt lgkmcnt(0)
	v_add_f32_e32 v3, v3, v16
	s_or_b32 exec_lo, exec_lo, s0
	s_and_saveexec_b32 s0, vcc_lo
	s_cbranch_execz .LBB244_833
.LBB244_866:
	v_lshl_add_u32 v16, v13, 2, v14
	ds_load_b32 v16, v16 offset:96
	s_waitcnt lgkmcnt(0)
	v_add_f32_e32 v4, v4, v16
	s_or_b32 exec_lo, exec_lo, s0
	s_and_saveexec_b32 s0, vcc_lo
	s_cbranch_execz .LBB244_834
.LBB244_867:
	v_lshl_add_u32 v16, v13, 2, v14
	ds_load_b32 v16, v16 offset:128
	s_waitcnt lgkmcnt(0)
	v_add_f32_e32 v5, v5, v16
	s_or_b32 exec_lo, exec_lo, s0
	s_and_saveexec_b32 s0, vcc_lo
	s_cbranch_execz .LBB244_835
.LBB244_868:
	v_lshl_add_u32 v16, v13, 2, v14
	ds_load_b32 v16, v16 offset:160
	s_waitcnt lgkmcnt(0)
	v_add_f32_e32 v6, v6, v16
	s_or_b32 exec_lo, exec_lo, s0
	s_and_saveexec_b32 s0, vcc_lo
	s_cbranch_execz .LBB244_836
.LBB244_869:
	v_lshl_add_u32 v16, v13, 2, v14
	ds_load_b32 v16, v16 offset:192
	s_waitcnt lgkmcnt(0)
	v_add_f32_e32 v7, v7, v16
	s_or_b32 exec_lo, exec_lo, s0
	s_and_saveexec_b32 s0, vcc_lo
	s_cbranch_execz .LBB244_837
.LBB244_870:
	v_lshl_add_u32 v16, v13, 2, v14
	ds_load_b32 v16, v16 offset:224
	s_waitcnt lgkmcnt(0)
	v_add_f32_e32 v8, v8, v16
	s_or_b32 exec_lo, exec_lo, s0
	s_and_saveexec_b32 s0, vcc_lo
	s_cbranch_execz .LBB244_838
.LBB244_871:
	v_lshl_add_u32 v16, v13, 2, v14
	ds_load_b32 v16, v16 offset:256
	s_waitcnt lgkmcnt(0)
	v_add_f32_e32 v9, v9, v16
	s_or_b32 exec_lo, exec_lo, s0
	s_and_saveexec_b32 s0, vcc_lo
	s_cbranch_execz .LBB244_839
.LBB244_872:
	v_lshl_add_u32 v16, v13, 2, v14
	ds_load_b32 v16, v16 offset:288
	s_waitcnt lgkmcnt(0)
	v_add_f32_e32 v10, v10, v16
	s_or_b32 exec_lo, exec_lo, s0
	s_and_saveexec_b32 s0, vcc_lo
	s_cbranch_execz .LBB244_840
.LBB244_873:
	v_lshl_add_u32 v16, v13, 2, v14
	ds_load_b32 v16, v16 offset:320
	s_waitcnt lgkmcnt(0)
	v_add_f32_e32 v11, v11, v16
	s_or_b32 exec_lo, exec_lo, s0
	s_and_saveexec_b32 s0, vcc_lo
	s_cbranch_execnz .LBB244_841
	s_branch .LBB244_842
.LBB244_874:
	ds_load_b32 v14, v13
	s_waitcnt lgkmcnt(0)
	v_add_f32_e32 v1, v1, v14
	s_or_b32 exec_lo, exec_lo, s0
	s_and_saveexec_b32 s0, vcc_lo
	s_cbranch_execz .LBB244_848
.LBB244_875:
	ds_load_b32 v14, v13 offset:32
	s_waitcnt lgkmcnt(0)
	v_add_f32_e32 v2, v2, v14
	s_or_b32 exec_lo, exec_lo, s0
	s_and_saveexec_b32 s0, vcc_lo
	s_cbranch_execz .LBB244_849
.LBB244_876:
	ds_load_b32 v14, v13 offset:64
	s_waitcnt lgkmcnt(0)
	v_add_f32_e32 v3, v3, v14
	s_or_b32 exec_lo, exec_lo, s0
	s_and_saveexec_b32 s0, vcc_lo
	s_cbranch_execz .LBB244_850
.LBB244_877:
	ds_load_b32 v14, v13 offset:96
	s_waitcnt lgkmcnt(0)
	v_add_f32_e32 v4, v4, v14
	s_or_b32 exec_lo, exec_lo, s0
	s_and_saveexec_b32 s0, vcc_lo
	s_cbranch_execz .LBB244_851
.LBB244_878:
	ds_load_b32 v14, v13 offset:128
	s_waitcnt lgkmcnt(0)
	v_add_f32_e32 v5, v5, v14
	s_or_b32 exec_lo, exec_lo, s0
	s_and_saveexec_b32 s0, vcc_lo
	s_cbranch_execz .LBB244_852
.LBB244_879:
	ds_load_b32 v14, v13 offset:160
	s_waitcnt lgkmcnt(0)
	v_add_f32_e32 v6, v6, v14
	s_or_b32 exec_lo, exec_lo, s0
	s_and_saveexec_b32 s0, vcc_lo
	s_cbranch_execz .LBB244_853
.LBB244_880:
	ds_load_b32 v14, v13 offset:192
	s_waitcnt lgkmcnt(0)
	v_add_f32_e32 v7, v7, v14
	s_or_b32 exec_lo, exec_lo, s0
	s_and_saveexec_b32 s0, vcc_lo
	s_cbranch_execz .LBB244_854
.LBB244_881:
	ds_load_b32 v14, v13 offset:224
	s_waitcnt lgkmcnt(0)
	v_add_f32_e32 v8, v8, v14
	s_or_b32 exec_lo, exec_lo, s0
	s_and_saveexec_b32 s0, vcc_lo
	s_cbranch_execz .LBB244_855
.LBB244_882:
	ds_load_b32 v14, v13 offset:256
	s_waitcnt lgkmcnt(0)
	v_add_f32_e32 v9, v9, v14
	s_or_b32 exec_lo, exec_lo, s0
	s_and_saveexec_b32 s0, vcc_lo
	s_cbranch_execz .LBB244_856
.LBB244_883:
	ds_load_b32 v14, v13 offset:288
	s_waitcnt lgkmcnt(0)
	v_add_f32_e32 v10, v10, v14
	s_or_b32 exec_lo, exec_lo, s0
	s_and_saveexec_b32 s0, vcc_lo
	s_cbranch_execz .LBB244_857
.LBB244_884:
	ds_load_b32 v14, v13 offset:320
	s_waitcnt lgkmcnt(0)
	v_add_f32_e32 v11, v11, v14
	s_or_b32 exec_lo, exec_lo, s0
	s_and_saveexec_b32 s0, vcc_lo
	s_cbranch_execnz .LBB244_858
	s_branch .LBB244_859
	.section	.rodata,"a",@progbits
	.p2align	6, 0x0
	.amdhsa_kernel _ZN4vllm25paged_attention_v2_kernelIfhLi96ELi16ELi128ELNS_18Fp8KVCacheDataTypeE1ELb0ELi512EEEvPfS2_PT_PKS3_PKT0_S9_ifPKiSB_iPKfiiiSD_SD_iiiii
		.amdhsa_group_segment_fixed_size 416
		.amdhsa_private_segment_fixed_size 0
		.amdhsa_kernarg_size 400
		.amdhsa_user_sgpr_count 13
		.amdhsa_user_sgpr_dispatch_ptr 0
		.amdhsa_user_sgpr_queue_ptr 0
		.amdhsa_user_sgpr_kernarg_segment_ptr 1
		.amdhsa_user_sgpr_dispatch_id 0
		.amdhsa_user_sgpr_private_segment_size 0
		.amdhsa_wavefront_size32 1
		.amdhsa_uses_dynamic_stack 0
		.amdhsa_enable_private_segment 0
		.amdhsa_system_sgpr_workgroup_id_x 1
		.amdhsa_system_sgpr_workgroup_id_y 1
		.amdhsa_system_sgpr_workgroup_id_z 1
		.amdhsa_system_sgpr_workgroup_info 0
		.amdhsa_system_vgpr_workitem_id 0
		.amdhsa_next_free_vgpr 166
		.amdhsa_next_free_sgpr 46
		.amdhsa_reserve_vcc 1
		.amdhsa_float_round_mode_32 0
		.amdhsa_float_round_mode_16_64 0
		.amdhsa_float_denorm_mode_32 3
		.amdhsa_float_denorm_mode_16_64 3
		.amdhsa_dx10_clamp 1
		.amdhsa_ieee_mode 1
		.amdhsa_fp16_overflow 0
		.amdhsa_workgroup_processor_mode 1
		.amdhsa_memory_ordered 1
		.amdhsa_forward_progress 0
		.amdhsa_shared_vgpr_count 0
		.amdhsa_exception_fp_ieee_invalid_op 0
		.amdhsa_exception_fp_denorm_src 0
		.amdhsa_exception_fp_ieee_div_zero 0
		.amdhsa_exception_fp_ieee_overflow 0
		.amdhsa_exception_fp_ieee_underflow 0
		.amdhsa_exception_fp_ieee_inexact 0
		.amdhsa_exception_int_div_zero 0
	.end_amdhsa_kernel
	.section	.text._ZN4vllm25paged_attention_v2_kernelIfhLi96ELi16ELi128ELNS_18Fp8KVCacheDataTypeE1ELb0ELi512EEEvPfS2_PT_PKS3_PKT0_S9_ifPKiSB_iPKfiiiSD_SD_iiiii,"axG",@progbits,_ZN4vllm25paged_attention_v2_kernelIfhLi96ELi16ELi128ELNS_18Fp8KVCacheDataTypeE1ELb0ELi512EEEvPfS2_PT_PKS3_PKT0_S9_ifPKiSB_iPKfiiiSD_SD_iiiii,comdat
.Lfunc_end244:
	.size	_ZN4vllm25paged_attention_v2_kernelIfhLi96ELi16ELi128ELNS_18Fp8KVCacheDataTypeE1ELb0ELi512EEEvPfS2_PT_PKS3_PKT0_S9_ifPKiSB_iPKfiiiSD_SD_iiiii, .Lfunc_end244-_ZN4vllm25paged_attention_v2_kernelIfhLi96ELi16ELi128ELNS_18Fp8KVCacheDataTypeE1ELb0ELi512EEEvPfS2_PT_PKS3_PKT0_S9_ifPKiSB_iPKfiiiSD_SD_iiiii
                                        ; -- End function
	.section	.AMDGPU.csdata,"",@progbits
; Kernel info:
; codeLenInByte = 30020
; NumSgprs: 48
; NumVgprs: 166
; ScratchSize: 0
; MemoryBound: 0
; FloatMode: 240
; IeeeMode: 1
; LDSByteSize: 416 bytes/workgroup (compile time only)
; SGPRBlocks: 5
; VGPRBlocks: 20
; NumSGPRsForWavesPerEU: 48
; NumVGPRsForWavesPerEU: 166
; Occupancy: 9
; WaveLimiterHint : 1
; COMPUTE_PGM_RSRC2:SCRATCH_EN: 0
; COMPUTE_PGM_RSRC2:USER_SGPR: 13
; COMPUTE_PGM_RSRC2:TRAP_HANDLER: 0
; COMPUTE_PGM_RSRC2:TGID_X_EN: 1
; COMPUTE_PGM_RSRC2:TGID_Y_EN: 1
; COMPUTE_PGM_RSRC2:TGID_Z_EN: 1
; COMPUTE_PGM_RSRC2:TIDIG_COMP_CNT: 0
	.text
	.p2align	2                               ; -- Begin function _ZN4vllm22paged_attention_kernelIfhLi112ELi16ELi128ELNS_18Fp8KVCacheDataTypeE1ELb0ELi512EEEvPfS2_PT_PKS3_PKT0_S9_ifPKiSB_iPKfiiiSD_SD_iiiii
	.type	_ZN4vllm22paged_attention_kernelIfhLi112ELi16ELi128ELNS_18Fp8KVCacheDataTypeE1ELb0ELi512EEEvPfS2_PT_PKS3_PKT0_S9_ifPKiSB_iPKfiiiSD_SD_iiiii,@function
_ZN4vllm22paged_attention_kernelIfhLi112ELi16ELi128ELNS_18Fp8KVCacheDataTypeE1ELb0ELi512EEEvPfS2_PT_PKS3_PKT0_S9_ifPKiSB_iPKfiiiSD_SD_iiiii: ; @_ZN4vllm22paged_attention_kernelIfhLi112ELi16ELi128ELNS_18Fp8KVCacheDataTypeE1ELb0ELi512EEEvPfS2_PT_PKS3_PKT0_S9_ifPKiSB_iPKfiiiSD_SD_iiiii
; %bb.0:
	s_waitcnt vmcnt(0) expcnt(0) lgkmcnt(0)
	s_clause 0x1f
	scratch_store_b32 off, v40, s32 offset:316
	; meta instruction
	scratch_store_b32 off, v41, s32 offset:312
	; meta instruction
	;; [unrolled: 2-line block ×31, first 2 shown]
	scratch_store_b32 off, v95, s32 offset:192
	s_clause 0x1f
	scratch_store_b32 off, v104, s32 offset:188
	; meta instruction
	scratch_store_b32 off, v105, s32 offset:184
	; meta instruction
	;; [unrolled: 2-line block ×31, first 2 shown]
	scratch_store_b32 off, v159, s32 offset:64
	s_clause 0xf
	scratch_store_b32 off, v168, s32 offset:60
	; meta instruction
	scratch_store_b32 off, v169, s32 offset:56
	; meta instruction
	;; [unrolled: 2-line block ×15, first 2 shown]
	scratch_store_b32 off, v191, s32
	s_mov_b32 s10, s13
	s_ashr_i32 s11, s13, 31
	v_dual_mov_b32 v30, v3 :: v_dual_mov_b32 v29, v0
	s_lshl_b64 s[0:1], s[10:11], 2
	scratch_store_b32 off, v22, s32 offset:320 ; 4-byte Folded Spill
	v_add_co_u32 v0, vcc_lo, v16, s0
	v_mov_b32_e32 v22, v1
	v_add_co_ci_u32_e32 v1, vcc_lo, s1, v17, vcc_lo
	v_dual_mov_b32 v49, v5 :: v_dual_mov_b32 v50, v4
	v_mov_b32_e32 v32, v2
	flat_load_b32 v128, v[0:1]
	s_lshl_b32 s11, s14, 9
	s_mov_b32 s20, exec_lo
	s_waitcnt vmcnt(0) lgkmcnt(0)
	v_cmpx_lt_i32_e64 s11, v128
	s_cbranch_execz .LBB245_1000
; %bb.1:
	v_sub_nc_u32_e32 v0, 0, v12
	s_clause 0x1
	s_load_b32 s0, s[8:9], 0x10
	s_load_b32 s1, s[8:9], 0x0
	s_mov_b32 s6, s15
	v_max_i32_e32 v0, v12, v0
	s_delay_alu instid0(VALU_DEP_1) | instskip(SKIP_1) | instid1(VALU_DEP_2)
	v_cvt_f32_u32_e32 v1, v0
	v_sub_nc_u32_e32 v2, 0, v0
	v_rcp_iflag_f32_e32 v1, v1
	s_waitcnt lgkmcnt(0)
	s_lshr_b32 s0, s0, 16
	s_delay_alu instid0(SALU_CYCLE_1)
	s_cmp_lg_u32 s0, 0
	s_cselect_b32 s0, -1, 0
	s_waitcnt_depctr 0xfff
	v_mul_f32_e32 v1, 0x4f7ffffe, v1
	s_cmp_lg_u32 s0, 0
	s_addc_u32 s15, s1, 0
	s_mov_b32 s1, exec_lo
	s_delay_alu instid0(VALU_DEP_1) | instskip(SKIP_1) | instid1(VALU_DEP_1)
	v_cvt_u32_f32_e32 v1, v1
	s_abs_i32 s0, s15
	v_mul_lo_u32 v2, v2, v1
	s_delay_alu instid0(VALU_DEP_1) | instskip(NEXT) | instid1(VALU_DEP_1)
	v_mul_hi_u32 v2, v1, v2
	v_add_nc_u32_e32 v1, v1, v2
	s_delay_alu instid0(VALU_DEP_1) | instskip(NEXT) | instid1(VALU_DEP_1)
	v_mul_hi_u32 v1, s0, v1
	v_mul_lo_u32 v2, v1, v0
	v_add_nc_u32_e32 v3, 1, v1
	s_delay_alu instid0(VALU_DEP_2) | instskip(SKIP_1) | instid1(VALU_DEP_1)
	v_sub_nc_u32_e32 v2, s0, v2
	s_abs_i32 s0, s12
	v_sub_nc_u32_e32 v4, v2, v0
	v_cmp_ge_u32_e32 vcc_lo, v2, v0
	s_delay_alu instid0(VALU_DEP_2) | instskip(SKIP_1) | instid1(VALU_DEP_2)
	v_dual_cndmask_b32 v1, v1, v3 :: v_dual_cndmask_b32 v2, v2, v4
	v_xor_b32_e32 v3, s15, v12
	v_add_nc_u32_e32 v4, 1, v1
	s_delay_alu instid0(VALU_DEP_3) | instskip(NEXT) | instid1(VALU_DEP_3)
	v_cmp_ge_u32_e32 vcc_lo, v2, v0
	v_ashrrev_i32_e32 v3, 31, v3
	s_delay_alu instid0(VALU_DEP_3) | instskip(NEXT) | instid1(VALU_DEP_1)
	v_cndmask_b32_e32 v0, v1, v4, vcc_lo
	v_xor_b32_e32 v0, v0, v3
	s_delay_alu instid0(VALU_DEP_1) | instskip(NEXT) | instid1(VALU_DEP_1)
	v_sub_nc_u32_e32 v0, v0, v3
	v_sub_nc_u32_e32 v1, 0, v0
	s_delay_alu instid0(VALU_DEP_1) | instskip(NEXT) | instid1(VALU_DEP_1)
	v_max_i32_e32 v1, v0, v1
	v_cvt_f32_u32_e32 v2, v1
	v_sub_nc_u32_e32 v3, 0, v1
	s_delay_alu instid0(VALU_DEP_2) | instskip(SKIP_2) | instid1(VALU_DEP_1)
	v_rcp_iflag_f32_e32 v2, v2
	s_waitcnt_depctr 0xfff
	v_mul_f32_e32 v2, 0x4f7ffffe, v2
	v_cvt_u32_f32_e32 v2, v2
	s_delay_alu instid0(VALU_DEP_1) | instskip(NEXT) | instid1(VALU_DEP_1)
	v_mul_lo_u32 v3, v3, v2
	v_mul_hi_u32 v3, v2, v3
	s_delay_alu instid0(VALU_DEP_1) | instskip(NEXT) | instid1(VALU_DEP_1)
	v_add_nc_u32_e32 v2, v2, v3
	v_mad_u64_u32 v[4:5], null, s0, v2, 0
	v_mov_b32_e32 v2, 0
	v_cmpx_ne_u64_e32 0, v[19:20]
	s_cbranch_execz .LBB245_3
; %bb.2:
	s_ashr_i32 s13, s12, 31
	s_delay_alu instid0(SALU_CYCLE_1) | instskip(NEXT) | instid1(SALU_CYCLE_1)
	s_lshl_b64 s[2:3], s[12:13], 2
	v_add_co_u32 v2, vcc_lo, v19, s2
	v_add_co_ci_u32_e32 v3, vcc_lo, s3, v20, vcc_lo
	flat_load_b32 v2, v[2:3]
.LBB245_3:
	s_or_b32 exec_lo, exec_lo, s1
	v_and_b32_e32 v177, 0x3ff, v31
	v_ashrrev_i32_e32 v3, 31, v0
	s_ashr_i32 s1, s12, 31
	s_mul_i32 s4, s12, 0x70
	s_mov_b32 s2, exec_lo
	v_and_b32_e32 v0, 1, v177
	v_lshlrev_b32_e32 v16, 2, v177
	v_cmpx_gt_u32_e32 56, v177
	s_cbranch_execz .LBB245_5
; %bb.4:
	v_mul_lo_u32 v19, s10, v21
	s_ashr_i32 s5, s4, 31
	v_lshlrev_b32_e32 v4, 3, v177
	s_lshl_b64 s[16:17], s[4:5], 2
	s_delay_alu instid0(VALU_DEP_2) | instskip(NEXT) | instid1(VALU_DEP_1)
	v_ashrrev_i32_e32 v20, 31, v19
	v_lshlrev_b64 v[19:20], 2, v[19:20]
	s_delay_alu instid0(VALU_DEP_1) | instskip(NEXT) | instid1(VALU_DEP_2)
	v_add_co_u32 v6, vcc_lo, v6, v19
	v_add_co_ci_u32_e32 v7, vcc_lo, v7, v20, vcc_lo
	s_delay_alu instid0(VALU_DEP_2) | instskip(NEXT) | instid1(VALU_DEP_2)
	v_add_co_u32 v6, vcc_lo, v6, s16
	v_add_co_ci_u32_e32 v7, vcc_lo, s17, v7, vcc_lo
	s_delay_alu instid0(VALU_DEP_2) | instskip(NEXT) | instid1(VALU_DEP_2)
	v_add_co_u32 v6, vcc_lo, v6, v4
	v_add_co_ci_u32_e32 v7, vcc_lo, 0, v7, vcc_lo
	v_and_b32_e32 v4, 0xff8, v16
	flat_load_b64 v[6:7], v[6:7]
	v_mad_u32_u24 v4, 0xe0, v0, v4
	s_waitcnt vmcnt(0) lgkmcnt(0)
	ds_store_b64 v4, v[6:7]
.LBB245_5:
	s_or_b32 exec_lo, exec_lo, s2
	v_mul_lo_u32 v4, v5, v1
	v_add_nc_u32_e32 v17, 1, v5
	v_lshrrev_b32_e32 v51, 5, v177
	v_xor_b32_e32 v3, s1, v3
	s_lshl_b32 s13, s14, 5
	v_mbcnt_lo_u32_b32 v68, -1, 0
                                        ; implicit-def: $sgpr1
	s_delay_alu instid0(VALU_DEP_3) | instskip(SKIP_2) | instid1(VALU_DEP_1)
	v_or_b32_e32 v20, s13, v51
	v_sub_nc_u32_e32 v4, s0, v4
	s_add_i32 s0, s13, 32
	v_cmp_ge_u32_e32 vcc_lo, v4, v1
	v_add_nc_u32_e32 v6, 15, v128
	v_sub_nc_u32_e32 v12, v4, v1
	v_cndmask_b32_e32 v5, v5, v17, vcc_lo
	s_delay_alu instid0(VALU_DEP_3) | instskip(NEXT) | instid1(VALU_DEP_1)
	v_ashrrev_i32_e32 v7, 31, v6
	v_lshrrev_b32_e32 v7, 28, v7
	s_delay_alu instid0(VALU_DEP_1) | instskip(NEXT) | instid1(VALU_DEP_4)
	v_dual_cndmask_b32 v7, v4, v12 :: v_dual_add_nc_u32 v6, v6, v7
	v_add_nc_u32_e32 v12, 1, v5
	v_mul_lo_u32 v4, s10, v18
	s_delay_alu instid0(VALU_DEP_3) | instskip(NEXT) | instid1(VALU_DEP_4)
	v_ashrrev_i32_e32 v17, 4, v6
	v_cmp_ge_u32_e32 vcc_lo, v7, v1
	s_delay_alu instid0(VALU_DEP_2) | instskip(SKIP_2) | instid1(VALU_DEP_3)
	v_min_i32_e32 v6, s0, v17
	v_cndmask_b32_e32 v1, v5, v12, vcc_lo
	v_ashrrev_i32_e32 v5, 31, v4
                                        ; implicit-def: $vgpr12
	v_cmp_ge_i32_e64 s0, v20, v6
	s_delay_alu instid0(VALU_DEP_3)
	v_xor_b32_e32 v1, v1, v3
	scratch_store_b32 off, v6, s32 offset:324 ; 4-byte Folded Spill
	s_waitcnt vmcnt(0) lgkmcnt(0)
	s_waitcnt_vscnt null, 0x0
	s_barrier
	buffer_gl0_inv
	v_sub_nc_u32_e32 v1, v1, v3
	s_and_saveexec_b32 s2, s0
	s_delay_alu instid0(SALU_CYCLE_1)
	s_xor_b32 s2, exec_lo, s2
; %bb.6:
	v_mbcnt_lo_u32_b32 v68, -1, 0
	v_mov_b32_e32 v12, 32
	s_mov_b32 s1, 0xff7fffff
                                        ; implicit-def: $vgpr2
                                        ; implicit-def: $vgpr13
                                        ; implicit-def: $vgpr24
                                        ; implicit-def: $vgpr8
                                        ; implicit-def: $vgpr9
                                        ; implicit-def: $vgpr0
; %bb.7:
	s_or_saveexec_b32 s21, s2
	s_clause 0x1
	s_load_b32 s22, s[8:9], 0x14
	s_load_b32 s5, s[8:9], 0x8
	v_mul_lo_u32 v18, v1, v23
	v_lshlrev_b64 v[116:117], 2, v[4:5]
	v_mov_b32_e32 v129, s1
	v_ashrrev_i32_e32 v21, 31, v20
	s_delay_alu instid0(VALU_DEP_4)
	v_ashrrev_i32_e32 v19, 31, v18
	s_xor_b32 exec_lo, exec_lo, s21
	s_cbranch_execz .LBB245_461
; %bb.8:
	v_bfe_u32 v3, v177, 1, 4
	v_add_co_u32 v1, vcc_lo, v8, v18
	v_add_co_ci_u32_e32 v4, vcc_lo, v9, v19, vcc_lo
	s_delay_alu instid0(VALU_DEP_3)
	v_dual_mov_b32 v12, v51 :: v_dual_lshlrev_b32 v5, 4, v3
	s_clause 0xa
	scratch_store_b32 off, v17, s32 offset:388
	scratch_store_b32 off, v16, s32 offset:384
	;; [unrolled: 1-line block ×7, first 2 shown]
	scratch_store_b64 off, v[26:27], s32 offset:356
	scratch_store_b32 off, v50, s32 offset:336
	scratch_store_b32 off, v49, s32 offset:332
	scratch_store_b32 off, v177, s32 offset:340
	v_mul_u32_u24_e32 v11, 0xe0, v0
	s_clause 0x1
	scratch_store_b32 off, v18, s32 offset:400
	scratch_store_b32 off, v19, s32 offset:404
	v_add_co_u32 v22, vcc_lo, v1, v5
	v_xor_b32_e32 v1, 1, v68
	v_add_co_ci_u32_e32 v23, vcc_lo, 0, v4, vcc_lo
	ds_load_b128 v[6:9], v11
	ds_load_b128 v[16:19], v11 offset:16
	ds_load_b128 v[28:31], v11 offset:32
	;; [unrolled: 1-line block ×4, first 2 shown]
	v_cmp_gt_i32_e32 vcc_lo, 32, v1
	ds_load_b128 v[48:51], v11 offset:80
	ds_load_b128 v[52:55], v11 offset:96
	;; [unrolled: 1-line block ×3, first 2 shown]
	v_lshlrev_b32_e32 v4, 4, v12
	scratch_store_b32 off, v68, s32 offset:408 ; 4-byte Folded Spill
	v_dual_mov_b32 v135, 0 :: v_dual_lshlrev_b32 v26, 1, v0
	v_cndmask_b32_e32 v1, v68, v1, vcc_lo
	ds_load_b128 v[68:71], v11 offset:128
	ds_load_b128 v[80:83], v11 offset:144
	;; [unrolled: 1-line block ×4, first 2 shown]
	v_cmp_eq_u32_e32 vcc_lo, 0, v0
	s_ashr_i32 s7, s6, 31
	s_getpc_b64 s[2:3]
	s_add_u32 s2, s2, llvm.amdgcn.dynlds.offset.table@rel32@lo+4
	s_addc_u32 s3, s3, llvm.amdgcn.dynlds.offset.table@rel32@hi+12
	v_lshlrev_b32_e32 v1, 2, v1
	s_lshl_b64 s[16:17], s[6:7], 2
	v_lshlrev_b32_e32 v5, 2, v3
	s_add_u32 s16, s16, s2
	v_cmp_neq_f32_e64 s1, 0, v2
	scratch_store_b32 off, v1, s32 offset:328 ; 4-byte Folded Spill
	ds_load_b128 v[100:103], v11 offset:192
	ds_load_b128 v[112:115], v11 offset:208
	v_lshlrev_b64 v[0:1], 2, v[20:21]
	s_clause 0x3
	scratch_store_b64 off, v[116:117], s32 offset:392
	scratch_store_b32 off, v14, s32 offset:352
	scratch_store_b32 off, v15, s32 offset:348
	;; [unrolled: 1-line block ×3, first 2 shown]
	v_mov_b32_e32 v129, 0xff7fffff
	v_add_co_u32 v0, s2, v116, v0
	s_delay_alu instid0(VALU_DEP_1) | instskip(SKIP_1) | instid1(VALU_DEP_2)
	v_add_co_ci_u32_e64 v1, s2, v117, v1, s2
	s_mov_b32 s8, 0
	v_add_co_u32 v130, s2, v14, v0
	s_delay_alu instid0(VALU_DEP_1)
	v_add_co_ci_u32_e64 v131, s2, v15, v1, s2
	v_mov_b32_e32 v15, v26
	v_add3_u32 v1, s11, v4, v3
	v_lshl_or_b32 v0, v12, 6, v5
	v_mov_b32_e32 v3, v20
	s_brev_b32 s9, 1
	s_addc_u32 s17, s17, s3
	s_mov_b32 s19, 0x7f800001
	s_mov_b32 s7, s8
	s_branch .LBB245_10
.LBB245_9:                              ;   in Loop: Header=BB245_10 Depth=1
	s_or_b32 exec_lo, exec_lo, s3
	scratch_load_b32 v4, off, s32 offset:324 ; 4-byte Folded Reload
	v_add_nc_u32_e32 v3, 4, v3
	v_add_co_u32 v130, s3, v130, 16
	s_delay_alu instid0(VALU_DEP_1) | instskip(SKIP_4) | instid1(VALU_DEP_1)
	v_add_co_ci_u32_e64 v131, s3, 0, v131, s3
	v_add_nc_u32_e32 v1, 64, v1
	v_add_nc_u32_e32 v0, 0x100, v0
	s_waitcnt vmcnt(0)
	v_cmp_ge_i32_e64 s2, v3, v4
	s_or_b32 s7, s2, s7
	s_delay_alu instid0(SALU_CYCLE_1)
	s_and_not1_b32 exec_lo, exec_lo, s7
	s_cbranch_execz .LBB245_460
.LBB245_10:                             ; =>This Inner Loop Header: Depth=1
	flat_load_b32 v4, v[130:131]
	scratch_load_b32 v5, off, s32 offset:320 ; 4-byte Folded Reload
	s_mov_b32 s3, exec_lo
	s_waitcnt vmcnt(0) lgkmcnt(0)
	v_mad_i64_i32 v[11:12], null, v4, v5, v[22:23]
	s_delay_alu instid0(VALU_DEP_1) | instskip(NEXT) | instid1(VALU_DEP_1)
	v_add_co_u32 v160, s2, v11, v15
	v_add_co_ci_u32_e64 v161, s2, 0, v12, s2
	flat_load_u16 v4, v[160:161]
	flat_load_b32 v27, v[24:25]
	v_mov_b32_e32 v132, 0
	s_waitcnt vmcnt(1) lgkmcnt(1)
	v_dual_mov_b32 v133, 0 :: v_dual_and_b32 v26, 0xffff, v4
	v_and_b32_e32 v5, 0xff, v4
	s_delay_alu instid0(VALU_DEP_2) | instskip(NEXT) | instid1(VALU_DEP_2)
	v_dual_mov_b32 v11, v132 :: v_dual_mov_b32 v12, v133
	v_cmpx_ne_u16_e32 0, v5
	s_cbranch_execz .LBB245_18
; %bb.11:                               ;   in Loop: Header=BB245_10 Depth=1
	v_bfrev_b32_e32 v11, 1
	v_and_b32_e32 v4, 0xff, v26
	v_mov_b32_e32 v12, 0
	s_mov_b32 s18, exec_lo
	s_delay_alu instid0(VALU_DEP_2)
	v_cmpx_ne_u16_e32 0x80, v4
	s_cbranch_execz .LBB245_17
; %bb.12:                               ;   in Loop: Header=BB245_10 Depth=1
	v_mov_b32_e32 v11, 0x7f800001
	v_and_b32_e32 v14, 0x7f, v26
	v_mov_b32_e32 v12, 0
	s_mov_b32 s23, exec_lo
	s_delay_alu instid0(VALU_DEP_2)
	v_cmpx_ne_u32_e32 0x7f, v14
	s_cbranch_execz .LBB245_16
; %bb.13:                               ;   in Loop: Header=BB245_10 Depth=1
	v_and_b32_e32 v134, 7, v26
	v_lshrrev_b32_e32 v11, 3, v14
	s_mov_b32 s24, exec_lo
	v_cmpx_gt_u32_e32 8, v14
; %bb.14:                               ;   in Loop: Header=BB245_10 Depth=1
	s_delay_alu instid0(VALU_DEP_3) | instskip(NEXT) | instid1(VALU_DEP_1)
	v_clz_i32_u32_e32 v4, v134
	v_min_u32_e32 v4, 32, v4
	s_delay_alu instid0(VALU_DEP_1) | instskip(SKIP_1) | instid1(VALU_DEP_2)
	v_subrev_nc_u32_e32 v5, 28, v4
	v_sub_nc_u32_e32 v11, 29, v4
	v_lshlrev_b64 v[116:117], v5, v[134:135]
	s_delay_alu instid0(VALU_DEP_1)
	v_and_b32_e32 v134, 7, v116
; %bb.15:                               ;   in Loop: Header=BB245_10 Depth=1
	s_or_b32 exec_lo, exec_lo, s24
	v_lshlrev_b32_e32 v4, 24, v26
	s_delay_alu instid0(VALU_DEP_2) | instskip(SKIP_1) | instid1(VALU_DEP_3)
	v_lshlrev_b32_e32 v5, 20, v134
	v_lshl_add_u32 v11, v11, 23, 0x3c000000
	v_and_b32_e32 v4, 0x80000000, v4
	s_delay_alu instid0(VALU_DEP_1) | instskip(NEXT) | instid1(VALU_DEP_1)
	v_or3_b32 v134, v5, v4, v11
	v_dual_mov_b32 v11, v134 :: v_dual_mov_b32 v12, v135
.LBB245_16:                             ;   in Loop: Header=BB245_10 Depth=1
	s_or_b32 exec_lo, exec_lo, s23
.LBB245_17:                             ;   in Loop: Header=BB245_10 Depth=1
	s_delay_alu instid0(SALU_CYCLE_1)
	s_or_b32 exec_lo, exec_lo, s18
.LBB245_18:                             ;   in Loop: Header=BB245_10 Depth=1
	s_delay_alu instid0(SALU_CYCLE_1) | instskip(SKIP_2) | instid1(VALU_DEP_1)
	s_or_b32 exec_lo, exec_lo, s3
	v_lshrrev_b16 v116, 8, v26
	s_mov_b32 s3, exec_lo
	v_cmpx_ne_u16_e32 0, v116
	s_cbranch_execz .LBB245_26
; %bb.19:                               ;   in Loop: Header=BB245_10 Depth=1
	v_dual_mov_b32 v133, s9 :: v_dual_mov_b32 v132, s8
	s_mov_b32 s23, exec_lo
	v_cmpx_ne_u16_e32 0x80, v116
	s_cbranch_execz .LBB245_25
; %bb.20:                               ;   in Loop: Header=BB245_10 Depth=1
	s_mov_b32 s18, s8
	v_dual_mov_b32 v133, s19 :: v_dual_and_b32 v14, 0xffff, v116
	v_mov_b32_e32 v132, s18
	s_mov_b32 s18, exec_lo
	s_delay_alu instid0(VALU_DEP_2) | instskip(NEXT) | instid1(VALU_DEP_1)
	v_and_b32_e32 v117, 0x7f, v14
	v_cmpx_ne_u32_e32 0x7f, v117
	s_cbranch_execz .LBB245_24
; %bb.21:                               ;   in Loop: Header=BB245_10 Depth=1
	v_and_b32_e32 v134, 7, v14
	v_lshrrev_b32_e32 v116, 3, v117
	s_mov_b32 s24, exec_lo
	v_cmpx_gt_u32_e32 8, v117
; %bb.22:                               ;   in Loop: Header=BB245_10 Depth=1
	s_delay_alu instid0(VALU_DEP_3) | instskip(NEXT) | instid1(VALU_DEP_1)
	v_clz_i32_u32_e32 v4, v134
	v_min_u32_e32 v4, 32, v4
	s_delay_alu instid0(VALU_DEP_1) | instskip(SKIP_1) | instid1(VALU_DEP_2)
	v_subrev_nc_u32_e32 v5, 28, v4
	v_sub_nc_u32_e32 v116, 29, v4
	v_lshlrev_b64 v[117:118], v5, v[134:135]
	s_delay_alu instid0(VALU_DEP_1)
	v_and_b32_e32 v134, 7, v117
; %bb.23:                               ;   in Loop: Header=BB245_10 Depth=1
	s_or_b32 exec_lo, exec_lo, s24
	v_lshlrev_b32_e32 v4, 16, v26
	s_delay_alu instid0(VALU_DEP_2) | instskip(SKIP_1) | instid1(VALU_DEP_3)
	v_dual_mov_b32 v132, v135 :: v_dual_lshlrev_b32 v5, 20, v134
	v_lshl_add_u32 v14, v116, 23, 0x3c000000
	v_and_b32_e32 v4, 0x80000000, v4
	s_delay_alu instid0(VALU_DEP_1)
	v_or3_b32 v133, v5, v4, v14
.LBB245_24:                             ;   in Loop: Header=BB245_10 Depth=1
	s_or_b32 exec_lo, exec_lo, s18
.LBB245_25:                             ;   in Loop: Header=BB245_10 Depth=1
	s_delay_alu instid0(SALU_CYCLE_1)
	s_or_b32 exec_lo, exec_lo, s23
.LBB245_26:                             ;   in Loop: Header=BB245_10 Depth=1
	s_delay_alu instid0(SALU_CYCLE_1)
	s_or_b32 exec_lo, exec_lo, s3
	flat_load_u16 v4, v[160:161] offset:4
	v_mov_b32_e32 v144, 0
	v_mov_b32_e32 v145, 0
	s_mov_b32 s3, exec_lo
	s_waitcnt vmcnt(0) lgkmcnt(0)
	v_and_b32_e32 v26, 0xffff, v4
	v_and_b32_e32 v5, 0xff, v4
	v_dual_mov_b32 v147, v145 :: v_dual_mov_b32 v146, v144
	s_delay_alu instid0(VALU_DEP_2)
	v_cmpx_ne_u16_e32 0, v5
	s_cbranch_execz .LBB245_34
; %bb.27:                               ;   in Loop: Header=BB245_10 Depth=1
	v_bfrev_b32_e32 v146, 1
	v_dual_mov_b32 v147, 0 :: v_dual_and_b32 v4, 0xff, v26
	s_mov_b32 s18, exec_lo
	s_delay_alu instid0(VALU_DEP_1)
	v_cmpx_ne_u16_e32 0x80, v4
	s_cbranch_execz .LBB245_33
; %bb.28:                               ;   in Loop: Header=BB245_10 Depth=1
	v_mov_b32_e32 v146, 0x7f800001
	v_dual_mov_b32 v147, 0 :: v_dual_and_b32 v14, 0x7f, v26
	s_mov_b32 s23, exec_lo
	s_delay_alu instid0(VALU_DEP_1)
	v_cmpx_ne_u32_e32 0x7f, v14
	s_cbranch_execz .LBB245_32
; %bb.29:                               ;   in Loop: Header=BB245_10 Depth=1
	v_and_b32_e32 v134, 7, v26
	v_lshrrev_b32_e32 v116, 3, v14
	s_mov_b32 s24, exec_lo
	v_cmpx_gt_u32_e32 8, v14
; %bb.30:                               ;   in Loop: Header=BB245_10 Depth=1
	s_delay_alu instid0(VALU_DEP_3) | instskip(NEXT) | instid1(VALU_DEP_1)
	v_clz_i32_u32_e32 v4, v134
	v_min_u32_e32 v4, 32, v4
	s_delay_alu instid0(VALU_DEP_1) | instskip(SKIP_1) | instid1(VALU_DEP_2)
	v_subrev_nc_u32_e32 v5, 28, v4
	v_sub_nc_u32_e32 v116, 29, v4
	v_lshlrev_b64 v[117:118], v5, v[134:135]
	s_delay_alu instid0(VALU_DEP_1)
	v_and_b32_e32 v134, 7, v117
; %bb.31:                               ;   in Loop: Header=BB245_10 Depth=1
	s_or_b32 exec_lo, exec_lo, s24
	v_lshlrev_b32_e32 v4, 24, v26
	s_delay_alu instid0(VALU_DEP_2) | instskip(SKIP_1) | instid1(VALU_DEP_3)
	v_lshlrev_b32_e32 v5, 20, v134
	v_lshl_add_u32 v14, v116, 23, 0x3c000000
	v_and_b32_e32 v4, 0x80000000, v4
	s_delay_alu instid0(VALU_DEP_1) | instskip(NEXT) | instid1(VALU_DEP_1)
	v_or3_b32 v134, v5, v4, v14
	v_dual_mov_b32 v147, v135 :: v_dual_mov_b32 v146, v134
.LBB245_32:                             ;   in Loop: Header=BB245_10 Depth=1
	s_or_b32 exec_lo, exec_lo, s23
.LBB245_33:                             ;   in Loop: Header=BB245_10 Depth=1
	s_delay_alu instid0(SALU_CYCLE_1)
	s_or_b32 exec_lo, exec_lo, s18
.LBB245_34:                             ;   in Loop: Header=BB245_10 Depth=1
	s_delay_alu instid0(SALU_CYCLE_1) | instskip(SKIP_2) | instid1(VALU_DEP_1)
	s_or_b32 exec_lo, exec_lo, s3
	v_lshrrev_b16 v116, 8, v26
	s_mov_b32 s3, exec_lo
	v_cmpx_ne_u16_e32 0, v116
	s_cbranch_execz .LBB245_42
; %bb.35:                               ;   in Loop: Header=BB245_10 Depth=1
	v_dual_mov_b32 v145, s9 :: v_dual_mov_b32 v144, s8
	s_mov_b32 s23, exec_lo
	v_cmpx_ne_u16_e32 0x80, v116
	s_cbranch_execz .LBB245_41
; %bb.36:                               ;   in Loop: Header=BB245_10 Depth=1
	s_mov_b32 s18, s8
	v_dual_mov_b32 v145, s19 :: v_dual_and_b32 v14, 0xffff, v116
	v_mov_b32_e32 v144, s18
	s_mov_b32 s18, exec_lo
	s_delay_alu instid0(VALU_DEP_2) | instskip(NEXT) | instid1(VALU_DEP_1)
	v_and_b32_e32 v117, 0x7f, v14
	v_cmpx_ne_u32_e32 0x7f, v117
	s_cbranch_execz .LBB245_40
; %bb.37:                               ;   in Loop: Header=BB245_10 Depth=1
	v_and_b32_e32 v134, 7, v14
	v_lshrrev_b32_e32 v116, 3, v117
	s_mov_b32 s24, exec_lo
	v_cmpx_gt_u32_e32 8, v117
; %bb.38:                               ;   in Loop: Header=BB245_10 Depth=1
	s_delay_alu instid0(VALU_DEP_3) | instskip(NEXT) | instid1(VALU_DEP_1)
	v_clz_i32_u32_e32 v4, v134
	v_min_u32_e32 v4, 32, v4
	s_delay_alu instid0(VALU_DEP_1) | instskip(SKIP_1) | instid1(VALU_DEP_2)
	v_subrev_nc_u32_e32 v5, 28, v4
	v_sub_nc_u32_e32 v116, 29, v4
	v_lshlrev_b64 v[117:118], v5, v[134:135]
	s_delay_alu instid0(VALU_DEP_1)
	v_and_b32_e32 v134, 7, v117
; %bb.39:                               ;   in Loop: Header=BB245_10 Depth=1
	s_or_b32 exec_lo, exec_lo, s24
	v_lshlrev_b32_e32 v4, 16, v26
	s_delay_alu instid0(VALU_DEP_2) | instskip(SKIP_1) | instid1(VALU_DEP_3)
	v_dual_mov_b32 v144, v135 :: v_dual_lshlrev_b32 v5, 20, v134
	v_lshl_add_u32 v14, v116, 23, 0x3c000000
	v_and_b32_e32 v4, 0x80000000, v4
	s_delay_alu instid0(VALU_DEP_1)
	v_or3_b32 v145, v5, v4, v14
.LBB245_40:                             ;   in Loop: Header=BB245_10 Depth=1
	s_or_b32 exec_lo, exec_lo, s18
.LBB245_41:                             ;   in Loop: Header=BB245_10 Depth=1
	s_delay_alu instid0(SALU_CYCLE_1)
	s_or_b32 exec_lo, exec_lo, s23
.LBB245_42:                             ;   in Loop: Header=BB245_10 Depth=1
	s_delay_alu instid0(SALU_CYCLE_1)
	s_or_b32 exec_lo, exec_lo, s3
	flat_load_u16 v4, v[160:161] offset:8
	v_mov_b32_e32 v148, 0
	v_mov_b32_e32 v149, 0
	s_mov_b32 s3, exec_lo
	s_waitcnt vmcnt(0) lgkmcnt(0)
	v_and_b32_e32 v26, 0xffff, v4
	v_and_b32_e32 v5, 0xff, v4
	v_dual_mov_b32 v151, v149 :: v_dual_mov_b32 v150, v148
	s_delay_alu instid0(VALU_DEP_2)
	v_cmpx_ne_u16_e32 0, v5
	s_cbranch_execz .LBB245_50
; %bb.43:                               ;   in Loop: Header=BB245_10 Depth=1
	v_bfrev_b32_e32 v150, 1
	v_dual_mov_b32 v151, 0 :: v_dual_and_b32 v4, 0xff, v26
	s_mov_b32 s18, exec_lo
	s_delay_alu instid0(VALU_DEP_1)
	v_cmpx_ne_u16_e32 0x80, v4
	s_cbranch_execz .LBB245_49
; %bb.44:                               ;   in Loop: Header=BB245_10 Depth=1
	v_mov_b32_e32 v150, 0x7f800001
	v_dual_mov_b32 v151, 0 :: v_dual_and_b32 v14, 0x7f, v26
	s_mov_b32 s23, exec_lo
	s_delay_alu instid0(VALU_DEP_1)
	v_cmpx_ne_u32_e32 0x7f, v14
	s_cbranch_execz .LBB245_48
; %bb.45:                               ;   in Loop: Header=BB245_10 Depth=1
	v_and_b32_e32 v134, 7, v26
	v_lshrrev_b32_e32 v116, 3, v14
	s_mov_b32 s24, exec_lo
	v_cmpx_gt_u32_e32 8, v14
; %bb.46:                               ;   in Loop: Header=BB245_10 Depth=1
	s_delay_alu instid0(VALU_DEP_3) | instskip(NEXT) | instid1(VALU_DEP_1)
	v_clz_i32_u32_e32 v4, v134
	v_min_u32_e32 v4, 32, v4
	s_delay_alu instid0(VALU_DEP_1) | instskip(SKIP_1) | instid1(VALU_DEP_2)
	v_subrev_nc_u32_e32 v5, 28, v4
	v_sub_nc_u32_e32 v116, 29, v4
	v_lshlrev_b64 v[117:118], v5, v[134:135]
	s_delay_alu instid0(VALU_DEP_1)
	v_and_b32_e32 v134, 7, v117
; %bb.47:                               ;   in Loop: Header=BB245_10 Depth=1
	s_or_b32 exec_lo, exec_lo, s24
	v_lshlrev_b32_e32 v4, 24, v26
	s_delay_alu instid0(VALU_DEP_2) | instskip(SKIP_1) | instid1(VALU_DEP_3)
	v_lshlrev_b32_e32 v5, 20, v134
	v_lshl_add_u32 v14, v116, 23, 0x3c000000
	v_and_b32_e32 v4, 0x80000000, v4
	s_delay_alu instid0(VALU_DEP_1) | instskip(NEXT) | instid1(VALU_DEP_1)
	v_or3_b32 v134, v5, v4, v14
	v_dual_mov_b32 v151, v135 :: v_dual_mov_b32 v150, v134
.LBB245_48:                             ;   in Loop: Header=BB245_10 Depth=1
	s_or_b32 exec_lo, exec_lo, s23
.LBB245_49:                             ;   in Loop: Header=BB245_10 Depth=1
	s_delay_alu instid0(SALU_CYCLE_1)
	s_or_b32 exec_lo, exec_lo, s18
.LBB245_50:                             ;   in Loop: Header=BB245_10 Depth=1
	s_delay_alu instid0(SALU_CYCLE_1) | instskip(SKIP_2) | instid1(VALU_DEP_1)
	s_or_b32 exec_lo, exec_lo, s3
	v_lshrrev_b16 v116, 8, v26
	s_mov_b32 s3, exec_lo
	v_cmpx_ne_u16_e32 0, v116
	s_cbranch_execz .LBB245_58
; %bb.51:                               ;   in Loop: Header=BB245_10 Depth=1
	v_dual_mov_b32 v149, s9 :: v_dual_mov_b32 v148, s8
	s_mov_b32 s23, exec_lo
	v_cmpx_ne_u16_e32 0x80, v116
	s_cbranch_execz .LBB245_57
; %bb.52:                               ;   in Loop: Header=BB245_10 Depth=1
	s_mov_b32 s18, s8
	v_dual_mov_b32 v149, s19 :: v_dual_and_b32 v14, 0xffff, v116
	v_mov_b32_e32 v148, s18
	s_mov_b32 s18, exec_lo
	s_delay_alu instid0(VALU_DEP_2) | instskip(NEXT) | instid1(VALU_DEP_1)
	v_and_b32_e32 v117, 0x7f, v14
	v_cmpx_ne_u32_e32 0x7f, v117
	s_cbranch_execz .LBB245_56
; %bb.53:                               ;   in Loop: Header=BB245_10 Depth=1
	v_and_b32_e32 v134, 7, v14
	v_lshrrev_b32_e32 v116, 3, v117
	s_mov_b32 s24, exec_lo
	v_cmpx_gt_u32_e32 8, v117
; %bb.54:                               ;   in Loop: Header=BB245_10 Depth=1
	s_delay_alu instid0(VALU_DEP_3) | instskip(NEXT) | instid1(VALU_DEP_1)
	v_clz_i32_u32_e32 v4, v134
	v_min_u32_e32 v4, 32, v4
	s_delay_alu instid0(VALU_DEP_1) | instskip(SKIP_1) | instid1(VALU_DEP_2)
	v_subrev_nc_u32_e32 v5, 28, v4
	v_sub_nc_u32_e32 v116, 29, v4
	v_lshlrev_b64 v[117:118], v5, v[134:135]
	s_delay_alu instid0(VALU_DEP_1)
	v_and_b32_e32 v134, 7, v117
; %bb.55:                               ;   in Loop: Header=BB245_10 Depth=1
	s_or_b32 exec_lo, exec_lo, s24
	v_lshlrev_b32_e32 v4, 16, v26
	s_delay_alu instid0(VALU_DEP_2) | instskip(SKIP_1) | instid1(VALU_DEP_3)
	v_dual_mov_b32 v148, v135 :: v_dual_lshlrev_b32 v5, 20, v134
	v_lshl_add_u32 v14, v116, 23, 0x3c000000
	v_and_b32_e32 v4, 0x80000000, v4
	s_delay_alu instid0(VALU_DEP_1)
	v_or3_b32 v149, v5, v4, v14
.LBB245_56:                             ;   in Loop: Header=BB245_10 Depth=1
	s_or_b32 exec_lo, exec_lo, s18
.LBB245_57:                             ;   in Loop: Header=BB245_10 Depth=1
	s_delay_alu instid0(SALU_CYCLE_1)
	s_or_b32 exec_lo, exec_lo, s23
.LBB245_58:                             ;   in Loop: Header=BB245_10 Depth=1
	s_delay_alu instid0(SALU_CYCLE_1)
	s_or_b32 exec_lo, exec_lo, s3
	flat_load_u16 v4, v[160:161] offset:12
	v_mov_b32_e32 v162, 0
	v_mov_b32_e32 v163, 0
	s_mov_b32 s3, exec_lo
	s_waitcnt vmcnt(0) lgkmcnt(0)
	v_and_b32_e32 v26, 0xffff, v4
	v_and_b32_e32 v5, 0xff, v4
	v_dual_mov_b32 v165, v163 :: v_dual_mov_b32 v164, v162
	s_delay_alu instid0(VALU_DEP_2)
	v_cmpx_ne_u16_e32 0, v5
	s_cbranch_execz .LBB245_66
; %bb.59:                               ;   in Loop: Header=BB245_10 Depth=1
	v_bfrev_b32_e32 v164, 1
	v_dual_mov_b32 v165, 0 :: v_dual_and_b32 v4, 0xff, v26
	s_mov_b32 s18, exec_lo
	s_delay_alu instid0(VALU_DEP_1)
	v_cmpx_ne_u16_e32 0x80, v4
	s_cbranch_execz .LBB245_65
; %bb.60:                               ;   in Loop: Header=BB245_10 Depth=1
	v_mov_b32_e32 v164, 0x7f800001
	v_dual_mov_b32 v165, 0 :: v_dual_and_b32 v14, 0x7f, v26
	s_mov_b32 s23, exec_lo
	s_delay_alu instid0(VALU_DEP_1)
	v_cmpx_ne_u32_e32 0x7f, v14
	s_cbranch_execz .LBB245_64
; %bb.61:                               ;   in Loop: Header=BB245_10 Depth=1
	v_and_b32_e32 v134, 7, v26
	v_lshrrev_b32_e32 v116, 3, v14
	s_mov_b32 s24, exec_lo
	v_cmpx_gt_u32_e32 8, v14
; %bb.62:                               ;   in Loop: Header=BB245_10 Depth=1
	s_delay_alu instid0(VALU_DEP_3) | instskip(NEXT) | instid1(VALU_DEP_1)
	v_clz_i32_u32_e32 v4, v134
	v_min_u32_e32 v4, 32, v4
	s_delay_alu instid0(VALU_DEP_1) | instskip(SKIP_1) | instid1(VALU_DEP_2)
	v_subrev_nc_u32_e32 v5, 28, v4
	v_sub_nc_u32_e32 v116, 29, v4
	v_lshlrev_b64 v[117:118], v5, v[134:135]
	s_delay_alu instid0(VALU_DEP_1)
	v_and_b32_e32 v134, 7, v117
; %bb.63:                               ;   in Loop: Header=BB245_10 Depth=1
	s_or_b32 exec_lo, exec_lo, s24
	v_lshlrev_b32_e32 v4, 24, v26
	s_delay_alu instid0(VALU_DEP_2) | instskip(SKIP_1) | instid1(VALU_DEP_3)
	v_lshlrev_b32_e32 v5, 20, v134
	v_lshl_add_u32 v14, v116, 23, 0x3c000000
	v_and_b32_e32 v4, 0x80000000, v4
	s_delay_alu instid0(VALU_DEP_1) | instskip(NEXT) | instid1(VALU_DEP_1)
	v_or3_b32 v134, v5, v4, v14
	v_dual_mov_b32 v165, v135 :: v_dual_mov_b32 v164, v134
.LBB245_64:                             ;   in Loop: Header=BB245_10 Depth=1
	s_or_b32 exec_lo, exec_lo, s23
.LBB245_65:                             ;   in Loop: Header=BB245_10 Depth=1
	s_delay_alu instid0(SALU_CYCLE_1)
	s_or_b32 exec_lo, exec_lo, s18
.LBB245_66:                             ;   in Loop: Header=BB245_10 Depth=1
	s_delay_alu instid0(SALU_CYCLE_1) | instskip(SKIP_2) | instid1(VALU_DEP_1)
	s_or_b32 exec_lo, exec_lo, s3
	v_lshrrev_b16 v116, 8, v26
	s_mov_b32 s3, exec_lo
	v_cmpx_ne_u16_e32 0, v116
	s_cbranch_execz .LBB245_74
; %bb.67:                               ;   in Loop: Header=BB245_10 Depth=1
	v_dual_mov_b32 v163, s9 :: v_dual_mov_b32 v162, s8
	s_mov_b32 s23, exec_lo
	v_cmpx_ne_u16_e32 0x80, v116
	s_cbranch_execz .LBB245_73
; %bb.68:                               ;   in Loop: Header=BB245_10 Depth=1
	s_mov_b32 s18, s8
	v_dual_mov_b32 v163, s19 :: v_dual_and_b32 v14, 0xffff, v116
	v_mov_b32_e32 v162, s18
	s_mov_b32 s18, exec_lo
	s_delay_alu instid0(VALU_DEP_2) | instskip(NEXT) | instid1(VALU_DEP_1)
	v_and_b32_e32 v117, 0x7f, v14
	v_cmpx_ne_u32_e32 0x7f, v117
	s_cbranch_execz .LBB245_72
; %bb.69:                               ;   in Loop: Header=BB245_10 Depth=1
	v_and_b32_e32 v134, 7, v14
	v_lshrrev_b32_e32 v116, 3, v117
	s_mov_b32 s24, exec_lo
	v_cmpx_gt_u32_e32 8, v117
; %bb.70:                               ;   in Loop: Header=BB245_10 Depth=1
	s_delay_alu instid0(VALU_DEP_3) | instskip(NEXT) | instid1(VALU_DEP_1)
	v_clz_i32_u32_e32 v4, v134
	v_min_u32_e32 v4, 32, v4
	s_delay_alu instid0(VALU_DEP_1) | instskip(SKIP_1) | instid1(VALU_DEP_2)
	v_subrev_nc_u32_e32 v5, 28, v4
	v_sub_nc_u32_e32 v116, 29, v4
	v_lshlrev_b64 v[117:118], v5, v[134:135]
	s_delay_alu instid0(VALU_DEP_1)
	v_and_b32_e32 v134, 7, v117
; %bb.71:                               ;   in Loop: Header=BB245_10 Depth=1
	s_or_b32 exec_lo, exec_lo, s24
	v_lshlrev_b32_e32 v4, 16, v26
	s_delay_alu instid0(VALU_DEP_2) | instskip(SKIP_1) | instid1(VALU_DEP_3)
	v_dual_mov_b32 v162, v135 :: v_dual_lshlrev_b32 v5, 20, v134
	v_lshl_add_u32 v14, v116, 23, 0x3c000000
	v_and_b32_e32 v4, 0x80000000, v4
	s_delay_alu instid0(VALU_DEP_1)
	v_or3_b32 v163, v5, v4, v14
.LBB245_72:                             ;   in Loop: Header=BB245_10 Depth=1
	s_or_b32 exec_lo, exec_lo, s18
.LBB245_73:                             ;   in Loop: Header=BB245_10 Depth=1
	s_delay_alu instid0(SALU_CYCLE_1)
	s_or_b32 exec_lo, exec_lo, s23
.LBB245_74:                             ;   in Loop: Header=BB245_10 Depth=1
	s_delay_alu instid0(SALU_CYCLE_1)
	s_or_b32 exec_lo, exec_lo, s3
	flat_load_u16 v4, v[160:161] offset:256
	v_mov_b32_e32 v166, 0
	v_mov_b32_e32 v167, 0
	s_mov_b32 s3, exec_lo
	s_waitcnt vmcnt(0) lgkmcnt(0)
	v_and_b32_e32 v26, 0xffff, v4
	v_and_b32_e32 v5, 0xff, v4
	v_dual_mov_b32 v177, v167 :: v_dual_mov_b32 v176, v166
	s_delay_alu instid0(VALU_DEP_2)
	v_cmpx_ne_u16_e32 0, v5
	s_cbranch_execz .LBB245_82
; %bb.75:                               ;   in Loop: Header=BB245_10 Depth=1
	v_bfrev_b32_e32 v176, 1
	v_dual_mov_b32 v177, 0 :: v_dual_and_b32 v4, 0xff, v26
	s_mov_b32 s18, exec_lo
	s_delay_alu instid0(VALU_DEP_1)
	v_cmpx_ne_u16_e32 0x80, v4
	s_cbranch_execz .LBB245_81
; %bb.76:                               ;   in Loop: Header=BB245_10 Depth=1
	v_mov_b32_e32 v176, 0x7f800001
	v_dual_mov_b32 v177, 0 :: v_dual_and_b32 v14, 0x7f, v26
	s_mov_b32 s23, exec_lo
	s_delay_alu instid0(VALU_DEP_1)
	v_cmpx_ne_u32_e32 0x7f, v14
	s_cbranch_execz .LBB245_80
; %bb.77:                               ;   in Loop: Header=BB245_10 Depth=1
	v_and_b32_e32 v134, 7, v26
	v_lshrrev_b32_e32 v116, 3, v14
	s_mov_b32 s24, exec_lo
	v_cmpx_gt_u32_e32 8, v14
; %bb.78:                               ;   in Loop: Header=BB245_10 Depth=1
	s_delay_alu instid0(VALU_DEP_3) | instskip(NEXT) | instid1(VALU_DEP_1)
	v_clz_i32_u32_e32 v4, v134
	v_min_u32_e32 v4, 32, v4
	s_delay_alu instid0(VALU_DEP_1) | instskip(SKIP_1) | instid1(VALU_DEP_2)
	v_subrev_nc_u32_e32 v5, 28, v4
	v_sub_nc_u32_e32 v116, 29, v4
	v_lshlrev_b64 v[117:118], v5, v[134:135]
	s_delay_alu instid0(VALU_DEP_1)
	v_and_b32_e32 v134, 7, v117
; %bb.79:                               ;   in Loop: Header=BB245_10 Depth=1
	s_or_b32 exec_lo, exec_lo, s24
	v_lshlrev_b32_e32 v4, 24, v26
	s_delay_alu instid0(VALU_DEP_2) | instskip(SKIP_1) | instid1(VALU_DEP_3)
	v_lshlrev_b32_e32 v5, 20, v134
	v_lshl_add_u32 v14, v116, 23, 0x3c000000
	v_and_b32_e32 v4, 0x80000000, v4
	s_delay_alu instid0(VALU_DEP_1) | instskip(NEXT) | instid1(VALU_DEP_1)
	v_or3_b32 v134, v5, v4, v14
	v_dual_mov_b32 v177, v135 :: v_dual_mov_b32 v176, v134
.LBB245_80:                             ;   in Loop: Header=BB245_10 Depth=1
	s_or_b32 exec_lo, exec_lo, s23
.LBB245_81:                             ;   in Loop: Header=BB245_10 Depth=1
	s_delay_alu instid0(SALU_CYCLE_1)
	s_or_b32 exec_lo, exec_lo, s18
.LBB245_82:                             ;   in Loop: Header=BB245_10 Depth=1
	s_delay_alu instid0(SALU_CYCLE_1) | instskip(SKIP_2) | instid1(VALU_DEP_1)
	s_or_b32 exec_lo, exec_lo, s3
	v_lshrrev_b16 v116, 8, v26
	s_mov_b32 s3, exec_lo
	v_cmpx_ne_u16_e32 0, v116
	s_cbranch_execz .LBB245_90
; %bb.83:                               ;   in Loop: Header=BB245_10 Depth=1
	v_dual_mov_b32 v167, s9 :: v_dual_mov_b32 v166, s8
	s_mov_b32 s23, exec_lo
	v_cmpx_ne_u16_e32 0x80, v116
	s_cbranch_execz .LBB245_89
; %bb.84:                               ;   in Loop: Header=BB245_10 Depth=1
	s_mov_b32 s18, s8
	v_dual_mov_b32 v167, s19 :: v_dual_and_b32 v14, 0xffff, v116
	v_mov_b32_e32 v166, s18
	s_mov_b32 s18, exec_lo
	s_delay_alu instid0(VALU_DEP_2) | instskip(NEXT) | instid1(VALU_DEP_1)
	v_and_b32_e32 v117, 0x7f, v14
	v_cmpx_ne_u32_e32 0x7f, v117
	s_cbranch_execz .LBB245_88
; %bb.85:                               ;   in Loop: Header=BB245_10 Depth=1
	v_and_b32_e32 v134, 7, v14
	v_lshrrev_b32_e32 v116, 3, v117
	s_mov_b32 s24, exec_lo
	v_cmpx_gt_u32_e32 8, v117
; %bb.86:                               ;   in Loop: Header=BB245_10 Depth=1
	s_delay_alu instid0(VALU_DEP_3) | instskip(NEXT) | instid1(VALU_DEP_1)
	v_clz_i32_u32_e32 v4, v134
	v_min_u32_e32 v4, 32, v4
	s_delay_alu instid0(VALU_DEP_1) | instskip(SKIP_1) | instid1(VALU_DEP_2)
	v_subrev_nc_u32_e32 v5, 28, v4
	v_sub_nc_u32_e32 v116, 29, v4
	v_lshlrev_b64 v[117:118], v5, v[134:135]
	s_delay_alu instid0(VALU_DEP_1)
	v_and_b32_e32 v134, 7, v117
; %bb.87:                               ;   in Loop: Header=BB245_10 Depth=1
	s_or_b32 exec_lo, exec_lo, s24
	v_lshlrev_b32_e32 v4, 16, v26
	s_delay_alu instid0(VALU_DEP_2) | instskip(SKIP_1) | instid1(VALU_DEP_3)
	v_dual_mov_b32 v166, v135 :: v_dual_lshlrev_b32 v5, 20, v134
	v_lshl_add_u32 v14, v116, 23, 0x3c000000
	v_and_b32_e32 v4, 0x80000000, v4
	s_delay_alu instid0(VALU_DEP_1)
	v_or3_b32 v167, v5, v4, v14
.LBB245_88:                             ;   in Loop: Header=BB245_10 Depth=1
	s_or_b32 exec_lo, exec_lo, s18
.LBB245_89:                             ;   in Loop: Header=BB245_10 Depth=1
	s_delay_alu instid0(SALU_CYCLE_1)
	s_or_b32 exec_lo, exec_lo, s23
.LBB245_90:                             ;   in Loop: Header=BB245_10 Depth=1
	s_delay_alu instid0(SALU_CYCLE_1)
	s_or_b32 exec_lo, exec_lo, s3
	flat_load_u16 v4, v[160:161] offset:260
	v_mov_b32_e32 v178, 0
	v_mov_b32_e32 v179, 0
	s_mov_b32 s3, exec_lo
	s_waitcnt vmcnt(0) lgkmcnt(0)
	v_and_b32_e32 v26, 0xffff, v4
	v_and_b32_e32 v5, 0xff, v4
	v_dual_mov_b32 v181, v179 :: v_dual_mov_b32 v180, v178
	s_delay_alu instid0(VALU_DEP_2)
	v_cmpx_ne_u16_e32 0, v5
	s_cbranch_execz .LBB245_98
; %bb.91:                               ;   in Loop: Header=BB245_10 Depth=1
	v_bfrev_b32_e32 v180, 1
	v_dual_mov_b32 v181, 0 :: v_dual_and_b32 v4, 0xff, v26
	s_mov_b32 s18, exec_lo
	s_delay_alu instid0(VALU_DEP_1)
	v_cmpx_ne_u16_e32 0x80, v4
	s_cbranch_execz .LBB245_97
; %bb.92:                               ;   in Loop: Header=BB245_10 Depth=1
	v_mov_b32_e32 v180, 0x7f800001
	v_dual_mov_b32 v181, 0 :: v_dual_and_b32 v14, 0x7f, v26
	s_mov_b32 s23, exec_lo
	s_delay_alu instid0(VALU_DEP_1)
	v_cmpx_ne_u32_e32 0x7f, v14
	s_cbranch_execz .LBB245_96
; %bb.93:                               ;   in Loop: Header=BB245_10 Depth=1
	v_and_b32_e32 v134, 7, v26
	v_lshrrev_b32_e32 v116, 3, v14
	s_mov_b32 s24, exec_lo
	v_cmpx_gt_u32_e32 8, v14
; %bb.94:                               ;   in Loop: Header=BB245_10 Depth=1
	s_delay_alu instid0(VALU_DEP_3) | instskip(NEXT) | instid1(VALU_DEP_1)
	v_clz_i32_u32_e32 v4, v134
	v_min_u32_e32 v4, 32, v4
	s_delay_alu instid0(VALU_DEP_1) | instskip(SKIP_1) | instid1(VALU_DEP_2)
	v_subrev_nc_u32_e32 v5, 28, v4
	v_sub_nc_u32_e32 v116, 29, v4
	v_lshlrev_b64 v[117:118], v5, v[134:135]
	s_delay_alu instid0(VALU_DEP_1)
	v_and_b32_e32 v134, 7, v117
; %bb.95:                               ;   in Loop: Header=BB245_10 Depth=1
	s_or_b32 exec_lo, exec_lo, s24
	v_lshlrev_b32_e32 v4, 24, v26
	s_delay_alu instid0(VALU_DEP_2) | instskip(SKIP_1) | instid1(VALU_DEP_3)
	v_lshlrev_b32_e32 v5, 20, v134
	v_lshl_add_u32 v14, v116, 23, 0x3c000000
	v_and_b32_e32 v4, 0x80000000, v4
	s_delay_alu instid0(VALU_DEP_1) | instskip(NEXT) | instid1(VALU_DEP_1)
	v_or3_b32 v134, v5, v4, v14
	v_dual_mov_b32 v181, v135 :: v_dual_mov_b32 v180, v134
.LBB245_96:                             ;   in Loop: Header=BB245_10 Depth=1
	s_or_b32 exec_lo, exec_lo, s23
.LBB245_97:                             ;   in Loop: Header=BB245_10 Depth=1
	s_delay_alu instid0(SALU_CYCLE_1)
	s_or_b32 exec_lo, exec_lo, s18
.LBB245_98:                             ;   in Loop: Header=BB245_10 Depth=1
	s_delay_alu instid0(SALU_CYCLE_1) | instskip(SKIP_2) | instid1(VALU_DEP_1)
	s_or_b32 exec_lo, exec_lo, s3
	v_lshrrev_b16 v116, 8, v26
	s_mov_b32 s3, exec_lo
	v_cmpx_ne_u16_e32 0, v116
	s_cbranch_execz .LBB245_106
; %bb.99:                               ;   in Loop: Header=BB245_10 Depth=1
	v_dual_mov_b32 v179, s9 :: v_dual_mov_b32 v178, s8
	s_mov_b32 s23, exec_lo
	v_cmpx_ne_u16_e32 0x80, v116
	s_cbranch_execz .LBB245_105
; %bb.100:                              ;   in Loop: Header=BB245_10 Depth=1
	s_mov_b32 s18, s8
	v_dual_mov_b32 v179, s19 :: v_dual_and_b32 v14, 0xffff, v116
	v_mov_b32_e32 v178, s18
	s_mov_b32 s18, exec_lo
	s_delay_alu instid0(VALU_DEP_2) | instskip(NEXT) | instid1(VALU_DEP_1)
	v_and_b32_e32 v117, 0x7f, v14
	v_cmpx_ne_u32_e32 0x7f, v117
	s_cbranch_execz .LBB245_104
; %bb.101:                              ;   in Loop: Header=BB245_10 Depth=1
	v_and_b32_e32 v134, 7, v14
	v_lshrrev_b32_e32 v116, 3, v117
	s_mov_b32 s24, exec_lo
	v_cmpx_gt_u32_e32 8, v117
; %bb.102:                              ;   in Loop: Header=BB245_10 Depth=1
	s_delay_alu instid0(VALU_DEP_3) | instskip(NEXT) | instid1(VALU_DEP_1)
	v_clz_i32_u32_e32 v4, v134
	v_min_u32_e32 v4, 32, v4
	s_delay_alu instid0(VALU_DEP_1) | instskip(SKIP_1) | instid1(VALU_DEP_2)
	v_subrev_nc_u32_e32 v5, 28, v4
	v_sub_nc_u32_e32 v116, 29, v4
	v_lshlrev_b64 v[117:118], v5, v[134:135]
	s_delay_alu instid0(VALU_DEP_1)
	v_and_b32_e32 v134, 7, v117
; %bb.103:                              ;   in Loop: Header=BB245_10 Depth=1
	s_or_b32 exec_lo, exec_lo, s24
	v_lshlrev_b32_e32 v4, 16, v26
	s_delay_alu instid0(VALU_DEP_2) | instskip(SKIP_1) | instid1(VALU_DEP_3)
	v_dual_mov_b32 v178, v135 :: v_dual_lshlrev_b32 v5, 20, v134
	v_lshl_add_u32 v14, v116, 23, 0x3c000000
	v_and_b32_e32 v4, 0x80000000, v4
	s_delay_alu instid0(VALU_DEP_1)
	v_or3_b32 v179, v5, v4, v14
.LBB245_104:                            ;   in Loop: Header=BB245_10 Depth=1
	s_or_b32 exec_lo, exec_lo, s18
.LBB245_105:                            ;   in Loop: Header=BB245_10 Depth=1
	s_delay_alu instid0(SALU_CYCLE_1)
	s_or_b32 exec_lo, exec_lo, s23
.LBB245_106:                            ;   in Loop: Header=BB245_10 Depth=1
	s_delay_alu instid0(SALU_CYCLE_1) | instskip(SKIP_1) | instid1(VALU_DEP_1)
	s_or_b32 exec_lo, exec_lo, s3
	v_add_co_u32 v116, s2, 0x100, v160
	v_add_co_ci_u32_e64 v117, s2, 0, v161, s2
	s_mov_b32 s3, exec_lo
	flat_load_u16 v4, v[116:117] offset:8
	v_mov_b32_e32 v182, 0
	s_waitcnt vmcnt(0) lgkmcnt(0)
	v_dual_mov_b32 v183, 0 :: v_dual_and_b32 v26, 0xffff, v4
	s_delay_alu instid0(VALU_DEP_2) | instskip(NEXT) | instid1(VALU_DEP_2)
	v_dual_mov_b32 v40, v182 :: v_dual_and_b32 v5, 0xff, v4
	v_mov_b32_e32 v41, v183
	s_delay_alu instid0(VALU_DEP_2)
	v_cmpx_ne_u16_e32 0, v5
	s_cbranch_execz .LBB245_114
; %bb.107:                              ;   in Loop: Header=BB245_10 Depth=1
	v_bfrev_b32_e32 v40, 1
	v_dual_mov_b32 v41, 0 :: v_dual_and_b32 v4, 0xff, v26
	s_mov_b32 s18, exec_lo
	s_delay_alu instid0(VALU_DEP_1)
	v_cmpx_ne_u16_e32 0x80, v4
	s_cbranch_execz .LBB245_113
; %bb.108:                              ;   in Loop: Header=BB245_10 Depth=1
	v_mov_b32_e32 v40, 0x7f800001
	v_dual_mov_b32 v41, 0 :: v_dual_and_b32 v14, 0x7f, v26
	s_mov_b32 s23, exec_lo
	s_delay_alu instid0(VALU_DEP_1)
	v_cmpx_ne_u32_e32 0x7f, v14
	s_cbranch_execz .LBB245_112
; %bb.109:                              ;   in Loop: Header=BB245_10 Depth=1
	v_and_b32_e32 v134, 7, v26
	v_lshrrev_b32_e32 v118, 3, v14
	s_mov_b32 s24, exec_lo
	v_cmpx_gt_u32_e32 8, v14
; %bb.110:                              ;   in Loop: Header=BB245_10 Depth=1
	s_delay_alu instid0(VALU_DEP_3) | instskip(NEXT) | instid1(VALU_DEP_1)
	v_clz_i32_u32_e32 v4, v134
	v_min_u32_e32 v4, 32, v4
	s_delay_alu instid0(VALU_DEP_1) | instskip(SKIP_1) | instid1(VALU_DEP_2)
	v_subrev_nc_u32_e32 v5, 28, v4
	v_sub_nc_u32_e32 v118, 29, v4
	v_lshlrev_b64 v[40:41], v5, v[134:135]
	s_delay_alu instid0(VALU_DEP_1)
	v_and_b32_e32 v134, 7, v40
; %bb.111:                              ;   in Loop: Header=BB245_10 Depth=1
	s_or_b32 exec_lo, exec_lo, s24
	v_lshlrev_b32_e32 v4, 24, v26
	s_delay_alu instid0(VALU_DEP_2) | instskip(SKIP_1) | instid1(VALU_DEP_3)
	v_lshlrev_b32_e32 v5, 20, v134
	v_lshl_add_u32 v14, v118, 23, 0x3c000000
	v_and_b32_e32 v4, 0x80000000, v4
	s_delay_alu instid0(VALU_DEP_1) | instskip(NEXT) | instid1(VALU_DEP_1)
	v_or3_b32 v134, v5, v4, v14
	v_dual_mov_b32 v40, v134 :: v_dual_mov_b32 v41, v135
.LBB245_112:                            ;   in Loop: Header=BB245_10 Depth=1
	s_or_b32 exec_lo, exec_lo, s23
.LBB245_113:                            ;   in Loop: Header=BB245_10 Depth=1
	s_delay_alu instid0(SALU_CYCLE_1)
	s_or_b32 exec_lo, exec_lo, s18
.LBB245_114:                            ;   in Loop: Header=BB245_10 Depth=1
	s_delay_alu instid0(SALU_CYCLE_1) | instskip(SKIP_2) | instid1(VALU_DEP_1)
	s_or_b32 exec_lo, exec_lo, s3
	v_lshrrev_b16 v118, 8, v26
	s_mov_b32 s3, exec_lo
	v_cmpx_ne_u16_e32 0, v118
	s_cbranch_execz .LBB245_122
; %bb.115:                              ;   in Loop: Header=BB245_10 Depth=1
	v_dual_mov_b32 v183, s9 :: v_dual_mov_b32 v182, s8
	s_mov_b32 s23, exec_lo
	v_cmpx_ne_u16_e32 0x80, v118
	s_cbranch_execz .LBB245_121
; %bb.116:                              ;   in Loop: Header=BB245_10 Depth=1
	s_mov_b32 s18, s8
	v_dual_mov_b32 v183, s19 :: v_dual_and_b32 v14, 0xffff, v118
	v_mov_b32_e32 v182, s18
	s_mov_b32 s18, exec_lo
	s_delay_alu instid0(VALU_DEP_2) | instskip(NEXT) | instid1(VALU_DEP_1)
	v_and_b32_e32 v119, 0x7f, v14
	v_cmpx_ne_u32_e32 0x7f, v119
	s_cbranch_execz .LBB245_120
; %bb.117:                              ;   in Loop: Header=BB245_10 Depth=1
	v_and_b32_e32 v134, 7, v14
	v_lshrrev_b32_e32 v118, 3, v119
	s_mov_b32 s24, exec_lo
	v_cmpx_gt_u32_e32 8, v119
; %bb.118:                              ;   in Loop: Header=BB245_10 Depth=1
	s_delay_alu instid0(VALU_DEP_3) | instskip(NEXT) | instid1(VALU_DEP_1)
	v_clz_i32_u32_e32 v4, v134
	v_min_u32_e32 v4, 32, v4
	s_delay_alu instid0(VALU_DEP_1) | instskip(SKIP_1) | instid1(VALU_DEP_2)
	v_subrev_nc_u32_e32 v5, 28, v4
	v_sub_nc_u32_e32 v118, 29, v4
	v_lshlrev_b64 v[182:183], v5, v[134:135]
	s_delay_alu instid0(VALU_DEP_1)
	v_and_b32_e32 v134, 7, v182
; %bb.119:                              ;   in Loop: Header=BB245_10 Depth=1
	s_or_b32 exec_lo, exec_lo, s24
	v_lshlrev_b32_e32 v4, 16, v26
	s_delay_alu instid0(VALU_DEP_2) | instskip(SKIP_1) | instid1(VALU_DEP_3)
	v_dual_mov_b32 v182, v135 :: v_dual_lshlrev_b32 v5, 20, v134
	v_lshl_add_u32 v14, v118, 23, 0x3c000000
	v_and_b32_e32 v4, 0x80000000, v4
	s_delay_alu instid0(VALU_DEP_1)
	v_or3_b32 v183, v5, v4, v14
.LBB245_120:                            ;   in Loop: Header=BB245_10 Depth=1
	s_or_b32 exec_lo, exec_lo, s18
.LBB245_121:                            ;   in Loop: Header=BB245_10 Depth=1
	s_delay_alu instid0(SALU_CYCLE_1)
	s_or_b32 exec_lo, exec_lo, s23
.LBB245_122:                            ;   in Loop: Header=BB245_10 Depth=1
	s_delay_alu instid0(SALU_CYCLE_1)
	s_or_b32 exec_lo, exec_lo, s3
	flat_load_u16 v4, v[116:117] offset:12
	v_mov_b32_e32 v42, 0
	v_mov_b32_e32 v43, 0
	s_mov_b32 s3, exec_lo
	s_waitcnt vmcnt(0) lgkmcnt(0)
	v_and_b32_e32 v26, 0xffff, v4
	v_and_b32_e32 v5, 0xff, v4
	v_dual_mov_b32 v45, v43 :: v_dual_mov_b32 v44, v42
	s_delay_alu instid0(VALU_DEP_2)
	v_cmpx_ne_u16_e32 0, v5
	s_cbranch_execz .LBB245_130
; %bb.123:                              ;   in Loop: Header=BB245_10 Depth=1
	v_bfrev_b32_e32 v44, 1
	v_dual_mov_b32 v45, 0 :: v_dual_and_b32 v4, 0xff, v26
	s_mov_b32 s18, exec_lo
	s_delay_alu instid0(VALU_DEP_1)
	v_cmpx_ne_u16_e32 0x80, v4
	s_cbranch_execz .LBB245_129
; %bb.124:                              ;   in Loop: Header=BB245_10 Depth=1
	v_mov_b32_e32 v44, 0x7f800001
	v_dual_mov_b32 v45, 0 :: v_dual_and_b32 v14, 0x7f, v26
	s_mov_b32 s23, exec_lo
	s_delay_alu instid0(VALU_DEP_1)
	v_cmpx_ne_u32_e32 0x7f, v14
	s_cbranch_execz .LBB245_128
; %bb.125:                              ;   in Loop: Header=BB245_10 Depth=1
	v_and_b32_e32 v134, 7, v26
	v_lshrrev_b32_e32 v116, 3, v14
	s_mov_b32 s24, exec_lo
	v_cmpx_gt_u32_e32 8, v14
; %bb.126:                              ;   in Loop: Header=BB245_10 Depth=1
	s_delay_alu instid0(VALU_DEP_3) | instskip(NEXT) | instid1(VALU_DEP_1)
	v_clz_i32_u32_e32 v4, v134
	v_min_u32_e32 v4, 32, v4
	s_delay_alu instid0(VALU_DEP_1) | instskip(SKIP_1) | instid1(VALU_DEP_2)
	v_subrev_nc_u32_e32 v5, 28, v4
	v_sub_nc_u32_e32 v116, 29, v4
	v_lshlrev_b64 v[117:118], v5, v[134:135]
	s_delay_alu instid0(VALU_DEP_1)
	v_and_b32_e32 v134, 7, v117
; %bb.127:                              ;   in Loop: Header=BB245_10 Depth=1
	s_or_b32 exec_lo, exec_lo, s24
	v_lshlrev_b32_e32 v4, 24, v26
	s_delay_alu instid0(VALU_DEP_2) | instskip(SKIP_1) | instid1(VALU_DEP_3)
	v_lshlrev_b32_e32 v5, 20, v134
	v_lshl_add_u32 v14, v116, 23, 0x3c000000
	v_and_b32_e32 v4, 0x80000000, v4
	s_delay_alu instid0(VALU_DEP_1) | instskip(NEXT) | instid1(VALU_DEP_1)
	v_or3_b32 v134, v5, v4, v14
	v_dual_mov_b32 v44, v134 :: v_dual_mov_b32 v45, v135
.LBB245_128:                            ;   in Loop: Header=BB245_10 Depth=1
	s_or_b32 exec_lo, exec_lo, s23
.LBB245_129:                            ;   in Loop: Header=BB245_10 Depth=1
	s_delay_alu instid0(SALU_CYCLE_1)
	s_or_b32 exec_lo, exec_lo, s18
.LBB245_130:                            ;   in Loop: Header=BB245_10 Depth=1
	s_delay_alu instid0(SALU_CYCLE_1) | instskip(SKIP_2) | instid1(VALU_DEP_1)
	s_or_b32 exec_lo, exec_lo, s3
	v_lshrrev_b16 v116, 8, v26
	s_mov_b32 s3, exec_lo
	v_cmpx_ne_u16_e32 0, v116
	s_cbranch_execz .LBB245_138
; %bb.131:                              ;   in Loop: Header=BB245_10 Depth=1
	v_dual_mov_b32 v43, s9 :: v_dual_mov_b32 v42, s8
	s_mov_b32 s23, exec_lo
	v_cmpx_ne_u16_e32 0x80, v116
	s_cbranch_execz .LBB245_137
; %bb.132:                              ;   in Loop: Header=BB245_10 Depth=1
	s_mov_b32 s18, s8
	v_dual_mov_b32 v43, s19 :: v_dual_and_b32 v14, 0xffff, v116
	v_mov_b32_e32 v42, s18
	s_mov_b32 s18, exec_lo
	s_delay_alu instid0(VALU_DEP_2) | instskip(NEXT) | instid1(VALU_DEP_1)
	v_and_b32_e32 v117, 0x7f, v14
	v_cmpx_ne_u32_e32 0x7f, v117
	s_cbranch_execz .LBB245_136
; %bb.133:                              ;   in Loop: Header=BB245_10 Depth=1
	v_and_b32_e32 v134, 7, v14
	v_lshrrev_b32_e32 v116, 3, v117
	s_mov_b32 s24, exec_lo
	v_cmpx_gt_u32_e32 8, v117
; %bb.134:                              ;   in Loop: Header=BB245_10 Depth=1
	s_delay_alu instid0(VALU_DEP_3) | instskip(NEXT) | instid1(VALU_DEP_1)
	v_clz_i32_u32_e32 v4, v134
	v_min_u32_e32 v4, 32, v4
	s_delay_alu instid0(VALU_DEP_1) | instskip(SKIP_1) | instid1(VALU_DEP_2)
	v_subrev_nc_u32_e32 v5, 28, v4
	v_sub_nc_u32_e32 v116, 29, v4
	v_lshlrev_b64 v[117:118], v5, v[134:135]
	s_delay_alu instid0(VALU_DEP_1)
	v_and_b32_e32 v134, 7, v117
; %bb.135:                              ;   in Loop: Header=BB245_10 Depth=1
	s_or_b32 exec_lo, exec_lo, s24
	v_lshlrev_b32_e32 v4, 16, v26
	s_delay_alu instid0(VALU_DEP_2) | instskip(SKIP_1) | instid1(VALU_DEP_3)
	v_dual_mov_b32 v42, v135 :: v_dual_lshlrev_b32 v5, 20, v134
	v_lshl_add_u32 v14, v116, 23, 0x3c000000
	v_and_b32_e32 v4, 0x80000000, v4
	s_delay_alu instid0(VALU_DEP_1)
	v_or3_b32 v43, v5, v4, v14
.LBB245_136:                            ;   in Loop: Header=BB245_10 Depth=1
	s_or_b32 exec_lo, exec_lo, s18
.LBB245_137:                            ;   in Loop: Header=BB245_10 Depth=1
	s_delay_alu instid0(SALU_CYCLE_1)
	s_or_b32 exec_lo, exec_lo, s23
.LBB245_138:                            ;   in Loop: Header=BB245_10 Depth=1
	s_delay_alu instid0(SALU_CYCLE_1)
	s_or_b32 exec_lo, exec_lo, s3
	flat_load_u16 v4, v[160:161] offset:512
	v_mov_b32_e32 v46, 0
	v_mov_b32_e32 v47, 0
	s_mov_b32 s3, exec_lo
	s_waitcnt vmcnt(0) lgkmcnt(0)
	v_and_b32_e32 v26, 0xffff, v4
	v_and_b32_e32 v5, 0xff, v4
	v_dual_mov_b32 v57, v47 :: v_dual_mov_b32 v56, v46
	s_delay_alu instid0(VALU_DEP_2)
	v_cmpx_ne_u16_e32 0, v5
	s_cbranch_execz .LBB245_146
; %bb.139:                              ;   in Loop: Header=BB245_10 Depth=1
	v_bfrev_b32_e32 v56, 1
	v_dual_mov_b32 v57, 0 :: v_dual_and_b32 v4, 0xff, v26
	s_mov_b32 s18, exec_lo
	s_delay_alu instid0(VALU_DEP_1)
	v_cmpx_ne_u16_e32 0x80, v4
	s_cbranch_execz .LBB245_145
; %bb.140:                              ;   in Loop: Header=BB245_10 Depth=1
	v_mov_b32_e32 v56, 0x7f800001
	v_dual_mov_b32 v57, 0 :: v_dual_and_b32 v14, 0x7f, v26
	s_mov_b32 s23, exec_lo
	s_delay_alu instid0(VALU_DEP_1)
	v_cmpx_ne_u32_e32 0x7f, v14
	s_cbranch_execz .LBB245_144
; %bb.141:                              ;   in Loop: Header=BB245_10 Depth=1
	v_and_b32_e32 v134, 7, v26
	v_lshrrev_b32_e32 v116, 3, v14
	s_mov_b32 s24, exec_lo
	v_cmpx_gt_u32_e32 8, v14
; %bb.142:                              ;   in Loop: Header=BB245_10 Depth=1
	s_delay_alu instid0(VALU_DEP_3) | instskip(NEXT) | instid1(VALU_DEP_1)
	v_clz_i32_u32_e32 v4, v134
	v_min_u32_e32 v4, 32, v4
	s_delay_alu instid0(VALU_DEP_1) | instskip(SKIP_1) | instid1(VALU_DEP_2)
	v_subrev_nc_u32_e32 v5, 28, v4
	v_sub_nc_u32_e32 v116, 29, v4
	v_lshlrev_b64 v[117:118], v5, v[134:135]
	s_delay_alu instid0(VALU_DEP_1)
	v_and_b32_e32 v134, 7, v117
; %bb.143:                              ;   in Loop: Header=BB245_10 Depth=1
	s_or_b32 exec_lo, exec_lo, s24
	v_lshlrev_b32_e32 v4, 24, v26
	s_delay_alu instid0(VALU_DEP_2) | instskip(SKIP_1) | instid1(VALU_DEP_3)
	v_lshlrev_b32_e32 v5, 20, v134
	v_lshl_add_u32 v14, v116, 23, 0x3c000000
	v_and_b32_e32 v4, 0x80000000, v4
	s_delay_alu instid0(VALU_DEP_1) | instskip(NEXT) | instid1(VALU_DEP_1)
	v_or3_b32 v134, v5, v4, v14
	v_dual_mov_b32 v56, v134 :: v_dual_mov_b32 v57, v135
.LBB245_144:                            ;   in Loop: Header=BB245_10 Depth=1
	s_or_b32 exec_lo, exec_lo, s23
.LBB245_145:                            ;   in Loop: Header=BB245_10 Depth=1
	s_delay_alu instid0(SALU_CYCLE_1)
	s_or_b32 exec_lo, exec_lo, s18
.LBB245_146:                            ;   in Loop: Header=BB245_10 Depth=1
	s_delay_alu instid0(SALU_CYCLE_1) | instskip(SKIP_2) | instid1(VALU_DEP_1)
	s_or_b32 exec_lo, exec_lo, s3
	v_lshrrev_b16 v116, 8, v26
	s_mov_b32 s3, exec_lo
	v_cmpx_ne_u16_e32 0, v116
	s_cbranch_execz .LBB245_154
; %bb.147:                              ;   in Loop: Header=BB245_10 Depth=1
	v_dual_mov_b32 v47, s9 :: v_dual_mov_b32 v46, s8
	s_mov_b32 s23, exec_lo
	v_cmpx_ne_u16_e32 0x80, v116
	s_cbranch_execz .LBB245_153
; %bb.148:                              ;   in Loop: Header=BB245_10 Depth=1
	s_mov_b32 s18, s8
	v_dual_mov_b32 v47, s19 :: v_dual_and_b32 v14, 0xffff, v116
	v_mov_b32_e32 v46, s18
	s_mov_b32 s18, exec_lo
	s_delay_alu instid0(VALU_DEP_2) | instskip(NEXT) | instid1(VALU_DEP_1)
	v_and_b32_e32 v117, 0x7f, v14
	v_cmpx_ne_u32_e32 0x7f, v117
	s_cbranch_execz .LBB245_152
; %bb.149:                              ;   in Loop: Header=BB245_10 Depth=1
	v_and_b32_e32 v134, 7, v14
	v_lshrrev_b32_e32 v116, 3, v117
	s_mov_b32 s24, exec_lo
	v_cmpx_gt_u32_e32 8, v117
; %bb.150:                              ;   in Loop: Header=BB245_10 Depth=1
	s_delay_alu instid0(VALU_DEP_3) | instskip(NEXT) | instid1(VALU_DEP_1)
	v_clz_i32_u32_e32 v4, v134
	v_min_u32_e32 v4, 32, v4
	s_delay_alu instid0(VALU_DEP_1) | instskip(SKIP_1) | instid1(VALU_DEP_2)
	v_subrev_nc_u32_e32 v5, 28, v4
	v_sub_nc_u32_e32 v116, 29, v4
	v_lshlrev_b64 v[117:118], v5, v[134:135]
	s_delay_alu instid0(VALU_DEP_1)
	v_and_b32_e32 v134, 7, v117
; %bb.151:                              ;   in Loop: Header=BB245_10 Depth=1
	s_or_b32 exec_lo, exec_lo, s24
	v_lshlrev_b32_e32 v4, 16, v26
	s_delay_alu instid0(VALU_DEP_2) | instskip(SKIP_1) | instid1(VALU_DEP_3)
	v_dual_mov_b32 v46, v135 :: v_dual_lshlrev_b32 v5, 20, v134
	v_lshl_add_u32 v14, v116, 23, 0x3c000000
	v_and_b32_e32 v4, 0x80000000, v4
	s_delay_alu instid0(VALU_DEP_1)
	v_or3_b32 v47, v5, v4, v14
.LBB245_152:                            ;   in Loop: Header=BB245_10 Depth=1
	s_or_b32 exec_lo, exec_lo, s18
.LBB245_153:                            ;   in Loop: Header=BB245_10 Depth=1
	s_delay_alu instid0(SALU_CYCLE_1)
	s_or_b32 exec_lo, exec_lo, s23
.LBB245_154:                            ;   in Loop: Header=BB245_10 Depth=1
	s_delay_alu instid0(SALU_CYCLE_1)
	s_or_b32 exec_lo, exec_lo, s3
	flat_load_u16 v4, v[160:161] offset:516
	v_mov_b32_e32 v58, 0
	v_mov_b32_e32 v59, 0
	s_mov_b32 s3, exec_lo
	s_waitcnt vmcnt(0) lgkmcnt(0)
	v_and_b32_e32 v26, 0xffff, v4
	v_and_b32_e32 v5, 0xff, v4
	v_dual_mov_b32 v61, v59 :: v_dual_mov_b32 v60, v58
	s_delay_alu instid0(VALU_DEP_2)
	v_cmpx_ne_u16_e32 0, v5
	s_cbranch_execz .LBB245_162
; %bb.155:                              ;   in Loop: Header=BB245_10 Depth=1
	v_bfrev_b32_e32 v60, 1
	v_dual_mov_b32 v61, 0 :: v_dual_and_b32 v4, 0xff, v26
	s_mov_b32 s18, exec_lo
	s_delay_alu instid0(VALU_DEP_1)
	v_cmpx_ne_u16_e32 0x80, v4
	s_cbranch_execz .LBB245_161
; %bb.156:                              ;   in Loop: Header=BB245_10 Depth=1
	v_mov_b32_e32 v60, 0x7f800001
	v_dual_mov_b32 v61, 0 :: v_dual_and_b32 v14, 0x7f, v26
	s_mov_b32 s23, exec_lo
	s_delay_alu instid0(VALU_DEP_1)
	v_cmpx_ne_u32_e32 0x7f, v14
	s_cbranch_execz .LBB245_160
; %bb.157:                              ;   in Loop: Header=BB245_10 Depth=1
	v_and_b32_e32 v134, 7, v26
	v_lshrrev_b32_e32 v116, 3, v14
	s_mov_b32 s24, exec_lo
	v_cmpx_gt_u32_e32 8, v14
; %bb.158:                              ;   in Loop: Header=BB245_10 Depth=1
	s_delay_alu instid0(VALU_DEP_3) | instskip(NEXT) | instid1(VALU_DEP_1)
	v_clz_i32_u32_e32 v4, v134
	v_min_u32_e32 v4, 32, v4
	s_delay_alu instid0(VALU_DEP_1) | instskip(SKIP_1) | instid1(VALU_DEP_2)
	v_subrev_nc_u32_e32 v5, 28, v4
	v_sub_nc_u32_e32 v116, 29, v4
	v_lshlrev_b64 v[117:118], v5, v[134:135]
	s_delay_alu instid0(VALU_DEP_1)
	v_and_b32_e32 v134, 7, v117
; %bb.159:                              ;   in Loop: Header=BB245_10 Depth=1
	s_or_b32 exec_lo, exec_lo, s24
	v_lshlrev_b32_e32 v4, 24, v26
	s_delay_alu instid0(VALU_DEP_2) | instskip(SKIP_1) | instid1(VALU_DEP_3)
	v_lshlrev_b32_e32 v5, 20, v134
	v_lshl_add_u32 v14, v116, 23, 0x3c000000
	v_and_b32_e32 v4, 0x80000000, v4
	s_delay_alu instid0(VALU_DEP_1) | instskip(NEXT) | instid1(VALU_DEP_1)
	v_or3_b32 v134, v5, v4, v14
	v_dual_mov_b32 v60, v134 :: v_dual_mov_b32 v61, v135
.LBB245_160:                            ;   in Loop: Header=BB245_10 Depth=1
	s_or_b32 exec_lo, exec_lo, s23
.LBB245_161:                            ;   in Loop: Header=BB245_10 Depth=1
	s_delay_alu instid0(SALU_CYCLE_1)
	s_or_b32 exec_lo, exec_lo, s18
.LBB245_162:                            ;   in Loop: Header=BB245_10 Depth=1
	s_delay_alu instid0(SALU_CYCLE_1) | instskip(SKIP_2) | instid1(VALU_DEP_1)
	s_or_b32 exec_lo, exec_lo, s3
	v_lshrrev_b16 v116, 8, v26
	s_mov_b32 s3, exec_lo
	v_cmpx_ne_u16_e32 0, v116
	s_cbranch_execz .LBB245_170
; %bb.163:                              ;   in Loop: Header=BB245_10 Depth=1
	v_dual_mov_b32 v59, s9 :: v_dual_mov_b32 v58, s8
	s_mov_b32 s23, exec_lo
	v_cmpx_ne_u16_e32 0x80, v116
	s_cbranch_execz .LBB245_169
; %bb.164:                              ;   in Loop: Header=BB245_10 Depth=1
	s_mov_b32 s18, s8
	v_dual_mov_b32 v59, s19 :: v_dual_and_b32 v14, 0xffff, v116
	v_mov_b32_e32 v58, s18
	s_mov_b32 s18, exec_lo
	s_delay_alu instid0(VALU_DEP_2) | instskip(NEXT) | instid1(VALU_DEP_1)
	v_and_b32_e32 v117, 0x7f, v14
	v_cmpx_ne_u32_e32 0x7f, v117
	s_cbranch_execz .LBB245_168
; %bb.165:                              ;   in Loop: Header=BB245_10 Depth=1
	v_and_b32_e32 v134, 7, v14
	v_lshrrev_b32_e32 v116, 3, v117
	s_mov_b32 s24, exec_lo
	v_cmpx_gt_u32_e32 8, v117
; %bb.166:                              ;   in Loop: Header=BB245_10 Depth=1
	s_delay_alu instid0(VALU_DEP_3) | instskip(NEXT) | instid1(VALU_DEP_1)
	v_clz_i32_u32_e32 v4, v134
	v_min_u32_e32 v4, 32, v4
	s_delay_alu instid0(VALU_DEP_1) | instskip(SKIP_1) | instid1(VALU_DEP_2)
	v_subrev_nc_u32_e32 v5, 28, v4
	v_sub_nc_u32_e32 v116, 29, v4
	v_lshlrev_b64 v[117:118], v5, v[134:135]
	s_delay_alu instid0(VALU_DEP_1)
	v_and_b32_e32 v134, 7, v117
; %bb.167:                              ;   in Loop: Header=BB245_10 Depth=1
	s_or_b32 exec_lo, exec_lo, s24
	v_lshlrev_b32_e32 v4, 16, v26
	s_delay_alu instid0(VALU_DEP_2) | instskip(SKIP_1) | instid1(VALU_DEP_3)
	v_dual_mov_b32 v58, v135 :: v_dual_lshlrev_b32 v5, 20, v134
	v_lshl_add_u32 v14, v116, 23, 0x3c000000
	v_and_b32_e32 v4, 0x80000000, v4
	s_delay_alu instid0(VALU_DEP_1)
	v_or3_b32 v59, v5, v4, v14
.LBB245_168:                            ;   in Loop: Header=BB245_10 Depth=1
	s_or_b32 exec_lo, exec_lo, s18
.LBB245_169:                            ;   in Loop: Header=BB245_10 Depth=1
	s_delay_alu instid0(SALU_CYCLE_1)
	s_or_b32 exec_lo, exec_lo, s23
.LBB245_170:                            ;   in Loop: Header=BB245_10 Depth=1
	s_delay_alu instid0(SALU_CYCLE_1) | instskip(SKIP_1) | instid1(VALU_DEP_1)
	s_or_b32 exec_lo, exec_lo, s3
	v_add_co_u32 v116, s2, 0x200, v160
	v_add_co_ci_u32_e64 v117, s2, 0, v161, s2
	s_mov_b32 s3, exec_lo
	flat_load_u16 v4, v[116:117] offset:8
	v_mov_b32_e32 v62, 0
	s_waitcnt vmcnt(0) lgkmcnt(0)
	v_dual_mov_b32 v63, 0 :: v_dual_and_b32 v26, 0xffff, v4
	v_and_b32_e32 v5, 0xff, v4
	s_delay_alu instid0(VALU_DEP_2) | instskip(NEXT) | instid1(VALU_DEP_2)
	v_dual_mov_b32 v73, v63 :: v_dual_mov_b32 v72, v62
	v_cmpx_ne_u16_e32 0, v5
	s_cbranch_execz .LBB245_178
; %bb.171:                              ;   in Loop: Header=BB245_10 Depth=1
	v_bfrev_b32_e32 v72, 1
	v_dual_mov_b32 v73, 0 :: v_dual_and_b32 v4, 0xff, v26
	s_mov_b32 s18, exec_lo
	s_delay_alu instid0(VALU_DEP_1)
	v_cmpx_ne_u16_e32 0x80, v4
	s_cbranch_execz .LBB245_177
; %bb.172:                              ;   in Loop: Header=BB245_10 Depth=1
	v_mov_b32_e32 v72, 0x7f800001
	v_dual_mov_b32 v73, 0 :: v_dual_and_b32 v14, 0x7f, v26
	s_mov_b32 s23, exec_lo
	s_delay_alu instid0(VALU_DEP_1)
	v_cmpx_ne_u32_e32 0x7f, v14
	s_cbranch_execz .LBB245_176
; %bb.173:                              ;   in Loop: Header=BB245_10 Depth=1
	v_and_b32_e32 v134, 7, v26
	v_lshrrev_b32_e32 v118, 3, v14
	s_mov_b32 s24, exec_lo
	v_cmpx_gt_u32_e32 8, v14
; %bb.174:                              ;   in Loop: Header=BB245_10 Depth=1
	s_delay_alu instid0(VALU_DEP_3) | instskip(NEXT) | instid1(VALU_DEP_1)
	v_clz_i32_u32_e32 v4, v134
	v_min_u32_e32 v4, 32, v4
	s_delay_alu instid0(VALU_DEP_1) | instskip(SKIP_1) | instid1(VALU_DEP_2)
	v_subrev_nc_u32_e32 v5, 28, v4
	v_sub_nc_u32_e32 v118, 29, v4
	v_lshlrev_b64 v[72:73], v5, v[134:135]
	s_delay_alu instid0(VALU_DEP_1)
	v_and_b32_e32 v134, 7, v72
; %bb.175:                              ;   in Loop: Header=BB245_10 Depth=1
	s_or_b32 exec_lo, exec_lo, s24
	v_lshlrev_b32_e32 v4, 24, v26
	s_delay_alu instid0(VALU_DEP_2) | instskip(SKIP_1) | instid1(VALU_DEP_3)
	v_lshlrev_b32_e32 v5, 20, v134
	v_lshl_add_u32 v14, v118, 23, 0x3c000000
	v_and_b32_e32 v4, 0x80000000, v4
	s_delay_alu instid0(VALU_DEP_1) | instskip(NEXT) | instid1(VALU_DEP_1)
	v_or3_b32 v134, v5, v4, v14
	v_dual_mov_b32 v72, v134 :: v_dual_mov_b32 v73, v135
.LBB245_176:                            ;   in Loop: Header=BB245_10 Depth=1
	s_or_b32 exec_lo, exec_lo, s23
.LBB245_177:                            ;   in Loop: Header=BB245_10 Depth=1
	s_delay_alu instid0(SALU_CYCLE_1)
	s_or_b32 exec_lo, exec_lo, s18
.LBB245_178:                            ;   in Loop: Header=BB245_10 Depth=1
	s_delay_alu instid0(SALU_CYCLE_1) | instskip(SKIP_2) | instid1(VALU_DEP_1)
	s_or_b32 exec_lo, exec_lo, s3
	v_lshrrev_b16 v118, 8, v26
	s_mov_b32 s3, exec_lo
	v_cmpx_ne_u16_e32 0, v118
	s_cbranch_execz .LBB245_186
; %bb.179:                              ;   in Loop: Header=BB245_10 Depth=1
	v_dual_mov_b32 v63, s9 :: v_dual_mov_b32 v62, s8
	s_mov_b32 s23, exec_lo
	v_cmpx_ne_u16_e32 0x80, v118
	s_cbranch_execz .LBB245_185
; %bb.180:                              ;   in Loop: Header=BB245_10 Depth=1
	s_mov_b32 s18, s8
	v_dual_mov_b32 v63, s19 :: v_dual_and_b32 v14, 0xffff, v118
	v_mov_b32_e32 v62, s18
	s_mov_b32 s18, exec_lo
	s_delay_alu instid0(VALU_DEP_2) | instskip(NEXT) | instid1(VALU_DEP_1)
	v_and_b32_e32 v119, 0x7f, v14
	v_cmpx_ne_u32_e32 0x7f, v119
	s_cbranch_execz .LBB245_184
; %bb.181:                              ;   in Loop: Header=BB245_10 Depth=1
	v_and_b32_e32 v134, 7, v14
	v_lshrrev_b32_e32 v118, 3, v119
	s_mov_b32 s24, exec_lo
	v_cmpx_gt_u32_e32 8, v119
; %bb.182:                              ;   in Loop: Header=BB245_10 Depth=1
	s_delay_alu instid0(VALU_DEP_3) | instskip(NEXT) | instid1(VALU_DEP_1)
	v_clz_i32_u32_e32 v4, v134
	v_min_u32_e32 v4, 32, v4
	s_delay_alu instid0(VALU_DEP_1) | instskip(SKIP_1) | instid1(VALU_DEP_2)
	v_subrev_nc_u32_e32 v5, 28, v4
	v_sub_nc_u32_e32 v118, 29, v4
	v_lshlrev_b64 v[62:63], v5, v[134:135]
	s_delay_alu instid0(VALU_DEP_1)
	v_and_b32_e32 v134, 7, v62
; %bb.183:                              ;   in Loop: Header=BB245_10 Depth=1
	s_or_b32 exec_lo, exec_lo, s24
	v_lshlrev_b32_e32 v4, 16, v26
	s_delay_alu instid0(VALU_DEP_2) | instskip(SKIP_1) | instid1(VALU_DEP_3)
	v_dual_mov_b32 v62, v135 :: v_dual_lshlrev_b32 v5, 20, v134
	v_lshl_add_u32 v14, v118, 23, 0x3c000000
	v_and_b32_e32 v4, 0x80000000, v4
	s_delay_alu instid0(VALU_DEP_1)
	v_or3_b32 v63, v5, v4, v14
.LBB245_184:                            ;   in Loop: Header=BB245_10 Depth=1
	s_or_b32 exec_lo, exec_lo, s18
.LBB245_185:                            ;   in Loop: Header=BB245_10 Depth=1
	s_delay_alu instid0(SALU_CYCLE_1)
	s_or_b32 exec_lo, exec_lo, s23
.LBB245_186:                            ;   in Loop: Header=BB245_10 Depth=1
	s_delay_alu instid0(SALU_CYCLE_1)
	s_or_b32 exec_lo, exec_lo, s3
	flat_load_u16 v4, v[116:117] offset:12
	v_mov_b32_e32 v74, 0
	v_mov_b32_e32 v75, 0
	s_mov_b32 s3, exec_lo
	s_waitcnt vmcnt(0) lgkmcnt(0)
	v_and_b32_e32 v26, 0xffff, v4
	v_and_b32_e32 v5, 0xff, v4
	v_dual_mov_b32 v77, v75 :: v_dual_mov_b32 v76, v74
	s_delay_alu instid0(VALU_DEP_2)
	v_cmpx_ne_u16_e32 0, v5
	s_cbranch_execz .LBB245_194
; %bb.187:                              ;   in Loop: Header=BB245_10 Depth=1
	v_bfrev_b32_e32 v76, 1
	v_dual_mov_b32 v77, 0 :: v_dual_and_b32 v4, 0xff, v26
	s_mov_b32 s18, exec_lo
	s_delay_alu instid0(VALU_DEP_1)
	v_cmpx_ne_u16_e32 0x80, v4
	s_cbranch_execz .LBB245_193
; %bb.188:                              ;   in Loop: Header=BB245_10 Depth=1
	v_mov_b32_e32 v76, 0x7f800001
	v_dual_mov_b32 v77, 0 :: v_dual_and_b32 v14, 0x7f, v26
	s_mov_b32 s23, exec_lo
	s_delay_alu instid0(VALU_DEP_1)
	v_cmpx_ne_u32_e32 0x7f, v14
	s_cbranch_execz .LBB245_192
; %bb.189:                              ;   in Loop: Header=BB245_10 Depth=1
	v_and_b32_e32 v134, 7, v26
	v_lshrrev_b32_e32 v116, 3, v14
	s_mov_b32 s24, exec_lo
	v_cmpx_gt_u32_e32 8, v14
; %bb.190:                              ;   in Loop: Header=BB245_10 Depth=1
	s_delay_alu instid0(VALU_DEP_3) | instskip(NEXT) | instid1(VALU_DEP_1)
	v_clz_i32_u32_e32 v4, v134
	v_min_u32_e32 v4, 32, v4
	s_delay_alu instid0(VALU_DEP_1) | instskip(SKIP_1) | instid1(VALU_DEP_2)
	v_subrev_nc_u32_e32 v5, 28, v4
	v_sub_nc_u32_e32 v116, 29, v4
	v_lshlrev_b64 v[117:118], v5, v[134:135]
	s_delay_alu instid0(VALU_DEP_1)
	v_and_b32_e32 v134, 7, v117
; %bb.191:                              ;   in Loop: Header=BB245_10 Depth=1
	s_or_b32 exec_lo, exec_lo, s24
	v_lshlrev_b32_e32 v4, 24, v26
	s_delay_alu instid0(VALU_DEP_2) | instskip(SKIP_1) | instid1(VALU_DEP_3)
	v_lshlrev_b32_e32 v5, 20, v134
	v_lshl_add_u32 v14, v116, 23, 0x3c000000
	v_and_b32_e32 v4, 0x80000000, v4
	s_delay_alu instid0(VALU_DEP_1) | instskip(NEXT) | instid1(VALU_DEP_1)
	v_or3_b32 v134, v5, v4, v14
	v_dual_mov_b32 v76, v134 :: v_dual_mov_b32 v77, v135
.LBB245_192:                            ;   in Loop: Header=BB245_10 Depth=1
	s_or_b32 exec_lo, exec_lo, s23
.LBB245_193:                            ;   in Loop: Header=BB245_10 Depth=1
	s_delay_alu instid0(SALU_CYCLE_1)
	s_or_b32 exec_lo, exec_lo, s18
.LBB245_194:                            ;   in Loop: Header=BB245_10 Depth=1
	s_delay_alu instid0(SALU_CYCLE_1) | instskip(SKIP_2) | instid1(VALU_DEP_1)
	s_or_b32 exec_lo, exec_lo, s3
	v_lshrrev_b16 v116, 8, v26
	s_mov_b32 s3, exec_lo
	v_cmpx_ne_u16_e32 0, v116
	s_cbranch_execz .LBB245_202
; %bb.195:                              ;   in Loop: Header=BB245_10 Depth=1
	v_dual_mov_b32 v75, s9 :: v_dual_mov_b32 v74, s8
	s_mov_b32 s23, exec_lo
	v_cmpx_ne_u16_e32 0x80, v116
	s_cbranch_execz .LBB245_201
; %bb.196:                              ;   in Loop: Header=BB245_10 Depth=1
	s_mov_b32 s18, s8
	v_dual_mov_b32 v75, s19 :: v_dual_and_b32 v14, 0xffff, v116
	v_mov_b32_e32 v74, s18
	s_mov_b32 s18, exec_lo
	s_delay_alu instid0(VALU_DEP_2) | instskip(NEXT) | instid1(VALU_DEP_1)
	v_and_b32_e32 v117, 0x7f, v14
	v_cmpx_ne_u32_e32 0x7f, v117
	s_cbranch_execz .LBB245_200
; %bb.197:                              ;   in Loop: Header=BB245_10 Depth=1
	v_and_b32_e32 v134, 7, v14
	v_lshrrev_b32_e32 v116, 3, v117
	s_mov_b32 s24, exec_lo
	v_cmpx_gt_u32_e32 8, v117
; %bb.198:                              ;   in Loop: Header=BB245_10 Depth=1
	s_delay_alu instid0(VALU_DEP_3) | instskip(NEXT) | instid1(VALU_DEP_1)
	v_clz_i32_u32_e32 v4, v134
	v_min_u32_e32 v4, 32, v4
	s_delay_alu instid0(VALU_DEP_1) | instskip(SKIP_1) | instid1(VALU_DEP_2)
	v_subrev_nc_u32_e32 v5, 28, v4
	v_sub_nc_u32_e32 v116, 29, v4
	v_lshlrev_b64 v[117:118], v5, v[134:135]
	s_delay_alu instid0(VALU_DEP_1)
	v_and_b32_e32 v134, 7, v117
; %bb.199:                              ;   in Loop: Header=BB245_10 Depth=1
	s_or_b32 exec_lo, exec_lo, s24
	v_lshlrev_b32_e32 v4, 16, v26
	s_delay_alu instid0(VALU_DEP_2) | instskip(SKIP_1) | instid1(VALU_DEP_3)
	v_dual_mov_b32 v74, v135 :: v_dual_lshlrev_b32 v5, 20, v134
	v_lshl_add_u32 v14, v116, 23, 0x3c000000
	v_and_b32_e32 v4, 0x80000000, v4
	s_delay_alu instid0(VALU_DEP_1)
	v_or3_b32 v75, v5, v4, v14
.LBB245_200:                            ;   in Loop: Header=BB245_10 Depth=1
	s_or_b32 exec_lo, exec_lo, s18
.LBB245_201:                            ;   in Loop: Header=BB245_10 Depth=1
	s_delay_alu instid0(SALU_CYCLE_1)
	s_or_b32 exec_lo, exec_lo, s23
.LBB245_202:                            ;   in Loop: Header=BB245_10 Depth=1
	s_delay_alu instid0(SALU_CYCLE_1)
	s_or_b32 exec_lo, exec_lo, s3
	flat_load_u16 v4, v[160:161] offset:768
	v_mov_b32_e32 v78, 0
	v_mov_b32_e32 v79, 0
	s_mov_b32 s3, exec_lo
	s_waitcnt vmcnt(0) lgkmcnt(0)
	v_and_b32_e32 v26, 0xffff, v4
	v_and_b32_e32 v5, 0xff, v4
	v_dual_mov_b32 v89, v79 :: v_dual_mov_b32 v88, v78
	s_delay_alu instid0(VALU_DEP_2)
	v_cmpx_ne_u16_e32 0, v5
	s_cbranch_execz .LBB245_210
; %bb.203:                              ;   in Loop: Header=BB245_10 Depth=1
	v_bfrev_b32_e32 v88, 1
	v_dual_mov_b32 v89, 0 :: v_dual_and_b32 v4, 0xff, v26
	s_mov_b32 s18, exec_lo
	s_delay_alu instid0(VALU_DEP_1)
	v_cmpx_ne_u16_e32 0x80, v4
	s_cbranch_execz .LBB245_209
; %bb.204:                              ;   in Loop: Header=BB245_10 Depth=1
	v_mov_b32_e32 v88, 0x7f800001
	v_dual_mov_b32 v89, 0 :: v_dual_and_b32 v14, 0x7f, v26
	s_mov_b32 s23, exec_lo
	s_delay_alu instid0(VALU_DEP_1)
	v_cmpx_ne_u32_e32 0x7f, v14
	s_cbranch_execz .LBB245_208
; %bb.205:                              ;   in Loop: Header=BB245_10 Depth=1
	v_and_b32_e32 v134, 7, v26
	v_lshrrev_b32_e32 v116, 3, v14
	s_mov_b32 s24, exec_lo
	v_cmpx_gt_u32_e32 8, v14
; %bb.206:                              ;   in Loop: Header=BB245_10 Depth=1
	s_delay_alu instid0(VALU_DEP_3) | instskip(NEXT) | instid1(VALU_DEP_1)
	v_clz_i32_u32_e32 v4, v134
	v_min_u32_e32 v4, 32, v4
	s_delay_alu instid0(VALU_DEP_1) | instskip(SKIP_1) | instid1(VALU_DEP_2)
	v_subrev_nc_u32_e32 v5, 28, v4
	v_sub_nc_u32_e32 v116, 29, v4
	v_lshlrev_b64 v[117:118], v5, v[134:135]
	s_delay_alu instid0(VALU_DEP_1)
	v_and_b32_e32 v134, 7, v117
; %bb.207:                              ;   in Loop: Header=BB245_10 Depth=1
	s_or_b32 exec_lo, exec_lo, s24
	v_lshlrev_b32_e32 v4, 24, v26
	s_delay_alu instid0(VALU_DEP_2) | instskip(SKIP_1) | instid1(VALU_DEP_3)
	v_lshlrev_b32_e32 v5, 20, v134
	v_lshl_add_u32 v14, v116, 23, 0x3c000000
	v_and_b32_e32 v4, 0x80000000, v4
	s_delay_alu instid0(VALU_DEP_1) | instskip(NEXT) | instid1(VALU_DEP_1)
	v_or3_b32 v134, v5, v4, v14
	v_dual_mov_b32 v88, v134 :: v_dual_mov_b32 v89, v135
.LBB245_208:                            ;   in Loop: Header=BB245_10 Depth=1
	s_or_b32 exec_lo, exec_lo, s23
.LBB245_209:                            ;   in Loop: Header=BB245_10 Depth=1
	s_delay_alu instid0(SALU_CYCLE_1)
	s_or_b32 exec_lo, exec_lo, s18
.LBB245_210:                            ;   in Loop: Header=BB245_10 Depth=1
	s_delay_alu instid0(SALU_CYCLE_1) | instskip(SKIP_2) | instid1(VALU_DEP_1)
	s_or_b32 exec_lo, exec_lo, s3
	v_lshrrev_b16 v116, 8, v26
	s_mov_b32 s3, exec_lo
	v_cmpx_ne_u16_e32 0, v116
	s_cbranch_execz .LBB245_218
; %bb.211:                              ;   in Loop: Header=BB245_10 Depth=1
	v_dual_mov_b32 v79, s9 :: v_dual_mov_b32 v78, s8
	s_mov_b32 s23, exec_lo
	v_cmpx_ne_u16_e32 0x80, v116
	s_cbranch_execz .LBB245_217
; %bb.212:                              ;   in Loop: Header=BB245_10 Depth=1
	s_mov_b32 s18, s8
	v_dual_mov_b32 v79, s19 :: v_dual_and_b32 v14, 0xffff, v116
	v_mov_b32_e32 v78, s18
	s_mov_b32 s18, exec_lo
	s_delay_alu instid0(VALU_DEP_2) | instskip(NEXT) | instid1(VALU_DEP_1)
	v_and_b32_e32 v117, 0x7f, v14
	v_cmpx_ne_u32_e32 0x7f, v117
	s_cbranch_execz .LBB245_216
; %bb.213:                              ;   in Loop: Header=BB245_10 Depth=1
	v_and_b32_e32 v134, 7, v14
	v_lshrrev_b32_e32 v116, 3, v117
	s_mov_b32 s24, exec_lo
	v_cmpx_gt_u32_e32 8, v117
; %bb.214:                              ;   in Loop: Header=BB245_10 Depth=1
	s_delay_alu instid0(VALU_DEP_3) | instskip(NEXT) | instid1(VALU_DEP_1)
	v_clz_i32_u32_e32 v4, v134
	v_min_u32_e32 v4, 32, v4
	s_delay_alu instid0(VALU_DEP_1) | instskip(SKIP_1) | instid1(VALU_DEP_2)
	v_subrev_nc_u32_e32 v5, 28, v4
	v_sub_nc_u32_e32 v116, 29, v4
	v_lshlrev_b64 v[117:118], v5, v[134:135]
	s_delay_alu instid0(VALU_DEP_1)
	v_and_b32_e32 v134, 7, v117
; %bb.215:                              ;   in Loop: Header=BB245_10 Depth=1
	s_or_b32 exec_lo, exec_lo, s24
	v_lshlrev_b32_e32 v4, 16, v26
	s_delay_alu instid0(VALU_DEP_2) | instskip(SKIP_1) | instid1(VALU_DEP_3)
	v_dual_mov_b32 v78, v135 :: v_dual_lshlrev_b32 v5, 20, v134
	v_lshl_add_u32 v14, v116, 23, 0x3c000000
	v_and_b32_e32 v4, 0x80000000, v4
	s_delay_alu instid0(VALU_DEP_1)
	v_or3_b32 v79, v5, v4, v14
.LBB245_216:                            ;   in Loop: Header=BB245_10 Depth=1
	s_or_b32 exec_lo, exec_lo, s18
.LBB245_217:                            ;   in Loop: Header=BB245_10 Depth=1
	s_delay_alu instid0(SALU_CYCLE_1)
	s_or_b32 exec_lo, exec_lo, s23
.LBB245_218:                            ;   in Loop: Header=BB245_10 Depth=1
	s_delay_alu instid0(SALU_CYCLE_1)
	s_or_b32 exec_lo, exec_lo, s3
	flat_load_u16 v4, v[160:161] offset:772
	v_mov_b32_e32 v90, 0
	v_mov_b32_e32 v91, 0
	s_mov_b32 s3, exec_lo
	s_waitcnt vmcnt(0) lgkmcnt(0)
	v_and_b32_e32 v26, 0xffff, v4
	v_and_b32_e32 v5, 0xff, v4
	v_dual_mov_b32 v93, v91 :: v_dual_mov_b32 v92, v90
	s_delay_alu instid0(VALU_DEP_2)
	v_cmpx_ne_u16_e32 0, v5
	s_cbranch_execz .LBB245_226
; %bb.219:                              ;   in Loop: Header=BB245_10 Depth=1
	v_bfrev_b32_e32 v92, 1
	v_dual_mov_b32 v93, 0 :: v_dual_and_b32 v4, 0xff, v26
	s_mov_b32 s18, exec_lo
	s_delay_alu instid0(VALU_DEP_1)
	v_cmpx_ne_u16_e32 0x80, v4
	s_cbranch_execz .LBB245_225
; %bb.220:                              ;   in Loop: Header=BB245_10 Depth=1
	v_mov_b32_e32 v92, 0x7f800001
	v_dual_mov_b32 v93, 0 :: v_dual_and_b32 v14, 0x7f, v26
	s_mov_b32 s23, exec_lo
	s_delay_alu instid0(VALU_DEP_1)
	v_cmpx_ne_u32_e32 0x7f, v14
	s_cbranch_execz .LBB245_224
; %bb.221:                              ;   in Loop: Header=BB245_10 Depth=1
	v_and_b32_e32 v134, 7, v26
	v_lshrrev_b32_e32 v116, 3, v14
	s_mov_b32 s24, exec_lo
	v_cmpx_gt_u32_e32 8, v14
; %bb.222:                              ;   in Loop: Header=BB245_10 Depth=1
	s_delay_alu instid0(VALU_DEP_3) | instskip(NEXT) | instid1(VALU_DEP_1)
	v_clz_i32_u32_e32 v4, v134
	v_min_u32_e32 v4, 32, v4
	s_delay_alu instid0(VALU_DEP_1) | instskip(SKIP_1) | instid1(VALU_DEP_2)
	v_subrev_nc_u32_e32 v5, 28, v4
	v_sub_nc_u32_e32 v116, 29, v4
	v_lshlrev_b64 v[117:118], v5, v[134:135]
	s_delay_alu instid0(VALU_DEP_1)
	v_and_b32_e32 v134, 7, v117
; %bb.223:                              ;   in Loop: Header=BB245_10 Depth=1
	s_or_b32 exec_lo, exec_lo, s24
	v_lshlrev_b32_e32 v4, 24, v26
	s_delay_alu instid0(VALU_DEP_2) | instskip(SKIP_1) | instid1(VALU_DEP_3)
	v_lshlrev_b32_e32 v5, 20, v134
	v_lshl_add_u32 v14, v116, 23, 0x3c000000
	v_and_b32_e32 v4, 0x80000000, v4
	s_delay_alu instid0(VALU_DEP_1) | instskip(NEXT) | instid1(VALU_DEP_1)
	v_or3_b32 v134, v5, v4, v14
	v_dual_mov_b32 v92, v134 :: v_dual_mov_b32 v93, v135
.LBB245_224:                            ;   in Loop: Header=BB245_10 Depth=1
	s_or_b32 exec_lo, exec_lo, s23
.LBB245_225:                            ;   in Loop: Header=BB245_10 Depth=1
	s_delay_alu instid0(SALU_CYCLE_1)
	s_or_b32 exec_lo, exec_lo, s18
.LBB245_226:                            ;   in Loop: Header=BB245_10 Depth=1
	s_delay_alu instid0(SALU_CYCLE_1) | instskip(SKIP_2) | instid1(VALU_DEP_1)
	s_or_b32 exec_lo, exec_lo, s3
	v_lshrrev_b16 v116, 8, v26
	s_mov_b32 s3, exec_lo
	v_cmpx_ne_u16_e32 0, v116
	s_cbranch_execz .LBB245_234
; %bb.227:                              ;   in Loop: Header=BB245_10 Depth=1
	v_dual_mov_b32 v91, s9 :: v_dual_mov_b32 v90, s8
	s_mov_b32 s23, exec_lo
	v_cmpx_ne_u16_e32 0x80, v116
	s_cbranch_execz .LBB245_233
; %bb.228:                              ;   in Loop: Header=BB245_10 Depth=1
	s_mov_b32 s18, s8
	v_dual_mov_b32 v91, s19 :: v_dual_and_b32 v14, 0xffff, v116
	v_mov_b32_e32 v90, s18
	s_mov_b32 s18, exec_lo
	s_delay_alu instid0(VALU_DEP_2) | instskip(NEXT) | instid1(VALU_DEP_1)
	v_and_b32_e32 v117, 0x7f, v14
	v_cmpx_ne_u32_e32 0x7f, v117
	s_cbranch_execz .LBB245_232
; %bb.229:                              ;   in Loop: Header=BB245_10 Depth=1
	v_and_b32_e32 v134, 7, v14
	v_lshrrev_b32_e32 v116, 3, v117
	s_mov_b32 s24, exec_lo
	v_cmpx_gt_u32_e32 8, v117
; %bb.230:                              ;   in Loop: Header=BB245_10 Depth=1
	s_delay_alu instid0(VALU_DEP_3) | instskip(NEXT) | instid1(VALU_DEP_1)
	v_clz_i32_u32_e32 v4, v134
	v_min_u32_e32 v4, 32, v4
	s_delay_alu instid0(VALU_DEP_1) | instskip(SKIP_1) | instid1(VALU_DEP_2)
	v_subrev_nc_u32_e32 v5, 28, v4
	v_sub_nc_u32_e32 v116, 29, v4
	v_lshlrev_b64 v[117:118], v5, v[134:135]
	s_delay_alu instid0(VALU_DEP_1)
	v_and_b32_e32 v134, 7, v117
; %bb.231:                              ;   in Loop: Header=BB245_10 Depth=1
	s_or_b32 exec_lo, exec_lo, s24
	v_lshlrev_b32_e32 v4, 16, v26
	s_delay_alu instid0(VALU_DEP_2) | instskip(SKIP_1) | instid1(VALU_DEP_3)
	v_dual_mov_b32 v90, v135 :: v_dual_lshlrev_b32 v5, 20, v134
	v_lshl_add_u32 v14, v116, 23, 0x3c000000
	v_and_b32_e32 v4, 0x80000000, v4
	s_delay_alu instid0(VALU_DEP_1)
	v_or3_b32 v91, v5, v4, v14
.LBB245_232:                            ;   in Loop: Header=BB245_10 Depth=1
	s_or_b32 exec_lo, exec_lo, s18
.LBB245_233:                            ;   in Loop: Header=BB245_10 Depth=1
	s_delay_alu instid0(SALU_CYCLE_1)
	s_or_b32 exec_lo, exec_lo, s23
.LBB245_234:                            ;   in Loop: Header=BB245_10 Depth=1
	s_delay_alu instid0(SALU_CYCLE_1) | instskip(SKIP_1) | instid1(VALU_DEP_1)
	s_or_b32 exec_lo, exec_lo, s3
	v_add_co_u32 v116, s2, 0x300, v160
	v_add_co_ci_u32_e64 v117, s2, 0, v161, s2
	s_mov_b32 s3, exec_lo
	flat_load_u16 v4, v[116:117] offset:8
	v_mov_b32_e32 v94, 0
	s_waitcnt vmcnt(0) lgkmcnt(0)
	v_dual_mov_b32 v95, 0 :: v_dual_and_b32 v26, 0xffff, v4
	v_and_b32_e32 v5, 0xff, v4
	s_delay_alu instid0(VALU_DEP_2) | instskip(NEXT) | instid1(VALU_DEP_2)
	v_dual_mov_b32 v105, v95 :: v_dual_mov_b32 v104, v94
	v_cmpx_ne_u16_e32 0, v5
	s_cbranch_execz .LBB245_242
; %bb.235:                              ;   in Loop: Header=BB245_10 Depth=1
	v_bfrev_b32_e32 v104, 1
	v_dual_mov_b32 v105, 0 :: v_dual_and_b32 v4, 0xff, v26
	s_mov_b32 s18, exec_lo
	s_delay_alu instid0(VALU_DEP_1)
	v_cmpx_ne_u16_e32 0x80, v4
	s_cbranch_execz .LBB245_241
; %bb.236:                              ;   in Loop: Header=BB245_10 Depth=1
	v_mov_b32_e32 v104, 0x7f800001
	v_dual_mov_b32 v105, 0 :: v_dual_and_b32 v14, 0x7f, v26
	s_mov_b32 s23, exec_lo
	s_delay_alu instid0(VALU_DEP_1)
	v_cmpx_ne_u32_e32 0x7f, v14
	s_cbranch_execz .LBB245_240
; %bb.237:                              ;   in Loop: Header=BB245_10 Depth=1
	v_and_b32_e32 v134, 7, v26
	v_lshrrev_b32_e32 v118, 3, v14
	s_mov_b32 s24, exec_lo
	v_cmpx_gt_u32_e32 8, v14
; %bb.238:                              ;   in Loop: Header=BB245_10 Depth=1
	s_delay_alu instid0(VALU_DEP_3) | instskip(NEXT) | instid1(VALU_DEP_1)
	v_clz_i32_u32_e32 v4, v134
	v_min_u32_e32 v4, 32, v4
	s_delay_alu instid0(VALU_DEP_1) | instskip(SKIP_1) | instid1(VALU_DEP_2)
	v_subrev_nc_u32_e32 v5, 28, v4
	v_sub_nc_u32_e32 v118, 29, v4
	v_lshlrev_b64 v[104:105], v5, v[134:135]
	s_delay_alu instid0(VALU_DEP_1)
	v_and_b32_e32 v134, 7, v104
; %bb.239:                              ;   in Loop: Header=BB245_10 Depth=1
	s_or_b32 exec_lo, exec_lo, s24
	v_lshlrev_b32_e32 v4, 24, v26
	s_delay_alu instid0(VALU_DEP_2) | instskip(SKIP_1) | instid1(VALU_DEP_3)
	v_lshlrev_b32_e32 v5, 20, v134
	v_lshl_add_u32 v14, v118, 23, 0x3c000000
	v_and_b32_e32 v4, 0x80000000, v4
	s_delay_alu instid0(VALU_DEP_1) | instskip(NEXT) | instid1(VALU_DEP_1)
	v_or3_b32 v134, v5, v4, v14
	v_dual_mov_b32 v104, v134 :: v_dual_mov_b32 v105, v135
.LBB245_240:                            ;   in Loop: Header=BB245_10 Depth=1
	s_or_b32 exec_lo, exec_lo, s23
.LBB245_241:                            ;   in Loop: Header=BB245_10 Depth=1
	s_delay_alu instid0(SALU_CYCLE_1)
	s_or_b32 exec_lo, exec_lo, s18
.LBB245_242:                            ;   in Loop: Header=BB245_10 Depth=1
	s_delay_alu instid0(SALU_CYCLE_1) | instskip(SKIP_2) | instid1(VALU_DEP_1)
	s_or_b32 exec_lo, exec_lo, s3
	v_lshrrev_b16 v118, 8, v26
	s_mov_b32 s3, exec_lo
	v_cmpx_ne_u16_e32 0, v118
	s_cbranch_execz .LBB245_250
; %bb.243:                              ;   in Loop: Header=BB245_10 Depth=1
	v_dual_mov_b32 v95, s9 :: v_dual_mov_b32 v94, s8
	s_mov_b32 s23, exec_lo
	v_cmpx_ne_u16_e32 0x80, v118
	s_cbranch_execz .LBB245_249
; %bb.244:                              ;   in Loop: Header=BB245_10 Depth=1
	s_mov_b32 s18, s8
	v_dual_mov_b32 v95, s19 :: v_dual_and_b32 v14, 0xffff, v118
	v_mov_b32_e32 v94, s18
	s_mov_b32 s18, exec_lo
	s_delay_alu instid0(VALU_DEP_2) | instskip(NEXT) | instid1(VALU_DEP_1)
	v_and_b32_e32 v119, 0x7f, v14
	v_cmpx_ne_u32_e32 0x7f, v119
	s_cbranch_execz .LBB245_248
; %bb.245:                              ;   in Loop: Header=BB245_10 Depth=1
	v_and_b32_e32 v134, 7, v14
	v_lshrrev_b32_e32 v118, 3, v119
	s_mov_b32 s24, exec_lo
	v_cmpx_gt_u32_e32 8, v119
; %bb.246:                              ;   in Loop: Header=BB245_10 Depth=1
	s_delay_alu instid0(VALU_DEP_3) | instskip(NEXT) | instid1(VALU_DEP_1)
	v_clz_i32_u32_e32 v4, v134
	v_min_u32_e32 v4, 32, v4
	s_delay_alu instid0(VALU_DEP_1) | instskip(SKIP_1) | instid1(VALU_DEP_2)
	v_subrev_nc_u32_e32 v5, 28, v4
	v_sub_nc_u32_e32 v118, 29, v4
	v_lshlrev_b64 v[94:95], v5, v[134:135]
	s_delay_alu instid0(VALU_DEP_1)
	v_and_b32_e32 v134, 7, v94
; %bb.247:                              ;   in Loop: Header=BB245_10 Depth=1
	s_or_b32 exec_lo, exec_lo, s24
	v_lshlrev_b32_e32 v4, 16, v26
	s_delay_alu instid0(VALU_DEP_2) | instskip(SKIP_1) | instid1(VALU_DEP_3)
	v_dual_mov_b32 v94, v135 :: v_dual_lshlrev_b32 v5, 20, v134
	v_lshl_add_u32 v14, v118, 23, 0x3c000000
	v_and_b32_e32 v4, 0x80000000, v4
	s_delay_alu instid0(VALU_DEP_1)
	v_or3_b32 v95, v5, v4, v14
.LBB245_248:                            ;   in Loop: Header=BB245_10 Depth=1
	s_or_b32 exec_lo, exec_lo, s18
.LBB245_249:                            ;   in Loop: Header=BB245_10 Depth=1
	s_delay_alu instid0(SALU_CYCLE_1)
	s_or_b32 exec_lo, exec_lo, s23
.LBB245_250:                            ;   in Loop: Header=BB245_10 Depth=1
	s_delay_alu instid0(SALU_CYCLE_1)
	s_or_b32 exec_lo, exec_lo, s3
	flat_load_u16 v4, v[116:117] offset:12
	v_mov_b32_e32 v106, 0
	v_mov_b32_e32 v107, 0
	s_mov_b32 s3, exec_lo
	s_waitcnt vmcnt(0) lgkmcnt(0)
	v_and_b32_e32 v26, 0xffff, v4
	v_and_b32_e32 v5, 0xff, v4
	v_dual_mov_b32 v109, v107 :: v_dual_mov_b32 v108, v106
	s_delay_alu instid0(VALU_DEP_2)
	v_cmpx_ne_u16_e32 0, v5
	s_cbranch_execz .LBB245_258
; %bb.251:                              ;   in Loop: Header=BB245_10 Depth=1
	v_bfrev_b32_e32 v108, 1
	v_dual_mov_b32 v109, 0 :: v_dual_and_b32 v4, 0xff, v26
	s_mov_b32 s18, exec_lo
	s_delay_alu instid0(VALU_DEP_1)
	v_cmpx_ne_u16_e32 0x80, v4
	s_cbranch_execz .LBB245_257
; %bb.252:                              ;   in Loop: Header=BB245_10 Depth=1
	v_mov_b32_e32 v108, 0x7f800001
	v_dual_mov_b32 v109, 0 :: v_dual_and_b32 v14, 0x7f, v26
	s_mov_b32 s23, exec_lo
	s_delay_alu instid0(VALU_DEP_1)
	v_cmpx_ne_u32_e32 0x7f, v14
	s_cbranch_execz .LBB245_256
; %bb.253:                              ;   in Loop: Header=BB245_10 Depth=1
	v_and_b32_e32 v134, 7, v26
	v_lshrrev_b32_e32 v116, 3, v14
	s_mov_b32 s24, exec_lo
	v_cmpx_gt_u32_e32 8, v14
; %bb.254:                              ;   in Loop: Header=BB245_10 Depth=1
	s_delay_alu instid0(VALU_DEP_3) | instskip(NEXT) | instid1(VALU_DEP_1)
	v_clz_i32_u32_e32 v4, v134
	v_min_u32_e32 v4, 32, v4
	s_delay_alu instid0(VALU_DEP_1) | instskip(SKIP_1) | instid1(VALU_DEP_2)
	v_subrev_nc_u32_e32 v5, 28, v4
	v_sub_nc_u32_e32 v116, 29, v4
	v_lshlrev_b64 v[117:118], v5, v[134:135]
	s_delay_alu instid0(VALU_DEP_1)
	v_and_b32_e32 v134, 7, v117
; %bb.255:                              ;   in Loop: Header=BB245_10 Depth=1
	s_or_b32 exec_lo, exec_lo, s24
	v_lshlrev_b32_e32 v4, 24, v26
	s_delay_alu instid0(VALU_DEP_2) | instskip(SKIP_1) | instid1(VALU_DEP_3)
	v_lshlrev_b32_e32 v5, 20, v134
	v_lshl_add_u32 v14, v116, 23, 0x3c000000
	v_and_b32_e32 v4, 0x80000000, v4
	s_delay_alu instid0(VALU_DEP_1) | instskip(NEXT) | instid1(VALU_DEP_1)
	v_or3_b32 v134, v5, v4, v14
	v_dual_mov_b32 v108, v134 :: v_dual_mov_b32 v109, v135
.LBB245_256:                            ;   in Loop: Header=BB245_10 Depth=1
	s_or_b32 exec_lo, exec_lo, s23
.LBB245_257:                            ;   in Loop: Header=BB245_10 Depth=1
	s_delay_alu instid0(SALU_CYCLE_1)
	s_or_b32 exec_lo, exec_lo, s18
.LBB245_258:                            ;   in Loop: Header=BB245_10 Depth=1
	s_delay_alu instid0(SALU_CYCLE_1) | instskip(SKIP_2) | instid1(VALU_DEP_1)
	s_or_b32 exec_lo, exec_lo, s3
	v_lshrrev_b16 v116, 8, v26
	s_mov_b32 s3, exec_lo
	v_cmpx_ne_u16_e32 0, v116
	s_cbranch_execz .LBB245_266
; %bb.259:                              ;   in Loop: Header=BB245_10 Depth=1
	v_dual_mov_b32 v107, s9 :: v_dual_mov_b32 v106, s8
	s_mov_b32 s23, exec_lo
	v_cmpx_ne_u16_e32 0x80, v116
	s_cbranch_execz .LBB245_265
; %bb.260:                              ;   in Loop: Header=BB245_10 Depth=1
	s_mov_b32 s18, s8
	v_dual_mov_b32 v107, s19 :: v_dual_and_b32 v14, 0xffff, v116
	v_mov_b32_e32 v106, s18
	s_mov_b32 s18, exec_lo
	s_delay_alu instid0(VALU_DEP_2) | instskip(NEXT) | instid1(VALU_DEP_1)
	v_and_b32_e32 v117, 0x7f, v14
	v_cmpx_ne_u32_e32 0x7f, v117
	s_cbranch_execz .LBB245_264
; %bb.261:                              ;   in Loop: Header=BB245_10 Depth=1
	v_and_b32_e32 v134, 7, v14
	v_lshrrev_b32_e32 v116, 3, v117
	s_mov_b32 s24, exec_lo
	v_cmpx_gt_u32_e32 8, v117
; %bb.262:                              ;   in Loop: Header=BB245_10 Depth=1
	s_delay_alu instid0(VALU_DEP_3) | instskip(NEXT) | instid1(VALU_DEP_1)
	v_clz_i32_u32_e32 v4, v134
	v_min_u32_e32 v4, 32, v4
	s_delay_alu instid0(VALU_DEP_1) | instskip(SKIP_1) | instid1(VALU_DEP_2)
	v_subrev_nc_u32_e32 v5, 28, v4
	v_sub_nc_u32_e32 v116, 29, v4
	v_lshlrev_b64 v[117:118], v5, v[134:135]
	s_delay_alu instid0(VALU_DEP_1)
	v_and_b32_e32 v134, 7, v117
; %bb.263:                              ;   in Loop: Header=BB245_10 Depth=1
	s_or_b32 exec_lo, exec_lo, s24
	v_lshlrev_b32_e32 v4, 16, v26
	s_delay_alu instid0(VALU_DEP_2) | instskip(SKIP_1) | instid1(VALU_DEP_3)
	v_dual_mov_b32 v106, v135 :: v_dual_lshlrev_b32 v5, 20, v134
	v_lshl_add_u32 v14, v116, 23, 0x3c000000
	v_and_b32_e32 v4, 0x80000000, v4
	s_delay_alu instid0(VALU_DEP_1)
	v_or3_b32 v107, v5, v4, v14
.LBB245_264:                            ;   in Loop: Header=BB245_10 Depth=1
	s_or_b32 exec_lo, exec_lo, s18
.LBB245_265:                            ;   in Loop: Header=BB245_10 Depth=1
	s_delay_alu instid0(SALU_CYCLE_1)
	s_or_b32 exec_lo, exec_lo, s23
.LBB245_266:                            ;   in Loop: Header=BB245_10 Depth=1
	s_delay_alu instid0(SALU_CYCLE_1)
	s_or_b32 exec_lo, exec_lo, s3
	flat_load_u16 v4, v[160:161] offset:1024
	v_mov_b32_e32 v110, 0
	v_mov_b32_e32 v111, 0
	s_mov_b32 s3, exec_lo
	s_waitcnt vmcnt(0) lgkmcnt(0)
	v_and_b32_e32 v26, 0xffff, v4
	v_and_b32_e32 v5, 0xff, v4
	v_dual_mov_b32 v121, v111 :: v_dual_mov_b32 v120, v110
	s_delay_alu instid0(VALU_DEP_2)
	v_cmpx_ne_u16_e32 0, v5
	s_cbranch_execz .LBB245_274
; %bb.267:                              ;   in Loop: Header=BB245_10 Depth=1
	v_bfrev_b32_e32 v120, 1
	v_dual_mov_b32 v121, 0 :: v_dual_and_b32 v4, 0xff, v26
	s_mov_b32 s18, exec_lo
	s_delay_alu instid0(VALU_DEP_1)
	v_cmpx_ne_u16_e32 0x80, v4
	s_cbranch_execz .LBB245_273
; %bb.268:                              ;   in Loop: Header=BB245_10 Depth=1
	v_mov_b32_e32 v120, 0x7f800001
	v_dual_mov_b32 v121, 0 :: v_dual_and_b32 v14, 0x7f, v26
	s_mov_b32 s23, exec_lo
	s_delay_alu instid0(VALU_DEP_1)
	v_cmpx_ne_u32_e32 0x7f, v14
	s_cbranch_execz .LBB245_272
; %bb.269:                              ;   in Loop: Header=BB245_10 Depth=1
	v_and_b32_e32 v134, 7, v26
	v_lshrrev_b32_e32 v116, 3, v14
	s_mov_b32 s24, exec_lo
	v_cmpx_gt_u32_e32 8, v14
; %bb.270:                              ;   in Loop: Header=BB245_10 Depth=1
	s_delay_alu instid0(VALU_DEP_3) | instskip(NEXT) | instid1(VALU_DEP_1)
	v_clz_i32_u32_e32 v4, v134
	v_min_u32_e32 v4, 32, v4
	s_delay_alu instid0(VALU_DEP_1) | instskip(SKIP_1) | instid1(VALU_DEP_2)
	v_subrev_nc_u32_e32 v5, 28, v4
	v_sub_nc_u32_e32 v116, 29, v4
	v_lshlrev_b64 v[117:118], v5, v[134:135]
	s_delay_alu instid0(VALU_DEP_1)
	v_and_b32_e32 v134, 7, v117
; %bb.271:                              ;   in Loop: Header=BB245_10 Depth=1
	s_or_b32 exec_lo, exec_lo, s24
	v_lshlrev_b32_e32 v4, 24, v26
	s_delay_alu instid0(VALU_DEP_2) | instskip(SKIP_1) | instid1(VALU_DEP_3)
	v_lshlrev_b32_e32 v5, 20, v134
	v_lshl_add_u32 v14, v116, 23, 0x3c000000
	v_and_b32_e32 v4, 0x80000000, v4
	s_delay_alu instid0(VALU_DEP_1) | instskip(NEXT) | instid1(VALU_DEP_1)
	v_or3_b32 v134, v5, v4, v14
	v_dual_mov_b32 v120, v134 :: v_dual_mov_b32 v121, v135
.LBB245_272:                            ;   in Loop: Header=BB245_10 Depth=1
	s_or_b32 exec_lo, exec_lo, s23
.LBB245_273:                            ;   in Loop: Header=BB245_10 Depth=1
	s_delay_alu instid0(SALU_CYCLE_1)
	s_or_b32 exec_lo, exec_lo, s18
.LBB245_274:                            ;   in Loop: Header=BB245_10 Depth=1
	s_delay_alu instid0(SALU_CYCLE_1) | instskip(SKIP_2) | instid1(VALU_DEP_1)
	s_or_b32 exec_lo, exec_lo, s3
	v_lshrrev_b16 v116, 8, v26
	s_mov_b32 s3, exec_lo
	v_cmpx_ne_u16_e32 0, v116
	s_cbranch_execz .LBB245_282
; %bb.275:                              ;   in Loop: Header=BB245_10 Depth=1
	v_dual_mov_b32 v111, s9 :: v_dual_mov_b32 v110, s8
	s_mov_b32 s23, exec_lo
	v_cmpx_ne_u16_e32 0x80, v116
	s_cbranch_execz .LBB245_281
; %bb.276:                              ;   in Loop: Header=BB245_10 Depth=1
	s_mov_b32 s18, s8
	v_dual_mov_b32 v111, s19 :: v_dual_and_b32 v14, 0xffff, v116
	v_mov_b32_e32 v110, s18
	s_mov_b32 s18, exec_lo
	s_delay_alu instid0(VALU_DEP_2) | instskip(NEXT) | instid1(VALU_DEP_1)
	v_and_b32_e32 v117, 0x7f, v14
	v_cmpx_ne_u32_e32 0x7f, v117
	s_cbranch_execz .LBB245_280
; %bb.277:                              ;   in Loop: Header=BB245_10 Depth=1
	v_and_b32_e32 v134, 7, v14
	v_lshrrev_b32_e32 v116, 3, v117
	s_mov_b32 s24, exec_lo
	v_cmpx_gt_u32_e32 8, v117
; %bb.278:                              ;   in Loop: Header=BB245_10 Depth=1
	s_delay_alu instid0(VALU_DEP_3) | instskip(NEXT) | instid1(VALU_DEP_1)
	v_clz_i32_u32_e32 v4, v134
	v_min_u32_e32 v4, 32, v4
	s_delay_alu instid0(VALU_DEP_1) | instskip(SKIP_1) | instid1(VALU_DEP_2)
	v_subrev_nc_u32_e32 v5, 28, v4
	v_sub_nc_u32_e32 v116, 29, v4
	v_lshlrev_b64 v[117:118], v5, v[134:135]
	s_delay_alu instid0(VALU_DEP_1)
	v_and_b32_e32 v134, 7, v117
; %bb.279:                              ;   in Loop: Header=BB245_10 Depth=1
	s_or_b32 exec_lo, exec_lo, s24
	v_lshlrev_b32_e32 v4, 16, v26
	s_delay_alu instid0(VALU_DEP_2) | instskip(SKIP_1) | instid1(VALU_DEP_3)
	v_dual_mov_b32 v110, v135 :: v_dual_lshlrev_b32 v5, 20, v134
	v_lshl_add_u32 v14, v116, 23, 0x3c000000
	v_and_b32_e32 v4, 0x80000000, v4
	s_delay_alu instid0(VALU_DEP_1)
	v_or3_b32 v111, v5, v4, v14
.LBB245_280:                            ;   in Loop: Header=BB245_10 Depth=1
	s_or_b32 exec_lo, exec_lo, s18
.LBB245_281:                            ;   in Loop: Header=BB245_10 Depth=1
	s_delay_alu instid0(SALU_CYCLE_1)
	s_or_b32 exec_lo, exec_lo, s23
.LBB245_282:                            ;   in Loop: Header=BB245_10 Depth=1
	s_delay_alu instid0(SALU_CYCLE_1)
	s_or_b32 exec_lo, exec_lo, s3
	flat_load_u16 v4, v[160:161] offset:1028
	v_mov_b32_e32 v122, 0
	v_mov_b32_e32 v123, 0
	s_mov_b32 s3, exec_lo
	s_waitcnt vmcnt(0) lgkmcnt(0)
	v_and_b32_e32 v26, 0xffff, v4
	v_and_b32_e32 v5, 0xff, v4
	v_dual_mov_b32 v125, v123 :: v_dual_mov_b32 v124, v122
	s_delay_alu instid0(VALU_DEP_2)
	v_cmpx_ne_u16_e32 0, v5
	s_cbranch_execz .LBB245_290
; %bb.283:                              ;   in Loop: Header=BB245_10 Depth=1
	v_bfrev_b32_e32 v124, 1
	v_dual_mov_b32 v125, 0 :: v_dual_and_b32 v4, 0xff, v26
	s_mov_b32 s18, exec_lo
	s_delay_alu instid0(VALU_DEP_1)
	v_cmpx_ne_u16_e32 0x80, v4
	s_cbranch_execz .LBB245_289
; %bb.284:                              ;   in Loop: Header=BB245_10 Depth=1
	v_mov_b32_e32 v124, 0x7f800001
	v_dual_mov_b32 v125, 0 :: v_dual_and_b32 v14, 0x7f, v26
	s_mov_b32 s23, exec_lo
	s_delay_alu instid0(VALU_DEP_1)
	v_cmpx_ne_u32_e32 0x7f, v14
	s_cbranch_execz .LBB245_288
; %bb.285:                              ;   in Loop: Header=BB245_10 Depth=1
	v_and_b32_e32 v134, 7, v26
	v_lshrrev_b32_e32 v116, 3, v14
	s_mov_b32 s24, exec_lo
	v_cmpx_gt_u32_e32 8, v14
; %bb.286:                              ;   in Loop: Header=BB245_10 Depth=1
	s_delay_alu instid0(VALU_DEP_3) | instskip(NEXT) | instid1(VALU_DEP_1)
	v_clz_i32_u32_e32 v4, v134
	v_min_u32_e32 v4, 32, v4
	s_delay_alu instid0(VALU_DEP_1) | instskip(SKIP_1) | instid1(VALU_DEP_2)
	v_subrev_nc_u32_e32 v5, 28, v4
	v_sub_nc_u32_e32 v116, 29, v4
	v_lshlrev_b64 v[117:118], v5, v[134:135]
	s_delay_alu instid0(VALU_DEP_1)
	v_and_b32_e32 v134, 7, v117
; %bb.287:                              ;   in Loop: Header=BB245_10 Depth=1
	s_or_b32 exec_lo, exec_lo, s24
	v_lshlrev_b32_e32 v4, 24, v26
	s_delay_alu instid0(VALU_DEP_2) | instskip(SKIP_1) | instid1(VALU_DEP_3)
	v_lshlrev_b32_e32 v5, 20, v134
	v_lshl_add_u32 v14, v116, 23, 0x3c000000
	v_and_b32_e32 v4, 0x80000000, v4
	s_delay_alu instid0(VALU_DEP_1) | instskip(NEXT) | instid1(VALU_DEP_1)
	v_or3_b32 v134, v5, v4, v14
	v_dual_mov_b32 v124, v134 :: v_dual_mov_b32 v125, v135
.LBB245_288:                            ;   in Loop: Header=BB245_10 Depth=1
	s_or_b32 exec_lo, exec_lo, s23
.LBB245_289:                            ;   in Loop: Header=BB245_10 Depth=1
	s_delay_alu instid0(SALU_CYCLE_1)
	s_or_b32 exec_lo, exec_lo, s18
.LBB245_290:                            ;   in Loop: Header=BB245_10 Depth=1
	s_delay_alu instid0(SALU_CYCLE_1) | instskip(SKIP_2) | instid1(VALU_DEP_1)
	s_or_b32 exec_lo, exec_lo, s3
	v_lshrrev_b16 v116, 8, v26
	s_mov_b32 s3, exec_lo
	v_cmpx_ne_u16_e32 0, v116
	s_cbranch_execz .LBB245_298
; %bb.291:                              ;   in Loop: Header=BB245_10 Depth=1
	v_dual_mov_b32 v123, s9 :: v_dual_mov_b32 v122, s8
	s_mov_b32 s23, exec_lo
	v_cmpx_ne_u16_e32 0x80, v116
	s_cbranch_execz .LBB245_297
; %bb.292:                              ;   in Loop: Header=BB245_10 Depth=1
	s_mov_b32 s18, s8
	v_dual_mov_b32 v123, s19 :: v_dual_and_b32 v14, 0xffff, v116
	v_mov_b32_e32 v122, s18
	s_mov_b32 s18, exec_lo
	s_delay_alu instid0(VALU_DEP_2) | instskip(NEXT) | instid1(VALU_DEP_1)
	v_and_b32_e32 v117, 0x7f, v14
	v_cmpx_ne_u32_e32 0x7f, v117
	s_cbranch_execz .LBB245_296
; %bb.293:                              ;   in Loop: Header=BB245_10 Depth=1
	v_and_b32_e32 v134, 7, v14
	v_lshrrev_b32_e32 v116, 3, v117
	s_mov_b32 s24, exec_lo
	v_cmpx_gt_u32_e32 8, v117
; %bb.294:                              ;   in Loop: Header=BB245_10 Depth=1
	s_delay_alu instid0(VALU_DEP_3) | instskip(NEXT) | instid1(VALU_DEP_1)
	v_clz_i32_u32_e32 v4, v134
	v_min_u32_e32 v4, 32, v4
	s_delay_alu instid0(VALU_DEP_1) | instskip(SKIP_1) | instid1(VALU_DEP_2)
	v_subrev_nc_u32_e32 v5, 28, v4
	v_sub_nc_u32_e32 v116, 29, v4
	v_lshlrev_b64 v[117:118], v5, v[134:135]
	s_delay_alu instid0(VALU_DEP_1)
	v_and_b32_e32 v134, 7, v117
; %bb.295:                              ;   in Loop: Header=BB245_10 Depth=1
	s_or_b32 exec_lo, exec_lo, s24
	v_lshlrev_b32_e32 v4, 16, v26
	s_delay_alu instid0(VALU_DEP_2) | instskip(SKIP_1) | instid1(VALU_DEP_3)
	v_dual_mov_b32 v122, v135 :: v_dual_lshlrev_b32 v5, 20, v134
	v_lshl_add_u32 v14, v116, 23, 0x3c000000
	v_and_b32_e32 v4, 0x80000000, v4
	s_delay_alu instid0(VALU_DEP_1)
	v_or3_b32 v123, v5, v4, v14
.LBB245_296:                            ;   in Loop: Header=BB245_10 Depth=1
	s_or_b32 exec_lo, exec_lo, s18
.LBB245_297:                            ;   in Loop: Header=BB245_10 Depth=1
	s_delay_alu instid0(SALU_CYCLE_1)
	s_or_b32 exec_lo, exec_lo, s23
.LBB245_298:                            ;   in Loop: Header=BB245_10 Depth=1
	s_delay_alu instid0(SALU_CYCLE_1) | instskip(SKIP_1) | instid1(VALU_DEP_1)
	s_or_b32 exec_lo, exec_lo, s3
	v_add_co_u32 v116, s2, 0x400, v160
	v_add_co_ci_u32_e64 v117, s2, 0, v161, s2
	s_mov_b32 s3, exec_lo
	flat_load_u16 v4, v[116:117] offset:8
	v_mov_b32_e32 v126, 0
	s_waitcnt vmcnt(0) lgkmcnt(0)
	v_dual_mov_b32 v127, 0 :: v_dual_and_b32 v26, 0xffff, v4
	v_and_b32_e32 v5, 0xff, v4
	s_delay_alu instid0(VALU_DEP_2) | instskip(NEXT) | instid1(VALU_DEP_2)
	v_dual_mov_b32 v137, v127 :: v_dual_mov_b32 v136, v126
	v_cmpx_ne_u16_e32 0, v5
	s_cbranch_execz .LBB245_306
; %bb.299:                              ;   in Loop: Header=BB245_10 Depth=1
	v_bfrev_b32_e32 v136, 1
	v_dual_mov_b32 v137, 0 :: v_dual_and_b32 v4, 0xff, v26
	s_mov_b32 s18, exec_lo
	s_delay_alu instid0(VALU_DEP_1)
	v_cmpx_ne_u16_e32 0x80, v4
	s_cbranch_execz .LBB245_305
; %bb.300:                              ;   in Loop: Header=BB245_10 Depth=1
	v_mov_b32_e32 v136, 0x7f800001
	v_dual_mov_b32 v137, 0 :: v_dual_and_b32 v14, 0x7f, v26
	s_mov_b32 s23, exec_lo
	s_delay_alu instid0(VALU_DEP_1)
	v_cmpx_ne_u32_e32 0x7f, v14
	s_cbranch_execz .LBB245_304
; %bb.301:                              ;   in Loop: Header=BB245_10 Depth=1
	v_and_b32_e32 v134, 7, v26
	v_lshrrev_b32_e32 v118, 3, v14
	s_mov_b32 s24, exec_lo
	v_cmpx_gt_u32_e32 8, v14
; %bb.302:                              ;   in Loop: Header=BB245_10 Depth=1
	s_delay_alu instid0(VALU_DEP_3) | instskip(NEXT) | instid1(VALU_DEP_1)
	v_clz_i32_u32_e32 v4, v134
	v_min_u32_e32 v4, 32, v4
	s_delay_alu instid0(VALU_DEP_1) | instskip(SKIP_1) | instid1(VALU_DEP_2)
	v_subrev_nc_u32_e32 v5, 28, v4
	v_sub_nc_u32_e32 v118, 29, v4
	v_lshlrev_b64 v[136:137], v5, v[134:135]
	s_delay_alu instid0(VALU_DEP_1)
	v_and_b32_e32 v134, 7, v136
; %bb.303:                              ;   in Loop: Header=BB245_10 Depth=1
	s_or_b32 exec_lo, exec_lo, s24
	v_lshlrev_b32_e32 v4, 24, v26
	s_delay_alu instid0(VALU_DEP_2) | instskip(SKIP_1) | instid1(VALU_DEP_3)
	v_lshlrev_b32_e32 v5, 20, v134
	v_lshl_add_u32 v14, v118, 23, 0x3c000000
	v_and_b32_e32 v4, 0x80000000, v4
	s_delay_alu instid0(VALU_DEP_1) | instskip(NEXT) | instid1(VALU_DEP_1)
	v_or3_b32 v134, v5, v4, v14
	v_dual_mov_b32 v137, v135 :: v_dual_mov_b32 v136, v134
.LBB245_304:                            ;   in Loop: Header=BB245_10 Depth=1
	s_or_b32 exec_lo, exec_lo, s23
.LBB245_305:                            ;   in Loop: Header=BB245_10 Depth=1
	s_delay_alu instid0(SALU_CYCLE_1)
	s_or_b32 exec_lo, exec_lo, s18
.LBB245_306:                            ;   in Loop: Header=BB245_10 Depth=1
	s_delay_alu instid0(SALU_CYCLE_1) | instskip(SKIP_2) | instid1(VALU_DEP_1)
	s_or_b32 exec_lo, exec_lo, s3
	v_lshrrev_b16 v118, 8, v26
	s_mov_b32 s3, exec_lo
	v_cmpx_ne_u16_e32 0, v118
	s_cbranch_execz .LBB245_314
; %bb.307:                              ;   in Loop: Header=BB245_10 Depth=1
	v_dual_mov_b32 v127, s9 :: v_dual_mov_b32 v126, s8
	s_mov_b32 s23, exec_lo
	v_cmpx_ne_u16_e32 0x80, v118
	s_cbranch_execz .LBB245_313
; %bb.308:                              ;   in Loop: Header=BB245_10 Depth=1
	s_mov_b32 s18, s8
	v_dual_mov_b32 v127, s19 :: v_dual_and_b32 v14, 0xffff, v118
	v_mov_b32_e32 v126, s18
	s_mov_b32 s18, exec_lo
	s_delay_alu instid0(VALU_DEP_2) | instskip(NEXT) | instid1(VALU_DEP_1)
	v_and_b32_e32 v119, 0x7f, v14
	v_cmpx_ne_u32_e32 0x7f, v119
	s_cbranch_execz .LBB245_312
; %bb.309:                              ;   in Loop: Header=BB245_10 Depth=1
	v_and_b32_e32 v134, 7, v14
	v_lshrrev_b32_e32 v118, 3, v119
	s_mov_b32 s24, exec_lo
	v_cmpx_gt_u32_e32 8, v119
; %bb.310:                              ;   in Loop: Header=BB245_10 Depth=1
	s_delay_alu instid0(VALU_DEP_3) | instskip(NEXT) | instid1(VALU_DEP_1)
	v_clz_i32_u32_e32 v4, v134
	v_min_u32_e32 v4, 32, v4
	s_delay_alu instid0(VALU_DEP_1) | instskip(SKIP_1) | instid1(VALU_DEP_2)
	v_subrev_nc_u32_e32 v5, 28, v4
	v_sub_nc_u32_e32 v118, 29, v4
	v_lshlrev_b64 v[126:127], v5, v[134:135]
	s_delay_alu instid0(VALU_DEP_1)
	v_and_b32_e32 v134, 7, v126
; %bb.311:                              ;   in Loop: Header=BB245_10 Depth=1
	s_or_b32 exec_lo, exec_lo, s24
	v_lshlrev_b32_e32 v4, 16, v26
	s_delay_alu instid0(VALU_DEP_2) | instskip(SKIP_1) | instid1(VALU_DEP_3)
	v_dual_mov_b32 v126, v135 :: v_dual_lshlrev_b32 v5, 20, v134
	v_lshl_add_u32 v14, v118, 23, 0x3c000000
	v_and_b32_e32 v4, 0x80000000, v4
	s_delay_alu instid0(VALU_DEP_1)
	v_or3_b32 v127, v5, v4, v14
.LBB245_312:                            ;   in Loop: Header=BB245_10 Depth=1
	s_or_b32 exec_lo, exec_lo, s18
.LBB245_313:                            ;   in Loop: Header=BB245_10 Depth=1
	s_delay_alu instid0(SALU_CYCLE_1)
	s_or_b32 exec_lo, exec_lo, s23
.LBB245_314:                            ;   in Loop: Header=BB245_10 Depth=1
	s_delay_alu instid0(SALU_CYCLE_1)
	s_or_b32 exec_lo, exec_lo, s3
	flat_load_u16 v4, v[116:117] offset:12
	v_mov_b32_e32 v138, 0
	v_mov_b32_e32 v139, 0
	s_mov_b32 s3, exec_lo
	s_waitcnt vmcnt(0) lgkmcnt(0)
	v_and_b32_e32 v26, 0xffff, v4
	v_and_b32_e32 v5, 0xff, v4
	v_dual_mov_b32 v141, v139 :: v_dual_mov_b32 v140, v138
	s_delay_alu instid0(VALU_DEP_2)
	v_cmpx_ne_u16_e32 0, v5
	s_cbranch_execz .LBB245_322
; %bb.315:                              ;   in Loop: Header=BB245_10 Depth=1
	v_bfrev_b32_e32 v140, 1
	v_dual_mov_b32 v141, 0 :: v_dual_and_b32 v4, 0xff, v26
	s_mov_b32 s18, exec_lo
	s_delay_alu instid0(VALU_DEP_1)
	v_cmpx_ne_u16_e32 0x80, v4
	s_cbranch_execz .LBB245_321
; %bb.316:                              ;   in Loop: Header=BB245_10 Depth=1
	v_mov_b32_e32 v140, 0x7f800001
	v_dual_mov_b32 v141, 0 :: v_dual_and_b32 v14, 0x7f, v26
	s_mov_b32 s23, exec_lo
	s_delay_alu instid0(VALU_DEP_1)
	v_cmpx_ne_u32_e32 0x7f, v14
	s_cbranch_execz .LBB245_320
; %bb.317:                              ;   in Loop: Header=BB245_10 Depth=1
	v_and_b32_e32 v134, 7, v26
	v_lshrrev_b32_e32 v116, 3, v14
	s_mov_b32 s24, exec_lo
	v_cmpx_gt_u32_e32 8, v14
; %bb.318:                              ;   in Loop: Header=BB245_10 Depth=1
	s_delay_alu instid0(VALU_DEP_3) | instskip(NEXT) | instid1(VALU_DEP_1)
	v_clz_i32_u32_e32 v4, v134
	v_min_u32_e32 v4, 32, v4
	s_delay_alu instid0(VALU_DEP_1) | instskip(SKIP_1) | instid1(VALU_DEP_2)
	v_subrev_nc_u32_e32 v5, 28, v4
	v_sub_nc_u32_e32 v116, 29, v4
	v_lshlrev_b64 v[117:118], v5, v[134:135]
	s_delay_alu instid0(VALU_DEP_1)
	v_and_b32_e32 v134, 7, v117
; %bb.319:                              ;   in Loop: Header=BB245_10 Depth=1
	s_or_b32 exec_lo, exec_lo, s24
	v_lshlrev_b32_e32 v4, 24, v26
	s_delay_alu instid0(VALU_DEP_2) | instskip(SKIP_1) | instid1(VALU_DEP_3)
	v_lshlrev_b32_e32 v5, 20, v134
	v_lshl_add_u32 v14, v116, 23, 0x3c000000
	v_and_b32_e32 v4, 0x80000000, v4
	s_delay_alu instid0(VALU_DEP_1) | instskip(NEXT) | instid1(VALU_DEP_1)
	v_or3_b32 v134, v5, v4, v14
	v_dual_mov_b32 v141, v135 :: v_dual_mov_b32 v140, v134
.LBB245_320:                            ;   in Loop: Header=BB245_10 Depth=1
	s_or_b32 exec_lo, exec_lo, s23
.LBB245_321:                            ;   in Loop: Header=BB245_10 Depth=1
	s_delay_alu instid0(SALU_CYCLE_1)
	s_or_b32 exec_lo, exec_lo, s18
.LBB245_322:                            ;   in Loop: Header=BB245_10 Depth=1
	s_delay_alu instid0(SALU_CYCLE_1) | instskip(SKIP_2) | instid1(VALU_DEP_1)
	s_or_b32 exec_lo, exec_lo, s3
	v_lshrrev_b16 v116, 8, v26
	s_mov_b32 s3, exec_lo
	v_cmpx_ne_u16_e32 0, v116
	s_cbranch_execz .LBB245_330
; %bb.323:                              ;   in Loop: Header=BB245_10 Depth=1
	v_dual_mov_b32 v139, s9 :: v_dual_mov_b32 v138, s8
	s_mov_b32 s23, exec_lo
	v_cmpx_ne_u16_e32 0x80, v116
	s_cbranch_execz .LBB245_329
; %bb.324:                              ;   in Loop: Header=BB245_10 Depth=1
	s_mov_b32 s18, s8
	v_dual_mov_b32 v139, s19 :: v_dual_and_b32 v14, 0xffff, v116
	v_mov_b32_e32 v138, s18
	s_mov_b32 s18, exec_lo
	s_delay_alu instid0(VALU_DEP_2) | instskip(NEXT) | instid1(VALU_DEP_1)
	v_and_b32_e32 v117, 0x7f, v14
	v_cmpx_ne_u32_e32 0x7f, v117
	s_cbranch_execz .LBB245_328
; %bb.325:                              ;   in Loop: Header=BB245_10 Depth=1
	v_and_b32_e32 v134, 7, v14
	v_lshrrev_b32_e32 v116, 3, v117
	s_mov_b32 s24, exec_lo
	v_cmpx_gt_u32_e32 8, v117
; %bb.326:                              ;   in Loop: Header=BB245_10 Depth=1
	s_delay_alu instid0(VALU_DEP_3) | instskip(NEXT) | instid1(VALU_DEP_1)
	v_clz_i32_u32_e32 v4, v134
	v_min_u32_e32 v4, 32, v4
	s_delay_alu instid0(VALU_DEP_1) | instskip(SKIP_1) | instid1(VALU_DEP_2)
	v_subrev_nc_u32_e32 v5, 28, v4
	v_sub_nc_u32_e32 v116, 29, v4
	v_lshlrev_b64 v[117:118], v5, v[134:135]
	s_delay_alu instid0(VALU_DEP_1)
	v_and_b32_e32 v134, 7, v117
; %bb.327:                              ;   in Loop: Header=BB245_10 Depth=1
	s_or_b32 exec_lo, exec_lo, s24
	v_lshlrev_b32_e32 v4, 16, v26
	s_delay_alu instid0(VALU_DEP_2) | instskip(SKIP_1) | instid1(VALU_DEP_3)
	v_dual_mov_b32 v138, v135 :: v_dual_lshlrev_b32 v5, 20, v134
	v_lshl_add_u32 v14, v116, 23, 0x3c000000
	v_and_b32_e32 v4, 0x80000000, v4
	s_delay_alu instid0(VALU_DEP_1)
	v_or3_b32 v139, v5, v4, v14
.LBB245_328:                            ;   in Loop: Header=BB245_10 Depth=1
	s_or_b32 exec_lo, exec_lo, s18
.LBB245_329:                            ;   in Loop: Header=BB245_10 Depth=1
	s_delay_alu instid0(SALU_CYCLE_1)
	s_or_b32 exec_lo, exec_lo, s23
.LBB245_330:                            ;   in Loop: Header=BB245_10 Depth=1
	s_delay_alu instid0(SALU_CYCLE_1)
	s_or_b32 exec_lo, exec_lo, s3
	flat_load_u16 v4, v[160:161] offset:1280
	v_mov_b32_e32 v142, 0
	v_mov_b32_e32 v143, 0
	s_mov_b32 s3, exec_lo
	s_waitcnt vmcnt(0) lgkmcnt(0)
	v_and_b32_e32 v26, 0xffff, v4
	v_and_b32_e32 v5, 0xff, v4
	v_dual_mov_b32 v153, v143 :: v_dual_mov_b32 v152, v142
	s_delay_alu instid0(VALU_DEP_2)
	v_cmpx_ne_u16_e32 0, v5
	s_cbranch_execz .LBB245_338
; %bb.331:                              ;   in Loop: Header=BB245_10 Depth=1
	v_bfrev_b32_e32 v152, 1
	v_dual_mov_b32 v153, 0 :: v_dual_and_b32 v4, 0xff, v26
	s_mov_b32 s18, exec_lo
	s_delay_alu instid0(VALU_DEP_1)
	v_cmpx_ne_u16_e32 0x80, v4
	s_cbranch_execz .LBB245_337
; %bb.332:                              ;   in Loop: Header=BB245_10 Depth=1
	v_mov_b32_e32 v152, 0x7f800001
	v_dual_mov_b32 v153, 0 :: v_dual_and_b32 v14, 0x7f, v26
	s_mov_b32 s23, exec_lo
	s_delay_alu instid0(VALU_DEP_1)
	v_cmpx_ne_u32_e32 0x7f, v14
	s_cbranch_execz .LBB245_336
; %bb.333:                              ;   in Loop: Header=BB245_10 Depth=1
	v_and_b32_e32 v134, 7, v26
	v_lshrrev_b32_e32 v116, 3, v14
	s_mov_b32 s24, exec_lo
	v_cmpx_gt_u32_e32 8, v14
; %bb.334:                              ;   in Loop: Header=BB245_10 Depth=1
	s_delay_alu instid0(VALU_DEP_3) | instskip(NEXT) | instid1(VALU_DEP_1)
	v_clz_i32_u32_e32 v4, v134
	v_min_u32_e32 v4, 32, v4
	s_delay_alu instid0(VALU_DEP_1) | instskip(SKIP_1) | instid1(VALU_DEP_2)
	v_subrev_nc_u32_e32 v5, 28, v4
	v_sub_nc_u32_e32 v116, 29, v4
	v_lshlrev_b64 v[117:118], v5, v[134:135]
	s_delay_alu instid0(VALU_DEP_1)
	v_and_b32_e32 v134, 7, v117
; %bb.335:                              ;   in Loop: Header=BB245_10 Depth=1
	s_or_b32 exec_lo, exec_lo, s24
	v_lshlrev_b32_e32 v4, 24, v26
	s_delay_alu instid0(VALU_DEP_2) | instskip(SKIP_1) | instid1(VALU_DEP_3)
	v_lshlrev_b32_e32 v5, 20, v134
	v_lshl_add_u32 v14, v116, 23, 0x3c000000
	v_and_b32_e32 v4, 0x80000000, v4
	s_delay_alu instid0(VALU_DEP_1) | instskip(NEXT) | instid1(VALU_DEP_1)
	v_or3_b32 v134, v5, v4, v14
	v_dual_mov_b32 v153, v135 :: v_dual_mov_b32 v152, v134
.LBB245_336:                            ;   in Loop: Header=BB245_10 Depth=1
	s_or_b32 exec_lo, exec_lo, s23
.LBB245_337:                            ;   in Loop: Header=BB245_10 Depth=1
	s_delay_alu instid0(SALU_CYCLE_1)
	s_or_b32 exec_lo, exec_lo, s18
.LBB245_338:                            ;   in Loop: Header=BB245_10 Depth=1
	s_delay_alu instid0(SALU_CYCLE_1) | instskip(SKIP_2) | instid1(VALU_DEP_1)
	s_or_b32 exec_lo, exec_lo, s3
	v_lshrrev_b16 v116, 8, v26
	s_mov_b32 s3, exec_lo
	v_cmpx_ne_u16_e32 0, v116
	s_cbranch_execz .LBB245_346
; %bb.339:                              ;   in Loop: Header=BB245_10 Depth=1
	v_dual_mov_b32 v143, s9 :: v_dual_mov_b32 v142, s8
	s_mov_b32 s23, exec_lo
	v_cmpx_ne_u16_e32 0x80, v116
	s_cbranch_execz .LBB245_345
; %bb.340:                              ;   in Loop: Header=BB245_10 Depth=1
	s_mov_b32 s18, s8
	v_dual_mov_b32 v143, s19 :: v_dual_and_b32 v14, 0xffff, v116
	v_mov_b32_e32 v142, s18
	s_mov_b32 s18, exec_lo
	s_delay_alu instid0(VALU_DEP_2) | instskip(NEXT) | instid1(VALU_DEP_1)
	v_and_b32_e32 v117, 0x7f, v14
	v_cmpx_ne_u32_e32 0x7f, v117
	s_cbranch_execz .LBB245_344
; %bb.341:                              ;   in Loop: Header=BB245_10 Depth=1
	v_and_b32_e32 v134, 7, v14
	v_lshrrev_b32_e32 v116, 3, v117
	s_mov_b32 s24, exec_lo
	v_cmpx_gt_u32_e32 8, v117
; %bb.342:                              ;   in Loop: Header=BB245_10 Depth=1
	s_delay_alu instid0(VALU_DEP_3) | instskip(NEXT) | instid1(VALU_DEP_1)
	v_clz_i32_u32_e32 v4, v134
	v_min_u32_e32 v4, 32, v4
	s_delay_alu instid0(VALU_DEP_1) | instskip(SKIP_1) | instid1(VALU_DEP_2)
	v_subrev_nc_u32_e32 v5, 28, v4
	v_sub_nc_u32_e32 v116, 29, v4
	v_lshlrev_b64 v[117:118], v5, v[134:135]
	s_delay_alu instid0(VALU_DEP_1)
	v_and_b32_e32 v134, 7, v117
; %bb.343:                              ;   in Loop: Header=BB245_10 Depth=1
	s_or_b32 exec_lo, exec_lo, s24
	v_lshlrev_b32_e32 v4, 16, v26
	s_delay_alu instid0(VALU_DEP_2) | instskip(SKIP_1) | instid1(VALU_DEP_3)
	v_dual_mov_b32 v142, v135 :: v_dual_lshlrev_b32 v5, 20, v134
	v_lshl_add_u32 v14, v116, 23, 0x3c000000
	v_and_b32_e32 v4, 0x80000000, v4
	s_delay_alu instid0(VALU_DEP_1)
	v_or3_b32 v143, v5, v4, v14
.LBB245_344:                            ;   in Loop: Header=BB245_10 Depth=1
	s_or_b32 exec_lo, exec_lo, s18
.LBB245_345:                            ;   in Loop: Header=BB245_10 Depth=1
	s_delay_alu instid0(SALU_CYCLE_1)
	s_or_b32 exec_lo, exec_lo, s23
.LBB245_346:                            ;   in Loop: Header=BB245_10 Depth=1
	s_delay_alu instid0(SALU_CYCLE_1)
	s_or_b32 exec_lo, exec_lo, s3
	flat_load_u16 v4, v[160:161] offset:1284
	v_mov_b32_e32 v154, 0
	v_mov_b32_e32 v155, 0
	s_mov_b32 s3, exec_lo
	s_waitcnt vmcnt(0) lgkmcnt(0)
	v_and_b32_e32 v26, 0xffff, v4
	v_and_b32_e32 v5, 0xff, v4
	v_dual_mov_b32 v157, v155 :: v_dual_mov_b32 v156, v154
	s_delay_alu instid0(VALU_DEP_2)
	v_cmpx_ne_u16_e32 0, v5
	s_cbranch_execz .LBB245_354
; %bb.347:                              ;   in Loop: Header=BB245_10 Depth=1
	v_bfrev_b32_e32 v156, 1
	v_dual_mov_b32 v157, 0 :: v_dual_and_b32 v4, 0xff, v26
	s_mov_b32 s18, exec_lo
	s_delay_alu instid0(VALU_DEP_1)
	v_cmpx_ne_u16_e32 0x80, v4
	s_cbranch_execz .LBB245_353
; %bb.348:                              ;   in Loop: Header=BB245_10 Depth=1
	v_mov_b32_e32 v156, 0x7f800001
	v_dual_mov_b32 v157, 0 :: v_dual_and_b32 v14, 0x7f, v26
	s_mov_b32 s23, exec_lo
	s_delay_alu instid0(VALU_DEP_1)
	v_cmpx_ne_u32_e32 0x7f, v14
	s_cbranch_execz .LBB245_352
; %bb.349:                              ;   in Loop: Header=BB245_10 Depth=1
	v_and_b32_e32 v134, 7, v26
	v_lshrrev_b32_e32 v116, 3, v14
	s_mov_b32 s24, exec_lo
	v_cmpx_gt_u32_e32 8, v14
; %bb.350:                              ;   in Loop: Header=BB245_10 Depth=1
	s_delay_alu instid0(VALU_DEP_3) | instskip(NEXT) | instid1(VALU_DEP_1)
	v_clz_i32_u32_e32 v4, v134
	v_min_u32_e32 v4, 32, v4
	s_delay_alu instid0(VALU_DEP_1) | instskip(SKIP_1) | instid1(VALU_DEP_2)
	v_subrev_nc_u32_e32 v5, 28, v4
	v_sub_nc_u32_e32 v116, 29, v4
	v_lshlrev_b64 v[117:118], v5, v[134:135]
	s_delay_alu instid0(VALU_DEP_1)
	v_and_b32_e32 v134, 7, v117
; %bb.351:                              ;   in Loop: Header=BB245_10 Depth=1
	s_or_b32 exec_lo, exec_lo, s24
	v_lshlrev_b32_e32 v4, 24, v26
	s_delay_alu instid0(VALU_DEP_2) | instskip(SKIP_1) | instid1(VALU_DEP_3)
	v_lshlrev_b32_e32 v5, 20, v134
	v_lshl_add_u32 v14, v116, 23, 0x3c000000
	v_and_b32_e32 v4, 0x80000000, v4
	s_delay_alu instid0(VALU_DEP_1) | instskip(NEXT) | instid1(VALU_DEP_1)
	v_or3_b32 v134, v5, v4, v14
	v_dual_mov_b32 v157, v135 :: v_dual_mov_b32 v156, v134
.LBB245_352:                            ;   in Loop: Header=BB245_10 Depth=1
	s_or_b32 exec_lo, exec_lo, s23
.LBB245_353:                            ;   in Loop: Header=BB245_10 Depth=1
	s_delay_alu instid0(SALU_CYCLE_1)
	s_or_b32 exec_lo, exec_lo, s18
.LBB245_354:                            ;   in Loop: Header=BB245_10 Depth=1
	s_delay_alu instid0(SALU_CYCLE_1) | instskip(SKIP_2) | instid1(VALU_DEP_1)
	s_or_b32 exec_lo, exec_lo, s3
	v_lshrrev_b16 v116, 8, v26
	s_mov_b32 s3, exec_lo
	v_cmpx_ne_u16_e32 0, v116
	s_cbranch_execz .LBB245_362
; %bb.355:                              ;   in Loop: Header=BB245_10 Depth=1
	v_dual_mov_b32 v155, s9 :: v_dual_mov_b32 v154, s8
	s_mov_b32 s23, exec_lo
	v_cmpx_ne_u16_e32 0x80, v116
	s_cbranch_execz .LBB245_361
; %bb.356:                              ;   in Loop: Header=BB245_10 Depth=1
	s_mov_b32 s18, s8
	v_dual_mov_b32 v155, s19 :: v_dual_and_b32 v14, 0xffff, v116
	v_mov_b32_e32 v154, s18
	s_mov_b32 s18, exec_lo
	s_delay_alu instid0(VALU_DEP_2) | instskip(NEXT) | instid1(VALU_DEP_1)
	v_and_b32_e32 v117, 0x7f, v14
	v_cmpx_ne_u32_e32 0x7f, v117
	s_cbranch_execz .LBB245_360
; %bb.357:                              ;   in Loop: Header=BB245_10 Depth=1
	v_and_b32_e32 v134, 7, v14
	v_lshrrev_b32_e32 v116, 3, v117
	s_mov_b32 s24, exec_lo
	v_cmpx_gt_u32_e32 8, v117
; %bb.358:                              ;   in Loop: Header=BB245_10 Depth=1
	s_delay_alu instid0(VALU_DEP_3) | instskip(NEXT) | instid1(VALU_DEP_1)
	v_clz_i32_u32_e32 v4, v134
	v_min_u32_e32 v4, 32, v4
	s_delay_alu instid0(VALU_DEP_1) | instskip(SKIP_1) | instid1(VALU_DEP_2)
	v_subrev_nc_u32_e32 v5, 28, v4
	v_sub_nc_u32_e32 v116, 29, v4
	v_lshlrev_b64 v[117:118], v5, v[134:135]
	s_delay_alu instid0(VALU_DEP_1)
	v_and_b32_e32 v134, 7, v117
; %bb.359:                              ;   in Loop: Header=BB245_10 Depth=1
	s_or_b32 exec_lo, exec_lo, s24
	v_lshlrev_b32_e32 v4, 16, v26
	s_delay_alu instid0(VALU_DEP_2) | instskip(SKIP_1) | instid1(VALU_DEP_3)
	v_dual_mov_b32 v154, v135 :: v_dual_lshlrev_b32 v5, 20, v134
	v_lshl_add_u32 v14, v116, 23, 0x3c000000
	v_and_b32_e32 v4, 0x80000000, v4
	s_delay_alu instid0(VALU_DEP_1)
	v_or3_b32 v155, v5, v4, v14
.LBB245_360:                            ;   in Loop: Header=BB245_10 Depth=1
	s_or_b32 exec_lo, exec_lo, s18
.LBB245_361:                            ;   in Loop: Header=BB245_10 Depth=1
	s_delay_alu instid0(SALU_CYCLE_1)
	s_or_b32 exec_lo, exec_lo, s23
.LBB245_362:                            ;   in Loop: Header=BB245_10 Depth=1
	s_delay_alu instid0(SALU_CYCLE_1) | instskip(SKIP_1) | instid1(VALU_DEP_1)
	s_or_b32 exec_lo, exec_lo, s3
	v_add_co_u32 v116, s2, 0x500, v160
	v_add_co_ci_u32_e64 v117, s2, 0, v161, s2
	s_mov_b32 s3, exec_lo
	flat_load_u16 v4, v[116:117] offset:8
	v_mov_b32_e32 v158, 0
	s_waitcnt vmcnt(0) lgkmcnt(0)
	v_dual_mov_b32 v159, 0 :: v_dual_and_b32 v118, 0xffff, v4
	v_and_b32_e32 v5, 0xff, v4
	s_delay_alu instid0(VALU_DEP_2) | instskip(NEXT) | instid1(VALU_DEP_2)
	v_dual_mov_b32 v169, v159 :: v_dual_mov_b32 v168, v158
	v_cmpx_ne_u16_e32 0, v5
	s_cbranch_execz .LBB245_370
; %bb.363:                              ;   in Loop: Header=BB245_10 Depth=1
	v_bfrev_b32_e32 v168, 1
	v_dual_mov_b32 v169, 0 :: v_dual_and_b32 v4, 0xff, v118
	s_mov_b32 s18, exec_lo
	s_delay_alu instid0(VALU_DEP_1)
	v_cmpx_ne_u16_e32 0x80, v4
	s_cbranch_execz .LBB245_369
; %bb.364:                              ;   in Loop: Header=BB245_10 Depth=1
	v_mov_b32_e32 v168, 0x7f800001
	v_dual_mov_b32 v169, 0 :: v_dual_and_b32 v14, 0x7f, v118
	s_mov_b32 s23, exec_lo
	s_delay_alu instid0(VALU_DEP_1)
	v_cmpx_ne_u32_e32 0x7f, v14
	s_cbranch_execz .LBB245_368
; %bb.365:                              ;   in Loop: Header=BB245_10 Depth=1
	v_and_b32_e32 v134, 7, v118
	v_lshrrev_b32_e32 v26, 3, v14
	s_mov_b32 s24, exec_lo
	v_cmpx_gt_u32_e32 8, v14
; %bb.366:                              ;   in Loop: Header=BB245_10 Depth=1
	s_delay_alu instid0(VALU_DEP_3) | instskip(NEXT) | instid1(VALU_DEP_1)
	v_clz_i32_u32_e32 v4, v134
	v_min_u32_e32 v4, 32, v4
	s_delay_alu instid0(VALU_DEP_1) | instskip(SKIP_1) | instid1(VALU_DEP_2)
	v_subrev_nc_u32_e32 v5, 28, v4
	v_sub_nc_u32_e32 v26, 29, v4
	v_lshlrev_b64 v[168:169], v5, v[134:135]
	s_delay_alu instid0(VALU_DEP_1)
	v_and_b32_e32 v134, 7, v168
; %bb.367:                              ;   in Loop: Header=BB245_10 Depth=1
	s_or_b32 exec_lo, exec_lo, s24
	v_lshlrev_b32_e32 v4, 24, v118
	s_delay_alu instid0(VALU_DEP_2) | instskip(SKIP_1) | instid1(VALU_DEP_3)
	v_lshlrev_b32_e32 v5, 20, v134
	v_lshl_add_u32 v14, v26, 23, 0x3c000000
	v_and_b32_e32 v4, 0x80000000, v4
	s_delay_alu instid0(VALU_DEP_1) | instskip(NEXT) | instid1(VALU_DEP_1)
	v_or3_b32 v134, v5, v4, v14
	v_dual_mov_b32 v169, v135 :: v_dual_mov_b32 v168, v134
.LBB245_368:                            ;   in Loop: Header=BB245_10 Depth=1
	s_or_b32 exec_lo, exec_lo, s23
.LBB245_369:                            ;   in Loop: Header=BB245_10 Depth=1
	s_delay_alu instid0(SALU_CYCLE_1)
	s_or_b32 exec_lo, exec_lo, s18
.LBB245_370:                            ;   in Loop: Header=BB245_10 Depth=1
	s_delay_alu instid0(SALU_CYCLE_1) | instskip(SKIP_2) | instid1(VALU_DEP_1)
	s_or_b32 exec_lo, exec_lo, s3
	v_lshrrev_b16 v26, 8, v118
	s_mov_b32 s3, exec_lo
	v_cmpx_ne_u16_e32 0, v26
	s_cbranch_execz .LBB245_378
; %bb.371:                              ;   in Loop: Header=BB245_10 Depth=1
	v_dual_mov_b32 v159, s9 :: v_dual_mov_b32 v158, s8
	s_mov_b32 s23, exec_lo
	v_cmpx_ne_u16_e32 0x80, v26
	s_cbranch_execz .LBB245_377
; %bb.372:                              ;   in Loop: Header=BB245_10 Depth=1
	s_mov_b32 s18, s8
	v_dual_mov_b32 v159, s19 :: v_dual_and_b32 v14, 0xffff, v26
	v_mov_b32_e32 v158, s18
	s_mov_b32 s18, exec_lo
	s_delay_alu instid0(VALU_DEP_2) | instskip(NEXT) | instid1(VALU_DEP_1)
	v_and_b32_e32 v119, 0x7f, v14
	v_cmpx_ne_u32_e32 0x7f, v119
	s_cbranch_execz .LBB245_376
; %bb.373:                              ;   in Loop: Header=BB245_10 Depth=1
	v_and_b32_e32 v134, 7, v14
	v_lshrrev_b32_e32 v26, 3, v119
	s_mov_b32 s24, exec_lo
	v_cmpx_gt_u32_e32 8, v119
; %bb.374:                              ;   in Loop: Header=BB245_10 Depth=1
	s_delay_alu instid0(VALU_DEP_3) | instskip(NEXT) | instid1(VALU_DEP_1)
	v_clz_i32_u32_e32 v4, v134
	v_min_u32_e32 v4, 32, v4
	s_delay_alu instid0(VALU_DEP_1) | instskip(SKIP_1) | instid1(VALU_DEP_2)
	v_subrev_nc_u32_e32 v5, 28, v4
	v_sub_nc_u32_e32 v26, 29, v4
	v_lshlrev_b64 v[158:159], v5, v[134:135]
	s_delay_alu instid0(VALU_DEP_1)
	v_and_b32_e32 v134, 7, v158
; %bb.375:                              ;   in Loop: Header=BB245_10 Depth=1
	s_or_b32 exec_lo, exec_lo, s24
	v_lshlrev_b32_e32 v4, 16, v118
	s_delay_alu instid0(VALU_DEP_2) | instskip(SKIP_1) | instid1(VALU_DEP_3)
	v_dual_mov_b32 v158, v135 :: v_dual_lshlrev_b32 v5, 20, v134
	v_lshl_add_u32 v14, v26, 23, 0x3c000000
	v_and_b32_e32 v4, 0x80000000, v4
	s_delay_alu instid0(VALU_DEP_1)
	v_or3_b32 v159, v5, v4, v14
.LBB245_376:                            ;   in Loop: Header=BB245_10 Depth=1
	s_or_b32 exec_lo, exec_lo, s18
.LBB245_377:                            ;   in Loop: Header=BB245_10 Depth=1
	s_delay_alu instid0(SALU_CYCLE_1)
	s_or_b32 exec_lo, exec_lo, s23
.LBB245_378:                            ;   in Loop: Header=BB245_10 Depth=1
	s_delay_alu instid0(SALU_CYCLE_1)
	s_or_b32 exec_lo, exec_lo, s3
	flat_load_u16 v4, v[116:117] offset:12
	v_mov_b32_e32 v170, 0
	v_mov_b32_e32 v171, 0
	s_mov_b32 s3, exec_lo
	s_waitcnt vmcnt(0) lgkmcnt(0)
	v_and_b32_e32 v116, 0xffff, v4
	v_and_b32_e32 v5, 0xff, v4
	v_dual_mov_b32 v173, v171 :: v_dual_mov_b32 v172, v170
	s_delay_alu instid0(VALU_DEP_2)
	v_cmpx_ne_u16_e32 0, v5
	s_cbranch_execz .LBB245_386
; %bb.379:                              ;   in Loop: Header=BB245_10 Depth=1
	v_bfrev_b32_e32 v172, 1
	v_dual_mov_b32 v173, 0 :: v_dual_and_b32 v4, 0xff, v116
	s_mov_b32 s18, exec_lo
	s_delay_alu instid0(VALU_DEP_1)
	v_cmpx_ne_u16_e32 0x80, v4
	s_cbranch_execz .LBB245_385
; %bb.380:                              ;   in Loop: Header=BB245_10 Depth=1
	v_mov_b32_e32 v172, 0x7f800001
	v_dual_mov_b32 v173, 0 :: v_dual_and_b32 v14, 0x7f, v116
	s_mov_b32 s23, exec_lo
	s_delay_alu instid0(VALU_DEP_1)
	v_cmpx_ne_u32_e32 0x7f, v14
	s_cbranch_execz .LBB245_384
; %bb.381:                              ;   in Loop: Header=BB245_10 Depth=1
	v_and_b32_e32 v134, 7, v116
	v_lshrrev_b32_e32 v26, 3, v14
	s_mov_b32 s24, exec_lo
	v_cmpx_gt_u32_e32 8, v14
; %bb.382:                              ;   in Loop: Header=BB245_10 Depth=1
	s_delay_alu instid0(VALU_DEP_3) | instskip(NEXT) | instid1(VALU_DEP_1)
	v_clz_i32_u32_e32 v4, v134
	v_min_u32_e32 v4, 32, v4
	s_delay_alu instid0(VALU_DEP_1) | instskip(SKIP_1) | instid1(VALU_DEP_2)
	v_subrev_nc_u32_e32 v5, 28, v4
	v_sub_nc_u32_e32 v26, 29, v4
	v_lshlrev_b64 v[117:118], v5, v[134:135]
	s_delay_alu instid0(VALU_DEP_1)
	v_and_b32_e32 v134, 7, v117
; %bb.383:                              ;   in Loop: Header=BB245_10 Depth=1
	s_or_b32 exec_lo, exec_lo, s24
	v_lshlrev_b32_e32 v4, 24, v116
	s_delay_alu instid0(VALU_DEP_2) | instskip(SKIP_1) | instid1(VALU_DEP_3)
	v_lshlrev_b32_e32 v5, 20, v134
	v_lshl_add_u32 v14, v26, 23, 0x3c000000
	v_and_b32_e32 v4, 0x80000000, v4
	s_delay_alu instid0(VALU_DEP_1) | instskip(NEXT) | instid1(VALU_DEP_1)
	v_or3_b32 v134, v5, v4, v14
	v_dual_mov_b32 v173, v135 :: v_dual_mov_b32 v172, v134
.LBB245_384:                            ;   in Loop: Header=BB245_10 Depth=1
	s_or_b32 exec_lo, exec_lo, s23
.LBB245_385:                            ;   in Loop: Header=BB245_10 Depth=1
	s_delay_alu instid0(SALU_CYCLE_1)
	s_or_b32 exec_lo, exec_lo, s18
.LBB245_386:                            ;   in Loop: Header=BB245_10 Depth=1
	s_delay_alu instid0(SALU_CYCLE_1) | instskip(SKIP_2) | instid1(VALU_DEP_1)
	s_or_b32 exec_lo, exec_lo, s3
	v_lshrrev_b16 v26, 8, v116
	s_mov_b32 s3, exec_lo
	v_cmpx_ne_u16_e32 0, v26
	s_cbranch_execz .LBB245_394
; %bb.387:                              ;   in Loop: Header=BB245_10 Depth=1
	v_dual_mov_b32 v171, s9 :: v_dual_mov_b32 v170, s8
	s_mov_b32 s23, exec_lo
	v_cmpx_ne_u16_e32 0x80, v26
	s_cbranch_execz .LBB245_393
; %bb.388:                              ;   in Loop: Header=BB245_10 Depth=1
	s_mov_b32 s18, s8
	v_dual_mov_b32 v171, s19 :: v_dual_and_b32 v14, 0xffff, v26
	v_mov_b32_e32 v170, s18
	s_mov_b32 s18, exec_lo
	s_delay_alu instid0(VALU_DEP_2) | instskip(NEXT) | instid1(VALU_DEP_1)
	v_and_b32_e32 v117, 0x7f, v14
	v_cmpx_ne_u32_e32 0x7f, v117
	s_cbranch_execz .LBB245_392
; %bb.389:                              ;   in Loop: Header=BB245_10 Depth=1
	v_and_b32_e32 v134, 7, v14
	v_lshrrev_b32_e32 v26, 3, v117
	s_mov_b32 s24, exec_lo
	v_cmpx_gt_u32_e32 8, v117
; %bb.390:                              ;   in Loop: Header=BB245_10 Depth=1
	s_delay_alu instid0(VALU_DEP_3) | instskip(NEXT) | instid1(VALU_DEP_1)
	v_clz_i32_u32_e32 v4, v134
	v_min_u32_e32 v4, 32, v4
	s_delay_alu instid0(VALU_DEP_1) | instskip(SKIP_1) | instid1(VALU_DEP_2)
	v_subrev_nc_u32_e32 v5, 28, v4
	v_sub_nc_u32_e32 v26, 29, v4
	v_lshlrev_b64 v[117:118], v5, v[134:135]
	s_delay_alu instid0(VALU_DEP_1)
	v_and_b32_e32 v134, 7, v117
; %bb.391:                              ;   in Loop: Header=BB245_10 Depth=1
	s_or_b32 exec_lo, exec_lo, s24
	v_lshlrev_b32_e32 v4, 16, v116
	s_delay_alu instid0(VALU_DEP_2) | instskip(SKIP_1) | instid1(VALU_DEP_3)
	v_dual_mov_b32 v170, v135 :: v_dual_lshlrev_b32 v5, 20, v134
	v_lshl_add_u32 v14, v26, 23, 0x3c000000
	v_and_b32_e32 v4, 0x80000000, v4
	s_delay_alu instid0(VALU_DEP_1)
	v_or3_b32 v171, v5, v4, v14
.LBB245_392:                            ;   in Loop: Header=BB245_10 Depth=1
	s_or_b32 exec_lo, exec_lo, s18
.LBB245_393:                            ;   in Loop: Header=BB245_10 Depth=1
	s_delay_alu instid0(SALU_CYCLE_1)
	s_or_b32 exec_lo, exec_lo, s23
.LBB245_394:                            ;   in Loop: Header=BB245_10 Depth=1
	s_delay_alu instid0(SALU_CYCLE_1)
	s_or_b32 exec_lo, exec_lo, s3
	flat_load_u16 v4, v[160:161] offset:1536
	v_mov_b32_e32 v174, 0
	v_mov_b32_e32 v175, 0
	s_mov_b32 s3, exec_lo
	s_waitcnt vmcnt(0) lgkmcnt(0)
	v_and_b32_e32 v116, 0xffff, v4
	v_and_b32_e32 v5, 0xff, v4
	v_dual_mov_b32 v185, v175 :: v_dual_mov_b32 v184, v174
	s_delay_alu instid0(VALU_DEP_2)
	v_cmpx_ne_u16_e32 0, v5
	s_cbranch_execz .LBB245_402
; %bb.395:                              ;   in Loop: Header=BB245_10 Depth=1
	v_bfrev_b32_e32 v184, 1
	v_dual_mov_b32 v185, 0 :: v_dual_and_b32 v4, 0xff, v116
	s_mov_b32 s18, exec_lo
	s_delay_alu instid0(VALU_DEP_1)
	v_cmpx_ne_u16_e32 0x80, v4
	s_cbranch_execz .LBB245_401
; %bb.396:                              ;   in Loop: Header=BB245_10 Depth=1
	v_mov_b32_e32 v184, 0x7f800001
	v_dual_mov_b32 v185, 0 :: v_dual_and_b32 v14, 0x7f, v116
	s_mov_b32 s23, exec_lo
	s_delay_alu instid0(VALU_DEP_1)
	v_cmpx_ne_u32_e32 0x7f, v14
	s_cbranch_execz .LBB245_400
; %bb.397:                              ;   in Loop: Header=BB245_10 Depth=1
	v_and_b32_e32 v134, 7, v116
	v_lshrrev_b32_e32 v26, 3, v14
	s_mov_b32 s24, exec_lo
	v_cmpx_gt_u32_e32 8, v14
; %bb.398:                              ;   in Loop: Header=BB245_10 Depth=1
	s_delay_alu instid0(VALU_DEP_3) | instskip(NEXT) | instid1(VALU_DEP_1)
	v_clz_i32_u32_e32 v4, v134
	v_min_u32_e32 v4, 32, v4
	s_delay_alu instid0(VALU_DEP_1) | instskip(SKIP_1) | instid1(VALU_DEP_2)
	v_subrev_nc_u32_e32 v5, 28, v4
	v_sub_nc_u32_e32 v26, 29, v4
	v_lshlrev_b64 v[117:118], v5, v[134:135]
	s_delay_alu instid0(VALU_DEP_1)
	v_and_b32_e32 v134, 7, v117
; %bb.399:                              ;   in Loop: Header=BB245_10 Depth=1
	s_or_b32 exec_lo, exec_lo, s24
	v_lshlrev_b32_e32 v4, 24, v116
	s_delay_alu instid0(VALU_DEP_2) | instskip(SKIP_1) | instid1(VALU_DEP_3)
	v_lshlrev_b32_e32 v5, 20, v134
	v_lshl_add_u32 v14, v26, 23, 0x3c000000
	v_and_b32_e32 v4, 0x80000000, v4
	s_delay_alu instid0(VALU_DEP_1) | instskip(NEXT) | instid1(VALU_DEP_1)
	v_or3_b32 v134, v5, v4, v14
	v_dual_mov_b32 v185, v135 :: v_dual_mov_b32 v184, v134
.LBB245_400:                            ;   in Loop: Header=BB245_10 Depth=1
	s_or_b32 exec_lo, exec_lo, s23
.LBB245_401:                            ;   in Loop: Header=BB245_10 Depth=1
	s_delay_alu instid0(SALU_CYCLE_1)
	s_or_b32 exec_lo, exec_lo, s18
.LBB245_402:                            ;   in Loop: Header=BB245_10 Depth=1
	s_delay_alu instid0(SALU_CYCLE_1) | instskip(SKIP_2) | instid1(VALU_DEP_1)
	s_or_b32 exec_lo, exec_lo, s3
	v_lshrrev_b16 v26, 8, v116
	s_mov_b32 s3, exec_lo
	v_cmpx_ne_u16_e32 0, v26
	s_cbranch_execz .LBB245_410
; %bb.403:                              ;   in Loop: Header=BB245_10 Depth=1
	v_dual_mov_b32 v175, s9 :: v_dual_mov_b32 v174, s8
	s_mov_b32 s23, exec_lo
	v_cmpx_ne_u16_e32 0x80, v26
	s_cbranch_execz .LBB245_409
; %bb.404:                              ;   in Loop: Header=BB245_10 Depth=1
	s_mov_b32 s18, s8
	v_dual_mov_b32 v175, s19 :: v_dual_and_b32 v14, 0xffff, v26
	v_mov_b32_e32 v174, s18
	s_mov_b32 s18, exec_lo
	s_delay_alu instid0(VALU_DEP_2) | instskip(NEXT) | instid1(VALU_DEP_1)
	v_and_b32_e32 v117, 0x7f, v14
	v_cmpx_ne_u32_e32 0x7f, v117
	s_cbranch_execz .LBB245_408
; %bb.405:                              ;   in Loop: Header=BB245_10 Depth=1
	v_and_b32_e32 v134, 7, v14
	v_lshrrev_b32_e32 v26, 3, v117
	s_mov_b32 s24, exec_lo
	v_cmpx_gt_u32_e32 8, v117
; %bb.406:                              ;   in Loop: Header=BB245_10 Depth=1
	s_delay_alu instid0(VALU_DEP_3) | instskip(NEXT) | instid1(VALU_DEP_1)
	v_clz_i32_u32_e32 v4, v134
	v_min_u32_e32 v4, 32, v4
	s_delay_alu instid0(VALU_DEP_1) | instskip(SKIP_1) | instid1(VALU_DEP_2)
	v_subrev_nc_u32_e32 v5, 28, v4
	v_sub_nc_u32_e32 v26, 29, v4
	v_lshlrev_b64 v[117:118], v5, v[134:135]
	s_delay_alu instid0(VALU_DEP_1)
	v_and_b32_e32 v134, 7, v117
; %bb.407:                              ;   in Loop: Header=BB245_10 Depth=1
	s_or_b32 exec_lo, exec_lo, s24
	v_lshlrev_b32_e32 v4, 16, v116
	s_delay_alu instid0(VALU_DEP_2) | instskip(SKIP_1) | instid1(VALU_DEP_3)
	v_dual_mov_b32 v174, v135 :: v_dual_lshlrev_b32 v5, 20, v134
	v_lshl_add_u32 v14, v26, 23, 0x3c000000
	v_and_b32_e32 v4, 0x80000000, v4
	s_delay_alu instid0(VALU_DEP_1)
	v_or3_b32 v175, v5, v4, v14
.LBB245_408:                            ;   in Loop: Header=BB245_10 Depth=1
	s_or_b32 exec_lo, exec_lo, s18
.LBB245_409:                            ;   in Loop: Header=BB245_10 Depth=1
	s_delay_alu instid0(SALU_CYCLE_1)
	s_or_b32 exec_lo, exec_lo, s23
.LBB245_410:                            ;   in Loop: Header=BB245_10 Depth=1
	s_delay_alu instid0(SALU_CYCLE_1)
	s_or_b32 exec_lo, exec_lo, s3
	flat_load_u16 v4, v[160:161] offset:1540
	v_mov_b32_e32 v186, 0
	v_mov_b32_e32 v187, 0
	s_mov_b32 s3, exec_lo
	s_waitcnt vmcnt(0) lgkmcnt(0)
	v_and_b32_e32 v116, 0xffff, v4
	v_and_b32_e32 v5, 0xff, v4
	v_dual_mov_b32 v189, v187 :: v_dual_mov_b32 v188, v186
	s_delay_alu instid0(VALU_DEP_2)
	v_cmpx_ne_u16_e32 0, v5
	s_cbranch_execz .LBB245_418
; %bb.411:                              ;   in Loop: Header=BB245_10 Depth=1
	v_bfrev_b32_e32 v188, 1
	v_dual_mov_b32 v189, 0 :: v_dual_and_b32 v4, 0xff, v116
	s_mov_b32 s18, exec_lo
	s_delay_alu instid0(VALU_DEP_1)
	v_cmpx_ne_u16_e32 0x80, v4
	s_cbranch_execz .LBB245_417
; %bb.412:                              ;   in Loop: Header=BB245_10 Depth=1
	v_mov_b32_e32 v188, 0x7f800001
	v_dual_mov_b32 v189, 0 :: v_dual_and_b32 v14, 0x7f, v116
	s_mov_b32 s23, exec_lo
	s_delay_alu instid0(VALU_DEP_1)
	v_cmpx_ne_u32_e32 0x7f, v14
	s_cbranch_execz .LBB245_416
; %bb.413:                              ;   in Loop: Header=BB245_10 Depth=1
	v_and_b32_e32 v134, 7, v116
	v_lshrrev_b32_e32 v26, 3, v14
	s_mov_b32 s24, exec_lo
	v_cmpx_gt_u32_e32 8, v14
; %bb.414:                              ;   in Loop: Header=BB245_10 Depth=1
	s_delay_alu instid0(VALU_DEP_3) | instskip(NEXT) | instid1(VALU_DEP_1)
	v_clz_i32_u32_e32 v4, v134
	v_min_u32_e32 v4, 32, v4
	s_delay_alu instid0(VALU_DEP_1) | instskip(SKIP_1) | instid1(VALU_DEP_2)
	v_subrev_nc_u32_e32 v5, 28, v4
	v_sub_nc_u32_e32 v26, 29, v4
	v_lshlrev_b64 v[117:118], v5, v[134:135]
	s_delay_alu instid0(VALU_DEP_1)
	v_and_b32_e32 v134, 7, v117
; %bb.415:                              ;   in Loop: Header=BB245_10 Depth=1
	s_or_b32 exec_lo, exec_lo, s24
	v_lshlrev_b32_e32 v4, 24, v116
	s_delay_alu instid0(VALU_DEP_2) | instskip(SKIP_1) | instid1(VALU_DEP_3)
	v_lshlrev_b32_e32 v5, 20, v134
	v_lshl_add_u32 v14, v26, 23, 0x3c000000
	v_and_b32_e32 v4, 0x80000000, v4
	s_delay_alu instid0(VALU_DEP_1) | instskip(NEXT) | instid1(VALU_DEP_1)
	v_or3_b32 v134, v5, v4, v14
	v_dual_mov_b32 v189, v135 :: v_dual_mov_b32 v188, v134
.LBB245_416:                            ;   in Loop: Header=BB245_10 Depth=1
	s_or_b32 exec_lo, exec_lo, s23
.LBB245_417:                            ;   in Loop: Header=BB245_10 Depth=1
	s_delay_alu instid0(SALU_CYCLE_1)
	s_or_b32 exec_lo, exec_lo, s18
.LBB245_418:                            ;   in Loop: Header=BB245_10 Depth=1
	s_delay_alu instid0(SALU_CYCLE_1) | instskip(SKIP_2) | instid1(VALU_DEP_1)
	s_or_b32 exec_lo, exec_lo, s3
	v_lshrrev_b16 v26, 8, v116
	s_mov_b32 s3, exec_lo
	v_cmpx_ne_u16_e32 0, v26
	s_cbranch_execz .LBB245_426
; %bb.419:                              ;   in Loop: Header=BB245_10 Depth=1
	v_dual_mov_b32 v187, s9 :: v_dual_mov_b32 v186, s8
	s_mov_b32 s23, exec_lo
	v_cmpx_ne_u16_e32 0x80, v26
	s_cbranch_execz .LBB245_425
; %bb.420:                              ;   in Loop: Header=BB245_10 Depth=1
	s_mov_b32 s18, s8
	v_dual_mov_b32 v187, s19 :: v_dual_and_b32 v14, 0xffff, v26
	v_mov_b32_e32 v186, s18
	s_mov_b32 s18, exec_lo
	s_delay_alu instid0(VALU_DEP_2) | instskip(NEXT) | instid1(VALU_DEP_1)
	v_and_b32_e32 v117, 0x7f, v14
	v_cmpx_ne_u32_e32 0x7f, v117
	s_cbranch_execz .LBB245_424
; %bb.421:                              ;   in Loop: Header=BB245_10 Depth=1
	v_and_b32_e32 v134, 7, v14
	v_lshrrev_b32_e32 v26, 3, v117
	s_mov_b32 s24, exec_lo
	v_cmpx_gt_u32_e32 8, v117
; %bb.422:                              ;   in Loop: Header=BB245_10 Depth=1
	s_delay_alu instid0(VALU_DEP_3) | instskip(NEXT) | instid1(VALU_DEP_1)
	v_clz_i32_u32_e32 v4, v134
	v_min_u32_e32 v4, 32, v4
	s_delay_alu instid0(VALU_DEP_1) | instskip(SKIP_1) | instid1(VALU_DEP_2)
	v_subrev_nc_u32_e32 v5, 28, v4
	v_sub_nc_u32_e32 v26, 29, v4
	v_lshlrev_b64 v[117:118], v5, v[134:135]
	s_delay_alu instid0(VALU_DEP_1)
	v_and_b32_e32 v134, 7, v117
; %bb.423:                              ;   in Loop: Header=BB245_10 Depth=1
	s_or_b32 exec_lo, exec_lo, s24
	v_lshlrev_b32_e32 v4, 16, v116
	s_delay_alu instid0(VALU_DEP_2) | instskip(SKIP_1) | instid1(VALU_DEP_3)
	v_dual_mov_b32 v186, v135 :: v_dual_lshlrev_b32 v5, 20, v134
	v_lshl_add_u32 v14, v26, 23, 0x3c000000
	v_and_b32_e32 v4, 0x80000000, v4
	s_delay_alu instid0(VALU_DEP_1)
	v_or3_b32 v187, v5, v4, v14
.LBB245_424:                            ;   in Loop: Header=BB245_10 Depth=1
	s_or_b32 exec_lo, exec_lo, s18
.LBB245_425:                            ;   in Loop: Header=BB245_10 Depth=1
	s_delay_alu instid0(SALU_CYCLE_1)
	s_or_b32 exec_lo, exec_lo, s23
.LBB245_426:                            ;   in Loop: Header=BB245_10 Depth=1
	s_delay_alu instid0(SALU_CYCLE_1) | instskip(SKIP_1) | instid1(VALU_DEP_1)
	s_or_b32 exec_lo, exec_lo, s3
	v_add_co_u32 v160, s2, 0x600, v160
	v_add_co_ci_u32_e64 v161, s2, 0, v161, s2
	s_mov_b32 s3, exec_lo
	flat_load_u16 v4, v[160:161] offset:8
	v_mov_b32_e32 v116, 0
	s_waitcnt vmcnt(0) lgkmcnt(0)
	v_dual_mov_b32 v117, 0 :: v_dual_and_b32 v190, 0xffff, v4
	v_and_b32_e32 v5, 0xff, v4
	s_delay_alu instid0(VALU_DEP_2) | instskip(NEXT) | instid1(VALU_DEP_2)
	v_dual_mov_b32 v119, v117 :: v_dual_mov_b32 v118, v116
	v_cmpx_ne_u16_e32 0, v5
	s_cbranch_execz .LBB245_434
; %bb.427:                              ;   in Loop: Header=BB245_10 Depth=1
	v_bfrev_b32_e32 v118, 1
	v_dual_mov_b32 v119, 0 :: v_dual_and_b32 v4, 0xff, v190
	s_mov_b32 s18, exec_lo
	s_delay_alu instid0(VALU_DEP_1)
	v_cmpx_ne_u16_e32 0x80, v4
	s_cbranch_execz .LBB245_433
; %bb.428:                              ;   in Loop: Header=BB245_10 Depth=1
	v_mov_b32_e32 v118, 0x7f800001
	v_dual_mov_b32 v119, 0 :: v_dual_and_b32 v14, 0x7f, v190
	s_mov_b32 s23, exec_lo
	s_delay_alu instid0(VALU_DEP_1)
	v_cmpx_ne_u32_e32 0x7f, v14
	s_cbranch_execz .LBB245_432
; %bb.429:                              ;   in Loop: Header=BB245_10 Depth=1
	v_and_b32_e32 v134, 7, v190
	v_lshrrev_b32_e32 v26, 3, v14
	s_mov_b32 s24, exec_lo
	v_cmpx_gt_u32_e32 8, v14
; %bb.430:                              ;   in Loop: Header=BB245_10 Depth=1
	s_delay_alu instid0(VALU_DEP_3) | instskip(NEXT) | instid1(VALU_DEP_1)
	v_clz_i32_u32_e32 v4, v134
	v_min_u32_e32 v4, 32, v4
	s_delay_alu instid0(VALU_DEP_1) | instskip(SKIP_1) | instid1(VALU_DEP_2)
	v_subrev_nc_u32_e32 v5, 28, v4
	v_sub_nc_u32_e32 v26, 29, v4
	v_lshlrev_b64 v[118:119], v5, v[134:135]
	s_delay_alu instid0(VALU_DEP_1)
	v_and_b32_e32 v134, 7, v118
; %bb.431:                              ;   in Loop: Header=BB245_10 Depth=1
	s_or_b32 exec_lo, exec_lo, s24
	v_lshlrev_b32_e32 v4, 24, v190
	s_delay_alu instid0(VALU_DEP_2) | instskip(SKIP_1) | instid1(VALU_DEP_3)
	v_lshlrev_b32_e32 v5, 20, v134
	v_lshl_add_u32 v14, v26, 23, 0x3c000000
	v_and_b32_e32 v4, 0x80000000, v4
	s_delay_alu instid0(VALU_DEP_1) | instskip(NEXT) | instid1(VALU_DEP_1)
	v_or3_b32 v134, v5, v4, v14
	v_dual_mov_b32 v118, v134 :: v_dual_mov_b32 v119, v135
.LBB245_432:                            ;   in Loop: Header=BB245_10 Depth=1
	s_or_b32 exec_lo, exec_lo, s23
.LBB245_433:                            ;   in Loop: Header=BB245_10 Depth=1
	s_delay_alu instid0(SALU_CYCLE_1)
	s_or_b32 exec_lo, exec_lo, s18
.LBB245_434:                            ;   in Loop: Header=BB245_10 Depth=1
	s_delay_alu instid0(SALU_CYCLE_1) | instskip(SKIP_2) | instid1(VALU_DEP_1)
	s_or_b32 exec_lo, exec_lo, s3
	v_lshrrev_b16 v26, 8, v190
	s_mov_b32 s3, exec_lo
	v_cmpx_ne_u16_e32 0, v26
	s_cbranch_execz .LBB245_442
; %bb.435:                              ;   in Loop: Header=BB245_10 Depth=1
	v_dual_mov_b32 v117, s9 :: v_dual_mov_b32 v116, s8
	s_mov_b32 s23, exec_lo
	v_cmpx_ne_u16_e32 0x80, v26
	s_cbranch_execz .LBB245_441
; %bb.436:                              ;   in Loop: Header=BB245_10 Depth=1
	s_mov_b32 s18, s8
	v_dual_mov_b32 v117, s19 :: v_dual_and_b32 v14, 0xffff, v26
	v_mov_b32_e32 v116, s18
	s_mov_b32 s18, exec_lo
	s_delay_alu instid0(VALU_DEP_2) | instskip(NEXT) | instid1(VALU_DEP_1)
	v_and_b32_e32 v191, 0x7f, v14
	v_cmpx_ne_u32_e32 0x7f, v191
	s_cbranch_execz .LBB245_440
; %bb.437:                              ;   in Loop: Header=BB245_10 Depth=1
	v_and_b32_e32 v134, 7, v14
	v_lshrrev_b32_e32 v26, 3, v191
	s_mov_b32 s24, exec_lo
	v_cmpx_gt_u32_e32 8, v191
; %bb.438:                              ;   in Loop: Header=BB245_10 Depth=1
	s_delay_alu instid0(VALU_DEP_3) | instskip(NEXT) | instid1(VALU_DEP_1)
	v_clz_i32_u32_e32 v4, v134
	v_min_u32_e32 v4, 32, v4
	s_delay_alu instid0(VALU_DEP_1) | instskip(SKIP_1) | instid1(VALU_DEP_2)
	v_subrev_nc_u32_e32 v5, 28, v4
	v_sub_nc_u32_e32 v26, 29, v4
	v_lshlrev_b64 v[116:117], v5, v[134:135]
	s_delay_alu instid0(VALU_DEP_1)
	v_and_b32_e32 v134, 7, v116
; %bb.439:                              ;   in Loop: Header=BB245_10 Depth=1
	s_or_b32 exec_lo, exec_lo, s24
	v_lshlrev_b32_e32 v4, 16, v190
	s_delay_alu instid0(VALU_DEP_2) | instskip(SKIP_1) | instid1(VALU_DEP_3)
	v_dual_mov_b32 v116, v135 :: v_dual_lshlrev_b32 v5, 20, v134
	v_lshl_add_u32 v14, v26, 23, 0x3c000000
	v_and_b32_e32 v4, 0x80000000, v4
	s_delay_alu instid0(VALU_DEP_1)
	v_or3_b32 v117, v5, v4, v14
.LBB245_440:                            ;   in Loop: Header=BB245_10 Depth=1
	s_or_b32 exec_lo, exec_lo, s18
.LBB245_441:                            ;   in Loop: Header=BB245_10 Depth=1
	s_delay_alu instid0(SALU_CYCLE_1)
	s_or_b32 exec_lo, exec_lo, s23
.LBB245_442:                            ;   in Loop: Header=BB245_10 Depth=1
	s_delay_alu instid0(SALU_CYCLE_1)
	s_or_b32 exec_lo, exec_lo, s3
	flat_load_u16 v4, v[160:161] offset:12
	v_mov_b32_e32 v160, 0
	v_mov_b32_e32 v161, 0
	s_mov_b32 s3, exec_lo
	s_waitcnt vmcnt(0) lgkmcnt(0)
	v_and_b32_e32 v26, 0xffff, v4
	v_and_b32_e32 v5, 0xff, v4
	v_dual_mov_b32 v191, v161 :: v_dual_mov_b32 v190, v160
	s_delay_alu instid0(VALU_DEP_2)
	v_cmpx_ne_u16_e32 0, v5
	s_cbranch_execz .LBB245_450
; %bb.443:                              ;   in Loop: Header=BB245_10 Depth=1
	v_bfrev_b32_e32 v190, 1
	v_dual_mov_b32 v191, 0 :: v_dual_and_b32 v4, 0xff, v26
	s_mov_b32 s18, exec_lo
	s_delay_alu instid0(VALU_DEP_1)
	v_cmpx_ne_u16_e32 0x80, v4
	s_cbranch_execz .LBB245_449
; %bb.444:                              ;   in Loop: Header=BB245_10 Depth=1
	v_mov_b32_e32 v190, 0x7f800001
	v_dual_mov_b32 v191, 0 :: v_dual_and_b32 v14, 0x7f, v26
	s_mov_b32 s23, exec_lo
	s_delay_alu instid0(VALU_DEP_1)
	v_cmpx_ne_u32_e32 0x7f, v14
	s_cbranch_execz .LBB245_448
; %bb.445:                              ;   in Loop: Header=BB245_10 Depth=1
	v_and_b32_e32 v134, 7, v26
	v_lshrrev_b32_e32 v190, 3, v14
	s_mov_b32 s24, exec_lo
	v_cmpx_gt_u32_e32 8, v14
; %bb.446:                              ;   in Loop: Header=BB245_10 Depth=1
	s_delay_alu instid0(VALU_DEP_3) | instskip(NEXT) | instid1(VALU_DEP_1)
	v_clz_i32_u32_e32 v4, v134
	v_min_u32_e32 v14, 32, v4
	s_delay_alu instid0(VALU_DEP_1) | instskip(SKIP_1) | instid1(VALU_DEP_2)
	v_subrev_nc_u32_e32 v4, 28, v14
	v_sub_nc_u32_e32 v190, 29, v14
	v_lshlrev_b64 v[4:5], v4, v[134:135]
	s_delay_alu instid0(VALU_DEP_1)
	v_and_b32_e32 v134, 7, v4
; %bb.447:                              ;   in Loop: Header=BB245_10 Depth=1
	s_or_b32 exec_lo, exec_lo, s24
	v_lshlrev_b32_e32 v4, 24, v26
	s_delay_alu instid0(VALU_DEP_2) | instskip(SKIP_1) | instid1(VALU_DEP_3)
	v_lshlrev_b32_e32 v5, 20, v134
	v_lshl_add_u32 v14, v190, 23, 0x3c000000
	v_and_b32_e32 v4, 0x80000000, v4
	s_delay_alu instid0(VALU_DEP_1) | instskip(NEXT) | instid1(VALU_DEP_1)
	v_or3_b32 v134, v5, v4, v14
	v_dual_mov_b32 v191, v135 :: v_dual_mov_b32 v190, v134
.LBB245_448:                            ;   in Loop: Header=BB245_10 Depth=1
	s_or_b32 exec_lo, exec_lo, s23
.LBB245_449:                            ;   in Loop: Header=BB245_10 Depth=1
	s_delay_alu instid0(SALU_CYCLE_1)
	s_or_b32 exec_lo, exec_lo, s18
.LBB245_450:                            ;   in Loop: Header=BB245_10 Depth=1
	s_delay_alu instid0(SALU_CYCLE_1) | instskip(SKIP_2) | instid1(VALU_DEP_1)
	s_or_b32 exec_lo, exec_lo, s3
	v_lshrrev_b16 v134, 8, v26
	s_mov_b32 s3, exec_lo
	v_cmpx_ne_u16_e64 0, v134
	s_cbranch_execz .LBB245_458
; %bb.451:                              ;   in Loop: Header=BB245_10 Depth=1
	v_dual_mov_b32 v161, s9 :: v_dual_mov_b32 v160, s8
	s_mov_b32 s23, exec_lo
	v_cmpx_ne_u16_e64 0x80, v134
	s_cbranch_execz .LBB245_457
; %bb.452:                              ;   in Loop: Header=BB245_10 Depth=1
	s_mov_b32 s18, s8
	v_dual_mov_b32 v161, s19 :: v_dual_and_b32 v134, 0xffff, v134
	v_mov_b32_e32 v160, s18
	s_mov_b32 s18, exec_lo
	s_delay_alu instid0(VALU_DEP_2) | instskip(NEXT) | instid1(VALU_DEP_1)
	v_and_b32_e32 v14, 0x7f, v134
	v_cmpx_ne_u32_e32 0x7f, v14
	s_cbranch_execz .LBB245_456
; %bb.453:                              ;   in Loop: Header=BB245_10 Depth=1
	v_and_b32_e32 v134, 7, v134
	v_lshrrev_b32_e32 v160, 3, v14
	s_mov_b32 s24, exec_lo
	v_cmpx_gt_u32_e32 8, v14
; %bb.454:                              ;   in Loop: Header=BB245_10 Depth=1
	s_delay_alu instid0(VALU_DEP_3) | instskip(NEXT) | instid1(VALU_DEP_1)
	v_clz_i32_u32_e32 v4, v134
	v_min_u32_e32 v14, 32, v4
	s_delay_alu instid0(VALU_DEP_1) | instskip(SKIP_1) | instid1(VALU_DEP_2)
	v_subrev_nc_u32_e32 v4, 28, v14
	v_sub_nc_u32_e32 v160, 29, v14
	v_lshlrev_b64 v[4:5], v4, v[134:135]
	s_delay_alu instid0(VALU_DEP_1)
	v_and_b32_e32 v134, 7, v4
; %bb.455:                              ;   in Loop: Header=BB245_10 Depth=1
	s_or_b32 exec_lo, exec_lo, s24
	v_lshlrev_b32_e32 v4, 16, v26
	s_delay_alu instid0(VALU_DEP_2) | instskip(SKIP_2) | instid1(VALU_DEP_4)
	v_lshlrev_b32_e32 v5, 20, v134
	v_lshl_add_u32 v14, v160, 23, 0x3c000000
	v_mov_b32_e32 v160, v135
	v_and_b32_e32 v4, 0x80000000, v4
	s_delay_alu instid0(VALU_DEP_1)
	v_or3_b32 v161, v5, v4, v14
.LBB245_456:                            ;   in Loop: Header=BB245_10 Depth=1
	s_or_b32 exec_lo, exec_lo, s18
.LBB245_457:                            ;   in Loop: Header=BB245_10 Depth=1
	s_delay_alu instid0(SALU_CYCLE_1)
	s_or_b32 exec_lo, exec_lo, s23
.LBB245_458:                            ;   in Loop: Header=BB245_10 Depth=1
	s_delay_alu instid0(SALU_CYCLE_1)
	s_or_b32 exec_lo, exec_lo, s3
	v_or_b32_e32 v4, v145, v147
	v_or_b32_e32 v5, v144, v146
	;; [unrolled: 1-line block ×5, first 2 shown]
	v_mul_f32_e32 v4, v27, v4
	v_mul_f32_e32 v5, v27, v5
	;; [unrolled: 1-line block ×3, first 2 shown]
	v_or_b32_e32 v26, v148, v150
	v_or_b32_e32 v14, v149, v151
	s_delay_alu instid0(VALU_DEP_4)
	v_dual_mul_f32 v4, v9, v4 :: v_dual_mul_f32 v5, v8, v5
	v_or_b32_e32 v119, v162, v164
	v_or_b32_e32 v116, v116, v118
	;; [unrolled: 1-line block ×4, first 2 shown]
	v_fmac_f32_e32 v5, v6, v11
	v_mul_f32_e32 v11, v27, v12
	v_mul_f32_e32 v12, v27, v117
	v_or_b32_e32 v161, v161, v191
	v_or_b32_e32 v160, v160, v190
	;; [unrolled: 1-line block ×3, first 2 shown]
	v_fmac_f32_e32 v4, v7, v11
	v_mul_f32_e32 v11, v27, v26
	v_or_b32_e32 v144, v178, v180
	v_mul_f32_e32 v26, v27, v160
	v_or_b32_e32 v134, v179, v181
	v_or_b32_e32 v146, v182, v40
	v_fmac_f32_e32 v5, v16, v11
	v_mul_f32_e32 v11, v27, v14
	v_or_b32_e32 v145, v183, v41
	v_or_b32_e32 v148, v42, v44
	;; [unrolled: 1-line block ×4, first 2 shown]
	v_fmac_f32_e32 v4, v17, v11
	v_mul_f32_e32 v11, v27, v119
	v_mul_f32_e32 v14, v27, v161
	v_or_b32_e32 v149, v47, v57
	v_or_b32_e32 v162, v58, v60
	v_or_b32_e32 v151, v59, v61
	v_fmac_f32_e32 v5, v18, v11
	v_mul_f32_e32 v11, v27, v118
	v_or_b32_e32 v164, v62, v72
	v_or_b32_e32 v163, v63, v73
	v_or_b32_e32 v166, v74, v76
	v_or_b32_e32 v165, v75, v77
	v_fmac_f32_e32 v4, v19, v11
	v_mul_f32_e32 v11, v27, v133
	v_or_b32_e32 v176, v78, v88
	;; [unrolled: 6-line block ×3, first 2 shown]
	v_or_b32_e32 v179, v95, v105
	v_or_b32_e32 v182, v106, v108
	;; [unrolled: 1-line block ×3, first 2 shown]
	v_dual_fmac_f32 v4, v29, v11 :: v_dual_mul_f32 v11, v27, v144
	v_or_b32_e32 v40, v110, v120
	v_or_b32_e32 v183, v111, v121
	v_or_b32_e32 v42, v122, v124
	v_or_b32_e32 v41, v123, v125
	v_fmac_f32_e32 v5, v30, v11
	v_mul_f32_e32 v11, v27, v134
	v_or_b32_e32 v44, v126, v136
	v_or_b32_e32 v43, v127, v137
	v_or_b32_e32 v46, v138, v140
	v_or_b32_e32 v45, v139, v141
	v_fmac_f32_e32 v4, v31, v11
	v_mul_f32_e32 v11, v27, v146
	;; [unrolled: 6-line block ×3, first 2 shown]
	v_or_b32_e32 v60, v158, v168
	v_or_b32_e32 v59, v159, v169
	;; [unrolled: 1-line block ×4, first 2 shown]
	v_dual_fmac_f32 v4, v33, v11 :: v_dual_mul_f32 v11, v27, v148
	v_or_b32_e32 v72, v174, v184
	v_or_b32_e32 v63, v175, v185
	;; [unrolled: 1-line block ×4, first 2 shown]
	v_fmac_f32_e32 v5, v34, v11
	v_mul_f32_e32 v11, v27, v147
	s_delay_alu instid0(VALU_DEP_1) | instskip(SKIP_1) | instid1(VALU_DEP_1)
	v_fmac_f32_e32 v4, v35, v11
	v_mul_f32_e32 v11, v27, v150
	v_fmac_f32_e32 v5, v36, v11
	v_mul_f32_e32 v11, v27, v149
	s_delay_alu instid0(VALU_DEP_1) | instskip(NEXT) | instid1(VALU_DEP_1)
	v_dual_fmac_f32 v4, v37, v11 :: v_dual_mul_f32 v11, v27, v162
	v_fmac_f32_e32 v5, v38, v11
	v_mul_f32_e32 v11, v27, v151
	s_delay_alu instid0(VALU_DEP_1) | instskip(SKIP_1) | instid1(VALU_DEP_1)
	v_fmac_f32_e32 v4, v39, v11
	v_mul_f32_e32 v11, v27, v164
	v_fmac_f32_e32 v5, v48, v11
	v_mul_f32_e32 v11, v27, v163
	s_delay_alu instid0(VALU_DEP_1) | instskip(NEXT) | instid1(VALU_DEP_1)
	v_dual_fmac_f32 v4, v49, v11 :: v_dual_mul_f32 v11, v27, v166
	;; [unrolled: 9-line block ×9, first 2 shown]
	v_fmac_f32_e32 v5, v102, v11
	v_mul_f32_e32 v11, v27, v73
	s_delay_alu instid0(VALU_DEP_1) | instskip(SKIP_1) | instid1(VALU_DEP_1)
	v_fmac_f32_e32 v4, v103, v11
	v_mul_f32_e32 v11, v27, v116
	v_dual_fmac_f32 v4, v113, v12 :: v_dual_fmac_f32 v5, v112, v11
	s_delay_alu instid0(VALU_DEP_1) | instskip(NEXT) | instid1(VALU_DEP_2)
	v_fmac_f32_e32 v4, v115, v14
	v_fmac_f32_e32 v5, v114, v26
	s_delay_alu instid0(VALU_DEP_1)
	v_add_f32_e32 v11, v5, v4
	scratch_load_b32 v4, off, s32 offset:328 ; 4-byte Folded Reload
	s_waitcnt vmcnt(0)
	ds_bpermute_b32 v12, v4, v11
	s_and_saveexec_b32 s3, vcc_lo
	s_cbranch_execz .LBB245_9
; %bb.459:                              ;   in Loop: Header=BB245_10 Depth=1
	v_sub_nc_u32_e32 v4, 1, v128
	s_load_b32 s18, s[16:17], 0x0
	v_cmp_lt_i32_e64 s2, v1, v128
	s_waitcnt lgkmcnt(0)
	v_add_f32_e32 v5, v11, v12
	v_max_f32_e32 v11, v129, v129
	v_add_nc_u32_e32 v4, v4, v1
	s_delay_alu instid0(VALU_DEP_1) | instskip(NEXT) | instid1(VALU_DEP_1)
	v_cvt_f32_i32_e32 v4, v4
	v_mul_f32_e32 v4, v2, v4
	s_delay_alu instid0(VALU_DEP_1) | instskip(NEXT) | instid1(VALU_DEP_1)
	v_cndmask_b32_e64 v4, 0, v4, s1
	v_fmac_f32_e32 v4, v5, v13
	s_delay_alu instid0(VALU_DEP_1) | instskip(SKIP_2) | instid1(VALU_DEP_3)
	v_max_f32_e32 v5, v11, v4
	v_add_nc_u32_e32 v11, s18, v0
	v_cndmask_b32_e64 v4, 0, v4, s2
	v_cndmask_b32_e64 v129, v129, v5, s2
	ds_store_b32 v11, v4
	s_branch .LBB245_9
.LBB245_460:
	s_or_b32 exec_lo, exec_lo, s7
	s_clause 0x11
	scratch_load_b32 v49, off, s32 offset:332
	scratch_load_b32 v50, off, s32 offset:336
	;; [unrolled: 1-line block ×6, first 2 shown]
	scratch_load_b64 v[26:27], off, s32 offset:356
	scratch_load_b32 v11, off, s32 offset:364
	scratch_load_b32 v22, off, s32 offset:368
	scratch_load_b32 v29, off, s32 offset:372
	scratch_load_b32 v30, off, s32 offset:376
	scratch_load_b32 v32, off, s32 offset:380
	scratch_load_b32 v16, off, s32 offset:384
	scratch_load_b32 v17, off, s32 offset:388
	scratch_load_b64 v[116:117], off, s32 offset:392
	scratch_load_b32 v18, off, s32 offset:400
	scratch_load_b32 v19, off, s32 offset:404
	;; [unrolled: 1-line block ×3, first 2 shown]
	s_waitcnt lgkmcnt(0)
	v_mov_b32_e32 v12, 32
.LBB245_461:
	s_or_b32 exec_lo, exec_lo, s21
	s_waitcnt vmcnt(0)
	v_xor_b32_e32 v0, 16, v68
	v_xor_b32_e32 v1, 8, v68
	v_max_f32_e32 v4, v129, v129
	v_xor_b32_e32 v5, 2, v68
	v_and_b32_e32 v24, 31, v177
	v_cmp_lt_i32_e32 vcc_lo, v0, v12
	s_waitcnt lgkmcnt(0)
	s_lshr_b32 s8, s22, 16
	v_cndmask_b32_e32 v0, v68, v0, vcc_lo
	v_cmp_lt_i32_e32 vcc_lo, v1, v12
	v_cndmask_b32_e32 v1, v68, v1, vcc_lo
	s_delay_alu instid0(VALU_DEP_1) | instskip(NEXT) | instid1(VALU_DEP_4)
	v_lshlrev_b32_e32 v3, 2, v1
	v_lshlrev_b32_e32 v2, 2, v0
	ds_bpermute_b32 v0, v2, v129
	s_waitcnt lgkmcnt(0)
	v_max_f32_e32 v0, v0, v0
	s_delay_alu instid0(VALU_DEP_1) | instskip(SKIP_1) | instid1(VALU_DEP_1)
	v_max_f32_e32 v0, v4, v0
	v_xor_b32_e32 v4, 4, v68
	v_cmp_lt_i32_e32 vcc_lo, v4, v12
	v_cndmask_b32_e32 v4, v68, v4, vcc_lo
	v_cmp_lt_i32_e32 vcc_lo, v5, v12
	s_delay_alu instid0(VALU_DEP_2) | instskip(SKIP_1) | instid1(VALU_DEP_2)
	v_dual_cndmask_b32 v5, v68, v5 :: v_dual_lshlrev_b32 v4, 2, v4
	v_cmp_eq_u32_e32 vcc_lo, 0, v24
	v_lshlrev_b32_e32 v25, 2, v5
	ds_bpermute_b32 v1, v3, v0
	v_lshlrev_b32_e32 v5, 2, v51
	s_waitcnt lgkmcnt(0)
	v_max_f32_e32 v1, v1, v1
	s_delay_alu instid0(VALU_DEP_1) | instskip(SKIP_3) | instid1(VALU_DEP_1)
	v_max_f32_e32 v0, v0, v1
	ds_bpermute_b32 v1, v4, v0
	s_waitcnt lgkmcnt(0)
	v_max_f32_e32 v1, v1, v1
	v_max_f32_e32 v0, v0, v1
	ds_bpermute_b32 v1, v25, v0
	s_and_saveexec_b32 s1, vcc_lo
	s_cbranch_execz .LBB245_463
; %bb.462:
	s_waitcnt lgkmcnt(0)
	v_dual_max_f32 v1, v1, v1 :: v_dual_max_f32 v0, v0, v0
	s_delay_alu instid0(VALU_DEP_1)
	v_max_f32_e32 v0, v0, v1
	ds_store_b32 v5, v0 offset:448
.LBB245_463:
	s_or_b32 exec_lo, exec_lo, s1
	v_cmp_gt_u32_e64 s1, 4, v24
	v_mov_b32_e32 v0, 0xff7fffff
	v_lshlrev_b32_e32 v6, 2, v24
	s_waitcnt lgkmcnt(0)
	s_waitcnt_vscnt null, 0x0
	s_barrier
	buffer_gl0_inv
	s_and_saveexec_b32 s2, s1
	s_cbranch_execz .LBB245_465
; %bb.464:
	ds_load_b32 v0, v6 offset:448
.LBB245_465:
	s_or_b32 exec_lo, exec_lo, s2
	scratch_load_b32 v8, off, s32 offset:324 ; 4-byte Folded Reload
	s_waitcnt lgkmcnt(0)
	ds_bpermute_b32 v1, v25, v0
	v_xor_b32_e32 v7, 1, v68
	v_max_f32_e32 v0, v0, v0
	s_delay_alu instid0(VALU_DEP_2) | instskip(NEXT) | instid1(VALU_DEP_1)
	v_cmp_lt_i32_e64 s2, v7, v12
	v_cndmask_b32_e64 v7, v68, v7, s2
	s_delay_alu instid0(VALU_DEP_1) | instskip(SKIP_3) | instid1(VALU_DEP_1)
	v_lshlrev_b32_e32 v28, 2, v7
	v_lshlrev_b32_e32 v7, 2, v68
	s_waitcnt lgkmcnt(0)
	v_max_f32_e32 v1, v1, v1
	v_dual_max_f32 v0, v0, v1 :: v_dual_and_b32 v7, 0xffffff80, v7
	ds_bpermute_b32 v1, v28, v0
	s_waitcnt lgkmcnt(0)
	v_max_f32_e32 v1, v1, v1
	s_delay_alu instid0(VALU_DEP_1) | instskip(SKIP_3) | instid1(VALU_DEP_1)
	v_max_f32_e32 v0, v0, v1
	ds_bpermute_b32 v0, v7, v0
	s_waitcnt vmcnt(0)
	v_subrev_nc_u32_e32 v8, s13, v8
	v_lshl_add_u32 v1, v8, 4, s11
	v_mov_b32_e32 v8, 0
	s_delay_alu instid0(VALU_DEP_2) | instskip(NEXT) | instid1(VALU_DEP_1)
	v_min_i32_e32 v1, v1, v128
	v_subrev_nc_u32_e32 v1, s11, v1
	s_delay_alu instid0(VALU_DEP_1) | instskip(NEXT) | instid1(VALU_DEP_1)
	v_cmp_lt_i32_e64 s2, v177, v1
	s_and_saveexec_b32 s9, s2
	s_cbranch_execz .LBB245_469
; %bb.466:
	s_getpc_b64 s[16:17]
	s_add_u32 s16, s16, llvm.amdgcn.dynlds.offset.table@rel32@lo+4
	s_addc_u32 s17, s17, llvm.amdgcn.dynlds.offset.table@rel32@hi+12
	s_ashr_i32 s7, s6, 31
	v_dual_mov_b32 v8, 0 :: v_dual_mov_b32 v13, v177
	s_lshl_b64 s[18:19], s[6:7], 2
	s_mov_b32 s7, 0
	s_add_u32 s16, s18, s16
	s_addc_u32 s17, s19, s17
	s_load_b32 s3, s[16:17], 0x0
	s_waitcnt lgkmcnt(0)
	v_lshl_add_u32 v9, v177, 2, s3
	.p2align	6
.LBB245_467:                            ; =>This Inner Loop Header: Depth=1
	ds_load_b32 v12, v9
	v_add_nc_u32_e32 v13, 0x80, v13
	s_delay_alu instid0(VALU_DEP_1) | instskip(NEXT) | instid1(VALU_DEP_1)
	v_cmp_ge_i32_e64 s3, v13, v1
	s_or_b32 s7, s3, s7
	s_waitcnt lgkmcnt(0)
	v_sub_f32_e32 v12, v12, v0
	s_delay_alu instid0(VALU_DEP_1) | instskip(NEXT) | instid1(VALU_DEP_1)
	v_mul_f32_e32 v12, 0x3fb8aa3b, v12
	v_exp_f32_e32 v12, v12
	ds_store_b32 v9, v12
	v_dual_add_f32 v8, v8, v12 :: v_dual_add_nc_u32 v9, 0x200, v9
	s_and_not1_b32 exec_lo, exec_lo, s7
	s_cbranch_execnz .LBB245_467
; %bb.468:
	s_or_b32 exec_lo, exec_lo, s7
.LBB245_469:
	s_delay_alu instid0(SALU_CYCLE_1)
	s_or_b32 exec_lo, exec_lo, s9
	ds_bpermute_b32 v2, v2, v8
	s_waitcnt lgkmcnt(0)
	v_add_f32_e32 v2, v8, v2
	ds_bpermute_b32 v3, v3, v2
	s_waitcnt lgkmcnt(0)
	v_add_f32_e32 v2, v2, v3
	;; [unrolled: 3-line block ×5, first 2 shown]
	s_and_saveexec_b32 s3, vcc_lo
	s_cbranch_execz .LBB245_471
; %bb.470:
	ds_store_b32 v5, v2 offset:464
.LBB245_471:
	s_or_b32 exec_lo, exec_lo, s3
	s_waitcnt lgkmcnt(0)
	s_barrier
	buffer_gl0_inv
	s_and_saveexec_b32 s3, s1
	s_cbranch_execz .LBB245_473
; %bb.472:
	ds_load_b32 v2, v6 offset:464
.LBB245_473:
	s_or_b32 exec_lo, exec_lo, s3
	s_waitcnt lgkmcnt(0)
	ds_bpermute_b32 v3, v25, v2
	s_waitcnt lgkmcnt(0)
	v_add_f32_e32 v2, v2, v3
	ds_bpermute_b32 v3, v28, v2
	s_waitcnt lgkmcnt(0)
	v_add_f32_e32 v2, v2, v3
	ds_bpermute_b32 v2, v7, v2
	s_and_saveexec_b32 s1, s2
	s_cbranch_execz .LBB245_476
; %bb.474:
	s_waitcnt lgkmcnt(0)
	v_add_f32_e32 v4, 0x358637bd, v2
	s_getpc_b64 s[2:3]
	s_add_u32 s2, s2, llvm.amdgcn.dynlds.offset.table@rel32@lo+4
	s_addc_u32 s3, s3, llvm.amdgcn.dynlds.offset.table@rel32@hi+12
	s_ashr_i32 s7, s6, 31
	s_delay_alu instid0(SALU_CYCLE_1) | instskip(SKIP_4) | instid1(VALU_DEP_1)
	s_lshl_b64 s[16:17], s[6:7], 2
	v_div_scale_f32 v3, null, v4, v4, 1.0
	s_add_u32 s2, s16, s2
	s_addc_u32 s3, s17, s3
	s_load_b32 s2, s[2:3], 0x0
	v_rcp_f32_e32 v5, v3
	s_waitcnt_depctr 0xfff
	v_fma_f32 v6, -v3, v5, 1.0
	s_delay_alu instid0(VALU_DEP_1) | instskip(SKIP_1) | instid1(VALU_DEP_1)
	v_fmac_f32_e32 v5, v6, v5
	v_div_scale_f32 v7, vcc_lo, 1.0, v4, 1.0
	v_mul_f32_e32 v6, v7, v5
	s_delay_alu instid0(VALU_DEP_1) | instskip(NEXT) | instid1(VALU_DEP_1)
	v_fma_f32 v8, -v3, v6, v7
	v_fmac_f32_e32 v6, v8, v5
	s_delay_alu instid0(VALU_DEP_1) | instskip(NEXT) | instid1(VALU_DEP_1)
	v_fma_f32 v3, -v3, v6, v7
	v_div_fmas_f32 v5, v3, v5, v6
	s_waitcnt lgkmcnt(0)
	v_lshl_add_u32 v3, v177, 2, s2
	s_mov_b32 s2, 0
	s_delay_alu instid0(VALU_DEP_2)
	v_div_fixup_f32 v4, v5, v4, 1.0
	v_mov_b32_e32 v5, v177
.LBB245_475:                            ; =>This Inner Loop Header: Depth=1
	ds_load_b32 v6, v3
	s_waitcnt lgkmcnt(0)
	v_dual_mul_f32 v6, v4, v6 :: v_dual_add_nc_u32 v5, 0x80, v5
	s_delay_alu instid0(VALU_DEP_1) | instskip(SKIP_3) | instid1(SALU_CYCLE_1)
	v_cmp_ge_i32_e32 vcc_lo, v5, v1
	ds_store_b32 v3, v6
	v_add_nc_u32_e32 v3, 0x200, v3
	s_or_b32 s2, vcc_lo, s2
	s_and_not1_b32 exec_lo, exec_lo, s2
	s_cbranch_execnz .LBB245_475
.LBB245_476:
	s_or_b32 exec_lo, exec_lo, s1
	v_cmp_ne_u16_e64 s1, s8, 0
	s_waitcnt lgkmcnt(0)
	s_barrier
	buffer_gl0_inv
	s_cmp_lg_u32 s1, 0
	s_addc_u32 s1, s5, 0
	s_mov_b32 s5, exec_lo
	s_mul_i32 s2, s1, s10
	s_delay_alu instid0(SALU_CYCLE_1)
	s_mul_i32 s2, s2, s15
	v_cmpx_eq_u32_e32 0, v177
	s_cbranch_execz .LBB245_478
; %bb.477:
	s_mul_i32 s8, s1, s12
	s_ashr_i32 s15, s14, 31
	s_ashr_i32 s9, s8, 31
	;; [unrolled: 1-line block ×3, first 2 shown]
	s_lshl_b64 s[8:9], s[8:9], 2
	s_lshl_b64 s[12:13], s[14:15], 2
	;; [unrolled: 1-line block ×3, first 2 shown]
	s_add_u32 s3, s12, s8
	s_addc_u32 s7, s13, s9
	s_add_u32 s3, s3, s16
	s_addc_u32 s7, s7, s17
	v_add_co_u32 v3, vcc_lo, s3, v32
	v_add_co_ci_u32_e32 v4, vcc_lo, s7, v30, vcc_lo
	v_add_co_u32 v5, vcc_lo, s3, v29
	v_add_co_ci_u32_e32 v6, vcc_lo, s7, v22, vcc_lo
	flat_store_b32 v[3:4], v0
	flat_store_b32 v[5:6], v2
.LBB245_478:
	s_or_b32 exec_lo, exec_lo, s5
                                        ; implicit-def: $sgpr5
	s_and_saveexec_b32 s3, s0
	s_delay_alu instid0(SALU_CYCLE_1)
	s_xor_b32 s0, exec_lo, s3
; %bb.479:
	s_ashr_i32 s7, s6, 31
	s_mov_b32 s5, 0
                                        ; implicit-def: $vgpr0
                                        ; implicit-def: $vgpr128
                                        ; implicit-def: $vgpr17
                                        ; kill: killed $vgpr0
                                        ; implicit-def: $vgpr20
                                        ; implicit-def: $vgpr10
                                        ; implicit-def: $vgpr11
                                        ; implicit-def: $vgpr14
                                        ; implicit-def: $vgpr15
                                        ; implicit-def: $vgpr0
                                        ; kill: killed $vgpr0
                                        ; implicit-def: $vgpr26_vgpr27
                                        ; implicit-def: $vgpr18
                                        ; implicit-def: $vgpr19
                                        ; implicit-def: $vgpr116_vgpr117
                                        ; implicit-def: $vgpr16
; %bb.480:
	s_or_saveexec_b32 s3, s0
	v_dual_mov_b32 v37, s5 :: v_dual_mov_b32 v0, s6
	v_dual_mov_b32 v1, s7 :: v_dual_mov_b32 v48, s5
	v_dual_mov_b32 v38, s5 :: v_dual_and_b32 v29, 3, v177
	v_dual_mov_b32 v39, s5 :: v_dual_mov_b32 v36, s5
	v_dual_mov_b32 v35, s5 :: v_dual_mov_b32 v34, s5
	;; [unrolled: 1-line block ×5, first 2 shown]
	v_mov_b32_e32 v23, s5
	s_xor_b32 exec_lo, exec_lo, s3
	s_cbranch_execz .LBB245_960
; %bb.481:
	v_dual_mov_b32 v22, v49 :: v_dual_mov_b32 v7, 0
	flat_load_b32 v49, v[26:27]
	s_ashr_i32 s7, s6, 31
	s_getpc_b64 s[8:9]
	s_add_u32 s8, s8, llvm.amdgcn.dynlds.offset.table@rel32@lo+4
	s_addc_u32 s9, s9, llvm.amdgcn.dynlds.offset.table@rel32@hi+12
	v_lshl_add_u32 v6, v51, 4, s11
	s_lshl_b64 s[10:11], s[6:7], 2
	v_dual_mov_b32 v176, v50 :: v_dual_and_b32 v5, 0x7c, v16
	s_add_u32 s8, s10, s8
	s_addc_u32 s9, s11, s9
	v_add_co_u32 v3, vcc_lo, v10, v18
	s_load_b32 s0, s[8:9], 0x0
	v_add_co_ci_u32_e32 v4, vcc_lo, v11, v19, vcc_lo
	v_lshlrev_b64 v[0:1], 2, v[20:21]
	v_dual_mov_b32 v23, 0 :: v_dual_and_b32 v2, 12, v16
	v_dual_mov_b32 v31, 0 :: v_dual_lshlrev_b32 v10, 4, v29
	v_add_co_u32 v8, vcc_lo, v3, v5
	v_add_co_ci_u32_e32 v9, vcc_lo, 0, v4, vcc_lo
	v_add_co_u32 v0, vcc_lo, v116, v0
	v_add3_u32 v21, v6, v2, 3
	v_add_co_ci_u32_e32 v1, vcc_lo, v117, v1, vcc_lo
	v_lshl_or_b32 v2, v51, 6, v10
	s_delay_alu instid0(VALU_DEP_4)
	v_add_co_u32 v10, vcc_lo, v14, v0
	v_dual_mov_b32 v179, 0 :: v_dual_add_nc_u32 v50, -1, v17
	v_dual_mov_b32 v180, 0 :: v_dual_mov_b32 v33, 0
	v_dual_mov_b32 v30, 0 :: v_dual_mov_b32 v35, 0
	;; [unrolled: 1-line block ×4, first 2 shown]
	v_mov_b32_e32 v36, 0
	v_mov_b32_e32 v38, 0
	;; [unrolled: 1-line block ×3, first 2 shown]
	s_waitcnt lgkmcnt(0)
	v_dual_mov_b32 v178, v51 :: v_dual_add_nc_u32 v51, s0, v2
	v_add_co_ci_u32_e32 v11, vcc_lo, v15, v1, vcc_lo
	s_mov_b32 s8, 0
	s_brev_b32 s9, 1
	s_mov_b32 s11, 0x7f800001
	s_mov_b32 s5, s8
	s_waitcnt vmcnt(0)
	v_mov_b32_e32 v52, v49
	s_branch .LBB245_483
.LBB245_482:                            ;   in Loop: Header=BB245_483 Depth=1
	s_or_b32 exec_lo, exec_lo, s0
	v_mul_f32_e32 v14, v1, v161
	v_mul_f32_e32 v16, v1, v145
	;; [unrolled: 1-line block ×4, first 2 shown]
	v_add_co_u32 v10, s0, v10, 16
	s_delay_alu instid0(VALU_DEP_4) | instskip(SKIP_4) | instid1(VALU_DEP_4)
	v_fmac_f32_e32 v16, v0, v144
	v_fmac_f32_e32 v14, v0, v160
	;; [unrolled: 1-line block ×4, first 2 shown]
	v_add_co_ci_u32_e64 v11, s0, 0, v11, s0
	v_fmac_f32_e32 v14, v2, v151
	v_fmac_f32_e32 v16, v2, v135
	;; [unrolled: 1-line block ×4, first 2 shown]
	s_delay_alu instid0(VALU_DEP_4) | instskip(NEXT) | instid1(VALU_DEP_4)
	v_dual_fmac_f32 v14, v3, v150 :: v_dual_add_nc_u32 v21, 64, v21
	v_dual_fmac_f32 v16, v3, v134 :: v_dual_mul_f32 v17, v1, v133
	s_delay_alu instid0(VALU_DEP_4) | instskip(NEXT) | instid1(VALU_DEP_4)
	v_fmac_f32_e32 v13, v3, v18
	v_fmac_f32_e32 v15, v3, v146
	s_delay_alu instid0(VALU_DEP_3) | instskip(NEXT) | instid1(VALU_DEP_4)
	v_dual_add_f32 v180, v180, v14 :: v_dual_add_f32 v31, v31, v16
	v_dual_mul_f32 v14, v1, v115 :: v_dual_fmac_f32 v17, v0, v132
	s_delay_alu instid0(VALU_DEP_4) | instskip(NEXT) | instid1(VALU_DEP_4)
	v_dual_mul_f32 v16, v1, v99 :: v_dual_add_f32 v179, v179, v13
	v_add_f32_e32 v30, v30, v15
	s_delay_alu instid0(VALU_DEP_3) | instskip(NEXT) | instid1(VALU_DEP_3)
	v_dual_mul_f32 v13, v1, v119 :: v_dual_fmac_f32 v14, v0, v114
	v_dual_mul_f32 v15, v1, v103 :: v_dual_fmac_f32 v16, v0, v98
	v_add_nc_u32_e32 v51, 0x100, v51
	s_delay_alu instid0(VALU_DEP_3) | instskip(SKIP_1) | instid1(VALU_DEP_4)
	v_dual_fmac_f32 v13, v0, v118 :: v_dual_fmac_f32 v14, v2, v113
	v_fmac_f32_e32 v17, v2, v131
	v_dual_fmac_f32 v15, v0, v102 :: v_dual_fmac_f32 v16, v2, v97
	s_delay_alu instid0(VALU_DEP_3) | instskip(NEXT) | instid1(VALU_DEP_2)
	v_dual_fmac_f32 v13, v2, v117 :: v_dual_fmac_f32 v14, v3, v112
	v_dual_fmac_f32 v15, v2, v101 :: v_dual_add_nc_u32 v20, 4, v20
	s_delay_alu instid0(VALU_DEP_3) | instskip(SKIP_1) | instid1(VALU_DEP_4)
	v_fmac_f32_e32 v16, v3, v96
	v_fmac_f32_e32 v17, v3, v130
	v_add_f32_e32 v34, v34, v14
	s_delay_alu instid0(VALU_DEP_4) | instskip(NEXT) | instid1(VALU_DEP_4)
	v_dual_mul_f32 v14, v1, v71 :: v_dual_fmac_f32 v15, v3, v100
	v_add_f32_e32 v36, v36, v16
	s_delay_alu instid0(VALU_DEP_4) | instskip(NEXT) | instid1(VALU_DEP_3)
	v_dual_add_f32 v32, v32, v17 :: v_dual_fmac_f32 v13, v3, v116
	v_dual_mul_f32 v17, v1, v87 :: v_dual_fmac_f32 v14, v0, v70
	s_delay_alu instid0(VALU_DEP_4) | instskip(NEXT) | instid1(VALU_DEP_2)
	v_add_f32_e32 v35, v35, v15
	v_dual_fmac_f32 v17, v0, v86 :: v_dual_fmac_f32 v14, v2, v69
	s_delay_alu instid0(VALU_DEP_4) | instskip(NEXT) | instid1(VALU_DEP_2)
	v_add_f32_e32 v33, v33, v13
	v_dual_fmac_f32 v17, v2, v85 :: v_dual_fmac_f32 v14, v3, v68
	v_mul_f32_e32 v15, v1, v64
	s_delay_alu instid0(VALU_DEP_2) | instskip(SKIP_2) | instid1(VALU_DEP_3)
	v_dual_fmac_f32 v17, v3, v84 :: v_dual_add_f32 v48, v48, v14
	v_mul_f32_e32 v13, v1, v83
	v_mul_f32_e32 v1, v1, v12
	v_dual_fmac_f32 v15, v0, v55 :: v_dual_add_f32 v38, v38, v17
	s_delay_alu instid0(VALU_DEP_3) | instskip(NEXT) | instid1(VALU_DEP_3)
	v_fmac_f32_e32 v13, v0, v82
	v_fmac_f32_e32 v1, v0, v6
	scratch_load_b32 v0, off, s32 offset:324 ; 4-byte Folded Reload
	v_fmac_f32_e32 v15, v2, v54
	v_fmac_f32_e32 v13, v2, v81
	;; [unrolled: 1-line block ×3, first 2 shown]
	s_delay_alu instid0(VALU_DEP_3) | instskip(NEXT) | instid1(VALU_DEP_3)
	v_fmac_f32_e32 v15, v3, v53
	v_fmac_f32_e32 v13, v3, v80
	s_delay_alu instid0(VALU_DEP_3) | instskip(NEXT) | instid1(VALU_DEP_3)
	v_fmac_f32_e32 v1, v3, v4
	v_add_f32_e32 v37, v37, v15
	s_delay_alu instid0(VALU_DEP_3) | instskip(NEXT) | instid1(VALU_DEP_3)
	v_add_f32_e32 v39, v39, v13
	v_add_f32_e32 v23, v23, v1
	s_waitcnt vmcnt(0)
	v_cmp_ge_i32_e32 vcc_lo, v20, v0
	s_or_b32 s5, vcc_lo, s5
	s_delay_alu instid0(SALU_CYCLE_1)
	s_and_not1_b32 exec_lo, exec_lo, s5
	s_cbranch_execz .LBB245_959
.LBB245_483:                            ; =>This Inner Loop Header: Depth=1
	flat_load_b32 v0, v[10:11]
	scratch_load_b32 v1, off, s32 offset:320 ; 4-byte Folded Reload
	v_mov_b32_e32 v14, 0
	s_mov_b32 s0, exec_lo
	s_waitcnt vmcnt(0) lgkmcnt(0)
	v_mad_i64_i32 v[12:13], null, v0, v1, v[8:9]
	ds_load_b128 v[0:3], v51
	flat_load_b32 v53, v[12:13]
	s_waitcnt vmcnt(0) lgkmcnt(0)
	v_dual_mov_b32 v15, 0 :: v_dual_and_b32 v6, 0xff, v53
	s_delay_alu instid0(VALU_DEP_1) | instskip(NEXT) | instid1(VALU_DEP_2)
	v_dual_mov_b32 v4, v14 :: v_dual_mov_b32 v5, v15
	v_cmpx_ne_u16_e32 0, v6
	s_cbranch_execz .LBB245_491
; %bb.484:                              ;   in Loop: Header=BB245_483 Depth=1
	v_bfrev_b32_e32 v4, 1
	v_mov_b32_e32 v5, 0
	s_mov_b32 s10, exec_lo
	v_cmpx_ne_u16_e32 0x80, v6
	s_cbranch_execz .LBB245_490
; %bb.485:                              ;   in Loop: Header=BB245_483 Depth=1
	v_mov_b32_e32 v4, 0x7f800001
	v_dual_mov_b32 v5, 0 :: v_dual_and_b32 v16, 0x7f, v53
	s_mov_b32 s12, exec_lo
	s_delay_alu instid0(VALU_DEP_1)
	v_cmpx_ne_u32_e32 0x7f, v16
	s_cbranch_execz .LBB245_489
; %bb.486:                              ;   in Loop: Header=BB245_483 Depth=1
	v_and_b32_e32 v6, 7, v53
	v_lshrrev_b32_e32 v4, 3, v16
	s_mov_b32 s13, exec_lo
	v_cmpx_gt_u32_e32 8, v16
; %bb.487:                              ;   in Loop: Header=BB245_483 Depth=1
	s_delay_alu instid0(VALU_DEP_3) | instskip(NEXT) | instid1(VALU_DEP_1)
	v_clz_i32_u32_e32 v4, v6
	v_min_u32_e32 v4, 32, v4
	s_delay_alu instid0(VALU_DEP_1) | instskip(SKIP_1) | instid1(VALU_DEP_2)
	v_subrev_nc_u32_e32 v5, 28, v4
	v_sub_nc_u32_e32 v4, 29, v4
	v_lshlrev_b64 v[5:6], v5, v[6:7]
	s_delay_alu instid0(VALU_DEP_1)
	v_and_b32_e32 v6, 7, v5
; %bb.488:                              ;   in Loop: Header=BB245_483 Depth=1
	s_or_b32 exec_lo, exec_lo, s13
	v_lshlrev_b32_e32 v5, 24, v53
	s_delay_alu instid0(VALU_DEP_2) | instskip(SKIP_1) | instid1(VALU_DEP_3)
	v_lshlrev_b32_e32 v6, 20, v6
	v_lshl_add_u32 v4, v4, 23, 0x3c000000
	v_and_b32_e32 v5, 0x80000000, v5
	s_delay_alu instid0(VALU_DEP_1) | instskip(NEXT) | instid1(VALU_DEP_1)
	v_or3_b32 v6, v6, v5, v4
	v_dual_mov_b32 v4, v6 :: v_dual_mov_b32 v5, v7
.LBB245_489:                            ;   in Loop: Header=BB245_483 Depth=1
	s_or_b32 exec_lo, exec_lo, s12
.LBB245_490:                            ;   in Loop: Header=BB245_483 Depth=1
	s_delay_alu instid0(SALU_CYCLE_1)
	s_or_b32 exec_lo, exec_lo, s10
.LBB245_491:                            ;   in Loop: Header=BB245_483 Depth=1
	s_delay_alu instid0(SALU_CYCLE_1) | instskip(SKIP_2) | instid1(VALU_DEP_1)
	s_or_b32 exec_lo, exec_lo, s0
	v_lshrrev_b16 v6, 8, v53
	s_mov_b32 s0, exec_lo
	v_cmpx_ne_u16_e32 0, v6
	s_cbranch_execz .LBB245_499
; %bb.492:                              ;   in Loop: Header=BB245_483 Depth=1
	v_dual_mov_b32 v15, s9 :: v_dual_mov_b32 v14, s8
	s_mov_b32 s12, exec_lo
	v_cmpx_ne_u16_e32 0x80, v6
	s_cbranch_execz .LBB245_498
; %bb.493:                              ;   in Loop: Header=BB245_483 Depth=1
	s_mov_b32 s10, s8
	v_dual_mov_b32 v15, s11 :: v_dual_and_b32 v6, 0xffff, v6
	v_mov_b32_e32 v14, s10
	s_mov_b32 s10, exec_lo
	s_delay_alu instid0(VALU_DEP_2) | instskip(NEXT) | instid1(VALU_DEP_1)
	v_and_b32_e32 v16, 0x7f, v6
	v_cmpx_ne_u32_e32 0x7f, v16
	s_cbranch_execz .LBB245_497
; %bb.494:                              ;   in Loop: Header=BB245_483 Depth=1
	v_and_b32_e32 v6, 7, v6
	v_lshrrev_b32_e32 v14, 3, v16
	s_mov_b32 s13, exec_lo
	v_cmpx_gt_u32_e32 8, v16
; %bb.495:                              ;   in Loop: Header=BB245_483 Depth=1
	s_delay_alu instid0(VALU_DEP_3) | instskip(NEXT) | instid1(VALU_DEP_1)
	v_clz_i32_u32_e32 v14, v6
	v_min_u32_e32 v14, 32, v14
	s_delay_alu instid0(VALU_DEP_1) | instskip(SKIP_1) | instid1(VALU_DEP_2)
	v_subrev_nc_u32_e32 v15, 28, v14
	v_sub_nc_u32_e32 v14, 29, v14
	v_lshlrev_b64 v[15:16], v15, v[6:7]
	s_delay_alu instid0(VALU_DEP_1)
	v_and_b32_e32 v6, 7, v15
; %bb.496:                              ;   in Loop: Header=BB245_483 Depth=1
	s_or_b32 exec_lo, exec_lo, s13
	v_lshlrev_b32_e32 v15, 16, v53
	s_delay_alu instid0(VALU_DEP_2) | instskip(SKIP_1) | instid1(VALU_DEP_3)
	v_lshlrev_b32_e32 v6, 20, v6
	v_lshl_add_u32 v14, v14, 23, 0x3c000000
	v_and_b32_e32 v15, 0x80000000, v15
	s_delay_alu instid0(VALU_DEP_1)
	v_or3_b32 v15, v6, v15, v14
	v_mov_b32_e32 v14, v7
.LBB245_497:                            ;   in Loop: Header=BB245_483 Depth=1
	s_or_b32 exec_lo, exec_lo, s10
.LBB245_498:                            ;   in Loop: Header=BB245_483 Depth=1
	s_delay_alu instid0(SALU_CYCLE_1)
	s_or_b32 exec_lo, exec_lo, s12
.LBB245_499:                            ;   in Loop: Header=BB245_483 Depth=1
	s_delay_alu instid0(SALU_CYCLE_1) | instskip(SKIP_4) | instid1(VALU_DEP_2)
	s_or_b32 exec_lo, exec_lo, s0
	v_mov_b32_e32 v18, 0
	v_lshrrev_b32_e32 v54, 16, v53
	v_mov_b32_e32 v19, 0
	s_mov_b32 s0, exec_lo
	v_and_b32_e32 v6, 0xff, v54
	s_delay_alu instid0(VALU_DEP_2) | instskip(NEXT) | instid1(VALU_DEP_2)
	v_dual_mov_b32 v16, v18 :: v_dual_mov_b32 v17, v19
	v_cmpx_ne_u16_e32 0, v6
	s_cbranch_execz .LBB245_507
; %bb.500:                              ;   in Loop: Header=BB245_483 Depth=1
	v_bfrev_b32_e32 v16, 1
	v_mov_b32_e32 v17, 0
	s_mov_b32 s10, exec_lo
	v_cmpx_ne_u16_e32 0x80, v6
	s_cbranch_execz .LBB245_506
; %bb.501:                              ;   in Loop: Header=BB245_483 Depth=1
	v_mov_b32_e32 v16, 0x7f800001
	v_bfe_u32 v55, v53, 16, 7
	v_mov_b32_e32 v17, 0
	s_mov_b32 s12, exec_lo
	s_delay_alu instid0(VALU_DEP_2)
	v_cmpx_ne_u32_e32 0x7f, v55
	s_cbranch_execz .LBB245_505
; %bb.502:                              ;   in Loop: Header=BB245_483 Depth=1
	v_and_b32_e32 v6, 7, v54
	v_lshrrev_b32_e32 v16, 3, v55
	s_mov_b32 s13, exec_lo
	v_cmpx_gt_u32_e32 8, v55
; %bb.503:                              ;   in Loop: Header=BB245_483 Depth=1
	s_delay_alu instid0(VALU_DEP_3) | instskip(NEXT) | instid1(VALU_DEP_1)
	v_clz_i32_u32_e32 v16, v6
	v_min_u32_e32 v16, 32, v16
	s_delay_alu instid0(VALU_DEP_1) | instskip(SKIP_1) | instid1(VALU_DEP_2)
	v_subrev_nc_u32_e32 v17, 28, v16
	v_sub_nc_u32_e32 v16, 29, v16
	v_lshlrev_b64 v[64:65], v17, v[6:7]
	s_delay_alu instid0(VALU_DEP_1)
	v_and_b32_e32 v6, 7, v64
; %bb.504:                              ;   in Loop: Header=BB245_483 Depth=1
	s_or_b32 exec_lo, exec_lo, s13
	v_lshlrev_b32_e32 v17, 24, v54
	s_delay_alu instid0(VALU_DEP_2) | instskip(SKIP_1) | instid1(VALU_DEP_3)
	v_lshlrev_b32_e32 v6, 20, v6
	v_lshl_add_u32 v16, v16, 23, 0x3c000000
	v_and_b32_e32 v17, 0x80000000, v17
	s_delay_alu instid0(VALU_DEP_1) | instskip(NEXT) | instid1(VALU_DEP_1)
	v_or3_b32 v6, v6, v17, v16
	v_dual_mov_b32 v17, v7 :: v_dual_mov_b32 v16, v6
.LBB245_505:                            ;   in Loop: Header=BB245_483 Depth=1
	s_or_b32 exec_lo, exec_lo, s12
.LBB245_506:                            ;   in Loop: Header=BB245_483 Depth=1
	s_delay_alu instid0(SALU_CYCLE_1)
	s_or_b32 exec_lo, exec_lo, s10
.LBB245_507:                            ;   in Loop: Header=BB245_483 Depth=1
	s_delay_alu instid0(SALU_CYCLE_1) | instskip(NEXT) | instid1(SALU_CYCLE_1)
	s_or_b32 exec_lo, exec_lo, s0
	s_mov_b32 s0, exec_lo
	v_cmpx_lt_u32_e32 0xffffff, v53
	s_cbranch_execz .LBB245_515
; %bb.508:                              ;   in Loop: Header=BB245_483 Depth=1
	v_lshrrev_b32_e32 v54, 24, v53
	v_dual_mov_b32 v19, s9 :: v_dual_mov_b32 v18, s8
	s_mov_b32 s12, exec_lo
	s_delay_alu instid0(VALU_DEP_2)
	v_cmpx_ne_u32_e32 0x80, v54
	s_cbranch_execz .LBB245_514
; %bb.509:                              ;   in Loop: Header=BB245_483 Depth=1
	s_mov_b32 s10, s8
	v_bfe_u32 v53, v53, 24, 7
	v_dual_mov_b32 v19, s11 :: v_dual_mov_b32 v18, s10
	s_mov_b32 s10, exec_lo
	s_delay_alu instid0(VALU_DEP_2)
	v_cmpx_ne_u32_e32 0x7f, v53
	s_cbranch_execz .LBB245_513
; %bb.510:                              ;   in Loop: Header=BB245_483 Depth=1
	v_and_b32_e32 v6, 7, v54
	v_lshrrev_b32_e32 v18, 3, v53
	s_mov_b32 s13, exec_lo
	v_cmpx_gt_u32_e32 8, v53
; %bb.511:                              ;   in Loop: Header=BB245_483 Depth=1
	s_delay_alu instid0(VALU_DEP_3) | instskip(NEXT) | instid1(VALU_DEP_1)
	v_clz_i32_u32_e32 v18, v6
	v_min_u32_e32 v18, 32, v18
	s_delay_alu instid0(VALU_DEP_1) | instskip(SKIP_1) | instid1(VALU_DEP_2)
	v_subrev_nc_u32_e32 v19, 28, v18
	v_sub_nc_u32_e32 v18, 29, v18
	v_lshlrev_b64 v[64:65], v19, v[6:7]
	s_delay_alu instid0(VALU_DEP_1)
	v_and_b32_e32 v6, 7, v64
; %bb.512:                              ;   in Loop: Header=BB245_483 Depth=1
	s_or_b32 exec_lo, exec_lo, s13
	v_lshlrev_b32_e32 v19, 24, v54
	s_delay_alu instid0(VALU_DEP_2) | instskip(SKIP_1) | instid1(VALU_DEP_3)
	v_lshlrev_b32_e32 v6, 20, v6
	v_lshl_add_u32 v18, v18, 23, 0x3c000000
	v_and_b32_e32 v19, 0x80000000, v19
	s_delay_alu instid0(VALU_DEP_1)
	v_or3_b32 v19, v6, v19, v18
	v_mov_b32_e32 v18, v7
.LBB245_513:                            ;   in Loop: Header=BB245_483 Depth=1
	s_or_b32 exec_lo, exec_lo, s10
.LBB245_514:                            ;   in Loop: Header=BB245_483 Depth=1
	s_delay_alu instid0(SALU_CYCLE_1)
	s_or_b32 exec_lo, exec_lo, s12
.LBB245_515:                            ;   in Loop: Header=BB245_483 Depth=1
	s_delay_alu instid0(SALU_CYCLE_1)
	s_or_b32 exec_lo, exec_lo, s0
	v_or_b32_e32 v5, v15, v5
	v_or_b32_e32 v4, v14, v4
	;; [unrolled: 1-line block ×4, first 2 shown]
	v_add_nc_u32_e32 v65, -3, v21
	v_cmp_eq_u32_e32 vcc_lo, v50, v20
	v_dual_mul_f32 v64, v52, v5 :: v_dual_mul_f32 v55, v49, v4
	v_dual_mul_f32 v53, v52, v6 :: v_dual_add_nc_u32 v66, -1, v21
	v_dual_mul_f32 v54, v49, v14 :: v_dual_add_nc_u32 v67, -2, v21
	s_and_saveexec_b32 s10, vcc_lo
; %bb.516:                              ;   in Loop: Header=BB245_483 Depth=1
	v_cmp_lt_i32_e64 s0, v65, v128
	s_delay_alu instid0(VALU_DEP_1) | instskip(NEXT) | instid1(VALU_DEP_3)
	v_cndmask_b32_e64 v55, 0, v55, s0
	v_cmp_lt_i32_e64 s0, v67, v128
	s_delay_alu instid0(VALU_DEP_1) | instskip(SKIP_1) | instid1(VALU_DEP_1)
	v_cndmask_b32_e64 v64, 0, v64, s0
	v_cmp_lt_i32_e64 s0, v66, v128
	v_cndmask_b32_e64 v54, 0, v54, s0
	v_cmp_lt_i32_e64 s0, v21, v128
	s_delay_alu instid0(VALU_DEP_1)
	v_cndmask_b32_e64 v53, 0, v53, s0
; %bb.517:                              ;   in Loop: Header=BB245_483 Depth=1
	s_or_b32 exec_lo, exec_lo, s10
	flat_load_b32 v68, v[12:13] offset:128
	v_mov_b32_e32 v14, 0
	v_mov_b32_e32 v15, 0
	s_mov_b32 s10, exec_lo
	s_waitcnt vmcnt(0) lgkmcnt(0)
	v_and_b32_e32 v6, 0xff, v68
	s_delay_alu instid0(VALU_DEP_2) | instskip(NEXT) | instid1(VALU_DEP_2)
	v_dual_mov_b32 v4, v14 :: v_dual_mov_b32 v5, v15
	v_cmpx_ne_u16_e32 0, v6
	s_cbranch_execz .LBB245_525
; %bb.518:                              ;   in Loop: Header=BB245_483 Depth=1
	v_bfrev_b32_e32 v4, 1
	v_mov_b32_e32 v5, 0
	s_mov_b32 s12, exec_lo
	v_cmpx_ne_u16_e32 0x80, v6
	s_cbranch_execz .LBB245_524
; %bb.519:                              ;   in Loop: Header=BB245_483 Depth=1
	v_mov_b32_e32 v4, 0x7f800001
	v_dual_mov_b32 v5, 0 :: v_dual_and_b32 v16, 0x7f, v68
	s_mov_b32 s13, exec_lo
	s_delay_alu instid0(VALU_DEP_1)
	v_cmpx_ne_u32_e32 0x7f, v16
	s_cbranch_execz .LBB245_523
; %bb.520:                              ;   in Loop: Header=BB245_483 Depth=1
	v_and_b32_e32 v6, 7, v68
	v_lshrrev_b32_e32 v4, 3, v16
	s_mov_b32 s15, exec_lo
	v_cmpx_gt_u32_e32 8, v16
; %bb.521:                              ;   in Loop: Header=BB245_483 Depth=1
	s_delay_alu instid0(VALU_DEP_3) | instskip(NEXT) | instid1(VALU_DEP_1)
	v_clz_i32_u32_e32 v4, v6
	v_min_u32_e32 v4, 32, v4
	s_delay_alu instid0(VALU_DEP_1) | instskip(SKIP_1) | instid1(VALU_DEP_2)
	v_subrev_nc_u32_e32 v5, 28, v4
	v_sub_nc_u32_e32 v4, 29, v4
	v_lshlrev_b64 v[5:6], v5, v[6:7]
	s_delay_alu instid0(VALU_DEP_1)
	v_and_b32_e32 v6, 7, v5
; %bb.522:                              ;   in Loop: Header=BB245_483 Depth=1
	s_or_b32 exec_lo, exec_lo, s15
	v_lshlrev_b32_e32 v5, 24, v68
	s_delay_alu instid0(VALU_DEP_2) | instskip(SKIP_1) | instid1(VALU_DEP_3)
	v_lshlrev_b32_e32 v6, 20, v6
	v_lshl_add_u32 v4, v4, 23, 0x3c000000
	v_and_b32_e32 v5, 0x80000000, v5
	s_delay_alu instid0(VALU_DEP_1) | instskip(NEXT) | instid1(VALU_DEP_1)
	v_or3_b32 v6, v6, v5, v4
	v_dual_mov_b32 v4, v6 :: v_dual_mov_b32 v5, v7
.LBB245_523:                            ;   in Loop: Header=BB245_483 Depth=1
	s_or_b32 exec_lo, exec_lo, s13
.LBB245_524:                            ;   in Loop: Header=BB245_483 Depth=1
	s_delay_alu instid0(SALU_CYCLE_1)
	s_or_b32 exec_lo, exec_lo, s12
.LBB245_525:                            ;   in Loop: Header=BB245_483 Depth=1
	s_delay_alu instid0(SALU_CYCLE_1) | instskip(SKIP_2) | instid1(VALU_DEP_1)
	s_or_b32 exec_lo, exec_lo, s10
	v_lshrrev_b16 v6, 8, v68
	s_mov_b32 s12, exec_lo
	v_cmpx_ne_u16_e32 0, v6
	s_cbranch_execz .LBB245_533
; %bb.526:                              ;   in Loop: Header=BB245_483 Depth=1
	v_dual_mov_b32 v15, s9 :: v_dual_mov_b32 v14, s8
	s_mov_b32 s13, exec_lo
	v_cmpx_ne_u16_e32 0x80, v6
	s_cbranch_execz .LBB245_532
; %bb.527:                              ;   in Loop: Header=BB245_483 Depth=1
	s_mov_b32 s10, s8
	v_dual_mov_b32 v15, s11 :: v_dual_and_b32 v6, 0xffff, v6
	v_mov_b32_e32 v14, s10
	s_mov_b32 s10, exec_lo
	s_delay_alu instid0(VALU_DEP_2) | instskip(NEXT) | instid1(VALU_DEP_1)
	v_and_b32_e32 v16, 0x7f, v6
	v_cmpx_ne_u32_e32 0x7f, v16
	s_cbranch_execz .LBB245_531
; %bb.528:                              ;   in Loop: Header=BB245_483 Depth=1
	v_and_b32_e32 v6, 7, v6
	v_lshrrev_b32_e32 v14, 3, v16
	s_mov_b32 s15, exec_lo
	v_cmpx_gt_u32_e32 8, v16
; %bb.529:                              ;   in Loop: Header=BB245_483 Depth=1
	s_delay_alu instid0(VALU_DEP_3) | instskip(NEXT) | instid1(VALU_DEP_1)
	v_clz_i32_u32_e32 v14, v6
	v_min_u32_e32 v14, 32, v14
	s_delay_alu instid0(VALU_DEP_1) | instskip(SKIP_1) | instid1(VALU_DEP_2)
	v_subrev_nc_u32_e32 v15, 28, v14
	v_sub_nc_u32_e32 v14, 29, v14
	v_lshlrev_b64 v[15:16], v15, v[6:7]
	s_delay_alu instid0(VALU_DEP_1)
	v_and_b32_e32 v6, 7, v15
; %bb.530:                              ;   in Loop: Header=BB245_483 Depth=1
	s_or_b32 exec_lo, exec_lo, s15
	v_lshlrev_b32_e32 v15, 16, v68
	s_delay_alu instid0(VALU_DEP_2) | instskip(SKIP_1) | instid1(VALU_DEP_3)
	v_lshlrev_b32_e32 v6, 20, v6
	v_lshl_add_u32 v14, v14, 23, 0x3c000000
	v_and_b32_e32 v15, 0x80000000, v15
	s_delay_alu instid0(VALU_DEP_1)
	v_or3_b32 v15, v6, v15, v14
	v_mov_b32_e32 v14, v7
.LBB245_531:                            ;   in Loop: Header=BB245_483 Depth=1
	s_or_b32 exec_lo, exec_lo, s10
.LBB245_532:                            ;   in Loop: Header=BB245_483 Depth=1
	s_delay_alu instid0(SALU_CYCLE_1)
	s_or_b32 exec_lo, exec_lo, s13
.LBB245_533:                            ;   in Loop: Header=BB245_483 Depth=1
	s_delay_alu instid0(SALU_CYCLE_1) | instskip(SKIP_4) | instid1(VALU_DEP_2)
	s_or_b32 exec_lo, exec_lo, s12
	v_mov_b32_e32 v18, 0
	v_lshrrev_b32_e32 v69, 16, v68
	v_mov_b32_e32 v19, 0
	s_mov_b32 s10, exec_lo
	v_and_b32_e32 v6, 0xff, v69
	s_delay_alu instid0(VALU_DEP_2) | instskip(NEXT) | instid1(VALU_DEP_2)
	v_dual_mov_b32 v16, v18 :: v_dual_mov_b32 v17, v19
	v_cmpx_ne_u16_e32 0, v6
	s_cbranch_execz .LBB245_541
; %bb.534:                              ;   in Loop: Header=BB245_483 Depth=1
	v_bfrev_b32_e32 v16, 1
	v_mov_b32_e32 v17, 0
	s_mov_b32 s12, exec_lo
	v_cmpx_ne_u16_e32 0x80, v6
	s_cbranch_execz .LBB245_540
; %bb.535:                              ;   in Loop: Header=BB245_483 Depth=1
	v_mov_b32_e32 v16, 0x7f800001
	v_bfe_u32 v70, v68, 16, 7
	v_mov_b32_e32 v17, 0
	s_mov_b32 s13, exec_lo
	s_delay_alu instid0(VALU_DEP_2)
	v_cmpx_ne_u32_e32 0x7f, v70
	s_cbranch_execz .LBB245_539
; %bb.536:                              ;   in Loop: Header=BB245_483 Depth=1
	v_and_b32_e32 v6, 7, v69
	v_lshrrev_b32_e32 v16, 3, v70
	s_mov_b32 s15, exec_lo
	v_cmpx_gt_u32_e32 8, v70
; %bb.537:                              ;   in Loop: Header=BB245_483 Depth=1
	s_delay_alu instid0(VALU_DEP_3) | instskip(NEXT) | instid1(VALU_DEP_1)
	v_clz_i32_u32_e32 v16, v6
	v_min_u32_e32 v16, 32, v16
	s_delay_alu instid0(VALU_DEP_1) | instskip(SKIP_1) | instid1(VALU_DEP_2)
	v_subrev_nc_u32_e32 v17, 28, v16
	v_sub_nc_u32_e32 v16, 29, v16
	v_lshlrev_b64 v[70:71], v17, v[6:7]
	s_delay_alu instid0(VALU_DEP_1)
	v_and_b32_e32 v6, 7, v70
; %bb.538:                              ;   in Loop: Header=BB245_483 Depth=1
	s_or_b32 exec_lo, exec_lo, s15
	v_lshlrev_b32_e32 v17, 24, v69
	s_delay_alu instid0(VALU_DEP_2) | instskip(SKIP_1) | instid1(VALU_DEP_3)
	v_lshlrev_b32_e32 v6, 20, v6
	v_lshl_add_u32 v16, v16, 23, 0x3c000000
	v_and_b32_e32 v17, 0x80000000, v17
	s_delay_alu instid0(VALU_DEP_1) | instskip(NEXT) | instid1(VALU_DEP_1)
	v_or3_b32 v6, v6, v17, v16
	v_dual_mov_b32 v17, v7 :: v_dual_mov_b32 v16, v6
.LBB245_539:                            ;   in Loop: Header=BB245_483 Depth=1
	s_or_b32 exec_lo, exec_lo, s13
.LBB245_540:                            ;   in Loop: Header=BB245_483 Depth=1
	s_delay_alu instid0(SALU_CYCLE_1)
	s_or_b32 exec_lo, exec_lo, s12
.LBB245_541:                            ;   in Loop: Header=BB245_483 Depth=1
	s_delay_alu instid0(SALU_CYCLE_1) | instskip(NEXT) | instid1(SALU_CYCLE_1)
	s_or_b32 exec_lo, exec_lo, s10
	s_mov_b32 s12, exec_lo
	v_cmpx_lt_u32_e32 0xffffff, v68
	s_cbranch_execz .LBB245_549
; %bb.542:                              ;   in Loop: Header=BB245_483 Depth=1
	v_lshrrev_b32_e32 v69, 24, v68
	v_dual_mov_b32 v19, s9 :: v_dual_mov_b32 v18, s8
	s_mov_b32 s13, exec_lo
	s_delay_alu instid0(VALU_DEP_2)
	v_cmpx_ne_u32_e32 0x80, v69
	s_cbranch_execz .LBB245_548
; %bb.543:                              ;   in Loop: Header=BB245_483 Depth=1
	s_mov_b32 s10, s8
	v_bfe_u32 v68, v68, 24, 7
	v_dual_mov_b32 v19, s11 :: v_dual_mov_b32 v18, s10
	s_mov_b32 s10, exec_lo
	s_delay_alu instid0(VALU_DEP_2)
	v_cmpx_ne_u32_e32 0x7f, v68
	s_cbranch_execz .LBB245_547
; %bb.544:                              ;   in Loop: Header=BB245_483 Depth=1
	v_and_b32_e32 v6, 7, v69
	v_lshrrev_b32_e32 v18, 3, v68
	s_mov_b32 s15, exec_lo
	v_cmpx_gt_u32_e32 8, v68
; %bb.545:                              ;   in Loop: Header=BB245_483 Depth=1
	s_delay_alu instid0(VALU_DEP_3) | instskip(NEXT) | instid1(VALU_DEP_1)
	v_clz_i32_u32_e32 v18, v6
	v_min_u32_e32 v18, 32, v18
	s_delay_alu instid0(VALU_DEP_1) | instskip(SKIP_1) | instid1(VALU_DEP_2)
	v_subrev_nc_u32_e32 v19, 28, v18
	v_sub_nc_u32_e32 v18, 29, v18
	v_lshlrev_b64 v[70:71], v19, v[6:7]
	s_delay_alu instid0(VALU_DEP_1)
	v_and_b32_e32 v6, 7, v70
; %bb.546:                              ;   in Loop: Header=BB245_483 Depth=1
	s_or_b32 exec_lo, exec_lo, s15
	v_lshlrev_b32_e32 v19, 24, v69
	s_delay_alu instid0(VALU_DEP_2) | instskip(SKIP_1) | instid1(VALU_DEP_3)
	v_lshlrev_b32_e32 v6, 20, v6
	v_lshl_add_u32 v18, v18, 23, 0x3c000000
	v_and_b32_e32 v19, 0x80000000, v19
	s_delay_alu instid0(VALU_DEP_1)
	v_or3_b32 v19, v6, v19, v18
	v_mov_b32_e32 v18, v7
.LBB245_547:                            ;   in Loop: Header=BB245_483 Depth=1
	s_or_b32 exec_lo, exec_lo, s10
.LBB245_548:                            ;   in Loop: Header=BB245_483 Depth=1
	s_delay_alu instid0(SALU_CYCLE_1)
	s_or_b32 exec_lo, exec_lo, s13
.LBB245_549:                            ;   in Loop: Header=BB245_483 Depth=1
	s_delay_alu instid0(SALU_CYCLE_1) | instskip(SKIP_4) | instid1(VALU_DEP_3)
	s_or_b32 exec_lo, exec_lo, s12
	v_or_b32_e32 v5, v15, v5
	v_or_b32_e32 v4, v14, v4
	;; [unrolled: 1-line block ×4, first 2 shown]
	v_dual_mul_f32 v71, v52, v5 :: v_dual_mul_f32 v70, v49, v4
	s_delay_alu instid0(VALU_DEP_3) | instskip(NEXT) | instid1(VALU_DEP_3)
	v_mul_f32_e32 v68, v52, v6
	v_mul_f32_e32 v69, v49, v14
	s_and_saveexec_b32 s10, vcc_lo
; %bb.550:                              ;   in Loop: Header=BB245_483 Depth=1
	v_cmp_lt_i32_e64 s0, v65, v128
	s_delay_alu instid0(VALU_DEP_1) | instskip(SKIP_1) | instid1(VALU_DEP_1)
	v_cndmask_b32_e64 v70, 0, v70, s0
	v_cmp_lt_i32_e64 s0, v67, v128
	v_cndmask_b32_e64 v71, 0, v71, s0
	v_cmp_lt_i32_e64 s0, v66, v128
	s_delay_alu instid0(VALU_DEP_1) | instskip(SKIP_1) | instid1(VALU_DEP_1)
	v_cndmask_b32_e64 v69, 0, v69, s0
	v_cmp_lt_i32_e64 s0, v21, v128
	v_cndmask_b32_e64 v68, 0, v68, s0
; %bb.551:                              ;   in Loop: Header=BB245_483 Depth=1
	s_or_b32 exec_lo, exec_lo, s10
	flat_load_b32 v80, v[12:13] offset:256
	v_mov_b32_e32 v14, 0
	v_mov_b32_e32 v15, 0
	s_mov_b32 s10, exec_lo
	s_waitcnt vmcnt(0) lgkmcnt(0)
	v_and_b32_e32 v6, 0xff, v80
	s_delay_alu instid0(VALU_DEP_2) | instskip(NEXT) | instid1(VALU_DEP_2)
	v_dual_mov_b32 v4, v14 :: v_dual_mov_b32 v5, v15
	v_cmpx_ne_u16_e32 0, v6
	s_cbranch_execz .LBB245_559
; %bb.552:                              ;   in Loop: Header=BB245_483 Depth=1
	v_bfrev_b32_e32 v4, 1
	v_mov_b32_e32 v5, 0
	s_mov_b32 s12, exec_lo
	v_cmpx_ne_u16_e32 0x80, v6
	s_cbranch_execz .LBB245_558
; %bb.553:                              ;   in Loop: Header=BB245_483 Depth=1
	v_mov_b32_e32 v4, 0x7f800001
	v_dual_mov_b32 v5, 0 :: v_dual_and_b32 v16, 0x7f, v80
	s_mov_b32 s13, exec_lo
	s_delay_alu instid0(VALU_DEP_1)
	v_cmpx_ne_u32_e32 0x7f, v16
	s_cbranch_execz .LBB245_557
; %bb.554:                              ;   in Loop: Header=BB245_483 Depth=1
	v_and_b32_e32 v6, 7, v80
	v_lshrrev_b32_e32 v4, 3, v16
	s_mov_b32 s15, exec_lo
	v_cmpx_gt_u32_e32 8, v16
; %bb.555:                              ;   in Loop: Header=BB245_483 Depth=1
	s_delay_alu instid0(VALU_DEP_3) | instskip(NEXT) | instid1(VALU_DEP_1)
	v_clz_i32_u32_e32 v4, v6
	v_min_u32_e32 v4, 32, v4
	s_delay_alu instid0(VALU_DEP_1) | instskip(SKIP_1) | instid1(VALU_DEP_2)
	v_subrev_nc_u32_e32 v5, 28, v4
	v_sub_nc_u32_e32 v4, 29, v4
	v_lshlrev_b64 v[5:6], v5, v[6:7]
	s_delay_alu instid0(VALU_DEP_1)
	v_and_b32_e32 v6, 7, v5
; %bb.556:                              ;   in Loop: Header=BB245_483 Depth=1
	s_or_b32 exec_lo, exec_lo, s15
	v_lshlrev_b32_e32 v5, 24, v80
	s_delay_alu instid0(VALU_DEP_2) | instskip(SKIP_1) | instid1(VALU_DEP_3)
	v_lshlrev_b32_e32 v6, 20, v6
	v_lshl_add_u32 v4, v4, 23, 0x3c000000
	v_and_b32_e32 v5, 0x80000000, v5
	s_delay_alu instid0(VALU_DEP_1) | instskip(NEXT) | instid1(VALU_DEP_1)
	v_or3_b32 v6, v6, v5, v4
	v_dual_mov_b32 v4, v6 :: v_dual_mov_b32 v5, v7
.LBB245_557:                            ;   in Loop: Header=BB245_483 Depth=1
	s_or_b32 exec_lo, exec_lo, s13
.LBB245_558:                            ;   in Loop: Header=BB245_483 Depth=1
	s_delay_alu instid0(SALU_CYCLE_1)
	s_or_b32 exec_lo, exec_lo, s12
.LBB245_559:                            ;   in Loop: Header=BB245_483 Depth=1
	s_delay_alu instid0(SALU_CYCLE_1) | instskip(SKIP_2) | instid1(VALU_DEP_1)
	s_or_b32 exec_lo, exec_lo, s10
	v_lshrrev_b16 v6, 8, v80
	s_mov_b32 s12, exec_lo
	v_cmpx_ne_u16_e32 0, v6
	s_cbranch_execz .LBB245_567
; %bb.560:                              ;   in Loop: Header=BB245_483 Depth=1
	v_dual_mov_b32 v15, s9 :: v_dual_mov_b32 v14, s8
	s_mov_b32 s13, exec_lo
	v_cmpx_ne_u16_e32 0x80, v6
	s_cbranch_execz .LBB245_566
; %bb.561:                              ;   in Loop: Header=BB245_483 Depth=1
	s_mov_b32 s10, s8
	v_dual_mov_b32 v15, s11 :: v_dual_and_b32 v6, 0xffff, v6
	v_mov_b32_e32 v14, s10
	s_mov_b32 s10, exec_lo
	s_delay_alu instid0(VALU_DEP_2) | instskip(NEXT) | instid1(VALU_DEP_1)
	v_and_b32_e32 v16, 0x7f, v6
	v_cmpx_ne_u32_e32 0x7f, v16
	s_cbranch_execz .LBB245_565
; %bb.562:                              ;   in Loop: Header=BB245_483 Depth=1
	v_and_b32_e32 v6, 7, v6
	v_lshrrev_b32_e32 v14, 3, v16
	s_mov_b32 s15, exec_lo
	v_cmpx_gt_u32_e32 8, v16
; %bb.563:                              ;   in Loop: Header=BB245_483 Depth=1
	s_delay_alu instid0(VALU_DEP_3) | instskip(NEXT) | instid1(VALU_DEP_1)
	v_clz_i32_u32_e32 v14, v6
	v_min_u32_e32 v14, 32, v14
	s_delay_alu instid0(VALU_DEP_1) | instskip(SKIP_1) | instid1(VALU_DEP_2)
	v_subrev_nc_u32_e32 v15, 28, v14
	v_sub_nc_u32_e32 v14, 29, v14
	v_lshlrev_b64 v[15:16], v15, v[6:7]
	s_delay_alu instid0(VALU_DEP_1)
	v_and_b32_e32 v6, 7, v15
; %bb.564:                              ;   in Loop: Header=BB245_483 Depth=1
	s_or_b32 exec_lo, exec_lo, s15
	v_lshlrev_b32_e32 v15, 16, v80
	s_delay_alu instid0(VALU_DEP_2) | instskip(SKIP_1) | instid1(VALU_DEP_3)
	v_lshlrev_b32_e32 v6, 20, v6
	v_lshl_add_u32 v14, v14, 23, 0x3c000000
	v_and_b32_e32 v15, 0x80000000, v15
	s_delay_alu instid0(VALU_DEP_1)
	v_or3_b32 v15, v6, v15, v14
	v_mov_b32_e32 v14, v7
.LBB245_565:                            ;   in Loop: Header=BB245_483 Depth=1
	s_or_b32 exec_lo, exec_lo, s10
.LBB245_566:                            ;   in Loop: Header=BB245_483 Depth=1
	s_delay_alu instid0(SALU_CYCLE_1)
	s_or_b32 exec_lo, exec_lo, s13
.LBB245_567:                            ;   in Loop: Header=BB245_483 Depth=1
	s_delay_alu instid0(SALU_CYCLE_1) | instskip(SKIP_4) | instid1(VALU_DEP_2)
	s_or_b32 exec_lo, exec_lo, s12
	v_mov_b32_e32 v18, 0
	v_lshrrev_b32_e32 v81, 16, v80
	v_mov_b32_e32 v19, 0
	s_mov_b32 s10, exec_lo
	v_and_b32_e32 v6, 0xff, v81
	s_delay_alu instid0(VALU_DEP_2) | instskip(NEXT) | instid1(VALU_DEP_2)
	v_dual_mov_b32 v16, v18 :: v_dual_mov_b32 v17, v19
	v_cmpx_ne_u16_e32 0, v6
	s_cbranch_execz .LBB245_575
; %bb.568:                              ;   in Loop: Header=BB245_483 Depth=1
	v_bfrev_b32_e32 v16, 1
	v_mov_b32_e32 v17, 0
	s_mov_b32 s12, exec_lo
	v_cmpx_ne_u16_e32 0x80, v6
	s_cbranch_execz .LBB245_574
; %bb.569:                              ;   in Loop: Header=BB245_483 Depth=1
	v_mov_b32_e32 v16, 0x7f800001
	v_bfe_u32 v82, v80, 16, 7
	v_mov_b32_e32 v17, 0
	s_mov_b32 s13, exec_lo
	s_delay_alu instid0(VALU_DEP_2)
	v_cmpx_ne_u32_e32 0x7f, v82
	s_cbranch_execz .LBB245_573
; %bb.570:                              ;   in Loop: Header=BB245_483 Depth=1
	v_and_b32_e32 v6, 7, v81
	v_lshrrev_b32_e32 v16, 3, v82
	s_mov_b32 s15, exec_lo
	v_cmpx_gt_u32_e32 8, v82
; %bb.571:                              ;   in Loop: Header=BB245_483 Depth=1
	s_delay_alu instid0(VALU_DEP_3) | instskip(NEXT) | instid1(VALU_DEP_1)
	v_clz_i32_u32_e32 v16, v6
	v_min_u32_e32 v16, 32, v16
	s_delay_alu instid0(VALU_DEP_1) | instskip(SKIP_1) | instid1(VALU_DEP_2)
	v_subrev_nc_u32_e32 v17, 28, v16
	v_sub_nc_u32_e32 v16, 29, v16
	v_lshlrev_b64 v[82:83], v17, v[6:7]
	s_delay_alu instid0(VALU_DEP_1)
	v_and_b32_e32 v6, 7, v82
; %bb.572:                              ;   in Loop: Header=BB245_483 Depth=1
	s_or_b32 exec_lo, exec_lo, s15
	v_lshlrev_b32_e32 v17, 24, v81
	s_delay_alu instid0(VALU_DEP_2) | instskip(SKIP_1) | instid1(VALU_DEP_3)
	v_lshlrev_b32_e32 v6, 20, v6
	v_lshl_add_u32 v16, v16, 23, 0x3c000000
	v_and_b32_e32 v17, 0x80000000, v17
	s_delay_alu instid0(VALU_DEP_1) | instskip(NEXT) | instid1(VALU_DEP_1)
	v_or3_b32 v6, v6, v17, v16
	v_dual_mov_b32 v17, v7 :: v_dual_mov_b32 v16, v6
.LBB245_573:                            ;   in Loop: Header=BB245_483 Depth=1
	s_or_b32 exec_lo, exec_lo, s13
.LBB245_574:                            ;   in Loop: Header=BB245_483 Depth=1
	s_delay_alu instid0(SALU_CYCLE_1)
	s_or_b32 exec_lo, exec_lo, s12
.LBB245_575:                            ;   in Loop: Header=BB245_483 Depth=1
	s_delay_alu instid0(SALU_CYCLE_1) | instskip(NEXT) | instid1(SALU_CYCLE_1)
	s_or_b32 exec_lo, exec_lo, s10
	s_mov_b32 s12, exec_lo
	v_cmpx_lt_u32_e32 0xffffff, v80
	s_cbranch_execz .LBB245_583
; %bb.576:                              ;   in Loop: Header=BB245_483 Depth=1
	v_lshrrev_b32_e32 v81, 24, v80
	v_dual_mov_b32 v19, s9 :: v_dual_mov_b32 v18, s8
	s_mov_b32 s13, exec_lo
	s_delay_alu instid0(VALU_DEP_2)
	v_cmpx_ne_u32_e32 0x80, v81
	s_cbranch_execz .LBB245_582
; %bb.577:                              ;   in Loop: Header=BB245_483 Depth=1
	s_mov_b32 s10, s8
	v_bfe_u32 v80, v80, 24, 7
	v_dual_mov_b32 v19, s11 :: v_dual_mov_b32 v18, s10
	s_mov_b32 s10, exec_lo
	s_delay_alu instid0(VALU_DEP_2)
	v_cmpx_ne_u32_e32 0x7f, v80
	s_cbranch_execz .LBB245_581
; %bb.578:                              ;   in Loop: Header=BB245_483 Depth=1
	v_and_b32_e32 v6, 7, v81
	v_lshrrev_b32_e32 v18, 3, v80
	s_mov_b32 s15, exec_lo
	v_cmpx_gt_u32_e32 8, v80
; %bb.579:                              ;   in Loop: Header=BB245_483 Depth=1
	s_delay_alu instid0(VALU_DEP_3) | instskip(NEXT) | instid1(VALU_DEP_1)
	v_clz_i32_u32_e32 v18, v6
	v_min_u32_e32 v18, 32, v18
	s_delay_alu instid0(VALU_DEP_1) | instskip(SKIP_1) | instid1(VALU_DEP_2)
	v_subrev_nc_u32_e32 v19, 28, v18
	v_sub_nc_u32_e32 v18, 29, v18
	v_lshlrev_b64 v[82:83], v19, v[6:7]
	s_delay_alu instid0(VALU_DEP_1)
	v_and_b32_e32 v6, 7, v82
; %bb.580:                              ;   in Loop: Header=BB245_483 Depth=1
	s_or_b32 exec_lo, exec_lo, s15
	v_lshlrev_b32_e32 v19, 24, v81
	s_delay_alu instid0(VALU_DEP_2) | instskip(SKIP_1) | instid1(VALU_DEP_3)
	v_lshlrev_b32_e32 v6, 20, v6
	v_lshl_add_u32 v18, v18, 23, 0x3c000000
	v_and_b32_e32 v19, 0x80000000, v19
	s_delay_alu instid0(VALU_DEP_1)
	v_or3_b32 v19, v6, v19, v18
	v_mov_b32_e32 v18, v7
.LBB245_581:                            ;   in Loop: Header=BB245_483 Depth=1
	s_or_b32 exec_lo, exec_lo, s10
.LBB245_582:                            ;   in Loop: Header=BB245_483 Depth=1
	s_delay_alu instid0(SALU_CYCLE_1)
	s_or_b32 exec_lo, exec_lo, s13
.LBB245_583:                            ;   in Loop: Header=BB245_483 Depth=1
	s_delay_alu instid0(SALU_CYCLE_1) | instskip(SKIP_4) | instid1(VALU_DEP_3)
	s_or_b32 exec_lo, exec_lo, s12
	v_or_b32_e32 v5, v15, v5
	v_or_b32_e32 v4, v14, v4
	;; [unrolled: 1-line block ×4, first 2 shown]
	v_dual_mul_f32 v83, v52, v5 :: v_dual_mul_f32 v82, v49, v4
	s_delay_alu instid0(VALU_DEP_3) | instskip(NEXT) | instid1(VALU_DEP_3)
	v_mul_f32_e32 v80, v52, v6
	v_mul_f32_e32 v81, v49, v14
	s_and_saveexec_b32 s10, vcc_lo
; %bb.584:                              ;   in Loop: Header=BB245_483 Depth=1
	v_cmp_lt_i32_e64 s0, v65, v128
	s_delay_alu instid0(VALU_DEP_1) | instskip(SKIP_1) | instid1(VALU_DEP_1)
	v_cndmask_b32_e64 v82, 0, v82, s0
	v_cmp_lt_i32_e64 s0, v67, v128
	v_cndmask_b32_e64 v83, 0, v83, s0
	v_cmp_lt_i32_e64 s0, v66, v128
	s_delay_alu instid0(VALU_DEP_1) | instskip(SKIP_1) | instid1(VALU_DEP_1)
	v_cndmask_b32_e64 v81, 0, v81, s0
	v_cmp_lt_i32_e64 s0, v21, v128
	v_cndmask_b32_e64 v80, 0, v80, s0
; %bb.585:                              ;   in Loop: Header=BB245_483 Depth=1
	s_or_b32 exec_lo, exec_lo, s10
	flat_load_b32 v84, v[12:13] offset:384
	v_mov_b32_e32 v14, 0
	v_mov_b32_e32 v15, 0
	s_mov_b32 s10, exec_lo
	s_waitcnt vmcnt(0) lgkmcnt(0)
	v_and_b32_e32 v6, 0xff, v84
	s_delay_alu instid0(VALU_DEP_2) | instskip(NEXT) | instid1(VALU_DEP_2)
	v_dual_mov_b32 v4, v14 :: v_dual_mov_b32 v5, v15
	v_cmpx_ne_u16_e32 0, v6
	s_cbranch_execz .LBB245_593
; %bb.586:                              ;   in Loop: Header=BB245_483 Depth=1
	v_bfrev_b32_e32 v4, 1
	v_mov_b32_e32 v5, 0
	s_mov_b32 s12, exec_lo
	v_cmpx_ne_u16_e32 0x80, v6
	s_cbranch_execz .LBB245_592
; %bb.587:                              ;   in Loop: Header=BB245_483 Depth=1
	v_mov_b32_e32 v4, 0x7f800001
	v_dual_mov_b32 v5, 0 :: v_dual_and_b32 v16, 0x7f, v84
	s_mov_b32 s13, exec_lo
	s_delay_alu instid0(VALU_DEP_1)
	v_cmpx_ne_u32_e32 0x7f, v16
	s_cbranch_execz .LBB245_591
; %bb.588:                              ;   in Loop: Header=BB245_483 Depth=1
	v_and_b32_e32 v6, 7, v84
	v_lshrrev_b32_e32 v4, 3, v16
	s_mov_b32 s15, exec_lo
	v_cmpx_gt_u32_e32 8, v16
; %bb.589:                              ;   in Loop: Header=BB245_483 Depth=1
	s_delay_alu instid0(VALU_DEP_3) | instskip(NEXT) | instid1(VALU_DEP_1)
	v_clz_i32_u32_e32 v4, v6
	v_min_u32_e32 v4, 32, v4
	s_delay_alu instid0(VALU_DEP_1) | instskip(SKIP_1) | instid1(VALU_DEP_2)
	v_subrev_nc_u32_e32 v5, 28, v4
	v_sub_nc_u32_e32 v4, 29, v4
	v_lshlrev_b64 v[5:6], v5, v[6:7]
	s_delay_alu instid0(VALU_DEP_1)
	v_and_b32_e32 v6, 7, v5
; %bb.590:                              ;   in Loop: Header=BB245_483 Depth=1
	s_or_b32 exec_lo, exec_lo, s15
	v_lshlrev_b32_e32 v5, 24, v84
	s_delay_alu instid0(VALU_DEP_2) | instskip(SKIP_1) | instid1(VALU_DEP_3)
	v_lshlrev_b32_e32 v6, 20, v6
	v_lshl_add_u32 v4, v4, 23, 0x3c000000
	v_and_b32_e32 v5, 0x80000000, v5
	s_delay_alu instid0(VALU_DEP_1) | instskip(NEXT) | instid1(VALU_DEP_1)
	v_or3_b32 v6, v6, v5, v4
	v_dual_mov_b32 v4, v6 :: v_dual_mov_b32 v5, v7
.LBB245_591:                            ;   in Loop: Header=BB245_483 Depth=1
	s_or_b32 exec_lo, exec_lo, s13
.LBB245_592:                            ;   in Loop: Header=BB245_483 Depth=1
	s_delay_alu instid0(SALU_CYCLE_1)
	s_or_b32 exec_lo, exec_lo, s12
.LBB245_593:                            ;   in Loop: Header=BB245_483 Depth=1
	s_delay_alu instid0(SALU_CYCLE_1) | instskip(SKIP_2) | instid1(VALU_DEP_1)
	s_or_b32 exec_lo, exec_lo, s10
	v_lshrrev_b16 v6, 8, v84
	s_mov_b32 s12, exec_lo
	v_cmpx_ne_u16_e32 0, v6
	s_cbranch_execz .LBB245_601
; %bb.594:                              ;   in Loop: Header=BB245_483 Depth=1
	v_dual_mov_b32 v15, s9 :: v_dual_mov_b32 v14, s8
	s_mov_b32 s13, exec_lo
	v_cmpx_ne_u16_e32 0x80, v6
	s_cbranch_execz .LBB245_600
; %bb.595:                              ;   in Loop: Header=BB245_483 Depth=1
	s_mov_b32 s10, s8
	v_dual_mov_b32 v15, s11 :: v_dual_and_b32 v6, 0xffff, v6
	v_mov_b32_e32 v14, s10
	s_mov_b32 s10, exec_lo
	s_delay_alu instid0(VALU_DEP_2) | instskip(NEXT) | instid1(VALU_DEP_1)
	v_and_b32_e32 v16, 0x7f, v6
	v_cmpx_ne_u32_e32 0x7f, v16
	s_cbranch_execz .LBB245_599
; %bb.596:                              ;   in Loop: Header=BB245_483 Depth=1
	v_and_b32_e32 v6, 7, v6
	v_lshrrev_b32_e32 v14, 3, v16
	s_mov_b32 s15, exec_lo
	v_cmpx_gt_u32_e32 8, v16
; %bb.597:                              ;   in Loop: Header=BB245_483 Depth=1
	s_delay_alu instid0(VALU_DEP_3) | instskip(NEXT) | instid1(VALU_DEP_1)
	v_clz_i32_u32_e32 v14, v6
	v_min_u32_e32 v14, 32, v14
	s_delay_alu instid0(VALU_DEP_1) | instskip(SKIP_1) | instid1(VALU_DEP_2)
	v_subrev_nc_u32_e32 v15, 28, v14
	v_sub_nc_u32_e32 v14, 29, v14
	v_lshlrev_b64 v[15:16], v15, v[6:7]
	s_delay_alu instid0(VALU_DEP_1)
	v_and_b32_e32 v6, 7, v15
; %bb.598:                              ;   in Loop: Header=BB245_483 Depth=1
	s_or_b32 exec_lo, exec_lo, s15
	v_lshlrev_b32_e32 v15, 16, v84
	s_delay_alu instid0(VALU_DEP_2) | instskip(SKIP_1) | instid1(VALU_DEP_3)
	v_lshlrev_b32_e32 v6, 20, v6
	v_lshl_add_u32 v14, v14, 23, 0x3c000000
	v_and_b32_e32 v15, 0x80000000, v15
	s_delay_alu instid0(VALU_DEP_1)
	v_or3_b32 v15, v6, v15, v14
	v_mov_b32_e32 v14, v7
.LBB245_599:                            ;   in Loop: Header=BB245_483 Depth=1
	s_or_b32 exec_lo, exec_lo, s10
.LBB245_600:                            ;   in Loop: Header=BB245_483 Depth=1
	s_delay_alu instid0(SALU_CYCLE_1)
	s_or_b32 exec_lo, exec_lo, s13
.LBB245_601:                            ;   in Loop: Header=BB245_483 Depth=1
	s_delay_alu instid0(SALU_CYCLE_1) | instskip(SKIP_4) | instid1(VALU_DEP_2)
	s_or_b32 exec_lo, exec_lo, s12
	v_mov_b32_e32 v18, 0
	v_lshrrev_b32_e32 v85, 16, v84
	v_mov_b32_e32 v19, 0
	s_mov_b32 s10, exec_lo
	v_and_b32_e32 v6, 0xff, v85
	s_delay_alu instid0(VALU_DEP_2) | instskip(NEXT) | instid1(VALU_DEP_2)
	v_dual_mov_b32 v16, v18 :: v_dual_mov_b32 v17, v19
	v_cmpx_ne_u16_e32 0, v6
	s_cbranch_execz .LBB245_609
; %bb.602:                              ;   in Loop: Header=BB245_483 Depth=1
	v_bfrev_b32_e32 v16, 1
	v_mov_b32_e32 v17, 0
	s_mov_b32 s12, exec_lo
	v_cmpx_ne_u16_e32 0x80, v6
	s_cbranch_execz .LBB245_608
; %bb.603:                              ;   in Loop: Header=BB245_483 Depth=1
	v_mov_b32_e32 v16, 0x7f800001
	v_bfe_u32 v86, v84, 16, 7
	v_mov_b32_e32 v17, 0
	s_mov_b32 s13, exec_lo
	s_delay_alu instid0(VALU_DEP_2)
	v_cmpx_ne_u32_e32 0x7f, v86
	s_cbranch_execz .LBB245_607
; %bb.604:                              ;   in Loop: Header=BB245_483 Depth=1
	v_and_b32_e32 v6, 7, v85
	v_lshrrev_b32_e32 v16, 3, v86
	s_mov_b32 s15, exec_lo
	v_cmpx_gt_u32_e32 8, v86
; %bb.605:                              ;   in Loop: Header=BB245_483 Depth=1
	s_delay_alu instid0(VALU_DEP_3) | instskip(NEXT) | instid1(VALU_DEP_1)
	v_clz_i32_u32_e32 v16, v6
	v_min_u32_e32 v16, 32, v16
	s_delay_alu instid0(VALU_DEP_1) | instskip(SKIP_1) | instid1(VALU_DEP_2)
	v_subrev_nc_u32_e32 v17, 28, v16
	v_sub_nc_u32_e32 v16, 29, v16
	v_lshlrev_b64 v[86:87], v17, v[6:7]
	s_delay_alu instid0(VALU_DEP_1)
	v_and_b32_e32 v6, 7, v86
; %bb.606:                              ;   in Loop: Header=BB245_483 Depth=1
	s_or_b32 exec_lo, exec_lo, s15
	v_lshlrev_b32_e32 v17, 24, v85
	s_delay_alu instid0(VALU_DEP_2) | instskip(SKIP_1) | instid1(VALU_DEP_3)
	v_lshlrev_b32_e32 v6, 20, v6
	v_lshl_add_u32 v16, v16, 23, 0x3c000000
	v_and_b32_e32 v17, 0x80000000, v17
	s_delay_alu instid0(VALU_DEP_1) | instskip(NEXT) | instid1(VALU_DEP_1)
	v_or3_b32 v6, v6, v17, v16
	v_dual_mov_b32 v17, v7 :: v_dual_mov_b32 v16, v6
.LBB245_607:                            ;   in Loop: Header=BB245_483 Depth=1
	s_or_b32 exec_lo, exec_lo, s13
.LBB245_608:                            ;   in Loop: Header=BB245_483 Depth=1
	s_delay_alu instid0(SALU_CYCLE_1)
	s_or_b32 exec_lo, exec_lo, s12
.LBB245_609:                            ;   in Loop: Header=BB245_483 Depth=1
	s_delay_alu instid0(SALU_CYCLE_1) | instskip(NEXT) | instid1(SALU_CYCLE_1)
	s_or_b32 exec_lo, exec_lo, s10
	s_mov_b32 s12, exec_lo
	v_cmpx_lt_u32_e32 0xffffff, v84
	s_cbranch_execz .LBB245_617
; %bb.610:                              ;   in Loop: Header=BB245_483 Depth=1
	v_lshrrev_b32_e32 v85, 24, v84
	v_dual_mov_b32 v19, s9 :: v_dual_mov_b32 v18, s8
	s_mov_b32 s13, exec_lo
	s_delay_alu instid0(VALU_DEP_2)
	v_cmpx_ne_u32_e32 0x80, v85
	s_cbranch_execz .LBB245_616
; %bb.611:                              ;   in Loop: Header=BB245_483 Depth=1
	s_mov_b32 s10, s8
	v_bfe_u32 v84, v84, 24, 7
	v_dual_mov_b32 v19, s11 :: v_dual_mov_b32 v18, s10
	s_mov_b32 s10, exec_lo
	s_delay_alu instid0(VALU_DEP_2)
	v_cmpx_ne_u32_e32 0x7f, v84
	s_cbranch_execz .LBB245_615
; %bb.612:                              ;   in Loop: Header=BB245_483 Depth=1
	v_and_b32_e32 v6, 7, v85
	v_lshrrev_b32_e32 v18, 3, v84
	s_mov_b32 s15, exec_lo
	v_cmpx_gt_u32_e32 8, v84
; %bb.613:                              ;   in Loop: Header=BB245_483 Depth=1
	s_delay_alu instid0(VALU_DEP_3) | instskip(NEXT) | instid1(VALU_DEP_1)
	v_clz_i32_u32_e32 v18, v6
	v_min_u32_e32 v18, 32, v18
	s_delay_alu instid0(VALU_DEP_1) | instskip(SKIP_1) | instid1(VALU_DEP_2)
	v_subrev_nc_u32_e32 v19, 28, v18
	v_sub_nc_u32_e32 v18, 29, v18
	v_lshlrev_b64 v[86:87], v19, v[6:7]
	s_delay_alu instid0(VALU_DEP_1)
	v_and_b32_e32 v6, 7, v86
; %bb.614:                              ;   in Loop: Header=BB245_483 Depth=1
	s_or_b32 exec_lo, exec_lo, s15
	v_lshlrev_b32_e32 v19, 24, v85
	s_delay_alu instid0(VALU_DEP_2) | instskip(SKIP_1) | instid1(VALU_DEP_3)
	v_lshlrev_b32_e32 v6, 20, v6
	v_lshl_add_u32 v18, v18, 23, 0x3c000000
	v_and_b32_e32 v19, 0x80000000, v19
	s_delay_alu instid0(VALU_DEP_1)
	v_or3_b32 v19, v6, v19, v18
	v_mov_b32_e32 v18, v7
.LBB245_615:                            ;   in Loop: Header=BB245_483 Depth=1
	s_or_b32 exec_lo, exec_lo, s10
.LBB245_616:                            ;   in Loop: Header=BB245_483 Depth=1
	s_delay_alu instid0(SALU_CYCLE_1)
	s_or_b32 exec_lo, exec_lo, s13
.LBB245_617:                            ;   in Loop: Header=BB245_483 Depth=1
	s_delay_alu instid0(SALU_CYCLE_1) | instskip(SKIP_4) | instid1(VALU_DEP_3)
	s_or_b32 exec_lo, exec_lo, s12
	v_or_b32_e32 v5, v15, v5
	v_or_b32_e32 v4, v14, v4
	;; [unrolled: 1-line block ×4, first 2 shown]
	v_dual_mul_f32 v87, v52, v5 :: v_dual_mul_f32 v86, v49, v4
	s_delay_alu instid0(VALU_DEP_3) | instskip(NEXT) | instid1(VALU_DEP_3)
	v_mul_f32_e32 v84, v52, v6
	v_mul_f32_e32 v85, v49, v14
	s_and_saveexec_b32 s10, vcc_lo
; %bb.618:                              ;   in Loop: Header=BB245_483 Depth=1
	v_cmp_lt_i32_e64 s0, v65, v128
	s_delay_alu instid0(VALU_DEP_1) | instskip(SKIP_1) | instid1(VALU_DEP_1)
	v_cndmask_b32_e64 v86, 0, v86, s0
	v_cmp_lt_i32_e64 s0, v67, v128
	v_cndmask_b32_e64 v87, 0, v87, s0
	v_cmp_lt_i32_e64 s0, v66, v128
	s_delay_alu instid0(VALU_DEP_1) | instskip(SKIP_1) | instid1(VALU_DEP_1)
	v_cndmask_b32_e64 v85, 0, v85, s0
	v_cmp_lt_i32_e64 s0, v21, v128
	v_cndmask_b32_e64 v84, 0, v84, s0
; %bb.619:                              ;   in Loop: Header=BB245_483 Depth=1
	s_or_b32 exec_lo, exec_lo, s10
	flat_load_b32 v96, v[12:13] offset:512
	v_mov_b32_e32 v14, 0
	v_mov_b32_e32 v15, 0
	s_mov_b32 s10, exec_lo
	s_waitcnt vmcnt(0) lgkmcnt(0)
	v_and_b32_e32 v6, 0xff, v96
	s_delay_alu instid0(VALU_DEP_2) | instskip(NEXT) | instid1(VALU_DEP_2)
	v_dual_mov_b32 v4, v14 :: v_dual_mov_b32 v5, v15
	v_cmpx_ne_u16_e32 0, v6
	s_cbranch_execz .LBB245_627
; %bb.620:                              ;   in Loop: Header=BB245_483 Depth=1
	v_bfrev_b32_e32 v4, 1
	v_mov_b32_e32 v5, 0
	s_mov_b32 s12, exec_lo
	v_cmpx_ne_u16_e32 0x80, v6
	s_cbranch_execz .LBB245_626
; %bb.621:                              ;   in Loop: Header=BB245_483 Depth=1
	v_mov_b32_e32 v4, 0x7f800001
	v_dual_mov_b32 v5, 0 :: v_dual_and_b32 v16, 0x7f, v96
	s_mov_b32 s13, exec_lo
	s_delay_alu instid0(VALU_DEP_1)
	v_cmpx_ne_u32_e32 0x7f, v16
	s_cbranch_execz .LBB245_625
; %bb.622:                              ;   in Loop: Header=BB245_483 Depth=1
	v_and_b32_e32 v6, 7, v96
	v_lshrrev_b32_e32 v4, 3, v16
	s_mov_b32 s15, exec_lo
	v_cmpx_gt_u32_e32 8, v16
; %bb.623:                              ;   in Loop: Header=BB245_483 Depth=1
	s_delay_alu instid0(VALU_DEP_3) | instskip(NEXT) | instid1(VALU_DEP_1)
	v_clz_i32_u32_e32 v4, v6
	v_min_u32_e32 v4, 32, v4
	s_delay_alu instid0(VALU_DEP_1) | instskip(SKIP_1) | instid1(VALU_DEP_2)
	v_subrev_nc_u32_e32 v5, 28, v4
	v_sub_nc_u32_e32 v4, 29, v4
	v_lshlrev_b64 v[5:6], v5, v[6:7]
	s_delay_alu instid0(VALU_DEP_1)
	v_and_b32_e32 v6, 7, v5
; %bb.624:                              ;   in Loop: Header=BB245_483 Depth=1
	s_or_b32 exec_lo, exec_lo, s15
	v_lshlrev_b32_e32 v5, 24, v96
	s_delay_alu instid0(VALU_DEP_2) | instskip(SKIP_1) | instid1(VALU_DEP_3)
	v_lshlrev_b32_e32 v6, 20, v6
	v_lshl_add_u32 v4, v4, 23, 0x3c000000
	v_and_b32_e32 v5, 0x80000000, v5
	s_delay_alu instid0(VALU_DEP_1) | instskip(NEXT) | instid1(VALU_DEP_1)
	v_or3_b32 v6, v6, v5, v4
	v_dual_mov_b32 v4, v6 :: v_dual_mov_b32 v5, v7
.LBB245_625:                            ;   in Loop: Header=BB245_483 Depth=1
	s_or_b32 exec_lo, exec_lo, s13
.LBB245_626:                            ;   in Loop: Header=BB245_483 Depth=1
	s_delay_alu instid0(SALU_CYCLE_1)
	s_or_b32 exec_lo, exec_lo, s12
.LBB245_627:                            ;   in Loop: Header=BB245_483 Depth=1
	s_delay_alu instid0(SALU_CYCLE_1) | instskip(SKIP_2) | instid1(VALU_DEP_1)
	s_or_b32 exec_lo, exec_lo, s10
	v_lshrrev_b16 v6, 8, v96
	s_mov_b32 s12, exec_lo
	v_cmpx_ne_u16_e32 0, v6
	s_cbranch_execz .LBB245_635
; %bb.628:                              ;   in Loop: Header=BB245_483 Depth=1
	v_dual_mov_b32 v15, s9 :: v_dual_mov_b32 v14, s8
	s_mov_b32 s13, exec_lo
	v_cmpx_ne_u16_e32 0x80, v6
	s_cbranch_execz .LBB245_634
; %bb.629:                              ;   in Loop: Header=BB245_483 Depth=1
	s_mov_b32 s10, s8
	v_dual_mov_b32 v15, s11 :: v_dual_and_b32 v6, 0xffff, v6
	v_mov_b32_e32 v14, s10
	s_mov_b32 s10, exec_lo
	s_delay_alu instid0(VALU_DEP_2) | instskip(NEXT) | instid1(VALU_DEP_1)
	v_and_b32_e32 v16, 0x7f, v6
	v_cmpx_ne_u32_e32 0x7f, v16
	s_cbranch_execz .LBB245_633
; %bb.630:                              ;   in Loop: Header=BB245_483 Depth=1
	v_and_b32_e32 v6, 7, v6
	v_lshrrev_b32_e32 v14, 3, v16
	s_mov_b32 s15, exec_lo
	v_cmpx_gt_u32_e32 8, v16
; %bb.631:                              ;   in Loop: Header=BB245_483 Depth=1
	s_delay_alu instid0(VALU_DEP_3) | instskip(NEXT) | instid1(VALU_DEP_1)
	v_clz_i32_u32_e32 v14, v6
	v_min_u32_e32 v14, 32, v14
	s_delay_alu instid0(VALU_DEP_1) | instskip(SKIP_1) | instid1(VALU_DEP_2)
	v_subrev_nc_u32_e32 v15, 28, v14
	v_sub_nc_u32_e32 v14, 29, v14
	v_lshlrev_b64 v[15:16], v15, v[6:7]
	s_delay_alu instid0(VALU_DEP_1)
	v_and_b32_e32 v6, 7, v15
; %bb.632:                              ;   in Loop: Header=BB245_483 Depth=1
	s_or_b32 exec_lo, exec_lo, s15
	v_lshlrev_b32_e32 v15, 16, v96
	s_delay_alu instid0(VALU_DEP_2) | instskip(SKIP_1) | instid1(VALU_DEP_3)
	v_lshlrev_b32_e32 v6, 20, v6
	v_lshl_add_u32 v14, v14, 23, 0x3c000000
	v_and_b32_e32 v15, 0x80000000, v15
	s_delay_alu instid0(VALU_DEP_1)
	v_or3_b32 v15, v6, v15, v14
	v_mov_b32_e32 v14, v7
.LBB245_633:                            ;   in Loop: Header=BB245_483 Depth=1
	s_or_b32 exec_lo, exec_lo, s10
.LBB245_634:                            ;   in Loop: Header=BB245_483 Depth=1
	s_delay_alu instid0(SALU_CYCLE_1)
	s_or_b32 exec_lo, exec_lo, s13
.LBB245_635:                            ;   in Loop: Header=BB245_483 Depth=1
	s_delay_alu instid0(SALU_CYCLE_1) | instskip(SKIP_4) | instid1(VALU_DEP_2)
	s_or_b32 exec_lo, exec_lo, s12
	v_mov_b32_e32 v18, 0
	v_lshrrev_b32_e32 v97, 16, v96
	v_mov_b32_e32 v19, 0
	s_mov_b32 s10, exec_lo
	v_and_b32_e32 v6, 0xff, v97
	s_delay_alu instid0(VALU_DEP_2) | instskip(NEXT) | instid1(VALU_DEP_2)
	v_dual_mov_b32 v16, v18 :: v_dual_mov_b32 v17, v19
	v_cmpx_ne_u16_e32 0, v6
	s_cbranch_execz .LBB245_643
; %bb.636:                              ;   in Loop: Header=BB245_483 Depth=1
	v_bfrev_b32_e32 v16, 1
	v_mov_b32_e32 v17, 0
	s_mov_b32 s12, exec_lo
	v_cmpx_ne_u16_e32 0x80, v6
	s_cbranch_execz .LBB245_642
; %bb.637:                              ;   in Loop: Header=BB245_483 Depth=1
	v_mov_b32_e32 v16, 0x7f800001
	v_bfe_u32 v98, v96, 16, 7
	v_mov_b32_e32 v17, 0
	s_mov_b32 s13, exec_lo
	s_delay_alu instid0(VALU_DEP_2)
	v_cmpx_ne_u32_e32 0x7f, v98
	s_cbranch_execz .LBB245_641
; %bb.638:                              ;   in Loop: Header=BB245_483 Depth=1
	v_and_b32_e32 v6, 7, v97
	v_lshrrev_b32_e32 v16, 3, v98
	s_mov_b32 s15, exec_lo
	v_cmpx_gt_u32_e32 8, v98
; %bb.639:                              ;   in Loop: Header=BB245_483 Depth=1
	s_delay_alu instid0(VALU_DEP_3) | instskip(NEXT) | instid1(VALU_DEP_1)
	v_clz_i32_u32_e32 v16, v6
	v_min_u32_e32 v16, 32, v16
	s_delay_alu instid0(VALU_DEP_1) | instskip(SKIP_1) | instid1(VALU_DEP_2)
	v_subrev_nc_u32_e32 v17, 28, v16
	v_sub_nc_u32_e32 v16, 29, v16
	v_lshlrev_b64 v[98:99], v17, v[6:7]
	s_delay_alu instid0(VALU_DEP_1)
	v_and_b32_e32 v6, 7, v98
; %bb.640:                              ;   in Loop: Header=BB245_483 Depth=1
	s_or_b32 exec_lo, exec_lo, s15
	v_lshlrev_b32_e32 v17, 24, v97
	s_delay_alu instid0(VALU_DEP_2) | instskip(SKIP_1) | instid1(VALU_DEP_3)
	v_lshlrev_b32_e32 v6, 20, v6
	v_lshl_add_u32 v16, v16, 23, 0x3c000000
	v_and_b32_e32 v17, 0x80000000, v17
	s_delay_alu instid0(VALU_DEP_1) | instskip(NEXT) | instid1(VALU_DEP_1)
	v_or3_b32 v6, v6, v17, v16
	v_dual_mov_b32 v17, v7 :: v_dual_mov_b32 v16, v6
.LBB245_641:                            ;   in Loop: Header=BB245_483 Depth=1
	s_or_b32 exec_lo, exec_lo, s13
.LBB245_642:                            ;   in Loop: Header=BB245_483 Depth=1
	s_delay_alu instid0(SALU_CYCLE_1)
	s_or_b32 exec_lo, exec_lo, s12
.LBB245_643:                            ;   in Loop: Header=BB245_483 Depth=1
	s_delay_alu instid0(SALU_CYCLE_1) | instskip(NEXT) | instid1(SALU_CYCLE_1)
	s_or_b32 exec_lo, exec_lo, s10
	s_mov_b32 s12, exec_lo
	v_cmpx_lt_u32_e32 0xffffff, v96
	s_cbranch_execz .LBB245_651
; %bb.644:                              ;   in Loop: Header=BB245_483 Depth=1
	v_lshrrev_b32_e32 v97, 24, v96
	v_dual_mov_b32 v19, s9 :: v_dual_mov_b32 v18, s8
	s_mov_b32 s13, exec_lo
	s_delay_alu instid0(VALU_DEP_2)
	v_cmpx_ne_u32_e32 0x80, v97
	s_cbranch_execz .LBB245_650
; %bb.645:                              ;   in Loop: Header=BB245_483 Depth=1
	s_mov_b32 s10, s8
	v_bfe_u32 v96, v96, 24, 7
	v_dual_mov_b32 v19, s11 :: v_dual_mov_b32 v18, s10
	s_mov_b32 s10, exec_lo
	s_delay_alu instid0(VALU_DEP_2)
	v_cmpx_ne_u32_e32 0x7f, v96
	s_cbranch_execz .LBB245_649
; %bb.646:                              ;   in Loop: Header=BB245_483 Depth=1
	v_and_b32_e32 v6, 7, v97
	v_lshrrev_b32_e32 v18, 3, v96
	s_mov_b32 s15, exec_lo
	v_cmpx_gt_u32_e32 8, v96
; %bb.647:                              ;   in Loop: Header=BB245_483 Depth=1
	s_delay_alu instid0(VALU_DEP_3) | instskip(NEXT) | instid1(VALU_DEP_1)
	v_clz_i32_u32_e32 v18, v6
	v_min_u32_e32 v18, 32, v18
	s_delay_alu instid0(VALU_DEP_1) | instskip(SKIP_1) | instid1(VALU_DEP_2)
	v_subrev_nc_u32_e32 v19, 28, v18
	v_sub_nc_u32_e32 v18, 29, v18
	v_lshlrev_b64 v[98:99], v19, v[6:7]
	s_delay_alu instid0(VALU_DEP_1)
	v_and_b32_e32 v6, 7, v98
; %bb.648:                              ;   in Loop: Header=BB245_483 Depth=1
	s_or_b32 exec_lo, exec_lo, s15
	v_lshlrev_b32_e32 v19, 24, v97
	s_delay_alu instid0(VALU_DEP_2) | instskip(SKIP_1) | instid1(VALU_DEP_3)
	v_lshlrev_b32_e32 v6, 20, v6
	v_lshl_add_u32 v18, v18, 23, 0x3c000000
	v_and_b32_e32 v19, 0x80000000, v19
	s_delay_alu instid0(VALU_DEP_1)
	v_or3_b32 v19, v6, v19, v18
	v_mov_b32_e32 v18, v7
.LBB245_649:                            ;   in Loop: Header=BB245_483 Depth=1
	s_or_b32 exec_lo, exec_lo, s10
.LBB245_650:                            ;   in Loop: Header=BB245_483 Depth=1
	s_delay_alu instid0(SALU_CYCLE_1)
	s_or_b32 exec_lo, exec_lo, s13
.LBB245_651:                            ;   in Loop: Header=BB245_483 Depth=1
	s_delay_alu instid0(SALU_CYCLE_1) | instskip(SKIP_4) | instid1(VALU_DEP_3)
	s_or_b32 exec_lo, exec_lo, s12
	v_or_b32_e32 v5, v15, v5
	v_or_b32_e32 v4, v14, v4
	;; [unrolled: 1-line block ×4, first 2 shown]
	v_dual_mul_f32 v99, v52, v5 :: v_dual_mul_f32 v98, v49, v4
	s_delay_alu instid0(VALU_DEP_3) | instskip(NEXT) | instid1(VALU_DEP_3)
	v_mul_f32_e32 v96, v52, v6
	v_mul_f32_e32 v97, v49, v14
	s_and_saveexec_b32 s10, vcc_lo
; %bb.652:                              ;   in Loop: Header=BB245_483 Depth=1
	v_cmp_lt_i32_e64 s0, v65, v128
	s_delay_alu instid0(VALU_DEP_1) | instskip(SKIP_1) | instid1(VALU_DEP_1)
	v_cndmask_b32_e64 v98, 0, v98, s0
	v_cmp_lt_i32_e64 s0, v67, v128
	v_cndmask_b32_e64 v99, 0, v99, s0
	v_cmp_lt_i32_e64 s0, v66, v128
	s_delay_alu instid0(VALU_DEP_1) | instskip(SKIP_1) | instid1(VALU_DEP_1)
	v_cndmask_b32_e64 v97, 0, v97, s0
	v_cmp_lt_i32_e64 s0, v21, v128
	v_cndmask_b32_e64 v96, 0, v96, s0
; %bb.653:                              ;   in Loop: Header=BB245_483 Depth=1
	s_or_b32 exec_lo, exec_lo, s10
	flat_load_b32 v100, v[12:13] offset:640
	v_mov_b32_e32 v14, 0
	v_mov_b32_e32 v15, 0
	s_mov_b32 s10, exec_lo
	s_waitcnt vmcnt(0) lgkmcnt(0)
	v_and_b32_e32 v6, 0xff, v100
	s_delay_alu instid0(VALU_DEP_2) | instskip(NEXT) | instid1(VALU_DEP_2)
	v_dual_mov_b32 v4, v14 :: v_dual_mov_b32 v5, v15
	v_cmpx_ne_u16_e32 0, v6
	s_cbranch_execz .LBB245_661
; %bb.654:                              ;   in Loop: Header=BB245_483 Depth=1
	v_bfrev_b32_e32 v4, 1
	v_mov_b32_e32 v5, 0
	s_mov_b32 s12, exec_lo
	v_cmpx_ne_u16_e32 0x80, v6
	s_cbranch_execz .LBB245_660
; %bb.655:                              ;   in Loop: Header=BB245_483 Depth=1
	v_mov_b32_e32 v4, 0x7f800001
	v_dual_mov_b32 v5, 0 :: v_dual_and_b32 v16, 0x7f, v100
	s_mov_b32 s13, exec_lo
	s_delay_alu instid0(VALU_DEP_1)
	v_cmpx_ne_u32_e32 0x7f, v16
	s_cbranch_execz .LBB245_659
; %bb.656:                              ;   in Loop: Header=BB245_483 Depth=1
	v_and_b32_e32 v6, 7, v100
	v_lshrrev_b32_e32 v4, 3, v16
	s_mov_b32 s15, exec_lo
	v_cmpx_gt_u32_e32 8, v16
; %bb.657:                              ;   in Loop: Header=BB245_483 Depth=1
	s_delay_alu instid0(VALU_DEP_3) | instskip(NEXT) | instid1(VALU_DEP_1)
	v_clz_i32_u32_e32 v4, v6
	v_min_u32_e32 v4, 32, v4
	s_delay_alu instid0(VALU_DEP_1) | instskip(SKIP_1) | instid1(VALU_DEP_2)
	v_subrev_nc_u32_e32 v5, 28, v4
	v_sub_nc_u32_e32 v4, 29, v4
	v_lshlrev_b64 v[5:6], v5, v[6:7]
	s_delay_alu instid0(VALU_DEP_1)
	v_and_b32_e32 v6, 7, v5
; %bb.658:                              ;   in Loop: Header=BB245_483 Depth=1
	s_or_b32 exec_lo, exec_lo, s15
	v_lshlrev_b32_e32 v5, 24, v100
	s_delay_alu instid0(VALU_DEP_2) | instskip(SKIP_1) | instid1(VALU_DEP_3)
	v_lshlrev_b32_e32 v6, 20, v6
	v_lshl_add_u32 v4, v4, 23, 0x3c000000
	v_and_b32_e32 v5, 0x80000000, v5
	s_delay_alu instid0(VALU_DEP_1) | instskip(NEXT) | instid1(VALU_DEP_1)
	v_or3_b32 v6, v6, v5, v4
	v_dual_mov_b32 v4, v6 :: v_dual_mov_b32 v5, v7
.LBB245_659:                            ;   in Loop: Header=BB245_483 Depth=1
	s_or_b32 exec_lo, exec_lo, s13
.LBB245_660:                            ;   in Loop: Header=BB245_483 Depth=1
	s_delay_alu instid0(SALU_CYCLE_1)
	s_or_b32 exec_lo, exec_lo, s12
.LBB245_661:                            ;   in Loop: Header=BB245_483 Depth=1
	s_delay_alu instid0(SALU_CYCLE_1) | instskip(SKIP_2) | instid1(VALU_DEP_1)
	s_or_b32 exec_lo, exec_lo, s10
	v_lshrrev_b16 v6, 8, v100
	s_mov_b32 s12, exec_lo
	v_cmpx_ne_u16_e32 0, v6
	s_cbranch_execz .LBB245_669
; %bb.662:                              ;   in Loop: Header=BB245_483 Depth=1
	v_dual_mov_b32 v15, s9 :: v_dual_mov_b32 v14, s8
	s_mov_b32 s13, exec_lo
	v_cmpx_ne_u16_e32 0x80, v6
	s_cbranch_execz .LBB245_668
; %bb.663:                              ;   in Loop: Header=BB245_483 Depth=1
	s_mov_b32 s10, s8
	v_dual_mov_b32 v15, s11 :: v_dual_and_b32 v6, 0xffff, v6
	v_mov_b32_e32 v14, s10
	s_mov_b32 s10, exec_lo
	s_delay_alu instid0(VALU_DEP_2) | instskip(NEXT) | instid1(VALU_DEP_1)
	v_and_b32_e32 v16, 0x7f, v6
	v_cmpx_ne_u32_e32 0x7f, v16
	s_cbranch_execz .LBB245_667
; %bb.664:                              ;   in Loop: Header=BB245_483 Depth=1
	v_and_b32_e32 v6, 7, v6
	v_lshrrev_b32_e32 v14, 3, v16
	s_mov_b32 s15, exec_lo
	v_cmpx_gt_u32_e32 8, v16
; %bb.665:                              ;   in Loop: Header=BB245_483 Depth=1
	s_delay_alu instid0(VALU_DEP_3) | instskip(NEXT) | instid1(VALU_DEP_1)
	v_clz_i32_u32_e32 v14, v6
	v_min_u32_e32 v14, 32, v14
	s_delay_alu instid0(VALU_DEP_1) | instskip(SKIP_1) | instid1(VALU_DEP_2)
	v_subrev_nc_u32_e32 v15, 28, v14
	v_sub_nc_u32_e32 v14, 29, v14
	v_lshlrev_b64 v[15:16], v15, v[6:7]
	s_delay_alu instid0(VALU_DEP_1)
	v_and_b32_e32 v6, 7, v15
; %bb.666:                              ;   in Loop: Header=BB245_483 Depth=1
	s_or_b32 exec_lo, exec_lo, s15
	v_lshlrev_b32_e32 v15, 16, v100
	s_delay_alu instid0(VALU_DEP_2) | instskip(SKIP_1) | instid1(VALU_DEP_3)
	v_lshlrev_b32_e32 v6, 20, v6
	v_lshl_add_u32 v14, v14, 23, 0x3c000000
	v_and_b32_e32 v15, 0x80000000, v15
	s_delay_alu instid0(VALU_DEP_1)
	v_or3_b32 v15, v6, v15, v14
	v_mov_b32_e32 v14, v7
.LBB245_667:                            ;   in Loop: Header=BB245_483 Depth=1
	s_or_b32 exec_lo, exec_lo, s10
.LBB245_668:                            ;   in Loop: Header=BB245_483 Depth=1
	s_delay_alu instid0(SALU_CYCLE_1)
	s_or_b32 exec_lo, exec_lo, s13
.LBB245_669:                            ;   in Loop: Header=BB245_483 Depth=1
	s_delay_alu instid0(SALU_CYCLE_1) | instskip(SKIP_4) | instid1(VALU_DEP_2)
	s_or_b32 exec_lo, exec_lo, s12
	v_mov_b32_e32 v18, 0
	v_lshrrev_b32_e32 v101, 16, v100
	v_mov_b32_e32 v19, 0
	s_mov_b32 s10, exec_lo
	v_and_b32_e32 v6, 0xff, v101
	s_delay_alu instid0(VALU_DEP_2) | instskip(NEXT) | instid1(VALU_DEP_2)
	v_dual_mov_b32 v16, v18 :: v_dual_mov_b32 v17, v19
	v_cmpx_ne_u16_e32 0, v6
	s_cbranch_execz .LBB245_677
; %bb.670:                              ;   in Loop: Header=BB245_483 Depth=1
	v_bfrev_b32_e32 v16, 1
	v_mov_b32_e32 v17, 0
	s_mov_b32 s12, exec_lo
	v_cmpx_ne_u16_e32 0x80, v6
	s_cbranch_execz .LBB245_676
; %bb.671:                              ;   in Loop: Header=BB245_483 Depth=1
	v_mov_b32_e32 v16, 0x7f800001
	v_bfe_u32 v102, v100, 16, 7
	v_mov_b32_e32 v17, 0
	s_mov_b32 s13, exec_lo
	s_delay_alu instid0(VALU_DEP_2)
	v_cmpx_ne_u32_e32 0x7f, v102
	s_cbranch_execz .LBB245_675
; %bb.672:                              ;   in Loop: Header=BB245_483 Depth=1
	v_and_b32_e32 v6, 7, v101
	v_lshrrev_b32_e32 v16, 3, v102
	s_mov_b32 s15, exec_lo
	v_cmpx_gt_u32_e32 8, v102
; %bb.673:                              ;   in Loop: Header=BB245_483 Depth=1
	s_delay_alu instid0(VALU_DEP_3) | instskip(NEXT) | instid1(VALU_DEP_1)
	v_clz_i32_u32_e32 v16, v6
	v_min_u32_e32 v16, 32, v16
	s_delay_alu instid0(VALU_DEP_1) | instskip(SKIP_1) | instid1(VALU_DEP_2)
	v_subrev_nc_u32_e32 v17, 28, v16
	v_sub_nc_u32_e32 v16, 29, v16
	v_lshlrev_b64 v[102:103], v17, v[6:7]
	s_delay_alu instid0(VALU_DEP_1)
	v_and_b32_e32 v6, 7, v102
; %bb.674:                              ;   in Loop: Header=BB245_483 Depth=1
	s_or_b32 exec_lo, exec_lo, s15
	v_lshlrev_b32_e32 v17, 24, v101
	s_delay_alu instid0(VALU_DEP_2) | instskip(SKIP_1) | instid1(VALU_DEP_3)
	v_lshlrev_b32_e32 v6, 20, v6
	v_lshl_add_u32 v16, v16, 23, 0x3c000000
	v_and_b32_e32 v17, 0x80000000, v17
	s_delay_alu instid0(VALU_DEP_1) | instskip(NEXT) | instid1(VALU_DEP_1)
	v_or3_b32 v6, v6, v17, v16
	v_dual_mov_b32 v17, v7 :: v_dual_mov_b32 v16, v6
.LBB245_675:                            ;   in Loop: Header=BB245_483 Depth=1
	s_or_b32 exec_lo, exec_lo, s13
.LBB245_676:                            ;   in Loop: Header=BB245_483 Depth=1
	s_delay_alu instid0(SALU_CYCLE_1)
	s_or_b32 exec_lo, exec_lo, s12
.LBB245_677:                            ;   in Loop: Header=BB245_483 Depth=1
	s_delay_alu instid0(SALU_CYCLE_1) | instskip(NEXT) | instid1(SALU_CYCLE_1)
	s_or_b32 exec_lo, exec_lo, s10
	s_mov_b32 s12, exec_lo
	v_cmpx_lt_u32_e32 0xffffff, v100
	s_cbranch_execz .LBB245_685
; %bb.678:                              ;   in Loop: Header=BB245_483 Depth=1
	v_lshrrev_b32_e32 v101, 24, v100
	v_dual_mov_b32 v19, s9 :: v_dual_mov_b32 v18, s8
	s_mov_b32 s13, exec_lo
	s_delay_alu instid0(VALU_DEP_2)
	v_cmpx_ne_u32_e32 0x80, v101
	s_cbranch_execz .LBB245_684
; %bb.679:                              ;   in Loop: Header=BB245_483 Depth=1
	s_mov_b32 s10, s8
	v_bfe_u32 v100, v100, 24, 7
	v_dual_mov_b32 v19, s11 :: v_dual_mov_b32 v18, s10
	s_mov_b32 s10, exec_lo
	s_delay_alu instid0(VALU_DEP_2)
	v_cmpx_ne_u32_e32 0x7f, v100
	s_cbranch_execz .LBB245_683
; %bb.680:                              ;   in Loop: Header=BB245_483 Depth=1
	v_and_b32_e32 v6, 7, v101
	v_lshrrev_b32_e32 v18, 3, v100
	s_mov_b32 s15, exec_lo
	v_cmpx_gt_u32_e32 8, v100
; %bb.681:                              ;   in Loop: Header=BB245_483 Depth=1
	s_delay_alu instid0(VALU_DEP_3) | instskip(NEXT) | instid1(VALU_DEP_1)
	v_clz_i32_u32_e32 v18, v6
	v_min_u32_e32 v18, 32, v18
	s_delay_alu instid0(VALU_DEP_1) | instskip(SKIP_1) | instid1(VALU_DEP_2)
	v_subrev_nc_u32_e32 v19, 28, v18
	v_sub_nc_u32_e32 v18, 29, v18
	v_lshlrev_b64 v[102:103], v19, v[6:7]
	s_delay_alu instid0(VALU_DEP_1)
	v_and_b32_e32 v6, 7, v102
; %bb.682:                              ;   in Loop: Header=BB245_483 Depth=1
	s_or_b32 exec_lo, exec_lo, s15
	v_lshlrev_b32_e32 v19, 24, v101
	s_delay_alu instid0(VALU_DEP_2) | instskip(SKIP_1) | instid1(VALU_DEP_3)
	v_lshlrev_b32_e32 v6, 20, v6
	v_lshl_add_u32 v18, v18, 23, 0x3c000000
	v_and_b32_e32 v19, 0x80000000, v19
	s_delay_alu instid0(VALU_DEP_1)
	v_or3_b32 v19, v6, v19, v18
	v_mov_b32_e32 v18, v7
.LBB245_683:                            ;   in Loop: Header=BB245_483 Depth=1
	s_or_b32 exec_lo, exec_lo, s10
.LBB245_684:                            ;   in Loop: Header=BB245_483 Depth=1
	s_delay_alu instid0(SALU_CYCLE_1)
	s_or_b32 exec_lo, exec_lo, s13
.LBB245_685:                            ;   in Loop: Header=BB245_483 Depth=1
	s_delay_alu instid0(SALU_CYCLE_1) | instskip(SKIP_4) | instid1(VALU_DEP_3)
	s_or_b32 exec_lo, exec_lo, s12
	v_or_b32_e32 v5, v15, v5
	v_or_b32_e32 v4, v14, v4
	;; [unrolled: 1-line block ×4, first 2 shown]
	v_dual_mul_f32 v103, v52, v5 :: v_dual_mul_f32 v102, v49, v4
	s_delay_alu instid0(VALU_DEP_3) | instskip(NEXT) | instid1(VALU_DEP_3)
	v_mul_f32_e32 v100, v52, v6
	v_mul_f32_e32 v101, v49, v14
	s_and_saveexec_b32 s10, vcc_lo
; %bb.686:                              ;   in Loop: Header=BB245_483 Depth=1
	v_cmp_lt_i32_e64 s0, v65, v128
	s_delay_alu instid0(VALU_DEP_1) | instskip(SKIP_1) | instid1(VALU_DEP_1)
	v_cndmask_b32_e64 v102, 0, v102, s0
	v_cmp_lt_i32_e64 s0, v67, v128
	v_cndmask_b32_e64 v103, 0, v103, s0
	v_cmp_lt_i32_e64 s0, v66, v128
	s_delay_alu instid0(VALU_DEP_1) | instskip(SKIP_1) | instid1(VALU_DEP_1)
	v_cndmask_b32_e64 v101, 0, v101, s0
	v_cmp_lt_i32_e64 s0, v21, v128
	v_cndmask_b32_e64 v100, 0, v100, s0
; %bb.687:                              ;   in Loop: Header=BB245_483 Depth=1
	s_or_b32 exec_lo, exec_lo, s10
	flat_load_b32 v112, v[12:13] offset:768
	v_mov_b32_e32 v14, 0
	v_mov_b32_e32 v15, 0
	s_mov_b32 s10, exec_lo
	s_waitcnt vmcnt(0) lgkmcnt(0)
	v_and_b32_e32 v6, 0xff, v112
	s_delay_alu instid0(VALU_DEP_2) | instskip(NEXT) | instid1(VALU_DEP_2)
	v_dual_mov_b32 v4, v14 :: v_dual_mov_b32 v5, v15
	v_cmpx_ne_u16_e32 0, v6
	s_cbranch_execz .LBB245_695
; %bb.688:                              ;   in Loop: Header=BB245_483 Depth=1
	v_bfrev_b32_e32 v4, 1
	v_mov_b32_e32 v5, 0
	s_mov_b32 s12, exec_lo
	v_cmpx_ne_u16_e32 0x80, v6
	s_cbranch_execz .LBB245_694
; %bb.689:                              ;   in Loop: Header=BB245_483 Depth=1
	v_mov_b32_e32 v4, 0x7f800001
	v_dual_mov_b32 v5, 0 :: v_dual_and_b32 v16, 0x7f, v112
	s_mov_b32 s13, exec_lo
	s_delay_alu instid0(VALU_DEP_1)
	v_cmpx_ne_u32_e32 0x7f, v16
	s_cbranch_execz .LBB245_693
; %bb.690:                              ;   in Loop: Header=BB245_483 Depth=1
	v_and_b32_e32 v6, 7, v112
	v_lshrrev_b32_e32 v4, 3, v16
	s_mov_b32 s15, exec_lo
	v_cmpx_gt_u32_e32 8, v16
; %bb.691:                              ;   in Loop: Header=BB245_483 Depth=1
	s_delay_alu instid0(VALU_DEP_3) | instskip(NEXT) | instid1(VALU_DEP_1)
	v_clz_i32_u32_e32 v4, v6
	v_min_u32_e32 v4, 32, v4
	s_delay_alu instid0(VALU_DEP_1) | instskip(SKIP_1) | instid1(VALU_DEP_2)
	v_subrev_nc_u32_e32 v5, 28, v4
	v_sub_nc_u32_e32 v4, 29, v4
	v_lshlrev_b64 v[5:6], v5, v[6:7]
	s_delay_alu instid0(VALU_DEP_1)
	v_and_b32_e32 v6, 7, v5
; %bb.692:                              ;   in Loop: Header=BB245_483 Depth=1
	s_or_b32 exec_lo, exec_lo, s15
	v_lshlrev_b32_e32 v5, 24, v112
	s_delay_alu instid0(VALU_DEP_2) | instskip(SKIP_1) | instid1(VALU_DEP_3)
	v_lshlrev_b32_e32 v6, 20, v6
	v_lshl_add_u32 v4, v4, 23, 0x3c000000
	v_and_b32_e32 v5, 0x80000000, v5
	s_delay_alu instid0(VALU_DEP_1) | instskip(NEXT) | instid1(VALU_DEP_1)
	v_or3_b32 v6, v6, v5, v4
	v_dual_mov_b32 v4, v6 :: v_dual_mov_b32 v5, v7
.LBB245_693:                            ;   in Loop: Header=BB245_483 Depth=1
	s_or_b32 exec_lo, exec_lo, s13
.LBB245_694:                            ;   in Loop: Header=BB245_483 Depth=1
	s_delay_alu instid0(SALU_CYCLE_1)
	s_or_b32 exec_lo, exec_lo, s12
.LBB245_695:                            ;   in Loop: Header=BB245_483 Depth=1
	s_delay_alu instid0(SALU_CYCLE_1) | instskip(SKIP_2) | instid1(VALU_DEP_1)
	s_or_b32 exec_lo, exec_lo, s10
	v_lshrrev_b16 v6, 8, v112
	s_mov_b32 s12, exec_lo
	v_cmpx_ne_u16_e32 0, v6
	s_cbranch_execz .LBB245_703
; %bb.696:                              ;   in Loop: Header=BB245_483 Depth=1
	v_dual_mov_b32 v15, s9 :: v_dual_mov_b32 v14, s8
	s_mov_b32 s13, exec_lo
	v_cmpx_ne_u16_e32 0x80, v6
	s_cbranch_execz .LBB245_702
; %bb.697:                              ;   in Loop: Header=BB245_483 Depth=1
	s_mov_b32 s10, s8
	v_dual_mov_b32 v15, s11 :: v_dual_and_b32 v6, 0xffff, v6
	v_mov_b32_e32 v14, s10
	s_mov_b32 s10, exec_lo
	s_delay_alu instid0(VALU_DEP_2) | instskip(NEXT) | instid1(VALU_DEP_1)
	v_and_b32_e32 v16, 0x7f, v6
	v_cmpx_ne_u32_e32 0x7f, v16
	s_cbranch_execz .LBB245_701
; %bb.698:                              ;   in Loop: Header=BB245_483 Depth=1
	v_and_b32_e32 v6, 7, v6
	v_lshrrev_b32_e32 v14, 3, v16
	s_mov_b32 s15, exec_lo
	v_cmpx_gt_u32_e32 8, v16
; %bb.699:                              ;   in Loop: Header=BB245_483 Depth=1
	s_delay_alu instid0(VALU_DEP_3) | instskip(NEXT) | instid1(VALU_DEP_1)
	v_clz_i32_u32_e32 v14, v6
	v_min_u32_e32 v14, 32, v14
	s_delay_alu instid0(VALU_DEP_1) | instskip(SKIP_1) | instid1(VALU_DEP_2)
	v_subrev_nc_u32_e32 v15, 28, v14
	v_sub_nc_u32_e32 v14, 29, v14
	v_lshlrev_b64 v[15:16], v15, v[6:7]
	s_delay_alu instid0(VALU_DEP_1)
	v_and_b32_e32 v6, 7, v15
; %bb.700:                              ;   in Loop: Header=BB245_483 Depth=1
	s_or_b32 exec_lo, exec_lo, s15
	v_lshlrev_b32_e32 v15, 16, v112
	s_delay_alu instid0(VALU_DEP_2) | instskip(SKIP_1) | instid1(VALU_DEP_3)
	v_lshlrev_b32_e32 v6, 20, v6
	v_lshl_add_u32 v14, v14, 23, 0x3c000000
	v_and_b32_e32 v15, 0x80000000, v15
	s_delay_alu instid0(VALU_DEP_1)
	v_or3_b32 v15, v6, v15, v14
	v_mov_b32_e32 v14, v7
.LBB245_701:                            ;   in Loop: Header=BB245_483 Depth=1
	s_or_b32 exec_lo, exec_lo, s10
.LBB245_702:                            ;   in Loop: Header=BB245_483 Depth=1
	s_delay_alu instid0(SALU_CYCLE_1)
	s_or_b32 exec_lo, exec_lo, s13
.LBB245_703:                            ;   in Loop: Header=BB245_483 Depth=1
	s_delay_alu instid0(SALU_CYCLE_1) | instskip(SKIP_4) | instid1(VALU_DEP_2)
	s_or_b32 exec_lo, exec_lo, s12
	v_mov_b32_e32 v18, 0
	v_lshrrev_b32_e32 v113, 16, v112
	v_mov_b32_e32 v19, 0
	s_mov_b32 s10, exec_lo
	v_and_b32_e32 v6, 0xff, v113
	s_delay_alu instid0(VALU_DEP_2) | instskip(NEXT) | instid1(VALU_DEP_2)
	v_dual_mov_b32 v16, v18 :: v_dual_mov_b32 v17, v19
	v_cmpx_ne_u16_e32 0, v6
	s_cbranch_execz .LBB245_711
; %bb.704:                              ;   in Loop: Header=BB245_483 Depth=1
	v_bfrev_b32_e32 v16, 1
	v_mov_b32_e32 v17, 0
	s_mov_b32 s12, exec_lo
	v_cmpx_ne_u16_e32 0x80, v6
	s_cbranch_execz .LBB245_710
; %bb.705:                              ;   in Loop: Header=BB245_483 Depth=1
	v_mov_b32_e32 v16, 0x7f800001
	v_bfe_u32 v114, v112, 16, 7
	v_mov_b32_e32 v17, 0
	s_mov_b32 s13, exec_lo
	s_delay_alu instid0(VALU_DEP_2)
	v_cmpx_ne_u32_e32 0x7f, v114
	s_cbranch_execz .LBB245_709
; %bb.706:                              ;   in Loop: Header=BB245_483 Depth=1
	v_and_b32_e32 v6, 7, v113
	v_lshrrev_b32_e32 v16, 3, v114
	s_mov_b32 s15, exec_lo
	v_cmpx_gt_u32_e32 8, v114
; %bb.707:                              ;   in Loop: Header=BB245_483 Depth=1
	s_delay_alu instid0(VALU_DEP_3) | instskip(NEXT) | instid1(VALU_DEP_1)
	v_clz_i32_u32_e32 v16, v6
	v_min_u32_e32 v16, 32, v16
	s_delay_alu instid0(VALU_DEP_1) | instskip(SKIP_1) | instid1(VALU_DEP_2)
	v_subrev_nc_u32_e32 v17, 28, v16
	v_sub_nc_u32_e32 v16, 29, v16
	v_lshlrev_b64 v[114:115], v17, v[6:7]
	s_delay_alu instid0(VALU_DEP_1)
	v_and_b32_e32 v6, 7, v114
; %bb.708:                              ;   in Loop: Header=BB245_483 Depth=1
	s_or_b32 exec_lo, exec_lo, s15
	v_lshlrev_b32_e32 v17, 24, v113
	s_delay_alu instid0(VALU_DEP_2) | instskip(SKIP_1) | instid1(VALU_DEP_3)
	v_lshlrev_b32_e32 v6, 20, v6
	v_lshl_add_u32 v16, v16, 23, 0x3c000000
	v_and_b32_e32 v17, 0x80000000, v17
	s_delay_alu instid0(VALU_DEP_1) | instskip(NEXT) | instid1(VALU_DEP_1)
	v_or3_b32 v6, v6, v17, v16
	v_dual_mov_b32 v17, v7 :: v_dual_mov_b32 v16, v6
.LBB245_709:                            ;   in Loop: Header=BB245_483 Depth=1
	s_or_b32 exec_lo, exec_lo, s13
.LBB245_710:                            ;   in Loop: Header=BB245_483 Depth=1
	s_delay_alu instid0(SALU_CYCLE_1)
	s_or_b32 exec_lo, exec_lo, s12
.LBB245_711:                            ;   in Loop: Header=BB245_483 Depth=1
	s_delay_alu instid0(SALU_CYCLE_1) | instskip(NEXT) | instid1(SALU_CYCLE_1)
	s_or_b32 exec_lo, exec_lo, s10
	s_mov_b32 s12, exec_lo
	v_cmpx_lt_u32_e32 0xffffff, v112
	s_cbranch_execz .LBB245_719
; %bb.712:                              ;   in Loop: Header=BB245_483 Depth=1
	v_lshrrev_b32_e32 v113, 24, v112
	v_dual_mov_b32 v19, s9 :: v_dual_mov_b32 v18, s8
	s_mov_b32 s13, exec_lo
	s_delay_alu instid0(VALU_DEP_2)
	v_cmpx_ne_u32_e32 0x80, v113
	s_cbranch_execz .LBB245_718
; %bb.713:                              ;   in Loop: Header=BB245_483 Depth=1
	s_mov_b32 s10, s8
	v_bfe_u32 v112, v112, 24, 7
	v_dual_mov_b32 v19, s11 :: v_dual_mov_b32 v18, s10
	s_mov_b32 s10, exec_lo
	s_delay_alu instid0(VALU_DEP_2)
	v_cmpx_ne_u32_e32 0x7f, v112
	s_cbranch_execz .LBB245_717
; %bb.714:                              ;   in Loop: Header=BB245_483 Depth=1
	v_and_b32_e32 v6, 7, v113
	v_lshrrev_b32_e32 v18, 3, v112
	s_mov_b32 s15, exec_lo
	v_cmpx_gt_u32_e32 8, v112
; %bb.715:                              ;   in Loop: Header=BB245_483 Depth=1
	s_delay_alu instid0(VALU_DEP_3) | instskip(NEXT) | instid1(VALU_DEP_1)
	v_clz_i32_u32_e32 v18, v6
	v_min_u32_e32 v18, 32, v18
	s_delay_alu instid0(VALU_DEP_1) | instskip(SKIP_1) | instid1(VALU_DEP_2)
	v_subrev_nc_u32_e32 v19, 28, v18
	v_sub_nc_u32_e32 v18, 29, v18
	v_lshlrev_b64 v[114:115], v19, v[6:7]
	s_delay_alu instid0(VALU_DEP_1)
	v_and_b32_e32 v6, 7, v114
; %bb.716:                              ;   in Loop: Header=BB245_483 Depth=1
	s_or_b32 exec_lo, exec_lo, s15
	v_lshlrev_b32_e32 v19, 24, v113
	s_delay_alu instid0(VALU_DEP_2) | instskip(SKIP_1) | instid1(VALU_DEP_3)
	v_lshlrev_b32_e32 v6, 20, v6
	v_lshl_add_u32 v18, v18, 23, 0x3c000000
	v_and_b32_e32 v19, 0x80000000, v19
	s_delay_alu instid0(VALU_DEP_1)
	v_or3_b32 v19, v6, v19, v18
	v_mov_b32_e32 v18, v7
.LBB245_717:                            ;   in Loop: Header=BB245_483 Depth=1
	s_or_b32 exec_lo, exec_lo, s10
.LBB245_718:                            ;   in Loop: Header=BB245_483 Depth=1
	s_delay_alu instid0(SALU_CYCLE_1)
	s_or_b32 exec_lo, exec_lo, s13
.LBB245_719:                            ;   in Loop: Header=BB245_483 Depth=1
	s_delay_alu instid0(SALU_CYCLE_1) | instskip(SKIP_4) | instid1(VALU_DEP_3)
	s_or_b32 exec_lo, exec_lo, s12
	v_or_b32_e32 v5, v15, v5
	v_or_b32_e32 v4, v14, v4
	;; [unrolled: 1-line block ×4, first 2 shown]
	v_dual_mul_f32 v115, v52, v5 :: v_dual_mul_f32 v114, v49, v4
	s_delay_alu instid0(VALU_DEP_3) | instskip(NEXT) | instid1(VALU_DEP_3)
	v_mul_f32_e32 v112, v52, v6
	v_mul_f32_e32 v113, v49, v14
	s_and_saveexec_b32 s10, vcc_lo
; %bb.720:                              ;   in Loop: Header=BB245_483 Depth=1
	v_cmp_lt_i32_e64 s0, v65, v128
	s_delay_alu instid0(VALU_DEP_1) | instskip(SKIP_1) | instid1(VALU_DEP_1)
	v_cndmask_b32_e64 v114, 0, v114, s0
	v_cmp_lt_i32_e64 s0, v67, v128
	v_cndmask_b32_e64 v115, 0, v115, s0
	v_cmp_lt_i32_e64 s0, v66, v128
	s_delay_alu instid0(VALU_DEP_1) | instskip(SKIP_1) | instid1(VALU_DEP_1)
	v_cndmask_b32_e64 v113, 0, v113, s0
	v_cmp_lt_i32_e64 s0, v21, v128
	v_cndmask_b32_e64 v112, 0, v112, s0
; %bb.721:                              ;   in Loop: Header=BB245_483 Depth=1
	s_or_b32 exec_lo, exec_lo, s10
	flat_load_b32 v116, v[12:13] offset:896
	v_mov_b32_e32 v14, 0
	v_mov_b32_e32 v15, 0
	s_mov_b32 s10, exec_lo
	s_waitcnt vmcnt(0) lgkmcnt(0)
	v_and_b32_e32 v6, 0xff, v116
	s_delay_alu instid0(VALU_DEP_2) | instskip(NEXT) | instid1(VALU_DEP_2)
	v_dual_mov_b32 v4, v14 :: v_dual_mov_b32 v5, v15
	v_cmpx_ne_u16_e32 0, v6
	s_cbranch_execz .LBB245_729
; %bb.722:                              ;   in Loop: Header=BB245_483 Depth=1
	v_bfrev_b32_e32 v4, 1
	v_mov_b32_e32 v5, 0
	s_mov_b32 s12, exec_lo
	v_cmpx_ne_u16_e32 0x80, v6
	s_cbranch_execz .LBB245_728
; %bb.723:                              ;   in Loop: Header=BB245_483 Depth=1
	v_mov_b32_e32 v4, 0x7f800001
	v_dual_mov_b32 v5, 0 :: v_dual_and_b32 v16, 0x7f, v116
	s_mov_b32 s13, exec_lo
	s_delay_alu instid0(VALU_DEP_1)
	v_cmpx_ne_u32_e32 0x7f, v16
	s_cbranch_execz .LBB245_727
; %bb.724:                              ;   in Loop: Header=BB245_483 Depth=1
	v_and_b32_e32 v6, 7, v116
	v_lshrrev_b32_e32 v4, 3, v16
	s_mov_b32 s15, exec_lo
	v_cmpx_gt_u32_e32 8, v16
; %bb.725:                              ;   in Loop: Header=BB245_483 Depth=1
	s_delay_alu instid0(VALU_DEP_3) | instskip(NEXT) | instid1(VALU_DEP_1)
	v_clz_i32_u32_e32 v4, v6
	v_min_u32_e32 v4, 32, v4
	s_delay_alu instid0(VALU_DEP_1) | instskip(SKIP_1) | instid1(VALU_DEP_2)
	v_subrev_nc_u32_e32 v5, 28, v4
	v_sub_nc_u32_e32 v4, 29, v4
	v_lshlrev_b64 v[5:6], v5, v[6:7]
	s_delay_alu instid0(VALU_DEP_1)
	v_and_b32_e32 v6, 7, v5
; %bb.726:                              ;   in Loop: Header=BB245_483 Depth=1
	s_or_b32 exec_lo, exec_lo, s15
	v_lshlrev_b32_e32 v5, 24, v116
	s_delay_alu instid0(VALU_DEP_2) | instskip(SKIP_1) | instid1(VALU_DEP_3)
	v_lshlrev_b32_e32 v6, 20, v6
	v_lshl_add_u32 v4, v4, 23, 0x3c000000
	v_and_b32_e32 v5, 0x80000000, v5
	s_delay_alu instid0(VALU_DEP_1) | instskip(NEXT) | instid1(VALU_DEP_1)
	v_or3_b32 v6, v6, v5, v4
	v_dual_mov_b32 v4, v6 :: v_dual_mov_b32 v5, v7
.LBB245_727:                            ;   in Loop: Header=BB245_483 Depth=1
	s_or_b32 exec_lo, exec_lo, s13
.LBB245_728:                            ;   in Loop: Header=BB245_483 Depth=1
	s_delay_alu instid0(SALU_CYCLE_1)
	s_or_b32 exec_lo, exec_lo, s12
.LBB245_729:                            ;   in Loop: Header=BB245_483 Depth=1
	s_delay_alu instid0(SALU_CYCLE_1) | instskip(SKIP_2) | instid1(VALU_DEP_1)
	s_or_b32 exec_lo, exec_lo, s10
	v_lshrrev_b16 v6, 8, v116
	s_mov_b32 s12, exec_lo
	v_cmpx_ne_u16_e32 0, v6
	s_cbranch_execz .LBB245_737
; %bb.730:                              ;   in Loop: Header=BB245_483 Depth=1
	v_dual_mov_b32 v15, s9 :: v_dual_mov_b32 v14, s8
	s_mov_b32 s13, exec_lo
	v_cmpx_ne_u16_e32 0x80, v6
	s_cbranch_execz .LBB245_736
; %bb.731:                              ;   in Loop: Header=BB245_483 Depth=1
	s_mov_b32 s10, s8
	v_dual_mov_b32 v15, s11 :: v_dual_and_b32 v6, 0xffff, v6
	v_mov_b32_e32 v14, s10
	s_mov_b32 s10, exec_lo
	s_delay_alu instid0(VALU_DEP_2) | instskip(NEXT) | instid1(VALU_DEP_1)
	v_and_b32_e32 v16, 0x7f, v6
	v_cmpx_ne_u32_e32 0x7f, v16
	s_cbranch_execz .LBB245_735
; %bb.732:                              ;   in Loop: Header=BB245_483 Depth=1
	v_and_b32_e32 v6, 7, v6
	v_lshrrev_b32_e32 v14, 3, v16
	s_mov_b32 s15, exec_lo
	v_cmpx_gt_u32_e32 8, v16
; %bb.733:                              ;   in Loop: Header=BB245_483 Depth=1
	s_delay_alu instid0(VALU_DEP_3) | instskip(NEXT) | instid1(VALU_DEP_1)
	v_clz_i32_u32_e32 v14, v6
	v_min_u32_e32 v14, 32, v14
	s_delay_alu instid0(VALU_DEP_1) | instskip(SKIP_1) | instid1(VALU_DEP_2)
	v_subrev_nc_u32_e32 v15, 28, v14
	v_sub_nc_u32_e32 v14, 29, v14
	v_lshlrev_b64 v[15:16], v15, v[6:7]
	s_delay_alu instid0(VALU_DEP_1)
	v_and_b32_e32 v6, 7, v15
; %bb.734:                              ;   in Loop: Header=BB245_483 Depth=1
	s_or_b32 exec_lo, exec_lo, s15
	v_lshlrev_b32_e32 v15, 16, v116
	s_delay_alu instid0(VALU_DEP_2) | instskip(SKIP_1) | instid1(VALU_DEP_3)
	v_lshlrev_b32_e32 v6, 20, v6
	v_lshl_add_u32 v14, v14, 23, 0x3c000000
	v_and_b32_e32 v15, 0x80000000, v15
	s_delay_alu instid0(VALU_DEP_1)
	v_or3_b32 v15, v6, v15, v14
	v_mov_b32_e32 v14, v7
.LBB245_735:                            ;   in Loop: Header=BB245_483 Depth=1
	s_or_b32 exec_lo, exec_lo, s10
.LBB245_736:                            ;   in Loop: Header=BB245_483 Depth=1
	s_delay_alu instid0(SALU_CYCLE_1)
	s_or_b32 exec_lo, exec_lo, s13
.LBB245_737:                            ;   in Loop: Header=BB245_483 Depth=1
	s_delay_alu instid0(SALU_CYCLE_1) | instskip(SKIP_4) | instid1(VALU_DEP_2)
	s_or_b32 exec_lo, exec_lo, s12
	v_mov_b32_e32 v18, 0
	v_lshrrev_b32_e32 v117, 16, v116
	v_mov_b32_e32 v19, 0
	s_mov_b32 s10, exec_lo
	v_and_b32_e32 v6, 0xff, v117
	s_delay_alu instid0(VALU_DEP_2) | instskip(NEXT) | instid1(VALU_DEP_2)
	v_dual_mov_b32 v16, v18 :: v_dual_mov_b32 v17, v19
	v_cmpx_ne_u16_e32 0, v6
	s_cbranch_execz .LBB245_745
; %bb.738:                              ;   in Loop: Header=BB245_483 Depth=1
	v_bfrev_b32_e32 v16, 1
	v_mov_b32_e32 v17, 0
	s_mov_b32 s12, exec_lo
	v_cmpx_ne_u16_e32 0x80, v6
	s_cbranch_execz .LBB245_744
; %bb.739:                              ;   in Loop: Header=BB245_483 Depth=1
	v_mov_b32_e32 v16, 0x7f800001
	v_bfe_u32 v118, v116, 16, 7
	v_mov_b32_e32 v17, 0
	s_mov_b32 s13, exec_lo
	s_delay_alu instid0(VALU_DEP_2)
	v_cmpx_ne_u32_e32 0x7f, v118
	s_cbranch_execz .LBB245_743
; %bb.740:                              ;   in Loop: Header=BB245_483 Depth=1
	v_and_b32_e32 v6, 7, v117
	v_lshrrev_b32_e32 v16, 3, v118
	s_mov_b32 s15, exec_lo
	v_cmpx_gt_u32_e32 8, v118
; %bb.741:                              ;   in Loop: Header=BB245_483 Depth=1
	s_delay_alu instid0(VALU_DEP_3) | instskip(NEXT) | instid1(VALU_DEP_1)
	v_clz_i32_u32_e32 v16, v6
	v_min_u32_e32 v16, 32, v16
	s_delay_alu instid0(VALU_DEP_1) | instskip(SKIP_1) | instid1(VALU_DEP_2)
	v_subrev_nc_u32_e32 v17, 28, v16
	v_sub_nc_u32_e32 v16, 29, v16
	v_lshlrev_b64 v[118:119], v17, v[6:7]
	s_delay_alu instid0(VALU_DEP_1)
	v_and_b32_e32 v6, 7, v118
; %bb.742:                              ;   in Loop: Header=BB245_483 Depth=1
	s_or_b32 exec_lo, exec_lo, s15
	v_lshlrev_b32_e32 v17, 24, v117
	s_delay_alu instid0(VALU_DEP_2) | instskip(SKIP_1) | instid1(VALU_DEP_3)
	v_lshlrev_b32_e32 v6, 20, v6
	v_lshl_add_u32 v16, v16, 23, 0x3c000000
	v_and_b32_e32 v17, 0x80000000, v17
	s_delay_alu instid0(VALU_DEP_1) | instskip(NEXT) | instid1(VALU_DEP_1)
	v_or3_b32 v6, v6, v17, v16
	v_dual_mov_b32 v17, v7 :: v_dual_mov_b32 v16, v6
.LBB245_743:                            ;   in Loop: Header=BB245_483 Depth=1
	s_or_b32 exec_lo, exec_lo, s13
.LBB245_744:                            ;   in Loop: Header=BB245_483 Depth=1
	s_delay_alu instid0(SALU_CYCLE_1)
	s_or_b32 exec_lo, exec_lo, s12
.LBB245_745:                            ;   in Loop: Header=BB245_483 Depth=1
	s_delay_alu instid0(SALU_CYCLE_1) | instskip(NEXT) | instid1(SALU_CYCLE_1)
	s_or_b32 exec_lo, exec_lo, s10
	s_mov_b32 s12, exec_lo
	v_cmpx_lt_u32_e32 0xffffff, v116
	s_cbranch_execz .LBB245_753
; %bb.746:                              ;   in Loop: Header=BB245_483 Depth=1
	v_lshrrev_b32_e32 v117, 24, v116
	v_dual_mov_b32 v19, s9 :: v_dual_mov_b32 v18, s8
	s_mov_b32 s13, exec_lo
	s_delay_alu instid0(VALU_DEP_2)
	v_cmpx_ne_u32_e32 0x80, v117
	s_cbranch_execz .LBB245_752
; %bb.747:                              ;   in Loop: Header=BB245_483 Depth=1
	s_mov_b32 s10, s8
	v_bfe_u32 v116, v116, 24, 7
	v_dual_mov_b32 v19, s11 :: v_dual_mov_b32 v18, s10
	s_mov_b32 s10, exec_lo
	s_delay_alu instid0(VALU_DEP_2)
	v_cmpx_ne_u32_e32 0x7f, v116
	s_cbranch_execz .LBB245_751
; %bb.748:                              ;   in Loop: Header=BB245_483 Depth=1
	v_and_b32_e32 v6, 7, v117
	v_lshrrev_b32_e32 v18, 3, v116
	s_mov_b32 s15, exec_lo
	v_cmpx_gt_u32_e32 8, v116
; %bb.749:                              ;   in Loop: Header=BB245_483 Depth=1
	s_delay_alu instid0(VALU_DEP_3) | instskip(NEXT) | instid1(VALU_DEP_1)
	v_clz_i32_u32_e32 v18, v6
	v_min_u32_e32 v18, 32, v18
	s_delay_alu instid0(VALU_DEP_1) | instskip(SKIP_1) | instid1(VALU_DEP_2)
	v_subrev_nc_u32_e32 v19, 28, v18
	v_sub_nc_u32_e32 v18, 29, v18
	v_lshlrev_b64 v[118:119], v19, v[6:7]
	s_delay_alu instid0(VALU_DEP_1)
	v_and_b32_e32 v6, 7, v118
; %bb.750:                              ;   in Loop: Header=BB245_483 Depth=1
	s_or_b32 exec_lo, exec_lo, s15
	v_lshlrev_b32_e32 v19, 24, v117
	s_delay_alu instid0(VALU_DEP_2) | instskip(SKIP_1) | instid1(VALU_DEP_3)
	v_lshlrev_b32_e32 v6, 20, v6
	v_lshl_add_u32 v18, v18, 23, 0x3c000000
	v_and_b32_e32 v19, 0x80000000, v19
	s_delay_alu instid0(VALU_DEP_1)
	v_or3_b32 v19, v6, v19, v18
	v_mov_b32_e32 v18, v7
.LBB245_751:                            ;   in Loop: Header=BB245_483 Depth=1
	s_or_b32 exec_lo, exec_lo, s10
.LBB245_752:                            ;   in Loop: Header=BB245_483 Depth=1
	s_delay_alu instid0(SALU_CYCLE_1)
	s_or_b32 exec_lo, exec_lo, s13
.LBB245_753:                            ;   in Loop: Header=BB245_483 Depth=1
	s_delay_alu instid0(SALU_CYCLE_1) | instskip(SKIP_4) | instid1(VALU_DEP_3)
	s_or_b32 exec_lo, exec_lo, s12
	v_or_b32_e32 v5, v15, v5
	v_or_b32_e32 v4, v14, v4
	;; [unrolled: 1-line block ×4, first 2 shown]
	v_dual_mul_f32 v119, v52, v5 :: v_dual_mul_f32 v118, v49, v4
	s_delay_alu instid0(VALU_DEP_3) | instskip(NEXT) | instid1(VALU_DEP_3)
	v_mul_f32_e32 v116, v52, v6
	v_mul_f32_e32 v117, v49, v14
	s_and_saveexec_b32 s10, vcc_lo
; %bb.754:                              ;   in Loop: Header=BB245_483 Depth=1
	v_cmp_lt_i32_e64 s0, v65, v128
	s_delay_alu instid0(VALU_DEP_1) | instskip(SKIP_1) | instid1(VALU_DEP_1)
	v_cndmask_b32_e64 v118, 0, v118, s0
	v_cmp_lt_i32_e64 s0, v67, v128
	v_cndmask_b32_e64 v119, 0, v119, s0
	v_cmp_lt_i32_e64 s0, v66, v128
	s_delay_alu instid0(VALU_DEP_1) | instskip(SKIP_1) | instid1(VALU_DEP_1)
	v_cndmask_b32_e64 v117, 0, v117, s0
	v_cmp_lt_i32_e64 s0, v21, v128
	v_cndmask_b32_e64 v116, 0, v116, s0
; %bb.755:                              ;   in Loop: Header=BB245_483 Depth=1
	s_or_b32 exec_lo, exec_lo, s10
	flat_load_b32 v130, v[12:13] offset:1024
	v_mov_b32_e32 v14, 0
	v_mov_b32_e32 v15, 0
	s_mov_b32 s10, exec_lo
	s_waitcnt vmcnt(0) lgkmcnt(0)
	v_and_b32_e32 v6, 0xff, v130
	s_delay_alu instid0(VALU_DEP_2) | instskip(NEXT) | instid1(VALU_DEP_2)
	v_dual_mov_b32 v4, v14 :: v_dual_mov_b32 v5, v15
	v_cmpx_ne_u16_e32 0, v6
	s_cbranch_execz .LBB245_763
; %bb.756:                              ;   in Loop: Header=BB245_483 Depth=1
	v_bfrev_b32_e32 v4, 1
	v_mov_b32_e32 v5, 0
	s_mov_b32 s12, exec_lo
	v_cmpx_ne_u16_e32 0x80, v6
	s_cbranch_execz .LBB245_762
; %bb.757:                              ;   in Loop: Header=BB245_483 Depth=1
	v_mov_b32_e32 v4, 0x7f800001
	v_dual_mov_b32 v5, 0 :: v_dual_and_b32 v16, 0x7f, v130
	s_mov_b32 s13, exec_lo
	s_delay_alu instid0(VALU_DEP_1)
	v_cmpx_ne_u32_e32 0x7f, v16
	s_cbranch_execz .LBB245_761
; %bb.758:                              ;   in Loop: Header=BB245_483 Depth=1
	v_and_b32_e32 v6, 7, v130
	v_lshrrev_b32_e32 v4, 3, v16
	s_mov_b32 s15, exec_lo
	v_cmpx_gt_u32_e32 8, v16
; %bb.759:                              ;   in Loop: Header=BB245_483 Depth=1
	s_delay_alu instid0(VALU_DEP_3) | instskip(NEXT) | instid1(VALU_DEP_1)
	v_clz_i32_u32_e32 v4, v6
	v_min_u32_e32 v4, 32, v4
	s_delay_alu instid0(VALU_DEP_1) | instskip(SKIP_1) | instid1(VALU_DEP_2)
	v_subrev_nc_u32_e32 v5, 28, v4
	v_sub_nc_u32_e32 v4, 29, v4
	v_lshlrev_b64 v[5:6], v5, v[6:7]
	s_delay_alu instid0(VALU_DEP_1)
	v_and_b32_e32 v6, 7, v5
; %bb.760:                              ;   in Loop: Header=BB245_483 Depth=1
	s_or_b32 exec_lo, exec_lo, s15
	v_lshlrev_b32_e32 v5, 24, v130
	s_delay_alu instid0(VALU_DEP_2) | instskip(SKIP_1) | instid1(VALU_DEP_3)
	v_lshlrev_b32_e32 v6, 20, v6
	v_lshl_add_u32 v4, v4, 23, 0x3c000000
	v_and_b32_e32 v5, 0x80000000, v5
	s_delay_alu instid0(VALU_DEP_1) | instskip(NEXT) | instid1(VALU_DEP_1)
	v_or3_b32 v6, v6, v5, v4
	v_dual_mov_b32 v4, v6 :: v_dual_mov_b32 v5, v7
.LBB245_761:                            ;   in Loop: Header=BB245_483 Depth=1
	s_or_b32 exec_lo, exec_lo, s13
.LBB245_762:                            ;   in Loop: Header=BB245_483 Depth=1
	s_delay_alu instid0(SALU_CYCLE_1)
	s_or_b32 exec_lo, exec_lo, s12
.LBB245_763:                            ;   in Loop: Header=BB245_483 Depth=1
	s_delay_alu instid0(SALU_CYCLE_1) | instskip(SKIP_2) | instid1(VALU_DEP_1)
	s_or_b32 exec_lo, exec_lo, s10
	v_lshrrev_b16 v6, 8, v130
	s_mov_b32 s12, exec_lo
	v_cmpx_ne_u16_e32 0, v6
	s_cbranch_execz .LBB245_771
; %bb.764:                              ;   in Loop: Header=BB245_483 Depth=1
	v_dual_mov_b32 v15, s9 :: v_dual_mov_b32 v14, s8
	s_mov_b32 s13, exec_lo
	v_cmpx_ne_u16_e32 0x80, v6
	s_cbranch_execz .LBB245_770
; %bb.765:                              ;   in Loop: Header=BB245_483 Depth=1
	s_mov_b32 s10, s8
	v_dual_mov_b32 v15, s11 :: v_dual_and_b32 v6, 0xffff, v6
	v_mov_b32_e32 v14, s10
	s_mov_b32 s10, exec_lo
	s_delay_alu instid0(VALU_DEP_2) | instskip(NEXT) | instid1(VALU_DEP_1)
	v_and_b32_e32 v16, 0x7f, v6
	v_cmpx_ne_u32_e32 0x7f, v16
	s_cbranch_execz .LBB245_769
; %bb.766:                              ;   in Loop: Header=BB245_483 Depth=1
	v_and_b32_e32 v6, 7, v6
	v_lshrrev_b32_e32 v14, 3, v16
	s_mov_b32 s15, exec_lo
	v_cmpx_gt_u32_e32 8, v16
; %bb.767:                              ;   in Loop: Header=BB245_483 Depth=1
	s_delay_alu instid0(VALU_DEP_3) | instskip(NEXT) | instid1(VALU_DEP_1)
	v_clz_i32_u32_e32 v14, v6
	v_min_u32_e32 v14, 32, v14
	s_delay_alu instid0(VALU_DEP_1) | instskip(SKIP_1) | instid1(VALU_DEP_2)
	v_subrev_nc_u32_e32 v15, 28, v14
	v_sub_nc_u32_e32 v14, 29, v14
	v_lshlrev_b64 v[15:16], v15, v[6:7]
	s_delay_alu instid0(VALU_DEP_1)
	v_and_b32_e32 v6, 7, v15
; %bb.768:                              ;   in Loop: Header=BB245_483 Depth=1
	s_or_b32 exec_lo, exec_lo, s15
	v_lshlrev_b32_e32 v15, 16, v130
	s_delay_alu instid0(VALU_DEP_2) | instskip(SKIP_1) | instid1(VALU_DEP_3)
	v_lshlrev_b32_e32 v6, 20, v6
	v_lshl_add_u32 v14, v14, 23, 0x3c000000
	v_and_b32_e32 v15, 0x80000000, v15
	s_delay_alu instid0(VALU_DEP_1)
	v_or3_b32 v15, v6, v15, v14
	v_mov_b32_e32 v14, v7
.LBB245_769:                            ;   in Loop: Header=BB245_483 Depth=1
	s_or_b32 exec_lo, exec_lo, s10
.LBB245_770:                            ;   in Loop: Header=BB245_483 Depth=1
	s_delay_alu instid0(SALU_CYCLE_1)
	s_or_b32 exec_lo, exec_lo, s13
.LBB245_771:                            ;   in Loop: Header=BB245_483 Depth=1
	s_delay_alu instid0(SALU_CYCLE_1) | instskip(SKIP_4) | instid1(VALU_DEP_2)
	s_or_b32 exec_lo, exec_lo, s12
	v_mov_b32_e32 v18, 0
	v_lshrrev_b32_e32 v131, 16, v130
	v_mov_b32_e32 v19, 0
	s_mov_b32 s10, exec_lo
	v_and_b32_e32 v6, 0xff, v131
	s_delay_alu instid0(VALU_DEP_2) | instskip(NEXT) | instid1(VALU_DEP_2)
	v_dual_mov_b32 v16, v18 :: v_dual_mov_b32 v17, v19
	v_cmpx_ne_u16_e32 0, v6
	s_cbranch_execz .LBB245_779
; %bb.772:                              ;   in Loop: Header=BB245_483 Depth=1
	v_bfrev_b32_e32 v16, 1
	v_mov_b32_e32 v17, 0
	s_mov_b32 s12, exec_lo
	v_cmpx_ne_u16_e32 0x80, v6
	s_cbranch_execz .LBB245_778
; %bb.773:                              ;   in Loop: Header=BB245_483 Depth=1
	v_mov_b32_e32 v16, 0x7f800001
	v_bfe_u32 v132, v130, 16, 7
	v_mov_b32_e32 v17, 0
	s_mov_b32 s13, exec_lo
	s_delay_alu instid0(VALU_DEP_2)
	v_cmpx_ne_u32_e32 0x7f, v132
	s_cbranch_execz .LBB245_777
; %bb.774:                              ;   in Loop: Header=BB245_483 Depth=1
	v_and_b32_e32 v6, 7, v131
	v_lshrrev_b32_e32 v16, 3, v132
	s_mov_b32 s15, exec_lo
	v_cmpx_gt_u32_e32 8, v132
; %bb.775:                              ;   in Loop: Header=BB245_483 Depth=1
	s_delay_alu instid0(VALU_DEP_3) | instskip(NEXT) | instid1(VALU_DEP_1)
	v_clz_i32_u32_e32 v16, v6
	v_min_u32_e32 v16, 32, v16
	s_delay_alu instid0(VALU_DEP_1) | instskip(SKIP_1) | instid1(VALU_DEP_2)
	v_subrev_nc_u32_e32 v17, 28, v16
	v_sub_nc_u32_e32 v16, 29, v16
	v_lshlrev_b64 v[132:133], v17, v[6:7]
	s_delay_alu instid0(VALU_DEP_1)
	v_and_b32_e32 v6, 7, v132
; %bb.776:                              ;   in Loop: Header=BB245_483 Depth=1
	s_or_b32 exec_lo, exec_lo, s15
	v_lshlrev_b32_e32 v17, 24, v131
	s_delay_alu instid0(VALU_DEP_2) | instskip(SKIP_1) | instid1(VALU_DEP_3)
	v_lshlrev_b32_e32 v6, 20, v6
	v_lshl_add_u32 v16, v16, 23, 0x3c000000
	v_and_b32_e32 v17, 0x80000000, v17
	s_delay_alu instid0(VALU_DEP_1) | instskip(NEXT) | instid1(VALU_DEP_1)
	v_or3_b32 v6, v6, v17, v16
	v_dual_mov_b32 v17, v7 :: v_dual_mov_b32 v16, v6
.LBB245_777:                            ;   in Loop: Header=BB245_483 Depth=1
	s_or_b32 exec_lo, exec_lo, s13
.LBB245_778:                            ;   in Loop: Header=BB245_483 Depth=1
	s_delay_alu instid0(SALU_CYCLE_1)
	s_or_b32 exec_lo, exec_lo, s12
.LBB245_779:                            ;   in Loop: Header=BB245_483 Depth=1
	s_delay_alu instid0(SALU_CYCLE_1) | instskip(NEXT) | instid1(SALU_CYCLE_1)
	s_or_b32 exec_lo, exec_lo, s10
	s_mov_b32 s12, exec_lo
	v_cmpx_lt_u32_e32 0xffffff, v130
	s_cbranch_execz .LBB245_787
; %bb.780:                              ;   in Loop: Header=BB245_483 Depth=1
	v_lshrrev_b32_e32 v131, 24, v130
	v_dual_mov_b32 v19, s9 :: v_dual_mov_b32 v18, s8
	s_mov_b32 s13, exec_lo
	s_delay_alu instid0(VALU_DEP_2)
	v_cmpx_ne_u32_e32 0x80, v131
	s_cbranch_execz .LBB245_786
; %bb.781:                              ;   in Loop: Header=BB245_483 Depth=1
	s_mov_b32 s10, s8
	v_bfe_u32 v130, v130, 24, 7
	v_dual_mov_b32 v19, s11 :: v_dual_mov_b32 v18, s10
	s_mov_b32 s10, exec_lo
	s_delay_alu instid0(VALU_DEP_2)
	v_cmpx_ne_u32_e32 0x7f, v130
	s_cbranch_execz .LBB245_785
; %bb.782:                              ;   in Loop: Header=BB245_483 Depth=1
	v_and_b32_e32 v6, 7, v131
	v_lshrrev_b32_e32 v18, 3, v130
	s_mov_b32 s15, exec_lo
	v_cmpx_gt_u32_e32 8, v130
; %bb.783:                              ;   in Loop: Header=BB245_483 Depth=1
	s_delay_alu instid0(VALU_DEP_3) | instskip(NEXT) | instid1(VALU_DEP_1)
	v_clz_i32_u32_e32 v18, v6
	v_min_u32_e32 v18, 32, v18
	s_delay_alu instid0(VALU_DEP_1) | instskip(SKIP_1) | instid1(VALU_DEP_2)
	v_subrev_nc_u32_e32 v19, 28, v18
	v_sub_nc_u32_e32 v18, 29, v18
	v_lshlrev_b64 v[132:133], v19, v[6:7]
	s_delay_alu instid0(VALU_DEP_1)
	v_and_b32_e32 v6, 7, v132
; %bb.784:                              ;   in Loop: Header=BB245_483 Depth=1
	s_or_b32 exec_lo, exec_lo, s15
	v_lshlrev_b32_e32 v19, 24, v131
	s_delay_alu instid0(VALU_DEP_2) | instskip(SKIP_1) | instid1(VALU_DEP_3)
	v_lshlrev_b32_e32 v6, 20, v6
	v_lshl_add_u32 v18, v18, 23, 0x3c000000
	v_and_b32_e32 v19, 0x80000000, v19
	s_delay_alu instid0(VALU_DEP_1)
	v_or3_b32 v19, v6, v19, v18
	v_mov_b32_e32 v18, v7
.LBB245_785:                            ;   in Loop: Header=BB245_483 Depth=1
	s_or_b32 exec_lo, exec_lo, s10
.LBB245_786:                            ;   in Loop: Header=BB245_483 Depth=1
	s_delay_alu instid0(SALU_CYCLE_1)
	s_or_b32 exec_lo, exec_lo, s13
.LBB245_787:                            ;   in Loop: Header=BB245_483 Depth=1
	s_delay_alu instid0(SALU_CYCLE_1) | instskip(SKIP_4) | instid1(VALU_DEP_3)
	s_or_b32 exec_lo, exec_lo, s12
	v_or_b32_e32 v5, v15, v5
	v_or_b32_e32 v4, v14, v4
	v_or_b32_e32 v6, v19, v17
	v_or_b32_e32 v14, v18, v16
	v_dual_mul_f32 v133, v52, v5 :: v_dual_mul_f32 v132, v49, v4
	s_delay_alu instid0(VALU_DEP_3) | instskip(NEXT) | instid1(VALU_DEP_3)
	v_mul_f32_e32 v130, v52, v6
	v_mul_f32_e32 v131, v49, v14
	s_and_saveexec_b32 s10, vcc_lo
; %bb.788:                              ;   in Loop: Header=BB245_483 Depth=1
	v_cmp_lt_i32_e64 s0, v65, v128
	s_delay_alu instid0(VALU_DEP_1) | instskip(SKIP_1) | instid1(VALU_DEP_1)
	v_cndmask_b32_e64 v132, 0, v132, s0
	v_cmp_lt_i32_e64 s0, v67, v128
	v_cndmask_b32_e64 v133, 0, v133, s0
	v_cmp_lt_i32_e64 s0, v66, v128
	s_delay_alu instid0(VALU_DEP_1) | instskip(SKIP_1) | instid1(VALU_DEP_1)
	v_cndmask_b32_e64 v131, 0, v131, s0
	v_cmp_lt_i32_e64 s0, v21, v128
	v_cndmask_b32_e64 v130, 0, v130, s0
; %bb.789:                              ;   in Loop: Header=BB245_483 Depth=1
	s_or_b32 exec_lo, exec_lo, s10
	flat_load_b32 v134, v[12:13] offset:1152
	v_mov_b32_e32 v14, 0
	v_mov_b32_e32 v15, 0
	s_mov_b32 s10, exec_lo
	s_waitcnt vmcnt(0) lgkmcnt(0)
	v_and_b32_e32 v6, 0xff, v134
	s_delay_alu instid0(VALU_DEP_2) | instskip(NEXT) | instid1(VALU_DEP_2)
	v_dual_mov_b32 v4, v14 :: v_dual_mov_b32 v5, v15
	v_cmpx_ne_u16_e32 0, v6
	s_cbranch_execz .LBB245_797
; %bb.790:                              ;   in Loop: Header=BB245_483 Depth=1
	v_bfrev_b32_e32 v4, 1
	v_mov_b32_e32 v5, 0
	s_mov_b32 s12, exec_lo
	v_cmpx_ne_u16_e32 0x80, v6
	s_cbranch_execz .LBB245_796
; %bb.791:                              ;   in Loop: Header=BB245_483 Depth=1
	v_mov_b32_e32 v4, 0x7f800001
	v_dual_mov_b32 v5, 0 :: v_dual_and_b32 v16, 0x7f, v134
	s_mov_b32 s13, exec_lo
	s_delay_alu instid0(VALU_DEP_1)
	v_cmpx_ne_u32_e32 0x7f, v16
	s_cbranch_execz .LBB245_795
; %bb.792:                              ;   in Loop: Header=BB245_483 Depth=1
	v_and_b32_e32 v6, 7, v134
	v_lshrrev_b32_e32 v4, 3, v16
	s_mov_b32 s15, exec_lo
	v_cmpx_gt_u32_e32 8, v16
; %bb.793:                              ;   in Loop: Header=BB245_483 Depth=1
	s_delay_alu instid0(VALU_DEP_3) | instskip(NEXT) | instid1(VALU_DEP_1)
	v_clz_i32_u32_e32 v4, v6
	v_min_u32_e32 v4, 32, v4
	s_delay_alu instid0(VALU_DEP_1) | instskip(SKIP_1) | instid1(VALU_DEP_2)
	v_subrev_nc_u32_e32 v5, 28, v4
	v_sub_nc_u32_e32 v4, 29, v4
	v_lshlrev_b64 v[5:6], v5, v[6:7]
	s_delay_alu instid0(VALU_DEP_1)
	v_and_b32_e32 v6, 7, v5
; %bb.794:                              ;   in Loop: Header=BB245_483 Depth=1
	s_or_b32 exec_lo, exec_lo, s15
	v_lshlrev_b32_e32 v5, 24, v134
	s_delay_alu instid0(VALU_DEP_2) | instskip(SKIP_1) | instid1(VALU_DEP_3)
	v_lshlrev_b32_e32 v6, 20, v6
	v_lshl_add_u32 v4, v4, 23, 0x3c000000
	v_and_b32_e32 v5, 0x80000000, v5
	s_delay_alu instid0(VALU_DEP_1) | instskip(NEXT) | instid1(VALU_DEP_1)
	v_or3_b32 v6, v6, v5, v4
	v_dual_mov_b32 v4, v6 :: v_dual_mov_b32 v5, v7
.LBB245_795:                            ;   in Loop: Header=BB245_483 Depth=1
	s_or_b32 exec_lo, exec_lo, s13
.LBB245_796:                            ;   in Loop: Header=BB245_483 Depth=1
	s_delay_alu instid0(SALU_CYCLE_1)
	s_or_b32 exec_lo, exec_lo, s12
.LBB245_797:                            ;   in Loop: Header=BB245_483 Depth=1
	s_delay_alu instid0(SALU_CYCLE_1) | instskip(SKIP_2) | instid1(VALU_DEP_1)
	s_or_b32 exec_lo, exec_lo, s10
	v_lshrrev_b16 v6, 8, v134
	s_mov_b32 s12, exec_lo
	v_cmpx_ne_u16_e32 0, v6
	s_cbranch_execz .LBB245_805
; %bb.798:                              ;   in Loop: Header=BB245_483 Depth=1
	v_dual_mov_b32 v15, s9 :: v_dual_mov_b32 v14, s8
	s_mov_b32 s13, exec_lo
	v_cmpx_ne_u16_e32 0x80, v6
	s_cbranch_execz .LBB245_804
; %bb.799:                              ;   in Loop: Header=BB245_483 Depth=1
	s_mov_b32 s10, s8
	v_dual_mov_b32 v15, s11 :: v_dual_and_b32 v6, 0xffff, v6
	v_mov_b32_e32 v14, s10
	s_mov_b32 s10, exec_lo
	s_delay_alu instid0(VALU_DEP_2) | instskip(NEXT) | instid1(VALU_DEP_1)
	v_and_b32_e32 v16, 0x7f, v6
	v_cmpx_ne_u32_e32 0x7f, v16
	s_cbranch_execz .LBB245_803
; %bb.800:                              ;   in Loop: Header=BB245_483 Depth=1
	v_and_b32_e32 v6, 7, v6
	v_lshrrev_b32_e32 v14, 3, v16
	s_mov_b32 s15, exec_lo
	v_cmpx_gt_u32_e32 8, v16
; %bb.801:                              ;   in Loop: Header=BB245_483 Depth=1
	s_delay_alu instid0(VALU_DEP_3) | instskip(NEXT) | instid1(VALU_DEP_1)
	v_clz_i32_u32_e32 v14, v6
	v_min_u32_e32 v14, 32, v14
	s_delay_alu instid0(VALU_DEP_1) | instskip(SKIP_1) | instid1(VALU_DEP_2)
	v_subrev_nc_u32_e32 v15, 28, v14
	v_sub_nc_u32_e32 v14, 29, v14
	v_lshlrev_b64 v[15:16], v15, v[6:7]
	s_delay_alu instid0(VALU_DEP_1)
	v_and_b32_e32 v6, 7, v15
; %bb.802:                              ;   in Loop: Header=BB245_483 Depth=1
	s_or_b32 exec_lo, exec_lo, s15
	v_lshlrev_b32_e32 v15, 16, v134
	s_delay_alu instid0(VALU_DEP_2) | instskip(SKIP_1) | instid1(VALU_DEP_3)
	v_lshlrev_b32_e32 v6, 20, v6
	v_lshl_add_u32 v14, v14, 23, 0x3c000000
	v_and_b32_e32 v15, 0x80000000, v15
	s_delay_alu instid0(VALU_DEP_1)
	v_or3_b32 v15, v6, v15, v14
	v_mov_b32_e32 v14, v7
.LBB245_803:                            ;   in Loop: Header=BB245_483 Depth=1
	s_or_b32 exec_lo, exec_lo, s10
.LBB245_804:                            ;   in Loop: Header=BB245_483 Depth=1
	s_delay_alu instid0(SALU_CYCLE_1)
	s_or_b32 exec_lo, exec_lo, s13
.LBB245_805:                            ;   in Loop: Header=BB245_483 Depth=1
	s_delay_alu instid0(SALU_CYCLE_1) | instskip(SKIP_4) | instid1(VALU_DEP_2)
	s_or_b32 exec_lo, exec_lo, s12
	v_mov_b32_e32 v18, 0
	v_lshrrev_b32_e32 v135, 16, v134
	v_mov_b32_e32 v19, 0
	s_mov_b32 s10, exec_lo
	v_and_b32_e32 v6, 0xff, v135
	s_delay_alu instid0(VALU_DEP_2) | instskip(NEXT) | instid1(VALU_DEP_2)
	v_dual_mov_b32 v16, v18 :: v_dual_mov_b32 v17, v19
	v_cmpx_ne_u16_e32 0, v6
	s_cbranch_execz .LBB245_813
; %bb.806:                              ;   in Loop: Header=BB245_483 Depth=1
	v_bfrev_b32_e32 v16, 1
	v_mov_b32_e32 v17, 0
	s_mov_b32 s12, exec_lo
	v_cmpx_ne_u16_e32 0x80, v6
	s_cbranch_execz .LBB245_812
; %bb.807:                              ;   in Loop: Header=BB245_483 Depth=1
	v_mov_b32_e32 v16, 0x7f800001
	v_bfe_u32 v144, v134, 16, 7
	v_mov_b32_e32 v17, 0
	s_mov_b32 s13, exec_lo
	s_delay_alu instid0(VALU_DEP_2)
	v_cmpx_ne_u32_e32 0x7f, v144
	s_cbranch_execz .LBB245_811
; %bb.808:                              ;   in Loop: Header=BB245_483 Depth=1
	v_and_b32_e32 v6, 7, v135
	v_lshrrev_b32_e32 v16, 3, v144
	s_mov_b32 s15, exec_lo
	v_cmpx_gt_u32_e32 8, v144
; %bb.809:                              ;   in Loop: Header=BB245_483 Depth=1
	s_delay_alu instid0(VALU_DEP_3) | instskip(NEXT) | instid1(VALU_DEP_1)
	v_clz_i32_u32_e32 v16, v6
	v_min_u32_e32 v16, 32, v16
	s_delay_alu instid0(VALU_DEP_1) | instskip(SKIP_1) | instid1(VALU_DEP_2)
	v_subrev_nc_u32_e32 v17, 28, v16
	v_sub_nc_u32_e32 v16, 29, v16
	v_lshlrev_b64 v[144:145], v17, v[6:7]
	s_delay_alu instid0(VALU_DEP_1)
	v_and_b32_e32 v6, 7, v144
; %bb.810:                              ;   in Loop: Header=BB245_483 Depth=1
	s_or_b32 exec_lo, exec_lo, s15
	v_lshlrev_b32_e32 v17, 24, v135
	s_delay_alu instid0(VALU_DEP_2) | instskip(SKIP_1) | instid1(VALU_DEP_3)
	v_lshlrev_b32_e32 v6, 20, v6
	v_lshl_add_u32 v16, v16, 23, 0x3c000000
	v_and_b32_e32 v17, 0x80000000, v17
	s_delay_alu instid0(VALU_DEP_1) | instskip(NEXT) | instid1(VALU_DEP_1)
	v_or3_b32 v6, v6, v17, v16
	v_dual_mov_b32 v17, v7 :: v_dual_mov_b32 v16, v6
.LBB245_811:                            ;   in Loop: Header=BB245_483 Depth=1
	s_or_b32 exec_lo, exec_lo, s13
.LBB245_812:                            ;   in Loop: Header=BB245_483 Depth=1
	s_delay_alu instid0(SALU_CYCLE_1)
	s_or_b32 exec_lo, exec_lo, s12
.LBB245_813:                            ;   in Loop: Header=BB245_483 Depth=1
	s_delay_alu instid0(SALU_CYCLE_1) | instskip(NEXT) | instid1(SALU_CYCLE_1)
	s_or_b32 exec_lo, exec_lo, s10
	s_mov_b32 s12, exec_lo
	v_cmpx_lt_u32_e32 0xffffff, v134
	s_cbranch_execz .LBB245_821
; %bb.814:                              ;   in Loop: Header=BB245_483 Depth=1
	v_lshrrev_b32_e32 v135, 24, v134
	v_dual_mov_b32 v19, s9 :: v_dual_mov_b32 v18, s8
	s_mov_b32 s13, exec_lo
	s_delay_alu instid0(VALU_DEP_2)
	v_cmpx_ne_u32_e32 0x80, v135
	s_cbranch_execz .LBB245_820
; %bb.815:                              ;   in Loop: Header=BB245_483 Depth=1
	s_mov_b32 s10, s8
	v_bfe_u32 v134, v134, 24, 7
	v_dual_mov_b32 v19, s11 :: v_dual_mov_b32 v18, s10
	s_mov_b32 s10, exec_lo
	s_delay_alu instid0(VALU_DEP_2)
	v_cmpx_ne_u32_e32 0x7f, v134
	s_cbranch_execz .LBB245_819
; %bb.816:                              ;   in Loop: Header=BB245_483 Depth=1
	v_and_b32_e32 v6, 7, v135
	v_lshrrev_b32_e32 v18, 3, v134
	s_mov_b32 s15, exec_lo
	v_cmpx_gt_u32_e32 8, v134
; %bb.817:                              ;   in Loop: Header=BB245_483 Depth=1
	s_delay_alu instid0(VALU_DEP_3) | instskip(NEXT) | instid1(VALU_DEP_1)
	v_clz_i32_u32_e32 v18, v6
	v_min_u32_e32 v18, 32, v18
	s_delay_alu instid0(VALU_DEP_1) | instskip(SKIP_1) | instid1(VALU_DEP_2)
	v_subrev_nc_u32_e32 v19, 28, v18
	v_sub_nc_u32_e32 v18, 29, v18
	v_lshlrev_b64 v[144:145], v19, v[6:7]
	s_delay_alu instid0(VALU_DEP_1)
	v_and_b32_e32 v6, 7, v144
; %bb.818:                              ;   in Loop: Header=BB245_483 Depth=1
	s_or_b32 exec_lo, exec_lo, s15
	v_lshlrev_b32_e32 v19, 24, v135
	s_delay_alu instid0(VALU_DEP_2) | instskip(SKIP_1) | instid1(VALU_DEP_3)
	v_lshlrev_b32_e32 v6, 20, v6
	v_lshl_add_u32 v18, v18, 23, 0x3c000000
	v_and_b32_e32 v19, 0x80000000, v19
	s_delay_alu instid0(VALU_DEP_1)
	v_or3_b32 v19, v6, v19, v18
	v_mov_b32_e32 v18, v7
.LBB245_819:                            ;   in Loop: Header=BB245_483 Depth=1
	s_or_b32 exec_lo, exec_lo, s10
.LBB245_820:                            ;   in Loop: Header=BB245_483 Depth=1
	s_delay_alu instid0(SALU_CYCLE_1)
	s_or_b32 exec_lo, exec_lo, s13
.LBB245_821:                            ;   in Loop: Header=BB245_483 Depth=1
	s_delay_alu instid0(SALU_CYCLE_1) | instskip(SKIP_4) | instid1(VALU_DEP_3)
	s_or_b32 exec_lo, exec_lo, s12
	v_or_b32_e32 v5, v15, v5
	v_or_b32_e32 v4, v14, v4
	;; [unrolled: 1-line block ×4, first 2 shown]
	v_dual_mul_f32 v145, v52, v5 :: v_dual_mul_f32 v144, v49, v4
	s_delay_alu instid0(VALU_DEP_3) | instskip(NEXT) | instid1(VALU_DEP_3)
	v_mul_f32_e32 v134, v52, v6
	v_mul_f32_e32 v135, v49, v14
	s_and_saveexec_b32 s10, vcc_lo
; %bb.822:                              ;   in Loop: Header=BB245_483 Depth=1
	v_cmp_lt_i32_e64 s0, v65, v128
	s_delay_alu instid0(VALU_DEP_1) | instskip(SKIP_1) | instid1(VALU_DEP_1)
	v_cndmask_b32_e64 v144, 0, v144, s0
	v_cmp_lt_i32_e64 s0, v67, v128
	v_cndmask_b32_e64 v145, 0, v145, s0
	v_cmp_lt_i32_e64 s0, v66, v128
	s_delay_alu instid0(VALU_DEP_1) | instskip(SKIP_1) | instid1(VALU_DEP_1)
	v_cndmask_b32_e64 v135, 0, v135, s0
	v_cmp_lt_i32_e64 s0, v21, v128
	v_cndmask_b32_e64 v134, 0, v134, s0
; %bb.823:                              ;   in Loop: Header=BB245_483 Depth=1
	s_or_b32 exec_lo, exec_lo, s10
	flat_load_b32 v146, v[12:13] offset:1280
	v_mov_b32_e32 v14, 0
	v_mov_b32_e32 v15, 0
	s_mov_b32 s10, exec_lo
	s_waitcnt vmcnt(0) lgkmcnt(0)
	v_and_b32_e32 v6, 0xff, v146
	s_delay_alu instid0(VALU_DEP_2) | instskip(NEXT) | instid1(VALU_DEP_2)
	v_dual_mov_b32 v4, v14 :: v_dual_mov_b32 v5, v15
	v_cmpx_ne_u16_e32 0, v6
	s_cbranch_execz .LBB245_831
; %bb.824:                              ;   in Loop: Header=BB245_483 Depth=1
	v_bfrev_b32_e32 v4, 1
	v_mov_b32_e32 v5, 0
	s_mov_b32 s12, exec_lo
	v_cmpx_ne_u16_e32 0x80, v6
	s_cbranch_execz .LBB245_830
; %bb.825:                              ;   in Loop: Header=BB245_483 Depth=1
	v_mov_b32_e32 v4, 0x7f800001
	v_dual_mov_b32 v5, 0 :: v_dual_and_b32 v16, 0x7f, v146
	s_mov_b32 s13, exec_lo
	s_delay_alu instid0(VALU_DEP_1)
	v_cmpx_ne_u32_e32 0x7f, v16
	s_cbranch_execz .LBB245_829
; %bb.826:                              ;   in Loop: Header=BB245_483 Depth=1
	v_and_b32_e32 v6, 7, v146
	v_lshrrev_b32_e32 v4, 3, v16
	s_mov_b32 s15, exec_lo
	v_cmpx_gt_u32_e32 8, v16
; %bb.827:                              ;   in Loop: Header=BB245_483 Depth=1
	s_delay_alu instid0(VALU_DEP_3) | instskip(NEXT) | instid1(VALU_DEP_1)
	v_clz_i32_u32_e32 v4, v6
	v_min_u32_e32 v4, 32, v4
	s_delay_alu instid0(VALU_DEP_1) | instskip(SKIP_1) | instid1(VALU_DEP_2)
	v_subrev_nc_u32_e32 v5, 28, v4
	v_sub_nc_u32_e32 v4, 29, v4
	v_lshlrev_b64 v[5:6], v5, v[6:7]
	s_delay_alu instid0(VALU_DEP_1)
	v_and_b32_e32 v6, 7, v5
; %bb.828:                              ;   in Loop: Header=BB245_483 Depth=1
	s_or_b32 exec_lo, exec_lo, s15
	v_lshlrev_b32_e32 v5, 24, v146
	s_delay_alu instid0(VALU_DEP_2) | instskip(SKIP_1) | instid1(VALU_DEP_3)
	v_lshlrev_b32_e32 v6, 20, v6
	v_lshl_add_u32 v4, v4, 23, 0x3c000000
	v_and_b32_e32 v5, 0x80000000, v5
	s_delay_alu instid0(VALU_DEP_1) | instskip(NEXT) | instid1(VALU_DEP_1)
	v_or3_b32 v6, v6, v5, v4
	v_dual_mov_b32 v4, v6 :: v_dual_mov_b32 v5, v7
.LBB245_829:                            ;   in Loop: Header=BB245_483 Depth=1
	s_or_b32 exec_lo, exec_lo, s13
.LBB245_830:                            ;   in Loop: Header=BB245_483 Depth=1
	s_delay_alu instid0(SALU_CYCLE_1)
	s_or_b32 exec_lo, exec_lo, s12
.LBB245_831:                            ;   in Loop: Header=BB245_483 Depth=1
	s_delay_alu instid0(SALU_CYCLE_1) | instskip(SKIP_2) | instid1(VALU_DEP_1)
	s_or_b32 exec_lo, exec_lo, s10
	v_lshrrev_b16 v6, 8, v146
	s_mov_b32 s12, exec_lo
	v_cmpx_ne_u16_e32 0, v6
	s_cbranch_execz .LBB245_839
; %bb.832:                              ;   in Loop: Header=BB245_483 Depth=1
	v_dual_mov_b32 v15, s9 :: v_dual_mov_b32 v14, s8
	s_mov_b32 s13, exec_lo
	v_cmpx_ne_u16_e32 0x80, v6
	s_cbranch_execz .LBB245_838
; %bb.833:                              ;   in Loop: Header=BB245_483 Depth=1
	s_mov_b32 s10, s8
	v_dual_mov_b32 v15, s11 :: v_dual_and_b32 v6, 0xffff, v6
	v_mov_b32_e32 v14, s10
	s_mov_b32 s10, exec_lo
	s_delay_alu instid0(VALU_DEP_2) | instskip(NEXT) | instid1(VALU_DEP_1)
	v_and_b32_e32 v16, 0x7f, v6
	v_cmpx_ne_u32_e32 0x7f, v16
	s_cbranch_execz .LBB245_837
; %bb.834:                              ;   in Loop: Header=BB245_483 Depth=1
	v_and_b32_e32 v6, 7, v6
	v_lshrrev_b32_e32 v14, 3, v16
	s_mov_b32 s15, exec_lo
	v_cmpx_gt_u32_e32 8, v16
; %bb.835:                              ;   in Loop: Header=BB245_483 Depth=1
	s_delay_alu instid0(VALU_DEP_3) | instskip(NEXT) | instid1(VALU_DEP_1)
	v_clz_i32_u32_e32 v14, v6
	v_min_u32_e32 v14, 32, v14
	s_delay_alu instid0(VALU_DEP_1) | instskip(SKIP_1) | instid1(VALU_DEP_2)
	v_subrev_nc_u32_e32 v15, 28, v14
	v_sub_nc_u32_e32 v14, 29, v14
	v_lshlrev_b64 v[15:16], v15, v[6:7]
	s_delay_alu instid0(VALU_DEP_1)
	v_and_b32_e32 v6, 7, v15
; %bb.836:                              ;   in Loop: Header=BB245_483 Depth=1
	s_or_b32 exec_lo, exec_lo, s15
	v_lshlrev_b32_e32 v15, 16, v146
	s_delay_alu instid0(VALU_DEP_2) | instskip(SKIP_1) | instid1(VALU_DEP_3)
	v_lshlrev_b32_e32 v6, 20, v6
	v_lshl_add_u32 v14, v14, 23, 0x3c000000
	v_and_b32_e32 v15, 0x80000000, v15
	s_delay_alu instid0(VALU_DEP_1)
	v_or3_b32 v15, v6, v15, v14
	v_mov_b32_e32 v14, v7
.LBB245_837:                            ;   in Loop: Header=BB245_483 Depth=1
	s_or_b32 exec_lo, exec_lo, s10
.LBB245_838:                            ;   in Loop: Header=BB245_483 Depth=1
	s_delay_alu instid0(SALU_CYCLE_1)
	s_or_b32 exec_lo, exec_lo, s13
.LBB245_839:                            ;   in Loop: Header=BB245_483 Depth=1
	s_delay_alu instid0(SALU_CYCLE_1) | instskip(SKIP_4) | instid1(VALU_DEP_2)
	s_or_b32 exec_lo, exec_lo, s12
	v_mov_b32_e32 v18, 0
	v_lshrrev_b32_e32 v147, 16, v146
	v_mov_b32_e32 v19, 0
	s_mov_b32 s10, exec_lo
	v_and_b32_e32 v6, 0xff, v147
	s_delay_alu instid0(VALU_DEP_2) | instskip(NEXT) | instid1(VALU_DEP_2)
	v_dual_mov_b32 v16, v18 :: v_dual_mov_b32 v17, v19
	v_cmpx_ne_u16_e32 0, v6
	s_cbranch_execz .LBB245_847
; %bb.840:                              ;   in Loop: Header=BB245_483 Depth=1
	v_bfrev_b32_e32 v16, 1
	v_mov_b32_e32 v17, 0
	s_mov_b32 s12, exec_lo
	v_cmpx_ne_u16_e32 0x80, v6
	s_cbranch_execz .LBB245_846
; %bb.841:                              ;   in Loop: Header=BB245_483 Depth=1
	v_mov_b32_e32 v16, 0x7f800001
	v_bfe_u32 v148, v146, 16, 7
	v_mov_b32_e32 v17, 0
	s_mov_b32 s13, exec_lo
	s_delay_alu instid0(VALU_DEP_2)
	v_cmpx_ne_u32_e32 0x7f, v148
	s_cbranch_execz .LBB245_845
; %bb.842:                              ;   in Loop: Header=BB245_483 Depth=1
	v_and_b32_e32 v6, 7, v147
	v_lshrrev_b32_e32 v16, 3, v148
	s_mov_b32 s15, exec_lo
	v_cmpx_gt_u32_e32 8, v148
; %bb.843:                              ;   in Loop: Header=BB245_483 Depth=1
	s_delay_alu instid0(VALU_DEP_3) | instskip(NEXT) | instid1(VALU_DEP_1)
	v_clz_i32_u32_e32 v16, v6
	v_min_u32_e32 v16, 32, v16
	s_delay_alu instid0(VALU_DEP_1) | instskip(SKIP_1) | instid1(VALU_DEP_2)
	v_subrev_nc_u32_e32 v17, 28, v16
	v_sub_nc_u32_e32 v16, 29, v16
	v_lshlrev_b64 v[148:149], v17, v[6:7]
	s_delay_alu instid0(VALU_DEP_1)
	v_and_b32_e32 v6, 7, v148
; %bb.844:                              ;   in Loop: Header=BB245_483 Depth=1
	s_or_b32 exec_lo, exec_lo, s15
	v_lshlrev_b32_e32 v17, 24, v147
	s_delay_alu instid0(VALU_DEP_2) | instskip(SKIP_1) | instid1(VALU_DEP_3)
	v_lshlrev_b32_e32 v6, 20, v6
	v_lshl_add_u32 v16, v16, 23, 0x3c000000
	v_and_b32_e32 v17, 0x80000000, v17
	s_delay_alu instid0(VALU_DEP_1) | instskip(NEXT) | instid1(VALU_DEP_1)
	v_or3_b32 v6, v6, v17, v16
	v_dual_mov_b32 v17, v7 :: v_dual_mov_b32 v16, v6
.LBB245_845:                            ;   in Loop: Header=BB245_483 Depth=1
	s_or_b32 exec_lo, exec_lo, s13
.LBB245_846:                            ;   in Loop: Header=BB245_483 Depth=1
	s_delay_alu instid0(SALU_CYCLE_1)
	s_or_b32 exec_lo, exec_lo, s12
.LBB245_847:                            ;   in Loop: Header=BB245_483 Depth=1
	s_delay_alu instid0(SALU_CYCLE_1) | instskip(NEXT) | instid1(SALU_CYCLE_1)
	s_or_b32 exec_lo, exec_lo, s10
	s_mov_b32 s12, exec_lo
	v_cmpx_lt_u32_e32 0xffffff, v146
	s_cbranch_execz .LBB245_855
; %bb.848:                              ;   in Loop: Header=BB245_483 Depth=1
	v_lshrrev_b32_e32 v147, 24, v146
	v_dual_mov_b32 v19, s9 :: v_dual_mov_b32 v18, s8
	s_mov_b32 s13, exec_lo
	s_delay_alu instid0(VALU_DEP_2)
	v_cmpx_ne_u32_e32 0x80, v147
	s_cbranch_execz .LBB245_854
; %bb.849:                              ;   in Loop: Header=BB245_483 Depth=1
	s_mov_b32 s10, s8
	v_bfe_u32 v146, v146, 24, 7
	v_dual_mov_b32 v19, s11 :: v_dual_mov_b32 v18, s10
	s_mov_b32 s10, exec_lo
	s_delay_alu instid0(VALU_DEP_2)
	v_cmpx_ne_u32_e32 0x7f, v146
	s_cbranch_execz .LBB245_853
; %bb.850:                              ;   in Loop: Header=BB245_483 Depth=1
	v_and_b32_e32 v6, 7, v147
	v_lshrrev_b32_e32 v18, 3, v146
	s_mov_b32 s15, exec_lo
	v_cmpx_gt_u32_e32 8, v146
; %bb.851:                              ;   in Loop: Header=BB245_483 Depth=1
	s_delay_alu instid0(VALU_DEP_3) | instskip(NEXT) | instid1(VALU_DEP_1)
	v_clz_i32_u32_e32 v18, v6
	v_min_u32_e32 v18, 32, v18
	s_delay_alu instid0(VALU_DEP_1) | instskip(SKIP_1) | instid1(VALU_DEP_2)
	v_subrev_nc_u32_e32 v19, 28, v18
	v_sub_nc_u32_e32 v18, 29, v18
	v_lshlrev_b64 v[148:149], v19, v[6:7]
	s_delay_alu instid0(VALU_DEP_1)
	v_and_b32_e32 v6, 7, v148
; %bb.852:                              ;   in Loop: Header=BB245_483 Depth=1
	s_or_b32 exec_lo, exec_lo, s15
	v_lshlrev_b32_e32 v19, 24, v147
	s_delay_alu instid0(VALU_DEP_2) | instskip(SKIP_1) | instid1(VALU_DEP_3)
	v_lshlrev_b32_e32 v6, 20, v6
	v_lshl_add_u32 v18, v18, 23, 0x3c000000
	v_and_b32_e32 v19, 0x80000000, v19
	s_delay_alu instid0(VALU_DEP_1)
	v_or3_b32 v19, v6, v19, v18
	v_mov_b32_e32 v18, v7
.LBB245_853:                            ;   in Loop: Header=BB245_483 Depth=1
	s_or_b32 exec_lo, exec_lo, s10
.LBB245_854:                            ;   in Loop: Header=BB245_483 Depth=1
	s_delay_alu instid0(SALU_CYCLE_1)
	s_or_b32 exec_lo, exec_lo, s13
.LBB245_855:                            ;   in Loop: Header=BB245_483 Depth=1
	s_delay_alu instid0(SALU_CYCLE_1) | instskip(SKIP_4) | instid1(VALU_DEP_3)
	s_or_b32 exec_lo, exec_lo, s12
	v_or_b32_e32 v5, v15, v5
	v_or_b32_e32 v4, v14, v4
	;; [unrolled: 1-line block ×4, first 2 shown]
	v_dual_mul_f32 v149, v52, v5 :: v_dual_mul_f32 v148, v49, v4
	s_delay_alu instid0(VALU_DEP_3) | instskip(NEXT) | instid1(VALU_DEP_3)
	v_mul_f32_e32 v146, v52, v6
	v_mul_f32_e32 v147, v49, v14
	s_and_saveexec_b32 s10, vcc_lo
; %bb.856:                              ;   in Loop: Header=BB245_483 Depth=1
	v_cmp_lt_i32_e64 s0, v65, v128
	s_delay_alu instid0(VALU_DEP_1) | instskip(SKIP_1) | instid1(VALU_DEP_1)
	v_cndmask_b32_e64 v148, 0, v148, s0
	v_cmp_lt_i32_e64 s0, v67, v128
	v_cndmask_b32_e64 v149, 0, v149, s0
	v_cmp_lt_i32_e64 s0, v66, v128
	s_delay_alu instid0(VALU_DEP_1) | instskip(SKIP_1) | instid1(VALU_DEP_1)
	v_cndmask_b32_e64 v147, 0, v147, s0
	v_cmp_lt_i32_e64 s0, v21, v128
	v_cndmask_b32_e64 v146, 0, v146, s0
; %bb.857:                              ;   in Loop: Header=BB245_483 Depth=1
	s_or_b32 exec_lo, exec_lo, s10
	flat_load_b32 v150, v[12:13] offset:1408
	v_mov_b32_e32 v14, 0
	v_mov_b32_e32 v15, 0
	s_mov_b32 s10, exec_lo
	s_waitcnt vmcnt(0) lgkmcnt(0)
	v_and_b32_e32 v6, 0xff, v150
	s_delay_alu instid0(VALU_DEP_2) | instskip(NEXT) | instid1(VALU_DEP_2)
	v_dual_mov_b32 v4, v14 :: v_dual_mov_b32 v5, v15
	v_cmpx_ne_u16_e32 0, v6
	s_cbranch_execz .LBB245_865
; %bb.858:                              ;   in Loop: Header=BB245_483 Depth=1
	v_bfrev_b32_e32 v4, 1
	v_mov_b32_e32 v5, 0
	s_mov_b32 s12, exec_lo
	v_cmpx_ne_u16_e32 0x80, v6
	s_cbranch_execz .LBB245_864
; %bb.859:                              ;   in Loop: Header=BB245_483 Depth=1
	v_mov_b32_e32 v4, 0x7f800001
	v_dual_mov_b32 v5, 0 :: v_dual_and_b32 v16, 0x7f, v150
	s_mov_b32 s13, exec_lo
	s_delay_alu instid0(VALU_DEP_1)
	v_cmpx_ne_u32_e32 0x7f, v16
	s_cbranch_execz .LBB245_863
; %bb.860:                              ;   in Loop: Header=BB245_483 Depth=1
	v_and_b32_e32 v6, 7, v150
	v_lshrrev_b32_e32 v4, 3, v16
	s_mov_b32 s15, exec_lo
	v_cmpx_gt_u32_e32 8, v16
; %bb.861:                              ;   in Loop: Header=BB245_483 Depth=1
	s_delay_alu instid0(VALU_DEP_3) | instskip(NEXT) | instid1(VALU_DEP_1)
	v_clz_i32_u32_e32 v4, v6
	v_min_u32_e32 v4, 32, v4
	s_delay_alu instid0(VALU_DEP_1) | instskip(SKIP_1) | instid1(VALU_DEP_2)
	v_subrev_nc_u32_e32 v5, 28, v4
	v_sub_nc_u32_e32 v4, 29, v4
	v_lshlrev_b64 v[5:6], v5, v[6:7]
	s_delay_alu instid0(VALU_DEP_1)
	v_and_b32_e32 v6, 7, v5
; %bb.862:                              ;   in Loop: Header=BB245_483 Depth=1
	s_or_b32 exec_lo, exec_lo, s15
	v_lshlrev_b32_e32 v5, 24, v150
	s_delay_alu instid0(VALU_DEP_2) | instskip(SKIP_1) | instid1(VALU_DEP_3)
	v_lshlrev_b32_e32 v6, 20, v6
	v_lshl_add_u32 v4, v4, 23, 0x3c000000
	v_and_b32_e32 v5, 0x80000000, v5
	s_delay_alu instid0(VALU_DEP_1) | instskip(NEXT) | instid1(VALU_DEP_1)
	v_or3_b32 v6, v6, v5, v4
	v_dual_mov_b32 v4, v6 :: v_dual_mov_b32 v5, v7
.LBB245_863:                            ;   in Loop: Header=BB245_483 Depth=1
	s_or_b32 exec_lo, exec_lo, s13
.LBB245_864:                            ;   in Loop: Header=BB245_483 Depth=1
	s_delay_alu instid0(SALU_CYCLE_1)
	s_or_b32 exec_lo, exec_lo, s12
.LBB245_865:                            ;   in Loop: Header=BB245_483 Depth=1
	s_delay_alu instid0(SALU_CYCLE_1) | instskip(SKIP_2) | instid1(VALU_DEP_1)
	s_or_b32 exec_lo, exec_lo, s10
	v_lshrrev_b16 v6, 8, v150
	s_mov_b32 s12, exec_lo
	v_cmpx_ne_u16_e32 0, v6
	s_cbranch_execz .LBB245_873
; %bb.866:                              ;   in Loop: Header=BB245_483 Depth=1
	v_dual_mov_b32 v15, s9 :: v_dual_mov_b32 v14, s8
	s_mov_b32 s13, exec_lo
	v_cmpx_ne_u16_e32 0x80, v6
	s_cbranch_execz .LBB245_872
; %bb.867:                              ;   in Loop: Header=BB245_483 Depth=1
	s_mov_b32 s10, s8
	v_dual_mov_b32 v15, s11 :: v_dual_and_b32 v6, 0xffff, v6
	v_mov_b32_e32 v14, s10
	s_mov_b32 s10, exec_lo
	s_delay_alu instid0(VALU_DEP_2) | instskip(NEXT) | instid1(VALU_DEP_1)
	v_and_b32_e32 v16, 0x7f, v6
	v_cmpx_ne_u32_e32 0x7f, v16
	s_cbranch_execz .LBB245_871
; %bb.868:                              ;   in Loop: Header=BB245_483 Depth=1
	v_and_b32_e32 v6, 7, v6
	v_lshrrev_b32_e32 v14, 3, v16
	s_mov_b32 s15, exec_lo
	v_cmpx_gt_u32_e32 8, v16
; %bb.869:                              ;   in Loop: Header=BB245_483 Depth=1
	s_delay_alu instid0(VALU_DEP_3) | instskip(NEXT) | instid1(VALU_DEP_1)
	v_clz_i32_u32_e32 v14, v6
	v_min_u32_e32 v14, 32, v14
	s_delay_alu instid0(VALU_DEP_1) | instskip(SKIP_1) | instid1(VALU_DEP_2)
	v_subrev_nc_u32_e32 v15, 28, v14
	v_sub_nc_u32_e32 v14, 29, v14
	v_lshlrev_b64 v[15:16], v15, v[6:7]
	s_delay_alu instid0(VALU_DEP_1)
	v_and_b32_e32 v6, 7, v15
; %bb.870:                              ;   in Loop: Header=BB245_483 Depth=1
	s_or_b32 exec_lo, exec_lo, s15
	v_lshlrev_b32_e32 v15, 16, v150
	s_delay_alu instid0(VALU_DEP_2) | instskip(SKIP_1) | instid1(VALU_DEP_3)
	v_lshlrev_b32_e32 v6, 20, v6
	v_lshl_add_u32 v14, v14, 23, 0x3c000000
	v_and_b32_e32 v15, 0x80000000, v15
	s_delay_alu instid0(VALU_DEP_1)
	v_or3_b32 v15, v6, v15, v14
	v_mov_b32_e32 v14, v7
.LBB245_871:                            ;   in Loop: Header=BB245_483 Depth=1
	s_or_b32 exec_lo, exec_lo, s10
.LBB245_872:                            ;   in Loop: Header=BB245_483 Depth=1
	s_delay_alu instid0(SALU_CYCLE_1)
	s_or_b32 exec_lo, exec_lo, s13
.LBB245_873:                            ;   in Loop: Header=BB245_483 Depth=1
	s_delay_alu instid0(SALU_CYCLE_1) | instskip(SKIP_4) | instid1(VALU_DEP_2)
	s_or_b32 exec_lo, exec_lo, s12
	v_mov_b32_e32 v18, 0
	v_lshrrev_b32_e32 v151, 16, v150
	v_mov_b32_e32 v19, 0
	s_mov_b32 s10, exec_lo
	v_and_b32_e32 v6, 0xff, v151
	s_delay_alu instid0(VALU_DEP_2) | instskip(NEXT) | instid1(VALU_DEP_2)
	v_dual_mov_b32 v16, v18 :: v_dual_mov_b32 v17, v19
	v_cmpx_ne_u16_e32 0, v6
	s_cbranch_execz .LBB245_881
; %bb.874:                              ;   in Loop: Header=BB245_483 Depth=1
	v_bfrev_b32_e32 v16, 1
	v_mov_b32_e32 v17, 0
	s_mov_b32 s12, exec_lo
	v_cmpx_ne_u16_e32 0x80, v6
	s_cbranch_execz .LBB245_880
; %bb.875:                              ;   in Loop: Header=BB245_483 Depth=1
	v_mov_b32_e32 v16, 0x7f800001
	v_bfe_u32 v160, v150, 16, 7
	v_mov_b32_e32 v17, 0
	s_mov_b32 s13, exec_lo
	s_delay_alu instid0(VALU_DEP_2)
	v_cmpx_ne_u32_e32 0x7f, v160
	s_cbranch_execz .LBB245_879
; %bb.876:                              ;   in Loop: Header=BB245_483 Depth=1
	v_and_b32_e32 v6, 7, v151
	v_lshrrev_b32_e32 v16, 3, v160
	s_mov_b32 s15, exec_lo
	v_cmpx_gt_u32_e32 8, v160
; %bb.877:                              ;   in Loop: Header=BB245_483 Depth=1
	s_delay_alu instid0(VALU_DEP_3) | instskip(NEXT) | instid1(VALU_DEP_1)
	v_clz_i32_u32_e32 v16, v6
	v_min_u32_e32 v16, 32, v16
	s_delay_alu instid0(VALU_DEP_1) | instskip(SKIP_1) | instid1(VALU_DEP_2)
	v_subrev_nc_u32_e32 v17, 28, v16
	v_sub_nc_u32_e32 v16, 29, v16
	v_lshlrev_b64 v[160:161], v17, v[6:7]
	s_delay_alu instid0(VALU_DEP_1)
	v_and_b32_e32 v6, 7, v160
; %bb.878:                              ;   in Loop: Header=BB245_483 Depth=1
	s_or_b32 exec_lo, exec_lo, s15
	v_lshlrev_b32_e32 v17, 24, v151
	s_delay_alu instid0(VALU_DEP_2) | instskip(SKIP_1) | instid1(VALU_DEP_3)
	v_lshlrev_b32_e32 v6, 20, v6
	v_lshl_add_u32 v16, v16, 23, 0x3c000000
	v_and_b32_e32 v17, 0x80000000, v17
	s_delay_alu instid0(VALU_DEP_1) | instskip(NEXT) | instid1(VALU_DEP_1)
	v_or3_b32 v6, v6, v17, v16
	v_dual_mov_b32 v17, v7 :: v_dual_mov_b32 v16, v6
.LBB245_879:                            ;   in Loop: Header=BB245_483 Depth=1
	s_or_b32 exec_lo, exec_lo, s13
.LBB245_880:                            ;   in Loop: Header=BB245_483 Depth=1
	s_delay_alu instid0(SALU_CYCLE_1)
	s_or_b32 exec_lo, exec_lo, s12
.LBB245_881:                            ;   in Loop: Header=BB245_483 Depth=1
	s_delay_alu instid0(SALU_CYCLE_1) | instskip(NEXT) | instid1(SALU_CYCLE_1)
	s_or_b32 exec_lo, exec_lo, s10
	s_mov_b32 s12, exec_lo
	v_cmpx_lt_u32_e32 0xffffff, v150
	s_cbranch_execz .LBB245_889
; %bb.882:                              ;   in Loop: Header=BB245_483 Depth=1
	v_lshrrev_b32_e32 v151, 24, v150
	v_dual_mov_b32 v19, s9 :: v_dual_mov_b32 v18, s8
	s_mov_b32 s13, exec_lo
	s_delay_alu instid0(VALU_DEP_2)
	v_cmpx_ne_u32_e32 0x80, v151
	s_cbranch_execz .LBB245_888
; %bb.883:                              ;   in Loop: Header=BB245_483 Depth=1
	s_mov_b32 s10, s8
	v_bfe_u32 v150, v150, 24, 7
	v_dual_mov_b32 v19, s11 :: v_dual_mov_b32 v18, s10
	s_mov_b32 s10, exec_lo
	s_delay_alu instid0(VALU_DEP_2)
	v_cmpx_ne_u32_e32 0x7f, v150
	s_cbranch_execz .LBB245_887
; %bb.884:                              ;   in Loop: Header=BB245_483 Depth=1
	v_and_b32_e32 v6, 7, v151
	v_lshrrev_b32_e32 v18, 3, v150
	s_mov_b32 s15, exec_lo
	v_cmpx_gt_u32_e32 8, v150
; %bb.885:                              ;   in Loop: Header=BB245_483 Depth=1
	s_delay_alu instid0(VALU_DEP_3) | instskip(NEXT) | instid1(VALU_DEP_1)
	v_clz_i32_u32_e32 v18, v6
	v_min_u32_e32 v18, 32, v18
	s_delay_alu instid0(VALU_DEP_1) | instskip(SKIP_1) | instid1(VALU_DEP_2)
	v_subrev_nc_u32_e32 v19, 28, v18
	v_sub_nc_u32_e32 v18, 29, v18
	v_lshlrev_b64 v[160:161], v19, v[6:7]
	s_delay_alu instid0(VALU_DEP_1)
	v_and_b32_e32 v6, 7, v160
; %bb.886:                              ;   in Loop: Header=BB245_483 Depth=1
	s_or_b32 exec_lo, exec_lo, s15
	v_lshlrev_b32_e32 v19, 24, v151
	s_delay_alu instid0(VALU_DEP_2) | instskip(SKIP_1) | instid1(VALU_DEP_3)
	v_lshlrev_b32_e32 v6, 20, v6
	v_lshl_add_u32 v18, v18, 23, 0x3c000000
	v_and_b32_e32 v19, 0x80000000, v19
	s_delay_alu instid0(VALU_DEP_1)
	v_or3_b32 v19, v6, v19, v18
	v_mov_b32_e32 v18, v7
.LBB245_887:                            ;   in Loop: Header=BB245_483 Depth=1
	s_or_b32 exec_lo, exec_lo, s10
.LBB245_888:                            ;   in Loop: Header=BB245_483 Depth=1
	s_delay_alu instid0(SALU_CYCLE_1)
	s_or_b32 exec_lo, exec_lo, s13
.LBB245_889:                            ;   in Loop: Header=BB245_483 Depth=1
	s_delay_alu instid0(SALU_CYCLE_1) | instskip(SKIP_4) | instid1(VALU_DEP_3)
	s_or_b32 exec_lo, exec_lo, s12
	v_or_b32_e32 v5, v15, v5
	v_or_b32_e32 v4, v14, v4
	;; [unrolled: 1-line block ×4, first 2 shown]
	v_dual_mul_f32 v161, v52, v5 :: v_dual_mul_f32 v160, v49, v4
	s_delay_alu instid0(VALU_DEP_3) | instskip(NEXT) | instid1(VALU_DEP_3)
	v_mul_f32_e32 v150, v52, v6
	v_mul_f32_e32 v151, v49, v14
	s_and_saveexec_b32 s10, vcc_lo
; %bb.890:                              ;   in Loop: Header=BB245_483 Depth=1
	v_cmp_lt_i32_e64 s0, v65, v128
	s_delay_alu instid0(VALU_DEP_1) | instskip(SKIP_1) | instid1(VALU_DEP_1)
	v_cndmask_b32_e64 v160, 0, v160, s0
	v_cmp_lt_i32_e64 s0, v67, v128
	v_cndmask_b32_e64 v161, 0, v161, s0
	v_cmp_lt_i32_e64 s0, v66, v128
	s_delay_alu instid0(VALU_DEP_1) | instskip(SKIP_1) | instid1(VALU_DEP_1)
	v_cndmask_b32_e64 v151, 0, v151, s0
	v_cmp_lt_i32_e64 s0, v21, v128
	v_cndmask_b32_e64 v150, 0, v150, s0
; %bb.891:                              ;   in Loop: Header=BB245_483 Depth=1
	s_or_b32 exec_lo, exec_lo, s10
	flat_load_b32 v162, v[12:13] offset:1536
	v_mov_b32_e32 v14, 0
	v_mov_b32_e32 v15, 0
	s_mov_b32 s10, exec_lo
	s_waitcnt vmcnt(0) lgkmcnt(0)
	v_and_b32_e32 v6, 0xff, v162
	s_delay_alu instid0(VALU_DEP_2) | instskip(NEXT) | instid1(VALU_DEP_2)
	v_dual_mov_b32 v4, v14 :: v_dual_mov_b32 v5, v15
	v_cmpx_ne_u16_e32 0, v6
	s_cbranch_execz .LBB245_899
; %bb.892:                              ;   in Loop: Header=BB245_483 Depth=1
	v_bfrev_b32_e32 v4, 1
	v_mov_b32_e32 v5, 0
	s_mov_b32 s12, exec_lo
	v_cmpx_ne_u16_e32 0x80, v6
	s_cbranch_execz .LBB245_898
; %bb.893:                              ;   in Loop: Header=BB245_483 Depth=1
	v_mov_b32_e32 v4, 0x7f800001
	v_dual_mov_b32 v5, 0 :: v_dual_and_b32 v16, 0x7f, v162
	s_mov_b32 s13, exec_lo
	s_delay_alu instid0(VALU_DEP_1)
	v_cmpx_ne_u32_e32 0x7f, v16
	s_cbranch_execz .LBB245_897
; %bb.894:                              ;   in Loop: Header=BB245_483 Depth=1
	v_and_b32_e32 v6, 7, v162
	v_lshrrev_b32_e32 v4, 3, v16
	s_mov_b32 s15, exec_lo
	v_cmpx_gt_u32_e32 8, v16
; %bb.895:                              ;   in Loop: Header=BB245_483 Depth=1
	s_delay_alu instid0(VALU_DEP_3) | instskip(NEXT) | instid1(VALU_DEP_1)
	v_clz_i32_u32_e32 v4, v6
	v_min_u32_e32 v4, 32, v4
	s_delay_alu instid0(VALU_DEP_1) | instskip(SKIP_1) | instid1(VALU_DEP_2)
	v_subrev_nc_u32_e32 v5, 28, v4
	v_sub_nc_u32_e32 v4, 29, v4
	v_lshlrev_b64 v[5:6], v5, v[6:7]
	s_delay_alu instid0(VALU_DEP_1)
	v_and_b32_e32 v6, 7, v5
; %bb.896:                              ;   in Loop: Header=BB245_483 Depth=1
	s_or_b32 exec_lo, exec_lo, s15
	v_lshlrev_b32_e32 v5, 24, v162
	s_delay_alu instid0(VALU_DEP_2) | instskip(SKIP_1) | instid1(VALU_DEP_3)
	v_lshlrev_b32_e32 v6, 20, v6
	v_lshl_add_u32 v4, v4, 23, 0x3c000000
	v_and_b32_e32 v5, 0x80000000, v5
	s_delay_alu instid0(VALU_DEP_1) | instskip(NEXT) | instid1(VALU_DEP_1)
	v_or3_b32 v6, v6, v5, v4
	v_dual_mov_b32 v4, v6 :: v_dual_mov_b32 v5, v7
.LBB245_897:                            ;   in Loop: Header=BB245_483 Depth=1
	s_or_b32 exec_lo, exec_lo, s13
.LBB245_898:                            ;   in Loop: Header=BB245_483 Depth=1
	s_delay_alu instid0(SALU_CYCLE_1)
	s_or_b32 exec_lo, exec_lo, s12
.LBB245_899:                            ;   in Loop: Header=BB245_483 Depth=1
	s_delay_alu instid0(SALU_CYCLE_1) | instskip(SKIP_2) | instid1(VALU_DEP_1)
	s_or_b32 exec_lo, exec_lo, s10
	v_lshrrev_b16 v6, 8, v162
	s_mov_b32 s12, exec_lo
	v_cmpx_ne_u16_e32 0, v6
	s_cbranch_execz .LBB245_907
; %bb.900:                              ;   in Loop: Header=BB245_483 Depth=1
	v_dual_mov_b32 v15, s9 :: v_dual_mov_b32 v14, s8
	s_mov_b32 s13, exec_lo
	v_cmpx_ne_u16_e32 0x80, v6
	s_cbranch_execz .LBB245_906
; %bb.901:                              ;   in Loop: Header=BB245_483 Depth=1
	s_mov_b32 s10, s8
	v_dual_mov_b32 v15, s11 :: v_dual_and_b32 v6, 0xffff, v6
	v_mov_b32_e32 v14, s10
	s_mov_b32 s10, exec_lo
	s_delay_alu instid0(VALU_DEP_2) | instskip(NEXT) | instid1(VALU_DEP_1)
	v_and_b32_e32 v16, 0x7f, v6
	v_cmpx_ne_u32_e32 0x7f, v16
	s_cbranch_execz .LBB245_905
; %bb.902:                              ;   in Loop: Header=BB245_483 Depth=1
	v_and_b32_e32 v6, 7, v6
	v_lshrrev_b32_e32 v14, 3, v16
	s_mov_b32 s15, exec_lo
	v_cmpx_gt_u32_e32 8, v16
; %bb.903:                              ;   in Loop: Header=BB245_483 Depth=1
	s_delay_alu instid0(VALU_DEP_3) | instskip(NEXT) | instid1(VALU_DEP_1)
	v_clz_i32_u32_e32 v14, v6
	v_min_u32_e32 v14, 32, v14
	s_delay_alu instid0(VALU_DEP_1) | instskip(SKIP_1) | instid1(VALU_DEP_2)
	v_subrev_nc_u32_e32 v15, 28, v14
	v_sub_nc_u32_e32 v14, 29, v14
	v_lshlrev_b64 v[15:16], v15, v[6:7]
	s_delay_alu instid0(VALU_DEP_1)
	v_and_b32_e32 v6, 7, v15
; %bb.904:                              ;   in Loop: Header=BB245_483 Depth=1
	s_or_b32 exec_lo, exec_lo, s15
	v_lshlrev_b32_e32 v15, 16, v162
	s_delay_alu instid0(VALU_DEP_2) | instskip(SKIP_1) | instid1(VALU_DEP_3)
	v_lshlrev_b32_e32 v6, 20, v6
	v_lshl_add_u32 v14, v14, 23, 0x3c000000
	v_and_b32_e32 v15, 0x80000000, v15
	s_delay_alu instid0(VALU_DEP_1)
	v_or3_b32 v15, v6, v15, v14
	v_mov_b32_e32 v14, v7
.LBB245_905:                            ;   in Loop: Header=BB245_483 Depth=1
	s_or_b32 exec_lo, exec_lo, s10
.LBB245_906:                            ;   in Loop: Header=BB245_483 Depth=1
	s_delay_alu instid0(SALU_CYCLE_1)
	s_or_b32 exec_lo, exec_lo, s13
.LBB245_907:                            ;   in Loop: Header=BB245_483 Depth=1
	s_delay_alu instid0(SALU_CYCLE_1) | instskip(SKIP_4) | instid1(VALU_DEP_2)
	s_or_b32 exec_lo, exec_lo, s12
	v_mov_b32_e32 v18, 0
	v_lshrrev_b32_e32 v163, 16, v162
	v_mov_b32_e32 v19, 0
	s_mov_b32 s10, exec_lo
	v_and_b32_e32 v6, 0xff, v163
	s_delay_alu instid0(VALU_DEP_2) | instskip(NEXT) | instid1(VALU_DEP_2)
	v_dual_mov_b32 v16, v18 :: v_dual_mov_b32 v17, v19
	v_cmpx_ne_u16_e32 0, v6
	s_cbranch_execz .LBB245_915
; %bb.908:                              ;   in Loop: Header=BB245_483 Depth=1
	v_bfrev_b32_e32 v16, 1
	v_mov_b32_e32 v17, 0
	s_mov_b32 s12, exec_lo
	v_cmpx_ne_u16_e32 0x80, v6
	s_cbranch_execz .LBB245_914
; %bb.909:                              ;   in Loop: Header=BB245_483 Depth=1
	v_mov_b32_e32 v16, 0x7f800001
	v_bfe_u32 v164, v162, 16, 7
	v_mov_b32_e32 v17, 0
	s_mov_b32 s13, exec_lo
	s_delay_alu instid0(VALU_DEP_2)
	v_cmpx_ne_u32_e32 0x7f, v164
	s_cbranch_execz .LBB245_913
; %bb.910:                              ;   in Loop: Header=BB245_483 Depth=1
	v_and_b32_e32 v6, 7, v163
	v_lshrrev_b32_e32 v16, 3, v164
	s_mov_b32 s15, exec_lo
	v_cmpx_gt_u32_e32 8, v164
; %bb.911:                              ;   in Loop: Header=BB245_483 Depth=1
	s_delay_alu instid0(VALU_DEP_3) | instskip(NEXT) | instid1(VALU_DEP_1)
	v_clz_i32_u32_e32 v16, v6
	v_min_u32_e32 v16, 32, v16
	s_delay_alu instid0(VALU_DEP_1) | instskip(SKIP_1) | instid1(VALU_DEP_2)
	v_subrev_nc_u32_e32 v17, 28, v16
	v_sub_nc_u32_e32 v16, 29, v16
	v_lshlrev_b64 v[164:165], v17, v[6:7]
	s_delay_alu instid0(VALU_DEP_1)
	v_and_b32_e32 v6, 7, v164
; %bb.912:                              ;   in Loop: Header=BB245_483 Depth=1
	s_or_b32 exec_lo, exec_lo, s15
	v_lshlrev_b32_e32 v17, 24, v163
	s_delay_alu instid0(VALU_DEP_2) | instskip(SKIP_1) | instid1(VALU_DEP_3)
	v_lshlrev_b32_e32 v6, 20, v6
	v_lshl_add_u32 v16, v16, 23, 0x3c000000
	v_and_b32_e32 v17, 0x80000000, v17
	s_delay_alu instid0(VALU_DEP_1) | instskip(NEXT) | instid1(VALU_DEP_1)
	v_or3_b32 v6, v6, v17, v16
	v_dual_mov_b32 v17, v7 :: v_dual_mov_b32 v16, v6
.LBB245_913:                            ;   in Loop: Header=BB245_483 Depth=1
	s_or_b32 exec_lo, exec_lo, s13
.LBB245_914:                            ;   in Loop: Header=BB245_483 Depth=1
	s_delay_alu instid0(SALU_CYCLE_1)
	s_or_b32 exec_lo, exec_lo, s12
.LBB245_915:                            ;   in Loop: Header=BB245_483 Depth=1
	s_delay_alu instid0(SALU_CYCLE_1) | instskip(NEXT) | instid1(SALU_CYCLE_1)
	s_or_b32 exec_lo, exec_lo, s10
	s_mov_b32 s12, exec_lo
	v_cmpx_lt_u32_e32 0xffffff, v162
	s_cbranch_execz .LBB245_923
; %bb.916:                              ;   in Loop: Header=BB245_483 Depth=1
	v_lshrrev_b32_e32 v163, 24, v162
	v_dual_mov_b32 v19, s9 :: v_dual_mov_b32 v18, s8
	s_mov_b32 s13, exec_lo
	s_delay_alu instid0(VALU_DEP_2)
	v_cmpx_ne_u32_e32 0x80, v163
	s_cbranch_execz .LBB245_922
; %bb.917:                              ;   in Loop: Header=BB245_483 Depth=1
	s_mov_b32 s10, s8
	v_bfe_u32 v162, v162, 24, 7
	v_dual_mov_b32 v19, s11 :: v_dual_mov_b32 v18, s10
	s_mov_b32 s10, exec_lo
	s_delay_alu instid0(VALU_DEP_2)
	v_cmpx_ne_u32_e32 0x7f, v162
	s_cbranch_execz .LBB245_921
; %bb.918:                              ;   in Loop: Header=BB245_483 Depth=1
	v_and_b32_e32 v6, 7, v163
	v_lshrrev_b32_e32 v18, 3, v162
	s_mov_b32 s15, exec_lo
	v_cmpx_gt_u32_e32 8, v162
; %bb.919:                              ;   in Loop: Header=BB245_483 Depth=1
	s_delay_alu instid0(VALU_DEP_3) | instskip(NEXT) | instid1(VALU_DEP_1)
	v_clz_i32_u32_e32 v18, v6
	v_min_u32_e32 v18, 32, v18
	s_delay_alu instid0(VALU_DEP_1) | instskip(SKIP_1) | instid1(VALU_DEP_2)
	v_subrev_nc_u32_e32 v19, 28, v18
	v_sub_nc_u32_e32 v18, 29, v18
	v_lshlrev_b64 v[164:165], v19, v[6:7]
	s_delay_alu instid0(VALU_DEP_1)
	v_and_b32_e32 v6, 7, v164
; %bb.920:                              ;   in Loop: Header=BB245_483 Depth=1
	s_or_b32 exec_lo, exec_lo, s15
	v_lshlrev_b32_e32 v19, 24, v163
	s_delay_alu instid0(VALU_DEP_2) | instskip(SKIP_1) | instid1(VALU_DEP_3)
	v_lshlrev_b32_e32 v6, 20, v6
	v_lshl_add_u32 v18, v18, 23, 0x3c000000
	v_and_b32_e32 v19, 0x80000000, v19
	s_delay_alu instid0(VALU_DEP_1)
	v_or3_b32 v19, v6, v19, v18
	v_mov_b32_e32 v18, v7
.LBB245_921:                            ;   in Loop: Header=BB245_483 Depth=1
	s_or_b32 exec_lo, exec_lo, s10
.LBB245_922:                            ;   in Loop: Header=BB245_483 Depth=1
	s_delay_alu instid0(SALU_CYCLE_1)
	s_or_b32 exec_lo, exec_lo, s13
.LBB245_923:                            ;   in Loop: Header=BB245_483 Depth=1
	s_delay_alu instid0(SALU_CYCLE_1) | instskip(SKIP_4) | instid1(VALU_DEP_3)
	s_or_b32 exec_lo, exec_lo, s12
	v_or_b32_e32 v5, v15, v5
	v_or_b32_e32 v4, v14, v4
	v_or_b32_e32 v6, v19, v17
	v_or_b32_e32 v14, v18, v16
	v_dual_mul_f32 v163, v52, v5 :: v_dual_mul_f32 v162, v49, v4
	s_delay_alu instid0(VALU_DEP_3) | instskip(NEXT) | instid1(VALU_DEP_3)
	v_mul_f32_e32 v18, v52, v6
	v_mul_f32_e32 v19, v49, v14
	s_and_saveexec_b32 s10, vcc_lo
; %bb.924:                              ;   in Loop: Header=BB245_483 Depth=1
	v_cmp_lt_i32_e64 s0, v65, v128
	s_delay_alu instid0(VALU_DEP_1) | instskip(SKIP_1) | instid1(VALU_DEP_1)
	v_cndmask_b32_e64 v162, 0, v162, s0
	v_cmp_lt_i32_e64 s0, v67, v128
	v_cndmask_b32_e64 v163, 0, v163, s0
	v_cmp_lt_i32_e64 s0, v66, v128
	s_delay_alu instid0(VALU_DEP_1) | instskip(SKIP_1) | instid1(VALU_DEP_1)
	v_cndmask_b32_e64 v19, 0, v19, s0
	v_cmp_lt_i32_e64 s0, v21, v128
	v_cndmask_b32_e64 v18, 0, v18, s0
; %bb.925:                              ;   in Loop: Header=BB245_483 Depth=1
	s_or_b32 exec_lo, exec_lo, s10
	flat_load_b32 v164, v[12:13] offset:1664
	v_mov_b32_e32 v12, 0
	v_mov_b32_e32 v13, 0
	s_mov_b32 s10, exec_lo
	s_waitcnt vmcnt(0) lgkmcnt(0)
	v_and_b32_e32 v6, 0xff, v164
	s_delay_alu instid0(VALU_DEP_2) | instskip(NEXT) | instid1(VALU_DEP_2)
	v_dual_mov_b32 v4, v12 :: v_dual_mov_b32 v5, v13
	v_cmpx_ne_u16_e32 0, v6
	s_cbranch_execz .LBB245_933
; %bb.926:                              ;   in Loop: Header=BB245_483 Depth=1
	v_bfrev_b32_e32 v4, 1
	v_mov_b32_e32 v5, 0
	s_mov_b32 s12, exec_lo
	v_cmpx_ne_u16_e32 0x80, v6
	s_cbranch_execz .LBB245_932
; %bb.927:                              ;   in Loop: Header=BB245_483 Depth=1
	v_mov_b32_e32 v4, 0x7f800001
	v_dual_mov_b32 v5, 0 :: v_dual_and_b32 v14, 0x7f, v164
	s_mov_b32 s13, exec_lo
	s_delay_alu instid0(VALU_DEP_1)
	v_cmpx_ne_u32_e32 0x7f, v14
	s_cbranch_execz .LBB245_931
; %bb.928:                              ;   in Loop: Header=BB245_483 Depth=1
	v_and_b32_e32 v6, 7, v164
	v_lshrrev_b32_e32 v4, 3, v14
	s_mov_b32 s15, exec_lo
	v_cmpx_gt_u32_e32 8, v14
; %bb.929:                              ;   in Loop: Header=BB245_483 Depth=1
	s_delay_alu instid0(VALU_DEP_3) | instskip(NEXT) | instid1(VALU_DEP_1)
	v_clz_i32_u32_e32 v4, v6
	v_min_u32_e32 v4, 32, v4
	s_delay_alu instid0(VALU_DEP_1) | instskip(SKIP_1) | instid1(VALU_DEP_2)
	v_subrev_nc_u32_e32 v5, 28, v4
	v_sub_nc_u32_e32 v4, 29, v4
	v_lshlrev_b64 v[5:6], v5, v[6:7]
	s_delay_alu instid0(VALU_DEP_1)
	v_and_b32_e32 v6, 7, v5
; %bb.930:                              ;   in Loop: Header=BB245_483 Depth=1
	s_or_b32 exec_lo, exec_lo, s15
	v_lshlrev_b32_e32 v5, 24, v164
	s_delay_alu instid0(VALU_DEP_2) | instskip(SKIP_1) | instid1(VALU_DEP_3)
	v_lshlrev_b32_e32 v6, 20, v6
	v_lshl_add_u32 v4, v4, 23, 0x3c000000
	v_and_b32_e32 v5, 0x80000000, v5
	s_delay_alu instid0(VALU_DEP_1) | instskip(NEXT) | instid1(VALU_DEP_1)
	v_or3_b32 v6, v6, v5, v4
	v_dual_mov_b32 v4, v6 :: v_dual_mov_b32 v5, v7
.LBB245_931:                            ;   in Loop: Header=BB245_483 Depth=1
	s_or_b32 exec_lo, exec_lo, s13
.LBB245_932:                            ;   in Loop: Header=BB245_483 Depth=1
	s_delay_alu instid0(SALU_CYCLE_1)
	s_or_b32 exec_lo, exec_lo, s12
.LBB245_933:                            ;   in Loop: Header=BB245_483 Depth=1
	s_delay_alu instid0(SALU_CYCLE_1) | instskip(SKIP_2) | instid1(VALU_DEP_1)
	s_or_b32 exec_lo, exec_lo, s10
	v_lshrrev_b16 v6, 8, v164
	s_mov_b32 s12, exec_lo
	v_cmpx_ne_u16_e32 0, v6
	s_cbranch_execz .LBB245_941
; %bb.934:                              ;   in Loop: Header=BB245_483 Depth=1
	v_dual_mov_b32 v13, s9 :: v_dual_mov_b32 v12, s8
	s_mov_b32 s13, exec_lo
	v_cmpx_ne_u16_e32 0x80, v6
	s_cbranch_execz .LBB245_940
; %bb.935:                              ;   in Loop: Header=BB245_483 Depth=1
	s_mov_b32 s10, s8
	v_dual_mov_b32 v13, s11 :: v_dual_and_b32 v6, 0xffff, v6
	v_mov_b32_e32 v12, s10
	s_mov_b32 s10, exec_lo
	s_delay_alu instid0(VALU_DEP_2) | instskip(NEXT) | instid1(VALU_DEP_1)
	v_and_b32_e32 v14, 0x7f, v6
	v_cmpx_ne_u32_e32 0x7f, v14
	s_cbranch_execz .LBB245_939
; %bb.936:                              ;   in Loop: Header=BB245_483 Depth=1
	v_and_b32_e32 v6, 7, v6
	v_lshrrev_b32_e32 v12, 3, v14
	s_mov_b32 s15, exec_lo
	v_cmpx_gt_u32_e32 8, v14
; %bb.937:                              ;   in Loop: Header=BB245_483 Depth=1
	s_delay_alu instid0(VALU_DEP_3) | instskip(NEXT) | instid1(VALU_DEP_1)
	v_clz_i32_u32_e32 v12, v6
	v_min_u32_e32 v12, 32, v12
	s_delay_alu instid0(VALU_DEP_1) | instskip(SKIP_1) | instid1(VALU_DEP_2)
	v_subrev_nc_u32_e32 v13, 28, v12
	v_sub_nc_u32_e32 v12, 29, v12
	v_lshlrev_b64 v[13:14], v13, v[6:7]
	s_delay_alu instid0(VALU_DEP_1)
	v_and_b32_e32 v6, 7, v13
; %bb.938:                              ;   in Loop: Header=BB245_483 Depth=1
	s_or_b32 exec_lo, exec_lo, s15
	v_lshlrev_b32_e32 v13, 16, v164
	s_delay_alu instid0(VALU_DEP_2) | instskip(SKIP_1) | instid1(VALU_DEP_3)
	v_lshlrev_b32_e32 v6, 20, v6
	v_lshl_add_u32 v12, v12, 23, 0x3c000000
	v_and_b32_e32 v13, 0x80000000, v13
	s_delay_alu instid0(VALU_DEP_1)
	v_or3_b32 v13, v6, v13, v12
	v_mov_b32_e32 v12, v7
.LBB245_939:                            ;   in Loop: Header=BB245_483 Depth=1
	s_or_b32 exec_lo, exec_lo, s10
.LBB245_940:                            ;   in Loop: Header=BB245_483 Depth=1
	s_delay_alu instid0(SALU_CYCLE_1)
	s_or_b32 exec_lo, exec_lo, s13
.LBB245_941:                            ;   in Loop: Header=BB245_483 Depth=1
	s_delay_alu instid0(SALU_CYCLE_1) | instskip(SKIP_4) | instid1(VALU_DEP_2)
	s_or_b32 exec_lo, exec_lo, s12
	v_mov_b32_e32 v16, 0
	v_lshrrev_b32_e32 v165, 16, v164
	v_mov_b32_e32 v17, 0
	s_mov_b32 s10, exec_lo
	v_and_b32_e32 v6, 0xff, v165
	s_delay_alu instid0(VALU_DEP_2) | instskip(NEXT) | instid1(VALU_DEP_2)
	v_dual_mov_b32 v14, v16 :: v_dual_mov_b32 v15, v17
	v_cmpx_ne_u16_e32 0, v6
	s_cbranch_execz .LBB245_949
; %bb.942:                              ;   in Loop: Header=BB245_483 Depth=1
	v_bfrev_b32_e32 v14, 1
	v_mov_b32_e32 v15, 0
	s_mov_b32 s12, exec_lo
	v_cmpx_ne_u16_e32 0x80, v6
	s_cbranch_execz .LBB245_948
; %bb.943:                              ;   in Loop: Header=BB245_483 Depth=1
	v_mov_b32_e32 v14, 0x7f800001
	v_bfe_u32 v166, v164, 16, 7
	v_mov_b32_e32 v15, 0
	s_mov_b32 s13, exec_lo
	s_delay_alu instid0(VALU_DEP_2)
	v_cmpx_ne_u32_e32 0x7f, v166
	s_cbranch_execz .LBB245_947
; %bb.944:                              ;   in Loop: Header=BB245_483 Depth=1
	v_and_b32_e32 v6, 7, v165
	v_lshrrev_b32_e32 v14, 3, v166
	s_mov_b32 s15, exec_lo
	v_cmpx_gt_u32_e32 8, v166
; %bb.945:                              ;   in Loop: Header=BB245_483 Depth=1
	s_delay_alu instid0(VALU_DEP_3) | instskip(NEXT) | instid1(VALU_DEP_1)
	v_clz_i32_u32_e32 v14, v6
	v_min_u32_e32 v14, 32, v14
	s_delay_alu instid0(VALU_DEP_1) | instskip(SKIP_1) | instid1(VALU_DEP_2)
	v_subrev_nc_u32_e32 v15, 28, v14
	v_sub_nc_u32_e32 v14, 29, v14
	v_lshlrev_b64 v[166:167], v15, v[6:7]
	s_delay_alu instid0(VALU_DEP_1)
	v_and_b32_e32 v6, 7, v166
; %bb.946:                              ;   in Loop: Header=BB245_483 Depth=1
	s_or_b32 exec_lo, exec_lo, s15
	v_lshlrev_b32_e32 v15, 24, v165
	s_delay_alu instid0(VALU_DEP_2) | instskip(SKIP_1) | instid1(VALU_DEP_3)
	v_lshlrev_b32_e32 v6, 20, v6
	v_lshl_add_u32 v14, v14, 23, 0x3c000000
	v_and_b32_e32 v15, 0x80000000, v15
	s_delay_alu instid0(VALU_DEP_1) | instskip(NEXT) | instid1(VALU_DEP_1)
	v_or3_b32 v6, v6, v15, v14
	v_dual_mov_b32 v15, v7 :: v_dual_mov_b32 v14, v6
.LBB245_947:                            ;   in Loop: Header=BB245_483 Depth=1
	s_or_b32 exec_lo, exec_lo, s13
.LBB245_948:                            ;   in Loop: Header=BB245_483 Depth=1
	s_delay_alu instid0(SALU_CYCLE_1)
	s_or_b32 exec_lo, exec_lo, s12
.LBB245_949:                            ;   in Loop: Header=BB245_483 Depth=1
	s_delay_alu instid0(SALU_CYCLE_1) | instskip(NEXT) | instid1(SALU_CYCLE_1)
	s_or_b32 exec_lo, exec_lo, s10
	s_mov_b32 s12, exec_lo
	v_cmpx_lt_u32_e32 0xffffff, v164
	s_cbranch_execz .LBB245_957
; %bb.950:                              ;   in Loop: Header=BB245_483 Depth=1
	v_lshrrev_b32_e32 v165, 24, v164
	v_dual_mov_b32 v17, s9 :: v_dual_mov_b32 v16, s8
	s_mov_b32 s13, exec_lo
	s_delay_alu instid0(VALU_DEP_2)
	v_cmpx_ne_u32_e32 0x80, v165
	s_cbranch_execz .LBB245_956
; %bb.951:                              ;   in Loop: Header=BB245_483 Depth=1
	s_mov_b32 s10, s8
	v_bfe_u32 v164, v164, 24, 7
	v_dual_mov_b32 v17, s11 :: v_dual_mov_b32 v16, s10
	s_mov_b32 s10, exec_lo
	s_delay_alu instid0(VALU_DEP_2)
	v_cmpx_ne_u32_e32 0x7f, v164
	s_cbranch_execz .LBB245_955
; %bb.952:                              ;   in Loop: Header=BB245_483 Depth=1
	v_and_b32_e32 v6, 7, v165
	v_lshrrev_b32_e32 v16, 3, v164
	s_mov_b32 s15, exec_lo
	v_cmpx_gt_u32_e32 8, v164
; %bb.953:                              ;   in Loop: Header=BB245_483 Depth=1
	s_delay_alu instid0(VALU_DEP_3) | instskip(NEXT) | instid1(VALU_DEP_1)
	v_clz_i32_u32_e32 v16, v6
	v_min_u32_e32 v16, 32, v16
	s_delay_alu instid0(VALU_DEP_1) | instskip(SKIP_1) | instid1(VALU_DEP_2)
	v_subrev_nc_u32_e32 v17, 28, v16
	v_sub_nc_u32_e32 v16, 29, v16
	v_lshlrev_b64 v[166:167], v17, v[6:7]
	s_delay_alu instid0(VALU_DEP_1)
	v_and_b32_e32 v6, 7, v166
; %bb.954:                              ;   in Loop: Header=BB245_483 Depth=1
	s_or_b32 exec_lo, exec_lo, s15
	v_lshlrev_b32_e32 v17, 24, v165
	s_delay_alu instid0(VALU_DEP_2) | instskip(SKIP_1) | instid1(VALU_DEP_3)
	v_lshlrev_b32_e32 v6, 20, v6
	v_lshl_add_u32 v16, v16, 23, 0x3c000000
	v_and_b32_e32 v17, 0x80000000, v17
	s_delay_alu instid0(VALU_DEP_1)
	v_or3_b32 v17, v6, v17, v16
	v_mov_b32_e32 v16, v7
.LBB245_955:                            ;   in Loop: Header=BB245_483 Depth=1
	s_or_b32 exec_lo, exec_lo, s10
.LBB245_956:                            ;   in Loop: Header=BB245_483 Depth=1
	s_delay_alu instid0(SALU_CYCLE_1)
	s_or_b32 exec_lo, exec_lo, s13
.LBB245_957:                            ;   in Loop: Header=BB245_483 Depth=1
	s_delay_alu instid0(SALU_CYCLE_1) | instskip(SKIP_4) | instid1(VALU_DEP_4)
	s_or_b32 exec_lo, exec_lo, s12
	v_or_b32_e32 v5, v13, v5
	v_or_b32_e32 v4, v12, v4
	;; [unrolled: 1-line block ×4, first 2 shown]
	v_mul_f32_e32 v12, v52, v5
	s_delay_alu instid0(VALU_DEP_4) | instskip(NEXT) | instid1(VALU_DEP_3)
	v_mul_f32_e32 v6, v49, v4
	v_dual_mul_f32 v4, v52, v13 :: v_dual_mul_f32 v5, v49, v14
	s_and_saveexec_b32 s0, vcc_lo
	s_cbranch_execz .LBB245_482
; %bb.958:                              ;   in Loop: Header=BB245_483 Depth=1
	v_cmp_lt_i32_e32 vcc_lo, v65, v128
	v_cndmask_b32_e32 v6, 0, v6, vcc_lo
	v_cmp_lt_i32_e32 vcc_lo, v67, v128
	v_cndmask_b32_e32 v12, 0, v12, vcc_lo
	;; [unrolled: 2-line block ×4, first 2 shown]
	s_branch .LBB245_482
.LBB245_959:
	s_or_b32 exec_lo, exec_lo, s5
	v_dual_mov_b32 v0, s6 :: v_dual_mov_b32 v1, s7
	v_dual_mov_b32 v49, v22 :: v_dual_mov_b32 v50, v176
	v_mov_b32_e32 v51, v178
.LBB245_960:
	s_or_b32 exec_lo, exec_lo, s3
	s_delay_alu instid0(VALU_DEP_3)
	v_lshlrev_b64 v[0:1], 2, v[0:1]
	s_getpc_b64 s[6:7]
	s_add_u32 s6, s6, llvm.amdgcn.dynlds.offset.table@rel32@lo+4
	s_addc_u32 s7, s7, llvm.amdgcn.dynlds.offset.table@rel32@hi+12
	s_waitcnt lgkmcnt(0)
	s_waitcnt_vscnt null, 0x0
	s_barrier
	buffer_gl0_inv
	ds_bpermute_b32 v2, v25, v39
	v_add_co_u32 v0, vcc_lo, v0, s6
	v_add_co_ci_u32_e32 v1, vcc_lo, s7, v1, vcc_lo
	ds_bpermute_b32 v3, v25, v38
	ds_bpermute_b32 v4, v25, v36
	;; [unrolled: 1-line block ×3, first 2 shown]
	global_load_b32 v15, v[0:1], off
	ds_bpermute_b32 v0, v25, v37
	ds_bpermute_b32 v1, v25, v48
	;; [unrolled: 1-line block ×10, first 2 shown]
	v_lshrrev_b32_e32 v14, 2, v24
	s_waitcnt lgkmcnt(13)
	v_add_f32_e32 v2, v39, v2
	s_mov_b32 s0, exec_lo
	s_waitcnt lgkmcnt(11)
	v_dual_add_f32 v3, v38, v3 :: v_dual_add_f32 v4, v36, v4
	s_waitcnt lgkmcnt(10)
	v_add_f32_e32 v5, v35, v5
	ds_bpermute_b32 v18, v28, v2
	s_waitcnt lgkmcnt(9)
	v_dual_add_f32 v0, v37, v0 :: v_dual_add_f32 v1, v48, v1
	s_waitcnt lgkmcnt(7)
	v_dual_add_f32 v6, v34, v6 :: v_dual_add_f32 v7, v33, v7
	;; [unrolled: 2-line block ×3, first 2 shown]
	ds_bpermute_b32 v16, v28, v0
	ds_bpermute_b32 v17, v28, v1
	s_waitcnt lgkmcnt(5)
	v_dual_add_f32 v10, v30, v10 :: v_dual_add_f32 v11, v180, v11
	s_waitcnt lgkmcnt(4)
	v_add_f32_e32 v12, v179, v12
	s_waitcnt lgkmcnt(3)
	v_add_f32_e32 v13, v23, v13
	ds_bpermute_b32 v19, v28, v3
	ds_bpermute_b32 v20, v28, v4
	;; [unrolled: 1-line block ×9, first 2 shown]
	v_and_b32_e32 v32, 0x3c3, v177
	s_waitcnt lgkmcnt(11)
	v_add_f32_e32 v2, v2, v18
	s_waitcnt lgkmcnt(9)
	v_dual_add_f32 v0, v0, v16 :: v_dual_add_f32 v1, v1, v17
	ds_bpermute_b32 v31, v28, v12
	ds_bpermute_b32 v28, v28, v13
	s_waitcnt lgkmcnt(10)
	v_dual_add_f32 v3, v3, v19 :: v_dual_lshlrev_b32 v16, 2, v14
	s_waitcnt lgkmcnt(8)
	v_dual_add_f32 v4, v4, v20 :: v_dual_add_f32 v5, v5, v21
	s_waitcnt lgkmcnt(6)
	v_dual_add_f32 v6, v6, v22 :: v_dual_add_f32 v7, v7, v23
	;; [unrolled: 2-line block ×5, first 2 shown]
	s_waitcnt vmcnt(0)
	v_mad_u32_u24 v15, 0x1c0, v51, v15
	v_cmpx_eq_u32_e32 64, v32
	s_cbranch_execz .LBB245_962
; %bb.961:
	s_delay_alu instid0(VALU_DEP_2)
	v_add3_u32 v17, v15, v16, 0xfffffc80
	ds_store_2addr_b32 v17, v0, v1 offset1:8
	ds_store_2addr_b32 v17, v2, v3 offset0:16 offset1:24
	ds_store_2addr_b32 v17, v4, v5 offset0:32 offset1:40
	;; [unrolled: 1-line block ×6, first 2 shown]
.LBB245_962:
	s_or_b32 exec_lo, exec_lo, s0
	v_cmp_eq_u32_e32 vcc_lo, 0, v29
	s_mov_b32 s3, exec_lo
	s_waitcnt lgkmcnt(0)
	s_barrier
	buffer_gl0_inv
	v_cmpx_gt_u32_e32 64, v177
	s_cbranch_execz .LBB245_979
; %bb.963:
	s_and_saveexec_b32 s0, vcc_lo
	s_cbranch_execnz .LBB245_1001
; %bb.964:
	s_or_b32 exec_lo, exec_lo, s0
	s_and_saveexec_b32 s0, vcc_lo
	s_cbranch_execnz .LBB245_1002
.LBB245_965:
	s_or_b32 exec_lo, exec_lo, s0
	s_and_saveexec_b32 s0, vcc_lo
	s_cbranch_execnz .LBB245_1003
.LBB245_966:
	s_or_b32 exec_lo, exec_lo, s0
	s_and_saveexec_b32 s0, vcc_lo
	s_cbranch_execnz .LBB245_1004
.LBB245_967:
	s_or_b32 exec_lo, exec_lo, s0
	s_and_saveexec_b32 s0, vcc_lo
	s_cbranch_execnz .LBB245_1005
.LBB245_968:
	s_or_b32 exec_lo, exec_lo, s0
	s_and_saveexec_b32 s0, vcc_lo
	s_cbranch_execnz .LBB245_1006
.LBB245_969:
	s_or_b32 exec_lo, exec_lo, s0
	s_and_saveexec_b32 s0, vcc_lo
	s_cbranch_execnz .LBB245_1007
.LBB245_970:
	s_or_b32 exec_lo, exec_lo, s0
	s_and_saveexec_b32 s0, vcc_lo
	s_cbranch_execnz .LBB245_1008
.LBB245_971:
	s_or_b32 exec_lo, exec_lo, s0
	s_and_saveexec_b32 s0, vcc_lo
	s_cbranch_execnz .LBB245_1009
.LBB245_972:
	s_or_b32 exec_lo, exec_lo, s0
	s_and_saveexec_b32 s0, vcc_lo
	s_cbranch_execnz .LBB245_1010
.LBB245_973:
	s_or_b32 exec_lo, exec_lo, s0
	s_and_saveexec_b32 s0, vcc_lo
	s_cbranch_execnz .LBB245_1011
.LBB245_974:
	s_or_b32 exec_lo, exec_lo, s0
	s_and_saveexec_b32 s0, vcc_lo
	s_cbranch_execnz .LBB245_1012
.LBB245_975:
	s_or_b32 exec_lo, exec_lo, s0
	s_and_saveexec_b32 s0, vcc_lo
	s_cbranch_execnz .LBB245_1013
.LBB245_976:
	s_or_b32 exec_lo, exec_lo, s0
	s_and_saveexec_b32 s0, vcc_lo
	s_cbranch_execz .LBB245_978
.LBB245_977:
	v_lshl_add_u32 v17, v14, 2, v15
	ds_load_b32 v17, v17 offset:416
	s_waitcnt lgkmcnt(0)
	v_add_f32_e32 v13, v17, v13
.LBB245_978:
	s_or_b32 exec_lo, exec_lo, s0
.LBB245_979:
	s_delay_alu instid0(SALU_CYCLE_1)
	s_or_b32 exec_lo, exec_lo, s3
	v_and_b32_e32 v17, 0x3e3, v177
	s_mov_b32 s3, exec_lo
	s_barrier
	buffer_gl0_inv
	v_cmpx_eq_u32_e32 32, v17
	s_cbranch_execz .LBB245_981
; %bb.980:
	v_add3_u32 v16, v15, v16, 0xfffffe40
	ds_store_2addr_b32 v16, v0, v1 offset1:8
	ds_store_2addr_b32 v16, v2, v3 offset0:16 offset1:24
	ds_store_2addr_b32 v16, v4, v5 offset0:32 offset1:40
	;; [unrolled: 1-line block ×6, first 2 shown]
.LBB245_981:
	s_or_b32 exec_lo, exec_lo, s3
	s_delay_alu instid0(SALU_CYCLE_1)
	s_mov_b32 s3, exec_lo
	s_waitcnt lgkmcnt(0)
	s_barrier
	buffer_gl0_inv
	v_cmpx_gt_u32_e32 32, v177
	s_cbranch_execz .LBB245_998
; %bb.982:
	v_lshl_add_u32 v14, v14, 2, v15
	s_and_saveexec_b32 s0, vcc_lo
	s_cbranch_execnz .LBB245_1014
; %bb.983:
	s_or_b32 exec_lo, exec_lo, s0
	s_and_saveexec_b32 s0, vcc_lo
	s_cbranch_execnz .LBB245_1015
.LBB245_984:
	s_or_b32 exec_lo, exec_lo, s0
	s_and_saveexec_b32 s0, vcc_lo
	s_cbranch_execnz .LBB245_1016
.LBB245_985:
	s_or_b32 exec_lo, exec_lo, s0
	s_and_saveexec_b32 s0, vcc_lo
	s_cbranch_execnz .LBB245_1017
.LBB245_986:
	s_or_b32 exec_lo, exec_lo, s0
	s_and_saveexec_b32 s0, vcc_lo
	s_cbranch_execnz .LBB245_1018
.LBB245_987:
	s_or_b32 exec_lo, exec_lo, s0
	s_and_saveexec_b32 s0, vcc_lo
	s_cbranch_execnz .LBB245_1019
.LBB245_988:
	s_or_b32 exec_lo, exec_lo, s0
	s_and_saveexec_b32 s0, vcc_lo
	s_cbranch_execnz .LBB245_1020
.LBB245_989:
	s_or_b32 exec_lo, exec_lo, s0
	s_and_saveexec_b32 s0, vcc_lo
	s_cbranch_execnz .LBB245_1021
.LBB245_990:
	s_or_b32 exec_lo, exec_lo, s0
	s_and_saveexec_b32 s0, vcc_lo
	s_cbranch_execnz .LBB245_1022
.LBB245_991:
	s_or_b32 exec_lo, exec_lo, s0
	s_and_saveexec_b32 s0, vcc_lo
	s_cbranch_execnz .LBB245_1023
.LBB245_992:
	s_or_b32 exec_lo, exec_lo, s0
	s_and_saveexec_b32 s0, vcc_lo
	s_cbranch_execnz .LBB245_1024
.LBB245_993:
	s_or_b32 exec_lo, exec_lo, s0
	s_and_saveexec_b32 s0, vcc_lo
	s_cbranch_execnz .LBB245_1025
.LBB245_994:
	s_or_b32 exec_lo, exec_lo, s0
	s_and_saveexec_b32 s0, vcc_lo
	s_cbranch_execnz .LBB245_1026
.LBB245_995:
	s_or_b32 exec_lo, exec_lo, s0
	s_and_saveexec_b32 s0, vcc_lo
	s_cbranch_execz .LBB245_997
.LBB245_996:
	ds_load_b32 v14, v14 offset:416
	s_waitcnt lgkmcnt(0)
	v_add_f32_e32 v13, v14, v13
.LBB245_997:
	s_or_b32 exec_lo, exec_lo, s0
.LBB245_998:
	s_delay_alu instid0(SALU_CYCLE_1)
	s_or_b32 exec_lo, exec_lo, s3
	v_cmp_eq_u32_e32 vcc_lo, 0, v17
	s_barrier
	buffer_gl0_inv
	s_and_b32 exec_lo, exec_lo, vcc_lo
	s_cbranch_execz .LBB245_1000
; %bb.999:
	s_mul_i32 s0, s2, 0x70
	s_mul_i32 s2, s4, s1
	;; [unrolled: 1-line block ×3, first 2 shown]
	s_ashr_i32 s3, s2, 31
	s_ashr_i32 s5, s4, 31
	;; [unrolled: 1-line block ×3, first 2 shown]
	s_lshl_b64 s[2:3], s[2:3], 2
	s_lshl_b64 s[4:5], s[4:5], 2
	;; [unrolled: 1-line block ×3, first 2 shown]
	s_add_u32 s2, s4, s2
	s_addc_u32 s3, s5, s3
	s_add_u32 s0, s2, s0
	s_addc_u32 s1, s3, s1
	v_add_co_u32 v14, vcc_lo, s0, v50
	v_add_co_ci_u32_e32 v15, vcc_lo, s1, v49, vcc_lo
	s_delay_alu instid0(VALU_DEP_2) | instskip(NEXT) | instid1(VALU_DEP_2)
	v_add_co_u32 v14, vcc_lo, v14, v177
	v_add_co_ci_u32_e32 v15, vcc_lo, 0, v15, vcc_lo
	s_clause 0xd
	flat_store_b32 v[14:15], v0
	flat_store_b32 v[14:15], v1 offset:32
	flat_store_b32 v[14:15], v2 offset:64
	;; [unrolled: 1-line block ×13, first 2 shown]
.LBB245_1000:
	s_or_b32 exec_lo, exec_lo, s20
	s_clause 0x1f
	scratch_load_b32 v191, off, s32
	scratch_load_b32 v190, off, s32 offset:4
	scratch_load_b32 v189, off, s32 offset:8
	;; [unrolled: 1-line block ×31, first 2 shown]
	s_clause 0x1f
	scratch_load_b32 v127, off, s32 offset:128
	scratch_load_b32 v126, off, s32 offset:132
	;; [unrolled: 1-line block ×32, first 2 shown]
	s_clause 0xf
	scratch_load_b32 v63, off, s32 offset:256
	scratch_load_b32 v62, off, s32 offset:260
	;; [unrolled: 1-line block ×16, first 2 shown]
	s_waitcnt vmcnt(0) lgkmcnt(0)
	s_setpc_b64 s[30:31]
.LBB245_1001:
	v_lshl_add_u32 v17, v14, 2, v15
	ds_load_b32 v17, v17
	s_waitcnt lgkmcnt(0)
	v_add_f32_e32 v0, v17, v0
	s_or_b32 exec_lo, exec_lo, s0
	s_and_saveexec_b32 s0, vcc_lo
	s_cbranch_execz .LBB245_965
.LBB245_1002:
	v_lshl_add_u32 v17, v14, 2, v15
	ds_load_b32 v17, v17 offset:32
	s_waitcnt lgkmcnt(0)
	v_add_f32_e32 v1, v17, v1
	s_or_b32 exec_lo, exec_lo, s0
	s_and_saveexec_b32 s0, vcc_lo
	s_cbranch_execz .LBB245_966
.LBB245_1003:
	v_lshl_add_u32 v17, v14, 2, v15
	ds_load_b32 v17, v17 offset:64
	s_waitcnt lgkmcnt(0)
	v_add_f32_e32 v2, v17, v2
	s_or_b32 exec_lo, exec_lo, s0
	s_and_saveexec_b32 s0, vcc_lo
	s_cbranch_execz .LBB245_967
.LBB245_1004:
	v_lshl_add_u32 v17, v14, 2, v15
	ds_load_b32 v17, v17 offset:96
	s_waitcnt lgkmcnt(0)
	v_add_f32_e32 v3, v17, v3
	s_or_b32 exec_lo, exec_lo, s0
	s_and_saveexec_b32 s0, vcc_lo
	s_cbranch_execz .LBB245_968
.LBB245_1005:
	v_lshl_add_u32 v17, v14, 2, v15
	ds_load_b32 v17, v17 offset:128
	s_waitcnt lgkmcnt(0)
	v_add_f32_e32 v4, v17, v4
	s_or_b32 exec_lo, exec_lo, s0
	s_and_saveexec_b32 s0, vcc_lo
	s_cbranch_execz .LBB245_969
.LBB245_1006:
	v_lshl_add_u32 v17, v14, 2, v15
	ds_load_b32 v17, v17 offset:160
	s_waitcnt lgkmcnt(0)
	v_add_f32_e32 v5, v17, v5
	s_or_b32 exec_lo, exec_lo, s0
	s_and_saveexec_b32 s0, vcc_lo
	s_cbranch_execz .LBB245_970
.LBB245_1007:
	v_lshl_add_u32 v17, v14, 2, v15
	ds_load_b32 v17, v17 offset:192
	s_waitcnt lgkmcnt(0)
	v_add_f32_e32 v6, v17, v6
	s_or_b32 exec_lo, exec_lo, s0
	s_and_saveexec_b32 s0, vcc_lo
	s_cbranch_execz .LBB245_971
.LBB245_1008:
	v_lshl_add_u32 v17, v14, 2, v15
	ds_load_b32 v17, v17 offset:224
	s_waitcnt lgkmcnt(0)
	v_add_f32_e32 v7, v17, v7
	s_or_b32 exec_lo, exec_lo, s0
	s_and_saveexec_b32 s0, vcc_lo
	s_cbranch_execz .LBB245_972
.LBB245_1009:
	v_lshl_add_u32 v17, v14, 2, v15
	ds_load_b32 v17, v17 offset:256
	s_waitcnt lgkmcnt(0)
	v_add_f32_e32 v8, v17, v8
	s_or_b32 exec_lo, exec_lo, s0
	s_and_saveexec_b32 s0, vcc_lo
	s_cbranch_execz .LBB245_973
.LBB245_1010:
	v_lshl_add_u32 v17, v14, 2, v15
	ds_load_b32 v17, v17 offset:288
	s_waitcnt lgkmcnt(0)
	v_add_f32_e32 v9, v17, v9
	s_or_b32 exec_lo, exec_lo, s0
	s_and_saveexec_b32 s0, vcc_lo
	s_cbranch_execz .LBB245_974
.LBB245_1011:
	v_lshl_add_u32 v17, v14, 2, v15
	ds_load_b32 v17, v17 offset:320
	s_waitcnt lgkmcnt(0)
	v_add_f32_e32 v10, v17, v10
	s_or_b32 exec_lo, exec_lo, s0
	s_and_saveexec_b32 s0, vcc_lo
	s_cbranch_execz .LBB245_975
.LBB245_1012:
	v_lshl_add_u32 v17, v14, 2, v15
	ds_load_b32 v17, v17 offset:352
	s_waitcnt lgkmcnt(0)
	v_add_f32_e32 v11, v17, v11
	s_or_b32 exec_lo, exec_lo, s0
	s_and_saveexec_b32 s0, vcc_lo
	s_cbranch_execz .LBB245_976
.LBB245_1013:
	v_lshl_add_u32 v17, v14, 2, v15
	ds_load_b32 v17, v17 offset:384
	s_waitcnt lgkmcnt(0)
	v_add_f32_e32 v12, v17, v12
	s_or_b32 exec_lo, exec_lo, s0
	s_and_saveexec_b32 s0, vcc_lo
	s_cbranch_execnz .LBB245_977
	s_branch .LBB245_978
.LBB245_1014:
	ds_load_b32 v15, v14
	s_waitcnt lgkmcnt(0)
	v_add_f32_e32 v0, v15, v0
	s_or_b32 exec_lo, exec_lo, s0
	s_and_saveexec_b32 s0, vcc_lo
	s_cbranch_execz .LBB245_984
.LBB245_1015:
	ds_load_b32 v15, v14 offset:32
	s_waitcnt lgkmcnt(0)
	v_add_f32_e32 v1, v15, v1
	s_or_b32 exec_lo, exec_lo, s0
	s_and_saveexec_b32 s0, vcc_lo
	s_cbranch_execz .LBB245_985
.LBB245_1016:
	ds_load_b32 v15, v14 offset:64
	s_waitcnt lgkmcnt(0)
	v_add_f32_e32 v2, v15, v2
	s_or_b32 exec_lo, exec_lo, s0
	s_and_saveexec_b32 s0, vcc_lo
	s_cbranch_execz .LBB245_986
.LBB245_1017:
	ds_load_b32 v15, v14 offset:96
	s_waitcnt lgkmcnt(0)
	v_add_f32_e32 v3, v15, v3
	s_or_b32 exec_lo, exec_lo, s0
	s_and_saveexec_b32 s0, vcc_lo
	s_cbranch_execz .LBB245_987
.LBB245_1018:
	ds_load_b32 v15, v14 offset:128
	s_waitcnt lgkmcnt(0)
	v_add_f32_e32 v4, v15, v4
	s_or_b32 exec_lo, exec_lo, s0
	s_and_saveexec_b32 s0, vcc_lo
	s_cbranch_execz .LBB245_988
.LBB245_1019:
	ds_load_b32 v15, v14 offset:160
	s_waitcnt lgkmcnt(0)
	v_add_f32_e32 v5, v15, v5
	s_or_b32 exec_lo, exec_lo, s0
	s_and_saveexec_b32 s0, vcc_lo
	s_cbranch_execz .LBB245_989
.LBB245_1020:
	ds_load_b32 v15, v14 offset:192
	s_waitcnt lgkmcnt(0)
	v_add_f32_e32 v6, v15, v6
	s_or_b32 exec_lo, exec_lo, s0
	s_and_saveexec_b32 s0, vcc_lo
	s_cbranch_execz .LBB245_990
.LBB245_1021:
	ds_load_b32 v15, v14 offset:224
	s_waitcnt lgkmcnt(0)
	v_add_f32_e32 v7, v15, v7
	s_or_b32 exec_lo, exec_lo, s0
	s_and_saveexec_b32 s0, vcc_lo
	s_cbranch_execz .LBB245_991
.LBB245_1022:
	ds_load_b32 v15, v14 offset:256
	s_waitcnt lgkmcnt(0)
	v_add_f32_e32 v8, v15, v8
	s_or_b32 exec_lo, exec_lo, s0
	s_and_saveexec_b32 s0, vcc_lo
	s_cbranch_execz .LBB245_992
.LBB245_1023:
	ds_load_b32 v15, v14 offset:288
	s_waitcnt lgkmcnt(0)
	v_add_f32_e32 v9, v15, v9
	s_or_b32 exec_lo, exec_lo, s0
	s_and_saveexec_b32 s0, vcc_lo
	s_cbranch_execz .LBB245_993
.LBB245_1024:
	ds_load_b32 v15, v14 offset:320
	s_waitcnt lgkmcnt(0)
	v_add_f32_e32 v10, v15, v10
	s_or_b32 exec_lo, exec_lo, s0
	s_and_saveexec_b32 s0, vcc_lo
	s_cbranch_execz .LBB245_994
.LBB245_1025:
	ds_load_b32 v15, v14 offset:352
	s_waitcnt lgkmcnt(0)
	v_add_f32_e32 v11, v15, v11
	s_or_b32 exec_lo, exec_lo, s0
	s_and_saveexec_b32 s0, vcc_lo
	s_cbranch_execz .LBB245_995
.LBB245_1026:
	ds_load_b32 v15, v14 offset:384
	s_waitcnt lgkmcnt(0)
	v_add_f32_e32 v12, v15, v12
	s_or_b32 exec_lo, exec_lo, s0
	s_and_saveexec_b32 s0, vcc_lo
	s_cbranch_execnz .LBB245_996
	s_branch .LBB245_997
.Lfunc_end245:
	.size	_ZN4vllm22paged_attention_kernelIfhLi112ELi16ELi128ELNS_18Fp8KVCacheDataTypeE1ELb0ELi512EEEvPfS2_PT_PKS3_PKT0_S9_ifPKiSB_iPKfiiiSD_SD_iiiii, .Lfunc_end245-_ZN4vllm22paged_attention_kernelIfhLi112ELi16ELi128ELNS_18Fp8KVCacheDataTypeE1ELb0ELi512EEEvPfS2_PT_PKS3_PKT0_S9_ifPKiSB_iPKfiiiSD_SD_iiiii
                                        ; -- End function
	.section	.AMDGPU.csdata,"",@progbits
; Function info:
; codeLenInByte = 36500
; NumSgprs: 35
; NumVgprs: 192
; ScratchSize: 416
; MemoryBound: 0
	.section	.text._ZN4vllm25paged_attention_v2_kernelIfhLi112ELi16ELi128ELNS_18Fp8KVCacheDataTypeE1ELb0ELi512EEEvPfS2_PT_PKS3_PKT0_S9_ifPKiSB_iPKfiiiSD_SD_iiiii,"axG",@progbits,_ZN4vllm25paged_attention_v2_kernelIfhLi112ELi16ELi128ELNS_18Fp8KVCacheDataTypeE1ELb0ELi512EEEvPfS2_PT_PKS3_PKT0_S9_ifPKiSB_iPKfiiiSD_SD_iiiii,comdat
	.protected	_ZN4vllm25paged_attention_v2_kernelIfhLi112ELi16ELi128ELNS_18Fp8KVCacheDataTypeE1ELb0ELi512EEEvPfS2_PT_PKS3_PKT0_S9_ifPKiSB_iPKfiiiSD_SD_iiiii ; -- Begin function _ZN4vllm25paged_attention_v2_kernelIfhLi112ELi16ELi128ELNS_18Fp8KVCacheDataTypeE1ELb0ELi512EEEvPfS2_PT_PKS3_PKT0_S9_ifPKiSB_iPKfiiiSD_SD_iiiii
	.globl	_ZN4vllm25paged_attention_v2_kernelIfhLi112ELi16ELi128ELNS_18Fp8KVCacheDataTypeE1ELb0ELi512EEEvPfS2_PT_PKS3_PKT0_S9_ifPKiSB_iPKfiiiSD_SD_iiiii
	.p2align	8
	.type	_ZN4vllm25paged_attention_v2_kernelIfhLi112ELi16ELi128ELNS_18Fp8KVCacheDataTypeE1ELb0ELi512EEEvPfS2_PT_PKS3_PKT0_S9_ifPKiSB_iPKfiiiSD_SD_iiiii,@function
_ZN4vllm25paged_attention_v2_kernelIfhLi112ELi16ELi128ELNS_18Fp8KVCacheDataTypeE1ELb0ELi512EEEvPfS2_PT_PKS3_PKT0_S9_ifPKiSB_iPKfiiiSD_SD_iiiii: ; @_ZN4vllm25paged_attention_v2_kernelIfhLi112ELi16ELi128ELNS_18Fp8KVCacheDataTypeE1ELb0ELi512EEEvPfS2_PT_PKS3_PKT0_S9_ifPKiSB_iPKfiiiSD_SD_iiiii
; %bb.0:
	s_clause 0x5
	s_load_b256 s[24:31], s[0:1], 0x0
	s_load_b256 s[16:23], s[0:1], 0x20
	s_load_b64 s[2:3], s[0:1], 0x40
	s_load_b64 s[4:5], s[0:1], 0x50
	s_load_b32 s6, s[0:1], 0x48
	s_load_b256 s[36:43], s[0:1], 0x58
	v_mov_b32_e32 v31, v0
	s_add_u32 s8, s0, 0x90
	s_mov_b32 s12, s13
	s_addc_u32 s9, s1, 0
	s_mov_b32 s13, s14
	s_mov_b32 s14, s15
	;; [unrolled: 1-line block ×4, first 2 shown]
	s_getpc_b64 s[0:1]
	s_add_u32 s0, s0, _ZN4vllm22paged_attention_kernelIfhLi112ELi16ELi128ELNS_18Fp8KVCacheDataTypeE1ELb0ELi512EEEvPfS2_PT_PKS3_PKT0_S9_ifPKiSB_iPKfiiiSD_SD_iiiii@rel32@lo+4
	s_addc_u32 s1, s1, _ZN4vllm22paged_attention_kernelIfhLi112ELi16ELi128ELNS_18Fp8KVCacheDataTypeE1ELb0ELi512EEEvPfS2_PT_PKS3_PKT0_S9_ifPKiSB_iPKfiiiSD_SD_iiiii@rel32@hi+12
	s_waitcnt lgkmcnt(0)
	v_dual_mov_b32 v0, s24 :: v_dual_mov_b32 v1, s25
	v_dual_mov_b32 v2, s26 :: v_dual_mov_b32 v3, s27
	;; [unrolled: 1-line block ×14, first 2 shown]
	s_swappc_b64 s[30:31], s[0:1]
	s_endpgm
	.section	.rodata,"a",@progbits
	.p2align	6, 0x0
	.amdhsa_kernel _ZN4vllm25paged_attention_v2_kernelIfhLi112ELi16ELi128ELNS_18Fp8KVCacheDataTypeE1ELb0ELi512EEEvPfS2_PT_PKS3_PKT0_S9_ifPKiSB_iPKfiiiSD_SD_iiiii
		.amdhsa_group_segment_fixed_size 480
		.amdhsa_private_segment_fixed_size 416
		.amdhsa_kernarg_size 400
		.amdhsa_user_sgpr_count 13
		.amdhsa_user_sgpr_dispatch_ptr 0
		.amdhsa_user_sgpr_queue_ptr 0
		.amdhsa_user_sgpr_kernarg_segment_ptr 1
		.amdhsa_user_sgpr_dispatch_id 0
		.amdhsa_user_sgpr_private_segment_size 0
		.amdhsa_wavefront_size32 1
		.amdhsa_uses_dynamic_stack 0
		.amdhsa_enable_private_segment 1
		.amdhsa_system_sgpr_workgroup_id_x 1
		.amdhsa_system_sgpr_workgroup_id_y 1
		.amdhsa_system_sgpr_workgroup_id_z 1
		.amdhsa_system_sgpr_workgroup_info 0
		.amdhsa_system_vgpr_workitem_id 0
		.amdhsa_next_free_vgpr 192
		.amdhsa_next_free_sgpr 44
		.amdhsa_reserve_vcc 1
		.amdhsa_float_round_mode_32 0
		.amdhsa_float_round_mode_16_64 0
		.amdhsa_float_denorm_mode_32 3
		.amdhsa_float_denorm_mode_16_64 3
		.amdhsa_dx10_clamp 1
		.amdhsa_ieee_mode 1
		.amdhsa_fp16_overflow 0
		.amdhsa_workgroup_processor_mode 1
		.amdhsa_memory_ordered 1
		.amdhsa_forward_progress 0
		.amdhsa_shared_vgpr_count 0
		.amdhsa_exception_fp_ieee_invalid_op 0
		.amdhsa_exception_fp_denorm_src 0
		.amdhsa_exception_fp_ieee_div_zero 0
		.amdhsa_exception_fp_ieee_overflow 0
		.amdhsa_exception_fp_ieee_underflow 0
		.amdhsa_exception_fp_ieee_inexact 0
		.amdhsa_exception_int_div_zero 0
	.end_amdhsa_kernel
	.section	.text._ZN4vllm25paged_attention_v2_kernelIfhLi112ELi16ELi128ELNS_18Fp8KVCacheDataTypeE1ELb0ELi512EEEvPfS2_PT_PKS3_PKT0_S9_ifPKiSB_iPKfiiiSD_SD_iiiii,"axG",@progbits,_ZN4vllm25paged_attention_v2_kernelIfhLi112ELi16ELi128ELNS_18Fp8KVCacheDataTypeE1ELb0ELi512EEEvPfS2_PT_PKS3_PKT0_S9_ifPKiSB_iPKfiiiSD_SD_iiiii,comdat
.Lfunc_end246:
	.size	_ZN4vllm25paged_attention_v2_kernelIfhLi112ELi16ELi128ELNS_18Fp8KVCacheDataTypeE1ELb0ELi512EEEvPfS2_PT_PKS3_PKT0_S9_ifPKiSB_iPKfiiiSD_SD_iiiii, .Lfunc_end246-_ZN4vllm25paged_attention_v2_kernelIfhLi112ELi16ELi128ELNS_18Fp8KVCacheDataTypeE1ELb0ELi512EEEvPfS2_PT_PKS3_PKT0_S9_ifPKiSB_iPKfiiiSD_SD_iiiii
                                        ; -- End function
	.section	.AMDGPU.csdata,"",@progbits
; Kernel info:
; codeLenInByte = 232
; NumSgprs: 46
; NumVgprs: 192
; ScratchSize: 416
; MemoryBound: 0
; FloatMode: 240
; IeeeMode: 1
; LDSByteSize: 480 bytes/workgroup (compile time only)
; SGPRBlocks: 5
; VGPRBlocks: 23
; NumSGPRsForWavesPerEU: 46
; NumVGPRsForWavesPerEU: 192
; Occupancy: 8
; WaveLimiterHint : 1
; COMPUTE_PGM_RSRC2:SCRATCH_EN: 1
; COMPUTE_PGM_RSRC2:USER_SGPR: 13
; COMPUTE_PGM_RSRC2:TRAP_HANDLER: 0
; COMPUTE_PGM_RSRC2:TGID_X_EN: 1
; COMPUTE_PGM_RSRC2:TGID_Y_EN: 1
; COMPUTE_PGM_RSRC2:TGID_Z_EN: 1
; COMPUTE_PGM_RSRC2:TIDIG_COMP_CNT: 0
	.text
	.p2align	2                               ; -- Begin function _ZN4vllm22paged_attention_kernelIfhLi120ELi16ELi128ELNS_18Fp8KVCacheDataTypeE1ELb0ELi512EEEvPfS2_PT_PKS3_PKT0_S9_ifPKiSB_iPKfiiiSD_SD_iiiii
	.type	_ZN4vllm22paged_attention_kernelIfhLi120ELi16ELi128ELNS_18Fp8KVCacheDataTypeE1ELb0ELi512EEEvPfS2_PT_PKS3_PKT0_S9_ifPKiSB_iPKfiiiSD_SD_iiiii,@function
_ZN4vllm22paged_attention_kernelIfhLi120ELi16ELi128ELNS_18Fp8KVCacheDataTypeE1ELb0ELi512EEEvPfS2_PT_PKS3_PKT0_S9_ifPKiSB_iPKfiiiSD_SD_iiiii: ; @_ZN4vllm22paged_attention_kernelIfhLi120ELi16ELi128ELNS_18Fp8KVCacheDataTypeE1ELb0ELi512EEEvPfS2_PT_PKS3_PKT0_S9_ifPKiSB_iPKfiiiSD_SD_iiiii
; %bb.0:
	s_waitcnt vmcnt(0) expcnt(0) lgkmcnt(0)
	s_clause 0x1f
	scratch_store_b32 off, v40, s32 offset:316
	; meta instruction
	scratch_store_b32 off, v41, s32 offset:312
	; meta instruction
	;; [unrolled: 2-line block ×31, first 2 shown]
	scratch_store_b32 off, v95, s32 offset:192
	s_clause 0x1f
	scratch_store_b32 off, v104, s32 offset:188
	; meta instruction
	scratch_store_b32 off, v105, s32 offset:184
	; meta instruction
	;; [unrolled: 2-line block ×31, first 2 shown]
	scratch_store_b32 off, v159, s32 offset:64
	s_clause 0xf
	scratch_store_b32 off, v168, s32 offset:60
	; meta instruction
	scratch_store_b32 off, v169, s32 offset:56
	; meta instruction
	;; [unrolled: 2-line block ×15, first 2 shown]
	scratch_store_b32 off, v191, s32
	s_mov_b32 s10, s13
	s_ashr_i32 s11, s13, 31
	v_dual_mov_b32 v28, v1 :: v_dual_mov_b32 v29, v0
	s_lshl_b64 s[0:1], s[10:11], 2
	s_clause 0x2
	scratch_store_b64 off, v[24:25], s32 offset:328
	scratch_store_b32 off, v22, s32 offset:320
	scratch_store_b32 off, v13, s32 offset:372
	v_add_co_u32 v0, vcc_lo, v16, s0
	v_add_co_ci_u32_e32 v1, vcc_lo, s1, v17, vcc_lo
	v_dual_mov_b32 v13, v11 :: v_dual_mov_b32 v32, v2
	v_dual_mov_b32 v51, v10 :: v_dual_mov_b32 v30, v3
	flat_load_b32 v22, v[0:1]
	s_lshl_b32 s11, s14, 9
	s_mov_b32 s20, exec_lo
	s_waitcnt vmcnt(0) lgkmcnt(0)
	v_cmpx_lt_i32_e64 s11, v22
	s_cbranch_execz .LBB247_1068
; %bb.1:
	v_sub_nc_u32_e32 v0, 0, v12
	s_clause 0x1
	s_load_b32 s0, s[8:9], 0x10
	s_load_b32 s1, s[8:9], 0x0
	s_mov_b32 s6, s15
	v_max_i32_e32 v0, v12, v0
	s_delay_alu instid0(VALU_DEP_1) | instskip(SKIP_1) | instid1(VALU_DEP_2)
	v_cvt_f32_u32_e32 v1, v0
	v_sub_nc_u32_e32 v2, 0, v0
	v_rcp_iflag_f32_e32 v1, v1
	s_waitcnt lgkmcnt(0)
	s_lshr_b32 s0, s0, 16
	s_delay_alu instid0(SALU_CYCLE_1)
	s_cmp_lg_u32 s0, 0
	s_cselect_b32 s0, -1, 0
	s_waitcnt_depctr 0xfff
	v_mul_f32_e32 v1, 0x4f7ffffe, v1
	s_cmp_lg_u32 s0, 0
	s_addc_u32 s15, s1, 0
	s_mov_b32 s1, exec_lo
	s_delay_alu instid0(VALU_DEP_1) | instskip(SKIP_1) | instid1(VALU_DEP_1)
	v_cvt_u32_f32_e32 v1, v1
	s_abs_i32 s0, s15
	v_mul_lo_u32 v2, v2, v1
	s_delay_alu instid0(VALU_DEP_1) | instskip(NEXT) | instid1(VALU_DEP_1)
	v_mul_hi_u32 v2, v1, v2
	v_add_nc_u32_e32 v1, v1, v2
	s_delay_alu instid0(VALU_DEP_1) | instskip(NEXT) | instid1(VALU_DEP_1)
	v_mul_hi_u32 v1, s0, v1
	v_mul_lo_u32 v2, v1, v0
	v_add_nc_u32_e32 v3, 1, v1
	s_delay_alu instid0(VALU_DEP_2) | instskip(SKIP_1) | instid1(VALU_DEP_1)
	v_sub_nc_u32_e32 v2, s0, v2
	s_abs_i32 s0, s12
	v_sub_nc_u32_e32 v10, v2, v0
	v_cmp_ge_u32_e32 vcc_lo, v2, v0
	s_delay_alu instid0(VALU_DEP_2) | instskip(SKIP_1) | instid1(VALU_DEP_2)
	v_dual_cndmask_b32 v1, v1, v3 :: v_dual_cndmask_b32 v2, v2, v10
	v_xor_b32_e32 v3, s15, v12
	v_add_nc_u32_e32 v10, 1, v1
	s_delay_alu instid0(VALU_DEP_3) | instskip(NEXT) | instid1(VALU_DEP_3)
	v_cmp_ge_u32_e32 vcc_lo, v2, v0
	v_ashrrev_i32_e32 v3, 31, v3
	s_delay_alu instid0(VALU_DEP_3) | instskip(NEXT) | instid1(VALU_DEP_1)
	v_cndmask_b32_e32 v0, v1, v10, vcc_lo
	v_xor_b32_e32 v0, v0, v3
	s_delay_alu instid0(VALU_DEP_1) | instskip(NEXT) | instid1(VALU_DEP_1)
	v_sub_nc_u32_e32 v2, v0, v3
	v_sub_nc_u32_e32 v0, 0, v2
	s_delay_alu instid0(VALU_DEP_1) | instskip(NEXT) | instid1(VALU_DEP_1)
	v_max_i32_e32 v3, v2, v0
	v_cvt_f32_u32_e32 v0, v3
	v_sub_nc_u32_e32 v1, 0, v3
	s_delay_alu instid0(VALU_DEP_2) | instskip(SKIP_2) | instid1(VALU_DEP_1)
	v_rcp_iflag_f32_e32 v0, v0
	s_waitcnt_depctr 0xfff
	v_mul_f32_e32 v0, 0x4f7ffffe, v0
	v_cvt_u32_f32_e32 v0, v0
	s_delay_alu instid0(VALU_DEP_1) | instskip(NEXT) | instid1(VALU_DEP_1)
	v_mul_lo_u32 v1, v1, v0
	v_mul_hi_u32 v1, v0, v1
	s_delay_alu instid0(VALU_DEP_1) | instskip(NEXT) | instid1(VALU_DEP_1)
	v_add_nc_u32_e32 v10, v0, v1
	v_mad_u64_u32 v[0:1], null, s0, v10, 0
	v_mov_b32_e32 v0, 0
	scratch_store_b32 off, v0, s32 offset:376 ; 4-byte Folded Spill
	v_cmpx_ne_u64_e32 0, v[19:20]
	s_cbranch_execz .LBB247_3
; %bb.2:
	s_ashr_i32 s13, s12, 31
	s_delay_alu instid0(SALU_CYCLE_1) | instskip(NEXT) | instid1(SALU_CYCLE_1)
	s_lshl_b64 s[2:3], s[12:13], 2
	v_add_co_u32 v10, vcc_lo, v19, s2
	v_add_co_ci_u32_e32 v11, vcc_lo, s3, v20, vcc_lo
	flat_load_b32 v0, v[10:11]
	s_waitcnt vmcnt(0) lgkmcnt(0)
	scratch_store_b32 off, v0, s32 offset:376 ; 4-byte Folded Spill
.LBB247_3:
	s_or_b32 exec_lo, exec_lo, s1
	v_and_b32_e32 v179, 0x3ff, v31
	v_ashrrev_i32_e32 v0, 31, v2
	s_ashr_i32 s1, s12, 31
	s_mul_i32 s4, s12, 0x78
	s_mov_b32 s2, exec_lo
	v_and_b32_e32 v2, 1, v179
	v_lshlrev_b32_e32 v16, 2, v179
	v_cmpx_gt_u32_e32 60, v179
	s_cbranch_execz .LBB247_5
; %bb.4:
	v_mul_lo_u32 v10, s10, v21
	s_ashr_i32 s5, s4, 31
	s_delay_alu instid0(SALU_CYCLE_1) | instskip(NEXT) | instid1(VALU_DEP_1)
	s_lshl_b64 s[16:17], s[4:5], 2
	v_ashrrev_i32_e32 v11, 31, v10
	s_delay_alu instid0(VALU_DEP_1) | instskip(SKIP_1) | instid1(VALU_DEP_2)
	v_lshlrev_b64 v[11:12], 2, v[10:11]
	v_lshlrev_b32_e32 v10, 3, v179
	v_add_co_u32 v11, vcc_lo, v6, v11
	s_delay_alu instid0(VALU_DEP_3) | instskip(NEXT) | instid1(VALU_DEP_2)
	v_add_co_ci_u32_e32 v6, vcc_lo, v7, v12, vcc_lo
	v_add_co_u32 v11, vcc_lo, v11, s16
	s_delay_alu instid0(VALU_DEP_2) | instskip(NEXT) | instid1(VALU_DEP_2)
	v_add_co_ci_u32_e32 v7, vcc_lo, s17, v6, vcc_lo
	v_add_co_u32 v6, vcc_lo, v11, v10
	s_delay_alu instid0(VALU_DEP_2) | instskip(SKIP_2) | instid1(VALU_DEP_1)
	v_add_co_ci_u32_e32 v7, vcc_lo, 0, v7, vcc_lo
	flat_load_b64 v[10:11], v[6:7]
	v_and_b32_e32 v6, 0xff8, v16
	v_mad_u32_u24 v6, 0xf0, v2, v6
	s_waitcnt vmcnt(0) lgkmcnt(0)
	ds_store_b64 v6, v[10:11]
.LBB247_5:
	s_or_b32 exec_lo, exec_lo, s2
	v_mul_lo_u32 v7, v1, v3
	v_add_nc_u32_e32 v11, 15, v22
	v_lshrrev_b32_e32 v52, 5, v179
	s_lshl_b32 s13, s14, 5
	s_delay_alu instid0(VALU_DEP_2) | instskip(NEXT) | instid1(VALU_DEP_2)
	v_ashrrev_i32_e32 v6, 31, v11
	v_or_b32_e32 v20, s13, v52
	v_sub_nc_u32_e32 v12, s0, v7
	s_add_i32 s0, s13, 32
	s_delay_alu instid0(VALU_DEP_3) | instskip(NEXT) | instid1(VALU_DEP_2)
	v_lshrrev_b32_e32 v6, 28, v6
	v_sub_nc_u32_e32 v10, v12, v3
	v_cmp_ge_u32_e32 vcc_lo, v12, v3
	v_add_nc_u32_e32 v7, 1, v1
	s_delay_alu instid0(VALU_DEP_4) | instskip(NEXT) | instid1(VALU_DEP_2)
	v_add_nc_u32_e32 v11, v11, v6
	v_dual_cndmask_b32 v10, v12, v10 :: v_dual_cndmask_b32 v1, v1, v7
	v_xor_b32_e32 v7, s1, v0
	s_delay_alu instid0(VALU_DEP_3) | instskip(SKIP_1) | instid1(VALU_DEP_4)
	v_ashrrev_i32_e32 v12, 4, v11
	v_mul_lo_u32 v0, s10, v18
	v_cmp_ge_u32_e32 vcc_lo, v10, v3
	v_add_nc_u32_e32 v6, 1, v1
	v_mbcnt_lo_u32_b32 v10, -1, 0
                                        ; implicit-def: $sgpr1
                                        ; implicit-def: $vgpr11
	s_delay_alu instid0(VALU_DEP_2) | instskip(SKIP_1) | instid1(VALU_DEP_2)
	v_cndmask_b32_e32 v1, v1, v6, vcc_lo
	v_min_i32_e32 v6, s0, v12
	v_xor_b32_e32 v3, v1, v7
	v_ashrrev_i32_e32 v1, 31, v0
	s_delay_alu instid0(VALU_DEP_3)
	v_cmp_ge_i32_e64 s0, v20, v6
	scratch_store_b32 off, v6, s32 offset:324 ; 4-byte Folded Spill
	s_waitcnt lgkmcnt(0)
	s_waitcnt_vscnt null, 0x0
	v_sub_nc_u32_e32 v3, v3, v7
	s_barrier
	buffer_gl0_inv
	s_and_saveexec_b32 s2, s0
	s_delay_alu instid0(SALU_CYCLE_1)
	s_xor_b32 s2, exec_lo, s2
	s_cbranch_execz .LBB247_7
; %bb.6:
	v_mbcnt_lo_u32_b32 v10, -1, 0
	v_mov_b32_e32 v11, 32
                                        ; implicit-def: $vgpr2
	s_mov_b32 s1, 0xff7fffff
                                        ; kill: killed $vgpr2
                                        ; implicit-def: $vgpr2
                                        ; kill: killed $vgpr2
                                        ; implicit-def: $vgpr2
	scratch_store_b64 off, v[2:3], s32 offset:328 ; 8-byte Folded Spill
                                        ; implicit-def: $vgpr8
                                        ; implicit-def: $vgpr9
                                        ; implicit-def: $vgpr2
.LBB247_7:
	s_or_saveexec_b32 s21, s2
	s_clause 0x1
	scratch_store_b32 off, v4, s32 offset:384
	scratch_store_b32 off, v5, s32 offset:380
	s_clause 0x1
	s_load_b32 s22, s[8:9], 0x14
	s_load_b32 s5, s[8:9], 0x8
	v_mul_lo_u32 v17, v3, v23
	v_lshlrev_b64 v[128:129], 2, v[0:1]
	v_mov_b32_e32 v3, s1
	v_ashrrev_i32_e32 v21, 31, v20
	s_delay_alu instid0(VALU_DEP_4)
	v_ashrrev_i32_e32 v18, 31, v17
	s_xor_b32 exec_lo, exec_lo, s21
	s_cbranch_execz .LBB247_493
; %bb.8:
	v_bfe_u32 v3, v179, 1, 4
	v_add_co_u32 v0, vcc_lo, v8, v17
	v_add_co_ci_u32_e32 v1, vcc_lo, v9, v18, vcc_lo
	s_delay_alu instid0(VALU_DEP_3)
	v_dual_mov_b32 v147, 0 :: v_dual_lshlrev_b32 v4, 4, v3
	v_mul_u32_u24_e32 v5, 0xf0, v2
	s_clause 0x9
	scratch_store_b32 off, v12, s32 offset:440
	scratch_store_b32 off, v16, s32 offset:436
	;; [unrolled: 1-line block ×8, first 2 shown]
	scratch_store_b64 off, v[26:27], s32 offset:404
	scratch_store_b32 off, v179, s32 offset:388
	s_ashr_i32 s7, s6, 31
	v_add_co_u32 v0, vcc_lo, v0, v4
	v_add_co_ci_u32_e32 v1, vcc_lo, 0, v1, vcc_lo
	ds_load_b128 v[6:9], v5
	s_getpc_b64 s[2:3]
	s_add_u32 s2, s2, llvm.amdgcn.dynlds.offset.table@rel32@lo+4
	s_addc_u32 s3, s3, llvm.amdgcn.dynlds.offset.table@rel32@hi+12
	s_lshl_b64 s[16:17], s[6:7], 2
	scratch_store_b64 off, v[0:1], s32 offset:340 ; 8-byte Folded Spill
	v_dual_mov_b32 v23, v20 :: v_dual_lshlrev_b32 v0, 1, v2
	s_clause 0x1
	scratch_store_b32 off, v17, s32 offset:452
	scratch_store_b32 off, v18, s32 offset:456
	s_add_u32 s16, s16, s2
	scratch_store_b32 off, v0, s32 offset:348 ; 4-byte Folded Spill
	v_xor_b32_e32 v0, 1, v10
	v_lshlrev_b32_e32 v4, 2, v3
	s_mov_b32 s8, 0
	s_brev_b32 s9, 1
	s_addc_u32 s17, s17, s3
	v_cmp_gt_i32_e32 vcc_lo, 32, v0
	s_mov_b32 s19, 0x7f800001
	s_mov_b32 s7, s8
	v_cndmask_b32_e32 v0, v10, v0, vcc_lo
	s_waitcnt lgkmcnt(0)
	scratch_store_b128 off, v[6:9], s32 offset:352 ; 16-byte Folded Spill
	ds_load_b128 v[16:19], v5 offset:16
	ds_load_b128 v[28:31], v5 offset:32
	;; [unrolled: 1-line block ×5, first 2 shown]
	v_mov_b32_e32 v6, v52
	v_lshlrev_b32_e32 v0, 2, v0
	ds_load_b128 v[52:55], v5 offset:96
	ds_load_b128 v[64:67], v5 offset:112
	scratch_store_b32 off, v10, s32 offset:460 ; 4-byte Folded Spill
	ds_load_b128 v[68:71], v5 offset:128
	ds_load_b128 v[80:83], v5 offset:144
	;; [unrolled: 1-line block ×4, first 2 shown]
	v_cmp_eq_u32_e32 vcc_lo, 0, v2
	scratch_store_b32 off, v0, s32 offset:368 ; 4-byte Folded Spill
	scratch_load_b32 v0, off, s32 offset:376 ; 4-byte Folded Reload
	ds_load_b128 v[100:103], v5 offset:192
	ds_load_b128 v[112:115], v5 offset:208
	;; [unrolled: 1-line block ×3, first 2 shown]
	v_lshlrev_b32_e32 v2, 4, v6
	v_lshl_or_b32 v10, v6, 6, v4
	s_delay_alu instid0(VALU_DEP_2) | instskip(SKIP_3) | instid1(VALU_DEP_1)
	v_add3_u32 v13, s11, v2, v3
	s_waitcnt vmcnt(0)
	v_cmp_neq_f32_e64 s1, 0, v0
	v_lshlrev_b64 v[0:1], 2, v[20:21]
	v_add_co_u32 v0, s2, v128, v0
	s_delay_alu instid0(VALU_DEP_1) | instskip(NEXT) | instid1(VALU_DEP_2)
	v_add_co_ci_u32_e64 v1, s2, v129, v1, s2
	v_add_co_u32 v134, s2, v14, v0
	s_delay_alu instid0(VALU_DEP_1)
	v_add_co_ci_u32_e64 v135, s2, v15, v1, s2
	v_mov_b32_e32 v0, 0xff7fffff
	s_clause 0x4
	scratch_store_b64 off, v[128:129], s32 offset:444
	scratch_store_b32 off, v14, s32 offset:400
	scratch_store_b32 off, v15, s32 offset:396
	;; [unrolled: 1-line block ×4, first 2 shown]
	s_branch .LBB247_10
.LBB247_9:                              ;   in Loop: Header=BB247_10 Depth=1
	s_or_b32 exec_lo, exec_lo, s3
	scratch_load_b32 v0, off, s32 offset:324 ; 4-byte Folded Reload
	v_add_nc_u32_e32 v23, 4, v23
	v_add_co_u32 v134, s3, v134, 16
	s_delay_alu instid0(VALU_DEP_1) | instskip(SKIP_4) | instid1(VALU_DEP_1)
	v_add_co_ci_u32_e64 v135, s3, 0, v135, s3
	v_add_nc_u32_e32 v13, 64, v13
	v_add_nc_u32_e32 v10, 0x100, v10
	s_waitcnt vmcnt(0)
	v_cmp_ge_i32_e64 s2, v23, v0
	s_or_b32 s7, s2, s7
	s_delay_alu instid0(SALU_CYCLE_1)
	s_and_not1_b32 exec_lo, exec_lo, s7
	s_cbranch_execz .LBB247_492
.LBB247_10:                             ; =>This Inner Loop Header: Depth=1
	flat_load_b32 v2, v[134:135]
	s_clause 0x1
	scratch_load_b32 v3, off, s32 offset:320
	scratch_load_b64 v[4:5], off, s32 offset:340
	s_mov_b32 s3, exec_lo
	s_waitcnt vmcnt(0) lgkmcnt(0)
	v_mad_i64_i32 v[0:1], null, v2, v3, v[4:5]
	scratch_load_b32 v2, off, s32 offset:348 ; 4-byte Folded Reload
	s_waitcnt vmcnt(0)
	v_add_co_u32 v160, s2, v0, v2
	s_delay_alu instid0(VALU_DEP_1)
	v_add_co_ci_u32_e64 v161, s2, 0, v1, s2
	flat_load_u16 v0, v[160:161]
	scratch_load_b64 v[1:2], off, s32 offset:328 ; 8-byte Folded Reload
	v_mov_b32_e32 v144, 0
	v_mov_b32_e32 v145, 0
	s_waitcnt vmcnt(0)
	flat_load_b32 v25, v[1:2]
	s_waitcnt lgkmcnt(1)
	v_and_b32_e32 v1, 0xff, v0
	v_and_b32_e32 v0, 0xffff, v0
	v_dual_mov_b32 v26, v144 :: v_dual_mov_b32 v27, v145
	s_delay_alu instid0(VALU_DEP_3)
	v_cmpx_ne_u16_e32 0, v1
	s_cbranch_execz .LBB247_18
; %bb.11:                               ;   in Loop: Header=BB247_10 Depth=1
	v_bfrev_b32_e32 v26, 1
	v_and_b32_e32 v1, 0xff, v0
	v_mov_b32_e32 v27, 0
	s_mov_b32 s18, exec_lo
	s_delay_alu instid0(VALU_DEP_2)
	v_cmpx_ne_u16_e32 0x80, v1
	s_cbranch_execz .LBB247_17
; %bb.12:                               ;   in Loop: Header=BB247_10 Depth=1
	v_mov_b32_e32 v26, 0x7f800001
	v_dual_mov_b32 v27, 0 :: v_dual_and_b32 v2, 0x7f, v0
	s_mov_b32 s23, exec_lo
	s_delay_alu instid0(VALU_DEP_1)
	v_cmpx_ne_u32_e32 0x7f, v2
	s_cbranch_execz .LBB247_16
; %bb.13:                               ;   in Loop: Header=BB247_10 Depth=1
	v_and_b32_e32 v146, 7, v0
	v_lshrrev_b32_e32 v1, 3, v2
	s_mov_b32 s24, exec_lo
	v_cmpx_gt_u32_e32 8, v2
; %bb.14:                               ;   in Loop: Header=BB247_10 Depth=1
	s_delay_alu instid0(VALU_DEP_3) | instskip(NEXT) | instid1(VALU_DEP_1)
	v_clz_i32_u32_e32 v1, v146
	v_min_u32_e32 v1, 32, v1
	s_delay_alu instid0(VALU_DEP_1) | instskip(SKIP_1) | instid1(VALU_DEP_2)
	v_subrev_nc_u32_e32 v2, 28, v1
	v_sub_nc_u32_e32 v1, 29, v1
	v_lshlrev_b64 v[2:3], v2, v[146:147]
	s_delay_alu instid0(VALU_DEP_1)
	v_and_b32_e32 v146, 7, v2
; %bb.15:                               ;   in Loop: Header=BB247_10 Depth=1
	s_or_b32 exec_lo, exec_lo, s24
	v_lshlrev_b32_e32 v2, 24, v0
	s_delay_alu instid0(VALU_DEP_2) | instskip(SKIP_1) | instid1(VALU_DEP_3)
	v_lshlrev_b32_e32 v3, 20, v146
	v_lshl_add_u32 v1, v1, 23, 0x3c000000
	v_and_b32_e32 v2, 0x80000000, v2
	s_delay_alu instid0(VALU_DEP_1) | instskip(NEXT) | instid1(VALU_DEP_1)
	v_or3_b32 v146, v3, v2, v1
	v_dual_mov_b32 v26, v146 :: v_dual_mov_b32 v27, v147
.LBB247_16:                             ;   in Loop: Header=BB247_10 Depth=1
	s_or_b32 exec_lo, exec_lo, s23
.LBB247_17:                             ;   in Loop: Header=BB247_10 Depth=1
	s_delay_alu instid0(SALU_CYCLE_1)
	s_or_b32 exec_lo, exec_lo, s18
.LBB247_18:                             ;   in Loop: Header=BB247_10 Depth=1
	s_delay_alu instid0(SALU_CYCLE_1) | instskip(SKIP_2) | instid1(VALU_DEP_1)
	s_or_b32 exec_lo, exec_lo, s3
	v_lshrrev_b16 v1, 8, v0
	s_mov_b32 s3, exec_lo
	v_cmpx_ne_u16_e32 0, v1
	s_cbranch_execz .LBB247_26
; %bb.19:                               ;   in Loop: Header=BB247_10 Depth=1
	v_dual_mov_b32 v145, s9 :: v_dual_mov_b32 v144, s8
	s_mov_b32 s23, exec_lo
	v_cmpx_ne_u16_e32 0x80, v1
	s_cbranch_execz .LBB247_25
; %bb.20:                               ;   in Loop: Header=BB247_10 Depth=1
	s_mov_b32 s18, s8
	v_and_b32_e32 v1, 0xffff, v1
	v_dual_mov_b32 v145, s19 :: v_dual_mov_b32 v144, s18
	s_mov_b32 s18, exec_lo
	s_delay_alu instid0(VALU_DEP_2) | instskip(NEXT) | instid1(VALU_DEP_1)
	v_and_b32_e32 v2, 0x7f, v1
	v_cmpx_ne_u32_e32 0x7f, v2
	s_cbranch_execz .LBB247_24
; %bb.21:                               ;   in Loop: Header=BB247_10 Depth=1
	v_and_b32_e32 v146, 7, v1
	v_lshrrev_b32_e32 v1, 3, v2
	s_mov_b32 s24, exec_lo
	v_cmpx_gt_u32_e32 8, v2
; %bb.22:                               ;   in Loop: Header=BB247_10 Depth=1
	s_delay_alu instid0(VALU_DEP_3) | instskip(NEXT) | instid1(VALU_DEP_1)
	v_clz_i32_u32_e32 v1, v146
	v_min_u32_e32 v1, 32, v1
	s_delay_alu instid0(VALU_DEP_1) | instskip(SKIP_1) | instid1(VALU_DEP_2)
	v_subrev_nc_u32_e32 v2, 28, v1
	v_sub_nc_u32_e32 v1, 29, v1
	v_lshlrev_b64 v[2:3], v2, v[146:147]
	s_delay_alu instid0(VALU_DEP_1)
	v_and_b32_e32 v146, 7, v2
; %bb.23:                               ;   in Loop: Header=BB247_10 Depth=1
	s_or_b32 exec_lo, exec_lo, s24
	v_lshlrev_b32_e32 v0, 16, v0
	s_delay_alu instid0(VALU_DEP_2) | instskip(SKIP_2) | instid1(VALU_DEP_4)
	v_lshlrev_b32_e32 v2, 20, v146
	v_lshl_add_u32 v1, v1, 23, 0x3c000000
	v_mov_b32_e32 v144, v147
	v_and_b32_e32 v0, 0x80000000, v0
	s_delay_alu instid0(VALU_DEP_1)
	v_or3_b32 v145, v2, v0, v1
.LBB247_24:                             ;   in Loop: Header=BB247_10 Depth=1
	s_or_b32 exec_lo, exec_lo, s18
.LBB247_25:                             ;   in Loop: Header=BB247_10 Depth=1
	s_delay_alu instid0(SALU_CYCLE_1)
	s_or_b32 exec_lo, exec_lo, s23
.LBB247_26:                             ;   in Loop: Header=BB247_10 Depth=1
	s_delay_alu instid0(SALU_CYCLE_1)
	s_or_b32 exec_lo, exec_lo, s3
	flat_load_u16 v0, v[160:161] offset:4
	v_mov_b32_e32 v148, 0
	v_mov_b32_e32 v149, 0
	s_mov_b32 s3, exec_lo
	s_waitcnt vmcnt(0) lgkmcnt(0)
	v_and_b32_e32 v1, 0xff, v0
	s_delay_alu instid0(VALU_DEP_2) | instskip(SKIP_1) | instid1(VALU_DEP_3)
	v_dual_mov_b32 v151, v149 :: v_dual_and_b32 v0, 0xffff, v0
	v_mov_b32_e32 v150, v148
	v_cmpx_ne_u16_e32 0, v1
	s_cbranch_execz .LBB247_34
; %bb.27:                               ;   in Loop: Header=BB247_10 Depth=1
	v_bfrev_b32_e32 v150, 1
	v_and_b32_e32 v1, 0xff, v0
	v_mov_b32_e32 v151, 0
	s_mov_b32 s18, exec_lo
	s_delay_alu instid0(VALU_DEP_2)
	v_cmpx_ne_u16_e32 0x80, v1
	s_cbranch_execz .LBB247_33
; %bb.28:                               ;   in Loop: Header=BB247_10 Depth=1
	v_mov_b32_e32 v150, 0x7f800001
	v_dual_mov_b32 v151, 0 :: v_dual_and_b32 v2, 0x7f, v0
	s_mov_b32 s23, exec_lo
	s_delay_alu instid0(VALU_DEP_1)
	v_cmpx_ne_u32_e32 0x7f, v2
	s_cbranch_execz .LBB247_32
; %bb.29:                               ;   in Loop: Header=BB247_10 Depth=1
	v_and_b32_e32 v146, 7, v0
	v_lshrrev_b32_e32 v1, 3, v2
	s_mov_b32 s24, exec_lo
	v_cmpx_gt_u32_e32 8, v2
; %bb.30:                               ;   in Loop: Header=BB247_10 Depth=1
	s_delay_alu instid0(VALU_DEP_3) | instskip(NEXT) | instid1(VALU_DEP_1)
	v_clz_i32_u32_e32 v1, v146
	v_min_u32_e32 v1, 32, v1
	s_delay_alu instid0(VALU_DEP_1) | instskip(SKIP_1) | instid1(VALU_DEP_2)
	v_subrev_nc_u32_e32 v2, 28, v1
	v_sub_nc_u32_e32 v1, 29, v1
	v_lshlrev_b64 v[2:3], v2, v[146:147]
	s_delay_alu instid0(VALU_DEP_1)
	v_and_b32_e32 v146, 7, v2
; %bb.31:                               ;   in Loop: Header=BB247_10 Depth=1
	s_or_b32 exec_lo, exec_lo, s24
	v_lshlrev_b32_e32 v2, 24, v0
	s_delay_alu instid0(VALU_DEP_2) | instskip(SKIP_1) | instid1(VALU_DEP_3)
	v_lshlrev_b32_e32 v3, 20, v146
	v_lshl_add_u32 v1, v1, 23, 0x3c000000
	v_and_b32_e32 v2, 0x80000000, v2
	s_delay_alu instid0(VALU_DEP_1) | instskip(NEXT) | instid1(VALU_DEP_1)
	v_or3_b32 v146, v3, v2, v1
	v_dual_mov_b32 v151, v147 :: v_dual_mov_b32 v150, v146
.LBB247_32:                             ;   in Loop: Header=BB247_10 Depth=1
	s_or_b32 exec_lo, exec_lo, s23
.LBB247_33:                             ;   in Loop: Header=BB247_10 Depth=1
	s_delay_alu instid0(SALU_CYCLE_1)
	s_or_b32 exec_lo, exec_lo, s18
.LBB247_34:                             ;   in Loop: Header=BB247_10 Depth=1
	s_delay_alu instid0(SALU_CYCLE_1) | instskip(SKIP_2) | instid1(VALU_DEP_1)
	s_or_b32 exec_lo, exec_lo, s3
	v_lshrrev_b16 v1, 8, v0
	s_mov_b32 s3, exec_lo
	v_cmpx_ne_u16_e32 0, v1
	s_cbranch_execz .LBB247_42
; %bb.35:                               ;   in Loop: Header=BB247_10 Depth=1
	v_dual_mov_b32 v149, s9 :: v_dual_mov_b32 v148, s8
	s_mov_b32 s23, exec_lo
	v_cmpx_ne_u16_e32 0x80, v1
	s_cbranch_execz .LBB247_41
; %bb.36:                               ;   in Loop: Header=BB247_10 Depth=1
	s_mov_b32 s18, s8
	v_and_b32_e32 v1, 0xffff, v1
	v_dual_mov_b32 v149, s19 :: v_dual_mov_b32 v148, s18
	s_mov_b32 s18, exec_lo
	s_delay_alu instid0(VALU_DEP_2) | instskip(NEXT) | instid1(VALU_DEP_1)
	v_and_b32_e32 v2, 0x7f, v1
	v_cmpx_ne_u32_e32 0x7f, v2
	s_cbranch_execz .LBB247_40
; %bb.37:                               ;   in Loop: Header=BB247_10 Depth=1
	v_and_b32_e32 v146, 7, v1
	v_lshrrev_b32_e32 v1, 3, v2
	s_mov_b32 s24, exec_lo
	v_cmpx_gt_u32_e32 8, v2
; %bb.38:                               ;   in Loop: Header=BB247_10 Depth=1
	s_delay_alu instid0(VALU_DEP_3) | instskip(NEXT) | instid1(VALU_DEP_1)
	v_clz_i32_u32_e32 v1, v146
	v_min_u32_e32 v1, 32, v1
	s_delay_alu instid0(VALU_DEP_1) | instskip(SKIP_1) | instid1(VALU_DEP_2)
	v_subrev_nc_u32_e32 v2, 28, v1
	v_sub_nc_u32_e32 v1, 29, v1
	v_lshlrev_b64 v[2:3], v2, v[146:147]
	s_delay_alu instid0(VALU_DEP_1)
	v_and_b32_e32 v146, 7, v2
; %bb.39:                               ;   in Loop: Header=BB247_10 Depth=1
	s_or_b32 exec_lo, exec_lo, s24
	v_lshlrev_b32_e32 v0, 16, v0
	s_delay_alu instid0(VALU_DEP_2) | instskip(SKIP_2) | instid1(VALU_DEP_4)
	v_lshlrev_b32_e32 v2, 20, v146
	v_lshl_add_u32 v1, v1, 23, 0x3c000000
	v_mov_b32_e32 v148, v147
	v_and_b32_e32 v0, 0x80000000, v0
	s_delay_alu instid0(VALU_DEP_1)
	v_or3_b32 v149, v2, v0, v1
.LBB247_40:                             ;   in Loop: Header=BB247_10 Depth=1
	s_or_b32 exec_lo, exec_lo, s18
.LBB247_41:                             ;   in Loop: Header=BB247_10 Depth=1
	s_delay_alu instid0(SALU_CYCLE_1)
	s_or_b32 exec_lo, exec_lo, s23
.LBB247_42:                             ;   in Loop: Header=BB247_10 Depth=1
	s_delay_alu instid0(SALU_CYCLE_1)
	s_or_b32 exec_lo, exec_lo, s3
	flat_load_u16 v0, v[160:161] offset:8
	v_mov_b32_e32 v162, 0
	v_mov_b32_e32 v163, 0
	s_mov_b32 s3, exec_lo
	s_waitcnt vmcnt(0) lgkmcnt(0)
	v_and_b32_e32 v1, 0xff, v0
	s_delay_alu instid0(VALU_DEP_2) | instskip(SKIP_1) | instid1(VALU_DEP_3)
	v_dual_mov_b32 v165, v163 :: v_dual_and_b32 v0, 0xffff, v0
	v_mov_b32_e32 v164, v162
	v_cmpx_ne_u16_e32 0, v1
	s_cbranch_execz .LBB247_50
; %bb.43:                               ;   in Loop: Header=BB247_10 Depth=1
	v_bfrev_b32_e32 v164, 1
	v_and_b32_e32 v1, 0xff, v0
	v_mov_b32_e32 v165, 0
	s_mov_b32 s18, exec_lo
	s_delay_alu instid0(VALU_DEP_2)
	v_cmpx_ne_u16_e32 0x80, v1
	s_cbranch_execz .LBB247_49
; %bb.44:                               ;   in Loop: Header=BB247_10 Depth=1
	v_mov_b32_e32 v164, 0x7f800001
	v_dual_mov_b32 v165, 0 :: v_dual_and_b32 v2, 0x7f, v0
	s_mov_b32 s23, exec_lo
	s_delay_alu instid0(VALU_DEP_1)
	v_cmpx_ne_u32_e32 0x7f, v2
	s_cbranch_execz .LBB247_48
; %bb.45:                               ;   in Loop: Header=BB247_10 Depth=1
	v_and_b32_e32 v146, 7, v0
	v_lshrrev_b32_e32 v1, 3, v2
	s_mov_b32 s24, exec_lo
	v_cmpx_gt_u32_e32 8, v2
; %bb.46:                               ;   in Loop: Header=BB247_10 Depth=1
	s_delay_alu instid0(VALU_DEP_3) | instskip(NEXT) | instid1(VALU_DEP_1)
	v_clz_i32_u32_e32 v1, v146
	v_min_u32_e32 v1, 32, v1
	s_delay_alu instid0(VALU_DEP_1) | instskip(SKIP_1) | instid1(VALU_DEP_2)
	v_subrev_nc_u32_e32 v2, 28, v1
	v_sub_nc_u32_e32 v1, 29, v1
	v_lshlrev_b64 v[2:3], v2, v[146:147]
	s_delay_alu instid0(VALU_DEP_1)
	v_and_b32_e32 v146, 7, v2
; %bb.47:                               ;   in Loop: Header=BB247_10 Depth=1
	s_or_b32 exec_lo, exec_lo, s24
	v_lshlrev_b32_e32 v2, 24, v0
	s_delay_alu instid0(VALU_DEP_2) | instskip(SKIP_1) | instid1(VALU_DEP_3)
	v_lshlrev_b32_e32 v3, 20, v146
	v_lshl_add_u32 v1, v1, 23, 0x3c000000
	v_and_b32_e32 v2, 0x80000000, v2
	s_delay_alu instid0(VALU_DEP_1) | instskip(NEXT) | instid1(VALU_DEP_1)
	v_or3_b32 v146, v3, v2, v1
	v_dual_mov_b32 v165, v147 :: v_dual_mov_b32 v164, v146
.LBB247_48:                             ;   in Loop: Header=BB247_10 Depth=1
	s_or_b32 exec_lo, exec_lo, s23
.LBB247_49:                             ;   in Loop: Header=BB247_10 Depth=1
	s_delay_alu instid0(SALU_CYCLE_1)
	s_or_b32 exec_lo, exec_lo, s18
.LBB247_50:                             ;   in Loop: Header=BB247_10 Depth=1
	s_delay_alu instid0(SALU_CYCLE_1) | instskip(SKIP_2) | instid1(VALU_DEP_1)
	s_or_b32 exec_lo, exec_lo, s3
	v_lshrrev_b16 v1, 8, v0
	s_mov_b32 s3, exec_lo
	v_cmpx_ne_u16_e32 0, v1
	s_cbranch_execz .LBB247_58
; %bb.51:                               ;   in Loop: Header=BB247_10 Depth=1
	v_dual_mov_b32 v163, s9 :: v_dual_mov_b32 v162, s8
	s_mov_b32 s23, exec_lo
	v_cmpx_ne_u16_e32 0x80, v1
	s_cbranch_execz .LBB247_57
; %bb.52:                               ;   in Loop: Header=BB247_10 Depth=1
	s_mov_b32 s18, s8
	v_and_b32_e32 v1, 0xffff, v1
	v_dual_mov_b32 v163, s19 :: v_dual_mov_b32 v162, s18
	s_mov_b32 s18, exec_lo
	s_delay_alu instid0(VALU_DEP_2) | instskip(NEXT) | instid1(VALU_DEP_1)
	v_and_b32_e32 v2, 0x7f, v1
	v_cmpx_ne_u32_e32 0x7f, v2
	s_cbranch_execz .LBB247_56
; %bb.53:                               ;   in Loop: Header=BB247_10 Depth=1
	v_and_b32_e32 v146, 7, v1
	v_lshrrev_b32_e32 v1, 3, v2
	s_mov_b32 s24, exec_lo
	v_cmpx_gt_u32_e32 8, v2
; %bb.54:                               ;   in Loop: Header=BB247_10 Depth=1
	s_delay_alu instid0(VALU_DEP_3) | instskip(NEXT) | instid1(VALU_DEP_1)
	v_clz_i32_u32_e32 v1, v146
	v_min_u32_e32 v1, 32, v1
	s_delay_alu instid0(VALU_DEP_1) | instskip(SKIP_1) | instid1(VALU_DEP_2)
	v_subrev_nc_u32_e32 v2, 28, v1
	v_sub_nc_u32_e32 v1, 29, v1
	v_lshlrev_b64 v[2:3], v2, v[146:147]
	s_delay_alu instid0(VALU_DEP_1)
	v_and_b32_e32 v146, 7, v2
; %bb.55:                               ;   in Loop: Header=BB247_10 Depth=1
	s_or_b32 exec_lo, exec_lo, s24
	v_lshlrev_b32_e32 v0, 16, v0
	s_delay_alu instid0(VALU_DEP_2) | instskip(SKIP_2) | instid1(VALU_DEP_4)
	v_lshlrev_b32_e32 v2, 20, v146
	v_lshl_add_u32 v1, v1, 23, 0x3c000000
	v_mov_b32_e32 v162, v147
	v_and_b32_e32 v0, 0x80000000, v0
	s_delay_alu instid0(VALU_DEP_1)
	v_or3_b32 v163, v2, v0, v1
.LBB247_56:                             ;   in Loop: Header=BB247_10 Depth=1
	s_or_b32 exec_lo, exec_lo, s18
.LBB247_57:                             ;   in Loop: Header=BB247_10 Depth=1
	s_delay_alu instid0(SALU_CYCLE_1)
	s_or_b32 exec_lo, exec_lo, s23
.LBB247_58:                             ;   in Loop: Header=BB247_10 Depth=1
	s_delay_alu instid0(SALU_CYCLE_1)
	s_or_b32 exec_lo, exec_lo, s3
	flat_load_u16 v0, v[160:161] offset:12
	v_mov_b32_e32 v166, 0
	v_mov_b32_e32 v167, 0
	s_mov_b32 s3, exec_lo
	s_waitcnt vmcnt(0) lgkmcnt(0)
	v_and_b32_e32 v1, 0xff, v0
	s_delay_alu instid0(VALU_DEP_2) | instskip(SKIP_1) | instid1(VALU_DEP_3)
	v_dual_mov_b32 v177, v167 :: v_dual_and_b32 v0, 0xffff, v0
	v_mov_b32_e32 v176, v166
	v_cmpx_ne_u16_e32 0, v1
	s_cbranch_execz .LBB247_66
; %bb.59:                               ;   in Loop: Header=BB247_10 Depth=1
	v_bfrev_b32_e32 v176, 1
	v_and_b32_e32 v1, 0xff, v0
	v_mov_b32_e32 v177, 0
	s_mov_b32 s18, exec_lo
	s_delay_alu instid0(VALU_DEP_2)
	v_cmpx_ne_u16_e32 0x80, v1
	s_cbranch_execz .LBB247_65
; %bb.60:                               ;   in Loop: Header=BB247_10 Depth=1
	v_mov_b32_e32 v176, 0x7f800001
	v_dual_mov_b32 v177, 0 :: v_dual_and_b32 v2, 0x7f, v0
	s_mov_b32 s23, exec_lo
	s_delay_alu instid0(VALU_DEP_1)
	v_cmpx_ne_u32_e32 0x7f, v2
	s_cbranch_execz .LBB247_64
; %bb.61:                               ;   in Loop: Header=BB247_10 Depth=1
	v_and_b32_e32 v146, 7, v0
	v_lshrrev_b32_e32 v1, 3, v2
	s_mov_b32 s24, exec_lo
	v_cmpx_gt_u32_e32 8, v2
; %bb.62:                               ;   in Loop: Header=BB247_10 Depth=1
	s_delay_alu instid0(VALU_DEP_3) | instskip(NEXT) | instid1(VALU_DEP_1)
	v_clz_i32_u32_e32 v1, v146
	v_min_u32_e32 v1, 32, v1
	s_delay_alu instid0(VALU_DEP_1) | instskip(SKIP_1) | instid1(VALU_DEP_2)
	v_subrev_nc_u32_e32 v2, 28, v1
	v_sub_nc_u32_e32 v1, 29, v1
	v_lshlrev_b64 v[2:3], v2, v[146:147]
	s_delay_alu instid0(VALU_DEP_1)
	v_and_b32_e32 v146, 7, v2
; %bb.63:                               ;   in Loop: Header=BB247_10 Depth=1
	s_or_b32 exec_lo, exec_lo, s24
	v_lshlrev_b32_e32 v2, 24, v0
	s_delay_alu instid0(VALU_DEP_2) | instskip(SKIP_1) | instid1(VALU_DEP_3)
	v_lshlrev_b32_e32 v3, 20, v146
	v_lshl_add_u32 v1, v1, 23, 0x3c000000
	v_and_b32_e32 v2, 0x80000000, v2
	s_delay_alu instid0(VALU_DEP_1) | instskip(NEXT) | instid1(VALU_DEP_1)
	v_or3_b32 v146, v3, v2, v1
	v_dual_mov_b32 v177, v147 :: v_dual_mov_b32 v176, v146
.LBB247_64:                             ;   in Loop: Header=BB247_10 Depth=1
	s_or_b32 exec_lo, exec_lo, s23
.LBB247_65:                             ;   in Loop: Header=BB247_10 Depth=1
	s_delay_alu instid0(SALU_CYCLE_1)
	s_or_b32 exec_lo, exec_lo, s18
.LBB247_66:                             ;   in Loop: Header=BB247_10 Depth=1
	s_delay_alu instid0(SALU_CYCLE_1) | instskip(SKIP_2) | instid1(VALU_DEP_1)
	s_or_b32 exec_lo, exec_lo, s3
	v_lshrrev_b16 v1, 8, v0
	s_mov_b32 s3, exec_lo
	v_cmpx_ne_u16_e32 0, v1
	s_cbranch_execz .LBB247_74
; %bb.67:                               ;   in Loop: Header=BB247_10 Depth=1
	v_dual_mov_b32 v167, s9 :: v_dual_mov_b32 v166, s8
	s_mov_b32 s23, exec_lo
	v_cmpx_ne_u16_e32 0x80, v1
	s_cbranch_execz .LBB247_73
; %bb.68:                               ;   in Loop: Header=BB247_10 Depth=1
	s_mov_b32 s18, s8
	v_and_b32_e32 v1, 0xffff, v1
	v_dual_mov_b32 v167, s19 :: v_dual_mov_b32 v166, s18
	s_mov_b32 s18, exec_lo
	s_delay_alu instid0(VALU_DEP_2) | instskip(NEXT) | instid1(VALU_DEP_1)
	v_and_b32_e32 v2, 0x7f, v1
	v_cmpx_ne_u32_e32 0x7f, v2
	s_cbranch_execz .LBB247_72
; %bb.69:                               ;   in Loop: Header=BB247_10 Depth=1
	v_and_b32_e32 v146, 7, v1
	v_lshrrev_b32_e32 v1, 3, v2
	s_mov_b32 s24, exec_lo
	v_cmpx_gt_u32_e32 8, v2
; %bb.70:                               ;   in Loop: Header=BB247_10 Depth=1
	s_delay_alu instid0(VALU_DEP_3) | instskip(NEXT) | instid1(VALU_DEP_1)
	v_clz_i32_u32_e32 v1, v146
	v_min_u32_e32 v1, 32, v1
	s_delay_alu instid0(VALU_DEP_1) | instskip(SKIP_1) | instid1(VALU_DEP_2)
	v_subrev_nc_u32_e32 v2, 28, v1
	v_sub_nc_u32_e32 v1, 29, v1
	v_lshlrev_b64 v[2:3], v2, v[146:147]
	s_delay_alu instid0(VALU_DEP_1)
	v_and_b32_e32 v146, 7, v2
; %bb.71:                               ;   in Loop: Header=BB247_10 Depth=1
	s_or_b32 exec_lo, exec_lo, s24
	v_lshlrev_b32_e32 v0, 16, v0
	s_delay_alu instid0(VALU_DEP_2) | instskip(SKIP_2) | instid1(VALU_DEP_4)
	v_lshlrev_b32_e32 v2, 20, v146
	v_lshl_add_u32 v1, v1, 23, 0x3c000000
	v_mov_b32_e32 v166, v147
	v_and_b32_e32 v0, 0x80000000, v0
	s_delay_alu instid0(VALU_DEP_1)
	v_or3_b32 v167, v2, v0, v1
.LBB247_72:                             ;   in Loop: Header=BB247_10 Depth=1
	s_or_b32 exec_lo, exec_lo, s18
.LBB247_73:                             ;   in Loop: Header=BB247_10 Depth=1
	s_delay_alu instid0(SALU_CYCLE_1)
	s_or_b32 exec_lo, exec_lo, s23
.LBB247_74:                             ;   in Loop: Header=BB247_10 Depth=1
	s_delay_alu instid0(SALU_CYCLE_1)
	s_or_b32 exec_lo, exec_lo, s3
	flat_load_u16 v0, v[160:161] offset:256
	v_mov_b32_e32 v178, 0
	v_mov_b32_e32 v179, 0
	s_mov_b32 s3, exec_lo
	s_waitcnt vmcnt(0) lgkmcnt(0)
	v_and_b32_e32 v1, 0xff, v0
	s_delay_alu instid0(VALU_DEP_2) | instskip(SKIP_1) | instid1(VALU_DEP_3)
	v_dual_mov_b32 v181, v179 :: v_dual_and_b32 v0, 0xffff, v0
	v_mov_b32_e32 v180, v178
	v_cmpx_ne_u16_e32 0, v1
	s_cbranch_execz .LBB247_82
; %bb.75:                               ;   in Loop: Header=BB247_10 Depth=1
	v_bfrev_b32_e32 v180, 1
	v_and_b32_e32 v1, 0xff, v0
	v_mov_b32_e32 v181, 0
	s_mov_b32 s18, exec_lo
	s_delay_alu instid0(VALU_DEP_2)
	v_cmpx_ne_u16_e32 0x80, v1
	s_cbranch_execz .LBB247_81
; %bb.76:                               ;   in Loop: Header=BB247_10 Depth=1
	v_mov_b32_e32 v180, 0x7f800001
	v_dual_mov_b32 v181, 0 :: v_dual_and_b32 v2, 0x7f, v0
	s_mov_b32 s23, exec_lo
	s_delay_alu instid0(VALU_DEP_1)
	v_cmpx_ne_u32_e32 0x7f, v2
	s_cbranch_execz .LBB247_80
; %bb.77:                               ;   in Loop: Header=BB247_10 Depth=1
	v_and_b32_e32 v146, 7, v0
	v_lshrrev_b32_e32 v1, 3, v2
	s_mov_b32 s24, exec_lo
	v_cmpx_gt_u32_e32 8, v2
; %bb.78:                               ;   in Loop: Header=BB247_10 Depth=1
	s_delay_alu instid0(VALU_DEP_3) | instskip(NEXT) | instid1(VALU_DEP_1)
	v_clz_i32_u32_e32 v1, v146
	v_min_u32_e32 v1, 32, v1
	s_delay_alu instid0(VALU_DEP_1) | instskip(SKIP_1) | instid1(VALU_DEP_2)
	v_subrev_nc_u32_e32 v2, 28, v1
	v_sub_nc_u32_e32 v1, 29, v1
	v_lshlrev_b64 v[2:3], v2, v[146:147]
	s_delay_alu instid0(VALU_DEP_1)
	v_and_b32_e32 v146, 7, v2
; %bb.79:                               ;   in Loop: Header=BB247_10 Depth=1
	s_or_b32 exec_lo, exec_lo, s24
	v_lshlrev_b32_e32 v2, 24, v0
	s_delay_alu instid0(VALU_DEP_2) | instskip(SKIP_1) | instid1(VALU_DEP_3)
	v_lshlrev_b32_e32 v3, 20, v146
	v_lshl_add_u32 v1, v1, 23, 0x3c000000
	v_and_b32_e32 v2, 0x80000000, v2
	s_delay_alu instid0(VALU_DEP_1) | instskip(NEXT) | instid1(VALU_DEP_1)
	v_or3_b32 v146, v3, v2, v1
	v_dual_mov_b32 v181, v147 :: v_dual_mov_b32 v180, v146
.LBB247_80:                             ;   in Loop: Header=BB247_10 Depth=1
	s_or_b32 exec_lo, exec_lo, s23
.LBB247_81:                             ;   in Loop: Header=BB247_10 Depth=1
	s_delay_alu instid0(SALU_CYCLE_1)
	s_or_b32 exec_lo, exec_lo, s18
.LBB247_82:                             ;   in Loop: Header=BB247_10 Depth=1
	s_delay_alu instid0(SALU_CYCLE_1) | instskip(SKIP_2) | instid1(VALU_DEP_1)
	s_or_b32 exec_lo, exec_lo, s3
	v_lshrrev_b16 v1, 8, v0
	s_mov_b32 s3, exec_lo
	v_cmpx_ne_u16_e32 0, v1
	s_cbranch_execz .LBB247_90
; %bb.83:                               ;   in Loop: Header=BB247_10 Depth=1
	v_dual_mov_b32 v179, s9 :: v_dual_mov_b32 v178, s8
	s_mov_b32 s23, exec_lo
	v_cmpx_ne_u16_e32 0x80, v1
	s_cbranch_execz .LBB247_89
; %bb.84:                               ;   in Loop: Header=BB247_10 Depth=1
	s_mov_b32 s18, s8
	v_and_b32_e32 v1, 0xffff, v1
	v_dual_mov_b32 v179, s19 :: v_dual_mov_b32 v178, s18
	s_mov_b32 s18, exec_lo
	s_delay_alu instid0(VALU_DEP_2) | instskip(NEXT) | instid1(VALU_DEP_1)
	v_and_b32_e32 v2, 0x7f, v1
	v_cmpx_ne_u32_e32 0x7f, v2
	s_cbranch_execz .LBB247_88
; %bb.85:                               ;   in Loop: Header=BB247_10 Depth=1
	v_and_b32_e32 v146, 7, v1
	v_lshrrev_b32_e32 v1, 3, v2
	s_mov_b32 s24, exec_lo
	v_cmpx_gt_u32_e32 8, v2
; %bb.86:                               ;   in Loop: Header=BB247_10 Depth=1
	s_delay_alu instid0(VALU_DEP_3) | instskip(NEXT) | instid1(VALU_DEP_1)
	v_clz_i32_u32_e32 v1, v146
	v_min_u32_e32 v1, 32, v1
	s_delay_alu instid0(VALU_DEP_1) | instskip(SKIP_1) | instid1(VALU_DEP_2)
	v_subrev_nc_u32_e32 v2, 28, v1
	v_sub_nc_u32_e32 v1, 29, v1
	v_lshlrev_b64 v[2:3], v2, v[146:147]
	s_delay_alu instid0(VALU_DEP_1)
	v_and_b32_e32 v146, 7, v2
; %bb.87:                               ;   in Loop: Header=BB247_10 Depth=1
	s_or_b32 exec_lo, exec_lo, s24
	v_lshlrev_b32_e32 v0, 16, v0
	s_delay_alu instid0(VALU_DEP_2) | instskip(SKIP_2) | instid1(VALU_DEP_4)
	v_lshlrev_b32_e32 v2, 20, v146
	v_lshl_add_u32 v1, v1, 23, 0x3c000000
	v_mov_b32_e32 v178, v147
	v_and_b32_e32 v0, 0x80000000, v0
	s_delay_alu instid0(VALU_DEP_1)
	v_or3_b32 v179, v2, v0, v1
.LBB247_88:                             ;   in Loop: Header=BB247_10 Depth=1
	s_or_b32 exec_lo, exec_lo, s18
.LBB247_89:                             ;   in Loop: Header=BB247_10 Depth=1
	s_delay_alu instid0(SALU_CYCLE_1)
	s_or_b32 exec_lo, exec_lo, s23
.LBB247_90:                             ;   in Loop: Header=BB247_10 Depth=1
	s_delay_alu instid0(SALU_CYCLE_1)
	s_or_b32 exec_lo, exec_lo, s3
	flat_load_u16 v0, v[160:161] offset:260
	v_mov_b32_e32 v182, 0
	v_mov_b32_e32 v183, 0
	s_mov_b32 s3, exec_lo
	s_waitcnt vmcnt(0) lgkmcnt(0)
	v_and_b32_e32 v1, 0xff, v0
	v_and_b32_e32 v0, 0xffff, v0
	v_dual_mov_b32 v40, v182 :: v_dual_mov_b32 v41, v183
	s_delay_alu instid0(VALU_DEP_3)
	v_cmpx_ne_u16_e32 0, v1
	s_cbranch_execz .LBB247_98
; %bb.91:                               ;   in Loop: Header=BB247_10 Depth=1
	v_bfrev_b32_e32 v40, 1
	v_and_b32_e32 v1, 0xff, v0
	v_mov_b32_e32 v41, 0
	s_mov_b32 s18, exec_lo
	s_delay_alu instid0(VALU_DEP_2)
	v_cmpx_ne_u16_e32 0x80, v1
	s_cbranch_execz .LBB247_97
; %bb.92:                               ;   in Loop: Header=BB247_10 Depth=1
	v_mov_b32_e32 v40, 0x7f800001
	v_dual_mov_b32 v41, 0 :: v_dual_and_b32 v2, 0x7f, v0
	s_mov_b32 s23, exec_lo
	s_delay_alu instid0(VALU_DEP_1)
	v_cmpx_ne_u32_e32 0x7f, v2
	s_cbranch_execz .LBB247_96
; %bb.93:                               ;   in Loop: Header=BB247_10 Depth=1
	v_and_b32_e32 v146, 7, v0
	v_lshrrev_b32_e32 v1, 3, v2
	s_mov_b32 s24, exec_lo
	v_cmpx_gt_u32_e32 8, v2
; %bb.94:                               ;   in Loop: Header=BB247_10 Depth=1
	s_delay_alu instid0(VALU_DEP_3) | instskip(NEXT) | instid1(VALU_DEP_1)
	v_clz_i32_u32_e32 v1, v146
	v_min_u32_e32 v1, 32, v1
	s_delay_alu instid0(VALU_DEP_1) | instskip(SKIP_1) | instid1(VALU_DEP_2)
	v_subrev_nc_u32_e32 v2, 28, v1
	v_sub_nc_u32_e32 v1, 29, v1
	v_lshlrev_b64 v[2:3], v2, v[146:147]
	s_delay_alu instid0(VALU_DEP_1)
	v_and_b32_e32 v146, 7, v2
; %bb.95:                               ;   in Loop: Header=BB247_10 Depth=1
	s_or_b32 exec_lo, exec_lo, s24
	v_lshlrev_b32_e32 v2, 24, v0
	s_delay_alu instid0(VALU_DEP_2) | instskip(SKIP_1) | instid1(VALU_DEP_3)
	v_lshlrev_b32_e32 v3, 20, v146
	v_lshl_add_u32 v1, v1, 23, 0x3c000000
	v_and_b32_e32 v2, 0x80000000, v2
	s_delay_alu instid0(VALU_DEP_1) | instskip(NEXT) | instid1(VALU_DEP_1)
	v_or3_b32 v146, v3, v2, v1
	v_dual_mov_b32 v40, v146 :: v_dual_mov_b32 v41, v147
.LBB247_96:                             ;   in Loop: Header=BB247_10 Depth=1
	s_or_b32 exec_lo, exec_lo, s23
.LBB247_97:                             ;   in Loop: Header=BB247_10 Depth=1
	s_delay_alu instid0(SALU_CYCLE_1)
	s_or_b32 exec_lo, exec_lo, s18
.LBB247_98:                             ;   in Loop: Header=BB247_10 Depth=1
	s_delay_alu instid0(SALU_CYCLE_1) | instskip(SKIP_2) | instid1(VALU_DEP_1)
	s_or_b32 exec_lo, exec_lo, s3
	v_lshrrev_b16 v1, 8, v0
	s_mov_b32 s3, exec_lo
	v_cmpx_ne_u16_e32 0, v1
	s_cbranch_execz .LBB247_106
; %bb.99:                               ;   in Loop: Header=BB247_10 Depth=1
	v_dual_mov_b32 v183, s9 :: v_dual_mov_b32 v182, s8
	s_mov_b32 s23, exec_lo
	v_cmpx_ne_u16_e32 0x80, v1
	s_cbranch_execz .LBB247_105
; %bb.100:                              ;   in Loop: Header=BB247_10 Depth=1
	s_mov_b32 s18, s8
	v_and_b32_e32 v1, 0xffff, v1
	v_dual_mov_b32 v183, s19 :: v_dual_mov_b32 v182, s18
	s_mov_b32 s18, exec_lo
	s_delay_alu instid0(VALU_DEP_2) | instskip(NEXT) | instid1(VALU_DEP_1)
	v_and_b32_e32 v2, 0x7f, v1
	v_cmpx_ne_u32_e32 0x7f, v2
	s_cbranch_execz .LBB247_104
; %bb.101:                              ;   in Loop: Header=BB247_10 Depth=1
	v_and_b32_e32 v146, 7, v1
	v_lshrrev_b32_e32 v1, 3, v2
	s_mov_b32 s24, exec_lo
	v_cmpx_gt_u32_e32 8, v2
; %bb.102:                              ;   in Loop: Header=BB247_10 Depth=1
	s_delay_alu instid0(VALU_DEP_3) | instskip(NEXT) | instid1(VALU_DEP_1)
	v_clz_i32_u32_e32 v1, v146
	v_min_u32_e32 v1, 32, v1
	s_delay_alu instid0(VALU_DEP_1) | instskip(SKIP_1) | instid1(VALU_DEP_2)
	v_subrev_nc_u32_e32 v2, 28, v1
	v_sub_nc_u32_e32 v1, 29, v1
	v_lshlrev_b64 v[2:3], v2, v[146:147]
	s_delay_alu instid0(VALU_DEP_1)
	v_and_b32_e32 v146, 7, v2
; %bb.103:                              ;   in Loop: Header=BB247_10 Depth=1
	s_or_b32 exec_lo, exec_lo, s24
	v_lshlrev_b32_e32 v0, 16, v0
	s_delay_alu instid0(VALU_DEP_2) | instskip(SKIP_2) | instid1(VALU_DEP_4)
	v_lshlrev_b32_e32 v2, 20, v146
	v_lshl_add_u32 v1, v1, 23, 0x3c000000
	v_mov_b32_e32 v182, v147
	v_and_b32_e32 v0, 0x80000000, v0
	s_delay_alu instid0(VALU_DEP_1)
	v_or3_b32 v183, v2, v0, v1
.LBB247_104:                            ;   in Loop: Header=BB247_10 Depth=1
	s_or_b32 exec_lo, exec_lo, s18
.LBB247_105:                            ;   in Loop: Header=BB247_10 Depth=1
	s_delay_alu instid0(SALU_CYCLE_1)
	s_or_b32 exec_lo, exec_lo, s23
.LBB247_106:                            ;   in Loop: Header=BB247_10 Depth=1
	s_delay_alu instid0(SALU_CYCLE_1) | instskip(SKIP_1) | instid1(VALU_DEP_1)
	s_or_b32 exec_lo, exec_lo, s3
	v_add_co_u32 v0, s2, 0x100, v160
	v_add_co_ci_u32_e64 v1, s2, 0, v161, s2
	s_mov_b32 s3, exec_lo
	flat_load_u16 v2, v[0:1] offset:8
	v_mov_b32_e32 v42, 0
	v_mov_b32_e32 v43, 0
	s_waitcnt vmcnt(0) lgkmcnt(0)
	v_and_b32_e32 v3, 0xff, v2
	s_delay_alu instid0(VALU_DEP_2) | instskip(SKIP_1) | instid1(VALU_DEP_3)
	v_dual_mov_b32 v45, v43 :: v_dual_and_b32 v2, 0xffff, v2
	v_mov_b32_e32 v44, v42
	v_cmpx_ne_u16_e32 0, v3
	s_cbranch_execz .LBB247_114
; %bb.107:                              ;   in Loop: Header=BB247_10 Depth=1
	v_bfrev_b32_e32 v44, 1
	v_and_b32_e32 v3, 0xff, v2
	v_mov_b32_e32 v45, 0
	s_mov_b32 s18, exec_lo
	s_delay_alu instid0(VALU_DEP_2)
	v_cmpx_ne_u16_e32 0x80, v3
	s_cbranch_execz .LBB247_113
; %bb.108:                              ;   in Loop: Header=BB247_10 Depth=1
	v_mov_b32_e32 v44, 0x7f800001
	v_dual_mov_b32 v45, 0 :: v_dual_and_b32 v4, 0x7f, v2
	s_mov_b32 s23, exec_lo
	s_delay_alu instid0(VALU_DEP_1)
	v_cmpx_ne_u32_e32 0x7f, v4
	s_cbranch_execz .LBB247_112
; %bb.109:                              ;   in Loop: Header=BB247_10 Depth=1
	v_and_b32_e32 v146, 7, v2
	v_lshrrev_b32_e32 v3, 3, v4
	s_mov_b32 s24, exec_lo
	v_cmpx_gt_u32_e32 8, v4
; %bb.110:                              ;   in Loop: Header=BB247_10 Depth=1
	s_delay_alu instid0(VALU_DEP_3) | instskip(NEXT) | instid1(VALU_DEP_1)
	v_clz_i32_u32_e32 v3, v146
	v_min_u32_e32 v3, 32, v3
	s_delay_alu instid0(VALU_DEP_1) | instskip(SKIP_1) | instid1(VALU_DEP_2)
	v_subrev_nc_u32_e32 v4, 28, v3
	v_sub_nc_u32_e32 v3, 29, v3
	v_lshlrev_b64 v[4:5], v4, v[146:147]
	s_delay_alu instid0(VALU_DEP_1)
	v_and_b32_e32 v146, 7, v4
; %bb.111:                              ;   in Loop: Header=BB247_10 Depth=1
	s_or_b32 exec_lo, exec_lo, s24
	v_lshlrev_b32_e32 v4, 24, v2
	s_delay_alu instid0(VALU_DEP_2) | instskip(SKIP_1) | instid1(VALU_DEP_3)
	v_lshlrev_b32_e32 v5, 20, v146
	v_lshl_add_u32 v3, v3, 23, 0x3c000000
	v_and_b32_e32 v4, 0x80000000, v4
	s_delay_alu instid0(VALU_DEP_1) | instskip(NEXT) | instid1(VALU_DEP_1)
	v_or3_b32 v146, v5, v4, v3
	v_dual_mov_b32 v44, v146 :: v_dual_mov_b32 v45, v147
.LBB247_112:                            ;   in Loop: Header=BB247_10 Depth=1
	s_or_b32 exec_lo, exec_lo, s23
.LBB247_113:                            ;   in Loop: Header=BB247_10 Depth=1
	s_delay_alu instid0(SALU_CYCLE_1)
	s_or_b32 exec_lo, exec_lo, s18
.LBB247_114:                            ;   in Loop: Header=BB247_10 Depth=1
	s_delay_alu instid0(SALU_CYCLE_1) | instskip(SKIP_2) | instid1(VALU_DEP_1)
	s_or_b32 exec_lo, exec_lo, s3
	v_lshrrev_b16 v3, 8, v2
	s_mov_b32 s3, exec_lo
	v_cmpx_ne_u16_e32 0, v3
	s_cbranch_execz .LBB247_122
; %bb.115:                              ;   in Loop: Header=BB247_10 Depth=1
	v_dual_mov_b32 v43, s9 :: v_dual_mov_b32 v42, s8
	s_mov_b32 s23, exec_lo
	v_cmpx_ne_u16_e32 0x80, v3
	s_cbranch_execz .LBB247_121
; %bb.116:                              ;   in Loop: Header=BB247_10 Depth=1
	s_mov_b32 s18, s8
	v_and_b32_e32 v3, 0xffff, v3
	v_dual_mov_b32 v43, s19 :: v_dual_mov_b32 v42, s18
	s_mov_b32 s18, exec_lo
	s_delay_alu instid0(VALU_DEP_2) | instskip(NEXT) | instid1(VALU_DEP_1)
	v_and_b32_e32 v4, 0x7f, v3
	v_cmpx_ne_u32_e32 0x7f, v4
	s_cbranch_execz .LBB247_120
; %bb.117:                              ;   in Loop: Header=BB247_10 Depth=1
	v_and_b32_e32 v146, 7, v3
	v_lshrrev_b32_e32 v3, 3, v4
	s_mov_b32 s24, exec_lo
	v_cmpx_gt_u32_e32 8, v4
; %bb.118:                              ;   in Loop: Header=BB247_10 Depth=1
	s_delay_alu instid0(VALU_DEP_3) | instskip(NEXT) | instid1(VALU_DEP_1)
	v_clz_i32_u32_e32 v3, v146
	v_min_u32_e32 v3, 32, v3
	s_delay_alu instid0(VALU_DEP_1) | instskip(SKIP_1) | instid1(VALU_DEP_2)
	v_subrev_nc_u32_e32 v4, 28, v3
	v_sub_nc_u32_e32 v3, 29, v3
	v_lshlrev_b64 v[4:5], v4, v[146:147]
	s_delay_alu instid0(VALU_DEP_1)
	v_and_b32_e32 v146, 7, v4
; %bb.119:                              ;   in Loop: Header=BB247_10 Depth=1
	s_or_b32 exec_lo, exec_lo, s24
	v_lshlrev_b32_e32 v2, 16, v2
	s_delay_alu instid0(VALU_DEP_2) | instskip(SKIP_2) | instid1(VALU_DEP_4)
	v_lshlrev_b32_e32 v4, 20, v146
	v_lshl_add_u32 v3, v3, 23, 0x3c000000
	v_mov_b32_e32 v42, v147
	v_and_b32_e32 v2, 0x80000000, v2
	s_delay_alu instid0(VALU_DEP_1)
	v_or3_b32 v43, v4, v2, v3
.LBB247_120:                            ;   in Loop: Header=BB247_10 Depth=1
	s_or_b32 exec_lo, exec_lo, s18
.LBB247_121:                            ;   in Loop: Header=BB247_10 Depth=1
	s_delay_alu instid0(SALU_CYCLE_1)
	s_or_b32 exec_lo, exec_lo, s23
.LBB247_122:                            ;   in Loop: Header=BB247_10 Depth=1
	s_delay_alu instid0(SALU_CYCLE_1)
	s_or_b32 exec_lo, exec_lo, s3
	flat_load_u16 v0, v[0:1] offset:12
	v_mov_b32_e32 v46, 0
	v_mov_b32_e32 v47, 0
	s_mov_b32 s3, exec_lo
	s_waitcnt vmcnt(0) lgkmcnt(0)
	v_and_b32_e32 v1, 0xff, v0
	s_delay_alu instid0(VALU_DEP_2) | instskip(SKIP_1) | instid1(VALU_DEP_3)
	v_dual_mov_b32 v57, v47 :: v_dual_and_b32 v0, 0xffff, v0
	v_mov_b32_e32 v56, v46
	v_cmpx_ne_u16_e32 0, v1
	s_cbranch_execz .LBB247_130
; %bb.123:                              ;   in Loop: Header=BB247_10 Depth=1
	v_bfrev_b32_e32 v56, 1
	v_and_b32_e32 v1, 0xff, v0
	v_mov_b32_e32 v57, 0
	s_mov_b32 s18, exec_lo
	s_delay_alu instid0(VALU_DEP_2)
	v_cmpx_ne_u16_e32 0x80, v1
	s_cbranch_execz .LBB247_129
; %bb.124:                              ;   in Loop: Header=BB247_10 Depth=1
	v_mov_b32_e32 v56, 0x7f800001
	v_dual_mov_b32 v57, 0 :: v_dual_and_b32 v2, 0x7f, v0
	s_mov_b32 s23, exec_lo
	s_delay_alu instid0(VALU_DEP_1)
	v_cmpx_ne_u32_e32 0x7f, v2
	s_cbranch_execz .LBB247_128
; %bb.125:                              ;   in Loop: Header=BB247_10 Depth=1
	v_and_b32_e32 v146, 7, v0
	v_lshrrev_b32_e32 v1, 3, v2
	s_mov_b32 s24, exec_lo
	v_cmpx_gt_u32_e32 8, v2
; %bb.126:                              ;   in Loop: Header=BB247_10 Depth=1
	s_delay_alu instid0(VALU_DEP_3) | instskip(NEXT) | instid1(VALU_DEP_1)
	v_clz_i32_u32_e32 v1, v146
	v_min_u32_e32 v1, 32, v1
	s_delay_alu instid0(VALU_DEP_1) | instskip(SKIP_1) | instid1(VALU_DEP_2)
	v_subrev_nc_u32_e32 v2, 28, v1
	v_sub_nc_u32_e32 v1, 29, v1
	v_lshlrev_b64 v[2:3], v2, v[146:147]
	s_delay_alu instid0(VALU_DEP_1)
	v_and_b32_e32 v146, 7, v2
; %bb.127:                              ;   in Loop: Header=BB247_10 Depth=1
	s_or_b32 exec_lo, exec_lo, s24
	v_lshlrev_b32_e32 v2, 24, v0
	s_delay_alu instid0(VALU_DEP_2) | instskip(SKIP_1) | instid1(VALU_DEP_3)
	v_lshlrev_b32_e32 v3, 20, v146
	v_lshl_add_u32 v1, v1, 23, 0x3c000000
	v_and_b32_e32 v2, 0x80000000, v2
	s_delay_alu instid0(VALU_DEP_1) | instskip(NEXT) | instid1(VALU_DEP_1)
	v_or3_b32 v146, v3, v2, v1
	v_dual_mov_b32 v56, v146 :: v_dual_mov_b32 v57, v147
.LBB247_128:                            ;   in Loop: Header=BB247_10 Depth=1
	s_or_b32 exec_lo, exec_lo, s23
.LBB247_129:                            ;   in Loop: Header=BB247_10 Depth=1
	s_delay_alu instid0(SALU_CYCLE_1)
	s_or_b32 exec_lo, exec_lo, s18
.LBB247_130:                            ;   in Loop: Header=BB247_10 Depth=1
	s_delay_alu instid0(SALU_CYCLE_1) | instskip(SKIP_2) | instid1(VALU_DEP_1)
	s_or_b32 exec_lo, exec_lo, s3
	v_lshrrev_b16 v1, 8, v0
	s_mov_b32 s3, exec_lo
	v_cmpx_ne_u16_e32 0, v1
	s_cbranch_execz .LBB247_138
; %bb.131:                              ;   in Loop: Header=BB247_10 Depth=1
	v_dual_mov_b32 v47, s9 :: v_dual_mov_b32 v46, s8
	s_mov_b32 s23, exec_lo
	v_cmpx_ne_u16_e32 0x80, v1
	s_cbranch_execz .LBB247_137
; %bb.132:                              ;   in Loop: Header=BB247_10 Depth=1
	s_mov_b32 s18, s8
	v_and_b32_e32 v1, 0xffff, v1
	v_dual_mov_b32 v47, s19 :: v_dual_mov_b32 v46, s18
	s_mov_b32 s18, exec_lo
	s_delay_alu instid0(VALU_DEP_2) | instskip(NEXT) | instid1(VALU_DEP_1)
	v_and_b32_e32 v2, 0x7f, v1
	v_cmpx_ne_u32_e32 0x7f, v2
	s_cbranch_execz .LBB247_136
; %bb.133:                              ;   in Loop: Header=BB247_10 Depth=1
	v_and_b32_e32 v146, 7, v1
	v_lshrrev_b32_e32 v1, 3, v2
	s_mov_b32 s24, exec_lo
	v_cmpx_gt_u32_e32 8, v2
; %bb.134:                              ;   in Loop: Header=BB247_10 Depth=1
	s_delay_alu instid0(VALU_DEP_3) | instskip(NEXT) | instid1(VALU_DEP_1)
	v_clz_i32_u32_e32 v1, v146
	v_min_u32_e32 v1, 32, v1
	s_delay_alu instid0(VALU_DEP_1) | instskip(SKIP_1) | instid1(VALU_DEP_2)
	v_subrev_nc_u32_e32 v2, 28, v1
	v_sub_nc_u32_e32 v1, 29, v1
	v_lshlrev_b64 v[2:3], v2, v[146:147]
	s_delay_alu instid0(VALU_DEP_1)
	v_and_b32_e32 v146, 7, v2
; %bb.135:                              ;   in Loop: Header=BB247_10 Depth=1
	s_or_b32 exec_lo, exec_lo, s24
	v_lshlrev_b32_e32 v0, 16, v0
	s_delay_alu instid0(VALU_DEP_2) | instskip(SKIP_2) | instid1(VALU_DEP_4)
	v_lshlrev_b32_e32 v2, 20, v146
	v_lshl_add_u32 v1, v1, 23, 0x3c000000
	v_mov_b32_e32 v46, v147
	v_and_b32_e32 v0, 0x80000000, v0
	s_delay_alu instid0(VALU_DEP_1)
	v_or3_b32 v47, v2, v0, v1
.LBB247_136:                            ;   in Loop: Header=BB247_10 Depth=1
	s_or_b32 exec_lo, exec_lo, s18
.LBB247_137:                            ;   in Loop: Header=BB247_10 Depth=1
	s_delay_alu instid0(SALU_CYCLE_1)
	s_or_b32 exec_lo, exec_lo, s23
.LBB247_138:                            ;   in Loop: Header=BB247_10 Depth=1
	s_delay_alu instid0(SALU_CYCLE_1)
	s_or_b32 exec_lo, exec_lo, s3
	flat_load_u16 v0, v[160:161] offset:512
	v_mov_b32_e32 v58, 0
	v_mov_b32_e32 v59, 0
	s_mov_b32 s3, exec_lo
	s_waitcnt vmcnt(0) lgkmcnt(0)
	v_and_b32_e32 v1, 0xff, v0
	s_delay_alu instid0(VALU_DEP_2) | instskip(SKIP_1) | instid1(VALU_DEP_3)
	v_dual_mov_b32 v61, v59 :: v_dual_and_b32 v0, 0xffff, v0
	v_mov_b32_e32 v60, v58
	v_cmpx_ne_u16_e32 0, v1
	s_cbranch_execz .LBB247_146
; %bb.139:                              ;   in Loop: Header=BB247_10 Depth=1
	v_bfrev_b32_e32 v60, 1
	v_and_b32_e32 v1, 0xff, v0
	v_mov_b32_e32 v61, 0
	s_mov_b32 s18, exec_lo
	s_delay_alu instid0(VALU_DEP_2)
	v_cmpx_ne_u16_e32 0x80, v1
	s_cbranch_execz .LBB247_145
; %bb.140:                              ;   in Loop: Header=BB247_10 Depth=1
	v_mov_b32_e32 v60, 0x7f800001
	v_dual_mov_b32 v61, 0 :: v_dual_and_b32 v2, 0x7f, v0
	s_mov_b32 s23, exec_lo
	s_delay_alu instid0(VALU_DEP_1)
	v_cmpx_ne_u32_e32 0x7f, v2
	s_cbranch_execz .LBB247_144
; %bb.141:                              ;   in Loop: Header=BB247_10 Depth=1
	v_and_b32_e32 v146, 7, v0
	v_lshrrev_b32_e32 v1, 3, v2
	s_mov_b32 s24, exec_lo
	v_cmpx_gt_u32_e32 8, v2
; %bb.142:                              ;   in Loop: Header=BB247_10 Depth=1
	s_delay_alu instid0(VALU_DEP_3) | instskip(NEXT) | instid1(VALU_DEP_1)
	v_clz_i32_u32_e32 v1, v146
	v_min_u32_e32 v1, 32, v1
	s_delay_alu instid0(VALU_DEP_1) | instskip(SKIP_1) | instid1(VALU_DEP_2)
	v_subrev_nc_u32_e32 v2, 28, v1
	v_sub_nc_u32_e32 v1, 29, v1
	v_lshlrev_b64 v[2:3], v2, v[146:147]
	s_delay_alu instid0(VALU_DEP_1)
	v_and_b32_e32 v146, 7, v2
; %bb.143:                              ;   in Loop: Header=BB247_10 Depth=1
	s_or_b32 exec_lo, exec_lo, s24
	v_lshlrev_b32_e32 v2, 24, v0
	s_delay_alu instid0(VALU_DEP_2) | instskip(SKIP_1) | instid1(VALU_DEP_3)
	v_lshlrev_b32_e32 v3, 20, v146
	v_lshl_add_u32 v1, v1, 23, 0x3c000000
	v_and_b32_e32 v2, 0x80000000, v2
	s_delay_alu instid0(VALU_DEP_1) | instskip(NEXT) | instid1(VALU_DEP_1)
	v_or3_b32 v146, v3, v2, v1
	v_dual_mov_b32 v60, v146 :: v_dual_mov_b32 v61, v147
.LBB247_144:                            ;   in Loop: Header=BB247_10 Depth=1
	s_or_b32 exec_lo, exec_lo, s23
.LBB247_145:                            ;   in Loop: Header=BB247_10 Depth=1
	s_delay_alu instid0(SALU_CYCLE_1)
	s_or_b32 exec_lo, exec_lo, s18
.LBB247_146:                            ;   in Loop: Header=BB247_10 Depth=1
	s_delay_alu instid0(SALU_CYCLE_1) | instskip(SKIP_2) | instid1(VALU_DEP_1)
	s_or_b32 exec_lo, exec_lo, s3
	v_lshrrev_b16 v1, 8, v0
	s_mov_b32 s3, exec_lo
	v_cmpx_ne_u16_e32 0, v1
	s_cbranch_execz .LBB247_154
; %bb.147:                              ;   in Loop: Header=BB247_10 Depth=1
	v_dual_mov_b32 v59, s9 :: v_dual_mov_b32 v58, s8
	s_mov_b32 s23, exec_lo
	v_cmpx_ne_u16_e32 0x80, v1
	s_cbranch_execz .LBB247_153
; %bb.148:                              ;   in Loop: Header=BB247_10 Depth=1
	s_mov_b32 s18, s8
	v_and_b32_e32 v1, 0xffff, v1
	v_dual_mov_b32 v59, s19 :: v_dual_mov_b32 v58, s18
	s_mov_b32 s18, exec_lo
	s_delay_alu instid0(VALU_DEP_2) | instskip(NEXT) | instid1(VALU_DEP_1)
	v_and_b32_e32 v2, 0x7f, v1
	v_cmpx_ne_u32_e32 0x7f, v2
	s_cbranch_execz .LBB247_152
; %bb.149:                              ;   in Loop: Header=BB247_10 Depth=1
	v_and_b32_e32 v146, 7, v1
	v_lshrrev_b32_e32 v1, 3, v2
	s_mov_b32 s24, exec_lo
	v_cmpx_gt_u32_e32 8, v2
; %bb.150:                              ;   in Loop: Header=BB247_10 Depth=1
	s_delay_alu instid0(VALU_DEP_3) | instskip(NEXT) | instid1(VALU_DEP_1)
	v_clz_i32_u32_e32 v1, v146
	v_min_u32_e32 v1, 32, v1
	s_delay_alu instid0(VALU_DEP_1) | instskip(SKIP_1) | instid1(VALU_DEP_2)
	v_subrev_nc_u32_e32 v2, 28, v1
	v_sub_nc_u32_e32 v1, 29, v1
	v_lshlrev_b64 v[2:3], v2, v[146:147]
	s_delay_alu instid0(VALU_DEP_1)
	v_and_b32_e32 v146, 7, v2
; %bb.151:                              ;   in Loop: Header=BB247_10 Depth=1
	s_or_b32 exec_lo, exec_lo, s24
	v_lshlrev_b32_e32 v0, 16, v0
	s_delay_alu instid0(VALU_DEP_2) | instskip(SKIP_2) | instid1(VALU_DEP_4)
	v_lshlrev_b32_e32 v2, 20, v146
	v_lshl_add_u32 v1, v1, 23, 0x3c000000
	v_mov_b32_e32 v58, v147
	v_and_b32_e32 v0, 0x80000000, v0
	s_delay_alu instid0(VALU_DEP_1)
	v_or3_b32 v59, v2, v0, v1
.LBB247_152:                            ;   in Loop: Header=BB247_10 Depth=1
	s_or_b32 exec_lo, exec_lo, s18
.LBB247_153:                            ;   in Loop: Header=BB247_10 Depth=1
	s_delay_alu instid0(SALU_CYCLE_1)
	s_or_b32 exec_lo, exec_lo, s23
.LBB247_154:                            ;   in Loop: Header=BB247_10 Depth=1
	s_delay_alu instid0(SALU_CYCLE_1)
	s_or_b32 exec_lo, exec_lo, s3
	flat_load_u16 v0, v[160:161] offset:516
	v_mov_b32_e32 v62, 0
	v_mov_b32_e32 v63, 0
	s_mov_b32 s3, exec_lo
	s_waitcnt vmcnt(0) lgkmcnt(0)
	v_and_b32_e32 v1, 0xff, v0
	s_delay_alu instid0(VALU_DEP_2) | instskip(SKIP_1) | instid1(VALU_DEP_3)
	v_dual_mov_b32 v73, v63 :: v_dual_and_b32 v0, 0xffff, v0
	v_mov_b32_e32 v72, v62
	v_cmpx_ne_u16_e32 0, v1
	s_cbranch_execz .LBB247_162
; %bb.155:                              ;   in Loop: Header=BB247_10 Depth=1
	v_bfrev_b32_e32 v72, 1
	v_and_b32_e32 v1, 0xff, v0
	v_mov_b32_e32 v73, 0
	s_mov_b32 s18, exec_lo
	s_delay_alu instid0(VALU_DEP_2)
	v_cmpx_ne_u16_e32 0x80, v1
	s_cbranch_execz .LBB247_161
; %bb.156:                              ;   in Loop: Header=BB247_10 Depth=1
	v_mov_b32_e32 v72, 0x7f800001
	v_dual_mov_b32 v73, 0 :: v_dual_and_b32 v2, 0x7f, v0
	s_mov_b32 s23, exec_lo
	s_delay_alu instid0(VALU_DEP_1)
	v_cmpx_ne_u32_e32 0x7f, v2
	s_cbranch_execz .LBB247_160
; %bb.157:                              ;   in Loop: Header=BB247_10 Depth=1
	v_and_b32_e32 v146, 7, v0
	v_lshrrev_b32_e32 v1, 3, v2
	s_mov_b32 s24, exec_lo
	v_cmpx_gt_u32_e32 8, v2
; %bb.158:                              ;   in Loop: Header=BB247_10 Depth=1
	s_delay_alu instid0(VALU_DEP_3) | instskip(NEXT) | instid1(VALU_DEP_1)
	v_clz_i32_u32_e32 v1, v146
	v_min_u32_e32 v1, 32, v1
	s_delay_alu instid0(VALU_DEP_1) | instskip(SKIP_1) | instid1(VALU_DEP_2)
	v_subrev_nc_u32_e32 v2, 28, v1
	v_sub_nc_u32_e32 v1, 29, v1
	v_lshlrev_b64 v[2:3], v2, v[146:147]
	s_delay_alu instid0(VALU_DEP_1)
	v_and_b32_e32 v146, 7, v2
; %bb.159:                              ;   in Loop: Header=BB247_10 Depth=1
	s_or_b32 exec_lo, exec_lo, s24
	v_lshlrev_b32_e32 v2, 24, v0
	s_delay_alu instid0(VALU_DEP_2) | instskip(SKIP_1) | instid1(VALU_DEP_3)
	v_lshlrev_b32_e32 v3, 20, v146
	v_lshl_add_u32 v1, v1, 23, 0x3c000000
	v_and_b32_e32 v2, 0x80000000, v2
	s_delay_alu instid0(VALU_DEP_1) | instskip(NEXT) | instid1(VALU_DEP_1)
	v_or3_b32 v146, v3, v2, v1
	v_dual_mov_b32 v72, v146 :: v_dual_mov_b32 v73, v147
.LBB247_160:                            ;   in Loop: Header=BB247_10 Depth=1
	s_or_b32 exec_lo, exec_lo, s23
.LBB247_161:                            ;   in Loop: Header=BB247_10 Depth=1
	s_delay_alu instid0(SALU_CYCLE_1)
	s_or_b32 exec_lo, exec_lo, s18
.LBB247_162:                            ;   in Loop: Header=BB247_10 Depth=1
	s_delay_alu instid0(SALU_CYCLE_1) | instskip(SKIP_2) | instid1(VALU_DEP_1)
	s_or_b32 exec_lo, exec_lo, s3
	v_lshrrev_b16 v1, 8, v0
	s_mov_b32 s3, exec_lo
	v_cmpx_ne_u16_e32 0, v1
	s_cbranch_execz .LBB247_170
; %bb.163:                              ;   in Loop: Header=BB247_10 Depth=1
	v_dual_mov_b32 v63, s9 :: v_dual_mov_b32 v62, s8
	s_mov_b32 s23, exec_lo
	v_cmpx_ne_u16_e32 0x80, v1
	s_cbranch_execz .LBB247_169
; %bb.164:                              ;   in Loop: Header=BB247_10 Depth=1
	s_mov_b32 s18, s8
	v_and_b32_e32 v1, 0xffff, v1
	v_dual_mov_b32 v63, s19 :: v_dual_mov_b32 v62, s18
	s_mov_b32 s18, exec_lo
	s_delay_alu instid0(VALU_DEP_2) | instskip(NEXT) | instid1(VALU_DEP_1)
	v_and_b32_e32 v2, 0x7f, v1
	v_cmpx_ne_u32_e32 0x7f, v2
	s_cbranch_execz .LBB247_168
; %bb.165:                              ;   in Loop: Header=BB247_10 Depth=1
	v_and_b32_e32 v146, 7, v1
	v_lshrrev_b32_e32 v1, 3, v2
	s_mov_b32 s24, exec_lo
	v_cmpx_gt_u32_e32 8, v2
; %bb.166:                              ;   in Loop: Header=BB247_10 Depth=1
	s_delay_alu instid0(VALU_DEP_3) | instskip(NEXT) | instid1(VALU_DEP_1)
	v_clz_i32_u32_e32 v1, v146
	v_min_u32_e32 v1, 32, v1
	s_delay_alu instid0(VALU_DEP_1) | instskip(SKIP_1) | instid1(VALU_DEP_2)
	v_subrev_nc_u32_e32 v2, 28, v1
	v_sub_nc_u32_e32 v1, 29, v1
	v_lshlrev_b64 v[2:3], v2, v[146:147]
	s_delay_alu instid0(VALU_DEP_1)
	v_and_b32_e32 v146, 7, v2
; %bb.167:                              ;   in Loop: Header=BB247_10 Depth=1
	s_or_b32 exec_lo, exec_lo, s24
	v_lshlrev_b32_e32 v0, 16, v0
	s_delay_alu instid0(VALU_DEP_2) | instskip(SKIP_2) | instid1(VALU_DEP_4)
	v_lshlrev_b32_e32 v2, 20, v146
	v_lshl_add_u32 v1, v1, 23, 0x3c000000
	v_mov_b32_e32 v62, v147
	v_and_b32_e32 v0, 0x80000000, v0
	s_delay_alu instid0(VALU_DEP_1)
	v_or3_b32 v63, v2, v0, v1
.LBB247_168:                            ;   in Loop: Header=BB247_10 Depth=1
	s_or_b32 exec_lo, exec_lo, s18
.LBB247_169:                            ;   in Loop: Header=BB247_10 Depth=1
	s_delay_alu instid0(SALU_CYCLE_1)
	s_or_b32 exec_lo, exec_lo, s23
.LBB247_170:                            ;   in Loop: Header=BB247_10 Depth=1
	s_delay_alu instid0(SALU_CYCLE_1) | instskip(SKIP_1) | instid1(VALU_DEP_1)
	s_or_b32 exec_lo, exec_lo, s3
	v_add_co_u32 v0, s2, 0x200, v160
	v_add_co_ci_u32_e64 v1, s2, 0, v161, s2
	s_mov_b32 s3, exec_lo
	flat_load_u16 v2, v[0:1] offset:8
	v_mov_b32_e32 v74, 0
	v_mov_b32_e32 v75, 0
	s_waitcnt vmcnt(0) lgkmcnt(0)
	v_and_b32_e32 v3, 0xff, v2
	s_delay_alu instid0(VALU_DEP_2) | instskip(SKIP_1) | instid1(VALU_DEP_3)
	v_dual_mov_b32 v77, v75 :: v_dual_and_b32 v2, 0xffff, v2
	v_mov_b32_e32 v76, v74
	v_cmpx_ne_u16_e32 0, v3
	s_cbranch_execz .LBB247_178
; %bb.171:                              ;   in Loop: Header=BB247_10 Depth=1
	v_bfrev_b32_e32 v76, 1
	v_and_b32_e32 v3, 0xff, v2
	v_mov_b32_e32 v77, 0
	s_mov_b32 s18, exec_lo
	s_delay_alu instid0(VALU_DEP_2)
	v_cmpx_ne_u16_e32 0x80, v3
	s_cbranch_execz .LBB247_177
; %bb.172:                              ;   in Loop: Header=BB247_10 Depth=1
	v_mov_b32_e32 v76, 0x7f800001
	v_dual_mov_b32 v77, 0 :: v_dual_and_b32 v4, 0x7f, v2
	s_mov_b32 s23, exec_lo
	s_delay_alu instid0(VALU_DEP_1)
	v_cmpx_ne_u32_e32 0x7f, v4
	s_cbranch_execz .LBB247_176
; %bb.173:                              ;   in Loop: Header=BB247_10 Depth=1
	v_and_b32_e32 v146, 7, v2
	v_lshrrev_b32_e32 v3, 3, v4
	s_mov_b32 s24, exec_lo
	v_cmpx_gt_u32_e32 8, v4
; %bb.174:                              ;   in Loop: Header=BB247_10 Depth=1
	s_delay_alu instid0(VALU_DEP_3) | instskip(NEXT) | instid1(VALU_DEP_1)
	v_clz_i32_u32_e32 v3, v146
	v_min_u32_e32 v3, 32, v3
	s_delay_alu instid0(VALU_DEP_1) | instskip(SKIP_1) | instid1(VALU_DEP_2)
	v_subrev_nc_u32_e32 v4, 28, v3
	v_sub_nc_u32_e32 v3, 29, v3
	v_lshlrev_b64 v[4:5], v4, v[146:147]
	s_delay_alu instid0(VALU_DEP_1)
	v_and_b32_e32 v146, 7, v4
; %bb.175:                              ;   in Loop: Header=BB247_10 Depth=1
	s_or_b32 exec_lo, exec_lo, s24
	v_lshlrev_b32_e32 v4, 24, v2
	s_delay_alu instid0(VALU_DEP_2) | instskip(SKIP_1) | instid1(VALU_DEP_3)
	v_lshlrev_b32_e32 v5, 20, v146
	v_lshl_add_u32 v3, v3, 23, 0x3c000000
	v_and_b32_e32 v4, 0x80000000, v4
	s_delay_alu instid0(VALU_DEP_1) | instskip(NEXT) | instid1(VALU_DEP_1)
	v_or3_b32 v146, v5, v4, v3
	v_dual_mov_b32 v76, v146 :: v_dual_mov_b32 v77, v147
.LBB247_176:                            ;   in Loop: Header=BB247_10 Depth=1
	s_or_b32 exec_lo, exec_lo, s23
.LBB247_177:                            ;   in Loop: Header=BB247_10 Depth=1
	s_delay_alu instid0(SALU_CYCLE_1)
	s_or_b32 exec_lo, exec_lo, s18
.LBB247_178:                            ;   in Loop: Header=BB247_10 Depth=1
	s_delay_alu instid0(SALU_CYCLE_1) | instskip(SKIP_2) | instid1(VALU_DEP_1)
	s_or_b32 exec_lo, exec_lo, s3
	v_lshrrev_b16 v3, 8, v2
	s_mov_b32 s3, exec_lo
	v_cmpx_ne_u16_e32 0, v3
	s_cbranch_execz .LBB247_186
; %bb.179:                              ;   in Loop: Header=BB247_10 Depth=1
	v_dual_mov_b32 v75, s9 :: v_dual_mov_b32 v74, s8
	s_mov_b32 s23, exec_lo
	v_cmpx_ne_u16_e32 0x80, v3
	s_cbranch_execz .LBB247_185
; %bb.180:                              ;   in Loop: Header=BB247_10 Depth=1
	s_mov_b32 s18, s8
	v_and_b32_e32 v3, 0xffff, v3
	v_dual_mov_b32 v75, s19 :: v_dual_mov_b32 v74, s18
	s_mov_b32 s18, exec_lo
	s_delay_alu instid0(VALU_DEP_2) | instskip(NEXT) | instid1(VALU_DEP_1)
	v_and_b32_e32 v4, 0x7f, v3
	v_cmpx_ne_u32_e32 0x7f, v4
	s_cbranch_execz .LBB247_184
; %bb.181:                              ;   in Loop: Header=BB247_10 Depth=1
	v_and_b32_e32 v146, 7, v3
	v_lshrrev_b32_e32 v3, 3, v4
	s_mov_b32 s24, exec_lo
	v_cmpx_gt_u32_e32 8, v4
; %bb.182:                              ;   in Loop: Header=BB247_10 Depth=1
	s_delay_alu instid0(VALU_DEP_3) | instskip(NEXT) | instid1(VALU_DEP_1)
	v_clz_i32_u32_e32 v3, v146
	v_min_u32_e32 v3, 32, v3
	s_delay_alu instid0(VALU_DEP_1) | instskip(SKIP_1) | instid1(VALU_DEP_2)
	v_subrev_nc_u32_e32 v4, 28, v3
	v_sub_nc_u32_e32 v3, 29, v3
	v_lshlrev_b64 v[4:5], v4, v[146:147]
	s_delay_alu instid0(VALU_DEP_1)
	v_and_b32_e32 v146, 7, v4
; %bb.183:                              ;   in Loop: Header=BB247_10 Depth=1
	s_or_b32 exec_lo, exec_lo, s24
	v_lshlrev_b32_e32 v2, 16, v2
	s_delay_alu instid0(VALU_DEP_2) | instskip(SKIP_2) | instid1(VALU_DEP_4)
	v_lshlrev_b32_e32 v4, 20, v146
	v_lshl_add_u32 v3, v3, 23, 0x3c000000
	v_mov_b32_e32 v74, v147
	v_and_b32_e32 v2, 0x80000000, v2
	s_delay_alu instid0(VALU_DEP_1)
	v_or3_b32 v75, v4, v2, v3
.LBB247_184:                            ;   in Loop: Header=BB247_10 Depth=1
	s_or_b32 exec_lo, exec_lo, s18
.LBB247_185:                            ;   in Loop: Header=BB247_10 Depth=1
	s_delay_alu instid0(SALU_CYCLE_1)
	s_or_b32 exec_lo, exec_lo, s23
.LBB247_186:                            ;   in Loop: Header=BB247_10 Depth=1
	s_delay_alu instid0(SALU_CYCLE_1)
	s_or_b32 exec_lo, exec_lo, s3
	flat_load_u16 v0, v[0:1] offset:12
	v_mov_b32_e32 v78, 0
	v_mov_b32_e32 v79, 0
	s_mov_b32 s3, exec_lo
	s_waitcnt vmcnt(0) lgkmcnt(0)
	v_and_b32_e32 v1, 0xff, v0
	s_delay_alu instid0(VALU_DEP_2) | instskip(SKIP_1) | instid1(VALU_DEP_3)
	v_dual_mov_b32 v89, v79 :: v_dual_and_b32 v0, 0xffff, v0
	v_mov_b32_e32 v88, v78
	v_cmpx_ne_u16_e32 0, v1
	s_cbranch_execz .LBB247_194
; %bb.187:                              ;   in Loop: Header=BB247_10 Depth=1
	v_bfrev_b32_e32 v88, 1
	v_and_b32_e32 v1, 0xff, v0
	v_mov_b32_e32 v89, 0
	s_mov_b32 s18, exec_lo
	s_delay_alu instid0(VALU_DEP_2)
	v_cmpx_ne_u16_e32 0x80, v1
	s_cbranch_execz .LBB247_193
; %bb.188:                              ;   in Loop: Header=BB247_10 Depth=1
	v_mov_b32_e32 v88, 0x7f800001
	v_dual_mov_b32 v89, 0 :: v_dual_and_b32 v2, 0x7f, v0
	s_mov_b32 s23, exec_lo
	s_delay_alu instid0(VALU_DEP_1)
	v_cmpx_ne_u32_e32 0x7f, v2
	s_cbranch_execz .LBB247_192
; %bb.189:                              ;   in Loop: Header=BB247_10 Depth=1
	v_and_b32_e32 v146, 7, v0
	v_lshrrev_b32_e32 v1, 3, v2
	s_mov_b32 s24, exec_lo
	v_cmpx_gt_u32_e32 8, v2
; %bb.190:                              ;   in Loop: Header=BB247_10 Depth=1
	s_delay_alu instid0(VALU_DEP_3) | instskip(NEXT) | instid1(VALU_DEP_1)
	v_clz_i32_u32_e32 v1, v146
	v_min_u32_e32 v1, 32, v1
	s_delay_alu instid0(VALU_DEP_1) | instskip(SKIP_1) | instid1(VALU_DEP_2)
	v_subrev_nc_u32_e32 v2, 28, v1
	v_sub_nc_u32_e32 v1, 29, v1
	v_lshlrev_b64 v[2:3], v2, v[146:147]
	s_delay_alu instid0(VALU_DEP_1)
	v_and_b32_e32 v146, 7, v2
; %bb.191:                              ;   in Loop: Header=BB247_10 Depth=1
	s_or_b32 exec_lo, exec_lo, s24
	v_lshlrev_b32_e32 v2, 24, v0
	s_delay_alu instid0(VALU_DEP_2) | instskip(SKIP_1) | instid1(VALU_DEP_3)
	v_lshlrev_b32_e32 v3, 20, v146
	v_lshl_add_u32 v1, v1, 23, 0x3c000000
	v_and_b32_e32 v2, 0x80000000, v2
	s_delay_alu instid0(VALU_DEP_1) | instskip(NEXT) | instid1(VALU_DEP_1)
	v_or3_b32 v146, v3, v2, v1
	v_dual_mov_b32 v88, v146 :: v_dual_mov_b32 v89, v147
.LBB247_192:                            ;   in Loop: Header=BB247_10 Depth=1
	s_or_b32 exec_lo, exec_lo, s23
.LBB247_193:                            ;   in Loop: Header=BB247_10 Depth=1
	s_delay_alu instid0(SALU_CYCLE_1)
	s_or_b32 exec_lo, exec_lo, s18
.LBB247_194:                            ;   in Loop: Header=BB247_10 Depth=1
	s_delay_alu instid0(SALU_CYCLE_1) | instskip(SKIP_2) | instid1(VALU_DEP_1)
	s_or_b32 exec_lo, exec_lo, s3
	v_lshrrev_b16 v1, 8, v0
	s_mov_b32 s3, exec_lo
	v_cmpx_ne_u16_e32 0, v1
	s_cbranch_execz .LBB247_202
; %bb.195:                              ;   in Loop: Header=BB247_10 Depth=1
	v_dual_mov_b32 v79, s9 :: v_dual_mov_b32 v78, s8
	s_mov_b32 s23, exec_lo
	v_cmpx_ne_u16_e32 0x80, v1
	s_cbranch_execz .LBB247_201
; %bb.196:                              ;   in Loop: Header=BB247_10 Depth=1
	s_mov_b32 s18, s8
	v_and_b32_e32 v1, 0xffff, v1
	v_dual_mov_b32 v79, s19 :: v_dual_mov_b32 v78, s18
	s_mov_b32 s18, exec_lo
	s_delay_alu instid0(VALU_DEP_2) | instskip(NEXT) | instid1(VALU_DEP_1)
	v_and_b32_e32 v2, 0x7f, v1
	v_cmpx_ne_u32_e32 0x7f, v2
	s_cbranch_execz .LBB247_200
; %bb.197:                              ;   in Loop: Header=BB247_10 Depth=1
	v_and_b32_e32 v146, 7, v1
	v_lshrrev_b32_e32 v1, 3, v2
	s_mov_b32 s24, exec_lo
	v_cmpx_gt_u32_e32 8, v2
; %bb.198:                              ;   in Loop: Header=BB247_10 Depth=1
	s_delay_alu instid0(VALU_DEP_3) | instskip(NEXT) | instid1(VALU_DEP_1)
	v_clz_i32_u32_e32 v1, v146
	v_min_u32_e32 v1, 32, v1
	s_delay_alu instid0(VALU_DEP_1) | instskip(SKIP_1) | instid1(VALU_DEP_2)
	v_subrev_nc_u32_e32 v2, 28, v1
	v_sub_nc_u32_e32 v1, 29, v1
	v_lshlrev_b64 v[2:3], v2, v[146:147]
	s_delay_alu instid0(VALU_DEP_1)
	v_and_b32_e32 v146, 7, v2
; %bb.199:                              ;   in Loop: Header=BB247_10 Depth=1
	s_or_b32 exec_lo, exec_lo, s24
	v_lshlrev_b32_e32 v0, 16, v0
	s_delay_alu instid0(VALU_DEP_2) | instskip(SKIP_2) | instid1(VALU_DEP_4)
	v_lshlrev_b32_e32 v2, 20, v146
	v_lshl_add_u32 v1, v1, 23, 0x3c000000
	v_mov_b32_e32 v78, v147
	v_and_b32_e32 v0, 0x80000000, v0
	s_delay_alu instid0(VALU_DEP_1)
	v_or3_b32 v79, v2, v0, v1
.LBB247_200:                            ;   in Loop: Header=BB247_10 Depth=1
	s_or_b32 exec_lo, exec_lo, s18
.LBB247_201:                            ;   in Loop: Header=BB247_10 Depth=1
	s_delay_alu instid0(SALU_CYCLE_1)
	s_or_b32 exec_lo, exec_lo, s23
.LBB247_202:                            ;   in Loop: Header=BB247_10 Depth=1
	s_delay_alu instid0(SALU_CYCLE_1)
	s_or_b32 exec_lo, exec_lo, s3
	flat_load_u16 v0, v[160:161] offset:768
	v_mov_b32_e32 v90, 0
	v_mov_b32_e32 v91, 0
	s_mov_b32 s3, exec_lo
	s_waitcnt vmcnt(0) lgkmcnt(0)
	v_and_b32_e32 v1, 0xff, v0
	s_delay_alu instid0(VALU_DEP_2) | instskip(SKIP_1) | instid1(VALU_DEP_3)
	v_dual_mov_b32 v93, v91 :: v_dual_and_b32 v0, 0xffff, v0
	v_mov_b32_e32 v92, v90
	v_cmpx_ne_u16_e32 0, v1
	s_cbranch_execz .LBB247_210
; %bb.203:                              ;   in Loop: Header=BB247_10 Depth=1
	v_bfrev_b32_e32 v92, 1
	v_and_b32_e32 v1, 0xff, v0
	v_mov_b32_e32 v93, 0
	s_mov_b32 s18, exec_lo
	s_delay_alu instid0(VALU_DEP_2)
	v_cmpx_ne_u16_e32 0x80, v1
	s_cbranch_execz .LBB247_209
; %bb.204:                              ;   in Loop: Header=BB247_10 Depth=1
	v_mov_b32_e32 v92, 0x7f800001
	v_dual_mov_b32 v93, 0 :: v_dual_and_b32 v2, 0x7f, v0
	s_mov_b32 s23, exec_lo
	s_delay_alu instid0(VALU_DEP_1)
	v_cmpx_ne_u32_e32 0x7f, v2
	s_cbranch_execz .LBB247_208
; %bb.205:                              ;   in Loop: Header=BB247_10 Depth=1
	v_and_b32_e32 v146, 7, v0
	v_lshrrev_b32_e32 v1, 3, v2
	s_mov_b32 s24, exec_lo
	v_cmpx_gt_u32_e32 8, v2
; %bb.206:                              ;   in Loop: Header=BB247_10 Depth=1
	s_delay_alu instid0(VALU_DEP_3) | instskip(NEXT) | instid1(VALU_DEP_1)
	v_clz_i32_u32_e32 v1, v146
	v_min_u32_e32 v1, 32, v1
	s_delay_alu instid0(VALU_DEP_1) | instskip(SKIP_1) | instid1(VALU_DEP_2)
	v_subrev_nc_u32_e32 v2, 28, v1
	v_sub_nc_u32_e32 v1, 29, v1
	v_lshlrev_b64 v[2:3], v2, v[146:147]
	s_delay_alu instid0(VALU_DEP_1)
	v_and_b32_e32 v146, 7, v2
; %bb.207:                              ;   in Loop: Header=BB247_10 Depth=1
	s_or_b32 exec_lo, exec_lo, s24
	v_lshlrev_b32_e32 v2, 24, v0
	s_delay_alu instid0(VALU_DEP_2) | instskip(SKIP_1) | instid1(VALU_DEP_3)
	v_lshlrev_b32_e32 v3, 20, v146
	v_lshl_add_u32 v1, v1, 23, 0x3c000000
	v_and_b32_e32 v2, 0x80000000, v2
	s_delay_alu instid0(VALU_DEP_1) | instskip(NEXT) | instid1(VALU_DEP_1)
	v_or3_b32 v146, v3, v2, v1
	v_dual_mov_b32 v92, v146 :: v_dual_mov_b32 v93, v147
.LBB247_208:                            ;   in Loop: Header=BB247_10 Depth=1
	s_or_b32 exec_lo, exec_lo, s23
.LBB247_209:                            ;   in Loop: Header=BB247_10 Depth=1
	s_delay_alu instid0(SALU_CYCLE_1)
	s_or_b32 exec_lo, exec_lo, s18
.LBB247_210:                            ;   in Loop: Header=BB247_10 Depth=1
	s_delay_alu instid0(SALU_CYCLE_1) | instskip(SKIP_2) | instid1(VALU_DEP_1)
	s_or_b32 exec_lo, exec_lo, s3
	v_lshrrev_b16 v1, 8, v0
	s_mov_b32 s3, exec_lo
	v_cmpx_ne_u16_e32 0, v1
	s_cbranch_execz .LBB247_218
; %bb.211:                              ;   in Loop: Header=BB247_10 Depth=1
	v_dual_mov_b32 v91, s9 :: v_dual_mov_b32 v90, s8
	s_mov_b32 s23, exec_lo
	v_cmpx_ne_u16_e32 0x80, v1
	s_cbranch_execz .LBB247_217
; %bb.212:                              ;   in Loop: Header=BB247_10 Depth=1
	s_mov_b32 s18, s8
	v_and_b32_e32 v1, 0xffff, v1
	v_dual_mov_b32 v91, s19 :: v_dual_mov_b32 v90, s18
	s_mov_b32 s18, exec_lo
	s_delay_alu instid0(VALU_DEP_2) | instskip(NEXT) | instid1(VALU_DEP_1)
	v_and_b32_e32 v2, 0x7f, v1
	v_cmpx_ne_u32_e32 0x7f, v2
	s_cbranch_execz .LBB247_216
; %bb.213:                              ;   in Loop: Header=BB247_10 Depth=1
	v_and_b32_e32 v146, 7, v1
	v_lshrrev_b32_e32 v1, 3, v2
	s_mov_b32 s24, exec_lo
	v_cmpx_gt_u32_e32 8, v2
; %bb.214:                              ;   in Loop: Header=BB247_10 Depth=1
	s_delay_alu instid0(VALU_DEP_3) | instskip(NEXT) | instid1(VALU_DEP_1)
	v_clz_i32_u32_e32 v1, v146
	v_min_u32_e32 v1, 32, v1
	s_delay_alu instid0(VALU_DEP_1) | instskip(SKIP_1) | instid1(VALU_DEP_2)
	v_subrev_nc_u32_e32 v2, 28, v1
	v_sub_nc_u32_e32 v1, 29, v1
	v_lshlrev_b64 v[2:3], v2, v[146:147]
	s_delay_alu instid0(VALU_DEP_1)
	v_and_b32_e32 v146, 7, v2
; %bb.215:                              ;   in Loop: Header=BB247_10 Depth=1
	s_or_b32 exec_lo, exec_lo, s24
	v_lshlrev_b32_e32 v0, 16, v0
	s_delay_alu instid0(VALU_DEP_2) | instskip(SKIP_2) | instid1(VALU_DEP_4)
	v_lshlrev_b32_e32 v2, 20, v146
	v_lshl_add_u32 v1, v1, 23, 0x3c000000
	v_mov_b32_e32 v90, v147
	v_and_b32_e32 v0, 0x80000000, v0
	s_delay_alu instid0(VALU_DEP_1)
	v_or3_b32 v91, v2, v0, v1
.LBB247_216:                            ;   in Loop: Header=BB247_10 Depth=1
	s_or_b32 exec_lo, exec_lo, s18
.LBB247_217:                            ;   in Loop: Header=BB247_10 Depth=1
	s_delay_alu instid0(SALU_CYCLE_1)
	s_or_b32 exec_lo, exec_lo, s23
.LBB247_218:                            ;   in Loop: Header=BB247_10 Depth=1
	s_delay_alu instid0(SALU_CYCLE_1)
	s_or_b32 exec_lo, exec_lo, s3
	flat_load_u16 v0, v[160:161] offset:772
	v_mov_b32_e32 v94, 0
	v_mov_b32_e32 v95, 0
	s_mov_b32 s3, exec_lo
	s_waitcnt vmcnt(0) lgkmcnt(0)
	v_and_b32_e32 v1, 0xff, v0
	s_delay_alu instid0(VALU_DEP_2) | instskip(SKIP_1) | instid1(VALU_DEP_3)
	v_dual_mov_b32 v105, v95 :: v_dual_and_b32 v0, 0xffff, v0
	v_mov_b32_e32 v104, v94
	v_cmpx_ne_u16_e32 0, v1
	s_cbranch_execz .LBB247_226
; %bb.219:                              ;   in Loop: Header=BB247_10 Depth=1
	v_bfrev_b32_e32 v104, 1
	v_and_b32_e32 v1, 0xff, v0
	v_mov_b32_e32 v105, 0
	s_mov_b32 s18, exec_lo
	s_delay_alu instid0(VALU_DEP_2)
	v_cmpx_ne_u16_e32 0x80, v1
	s_cbranch_execz .LBB247_225
; %bb.220:                              ;   in Loop: Header=BB247_10 Depth=1
	v_mov_b32_e32 v104, 0x7f800001
	v_dual_mov_b32 v105, 0 :: v_dual_and_b32 v2, 0x7f, v0
	s_mov_b32 s23, exec_lo
	s_delay_alu instid0(VALU_DEP_1)
	v_cmpx_ne_u32_e32 0x7f, v2
	s_cbranch_execz .LBB247_224
; %bb.221:                              ;   in Loop: Header=BB247_10 Depth=1
	v_and_b32_e32 v146, 7, v0
	v_lshrrev_b32_e32 v1, 3, v2
	s_mov_b32 s24, exec_lo
	v_cmpx_gt_u32_e32 8, v2
; %bb.222:                              ;   in Loop: Header=BB247_10 Depth=1
	s_delay_alu instid0(VALU_DEP_3) | instskip(NEXT) | instid1(VALU_DEP_1)
	v_clz_i32_u32_e32 v1, v146
	v_min_u32_e32 v1, 32, v1
	s_delay_alu instid0(VALU_DEP_1) | instskip(SKIP_1) | instid1(VALU_DEP_2)
	v_subrev_nc_u32_e32 v2, 28, v1
	v_sub_nc_u32_e32 v1, 29, v1
	v_lshlrev_b64 v[2:3], v2, v[146:147]
	s_delay_alu instid0(VALU_DEP_1)
	v_and_b32_e32 v146, 7, v2
; %bb.223:                              ;   in Loop: Header=BB247_10 Depth=1
	s_or_b32 exec_lo, exec_lo, s24
	v_lshlrev_b32_e32 v2, 24, v0
	s_delay_alu instid0(VALU_DEP_2) | instskip(SKIP_1) | instid1(VALU_DEP_3)
	v_lshlrev_b32_e32 v3, 20, v146
	v_lshl_add_u32 v1, v1, 23, 0x3c000000
	v_and_b32_e32 v2, 0x80000000, v2
	s_delay_alu instid0(VALU_DEP_1) | instskip(NEXT) | instid1(VALU_DEP_1)
	v_or3_b32 v146, v3, v2, v1
	v_dual_mov_b32 v104, v146 :: v_dual_mov_b32 v105, v147
.LBB247_224:                            ;   in Loop: Header=BB247_10 Depth=1
	s_or_b32 exec_lo, exec_lo, s23
.LBB247_225:                            ;   in Loop: Header=BB247_10 Depth=1
	s_delay_alu instid0(SALU_CYCLE_1)
	s_or_b32 exec_lo, exec_lo, s18
.LBB247_226:                            ;   in Loop: Header=BB247_10 Depth=1
	s_delay_alu instid0(SALU_CYCLE_1) | instskip(SKIP_2) | instid1(VALU_DEP_1)
	s_or_b32 exec_lo, exec_lo, s3
	v_lshrrev_b16 v1, 8, v0
	s_mov_b32 s3, exec_lo
	v_cmpx_ne_u16_e32 0, v1
	s_cbranch_execz .LBB247_234
; %bb.227:                              ;   in Loop: Header=BB247_10 Depth=1
	v_dual_mov_b32 v95, s9 :: v_dual_mov_b32 v94, s8
	s_mov_b32 s23, exec_lo
	v_cmpx_ne_u16_e32 0x80, v1
	s_cbranch_execz .LBB247_233
; %bb.228:                              ;   in Loop: Header=BB247_10 Depth=1
	s_mov_b32 s18, s8
	v_and_b32_e32 v1, 0xffff, v1
	v_dual_mov_b32 v95, s19 :: v_dual_mov_b32 v94, s18
	s_mov_b32 s18, exec_lo
	s_delay_alu instid0(VALU_DEP_2) | instskip(NEXT) | instid1(VALU_DEP_1)
	v_and_b32_e32 v2, 0x7f, v1
	v_cmpx_ne_u32_e32 0x7f, v2
	s_cbranch_execz .LBB247_232
; %bb.229:                              ;   in Loop: Header=BB247_10 Depth=1
	v_and_b32_e32 v146, 7, v1
	v_lshrrev_b32_e32 v1, 3, v2
	s_mov_b32 s24, exec_lo
	v_cmpx_gt_u32_e32 8, v2
; %bb.230:                              ;   in Loop: Header=BB247_10 Depth=1
	s_delay_alu instid0(VALU_DEP_3) | instskip(NEXT) | instid1(VALU_DEP_1)
	v_clz_i32_u32_e32 v1, v146
	v_min_u32_e32 v1, 32, v1
	s_delay_alu instid0(VALU_DEP_1) | instskip(SKIP_1) | instid1(VALU_DEP_2)
	v_subrev_nc_u32_e32 v2, 28, v1
	v_sub_nc_u32_e32 v1, 29, v1
	v_lshlrev_b64 v[2:3], v2, v[146:147]
	s_delay_alu instid0(VALU_DEP_1)
	v_and_b32_e32 v146, 7, v2
; %bb.231:                              ;   in Loop: Header=BB247_10 Depth=1
	s_or_b32 exec_lo, exec_lo, s24
	v_lshlrev_b32_e32 v0, 16, v0
	s_delay_alu instid0(VALU_DEP_2) | instskip(SKIP_2) | instid1(VALU_DEP_4)
	v_lshlrev_b32_e32 v2, 20, v146
	v_lshl_add_u32 v1, v1, 23, 0x3c000000
	v_mov_b32_e32 v94, v147
	v_and_b32_e32 v0, 0x80000000, v0
	s_delay_alu instid0(VALU_DEP_1)
	v_or3_b32 v95, v2, v0, v1
.LBB247_232:                            ;   in Loop: Header=BB247_10 Depth=1
	s_or_b32 exec_lo, exec_lo, s18
.LBB247_233:                            ;   in Loop: Header=BB247_10 Depth=1
	s_delay_alu instid0(SALU_CYCLE_1)
	s_or_b32 exec_lo, exec_lo, s23
.LBB247_234:                            ;   in Loop: Header=BB247_10 Depth=1
	s_delay_alu instid0(SALU_CYCLE_1) | instskip(SKIP_1) | instid1(VALU_DEP_1)
	s_or_b32 exec_lo, exec_lo, s3
	v_add_co_u32 v0, s2, 0x300, v160
	v_add_co_ci_u32_e64 v1, s2, 0, v161, s2
	s_mov_b32 s3, exec_lo
	flat_load_u16 v2, v[0:1] offset:8
	v_mov_b32_e32 v106, 0
	v_mov_b32_e32 v107, 0
	s_waitcnt vmcnt(0) lgkmcnt(0)
	v_and_b32_e32 v3, 0xff, v2
	s_delay_alu instid0(VALU_DEP_2) | instskip(SKIP_1) | instid1(VALU_DEP_3)
	v_dual_mov_b32 v109, v107 :: v_dual_and_b32 v2, 0xffff, v2
	v_mov_b32_e32 v108, v106
	v_cmpx_ne_u16_e32 0, v3
	s_cbranch_execz .LBB247_242
; %bb.235:                              ;   in Loop: Header=BB247_10 Depth=1
	v_bfrev_b32_e32 v108, 1
	v_and_b32_e32 v3, 0xff, v2
	v_mov_b32_e32 v109, 0
	s_mov_b32 s18, exec_lo
	s_delay_alu instid0(VALU_DEP_2)
	v_cmpx_ne_u16_e32 0x80, v3
	s_cbranch_execz .LBB247_241
; %bb.236:                              ;   in Loop: Header=BB247_10 Depth=1
	v_mov_b32_e32 v108, 0x7f800001
	v_dual_mov_b32 v109, 0 :: v_dual_and_b32 v4, 0x7f, v2
	s_mov_b32 s23, exec_lo
	s_delay_alu instid0(VALU_DEP_1)
	v_cmpx_ne_u32_e32 0x7f, v4
	s_cbranch_execz .LBB247_240
; %bb.237:                              ;   in Loop: Header=BB247_10 Depth=1
	v_and_b32_e32 v146, 7, v2
	v_lshrrev_b32_e32 v3, 3, v4
	s_mov_b32 s24, exec_lo
	v_cmpx_gt_u32_e32 8, v4
; %bb.238:                              ;   in Loop: Header=BB247_10 Depth=1
	s_delay_alu instid0(VALU_DEP_3) | instskip(NEXT) | instid1(VALU_DEP_1)
	v_clz_i32_u32_e32 v3, v146
	v_min_u32_e32 v3, 32, v3
	s_delay_alu instid0(VALU_DEP_1) | instskip(SKIP_1) | instid1(VALU_DEP_2)
	v_subrev_nc_u32_e32 v4, 28, v3
	v_sub_nc_u32_e32 v3, 29, v3
	v_lshlrev_b64 v[4:5], v4, v[146:147]
	s_delay_alu instid0(VALU_DEP_1)
	v_and_b32_e32 v146, 7, v4
; %bb.239:                              ;   in Loop: Header=BB247_10 Depth=1
	s_or_b32 exec_lo, exec_lo, s24
	v_lshlrev_b32_e32 v4, 24, v2
	s_delay_alu instid0(VALU_DEP_2) | instskip(SKIP_1) | instid1(VALU_DEP_3)
	v_lshlrev_b32_e32 v5, 20, v146
	v_lshl_add_u32 v3, v3, 23, 0x3c000000
	v_and_b32_e32 v4, 0x80000000, v4
	s_delay_alu instid0(VALU_DEP_1) | instskip(NEXT) | instid1(VALU_DEP_1)
	v_or3_b32 v146, v5, v4, v3
	v_dual_mov_b32 v108, v146 :: v_dual_mov_b32 v109, v147
.LBB247_240:                            ;   in Loop: Header=BB247_10 Depth=1
	s_or_b32 exec_lo, exec_lo, s23
.LBB247_241:                            ;   in Loop: Header=BB247_10 Depth=1
	s_delay_alu instid0(SALU_CYCLE_1)
	s_or_b32 exec_lo, exec_lo, s18
.LBB247_242:                            ;   in Loop: Header=BB247_10 Depth=1
	s_delay_alu instid0(SALU_CYCLE_1) | instskip(SKIP_2) | instid1(VALU_DEP_1)
	s_or_b32 exec_lo, exec_lo, s3
	v_lshrrev_b16 v3, 8, v2
	s_mov_b32 s3, exec_lo
	v_cmpx_ne_u16_e32 0, v3
	s_cbranch_execz .LBB247_250
; %bb.243:                              ;   in Loop: Header=BB247_10 Depth=1
	v_dual_mov_b32 v107, s9 :: v_dual_mov_b32 v106, s8
	s_mov_b32 s23, exec_lo
	v_cmpx_ne_u16_e32 0x80, v3
	s_cbranch_execz .LBB247_249
; %bb.244:                              ;   in Loop: Header=BB247_10 Depth=1
	s_mov_b32 s18, s8
	v_and_b32_e32 v3, 0xffff, v3
	v_dual_mov_b32 v107, s19 :: v_dual_mov_b32 v106, s18
	s_mov_b32 s18, exec_lo
	s_delay_alu instid0(VALU_DEP_2) | instskip(NEXT) | instid1(VALU_DEP_1)
	v_and_b32_e32 v4, 0x7f, v3
	v_cmpx_ne_u32_e32 0x7f, v4
	s_cbranch_execz .LBB247_248
; %bb.245:                              ;   in Loop: Header=BB247_10 Depth=1
	v_and_b32_e32 v146, 7, v3
	v_lshrrev_b32_e32 v3, 3, v4
	s_mov_b32 s24, exec_lo
	v_cmpx_gt_u32_e32 8, v4
; %bb.246:                              ;   in Loop: Header=BB247_10 Depth=1
	s_delay_alu instid0(VALU_DEP_3) | instskip(NEXT) | instid1(VALU_DEP_1)
	v_clz_i32_u32_e32 v3, v146
	v_min_u32_e32 v3, 32, v3
	s_delay_alu instid0(VALU_DEP_1) | instskip(SKIP_1) | instid1(VALU_DEP_2)
	v_subrev_nc_u32_e32 v4, 28, v3
	v_sub_nc_u32_e32 v3, 29, v3
	v_lshlrev_b64 v[4:5], v4, v[146:147]
	s_delay_alu instid0(VALU_DEP_1)
	v_and_b32_e32 v146, 7, v4
; %bb.247:                              ;   in Loop: Header=BB247_10 Depth=1
	s_or_b32 exec_lo, exec_lo, s24
	v_lshlrev_b32_e32 v2, 16, v2
	s_delay_alu instid0(VALU_DEP_2) | instskip(SKIP_2) | instid1(VALU_DEP_4)
	v_lshlrev_b32_e32 v4, 20, v146
	v_lshl_add_u32 v3, v3, 23, 0x3c000000
	v_mov_b32_e32 v106, v147
	v_and_b32_e32 v2, 0x80000000, v2
	s_delay_alu instid0(VALU_DEP_1)
	v_or3_b32 v107, v4, v2, v3
.LBB247_248:                            ;   in Loop: Header=BB247_10 Depth=1
	s_or_b32 exec_lo, exec_lo, s18
.LBB247_249:                            ;   in Loop: Header=BB247_10 Depth=1
	s_delay_alu instid0(SALU_CYCLE_1)
	s_or_b32 exec_lo, exec_lo, s23
.LBB247_250:                            ;   in Loop: Header=BB247_10 Depth=1
	s_delay_alu instid0(SALU_CYCLE_1)
	s_or_b32 exec_lo, exec_lo, s3
	flat_load_u16 v0, v[0:1] offset:12
	v_mov_b32_e32 v110, 0
	v_mov_b32_e32 v111, 0
	s_mov_b32 s3, exec_lo
	s_waitcnt vmcnt(0) lgkmcnt(0)
	v_and_b32_e32 v1, 0xff, v0
	s_delay_alu instid0(VALU_DEP_2) | instskip(SKIP_1) | instid1(VALU_DEP_3)
	v_dual_mov_b32 v121, v111 :: v_dual_and_b32 v0, 0xffff, v0
	v_mov_b32_e32 v120, v110
	v_cmpx_ne_u16_e32 0, v1
	s_cbranch_execz .LBB247_258
; %bb.251:                              ;   in Loop: Header=BB247_10 Depth=1
	v_bfrev_b32_e32 v120, 1
	v_and_b32_e32 v1, 0xff, v0
	v_mov_b32_e32 v121, 0
	s_mov_b32 s18, exec_lo
	s_delay_alu instid0(VALU_DEP_2)
	v_cmpx_ne_u16_e32 0x80, v1
	s_cbranch_execz .LBB247_257
; %bb.252:                              ;   in Loop: Header=BB247_10 Depth=1
	v_mov_b32_e32 v120, 0x7f800001
	v_dual_mov_b32 v121, 0 :: v_dual_and_b32 v2, 0x7f, v0
	s_mov_b32 s23, exec_lo
	s_delay_alu instid0(VALU_DEP_1)
	v_cmpx_ne_u32_e32 0x7f, v2
	s_cbranch_execz .LBB247_256
; %bb.253:                              ;   in Loop: Header=BB247_10 Depth=1
	v_and_b32_e32 v146, 7, v0
	v_lshrrev_b32_e32 v1, 3, v2
	s_mov_b32 s24, exec_lo
	v_cmpx_gt_u32_e32 8, v2
; %bb.254:                              ;   in Loop: Header=BB247_10 Depth=1
	s_delay_alu instid0(VALU_DEP_3) | instskip(NEXT) | instid1(VALU_DEP_1)
	v_clz_i32_u32_e32 v1, v146
	v_min_u32_e32 v1, 32, v1
	s_delay_alu instid0(VALU_DEP_1) | instskip(SKIP_1) | instid1(VALU_DEP_2)
	v_subrev_nc_u32_e32 v2, 28, v1
	v_sub_nc_u32_e32 v1, 29, v1
	v_lshlrev_b64 v[2:3], v2, v[146:147]
	s_delay_alu instid0(VALU_DEP_1)
	v_and_b32_e32 v146, 7, v2
; %bb.255:                              ;   in Loop: Header=BB247_10 Depth=1
	s_or_b32 exec_lo, exec_lo, s24
	v_lshlrev_b32_e32 v2, 24, v0
	s_delay_alu instid0(VALU_DEP_2) | instskip(SKIP_1) | instid1(VALU_DEP_3)
	v_lshlrev_b32_e32 v3, 20, v146
	v_lshl_add_u32 v1, v1, 23, 0x3c000000
	v_and_b32_e32 v2, 0x80000000, v2
	s_delay_alu instid0(VALU_DEP_1) | instskip(NEXT) | instid1(VALU_DEP_1)
	v_or3_b32 v146, v3, v2, v1
	v_dual_mov_b32 v120, v146 :: v_dual_mov_b32 v121, v147
.LBB247_256:                            ;   in Loop: Header=BB247_10 Depth=1
	s_or_b32 exec_lo, exec_lo, s23
.LBB247_257:                            ;   in Loop: Header=BB247_10 Depth=1
	s_delay_alu instid0(SALU_CYCLE_1)
	s_or_b32 exec_lo, exec_lo, s18
.LBB247_258:                            ;   in Loop: Header=BB247_10 Depth=1
	s_delay_alu instid0(SALU_CYCLE_1) | instskip(SKIP_2) | instid1(VALU_DEP_1)
	s_or_b32 exec_lo, exec_lo, s3
	v_lshrrev_b16 v1, 8, v0
	s_mov_b32 s3, exec_lo
	v_cmpx_ne_u16_e32 0, v1
	s_cbranch_execz .LBB247_266
; %bb.259:                              ;   in Loop: Header=BB247_10 Depth=1
	v_dual_mov_b32 v111, s9 :: v_dual_mov_b32 v110, s8
	s_mov_b32 s23, exec_lo
	v_cmpx_ne_u16_e32 0x80, v1
	s_cbranch_execz .LBB247_265
; %bb.260:                              ;   in Loop: Header=BB247_10 Depth=1
	s_mov_b32 s18, s8
	v_and_b32_e32 v1, 0xffff, v1
	v_dual_mov_b32 v111, s19 :: v_dual_mov_b32 v110, s18
	s_mov_b32 s18, exec_lo
	s_delay_alu instid0(VALU_DEP_2) | instskip(NEXT) | instid1(VALU_DEP_1)
	v_and_b32_e32 v2, 0x7f, v1
	v_cmpx_ne_u32_e32 0x7f, v2
	s_cbranch_execz .LBB247_264
; %bb.261:                              ;   in Loop: Header=BB247_10 Depth=1
	v_and_b32_e32 v146, 7, v1
	v_lshrrev_b32_e32 v1, 3, v2
	s_mov_b32 s24, exec_lo
	v_cmpx_gt_u32_e32 8, v2
; %bb.262:                              ;   in Loop: Header=BB247_10 Depth=1
	s_delay_alu instid0(VALU_DEP_3) | instskip(NEXT) | instid1(VALU_DEP_1)
	v_clz_i32_u32_e32 v1, v146
	v_min_u32_e32 v1, 32, v1
	s_delay_alu instid0(VALU_DEP_1) | instskip(SKIP_1) | instid1(VALU_DEP_2)
	v_subrev_nc_u32_e32 v2, 28, v1
	v_sub_nc_u32_e32 v1, 29, v1
	v_lshlrev_b64 v[2:3], v2, v[146:147]
	s_delay_alu instid0(VALU_DEP_1)
	v_and_b32_e32 v146, 7, v2
; %bb.263:                              ;   in Loop: Header=BB247_10 Depth=1
	s_or_b32 exec_lo, exec_lo, s24
	v_lshlrev_b32_e32 v0, 16, v0
	s_delay_alu instid0(VALU_DEP_2) | instskip(SKIP_2) | instid1(VALU_DEP_4)
	v_lshlrev_b32_e32 v2, 20, v146
	v_lshl_add_u32 v1, v1, 23, 0x3c000000
	v_mov_b32_e32 v110, v147
	v_and_b32_e32 v0, 0x80000000, v0
	s_delay_alu instid0(VALU_DEP_1)
	v_or3_b32 v111, v2, v0, v1
.LBB247_264:                            ;   in Loop: Header=BB247_10 Depth=1
	s_or_b32 exec_lo, exec_lo, s18
.LBB247_265:                            ;   in Loop: Header=BB247_10 Depth=1
	s_delay_alu instid0(SALU_CYCLE_1)
	s_or_b32 exec_lo, exec_lo, s23
.LBB247_266:                            ;   in Loop: Header=BB247_10 Depth=1
	s_delay_alu instid0(SALU_CYCLE_1)
	s_or_b32 exec_lo, exec_lo, s3
	flat_load_u16 v0, v[160:161] offset:1024
	v_mov_b32_e32 v122, 0
	v_mov_b32_e32 v123, 0
	s_mov_b32 s3, exec_lo
	s_waitcnt vmcnt(0) lgkmcnt(0)
	v_and_b32_e32 v1, 0xff, v0
	s_delay_alu instid0(VALU_DEP_2) | instskip(SKIP_1) | instid1(VALU_DEP_3)
	v_dual_mov_b32 v125, v123 :: v_dual_and_b32 v0, 0xffff, v0
	v_mov_b32_e32 v124, v122
	v_cmpx_ne_u16_e32 0, v1
	s_cbranch_execz .LBB247_274
; %bb.267:                              ;   in Loop: Header=BB247_10 Depth=1
	v_bfrev_b32_e32 v124, 1
	v_and_b32_e32 v1, 0xff, v0
	v_mov_b32_e32 v125, 0
	s_mov_b32 s18, exec_lo
	s_delay_alu instid0(VALU_DEP_2)
	v_cmpx_ne_u16_e32 0x80, v1
	s_cbranch_execz .LBB247_273
; %bb.268:                              ;   in Loop: Header=BB247_10 Depth=1
	v_mov_b32_e32 v124, 0x7f800001
	v_dual_mov_b32 v125, 0 :: v_dual_and_b32 v2, 0x7f, v0
	s_mov_b32 s23, exec_lo
	s_delay_alu instid0(VALU_DEP_1)
	v_cmpx_ne_u32_e32 0x7f, v2
	s_cbranch_execz .LBB247_272
; %bb.269:                              ;   in Loop: Header=BB247_10 Depth=1
	v_and_b32_e32 v146, 7, v0
	v_lshrrev_b32_e32 v1, 3, v2
	s_mov_b32 s24, exec_lo
	v_cmpx_gt_u32_e32 8, v2
; %bb.270:                              ;   in Loop: Header=BB247_10 Depth=1
	s_delay_alu instid0(VALU_DEP_3) | instskip(NEXT) | instid1(VALU_DEP_1)
	v_clz_i32_u32_e32 v1, v146
	v_min_u32_e32 v1, 32, v1
	s_delay_alu instid0(VALU_DEP_1) | instskip(SKIP_1) | instid1(VALU_DEP_2)
	v_subrev_nc_u32_e32 v2, 28, v1
	v_sub_nc_u32_e32 v1, 29, v1
	v_lshlrev_b64 v[2:3], v2, v[146:147]
	s_delay_alu instid0(VALU_DEP_1)
	v_and_b32_e32 v146, 7, v2
; %bb.271:                              ;   in Loop: Header=BB247_10 Depth=1
	s_or_b32 exec_lo, exec_lo, s24
	v_lshlrev_b32_e32 v2, 24, v0
	s_delay_alu instid0(VALU_DEP_2) | instskip(SKIP_1) | instid1(VALU_DEP_3)
	v_lshlrev_b32_e32 v3, 20, v146
	v_lshl_add_u32 v1, v1, 23, 0x3c000000
	v_and_b32_e32 v2, 0x80000000, v2
	s_delay_alu instid0(VALU_DEP_1) | instskip(NEXT) | instid1(VALU_DEP_1)
	v_or3_b32 v146, v3, v2, v1
	v_dual_mov_b32 v124, v146 :: v_dual_mov_b32 v125, v147
.LBB247_272:                            ;   in Loop: Header=BB247_10 Depth=1
	s_or_b32 exec_lo, exec_lo, s23
.LBB247_273:                            ;   in Loop: Header=BB247_10 Depth=1
	s_delay_alu instid0(SALU_CYCLE_1)
	s_or_b32 exec_lo, exec_lo, s18
.LBB247_274:                            ;   in Loop: Header=BB247_10 Depth=1
	s_delay_alu instid0(SALU_CYCLE_1) | instskip(SKIP_2) | instid1(VALU_DEP_1)
	s_or_b32 exec_lo, exec_lo, s3
	v_lshrrev_b16 v1, 8, v0
	s_mov_b32 s3, exec_lo
	v_cmpx_ne_u16_e32 0, v1
	s_cbranch_execz .LBB247_282
; %bb.275:                              ;   in Loop: Header=BB247_10 Depth=1
	v_dual_mov_b32 v123, s9 :: v_dual_mov_b32 v122, s8
	s_mov_b32 s23, exec_lo
	v_cmpx_ne_u16_e32 0x80, v1
	s_cbranch_execz .LBB247_281
; %bb.276:                              ;   in Loop: Header=BB247_10 Depth=1
	s_mov_b32 s18, s8
	v_and_b32_e32 v1, 0xffff, v1
	v_dual_mov_b32 v123, s19 :: v_dual_mov_b32 v122, s18
	s_mov_b32 s18, exec_lo
	s_delay_alu instid0(VALU_DEP_2) | instskip(NEXT) | instid1(VALU_DEP_1)
	v_and_b32_e32 v2, 0x7f, v1
	v_cmpx_ne_u32_e32 0x7f, v2
	s_cbranch_execz .LBB247_280
; %bb.277:                              ;   in Loop: Header=BB247_10 Depth=1
	v_and_b32_e32 v146, 7, v1
	v_lshrrev_b32_e32 v1, 3, v2
	s_mov_b32 s24, exec_lo
	v_cmpx_gt_u32_e32 8, v2
; %bb.278:                              ;   in Loop: Header=BB247_10 Depth=1
	s_delay_alu instid0(VALU_DEP_3) | instskip(NEXT) | instid1(VALU_DEP_1)
	v_clz_i32_u32_e32 v1, v146
	v_min_u32_e32 v1, 32, v1
	s_delay_alu instid0(VALU_DEP_1) | instskip(SKIP_1) | instid1(VALU_DEP_2)
	v_subrev_nc_u32_e32 v2, 28, v1
	v_sub_nc_u32_e32 v1, 29, v1
	v_lshlrev_b64 v[2:3], v2, v[146:147]
	s_delay_alu instid0(VALU_DEP_1)
	v_and_b32_e32 v146, 7, v2
; %bb.279:                              ;   in Loop: Header=BB247_10 Depth=1
	s_or_b32 exec_lo, exec_lo, s24
	v_lshlrev_b32_e32 v0, 16, v0
	s_delay_alu instid0(VALU_DEP_2) | instskip(SKIP_2) | instid1(VALU_DEP_4)
	v_lshlrev_b32_e32 v2, 20, v146
	v_lshl_add_u32 v1, v1, 23, 0x3c000000
	v_mov_b32_e32 v122, v147
	v_and_b32_e32 v0, 0x80000000, v0
	s_delay_alu instid0(VALU_DEP_1)
	v_or3_b32 v123, v2, v0, v1
.LBB247_280:                            ;   in Loop: Header=BB247_10 Depth=1
	s_or_b32 exec_lo, exec_lo, s18
.LBB247_281:                            ;   in Loop: Header=BB247_10 Depth=1
	s_delay_alu instid0(SALU_CYCLE_1)
	s_or_b32 exec_lo, exec_lo, s23
.LBB247_282:                            ;   in Loop: Header=BB247_10 Depth=1
	s_delay_alu instid0(SALU_CYCLE_1)
	s_or_b32 exec_lo, exec_lo, s3
	flat_load_u16 v0, v[160:161] offset:1028
	v_mov_b32_e32 v126, 0
	v_mov_b32_e32 v127, 0
	s_mov_b32 s3, exec_lo
	s_waitcnt vmcnt(0) lgkmcnt(0)
	v_and_b32_e32 v1, 0xff, v0
	s_delay_alu instid0(VALU_DEP_2) | instskip(SKIP_1) | instid1(VALU_DEP_3)
	v_dual_mov_b32 v137, v127 :: v_dual_and_b32 v0, 0xffff, v0
	v_mov_b32_e32 v136, v126
	v_cmpx_ne_u16_e32 0, v1
	s_cbranch_execz .LBB247_290
; %bb.283:                              ;   in Loop: Header=BB247_10 Depth=1
	v_bfrev_b32_e32 v136, 1
	v_and_b32_e32 v1, 0xff, v0
	v_mov_b32_e32 v137, 0
	s_mov_b32 s18, exec_lo
	s_delay_alu instid0(VALU_DEP_2)
	v_cmpx_ne_u16_e32 0x80, v1
	s_cbranch_execz .LBB247_289
; %bb.284:                              ;   in Loop: Header=BB247_10 Depth=1
	v_mov_b32_e32 v136, 0x7f800001
	v_dual_mov_b32 v137, 0 :: v_dual_and_b32 v2, 0x7f, v0
	s_mov_b32 s23, exec_lo
	s_delay_alu instid0(VALU_DEP_1)
	v_cmpx_ne_u32_e32 0x7f, v2
	s_cbranch_execz .LBB247_288
; %bb.285:                              ;   in Loop: Header=BB247_10 Depth=1
	v_and_b32_e32 v146, 7, v0
	v_lshrrev_b32_e32 v1, 3, v2
	s_mov_b32 s24, exec_lo
	v_cmpx_gt_u32_e32 8, v2
; %bb.286:                              ;   in Loop: Header=BB247_10 Depth=1
	s_delay_alu instid0(VALU_DEP_3) | instskip(NEXT) | instid1(VALU_DEP_1)
	v_clz_i32_u32_e32 v1, v146
	v_min_u32_e32 v1, 32, v1
	s_delay_alu instid0(VALU_DEP_1) | instskip(SKIP_1) | instid1(VALU_DEP_2)
	v_subrev_nc_u32_e32 v2, 28, v1
	v_sub_nc_u32_e32 v1, 29, v1
	v_lshlrev_b64 v[2:3], v2, v[146:147]
	s_delay_alu instid0(VALU_DEP_1)
	v_and_b32_e32 v146, 7, v2
; %bb.287:                              ;   in Loop: Header=BB247_10 Depth=1
	s_or_b32 exec_lo, exec_lo, s24
	v_lshlrev_b32_e32 v2, 24, v0
	s_delay_alu instid0(VALU_DEP_2) | instskip(SKIP_1) | instid1(VALU_DEP_3)
	v_lshlrev_b32_e32 v3, 20, v146
	v_lshl_add_u32 v1, v1, 23, 0x3c000000
	v_and_b32_e32 v2, 0x80000000, v2
	s_delay_alu instid0(VALU_DEP_1) | instskip(NEXT) | instid1(VALU_DEP_1)
	v_or3_b32 v146, v3, v2, v1
	v_dual_mov_b32 v136, v146 :: v_dual_mov_b32 v137, v147
.LBB247_288:                            ;   in Loop: Header=BB247_10 Depth=1
	s_or_b32 exec_lo, exec_lo, s23
.LBB247_289:                            ;   in Loop: Header=BB247_10 Depth=1
	s_delay_alu instid0(SALU_CYCLE_1)
	s_or_b32 exec_lo, exec_lo, s18
.LBB247_290:                            ;   in Loop: Header=BB247_10 Depth=1
	s_delay_alu instid0(SALU_CYCLE_1) | instskip(SKIP_2) | instid1(VALU_DEP_1)
	s_or_b32 exec_lo, exec_lo, s3
	v_lshrrev_b16 v1, 8, v0
	s_mov_b32 s3, exec_lo
	v_cmpx_ne_u16_e32 0, v1
	s_cbranch_execz .LBB247_298
; %bb.291:                              ;   in Loop: Header=BB247_10 Depth=1
	v_dual_mov_b32 v127, s9 :: v_dual_mov_b32 v126, s8
	s_mov_b32 s23, exec_lo
	v_cmpx_ne_u16_e32 0x80, v1
	s_cbranch_execz .LBB247_297
; %bb.292:                              ;   in Loop: Header=BB247_10 Depth=1
	s_mov_b32 s18, s8
	v_and_b32_e32 v1, 0xffff, v1
	v_dual_mov_b32 v127, s19 :: v_dual_mov_b32 v126, s18
	s_mov_b32 s18, exec_lo
	s_delay_alu instid0(VALU_DEP_2) | instskip(NEXT) | instid1(VALU_DEP_1)
	v_and_b32_e32 v2, 0x7f, v1
	v_cmpx_ne_u32_e32 0x7f, v2
	s_cbranch_execz .LBB247_296
; %bb.293:                              ;   in Loop: Header=BB247_10 Depth=1
	v_and_b32_e32 v146, 7, v1
	v_lshrrev_b32_e32 v1, 3, v2
	s_mov_b32 s24, exec_lo
	v_cmpx_gt_u32_e32 8, v2
; %bb.294:                              ;   in Loop: Header=BB247_10 Depth=1
	s_delay_alu instid0(VALU_DEP_3) | instskip(NEXT) | instid1(VALU_DEP_1)
	v_clz_i32_u32_e32 v1, v146
	v_min_u32_e32 v1, 32, v1
	s_delay_alu instid0(VALU_DEP_1) | instskip(SKIP_1) | instid1(VALU_DEP_2)
	v_subrev_nc_u32_e32 v2, 28, v1
	v_sub_nc_u32_e32 v1, 29, v1
	v_lshlrev_b64 v[2:3], v2, v[146:147]
	s_delay_alu instid0(VALU_DEP_1)
	v_and_b32_e32 v146, 7, v2
; %bb.295:                              ;   in Loop: Header=BB247_10 Depth=1
	s_or_b32 exec_lo, exec_lo, s24
	v_lshlrev_b32_e32 v0, 16, v0
	s_delay_alu instid0(VALU_DEP_2) | instskip(SKIP_2) | instid1(VALU_DEP_4)
	v_lshlrev_b32_e32 v2, 20, v146
	v_lshl_add_u32 v1, v1, 23, 0x3c000000
	v_mov_b32_e32 v126, v147
	v_and_b32_e32 v0, 0x80000000, v0
	s_delay_alu instid0(VALU_DEP_1)
	v_or3_b32 v127, v2, v0, v1
.LBB247_296:                            ;   in Loop: Header=BB247_10 Depth=1
	s_or_b32 exec_lo, exec_lo, s18
.LBB247_297:                            ;   in Loop: Header=BB247_10 Depth=1
	s_delay_alu instid0(SALU_CYCLE_1)
	s_or_b32 exec_lo, exec_lo, s23
.LBB247_298:                            ;   in Loop: Header=BB247_10 Depth=1
	s_delay_alu instid0(SALU_CYCLE_1) | instskip(SKIP_1) | instid1(VALU_DEP_1)
	s_or_b32 exec_lo, exec_lo, s3
	v_add_co_u32 v0, s2, 0x400, v160
	v_add_co_ci_u32_e64 v1, s2, 0, v161, s2
	s_mov_b32 s3, exec_lo
	flat_load_u16 v2, v[0:1] offset:8
	v_mov_b32_e32 v138, 0
	v_mov_b32_e32 v139, 0
	s_waitcnt vmcnt(0) lgkmcnt(0)
	v_and_b32_e32 v3, 0xff, v2
	s_delay_alu instid0(VALU_DEP_2) | instskip(SKIP_1) | instid1(VALU_DEP_3)
	v_dual_mov_b32 v141, v139 :: v_dual_and_b32 v2, 0xffff, v2
	v_mov_b32_e32 v140, v138
	v_cmpx_ne_u16_e32 0, v3
	s_cbranch_execz .LBB247_306
; %bb.299:                              ;   in Loop: Header=BB247_10 Depth=1
	v_bfrev_b32_e32 v140, 1
	v_and_b32_e32 v3, 0xff, v2
	v_mov_b32_e32 v141, 0
	s_mov_b32 s18, exec_lo
	s_delay_alu instid0(VALU_DEP_2)
	v_cmpx_ne_u16_e32 0x80, v3
	s_cbranch_execz .LBB247_305
; %bb.300:                              ;   in Loop: Header=BB247_10 Depth=1
	v_mov_b32_e32 v140, 0x7f800001
	v_dual_mov_b32 v141, 0 :: v_dual_and_b32 v4, 0x7f, v2
	s_mov_b32 s23, exec_lo
	s_delay_alu instid0(VALU_DEP_1)
	v_cmpx_ne_u32_e32 0x7f, v4
	s_cbranch_execz .LBB247_304
; %bb.301:                              ;   in Loop: Header=BB247_10 Depth=1
	v_and_b32_e32 v146, 7, v2
	v_lshrrev_b32_e32 v3, 3, v4
	s_mov_b32 s24, exec_lo
	v_cmpx_gt_u32_e32 8, v4
; %bb.302:                              ;   in Loop: Header=BB247_10 Depth=1
	s_delay_alu instid0(VALU_DEP_3) | instskip(NEXT) | instid1(VALU_DEP_1)
	v_clz_i32_u32_e32 v3, v146
	v_min_u32_e32 v3, 32, v3
	s_delay_alu instid0(VALU_DEP_1) | instskip(SKIP_1) | instid1(VALU_DEP_2)
	v_subrev_nc_u32_e32 v4, 28, v3
	v_sub_nc_u32_e32 v3, 29, v3
	v_lshlrev_b64 v[4:5], v4, v[146:147]
	s_delay_alu instid0(VALU_DEP_1)
	v_and_b32_e32 v146, 7, v4
; %bb.303:                              ;   in Loop: Header=BB247_10 Depth=1
	s_or_b32 exec_lo, exec_lo, s24
	v_lshlrev_b32_e32 v4, 24, v2
	s_delay_alu instid0(VALU_DEP_2) | instskip(SKIP_1) | instid1(VALU_DEP_3)
	v_lshlrev_b32_e32 v5, 20, v146
	v_lshl_add_u32 v3, v3, 23, 0x3c000000
	v_and_b32_e32 v4, 0x80000000, v4
	s_delay_alu instid0(VALU_DEP_1) | instskip(NEXT) | instid1(VALU_DEP_1)
	v_or3_b32 v146, v5, v4, v3
	v_dual_mov_b32 v140, v146 :: v_dual_mov_b32 v141, v147
.LBB247_304:                            ;   in Loop: Header=BB247_10 Depth=1
	s_or_b32 exec_lo, exec_lo, s23
.LBB247_305:                            ;   in Loop: Header=BB247_10 Depth=1
	s_delay_alu instid0(SALU_CYCLE_1)
	s_or_b32 exec_lo, exec_lo, s18
.LBB247_306:                            ;   in Loop: Header=BB247_10 Depth=1
	s_delay_alu instid0(SALU_CYCLE_1) | instskip(SKIP_2) | instid1(VALU_DEP_1)
	s_or_b32 exec_lo, exec_lo, s3
	v_lshrrev_b16 v3, 8, v2
	s_mov_b32 s3, exec_lo
	v_cmpx_ne_u16_e32 0, v3
	s_cbranch_execz .LBB247_314
; %bb.307:                              ;   in Loop: Header=BB247_10 Depth=1
	v_dual_mov_b32 v139, s9 :: v_dual_mov_b32 v138, s8
	s_mov_b32 s23, exec_lo
	v_cmpx_ne_u16_e32 0x80, v3
	s_cbranch_execz .LBB247_313
; %bb.308:                              ;   in Loop: Header=BB247_10 Depth=1
	s_mov_b32 s18, s8
	v_and_b32_e32 v3, 0xffff, v3
	v_dual_mov_b32 v139, s19 :: v_dual_mov_b32 v138, s18
	s_mov_b32 s18, exec_lo
	s_delay_alu instid0(VALU_DEP_2) | instskip(NEXT) | instid1(VALU_DEP_1)
	v_and_b32_e32 v4, 0x7f, v3
	v_cmpx_ne_u32_e32 0x7f, v4
	s_cbranch_execz .LBB247_312
; %bb.309:                              ;   in Loop: Header=BB247_10 Depth=1
	v_and_b32_e32 v146, 7, v3
	v_lshrrev_b32_e32 v3, 3, v4
	s_mov_b32 s24, exec_lo
	v_cmpx_gt_u32_e32 8, v4
; %bb.310:                              ;   in Loop: Header=BB247_10 Depth=1
	s_delay_alu instid0(VALU_DEP_3) | instskip(NEXT) | instid1(VALU_DEP_1)
	v_clz_i32_u32_e32 v3, v146
	v_min_u32_e32 v3, 32, v3
	s_delay_alu instid0(VALU_DEP_1) | instskip(SKIP_1) | instid1(VALU_DEP_2)
	v_subrev_nc_u32_e32 v4, 28, v3
	v_sub_nc_u32_e32 v3, 29, v3
	v_lshlrev_b64 v[4:5], v4, v[146:147]
	s_delay_alu instid0(VALU_DEP_1)
	v_and_b32_e32 v146, 7, v4
; %bb.311:                              ;   in Loop: Header=BB247_10 Depth=1
	s_or_b32 exec_lo, exec_lo, s24
	v_lshlrev_b32_e32 v2, 16, v2
	s_delay_alu instid0(VALU_DEP_2) | instskip(SKIP_2) | instid1(VALU_DEP_4)
	v_lshlrev_b32_e32 v4, 20, v146
	v_lshl_add_u32 v3, v3, 23, 0x3c000000
	v_mov_b32_e32 v138, v147
	v_and_b32_e32 v2, 0x80000000, v2
	s_delay_alu instid0(VALU_DEP_1)
	v_or3_b32 v139, v4, v2, v3
.LBB247_312:                            ;   in Loop: Header=BB247_10 Depth=1
	s_or_b32 exec_lo, exec_lo, s18
.LBB247_313:                            ;   in Loop: Header=BB247_10 Depth=1
	s_delay_alu instid0(SALU_CYCLE_1)
	s_or_b32 exec_lo, exec_lo, s23
.LBB247_314:                            ;   in Loop: Header=BB247_10 Depth=1
	s_delay_alu instid0(SALU_CYCLE_1)
	s_or_b32 exec_lo, exec_lo, s3
	flat_load_u16 v0, v[0:1] offset:12
	v_mov_b32_e32 v142, 0
	v_mov_b32_e32 v143, 0
	s_mov_b32 s3, exec_lo
	s_waitcnt vmcnt(0) lgkmcnt(0)
	v_and_b32_e32 v1, 0xff, v0
	s_delay_alu instid0(VALU_DEP_2) | instskip(SKIP_1) | instid1(VALU_DEP_3)
	v_dual_mov_b32 v153, v143 :: v_dual_and_b32 v0, 0xffff, v0
	v_mov_b32_e32 v152, v142
	v_cmpx_ne_u16_e32 0, v1
	s_cbranch_execz .LBB247_322
; %bb.315:                              ;   in Loop: Header=BB247_10 Depth=1
	v_bfrev_b32_e32 v152, 1
	v_and_b32_e32 v1, 0xff, v0
	v_mov_b32_e32 v153, 0
	s_mov_b32 s18, exec_lo
	s_delay_alu instid0(VALU_DEP_2)
	v_cmpx_ne_u16_e32 0x80, v1
	s_cbranch_execz .LBB247_321
; %bb.316:                              ;   in Loop: Header=BB247_10 Depth=1
	v_mov_b32_e32 v152, 0x7f800001
	v_dual_mov_b32 v153, 0 :: v_dual_and_b32 v2, 0x7f, v0
	s_mov_b32 s23, exec_lo
	s_delay_alu instid0(VALU_DEP_1)
	v_cmpx_ne_u32_e32 0x7f, v2
	s_cbranch_execz .LBB247_320
; %bb.317:                              ;   in Loop: Header=BB247_10 Depth=1
	v_and_b32_e32 v146, 7, v0
	v_lshrrev_b32_e32 v1, 3, v2
	s_mov_b32 s24, exec_lo
	v_cmpx_gt_u32_e32 8, v2
; %bb.318:                              ;   in Loop: Header=BB247_10 Depth=1
	s_delay_alu instid0(VALU_DEP_3) | instskip(NEXT) | instid1(VALU_DEP_1)
	v_clz_i32_u32_e32 v1, v146
	v_min_u32_e32 v1, 32, v1
	s_delay_alu instid0(VALU_DEP_1) | instskip(SKIP_1) | instid1(VALU_DEP_2)
	v_subrev_nc_u32_e32 v2, 28, v1
	v_sub_nc_u32_e32 v1, 29, v1
	v_lshlrev_b64 v[2:3], v2, v[146:147]
	s_delay_alu instid0(VALU_DEP_1)
	v_and_b32_e32 v146, 7, v2
; %bb.319:                              ;   in Loop: Header=BB247_10 Depth=1
	s_or_b32 exec_lo, exec_lo, s24
	v_lshlrev_b32_e32 v2, 24, v0
	s_delay_alu instid0(VALU_DEP_2) | instskip(SKIP_1) | instid1(VALU_DEP_3)
	v_lshlrev_b32_e32 v3, 20, v146
	v_lshl_add_u32 v1, v1, 23, 0x3c000000
	v_and_b32_e32 v2, 0x80000000, v2
	s_delay_alu instid0(VALU_DEP_1) | instskip(NEXT) | instid1(VALU_DEP_1)
	v_or3_b32 v146, v3, v2, v1
	v_dual_mov_b32 v153, v147 :: v_dual_mov_b32 v152, v146
.LBB247_320:                            ;   in Loop: Header=BB247_10 Depth=1
	s_or_b32 exec_lo, exec_lo, s23
.LBB247_321:                            ;   in Loop: Header=BB247_10 Depth=1
	s_delay_alu instid0(SALU_CYCLE_1)
	s_or_b32 exec_lo, exec_lo, s18
.LBB247_322:                            ;   in Loop: Header=BB247_10 Depth=1
	s_delay_alu instid0(SALU_CYCLE_1) | instskip(SKIP_2) | instid1(VALU_DEP_1)
	s_or_b32 exec_lo, exec_lo, s3
	v_lshrrev_b16 v1, 8, v0
	s_mov_b32 s3, exec_lo
	v_cmpx_ne_u16_e32 0, v1
	s_cbranch_execz .LBB247_330
; %bb.323:                              ;   in Loop: Header=BB247_10 Depth=1
	v_dual_mov_b32 v143, s9 :: v_dual_mov_b32 v142, s8
	s_mov_b32 s23, exec_lo
	v_cmpx_ne_u16_e32 0x80, v1
	s_cbranch_execz .LBB247_329
; %bb.324:                              ;   in Loop: Header=BB247_10 Depth=1
	s_mov_b32 s18, s8
	v_and_b32_e32 v1, 0xffff, v1
	v_dual_mov_b32 v143, s19 :: v_dual_mov_b32 v142, s18
	s_mov_b32 s18, exec_lo
	s_delay_alu instid0(VALU_DEP_2) | instskip(NEXT) | instid1(VALU_DEP_1)
	v_and_b32_e32 v2, 0x7f, v1
	v_cmpx_ne_u32_e32 0x7f, v2
	s_cbranch_execz .LBB247_328
; %bb.325:                              ;   in Loop: Header=BB247_10 Depth=1
	v_and_b32_e32 v146, 7, v1
	v_lshrrev_b32_e32 v1, 3, v2
	s_mov_b32 s24, exec_lo
	v_cmpx_gt_u32_e32 8, v2
; %bb.326:                              ;   in Loop: Header=BB247_10 Depth=1
	s_delay_alu instid0(VALU_DEP_3) | instskip(NEXT) | instid1(VALU_DEP_1)
	v_clz_i32_u32_e32 v1, v146
	v_min_u32_e32 v1, 32, v1
	s_delay_alu instid0(VALU_DEP_1) | instskip(SKIP_1) | instid1(VALU_DEP_2)
	v_subrev_nc_u32_e32 v2, 28, v1
	v_sub_nc_u32_e32 v1, 29, v1
	v_lshlrev_b64 v[2:3], v2, v[146:147]
	s_delay_alu instid0(VALU_DEP_1)
	v_and_b32_e32 v146, 7, v2
; %bb.327:                              ;   in Loop: Header=BB247_10 Depth=1
	s_or_b32 exec_lo, exec_lo, s24
	v_lshlrev_b32_e32 v0, 16, v0
	s_delay_alu instid0(VALU_DEP_2) | instskip(SKIP_2) | instid1(VALU_DEP_4)
	v_lshlrev_b32_e32 v2, 20, v146
	v_lshl_add_u32 v1, v1, 23, 0x3c000000
	v_mov_b32_e32 v142, v147
	v_and_b32_e32 v0, 0x80000000, v0
	s_delay_alu instid0(VALU_DEP_1)
	v_or3_b32 v143, v2, v0, v1
.LBB247_328:                            ;   in Loop: Header=BB247_10 Depth=1
	s_or_b32 exec_lo, exec_lo, s18
.LBB247_329:                            ;   in Loop: Header=BB247_10 Depth=1
	s_delay_alu instid0(SALU_CYCLE_1)
	s_or_b32 exec_lo, exec_lo, s23
.LBB247_330:                            ;   in Loop: Header=BB247_10 Depth=1
	s_delay_alu instid0(SALU_CYCLE_1)
	s_or_b32 exec_lo, exec_lo, s3
	flat_load_u16 v0, v[160:161] offset:1280
	v_mov_b32_e32 v154, 0
	v_mov_b32_e32 v155, 0
	s_mov_b32 s3, exec_lo
	s_waitcnt vmcnt(0) lgkmcnt(0)
	v_and_b32_e32 v1, 0xff, v0
	s_delay_alu instid0(VALU_DEP_2) | instskip(SKIP_1) | instid1(VALU_DEP_3)
	v_dual_mov_b32 v157, v155 :: v_dual_and_b32 v0, 0xffff, v0
	v_mov_b32_e32 v156, v154
	v_cmpx_ne_u16_e32 0, v1
	s_cbranch_execz .LBB247_338
; %bb.331:                              ;   in Loop: Header=BB247_10 Depth=1
	v_bfrev_b32_e32 v156, 1
	v_and_b32_e32 v1, 0xff, v0
	v_mov_b32_e32 v157, 0
	s_mov_b32 s18, exec_lo
	s_delay_alu instid0(VALU_DEP_2)
	v_cmpx_ne_u16_e32 0x80, v1
	s_cbranch_execz .LBB247_337
; %bb.332:                              ;   in Loop: Header=BB247_10 Depth=1
	v_mov_b32_e32 v156, 0x7f800001
	v_dual_mov_b32 v157, 0 :: v_dual_and_b32 v2, 0x7f, v0
	s_mov_b32 s23, exec_lo
	s_delay_alu instid0(VALU_DEP_1)
	v_cmpx_ne_u32_e32 0x7f, v2
	s_cbranch_execz .LBB247_336
; %bb.333:                              ;   in Loop: Header=BB247_10 Depth=1
	v_and_b32_e32 v146, 7, v0
	v_lshrrev_b32_e32 v1, 3, v2
	s_mov_b32 s24, exec_lo
	v_cmpx_gt_u32_e32 8, v2
; %bb.334:                              ;   in Loop: Header=BB247_10 Depth=1
	s_delay_alu instid0(VALU_DEP_3) | instskip(NEXT) | instid1(VALU_DEP_1)
	v_clz_i32_u32_e32 v1, v146
	v_min_u32_e32 v1, 32, v1
	s_delay_alu instid0(VALU_DEP_1) | instskip(SKIP_1) | instid1(VALU_DEP_2)
	v_subrev_nc_u32_e32 v2, 28, v1
	v_sub_nc_u32_e32 v1, 29, v1
	v_lshlrev_b64 v[2:3], v2, v[146:147]
	s_delay_alu instid0(VALU_DEP_1)
	v_and_b32_e32 v146, 7, v2
; %bb.335:                              ;   in Loop: Header=BB247_10 Depth=1
	s_or_b32 exec_lo, exec_lo, s24
	v_lshlrev_b32_e32 v2, 24, v0
	s_delay_alu instid0(VALU_DEP_2) | instskip(SKIP_1) | instid1(VALU_DEP_3)
	v_lshlrev_b32_e32 v3, 20, v146
	v_lshl_add_u32 v1, v1, 23, 0x3c000000
	v_and_b32_e32 v2, 0x80000000, v2
	s_delay_alu instid0(VALU_DEP_1) | instskip(NEXT) | instid1(VALU_DEP_1)
	v_or3_b32 v146, v3, v2, v1
	v_dual_mov_b32 v157, v147 :: v_dual_mov_b32 v156, v146
.LBB247_336:                            ;   in Loop: Header=BB247_10 Depth=1
	s_or_b32 exec_lo, exec_lo, s23
.LBB247_337:                            ;   in Loop: Header=BB247_10 Depth=1
	s_delay_alu instid0(SALU_CYCLE_1)
	s_or_b32 exec_lo, exec_lo, s18
.LBB247_338:                            ;   in Loop: Header=BB247_10 Depth=1
	s_delay_alu instid0(SALU_CYCLE_1) | instskip(SKIP_2) | instid1(VALU_DEP_1)
	s_or_b32 exec_lo, exec_lo, s3
	v_lshrrev_b16 v1, 8, v0
	s_mov_b32 s3, exec_lo
	v_cmpx_ne_u16_e32 0, v1
	s_cbranch_execz .LBB247_346
; %bb.339:                              ;   in Loop: Header=BB247_10 Depth=1
	v_dual_mov_b32 v155, s9 :: v_dual_mov_b32 v154, s8
	s_mov_b32 s23, exec_lo
	v_cmpx_ne_u16_e32 0x80, v1
	s_cbranch_execz .LBB247_345
; %bb.340:                              ;   in Loop: Header=BB247_10 Depth=1
	s_mov_b32 s18, s8
	v_and_b32_e32 v1, 0xffff, v1
	v_dual_mov_b32 v155, s19 :: v_dual_mov_b32 v154, s18
	s_mov_b32 s18, exec_lo
	s_delay_alu instid0(VALU_DEP_2) | instskip(NEXT) | instid1(VALU_DEP_1)
	v_and_b32_e32 v2, 0x7f, v1
	v_cmpx_ne_u32_e32 0x7f, v2
	s_cbranch_execz .LBB247_344
; %bb.341:                              ;   in Loop: Header=BB247_10 Depth=1
	v_and_b32_e32 v146, 7, v1
	v_lshrrev_b32_e32 v1, 3, v2
	s_mov_b32 s24, exec_lo
	v_cmpx_gt_u32_e32 8, v2
; %bb.342:                              ;   in Loop: Header=BB247_10 Depth=1
	s_delay_alu instid0(VALU_DEP_3) | instskip(NEXT) | instid1(VALU_DEP_1)
	v_clz_i32_u32_e32 v1, v146
	v_min_u32_e32 v1, 32, v1
	s_delay_alu instid0(VALU_DEP_1) | instskip(SKIP_1) | instid1(VALU_DEP_2)
	v_subrev_nc_u32_e32 v2, 28, v1
	v_sub_nc_u32_e32 v1, 29, v1
	v_lshlrev_b64 v[2:3], v2, v[146:147]
	s_delay_alu instid0(VALU_DEP_1)
	v_and_b32_e32 v146, 7, v2
; %bb.343:                              ;   in Loop: Header=BB247_10 Depth=1
	s_or_b32 exec_lo, exec_lo, s24
	v_lshlrev_b32_e32 v0, 16, v0
	s_delay_alu instid0(VALU_DEP_2) | instskip(SKIP_2) | instid1(VALU_DEP_4)
	v_lshlrev_b32_e32 v2, 20, v146
	v_lshl_add_u32 v1, v1, 23, 0x3c000000
	v_mov_b32_e32 v154, v147
	v_and_b32_e32 v0, 0x80000000, v0
	s_delay_alu instid0(VALU_DEP_1)
	v_or3_b32 v155, v2, v0, v1
.LBB247_344:                            ;   in Loop: Header=BB247_10 Depth=1
	s_or_b32 exec_lo, exec_lo, s18
.LBB247_345:                            ;   in Loop: Header=BB247_10 Depth=1
	s_delay_alu instid0(SALU_CYCLE_1)
	s_or_b32 exec_lo, exec_lo, s23
.LBB247_346:                            ;   in Loop: Header=BB247_10 Depth=1
	s_delay_alu instid0(SALU_CYCLE_1)
	s_or_b32 exec_lo, exec_lo, s3
	flat_load_u16 v0, v[160:161] offset:1284
	v_mov_b32_e32 v158, 0
	v_mov_b32_e32 v159, 0
	s_mov_b32 s3, exec_lo
	s_waitcnt vmcnt(0) lgkmcnt(0)
	v_and_b32_e32 v1, 0xff, v0
	s_delay_alu instid0(VALU_DEP_2) | instskip(SKIP_1) | instid1(VALU_DEP_3)
	v_dual_mov_b32 v169, v159 :: v_dual_and_b32 v0, 0xffff, v0
	v_mov_b32_e32 v168, v158
	v_cmpx_ne_u16_e32 0, v1
	s_cbranch_execz .LBB247_354
; %bb.347:                              ;   in Loop: Header=BB247_10 Depth=1
	v_bfrev_b32_e32 v168, 1
	v_and_b32_e32 v1, 0xff, v0
	v_mov_b32_e32 v169, 0
	s_mov_b32 s18, exec_lo
	s_delay_alu instid0(VALU_DEP_2)
	v_cmpx_ne_u16_e32 0x80, v1
	s_cbranch_execz .LBB247_353
; %bb.348:                              ;   in Loop: Header=BB247_10 Depth=1
	v_mov_b32_e32 v168, 0x7f800001
	v_dual_mov_b32 v169, 0 :: v_dual_and_b32 v2, 0x7f, v0
	s_mov_b32 s23, exec_lo
	s_delay_alu instid0(VALU_DEP_1)
	v_cmpx_ne_u32_e32 0x7f, v2
	s_cbranch_execz .LBB247_352
; %bb.349:                              ;   in Loop: Header=BB247_10 Depth=1
	v_and_b32_e32 v146, 7, v0
	v_lshrrev_b32_e32 v1, 3, v2
	s_mov_b32 s24, exec_lo
	v_cmpx_gt_u32_e32 8, v2
; %bb.350:                              ;   in Loop: Header=BB247_10 Depth=1
	s_delay_alu instid0(VALU_DEP_3) | instskip(NEXT) | instid1(VALU_DEP_1)
	v_clz_i32_u32_e32 v1, v146
	v_min_u32_e32 v1, 32, v1
	s_delay_alu instid0(VALU_DEP_1) | instskip(SKIP_1) | instid1(VALU_DEP_2)
	v_subrev_nc_u32_e32 v2, 28, v1
	v_sub_nc_u32_e32 v1, 29, v1
	v_lshlrev_b64 v[2:3], v2, v[146:147]
	s_delay_alu instid0(VALU_DEP_1)
	v_and_b32_e32 v146, 7, v2
; %bb.351:                              ;   in Loop: Header=BB247_10 Depth=1
	s_or_b32 exec_lo, exec_lo, s24
	v_lshlrev_b32_e32 v2, 24, v0
	s_delay_alu instid0(VALU_DEP_2) | instskip(SKIP_1) | instid1(VALU_DEP_3)
	v_lshlrev_b32_e32 v3, 20, v146
	v_lshl_add_u32 v1, v1, 23, 0x3c000000
	v_and_b32_e32 v2, 0x80000000, v2
	s_delay_alu instid0(VALU_DEP_1) | instskip(NEXT) | instid1(VALU_DEP_1)
	v_or3_b32 v146, v3, v2, v1
	v_dual_mov_b32 v169, v147 :: v_dual_mov_b32 v168, v146
.LBB247_352:                            ;   in Loop: Header=BB247_10 Depth=1
	s_or_b32 exec_lo, exec_lo, s23
.LBB247_353:                            ;   in Loop: Header=BB247_10 Depth=1
	s_delay_alu instid0(SALU_CYCLE_1)
	s_or_b32 exec_lo, exec_lo, s18
.LBB247_354:                            ;   in Loop: Header=BB247_10 Depth=1
	s_delay_alu instid0(SALU_CYCLE_1) | instskip(SKIP_2) | instid1(VALU_DEP_1)
	s_or_b32 exec_lo, exec_lo, s3
	v_lshrrev_b16 v1, 8, v0
	s_mov_b32 s3, exec_lo
	v_cmpx_ne_u16_e32 0, v1
	s_cbranch_execz .LBB247_362
; %bb.355:                              ;   in Loop: Header=BB247_10 Depth=1
	v_dual_mov_b32 v159, s9 :: v_dual_mov_b32 v158, s8
	s_mov_b32 s23, exec_lo
	v_cmpx_ne_u16_e32 0x80, v1
	s_cbranch_execz .LBB247_361
; %bb.356:                              ;   in Loop: Header=BB247_10 Depth=1
	s_mov_b32 s18, s8
	v_and_b32_e32 v1, 0xffff, v1
	v_dual_mov_b32 v159, s19 :: v_dual_mov_b32 v158, s18
	s_mov_b32 s18, exec_lo
	s_delay_alu instid0(VALU_DEP_2) | instskip(NEXT) | instid1(VALU_DEP_1)
	v_and_b32_e32 v2, 0x7f, v1
	v_cmpx_ne_u32_e32 0x7f, v2
	s_cbranch_execz .LBB247_360
; %bb.357:                              ;   in Loop: Header=BB247_10 Depth=1
	v_and_b32_e32 v146, 7, v1
	v_lshrrev_b32_e32 v1, 3, v2
	s_mov_b32 s24, exec_lo
	v_cmpx_gt_u32_e32 8, v2
; %bb.358:                              ;   in Loop: Header=BB247_10 Depth=1
	s_delay_alu instid0(VALU_DEP_3) | instskip(NEXT) | instid1(VALU_DEP_1)
	v_clz_i32_u32_e32 v1, v146
	v_min_u32_e32 v1, 32, v1
	s_delay_alu instid0(VALU_DEP_1) | instskip(SKIP_1) | instid1(VALU_DEP_2)
	v_subrev_nc_u32_e32 v2, 28, v1
	v_sub_nc_u32_e32 v1, 29, v1
	v_lshlrev_b64 v[2:3], v2, v[146:147]
	s_delay_alu instid0(VALU_DEP_1)
	v_and_b32_e32 v146, 7, v2
; %bb.359:                              ;   in Loop: Header=BB247_10 Depth=1
	s_or_b32 exec_lo, exec_lo, s24
	v_lshlrev_b32_e32 v0, 16, v0
	s_delay_alu instid0(VALU_DEP_2) | instskip(SKIP_2) | instid1(VALU_DEP_4)
	v_lshlrev_b32_e32 v2, 20, v146
	v_lshl_add_u32 v1, v1, 23, 0x3c000000
	v_mov_b32_e32 v158, v147
	v_and_b32_e32 v0, 0x80000000, v0
	s_delay_alu instid0(VALU_DEP_1)
	v_or3_b32 v159, v2, v0, v1
.LBB247_360:                            ;   in Loop: Header=BB247_10 Depth=1
	s_or_b32 exec_lo, exec_lo, s18
.LBB247_361:                            ;   in Loop: Header=BB247_10 Depth=1
	s_delay_alu instid0(SALU_CYCLE_1)
	s_or_b32 exec_lo, exec_lo, s23
.LBB247_362:                            ;   in Loop: Header=BB247_10 Depth=1
	s_delay_alu instid0(SALU_CYCLE_1) | instskip(SKIP_1) | instid1(VALU_DEP_1)
	s_or_b32 exec_lo, exec_lo, s3
	v_add_co_u32 v0, s2, 0x500, v160
	v_add_co_ci_u32_e64 v1, s2, 0, v161, s2
	s_mov_b32 s3, exec_lo
	flat_load_u16 v2, v[0:1] offset:8
	v_mov_b32_e32 v170, 0
	v_mov_b32_e32 v171, 0
	s_waitcnt vmcnt(0) lgkmcnt(0)
	v_and_b32_e32 v3, 0xff, v2
	s_delay_alu instid0(VALU_DEP_2) | instskip(SKIP_1) | instid1(VALU_DEP_3)
	v_dual_mov_b32 v173, v171 :: v_dual_and_b32 v2, 0xffff, v2
	v_mov_b32_e32 v172, v170
	v_cmpx_ne_u16_e32 0, v3
	s_cbranch_execz .LBB247_370
; %bb.363:                              ;   in Loop: Header=BB247_10 Depth=1
	v_bfrev_b32_e32 v172, 1
	v_and_b32_e32 v3, 0xff, v2
	v_mov_b32_e32 v173, 0
	s_mov_b32 s18, exec_lo
	s_delay_alu instid0(VALU_DEP_2)
	v_cmpx_ne_u16_e32 0x80, v3
	s_cbranch_execz .LBB247_369
; %bb.364:                              ;   in Loop: Header=BB247_10 Depth=1
	v_mov_b32_e32 v172, 0x7f800001
	v_dual_mov_b32 v173, 0 :: v_dual_and_b32 v4, 0x7f, v2
	s_mov_b32 s23, exec_lo
	s_delay_alu instid0(VALU_DEP_1)
	v_cmpx_ne_u32_e32 0x7f, v4
	s_cbranch_execz .LBB247_368
; %bb.365:                              ;   in Loop: Header=BB247_10 Depth=1
	v_and_b32_e32 v146, 7, v2
	v_lshrrev_b32_e32 v3, 3, v4
	s_mov_b32 s24, exec_lo
	v_cmpx_gt_u32_e32 8, v4
; %bb.366:                              ;   in Loop: Header=BB247_10 Depth=1
	s_delay_alu instid0(VALU_DEP_3) | instskip(NEXT) | instid1(VALU_DEP_1)
	v_clz_i32_u32_e32 v3, v146
	v_min_u32_e32 v3, 32, v3
	s_delay_alu instid0(VALU_DEP_1) | instskip(SKIP_1) | instid1(VALU_DEP_2)
	v_subrev_nc_u32_e32 v4, 28, v3
	v_sub_nc_u32_e32 v3, 29, v3
	v_lshlrev_b64 v[4:5], v4, v[146:147]
	s_delay_alu instid0(VALU_DEP_1)
	v_and_b32_e32 v146, 7, v4
; %bb.367:                              ;   in Loop: Header=BB247_10 Depth=1
	s_or_b32 exec_lo, exec_lo, s24
	v_lshlrev_b32_e32 v4, 24, v2
	s_delay_alu instid0(VALU_DEP_2) | instskip(SKIP_1) | instid1(VALU_DEP_3)
	v_lshlrev_b32_e32 v5, 20, v146
	v_lshl_add_u32 v3, v3, 23, 0x3c000000
	v_and_b32_e32 v4, 0x80000000, v4
	s_delay_alu instid0(VALU_DEP_1) | instskip(NEXT) | instid1(VALU_DEP_1)
	v_or3_b32 v146, v5, v4, v3
	v_dual_mov_b32 v173, v147 :: v_dual_mov_b32 v172, v146
.LBB247_368:                            ;   in Loop: Header=BB247_10 Depth=1
	s_or_b32 exec_lo, exec_lo, s23
.LBB247_369:                            ;   in Loop: Header=BB247_10 Depth=1
	s_delay_alu instid0(SALU_CYCLE_1)
	s_or_b32 exec_lo, exec_lo, s18
.LBB247_370:                            ;   in Loop: Header=BB247_10 Depth=1
	s_delay_alu instid0(SALU_CYCLE_1) | instskip(SKIP_2) | instid1(VALU_DEP_1)
	s_or_b32 exec_lo, exec_lo, s3
	v_lshrrev_b16 v3, 8, v2
	s_mov_b32 s3, exec_lo
	v_cmpx_ne_u16_e32 0, v3
	s_cbranch_execz .LBB247_378
; %bb.371:                              ;   in Loop: Header=BB247_10 Depth=1
	v_dual_mov_b32 v171, s9 :: v_dual_mov_b32 v170, s8
	s_mov_b32 s23, exec_lo
	v_cmpx_ne_u16_e32 0x80, v3
	s_cbranch_execz .LBB247_377
; %bb.372:                              ;   in Loop: Header=BB247_10 Depth=1
	s_mov_b32 s18, s8
	v_and_b32_e32 v3, 0xffff, v3
	v_dual_mov_b32 v171, s19 :: v_dual_mov_b32 v170, s18
	s_mov_b32 s18, exec_lo
	s_delay_alu instid0(VALU_DEP_2) | instskip(NEXT) | instid1(VALU_DEP_1)
	v_and_b32_e32 v4, 0x7f, v3
	v_cmpx_ne_u32_e32 0x7f, v4
	s_cbranch_execz .LBB247_376
; %bb.373:                              ;   in Loop: Header=BB247_10 Depth=1
	v_and_b32_e32 v146, 7, v3
	v_lshrrev_b32_e32 v3, 3, v4
	s_mov_b32 s24, exec_lo
	v_cmpx_gt_u32_e32 8, v4
; %bb.374:                              ;   in Loop: Header=BB247_10 Depth=1
	s_delay_alu instid0(VALU_DEP_3) | instskip(NEXT) | instid1(VALU_DEP_1)
	v_clz_i32_u32_e32 v3, v146
	v_min_u32_e32 v3, 32, v3
	s_delay_alu instid0(VALU_DEP_1) | instskip(SKIP_1) | instid1(VALU_DEP_2)
	v_subrev_nc_u32_e32 v4, 28, v3
	v_sub_nc_u32_e32 v3, 29, v3
	v_lshlrev_b64 v[4:5], v4, v[146:147]
	s_delay_alu instid0(VALU_DEP_1)
	v_and_b32_e32 v146, 7, v4
; %bb.375:                              ;   in Loop: Header=BB247_10 Depth=1
	s_or_b32 exec_lo, exec_lo, s24
	v_lshlrev_b32_e32 v2, 16, v2
	s_delay_alu instid0(VALU_DEP_2) | instskip(SKIP_2) | instid1(VALU_DEP_4)
	v_lshlrev_b32_e32 v4, 20, v146
	v_lshl_add_u32 v3, v3, 23, 0x3c000000
	v_mov_b32_e32 v170, v147
	v_and_b32_e32 v2, 0x80000000, v2
	s_delay_alu instid0(VALU_DEP_1)
	v_or3_b32 v171, v4, v2, v3
.LBB247_376:                            ;   in Loop: Header=BB247_10 Depth=1
	s_or_b32 exec_lo, exec_lo, s18
.LBB247_377:                            ;   in Loop: Header=BB247_10 Depth=1
	s_delay_alu instid0(SALU_CYCLE_1)
	s_or_b32 exec_lo, exec_lo, s23
.LBB247_378:                            ;   in Loop: Header=BB247_10 Depth=1
	s_delay_alu instid0(SALU_CYCLE_1)
	s_or_b32 exec_lo, exec_lo, s3
	flat_load_u16 v0, v[0:1] offset:12
	v_mov_b32_e32 v174, 0
	v_mov_b32_e32 v175, 0
	s_mov_b32 s3, exec_lo
	s_waitcnt vmcnt(0) lgkmcnt(0)
	v_and_b32_e32 v1, 0xff, v0
	s_delay_alu instid0(VALU_DEP_2) | instskip(SKIP_1) | instid1(VALU_DEP_3)
	v_dual_mov_b32 v185, v175 :: v_dual_and_b32 v0, 0xffff, v0
	v_mov_b32_e32 v184, v174
	v_cmpx_ne_u16_e32 0, v1
	s_cbranch_execz .LBB247_386
; %bb.379:                              ;   in Loop: Header=BB247_10 Depth=1
	v_bfrev_b32_e32 v184, 1
	v_and_b32_e32 v1, 0xff, v0
	v_mov_b32_e32 v185, 0
	s_mov_b32 s18, exec_lo
	s_delay_alu instid0(VALU_DEP_2)
	v_cmpx_ne_u16_e32 0x80, v1
	s_cbranch_execz .LBB247_385
; %bb.380:                              ;   in Loop: Header=BB247_10 Depth=1
	v_mov_b32_e32 v184, 0x7f800001
	v_dual_mov_b32 v185, 0 :: v_dual_and_b32 v2, 0x7f, v0
	s_mov_b32 s23, exec_lo
	s_delay_alu instid0(VALU_DEP_1)
	v_cmpx_ne_u32_e32 0x7f, v2
	s_cbranch_execz .LBB247_384
; %bb.381:                              ;   in Loop: Header=BB247_10 Depth=1
	v_and_b32_e32 v146, 7, v0
	v_lshrrev_b32_e32 v1, 3, v2
	s_mov_b32 s24, exec_lo
	v_cmpx_gt_u32_e32 8, v2
; %bb.382:                              ;   in Loop: Header=BB247_10 Depth=1
	s_delay_alu instid0(VALU_DEP_3) | instskip(NEXT) | instid1(VALU_DEP_1)
	v_clz_i32_u32_e32 v1, v146
	v_min_u32_e32 v1, 32, v1
	s_delay_alu instid0(VALU_DEP_1) | instskip(SKIP_1) | instid1(VALU_DEP_2)
	v_subrev_nc_u32_e32 v2, 28, v1
	v_sub_nc_u32_e32 v1, 29, v1
	v_lshlrev_b64 v[2:3], v2, v[146:147]
	s_delay_alu instid0(VALU_DEP_1)
	v_and_b32_e32 v146, 7, v2
; %bb.383:                              ;   in Loop: Header=BB247_10 Depth=1
	s_or_b32 exec_lo, exec_lo, s24
	v_lshlrev_b32_e32 v2, 24, v0
	s_delay_alu instid0(VALU_DEP_2) | instskip(SKIP_1) | instid1(VALU_DEP_3)
	v_lshlrev_b32_e32 v3, 20, v146
	v_lshl_add_u32 v1, v1, 23, 0x3c000000
	v_and_b32_e32 v2, 0x80000000, v2
	s_delay_alu instid0(VALU_DEP_1) | instskip(NEXT) | instid1(VALU_DEP_1)
	v_or3_b32 v146, v3, v2, v1
	v_dual_mov_b32 v185, v147 :: v_dual_mov_b32 v184, v146
.LBB247_384:                            ;   in Loop: Header=BB247_10 Depth=1
	s_or_b32 exec_lo, exec_lo, s23
.LBB247_385:                            ;   in Loop: Header=BB247_10 Depth=1
	s_delay_alu instid0(SALU_CYCLE_1)
	s_or_b32 exec_lo, exec_lo, s18
.LBB247_386:                            ;   in Loop: Header=BB247_10 Depth=1
	s_delay_alu instid0(SALU_CYCLE_1) | instskip(SKIP_2) | instid1(VALU_DEP_1)
	s_or_b32 exec_lo, exec_lo, s3
	v_lshrrev_b16 v1, 8, v0
	s_mov_b32 s3, exec_lo
	v_cmpx_ne_u16_e32 0, v1
	s_cbranch_execz .LBB247_394
; %bb.387:                              ;   in Loop: Header=BB247_10 Depth=1
	v_dual_mov_b32 v175, s9 :: v_dual_mov_b32 v174, s8
	s_mov_b32 s23, exec_lo
	v_cmpx_ne_u16_e32 0x80, v1
	s_cbranch_execz .LBB247_393
; %bb.388:                              ;   in Loop: Header=BB247_10 Depth=1
	s_mov_b32 s18, s8
	v_and_b32_e32 v1, 0xffff, v1
	v_dual_mov_b32 v175, s19 :: v_dual_mov_b32 v174, s18
	s_mov_b32 s18, exec_lo
	s_delay_alu instid0(VALU_DEP_2) | instskip(NEXT) | instid1(VALU_DEP_1)
	v_and_b32_e32 v2, 0x7f, v1
	v_cmpx_ne_u32_e32 0x7f, v2
	s_cbranch_execz .LBB247_392
; %bb.389:                              ;   in Loop: Header=BB247_10 Depth=1
	v_and_b32_e32 v146, 7, v1
	v_lshrrev_b32_e32 v1, 3, v2
	s_mov_b32 s24, exec_lo
	v_cmpx_gt_u32_e32 8, v2
; %bb.390:                              ;   in Loop: Header=BB247_10 Depth=1
	s_delay_alu instid0(VALU_DEP_3) | instskip(NEXT) | instid1(VALU_DEP_1)
	v_clz_i32_u32_e32 v1, v146
	v_min_u32_e32 v1, 32, v1
	s_delay_alu instid0(VALU_DEP_1) | instskip(SKIP_1) | instid1(VALU_DEP_2)
	v_subrev_nc_u32_e32 v2, 28, v1
	v_sub_nc_u32_e32 v1, 29, v1
	v_lshlrev_b64 v[2:3], v2, v[146:147]
	s_delay_alu instid0(VALU_DEP_1)
	v_and_b32_e32 v146, 7, v2
; %bb.391:                              ;   in Loop: Header=BB247_10 Depth=1
	s_or_b32 exec_lo, exec_lo, s24
	v_lshlrev_b32_e32 v0, 16, v0
	s_delay_alu instid0(VALU_DEP_2) | instskip(SKIP_2) | instid1(VALU_DEP_4)
	v_lshlrev_b32_e32 v2, 20, v146
	v_lshl_add_u32 v1, v1, 23, 0x3c000000
	v_mov_b32_e32 v174, v147
	v_and_b32_e32 v0, 0x80000000, v0
	s_delay_alu instid0(VALU_DEP_1)
	v_or3_b32 v175, v2, v0, v1
.LBB247_392:                            ;   in Loop: Header=BB247_10 Depth=1
	s_or_b32 exec_lo, exec_lo, s18
.LBB247_393:                            ;   in Loop: Header=BB247_10 Depth=1
	s_delay_alu instid0(SALU_CYCLE_1)
	s_or_b32 exec_lo, exec_lo, s23
.LBB247_394:                            ;   in Loop: Header=BB247_10 Depth=1
	s_delay_alu instid0(SALU_CYCLE_1)
	s_or_b32 exec_lo, exec_lo, s3
	flat_load_u16 v0, v[160:161] offset:1536
	v_mov_b32_e32 v186, 0
	v_mov_b32_e32 v187, 0
	s_mov_b32 s3, exec_lo
	s_waitcnt vmcnt(0) lgkmcnt(0)
	v_and_b32_e32 v1, 0xff, v0
	s_delay_alu instid0(VALU_DEP_2) | instskip(SKIP_1) | instid1(VALU_DEP_3)
	v_dual_mov_b32 v189, v187 :: v_dual_and_b32 v0, 0xffff, v0
	v_mov_b32_e32 v188, v186
	v_cmpx_ne_u16_e32 0, v1
	s_cbranch_execz .LBB247_402
; %bb.395:                              ;   in Loop: Header=BB247_10 Depth=1
	v_bfrev_b32_e32 v188, 1
	v_and_b32_e32 v1, 0xff, v0
	v_mov_b32_e32 v189, 0
	s_mov_b32 s18, exec_lo
	s_delay_alu instid0(VALU_DEP_2)
	v_cmpx_ne_u16_e32 0x80, v1
	s_cbranch_execz .LBB247_401
; %bb.396:                              ;   in Loop: Header=BB247_10 Depth=1
	v_mov_b32_e32 v188, 0x7f800001
	v_dual_mov_b32 v189, 0 :: v_dual_and_b32 v2, 0x7f, v0
	s_mov_b32 s23, exec_lo
	s_delay_alu instid0(VALU_DEP_1)
	v_cmpx_ne_u32_e32 0x7f, v2
	s_cbranch_execz .LBB247_400
; %bb.397:                              ;   in Loop: Header=BB247_10 Depth=1
	v_and_b32_e32 v146, 7, v0
	v_lshrrev_b32_e32 v1, 3, v2
	s_mov_b32 s24, exec_lo
	v_cmpx_gt_u32_e32 8, v2
; %bb.398:                              ;   in Loop: Header=BB247_10 Depth=1
	s_delay_alu instid0(VALU_DEP_3) | instskip(NEXT) | instid1(VALU_DEP_1)
	v_clz_i32_u32_e32 v1, v146
	v_min_u32_e32 v1, 32, v1
	s_delay_alu instid0(VALU_DEP_1) | instskip(SKIP_1) | instid1(VALU_DEP_2)
	v_subrev_nc_u32_e32 v2, 28, v1
	v_sub_nc_u32_e32 v1, 29, v1
	v_lshlrev_b64 v[2:3], v2, v[146:147]
	s_delay_alu instid0(VALU_DEP_1)
	v_and_b32_e32 v146, 7, v2
; %bb.399:                              ;   in Loop: Header=BB247_10 Depth=1
	s_or_b32 exec_lo, exec_lo, s24
	v_lshlrev_b32_e32 v2, 24, v0
	s_delay_alu instid0(VALU_DEP_2) | instskip(SKIP_1) | instid1(VALU_DEP_3)
	v_lshlrev_b32_e32 v3, 20, v146
	v_lshl_add_u32 v1, v1, 23, 0x3c000000
	v_and_b32_e32 v2, 0x80000000, v2
	s_delay_alu instid0(VALU_DEP_1) | instskip(NEXT) | instid1(VALU_DEP_1)
	v_or3_b32 v146, v3, v2, v1
	v_dual_mov_b32 v189, v147 :: v_dual_mov_b32 v188, v146
.LBB247_400:                            ;   in Loop: Header=BB247_10 Depth=1
	s_or_b32 exec_lo, exec_lo, s23
.LBB247_401:                            ;   in Loop: Header=BB247_10 Depth=1
	s_delay_alu instid0(SALU_CYCLE_1)
	s_or_b32 exec_lo, exec_lo, s18
.LBB247_402:                            ;   in Loop: Header=BB247_10 Depth=1
	s_delay_alu instid0(SALU_CYCLE_1) | instskip(SKIP_2) | instid1(VALU_DEP_1)
	s_or_b32 exec_lo, exec_lo, s3
	v_lshrrev_b16 v1, 8, v0
	s_mov_b32 s3, exec_lo
	v_cmpx_ne_u16_e32 0, v1
	s_cbranch_execz .LBB247_410
; %bb.403:                              ;   in Loop: Header=BB247_10 Depth=1
	v_dual_mov_b32 v187, s9 :: v_dual_mov_b32 v186, s8
	s_mov_b32 s23, exec_lo
	v_cmpx_ne_u16_e32 0x80, v1
	s_cbranch_execz .LBB247_409
; %bb.404:                              ;   in Loop: Header=BB247_10 Depth=1
	s_mov_b32 s18, s8
	v_and_b32_e32 v1, 0xffff, v1
	v_dual_mov_b32 v187, s19 :: v_dual_mov_b32 v186, s18
	s_mov_b32 s18, exec_lo
	s_delay_alu instid0(VALU_DEP_2) | instskip(NEXT) | instid1(VALU_DEP_1)
	v_and_b32_e32 v2, 0x7f, v1
	v_cmpx_ne_u32_e32 0x7f, v2
	s_cbranch_execz .LBB247_408
; %bb.405:                              ;   in Loop: Header=BB247_10 Depth=1
	v_and_b32_e32 v146, 7, v1
	v_lshrrev_b32_e32 v1, 3, v2
	s_mov_b32 s24, exec_lo
	v_cmpx_gt_u32_e32 8, v2
; %bb.406:                              ;   in Loop: Header=BB247_10 Depth=1
	s_delay_alu instid0(VALU_DEP_3) | instskip(NEXT) | instid1(VALU_DEP_1)
	v_clz_i32_u32_e32 v1, v146
	v_min_u32_e32 v1, 32, v1
	s_delay_alu instid0(VALU_DEP_1) | instskip(SKIP_1) | instid1(VALU_DEP_2)
	v_subrev_nc_u32_e32 v2, 28, v1
	v_sub_nc_u32_e32 v1, 29, v1
	v_lshlrev_b64 v[2:3], v2, v[146:147]
	s_delay_alu instid0(VALU_DEP_1)
	v_and_b32_e32 v146, 7, v2
; %bb.407:                              ;   in Loop: Header=BB247_10 Depth=1
	s_or_b32 exec_lo, exec_lo, s24
	v_lshlrev_b32_e32 v0, 16, v0
	s_delay_alu instid0(VALU_DEP_2) | instskip(SKIP_2) | instid1(VALU_DEP_4)
	v_lshlrev_b32_e32 v2, 20, v146
	v_lshl_add_u32 v1, v1, 23, 0x3c000000
	v_mov_b32_e32 v186, v147
	v_and_b32_e32 v0, 0x80000000, v0
	s_delay_alu instid0(VALU_DEP_1)
	v_or3_b32 v187, v2, v0, v1
.LBB247_408:                            ;   in Loop: Header=BB247_10 Depth=1
	s_or_b32 exec_lo, exec_lo, s18
.LBB247_409:                            ;   in Loop: Header=BB247_10 Depth=1
	s_delay_alu instid0(SALU_CYCLE_1)
	s_or_b32 exec_lo, exec_lo, s23
.LBB247_410:                            ;   in Loop: Header=BB247_10 Depth=1
	s_delay_alu instid0(SALU_CYCLE_1)
	s_or_b32 exec_lo, exec_lo, s3
	flat_load_u16 v0, v[160:161] offset:1540
	v_mov_b32_e32 v190, 0
	v_mov_b32_e32 v191, 0
	s_mov_b32 s3, exec_lo
	s_waitcnt vmcnt(0) lgkmcnt(0)
	v_and_b32_e32 v1, 0xff, v0
	v_and_b32_e32 v0, 0xffff, v0
	v_dual_mov_b32 v128, v190 :: v_dual_mov_b32 v129, v191
	s_delay_alu instid0(VALU_DEP_3)
	v_cmpx_ne_u16_e32 0, v1
	s_cbranch_execz .LBB247_418
; %bb.411:                              ;   in Loop: Header=BB247_10 Depth=1
	v_bfrev_b32_e32 v128, 1
	v_and_b32_e32 v1, 0xff, v0
	v_mov_b32_e32 v129, 0
	s_mov_b32 s18, exec_lo
	s_delay_alu instid0(VALU_DEP_2)
	v_cmpx_ne_u16_e32 0x80, v1
	s_cbranch_execz .LBB247_417
; %bb.412:                              ;   in Loop: Header=BB247_10 Depth=1
	v_mov_b32_e32 v128, 0x7f800001
	v_dual_mov_b32 v129, 0 :: v_dual_and_b32 v2, 0x7f, v0
	s_mov_b32 s23, exec_lo
	s_delay_alu instid0(VALU_DEP_1)
	v_cmpx_ne_u32_e32 0x7f, v2
	s_cbranch_execz .LBB247_416
; %bb.413:                              ;   in Loop: Header=BB247_10 Depth=1
	v_and_b32_e32 v146, 7, v0
	v_lshrrev_b32_e32 v1, 3, v2
	s_mov_b32 s24, exec_lo
	v_cmpx_gt_u32_e32 8, v2
; %bb.414:                              ;   in Loop: Header=BB247_10 Depth=1
	s_delay_alu instid0(VALU_DEP_3) | instskip(NEXT) | instid1(VALU_DEP_1)
	v_clz_i32_u32_e32 v1, v146
	v_min_u32_e32 v1, 32, v1
	s_delay_alu instid0(VALU_DEP_1) | instskip(SKIP_1) | instid1(VALU_DEP_2)
	v_subrev_nc_u32_e32 v2, 28, v1
	v_sub_nc_u32_e32 v1, 29, v1
	v_lshlrev_b64 v[2:3], v2, v[146:147]
	s_delay_alu instid0(VALU_DEP_1)
	v_and_b32_e32 v146, 7, v2
; %bb.415:                              ;   in Loop: Header=BB247_10 Depth=1
	s_or_b32 exec_lo, exec_lo, s24
	v_lshlrev_b32_e32 v2, 24, v0
	s_delay_alu instid0(VALU_DEP_2) | instskip(SKIP_1) | instid1(VALU_DEP_3)
	v_lshlrev_b32_e32 v3, 20, v146
	v_lshl_add_u32 v1, v1, 23, 0x3c000000
	v_and_b32_e32 v2, 0x80000000, v2
	s_delay_alu instid0(VALU_DEP_1) | instskip(NEXT) | instid1(VALU_DEP_1)
	v_or3_b32 v146, v3, v2, v1
	v_dual_mov_b32 v128, v146 :: v_dual_mov_b32 v129, v147
.LBB247_416:                            ;   in Loop: Header=BB247_10 Depth=1
	s_or_b32 exec_lo, exec_lo, s23
.LBB247_417:                            ;   in Loop: Header=BB247_10 Depth=1
	s_delay_alu instid0(SALU_CYCLE_1)
	s_or_b32 exec_lo, exec_lo, s18
.LBB247_418:                            ;   in Loop: Header=BB247_10 Depth=1
	s_delay_alu instid0(SALU_CYCLE_1) | instskip(SKIP_2) | instid1(VALU_DEP_1)
	s_or_b32 exec_lo, exec_lo, s3
	v_lshrrev_b16 v1, 8, v0
	s_mov_b32 s3, exec_lo
	v_cmpx_ne_u16_e32 0, v1
	s_cbranch_execz .LBB247_426
; %bb.419:                              ;   in Loop: Header=BB247_10 Depth=1
	v_dual_mov_b32 v191, s9 :: v_dual_mov_b32 v190, s8
	s_mov_b32 s23, exec_lo
	v_cmpx_ne_u16_e32 0x80, v1
	s_cbranch_execz .LBB247_425
; %bb.420:                              ;   in Loop: Header=BB247_10 Depth=1
	s_mov_b32 s18, s8
	v_and_b32_e32 v1, 0xffff, v1
	v_dual_mov_b32 v191, s19 :: v_dual_mov_b32 v190, s18
	s_mov_b32 s18, exec_lo
	s_delay_alu instid0(VALU_DEP_2) | instskip(NEXT) | instid1(VALU_DEP_1)
	v_and_b32_e32 v2, 0x7f, v1
	v_cmpx_ne_u32_e32 0x7f, v2
	s_cbranch_execz .LBB247_424
; %bb.421:                              ;   in Loop: Header=BB247_10 Depth=1
	v_and_b32_e32 v146, 7, v1
	v_lshrrev_b32_e32 v1, 3, v2
	s_mov_b32 s24, exec_lo
	v_cmpx_gt_u32_e32 8, v2
; %bb.422:                              ;   in Loop: Header=BB247_10 Depth=1
	s_delay_alu instid0(VALU_DEP_3) | instskip(NEXT) | instid1(VALU_DEP_1)
	v_clz_i32_u32_e32 v1, v146
	v_min_u32_e32 v1, 32, v1
	s_delay_alu instid0(VALU_DEP_1) | instskip(SKIP_1) | instid1(VALU_DEP_2)
	v_subrev_nc_u32_e32 v2, 28, v1
	v_sub_nc_u32_e32 v1, 29, v1
	v_lshlrev_b64 v[2:3], v2, v[146:147]
	s_delay_alu instid0(VALU_DEP_1)
	v_and_b32_e32 v146, 7, v2
; %bb.423:                              ;   in Loop: Header=BB247_10 Depth=1
	s_or_b32 exec_lo, exec_lo, s24
	v_lshlrev_b32_e32 v0, 16, v0
	s_delay_alu instid0(VALU_DEP_2) | instskip(SKIP_2) | instid1(VALU_DEP_4)
	v_lshlrev_b32_e32 v2, 20, v146
	v_lshl_add_u32 v1, v1, 23, 0x3c000000
	v_mov_b32_e32 v190, v147
	v_and_b32_e32 v0, 0x80000000, v0
	s_delay_alu instid0(VALU_DEP_1)
	v_or3_b32 v191, v2, v0, v1
.LBB247_424:                            ;   in Loop: Header=BB247_10 Depth=1
	s_or_b32 exec_lo, exec_lo, s18
.LBB247_425:                            ;   in Loop: Header=BB247_10 Depth=1
	s_delay_alu instid0(SALU_CYCLE_1)
	s_or_b32 exec_lo, exec_lo, s23
.LBB247_426:                            ;   in Loop: Header=BB247_10 Depth=1
	s_delay_alu instid0(SALU_CYCLE_1) | instskip(SKIP_1) | instid1(VALU_DEP_1)
	s_or_b32 exec_lo, exec_lo, s3
	v_add_co_u32 v0, s2, 0x600, v160
	v_add_co_ci_u32_e64 v1, s2, 0, v161, s2
	s_mov_b32 s3, exec_lo
	flat_load_u16 v2, v[0:1] offset:8
	v_mov_b32_e32 v11, 0
	s_waitcnt vmcnt(0) lgkmcnt(0)
	v_dual_mov_b32 v12, 0 :: v_dual_and_b32 v3, 0xff, v2
	v_and_b32_e32 v2, 0xffff, v2
	s_delay_alu instid0(VALU_DEP_2) | instskip(NEXT) | instid1(VALU_DEP_3)
	v_dual_mov_b32 v4, v11 :: v_dual_mov_b32 v5, v12
	v_cmpx_ne_u16_e32 0, v3
	s_cbranch_execz .LBB247_434
; %bb.427:                              ;   in Loop: Header=BB247_10 Depth=1
	v_bfrev_b32_e32 v4, 1
	v_and_b32_e32 v3, 0xff, v2
	v_mov_b32_e32 v5, 0
	s_mov_b32 s18, exec_lo
	s_delay_alu instid0(VALU_DEP_2)
	v_cmpx_ne_u16_e32 0x80, v3
	s_cbranch_execz .LBB247_433
; %bb.428:                              ;   in Loop: Header=BB247_10 Depth=1
	v_mov_b32_e32 v4, 0x7f800001
	v_dual_mov_b32 v5, 0 :: v_dual_and_b32 v6, 0x7f, v2
	s_mov_b32 s23, exec_lo
	s_delay_alu instid0(VALU_DEP_1)
	v_cmpx_ne_u32_e32 0x7f, v6
	s_cbranch_execz .LBB247_432
; %bb.429:                              ;   in Loop: Header=BB247_10 Depth=1
	v_and_b32_e32 v146, 7, v2
	v_lshrrev_b32_e32 v3, 3, v6
	s_mov_b32 s24, exec_lo
	v_cmpx_gt_u32_e32 8, v6
; %bb.430:                              ;   in Loop: Header=BB247_10 Depth=1
	s_delay_alu instid0(VALU_DEP_3) | instskip(NEXT) | instid1(VALU_DEP_1)
	v_clz_i32_u32_e32 v3, v146
	v_min_u32_e32 v3, 32, v3
	s_delay_alu instid0(VALU_DEP_1) | instskip(SKIP_1) | instid1(VALU_DEP_2)
	v_subrev_nc_u32_e32 v4, 28, v3
	v_sub_nc_u32_e32 v3, 29, v3
	v_lshlrev_b64 v[4:5], v4, v[146:147]
	s_delay_alu instid0(VALU_DEP_1)
	v_and_b32_e32 v146, 7, v4
; %bb.431:                              ;   in Loop: Header=BB247_10 Depth=1
	s_or_b32 exec_lo, exec_lo, s24
	v_lshlrev_b32_e32 v4, 24, v2
	s_delay_alu instid0(VALU_DEP_2) | instskip(SKIP_1) | instid1(VALU_DEP_3)
	v_lshlrev_b32_e32 v5, 20, v146
	v_lshl_add_u32 v3, v3, 23, 0x3c000000
	v_and_b32_e32 v4, 0x80000000, v4
	s_delay_alu instid0(VALU_DEP_1) | instskip(NEXT) | instid1(VALU_DEP_1)
	v_or3_b32 v146, v5, v4, v3
	v_dual_mov_b32 v4, v146 :: v_dual_mov_b32 v5, v147
.LBB247_432:                            ;   in Loop: Header=BB247_10 Depth=1
	s_or_b32 exec_lo, exec_lo, s23
.LBB247_433:                            ;   in Loop: Header=BB247_10 Depth=1
	s_delay_alu instid0(SALU_CYCLE_1)
	s_or_b32 exec_lo, exec_lo, s18
.LBB247_434:                            ;   in Loop: Header=BB247_10 Depth=1
	s_delay_alu instid0(SALU_CYCLE_1) | instskip(SKIP_2) | instid1(VALU_DEP_1)
	s_or_b32 exec_lo, exec_lo, s3
	v_lshrrev_b16 v3, 8, v2
	s_mov_b32 s3, exec_lo
	v_cmpx_ne_u16_e32 0, v3
	s_cbranch_execz .LBB247_442
; %bb.435:                              ;   in Loop: Header=BB247_10 Depth=1
	v_dual_mov_b32 v12, s9 :: v_dual_mov_b32 v11, s8
	s_mov_b32 s23, exec_lo
	v_cmpx_ne_u16_e32 0x80, v3
	s_cbranch_execz .LBB247_441
; %bb.436:                              ;   in Loop: Header=BB247_10 Depth=1
	s_mov_b32 s18, s8
	v_and_b32_e32 v3, 0xffff, v3
	v_dual_mov_b32 v11, s18 :: v_dual_mov_b32 v12, s19
	s_mov_b32 s18, exec_lo
	s_delay_alu instid0(VALU_DEP_2) | instskip(NEXT) | instid1(VALU_DEP_1)
	v_and_b32_e32 v14, 0x7f, v3
	v_cmpx_ne_u32_e32 0x7f, v14
	s_cbranch_execz .LBB247_440
; %bb.437:                              ;   in Loop: Header=BB247_10 Depth=1
	v_and_b32_e32 v146, 7, v3
	v_lshrrev_b32_e32 v3, 3, v14
	s_mov_b32 s24, exec_lo
	v_cmpx_gt_u32_e32 8, v14
; %bb.438:                              ;   in Loop: Header=BB247_10 Depth=1
	s_delay_alu instid0(VALU_DEP_3) | instskip(NEXT) | instid1(VALU_DEP_1)
	v_clz_i32_u32_e32 v3, v146
	v_min_u32_e32 v3, 32, v3
	s_delay_alu instid0(VALU_DEP_1) | instskip(SKIP_1) | instid1(VALU_DEP_2)
	v_subrev_nc_u32_e32 v6, 28, v3
	v_sub_nc_u32_e32 v3, 29, v3
	v_lshlrev_b64 v[6:7], v6, v[146:147]
	s_delay_alu instid0(VALU_DEP_1)
	v_and_b32_e32 v146, 7, v6
; %bb.439:                              ;   in Loop: Header=BB247_10 Depth=1
	s_or_b32 exec_lo, exec_lo, s24
	v_dual_mov_b32 v11, v147 :: v_dual_lshlrev_b32 v2, 16, v2
	s_delay_alu instid0(VALU_DEP_2) | instskip(SKIP_1) | instid1(VALU_DEP_3)
	v_lshlrev_b32_e32 v6, 20, v146
	v_lshl_add_u32 v3, v3, 23, 0x3c000000
	v_and_b32_e32 v2, 0x80000000, v2
	s_delay_alu instid0(VALU_DEP_1)
	v_or3_b32 v12, v6, v2, v3
.LBB247_440:                            ;   in Loop: Header=BB247_10 Depth=1
	s_or_b32 exec_lo, exec_lo, s18
.LBB247_441:                            ;   in Loop: Header=BB247_10 Depth=1
	s_delay_alu instid0(SALU_CYCLE_1)
	s_or_b32 exec_lo, exec_lo, s23
.LBB247_442:                            ;   in Loop: Header=BB247_10 Depth=1
	s_delay_alu instid0(SALU_CYCLE_1)
	s_or_b32 exec_lo, exec_lo, s3
	flat_load_u16 v2, v[0:1] offset:12
	v_mov_b32_e32 v0, 0
	s_waitcnt vmcnt(0) lgkmcnt(0)
	v_dual_mov_b32 v1, 0 :: v_dual_and_b32 v14, 0xffff, v2
	v_and_b32_e32 v3, 0xff, v2
	s_delay_alu instid0(VALU_DEP_1) | instskip(NEXT) | instid1(VALU_DEP_3)
	v_cmp_ne_u16_e64 s2, 0, v3
	v_dual_mov_b32 v3, v1 :: v_dual_mov_b32 v2, v0
	s_delay_alu instid0(VALU_DEP_2)
	s_and_saveexec_b32 s3, s2
	s_cbranch_execz .LBB247_450
; %bb.443:                              ;   in Loop: Header=BB247_10 Depth=1
	v_and_b32_e32 v2, 0xff, v14
	s_delay_alu instid0(VALU_DEP_1) | instskip(SKIP_2) | instid1(VALU_DEP_3)
	v_cmp_ne_u16_e64 s2, 0x80, v2
	v_bfrev_b32_e32 v2, 1
	v_mov_b32_e32 v3, 0
	s_and_saveexec_b32 s18, s2
	s_cbranch_execz .LBB247_449
; %bb.444:                              ;   in Loop: Header=BB247_10 Depth=1
	v_mov_b32_e32 v2, 0x7f800001
	v_dual_mov_b32 v3, 0 :: v_dual_and_b32 v6, 0x7f, v14
	s_mov_b32 s23, exec_lo
	s_delay_alu instid0(VALU_DEP_1)
	v_cmpx_ne_u32_e32 0x7f, v6
	s_cbranch_execz .LBB247_448
; %bb.445:                              ;   in Loop: Header=BB247_10 Depth=1
	v_and_b32_e32 v146, 7, v14
	v_lshrrev_b32_e32 v2, 3, v6
	s_mov_b32 s24, exec_lo
	v_cmpx_gt_u32_e32 8, v6
; %bb.446:                              ;   in Loop: Header=BB247_10 Depth=1
	s_delay_alu instid0(VALU_DEP_3) | instskip(NEXT) | instid1(VALU_DEP_1)
	v_clz_i32_u32_e32 v2, v146
	v_min_u32_e32 v2, 32, v2
	s_delay_alu instid0(VALU_DEP_1) | instskip(SKIP_1) | instid1(VALU_DEP_2)
	v_subrev_nc_u32_e32 v3, 28, v2
	v_sub_nc_u32_e32 v2, 29, v2
	v_lshlrev_b64 v[6:7], v3, v[146:147]
	s_delay_alu instid0(VALU_DEP_1)
	v_and_b32_e32 v146, 7, v6
; %bb.447:                              ;   in Loop: Header=BB247_10 Depth=1
	s_or_b32 exec_lo, exec_lo, s24
	v_lshlrev_b32_e32 v3, 24, v14
	s_delay_alu instid0(VALU_DEP_2) | instskip(SKIP_1) | instid1(VALU_DEP_3)
	v_lshlrev_b32_e32 v6, 20, v146
	v_lshl_add_u32 v2, v2, 23, 0x3c000000
	v_and_b32_e32 v3, 0x80000000, v3
	s_delay_alu instid0(VALU_DEP_1) | instskip(NEXT) | instid1(VALU_DEP_1)
	v_or3_b32 v146, v6, v3, v2
	v_dual_mov_b32 v2, v146 :: v_dual_mov_b32 v3, v147
.LBB247_448:                            ;   in Loop: Header=BB247_10 Depth=1
	s_or_b32 exec_lo, exec_lo, s23
.LBB247_449:                            ;   in Loop: Header=BB247_10 Depth=1
	s_delay_alu instid0(SALU_CYCLE_1)
	s_or_b32 exec_lo, exec_lo, s18
.LBB247_450:                            ;   in Loop: Header=BB247_10 Depth=1
	s_delay_alu instid0(SALU_CYCLE_1) | instskip(SKIP_2) | instid1(VALU_DEP_1)
	s_or_b32 exec_lo, exec_lo, s3
	v_lshrrev_b16 v15, 8, v14
	s_mov_b32 s3, exec_lo
	v_cmpx_ne_u16_e32 0, v15
	s_cbranch_execz .LBB247_458
; %bb.451:                              ;   in Loop: Header=BB247_10 Depth=1
	v_dual_mov_b32 v0, s8 :: v_dual_mov_b32 v1, s9
	s_mov_b32 s23, exec_lo
	v_cmpx_ne_u16_e32 0x80, v15
	s_cbranch_execz .LBB247_457
; %bb.452:                              ;   in Loop: Header=BB247_10 Depth=1
	s_mov_b32 s18, s8
	v_and_b32_e32 v6, 0xffff, v15
	v_dual_mov_b32 v0, s18 :: v_dual_mov_b32 v1, s19
	s_mov_b32 s18, exec_lo
	s_delay_alu instid0(VALU_DEP_2) | instskip(NEXT) | instid1(VALU_DEP_1)
	v_and_b32_e32 v15, 0x7f, v6
	v_cmpx_ne_u32_e32 0x7f, v15
	s_cbranch_execz .LBB247_456
; %bb.453:                              ;   in Loop: Header=BB247_10 Depth=1
	v_and_b32_e32 v146, 7, v6
	v_lshrrev_b32_e32 v0, 3, v15
	s_mov_b32 s24, exec_lo
	v_cmpx_gt_u32_e32 8, v15
; %bb.454:                              ;   in Loop: Header=BB247_10 Depth=1
	s_delay_alu instid0(VALU_DEP_3) | instskip(NEXT) | instid1(VALU_DEP_1)
	v_clz_i32_u32_e32 v0, v146
	v_min_u32_e32 v0, 32, v0
	s_delay_alu instid0(VALU_DEP_1) | instskip(SKIP_1) | instid1(VALU_DEP_2)
	v_subrev_nc_u32_e32 v1, 28, v0
	v_sub_nc_u32_e32 v0, 29, v0
	v_lshlrev_b64 v[6:7], v1, v[146:147]
	s_delay_alu instid0(VALU_DEP_1)
	v_and_b32_e32 v146, 7, v6
; %bb.455:                              ;   in Loop: Header=BB247_10 Depth=1
	s_or_b32 exec_lo, exec_lo, s24
	v_lshlrev_b32_e32 v1, 16, v14
	s_delay_alu instid0(VALU_DEP_2) | instskip(SKIP_1) | instid1(VALU_DEP_3)
	v_lshlrev_b32_e32 v6, 20, v146
	v_lshl_add_u32 v0, v0, 23, 0x3c000000
	v_and_b32_e32 v1, 0x80000000, v1
	s_delay_alu instid0(VALU_DEP_1)
	v_or3_b32 v1, v6, v1, v0
	v_mov_b32_e32 v0, v147
.LBB247_456:                            ;   in Loop: Header=BB247_10 Depth=1
	s_or_b32 exec_lo, exec_lo, s18
.LBB247_457:                            ;   in Loop: Header=BB247_10 Depth=1
	s_delay_alu instid0(SALU_CYCLE_1)
	s_or_b32 exec_lo, exec_lo, s23
.LBB247_458:                            ;   in Loop: Header=BB247_10 Depth=1
	s_delay_alu instid0(SALU_CYCLE_1)
	s_or_b32 exec_lo, exec_lo, s3
	flat_load_u16 v6, v[160:161] offset:1792
	v_mov_b32_e32 v132, 0
	v_mov_b32_e32 v133, 0
	s_mov_b32 s3, exec_lo
	s_waitcnt vmcnt(0) lgkmcnt(0)
	v_and_b32_e32 v14, 0xffff, v6
	v_dual_mov_b32 v130, v132 :: v_dual_and_b32 v7, 0xff, v6
	v_mov_b32_e32 v131, v133
	s_delay_alu instid0(VALU_DEP_2)
	v_cmpx_ne_u16_e32 0, v7
	s_cbranch_execz .LBB247_466
; %bb.459:                              ;   in Loop: Header=BB247_10 Depth=1
	v_bfrev_b32_e32 v130, 1
	v_dual_mov_b32 v131, 0 :: v_dual_and_b32 v6, 0xff, v14
	s_mov_b32 s18, exec_lo
	s_delay_alu instid0(VALU_DEP_1)
	v_cmpx_ne_u16_e32 0x80, v6
	s_cbranch_execz .LBB247_465
; %bb.460:                              ;   in Loop: Header=BB247_10 Depth=1
	v_mov_b32_e32 v130, 0x7f800001
	v_dual_mov_b32 v131, 0 :: v_dual_and_b32 v6, 0x7f, v14
	s_mov_b32 s23, exec_lo
	s_delay_alu instid0(VALU_DEP_1)
	v_cmpx_ne_u32_e32 0x7f, v6
	s_cbranch_execz .LBB247_464
; %bb.461:                              ;   in Loop: Header=BB247_10 Depth=1
	v_and_b32_e32 v146, 7, v14
	v_lshrrev_b32_e32 v15, 3, v6
	s_mov_b32 s24, exec_lo
	v_cmpx_gt_u32_e32 8, v6
; %bb.462:                              ;   in Loop: Header=BB247_10 Depth=1
	s_delay_alu instid0(VALU_DEP_3) | instskip(NEXT) | instid1(VALU_DEP_1)
	v_clz_i32_u32_e32 v6, v146
	v_min_u32_e32 v8, 32, v6
	s_delay_alu instid0(VALU_DEP_1) | instskip(SKIP_1) | instid1(VALU_DEP_2)
	v_subrev_nc_u32_e32 v6, 28, v8
	v_sub_nc_u32_e32 v15, 29, v8
	v_lshlrev_b64 v[6:7], v6, v[146:147]
	s_delay_alu instid0(VALU_DEP_1)
	v_and_b32_e32 v146, 7, v6
; %bb.463:                              ;   in Loop: Header=BB247_10 Depth=1
	s_or_b32 exec_lo, exec_lo, s24
	v_lshlrev_b32_e32 v6, 24, v14
	s_delay_alu instid0(VALU_DEP_2) | instskip(SKIP_1) | instid1(VALU_DEP_3)
	v_lshlrev_b32_e32 v7, 20, v146
	v_lshl_add_u32 v8, v15, 23, 0x3c000000
	v_and_b32_e32 v6, 0x80000000, v6
	s_delay_alu instid0(VALU_DEP_1) | instskip(NEXT) | instid1(VALU_DEP_1)
	v_or3_b32 v146, v7, v6, v8
	v_dual_mov_b32 v130, v146 :: v_dual_mov_b32 v131, v147
.LBB247_464:                            ;   in Loop: Header=BB247_10 Depth=1
	s_or_b32 exec_lo, exec_lo, s23
.LBB247_465:                            ;   in Loop: Header=BB247_10 Depth=1
	s_delay_alu instid0(SALU_CYCLE_1)
	s_or_b32 exec_lo, exec_lo, s18
.LBB247_466:                            ;   in Loop: Header=BB247_10 Depth=1
	s_delay_alu instid0(SALU_CYCLE_1) | instskip(SKIP_2) | instid1(VALU_DEP_1)
	s_or_b32 exec_lo, exec_lo, s3
	v_lshrrev_b16 v15, 8, v14
	s_mov_b32 s3, exec_lo
	v_cmpx_ne_u16_e32 0, v15
	s_cbranch_execz .LBB247_474
; %bb.467:                              ;   in Loop: Header=BB247_10 Depth=1
	v_dual_mov_b32 v133, s9 :: v_dual_mov_b32 v132, s8
	s_mov_b32 s23, exec_lo
	v_cmpx_ne_u16_e32 0x80, v15
	s_cbranch_execz .LBB247_473
; %bb.468:                              ;   in Loop: Header=BB247_10 Depth=1
	s_mov_b32 s18, s8
	v_dual_mov_b32 v133, s19 :: v_dual_and_b32 v6, 0xffff, v15
	v_mov_b32_e32 v132, s18
	s_mov_b32 s18, exec_lo
	s_delay_alu instid0(VALU_DEP_2) | instskip(NEXT) | instid1(VALU_DEP_1)
	v_and_b32_e32 v24, 0x7f, v6
	v_cmpx_ne_u32_e32 0x7f, v24
	s_cbranch_execz .LBB247_472
; %bb.469:                              ;   in Loop: Header=BB247_10 Depth=1
	v_and_b32_e32 v146, 7, v6
	v_lshrrev_b32_e32 v15, 3, v24
	s_mov_b32 s24, exec_lo
	v_cmpx_gt_u32_e32 8, v24
; %bb.470:                              ;   in Loop: Header=BB247_10 Depth=1
	s_delay_alu instid0(VALU_DEP_3) | instskip(NEXT) | instid1(VALU_DEP_1)
	v_clz_i32_u32_e32 v6, v146
	v_min_u32_e32 v8, 32, v6
	s_delay_alu instid0(VALU_DEP_1) | instskip(SKIP_1) | instid1(VALU_DEP_2)
	v_subrev_nc_u32_e32 v6, 28, v8
	v_sub_nc_u32_e32 v15, 29, v8
	v_lshlrev_b64 v[6:7], v6, v[146:147]
	s_delay_alu instid0(VALU_DEP_1)
	v_and_b32_e32 v146, 7, v6
; %bb.471:                              ;   in Loop: Header=BB247_10 Depth=1
	s_or_b32 exec_lo, exec_lo, s24
	v_lshlrev_b32_e32 v6, 16, v14
	s_delay_alu instid0(VALU_DEP_2) | instskip(SKIP_1) | instid1(VALU_DEP_3)
	v_dual_mov_b32 v132, v147 :: v_dual_lshlrev_b32 v7, 20, v146
	v_lshl_add_u32 v8, v15, 23, 0x3c000000
	v_and_b32_e32 v6, 0x80000000, v6
	s_delay_alu instid0(VALU_DEP_1)
	v_or3_b32 v133, v7, v6, v8
.LBB247_472:                            ;   in Loop: Header=BB247_10 Depth=1
	s_or_b32 exec_lo, exec_lo, s18
.LBB247_473:                            ;   in Loop: Header=BB247_10 Depth=1
	s_delay_alu instid0(SALU_CYCLE_1)
	s_or_b32 exec_lo, exec_lo, s23
.LBB247_474:                            ;   in Loop: Header=BB247_10 Depth=1
	s_delay_alu instid0(SALU_CYCLE_1)
	s_or_b32 exec_lo, exec_lo, s3
	flat_load_u16 v6, v[160:161] offset:1796
	v_mov_b32_e32 v160, 0
	v_mov_b32_e32 v161, 0
	s_mov_b32 s3, exec_lo
	s_waitcnt vmcnt(0) lgkmcnt(0)
	v_and_b32_e32 v24, 0xffff, v6
	v_dual_mov_b32 v14, v160 :: v_dual_and_b32 v7, 0xff, v6
	v_mov_b32_e32 v15, v161
	s_delay_alu instid0(VALU_DEP_2)
	v_cmpx_ne_u16_e32 0, v7
	s_cbranch_execz .LBB247_482
; %bb.475:                              ;   in Loop: Header=BB247_10 Depth=1
	v_bfrev_b32_e32 v14, 1
	v_dual_mov_b32 v15, 0 :: v_dual_and_b32 v6, 0xff, v24
	s_mov_b32 s18, exec_lo
	s_delay_alu instid0(VALU_DEP_1)
	v_cmpx_ne_u16_e32 0x80, v6
	s_cbranch_execz .LBB247_481
; %bb.476:                              ;   in Loop: Header=BB247_10 Depth=1
	v_mov_b32_e32 v14, 0x7f800001
	v_dual_mov_b32 v15, 0 :: v_dual_and_b32 v6, 0x7f, v24
	s_mov_b32 s23, exec_lo
	s_delay_alu instid0(VALU_DEP_1)
	v_cmpx_ne_u32_e32 0x7f, v6
	s_cbranch_execz .LBB247_480
; %bb.477:                              ;   in Loop: Header=BB247_10 Depth=1
	v_and_b32_e32 v146, 7, v24
	v_lshrrev_b32_e32 v14, 3, v6
	s_mov_b32 s24, exec_lo
	v_cmpx_gt_u32_e32 8, v6
; %bb.478:                              ;   in Loop: Header=BB247_10 Depth=1
	s_delay_alu instid0(VALU_DEP_3) | instskip(NEXT) | instid1(VALU_DEP_1)
	v_clz_i32_u32_e32 v6, v146
	v_min_u32_e32 v8, 32, v6
	s_delay_alu instid0(VALU_DEP_1) | instskip(SKIP_1) | instid1(VALU_DEP_2)
	v_subrev_nc_u32_e32 v6, 28, v8
	v_sub_nc_u32_e32 v14, 29, v8
	v_lshlrev_b64 v[6:7], v6, v[146:147]
	s_delay_alu instid0(VALU_DEP_1)
	v_and_b32_e32 v146, 7, v6
; %bb.479:                              ;   in Loop: Header=BB247_10 Depth=1
	s_or_b32 exec_lo, exec_lo, s24
	v_lshlrev_b32_e32 v6, 24, v24
	s_delay_alu instid0(VALU_DEP_2) | instskip(SKIP_1) | instid1(VALU_DEP_3)
	v_lshlrev_b32_e32 v7, 20, v146
	v_lshl_add_u32 v8, v14, 23, 0x3c000000
	v_and_b32_e32 v6, 0x80000000, v6
	s_delay_alu instid0(VALU_DEP_1) | instskip(NEXT) | instid1(VALU_DEP_1)
	v_or3_b32 v146, v7, v6, v8
	v_dual_mov_b32 v14, v146 :: v_dual_mov_b32 v15, v147
.LBB247_480:                            ;   in Loop: Header=BB247_10 Depth=1
	s_or_b32 exec_lo, exec_lo, s23
.LBB247_481:                            ;   in Loop: Header=BB247_10 Depth=1
	s_delay_alu instid0(SALU_CYCLE_1)
	s_or_b32 exec_lo, exec_lo, s18
.LBB247_482:                            ;   in Loop: Header=BB247_10 Depth=1
	s_delay_alu instid0(SALU_CYCLE_1) | instskip(SKIP_2) | instid1(VALU_DEP_1)
	s_or_b32 exec_lo, exec_lo, s3
	v_lshrrev_b16 v146, 8, v24
	s_mov_b32 s3, exec_lo
	v_cmpx_ne_u16_e64 0, v146
	s_cbranch_execz .LBB247_490
; %bb.483:                              ;   in Loop: Header=BB247_10 Depth=1
	v_dual_mov_b32 v161, s9 :: v_dual_mov_b32 v160, s8
	s_mov_b32 s23, exec_lo
	v_cmpx_ne_u16_e64 0x80, v146
	s_cbranch_execz .LBB247_489
; %bb.484:                              ;   in Loop: Header=BB247_10 Depth=1
	s_mov_b32 s18, s8
	v_and_b32_e32 v7, 0xffff, v146
	v_dual_mov_b32 v161, s19 :: v_dual_mov_b32 v160, s18
	s_mov_b32 s18, exec_lo
	s_delay_alu instid0(VALU_DEP_2) | instskip(NEXT) | instid1(VALU_DEP_1)
	v_and_b32_e32 v6, 0x7f, v7
	v_cmpx_ne_u32_e32 0x7f, v6
	s_cbranch_execz .LBB247_488
; %bb.485:                              ;   in Loop: Header=BB247_10 Depth=1
	v_and_b32_e32 v146, 7, v7
	v_lshrrev_b32_e32 v160, 3, v6
	s_mov_b32 s24, exec_lo
	v_cmpx_gt_u32_e32 8, v6
; %bb.486:                              ;   in Loop: Header=BB247_10 Depth=1
	s_delay_alu instid0(VALU_DEP_3) | instskip(NEXT) | instid1(VALU_DEP_1)
	v_clz_i32_u32_e32 v6, v146
	v_min_u32_e32 v8, 32, v6
	s_delay_alu instid0(VALU_DEP_1) | instskip(SKIP_1) | instid1(VALU_DEP_2)
	v_subrev_nc_u32_e32 v6, 28, v8
	v_sub_nc_u32_e32 v160, 29, v8
	v_lshlrev_b64 v[6:7], v6, v[146:147]
	s_delay_alu instid0(VALU_DEP_1)
	v_and_b32_e32 v146, 7, v6
; %bb.487:                              ;   in Loop: Header=BB247_10 Depth=1
	s_or_b32 exec_lo, exec_lo, s24
	v_lshlrev_b32_e32 v6, 16, v24
	s_delay_alu instid0(VALU_DEP_2) | instskip(SKIP_2) | instid1(VALU_DEP_4)
	v_lshlrev_b32_e32 v7, 20, v146
	v_lshl_add_u32 v8, v160, 23, 0x3c000000
	v_mov_b32_e32 v160, v147
	v_and_b32_e32 v6, 0x80000000, v6
	s_delay_alu instid0(VALU_DEP_1)
	v_or3_b32 v161, v7, v6, v8
.LBB247_488:                            ;   in Loop: Header=BB247_10 Depth=1
	s_or_b32 exec_lo, exec_lo, s18
.LBB247_489:                            ;   in Loop: Header=BB247_10 Depth=1
	s_delay_alu instid0(SALU_CYCLE_1)
	s_or_b32 exec_lo, exec_lo, s23
.LBB247_490:                            ;   in Loop: Header=BB247_10 Depth=1
	s_delay_alu instid0(SALU_CYCLE_1)
	s_or_b32 exec_lo, exec_lo, s3
	v_or_b32_e32 v166, v166, v176
	v_or_b32_e32 v6, v163, v165
	;; [unrolled: 1-line block ×7, first 2 shown]
	scratch_load_b128 v[76:79], off, s32 offset:352 ; 16-byte Folded Reload
	v_or_b32_e32 v8, v149, v151
	v_or_b32_e32 v9, v148, v150
	;; [unrolled: 1-line block ×3, first 2 shown]
	v_mul_f32_e32 v7, v25, v7
	v_or_b32_e32 v24, v145, v27
	v_mul_f32_e32 v8, v25, v8
	v_mul_f32_e32 v9, v25, v9
	v_or_b32_e32 v4, v11, v4
	v_mul_f32_e32 v11, v25, v26
	v_or_b32_e32 v0, v0, v2
	v_or_b32_e32 v167, v167, v177
	v_or_b32_e32 v178, v178, v180
	v_mul_f32_e32 v4, v25, v4
	v_or_b32_e32 v146, v179, v181
	v_mul_f32_e32 v0, v25, v0
	v_or_b32_e32 v1, v1, v3
	v_or_b32_e32 v2, v161, v15
	;; [unrolled: 1-line block ×6, first 2 shown]
	v_mul_f32_e32 v2, v25, v2
	v_mul_f32_e32 v3, v25, v3
	v_or_b32_e32 v132, v183, v41
	v_or_b32_e32 v144, v42, v44
	v_or_b32_e32 v27, v43, v45
	v_or_b32_e32 v148, v46, v56
	v_or_b32_e32 v145, v47, v57
	v_or_b32_e32 v150, v58, v60
	v_or_b32_e32 v149, v59, v61
	v_or_b32_e32 v162, v62, v72
	v_or_b32_e32 v151, v63, v73
	v_or_b32_e32 v179, v90, v92
	v_or_b32_e32 v177, v91, v93
	v_or_b32_e32 v181, v94, v104
	v_or_b32_e32 v180, v95, v105
	v_or_b32_e32 v183, v106, v108
	v_or_b32_e32 v182, v107, v109
	v_or_b32_e32 v41, v110, v120
	v_or_b32_e32 v40, v111, v121
	v_or_b32_e32 v43, v122, v124
	v_or_b32_e32 v42, v123, v125
	v_or_b32_e32 v45, v126, v136
	v_or_b32_e32 v44, v127, v137
	v_or_b32_e32 v47, v138, v140
	v_or_b32_e32 v46, v139, v141
	v_or_b32_e32 v57, v142, v152
	v_or_b32_e32 v56, v143, v153
	v_or_b32_e32 v59, v154, v156
	v_or_b32_e32 v58, v155, v157
	v_or_b32_e32 v61, v158, v168
	v_or_b32_e32 v60, v159, v169
	v_or_b32_e32 v63, v170, v172
	v_or_b32_e32 v62, v171, v173
	v_or_b32_e32 v73, v174, v184
	v_or_b32_e32 v72, v175, v185
	v_or_b32_e32 v75, v186, v188
	v_or_b32_e32 v74, v187, v189
	v_or_b32_e32 v128, v190, v128
	v_or_b32_e32 v129, v191, v129
	v_or_b32_e32 v5, v12, v5
	v_mul_f32_e32 v6, v25, v6
	s_waitcnt vmcnt(0)
	v_dual_mul_f32 v8, v79, v8 :: v_dual_mul_f32 v9, v78, v9
	s_delay_alu instid0(VALU_DEP_1) | instskip(SKIP_1) | instid1(VALU_DEP_2)
	v_fmac_f32_e32 v9, v76, v11
	v_mul_f32_e32 v11, v25, v24
	v_fmac_f32_e32 v9, v16, v7
	s_delay_alu instid0(VALU_DEP_2) | instskip(NEXT) | instid1(VALU_DEP_1)
	v_fmac_f32_e32 v8, v77, v11
	v_fmac_f32_e32 v8, v17, v6
	v_mul_f32_e32 v6, v25, v166
	s_delay_alu instid0(VALU_DEP_1) | instskip(NEXT) | instid1(VALU_DEP_1)
	v_dual_fmac_f32 v9, v18, v6 :: v_dual_mul_f32 v6, v25, v167
	v_fmac_f32_e32 v8, v19, v6
	v_mul_f32_e32 v6, v25, v178
	s_delay_alu instid0(VALU_DEP_1) | instskip(SKIP_1) | instid1(VALU_DEP_1)
	v_fmac_f32_e32 v9, v28, v6
	v_mul_f32_e32 v6, v25, v146
	v_fmac_f32_e32 v8, v29, v6
	v_mul_f32_e32 v6, v25, v133
	s_delay_alu instid0(VALU_DEP_1) | instskip(NEXT) | instid1(VALU_DEP_1)
	v_dual_fmac_f32 v9, v30, v6 :: v_dual_mul_f32 v6, v25, v132
	v_fmac_f32_e32 v8, v31, v6
	v_mul_f32_e32 v6, v25, v144
	s_delay_alu instid0(VALU_DEP_1) | instskip(NEXT) | instid1(VALU_DEP_1)
	v_dual_fmac_f32 v9, v32, v6 :: v_dual_mul_f32 v6, v25, v27
	;; [unrolled: 4-line block ×9, first 2 shown]
	v_fmac_f32_e32 v8, v55, v6
	v_mul_f32_e32 v6, v25, v183
	s_delay_alu instid0(VALU_DEP_1) | instskip(SKIP_1) | instid1(VALU_DEP_1)
	v_fmac_f32_e32 v9, v64, v6
	v_mul_f32_e32 v6, v25, v182
	v_fmac_f32_e32 v8, v65, v6
	v_mul_f32_e32 v6, v25, v41
	s_delay_alu instid0(VALU_DEP_1) | instskip(NEXT) | instid1(VALU_DEP_1)
	v_dual_fmac_f32 v9, v66, v6 :: v_dual_mul_f32 v6, v25, v40
	v_fmac_f32_e32 v8, v67, v6
	v_mul_f32_e32 v6, v25, v43
	s_delay_alu instid0(VALU_DEP_1) | instskip(SKIP_1) | instid1(VALU_DEP_1)
	v_fmac_f32_e32 v9, v68, v6
	v_mul_f32_e32 v6, v25, v42
	v_fmac_f32_e32 v8, v69, v6
	v_mul_f32_e32 v6, v25, v45
	s_delay_alu instid0(VALU_DEP_1) | instskip(NEXT) | instid1(VALU_DEP_1)
	v_dual_fmac_f32 v9, v70, v6 :: v_dual_mul_f32 v6, v25, v44
	;; [unrolled: 9-line block ×6, first 2 shown]
	v_dual_fmac_f32 v9, v112, v4 :: v_dual_fmac_f32 v8, v103, v6
	s_delay_alu instid0(VALU_DEP_1) | instskip(SKIP_1) | instid1(VALU_DEP_2)
	v_dual_mul_f32 v4, v25, v5 :: v_dual_fmac_f32 v9, v114, v0
	v_mul_f32_e32 v0, v25, v1
	v_fmac_f32_e32 v8, v113, v4
	s_delay_alu instid0(VALU_DEP_1) | instskip(SKIP_1) | instid1(VALU_DEP_2)
	v_dual_mul_f32 v1, v25, v131 :: v_dual_fmac_f32 v8, v115, v0
	v_mul_f32_e32 v0, v25, v130
	v_fmac_f32_e32 v8, v117, v1
	scratch_load_b32 v1, off, s32 offset:368 ; 4-byte Folded Reload
	v_dual_fmac_f32 v9, v116, v0 :: v_dual_fmac_f32 v8, v119, v2
	s_delay_alu instid0(VALU_DEP_1) | instskip(NEXT) | instid1(VALU_DEP_1)
	v_fmac_f32_e32 v9, v118, v3
	v_add_f32_e32 v0, v9, v8
	s_waitcnt vmcnt(0)
	ds_bpermute_b32 v1, v1, v0
	s_and_saveexec_b32 s3, vcc_lo
	s_cbranch_execz .LBB247_9
; %bb.491:                              ;   in Loop: Header=BB247_10 Depth=1
	scratch_load_b32 v3, off, s32 offset:376 ; 4-byte Folded Reload
	v_sub_nc_u32_e32 v2, 1, v22
	s_waitcnt lgkmcnt(0)
	v_add_f32_e32 v0, v0, v1
	scratch_load_b32 v4, off, s32 offset:336 ; 4-byte Folded Reload
	s_load_b32 s18, s[16:17], 0x0
	v_cmp_lt_i32_e64 s2, v13, v22
	v_add_nc_u32_e32 v2, v2, v13
	s_delay_alu instid0(VALU_DEP_1) | instskip(SKIP_1) | instid1(VALU_DEP_1)
	v_cvt_f32_i32_e32 v2, v2
	s_waitcnt vmcnt(1)
	v_mul_f32_e32 v2, v3, v2
	scratch_load_b32 v3, off, s32 offset:372 ; 4-byte Folded Reload
	v_cndmask_b32_e64 v1, 0, v2, s1
	s_waitcnt vmcnt(1)
	v_max_f32_e32 v2, v4, v4
	s_waitcnt vmcnt(0)
	s_delay_alu instid0(VALU_DEP_2) | instskip(NEXT) | instid1(VALU_DEP_1)
	v_fmac_f32_e32 v1, v0, v3
	v_max_f32_e32 v0, v2, v1
	s_waitcnt lgkmcnt(0)
	v_add_nc_u32_e32 v2, s18, v10
	v_cndmask_b32_e64 v1, 0, v1, s2
	s_delay_alu instid0(VALU_DEP_3)
	v_cndmask_b32_e64 v4, v4, v0, s2
	ds_store_b32 v2, v1
	scratch_store_b32 off, v4, s32 offset:336 ; 4-byte Folded Spill
	s_branch .LBB247_9
.LBB247_492:
	s_or_b32 exec_lo, exec_lo, s7
	s_clause 0x11
	scratch_load_b32 v179, off, s32 offset:388
	scratch_load_b32 v52, off, s32 offset:392
	;; [unrolled: 1-line block ×4, first 2 shown]
	scratch_load_b64 v[26:27], off, s32 offset:404
	scratch_load_b32 v13, off, s32 offset:412
	scratch_load_b32 v51, off, s32 offset:416
	;; [unrolled: 1-line block ×8, first 2 shown]
	scratch_load_b64 v[128:129], off, s32 offset:444
	scratch_load_b32 v17, off, s32 offset:452
	scratch_load_b32 v18, off, s32 offset:456
	;; [unrolled: 1-line block ×4, first 2 shown]
	v_mov_b32_e32 v11, 32
.LBB247_493:
	s_or_b32 exec_lo, exec_lo, s21
	s_waitcnt vmcnt(1)
	v_xor_b32_e32 v0, 16, v10
	s_waitcnt lgkmcnt(0)
	v_xor_b32_e32 v1, 8, v10
	s_waitcnt vmcnt(0)
	v_max_f32_e32 v4, v3, v3
	v_xor_b32_e32 v5, 2, v10
	v_and_b32_e32 v24, 31, v179
	v_cmp_lt_i32_e32 vcc_lo, v0, v11
	s_lshr_b32 s8, s22, 16
	v_cndmask_b32_e32 v0, v10, v0, vcc_lo
	v_cmp_lt_i32_e32 vcc_lo, v1, v11
	s_delay_alu instid0(VALU_DEP_2) | instskip(SKIP_3) | instid1(VALU_DEP_1)
	v_dual_cndmask_b32 v1, v10, v1 :: v_dual_lshlrev_b32 v2, 2, v0
	ds_bpermute_b32 v0, v2, v3
	s_waitcnt lgkmcnt(0)
	v_dual_max_f32 v0, v0, v0 :: v_dual_lshlrev_b32 v3, 2, v1
	v_max_f32_e32 v0, v4, v0
	v_xor_b32_e32 v4, 4, v10
	s_delay_alu instid0(VALU_DEP_1)
	v_cmp_lt_i32_e32 vcc_lo, v4, v11
	v_cndmask_b32_e32 v4, v10, v4, vcc_lo
	v_cmp_lt_i32_e32 vcc_lo, v5, v11
	v_cndmask_b32_e32 v5, v10, v5, vcc_lo
	ds_bpermute_b32 v1, v3, v0
	v_cmp_eq_u32_e32 vcc_lo, 0, v24
	v_lshlrev_b32_e32 v25, 2, v5
	v_lshlrev_b32_e32 v4, 2, v4
	v_lshlrev_b32_e32 v5, 2, v52
	s_waitcnt lgkmcnt(0)
	v_max_f32_e32 v1, v1, v1
	s_delay_alu instid0(VALU_DEP_1) | instskip(SKIP_3) | instid1(VALU_DEP_1)
	v_max_f32_e32 v0, v0, v1
	ds_bpermute_b32 v1, v4, v0
	s_waitcnt lgkmcnt(0)
	v_max_f32_e32 v1, v1, v1
	v_max_f32_e32 v0, v0, v1
	ds_bpermute_b32 v1, v25, v0
	s_and_saveexec_b32 s1, vcc_lo
	s_cbranch_execz .LBB247_495
; %bb.494:
	s_waitcnt lgkmcnt(0)
	v_dual_max_f32 v1, v1, v1 :: v_dual_max_f32 v0, v0, v0
	s_delay_alu instid0(VALU_DEP_1)
	v_max_f32_e32 v0, v0, v1
	ds_store_b32 v5, v0 offset:480
.LBB247_495:
	s_or_b32 exec_lo, exec_lo, s1
	v_cmp_gt_u32_e64 s1, 4, v24
	v_mov_b32_e32 v0, 0xff7fffff
	v_lshlrev_b32_e32 v6, 2, v24
	s_waitcnt lgkmcnt(0)
	s_waitcnt_vscnt null, 0x0
	s_barrier
	buffer_gl0_inv
	s_and_saveexec_b32 s2, s1
	s_cbranch_execz .LBB247_497
; %bb.496:
	ds_load_b32 v0, v6 offset:480
.LBB247_497:
	s_or_b32 exec_lo, exec_lo, s2
	scratch_load_b32 v8, off, s32 offset:324 ; 4-byte Folded Reload
	s_waitcnt lgkmcnt(0)
	ds_bpermute_b32 v1, v25, v0
	v_xor_b32_e32 v7, 1, v10
	v_max_f32_e32 v0, v0, v0
	s_delay_alu instid0(VALU_DEP_2) | instskip(NEXT) | instid1(VALU_DEP_1)
	v_cmp_lt_i32_e64 s2, v7, v11
	v_cndmask_b32_e64 v7, v10, v7, s2
	s_waitcnt lgkmcnt(0)
	v_max_f32_e32 v1, v1, v1
	s_delay_alu instid0(VALU_DEP_1) | instskip(SKIP_3) | instid1(VALU_DEP_1)
	v_dual_max_f32 v0, v0, v1 :: v_dual_lshlrev_b32 v181, 2, v7
	ds_bpermute_b32 v1, v181, v0
	s_waitcnt lgkmcnt(0)
	v_max_f32_e32 v1, v1, v1
	v_dual_max_f32 v0, v0, v1 :: v_dual_lshlrev_b32 v7, 2, v10
	s_delay_alu instid0(VALU_DEP_1) | instskip(SKIP_3) | instid1(VALU_DEP_1)
	v_and_b32_e32 v7, 0xffffff80, v7
	ds_bpermute_b32 v0, v7, v0
	s_waitcnt vmcnt(0)
	v_subrev_nc_u32_e32 v8, s13, v8
	v_lshl_add_u32 v1, v8, 4, s11
	v_mov_b32_e32 v8, 0
	s_delay_alu instid0(VALU_DEP_2) | instskip(NEXT) | instid1(VALU_DEP_1)
	v_min_i32_e32 v1, v1, v22
	v_subrev_nc_u32_e32 v1, s11, v1
	s_delay_alu instid0(VALU_DEP_1) | instskip(NEXT) | instid1(VALU_DEP_1)
	v_cmp_lt_i32_e64 s2, v179, v1
	s_and_saveexec_b32 s9, s2
	s_cbranch_execz .LBB247_501
; %bb.498:
	s_getpc_b64 s[16:17]
	s_add_u32 s16, s16, llvm.amdgcn.dynlds.offset.table@rel32@lo+4
	s_addc_u32 s17, s17, llvm.amdgcn.dynlds.offset.table@rel32@hi+12
	s_ashr_i32 s7, s6, 31
	v_mov_b32_e32 v8, 0
	s_lshl_b64 s[18:19], s[6:7], 2
	v_mov_b32_e32 v10, v179
	s_add_u32 s16, s18, s16
	s_addc_u32 s17, s19, s17
	s_mov_b32 s7, 0
	s_load_b32 s3, s[16:17], 0x0
	s_waitcnt lgkmcnt(0)
	v_lshl_add_u32 v9, v179, 2, s3
	.p2align	6
.LBB247_499:                            ; =>This Inner Loop Header: Depth=1
	ds_load_b32 v11, v9
	v_add_nc_u32_e32 v10, 0x80, v10
	s_delay_alu instid0(VALU_DEP_1) | instskip(NEXT) | instid1(VALU_DEP_1)
	v_cmp_ge_i32_e64 s3, v10, v1
	s_or_b32 s7, s3, s7
	s_waitcnt lgkmcnt(0)
	v_sub_f32_e32 v11, v11, v0
	s_delay_alu instid0(VALU_DEP_1) | instskip(NEXT) | instid1(VALU_DEP_1)
	v_mul_f32_e32 v11, 0x3fb8aa3b, v11
	v_exp_f32_e32 v11, v11
	ds_store_b32 v9, v11
	v_dual_add_f32 v8, v8, v11 :: v_dual_add_nc_u32 v9, 0x200, v9
	s_and_not1_b32 exec_lo, exec_lo, s7
	s_cbranch_execnz .LBB247_499
; %bb.500:
	s_or_b32 exec_lo, exec_lo, s7
.LBB247_501:
	s_delay_alu instid0(SALU_CYCLE_1)
	s_or_b32 exec_lo, exec_lo, s9
	ds_bpermute_b32 v2, v2, v8
	s_waitcnt lgkmcnt(0)
	v_add_f32_e32 v2, v8, v2
	ds_bpermute_b32 v3, v3, v2
	s_waitcnt lgkmcnt(0)
	v_add_f32_e32 v2, v2, v3
	;; [unrolled: 3-line block ×5, first 2 shown]
	s_and_saveexec_b32 s3, vcc_lo
	s_cbranch_execz .LBB247_503
; %bb.502:
	ds_store_b32 v5, v2 offset:496
.LBB247_503:
	s_or_b32 exec_lo, exec_lo, s3
	s_waitcnt lgkmcnt(0)
	s_barrier
	buffer_gl0_inv
	s_and_saveexec_b32 s3, s1
	s_cbranch_execz .LBB247_505
; %bb.504:
	ds_load_b32 v2, v6 offset:496
.LBB247_505:
	s_or_b32 exec_lo, exec_lo, s3
	s_waitcnt lgkmcnt(0)
	ds_bpermute_b32 v3, v25, v2
	s_waitcnt lgkmcnt(0)
	v_add_f32_e32 v2, v2, v3
	ds_bpermute_b32 v3, v181, v2
	s_waitcnt lgkmcnt(0)
	v_add_f32_e32 v2, v2, v3
	ds_bpermute_b32 v2, v7, v2
	s_and_saveexec_b32 s1, s2
	s_cbranch_execz .LBB247_508
; %bb.506:
	s_waitcnt lgkmcnt(0)
	v_add_f32_e32 v4, 0x358637bd, v2
	s_getpc_b64 s[2:3]
	s_add_u32 s2, s2, llvm.amdgcn.dynlds.offset.table@rel32@lo+4
	s_addc_u32 s3, s3, llvm.amdgcn.dynlds.offset.table@rel32@hi+12
	s_ashr_i32 s7, s6, 31
	s_delay_alu instid0(SALU_CYCLE_1) | instskip(SKIP_4) | instid1(VALU_DEP_1)
	s_lshl_b64 s[16:17], s[6:7], 2
	v_div_scale_f32 v3, null, v4, v4, 1.0
	s_add_u32 s2, s16, s2
	s_addc_u32 s3, s17, s3
	s_load_b32 s2, s[2:3], 0x0
	v_rcp_f32_e32 v5, v3
	s_waitcnt_depctr 0xfff
	v_fma_f32 v6, -v3, v5, 1.0
	s_delay_alu instid0(VALU_DEP_1) | instskip(SKIP_1) | instid1(VALU_DEP_1)
	v_fmac_f32_e32 v5, v6, v5
	v_div_scale_f32 v7, vcc_lo, 1.0, v4, 1.0
	v_mul_f32_e32 v6, v7, v5
	s_delay_alu instid0(VALU_DEP_1) | instskip(NEXT) | instid1(VALU_DEP_1)
	v_fma_f32 v8, -v3, v6, v7
	v_fmac_f32_e32 v6, v8, v5
	s_delay_alu instid0(VALU_DEP_1) | instskip(NEXT) | instid1(VALU_DEP_1)
	v_fma_f32 v3, -v3, v6, v7
	v_div_fmas_f32 v5, v3, v5, v6
	s_waitcnt lgkmcnt(0)
	v_lshl_add_u32 v3, v179, 2, s2
	s_mov_b32 s2, 0
	s_delay_alu instid0(VALU_DEP_2)
	v_div_fixup_f32 v4, v5, v4, 1.0
	v_mov_b32_e32 v5, v179
.LBB247_507:                            ; =>This Inner Loop Header: Depth=1
	ds_load_b32 v6, v3
	s_waitcnt lgkmcnt(0)
	v_dual_mul_f32 v6, v4, v6 :: v_dual_add_nc_u32 v5, 0x80, v5
	s_delay_alu instid0(VALU_DEP_1) | instskip(SKIP_3) | instid1(SALU_CYCLE_1)
	v_cmp_ge_i32_e32 vcc_lo, v5, v1
	ds_store_b32 v3, v6
	v_add_nc_u32_e32 v3, 0x200, v3
	s_or_b32 s2, vcc_lo, s2
	s_and_not1_b32 exec_lo, exec_lo, s2
	s_cbranch_execnz .LBB247_507
.LBB247_508:
	s_or_b32 exec_lo, exec_lo, s1
	v_cmp_ne_u16_e64 s1, s8, 0
	s_waitcnt lgkmcnt(0)
	s_barrier
	buffer_gl0_inv
	s_cmp_lg_u32 s1, 0
	s_addc_u32 s1, s5, 0
	s_mov_b32 s5, exec_lo
	s_mul_i32 s2, s1, s10
	s_delay_alu instid0(SALU_CYCLE_1)
	s_mul_i32 s2, s2, s15
	v_cmpx_eq_u32_e32 0, v179
	s_cbranch_execz .LBB247_510
; %bb.509:
	s_mul_i32 s8, s1, s12
	s_ashr_i32 s15, s14, 31
	s_ashr_i32 s9, s8, 31
	;; [unrolled: 1-line block ×3, first 2 shown]
	s_lshl_b64 s[8:9], s[8:9], 2
	s_lshl_b64 s[12:13], s[14:15], 2
	;; [unrolled: 1-line block ×3, first 2 shown]
	s_add_u32 s3, s12, s8
	s_addc_u32 s7, s13, s9
	s_add_u32 s3, s3, s16
	s_addc_u32 s7, s7, s17
	v_add_co_u32 v3, vcc_lo, s3, v32
	v_add_co_ci_u32_e32 v4, vcc_lo, s7, v30, vcc_lo
	v_add_co_u32 v5, vcc_lo, s3, v29
	v_add_co_ci_u32_e32 v6, vcc_lo, s7, v28, vcc_lo
	flat_store_b32 v[3:4], v0
	flat_store_b32 v[5:6], v2
.LBB247_510:
	s_or_b32 exec_lo, exec_lo, s5
                                        ; implicit-def: $sgpr5
	s_and_saveexec_b32 s3, s0
	s_delay_alu instid0(SALU_CYCLE_1)
	s_xor_b32 s0, exec_lo, s3
; %bb.511:
	s_ashr_i32 s7, s6, 31
	s_mov_b32 s5, 0
                                        ; implicit-def: $vgpr0
                                        ; implicit-def: $vgpr22
                                        ; implicit-def: $vgpr12
                                        ; kill: killed $vgpr0
                                        ; implicit-def: $vgpr20
                                        ; implicit-def: $vgpr51
                                        ; implicit-def: $vgpr13
                                        ; implicit-def: $vgpr14
                                        ; implicit-def: $vgpr15
                                        ; implicit-def: $vgpr0
                                        ; kill: killed $vgpr0
                                        ; implicit-def: $vgpr26_vgpr27
                                        ; implicit-def: $vgpr17
                                        ; implicit-def: $vgpr18
                                        ; implicit-def: $vgpr128_vgpr129
                                        ; implicit-def: $vgpr16
; %bb.512:
	s_or_saveexec_b32 s3, s0
	v_dual_mov_b32 v0, s6 :: v_dual_mov_b32 v49, s5
	v_dual_mov_b32 v38, s5 :: v_dual_mov_b32 v1, s7
	v_dual_mov_b32 v39, s5 :: v_dual_and_b32 v182, 3, v179
	v_dual_mov_b32 v48, s5 :: v_dual_mov_b32 v37, s5
	v_dual_mov_b32 v36, s5 :: v_dual_mov_b32 v35, s5
	;; [unrolled: 1-line block ×6, first 2 shown]
	s_xor_b32 exec_lo, exec_lo, s3
	s_cbranch_execz .LBB247_1026
; %bb.513:
	flat_load_b32 v50, v[26:27]
	s_ashr_i32 s7, s6, 31
	s_getpc_b64 s[8:9]
	s_add_u32 s8, s8, llvm.amdgcn.dynlds.offset.table@rel32@lo+4
	s_addc_u32 s9, s9, llvm.amdgcn.dynlds.offset.table@rel32@hi+12
	v_lshl_add_u32 v6, v52, 4, s11
	s_lshl_b64 s[10:11], s[6:7], 2
	v_add_co_u32 v3, vcc_lo, v51, v17
	s_add_u32 s8, s10, s8
	s_addc_u32 s9, s11, s9
	v_dual_mov_b32 v30, 0 :: v_dual_and_b32 v5, 0x7c, v16
	s_load_b32 s0, s[8:9], 0x0
	v_add_co_ci_u32_e32 v4, vcc_lo, v13, v18, vcc_lo
	v_lshlrev_b64 v[0:1], 2, v[20:21]
	v_dual_mov_b32 v7, 0 :: v_dual_and_b32 v2, 12, v16
	v_dual_mov_b32 v23, 0 :: v_dual_lshlrev_b32 v10, 4, v182
	v_add_co_u32 v8, vcc_lo, v3, v5
	v_add_co_ci_u32_e32 v9, vcc_lo, 0, v4, vcc_lo
	v_add_co_u32 v0, vcc_lo, v128, v0
	v_add3_u32 v21, v6, v2, 3
	v_add_co_ci_u32_e32 v1, vcc_lo, v129, v1, vcc_lo
	v_lshl_or_b32 v2, v52, 6, v10
	s_delay_alu instid0(VALU_DEP_4)
	v_add_co_u32 v10, vcc_lo, v14, v0
	v_dual_mov_b32 v28, 0 :: v_dual_add_nc_u32 v51, -1, v12
	v_dual_mov_b32 v29, 0 :: v_dual_mov_b32 v32, 0
	v_dual_mov_b32 v31, 0 :: v_dual_mov_b32 v34, 0
	;; [unrolled: 1-line block ×6, first 2 shown]
	s_waitcnt lgkmcnt(0)
	v_dual_mov_b32 v49, 0 :: v_dual_add_nc_u32 v52, s0, v2
	v_add_co_ci_u32_e32 v11, vcc_lo, v15, v1, vcc_lo
	s_mov_b32 s8, 0
	s_brev_b32 s9, 1
	s_mov_b32 s11, 0x7f800001
	s_mov_b32 s5, s8
	s_waitcnt vmcnt(0)
	v_mov_b32_e32 v53, v50
	s_branch .LBB247_515
.LBB247_514:                            ;   in Loop: Header=BB247_515 Depth=1
	s_or_b32 exec_lo, exec_lo, s0
	v_mul_f32_e32 v14, v1, v164
	v_mul_f32_e32 v16, v1, v148
	;; [unrolled: 1-line block ×4, first 2 shown]
	v_add_co_u32 v10, s0, v10, 16
	v_dual_fmac_f32 v14, v0, v163 :: v_dual_mul_f32 v17, v1, v144
	v_fmac_f32_e32 v16, v0, v147
	v_fmac_f32_e32 v15, v0, v151
	s_delay_alu instid0(VALU_DEP_3) | instskip(NEXT) | instid1(VALU_DEP_3)
	v_dual_fmac_f32 v13, v0, v165 :: v_dual_fmac_f32 v14, v2, v162
	v_dual_fmac_f32 v17, v0, v135 :: v_dual_fmac_f32 v16, v2, v146
	s_delay_alu instid0(VALU_DEP_3) | instskip(NEXT) | instid1(VALU_DEP_3)
	v_fmac_f32_e32 v15, v2, v150
	v_dual_fmac_f32 v13, v2, v19 :: v_dual_fmac_f32 v14, v3, v161
	v_add_co_ci_u32_e64 v11, s0, 0, v11, s0
	s_delay_alu instid0(VALU_DEP_4) | instskip(NEXT) | instid1(VALU_DEP_4)
	v_fmac_f32_e32 v16, v3, v145
	v_fmac_f32_e32 v15, v3, v149
	s_delay_alu instid0(VALU_DEP_4) | instskip(SKIP_1) | instid1(VALU_DEP_3)
	v_add_f32_e32 v29, v29, v14
	v_dual_mul_f32 v14, v1, v128 :: v_dual_fmac_f32 v13, v3, v18
	v_dual_add_f32 v31, v31, v16 :: v_dual_add_f32 v30, v30, v15
	v_dual_fmac_f32 v17, v2, v134 :: v_dual_mul_f32 v16, v1, v112
	s_delay_alu instid0(VALU_DEP_3) | instskip(NEXT) | instid1(VALU_DEP_4)
	v_add_f32_e32 v28, v28, v13
	v_dual_fmac_f32 v14, v0, v119 :: v_dual_add_nc_u32 v21, 64, v21
	s_delay_alu instid0(VALU_DEP_3) | instskip(NEXT) | instid1(VALU_DEP_4)
	v_fmac_f32_e32 v17, v3, v133
	v_dual_mul_f32 v13, v1, v132 :: v_dual_fmac_f32 v16, v0, v103
	s_delay_alu instid0(VALU_DEP_3) | instskip(NEXT) | instid1(VALU_DEP_3)
	v_dual_fmac_f32 v14, v2, v118 :: v_dual_mul_f32 v15, v1, v116
	v_add_f32_e32 v32, v32, v17
	s_delay_alu instid0(VALU_DEP_3) | instskip(NEXT) | instid1(VALU_DEP_3)
	v_fmac_f32_e32 v13, v0, v131
	v_dual_mul_f32 v17, v1, v100 :: v_dual_fmac_f32 v14, v3, v117
	s_delay_alu instid0(VALU_DEP_4) | instskip(NEXT) | instid1(VALU_DEP_3)
	v_dual_fmac_f32 v16, v2, v102 :: v_dual_fmac_f32 v15, v0, v115
	v_fmac_f32_e32 v13, v2, v130
	s_delay_alu instid0(VALU_DEP_3) | instskip(SKIP_1) | instid1(VALU_DEP_4)
	v_dual_fmac_f32 v17, v0, v99 :: v_dual_add_f32 v34, v34, v14
	v_mul_f32_e32 v14, v1, v84
	v_fmac_f32_e32 v16, v3, v101
	s_delay_alu instid0(VALU_DEP_4) | instskip(SKIP_1) | instid1(VALU_DEP_4)
	v_fmac_f32_e32 v13, v3, v129
	v_fmac_f32_e32 v15, v2, v114
	v_dual_fmac_f32 v17, v2, v98 :: v_dual_fmac_f32 v14, v0, v83
	s_delay_alu instid0(VALU_DEP_4) | instskip(SKIP_2) | instid1(VALU_DEP_4)
	v_add_f32_e32 v36, v36, v16
	v_mul_f32_e32 v16, v1, v65
	v_add_f32_e32 v33, v33, v13
	v_dual_fmac_f32 v15, v3, v113 :: v_dual_fmac_f32 v14, v2, v82
	v_mul_f32_e32 v13, v1, v96
	s_delay_alu instid0(VALU_DEP_4) | instskip(NEXT) | instid1(VALU_DEP_3)
	v_dual_fmac_f32 v16, v0, v64 :: v_dual_fmac_f32 v17, v3, v97
	v_dual_add_f32 v35, v35, v15 :: v_dual_add_nc_u32 v20, 4, v20
	s_delay_alu instid0(VALU_DEP_4) | instskip(NEXT) | instid1(VALU_DEP_3)
	v_dual_fmac_f32 v14, v3, v81 :: v_dual_mul_f32 v15, v1, v80
	v_dual_mul_f32 v1, v1, v12 :: v_dual_fmac_f32 v16, v2, v55
	s_delay_alu instid0(VALU_DEP_2) | instskip(NEXT) | instid1(VALU_DEP_3)
	v_dual_add_f32 v37, v37, v17 :: v_dual_add_f32 v48, v48, v14
	v_fmac_f32_e32 v15, v0, v71
	s_delay_alu instid0(VALU_DEP_3) | instskip(NEXT) | instid1(VALU_DEP_4)
	v_fmac_f32_e32 v1, v0, v6
	v_dual_fmac_f32 v16, v3, v54 :: v_dual_fmac_f32 v13, v0, v87
	scratch_load_b32 v0, off, s32 offset:324 ; 4-byte Folded Reload
	v_fmac_f32_e32 v15, v2, v70
	v_fmac_f32_e32 v1, v2, v5
	v_add_f32_e32 v38, v38, v16
	v_dual_fmac_f32 v13, v2, v86 :: v_dual_add_nc_u32 v52, 0x100, v52
	s_delay_alu instid0(VALU_DEP_4) | instskip(NEXT) | instid1(VALU_DEP_4)
	v_fmac_f32_e32 v15, v3, v69
	v_fmac_f32_e32 v1, v3, v4
	s_delay_alu instid0(VALU_DEP_3) | instskip(NEXT) | instid1(VALU_DEP_3)
	v_fmac_f32_e32 v13, v3, v85
	v_add_f32_e32 v49, v49, v15
	s_delay_alu instid0(VALU_DEP_3) | instskip(NEXT) | instid1(VALU_DEP_3)
	v_add_f32_e32 v23, v23, v1
	v_add_f32_e32 v39, v39, v13
	s_waitcnt vmcnt(0)
	v_cmp_ge_i32_e32 vcc_lo, v20, v0
	s_or_b32 s5, vcc_lo, s5
	s_delay_alu instid0(SALU_CYCLE_1)
	s_and_not1_b32 exec_lo, exec_lo, s5
	s_cbranch_execz .LBB247_1025
.LBB247_515:                            ; =>This Inner Loop Header: Depth=1
	flat_load_b32 v0, v[10:11]
	scratch_load_b32 v1, off, s32 offset:320 ; 4-byte Folded Reload
	v_mov_b32_e32 v14, 0
	s_mov_b32 s0, exec_lo
	s_waitcnt vmcnt(0) lgkmcnt(0)
	v_mad_i64_i32 v[12:13], null, v0, v1, v[8:9]
	ds_load_b128 v[0:3], v52
	flat_load_b32 v54, v[12:13]
	s_waitcnt vmcnt(0) lgkmcnt(0)
	v_dual_mov_b32 v15, 0 :: v_dual_and_b32 v6, 0xff, v54
	s_delay_alu instid0(VALU_DEP_1) | instskip(NEXT) | instid1(VALU_DEP_2)
	v_dual_mov_b32 v4, v14 :: v_dual_mov_b32 v5, v15
	v_cmpx_ne_u16_e32 0, v6
	s_cbranch_execz .LBB247_523
; %bb.516:                              ;   in Loop: Header=BB247_515 Depth=1
	v_bfrev_b32_e32 v4, 1
	v_mov_b32_e32 v5, 0
	s_mov_b32 s10, exec_lo
	v_cmpx_ne_u16_e32 0x80, v6
	s_cbranch_execz .LBB247_522
; %bb.517:                              ;   in Loop: Header=BB247_515 Depth=1
	v_mov_b32_e32 v4, 0x7f800001
	v_dual_mov_b32 v5, 0 :: v_dual_and_b32 v16, 0x7f, v54
	s_mov_b32 s12, exec_lo
	s_delay_alu instid0(VALU_DEP_1)
	v_cmpx_ne_u32_e32 0x7f, v16
	s_cbranch_execz .LBB247_521
; %bb.518:                              ;   in Loop: Header=BB247_515 Depth=1
	v_and_b32_e32 v6, 7, v54
	v_lshrrev_b32_e32 v4, 3, v16
	s_mov_b32 s13, exec_lo
	v_cmpx_gt_u32_e32 8, v16
; %bb.519:                              ;   in Loop: Header=BB247_515 Depth=1
	s_delay_alu instid0(VALU_DEP_3) | instskip(NEXT) | instid1(VALU_DEP_1)
	v_clz_i32_u32_e32 v4, v6
	v_min_u32_e32 v4, 32, v4
	s_delay_alu instid0(VALU_DEP_1) | instskip(SKIP_1) | instid1(VALU_DEP_2)
	v_subrev_nc_u32_e32 v5, 28, v4
	v_sub_nc_u32_e32 v4, 29, v4
	v_lshlrev_b64 v[5:6], v5, v[6:7]
	s_delay_alu instid0(VALU_DEP_1)
	v_and_b32_e32 v6, 7, v5
; %bb.520:                              ;   in Loop: Header=BB247_515 Depth=1
	s_or_b32 exec_lo, exec_lo, s13
	v_lshlrev_b32_e32 v5, 24, v54
	s_delay_alu instid0(VALU_DEP_2) | instskip(SKIP_1) | instid1(VALU_DEP_3)
	v_lshlrev_b32_e32 v6, 20, v6
	v_lshl_add_u32 v4, v4, 23, 0x3c000000
	v_and_b32_e32 v5, 0x80000000, v5
	s_delay_alu instid0(VALU_DEP_1) | instskip(NEXT) | instid1(VALU_DEP_1)
	v_or3_b32 v6, v6, v5, v4
	v_dual_mov_b32 v4, v6 :: v_dual_mov_b32 v5, v7
.LBB247_521:                            ;   in Loop: Header=BB247_515 Depth=1
	s_or_b32 exec_lo, exec_lo, s12
.LBB247_522:                            ;   in Loop: Header=BB247_515 Depth=1
	s_delay_alu instid0(SALU_CYCLE_1)
	s_or_b32 exec_lo, exec_lo, s10
.LBB247_523:                            ;   in Loop: Header=BB247_515 Depth=1
	s_delay_alu instid0(SALU_CYCLE_1) | instskip(SKIP_2) | instid1(VALU_DEP_1)
	s_or_b32 exec_lo, exec_lo, s0
	v_lshrrev_b16 v6, 8, v54
	s_mov_b32 s0, exec_lo
	v_cmpx_ne_u16_e32 0, v6
	s_cbranch_execz .LBB247_531
; %bb.524:                              ;   in Loop: Header=BB247_515 Depth=1
	v_dual_mov_b32 v15, s9 :: v_dual_mov_b32 v14, s8
	s_mov_b32 s12, exec_lo
	v_cmpx_ne_u16_e32 0x80, v6
	s_cbranch_execz .LBB247_530
; %bb.525:                              ;   in Loop: Header=BB247_515 Depth=1
	s_mov_b32 s10, s8
	v_dual_mov_b32 v15, s11 :: v_dual_and_b32 v6, 0xffff, v6
	v_mov_b32_e32 v14, s10
	s_mov_b32 s10, exec_lo
	s_delay_alu instid0(VALU_DEP_2) | instskip(NEXT) | instid1(VALU_DEP_1)
	v_and_b32_e32 v16, 0x7f, v6
	v_cmpx_ne_u32_e32 0x7f, v16
	s_cbranch_execz .LBB247_529
; %bb.526:                              ;   in Loop: Header=BB247_515 Depth=1
	v_and_b32_e32 v6, 7, v6
	v_lshrrev_b32_e32 v14, 3, v16
	s_mov_b32 s13, exec_lo
	v_cmpx_gt_u32_e32 8, v16
; %bb.527:                              ;   in Loop: Header=BB247_515 Depth=1
	s_delay_alu instid0(VALU_DEP_3) | instskip(NEXT) | instid1(VALU_DEP_1)
	v_clz_i32_u32_e32 v14, v6
	v_min_u32_e32 v14, 32, v14
	s_delay_alu instid0(VALU_DEP_1) | instskip(SKIP_1) | instid1(VALU_DEP_2)
	v_subrev_nc_u32_e32 v15, 28, v14
	v_sub_nc_u32_e32 v14, 29, v14
	v_lshlrev_b64 v[15:16], v15, v[6:7]
	s_delay_alu instid0(VALU_DEP_1)
	v_and_b32_e32 v6, 7, v15
; %bb.528:                              ;   in Loop: Header=BB247_515 Depth=1
	s_or_b32 exec_lo, exec_lo, s13
	v_lshlrev_b32_e32 v15, 16, v54
	s_delay_alu instid0(VALU_DEP_2) | instskip(SKIP_1) | instid1(VALU_DEP_3)
	v_lshlrev_b32_e32 v6, 20, v6
	v_lshl_add_u32 v14, v14, 23, 0x3c000000
	v_and_b32_e32 v15, 0x80000000, v15
	s_delay_alu instid0(VALU_DEP_1)
	v_or3_b32 v15, v6, v15, v14
	v_mov_b32_e32 v14, v7
.LBB247_529:                            ;   in Loop: Header=BB247_515 Depth=1
	s_or_b32 exec_lo, exec_lo, s10
.LBB247_530:                            ;   in Loop: Header=BB247_515 Depth=1
	s_delay_alu instid0(SALU_CYCLE_1)
	s_or_b32 exec_lo, exec_lo, s12
.LBB247_531:                            ;   in Loop: Header=BB247_515 Depth=1
	s_delay_alu instid0(SALU_CYCLE_1) | instskip(SKIP_4) | instid1(VALU_DEP_2)
	s_or_b32 exec_lo, exec_lo, s0
	v_mov_b32_e32 v18, 0
	v_lshrrev_b32_e32 v55, 16, v54
	v_mov_b32_e32 v19, 0
	s_mov_b32 s0, exec_lo
	v_and_b32_e32 v6, 0xff, v55
	s_delay_alu instid0(VALU_DEP_2) | instskip(NEXT) | instid1(VALU_DEP_2)
	v_dual_mov_b32 v16, v18 :: v_dual_mov_b32 v17, v19
	v_cmpx_ne_u16_e32 0, v6
	s_cbranch_execz .LBB247_539
; %bb.532:                              ;   in Loop: Header=BB247_515 Depth=1
	v_bfrev_b32_e32 v16, 1
	v_mov_b32_e32 v17, 0
	s_mov_b32 s10, exec_lo
	v_cmpx_ne_u16_e32 0x80, v6
	s_cbranch_execz .LBB247_538
; %bb.533:                              ;   in Loop: Header=BB247_515 Depth=1
	v_mov_b32_e32 v16, 0x7f800001
	v_bfe_u32 v64, v54, 16, 7
	v_mov_b32_e32 v17, 0
	s_mov_b32 s12, exec_lo
	s_delay_alu instid0(VALU_DEP_2)
	v_cmpx_ne_u32_e32 0x7f, v64
	s_cbranch_execz .LBB247_537
; %bb.534:                              ;   in Loop: Header=BB247_515 Depth=1
	v_and_b32_e32 v6, 7, v55
	v_lshrrev_b32_e32 v16, 3, v64
	s_mov_b32 s13, exec_lo
	v_cmpx_gt_u32_e32 8, v64
; %bb.535:                              ;   in Loop: Header=BB247_515 Depth=1
	s_delay_alu instid0(VALU_DEP_3) | instskip(NEXT) | instid1(VALU_DEP_1)
	v_clz_i32_u32_e32 v16, v6
	v_min_u32_e32 v16, 32, v16
	s_delay_alu instid0(VALU_DEP_1) | instskip(SKIP_1) | instid1(VALU_DEP_2)
	v_subrev_nc_u32_e32 v17, 28, v16
	v_sub_nc_u32_e32 v16, 29, v16
	v_lshlrev_b64 v[64:65], v17, v[6:7]
	s_delay_alu instid0(VALU_DEP_1)
	v_and_b32_e32 v6, 7, v64
; %bb.536:                              ;   in Loop: Header=BB247_515 Depth=1
	s_or_b32 exec_lo, exec_lo, s13
	v_lshlrev_b32_e32 v17, 24, v55
	s_delay_alu instid0(VALU_DEP_2) | instskip(SKIP_1) | instid1(VALU_DEP_3)
	v_lshlrev_b32_e32 v6, 20, v6
	v_lshl_add_u32 v16, v16, 23, 0x3c000000
	v_and_b32_e32 v17, 0x80000000, v17
	s_delay_alu instid0(VALU_DEP_1) | instskip(NEXT) | instid1(VALU_DEP_1)
	v_or3_b32 v6, v6, v17, v16
	v_dual_mov_b32 v17, v7 :: v_dual_mov_b32 v16, v6
.LBB247_537:                            ;   in Loop: Header=BB247_515 Depth=1
	s_or_b32 exec_lo, exec_lo, s12
.LBB247_538:                            ;   in Loop: Header=BB247_515 Depth=1
	s_delay_alu instid0(SALU_CYCLE_1)
	s_or_b32 exec_lo, exec_lo, s10
.LBB247_539:                            ;   in Loop: Header=BB247_515 Depth=1
	s_delay_alu instid0(SALU_CYCLE_1) | instskip(NEXT) | instid1(SALU_CYCLE_1)
	s_or_b32 exec_lo, exec_lo, s0
	s_mov_b32 s0, exec_lo
	v_cmpx_lt_u32_e32 0xffffff, v54
	s_cbranch_execz .LBB247_547
; %bb.540:                              ;   in Loop: Header=BB247_515 Depth=1
	v_lshrrev_b32_e32 v55, 24, v54
	v_dual_mov_b32 v19, s9 :: v_dual_mov_b32 v18, s8
	s_mov_b32 s12, exec_lo
	s_delay_alu instid0(VALU_DEP_2)
	v_cmpx_ne_u32_e32 0x80, v55
	s_cbranch_execz .LBB247_546
; %bb.541:                              ;   in Loop: Header=BB247_515 Depth=1
	s_mov_b32 s10, s8
	v_bfe_u32 v54, v54, 24, 7
	v_dual_mov_b32 v19, s11 :: v_dual_mov_b32 v18, s10
	s_mov_b32 s10, exec_lo
	s_delay_alu instid0(VALU_DEP_2)
	v_cmpx_ne_u32_e32 0x7f, v54
	s_cbranch_execz .LBB247_545
; %bb.542:                              ;   in Loop: Header=BB247_515 Depth=1
	v_and_b32_e32 v6, 7, v55
	v_lshrrev_b32_e32 v18, 3, v54
	s_mov_b32 s13, exec_lo
	v_cmpx_gt_u32_e32 8, v54
; %bb.543:                              ;   in Loop: Header=BB247_515 Depth=1
	s_delay_alu instid0(VALU_DEP_3) | instskip(NEXT) | instid1(VALU_DEP_1)
	v_clz_i32_u32_e32 v18, v6
	v_min_u32_e32 v18, 32, v18
	s_delay_alu instid0(VALU_DEP_1) | instskip(SKIP_1) | instid1(VALU_DEP_2)
	v_subrev_nc_u32_e32 v19, 28, v18
	v_sub_nc_u32_e32 v18, 29, v18
	v_lshlrev_b64 v[64:65], v19, v[6:7]
	s_delay_alu instid0(VALU_DEP_1)
	v_and_b32_e32 v6, 7, v64
; %bb.544:                              ;   in Loop: Header=BB247_515 Depth=1
	s_or_b32 exec_lo, exec_lo, s13
	v_lshlrev_b32_e32 v19, 24, v55
	s_delay_alu instid0(VALU_DEP_2) | instskip(SKIP_1) | instid1(VALU_DEP_3)
	v_lshlrev_b32_e32 v6, 20, v6
	v_lshl_add_u32 v18, v18, 23, 0x3c000000
	v_and_b32_e32 v19, 0x80000000, v19
	s_delay_alu instid0(VALU_DEP_1)
	v_or3_b32 v19, v6, v19, v18
	v_mov_b32_e32 v18, v7
.LBB247_545:                            ;   in Loop: Header=BB247_515 Depth=1
	s_or_b32 exec_lo, exec_lo, s10
.LBB247_546:                            ;   in Loop: Header=BB247_515 Depth=1
	s_delay_alu instid0(SALU_CYCLE_1)
	s_or_b32 exec_lo, exec_lo, s12
.LBB247_547:                            ;   in Loop: Header=BB247_515 Depth=1
	s_delay_alu instid0(SALU_CYCLE_1)
	s_or_b32 exec_lo, exec_lo, s0
	v_or_b32_e32 v5, v15, v5
	v_or_b32_e32 v4, v14, v4
	;; [unrolled: 1-line block ×4, first 2 shown]
	v_add_nc_u32_e32 v66, -3, v21
	v_cmp_eq_u32_e32 vcc_lo, v51, v20
	v_dual_mul_f32 v65, v53, v5 :: v_dual_mul_f32 v64, v50, v4
	v_dual_mul_f32 v54, v53, v6 :: v_dual_add_nc_u32 v67, -1, v21
	v_dual_mul_f32 v55, v50, v14 :: v_dual_add_nc_u32 v68, -2, v21
	s_and_saveexec_b32 s10, vcc_lo
; %bb.548:                              ;   in Loop: Header=BB247_515 Depth=1
	v_cmp_lt_i32_e64 s0, v66, v22
	s_delay_alu instid0(VALU_DEP_1) | instskip(NEXT) | instid1(VALU_DEP_3)
	v_cndmask_b32_e64 v64, 0, v64, s0
	v_cmp_lt_i32_e64 s0, v68, v22
	s_delay_alu instid0(VALU_DEP_1) | instskip(SKIP_1) | instid1(VALU_DEP_1)
	v_cndmask_b32_e64 v65, 0, v65, s0
	v_cmp_lt_i32_e64 s0, v67, v22
	v_cndmask_b32_e64 v55, 0, v55, s0
	v_cmp_lt_i32_e64 s0, v21, v22
	s_delay_alu instid0(VALU_DEP_1)
	v_cndmask_b32_e64 v54, 0, v54, s0
; %bb.549:                              ;   in Loop: Header=BB247_515 Depth=1
	s_or_b32 exec_lo, exec_lo, s10
	flat_load_b32 v69, v[12:13] offset:128
	v_mov_b32_e32 v14, 0
	v_mov_b32_e32 v15, 0
	s_mov_b32 s10, exec_lo
	s_waitcnt vmcnt(0) lgkmcnt(0)
	v_and_b32_e32 v6, 0xff, v69
	s_delay_alu instid0(VALU_DEP_2) | instskip(NEXT) | instid1(VALU_DEP_2)
	v_dual_mov_b32 v4, v14 :: v_dual_mov_b32 v5, v15
	v_cmpx_ne_u16_e32 0, v6
	s_cbranch_execz .LBB247_557
; %bb.550:                              ;   in Loop: Header=BB247_515 Depth=1
	v_bfrev_b32_e32 v4, 1
	v_mov_b32_e32 v5, 0
	s_mov_b32 s12, exec_lo
	v_cmpx_ne_u16_e32 0x80, v6
	s_cbranch_execz .LBB247_556
; %bb.551:                              ;   in Loop: Header=BB247_515 Depth=1
	v_mov_b32_e32 v4, 0x7f800001
	v_dual_mov_b32 v5, 0 :: v_dual_and_b32 v16, 0x7f, v69
	s_mov_b32 s13, exec_lo
	s_delay_alu instid0(VALU_DEP_1)
	v_cmpx_ne_u32_e32 0x7f, v16
	s_cbranch_execz .LBB247_555
; %bb.552:                              ;   in Loop: Header=BB247_515 Depth=1
	v_and_b32_e32 v6, 7, v69
	v_lshrrev_b32_e32 v4, 3, v16
	s_mov_b32 s15, exec_lo
	v_cmpx_gt_u32_e32 8, v16
; %bb.553:                              ;   in Loop: Header=BB247_515 Depth=1
	s_delay_alu instid0(VALU_DEP_3) | instskip(NEXT) | instid1(VALU_DEP_1)
	v_clz_i32_u32_e32 v4, v6
	v_min_u32_e32 v4, 32, v4
	s_delay_alu instid0(VALU_DEP_1) | instskip(SKIP_1) | instid1(VALU_DEP_2)
	v_subrev_nc_u32_e32 v5, 28, v4
	v_sub_nc_u32_e32 v4, 29, v4
	v_lshlrev_b64 v[5:6], v5, v[6:7]
	s_delay_alu instid0(VALU_DEP_1)
	v_and_b32_e32 v6, 7, v5
; %bb.554:                              ;   in Loop: Header=BB247_515 Depth=1
	s_or_b32 exec_lo, exec_lo, s15
	v_lshlrev_b32_e32 v5, 24, v69
	s_delay_alu instid0(VALU_DEP_2) | instskip(SKIP_1) | instid1(VALU_DEP_3)
	v_lshlrev_b32_e32 v6, 20, v6
	v_lshl_add_u32 v4, v4, 23, 0x3c000000
	v_and_b32_e32 v5, 0x80000000, v5
	s_delay_alu instid0(VALU_DEP_1) | instskip(NEXT) | instid1(VALU_DEP_1)
	v_or3_b32 v6, v6, v5, v4
	v_dual_mov_b32 v4, v6 :: v_dual_mov_b32 v5, v7
.LBB247_555:                            ;   in Loop: Header=BB247_515 Depth=1
	s_or_b32 exec_lo, exec_lo, s13
.LBB247_556:                            ;   in Loop: Header=BB247_515 Depth=1
	s_delay_alu instid0(SALU_CYCLE_1)
	s_or_b32 exec_lo, exec_lo, s12
.LBB247_557:                            ;   in Loop: Header=BB247_515 Depth=1
	s_delay_alu instid0(SALU_CYCLE_1) | instskip(SKIP_2) | instid1(VALU_DEP_1)
	s_or_b32 exec_lo, exec_lo, s10
	v_lshrrev_b16 v6, 8, v69
	s_mov_b32 s12, exec_lo
	v_cmpx_ne_u16_e32 0, v6
	s_cbranch_execz .LBB247_565
; %bb.558:                              ;   in Loop: Header=BB247_515 Depth=1
	v_dual_mov_b32 v15, s9 :: v_dual_mov_b32 v14, s8
	s_mov_b32 s13, exec_lo
	v_cmpx_ne_u16_e32 0x80, v6
	s_cbranch_execz .LBB247_564
; %bb.559:                              ;   in Loop: Header=BB247_515 Depth=1
	s_mov_b32 s10, s8
	v_dual_mov_b32 v15, s11 :: v_dual_and_b32 v6, 0xffff, v6
	v_mov_b32_e32 v14, s10
	s_mov_b32 s10, exec_lo
	s_delay_alu instid0(VALU_DEP_2) | instskip(NEXT) | instid1(VALU_DEP_1)
	v_and_b32_e32 v16, 0x7f, v6
	v_cmpx_ne_u32_e32 0x7f, v16
	s_cbranch_execz .LBB247_563
; %bb.560:                              ;   in Loop: Header=BB247_515 Depth=1
	v_and_b32_e32 v6, 7, v6
	v_lshrrev_b32_e32 v14, 3, v16
	s_mov_b32 s15, exec_lo
	v_cmpx_gt_u32_e32 8, v16
; %bb.561:                              ;   in Loop: Header=BB247_515 Depth=1
	s_delay_alu instid0(VALU_DEP_3) | instskip(NEXT) | instid1(VALU_DEP_1)
	v_clz_i32_u32_e32 v14, v6
	v_min_u32_e32 v14, 32, v14
	s_delay_alu instid0(VALU_DEP_1) | instskip(SKIP_1) | instid1(VALU_DEP_2)
	v_subrev_nc_u32_e32 v15, 28, v14
	v_sub_nc_u32_e32 v14, 29, v14
	v_lshlrev_b64 v[15:16], v15, v[6:7]
	s_delay_alu instid0(VALU_DEP_1)
	v_and_b32_e32 v6, 7, v15
; %bb.562:                              ;   in Loop: Header=BB247_515 Depth=1
	s_or_b32 exec_lo, exec_lo, s15
	v_lshlrev_b32_e32 v15, 16, v69
	s_delay_alu instid0(VALU_DEP_2) | instskip(SKIP_1) | instid1(VALU_DEP_3)
	v_lshlrev_b32_e32 v6, 20, v6
	v_lshl_add_u32 v14, v14, 23, 0x3c000000
	v_and_b32_e32 v15, 0x80000000, v15
	s_delay_alu instid0(VALU_DEP_1)
	v_or3_b32 v15, v6, v15, v14
	v_mov_b32_e32 v14, v7
.LBB247_563:                            ;   in Loop: Header=BB247_515 Depth=1
	s_or_b32 exec_lo, exec_lo, s10
.LBB247_564:                            ;   in Loop: Header=BB247_515 Depth=1
	s_delay_alu instid0(SALU_CYCLE_1)
	s_or_b32 exec_lo, exec_lo, s13
.LBB247_565:                            ;   in Loop: Header=BB247_515 Depth=1
	s_delay_alu instid0(SALU_CYCLE_1) | instskip(SKIP_4) | instid1(VALU_DEP_2)
	s_or_b32 exec_lo, exec_lo, s12
	v_mov_b32_e32 v18, 0
	v_lshrrev_b32_e32 v70, 16, v69
	v_mov_b32_e32 v19, 0
	s_mov_b32 s10, exec_lo
	v_and_b32_e32 v6, 0xff, v70
	s_delay_alu instid0(VALU_DEP_2) | instskip(NEXT) | instid1(VALU_DEP_2)
	v_dual_mov_b32 v16, v18 :: v_dual_mov_b32 v17, v19
	v_cmpx_ne_u16_e32 0, v6
	s_cbranch_execz .LBB247_573
; %bb.566:                              ;   in Loop: Header=BB247_515 Depth=1
	v_bfrev_b32_e32 v16, 1
	v_mov_b32_e32 v17, 0
	s_mov_b32 s12, exec_lo
	v_cmpx_ne_u16_e32 0x80, v6
	s_cbranch_execz .LBB247_572
; %bb.567:                              ;   in Loop: Header=BB247_515 Depth=1
	v_mov_b32_e32 v16, 0x7f800001
	v_bfe_u32 v71, v69, 16, 7
	v_mov_b32_e32 v17, 0
	s_mov_b32 s13, exec_lo
	s_delay_alu instid0(VALU_DEP_2)
	v_cmpx_ne_u32_e32 0x7f, v71
	s_cbranch_execz .LBB247_571
; %bb.568:                              ;   in Loop: Header=BB247_515 Depth=1
	v_and_b32_e32 v6, 7, v70
	v_lshrrev_b32_e32 v16, 3, v71
	s_mov_b32 s15, exec_lo
	v_cmpx_gt_u32_e32 8, v71
; %bb.569:                              ;   in Loop: Header=BB247_515 Depth=1
	s_delay_alu instid0(VALU_DEP_3) | instskip(NEXT) | instid1(VALU_DEP_1)
	v_clz_i32_u32_e32 v16, v6
	v_min_u32_e32 v16, 32, v16
	s_delay_alu instid0(VALU_DEP_1) | instskip(SKIP_1) | instid1(VALU_DEP_2)
	v_subrev_nc_u32_e32 v17, 28, v16
	v_sub_nc_u32_e32 v16, 29, v16
	v_lshlrev_b64 v[80:81], v17, v[6:7]
	s_delay_alu instid0(VALU_DEP_1)
	v_and_b32_e32 v6, 7, v80
; %bb.570:                              ;   in Loop: Header=BB247_515 Depth=1
	s_or_b32 exec_lo, exec_lo, s15
	v_lshlrev_b32_e32 v17, 24, v70
	s_delay_alu instid0(VALU_DEP_2) | instskip(SKIP_1) | instid1(VALU_DEP_3)
	v_lshlrev_b32_e32 v6, 20, v6
	v_lshl_add_u32 v16, v16, 23, 0x3c000000
	v_and_b32_e32 v17, 0x80000000, v17
	s_delay_alu instid0(VALU_DEP_1) | instskip(NEXT) | instid1(VALU_DEP_1)
	v_or3_b32 v6, v6, v17, v16
	v_dual_mov_b32 v17, v7 :: v_dual_mov_b32 v16, v6
.LBB247_571:                            ;   in Loop: Header=BB247_515 Depth=1
	s_or_b32 exec_lo, exec_lo, s13
.LBB247_572:                            ;   in Loop: Header=BB247_515 Depth=1
	s_delay_alu instid0(SALU_CYCLE_1)
	s_or_b32 exec_lo, exec_lo, s12
.LBB247_573:                            ;   in Loop: Header=BB247_515 Depth=1
	s_delay_alu instid0(SALU_CYCLE_1) | instskip(NEXT) | instid1(SALU_CYCLE_1)
	s_or_b32 exec_lo, exec_lo, s10
	s_mov_b32 s12, exec_lo
	v_cmpx_lt_u32_e32 0xffffff, v69
	s_cbranch_execz .LBB247_581
; %bb.574:                              ;   in Loop: Header=BB247_515 Depth=1
	v_lshrrev_b32_e32 v70, 24, v69
	v_dual_mov_b32 v19, s9 :: v_dual_mov_b32 v18, s8
	s_mov_b32 s13, exec_lo
	s_delay_alu instid0(VALU_DEP_2)
	v_cmpx_ne_u32_e32 0x80, v70
	s_cbranch_execz .LBB247_580
; %bb.575:                              ;   in Loop: Header=BB247_515 Depth=1
	s_mov_b32 s10, s8
	v_bfe_u32 v69, v69, 24, 7
	v_dual_mov_b32 v19, s11 :: v_dual_mov_b32 v18, s10
	s_mov_b32 s10, exec_lo
	s_delay_alu instid0(VALU_DEP_2)
	v_cmpx_ne_u32_e32 0x7f, v69
	s_cbranch_execz .LBB247_579
; %bb.576:                              ;   in Loop: Header=BB247_515 Depth=1
	v_and_b32_e32 v6, 7, v70
	v_lshrrev_b32_e32 v18, 3, v69
	s_mov_b32 s15, exec_lo
	v_cmpx_gt_u32_e32 8, v69
; %bb.577:                              ;   in Loop: Header=BB247_515 Depth=1
	s_delay_alu instid0(VALU_DEP_3) | instskip(NEXT) | instid1(VALU_DEP_1)
	v_clz_i32_u32_e32 v18, v6
	v_min_u32_e32 v18, 32, v18
	s_delay_alu instid0(VALU_DEP_1) | instskip(SKIP_1) | instid1(VALU_DEP_2)
	v_subrev_nc_u32_e32 v19, 28, v18
	v_sub_nc_u32_e32 v18, 29, v18
	v_lshlrev_b64 v[80:81], v19, v[6:7]
	s_delay_alu instid0(VALU_DEP_1)
	v_and_b32_e32 v6, 7, v80
; %bb.578:                              ;   in Loop: Header=BB247_515 Depth=1
	s_or_b32 exec_lo, exec_lo, s15
	v_lshlrev_b32_e32 v19, 24, v70
	s_delay_alu instid0(VALU_DEP_2) | instskip(SKIP_1) | instid1(VALU_DEP_3)
	v_lshlrev_b32_e32 v6, 20, v6
	v_lshl_add_u32 v18, v18, 23, 0x3c000000
	v_and_b32_e32 v19, 0x80000000, v19
	s_delay_alu instid0(VALU_DEP_1)
	v_or3_b32 v19, v6, v19, v18
	v_mov_b32_e32 v18, v7
.LBB247_579:                            ;   in Loop: Header=BB247_515 Depth=1
	s_or_b32 exec_lo, exec_lo, s10
.LBB247_580:                            ;   in Loop: Header=BB247_515 Depth=1
	s_delay_alu instid0(SALU_CYCLE_1)
	s_or_b32 exec_lo, exec_lo, s13
.LBB247_581:                            ;   in Loop: Header=BB247_515 Depth=1
	s_delay_alu instid0(SALU_CYCLE_1) | instskip(SKIP_4) | instid1(VALU_DEP_3)
	s_or_b32 exec_lo, exec_lo, s12
	v_or_b32_e32 v5, v15, v5
	v_or_b32_e32 v4, v14, v4
	;; [unrolled: 1-line block ×4, first 2 shown]
	v_dual_mul_f32 v80, v53, v5 :: v_dual_mul_f32 v71, v50, v4
	s_delay_alu instid0(VALU_DEP_3) | instskip(NEXT) | instid1(VALU_DEP_3)
	v_mul_f32_e32 v69, v53, v6
	v_mul_f32_e32 v70, v50, v14
	s_and_saveexec_b32 s10, vcc_lo
; %bb.582:                              ;   in Loop: Header=BB247_515 Depth=1
	v_cmp_lt_i32_e64 s0, v66, v22
	s_delay_alu instid0(VALU_DEP_1) | instskip(SKIP_1) | instid1(VALU_DEP_1)
	v_cndmask_b32_e64 v71, 0, v71, s0
	v_cmp_lt_i32_e64 s0, v68, v22
	v_cndmask_b32_e64 v80, 0, v80, s0
	v_cmp_lt_i32_e64 s0, v67, v22
	s_delay_alu instid0(VALU_DEP_1) | instskip(SKIP_1) | instid1(VALU_DEP_1)
	v_cndmask_b32_e64 v70, 0, v70, s0
	v_cmp_lt_i32_e64 s0, v21, v22
	v_cndmask_b32_e64 v69, 0, v69, s0
; %bb.583:                              ;   in Loop: Header=BB247_515 Depth=1
	s_or_b32 exec_lo, exec_lo, s10
	flat_load_b32 v81, v[12:13] offset:256
	v_mov_b32_e32 v14, 0
	v_mov_b32_e32 v15, 0
	s_mov_b32 s10, exec_lo
	s_waitcnt vmcnt(0) lgkmcnt(0)
	v_and_b32_e32 v6, 0xff, v81
	s_delay_alu instid0(VALU_DEP_2) | instskip(NEXT) | instid1(VALU_DEP_2)
	v_dual_mov_b32 v4, v14 :: v_dual_mov_b32 v5, v15
	v_cmpx_ne_u16_e32 0, v6
	s_cbranch_execz .LBB247_591
; %bb.584:                              ;   in Loop: Header=BB247_515 Depth=1
	v_bfrev_b32_e32 v4, 1
	v_mov_b32_e32 v5, 0
	s_mov_b32 s12, exec_lo
	v_cmpx_ne_u16_e32 0x80, v6
	s_cbranch_execz .LBB247_590
; %bb.585:                              ;   in Loop: Header=BB247_515 Depth=1
	v_mov_b32_e32 v4, 0x7f800001
	v_dual_mov_b32 v5, 0 :: v_dual_and_b32 v16, 0x7f, v81
	s_mov_b32 s13, exec_lo
	s_delay_alu instid0(VALU_DEP_1)
	v_cmpx_ne_u32_e32 0x7f, v16
	s_cbranch_execz .LBB247_589
; %bb.586:                              ;   in Loop: Header=BB247_515 Depth=1
	v_and_b32_e32 v6, 7, v81
	v_lshrrev_b32_e32 v4, 3, v16
	s_mov_b32 s15, exec_lo
	v_cmpx_gt_u32_e32 8, v16
; %bb.587:                              ;   in Loop: Header=BB247_515 Depth=1
	s_delay_alu instid0(VALU_DEP_3) | instskip(NEXT) | instid1(VALU_DEP_1)
	v_clz_i32_u32_e32 v4, v6
	v_min_u32_e32 v4, 32, v4
	s_delay_alu instid0(VALU_DEP_1) | instskip(SKIP_1) | instid1(VALU_DEP_2)
	v_subrev_nc_u32_e32 v5, 28, v4
	v_sub_nc_u32_e32 v4, 29, v4
	v_lshlrev_b64 v[5:6], v5, v[6:7]
	s_delay_alu instid0(VALU_DEP_1)
	v_and_b32_e32 v6, 7, v5
; %bb.588:                              ;   in Loop: Header=BB247_515 Depth=1
	s_or_b32 exec_lo, exec_lo, s15
	v_lshlrev_b32_e32 v5, 24, v81
	s_delay_alu instid0(VALU_DEP_2) | instskip(SKIP_1) | instid1(VALU_DEP_3)
	v_lshlrev_b32_e32 v6, 20, v6
	v_lshl_add_u32 v4, v4, 23, 0x3c000000
	v_and_b32_e32 v5, 0x80000000, v5
	s_delay_alu instid0(VALU_DEP_1) | instskip(NEXT) | instid1(VALU_DEP_1)
	v_or3_b32 v6, v6, v5, v4
	v_dual_mov_b32 v4, v6 :: v_dual_mov_b32 v5, v7
.LBB247_589:                            ;   in Loop: Header=BB247_515 Depth=1
	s_or_b32 exec_lo, exec_lo, s13
.LBB247_590:                            ;   in Loop: Header=BB247_515 Depth=1
	s_delay_alu instid0(SALU_CYCLE_1)
	s_or_b32 exec_lo, exec_lo, s12
.LBB247_591:                            ;   in Loop: Header=BB247_515 Depth=1
	s_delay_alu instid0(SALU_CYCLE_1) | instskip(SKIP_2) | instid1(VALU_DEP_1)
	s_or_b32 exec_lo, exec_lo, s10
	v_lshrrev_b16 v6, 8, v81
	s_mov_b32 s12, exec_lo
	v_cmpx_ne_u16_e32 0, v6
	s_cbranch_execz .LBB247_599
; %bb.592:                              ;   in Loop: Header=BB247_515 Depth=1
	v_dual_mov_b32 v15, s9 :: v_dual_mov_b32 v14, s8
	s_mov_b32 s13, exec_lo
	v_cmpx_ne_u16_e32 0x80, v6
	s_cbranch_execz .LBB247_598
; %bb.593:                              ;   in Loop: Header=BB247_515 Depth=1
	s_mov_b32 s10, s8
	v_dual_mov_b32 v15, s11 :: v_dual_and_b32 v6, 0xffff, v6
	v_mov_b32_e32 v14, s10
	s_mov_b32 s10, exec_lo
	s_delay_alu instid0(VALU_DEP_2) | instskip(NEXT) | instid1(VALU_DEP_1)
	v_and_b32_e32 v16, 0x7f, v6
	v_cmpx_ne_u32_e32 0x7f, v16
	s_cbranch_execz .LBB247_597
; %bb.594:                              ;   in Loop: Header=BB247_515 Depth=1
	v_and_b32_e32 v6, 7, v6
	v_lshrrev_b32_e32 v14, 3, v16
	s_mov_b32 s15, exec_lo
	v_cmpx_gt_u32_e32 8, v16
; %bb.595:                              ;   in Loop: Header=BB247_515 Depth=1
	s_delay_alu instid0(VALU_DEP_3) | instskip(NEXT) | instid1(VALU_DEP_1)
	v_clz_i32_u32_e32 v14, v6
	v_min_u32_e32 v14, 32, v14
	s_delay_alu instid0(VALU_DEP_1) | instskip(SKIP_1) | instid1(VALU_DEP_2)
	v_subrev_nc_u32_e32 v15, 28, v14
	v_sub_nc_u32_e32 v14, 29, v14
	v_lshlrev_b64 v[15:16], v15, v[6:7]
	s_delay_alu instid0(VALU_DEP_1)
	v_and_b32_e32 v6, 7, v15
; %bb.596:                              ;   in Loop: Header=BB247_515 Depth=1
	s_or_b32 exec_lo, exec_lo, s15
	v_lshlrev_b32_e32 v15, 16, v81
	s_delay_alu instid0(VALU_DEP_2) | instskip(SKIP_1) | instid1(VALU_DEP_3)
	v_lshlrev_b32_e32 v6, 20, v6
	v_lshl_add_u32 v14, v14, 23, 0x3c000000
	v_and_b32_e32 v15, 0x80000000, v15
	s_delay_alu instid0(VALU_DEP_1)
	v_or3_b32 v15, v6, v15, v14
	v_mov_b32_e32 v14, v7
.LBB247_597:                            ;   in Loop: Header=BB247_515 Depth=1
	s_or_b32 exec_lo, exec_lo, s10
.LBB247_598:                            ;   in Loop: Header=BB247_515 Depth=1
	s_delay_alu instid0(SALU_CYCLE_1)
	s_or_b32 exec_lo, exec_lo, s13
.LBB247_599:                            ;   in Loop: Header=BB247_515 Depth=1
	s_delay_alu instid0(SALU_CYCLE_1) | instskip(SKIP_4) | instid1(VALU_DEP_2)
	s_or_b32 exec_lo, exec_lo, s12
	v_mov_b32_e32 v18, 0
	v_lshrrev_b32_e32 v82, 16, v81
	v_mov_b32_e32 v19, 0
	s_mov_b32 s10, exec_lo
	v_and_b32_e32 v6, 0xff, v82
	s_delay_alu instid0(VALU_DEP_2) | instskip(NEXT) | instid1(VALU_DEP_2)
	v_dual_mov_b32 v16, v18 :: v_dual_mov_b32 v17, v19
	v_cmpx_ne_u16_e32 0, v6
	s_cbranch_execz .LBB247_607
; %bb.600:                              ;   in Loop: Header=BB247_515 Depth=1
	v_bfrev_b32_e32 v16, 1
	v_mov_b32_e32 v17, 0
	s_mov_b32 s12, exec_lo
	v_cmpx_ne_u16_e32 0x80, v6
	s_cbranch_execz .LBB247_606
; %bb.601:                              ;   in Loop: Header=BB247_515 Depth=1
	v_mov_b32_e32 v16, 0x7f800001
	v_bfe_u32 v83, v81, 16, 7
	v_mov_b32_e32 v17, 0
	s_mov_b32 s13, exec_lo
	s_delay_alu instid0(VALU_DEP_2)
	v_cmpx_ne_u32_e32 0x7f, v83
	s_cbranch_execz .LBB247_605
; %bb.602:                              ;   in Loop: Header=BB247_515 Depth=1
	v_and_b32_e32 v6, 7, v82
	v_lshrrev_b32_e32 v16, 3, v83
	s_mov_b32 s15, exec_lo
	v_cmpx_gt_u32_e32 8, v83
; %bb.603:                              ;   in Loop: Header=BB247_515 Depth=1
	s_delay_alu instid0(VALU_DEP_3) | instskip(NEXT) | instid1(VALU_DEP_1)
	v_clz_i32_u32_e32 v16, v6
	v_min_u32_e32 v16, 32, v16
	s_delay_alu instid0(VALU_DEP_1) | instskip(SKIP_1) | instid1(VALU_DEP_2)
	v_subrev_nc_u32_e32 v17, 28, v16
	v_sub_nc_u32_e32 v16, 29, v16
	v_lshlrev_b64 v[83:84], v17, v[6:7]
	s_delay_alu instid0(VALU_DEP_1)
	v_and_b32_e32 v6, 7, v83
; %bb.604:                              ;   in Loop: Header=BB247_515 Depth=1
	s_or_b32 exec_lo, exec_lo, s15
	v_lshlrev_b32_e32 v17, 24, v82
	s_delay_alu instid0(VALU_DEP_2) | instskip(SKIP_1) | instid1(VALU_DEP_3)
	v_lshlrev_b32_e32 v6, 20, v6
	v_lshl_add_u32 v16, v16, 23, 0x3c000000
	v_and_b32_e32 v17, 0x80000000, v17
	s_delay_alu instid0(VALU_DEP_1) | instskip(NEXT) | instid1(VALU_DEP_1)
	v_or3_b32 v6, v6, v17, v16
	v_dual_mov_b32 v17, v7 :: v_dual_mov_b32 v16, v6
.LBB247_605:                            ;   in Loop: Header=BB247_515 Depth=1
	s_or_b32 exec_lo, exec_lo, s13
.LBB247_606:                            ;   in Loop: Header=BB247_515 Depth=1
	s_delay_alu instid0(SALU_CYCLE_1)
	s_or_b32 exec_lo, exec_lo, s12
.LBB247_607:                            ;   in Loop: Header=BB247_515 Depth=1
	s_delay_alu instid0(SALU_CYCLE_1) | instskip(NEXT) | instid1(SALU_CYCLE_1)
	s_or_b32 exec_lo, exec_lo, s10
	s_mov_b32 s12, exec_lo
	v_cmpx_lt_u32_e32 0xffffff, v81
	s_cbranch_execz .LBB247_615
; %bb.608:                              ;   in Loop: Header=BB247_515 Depth=1
	v_lshrrev_b32_e32 v82, 24, v81
	v_dual_mov_b32 v19, s9 :: v_dual_mov_b32 v18, s8
	s_mov_b32 s13, exec_lo
	s_delay_alu instid0(VALU_DEP_2)
	v_cmpx_ne_u32_e32 0x80, v82
	s_cbranch_execz .LBB247_614
; %bb.609:                              ;   in Loop: Header=BB247_515 Depth=1
	s_mov_b32 s10, s8
	v_bfe_u32 v81, v81, 24, 7
	v_dual_mov_b32 v19, s11 :: v_dual_mov_b32 v18, s10
	s_mov_b32 s10, exec_lo
	s_delay_alu instid0(VALU_DEP_2)
	v_cmpx_ne_u32_e32 0x7f, v81
	s_cbranch_execz .LBB247_613
; %bb.610:                              ;   in Loop: Header=BB247_515 Depth=1
	v_and_b32_e32 v6, 7, v82
	v_lshrrev_b32_e32 v18, 3, v81
	s_mov_b32 s15, exec_lo
	v_cmpx_gt_u32_e32 8, v81
; %bb.611:                              ;   in Loop: Header=BB247_515 Depth=1
	s_delay_alu instid0(VALU_DEP_3) | instskip(NEXT) | instid1(VALU_DEP_1)
	v_clz_i32_u32_e32 v18, v6
	v_min_u32_e32 v18, 32, v18
	s_delay_alu instid0(VALU_DEP_1) | instskip(SKIP_1) | instid1(VALU_DEP_2)
	v_subrev_nc_u32_e32 v19, 28, v18
	v_sub_nc_u32_e32 v18, 29, v18
	v_lshlrev_b64 v[83:84], v19, v[6:7]
	s_delay_alu instid0(VALU_DEP_1)
	v_and_b32_e32 v6, 7, v83
; %bb.612:                              ;   in Loop: Header=BB247_515 Depth=1
	s_or_b32 exec_lo, exec_lo, s15
	v_lshlrev_b32_e32 v19, 24, v82
	s_delay_alu instid0(VALU_DEP_2) | instskip(SKIP_1) | instid1(VALU_DEP_3)
	v_lshlrev_b32_e32 v6, 20, v6
	v_lshl_add_u32 v18, v18, 23, 0x3c000000
	v_and_b32_e32 v19, 0x80000000, v19
	s_delay_alu instid0(VALU_DEP_1)
	v_or3_b32 v19, v6, v19, v18
	v_mov_b32_e32 v18, v7
.LBB247_613:                            ;   in Loop: Header=BB247_515 Depth=1
	s_or_b32 exec_lo, exec_lo, s10
.LBB247_614:                            ;   in Loop: Header=BB247_515 Depth=1
	s_delay_alu instid0(SALU_CYCLE_1)
	s_or_b32 exec_lo, exec_lo, s13
.LBB247_615:                            ;   in Loop: Header=BB247_515 Depth=1
	s_delay_alu instid0(SALU_CYCLE_1) | instskip(SKIP_4) | instid1(VALU_DEP_3)
	s_or_b32 exec_lo, exec_lo, s12
	v_or_b32_e32 v5, v15, v5
	v_or_b32_e32 v4, v14, v4
	v_or_b32_e32 v6, v19, v17
	v_or_b32_e32 v14, v18, v16
	v_dual_mul_f32 v84, v53, v5 :: v_dual_mul_f32 v83, v50, v4
	s_delay_alu instid0(VALU_DEP_3) | instskip(NEXT) | instid1(VALU_DEP_3)
	v_mul_f32_e32 v81, v53, v6
	v_mul_f32_e32 v82, v50, v14
	s_and_saveexec_b32 s10, vcc_lo
; %bb.616:                              ;   in Loop: Header=BB247_515 Depth=1
	v_cmp_lt_i32_e64 s0, v66, v22
	s_delay_alu instid0(VALU_DEP_1) | instskip(SKIP_1) | instid1(VALU_DEP_1)
	v_cndmask_b32_e64 v83, 0, v83, s0
	v_cmp_lt_i32_e64 s0, v68, v22
	v_cndmask_b32_e64 v84, 0, v84, s0
	v_cmp_lt_i32_e64 s0, v67, v22
	s_delay_alu instid0(VALU_DEP_1) | instskip(SKIP_1) | instid1(VALU_DEP_1)
	v_cndmask_b32_e64 v82, 0, v82, s0
	v_cmp_lt_i32_e64 s0, v21, v22
	v_cndmask_b32_e64 v81, 0, v81, s0
; %bb.617:                              ;   in Loop: Header=BB247_515 Depth=1
	s_or_b32 exec_lo, exec_lo, s10
	flat_load_b32 v85, v[12:13] offset:384
	v_mov_b32_e32 v14, 0
	v_mov_b32_e32 v15, 0
	s_mov_b32 s10, exec_lo
	s_waitcnt vmcnt(0) lgkmcnt(0)
	v_and_b32_e32 v6, 0xff, v85
	s_delay_alu instid0(VALU_DEP_2) | instskip(NEXT) | instid1(VALU_DEP_2)
	v_dual_mov_b32 v4, v14 :: v_dual_mov_b32 v5, v15
	v_cmpx_ne_u16_e32 0, v6
	s_cbranch_execz .LBB247_625
; %bb.618:                              ;   in Loop: Header=BB247_515 Depth=1
	v_bfrev_b32_e32 v4, 1
	v_mov_b32_e32 v5, 0
	s_mov_b32 s12, exec_lo
	v_cmpx_ne_u16_e32 0x80, v6
	s_cbranch_execz .LBB247_624
; %bb.619:                              ;   in Loop: Header=BB247_515 Depth=1
	v_mov_b32_e32 v4, 0x7f800001
	v_dual_mov_b32 v5, 0 :: v_dual_and_b32 v16, 0x7f, v85
	s_mov_b32 s13, exec_lo
	s_delay_alu instid0(VALU_DEP_1)
	v_cmpx_ne_u32_e32 0x7f, v16
	s_cbranch_execz .LBB247_623
; %bb.620:                              ;   in Loop: Header=BB247_515 Depth=1
	v_and_b32_e32 v6, 7, v85
	v_lshrrev_b32_e32 v4, 3, v16
	s_mov_b32 s15, exec_lo
	v_cmpx_gt_u32_e32 8, v16
; %bb.621:                              ;   in Loop: Header=BB247_515 Depth=1
	s_delay_alu instid0(VALU_DEP_3) | instskip(NEXT) | instid1(VALU_DEP_1)
	v_clz_i32_u32_e32 v4, v6
	v_min_u32_e32 v4, 32, v4
	s_delay_alu instid0(VALU_DEP_1) | instskip(SKIP_1) | instid1(VALU_DEP_2)
	v_subrev_nc_u32_e32 v5, 28, v4
	v_sub_nc_u32_e32 v4, 29, v4
	v_lshlrev_b64 v[5:6], v5, v[6:7]
	s_delay_alu instid0(VALU_DEP_1)
	v_and_b32_e32 v6, 7, v5
; %bb.622:                              ;   in Loop: Header=BB247_515 Depth=1
	s_or_b32 exec_lo, exec_lo, s15
	v_lshlrev_b32_e32 v5, 24, v85
	s_delay_alu instid0(VALU_DEP_2) | instskip(SKIP_1) | instid1(VALU_DEP_3)
	v_lshlrev_b32_e32 v6, 20, v6
	v_lshl_add_u32 v4, v4, 23, 0x3c000000
	v_and_b32_e32 v5, 0x80000000, v5
	s_delay_alu instid0(VALU_DEP_1) | instskip(NEXT) | instid1(VALU_DEP_1)
	v_or3_b32 v6, v6, v5, v4
	v_dual_mov_b32 v4, v6 :: v_dual_mov_b32 v5, v7
.LBB247_623:                            ;   in Loop: Header=BB247_515 Depth=1
	s_or_b32 exec_lo, exec_lo, s13
.LBB247_624:                            ;   in Loop: Header=BB247_515 Depth=1
	s_delay_alu instid0(SALU_CYCLE_1)
	s_or_b32 exec_lo, exec_lo, s12
.LBB247_625:                            ;   in Loop: Header=BB247_515 Depth=1
	s_delay_alu instid0(SALU_CYCLE_1) | instskip(SKIP_2) | instid1(VALU_DEP_1)
	s_or_b32 exec_lo, exec_lo, s10
	v_lshrrev_b16 v6, 8, v85
	s_mov_b32 s12, exec_lo
	v_cmpx_ne_u16_e32 0, v6
	s_cbranch_execz .LBB247_633
; %bb.626:                              ;   in Loop: Header=BB247_515 Depth=1
	v_dual_mov_b32 v15, s9 :: v_dual_mov_b32 v14, s8
	s_mov_b32 s13, exec_lo
	v_cmpx_ne_u16_e32 0x80, v6
	s_cbranch_execz .LBB247_632
; %bb.627:                              ;   in Loop: Header=BB247_515 Depth=1
	s_mov_b32 s10, s8
	v_dual_mov_b32 v15, s11 :: v_dual_and_b32 v6, 0xffff, v6
	v_mov_b32_e32 v14, s10
	s_mov_b32 s10, exec_lo
	s_delay_alu instid0(VALU_DEP_2) | instskip(NEXT) | instid1(VALU_DEP_1)
	v_and_b32_e32 v16, 0x7f, v6
	v_cmpx_ne_u32_e32 0x7f, v16
	s_cbranch_execz .LBB247_631
; %bb.628:                              ;   in Loop: Header=BB247_515 Depth=1
	v_and_b32_e32 v6, 7, v6
	v_lshrrev_b32_e32 v14, 3, v16
	s_mov_b32 s15, exec_lo
	v_cmpx_gt_u32_e32 8, v16
; %bb.629:                              ;   in Loop: Header=BB247_515 Depth=1
	s_delay_alu instid0(VALU_DEP_3) | instskip(NEXT) | instid1(VALU_DEP_1)
	v_clz_i32_u32_e32 v14, v6
	v_min_u32_e32 v14, 32, v14
	s_delay_alu instid0(VALU_DEP_1) | instskip(SKIP_1) | instid1(VALU_DEP_2)
	v_subrev_nc_u32_e32 v15, 28, v14
	v_sub_nc_u32_e32 v14, 29, v14
	v_lshlrev_b64 v[15:16], v15, v[6:7]
	s_delay_alu instid0(VALU_DEP_1)
	v_and_b32_e32 v6, 7, v15
; %bb.630:                              ;   in Loop: Header=BB247_515 Depth=1
	s_or_b32 exec_lo, exec_lo, s15
	v_lshlrev_b32_e32 v15, 16, v85
	s_delay_alu instid0(VALU_DEP_2) | instskip(SKIP_1) | instid1(VALU_DEP_3)
	v_lshlrev_b32_e32 v6, 20, v6
	v_lshl_add_u32 v14, v14, 23, 0x3c000000
	v_and_b32_e32 v15, 0x80000000, v15
	s_delay_alu instid0(VALU_DEP_1)
	v_or3_b32 v15, v6, v15, v14
	v_mov_b32_e32 v14, v7
.LBB247_631:                            ;   in Loop: Header=BB247_515 Depth=1
	s_or_b32 exec_lo, exec_lo, s10
.LBB247_632:                            ;   in Loop: Header=BB247_515 Depth=1
	s_delay_alu instid0(SALU_CYCLE_1)
	s_or_b32 exec_lo, exec_lo, s13
.LBB247_633:                            ;   in Loop: Header=BB247_515 Depth=1
	s_delay_alu instid0(SALU_CYCLE_1) | instskip(SKIP_4) | instid1(VALU_DEP_2)
	s_or_b32 exec_lo, exec_lo, s12
	v_mov_b32_e32 v18, 0
	v_lshrrev_b32_e32 v86, 16, v85
	v_mov_b32_e32 v19, 0
	s_mov_b32 s10, exec_lo
	v_and_b32_e32 v6, 0xff, v86
	s_delay_alu instid0(VALU_DEP_2) | instskip(NEXT) | instid1(VALU_DEP_2)
	v_dual_mov_b32 v16, v18 :: v_dual_mov_b32 v17, v19
	v_cmpx_ne_u16_e32 0, v6
	s_cbranch_execz .LBB247_641
; %bb.634:                              ;   in Loop: Header=BB247_515 Depth=1
	v_bfrev_b32_e32 v16, 1
	v_mov_b32_e32 v17, 0
	s_mov_b32 s12, exec_lo
	v_cmpx_ne_u16_e32 0x80, v6
	s_cbranch_execz .LBB247_640
; %bb.635:                              ;   in Loop: Header=BB247_515 Depth=1
	v_mov_b32_e32 v16, 0x7f800001
	v_bfe_u32 v87, v85, 16, 7
	v_mov_b32_e32 v17, 0
	s_mov_b32 s13, exec_lo
	s_delay_alu instid0(VALU_DEP_2)
	v_cmpx_ne_u32_e32 0x7f, v87
	s_cbranch_execz .LBB247_639
; %bb.636:                              ;   in Loop: Header=BB247_515 Depth=1
	v_and_b32_e32 v6, 7, v86
	v_lshrrev_b32_e32 v16, 3, v87
	s_mov_b32 s15, exec_lo
	v_cmpx_gt_u32_e32 8, v87
; %bb.637:                              ;   in Loop: Header=BB247_515 Depth=1
	s_delay_alu instid0(VALU_DEP_3) | instskip(NEXT) | instid1(VALU_DEP_1)
	v_clz_i32_u32_e32 v16, v6
	v_min_u32_e32 v16, 32, v16
	s_delay_alu instid0(VALU_DEP_1) | instskip(SKIP_1) | instid1(VALU_DEP_2)
	v_subrev_nc_u32_e32 v17, 28, v16
	v_sub_nc_u32_e32 v16, 29, v16
	v_lshlrev_b64 v[96:97], v17, v[6:7]
	s_delay_alu instid0(VALU_DEP_1)
	v_and_b32_e32 v6, 7, v96
; %bb.638:                              ;   in Loop: Header=BB247_515 Depth=1
	s_or_b32 exec_lo, exec_lo, s15
	v_lshlrev_b32_e32 v17, 24, v86
	s_delay_alu instid0(VALU_DEP_2) | instskip(SKIP_1) | instid1(VALU_DEP_3)
	v_lshlrev_b32_e32 v6, 20, v6
	v_lshl_add_u32 v16, v16, 23, 0x3c000000
	v_and_b32_e32 v17, 0x80000000, v17
	s_delay_alu instid0(VALU_DEP_1) | instskip(NEXT) | instid1(VALU_DEP_1)
	v_or3_b32 v6, v6, v17, v16
	v_dual_mov_b32 v17, v7 :: v_dual_mov_b32 v16, v6
.LBB247_639:                            ;   in Loop: Header=BB247_515 Depth=1
	s_or_b32 exec_lo, exec_lo, s13
.LBB247_640:                            ;   in Loop: Header=BB247_515 Depth=1
	s_delay_alu instid0(SALU_CYCLE_1)
	s_or_b32 exec_lo, exec_lo, s12
.LBB247_641:                            ;   in Loop: Header=BB247_515 Depth=1
	s_delay_alu instid0(SALU_CYCLE_1) | instskip(NEXT) | instid1(SALU_CYCLE_1)
	s_or_b32 exec_lo, exec_lo, s10
	s_mov_b32 s12, exec_lo
	v_cmpx_lt_u32_e32 0xffffff, v85
	s_cbranch_execz .LBB247_649
; %bb.642:                              ;   in Loop: Header=BB247_515 Depth=1
	v_lshrrev_b32_e32 v86, 24, v85
	v_dual_mov_b32 v19, s9 :: v_dual_mov_b32 v18, s8
	s_mov_b32 s13, exec_lo
	s_delay_alu instid0(VALU_DEP_2)
	v_cmpx_ne_u32_e32 0x80, v86
	s_cbranch_execz .LBB247_648
; %bb.643:                              ;   in Loop: Header=BB247_515 Depth=1
	s_mov_b32 s10, s8
	v_bfe_u32 v85, v85, 24, 7
	v_dual_mov_b32 v19, s11 :: v_dual_mov_b32 v18, s10
	s_mov_b32 s10, exec_lo
	s_delay_alu instid0(VALU_DEP_2)
	v_cmpx_ne_u32_e32 0x7f, v85
	s_cbranch_execz .LBB247_647
; %bb.644:                              ;   in Loop: Header=BB247_515 Depth=1
	v_and_b32_e32 v6, 7, v86
	v_lshrrev_b32_e32 v18, 3, v85
	s_mov_b32 s15, exec_lo
	v_cmpx_gt_u32_e32 8, v85
; %bb.645:                              ;   in Loop: Header=BB247_515 Depth=1
	s_delay_alu instid0(VALU_DEP_3) | instskip(NEXT) | instid1(VALU_DEP_1)
	v_clz_i32_u32_e32 v18, v6
	v_min_u32_e32 v18, 32, v18
	s_delay_alu instid0(VALU_DEP_1) | instskip(SKIP_1) | instid1(VALU_DEP_2)
	v_subrev_nc_u32_e32 v19, 28, v18
	v_sub_nc_u32_e32 v18, 29, v18
	v_lshlrev_b64 v[96:97], v19, v[6:7]
	s_delay_alu instid0(VALU_DEP_1)
	v_and_b32_e32 v6, 7, v96
; %bb.646:                              ;   in Loop: Header=BB247_515 Depth=1
	s_or_b32 exec_lo, exec_lo, s15
	v_lshlrev_b32_e32 v19, 24, v86
	s_delay_alu instid0(VALU_DEP_2) | instskip(SKIP_1) | instid1(VALU_DEP_3)
	v_lshlrev_b32_e32 v6, 20, v6
	v_lshl_add_u32 v18, v18, 23, 0x3c000000
	v_and_b32_e32 v19, 0x80000000, v19
	s_delay_alu instid0(VALU_DEP_1)
	v_or3_b32 v19, v6, v19, v18
	v_mov_b32_e32 v18, v7
.LBB247_647:                            ;   in Loop: Header=BB247_515 Depth=1
	s_or_b32 exec_lo, exec_lo, s10
.LBB247_648:                            ;   in Loop: Header=BB247_515 Depth=1
	s_delay_alu instid0(SALU_CYCLE_1)
	s_or_b32 exec_lo, exec_lo, s13
.LBB247_649:                            ;   in Loop: Header=BB247_515 Depth=1
	s_delay_alu instid0(SALU_CYCLE_1) | instskip(SKIP_4) | instid1(VALU_DEP_3)
	s_or_b32 exec_lo, exec_lo, s12
	v_or_b32_e32 v5, v15, v5
	v_or_b32_e32 v4, v14, v4
	;; [unrolled: 1-line block ×4, first 2 shown]
	v_dual_mul_f32 v96, v53, v5 :: v_dual_mul_f32 v87, v50, v4
	s_delay_alu instid0(VALU_DEP_3) | instskip(NEXT) | instid1(VALU_DEP_3)
	v_mul_f32_e32 v85, v53, v6
	v_mul_f32_e32 v86, v50, v14
	s_and_saveexec_b32 s10, vcc_lo
; %bb.650:                              ;   in Loop: Header=BB247_515 Depth=1
	v_cmp_lt_i32_e64 s0, v66, v22
	s_delay_alu instid0(VALU_DEP_1) | instskip(SKIP_1) | instid1(VALU_DEP_1)
	v_cndmask_b32_e64 v87, 0, v87, s0
	v_cmp_lt_i32_e64 s0, v68, v22
	v_cndmask_b32_e64 v96, 0, v96, s0
	v_cmp_lt_i32_e64 s0, v67, v22
	s_delay_alu instid0(VALU_DEP_1) | instskip(SKIP_1) | instid1(VALU_DEP_1)
	v_cndmask_b32_e64 v86, 0, v86, s0
	v_cmp_lt_i32_e64 s0, v21, v22
	v_cndmask_b32_e64 v85, 0, v85, s0
; %bb.651:                              ;   in Loop: Header=BB247_515 Depth=1
	s_or_b32 exec_lo, exec_lo, s10
	flat_load_b32 v97, v[12:13] offset:512
	v_mov_b32_e32 v14, 0
	v_mov_b32_e32 v15, 0
	s_mov_b32 s10, exec_lo
	s_waitcnt vmcnt(0) lgkmcnt(0)
	v_and_b32_e32 v6, 0xff, v97
	s_delay_alu instid0(VALU_DEP_2) | instskip(NEXT) | instid1(VALU_DEP_2)
	v_dual_mov_b32 v4, v14 :: v_dual_mov_b32 v5, v15
	v_cmpx_ne_u16_e32 0, v6
	s_cbranch_execz .LBB247_659
; %bb.652:                              ;   in Loop: Header=BB247_515 Depth=1
	v_bfrev_b32_e32 v4, 1
	v_mov_b32_e32 v5, 0
	s_mov_b32 s12, exec_lo
	v_cmpx_ne_u16_e32 0x80, v6
	s_cbranch_execz .LBB247_658
; %bb.653:                              ;   in Loop: Header=BB247_515 Depth=1
	v_mov_b32_e32 v4, 0x7f800001
	v_dual_mov_b32 v5, 0 :: v_dual_and_b32 v16, 0x7f, v97
	s_mov_b32 s13, exec_lo
	s_delay_alu instid0(VALU_DEP_1)
	v_cmpx_ne_u32_e32 0x7f, v16
	s_cbranch_execz .LBB247_657
; %bb.654:                              ;   in Loop: Header=BB247_515 Depth=1
	v_and_b32_e32 v6, 7, v97
	v_lshrrev_b32_e32 v4, 3, v16
	s_mov_b32 s15, exec_lo
	v_cmpx_gt_u32_e32 8, v16
; %bb.655:                              ;   in Loop: Header=BB247_515 Depth=1
	s_delay_alu instid0(VALU_DEP_3) | instskip(NEXT) | instid1(VALU_DEP_1)
	v_clz_i32_u32_e32 v4, v6
	v_min_u32_e32 v4, 32, v4
	s_delay_alu instid0(VALU_DEP_1) | instskip(SKIP_1) | instid1(VALU_DEP_2)
	v_subrev_nc_u32_e32 v5, 28, v4
	v_sub_nc_u32_e32 v4, 29, v4
	v_lshlrev_b64 v[5:6], v5, v[6:7]
	s_delay_alu instid0(VALU_DEP_1)
	v_and_b32_e32 v6, 7, v5
; %bb.656:                              ;   in Loop: Header=BB247_515 Depth=1
	s_or_b32 exec_lo, exec_lo, s15
	v_lshlrev_b32_e32 v5, 24, v97
	s_delay_alu instid0(VALU_DEP_2) | instskip(SKIP_1) | instid1(VALU_DEP_3)
	v_lshlrev_b32_e32 v6, 20, v6
	v_lshl_add_u32 v4, v4, 23, 0x3c000000
	v_and_b32_e32 v5, 0x80000000, v5
	s_delay_alu instid0(VALU_DEP_1) | instskip(NEXT) | instid1(VALU_DEP_1)
	v_or3_b32 v6, v6, v5, v4
	v_dual_mov_b32 v4, v6 :: v_dual_mov_b32 v5, v7
.LBB247_657:                            ;   in Loop: Header=BB247_515 Depth=1
	s_or_b32 exec_lo, exec_lo, s13
.LBB247_658:                            ;   in Loop: Header=BB247_515 Depth=1
	s_delay_alu instid0(SALU_CYCLE_1)
	s_or_b32 exec_lo, exec_lo, s12
.LBB247_659:                            ;   in Loop: Header=BB247_515 Depth=1
	s_delay_alu instid0(SALU_CYCLE_1) | instskip(SKIP_2) | instid1(VALU_DEP_1)
	s_or_b32 exec_lo, exec_lo, s10
	v_lshrrev_b16 v6, 8, v97
	s_mov_b32 s12, exec_lo
	v_cmpx_ne_u16_e32 0, v6
	s_cbranch_execz .LBB247_667
; %bb.660:                              ;   in Loop: Header=BB247_515 Depth=1
	v_dual_mov_b32 v15, s9 :: v_dual_mov_b32 v14, s8
	s_mov_b32 s13, exec_lo
	v_cmpx_ne_u16_e32 0x80, v6
	s_cbranch_execz .LBB247_666
; %bb.661:                              ;   in Loop: Header=BB247_515 Depth=1
	s_mov_b32 s10, s8
	v_dual_mov_b32 v15, s11 :: v_dual_and_b32 v6, 0xffff, v6
	v_mov_b32_e32 v14, s10
	s_mov_b32 s10, exec_lo
	s_delay_alu instid0(VALU_DEP_2) | instskip(NEXT) | instid1(VALU_DEP_1)
	v_and_b32_e32 v16, 0x7f, v6
	v_cmpx_ne_u32_e32 0x7f, v16
	s_cbranch_execz .LBB247_665
; %bb.662:                              ;   in Loop: Header=BB247_515 Depth=1
	v_and_b32_e32 v6, 7, v6
	v_lshrrev_b32_e32 v14, 3, v16
	s_mov_b32 s15, exec_lo
	v_cmpx_gt_u32_e32 8, v16
; %bb.663:                              ;   in Loop: Header=BB247_515 Depth=1
	s_delay_alu instid0(VALU_DEP_3) | instskip(NEXT) | instid1(VALU_DEP_1)
	v_clz_i32_u32_e32 v14, v6
	v_min_u32_e32 v14, 32, v14
	s_delay_alu instid0(VALU_DEP_1) | instskip(SKIP_1) | instid1(VALU_DEP_2)
	v_subrev_nc_u32_e32 v15, 28, v14
	v_sub_nc_u32_e32 v14, 29, v14
	v_lshlrev_b64 v[15:16], v15, v[6:7]
	s_delay_alu instid0(VALU_DEP_1)
	v_and_b32_e32 v6, 7, v15
; %bb.664:                              ;   in Loop: Header=BB247_515 Depth=1
	s_or_b32 exec_lo, exec_lo, s15
	v_lshlrev_b32_e32 v15, 16, v97
	s_delay_alu instid0(VALU_DEP_2) | instskip(SKIP_1) | instid1(VALU_DEP_3)
	v_lshlrev_b32_e32 v6, 20, v6
	v_lshl_add_u32 v14, v14, 23, 0x3c000000
	v_and_b32_e32 v15, 0x80000000, v15
	s_delay_alu instid0(VALU_DEP_1)
	v_or3_b32 v15, v6, v15, v14
	v_mov_b32_e32 v14, v7
.LBB247_665:                            ;   in Loop: Header=BB247_515 Depth=1
	s_or_b32 exec_lo, exec_lo, s10
.LBB247_666:                            ;   in Loop: Header=BB247_515 Depth=1
	s_delay_alu instid0(SALU_CYCLE_1)
	s_or_b32 exec_lo, exec_lo, s13
.LBB247_667:                            ;   in Loop: Header=BB247_515 Depth=1
	s_delay_alu instid0(SALU_CYCLE_1) | instskip(SKIP_4) | instid1(VALU_DEP_2)
	s_or_b32 exec_lo, exec_lo, s12
	v_mov_b32_e32 v18, 0
	v_lshrrev_b32_e32 v98, 16, v97
	v_mov_b32_e32 v19, 0
	s_mov_b32 s10, exec_lo
	v_and_b32_e32 v6, 0xff, v98
	s_delay_alu instid0(VALU_DEP_2) | instskip(NEXT) | instid1(VALU_DEP_2)
	v_dual_mov_b32 v16, v18 :: v_dual_mov_b32 v17, v19
	v_cmpx_ne_u16_e32 0, v6
	s_cbranch_execz .LBB247_675
; %bb.668:                              ;   in Loop: Header=BB247_515 Depth=1
	v_bfrev_b32_e32 v16, 1
	v_mov_b32_e32 v17, 0
	s_mov_b32 s12, exec_lo
	v_cmpx_ne_u16_e32 0x80, v6
	s_cbranch_execz .LBB247_674
; %bb.669:                              ;   in Loop: Header=BB247_515 Depth=1
	v_mov_b32_e32 v16, 0x7f800001
	v_bfe_u32 v99, v97, 16, 7
	v_mov_b32_e32 v17, 0
	s_mov_b32 s13, exec_lo
	s_delay_alu instid0(VALU_DEP_2)
	v_cmpx_ne_u32_e32 0x7f, v99
	s_cbranch_execz .LBB247_673
; %bb.670:                              ;   in Loop: Header=BB247_515 Depth=1
	v_and_b32_e32 v6, 7, v98
	v_lshrrev_b32_e32 v16, 3, v99
	s_mov_b32 s15, exec_lo
	v_cmpx_gt_u32_e32 8, v99
; %bb.671:                              ;   in Loop: Header=BB247_515 Depth=1
	s_delay_alu instid0(VALU_DEP_3) | instskip(NEXT) | instid1(VALU_DEP_1)
	v_clz_i32_u32_e32 v16, v6
	v_min_u32_e32 v16, 32, v16
	s_delay_alu instid0(VALU_DEP_1) | instskip(SKIP_1) | instid1(VALU_DEP_2)
	v_subrev_nc_u32_e32 v17, 28, v16
	v_sub_nc_u32_e32 v16, 29, v16
	v_lshlrev_b64 v[99:100], v17, v[6:7]
	s_delay_alu instid0(VALU_DEP_1)
	v_and_b32_e32 v6, 7, v99
; %bb.672:                              ;   in Loop: Header=BB247_515 Depth=1
	s_or_b32 exec_lo, exec_lo, s15
	v_lshlrev_b32_e32 v17, 24, v98
	s_delay_alu instid0(VALU_DEP_2) | instskip(SKIP_1) | instid1(VALU_DEP_3)
	v_lshlrev_b32_e32 v6, 20, v6
	v_lshl_add_u32 v16, v16, 23, 0x3c000000
	v_and_b32_e32 v17, 0x80000000, v17
	s_delay_alu instid0(VALU_DEP_1) | instskip(NEXT) | instid1(VALU_DEP_1)
	v_or3_b32 v6, v6, v17, v16
	v_dual_mov_b32 v17, v7 :: v_dual_mov_b32 v16, v6
.LBB247_673:                            ;   in Loop: Header=BB247_515 Depth=1
	s_or_b32 exec_lo, exec_lo, s13
.LBB247_674:                            ;   in Loop: Header=BB247_515 Depth=1
	s_delay_alu instid0(SALU_CYCLE_1)
	s_or_b32 exec_lo, exec_lo, s12
.LBB247_675:                            ;   in Loop: Header=BB247_515 Depth=1
	s_delay_alu instid0(SALU_CYCLE_1) | instskip(NEXT) | instid1(SALU_CYCLE_1)
	s_or_b32 exec_lo, exec_lo, s10
	s_mov_b32 s12, exec_lo
	v_cmpx_lt_u32_e32 0xffffff, v97
	s_cbranch_execz .LBB247_683
; %bb.676:                              ;   in Loop: Header=BB247_515 Depth=1
	v_lshrrev_b32_e32 v98, 24, v97
	v_dual_mov_b32 v19, s9 :: v_dual_mov_b32 v18, s8
	s_mov_b32 s13, exec_lo
	s_delay_alu instid0(VALU_DEP_2)
	v_cmpx_ne_u32_e32 0x80, v98
	s_cbranch_execz .LBB247_682
; %bb.677:                              ;   in Loop: Header=BB247_515 Depth=1
	s_mov_b32 s10, s8
	v_bfe_u32 v97, v97, 24, 7
	v_dual_mov_b32 v19, s11 :: v_dual_mov_b32 v18, s10
	s_mov_b32 s10, exec_lo
	s_delay_alu instid0(VALU_DEP_2)
	v_cmpx_ne_u32_e32 0x7f, v97
	s_cbranch_execz .LBB247_681
; %bb.678:                              ;   in Loop: Header=BB247_515 Depth=1
	v_and_b32_e32 v6, 7, v98
	v_lshrrev_b32_e32 v18, 3, v97
	s_mov_b32 s15, exec_lo
	v_cmpx_gt_u32_e32 8, v97
; %bb.679:                              ;   in Loop: Header=BB247_515 Depth=1
	s_delay_alu instid0(VALU_DEP_3) | instskip(NEXT) | instid1(VALU_DEP_1)
	v_clz_i32_u32_e32 v18, v6
	v_min_u32_e32 v18, 32, v18
	s_delay_alu instid0(VALU_DEP_1) | instskip(SKIP_1) | instid1(VALU_DEP_2)
	v_subrev_nc_u32_e32 v19, 28, v18
	v_sub_nc_u32_e32 v18, 29, v18
	v_lshlrev_b64 v[99:100], v19, v[6:7]
	s_delay_alu instid0(VALU_DEP_1)
	v_and_b32_e32 v6, 7, v99
; %bb.680:                              ;   in Loop: Header=BB247_515 Depth=1
	s_or_b32 exec_lo, exec_lo, s15
	v_lshlrev_b32_e32 v19, 24, v98
	s_delay_alu instid0(VALU_DEP_2) | instskip(SKIP_1) | instid1(VALU_DEP_3)
	v_lshlrev_b32_e32 v6, 20, v6
	v_lshl_add_u32 v18, v18, 23, 0x3c000000
	v_and_b32_e32 v19, 0x80000000, v19
	s_delay_alu instid0(VALU_DEP_1)
	v_or3_b32 v19, v6, v19, v18
	v_mov_b32_e32 v18, v7
.LBB247_681:                            ;   in Loop: Header=BB247_515 Depth=1
	s_or_b32 exec_lo, exec_lo, s10
.LBB247_682:                            ;   in Loop: Header=BB247_515 Depth=1
	s_delay_alu instid0(SALU_CYCLE_1)
	s_or_b32 exec_lo, exec_lo, s13
.LBB247_683:                            ;   in Loop: Header=BB247_515 Depth=1
	s_delay_alu instid0(SALU_CYCLE_1) | instskip(SKIP_4) | instid1(VALU_DEP_3)
	s_or_b32 exec_lo, exec_lo, s12
	v_or_b32_e32 v5, v15, v5
	v_or_b32_e32 v4, v14, v4
	v_or_b32_e32 v6, v19, v17
	v_or_b32_e32 v14, v18, v16
	v_dual_mul_f32 v100, v53, v5 :: v_dual_mul_f32 v99, v50, v4
	s_delay_alu instid0(VALU_DEP_3) | instskip(NEXT) | instid1(VALU_DEP_3)
	v_mul_f32_e32 v97, v53, v6
	v_mul_f32_e32 v98, v50, v14
	s_and_saveexec_b32 s10, vcc_lo
; %bb.684:                              ;   in Loop: Header=BB247_515 Depth=1
	v_cmp_lt_i32_e64 s0, v66, v22
	s_delay_alu instid0(VALU_DEP_1) | instskip(SKIP_1) | instid1(VALU_DEP_1)
	v_cndmask_b32_e64 v99, 0, v99, s0
	v_cmp_lt_i32_e64 s0, v68, v22
	v_cndmask_b32_e64 v100, 0, v100, s0
	v_cmp_lt_i32_e64 s0, v67, v22
	s_delay_alu instid0(VALU_DEP_1) | instskip(SKIP_1) | instid1(VALU_DEP_1)
	v_cndmask_b32_e64 v98, 0, v98, s0
	v_cmp_lt_i32_e64 s0, v21, v22
	v_cndmask_b32_e64 v97, 0, v97, s0
; %bb.685:                              ;   in Loop: Header=BB247_515 Depth=1
	s_or_b32 exec_lo, exec_lo, s10
	flat_load_b32 v101, v[12:13] offset:640
	v_mov_b32_e32 v14, 0
	v_mov_b32_e32 v15, 0
	s_mov_b32 s10, exec_lo
	s_waitcnt vmcnt(0) lgkmcnt(0)
	v_and_b32_e32 v6, 0xff, v101
	s_delay_alu instid0(VALU_DEP_2) | instskip(NEXT) | instid1(VALU_DEP_2)
	v_dual_mov_b32 v4, v14 :: v_dual_mov_b32 v5, v15
	v_cmpx_ne_u16_e32 0, v6
	s_cbranch_execz .LBB247_693
; %bb.686:                              ;   in Loop: Header=BB247_515 Depth=1
	v_bfrev_b32_e32 v4, 1
	v_mov_b32_e32 v5, 0
	s_mov_b32 s12, exec_lo
	v_cmpx_ne_u16_e32 0x80, v6
	s_cbranch_execz .LBB247_692
; %bb.687:                              ;   in Loop: Header=BB247_515 Depth=1
	v_mov_b32_e32 v4, 0x7f800001
	v_dual_mov_b32 v5, 0 :: v_dual_and_b32 v16, 0x7f, v101
	s_mov_b32 s13, exec_lo
	s_delay_alu instid0(VALU_DEP_1)
	v_cmpx_ne_u32_e32 0x7f, v16
	s_cbranch_execz .LBB247_691
; %bb.688:                              ;   in Loop: Header=BB247_515 Depth=1
	v_and_b32_e32 v6, 7, v101
	v_lshrrev_b32_e32 v4, 3, v16
	s_mov_b32 s15, exec_lo
	v_cmpx_gt_u32_e32 8, v16
; %bb.689:                              ;   in Loop: Header=BB247_515 Depth=1
	s_delay_alu instid0(VALU_DEP_3) | instskip(NEXT) | instid1(VALU_DEP_1)
	v_clz_i32_u32_e32 v4, v6
	v_min_u32_e32 v4, 32, v4
	s_delay_alu instid0(VALU_DEP_1) | instskip(SKIP_1) | instid1(VALU_DEP_2)
	v_subrev_nc_u32_e32 v5, 28, v4
	v_sub_nc_u32_e32 v4, 29, v4
	v_lshlrev_b64 v[5:6], v5, v[6:7]
	s_delay_alu instid0(VALU_DEP_1)
	v_and_b32_e32 v6, 7, v5
; %bb.690:                              ;   in Loop: Header=BB247_515 Depth=1
	s_or_b32 exec_lo, exec_lo, s15
	v_lshlrev_b32_e32 v5, 24, v101
	s_delay_alu instid0(VALU_DEP_2) | instskip(SKIP_1) | instid1(VALU_DEP_3)
	v_lshlrev_b32_e32 v6, 20, v6
	v_lshl_add_u32 v4, v4, 23, 0x3c000000
	v_and_b32_e32 v5, 0x80000000, v5
	s_delay_alu instid0(VALU_DEP_1) | instskip(NEXT) | instid1(VALU_DEP_1)
	v_or3_b32 v6, v6, v5, v4
	v_dual_mov_b32 v4, v6 :: v_dual_mov_b32 v5, v7
.LBB247_691:                            ;   in Loop: Header=BB247_515 Depth=1
	s_or_b32 exec_lo, exec_lo, s13
.LBB247_692:                            ;   in Loop: Header=BB247_515 Depth=1
	s_delay_alu instid0(SALU_CYCLE_1)
	s_or_b32 exec_lo, exec_lo, s12
.LBB247_693:                            ;   in Loop: Header=BB247_515 Depth=1
	s_delay_alu instid0(SALU_CYCLE_1) | instskip(SKIP_2) | instid1(VALU_DEP_1)
	s_or_b32 exec_lo, exec_lo, s10
	v_lshrrev_b16 v6, 8, v101
	s_mov_b32 s12, exec_lo
	v_cmpx_ne_u16_e32 0, v6
	s_cbranch_execz .LBB247_701
; %bb.694:                              ;   in Loop: Header=BB247_515 Depth=1
	v_dual_mov_b32 v15, s9 :: v_dual_mov_b32 v14, s8
	s_mov_b32 s13, exec_lo
	v_cmpx_ne_u16_e32 0x80, v6
	s_cbranch_execz .LBB247_700
; %bb.695:                              ;   in Loop: Header=BB247_515 Depth=1
	s_mov_b32 s10, s8
	v_dual_mov_b32 v15, s11 :: v_dual_and_b32 v6, 0xffff, v6
	v_mov_b32_e32 v14, s10
	s_mov_b32 s10, exec_lo
	s_delay_alu instid0(VALU_DEP_2) | instskip(NEXT) | instid1(VALU_DEP_1)
	v_and_b32_e32 v16, 0x7f, v6
	v_cmpx_ne_u32_e32 0x7f, v16
	s_cbranch_execz .LBB247_699
; %bb.696:                              ;   in Loop: Header=BB247_515 Depth=1
	v_and_b32_e32 v6, 7, v6
	v_lshrrev_b32_e32 v14, 3, v16
	s_mov_b32 s15, exec_lo
	v_cmpx_gt_u32_e32 8, v16
; %bb.697:                              ;   in Loop: Header=BB247_515 Depth=1
	s_delay_alu instid0(VALU_DEP_3) | instskip(NEXT) | instid1(VALU_DEP_1)
	v_clz_i32_u32_e32 v14, v6
	v_min_u32_e32 v14, 32, v14
	s_delay_alu instid0(VALU_DEP_1) | instskip(SKIP_1) | instid1(VALU_DEP_2)
	v_subrev_nc_u32_e32 v15, 28, v14
	v_sub_nc_u32_e32 v14, 29, v14
	v_lshlrev_b64 v[15:16], v15, v[6:7]
	s_delay_alu instid0(VALU_DEP_1)
	v_and_b32_e32 v6, 7, v15
; %bb.698:                              ;   in Loop: Header=BB247_515 Depth=1
	s_or_b32 exec_lo, exec_lo, s15
	v_lshlrev_b32_e32 v15, 16, v101
	s_delay_alu instid0(VALU_DEP_2) | instskip(SKIP_1) | instid1(VALU_DEP_3)
	v_lshlrev_b32_e32 v6, 20, v6
	v_lshl_add_u32 v14, v14, 23, 0x3c000000
	v_and_b32_e32 v15, 0x80000000, v15
	s_delay_alu instid0(VALU_DEP_1)
	v_or3_b32 v15, v6, v15, v14
	v_mov_b32_e32 v14, v7
.LBB247_699:                            ;   in Loop: Header=BB247_515 Depth=1
	s_or_b32 exec_lo, exec_lo, s10
.LBB247_700:                            ;   in Loop: Header=BB247_515 Depth=1
	s_delay_alu instid0(SALU_CYCLE_1)
	s_or_b32 exec_lo, exec_lo, s13
.LBB247_701:                            ;   in Loop: Header=BB247_515 Depth=1
	s_delay_alu instid0(SALU_CYCLE_1) | instskip(SKIP_4) | instid1(VALU_DEP_2)
	s_or_b32 exec_lo, exec_lo, s12
	v_mov_b32_e32 v18, 0
	v_lshrrev_b32_e32 v102, 16, v101
	v_mov_b32_e32 v19, 0
	s_mov_b32 s10, exec_lo
	v_and_b32_e32 v6, 0xff, v102
	s_delay_alu instid0(VALU_DEP_2) | instskip(NEXT) | instid1(VALU_DEP_2)
	v_dual_mov_b32 v16, v18 :: v_dual_mov_b32 v17, v19
	v_cmpx_ne_u16_e32 0, v6
	s_cbranch_execz .LBB247_709
; %bb.702:                              ;   in Loop: Header=BB247_515 Depth=1
	v_bfrev_b32_e32 v16, 1
	v_mov_b32_e32 v17, 0
	s_mov_b32 s12, exec_lo
	v_cmpx_ne_u16_e32 0x80, v6
	s_cbranch_execz .LBB247_708
; %bb.703:                              ;   in Loop: Header=BB247_515 Depth=1
	v_mov_b32_e32 v16, 0x7f800001
	v_bfe_u32 v103, v101, 16, 7
	v_mov_b32_e32 v17, 0
	s_mov_b32 s13, exec_lo
	s_delay_alu instid0(VALU_DEP_2)
	v_cmpx_ne_u32_e32 0x7f, v103
	s_cbranch_execz .LBB247_707
; %bb.704:                              ;   in Loop: Header=BB247_515 Depth=1
	v_and_b32_e32 v6, 7, v102
	v_lshrrev_b32_e32 v16, 3, v103
	s_mov_b32 s15, exec_lo
	v_cmpx_gt_u32_e32 8, v103
; %bb.705:                              ;   in Loop: Header=BB247_515 Depth=1
	s_delay_alu instid0(VALU_DEP_3) | instskip(NEXT) | instid1(VALU_DEP_1)
	v_clz_i32_u32_e32 v16, v6
	v_min_u32_e32 v16, 32, v16
	s_delay_alu instid0(VALU_DEP_1) | instskip(SKIP_1) | instid1(VALU_DEP_2)
	v_subrev_nc_u32_e32 v17, 28, v16
	v_sub_nc_u32_e32 v16, 29, v16
	v_lshlrev_b64 v[112:113], v17, v[6:7]
	s_delay_alu instid0(VALU_DEP_1)
	v_and_b32_e32 v6, 7, v112
; %bb.706:                              ;   in Loop: Header=BB247_515 Depth=1
	s_or_b32 exec_lo, exec_lo, s15
	v_lshlrev_b32_e32 v17, 24, v102
	s_delay_alu instid0(VALU_DEP_2) | instskip(SKIP_1) | instid1(VALU_DEP_3)
	v_lshlrev_b32_e32 v6, 20, v6
	v_lshl_add_u32 v16, v16, 23, 0x3c000000
	v_and_b32_e32 v17, 0x80000000, v17
	s_delay_alu instid0(VALU_DEP_1) | instskip(NEXT) | instid1(VALU_DEP_1)
	v_or3_b32 v6, v6, v17, v16
	v_dual_mov_b32 v17, v7 :: v_dual_mov_b32 v16, v6
.LBB247_707:                            ;   in Loop: Header=BB247_515 Depth=1
	s_or_b32 exec_lo, exec_lo, s13
.LBB247_708:                            ;   in Loop: Header=BB247_515 Depth=1
	s_delay_alu instid0(SALU_CYCLE_1)
	s_or_b32 exec_lo, exec_lo, s12
.LBB247_709:                            ;   in Loop: Header=BB247_515 Depth=1
	s_delay_alu instid0(SALU_CYCLE_1) | instskip(NEXT) | instid1(SALU_CYCLE_1)
	s_or_b32 exec_lo, exec_lo, s10
	s_mov_b32 s12, exec_lo
	v_cmpx_lt_u32_e32 0xffffff, v101
	s_cbranch_execz .LBB247_717
; %bb.710:                              ;   in Loop: Header=BB247_515 Depth=1
	v_lshrrev_b32_e32 v102, 24, v101
	v_dual_mov_b32 v19, s9 :: v_dual_mov_b32 v18, s8
	s_mov_b32 s13, exec_lo
	s_delay_alu instid0(VALU_DEP_2)
	v_cmpx_ne_u32_e32 0x80, v102
	s_cbranch_execz .LBB247_716
; %bb.711:                              ;   in Loop: Header=BB247_515 Depth=1
	s_mov_b32 s10, s8
	v_bfe_u32 v101, v101, 24, 7
	v_dual_mov_b32 v19, s11 :: v_dual_mov_b32 v18, s10
	s_mov_b32 s10, exec_lo
	s_delay_alu instid0(VALU_DEP_2)
	v_cmpx_ne_u32_e32 0x7f, v101
	s_cbranch_execz .LBB247_715
; %bb.712:                              ;   in Loop: Header=BB247_515 Depth=1
	v_and_b32_e32 v6, 7, v102
	v_lshrrev_b32_e32 v18, 3, v101
	s_mov_b32 s15, exec_lo
	v_cmpx_gt_u32_e32 8, v101
; %bb.713:                              ;   in Loop: Header=BB247_515 Depth=1
	s_delay_alu instid0(VALU_DEP_3) | instskip(NEXT) | instid1(VALU_DEP_1)
	v_clz_i32_u32_e32 v18, v6
	v_min_u32_e32 v18, 32, v18
	s_delay_alu instid0(VALU_DEP_1) | instskip(SKIP_1) | instid1(VALU_DEP_2)
	v_subrev_nc_u32_e32 v19, 28, v18
	v_sub_nc_u32_e32 v18, 29, v18
	v_lshlrev_b64 v[112:113], v19, v[6:7]
	s_delay_alu instid0(VALU_DEP_1)
	v_and_b32_e32 v6, 7, v112
; %bb.714:                              ;   in Loop: Header=BB247_515 Depth=1
	s_or_b32 exec_lo, exec_lo, s15
	v_lshlrev_b32_e32 v19, 24, v102
	s_delay_alu instid0(VALU_DEP_2) | instskip(SKIP_1) | instid1(VALU_DEP_3)
	v_lshlrev_b32_e32 v6, 20, v6
	v_lshl_add_u32 v18, v18, 23, 0x3c000000
	v_and_b32_e32 v19, 0x80000000, v19
	s_delay_alu instid0(VALU_DEP_1)
	v_or3_b32 v19, v6, v19, v18
	v_mov_b32_e32 v18, v7
.LBB247_715:                            ;   in Loop: Header=BB247_515 Depth=1
	s_or_b32 exec_lo, exec_lo, s10
.LBB247_716:                            ;   in Loop: Header=BB247_515 Depth=1
	s_delay_alu instid0(SALU_CYCLE_1)
	s_or_b32 exec_lo, exec_lo, s13
.LBB247_717:                            ;   in Loop: Header=BB247_515 Depth=1
	s_delay_alu instid0(SALU_CYCLE_1) | instskip(SKIP_4) | instid1(VALU_DEP_3)
	s_or_b32 exec_lo, exec_lo, s12
	v_or_b32_e32 v5, v15, v5
	v_or_b32_e32 v4, v14, v4
	;; [unrolled: 1-line block ×4, first 2 shown]
	v_dual_mul_f32 v112, v53, v5 :: v_dual_mul_f32 v103, v50, v4
	s_delay_alu instid0(VALU_DEP_3) | instskip(NEXT) | instid1(VALU_DEP_3)
	v_mul_f32_e32 v101, v53, v6
	v_mul_f32_e32 v102, v50, v14
	s_and_saveexec_b32 s10, vcc_lo
; %bb.718:                              ;   in Loop: Header=BB247_515 Depth=1
	v_cmp_lt_i32_e64 s0, v66, v22
	s_delay_alu instid0(VALU_DEP_1) | instskip(SKIP_1) | instid1(VALU_DEP_1)
	v_cndmask_b32_e64 v103, 0, v103, s0
	v_cmp_lt_i32_e64 s0, v68, v22
	v_cndmask_b32_e64 v112, 0, v112, s0
	v_cmp_lt_i32_e64 s0, v67, v22
	s_delay_alu instid0(VALU_DEP_1) | instskip(SKIP_1) | instid1(VALU_DEP_1)
	v_cndmask_b32_e64 v102, 0, v102, s0
	v_cmp_lt_i32_e64 s0, v21, v22
	v_cndmask_b32_e64 v101, 0, v101, s0
; %bb.719:                              ;   in Loop: Header=BB247_515 Depth=1
	s_or_b32 exec_lo, exec_lo, s10
	flat_load_b32 v113, v[12:13] offset:768
	v_mov_b32_e32 v14, 0
	v_mov_b32_e32 v15, 0
	s_mov_b32 s10, exec_lo
	s_waitcnt vmcnt(0) lgkmcnt(0)
	v_and_b32_e32 v6, 0xff, v113
	s_delay_alu instid0(VALU_DEP_2) | instskip(NEXT) | instid1(VALU_DEP_2)
	v_dual_mov_b32 v4, v14 :: v_dual_mov_b32 v5, v15
	v_cmpx_ne_u16_e32 0, v6
	s_cbranch_execz .LBB247_727
; %bb.720:                              ;   in Loop: Header=BB247_515 Depth=1
	v_bfrev_b32_e32 v4, 1
	v_mov_b32_e32 v5, 0
	s_mov_b32 s12, exec_lo
	v_cmpx_ne_u16_e32 0x80, v6
	s_cbranch_execz .LBB247_726
; %bb.721:                              ;   in Loop: Header=BB247_515 Depth=1
	v_mov_b32_e32 v4, 0x7f800001
	v_dual_mov_b32 v5, 0 :: v_dual_and_b32 v16, 0x7f, v113
	s_mov_b32 s13, exec_lo
	s_delay_alu instid0(VALU_DEP_1)
	v_cmpx_ne_u32_e32 0x7f, v16
	s_cbranch_execz .LBB247_725
; %bb.722:                              ;   in Loop: Header=BB247_515 Depth=1
	v_and_b32_e32 v6, 7, v113
	v_lshrrev_b32_e32 v4, 3, v16
	s_mov_b32 s15, exec_lo
	v_cmpx_gt_u32_e32 8, v16
; %bb.723:                              ;   in Loop: Header=BB247_515 Depth=1
	s_delay_alu instid0(VALU_DEP_3) | instskip(NEXT) | instid1(VALU_DEP_1)
	v_clz_i32_u32_e32 v4, v6
	v_min_u32_e32 v4, 32, v4
	s_delay_alu instid0(VALU_DEP_1) | instskip(SKIP_1) | instid1(VALU_DEP_2)
	v_subrev_nc_u32_e32 v5, 28, v4
	v_sub_nc_u32_e32 v4, 29, v4
	v_lshlrev_b64 v[5:6], v5, v[6:7]
	s_delay_alu instid0(VALU_DEP_1)
	v_and_b32_e32 v6, 7, v5
; %bb.724:                              ;   in Loop: Header=BB247_515 Depth=1
	s_or_b32 exec_lo, exec_lo, s15
	v_lshlrev_b32_e32 v5, 24, v113
	s_delay_alu instid0(VALU_DEP_2) | instskip(SKIP_1) | instid1(VALU_DEP_3)
	v_lshlrev_b32_e32 v6, 20, v6
	v_lshl_add_u32 v4, v4, 23, 0x3c000000
	v_and_b32_e32 v5, 0x80000000, v5
	s_delay_alu instid0(VALU_DEP_1) | instskip(NEXT) | instid1(VALU_DEP_1)
	v_or3_b32 v6, v6, v5, v4
	v_dual_mov_b32 v4, v6 :: v_dual_mov_b32 v5, v7
.LBB247_725:                            ;   in Loop: Header=BB247_515 Depth=1
	s_or_b32 exec_lo, exec_lo, s13
.LBB247_726:                            ;   in Loop: Header=BB247_515 Depth=1
	s_delay_alu instid0(SALU_CYCLE_1)
	s_or_b32 exec_lo, exec_lo, s12
.LBB247_727:                            ;   in Loop: Header=BB247_515 Depth=1
	s_delay_alu instid0(SALU_CYCLE_1) | instskip(SKIP_2) | instid1(VALU_DEP_1)
	s_or_b32 exec_lo, exec_lo, s10
	v_lshrrev_b16 v6, 8, v113
	s_mov_b32 s12, exec_lo
	v_cmpx_ne_u16_e32 0, v6
	s_cbranch_execz .LBB247_735
; %bb.728:                              ;   in Loop: Header=BB247_515 Depth=1
	v_dual_mov_b32 v15, s9 :: v_dual_mov_b32 v14, s8
	s_mov_b32 s13, exec_lo
	v_cmpx_ne_u16_e32 0x80, v6
	s_cbranch_execz .LBB247_734
; %bb.729:                              ;   in Loop: Header=BB247_515 Depth=1
	s_mov_b32 s10, s8
	v_dual_mov_b32 v15, s11 :: v_dual_and_b32 v6, 0xffff, v6
	v_mov_b32_e32 v14, s10
	s_mov_b32 s10, exec_lo
	s_delay_alu instid0(VALU_DEP_2) | instskip(NEXT) | instid1(VALU_DEP_1)
	v_and_b32_e32 v16, 0x7f, v6
	v_cmpx_ne_u32_e32 0x7f, v16
	s_cbranch_execz .LBB247_733
; %bb.730:                              ;   in Loop: Header=BB247_515 Depth=1
	v_and_b32_e32 v6, 7, v6
	v_lshrrev_b32_e32 v14, 3, v16
	s_mov_b32 s15, exec_lo
	v_cmpx_gt_u32_e32 8, v16
; %bb.731:                              ;   in Loop: Header=BB247_515 Depth=1
	s_delay_alu instid0(VALU_DEP_3) | instskip(NEXT) | instid1(VALU_DEP_1)
	v_clz_i32_u32_e32 v14, v6
	v_min_u32_e32 v14, 32, v14
	s_delay_alu instid0(VALU_DEP_1) | instskip(SKIP_1) | instid1(VALU_DEP_2)
	v_subrev_nc_u32_e32 v15, 28, v14
	v_sub_nc_u32_e32 v14, 29, v14
	v_lshlrev_b64 v[15:16], v15, v[6:7]
	s_delay_alu instid0(VALU_DEP_1)
	v_and_b32_e32 v6, 7, v15
; %bb.732:                              ;   in Loop: Header=BB247_515 Depth=1
	s_or_b32 exec_lo, exec_lo, s15
	v_lshlrev_b32_e32 v15, 16, v113
	s_delay_alu instid0(VALU_DEP_2) | instskip(SKIP_1) | instid1(VALU_DEP_3)
	v_lshlrev_b32_e32 v6, 20, v6
	v_lshl_add_u32 v14, v14, 23, 0x3c000000
	v_and_b32_e32 v15, 0x80000000, v15
	s_delay_alu instid0(VALU_DEP_1)
	v_or3_b32 v15, v6, v15, v14
	v_mov_b32_e32 v14, v7
.LBB247_733:                            ;   in Loop: Header=BB247_515 Depth=1
	s_or_b32 exec_lo, exec_lo, s10
.LBB247_734:                            ;   in Loop: Header=BB247_515 Depth=1
	s_delay_alu instid0(SALU_CYCLE_1)
	s_or_b32 exec_lo, exec_lo, s13
.LBB247_735:                            ;   in Loop: Header=BB247_515 Depth=1
	s_delay_alu instid0(SALU_CYCLE_1) | instskip(SKIP_4) | instid1(VALU_DEP_2)
	s_or_b32 exec_lo, exec_lo, s12
	v_mov_b32_e32 v18, 0
	v_lshrrev_b32_e32 v114, 16, v113
	v_mov_b32_e32 v19, 0
	s_mov_b32 s10, exec_lo
	v_and_b32_e32 v6, 0xff, v114
	s_delay_alu instid0(VALU_DEP_2) | instskip(NEXT) | instid1(VALU_DEP_2)
	v_dual_mov_b32 v16, v18 :: v_dual_mov_b32 v17, v19
	v_cmpx_ne_u16_e32 0, v6
	s_cbranch_execz .LBB247_743
; %bb.736:                              ;   in Loop: Header=BB247_515 Depth=1
	v_bfrev_b32_e32 v16, 1
	v_mov_b32_e32 v17, 0
	s_mov_b32 s12, exec_lo
	v_cmpx_ne_u16_e32 0x80, v6
	s_cbranch_execz .LBB247_742
; %bb.737:                              ;   in Loop: Header=BB247_515 Depth=1
	v_mov_b32_e32 v16, 0x7f800001
	v_bfe_u32 v115, v113, 16, 7
	v_mov_b32_e32 v17, 0
	s_mov_b32 s13, exec_lo
	s_delay_alu instid0(VALU_DEP_2)
	v_cmpx_ne_u32_e32 0x7f, v115
	s_cbranch_execz .LBB247_741
; %bb.738:                              ;   in Loop: Header=BB247_515 Depth=1
	v_and_b32_e32 v6, 7, v114
	v_lshrrev_b32_e32 v16, 3, v115
	s_mov_b32 s15, exec_lo
	v_cmpx_gt_u32_e32 8, v115
; %bb.739:                              ;   in Loop: Header=BB247_515 Depth=1
	s_delay_alu instid0(VALU_DEP_3) | instskip(NEXT) | instid1(VALU_DEP_1)
	v_clz_i32_u32_e32 v16, v6
	v_min_u32_e32 v16, 32, v16
	s_delay_alu instid0(VALU_DEP_1) | instskip(SKIP_1) | instid1(VALU_DEP_2)
	v_subrev_nc_u32_e32 v17, 28, v16
	v_sub_nc_u32_e32 v16, 29, v16
	v_lshlrev_b64 v[115:116], v17, v[6:7]
	s_delay_alu instid0(VALU_DEP_1)
	v_and_b32_e32 v6, 7, v115
; %bb.740:                              ;   in Loop: Header=BB247_515 Depth=1
	s_or_b32 exec_lo, exec_lo, s15
	v_lshlrev_b32_e32 v17, 24, v114
	s_delay_alu instid0(VALU_DEP_2) | instskip(SKIP_1) | instid1(VALU_DEP_3)
	v_lshlrev_b32_e32 v6, 20, v6
	v_lshl_add_u32 v16, v16, 23, 0x3c000000
	v_and_b32_e32 v17, 0x80000000, v17
	s_delay_alu instid0(VALU_DEP_1) | instskip(NEXT) | instid1(VALU_DEP_1)
	v_or3_b32 v6, v6, v17, v16
	v_dual_mov_b32 v17, v7 :: v_dual_mov_b32 v16, v6
.LBB247_741:                            ;   in Loop: Header=BB247_515 Depth=1
	s_or_b32 exec_lo, exec_lo, s13
.LBB247_742:                            ;   in Loop: Header=BB247_515 Depth=1
	s_delay_alu instid0(SALU_CYCLE_1)
	s_or_b32 exec_lo, exec_lo, s12
.LBB247_743:                            ;   in Loop: Header=BB247_515 Depth=1
	s_delay_alu instid0(SALU_CYCLE_1) | instskip(NEXT) | instid1(SALU_CYCLE_1)
	s_or_b32 exec_lo, exec_lo, s10
	s_mov_b32 s12, exec_lo
	v_cmpx_lt_u32_e32 0xffffff, v113
	s_cbranch_execz .LBB247_751
; %bb.744:                              ;   in Loop: Header=BB247_515 Depth=1
	v_lshrrev_b32_e32 v114, 24, v113
	v_dual_mov_b32 v19, s9 :: v_dual_mov_b32 v18, s8
	s_mov_b32 s13, exec_lo
	s_delay_alu instid0(VALU_DEP_2)
	v_cmpx_ne_u32_e32 0x80, v114
	s_cbranch_execz .LBB247_750
; %bb.745:                              ;   in Loop: Header=BB247_515 Depth=1
	s_mov_b32 s10, s8
	v_bfe_u32 v113, v113, 24, 7
	v_dual_mov_b32 v19, s11 :: v_dual_mov_b32 v18, s10
	s_mov_b32 s10, exec_lo
	s_delay_alu instid0(VALU_DEP_2)
	v_cmpx_ne_u32_e32 0x7f, v113
	s_cbranch_execz .LBB247_749
; %bb.746:                              ;   in Loop: Header=BB247_515 Depth=1
	v_and_b32_e32 v6, 7, v114
	v_lshrrev_b32_e32 v18, 3, v113
	s_mov_b32 s15, exec_lo
	v_cmpx_gt_u32_e32 8, v113
; %bb.747:                              ;   in Loop: Header=BB247_515 Depth=1
	s_delay_alu instid0(VALU_DEP_3) | instskip(NEXT) | instid1(VALU_DEP_1)
	v_clz_i32_u32_e32 v18, v6
	v_min_u32_e32 v18, 32, v18
	s_delay_alu instid0(VALU_DEP_1) | instskip(SKIP_1) | instid1(VALU_DEP_2)
	v_subrev_nc_u32_e32 v19, 28, v18
	v_sub_nc_u32_e32 v18, 29, v18
	v_lshlrev_b64 v[115:116], v19, v[6:7]
	s_delay_alu instid0(VALU_DEP_1)
	v_and_b32_e32 v6, 7, v115
; %bb.748:                              ;   in Loop: Header=BB247_515 Depth=1
	s_or_b32 exec_lo, exec_lo, s15
	v_lshlrev_b32_e32 v19, 24, v114
	s_delay_alu instid0(VALU_DEP_2) | instskip(SKIP_1) | instid1(VALU_DEP_3)
	v_lshlrev_b32_e32 v6, 20, v6
	v_lshl_add_u32 v18, v18, 23, 0x3c000000
	v_and_b32_e32 v19, 0x80000000, v19
	s_delay_alu instid0(VALU_DEP_1)
	v_or3_b32 v19, v6, v19, v18
	v_mov_b32_e32 v18, v7
.LBB247_749:                            ;   in Loop: Header=BB247_515 Depth=1
	s_or_b32 exec_lo, exec_lo, s10
.LBB247_750:                            ;   in Loop: Header=BB247_515 Depth=1
	s_delay_alu instid0(SALU_CYCLE_1)
	s_or_b32 exec_lo, exec_lo, s13
.LBB247_751:                            ;   in Loop: Header=BB247_515 Depth=1
	s_delay_alu instid0(SALU_CYCLE_1) | instskip(SKIP_4) | instid1(VALU_DEP_3)
	s_or_b32 exec_lo, exec_lo, s12
	v_or_b32_e32 v5, v15, v5
	v_or_b32_e32 v4, v14, v4
	;; [unrolled: 1-line block ×4, first 2 shown]
	v_dual_mul_f32 v116, v53, v5 :: v_dual_mul_f32 v115, v50, v4
	s_delay_alu instid0(VALU_DEP_3) | instskip(NEXT) | instid1(VALU_DEP_3)
	v_mul_f32_e32 v113, v53, v6
	v_mul_f32_e32 v114, v50, v14
	s_and_saveexec_b32 s10, vcc_lo
; %bb.752:                              ;   in Loop: Header=BB247_515 Depth=1
	v_cmp_lt_i32_e64 s0, v66, v22
	s_delay_alu instid0(VALU_DEP_1) | instskip(SKIP_1) | instid1(VALU_DEP_1)
	v_cndmask_b32_e64 v115, 0, v115, s0
	v_cmp_lt_i32_e64 s0, v68, v22
	v_cndmask_b32_e64 v116, 0, v116, s0
	v_cmp_lt_i32_e64 s0, v67, v22
	s_delay_alu instid0(VALU_DEP_1) | instskip(SKIP_1) | instid1(VALU_DEP_1)
	v_cndmask_b32_e64 v114, 0, v114, s0
	v_cmp_lt_i32_e64 s0, v21, v22
	v_cndmask_b32_e64 v113, 0, v113, s0
; %bb.753:                              ;   in Loop: Header=BB247_515 Depth=1
	s_or_b32 exec_lo, exec_lo, s10
	flat_load_b32 v117, v[12:13] offset:896
	v_mov_b32_e32 v14, 0
	v_mov_b32_e32 v15, 0
	s_mov_b32 s10, exec_lo
	s_waitcnt vmcnt(0) lgkmcnt(0)
	v_and_b32_e32 v6, 0xff, v117
	s_delay_alu instid0(VALU_DEP_2) | instskip(NEXT) | instid1(VALU_DEP_2)
	v_dual_mov_b32 v4, v14 :: v_dual_mov_b32 v5, v15
	v_cmpx_ne_u16_e32 0, v6
	s_cbranch_execz .LBB247_761
; %bb.754:                              ;   in Loop: Header=BB247_515 Depth=1
	v_bfrev_b32_e32 v4, 1
	v_mov_b32_e32 v5, 0
	s_mov_b32 s12, exec_lo
	v_cmpx_ne_u16_e32 0x80, v6
	s_cbranch_execz .LBB247_760
; %bb.755:                              ;   in Loop: Header=BB247_515 Depth=1
	v_mov_b32_e32 v4, 0x7f800001
	v_dual_mov_b32 v5, 0 :: v_dual_and_b32 v16, 0x7f, v117
	s_mov_b32 s13, exec_lo
	s_delay_alu instid0(VALU_DEP_1)
	v_cmpx_ne_u32_e32 0x7f, v16
	s_cbranch_execz .LBB247_759
; %bb.756:                              ;   in Loop: Header=BB247_515 Depth=1
	v_and_b32_e32 v6, 7, v117
	v_lshrrev_b32_e32 v4, 3, v16
	s_mov_b32 s15, exec_lo
	v_cmpx_gt_u32_e32 8, v16
; %bb.757:                              ;   in Loop: Header=BB247_515 Depth=1
	s_delay_alu instid0(VALU_DEP_3) | instskip(NEXT) | instid1(VALU_DEP_1)
	v_clz_i32_u32_e32 v4, v6
	v_min_u32_e32 v4, 32, v4
	s_delay_alu instid0(VALU_DEP_1) | instskip(SKIP_1) | instid1(VALU_DEP_2)
	v_subrev_nc_u32_e32 v5, 28, v4
	v_sub_nc_u32_e32 v4, 29, v4
	v_lshlrev_b64 v[5:6], v5, v[6:7]
	s_delay_alu instid0(VALU_DEP_1)
	v_and_b32_e32 v6, 7, v5
; %bb.758:                              ;   in Loop: Header=BB247_515 Depth=1
	s_or_b32 exec_lo, exec_lo, s15
	v_lshlrev_b32_e32 v5, 24, v117
	s_delay_alu instid0(VALU_DEP_2) | instskip(SKIP_1) | instid1(VALU_DEP_3)
	v_lshlrev_b32_e32 v6, 20, v6
	v_lshl_add_u32 v4, v4, 23, 0x3c000000
	v_and_b32_e32 v5, 0x80000000, v5
	s_delay_alu instid0(VALU_DEP_1) | instskip(NEXT) | instid1(VALU_DEP_1)
	v_or3_b32 v6, v6, v5, v4
	v_dual_mov_b32 v4, v6 :: v_dual_mov_b32 v5, v7
.LBB247_759:                            ;   in Loop: Header=BB247_515 Depth=1
	s_or_b32 exec_lo, exec_lo, s13
.LBB247_760:                            ;   in Loop: Header=BB247_515 Depth=1
	s_delay_alu instid0(SALU_CYCLE_1)
	s_or_b32 exec_lo, exec_lo, s12
.LBB247_761:                            ;   in Loop: Header=BB247_515 Depth=1
	s_delay_alu instid0(SALU_CYCLE_1) | instskip(SKIP_2) | instid1(VALU_DEP_1)
	s_or_b32 exec_lo, exec_lo, s10
	v_lshrrev_b16 v6, 8, v117
	s_mov_b32 s12, exec_lo
	v_cmpx_ne_u16_e32 0, v6
	s_cbranch_execz .LBB247_769
; %bb.762:                              ;   in Loop: Header=BB247_515 Depth=1
	v_dual_mov_b32 v15, s9 :: v_dual_mov_b32 v14, s8
	s_mov_b32 s13, exec_lo
	v_cmpx_ne_u16_e32 0x80, v6
	s_cbranch_execz .LBB247_768
; %bb.763:                              ;   in Loop: Header=BB247_515 Depth=1
	s_mov_b32 s10, s8
	v_dual_mov_b32 v15, s11 :: v_dual_and_b32 v6, 0xffff, v6
	v_mov_b32_e32 v14, s10
	s_mov_b32 s10, exec_lo
	s_delay_alu instid0(VALU_DEP_2) | instskip(NEXT) | instid1(VALU_DEP_1)
	v_and_b32_e32 v16, 0x7f, v6
	v_cmpx_ne_u32_e32 0x7f, v16
	s_cbranch_execz .LBB247_767
; %bb.764:                              ;   in Loop: Header=BB247_515 Depth=1
	v_and_b32_e32 v6, 7, v6
	v_lshrrev_b32_e32 v14, 3, v16
	s_mov_b32 s15, exec_lo
	v_cmpx_gt_u32_e32 8, v16
; %bb.765:                              ;   in Loop: Header=BB247_515 Depth=1
	s_delay_alu instid0(VALU_DEP_3) | instskip(NEXT) | instid1(VALU_DEP_1)
	v_clz_i32_u32_e32 v14, v6
	v_min_u32_e32 v14, 32, v14
	s_delay_alu instid0(VALU_DEP_1) | instskip(SKIP_1) | instid1(VALU_DEP_2)
	v_subrev_nc_u32_e32 v15, 28, v14
	v_sub_nc_u32_e32 v14, 29, v14
	v_lshlrev_b64 v[15:16], v15, v[6:7]
	s_delay_alu instid0(VALU_DEP_1)
	v_and_b32_e32 v6, 7, v15
; %bb.766:                              ;   in Loop: Header=BB247_515 Depth=1
	s_or_b32 exec_lo, exec_lo, s15
	v_lshlrev_b32_e32 v15, 16, v117
	s_delay_alu instid0(VALU_DEP_2) | instskip(SKIP_1) | instid1(VALU_DEP_3)
	v_lshlrev_b32_e32 v6, 20, v6
	v_lshl_add_u32 v14, v14, 23, 0x3c000000
	v_and_b32_e32 v15, 0x80000000, v15
	s_delay_alu instid0(VALU_DEP_1)
	v_or3_b32 v15, v6, v15, v14
	v_mov_b32_e32 v14, v7
.LBB247_767:                            ;   in Loop: Header=BB247_515 Depth=1
	s_or_b32 exec_lo, exec_lo, s10
.LBB247_768:                            ;   in Loop: Header=BB247_515 Depth=1
	s_delay_alu instid0(SALU_CYCLE_1)
	s_or_b32 exec_lo, exec_lo, s13
.LBB247_769:                            ;   in Loop: Header=BB247_515 Depth=1
	s_delay_alu instid0(SALU_CYCLE_1) | instskip(SKIP_4) | instid1(VALU_DEP_2)
	s_or_b32 exec_lo, exec_lo, s12
	v_mov_b32_e32 v18, 0
	v_lshrrev_b32_e32 v118, 16, v117
	v_mov_b32_e32 v19, 0
	s_mov_b32 s10, exec_lo
	v_and_b32_e32 v6, 0xff, v118
	s_delay_alu instid0(VALU_DEP_2) | instskip(NEXT) | instid1(VALU_DEP_2)
	v_dual_mov_b32 v16, v18 :: v_dual_mov_b32 v17, v19
	v_cmpx_ne_u16_e32 0, v6
	s_cbranch_execz .LBB247_777
; %bb.770:                              ;   in Loop: Header=BB247_515 Depth=1
	v_bfrev_b32_e32 v16, 1
	v_mov_b32_e32 v17, 0
	s_mov_b32 s12, exec_lo
	v_cmpx_ne_u16_e32 0x80, v6
	s_cbranch_execz .LBB247_776
; %bb.771:                              ;   in Loop: Header=BB247_515 Depth=1
	v_mov_b32_e32 v16, 0x7f800001
	v_bfe_u32 v119, v117, 16, 7
	v_mov_b32_e32 v17, 0
	s_mov_b32 s13, exec_lo
	s_delay_alu instid0(VALU_DEP_2)
	v_cmpx_ne_u32_e32 0x7f, v119
	s_cbranch_execz .LBB247_775
; %bb.772:                              ;   in Loop: Header=BB247_515 Depth=1
	v_and_b32_e32 v6, 7, v118
	v_lshrrev_b32_e32 v16, 3, v119
	s_mov_b32 s15, exec_lo
	v_cmpx_gt_u32_e32 8, v119
; %bb.773:                              ;   in Loop: Header=BB247_515 Depth=1
	s_delay_alu instid0(VALU_DEP_3) | instskip(NEXT) | instid1(VALU_DEP_1)
	v_clz_i32_u32_e32 v16, v6
	v_min_u32_e32 v16, 32, v16
	s_delay_alu instid0(VALU_DEP_1) | instskip(SKIP_1) | instid1(VALU_DEP_2)
	v_subrev_nc_u32_e32 v17, 28, v16
	v_sub_nc_u32_e32 v16, 29, v16
	v_lshlrev_b64 v[128:129], v17, v[6:7]
	s_delay_alu instid0(VALU_DEP_1)
	v_and_b32_e32 v6, 7, v128
; %bb.774:                              ;   in Loop: Header=BB247_515 Depth=1
	s_or_b32 exec_lo, exec_lo, s15
	v_lshlrev_b32_e32 v17, 24, v118
	s_delay_alu instid0(VALU_DEP_2) | instskip(SKIP_1) | instid1(VALU_DEP_3)
	v_lshlrev_b32_e32 v6, 20, v6
	v_lshl_add_u32 v16, v16, 23, 0x3c000000
	v_and_b32_e32 v17, 0x80000000, v17
	s_delay_alu instid0(VALU_DEP_1) | instskip(NEXT) | instid1(VALU_DEP_1)
	v_or3_b32 v6, v6, v17, v16
	v_dual_mov_b32 v17, v7 :: v_dual_mov_b32 v16, v6
.LBB247_775:                            ;   in Loop: Header=BB247_515 Depth=1
	s_or_b32 exec_lo, exec_lo, s13
.LBB247_776:                            ;   in Loop: Header=BB247_515 Depth=1
	s_delay_alu instid0(SALU_CYCLE_1)
	s_or_b32 exec_lo, exec_lo, s12
.LBB247_777:                            ;   in Loop: Header=BB247_515 Depth=1
	s_delay_alu instid0(SALU_CYCLE_1) | instskip(NEXT) | instid1(SALU_CYCLE_1)
	s_or_b32 exec_lo, exec_lo, s10
	s_mov_b32 s12, exec_lo
	v_cmpx_lt_u32_e32 0xffffff, v117
	s_cbranch_execz .LBB247_785
; %bb.778:                              ;   in Loop: Header=BB247_515 Depth=1
	v_lshrrev_b32_e32 v118, 24, v117
	v_dual_mov_b32 v19, s9 :: v_dual_mov_b32 v18, s8
	s_mov_b32 s13, exec_lo
	s_delay_alu instid0(VALU_DEP_2)
	v_cmpx_ne_u32_e32 0x80, v118
	s_cbranch_execz .LBB247_784
; %bb.779:                              ;   in Loop: Header=BB247_515 Depth=1
	s_mov_b32 s10, s8
	v_bfe_u32 v117, v117, 24, 7
	v_dual_mov_b32 v19, s11 :: v_dual_mov_b32 v18, s10
	s_mov_b32 s10, exec_lo
	s_delay_alu instid0(VALU_DEP_2)
	v_cmpx_ne_u32_e32 0x7f, v117
	s_cbranch_execz .LBB247_783
; %bb.780:                              ;   in Loop: Header=BB247_515 Depth=1
	v_and_b32_e32 v6, 7, v118
	v_lshrrev_b32_e32 v18, 3, v117
	s_mov_b32 s15, exec_lo
	v_cmpx_gt_u32_e32 8, v117
; %bb.781:                              ;   in Loop: Header=BB247_515 Depth=1
	s_delay_alu instid0(VALU_DEP_3) | instskip(NEXT) | instid1(VALU_DEP_1)
	v_clz_i32_u32_e32 v18, v6
	v_min_u32_e32 v18, 32, v18
	s_delay_alu instid0(VALU_DEP_1) | instskip(SKIP_1) | instid1(VALU_DEP_2)
	v_subrev_nc_u32_e32 v19, 28, v18
	v_sub_nc_u32_e32 v18, 29, v18
	v_lshlrev_b64 v[128:129], v19, v[6:7]
	s_delay_alu instid0(VALU_DEP_1)
	v_and_b32_e32 v6, 7, v128
; %bb.782:                              ;   in Loop: Header=BB247_515 Depth=1
	s_or_b32 exec_lo, exec_lo, s15
	v_lshlrev_b32_e32 v19, 24, v118
	s_delay_alu instid0(VALU_DEP_2) | instskip(SKIP_1) | instid1(VALU_DEP_3)
	v_lshlrev_b32_e32 v6, 20, v6
	v_lshl_add_u32 v18, v18, 23, 0x3c000000
	v_and_b32_e32 v19, 0x80000000, v19
	s_delay_alu instid0(VALU_DEP_1)
	v_or3_b32 v19, v6, v19, v18
	v_mov_b32_e32 v18, v7
.LBB247_783:                            ;   in Loop: Header=BB247_515 Depth=1
	s_or_b32 exec_lo, exec_lo, s10
.LBB247_784:                            ;   in Loop: Header=BB247_515 Depth=1
	s_delay_alu instid0(SALU_CYCLE_1)
	s_or_b32 exec_lo, exec_lo, s13
.LBB247_785:                            ;   in Loop: Header=BB247_515 Depth=1
	s_delay_alu instid0(SALU_CYCLE_1) | instskip(SKIP_4) | instid1(VALU_DEP_3)
	s_or_b32 exec_lo, exec_lo, s12
	v_or_b32_e32 v5, v15, v5
	v_or_b32_e32 v4, v14, v4
	;; [unrolled: 1-line block ×4, first 2 shown]
	v_dual_mul_f32 v128, v53, v5 :: v_dual_mul_f32 v119, v50, v4
	s_delay_alu instid0(VALU_DEP_3) | instskip(NEXT) | instid1(VALU_DEP_3)
	v_mul_f32_e32 v117, v53, v6
	v_mul_f32_e32 v118, v50, v14
	s_and_saveexec_b32 s10, vcc_lo
; %bb.786:                              ;   in Loop: Header=BB247_515 Depth=1
	v_cmp_lt_i32_e64 s0, v66, v22
	s_delay_alu instid0(VALU_DEP_1) | instskip(SKIP_1) | instid1(VALU_DEP_1)
	v_cndmask_b32_e64 v119, 0, v119, s0
	v_cmp_lt_i32_e64 s0, v68, v22
	v_cndmask_b32_e64 v128, 0, v128, s0
	v_cmp_lt_i32_e64 s0, v67, v22
	s_delay_alu instid0(VALU_DEP_1) | instskip(SKIP_1) | instid1(VALU_DEP_1)
	v_cndmask_b32_e64 v118, 0, v118, s0
	v_cmp_lt_i32_e64 s0, v21, v22
	v_cndmask_b32_e64 v117, 0, v117, s0
; %bb.787:                              ;   in Loop: Header=BB247_515 Depth=1
	s_or_b32 exec_lo, exec_lo, s10
	flat_load_b32 v129, v[12:13] offset:1024
	v_mov_b32_e32 v14, 0
	v_mov_b32_e32 v15, 0
	s_mov_b32 s10, exec_lo
	s_waitcnt vmcnt(0) lgkmcnt(0)
	v_and_b32_e32 v6, 0xff, v129
	s_delay_alu instid0(VALU_DEP_2) | instskip(NEXT) | instid1(VALU_DEP_2)
	v_dual_mov_b32 v4, v14 :: v_dual_mov_b32 v5, v15
	v_cmpx_ne_u16_e32 0, v6
	s_cbranch_execz .LBB247_795
; %bb.788:                              ;   in Loop: Header=BB247_515 Depth=1
	v_bfrev_b32_e32 v4, 1
	v_mov_b32_e32 v5, 0
	s_mov_b32 s12, exec_lo
	v_cmpx_ne_u16_e32 0x80, v6
	s_cbranch_execz .LBB247_794
; %bb.789:                              ;   in Loop: Header=BB247_515 Depth=1
	v_mov_b32_e32 v4, 0x7f800001
	v_dual_mov_b32 v5, 0 :: v_dual_and_b32 v16, 0x7f, v129
	s_mov_b32 s13, exec_lo
	s_delay_alu instid0(VALU_DEP_1)
	v_cmpx_ne_u32_e32 0x7f, v16
	s_cbranch_execz .LBB247_793
; %bb.790:                              ;   in Loop: Header=BB247_515 Depth=1
	v_and_b32_e32 v6, 7, v129
	v_lshrrev_b32_e32 v4, 3, v16
	s_mov_b32 s15, exec_lo
	v_cmpx_gt_u32_e32 8, v16
; %bb.791:                              ;   in Loop: Header=BB247_515 Depth=1
	s_delay_alu instid0(VALU_DEP_3) | instskip(NEXT) | instid1(VALU_DEP_1)
	v_clz_i32_u32_e32 v4, v6
	v_min_u32_e32 v4, 32, v4
	s_delay_alu instid0(VALU_DEP_1) | instskip(SKIP_1) | instid1(VALU_DEP_2)
	v_subrev_nc_u32_e32 v5, 28, v4
	v_sub_nc_u32_e32 v4, 29, v4
	v_lshlrev_b64 v[5:6], v5, v[6:7]
	s_delay_alu instid0(VALU_DEP_1)
	v_and_b32_e32 v6, 7, v5
; %bb.792:                              ;   in Loop: Header=BB247_515 Depth=1
	s_or_b32 exec_lo, exec_lo, s15
	v_lshlrev_b32_e32 v5, 24, v129
	s_delay_alu instid0(VALU_DEP_2) | instskip(SKIP_1) | instid1(VALU_DEP_3)
	v_lshlrev_b32_e32 v6, 20, v6
	v_lshl_add_u32 v4, v4, 23, 0x3c000000
	v_and_b32_e32 v5, 0x80000000, v5
	s_delay_alu instid0(VALU_DEP_1) | instskip(NEXT) | instid1(VALU_DEP_1)
	v_or3_b32 v6, v6, v5, v4
	v_dual_mov_b32 v4, v6 :: v_dual_mov_b32 v5, v7
.LBB247_793:                            ;   in Loop: Header=BB247_515 Depth=1
	s_or_b32 exec_lo, exec_lo, s13
.LBB247_794:                            ;   in Loop: Header=BB247_515 Depth=1
	s_delay_alu instid0(SALU_CYCLE_1)
	s_or_b32 exec_lo, exec_lo, s12
.LBB247_795:                            ;   in Loop: Header=BB247_515 Depth=1
	s_delay_alu instid0(SALU_CYCLE_1) | instskip(SKIP_2) | instid1(VALU_DEP_1)
	s_or_b32 exec_lo, exec_lo, s10
	v_lshrrev_b16 v6, 8, v129
	s_mov_b32 s12, exec_lo
	v_cmpx_ne_u16_e32 0, v6
	s_cbranch_execz .LBB247_803
; %bb.796:                              ;   in Loop: Header=BB247_515 Depth=1
	v_dual_mov_b32 v15, s9 :: v_dual_mov_b32 v14, s8
	s_mov_b32 s13, exec_lo
	v_cmpx_ne_u16_e32 0x80, v6
	s_cbranch_execz .LBB247_802
; %bb.797:                              ;   in Loop: Header=BB247_515 Depth=1
	s_mov_b32 s10, s8
	v_dual_mov_b32 v15, s11 :: v_dual_and_b32 v6, 0xffff, v6
	v_mov_b32_e32 v14, s10
	s_mov_b32 s10, exec_lo
	s_delay_alu instid0(VALU_DEP_2) | instskip(NEXT) | instid1(VALU_DEP_1)
	v_and_b32_e32 v16, 0x7f, v6
	v_cmpx_ne_u32_e32 0x7f, v16
	s_cbranch_execz .LBB247_801
; %bb.798:                              ;   in Loop: Header=BB247_515 Depth=1
	v_and_b32_e32 v6, 7, v6
	v_lshrrev_b32_e32 v14, 3, v16
	s_mov_b32 s15, exec_lo
	v_cmpx_gt_u32_e32 8, v16
; %bb.799:                              ;   in Loop: Header=BB247_515 Depth=1
	s_delay_alu instid0(VALU_DEP_3) | instskip(NEXT) | instid1(VALU_DEP_1)
	v_clz_i32_u32_e32 v14, v6
	v_min_u32_e32 v14, 32, v14
	s_delay_alu instid0(VALU_DEP_1) | instskip(SKIP_1) | instid1(VALU_DEP_2)
	v_subrev_nc_u32_e32 v15, 28, v14
	v_sub_nc_u32_e32 v14, 29, v14
	v_lshlrev_b64 v[15:16], v15, v[6:7]
	s_delay_alu instid0(VALU_DEP_1)
	v_and_b32_e32 v6, 7, v15
; %bb.800:                              ;   in Loop: Header=BB247_515 Depth=1
	s_or_b32 exec_lo, exec_lo, s15
	v_lshlrev_b32_e32 v15, 16, v129
	s_delay_alu instid0(VALU_DEP_2) | instskip(SKIP_1) | instid1(VALU_DEP_3)
	v_lshlrev_b32_e32 v6, 20, v6
	v_lshl_add_u32 v14, v14, 23, 0x3c000000
	v_and_b32_e32 v15, 0x80000000, v15
	s_delay_alu instid0(VALU_DEP_1)
	v_or3_b32 v15, v6, v15, v14
	v_mov_b32_e32 v14, v7
.LBB247_801:                            ;   in Loop: Header=BB247_515 Depth=1
	s_or_b32 exec_lo, exec_lo, s10
.LBB247_802:                            ;   in Loop: Header=BB247_515 Depth=1
	s_delay_alu instid0(SALU_CYCLE_1)
	s_or_b32 exec_lo, exec_lo, s13
.LBB247_803:                            ;   in Loop: Header=BB247_515 Depth=1
	s_delay_alu instid0(SALU_CYCLE_1) | instskip(SKIP_4) | instid1(VALU_DEP_2)
	s_or_b32 exec_lo, exec_lo, s12
	v_mov_b32_e32 v18, 0
	v_lshrrev_b32_e32 v130, 16, v129
	v_mov_b32_e32 v19, 0
	s_mov_b32 s10, exec_lo
	v_and_b32_e32 v6, 0xff, v130
	s_delay_alu instid0(VALU_DEP_2) | instskip(NEXT) | instid1(VALU_DEP_2)
	v_dual_mov_b32 v16, v18 :: v_dual_mov_b32 v17, v19
	v_cmpx_ne_u16_e32 0, v6
	s_cbranch_execz .LBB247_811
; %bb.804:                              ;   in Loop: Header=BB247_515 Depth=1
	v_bfrev_b32_e32 v16, 1
	v_mov_b32_e32 v17, 0
	s_mov_b32 s12, exec_lo
	v_cmpx_ne_u16_e32 0x80, v6
	s_cbranch_execz .LBB247_810
; %bb.805:                              ;   in Loop: Header=BB247_515 Depth=1
	v_mov_b32_e32 v16, 0x7f800001
	v_bfe_u32 v131, v129, 16, 7
	v_mov_b32_e32 v17, 0
	s_mov_b32 s13, exec_lo
	s_delay_alu instid0(VALU_DEP_2)
	v_cmpx_ne_u32_e32 0x7f, v131
	s_cbranch_execz .LBB247_809
; %bb.806:                              ;   in Loop: Header=BB247_515 Depth=1
	v_and_b32_e32 v6, 7, v130
	v_lshrrev_b32_e32 v16, 3, v131
	s_mov_b32 s15, exec_lo
	v_cmpx_gt_u32_e32 8, v131
; %bb.807:                              ;   in Loop: Header=BB247_515 Depth=1
	s_delay_alu instid0(VALU_DEP_3) | instskip(NEXT) | instid1(VALU_DEP_1)
	v_clz_i32_u32_e32 v16, v6
	v_min_u32_e32 v16, 32, v16
	s_delay_alu instid0(VALU_DEP_1) | instskip(SKIP_1) | instid1(VALU_DEP_2)
	v_subrev_nc_u32_e32 v17, 28, v16
	v_sub_nc_u32_e32 v16, 29, v16
	v_lshlrev_b64 v[131:132], v17, v[6:7]
	s_delay_alu instid0(VALU_DEP_1)
	v_and_b32_e32 v6, 7, v131
; %bb.808:                              ;   in Loop: Header=BB247_515 Depth=1
	s_or_b32 exec_lo, exec_lo, s15
	v_lshlrev_b32_e32 v17, 24, v130
	s_delay_alu instid0(VALU_DEP_2) | instskip(SKIP_1) | instid1(VALU_DEP_3)
	v_lshlrev_b32_e32 v6, 20, v6
	v_lshl_add_u32 v16, v16, 23, 0x3c000000
	v_and_b32_e32 v17, 0x80000000, v17
	s_delay_alu instid0(VALU_DEP_1) | instskip(NEXT) | instid1(VALU_DEP_1)
	v_or3_b32 v6, v6, v17, v16
	v_dual_mov_b32 v17, v7 :: v_dual_mov_b32 v16, v6
.LBB247_809:                            ;   in Loop: Header=BB247_515 Depth=1
	s_or_b32 exec_lo, exec_lo, s13
.LBB247_810:                            ;   in Loop: Header=BB247_515 Depth=1
	s_delay_alu instid0(SALU_CYCLE_1)
	s_or_b32 exec_lo, exec_lo, s12
.LBB247_811:                            ;   in Loop: Header=BB247_515 Depth=1
	s_delay_alu instid0(SALU_CYCLE_1) | instskip(NEXT) | instid1(SALU_CYCLE_1)
	s_or_b32 exec_lo, exec_lo, s10
	s_mov_b32 s12, exec_lo
	v_cmpx_lt_u32_e32 0xffffff, v129
	s_cbranch_execz .LBB247_819
; %bb.812:                              ;   in Loop: Header=BB247_515 Depth=1
	v_lshrrev_b32_e32 v130, 24, v129
	v_dual_mov_b32 v19, s9 :: v_dual_mov_b32 v18, s8
	s_mov_b32 s13, exec_lo
	s_delay_alu instid0(VALU_DEP_2)
	v_cmpx_ne_u32_e32 0x80, v130
	s_cbranch_execz .LBB247_818
; %bb.813:                              ;   in Loop: Header=BB247_515 Depth=1
	s_mov_b32 s10, s8
	v_bfe_u32 v129, v129, 24, 7
	v_dual_mov_b32 v19, s11 :: v_dual_mov_b32 v18, s10
	s_mov_b32 s10, exec_lo
	s_delay_alu instid0(VALU_DEP_2)
	v_cmpx_ne_u32_e32 0x7f, v129
	s_cbranch_execz .LBB247_817
; %bb.814:                              ;   in Loop: Header=BB247_515 Depth=1
	v_and_b32_e32 v6, 7, v130
	v_lshrrev_b32_e32 v18, 3, v129
	s_mov_b32 s15, exec_lo
	v_cmpx_gt_u32_e32 8, v129
; %bb.815:                              ;   in Loop: Header=BB247_515 Depth=1
	s_delay_alu instid0(VALU_DEP_3) | instskip(NEXT) | instid1(VALU_DEP_1)
	v_clz_i32_u32_e32 v18, v6
	v_min_u32_e32 v18, 32, v18
	s_delay_alu instid0(VALU_DEP_1) | instskip(SKIP_1) | instid1(VALU_DEP_2)
	v_subrev_nc_u32_e32 v19, 28, v18
	v_sub_nc_u32_e32 v18, 29, v18
	v_lshlrev_b64 v[131:132], v19, v[6:7]
	s_delay_alu instid0(VALU_DEP_1)
	v_and_b32_e32 v6, 7, v131
; %bb.816:                              ;   in Loop: Header=BB247_515 Depth=1
	s_or_b32 exec_lo, exec_lo, s15
	v_lshlrev_b32_e32 v19, 24, v130
	s_delay_alu instid0(VALU_DEP_2) | instskip(SKIP_1) | instid1(VALU_DEP_3)
	v_lshlrev_b32_e32 v6, 20, v6
	v_lshl_add_u32 v18, v18, 23, 0x3c000000
	v_and_b32_e32 v19, 0x80000000, v19
	s_delay_alu instid0(VALU_DEP_1)
	v_or3_b32 v19, v6, v19, v18
	v_mov_b32_e32 v18, v7
.LBB247_817:                            ;   in Loop: Header=BB247_515 Depth=1
	s_or_b32 exec_lo, exec_lo, s10
.LBB247_818:                            ;   in Loop: Header=BB247_515 Depth=1
	s_delay_alu instid0(SALU_CYCLE_1)
	s_or_b32 exec_lo, exec_lo, s13
.LBB247_819:                            ;   in Loop: Header=BB247_515 Depth=1
	s_delay_alu instid0(SALU_CYCLE_1) | instskip(SKIP_4) | instid1(VALU_DEP_3)
	s_or_b32 exec_lo, exec_lo, s12
	v_or_b32_e32 v5, v15, v5
	v_or_b32_e32 v4, v14, v4
	;; [unrolled: 1-line block ×4, first 2 shown]
	v_dual_mul_f32 v132, v53, v5 :: v_dual_mul_f32 v131, v50, v4
	s_delay_alu instid0(VALU_DEP_3) | instskip(NEXT) | instid1(VALU_DEP_3)
	v_mul_f32_e32 v129, v53, v6
	v_mul_f32_e32 v130, v50, v14
	s_and_saveexec_b32 s10, vcc_lo
; %bb.820:                              ;   in Loop: Header=BB247_515 Depth=1
	v_cmp_lt_i32_e64 s0, v66, v22
	s_delay_alu instid0(VALU_DEP_1) | instskip(SKIP_1) | instid1(VALU_DEP_1)
	v_cndmask_b32_e64 v131, 0, v131, s0
	v_cmp_lt_i32_e64 s0, v68, v22
	v_cndmask_b32_e64 v132, 0, v132, s0
	v_cmp_lt_i32_e64 s0, v67, v22
	s_delay_alu instid0(VALU_DEP_1) | instskip(SKIP_1) | instid1(VALU_DEP_1)
	v_cndmask_b32_e64 v130, 0, v130, s0
	v_cmp_lt_i32_e64 s0, v21, v22
	v_cndmask_b32_e64 v129, 0, v129, s0
; %bb.821:                              ;   in Loop: Header=BB247_515 Depth=1
	s_or_b32 exec_lo, exec_lo, s10
	flat_load_b32 v133, v[12:13] offset:1152
	v_mov_b32_e32 v14, 0
	v_mov_b32_e32 v15, 0
	s_mov_b32 s10, exec_lo
	s_waitcnt vmcnt(0) lgkmcnt(0)
	v_and_b32_e32 v6, 0xff, v133
	s_delay_alu instid0(VALU_DEP_2) | instskip(NEXT) | instid1(VALU_DEP_2)
	v_dual_mov_b32 v4, v14 :: v_dual_mov_b32 v5, v15
	v_cmpx_ne_u16_e32 0, v6
	s_cbranch_execz .LBB247_829
; %bb.822:                              ;   in Loop: Header=BB247_515 Depth=1
	v_bfrev_b32_e32 v4, 1
	v_mov_b32_e32 v5, 0
	s_mov_b32 s12, exec_lo
	v_cmpx_ne_u16_e32 0x80, v6
	s_cbranch_execz .LBB247_828
; %bb.823:                              ;   in Loop: Header=BB247_515 Depth=1
	v_mov_b32_e32 v4, 0x7f800001
	v_dual_mov_b32 v5, 0 :: v_dual_and_b32 v16, 0x7f, v133
	s_mov_b32 s13, exec_lo
	s_delay_alu instid0(VALU_DEP_1)
	v_cmpx_ne_u32_e32 0x7f, v16
	s_cbranch_execz .LBB247_827
; %bb.824:                              ;   in Loop: Header=BB247_515 Depth=1
	v_and_b32_e32 v6, 7, v133
	v_lshrrev_b32_e32 v4, 3, v16
	s_mov_b32 s15, exec_lo
	v_cmpx_gt_u32_e32 8, v16
; %bb.825:                              ;   in Loop: Header=BB247_515 Depth=1
	s_delay_alu instid0(VALU_DEP_3) | instskip(NEXT) | instid1(VALU_DEP_1)
	v_clz_i32_u32_e32 v4, v6
	v_min_u32_e32 v4, 32, v4
	s_delay_alu instid0(VALU_DEP_1) | instskip(SKIP_1) | instid1(VALU_DEP_2)
	v_subrev_nc_u32_e32 v5, 28, v4
	v_sub_nc_u32_e32 v4, 29, v4
	v_lshlrev_b64 v[5:6], v5, v[6:7]
	s_delay_alu instid0(VALU_DEP_1)
	v_and_b32_e32 v6, 7, v5
; %bb.826:                              ;   in Loop: Header=BB247_515 Depth=1
	s_or_b32 exec_lo, exec_lo, s15
	v_lshlrev_b32_e32 v5, 24, v133
	s_delay_alu instid0(VALU_DEP_2) | instskip(SKIP_1) | instid1(VALU_DEP_3)
	v_lshlrev_b32_e32 v6, 20, v6
	v_lshl_add_u32 v4, v4, 23, 0x3c000000
	v_and_b32_e32 v5, 0x80000000, v5
	s_delay_alu instid0(VALU_DEP_1) | instskip(NEXT) | instid1(VALU_DEP_1)
	v_or3_b32 v6, v6, v5, v4
	v_dual_mov_b32 v4, v6 :: v_dual_mov_b32 v5, v7
.LBB247_827:                            ;   in Loop: Header=BB247_515 Depth=1
	s_or_b32 exec_lo, exec_lo, s13
.LBB247_828:                            ;   in Loop: Header=BB247_515 Depth=1
	s_delay_alu instid0(SALU_CYCLE_1)
	s_or_b32 exec_lo, exec_lo, s12
.LBB247_829:                            ;   in Loop: Header=BB247_515 Depth=1
	s_delay_alu instid0(SALU_CYCLE_1) | instskip(SKIP_2) | instid1(VALU_DEP_1)
	s_or_b32 exec_lo, exec_lo, s10
	v_lshrrev_b16 v6, 8, v133
	s_mov_b32 s12, exec_lo
	v_cmpx_ne_u16_e32 0, v6
	s_cbranch_execz .LBB247_837
; %bb.830:                              ;   in Loop: Header=BB247_515 Depth=1
	v_dual_mov_b32 v15, s9 :: v_dual_mov_b32 v14, s8
	s_mov_b32 s13, exec_lo
	v_cmpx_ne_u16_e32 0x80, v6
	s_cbranch_execz .LBB247_836
; %bb.831:                              ;   in Loop: Header=BB247_515 Depth=1
	s_mov_b32 s10, s8
	v_dual_mov_b32 v15, s11 :: v_dual_and_b32 v6, 0xffff, v6
	v_mov_b32_e32 v14, s10
	s_mov_b32 s10, exec_lo
	s_delay_alu instid0(VALU_DEP_2) | instskip(NEXT) | instid1(VALU_DEP_1)
	v_and_b32_e32 v16, 0x7f, v6
	v_cmpx_ne_u32_e32 0x7f, v16
	s_cbranch_execz .LBB247_835
; %bb.832:                              ;   in Loop: Header=BB247_515 Depth=1
	v_and_b32_e32 v6, 7, v6
	v_lshrrev_b32_e32 v14, 3, v16
	s_mov_b32 s15, exec_lo
	v_cmpx_gt_u32_e32 8, v16
; %bb.833:                              ;   in Loop: Header=BB247_515 Depth=1
	s_delay_alu instid0(VALU_DEP_3) | instskip(NEXT) | instid1(VALU_DEP_1)
	v_clz_i32_u32_e32 v14, v6
	v_min_u32_e32 v14, 32, v14
	s_delay_alu instid0(VALU_DEP_1) | instskip(SKIP_1) | instid1(VALU_DEP_2)
	v_subrev_nc_u32_e32 v15, 28, v14
	v_sub_nc_u32_e32 v14, 29, v14
	v_lshlrev_b64 v[15:16], v15, v[6:7]
	s_delay_alu instid0(VALU_DEP_1)
	v_and_b32_e32 v6, 7, v15
; %bb.834:                              ;   in Loop: Header=BB247_515 Depth=1
	s_or_b32 exec_lo, exec_lo, s15
	v_lshlrev_b32_e32 v15, 16, v133
	s_delay_alu instid0(VALU_DEP_2) | instskip(SKIP_1) | instid1(VALU_DEP_3)
	v_lshlrev_b32_e32 v6, 20, v6
	v_lshl_add_u32 v14, v14, 23, 0x3c000000
	v_and_b32_e32 v15, 0x80000000, v15
	s_delay_alu instid0(VALU_DEP_1)
	v_or3_b32 v15, v6, v15, v14
	v_mov_b32_e32 v14, v7
.LBB247_835:                            ;   in Loop: Header=BB247_515 Depth=1
	s_or_b32 exec_lo, exec_lo, s10
.LBB247_836:                            ;   in Loop: Header=BB247_515 Depth=1
	s_delay_alu instid0(SALU_CYCLE_1)
	s_or_b32 exec_lo, exec_lo, s13
.LBB247_837:                            ;   in Loop: Header=BB247_515 Depth=1
	s_delay_alu instid0(SALU_CYCLE_1) | instskip(SKIP_4) | instid1(VALU_DEP_2)
	s_or_b32 exec_lo, exec_lo, s12
	v_mov_b32_e32 v18, 0
	v_lshrrev_b32_e32 v134, 16, v133
	v_mov_b32_e32 v19, 0
	s_mov_b32 s10, exec_lo
	v_and_b32_e32 v6, 0xff, v134
	s_delay_alu instid0(VALU_DEP_2) | instskip(NEXT) | instid1(VALU_DEP_2)
	v_dual_mov_b32 v16, v18 :: v_dual_mov_b32 v17, v19
	v_cmpx_ne_u16_e32 0, v6
	s_cbranch_execz .LBB247_845
; %bb.838:                              ;   in Loop: Header=BB247_515 Depth=1
	v_bfrev_b32_e32 v16, 1
	v_mov_b32_e32 v17, 0
	s_mov_b32 s12, exec_lo
	v_cmpx_ne_u16_e32 0x80, v6
	s_cbranch_execz .LBB247_844
; %bb.839:                              ;   in Loop: Header=BB247_515 Depth=1
	v_mov_b32_e32 v16, 0x7f800001
	v_bfe_u32 v135, v133, 16, 7
	v_mov_b32_e32 v17, 0
	s_mov_b32 s13, exec_lo
	s_delay_alu instid0(VALU_DEP_2)
	v_cmpx_ne_u32_e32 0x7f, v135
	s_cbranch_execz .LBB247_843
; %bb.840:                              ;   in Loop: Header=BB247_515 Depth=1
	v_and_b32_e32 v6, 7, v134
	v_lshrrev_b32_e32 v16, 3, v135
	s_mov_b32 s15, exec_lo
	v_cmpx_gt_u32_e32 8, v135
; %bb.841:                              ;   in Loop: Header=BB247_515 Depth=1
	s_delay_alu instid0(VALU_DEP_3) | instskip(NEXT) | instid1(VALU_DEP_1)
	v_clz_i32_u32_e32 v16, v6
	v_min_u32_e32 v16, 32, v16
	s_delay_alu instid0(VALU_DEP_1) | instskip(SKIP_1) | instid1(VALU_DEP_2)
	v_subrev_nc_u32_e32 v17, 28, v16
	v_sub_nc_u32_e32 v16, 29, v16
	v_lshlrev_b64 v[144:145], v17, v[6:7]
	s_delay_alu instid0(VALU_DEP_1)
	v_and_b32_e32 v6, 7, v144
; %bb.842:                              ;   in Loop: Header=BB247_515 Depth=1
	s_or_b32 exec_lo, exec_lo, s15
	v_lshlrev_b32_e32 v17, 24, v134
	s_delay_alu instid0(VALU_DEP_2) | instskip(SKIP_1) | instid1(VALU_DEP_3)
	v_lshlrev_b32_e32 v6, 20, v6
	v_lshl_add_u32 v16, v16, 23, 0x3c000000
	v_and_b32_e32 v17, 0x80000000, v17
	s_delay_alu instid0(VALU_DEP_1) | instskip(NEXT) | instid1(VALU_DEP_1)
	v_or3_b32 v6, v6, v17, v16
	v_dual_mov_b32 v17, v7 :: v_dual_mov_b32 v16, v6
.LBB247_843:                            ;   in Loop: Header=BB247_515 Depth=1
	s_or_b32 exec_lo, exec_lo, s13
.LBB247_844:                            ;   in Loop: Header=BB247_515 Depth=1
	s_delay_alu instid0(SALU_CYCLE_1)
	s_or_b32 exec_lo, exec_lo, s12
.LBB247_845:                            ;   in Loop: Header=BB247_515 Depth=1
	s_delay_alu instid0(SALU_CYCLE_1) | instskip(NEXT) | instid1(SALU_CYCLE_1)
	s_or_b32 exec_lo, exec_lo, s10
	s_mov_b32 s12, exec_lo
	v_cmpx_lt_u32_e32 0xffffff, v133
	s_cbranch_execz .LBB247_853
; %bb.846:                              ;   in Loop: Header=BB247_515 Depth=1
	v_lshrrev_b32_e32 v134, 24, v133
	v_dual_mov_b32 v19, s9 :: v_dual_mov_b32 v18, s8
	s_mov_b32 s13, exec_lo
	s_delay_alu instid0(VALU_DEP_2)
	v_cmpx_ne_u32_e32 0x80, v134
	s_cbranch_execz .LBB247_852
; %bb.847:                              ;   in Loop: Header=BB247_515 Depth=1
	s_mov_b32 s10, s8
	v_bfe_u32 v133, v133, 24, 7
	v_dual_mov_b32 v19, s11 :: v_dual_mov_b32 v18, s10
	s_mov_b32 s10, exec_lo
	s_delay_alu instid0(VALU_DEP_2)
	v_cmpx_ne_u32_e32 0x7f, v133
	s_cbranch_execz .LBB247_851
; %bb.848:                              ;   in Loop: Header=BB247_515 Depth=1
	v_and_b32_e32 v6, 7, v134
	v_lshrrev_b32_e32 v18, 3, v133
	s_mov_b32 s15, exec_lo
	v_cmpx_gt_u32_e32 8, v133
; %bb.849:                              ;   in Loop: Header=BB247_515 Depth=1
	s_delay_alu instid0(VALU_DEP_3) | instskip(NEXT) | instid1(VALU_DEP_1)
	v_clz_i32_u32_e32 v18, v6
	v_min_u32_e32 v18, 32, v18
	s_delay_alu instid0(VALU_DEP_1) | instskip(SKIP_1) | instid1(VALU_DEP_2)
	v_subrev_nc_u32_e32 v19, 28, v18
	v_sub_nc_u32_e32 v18, 29, v18
	v_lshlrev_b64 v[144:145], v19, v[6:7]
	s_delay_alu instid0(VALU_DEP_1)
	v_and_b32_e32 v6, 7, v144
; %bb.850:                              ;   in Loop: Header=BB247_515 Depth=1
	s_or_b32 exec_lo, exec_lo, s15
	v_lshlrev_b32_e32 v19, 24, v134
	s_delay_alu instid0(VALU_DEP_2) | instskip(SKIP_1) | instid1(VALU_DEP_3)
	v_lshlrev_b32_e32 v6, 20, v6
	v_lshl_add_u32 v18, v18, 23, 0x3c000000
	v_and_b32_e32 v19, 0x80000000, v19
	s_delay_alu instid0(VALU_DEP_1)
	v_or3_b32 v19, v6, v19, v18
	v_mov_b32_e32 v18, v7
.LBB247_851:                            ;   in Loop: Header=BB247_515 Depth=1
	s_or_b32 exec_lo, exec_lo, s10
.LBB247_852:                            ;   in Loop: Header=BB247_515 Depth=1
	s_delay_alu instid0(SALU_CYCLE_1)
	s_or_b32 exec_lo, exec_lo, s13
.LBB247_853:                            ;   in Loop: Header=BB247_515 Depth=1
	s_delay_alu instid0(SALU_CYCLE_1) | instskip(SKIP_4) | instid1(VALU_DEP_3)
	s_or_b32 exec_lo, exec_lo, s12
	v_or_b32_e32 v5, v15, v5
	v_or_b32_e32 v4, v14, v4
	;; [unrolled: 1-line block ×4, first 2 shown]
	v_dual_mul_f32 v144, v53, v5 :: v_dual_mul_f32 v135, v50, v4
	s_delay_alu instid0(VALU_DEP_3) | instskip(NEXT) | instid1(VALU_DEP_3)
	v_mul_f32_e32 v133, v53, v6
	v_mul_f32_e32 v134, v50, v14
	s_and_saveexec_b32 s10, vcc_lo
; %bb.854:                              ;   in Loop: Header=BB247_515 Depth=1
	v_cmp_lt_i32_e64 s0, v66, v22
	s_delay_alu instid0(VALU_DEP_1) | instskip(SKIP_1) | instid1(VALU_DEP_1)
	v_cndmask_b32_e64 v135, 0, v135, s0
	v_cmp_lt_i32_e64 s0, v68, v22
	v_cndmask_b32_e64 v144, 0, v144, s0
	v_cmp_lt_i32_e64 s0, v67, v22
	s_delay_alu instid0(VALU_DEP_1) | instskip(SKIP_1) | instid1(VALU_DEP_1)
	v_cndmask_b32_e64 v134, 0, v134, s0
	v_cmp_lt_i32_e64 s0, v21, v22
	v_cndmask_b32_e64 v133, 0, v133, s0
; %bb.855:                              ;   in Loop: Header=BB247_515 Depth=1
	s_or_b32 exec_lo, exec_lo, s10
	flat_load_b32 v145, v[12:13] offset:1280
	v_mov_b32_e32 v14, 0
	v_mov_b32_e32 v15, 0
	s_mov_b32 s10, exec_lo
	s_waitcnt vmcnt(0) lgkmcnt(0)
	v_and_b32_e32 v6, 0xff, v145
	s_delay_alu instid0(VALU_DEP_2) | instskip(NEXT) | instid1(VALU_DEP_2)
	v_dual_mov_b32 v4, v14 :: v_dual_mov_b32 v5, v15
	v_cmpx_ne_u16_e32 0, v6
	s_cbranch_execz .LBB247_863
; %bb.856:                              ;   in Loop: Header=BB247_515 Depth=1
	v_bfrev_b32_e32 v4, 1
	v_mov_b32_e32 v5, 0
	s_mov_b32 s12, exec_lo
	v_cmpx_ne_u16_e32 0x80, v6
	s_cbranch_execz .LBB247_862
; %bb.857:                              ;   in Loop: Header=BB247_515 Depth=1
	v_mov_b32_e32 v4, 0x7f800001
	v_dual_mov_b32 v5, 0 :: v_dual_and_b32 v16, 0x7f, v145
	s_mov_b32 s13, exec_lo
	s_delay_alu instid0(VALU_DEP_1)
	v_cmpx_ne_u32_e32 0x7f, v16
	s_cbranch_execz .LBB247_861
; %bb.858:                              ;   in Loop: Header=BB247_515 Depth=1
	v_and_b32_e32 v6, 7, v145
	v_lshrrev_b32_e32 v4, 3, v16
	s_mov_b32 s15, exec_lo
	v_cmpx_gt_u32_e32 8, v16
; %bb.859:                              ;   in Loop: Header=BB247_515 Depth=1
	s_delay_alu instid0(VALU_DEP_3) | instskip(NEXT) | instid1(VALU_DEP_1)
	v_clz_i32_u32_e32 v4, v6
	v_min_u32_e32 v4, 32, v4
	s_delay_alu instid0(VALU_DEP_1) | instskip(SKIP_1) | instid1(VALU_DEP_2)
	v_subrev_nc_u32_e32 v5, 28, v4
	v_sub_nc_u32_e32 v4, 29, v4
	v_lshlrev_b64 v[5:6], v5, v[6:7]
	s_delay_alu instid0(VALU_DEP_1)
	v_and_b32_e32 v6, 7, v5
; %bb.860:                              ;   in Loop: Header=BB247_515 Depth=1
	s_or_b32 exec_lo, exec_lo, s15
	v_lshlrev_b32_e32 v5, 24, v145
	s_delay_alu instid0(VALU_DEP_2) | instskip(SKIP_1) | instid1(VALU_DEP_3)
	v_lshlrev_b32_e32 v6, 20, v6
	v_lshl_add_u32 v4, v4, 23, 0x3c000000
	v_and_b32_e32 v5, 0x80000000, v5
	s_delay_alu instid0(VALU_DEP_1) | instskip(NEXT) | instid1(VALU_DEP_1)
	v_or3_b32 v6, v6, v5, v4
	v_dual_mov_b32 v4, v6 :: v_dual_mov_b32 v5, v7
.LBB247_861:                            ;   in Loop: Header=BB247_515 Depth=1
	s_or_b32 exec_lo, exec_lo, s13
.LBB247_862:                            ;   in Loop: Header=BB247_515 Depth=1
	s_delay_alu instid0(SALU_CYCLE_1)
	s_or_b32 exec_lo, exec_lo, s12
.LBB247_863:                            ;   in Loop: Header=BB247_515 Depth=1
	s_delay_alu instid0(SALU_CYCLE_1) | instskip(SKIP_2) | instid1(VALU_DEP_1)
	s_or_b32 exec_lo, exec_lo, s10
	v_lshrrev_b16 v6, 8, v145
	s_mov_b32 s12, exec_lo
	v_cmpx_ne_u16_e32 0, v6
	s_cbranch_execz .LBB247_871
; %bb.864:                              ;   in Loop: Header=BB247_515 Depth=1
	v_dual_mov_b32 v15, s9 :: v_dual_mov_b32 v14, s8
	s_mov_b32 s13, exec_lo
	v_cmpx_ne_u16_e32 0x80, v6
	s_cbranch_execz .LBB247_870
; %bb.865:                              ;   in Loop: Header=BB247_515 Depth=1
	s_mov_b32 s10, s8
	v_dual_mov_b32 v15, s11 :: v_dual_and_b32 v6, 0xffff, v6
	v_mov_b32_e32 v14, s10
	s_mov_b32 s10, exec_lo
	s_delay_alu instid0(VALU_DEP_2) | instskip(NEXT) | instid1(VALU_DEP_1)
	v_and_b32_e32 v16, 0x7f, v6
	v_cmpx_ne_u32_e32 0x7f, v16
	s_cbranch_execz .LBB247_869
; %bb.866:                              ;   in Loop: Header=BB247_515 Depth=1
	v_and_b32_e32 v6, 7, v6
	v_lshrrev_b32_e32 v14, 3, v16
	s_mov_b32 s15, exec_lo
	v_cmpx_gt_u32_e32 8, v16
; %bb.867:                              ;   in Loop: Header=BB247_515 Depth=1
	s_delay_alu instid0(VALU_DEP_3) | instskip(NEXT) | instid1(VALU_DEP_1)
	v_clz_i32_u32_e32 v14, v6
	v_min_u32_e32 v14, 32, v14
	s_delay_alu instid0(VALU_DEP_1) | instskip(SKIP_1) | instid1(VALU_DEP_2)
	v_subrev_nc_u32_e32 v15, 28, v14
	v_sub_nc_u32_e32 v14, 29, v14
	v_lshlrev_b64 v[15:16], v15, v[6:7]
	s_delay_alu instid0(VALU_DEP_1)
	v_and_b32_e32 v6, 7, v15
; %bb.868:                              ;   in Loop: Header=BB247_515 Depth=1
	s_or_b32 exec_lo, exec_lo, s15
	v_lshlrev_b32_e32 v15, 16, v145
	s_delay_alu instid0(VALU_DEP_2) | instskip(SKIP_1) | instid1(VALU_DEP_3)
	v_lshlrev_b32_e32 v6, 20, v6
	v_lshl_add_u32 v14, v14, 23, 0x3c000000
	v_and_b32_e32 v15, 0x80000000, v15
	s_delay_alu instid0(VALU_DEP_1)
	v_or3_b32 v15, v6, v15, v14
	v_mov_b32_e32 v14, v7
.LBB247_869:                            ;   in Loop: Header=BB247_515 Depth=1
	s_or_b32 exec_lo, exec_lo, s10
.LBB247_870:                            ;   in Loop: Header=BB247_515 Depth=1
	s_delay_alu instid0(SALU_CYCLE_1)
	s_or_b32 exec_lo, exec_lo, s13
.LBB247_871:                            ;   in Loop: Header=BB247_515 Depth=1
	s_delay_alu instid0(SALU_CYCLE_1) | instskip(SKIP_4) | instid1(VALU_DEP_2)
	s_or_b32 exec_lo, exec_lo, s12
	v_mov_b32_e32 v18, 0
	v_lshrrev_b32_e32 v146, 16, v145
	v_mov_b32_e32 v19, 0
	s_mov_b32 s10, exec_lo
	v_and_b32_e32 v6, 0xff, v146
	s_delay_alu instid0(VALU_DEP_2) | instskip(NEXT) | instid1(VALU_DEP_2)
	v_dual_mov_b32 v16, v18 :: v_dual_mov_b32 v17, v19
	v_cmpx_ne_u16_e32 0, v6
	s_cbranch_execz .LBB247_879
; %bb.872:                              ;   in Loop: Header=BB247_515 Depth=1
	v_bfrev_b32_e32 v16, 1
	v_mov_b32_e32 v17, 0
	s_mov_b32 s12, exec_lo
	v_cmpx_ne_u16_e32 0x80, v6
	s_cbranch_execz .LBB247_878
; %bb.873:                              ;   in Loop: Header=BB247_515 Depth=1
	v_mov_b32_e32 v16, 0x7f800001
	v_bfe_u32 v147, v145, 16, 7
	v_mov_b32_e32 v17, 0
	s_mov_b32 s13, exec_lo
	s_delay_alu instid0(VALU_DEP_2)
	v_cmpx_ne_u32_e32 0x7f, v147
	s_cbranch_execz .LBB247_877
; %bb.874:                              ;   in Loop: Header=BB247_515 Depth=1
	v_and_b32_e32 v6, 7, v146
	v_lshrrev_b32_e32 v16, 3, v147
	s_mov_b32 s15, exec_lo
	v_cmpx_gt_u32_e32 8, v147
; %bb.875:                              ;   in Loop: Header=BB247_515 Depth=1
	s_delay_alu instid0(VALU_DEP_3) | instskip(NEXT) | instid1(VALU_DEP_1)
	v_clz_i32_u32_e32 v16, v6
	v_min_u32_e32 v16, 32, v16
	s_delay_alu instid0(VALU_DEP_1) | instskip(SKIP_1) | instid1(VALU_DEP_2)
	v_subrev_nc_u32_e32 v17, 28, v16
	v_sub_nc_u32_e32 v16, 29, v16
	v_lshlrev_b64 v[147:148], v17, v[6:7]
	s_delay_alu instid0(VALU_DEP_1)
	v_and_b32_e32 v6, 7, v147
; %bb.876:                              ;   in Loop: Header=BB247_515 Depth=1
	s_or_b32 exec_lo, exec_lo, s15
	v_lshlrev_b32_e32 v17, 24, v146
	s_delay_alu instid0(VALU_DEP_2) | instskip(SKIP_1) | instid1(VALU_DEP_3)
	v_lshlrev_b32_e32 v6, 20, v6
	v_lshl_add_u32 v16, v16, 23, 0x3c000000
	v_and_b32_e32 v17, 0x80000000, v17
	s_delay_alu instid0(VALU_DEP_1) | instskip(NEXT) | instid1(VALU_DEP_1)
	v_or3_b32 v6, v6, v17, v16
	v_dual_mov_b32 v17, v7 :: v_dual_mov_b32 v16, v6
.LBB247_877:                            ;   in Loop: Header=BB247_515 Depth=1
	s_or_b32 exec_lo, exec_lo, s13
.LBB247_878:                            ;   in Loop: Header=BB247_515 Depth=1
	s_delay_alu instid0(SALU_CYCLE_1)
	s_or_b32 exec_lo, exec_lo, s12
.LBB247_879:                            ;   in Loop: Header=BB247_515 Depth=1
	s_delay_alu instid0(SALU_CYCLE_1) | instskip(NEXT) | instid1(SALU_CYCLE_1)
	s_or_b32 exec_lo, exec_lo, s10
	s_mov_b32 s12, exec_lo
	v_cmpx_lt_u32_e32 0xffffff, v145
	s_cbranch_execz .LBB247_887
; %bb.880:                              ;   in Loop: Header=BB247_515 Depth=1
	v_lshrrev_b32_e32 v146, 24, v145
	v_dual_mov_b32 v19, s9 :: v_dual_mov_b32 v18, s8
	s_mov_b32 s13, exec_lo
	s_delay_alu instid0(VALU_DEP_2)
	v_cmpx_ne_u32_e32 0x80, v146
	s_cbranch_execz .LBB247_886
; %bb.881:                              ;   in Loop: Header=BB247_515 Depth=1
	s_mov_b32 s10, s8
	v_bfe_u32 v145, v145, 24, 7
	v_dual_mov_b32 v19, s11 :: v_dual_mov_b32 v18, s10
	s_mov_b32 s10, exec_lo
	s_delay_alu instid0(VALU_DEP_2)
	v_cmpx_ne_u32_e32 0x7f, v145
	s_cbranch_execz .LBB247_885
; %bb.882:                              ;   in Loop: Header=BB247_515 Depth=1
	v_and_b32_e32 v6, 7, v146
	v_lshrrev_b32_e32 v18, 3, v145
	s_mov_b32 s15, exec_lo
	v_cmpx_gt_u32_e32 8, v145
; %bb.883:                              ;   in Loop: Header=BB247_515 Depth=1
	s_delay_alu instid0(VALU_DEP_3) | instskip(NEXT) | instid1(VALU_DEP_1)
	v_clz_i32_u32_e32 v18, v6
	v_min_u32_e32 v18, 32, v18
	s_delay_alu instid0(VALU_DEP_1) | instskip(SKIP_1) | instid1(VALU_DEP_2)
	v_subrev_nc_u32_e32 v19, 28, v18
	v_sub_nc_u32_e32 v18, 29, v18
	v_lshlrev_b64 v[147:148], v19, v[6:7]
	s_delay_alu instid0(VALU_DEP_1)
	v_and_b32_e32 v6, 7, v147
; %bb.884:                              ;   in Loop: Header=BB247_515 Depth=1
	s_or_b32 exec_lo, exec_lo, s15
	v_lshlrev_b32_e32 v19, 24, v146
	s_delay_alu instid0(VALU_DEP_2) | instskip(SKIP_1) | instid1(VALU_DEP_3)
	v_lshlrev_b32_e32 v6, 20, v6
	v_lshl_add_u32 v18, v18, 23, 0x3c000000
	v_and_b32_e32 v19, 0x80000000, v19
	s_delay_alu instid0(VALU_DEP_1)
	v_or3_b32 v19, v6, v19, v18
	v_mov_b32_e32 v18, v7
.LBB247_885:                            ;   in Loop: Header=BB247_515 Depth=1
	s_or_b32 exec_lo, exec_lo, s10
.LBB247_886:                            ;   in Loop: Header=BB247_515 Depth=1
	s_delay_alu instid0(SALU_CYCLE_1)
	s_or_b32 exec_lo, exec_lo, s13
.LBB247_887:                            ;   in Loop: Header=BB247_515 Depth=1
	s_delay_alu instid0(SALU_CYCLE_1) | instskip(SKIP_4) | instid1(VALU_DEP_3)
	s_or_b32 exec_lo, exec_lo, s12
	v_or_b32_e32 v5, v15, v5
	v_or_b32_e32 v4, v14, v4
	;; [unrolled: 1-line block ×4, first 2 shown]
	v_dual_mul_f32 v148, v53, v5 :: v_dual_mul_f32 v147, v50, v4
	s_delay_alu instid0(VALU_DEP_3) | instskip(NEXT) | instid1(VALU_DEP_3)
	v_mul_f32_e32 v145, v53, v6
	v_mul_f32_e32 v146, v50, v14
	s_and_saveexec_b32 s10, vcc_lo
; %bb.888:                              ;   in Loop: Header=BB247_515 Depth=1
	v_cmp_lt_i32_e64 s0, v66, v22
	s_delay_alu instid0(VALU_DEP_1) | instskip(SKIP_1) | instid1(VALU_DEP_1)
	v_cndmask_b32_e64 v147, 0, v147, s0
	v_cmp_lt_i32_e64 s0, v68, v22
	v_cndmask_b32_e64 v148, 0, v148, s0
	v_cmp_lt_i32_e64 s0, v67, v22
	s_delay_alu instid0(VALU_DEP_1) | instskip(SKIP_1) | instid1(VALU_DEP_1)
	v_cndmask_b32_e64 v146, 0, v146, s0
	v_cmp_lt_i32_e64 s0, v21, v22
	v_cndmask_b32_e64 v145, 0, v145, s0
; %bb.889:                              ;   in Loop: Header=BB247_515 Depth=1
	s_or_b32 exec_lo, exec_lo, s10
	flat_load_b32 v149, v[12:13] offset:1408
	v_mov_b32_e32 v14, 0
	v_mov_b32_e32 v15, 0
	s_mov_b32 s10, exec_lo
	s_waitcnt vmcnt(0) lgkmcnt(0)
	v_and_b32_e32 v6, 0xff, v149
	s_delay_alu instid0(VALU_DEP_2) | instskip(NEXT) | instid1(VALU_DEP_2)
	v_dual_mov_b32 v4, v14 :: v_dual_mov_b32 v5, v15
	v_cmpx_ne_u16_e32 0, v6
	s_cbranch_execz .LBB247_897
; %bb.890:                              ;   in Loop: Header=BB247_515 Depth=1
	v_bfrev_b32_e32 v4, 1
	v_mov_b32_e32 v5, 0
	s_mov_b32 s12, exec_lo
	v_cmpx_ne_u16_e32 0x80, v6
	s_cbranch_execz .LBB247_896
; %bb.891:                              ;   in Loop: Header=BB247_515 Depth=1
	v_mov_b32_e32 v4, 0x7f800001
	v_dual_mov_b32 v5, 0 :: v_dual_and_b32 v16, 0x7f, v149
	s_mov_b32 s13, exec_lo
	s_delay_alu instid0(VALU_DEP_1)
	v_cmpx_ne_u32_e32 0x7f, v16
	s_cbranch_execz .LBB247_895
; %bb.892:                              ;   in Loop: Header=BB247_515 Depth=1
	v_and_b32_e32 v6, 7, v149
	v_lshrrev_b32_e32 v4, 3, v16
	s_mov_b32 s15, exec_lo
	v_cmpx_gt_u32_e32 8, v16
; %bb.893:                              ;   in Loop: Header=BB247_515 Depth=1
	s_delay_alu instid0(VALU_DEP_3) | instskip(NEXT) | instid1(VALU_DEP_1)
	v_clz_i32_u32_e32 v4, v6
	v_min_u32_e32 v4, 32, v4
	s_delay_alu instid0(VALU_DEP_1) | instskip(SKIP_1) | instid1(VALU_DEP_2)
	v_subrev_nc_u32_e32 v5, 28, v4
	v_sub_nc_u32_e32 v4, 29, v4
	v_lshlrev_b64 v[5:6], v5, v[6:7]
	s_delay_alu instid0(VALU_DEP_1)
	v_and_b32_e32 v6, 7, v5
; %bb.894:                              ;   in Loop: Header=BB247_515 Depth=1
	s_or_b32 exec_lo, exec_lo, s15
	v_lshlrev_b32_e32 v5, 24, v149
	s_delay_alu instid0(VALU_DEP_2) | instskip(SKIP_1) | instid1(VALU_DEP_3)
	v_lshlrev_b32_e32 v6, 20, v6
	v_lshl_add_u32 v4, v4, 23, 0x3c000000
	v_and_b32_e32 v5, 0x80000000, v5
	s_delay_alu instid0(VALU_DEP_1) | instskip(NEXT) | instid1(VALU_DEP_1)
	v_or3_b32 v6, v6, v5, v4
	v_dual_mov_b32 v4, v6 :: v_dual_mov_b32 v5, v7
.LBB247_895:                            ;   in Loop: Header=BB247_515 Depth=1
	s_or_b32 exec_lo, exec_lo, s13
.LBB247_896:                            ;   in Loop: Header=BB247_515 Depth=1
	s_delay_alu instid0(SALU_CYCLE_1)
	s_or_b32 exec_lo, exec_lo, s12
.LBB247_897:                            ;   in Loop: Header=BB247_515 Depth=1
	s_delay_alu instid0(SALU_CYCLE_1) | instskip(SKIP_2) | instid1(VALU_DEP_1)
	s_or_b32 exec_lo, exec_lo, s10
	v_lshrrev_b16 v6, 8, v149
	s_mov_b32 s12, exec_lo
	v_cmpx_ne_u16_e32 0, v6
	s_cbranch_execz .LBB247_905
; %bb.898:                              ;   in Loop: Header=BB247_515 Depth=1
	v_dual_mov_b32 v15, s9 :: v_dual_mov_b32 v14, s8
	s_mov_b32 s13, exec_lo
	v_cmpx_ne_u16_e32 0x80, v6
	s_cbranch_execz .LBB247_904
; %bb.899:                              ;   in Loop: Header=BB247_515 Depth=1
	s_mov_b32 s10, s8
	v_dual_mov_b32 v15, s11 :: v_dual_and_b32 v6, 0xffff, v6
	v_mov_b32_e32 v14, s10
	s_mov_b32 s10, exec_lo
	s_delay_alu instid0(VALU_DEP_2) | instskip(NEXT) | instid1(VALU_DEP_1)
	v_and_b32_e32 v16, 0x7f, v6
	v_cmpx_ne_u32_e32 0x7f, v16
	s_cbranch_execz .LBB247_903
; %bb.900:                              ;   in Loop: Header=BB247_515 Depth=1
	v_and_b32_e32 v6, 7, v6
	v_lshrrev_b32_e32 v14, 3, v16
	s_mov_b32 s15, exec_lo
	v_cmpx_gt_u32_e32 8, v16
; %bb.901:                              ;   in Loop: Header=BB247_515 Depth=1
	s_delay_alu instid0(VALU_DEP_3) | instskip(NEXT) | instid1(VALU_DEP_1)
	v_clz_i32_u32_e32 v14, v6
	v_min_u32_e32 v14, 32, v14
	s_delay_alu instid0(VALU_DEP_1) | instskip(SKIP_1) | instid1(VALU_DEP_2)
	v_subrev_nc_u32_e32 v15, 28, v14
	v_sub_nc_u32_e32 v14, 29, v14
	v_lshlrev_b64 v[15:16], v15, v[6:7]
	s_delay_alu instid0(VALU_DEP_1)
	v_and_b32_e32 v6, 7, v15
; %bb.902:                              ;   in Loop: Header=BB247_515 Depth=1
	s_or_b32 exec_lo, exec_lo, s15
	v_lshlrev_b32_e32 v15, 16, v149
	s_delay_alu instid0(VALU_DEP_2) | instskip(SKIP_1) | instid1(VALU_DEP_3)
	v_lshlrev_b32_e32 v6, 20, v6
	v_lshl_add_u32 v14, v14, 23, 0x3c000000
	v_and_b32_e32 v15, 0x80000000, v15
	s_delay_alu instid0(VALU_DEP_1)
	v_or3_b32 v15, v6, v15, v14
	v_mov_b32_e32 v14, v7
.LBB247_903:                            ;   in Loop: Header=BB247_515 Depth=1
	s_or_b32 exec_lo, exec_lo, s10
.LBB247_904:                            ;   in Loop: Header=BB247_515 Depth=1
	s_delay_alu instid0(SALU_CYCLE_1)
	s_or_b32 exec_lo, exec_lo, s13
.LBB247_905:                            ;   in Loop: Header=BB247_515 Depth=1
	s_delay_alu instid0(SALU_CYCLE_1) | instskip(SKIP_4) | instid1(VALU_DEP_2)
	s_or_b32 exec_lo, exec_lo, s12
	v_mov_b32_e32 v18, 0
	v_lshrrev_b32_e32 v150, 16, v149
	v_mov_b32_e32 v19, 0
	s_mov_b32 s10, exec_lo
	v_and_b32_e32 v6, 0xff, v150
	s_delay_alu instid0(VALU_DEP_2) | instskip(NEXT) | instid1(VALU_DEP_2)
	v_dual_mov_b32 v16, v18 :: v_dual_mov_b32 v17, v19
	v_cmpx_ne_u16_e32 0, v6
	s_cbranch_execz .LBB247_913
; %bb.906:                              ;   in Loop: Header=BB247_515 Depth=1
	v_bfrev_b32_e32 v16, 1
	v_mov_b32_e32 v17, 0
	s_mov_b32 s12, exec_lo
	v_cmpx_ne_u16_e32 0x80, v6
	s_cbranch_execz .LBB247_912
; %bb.907:                              ;   in Loop: Header=BB247_515 Depth=1
	v_mov_b32_e32 v16, 0x7f800001
	v_bfe_u32 v151, v149, 16, 7
	v_mov_b32_e32 v17, 0
	s_mov_b32 s13, exec_lo
	s_delay_alu instid0(VALU_DEP_2)
	v_cmpx_ne_u32_e32 0x7f, v151
	s_cbranch_execz .LBB247_911
; %bb.908:                              ;   in Loop: Header=BB247_515 Depth=1
	v_and_b32_e32 v6, 7, v150
	v_lshrrev_b32_e32 v16, 3, v151
	s_mov_b32 s15, exec_lo
	v_cmpx_gt_u32_e32 8, v151
; %bb.909:                              ;   in Loop: Header=BB247_515 Depth=1
	s_delay_alu instid0(VALU_DEP_3) | instskip(NEXT) | instid1(VALU_DEP_1)
	v_clz_i32_u32_e32 v16, v6
	v_min_u32_e32 v16, 32, v16
	s_delay_alu instid0(VALU_DEP_1) | instskip(SKIP_1) | instid1(VALU_DEP_2)
	v_subrev_nc_u32_e32 v17, 28, v16
	v_sub_nc_u32_e32 v16, 29, v16
	v_lshlrev_b64 v[160:161], v17, v[6:7]
	s_delay_alu instid0(VALU_DEP_1)
	v_and_b32_e32 v6, 7, v160
; %bb.910:                              ;   in Loop: Header=BB247_515 Depth=1
	s_or_b32 exec_lo, exec_lo, s15
	v_lshlrev_b32_e32 v17, 24, v150
	s_delay_alu instid0(VALU_DEP_2) | instskip(SKIP_1) | instid1(VALU_DEP_3)
	v_lshlrev_b32_e32 v6, 20, v6
	v_lshl_add_u32 v16, v16, 23, 0x3c000000
	v_and_b32_e32 v17, 0x80000000, v17
	s_delay_alu instid0(VALU_DEP_1) | instskip(NEXT) | instid1(VALU_DEP_1)
	v_or3_b32 v6, v6, v17, v16
	v_dual_mov_b32 v17, v7 :: v_dual_mov_b32 v16, v6
.LBB247_911:                            ;   in Loop: Header=BB247_515 Depth=1
	s_or_b32 exec_lo, exec_lo, s13
.LBB247_912:                            ;   in Loop: Header=BB247_515 Depth=1
	s_delay_alu instid0(SALU_CYCLE_1)
	s_or_b32 exec_lo, exec_lo, s12
.LBB247_913:                            ;   in Loop: Header=BB247_515 Depth=1
	s_delay_alu instid0(SALU_CYCLE_1) | instskip(NEXT) | instid1(SALU_CYCLE_1)
	s_or_b32 exec_lo, exec_lo, s10
	s_mov_b32 s12, exec_lo
	v_cmpx_lt_u32_e32 0xffffff, v149
	s_cbranch_execz .LBB247_921
; %bb.914:                              ;   in Loop: Header=BB247_515 Depth=1
	v_lshrrev_b32_e32 v150, 24, v149
	v_dual_mov_b32 v19, s9 :: v_dual_mov_b32 v18, s8
	s_mov_b32 s13, exec_lo
	s_delay_alu instid0(VALU_DEP_2)
	v_cmpx_ne_u32_e32 0x80, v150
	s_cbranch_execz .LBB247_920
; %bb.915:                              ;   in Loop: Header=BB247_515 Depth=1
	s_mov_b32 s10, s8
	v_bfe_u32 v149, v149, 24, 7
	v_dual_mov_b32 v19, s11 :: v_dual_mov_b32 v18, s10
	s_mov_b32 s10, exec_lo
	s_delay_alu instid0(VALU_DEP_2)
	v_cmpx_ne_u32_e32 0x7f, v149
	s_cbranch_execz .LBB247_919
; %bb.916:                              ;   in Loop: Header=BB247_515 Depth=1
	v_and_b32_e32 v6, 7, v150
	v_lshrrev_b32_e32 v18, 3, v149
	s_mov_b32 s15, exec_lo
	v_cmpx_gt_u32_e32 8, v149
; %bb.917:                              ;   in Loop: Header=BB247_515 Depth=1
	s_delay_alu instid0(VALU_DEP_3) | instskip(NEXT) | instid1(VALU_DEP_1)
	v_clz_i32_u32_e32 v18, v6
	v_min_u32_e32 v18, 32, v18
	s_delay_alu instid0(VALU_DEP_1) | instskip(SKIP_1) | instid1(VALU_DEP_2)
	v_subrev_nc_u32_e32 v19, 28, v18
	v_sub_nc_u32_e32 v18, 29, v18
	v_lshlrev_b64 v[160:161], v19, v[6:7]
	s_delay_alu instid0(VALU_DEP_1)
	v_and_b32_e32 v6, 7, v160
; %bb.918:                              ;   in Loop: Header=BB247_515 Depth=1
	s_or_b32 exec_lo, exec_lo, s15
	v_lshlrev_b32_e32 v19, 24, v150
	s_delay_alu instid0(VALU_DEP_2) | instskip(SKIP_1) | instid1(VALU_DEP_3)
	v_lshlrev_b32_e32 v6, 20, v6
	v_lshl_add_u32 v18, v18, 23, 0x3c000000
	v_and_b32_e32 v19, 0x80000000, v19
	s_delay_alu instid0(VALU_DEP_1)
	v_or3_b32 v19, v6, v19, v18
	v_mov_b32_e32 v18, v7
.LBB247_919:                            ;   in Loop: Header=BB247_515 Depth=1
	s_or_b32 exec_lo, exec_lo, s10
.LBB247_920:                            ;   in Loop: Header=BB247_515 Depth=1
	s_delay_alu instid0(SALU_CYCLE_1)
	s_or_b32 exec_lo, exec_lo, s13
.LBB247_921:                            ;   in Loop: Header=BB247_515 Depth=1
	s_delay_alu instid0(SALU_CYCLE_1) | instskip(SKIP_4) | instid1(VALU_DEP_3)
	s_or_b32 exec_lo, exec_lo, s12
	v_or_b32_e32 v5, v15, v5
	v_or_b32_e32 v4, v14, v4
	;; [unrolled: 1-line block ×4, first 2 shown]
	v_dual_mul_f32 v160, v53, v5 :: v_dual_mul_f32 v151, v50, v4
	s_delay_alu instid0(VALU_DEP_3) | instskip(NEXT) | instid1(VALU_DEP_3)
	v_mul_f32_e32 v149, v53, v6
	v_mul_f32_e32 v150, v50, v14
	s_and_saveexec_b32 s10, vcc_lo
; %bb.922:                              ;   in Loop: Header=BB247_515 Depth=1
	v_cmp_lt_i32_e64 s0, v66, v22
	s_delay_alu instid0(VALU_DEP_1) | instskip(SKIP_1) | instid1(VALU_DEP_1)
	v_cndmask_b32_e64 v151, 0, v151, s0
	v_cmp_lt_i32_e64 s0, v68, v22
	v_cndmask_b32_e64 v160, 0, v160, s0
	v_cmp_lt_i32_e64 s0, v67, v22
	s_delay_alu instid0(VALU_DEP_1) | instskip(SKIP_1) | instid1(VALU_DEP_1)
	v_cndmask_b32_e64 v150, 0, v150, s0
	v_cmp_lt_i32_e64 s0, v21, v22
	v_cndmask_b32_e64 v149, 0, v149, s0
; %bb.923:                              ;   in Loop: Header=BB247_515 Depth=1
	s_or_b32 exec_lo, exec_lo, s10
	flat_load_b32 v161, v[12:13] offset:1536
	v_mov_b32_e32 v14, 0
	v_mov_b32_e32 v15, 0
	s_mov_b32 s10, exec_lo
	s_waitcnt vmcnt(0) lgkmcnt(0)
	v_and_b32_e32 v6, 0xff, v161
	s_delay_alu instid0(VALU_DEP_2) | instskip(NEXT) | instid1(VALU_DEP_2)
	v_dual_mov_b32 v4, v14 :: v_dual_mov_b32 v5, v15
	v_cmpx_ne_u16_e32 0, v6
	s_cbranch_execz .LBB247_931
; %bb.924:                              ;   in Loop: Header=BB247_515 Depth=1
	v_bfrev_b32_e32 v4, 1
	v_mov_b32_e32 v5, 0
	s_mov_b32 s12, exec_lo
	v_cmpx_ne_u16_e32 0x80, v6
	s_cbranch_execz .LBB247_930
; %bb.925:                              ;   in Loop: Header=BB247_515 Depth=1
	v_mov_b32_e32 v4, 0x7f800001
	v_dual_mov_b32 v5, 0 :: v_dual_and_b32 v16, 0x7f, v161
	s_mov_b32 s13, exec_lo
	s_delay_alu instid0(VALU_DEP_1)
	v_cmpx_ne_u32_e32 0x7f, v16
	s_cbranch_execz .LBB247_929
; %bb.926:                              ;   in Loop: Header=BB247_515 Depth=1
	v_and_b32_e32 v6, 7, v161
	v_lshrrev_b32_e32 v4, 3, v16
	s_mov_b32 s15, exec_lo
	v_cmpx_gt_u32_e32 8, v16
; %bb.927:                              ;   in Loop: Header=BB247_515 Depth=1
	s_delay_alu instid0(VALU_DEP_3) | instskip(NEXT) | instid1(VALU_DEP_1)
	v_clz_i32_u32_e32 v4, v6
	v_min_u32_e32 v4, 32, v4
	s_delay_alu instid0(VALU_DEP_1) | instskip(SKIP_1) | instid1(VALU_DEP_2)
	v_subrev_nc_u32_e32 v5, 28, v4
	v_sub_nc_u32_e32 v4, 29, v4
	v_lshlrev_b64 v[5:6], v5, v[6:7]
	s_delay_alu instid0(VALU_DEP_1)
	v_and_b32_e32 v6, 7, v5
; %bb.928:                              ;   in Loop: Header=BB247_515 Depth=1
	s_or_b32 exec_lo, exec_lo, s15
	v_lshlrev_b32_e32 v5, 24, v161
	s_delay_alu instid0(VALU_DEP_2) | instskip(SKIP_1) | instid1(VALU_DEP_3)
	v_lshlrev_b32_e32 v6, 20, v6
	v_lshl_add_u32 v4, v4, 23, 0x3c000000
	v_and_b32_e32 v5, 0x80000000, v5
	s_delay_alu instid0(VALU_DEP_1) | instskip(NEXT) | instid1(VALU_DEP_1)
	v_or3_b32 v6, v6, v5, v4
	v_dual_mov_b32 v4, v6 :: v_dual_mov_b32 v5, v7
.LBB247_929:                            ;   in Loop: Header=BB247_515 Depth=1
	s_or_b32 exec_lo, exec_lo, s13
.LBB247_930:                            ;   in Loop: Header=BB247_515 Depth=1
	s_delay_alu instid0(SALU_CYCLE_1)
	s_or_b32 exec_lo, exec_lo, s12
.LBB247_931:                            ;   in Loop: Header=BB247_515 Depth=1
	s_delay_alu instid0(SALU_CYCLE_1) | instskip(SKIP_2) | instid1(VALU_DEP_1)
	s_or_b32 exec_lo, exec_lo, s10
	v_lshrrev_b16 v6, 8, v161
	s_mov_b32 s12, exec_lo
	v_cmpx_ne_u16_e32 0, v6
	s_cbranch_execz .LBB247_939
; %bb.932:                              ;   in Loop: Header=BB247_515 Depth=1
	v_dual_mov_b32 v15, s9 :: v_dual_mov_b32 v14, s8
	s_mov_b32 s13, exec_lo
	v_cmpx_ne_u16_e32 0x80, v6
	s_cbranch_execz .LBB247_938
; %bb.933:                              ;   in Loop: Header=BB247_515 Depth=1
	s_mov_b32 s10, s8
	v_dual_mov_b32 v15, s11 :: v_dual_and_b32 v6, 0xffff, v6
	v_mov_b32_e32 v14, s10
	s_mov_b32 s10, exec_lo
	s_delay_alu instid0(VALU_DEP_2) | instskip(NEXT) | instid1(VALU_DEP_1)
	v_and_b32_e32 v16, 0x7f, v6
	v_cmpx_ne_u32_e32 0x7f, v16
	s_cbranch_execz .LBB247_937
; %bb.934:                              ;   in Loop: Header=BB247_515 Depth=1
	v_and_b32_e32 v6, 7, v6
	v_lshrrev_b32_e32 v14, 3, v16
	s_mov_b32 s15, exec_lo
	v_cmpx_gt_u32_e32 8, v16
; %bb.935:                              ;   in Loop: Header=BB247_515 Depth=1
	s_delay_alu instid0(VALU_DEP_3) | instskip(NEXT) | instid1(VALU_DEP_1)
	v_clz_i32_u32_e32 v14, v6
	v_min_u32_e32 v14, 32, v14
	s_delay_alu instid0(VALU_DEP_1) | instskip(SKIP_1) | instid1(VALU_DEP_2)
	v_subrev_nc_u32_e32 v15, 28, v14
	v_sub_nc_u32_e32 v14, 29, v14
	v_lshlrev_b64 v[15:16], v15, v[6:7]
	s_delay_alu instid0(VALU_DEP_1)
	v_and_b32_e32 v6, 7, v15
; %bb.936:                              ;   in Loop: Header=BB247_515 Depth=1
	s_or_b32 exec_lo, exec_lo, s15
	v_lshlrev_b32_e32 v15, 16, v161
	s_delay_alu instid0(VALU_DEP_2) | instskip(SKIP_1) | instid1(VALU_DEP_3)
	v_lshlrev_b32_e32 v6, 20, v6
	v_lshl_add_u32 v14, v14, 23, 0x3c000000
	v_and_b32_e32 v15, 0x80000000, v15
	s_delay_alu instid0(VALU_DEP_1)
	v_or3_b32 v15, v6, v15, v14
	v_mov_b32_e32 v14, v7
.LBB247_937:                            ;   in Loop: Header=BB247_515 Depth=1
	s_or_b32 exec_lo, exec_lo, s10
.LBB247_938:                            ;   in Loop: Header=BB247_515 Depth=1
	s_delay_alu instid0(SALU_CYCLE_1)
	s_or_b32 exec_lo, exec_lo, s13
.LBB247_939:                            ;   in Loop: Header=BB247_515 Depth=1
	s_delay_alu instid0(SALU_CYCLE_1) | instskip(SKIP_4) | instid1(VALU_DEP_2)
	s_or_b32 exec_lo, exec_lo, s12
	v_mov_b32_e32 v18, 0
	v_lshrrev_b32_e32 v162, 16, v161
	v_mov_b32_e32 v19, 0
	s_mov_b32 s10, exec_lo
	v_and_b32_e32 v6, 0xff, v162
	s_delay_alu instid0(VALU_DEP_2) | instskip(NEXT) | instid1(VALU_DEP_2)
	v_dual_mov_b32 v16, v18 :: v_dual_mov_b32 v17, v19
	v_cmpx_ne_u16_e32 0, v6
	s_cbranch_execz .LBB247_947
; %bb.940:                              ;   in Loop: Header=BB247_515 Depth=1
	v_bfrev_b32_e32 v16, 1
	v_mov_b32_e32 v17, 0
	s_mov_b32 s12, exec_lo
	v_cmpx_ne_u16_e32 0x80, v6
	s_cbranch_execz .LBB247_946
; %bb.941:                              ;   in Loop: Header=BB247_515 Depth=1
	v_mov_b32_e32 v16, 0x7f800001
	v_bfe_u32 v163, v161, 16, 7
	v_mov_b32_e32 v17, 0
	s_mov_b32 s13, exec_lo
	s_delay_alu instid0(VALU_DEP_2)
	v_cmpx_ne_u32_e32 0x7f, v163
	s_cbranch_execz .LBB247_945
; %bb.942:                              ;   in Loop: Header=BB247_515 Depth=1
	v_and_b32_e32 v6, 7, v162
	v_lshrrev_b32_e32 v16, 3, v163
	s_mov_b32 s15, exec_lo
	v_cmpx_gt_u32_e32 8, v163
; %bb.943:                              ;   in Loop: Header=BB247_515 Depth=1
	s_delay_alu instid0(VALU_DEP_3) | instskip(NEXT) | instid1(VALU_DEP_1)
	v_clz_i32_u32_e32 v16, v6
	v_min_u32_e32 v16, 32, v16
	s_delay_alu instid0(VALU_DEP_1) | instskip(SKIP_1) | instid1(VALU_DEP_2)
	v_subrev_nc_u32_e32 v17, 28, v16
	v_sub_nc_u32_e32 v16, 29, v16
	v_lshlrev_b64 v[163:164], v17, v[6:7]
	s_delay_alu instid0(VALU_DEP_1)
	v_and_b32_e32 v6, 7, v163
; %bb.944:                              ;   in Loop: Header=BB247_515 Depth=1
	s_or_b32 exec_lo, exec_lo, s15
	v_lshlrev_b32_e32 v17, 24, v162
	s_delay_alu instid0(VALU_DEP_2) | instskip(SKIP_1) | instid1(VALU_DEP_3)
	v_lshlrev_b32_e32 v6, 20, v6
	v_lshl_add_u32 v16, v16, 23, 0x3c000000
	v_and_b32_e32 v17, 0x80000000, v17
	s_delay_alu instid0(VALU_DEP_1) | instskip(NEXT) | instid1(VALU_DEP_1)
	v_or3_b32 v6, v6, v17, v16
	v_dual_mov_b32 v17, v7 :: v_dual_mov_b32 v16, v6
.LBB247_945:                            ;   in Loop: Header=BB247_515 Depth=1
	s_or_b32 exec_lo, exec_lo, s13
.LBB247_946:                            ;   in Loop: Header=BB247_515 Depth=1
	s_delay_alu instid0(SALU_CYCLE_1)
	s_or_b32 exec_lo, exec_lo, s12
.LBB247_947:                            ;   in Loop: Header=BB247_515 Depth=1
	s_delay_alu instid0(SALU_CYCLE_1) | instskip(NEXT) | instid1(SALU_CYCLE_1)
	s_or_b32 exec_lo, exec_lo, s10
	s_mov_b32 s12, exec_lo
	v_cmpx_lt_u32_e32 0xffffff, v161
	s_cbranch_execz .LBB247_955
; %bb.948:                              ;   in Loop: Header=BB247_515 Depth=1
	v_lshrrev_b32_e32 v162, 24, v161
	v_dual_mov_b32 v19, s9 :: v_dual_mov_b32 v18, s8
	s_mov_b32 s13, exec_lo
	s_delay_alu instid0(VALU_DEP_2)
	v_cmpx_ne_u32_e32 0x80, v162
	s_cbranch_execz .LBB247_954
; %bb.949:                              ;   in Loop: Header=BB247_515 Depth=1
	s_mov_b32 s10, s8
	v_bfe_u32 v161, v161, 24, 7
	v_dual_mov_b32 v19, s11 :: v_dual_mov_b32 v18, s10
	s_mov_b32 s10, exec_lo
	s_delay_alu instid0(VALU_DEP_2)
	v_cmpx_ne_u32_e32 0x7f, v161
	s_cbranch_execz .LBB247_953
; %bb.950:                              ;   in Loop: Header=BB247_515 Depth=1
	v_and_b32_e32 v6, 7, v162
	v_lshrrev_b32_e32 v18, 3, v161
	s_mov_b32 s15, exec_lo
	v_cmpx_gt_u32_e32 8, v161
; %bb.951:                              ;   in Loop: Header=BB247_515 Depth=1
	s_delay_alu instid0(VALU_DEP_3) | instskip(NEXT) | instid1(VALU_DEP_1)
	v_clz_i32_u32_e32 v18, v6
	v_min_u32_e32 v18, 32, v18
	s_delay_alu instid0(VALU_DEP_1) | instskip(SKIP_1) | instid1(VALU_DEP_2)
	v_subrev_nc_u32_e32 v19, 28, v18
	v_sub_nc_u32_e32 v18, 29, v18
	v_lshlrev_b64 v[163:164], v19, v[6:7]
	s_delay_alu instid0(VALU_DEP_1)
	v_and_b32_e32 v6, 7, v163
; %bb.952:                              ;   in Loop: Header=BB247_515 Depth=1
	s_or_b32 exec_lo, exec_lo, s15
	v_lshlrev_b32_e32 v19, 24, v162
	s_delay_alu instid0(VALU_DEP_2) | instskip(SKIP_1) | instid1(VALU_DEP_3)
	v_lshlrev_b32_e32 v6, 20, v6
	v_lshl_add_u32 v18, v18, 23, 0x3c000000
	v_and_b32_e32 v19, 0x80000000, v19
	s_delay_alu instid0(VALU_DEP_1)
	v_or3_b32 v19, v6, v19, v18
	v_mov_b32_e32 v18, v7
.LBB247_953:                            ;   in Loop: Header=BB247_515 Depth=1
	s_or_b32 exec_lo, exec_lo, s10
.LBB247_954:                            ;   in Loop: Header=BB247_515 Depth=1
	s_delay_alu instid0(SALU_CYCLE_1)
	s_or_b32 exec_lo, exec_lo, s13
.LBB247_955:                            ;   in Loop: Header=BB247_515 Depth=1
	s_delay_alu instid0(SALU_CYCLE_1) | instskip(SKIP_4) | instid1(VALU_DEP_3)
	s_or_b32 exec_lo, exec_lo, s12
	v_or_b32_e32 v5, v15, v5
	v_or_b32_e32 v4, v14, v4
	;; [unrolled: 1-line block ×4, first 2 shown]
	v_dual_mul_f32 v164, v53, v5 :: v_dual_mul_f32 v163, v50, v4
	s_delay_alu instid0(VALU_DEP_3) | instskip(NEXT) | instid1(VALU_DEP_3)
	v_mul_f32_e32 v161, v53, v6
	v_mul_f32_e32 v162, v50, v14
	s_and_saveexec_b32 s10, vcc_lo
; %bb.956:                              ;   in Loop: Header=BB247_515 Depth=1
	v_cmp_lt_i32_e64 s0, v66, v22
	s_delay_alu instid0(VALU_DEP_1) | instskip(SKIP_1) | instid1(VALU_DEP_1)
	v_cndmask_b32_e64 v163, 0, v163, s0
	v_cmp_lt_i32_e64 s0, v68, v22
	v_cndmask_b32_e64 v164, 0, v164, s0
	v_cmp_lt_i32_e64 s0, v67, v22
	s_delay_alu instid0(VALU_DEP_1) | instskip(SKIP_1) | instid1(VALU_DEP_1)
	v_cndmask_b32_e64 v162, 0, v162, s0
	v_cmp_lt_i32_e64 s0, v21, v22
	v_cndmask_b32_e64 v161, 0, v161, s0
; %bb.957:                              ;   in Loop: Header=BB247_515 Depth=1
	s_or_b32 exec_lo, exec_lo, s10
	flat_load_b32 v165, v[12:13] offset:1664
	v_mov_b32_e32 v14, 0
	v_mov_b32_e32 v15, 0
	s_mov_b32 s10, exec_lo
	s_waitcnt vmcnt(0) lgkmcnt(0)
	v_and_b32_e32 v6, 0xff, v165
	s_delay_alu instid0(VALU_DEP_2) | instskip(NEXT) | instid1(VALU_DEP_2)
	v_dual_mov_b32 v4, v14 :: v_dual_mov_b32 v5, v15
	v_cmpx_ne_u16_e32 0, v6
	s_cbranch_execz .LBB247_965
; %bb.958:                              ;   in Loop: Header=BB247_515 Depth=1
	v_bfrev_b32_e32 v4, 1
	v_mov_b32_e32 v5, 0
	s_mov_b32 s12, exec_lo
	v_cmpx_ne_u16_e32 0x80, v6
	s_cbranch_execz .LBB247_964
; %bb.959:                              ;   in Loop: Header=BB247_515 Depth=1
	v_mov_b32_e32 v4, 0x7f800001
	v_dual_mov_b32 v5, 0 :: v_dual_and_b32 v16, 0x7f, v165
	s_mov_b32 s13, exec_lo
	s_delay_alu instid0(VALU_DEP_1)
	v_cmpx_ne_u32_e32 0x7f, v16
	s_cbranch_execz .LBB247_963
; %bb.960:                              ;   in Loop: Header=BB247_515 Depth=1
	v_and_b32_e32 v6, 7, v165
	v_lshrrev_b32_e32 v4, 3, v16
	s_mov_b32 s15, exec_lo
	v_cmpx_gt_u32_e32 8, v16
; %bb.961:                              ;   in Loop: Header=BB247_515 Depth=1
	s_delay_alu instid0(VALU_DEP_3) | instskip(NEXT) | instid1(VALU_DEP_1)
	v_clz_i32_u32_e32 v4, v6
	v_min_u32_e32 v4, 32, v4
	s_delay_alu instid0(VALU_DEP_1) | instskip(SKIP_1) | instid1(VALU_DEP_2)
	v_subrev_nc_u32_e32 v5, 28, v4
	v_sub_nc_u32_e32 v4, 29, v4
	v_lshlrev_b64 v[5:6], v5, v[6:7]
	s_delay_alu instid0(VALU_DEP_1)
	v_and_b32_e32 v6, 7, v5
; %bb.962:                              ;   in Loop: Header=BB247_515 Depth=1
	s_or_b32 exec_lo, exec_lo, s15
	v_lshlrev_b32_e32 v5, 24, v165
	s_delay_alu instid0(VALU_DEP_2) | instskip(SKIP_1) | instid1(VALU_DEP_3)
	v_lshlrev_b32_e32 v6, 20, v6
	v_lshl_add_u32 v4, v4, 23, 0x3c000000
	v_and_b32_e32 v5, 0x80000000, v5
	s_delay_alu instid0(VALU_DEP_1) | instskip(NEXT) | instid1(VALU_DEP_1)
	v_or3_b32 v6, v6, v5, v4
	v_dual_mov_b32 v4, v6 :: v_dual_mov_b32 v5, v7
.LBB247_963:                            ;   in Loop: Header=BB247_515 Depth=1
	s_or_b32 exec_lo, exec_lo, s13
.LBB247_964:                            ;   in Loop: Header=BB247_515 Depth=1
	s_delay_alu instid0(SALU_CYCLE_1)
	s_or_b32 exec_lo, exec_lo, s12
.LBB247_965:                            ;   in Loop: Header=BB247_515 Depth=1
	s_delay_alu instid0(SALU_CYCLE_1) | instskip(SKIP_2) | instid1(VALU_DEP_1)
	s_or_b32 exec_lo, exec_lo, s10
	v_lshrrev_b16 v6, 8, v165
	s_mov_b32 s12, exec_lo
	v_cmpx_ne_u16_e32 0, v6
	s_cbranch_execz .LBB247_973
; %bb.966:                              ;   in Loop: Header=BB247_515 Depth=1
	v_dual_mov_b32 v15, s9 :: v_dual_mov_b32 v14, s8
	s_mov_b32 s13, exec_lo
	v_cmpx_ne_u16_e32 0x80, v6
	s_cbranch_execz .LBB247_972
; %bb.967:                              ;   in Loop: Header=BB247_515 Depth=1
	s_mov_b32 s10, s8
	v_dual_mov_b32 v15, s11 :: v_dual_and_b32 v6, 0xffff, v6
	v_mov_b32_e32 v14, s10
	s_mov_b32 s10, exec_lo
	s_delay_alu instid0(VALU_DEP_2) | instskip(NEXT) | instid1(VALU_DEP_1)
	v_and_b32_e32 v16, 0x7f, v6
	v_cmpx_ne_u32_e32 0x7f, v16
	s_cbranch_execz .LBB247_971
; %bb.968:                              ;   in Loop: Header=BB247_515 Depth=1
	v_and_b32_e32 v6, 7, v6
	v_lshrrev_b32_e32 v14, 3, v16
	s_mov_b32 s15, exec_lo
	v_cmpx_gt_u32_e32 8, v16
; %bb.969:                              ;   in Loop: Header=BB247_515 Depth=1
	s_delay_alu instid0(VALU_DEP_3) | instskip(NEXT) | instid1(VALU_DEP_1)
	v_clz_i32_u32_e32 v14, v6
	v_min_u32_e32 v14, 32, v14
	s_delay_alu instid0(VALU_DEP_1) | instskip(SKIP_1) | instid1(VALU_DEP_2)
	v_subrev_nc_u32_e32 v15, 28, v14
	v_sub_nc_u32_e32 v14, 29, v14
	v_lshlrev_b64 v[15:16], v15, v[6:7]
	s_delay_alu instid0(VALU_DEP_1)
	v_and_b32_e32 v6, 7, v15
; %bb.970:                              ;   in Loop: Header=BB247_515 Depth=1
	s_or_b32 exec_lo, exec_lo, s15
	v_lshlrev_b32_e32 v15, 16, v165
	s_delay_alu instid0(VALU_DEP_2) | instskip(SKIP_1) | instid1(VALU_DEP_3)
	v_lshlrev_b32_e32 v6, 20, v6
	v_lshl_add_u32 v14, v14, 23, 0x3c000000
	v_and_b32_e32 v15, 0x80000000, v15
	s_delay_alu instid0(VALU_DEP_1)
	v_or3_b32 v15, v6, v15, v14
	v_mov_b32_e32 v14, v7
.LBB247_971:                            ;   in Loop: Header=BB247_515 Depth=1
	s_or_b32 exec_lo, exec_lo, s10
.LBB247_972:                            ;   in Loop: Header=BB247_515 Depth=1
	s_delay_alu instid0(SALU_CYCLE_1)
	s_or_b32 exec_lo, exec_lo, s13
.LBB247_973:                            ;   in Loop: Header=BB247_515 Depth=1
	s_delay_alu instid0(SALU_CYCLE_1) | instskip(SKIP_4) | instid1(VALU_DEP_2)
	s_or_b32 exec_lo, exec_lo, s12
	v_mov_b32_e32 v18, 0
	v_lshrrev_b32_e32 v166, 16, v165
	v_mov_b32_e32 v19, 0
	s_mov_b32 s10, exec_lo
	v_and_b32_e32 v6, 0xff, v166
	s_delay_alu instid0(VALU_DEP_2) | instskip(NEXT) | instid1(VALU_DEP_2)
	v_dual_mov_b32 v16, v18 :: v_dual_mov_b32 v17, v19
	v_cmpx_ne_u16_e32 0, v6
	s_cbranch_execz .LBB247_981
; %bb.974:                              ;   in Loop: Header=BB247_515 Depth=1
	v_bfrev_b32_e32 v16, 1
	v_mov_b32_e32 v17, 0
	s_mov_b32 s12, exec_lo
	v_cmpx_ne_u16_e32 0x80, v6
	s_cbranch_execz .LBB247_980
; %bb.975:                              ;   in Loop: Header=BB247_515 Depth=1
	v_mov_b32_e32 v16, 0x7f800001
	v_bfe_u32 v167, v165, 16, 7
	v_mov_b32_e32 v17, 0
	s_mov_b32 s13, exec_lo
	s_delay_alu instid0(VALU_DEP_2)
	v_cmpx_ne_u32_e32 0x7f, v167
	s_cbranch_execz .LBB247_979
; %bb.976:                              ;   in Loop: Header=BB247_515 Depth=1
	v_and_b32_e32 v6, 7, v166
	v_lshrrev_b32_e32 v16, 3, v167
	s_mov_b32 s15, exec_lo
	v_cmpx_gt_u32_e32 8, v167
; %bb.977:                              ;   in Loop: Header=BB247_515 Depth=1
	s_delay_alu instid0(VALU_DEP_3) | instskip(NEXT) | instid1(VALU_DEP_1)
	v_clz_i32_u32_e32 v16, v6
	v_min_u32_e32 v16, 32, v16
	s_delay_alu instid0(VALU_DEP_1) | instskip(SKIP_1) | instid1(VALU_DEP_2)
	v_subrev_nc_u32_e32 v17, 28, v16
	v_sub_nc_u32_e32 v16, 29, v16
	v_lshlrev_b64 v[176:177], v17, v[6:7]
	s_delay_alu instid0(VALU_DEP_1)
	v_and_b32_e32 v6, 7, v176
; %bb.978:                              ;   in Loop: Header=BB247_515 Depth=1
	s_or_b32 exec_lo, exec_lo, s15
	v_lshlrev_b32_e32 v17, 24, v166
	s_delay_alu instid0(VALU_DEP_2) | instskip(SKIP_1) | instid1(VALU_DEP_3)
	v_lshlrev_b32_e32 v6, 20, v6
	v_lshl_add_u32 v16, v16, 23, 0x3c000000
	v_and_b32_e32 v17, 0x80000000, v17
	s_delay_alu instid0(VALU_DEP_1) | instskip(NEXT) | instid1(VALU_DEP_1)
	v_or3_b32 v6, v6, v17, v16
	v_dual_mov_b32 v17, v7 :: v_dual_mov_b32 v16, v6
.LBB247_979:                            ;   in Loop: Header=BB247_515 Depth=1
	s_or_b32 exec_lo, exec_lo, s13
.LBB247_980:                            ;   in Loop: Header=BB247_515 Depth=1
	s_delay_alu instid0(SALU_CYCLE_1)
	s_or_b32 exec_lo, exec_lo, s12
.LBB247_981:                            ;   in Loop: Header=BB247_515 Depth=1
	s_delay_alu instid0(SALU_CYCLE_1) | instskip(NEXT) | instid1(SALU_CYCLE_1)
	s_or_b32 exec_lo, exec_lo, s10
	s_mov_b32 s12, exec_lo
	v_cmpx_lt_u32_e32 0xffffff, v165
	s_cbranch_execz .LBB247_989
; %bb.982:                              ;   in Loop: Header=BB247_515 Depth=1
	v_lshrrev_b32_e32 v166, 24, v165
	v_dual_mov_b32 v19, s9 :: v_dual_mov_b32 v18, s8
	s_mov_b32 s13, exec_lo
	s_delay_alu instid0(VALU_DEP_2)
	v_cmpx_ne_u32_e32 0x80, v166
	s_cbranch_execz .LBB247_988
; %bb.983:                              ;   in Loop: Header=BB247_515 Depth=1
	s_mov_b32 s10, s8
	v_bfe_u32 v165, v165, 24, 7
	v_dual_mov_b32 v19, s11 :: v_dual_mov_b32 v18, s10
	s_mov_b32 s10, exec_lo
	s_delay_alu instid0(VALU_DEP_2)
	v_cmpx_ne_u32_e32 0x7f, v165
	s_cbranch_execz .LBB247_987
; %bb.984:                              ;   in Loop: Header=BB247_515 Depth=1
	v_and_b32_e32 v6, 7, v166
	v_lshrrev_b32_e32 v18, 3, v165
	s_mov_b32 s15, exec_lo
	v_cmpx_gt_u32_e32 8, v165
; %bb.985:                              ;   in Loop: Header=BB247_515 Depth=1
	s_delay_alu instid0(VALU_DEP_3) | instskip(NEXT) | instid1(VALU_DEP_1)
	v_clz_i32_u32_e32 v18, v6
	v_min_u32_e32 v18, 32, v18
	s_delay_alu instid0(VALU_DEP_1) | instskip(SKIP_1) | instid1(VALU_DEP_2)
	v_subrev_nc_u32_e32 v19, 28, v18
	v_sub_nc_u32_e32 v18, 29, v18
	v_lshlrev_b64 v[176:177], v19, v[6:7]
	s_delay_alu instid0(VALU_DEP_1)
	v_and_b32_e32 v6, 7, v176
; %bb.986:                              ;   in Loop: Header=BB247_515 Depth=1
	s_or_b32 exec_lo, exec_lo, s15
	v_lshlrev_b32_e32 v19, 24, v166
	s_delay_alu instid0(VALU_DEP_2) | instskip(SKIP_1) | instid1(VALU_DEP_3)
	v_lshlrev_b32_e32 v6, 20, v6
	v_lshl_add_u32 v18, v18, 23, 0x3c000000
	v_and_b32_e32 v19, 0x80000000, v19
	s_delay_alu instid0(VALU_DEP_1)
	v_or3_b32 v19, v6, v19, v18
	v_mov_b32_e32 v18, v7
.LBB247_987:                            ;   in Loop: Header=BB247_515 Depth=1
	s_or_b32 exec_lo, exec_lo, s10
.LBB247_988:                            ;   in Loop: Header=BB247_515 Depth=1
	s_delay_alu instid0(SALU_CYCLE_1)
	s_or_b32 exec_lo, exec_lo, s13
.LBB247_989:                            ;   in Loop: Header=BB247_515 Depth=1
	s_delay_alu instid0(SALU_CYCLE_1) | instskip(SKIP_4) | instid1(VALU_DEP_3)
	s_or_b32 exec_lo, exec_lo, s12
	v_or_b32_e32 v5, v15, v5
	v_or_b32_e32 v4, v14, v4
	;; [unrolled: 1-line block ×4, first 2 shown]
	v_dual_mul_f32 v166, v53, v5 :: v_dual_mul_f32 v165, v50, v4
	s_delay_alu instid0(VALU_DEP_3) | instskip(NEXT) | instid1(VALU_DEP_3)
	v_mul_f32_e32 v18, v53, v6
	v_mul_f32_e32 v19, v50, v14
	s_and_saveexec_b32 s10, vcc_lo
; %bb.990:                              ;   in Loop: Header=BB247_515 Depth=1
	v_cmp_lt_i32_e64 s0, v66, v22
	s_delay_alu instid0(VALU_DEP_1) | instskip(SKIP_1) | instid1(VALU_DEP_1)
	v_cndmask_b32_e64 v165, 0, v165, s0
	v_cmp_lt_i32_e64 s0, v68, v22
	v_cndmask_b32_e64 v166, 0, v166, s0
	v_cmp_lt_i32_e64 s0, v67, v22
	s_delay_alu instid0(VALU_DEP_1) | instskip(SKIP_1) | instid1(VALU_DEP_1)
	v_cndmask_b32_e64 v19, 0, v19, s0
	v_cmp_lt_i32_e64 s0, v21, v22
	v_cndmask_b32_e64 v18, 0, v18, s0
; %bb.991:                              ;   in Loop: Header=BB247_515 Depth=1
	s_or_b32 exec_lo, exec_lo, s10
	flat_load_b32 v167, v[12:13] offset:1792
	v_mov_b32_e32 v12, 0
	v_mov_b32_e32 v13, 0
	s_mov_b32 s10, exec_lo
	s_waitcnt vmcnt(0) lgkmcnt(0)
	v_and_b32_e32 v6, 0xff, v167
	s_delay_alu instid0(VALU_DEP_2) | instskip(NEXT) | instid1(VALU_DEP_2)
	v_dual_mov_b32 v4, v12 :: v_dual_mov_b32 v5, v13
	v_cmpx_ne_u16_e32 0, v6
	s_cbranch_execz .LBB247_999
; %bb.992:                              ;   in Loop: Header=BB247_515 Depth=1
	v_bfrev_b32_e32 v4, 1
	v_mov_b32_e32 v5, 0
	s_mov_b32 s12, exec_lo
	v_cmpx_ne_u16_e32 0x80, v6
	s_cbranch_execz .LBB247_998
; %bb.993:                              ;   in Loop: Header=BB247_515 Depth=1
	v_mov_b32_e32 v4, 0x7f800001
	v_dual_mov_b32 v5, 0 :: v_dual_and_b32 v14, 0x7f, v167
	s_mov_b32 s13, exec_lo
	s_delay_alu instid0(VALU_DEP_1)
	v_cmpx_ne_u32_e32 0x7f, v14
	s_cbranch_execz .LBB247_997
; %bb.994:                              ;   in Loop: Header=BB247_515 Depth=1
	v_and_b32_e32 v6, 7, v167
	v_lshrrev_b32_e32 v4, 3, v14
	s_mov_b32 s15, exec_lo
	v_cmpx_gt_u32_e32 8, v14
; %bb.995:                              ;   in Loop: Header=BB247_515 Depth=1
	s_delay_alu instid0(VALU_DEP_3) | instskip(NEXT) | instid1(VALU_DEP_1)
	v_clz_i32_u32_e32 v4, v6
	v_min_u32_e32 v4, 32, v4
	s_delay_alu instid0(VALU_DEP_1) | instskip(SKIP_1) | instid1(VALU_DEP_2)
	v_subrev_nc_u32_e32 v5, 28, v4
	v_sub_nc_u32_e32 v4, 29, v4
	v_lshlrev_b64 v[5:6], v5, v[6:7]
	s_delay_alu instid0(VALU_DEP_1)
	v_and_b32_e32 v6, 7, v5
; %bb.996:                              ;   in Loop: Header=BB247_515 Depth=1
	s_or_b32 exec_lo, exec_lo, s15
	v_lshlrev_b32_e32 v5, 24, v167
	s_delay_alu instid0(VALU_DEP_2) | instskip(SKIP_1) | instid1(VALU_DEP_3)
	v_lshlrev_b32_e32 v6, 20, v6
	v_lshl_add_u32 v4, v4, 23, 0x3c000000
	v_and_b32_e32 v5, 0x80000000, v5
	s_delay_alu instid0(VALU_DEP_1) | instskip(NEXT) | instid1(VALU_DEP_1)
	v_or3_b32 v6, v6, v5, v4
	v_dual_mov_b32 v4, v6 :: v_dual_mov_b32 v5, v7
.LBB247_997:                            ;   in Loop: Header=BB247_515 Depth=1
	s_or_b32 exec_lo, exec_lo, s13
.LBB247_998:                            ;   in Loop: Header=BB247_515 Depth=1
	s_delay_alu instid0(SALU_CYCLE_1)
	s_or_b32 exec_lo, exec_lo, s12
.LBB247_999:                            ;   in Loop: Header=BB247_515 Depth=1
	s_delay_alu instid0(SALU_CYCLE_1) | instskip(SKIP_2) | instid1(VALU_DEP_1)
	s_or_b32 exec_lo, exec_lo, s10
	v_lshrrev_b16 v6, 8, v167
	s_mov_b32 s12, exec_lo
	v_cmpx_ne_u16_e32 0, v6
	s_cbranch_execz .LBB247_1007
; %bb.1000:                             ;   in Loop: Header=BB247_515 Depth=1
	v_dual_mov_b32 v13, s9 :: v_dual_mov_b32 v12, s8
	s_mov_b32 s13, exec_lo
	v_cmpx_ne_u16_e32 0x80, v6
	s_cbranch_execz .LBB247_1006
; %bb.1001:                             ;   in Loop: Header=BB247_515 Depth=1
	s_mov_b32 s10, s8
	v_dual_mov_b32 v13, s11 :: v_dual_and_b32 v6, 0xffff, v6
	v_mov_b32_e32 v12, s10
	s_mov_b32 s10, exec_lo
	s_delay_alu instid0(VALU_DEP_2) | instskip(NEXT) | instid1(VALU_DEP_1)
	v_and_b32_e32 v14, 0x7f, v6
	v_cmpx_ne_u32_e32 0x7f, v14
	s_cbranch_execz .LBB247_1005
; %bb.1002:                             ;   in Loop: Header=BB247_515 Depth=1
	v_and_b32_e32 v6, 7, v6
	v_lshrrev_b32_e32 v12, 3, v14
	s_mov_b32 s15, exec_lo
	v_cmpx_gt_u32_e32 8, v14
; %bb.1003:                             ;   in Loop: Header=BB247_515 Depth=1
	s_delay_alu instid0(VALU_DEP_3) | instskip(NEXT) | instid1(VALU_DEP_1)
	v_clz_i32_u32_e32 v12, v6
	v_min_u32_e32 v12, 32, v12
	s_delay_alu instid0(VALU_DEP_1) | instskip(SKIP_1) | instid1(VALU_DEP_2)
	v_subrev_nc_u32_e32 v13, 28, v12
	v_sub_nc_u32_e32 v12, 29, v12
	v_lshlrev_b64 v[13:14], v13, v[6:7]
	s_delay_alu instid0(VALU_DEP_1)
	v_and_b32_e32 v6, 7, v13
; %bb.1004:                             ;   in Loop: Header=BB247_515 Depth=1
	s_or_b32 exec_lo, exec_lo, s15
	v_lshlrev_b32_e32 v13, 16, v167
	s_delay_alu instid0(VALU_DEP_2) | instskip(SKIP_1) | instid1(VALU_DEP_3)
	v_lshlrev_b32_e32 v6, 20, v6
	v_lshl_add_u32 v12, v12, 23, 0x3c000000
	v_and_b32_e32 v13, 0x80000000, v13
	s_delay_alu instid0(VALU_DEP_1)
	v_or3_b32 v13, v6, v13, v12
	v_mov_b32_e32 v12, v7
.LBB247_1005:                           ;   in Loop: Header=BB247_515 Depth=1
	s_or_b32 exec_lo, exec_lo, s10
.LBB247_1006:                           ;   in Loop: Header=BB247_515 Depth=1
	s_delay_alu instid0(SALU_CYCLE_1)
	s_or_b32 exec_lo, exec_lo, s13
.LBB247_1007:                           ;   in Loop: Header=BB247_515 Depth=1
	s_delay_alu instid0(SALU_CYCLE_1) | instskip(SKIP_4) | instid1(VALU_DEP_2)
	s_or_b32 exec_lo, exec_lo, s12
	v_mov_b32_e32 v16, 0
	v_lshrrev_b32_e32 v176, 16, v167
	v_mov_b32_e32 v17, 0
	s_mov_b32 s10, exec_lo
	v_and_b32_e32 v6, 0xff, v176
	s_delay_alu instid0(VALU_DEP_2) | instskip(NEXT) | instid1(VALU_DEP_2)
	v_dual_mov_b32 v14, v16 :: v_dual_mov_b32 v15, v17
	v_cmpx_ne_u16_e32 0, v6
	s_cbranch_execz .LBB247_1015
; %bb.1008:                             ;   in Loop: Header=BB247_515 Depth=1
	v_bfrev_b32_e32 v14, 1
	v_mov_b32_e32 v15, 0
	s_mov_b32 s12, exec_lo
	v_cmpx_ne_u16_e32 0x80, v6
	s_cbranch_execz .LBB247_1014
; %bb.1009:                             ;   in Loop: Header=BB247_515 Depth=1
	v_mov_b32_e32 v14, 0x7f800001
	v_bfe_u32 v177, v167, 16, 7
	v_mov_b32_e32 v15, 0
	s_mov_b32 s13, exec_lo
	s_delay_alu instid0(VALU_DEP_2)
	v_cmpx_ne_u32_e32 0x7f, v177
	s_cbranch_execz .LBB247_1013
; %bb.1010:                             ;   in Loop: Header=BB247_515 Depth=1
	v_and_b32_e32 v6, 7, v176
	v_lshrrev_b32_e32 v14, 3, v177
	s_mov_b32 s15, exec_lo
	v_cmpx_gt_u32_e32 8, v177
; %bb.1011:                             ;   in Loop: Header=BB247_515 Depth=1
	s_delay_alu instid0(VALU_DEP_3) | instskip(NEXT) | instid1(VALU_DEP_1)
	v_clz_i32_u32_e32 v14, v6
	v_min_u32_e32 v14, 32, v14
	s_delay_alu instid0(VALU_DEP_1) | instskip(SKIP_1) | instid1(VALU_DEP_2)
	v_subrev_nc_u32_e32 v15, 28, v14
	v_sub_nc_u32_e32 v14, 29, v14
	v_lshlrev_b64 v[177:178], v15, v[6:7]
	s_delay_alu instid0(VALU_DEP_1)
	v_and_b32_e32 v6, 7, v177
; %bb.1012:                             ;   in Loop: Header=BB247_515 Depth=1
	s_or_b32 exec_lo, exec_lo, s15
	v_lshlrev_b32_e32 v15, 24, v176
	s_delay_alu instid0(VALU_DEP_2) | instskip(SKIP_1) | instid1(VALU_DEP_3)
	v_lshlrev_b32_e32 v6, 20, v6
	v_lshl_add_u32 v14, v14, 23, 0x3c000000
	v_and_b32_e32 v15, 0x80000000, v15
	s_delay_alu instid0(VALU_DEP_1) | instskip(NEXT) | instid1(VALU_DEP_1)
	v_or3_b32 v6, v6, v15, v14
	v_dual_mov_b32 v15, v7 :: v_dual_mov_b32 v14, v6
.LBB247_1013:                           ;   in Loop: Header=BB247_515 Depth=1
	s_or_b32 exec_lo, exec_lo, s13
.LBB247_1014:                           ;   in Loop: Header=BB247_515 Depth=1
	s_delay_alu instid0(SALU_CYCLE_1)
	s_or_b32 exec_lo, exec_lo, s12
.LBB247_1015:                           ;   in Loop: Header=BB247_515 Depth=1
	s_delay_alu instid0(SALU_CYCLE_1) | instskip(NEXT) | instid1(SALU_CYCLE_1)
	s_or_b32 exec_lo, exec_lo, s10
	s_mov_b32 s12, exec_lo
	v_cmpx_lt_u32_e32 0xffffff, v167
	s_cbranch_execz .LBB247_1023
; %bb.1016:                             ;   in Loop: Header=BB247_515 Depth=1
	v_lshrrev_b32_e32 v176, 24, v167
	v_dual_mov_b32 v17, s9 :: v_dual_mov_b32 v16, s8
	s_mov_b32 s13, exec_lo
	s_delay_alu instid0(VALU_DEP_2)
	v_cmpx_ne_u32_e32 0x80, v176
	s_cbranch_execz .LBB247_1022
; %bb.1017:                             ;   in Loop: Header=BB247_515 Depth=1
	s_mov_b32 s10, s8
	v_bfe_u32 v167, v167, 24, 7
	v_dual_mov_b32 v17, s11 :: v_dual_mov_b32 v16, s10
	s_mov_b32 s10, exec_lo
	s_delay_alu instid0(VALU_DEP_2)
	v_cmpx_ne_u32_e32 0x7f, v167
	s_cbranch_execz .LBB247_1021
; %bb.1018:                             ;   in Loop: Header=BB247_515 Depth=1
	v_and_b32_e32 v6, 7, v176
	v_lshrrev_b32_e32 v16, 3, v167
	s_mov_b32 s15, exec_lo
	v_cmpx_gt_u32_e32 8, v167
; %bb.1019:                             ;   in Loop: Header=BB247_515 Depth=1
	s_delay_alu instid0(VALU_DEP_3) | instskip(NEXT) | instid1(VALU_DEP_1)
	v_clz_i32_u32_e32 v16, v6
	v_min_u32_e32 v16, 32, v16
	s_delay_alu instid0(VALU_DEP_1) | instskip(SKIP_1) | instid1(VALU_DEP_2)
	v_subrev_nc_u32_e32 v17, 28, v16
	v_sub_nc_u32_e32 v16, 29, v16
	v_lshlrev_b64 v[177:178], v17, v[6:7]
	s_delay_alu instid0(VALU_DEP_1)
	v_and_b32_e32 v6, 7, v177
; %bb.1020:                             ;   in Loop: Header=BB247_515 Depth=1
	s_or_b32 exec_lo, exec_lo, s15
	v_lshlrev_b32_e32 v17, 24, v176
	s_delay_alu instid0(VALU_DEP_2) | instskip(SKIP_1) | instid1(VALU_DEP_3)
	v_lshlrev_b32_e32 v6, 20, v6
	v_lshl_add_u32 v16, v16, 23, 0x3c000000
	v_and_b32_e32 v17, 0x80000000, v17
	s_delay_alu instid0(VALU_DEP_1)
	v_or3_b32 v17, v6, v17, v16
	v_mov_b32_e32 v16, v7
.LBB247_1021:                           ;   in Loop: Header=BB247_515 Depth=1
	s_or_b32 exec_lo, exec_lo, s10
.LBB247_1022:                           ;   in Loop: Header=BB247_515 Depth=1
	s_delay_alu instid0(SALU_CYCLE_1)
	s_or_b32 exec_lo, exec_lo, s13
.LBB247_1023:                           ;   in Loop: Header=BB247_515 Depth=1
	s_delay_alu instid0(SALU_CYCLE_1) | instskip(SKIP_4) | instid1(VALU_DEP_4)
	s_or_b32 exec_lo, exec_lo, s12
	v_or_b32_e32 v5, v13, v5
	v_or_b32_e32 v4, v12, v4
	;; [unrolled: 1-line block ×4, first 2 shown]
	v_mul_f32_e32 v12, v53, v5
	s_delay_alu instid0(VALU_DEP_4) | instskip(NEXT) | instid1(VALU_DEP_3)
	v_mul_f32_e32 v6, v50, v4
	v_dual_mul_f32 v4, v53, v13 :: v_dual_mul_f32 v5, v50, v14
	s_and_saveexec_b32 s0, vcc_lo
	s_cbranch_execz .LBB247_514
; %bb.1024:                             ;   in Loop: Header=BB247_515 Depth=1
	v_cmp_lt_i32_e32 vcc_lo, v66, v22
	v_cndmask_b32_e32 v6, 0, v6, vcc_lo
	v_cmp_lt_i32_e32 vcc_lo, v68, v22
	v_cndmask_b32_e32 v12, 0, v12, vcc_lo
	;; [unrolled: 2-line block ×4, first 2 shown]
	s_branch .LBB247_514
.LBB247_1025:
	s_or_b32 exec_lo, exec_lo, s5
	v_dual_mov_b32 v0, s6 :: v_dual_mov_b32 v1, s7
	v_mov_b32_e32 v52, v180
.LBB247_1026:
	s_or_b32 exec_lo, exec_lo, s3
	s_delay_alu instid0(VALU_DEP_2)
	v_lshlrev_b64 v[0:1], 2, v[0:1]
	s_getpc_b64 s[6:7]
	s_add_u32 s6, s6, llvm.amdgcn.dynlds.offset.table@rel32@lo+4
	s_addc_u32 s7, s7, llvm.amdgcn.dynlds.offset.table@rel32@hi+12
	s_waitcnt lgkmcnt(0)
	s_waitcnt_vscnt null, 0x0
	s_barrier
	buffer_gl0_inv
	ds_bpermute_b32 v8, v25, v33
	v_add_co_u32 v0, vcc_lo, v0, s6
	v_add_co_ci_u32_e32 v1, vcc_lo, s7, v1, vcc_lo
	ds_bpermute_b32 v9, v25, v32
	ds_bpermute_b32 v12, v25, v29
	;; [unrolled: 1-line block ×3, first 2 shown]
	global_load_b32 v16, v[0:1], off
	ds_bpermute_b32 v0, v25, v38
	ds_bpermute_b32 v1, v25, v49
	;; [unrolled: 1-line block ×11, first 2 shown]
	s_waitcnt lgkmcnt(14)
	v_add_f32_e32 v8, v33, v8
	v_lshrrev_b32_e32 v15, 2, v24
	s_mov_b32 s0, exec_lo
	s_waitcnt lgkmcnt(12)
	v_dual_add_f32 v9, v32, v9 :: v_dual_add_f32 v12, v29, v12
	s_waitcnt lgkmcnt(11)
	v_add_f32_e32 v2, v48, v2
	s_waitcnt lgkmcnt(9)
	v_dual_add_f32 v0, v38, v0 :: v_dual_add_f32 v1, v49, v1
	ds_bpermute_b32 v29, v181, v9
	s_waitcnt lgkmcnt(8)
	v_dual_add_f32 v3, v39, v3 :: v_dual_add_f32 v4, v37, v4
	s_waitcnt lgkmcnt(6)
	v_dual_add_f32 v5, v36, v5 :: v_dual_add_f32 v6, v35, v6
	;; [unrolled: 2-line block ×3, first 2 shown]
	s_waitcnt lgkmcnt(3)
	v_add_f32_e32 v11, v30, v11
	s_waitcnt lgkmcnt(1)
	v_dual_add_f32 v13, v28, v13 :: v_dual_add_f32 v14, v23, v14
	ds_bpermute_b32 v17, v181, v0
	ds_bpermute_b32 v18, v181, v1
	ds_bpermute_b32 v19, v181, v2
	ds_bpermute_b32 v20, v181, v3
	ds_bpermute_b32 v21, v181, v4
	ds_bpermute_b32 v22, v181, v5
	ds_bpermute_b32 v23, v181, v6
	ds_bpermute_b32 v25, v181, v7
	ds_bpermute_b32 v28, v181, v8
	ds_bpermute_b32 v30, v181, v10
	s_waitcnt lgkmcnt(10)
	v_add_f32_e32 v9, v9, v29
	ds_bpermute_b32 v31, v181, v11
	ds_bpermute_b32 v32, v181, v12
	;; [unrolled: 1-line block ×4, first 2 shown]
	v_and_b32_e32 v34, 0x3c3, v179
	s_waitcnt lgkmcnt(12)
	v_dual_add_f32 v0, v0, v17 :: v_dual_add_f32 v1, v1, v18
	s_waitcnt lgkmcnt(10)
	v_dual_add_f32 v2, v2, v19 :: v_dual_add_f32 v3, v3, v20
	;; [unrolled: 2-line block ×4, first 2 shown]
	s_waitcnt lgkmcnt(5)
	v_add_f32_e32 v8, v8, v28
	s_waitcnt lgkmcnt(4)
	v_dual_add_f32 v10, v10, v30 :: v_dual_lshlrev_b32 v17, 2, v15
	s_waitcnt lgkmcnt(2)
	v_dual_add_f32 v11, v11, v31 :: v_dual_add_f32 v12, v12, v32
	s_waitcnt lgkmcnt(0)
	v_dual_add_f32 v13, v13, v33 :: v_dual_add_f32 v14, v14, v26
	s_waitcnt vmcnt(0)
	v_mad_u32_u24 v16, 0x1e0, v52, v16
	v_cmpx_eq_u32_e32 64, v34
	s_cbranch_execz .LBB247_1028
; %bb.1027:
	s_delay_alu instid0(VALU_DEP_2)
	v_add3_u32 v18, v16, v17, 0xfffffc40
	ds_store_2addr_b32 v18, v0, v1 offset1:8
	ds_store_2addr_b32 v18, v2, v3 offset0:16 offset1:24
	ds_store_2addr_b32 v18, v4, v5 offset0:32 offset1:40
	;; [unrolled: 1-line block ×6, first 2 shown]
	ds_store_b32 v18, v14 offset:448
.LBB247_1028:
	s_or_b32 exec_lo, exec_lo, s0
	v_cmp_eq_u32_e32 vcc_lo, 0, v182
	v_cmp_gt_u32_e64 s0, 64, v179
	s_waitcnt lgkmcnt(0)
	s_barrier
	buffer_gl0_inv
	s_mov_b32 s3, exec_lo
	s_clause 0x1
	scratch_load_b32 v19, off, s32 offset:380
	scratch_load_b32 v20, off, s32 offset:384
	s_and_b32 s0, s3, s0
	s_delay_alu instid0(SALU_CYCLE_1)
	s_mov_b32 exec_lo, s0
	s_cbranch_execz .LBB247_1046
; %bb.1029:
	s_and_saveexec_b32 s0, vcc_lo
	s_cbranch_execnz .LBB247_1069
; %bb.1030:
	s_or_b32 exec_lo, exec_lo, s0
	s_and_saveexec_b32 s0, vcc_lo
	s_cbranch_execnz .LBB247_1070
.LBB247_1031:
	s_or_b32 exec_lo, exec_lo, s0
	s_and_saveexec_b32 s0, vcc_lo
	s_cbranch_execnz .LBB247_1071
.LBB247_1032:
	s_or_b32 exec_lo, exec_lo, s0
	s_and_saveexec_b32 s0, vcc_lo
	s_cbranch_execnz .LBB247_1072
.LBB247_1033:
	s_or_b32 exec_lo, exec_lo, s0
	s_and_saveexec_b32 s0, vcc_lo
	s_cbranch_execnz .LBB247_1073
.LBB247_1034:
	s_or_b32 exec_lo, exec_lo, s0
	s_and_saveexec_b32 s0, vcc_lo
	s_cbranch_execnz .LBB247_1074
.LBB247_1035:
	s_or_b32 exec_lo, exec_lo, s0
	s_and_saveexec_b32 s0, vcc_lo
	s_cbranch_execnz .LBB247_1075
.LBB247_1036:
	s_or_b32 exec_lo, exec_lo, s0
	s_and_saveexec_b32 s0, vcc_lo
	s_cbranch_execnz .LBB247_1076
.LBB247_1037:
	s_or_b32 exec_lo, exec_lo, s0
	s_and_saveexec_b32 s0, vcc_lo
	s_cbranch_execnz .LBB247_1077
.LBB247_1038:
	s_or_b32 exec_lo, exec_lo, s0
	s_and_saveexec_b32 s0, vcc_lo
	s_cbranch_execnz .LBB247_1078
.LBB247_1039:
	s_or_b32 exec_lo, exec_lo, s0
	s_and_saveexec_b32 s0, vcc_lo
	s_cbranch_execnz .LBB247_1079
.LBB247_1040:
	s_or_b32 exec_lo, exec_lo, s0
	s_and_saveexec_b32 s0, vcc_lo
	s_cbranch_execnz .LBB247_1080
.LBB247_1041:
	s_or_b32 exec_lo, exec_lo, s0
	s_and_saveexec_b32 s0, vcc_lo
	s_cbranch_execnz .LBB247_1081
.LBB247_1042:
	s_or_b32 exec_lo, exec_lo, s0
	s_and_saveexec_b32 s0, vcc_lo
	s_cbranch_execnz .LBB247_1082
.LBB247_1043:
	s_or_b32 exec_lo, exec_lo, s0
	s_and_saveexec_b32 s0, vcc_lo
	s_cbranch_execz .LBB247_1045
.LBB247_1044:
	v_lshl_add_u32 v18, v15, 2, v16
	ds_load_b32 v18, v18 offset:448
	s_waitcnt lgkmcnt(0)
	v_add_f32_e32 v14, v18, v14
.LBB247_1045:
	s_or_b32 exec_lo, exec_lo, s0
.LBB247_1046:
	s_delay_alu instid0(SALU_CYCLE_1)
	s_or_b32 exec_lo, exec_lo, s3
	v_and_b32_e32 v18, 0x3e3, v179
	s_mov_b32 s3, exec_lo
	s_waitcnt vmcnt(0)
	s_barrier
	buffer_gl0_inv
	v_cmpx_eq_u32_e32 32, v18
	s_cbranch_execz .LBB247_1048
; %bb.1047:
	v_add3_u32 v17, v16, v17, 0xfffffe20
	ds_store_2addr_b32 v17, v0, v1 offset1:8
	ds_store_2addr_b32 v17, v2, v3 offset0:16 offset1:24
	ds_store_2addr_b32 v17, v4, v5 offset0:32 offset1:40
	;; [unrolled: 1-line block ×6, first 2 shown]
	ds_store_b32 v17, v14 offset:448
.LBB247_1048:
	s_or_b32 exec_lo, exec_lo, s3
	s_delay_alu instid0(SALU_CYCLE_1)
	s_mov_b32 s3, exec_lo
	s_waitcnt lgkmcnt(0)
	s_barrier
	buffer_gl0_inv
	v_cmpx_gt_u32_e32 32, v179
	s_cbranch_execz .LBB247_1066
; %bb.1049:
	v_lshl_add_u32 v15, v15, 2, v16
	s_and_saveexec_b32 s0, vcc_lo
	s_cbranch_execnz .LBB247_1083
; %bb.1050:
	s_or_b32 exec_lo, exec_lo, s0
	s_and_saveexec_b32 s0, vcc_lo
	s_cbranch_execnz .LBB247_1084
.LBB247_1051:
	s_or_b32 exec_lo, exec_lo, s0
	s_and_saveexec_b32 s0, vcc_lo
	s_cbranch_execnz .LBB247_1085
.LBB247_1052:
	s_or_b32 exec_lo, exec_lo, s0
	s_and_saveexec_b32 s0, vcc_lo
	s_cbranch_execnz .LBB247_1086
.LBB247_1053:
	s_or_b32 exec_lo, exec_lo, s0
	s_and_saveexec_b32 s0, vcc_lo
	s_cbranch_execnz .LBB247_1087
.LBB247_1054:
	s_or_b32 exec_lo, exec_lo, s0
	s_and_saveexec_b32 s0, vcc_lo
	s_cbranch_execnz .LBB247_1088
.LBB247_1055:
	s_or_b32 exec_lo, exec_lo, s0
	s_and_saveexec_b32 s0, vcc_lo
	s_cbranch_execnz .LBB247_1089
.LBB247_1056:
	s_or_b32 exec_lo, exec_lo, s0
	s_and_saveexec_b32 s0, vcc_lo
	s_cbranch_execnz .LBB247_1090
.LBB247_1057:
	s_or_b32 exec_lo, exec_lo, s0
	s_and_saveexec_b32 s0, vcc_lo
	s_cbranch_execnz .LBB247_1091
.LBB247_1058:
	s_or_b32 exec_lo, exec_lo, s0
	s_and_saveexec_b32 s0, vcc_lo
	s_cbranch_execnz .LBB247_1092
.LBB247_1059:
	s_or_b32 exec_lo, exec_lo, s0
	s_and_saveexec_b32 s0, vcc_lo
	s_cbranch_execnz .LBB247_1093
.LBB247_1060:
	s_or_b32 exec_lo, exec_lo, s0
	s_and_saveexec_b32 s0, vcc_lo
	s_cbranch_execnz .LBB247_1094
.LBB247_1061:
	s_or_b32 exec_lo, exec_lo, s0
	s_and_saveexec_b32 s0, vcc_lo
	s_cbranch_execnz .LBB247_1095
.LBB247_1062:
	s_or_b32 exec_lo, exec_lo, s0
	s_and_saveexec_b32 s0, vcc_lo
	s_cbranch_execnz .LBB247_1096
.LBB247_1063:
	s_or_b32 exec_lo, exec_lo, s0
	s_and_saveexec_b32 s0, vcc_lo
	s_cbranch_execz .LBB247_1065
.LBB247_1064:
	ds_load_b32 v15, v15 offset:448
	s_waitcnt lgkmcnt(0)
	v_add_f32_e32 v14, v15, v14
.LBB247_1065:
	s_or_b32 exec_lo, exec_lo, s0
.LBB247_1066:
	s_delay_alu instid0(SALU_CYCLE_1)
	s_or_b32 exec_lo, exec_lo, s3
	v_cmp_eq_u32_e32 vcc_lo, 0, v18
	s_barrier
	buffer_gl0_inv
	s_and_b32 exec_lo, exec_lo, vcc_lo
	s_cbranch_execz .LBB247_1068
; %bb.1067:
	s_mul_i32 s0, s2, 0x78
	s_mul_i32 s2, s4, s1
	;; [unrolled: 1-line block ×3, first 2 shown]
	s_ashr_i32 s3, s2, 31
	s_ashr_i32 s5, s4, 31
	s_ashr_i32 s1, s0, 31
	s_lshl_b64 s[2:3], s[2:3], 2
	s_lshl_b64 s[4:5], s[4:5], 2
	;; [unrolled: 1-line block ×3, first 2 shown]
	s_add_u32 s2, s4, s2
	s_addc_u32 s3, s5, s3
	s_add_u32 s0, s2, s0
	s_addc_u32 s1, s3, s1
	v_add_co_u32 v15, vcc_lo, s0, v20
	v_add_co_ci_u32_e32 v16, vcc_lo, s1, v19, vcc_lo
	s_delay_alu instid0(VALU_DEP_2) | instskip(NEXT) | instid1(VALU_DEP_2)
	v_add_co_u32 v15, vcc_lo, v15, v179
	v_add_co_ci_u32_e32 v16, vcc_lo, 0, v16, vcc_lo
	s_clause 0xe
	flat_store_b32 v[15:16], v0
	flat_store_b32 v[15:16], v1 offset:32
	flat_store_b32 v[15:16], v2 offset:64
	;; [unrolled: 1-line block ×14, first 2 shown]
.LBB247_1068:
	s_or_b32 exec_lo, exec_lo, s20
	s_clause 0x1f
	scratch_load_b32 v191, off, s32
	scratch_load_b32 v190, off, s32 offset:4
	scratch_load_b32 v189, off, s32 offset:8
	;; [unrolled: 1-line block ×31, first 2 shown]
	s_clause 0x1f
	scratch_load_b32 v127, off, s32 offset:128
	scratch_load_b32 v126, off, s32 offset:132
	;; [unrolled: 1-line block ×32, first 2 shown]
	s_clause 0xf
	scratch_load_b32 v63, off, s32 offset:256
	scratch_load_b32 v62, off, s32 offset:260
	;; [unrolled: 1-line block ×16, first 2 shown]
	s_waitcnt vmcnt(0) lgkmcnt(0)
	s_setpc_b64 s[30:31]
.LBB247_1069:
	v_lshl_add_u32 v18, v15, 2, v16
	ds_load_b32 v18, v18
	s_waitcnt lgkmcnt(0)
	v_add_f32_e32 v0, v18, v0
	s_or_b32 exec_lo, exec_lo, s0
	s_and_saveexec_b32 s0, vcc_lo
	s_cbranch_execz .LBB247_1031
.LBB247_1070:
	v_lshl_add_u32 v18, v15, 2, v16
	ds_load_b32 v18, v18 offset:32
	s_waitcnt lgkmcnt(0)
	v_add_f32_e32 v1, v18, v1
	s_or_b32 exec_lo, exec_lo, s0
	s_and_saveexec_b32 s0, vcc_lo
	s_cbranch_execz .LBB247_1032
.LBB247_1071:
	v_lshl_add_u32 v18, v15, 2, v16
	ds_load_b32 v18, v18 offset:64
	s_waitcnt lgkmcnt(0)
	v_add_f32_e32 v2, v18, v2
	s_or_b32 exec_lo, exec_lo, s0
	s_and_saveexec_b32 s0, vcc_lo
	s_cbranch_execz .LBB247_1033
.LBB247_1072:
	v_lshl_add_u32 v18, v15, 2, v16
	ds_load_b32 v18, v18 offset:96
	s_waitcnt lgkmcnt(0)
	v_add_f32_e32 v3, v18, v3
	s_or_b32 exec_lo, exec_lo, s0
	s_and_saveexec_b32 s0, vcc_lo
	s_cbranch_execz .LBB247_1034
.LBB247_1073:
	v_lshl_add_u32 v18, v15, 2, v16
	ds_load_b32 v18, v18 offset:128
	s_waitcnt lgkmcnt(0)
	v_add_f32_e32 v4, v18, v4
	s_or_b32 exec_lo, exec_lo, s0
	s_and_saveexec_b32 s0, vcc_lo
	s_cbranch_execz .LBB247_1035
.LBB247_1074:
	v_lshl_add_u32 v18, v15, 2, v16
	ds_load_b32 v18, v18 offset:160
	s_waitcnt lgkmcnt(0)
	v_add_f32_e32 v5, v18, v5
	s_or_b32 exec_lo, exec_lo, s0
	s_and_saveexec_b32 s0, vcc_lo
	s_cbranch_execz .LBB247_1036
.LBB247_1075:
	v_lshl_add_u32 v18, v15, 2, v16
	ds_load_b32 v18, v18 offset:192
	s_waitcnt lgkmcnt(0)
	v_add_f32_e32 v6, v18, v6
	s_or_b32 exec_lo, exec_lo, s0
	s_and_saveexec_b32 s0, vcc_lo
	s_cbranch_execz .LBB247_1037
.LBB247_1076:
	v_lshl_add_u32 v18, v15, 2, v16
	ds_load_b32 v18, v18 offset:224
	s_waitcnt lgkmcnt(0)
	v_add_f32_e32 v7, v18, v7
	s_or_b32 exec_lo, exec_lo, s0
	s_and_saveexec_b32 s0, vcc_lo
	s_cbranch_execz .LBB247_1038
.LBB247_1077:
	v_lshl_add_u32 v18, v15, 2, v16
	ds_load_b32 v18, v18 offset:256
	s_waitcnt lgkmcnt(0)
	v_add_f32_e32 v8, v18, v8
	s_or_b32 exec_lo, exec_lo, s0
	s_and_saveexec_b32 s0, vcc_lo
	s_cbranch_execz .LBB247_1039
.LBB247_1078:
	v_lshl_add_u32 v18, v15, 2, v16
	ds_load_b32 v18, v18 offset:288
	s_waitcnt lgkmcnt(0)
	v_add_f32_e32 v9, v18, v9
	s_or_b32 exec_lo, exec_lo, s0
	s_and_saveexec_b32 s0, vcc_lo
	s_cbranch_execz .LBB247_1040
.LBB247_1079:
	v_lshl_add_u32 v18, v15, 2, v16
	ds_load_b32 v18, v18 offset:320
	s_waitcnt lgkmcnt(0)
	v_add_f32_e32 v10, v18, v10
	s_or_b32 exec_lo, exec_lo, s0
	s_and_saveexec_b32 s0, vcc_lo
	s_cbranch_execz .LBB247_1041
.LBB247_1080:
	v_lshl_add_u32 v18, v15, 2, v16
	ds_load_b32 v18, v18 offset:352
	s_waitcnt lgkmcnt(0)
	v_add_f32_e32 v11, v18, v11
	s_or_b32 exec_lo, exec_lo, s0
	s_and_saveexec_b32 s0, vcc_lo
	s_cbranch_execz .LBB247_1042
.LBB247_1081:
	v_lshl_add_u32 v18, v15, 2, v16
	ds_load_b32 v18, v18 offset:384
	s_waitcnt lgkmcnt(0)
	v_add_f32_e32 v12, v18, v12
	s_or_b32 exec_lo, exec_lo, s0
	s_and_saveexec_b32 s0, vcc_lo
	s_cbranch_execz .LBB247_1043
.LBB247_1082:
	v_lshl_add_u32 v18, v15, 2, v16
	ds_load_b32 v18, v18 offset:416
	s_waitcnt lgkmcnt(0)
	v_add_f32_e32 v13, v18, v13
	s_or_b32 exec_lo, exec_lo, s0
	s_and_saveexec_b32 s0, vcc_lo
	s_cbranch_execnz .LBB247_1044
	s_branch .LBB247_1045
.LBB247_1083:
	ds_load_b32 v16, v15
	s_waitcnt lgkmcnt(0)
	v_add_f32_e32 v0, v16, v0
	s_or_b32 exec_lo, exec_lo, s0
	s_and_saveexec_b32 s0, vcc_lo
	s_cbranch_execz .LBB247_1051
.LBB247_1084:
	ds_load_b32 v16, v15 offset:32
	s_waitcnt lgkmcnt(0)
	v_add_f32_e32 v1, v16, v1
	s_or_b32 exec_lo, exec_lo, s0
	s_and_saveexec_b32 s0, vcc_lo
	s_cbranch_execz .LBB247_1052
.LBB247_1085:
	ds_load_b32 v16, v15 offset:64
	s_waitcnt lgkmcnt(0)
	v_add_f32_e32 v2, v16, v2
	s_or_b32 exec_lo, exec_lo, s0
	s_and_saveexec_b32 s0, vcc_lo
	s_cbranch_execz .LBB247_1053
.LBB247_1086:
	ds_load_b32 v16, v15 offset:96
	s_waitcnt lgkmcnt(0)
	v_add_f32_e32 v3, v16, v3
	s_or_b32 exec_lo, exec_lo, s0
	s_and_saveexec_b32 s0, vcc_lo
	s_cbranch_execz .LBB247_1054
.LBB247_1087:
	ds_load_b32 v16, v15 offset:128
	s_waitcnt lgkmcnt(0)
	v_add_f32_e32 v4, v16, v4
	s_or_b32 exec_lo, exec_lo, s0
	s_and_saveexec_b32 s0, vcc_lo
	s_cbranch_execz .LBB247_1055
.LBB247_1088:
	ds_load_b32 v16, v15 offset:160
	s_waitcnt lgkmcnt(0)
	v_add_f32_e32 v5, v16, v5
	s_or_b32 exec_lo, exec_lo, s0
	s_and_saveexec_b32 s0, vcc_lo
	s_cbranch_execz .LBB247_1056
.LBB247_1089:
	ds_load_b32 v16, v15 offset:192
	s_waitcnt lgkmcnt(0)
	v_add_f32_e32 v6, v16, v6
	s_or_b32 exec_lo, exec_lo, s0
	s_and_saveexec_b32 s0, vcc_lo
	s_cbranch_execz .LBB247_1057
.LBB247_1090:
	ds_load_b32 v16, v15 offset:224
	s_waitcnt lgkmcnt(0)
	v_add_f32_e32 v7, v16, v7
	s_or_b32 exec_lo, exec_lo, s0
	s_and_saveexec_b32 s0, vcc_lo
	s_cbranch_execz .LBB247_1058
.LBB247_1091:
	ds_load_b32 v16, v15 offset:256
	s_waitcnt lgkmcnt(0)
	v_add_f32_e32 v8, v16, v8
	s_or_b32 exec_lo, exec_lo, s0
	s_and_saveexec_b32 s0, vcc_lo
	s_cbranch_execz .LBB247_1059
.LBB247_1092:
	ds_load_b32 v16, v15 offset:288
	s_waitcnt lgkmcnt(0)
	v_add_f32_e32 v9, v16, v9
	s_or_b32 exec_lo, exec_lo, s0
	s_and_saveexec_b32 s0, vcc_lo
	s_cbranch_execz .LBB247_1060
.LBB247_1093:
	ds_load_b32 v16, v15 offset:320
	s_waitcnt lgkmcnt(0)
	v_add_f32_e32 v10, v16, v10
	s_or_b32 exec_lo, exec_lo, s0
	s_and_saveexec_b32 s0, vcc_lo
	s_cbranch_execz .LBB247_1061
.LBB247_1094:
	ds_load_b32 v16, v15 offset:352
	s_waitcnt lgkmcnt(0)
	v_add_f32_e32 v11, v16, v11
	s_or_b32 exec_lo, exec_lo, s0
	s_and_saveexec_b32 s0, vcc_lo
	s_cbranch_execz .LBB247_1062
.LBB247_1095:
	ds_load_b32 v16, v15 offset:384
	s_waitcnt lgkmcnt(0)
	v_add_f32_e32 v12, v16, v12
	s_or_b32 exec_lo, exec_lo, s0
	s_and_saveexec_b32 s0, vcc_lo
	s_cbranch_execz .LBB247_1063
.LBB247_1096:
	ds_load_b32 v16, v15 offset:416
	s_waitcnt lgkmcnt(0)
	v_add_f32_e32 v13, v16, v13
	s_or_b32 exec_lo, exec_lo, s0
	s_and_saveexec_b32 s0, vcc_lo
	s_cbranch_execnz .LBB247_1064
	s_branch .LBB247_1065
.Lfunc_end247:
	.size	_ZN4vllm22paged_attention_kernelIfhLi120ELi16ELi128ELNS_18Fp8KVCacheDataTypeE1ELb0ELi512EEEvPfS2_PT_PKS3_PKT0_S9_ifPKiSB_iPKfiiiSD_SD_iiiii, .Lfunc_end247-_ZN4vllm22paged_attention_kernelIfhLi120ELi16ELi128ELNS_18Fp8KVCacheDataTypeE1ELb0ELi512EEEvPfS2_PT_PKS3_PKT0_S9_ifPKiSB_iPKfiiiSD_SD_iiiii
                                        ; -- End function
	.section	.AMDGPU.csdata,"",@progbits
; Function info:
; codeLenInByte = 39008
; NumSgprs: 35
; NumVgprs: 192
; ScratchSize: 468
; MemoryBound: 0
	.section	.text._ZN4vllm25paged_attention_v2_kernelIfhLi120ELi16ELi128ELNS_18Fp8KVCacheDataTypeE1ELb0ELi512EEEvPfS2_PT_PKS3_PKT0_S9_ifPKiSB_iPKfiiiSD_SD_iiiii,"axG",@progbits,_ZN4vllm25paged_attention_v2_kernelIfhLi120ELi16ELi128ELNS_18Fp8KVCacheDataTypeE1ELb0ELi512EEEvPfS2_PT_PKS3_PKT0_S9_ifPKiSB_iPKfiiiSD_SD_iiiii,comdat
	.protected	_ZN4vllm25paged_attention_v2_kernelIfhLi120ELi16ELi128ELNS_18Fp8KVCacheDataTypeE1ELb0ELi512EEEvPfS2_PT_PKS3_PKT0_S9_ifPKiSB_iPKfiiiSD_SD_iiiii ; -- Begin function _ZN4vllm25paged_attention_v2_kernelIfhLi120ELi16ELi128ELNS_18Fp8KVCacheDataTypeE1ELb0ELi512EEEvPfS2_PT_PKS3_PKT0_S9_ifPKiSB_iPKfiiiSD_SD_iiiii
	.globl	_ZN4vllm25paged_attention_v2_kernelIfhLi120ELi16ELi128ELNS_18Fp8KVCacheDataTypeE1ELb0ELi512EEEvPfS2_PT_PKS3_PKT0_S9_ifPKiSB_iPKfiiiSD_SD_iiiii
	.p2align	8
	.type	_ZN4vllm25paged_attention_v2_kernelIfhLi120ELi16ELi128ELNS_18Fp8KVCacheDataTypeE1ELb0ELi512EEEvPfS2_PT_PKS3_PKT0_S9_ifPKiSB_iPKfiiiSD_SD_iiiii,@function
_ZN4vllm25paged_attention_v2_kernelIfhLi120ELi16ELi128ELNS_18Fp8KVCacheDataTypeE1ELb0ELi512EEEvPfS2_PT_PKS3_PKT0_S9_ifPKiSB_iPKfiiiSD_SD_iiiii: ; @_ZN4vllm25paged_attention_v2_kernelIfhLi120ELi16ELi128ELNS_18Fp8KVCacheDataTypeE1ELb0ELi512EEEvPfS2_PT_PKS3_PKT0_S9_ifPKiSB_iPKfiiiSD_SD_iiiii
; %bb.0:
	s_clause 0x5
	s_load_b256 s[24:31], s[0:1], 0x0
	s_load_b256 s[16:23], s[0:1], 0x20
	s_load_b64 s[2:3], s[0:1], 0x40
	s_load_b64 s[4:5], s[0:1], 0x50
	s_load_b32 s6, s[0:1], 0x48
	s_load_b256 s[36:43], s[0:1], 0x58
	v_mov_b32_e32 v31, v0
	s_add_u32 s8, s0, 0x90
	s_mov_b32 s12, s13
	s_addc_u32 s9, s1, 0
	s_mov_b32 s13, s14
	s_mov_b32 s14, s15
	;; [unrolled: 1-line block ×4, first 2 shown]
	s_getpc_b64 s[0:1]
	s_add_u32 s0, s0, _ZN4vllm22paged_attention_kernelIfhLi120ELi16ELi128ELNS_18Fp8KVCacheDataTypeE1ELb0ELi512EEEvPfS2_PT_PKS3_PKT0_S9_ifPKiSB_iPKfiiiSD_SD_iiiii@rel32@lo+4
	s_addc_u32 s1, s1, _ZN4vllm22paged_attention_kernelIfhLi120ELi16ELi128ELNS_18Fp8KVCacheDataTypeE1ELb0ELi512EEEvPfS2_PT_PKS3_PKT0_S9_ifPKiSB_iPKfiiiSD_SD_iiiii@rel32@hi+12
	s_waitcnt lgkmcnt(0)
	v_dual_mov_b32 v0, s24 :: v_dual_mov_b32 v1, s25
	v_dual_mov_b32 v2, s26 :: v_dual_mov_b32 v3, s27
	;; [unrolled: 1-line block ×14, first 2 shown]
	s_swappc_b64 s[30:31], s[0:1]
	s_endpgm
	.section	.rodata,"a",@progbits
	.p2align	6, 0x0
	.amdhsa_kernel _ZN4vllm25paged_attention_v2_kernelIfhLi120ELi16ELi128ELNS_18Fp8KVCacheDataTypeE1ELb0ELi512EEEvPfS2_PT_PKS3_PKT0_S9_ifPKiSB_iPKfiiiSD_SD_iiiii
		.amdhsa_group_segment_fixed_size 512
		.amdhsa_private_segment_fixed_size 468
		.amdhsa_kernarg_size 400
		.amdhsa_user_sgpr_count 13
		.amdhsa_user_sgpr_dispatch_ptr 0
		.amdhsa_user_sgpr_queue_ptr 0
		.amdhsa_user_sgpr_kernarg_segment_ptr 1
		.amdhsa_user_sgpr_dispatch_id 0
		.amdhsa_user_sgpr_private_segment_size 0
		.amdhsa_wavefront_size32 1
		.amdhsa_uses_dynamic_stack 0
		.amdhsa_enable_private_segment 1
		.amdhsa_system_sgpr_workgroup_id_x 1
		.amdhsa_system_sgpr_workgroup_id_y 1
		.amdhsa_system_sgpr_workgroup_id_z 1
		.amdhsa_system_sgpr_workgroup_info 0
		.amdhsa_system_vgpr_workitem_id 0
		.amdhsa_next_free_vgpr 192
		.amdhsa_next_free_sgpr 44
		.amdhsa_reserve_vcc 1
		.amdhsa_float_round_mode_32 0
		.amdhsa_float_round_mode_16_64 0
		.amdhsa_float_denorm_mode_32 3
		.amdhsa_float_denorm_mode_16_64 3
		.amdhsa_dx10_clamp 1
		.amdhsa_ieee_mode 1
		.amdhsa_fp16_overflow 0
		.amdhsa_workgroup_processor_mode 1
		.amdhsa_memory_ordered 1
		.amdhsa_forward_progress 0
		.amdhsa_shared_vgpr_count 0
		.amdhsa_exception_fp_ieee_invalid_op 0
		.amdhsa_exception_fp_denorm_src 0
		.amdhsa_exception_fp_ieee_div_zero 0
		.amdhsa_exception_fp_ieee_overflow 0
		.amdhsa_exception_fp_ieee_underflow 0
		.amdhsa_exception_fp_ieee_inexact 0
		.amdhsa_exception_int_div_zero 0
	.end_amdhsa_kernel
	.section	.text._ZN4vllm25paged_attention_v2_kernelIfhLi120ELi16ELi128ELNS_18Fp8KVCacheDataTypeE1ELb0ELi512EEEvPfS2_PT_PKS3_PKT0_S9_ifPKiSB_iPKfiiiSD_SD_iiiii,"axG",@progbits,_ZN4vllm25paged_attention_v2_kernelIfhLi120ELi16ELi128ELNS_18Fp8KVCacheDataTypeE1ELb0ELi512EEEvPfS2_PT_PKS3_PKT0_S9_ifPKiSB_iPKfiiiSD_SD_iiiii,comdat
.Lfunc_end248:
	.size	_ZN4vllm25paged_attention_v2_kernelIfhLi120ELi16ELi128ELNS_18Fp8KVCacheDataTypeE1ELb0ELi512EEEvPfS2_PT_PKS3_PKT0_S9_ifPKiSB_iPKfiiiSD_SD_iiiii, .Lfunc_end248-_ZN4vllm25paged_attention_v2_kernelIfhLi120ELi16ELi128ELNS_18Fp8KVCacheDataTypeE1ELb0ELi512EEEvPfS2_PT_PKS3_PKT0_S9_ifPKiSB_iPKfiiiSD_SD_iiiii
                                        ; -- End function
	.section	.AMDGPU.csdata,"",@progbits
; Kernel info:
; codeLenInByte = 232
; NumSgprs: 46
; NumVgprs: 192
; ScratchSize: 468
; MemoryBound: 0
; FloatMode: 240
; IeeeMode: 1
; LDSByteSize: 512 bytes/workgroup (compile time only)
; SGPRBlocks: 5
; VGPRBlocks: 23
; NumSGPRsForWavesPerEU: 46
; NumVGPRsForWavesPerEU: 192
; Occupancy: 8
; WaveLimiterHint : 1
; COMPUTE_PGM_RSRC2:SCRATCH_EN: 1
; COMPUTE_PGM_RSRC2:USER_SGPR: 13
; COMPUTE_PGM_RSRC2:TRAP_HANDLER: 0
; COMPUTE_PGM_RSRC2:TGID_X_EN: 1
; COMPUTE_PGM_RSRC2:TGID_Y_EN: 1
; COMPUTE_PGM_RSRC2:TGID_Z_EN: 1
; COMPUTE_PGM_RSRC2:TIDIG_COMP_CNT: 0
	.text
	.p2align	2                               ; -- Begin function _ZN4vllm22paged_attention_kernelIfhLi128ELi16ELi128ELNS_18Fp8KVCacheDataTypeE1ELb0ELi512EEEvPfS2_PT_PKS3_PKT0_S9_ifPKiSB_iPKfiiiSD_SD_iiiii
	.type	_ZN4vllm22paged_attention_kernelIfhLi128ELi16ELi128ELNS_18Fp8KVCacheDataTypeE1ELb0ELi512EEEvPfS2_PT_PKS3_PKT0_S9_ifPKiSB_iPKfiiiSD_SD_iiiii,@function
_ZN4vllm22paged_attention_kernelIfhLi128ELi16ELi128ELNS_18Fp8KVCacheDataTypeE1ELb0ELi512EEEvPfS2_PT_PKS3_PKT0_S9_ifPKiSB_iPKfiiiSD_SD_iiiii: ; @_ZN4vllm22paged_attention_kernelIfhLi128ELi16ELi128ELNS_18Fp8KVCacheDataTypeE1ELb0ELi512EEEvPfS2_PT_PKS3_PKT0_S9_ifPKiSB_iPKfiiiSD_SD_iiiii
; %bb.0:
	s_waitcnt vmcnt(0) expcnt(0) lgkmcnt(0)
	s_clause 0x1f
	scratch_store_b32 off, v40, s32 offset:316
	; meta instruction
	scratch_store_b32 off, v41, s32 offset:312
	; meta instruction
	;; [unrolled: 2-line block ×31, first 2 shown]
	scratch_store_b32 off, v95, s32 offset:192
	s_clause 0x1f
	scratch_store_b32 off, v104, s32 offset:188
	; meta instruction
	scratch_store_b32 off, v105, s32 offset:184
	; meta instruction
	scratch_store_b32 off, v106, s32 offset:180
	; meta instruction
	scratch_store_b32 off, v107, s32 offset:176
	; meta instruction
	scratch_store_b32 off, v108, s32 offset:172
	; meta instruction
	scratch_store_b32 off, v109, s32 offset:168
	; meta instruction
	scratch_store_b32 off, v110, s32 offset:164
	; meta instruction
	scratch_store_b32 off, v111, s32 offset:160
	; meta instruction
	scratch_store_b32 off, v120, s32 offset:156
	; meta instruction
	scratch_store_b32 off, v121, s32 offset:152
	; meta instruction
	scratch_store_b32 off, v122, s32 offset:148
	; meta instruction
	scratch_store_b32 off, v123, s32 offset:144
	; meta instruction
	scratch_store_b32 off, v124, s32 offset:140
	; meta instruction
	scratch_store_b32 off, v125, s32 offset:136
	; meta instruction
	scratch_store_b32 off, v126, s32 offset:132
	; meta instruction
	scratch_store_b32 off, v127, s32 offset:128
	; meta instruction
	scratch_store_b32 off, v136, s32 offset:124
	; meta instruction
	scratch_store_b32 off, v137, s32 offset:120
	; meta instruction
	scratch_store_b32 off, v138, s32 offset:116
	; meta instruction
	scratch_store_b32 off, v139, s32 offset:112
	; meta instruction
	scratch_store_b32 off, v140, s32 offset:108
	; meta instruction
	scratch_store_b32 off, v141, s32 offset:104
	; meta instruction
	scratch_store_b32 off, v142, s32 offset:100
	; meta instruction
	scratch_store_b32 off, v143, s32 offset:96
	; meta instruction
	scratch_store_b32 off, v152, s32 offset:92
	; meta instruction
	scratch_store_b32 off, v153, s32 offset:88
	; meta instruction
	scratch_store_b32 off, v154, s32 offset:84
	; meta instruction
	scratch_store_b32 off, v155, s32 offset:80
	; meta instruction
	scratch_store_b32 off, v156, s32 offset:76
	; meta instruction
	scratch_store_b32 off, v157, s32 offset:72
	; meta instruction
	scratch_store_b32 off, v158, s32 offset:68
	; meta instruction
	scratch_store_b32 off, v159, s32 offset:64
	s_clause 0xf
	scratch_store_b32 off, v168, s32 offset:60
	; meta instruction
	scratch_store_b32 off, v169, s32 offset:56
	; meta instruction
	;; [unrolled: 2-line block ×15, first 2 shown]
	scratch_store_b32 off, v191, s32
	s_mov_b32 s16, s13
	s_ashr_i32 s17, s13, 31
	s_clause 0x2
	scratch_store_b64 off, v[24:25], s32 offset:328
	scratch_store_b32 off, v22, s32 offset:320
	scratch_store_b32 off, v13, s32 offset:420
	s_lshl_b64 s[0:1], s[16:17], 2
	v_dual_mov_b32 v25, v1 :: v_dual_mov_b32 v28, v0
	v_add_co_u32 v0, vcc_lo, v16, s0
	v_add_co_ci_u32_e32 v1, vcc_lo, s1, v17, vcc_lo
	v_dual_mov_b32 v51, v5 :: v_dual_mov_b32 v52, v4
	v_dual_mov_b32 v29, v3 :: v_dual_mov_b32 v32, v2
	flat_load_b32 v30, v[0:1]
	s_lshl_b32 s20, s14, 9
	s_mov_b32 s17, exec_lo
	s_waitcnt vmcnt(0) lgkmcnt(0)
	v_cmpx_lt_i32_e64 s20, v30
	s_cbranch_execz .LBB249_1136
; %bb.1:
	v_sub_nc_u32_e32 v0, 0, v12
	s_clause 0x1
	s_load_b32 s0, s[8:9], 0x10
	s_load_b32 s1, s[8:9], 0x0
	s_mov_b32 s10, s15
	v_max_i32_e32 v0, v12, v0
	s_delay_alu instid0(VALU_DEP_1) | instskip(SKIP_1) | instid1(VALU_DEP_2)
	v_cvt_f32_u32_e32 v1, v0
	v_sub_nc_u32_e32 v2, 0, v0
	v_rcp_iflag_f32_e32 v1, v1
	s_waitcnt lgkmcnt(0)
	s_lshr_b32 s0, s0, 16
	s_delay_alu instid0(SALU_CYCLE_1)
	s_cmp_lg_u32 s0, 0
	s_cselect_b32 s0, -1, 0
	s_waitcnt_depctr 0xfff
	v_mul_f32_e32 v1, 0x4f7ffffe, v1
	s_cmp_lg_u32 s0, 0
	s_addc_u32 s15, s1, 0
	s_abs_i32 s1, s12
	s_delay_alu instid0(VALU_DEP_1) | instskip(SKIP_1) | instid1(VALU_DEP_1)
	v_cvt_u32_f32_e32 v1, v1
	s_abs_i32 s0, s15
	v_mul_lo_u32 v2, v2, v1
	s_delay_alu instid0(VALU_DEP_1) | instskip(NEXT) | instid1(VALU_DEP_1)
	v_mul_hi_u32 v2, v1, v2
	v_add_nc_u32_e32 v1, v1, v2
	s_delay_alu instid0(VALU_DEP_1) | instskip(NEXT) | instid1(VALU_DEP_1)
	v_mul_hi_u32 v1, s0, v1
	v_mul_lo_u32 v2, v1, v0
	v_add_nc_u32_e32 v3, 1, v1
	s_delay_alu instid0(VALU_DEP_2) | instskip(SKIP_1) | instid1(VALU_DEP_1)
	v_sub_nc_u32_e32 v2, s0, v2
	s_mov_b32 s0, exec_lo
	v_sub_nc_u32_e32 v4, v2, v0
	v_cmp_ge_u32_e32 vcc_lo, v2, v0
	s_delay_alu instid0(VALU_DEP_2) | instskip(SKIP_1) | instid1(VALU_DEP_2)
	v_dual_cndmask_b32 v1, v1, v3 :: v_dual_cndmask_b32 v2, v2, v4
	v_xor_b32_e32 v3, s15, v12
	v_add_nc_u32_e32 v4, 1, v1
	s_delay_alu instid0(VALU_DEP_3) | instskip(NEXT) | instid1(VALU_DEP_3)
	v_cmp_ge_u32_e32 vcc_lo, v2, v0
	v_ashrrev_i32_e32 v3, 31, v3
	s_delay_alu instid0(VALU_DEP_3) | instskip(NEXT) | instid1(VALU_DEP_1)
	v_cndmask_b32_e32 v0, v1, v4, vcc_lo
	v_xor_b32_e32 v0, v0, v3
	s_delay_alu instid0(VALU_DEP_1) | instskip(NEXT) | instid1(VALU_DEP_1)
	v_sub_nc_u32_e32 v2, v0, v3
	v_sub_nc_u32_e32 v0, 0, v2
	s_delay_alu instid0(VALU_DEP_1) | instskip(NEXT) | instid1(VALU_DEP_1)
	v_max_i32_e32 v3, v2, v0
	v_cvt_f32_u32_e32 v0, v3
	v_sub_nc_u32_e32 v1, 0, v3
	s_delay_alu instid0(VALU_DEP_2) | instskip(SKIP_2) | instid1(VALU_DEP_1)
	v_rcp_iflag_f32_e32 v0, v0
	s_waitcnt_depctr 0xfff
	v_mul_f32_e32 v0, 0x4f7ffffe, v0
	v_cvt_u32_f32_e32 v0, v0
	s_delay_alu instid0(VALU_DEP_1) | instskip(NEXT) | instid1(VALU_DEP_1)
	v_mul_lo_u32 v1, v1, v0
	v_mul_hi_u32 v1, v0, v1
	s_delay_alu instid0(VALU_DEP_1) | instskip(NEXT) | instid1(VALU_DEP_1)
	v_add_nc_u32_e32 v4, v0, v1
	v_mad_u64_u32 v[0:1], null, s1, v4, 0
	v_mov_b32_e32 v0, 0
	scratch_store_b32 off, v0, s32 offset:424 ; 4-byte Folded Spill
	v_cmpx_ne_u64_e32 0, v[19:20]
	s_cbranch_execz .LBB249_3
; %bb.2:
	s_ashr_i32 s13, s12, 31
	s_delay_alu instid0(SALU_CYCLE_1) | instskip(NEXT) | instid1(SALU_CYCLE_1)
	s_lshl_b64 s[2:3], s[12:13], 2
	v_add_co_u32 v4, vcc_lo, v19, s2
	v_add_co_ci_u32_e32 v5, vcc_lo, s3, v20, vcc_lo
	flat_load_b32 v0, v[4:5]
	s_waitcnt vmcnt(0) lgkmcnt(0)
	scratch_store_b32 off, v0, s32 offset:424 ; 4-byte Folded Spill
.LBB249_3:
	s_or_b32 exec_lo, exec_lo, s0
	v_and_b32_e32 v42, 0x3ff, v31
	v_ashrrev_i32_e32 v0, 31, v2
	s_ashr_i32 s2, s12, 31
	s_lshl_b32 s6, s12, 7
	s_delay_alu instid0(VALU_DEP_2) | instskip(SKIP_2) | instid1(VALU_DEP_2)
	v_and_b32_e32 v2, 1, v42
	v_cmp_gt_u32_e64 s0, 64, v42
	v_lshlrev_b32_e32 v16, 2, v42
	s_and_saveexec_b32 s3, s0
	s_cbranch_execz .LBB249_5
; %bb.4:
	v_mul_lo_u32 v4, s16, v21
	s_ashr_i32 s7, s6, 31
	v_lshlrev_b32_e32 v12, 3, v42
	s_lshl_b64 s[4:5], s[6:7], 2
	s_delay_alu instid0(VALU_DEP_2) | instskip(NEXT) | instid1(VALU_DEP_1)
	v_ashrrev_i32_e32 v5, 31, v4
	v_lshlrev_b64 v[4:5], 2, v[4:5]
	s_delay_alu instid0(VALU_DEP_1) | instskip(NEXT) | instid1(VALU_DEP_2)
	v_add_co_u32 v4, vcc_lo, v6, v4
	v_add_co_ci_u32_e32 v5, vcc_lo, v7, v5, vcc_lo
	v_and_b32_e32 v6, 0xff8, v16
	s_delay_alu instid0(VALU_DEP_3) | instskip(NEXT) | instid1(VALU_DEP_3)
	v_add_co_u32 v4, vcc_lo, v4, s4
	v_add_co_ci_u32_e32 v5, vcc_lo, s5, v5, vcc_lo
	s_delay_alu instid0(VALU_DEP_3) | instskip(NEXT) | instid1(VALU_DEP_3)
	v_lshl_add_u32 v6, v2, 8, v6
	v_add_co_u32 v4, vcc_lo, v4, v12
	s_delay_alu instid0(VALU_DEP_3)
	v_add_co_ci_u32_e32 v5, vcc_lo, 0, v5, vcc_lo
	flat_load_b64 v[4:5], v[4:5]
	s_waitcnt vmcnt(0) lgkmcnt(0)
	ds_store_b64 v6, v[4:5]
.LBB249_5:
	s_or_b32 exec_lo, exec_lo, s3
	v_mul_lo_u32 v4, v1, v3
	v_add_nc_u32_e32 v7, 1, v1
	v_lshrrev_b32_e32 v53, 5, v42
	s_lshl_b32 s13, s14, 5
                                        ; implicit-def: $vgpr13
	s_delay_alu instid0(VALU_DEP_1) | instid1(SALU_CYCLE_1)
	v_or_b32_e32 v20, s13, v53
	s_delay_alu instid0(VALU_DEP_4) | instskip(SKIP_1) | instid1(VALU_DEP_1)
	v_sub_nc_u32_e32 v4, s1, v4
	s_add_i32 s1, s13, 32
	v_sub_nc_u32_e32 v12, v4, v3
	v_cmp_ge_u32_e32 vcc_lo, v4, v3
	s_delay_alu instid0(VALU_DEP_2) | instskip(NEXT) | instid1(VALU_DEP_1)
	v_dual_cndmask_b32 v4, v4, v12 :: v_dual_add_nc_u32 v5, 15, v30
	v_ashrrev_i32_e32 v6, 31, v5
	v_cndmask_b32_e32 v1, v1, v7, vcc_lo
	v_xor_b32_e32 v7, s2, v0
	v_mul_lo_u32 v0, s16, v18
	v_cmp_ge_u32_e32 vcc_lo, v4, v3
	v_lshrrev_b32_e32 v6, 28, v6
	v_mbcnt_lo_u32_b32 v12, -1, 0
                                        ; implicit-def: $sgpr2
	s_delay_alu instid0(VALU_DEP_2) | instskip(SKIP_1) | instid1(VALU_DEP_2)
	v_add_nc_u32_e32 v5, v5, v6
	v_add_nc_u32_e32 v6, 1, v1
	v_ashrrev_i32_e32 v17, 4, v5
	s_delay_alu instid0(VALU_DEP_2) | instskip(NEXT) | instid1(VALU_DEP_2)
	v_cndmask_b32_e32 v1, v1, v6, vcc_lo
	v_min_i32_e32 v4, s1, v17
	s_delay_alu instid0(VALU_DEP_2) | instskip(SKIP_1) | instid1(VALU_DEP_3)
	v_xor_b32_e32 v3, v1, v7
	v_ashrrev_i32_e32 v1, 31, v0
	v_cmp_ge_i32_e64 s1, v20, v4
	s_delay_alu instid0(VALU_DEP_3)
	v_sub_nc_u32_e32 v3, v3, v7
	scratch_store_b32 off, v4, s32 offset:324 ; 4-byte Folded Spill
	s_waitcnt lgkmcnt(0)
	s_waitcnt_vscnt null, 0x0
	s_barrier
	buffer_gl0_inv
	s_and_saveexec_b32 s3, s1
	s_delay_alu instid0(SALU_CYCLE_1)
	s_xor_b32 s3, exec_lo, s3
	s_cbranch_execz .LBB249_7
; %bb.6:
	v_mbcnt_lo_u32_b32 v12, -1, 0
	v_mov_b32_e32 v13, 32
                                        ; implicit-def: $vgpr2
	s_mov_b32 s2, 0xff7fffff
                                        ; kill: killed $vgpr2
                                        ; implicit-def: $vgpr2
                                        ; kill: killed $vgpr2
                                        ; implicit-def: $vgpr2
	scratch_store_b64 off, v[2:3], s32 offset:328 ; 8-byte Folded Spill
                                        ; implicit-def: $vgpr8
                                        ; implicit-def: $vgpr9
                                        ; implicit-def: $vgpr2
.LBB249_7:
	s_or_saveexec_b32 s21, s3
	s_clause 0x1
	s_load_b32 s22, s[8:9], 0x14
	s_load_b32 s7, s[8:9], 0x8
	v_mul_lo_u32 v54, v3, v23
	v_lshlrev_b64 v[18:19], 2, v[0:1]
	v_mov_b32_e32 v3, s2
	v_ashrrev_i32_e32 v21, 31, v20
	s_delay_alu instid0(VALU_DEP_4)
	v_ashrrev_i32_e32 v55, 31, v54
	s_xor_b32 exec_lo, exec_lo, s21
	s_cbranch_execz .LBB249_525
; %bb.8:
	v_lshlrev_b32_e32 v5, 8, v2
	v_add_co_u32 v0, vcc_lo, v8, v54
	s_clause 0xb
	scratch_store_b32 off, v17, s32 offset:488
	scratch_store_b32 off, v16, s32 offset:484
	;; [unrolled: 1-line block ×8, first 2 shown]
	scratch_store_b64 off, v[26:27], s32 offset:452
	scratch_store_b32 off, v52, s32 offset:432
	scratch_store_b32 off, v51, s32 offset:428
	;; [unrolled: 1-line block ×3, first 2 shown]
	v_add_co_ci_u32_e32 v1, vcc_lo, v9, v55, vcc_lo
	ds_load_b128 v[6:9], v5
	v_bfe_u32 v3, v42, 1, 4
	v_mov_b32_e32 v151, 0
	s_ashr_i32 s11, s10, 31
	s_getpc_b64 s[4:5]
	s_add_u32 s4, s4, llvm.amdgcn.dynlds.offset.table@rel32@lo+4
	s_addc_u32 s5, s5, llvm.amdgcn.dynlds.offset.table@rel32@hi+12
	s_lshl_b64 s[18:19], s[10:11], 2
	v_lshlrev_b32_e32 v4, 4, v3
	s_mov_b32 s8, 0
	s_add_u32 s18, s18, s4
	s_brev_b32 s9, 1
	s_addc_u32 s19, s19, s5
	v_add_co_u32 v0, vcc_lo, v0, v4
	v_add_co_ci_u32_e32 v1, vcc_lo, 0, v1, vcc_lo
	v_dual_mov_b32 v13, v20 :: v_dual_lshlrev_b32 v4, 2, v3
	s_mov_b32 s5, 0x7f800001
	scratch_store_b64 off, v[0:1], s32 offset:340 ; 8-byte Folded Spill
	v_lshlrev_b32_e32 v0, 1, v2
	s_waitcnt lgkmcnt(0)
	scratch_store_b128 off, v[6:9], s32 offset:352 ; 16-byte Folded Spill
	ds_load_b128 v[6:9], v5 offset:16
	s_mov_b32 s11, s8
	s_clause 0x1
	scratch_store_b32 off, v0, s32 offset:348
	scratch_store_b32 off, v54, s32 offset:500
	v_xor_b32_e32 v0, 1, v12
	s_delay_alu instid0(VALU_DEP_1)
	v_cmp_gt_i32_e32 vcc_lo, 32, v0
	v_cndmask_b32_e32 v0, v12, v0, vcc_lo
	v_cmp_eq_u32_e32 vcc_lo, 0, v2
	s_waitcnt lgkmcnt(0)
	scratch_store_b128 off, v[6:9], s32 offset:368 ; 16-byte Folded Spill
	ds_load_b128 v[6:9], v5 offset:32
	scratch_store_b32 off, v55, s32 offset:504 ; 4-byte Folded Spill
	v_lshlrev_b32_e32 v0, 2, v0
	s_waitcnt lgkmcnt(0)
	scratch_store_b128 off, v[6:9], s32 offset:384 ; 16-byte Folded Spill
	ds_load_b128 v[6:9], v5 offset:48
	s_waitcnt lgkmcnt(0)
	scratch_store_b128 off, v[6:9], s32 offset:400 ; 16-byte Folded Spill
	v_mov_b32_e32 v6, v53
	ds_load_b128 v[36:39], v5 offset:64
	ds_load_b128 v[48:51], v5 offset:80
	;; [unrolled: 1-line block ×4, first 2 shown]
	scratch_store_b32 off, v12, s32 offset:508 ; 4-byte Folded Spill
	ds_load_b128 v[68:71], v5 offset:128
	ds_load_b128 v[80:83], v5 offset:144
	;; [unrolled: 1-line block ×4, first 2 shown]
	scratch_store_b32 off, v0, s32 offset:416 ; 4-byte Folded Spill
	scratch_load_b32 v0, off, s32 offset:424 ; 4-byte Folded Reload
	ds_load_b128 v[100:103], v5 offset:192
	ds_load_b128 v[112:115], v5 offset:208
	;; [unrolled: 1-line block ×4, first 2 shown]
	v_lshlrev_b32_e32 v2, 4, v6
	v_lshl_or_b32 v31, v6, 6, v4
	s_delay_alu instid0(VALU_DEP_2) | instskip(SKIP_3) | instid1(VALU_DEP_1)
	v_add3_u32 v10, s20, v2, v3
	s_waitcnt vmcnt(0)
	v_cmp_neq_f32_e64 s2, 0, v0
	v_lshlrev_b64 v[0:1], 2, v[20:21]
	v_add_co_u32 v0, s3, v18, v0
	s_delay_alu instid0(VALU_DEP_1) | instskip(NEXT) | instid1(VALU_DEP_2)
	v_add_co_ci_u32_e64 v1, s3, v19, v1, s3
	v_add_co_u32 v146, s3, v14, v0
	s_delay_alu instid0(VALU_DEP_1)
	v_add_co_ci_u32_e64 v147, s3, v15, v1, s3
	v_mov_b32_e32 v0, 0xff7fffff
	s_clause 0x4
	scratch_store_b64 off, v[18:19], s32 offset:492
	scratch_store_b32 off, v14, s32 offset:448
	scratch_store_b32 off, v15, s32 offset:444
	;; [unrolled: 1-line block ×4, first 2 shown]
	s_branch .LBB249_10
.LBB249_9:                              ;   in Loop: Header=BB249_10 Depth=1
	s_or_b32 exec_lo, exec_lo, s4
	scratch_load_b32 v0, off, s32 offset:324 ; 4-byte Folded Reload
	v_add_nc_u32_e32 v13, 4, v13
	v_add_co_u32 v146, s4, v146, 16
	s_delay_alu instid0(VALU_DEP_1) | instskip(SKIP_4) | instid1(VALU_DEP_1)
	v_add_co_ci_u32_e64 v147, s4, 0, v147, s4
	v_add_nc_u32_e32 v10, 64, v10
	v_add_nc_u32_e32 v31, 0x100, v31
	s_waitcnt vmcnt(0)
	v_cmp_ge_i32_e64 s3, v13, v0
	s_or_b32 s11, s3, s11
	s_delay_alu instid0(SALU_CYCLE_1)
	s_and_not1_b32 exec_lo, exec_lo, s11
	s_cbranch_execz .LBB249_524
.LBB249_10:                             ; =>This Inner Loop Header: Depth=1
	flat_load_b32 v2, v[146:147]
	s_clause 0x1
	scratch_load_b32 v3, off, s32 offset:320
	scratch_load_b64 v[4:5], off, s32 offset:340
	s_mov_b32 s4, exec_lo
	s_waitcnt vmcnt(0) lgkmcnt(0)
	v_mad_i64_i32 v[0:1], null, v2, v3, v[4:5]
	scratch_load_b32 v2, off, s32 offset:348 ; 4-byte Folded Reload
	s_waitcnt vmcnt(0)
	v_add_co_u32 v176, s3, v0, v2
	s_delay_alu instid0(VALU_DEP_1)
	v_add_co_ci_u32_e64 v177, s3, 0, v1, s3
	flat_load_u16 v0, v[176:177]
	scratch_load_b64 v[1:2], off, s32 offset:328 ; 8-byte Folded Reload
	v_mov_b32_e32 v148, 0
	v_mov_b32_e32 v149, 0
	s_waitcnt vmcnt(0)
	flat_load_b32 v25, v[1:2]
	s_waitcnt lgkmcnt(1)
	v_and_b32_e32 v1, 0xff, v0
	v_and_b32_e32 v0, 0xffff, v0
	v_dual_mov_b32 v28, v148 :: v_dual_mov_b32 v29, v149
	s_delay_alu instid0(VALU_DEP_3)
	v_cmpx_ne_u16_e32 0, v1
	s_cbranch_execz .LBB249_18
; %bb.11:                               ;   in Loop: Header=BB249_10 Depth=1
	v_bfrev_b32_e32 v28, 1
	v_and_b32_e32 v1, 0xff, v0
	v_mov_b32_e32 v29, 0
	s_mov_b32 s23, exec_lo
	s_delay_alu instid0(VALU_DEP_2)
	v_cmpx_ne_u16_e32 0x80, v1
	s_cbranch_execz .LBB249_17
; %bb.12:                               ;   in Loop: Header=BB249_10 Depth=1
	v_mov_b32_e32 v28, 0x7f800001
	v_dual_mov_b32 v29, 0 :: v_dual_and_b32 v2, 0x7f, v0
	s_mov_b32 s24, exec_lo
	s_delay_alu instid0(VALU_DEP_1)
	v_cmpx_ne_u32_e32 0x7f, v2
	s_cbranch_execz .LBB249_16
; %bb.13:                               ;   in Loop: Header=BB249_10 Depth=1
	v_and_b32_e32 v150, 7, v0
	v_lshrrev_b32_e32 v1, 3, v2
	s_mov_b32 s25, exec_lo
	v_cmpx_gt_u32_e32 8, v2
; %bb.14:                               ;   in Loop: Header=BB249_10 Depth=1
	s_delay_alu instid0(VALU_DEP_3) | instskip(NEXT) | instid1(VALU_DEP_1)
	v_clz_i32_u32_e32 v1, v150
	v_min_u32_e32 v1, 32, v1
	s_delay_alu instid0(VALU_DEP_1) | instskip(SKIP_1) | instid1(VALU_DEP_2)
	v_subrev_nc_u32_e32 v2, 28, v1
	v_sub_nc_u32_e32 v1, 29, v1
	v_lshlrev_b64 v[2:3], v2, v[150:151]
	s_delay_alu instid0(VALU_DEP_1)
	v_and_b32_e32 v150, 7, v2
; %bb.15:                               ;   in Loop: Header=BB249_10 Depth=1
	s_or_b32 exec_lo, exec_lo, s25
	v_lshlrev_b32_e32 v2, 24, v0
	s_delay_alu instid0(VALU_DEP_2) | instskip(SKIP_1) | instid1(VALU_DEP_3)
	v_lshlrev_b32_e32 v3, 20, v150
	v_lshl_add_u32 v1, v1, 23, 0x3c000000
	v_and_b32_e32 v2, 0x80000000, v2
	s_delay_alu instid0(VALU_DEP_1) | instskip(NEXT) | instid1(VALU_DEP_1)
	v_or3_b32 v150, v3, v2, v1
	v_dual_mov_b32 v28, v150 :: v_dual_mov_b32 v29, v151
.LBB249_16:                             ;   in Loop: Header=BB249_10 Depth=1
	s_or_b32 exec_lo, exec_lo, s24
.LBB249_17:                             ;   in Loop: Header=BB249_10 Depth=1
	s_delay_alu instid0(SALU_CYCLE_1)
	s_or_b32 exec_lo, exec_lo, s23
.LBB249_18:                             ;   in Loop: Header=BB249_10 Depth=1
	s_delay_alu instid0(SALU_CYCLE_1) | instskip(SKIP_2) | instid1(VALU_DEP_1)
	s_or_b32 exec_lo, exec_lo, s4
	v_lshrrev_b16 v1, 8, v0
	s_mov_b32 s23, exec_lo
	v_cmpx_ne_u16_e32 0, v1
	s_cbranch_execz .LBB249_26
; %bb.19:                               ;   in Loop: Header=BB249_10 Depth=1
	v_dual_mov_b32 v149, s9 :: v_dual_mov_b32 v148, s8
	s_mov_b32 s24, exec_lo
	v_cmpx_ne_u16_e32 0x80, v1
	s_cbranch_execz .LBB249_25
; %bb.20:                               ;   in Loop: Header=BB249_10 Depth=1
	s_mov_b32 s4, s8
	v_and_b32_e32 v1, 0xffff, v1
	v_dual_mov_b32 v149, s5 :: v_dual_mov_b32 v148, s4
	s_mov_b32 s4, exec_lo
	s_delay_alu instid0(VALU_DEP_2) | instskip(NEXT) | instid1(VALU_DEP_1)
	v_and_b32_e32 v2, 0x7f, v1
	v_cmpx_ne_u32_e32 0x7f, v2
	s_cbranch_execz .LBB249_24
; %bb.21:                               ;   in Loop: Header=BB249_10 Depth=1
	v_and_b32_e32 v150, 7, v1
	v_lshrrev_b32_e32 v1, 3, v2
	s_mov_b32 s25, exec_lo
	v_cmpx_gt_u32_e32 8, v2
; %bb.22:                               ;   in Loop: Header=BB249_10 Depth=1
	s_delay_alu instid0(VALU_DEP_3) | instskip(NEXT) | instid1(VALU_DEP_1)
	v_clz_i32_u32_e32 v1, v150
	v_min_u32_e32 v1, 32, v1
	s_delay_alu instid0(VALU_DEP_1) | instskip(SKIP_1) | instid1(VALU_DEP_2)
	v_subrev_nc_u32_e32 v2, 28, v1
	v_sub_nc_u32_e32 v1, 29, v1
	v_lshlrev_b64 v[2:3], v2, v[150:151]
	s_delay_alu instid0(VALU_DEP_1)
	v_and_b32_e32 v150, 7, v2
; %bb.23:                               ;   in Loop: Header=BB249_10 Depth=1
	s_or_b32 exec_lo, exec_lo, s25
	v_lshlrev_b32_e32 v0, 16, v0
	s_delay_alu instid0(VALU_DEP_2) | instskip(SKIP_2) | instid1(VALU_DEP_4)
	v_lshlrev_b32_e32 v2, 20, v150
	v_lshl_add_u32 v1, v1, 23, 0x3c000000
	v_mov_b32_e32 v148, v151
	v_and_b32_e32 v0, 0x80000000, v0
	s_delay_alu instid0(VALU_DEP_1)
	v_or3_b32 v149, v2, v0, v1
.LBB249_24:                             ;   in Loop: Header=BB249_10 Depth=1
	s_or_b32 exec_lo, exec_lo, s4
.LBB249_25:                             ;   in Loop: Header=BB249_10 Depth=1
	s_delay_alu instid0(SALU_CYCLE_1)
	s_or_b32 exec_lo, exec_lo, s24
.LBB249_26:                             ;   in Loop: Header=BB249_10 Depth=1
	s_delay_alu instid0(SALU_CYCLE_1)
	s_or_b32 exec_lo, exec_lo, s23
	flat_load_u16 v0, v[176:177] offset:4
	v_mov_b32_e32 v160, 0
	v_mov_b32_e32 v161, 0
	s_mov_b32 s4, exec_lo
	s_waitcnt vmcnt(0) lgkmcnt(0)
	v_and_b32_e32 v1, 0xff, v0
	s_delay_alu instid0(VALU_DEP_2) | instskip(SKIP_1) | instid1(VALU_DEP_3)
	v_dual_mov_b32 v163, v161 :: v_dual_and_b32 v0, 0xffff, v0
	v_mov_b32_e32 v162, v160
	v_cmpx_ne_u16_e32 0, v1
	s_cbranch_execz .LBB249_34
; %bb.27:                               ;   in Loop: Header=BB249_10 Depth=1
	v_bfrev_b32_e32 v162, 1
	v_and_b32_e32 v1, 0xff, v0
	v_mov_b32_e32 v163, 0
	s_mov_b32 s23, exec_lo
	s_delay_alu instid0(VALU_DEP_2)
	v_cmpx_ne_u16_e32 0x80, v1
	s_cbranch_execz .LBB249_33
; %bb.28:                               ;   in Loop: Header=BB249_10 Depth=1
	v_mov_b32_e32 v162, 0x7f800001
	v_dual_mov_b32 v163, 0 :: v_dual_and_b32 v2, 0x7f, v0
	s_mov_b32 s24, exec_lo
	s_delay_alu instid0(VALU_DEP_1)
	v_cmpx_ne_u32_e32 0x7f, v2
	s_cbranch_execz .LBB249_32
; %bb.29:                               ;   in Loop: Header=BB249_10 Depth=1
	v_and_b32_e32 v150, 7, v0
	v_lshrrev_b32_e32 v1, 3, v2
	s_mov_b32 s25, exec_lo
	v_cmpx_gt_u32_e32 8, v2
; %bb.30:                               ;   in Loop: Header=BB249_10 Depth=1
	s_delay_alu instid0(VALU_DEP_3) | instskip(NEXT) | instid1(VALU_DEP_1)
	v_clz_i32_u32_e32 v1, v150
	v_min_u32_e32 v1, 32, v1
	s_delay_alu instid0(VALU_DEP_1) | instskip(SKIP_1) | instid1(VALU_DEP_2)
	v_subrev_nc_u32_e32 v2, 28, v1
	v_sub_nc_u32_e32 v1, 29, v1
	v_lshlrev_b64 v[2:3], v2, v[150:151]
	s_delay_alu instid0(VALU_DEP_1)
	v_and_b32_e32 v150, 7, v2
; %bb.31:                               ;   in Loop: Header=BB249_10 Depth=1
	s_or_b32 exec_lo, exec_lo, s25
	v_lshlrev_b32_e32 v2, 24, v0
	s_delay_alu instid0(VALU_DEP_2) | instskip(SKIP_1) | instid1(VALU_DEP_3)
	v_lshlrev_b32_e32 v3, 20, v150
	v_lshl_add_u32 v1, v1, 23, 0x3c000000
	v_and_b32_e32 v2, 0x80000000, v2
	s_delay_alu instid0(VALU_DEP_1) | instskip(NEXT) | instid1(VALU_DEP_1)
	v_or3_b32 v150, v3, v2, v1
	v_dual_mov_b32 v163, v151 :: v_dual_mov_b32 v162, v150
.LBB249_32:                             ;   in Loop: Header=BB249_10 Depth=1
	s_or_b32 exec_lo, exec_lo, s24
.LBB249_33:                             ;   in Loop: Header=BB249_10 Depth=1
	s_delay_alu instid0(SALU_CYCLE_1)
	s_or_b32 exec_lo, exec_lo, s23
.LBB249_34:                             ;   in Loop: Header=BB249_10 Depth=1
	s_delay_alu instid0(SALU_CYCLE_1) | instskip(SKIP_2) | instid1(VALU_DEP_1)
	s_or_b32 exec_lo, exec_lo, s4
	v_lshrrev_b16 v1, 8, v0
	s_mov_b32 s23, exec_lo
	v_cmpx_ne_u16_e32 0, v1
	s_cbranch_execz .LBB249_42
; %bb.35:                               ;   in Loop: Header=BB249_10 Depth=1
	v_dual_mov_b32 v161, s9 :: v_dual_mov_b32 v160, s8
	s_mov_b32 s24, exec_lo
	v_cmpx_ne_u16_e32 0x80, v1
	s_cbranch_execz .LBB249_41
; %bb.36:                               ;   in Loop: Header=BB249_10 Depth=1
	s_mov_b32 s4, s8
	v_and_b32_e32 v1, 0xffff, v1
	v_dual_mov_b32 v161, s5 :: v_dual_mov_b32 v160, s4
	s_mov_b32 s4, exec_lo
	s_delay_alu instid0(VALU_DEP_2) | instskip(NEXT) | instid1(VALU_DEP_1)
	v_and_b32_e32 v2, 0x7f, v1
	v_cmpx_ne_u32_e32 0x7f, v2
	s_cbranch_execz .LBB249_40
; %bb.37:                               ;   in Loop: Header=BB249_10 Depth=1
	v_and_b32_e32 v150, 7, v1
	v_lshrrev_b32_e32 v1, 3, v2
	s_mov_b32 s25, exec_lo
	v_cmpx_gt_u32_e32 8, v2
; %bb.38:                               ;   in Loop: Header=BB249_10 Depth=1
	s_delay_alu instid0(VALU_DEP_3) | instskip(NEXT) | instid1(VALU_DEP_1)
	v_clz_i32_u32_e32 v1, v150
	v_min_u32_e32 v1, 32, v1
	s_delay_alu instid0(VALU_DEP_1) | instskip(SKIP_1) | instid1(VALU_DEP_2)
	v_subrev_nc_u32_e32 v2, 28, v1
	v_sub_nc_u32_e32 v1, 29, v1
	v_lshlrev_b64 v[2:3], v2, v[150:151]
	s_delay_alu instid0(VALU_DEP_1)
	v_and_b32_e32 v150, 7, v2
; %bb.39:                               ;   in Loop: Header=BB249_10 Depth=1
	s_or_b32 exec_lo, exec_lo, s25
	v_lshlrev_b32_e32 v0, 16, v0
	s_delay_alu instid0(VALU_DEP_2) | instskip(SKIP_2) | instid1(VALU_DEP_4)
	v_lshlrev_b32_e32 v2, 20, v150
	v_lshl_add_u32 v1, v1, 23, 0x3c000000
	v_mov_b32_e32 v160, v151
	v_and_b32_e32 v0, 0x80000000, v0
	s_delay_alu instid0(VALU_DEP_1)
	v_or3_b32 v161, v2, v0, v1
.LBB249_40:                             ;   in Loop: Header=BB249_10 Depth=1
	s_or_b32 exec_lo, exec_lo, s4
.LBB249_41:                             ;   in Loop: Header=BB249_10 Depth=1
	s_delay_alu instid0(SALU_CYCLE_1)
	s_or_b32 exec_lo, exec_lo, s24
.LBB249_42:                             ;   in Loop: Header=BB249_10 Depth=1
	s_delay_alu instid0(SALU_CYCLE_1)
	s_or_b32 exec_lo, exec_lo, s23
	flat_load_u16 v0, v[176:177] offset:8
	v_mov_b32_e32 v164, 0
	v_mov_b32_e32 v165, 0
	s_mov_b32 s4, exec_lo
	s_waitcnt vmcnt(0) lgkmcnt(0)
	v_and_b32_e32 v1, 0xff, v0
	s_delay_alu instid0(VALU_DEP_2) | instskip(SKIP_1) | instid1(VALU_DEP_3)
	v_dual_mov_b32 v167, v165 :: v_dual_and_b32 v0, 0xffff, v0
	v_mov_b32_e32 v166, v164
	v_cmpx_ne_u16_e32 0, v1
	s_cbranch_execz .LBB249_50
; %bb.43:                               ;   in Loop: Header=BB249_10 Depth=1
	v_bfrev_b32_e32 v166, 1
	v_and_b32_e32 v1, 0xff, v0
	v_mov_b32_e32 v167, 0
	s_mov_b32 s23, exec_lo
	s_delay_alu instid0(VALU_DEP_2)
	v_cmpx_ne_u16_e32 0x80, v1
	s_cbranch_execz .LBB249_49
; %bb.44:                               ;   in Loop: Header=BB249_10 Depth=1
	v_mov_b32_e32 v166, 0x7f800001
	v_dual_mov_b32 v167, 0 :: v_dual_and_b32 v2, 0x7f, v0
	s_mov_b32 s24, exec_lo
	s_delay_alu instid0(VALU_DEP_1)
	v_cmpx_ne_u32_e32 0x7f, v2
	s_cbranch_execz .LBB249_48
; %bb.45:                               ;   in Loop: Header=BB249_10 Depth=1
	v_and_b32_e32 v150, 7, v0
	v_lshrrev_b32_e32 v1, 3, v2
	s_mov_b32 s25, exec_lo
	v_cmpx_gt_u32_e32 8, v2
; %bb.46:                               ;   in Loop: Header=BB249_10 Depth=1
	s_delay_alu instid0(VALU_DEP_3) | instskip(NEXT) | instid1(VALU_DEP_1)
	v_clz_i32_u32_e32 v1, v150
	v_min_u32_e32 v1, 32, v1
	s_delay_alu instid0(VALU_DEP_1) | instskip(SKIP_1) | instid1(VALU_DEP_2)
	v_subrev_nc_u32_e32 v2, 28, v1
	v_sub_nc_u32_e32 v1, 29, v1
	v_lshlrev_b64 v[2:3], v2, v[150:151]
	s_delay_alu instid0(VALU_DEP_1)
	v_and_b32_e32 v150, 7, v2
; %bb.47:                               ;   in Loop: Header=BB249_10 Depth=1
	s_or_b32 exec_lo, exec_lo, s25
	v_lshlrev_b32_e32 v2, 24, v0
	s_delay_alu instid0(VALU_DEP_2) | instskip(SKIP_1) | instid1(VALU_DEP_3)
	v_lshlrev_b32_e32 v3, 20, v150
	v_lshl_add_u32 v1, v1, 23, 0x3c000000
	v_and_b32_e32 v2, 0x80000000, v2
	s_delay_alu instid0(VALU_DEP_1) | instskip(NEXT) | instid1(VALU_DEP_1)
	v_or3_b32 v150, v3, v2, v1
	v_dual_mov_b32 v167, v151 :: v_dual_mov_b32 v166, v150
.LBB249_48:                             ;   in Loop: Header=BB249_10 Depth=1
	s_or_b32 exec_lo, exec_lo, s24
.LBB249_49:                             ;   in Loop: Header=BB249_10 Depth=1
	s_delay_alu instid0(SALU_CYCLE_1)
	s_or_b32 exec_lo, exec_lo, s23
.LBB249_50:                             ;   in Loop: Header=BB249_10 Depth=1
	s_delay_alu instid0(SALU_CYCLE_1) | instskip(SKIP_2) | instid1(VALU_DEP_1)
	s_or_b32 exec_lo, exec_lo, s4
	v_lshrrev_b16 v1, 8, v0
	s_mov_b32 s23, exec_lo
	v_cmpx_ne_u16_e32 0, v1
	s_cbranch_execz .LBB249_58
; %bb.51:                               ;   in Loop: Header=BB249_10 Depth=1
	v_dual_mov_b32 v165, s9 :: v_dual_mov_b32 v164, s8
	s_mov_b32 s24, exec_lo
	v_cmpx_ne_u16_e32 0x80, v1
	s_cbranch_execz .LBB249_57
; %bb.52:                               ;   in Loop: Header=BB249_10 Depth=1
	s_mov_b32 s4, s8
	v_and_b32_e32 v1, 0xffff, v1
	v_dual_mov_b32 v165, s5 :: v_dual_mov_b32 v164, s4
	s_mov_b32 s4, exec_lo
	s_delay_alu instid0(VALU_DEP_2) | instskip(NEXT) | instid1(VALU_DEP_1)
	v_and_b32_e32 v2, 0x7f, v1
	v_cmpx_ne_u32_e32 0x7f, v2
	s_cbranch_execz .LBB249_56
; %bb.53:                               ;   in Loop: Header=BB249_10 Depth=1
	v_and_b32_e32 v150, 7, v1
	v_lshrrev_b32_e32 v1, 3, v2
	s_mov_b32 s25, exec_lo
	v_cmpx_gt_u32_e32 8, v2
; %bb.54:                               ;   in Loop: Header=BB249_10 Depth=1
	s_delay_alu instid0(VALU_DEP_3) | instskip(NEXT) | instid1(VALU_DEP_1)
	v_clz_i32_u32_e32 v1, v150
	v_min_u32_e32 v1, 32, v1
	s_delay_alu instid0(VALU_DEP_1) | instskip(SKIP_1) | instid1(VALU_DEP_2)
	v_subrev_nc_u32_e32 v2, 28, v1
	v_sub_nc_u32_e32 v1, 29, v1
	v_lshlrev_b64 v[2:3], v2, v[150:151]
	s_delay_alu instid0(VALU_DEP_1)
	v_and_b32_e32 v150, 7, v2
; %bb.55:                               ;   in Loop: Header=BB249_10 Depth=1
	s_or_b32 exec_lo, exec_lo, s25
	v_lshlrev_b32_e32 v0, 16, v0
	s_delay_alu instid0(VALU_DEP_2) | instskip(SKIP_2) | instid1(VALU_DEP_4)
	v_lshlrev_b32_e32 v2, 20, v150
	v_lshl_add_u32 v1, v1, 23, 0x3c000000
	v_mov_b32_e32 v164, v151
	v_and_b32_e32 v0, 0x80000000, v0
	s_delay_alu instid0(VALU_DEP_1)
	v_or3_b32 v165, v2, v0, v1
.LBB249_56:                             ;   in Loop: Header=BB249_10 Depth=1
	s_or_b32 exec_lo, exec_lo, s4
.LBB249_57:                             ;   in Loop: Header=BB249_10 Depth=1
	s_delay_alu instid0(SALU_CYCLE_1)
	s_or_b32 exec_lo, exec_lo, s24
.LBB249_58:                             ;   in Loop: Header=BB249_10 Depth=1
	s_delay_alu instid0(SALU_CYCLE_1)
	s_or_b32 exec_lo, exec_lo, s23
	flat_load_u16 v0, v[176:177] offset:12
	v_mov_b32_e32 v178, 0
	v_mov_b32_e32 v179, 0
	s_mov_b32 s4, exec_lo
	s_waitcnt vmcnt(0) lgkmcnt(0)
	v_and_b32_e32 v1, 0xff, v0
	s_delay_alu instid0(VALU_DEP_2) | instskip(SKIP_1) | instid1(VALU_DEP_3)
	v_dual_mov_b32 v181, v179 :: v_dual_and_b32 v0, 0xffff, v0
	v_mov_b32_e32 v180, v178
	v_cmpx_ne_u16_e32 0, v1
	s_cbranch_execz .LBB249_66
; %bb.59:                               ;   in Loop: Header=BB249_10 Depth=1
	v_bfrev_b32_e32 v180, 1
	v_and_b32_e32 v1, 0xff, v0
	v_mov_b32_e32 v181, 0
	s_mov_b32 s23, exec_lo
	s_delay_alu instid0(VALU_DEP_2)
	v_cmpx_ne_u16_e32 0x80, v1
	s_cbranch_execz .LBB249_65
; %bb.60:                               ;   in Loop: Header=BB249_10 Depth=1
	v_mov_b32_e32 v180, 0x7f800001
	v_dual_mov_b32 v181, 0 :: v_dual_and_b32 v2, 0x7f, v0
	s_mov_b32 s24, exec_lo
	s_delay_alu instid0(VALU_DEP_1)
	v_cmpx_ne_u32_e32 0x7f, v2
	s_cbranch_execz .LBB249_64
; %bb.61:                               ;   in Loop: Header=BB249_10 Depth=1
	v_and_b32_e32 v150, 7, v0
	v_lshrrev_b32_e32 v1, 3, v2
	s_mov_b32 s25, exec_lo
	v_cmpx_gt_u32_e32 8, v2
; %bb.62:                               ;   in Loop: Header=BB249_10 Depth=1
	s_delay_alu instid0(VALU_DEP_3) | instskip(NEXT) | instid1(VALU_DEP_1)
	v_clz_i32_u32_e32 v1, v150
	v_min_u32_e32 v1, 32, v1
	s_delay_alu instid0(VALU_DEP_1) | instskip(SKIP_1) | instid1(VALU_DEP_2)
	v_subrev_nc_u32_e32 v2, 28, v1
	v_sub_nc_u32_e32 v1, 29, v1
	v_lshlrev_b64 v[2:3], v2, v[150:151]
	s_delay_alu instid0(VALU_DEP_1)
	v_and_b32_e32 v150, 7, v2
; %bb.63:                               ;   in Loop: Header=BB249_10 Depth=1
	s_or_b32 exec_lo, exec_lo, s25
	v_lshlrev_b32_e32 v2, 24, v0
	s_delay_alu instid0(VALU_DEP_2) | instskip(SKIP_1) | instid1(VALU_DEP_3)
	v_lshlrev_b32_e32 v3, 20, v150
	v_lshl_add_u32 v1, v1, 23, 0x3c000000
	v_and_b32_e32 v2, 0x80000000, v2
	s_delay_alu instid0(VALU_DEP_1) | instskip(NEXT) | instid1(VALU_DEP_1)
	v_or3_b32 v150, v3, v2, v1
	v_dual_mov_b32 v181, v151 :: v_dual_mov_b32 v180, v150
.LBB249_64:                             ;   in Loop: Header=BB249_10 Depth=1
	s_or_b32 exec_lo, exec_lo, s24
.LBB249_65:                             ;   in Loop: Header=BB249_10 Depth=1
	s_delay_alu instid0(SALU_CYCLE_1)
	s_or_b32 exec_lo, exec_lo, s23
.LBB249_66:                             ;   in Loop: Header=BB249_10 Depth=1
	s_delay_alu instid0(SALU_CYCLE_1) | instskip(SKIP_2) | instid1(VALU_DEP_1)
	s_or_b32 exec_lo, exec_lo, s4
	v_lshrrev_b16 v1, 8, v0
	s_mov_b32 s23, exec_lo
	v_cmpx_ne_u16_e32 0, v1
	s_cbranch_execz .LBB249_74
; %bb.67:                               ;   in Loop: Header=BB249_10 Depth=1
	v_dual_mov_b32 v179, s9 :: v_dual_mov_b32 v178, s8
	s_mov_b32 s24, exec_lo
	v_cmpx_ne_u16_e32 0x80, v1
	s_cbranch_execz .LBB249_73
; %bb.68:                               ;   in Loop: Header=BB249_10 Depth=1
	s_mov_b32 s4, s8
	v_and_b32_e32 v1, 0xffff, v1
	v_dual_mov_b32 v179, s5 :: v_dual_mov_b32 v178, s4
	s_mov_b32 s4, exec_lo
	s_delay_alu instid0(VALU_DEP_2) | instskip(NEXT) | instid1(VALU_DEP_1)
	v_and_b32_e32 v2, 0x7f, v1
	v_cmpx_ne_u32_e32 0x7f, v2
	s_cbranch_execz .LBB249_72
; %bb.69:                               ;   in Loop: Header=BB249_10 Depth=1
	v_and_b32_e32 v150, 7, v1
	v_lshrrev_b32_e32 v1, 3, v2
	s_mov_b32 s25, exec_lo
	v_cmpx_gt_u32_e32 8, v2
; %bb.70:                               ;   in Loop: Header=BB249_10 Depth=1
	s_delay_alu instid0(VALU_DEP_3) | instskip(NEXT) | instid1(VALU_DEP_1)
	v_clz_i32_u32_e32 v1, v150
	v_min_u32_e32 v1, 32, v1
	s_delay_alu instid0(VALU_DEP_1) | instskip(SKIP_1) | instid1(VALU_DEP_2)
	v_subrev_nc_u32_e32 v2, 28, v1
	v_sub_nc_u32_e32 v1, 29, v1
	v_lshlrev_b64 v[2:3], v2, v[150:151]
	s_delay_alu instid0(VALU_DEP_1)
	v_and_b32_e32 v150, 7, v2
; %bb.71:                               ;   in Loop: Header=BB249_10 Depth=1
	s_or_b32 exec_lo, exec_lo, s25
	v_lshlrev_b32_e32 v0, 16, v0
	s_delay_alu instid0(VALU_DEP_2) | instskip(SKIP_2) | instid1(VALU_DEP_4)
	v_lshlrev_b32_e32 v2, 20, v150
	v_lshl_add_u32 v1, v1, 23, 0x3c000000
	v_mov_b32_e32 v178, v151
	v_and_b32_e32 v0, 0x80000000, v0
	s_delay_alu instid0(VALU_DEP_1)
	v_or3_b32 v179, v2, v0, v1
.LBB249_72:                             ;   in Loop: Header=BB249_10 Depth=1
	s_or_b32 exec_lo, exec_lo, s4
.LBB249_73:                             ;   in Loop: Header=BB249_10 Depth=1
	s_delay_alu instid0(SALU_CYCLE_1)
	s_or_b32 exec_lo, exec_lo, s24
.LBB249_74:                             ;   in Loop: Header=BB249_10 Depth=1
	s_delay_alu instid0(SALU_CYCLE_1)
	s_or_b32 exec_lo, exec_lo, s23
	flat_load_u16 v0, v[176:177] offset:256
	v_mov_b32_e32 v182, 0
	v_mov_b32_e32 v183, 0
	s_mov_b32 s4, exec_lo
	s_waitcnt vmcnt(0) lgkmcnt(0)
	v_and_b32_e32 v1, 0xff, v0
	v_and_b32_e32 v0, 0xffff, v0
	v_dual_mov_b32 v40, v182 :: v_dual_mov_b32 v41, v183
	s_delay_alu instid0(VALU_DEP_3)
	v_cmpx_ne_u16_e32 0, v1
	s_cbranch_execz .LBB249_82
; %bb.75:                               ;   in Loop: Header=BB249_10 Depth=1
	v_bfrev_b32_e32 v40, 1
	v_and_b32_e32 v1, 0xff, v0
	v_mov_b32_e32 v41, 0
	s_mov_b32 s23, exec_lo
	s_delay_alu instid0(VALU_DEP_2)
	v_cmpx_ne_u16_e32 0x80, v1
	s_cbranch_execz .LBB249_81
; %bb.76:                               ;   in Loop: Header=BB249_10 Depth=1
	v_mov_b32_e32 v40, 0x7f800001
	v_dual_mov_b32 v41, 0 :: v_dual_and_b32 v2, 0x7f, v0
	s_mov_b32 s24, exec_lo
	s_delay_alu instid0(VALU_DEP_1)
	v_cmpx_ne_u32_e32 0x7f, v2
	s_cbranch_execz .LBB249_80
; %bb.77:                               ;   in Loop: Header=BB249_10 Depth=1
	v_and_b32_e32 v150, 7, v0
	v_lshrrev_b32_e32 v1, 3, v2
	s_mov_b32 s25, exec_lo
	v_cmpx_gt_u32_e32 8, v2
; %bb.78:                               ;   in Loop: Header=BB249_10 Depth=1
	s_delay_alu instid0(VALU_DEP_3) | instskip(NEXT) | instid1(VALU_DEP_1)
	v_clz_i32_u32_e32 v1, v150
	v_min_u32_e32 v1, 32, v1
	s_delay_alu instid0(VALU_DEP_1) | instskip(SKIP_1) | instid1(VALU_DEP_2)
	v_subrev_nc_u32_e32 v2, 28, v1
	v_sub_nc_u32_e32 v1, 29, v1
	v_lshlrev_b64 v[2:3], v2, v[150:151]
	s_delay_alu instid0(VALU_DEP_1)
	v_and_b32_e32 v150, 7, v2
; %bb.79:                               ;   in Loop: Header=BB249_10 Depth=1
	s_or_b32 exec_lo, exec_lo, s25
	v_lshlrev_b32_e32 v2, 24, v0
	s_delay_alu instid0(VALU_DEP_2) | instskip(SKIP_1) | instid1(VALU_DEP_3)
	v_lshlrev_b32_e32 v3, 20, v150
	v_lshl_add_u32 v1, v1, 23, 0x3c000000
	v_and_b32_e32 v2, 0x80000000, v2
	s_delay_alu instid0(VALU_DEP_1) | instskip(NEXT) | instid1(VALU_DEP_1)
	v_or3_b32 v150, v3, v2, v1
	v_dual_mov_b32 v40, v150 :: v_dual_mov_b32 v41, v151
.LBB249_80:                             ;   in Loop: Header=BB249_10 Depth=1
	s_or_b32 exec_lo, exec_lo, s24
.LBB249_81:                             ;   in Loop: Header=BB249_10 Depth=1
	s_delay_alu instid0(SALU_CYCLE_1)
	s_or_b32 exec_lo, exec_lo, s23
.LBB249_82:                             ;   in Loop: Header=BB249_10 Depth=1
	s_delay_alu instid0(SALU_CYCLE_1) | instskip(SKIP_2) | instid1(VALU_DEP_1)
	s_or_b32 exec_lo, exec_lo, s4
	v_lshrrev_b16 v1, 8, v0
	s_mov_b32 s23, exec_lo
	v_cmpx_ne_u16_e32 0, v1
	s_cbranch_execz .LBB249_90
; %bb.83:                               ;   in Loop: Header=BB249_10 Depth=1
	v_dual_mov_b32 v183, s9 :: v_dual_mov_b32 v182, s8
	s_mov_b32 s24, exec_lo
	v_cmpx_ne_u16_e32 0x80, v1
	s_cbranch_execz .LBB249_89
; %bb.84:                               ;   in Loop: Header=BB249_10 Depth=1
	s_mov_b32 s4, s8
	v_and_b32_e32 v1, 0xffff, v1
	v_dual_mov_b32 v183, s5 :: v_dual_mov_b32 v182, s4
	s_mov_b32 s4, exec_lo
	s_delay_alu instid0(VALU_DEP_2) | instskip(NEXT) | instid1(VALU_DEP_1)
	v_and_b32_e32 v2, 0x7f, v1
	v_cmpx_ne_u32_e32 0x7f, v2
	s_cbranch_execz .LBB249_88
; %bb.85:                               ;   in Loop: Header=BB249_10 Depth=1
	v_and_b32_e32 v150, 7, v1
	v_lshrrev_b32_e32 v1, 3, v2
	s_mov_b32 s25, exec_lo
	v_cmpx_gt_u32_e32 8, v2
; %bb.86:                               ;   in Loop: Header=BB249_10 Depth=1
	s_delay_alu instid0(VALU_DEP_3) | instskip(NEXT) | instid1(VALU_DEP_1)
	v_clz_i32_u32_e32 v1, v150
	v_min_u32_e32 v1, 32, v1
	s_delay_alu instid0(VALU_DEP_1) | instskip(SKIP_1) | instid1(VALU_DEP_2)
	v_subrev_nc_u32_e32 v2, 28, v1
	v_sub_nc_u32_e32 v1, 29, v1
	v_lshlrev_b64 v[2:3], v2, v[150:151]
	s_delay_alu instid0(VALU_DEP_1)
	v_and_b32_e32 v150, 7, v2
; %bb.87:                               ;   in Loop: Header=BB249_10 Depth=1
	s_or_b32 exec_lo, exec_lo, s25
	v_lshlrev_b32_e32 v0, 16, v0
	s_delay_alu instid0(VALU_DEP_2) | instskip(SKIP_2) | instid1(VALU_DEP_4)
	v_lshlrev_b32_e32 v2, 20, v150
	v_lshl_add_u32 v1, v1, 23, 0x3c000000
	v_mov_b32_e32 v182, v151
	v_and_b32_e32 v0, 0x80000000, v0
	s_delay_alu instid0(VALU_DEP_1)
	v_or3_b32 v183, v2, v0, v1
.LBB249_88:                             ;   in Loop: Header=BB249_10 Depth=1
	s_or_b32 exec_lo, exec_lo, s4
.LBB249_89:                             ;   in Loop: Header=BB249_10 Depth=1
	s_delay_alu instid0(SALU_CYCLE_1)
	s_or_b32 exec_lo, exec_lo, s24
.LBB249_90:                             ;   in Loop: Header=BB249_10 Depth=1
	s_delay_alu instid0(SALU_CYCLE_1)
	s_or_b32 exec_lo, exec_lo, s23
	flat_load_u16 v0, v[176:177] offset:260
	v_mov_b32_e32 v42, 0
	v_mov_b32_e32 v43, 0
	s_mov_b32 s4, exec_lo
	s_waitcnt vmcnt(0) lgkmcnt(0)
	v_and_b32_e32 v1, 0xff, v0
	s_delay_alu instid0(VALU_DEP_2) | instskip(SKIP_1) | instid1(VALU_DEP_3)
	v_dual_mov_b32 v45, v43 :: v_dual_and_b32 v0, 0xffff, v0
	v_mov_b32_e32 v44, v42
	v_cmpx_ne_u16_e32 0, v1
	s_cbranch_execz .LBB249_98
; %bb.91:                               ;   in Loop: Header=BB249_10 Depth=1
	v_bfrev_b32_e32 v44, 1
	v_and_b32_e32 v1, 0xff, v0
	v_mov_b32_e32 v45, 0
	s_mov_b32 s23, exec_lo
	s_delay_alu instid0(VALU_DEP_2)
	v_cmpx_ne_u16_e32 0x80, v1
	s_cbranch_execz .LBB249_97
; %bb.92:                               ;   in Loop: Header=BB249_10 Depth=1
	v_mov_b32_e32 v44, 0x7f800001
	v_dual_mov_b32 v45, 0 :: v_dual_and_b32 v2, 0x7f, v0
	s_mov_b32 s24, exec_lo
	s_delay_alu instid0(VALU_DEP_1)
	v_cmpx_ne_u32_e32 0x7f, v2
	s_cbranch_execz .LBB249_96
; %bb.93:                               ;   in Loop: Header=BB249_10 Depth=1
	v_and_b32_e32 v150, 7, v0
	v_lshrrev_b32_e32 v1, 3, v2
	s_mov_b32 s25, exec_lo
	v_cmpx_gt_u32_e32 8, v2
; %bb.94:                               ;   in Loop: Header=BB249_10 Depth=1
	s_delay_alu instid0(VALU_DEP_3) | instskip(NEXT) | instid1(VALU_DEP_1)
	v_clz_i32_u32_e32 v1, v150
	v_min_u32_e32 v1, 32, v1
	s_delay_alu instid0(VALU_DEP_1) | instskip(SKIP_1) | instid1(VALU_DEP_2)
	v_subrev_nc_u32_e32 v2, 28, v1
	v_sub_nc_u32_e32 v1, 29, v1
	v_lshlrev_b64 v[2:3], v2, v[150:151]
	s_delay_alu instid0(VALU_DEP_1)
	v_and_b32_e32 v150, 7, v2
; %bb.95:                               ;   in Loop: Header=BB249_10 Depth=1
	s_or_b32 exec_lo, exec_lo, s25
	v_lshlrev_b32_e32 v2, 24, v0
	s_delay_alu instid0(VALU_DEP_2) | instskip(SKIP_1) | instid1(VALU_DEP_3)
	v_lshlrev_b32_e32 v3, 20, v150
	v_lshl_add_u32 v1, v1, 23, 0x3c000000
	v_and_b32_e32 v2, 0x80000000, v2
	s_delay_alu instid0(VALU_DEP_1) | instskip(NEXT) | instid1(VALU_DEP_1)
	v_or3_b32 v150, v3, v2, v1
	v_dual_mov_b32 v44, v150 :: v_dual_mov_b32 v45, v151
.LBB249_96:                             ;   in Loop: Header=BB249_10 Depth=1
	s_or_b32 exec_lo, exec_lo, s24
.LBB249_97:                             ;   in Loop: Header=BB249_10 Depth=1
	s_delay_alu instid0(SALU_CYCLE_1)
	s_or_b32 exec_lo, exec_lo, s23
.LBB249_98:                             ;   in Loop: Header=BB249_10 Depth=1
	s_delay_alu instid0(SALU_CYCLE_1) | instskip(SKIP_2) | instid1(VALU_DEP_1)
	s_or_b32 exec_lo, exec_lo, s4
	v_lshrrev_b16 v1, 8, v0
	s_mov_b32 s23, exec_lo
	v_cmpx_ne_u16_e32 0, v1
	s_cbranch_execz .LBB249_106
; %bb.99:                               ;   in Loop: Header=BB249_10 Depth=1
	v_dual_mov_b32 v43, s9 :: v_dual_mov_b32 v42, s8
	s_mov_b32 s24, exec_lo
	v_cmpx_ne_u16_e32 0x80, v1
	s_cbranch_execz .LBB249_105
; %bb.100:                              ;   in Loop: Header=BB249_10 Depth=1
	s_mov_b32 s4, s8
	v_and_b32_e32 v1, 0xffff, v1
	v_dual_mov_b32 v43, s5 :: v_dual_mov_b32 v42, s4
	s_mov_b32 s4, exec_lo
	s_delay_alu instid0(VALU_DEP_2) | instskip(NEXT) | instid1(VALU_DEP_1)
	v_and_b32_e32 v2, 0x7f, v1
	v_cmpx_ne_u32_e32 0x7f, v2
	s_cbranch_execz .LBB249_104
; %bb.101:                              ;   in Loop: Header=BB249_10 Depth=1
	v_and_b32_e32 v150, 7, v1
	v_lshrrev_b32_e32 v1, 3, v2
	s_mov_b32 s25, exec_lo
	v_cmpx_gt_u32_e32 8, v2
; %bb.102:                              ;   in Loop: Header=BB249_10 Depth=1
	s_delay_alu instid0(VALU_DEP_3) | instskip(NEXT) | instid1(VALU_DEP_1)
	v_clz_i32_u32_e32 v1, v150
	v_min_u32_e32 v1, 32, v1
	s_delay_alu instid0(VALU_DEP_1) | instskip(SKIP_1) | instid1(VALU_DEP_2)
	v_subrev_nc_u32_e32 v2, 28, v1
	v_sub_nc_u32_e32 v1, 29, v1
	v_lshlrev_b64 v[2:3], v2, v[150:151]
	s_delay_alu instid0(VALU_DEP_1)
	v_and_b32_e32 v150, 7, v2
; %bb.103:                              ;   in Loop: Header=BB249_10 Depth=1
	s_or_b32 exec_lo, exec_lo, s25
	v_lshlrev_b32_e32 v0, 16, v0
	s_delay_alu instid0(VALU_DEP_2) | instskip(SKIP_2) | instid1(VALU_DEP_4)
	v_lshlrev_b32_e32 v2, 20, v150
	v_lshl_add_u32 v1, v1, 23, 0x3c000000
	v_mov_b32_e32 v42, v151
	v_and_b32_e32 v0, 0x80000000, v0
	s_delay_alu instid0(VALU_DEP_1)
	v_or3_b32 v43, v2, v0, v1
.LBB249_104:                            ;   in Loop: Header=BB249_10 Depth=1
	s_or_b32 exec_lo, exec_lo, s4
.LBB249_105:                            ;   in Loop: Header=BB249_10 Depth=1
	s_delay_alu instid0(SALU_CYCLE_1)
	s_or_b32 exec_lo, exec_lo, s24
.LBB249_106:                            ;   in Loop: Header=BB249_10 Depth=1
	s_delay_alu instid0(SALU_CYCLE_1) | instskip(SKIP_1) | instid1(VALU_DEP_1)
	s_or_b32 exec_lo, exec_lo, s23
	v_add_co_u32 v0, s3, 0x100, v176
	v_add_co_ci_u32_e64 v1, s3, 0, v177, s3
	s_mov_b32 s4, exec_lo
	flat_load_u16 v2, v[0:1] offset:8
	v_mov_b32_e32 v46, 0
	v_mov_b32_e32 v47, 0
	s_waitcnt vmcnt(0) lgkmcnt(0)
	v_and_b32_e32 v3, 0xff, v2
	s_delay_alu instid0(VALU_DEP_2) | instskip(SKIP_1) | instid1(VALU_DEP_3)
	v_dual_mov_b32 v57, v47 :: v_dual_and_b32 v2, 0xffff, v2
	v_mov_b32_e32 v56, v46
	v_cmpx_ne_u16_e32 0, v3
	s_cbranch_execz .LBB249_114
; %bb.107:                              ;   in Loop: Header=BB249_10 Depth=1
	v_bfrev_b32_e32 v56, 1
	v_and_b32_e32 v3, 0xff, v2
	v_mov_b32_e32 v57, 0
	s_mov_b32 s23, exec_lo
	s_delay_alu instid0(VALU_DEP_2)
	v_cmpx_ne_u16_e32 0x80, v3
	s_cbranch_execz .LBB249_113
; %bb.108:                              ;   in Loop: Header=BB249_10 Depth=1
	v_mov_b32_e32 v56, 0x7f800001
	v_dual_mov_b32 v57, 0 :: v_dual_and_b32 v4, 0x7f, v2
	s_mov_b32 s24, exec_lo
	s_delay_alu instid0(VALU_DEP_1)
	v_cmpx_ne_u32_e32 0x7f, v4
	s_cbranch_execz .LBB249_112
; %bb.109:                              ;   in Loop: Header=BB249_10 Depth=1
	v_and_b32_e32 v150, 7, v2
	v_lshrrev_b32_e32 v3, 3, v4
	s_mov_b32 s25, exec_lo
	v_cmpx_gt_u32_e32 8, v4
; %bb.110:                              ;   in Loop: Header=BB249_10 Depth=1
	s_delay_alu instid0(VALU_DEP_3) | instskip(NEXT) | instid1(VALU_DEP_1)
	v_clz_i32_u32_e32 v3, v150
	v_min_u32_e32 v3, 32, v3
	s_delay_alu instid0(VALU_DEP_1) | instskip(SKIP_1) | instid1(VALU_DEP_2)
	v_subrev_nc_u32_e32 v4, 28, v3
	v_sub_nc_u32_e32 v3, 29, v3
	v_lshlrev_b64 v[4:5], v4, v[150:151]
	s_delay_alu instid0(VALU_DEP_1)
	v_and_b32_e32 v150, 7, v4
; %bb.111:                              ;   in Loop: Header=BB249_10 Depth=1
	s_or_b32 exec_lo, exec_lo, s25
	v_lshlrev_b32_e32 v4, 24, v2
	s_delay_alu instid0(VALU_DEP_2) | instskip(SKIP_1) | instid1(VALU_DEP_3)
	v_lshlrev_b32_e32 v5, 20, v150
	v_lshl_add_u32 v3, v3, 23, 0x3c000000
	v_and_b32_e32 v4, 0x80000000, v4
	s_delay_alu instid0(VALU_DEP_1) | instskip(NEXT) | instid1(VALU_DEP_1)
	v_or3_b32 v150, v5, v4, v3
	v_dual_mov_b32 v56, v150 :: v_dual_mov_b32 v57, v151
.LBB249_112:                            ;   in Loop: Header=BB249_10 Depth=1
	s_or_b32 exec_lo, exec_lo, s24
.LBB249_113:                            ;   in Loop: Header=BB249_10 Depth=1
	s_delay_alu instid0(SALU_CYCLE_1)
	s_or_b32 exec_lo, exec_lo, s23
.LBB249_114:                            ;   in Loop: Header=BB249_10 Depth=1
	s_delay_alu instid0(SALU_CYCLE_1) | instskip(SKIP_2) | instid1(VALU_DEP_1)
	s_or_b32 exec_lo, exec_lo, s4
	v_lshrrev_b16 v3, 8, v2
	s_mov_b32 s23, exec_lo
	v_cmpx_ne_u16_e32 0, v3
	s_cbranch_execz .LBB249_122
; %bb.115:                              ;   in Loop: Header=BB249_10 Depth=1
	v_dual_mov_b32 v47, s9 :: v_dual_mov_b32 v46, s8
	s_mov_b32 s24, exec_lo
	v_cmpx_ne_u16_e32 0x80, v3
	s_cbranch_execz .LBB249_121
; %bb.116:                              ;   in Loop: Header=BB249_10 Depth=1
	s_mov_b32 s4, s8
	v_and_b32_e32 v3, 0xffff, v3
	v_dual_mov_b32 v47, s5 :: v_dual_mov_b32 v46, s4
	s_mov_b32 s4, exec_lo
	s_delay_alu instid0(VALU_DEP_2) | instskip(NEXT) | instid1(VALU_DEP_1)
	v_and_b32_e32 v4, 0x7f, v3
	v_cmpx_ne_u32_e32 0x7f, v4
	s_cbranch_execz .LBB249_120
; %bb.117:                              ;   in Loop: Header=BB249_10 Depth=1
	v_and_b32_e32 v150, 7, v3
	v_lshrrev_b32_e32 v3, 3, v4
	s_mov_b32 s25, exec_lo
	v_cmpx_gt_u32_e32 8, v4
; %bb.118:                              ;   in Loop: Header=BB249_10 Depth=1
	s_delay_alu instid0(VALU_DEP_3) | instskip(NEXT) | instid1(VALU_DEP_1)
	v_clz_i32_u32_e32 v3, v150
	v_min_u32_e32 v3, 32, v3
	s_delay_alu instid0(VALU_DEP_1) | instskip(SKIP_1) | instid1(VALU_DEP_2)
	v_subrev_nc_u32_e32 v4, 28, v3
	v_sub_nc_u32_e32 v3, 29, v3
	v_lshlrev_b64 v[4:5], v4, v[150:151]
	s_delay_alu instid0(VALU_DEP_1)
	v_and_b32_e32 v150, 7, v4
; %bb.119:                              ;   in Loop: Header=BB249_10 Depth=1
	s_or_b32 exec_lo, exec_lo, s25
	v_lshlrev_b32_e32 v2, 16, v2
	s_delay_alu instid0(VALU_DEP_2) | instskip(SKIP_2) | instid1(VALU_DEP_4)
	v_lshlrev_b32_e32 v4, 20, v150
	v_lshl_add_u32 v3, v3, 23, 0x3c000000
	v_mov_b32_e32 v46, v151
	v_and_b32_e32 v2, 0x80000000, v2
	s_delay_alu instid0(VALU_DEP_1)
	v_or3_b32 v47, v4, v2, v3
.LBB249_120:                            ;   in Loop: Header=BB249_10 Depth=1
	s_or_b32 exec_lo, exec_lo, s4
.LBB249_121:                            ;   in Loop: Header=BB249_10 Depth=1
	s_delay_alu instid0(SALU_CYCLE_1)
	s_or_b32 exec_lo, exec_lo, s24
.LBB249_122:                            ;   in Loop: Header=BB249_10 Depth=1
	s_delay_alu instid0(SALU_CYCLE_1)
	s_or_b32 exec_lo, exec_lo, s23
	flat_load_u16 v0, v[0:1] offset:12
	v_mov_b32_e32 v58, 0
	v_mov_b32_e32 v59, 0
	s_mov_b32 s4, exec_lo
	s_waitcnt vmcnt(0) lgkmcnt(0)
	v_and_b32_e32 v1, 0xff, v0
	s_delay_alu instid0(VALU_DEP_2) | instskip(SKIP_1) | instid1(VALU_DEP_3)
	v_dual_mov_b32 v61, v59 :: v_dual_and_b32 v0, 0xffff, v0
	v_mov_b32_e32 v60, v58
	v_cmpx_ne_u16_e32 0, v1
	s_cbranch_execz .LBB249_130
; %bb.123:                              ;   in Loop: Header=BB249_10 Depth=1
	v_bfrev_b32_e32 v60, 1
	v_and_b32_e32 v1, 0xff, v0
	v_mov_b32_e32 v61, 0
	s_mov_b32 s23, exec_lo
	s_delay_alu instid0(VALU_DEP_2)
	v_cmpx_ne_u16_e32 0x80, v1
	s_cbranch_execz .LBB249_129
; %bb.124:                              ;   in Loop: Header=BB249_10 Depth=1
	v_mov_b32_e32 v60, 0x7f800001
	v_dual_mov_b32 v61, 0 :: v_dual_and_b32 v2, 0x7f, v0
	s_mov_b32 s24, exec_lo
	s_delay_alu instid0(VALU_DEP_1)
	v_cmpx_ne_u32_e32 0x7f, v2
	s_cbranch_execz .LBB249_128
; %bb.125:                              ;   in Loop: Header=BB249_10 Depth=1
	v_and_b32_e32 v150, 7, v0
	v_lshrrev_b32_e32 v1, 3, v2
	s_mov_b32 s25, exec_lo
	v_cmpx_gt_u32_e32 8, v2
; %bb.126:                              ;   in Loop: Header=BB249_10 Depth=1
	s_delay_alu instid0(VALU_DEP_3) | instskip(NEXT) | instid1(VALU_DEP_1)
	v_clz_i32_u32_e32 v1, v150
	v_min_u32_e32 v1, 32, v1
	s_delay_alu instid0(VALU_DEP_1) | instskip(SKIP_1) | instid1(VALU_DEP_2)
	v_subrev_nc_u32_e32 v2, 28, v1
	v_sub_nc_u32_e32 v1, 29, v1
	v_lshlrev_b64 v[2:3], v2, v[150:151]
	s_delay_alu instid0(VALU_DEP_1)
	v_and_b32_e32 v150, 7, v2
; %bb.127:                              ;   in Loop: Header=BB249_10 Depth=1
	s_or_b32 exec_lo, exec_lo, s25
	v_lshlrev_b32_e32 v2, 24, v0
	s_delay_alu instid0(VALU_DEP_2) | instskip(SKIP_1) | instid1(VALU_DEP_3)
	v_lshlrev_b32_e32 v3, 20, v150
	v_lshl_add_u32 v1, v1, 23, 0x3c000000
	v_and_b32_e32 v2, 0x80000000, v2
	s_delay_alu instid0(VALU_DEP_1) | instskip(NEXT) | instid1(VALU_DEP_1)
	v_or3_b32 v150, v3, v2, v1
	v_dual_mov_b32 v60, v150 :: v_dual_mov_b32 v61, v151
.LBB249_128:                            ;   in Loop: Header=BB249_10 Depth=1
	s_or_b32 exec_lo, exec_lo, s24
.LBB249_129:                            ;   in Loop: Header=BB249_10 Depth=1
	s_delay_alu instid0(SALU_CYCLE_1)
	s_or_b32 exec_lo, exec_lo, s23
.LBB249_130:                            ;   in Loop: Header=BB249_10 Depth=1
	s_delay_alu instid0(SALU_CYCLE_1) | instskip(SKIP_2) | instid1(VALU_DEP_1)
	s_or_b32 exec_lo, exec_lo, s4
	v_lshrrev_b16 v1, 8, v0
	s_mov_b32 s23, exec_lo
	v_cmpx_ne_u16_e32 0, v1
	s_cbranch_execz .LBB249_138
; %bb.131:                              ;   in Loop: Header=BB249_10 Depth=1
	v_dual_mov_b32 v59, s9 :: v_dual_mov_b32 v58, s8
	s_mov_b32 s24, exec_lo
	v_cmpx_ne_u16_e32 0x80, v1
	s_cbranch_execz .LBB249_137
; %bb.132:                              ;   in Loop: Header=BB249_10 Depth=1
	s_mov_b32 s4, s8
	v_and_b32_e32 v1, 0xffff, v1
	v_dual_mov_b32 v59, s5 :: v_dual_mov_b32 v58, s4
	s_mov_b32 s4, exec_lo
	s_delay_alu instid0(VALU_DEP_2) | instskip(NEXT) | instid1(VALU_DEP_1)
	v_and_b32_e32 v2, 0x7f, v1
	v_cmpx_ne_u32_e32 0x7f, v2
	s_cbranch_execz .LBB249_136
; %bb.133:                              ;   in Loop: Header=BB249_10 Depth=1
	v_and_b32_e32 v150, 7, v1
	v_lshrrev_b32_e32 v1, 3, v2
	s_mov_b32 s25, exec_lo
	v_cmpx_gt_u32_e32 8, v2
; %bb.134:                              ;   in Loop: Header=BB249_10 Depth=1
	s_delay_alu instid0(VALU_DEP_3) | instskip(NEXT) | instid1(VALU_DEP_1)
	v_clz_i32_u32_e32 v1, v150
	v_min_u32_e32 v1, 32, v1
	s_delay_alu instid0(VALU_DEP_1) | instskip(SKIP_1) | instid1(VALU_DEP_2)
	v_subrev_nc_u32_e32 v2, 28, v1
	v_sub_nc_u32_e32 v1, 29, v1
	v_lshlrev_b64 v[2:3], v2, v[150:151]
	s_delay_alu instid0(VALU_DEP_1)
	v_and_b32_e32 v150, 7, v2
; %bb.135:                              ;   in Loop: Header=BB249_10 Depth=1
	s_or_b32 exec_lo, exec_lo, s25
	v_lshlrev_b32_e32 v0, 16, v0
	s_delay_alu instid0(VALU_DEP_2) | instskip(SKIP_2) | instid1(VALU_DEP_4)
	v_lshlrev_b32_e32 v2, 20, v150
	v_lshl_add_u32 v1, v1, 23, 0x3c000000
	v_mov_b32_e32 v58, v151
	v_and_b32_e32 v0, 0x80000000, v0
	s_delay_alu instid0(VALU_DEP_1)
	v_or3_b32 v59, v2, v0, v1
.LBB249_136:                            ;   in Loop: Header=BB249_10 Depth=1
	s_or_b32 exec_lo, exec_lo, s4
.LBB249_137:                            ;   in Loop: Header=BB249_10 Depth=1
	s_delay_alu instid0(SALU_CYCLE_1)
	s_or_b32 exec_lo, exec_lo, s24
.LBB249_138:                            ;   in Loop: Header=BB249_10 Depth=1
	s_delay_alu instid0(SALU_CYCLE_1)
	s_or_b32 exec_lo, exec_lo, s23
	flat_load_u16 v0, v[176:177] offset:512
	v_mov_b32_e32 v62, 0
	v_mov_b32_e32 v63, 0
	s_mov_b32 s4, exec_lo
	s_waitcnt vmcnt(0) lgkmcnt(0)
	v_and_b32_e32 v1, 0xff, v0
	s_delay_alu instid0(VALU_DEP_2) | instskip(SKIP_1) | instid1(VALU_DEP_3)
	v_dual_mov_b32 v73, v63 :: v_dual_and_b32 v0, 0xffff, v0
	v_mov_b32_e32 v72, v62
	v_cmpx_ne_u16_e32 0, v1
	s_cbranch_execz .LBB249_146
; %bb.139:                              ;   in Loop: Header=BB249_10 Depth=1
	v_bfrev_b32_e32 v72, 1
	v_and_b32_e32 v1, 0xff, v0
	v_mov_b32_e32 v73, 0
	s_mov_b32 s23, exec_lo
	s_delay_alu instid0(VALU_DEP_2)
	v_cmpx_ne_u16_e32 0x80, v1
	s_cbranch_execz .LBB249_145
; %bb.140:                              ;   in Loop: Header=BB249_10 Depth=1
	v_mov_b32_e32 v72, 0x7f800001
	v_dual_mov_b32 v73, 0 :: v_dual_and_b32 v2, 0x7f, v0
	s_mov_b32 s24, exec_lo
	s_delay_alu instid0(VALU_DEP_1)
	v_cmpx_ne_u32_e32 0x7f, v2
	s_cbranch_execz .LBB249_144
; %bb.141:                              ;   in Loop: Header=BB249_10 Depth=1
	v_and_b32_e32 v150, 7, v0
	v_lshrrev_b32_e32 v1, 3, v2
	s_mov_b32 s25, exec_lo
	v_cmpx_gt_u32_e32 8, v2
; %bb.142:                              ;   in Loop: Header=BB249_10 Depth=1
	s_delay_alu instid0(VALU_DEP_3) | instskip(NEXT) | instid1(VALU_DEP_1)
	v_clz_i32_u32_e32 v1, v150
	v_min_u32_e32 v1, 32, v1
	s_delay_alu instid0(VALU_DEP_1) | instskip(SKIP_1) | instid1(VALU_DEP_2)
	v_subrev_nc_u32_e32 v2, 28, v1
	v_sub_nc_u32_e32 v1, 29, v1
	v_lshlrev_b64 v[2:3], v2, v[150:151]
	s_delay_alu instid0(VALU_DEP_1)
	v_and_b32_e32 v150, 7, v2
; %bb.143:                              ;   in Loop: Header=BB249_10 Depth=1
	s_or_b32 exec_lo, exec_lo, s25
	v_lshlrev_b32_e32 v2, 24, v0
	s_delay_alu instid0(VALU_DEP_2) | instskip(SKIP_1) | instid1(VALU_DEP_3)
	v_lshlrev_b32_e32 v3, 20, v150
	v_lshl_add_u32 v1, v1, 23, 0x3c000000
	v_and_b32_e32 v2, 0x80000000, v2
	s_delay_alu instid0(VALU_DEP_1) | instskip(NEXT) | instid1(VALU_DEP_1)
	v_or3_b32 v150, v3, v2, v1
	v_dual_mov_b32 v72, v150 :: v_dual_mov_b32 v73, v151
.LBB249_144:                            ;   in Loop: Header=BB249_10 Depth=1
	s_or_b32 exec_lo, exec_lo, s24
.LBB249_145:                            ;   in Loop: Header=BB249_10 Depth=1
	s_delay_alu instid0(SALU_CYCLE_1)
	s_or_b32 exec_lo, exec_lo, s23
.LBB249_146:                            ;   in Loop: Header=BB249_10 Depth=1
	s_delay_alu instid0(SALU_CYCLE_1) | instskip(SKIP_2) | instid1(VALU_DEP_1)
	s_or_b32 exec_lo, exec_lo, s4
	v_lshrrev_b16 v1, 8, v0
	s_mov_b32 s23, exec_lo
	v_cmpx_ne_u16_e32 0, v1
	s_cbranch_execz .LBB249_154
; %bb.147:                              ;   in Loop: Header=BB249_10 Depth=1
	v_dual_mov_b32 v63, s9 :: v_dual_mov_b32 v62, s8
	s_mov_b32 s24, exec_lo
	v_cmpx_ne_u16_e32 0x80, v1
	s_cbranch_execz .LBB249_153
; %bb.148:                              ;   in Loop: Header=BB249_10 Depth=1
	s_mov_b32 s4, s8
	v_and_b32_e32 v1, 0xffff, v1
	v_dual_mov_b32 v63, s5 :: v_dual_mov_b32 v62, s4
	s_mov_b32 s4, exec_lo
	s_delay_alu instid0(VALU_DEP_2) | instskip(NEXT) | instid1(VALU_DEP_1)
	v_and_b32_e32 v2, 0x7f, v1
	v_cmpx_ne_u32_e32 0x7f, v2
	s_cbranch_execz .LBB249_152
; %bb.149:                              ;   in Loop: Header=BB249_10 Depth=1
	v_and_b32_e32 v150, 7, v1
	v_lshrrev_b32_e32 v1, 3, v2
	s_mov_b32 s25, exec_lo
	v_cmpx_gt_u32_e32 8, v2
; %bb.150:                              ;   in Loop: Header=BB249_10 Depth=1
	s_delay_alu instid0(VALU_DEP_3) | instskip(NEXT) | instid1(VALU_DEP_1)
	v_clz_i32_u32_e32 v1, v150
	v_min_u32_e32 v1, 32, v1
	s_delay_alu instid0(VALU_DEP_1) | instskip(SKIP_1) | instid1(VALU_DEP_2)
	v_subrev_nc_u32_e32 v2, 28, v1
	v_sub_nc_u32_e32 v1, 29, v1
	v_lshlrev_b64 v[2:3], v2, v[150:151]
	s_delay_alu instid0(VALU_DEP_1)
	v_and_b32_e32 v150, 7, v2
; %bb.151:                              ;   in Loop: Header=BB249_10 Depth=1
	s_or_b32 exec_lo, exec_lo, s25
	v_lshlrev_b32_e32 v0, 16, v0
	s_delay_alu instid0(VALU_DEP_2) | instskip(SKIP_2) | instid1(VALU_DEP_4)
	v_lshlrev_b32_e32 v2, 20, v150
	v_lshl_add_u32 v1, v1, 23, 0x3c000000
	v_mov_b32_e32 v62, v151
	v_and_b32_e32 v0, 0x80000000, v0
	s_delay_alu instid0(VALU_DEP_1)
	v_or3_b32 v63, v2, v0, v1
.LBB249_152:                            ;   in Loop: Header=BB249_10 Depth=1
	s_or_b32 exec_lo, exec_lo, s4
.LBB249_153:                            ;   in Loop: Header=BB249_10 Depth=1
	s_delay_alu instid0(SALU_CYCLE_1)
	s_or_b32 exec_lo, exec_lo, s24
.LBB249_154:                            ;   in Loop: Header=BB249_10 Depth=1
	s_delay_alu instid0(SALU_CYCLE_1)
	s_or_b32 exec_lo, exec_lo, s23
	flat_load_u16 v0, v[176:177] offset:516
	v_mov_b32_e32 v74, 0
	v_mov_b32_e32 v75, 0
	s_mov_b32 s4, exec_lo
	s_waitcnt vmcnt(0) lgkmcnt(0)
	v_and_b32_e32 v1, 0xff, v0
	s_delay_alu instid0(VALU_DEP_2) | instskip(SKIP_1) | instid1(VALU_DEP_3)
	v_dual_mov_b32 v77, v75 :: v_dual_and_b32 v0, 0xffff, v0
	v_mov_b32_e32 v76, v74
	v_cmpx_ne_u16_e32 0, v1
	s_cbranch_execz .LBB249_162
; %bb.155:                              ;   in Loop: Header=BB249_10 Depth=1
	v_bfrev_b32_e32 v76, 1
	v_and_b32_e32 v1, 0xff, v0
	v_mov_b32_e32 v77, 0
	s_mov_b32 s23, exec_lo
	s_delay_alu instid0(VALU_DEP_2)
	v_cmpx_ne_u16_e32 0x80, v1
	s_cbranch_execz .LBB249_161
; %bb.156:                              ;   in Loop: Header=BB249_10 Depth=1
	v_mov_b32_e32 v76, 0x7f800001
	v_dual_mov_b32 v77, 0 :: v_dual_and_b32 v2, 0x7f, v0
	s_mov_b32 s24, exec_lo
	s_delay_alu instid0(VALU_DEP_1)
	v_cmpx_ne_u32_e32 0x7f, v2
	s_cbranch_execz .LBB249_160
; %bb.157:                              ;   in Loop: Header=BB249_10 Depth=1
	v_and_b32_e32 v150, 7, v0
	v_lshrrev_b32_e32 v1, 3, v2
	s_mov_b32 s25, exec_lo
	v_cmpx_gt_u32_e32 8, v2
; %bb.158:                              ;   in Loop: Header=BB249_10 Depth=1
	s_delay_alu instid0(VALU_DEP_3) | instskip(NEXT) | instid1(VALU_DEP_1)
	v_clz_i32_u32_e32 v1, v150
	v_min_u32_e32 v1, 32, v1
	s_delay_alu instid0(VALU_DEP_1) | instskip(SKIP_1) | instid1(VALU_DEP_2)
	v_subrev_nc_u32_e32 v2, 28, v1
	v_sub_nc_u32_e32 v1, 29, v1
	v_lshlrev_b64 v[2:3], v2, v[150:151]
	s_delay_alu instid0(VALU_DEP_1)
	v_and_b32_e32 v150, 7, v2
; %bb.159:                              ;   in Loop: Header=BB249_10 Depth=1
	s_or_b32 exec_lo, exec_lo, s25
	v_lshlrev_b32_e32 v2, 24, v0
	s_delay_alu instid0(VALU_DEP_2) | instskip(SKIP_1) | instid1(VALU_DEP_3)
	v_lshlrev_b32_e32 v3, 20, v150
	v_lshl_add_u32 v1, v1, 23, 0x3c000000
	v_and_b32_e32 v2, 0x80000000, v2
	s_delay_alu instid0(VALU_DEP_1) | instskip(NEXT) | instid1(VALU_DEP_1)
	v_or3_b32 v150, v3, v2, v1
	v_dual_mov_b32 v76, v150 :: v_dual_mov_b32 v77, v151
.LBB249_160:                            ;   in Loop: Header=BB249_10 Depth=1
	s_or_b32 exec_lo, exec_lo, s24
.LBB249_161:                            ;   in Loop: Header=BB249_10 Depth=1
	s_delay_alu instid0(SALU_CYCLE_1)
	s_or_b32 exec_lo, exec_lo, s23
.LBB249_162:                            ;   in Loop: Header=BB249_10 Depth=1
	s_delay_alu instid0(SALU_CYCLE_1) | instskip(SKIP_2) | instid1(VALU_DEP_1)
	s_or_b32 exec_lo, exec_lo, s4
	v_lshrrev_b16 v1, 8, v0
	s_mov_b32 s23, exec_lo
	v_cmpx_ne_u16_e32 0, v1
	s_cbranch_execz .LBB249_170
; %bb.163:                              ;   in Loop: Header=BB249_10 Depth=1
	v_dual_mov_b32 v75, s9 :: v_dual_mov_b32 v74, s8
	s_mov_b32 s24, exec_lo
	v_cmpx_ne_u16_e32 0x80, v1
	s_cbranch_execz .LBB249_169
; %bb.164:                              ;   in Loop: Header=BB249_10 Depth=1
	s_mov_b32 s4, s8
	v_and_b32_e32 v1, 0xffff, v1
	v_dual_mov_b32 v75, s5 :: v_dual_mov_b32 v74, s4
	s_mov_b32 s4, exec_lo
	s_delay_alu instid0(VALU_DEP_2) | instskip(NEXT) | instid1(VALU_DEP_1)
	v_and_b32_e32 v2, 0x7f, v1
	v_cmpx_ne_u32_e32 0x7f, v2
	s_cbranch_execz .LBB249_168
; %bb.165:                              ;   in Loop: Header=BB249_10 Depth=1
	v_and_b32_e32 v150, 7, v1
	v_lshrrev_b32_e32 v1, 3, v2
	s_mov_b32 s25, exec_lo
	v_cmpx_gt_u32_e32 8, v2
; %bb.166:                              ;   in Loop: Header=BB249_10 Depth=1
	s_delay_alu instid0(VALU_DEP_3) | instskip(NEXT) | instid1(VALU_DEP_1)
	v_clz_i32_u32_e32 v1, v150
	v_min_u32_e32 v1, 32, v1
	s_delay_alu instid0(VALU_DEP_1) | instskip(SKIP_1) | instid1(VALU_DEP_2)
	v_subrev_nc_u32_e32 v2, 28, v1
	v_sub_nc_u32_e32 v1, 29, v1
	v_lshlrev_b64 v[2:3], v2, v[150:151]
	s_delay_alu instid0(VALU_DEP_1)
	v_and_b32_e32 v150, 7, v2
; %bb.167:                              ;   in Loop: Header=BB249_10 Depth=1
	s_or_b32 exec_lo, exec_lo, s25
	v_lshlrev_b32_e32 v0, 16, v0
	s_delay_alu instid0(VALU_DEP_2) | instskip(SKIP_2) | instid1(VALU_DEP_4)
	v_lshlrev_b32_e32 v2, 20, v150
	v_lshl_add_u32 v1, v1, 23, 0x3c000000
	v_mov_b32_e32 v74, v151
	v_and_b32_e32 v0, 0x80000000, v0
	s_delay_alu instid0(VALU_DEP_1)
	v_or3_b32 v75, v2, v0, v1
.LBB249_168:                            ;   in Loop: Header=BB249_10 Depth=1
	s_or_b32 exec_lo, exec_lo, s4
.LBB249_169:                            ;   in Loop: Header=BB249_10 Depth=1
	s_delay_alu instid0(SALU_CYCLE_1)
	s_or_b32 exec_lo, exec_lo, s24
.LBB249_170:                            ;   in Loop: Header=BB249_10 Depth=1
	s_delay_alu instid0(SALU_CYCLE_1) | instskip(SKIP_1) | instid1(VALU_DEP_1)
	s_or_b32 exec_lo, exec_lo, s23
	v_add_co_u32 v0, s3, 0x200, v176
	v_add_co_ci_u32_e64 v1, s3, 0, v177, s3
	s_mov_b32 s4, exec_lo
	flat_load_u16 v2, v[0:1] offset:8
	v_mov_b32_e32 v78, 0
	v_mov_b32_e32 v79, 0
	s_waitcnt vmcnt(0) lgkmcnt(0)
	v_and_b32_e32 v3, 0xff, v2
	s_delay_alu instid0(VALU_DEP_2) | instskip(SKIP_1) | instid1(VALU_DEP_3)
	v_dual_mov_b32 v89, v79 :: v_dual_and_b32 v2, 0xffff, v2
	v_mov_b32_e32 v88, v78
	v_cmpx_ne_u16_e32 0, v3
	s_cbranch_execz .LBB249_178
; %bb.171:                              ;   in Loop: Header=BB249_10 Depth=1
	v_bfrev_b32_e32 v88, 1
	v_and_b32_e32 v3, 0xff, v2
	v_mov_b32_e32 v89, 0
	s_mov_b32 s23, exec_lo
	s_delay_alu instid0(VALU_DEP_2)
	v_cmpx_ne_u16_e32 0x80, v3
	s_cbranch_execz .LBB249_177
; %bb.172:                              ;   in Loop: Header=BB249_10 Depth=1
	v_mov_b32_e32 v88, 0x7f800001
	v_dual_mov_b32 v89, 0 :: v_dual_and_b32 v4, 0x7f, v2
	s_mov_b32 s24, exec_lo
	s_delay_alu instid0(VALU_DEP_1)
	v_cmpx_ne_u32_e32 0x7f, v4
	s_cbranch_execz .LBB249_176
; %bb.173:                              ;   in Loop: Header=BB249_10 Depth=1
	v_and_b32_e32 v150, 7, v2
	v_lshrrev_b32_e32 v3, 3, v4
	s_mov_b32 s25, exec_lo
	v_cmpx_gt_u32_e32 8, v4
; %bb.174:                              ;   in Loop: Header=BB249_10 Depth=1
	s_delay_alu instid0(VALU_DEP_3) | instskip(NEXT) | instid1(VALU_DEP_1)
	v_clz_i32_u32_e32 v3, v150
	v_min_u32_e32 v3, 32, v3
	s_delay_alu instid0(VALU_DEP_1) | instskip(SKIP_1) | instid1(VALU_DEP_2)
	v_subrev_nc_u32_e32 v4, 28, v3
	v_sub_nc_u32_e32 v3, 29, v3
	v_lshlrev_b64 v[4:5], v4, v[150:151]
	s_delay_alu instid0(VALU_DEP_1)
	v_and_b32_e32 v150, 7, v4
; %bb.175:                              ;   in Loop: Header=BB249_10 Depth=1
	s_or_b32 exec_lo, exec_lo, s25
	v_lshlrev_b32_e32 v4, 24, v2
	s_delay_alu instid0(VALU_DEP_2) | instskip(SKIP_1) | instid1(VALU_DEP_3)
	v_lshlrev_b32_e32 v5, 20, v150
	v_lshl_add_u32 v3, v3, 23, 0x3c000000
	v_and_b32_e32 v4, 0x80000000, v4
	s_delay_alu instid0(VALU_DEP_1) | instskip(NEXT) | instid1(VALU_DEP_1)
	v_or3_b32 v150, v5, v4, v3
	v_dual_mov_b32 v88, v150 :: v_dual_mov_b32 v89, v151
.LBB249_176:                            ;   in Loop: Header=BB249_10 Depth=1
	s_or_b32 exec_lo, exec_lo, s24
.LBB249_177:                            ;   in Loop: Header=BB249_10 Depth=1
	s_delay_alu instid0(SALU_CYCLE_1)
	s_or_b32 exec_lo, exec_lo, s23
.LBB249_178:                            ;   in Loop: Header=BB249_10 Depth=1
	s_delay_alu instid0(SALU_CYCLE_1) | instskip(SKIP_2) | instid1(VALU_DEP_1)
	s_or_b32 exec_lo, exec_lo, s4
	v_lshrrev_b16 v3, 8, v2
	s_mov_b32 s23, exec_lo
	v_cmpx_ne_u16_e32 0, v3
	s_cbranch_execz .LBB249_186
; %bb.179:                              ;   in Loop: Header=BB249_10 Depth=1
	v_dual_mov_b32 v79, s9 :: v_dual_mov_b32 v78, s8
	s_mov_b32 s24, exec_lo
	v_cmpx_ne_u16_e32 0x80, v3
	s_cbranch_execz .LBB249_185
; %bb.180:                              ;   in Loop: Header=BB249_10 Depth=1
	s_mov_b32 s4, s8
	v_and_b32_e32 v3, 0xffff, v3
	v_dual_mov_b32 v79, s5 :: v_dual_mov_b32 v78, s4
	s_mov_b32 s4, exec_lo
	s_delay_alu instid0(VALU_DEP_2) | instskip(NEXT) | instid1(VALU_DEP_1)
	v_and_b32_e32 v4, 0x7f, v3
	v_cmpx_ne_u32_e32 0x7f, v4
	s_cbranch_execz .LBB249_184
; %bb.181:                              ;   in Loop: Header=BB249_10 Depth=1
	v_and_b32_e32 v150, 7, v3
	v_lshrrev_b32_e32 v3, 3, v4
	s_mov_b32 s25, exec_lo
	v_cmpx_gt_u32_e32 8, v4
; %bb.182:                              ;   in Loop: Header=BB249_10 Depth=1
	s_delay_alu instid0(VALU_DEP_3) | instskip(NEXT) | instid1(VALU_DEP_1)
	v_clz_i32_u32_e32 v3, v150
	v_min_u32_e32 v3, 32, v3
	s_delay_alu instid0(VALU_DEP_1) | instskip(SKIP_1) | instid1(VALU_DEP_2)
	v_subrev_nc_u32_e32 v4, 28, v3
	v_sub_nc_u32_e32 v3, 29, v3
	v_lshlrev_b64 v[4:5], v4, v[150:151]
	s_delay_alu instid0(VALU_DEP_1)
	v_and_b32_e32 v150, 7, v4
; %bb.183:                              ;   in Loop: Header=BB249_10 Depth=1
	s_or_b32 exec_lo, exec_lo, s25
	v_lshlrev_b32_e32 v2, 16, v2
	s_delay_alu instid0(VALU_DEP_2) | instskip(SKIP_2) | instid1(VALU_DEP_4)
	v_lshlrev_b32_e32 v4, 20, v150
	v_lshl_add_u32 v3, v3, 23, 0x3c000000
	v_mov_b32_e32 v78, v151
	v_and_b32_e32 v2, 0x80000000, v2
	s_delay_alu instid0(VALU_DEP_1)
	v_or3_b32 v79, v4, v2, v3
.LBB249_184:                            ;   in Loop: Header=BB249_10 Depth=1
	s_or_b32 exec_lo, exec_lo, s4
.LBB249_185:                            ;   in Loop: Header=BB249_10 Depth=1
	s_delay_alu instid0(SALU_CYCLE_1)
	s_or_b32 exec_lo, exec_lo, s24
.LBB249_186:                            ;   in Loop: Header=BB249_10 Depth=1
	s_delay_alu instid0(SALU_CYCLE_1)
	s_or_b32 exec_lo, exec_lo, s23
	flat_load_u16 v0, v[0:1] offset:12
	v_mov_b32_e32 v90, 0
	v_mov_b32_e32 v91, 0
	s_mov_b32 s4, exec_lo
	s_waitcnt vmcnt(0) lgkmcnt(0)
	v_and_b32_e32 v1, 0xff, v0
	s_delay_alu instid0(VALU_DEP_2) | instskip(SKIP_1) | instid1(VALU_DEP_3)
	v_dual_mov_b32 v93, v91 :: v_dual_and_b32 v0, 0xffff, v0
	v_mov_b32_e32 v92, v90
	v_cmpx_ne_u16_e32 0, v1
	s_cbranch_execz .LBB249_194
; %bb.187:                              ;   in Loop: Header=BB249_10 Depth=1
	v_bfrev_b32_e32 v92, 1
	v_and_b32_e32 v1, 0xff, v0
	v_mov_b32_e32 v93, 0
	s_mov_b32 s23, exec_lo
	s_delay_alu instid0(VALU_DEP_2)
	v_cmpx_ne_u16_e32 0x80, v1
	s_cbranch_execz .LBB249_193
; %bb.188:                              ;   in Loop: Header=BB249_10 Depth=1
	v_mov_b32_e32 v92, 0x7f800001
	v_dual_mov_b32 v93, 0 :: v_dual_and_b32 v2, 0x7f, v0
	s_mov_b32 s24, exec_lo
	s_delay_alu instid0(VALU_DEP_1)
	v_cmpx_ne_u32_e32 0x7f, v2
	s_cbranch_execz .LBB249_192
; %bb.189:                              ;   in Loop: Header=BB249_10 Depth=1
	v_and_b32_e32 v150, 7, v0
	v_lshrrev_b32_e32 v1, 3, v2
	s_mov_b32 s25, exec_lo
	v_cmpx_gt_u32_e32 8, v2
; %bb.190:                              ;   in Loop: Header=BB249_10 Depth=1
	s_delay_alu instid0(VALU_DEP_3) | instskip(NEXT) | instid1(VALU_DEP_1)
	v_clz_i32_u32_e32 v1, v150
	v_min_u32_e32 v1, 32, v1
	s_delay_alu instid0(VALU_DEP_1) | instskip(SKIP_1) | instid1(VALU_DEP_2)
	v_subrev_nc_u32_e32 v2, 28, v1
	v_sub_nc_u32_e32 v1, 29, v1
	v_lshlrev_b64 v[2:3], v2, v[150:151]
	s_delay_alu instid0(VALU_DEP_1)
	v_and_b32_e32 v150, 7, v2
; %bb.191:                              ;   in Loop: Header=BB249_10 Depth=1
	s_or_b32 exec_lo, exec_lo, s25
	v_lshlrev_b32_e32 v2, 24, v0
	s_delay_alu instid0(VALU_DEP_2) | instskip(SKIP_1) | instid1(VALU_DEP_3)
	v_lshlrev_b32_e32 v3, 20, v150
	v_lshl_add_u32 v1, v1, 23, 0x3c000000
	v_and_b32_e32 v2, 0x80000000, v2
	s_delay_alu instid0(VALU_DEP_1) | instskip(NEXT) | instid1(VALU_DEP_1)
	v_or3_b32 v150, v3, v2, v1
	v_dual_mov_b32 v92, v150 :: v_dual_mov_b32 v93, v151
.LBB249_192:                            ;   in Loop: Header=BB249_10 Depth=1
	s_or_b32 exec_lo, exec_lo, s24
.LBB249_193:                            ;   in Loop: Header=BB249_10 Depth=1
	s_delay_alu instid0(SALU_CYCLE_1)
	s_or_b32 exec_lo, exec_lo, s23
.LBB249_194:                            ;   in Loop: Header=BB249_10 Depth=1
	s_delay_alu instid0(SALU_CYCLE_1) | instskip(SKIP_2) | instid1(VALU_DEP_1)
	s_or_b32 exec_lo, exec_lo, s4
	v_lshrrev_b16 v1, 8, v0
	s_mov_b32 s23, exec_lo
	v_cmpx_ne_u16_e32 0, v1
	s_cbranch_execz .LBB249_202
; %bb.195:                              ;   in Loop: Header=BB249_10 Depth=1
	v_dual_mov_b32 v91, s9 :: v_dual_mov_b32 v90, s8
	s_mov_b32 s24, exec_lo
	v_cmpx_ne_u16_e32 0x80, v1
	s_cbranch_execz .LBB249_201
; %bb.196:                              ;   in Loop: Header=BB249_10 Depth=1
	s_mov_b32 s4, s8
	v_and_b32_e32 v1, 0xffff, v1
	v_dual_mov_b32 v91, s5 :: v_dual_mov_b32 v90, s4
	s_mov_b32 s4, exec_lo
	s_delay_alu instid0(VALU_DEP_2) | instskip(NEXT) | instid1(VALU_DEP_1)
	v_and_b32_e32 v2, 0x7f, v1
	v_cmpx_ne_u32_e32 0x7f, v2
	s_cbranch_execz .LBB249_200
; %bb.197:                              ;   in Loop: Header=BB249_10 Depth=1
	v_and_b32_e32 v150, 7, v1
	v_lshrrev_b32_e32 v1, 3, v2
	s_mov_b32 s25, exec_lo
	v_cmpx_gt_u32_e32 8, v2
; %bb.198:                              ;   in Loop: Header=BB249_10 Depth=1
	s_delay_alu instid0(VALU_DEP_3) | instskip(NEXT) | instid1(VALU_DEP_1)
	v_clz_i32_u32_e32 v1, v150
	v_min_u32_e32 v1, 32, v1
	s_delay_alu instid0(VALU_DEP_1) | instskip(SKIP_1) | instid1(VALU_DEP_2)
	v_subrev_nc_u32_e32 v2, 28, v1
	v_sub_nc_u32_e32 v1, 29, v1
	v_lshlrev_b64 v[2:3], v2, v[150:151]
	s_delay_alu instid0(VALU_DEP_1)
	v_and_b32_e32 v150, 7, v2
; %bb.199:                              ;   in Loop: Header=BB249_10 Depth=1
	s_or_b32 exec_lo, exec_lo, s25
	v_lshlrev_b32_e32 v0, 16, v0
	s_delay_alu instid0(VALU_DEP_2) | instskip(SKIP_2) | instid1(VALU_DEP_4)
	v_lshlrev_b32_e32 v2, 20, v150
	v_lshl_add_u32 v1, v1, 23, 0x3c000000
	v_mov_b32_e32 v90, v151
	v_and_b32_e32 v0, 0x80000000, v0
	s_delay_alu instid0(VALU_DEP_1)
	v_or3_b32 v91, v2, v0, v1
.LBB249_200:                            ;   in Loop: Header=BB249_10 Depth=1
	s_or_b32 exec_lo, exec_lo, s4
.LBB249_201:                            ;   in Loop: Header=BB249_10 Depth=1
	s_delay_alu instid0(SALU_CYCLE_1)
	s_or_b32 exec_lo, exec_lo, s24
.LBB249_202:                            ;   in Loop: Header=BB249_10 Depth=1
	s_delay_alu instid0(SALU_CYCLE_1)
	s_or_b32 exec_lo, exec_lo, s23
	flat_load_u16 v0, v[176:177] offset:768
	v_mov_b32_e32 v94, 0
	v_mov_b32_e32 v95, 0
	s_mov_b32 s4, exec_lo
	s_waitcnt vmcnt(0) lgkmcnt(0)
	v_and_b32_e32 v1, 0xff, v0
	s_delay_alu instid0(VALU_DEP_2) | instskip(SKIP_1) | instid1(VALU_DEP_3)
	v_dual_mov_b32 v105, v95 :: v_dual_and_b32 v0, 0xffff, v0
	v_mov_b32_e32 v104, v94
	v_cmpx_ne_u16_e32 0, v1
	s_cbranch_execz .LBB249_210
; %bb.203:                              ;   in Loop: Header=BB249_10 Depth=1
	v_bfrev_b32_e32 v104, 1
	v_and_b32_e32 v1, 0xff, v0
	v_mov_b32_e32 v105, 0
	s_mov_b32 s23, exec_lo
	s_delay_alu instid0(VALU_DEP_2)
	v_cmpx_ne_u16_e32 0x80, v1
	s_cbranch_execz .LBB249_209
; %bb.204:                              ;   in Loop: Header=BB249_10 Depth=1
	v_mov_b32_e32 v104, 0x7f800001
	v_dual_mov_b32 v105, 0 :: v_dual_and_b32 v2, 0x7f, v0
	s_mov_b32 s24, exec_lo
	s_delay_alu instid0(VALU_DEP_1)
	v_cmpx_ne_u32_e32 0x7f, v2
	s_cbranch_execz .LBB249_208
; %bb.205:                              ;   in Loop: Header=BB249_10 Depth=1
	v_and_b32_e32 v150, 7, v0
	v_lshrrev_b32_e32 v1, 3, v2
	s_mov_b32 s25, exec_lo
	v_cmpx_gt_u32_e32 8, v2
; %bb.206:                              ;   in Loop: Header=BB249_10 Depth=1
	s_delay_alu instid0(VALU_DEP_3) | instskip(NEXT) | instid1(VALU_DEP_1)
	v_clz_i32_u32_e32 v1, v150
	v_min_u32_e32 v1, 32, v1
	s_delay_alu instid0(VALU_DEP_1) | instskip(SKIP_1) | instid1(VALU_DEP_2)
	v_subrev_nc_u32_e32 v2, 28, v1
	v_sub_nc_u32_e32 v1, 29, v1
	v_lshlrev_b64 v[2:3], v2, v[150:151]
	s_delay_alu instid0(VALU_DEP_1)
	v_and_b32_e32 v150, 7, v2
; %bb.207:                              ;   in Loop: Header=BB249_10 Depth=1
	s_or_b32 exec_lo, exec_lo, s25
	v_lshlrev_b32_e32 v2, 24, v0
	s_delay_alu instid0(VALU_DEP_2) | instskip(SKIP_1) | instid1(VALU_DEP_3)
	v_lshlrev_b32_e32 v3, 20, v150
	v_lshl_add_u32 v1, v1, 23, 0x3c000000
	v_and_b32_e32 v2, 0x80000000, v2
	s_delay_alu instid0(VALU_DEP_1) | instskip(NEXT) | instid1(VALU_DEP_1)
	v_or3_b32 v150, v3, v2, v1
	v_dual_mov_b32 v104, v150 :: v_dual_mov_b32 v105, v151
.LBB249_208:                            ;   in Loop: Header=BB249_10 Depth=1
	s_or_b32 exec_lo, exec_lo, s24
.LBB249_209:                            ;   in Loop: Header=BB249_10 Depth=1
	s_delay_alu instid0(SALU_CYCLE_1)
	s_or_b32 exec_lo, exec_lo, s23
.LBB249_210:                            ;   in Loop: Header=BB249_10 Depth=1
	s_delay_alu instid0(SALU_CYCLE_1) | instskip(SKIP_2) | instid1(VALU_DEP_1)
	s_or_b32 exec_lo, exec_lo, s4
	v_lshrrev_b16 v1, 8, v0
	s_mov_b32 s23, exec_lo
	v_cmpx_ne_u16_e32 0, v1
	s_cbranch_execz .LBB249_218
; %bb.211:                              ;   in Loop: Header=BB249_10 Depth=1
	v_dual_mov_b32 v95, s9 :: v_dual_mov_b32 v94, s8
	s_mov_b32 s24, exec_lo
	v_cmpx_ne_u16_e32 0x80, v1
	s_cbranch_execz .LBB249_217
; %bb.212:                              ;   in Loop: Header=BB249_10 Depth=1
	s_mov_b32 s4, s8
	v_and_b32_e32 v1, 0xffff, v1
	v_dual_mov_b32 v95, s5 :: v_dual_mov_b32 v94, s4
	s_mov_b32 s4, exec_lo
	s_delay_alu instid0(VALU_DEP_2) | instskip(NEXT) | instid1(VALU_DEP_1)
	v_and_b32_e32 v2, 0x7f, v1
	v_cmpx_ne_u32_e32 0x7f, v2
	s_cbranch_execz .LBB249_216
; %bb.213:                              ;   in Loop: Header=BB249_10 Depth=1
	v_and_b32_e32 v150, 7, v1
	v_lshrrev_b32_e32 v1, 3, v2
	s_mov_b32 s25, exec_lo
	v_cmpx_gt_u32_e32 8, v2
; %bb.214:                              ;   in Loop: Header=BB249_10 Depth=1
	s_delay_alu instid0(VALU_DEP_3) | instskip(NEXT) | instid1(VALU_DEP_1)
	v_clz_i32_u32_e32 v1, v150
	v_min_u32_e32 v1, 32, v1
	s_delay_alu instid0(VALU_DEP_1) | instskip(SKIP_1) | instid1(VALU_DEP_2)
	v_subrev_nc_u32_e32 v2, 28, v1
	v_sub_nc_u32_e32 v1, 29, v1
	v_lshlrev_b64 v[2:3], v2, v[150:151]
	s_delay_alu instid0(VALU_DEP_1)
	v_and_b32_e32 v150, 7, v2
; %bb.215:                              ;   in Loop: Header=BB249_10 Depth=1
	s_or_b32 exec_lo, exec_lo, s25
	v_lshlrev_b32_e32 v0, 16, v0
	s_delay_alu instid0(VALU_DEP_2) | instskip(SKIP_2) | instid1(VALU_DEP_4)
	v_lshlrev_b32_e32 v2, 20, v150
	v_lshl_add_u32 v1, v1, 23, 0x3c000000
	v_mov_b32_e32 v94, v151
	v_and_b32_e32 v0, 0x80000000, v0
	s_delay_alu instid0(VALU_DEP_1)
	v_or3_b32 v95, v2, v0, v1
.LBB249_216:                            ;   in Loop: Header=BB249_10 Depth=1
	s_or_b32 exec_lo, exec_lo, s4
.LBB249_217:                            ;   in Loop: Header=BB249_10 Depth=1
	s_delay_alu instid0(SALU_CYCLE_1)
	s_or_b32 exec_lo, exec_lo, s24
.LBB249_218:                            ;   in Loop: Header=BB249_10 Depth=1
	s_delay_alu instid0(SALU_CYCLE_1)
	s_or_b32 exec_lo, exec_lo, s23
	flat_load_u16 v0, v[176:177] offset:772
	v_mov_b32_e32 v106, 0
	v_mov_b32_e32 v107, 0
	s_mov_b32 s4, exec_lo
	s_waitcnt vmcnt(0) lgkmcnt(0)
	v_and_b32_e32 v1, 0xff, v0
	s_delay_alu instid0(VALU_DEP_2) | instskip(SKIP_1) | instid1(VALU_DEP_3)
	v_dual_mov_b32 v109, v107 :: v_dual_and_b32 v0, 0xffff, v0
	v_mov_b32_e32 v108, v106
	v_cmpx_ne_u16_e32 0, v1
	s_cbranch_execz .LBB249_226
; %bb.219:                              ;   in Loop: Header=BB249_10 Depth=1
	v_bfrev_b32_e32 v108, 1
	v_and_b32_e32 v1, 0xff, v0
	v_mov_b32_e32 v109, 0
	s_mov_b32 s23, exec_lo
	s_delay_alu instid0(VALU_DEP_2)
	v_cmpx_ne_u16_e32 0x80, v1
	s_cbranch_execz .LBB249_225
; %bb.220:                              ;   in Loop: Header=BB249_10 Depth=1
	v_mov_b32_e32 v108, 0x7f800001
	v_dual_mov_b32 v109, 0 :: v_dual_and_b32 v2, 0x7f, v0
	s_mov_b32 s24, exec_lo
	s_delay_alu instid0(VALU_DEP_1)
	v_cmpx_ne_u32_e32 0x7f, v2
	s_cbranch_execz .LBB249_224
; %bb.221:                              ;   in Loop: Header=BB249_10 Depth=1
	v_and_b32_e32 v150, 7, v0
	v_lshrrev_b32_e32 v1, 3, v2
	s_mov_b32 s25, exec_lo
	v_cmpx_gt_u32_e32 8, v2
; %bb.222:                              ;   in Loop: Header=BB249_10 Depth=1
	s_delay_alu instid0(VALU_DEP_3) | instskip(NEXT) | instid1(VALU_DEP_1)
	v_clz_i32_u32_e32 v1, v150
	v_min_u32_e32 v1, 32, v1
	s_delay_alu instid0(VALU_DEP_1) | instskip(SKIP_1) | instid1(VALU_DEP_2)
	v_subrev_nc_u32_e32 v2, 28, v1
	v_sub_nc_u32_e32 v1, 29, v1
	v_lshlrev_b64 v[2:3], v2, v[150:151]
	s_delay_alu instid0(VALU_DEP_1)
	v_and_b32_e32 v150, 7, v2
; %bb.223:                              ;   in Loop: Header=BB249_10 Depth=1
	s_or_b32 exec_lo, exec_lo, s25
	v_lshlrev_b32_e32 v2, 24, v0
	s_delay_alu instid0(VALU_DEP_2) | instskip(SKIP_1) | instid1(VALU_DEP_3)
	v_lshlrev_b32_e32 v3, 20, v150
	v_lshl_add_u32 v1, v1, 23, 0x3c000000
	v_and_b32_e32 v2, 0x80000000, v2
	s_delay_alu instid0(VALU_DEP_1) | instskip(NEXT) | instid1(VALU_DEP_1)
	v_or3_b32 v150, v3, v2, v1
	v_dual_mov_b32 v108, v150 :: v_dual_mov_b32 v109, v151
.LBB249_224:                            ;   in Loop: Header=BB249_10 Depth=1
	s_or_b32 exec_lo, exec_lo, s24
.LBB249_225:                            ;   in Loop: Header=BB249_10 Depth=1
	s_delay_alu instid0(SALU_CYCLE_1)
	s_or_b32 exec_lo, exec_lo, s23
.LBB249_226:                            ;   in Loop: Header=BB249_10 Depth=1
	s_delay_alu instid0(SALU_CYCLE_1) | instskip(SKIP_2) | instid1(VALU_DEP_1)
	s_or_b32 exec_lo, exec_lo, s4
	v_lshrrev_b16 v1, 8, v0
	s_mov_b32 s23, exec_lo
	v_cmpx_ne_u16_e32 0, v1
	s_cbranch_execz .LBB249_234
; %bb.227:                              ;   in Loop: Header=BB249_10 Depth=1
	v_dual_mov_b32 v107, s9 :: v_dual_mov_b32 v106, s8
	s_mov_b32 s24, exec_lo
	v_cmpx_ne_u16_e32 0x80, v1
	s_cbranch_execz .LBB249_233
; %bb.228:                              ;   in Loop: Header=BB249_10 Depth=1
	s_mov_b32 s4, s8
	v_and_b32_e32 v1, 0xffff, v1
	v_dual_mov_b32 v107, s5 :: v_dual_mov_b32 v106, s4
	s_mov_b32 s4, exec_lo
	s_delay_alu instid0(VALU_DEP_2) | instskip(NEXT) | instid1(VALU_DEP_1)
	v_and_b32_e32 v2, 0x7f, v1
	v_cmpx_ne_u32_e32 0x7f, v2
	s_cbranch_execz .LBB249_232
; %bb.229:                              ;   in Loop: Header=BB249_10 Depth=1
	v_and_b32_e32 v150, 7, v1
	v_lshrrev_b32_e32 v1, 3, v2
	s_mov_b32 s25, exec_lo
	v_cmpx_gt_u32_e32 8, v2
; %bb.230:                              ;   in Loop: Header=BB249_10 Depth=1
	s_delay_alu instid0(VALU_DEP_3) | instskip(NEXT) | instid1(VALU_DEP_1)
	v_clz_i32_u32_e32 v1, v150
	v_min_u32_e32 v1, 32, v1
	s_delay_alu instid0(VALU_DEP_1) | instskip(SKIP_1) | instid1(VALU_DEP_2)
	v_subrev_nc_u32_e32 v2, 28, v1
	v_sub_nc_u32_e32 v1, 29, v1
	v_lshlrev_b64 v[2:3], v2, v[150:151]
	s_delay_alu instid0(VALU_DEP_1)
	v_and_b32_e32 v150, 7, v2
; %bb.231:                              ;   in Loop: Header=BB249_10 Depth=1
	s_or_b32 exec_lo, exec_lo, s25
	v_lshlrev_b32_e32 v0, 16, v0
	s_delay_alu instid0(VALU_DEP_2) | instskip(SKIP_2) | instid1(VALU_DEP_4)
	v_lshlrev_b32_e32 v2, 20, v150
	v_lshl_add_u32 v1, v1, 23, 0x3c000000
	v_mov_b32_e32 v106, v151
	v_and_b32_e32 v0, 0x80000000, v0
	s_delay_alu instid0(VALU_DEP_1)
	v_or3_b32 v107, v2, v0, v1
.LBB249_232:                            ;   in Loop: Header=BB249_10 Depth=1
	s_or_b32 exec_lo, exec_lo, s4
.LBB249_233:                            ;   in Loop: Header=BB249_10 Depth=1
	s_delay_alu instid0(SALU_CYCLE_1)
	s_or_b32 exec_lo, exec_lo, s24
.LBB249_234:                            ;   in Loop: Header=BB249_10 Depth=1
	s_delay_alu instid0(SALU_CYCLE_1) | instskip(SKIP_1) | instid1(VALU_DEP_1)
	s_or_b32 exec_lo, exec_lo, s23
	v_add_co_u32 v0, s3, 0x300, v176
	v_add_co_ci_u32_e64 v1, s3, 0, v177, s3
	s_mov_b32 s4, exec_lo
	flat_load_u16 v2, v[0:1] offset:8
	v_mov_b32_e32 v110, 0
	v_mov_b32_e32 v111, 0
	s_waitcnt vmcnt(0) lgkmcnt(0)
	v_and_b32_e32 v3, 0xff, v2
	s_delay_alu instid0(VALU_DEP_2) | instskip(SKIP_1) | instid1(VALU_DEP_3)
	v_dual_mov_b32 v121, v111 :: v_dual_and_b32 v2, 0xffff, v2
	v_mov_b32_e32 v120, v110
	v_cmpx_ne_u16_e32 0, v3
	s_cbranch_execz .LBB249_242
; %bb.235:                              ;   in Loop: Header=BB249_10 Depth=1
	v_bfrev_b32_e32 v120, 1
	v_and_b32_e32 v3, 0xff, v2
	v_mov_b32_e32 v121, 0
	s_mov_b32 s23, exec_lo
	s_delay_alu instid0(VALU_DEP_2)
	v_cmpx_ne_u16_e32 0x80, v3
	s_cbranch_execz .LBB249_241
; %bb.236:                              ;   in Loop: Header=BB249_10 Depth=1
	v_mov_b32_e32 v120, 0x7f800001
	v_dual_mov_b32 v121, 0 :: v_dual_and_b32 v4, 0x7f, v2
	s_mov_b32 s24, exec_lo
	s_delay_alu instid0(VALU_DEP_1)
	v_cmpx_ne_u32_e32 0x7f, v4
	s_cbranch_execz .LBB249_240
; %bb.237:                              ;   in Loop: Header=BB249_10 Depth=1
	v_and_b32_e32 v150, 7, v2
	v_lshrrev_b32_e32 v3, 3, v4
	s_mov_b32 s25, exec_lo
	v_cmpx_gt_u32_e32 8, v4
; %bb.238:                              ;   in Loop: Header=BB249_10 Depth=1
	s_delay_alu instid0(VALU_DEP_3) | instskip(NEXT) | instid1(VALU_DEP_1)
	v_clz_i32_u32_e32 v3, v150
	v_min_u32_e32 v3, 32, v3
	s_delay_alu instid0(VALU_DEP_1) | instskip(SKIP_1) | instid1(VALU_DEP_2)
	v_subrev_nc_u32_e32 v4, 28, v3
	v_sub_nc_u32_e32 v3, 29, v3
	v_lshlrev_b64 v[4:5], v4, v[150:151]
	s_delay_alu instid0(VALU_DEP_1)
	v_and_b32_e32 v150, 7, v4
; %bb.239:                              ;   in Loop: Header=BB249_10 Depth=1
	s_or_b32 exec_lo, exec_lo, s25
	v_lshlrev_b32_e32 v4, 24, v2
	s_delay_alu instid0(VALU_DEP_2) | instskip(SKIP_1) | instid1(VALU_DEP_3)
	v_lshlrev_b32_e32 v5, 20, v150
	v_lshl_add_u32 v3, v3, 23, 0x3c000000
	v_and_b32_e32 v4, 0x80000000, v4
	s_delay_alu instid0(VALU_DEP_1) | instskip(NEXT) | instid1(VALU_DEP_1)
	v_or3_b32 v150, v5, v4, v3
	v_dual_mov_b32 v120, v150 :: v_dual_mov_b32 v121, v151
.LBB249_240:                            ;   in Loop: Header=BB249_10 Depth=1
	s_or_b32 exec_lo, exec_lo, s24
.LBB249_241:                            ;   in Loop: Header=BB249_10 Depth=1
	s_delay_alu instid0(SALU_CYCLE_1)
	s_or_b32 exec_lo, exec_lo, s23
.LBB249_242:                            ;   in Loop: Header=BB249_10 Depth=1
	s_delay_alu instid0(SALU_CYCLE_1) | instskip(SKIP_2) | instid1(VALU_DEP_1)
	s_or_b32 exec_lo, exec_lo, s4
	v_lshrrev_b16 v3, 8, v2
	s_mov_b32 s23, exec_lo
	v_cmpx_ne_u16_e32 0, v3
	s_cbranch_execz .LBB249_250
; %bb.243:                              ;   in Loop: Header=BB249_10 Depth=1
	v_dual_mov_b32 v111, s9 :: v_dual_mov_b32 v110, s8
	s_mov_b32 s24, exec_lo
	v_cmpx_ne_u16_e32 0x80, v3
	s_cbranch_execz .LBB249_249
; %bb.244:                              ;   in Loop: Header=BB249_10 Depth=1
	s_mov_b32 s4, s8
	v_and_b32_e32 v3, 0xffff, v3
	v_dual_mov_b32 v111, s5 :: v_dual_mov_b32 v110, s4
	s_mov_b32 s4, exec_lo
	s_delay_alu instid0(VALU_DEP_2) | instskip(NEXT) | instid1(VALU_DEP_1)
	v_and_b32_e32 v4, 0x7f, v3
	v_cmpx_ne_u32_e32 0x7f, v4
	s_cbranch_execz .LBB249_248
; %bb.245:                              ;   in Loop: Header=BB249_10 Depth=1
	v_and_b32_e32 v150, 7, v3
	v_lshrrev_b32_e32 v3, 3, v4
	s_mov_b32 s25, exec_lo
	v_cmpx_gt_u32_e32 8, v4
; %bb.246:                              ;   in Loop: Header=BB249_10 Depth=1
	s_delay_alu instid0(VALU_DEP_3) | instskip(NEXT) | instid1(VALU_DEP_1)
	v_clz_i32_u32_e32 v3, v150
	v_min_u32_e32 v3, 32, v3
	s_delay_alu instid0(VALU_DEP_1) | instskip(SKIP_1) | instid1(VALU_DEP_2)
	v_subrev_nc_u32_e32 v4, 28, v3
	v_sub_nc_u32_e32 v3, 29, v3
	v_lshlrev_b64 v[4:5], v4, v[150:151]
	s_delay_alu instid0(VALU_DEP_1)
	v_and_b32_e32 v150, 7, v4
; %bb.247:                              ;   in Loop: Header=BB249_10 Depth=1
	s_or_b32 exec_lo, exec_lo, s25
	v_lshlrev_b32_e32 v2, 16, v2
	s_delay_alu instid0(VALU_DEP_2) | instskip(SKIP_2) | instid1(VALU_DEP_4)
	v_lshlrev_b32_e32 v4, 20, v150
	v_lshl_add_u32 v3, v3, 23, 0x3c000000
	v_mov_b32_e32 v110, v151
	v_and_b32_e32 v2, 0x80000000, v2
	s_delay_alu instid0(VALU_DEP_1)
	v_or3_b32 v111, v4, v2, v3
.LBB249_248:                            ;   in Loop: Header=BB249_10 Depth=1
	s_or_b32 exec_lo, exec_lo, s4
.LBB249_249:                            ;   in Loop: Header=BB249_10 Depth=1
	s_delay_alu instid0(SALU_CYCLE_1)
	s_or_b32 exec_lo, exec_lo, s24
.LBB249_250:                            ;   in Loop: Header=BB249_10 Depth=1
	s_delay_alu instid0(SALU_CYCLE_1)
	s_or_b32 exec_lo, exec_lo, s23
	flat_load_u16 v0, v[0:1] offset:12
	v_mov_b32_e32 v122, 0
	v_mov_b32_e32 v123, 0
	s_mov_b32 s4, exec_lo
	s_waitcnt vmcnt(0) lgkmcnt(0)
	v_and_b32_e32 v1, 0xff, v0
	s_delay_alu instid0(VALU_DEP_2) | instskip(SKIP_1) | instid1(VALU_DEP_3)
	v_dual_mov_b32 v125, v123 :: v_dual_and_b32 v0, 0xffff, v0
	v_mov_b32_e32 v124, v122
	v_cmpx_ne_u16_e32 0, v1
	s_cbranch_execz .LBB249_258
; %bb.251:                              ;   in Loop: Header=BB249_10 Depth=1
	v_bfrev_b32_e32 v124, 1
	v_and_b32_e32 v1, 0xff, v0
	v_mov_b32_e32 v125, 0
	s_mov_b32 s23, exec_lo
	s_delay_alu instid0(VALU_DEP_2)
	v_cmpx_ne_u16_e32 0x80, v1
	s_cbranch_execz .LBB249_257
; %bb.252:                              ;   in Loop: Header=BB249_10 Depth=1
	v_mov_b32_e32 v124, 0x7f800001
	v_dual_mov_b32 v125, 0 :: v_dual_and_b32 v2, 0x7f, v0
	s_mov_b32 s24, exec_lo
	s_delay_alu instid0(VALU_DEP_1)
	v_cmpx_ne_u32_e32 0x7f, v2
	s_cbranch_execz .LBB249_256
; %bb.253:                              ;   in Loop: Header=BB249_10 Depth=1
	v_and_b32_e32 v150, 7, v0
	v_lshrrev_b32_e32 v1, 3, v2
	s_mov_b32 s25, exec_lo
	v_cmpx_gt_u32_e32 8, v2
; %bb.254:                              ;   in Loop: Header=BB249_10 Depth=1
	s_delay_alu instid0(VALU_DEP_3) | instskip(NEXT) | instid1(VALU_DEP_1)
	v_clz_i32_u32_e32 v1, v150
	v_min_u32_e32 v1, 32, v1
	s_delay_alu instid0(VALU_DEP_1) | instskip(SKIP_1) | instid1(VALU_DEP_2)
	v_subrev_nc_u32_e32 v2, 28, v1
	v_sub_nc_u32_e32 v1, 29, v1
	v_lshlrev_b64 v[2:3], v2, v[150:151]
	s_delay_alu instid0(VALU_DEP_1)
	v_and_b32_e32 v150, 7, v2
; %bb.255:                              ;   in Loop: Header=BB249_10 Depth=1
	s_or_b32 exec_lo, exec_lo, s25
	v_lshlrev_b32_e32 v2, 24, v0
	s_delay_alu instid0(VALU_DEP_2) | instskip(SKIP_1) | instid1(VALU_DEP_3)
	v_lshlrev_b32_e32 v3, 20, v150
	v_lshl_add_u32 v1, v1, 23, 0x3c000000
	v_and_b32_e32 v2, 0x80000000, v2
	s_delay_alu instid0(VALU_DEP_1) | instskip(NEXT) | instid1(VALU_DEP_1)
	v_or3_b32 v150, v3, v2, v1
	v_dual_mov_b32 v124, v150 :: v_dual_mov_b32 v125, v151
.LBB249_256:                            ;   in Loop: Header=BB249_10 Depth=1
	s_or_b32 exec_lo, exec_lo, s24
.LBB249_257:                            ;   in Loop: Header=BB249_10 Depth=1
	s_delay_alu instid0(SALU_CYCLE_1)
	s_or_b32 exec_lo, exec_lo, s23
.LBB249_258:                            ;   in Loop: Header=BB249_10 Depth=1
	s_delay_alu instid0(SALU_CYCLE_1) | instskip(SKIP_2) | instid1(VALU_DEP_1)
	s_or_b32 exec_lo, exec_lo, s4
	v_lshrrev_b16 v1, 8, v0
	s_mov_b32 s23, exec_lo
	v_cmpx_ne_u16_e32 0, v1
	s_cbranch_execz .LBB249_266
; %bb.259:                              ;   in Loop: Header=BB249_10 Depth=1
	v_dual_mov_b32 v123, s9 :: v_dual_mov_b32 v122, s8
	s_mov_b32 s24, exec_lo
	v_cmpx_ne_u16_e32 0x80, v1
	s_cbranch_execz .LBB249_265
; %bb.260:                              ;   in Loop: Header=BB249_10 Depth=1
	s_mov_b32 s4, s8
	v_and_b32_e32 v1, 0xffff, v1
	v_dual_mov_b32 v123, s5 :: v_dual_mov_b32 v122, s4
	s_mov_b32 s4, exec_lo
	s_delay_alu instid0(VALU_DEP_2) | instskip(NEXT) | instid1(VALU_DEP_1)
	v_and_b32_e32 v2, 0x7f, v1
	v_cmpx_ne_u32_e32 0x7f, v2
	s_cbranch_execz .LBB249_264
; %bb.261:                              ;   in Loop: Header=BB249_10 Depth=1
	v_and_b32_e32 v150, 7, v1
	v_lshrrev_b32_e32 v1, 3, v2
	s_mov_b32 s25, exec_lo
	v_cmpx_gt_u32_e32 8, v2
; %bb.262:                              ;   in Loop: Header=BB249_10 Depth=1
	s_delay_alu instid0(VALU_DEP_3) | instskip(NEXT) | instid1(VALU_DEP_1)
	v_clz_i32_u32_e32 v1, v150
	v_min_u32_e32 v1, 32, v1
	s_delay_alu instid0(VALU_DEP_1) | instskip(SKIP_1) | instid1(VALU_DEP_2)
	v_subrev_nc_u32_e32 v2, 28, v1
	v_sub_nc_u32_e32 v1, 29, v1
	v_lshlrev_b64 v[2:3], v2, v[150:151]
	s_delay_alu instid0(VALU_DEP_1)
	v_and_b32_e32 v150, 7, v2
; %bb.263:                              ;   in Loop: Header=BB249_10 Depth=1
	s_or_b32 exec_lo, exec_lo, s25
	v_lshlrev_b32_e32 v0, 16, v0
	s_delay_alu instid0(VALU_DEP_2) | instskip(SKIP_2) | instid1(VALU_DEP_4)
	v_lshlrev_b32_e32 v2, 20, v150
	v_lshl_add_u32 v1, v1, 23, 0x3c000000
	v_mov_b32_e32 v122, v151
	v_and_b32_e32 v0, 0x80000000, v0
	s_delay_alu instid0(VALU_DEP_1)
	v_or3_b32 v123, v2, v0, v1
.LBB249_264:                            ;   in Loop: Header=BB249_10 Depth=1
	s_or_b32 exec_lo, exec_lo, s4
.LBB249_265:                            ;   in Loop: Header=BB249_10 Depth=1
	s_delay_alu instid0(SALU_CYCLE_1)
	s_or_b32 exec_lo, exec_lo, s24
.LBB249_266:                            ;   in Loop: Header=BB249_10 Depth=1
	s_delay_alu instid0(SALU_CYCLE_1)
	s_or_b32 exec_lo, exec_lo, s23
	flat_load_u16 v0, v[176:177] offset:1024
	v_mov_b32_e32 v126, 0
	v_mov_b32_e32 v127, 0
	s_mov_b32 s4, exec_lo
	s_waitcnt vmcnt(0) lgkmcnt(0)
	v_and_b32_e32 v1, 0xff, v0
	s_delay_alu instid0(VALU_DEP_2) | instskip(SKIP_1) | instid1(VALU_DEP_3)
	v_dual_mov_b32 v137, v127 :: v_dual_and_b32 v0, 0xffff, v0
	v_mov_b32_e32 v136, v126
	v_cmpx_ne_u16_e32 0, v1
	s_cbranch_execz .LBB249_274
; %bb.267:                              ;   in Loop: Header=BB249_10 Depth=1
	v_bfrev_b32_e32 v136, 1
	v_and_b32_e32 v1, 0xff, v0
	v_mov_b32_e32 v137, 0
	s_mov_b32 s23, exec_lo
	s_delay_alu instid0(VALU_DEP_2)
	v_cmpx_ne_u16_e32 0x80, v1
	s_cbranch_execz .LBB249_273
; %bb.268:                              ;   in Loop: Header=BB249_10 Depth=1
	v_mov_b32_e32 v136, 0x7f800001
	v_dual_mov_b32 v137, 0 :: v_dual_and_b32 v2, 0x7f, v0
	s_mov_b32 s24, exec_lo
	s_delay_alu instid0(VALU_DEP_1)
	v_cmpx_ne_u32_e32 0x7f, v2
	s_cbranch_execz .LBB249_272
; %bb.269:                              ;   in Loop: Header=BB249_10 Depth=1
	v_and_b32_e32 v150, 7, v0
	v_lshrrev_b32_e32 v1, 3, v2
	s_mov_b32 s25, exec_lo
	v_cmpx_gt_u32_e32 8, v2
; %bb.270:                              ;   in Loop: Header=BB249_10 Depth=1
	s_delay_alu instid0(VALU_DEP_3) | instskip(NEXT) | instid1(VALU_DEP_1)
	v_clz_i32_u32_e32 v1, v150
	v_min_u32_e32 v1, 32, v1
	s_delay_alu instid0(VALU_DEP_1) | instskip(SKIP_1) | instid1(VALU_DEP_2)
	v_subrev_nc_u32_e32 v2, 28, v1
	v_sub_nc_u32_e32 v1, 29, v1
	v_lshlrev_b64 v[2:3], v2, v[150:151]
	s_delay_alu instid0(VALU_DEP_1)
	v_and_b32_e32 v150, 7, v2
; %bb.271:                              ;   in Loop: Header=BB249_10 Depth=1
	s_or_b32 exec_lo, exec_lo, s25
	v_lshlrev_b32_e32 v2, 24, v0
	s_delay_alu instid0(VALU_DEP_2) | instskip(SKIP_1) | instid1(VALU_DEP_3)
	v_lshlrev_b32_e32 v3, 20, v150
	v_lshl_add_u32 v1, v1, 23, 0x3c000000
	v_and_b32_e32 v2, 0x80000000, v2
	s_delay_alu instid0(VALU_DEP_1) | instskip(NEXT) | instid1(VALU_DEP_1)
	v_or3_b32 v150, v3, v2, v1
	v_dual_mov_b32 v136, v150 :: v_dual_mov_b32 v137, v151
.LBB249_272:                            ;   in Loop: Header=BB249_10 Depth=1
	s_or_b32 exec_lo, exec_lo, s24
.LBB249_273:                            ;   in Loop: Header=BB249_10 Depth=1
	s_delay_alu instid0(SALU_CYCLE_1)
	s_or_b32 exec_lo, exec_lo, s23
.LBB249_274:                            ;   in Loop: Header=BB249_10 Depth=1
	s_delay_alu instid0(SALU_CYCLE_1) | instskip(SKIP_2) | instid1(VALU_DEP_1)
	s_or_b32 exec_lo, exec_lo, s4
	v_lshrrev_b16 v1, 8, v0
	s_mov_b32 s23, exec_lo
	v_cmpx_ne_u16_e32 0, v1
	s_cbranch_execz .LBB249_282
; %bb.275:                              ;   in Loop: Header=BB249_10 Depth=1
	v_dual_mov_b32 v127, s9 :: v_dual_mov_b32 v126, s8
	s_mov_b32 s24, exec_lo
	v_cmpx_ne_u16_e32 0x80, v1
	s_cbranch_execz .LBB249_281
; %bb.276:                              ;   in Loop: Header=BB249_10 Depth=1
	s_mov_b32 s4, s8
	v_and_b32_e32 v1, 0xffff, v1
	v_dual_mov_b32 v127, s5 :: v_dual_mov_b32 v126, s4
	s_mov_b32 s4, exec_lo
	s_delay_alu instid0(VALU_DEP_2) | instskip(NEXT) | instid1(VALU_DEP_1)
	v_and_b32_e32 v2, 0x7f, v1
	v_cmpx_ne_u32_e32 0x7f, v2
	s_cbranch_execz .LBB249_280
; %bb.277:                              ;   in Loop: Header=BB249_10 Depth=1
	v_and_b32_e32 v150, 7, v1
	v_lshrrev_b32_e32 v1, 3, v2
	s_mov_b32 s25, exec_lo
	v_cmpx_gt_u32_e32 8, v2
; %bb.278:                              ;   in Loop: Header=BB249_10 Depth=1
	s_delay_alu instid0(VALU_DEP_3) | instskip(NEXT) | instid1(VALU_DEP_1)
	v_clz_i32_u32_e32 v1, v150
	v_min_u32_e32 v1, 32, v1
	s_delay_alu instid0(VALU_DEP_1) | instskip(SKIP_1) | instid1(VALU_DEP_2)
	v_subrev_nc_u32_e32 v2, 28, v1
	v_sub_nc_u32_e32 v1, 29, v1
	v_lshlrev_b64 v[2:3], v2, v[150:151]
	s_delay_alu instid0(VALU_DEP_1)
	v_and_b32_e32 v150, 7, v2
; %bb.279:                              ;   in Loop: Header=BB249_10 Depth=1
	s_or_b32 exec_lo, exec_lo, s25
	v_lshlrev_b32_e32 v0, 16, v0
	s_delay_alu instid0(VALU_DEP_2) | instskip(SKIP_2) | instid1(VALU_DEP_4)
	v_lshlrev_b32_e32 v2, 20, v150
	v_lshl_add_u32 v1, v1, 23, 0x3c000000
	v_mov_b32_e32 v126, v151
	v_and_b32_e32 v0, 0x80000000, v0
	s_delay_alu instid0(VALU_DEP_1)
	v_or3_b32 v127, v2, v0, v1
.LBB249_280:                            ;   in Loop: Header=BB249_10 Depth=1
	s_or_b32 exec_lo, exec_lo, s4
.LBB249_281:                            ;   in Loop: Header=BB249_10 Depth=1
	s_delay_alu instid0(SALU_CYCLE_1)
	s_or_b32 exec_lo, exec_lo, s24
.LBB249_282:                            ;   in Loop: Header=BB249_10 Depth=1
	s_delay_alu instid0(SALU_CYCLE_1)
	s_or_b32 exec_lo, exec_lo, s23
	flat_load_u16 v0, v[176:177] offset:1028
	v_mov_b32_e32 v138, 0
	v_mov_b32_e32 v139, 0
	s_mov_b32 s4, exec_lo
	s_waitcnt vmcnt(0) lgkmcnt(0)
	v_and_b32_e32 v1, 0xff, v0
	s_delay_alu instid0(VALU_DEP_2) | instskip(SKIP_1) | instid1(VALU_DEP_3)
	v_dual_mov_b32 v141, v139 :: v_dual_and_b32 v0, 0xffff, v0
	v_mov_b32_e32 v140, v138
	v_cmpx_ne_u16_e32 0, v1
	s_cbranch_execz .LBB249_290
; %bb.283:                              ;   in Loop: Header=BB249_10 Depth=1
	v_bfrev_b32_e32 v140, 1
	v_and_b32_e32 v1, 0xff, v0
	v_mov_b32_e32 v141, 0
	s_mov_b32 s23, exec_lo
	s_delay_alu instid0(VALU_DEP_2)
	v_cmpx_ne_u16_e32 0x80, v1
	s_cbranch_execz .LBB249_289
; %bb.284:                              ;   in Loop: Header=BB249_10 Depth=1
	v_mov_b32_e32 v140, 0x7f800001
	v_dual_mov_b32 v141, 0 :: v_dual_and_b32 v2, 0x7f, v0
	s_mov_b32 s24, exec_lo
	s_delay_alu instid0(VALU_DEP_1)
	v_cmpx_ne_u32_e32 0x7f, v2
	s_cbranch_execz .LBB249_288
; %bb.285:                              ;   in Loop: Header=BB249_10 Depth=1
	v_and_b32_e32 v150, 7, v0
	v_lshrrev_b32_e32 v1, 3, v2
	s_mov_b32 s25, exec_lo
	v_cmpx_gt_u32_e32 8, v2
; %bb.286:                              ;   in Loop: Header=BB249_10 Depth=1
	s_delay_alu instid0(VALU_DEP_3) | instskip(NEXT) | instid1(VALU_DEP_1)
	v_clz_i32_u32_e32 v1, v150
	v_min_u32_e32 v1, 32, v1
	s_delay_alu instid0(VALU_DEP_1) | instskip(SKIP_1) | instid1(VALU_DEP_2)
	v_subrev_nc_u32_e32 v2, 28, v1
	v_sub_nc_u32_e32 v1, 29, v1
	v_lshlrev_b64 v[2:3], v2, v[150:151]
	s_delay_alu instid0(VALU_DEP_1)
	v_and_b32_e32 v150, 7, v2
; %bb.287:                              ;   in Loop: Header=BB249_10 Depth=1
	s_or_b32 exec_lo, exec_lo, s25
	v_lshlrev_b32_e32 v2, 24, v0
	s_delay_alu instid0(VALU_DEP_2) | instskip(SKIP_1) | instid1(VALU_DEP_3)
	v_lshlrev_b32_e32 v3, 20, v150
	v_lshl_add_u32 v1, v1, 23, 0x3c000000
	v_and_b32_e32 v2, 0x80000000, v2
	s_delay_alu instid0(VALU_DEP_1) | instskip(NEXT) | instid1(VALU_DEP_1)
	v_or3_b32 v150, v3, v2, v1
	v_dual_mov_b32 v140, v150 :: v_dual_mov_b32 v141, v151
.LBB249_288:                            ;   in Loop: Header=BB249_10 Depth=1
	s_or_b32 exec_lo, exec_lo, s24
.LBB249_289:                            ;   in Loop: Header=BB249_10 Depth=1
	s_delay_alu instid0(SALU_CYCLE_1)
	s_or_b32 exec_lo, exec_lo, s23
.LBB249_290:                            ;   in Loop: Header=BB249_10 Depth=1
	s_delay_alu instid0(SALU_CYCLE_1) | instskip(SKIP_2) | instid1(VALU_DEP_1)
	s_or_b32 exec_lo, exec_lo, s4
	v_lshrrev_b16 v1, 8, v0
	s_mov_b32 s23, exec_lo
	v_cmpx_ne_u16_e32 0, v1
	s_cbranch_execz .LBB249_298
; %bb.291:                              ;   in Loop: Header=BB249_10 Depth=1
	v_dual_mov_b32 v139, s9 :: v_dual_mov_b32 v138, s8
	s_mov_b32 s24, exec_lo
	v_cmpx_ne_u16_e32 0x80, v1
	s_cbranch_execz .LBB249_297
; %bb.292:                              ;   in Loop: Header=BB249_10 Depth=1
	s_mov_b32 s4, s8
	v_and_b32_e32 v1, 0xffff, v1
	v_dual_mov_b32 v139, s5 :: v_dual_mov_b32 v138, s4
	s_mov_b32 s4, exec_lo
	s_delay_alu instid0(VALU_DEP_2) | instskip(NEXT) | instid1(VALU_DEP_1)
	v_and_b32_e32 v2, 0x7f, v1
	v_cmpx_ne_u32_e32 0x7f, v2
	s_cbranch_execz .LBB249_296
; %bb.293:                              ;   in Loop: Header=BB249_10 Depth=1
	v_and_b32_e32 v150, 7, v1
	v_lshrrev_b32_e32 v1, 3, v2
	s_mov_b32 s25, exec_lo
	v_cmpx_gt_u32_e32 8, v2
; %bb.294:                              ;   in Loop: Header=BB249_10 Depth=1
	s_delay_alu instid0(VALU_DEP_3) | instskip(NEXT) | instid1(VALU_DEP_1)
	v_clz_i32_u32_e32 v1, v150
	v_min_u32_e32 v1, 32, v1
	s_delay_alu instid0(VALU_DEP_1) | instskip(SKIP_1) | instid1(VALU_DEP_2)
	v_subrev_nc_u32_e32 v2, 28, v1
	v_sub_nc_u32_e32 v1, 29, v1
	v_lshlrev_b64 v[2:3], v2, v[150:151]
	s_delay_alu instid0(VALU_DEP_1)
	v_and_b32_e32 v150, 7, v2
; %bb.295:                              ;   in Loop: Header=BB249_10 Depth=1
	s_or_b32 exec_lo, exec_lo, s25
	v_lshlrev_b32_e32 v0, 16, v0
	s_delay_alu instid0(VALU_DEP_2) | instskip(SKIP_2) | instid1(VALU_DEP_4)
	v_lshlrev_b32_e32 v2, 20, v150
	v_lshl_add_u32 v1, v1, 23, 0x3c000000
	v_mov_b32_e32 v138, v151
	v_and_b32_e32 v0, 0x80000000, v0
	s_delay_alu instid0(VALU_DEP_1)
	v_or3_b32 v139, v2, v0, v1
.LBB249_296:                            ;   in Loop: Header=BB249_10 Depth=1
	s_or_b32 exec_lo, exec_lo, s4
.LBB249_297:                            ;   in Loop: Header=BB249_10 Depth=1
	s_delay_alu instid0(SALU_CYCLE_1)
	s_or_b32 exec_lo, exec_lo, s24
.LBB249_298:                            ;   in Loop: Header=BB249_10 Depth=1
	s_delay_alu instid0(SALU_CYCLE_1) | instskip(SKIP_1) | instid1(VALU_DEP_1)
	s_or_b32 exec_lo, exec_lo, s23
	v_add_co_u32 v0, s3, 0x400, v176
	v_add_co_ci_u32_e64 v1, s3, 0, v177, s3
	s_mov_b32 s4, exec_lo
	flat_load_u16 v2, v[0:1] offset:8
	v_mov_b32_e32 v142, 0
	v_mov_b32_e32 v143, 0
	s_waitcnt vmcnt(0) lgkmcnt(0)
	v_and_b32_e32 v3, 0xff, v2
	s_delay_alu instid0(VALU_DEP_2) | instskip(SKIP_1) | instid1(VALU_DEP_3)
	v_dual_mov_b32 v153, v143 :: v_dual_and_b32 v2, 0xffff, v2
	v_mov_b32_e32 v152, v142
	v_cmpx_ne_u16_e32 0, v3
	s_cbranch_execz .LBB249_306
; %bb.299:                              ;   in Loop: Header=BB249_10 Depth=1
	v_bfrev_b32_e32 v152, 1
	v_and_b32_e32 v3, 0xff, v2
	v_mov_b32_e32 v153, 0
	s_mov_b32 s23, exec_lo
	s_delay_alu instid0(VALU_DEP_2)
	v_cmpx_ne_u16_e32 0x80, v3
	s_cbranch_execz .LBB249_305
; %bb.300:                              ;   in Loop: Header=BB249_10 Depth=1
	v_mov_b32_e32 v152, 0x7f800001
	v_dual_mov_b32 v153, 0 :: v_dual_and_b32 v4, 0x7f, v2
	s_mov_b32 s24, exec_lo
	s_delay_alu instid0(VALU_DEP_1)
	v_cmpx_ne_u32_e32 0x7f, v4
	s_cbranch_execz .LBB249_304
; %bb.301:                              ;   in Loop: Header=BB249_10 Depth=1
	v_and_b32_e32 v150, 7, v2
	v_lshrrev_b32_e32 v3, 3, v4
	s_mov_b32 s25, exec_lo
	v_cmpx_gt_u32_e32 8, v4
; %bb.302:                              ;   in Loop: Header=BB249_10 Depth=1
	s_delay_alu instid0(VALU_DEP_3) | instskip(NEXT) | instid1(VALU_DEP_1)
	v_clz_i32_u32_e32 v3, v150
	v_min_u32_e32 v3, 32, v3
	s_delay_alu instid0(VALU_DEP_1) | instskip(SKIP_1) | instid1(VALU_DEP_2)
	v_subrev_nc_u32_e32 v4, 28, v3
	v_sub_nc_u32_e32 v3, 29, v3
	v_lshlrev_b64 v[4:5], v4, v[150:151]
	s_delay_alu instid0(VALU_DEP_1)
	v_and_b32_e32 v150, 7, v4
; %bb.303:                              ;   in Loop: Header=BB249_10 Depth=1
	s_or_b32 exec_lo, exec_lo, s25
	v_lshlrev_b32_e32 v4, 24, v2
	s_delay_alu instid0(VALU_DEP_2) | instskip(SKIP_1) | instid1(VALU_DEP_3)
	v_lshlrev_b32_e32 v5, 20, v150
	v_lshl_add_u32 v3, v3, 23, 0x3c000000
	v_and_b32_e32 v4, 0x80000000, v4
	s_delay_alu instid0(VALU_DEP_1) | instskip(NEXT) | instid1(VALU_DEP_1)
	v_or3_b32 v150, v5, v4, v3
	v_dual_mov_b32 v153, v151 :: v_dual_mov_b32 v152, v150
.LBB249_304:                            ;   in Loop: Header=BB249_10 Depth=1
	s_or_b32 exec_lo, exec_lo, s24
.LBB249_305:                            ;   in Loop: Header=BB249_10 Depth=1
	s_delay_alu instid0(SALU_CYCLE_1)
	s_or_b32 exec_lo, exec_lo, s23
.LBB249_306:                            ;   in Loop: Header=BB249_10 Depth=1
	s_delay_alu instid0(SALU_CYCLE_1) | instskip(SKIP_2) | instid1(VALU_DEP_1)
	s_or_b32 exec_lo, exec_lo, s4
	v_lshrrev_b16 v3, 8, v2
	s_mov_b32 s23, exec_lo
	v_cmpx_ne_u16_e32 0, v3
	s_cbranch_execz .LBB249_314
; %bb.307:                              ;   in Loop: Header=BB249_10 Depth=1
	v_dual_mov_b32 v143, s9 :: v_dual_mov_b32 v142, s8
	s_mov_b32 s24, exec_lo
	v_cmpx_ne_u16_e32 0x80, v3
	s_cbranch_execz .LBB249_313
; %bb.308:                              ;   in Loop: Header=BB249_10 Depth=1
	s_mov_b32 s4, s8
	v_and_b32_e32 v3, 0xffff, v3
	v_dual_mov_b32 v143, s5 :: v_dual_mov_b32 v142, s4
	s_mov_b32 s4, exec_lo
	s_delay_alu instid0(VALU_DEP_2) | instskip(NEXT) | instid1(VALU_DEP_1)
	v_and_b32_e32 v4, 0x7f, v3
	v_cmpx_ne_u32_e32 0x7f, v4
	s_cbranch_execz .LBB249_312
; %bb.309:                              ;   in Loop: Header=BB249_10 Depth=1
	v_and_b32_e32 v150, 7, v3
	v_lshrrev_b32_e32 v3, 3, v4
	s_mov_b32 s25, exec_lo
	v_cmpx_gt_u32_e32 8, v4
; %bb.310:                              ;   in Loop: Header=BB249_10 Depth=1
	s_delay_alu instid0(VALU_DEP_3) | instskip(NEXT) | instid1(VALU_DEP_1)
	v_clz_i32_u32_e32 v3, v150
	v_min_u32_e32 v3, 32, v3
	s_delay_alu instid0(VALU_DEP_1) | instskip(SKIP_1) | instid1(VALU_DEP_2)
	v_subrev_nc_u32_e32 v4, 28, v3
	v_sub_nc_u32_e32 v3, 29, v3
	v_lshlrev_b64 v[4:5], v4, v[150:151]
	s_delay_alu instid0(VALU_DEP_1)
	v_and_b32_e32 v150, 7, v4
; %bb.311:                              ;   in Loop: Header=BB249_10 Depth=1
	s_or_b32 exec_lo, exec_lo, s25
	v_lshlrev_b32_e32 v2, 16, v2
	s_delay_alu instid0(VALU_DEP_2) | instskip(SKIP_2) | instid1(VALU_DEP_4)
	v_lshlrev_b32_e32 v4, 20, v150
	v_lshl_add_u32 v3, v3, 23, 0x3c000000
	v_mov_b32_e32 v142, v151
	v_and_b32_e32 v2, 0x80000000, v2
	s_delay_alu instid0(VALU_DEP_1)
	v_or3_b32 v143, v4, v2, v3
.LBB249_312:                            ;   in Loop: Header=BB249_10 Depth=1
	s_or_b32 exec_lo, exec_lo, s4
.LBB249_313:                            ;   in Loop: Header=BB249_10 Depth=1
	s_delay_alu instid0(SALU_CYCLE_1)
	s_or_b32 exec_lo, exec_lo, s24
.LBB249_314:                            ;   in Loop: Header=BB249_10 Depth=1
	s_delay_alu instid0(SALU_CYCLE_1)
	s_or_b32 exec_lo, exec_lo, s23
	flat_load_u16 v0, v[0:1] offset:12
	v_mov_b32_e32 v154, 0
	v_mov_b32_e32 v155, 0
	s_mov_b32 s4, exec_lo
	s_waitcnt vmcnt(0) lgkmcnt(0)
	v_and_b32_e32 v1, 0xff, v0
	s_delay_alu instid0(VALU_DEP_2) | instskip(SKIP_1) | instid1(VALU_DEP_3)
	v_dual_mov_b32 v157, v155 :: v_dual_and_b32 v0, 0xffff, v0
	v_mov_b32_e32 v156, v154
	v_cmpx_ne_u16_e32 0, v1
	s_cbranch_execz .LBB249_322
; %bb.315:                              ;   in Loop: Header=BB249_10 Depth=1
	v_bfrev_b32_e32 v156, 1
	v_and_b32_e32 v1, 0xff, v0
	v_mov_b32_e32 v157, 0
	s_mov_b32 s23, exec_lo
	s_delay_alu instid0(VALU_DEP_2)
	v_cmpx_ne_u16_e32 0x80, v1
	s_cbranch_execz .LBB249_321
; %bb.316:                              ;   in Loop: Header=BB249_10 Depth=1
	v_mov_b32_e32 v156, 0x7f800001
	v_dual_mov_b32 v157, 0 :: v_dual_and_b32 v2, 0x7f, v0
	s_mov_b32 s24, exec_lo
	s_delay_alu instid0(VALU_DEP_1)
	v_cmpx_ne_u32_e32 0x7f, v2
	s_cbranch_execz .LBB249_320
; %bb.317:                              ;   in Loop: Header=BB249_10 Depth=1
	v_and_b32_e32 v150, 7, v0
	v_lshrrev_b32_e32 v1, 3, v2
	s_mov_b32 s25, exec_lo
	v_cmpx_gt_u32_e32 8, v2
; %bb.318:                              ;   in Loop: Header=BB249_10 Depth=1
	s_delay_alu instid0(VALU_DEP_3) | instskip(NEXT) | instid1(VALU_DEP_1)
	v_clz_i32_u32_e32 v1, v150
	v_min_u32_e32 v1, 32, v1
	s_delay_alu instid0(VALU_DEP_1) | instskip(SKIP_1) | instid1(VALU_DEP_2)
	v_subrev_nc_u32_e32 v2, 28, v1
	v_sub_nc_u32_e32 v1, 29, v1
	v_lshlrev_b64 v[2:3], v2, v[150:151]
	s_delay_alu instid0(VALU_DEP_1)
	v_and_b32_e32 v150, 7, v2
; %bb.319:                              ;   in Loop: Header=BB249_10 Depth=1
	s_or_b32 exec_lo, exec_lo, s25
	v_lshlrev_b32_e32 v2, 24, v0
	s_delay_alu instid0(VALU_DEP_2) | instskip(SKIP_1) | instid1(VALU_DEP_3)
	v_lshlrev_b32_e32 v3, 20, v150
	v_lshl_add_u32 v1, v1, 23, 0x3c000000
	v_and_b32_e32 v2, 0x80000000, v2
	s_delay_alu instid0(VALU_DEP_1) | instskip(NEXT) | instid1(VALU_DEP_1)
	v_or3_b32 v150, v3, v2, v1
	v_dual_mov_b32 v157, v151 :: v_dual_mov_b32 v156, v150
.LBB249_320:                            ;   in Loop: Header=BB249_10 Depth=1
	s_or_b32 exec_lo, exec_lo, s24
.LBB249_321:                            ;   in Loop: Header=BB249_10 Depth=1
	s_delay_alu instid0(SALU_CYCLE_1)
	s_or_b32 exec_lo, exec_lo, s23
.LBB249_322:                            ;   in Loop: Header=BB249_10 Depth=1
	s_delay_alu instid0(SALU_CYCLE_1) | instskip(SKIP_2) | instid1(VALU_DEP_1)
	s_or_b32 exec_lo, exec_lo, s4
	v_lshrrev_b16 v1, 8, v0
	s_mov_b32 s23, exec_lo
	v_cmpx_ne_u16_e32 0, v1
	s_cbranch_execz .LBB249_330
; %bb.323:                              ;   in Loop: Header=BB249_10 Depth=1
	v_dual_mov_b32 v155, s9 :: v_dual_mov_b32 v154, s8
	s_mov_b32 s24, exec_lo
	v_cmpx_ne_u16_e32 0x80, v1
	s_cbranch_execz .LBB249_329
; %bb.324:                              ;   in Loop: Header=BB249_10 Depth=1
	s_mov_b32 s4, s8
	v_and_b32_e32 v1, 0xffff, v1
	v_dual_mov_b32 v155, s5 :: v_dual_mov_b32 v154, s4
	s_mov_b32 s4, exec_lo
	s_delay_alu instid0(VALU_DEP_2) | instskip(NEXT) | instid1(VALU_DEP_1)
	v_and_b32_e32 v2, 0x7f, v1
	v_cmpx_ne_u32_e32 0x7f, v2
	s_cbranch_execz .LBB249_328
; %bb.325:                              ;   in Loop: Header=BB249_10 Depth=1
	v_and_b32_e32 v150, 7, v1
	v_lshrrev_b32_e32 v1, 3, v2
	s_mov_b32 s25, exec_lo
	v_cmpx_gt_u32_e32 8, v2
; %bb.326:                              ;   in Loop: Header=BB249_10 Depth=1
	s_delay_alu instid0(VALU_DEP_3) | instskip(NEXT) | instid1(VALU_DEP_1)
	v_clz_i32_u32_e32 v1, v150
	v_min_u32_e32 v1, 32, v1
	s_delay_alu instid0(VALU_DEP_1) | instskip(SKIP_1) | instid1(VALU_DEP_2)
	v_subrev_nc_u32_e32 v2, 28, v1
	v_sub_nc_u32_e32 v1, 29, v1
	v_lshlrev_b64 v[2:3], v2, v[150:151]
	s_delay_alu instid0(VALU_DEP_1)
	v_and_b32_e32 v150, 7, v2
; %bb.327:                              ;   in Loop: Header=BB249_10 Depth=1
	s_or_b32 exec_lo, exec_lo, s25
	v_lshlrev_b32_e32 v0, 16, v0
	s_delay_alu instid0(VALU_DEP_2) | instskip(SKIP_2) | instid1(VALU_DEP_4)
	v_lshlrev_b32_e32 v2, 20, v150
	v_lshl_add_u32 v1, v1, 23, 0x3c000000
	v_mov_b32_e32 v154, v151
	v_and_b32_e32 v0, 0x80000000, v0
	s_delay_alu instid0(VALU_DEP_1)
	v_or3_b32 v155, v2, v0, v1
.LBB249_328:                            ;   in Loop: Header=BB249_10 Depth=1
	s_or_b32 exec_lo, exec_lo, s4
.LBB249_329:                            ;   in Loop: Header=BB249_10 Depth=1
	s_delay_alu instid0(SALU_CYCLE_1)
	s_or_b32 exec_lo, exec_lo, s24
.LBB249_330:                            ;   in Loop: Header=BB249_10 Depth=1
	s_delay_alu instid0(SALU_CYCLE_1)
	s_or_b32 exec_lo, exec_lo, s23
	flat_load_u16 v0, v[176:177] offset:1280
	v_mov_b32_e32 v158, 0
	v_mov_b32_e32 v159, 0
	s_mov_b32 s4, exec_lo
	s_waitcnt vmcnt(0) lgkmcnt(0)
	v_and_b32_e32 v1, 0xff, v0
	s_delay_alu instid0(VALU_DEP_2) | instskip(SKIP_1) | instid1(VALU_DEP_3)
	v_dual_mov_b32 v169, v159 :: v_dual_and_b32 v0, 0xffff, v0
	v_mov_b32_e32 v168, v158
	v_cmpx_ne_u16_e32 0, v1
	s_cbranch_execz .LBB249_338
; %bb.331:                              ;   in Loop: Header=BB249_10 Depth=1
	v_bfrev_b32_e32 v168, 1
	v_and_b32_e32 v1, 0xff, v0
	v_mov_b32_e32 v169, 0
	s_mov_b32 s23, exec_lo
	s_delay_alu instid0(VALU_DEP_2)
	v_cmpx_ne_u16_e32 0x80, v1
	s_cbranch_execz .LBB249_337
; %bb.332:                              ;   in Loop: Header=BB249_10 Depth=1
	v_mov_b32_e32 v168, 0x7f800001
	v_dual_mov_b32 v169, 0 :: v_dual_and_b32 v2, 0x7f, v0
	s_mov_b32 s24, exec_lo
	s_delay_alu instid0(VALU_DEP_1)
	v_cmpx_ne_u32_e32 0x7f, v2
	s_cbranch_execz .LBB249_336
; %bb.333:                              ;   in Loop: Header=BB249_10 Depth=1
	v_and_b32_e32 v150, 7, v0
	v_lshrrev_b32_e32 v1, 3, v2
	s_mov_b32 s25, exec_lo
	v_cmpx_gt_u32_e32 8, v2
; %bb.334:                              ;   in Loop: Header=BB249_10 Depth=1
	s_delay_alu instid0(VALU_DEP_3) | instskip(NEXT) | instid1(VALU_DEP_1)
	v_clz_i32_u32_e32 v1, v150
	v_min_u32_e32 v1, 32, v1
	s_delay_alu instid0(VALU_DEP_1) | instskip(SKIP_1) | instid1(VALU_DEP_2)
	v_subrev_nc_u32_e32 v2, 28, v1
	v_sub_nc_u32_e32 v1, 29, v1
	v_lshlrev_b64 v[2:3], v2, v[150:151]
	s_delay_alu instid0(VALU_DEP_1)
	v_and_b32_e32 v150, 7, v2
; %bb.335:                              ;   in Loop: Header=BB249_10 Depth=1
	s_or_b32 exec_lo, exec_lo, s25
	v_lshlrev_b32_e32 v2, 24, v0
	s_delay_alu instid0(VALU_DEP_2) | instskip(SKIP_1) | instid1(VALU_DEP_3)
	v_lshlrev_b32_e32 v3, 20, v150
	v_lshl_add_u32 v1, v1, 23, 0x3c000000
	v_and_b32_e32 v2, 0x80000000, v2
	s_delay_alu instid0(VALU_DEP_1) | instskip(NEXT) | instid1(VALU_DEP_1)
	v_or3_b32 v150, v3, v2, v1
	v_dual_mov_b32 v169, v151 :: v_dual_mov_b32 v168, v150
.LBB249_336:                            ;   in Loop: Header=BB249_10 Depth=1
	s_or_b32 exec_lo, exec_lo, s24
.LBB249_337:                            ;   in Loop: Header=BB249_10 Depth=1
	s_delay_alu instid0(SALU_CYCLE_1)
	s_or_b32 exec_lo, exec_lo, s23
.LBB249_338:                            ;   in Loop: Header=BB249_10 Depth=1
	s_delay_alu instid0(SALU_CYCLE_1) | instskip(SKIP_2) | instid1(VALU_DEP_1)
	s_or_b32 exec_lo, exec_lo, s4
	v_lshrrev_b16 v1, 8, v0
	s_mov_b32 s23, exec_lo
	v_cmpx_ne_u16_e32 0, v1
	s_cbranch_execz .LBB249_346
; %bb.339:                              ;   in Loop: Header=BB249_10 Depth=1
	v_dual_mov_b32 v159, s9 :: v_dual_mov_b32 v158, s8
	s_mov_b32 s24, exec_lo
	v_cmpx_ne_u16_e32 0x80, v1
	s_cbranch_execz .LBB249_345
; %bb.340:                              ;   in Loop: Header=BB249_10 Depth=1
	s_mov_b32 s4, s8
	v_and_b32_e32 v1, 0xffff, v1
	v_dual_mov_b32 v159, s5 :: v_dual_mov_b32 v158, s4
	s_mov_b32 s4, exec_lo
	s_delay_alu instid0(VALU_DEP_2) | instskip(NEXT) | instid1(VALU_DEP_1)
	v_and_b32_e32 v2, 0x7f, v1
	v_cmpx_ne_u32_e32 0x7f, v2
	s_cbranch_execz .LBB249_344
; %bb.341:                              ;   in Loop: Header=BB249_10 Depth=1
	v_and_b32_e32 v150, 7, v1
	v_lshrrev_b32_e32 v1, 3, v2
	s_mov_b32 s25, exec_lo
	v_cmpx_gt_u32_e32 8, v2
; %bb.342:                              ;   in Loop: Header=BB249_10 Depth=1
	s_delay_alu instid0(VALU_DEP_3) | instskip(NEXT) | instid1(VALU_DEP_1)
	v_clz_i32_u32_e32 v1, v150
	v_min_u32_e32 v1, 32, v1
	s_delay_alu instid0(VALU_DEP_1) | instskip(SKIP_1) | instid1(VALU_DEP_2)
	v_subrev_nc_u32_e32 v2, 28, v1
	v_sub_nc_u32_e32 v1, 29, v1
	v_lshlrev_b64 v[2:3], v2, v[150:151]
	s_delay_alu instid0(VALU_DEP_1)
	v_and_b32_e32 v150, 7, v2
; %bb.343:                              ;   in Loop: Header=BB249_10 Depth=1
	s_or_b32 exec_lo, exec_lo, s25
	v_lshlrev_b32_e32 v0, 16, v0
	s_delay_alu instid0(VALU_DEP_2) | instskip(SKIP_2) | instid1(VALU_DEP_4)
	v_lshlrev_b32_e32 v2, 20, v150
	v_lshl_add_u32 v1, v1, 23, 0x3c000000
	v_mov_b32_e32 v158, v151
	v_and_b32_e32 v0, 0x80000000, v0
	s_delay_alu instid0(VALU_DEP_1)
	v_or3_b32 v159, v2, v0, v1
.LBB249_344:                            ;   in Loop: Header=BB249_10 Depth=1
	s_or_b32 exec_lo, exec_lo, s4
.LBB249_345:                            ;   in Loop: Header=BB249_10 Depth=1
	s_delay_alu instid0(SALU_CYCLE_1)
	s_or_b32 exec_lo, exec_lo, s24
.LBB249_346:                            ;   in Loop: Header=BB249_10 Depth=1
	s_delay_alu instid0(SALU_CYCLE_1)
	s_or_b32 exec_lo, exec_lo, s23
	flat_load_u16 v0, v[176:177] offset:1284
	v_mov_b32_e32 v170, 0
	v_mov_b32_e32 v171, 0
	s_mov_b32 s4, exec_lo
	s_waitcnt vmcnt(0) lgkmcnt(0)
	v_and_b32_e32 v1, 0xff, v0
	s_delay_alu instid0(VALU_DEP_2) | instskip(SKIP_1) | instid1(VALU_DEP_3)
	v_dual_mov_b32 v173, v171 :: v_dual_and_b32 v0, 0xffff, v0
	v_mov_b32_e32 v172, v170
	v_cmpx_ne_u16_e32 0, v1
	s_cbranch_execz .LBB249_354
; %bb.347:                              ;   in Loop: Header=BB249_10 Depth=1
	v_bfrev_b32_e32 v172, 1
	v_and_b32_e32 v1, 0xff, v0
	v_mov_b32_e32 v173, 0
	s_mov_b32 s23, exec_lo
	s_delay_alu instid0(VALU_DEP_2)
	v_cmpx_ne_u16_e32 0x80, v1
	s_cbranch_execz .LBB249_353
; %bb.348:                              ;   in Loop: Header=BB249_10 Depth=1
	v_mov_b32_e32 v172, 0x7f800001
	v_dual_mov_b32 v173, 0 :: v_dual_and_b32 v2, 0x7f, v0
	s_mov_b32 s24, exec_lo
	s_delay_alu instid0(VALU_DEP_1)
	v_cmpx_ne_u32_e32 0x7f, v2
	s_cbranch_execz .LBB249_352
; %bb.349:                              ;   in Loop: Header=BB249_10 Depth=1
	v_and_b32_e32 v150, 7, v0
	v_lshrrev_b32_e32 v1, 3, v2
	s_mov_b32 s25, exec_lo
	v_cmpx_gt_u32_e32 8, v2
; %bb.350:                              ;   in Loop: Header=BB249_10 Depth=1
	s_delay_alu instid0(VALU_DEP_3) | instskip(NEXT) | instid1(VALU_DEP_1)
	v_clz_i32_u32_e32 v1, v150
	v_min_u32_e32 v1, 32, v1
	s_delay_alu instid0(VALU_DEP_1) | instskip(SKIP_1) | instid1(VALU_DEP_2)
	v_subrev_nc_u32_e32 v2, 28, v1
	v_sub_nc_u32_e32 v1, 29, v1
	v_lshlrev_b64 v[2:3], v2, v[150:151]
	s_delay_alu instid0(VALU_DEP_1)
	v_and_b32_e32 v150, 7, v2
; %bb.351:                              ;   in Loop: Header=BB249_10 Depth=1
	s_or_b32 exec_lo, exec_lo, s25
	v_lshlrev_b32_e32 v2, 24, v0
	s_delay_alu instid0(VALU_DEP_2) | instskip(SKIP_1) | instid1(VALU_DEP_3)
	v_lshlrev_b32_e32 v3, 20, v150
	v_lshl_add_u32 v1, v1, 23, 0x3c000000
	v_and_b32_e32 v2, 0x80000000, v2
	s_delay_alu instid0(VALU_DEP_1) | instskip(NEXT) | instid1(VALU_DEP_1)
	v_or3_b32 v150, v3, v2, v1
	v_dual_mov_b32 v173, v151 :: v_dual_mov_b32 v172, v150
.LBB249_352:                            ;   in Loop: Header=BB249_10 Depth=1
	s_or_b32 exec_lo, exec_lo, s24
.LBB249_353:                            ;   in Loop: Header=BB249_10 Depth=1
	s_delay_alu instid0(SALU_CYCLE_1)
	s_or_b32 exec_lo, exec_lo, s23
.LBB249_354:                            ;   in Loop: Header=BB249_10 Depth=1
	s_delay_alu instid0(SALU_CYCLE_1) | instskip(SKIP_2) | instid1(VALU_DEP_1)
	s_or_b32 exec_lo, exec_lo, s4
	v_lshrrev_b16 v1, 8, v0
	s_mov_b32 s23, exec_lo
	v_cmpx_ne_u16_e32 0, v1
	s_cbranch_execz .LBB249_362
; %bb.355:                              ;   in Loop: Header=BB249_10 Depth=1
	v_dual_mov_b32 v171, s9 :: v_dual_mov_b32 v170, s8
	s_mov_b32 s24, exec_lo
	v_cmpx_ne_u16_e32 0x80, v1
	s_cbranch_execz .LBB249_361
; %bb.356:                              ;   in Loop: Header=BB249_10 Depth=1
	s_mov_b32 s4, s8
	v_and_b32_e32 v1, 0xffff, v1
	v_dual_mov_b32 v171, s5 :: v_dual_mov_b32 v170, s4
	s_mov_b32 s4, exec_lo
	s_delay_alu instid0(VALU_DEP_2) | instskip(NEXT) | instid1(VALU_DEP_1)
	v_and_b32_e32 v2, 0x7f, v1
	v_cmpx_ne_u32_e32 0x7f, v2
	s_cbranch_execz .LBB249_360
; %bb.357:                              ;   in Loop: Header=BB249_10 Depth=1
	v_and_b32_e32 v150, 7, v1
	v_lshrrev_b32_e32 v1, 3, v2
	s_mov_b32 s25, exec_lo
	v_cmpx_gt_u32_e32 8, v2
; %bb.358:                              ;   in Loop: Header=BB249_10 Depth=1
	s_delay_alu instid0(VALU_DEP_3) | instskip(NEXT) | instid1(VALU_DEP_1)
	v_clz_i32_u32_e32 v1, v150
	v_min_u32_e32 v1, 32, v1
	s_delay_alu instid0(VALU_DEP_1) | instskip(SKIP_1) | instid1(VALU_DEP_2)
	v_subrev_nc_u32_e32 v2, 28, v1
	v_sub_nc_u32_e32 v1, 29, v1
	v_lshlrev_b64 v[2:3], v2, v[150:151]
	s_delay_alu instid0(VALU_DEP_1)
	v_and_b32_e32 v150, 7, v2
; %bb.359:                              ;   in Loop: Header=BB249_10 Depth=1
	s_or_b32 exec_lo, exec_lo, s25
	v_lshlrev_b32_e32 v0, 16, v0
	s_delay_alu instid0(VALU_DEP_2) | instskip(SKIP_2) | instid1(VALU_DEP_4)
	v_lshlrev_b32_e32 v2, 20, v150
	v_lshl_add_u32 v1, v1, 23, 0x3c000000
	v_mov_b32_e32 v170, v151
	v_and_b32_e32 v0, 0x80000000, v0
	s_delay_alu instid0(VALU_DEP_1)
	v_or3_b32 v171, v2, v0, v1
.LBB249_360:                            ;   in Loop: Header=BB249_10 Depth=1
	s_or_b32 exec_lo, exec_lo, s4
.LBB249_361:                            ;   in Loop: Header=BB249_10 Depth=1
	s_delay_alu instid0(SALU_CYCLE_1)
	s_or_b32 exec_lo, exec_lo, s24
.LBB249_362:                            ;   in Loop: Header=BB249_10 Depth=1
	s_delay_alu instid0(SALU_CYCLE_1) | instskip(SKIP_1) | instid1(VALU_DEP_1)
	s_or_b32 exec_lo, exec_lo, s23
	v_add_co_u32 v0, s3, 0x500, v176
	v_add_co_ci_u32_e64 v1, s3, 0, v177, s3
	s_mov_b32 s4, exec_lo
	flat_load_u16 v2, v[0:1] offset:8
	v_mov_b32_e32 v174, 0
	v_mov_b32_e32 v175, 0
	s_waitcnt vmcnt(0) lgkmcnt(0)
	v_and_b32_e32 v3, 0xff, v2
	s_delay_alu instid0(VALU_DEP_2) | instskip(SKIP_1) | instid1(VALU_DEP_3)
	v_dual_mov_b32 v185, v175 :: v_dual_and_b32 v2, 0xffff, v2
	v_mov_b32_e32 v184, v174
	v_cmpx_ne_u16_e32 0, v3
	s_cbranch_execz .LBB249_370
; %bb.363:                              ;   in Loop: Header=BB249_10 Depth=1
	v_bfrev_b32_e32 v184, 1
	v_and_b32_e32 v3, 0xff, v2
	v_mov_b32_e32 v185, 0
	s_mov_b32 s23, exec_lo
	s_delay_alu instid0(VALU_DEP_2)
	v_cmpx_ne_u16_e32 0x80, v3
	s_cbranch_execz .LBB249_369
; %bb.364:                              ;   in Loop: Header=BB249_10 Depth=1
	v_mov_b32_e32 v184, 0x7f800001
	v_dual_mov_b32 v185, 0 :: v_dual_and_b32 v4, 0x7f, v2
	s_mov_b32 s24, exec_lo
	s_delay_alu instid0(VALU_DEP_1)
	v_cmpx_ne_u32_e32 0x7f, v4
	s_cbranch_execz .LBB249_368
; %bb.365:                              ;   in Loop: Header=BB249_10 Depth=1
	v_and_b32_e32 v150, 7, v2
	v_lshrrev_b32_e32 v3, 3, v4
	s_mov_b32 s25, exec_lo
	v_cmpx_gt_u32_e32 8, v4
; %bb.366:                              ;   in Loop: Header=BB249_10 Depth=1
	s_delay_alu instid0(VALU_DEP_3) | instskip(NEXT) | instid1(VALU_DEP_1)
	v_clz_i32_u32_e32 v3, v150
	v_min_u32_e32 v3, 32, v3
	s_delay_alu instid0(VALU_DEP_1) | instskip(SKIP_1) | instid1(VALU_DEP_2)
	v_subrev_nc_u32_e32 v4, 28, v3
	v_sub_nc_u32_e32 v3, 29, v3
	v_lshlrev_b64 v[4:5], v4, v[150:151]
	s_delay_alu instid0(VALU_DEP_1)
	v_and_b32_e32 v150, 7, v4
; %bb.367:                              ;   in Loop: Header=BB249_10 Depth=1
	s_or_b32 exec_lo, exec_lo, s25
	v_lshlrev_b32_e32 v4, 24, v2
	s_delay_alu instid0(VALU_DEP_2) | instskip(SKIP_1) | instid1(VALU_DEP_3)
	v_lshlrev_b32_e32 v5, 20, v150
	v_lshl_add_u32 v3, v3, 23, 0x3c000000
	v_and_b32_e32 v4, 0x80000000, v4
	s_delay_alu instid0(VALU_DEP_1) | instskip(NEXT) | instid1(VALU_DEP_1)
	v_or3_b32 v150, v5, v4, v3
	v_dual_mov_b32 v185, v151 :: v_dual_mov_b32 v184, v150
.LBB249_368:                            ;   in Loop: Header=BB249_10 Depth=1
	s_or_b32 exec_lo, exec_lo, s24
.LBB249_369:                            ;   in Loop: Header=BB249_10 Depth=1
	s_delay_alu instid0(SALU_CYCLE_1)
	s_or_b32 exec_lo, exec_lo, s23
.LBB249_370:                            ;   in Loop: Header=BB249_10 Depth=1
	s_delay_alu instid0(SALU_CYCLE_1) | instskip(SKIP_2) | instid1(VALU_DEP_1)
	s_or_b32 exec_lo, exec_lo, s4
	v_lshrrev_b16 v3, 8, v2
	s_mov_b32 s23, exec_lo
	v_cmpx_ne_u16_e32 0, v3
	s_cbranch_execz .LBB249_378
; %bb.371:                              ;   in Loop: Header=BB249_10 Depth=1
	v_dual_mov_b32 v175, s9 :: v_dual_mov_b32 v174, s8
	s_mov_b32 s24, exec_lo
	v_cmpx_ne_u16_e32 0x80, v3
	s_cbranch_execz .LBB249_377
; %bb.372:                              ;   in Loop: Header=BB249_10 Depth=1
	s_mov_b32 s4, s8
	v_and_b32_e32 v3, 0xffff, v3
	v_dual_mov_b32 v175, s5 :: v_dual_mov_b32 v174, s4
	s_mov_b32 s4, exec_lo
	s_delay_alu instid0(VALU_DEP_2) | instskip(NEXT) | instid1(VALU_DEP_1)
	v_and_b32_e32 v4, 0x7f, v3
	v_cmpx_ne_u32_e32 0x7f, v4
	s_cbranch_execz .LBB249_376
; %bb.373:                              ;   in Loop: Header=BB249_10 Depth=1
	v_and_b32_e32 v150, 7, v3
	v_lshrrev_b32_e32 v3, 3, v4
	s_mov_b32 s25, exec_lo
	v_cmpx_gt_u32_e32 8, v4
; %bb.374:                              ;   in Loop: Header=BB249_10 Depth=1
	s_delay_alu instid0(VALU_DEP_3) | instskip(NEXT) | instid1(VALU_DEP_1)
	v_clz_i32_u32_e32 v3, v150
	v_min_u32_e32 v3, 32, v3
	s_delay_alu instid0(VALU_DEP_1) | instskip(SKIP_1) | instid1(VALU_DEP_2)
	v_subrev_nc_u32_e32 v4, 28, v3
	v_sub_nc_u32_e32 v3, 29, v3
	v_lshlrev_b64 v[4:5], v4, v[150:151]
	s_delay_alu instid0(VALU_DEP_1)
	v_and_b32_e32 v150, 7, v4
; %bb.375:                              ;   in Loop: Header=BB249_10 Depth=1
	s_or_b32 exec_lo, exec_lo, s25
	v_lshlrev_b32_e32 v2, 16, v2
	s_delay_alu instid0(VALU_DEP_2) | instskip(SKIP_2) | instid1(VALU_DEP_4)
	v_lshlrev_b32_e32 v4, 20, v150
	v_lshl_add_u32 v3, v3, 23, 0x3c000000
	v_mov_b32_e32 v174, v151
	v_and_b32_e32 v2, 0x80000000, v2
	s_delay_alu instid0(VALU_DEP_1)
	v_or3_b32 v175, v4, v2, v3
.LBB249_376:                            ;   in Loop: Header=BB249_10 Depth=1
	s_or_b32 exec_lo, exec_lo, s4
.LBB249_377:                            ;   in Loop: Header=BB249_10 Depth=1
	s_delay_alu instid0(SALU_CYCLE_1)
	s_or_b32 exec_lo, exec_lo, s24
.LBB249_378:                            ;   in Loop: Header=BB249_10 Depth=1
	s_delay_alu instid0(SALU_CYCLE_1)
	s_or_b32 exec_lo, exec_lo, s23
	flat_load_u16 v0, v[0:1] offset:12
	v_mov_b32_e32 v186, 0
	v_mov_b32_e32 v187, 0
	s_mov_b32 s4, exec_lo
	s_waitcnt vmcnt(0) lgkmcnt(0)
	v_and_b32_e32 v1, 0xff, v0
	s_delay_alu instid0(VALU_DEP_2) | instskip(SKIP_1) | instid1(VALU_DEP_3)
	v_dual_mov_b32 v189, v187 :: v_dual_and_b32 v0, 0xffff, v0
	v_mov_b32_e32 v188, v186
	v_cmpx_ne_u16_e32 0, v1
	s_cbranch_execz .LBB249_386
; %bb.379:                              ;   in Loop: Header=BB249_10 Depth=1
	v_bfrev_b32_e32 v188, 1
	v_and_b32_e32 v1, 0xff, v0
	v_mov_b32_e32 v189, 0
	s_mov_b32 s23, exec_lo
	s_delay_alu instid0(VALU_DEP_2)
	v_cmpx_ne_u16_e32 0x80, v1
	s_cbranch_execz .LBB249_385
; %bb.380:                              ;   in Loop: Header=BB249_10 Depth=1
	v_mov_b32_e32 v188, 0x7f800001
	v_dual_mov_b32 v189, 0 :: v_dual_and_b32 v2, 0x7f, v0
	s_mov_b32 s24, exec_lo
	s_delay_alu instid0(VALU_DEP_1)
	v_cmpx_ne_u32_e32 0x7f, v2
	s_cbranch_execz .LBB249_384
; %bb.381:                              ;   in Loop: Header=BB249_10 Depth=1
	v_and_b32_e32 v150, 7, v0
	v_lshrrev_b32_e32 v1, 3, v2
	s_mov_b32 s25, exec_lo
	v_cmpx_gt_u32_e32 8, v2
; %bb.382:                              ;   in Loop: Header=BB249_10 Depth=1
	s_delay_alu instid0(VALU_DEP_3) | instskip(NEXT) | instid1(VALU_DEP_1)
	v_clz_i32_u32_e32 v1, v150
	v_min_u32_e32 v1, 32, v1
	s_delay_alu instid0(VALU_DEP_1) | instskip(SKIP_1) | instid1(VALU_DEP_2)
	v_subrev_nc_u32_e32 v2, 28, v1
	v_sub_nc_u32_e32 v1, 29, v1
	v_lshlrev_b64 v[2:3], v2, v[150:151]
	s_delay_alu instid0(VALU_DEP_1)
	v_and_b32_e32 v150, 7, v2
; %bb.383:                              ;   in Loop: Header=BB249_10 Depth=1
	s_or_b32 exec_lo, exec_lo, s25
	v_lshlrev_b32_e32 v2, 24, v0
	s_delay_alu instid0(VALU_DEP_2) | instskip(SKIP_1) | instid1(VALU_DEP_3)
	v_lshlrev_b32_e32 v3, 20, v150
	v_lshl_add_u32 v1, v1, 23, 0x3c000000
	v_and_b32_e32 v2, 0x80000000, v2
	s_delay_alu instid0(VALU_DEP_1) | instskip(NEXT) | instid1(VALU_DEP_1)
	v_or3_b32 v150, v3, v2, v1
	v_dual_mov_b32 v189, v151 :: v_dual_mov_b32 v188, v150
.LBB249_384:                            ;   in Loop: Header=BB249_10 Depth=1
	s_or_b32 exec_lo, exec_lo, s24
.LBB249_385:                            ;   in Loop: Header=BB249_10 Depth=1
	s_delay_alu instid0(SALU_CYCLE_1)
	s_or_b32 exec_lo, exec_lo, s23
.LBB249_386:                            ;   in Loop: Header=BB249_10 Depth=1
	s_delay_alu instid0(SALU_CYCLE_1) | instskip(SKIP_2) | instid1(VALU_DEP_1)
	s_or_b32 exec_lo, exec_lo, s4
	v_lshrrev_b16 v1, 8, v0
	s_mov_b32 s23, exec_lo
	v_cmpx_ne_u16_e32 0, v1
	s_cbranch_execz .LBB249_394
; %bb.387:                              ;   in Loop: Header=BB249_10 Depth=1
	v_dual_mov_b32 v187, s9 :: v_dual_mov_b32 v186, s8
	s_mov_b32 s24, exec_lo
	v_cmpx_ne_u16_e32 0x80, v1
	s_cbranch_execz .LBB249_393
; %bb.388:                              ;   in Loop: Header=BB249_10 Depth=1
	s_mov_b32 s4, s8
	v_and_b32_e32 v1, 0xffff, v1
	v_dual_mov_b32 v187, s5 :: v_dual_mov_b32 v186, s4
	s_mov_b32 s4, exec_lo
	s_delay_alu instid0(VALU_DEP_2) | instskip(NEXT) | instid1(VALU_DEP_1)
	v_and_b32_e32 v2, 0x7f, v1
	v_cmpx_ne_u32_e32 0x7f, v2
	s_cbranch_execz .LBB249_392
; %bb.389:                              ;   in Loop: Header=BB249_10 Depth=1
	v_and_b32_e32 v150, 7, v1
	v_lshrrev_b32_e32 v1, 3, v2
	s_mov_b32 s25, exec_lo
	v_cmpx_gt_u32_e32 8, v2
; %bb.390:                              ;   in Loop: Header=BB249_10 Depth=1
	s_delay_alu instid0(VALU_DEP_3) | instskip(NEXT) | instid1(VALU_DEP_1)
	v_clz_i32_u32_e32 v1, v150
	v_min_u32_e32 v1, 32, v1
	s_delay_alu instid0(VALU_DEP_1) | instskip(SKIP_1) | instid1(VALU_DEP_2)
	v_subrev_nc_u32_e32 v2, 28, v1
	v_sub_nc_u32_e32 v1, 29, v1
	v_lshlrev_b64 v[2:3], v2, v[150:151]
	s_delay_alu instid0(VALU_DEP_1)
	v_and_b32_e32 v150, 7, v2
; %bb.391:                              ;   in Loop: Header=BB249_10 Depth=1
	s_or_b32 exec_lo, exec_lo, s25
	v_lshlrev_b32_e32 v0, 16, v0
	s_delay_alu instid0(VALU_DEP_2) | instskip(SKIP_2) | instid1(VALU_DEP_4)
	v_lshlrev_b32_e32 v2, 20, v150
	v_lshl_add_u32 v1, v1, 23, 0x3c000000
	v_mov_b32_e32 v186, v151
	v_and_b32_e32 v0, 0x80000000, v0
	s_delay_alu instid0(VALU_DEP_1)
	v_or3_b32 v187, v2, v0, v1
.LBB249_392:                            ;   in Loop: Header=BB249_10 Depth=1
	s_or_b32 exec_lo, exec_lo, s4
.LBB249_393:                            ;   in Loop: Header=BB249_10 Depth=1
	s_delay_alu instid0(SALU_CYCLE_1)
	s_or_b32 exec_lo, exec_lo, s24
.LBB249_394:                            ;   in Loop: Header=BB249_10 Depth=1
	s_delay_alu instid0(SALU_CYCLE_1)
	s_or_b32 exec_lo, exec_lo, s23
	flat_load_u16 v0, v[176:177] offset:1536
	v_mov_b32_e32 v190, 0
	v_mov_b32_e32 v191, 0
	s_mov_b32 s4, exec_lo
	s_waitcnt vmcnt(0) lgkmcnt(0)
	v_and_b32_e32 v1, 0xff, v0
	v_and_b32_e32 v0, 0xffff, v0
	v_dual_mov_b32 v132, v190 :: v_dual_mov_b32 v133, v191
	s_delay_alu instid0(VALU_DEP_3)
	v_cmpx_ne_u16_e32 0, v1
	s_cbranch_execz .LBB249_402
; %bb.395:                              ;   in Loop: Header=BB249_10 Depth=1
	v_bfrev_b32_e32 v132, 1
	v_and_b32_e32 v1, 0xff, v0
	v_mov_b32_e32 v133, 0
	s_mov_b32 s23, exec_lo
	s_delay_alu instid0(VALU_DEP_2)
	v_cmpx_ne_u16_e32 0x80, v1
	s_cbranch_execz .LBB249_401
; %bb.396:                              ;   in Loop: Header=BB249_10 Depth=1
	v_mov_b32_e32 v132, 0x7f800001
	v_dual_mov_b32 v133, 0 :: v_dual_and_b32 v2, 0x7f, v0
	s_mov_b32 s24, exec_lo
	s_delay_alu instid0(VALU_DEP_1)
	v_cmpx_ne_u32_e32 0x7f, v2
	s_cbranch_execz .LBB249_400
; %bb.397:                              ;   in Loop: Header=BB249_10 Depth=1
	v_and_b32_e32 v150, 7, v0
	v_lshrrev_b32_e32 v1, 3, v2
	s_mov_b32 s25, exec_lo
	v_cmpx_gt_u32_e32 8, v2
; %bb.398:                              ;   in Loop: Header=BB249_10 Depth=1
	s_delay_alu instid0(VALU_DEP_3) | instskip(NEXT) | instid1(VALU_DEP_1)
	v_clz_i32_u32_e32 v1, v150
	v_min_u32_e32 v1, 32, v1
	s_delay_alu instid0(VALU_DEP_1) | instskip(SKIP_1) | instid1(VALU_DEP_2)
	v_subrev_nc_u32_e32 v2, 28, v1
	v_sub_nc_u32_e32 v1, 29, v1
	v_lshlrev_b64 v[2:3], v2, v[150:151]
	s_delay_alu instid0(VALU_DEP_1)
	v_and_b32_e32 v150, 7, v2
; %bb.399:                              ;   in Loop: Header=BB249_10 Depth=1
	s_or_b32 exec_lo, exec_lo, s25
	v_lshlrev_b32_e32 v2, 24, v0
	s_delay_alu instid0(VALU_DEP_2) | instskip(SKIP_1) | instid1(VALU_DEP_3)
	v_lshlrev_b32_e32 v3, 20, v150
	v_lshl_add_u32 v1, v1, 23, 0x3c000000
	v_and_b32_e32 v2, 0x80000000, v2
	s_delay_alu instid0(VALU_DEP_1) | instskip(NEXT) | instid1(VALU_DEP_1)
	v_or3_b32 v150, v3, v2, v1
	v_dual_mov_b32 v132, v150 :: v_dual_mov_b32 v133, v151
.LBB249_400:                            ;   in Loop: Header=BB249_10 Depth=1
	s_or_b32 exec_lo, exec_lo, s24
.LBB249_401:                            ;   in Loop: Header=BB249_10 Depth=1
	s_delay_alu instid0(SALU_CYCLE_1)
	s_or_b32 exec_lo, exec_lo, s23
.LBB249_402:                            ;   in Loop: Header=BB249_10 Depth=1
	s_delay_alu instid0(SALU_CYCLE_1) | instskip(SKIP_2) | instid1(VALU_DEP_1)
	s_or_b32 exec_lo, exec_lo, s4
	v_lshrrev_b16 v1, 8, v0
	s_mov_b32 s23, exec_lo
	v_cmpx_ne_u16_e32 0, v1
	s_cbranch_execz .LBB249_410
; %bb.403:                              ;   in Loop: Header=BB249_10 Depth=1
	v_dual_mov_b32 v191, s9 :: v_dual_mov_b32 v190, s8
	s_mov_b32 s24, exec_lo
	v_cmpx_ne_u16_e32 0x80, v1
	s_cbranch_execz .LBB249_409
; %bb.404:                              ;   in Loop: Header=BB249_10 Depth=1
	s_mov_b32 s4, s8
	v_and_b32_e32 v1, 0xffff, v1
	v_dual_mov_b32 v191, s5 :: v_dual_mov_b32 v190, s4
	s_mov_b32 s4, exec_lo
	s_delay_alu instid0(VALU_DEP_2) | instskip(NEXT) | instid1(VALU_DEP_1)
	v_and_b32_e32 v2, 0x7f, v1
	v_cmpx_ne_u32_e32 0x7f, v2
	s_cbranch_execz .LBB249_408
; %bb.405:                              ;   in Loop: Header=BB249_10 Depth=1
	v_and_b32_e32 v150, 7, v1
	v_lshrrev_b32_e32 v1, 3, v2
	s_mov_b32 s25, exec_lo
	v_cmpx_gt_u32_e32 8, v2
; %bb.406:                              ;   in Loop: Header=BB249_10 Depth=1
	s_delay_alu instid0(VALU_DEP_3) | instskip(NEXT) | instid1(VALU_DEP_1)
	v_clz_i32_u32_e32 v1, v150
	v_min_u32_e32 v1, 32, v1
	s_delay_alu instid0(VALU_DEP_1) | instskip(SKIP_1) | instid1(VALU_DEP_2)
	v_subrev_nc_u32_e32 v2, 28, v1
	v_sub_nc_u32_e32 v1, 29, v1
	v_lshlrev_b64 v[2:3], v2, v[150:151]
	s_delay_alu instid0(VALU_DEP_1)
	v_and_b32_e32 v150, 7, v2
; %bb.407:                              ;   in Loop: Header=BB249_10 Depth=1
	s_or_b32 exec_lo, exec_lo, s25
	v_lshlrev_b32_e32 v0, 16, v0
	s_delay_alu instid0(VALU_DEP_2) | instskip(SKIP_2) | instid1(VALU_DEP_4)
	v_lshlrev_b32_e32 v2, 20, v150
	v_lshl_add_u32 v1, v1, 23, 0x3c000000
	v_mov_b32_e32 v190, v151
	v_and_b32_e32 v0, 0x80000000, v0
	s_delay_alu instid0(VALU_DEP_1)
	v_or3_b32 v191, v2, v0, v1
.LBB249_408:                            ;   in Loop: Header=BB249_10 Depth=1
	s_or_b32 exec_lo, exec_lo, s4
.LBB249_409:                            ;   in Loop: Header=BB249_10 Depth=1
	s_delay_alu instid0(SALU_CYCLE_1)
	s_or_b32 exec_lo, exec_lo, s24
.LBB249_410:                            ;   in Loop: Header=BB249_10 Depth=1
	s_delay_alu instid0(SALU_CYCLE_1)
	s_or_b32 exec_lo, exec_lo, s23
	flat_load_u16 v0, v[176:177] offset:1540
	v_mov_b32_e32 v11, 0
	v_mov_b32_e32 v12, 0
	s_mov_b32 s4, exec_lo
	s_waitcnt vmcnt(0) lgkmcnt(0)
	v_and_b32_e32 v1, 0xff, v0
	v_and_b32_e32 v0, 0xffff, v0
	v_dual_mov_b32 v4, v11 :: v_dual_mov_b32 v5, v12
	s_delay_alu instid0(VALU_DEP_3)
	v_cmpx_ne_u16_e32 0, v1
	s_cbranch_execz .LBB249_418
; %bb.411:                              ;   in Loop: Header=BB249_10 Depth=1
	v_bfrev_b32_e32 v4, 1
	v_and_b32_e32 v1, 0xff, v0
	v_mov_b32_e32 v5, 0
	s_mov_b32 s23, exec_lo
	s_delay_alu instid0(VALU_DEP_2)
	v_cmpx_ne_u16_e32 0x80, v1
	s_cbranch_execz .LBB249_417
; %bb.412:                              ;   in Loop: Header=BB249_10 Depth=1
	v_mov_b32_e32 v4, 0x7f800001
	v_dual_mov_b32 v5, 0 :: v_dual_and_b32 v2, 0x7f, v0
	s_mov_b32 s24, exec_lo
	s_delay_alu instid0(VALU_DEP_1)
	v_cmpx_ne_u32_e32 0x7f, v2
	s_cbranch_execz .LBB249_416
; %bb.413:                              ;   in Loop: Header=BB249_10 Depth=1
	v_and_b32_e32 v150, 7, v0
	v_lshrrev_b32_e32 v1, 3, v2
	s_mov_b32 s25, exec_lo
	v_cmpx_gt_u32_e32 8, v2
; %bb.414:                              ;   in Loop: Header=BB249_10 Depth=1
	s_delay_alu instid0(VALU_DEP_3) | instskip(NEXT) | instid1(VALU_DEP_1)
	v_clz_i32_u32_e32 v1, v150
	v_min_u32_e32 v1, 32, v1
	s_delay_alu instid0(VALU_DEP_1) | instskip(SKIP_1) | instid1(VALU_DEP_2)
	v_subrev_nc_u32_e32 v2, 28, v1
	v_sub_nc_u32_e32 v1, 29, v1
	v_lshlrev_b64 v[2:3], v2, v[150:151]
	s_delay_alu instid0(VALU_DEP_1)
	v_and_b32_e32 v150, 7, v2
; %bb.415:                              ;   in Loop: Header=BB249_10 Depth=1
	s_or_b32 exec_lo, exec_lo, s25
	v_lshlrev_b32_e32 v2, 24, v0
	s_delay_alu instid0(VALU_DEP_2) | instskip(SKIP_1) | instid1(VALU_DEP_3)
	v_lshlrev_b32_e32 v3, 20, v150
	v_lshl_add_u32 v1, v1, 23, 0x3c000000
	v_and_b32_e32 v2, 0x80000000, v2
	s_delay_alu instid0(VALU_DEP_1) | instskip(NEXT) | instid1(VALU_DEP_1)
	v_or3_b32 v150, v3, v2, v1
	v_dual_mov_b32 v4, v150 :: v_dual_mov_b32 v5, v151
.LBB249_416:                            ;   in Loop: Header=BB249_10 Depth=1
	s_or_b32 exec_lo, exec_lo, s24
.LBB249_417:                            ;   in Loop: Header=BB249_10 Depth=1
	s_delay_alu instid0(SALU_CYCLE_1)
	s_or_b32 exec_lo, exec_lo, s23
.LBB249_418:                            ;   in Loop: Header=BB249_10 Depth=1
	s_delay_alu instid0(SALU_CYCLE_1) | instskip(SKIP_2) | instid1(VALU_DEP_1)
	s_or_b32 exec_lo, exec_lo, s4
	v_lshrrev_b16 v1, 8, v0
	s_mov_b32 s23, exec_lo
	v_cmpx_ne_u16_e32 0, v1
	s_cbranch_execz .LBB249_426
; %bb.419:                              ;   in Loop: Header=BB249_10 Depth=1
	v_dual_mov_b32 v12, s9 :: v_dual_mov_b32 v11, s8
	s_mov_b32 s24, exec_lo
	v_cmpx_ne_u16_e32 0x80, v1
	s_cbranch_execz .LBB249_425
; %bb.420:                              ;   in Loop: Header=BB249_10 Depth=1
	s_mov_b32 s4, s8
	v_dual_mov_b32 v12, s5 :: v_dual_and_b32 v1, 0xffff, v1
	v_mov_b32_e32 v11, s4
	s_mov_b32 s4, exec_lo
	s_delay_alu instid0(VALU_DEP_2) | instskip(NEXT) | instid1(VALU_DEP_1)
	v_and_b32_e32 v2, 0x7f, v1
	v_cmpx_ne_u32_e32 0x7f, v2
	s_cbranch_execz .LBB249_424
; %bb.421:                              ;   in Loop: Header=BB249_10 Depth=1
	v_and_b32_e32 v150, 7, v1
	v_lshrrev_b32_e32 v1, 3, v2
	s_mov_b32 s25, exec_lo
	v_cmpx_gt_u32_e32 8, v2
; %bb.422:                              ;   in Loop: Header=BB249_10 Depth=1
	s_delay_alu instid0(VALU_DEP_3) | instskip(NEXT) | instid1(VALU_DEP_1)
	v_clz_i32_u32_e32 v1, v150
	v_min_u32_e32 v1, 32, v1
	s_delay_alu instid0(VALU_DEP_1) | instskip(SKIP_1) | instid1(VALU_DEP_2)
	v_subrev_nc_u32_e32 v2, 28, v1
	v_sub_nc_u32_e32 v1, 29, v1
	v_lshlrev_b64 v[2:3], v2, v[150:151]
	s_delay_alu instid0(VALU_DEP_1)
	v_and_b32_e32 v150, 7, v2
; %bb.423:                              ;   in Loop: Header=BB249_10 Depth=1
	s_or_b32 exec_lo, exec_lo, s25
	v_dual_mov_b32 v11, v151 :: v_dual_lshlrev_b32 v0, 16, v0
	s_delay_alu instid0(VALU_DEP_2) | instskip(SKIP_1) | instid1(VALU_DEP_3)
	v_lshlrev_b32_e32 v2, 20, v150
	v_lshl_add_u32 v1, v1, 23, 0x3c000000
	v_and_b32_e32 v0, 0x80000000, v0
	s_delay_alu instid0(VALU_DEP_1)
	v_or3_b32 v12, v2, v0, v1
.LBB249_424:                            ;   in Loop: Header=BB249_10 Depth=1
	s_or_b32 exec_lo, exec_lo, s4
.LBB249_425:                            ;   in Loop: Header=BB249_10 Depth=1
	s_delay_alu instid0(SALU_CYCLE_1)
	s_or_b32 exec_lo, exec_lo, s24
.LBB249_426:                            ;   in Loop: Header=BB249_10 Depth=1
	s_delay_alu instid0(SALU_CYCLE_1) | instskip(SKIP_1) | instid1(VALU_DEP_1)
	s_or_b32 exec_lo, exec_lo, s23
	v_add_co_u32 v6, s3, 0x600, v176
	v_add_co_ci_u32_e64 v7, s3, 0, v177, s3
	flat_load_u16 v2, v[6:7] offset:8
	v_mov_b32_e32 v0, 0
	s_waitcnt vmcnt(0) lgkmcnt(0)
	v_dual_mov_b32 v1, 0 :: v_dual_and_b32 v8, 0xffff, v2
	v_and_b32_e32 v3, 0xff, v2
	s_delay_alu instid0(VALU_DEP_1) | instskip(NEXT) | instid1(VALU_DEP_3)
	v_cmp_ne_u16_e64 s3, 0, v3
	v_dual_mov_b32 v3, v1 :: v_dual_mov_b32 v2, v0
	s_delay_alu instid0(VALU_DEP_2)
	s_and_saveexec_b32 s4, s3
	s_cbranch_execz .LBB249_434
; %bb.427:                              ;   in Loop: Header=BB249_10 Depth=1
	v_and_b32_e32 v2, 0xff, v8
	s_delay_alu instid0(VALU_DEP_1) | instskip(SKIP_2) | instid1(VALU_DEP_3)
	v_cmp_ne_u16_e64 s3, 0x80, v2
	v_bfrev_b32_e32 v2, 1
	v_mov_b32_e32 v3, 0
	s_and_saveexec_b32 s23, s3
	s_cbranch_execz .LBB249_433
; %bb.428:                              ;   in Loop: Header=BB249_10 Depth=1
	v_mov_b32_e32 v2, 0x7f800001
	v_and_b32_e32 v9, 0x7f, v8
	v_mov_b32_e32 v3, 0
	s_mov_b32 s24, exec_lo
	s_delay_alu instid0(VALU_DEP_2)
	v_cmpx_ne_u32_e32 0x7f, v9
	s_cbranch_execz .LBB249_432
; %bb.429:                              ;   in Loop: Header=BB249_10 Depth=1
	v_and_b32_e32 v150, 7, v8
	v_lshrrev_b32_e32 v2, 3, v9
	s_mov_b32 s25, exec_lo
	v_cmpx_gt_u32_e32 8, v9
; %bb.430:                              ;   in Loop: Header=BB249_10 Depth=1
	s_delay_alu instid0(VALU_DEP_3) | instskip(NEXT) | instid1(VALU_DEP_1)
	v_clz_i32_u32_e32 v2, v150
	v_min_u32_e32 v2, 32, v2
	s_delay_alu instid0(VALU_DEP_1) | instskip(SKIP_1) | instid1(VALU_DEP_2)
	v_subrev_nc_u32_e32 v3, 28, v2
	v_sub_nc_u32_e32 v2, 29, v2
	v_lshlrev_b64 v[14:15], v3, v[150:151]
	s_delay_alu instid0(VALU_DEP_1)
	v_and_b32_e32 v150, 7, v14
; %bb.431:                              ;   in Loop: Header=BB249_10 Depth=1
	s_or_b32 exec_lo, exec_lo, s25
	v_lshlrev_b32_e32 v3, 24, v8
	s_delay_alu instid0(VALU_DEP_2) | instskip(SKIP_1) | instid1(VALU_DEP_3)
	v_lshlrev_b32_e32 v9, 20, v150
	v_lshl_add_u32 v2, v2, 23, 0x3c000000
	v_and_b32_e32 v3, 0x80000000, v3
	s_delay_alu instid0(VALU_DEP_1) | instskip(NEXT) | instid1(VALU_DEP_1)
	v_or3_b32 v150, v9, v3, v2
	v_dual_mov_b32 v2, v150 :: v_dual_mov_b32 v3, v151
.LBB249_432:                            ;   in Loop: Header=BB249_10 Depth=1
	s_or_b32 exec_lo, exec_lo, s24
.LBB249_433:                            ;   in Loop: Header=BB249_10 Depth=1
	s_delay_alu instid0(SALU_CYCLE_1)
	s_or_b32 exec_lo, exec_lo, s23
.LBB249_434:                            ;   in Loop: Header=BB249_10 Depth=1
	s_delay_alu instid0(SALU_CYCLE_1) | instskip(SKIP_2) | instid1(VALU_DEP_1)
	s_or_b32 exec_lo, exec_lo, s4
	v_lshrrev_b16 v9, 8, v8
	s_mov_b32 s23, exec_lo
	v_cmpx_ne_u16_e32 0, v9
	s_cbranch_execz .LBB249_442
; %bb.435:                              ;   in Loop: Header=BB249_10 Depth=1
	v_dual_mov_b32 v0, s8 :: v_dual_mov_b32 v1, s9
	s_mov_b32 s24, exec_lo
	v_cmpx_ne_u16_e32 0x80, v9
	s_cbranch_execz .LBB249_441
; %bb.436:                              ;   in Loop: Header=BB249_10 Depth=1
	s_mov_b32 s4, s8
	v_and_b32_e32 v14, 0xffff, v9
	v_dual_mov_b32 v0, s4 :: v_dual_mov_b32 v1, s5
	s_mov_b32 s4, exec_lo
	s_delay_alu instid0(VALU_DEP_2) | instskip(NEXT) | instid1(VALU_DEP_1)
	v_and_b32_e32 v9, 0x7f, v14
	v_cmpx_ne_u32_e32 0x7f, v9
	s_cbranch_execz .LBB249_440
; %bb.437:                              ;   in Loop: Header=BB249_10 Depth=1
	v_and_b32_e32 v150, 7, v14
	v_lshrrev_b32_e32 v0, 3, v9
	s_mov_b32 s25, exec_lo
	v_cmpx_gt_u32_e32 8, v9
; %bb.438:                              ;   in Loop: Header=BB249_10 Depth=1
	s_delay_alu instid0(VALU_DEP_3) | instskip(NEXT) | instid1(VALU_DEP_1)
	v_clz_i32_u32_e32 v0, v150
	v_min_u32_e32 v0, 32, v0
	s_delay_alu instid0(VALU_DEP_1) | instskip(SKIP_1) | instid1(VALU_DEP_2)
	v_subrev_nc_u32_e32 v1, 28, v0
	v_sub_nc_u32_e32 v0, 29, v0
	v_lshlrev_b64 v[14:15], v1, v[150:151]
	s_delay_alu instid0(VALU_DEP_1)
	v_and_b32_e32 v150, 7, v14
; %bb.439:                              ;   in Loop: Header=BB249_10 Depth=1
	s_or_b32 exec_lo, exec_lo, s25
	v_lshlrev_b32_e32 v1, 16, v8
	s_delay_alu instid0(VALU_DEP_2) | instskip(SKIP_1) | instid1(VALU_DEP_3)
	v_lshlrev_b32_e32 v8, 20, v150
	v_lshl_add_u32 v0, v0, 23, 0x3c000000
	v_and_b32_e32 v1, 0x80000000, v1
	s_delay_alu instid0(VALU_DEP_1)
	v_or3_b32 v1, v8, v1, v0
	v_mov_b32_e32 v0, v151
.LBB249_440:                            ;   in Loop: Header=BB249_10 Depth=1
	s_or_b32 exec_lo, exec_lo, s4
.LBB249_441:                            ;   in Loop: Header=BB249_10 Depth=1
	s_delay_alu instid0(SALU_CYCLE_1)
	s_or_b32 exec_lo, exec_lo, s24
.LBB249_442:                            ;   in Loop: Header=BB249_10 Depth=1
	s_delay_alu instid0(SALU_CYCLE_1)
	s_or_b32 exec_lo, exec_lo, s23
	flat_load_u16 v6, v[6:7] offset:12
	v_mov_b32_e32 v14, 0
	v_mov_b32_e32 v15, 0
	s_mov_b32 s4, exec_lo
	s_waitcnt vmcnt(0) lgkmcnt(0)
	v_and_b32_e32 v7, 0xff, v6
	s_delay_alu instid0(VALU_DEP_2) | instskip(SKIP_1) | instid1(VALU_DEP_3)
	v_dual_mov_b32 v145, v15 :: v_dual_and_b32 v6, 0xffff, v6
	v_mov_b32_e32 v144, v14
	v_cmpx_ne_u16_e32 0, v7
	s_cbranch_execz .LBB249_450
; %bb.443:                              ;   in Loop: Header=BB249_10 Depth=1
	v_bfrev_b32_e32 v144, 1
	v_and_b32_e32 v7, 0xff, v6
	v_mov_b32_e32 v145, 0
	s_mov_b32 s23, exec_lo
	s_delay_alu instid0(VALU_DEP_2)
	v_cmpx_ne_u16_e32 0x80, v7
	s_cbranch_execz .LBB249_449
; %bb.444:                              ;   in Loop: Header=BB249_10 Depth=1
	v_mov_b32_e32 v144, 0x7f800001
	v_dual_mov_b32 v145, 0 :: v_dual_and_b32 v8, 0x7f, v6
	s_mov_b32 s24, exec_lo
	s_delay_alu instid0(VALU_DEP_1)
	v_cmpx_ne_u32_e32 0x7f, v8
	s_cbranch_execz .LBB249_448
; %bb.445:                              ;   in Loop: Header=BB249_10 Depth=1
	v_and_b32_e32 v150, 7, v6
	v_lshrrev_b32_e32 v7, 3, v8
	s_mov_b32 s25, exec_lo
	v_cmpx_gt_u32_e32 8, v8
; %bb.446:                              ;   in Loop: Header=BB249_10 Depth=1
	s_delay_alu instid0(VALU_DEP_3) | instskip(NEXT) | instid1(VALU_DEP_1)
	v_clz_i32_u32_e32 v7, v150
	v_min_u32_e32 v7, 32, v7
	s_delay_alu instid0(VALU_DEP_1) | instskip(SKIP_1) | instid1(VALU_DEP_2)
	v_subrev_nc_u32_e32 v8, 28, v7
	v_sub_nc_u32_e32 v7, 29, v7
	v_lshlrev_b64 v[8:9], v8, v[150:151]
	s_delay_alu instid0(VALU_DEP_1)
	v_and_b32_e32 v150, 7, v8
; %bb.447:                              ;   in Loop: Header=BB249_10 Depth=1
	s_or_b32 exec_lo, exec_lo, s25
	v_lshlrev_b32_e32 v8, 24, v6
	s_delay_alu instid0(VALU_DEP_2) | instskip(SKIP_1) | instid1(VALU_DEP_3)
	v_lshlrev_b32_e32 v9, 20, v150
	v_lshl_add_u32 v7, v7, 23, 0x3c000000
	v_and_b32_e32 v8, 0x80000000, v8
	s_delay_alu instid0(VALU_DEP_1) | instskip(NEXT) | instid1(VALU_DEP_1)
	v_or3_b32 v150, v9, v8, v7
	v_dual_mov_b32 v144, v150 :: v_dual_mov_b32 v145, v151
.LBB249_448:                            ;   in Loop: Header=BB249_10 Depth=1
	s_or_b32 exec_lo, exec_lo, s24
.LBB249_449:                            ;   in Loop: Header=BB249_10 Depth=1
	s_delay_alu instid0(SALU_CYCLE_1)
	s_or_b32 exec_lo, exec_lo, s23
.LBB249_450:                            ;   in Loop: Header=BB249_10 Depth=1
	s_delay_alu instid0(SALU_CYCLE_1) | instskip(SKIP_2) | instid1(VALU_DEP_1)
	s_or_b32 exec_lo, exec_lo, s4
	v_lshrrev_b16 v7, 8, v6
	s_mov_b32 s23, exec_lo
	v_cmpx_ne_u16_e32 0, v7
	s_cbranch_execz .LBB249_458
; %bb.451:                              ;   in Loop: Header=BB249_10 Depth=1
	v_dual_mov_b32 v15, s9 :: v_dual_mov_b32 v14, s8
	s_mov_b32 s24, exec_lo
	v_cmpx_ne_u16_e32 0x80, v7
	s_cbranch_execz .LBB249_457
; %bb.452:                              ;   in Loop: Header=BB249_10 Depth=1
	s_mov_b32 s4, s8
	v_and_b32_e32 v7, 0xffff, v7
	v_dual_mov_b32 v15, s5 :: v_dual_mov_b32 v14, s4
	s_mov_b32 s4, exec_lo
	s_delay_alu instid0(VALU_DEP_2) | instskip(NEXT) | instid1(VALU_DEP_1)
	v_and_b32_e32 v8, 0x7f, v7
	v_cmpx_ne_u32_e32 0x7f, v8
	s_cbranch_execz .LBB249_456
; %bb.453:                              ;   in Loop: Header=BB249_10 Depth=1
	v_and_b32_e32 v150, 7, v7
	v_lshrrev_b32_e32 v7, 3, v8
	s_mov_b32 s25, exec_lo
	v_cmpx_gt_u32_e32 8, v8
; %bb.454:                              ;   in Loop: Header=BB249_10 Depth=1
	s_delay_alu instid0(VALU_DEP_3) | instskip(NEXT) | instid1(VALU_DEP_1)
	v_clz_i32_u32_e32 v7, v150
	v_min_u32_e32 v7, 32, v7
	s_delay_alu instid0(VALU_DEP_1) | instskip(SKIP_1) | instid1(VALU_DEP_2)
	v_subrev_nc_u32_e32 v8, 28, v7
	v_sub_nc_u32_e32 v7, 29, v7
	v_lshlrev_b64 v[8:9], v8, v[150:151]
	s_delay_alu instid0(VALU_DEP_1)
	v_and_b32_e32 v150, 7, v8
; %bb.455:                              ;   in Loop: Header=BB249_10 Depth=1
	s_or_b32 exec_lo, exec_lo, s25
	v_lshlrev_b32_e32 v6, 16, v6
	s_delay_alu instid0(VALU_DEP_2) | instskip(SKIP_2) | instid1(VALU_DEP_4)
	v_lshlrev_b32_e32 v8, 20, v150
	v_lshl_add_u32 v7, v7, 23, 0x3c000000
	v_mov_b32_e32 v14, v151
	v_and_b32_e32 v6, 0x80000000, v6
	s_delay_alu instid0(VALU_DEP_1)
	v_or3_b32 v15, v8, v6, v7
.LBB249_456:                            ;   in Loop: Header=BB249_10 Depth=1
	s_or_b32 exec_lo, exec_lo, s4
.LBB249_457:                            ;   in Loop: Header=BB249_10 Depth=1
	s_delay_alu instid0(SALU_CYCLE_1)
	s_or_b32 exec_lo, exec_lo, s24
.LBB249_458:                            ;   in Loop: Header=BB249_10 Depth=1
	s_delay_alu instid0(SALU_CYCLE_1)
	s_or_b32 exec_lo, exec_lo, s23
	flat_load_u16 v6, v[176:177] offset:1792
	v_mov_b32_e32 v26, 0
	v_mov_b32_e32 v27, 0
	s_mov_b32 s4, exec_lo
	s_waitcnt vmcnt(0) lgkmcnt(0)
	v_and_b32_e32 v7, 0xff, v6
	v_and_b32_e32 v6, 0xffff, v6
	v_dual_mov_b32 v22, v26 :: v_dual_mov_b32 v23, v27
	s_delay_alu instid0(VALU_DEP_3)
	v_cmpx_ne_u16_e32 0, v7
	s_cbranch_execz .LBB249_466
; %bb.459:                              ;   in Loop: Header=BB249_10 Depth=1
	v_bfrev_b32_e32 v22, 1
	v_and_b32_e32 v7, 0xff, v6
	v_mov_b32_e32 v23, 0
	s_mov_b32 s23, exec_lo
	s_delay_alu instid0(VALU_DEP_2)
	v_cmpx_ne_u16_e32 0x80, v7
	s_cbranch_execz .LBB249_465
; %bb.460:                              ;   in Loop: Header=BB249_10 Depth=1
	v_mov_b32_e32 v22, 0x7f800001
	v_dual_mov_b32 v23, 0 :: v_dual_and_b32 v8, 0x7f, v6
	s_mov_b32 s24, exec_lo
	s_delay_alu instid0(VALU_DEP_1)
	v_cmpx_ne_u32_e32 0x7f, v8
	s_cbranch_execz .LBB249_464
; %bb.461:                              ;   in Loop: Header=BB249_10 Depth=1
	v_and_b32_e32 v150, 7, v6
	v_lshrrev_b32_e32 v7, 3, v8
	s_mov_b32 s25, exec_lo
	v_cmpx_gt_u32_e32 8, v8
; %bb.462:                              ;   in Loop: Header=BB249_10 Depth=1
	s_delay_alu instid0(VALU_DEP_3) | instskip(NEXT) | instid1(VALU_DEP_1)
	v_clz_i32_u32_e32 v7, v150
	v_min_u32_e32 v7, 32, v7
	s_delay_alu instid0(VALU_DEP_1) | instskip(SKIP_1) | instid1(VALU_DEP_2)
	v_subrev_nc_u32_e32 v8, 28, v7
	v_sub_nc_u32_e32 v7, 29, v7
	v_lshlrev_b64 v[8:9], v8, v[150:151]
	s_delay_alu instid0(VALU_DEP_1)
	v_and_b32_e32 v150, 7, v8
; %bb.463:                              ;   in Loop: Header=BB249_10 Depth=1
	s_or_b32 exec_lo, exec_lo, s25
	v_lshlrev_b32_e32 v8, 24, v6
	s_delay_alu instid0(VALU_DEP_2) | instskip(SKIP_1) | instid1(VALU_DEP_3)
	v_lshlrev_b32_e32 v9, 20, v150
	v_lshl_add_u32 v7, v7, 23, 0x3c000000
	v_and_b32_e32 v8, 0x80000000, v8
	s_delay_alu instid0(VALU_DEP_1) | instskip(NEXT) | instid1(VALU_DEP_1)
	v_or3_b32 v150, v9, v8, v7
	v_dual_mov_b32 v22, v150 :: v_dual_mov_b32 v23, v151
.LBB249_464:                            ;   in Loop: Header=BB249_10 Depth=1
	s_or_b32 exec_lo, exec_lo, s24
.LBB249_465:                            ;   in Loop: Header=BB249_10 Depth=1
	s_delay_alu instid0(SALU_CYCLE_1)
	s_or_b32 exec_lo, exec_lo, s23
.LBB249_466:                            ;   in Loop: Header=BB249_10 Depth=1
	s_delay_alu instid0(SALU_CYCLE_1) | instskip(SKIP_2) | instid1(VALU_DEP_1)
	s_or_b32 exec_lo, exec_lo, s4
	v_lshrrev_b16 v7, 8, v6
	s_mov_b32 s23, exec_lo
	v_cmpx_ne_u16_e32 0, v7
	s_cbranch_execz .LBB249_474
; %bb.467:                              ;   in Loop: Header=BB249_10 Depth=1
	v_dual_mov_b32 v27, s9 :: v_dual_mov_b32 v26, s8
	s_mov_b32 s24, exec_lo
	v_cmpx_ne_u16_e32 0x80, v7
	s_cbranch_execz .LBB249_473
; %bb.468:                              ;   in Loop: Header=BB249_10 Depth=1
	s_mov_b32 s4, s8
	v_and_b32_e32 v7, 0xffff, v7
	v_dual_mov_b32 v27, s5 :: v_dual_mov_b32 v26, s4
	s_mov_b32 s4, exec_lo
	s_delay_alu instid0(VALU_DEP_2) | instskip(NEXT) | instid1(VALU_DEP_1)
	v_and_b32_e32 v8, 0x7f, v7
	v_cmpx_ne_u32_e32 0x7f, v8
	s_cbranch_execz .LBB249_472
; %bb.469:                              ;   in Loop: Header=BB249_10 Depth=1
	v_and_b32_e32 v150, 7, v7
	v_lshrrev_b32_e32 v7, 3, v8
	s_mov_b32 s25, exec_lo
	v_cmpx_gt_u32_e32 8, v8
; %bb.470:                              ;   in Loop: Header=BB249_10 Depth=1
	s_delay_alu instid0(VALU_DEP_3) | instskip(NEXT) | instid1(VALU_DEP_1)
	v_clz_i32_u32_e32 v7, v150
	v_min_u32_e32 v7, 32, v7
	s_delay_alu instid0(VALU_DEP_1) | instskip(SKIP_1) | instid1(VALU_DEP_2)
	v_subrev_nc_u32_e32 v8, 28, v7
	v_sub_nc_u32_e32 v7, 29, v7
	v_lshlrev_b64 v[8:9], v8, v[150:151]
	s_delay_alu instid0(VALU_DEP_1)
	v_and_b32_e32 v150, 7, v8
; %bb.471:                              ;   in Loop: Header=BB249_10 Depth=1
	s_or_b32 exec_lo, exec_lo, s25
	v_lshlrev_b32_e32 v6, 16, v6
	s_delay_alu instid0(VALU_DEP_2) | instskip(SKIP_2) | instid1(VALU_DEP_4)
	v_lshlrev_b32_e32 v8, 20, v150
	v_lshl_add_u32 v7, v7, 23, 0x3c000000
	v_mov_b32_e32 v26, v151
	v_and_b32_e32 v6, 0x80000000, v6
	s_delay_alu instid0(VALU_DEP_1)
	v_or3_b32 v27, v8, v6, v7
.LBB249_472:                            ;   in Loop: Header=BB249_10 Depth=1
	s_or_b32 exec_lo, exec_lo, s4
.LBB249_473:                            ;   in Loop: Header=BB249_10 Depth=1
	s_delay_alu instid0(SALU_CYCLE_1)
	s_or_b32 exec_lo, exec_lo, s24
.LBB249_474:                            ;   in Loop: Header=BB249_10 Depth=1
	s_delay_alu instid0(SALU_CYCLE_1)
	s_or_b32 exec_lo, exec_lo, s23
	flat_load_u16 v8, v[176:177] offset:1796
	v_mov_b32_e32 v6, 0
	s_waitcnt vmcnt(0) lgkmcnt(0)
	v_dual_mov_b32 v7, 0 :: v_dual_and_b32 v16, 0xffff, v8
	v_and_b32_e32 v9, 0xff, v8
	s_delay_alu instid0(VALU_DEP_1) | instskip(NEXT) | instid1(VALU_DEP_3)
	v_cmp_ne_u16_e64 s3, 0, v9
	v_dual_mov_b32 v9, v7 :: v_dual_mov_b32 v8, v6
	s_delay_alu instid0(VALU_DEP_2)
	s_and_saveexec_b32 s4, s3
	s_cbranch_execz .LBB249_482
; %bb.475:                              ;   in Loop: Header=BB249_10 Depth=1
	v_and_b32_e32 v8, 0xff, v16
	s_delay_alu instid0(VALU_DEP_1) | instskip(SKIP_2) | instid1(VALU_DEP_3)
	v_cmp_ne_u16_e64 s3, 0x80, v8
	v_bfrev_b32_e32 v8, 1
	v_mov_b32_e32 v9, 0
	s_and_saveexec_b32 s23, s3
	s_cbranch_execz .LBB249_481
; %bb.476:                              ;   in Loop: Header=BB249_10 Depth=1
	v_mov_b32_e32 v8, 0x7f800001
	v_and_b32_e32 v17, 0x7f, v16
	v_mov_b32_e32 v9, 0
	s_mov_b32 s24, exec_lo
	s_delay_alu instid0(VALU_DEP_2)
	v_cmpx_ne_u32_e32 0x7f, v17
	s_cbranch_execz .LBB249_480
; %bb.477:                              ;   in Loop: Header=BB249_10 Depth=1
	v_and_b32_e32 v150, 7, v16
	v_lshrrev_b32_e32 v8, 3, v17
	s_mov_b32 s25, exec_lo
	v_cmpx_gt_u32_e32 8, v17
; %bb.478:                              ;   in Loop: Header=BB249_10 Depth=1
	s_delay_alu instid0(VALU_DEP_3) | instskip(NEXT) | instid1(VALU_DEP_1)
	v_clz_i32_u32_e32 v8, v150
	v_min_u32_e32 v8, 32, v8
	s_delay_alu instid0(VALU_DEP_1) | instskip(SKIP_1) | instid1(VALU_DEP_2)
	v_subrev_nc_u32_e32 v9, 28, v8
	v_sub_nc_u32_e32 v8, 29, v8
	v_lshlrev_b64 v[17:18], v9, v[150:151]
	s_delay_alu instid0(VALU_DEP_1)
	v_and_b32_e32 v150, 7, v17
; %bb.479:                              ;   in Loop: Header=BB249_10 Depth=1
	s_or_b32 exec_lo, exec_lo, s25
	v_lshlrev_b32_e32 v9, 24, v16
	s_delay_alu instid0(VALU_DEP_2) | instskip(SKIP_1) | instid1(VALU_DEP_3)
	v_lshlrev_b32_e32 v17, 20, v150
	v_lshl_add_u32 v8, v8, 23, 0x3c000000
	v_and_b32_e32 v9, 0x80000000, v9
	s_delay_alu instid0(VALU_DEP_1) | instskip(NEXT) | instid1(VALU_DEP_1)
	v_or3_b32 v150, v17, v9, v8
	v_dual_mov_b32 v8, v150 :: v_dual_mov_b32 v9, v151
.LBB249_480:                            ;   in Loop: Header=BB249_10 Depth=1
	s_or_b32 exec_lo, exec_lo, s24
.LBB249_481:                            ;   in Loop: Header=BB249_10 Depth=1
	s_delay_alu instid0(SALU_CYCLE_1)
	s_or_b32 exec_lo, exec_lo, s23
.LBB249_482:                            ;   in Loop: Header=BB249_10 Depth=1
	s_delay_alu instid0(SALU_CYCLE_1) | instskip(SKIP_2) | instid1(VALU_DEP_1)
	s_or_b32 exec_lo, exec_lo, s4
	v_lshrrev_b16 v17, 8, v16
	s_mov_b32 s23, exec_lo
	v_cmpx_ne_u16_e32 0, v17
	s_cbranch_execz .LBB249_490
; %bb.483:                              ;   in Loop: Header=BB249_10 Depth=1
	v_dual_mov_b32 v6, s8 :: v_dual_mov_b32 v7, s9
	s_mov_b32 s24, exec_lo
	v_cmpx_ne_u16_e32 0x80, v17
	s_cbranch_execz .LBB249_489
; %bb.484:                              ;   in Loop: Header=BB249_10 Depth=1
	s_mov_b32 s4, s8
	v_dual_mov_b32 v7, s5 :: v_dual_and_b32 v18, 0xffff, v17
	v_mov_b32_e32 v6, s4
	s_mov_b32 s4, exec_lo
	s_delay_alu instid0(VALU_DEP_2) | instskip(NEXT) | instid1(VALU_DEP_1)
	v_and_b32_e32 v17, 0x7f, v18
	v_cmpx_ne_u32_e32 0x7f, v17
	s_cbranch_execz .LBB249_488
; %bb.485:                              ;   in Loop: Header=BB249_10 Depth=1
	v_and_b32_e32 v150, 7, v18
	v_lshrrev_b32_e32 v6, 3, v17
	s_mov_b32 s25, exec_lo
	v_cmpx_gt_u32_e32 8, v17
; %bb.486:                              ;   in Loop: Header=BB249_10 Depth=1
	s_delay_alu instid0(VALU_DEP_3) | instskip(NEXT) | instid1(VALU_DEP_1)
	v_clz_i32_u32_e32 v6, v150
	v_min_u32_e32 v6, 32, v6
	s_delay_alu instid0(VALU_DEP_1) | instskip(SKIP_1) | instid1(VALU_DEP_2)
	v_subrev_nc_u32_e32 v7, 28, v6
	v_sub_nc_u32_e32 v6, 29, v6
	v_lshlrev_b64 v[17:18], v7, v[150:151]
	s_delay_alu instid0(VALU_DEP_1)
	v_and_b32_e32 v150, 7, v17
; %bb.487:                              ;   in Loop: Header=BB249_10 Depth=1
	s_or_b32 exec_lo, exec_lo, s25
	v_lshlrev_b32_e32 v7, 16, v16
	s_delay_alu instid0(VALU_DEP_2) | instskip(SKIP_1) | instid1(VALU_DEP_3)
	v_lshlrev_b32_e32 v16, 20, v150
	v_lshl_add_u32 v6, v6, 23, 0x3c000000
	v_and_b32_e32 v7, 0x80000000, v7
	s_delay_alu instid0(VALU_DEP_1)
	v_or3_b32 v7, v16, v7, v6
	v_mov_b32_e32 v6, v151
.LBB249_488:                            ;   in Loop: Header=BB249_10 Depth=1
	s_or_b32 exec_lo, exec_lo, s4
.LBB249_489:                            ;   in Loop: Header=BB249_10 Depth=1
	s_delay_alu instid0(SALU_CYCLE_1)
	s_or_b32 exec_lo, exec_lo, s24
.LBB249_490:                            ;   in Loop: Header=BB249_10 Depth=1
	s_delay_alu instid0(SALU_CYCLE_1) | instskip(SKIP_1) | instid1(VALU_DEP_1)
	s_or_b32 exec_lo, exec_lo, s23
	v_add_co_u32 v16, s3, 0x700, v176
	v_add_co_ci_u32_e64 v17, s3, 0, v177, s3
	v_mov_b32_e32 v18, 0
	s_mov_b32 s4, exec_lo
	flat_load_u16 v24, v[16:17] offset:8
	s_waitcnt vmcnt(0) lgkmcnt(0)
	v_dual_mov_b32 v19, 0 :: v_dual_and_b32 v32, 0xff, v24
	s_delay_alu instid0(VALU_DEP_1) | instskip(SKIP_1) | instid1(VALU_DEP_3)
	v_dual_mov_b32 v135, v19 :: v_dual_and_b32 v176, 0xffff, v24
	v_mov_b32_e32 v134, v18
	v_cmpx_ne_u16_e32 0, v32
	s_cbranch_execz .LBB249_498
; %bb.491:                              ;   in Loop: Header=BB249_10 Depth=1
	v_bfrev_b32_e32 v134, 1
	v_dual_mov_b32 v135, 0 :: v_dual_and_b32 v24, 0xff, v176
	s_mov_b32 s23, exec_lo
	s_delay_alu instid0(VALU_DEP_1)
	v_cmpx_ne_u16_e32 0x80, v24
	s_cbranch_execz .LBB249_497
; %bb.492:                              ;   in Loop: Header=BB249_10 Depth=1
	v_mov_b32_e32 v134, 0x7f800001
	v_dual_mov_b32 v135, 0 :: v_dual_and_b32 v32, 0x7f, v176
	s_mov_b32 s24, exec_lo
	s_delay_alu instid0(VALU_DEP_1)
	v_cmpx_ne_u32_e32 0x7f, v32
	s_cbranch_execz .LBB249_496
; %bb.493:                              ;   in Loop: Header=BB249_10 Depth=1
	v_and_b32_e32 v150, 7, v176
	v_lshrrev_b32_e32 v24, 3, v32
	s_mov_b32 s25, exec_lo
	v_cmpx_gt_u32_e32 8, v32
; %bb.494:                              ;   in Loop: Header=BB249_10 Depth=1
	s_delay_alu instid0(VALU_DEP_3) | instskip(NEXT) | instid1(VALU_DEP_1)
	v_clz_i32_u32_e32 v24, v150
	v_min_u32_e32 v24, 32, v24
	s_delay_alu instid0(VALU_DEP_1) | instskip(SKIP_1) | instid1(VALU_DEP_2)
	v_subrev_nc_u32_e32 v32, 28, v24
	v_sub_nc_u32_e32 v24, 29, v24
	v_lshlrev_b64 v[32:33], v32, v[150:151]
	s_delay_alu instid0(VALU_DEP_1)
	v_and_b32_e32 v150, 7, v32
; %bb.495:                              ;   in Loop: Header=BB249_10 Depth=1
	s_or_b32 exec_lo, exec_lo, s25
	v_lshlrev_b32_e32 v32, 24, v176
	s_delay_alu instid0(VALU_DEP_2) | instskip(SKIP_1) | instid1(VALU_DEP_3)
	v_lshlrev_b32_e32 v33, 20, v150
	v_lshl_add_u32 v24, v24, 23, 0x3c000000
	v_and_b32_e32 v32, 0x80000000, v32
	s_delay_alu instid0(VALU_DEP_1) | instskip(NEXT) | instid1(VALU_DEP_1)
	v_or3_b32 v150, v33, v32, v24
	v_dual_mov_b32 v134, v150 :: v_dual_mov_b32 v135, v151
.LBB249_496:                            ;   in Loop: Header=BB249_10 Depth=1
	s_or_b32 exec_lo, exec_lo, s24
.LBB249_497:                            ;   in Loop: Header=BB249_10 Depth=1
	s_delay_alu instid0(SALU_CYCLE_1)
	s_or_b32 exec_lo, exec_lo, s23
.LBB249_498:                            ;   in Loop: Header=BB249_10 Depth=1
	s_delay_alu instid0(SALU_CYCLE_1) | instskip(SKIP_2) | instid1(VALU_DEP_1)
	s_or_b32 exec_lo, exec_lo, s4
	v_lshrrev_b16 v24, 8, v176
	s_mov_b32 s23, exec_lo
	v_cmpx_ne_u16_e32 0, v24
	s_cbranch_execz .LBB249_506
; %bb.499:                              ;   in Loop: Header=BB249_10 Depth=1
	v_dual_mov_b32 v19, s9 :: v_dual_mov_b32 v18, s8
	s_mov_b32 s24, exec_lo
	v_cmpx_ne_u16_e32 0x80, v24
	s_cbranch_execz .LBB249_505
; %bb.500:                              ;   in Loop: Header=BB249_10 Depth=1
	s_mov_b32 s4, s8
	v_dual_mov_b32 v19, s5 :: v_dual_and_b32 v32, 0xffff, v24
	v_mov_b32_e32 v18, s4
	s_mov_b32 s4, exec_lo
	s_delay_alu instid0(VALU_DEP_2) | instskip(NEXT) | instid1(VALU_DEP_1)
	v_and_b32_e32 v24, 0x7f, v32
	v_cmpx_ne_u32_e32 0x7f, v24
	s_cbranch_execz .LBB249_504
; %bb.501:                              ;   in Loop: Header=BB249_10 Depth=1
	v_and_b32_e32 v150, 7, v32
	v_lshrrev_b32_e32 v18, 3, v24
	s_mov_b32 s25, exec_lo
	v_cmpx_gt_u32_e32 8, v24
; %bb.502:                              ;   in Loop: Header=BB249_10 Depth=1
	s_delay_alu instid0(VALU_DEP_3) | instskip(NEXT) | instid1(VALU_DEP_1)
	v_clz_i32_u32_e32 v18, v150
	v_min_u32_e32 v18, 32, v18
	s_delay_alu instid0(VALU_DEP_1) | instskip(SKIP_1) | instid1(VALU_DEP_2)
	v_subrev_nc_u32_e32 v19, 28, v18
	v_sub_nc_u32_e32 v18, 29, v18
	v_lshlrev_b64 v[32:33], v19, v[150:151]
	s_delay_alu instid0(VALU_DEP_1)
	v_and_b32_e32 v150, 7, v32
; %bb.503:                              ;   in Loop: Header=BB249_10 Depth=1
	s_or_b32 exec_lo, exec_lo, s25
	v_lshlrev_b32_e32 v19, 16, v176
	s_delay_alu instid0(VALU_DEP_2) | instskip(SKIP_1) | instid1(VALU_DEP_3)
	v_lshlrev_b32_e32 v24, 20, v150
	v_lshl_add_u32 v18, v18, 23, 0x3c000000
	v_and_b32_e32 v19, 0x80000000, v19
	s_delay_alu instid0(VALU_DEP_1)
	v_or3_b32 v19, v24, v19, v18
	v_mov_b32_e32 v18, v151
.LBB249_504:                            ;   in Loop: Header=BB249_10 Depth=1
	s_or_b32 exec_lo, exec_lo, s4
.LBB249_505:                            ;   in Loop: Header=BB249_10 Depth=1
	s_delay_alu instid0(SALU_CYCLE_1)
	s_or_b32 exec_lo, exec_lo, s24
.LBB249_506:                            ;   in Loop: Header=BB249_10 Depth=1
	s_delay_alu instid0(SALU_CYCLE_1)
	s_or_b32 exec_lo, exec_lo, s23
	flat_load_u16 v16, v[16:17] offset:12
	v_mov_b32_e32 v176, 0
	s_waitcnt vmcnt(0) lgkmcnt(0)
	v_dual_mov_b32 v177, 0 :: v_dual_and_b32 v24, 0xffff, v16
	v_and_b32_e32 v17, 0xff, v16
	s_delay_alu instid0(VALU_DEP_1) | instskip(NEXT) | instid1(VALU_DEP_3)
	v_cmp_ne_u16_e64 s3, 0, v17
	v_dual_mov_b32 v16, v176 :: v_dual_mov_b32 v17, v177
	s_delay_alu instid0(VALU_DEP_2)
	s_and_saveexec_b32 s4, s3
	s_cbranch_execz .LBB249_514
; %bb.507:                              ;   in Loop: Header=BB249_10 Depth=1
	v_and_b32_e32 v16, 0xff, v24
	s_delay_alu instid0(VALU_DEP_1) | instskip(SKIP_2) | instid1(VALU_DEP_3)
	v_cmp_ne_u16_e64 s3, 0x80, v16
	v_bfrev_b32_e32 v16, 1
	v_mov_b32_e32 v17, 0
	s_and_saveexec_b32 s23, s3
	s_cbranch_execz .LBB249_513
; %bb.508:                              ;   in Loop: Header=BB249_10 Depth=1
	v_mov_b32_e32 v16, 0x7f800001
	v_dual_mov_b32 v17, 0 :: v_dual_and_b32 v32, 0x7f, v24
	s_mov_b32 s24, exec_lo
	s_delay_alu instid0(VALU_DEP_1)
	v_cmpx_ne_u32_e32 0x7f, v32
	s_cbranch_execz .LBB249_512
; %bb.509:                              ;   in Loop: Header=BB249_10 Depth=1
	v_and_b32_e32 v150, 7, v24
	v_lshrrev_b32_e32 v16, 3, v32
	s_mov_b32 s25, exec_lo
	v_cmpx_gt_u32_e32 8, v32
; %bb.510:                              ;   in Loop: Header=BB249_10 Depth=1
	s_delay_alu instid0(VALU_DEP_3) | instskip(NEXT) | instid1(VALU_DEP_1)
	v_clz_i32_u32_e32 v16, v150
	v_min_u32_e32 v16, 32, v16
	s_delay_alu instid0(VALU_DEP_1) | instskip(SKIP_1) | instid1(VALU_DEP_2)
	v_subrev_nc_u32_e32 v17, 28, v16
	v_sub_nc_u32_e32 v16, 29, v16
	v_lshlrev_b64 v[32:33], v17, v[150:151]
	s_delay_alu instid0(VALU_DEP_1)
	v_and_b32_e32 v150, 7, v32
; %bb.511:                              ;   in Loop: Header=BB249_10 Depth=1
	s_or_b32 exec_lo, exec_lo, s25
	v_lshlrev_b32_e32 v17, 24, v24
	s_delay_alu instid0(VALU_DEP_2) | instskip(SKIP_1) | instid1(VALU_DEP_3)
	v_lshlrev_b32_e32 v32, 20, v150
	v_lshl_add_u32 v16, v16, 23, 0x3c000000
	v_and_b32_e32 v17, 0x80000000, v17
	s_delay_alu instid0(VALU_DEP_1) | instskip(NEXT) | instid1(VALU_DEP_1)
	v_or3_b32 v150, v32, v17, v16
	v_dual_mov_b32 v16, v150 :: v_dual_mov_b32 v17, v151
.LBB249_512:                            ;   in Loop: Header=BB249_10 Depth=1
	s_or_b32 exec_lo, exec_lo, s24
.LBB249_513:                            ;   in Loop: Header=BB249_10 Depth=1
	s_delay_alu instid0(SALU_CYCLE_1)
	s_or_b32 exec_lo, exec_lo, s23
.LBB249_514:                            ;   in Loop: Header=BB249_10 Depth=1
	s_delay_alu instid0(SALU_CYCLE_1) | instskip(SKIP_2) | instid1(VALU_DEP_1)
	s_or_b32 exec_lo, exec_lo, s4
	v_lshrrev_b16 v150, 8, v24
	s_mov_b32 s23, exec_lo
	v_cmpx_ne_u16_e64 0, v150
	s_cbranch_execz .LBB249_522
; %bb.515:                              ;   in Loop: Header=BB249_10 Depth=1
	v_dual_mov_b32 v177, s9 :: v_dual_mov_b32 v176, s8
	s_mov_b32 s24, exec_lo
	v_cmpx_ne_u16_e64 0x80, v150
	s_cbranch_execz .LBB249_521
; %bb.516:                              ;   in Loop: Header=BB249_10 Depth=1
	s_mov_b32 s4, s8
	v_and_b32_e32 v33, 0xffff, v150
	v_dual_mov_b32 v177, s5 :: v_dual_mov_b32 v176, s4
	s_mov_b32 s4, exec_lo
	s_delay_alu instid0(VALU_DEP_2) | instskip(NEXT) | instid1(VALU_DEP_1)
	v_and_b32_e32 v32, 0x7f, v33
	v_cmpx_ne_u32_e32 0x7f, v32
	s_cbranch_execz .LBB249_520
; %bb.517:                              ;   in Loop: Header=BB249_10 Depth=1
	v_and_b32_e32 v150, 7, v33
	v_lshrrev_b32_e32 v176, 3, v32
	s_mov_b32 s25, exec_lo
	v_cmpx_gt_u32_e32 8, v32
; %bb.518:                              ;   in Loop: Header=BB249_10 Depth=1
	s_delay_alu instid0(VALU_DEP_3) | instskip(NEXT) | instid1(VALU_DEP_1)
	v_clz_i32_u32_e32 v32, v150
	v_min_u32_e32 v34, 32, v32
	s_delay_alu instid0(VALU_DEP_1) | instskip(SKIP_1) | instid1(VALU_DEP_2)
	v_subrev_nc_u32_e32 v32, 28, v34
	v_sub_nc_u32_e32 v176, 29, v34
	v_lshlrev_b64 v[32:33], v32, v[150:151]
	s_delay_alu instid0(VALU_DEP_1)
	v_and_b32_e32 v150, 7, v32
; %bb.519:                              ;   in Loop: Header=BB249_10 Depth=1
	s_or_b32 exec_lo, exec_lo, s25
	v_lshlrev_b32_e32 v24, 16, v24
	s_delay_alu instid0(VALU_DEP_2) | instskip(SKIP_2) | instid1(VALU_DEP_4)
	v_lshlrev_b32_e32 v32, 20, v150
	v_lshl_add_u32 v33, v176, 23, 0x3c000000
	v_mov_b32_e32 v176, v151
	v_and_b32_e32 v24, 0x80000000, v24
	s_delay_alu instid0(VALU_DEP_1)
	v_or3_b32 v177, v32, v24, v33
.LBB249_520:                            ;   in Loop: Header=BB249_10 Depth=1
	s_or_b32 exec_lo, exec_lo, s4
.LBB249_521:                            ;   in Loop: Header=BB249_10 Depth=1
	s_delay_alu instid0(SALU_CYCLE_1)
	s_or_b32 exec_lo, exec_lo, s24
.LBB249_522:                            ;   in Loop: Header=BB249_10 Depth=1
	s_delay_alu instid0(SALU_CYCLE_1)
	s_or_b32 exec_lo, exec_lo, s23
	v_or_b32_e32 v162, v160, v162
	v_or_b32_e32 v160, v161, v163
	;; [unrolled: 1-line block ×8, first 2 shown]
	scratch_load_b128 v[88:91], off, s32 offset:352 ; 16-byte Folded Reload
	v_or_b32_e32 v1, v1, v3
	v_or_b32_e32 v3, v14, v144
	v_mul_f32_e32 v14, v25, v162
	v_or_b32_e32 v0, v0, v2
	v_or_b32_e32 v2, v15, v145
	v_mul_f32_e32 v15, v25, v148
	;; [unrolled: 3-line block ×3, first 2 shown]
	v_or_b32_e32 v164, v164, v166
	v_or_b32_e32 v165, v165, v167
	v_or_b32_e32 v19, v19, v135
	v_or_b32_e32 v178, v178, v180
	v_or_b32_e32 v179, v179, v181
	v_or_b32_e32 v6, v6, v8
	v_or_b32_e32 v8, v177, v17
	v_or_b32_e32 v182, v182, v40
	v_or_b32_e32 v183, v183, v41
	v_or_b32_e32 v42, v42, v44
	v_or_b32_e32 v43, v43, v45
	v_or_b32_e32 v46, v46, v56
	v_or_b32_e32 v150, v47, v57
	v_or_b32_e32 v135, v58, v60
	v_or_b32_e32 v18, v18, v134
	v_or_b32_e32 v134, v59, v61
	v_or_b32_e32 v29, v62, v72
	v_or_b32_e32 v24, v63, v73
	v_or_b32_e32 v33, v74, v76
	v_or_b32_e32 v32, v75, v77
	v_or_b32_e32 v166, v94, v104
	v_or_b32_e32 v163, v95, v105
	v_or_b32_e32 v180, v106, v108
	v_or_b32_e32 v167, v107, v109
	v_or_b32_e32 v40, v110, v120
	v_or_b32_e32 v181, v111, v121
	v_or_b32_e32 v44, v122, v124
	v_or_b32_e32 v41, v123, v125
	v_or_b32_e32 v47, v126, v136
	v_or_b32_e32 v45, v127, v137
	v_or_b32_e32 v57, v138, v140
	v_or_b32_e32 v56, v139, v141
	v_or_b32_e32 v59, v142, v152
	v_or_b32_e32 v58, v143, v153
	v_or_b32_e32 v61, v154, v156
	v_or_b32_e32 v60, v155, v157
	v_or_b32_e32 v63, v158, v168
	v_or_b32_e32 v62, v159, v169
	v_or_b32_e32 v73, v170, v172
	v_or_b32_e32 v72, v171, v173
	v_or_b32_e32 v75, v174, v184
	v_or_b32_e32 v74, v175, v185
	v_or_b32_e32 v77, v186, v188
	v_or_b32_e32 v76, v187, v189
	v_or_b32_e32 v132, v190, v132
	v_or_b32_e32 v133, v191, v133
	v_or_b32_e32 v4, v11, v4
	v_or_b32_e32 v5, v12, v5
	v_mul_f32_e32 v0, v25, v0
	v_or_b32_e32 v12, v26, v22
	v_or_b32_e32 v11, v27, v23
	v_mul_f32_e32 v4, v25, v4
	s_waitcnt vmcnt(0)
	v_mul_f32_e32 v14, v90, v14
	s_delay_alu instid0(VALU_DEP_1) | instskip(NEXT) | instid1(VALU_DEP_1)
	v_dual_fmac_f32 v14, v88, v15 :: v_dual_mul_f32 v15, v25, v160
	v_mul_f32_e32 v15, v91, v15
	s_delay_alu instid0(VALU_DEP_1) | instskip(SKIP_3) | instid1(VALU_DEP_1)
	v_fmac_f32_e32 v15, v89, v16
	scratch_load_b128 v[88:91], off, s32 offset:368 ; 16-byte Folded Reload
	v_mul_f32_e32 v16, v25, v164
	s_waitcnt vmcnt(0)
	v_fmac_f32_e32 v14, v88, v16
	v_mul_f32_e32 v16, v25, v165
	s_delay_alu instid0(VALU_DEP_1) | instskip(SKIP_1) | instid1(VALU_DEP_1)
	v_fmac_f32_e32 v15, v89, v16
	v_mul_f32_e32 v16, v25, v178
	v_fmac_f32_e32 v14, v90, v16
	v_mul_f32_e32 v16, v25, v179
	scratch_load_b128 v[176:179], off, s32 offset:384 ; 16-byte Folded Reload
	v_dual_fmac_f32 v15, v91, v16 :: v_dual_mul_f32 v16, v25, v182
	s_waitcnt vmcnt(0)
	s_delay_alu instid0(VALU_DEP_1) | instskip(SKIP_1) | instid1(VALU_DEP_1)
	v_fmac_f32_e32 v14, v176, v16
	v_mul_f32_e32 v16, v25, v183
	v_fmac_f32_e32 v15, v177, v16
	v_mul_f32_e32 v16, v25, v42
	s_delay_alu instid0(VALU_DEP_1) | instskip(SKIP_1) | instid1(VALU_DEP_1)
	v_fmac_f32_e32 v14, v178, v16
	v_mul_f32_e32 v16, v25, v43
	v_dual_fmac_f32 v15, v179, v16 :: v_dual_mul_f32 v16, v25, v46
	scratch_load_b128 v[176:179], off, s32 offset:400 ; 16-byte Folded Reload
	s_waitcnt vmcnt(0)
	v_fmac_f32_e32 v14, v176, v16
	v_mul_f32_e32 v16, v25, v150
	s_delay_alu instid0(VALU_DEP_1) | instskip(SKIP_1) | instid1(VALU_DEP_1)
	v_fmac_f32_e32 v15, v177, v16
	v_mul_f32_e32 v16, v25, v135
	v_fmac_f32_e32 v14, v178, v16
	v_mul_f32_e32 v16, v25, v134
	s_delay_alu instid0(VALU_DEP_1) | instskip(NEXT) | instid1(VALU_DEP_1)
	v_dual_fmac_f32 v15, v179, v16 :: v_dual_mul_f32 v16, v25, v29
	v_fmac_f32_e32 v14, v36, v16
	v_mul_f32_e32 v16, v25, v24
	s_delay_alu instid0(VALU_DEP_1) | instskip(SKIP_1) | instid1(VALU_DEP_1)
	v_fmac_f32_e32 v15, v37, v16
	v_mul_f32_e32 v16, v25, v33
	v_fmac_f32_e32 v14, v38, v16
	v_mul_f32_e32 v16, v25, v32
	s_delay_alu instid0(VALU_DEP_1) | instskip(NEXT) | instid1(VALU_DEP_1)
	v_dual_fmac_f32 v15, v39, v16 :: v_dual_mul_f32 v16, v25, v35
	;; [unrolled: 9-line block ×3, first 2 shown]
	v_fmac_f32_e32 v14, v52, v16
	v_mul_f32_e32 v16, v25, v163
	s_delay_alu instid0(VALU_DEP_1) | instskip(SKIP_1) | instid1(VALU_DEP_1)
	v_fmac_f32_e32 v15, v53, v16
	v_mul_f32_e32 v16, v25, v180
	v_fmac_f32_e32 v14, v54, v16
	v_mul_f32_e32 v16, v25, v167
	s_delay_alu instid0(VALU_DEP_1) | instskip(SKIP_1) | instid1(VALU_DEP_1)
	v_fmac_f32_e32 v15, v55, v16
	v_mul_f32_e32 v16, v25, v40
	v_fmac_f32_e32 v14, v64, v16
	v_mul_f32_e32 v16, v25, v181
	s_delay_alu instid0(VALU_DEP_1) | instskip(SKIP_1) | instid1(VALU_DEP_1)
	v_fmac_f32_e32 v15, v65, v16
	v_mul_f32_e32 v16, v25, v44
	v_fmac_f32_e32 v14, v66, v16
	v_mul_f32_e32 v16, v25, v41
	s_delay_alu instid0(VALU_DEP_1) | instskip(NEXT) | instid1(VALU_DEP_1)
	v_dual_fmac_f32 v15, v67, v16 :: v_dual_mul_f32 v16, v25, v47
	v_fmac_f32_e32 v14, v68, v16
	v_mul_f32_e32 v16, v25, v45
	s_delay_alu instid0(VALU_DEP_1) | instskip(SKIP_1) | instid1(VALU_DEP_1)
	v_fmac_f32_e32 v15, v69, v16
	v_mul_f32_e32 v16, v25, v57
	v_fmac_f32_e32 v14, v70, v16
	v_mul_f32_e32 v16, v25, v56
	s_delay_alu instid0(VALU_DEP_1) | instskip(NEXT) | instid1(VALU_DEP_1)
	v_dual_fmac_f32 v15, v71, v16 :: v_dual_mul_f32 v16, v25, v59
	v_fmac_f32_e32 v14, v80, v16
	v_mul_f32_e32 v16, v25, v58
	s_delay_alu instid0(VALU_DEP_1) | instskip(SKIP_1) | instid1(VALU_DEP_1)
	v_fmac_f32_e32 v15, v81, v16
	v_mul_f32_e32 v16, v25, v61
	;; [unrolled: 9-line block ×4, first 2 shown]
	v_fmac_f32_e32 v14, v98, v16
	v_mul_f32_e32 v16, v25, v76
	s_delay_alu instid0(VALU_DEP_1) | instskip(SKIP_1) | instid1(VALU_DEP_1)
	v_fmac_f32_e32 v15, v99, v16
	v_mul_f32_e32 v16, v25, v132
	v_fmac_f32_e32 v14, v100, v16
	v_mul_f32_e32 v16, v25, v133
	s_delay_alu instid0(VALU_DEP_2) | instskip(NEXT) | instid1(VALU_DEP_2)
	v_fmac_f32_e32 v14, v102, v4
	v_fmac_f32_e32 v15, v101, v16
	v_mul_f32_e32 v4, v25, v5
	s_delay_alu instid0(VALU_DEP_3) | instskip(NEXT) | instid1(VALU_DEP_2)
	v_fmac_f32_e32 v14, v112, v0
	v_dual_mul_f32 v0, v25, v1 :: v_dual_fmac_f32 v15, v103, v4
	v_mul_f32_e32 v1, v25, v19
	s_delay_alu instid0(VALU_DEP_2) | instskip(SKIP_1) | instid1(VALU_DEP_1)
	v_fmac_f32_e32 v15, v113, v0
	v_mul_f32_e32 v0, v25, v3
	v_dual_mul_f32 v3, v25, v9 :: v_dual_fmac_f32 v14, v114, v0
	v_mul_f32_e32 v0, v25, v2
	v_mul_f32_e32 v2, v25, v8
	s_delay_alu instid0(VALU_DEP_2) | instskip(SKIP_1) | instid1(VALU_DEP_1)
	v_fmac_f32_e32 v15, v115, v0
	v_mul_f32_e32 v0, v25, v12
	v_fmac_f32_e32 v14, v116, v0
	v_mul_f32_e32 v0, v25, v11
	s_delay_alu instid0(VALU_DEP_1) | instskip(SKIP_1) | instid1(VALU_DEP_1)
	v_fmac_f32_e32 v15, v117, v0
	v_mul_f32_e32 v0, v25, v6
	v_fmac_f32_e32 v14, v118, v0
	v_mul_f32_e32 v0, v25, v7
	s_delay_alu instid0(VALU_DEP_1) | instskip(NEXT) | instid1(VALU_DEP_1)
	v_dual_fmac_f32 v15, v119, v0 :: v_dual_mul_f32 v0, v25, v18
	v_fmac_f32_e32 v15, v129, v1
	scratch_load_b32 v1, off, s32 offset:416 ; 4-byte Folded Reload
	v_dual_fmac_f32 v14, v128, v0 :: v_dual_fmac_f32 v15, v131, v2
	s_delay_alu instid0(VALU_DEP_1) | instskip(NEXT) | instid1(VALU_DEP_1)
	v_fmac_f32_e32 v14, v130, v3
	v_add_f32_e32 v0, v14, v15
	s_waitcnt vmcnt(0)
	ds_bpermute_b32 v1, v1, v0
	s_and_saveexec_b32 s4, vcc_lo
	s_cbranch_execz .LBB249_9
; %bb.523:                              ;   in Loop: Header=BB249_10 Depth=1
	scratch_load_b32 v3, off, s32 offset:424 ; 4-byte Folded Reload
	v_sub_nc_u32_e32 v2, 1, v30
	s_waitcnt lgkmcnt(0)
	v_add_f32_e32 v0, v0, v1
	scratch_load_b32 v4, off, s32 offset:336 ; 4-byte Folded Reload
	s_load_b32 s23, s[18:19], 0x0
	v_cmp_lt_i32_e64 s3, v10, v30
	v_add_nc_u32_e32 v2, v2, v10
	s_delay_alu instid0(VALU_DEP_1) | instskip(SKIP_1) | instid1(VALU_DEP_1)
	v_cvt_f32_i32_e32 v2, v2
	s_waitcnt vmcnt(1)
	v_mul_f32_e32 v2, v3, v2
	scratch_load_b32 v3, off, s32 offset:420 ; 4-byte Folded Reload
	v_cndmask_b32_e64 v1, 0, v2, s2
	s_waitcnt vmcnt(1)
	v_max_f32_e32 v2, v4, v4
	s_waitcnt vmcnt(0)
	s_delay_alu instid0(VALU_DEP_2) | instskip(NEXT) | instid1(VALU_DEP_1)
	v_fmac_f32_e32 v1, v0, v3
	v_max_f32_e32 v0, v2, v1
	s_waitcnt lgkmcnt(0)
	v_add_nc_u32_e32 v2, s23, v31
	v_cndmask_b32_e64 v1, 0, v1, s3
	s_delay_alu instid0(VALU_DEP_3)
	v_cndmask_b32_e64 v4, v4, v0, s3
	ds_store_b32 v2, v1
	scratch_store_b32 off, v4, s32 offset:336 ; 4-byte Folded Spill
	s_branch .LBB249_9
.LBB249_524:
	s_or_b32 exec_lo, exec_lo, s11
	s_clause 0x13
	scratch_load_b32 v51, off, s32 offset:428
	scratch_load_b32 v52, off, s32 offset:432
	;; [unrolled: 1-line block ×6, first 2 shown]
	scratch_load_b64 v[26:27], off, s32 offset:452
	scratch_load_b32 v11, off, s32 offset:460
	scratch_load_b32 v10, off, s32 offset:464
	;; [unrolled: 1-line block ×8, first 2 shown]
	scratch_load_b64 v[18:19], off, s32 offset:492
	scratch_load_b32 v54, off, s32 offset:500
	scratch_load_b32 v55, off, s32 offset:504
	;; [unrolled: 1-line block ×4, first 2 shown]
	v_mov_b32_e32 v13, 32
.LBB249_525:
	s_or_b32 exec_lo, exec_lo, s21
	s_waitcnt vmcnt(1)
	v_xor_b32_e32 v0, 16, v12
	s_waitcnt lgkmcnt(0)
	v_xor_b32_e32 v1, 8, v12
	s_waitcnt vmcnt(0)
	v_max_f32_e32 v4, v3, v3
	v_xor_b32_e32 v5, 2, v12
	s_lshr_b32 s5, s22, 16
	v_cmp_lt_i32_e32 vcc_lo, v0, v13
	v_and_b32_e32 v22, 31, v42
	v_cndmask_b32_e32 v0, v12, v0, vcc_lo
	v_cmp_lt_i32_e32 vcc_lo, v1, v13
	s_delay_alu instid0(VALU_DEP_2) | instskip(SKIP_3) | instid1(VALU_DEP_1)
	v_dual_cndmask_b32 v1, v12, v1 :: v_dual_lshlrev_b32 v2, 2, v0
	ds_bpermute_b32 v0, v2, v3
	s_waitcnt lgkmcnt(0)
	v_dual_max_f32 v0, v0, v0 :: v_dual_lshlrev_b32 v3, 2, v1
	v_max_f32_e32 v0, v4, v0
	v_xor_b32_e32 v4, 4, v12
	s_delay_alu instid0(VALU_DEP_1) | instskip(SKIP_4) | instid1(VALU_DEP_2)
	v_cmp_lt_i32_e32 vcc_lo, v4, v13
	v_cndmask_b32_e32 v4, v12, v4, vcc_lo
	v_cmp_lt_i32_e32 vcc_lo, v5, v13
	v_cndmask_b32_e32 v5, v12, v5, vcc_lo
	v_cmp_eq_u32_e32 vcc_lo, 0, v22
	v_lshlrev_b32_e32 v23, 2, v5
	ds_bpermute_b32 v1, v3, v0
	v_lshlrev_b32_e32 v5, 2, v53
	s_waitcnt lgkmcnt(0)
	v_dual_max_f32 v1, v1, v1 :: v_dual_lshlrev_b32 v4, 2, v4
	s_delay_alu instid0(VALU_DEP_1) | instskip(SKIP_3) | instid1(VALU_DEP_1)
	v_max_f32_e32 v0, v0, v1
	ds_bpermute_b32 v1, v4, v0
	s_waitcnt lgkmcnt(0)
	v_max_f32_e32 v1, v1, v1
	v_max_f32_e32 v0, v0, v1
	ds_bpermute_b32 v1, v23, v0
	s_and_saveexec_b32 s2, vcc_lo
	s_cbranch_execz .LBB249_527
; %bb.526:
	s_waitcnt lgkmcnt(0)
	v_dual_max_f32 v1, v1, v1 :: v_dual_max_f32 v0, v0, v0
	s_delay_alu instid0(VALU_DEP_1)
	v_max_f32_e32 v0, v0, v1
	ds_store_b32 v5, v0 offset:512
.LBB249_527:
	s_or_b32 exec_lo, exec_lo, s2
	v_cmp_gt_u32_e64 s2, 4, v22
	v_mov_b32_e32 v0, 0xff7fffff
	v_lshlrev_b32_e32 v6, 2, v22
	s_waitcnt lgkmcnt(0)
	s_waitcnt_vscnt null, 0x0
	s_barrier
	buffer_gl0_inv
	s_and_saveexec_b32 s3, s2
	s_cbranch_execz .LBB249_529
; %bb.528:
	ds_load_b32 v0, v6 offset:512
.LBB249_529:
	s_or_b32 exec_lo, exec_lo, s3
	scratch_load_b32 v8, off, s32 offset:324 ; 4-byte Folded Reload
	s_waitcnt lgkmcnt(0)
	ds_bpermute_b32 v1, v23, v0
	v_xor_b32_e32 v7, 1, v12
	v_max_f32_e32 v0, v0, v0
	s_delay_alu instid0(VALU_DEP_2) | instskip(NEXT) | instid1(VALU_DEP_1)
	v_cmp_lt_i32_e64 s3, v7, v13
	v_cndmask_b32_e64 v7, v12, v7, s3
	s_delay_alu instid0(VALU_DEP_1) | instskip(SKIP_3) | instid1(VALU_DEP_1)
	v_lshlrev_b32_e32 v24, 2, v7
	v_lshlrev_b32_e32 v7, 2, v12
	s_waitcnt lgkmcnt(0)
	v_max_f32_e32 v1, v1, v1
	v_dual_max_f32 v0, v0, v1 :: v_dual_and_b32 v7, 0xffffff80, v7
	ds_bpermute_b32 v1, v24, v0
	s_waitcnt lgkmcnt(0)
	v_max_f32_e32 v1, v1, v1
	s_delay_alu instid0(VALU_DEP_1) | instskip(SKIP_3) | instid1(VALU_DEP_1)
	v_max_f32_e32 v0, v0, v1
	ds_bpermute_b32 v0, v7, v0
	s_waitcnt vmcnt(0)
	v_subrev_nc_u32_e32 v8, s13, v8
	v_lshl_add_u32 v1, v8, 4, s20
	v_mov_b32_e32 v8, 0
	s_delay_alu instid0(VALU_DEP_2) | instskip(NEXT) | instid1(VALU_DEP_1)
	v_min_i32_e32 v1, v1, v30
	v_subrev_nc_u32_e32 v1, s20, v1
	s_delay_alu instid0(VALU_DEP_1) | instskip(NEXT) | instid1(VALU_DEP_1)
	v_cmp_lt_i32_e64 s3, v42, v1
	s_and_saveexec_b32 s8, s3
	s_cbranch_execz .LBB249_533
; %bb.530:
	s_getpc_b64 s[18:19]
	s_add_u32 s18, s18, llvm.amdgcn.dynlds.offset.table@rel32@lo+4
	s_addc_u32 s19, s19, llvm.amdgcn.dynlds.offset.table@rel32@hi+12
	s_ashr_i32 s11, s10, 31
	v_dual_mov_b32 v8, 0 :: v_dual_mov_b32 v13, v42
	s_lshl_b64 s[22:23], s[10:11], 2
	s_mov_b32 s9, 0
	s_add_u32 s18, s22, s18
	s_addc_u32 s19, s23, s19
	s_load_b32 s4, s[18:19], 0x0
	s_waitcnt lgkmcnt(0)
	v_lshl_add_u32 v9, v42, 2, s4
	.p2align	6
.LBB249_531:                            ; =>This Inner Loop Header: Depth=1
	ds_load_b32 v12, v9
	v_add_nc_u32_e32 v13, 0x80, v13
	s_delay_alu instid0(VALU_DEP_1) | instskip(NEXT) | instid1(VALU_DEP_1)
	v_cmp_ge_i32_e64 s4, v13, v1
	s_or_b32 s9, s4, s9
	s_waitcnt lgkmcnt(0)
	v_sub_f32_e32 v12, v12, v0
	s_delay_alu instid0(VALU_DEP_1) | instskip(NEXT) | instid1(VALU_DEP_1)
	v_mul_f32_e32 v12, 0x3fb8aa3b, v12
	v_exp_f32_e32 v12, v12
	ds_store_b32 v9, v12
	v_dual_add_f32 v8, v8, v12 :: v_dual_add_nc_u32 v9, 0x200, v9
	s_and_not1_b32 exec_lo, exec_lo, s9
	s_cbranch_execnz .LBB249_531
; %bb.532:
	s_or_b32 exec_lo, exec_lo, s9
.LBB249_533:
	s_delay_alu instid0(SALU_CYCLE_1)
	s_or_b32 exec_lo, exec_lo, s8
	ds_bpermute_b32 v2, v2, v8
	s_waitcnt lgkmcnt(0)
	v_add_f32_e32 v2, v8, v2
	ds_bpermute_b32 v3, v3, v2
	s_waitcnt lgkmcnt(0)
	v_add_f32_e32 v2, v2, v3
	;; [unrolled: 3-line block ×5, first 2 shown]
	s_and_saveexec_b32 s4, vcc_lo
	s_cbranch_execz .LBB249_535
; %bb.534:
	ds_store_b32 v5, v2 offset:528
.LBB249_535:
	s_or_b32 exec_lo, exec_lo, s4
	s_waitcnt lgkmcnt(0)
	s_barrier
	buffer_gl0_inv
	s_and_saveexec_b32 s4, s2
	s_cbranch_execz .LBB249_537
; %bb.536:
	ds_load_b32 v2, v6 offset:528
.LBB249_537:
	s_or_b32 exec_lo, exec_lo, s4
	s_waitcnt lgkmcnt(0)
	ds_bpermute_b32 v3, v23, v2
	s_waitcnt lgkmcnt(0)
	v_add_f32_e32 v2, v2, v3
	ds_bpermute_b32 v3, v24, v2
	s_waitcnt lgkmcnt(0)
	v_add_f32_e32 v2, v2, v3
	ds_bpermute_b32 v2, v7, v2
	s_and_saveexec_b32 s2, s3
	s_cbranch_execz .LBB249_540
; %bb.538:
	s_waitcnt lgkmcnt(0)
	v_add_f32_e32 v4, 0x358637bd, v2
	s_getpc_b64 s[8:9]
	s_add_u32 s8, s8, llvm.amdgcn.dynlds.offset.table@rel32@lo+4
	s_addc_u32 s9, s9, llvm.amdgcn.dynlds.offset.table@rel32@hi+12
	s_ashr_i32 s11, s10, 31
	s_delay_alu instid0(SALU_CYCLE_1) | instskip(SKIP_4) | instid1(VALU_DEP_1)
	s_lshl_b64 s[18:19], s[10:11], 2
	v_div_scale_f32 v3, null, v4, v4, 1.0
	s_add_u32 s8, s18, s8
	s_addc_u32 s9, s19, s9
	s_load_b32 s3, s[8:9], 0x0
	v_rcp_f32_e32 v5, v3
	s_waitcnt_depctr 0xfff
	v_fma_f32 v6, -v3, v5, 1.0
	s_delay_alu instid0(VALU_DEP_1) | instskip(SKIP_1) | instid1(VALU_DEP_1)
	v_fmac_f32_e32 v5, v6, v5
	v_div_scale_f32 v7, vcc_lo, 1.0, v4, 1.0
	v_mul_f32_e32 v6, v7, v5
	s_delay_alu instid0(VALU_DEP_1) | instskip(NEXT) | instid1(VALU_DEP_1)
	v_fma_f32 v8, -v3, v6, v7
	v_fmac_f32_e32 v6, v8, v5
	s_delay_alu instid0(VALU_DEP_1) | instskip(NEXT) | instid1(VALU_DEP_1)
	v_fma_f32 v3, -v3, v6, v7
	v_div_fmas_f32 v5, v3, v5, v6
	s_waitcnt lgkmcnt(0)
	v_lshl_add_u32 v3, v42, 2, s3
	s_mov_b32 s3, 0
	s_delay_alu instid0(VALU_DEP_2)
	v_div_fixup_f32 v4, v5, v4, 1.0
	v_mov_b32_e32 v5, v42
.LBB249_539:                            ; =>This Inner Loop Header: Depth=1
	ds_load_b32 v6, v3
	s_waitcnt lgkmcnt(0)
	v_dual_mul_f32 v6, v4, v6 :: v_dual_add_nc_u32 v5, 0x80, v5
	s_delay_alu instid0(VALU_DEP_1) | instskip(SKIP_3) | instid1(SALU_CYCLE_1)
	v_cmp_ge_i32_e32 vcc_lo, v5, v1
	ds_store_b32 v3, v6
	v_add_nc_u32_e32 v3, 0x200, v3
	s_or_b32 s3, vcc_lo, s3
	s_and_not1_b32 exec_lo, exec_lo, s3
	s_cbranch_execnz .LBB249_539
.LBB249_540:
	s_or_b32 exec_lo, exec_lo, s2
	v_cmp_ne_u16_e64 s2, s5, 0
	s_mov_b32 s4, exec_lo
	s_waitcnt lgkmcnt(0)
	s_barrier
	buffer_gl0_inv
	s_cmp_lg_u32 s2, 0
	s_addc_u32 s7, s7, 0
	s_delay_alu instid0(SALU_CYCLE_1) | instskip(NEXT) | instid1(SALU_CYCLE_1)
	s_mul_i32 s2, s7, s16
	s_mul_i32 s2, s2, s15
	v_cmpx_eq_u32_e32 0, v42
	s_cbranch_execz .LBB249_542
; %bb.541:
	s_mul_i32 s8, s7, s12
	s_ashr_i32 s15, s14, 31
	s_ashr_i32 s9, s8, 31
	;; [unrolled: 1-line block ×3, first 2 shown]
	s_lshl_b64 s[8:9], s[8:9], 2
	s_lshl_b64 s[12:13], s[14:15], 2
	;; [unrolled: 1-line block ×3, first 2 shown]
	s_add_u32 s3, s12, s8
	s_addc_u32 s5, s13, s9
	s_add_u32 s3, s3, s18
	s_addc_u32 s5, s5, s19
	v_add_co_u32 v3, vcc_lo, s3, v32
	v_add_co_ci_u32_e32 v4, vcc_lo, s5, v29, vcc_lo
	v_add_co_u32 v5, vcc_lo, s3, v28
	v_add_co_ci_u32_e32 v6, vcc_lo, s5, v25, vcc_lo
	flat_store_b32 v[3:4], v0
	flat_store_b32 v[5:6], v2
.LBB249_542:
	s_or_b32 exec_lo, exec_lo, s4
                                        ; implicit-def: $sgpr4
	s_and_saveexec_b32 s3, s1
	s_delay_alu instid0(SALU_CYCLE_1)
	s_xor_b32 s1, exec_lo, s3
; %bb.543:
	s_ashr_i32 s11, s10, 31
	s_mov_b32 s4, 0
                                        ; implicit-def: $vgpr0
                                        ; implicit-def: $vgpr30
                                        ; implicit-def: $vgpr17
                                        ; kill: killed $vgpr0
                                        ; implicit-def: $vgpr20
                                        ; implicit-def: $vgpr10
                                        ; implicit-def: $vgpr11
                                        ; implicit-def: $vgpr14
                                        ; implicit-def: $vgpr15
                                        ; implicit-def: $vgpr0
                                        ; kill: killed $vgpr0
                                        ; implicit-def: $vgpr26_vgpr27
                                        ; implicit-def: $vgpr54
                                        ; implicit-def: $vgpr55
                                        ; implicit-def: $vgpr18_vgpr19
                                        ; implicit-def: $vgpr16
; %bb.544:
	s_or_saveexec_b32 s3, s1
	v_dual_mov_b32 v39, s4 :: v_dual_mov_b32 v0, s10
	v_dual_mov_b32 v1, s11 :: v_dual_mov_b32 v50, s4
	v_dual_mov_b32 v48, s4 :: v_dual_and_b32 v25, 3, v42
	v_dual_mov_b32 v49, s4 :: v_dual_mov_b32 v38, s4
	v_dual_mov_b32 v37, s4 :: v_dual_mov_b32 v36, s4
	;; [unrolled: 1-line block ×6, first 2 shown]
	v_mov_b32_e32 v45, s4
	s_xor_b32 exec_lo, exec_lo, s3
	s_cbranch_execz .LBB249_1092
; %bb.545:
	v_dual_mov_b32 v41, v52 :: v_dual_mov_b32 v40, v51
	flat_load_b32 v51, v[26:27]
	s_ashr_i32 s11, s10, 31
	s_getpc_b64 s[4:5]
	s_add_u32 s4, s4, llvm.amdgcn.dynlds.offset.table@rel32@lo+4
	s_addc_u32 s5, s5, llvm.amdgcn.dynlds.offset.table@rel32@hi+12
	s_lshl_b64 s[8:9], s[10:11], 2
	v_add_co_u32 v3, vcc_lo, v10, v54
	s_add_u32 s4, s8, s4
	s_addc_u32 s5, s9, s5
	v_dual_mov_b32 v44, 0 :: v_dual_and_b32 v5, 0x7c, v16
	s_load_b32 s1, s[4:5], 0x0
	v_add_co_ci_u32_e32 v4, vcc_lo, v11, v55, vcc_lo
	v_lshlrev_b64 v[0:1], 2, v[20:21]
	v_dual_mov_b32 v7, 0 :: v_dual_and_b32 v2, 12, v16
	v_lshl_add_u32 v6, v53, 4, s20
	v_dual_mov_b32 v29, 0 :: v_dual_lshlrev_b32 v10, 4, v25
	v_add_co_u32 v8, vcc_lo, v3, v5
	v_add_co_ci_u32_e32 v9, vcc_lo, 0, v4, vcc_lo
	v_add_co_u32 v0, vcc_lo, v18, v0
	v_add3_u32 v21, v6, v2, 3
	v_add_co_ci_u32_e32 v1, vcc_lo, v19, v1, vcc_lo
	v_lshl_or_b32 v2, v53, 6, v10
	s_delay_alu instid0(VALU_DEP_4)
	v_add_co_u32 v10, vcc_lo, v14, v0
	v_dual_mov_b32 v45, 0 :: v_dual_add_nc_u32 v52, -1, v17
	v_dual_mov_b32 v28, 0 :: v_dual_mov_b32 v31, 0
	v_dual_mov_b32 v32, 0 :: v_dual_mov_b32 v33, 0
	;; [unrolled: 1-line block ×7, first 2 shown]
	v_add_co_ci_u32_e32 v11, vcc_lo, v15, v1, vcc_lo
	s_waitcnt lgkmcnt(0)
	v_add_nc_u32_e32 v53, s1, v2
	s_mov_b32 s4, 0
	s_brev_b32 s5, 1
	s_mov_b32 s9, 0x7f800001
	s_mov_b32 s12, s4
	s_waitcnt vmcnt(0)
	v_mov_b32_e32 v54, v51
	s_branch .LBB249_547
.LBB249_546:                            ;   in Loop: Header=BB249_547 Depth=1
	s_or_b32 exec_lo, exec_lo, s1
	v_mul_f32_e32 v14, v1, v177
	v_mul_f32_e32 v16, v1, v161
	;; [unrolled: 1-line block ×4, first 2 shown]
	v_add_co_u32 v10, s1, v10, 16
	s_delay_alu instid0(VALU_DEP_4) | instskip(SKIP_2) | instid1(VALU_DEP_3)
	v_fmac_f32_e32 v16, v0, v160
	v_dual_fmac_f32 v14, v0, v176 :: v_dual_mul_f32 v17, v1, v149
	v_fmac_f32_e32 v13, v0, v178
	v_dual_fmac_f32 v15, v0, v164 :: v_dual_fmac_f32 v16, v2, v151
	s_delay_alu instid0(VALU_DEP_3) | instskip(NEXT) | instid1(VALU_DEP_4)
	v_dual_fmac_f32 v14, v2, v167 :: v_dual_mul_f32 v67, v1, v145
	v_fmac_f32_e32 v17, v0, v148
	v_add_co_ci_u32_e64 v11, s1, 0, v11, s1
	s_delay_alu instid0(VALU_DEP_3) | instskip(NEXT) | instid1(VALU_DEP_4)
	v_dual_fmac_f32 v14, v3, v166 :: v_dual_fmac_f32 v13, v2, v19
	v_dual_fmac_f32 v67, v0, v144 :: v_dual_fmac_f32 v16, v3, v150
	s_delay_alu instid0(VALU_DEP_2) | instskip(NEXT) | instid1(VALU_DEP_3)
	v_dual_fmac_f32 v17, v2, v147 :: v_dual_add_f32 v28, v28, v14
	v_dual_fmac_f32 v13, v3, v18 :: v_dual_mul_f32 v14, v1, v129
	s_delay_alu instid0(VALU_DEP_3) | instskip(NEXT) | instid1(VALU_DEP_4)
	v_dual_add_f32 v31, v31, v16 :: v_dual_mul_f32 v16, v1, v113
	v_fmac_f32_e32 v67, v2, v135
	s_delay_alu instid0(VALU_DEP_3) | instskip(NEXT) | instid1(VALU_DEP_3)
	v_dual_add_f32 v45, v45, v13 :: v_dual_fmac_f32 v14, v0, v128
	v_dual_fmac_f32 v16, v0, v112 :: v_dual_add_nc_u32 v21, 64, v21
	v_fmac_f32_e32 v17, v3, v146
	s_delay_alu instid0(VALU_DEP_3) | instskip(NEXT) | instid1(VALU_DEP_3)
	v_dual_fmac_f32 v14, v2, v119 :: v_dual_add_nc_u32 v53, 0x100, v53
	v_dual_mul_f32 v13, v1, v133 :: v_dual_fmac_f32 v16, v2, v103
	s_delay_alu instid0(VALU_DEP_3) | instskip(NEXT) | instid1(VALU_DEP_2)
	v_dual_fmac_f32 v15, v2, v163 :: v_dual_add_f32 v32, v32, v17
	v_dual_fmac_f32 v14, v3, v118 :: v_dual_fmac_f32 v13, v0, v132
	s_delay_alu instid0(VALU_DEP_3) | instskip(NEXT) | instid1(VALU_DEP_3)
	v_fmac_f32_e32 v16, v3, v102
	v_dual_fmac_f32 v15, v3, v162 :: v_dual_add_nc_u32 v20, 4, v20
	s_delay_alu instid0(VALU_DEP_3) | instskip(NEXT) | instid1(VALU_DEP_4)
	v_dual_add_f32 v35, v35, v14 :: v_dual_mul_f32 v14, v1, v85
	v_fmac_f32_e32 v13, v2, v131
	s_delay_alu instid0(VALU_DEP_3)
	v_add_f32_e32 v29, v29, v15
	v_add_f32_e32 v37, v37, v16
	v_mul_f32_e32 v16, v1, v66
	v_dual_mul_f32 v15, v1, v117 :: v_dual_fmac_f32 v14, v0, v84
	v_fmac_f32_e32 v13, v3, v130
	v_mul_f32_e32 v17, v1, v101
	s_delay_alu instid0(VALU_DEP_4) | instskip(NEXT) | instid1(VALU_DEP_4)
	v_dual_fmac_f32 v16, v0, v65 :: v_dual_fmac_f32 v67, v3, v134
	v_fmac_f32_e32 v14, v2, v83
	s_delay_alu instid0(VALU_DEP_4) | instskip(SKIP_4) | instid1(VALU_DEP_2)
	v_add_f32_e32 v34, v34, v13
	v_mul_f32_e32 v13, v1, v97
	v_fmac_f32_e32 v15, v0, v116
	v_fmac_f32_e32 v16, v2, v64
	v_dual_fmac_f32 v14, v3, v82 :: v_dual_fmac_f32 v17, v0, v100
	v_dual_fmac_f32 v13, v0, v96 :: v_dual_fmac_f32 v16, v3, v55
	s_delay_alu instid0(VALU_DEP_2) | instskip(NEXT) | instid1(VALU_DEP_3)
	v_add_f32_e32 v49, v49, v14
	v_fmac_f32_e32 v17, v2, v99
	s_delay_alu instid0(VALU_DEP_3) | instskip(NEXT) | instid1(VALU_DEP_4)
	v_fmac_f32_e32 v13, v2, v87
	v_add_f32_e32 v39, v39, v16
	s_delay_alu instid0(VALU_DEP_2) | instskip(NEXT) | instid1(VALU_DEP_1)
	v_fmac_f32_e32 v13, v3, v86
	v_dual_fmac_f32 v15, v2, v115 :: v_dual_add_f32 v48, v48, v13
	s_delay_alu instid0(VALU_DEP_1) | instskip(NEXT) | instid1(VALU_DEP_1)
	v_fmac_f32_e32 v15, v3, v114
	v_dual_add_f32 v36, v36, v15 :: v_dual_mul_f32 v15, v1, v81
	v_mul_f32_e32 v1, v1, v12
	s_delay_alu instid0(VALU_DEP_2) | instskip(NEXT) | instid1(VALU_DEP_2)
	v_fmac_f32_e32 v15, v0, v80
	v_fmac_f32_e32 v1, v0, v6
	scratch_load_b32 v0, off, s32 offset:324 ; 4-byte Folded Reload
	v_fmac_f32_e32 v15, v2, v71
	v_fmac_f32_e32 v1, v2, v5
	s_delay_alu instid0(VALU_DEP_2) | instskip(SKIP_1) | instid1(VALU_DEP_2)
	v_fmac_f32_e32 v15, v3, v70
	v_fmac_f32_e32 v17, v3, v98
	v_dual_fmac_f32 v1, v3, v4 :: v_dual_add_f32 v50, v50, v15
	s_delay_alu instid0(VALU_DEP_2) | instskip(NEXT) | instid1(VALU_DEP_2)
	v_dual_add_f32 v33, v33, v67 :: v_dual_add_f32 v38, v38, v17
	v_add_f32_e32 v44, v44, v1
	s_waitcnt vmcnt(0)
	v_cmp_ge_i32_e32 vcc_lo, v20, v0
	s_or_b32 s12, vcc_lo, s12
	s_delay_alu instid0(SALU_CYCLE_1)
	s_and_not1_b32 exec_lo, exec_lo, s12
	s_cbranch_execz .LBB249_1091
.LBB249_547:                            ; =>This Inner Loop Header: Depth=1
	flat_load_b32 v0, v[10:11]
	scratch_load_b32 v1, off, s32 offset:320 ; 4-byte Folded Reload
	v_mov_b32_e32 v14, 0
	s_mov_b32 s1, exec_lo
	s_waitcnt vmcnt(0) lgkmcnt(0)
	v_mad_i64_i32 v[12:13], null, v0, v1, v[8:9]
	ds_load_b128 v[0:3], v53
	flat_load_b32 v55, v[12:13]
	s_waitcnt vmcnt(0) lgkmcnt(0)
	v_dual_mov_b32 v15, 0 :: v_dual_and_b32 v6, 0xff, v55
	s_delay_alu instid0(VALU_DEP_1) | instskip(NEXT) | instid1(VALU_DEP_2)
	v_dual_mov_b32 v4, v14 :: v_dual_mov_b32 v5, v15
	v_cmpx_ne_u16_e32 0, v6
	s_cbranch_execz .LBB249_555
; %bb.548:                              ;   in Loop: Header=BB249_547 Depth=1
	v_bfrev_b32_e32 v4, 1
	v_mov_b32_e32 v5, 0
	s_mov_b32 s8, exec_lo
	v_cmpx_ne_u16_e32 0x80, v6
	s_cbranch_execz .LBB249_554
; %bb.549:                              ;   in Loop: Header=BB249_547 Depth=1
	v_mov_b32_e32 v4, 0x7f800001
	v_dual_mov_b32 v5, 0 :: v_dual_and_b32 v16, 0x7f, v55
	s_mov_b32 s13, exec_lo
	s_delay_alu instid0(VALU_DEP_1)
	v_cmpx_ne_u32_e32 0x7f, v16
	s_cbranch_execz .LBB249_553
; %bb.550:                              ;   in Loop: Header=BB249_547 Depth=1
	v_and_b32_e32 v6, 7, v55
	v_lshrrev_b32_e32 v4, 3, v16
	s_mov_b32 s15, exec_lo
	v_cmpx_gt_u32_e32 8, v16
; %bb.551:                              ;   in Loop: Header=BB249_547 Depth=1
	s_delay_alu instid0(VALU_DEP_3) | instskip(NEXT) | instid1(VALU_DEP_1)
	v_clz_i32_u32_e32 v4, v6
	v_min_u32_e32 v4, 32, v4
	s_delay_alu instid0(VALU_DEP_1) | instskip(SKIP_1) | instid1(VALU_DEP_2)
	v_subrev_nc_u32_e32 v5, 28, v4
	v_sub_nc_u32_e32 v4, 29, v4
	v_lshlrev_b64 v[5:6], v5, v[6:7]
	s_delay_alu instid0(VALU_DEP_1)
	v_and_b32_e32 v6, 7, v5
; %bb.552:                              ;   in Loop: Header=BB249_547 Depth=1
	s_or_b32 exec_lo, exec_lo, s15
	v_lshlrev_b32_e32 v5, 24, v55
	s_delay_alu instid0(VALU_DEP_2) | instskip(SKIP_1) | instid1(VALU_DEP_3)
	v_lshlrev_b32_e32 v6, 20, v6
	v_lshl_add_u32 v4, v4, 23, 0x3c000000
	v_and_b32_e32 v5, 0x80000000, v5
	s_delay_alu instid0(VALU_DEP_1) | instskip(NEXT) | instid1(VALU_DEP_1)
	v_or3_b32 v6, v6, v5, v4
	v_dual_mov_b32 v4, v6 :: v_dual_mov_b32 v5, v7
.LBB249_553:                            ;   in Loop: Header=BB249_547 Depth=1
	s_or_b32 exec_lo, exec_lo, s13
.LBB249_554:                            ;   in Loop: Header=BB249_547 Depth=1
	s_delay_alu instid0(SALU_CYCLE_1)
	s_or_b32 exec_lo, exec_lo, s8
.LBB249_555:                            ;   in Loop: Header=BB249_547 Depth=1
	s_delay_alu instid0(SALU_CYCLE_1) | instskip(SKIP_2) | instid1(VALU_DEP_1)
	s_or_b32 exec_lo, exec_lo, s1
	v_lshrrev_b16 v6, 8, v55
	s_mov_b32 s1, exec_lo
	v_cmpx_ne_u16_e32 0, v6
	s_cbranch_execz .LBB249_563
; %bb.556:                              ;   in Loop: Header=BB249_547 Depth=1
	v_dual_mov_b32 v15, s5 :: v_dual_mov_b32 v14, s4
	s_mov_b32 s13, exec_lo
	v_cmpx_ne_u16_e32 0x80, v6
	s_cbranch_execz .LBB249_562
; %bb.557:                              ;   in Loop: Header=BB249_547 Depth=1
	s_mov_b32 s8, s4
	v_dual_mov_b32 v15, s9 :: v_dual_and_b32 v6, 0xffff, v6
	v_mov_b32_e32 v14, s8
	s_mov_b32 s8, exec_lo
	s_delay_alu instid0(VALU_DEP_2) | instskip(NEXT) | instid1(VALU_DEP_1)
	v_and_b32_e32 v16, 0x7f, v6
	v_cmpx_ne_u32_e32 0x7f, v16
	s_cbranch_execz .LBB249_561
; %bb.558:                              ;   in Loop: Header=BB249_547 Depth=1
	v_and_b32_e32 v6, 7, v6
	v_lshrrev_b32_e32 v14, 3, v16
	s_mov_b32 s15, exec_lo
	v_cmpx_gt_u32_e32 8, v16
; %bb.559:                              ;   in Loop: Header=BB249_547 Depth=1
	s_delay_alu instid0(VALU_DEP_3) | instskip(NEXT) | instid1(VALU_DEP_1)
	v_clz_i32_u32_e32 v14, v6
	v_min_u32_e32 v14, 32, v14
	s_delay_alu instid0(VALU_DEP_1) | instskip(SKIP_1) | instid1(VALU_DEP_2)
	v_subrev_nc_u32_e32 v15, 28, v14
	v_sub_nc_u32_e32 v14, 29, v14
	v_lshlrev_b64 v[15:16], v15, v[6:7]
	s_delay_alu instid0(VALU_DEP_1)
	v_and_b32_e32 v6, 7, v15
; %bb.560:                              ;   in Loop: Header=BB249_547 Depth=1
	s_or_b32 exec_lo, exec_lo, s15
	v_lshlrev_b32_e32 v15, 16, v55
	s_delay_alu instid0(VALU_DEP_2) | instskip(SKIP_1) | instid1(VALU_DEP_3)
	v_lshlrev_b32_e32 v6, 20, v6
	v_lshl_add_u32 v14, v14, 23, 0x3c000000
	v_and_b32_e32 v15, 0x80000000, v15
	s_delay_alu instid0(VALU_DEP_1)
	v_or3_b32 v15, v6, v15, v14
	v_mov_b32_e32 v14, v7
.LBB249_561:                            ;   in Loop: Header=BB249_547 Depth=1
	s_or_b32 exec_lo, exec_lo, s8
.LBB249_562:                            ;   in Loop: Header=BB249_547 Depth=1
	s_delay_alu instid0(SALU_CYCLE_1)
	s_or_b32 exec_lo, exec_lo, s13
.LBB249_563:                            ;   in Loop: Header=BB249_547 Depth=1
	s_delay_alu instid0(SALU_CYCLE_1) | instskip(SKIP_4) | instid1(VALU_DEP_2)
	s_or_b32 exec_lo, exec_lo, s1
	v_mov_b32_e32 v18, 0
	v_lshrrev_b32_e32 v64, 16, v55
	v_mov_b32_e32 v19, 0
	s_mov_b32 s1, exec_lo
	v_and_b32_e32 v6, 0xff, v64
	s_delay_alu instid0(VALU_DEP_2) | instskip(NEXT) | instid1(VALU_DEP_2)
	v_dual_mov_b32 v16, v18 :: v_dual_mov_b32 v17, v19
	v_cmpx_ne_u16_e32 0, v6
	s_cbranch_execz .LBB249_571
; %bb.564:                              ;   in Loop: Header=BB249_547 Depth=1
	v_bfrev_b32_e32 v16, 1
	v_mov_b32_e32 v17, 0
	s_mov_b32 s8, exec_lo
	v_cmpx_ne_u16_e32 0x80, v6
	s_cbranch_execz .LBB249_570
; %bb.565:                              ;   in Loop: Header=BB249_547 Depth=1
	v_mov_b32_e32 v16, 0x7f800001
	v_bfe_u32 v65, v55, 16, 7
	v_mov_b32_e32 v17, 0
	s_mov_b32 s13, exec_lo
	s_delay_alu instid0(VALU_DEP_2)
	v_cmpx_ne_u32_e32 0x7f, v65
	s_cbranch_execz .LBB249_569
; %bb.566:                              ;   in Loop: Header=BB249_547 Depth=1
	v_and_b32_e32 v6, 7, v64
	v_lshrrev_b32_e32 v16, 3, v65
	s_mov_b32 s15, exec_lo
	v_cmpx_gt_u32_e32 8, v65
; %bb.567:                              ;   in Loop: Header=BB249_547 Depth=1
	s_delay_alu instid0(VALU_DEP_3) | instskip(NEXT) | instid1(VALU_DEP_1)
	v_clz_i32_u32_e32 v16, v6
	v_min_u32_e32 v16, 32, v16
	s_delay_alu instid0(VALU_DEP_1) | instskip(SKIP_1) | instid1(VALU_DEP_2)
	v_subrev_nc_u32_e32 v17, 28, v16
	v_sub_nc_u32_e32 v16, 29, v16
	v_lshlrev_b64 v[65:66], v17, v[6:7]
	s_delay_alu instid0(VALU_DEP_1)
	v_and_b32_e32 v6, 7, v65
; %bb.568:                              ;   in Loop: Header=BB249_547 Depth=1
	s_or_b32 exec_lo, exec_lo, s15
	v_lshlrev_b32_e32 v17, 24, v64
	s_delay_alu instid0(VALU_DEP_2) | instskip(SKIP_1) | instid1(VALU_DEP_3)
	v_lshlrev_b32_e32 v6, 20, v6
	v_lshl_add_u32 v16, v16, 23, 0x3c000000
	v_and_b32_e32 v17, 0x80000000, v17
	s_delay_alu instid0(VALU_DEP_1) | instskip(NEXT) | instid1(VALU_DEP_1)
	v_or3_b32 v6, v6, v17, v16
	v_dual_mov_b32 v17, v7 :: v_dual_mov_b32 v16, v6
.LBB249_569:                            ;   in Loop: Header=BB249_547 Depth=1
	s_or_b32 exec_lo, exec_lo, s13
.LBB249_570:                            ;   in Loop: Header=BB249_547 Depth=1
	s_delay_alu instid0(SALU_CYCLE_1)
	s_or_b32 exec_lo, exec_lo, s8
.LBB249_571:                            ;   in Loop: Header=BB249_547 Depth=1
	s_delay_alu instid0(SALU_CYCLE_1) | instskip(NEXT) | instid1(SALU_CYCLE_1)
	s_or_b32 exec_lo, exec_lo, s1
	s_mov_b32 s1, exec_lo
	v_cmpx_lt_u32_e32 0xffffff, v55
	s_cbranch_execz .LBB249_579
; %bb.572:                              ;   in Loop: Header=BB249_547 Depth=1
	v_lshrrev_b32_e32 v64, 24, v55
	v_dual_mov_b32 v19, s5 :: v_dual_mov_b32 v18, s4
	s_mov_b32 s13, exec_lo
	s_delay_alu instid0(VALU_DEP_2)
	v_cmpx_ne_u32_e32 0x80, v64
	s_cbranch_execz .LBB249_578
; %bb.573:                              ;   in Loop: Header=BB249_547 Depth=1
	s_mov_b32 s8, s4
	v_bfe_u32 v55, v55, 24, 7
	v_dual_mov_b32 v19, s9 :: v_dual_mov_b32 v18, s8
	s_mov_b32 s8, exec_lo
	s_delay_alu instid0(VALU_DEP_2)
	v_cmpx_ne_u32_e32 0x7f, v55
	s_cbranch_execz .LBB249_577
; %bb.574:                              ;   in Loop: Header=BB249_547 Depth=1
	v_and_b32_e32 v6, 7, v64
	v_lshrrev_b32_e32 v18, 3, v55
	s_mov_b32 s15, exec_lo
	v_cmpx_gt_u32_e32 8, v55
; %bb.575:                              ;   in Loop: Header=BB249_547 Depth=1
	s_delay_alu instid0(VALU_DEP_3) | instskip(NEXT) | instid1(VALU_DEP_1)
	v_clz_i32_u32_e32 v18, v6
	v_min_u32_e32 v18, 32, v18
	s_delay_alu instid0(VALU_DEP_1) | instskip(SKIP_1) | instid1(VALU_DEP_2)
	v_subrev_nc_u32_e32 v19, 28, v18
	v_sub_nc_u32_e32 v18, 29, v18
	v_lshlrev_b64 v[65:66], v19, v[6:7]
	s_delay_alu instid0(VALU_DEP_1)
	v_and_b32_e32 v6, 7, v65
; %bb.576:                              ;   in Loop: Header=BB249_547 Depth=1
	s_or_b32 exec_lo, exec_lo, s15
	v_lshlrev_b32_e32 v19, 24, v64
	s_delay_alu instid0(VALU_DEP_2) | instskip(SKIP_1) | instid1(VALU_DEP_3)
	v_lshlrev_b32_e32 v6, 20, v6
	v_lshl_add_u32 v18, v18, 23, 0x3c000000
	v_and_b32_e32 v19, 0x80000000, v19
	s_delay_alu instid0(VALU_DEP_1)
	v_or3_b32 v19, v6, v19, v18
	v_mov_b32_e32 v18, v7
.LBB249_577:                            ;   in Loop: Header=BB249_547 Depth=1
	s_or_b32 exec_lo, exec_lo, s8
.LBB249_578:                            ;   in Loop: Header=BB249_547 Depth=1
	s_delay_alu instid0(SALU_CYCLE_1)
	s_or_b32 exec_lo, exec_lo, s13
.LBB249_579:                            ;   in Loop: Header=BB249_547 Depth=1
	s_delay_alu instid0(SALU_CYCLE_1)
	s_or_b32 exec_lo, exec_lo, s1
	v_or_b32_e32 v5, v15, v5
	v_or_b32_e32 v4, v14, v4
	;; [unrolled: 1-line block ×4, first 2 shown]
	v_add_nc_u32_e32 v67, -3, v21
	v_cmp_eq_u32_e32 vcc_lo, v52, v20
	v_dual_mul_f32 v66, v54, v5 :: v_dual_mul_f32 v65, v51, v4
	v_dual_mul_f32 v55, v54, v6 :: v_dual_add_nc_u32 v68, -1, v21
	v_dual_mul_f32 v64, v51, v14 :: v_dual_add_nc_u32 v69, -2, v21
	s_and_saveexec_b32 s8, vcc_lo
; %bb.580:                              ;   in Loop: Header=BB249_547 Depth=1
	v_cmp_lt_i32_e64 s1, v67, v30
	s_delay_alu instid0(VALU_DEP_1) | instskip(NEXT) | instid1(VALU_DEP_3)
	v_cndmask_b32_e64 v65, 0, v65, s1
	v_cmp_lt_i32_e64 s1, v69, v30
	s_delay_alu instid0(VALU_DEP_1) | instskip(SKIP_1) | instid1(VALU_DEP_1)
	v_cndmask_b32_e64 v66, 0, v66, s1
	v_cmp_lt_i32_e64 s1, v68, v30
	v_cndmask_b32_e64 v64, 0, v64, s1
	v_cmp_lt_i32_e64 s1, v21, v30
	s_delay_alu instid0(VALU_DEP_1)
	v_cndmask_b32_e64 v55, 0, v55, s1
; %bb.581:                              ;   in Loop: Header=BB249_547 Depth=1
	s_or_b32 exec_lo, exec_lo, s8
	flat_load_b32 v70, v[12:13] offset:128
	v_mov_b32_e32 v14, 0
	v_mov_b32_e32 v15, 0
	s_mov_b32 s8, exec_lo
	s_waitcnt vmcnt(0) lgkmcnt(0)
	v_and_b32_e32 v6, 0xff, v70
	s_delay_alu instid0(VALU_DEP_2) | instskip(NEXT) | instid1(VALU_DEP_2)
	v_dual_mov_b32 v4, v14 :: v_dual_mov_b32 v5, v15
	v_cmpx_ne_u16_e32 0, v6
	s_cbranch_execz .LBB249_589
; %bb.582:                              ;   in Loop: Header=BB249_547 Depth=1
	v_bfrev_b32_e32 v4, 1
	v_mov_b32_e32 v5, 0
	s_mov_b32 s13, exec_lo
	v_cmpx_ne_u16_e32 0x80, v6
	s_cbranch_execz .LBB249_588
; %bb.583:                              ;   in Loop: Header=BB249_547 Depth=1
	v_mov_b32_e32 v4, 0x7f800001
	v_dual_mov_b32 v5, 0 :: v_dual_and_b32 v16, 0x7f, v70
	s_mov_b32 s15, exec_lo
	s_delay_alu instid0(VALU_DEP_1)
	v_cmpx_ne_u32_e32 0x7f, v16
	s_cbranch_execz .LBB249_587
; %bb.584:                              ;   in Loop: Header=BB249_547 Depth=1
	v_and_b32_e32 v6, 7, v70
	v_lshrrev_b32_e32 v4, 3, v16
	s_mov_b32 s16, exec_lo
	v_cmpx_gt_u32_e32 8, v16
; %bb.585:                              ;   in Loop: Header=BB249_547 Depth=1
	s_delay_alu instid0(VALU_DEP_3) | instskip(NEXT) | instid1(VALU_DEP_1)
	v_clz_i32_u32_e32 v4, v6
	v_min_u32_e32 v4, 32, v4
	s_delay_alu instid0(VALU_DEP_1) | instskip(SKIP_1) | instid1(VALU_DEP_2)
	v_subrev_nc_u32_e32 v5, 28, v4
	v_sub_nc_u32_e32 v4, 29, v4
	v_lshlrev_b64 v[5:6], v5, v[6:7]
	s_delay_alu instid0(VALU_DEP_1)
	v_and_b32_e32 v6, 7, v5
; %bb.586:                              ;   in Loop: Header=BB249_547 Depth=1
	s_or_b32 exec_lo, exec_lo, s16
	v_lshlrev_b32_e32 v5, 24, v70
	s_delay_alu instid0(VALU_DEP_2) | instskip(SKIP_1) | instid1(VALU_DEP_3)
	v_lshlrev_b32_e32 v6, 20, v6
	v_lshl_add_u32 v4, v4, 23, 0x3c000000
	v_and_b32_e32 v5, 0x80000000, v5
	s_delay_alu instid0(VALU_DEP_1) | instskip(NEXT) | instid1(VALU_DEP_1)
	v_or3_b32 v6, v6, v5, v4
	v_dual_mov_b32 v4, v6 :: v_dual_mov_b32 v5, v7
.LBB249_587:                            ;   in Loop: Header=BB249_547 Depth=1
	s_or_b32 exec_lo, exec_lo, s15
.LBB249_588:                            ;   in Loop: Header=BB249_547 Depth=1
	s_delay_alu instid0(SALU_CYCLE_1)
	s_or_b32 exec_lo, exec_lo, s13
.LBB249_589:                            ;   in Loop: Header=BB249_547 Depth=1
	s_delay_alu instid0(SALU_CYCLE_1) | instskip(SKIP_2) | instid1(VALU_DEP_1)
	s_or_b32 exec_lo, exec_lo, s8
	v_lshrrev_b16 v6, 8, v70
	s_mov_b32 s13, exec_lo
	v_cmpx_ne_u16_e32 0, v6
	s_cbranch_execz .LBB249_597
; %bb.590:                              ;   in Loop: Header=BB249_547 Depth=1
	v_dual_mov_b32 v15, s5 :: v_dual_mov_b32 v14, s4
	s_mov_b32 s15, exec_lo
	v_cmpx_ne_u16_e32 0x80, v6
	s_cbranch_execz .LBB249_596
; %bb.591:                              ;   in Loop: Header=BB249_547 Depth=1
	s_mov_b32 s8, s4
	v_dual_mov_b32 v15, s9 :: v_dual_and_b32 v6, 0xffff, v6
	v_mov_b32_e32 v14, s8
	s_mov_b32 s8, exec_lo
	s_delay_alu instid0(VALU_DEP_2) | instskip(NEXT) | instid1(VALU_DEP_1)
	v_and_b32_e32 v16, 0x7f, v6
	v_cmpx_ne_u32_e32 0x7f, v16
	s_cbranch_execz .LBB249_595
; %bb.592:                              ;   in Loop: Header=BB249_547 Depth=1
	v_and_b32_e32 v6, 7, v6
	v_lshrrev_b32_e32 v14, 3, v16
	s_mov_b32 s16, exec_lo
	v_cmpx_gt_u32_e32 8, v16
; %bb.593:                              ;   in Loop: Header=BB249_547 Depth=1
	s_delay_alu instid0(VALU_DEP_3) | instskip(NEXT) | instid1(VALU_DEP_1)
	v_clz_i32_u32_e32 v14, v6
	v_min_u32_e32 v14, 32, v14
	s_delay_alu instid0(VALU_DEP_1) | instskip(SKIP_1) | instid1(VALU_DEP_2)
	v_subrev_nc_u32_e32 v15, 28, v14
	v_sub_nc_u32_e32 v14, 29, v14
	v_lshlrev_b64 v[15:16], v15, v[6:7]
	s_delay_alu instid0(VALU_DEP_1)
	v_and_b32_e32 v6, 7, v15
; %bb.594:                              ;   in Loop: Header=BB249_547 Depth=1
	s_or_b32 exec_lo, exec_lo, s16
	v_lshlrev_b32_e32 v15, 16, v70
	s_delay_alu instid0(VALU_DEP_2) | instskip(SKIP_1) | instid1(VALU_DEP_3)
	v_lshlrev_b32_e32 v6, 20, v6
	v_lshl_add_u32 v14, v14, 23, 0x3c000000
	v_and_b32_e32 v15, 0x80000000, v15
	s_delay_alu instid0(VALU_DEP_1)
	v_or3_b32 v15, v6, v15, v14
	v_mov_b32_e32 v14, v7
.LBB249_595:                            ;   in Loop: Header=BB249_547 Depth=1
	s_or_b32 exec_lo, exec_lo, s8
.LBB249_596:                            ;   in Loop: Header=BB249_547 Depth=1
	s_delay_alu instid0(SALU_CYCLE_1)
	s_or_b32 exec_lo, exec_lo, s15
.LBB249_597:                            ;   in Loop: Header=BB249_547 Depth=1
	s_delay_alu instid0(SALU_CYCLE_1) | instskip(SKIP_4) | instid1(VALU_DEP_2)
	s_or_b32 exec_lo, exec_lo, s13
	v_mov_b32_e32 v18, 0
	v_lshrrev_b32_e32 v71, 16, v70
	v_mov_b32_e32 v19, 0
	s_mov_b32 s8, exec_lo
	v_and_b32_e32 v6, 0xff, v71
	s_delay_alu instid0(VALU_DEP_2) | instskip(NEXT) | instid1(VALU_DEP_2)
	v_dual_mov_b32 v16, v18 :: v_dual_mov_b32 v17, v19
	v_cmpx_ne_u16_e32 0, v6
	s_cbranch_execz .LBB249_605
; %bb.598:                              ;   in Loop: Header=BB249_547 Depth=1
	v_bfrev_b32_e32 v16, 1
	v_mov_b32_e32 v17, 0
	s_mov_b32 s13, exec_lo
	v_cmpx_ne_u16_e32 0x80, v6
	s_cbranch_execz .LBB249_604
; %bb.599:                              ;   in Loop: Header=BB249_547 Depth=1
	v_mov_b32_e32 v16, 0x7f800001
	v_bfe_u32 v80, v70, 16, 7
	v_mov_b32_e32 v17, 0
	s_mov_b32 s15, exec_lo
	s_delay_alu instid0(VALU_DEP_2)
	v_cmpx_ne_u32_e32 0x7f, v80
	s_cbranch_execz .LBB249_603
; %bb.600:                              ;   in Loop: Header=BB249_547 Depth=1
	v_and_b32_e32 v6, 7, v71
	v_lshrrev_b32_e32 v16, 3, v80
	s_mov_b32 s16, exec_lo
	v_cmpx_gt_u32_e32 8, v80
; %bb.601:                              ;   in Loop: Header=BB249_547 Depth=1
	s_delay_alu instid0(VALU_DEP_3) | instskip(NEXT) | instid1(VALU_DEP_1)
	v_clz_i32_u32_e32 v16, v6
	v_min_u32_e32 v16, 32, v16
	s_delay_alu instid0(VALU_DEP_1) | instskip(SKIP_1) | instid1(VALU_DEP_2)
	v_subrev_nc_u32_e32 v17, 28, v16
	v_sub_nc_u32_e32 v16, 29, v16
	v_lshlrev_b64 v[80:81], v17, v[6:7]
	s_delay_alu instid0(VALU_DEP_1)
	v_and_b32_e32 v6, 7, v80
; %bb.602:                              ;   in Loop: Header=BB249_547 Depth=1
	s_or_b32 exec_lo, exec_lo, s16
	v_lshlrev_b32_e32 v17, 24, v71
	s_delay_alu instid0(VALU_DEP_2) | instskip(SKIP_1) | instid1(VALU_DEP_3)
	v_lshlrev_b32_e32 v6, 20, v6
	v_lshl_add_u32 v16, v16, 23, 0x3c000000
	v_and_b32_e32 v17, 0x80000000, v17
	s_delay_alu instid0(VALU_DEP_1) | instskip(NEXT) | instid1(VALU_DEP_1)
	v_or3_b32 v6, v6, v17, v16
	v_dual_mov_b32 v17, v7 :: v_dual_mov_b32 v16, v6
.LBB249_603:                            ;   in Loop: Header=BB249_547 Depth=1
	s_or_b32 exec_lo, exec_lo, s15
.LBB249_604:                            ;   in Loop: Header=BB249_547 Depth=1
	s_delay_alu instid0(SALU_CYCLE_1)
	s_or_b32 exec_lo, exec_lo, s13
.LBB249_605:                            ;   in Loop: Header=BB249_547 Depth=1
	s_delay_alu instid0(SALU_CYCLE_1) | instskip(NEXT) | instid1(SALU_CYCLE_1)
	s_or_b32 exec_lo, exec_lo, s8
	s_mov_b32 s13, exec_lo
	v_cmpx_lt_u32_e32 0xffffff, v70
	s_cbranch_execz .LBB249_613
; %bb.606:                              ;   in Loop: Header=BB249_547 Depth=1
	v_lshrrev_b32_e32 v71, 24, v70
	v_dual_mov_b32 v19, s5 :: v_dual_mov_b32 v18, s4
	s_mov_b32 s15, exec_lo
	s_delay_alu instid0(VALU_DEP_2)
	v_cmpx_ne_u32_e32 0x80, v71
	s_cbranch_execz .LBB249_612
; %bb.607:                              ;   in Loop: Header=BB249_547 Depth=1
	s_mov_b32 s8, s4
	v_bfe_u32 v70, v70, 24, 7
	v_dual_mov_b32 v19, s9 :: v_dual_mov_b32 v18, s8
	s_mov_b32 s8, exec_lo
	s_delay_alu instid0(VALU_DEP_2)
	v_cmpx_ne_u32_e32 0x7f, v70
	s_cbranch_execz .LBB249_611
; %bb.608:                              ;   in Loop: Header=BB249_547 Depth=1
	v_and_b32_e32 v6, 7, v71
	v_lshrrev_b32_e32 v18, 3, v70
	s_mov_b32 s16, exec_lo
	v_cmpx_gt_u32_e32 8, v70
; %bb.609:                              ;   in Loop: Header=BB249_547 Depth=1
	s_delay_alu instid0(VALU_DEP_3) | instskip(NEXT) | instid1(VALU_DEP_1)
	v_clz_i32_u32_e32 v18, v6
	v_min_u32_e32 v18, 32, v18
	s_delay_alu instid0(VALU_DEP_1) | instskip(SKIP_1) | instid1(VALU_DEP_2)
	v_subrev_nc_u32_e32 v19, 28, v18
	v_sub_nc_u32_e32 v18, 29, v18
	v_lshlrev_b64 v[80:81], v19, v[6:7]
	s_delay_alu instid0(VALU_DEP_1)
	v_and_b32_e32 v6, 7, v80
; %bb.610:                              ;   in Loop: Header=BB249_547 Depth=1
	s_or_b32 exec_lo, exec_lo, s16
	v_lshlrev_b32_e32 v19, 24, v71
	s_delay_alu instid0(VALU_DEP_2) | instskip(SKIP_1) | instid1(VALU_DEP_3)
	v_lshlrev_b32_e32 v6, 20, v6
	v_lshl_add_u32 v18, v18, 23, 0x3c000000
	v_and_b32_e32 v19, 0x80000000, v19
	s_delay_alu instid0(VALU_DEP_1)
	v_or3_b32 v19, v6, v19, v18
	v_mov_b32_e32 v18, v7
.LBB249_611:                            ;   in Loop: Header=BB249_547 Depth=1
	s_or_b32 exec_lo, exec_lo, s8
.LBB249_612:                            ;   in Loop: Header=BB249_547 Depth=1
	s_delay_alu instid0(SALU_CYCLE_1)
	s_or_b32 exec_lo, exec_lo, s15
.LBB249_613:                            ;   in Loop: Header=BB249_547 Depth=1
	s_delay_alu instid0(SALU_CYCLE_1) | instskip(SKIP_4) | instid1(VALU_DEP_3)
	s_or_b32 exec_lo, exec_lo, s13
	v_or_b32_e32 v5, v15, v5
	v_or_b32_e32 v4, v14, v4
	;; [unrolled: 1-line block ×4, first 2 shown]
	v_dual_mul_f32 v81, v54, v5 :: v_dual_mul_f32 v80, v51, v4
	s_delay_alu instid0(VALU_DEP_3) | instskip(NEXT) | instid1(VALU_DEP_3)
	v_mul_f32_e32 v70, v54, v6
	v_mul_f32_e32 v71, v51, v14
	s_and_saveexec_b32 s8, vcc_lo
; %bb.614:                              ;   in Loop: Header=BB249_547 Depth=1
	v_cmp_lt_i32_e64 s1, v67, v30
	s_delay_alu instid0(VALU_DEP_1) | instskip(SKIP_1) | instid1(VALU_DEP_1)
	v_cndmask_b32_e64 v80, 0, v80, s1
	v_cmp_lt_i32_e64 s1, v69, v30
	v_cndmask_b32_e64 v81, 0, v81, s1
	v_cmp_lt_i32_e64 s1, v68, v30
	s_delay_alu instid0(VALU_DEP_1) | instskip(SKIP_1) | instid1(VALU_DEP_1)
	v_cndmask_b32_e64 v71, 0, v71, s1
	v_cmp_lt_i32_e64 s1, v21, v30
	v_cndmask_b32_e64 v70, 0, v70, s1
; %bb.615:                              ;   in Loop: Header=BB249_547 Depth=1
	s_or_b32 exec_lo, exec_lo, s8
	flat_load_b32 v82, v[12:13] offset:256
	v_mov_b32_e32 v14, 0
	v_mov_b32_e32 v15, 0
	s_mov_b32 s8, exec_lo
	s_waitcnt vmcnt(0) lgkmcnt(0)
	v_and_b32_e32 v6, 0xff, v82
	s_delay_alu instid0(VALU_DEP_2) | instskip(NEXT) | instid1(VALU_DEP_2)
	v_dual_mov_b32 v4, v14 :: v_dual_mov_b32 v5, v15
	v_cmpx_ne_u16_e32 0, v6
	s_cbranch_execz .LBB249_623
; %bb.616:                              ;   in Loop: Header=BB249_547 Depth=1
	v_bfrev_b32_e32 v4, 1
	v_mov_b32_e32 v5, 0
	s_mov_b32 s13, exec_lo
	v_cmpx_ne_u16_e32 0x80, v6
	s_cbranch_execz .LBB249_622
; %bb.617:                              ;   in Loop: Header=BB249_547 Depth=1
	v_mov_b32_e32 v4, 0x7f800001
	v_dual_mov_b32 v5, 0 :: v_dual_and_b32 v16, 0x7f, v82
	s_mov_b32 s15, exec_lo
	s_delay_alu instid0(VALU_DEP_1)
	v_cmpx_ne_u32_e32 0x7f, v16
	s_cbranch_execz .LBB249_621
; %bb.618:                              ;   in Loop: Header=BB249_547 Depth=1
	v_and_b32_e32 v6, 7, v82
	v_lshrrev_b32_e32 v4, 3, v16
	s_mov_b32 s16, exec_lo
	v_cmpx_gt_u32_e32 8, v16
; %bb.619:                              ;   in Loop: Header=BB249_547 Depth=1
	s_delay_alu instid0(VALU_DEP_3) | instskip(NEXT) | instid1(VALU_DEP_1)
	v_clz_i32_u32_e32 v4, v6
	v_min_u32_e32 v4, 32, v4
	s_delay_alu instid0(VALU_DEP_1) | instskip(SKIP_1) | instid1(VALU_DEP_2)
	v_subrev_nc_u32_e32 v5, 28, v4
	v_sub_nc_u32_e32 v4, 29, v4
	v_lshlrev_b64 v[5:6], v5, v[6:7]
	s_delay_alu instid0(VALU_DEP_1)
	v_and_b32_e32 v6, 7, v5
; %bb.620:                              ;   in Loop: Header=BB249_547 Depth=1
	s_or_b32 exec_lo, exec_lo, s16
	v_lshlrev_b32_e32 v5, 24, v82
	s_delay_alu instid0(VALU_DEP_2) | instskip(SKIP_1) | instid1(VALU_DEP_3)
	v_lshlrev_b32_e32 v6, 20, v6
	v_lshl_add_u32 v4, v4, 23, 0x3c000000
	v_and_b32_e32 v5, 0x80000000, v5
	s_delay_alu instid0(VALU_DEP_1) | instskip(NEXT) | instid1(VALU_DEP_1)
	v_or3_b32 v6, v6, v5, v4
	v_dual_mov_b32 v4, v6 :: v_dual_mov_b32 v5, v7
.LBB249_621:                            ;   in Loop: Header=BB249_547 Depth=1
	s_or_b32 exec_lo, exec_lo, s15
.LBB249_622:                            ;   in Loop: Header=BB249_547 Depth=1
	s_delay_alu instid0(SALU_CYCLE_1)
	s_or_b32 exec_lo, exec_lo, s13
.LBB249_623:                            ;   in Loop: Header=BB249_547 Depth=1
	s_delay_alu instid0(SALU_CYCLE_1) | instskip(SKIP_2) | instid1(VALU_DEP_1)
	s_or_b32 exec_lo, exec_lo, s8
	v_lshrrev_b16 v6, 8, v82
	s_mov_b32 s13, exec_lo
	v_cmpx_ne_u16_e32 0, v6
	s_cbranch_execz .LBB249_631
; %bb.624:                              ;   in Loop: Header=BB249_547 Depth=1
	v_dual_mov_b32 v15, s5 :: v_dual_mov_b32 v14, s4
	s_mov_b32 s15, exec_lo
	v_cmpx_ne_u16_e32 0x80, v6
	s_cbranch_execz .LBB249_630
; %bb.625:                              ;   in Loop: Header=BB249_547 Depth=1
	s_mov_b32 s8, s4
	v_dual_mov_b32 v15, s9 :: v_dual_and_b32 v6, 0xffff, v6
	v_mov_b32_e32 v14, s8
	s_mov_b32 s8, exec_lo
	s_delay_alu instid0(VALU_DEP_2) | instskip(NEXT) | instid1(VALU_DEP_1)
	v_and_b32_e32 v16, 0x7f, v6
	v_cmpx_ne_u32_e32 0x7f, v16
	s_cbranch_execz .LBB249_629
; %bb.626:                              ;   in Loop: Header=BB249_547 Depth=1
	v_and_b32_e32 v6, 7, v6
	v_lshrrev_b32_e32 v14, 3, v16
	s_mov_b32 s16, exec_lo
	v_cmpx_gt_u32_e32 8, v16
; %bb.627:                              ;   in Loop: Header=BB249_547 Depth=1
	s_delay_alu instid0(VALU_DEP_3) | instskip(NEXT) | instid1(VALU_DEP_1)
	v_clz_i32_u32_e32 v14, v6
	v_min_u32_e32 v14, 32, v14
	s_delay_alu instid0(VALU_DEP_1) | instskip(SKIP_1) | instid1(VALU_DEP_2)
	v_subrev_nc_u32_e32 v15, 28, v14
	v_sub_nc_u32_e32 v14, 29, v14
	v_lshlrev_b64 v[15:16], v15, v[6:7]
	s_delay_alu instid0(VALU_DEP_1)
	v_and_b32_e32 v6, 7, v15
; %bb.628:                              ;   in Loop: Header=BB249_547 Depth=1
	s_or_b32 exec_lo, exec_lo, s16
	v_lshlrev_b32_e32 v15, 16, v82
	s_delay_alu instid0(VALU_DEP_2) | instskip(SKIP_1) | instid1(VALU_DEP_3)
	v_lshlrev_b32_e32 v6, 20, v6
	v_lshl_add_u32 v14, v14, 23, 0x3c000000
	v_and_b32_e32 v15, 0x80000000, v15
	s_delay_alu instid0(VALU_DEP_1)
	v_or3_b32 v15, v6, v15, v14
	v_mov_b32_e32 v14, v7
.LBB249_629:                            ;   in Loop: Header=BB249_547 Depth=1
	s_or_b32 exec_lo, exec_lo, s8
.LBB249_630:                            ;   in Loop: Header=BB249_547 Depth=1
	s_delay_alu instid0(SALU_CYCLE_1)
	s_or_b32 exec_lo, exec_lo, s15
.LBB249_631:                            ;   in Loop: Header=BB249_547 Depth=1
	s_delay_alu instid0(SALU_CYCLE_1) | instskip(SKIP_4) | instid1(VALU_DEP_2)
	s_or_b32 exec_lo, exec_lo, s13
	v_mov_b32_e32 v18, 0
	v_lshrrev_b32_e32 v83, 16, v82
	v_mov_b32_e32 v19, 0
	s_mov_b32 s8, exec_lo
	v_and_b32_e32 v6, 0xff, v83
	s_delay_alu instid0(VALU_DEP_2) | instskip(NEXT) | instid1(VALU_DEP_2)
	v_dual_mov_b32 v16, v18 :: v_dual_mov_b32 v17, v19
	v_cmpx_ne_u16_e32 0, v6
	s_cbranch_execz .LBB249_639
; %bb.632:                              ;   in Loop: Header=BB249_547 Depth=1
	v_bfrev_b32_e32 v16, 1
	v_mov_b32_e32 v17, 0
	s_mov_b32 s13, exec_lo
	v_cmpx_ne_u16_e32 0x80, v6
	s_cbranch_execz .LBB249_638
; %bb.633:                              ;   in Loop: Header=BB249_547 Depth=1
	v_mov_b32_e32 v16, 0x7f800001
	v_bfe_u32 v84, v82, 16, 7
	v_mov_b32_e32 v17, 0
	s_mov_b32 s15, exec_lo
	s_delay_alu instid0(VALU_DEP_2)
	v_cmpx_ne_u32_e32 0x7f, v84
	s_cbranch_execz .LBB249_637
; %bb.634:                              ;   in Loop: Header=BB249_547 Depth=1
	v_and_b32_e32 v6, 7, v83
	v_lshrrev_b32_e32 v16, 3, v84
	s_mov_b32 s16, exec_lo
	v_cmpx_gt_u32_e32 8, v84
; %bb.635:                              ;   in Loop: Header=BB249_547 Depth=1
	s_delay_alu instid0(VALU_DEP_3) | instskip(NEXT) | instid1(VALU_DEP_1)
	v_clz_i32_u32_e32 v16, v6
	v_min_u32_e32 v16, 32, v16
	s_delay_alu instid0(VALU_DEP_1) | instskip(SKIP_1) | instid1(VALU_DEP_2)
	v_subrev_nc_u32_e32 v17, 28, v16
	v_sub_nc_u32_e32 v16, 29, v16
	v_lshlrev_b64 v[84:85], v17, v[6:7]
	s_delay_alu instid0(VALU_DEP_1)
	v_and_b32_e32 v6, 7, v84
; %bb.636:                              ;   in Loop: Header=BB249_547 Depth=1
	s_or_b32 exec_lo, exec_lo, s16
	v_lshlrev_b32_e32 v17, 24, v83
	s_delay_alu instid0(VALU_DEP_2) | instskip(SKIP_1) | instid1(VALU_DEP_3)
	v_lshlrev_b32_e32 v6, 20, v6
	v_lshl_add_u32 v16, v16, 23, 0x3c000000
	v_and_b32_e32 v17, 0x80000000, v17
	s_delay_alu instid0(VALU_DEP_1) | instskip(NEXT) | instid1(VALU_DEP_1)
	v_or3_b32 v6, v6, v17, v16
	v_dual_mov_b32 v17, v7 :: v_dual_mov_b32 v16, v6
.LBB249_637:                            ;   in Loop: Header=BB249_547 Depth=1
	s_or_b32 exec_lo, exec_lo, s15
.LBB249_638:                            ;   in Loop: Header=BB249_547 Depth=1
	s_delay_alu instid0(SALU_CYCLE_1)
	s_or_b32 exec_lo, exec_lo, s13
.LBB249_639:                            ;   in Loop: Header=BB249_547 Depth=1
	s_delay_alu instid0(SALU_CYCLE_1) | instskip(NEXT) | instid1(SALU_CYCLE_1)
	s_or_b32 exec_lo, exec_lo, s8
	s_mov_b32 s13, exec_lo
	v_cmpx_lt_u32_e32 0xffffff, v82
	s_cbranch_execz .LBB249_647
; %bb.640:                              ;   in Loop: Header=BB249_547 Depth=1
	v_lshrrev_b32_e32 v83, 24, v82
	v_dual_mov_b32 v19, s5 :: v_dual_mov_b32 v18, s4
	s_mov_b32 s15, exec_lo
	s_delay_alu instid0(VALU_DEP_2)
	v_cmpx_ne_u32_e32 0x80, v83
	s_cbranch_execz .LBB249_646
; %bb.641:                              ;   in Loop: Header=BB249_547 Depth=1
	s_mov_b32 s8, s4
	v_bfe_u32 v82, v82, 24, 7
	v_dual_mov_b32 v19, s9 :: v_dual_mov_b32 v18, s8
	s_mov_b32 s8, exec_lo
	s_delay_alu instid0(VALU_DEP_2)
	v_cmpx_ne_u32_e32 0x7f, v82
	s_cbranch_execz .LBB249_645
; %bb.642:                              ;   in Loop: Header=BB249_547 Depth=1
	v_and_b32_e32 v6, 7, v83
	v_lshrrev_b32_e32 v18, 3, v82
	s_mov_b32 s16, exec_lo
	v_cmpx_gt_u32_e32 8, v82
; %bb.643:                              ;   in Loop: Header=BB249_547 Depth=1
	s_delay_alu instid0(VALU_DEP_3) | instskip(NEXT) | instid1(VALU_DEP_1)
	v_clz_i32_u32_e32 v18, v6
	v_min_u32_e32 v18, 32, v18
	s_delay_alu instid0(VALU_DEP_1) | instskip(SKIP_1) | instid1(VALU_DEP_2)
	v_subrev_nc_u32_e32 v19, 28, v18
	v_sub_nc_u32_e32 v18, 29, v18
	v_lshlrev_b64 v[84:85], v19, v[6:7]
	s_delay_alu instid0(VALU_DEP_1)
	v_and_b32_e32 v6, 7, v84
; %bb.644:                              ;   in Loop: Header=BB249_547 Depth=1
	s_or_b32 exec_lo, exec_lo, s16
	v_lshlrev_b32_e32 v19, 24, v83
	s_delay_alu instid0(VALU_DEP_2) | instskip(SKIP_1) | instid1(VALU_DEP_3)
	v_lshlrev_b32_e32 v6, 20, v6
	v_lshl_add_u32 v18, v18, 23, 0x3c000000
	v_and_b32_e32 v19, 0x80000000, v19
	s_delay_alu instid0(VALU_DEP_1)
	v_or3_b32 v19, v6, v19, v18
	v_mov_b32_e32 v18, v7
.LBB249_645:                            ;   in Loop: Header=BB249_547 Depth=1
	s_or_b32 exec_lo, exec_lo, s8
.LBB249_646:                            ;   in Loop: Header=BB249_547 Depth=1
	s_delay_alu instid0(SALU_CYCLE_1)
	s_or_b32 exec_lo, exec_lo, s15
.LBB249_647:                            ;   in Loop: Header=BB249_547 Depth=1
	s_delay_alu instid0(SALU_CYCLE_1) | instskip(SKIP_4) | instid1(VALU_DEP_3)
	s_or_b32 exec_lo, exec_lo, s13
	v_or_b32_e32 v5, v15, v5
	v_or_b32_e32 v4, v14, v4
	;; [unrolled: 1-line block ×4, first 2 shown]
	v_dual_mul_f32 v85, v54, v5 :: v_dual_mul_f32 v84, v51, v4
	s_delay_alu instid0(VALU_DEP_3) | instskip(NEXT) | instid1(VALU_DEP_3)
	v_mul_f32_e32 v82, v54, v6
	v_mul_f32_e32 v83, v51, v14
	s_and_saveexec_b32 s8, vcc_lo
; %bb.648:                              ;   in Loop: Header=BB249_547 Depth=1
	v_cmp_lt_i32_e64 s1, v67, v30
	s_delay_alu instid0(VALU_DEP_1) | instskip(SKIP_1) | instid1(VALU_DEP_1)
	v_cndmask_b32_e64 v84, 0, v84, s1
	v_cmp_lt_i32_e64 s1, v69, v30
	v_cndmask_b32_e64 v85, 0, v85, s1
	v_cmp_lt_i32_e64 s1, v68, v30
	s_delay_alu instid0(VALU_DEP_1) | instskip(SKIP_1) | instid1(VALU_DEP_1)
	v_cndmask_b32_e64 v83, 0, v83, s1
	v_cmp_lt_i32_e64 s1, v21, v30
	v_cndmask_b32_e64 v82, 0, v82, s1
; %bb.649:                              ;   in Loop: Header=BB249_547 Depth=1
	s_or_b32 exec_lo, exec_lo, s8
	flat_load_b32 v86, v[12:13] offset:384
	v_mov_b32_e32 v14, 0
	v_mov_b32_e32 v15, 0
	s_mov_b32 s8, exec_lo
	s_waitcnt vmcnt(0) lgkmcnt(0)
	v_and_b32_e32 v6, 0xff, v86
	s_delay_alu instid0(VALU_DEP_2) | instskip(NEXT) | instid1(VALU_DEP_2)
	v_dual_mov_b32 v4, v14 :: v_dual_mov_b32 v5, v15
	v_cmpx_ne_u16_e32 0, v6
	s_cbranch_execz .LBB249_657
; %bb.650:                              ;   in Loop: Header=BB249_547 Depth=1
	v_bfrev_b32_e32 v4, 1
	v_mov_b32_e32 v5, 0
	s_mov_b32 s13, exec_lo
	v_cmpx_ne_u16_e32 0x80, v6
	s_cbranch_execz .LBB249_656
; %bb.651:                              ;   in Loop: Header=BB249_547 Depth=1
	v_mov_b32_e32 v4, 0x7f800001
	v_dual_mov_b32 v5, 0 :: v_dual_and_b32 v16, 0x7f, v86
	s_mov_b32 s15, exec_lo
	s_delay_alu instid0(VALU_DEP_1)
	v_cmpx_ne_u32_e32 0x7f, v16
	s_cbranch_execz .LBB249_655
; %bb.652:                              ;   in Loop: Header=BB249_547 Depth=1
	v_and_b32_e32 v6, 7, v86
	v_lshrrev_b32_e32 v4, 3, v16
	s_mov_b32 s16, exec_lo
	v_cmpx_gt_u32_e32 8, v16
; %bb.653:                              ;   in Loop: Header=BB249_547 Depth=1
	s_delay_alu instid0(VALU_DEP_3) | instskip(NEXT) | instid1(VALU_DEP_1)
	v_clz_i32_u32_e32 v4, v6
	v_min_u32_e32 v4, 32, v4
	s_delay_alu instid0(VALU_DEP_1) | instskip(SKIP_1) | instid1(VALU_DEP_2)
	v_subrev_nc_u32_e32 v5, 28, v4
	v_sub_nc_u32_e32 v4, 29, v4
	v_lshlrev_b64 v[5:6], v5, v[6:7]
	s_delay_alu instid0(VALU_DEP_1)
	v_and_b32_e32 v6, 7, v5
; %bb.654:                              ;   in Loop: Header=BB249_547 Depth=1
	s_or_b32 exec_lo, exec_lo, s16
	v_lshlrev_b32_e32 v5, 24, v86
	s_delay_alu instid0(VALU_DEP_2) | instskip(SKIP_1) | instid1(VALU_DEP_3)
	v_lshlrev_b32_e32 v6, 20, v6
	v_lshl_add_u32 v4, v4, 23, 0x3c000000
	v_and_b32_e32 v5, 0x80000000, v5
	s_delay_alu instid0(VALU_DEP_1) | instskip(NEXT) | instid1(VALU_DEP_1)
	v_or3_b32 v6, v6, v5, v4
	v_dual_mov_b32 v4, v6 :: v_dual_mov_b32 v5, v7
.LBB249_655:                            ;   in Loop: Header=BB249_547 Depth=1
	s_or_b32 exec_lo, exec_lo, s15
.LBB249_656:                            ;   in Loop: Header=BB249_547 Depth=1
	s_delay_alu instid0(SALU_CYCLE_1)
	s_or_b32 exec_lo, exec_lo, s13
.LBB249_657:                            ;   in Loop: Header=BB249_547 Depth=1
	s_delay_alu instid0(SALU_CYCLE_1) | instskip(SKIP_2) | instid1(VALU_DEP_1)
	s_or_b32 exec_lo, exec_lo, s8
	v_lshrrev_b16 v6, 8, v86
	s_mov_b32 s13, exec_lo
	v_cmpx_ne_u16_e32 0, v6
	s_cbranch_execz .LBB249_665
; %bb.658:                              ;   in Loop: Header=BB249_547 Depth=1
	v_dual_mov_b32 v15, s5 :: v_dual_mov_b32 v14, s4
	s_mov_b32 s15, exec_lo
	v_cmpx_ne_u16_e32 0x80, v6
	s_cbranch_execz .LBB249_664
; %bb.659:                              ;   in Loop: Header=BB249_547 Depth=1
	s_mov_b32 s8, s4
	v_dual_mov_b32 v15, s9 :: v_dual_and_b32 v6, 0xffff, v6
	v_mov_b32_e32 v14, s8
	s_mov_b32 s8, exec_lo
	s_delay_alu instid0(VALU_DEP_2) | instskip(NEXT) | instid1(VALU_DEP_1)
	v_and_b32_e32 v16, 0x7f, v6
	v_cmpx_ne_u32_e32 0x7f, v16
	s_cbranch_execz .LBB249_663
; %bb.660:                              ;   in Loop: Header=BB249_547 Depth=1
	v_and_b32_e32 v6, 7, v6
	v_lshrrev_b32_e32 v14, 3, v16
	s_mov_b32 s16, exec_lo
	v_cmpx_gt_u32_e32 8, v16
; %bb.661:                              ;   in Loop: Header=BB249_547 Depth=1
	s_delay_alu instid0(VALU_DEP_3) | instskip(NEXT) | instid1(VALU_DEP_1)
	v_clz_i32_u32_e32 v14, v6
	v_min_u32_e32 v14, 32, v14
	s_delay_alu instid0(VALU_DEP_1) | instskip(SKIP_1) | instid1(VALU_DEP_2)
	v_subrev_nc_u32_e32 v15, 28, v14
	v_sub_nc_u32_e32 v14, 29, v14
	v_lshlrev_b64 v[15:16], v15, v[6:7]
	s_delay_alu instid0(VALU_DEP_1)
	v_and_b32_e32 v6, 7, v15
; %bb.662:                              ;   in Loop: Header=BB249_547 Depth=1
	s_or_b32 exec_lo, exec_lo, s16
	v_lshlrev_b32_e32 v15, 16, v86
	s_delay_alu instid0(VALU_DEP_2) | instskip(SKIP_1) | instid1(VALU_DEP_3)
	v_lshlrev_b32_e32 v6, 20, v6
	v_lshl_add_u32 v14, v14, 23, 0x3c000000
	v_and_b32_e32 v15, 0x80000000, v15
	s_delay_alu instid0(VALU_DEP_1)
	v_or3_b32 v15, v6, v15, v14
	v_mov_b32_e32 v14, v7
.LBB249_663:                            ;   in Loop: Header=BB249_547 Depth=1
	s_or_b32 exec_lo, exec_lo, s8
.LBB249_664:                            ;   in Loop: Header=BB249_547 Depth=1
	s_delay_alu instid0(SALU_CYCLE_1)
	s_or_b32 exec_lo, exec_lo, s15
.LBB249_665:                            ;   in Loop: Header=BB249_547 Depth=1
	s_delay_alu instid0(SALU_CYCLE_1) | instskip(SKIP_4) | instid1(VALU_DEP_2)
	s_or_b32 exec_lo, exec_lo, s13
	v_mov_b32_e32 v18, 0
	v_lshrrev_b32_e32 v87, 16, v86
	v_mov_b32_e32 v19, 0
	s_mov_b32 s8, exec_lo
	v_and_b32_e32 v6, 0xff, v87
	s_delay_alu instid0(VALU_DEP_2) | instskip(NEXT) | instid1(VALU_DEP_2)
	v_dual_mov_b32 v16, v18 :: v_dual_mov_b32 v17, v19
	v_cmpx_ne_u16_e32 0, v6
	s_cbranch_execz .LBB249_673
; %bb.666:                              ;   in Loop: Header=BB249_547 Depth=1
	v_bfrev_b32_e32 v16, 1
	v_mov_b32_e32 v17, 0
	s_mov_b32 s13, exec_lo
	v_cmpx_ne_u16_e32 0x80, v6
	s_cbranch_execz .LBB249_672
; %bb.667:                              ;   in Loop: Header=BB249_547 Depth=1
	v_mov_b32_e32 v16, 0x7f800001
	v_bfe_u32 v96, v86, 16, 7
	v_mov_b32_e32 v17, 0
	s_mov_b32 s15, exec_lo
	s_delay_alu instid0(VALU_DEP_2)
	v_cmpx_ne_u32_e32 0x7f, v96
	s_cbranch_execz .LBB249_671
; %bb.668:                              ;   in Loop: Header=BB249_547 Depth=1
	v_and_b32_e32 v6, 7, v87
	v_lshrrev_b32_e32 v16, 3, v96
	s_mov_b32 s16, exec_lo
	v_cmpx_gt_u32_e32 8, v96
; %bb.669:                              ;   in Loop: Header=BB249_547 Depth=1
	s_delay_alu instid0(VALU_DEP_3) | instskip(NEXT) | instid1(VALU_DEP_1)
	v_clz_i32_u32_e32 v16, v6
	v_min_u32_e32 v16, 32, v16
	s_delay_alu instid0(VALU_DEP_1) | instskip(SKIP_1) | instid1(VALU_DEP_2)
	v_subrev_nc_u32_e32 v17, 28, v16
	v_sub_nc_u32_e32 v16, 29, v16
	v_lshlrev_b64 v[96:97], v17, v[6:7]
	s_delay_alu instid0(VALU_DEP_1)
	v_and_b32_e32 v6, 7, v96
; %bb.670:                              ;   in Loop: Header=BB249_547 Depth=1
	s_or_b32 exec_lo, exec_lo, s16
	v_lshlrev_b32_e32 v17, 24, v87
	s_delay_alu instid0(VALU_DEP_2) | instskip(SKIP_1) | instid1(VALU_DEP_3)
	v_lshlrev_b32_e32 v6, 20, v6
	v_lshl_add_u32 v16, v16, 23, 0x3c000000
	v_and_b32_e32 v17, 0x80000000, v17
	s_delay_alu instid0(VALU_DEP_1) | instskip(NEXT) | instid1(VALU_DEP_1)
	v_or3_b32 v6, v6, v17, v16
	v_dual_mov_b32 v17, v7 :: v_dual_mov_b32 v16, v6
.LBB249_671:                            ;   in Loop: Header=BB249_547 Depth=1
	s_or_b32 exec_lo, exec_lo, s15
.LBB249_672:                            ;   in Loop: Header=BB249_547 Depth=1
	s_delay_alu instid0(SALU_CYCLE_1)
	s_or_b32 exec_lo, exec_lo, s13
.LBB249_673:                            ;   in Loop: Header=BB249_547 Depth=1
	s_delay_alu instid0(SALU_CYCLE_1) | instskip(NEXT) | instid1(SALU_CYCLE_1)
	s_or_b32 exec_lo, exec_lo, s8
	s_mov_b32 s13, exec_lo
	v_cmpx_lt_u32_e32 0xffffff, v86
	s_cbranch_execz .LBB249_681
; %bb.674:                              ;   in Loop: Header=BB249_547 Depth=1
	v_lshrrev_b32_e32 v87, 24, v86
	v_dual_mov_b32 v19, s5 :: v_dual_mov_b32 v18, s4
	s_mov_b32 s15, exec_lo
	s_delay_alu instid0(VALU_DEP_2)
	v_cmpx_ne_u32_e32 0x80, v87
	s_cbranch_execz .LBB249_680
; %bb.675:                              ;   in Loop: Header=BB249_547 Depth=1
	s_mov_b32 s8, s4
	v_bfe_u32 v86, v86, 24, 7
	v_dual_mov_b32 v19, s9 :: v_dual_mov_b32 v18, s8
	s_mov_b32 s8, exec_lo
	s_delay_alu instid0(VALU_DEP_2)
	v_cmpx_ne_u32_e32 0x7f, v86
	s_cbranch_execz .LBB249_679
; %bb.676:                              ;   in Loop: Header=BB249_547 Depth=1
	v_and_b32_e32 v6, 7, v87
	v_lshrrev_b32_e32 v18, 3, v86
	s_mov_b32 s16, exec_lo
	v_cmpx_gt_u32_e32 8, v86
; %bb.677:                              ;   in Loop: Header=BB249_547 Depth=1
	s_delay_alu instid0(VALU_DEP_3) | instskip(NEXT) | instid1(VALU_DEP_1)
	v_clz_i32_u32_e32 v18, v6
	v_min_u32_e32 v18, 32, v18
	s_delay_alu instid0(VALU_DEP_1) | instskip(SKIP_1) | instid1(VALU_DEP_2)
	v_subrev_nc_u32_e32 v19, 28, v18
	v_sub_nc_u32_e32 v18, 29, v18
	v_lshlrev_b64 v[96:97], v19, v[6:7]
	s_delay_alu instid0(VALU_DEP_1)
	v_and_b32_e32 v6, 7, v96
; %bb.678:                              ;   in Loop: Header=BB249_547 Depth=1
	s_or_b32 exec_lo, exec_lo, s16
	v_lshlrev_b32_e32 v19, 24, v87
	s_delay_alu instid0(VALU_DEP_2) | instskip(SKIP_1) | instid1(VALU_DEP_3)
	v_lshlrev_b32_e32 v6, 20, v6
	v_lshl_add_u32 v18, v18, 23, 0x3c000000
	v_and_b32_e32 v19, 0x80000000, v19
	s_delay_alu instid0(VALU_DEP_1)
	v_or3_b32 v19, v6, v19, v18
	v_mov_b32_e32 v18, v7
.LBB249_679:                            ;   in Loop: Header=BB249_547 Depth=1
	s_or_b32 exec_lo, exec_lo, s8
.LBB249_680:                            ;   in Loop: Header=BB249_547 Depth=1
	s_delay_alu instid0(SALU_CYCLE_1)
	s_or_b32 exec_lo, exec_lo, s15
.LBB249_681:                            ;   in Loop: Header=BB249_547 Depth=1
	s_delay_alu instid0(SALU_CYCLE_1) | instskip(SKIP_4) | instid1(VALU_DEP_3)
	s_or_b32 exec_lo, exec_lo, s13
	v_or_b32_e32 v5, v15, v5
	v_or_b32_e32 v4, v14, v4
	;; [unrolled: 1-line block ×4, first 2 shown]
	v_dual_mul_f32 v97, v54, v5 :: v_dual_mul_f32 v96, v51, v4
	s_delay_alu instid0(VALU_DEP_3) | instskip(NEXT) | instid1(VALU_DEP_3)
	v_mul_f32_e32 v86, v54, v6
	v_mul_f32_e32 v87, v51, v14
	s_and_saveexec_b32 s8, vcc_lo
; %bb.682:                              ;   in Loop: Header=BB249_547 Depth=1
	v_cmp_lt_i32_e64 s1, v67, v30
	s_delay_alu instid0(VALU_DEP_1) | instskip(SKIP_1) | instid1(VALU_DEP_1)
	v_cndmask_b32_e64 v96, 0, v96, s1
	v_cmp_lt_i32_e64 s1, v69, v30
	v_cndmask_b32_e64 v97, 0, v97, s1
	v_cmp_lt_i32_e64 s1, v68, v30
	s_delay_alu instid0(VALU_DEP_1) | instskip(SKIP_1) | instid1(VALU_DEP_1)
	v_cndmask_b32_e64 v87, 0, v87, s1
	v_cmp_lt_i32_e64 s1, v21, v30
	v_cndmask_b32_e64 v86, 0, v86, s1
; %bb.683:                              ;   in Loop: Header=BB249_547 Depth=1
	s_or_b32 exec_lo, exec_lo, s8
	flat_load_b32 v98, v[12:13] offset:512
	v_mov_b32_e32 v14, 0
	v_mov_b32_e32 v15, 0
	s_mov_b32 s8, exec_lo
	s_waitcnt vmcnt(0) lgkmcnt(0)
	v_and_b32_e32 v6, 0xff, v98
	s_delay_alu instid0(VALU_DEP_2) | instskip(NEXT) | instid1(VALU_DEP_2)
	v_dual_mov_b32 v4, v14 :: v_dual_mov_b32 v5, v15
	v_cmpx_ne_u16_e32 0, v6
	s_cbranch_execz .LBB249_691
; %bb.684:                              ;   in Loop: Header=BB249_547 Depth=1
	v_bfrev_b32_e32 v4, 1
	v_mov_b32_e32 v5, 0
	s_mov_b32 s13, exec_lo
	v_cmpx_ne_u16_e32 0x80, v6
	s_cbranch_execz .LBB249_690
; %bb.685:                              ;   in Loop: Header=BB249_547 Depth=1
	v_mov_b32_e32 v4, 0x7f800001
	v_dual_mov_b32 v5, 0 :: v_dual_and_b32 v16, 0x7f, v98
	s_mov_b32 s15, exec_lo
	s_delay_alu instid0(VALU_DEP_1)
	v_cmpx_ne_u32_e32 0x7f, v16
	s_cbranch_execz .LBB249_689
; %bb.686:                              ;   in Loop: Header=BB249_547 Depth=1
	v_and_b32_e32 v6, 7, v98
	v_lshrrev_b32_e32 v4, 3, v16
	s_mov_b32 s16, exec_lo
	v_cmpx_gt_u32_e32 8, v16
; %bb.687:                              ;   in Loop: Header=BB249_547 Depth=1
	s_delay_alu instid0(VALU_DEP_3) | instskip(NEXT) | instid1(VALU_DEP_1)
	v_clz_i32_u32_e32 v4, v6
	v_min_u32_e32 v4, 32, v4
	s_delay_alu instid0(VALU_DEP_1) | instskip(SKIP_1) | instid1(VALU_DEP_2)
	v_subrev_nc_u32_e32 v5, 28, v4
	v_sub_nc_u32_e32 v4, 29, v4
	v_lshlrev_b64 v[5:6], v5, v[6:7]
	s_delay_alu instid0(VALU_DEP_1)
	v_and_b32_e32 v6, 7, v5
; %bb.688:                              ;   in Loop: Header=BB249_547 Depth=1
	s_or_b32 exec_lo, exec_lo, s16
	v_lshlrev_b32_e32 v5, 24, v98
	s_delay_alu instid0(VALU_DEP_2) | instskip(SKIP_1) | instid1(VALU_DEP_3)
	v_lshlrev_b32_e32 v6, 20, v6
	v_lshl_add_u32 v4, v4, 23, 0x3c000000
	v_and_b32_e32 v5, 0x80000000, v5
	s_delay_alu instid0(VALU_DEP_1) | instskip(NEXT) | instid1(VALU_DEP_1)
	v_or3_b32 v6, v6, v5, v4
	v_dual_mov_b32 v4, v6 :: v_dual_mov_b32 v5, v7
.LBB249_689:                            ;   in Loop: Header=BB249_547 Depth=1
	s_or_b32 exec_lo, exec_lo, s15
.LBB249_690:                            ;   in Loop: Header=BB249_547 Depth=1
	s_delay_alu instid0(SALU_CYCLE_1)
	s_or_b32 exec_lo, exec_lo, s13
.LBB249_691:                            ;   in Loop: Header=BB249_547 Depth=1
	s_delay_alu instid0(SALU_CYCLE_1) | instskip(SKIP_2) | instid1(VALU_DEP_1)
	s_or_b32 exec_lo, exec_lo, s8
	v_lshrrev_b16 v6, 8, v98
	s_mov_b32 s13, exec_lo
	v_cmpx_ne_u16_e32 0, v6
	s_cbranch_execz .LBB249_699
; %bb.692:                              ;   in Loop: Header=BB249_547 Depth=1
	v_dual_mov_b32 v15, s5 :: v_dual_mov_b32 v14, s4
	s_mov_b32 s15, exec_lo
	v_cmpx_ne_u16_e32 0x80, v6
	s_cbranch_execz .LBB249_698
; %bb.693:                              ;   in Loop: Header=BB249_547 Depth=1
	s_mov_b32 s8, s4
	v_dual_mov_b32 v15, s9 :: v_dual_and_b32 v6, 0xffff, v6
	v_mov_b32_e32 v14, s8
	s_mov_b32 s8, exec_lo
	s_delay_alu instid0(VALU_DEP_2) | instskip(NEXT) | instid1(VALU_DEP_1)
	v_and_b32_e32 v16, 0x7f, v6
	v_cmpx_ne_u32_e32 0x7f, v16
	s_cbranch_execz .LBB249_697
; %bb.694:                              ;   in Loop: Header=BB249_547 Depth=1
	v_and_b32_e32 v6, 7, v6
	v_lshrrev_b32_e32 v14, 3, v16
	s_mov_b32 s16, exec_lo
	v_cmpx_gt_u32_e32 8, v16
; %bb.695:                              ;   in Loop: Header=BB249_547 Depth=1
	s_delay_alu instid0(VALU_DEP_3) | instskip(NEXT) | instid1(VALU_DEP_1)
	v_clz_i32_u32_e32 v14, v6
	v_min_u32_e32 v14, 32, v14
	s_delay_alu instid0(VALU_DEP_1) | instskip(SKIP_1) | instid1(VALU_DEP_2)
	v_subrev_nc_u32_e32 v15, 28, v14
	v_sub_nc_u32_e32 v14, 29, v14
	v_lshlrev_b64 v[15:16], v15, v[6:7]
	s_delay_alu instid0(VALU_DEP_1)
	v_and_b32_e32 v6, 7, v15
; %bb.696:                              ;   in Loop: Header=BB249_547 Depth=1
	s_or_b32 exec_lo, exec_lo, s16
	v_lshlrev_b32_e32 v15, 16, v98
	s_delay_alu instid0(VALU_DEP_2) | instskip(SKIP_1) | instid1(VALU_DEP_3)
	v_lshlrev_b32_e32 v6, 20, v6
	v_lshl_add_u32 v14, v14, 23, 0x3c000000
	v_and_b32_e32 v15, 0x80000000, v15
	s_delay_alu instid0(VALU_DEP_1)
	v_or3_b32 v15, v6, v15, v14
	v_mov_b32_e32 v14, v7
.LBB249_697:                            ;   in Loop: Header=BB249_547 Depth=1
	s_or_b32 exec_lo, exec_lo, s8
.LBB249_698:                            ;   in Loop: Header=BB249_547 Depth=1
	s_delay_alu instid0(SALU_CYCLE_1)
	s_or_b32 exec_lo, exec_lo, s15
.LBB249_699:                            ;   in Loop: Header=BB249_547 Depth=1
	s_delay_alu instid0(SALU_CYCLE_1) | instskip(SKIP_4) | instid1(VALU_DEP_2)
	s_or_b32 exec_lo, exec_lo, s13
	v_mov_b32_e32 v18, 0
	v_lshrrev_b32_e32 v99, 16, v98
	v_mov_b32_e32 v19, 0
	s_mov_b32 s8, exec_lo
	v_and_b32_e32 v6, 0xff, v99
	s_delay_alu instid0(VALU_DEP_2) | instskip(NEXT) | instid1(VALU_DEP_2)
	v_dual_mov_b32 v16, v18 :: v_dual_mov_b32 v17, v19
	v_cmpx_ne_u16_e32 0, v6
	s_cbranch_execz .LBB249_707
; %bb.700:                              ;   in Loop: Header=BB249_547 Depth=1
	v_bfrev_b32_e32 v16, 1
	v_mov_b32_e32 v17, 0
	s_mov_b32 s13, exec_lo
	v_cmpx_ne_u16_e32 0x80, v6
	s_cbranch_execz .LBB249_706
; %bb.701:                              ;   in Loop: Header=BB249_547 Depth=1
	v_mov_b32_e32 v16, 0x7f800001
	v_bfe_u32 v100, v98, 16, 7
	v_mov_b32_e32 v17, 0
	s_mov_b32 s15, exec_lo
	s_delay_alu instid0(VALU_DEP_2)
	v_cmpx_ne_u32_e32 0x7f, v100
	s_cbranch_execz .LBB249_705
; %bb.702:                              ;   in Loop: Header=BB249_547 Depth=1
	v_and_b32_e32 v6, 7, v99
	v_lshrrev_b32_e32 v16, 3, v100
	s_mov_b32 s16, exec_lo
	v_cmpx_gt_u32_e32 8, v100
; %bb.703:                              ;   in Loop: Header=BB249_547 Depth=1
	s_delay_alu instid0(VALU_DEP_3) | instskip(NEXT) | instid1(VALU_DEP_1)
	v_clz_i32_u32_e32 v16, v6
	v_min_u32_e32 v16, 32, v16
	s_delay_alu instid0(VALU_DEP_1) | instskip(SKIP_1) | instid1(VALU_DEP_2)
	v_subrev_nc_u32_e32 v17, 28, v16
	v_sub_nc_u32_e32 v16, 29, v16
	v_lshlrev_b64 v[100:101], v17, v[6:7]
	s_delay_alu instid0(VALU_DEP_1)
	v_and_b32_e32 v6, 7, v100
; %bb.704:                              ;   in Loop: Header=BB249_547 Depth=1
	s_or_b32 exec_lo, exec_lo, s16
	v_lshlrev_b32_e32 v17, 24, v99
	s_delay_alu instid0(VALU_DEP_2) | instskip(SKIP_1) | instid1(VALU_DEP_3)
	v_lshlrev_b32_e32 v6, 20, v6
	v_lshl_add_u32 v16, v16, 23, 0x3c000000
	v_and_b32_e32 v17, 0x80000000, v17
	s_delay_alu instid0(VALU_DEP_1) | instskip(NEXT) | instid1(VALU_DEP_1)
	v_or3_b32 v6, v6, v17, v16
	v_dual_mov_b32 v17, v7 :: v_dual_mov_b32 v16, v6
.LBB249_705:                            ;   in Loop: Header=BB249_547 Depth=1
	s_or_b32 exec_lo, exec_lo, s15
.LBB249_706:                            ;   in Loop: Header=BB249_547 Depth=1
	s_delay_alu instid0(SALU_CYCLE_1)
	s_or_b32 exec_lo, exec_lo, s13
.LBB249_707:                            ;   in Loop: Header=BB249_547 Depth=1
	s_delay_alu instid0(SALU_CYCLE_1) | instskip(NEXT) | instid1(SALU_CYCLE_1)
	s_or_b32 exec_lo, exec_lo, s8
	s_mov_b32 s13, exec_lo
	v_cmpx_lt_u32_e32 0xffffff, v98
	s_cbranch_execz .LBB249_715
; %bb.708:                              ;   in Loop: Header=BB249_547 Depth=1
	v_lshrrev_b32_e32 v99, 24, v98
	v_dual_mov_b32 v19, s5 :: v_dual_mov_b32 v18, s4
	s_mov_b32 s15, exec_lo
	s_delay_alu instid0(VALU_DEP_2)
	v_cmpx_ne_u32_e32 0x80, v99
	s_cbranch_execz .LBB249_714
; %bb.709:                              ;   in Loop: Header=BB249_547 Depth=1
	s_mov_b32 s8, s4
	v_bfe_u32 v98, v98, 24, 7
	v_dual_mov_b32 v19, s9 :: v_dual_mov_b32 v18, s8
	s_mov_b32 s8, exec_lo
	s_delay_alu instid0(VALU_DEP_2)
	v_cmpx_ne_u32_e32 0x7f, v98
	s_cbranch_execz .LBB249_713
; %bb.710:                              ;   in Loop: Header=BB249_547 Depth=1
	v_and_b32_e32 v6, 7, v99
	v_lshrrev_b32_e32 v18, 3, v98
	s_mov_b32 s16, exec_lo
	v_cmpx_gt_u32_e32 8, v98
; %bb.711:                              ;   in Loop: Header=BB249_547 Depth=1
	s_delay_alu instid0(VALU_DEP_3) | instskip(NEXT) | instid1(VALU_DEP_1)
	v_clz_i32_u32_e32 v18, v6
	v_min_u32_e32 v18, 32, v18
	s_delay_alu instid0(VALU_DEP_1) | instskip(SKIP_1) | instid1(VALU_DEP_2)
	v_subrev_nc_u32_e32 v19, 28, v18
	v_sub_nc_u32_e32 v18, 29, v18
	v_lshlrev_b64 v[100:101], v19, v[6:7]
	s_delay_alu instid0(VALU_DEP_1)
	v_and_b32_e32 v6, 7, v100
; %bb.712:                              ;   in Loop: Header=BB249_547 Depth=1
	s_or_b32 exec_lo, exec_lo, s16
	v_lshlrev_b32_e32 v19, 24, v99
	s_delay_alu instid0(VALU_DEP_2) | instskip(SKIP_1) | instid1(VALU_DEP_3)
	v_lshlrev_b32_e32 v6, 20, v6
	v_lshl_add_u32 v18, v18, 23, 0x3c000000
	v_and_b32_e32 v19, 0x80000000, v19
	s_delay_alu instid0(VALU_DEP_1)
	v_or3_b32 v19, v6, v19, v18
	v_mov_b32_e32 v18, v7
.LBB249_713:                            ;   in Loop: Header=BB249_547 Depth=1
	s_or_b32 exec_lo, exec_lo, s8
.LBB249_714:                            ;   in Loop: Header=BB249_547 Depth=1
	s_delay_alu instid0(SALU_CYCLE_1)
	s_or_b32 exec_lo, exec_lo, s15
.LBB249_715:                            ;   in Loop: Header=BB249_547 Depth=1
	s_delay_alu instid0(SALU_CYCLE_1) | instskip(SKIP_4) | instid1(VALU_DEP_3)
	s_or_b32 exec_lo, exec_lo, s13
	v_or_b32_e32 v5, v15, v5
	v_or_b32_e32 v4, v14, v4
	;; [unrolled: 1-line block ×4, first 2 shown]
	v_dual_mul_f32 v101, v54, v5 :: v_dual_mul_f32 v100, v51, v4
	s_delay_alu instid0(VALU_DEP_3) | instskip(NEXT) | instid1(VALU_DEP_3)
	v_mul_f32_e32 v98, v54, v6
	v_mul_f32_e32 v99, v51, v14
	s_and_saveexec_b32 s8, vcc_lo
; %bb.716:                              ;   in Loop: Header=BB249_547 Depth=1
	v_cmp_lt_i32_e64 s1, v67, v30
	s_delay_alu instid0(VALU_DEP_1) | instskip(SKIP_1) | instid1(VALU_DEP_1)
	v_cndmask_b32_e64 v100, 0, v100, s1
	v_cmp_lt_i32_e64 s1, v69, v30
	v_cndmask_b32_e64 v101, 0, v101, s1
	v_cmp_lt_i32_e64 s1, v68, v30
	s_delay_alu instid0(VALU_DEP_1) | instskip(SKIP_1) | instid1(VALU_DEP_1)
	v_cndmask_b32_e64 v99, 0, v99, s1
	v_cmp_lt_i32_e64 s1, v21, v30
	v_cndmask_b32_e64 v98, 0, v98, s1
; %bb.717:                              ;   in Loop: Header=BB249_547 Depth=1
	s_or_b32 exec_lo, exec_lo, s8
	flat_load_b32 v102, v[12:13] offset:640
	v_mov_b32_e32 v14, 0
	v_mov_b32_e32 v15, 0
	s_mov_b32 s8, exec_lo
	s_waitcnt vmcnt(0) lgkmcnt(0)
	v_and_b32_e32 v6, 0xff, v102
	s_delay_alu instid0(VALU_DEP_2) | instskip(NEXT) | instid1(VALU_DEP_2)
	v_dual_mov_b32 v4, v14 :: v_dual_mov_b32 v5, v15
	v_cmpx_ne_u16_e32 0, v6
	s_cbranch_execz .LBB249_725
; %bb.718:                              ;   in Loop: Header=BB249_547 Depth=1
	v_bfrev_b32_e32 v4, 1
	v_mov_b32_e32 v5, 0
	s_mov_b32 s13, exec_lo
	v_cmpx_ne_u16_e32 0x80, v6
	s_cbranch_execz .LBB249_724
; %bb.719:                              ;   in Loop: Header=BB249_547 Depth=1
	v_mov_b32_e32 v4, 0x7f800001
	v_dual_mov_b32 v5, 0 :: v_dual_and_b32 v16, 0x7f, v102
	s_mov_b32 s15, exec_lo
	s_delay_alu instid0(VALU_DEP_1)
	v_cmpx_ne_u32_e32 0x7f, v16
	s_cbranch_execz .LBB249_723
; %bb.720:                              ;   in Loop: Header=BB249_547 Depth=1
	v_and_b32_e32 v6, 7, v102
	v_lshrrev_b32_e32 v4, 3, v16
	s_mov_b32 s16, exec_lo
	v_cmpx_gt_u32_e32 8, v16
; %bb.721:                              ;   in Loop: Header=BB249_547 Depth=1
	s_delay_alu instid0(VALU_DEP_3) | instskip(NEXT) | instid1(VALU_DEP_1)
	v_clz_i32_u32_e32 v4, v6
	v_min_u32_e32 v4, 32, v4
	s_delay_alu instid0(VALU_DEP_1) | instskip(SKIP_1) | instid1(VALU_DEP_2)
	v_subrev_nc_u32_e32 v5, 28, v4
	v_sub_nc_u32_e32 v4, 29, v4
	v_lshlrev_b64 v[5:6], v5, v[6:7]
	s_delay_alu instid0(VALU_DEP_1)
	v_and_b32_e32 v6, 7, v5
; %bb.722:                              ;   in Loop: Header=BB249_547 Depth=1
	s_or_b32 exec_lo, exec_lo, s16
	v_lshlrev_b32_e32 v5, 24, v102
	s_delay_alu instid0(VALU_DEP_2) | instskip(SKIP_1) | instid1(VALU_DEP_3)
	v_lshlrev_b32_e32 v6, 20, v6
	v_lshl_add_u32 v4, v4, 23, 0x3c000000
	v_and_b32_e32 v5, 0x80000000, v5
	s_delay_alu instid0(VALU_DEP_1) | instskip(NEXT) | instid1(VALU_DEP_1)
	v_or3_b32 v6, v6, v5, v4
	v_dual_mov_b32 v4, v6 :: v_dual_mov_b32 v5, v7
.LBB249_723:                            ;   in Loop: Header=BB249_547 Depth=1
	s_or_b32 exec_lo, exec_lo, s15
.LBB249_724:                            ;   in Loop: Header=BB249_547 Depth=1
	s_delay_alu instid0(SALU_CYCLE_1)
	s_or_b32 exec_lo, exec_lo, s13
.LBB249_725:                            ;   in Loop: Header=BB249_547 Depth=1
	s_delay_alu instid0(SALU_CYCLE_1) | instskip(SKIP_2) | instid1(VALU_DEP_1)
	s_or_b32 exec_lo, exec_lo, s8
	v_lshrrev_b16 v6, 8, v102
	s_mov_b32 s13, exec_lo
	v_cmpx_ne_u16_e32 0, v6
	s_cbranch_execz .LBB249_733
; %bb.726:                              ;   in Loop: Header=BB249_547 Depth=1
	v_dual_mov_b32 v15, s5 :: v_dual_mov_b32 v14, s4
	s_mov_b32 s15, exec_lo
	v_cmpx_ne_u16_e32 0x80, v6
	s_cbranch_execz .LBB249_732
; %bb.727:                              ;   in Loop: Header=BB249_547 Depth=1
	s_mov_b32 s8, s4
	v_dual_mov_b32 v15, s9 :: v_dual_and_b32 v6, 0xffff, v6
	v_mov_b32_e32 v14, s8
	s_mov_b32 s8, exec_lo
	s_delay_alu instid0(VALU_DEP_2) | instskip(NEXT) | instid1(VALU_DEP_1)
	v_and_b32_e32 v16, 0x7f, v6
	v_cmpx_ne_u32_e32 0x7f, v16
	s_cbranch_execz .LBB249_731
; %bb.728:                              ;   in Loop: Header=BB249_547 Depth=1
	v_and_b32_e32 v6, 7, v6
	v_lshrrev_b32_e32 v14, 3, v16
	s_mov_b32 s16, exec_lo
	v_cmpx_gt_u32_e32 8, v16
; %bb.729:                              ;   in Loop: Header=BB249_547 Depth=1
	s_delay_alu instid0(VALU_DEP_3) | instskip(NEXT) | instid1(VALU_DEP_1)
	v_clz_i32_u32_e32 v14, v6
	v_min_u32_e32 v14, 32, v14
	s_delay_alu instid0(VALU_DEP_1) | instskip(SKIP_1) | instid1(VALU_DEP_2)
	v_subrev_nc_u32_e32 v15, 28, v14
	v_sub_nc_u32_e32 v14, 29, v14
	v_lshlrev_b64 v[15:16], v15, v[6:7]
	s_delay_alu instid0(VALU_DEP_1)
	v_and_b32_e32 v6, 7, v15
; %bb.730:                              ;   in Loop: Header=BB249_547 Depth=1
	s_or_b32 exec_lo, exec_lo, s16
	v_lshlrev_b32_e32 v15, 16, v102
	s_delay_alu instid0(VALU_DEP_2) | instskip(SKIP_1) | instid1(VALU_DEP_3)
	v_lshlrev_b32_e32 v6, 20, v6
	v_lshl_add_u32 v14, v14, 23, 0x3c000000
	v_and_b32_e32 v15, 0x80000000, v15
	s_delay_alu instid0(VALU_DEP_1)
	v_or3_b32 v15, v6, v15, v14
	v_mov_b32_e32 v14, v7
.LBB249_731:                            ;   in Loop: Header=BB249_547 Depth=1
	s_or_b32 exec_lo, exec_lo, s8
.LBB249_732:                            ;   in Loop: Header=BB249_547 Depth=1
	s_delay_alu instid0(SALU_CYCLE_1)
	s_or_b32 exec_lo, exec_lo, s15
.LBB249_733:                            ;   in Loop: Header=BB249_547 Depth=1
	s_delay_alu instid0(SALU_CYCLE_1) | instskip(SKIP_4) | instid1(VALU_DEP_2)
	s_or_b32 exec_lo, exec_lo, s13
	v_mov_b32_e32 v18, 0
	v_lshrrev_b32_e32 v103, 16, v102
	v_mov_b32_e32 v19, 0
	s_mov_b32 s8, exec_lo
	v_and_b32_e32 v6, 0xff, v103
	s_delay_alu instid0(VALU_DEP_2) | instskip(NEXT) | instid1(VALU_DEP_2)
	v_dual_mov_b32 v16, v18 :: v_dual_mov_b32 v17, v19
	v_cmpx_ne_u16_e32 0, v6
	s_cbranch_execz .LBB249_741
; %bb.734:                              ;   in Loop: Header=BB249_547 Depth=1
	v_bfrev_b32_e32 v16, 1
	v_mov_b32_e32 v17, 0
	s_mov_b32 s13, exec_lo
	v_cmpx_ne_u16_e32 0x80, v6
	s_cbranch_execz .LBB249_740
; %bb.735:                              ;   in Loop: Header=BB249_547 Depth=1
	v_mov_b32_e32 v16, 0x7f800001
	v_bfe_u32 v112, v102, 16, 7
	v_mov_b32_e32 v17, 0
	s_mov_b32 s15, exec_lo
	s_delay_alu instid0(VALU_DEP_2)
	v_cmpx_ne_u32_e32 0x7f, v112
	s_cbranch_execz .LBB249_739
; %bb.736:                              ;   in Loop: Header=BB249_547 Depth=1
	v_and_b32_e32 v6, 7, v103
	v_lshrrev_b32_e32 v16, 3, v112
	s_mov_b32 s16, exec_lo
	v_cmpx_gt_u32_e32 8, v112
; %bb.737:                              ;   in Loop: Header=BB249_547 Depth=1
	s_delay_alu instid0(VALU_DEP_3) | instskip(NEXT) | instid1(VALU_DEP_1)
	v_clz_i32_u32_e32 v16, v6
	v_min_u32_e32 v16, 32, v16
	s_delay_alu instid0(VALU_DEP_1) | instskip(SKIP_1) | instid1(VALU_DEP_2)
	v_subrev_nc_u32_e32 v17, 28, v16
	v_sub_nc_u32_e32 v16, 29, v16
	v_lshlrev_b64 v[112:113], v17, v[6:7]
	s_delay_alu instid0(VALU_DEP_1)
	v_and_b32_e32 v6, 7, v112
; %bb.738:                              ;   in Loop: Header=BB249_547 Depth=1
	s_or_b32 exec_lo, exec_lo, s16
	v_lshlrev_b32_e32 v17, 24, v103
	s_delay_alu instid0(VALU_DEP_2) | instskip(SKIP_1) | instid1(VALU_DEP_3)
	v_lshlrev_b32_e32 v6, 20, v6
	v_lshl_add_u32 v16, v16, 23, 0x3c000000
	v_and_b32_e32 v17, 0x80000000, v17
	s_delay_alu instid0(VALU_DEP_1) | instskip(NEXT) | instid1(VALU_DEP_1)
	v_or3_b32 v6, v6, v17, v16
	v_dual_mov_b32 v17, v7 :: v_dual_mov_b32 v16, v6
.LBB249_739:                            ;   in Loop: Header=BB249_547 Depth=1
	s_or_b32 exec_lo, exec_lo, s15
.LBB249_740:                            ;   in Loop: Header=BB249_547 Depth=1
	s_delay_alu instid0(SALU_CYCLE_1)
	s_or_b32 exec_lo, exec_lo, s13
.LBB249_741:                            ;   in Loop: Header=BB249_547 Depth=1
	s_delay_alu instid0(SALU_CYCLE_1) | instskip(NEXT) | instid1(SALU_CYCLE_1)
	s_or_b32 exec_lo, exec_lo, s8
	s_mov_b32 s13, exec_lo
	v_cmpx_lt_u32_e32 0xffffff, v102
	s_cbranch_execz .LBB249_749
; %bb.742:                              ;   in Loop: Header=BB249_547 Depth=1
	v_lshrrev_b32_e32 v103, 24, v102
	v_dual_mov_b32 v19, s5 :: v_dual_mov_b32 v18, s4
	s_mov_b32 s15, exec_lo
	s_delay_alu instid0(VALU_DEP_2)
	v_cmpx_ne_u32_e32 0x80, v103
	s_cbranch_execz .LBB249_748
; %bb.743:                              ;   in Loop: Header=BB249_547 Depth=1
	s_mov_b32 s8, s4
	v_bfe_u32 v102, v102, 24, 7
	v_dual_mov_b32 v19, s9 :: v_dual_mov_b32 v18, s8
	s_mov_b32 s8, exec_lo
	s_delay_alu instid0(VALU_DEP_2)
	v_cmpx_ne_u32_e32 0x7f, v102
	s_cbranch_execz .LBB249_747
; %bb.744:                              ;   in Loop: Header=BB249_547 Depth=1
	v_and_b32_e32 v6, 7, v103
	v_lshrrev_b32_e32 v18, 3, v102
	s_mov_b32 s16, exec_lo
	v_cmpx_gt_u32_e32 8, v102
; %bb.745:                              ;   in Loop: Header=BB249_547 Depth=1
	s_delay_alu instid0(VALU_DEP_3) | instskip(NEXT) | instid1(VALU_DEP_1)
	v_clz_i32_u32_e32 v18, v6
	v_min_u32_e32 v18, 32, v18
	s_delay_alu instid0(VALU_DEP_1) | instskip(SKIP_1) | instid1(VALU_DEP_2)
	v_subrev_nc_u32_e32 v19, 28, v18
	v_sub_nc_u32_e32 v18, 29, v18
	v_lshlrev_b64 v[112:113], v19, v[6:7]
	s_delay_alu instid0(VALU_DEP_1)
	v_and_b32_e32 v6, 7, v112
; %bb.746:                              ;   in Loop: Header=BB249_547 Depth=1
	s_or_b32 exec_lo, exec_lo, s16
	v_lshlrev_b32_e32 v19, 24, v103
	s_delay_alu instid0(VALU_DEP_2) | instskip(SKIP_1) | instid1(VALU_DEP_3)
	v_lshlrev_b32_e32 v6, 20, v6
	v_lshl_add_u32 v18, v18, 23, 0x3c000000
	v_and_b32_e32 v19, 0x80000000, v19
	s_delay_alu instid0(VALU_DEP_1)
	v_or3_b32 v19, v6, v19, v18
	v_mov_b32_e32 v18, v7
.LBB249_747:                            ;   in Loop: Header=BB249_547 Depth=1
	s_or_b32 exec_lo, exec_lo, s8
.LBB249_748:                            ;   in Loop: Header=BB249_547 Depth=1
	s_delay_alu instid0(SALU_CYCLE_1)
	s_or_b32 exec_lo, exec_lo, s15
.LBB249_749:                            ;   in Loop: Header=BB249_547 Depth=1
	s_delay_alu instid0(SALU_CYCLE_1) | instskip(SKIP_4) | instid1(VALU_DEP_3)
	s_or_b32 exec_lo, exec_lo, s13
	v_or_b32_e32 v5, v15, v5
	v_or_b32_e32 v4, v14, v4
	;; [unrolled: 1-line block ×4, first 2 shown]
	v_dual_mul_f32 v113, v54, v5 :: v_dual_mul_f32 v112, v51, v4
	s_delay_alu instid0(VALU_DEP_3) | instskip(NEXT) | instid1(VALU_DEP_3)
	v_mul_f32_e32 v102, v54, v6
	v_mul_f32_e32 v103, v51, v14
	s_and_saveexec_b32 s8, vcc_lo
; %bb.750:                              ;   in Loop: Header=BB249_547 Depth=1
	v_cmp_lt_i32_e64 s1, v67, v30
	s_delay_alu instid0(VALU_DEP_1) | instskip(SKIP_1) | instid1(VALU_DEP_1)
	v_cndmask_b32_e64 v112, 0, v112, s1
	v_cmp_lt_i32_e64 s1, v69, v30
	v_cndmask_b32_e64 v113, 0, v113, s1
	v_cmp_lt_i32_e64 s1, v68, v30
	s_delay_alu instid0(VALU_DEP_1) | instskip(SKIP_1) | instid1(VALU_DEP_1)
	v_cndmask_b32_e64 v103, 0, v103, s1
	v_cmp_lt_i32_e64 s1, v21, v30
	v_cndmask_b32_e64 v102, 0, v102, s1
; %bb.751:                              ;   in Loop: Header=BB249_547 Depth=1
	s_or_b32 exec_lo, exec_lo, s8
	flat_load_b32 v114, v[12:13] offset:768
	v_mov_b32_e32 v14, 0
	v_mov_b32_e32 v15, 0
	s_mov_b32 s8, exec_lo
	s_waitcnt vmcnt(0) lgkmcnt(0)
	v_and_b32_e32 v6, 0xff, v114
	s_delay_alu instid0(VALU_DEP_2) | instskip(NEXT) | instid1(VALU_DEP_2)
	v_dual_mov_b32 v4, v14 :: v_dual_mov_b32 v5, v15
	v_cmpx_ne_u16_e32 0, v6
	s_cbranch_execz .LBB249_759
; %bb.752:                              ;   in Loop: Header=BB249_547 Depth=1
	v_bfrev_b32_e32 v4, 1
	v_mov_b32_e32 v5, 0
	s_mov_b32 s13, exec_lo
	v_cmpx_ne_u16_e32 0x80, v6
	s_cbranch_execz .LBB249_758
; %bb.753:                              ;   in Loop: Header=BB249_547 Depth=1
	v_mov_b32_e32 v4, 0x7f800001
	v_dual_mov_b32 v5, 0 :: v_dual_and_b32 v16, 0x7f, v114
	s_mov_b32 s15, exec_lo
	s_delay_alu instid0(VALU_DEP_1)
	v_cmpx_ne_u32_e32 0x7f, v16
	s_cbranch_execz .LBB249_757
; %bb.754:                              ;   in Loop: Header=BB249_547 Depth=1
	v_and_b32_e32 v6, 7, v114
	v_lshrrev_b32_e32 v4, 3, v16
	s_mov_b32 s16, exec_lo
	v_cmpx_gt_u32_e32 8, v16
; %bb.755:                              ;   in Loop: Header=BB249_547 Depth=1
	s_delay_alu instid0(VALU_DEP_3) | instskip(NEXT) | instid1(VALU_DEP_1)
	v_clz_i32_u32_e32 v4, v6
	v_min_u32_e32 v4, 32, v4
	s_delay_alu instid0(VALU_DEP_1) | instskip(SKIP_1) | instid1(VALU_DEP_2)
	v_subrev_nc_u32_e32 v5, 28, v4
	v_sub_nc_u32_e32 v4, 29, v4
	v_lshlrev_b64 v[5:6], v5, v[6:7]
	s_delay_alu instid0(VALU_DEP_1)
	v_and_b32_e32 v6, 7, v5
; %bb.756:                              ;   in Loop: Header=BB249_547 Depth=1
	s_or_b32 exec_lo, exec_lo, s16
	v_lshlrev_b32_e32 v5, 24, v114
	s_delay_alu instid0(VALU_DEP_2) | instskip(SKIP_1) | instid1(VALU_DEP_3)
	v_lshlrev_b32_e32 v6, 20, v6
	v_lshl_add_u32 v4, v4, 23, 0x3c000000
	v_and_b32_e32 v5, 0x80000000, v5
	s_delay_alu instid0(VALU_DEP_1) | instskip(NEXT) | instid1(VALU_DEP_1)
	v_or3_b32 v6, v6, v5, v4
	v_dual_mov_b32 v4, v6 :: v_dual_mov_b32 v5, v7
.LBB249_757:                            ;   in Loop: Header=BB249_547 Depth=1
	s_or_b32 exec_lo, exec_lo, s15
.LBB249_758:                            ;   in Loop: Header=BB249_547 Depth=1
	s_delay_alu instid0(SALU_CYCLE_1)
	s_or_b32 exec_lo, exec_lo, s13
.LBB249_759:                            ;   in Loop: Header=BB249_547 Depth=1
	s_delay_alu instid0(SALU_CYCLE_1) | instskip(SKIP_2) | instid1(VALU_DEP_1)
	s_or_b32 exec_lo, exec_lo, s8
	v_lshrrev_b16 v6, 8, v114
	s_mov_b32 s13, exec_lo
	v_cmpx_ne_u16_e32 0, v6
	s_cbranch_execz .LBB249_767
; %bb.760:                              ;   in Loop: Header=BB249_547 Depth=1
	v_dual_mov_b32 v15, s5 :: v_dual_mov_b32 v14, s4
	s_mov_b32 s15, exec_lo
	v_cmpx_ne_u16_e32 0x80, v6
	s_cbranch_execz .LBB249_766
; %bb.761:                              ;   in Loop: Header=BB249_547 Depth=1
	s_mov_b32 s8, s4
	v_dual_mov_b32 v15, s9 :: v_dual_and_b32 v6, 0xffff, v6
	v_mov_b32_e32 v14, s8
	s_mov_b32 s8, exec_lo
	s_delay_alu instid0(VALU_DEP_2) | instskip(NEXT) | instid1(VALU_DEP_1)
	v_and_b32_e32 v16, 0x7f, v6
	v_cmpx_ne_u32_e32 0x7f, v16
	s_cbranch_execz .LBB249_765
; %bb.762:                              ;   in Loop: Header=BB249_547 Depth=1
	v_and_b32_e32 v6, 7, v6
	v_lshrrev_b32_e32 v14, 3, v16
	s_mov_b32 s16, exec_lo
	v_cmpx_gt_u32_e32 8, v16
; %bb.763:                              ;   in Loop: Header=BB249_547 Depth=1
	s_delay_alu instid0(VALU_DEP_3) | instskip(NEXT) | instid1(VALU_DEP_1)
	v_clz_i32_u32_e32 v14, v6
	v_min_u32_e32 v14, 32, v14
	s_delay_alu instid0(VALU_DEP_1) | instskip(SKIP_1) | instid1(VALU_DEP_2)
	v_subrev_nc_u32_e32 v15, 28, v14
	v_sub_nc_u32_e32 v14, 29, v14
	v_lshlrev_b64 v[15:16], v15, v[6:7]
	s_delay_alu instid0(VALU_DEP_1)
	v_and_b32_e32 v6, 7, v15
; %bb.764:                              ;   in Loop: Header=BB249_547 Depth=1
	s_or_b32 exec_lo, exec_lo, s16
	v_lshlrev_b32_e32 v15, 16, v114
	s_delay_alu instid0(VALU_DEP_2) | instskip(SKIP_1) | instid1(VALU_DEP_3)
	v_lshlrev_b32_e32 v6, 20, v6
	v_lshl_add_u32 v14, v14, 23, 0x3c000000
	v_and_b32_e32 v15, 0x80000000, v15
	s_delay_alu instid0(VALU_DEP_1)
	v_or3_b32 v15, v6, v15, v14
	v_mov_b32_e32 v14, v7
.LBB249_765:                            ;   in Loop: Header=BB249_547 Depth=1
	s_or_b32 exec_lo, exec_lo, s8
.LBB249_766:                            ;   in Loop: Header=BB249_547 Depth=1
	s_delay_alu instid0(SALU_CYCLE_1)
	s_or_b32 exec_lo, exec_lo, s15
.LBB249_767:                            ;   in Loop: Header=BB249_547 Depth=1
	s_delay_alu instid0(SALU_CYCLE_1) | instskip(SKIP_4) | instid1(VALU_DEP_2)
	s_or_b32 exec_lo, exec_lo, s13
	v_mov_b32_e32 v18, 0
	v_lshrrev_b32_e32 v115, 16, v114
	v_mov_b32_e32 v19, 0
	s_mov_b32 s8, exec_lo
	v_and_b32_e32 v6, 0xff, v115
	s_delay_alu instid0(VALU_DEP_2) | instskip(NEXT) | instid1(VALU_DEP_2)
	v_dual_mov_b32 v16, v18 :: v_dual_mov_b32 v17, v19
	v_cmpx_ne_u16_e32 0, v6
	s_cbranch_execz .LBB249_775
; %bb.768:                              ;   in Loop: Header=BB249_547 Depth=1
	v_bfrev_b32_e32 v16, 1
	v_mov_b32_e32 v17, 0
	s_mov_b32 s13, exec_lo
	v_cmpx_ne_u16_e32 0x80, v6
	s_cbranch_execz .LBB249_774
; %bb.769:                              ;   in Loop: Header=BB249_547 Depth=1
	v_mov_b32_e32 v16, 0x7f800001
	v_bfe_u32 v116, v114, 16, 7
	v_mov_b32_e32 v17, 0
	s_mov_b32 s15, exec_lo
	s_delay_alu instid0(VALU_DEP_2)
	v_cmpx_ne_u32_e32 0x7f, v116
	s_cbranch_execz .LBB249_773
; %bb.770:                              ;   in Loop: Header=BB249_547 Depth=1
	v_and_b32_e32 v6, 7, v115
	v_lshrrev_b32_e32 v16, 3, v116
	s_mov_b32 s16, exec_lo
	v_cmpx_gt_u32_e32 8, v116
; %bb.771:                              ;   in Loop: Header=BB249_547 Depth=1
	s_delay_alu instid0(VALU_DEP_3) | instskip(NEXT) | instid1(VALU_DEP_1)
	v_clz_i32_u32_e32 v16, v6
	v_min_u32_e32 v16, 32, v16
	s_delay_alu instid0(VALU_DEP_1) | instskip(SKIP_1) | instid1(VALU_DEP_2)
	v_subrev_nc_u32_e32 v17, 28, v16
	v_sub_nc_u32_e32 v16, 29, v16
	v_lshlrev_b64 v[116:117], v17, v[6:7]
	s_delay_alu instid0(VALU_DEP_1)
	v_and_b32_e32 v6, 7, v116
; %bb.772:                              ;   in Loop: Header=BB249_547 Depth=1
	s_or_b32 exec_lo, exec_lo, s16
	v_lshlrev_b32_e32 v17, 24, v115
	s_delay_alu instid0(VALU_DEP_2) | instskip(SKIP_1) | instid1(VALU_DEP_3)
	v_lshlrev_b32_e32 v6, 20, v6
	v_lshl_add_u32 v16, v16, 23, 0x3c000000
	v_and_b32_e32 v17, 0x80000000, v17
	s_delay_alu instid0(VALU_DEP_1) | instskip(NEXT) | instid1(VALU_DEP_1)
	v_or3_b32 v6, v6, v17, v16
	v_dual_mov_b32 v17, v7 :: v_dual_mov_b32 v16, v6
.LBB249_773:                            ;   in Loop: Header=BB249_547 Depth=1
	s_or_b32 exec_lo, exec_lo, s15
.LBB249_774:                            ;   in Loop: Header=BB249_547 Depth=1
	s_delay_alu instid0(SALU_CYCLE_1)
	s_or_b32 exec_lo, exec_lo, s13
.LBB249_775:                            ;   in Loop: Header=BB249_547 Depth=1
	s_delay_alu instid0(SALU_CYCLE_1) | instskip(NEXT) | instid1(SALU_CYCLE_1)
	s_or_b32 exec_lo, exec_lo, s8
	s_mov_b32 s13, exec_lo
	v_cmpx_lt_u32_e32 0xffffff, v114
	s_cbranch_execz .LBB249_783
; %bb.776:                              ;   in Loop: Header=BB249_547 Depth=1
	v_lshrrev_b32_e32 v115, 24, v114
	v_dual_mov_b32 v19, s5 :: v_dual_mov_b32 v18, s4
	s_mov_b32 s15, exec_lo
	s_delay_alu instid0(VALU_DEP_2)
	v_cmpx_ne_u32_e32 0x80, v115
	s_cbranch_execz .LBB249_782
; %bb.777:                              ;   in Loop: Header=BB249_547 Depth=1
	s_mov_b32 s8, s4
	v_bfe_u32 v114, v114, 24, 7
	v_dual_mov_b32 v19, s9 :: v_dual_mov_b32 v18, s8
	s_mov_b32 s8, exec_lo
	s_delay_alu instid0(VALU_DEP_2)
	v_cmpx_ne_u32_e32 0x7f, v114
	s_cbranch_execz .LBB249_781
; %bb.778:                              ;   in Loop: Header=BB249_547 Depth=1
	v_and_b32_e32 v6, 7, v115
	v_lshrrev_b32_e32 v18, 3, v114
	s_mov_b32 s16, exec_lo
	v_cmpx_gt_u32_e32 8, v114
; %bb.779:                              ;   in Loop: Header=BB249_547 Depth=1
	s_delay_alu instid0(VALU_DEP_3) | instskip(NEXT) | instid1(VALU_DEP_1)
	v_clz_i32_u32_e32 v18, v6
	v_min_u32_e32 v18, 32, v18
	s_delay_alu instid0(VALU_DEP_1) | instskip(SKIP_1) | instid1(VALU_DEP_2)
	v_subrev_nc_u32_e32 v19, 28, v18
	v_sub_nc_u32_e32 v18, 29, v18
	v_lshlrev_b64 v[116:117], v19, v[6:7]
	s_delay_alu instid0(VALU_DEP_1)
	v_and_b32_e32 v6, 7, v116
; %bb.780:                              ;   in Loop: Header=BB249_547 Depth=1
	s_or_b32 exec_lo, exec_lo, s16
	v_lshlrev_b32_e32 v19, 24, v115
	s_delay_alu instid0(VALU_DEP_2) | instskip(SKIP_1) | instid1(VALU_DEP_3)
	v_lshlrev_b32_e32 v6, 20, v6
	v_lshl_add_u32 v18, v18, 23, 0x3c000000
	v_and_b32_e32 v19, 0x80000000, v19
	s_delay_alu instid0(VALU_DEP_1)
	v_or3_b32 v19, v6, v19, v18
	v_mov_b32_e32 v18, v7
.LBB249_781:                            ;   in Loop: Header=BB249_547 Depth=1
	s_or_b32 exec_lo, exec_lo, s8
.LBB249_782:                            ;   in Loop: Header=BB249_547 Depth=1
	s_delay_alu instid0(SALU_CYCLE_1)
	s_or_b32 exec_lo, exec_lo, s15
.LBB249_783:                            ;   in Loop: Header=BB249_547 Depth=1
	s_delay_alu instid0(SALU_CYCLE_1) | instskip(SKIP_4) | instid1(VALU_DEP_3)
	s_or_b32 exec_lo, exec_lo, s13
	v_or_b32_e32 v5, v15, v5
	v_or_b32_e32 v4, v14, v4
	;; [unrolled: 1-line block ×4, first 2 shown]
	v_dual_mul_f32 v117, v54, v5 :: v_dual_mul_f32 v116, v51, v4
	s_delay_alu instid0(VALU_DEP_3) | instskip(NEXT) | instid1(VALU_DEP_3)
	v_mul_f32_e32 v114, v54, v6
	v_mul_f32_e32 v115, v51, v14
	s_and_saveexec_b32 s8, vcc_lo
; %bb.784:                              ;   in Loop: Header=BB249_547 Depth=1
	v_cmp_lt_i32_e64 s1, v67, v30
	s_delay_alu instid0(VALU_DEP_1) | instskip(SKIP_1) | instid1(VALU_DEP_1)
	v_cndmask_b32_e64 v116, 0, v116, s1
	v_cmp_lt_i32_e64 s1, v69, v30
	v_cndmask_b32_e64 v117, 0, v117, s1
	v_cmp_lt_i32_e64 s1, v68, v30
	s_delay_alu instid0(VALU_DEP_1) | instskip(SKIP_1) | instid1(VALU_DEP_1)
	v_cndmask_b32_e64 v115, 0, v115, s1
	v_cmp_lt_i32_e64 s1, v21, v30
	v_cndmask_b32_e64 v114, 0, v114, s1
; %bb.785:                              ;   in Loop: Header=BB249_547 Depth=1
	s_or_b32 exec_lo, exec_lo, s8
	flat_load_b32 v118, v[12:13] offset:896
	v_mov_b32_e32 v14, 0
	v_mov_b32_e32 v15, 0
	s_mov_b32 s8, exec_lo
	s_waitcnt vmcnt(0) lgkmcnt(0)
	v_and_b32_e32 v6, 0xff, v118
	s_delay_alu instid0(VALU_DEP_2) | instskip(NEXT) | instid1(VALU_DEP_2)
	v_dual_mov_b32 v4, v14 :: v_dual_mov_b32 v5, v15
	v_cmpx_ne_u16_e32 0, v6
	s_cbranch_execz .LBB249_793
; %bb.786:                              ;   in Loop: Header=BB249_547 Depth=1
	v_bfrev_b32_e32 v4, 1
	v_mov_b32_e32 v5, 0
	s_mov_b32 s13, exec_lo
	v_cmpx_ne_u16_e32 0x80, v6
	s_cbranch_execz .LBB249_792
; %bb.787:                              ;   in Loop: Header=BB249_547 Depth=1
	v_mov_b32_e32 v4, 0x7f800001
	v_dual_mov_b32 v5, 0 :: v_dual_and_b32 v16, 0x7f, v118
	s_mov_b32 s15, exec_lo
	s_delay_alu instid0(VALU_DEP_1)
	v_cmpx_ne_u32_e32 0x7f, v16
	s_cbranch_execz .LBB249_791
; %bb.788:                              ;   in Loop: Header=BB249_547 Depth=1
	v_and_b32_e32 v6, 7, v118
	v_lshrrev_b32_e32 v4, 3, v16
	s_mov_b32 s16, exec_lo
	v_cmpx_gt_u32_e32 8, v16
; %bb.789:                              ;   in Loop: Header=BB249_547 Depth=1
	s_delay_alu instid0(VALU_DEP_3) | instskip(NEXT) | instid1(VALU_DEP_1)
	v_clz_i32_u32_e32 v4, v6
	v_min_u32_e32 v4, 32, v4
	s_delay_alu instid0(VALU_DEP_1) | instskip(SKIP_1) | instid1(VALU_DEP_2)
	v_subrev_nc_u32_e32 v5, 28, v4
	v_sub_nc_u32_e32 v4, 29, v4
	v_lshlrev_b64 v[5:6], v5, v[6:7]
	s_delay_alu instid0(VALU_DEP_1)
	v_and_b32_e32 v6, 7, v5
; %bb.790:                              ;   in Loop: Header=BB249_547 Depth=1
	s_or_b32 exec_lo, exec_lo, s16
	v_lshlrev_b32_e32 v5, 24, v118
	s_delay_alu instid0(VALU_DEP_2) | instskip(SKIP_1) | instid1(VALU_DEP_3)
	v_lshlrev_b32_e32 v6, 20, v6
	v_lshl_add_u32 v4, v4, 23, 0x3c000000
	v_and_b32_e32 v5, 0x80000000, v5
	s_delay_alu instid0(VALU_DEP_1) | instskip(NEXT) | instid1(VALU_DEP_1)
	v_or3_b32 v6, v6, v5, v4
	v_dual_mov_b32 v4, v6 :: v_dual_mov_b32 v5, v7
.LBB249_791:                            ;   in Loop: Header=BB249_547 Depth=1
	s_or_b32 exec_lo, exec_lo, s15
.LBB249_792:                            ;   in Loop: Header=BB249_547 Depth=1
	s_delay_alu instid0(SALU_CYCLE_1)
	s_or_b32 exec_lo, exec_lo, s13
.LBB249_793:                            ;   in Loop: Header=BB249_547 Depth=1
	s_delay_alu instid0(SALU_CYCLE_1) | instskip(SKIP_2) | instid1(VALU_DEP_1)
	s_or_b32 exec_lo, exec_lo, s8
	v_lshrrev_b16 v6, 8, v118
	s_mov_b32 s13, exec_lo
	v_cmpx_ne_u16_e32 0, v6
	s_cbranch_execz .LBB249_801
; %bb.794:                              ;   in Loop: Header=BB249_547 Depth=1
	v_dual_mov_b32 v15, s5 :: v_dual_mov_b32 v14, s4
	s_mov_b32 s15, exec_lo
	v_cmpx_ne_u16_e32 0x80, v6
	s_cbranch_execz .LBB249_800
; %bb.795:                              ;   in Loop: Header=BB249_547 Depth=1
	s_mov_b32 s8, s4
	v_dual_mov_b32 v15, s9 :: v_dual_and_b32 v6, 0xffff, v6
	v_mov_b32_e32 v14, s8
	s_mov_b32 s8, exec_lo
	s_delay_alu instid0(VALU_DEP_2) | instskip(NEXT) | instid1(VALU_DEP_1)
	v_and_b32_e32 v16, 0x7f, v6
	v_cmpx_ne_u32_e32 0x7f, v16
	s_cbranch_execz .LBB249_799
; %bb.796:                              ;   in Loop: Header=BB249_547 Depth=1
	v_and_b32_e32 v6, 7, v6
	v_lshrrev_b32_e32 v14, 3, v16
	s_mov_b32 s16, exec_lo
	v_cmpx_gt_u32_e32 8, v16
; %bb.797:                              ;   in Loop: Header=BB249_547 Depth=1
	s_delay_alu instid0(VALU_DEP_3) | instskip(NEXT) | instid1(VALU_DEP_1)
	v_clz_i32_u32_e32 v14, v6
	v_min_u32_e32 v14, 32, v14
	s_delay_alu instid0(VALU_DEP_1) | instskip(SKIP_1) | instid1(VALU_DEP_2)
	v_subrev_nc_u32_e32 v15, 28, v14
	v_sub_nc_u32_e32 v14, 29, v14
	v_lshlrev_b64 v[15:16], v15, v[6:7]
	s_delay_alu instid0(VALU_DEP_1)
	v_and_b32_e32 v6, 7, v15
; %bb.798:                              ;   in Loop: Header=BB249_547 Depth=1
	s_or_b32 exec_lo, exec_lo, s16
	v_lshlrev_b32_e32 v15, 16, v118
	s_delay_alu instid0(VALU_DEP_2) | instskip(SKIP_1) | instid1(VALU_DEP_3)
	v_lshlrev_b32_e32 v6, 20, v6
	v_lshl_add_u32 v14, v14, 23, 0x3c000000
	v_and_b32_e32 v15, 0x80000000, v15
	s_delay_alu instid0(VALU_DEP_1)
	v_or3_b32 v15, v6, v15, v14
	v_mov_b32_e32 v14, v7
.LBB249_799:                            ;   in Loop: Header=BB249_547 Depth=1
	s_or_b32 exec_lo, exec_lo, s8
.LBB249_800:                            ;   in Loop: Header=BB249_547 Depth=1
	s_delay_alu instid0(SALU_CYCLE_1)
	s_or_b32 exec_lo, exec_lo, s15
.LBB249_801:                            ;   in Loop: Header=BB249_547 Depth=1
	s_delay_alu instid0(SALU_CYCLE_1) | instskip(SKIP_4) | instid1(VALU_DEP_2)
	s_or_b32 exec_lo, exec_lo, s13
	v_mov_b32_e32 v18, 0
	v_lshrrev_b32_e32 v119, 16, v118
	v_mov_b32_e32 v19, 0
	s_mov_b32 s8, exec_lo
	v_and_b32_e32 v6, 0xff, v119
	s_delay_alu instid0(VALU_DEP_2) | instskip(NEXT) | instid1(VALU_DEP_2)
	v_dual_mov_b32 v16, v18 :: v_dual_mov_b32 v17, v19
	v_cmpx_ne_u16_e32 0, v6
	s_cbranch_execz .LBB249_809
; %bb.802:                              ;   in Loop: Header=BB249_547 Depth=1
	v_bfrev_b32_e32 v16, 1
	v_mov_b32_e32 v17, 0
	s_mov_b32 s13, exec_lo
	v_cmpx_ne_u16_e32 0x80, v6
	s_cbranch_execz .LBB249_808
; %bb.803:                              ;   in Loop: Header=BB249_547 Depth=1
	v_mov_b32_e32 v16, 0x7f800001
	v_bfe_u32 v128, v118, 16, 7
	v_mov_b32_e32 v17, 0
	s_mov_b32 s15, exec_lo
	s_delay_alu instid0(VALU_DEP_2)
	v_cmpx_ne_u32_e32 0x7f, v128
	s_cbranch_execz .LBB249_807
; %bb.804:                              ;   in Loop: Header=BB249_547 Depth=1
	v_and_b32_e32 v6, 7, v119
	v_lshrrev_b32_e32 v16, 3, v128
	s_mov_b32 s16, exec_lo
	v_cmpx_gt_u32_e32 8, v128
; %bb.805:                              ;   in Loop: Header=BB249_547 Depth=1
	s_delay_alu instid0(VALU_DEP_3) | instskip(NEXT) | instid1(VALU_DEP_1)
	v_clz_i32_u32_e32 v16, v6
	v_min_u32_e32 v16, 32, v16
	s_delay_alu instid0(VALU_DEP_1) | instskip(SKIP_1) | instid1(VALU_DEP_2)
	v_subrev_nc_u32_e32 v17, 28, v16
	v_sub_nc_u32_e32 v16, 29, v16
	v_lshlrev_b64 v[128:129], v17, v[6:7]
	s_delay_alu instid0(VALU_DEP_1)
	v_and_b32_e32 v6, 7, v128
; %bb.806:                              ;   in Loop: Header=BB249_547 Depth=1
	s_or_b32 exec_lo, exec_lo, s16
	v_lshlrev_b32_e32 v17, 24, v119
	s_delay_alu instid0(VALU_DEP_2) | instskip(SKIP_1) | instid1(VALU_DEP_3)
	v_lshlrev_b32_e32 v6, 20, v6
	v_lshl_add_u32 v16, v16, 23, 0x3c000000
	v_and_b32_e32 v17, 0x80000000, v17
	s_delay_alu instid0(VALU_DEP_1) | instskip(NEXT) | instid1(VALU_DEP_1)
	v_or3_b32 v6, v6, v17, v16
	v_dual_mov_b32 v17, v7 :: v_dual_mov_b32 v16, v6
.LBB249_807:                            ;   in Loop: Header=BB249_547 Depth=1
	s_or_b32 exec_lo, exec_lo, s15
.LBB249_808:                            ;   in Loop: Header=BB249_547 Depth=1
	s_delay_alu instid0(SALU_CYCLE_1)
	s_or_b32 exec_lo, exec_lo, s13
.LBB249_809:                            ;   in Loop: Header=BB249_547 Depth=1
	s_delay_alu instid0(SALU_CYCLE_1) | instskip(NEXT) | instid1(SALU_CYCLE_1)
	s_or_b32 exec_lo, exec_lo, s8
	s_mov_b32 s13, exec_lo
	v_cmpx_lt_u32_e32 0xffffff, v118
	s_cbranch_execz .LBB249_817
; %bb.810:                              ;   in Loop: Header=BB249_547 Depth=1
	v_lshrrev_b32_e32 v119, 24, v118
	v_dual_mov_b32 v19, s5 :: v_dual_mov_b32 v18, s4
	s_mov_b32 s15, exec_lo
	s_delay_alu instid0(VALU_DEP_2)
	v_cmpx_ne_u32_e32 0x80, v119
	s_cbranch_execz .LBB249_816
; %bb.811:                              ;   in Loop: Header=BB249_547 Depth=1
	s_mov_b32 s8, s4
	v_bfe_u32 v118, v118, 24, 7
	v_dual_mov_b32 v19, s9 :: v_dual_mov_b32 v18, s8
	s_mov_b32 s8, exec_lo
	s_delay_alu instid0(VALU_DEP_2)
	v_cmpx_ne_u32_e32 0x7f, v118
	s_cbranch_execz .LBB249_815
; %bb.812:                              ;   in Loop: Header=BB249_547 Depth=1
	v_and_b32_e32 v6, 7, v119
	v_lshrrev_b32_e32 v18, 3, v118
	s_mov_b32 s16, exec_lo
	v_cmpx_gt_u32_e32 8, v118
; %bb.813:                              ;   in Loop: Header=BB249_547 Depth=1
	s_delay_alu instid0(VALU_DEP_3) | instskip(NEXT) | instid1(VALU_DEP_1)
	v_clz_i32_u32_e32 v18, v6
	v_min_u32_e32 v18, 32, v18
	s_delay_alu instid0(VALU_DEP_1) | instskip(SKIP_1) | instid1(VALU_DEP_2)
	v_subrev_nc_u32_e32 v19, 28, v18
	v_sub_nc_u32_e32 v18, 29, v18
	v_lshlrev_b64 v[128:129], v19, v[6:7]
	s_delay_alu instid0(VALU_DEP_1)
	v_and_b32_e32 v6, 7, v128
; %bb.814:                              ;   in Loop: Header=BB249_547 Depth=1
	s_or_b32 exec_lo, exec_lo, s16
	v_lshlrev_b32_e32 v19, 24, v119
	s_delay_alu instid0(VALU_DEP_2) | instskip(SKIP_1) | instid1(VALU_DEP_3)
	v_lshlrev_b32_e32 v6, 20, v6
	v_lshl_add_u32 v18, v18, 23, 0x3c000000
	v_and_b32_e32 v19, 0x80000000, v19
	s_delay_alu instid0(VALU_DEP_1)
	v_or3_b32 v19, v6, v19, v18
	v_mov_b32_e32 v18, v7
.LBB249_815:                            ;   in Loop: Header=BB249_547 Depth=1
	s_or_b32 exec_lo, exec_lo, s8
.LBB249_816:                            ;   in Loop: Header=BB249_547 Depth=1
	s_delay_alu instid0(SALU_CYCLE_1)
	s_or_b32 exec_lo, exec_lo, s15
.LBB249_817:                            ;   in Loop: Header=BB249_547 Depth=1
	s_delay_alu instid0(SALU_CYCLE_1) | instskip(SKIP_4) | instid1(VALU_DEP_3)
	s_or_b32 exec_lo, exec_lo, s13
	v_or_b32_e32 v5, v15, v5
	v_or_b32_e32 v4, v14, v4
	;; [unrolled: 1-line block ×4, first 2 shown]
	v_dual_mul_f32 v129, v54, v5 :: v_dual_mul_f32 v128, v51, v4
	s_delay_alu instid0(VALU_DEP_3) | instskip(NEXT) | instid1(VALU_DEP_3)
	v_mul_f32_e32 v118, v54, v6
	v_mul_f32_e32 v119, v51, v14
	s_and_saveexec_b32 s8, vcc_lo
; %bb.818:                              ;   in Loop: Header=BB249_547 Depth=1
	v_cmp_lt_i32_e64 s1, v67, v30
	s_delay_alu instid0(VALU_DEP_1) | instskip(SKIP_1) | instid1(VALU_DEP_1)
	v_cndmask_b32_e64 v128, 0, v128, s1
	v_cmp_lt_i32_e64 s1, v69, v30
	v_cndmask_b32_e64 v129, 0, v129, s1
	v_cmp_lt_i32_e64 s1, v68, v30
	s_delay_alu instid0(VALU_DEP_1) | instskip(SKIP_1) | instid1(VALU_DEP_1)
	v_cndmask_b32_e64 v119, 0, v119, s1
	v_cmp_lt_i32_e64 s1, v21, v30
	v_cndmask_b32_e64 v118, 0, v118, s1
; %bb.819:                              ;   in Loop: Header=BB249_547 Depth=1
	s_or_b32 exec_lo, exec_lo, s8
	flat_load_b32 v130, v[12:13] offset:1024
	v_mov_b32_e32 v14, 0
	v_mov_b32_e32 v15, 0
	s_mov_b32 s8, exec_lo
	s_waitcnt vmcnt(0) lgkmcnt(0)
	v_and_b32_e32 v6, 0xff, v130
	s_delay_alu instid0(VALU_DEP_2) | instskip(NEXT) | instid1(VALU_DEP_2)
	v_dual_mov_b32 v4, v14 :: v_dual_mov_b32 v5, v15
	v_cmpx_ne_u16_e32 0, v6
	s_cbranch_execz .LBB249_827
; %bb.820:                              ;   in Loop: Header=BB249_547 Depth=1
	v_bfrev_b32_e32 v4, 1
	v_mov_b32_e32 v5, 0
	s_mov_b32 s13, exec_lo
	v_cmpx_ne_u16_e32 0x80, v6
	s_cbranch_execz .LBB249_826
; %bb.821:                              ;   in Loop: Header=BB249_547 Depth=1
	v_mov_b32_e32 v4, 0x7f800001
	v_dual_mov_b32 v5, 0 :: v_dual_and_b32 v16, 0x7f, v130
	s_mov_b32 s15, exec_lo
	s_delay_alu instid0(VALU_DEP_1)
	v_cmpx_ne_u32_e32 0x7f, v16
	s_cbranch_execz .LBB249_825
; %bb.822:                              ;   in Loop: Header=BB249_547 Depth=1
	v_and_b32_e32 v6, 7, v130
	v_lshrrev_b32_e32 v4, 3, v16
	s_mov_b32 s16, exec_lo
	v_cmpx_gt_u32_e32 8, v16
; %bb.823:                              ;   in Loop: Header=BB249_547 Depth=1
	s_delay_alu instid0(VALU_DEP_3) | instskip(NEXT) | instid1(VALU_DEP_1)
	v_clz_i32_u32_e32 v4, v6
	v_min_u32_e32 v4, 32, v4
	s_delay_alu instid0(VALU_DEP_1) | instskip(SKIP_1) | instid1(VALU_DEP_2)
	v_subrev_nc_u32_e32 v5, 28, v4
	v_sub_nc_u32_e32 v4, 29, v4
	v_lshlrev_b64 v[5:6], v5, v[6:7]
	s_delay_alu instid0(VALU_DEP_1)
	v_and_b32_e32 v6, 7, v5
; %bb.824:                              ;   in Loop: Header=BB249_547 Depth=1
	s_or_b32 exec_lo, exec_lo, s16
	v_lshlrev_b32_e32 v5, 24, v130
	s_delay_alu instid0(VALU_DEP_2) | instskip(SKIP_1) | instid1(VALU_DEP_3)
	v_lshlrev_b32_e32 v6, 20, v6
	v_lshl_add_u32 v4, v4, 23, 0x3c000000
	v_and_b32_e32 v5, 0x80000000, v5
	s_delay_alu instid0(VALU_DEP_1) | instskip(NEXT) | instid1(VALU_DEP_1)
	v_or3_b32 v6, v6, v5, v4
	v_dual_mov_b32 v4, v6 :: v_dual_mov_b32 v5, v7
.LBB249_825:                            ;   in Loop: Header=BB249_547 Depth=1
	s_or_b32 exec_lo, exec_lo, s15
.LBB249_826:                            ;   in Loop: Header=BB249_547 Depth=1
	s_delay_alu instid0(SALU_CYCLE_1)
	s_or_b32 exec_lo, exec_lo, s13
.LBB249_827:                            ;   in Loop: Header=BB249_547 Depth=1
	s_delay_alu instid0(SALU_CYCLE_1) | instskip(SKIP_2) | instid1(VALU_DEP_1)
	s_or_b32 exec_lo, exec_lo, s8
	v_lshrrev_b16 v6, 8, v130
	s_mov_b32 s13, exec_lo
	v_cmpx_ne_u16_e32 0, v6
	s_cbranch_execz .LBB249_835
; %bb.828:                              ;   in Loop: Header=BB249_547 Depth=1
	v_dual_mov_b32 v15, s5 :: v_dual_mov_b32 v14, s4
	s_mov_b32 s15, exec_lo
	v_cmpx_ne_u16_e32 0x80, v6
	s_cbranch_execz .LBB249_834
; %bb.829:                              ;   in Loop: Header=BB249_547 Depth=1
	s_mov_b32 s8, s4
	v_dual_mov_b32 v15, s9 :: v_dual_and_b32 v6, 0xffff, v6
	v_mov_b32_e32 v14, s8
	s_mov_b32 s8, exec_lo
	s_delay_alu instid0(VALU_DEP_2) | instskip(NEXT) | instid1(VALU_DEP_1)
	v_and_b32_e32 v16, 0x7f, v6
	v_cmpx_ne_u32_e32 0x7f, v16
	s_cbranch_execz .LBB249_833
; %bb.830:                              ;   in Loop: Header=BB249_547 Depth=1
	v_and_b32_e32 v6, 7, v6
	v_lshrrev_b32_e32 v14, 3, v16
	s_mov_b32 s16, exec_lo
	v_cmpx_gt_u32_e32 8, v16
; %bb.831:                              ;   in Loop: Header=BB249_547 Depth=1
	s_delay_alu instid0(VALU_DEP_3) | instskip(NEXT) | instid1(VALU_DEP_1)
	v_clz_i32_u32_e32 v14, v6
	v_min_u32_e32 v14, 32, v14
	s_delay_alu instid0(VALU_DEP_1) | instskip(SKIP_1) | instid1(VALU_DEP_2)
	v_subrev_nc_u32_e32 v15, 28, v14
	v_sub_nc_u32_e32 v14, 29, v14
	v_lshlrev_b64 v[15:16], v15, v[6:7]
	s_delay_alu instid0(VALU_DEP_1)
	v_and_b32_e32 v6, 7, v15
; %bb.832:                              ;   in Loop: Header=BB249_547 Depth=1
	s_or_b32 exec_lo, exec_lo, s16
	v_lshlrev_b32_e32 v15, 16, v130
	s_delay_alu instid0(VALU_DEP_2) | instskip(SKIP_1) | instid1(VALU_DEP_3)
	v_lshlrev_b32_e32 v6, 20, v6
	v_lshl_add_u32 v14, v14, 23, 0x3c000000
	v_and_b32_e32 v15, 0x80000000, v15
	s_delay_alu instid0(VALU_DEP_1)
	v_or3_b32 v15, v6, v15, v14
	v_mov_b32_e32 v14, v7
.LBB249_833:                            ;   in Loop: Header=BB249_547 Depth=1
	s_or_b32 exec_lo, exec_lo, s8
.LBB249_834:                            ;   in Loop: Header=BB249_547 Depth=1
	s_delay_alu instid0(SALU_CYCLE_1)
	s_or_b32 exec_lo, exec_lo, s15
.LBB249_835:                            ;   in Loop: Header=BB249_547 Depth=1
	s_delay_alu instid0(SALU_CYCLE_1) | instskip(SKIP_4) | instid1(VALU_DEP_2)
	s_or_b32 exec_lo, exec_lo, s13
	v_mov_b32_e32 v18, 0
	v_lshrrev_b32_e32 v131, 16, v130
	v_mov_b32_e32 v19, 0
	s_mov_b32 s8, exec_lo
	v_and_b32_e32 v6, 0xff, v131
	s_delay_alu instid0(VALU_DEP_2) | instskip(NEXT) | instid1(VALU_DEP_2)
	v_dual_mov_b32 v16, v18 :: v_dual_mov_b32 v17, v19
	v_cmpx_ne_u16_e32 0, v6
	s_cbranch_execz .LBB249_843
; %bb.836:                              ;   in Loop: Header=BB249_547 Depth=1
	v_bfrev_b32_e32 v16, 1
	v_mov_b32_e32 v17, 0
	s_mov_b32 s13, exec_lo
	v_cmpx_ne_u16_e32 0x80, v6
	s_cbranch_execz .LBB249_842
; %bb.837:                              ;   in Loop: Header=BB249_547 Depth=1
	v_mov_b32_e32 v16, 0x7f800001
	v_bfe_u32 v132, v130, 16, 7
	v_mov_b32_e32 v17, 0
	s_mov_b32 s15, exec_lo
	s_delay_alu instid0(VALU_DEP_2)
	v_cmpx_ne_u32_e32 0x7f, v132
	s_cbranch_execz .LBB249_841
; %bb.838:                              ;   in Loop: Header=BB249_547 Depth=1
	v_and_b32_e32 v6, 7, v131
	v_lshrrev_b32_e32 v16, 3, v132
	s_mov_b32 s16, exec_lo
	v_cmpx_gt_u32_e32 8, v132
; %bb.839:                              ;   in Loop: Header=BB249_547 Depth=1
	s_delay_alu instid0(VALU_DEP_3) | instskip(NEXT) | instid1(VALU_DEP_1)
	v_clz_i32_u32_e32 v16, v6
	v_min_u32_e32 v16, 32, v16
	s_delay_alu instid0(VALU_DEP_1) | instskip(SKIP_1) | instid1(VALU_DEP_2)
	v_subrev_nc_u32_e32 v17, 28, v16
	v_sub_nc_u32_e32 v16, 29, v16
	v_lshlrev_b64 v[132:133], v17, v[6:7]
	s_delay_alu instid0(VALU_DEP_1)
	v_and_b32_e32 v6, 7, v132
; %bb.840:                              ;   in Loop: Header=BB249_547 Depth=1
	s_or_b32 exec_lo, exec_lo, s16
	v_lshlrev_b32_e32 v17, 24, v131
	s_delay_alu instid0(VALU_DEP_2) | instskip(SKIP_1) | instid1(VALU_DEP_3)
	v_lshlrev_b32_e32 v6, 20, v6
	v_lshl_add_u32 v16, v16, 23, 0x3c000000
	v_and_b32_e32 v17, 0x80000000, v17
	s_delay_alu instid0(VALU_DEP_1) | instskip(NEXT) | instid1(VALU_DEP_1)
	v_or3_b32 v6, v6, v17, v16
	v_dual_mov_b32 v17, v7 :: v_dual_mov_b32 v16, v6
.LBB249_841:                            ;   in Loop: Header=BB249_547 Depth=1
	s_or_b32 exec_lo, exec_lo, s15
.LBB249_842:                            ;   in Loop: Header=BB249_547 Depth=1
	s_delay_alu instid0(SALU_CYCLE_1)
	s_or_b32 exec_lo, exec_lo, s13
.LBB249_843:                            ;   in Loop: Header=BB249_547 Depth=1
	s_delay_alu instid0(SALU_CYCLE_1) | instskip(NEXT) | instid1(SALU_CYCLE_1)
	s_or_b32 exec_lo, exec_lo, s8
	s_mov_b32 s13, exec_lo
	v_cmpx_lt_u32_e32 0xffffff, v130
	s_cbranch_execz .LBB249_851
; %bb.844:                              ;   in Loop: Header=BB249_547 Depth=1
	v_lshrrev_b32_e32 v131, 24, v130
	v_dual_mov_b32 v19, s5 :: v_dual_mov_b32 v18, s4
	s_mov_b32 s15, exec_lo
	s_delay_alu instid0(VALU_DEP_2)
	v_cmpx_ne_u32_e32 0x80, v131
	s_cbranch_execz .LBB249_850
; %bb.845:                              ;   in Loop: Header=BB249_547 Depth=1
	s_mov_b32 s8, s4
	v_bfe_u32 v130, v130, 24, 7
	v_dual_mov_b32 v19, s9 :: v_dual_mov_b32 v18, s8
	s_mov_b32 s8, exec_lo
	s_delay_alu instid0(VALU_DEP_2)
	v_cmpx_ne_u32_e32 0x7f, v130
	s_cbranch_execz .LBB249_849
; %bb.846:                              ;   in Loop: Header=BB249_547 Depth=1
	v_and_b32_e32 v6, 7, v131
	v_lshrrev_b32_e32 v18, 3, v130
	s_mov_b32 s16, exec_lo
	v_cmpx_gt_u32_e32 8, v130
; %bb.847:                              ;   in Loop: Header=BB249_547 Depth=1
	s_delay_alu instid0(VALU_DEP_3) | instskip(NEXT) | instid1(VALU_DEP_1)
	v_clz_i32_u32_e32 v18, v6
	v_min_u32_e32 v18, 32, v18
	s_delay_alu instid0(VALU_DEP_1) | instskip(SKIP_1) | instid1(VALU_DEP_2)
	v_subrev_nc_u32_e32 v19, 28, v18
	v_sub_nc_u32_e32 v18, 29, v18
	v_lshlrev_b64 v[132:133], v19, v[6:7]
	s_delay_alu instid0(VALU_DEP_1)
	v_and_b32_e32 v6, 7, v132
; %bb.848:                              ;   in Loop: Header=BB249_547 Depth=1
	s_or_b32 exec_lo, exec_lo, s16
	v_lshlrev_b32_e32 v19, 24, v131
	s_delay_alu instid0(VALU_DEP_2) | instskip(SKIP_1) | instid1(VALU_DEP_3)
	v_lshlrev_b32_e32 v6, 20, v6
	v_lshl_add_u32 v18, v18, 23, 0x3c000000
	v_and_b32_e32 v19, 0x80000000, v19
	s_delay_alu instid0(VALU_DEP_1)
	v_or3_b32 v19, v6, v19, v18
	v_mov_b32_e32 v18, v7
.LBB249_849:                            ;   in Loop: Header=BB249_547 Depth=1
	s_or_b32 exec_lo, exec_lo, s8
.LBB249_850:                            ;   in Loop: Header=BB249_547 Depth=1
	s_delay_alu instid0(SALU_CYCLE_1)
	s_or_b32 exec_lo, exec_lo, s15
.LBB249_851:                            ;   in Loop: Header=BB249_547 Depth=1
	s_delay_alu instid0(SALU_CYCLE_1) | instskip(SKIP_4) | instid1(VALU_DEP_3)
	s_or_b32 exec_lo, exec_lo, s13
	v_or_b32_e32 v5, v15, v5
	v_or_b32_e32 v4, v14, v4
	;; [unrolled: 1-line block ×4, first 2 shown]
	v_dual_mul_f32 v133, v54, v5 :: v_dual_mul_f32 v132, v51, v4
	s_delay_alu instid0(VALU_DEP_3) | instskip(NEXT) | instid1(VALU_DEP_3)
	v_mul_f32_e32 v130, v54, v6
	v_mul_f32_e32 v131, v51, v14
	s_and_saveexec_b32 s8, vcc_lo
; %bb.852:                              ;   in Loop: Header=BB249_547 Depth=1
	v_cmp_lt_i32_e64 s1, v67, v30
	s_delay_alu instid0(VALU_DEP_1) | instskip(SKIP_1) | instid1(VALU_DEP_1)
	v_cndmask_b32_e64 v132, 0, v132, s1
	v_cmp_lt_i32_e64 s1, v69, v30
	v_cndmask_b32_e64 v133, 0, v133, s1
	v_cmp_lt_i32_e64 s1, v68, v30
	s_delay_alu instid0(VALU_DEP_1) | instskip(SKIP_1) | instid1(VALU_DEP_1)
	v_cndmask_b32_e64 v131, 0, v131, s1
	v_cmp_lt_i32_e64 s1, v21, v30
	v_cndmask_b32_e64 v130, 0, v130, s1
; %bb.853:                              ;   in Loop: Header=BB249_547 Depth=1
	s_or_b32 exec_lo, exec_lo, s8
	flat_load_b32 v134, v[12:13] offset:1152
	v_mov_b32_e32 v14, 0
	v_mov_b32_e32 v15, 0
	s_mov_b32 s8, exec_lo
	s_waitcnt vmcnt(0) lgkmcnt(0)
	v_and_b32_e32 v6, 0xff, v134
	s_delay_alu instid0(VALU_DEP_2) | instskip(NEXT) | instid1(VALU_DEP_2)
	v_dual_mov_b32 v4, v14 :: v_dual_mov_b32 v5, v15
	v_cmpx_ne_u16_e32 0, v6
	s_cbranch_execz .LBB249_861
; %bb.854:                              ;   in Loop: Header=BB249_547 Depth=1
	v_bfrev_b32_e32 v4, 1
	v_mov_b32_e32 v5, 0
	s_mov_b32 s13, exec_lo
	v_cmpx_ne_u16_e32 0x80, v6
	s_cbranch_execz .LBB249_860
; %bb.855:                              ;   in Loop: Header=BB249_547 Depth=1
	v_mov_b32_e32 v4, 0x7f800001
	v_dual_mov_b32 v5, 0 :: v_dual_and_b32 v16, 0x7f, v134
	s_mov_b32 s15, exec_lo
	s_delay_alu instid0(VALU_DEP_1)
	v_cmpx_ne_u32_e32 0x7f, v16
	s_cbranch_execz .LBB249_859
; %bb.856:                              ;   in Loop: Header=BB249_547 Depth=1
	v_and_b32_e32 v6, 7, v134
	v_lshrrev_b32_e32 v4, 3, v16
	s_mov_b32 s16, exec_lo
	v_cmpx_gt_u32_e32 8, v16
; %bb.857:                              ;   in Loop: Header=BB249_547 Depth=1
	s_delay_alu instid0(VALU_DEP_3) | instskip(NEXT) | instid1(VALU_DEP_1)
	v_clz_i32_u32_e32 v4, v6
	v_min_u32_e32 v4, 32, v4
	s_delay_alu instid0(VALU_DEP_1) | instskip(SKIP_1) | instid1(VALU_DEP_2)
	v_subrev_nc_u32_e32 v5, 28, v4
	v_sub_nc_u32_e32 v4, 29, v4
	v_lshlrev_b64 v[5:6], v5, v[6:7]
	s_delay_alu instid0(VALU_DEP_1)
	v_and_b32_e32 v6, 7, v5
; %bb.858:                              ;   in Loop: Header=BB249_547 Depth=1
	s_or_b32 exec_lo, exec_lo, s16
	v_lshlrev_b32_e32 v5, 24, v134
	s_delay_alu instid0(VALU_DEP_2) | instskip(SKIP_1) | instid1(VALU_DEP_3)
	v_lshlrev_b32_e32 v6, 20, v6
	v_lshl_add_u32 v4, v4, 23, 0x3c000000
	v_and_b32_e32 v5, 0x80000000, v5
	s_delay_alu instid0(VALU_DEP_1) | instskip(NEXT) | instid1(VALU_DEP_1)
	v_or3_b32 v6, v6, v5, v4
	v_dual_mov_b32 v4, v6 :: v_dual_mov_b32 v5, v7
.LBB249_859:                            ;   in Loop: Header=BB249_547 Depth=1
	s_or_b32 exec_lo, exec_lo, s15
.LBB249_860:                            ;   in Loop: Header=BB249_547 Depth=1
	s_delay_alu instid0(SALU_CYCLE_1)
	s_or_b32 exec_lo, exec_lo, s13
.LBB249_861:                            ;   in Loop: Header=BB249_547 Depth=1
	s_delay_alu instid0(SALU_CYCLE_1) | instskip(SKIP_2) | instid1(VALU_DEP_1)
	s_or_b32 exec_lo, exec_lo, s8
	v_lshrrev_b16 v6, 8, v134
	s_mov_b32 s13, exec_lo
	v_cmpx_ne_u16_e32 0, v6
	s_cbranch_execz .LBB249_869
; %bb.862:                              ;   in Loop: Header=BB249_547 Depth=1
	v_dual_mov_b32 v15, s5 :: v_dual_mov_b32 v14, s4
	s_mov_b32 s15, exec_lo
	v_cmpx_ne_u16_e32 0x80, v6
	s_cbranch_execz .LBB249_868
; %bb.863:                              ;   in Loop: Header=BB249_547 Depth=1
	s_mov_b32 s8, s4
	v_dual_mov_b32 v15, s9 :: v_dual_and_b32 v6, 0xffff, v6
	v_mov_b32_e32 v14, s8
	s_mov_b32 s8, exec_lo
	s_delay_alu instid0(VALU_DEP_2) | instskip(NEXT) | instid1(VALU_DEP_1)
	v_and_b32_e32 v16, 0x7f, v6
	v_cmpx_ne_u32_e32 0x7f, v16
	s_cbranch_execz .LBB249_867
; %bb.864:                              ;   in Loop: Header=BB249_547 Depth=1
	v_and_b32_e32 v6, 7, v6
	v_lshrrev_b32_e32 v14, 3, v16
	s_mov_b32 s16, exec_lo
	v_cmpx_gt_u32_e32 8, v16
; %bb.865:                              ;   in Loop: Header=BB249_547 Depth=1
	s_delay_alu instid0(VALU_DEP_3) | instskip(NEXT) | instid1(VALU_DEP_1)
	v_clz_i32_u32_e32 v14, v6
	v_min_u32_e32 v14, 32, v14
	s_delay_alu instid0(VALU_DEP_1) | instskip(SKIP_1) | instid1(VALU_DEP_2)
	v_subrev_nc_u32_e32 v15, 28, v14
	v_sub_nc_u32_e32 v14, 29, v14
	v_lshlrev_b64 v[15:16], v15, v[6:7]
	s_delay_alu instid0(VALU_DEP_1)
	v_and_b32_e32 v6, 7, v15
; %bb.866:                              ;   in Loop: Header=BB249_547 Depth=1
	s_or_b32 exec_lo, exec_lo, s16
	v_lshlrev_b32_e32 v15, 16, v134
	s_delay_alu instid0(VALU_DEP_2) | instskip(SKIP_1) | instid1(VALU_DEP_3)
	v_lshlrev_b32_e32 v6, 20, v6
	v_lshl_add_u32 v14, v14, 23, 0x3c000000
	v_and_b32_e32 v15, 0x80000000, v15
	s_delay_alu instid0(VALU_DEP_1)
	v_or3_b32 v15, v6, v15, v14
	v_mov_b32_e32 v14, v7
.LBB249_867:                            ;   in Loop: Header=BB249_547 Depth=1
	s_or_b32 exec_lo, exec_lo, s8
.LBB249_868:                            ;   in Loop: Header=BB249_547 Depth=1
	s_delay_alu instid0(SALU_CYCLE_1)
	s_or_b32 exec_lo, exec_lo, s15
.LBB249_869:                            ;   in Loop: Header=BB249_547 Depth=1
	s_delay_alu instid0(SALU_CYCLE_1) | instskip(SKIP_4) | instid1(VALU_DEP_2)
	s_or_b32 exec_lo, exec_lo, s13
	v_mov_b32_e32 v18, 0
	v_lshrrev_b32_e32 v135, 16, v134
	v_mov_b32_e32 v19, 0
	s_mov_b32 s8, exec_lo
	v_and_b32_e32 v6, 0xff, v135
	s_delay_alu instid0(VALU_DEP_2) | instskip(NEXT) | instid1(VALU_DEP_2)
	v_dual_mov_b32 v16, v18 :: v_dual_mov_b32 v17, v19
	v_cmpx_ne_u16_e32 0, v6
	s_cbranch_execz .LBB249_877
; %bb.870:                              ;   in Loop: Header=BB249_547 Depth=1
	v_bfrev_b32_e32 v16, 1
	v_mov_b32_e32 v17, 0
	s_mov_b32 s13, exec_lo
	v_cmpx_ne_u16_e32 0x80, v6
	s_cbranch_execz .LBB249_876
; %bb.871:                              ;   in Loop: Header=BB249_547 Depth=1
	v_mov_b32_e32 v16, 0x7f800001
	v_bfe_u32 v144, v134, 16, 7
	v_mov_b32_e32 v17, 0
	s_mov_b32 s15, exec_lo
	s_delay_alu instid0(VALU_DEP_2)
	v_cmpx_ne_u32_e32 0x7f, v144
	s_cbranch_execz .LBB249_875
; %bb.872:                              ;   in Loop: Header=BB249_547 Depth=1
	v_and_b32_e32 v6, 7, v135
	v_lshrrev_b32_e32 v16, 3, v144
	s_mov_b32 s16, exec_lo
	v_cmpx_gt_u32_e32 8, v144
; %bb.873:                              ;   in Loop: Header=BB249_547 Depth=1
	s_delay_alu instid0(VALU_DEP_3) | instskip(NEXT) | instid1(VALU_DEP_1)
	v_clz_i32_u32_e32 v16, v6
	v_min_u32_e32 v16, 32, v16
	s_delay_alu instid0(VALU_DEP_1) | instskip(SKIP_1) | instid1(VALU_DEP_2)
	v_subrev_nc_u32_e32 v17, 28, v16
	v_sub_nc_u32_e32 v16, 29, v16
	v_lshlrev_b64 v[144:145], v17, v[6:7]
	s_delay_alu instid0(VALU_DEP_1)
	v_and_b32_e32 v6, 7, v144
; %bb.874:                              ;   in Loop: Header=BB249_547 Depth=1
	s_or_b32 exec_lo, exec_lo, s16
	v_lshlrev_b32_e32 v17, 24, v135
	s_delay_alu instid0(VALU_DEP_2) | instskip(SKIP_1) | instid1(VALU_DEP_3)
	v_lshlrev_b32_e32 v6, 20, v6
	v_lshl_add_u32 v16, v16, 23, 0x3c000000
	v_and_b32_e32 v17, 0x80000000, v17
	s_delay_alu instid0(VALU_DEP_1) | instskip(NEXT) | instid1(VALU_DEP_1)
	v_or3_b32 v6, v6, v17, v16
	v_dual_mov_b32 v17, v7 :: v_dual_mov_b32 v16, v6
.LBB249_875:                            ;   in Loop: Header=BB249_547 Depth=1
	s_or_b32 exec_lo, exec_lo, s15
.LBB249_876:                            ;   in Loop: Header=BB249_547 Depth=1
	s_delay_alu instid0(SALU_CYCLE_1)
	s_or_b32 exec_lo, exec_lo, s13
.LBB249_877:                            ;   in Loop: Header=BB249_547 Depth=1
	s_delay_alu instid0(SALU_CYCLE_1) | instskip(NEXT) | instid1(SALU_CYCLE_1)
	s_or_b32 exec_lo, exec_lo, s8
	s_mov_b32 s13, exec_lo
	v_cmpx_lt_u32_e32 0xffffff, v134
	s_cbranch_execz .LBB249_885
; %bb.878:                              ;   in Loop: Header=BB249_547 Depth=1
	v_lshrrev_b32_e32 v135, 24, v134
	v_dual_mov_b32 v19, s5 :: v_dual_mov_b32 v18, s4
	s_mov_b32 s15, exec_lo
	s_delay_alu instid0(VALU_DEP_2)
	v_cmpx_ne_u32_e32 0x80, v135
	s_cbranch_execz .LBB249_884
; %bb.879:                              ;   in Loop: Header=BB249_547 Depth=1
	s_mov_b32 s8, s4
	v_bfe_u32 v134, v134, 24, 7
	v_dual_mov_b32 v19, s9 :: v_dual_mov_b32 v18, s8
	s_mov_b32 s8, exec_lo
	s_delay_alu instid0(VALU_DEP_2)
	v_cmpx_ne_u32_e32 0x7f, v134
	s_cbranch_execz .LBB249_883
; %bb.880:                              ;   in Loop: Header=BB249_547 Depth=1
	v_and_b32_e32 v6, 7, v135
	v_lshrrev_b32_e32 v18, 3, v134
	s_mov_b32 s16, exec_lo
	v_cmpx_gt_u32_e32 8, v134
; %bb.881:                              ;   in Loop: Header=BB249_547 Depth=1
	s_delay_alu instid0(VALU_DEP_3) | instskip(NEXT) | instid1(VALU_DEP_1)
	v_clz_i32_u32_e32 v18, v6
	v_min_u32_e32 v18, 32, v18
	s_delay_alu instid0(VALU_DEP_1) | instskip(SKIP_1) | instid1(VALU_DEP_2)
	v_subrev_nc_u32_e32 v19, 28, v18
	v_sub_nc_u32_e32 v18, 29, v18
	v_lshlrev_b64 v[144:145], v19, v[6:7]
	s_delay_alu instid0(VALU_DEP_1)
	v_and_b32_e32 v6, 7, v144
; %bb.882:                              ;   in Loop: Header=BB249_547 Depth=1
	s_or_b32 exec_lo, exec_lo, s16
	v_lshlrev_b32_e32 v19, 24, v135
	s_delay_alu instid0(VALU_DEP_2) | instskip(SKIP_1) | instid1(VALU_DEP_3)
	v_lshlrev_b32_e32 v6, 20, v6
	v_lshl_add_u32 v18, v18, 23, 0x3c000000
	v_and_b32_e32 v19, 0x80000000, v19
	s_delay_alu instid0(VALU_DEP_1)
	v_or3_b32 v19, v6, v19, v18
	v_mov_b32_e32 v18, v7
.LBB249_883:                            ;   in Loop: Header=BB249_547 Depth=1
	s_or_b32 exec_lo, exec_lo, s8
.LBB249_884:                            ;   in Loop: Header=BB249_547 Depth=1
	s_delay_alu instid0(SALU_CYCLE_1)
	s_or_b32 exec_lo, exec_lo, s15
.LBB249_885:                            ;   in Loop: Header=BB249_547 Depth=1
	s_delay_alu instid0(SALU_CYCLE_1) | instskip(SKIP_4) | instid1(VALU_DEP_3)
	s_or_b32 exec_lo, exec_lo, s13
	v_or_b32_e32 v5, v15, v5
	v_or_b32_e32 v4, v14, v4
	;; [unrolled: 1-line block ×4, first 2 shown]
	v_dual_mul_f32 v145, v54, v5 :: v_dual_mul_f32 v144, v51, v4
	s_delay_alu instid0(VALU_DEP_3) | instskip(NEXT) | instid1(VALU_DEP_3)
	v_mul_f32_e32 v134, v54, v6
	v_mul_f32_e32 v135, v51, v14
	s_and_saveexec_b32 s8, vcc_lo
; %bb.886:                              ;   in Loop: Header=BB249_547 Depth=1
	v_cmp_lt_i32_e64 s1, v67, v30
	s_delay_alu instid0(VALU_DEP_1) | instskip(SKIP_1) | instid1(VALU_DEP_1)
	v_cndmask_b32_e64 v144, 0, v144, s1
	v_cmp_lt_i32_e64 s1, v69, v30
	v_cndmask_b32_e64 v145, 0, v145, s1
	v_cmp_lt_i32_e64 s1, v68, v30
	s_delay_alu instid0(VALU_DEP_1) | instskip(SKIP_1) | instid1(VALU_DEP_1)
	v_cndmask_b32_e64 v135, 0, v135, s1
	v_cmp_lt_i32_e64 s1, v21, v30
	v_cndmask_b32_e64 v134, 0, v134, s1
; %bb.887:                              ;   in Loop: Header=BB249_547 Depth=1
	s_or_b32 exec_lo, exec_lo, s8
	flat_load_b32 v146, v[12:13] offset:1280
	v_mov_b32_e32 v14, 0
	v_mov_b32_e32 v15, 0
	s_mov_b32 s8, exec_lo
	s_waitcnt vmcnt(0) lgkmcnt(0)
	v_and_b32_e32 v6, 0xff, v146
	s_delay_alu instid0(VALU_DEP_2) | instskip(NEXT) | instid1(VALU_DEP_2)
	v_dual_mov_b32 v4, v14 :: v_dual_mov_b32 v5, v15
	v_cmpx_ne_u16_e32 0, v6
	s_cbranch_execz .LBB249_895
; %bb.888:                              ;   in Loop: Header=BB249_547 Depth=1
	v_bfrev_b32_e32 v4, 1
	v_mov_b32_e32 v5, 0
	s_mov_b32 s13, exec_lo
	v_cmpx_ne_u16_e32 0x80, v6
	s_cbranch_execz .LBB249_894
; %bb.889:                              ;   in Loop: Header=BB249_547 Depth=1
	v_mov_b32_e32 v4, 0x7f800001
	v_dual_mov_b32 v5, 0 :: v_dual_and_b32 v16, 0x7f, v146
	s_mov_b32 s15, exec_lo
	s_delay_alu instid0(VALU_DEP_1)
	v_cmpx_ne_u32_e32 0x7f, v16
	s_cbranch_execz .LBB249_893
; %bb.890:                              ;   in Loop: Header=BB249_547 Depth=1
	v_and_b32_e32 v6, 7, v146
	v_lshrrev_b32_e32 v4, 3, v16
	s_mov_b32 s16, exec_lo
	v_cmpx_gt_u32_e32 8, v16
; %bb.891:                              ;   in Loop: Header=BB249_547 Depth=1
	s_delay_alu instid0(VALU_DEP_3) | instskip(NEXT) | instid1(VALU_DEP_1)
	v_clz_i32_u32_e32 v4, v6
	v_min_u32_e32 v4, 32, v4
	s_delay_alu instid0(VALU_DEP_1) | instskip(SKIP_1) | instid1(VALU_DEP_2)
	v_subrev_nc_u32_e32 v5, 28, v4
	v_sub_nc_u32_e32 v4, 29, v4
	v_lshlrev_b64 v[5:6], v5, v[6:7]
	s_delay_alu instid0(VALU_DEP_1)
	v_and_b32_e32 v6, 7, v5
; %bb.892:                              ;   in Loop: Header=BB249_547 Depth=1
	s_or_b32 exec_lo, exec_lo, s16
	v_lshlrev_b32_e32 v5, 24, v146
	s_delay_alu instid0(VALU_DEP_2) | instskip(SKIP_1) | instid1(VALU_DEP_3)
	v_lshlrev_b32_e32 v6, 20, v6
	v_lshl_add_u32 v4, v4, 23, 0x3c000000
	v_and_b32_e32 v5, 0x80000000, v5
	s_delay_alu instid0(VALU_DEP_1) | instskip(NEXT) | instid1(VALU_DEP_1)
	v_or3_b32 v6, v6, v5, v4
	v_dual_mov_b32 v4, v6 :: v_dual_mov_b32 v5, v7
.LBB249_893:                            ;   in Loop: Header=BB249_547 Depth=1
	s_or_b32 exec_lo, exec_lo, s15
.LBB249_894:                            ;   in Loop: Header=BB249_547 Depth=1
	s_delay_alu instid0(SALU_CYCLE_1)
	s_or_b32 exec_lo, exec_lo, s13
.LBB249_895:                            ;   in Loop: Header=BB249_547 Depth=1
	s_delay_alu instid0(SALU_CYCLE_1) | instskip(SKIP_2) | instid1(VALU_DEP_1)
	s_or_b32 exec_lo, exec_lo, s8
	v_lshrrev_b16 v6, 8, v146
	s_mov_b32 s13, exec_lo
	v_cmpx_ne_u16_e32 0, v6
	s_cbranch_execz .LBB249_903
; %bb.896:                              ;   in Loop: Header=BB249_547 Depth=1
	v_dual_mov_b32 v15, s5 :: v_dual_mov_b32 v14, s4
	s_mov_b32 s15, exec_lo
	v_cmpx_ne_u16_e32 0x80, v6
	s_cbranch_execz .LBB249_902
; %bb.897:                              ;   in Loop: Header=BB249_547 Depth=1
	s_mov_b32 s8, s4
	v_dual_mov_b32 v15, s9 :: v_dual_and_b32 v6, 0xffff, v6
	v_mov_b32_e32 v14, s8
	s_mov_b32 s8, exec_lo
	s_delay_alu instid0(VALU_DEP_2) | instskip(NEXT) | instid1(VALU_DEP_1)
	v_and_b32_e32 v16, 0x7f, v6
	v_cmpx_ne_u32_e32 0x7f, v16
	s_cbranch_execz .LBB249_901
; %bb.898:                              ;   in Loop: Header=BB249_547 Depth=1
	v_and_b32_e32 v6, 7, v6
	v_lshrrev_b32_e32 v14, 3, v16
	s_mov_b32 s16, exec_lo
	v_cmpx_gt_u32_e32 8, v16
; %bb.899:                              ;   in Loop: Header=BB249_547 Depth=1
	s_delay_alu instid0(VALU_DEP_3) | instskip(NEXT) | instid1(VALU_DEP_1)
	v_clz_i32_u32_e32 v14, v6
	v_min_u32_e32 v14, 32, v14
	s_delay_alu instid0(VALU_DEP_1) | instskip(SKIP_1) | instid1(VALU_DEP_2)
	v_subrev_nc_u32_e32 v15, 28, v14
	v_sub_nc_u32_e32 v14, 29, v14
	v_lshlrev_b64 v[15:16], v15, v[6:7]
	s_delay_alu instid0(VALU_DEP_1)
	v_and_b32_e32 v6, 7, v15
; %bb.900:                              ;   in Loop: Header=BB249_547 Depth=1
	s_or_b32 exec_lo, exec_lo, s16
	v_lshlrev_b32_e32 v15, 16, v146
	s_delay_alu instid0(VALU_DEP_2) | instskip(SKIP_1) | instid1(VALU_DEP_3)
	v_lshlrev_b32_e32 v6, 20, v6
	v_lshl_add_u32 v14, v14, 23, 0x3c000000
	v_and_b32_e32 v15, 0x80000000, v15
	s_delay_alu instid0(VALU_DEP_1)
	v_or3_b32 v15, v6, v15, v14
	v_mov_b32_e32 v14, v7
.LBB249_901:                            ;   in Loop: Header=BB249_547 Depth=1
	s_or_b32 exec_lo, exec_lo, s8
.LBB249_902:                            ;   in Loop: Header=BB249_547 Depth=1
	s_delay_alu instid0(SALU_CYCLE_1)
	s_or_b32 exec_lo, exec_lo, s15
.LBB249_903:                            ;   in Loop: Header=BB249_547 Depth=1
	s_delay_alu instid0(SALU_CYCLE_1) | instskip(SKIP_4) | instid1(VALU_DEP_2)
	s_or_b32 exec_lo, exec_lo, s13
	v_mov_b32_e32 v18, 0
	v_lshrrev_b32_e32 v147, 16, v146
	v_mov_b32_e32 v19, 0
	s_mov_b32 s8, exec_lo
	v_and_b32_e32 v6, 0xff, v147
	s_delay_alu instid0(VALU_DEP_2) | instskip(NEXT) | instid1(VALU_DEP_2)
	v_dual_mov_b32 v16, v18 :: v_dual_mov_b32 v17, v19
	v_cmpx_ne_u16_e32 0, v6
	s_cbranch_execz .LBB249_911
; %bb.904:                              ;   in Loop: Header=BB249_547 Depth=1
	v_bfrev_b32_e32 v16, 1
	v_mov_b32_e32 v17, 0
	s_mov_b32 s13, exec_lo
	v_cmpx_ne_u16_e32 0x80, v6
	s_cbranch_execz .LBB249_910
; %bb.905:                              ;   in Loop: Header=BB249_547 Depth=1
	v_mov_b32_e32 v16, 0x7f800001
	v_bfe_u32 v148, v146, 16, 7
	v_mov_b32_e32 v17, 0
	s_mov_b32 s15, exec_lo
	s_delay_alu instid0(VALU_DEP_2)
	v_cmpx_ne_u32_e32 0x7f, v148
	s_cbranch_execz .LBB249_909
; %bb.906:                              ;   in Loop: Header=BB249_547 Depth=1
	v_and_b32_e32 v6, 7, v147
	v_lshrrev_b32_e32 v16, 3, v148
	s_mov_b32 s16, exec_lo
	v_cmpx_gt_u32_e32 8, v148
; %bb.907:                              ;   in Loop: Header=BB249_547 Depth=1
	s_delay_alu instid0(VALU_DEP_3) | instskip(NEXT) | instid1(VALU_DEP_1)
	v_clz_i32_u32_e32 v16, v6
	v_min_u32_e32 v16, 32, v16
	s_delay_alu instid0(VALU_DEP_1) | instskip(SKIP_1) | instid1(VALU_DEP_2)
	v_subrev_nc_u32_e32 v17, 28, v16
	v_sub_nc_u32_e32 v16, 29, v16
	v_lshlrev_b64 v[148:149], v17, v[6:7]
	s_delay_alu instid0(VALU_DEP_1)
	v_and_b32_e32 v6, 7, v148
; %bb.908:                              ;   in Loop: Header=BB249_547 Depth=1
	s_or_b32 exec_lo, exec_lo, s16
	v_lshlrev_b32_e32 v17, 24, v147
	s_delay_alu instid0(VALU_DEP_2) | instskip(SKIP_1) | instid1(VALU_DEP_3)
	v_lshlrev_b32_e32 v6, 20, v6
	v_lshl_add_u32 v16, v16, 23, 0x3c000000
	v_and_b32_e32 v17, 0x80000000, v17
	s_delay_alu instid0(VALU_DEP_1) | instskip(NEXT) | instid1(VALU_DEP_1)
	v_or3_b32 v6, v6, v17, v16
	v_dual_mov_b32 v17, v7 :: v_dual_mov_b32 v16, v6
.LBB249_909:                            ;   in Loop: Header=BB249_547 Depth=1
	s_or_b32 exec_lo, exec_lo, s15
.LBB249_910:                            ;   in Loop: Header=BB249_547 Depth=1
	s_delay_alu instid0(SALU_CYCLE_1)
	s_or_b32 exec_lo, exec_lo, s13
.LBB249_911:                            ;   in Loop: Header=BB249_547 Depth=1
	s_delay_alu instid0(SALU_CYCLE_1) | instskip(NEXT) | instid1(SALU_CYCLE_1)
	s_or_b32 exec_lo, exec_lo, s8
	s_mov_b32 s13, exec_lo
	v_cmpx_lt_u32_e32 0xffffff, v146
	s_cbranch_execz .LBB249_919
; %bb.912:                              ;   in Loop: Header=BB249_547 Depth=1
	v_lshrrev_b32_e32 v147, 24, v146
	v_dual_mov_b32 v19, s5 :: v_dual_mov_b32 v18, s4
	s_mov_b32 s15, exec_lo
	s_delay_alu instid0(VALU_DEP_2)
	v_cmpx_ne_u32_e32 0x80, v147
	s_cbranch_execz .LBB249_918
; %bb.913:                              ;   in Loop: Header=BB249_547 Depth=1
	s_mov_b32 s8, s4
	v_bfe_u32 v146, v146, 24, 7
	v_dual_mov_b32 v19, s9 :: v_dual_mov_b32 v18, s8
	s_mov_b32 s8, exec_lo
	s_delay_alu instid0(VALU_DEP_2)
	v_cmpx_ne_u32_e32 0x7f, v146
	s_cbranch_execz .LBB249_917
; %bb.914:                              ;   in Loop: Header=BB249_547 Depth=1
	v_and_b32_e32 v6, 7, v147
	v_lshrrev_b32_e32 v18, 3, v146
	s_mov_b32 s16, exec_lo
	v_cmpx_gt_u32_e32 8, v146
; %bb.915:                              ;   in Loop: Header=BB249_547 Depth=1
	s_delay_alu instid0(VALU_DEP_3) | instskip(NEXT) | instid1(VALU_DEP_1)
	v_clz_i32_u32_e32 v18, v6
	v_min_u32_e32 v18, 32, v18
	s_delay_alu instid0(VALU_DEP_1) | instskip(SKIP_1) | instid1(VALU_DEP_2)
	v_subrev_nc_u32_e32 v19, 28, v18
	v_sub_nc_u32_e32 v18, 29, v18
	v_lshlrev_b64 v[148:149], v19, v[6:7]
	s_delay_alu instid0(VALU_DEP_1)
	v_and_b32_e32 v6, 7, v148
; %bb.916:                              ;   in Loop: Header=BB249_547 Depth=1
	s_or_b32 exec_lo, exec_lo, s16
	v_lshlrev_b32_e32 v19, 24, v147
	s_delay_alu instid0(VALU_DEP_2) | instskip(SKIP_1) | instid1(VALU_DEP_3)
	v_lshlrev_b32_e32 v6, 20, v6
	v_lshl_add_u32 v18, v18, 23, 0x3c000000
	v_and_b32_e32 v19, 0x80000000, v19
	s_delay_alu instid0(VALU_DEP_1)
	v_or3_b32 v19, v6, v19, v18
	v_mov_b32_e32 v18, v7
.LBB249_917:                            ;   in Loop: Header=BB249_547 Depth=1
	s_or_b32 exec_lo, exec_lo, s8
.LBB249_918:                            ;   in Loop: Header=BB249_547 Depth=1
	s_delay_alu instid0(SALU_CYCLE_1)
	s_or_b32 exec_lo, exec_lo, s15
.LBB249_919:                            ;   in Loop: Header=BB249_547 Depth=1
	s_delay_alu instid0(SALU_CYCLE_1) | instskip(SKIP_4) | instid1(VALU_DEP_3)
	s_or_b32 exec_lo, exec_lo, s13
	v_or_b32_e32 v5, v15, v5
	v_or_b32_e32 v4, v14, v4
	;; [unrolled: 1-line block ×4, first 2 shown]
	v_dual_mul_f32 v149, v54, v5 :: v_dual_mul_f32 v148, v51, v4
	s_delay_alu instid0(VALU_DEP_3) | instskip(NEXT) | instid1(VALU_DEP_3)
	v_mul_f32_e32 v146, v54, v6
	v_mul_f32_e32 v147, v51, v14
	s_and_saveexec_b32 s8, vcc_lo
; %bb.920:                              ;   in Loop: Header=BB249_547 Depth=1
	v_cmp_lt_i32_e64 s1, v67, v30
	s_delay_alu instid0(VALU_DEP_1) | instskip(SKIP_1) | instid1(VALU_DEP_1)
	v_cndmask_b32_e64 v148, 0, v148, s1
	v_cmp_lt_i32_e64 s1, v69, v30
	v_cndmask_b32_e64 v149, 0, v149, s1
	v_cmp_lt_i32_e64 s1, v68, v30
	s_delay_alu instid0(VALU_DEP_1) | instskip(SKIP_1) | instid1(VALU_DEP_1)
	v_cndmask_b32_e64 v147, 0, v147, s1
	v_cmp_lt_i32_e64 s1, v21, v30
	v_cndmask_b32_e64 v146, 0, v146, s1
; %bb.921:                              ;   in Loop: Header=BB249_547 Depth=1
	s_or_b32 exec_lo, exec_lo, s8
	flat_load_b32 v150, v[12:13] offset:1408
	v_mov_b32_e32 v14, 0
	v_mov_b32_e32 v15, 0
	s_mov_b32 s8, exec_lo
	s_waitcnt vmcnt(0) lgkmcnt(0)
	v_and_b32_e32 v6, 0xff, v150
	s_delay_alu instid0(VALU_DEP_2) | instskip(NEXT) | instid1(VALU_DEP_2)
	v_dual_mov_b32 v4, v14 :: v_dual_mov_b32 v5, v15
	v_cmpx_ne_u16_e32 0, v6
	s_cbranch_execz .LBB249_929
; %bb.922:                              ;   in Loop: Header=BB249_547 Depth=1
	v_bfrev_b32_e32 v4, 1
	v_mov_b32_e32 v5, 0
	s_mov_b32 s13, exec_lo
	v_cmpx_ne_u16_e32 0x80, v6
	s_cbranch_execz .LBB249_928
; %bb.923:                              ;   in Loop: Header=BB249_547 Depth=1
	v_mov_b32_e32 v4, 0x7f800001
	v_dual_mov_b32 v5, 0 :: v_dual_and_b32 v16, 0x7f, v150
	s_mov_b32 s15, exec_lo
	s_delay_alu instid0(VALU_DEP_1)
	v_cmpx_ne_u32_e32 0x7f, v16
	s_cbranch_execz .LBB249_927
; %bb.924:                              ;   in Loop: Header=BB249_547 Depth=1
	v_and_b32_e32 v6, 7, v150
	v_lshrrev_b32_e32 v4, 3, v16
	s_mov_b32 s16, exec_lo
	v_cmpx_gt_u32_e32 8, v16
; %bb.925:                              ;   in Loop: Header=BB249_547 Depth=1
	s_delay_alu instid0(VALU_DEP_3) | instskip(NEXT) | instid1(VALU_DEP_1)
	v_clz_i32_u32_e32 v4, v6
	v_min_u32_e32 v4, 32, v4
	s_delay_alu instid0(VALU_DEP_1) | instskip(SKIP_1) | instid1(VALU_DEP_2)
	v_subrev_nc_u32_e32 v5, 28, v4
	v_sub_nc_u32_e32 v4, 29, v4
	v_lshlrev_b64 v[5:6], v5, v[6:7]
	s_delay_alu instid0(VALU_DEP_1)
	v_and_b32_e32 v6, 7, v5
; %bb.926:                              ;   in Loop: Header=BB249_547 Depth=1
	s_or_b32 exec_lo, exec_lo, s16
	v_lshlrev_b32_e32 v5, 24, v150
	s_delay_alu instid0(VALU_DEP_2) | instskip(SKIP_1) | instid1(VALU_DEP_3)
	v_lshlrev_b32_e32 v6, 20, v6
	v_lshl_add_u32 v4, v4, 23, 0x3c000000
	v_and_b32_e32 v5, 0x80000000, v5
	s_delay_alu instid0(VALU_DEP_1) | instskip(NEXT) | instid1(VALU_DEP_1)
	v_or3_b32 v6, v6, v5, v4
	v_dual_mov_b32 v4, v6 :: v_dual_mov_b32 v5, v7
.LBB249_927:                            ;   in Loop: Header=BB249_547 Depth=1
	s_or_b32 exec_lo, exec_lo, s15
.LBB249_928:                            ;   in Loop: Header=BB249_547 Depth=1
	s_delay_alu instid0(SALU_CYCLE_1)
	s_or_b32 exec_lo, exec_lo, s13
.LBB249_929:                            ;   in Loop: Header=BB249_547 Depth=1
	s_delay_alu instid0(SALU_CYCLE_1) | instskip(SKIP_2) | instid1(VALU_DEP_1)
	s_or_b32 exec_lo, exec_lo, s8
	v_lshrrev_b16 v6, 8, v150
	s_mov_b32 s13, exec_lo
	v_cmpx_ne_u16_e32 0, v6
	s_cbranch_execz .LBB249_937
; %bb.930:                              ;   in Loop: Header=BB249_547 Depth=1
	v_dual_mov_b32 v15, s5 :: v_dual_mov_b32 v14, s4
	s_mov_b32 s15, exec_lo
	v_cmpx_ne_u16_e32 0x80, v6
	s_cbranch_execz .LBB249_936
; %bb.931:                              ;   in Loop: Header=BB249_547 Depth=1
	s_mov_b32 s8, s4
	v_dual_mov_b32 v15, s9 :: v_dual_and_b32 v6, 0xffff, v6
	v_mov_b32_e32 v14, s8
	s_mov_b32 s8, exec_lo
	s_delay_alu instid0(VALU_DEP_2) | instskip(NEXT) | instid1(VALU_DEP_1)
	v_and_b32_e32 v16, 0x7f, v6
	v_cmpx_ne_u32_e32 0x7f, v16
	s_cbranch_execz .LBB249_935
; %bb.932:                              ;   in Loop: Header=BB249_547 Depth=1
	v_and_b32_e32 v6, 7, v6
	v_lshrrev_b32_e32 v14, 3, v16
	s_mov_b32 s16, exec_lo
	v_cmpx_gt_u32_e32 8, v16
; %bb.933:                              ;   in Loop: Header=BB249_547 Depth=1
	s_delay_alu instid0(VALU_DEP_3) | instskip(NEXT) | instid1(VALU_DEP_1)
	v_clz_i32_u32_e32 v14, v6
	v_min_u32_e32 v14, 32, v14
	s_delay_alu instid0(VALU_DEP_1) | instskip(SKIP_1) | instid1(VALU_DEP_2)
	v_subrev_nc_u32_e32 v15, 28, v14
	v_sub_nc_u32_e32 v14, 29, v14
	v_lshlrev_b64 v[15:16], v15, v[6:7]
	s_delay_alu instid0(VALU_DEP_1)
	v_and_b32_e32 v6, 7, v15
; %bb.934:                              ;   in Loop: Header=BB249_547 Depth=1
	s_or_b32 exec_lo, exec_lo, s16
	v_lshlrev_b32_e32 v15, 16, v150
	s_delay_alu instid0(VALU_DEP_2) | instskip(SKIP_1) | instid1(VALU_DEP_3)
	v_lshlrev_b32_e32 v6, 20, v6
	v_lshl_add_u32 v14, v14, 23, 0x3c000000
	v_and_b32_e32 v15, 0x80000000, v15
	s_delay_alu instid0(VALU_DEP_1)
	v_or3_b32 v15, v6, v15, v14
	v_mov_b32_e32 v14, v7
.LBB249_935:                            ;   in Loop: Header=BB249_547 Depth=1
	s_or_b32 exec_lo, exec_lo, s8
.LBB249_936:                            ;   in Loop: Header=BB249_547 Depth=1
	s_delay_alu instid0(SALU_CYCLE_1)
	s_or_b32 exec_lo, exec_lo, s15
.LBB249_937:                            ;   in Loop: Header=BB249_547 Depth=1
	s_delay_alu instid0(SALU_CYCLE_1) | instskip(SKIP_4) | instid1(VALU_DEP_2)
	s_or_b32 exec_lo, exec_lo, s13
	v_mov_b32_e32 v18, 0
	v_lshrrev_b32_e32 v151, 16, v150
	v_mov_b32_e32 v19, 0
	s_mov_b32 s8, exec_lo
	v_and_b32_e32 v6, 0xff, v151
	s_delay_alu instid0(VALU_DEP_2) | instskip(NEXT) | instid1(VALU_DEP_2)
	v_dual_mov_b32 v16, v18 :: v_dual_mov_b32 v17, v19
	v_cmpx_ne_u16_e32 0, v6
	s_cbranch_execz .LBB249_945
; %bb.938:                              ;   in Loop: Header=BB249_547 Depth=1
	v_bfrev_b32_e32 v16, 1
	v_mov_b32_e32 v17, 0
	s_mov_b32 s13, exec_lo
	v_cmpx_ne_u16_e32 0x80, v6
	s_cbranch_execz .LBB249_944
; %bb.939:                              ;   in Loop: Header=BB249_547 Depth=1
	v_mov_b32_e32 v16, 0x7f800001
	v_bfe_u32 v160, v150, 16, 7
	v_mov_b32_e32 v17, 0
	s_mov_b32 s15, exec_lo
	s_delay_alu instid0(VALU_DEP_2)
	v_cmpx_ne_u32_e32 0x7f, v160
	s_cbranch_execz .LBB249_943
; %bb.940:                              ;   in Loop: Header=BB249_547 Depth=1
	v_and_b32_e32 v6, 7, v151
	v_lshrrev_b32_e32 v16, 3, v160
	s_mov_b32 s16, exec_lo
	v_cmpx_gt_u32_e32 8, v160
; %bb.941:                              ;   in Loop: Header=BB249_547 Depth=1
	s_delay_alu instid0(VALU_DEP_3) | instskip(NEXT) | instid1(VALU_DEP_1)
	v_clz_i32_u32_e32 v16, v6
	v_min_u32_e32 v16, 32, v16
	s_delay_alu instid0(VALU_DEP_1) | instskip(SKIP_1) | instid1(VALU_DEP_2)
	v_subrev_nc_u32_e32 v17, 28, v16
	v_sub_nc_u32_e32 v16, 29, v16
	v_lshlrev_b64 v[160:161], v17, v[6:7]
	s_delay_alu instid0(VALU_DEP_1)
	v_and_b32_e32 v6, 7, v160
; %bb.942:                              ;   in Loop: Header=BB249_547 Depth=1
	s_or_b32 exec_lo, exec_lo, s16
	v_lshlrev_b32_e32 v17, 24, v151
	s_delay_alu instid0(VALU_DEP_2) | instskip(SKIP_1) | instid1(VALU_DEP_3)
	v_lshlrev_b32_e32 v6, 20, v6
	v_lshl_add_u32 v16, v16, 23, 0x3c000000
	v_and_b32_e32 v17, 0x80000000, v17
	s_delay_alu instid0(VALU_DEP_1) | instskip(NEXT) | instid1(VALU_DEP_1)
	v_or3_b32 v6, v6, v17, v16
	v_dual_mov_b32 v17, v7 :: v_dual_mov_b32 v16, v6
.LBB249_943:                            ;   in Loop: Header=BB249_547 Depth=1
	s_or_b32 exec_lo, exec_lo, s15
.LBB249_944:                            ;   in Loop: Header=BB249_547 Depth=1
	s_delay_alu instid0(SALU_CYCLE_1)
	s_or_b32 exec_lo, exec_lo, s13
.LBB249_945:                            ;   in Loop: Header=BB249_547 Depth=1
	s_delay_alu instid0(SALU_CYCLE_1) | instskip(NEXT) | instid1(SALU_CYCLE_1)
	s_or_b32 exec_lo, exec_lo, s8
	s_mov_b32 s13, exec_lo
	v_cmpx_lt_u32_e32 0xffffff, v150
	s_cbranch_execz .LBB249_953
; %bb.946:                              ;   in Loop: Header=BB249_547 Depth=1
	v_lshrrev_b32_e32 v151, 24, v150
	v_dual_mov_b32 v19, s5 :: v_dual_mov_b32 v18, s4
	s_mov_b32 s15, exec_lo
	s_delay_alu instid0(VALU_DEP_2)
	v_cmpx_ne_u32_e32 0x80, v151
	s_cbranch_execz .LBB249_952
; %bb.947:                              ;   in Loop: Header=BB249_547 Depth=1
	s_mov_b32 s8, s4
	v_bfe_u32 v150, v150, 24, 7
	v_dual_mov_b32 v19, s9 :: v_dual_mov_b32 v18, s8
	s_mov_b32 s8, exec_lo
	s_delay_alu instid0(VALU_DEP_2)
	v_cmpx_ne_u32_e32 0x7f, v150
	s_cbranch_execz .LBB249_951
; %bb.948:                              ;   in Loop: Header=BB249_547 Depth=1
	v_and_b32_e32 v6, 7, v151
	v_lshrrev_b32_e32 v18, 3, v150
	s_mov_b32 s16, exec_lo
	v_cmpx_gt_u32_e32 8, v150
; %bb.949:                              ;   in Loop: Header=BB249_547 Depth=1
	s_delay_alu instid0(VALU_DEP_3) | instskip(NEXT) | instid1(VALU_DEP_1)
	v_clz_i32_u32_e32 v18, v6
	v_min_u32_e32 v18, 32, v18
	s_delay_alu instid0(VALU_DEP_1) | instskip(SKIP_1) | instid1(VALU_DEP_2)
	v_subrev_nc_u32_e32 v19, 28, v18
	v_sub_nc_u32_e32 v18, 29, v18
	v_lshlrev_b64 v[160:161], v19, v[6:7]
	s_delay_alu instid0(VALU_DEP_1)
	v_and_b32_e32 v6, 7, v160
; %bb.950:                              ;   in Loop: Header=BB249_547 Depth=1
	s_or_b32 exec_lo, exec_lo, s16
	v_lshlrev_b32_e32 v19, 24, v151
	s_delay_alu instid0(VALU_DEP_2) | instskip(SKIP_1) | instid1(VALU_DEP_3)
	v_lshlrev_b32_e32 v6, 20, v6
	v_lshl_add_u32 v18, v18, 23, 0x3c000000
	v_and_b32_e32 v19, 0x80000000, v19
	s_delay_alu instid0(VALU_DEP_1)
	v_or3_b32 v19, v6, v19, v18
	v_mov_b32_e32 v18, v7
.LBB249_951:                            ;   in Loop: Header=BB249_547 Depth=1
	s_or_b32 exec_lo, exec_lo, s8
.LBB249_952:                            ;   in Loop: Header=BB249_547 Depth=1
	s_delay_alu instid0(SALU_CYCLE_1)
	s_or_b32 exec_lo, exec_lo, s15
.LBB249_953:                            ;   in Loop: Header=BB249_547 Depth=1
	s_delay_alu instid0(SALU_CYCLE_1) | instskip(SKIP_4) | instid1(VALU_DEP_3)
	s_or_b32 exec_lo, exec_lo, s13
	v_or_b32_e32 v5, v15, v5
	v_or_b32_e32 v4, v14, v4
	v_or_b32_e32 v6, v19, v17
	v_or_b32_e32 v14, v18, v16
	v_dual_mul_f32 v161, v54, v5 :: v_dual_mul_f32 v160, v51, v4
	s_delay_alu instid0(VALU_DEP_3) | instskip(NEXT) | instid1(VALU_DEP_3)
	v_mul_f32_e32 v150, v54, v6
	v_mul_f32_e32 v151, v51, v14
	s_and_saveexec_b32 s8, vcc_lo
; %bb.954:                              ;   in Loop: Header=BB249_547 Depth=1
	v_cmp_lt_i32_e64 s1, v67, v30
	s_delay_alu instid0(VALU_DEP_1) | instskip(SKIP_1) | instid1(VALU_DEP_1)
	v_cndmask_b32_e64 v160, 0, v160, s1
	v_cmp_lt_i32_e64 s1, v69, v30
	v_cndmask_b32_e64 v161, 0, v161, s1
	v_cmp_lt_i32_e64 s1, v68, v30
	s_delay_alu instid0(VALU_DEP_1) | instskip(SKIP_1) | instid1(VALU_DEP_1)
	v_cndmask_b32_e64 v151, 0, v151, s1
	v_cmp_lt_i32_e64 s1, v21, v30
	v_cndmask_b32_e64 v150, 0, v150, s1
; %bb.955:                              ;   in Loop: Header=BB249_547 Depth=1
	s_or_b32 exec_lo, exec_lo, s8
	flat_load_b32 v162, v[12:13] offset:1536
	v_mov_b32_e32 v14, 0
	v_mov_b32_e32 v15, 0
	s_mov_b32 s8, exec_lo
	s_waitcnt vmcnt(0) lgkmcnt(0)
	v_and_b32_e32 v6, 0xff, v162
	s_delay_alu instid0(VALU_DEP_2) | instskip(NEXT) | instid1(VALU_DEP_2)
	v_dual_mov_b32 v4, v14 :: v_dual_mov_b32 v5, v15
	v_cmpx_ne_u16_e32 0, v6
	s_cbranch_execz .LBB249_963
; %bb.956:                              ;   in Loop: Header=BB249_547 Depth=1
	v_bfrev_b32_e32 v4, 1
	v_mov_b32_e32 v5, 0
	s_mov_b32 s13, exec_lo
	v_cmpx_ne_u16_e32 0x80, v6
	s_cbranch_execz .LBB249_962
; %bb.957:                              ;   in Loop: Header=BB249_547 Depth=1
	v_mov_b32_e32 v4, 0x7f800001
	v_dual_mov_b32 v5, 0 :: v_dual_and_b32 v16, 0x7f, v162
	s_mov_b32 s15, exec_lo
	s_delay_alu instid0(VALU_DEP_1)
	v_cmpx_ne_u32_e32 0x7f, v16
	s_cbranch_execz .LBB249_961
; %bb.958:                              ;   in Loop: Header=BB249_547 Depth=1
	v_and_b32_e32 v6, 7, v162
	v_lshrrev_b32_e32 v4, 3, v16
	s_mov_b32 s16, exec_lo
	v_cmpx_gt_u32_e32 8, v16
; %bb.959:                              ;   in Loop: Header=BB249_547 Depth=1
	s_delay_alu instid0(VALU_DEP_3) | instskip(NEXT) | instid1(VALU_DEP_1)
	v_clz_i32_u32_e32 v4, v6
	v_min_u32_e32 v4, 32, v4
	s_delay_alu instid0(VALU_DEP_1) | instskip(SKIP_1) | instid1(VALU_DEP_2)
	v_subrev_nc_u32_e32 v5, 28, v4
	v_sub_nc_u32_e32 v4, 29, v4
	v_lshlrev_b64 v[5:6], v5, v[6:7]
	s_delay_alu instid0(VALU_DEP_1)
	v_and_b32_e32 v6, 7, v5
; %bb.960:                              ;   in Loop: Header=BB249_547 Depth=1
	s_or_b32 exec_lo, exec_lo, s16
	v_lshlrev_b32_e32 v5, 24, v162
	s_delay_alu instid0(VALU_DEP_2) | instskip(SKIP_1) | instid1(VALU_DEP_3)
	v_lshlrev_b32_e32 v6, 20, v6
	v_lshl_add_u32 v4, v4, 23, 0x3c000000
	v_and_b32_e32 v5, 0x80000000, v5
	s_delay_alu instid0(VALU_DEP_1) | instskip(NEXT) | instid1(VALU_DEP_1)
	v_or3_b32 v6, v6, v5, v4
	v_dual_mov_b32 v4, v6 :: v_dual_mov_b32 v5, v7
.LBB249_961:                            ;   in Loop: Header=BB249_547 Depth=1
	s_or_b32 exec_lo, exec_lo, s15
.LBB249_962:                            ;   in Loop: Header=BB249_547 Depth=1
	s_delay_alu instid0(SALU_CYCLE_1)
	s_or_b32 exec_lo, exec_lo, s13
.LBB249_963:                            ;   in Loop: Header=BB249_547 Depth=1
	s_delay_alu instid0(SALU_CYCLE_1) | instskip(SKIP_2) | instid1(VALU_DEP_1)
	s_or_b32 exec_lo, exec_lo, s8
	v_lshrrev_b16 v6, 8, v162
	s_mov_b32 s13, exec_lo
	v_cmpx_ne_u16_e32 0, v6
	s_cbranch_execz .LBB249_971
; %bb.964:                              ;   in Loop: Header=BB249_547 Depth=1
	v_dual_mov_b32 v15, s5 :: v_dual_mov_b32 v14, s4
	s_mov_b32 s15, exec_lo
	v_cmpx_ne_u16_e32 0x80, v6
	s_cbranch_execz .LBB249_970
; %bb.965:                              ;   in Loop: Header=BB249_547 Depth=1
	s_mov_b32 s8, s4
	v_dual_mov_b32 v15, s9 :: v_dual_and_b32 v6, 0xffff, v6
	v_mov_b32_e32 v14, s8
	s_mov_b32 s8, exec_lo
	s_delay_alu instid0(VALU_DEP_2) | instskip(NEXT) | instid1(VALU_DEP_1)
	v_and_b32_e32 v16, 0x7f, v6
	v_cmpx_ne_u32_e32 0x7f, v16
	s_cbranch_execz .LBB249_969
; %bb.966:                              ;   in Loop: Header=BB249_547 Depth=1
	v_and_b32_e32 v6, 7, v6
	v_lshrrev_b32_e32 v14, 3, v16
	s_mov_b32 s16, exec_lo
	v_cmpx_gt_u32_e32 8, v16
; %bb.967:                              ;   in Loop: Header=BB249_547 Depth=1
	s_delay_alu instid0(VALU_DEP_3) | instskip(NEXT) | instid1(VALU_DEP_1)
	v_clz_i32_u32_e32 v14, v6
	v_min_u32_e32 v14, 32, v14
	s_delay_alu instid0(VALU_DEP_1) | instskip(SKIP_1) | instid1(VALU_DEP_2)
	v_subrev_nc_u32_e32 v15, 28, v14
	v_sub_nc_u32_e32 v14, 29, v14
	v_lshlrev_b64 v[15:16], v15, v[6:7]
	s_delay_alu instid0(VALU_DEP_1)
	v_and_b32_e32 v6, 7, v15
; %bb.968:                              ;   in Loop: Header=BB249_547 Depth=1
	s_or_b32 exec_lo, exec_lo, s16
	v_lshlrev_b32_e32 v15, 16, v162
	s_delay_alu instid0(VALU_DEP_2) | instskip(SKIP_1) | instid1(VALU_DEP_3)
	v_lshlrev_b32_e32 v6, 20, v6
	v_lshl_add_u32 v14, v14, 23, 0x3c000000
	v_and_b32_e32 v15, 0x80000000, v15
	s_delay_alu instid0(VALU_DEP_1)
	v_or3_b32 v15, v6, v15, v14
	v_mov_b32_e32 v14, v7
.LBB249_969:                            ;   in Loop: Header=BB249_547 Depth=1
	s_or_b32 exec_lo, exec_lo, s8
.LBB249_970:                            ;   in Loop: Header=BB249_547 Depth=1
	s_delay_alu instid0(SALU_CYCLE_1)
	s_or_b32 exec_lo, exec_lo, s15
.LBB249_971:                            ;   in Loop: Header=BB249_547 Depth=1
	s_delay_alu instid0(SALU_CYCLE_1) | instskip(SKIP_4) | instid1(VALU_DEP_2)
	s_or_b32 exec_lo, exec_lo, s13
	v_mov_b32_e32 v18, 0
	v_lshrrev_b32_e32 v163, 16, v162
	v_mov_b32_e32 v19, 0
	s_mov_b32 s8, exec_lo
	v_and_b32_e32 v6, 0xff, v163
	s_delay_alu instid0(VALU_DEP_2) | instskip(NEXT) | instid1(VALU_DEP_2)
	v_dual_mov_b32 v16, v18 :: v_dual_mov_b32 v17, v19
	v_cmpx_ne_u16_e32 0, v6
	s_cbranch_execz .LBB249_979
; %bb.972:                              ;   in Loop: Header=BB249_547 Depth=1
	v_bfrev_b32_e32 v16, 1
	v_mov_b32_e32 v17, 0
	s_mov_b32 s13, exec_lo
	v_cmpx_ne_u16_e32 0x80, v6
	s_cbranch_execz .LBB249_978
; %bb.973:                              ;   in Loop: Header=BB249_547 Depth=1
	v_mov_b32_e32 v16, 0x7f800001
	v_bfe_u32 v164, v162, 16, 7
	v_mov_b32_e32 v17, 0
	s_mov_b32 s15, exec_lo
	s_delay_alu instid0(VALU_DEP_2)
	v_cmpx_ne_u32_e32 0x7f, v164
	s_cbranch_execz .LBB249_977
; %bb.974:                              ;   in Loop: Header=BB249_547 Depth=1
	v_and_b32_e32 v6, 7, v163
	v_lshrrev_b32_e32 v16, 3, v164
	s_mov_b32 s16, exec_lo
	v_cmpx_gt_u32_e32 8, v164
; %bb.975:                              ;   in Loop: Header=BB249_547 Depth=1
	s_delay_alu instid0(VALU_DEP_3) | instskip(NEXT) | instid1(VALU_DEP_1)
	v_clz_i32_u32_e32 v16, v6
	v_min_u32_e32 v16, 32, v16
	s_delay_alu instid0(VALU_DEP_1) | instskip(SKIP_1) | instid1(VALU_DEP_2)
	v_subrev_nc_u32_e32 v17, 28, v16
	v_sub_nc_u32_e32 v16, 29, v16
	v_lshlrev_b64 v[164:165], v17, v[6:7]
	s_delay_alu instid0(VALU_DEP_1)
	v_and_b32_e32 v6, 7, v164
; %bb.976:                              ;   in Loop: Header=BB249_547 Depth=1
	s_or_b32 exec_lo, exec_lo, s16
	v_lshlrev_b32_e32 v17, 24, v163
	s_delay_alu instid0(VALU_DEP_2) | instskip(SKIP_1) | instid1(VALU_DEP_3)
	v_lshlrev_b32_e32 v6, 20, v6
	v_lshl_add_u32 v16, v16, 23, 0x3c000000
	v_and_b32_e32 v17, 0x80000000, v17
	s_delay_alu instid0(VALU_DEP_1) | instskip(NEXT) | instid1(VALU_DEP_1)
	v_or3_b32 v6, v6, v17, v16
	v_dual_mov_b32 v17, v7 :: v_dual_mov_b32 v16, v6
.LBB249_977:                            ;   in Loop: Header=BB249_547 Depth=1
	s_or_b32 exec_lo, exec_lo, s15
.LBB249_978:                            ;   in Loop: Header=BB249_547 Depth=1
	s_delay_alu instid0(SALU_CYCLE_1)
	s_or_b32 exec_lo, exec_lo, s13
.LBB249_979:                            ;   in Loop: Header=BB249_547 Depth=1
	s_delay_alu instid0(SALU_CYCLE_1) | instskip(NEXT) | instid1(SALU_CYCLE_1)
	s_or_b32 exec_lo, exec_lo, s8
	s_mov_b32 s13, exec_lo
	v_cmpx_lt_u32_e32 0xffffff, v162
	s_cbranch_execz .LBB249_987
; %bb.980:                              ;   in Loop: Header=BB249_547 Depth=1
	v_lshrrev_b32_e32 v163, 24, v162
	v_dual_mov_b32 v19, s5 :: v_dual_mov_b32 v18, s4
	s_mov_b32 s15, exec_lo
	s_delay_alu instid0(VALU_DEP_2)
	v_cmpx_ne_u32_e32 0x80, v163
	s_cbranch_execz .LBB249_986
; %bb.981:                              ;   in Loop: Header=BB249_547 Depth=1
	s_mov_b32 s8, s4
	v_bfe_u32 v162, v162, 24, 7
	v_dual_mov_b32 v19, s9 :: v_dual_mov_b32 v18, s8
	s_mov_b32 s8, exec_lo
	s_delay_alu instid0(VALU_DEP_2)
	v_cmpx_ne_u32_e32 0x7f, v162
	s_cbranch_execz .LBB249_985
; %bb.982:                              ;   in Loop: Header=BB249_547 Depth=1
	v_and_b32_e32 v6, 7, v163
	v_lshrrev_b32_e32 v18, 3, v162
	s_mov_b32 s16, exec_lo
	v_cmpx_gt_u32_e32 8, v162
; %bb.983:                              ;   in Loop: Header=BB249_547 Depth=1
	s_delay_alu instid0(VALU_DEP_3) | instskip(NEXT) | instid1(VALU_DEP_1)
	v_clz_i32_u32_e32 v18, v6
	v_min_u32_e32 v18, 32, v18
	s_delay_alu instid0(VALU_DEP_1) | instskip(SKIP_1) | instid1(VALU_DEP_2)
	v_subrev_nc_u32_e32 v19, 28, v18
	v_sub_nc_u32_e32 v18, 29, v18
	v_lshlrev_b64 v[164:165], v19, v[6:7]
	s_delay_alu instid0(VALU_DEP_1)
	v_and_b32_e32 v6, 7, v164
; %bb.984:                              ;   in Loop: Header=BB249_547 Depth=1
	s_or_b32 exec_lo, exec_lo, s16
	v_lshlrev_b32_e32 v19, 24, v163
	s_delay_alu instid0(VALU_DEP_2) | instskip(SKIP_1) | instid1(VALU_DEP_3)
	v_lshlrev_b32_e32 v6, 20, v6
	v_lshl_add_u32 v18, v18, 23, 0x3c000000
	v_and_b32_e32 v19, 0x80000000, v19
	s_delay_alu instid0(VALU_DEP_1)
	v_or3_b32 v19, v6, v19, v18
	v_mov_b32_e32 v18, v7
.LBB249_985:                            ;   in Loop: Header=BB249_547 Depth=1
	s_or_b32 exec_lo, exec_lo, s8
.LBB249_986:                            ;   in Loop: Header=BB249_547 Depth=1
	s_delay_alu instid0(SALU_CYCLE_1)
	s_or_b32 exec_lo, exec_lo, s15
.LBB249_987:                            ;   in Loop: Header=BB249_547 Depth=1
	s_delay_alu instid0(SALU_CYCLE_1) | instskip(SKIP_4) | instid1(VALU_DEP_3)
	s_or_b32 exec_lo, exec_lo, s13
	v_or_b32_e32 v5, v15, v5
	v_or_b32_e32 v4, v14, v4
	;; [unrolled: 1-line block ×4, first 2 shown]
	v_dual_mul_f32 v165, v54, v5 :: v_dual_mul_f32 v164, v51, v4
	s_delay_alu instid0(VALU_DEP_3) | instskip(NEXT) | instid1(VALU_DEP_3)
	v_mul_f32_e32 v162, v54, v6
	v_mul_f32_e32 v163, v51, v14
	s_and_saveexec_b32 s8, vcc_lo
; %bb.988:                              ;   in Loop: Header=BB249_547 Depth=1
	v_cmp_lt_i32_e64 s1, v67, v30
	s_delay_alu instid0(VALU_DEP_1) | instskip(SKIP_1) | instid1(VALU_DEP_1)
	v_cndmask_b32_e64 v164, 0, v164, s1
	v_cmp_lt_i32_e64 s1, v69, v30
	v_cndmask_b32_e64 v165, 0, v165, s1
	v_cmp_lt_i32_e64 s1, v68, v30
	s_delay_alu instid0(VALU_DEP_1) | instskip(SKIP_1) | instid1(VALU_DEP_1)
	v_cndmask_b32_e64 v163, 0, v163, s1
	v_cmp_lt_i32_e64 s1, v21, v30
	v_cndmask_b32_e64 v162, 0, v162, s1
; %bb.989:                              ;   in Loop: Header=BB249_547 Depth=1
	s_or_b32 exec_lo, exec_lo, s8
	flat_load_b32 v166, v[12:13] offset:1664
	v_mov_b32_e32 v14, 0
	v_mov_b32_e32 v15, 0
	s_mov_b32 s8, exec_lo
	s_waitcnt vmcnt(0) lgkmcnt(0)
	v_and_b32_e32 v6, 0xff, v166
	s_delay_alu instid0(VALU_DEP_2) | instskip(NEXT) | instid1(VALU_DEP_2)
	v_dual_mov_b32 v4, v14 :: v_dual_mov_b32 v5, v15
	v_cmpx_ne_u16_e32 0, v6
	s_cbranch_execz .LBB249_997
; %bb.990:                              ;   in Loop: Header=BB249_547 Depth=1
	v_bfrev_b32_e32 v4, 1
	v_mov_b32_e32 v5, 0
	s_mov_b32 s13, exec_lo
	v_cmpx_ne_u16_e32 0x80, v6
	s_cbranch_execz .LBB249_996
; %bb.991:                              ;   in Loop: Header=BB249_547 Depth=1
	v_mov_b32_e32 v4, 0x7f800001
	v_dual_mov_b32 v5, 0 :: v_dual_and_b32 v16, 0x7f, v166
	s_mov_b32 s15, exec_lo
	s_delay_alu instid0(VALU_DEP_1)
	v_cmpx_ne_u32_e32 0x7f, v16
	s_cbranch_execz .LBB249_995
; %bb.992:                              ;   in Loop: Header=BB249_547 Depth=1
	v_and_b32_e32 v6, 7, v166
	v_lshrrev_b32_e32 v4, 3, v16
	s_mov_b32 s16, exec_lo
	v_cmpx_gt_u32_e32 8, v16
; %bb.993:                              ;   in Loop: Header=BB249_547 Depth=1
	s_delay_alu instid0(VALU_DEP_3) | instskip(NEXT) | instid1(VALU_DEP_1)
	v_clz_i32_u32_e32 v4, v6
	v_min_u32_e32 v4, 32, v4
	s_delay_alu instid0(VALU_DEP_1) | instskip(SKIP_1) | instid1(VALU_DEP_2)
	v_subrev_nc_u32_e32 v5, 28, v4
	v_sub_nc_u32_e32 v4, 29, v4
	v_lshlrev_b64 v[5:6], v5, v[6:7]
	s_delay_alu instid0(VALU_DEP_1)
	v_and_b32_e32 v6, 7, v5
; %bb.994:                              ;   in Loop: Header=BB249_547 Depth=1
	s_or_b32 exec_lo, exec_lo, s16
	v_lshlrev_b32_e32 v5, 24, v166
	s_delay_alu instid0(VALU_DEP_2) | instskip(SKIP_1) | instid1(VALU_DEP_3)
	v_lshlrev_b32_e32 v6, 20, v6
	v_lshl_add_u32 v4, v4, 23, 0x3c000000
	v_and_b32_e32 v5, 0x80000000, v5
	s_delay_alu instid0(VALU_DEP_1) | instskip(NEXT) | instid1(VALU_DEP_1)
	v_or3_b32 v6, v6, v5, v4
	v_dual_mov_b32 v4, v6 :: v_dual_mov_b32 v5, v7
.LBB249_995:                            ;   in Loop: Header=BB249_547 Depth=1
	s_or_b32 exec_lo, exec_lo, s15
.LBB249_996:                            ;   in Loop: Header=BB249_547 Depth=1
	s_delay_alu instid0(SALU_CYCLE_1)
	s_or_b32 exec_lo, exec_lo, s13
.LBB249_997:                            ;   in Loop: Header=BB249_547 Depth=1
	s_delay_alu instid0(SALU_CYCLE_1) | instskip(SKIP_2) | instid1(VALU_DEP_1)
	s_or_b32 exec_lo, exec_lo, s8
	v_lshrrev_b16 v6, 8, v166
	s_mov_b32 s13, exec_lo
	v_cmpx_ne_u16_e32 0, v6
	s_cbranch_execz .LBB249_1005
; %bb.998:                              ;   in Loop: Header=BB249_547 Depth=1
	v_dual_mov_b32 v15, s5 :: v_dual_mov_b32 v14, s4
	s_mov_b32 s15, exec_lo
	v_cmpx_ne_u16_e32 0x80, v6
	s_cbranch_execz .LBB249_1004
; %bb.999:                              ;   in Loop: Header=BB249_547 Depth=1
	s_mov_b32 s8, s4
	v_dual_mov_b32 v15, s9 :: v_dual_and_b32 v6, 0xffff, v6
	v_mov_b32_e32 v14, s8
	s_mov_b32 s8, exec_lo
	s_delay_alu instid0(VALU_DEP_2) | instskip(NEXT) | instid1(VALU_DEP_1)
	v_and_b32_e32 v16, 0x7f, v6
	v_cmpx_ne_u32_e32 0x7f, v16
	s_cbranch_execz .LBB249_1003
; %bb.1000:                             ;   in Loop: Header=BB249_547 Depth=1
	v_and_b32_e32 v6, 7, v6
	v_lshrrev_b32_e32 v14, 3, v16
	s_mov_b32 s16, exec_lo
	v_cmpx_gt_u32_e32 8, v16
; %bb.1001:                             ;   in Loop: Header=BB249_547 Depth=1
	s_delay_alu instid0(VALU_DEP_3) | instskip(NEXT) | instid1(VALU_DEP_1)
	v_clz_i32_u32_e32 v14, v6
	v_min_u32_e32 v14, 32, v14
	s_delay_alu instid0(VALU_DEP_1) | instskip(SKIP_1) | instid1(VALU_DEP_2)
	v_subrev_nc_u32_e32 v15, 28, v14
	v_sub_nc_u32_e32 v14, 29, v14
	v_lshlrev_b64 v[15:16], v15, v[6:7]
	s_delay_alu instid0(VALU_DEP_1)
	v_and_b32_e32 v6, 7, v15
; %bb.1002:                             ;   in Loop: Header=BB249_547 Depth=1
	s_or_b32 exec_lo, exec_lo, s16
	v_lshlrev_b32_e32 v15, 16, v166
	s_delay_alu instid0(VALU_DEP_2) | instskip(SKIP_1) | instid1(VALU_DEP_3)
	v_lshlrev_b32_e32 v6, 20, v6
	v_lshl_add_u32 v14, v14, 23, 0x3c000000
	v_and_b32_e32 v15, 0x80000000, v15
	s_delay_alu instid0(VALU_DEP_1)
	v_or3_b32 v15, v6, v15, v14
	v_mov_b32_e32 v14, v7
.LBB249_1003:                           ;   in Loop: Header=BB249_547 Depth=1
	s_or_b32 exec_lo, exec_lo, s8
.LBB249_1004:                           ;   in Loop: Header=BB249_547 Depth=1
	s_delay_alu instid0(SALU_CYCLE_1)
	s_or_b32 exec_lo, exec_lo, s15
.LBB249_1005:                           ;   in Loop: Header=BB249_547 Depth=1
	s_delay_alu instid0(SALU_CYCLE_1) | instskip(SKIP_4) | instid1(VALU_DEP_2)
	s_or_b32 exec_lo, exec_lo, s13
	v_mov_b32_e32 v18, 0
	v_lshrrev_b32_e32 v167, 16, v166
	v_mov_b32_e32 v19, 0
	s_mov_b32 s8, exec_lo
	v_and_b32_e32 v6, 0xff, v167
	s_delay_alu instid0(VALU_DEP_2) | instskip(NEXT) | instid1(VALU_DEP_2)
	v_dual_mov_b32 v16, v18 :: v_dual_mov_b32 v17, v19
	v_cmpx_ne_u16_e32 0, v6
	s_cbranch_execz .LBB249_1013
; %bb.1006:                             ;   in Loop: Header=BB249_547 Depth=1
	v_bfrev_b32_e32 v16, 1
	v_mov_b32_e32 v17, 0
	s_mov_b32 s13, exec_lo
	v_cmpx_ne_u16_e32 0x80, v6
	s_cbranch_execz .LBB249_1012
; %bb.1007:                             ;   in Loop: Header=BB249_547 Depth=1
	v_mov_b32_e32 v16, 0x7f800001
	v_bfe_u32 v176, v166, 16, 7
	v_mov_b32_e32 v17, 0
	s_mov_b32 s15, exec_lo
	s_delay_alu instid0(VALU_DEP_2)
	v_cmpx_ne_u32_e32 0x7f, v176
	s_cbranch_execz .LBB249_1011
; %bb.1008:                             ;   in Loop: Header=BB249_547 Depth=1
	v_and_b32_e32 v6, 7, v167
	v_lshrrev_b32_e32 v16, 3, v176
	s_mov_b32 s16, exec_lo
	v_cmpx_gt_u32_e32 8, v176
; %bb.1009:                             ;   in Loop: Header=BB249_547 Depth=1
	s_delay_alu instid0(VALU_DEP_3) | instskip(NEXT) | instid1(VALU_DEP_1)
	v_clz_i32_u32_e32 v16, v6
	v_min_u32_e32 v16, 32, v16
	s_delay_alu instid0(VALU_DEP_1) | instskip(SKIP_1) | instid1(VALU_DEP_2)
	v_subrev_nc_u32_e32 v17, 28, v16
	v_sub_nc_u32_e32 v16, 29, v16
	v_lshlrev_b64 v[176:177], v17, v[6:7]
	s_delay_alu instid0(VALU_DEP_1)
	v_and_b32_e32 v6, 7, v176
; %bb.1010:                             ;   in Loop: Header=BB249_547 Depth=1
	s_or_b32 exec_lo, exec_lo, s16
	v_lshlrev_b32_e32 v17, 24, v167
	s_delay_alu instid0(VALU_DEP_2) | instskip(SKIP_1) | instid1(VALU_DEP_3)
	v_lshlrev_b32_e32 v6, 20, v6
	v_lshl_add_u32 v16, v16, 23, 0x3c000000
	v_and_b32_e32 v17, 0x80000000, v17
	s_delay_alu instid0(VALU_DEP_1) | instskip(NEXT) | instid1(VALU_DEP_1)
	v_or3_b32 v6, v6, v17, v16
	v_dual_mov_b32 v17, v7 :: v_dual_mov_b32 v16, v6
.LBB249_1011:                           ;   in Loop: Header=BB249_547 Depth=1
	s_or_b32 exec_lo, exec_lo, s15
.LBB249_1012:                           ;   in Loop: Header=BB249_547 Depth=1
	s_delay_alu instid0(SALU_CYCLE_1)
	s_or_b32 exec_lo, exec_lo, s13
.LBB249_1013:                           ;   in Loop: Header=BB249_547 Depth=1
	s_delay_alu instid0(SALU_CYCLE_1) | instskip(NEXT) | instid1(SALU_CYCLE_1)
	s_or_b32 exec_lo, exec_lo, s8
	s_mov_b32 s13, exec_lo
	v_cmpx_lt_u32_e32 0xffffff, v166
	s_cbranch_execz .LBB249_1021
; %bb.1014:                             ;   in Loop: Header=BB249_547 Depth=1
	v_lshrrev_b32_e32 v167, 24, v166
	v_dual_mov_b32 v19, s5 :: v_dual_mov_b32 v18, s4
	s_mov_b32 s15, exec_lo
	s_delay_alu instid0(VALU_DEP_2)
	v_cmpx_ne_u32_e32 0x80, v167
	s_cbranch_execz .LBB249_1020
; %bb.1015:                             ;   in Loop: Header=BB249_547 Depth=1
	s_mov_b32 s8, s4
	v_bfe_u32 v166, v166, 24, 7
	v_dual_mov_b32 v19, s9 :: v_dual_mov_b32 v18, s8
	s_mov_b32 s8, exec_lo
	s_delay_alu instid0(VALU_DEP_2)
	v_cmpx_ne_u32_e32 0x7f, v166
	s_cbranch_execz .LBB249_1019
; %bb.1016:                             ;   in Loop: Header=BB249_547 Depth=1
	v_and_b32_e32 v6, 7, v167
	v_lshrrev_b32_e32 v18, 3, v166
	s_mov_b32 s16, exec_lo
	v_cmpx_gt_u32_e32 8, v166
; %bb.1017:                             ;   in Loop: Header=BB249_547 Depth=1
	s_delay_alu instid0(VALU_DEP_3) | instskip(NEXT) | instid1(VALU_DEP_1)
	v_clz_i32_u32_e32 v18, v6
	v_min_u32_e32 v18, 32, v18
	s_delay_alu instid0(VALU_DEP_1) | instskip(SKIP_1) | instid1(VALU_DEP_2)
	v_subrev_nc_u32_e32 v19, 28, v18
	v_sub_nc_u32_e32 v18, 29, v18
	v_lshlrev_b64 v[176:177], v19, v[6:7]
	s_delay_alu instid0(VALU_DEP_1)
	v_and_b32_e32 v6, 7, v176
; %bb.1018:                             ;   in Loop: Header=BB249_547 Depth=1
	s_or_b32 exec_lo, exec_lo, s16
	v_lshlrev_b32_e32 v19, 24, v167
	s_delay_alu instid0(VALU_DEP_2) | instskip(SKIP_1) | instid1(VALU_DEP_3)
	v_lshlrev_b32_e32 v6, 20, v6
	v_lshl_add_u32 v18, v18, 23, 0x3c000000
	v_and_b32_e32 v19, 0x80000000, v19
	s_delay_alu instid0(VALU_DEP_1)
	v_or3_b32 v19, v6, v19, v18
	v_mov_b32_e32 v18, v7
.LBB249_1019:                           ;   in Loop: Header=BB249_547 Depth=1
	s_or_b32 exec_lo, exec_lo, s8
.LBB249_1020:                           ;   in Loop: Header=BB249_547 Depth=1
	s_delay_alu instid0(SALU_CYCLE_1)
	s_or_b32 exec_lo, exec_lo, s15
.LBB249_1021:                           ;   in Loop: Header=BB249_547 Depth=1
	s_delay_alu instid0(SALU_CYCLE_1) | instskip(SKIP_4) | instid1(VALU_DEP_3)
	s_or_b32 exec_lo, exec_lo, s13
	v_or_b32_e32 v5, v15, v5
	v_or_b32_e32 v4, v14, v4
	;; [unrolled: 1-line block ×4, first 2 shown]
	v_dual_mul_f32 v177, v54, v5 :: v_dual_mul_f32 v176, v51, v4
	s_delay_alu instid0(VALU_DEP_3) | instskip(NEXT) | instid1(VALU_DEP_3)
	v_mul_f32_e32 v166, v54, v6
	v_mul_f32_e32 v167, v51, v14
	s_and_saveexec_b32 s8, vcc_lo
; %bb.1022:                             ;   in Loop: Header=BB249_547 Depth=1
	v_cmp_lt_i32_e64 s1, v67, v30
	s_delay_alu instid0(VALU_DEP_1) | instskip(SKIP_1) | instid1(VALU_DEP_1)
	v_cndmask_b32_e64 v176, 0, v176, s1
	v_cmp_lt_i32_e64 s1, v69, v30
	v_cndmask_b32_e64 v177, 0, v177, s1
	v_cmp_lt_i32_e64 s1, v68, v30
	s_delay_alu instid0(VALU_DEP_1) | instskip(SKIP_1) | instid1(VALU_DEP_1)
	v_cndmask_b32_e64 v167, 0, v167, s1
	v_cmp_lt_i32_e64 s1, v21, v30
	v_cndmask_b32_e64 v166, 0, v166, s1
; %bb.1023:                             ;   in Loop: Header=BB249_547 Depth=1
	s_or_b32 exec_lo, exec_lo, s8
	flat_load_b32 v178, v[12:13] offset:1792
	v_mov_b32_e32 v14, 0
	v_mov_b32_e32 v15, 0
	s_mov_b32 s8, exec_lo
	s_waitcnt vmcnt(0) lgkmcnt(0)
	v_and_b32_e32 v6, 0xff, v178
	s_delay_alu instid0(VALU_DEP_2) | instskip(NEXT) | instid1(VALU_DEP_2)
	v_dual_mov_b32 v4, v14 :: v_dual_mov_b32 v5, v15
	v_cmpx_ne_u16_e32 0, v6
	s_cbranch_execz .LBB249_1031
; %bb.1024:                             ;   in Loop: Header=BB249_547 Depth=1
	v_bfrev_b32_e32 v4, 1
	v_mov_b32_e32 v5, 0
	s_mov_b32 s13, exec_lo
	v_cmpx_ne_u16_e32 0x80, v6
	s_cbranch_execz .LBB249_1030
; %bb.1025:                             ;   in Loop: Header=BB249_547 Depth=1
	v_mov_b32_e32 v4, 0x7f800001
	v_dual_mov_b32 v5, 0 :: v_dual_and_b32 v16, 0x7f, v178
	s_mov_b32 s15, exec_lo
	s_delay_alu instid0(VALU_DEP_1)
	v_cmpx_ne_u32_e32 0x7f, v16
	s_cbranch_execz .LBB249_1029
; %bb.1026:                             ;   in Loop: Header=BB249_547 Depth=1
	v_and_b32_e32 v6, 7, v178
	v_lshrrev_b32_e32 v4, 3, v16
	s_mov_b32 s16, exec_lo
	v_cmpx_gt_u32_e32 8, v16
; %bb.1027:                             ;   in Loop: Header=BB249_547 Depth=1
	s_delay_alu instid0(VALU_DEP_3) | instskip(NEXT) | instid1(VALU_DEP_1)
	v_clz_i32_u32_e32 v4, v6
	v_min_u32_e32 v4, 32, v4
	s_delay_alu instid0(VALU_DEP_1) | instskip(SKIP_1) | instid1(VALU_DEP_2)
	v_subrev_nc_u32_e32 v5, 28, v4
	v_sub_nc_u32_e32 v4, 29, v4
	v_lshlrev_b64 v[5:6], v5, v[6:7]
	s_delay_alu instid0(VALU_DEP_1)
	v_and_b32_e32 v6, 7, v5
; %bb.1028:                             ;   in Loop: Header=BB249_547 Depth=1
	s_or_b32 exec_lo, exec_lo, s16
	v_lshlrev_b32_e32 v5, 24, v178
	s_delay_alu instid0(VALU_DEP_2) | instskip(SKIP_1) | instid1(VALU_DEP_3)
	v_lshlrev_b32_e32 v6, 20, v6
	v_lshl_add_u32 v4, v4, 23, 0x3c000000
	v_and_b32_e32 v5, 0x80000000, v5
	s_delay_alu instid0(VALU_DEP_1) | instskip(NEXT) | instid1(VALU_DEP_1)
	v_or3_b32 v6, v6, v5, v4
	v_dual_mov_b32 v4, v6 :: v_dual_mov_b32 v5, v7
.LBB249_1029:                           ;   in Loop: Header=BB249_547 Depth=1
	s_or_b32 exec_lo, exec_lo, s15
.LBB249_1030:                           ;   in Loop: Header=BB249_547 Depth=1
	s_delay_alu instid0(SALU_CYCLE_1)
	s_or_b32 exec_lo, exec_lo, s13
.LBB249_1031:                           ;   in Loop: Header=BB249_547 Depth=1
	s_delay_alu instid0(SALU_CYCLE_1) | instskip(SKIP_2) | instid1(VALU_DEP_1)
	s_or_b32 exec_lo, exec_lo, s8
	v_lshrrev_b16 v6, 8, v178
	s_mov_b32 s13, exec_lo
	v_cmpx_ne_u16_e32 0, v6
	s_cbranch_execz .LBB249_1039
; %bb.1032:                             ;   in Loop: Header=BB249_547 Depth=1
	v_dual_mov_b32 v15, s5 :: v_dual_mov_b32 v14, s4
	s_mov_b32 s15, exec_lo
	v_cmpx_ne_u16_e32 0x80, v6
	s_cbranch_execz .LBB249_1038
; %bb.1033:                             ;   in Loop: Header=BB249_547 Depth=1
	s_mov_b32 s8, s4
	v_dual_mov_b32 v15, s9 :: v_dual_and_b32 v6, 0xffff, v6
	v_mov_b32_e32 v14, s8
	s_mov_b32 s8, exec_lo
	s_delay_alu instid0(VALU_DEP_2) | instskip(NEXT) | instid1(VALU_DEP_1)
	v_and_b32_e32 v16, 0x7f, v6
	v_cmpx_ne_u32_e32 0x7f, v16
	s_cbranch_execz .LBB249_1037
; %bb.1034:                             ;   in Loop: Header=BB249_547 Depth=1
	v_and_b32_e32 v6, 7, v6
	v_lshrrev_b32_e32 v14, 3, v16
	s_mov_b32 s16, exec_lo
	v_cmpx_gt_u32_e32 8, v16
; %bb.1035:                             ;   in Loop: Header=BB249_547 Depth=1
	s_delay_alu instid0(VALU_DEP_3) | instskip(NEXT) | instid1(VALU_DEP_1)
	v_clz_i32_u32_e32 v14, v6
	v_min_u32_e32 v14, 32, v14
	s_delay_alu instid0(VALU_DEP_1) | instskip(SKIP_1) | instid1(VALU_DEP_2)
	v_subrev_nc_u32_e32 v15, 28, v14
	v_sub_nc_u32_e32 v14, 29, v14
	v_lshlrev_b64 v[15:16], v15, v[6:7]
	s_delay_alu instid0(VALU_DEP_1)
	v_and_b32_e32 v6, 7, v15
; %bb.1036:                             ;   in Loop: Header=BB249_547 Depth=1
	s_or_b32 exec_lo, exec_lo, s16
	v_lshlrev_b32_e32 v15, 16, v178
	s_delay_alu instid0(VALU_DEP_2) | instskip(SKIP_1) | instid1(VALU_DEP_3)
	v_lshlrev_b32_e32 v6, 20, v6
	v_lshl_add_u32 v14, v14, 23, 0x3c000000
	v_and_b32_e32 v15, 0x80000000, v15
	s_delay_alu instid0(VALU_DEP_1)
	v_or3_b32 v15, v6, v15, v14
	v_mov_b32_e32 v14, v7
.LBB249_1037:                           ;   in Loop: Header=BB249_547 Depth=1
	s_or_b32 exec_lo, exec_lo, s8
.LBB249_1038:                           ;   in Loop: Header=BB249_547 Depth=1
	s_delay_alu instid0(SALU_CYCLE_1)
	s_or_b32 exec_lo, exec_lo, s15
.LBB249_1039:                           ;   in Loop: Header=BB249_547 Depth=1
	s_delay_alu instid0(SALU_CYCLE_1) | instskip(SKIP_4) | instid1(VALU_DEP_2)
	s_or_b32 exec_lo, exec_lo, s13
	v_mov_b32_e32 v18, 0
	v_lshrrev_b32_e32 v179, 16, v178
	v_mov_b32_e32 v19, 0
	s_mov_b32 s8, exec_lo
	v_and_b32_e32 v6, 0xff, v179
	s_delay_alu instid0(VALU_DEP_2) | instskip(NEXT) | instid1(VALU_DEP_2)
	v_dual_mov_b32 v16, v18 :: v_dual_mov_b32 v17, v19
	v_cmpx_ne_u16_e32 0, v6
	s_cbranch_execz .LBB249_1047
; %bb.1040:                             ;   in Loop: Header=BB249_547 Depth=1
	v_bfrev_b32_e32 v16, 1
	v_mov_b32_e32 v17, 0
	s_mov_b32 s13, exec_lo
	v_cmpx_ne_u16_e32 0x80, v6
	s_cbranch_execz .LBB249_1046
; %bb.1041:                             ;   in Loop: Header=BB249_547 Depth=1
	v_mov_b32_e32 v16, 0x7f800001
	v_bfe_u32 v180, v178, 16, 7
	v_mov_b32_e32 v17, 0
	s_mov_b32 s15, exec_lo
	s_delay_alu instid0(VALU_DEP_2)
	v_cmpx_ne_u32_e32 0x7f, v180
	s_cbranch_execz .LBB249_1045
; %bb.1042:                             ;   in Loop: Header=BB249_547 Depth=1
	v_and_b32_e32 v6, 7, v179
	v_lshrrev_b32_e32 v16, 3, v180
	s_mov_b32 s16, exec_lo
	v_cmpx_gt_u32_e32 8, v180
; %bb.1043:                             ;   in Loop: Header=BB249_547 Depth=1
	s_delay_alu instid0(VALU_DEP_3) | instskip(NEXT) | instid1(VALU_DEP_1)
	v_clz_i32_u32_e32 v16, v6
	v_min_u32_e32 v16, 32, v16
	s_delay_alu instid0(VALU_DEP_1) | instskip(SKIP_1) | instid1(VALU_DEP_2)
	v_subrev_nc_u32_e32 v17, 28, v16
	v_sub_nc_u32_e32 v16, 29, v16
	v_lshlrev_b64 v[180:181], v17, v[6:7]
	s_delay_alu instid0(VALU_DEP_1)
	v_and_b32_e32 v6, 7, v180
; %bb.1044:                             ;   in Loop: Header=BB249_547 Depth=1
	s_or_b32 exec_lo, exec_lo, s16
	v_lshlrev_b32_e32 v17, 24, v179
	s_delay_alu instid0(VALU_DEP_2) | instskip(SKIP_1) | instid1(VALU_DEP_3)
	v_lshlrev_b32_e32 v6, 20, v6
	v_lshl_add_u32 v16, v16, 23, 0x3c000000
	v_and_b32_e32 v17, 0x80000000, v17
	s_delay_alu instid0(VALU_DEP_1) | instskip(NEXT) | instid1(VALU_DEP_1)
	v_or3_b32 v6, v6, v17, v16
	v_dual_mov_b32 v17, v7 :: v_dual_mov_b32 v16, v6
.LBB249_1045:                           ;   in Loop: Header=BB249_547 Depth=1
	s_or_b32 exec_lo, exec_lo, s15
.LBB249_1046:                           ;   in Loop: Header=BB249_547 Depth=1
	s_delay_alu instid0(SALU_CYCLE_1)
	s_or_b32 exec_lo, exec_lo, s13
.LBB249_1047:                           ;   in Loop: Header=BB249_547 Depth=1
	s_delay_alu instid0(SALU_CYCLE_1) | instskip(NEXT) | instid1(SALU_CYCLE_1)
	s_or_b32 exec_lo, exec_lo, s8
	s_mov_b32 s13, exec_lo
	v_cmpx_lt_u32_e32 0xffffff, v178
	s_cbranch_execz .LBB249_1055
; %bb.1048:                             ;   in Loop: Header=BB249_547 Depth=1
	v_lshrrev_b32_e32 v179, 24, v178
	v_dual_mov_b32 v19, s5 :: v_dual_mov_b32 v18, s4
	s_mov_b32 s15, exec_lo
	s_delay_alu instid0(VALU_DEP_2)
	v_cmpx_ne_u32_e32 0x80, v179
	s_cbranch_execz .LBB249_1054
; %bb.1049:                             ;   in Loop: Header=BB249_547 Depth=1
	s_mov_b32 s8, s4
	v_bfe_u32 v178, v178, 24, 7
	v_dual_mov_b32 v19, s9 :: v_dual_mov_b32 v18, s8
	s_mov_b32 s8, exec_lo
	s_delay_alu instid0(VALU_DEP_2)
	v_cmpx_ne_u32_e32 0x7f, v178
	s_cbranch_execz .LBB249_1053
; %bb.1050:                             ;   in Loop: Header=BB249_547 Depth=1
	v_and_b32_e32 v6, 7, v179
	v_lshrrev_b32_e32 v18, 3, v178
	s_mov_b32 s16, exec_lo
	v_cmpx_gt_u32_e32 8, v178
; %bb.1051:                             ;   in Loop: Header=BB249_547 Depth=1
	s_delay_alu instid0(VALU_DEP_3) | instskip(NEXT) | instid1(VALU_DEP_1)
	v_clz_i32_u32_e32 v18, v6
	v_min_u32_e32 v18, 32, v18
	s_delay_alu instid0(VALU_DEP_1) | instskip(SKIP_1) | instid1(VALU_DEP_2)
	v_subrev_nc_u32_e32 v19, 28, v18
	v_sub_nc_u32_e32 v18, 29, v18
	v_lshlrev_b64 v[180:181], v19, v[6:7]
	s_delay_alu instid0(VALU_DEP_1)
	v_and_b32_e32 v6, 7, v180
; %bb.1052:                             ;   in Loop: Header=BB249_547 Depth=1
	s_or_b32 exec_lo, exec_lo, s16
	v_lshlrev_b32_e32 v19, 24, v179
	s_delay_alu instid0(VALU_DEP_2) | instskip(SKIP_1) | instid1(VALU_DEP_3)
	v_lshlrev_b32_e32 v6, 20, v6
	v_lshl_add_u32 v18, v18, 23, 0x3c000000
	v_and_b32_e32 v19, 0x80000000, v19
	s_delay_alu instid0(VALU_DEP_1)
	v_or3_b32 v19, v6, v19, v18
	v_mov_b32_e32 v18, v7
.LBB249_1053:                           ;   in Loop: Header=BB249_547 Depth=1
	s_or_b32 exec_lo, exec_lo, s8
.LBB249_1054:                           ;   in Loop: Header=BB249_547 Depth=1
	s_delay_alu instid0(SALU_CYCLE_1)
	s_or_b32 exec_lo, exec_lo, s15
.LBB249_1055:                           ;   in Loop: Header=BB249_547 Depth=1
	s_delay_alu instid0(SALU_CYCLE_1) | instskip(SKIP_4) | instid1(VALU_DEP_3)
	s_or_b32 exec_lo, exec_lo, s13
	v_or_b32_e32 v5, v15, v5
	v_or_b32_e32 v4, v14, v4
	v_or_b32_e32 v6, v19, v17
	v_or_b32_e32 v14, v18, v16
	v_dual_mul_f32 v179, v54, v5 :: v_dual_mul_f32 v178, v51, v4
	s_delay_alu instid0(VALU_DEP_3) | instskip(NEXT) | instid1(VALU_DEP_3)
	v_mul_f32_e32 v18, v54, v6
	v_mul_f32_e32 v19, v51, v14
	s_and_saveexec_b32 s8, vcc_lo
; %bb.1056:                             ;   in Loop: Header=BB249_547 Depth=1
	v_cmp_lt_i32_e64 s1, v67, v30
	s_delay_alu instid0(VALU_DEP_1) | instskip(SKIP_1) | instid1(VALU_DEP_1)
	v_cndmask_b32_e64 v178, 0, v178, s1
	v_cmp_lt_i32_e64 s1, v69, v30
	v_cndmask_b32_e64 v179, 0, v179, s1
	v_cmp_lt_i32_e64 s1, v68, v30
	s_delay_alu instid0(VALU_DEP_1) | instskip(SKIP_1) | instid1(VALU_DEP_1)
	v_cndmask_b32_e64 v19, 0, v19, s1
	v_cmp_lt_i32_e64 s1, v21, v30
	v_cndmask_b32_e64 v18, 0, v18, s1
; %bb.1057:                             ;   in Loop: Header=BB249_547 Depth=1
	s_or_b32 exec_lo, exec_lo, s8
	flat_load_b32 v180, v[12:13] offset:1920
	v_mov_b32_e32 v12, 0
	v_mov_b32_e32 v13, 0
	s_mov_b32 s8, exec_lo
	s_waitcnt vmcnt(0) lgkmcnt(0)
	v_and_b32_e32 v6, 0xff, v180
	s_delay_alu instid0(VALU_DEP_2) | instskip(NEXT) | instid1(VALU_DEP_2)
	v_dual_mov_b32 v4, v12 :: v_dual_mov_b32 v5, v13
	v_cmpx_ne_u16_e32 0, v6
	s_cbranch_execz .LBB249_1065
; %bb.1058:                             ;   in Loop: Header=BB249_547 Depth=1
	v_bfrev_b32_e32 v4, 1
	v_mov_b32_e32 v5, 0
	s_mov_b32 s13, exec_lo
	v_cmpx_ne_u16_e32 0x80, v6
	s_cbranch_execz .LBB249_1064
; %bb.1059:                             ;   in Loop: Header=BB249_547 Depth=1
	v_mov_b32_e32 v4, 0x7f800001
	v_dual_mov_b32 v5, 0 :: v_dual_and_b32 v14, 0x7f, v180
	s_mov_b32 s15, exec_lo
	s_delay_alu instid0(VALU_DEP_1)
	v_cmpx_ne_u32_e32 0x7f, v14
	s_cbranch_execz .LBB249_1063
; %bb.1060:                             ;   in Loop: Header=BB249_547 Depth=1
	v_and_b32_e32 v6, 7, v180
	v_lshrrev_b32_e32 v4, 3, v14
	s_mov_b32 s16, exec_lo
	v_cmpx_gt_u32_e32 8, v14
; %bb.1061:                             ;   in Loop: Header=BB249_547 Depth=1
	s_delay_alu instid0(VALU_DEP_3) | instskip(NEXT) | instid1(VALU_DEP_1)
	v_clz_i32_u32_e32 v4, v6
	v_min_u32_e32 v4, 32, v4
	s_delay_alu instid0(VALU_DEP_1) | instskip(SKIP_1) | instid1(VALU_DEP_2)
	v_subrev_nc_u32_e32 v5, 28, v4
	v_sub_nc_u32_e32 v4, 29, v4
	v_lshlrev_b64 v[5:6], v5, v[6:7]
	s_delay_alu instid0(VALU_DEP_1)
	v_and_b32_e32 v6, 7, v5
; %bb.1062:                             ;   in Loop: Header=BB249_547 Depth=1
	s_or_b32 exec_lo, exec_lo, s16
	v_lshlrev_b32_e32 v5, 24, v180
	s_delay_alu instid0(VALU_DEP_2) | instskip(SKIP_1) | instid1(VALU_DEP_3)
	v_lshlrev_b32_e32 v6, 20, v6
	v_lshl_add_u32 v4, v4, 23, 0x3c000000
	v_and_b32_e32 v5, 0x80000000, v5
	s_delay_alu instid0(VALU_DEP_1) | instskip(NEXT) | instid1(VALU_DEP_1)
	v_or3_b32 v6, v6, v5, v4
	v_dual_mov_b32 v4, v6 :: v_dual_mov_b32 v5, v7
.LBB249_1063:                           ;   in Loop: Header=BB249_547 Depth=1
	s_or_b32 exec_lo, exec_lo, s15
.LBB249_1064:                           ;   in Loop: Header=BB249_547 Depth=1
	s_delay_alu instid0(SALU_CYCLE_1)
	s_or_b32 exec_lo, exec_lo, s13
.LBB249_1065:                           ;   in Loop: Header=BB249_547 Depth=1
	s_delay_alu instid0(SALU_CYCLE_1) | instskip(SKIP_2) | instid1(VALU_DEP_1)
	s_or_b32 exec_lo, exec_lo, s8
	v_lshrrev_b16 v6, 8, v180
	s_mov_b32 s13, exec_lo
	v_cmpx_ne_u16_e32 0, v6
	s_cbranch_execz .LBB249_1073
; %bb.1066:                             ;   in Loop: Header=BB249_547 Depth=1
	v_dual_mov_b32 v13, s5 :: v_dual_mov_b32 v12, s4
	s_mov_b32 s15, exec_lo
	v_cmpx_ne_u16_e32 0x80, v6
	s_cbranch_execz .LBB249_1072
; %bb.1067:                             ;   in Loop: Header=BB249_547 Depth=1
	s_mov_b32 s8, s4
	v_dual_mov_b32 v13, s9 :: v_dual_and_b32 v6, 0xffff, v6
	v_mov_b32_e32 v12, s8
	s_mov_b32 s8, exec_lo
	s_delay_alu instid0(VALU_DEP_2) | instskip(NEXT) | instid1(VALU_DEP_1)
	v_and_b32_e32 v14, 0x7f, v6
	v_cmpx_ne_u32_e32 0x7f, v14
	s_cbranch_execz .LBB249_1071
; %bb.1068:                             ;   in Loop: Header=BB249_547 Depth=1
	v_and_b32_e32 v6, 7, v6
	v_lshrrev_b32_e32 v12, 3, v14
	s_mov_b32 s16, exec_lo
	v_cmpx_gt_u32_e32 8, v14
; %bb.1069:                             ;   in Loop: Header=BB249_547 Depth=1
	s_delay_alu instid0(VALU_DEP_3) | instskip(NEXT) | instid1(VALU_DEP_1)
	v_clz_i32_u32_e32 v12, v6
	v_min_u32_e32 v12, 32, v12
	s_delay_alu instid0(VALU_DEP_1) | instskip(SKIP_1) | instid1(VALU_DEP_2)
	v_subrev_nc_u32_e32 v13, 28, v12
	v_sub_nc_u32_e32 v12, 29, v12
	v_lshlrev_b64 v[13:14], v13, v[6:7]
	s_delay_alu instid0(VALU_DEP_1)
	v_and_b32_e32 v6, 7, v13
; %bb.1070:                             ;   in Loop: Header=BB249_547 Depth=1
	s_or_b32 exec_lo, exec_lo, s16
	v_lshlrev_b32_e32 v13, 16, v180
	s_delay_alu instid0(VALU_DEP_2) | instskip(SKIP_1) | instid1(VALU_DEP_3)
	v_lshlrev_b32_e32 v6, 20, v6
	v_lshl_add_u32 v12, v12, 23, 0x3c000000
	v_and_b32_e32 v13, 0x80000000, v13
	s_delay_alu instid0(VALU_DEP_1)
	v_or3_b32 v13, v6, v13, v12
	v_mov_b32_e32 v12, v7
.LBB249_1071:                           ;   in Loop: Header=BB249_547 Depth=1
	s_or_b32 exec_lo, exec_lo, s8
.LBB249_1072:                           ;   in Loop: Header=BB249_547 Depth=1
	s_delay_alu instid0(SALU_CYCLE_1)
	s_or_b32 exec_lo, exec_lo, s15
.LBB249_1073:                           ;   in Loop: Header=BB249_547 Depth=1
	s_delay_alu instid0(SALU_CYCLE_1) | instskip(SKIP_4) | instid1(VALU_DEP_2)
	s_or_b32 exec_lo, exec_lo, s13
	v_mov_b32_e32 v16, 0
	v_lshrrev_b32_e32 v181, 16, v180
	v_mov_b32_e32 v17, 0
	s_mov_b32 s8, exec_lo
	v_and_b32_e32 v6, 0xff, v181
	s_delay_alu instid0(VALU_DEP_2) | instskip(NEXT) | instid1(VALU_DEP_2)
	v_dual_mov_b32 v14, v16 :: v_dual_mov_b32 v15, v17
	v_cmpx_ne_u16_e32 0, v6
	s_cbranch_execz .LBB249_1081
; %bb.1074:                             ;   in Loop: Header=BB249_547 Depth=1
	v_bfrev_b32_e32 v14, 1
	v_mov_b32_e32 v15, 0
	s_mov_b32 s13, exec_lo
	v_cmpx_ne_u16_e32 0x80, v6
	s_cbranch_execz .LBB249_1080
; %bb.1075:                             ;   in Loop: Header=BB249_547 Depth=1
	v_mov_b32_e32 v14, 0x7f800001
	v_bfe_u32 v182, v180, 16, 7
	v_mov_b32_e32 v15, 0
	s_mov_b32 s15, exec_lo
	s_delay_alu instid0(VALU_DEP_2)
	v_cmpx_ne_u32_e32 0x7f, v182
	s_cbranch_execz .LBB249_1079
; %bb.1076:                             ;   in Loop: Header=BB249_547 Depth=1
	v_and_b32_e32 v6, 7, v181
	v_lshrrev_b32_e32 v14, 3, v182
	s_mov_b32 s16, exec_lo
	v_cmpx_gt_u32_e32 8, v182
; %bb.1077:                             ;   in Loop: Header=BB249_547 Depth=1
	s_delay_alu instid0(VALU_DEP_3) | instskip(NEXT) | instid1(VALU_DEP_1)
	v_clz_i32_u32_e32 v14, v6
	v_min_u32_e32 v14, 32, v14
	s_delay_alu instid0(VALU_DEP_1) | instskip(SKIP_1) | instid1(VALU_DEP_2)
	v_subrev_nc_u32_e32 v15, 28, v14
	v_sub_nc_u32_e32 v14, 29, v14
	v_lshlrev_b64 v[182:183], v15, v[6:7]
	s_delay_alu instid0(VALU_DEP_1)
	v_and_b32_e32 v6, 7, v182
; %bb.1078:                             ;   in Loop: Header=BB249_547 Depth=1
	s_or_b32 exec_lo, exec_lo, s16
	v_lshlrev_b32_e32 v15, 24, v181
	s_delay_alu instid0(VALU_DEP_2) | instskip(SKIP_1) | instid1(VALU_DEP_3)
	v_lshlrev_b32_e32 v6, 20, v6
	v_lshl_add_u32 v14, v14, 23, 0x3c000000
	v_and_b32_e32 v15, 0x80000000, v15
	s_delay_alu instid0(VALU_DEP_1) | instskip(NEXT) | instid1(VALU_DEP_1)
	v_or3_b32 v6, v6, v15, v14
	v_dual_mov_b32 v15, v7 :: v_dual_mov_b32 v14, v6
.LBB249_1079:                           ;   in Loop: Header=BB249_547 Depth=1
	s_or_b32 exec_lo, exec_lo, s15
.LBB249_1080:                           ;   in Loop: Header=BB249_547 Depth=1
	s_delay_alu instid0(SALU_CYCLE_1)
	s_or_b32 exec_lo, exec_lo, s13
.LBB249_1081:                           ;   in Loop: Header=BB249_547 Depth=1
	s_delay_alu instid0(SALU_CYCLE_1) | instskip(NEXT) | instid1(SALU_CYCLE_1)
	s_or_b32 exec_lo, exec_lo, s8
	s_mov_b32 s13, exec_lo
	v_cmpx_lt_u32_e32 0xffffff, v180
	s_cbranch_execz .LBB249_1089
; %bb.1082:                             ;   in Loop: Header=BB249_547 Depth=1
	v_lshrrev_b32_e32 v181, 24, v180
	v_dual_mov_b32 v17, s5 :: v_dual_mov_b32 v16, s4
	s_mov_b32 s15, exec_lo
	s_delay_alu instid0(VALU_DEP_2)
	v_cmpx_ne_u32_e32 0x80, v181
	s_cbranch_execz .LBB249_1088
; %bb.1083:                             ;   in Loop: Header=BB249_547 Depth=1
	s_mov_b32 s8, s4
	v_bfe_u32 v180, v180, 24, 7
	v_dual_mov_b32 v17, s9 :: v_dual_mov_b32 v16, s8
	s_mov_b32 s8, exec_lo
	s_delay_alu instid0(VALU_DEP_2)
	v_cmpx_ne_u32_e32 0x7f, v180
	s_cbranch_execz .LBB249_1087
; %bb.1084:                             ;   in Loop: Header=BB249_547 Depth=1
	v_and_b32_e32 v6, 7, v181
	v_lshrrev_b32_e32 v16, 3, v180
	s_mov_b32 s16, exec_lo
	v_cmpx_gt_u32_e32 8, v180
; %bb.1085:                             ;   in Loop: Header=BB249_547 Depth=1
	s_delay_alu instid0(VALU_DEP_3) | instskip(NEXT) | instid1(VALU_DEP_1)
	v_clz_i32_u32_e32 v16, v6
	v_min_u32_e32 v16, 32, v16
	s_delay_alu instid0(VALU_DEP_1) | instskip(SKIP_1) | instid1(VALU_DEP_2)
	v_subrev_nc_u32_e32 v17, 28, v16
	v_sub_nc_u32_e32 v16, 29, v16
	v_lshlrev_b64 v[182:183], v17, v[6:7]
	s_delay_alu instid0(VALU_DEP_1)
	v_and_b32_e32 v6, 7, v182
; %bb.1086:                             ;   in Loop: Header=BB249_547 Depth=1
	s_or_b32 exec_lo, exec_lo, s16
	v_lshlrev_b32_e32 v17, 24, v181
	s_delay_alu instid0(VALU_DEP_2) | instskip(SKIP_1) | instid1(VALU_DEP_3)
	v_lshlrev_b32_e32 v6, 20, v6
	v_lshl_add_u32 v16, v16, 23, 0x3c000000
	v_and_b32_e32 v17, 0x80000000, v17
	s_delay_alu instid0(VALU_DEP_1)
	v_or3_b32 v17, v6, v17, v16
	v_mov_b32_e32 v16, v7
.LBB249_1087:                           ;   in Loop: Header=BB249_547 Depth=1
	s_or_b32 exec_lo, exec_lo, s8
.LBB249_1088:                           ;   in Loop: Header=BB249_547 Depth=1
	s_delay_alu instid0(SALU_CYCLE_1)
	s_or_b32 exec_lo, exec_lo, s15
.LBB249_1089:                           ;   in Loop: Header=BB249_547 Depth=1
	s_delay_alu instid0(SALU_CYCLE_1) | instskip(SKIP_4) | instid1(VALU_DEP_4)
	s_or_b32 exec_lo, exec_lo, s13
	v_or_b32_e32 v5, v13, v5
	v_or_b32_e32 v4, v12, v4
	;; [unrolled: 1-line block ×4, first 2 shown]
	v_mul_f32_e32 v12, v54, v5
	s_delay_alu instid0(VALU_DEP_4) | instskip(NEXT) | instid1(VALU_DEP_3)
	v_mul_f32_e32 v6, v51, v4
	v_dual_mul_f32 v4, v54, v13 :: v_dual_mul_f32 v5, v51, v14
	s_and_saveexec_b32 s1, vcc_lo
	s_cbranch_execz .LBB249_546
; %bb.1090:                             ;   in Loop: Header=BB249_547 Depth=1
	v_cmp_lt_i32_e32 vcc_lo, v67, v30
	v_cndmask_b32_e32 v6, 0, v6, vcc_lo
	v_cmp_lt_i32_e32 vcc_lo, v69, v30
	v_cndmask_b32_e32 v12, 0, v12, vcc_lo
	v_cmp_lt_i32_e32 vcc_lo, v68, v30
	v_cndmask_b32_e32 v5, 0, v5, vcc_lo
	v_cmp_lt_i32_e32 vcc_lo, v21, v30
	v_cndmask_b32_e32 v4, 0, v4, vcc_lo
	s_branch .LBB249_546
.LBB249_1091:
	s_or_b32 exec_lo, exec_lo, s12
	v_dual_mov_b32 v0, s10 :: v_dual_mov_b32 v1, s11
	v_dual_mov_b32 v51, v40 :: v_dual_mov_b32 v52, v41
	v_mov_b32_e32 v53, v43
.LBB249_1092:
	s_or_b32 exec_lo, exec_lo, s3
	s_delay_alu instid0(VALU_DEP_3)
	v_lshlrev_b64 v[0:1], 2, v[0:1]
	s_getpc_b64 s[4:5]
	s_add_u32 s4, s4, llvm.amdgcn.dynlds.offset.table@rel32@lo+4
	s_addc_u32 s5, s5, llvm.amdgcn.dynlds.offset.table@rel32@hi+12
	s_waitcnt lgkmcnt(0)
	s_waitcnt_vscnt null, 0x0
	s_barrier
	buffer_gl0_inv
	ds_bpermute_b32 v2, v23, v49
	v_add_co_u32 v0, vcc_lo, v0, s4
	v_add_co_ci_u32_e32 v1, vcc_lo, s5, v1, vcc_lo
	ds_bpermute_b32 v3, v23, v48
	ds_bpermute_b32 v4, v23, v38
	;; [unrolled: 1-line block ×3, first 2 shown]
	global_load_b32 v16, v[0:1], off
	ds_bpermute_b32 v0, v23, v39
	ds_bpermute_b32 v1, v23, v50
	ds_bpermute_b32 v6, v23, v36
	ds_bpermute_b32 v7, v23, v35
	ds_bpermute_b32 v8, v23, v34
	ds_bpermute_b32 v9, v23, v33
	ds_bpermute_b32 v10, v23, v32
	ds_bpermute_b32 v11, v23, v31
	ds_bpermute_b32 v12, v23, v29
	ds_bpermute_b32 v13, v23, v28
	ds_bpermute_b32 v14, v23, v45
	ds_bpermute_b32 v15, v23, v44
	s_waitcnt lgkmcnt(15)
	v_add_f32_e32 v2, v49, v2
	v_lshrrev_b32_e32 v17, 2, v22
	s_mov_b32 s1, exec_lo
	s_waitcnt lgkmcnt(13)
	v_dual_add_f32 v3, v48, v3 :: v_dual_add_f32 v4, v38, v4
	s_waitcnt lgkmcnt(12)
	v_add_f32_e32 v5, v37, v5
	ds_bpermute_b32 v20, v24, v2
	s_waitcnt lgkmcnt(11)
	v_dual_add_f32 v0, v39, v0 :: v_dual_add_f32 v1, v50, v1
	s_waitcnt lgkmcnt(9)
	v_dual_add_f32 v6, v36, v6 :: v_dual_add_f32 v7, v35, v7
	;; [unrolled: 2-line block ×6, first 2 shown]
	ds_bpermute_b32 v18, v24, v0
	ds_bpermute_b32 v19, v24, v1
	;; [unrolled: 1-line block ×15, first 2 shown]
	v_and_b32_e32 v22, 0x3c3, v42
	s_waitcnt lgkmcnt(15)
	v_add_f32_e32 v2, v2, v20
	s_waitcnt lgkmcnt(13)
	v_dual_add_f32 v0, v0, v18 :: v_dual_add_f32 v1, v1, v19
	s_waitcnt lgkmcnt(11)
	v_dual_add_f32 v3, v3, v21 :: v_dual_add_f32 v4, v4, v23
	;; [unrolled: 2-line block ×7, first 2 shown]
	s_waitcnt lgkmcnt(0)
	v_add_f32_e32 v15, v15, v24
	s_waitcnt vmcnt(0)
	v_lshl_add_u32 v18, v53, 9, v16
	v_cmpx_eq_u32_e32 64, v22
	s_cbranch_execz .LBB249_1094
; %bb.1093:
	v_lshlrev_b32_e32 v19, 2, v17
	s_delay_alu instid0(VALU_DEP_1)
	v_add3_u32 v19, v18, v19, 0xfffffc00
	ds_store_2addr_b32 v19, v0, v1 offset1:8
	ds_store_2addr_b32 v19, v2, v3 offset0:16 offset1:24
	ds_store_2addr_b32 v19, v4, v5 offset0:32 offset1:40
	;; [unrolled: 1-line block ×7, first 2 shown]
.LBB249_1094:
	s_or_b32 exec_lo, exec_lo, s1
	v_cmp_eq_u32_e32 vcc_lo, 0, v25
	s_waitcnt lgkmcnt(0)
	s_barrier
	buffer_gl0_inv
	s_and_saveexec_b32 s1, s0
	s_cbranch_execz .LBB249_1113
; %bb.1095:
	s_and_saveexec_b32 s0, vcc_lo
	s_cbranch_execnz .LBB249_1137
; %bb.1096:
	s_or_b32 exec_lo, exec_lo, s0
	s_and_saveexec_b32 s0, vcc_lo
	s_cbranch_execnz .LBB249_1138
.LBB249_1097:
	s_or_b32 exec_lo, exec_lo, s0
	s_and_saveexec_b32 s0, vcc_lo
	s_cbranch_execnz .LBB249_1139
.LBB249_1098:
	s_or_b32 exec_lo, exec_lo, s0
	s_and_saveexec_b32 s0, vcc_lo
	s_cbranch_execnz .LBB249_1140
.LBB249_1099:
	s_or_b32 exec_lo, exec_lo, s0
	s_and_saveexec_b32 s0, vcc_lo
	s_cbranch_execnz .LBB249_1141
.LBB249_1100:
	s_or_b32 exec_lo, exec_lo, s0
	s_and_saveexec_b32 s0, vcc_lo
	s_cbranch_execnz .LBB249_1142
.LBB249_1101:
	s_or_b32 exec_lo, exec_lo, s0
	s_and_saveexec_b32 s0, vcc_lo
	s_cbranch_execnz .LBB249_1143
.LBB249_1102:
	s_or_b32 exec_lo, exec_lo, s0
	s_and_saveexec_b32 s0, vcc_lo
	s_cbranch_execnz .LBB249_1144
.LBB249_1103:
	s_or_b32 exec_lo, exec_lo, s0
	s_and_saveexec_b32 s0, vcc_lo
	s_cbranch_execnz .LBB249_1145
.LBB249_1104:
	s_or_b32 exec_lo, exec_lo, s0
	s_and_saveexec_b32 s0, vcc_lo
	s_cbranch_execnz .LBB249_1146
.LBB249_1105:
	s_or_b32 exec_lo, exec_lo, s0
	s_and_saveexec_b32 s0, vcc_lo
	s_cbranch_execnz .LBB249_1147
.LBB249_1106:
	s_or_b32 exec_lo, exec_lo, s0
	s_and_saveexec_b32 s0, vcc_lo
	s_cbranch_execnz .LBB249_1148
.LBB249_1107:
	s_or_b32 exec_lo, exec_lo, s0
	s_and_saveexec_b32 s0, vcc_lo
	s_cbranch_execnz .LBB249_1149
.LBB249_1108:
	s_or_b32 exec_lo, exec_lo, s0
	s_and_saveexec_b32 s0, vcc_lo
	s_cbranch_execnz .LBB249_1150
.LBB249_1109:
	s_or_b32 exec_lo, exec_lo, s0
	s_and_saveexec_b32 s0, vcc_lo
	s_cbranch_execnz .LBB249_1151
.LBB249_1110:
	s_or_b32 exec_lo, exec_lo, s0
	s_and_saveexec_b32 s0, vcc_lo
	s_cbranch_execz .LBB249_1112
.LBB249_1111:
	v_lshl_add_u32 v19, v17, 2, v18
	ds_load_b32 v19, v19 offset:480
	s_waitcnt lgkmcnt(0)
	v_add_f32_e32 v15, v19, v15
.LBB249_1112:
	s_or_b32 exec_lo, exec_lo, s0
.LBB249_1113:
	s_delay_alu instid0(SALU_CYCLE_1)
	s_or_b32 exec_lo, exec_lo, s1
	v_and_b32_e32 v19, 0x3e3, v42
	s_mov_b32 s1, exec_lo
	s_barrier
	buffer_gl0_inv
	v_cmpx_eq_u32_e32 32, v19
	s_cbranch_execz .LBB249_1115
; %bb.1114:
	v_lshl_add_u32 v16, v17, 2, v16
	ds_store_2addr_b32 v16, v0, v1 offset1:8
	ds_store_2addr_b32 v16, v2, v3 offset0:16 offset1:24
	ds_store_2addr_b32 v16, v4, v5 offset0:32 offset1:40
	;; [unrolled: 1-line block ×7, first 2 shown]
.LBB249_1115:
	s_or_b32 exec_lo, exec_lo, s1
	s_delay_alu instid0(SALU_CYCLE_1)
	s_mov_b32 s1, exec_lo
	s_waitcnt lgkmcnt(0)
	s_barrier
	buffer_gl0_inv
	v_cmpx_gt_u32_e32 32, v42
	s_cbranch_execz .LBB249_1134
; %bb.1116:
	v_lshl_add_u32 v16, v17, 2, v18
	s_and_saveexec_b32 s0, vcc_lo
	s_cbranch_execnz .LBB249_1152
; %bb.1117:
	s_or_b32 exec_lo, exec_lo, s0
	s_and_saveexec_b32 s0, vcc_lo
	s_cbranch_execnz .LBB249_1153
.LBB249_1118:
	s_or_b32 exec_lo, exec_lo, s0
	s_and_saveexec_b32 s0, vcc_lo
	s_cbranch_execnz .LBB249_1154
.LBB249_1119:
	s_or_b32 exec_lo, exec_lo, s0
	s_and_saveexec_b32 s0, vcc_lo
	s_cbranch_execnz .LBB249_1155
.LBB249_1120:
	s_or_b32 exec_lo, exec_lo, s0
	s_and_saveexec_b32 s0, vcc_lo
	s_cbranch_execnz .LBB249_1156
.LBB249_1121:
	s_or_b32 exec_lo, exec_lo, s0
	s_and_saveexec_b32 s0, vcc_lo
	s_cbranch_execnz .LBB249_1157
.LBB249_1122:
	s_or_b32 exec_lo, exec_lo, s0
	s_and_saveexec_b32 s0, vcc_lo
	s_cbranch_execnz .LBB249_1158
.LBB249_1123:
	s_or_b32 exec_lo, exec_lo, s0
	s_and_saveexec_b32 s0, vcc_lo
	s_cbranch_execnz .LBB249_1159
.LBB249_1124:
	s_or_b32 exec_lo, exec_lo, s0
	s_and_saveexec_b32 s0, vcc_lo
	s_cbranch_execnz .LBB249_1160
.LBB249_1125:
	s_or_b32 exec_lo, exec_lo, s0
	s_and_saveexec_b32 s0, vcc_lo
	s_cbranch_execnz .LBB249_1161
.LBB249_1126:
	s_or_b32 exec_lo, exec_lo, s0
	s_and_saveexec_b32 s0, vcc_lo
	s_cbranch_execnz .LBB249_1162
.LBB249_1127:
	s_or_b32 exec_lo, exec_lo, s0
	s_and_saveexec_b32 s0, vcc_lo
	s_cbranch_execnz .LBB249_1163
.LBB249_1128:
	s_or_b32 exec_lo, exec_lo, s0
	s_and_saveexec_b32 s0, vcc_lo
	s_cbranch_execnz .LBB249_1164
.LBB249_1129:
	s_or_b32 exec_lo, exec_lo, s0
	s_and_saveexec_b32 s0, vcc_lo
	s_cbranch_execnz .LBB249_1165
.LBB249_1130:
	s_or_b32 exec_lo, exec_lo, s0
	s_and_saveexec_b32 s0, vcc_lo
	s_cbranch_execnz .LBB249_1166
.LBB249_1131:
	s_or_b32 exec_lo, exec_lo, s0
	s_and_saveexec_b32 s0, vcc_lo
	s_cbranch_execz .LBB249_1133
.LBB249_1132:
	ds_load_b32 v16, v16 offset:480
	s_waitcnt lgkmcnt(0)
	v_add_f32_e32 v15, v16, v15
.LBB249_1133:
	s_or_b32 exec_lo, exec_lo, s0
.LBB249_1134:
	s_delay_alu instid0(SALU_CYCLE_1)
	s_or_b32 exec_lo, exec_lo, s1
	v_cmp_eq_u32_e32 vcc_lo, 0, v19
	s_barrier
	buffer_gl0_inv
	s_and_b32 exec_lo, exec_lo, vcc_lo
	s_cbranch_execz .LBB249_1136
; %bb.1135:
	s_lshl_b32 s0, s2, 7
	s_mul_i32 s2, s6, s7
	s_lshl_b32 s4, s14, 7
	s_ashr_i32 s3, s2, 31
	s_ashr_i32 s5, s4, 31
	;; [unrolled: 1-line block ×3, first 2 shown]
	s_lshl_b64 s[2:3], s[2:3], 2
	s_lshl_b64 s[4:5], s[4:5], 2
	;; [unrolled: 1-line block ×3, first 2 shown]
	s_add_u32 s2, s4, s2
	s_addc_u32 s3, s5, s3
	s_add_u32 s0, s2, s0
	s_addc_u32 s1, s3, s1
	v_add_co_u32 v16, vcc_lo, s0, v52
	v_add_co_ci_u32_e32 v17, vcc_lo, s1, v51, vcc_lo
	s_delay_alu instid0(VALU_DEP_2) | instskip(NEXT) | instid1(VALU_DEP_2)
	v_add_co_u32 v16, vcc_lo, v16, v42
	v_add_co_ci_u32_e32 v17, vcc_lo, 0, v17, vcc_lo
	s_clause 0xf
	flat_store_b32 v[16:17], v0
	flat_store_b32 v[16:17], v1 offset:32
	flat_store_b32 v[16:17], v2 offset:64
	;; [unrolled: 1-line block ×15, first 2 shown]
.LBB249_1136:
	s_or_b32 exec_lo, exec_lo, s17
	s_clause 0x1f
	scratch_load_b32 v191, off, s32
	scratch_load_b32 v190, off, s32 offset:4
	scratch_load_b32 v189, off, s32 offset:8
	;; [unrolled: 1-line block ×31, first 2 shown]
	s_clause 0x1f
	scratch_load_b32 v127, off, s32 offset:128
	scratch_load_b32 v126, off, s32 offset:132
	;; [unrolled: 1-line block ×32, first 2 shown]
	s_clause 0xf
	scratch_load_b32 v63, off, s32 offset:256
	scratch_load_b32 v62, off, s32 offset:260
	;; [unrolled: 1-line block ×16, first 2 shown]
	s_waitcnt vmcnt(0) lgkmcnt(0)
	s_setpc_b64 s[30:31]
.LBB249_1137:
	v_lshl_add_u32 v19, v17, 2, v18
	ds_load_b32 v19, v19
	s_waitcnt lgkmcnt(0)
	v_add_f32_e32 v0, v19, v0
	s_or_b32 exec_lo, exec_lo, s0
	s_and_saveexec_b32 s0, vcc_lo
	s_cbranch_execz .LBB249_1097
.LBB249_1138:
	v_lshl_add_u32 v19, v17, 2, v18
	ds_load_b32 v19, v19 offset:32
	s_waitcnt lgkmcnt(0)
	v_add_f32_e32 v1, v19, v1
	s_or_b32 exec_lo, exec_lo, s0
	s_and_saveexec_b32 s0, vcc_lo
	s_cbranch_execz .LBB249_1098
.LBB249_1139:
	v_lshl_add_u32 v19, v17, 2, v18
	ds_load_b32 v19, v19 offset:64
	s_waitcnt lgkmcnt(0)
	v_add_f32_e32 v2, v19, v2
	s_or_b32 exec_lo, exec_lo, s0
	s_and_saveexec_b32 s0, vcc_lo
	s_cbranch_execz .LBB249_1099
.LBB249_1140:
	v_lshl_add_u32 v19, v17, 2, v18
	ds_load_b32 v19, v19 offset:96
	s_waitcnt lgkmcnt(0)
	v_add_f32_e32 v3, v19, v3
	s_or_b32 exec_lo, exec_lo, s0
	s_and_saveexec_b32 s0, vcc_lo
	s_cbranch_execz .LBB249_1100
.LBB249_1141:
	v_lshl_add_u32 v19, v17, 2, v18
	ds_load_b32 v19, v19 offset:128
	s_waitcnt lgkmcnt(0)
	v_add_f32_e32 v4, v19, v4
	s_or_b32 exec_lo, exec_lo, s0
	s_and_saveexec_b32 s0, vcc_lo
	s_cbranch_execz .LBB249_1101
.LBB249_1142:
	v_lshl_add_u32 v19, v17, 2, v18
	ds_load_b32 v19, v19 offset:160
	s_waitcnt lgkmcnt(0)
	v_add_f32_e32 v5, v19, v5
	s_or_b32 exec_lo, exec_lo, s0
	s_and_saveexec_b32 s0, vcc_lo
	s_cbranch_execz .LBB249_1102
.LBB249_1143:
	v_lshl_add_u32 v19, v17, 2, v18
	ds_load_b32 v19, v19 offset:192
	s_waitcnt lgkmcnt(0)
	v_add_f32_e32 v6, v19, v6
	s_or_b32 exec_lo, exec_lo, s0
	s_and_saveexec_b32 s0, vcc_lo
	s_cbranch_execz .LBB249_1103
.LBB249_1144:
	v_lshl_add_u32 v19, v17, 2, v18
	ds_load_b32 v19, v19 offset:224
	s_waitcnt lgkmcnt(0)
	v_add_f32_e32 v7, v19, v7
	s_or_b32 exec_lo, exec_lo, s0
	s_and_saveexec_b32 s0, vcc_lo
	s_cbranch_execz .LBB249_1104
.LBB249_1145:
	v_lshl_add_u32 v19, v17, 2, v18
	ds_load_b32 v19, v19 offset:256
	s_waitcnt lgkmcnt(0)
	v_add_f32_e32 v8, v19, v8
	s_or_b32 exec_lo, exec_lo, s0
	s_and_saveexec_b32 s0, vcc_lo
	s_cbranch_execz .LBB249_1105
.LBB249_1146:
	v_lshl_add_u32 v19, v17, 2, v18
	ds_load_b32 v19, v19 offset:288
	s_waitcnt lgkmcnt(0)
	v_add_f32_e32 v9, v19, v9
	s_or_b32 exec_lo, exec_lo, s0
	s_and_saveexec_b32 s0, vcc_lo
	s_cbranch_execz .LBB249_1106
.LBB249_1147:
	v_lshl_add_u32 v19, v17, 2, v18
	ds_load_b32 v19, v19 offset:320
	s_waitcnt lgkmcnt(0)
	v_add_f32_e32 v10, v19, v10
	s_or_b32 exec_lo, exec_lo, s0
	s_and_saveexec_b32 s0, vcc_lo
	s_cbranch_execz .LBB249_1107
.LBB249_1148:
	v_lshl_add_u32 v19, v17, 2, v18
	ds_load_b32 v19, v19 offset:352
	s_waitcnt lgkmcnt(0)
	v_add_f32_e32 v11, v19, v11
	s_or_b32 exec_lo, exec_lo, s0
	s_and_saveexec_b32 s0, vcc_lo
	s_cbranch_execz .LBB249_1108
.LBB249_1149:
	v_lshl_add_u32 v19, v17, 2, v18
	ds_load_b32 v19, v19 offset:384
	s_waitcnt lgkmcnt(0)
	v_add_f32_e32 v12, v19, v12
	s_or_b32 exec_lo, exec_lo, s0
	s_and_saveexec_b32 s0, vcc_lo
	s_cbranch_execz .LBB249_1109
.LBB249_1150:
	v_lshl_add_u32 v19, v17, 2, v18
	ds_load_b32 v19, v19 offset:416
	s_waitcnt lgkmcnt(0)
	v_add_f32_e32 v13, v19, v13
	s_or_b32 exec_lo, exec_lo, s0
	s_and_saveexec_b32 s0, vcc_lo
	s_cbranch_execz .LBB249_1110
.LBB249_1151:
	v_lshl_add_u32 v19, v17, 2, v18
	ds_load_b32 v19, v19 offset:448
	s_waitcnt lgkmcnt(0)
	v_add_f32_e32 v14, v19, v14
	s_or_b32 exec_lo, exec_lo, s0
	s_and_saveexec_b32 s0, vcc_lo
	s_cbranch_execnz .LBB249_1111
	s_branch .LBB249_1112
.LBB249_1152:
	ds_load_b32 v17, v16
	s_waitcnt lgkmcnt(0)
	v_add_f32_e32 v0, v17, v0
	s_or_b32 exec_lo, exec_lo, s0
	s_and_saveexec_b32 s0, vcc_lo
	s_cbranch_execz .LBB249_1118
.LBB249_1153:
	ds_load_b32 v17, v16 offset:32
	s_waitcnt lgkmcnt(0)
	v_add_f32_e32 v1, v17, v1
	s_or_b32 exec_lo, exec_lo, s0
	s_and_saveexec_b32 s0, vcc_lo
	s_cbranch_execz .LBB249_1119
.LBB249_1154:
	ds_load_b32 v17, v16 offset:64
	s_waitcnt lgkmcnt(0)
	v_add_f32_e32 v2, v17, v2
	s_or_b32 exec_lo, exec_lo, s0
	s_and_saveexec_b32 s0, vcc_lo
	s_cbranch_execz .LBB249_1120
.LBB249_1155:
	ds_load_b32 v17, v16 offset:96
	s_waitcnt lgkmcnt(0)
	v_add_f32_e32 v3, v17, v3
	s_or_b32 exec_lo, exec_lo, s0
	s_and_saveexec_b32 s0, vcc_lo
	s_cbranch_execz .LBB249_1121
.LBB249_1156:
	ds_load_b32 v17, v16 offset:128
	s_waitcnt lgkmcnt(0)
	v_add_f32_e32 v4, v17, v4
	s_or_b32 exec_lo, exec_lo, s0
	s_and_saveexec_b32 s0, vcc_lo
	s_cbranch_execz .LBB249_1122
.LBB249_1157:
	ds_load_b32 v17, v16 offset:160
	s_waitcnt lgkmcnt(0)
	v_add_f32_e32 v5, v17, v5
	s_or_b32 exec_lo, exec_lo, s0
	s_and_saveexec_b32 s0, vcc_lo
	s_cbranch_execz .LBB249_1123
.LBB249_1158:
	ds_load_b32 v17, v16 offset:192
	s_waitcnt lgkmcnt(0)
	v_add_f32_e32 v6, v17, v6
	s_or_b32 exec_lo, exec_lo, s0
	s_and_saveexec_b32 s0, vcc_lo
	s_cbranch_execz .LBB249_1124
.LBB249_1159:
	ds_load_b32 v17, v16 offset:224
	s_waitcnt lgkmcnt(0)
	v_add_f32_e32 v7, v17, v7
	s_or_b32 exec_lo, exec_lo, s0
	s_and_saveexec_b32 s0, vcc_lo
	s_cbranch_execz .LBB249_1125
.LBB249_1160:
	ds_load_b32 v17, v16 offset:256
	s_waitcnt lgkmcnt(0)
	v_add_f32_e32 v8, v17, v8
	s_or_b32 exec_lo, exec_lo, s0
	s_and_saveexec_b32 s0, vcc_lo
	s_cbranch_execz .LBB249_1126
.LBB249_1161:
	ds_load_b32 v17, v16 offset:288
	s_waitcnt lgkmcnt(0)
	v_add_f32_e32 v9, v17, v9
	s_or_b32 exec_lo, exec_lo, s0
	s_and_saveexec_b32 s0, vcc_lo
	s_cbranch_execz .LBB249_1127
.LBB249_1162:
	ds_load_b32 v17, v16 offset:320
	s_waitcnt lgkmcnt(0)
	v_add_f32_e32 v10, v17, v10
	s_or_b32 exec_lo, exec_lo, s0
	s_and_saveexec_b32 s0, vcc_lo
	s_cbranch_execz .LBB249_1128
.LBB249_1163:
	ds_load_b32 v17, v16 offset:352
	s_waitcnt lgkmcnt(0)
	v_add_f32_e32 v11, v17, v11
	s_or_b32 exec_lo, exec_lo, s0
	s_and_saveexec_b32 s0, vcc_lo
	s_cbranch_execz .LBB249_1129
.LBB249_1164:
	ds_load_b32 v17, v16 offset:384
	s_waitcnt lgkmcnt(0)
	v_add_f32_e32 v12, v17, v12
	s_or_b32 exec_lo, exec_lo, s0
	s_and_saveexec_b32 s0, vcc_lo
	s_cbranch_execz .LBB249_1130
.LBB249_1165:
	ds_load_b32 v17, v16 offset:416
	s_waitcnt lgkmcnt(0)
	v_add_f32_e32 v13, v17, v13
	s_or_b32 exec_lo, exec_lo, s0
	s_and_saveexec_b32 s0, vcc_lo
	s_cbranch_execz .LBB249_1131
.LBB249_1166:
	ds_load_b32 v17, v16 offset:448
	s_waitcnt lgkmcnt(0)
	v_add_f32_e32 v14, v17, v14
	s_or_b32 exec_lo, exec_lo, s0
	s_and_saveexec_b32 s0, vcc_lo
	s_cbranch_execnz .LBB249_1132
	s_branch .LBB249_1133
.Lfunc_end249:
	.size	_ZN4vllm22paged_attention_kernelIfhLi128ELi16ELi128ELNS_18Fp8KVCacheDataTypeE1ELb0ELi512EEEvPfS2_PT_PKS3_PKT0_S9_ifPKiSB_iPKfiiiSD_SD_iiiii, .Lfunc_end249-_ZN4vllm22paged_attention_kernelIfhLi128ELi16ELi128ELNS_18Fp8KVCacheDataTypeE1ELb0ELi512EEEvPfS2_PT_PKS3_PKT0_S9_ifPKiSB_iPKfiiiSD_SD_iiiii
                                        ; -- End function
	.section	.AMDGPU.csdata,"",@progbits
; Function info:
; codeLenInByte = 41324
; NumSgprs: 35
; NumVgprs: 192
; ScratchSize: 516
; MemoryBound: 0
	.section	.text._ZN4vllm25paged_attention_v2_kernelIfhLi128ELi16ELi128ELNS_18Fp8KVCacheDataTypeE1ELb0ELi512EEEvPfS2_PT_PKS3_PKT0_S9_ifPKiSB_iPKfiiiSD_SD_iiiii,"axG",@progbits,_ZN4vllm25paged_attention_v2_kernelIfhLi128ELi16ELi128ELNS_18Fp8KVCacheDataTypeE1ELb0ELi512EEEvPfS2_PT_PKS3_PKT0_S9_ifPKiSB_iPKfiiiSD_SD_iiiii,comdat
	.protected	_ZN4vllm25paged_attention_v2_kernelIfhLi128ELi16ELi128ELNS_18Fp8KVCacheDataTypeE1ELb0ELi512EEEvPfS2_PT_PKS3_PKT0_S9_ifPKiSB_iPKfiiiSD_SD_iiiii ; -- Begin function _ZN4vllm25paged_attention_v2_kernelIfhLi128ELi16ELi128ELNS_18Fp8KVCacheDataTypeE1ELb0ELi512EEEvPfS2_PT_PKS3_PKT0_S9_ifPKiSB_iPKfiiiSD_SD_iiiii
	.globl	_ZN4vllm25paged_attention_v2_kernelIfhLi128ELi16ELi128ELNS_18Fp8KVCacheDataTypeE1ELb0ELi512EEEvPfS2_PT_PKS3_PKT0_S9_ifPKiSB_iPKfiiiSD_SD_iiiii
	.p2align	8
	.type	_ZN4vllm25paged_attention_v2_kernelIfhLi128ELi16ELi128ELNS_18Fp8KVCacheDataTypeE1ELb0ELi512EEEvPfS2_PT_PKS3_PKT0_S9_ifPKiSB_iPKfiiiSD_SD_iiiii,@function
_ZN4vllm25paged_attention_v2_kernelIfhLi128ELi16ELi128ELNS_18Fp8KVCacheDataTypeE1ELb0ELi512EEEvPfS2_PT_PKS3_PKT0_S9_ifPKiSB_iPKfiiiSD_SD_iiiii: ; @_ZN4vllm25paged_attention_v2_kernelIfhLi128ELi16ELi128ELNS_18Fp8KVCacheDataTypeE1ELb0ELi512EEEvPfS2_PT_PKS3_PKT0_S9_ifPKiSB_iPKfiiiSD_SD_iiiii
; %bb.0:
	s_clause 0x5
	s_load_b256 s[24:31], s[0:1], 0x0
	s_load_b256 s[16:23], s[0:1], 0x20
	s_load_b64 s[2:3], s[0:1], 0x40
	s_load_b64 s[4:5], s[0:1], 0x50
	s_load_b32 s6, s[0:1], 0x48
	s_load_b256 s[36:43], s[0:1], 0x58
	v_mov_b32_e32 v31, v0
	s_add_u32 s8, s0, 0x90
	s_mov_b32 s12, s13
	s_addc_u32 s9, s1, 0
	s_mov_b32 s13, s14
	s_mov_b32 s14, s15
	;; [unrolled: 1-line block ×4, first 2 shown]
	s_getpc_b64 s[0:1]
	s_add_u32 s0, s0, _ZN4vllm22paged_attention_kernelIfhLi128ELi16ELi128ELNS_18Fp8KVCacheDataTypeE1ELb0ELi512EEEvPfS2_PT_PKS3_PKT0_S9_ifPKiSB_iPKfiiiSD_SD_iiiii@rel32@lo+4
	s_addc_u32 s1, s1, _ZN4vllm22paged_attention_kernelIfhLi128ELi16ELi128ELNS_18Fp8KVCacheDataTypeE1ELb0ELi512EEEvPfS2_PT_PKS3_PKT0_S9_ifPKiSB_iPKfiiiSD_SD_iiiii@rel32@hi+12
	s_waitcnt lgkmcnt(0)
	v_dual_mov_b32 v0, s24 :: v_dual_mov_b32 v1, s25
	v_dual_mov_b32 v2, s26 :: v_dual_mov_b32 v3, s27
	;; [unrolled: 1-line block ×14, first 2 shown]
	s_swappc_b64 s[30:31], s[0:1]
	s_endpgm
	.section	.rodata,"a",@progbits
	.p2align	6, 0x0
	.amdhsa_kernel _ZN4vllm25paged_attention_v2_kernelIfhLi128ELi16ELi128ELNS_18Fp8KVCacheDataTypeE1ELb0ELi512EEEvPfS2_PT_PKS3_PKT0_S9_ifPKiSB_iPKfiiiSD_SD_iiiii
		.amdhsa_group_segment_fixed_size 544
		.amdhsa_private_segment_fixed_size 516
		.amdhsa_kernarg_size 400
		.amdhsa_user_sgpr_count 13
		.amdhsa_user_sgpr_dispatch_ptr 0
		.amdhsa_user_sgpr_queue_ptr 0
		.amdhsa_user_sgpr_kernarg_segment_ptr 1
		.amdhsa_user_sgpr_dispatch_id 0
		.amdhsa_user_sgpr_private_segment_size 0
		.amdhsa_wavefront_size32 1
		.amdhsa_uses_dynamic_stack 0
		.amdhsa_enable_private_segment 1
		.amdhsa_system_sgpr_workgroup_id_x 1
		.amdhsa_system_sgpr_workgroup_id_y 1
		.amdhsa_system_sgpr_workgroup_id_z 1
		.amdhsa_system_sgpr_workgroup_info 0
		.amdhsa_system_vgpr_workitem_id 0
		.amdhsa_next_free_vgpr 192
		.amdhsa_next_free_sgpr 44
		.amdhsa_reserve_vcc 1
		.amdhsa_float_round_mode_32 0
		.amdhsa_float_round_mode_16_64 0
		.amdhsa_float_denorm_mode_32 3
		.amdhsa_float_denorm_mode_16_64 3
		.amdhsa_dx10_clamp 1
		.amdhsa_ieee_mode 1
		.amdhsa_fp16_overflow 0
		.amdhsa_workgroup_processor_mode 1
		.amdhsa_memory_ordered 1
		.amdhsa_forward_progress 0
		.amdhsa_shared_vgpr_count 0
		.amdhsa_exception_fp_ieee_invalid_op 0
		.amdhsa_exception_fp_denorm_src 0
		.amdhsa_exception_fp_ieee_div_zero 0
		.amdhsa_exception_fp_ieee_overflow 0
		.amdhsa_exception_fp_ieee_underflow 0
		.amdhsa_exception_fp_ieee_inexact 0
		.amdhsa_exception_int_div_zero 0
	.end_amdhsa_kernel
	.section	.text._ZN4vllm25paged_attention_v2_kernelIfhLi128ELi16ELi128ELNS_18Fp8KVCacheDataTypeE1ELb0ELi512EEEvPfS2_PT_PKS3_PKT0_S9_ifPKiSB_iPKfiiiSD_SD_iiiii,"axG",@progbits,_ZN4vllm25paged_attention_v2_kernelIfhLi128ELi16ELi128ELNS_18Fp8KVCacheDataTypeE1ELb0ELi512EEEvPfS2_PT_PKS3_PKT0_S9_ifPKiSB_iPKfiiiSD_SD_iiiii,comdat
.Lfunc_end250:
	.size	_ZN4vllm25paged_attention_v2_kernelIfhLi128ELi16ELi128ELNS_18Fp8KVCacheDataTypeE1ELb0ELi512EEEvPfS2_PT_PKS3_PKT0_S9_ifPKiSB_iPKfiiiSD_SD_iiiii, .Lfunc_end250-_ZN4vllm25paged_attention_v2_kernelIfhLi128ELi16ELi128ELNS_18Fp8KVCacheDataTypeE1ELb0ELi512EEEvPfS2_PT_PKS3_PKT0_S9_ifPKiSB_iPKfiiiSD_SD_iiiii
                                        ; -- End function
	.section	.AMDGPU.csdata,"",@progbits
; Kernel info:
; codeLenInByte = 232
; NumSgprs: 46
; NumVgprs: 192
; ScratchSize: 516
; MemoryBound: 0
; FloatMode: 240
; IeeeMode: 1
; LDSByteSize: 544 bytes/workgroup (compile time only)
; SGPRBlocks: 5
; VGPRBlocks: 23
; NumSGPRsForWavesPerEU: 46
; NumVGPRsForWavesPerEU: 192
; Occupancy: 8
; WaveLimiterHint : 1
; COMPUTE_PGM_RSRC2:SCRATCH_EN: 1
; COMPUTE_PGM_RSRC2:USER_SGPR: 13
; COMPUTE_PGM_RSRC2:TRAP_HANDLER: 0
; COMPUTE_PGM_RSRC2:TGID_X_EN: 1
; COMPUTE_PGM_RSRC2:TGID_Y_EN: 1
; COMPUTE_PGM_RSRC2:TGID_Z_EN: 1
; COMPUTE_PGM_RSRC2:TIDIG_COMP_CNT: 0
	.text
	.p2align	2                               ; -- Begin function _ZN4vllm22paged_attention_kernelIfhLi192ELi16ELi128ELNS_18Fp8KVCacheDataTypeE1ELb0ELi512EEEvPfS2_PT_PKS3_PKT0_S9_ifPKiSB_iPKfiiiSD_SD_iiiii
	.type	_ZN4vllm22paged_attention_kernelIfhLi192ELi16ELi128ELNS_18Fp8KVCacheDataTypeE1ELb0ELi512EEEvPfS2_PT_PKS3_PKT0_S9_ifPKiSB_iPKfiiiSD_SD_iiiii,@function
_ZN4vllm22paged_attention_kernelIfhLi192ELi16ELi128ELNS_18Fp8KVCacheDataTypeE1ELb0ELi512EEEvPfS2_PT_PKS3_PKT0_S9_ifPKiSB_iPKfiiiSD_SD_iiiii: ; @_ZN4vllm22paged_attention_kernelIfhLi192ELi16ELi128ELNS_18Fp8KVCacheDataTypeE1ELb0ELi512EEEvPfS2_PT_PKS3_PKT0_S9_ifPKiSB_iPKfiiiSD_SD_iiiii
; %bb.0:
	s_waitcnt vmcnt(0) expcnt(0) lgkmcnt(0)
	s_clause 0x1f
	scratch_store_b32 off, v40, s32 offset:316
	; meta instruction
	scratch_store_b32 off, v41, s32 offset:312
	; meta instruction
	;; [unrolled: 2-line block ×31, first 2 shown]
	scratch_store_b32 off, v95, s32 offset:192
	s_clause 0x1f
	scratch_store_b32 off, v104, s32 offset:188
	; meta instruction
	scratch_store_b32 off, v105, s32 offset:184
	; meta instruction
	;; [unrolled: 2-line block ×31, first 2 shown]
	scratch_store_b32 off, v159, s32 offset:64
	s_clause 0xf
	scratch_store_b32 off, v168, s32 offset:60
	; meta instruction
	scratch_store_b32 off, v169, s32 offset:56
	; meta instruction
	;; [unrolled: 2-line block ×15, first 2 shown]
	scratch_store_b32 off, v191, s32
	s_mov_b32 s10, s13
	s_ashr_i32 s11, s13, 31
	s_clause 0x1
	scratch_store_b64 off, v[24:25], s32 offset:376
	scratch_store_b32 off, v13, s32 offset:788
	s_lshl_b64 s[0:1], s[10:11], 2
	v_mov_b32_e32 v25, v0
	v_add_co_u32 v0, vcc_lo, v16, s0
	v_dual_mov_b32 v29, v2 :: v_dual_mov_b32 v24, v1
	v_add_co_ci_u32_e32 v1, vcc_lo, s1, v17, vcc_lo
	s_clause 0x1
	scratch_store_b32 off, v5, s32 offset:812
	scratch_store_b32 off, v4, s32 offset:816
	v_dual_mov_b32 v13, v10 :: v_dual_mov_b32 v28, v3
	flat_load_b32 v92, v[0:1]
	s_lshl_b32 s11, s14, 9
	s_mov_b32 s20, exec_lo
	s_waitcnt vmcnt(0) lgkmcnt(0)
	v_cmpx_lt_i32_e64 s11, v92
	s_cbranch_execz .LBB251_1680
; %bb.1:
	v_sub_nc_u32_e32 v0, 0, v12
	s_clause 0x1
	s_load_b32 s0, s[8:9], 0x10
	s_load_b32 s1, s[8:9], 0x0
	s_mov_b32 s6, s15
	v_max_i32_e32 v0, v12, v0
	s_delay_alu instid0(VALU_DEP_1) | instskip(SKIP_1) | instid1(VALU_DEP_2)
	v_cvt_f32_u32_e32 v1, v0
	v_sub_nc_u32_e32 v2, 0, v0
	v_rcp_iflag_f32_e32 v1, v1
	s_waitcnt lgkmcnt(0)
	s_lshr_b32 s0, s0, 16
	s_delay_alu instid0(SALU_CYCLE_1)
	s_cmp_lg_u32 s0, 0
	s_cselect_b32 s0, -1, 0
	s_waitcnt_depctr 0xfff
	v_mul_f32_e32 v1, 0x4f7ffffe, v1
	s_cmp_lg_u32 s0, 0
	s_addc_u32 s15, s1, 0
	s_mov_b32 s1, exec_lo
	s_delay_alu instid0(VALU_DEP_1) | instskip(SKIP_1) | instid1(VALU_DEP_1)
	v_cvt_u32_f32_e32 v1, v1
	s_abs_i32 s0, s15
	v_mul_lo_u32 v2, v2, v1
	s_delay_alu instid0(VALU_DEP_1) | instskip(NEXT) | instid1(VALU_DEP_1)
	v_mul_hi_u32 v2, v1, v2
	v_add_nc_u32_e32 v1, v1, v2
	s_delay_alu instid0(VALU_DEP_1) | instskip(NEXT) | instid1(VALU_DEP_1)
	v_mul_hi_u32 v1, s0, v1
	v_mul_lo_u32 v2, v1, v0
	v_add_nc_u32_e32 v3, 1, v1
	s_delay_alu instid0(VALU_DEP_2) | instskip(SKIP_1) | instid1(VALU_DEP_1)
	v_sub_nc_u32_e32 v2, s0, v2
	s_abs_i32 s0, s12
	v_sub_nc_u32_e32 v4, v2, v0
	v_cmp_ge_u32_e32 vcc_lo, v2, v0
	s_delay_alu instid0(VALU_DEP_2) | instskip(SKIP_1) | instid1(VALU_DEP_2)
	v_dual_cndmask_b32 v1, v1, v3 :: v_dual_cndmask_b32 v2, v2, v4
	v_xor_b32_e32 v3, s15, v12
	v_add_nc_u32_e32 v4, 1, v1
	s_delay_alu instid0(VALU_DEP_3) | instskip(NEXT) | instid1(VALU_DEP_3)
	v_cmp_ge_u32_e32 vcc_lo, v2, v0
	v_ashrrev_i32_e32 v3, 31, v3
	s_delay_alu instid0(VALU_DEP_3) | instskip(NEXT) | instid1(VALU_DEP_1)
	v_cndmask_b32_e32 v0, v1, v4, vcc_lo
	v_xor_b32_e32 v0, v0, v3
	s_delay_alu instid0(VALU_DEP_1) | instskip(NEXT) | instid1(VALU_DEP_1)
	v_sub_nc_u32_e32 v2, v0, v3
	v_sub_nc_u32_e32 v0, 0, v2
	s_delay_alu instid0(VALU_DEP_1) | instskip(NEXT) | instid1(VALU_DEP_1)
	v_max_i32_e32 v3, v2, v0
	v_cvt_f32_u32_e32 v0, v3
	v_sub_nc_u32_e32 v1, 0, v3
	s_delay_alu instid0(VALU_DEP_2) | instskip(SKIP_2) | instid1(VALU_DEP_1)
	v_rcp_iflag_f32_e32 v0, v0
	s_waitcnt_depctr 0xfff
	v_mul_f32_e32 v0, 0x4f7ffffe, v0
	v_cvt_u32_f32_e32 v0, v0
	s_delay_alu instid0(VALU_DEP_1) | instskip(NEXT) | instid1(VALU_DEP_1)
	v_mul_lo_u32 v1, v1, v0
	v_mul_hi_u32 v1, v0, v1
	s_delay_alu instid0(VALU_DEP_1) | instskip(NEXT) | instid1(VALU_DEP_1)
	v_add_nc_u32_e32 v4, v0, v1
	v_mad_u64_u32 v[0:1], null, s0, v4, 0
	v_mov_b32_e32 v0, 0
	scratch_store_b32 off, v0, s32 offset:792 ; 4-byte Folded Spill
	v_cmpx_ne_u64_e32 0, v[19:20]
	s_cbranch_execz .LBB251_3
; %bb.2:
	s_ashr_i32 s13, s12, 31
	s_delay_alu instid0(SALU_CYCLE_1) | instskip(NEXT) | instid1(SALU_CYCLE_1)
	s_lshl_b64 s[2:3], s[12:13], 2
	v_add_co_u32 v4, vcc_lo, v19, s2
	v_add_co_ci_u32_e32 v5, vcc_lo, s3, v20, vcc_lo
	flat_load_b32 v0, v[4:5]
	s_waitcnt vmcnt(0) lgkmcnt(0)
	scratch_store_b32 off, v0, s32 offset:792 ; 4-byte Folded Spill
.LBB251_3:
	s_or_b32 exec_lo, exec_lo, s1
	v_and_b32_e32 v12, 0x3ff, v31
	v_ashrrev_i32_e32 v0, 31, v2
	s_ashr_i32 s1, s12, 31
	s_mul_i32 s4, s12, 0xc0
	s_mov_b32 s2, exec_lo
	v_and_b32_e32 v2, 1, v12
	v_lshlrev_b32_e32 v16, 2, v12
	v_cmpx_gt_u32_e32 0x60, v12
	s_cbranch_execz .LBB251_5
; %bb.4:
	v_mul_lo_u32 v4, s10, v21
	s_ashr_i32 s5, s4, 31
	v_lshlrev_b32_e32 v10, 3, v12
	s_lshl_b64 s[16:17], s[4:5], 2
	s_delay_alu instid0(VALU_DEP_2) | instskip(NEXT) | instid1(VALU_DEP_1)
	v_ashrrev_i32_e32 v5, 31, v4
	v_lshlrev_b64 v[4:5], 2, v[4:5]
	s_delay_alu instid0(VALU_DEP_1) | instskip(NEXT) | instid1(VALU_DEP_2)
	v_add_co_u32 v4, vcc_lo, v6, v4
	v_add_co_ci_u32_e32 v5, vcc_lo, v7, v5, vcc_lo
	v_and_b32_e32 v6, 0xff8, v16
	s_delay_alu instid0(VALU_DEP_3) | instskip(NEXT) | instid1(VALU_DEP_3)
	v_add_co_u32 v4, vcc_lo, v4, s16
	v_add_co_ci_u32_e32 v5, vcc_lo, s17, v5, vcc_lo
	s_delay_alu instid0(VALU_DEP_3) | instskip(NEXT) | instid1(VALU_DEP_3)
	v_mad_u32_u24 v6, 0x180, v2, v6
	v_add_co_u32 v4, vcc_lo, v4, v10
	s_delay_alu instid0(VALU_DEP_3)
	v_add_co_ci_u32_e32 v5, vcc_lo, 0, v5, vcc_lo
	flat_load_b64 v[4:5], v[4:5]
	s_waitcnt vmcnt(0) lgkmcnt(0)
	ds_store_b64 v6, v[4:5]
.LBB251_5:
	s_or_b32 exec_lo, exec_lo, s2
	v_mul_lo_u32 v4, v1, v3
	v_add_nc_u32_e32 v7, 1, v1
	scratch_store_b32 off, v12, s32 offset:796 ; 4-byte Folded Spill
	v_lshrrev_b32_e32 v12, 5, v12
	s_lshl_b32 s13, s14, 5
	s_delay_alu instid0(VALU_DEP_1) | instid1(SALU_CYCLE_1)
	v_or_b32_e32 v80, s13, v12
	v_sub_nc_u32_e32 v4, s0, v4
	s_add_i32 s0, s13, 32
	scratch_store_b32 off, v12, s32 offset:808 ; 4-byte Folded Spill
	s_waitcnt lgkmcnt(0)
	s_waitcnt_vscnt null, 0x0
	s_barrier
	v_sub_nc_u32_e32 v10, v4, v3
	v_cmp_ge_u32_e32 vcc_lo, v4, v3
	v_add_nc_u32_e32 v5, 15, v92
	buffer_gl0_inv
                                        ; implicit-def: $vgpr12
	v_cndmask_b32_e32 v4, v4, v10, vcc_lo
	v_ashrrev_i32_e32 v6, 31, v5
	v_cndmask_b32_e32 v1, v1, v7, vcc_lo
	v_xor_b32_e32 v7, s1, v0
	v_mul_lo_u32 v0, s10, v18
	v_cmp_ge_u32_e32 vcc_lo, v4, v3
	v_lshrrev_b32_e32 v6, 28, v6
	v_mbcnt_lo_u32_b32 v10, -1, 0
                                        ; implicit-def: $sgpr1
	s_delay_alu instid0(VALU_DEP_2) | instskip(SKIP_1) | instid1(VALU_DEP_2)
	v_add_nc_u32_e32 v5, v5, v6
	v_add_nc_u32_e32 v6, 1, v1
	v_ashrrev_i32_e32 v17, 4, v5
	s_delay_alu instid0(VALU_DEP_2) | instskip(NEXT) | instid1(VALU_DEP_2)
	v_cndmask_b32_e32 v1, v1, v6, vcc_lo
	v_min_i32_e32 v109, s0, v17
	s_delay_alu instid0(VALU_DEP_2) | instskip(SKIP_1) | instid1(VALU_DEP_3)
	v_xor_b32_e32 v3, v1, v7
	v_ashrrev_i32_e32 v1, 31, v0
	v_cmp_ge_i32_e64 s0, v80, v109
	s_delay_alu instid0(VALU_DEP_3) | instskip(NEXT) | instid1(VALU_DEP_2)
	v_sub_nc_u32_e32 v3, v3, v7
	s_and_saveexec_b32 s2, s0
	s_delay_alu instid0(SALU_CYCLE_1)
	s_xor_b32 s2, exec_lo, s2
	s_cbranch_execz .LBB251_7
; %bb.6:
	v_mbcnt_lo_u32_b32 v10, -1, 0
	v_mov_b32_e32 v12, 32
                                        ; implicit-def: $vgpr2
	s_mov_b32 s1, 0xff7fffff
                                        ; kill: killed $vgpr2
                                        ; implicit-def: $vgpr2
                                        ; kill: killed $vgpr2
                                        ; implicit-def: $vgpr2
	scratch_store_b64 off, v[2:3], s32 offset:376 ; 8-byte Folded Spill
                                        ; implicit-def: $vgpr8
                                        ; implicit-def: $vgpr9
                                        ; implicit-def: $vgpr2
.LBB251_7:
	s_or_saveexec_b32 s21, s2
	s_clause 0x1
	s_load_b32 s22, s[8:9], 0x14
	s_load_b32 s5, s[8:9], 0x8
	v_mul_lo_u32 v65, v3, v23
	v_lshlrev_b64 v[18:19], 2, v[0:1]
	v_mov_b32_e32 v3, s1
	v_ashrrev_i32_e32 v81, 31, v80
	s_delay_alu instid0(VALU_DEP_4)
	v_ashrrev_i32_e32 v66, 31, v65
	s_xor_b32 exec_lo, exec_lo, s21
	s_cbranch_execz .LBB251_781
; %bb.8:
	s_clause 0x8
	scratch_store_b32 off, v17, s32 offset:872
	scratch_store_b32 off, v16, s32 offset:868
	;; [unrolled: 1-line block ×8, first 2 shown]
	scratch_store_b64 off, v[26:27], s32 offset:836
	scratch_load_b32 v0, off, s32 offset:796 ; 4-byte Folded Reload
	v_mul_u32_u24_e32 v5, 0x180, v2
	s_ashr_i32 s7, s6, 31
	s_getpc_b64 s[2:3]
	s_add_u32 s2, s2, llvm.amdgcn.dynlds.offset.table@rel32@lo+4
	s_addc_u32 s3, s3, llvm.amdgcn.dynlds.offset.table@rel32@hi+12
	s_lshl_b64 s[16:17], s[6:7], 2
	s_mov_b32 s8, 0
	s_add_u32 s16, s16, s2
	s_brev_b32 s9, 1
	s_addc_u32 s17, s17, s3
	s_mov_b32 s19, 0x7f800001
	s_mov_b32 s7, s8
	v_mov_b32_e32 v79, 0
	v_mov_b32_e32 v13, v80
	s_clause 0x3
	scratch_store_b32 off, v15, s32 offset:828
	scratch_store_b32 off, v14, s32 offset:832
	scratch_store_b64 off, v[18:19], s32 offset:876
	scratch_store_b32 off, v10, s32 offset:892
	s_waitcnt vmcnt(0)
	v_bfe_u32 v3, v0, 1, 4
	v_add_co_u32 v0, vcc_lo, v8, v65
	v_add_co_ci_u32_e32 v1, vcc_lo, v9, v66, vcc_lo
	ds_load_b128 v[6:9], v5
	v_lshlrev_b32_e32 v4, 4, v3
	s_delay_alu instid0(VALU_DEP_1)
	v_add_co_u32 v0, vcc_lo, v0, v4
	v_add_co_ci_u32_e32 v1, vcc_lo, 0, v1, vcc_lo
	scratch_store_b64 off, v[0:1], s32 offset:388 ; 8-byte Folded Spill
	v_lshlrev_b32_e32 v0, 1, v2
	s_waitcnt lgkmcnt(0)
	scratch_store_b128 off, v[6:9], s32 offset:400 ; 16-byte Folded Spill
	ds_load_b128 v[6:9], v5 offset:16
	scratch_store_b32 off, v0, s32 offset:396 ; 4-byte Folded Spill
	v_xor_b32_e32 v0, 1, v10
	s_delay_alu instid0(VALU_DEP_1) | instskip(SKIP_2) | instid1(VALU_DEP_2)
	v_cmp_gt_i32_e32 vcc_lo, 32, v0
	v_cndmask_b32_e32 v0, v10, v0, vcc_lo
	v_cmp_eq_u32_e32 vcc_lo, 0, v2
	v_lshlrev_b32_e32 v0, 2, v0
	s_waitcnt lgkmcnt(0)
	scratch_store_b128 off, v[6:9], s32 offset:416 ; 16-byte Folded Spill
	ds_load_b128 v[6:9], v5 offset:32
	scratch_store_b32 off, v0, s32 offset:592 ; 4-byte Folded Spill
	scratch_load_b32 v0, off, s32 offset:792 ; 4-byte Folded Reload
	s_waitcnt lgkmcnt(0)
	scratch_store_b128 off, v[6:9], s32 offset:432 ; 16-byte Folded Spill
	ds_load_b128 v[6:9], v5 offset:48
	s_waitcnt lgkmcnt(0)
	scratch_store_b128 off, v[6:9], s32 offset:448 ; 16-byte Folded Spill
	ds_load_b128 v[6:9], v5 offset:64
	;; [unrolled: 3-line block ×3, first 2 shown]
	scratch_store_b32 off, v65, s32 offset:884 ; 4-byte Folded Spill
	s_waitcnt lgkmcnt(0)
	scratch_store_b128 off, v[6:9], s32 offset:480 ; 16-byte Folded Spill
	ds_load_b128 v[6:9], v5 offset:96
	scratch_store_b32 off, v66, s32 offset:888 ; 4-byte Folded Spill
	s_waitcnt lgkmcnt(0)
	scratch_store_b128 off, v[6:9], s32 offset:496 ; 16-byte Folded Spill
	ds_load_b128 v[6:9], v5 offset:112
	s_waitcnt lgkmcnt(0)
	scratch_store_b128 off, v[6:9], s32 offset:512 ; 16-byte Folded Spill
	ds_load_b128 v[6:9], v5 offset:128
	;; [unrolled: 3-line block ×17, first 2 shown]
	s_waitcnt lgkmcnt(0)
	scratch_store_b128 off, v[4:7], s32 offset:772 ; 16-byte Folded Spill
	scratch_load_b32 v5, off, s32 offset:808 ; 4-byte Folded Reload
	s_waitcnt vmcnt(1)
	v_cmp_neq_f32_e64 s1, 0, v0
	v_lshlrev_b64 v[0:1], 2, v[80:81]
	v_lshlrev_b32_e32 v4, 2, v3
	s_delay_alu instid0(VALU_DEP_2) | instskip(NEXT) | instid1(VALU_DEP_1)
	v_add_co_u32 v0, s2, v18, v0
	v_add_co_ci_u32_e64 v1, s2, v19, v1, s2
	s_delay_alu instid0(VALU_DEP_2) | instskip(NEXT) | instid1(VALU_DEP_1)
	v_add_co_u32 v58, s2, v14, v0
	v_add_co_ci_u32_e64 v59, s2, v15, v1, s2
	v_mov_b32_e32 v0, 0xff7fffff
	s_clause 0x3
	scratch_store_b32 off, v0, s32 offset:384
	scratch_store_b64 off, v[80:81], s32 offset:820
	scratch_store_b32 off, v22, s32 offset:800
	scratch_store_b32 off, v109, s32 offset:804
	s_waitcnt vmcnt(0)
	v_lshlrev_b32_e32 v2, 4, v5
	v_lshl_or_b32 v93, v5, 6, v4
	s_delay_alu instid0(VALU_DEP_2)
	v_add3_u32 v10, s11, v2, v3
	s_branch .LBB251_10
.LBB251_9:                              ;   in Loop: Header=BB251_10 Depth=1
	s_or_b32 exec_lo, exec_lo, s3
	v_add_nc_u32_e32 v13, 4, v13
	v_add_co_u32 v58, s3, v58, 16
	s_delay_alu instid0(VALU_DEP_1) | instskip(NEXT) | instid1(VALU_DEP_3)
	v_add_co_ci_u32_e64 v59, s3, 0, v59, s3
	v_cmp_ge_i32_e64 s2, v13, v109
	v_add_nc_u32_e32 v10, 64, v10
	v_add_nc_u32_e32 v93, 0x100, v93
	s_delay_alu instid0(VALU_DEP_3) | instskip(NEXT) | instid1(SALU_CYCLE_1)
	s_or_b32 s7, s2, s7
	s_and_not1_b32 exec_lo, exec_lo, s7
	s_cbranch_execz .LBB251_780
.LBB251_10:                             ; =>This Inner Loop Header: Depth=1
	flat_load_b32 v2, v[58:59]
	scratch_load_b64 v[3:4], off, s32 offset:388 ; 8-byte Folded Reload
	s_mov_b32 s3, exec_lo
	s_waitcnt vmcnt(0) lgkmcnt(0)
	v_mad_i64_i32 v[0:1], null, v2, v22, v[3:4]
	scratch_load_b32 v2, off, s32 offset:396 ; 4-byte Folded Reload
	s_waitcnt vmcnt(0)
	v_add_co_u32 v88, s2, v0, v2
	s_delay_alu instid0(VALU_DEP_1)
	v_add_co_ci_u32_e64 v89, s2, 0, v1, s2
	flat_load_u16 v0, v[88:89]
	scratch_load_b64 v[1:2], off, s32 offset:376 ; 8-byte Folded Reload
	v_mov_b32_e32 v60, 0
	v_mov_b32_e32 v61, 0
	s_waitcnt vmcnt(0)
	flat_load_b32 v104, v[1:2]
	s_waitcnt lgkmcnt(1)
	v_and_b32_e32 v1, 0xff, v0
	v_and_b32_e32 v0, 0xffff, v0
	scratch_store_b64 off, v[60:61], s32 offset:320 ; 8-byte Folded Spill
	v_cmpx_ne_u16_e32 0, v1
	s_cbranch_execz .LBB251_18
; %bb.11:                               ;   in Loop: Header=BB251_10 Depth=1
	v_bfrev_b32_e32 v2, 1
	v_and_b32_e32 v1, 0xff, v0
	v_mov_b32_e32 v3, 0
	s_mov_b32 s18, exec_lo
	scratch_store_b64 off, v[2:3], s32 offset:320 ; 8-byte Folded Spill
	v_cmpx_ne_u16_e32 0x80, v1
	s_cbranch_execz .LBB251_17
; %bb.12:                               ;   in Loop: Header=BB251_10 Depth=1
	v_mov_b32_e32 v3, 0x7f800001
	v_and_b32_e32 v2, 0x7f, v0
	v_mov_b32_e32 v4, 0
	s_mov_b32 s23, exec_lo
	scratch_store_b64 off, v[3:4], s32 offset:320 ; 8-byte Folded Spill
	v_cmpx_ne_u32_e32 0x7f, v2
	s_cbranch_execz .LBB251_16
; %bb.13:                               ;   in Loop: Header=BB251_10 Depth=1
	v_and_b32_e32 v78, 7, v0
	v_lshrrev_b32_e32 v1, 3, v2
	s_mov_b32 s24, exec_lo
	v_cmpx_gt_u32_e32 8, v2
; %bb.14:                               ;   in Loop: Header=BB251_10 Depth=1
	s_delay_alu instid0(VALU_DEP_3) | instskip(NEXT) | instid1(VALU_DEP_1)
	v_clz_i32_u32_e32 v1, v78
	v_min_u32_e32 v1, 32, v1
	s_delay_alu instid0(VALU_DEP_1) | instskip(SKIP_1) | instid1(VALU_DEP_2)
	v_subrev_nc_u32_e32 v2, 28, v1
	v_sub_nc_u32_e32 v1, 29, v1
	v_lshlrev_b64 v[2:3], v2, v[78:79]
	s_delay_alu instid0(VALU_DEP_1)
	v_and_b32_e32 v78, 7, v2
; %bb.15:                               ;   in Loop: Header=BB251_10 Depth=1
	s_or_b32 exec_lo, exec_lo, s24
	v_lshlrev_b32_e32 v2, 24, v0
	s_delay_alu instid0(VALU_DEP_2) | instskip(SKIP_1) | instid1(VALU_DEP_3)
	v_lshlrev_b32_e32 v3, 20, v78
	v_lshl_add_u32 v1, v1, 23, 0x3c000000
	v_and_b32_e32 v2, 0x80000000, v2
	s_delay_alu instid0(VALU_DEP_1)
	v_or3_b32 v78, v3, v2, v1
	scratch_store_b64 off, v[78:79], s32 offset:320 ; 8-byte Folded Spill
.LBB251_16:                             ;   in Loop: Header=BB251_10 Depth=1
	s_or_b32 exec_lo, exec_lo, s23
.LBB251_17:                             ;   in Loop: Header=BB251_10 Depth=1
	s_delay_alu instid0(SALU_CYCLE_1)
	s_or_b32 exec_lo, exec_lo, s18
.LBB251_18:                             ;   in Loop: Header=BB251_10 Depth=1
	s_delay_alu instid0(SALU_CYCLE_1) | instskip(SKIP_2) | instid1(VALU_DEP_1)
	s_or_b32 exec_lo, exec_lo, s3
	v_lshrrev_b16 v1, 8, v0
	s_mov_b32 s3, exec_lo
	v_cmpx_ne_u16_e32 0, v1
	s_cbranch_execz .LBB251_26
; %bb.19:                               ;   in Loop: Header=BB251_10 Depth=1
	v_dual_mov_b32 v61, s9 :: v_dual_mov_b32 v60, s8
	s_mov_b32 s23, exec_lo
	v_cmpx_ne_u16_e32 0x80, v1
	s_cbranch_execz .LBB251_25
; %bb.20:                               ;   in Loop: Header=BB251_10 Depth=1
	s_mov_b32 s18, s8
	v_and_b32_e32 v1, 0xffff, v1
	v_dual_mov_b32 v61, s19 :: v_dual_mov_b32 v60, s18
	s_mov_b32 s18, exec_lo
	s_delay_alu instid0(VALU_DEP_2) | instskip(NEXT) | instid1(VALU_DEP_1)
	v_and_b32_e32 v2, 0x7f, v1
	v_cmpx_ne_u32_e32 0x7f, v2
	s_cbranch_execz .LBB251_24
; %bb.21:                               ;   in Loop: Header=BB251_10 Depth=1
	v_and_b32_e32 v78, 7, v1
	v_lshrrev_b32_e32 v1, 3, v2
	s_mov_b32 s24, exec_lo
	v_cmpx_gt_u32_e32 8, v2
; %bb.22:                               ;   in Loop: Header=BB251_10 Depth=1
	s_delay_alu instid0(VALU_DEP_3) | instskip(NEXT) | instid1(VALU_DEP_1)
	v_clz_i32_u32_e32 v1, v78
	v_min_u32_e32 v1, 32, v1
	s_delay_alu instid0(VALU_DEP_1) | instskip(SKIP_1) | instid1(VALU_DEP_2)
	v_subrev_nc_u32_e32 v2, 28, v1
	v_sub_nc_u32_e32 v1, 29, v1
	v_lshlrev_b64 v[2:3], v2, v[78:79]
	s_delay_alu instid0(VALU_DEP_1)
	v_and_b32_e32 v78, 7, v2
; %bb.23:                               ;   in Loop: Header=BB251_10 Depth=1
	s_or_b32 exec_lo, exec_lo, s24
	v_lshlrev_b32_e32 v0, 16, v0
	s_delay_alu instid0(VALU_DEP_2) | instskip(SKIP_2) | instid1(VALU_DEP_4)
	v_lshlrev_b32_e32 v2, 20, v78
	v_lshl_add_u32 v1, v1, 23, 0x3c000000
	v_mov_b32_e32 v60, v79
	v_and_b32_e32 v0, 0x80000000, v0
	s_delay_alu instid0(VALU_DEP_1)
	v_or3_b32 v61, v2, v0, v1
.LBB251_24:                             ;   in Loop: Header=BB251_10 Depth=1
	s_or_b32 exec_lo, exec_lo, s18
.LBB251_25:                             ;   in Loop: Header=BB251_10 Depth=1
	s_delay_alu instid0(SALU_CYCLE_1)
	s_or_b32 exec_lo, exec_lo, s23
.LBB251_26:                             ;   in Loop: Header=BB251_10 Depth=1
	s_delay_alu instid0(SALU_CYCLE_1)
	s_or_b32 exec_lo, exec_lo, s3
	flat_load_u16 v0, v[88:89] offset:4
	v_mov_b32_e32 v72, 0
	v_mov_b32_e32 v73, 0
	s_mov_b32 s3, exec_lo
	s_waitcnt vmcnt(0) lgkmcnt(0)
	v_and_b32_e32 v1, 0xff, v0
	v_and_b32_e32 v0, 0xffff, v0
	scratch_store_b64 off, v[72:73], s32 offset:328 ; 8-byte Folded Spill
	v_cmpx_ne_u16_e32 0, v1
	s_cbranch_execz .LBB251_34
; %bb.27:                               ;   in Loop: Header=BB251_10 Depth=1
	v_bfrev_b32_e32 v2, 1
	v_and_b32_e32 v1, 0xff, v0
	v_mov_b32_e32 v3, 0
	s_mov_b32 s18, exec_lo
	scratch_store_b64 off, v[2:3], s32 offset:328 ; 8-byte Folded Spill
	v_cmpx_ne_u16_e32 0x80, v1
	s_cbranch_execz .LBB251_33
; %bb.28:                               ;   in Loop: Header=BB251_10 Depth=1
	v_mov_b32_e32 v3, 0x7f800001
	v_and_b32_e32 v2, 0x7f, v0
	v_mov_b32_e32 v4, 0
	s_mov_b32 s23, exec_lo
	scratch_store_b64 off, v[3:4], s32 offset:328 ; 8-byte Folded Spill
	v_cmpx_ne_u32_e32 0x7f, v2
	s_cbranch_execz .LBB251_32
; %bb.29:                               ;   in Loop: Header=BB251_10 Depth=1
	v_and_b32_e32 v78, 7, v0
	v_lshrrev_b32_e32 v1, 3, v2
	s_mov_b32 s24, exec_lo
	v_cmpx_gt_u32_e32 8, v2
; %bb.30:                               ;   in Loop: Header=BB251_10 Depth=1
	s_delay_alu instid0(VALU_DEP_3) | instskip(NEXT) | instid1(VALU_DEP_1)
	v_clz_i32_u32_e32 v1, v78
	v_min_u32_e32 v1, 32, v1
	s_delay_alu instid0(VALU_DEP_1) | instskip(SKIP_1) | instid1(VALU_DEP_2)
	v_subrev_nc_u32_e32 v2, 28, v1
	v_sub_nc_u32_e32 v1, 29, v1
	v_lshlrev_b64 v[2:3], v2, v[78:79]
	s_delay_alu instid0(VALU_DEP_1)
	v_and_b32_e32 v78, 7, v2
; %bb.31:                               ;   in Loop: Header=BB251_10 Depth=1
	s_or_b32 exec_lo, exec_lo, s24
	v_lshlrev_b32_e32 v2, 24, v0
	s_delay_alu instid0(VALU_DEP_2) | instskip(SKIP_1) | instid1(VALU_DEP_3)
	v_lshlrev_b32_e32 v3, 20, v78
	v_lshl_add_u32 v1, v1, 23, 0x3c000000
	v_and_b32_e32 v2, 0x80000000, v2
	s_delay_alu instid0(VALU_DEP_1)
	v_or3_b32 v78, v3, v2, v1
	scratch_store_b64 off, v[78:79], s32 offset:328 ; 8-byte Folded Spill
.LBB251_32:                             ;   in Loop: Header=BB251_10 Depth=1
	s_or_b32 exec_lo, exec_lo, s23
.LBB251_33:                             ;   in Loop: Header=BB251_10 Depth=1
	s_delay_alu instid0(SALU_CYCLE_1)
	s_or_b32 exec_lo, exec_lo, s18
.LBB251_34:                             ;   in Loop: Header=BB251_10 Depth=1
	s_delay_alu instid0(SALU_CYCLE_1) | instskip(SKIP_2) | instid1(VALU_DEP_1)
	s_or_b32 exec_lo, exec_lo, s3
	v_lshrrev_b16 v1, 8, v0
	s_mov_b32 s3, exec_lo
	v_cmpx_ne_u16_e32 0, v1
	s_cbranch_execz .LBB251_42
; %bb.35:                               ;   in Loop: Header=BB251_10 Depth=1
	v_dual_mov_b32 v73, s9 :: v_dual_mov_b32 v72, s8
	s_mov_b32 s23, exec_lo
	v_cmpx_ne_u16_e32 0x80, v1
	s_cbranch_execz .LBB251_41
; %bb.36:                               ;   in Loop: Header=BB251_10 Depth=1
	s_mov_b32 s18, s8
	v_and_b32_e32 v1, 0xffff, v1
	v_dual_mov_b32 v73, s19 :: v_dual_mov_b32 v72, s18
	s_mov_b32 s18, exec_lo
	s_delay_alu instid0(VALU_DEP_2) | instskip(NEXT) | instid1(VALU_DEP_1)
	v_and_b32_e32 v2, 0x7f, v1
	v_cmpx_ne_u32_e32 0x7f, v2
	s_cbranch_execz .LBB251_40
; %bb.37:                               ;   in Loop: Header=BB251_10 Depth=1
	v_and_b32_e32 v78, 7, v1
	v_lshrrev_b32_e32 v1, 3, v2
	s_mov_b32 s24, exec_lo
	v_cmpx_gt_u32_e32 8, v2
; %bb.38:                               ;   in Loop: Header=BB251_10 Depth=1
	s_delay_alu instid0(VALU_DEP_3) | instskip(NEXT) | instid1(VALU_DEP_1)
	v_clz_i32_u32_e32 v1, v78
	v_min_u32_e32 v1, 32, v1
	s_delay_alu instid0(VALU_DEP_1) | instskip(SKIP_1) | instid1(VALU_DEP_2)
	v_subrev_nc_u32_e32 v2, 28, v1
	v_sub_nc_u32_e32 v1, 29, v1
	v_lshlrev_b64 v[2:3], v2, v[78:79]
	s_delay_alu instid0(VALU_DEP_1)
	v_and_b32_e32 v78, 7, v2
; %bb.39:                               ;   in Loop: Header=BB251_10 Depth=1
	s_or_b32 exec_lo, exec_lo, s24
	v_lshlrev_b32_e32 v0, 16, v0
	s_delay_alu instid0(VALU_DEP_2) | instskip(SKIP_2) | instid1(VALU_DEP_4)
	v_lshlrev_b32_e32 v2, 20, v78
	v_lshl_add_u32 v1, v1, 23, 0x3c000000
	v_mov_b32_e32 v72, v79
	v_and_b32_e32 v0, 0x80000000, v0
	s_delay_alu instid0(VALU_DEP_1)
	v_or3_b32 v73, v2, v0, v1
.LBB251_40:                             ;   in Loop: Header=BB251_10 Depth=1
	s_or_b32 exec_lo, exec_lo, s18
.LBB251_41:                             ;   in Loop: Header=BB251_10 Depth=1
	s_delay_alu instid0(SALU_CYCLE_1)
	s_or_b32 exec_lo, exec_lo, s23
.LBB251_42:                             ;   in Loop: Header=BB251_10 Depth=1
	s_delay_alu instid0(SALU_CYCLE_1)
	s_or_b32 exec_lo, exec_lo, s3
	flat_load_u16 v0, v[88:89] offset:8
	v_mov_b32_e32 v76, 0
	v_mov_b32_e32 v77, 0
	s_mov_b32 s3, exec_lo
	s_waitcnt vmcnt(0) lgkmcnt(0)
	v_and_b32_e32 v1, 0xff, v0
	v_and_b32_e32 v0, 0xffff, v0
	scratch_store_b64 off, v[76:77], s32 offset:336 ; 8-byte Folded Spill
	v_cmpx_ne_u16_e32 0, v1
	s_cbranch_execz .LBB251_50
; %bb.43:                               ;   in Loop: Header=BB251_10 Depth=1
	v_bfrev_b32_e32 v2, 1
	v_and_b32_e32 v1, 0xff, v0
	v_mov_b32_e32 v3, 0
	s_mov_b32 s18, exec_lo
	scratch_store_b64 off, v[2:3], s32 offset:336 ; 8-byte Folded Spill
	v_cmpx_ne_u16_e32 0x80, v1
	s_cbranch_execz .LBB251_49
; %bb.44:                               ;   in Loop: Header=BB251_10 Depth=1
	v_mov_b32_e32 v3, 0x7f800001
	v_and_b32_e32 v2, 0x7f, v0
	v_mov_b32_e32 v4, 0
	s_mov_b32 s23, exec_lo
	scratch_store_b64 off, v[3:4], s32 offset:336 ; 8-byte Folded Spill
	v_cmpx_ne_u32_e32 0x7f, v2
	s_cbranch_execz .LBB251_48
; %bb.45:                               ;   in Loop: Header=BB251_10 Depth=1
	v_and_b32_e32 v78, 7, v0
	v_lshrrev_b32_e32 v1, 3, v2
	s_mov_b32 s24, exec_lo
	v_cmpx_gt_u32_e32 8, v2
; %bb.46:                               ;   in Loop: Header=BB251_10 Depth=1
	s_delay_alu instid0(VALU_DEP_3) | instskip(NEXT) | instid1(VALU_DEP_1)
	v_clz_i32_u32_e32 v1, v78
	v_min_u32_e32 v1, 32, v1
	s_delay_alu instid0(VALU_DEP_1) | instskip(SKIP_1) | instid1(VALU_DEP_2)
	v_subrev_nc_u32_e32 v2, 28, v1
	v_sub_nc_u32_e32 v1, 29, v1
	v_lshlrev_b64 v[2:3], v2, v[78:79]
	s_delay_alu instid0(VALU_DEP_1)
	v_and_b32_e32 v78, 7, v2
; %bb.47:                               ;   in Loop: Header=BB251_10 Depth=1
	s_or_b32 exec_lo, exec_lo, s24
	v_lshlrev_b32_e32 v2, 24, v0
	s_delay_alu instid0(VALU_DEP_2) | instskip(SKIP_1) | instid1(VALU_DEP_3)
	v_lshlrev_b32_e32 v3, 20, v78
	v_lshl_add_u32 v1, v1, 23, 0x3c000000
	v_and_b32_e32 v2, 0x80000000, v2
	s_delay_alu instid0(VALU_DEP_1)
	v_or3_b32 v78, v3, v2, v1
	scratch_store_b64 off, v[78:79], s32 offset:336 ; 8-byte Folded Spill
.LBB251_48:                             ;   in Loop: Header=BB251_10 Depth=1
	s_or_b32 exec_lo, exec_lo, s23
.LBB251_49:                             ;   in Loop: Header=BB251_10 Depth=1
	s_delay_alu instid0(SALU_CYCLE_1)
	s_or_b32 exec_lo, exec_lo, s18
.LBB251_50:                             ;   in Loop: Header=BB251_10 Depth=1
	s_delay_alu instid0(SALU_CYCLE_1) | instskip(SKIP_2) | instid1(VALU_DEP_1)
	s_or_b32 exec_lo, exec_lo, s3
	v_lshrrev_b16 v1, 8, v0
	s_mov_b32 s3, exec_lo
	v_cmpx_ne_u16_e32 0, v1
	s_cbranch_execz .LBB251_58
; %bb.51:                               ;   in Loop: Header=BB251_10 Depth=1
	v_dual_mov_b32 v77, s9 :: v_dual_mov_b32 v76, s8
	s_mov_b32 s23, exec_lo
	v_cmpx_ne_u16_e32 0x80, v1
	s_cbranch_execz .LBB251_57
; %bb.52:                               ;   in Loop: Header=BB251_10 Depth=1
	s_mov_b32 s18, s8
	v_and_b32_e32 v1, 0xffff, v1
	v_dual_mov_b32 v77, s19 :: v_dual_mov_b32 v76, s18
	s_mov_b32 s18, exec_lo
	s_delay_alu instid0(VALU_DEP_2) | instskip(NEXT) | instid1(VALU_DEP_1)
	v_and_b32_e32 v2, 0x7f, v1
	v_cmpx_ne_u32_e32 0x7f, v2
	s_cbranch_execz .LBB251_56
; %bb.53:                               ;   in Loop: Header=BB251_10 Depth=1
	v_and_b32_e32 v78, 7, v1
	v_lshrrev_b32_e32 v1, 3, v2
	s_mov_b32 s24, exec_lo
	v_cmpx_gt_u32_e32 8, v2
; %bb.54:                               ;   in Loop: Header=BB251_10 Depth=1
	s_delay_alu instid0(VALU_DEP_3) | instskip(NEXT) | instid1(VALU_DEP_1)
	v_clz_i32_u32_e32 v1, v78
	v_min_u32_e32 v1, 32, v1
	s_delay_alu instid0(VALU_DEP_1) | instskip(SKIP_1) | instid1(VALU_DEP_2)
	v_subrev_nc_u32_e32 v2, 28, v1
	v_sub_nc_u32_e32 v1, 29, v1
	v_lshlrev_b64 v[2:3], v2, v[78:79]
	s_delay_alu instid0(VALU_DEP_1)
	v_and_b32_e32 v78, 7, v2
; %bb.55:                               ;   in Loop: Header=BB251_10 Depth=1
	s_or_b32 exec_lo, exec_lo, s24
	v_lshlrev_b32_e32 v0, 16, v0
	s_delay_alu instid0(VALU_DEP_2) | instskip(SKIP_2) | instid1(VALU_DEP_4)
	v_lshlrev_b32_e32 v2, 20, v78
	v_lshl_add_u32 v1, v1, 23, 0x3c000000
	v_mov_b32_e32 v76, v79
	v_and_b32_e32 v0, 0x80000000, v0
	s_delay_alu instid0(VALU_DEP_1)
	v_or3_b32 v77, v2, v0, v1
.LBB251_56:                             ;   in Loop: Header=BB251_10 Depth=1
	s_or_b32 exec_lo, exec_lo, s18
.LBB251_57:                             ;   in Loop: Header=BB251_10 Depth=1
	s_delay_alu instid0(SALU_CYCLE_1)
	s_or_b32 exec_lo, exec_lo, s23
.LBB251_58:                             ;   in Loop: Header=BB251_10 Depth=1
	s_delay_alu instid0(SALU_CYCLE_1)
	s_or_b32 exec_lo, exec_lo, s3
	flat_load_u16 v0, v[88:89] offset:12
	v_mov_b32_e32 v90, 0
	v_mov_b32_e32 v91, 0
	s_mov_b32 s3, exec_lo
	s_waitcnt vmcnt(0) lgkmcnt(0)
	v_and_b32_e32 v1, 0xff, v0
	v_and_b32_e32 v0, 0xffff, v0
	scratch_store_b64 off, v[90:91], s32 offset:344 ; 8-byte Folded Spill
	v_cmpx_ne_u16_e32 0, v1
	s_cbranch_execz .LBB251_66
; %bb.59:                               ;   in Loop: Header=BB251_10 Depth=1
	v_bfrev_b32_e32 v2, 1
	v_and_b32_e32 v1, 0xff, v0
	v_mov_b32_e32 v3, 0
	s_mov_b32 s18, exec_lo
	scratch_store_b64 off, v[2:3], s32 offset:344 ; 8-byte Folded Spill
	v_cmpx_ne_u16_e32 0x80, v1
	s_cbranch_execz .LBB251_65
; %bb.60:                               ;   in Loop: Header=BB251_10 Depth=1
	v_mov_b32_e32 v3, 0x7f800001
	v_and_b32_e32 v2, 0x7f, v0
	v_mov_b32_e32 v4, 0
	s_mov_b32 s23, exec_lo
	scratch_store_b64 off, v[3:4], s32 offset:344 ; 8-byte Folded Spill
	v_cmpx_ne_u32_e32 0x7f, v2
	s_cbranch_execz .LBB251_64
; %bb.61:                               ;   in Loop: Header=BB251_10 Depth=1
	v_and_b32_e32 v78, 7, v0
	v_lshrrev_b32_e32 v1, 3, v2
	s_mov_b32 s24, exec_lo
	v_cmpx_gt_u32_e32 8, v2
; %bb.62:                               ;   in Loop: Header=BB251_10 Depth=1
	s_delay_alu instid0(VALU_DEP_3) | instskip(NEXT) | instid1(VALU_DEP_1)
	v_clz_i32_u32_e32 v1, v78
	v_min_u32_e32 v1, 32, v1
	s_delay_alu instid0(VALU_DEP_1) | instskip(SKIP_1) | instid1(VALU_DEP_2)
	v_subrev_nc_u32_e32 v2, 28, v1
	v_sub_nc_u32_e32 v1, 29, v1
	v_lshlrev_b64 v[2:3], v2, v[78:79]
	s_delay_alu instid0(VALU_DEP_1)
	v_and_b32_e32 v78, 7, v2
; %bb.63:                               ;   in Loop: Header=BB251_10 Depth=1
	s_or_b32 exec_lo, exec_lo, s24
	v_lshlrev_b32_e32 v2, 24, v0
	s_delay_alu instid0(VALU_DEP_2) | instskip(SKIP_1) | instid1(VALU_DEP_3)
	v_lshlrev_b32_e32 v3, 20, v78
	v_lshl_add_u32 v1, v1, 23, 0x3c000000
	v_and_b32_e32 v2, 0x80000000, v2
	s_delay_alu instid0(VALU_DEP_1)
	v_or3_b32 v78, v3, v2, v1
	scratch_store_b64 off, v[78:79], s32 offset:344 ; 8-byte Folded Spill
.LBB251_64:                             ;   in Loop: Header=BB251_10 Depth=1
	s_or_b32 exec_lo, exec_lo, s23
.LBB251_65:                             ;   in Loop: Header=BB251_10 Depth=1
	s_delay_alu instid0(SALU_CYCLE_1)
	s_or_b32 exec_lo, exec_lo, s18
.LBB251_66:                             ;   in Loop: Header=BB251_10 Depth=1
	s_delay_alu instid0(SALU_CYCLE_1) | instskip(SKIP_2) | instid1(VALU_DEP_1)
	s_or_b32 exec_lo, exec_lo, s3
	v_lshrrev_b16 v1, 8, v0
	s_mov_b32 s3, exec_lo
	v_cmpx_ne_u16_e32 0, v1
	s_cbranch_execz .LBB251_74
; %bb.67:                               ;   in Loop: Header=BB251_10 Depth=1
	v_dual_mov_b32 v91, s9 :: v_dual_mov_b32 v90, s8
	s_mov_b32 s23, exec_lo
	v_cmpx_ne_u16_e32 0x80, v1
	s_cbranch_execz .LBB251_73
; %bb.68:                               ;   in Loop: Header=BB251_10 Depth=1
	s_mov_b32 s18, s8
	v_and_b32_e32 v1, 0xffff, v1
	v_dual_mov_b32 v91, s19 :: v_dual_mov_b32 v90, s18
	s_mov_b32 s18, exec_lo
	s_delay_alu instid0(VALU_DEP_2) | instskip(NEXT) | instid1(VALU_DEP_1)
	v_and_b32_e32 v2, 0x7f, v1
	v_cmpx_ne_u32_e32 0x7f, v2
	s_cbranch_execz .LBB251_72
; %bb.69:                               ;   in Loop: Header=BB251_10 Depth=1
	v_and_b32_e32 v78, 7, v1
	v_lshrrev_b32_e32 v1, 3, v2
	s_mov_b32 s24, exec_lo
	v_cmpx_gt_u32_e32 8, v2
; %bb.70:                               ;   in Loop: Header=BB251_10 Depth=1
	s_delay_alu instid0(VALU_DEP_3) | instskip(NEXT) | instid1(VALU_DEP_1)
	v_clz_i32_u32_e32 v1, v78
	v_min_u32_e32 v1, 32, v1
	s_delay_alu instid0(VALU_DEP_1) | instskip(SKIP_1) | instid1(VALU_DEP_2)
	v_subrev_nc_u32_e32 v2, 28, v1
	v_sub_nc_u32_e32 v1, 29, v1
	v_lshlrev_b64 v[2:3], v2, v[78:79]
	s_delay_alu instid0(VALU_DEP_1)
	v_and_b32_e32 v78, 7, v2
; %bb.71:                               ;   in Loop: Header=BB251_10 Depth=1
	s_or_b32 exec_lo, exec_lo, s24
	v_lshlrev_b32_e32 v0, 16, v0
	s_delay_alu instid0(VALU_DEP_2) | instskip(SKIP_2) | instid1(VALU_DEP_4)
	v_lshlrev_b32_e32 v2, 20, v78
	v_lshl_add_u32 v1, v1, 23, 0x3c000000
	v_mov_b32_e32 v90, v79
	v_and_b32_e32 v0, 0x80000000, v0
	s_delay_alu instid0(VALU_DEP_1)
	v_or3_b32 v91, v2, v0, v1
.LBB251_72:                             ;   in Loop: Header=BB251_10 Depth=1
	s_or_b32 exec_lo, exec_lo, s18
.LBB251_73:                             ;   in Loop: Header=BB251_10 Depth=1
	s_delay_alu instid0(SALU_CYCLE_1)
	s_or_b32 exec_lo, exec_lo, s23
.LBB251_74:                             ;   in Loop: Header=BB251_10 Depth=1
	s_delay_alu instid0(SALU_CYCLE_1)
	s_or_b32 exec_lo, exec_lo, s3
	flat_load_u16 v0, v[88:89] offset:256
	v_mov_b32_e32 v94, 0
	v_mov_b32_e32 v95, 0
	s_mov_b32 s3, exec_lo
	s_waitcnt vmcnt(0) lgkmcnt(0)
	v_and_b32_e32 v1, 0xff, v0
	v_and_b32_e32 v0, 0xffff, v0
	scratch_store_b64 off, v[94:95], s32 offset:352 ; 8-byte Folded Spill
	v_cmpx_ne_u16_e32 0, v1
	s_cbranch_execz .LBB251_82
; %bb.75:                               ;   in Loop: Header=BB251_10 Depth=1
	v_bfrev_b32_e32 v2, 1
	v_and_b32_e32 v1, 0xff, v0
	v_mov_b32_e32 v3, 0
	s_mov_b32 s18, exec_lo
	scratch_store_b64 off, v[2:3], s32 offset:352 ; 8-byte Folded Spill
	v_cmpx_ne_u16_e32 0x80, v1
	s_cbranch_execz .LBB251_81
; %bb.76:                               ;   in Loop: Header=BB251_10 Depth=1
	v_mov_b32_e32 v3, 0x7f800001
	v_and_b32_e32 v2, 0x7f, v0
	v_mov_b32_e32 v4, 0
	s_mov_b32 s23, exec_lo
	scratch_store_b64 off, v[3:4], s32 offset:352 ; 8-byte Folded Spill
	v_cmpx_ne_u32_e32 0x7f, v2
	s_cbranch_execz .LBB251_80
; %bb.77:                               ;   in Loop: Header=BB251_10 Depth=1
	v_and_b32_e32 v78, 7, v0
	v_lshrrev_b32_e32 v1, 3, v2
	s_mov_b32 s24, exec_lo
	v_cmpx_gt_u32_e32 8, v2
; %bb.78:                               ;   in Loop: Header=BB251_10 Depth=1
	s_delay_alu instid0(VALU_DEP_3) | instskip(NEXT) | instid1(VALU_DEP_1)
	v_clz_i32_u32_e32 v1, v78
	v_min_u32_e32 v1, 32, v1
	s_delay_alu instid0(VALU_DEP_1) | instskip(SKIP_1) | instid1(VALU_DEP_2)
	v_subrev_nc_u32_e32 v2, 28, v1
	v_sub_nc_u32_e32 v1, 29, v1
	v_lshlrev_b64 v[2:3], v2, v[78:79]
	s_delay_alu instid0(VALU_DEP_1)
	v_and_b32_e32 v78, 7, v2
; %bb.79:                               ;   in Loop: Header=BB251_10 Depth=1
	s_or_b32 exec_lo, exec_lo, s24
	v_lshlrev_b32_e32 v2, 24, v0
	s_delay_alu instid0(VALU_DEP_2) | instskip(SKIP_1) | instid1(VALU_DEP_3)
	v_lshlrev_b32_e32 v3, 20, v78
	v_lshl_add_u32 v1, v1, 23, 0x3c000000
	v_and_b32_e32 v2, 0x80000000, v2
	s_delay_alu instid0(VALU_DEP_1)
	v_or3_b32 v78, v3, v2, v1
	scratch_store_b64 off, v[78:79], s32 offset:352 ; 8-byte Folded Spill
.LBB251_80:                             ;   in Loop: Header=BB251_10 Depth=1
	s_or_b32 exec_lo, exec_lo, s23
.LBB251_81:                             ;   in Loop: Header=BB251_10 Depth=1
	s_delay_alu instid0(SALU_CYCLE_1)
	s_or_b32 exec_lo, exec_lo, s18
.LBB251_82:                             ;   in Loop: Header=BB251_10 Depth=1
	s_delay_alu instid0(SALU_CYCLE_1) | instskip(SKIP_2) | instid1(VALU_DEP_1)
	s_or_b32 exec_lo, exec_lo, s3
	v_lshrrev_b16 v1, 8, v0
	s_mov_b32 s3, exec_lo
	v_cmpx_ne_u16_e32 0, v1
	s_cbranch_execz .LBB251_90
; %bb.83:                               ;   in Loop: Header=BB251_10 Depth=1
	v_dual_mov_b32 v95, s9 :: v_dual_mov_b32 v94, s8
	s_mov_b32 s23, exec_lo
	v_cmpx_ne_u16_e32 0x80, v1
	s_cbranch_execz .LBB251_89
; %bb.84:                               ;   in Loop: Header=BB251_10 Depth=1
	s_mov_b32 s18, s8
	v_and_b32_e32 v1, 0xffff, v1
	v_dual_mov_b32 v95, s19 :: v_dual_mov_b32 v94, s18
	s_mov_b32 s18, exec_lo
	s_delay_alu instid0(VALU_DEP_2) | instskip(NEXT) | instid1(VALU_DEP_1)
	v_and_b32_e32 v2, 0x7f, v1
	v_cmpx_ne_u32_e32 0x7f, v2
	s_cbranch_execz .LBB251_88
; %bb.85:                               ;   in Loop: Header=BB251_10 Depth=1
	v_and_b32_e32 v78, 7, v1
	v_lshrrev_b32_e32 v1, 3, v2
	s_mov_b32 s24, exec_lo
	v_cmpx_gt_u32_e32 8, v2
; %bb.86:                               ;   in Loop: Header=BB251_10 Depth=1
	s_delay_alu instid0(VALU_DEP_3) | instskip(NEXT) | instid1(VALU_DEP_1)
	v_clz_i32_u32_e32 v1, v78
	v_min_u32_e32 v1, 32, v1
	s_delay_alu instid0(VALU_DEP_1) | instskip(SKIP_1) | instid1(VALU_DEP_2)
	v_subrev_nc_u32_e32 v2, 28, v1
	v_sub_nc_u32_e32 v1, 29, v1
	v_lshlrev_b64 v[2:3], v2, v[78:79]
	s_delay_alu instid0(VALU_DEP_1)
	v_and_b32_e32 v78, 7, v2
; %bb.87:                               ;   in Loop: Header=BB251_10 Depth=1
	s_or_b32 exec_lo, exec_lo, s24
	v_lshlrev_b32_e32 v0, 16, v0
	s_delay_alu instid0(VALU_DEP_2) | instskip(SKIP_2) | instid1(VALU_DEP_4)
	v_lshlrev_b32_e32 v2, 20, v78
	v_lshl_add_u32 v1, v1, 23, 0x3c000000
	v_mov_b32_e32 v94, v79
	v_and_b32_e32 v0, 0x80000000, v0
	s_delay_alu instid0(VALU_DEP_1)
	v_or3_b32 v95, v2, v0, v1
.LBB251_88:                             ;   in Loop: Header=BB251_10 Depth=1
	s_or_b32 exec_lo, exec_lo, s18
.LBB251_89:                             ;   in Loop: Header=BB251_10 Depth=1
	s_delay_alu instid0(SALU_CYCLE_1)
	s_or_b32 exec_lo, exec_lo, s23
.LBB251_90:                             ;   in Loop: Header=BB251_10 Depth=1
	s_delay_alu instid0(SALU_CYCLE_1)
	s_or_b32 exec_lo, exec_lo, s3
	flat_load_u16 v0, v[88:89] offset:260
	v_mov_b32_e32 v106, 0
	v_mov_b32_e32 v107, 0
	s_mov_b32 s3, exec_lo
	s_waitcnt vmcnt(0) lgkmcnt(0)
	v_and_b32_e32 v1, 0xff, v0
	v_and_b32_e32 v0, 0xffff, v0
	scratch_store_b64 off, v[106:107], s32 offset:360 ; 8-byte Folded Spill
	v_cmpx_ne_u16_e32 0, v1
	s_cbranch_execz .LBB251_98
; %bb.91:                               ;   in Loop: Header=BB251_10 Depth=1
	v_bfrev_b32_e32 v2, 1
	v_and_b32_e32 v1, 0xff, v0
	v_mov_b32_e32 v3, 0
	s_mov_b32 s18, exec_lo
	scratch_store_b64 off, v[2:3], s32 offset:360 ; 8-byte Folded Spill
	v_cmpx_ne_u16_e32 0x80, v1
	s_cbranch_execz .LBB251_97
; %bb.92:                               ;   in Loop: Header=BB251_10 Depth=1
	v_mov_b32_e32 v3, 0x7f800001
	v_and_b32_e32 v2, 0x7f, v0
	v_mov_b32_e32 v4, 0
	s_mov_b32 s23, exec_lo
	scratch_store_b64 off, v[3:4], s32 offset:360 ; 8-byte Folded Spill
	v_cmpx_ne_u32_e32 0x7f, v2
	s_cbranch_execz .LBB251_96
; %bb.93:                               ;   in Loop: Header=BB251_10 Depth=1
	v_and_b32_e32 v78, 7, v0
	v_lshrrev_b32_e32 v1, 3, v2
	s_mov_b32 s24, exec_lo
	v_cmpx_gt_u32_e32 8, v2
; %bb.94:                               ;   in Loop: Header=BB251_10 Depth=1
	s_delay_alu instid0(VALU_DEP_3) | instskip(NEXT) | instid1(VALU_DEP_1)
	v_clz_i32_u32_e32 v1, v78
	v_min_u32_e32 v1, 32, v1
	s_delay_alu instid0(VALU_DEP_1) | instskip(SKIP_1) | instid1(VALU_DEP_2)
	v_subrev_nc_u32_e32 v2, 28, v1
	v_sub_nc_u32_e32 v1, 29, v1
	v_lshlrev_b64 v[2:3], v2, v[78:79]
	s_delay_alu instid0(VALU_DEP_1)
	v_and_b32_e32 v78, 7, v2
; %bb.95:                               ;   in Loop: Header=BB251_10 Depth=1
	s_or_b32 exec_lo, exec_lo, s24
	v_lshlrev_b32_e32 v2, 24, v0
	s_delay_alu instid0(VALU_DEP_2) | instskip(SKIP_1) | instid1(VALU_DEP_3)
	v_lshlrev_b32_e32 v3, 20, v78
	v_lshl_add_u32 v1, v1, 23, 0x3c000000
	v_and_b32_e32 v2, 0x80000000, v2
	s_delay_alu instid0(VALU_DEP_1)
	v_or3_b32 v78, v3, v2, v1
	scratch_store_b64 off, v[78:79], s32 offset:360 ; 8-byte Folded Spill
.LBB251_96:                             ;   in Loop: Header=BB251_10 Depth=1
	s_or_b32 exec_lo, exec_lo, s23
.LBB251_97:                             ;   in Loop: Header=BB251_10 Depth=1
	s_delay_alu instid0(SALU_CYCLE_1)
	s_or_b32 exec_lo, exec_lo, s18
.LBB251_98:                             ;   in Loop: Header=BB251_10 Depth=1
	s_delay_alu instid0(SALU_CYCLE_1) | instskip(SKIP_2) | instid1(VALU_DEP_1)
	s_or_b32 exec_lo, exec_lo, s3
	v_lshrrev_b16 v1, 8, v0
	s_mov_b32 s3, exec_lo
	v_cmpx_ne_u16_e32 0, v1
	s_cbranch_execz .LBB251_106
; %bb.99:                               ;   in Loop: Header=BB251_10 Depth=1
	v_dual_mov_b32 v107, s9 :: v_dual_mov_b32 v106, s8
	s_mov_b32 s23, exec_lo
	v_cmpx_ne_u16_e32 0x80, v1
	s_cbranch_execz .LBB251_105
; %bb.100:                              ;   in Loop: Header=BB251_10 Depth=1
	s_mov_b32 s18, s8
	v_and_b32_e32 v1, 0xffff, v1
	v_dual_mov_b32 v107, s19 :: v_dual_mov_b32 v106, s18
	s_mov_b32 s18, exec_lo
	s_delay_alu instid0(VALU_DEP_2) | instskip(NEXT) | instid1(VALU_DEP_1)
	v_and_b32_e32 v2, 0x7f, v1
	v_cmpx_ne_u32_e32 0x7f, v2
	s_cbranch_execz .LBB251_104
; %bb.101:                              ;   in Loop: Header=BB251_10 Depth=1
	v_and_b32_e32 v78, 7, v1
	v_lshrrev_b32_e32 v1, 3, v2
	s_mov_b32 s24, exec_lo
	v_cmpx_gt_u32_e32 8, v2
; %bb.102:                              ;   in Loop: Header=BB251_10 Depth=1
	s_delay_alu instid0(VALU_DEP_3) | instskip(NEXT) | instid1(VALU_DEP_1)
	v_clz_i32_u32_e32 v1, v78
	v_min_u32_e32 v1, 32, v1
	s_delay_alu instid0(VALU_DEP_1) | instskip(SKIP_1) | instid1(VALU_DEP_2)
	v_subrev_nc_u32_e32 v2, 28, v1
	v_sub_nc_u32_e32 v1, 29, v1
	v_lshlrev_b64 v[2:3], v2, v[78:79]
	s_delay_alu instid0(VALU_DEP_1)
	v_and_b32_e32 v78, 7, v2
; %bb.103:                              ;   in Loop: Header=BB251_10 Depth=1
	s_or_b32 exec_lo, exec_lo, s24
	v_lshlrev_b32_e32 v0, 16, v0
	s_delay_alu instid0(VALU_DEP_2) | instskip(SKIP_2) | instid1(VALU_DEP_4)
	v_lshlrev_b32_e32 v2, 20, v78
	v_lshl_add_u32 v1, v1, 23, 0x3c000000
	v_mov_b32_e32 v106, v79
	v_and_b32_e32 v0, 0x80000000, v0
	s_delay_alu instid0(VALU_DEP_1)
	v_or3_b32 v107, v2, v0, v1
.LBB251_104:                            ;   in Loop: Header=BB251_10 Depth=1
	s_or_b32 exec_lo, exec_lo, s18
.LBB251_105:                            ;   in Loop: Header=BB251_10 Depth=1
	s_delay_alu instid0(SALU_CYCLE_1)
	s_or_b32 exec_lo, exec_lo, s23
.LBB251_106:                            ;   in Loop: Header=BB251_10 Depth=1
	s_delay_alu instid0(SALU_CYCLE_1) | instskip(SKIP_1) | instid1(VALU_DEP_1)
	s_or_b32 exec_lo, exec_lo, s3
	v_add_co_u32 v0, s2, 0x100, v88
	v_add_co_ci_u32_e64 v1, s2, 0, v89, s2
	s_mov_b32 s3, exec_lo
	flat_load_u16 v2, v[0:1] offset:8
	v_mov_b32_e32 v110, 0
	v_mov_b32_e32 v111, 0
	s_waitcnt vmcnt(0) lgkmcnt(0)
	v_and_b32_e32 v3, 0xff, v2
	v_and_b32_e32 v2, 0xffff, v2
	scratch_store_b64 off, v[110:111], s32 offset:368 ; 8-byte Folded Spill
	v_cmpx_ne_u16_e32 0, v3
	s_cbranch_execz .LBB251_114
; %bb.107:                              ;   in Loop: Header=BB251_10 Depth=1
	v_bfrev_b32_e32 v4, 1
	v_and_b32_e32 v3, 0xff, v2
	v_mov_b32_e32 v5, 0
	s_mov_b32 s18, exec_lo
	scratch_store_b64 off, v[4:5], s32 offset:368 ; 8-byte Folded Spill
	v_cmpx_ne_u16_e32 0x80, v3
	s_cbranch_execz .LBB251_113
; %bb.108:                              ;   in Loop: Header=BB251_10 Depth=1
	v_mov_b32_e32 v5, 0x7f800001
	v_and_b32_e32 v4, 0x7f, v2
	v_mov_b32_e32 v6, 0
	s_mov_b32 s23, exec_lo
	scratch_store_b64 off, v[5:6], s32 offset:368 ; 8-byte Folded Spill
	v_cmpx_ne_u32_e32 0x7f, v4
	s_cbranch_execz .LBB251_112
; %bb.109:                              ;   in Loop: Header=BB251_10 Depth=1
	v_and_b32_e32 v78, 7, v2
	v_lshrrev_b32_e32 v3, 3, v4
	s_mov_b32 s24, exec_lo
	v_cmpx_gt_u32_e32 8, v4
; %bb.110:                              ;   in Loop: Header=BB251_10 Depth=1
	s_delay_alu instid0(VALU_DEP_3) | instskip(NEXT) | instid1(VALU_DEP_1)
	v_clz_i32_u32_e32 v3, v78
	v_min_u32_e32 v3, 32, v3
	s_delay_alu instid0(VALU_DEP_1) | instskip(SKIP_1) | instid1(VALU_DEP_2)
	v_subrev_nc_u32_e32 v4, 28, v3
	v_sub_nc_u32_e32 v3, 29, v3
	v_lshlrev_b64 v[4:5], v4, v[78:79]
	s_delay_alu instid0(VALU_DEP_1)
	v_and_b32_e32 v78, 7, v4
; %bb.111:                              ;   in Loop: Header=BB251_10 Depth=1
	s_or_b32 exec_lo, exec_lo, s24
	v_lshlrev_b32_e32 v4, 24, v2
	s_delay_alu instid0(VALU_DEP_2) | instskip(SKIP_1) | instid1(VALU_DEP_3)
	v_lshlrev_b32_e32 v5, 20, v78
	v_lshl_add_u32 v3, v3, 23, 0x3c000000
	v_and_b32_e32 v4, 0x80000000, v4
	s_delay_alu instid0(VALU_DEP_1)
	v_or3_b32 v78, v5, v4, v3
	scratch_store_b64 off, v[78:79], s32 offset:368 ; 8-byte Folded Spill
.LBB251_112:                            ;   in Loop: Header=BB251_10 Depth=1
	s_or_b32 exec_lo, exec_lo, s23
.LBB251_113:                            ;   in Loop: Header=BB251_10 Depth=1
	s_delay_alu instid0(SALU_CYCLE_1)
	s_or_b32 exec_lo, exec_lo, s18
.LBB251_114:                            ;   in Loop: Header=BB251_10 Depth=1
	s_delay_alu instid0(SALU_CYCLE_1) | instskip(SKIP_2) | instid1(VALU_DEP_1)
	s_or_b32 exec_lo, exec_lo, s3
	v_lshrrev_b16 v3, 8, v2
	s_mov_b32 s3, exec_lo
	v_cmpx_ne_u16_e32 0, v3
	s_cbranch_execz .LBB251_122
; %bb.115:                              ;   in Loop: Header=BB251_10 Depth=1
	v_dual_mov_b32 v111, s9 :: v_dual_mov_b32 v110, s8
	s_mov_b32 s23, exec_lo
	v_cmpx_ne_u16_e32 0x80, v3
	s_cbranch_execz .LBB251_121
; %bb.116:                              ;   in Loop: Header=BB251_10 Depth=1
	s_mov_b32 s18, s8
	v_and_b32_e32 v3, 0xffff, v3
	v_dual_mov_b32 v111, s19 :: v_dual_mov_b32 v110, s18
	s_mov_b32 s18, exec_lo
	s_delay_alu instid0(VALU_DEP_2) | instskip(NEXT) | instid1(VALU_DEP_1)
	v_and_b32_e32 v4, 0x7f, v3
	v_cmpx_ne_u32_e32 0x7f, v4
	s_cbranch_execz .LBB251_120
; %bb.117:                              ;   in Loop: Header=BB251_10 Depth=1
	v_and_b32_e32 v78, 7, v3
	v_lshrrev_b32_e32 v3, 3, v4
	s_mov_b32 s24, exec_lo
	v_cmpx_gt_u32_e32 8, v4
; %bb.118:                              ;   in Loop: Header=BB251_10 Depth=1
	s_delay_alu instid0(VALU_DEP_3) | instskip(NEXT) | instid1(VALU_DEP_1)
	v_clz_i32_u32_e32 v3, v78
	v_min_u32_e32 v3, 32, v3
	s_delay_alu instid0(VALU_DEP_1) | instskip(SKIP_1) | instid1(VALU_DEP_2)
	v_subrev_nc_u32_e32 v4, 28, v3
	v_sub_nc_u32_e32 v3, 29, v3
	v_lshlrev_b64 v[4:5], v4, v[78:79]
	s_delay_alu instid0(VALU_DEP_1)
	v_and_b32_e32 v78, 7, v4
; %bb.119:                              ;   in Loop: Header=BB251_10 Depth=1
	s_or_b32 exec_lo, exec_lo, s24
	v_lshlrev_b32_e32 v2, 16, v2
	s_delay_alu instid0(VALU_DEP_2) | instskip(SKIP_2) | instid1(VALU_DEP_4)
	v_lshlrev_b32_e32 v4, 20, v78
	v_lshl_add_u32 v3, v3, 23, 0x3c000000
	v_mov_b32_e32 v110, v79
	v_and_b32_e32 v2, 0x80000000, v2
	s_delay_alu instid0(VALU_DEP_1)
	v_or3_b32 v111, v4, v2, v3
.LBB251_120:                            ;   in Loop: Header=BB251_10 Depth=1
	s_or_b32 exec_lo, exec_lo, s18
.LBB251_121:                            ;   in Loop: Header=BB251_10 Depth=1
	s_delay_alu instid0(SALU_CYCLE_1)
	s_or_b32 exec_lo, exec_lo, s23
.LBB251_122:                            ;   in Loop: Header=BB251_10 Depth=1
	s_delay_alu instid0(SALU_CYCLE_1)
	s_or_b32 exec_lo, exec_lo, s3
	flat_load_u16 v0, v[0:1] offset:12
	v_mov_b32_e32 v122, 0
	v_mov_b32_e32 v123, 0
	s_mov_b32 s3, exec_lo
	s_waitcnt vmcnt(0) lgkmcnt(0)
	v_and_b32_e32 v1, 0xff, v0
	s_delay_alu instid0(VALU_DEP_2) | instskip(SKIP_1) | instid1(VALU_DEP_3)
	v_dual_mov_b32 v125, v123 :: v_dual_and_b32 v0, 0xffff, v0
	v_mov_b32_e32 v124, v122
	v_cmpx_ne_u16_e32 0, v1
	s_cbranch_execz .LBB251_130
; %bb.123:                              ;   in Loop: Header=BB251_10 Depth=1
	v_bfrev_b32_e32 v124, 1
	v_and_b32_e32 v1, 0xff, v0
	v_mov_b32_e32 v125, 0
	s_mov_b32 s18, exec_lo
	s_delay_alu instid0(VALU_DEP_2)
	v_cmpx_ne_u16_e32 0x80, v1
	s_cbranch_execz .LBB251_129
; %bb.124:                              ;   in Loop: Header=BB251_10 Depth=1
	v_mov_b32_e32 v124, 0x7f800001
	v_dual_mov_b32 v125, 0 :: v_dual_and_b32 v2, 0x7f, v0
	s_mov_b32 s23, exec_lo
	s_delay_alu instid0(VALU_DEP_1)
	v_cmpx_ne_u32_e32 0x7f, v2
	s_cbranch_execz .LBB251_128
; %bb.125:                              ;   in Loop: Header=BB251_10 Depth=1
	v_and_b32_e32 v78, 7, v0
	v_lshrrev_b32_e32 v1, 3, v2
	s_mov_b32 s24, exec_lo
	v_cmpx_gt_u32_e32 8, v2
; %bb.126:                              ;   in Loop: Header=BB251_10 Depth=1
	s_delay_alu instid0(VALU_DEP_3) | instskip(NEXT) | instid1(VALU_DEP_1)
	v_clz_i32_u32_e32 v1, v78
	v_min_u32_e32 v1, 32, v1
	s_delay_alu instid0(VALU_DEP_1) | instskip(SKIP_1) | instid1(VALU_DEP_2)
	v_subrev_nc_u32_e32 v2, 28, v1
	v_sub_nc_u32_e32 v1, 29, v1
	v_lshlrev_b64 v[2:3], v2, v[78:79]
	s_delay_alu instid0(VALU_DEP_1)
	v_and_b32_e32 v78, 7, v2
; %bb.127:                              ;   in Loop: Header=BB251_10 Depth=1
	s_or_b32 exec_lo, exec_lo, s24
	v_lshlrev_b32_e32 v2, 24, v0
	s_delay_alu instid0(VALU_DEP_2) | instskip(SKIP_1) | instid1(VALU_DEP_3)
	v_lshlrev_b32_e32 v3, 20, v78
	v_lshl_add_u32 v1, v1, 23, 0x3c000000
	v_and_b32_e32 v2, 0x80000000, v2
	s_delay_alu instid0(VALU_DEP_1) | instskip(NEXT) | instid1(VALU_DEP_1)
	v_or3_b32 v78, v3, v2, v1
	v_dual_mov_b32 v125, v79 :: v_dual_mov_b32 v124, v78
.LBB251_128:                            ;   in Loop: Header=BB251_10 Depth=1
	s_or_b32 exec_lo, exec_lo, s23
.LBB251_129:                            ;   in Loop: Header=BB251_10 Depth=1
	s_delay_alu instid0(SALU_CYCLE_1)
	s_or_b32 exec_lo, exec_lo, s18
.LBB251_130:                            ;   in Loop: Header=BB251_10 Depth=1
	s_delay_alu instid0(SALU_CYCLE_1) | instskip(SKIP_2) | instid1(VALU_DEP_1)
	s_or_b32 exec_lo, exec_lo, s3
	v_lshrrev_b16 v1, 8, v0
	s_mov_b32 s3, exec_lo
	v_cmpx_ne_u16_e32 0, v1
	s_cbranch_execz .LBB251_138
; %bb.131:                              ;   in Loop: Header=BB251_10 Depth=1
	v_dual_mov_b32 v123, s9 :: v_dual_mov_b32 v122, s8
	s_mov_b32 s23, exec_lo
	v_cmpx_ne_u16_e32 0x80, v1
	s_cbranch_execz .LBB251_137
; %bb.132:                              ;   in Loop: Header=BB251_10 Depth=1
	s_mov_b32 s18, s8
	v_and_b32_e32 v1, 0xffff, v1
	v_dual_mov_b32 v123, s19 :: v_dual_mov_b32 v122, s18
	s_mov_b32 s18, exec_lo
	s_delay_alu instid0(VALU_DEP_2) | instskip(NEXT) | instid1(VALU_DEP_1)
	v_and_b32_e32 v2, 0x7f, v1
	v_cmpx_ne_u32_e32 0x7f, v2
	s_cbranch_execz .LBB251_136
; %bb.133:                              ;   in Loop: Header=BB251_10 Depth=1
	v_and_b32_e32 v78, 7, v1
	v_lshrrev_b32_e32 v1, 3, v2
	s_mov_b32 s24, exec_lo
	v_cmpx_gt_u32_e32 8, v2
; %bb.134:                              ;   in Loop: Header=BB251_10 Depth=1
	s_delay_alu instid0(VALU_DEP_3) | instskip(NEXT) | instid1(VALU_DEP_1)
	v_clz_i32_u32_e32 v1, v78
	v_min_u32_e32 v1, 32, v1
	s_delay_alu instid0(VALU_DEP_1) | instskip(SKIP_1) | instid1(VALU_DEP_2)
	v_subrev_nc_u32_e32 v2, 28, v1
	v_sub_nc_u32_e32 v1, 29, v1
	v_lshlrev_b64 v[2:3], v2, v[78:79]
	s_delay_alu instid0(VALU_DEP_1)
	v_and_b32_e32 v78, 7, v2
; %bb.135:                              ;   in Loop: Header=BB251_10 Depth=1
	s_or_b32 exec_lo, exec_lo, s24
	v_lshlrev_b32_e32 v0, 16, v0
	s_delay_alu instid0(VALU_DEP_2) | instskip(SKIP_2) | instid1(VALU_DEP_4)
	v_lshlrev_b32_e32 v2, 20, v78
	v_lshl_add_u32 v1, v1, 23, 0x3c000000
	v_mov_b32_e32 v122, v79
	v_and_b32_e32 v0, 0x80000000, v0
	s_delay_alu instid0(VALU_DEP_1)
	v_or3_b32 v123, v2, v0, v1
.LBB251_136:                            ;   in Loop: Header=BB251_10 Depth=1
	s_or_b32 exec_lo, exec_lo, s18
.LBB251_137:                            ;   in Loop: Header=BB251_10 Depth=1
	s_delay_alu instid0(SALU_CYCLE_1)
	s_or_b32 exec_lo, exec_lo, s23
.LBB251_138:                            ;   in Loop: Header=BB251_10 Depth=1
	s_delay_alu instid0(SALU_CYCLE_1)
	s_or_b32 exec_lo, exec_lo, s3
	flat_load_u16 v0, v[88:89] offset:512
	v_mov_b32_e32 v126, 0
	v_mov_b32_e32 v127, 0
	s_mov_b32 s3, exec_lo
	s_waitcnt vmcnt(0) lgkmcnt(0)
	v_and_b32_e32 v1, 0xff, v0
	s_delay_alu instid0(VALU_DEP_2) | instskip(SKIP_1) | instid1(VALU_DEP_3)
	v_dual_mov_b32 v137, v127 :: v_dual_and_b32 v0, 0xffff, v0
	v_mov_b32_e32 v136, v126
	v_cmpx_ne_u16_e32 0, v1
	s_cbranch_execz .LBB251_146
; %bb.139:                              ;   in Loop: Header=BB251_10 Depth=1
	v_bfrev_b32_e32 v136, 1
	v_and_b32_e32 v1, 0xff, v0
	v_mov_b32_e32 v137, 0
	s_mov_b32 s18, exec_lo
	s_delay_alu instid0(VALU_DEP_2)
	v_cmpx_ne_u16_e32 0x80, v1
	s_cbranch_execz .LBB251_145
; %bb.140:                              ;   in Loop: Header=BB251_10 Depth=1
	v_mov_b32_e32 v136, 0x7f800001
	v_dual_mov_b32 v137, 0 :: v_dual_and_b32 v2, 0x7f, v0
	s_mov_b32 s23, exec_lo
	s_delay_alu instid0(VALU_DEP_1)
	v_cmpx_ne_u32_e32 0x7f, v2
	s_cbranch_execz .LBB251_144
; %bb.141:                              ;   in Loop: Header=BB251_10 Depth=1
	v_and_b32_e32 v78, 7, v0
	v_lshrrev_b32_e32 v1, 3, v2
	s_mov_b32 s24, exec_lo
	v_cmpx_gt_u32_e32 8, v2
; %bb.142:                              ;   in Loop: Header=BB251_10 Depth=1
	s_delay_alu instid0(VALU_DEP_3) | instskip(NEXT) | instid1(VALU_DEP_1)
	v_clz_i32_u32_e32 v1, v78
	v_min_u32_e32 v1, 32, v1
	s_delay_alu instid0(VALU_DEP_1) | instskip(SKIP_1) | instid1(VALU_DEP_2)
	v_subrev_nc_u32_e32 v2, 28, v1
	v_sub_nc_u32_e32 v1, 29, v1
	v_lshlrev_b64 v[2:3], v2, v[78:79]
	s_delay_alu instid0(VALU_DEP_1)
	v_and_b32_e32 v78, 7, v2
; %bb.143:                              ;   in Loop: Header=BB251_10 Depth=1
	s_or_b32 exec_lo, exec_lo, s24
	v_lshlrev_b32_e32 v2, 24, v0
	s_delay_alu instid0(VALU_DEP_2) | instskip(SKIP_1) | instid1(VALU_DEP_3)
	v_lshlrev_b32_e32 v3, 20, v78
	v_lshl_add_u32 v1, v1, 23, 0x3c000000
	v_and_b32_e32 v2, 0x80000000, v2
	s_delay_alu instid0(VALU_DEP_1) | instskip(NEXT) | instid1(VALU_DEP_1)
	v_or3_b32 v78, v3, v2, v1
	v_dual_mov_b32 v137, v79 :: v_dual_mov_b32 v136, v78
.LBB251_144:                            ;   in Loop: Header=BB251_10 Depth=1
	s_or_b32 exec_lo, exec_lo, s23
.LBB251_145:                            ;   in Loop: Header=BB251_10 Depth=1
	s_delay_alu instid0(SALU_CYCLE_1)
	s_or_b32 exec_lo, exec_lo, s18
.LBB251_146:                            ;   in Loop: Header=BB251_10 Depth=1
	s_delay_alu instid0(SALU_CYCLE_1) | instskip(SKIP_2) | instid1(VALU_DEP_1)
	s_or_b32 exec_lo, exec_lo, s3
	v_lshrrev_b16 v1, 8, v0
	s_mov_b32 s3, exec_lo
	v_cmpx_ne_u16_e32 0, v1
	s_cbranch_execz .LBB251_154
; %bb.147:                              ;   in Loop: Header=BB251_10 Depth=1
	v_dual_mov_b32 v127, s9 :: v_dual_mov_b32 v126, s8
	s_mov_b32 s23, exec_lo
	v_cmpx_ne_u16_e32 0x80, v1
	s_cbranch_execz .LBB251_153
; %bb.148:                              ;   in Loop: Header=BB251_10 Depth=1
	s_mov_b32 s18, s8
	v_and_b32_e32 v1, 0xffff, v1
	v_dual_mov_b32 v127, s19 :: v_dual_mov_b32 v126, s18
	s_mov_b32 s18, exec_lo
	s_delay_alu instid0(VALU_DEP_2) | instskip(NEXT) | instid1(VALU_DEP_1)
	v_and_b32_e32 v2, 0x7f, v1
	v_cmpx_ne_u32_e32 0x7f, v2
	s_cbranch_execz .LBB251_152
; %bb.149:                              ;   in Loop: Header=BB251_10 Depth=1
	v_and_b32_e32 v78, 7, v1
	v_lshrrev_b32_e32 v1, 3, v2
	s_mov_b32 s24, exec_lo
	v_cmpx_gt_u32_e32 8, v2
; %bb.150:                              ;   in Loop: Header=BB251_10 Depth=1
	s_delay_alu instid0(VALU_DEP_3) | instskip(NEXT) | instid1(VALU_DEP_1)
	v_clz_i32_u32_e32 v1, v78
	v_min_u32_e32 v1, 32, v1
	s_delay_alu instid0(VALU_DEP_1) | instskip(SKIP_1) | instid1(VALU_DEP_2)
	v_subrev_nc_u32_e32 v2, 28, v1
	v_sub_nc_u32_e32 v1, 29, v1
	v_lshlrev_b64 v[2:3], v2, v[78:79]
	s_delay_alu instid0(VALU_DEP_1)
	v_and_b32_e32 v78, 7, v2
; %bb.151:                              ;   in Loop: Header=BB251_10 Depth=1
	s_or_b32 exec_lo, exec_lo, s24
	v_lshlrev_b32_e32 v0, 16, v0
	s_delay_alu instid0(VALU_DEP_2) | instskip(SKIP_2) | instid1(VALU_DEP_4)
	v_lshlrev_b32_e32 v2, 20, v78
	v_lshl_add_u32 v1, v1, 23, 0x3c000000
	v_mov_b32_e32 v126, v79
	v_and_b32_e32 v0, 0x80000000, v0
	s_delay_alu instid0(VALU_DEP_1)
	v_or3_b32 v127, v2, v0, v1
.LBB251_152:                            ;   in Loop: Header=BB251_10 Depth=1
	s_or_b32 exec_lo, exec_lo, s18
.LBB251_153:                            ;   in Loop: Header=BB251_10 Depth=1
	s_delay_alu instid0(SALU_CYCLE_1)
	s_or_b32 exec_lo, exec_lo, s23
.LBB251_154:                            ;   in Loop: Header=BB251_10 Depth=1
	s_delay_alu instid0(SALU_CYCLE_1)
	s_or_b32 exec_lo, exec_lo, s3
	flat_load_u16 v0, v[88:89] offset:516
	v_mov_b32_e32 v138, 0
	v_mov_b32_e32 v139, 0
	s_mov_b32 s3, exec_lo
	s_waitcnt vmcnt(0) lgkmcnt(0)
	v_and_b32_e32 v1, 0xff, v0
	s_delay_alu instid0(VALU_DEP_2) | instskip(SKIP_1) | instid1(VALU_DEP_3)
	v_dual_mov_b32 v141, v139 :: v_dual_and_b32 v0, 0xffff, v0
	v_mov_b32_e32 v140, v138
	v_cmpx_ne_u16_e32 0, v1
	s_cbranch_execz .LBB251_162
; %bb.155:                              ;   in Loop: Header=BB251_10 Depth=1
	v_bfrev_b32_e32 v140, 1
	v_and_b32_e32 v1, 0xff, v0
	v_mov_b32_e32 v141, 0
	s_mov_b32 s18, exec_lo
	s_delay_alu instid0(VALU_DEP_2)
	v_cmpx_ne_u16_e32 0x80, v1
	s_cbranch_execz .LBB251_161
; %bb.156:                              ;   in Loop: Header=BB251_10 Depth=1
	v_mov_b32_e32 v140, 0x7f800001
	v_dual_mov_b32 v141, 0 :: v_dual_and_b32 v2, 0x7f, v0
	s_mov_b32 s23, exec_lo
	s_delay_alu instid0(VALU_DEP_1)
	v_cmpx_ne_u32_e32 0x7f, v2
	s_cbranch_execz .LBB251_160
; %bb.157:                              ;   in Loop: Header=BB251_10 Depth=1
	v_and_b32_e32 v78, 7, v0
	v_lshrrev_b32_e32 v1, 3, v2
	s_mov_b32 s24, exec_lo
	v_cmpx_gt_u32_e32 8, v2
; %bb.158:                              ;   in Loop: Header=BB251_10 Depth=1
	s_delay_alu instid0(VALU_DEP_3) | instskip(NEXT) | instid1(VALU_DEP_1)
	v_clz_i32_u32_e32 v1, v78
	v_min_u32_e32 v1, 32, v1
	s_delay_alu instid0(VALU_DEP_1) | instskip(SKIP_1) | instid1(VALU_DEP_2)
	v_subrev_nc_u32_e32 v2, 28, v1
	v_sub_nc_u32_e32 v1, 29, v1
	v_lshlrev_b64 v[2:3], v2, v[78:79]
	s_delay_alu instid0(VALU_DEP_1)
	v_and_b32_e32 v78, 7, v2
; %bb.159:                              ;   in Loop: Header=BB251_10 Depth=1
	s_or_b32 exec_lo, exec_lo, s24
	v_lshlrev_b32_e32 v2, 24, v0
	s_delay_alu instid0(VALU_DEP_2) | instskip(SKIP_1) | instid1(VALU_DEP_3)
	v_lshlrev_b32_e32 v3, 20, v78
	v_lshl_add_u32 v1, v1, 23, 0x3c000000
	v_and_b32_e32 v2, 0x80000000, v2
	s_delay_alu instid0(VALU_DEP_1) | instskip(NEXT) | instid1(VALU_DEP_1)
	v_or3_b32 v78, v3, v2, v1
	v_dual_mov_b32 v141, v79 :: v_dual_mov_b32 v140, v78
.LBB251_160:                            ;   in Loop: Header=BB251_10 Depth=1
	s_or_b32 exec_lo, exec_lo, s23
.LBB251_161:                            ;   in Loop: Header=BB251_10 Depth=1
	s_delay_alu instid0(SALU_CYCLE_1)
	s_or_b32 exec_lo, exec_lo, s18
.LBB251_162:                            ;   in Loop: Header=BB251_10 Depth=1
	s_delay_alu instid0(SALU_CYCLE_1) | instskip(SKIP_2) | instid1(VALU_DEP_1)
	s_or_b32 exec_lo, exec_lo, s3
	v_lshrrev_b16 v1, 8, v0
	s_mov_b32 s3, exec_lo
	v_cmpx_ne_u16_e32 0, v1
	s_cbranch_execz .LBB251_170
; %bb.163:                              ;   in Loop: Header=BB251_10 Depth=1
	v_dual_mov_b32 v139, s9 :: v_dual_mov_b32 v138, s8
	s_mov_b32 s23, exec_lo
	v_cmpx_ne_u16_e32 0x80, v1
	s_cbranch_execz .LBB251_169
; %bb.164:                              ;   in Loop: Header=BB251_10 Depth=1
	s_mov_b32 s18, s8
	v_and_b32_e32 v1, 0xffff, v1
	v_dual_mov_b32 v139, s19 :: v_dual_mov_b32 v138, s18
	s_mov_b32 s18, exec_lo
	s_delay_alu instid0(VALU_DEP_2) | instskip(NEXT) | instid1(VALU_DEP_1)
	v_and_b32_e32 v2, 0x7f, v1
	v_cmpx_ne_u32_e32 0x7f, v2
	s_cbranch_execz .LBB251_168
; %bb.165:                              ;   in Loop: Header=BB251_10 Depth=1
	v_and_b32_e32 v78, 7, v1
	v_lshrrev_b32_e32 v1, 3, v2
	s_mov_b32 s24, exec_lo
	v_cmpx_gt_u32_e32 8, v2
; %bb.166:                              ;   in Loop: Header=BB251_10 Depth=1
	s_delay_alu instid0(VALU_DEP_3) | instskip(NEXT) | instid1(VALU_DEP_1)
	v_clz_i32_u32_e32 v1, v78
	v_min_u32_e32 v1, 32, v1
	s_delay_alu instid0(VALU_DEP_1) | instskip(SKIP_1) | instid1(VALU_DEP_2)
	v_subrev_nc_u32_e32 v2, 28, v1
	v_sub_nc_u32_e32 v1, 29, v1
	v_lshlrev_b64 v[2:3], v2, v[78:79]
	s_delay_alu instid0(VALU_DEP_1)
	v_and_b32_e32 v78, 7, v2
; %bb.167:                              ;   in Loop: Header=BB251_10 Depth=1
	s_or_b32 exec_lo, exec_lo, s24
	v_lshlrev_b32_e32 v0, 16, v0
	s_delay_alu instid0(VALU_DEP_2) | instskip(SKIP_2) | instid1(VALU_DEP_4)
	v_lshlrev_b32_e32 v2, 20, v78
	v_lshl_add_u32 v1, v1, 23, 0x3c000000
	v_mov_b32_e32 v138, v79
	v_and_b32_e32 v0, 0x80000000, v0
	s_delay_alu instid0(VALU_DEP_1)
	v_or3_b32 v139, v2, v0, v1
.LBB251_168:                            ;   in Loop: Header=BB251_10 Depth=1
	s_or_b32 exec_lo, exec_lo, s18
.LBB251_169:                            ;   in Loop: Header=BB251_10 Depth=1
	s_delay_alu instid0(SALU_CYCLE_1)
	s_or_b32 exec_lo, exec_lo, s23
.LBB251_170:                            ;   in Loop: Header=BB251_10 Depth=1
	s_delay_alu instid0(SALU_CYCLE_1) | instskip(SKIP_1) | instid1(VALU_DEP_1)
	s_or_b32 exec_lo, exec_lo, s3
	v_add_co_u32 v0, s2, 0x200, v88
	v_add_co_ci_u32_e64 v1, s2, 0, v89, s2
	s_mov_b32 s3, exec_lo
	flat_load_u16 v2, v[0:1] offset:8
	v_mov_b32_e32 v142, 0
	v_mov_b32_e32 v143, 0
	s_waitcnt vmcnt(0) lgkmcnt(0)
	v_and_b32_e32 v3, 0xff, v2
	s_delay_alu instid0(VALU_DEP_2) | instskip(SKIP_1) | instid1(VALU_DEP_3)
	v_dual_mov_b32 v153, v143 :: v_dual_and_b32 v2, 0xffff, v2
	v_mov_b32_e32 v152, v142
	v_cmpx_ne_u16_e32 0, v3
	s_cbranch_execz .LBB251_178
; %bb.171:                              ;   in Loop: Header=BB251_10 Depth=1
	v_bfrev_b32_e32 v152, 1
	v_and_b32_e32 v3, 0xff, v2
	v_mov_b32_e32 v153, 0
	s_mov_b32 s18, exec_lo
	s_delay_alu instid0(VALU_DEP_2)
	v_cmpx_ne_u16_e32 0x80, v3
	s_cbranch_execz .LBB251_177
; %bb.172:                              ;   in Loop: Header=BB251_10 Depth=1
	v_mov_b32_e32 v152, 0x7f800001
	v_dual_mov_b32 v153, 0 :: v_dual_and_b32 v4, 0x7f, v2
	s_mov_b32 s23, exec_lo
	s_delay_alu instid0(VALU_DEP_1)
	v_cmpx_ne_u32_e32 0x7f, v4
	s_cbranch_execz .LBB251_176
; %bb.173:                              ;   in Loop: Header=BB251_10 Depth=1
	v_and_b32_e32 v78, 7, v2
	v_lshrrev_b32_e32 v3, 3, v4
	s_mov_b32 s24, exec_lo
	v_cmpx_gt_u32_e32 8, v4
; %bb.174:                              ;   in Loop: Header=BB251_10 Depth=1
	s_delay_alu instid0(VALU_DEP_3) | instskip(NEXT) | instid1(VALU_DEP_1)
	v_clz_i32_u32_e32 v3, v78
	v_min_u32_e32 v3, 32, v3
	s_delay_alu instid0(VALU_DEP_1) | instskip(SKIP_1) | instid1(VALU_DEP_2)
	v_subrev_nc_u32_e32 v4, 28, v3
	v_sub_nc_u32_e32 v3, 29, v3
	v_lshlrev_b64 v[4:5], v4, v[78:79]
	s_delay_alu instid0(VALU_DEP_1)
	v_and_b32_e32 v78, 7, v4
; %bb.175:                              ;   in Loop: Header=BB251_10 Depth=1
	s_or_b32 exec_lo, exec_lo, s24
	v_lshlrev_b32_e32 v4, 24, v2
	s_delay_alu instid0(VALU_DEP_2) | instskip(SKIP_1) | instid1(VALU_DEP_3)
	v_lshlrev_b32_e32 v5, 20, v78
	v_lshl_add_u32 v3, v3, 23, 0x3c000000
	v_and_b32_e32 v4, 0x80000000, v4
	s_delay_alu instid0(VALU_DEP_1) | instskip(NEXT) | instid1(VALU_DEP_1)
	v_or3_b32 v78, v5, v4, v3
	v_dual_mov_b32 v153, v79 :: v_dual_mov_b32 v152, v78
.LBB251_176:                            ;   in Loop: Header=BB251_10 Depth=1
	s_or_b32 exec_lo, exec_lo, s23
.LBB251_177:                            ;   in Loop: Header=BB251_10 Depth=1
	s_delay_alu instid0(SALU_CYCLE_1)
	s_or_b32 exec_lo, exec_lo, s18
.LBB251_178:                            ;   in Loop: Header=BB251_10 Depth=1
	s_delay_alu instid0(SALU_CYCLE_1) | instskip(SKIP_2) | instid1(VALU_DEP_1)
	s_or_b32 exec_lo, exec_lo, s3
	v_lshrrev_b16 v3, 8, v2
	s_mov_b32 s3, exec_lo
	v_cmpx_ne_u16_e32 0, v3
	s_cbranch_execz .LBB251_186
; %bb.179:                              ;   in Loop: Header=BB251_10 Depth=1
	v_dual_mov_b32 v143, s9 :: v_dual_mov_b32 v142, s8
	s_mov_b32 s23, exec_lo
	v_cmpx_ne_u16_e32 0x80, v3
	s_cbranch_execz .LBB251_185
; %bb.180:                              ;   in Loop: Header=BB251_10 Depth=1
	s_mov_b32 s18, s8
	v_and_b32_e32 v3, 0xffff, v3
	v_dual_mov_b32 v143, s19 :: v_dual_mov_b32 v142, s18
	s_mov_b32 s18, exec_lo
	s_delay_alu instid0(VALU_DEP_2) | instskip(NEXT) | instid1(VALU_DEP_1)
	v_and_b32_e32 v4, 0x7f, v3
	v_cmpx_ne_u32_e32 0x7f, v4
	s_cbranch_execz .LBB251_184
; %bb.181:                              ;   in Loop: Header=BB251_10 Depth=1
	v_and_b32_e32 v78, 7, v3
	v_lshrrev_b32_e32 v3, 3, v4
	s_mov_b32 s24, exec_lo
	v_cmpx_gt_u32_e32 8, v4
; %bb.182:                              ;   in Loop: Header=BB251_10 Depth=1
	s_delay_alu instid0(VALU_DEP_3) | instskip(NEXT) | instid1(VALU_DEP_1)
	v_clz_i32_u32_e32 v3, v78
	v_min_u32_e32 v3, 32, v3
	s_delay_alu instid0(VALU_DEP_1) | instskip(SKIP_1) | instid1(VALU_DEP_2)
	v_subrev_nc_u32_e32 v4, 28, v3
	v_sub_nc_u32_e32 v3, 29, v3
	v_lshlrev_b64 v[4:5], v4, v[78:79]
	s_delay_alu instid0(VALU_DEP_1)
	v_and_b32_e32 v78, 7, v4
; %bb.183:                              ;   in Loop: Header=BB251_10 Depth=1
	s_or_b32 exec_lo, exec_lo, s24
	v_lshlrev_b32_e32 v2, 16, v2
	s_delay_alu instid0(VALU_DEP_2) | instskip(SKIP_2) | instid1(VALU_DEP_4)
	v_lshlrev_b32_e32 v4, 20, v78
	v_lshl_add_u32 v3, v3, 23, 0x3c000000
	v_mov_b32_e32 v142, v79
	v_and_b32_e32 v2, 0x80000000, v2
	s_delay_alu instid0(VALU_DEP_1)
	v_or3_b32 v143, v4, v2, v3
.LBB251_184:                            ;   in Loop: Header=BB251_10 Depth=1
	s_or_b32 exec_lo, exec_lo, s18
.LBB251_185:                            ;   in Loop: Header=BB251_10 Depth=1
	s_delay_alu instid0(SALU_CYCLE_1)
	s_or_b32 exec_lo, exec_lo, s23
.LBB251_186:                            ;   in Loop: Header=BB251_10 Depth=1
	s_delay_alu instid0(SALU_CYCLE_1)
	s_or_b32 exec_lo, exec_lo, s3
	flat_load_u16 v0, v[0:1] offset:12
	v_mov_b32_e32 v154, 0
	v_mov_b32_e32 v155, 0
	s_mov_b32 s3, exec_lo
	s_waitcnt vmcnt(0) lgkmcnt(0)
	v_and_b32_e32 v1, 0xff, v0
	s_delay_alu instid0(VALU_DEP_2) | instskip(SKIP_1) | instid1(VALU_DEP_3)
	v_dual_mov_b32 v157, v155 :: v_dual_and_b32 v0, 0xffff, v0
	v_mov_b32_e32 v156, v154
	v_cmpx_ne_u16_e32 0, v1
	s_cbranch_execz .LBB251_194
; %bb.187:                              ;   in Loop: Header=BB251_10 Depth=1
	v_bfrev_b32_e32 v156, 1
	v_and_b32_e32 v1, 0xff, v0
	v_mov_b32_e32 v157, 0
	s_mov_b32 s18, exec_lo
	s_delay_alu instid0(VALU_DEP_2)
	v_cmpx_ne_u16_e32 0x80, v1
	s_cbranch_execz .LBB251_193
; %bb.188:                              ;   in Loop: Header=BB251_10 Depth=1
	v_mov_b32_e32 v156, 0x7f800001
	v_dual_mov_b32 v157, 0 :: v_dual_and_b32 v2, 0x7f, v0
	s_mov_b32 s23, exec_lo
	s_delay_alu instid0(VALU_DEP_1)
	v_cmpx_ne_u32_e32 0x7f, v2
	s_cbranch_execz .LBB251_192
; %bb.189:                              ;   in Loop: Header=BB251_10 Depth=1
	v_and_b32_e32 v78, 7, v0
	v_lshrrev_b32_e32 v1, 3, v2
	s_mov_b32 s24, exec_lo
	v_cmpx_gt_u32_e32 8, v2
; %bb.190:                              ;   in Loop: Header=BB251_10 Depth=1
	s_delay_alu instid0(VALU_DEP_3) | instskip(NEXT) | instid1(VALU_DEP_1)
	v_clz_i32_u32_e32 v1, v78
	v_min_u32_e32 v1, 32, v1
	s_delay_alu instid0(VALU_DEP_1) | instskip(SKIP_1) | instid1(VALU_DEP_2)
	v_subrev_nc_u32_e32 v2, 28, v1
	v_sub_nc_u32_e32 v1, 29, v1
	v_lshlrev_b64 v[2:3], v2, v[78:79]
	s_delay_alu instid0(VALU_DEP_1)
	v_and_b32_e32 v78, 7, v2
; %bb.191:                              ;   in Loop: Header=BB251_10 Depth=1
	s_or_b32 exec_lo, exec_lo, s24
	v_lshlrev_b32_e32 v2, 24, v0
	s_delay_alu instid0(VALU_DEP_2) | instskip(SKIP_1) | instid1(VALU_DEP_3)
	v_lshlrev_b32_e32 v3, 20, v78
	v_lshl_add_u32 v1, v1, 23, 0x3c000000
	v_and_b32_e32 v2, 0x80000000, v2
	s_delay_alu instid0(VALU_DEP_1) | instskip(NEXT) | instid1(VALU_DEP_1)
	v_or3_b32 v78, v3, v2, v1
	v_dual_mov_b32 v157, v79 :: v_dual_mov_b32 v156, v78
.LBB251_192:                            ;   in Loop: Header=BB251_10 Depth=1
	s_or_b32 exec_lo, exec_lo, s23
.LBB251_193:                            ;   in Loop: Header=BB251_10 Depth=1
	s_delay_alu instid0(SALU_CYCLE_1)
	s_or_b32 exec_lo, exec_lo, s18
.LBB251_194:                            ;   in Loop: Header=BB251_10 Depth=1
	s_delay_alu instid0(SALU_CYCLE_1) | instskip(SKIP_2) | instid1(VALU_DEP_1)
	s_or_b32 exec_lo, exec_lo, s3
	v_lshrrev_b16 v1, 8, v0
	s_mov_b32 s3, exec_lo
	v_cmpx_ne_u16_e32 0, v1
	s_cbranch_execz .LBB251_202
; %bb.195:                              ;   in Loop: Header=BB251_10 Depth=1
	v_dual_mov_b32 v155, s9 :: v_dual_mov_b32 v154, s8
	s_mov_b32 s23, exec_lo
	v_cmpx_ne_u16_e32 0x80, v1
	s_cbranch_execz .LBB251_201
; %bb.196:                              ;   in Loop: Header=BB251_10 Depth=1
	s_mov_b32 s18, s8
	v_and_b32_e32 v1, 0xffff, v1
	v_dual_mov_b32 v155, s19 :: v_dual_mov_b32 v154, s18
	s_mov_b32 s18, exec_lo
	s_delay_alu instid0(VALU_DEP_2) | instskip(NEXT) | instid1(VALU_DEP_1)
	v_and_b32_e32 v2, 0x7f, v1
	v_cmpx_ne_u32_e32 0x7f, v2
	s_cbranch_execz .LBB251_200
; %bb.197:                              ;   in Loop: Header=BB251_10 Depth=1
	v_and_b32_e32 v78, 7, v1
	v_lshrrev_b32_e32 v1, 3, v2
	s_mov_b32 s24, exec_lo
	v_cmpx_gt_u32_e32 8, v2
; %bb.198:                              ;   in Loop: Header=BB251_10 Depth=1
	s_delay_alu instid0(VALU_DEP_3) | instskip(NEXT) | instid1(VALU_DEP_1)
	v_clz_i32_u32_e32 v1, v78
	v_min_u32_e32 v1, 32, v1
	s_delay_alu instid0(VALU_DEP_1) | instskip(SKIP_1) | instid1(VALU_DEP_2)
	v_subrev_nc_u32_e32 v2, 28, v1
	v_sub_nc_u32_e32 v1, 29, v1
	v_lshlrev_b64 v[2:3], v2, v[78:79]
	s_delay_alu instid0(VALU_DEP_1)
	v_and_b32_e32 v78, 7, v2
; %bb.199:                              ;   in Loop: Header=BB251_10 Depth=1
	s_or_b32 exec_lo, exec_lo, s24
	v_lshlrev_b32_e32 v0, 16, v0
	s_delay_alu instid0(VALU_DEP_2) | instskip(SKIP_2) | instid1(VALU_DEP_4)
	v_lshlrev_b32_e32 v2, 20, v78
	v_lshl_add_u32 v1, v1, 23, 0x3c000000
	v_mov_b32_e32 v154, v79
	v_and_b32_e32 v0, 0x80000000, v0
	s_delay_alu instid0(VALU_DEP_1)
	v_or3_b32 v155, v2, v0, v1
.LBB251_200:                            ;   in Loop: Header=BB251_10 Depth=1
	s_or_b32 exec_lo, exec_lo, s18
.LBB251_201:                            ;   in Loop: Header=BB251_10 Depth=1
	s_delay_alu instid0(SALU_CYCLE_1)
	s_or_b32 exec_lo, exec_lo, s23
.LBB251_202:                            ;   in Loop: Header=BB251_10 Depth=1
	s_delay_alu instid0(SALU_CYCLE_1)
	s_or_b32 exec_lo, exec_lo, s3
	flat_load_u16 v0, v[88:89] offset:768
	v_mov_b32_e32 v158, 0
	v_mov_b32_e32 v159, 0
	s_mov_b32 s3, exec_lo
	s_waitcnt vmcnt(0) lgkmcnt(0)
	v_and_b32_e32 v1, 0xff, v0
	s_delay_alu instid0(VALU_DEP_2) | instskip(SKIP_1) | instid1(VALU_DEP_3)
	v_dual_mov_b32 v169, v159 :: v_dual_and_b32 v0, 0xffff, v0
	v_mov_b32_e32 v168, v158
	v_cmpx_ne_u16_e32 0, v1
	s_cbranch_execz .LBB251_210
; %bb.203:                              ;   in Loop: Header=BB251_10 Depth=1
	v_bfrev_b32_e32 v168, 1
	v_and_b32_e32 v1, 0xff, v0
	v_mov_b32_e32 v169, 0
	s_mov_b32 s18, exec_lo
	s_delay_alu instid0(VALU_DEP_2)
	v_cmpx_ne_u16_e32 0x80, v1
	s_cbranch_execz .LBB251_209
; %bb.204:                              ;   in Loop: Header=BB251_10 Depth=1
	v_mov_b32_e32 v168, 0x7f800001
	v_dual_mov_b32 v169, 0 :: v_dual_and_b32 v2, 0x7f, v0
	s_mov_b32 s23, exec_lo
	s_delay_alu instid0(VALU_DEP_1)
	v_cmpx_ne_u32_e32 0x7f, v2
	s_cbranch_execz .LBB251_208
; %bb.205:                              ;   in Loop: Header=BB251_10 Depth=1
	v_and_b32_e32 v78, 7, v0
	v_lshrrev_b32_e32 v1, 3, v2
	s_mov_b32 s24, exec_lo
	v_cmpx_gt_u32_e32 8, v2
; %bb.206:                              ;   in Loop: Header=BB251_10 Depth=1
	s_delay_alu instid0(VALU_DEP_3) | instskip(NEXT) | instid1(VALU_DEP_1)
	v_clz_i32_u32_e32 v1, v78
	v_min_u32_e32 v1, 32, v1
	s_delay_alu instid0(VALU_DEP_1) | instskip(SKIP_1) | instid1(VALU_DEP_2)
	v_subrev_nc_u32_e32 v2, 28, v1
	v_sub_nc_u32_e32 v1, 29, v1
	v_lshlrev_b64 v[2:3], v2, v[78:79]
	s_delay_alu instid0(VALU_DEP_1)
	v_and_b32_e32 v78, 7, v2
; %bb.207:                              ;   in Loop: Header=BB251_10 Depth=1
	s_or_b32 exec_lo, exec_lo, s24
	v_lshlrev_b32_e32 v2, 24, v0
	s_delay_alu instid0(VALU_DEP_2) | instskip(SKIP_1) | instid1(VALU_DEP_3)
	v_lshlrev_b32_e32 v3, 20, v78
	v_lshl_add_u32 v1, v1, 23, 0x3c000000
	v_and_b32_e32 v2, 0x80000000, v2
	s_delay_alu instid0(VALU_DEP_1) | instskip(NEXT) | instid1(VALU_DEP_1)
	v_or3_b32 v78, v3, v2, v1
	v_dual_mov_b32 v169, v79 :: v_dual_mov_b32 v168, v78
.LBB251_208:                            ;   in Loop: Header=BB251_10 Depth=1
	s_or_b32 exec_lo, exec_lo, s23
.LBB251_209:                            ;   in Loop: Header=BB251_10 Depth=1
	s_delay_alu instid0(SALU_CYCLE_1)
	s_or_b32 exec_lo, exec_lo, s18
.LBB251_210:                            ;   in Loop: Header=BB251_10 Depth=1
	s_delay_alu instid0(SALU_CYCLE_1) | instskip(SKIP_2) | instid1(VALU_DEP_1)
	s_or_b32 exec_lo, exec_lo, s3
	v_lshrrev_b16 v1, 8, v0
	s_mov_b32 s3, exec_lo
	v_cmpx_ne_u16_e32 0, v1
	s_cbranch_execz .LBB251_218
; %bb.211:                              ;   in Loop: Header=BB251_10 Depth=1
	v_dual_mov_b32 v159, s9 :: v_dual_mov_b32 v158, s8
	s_mov_b32 s23, exec_lo
	v_cmpx_ne_u16_e32 0x80, v1
	s_cbranch_execz .LBB251_217
; %bb.212:                              ;   in Loop: Header=BB251_10 Depth=1
	s_mov_b32 s18, s8
	v_and_b32_e32 v1, 0xffff, v1
	v_dual_mov_b32 v159, s19 :: v_dual_mov_b32 v158, s18
	s_mov_b32 s18, exec_lo
	s_delay_alu instid0(VALU_DEP_2) | instskip(NEXT) | instid1(VALU_DEP_1)
	v_and_b32_e32 v2, 0x7f, v1
	v_cmpx_ne_u32_e32 0x7f, v2
	s_cbranch_execz .LBB251_216
; %bb.213:                              ;   in Loop: Header=BB251_10 Depth=1
	v_and_b32_e32 v78, 7, v1
	v_lshrrev_b32_e32 v1, 3, v2
	s_mov_b32 s24, exec_lo
	v_cmpx_gt_u32_e32 8, v2
; %bb.214:                              ;   in Loop: Header=BB251_10 Depth=1
	s_delay_alu instid0(VALU_DEP_3) | instskip(NEXT) | instid1(VALU_DEP_1)
	v_clz_i32_u32_e32 v1, v78
	v_min_u32_e32 v1, 32, v1
	s_delay_alu instid0(VALU_DEP_1) | instskip(SKIP_1) | instid1(VALU_DEP_2)
	v_subrev_nc_u32_e32 v2, 28, v1
	v_sub_nc_u32_e32 v1, 29, v1
	v_lshlrev_b64 v[2:3], v2, v[78:79]
	s_delay_alu instid0(VALU_DEP_1)
	v_and_b32_e32 v78, 7, v2
; %bb.215:                              ;   in Loop: Header=BB251_10 Depth=1
	s_or_b32 exec_lo, exec_lo, s24
	v_lshlrev_b32_e32 v0, 16, v0
	s_delay_alu instid0(VALU_DEP_2) | instskip(SKIP_2) | instid1(VALU_DEP_4)
	v_lshlrev_b32_e32 v2, 20, v78
	v_lshl_add_u32 v1, v1, 23, 0x3c000000
	v_mov_b32_e32 v158, v79
	v_and_b32_e32 v0, 0x80000000, v0
	s_delay_alu instid0(VALU_DEP_1)
	v_or3_b32 v159, v2, v0, v1
.LBB251_216:                            ;   in Loop: Header=BB251_10 Depth=1
	s_or_b32 exec_lo, exec_lo, s18
.LBB251_217:                            ;   in Loop: Header=BB251_10 Depth=1
	s_delay_alu instid0(SALU_CYCLE_1)
	s_or_b32 exec_lo, exec_lo, s23
.LBB251_218:                            ;   in Loop: Header=BB251_10 Depth=1
	s_delay_alu instid0(SALU_CYCLE_1)
	s_or_b32 exec_lo, exec_lo, s3
	flat_load_u16 v0, v[88:89] offset:772
	v_mov_b32_e32 v170, 0
	v_mov_b32_e32 v171, 0
	s_mov_b32 s3, exec_lo
	s_waitcnt vmcnt(0) lgkmcnt(0)
	v_and_b32_e32 v1, 0xff, v0
	s_delay_alu instid0(VALU_DEP_2) | instskip(SKIP_1) | instid1(VALU_DEP_3)
	v_dual_mov_b32 v173, v171 :: v_dual_and_b32 v0, 0xffff, v0
	v_mov_b32_e32 v172, v170
	v_cmpx_ne_u16_e32 0, v1
	s_cbranch_execz .LBB251_226
; %bb.219:                              ;   in Loop: Header=BB251_10 Depth=1
	v_bfrev_b32_e32 v172, 1
	v_and_b32_e32 v1, 0xff, v0
	v_mov_b32_e32 v173, 0
	s_mov_b32 s18, exec_lo
	s_delay_alu instid0(VALU_DEP_2)
	v_cmpx_ne_u16_e32 0x80, v1
	s_cbranch_execz .LBB251_225
; %bb.220:                              ;   in Loop: Header=BB251_10 Depth=1
	v_mov_b32_e32 v172, 0x7f800001
	v_dual_mov_b32 v173, 0 :: v_dual_and_b32 v2, 0x7f, v0
	s_mov_b32 s23, exec_lo
	s_delay_alu instid0(VALU_DEP_1)
	v_cmpx_ne_u32_e32 0x7f, v2
	s_cbranch_execz .LBB251_224
; %bb.221:                              ;   in Loop: Header=BB251_10 Depth=1
	v_and_b32_e32 v78, 7, v0
	v_lshrrev_b32_e32 v1, 3, v2
	s_mov_b32 s24, exec_lo
	v_cmpx_gt_u32_e32 8, v2
; %bb.222:                              ;   in Loop: Header=BB251_10 Depth=1
	s_delay_alu instid0(VALU_DEP_3) | instskip(NEXT) | instid1(VALU_DEP_1)
	v_clz_i32_u32_e32 v1, v78
	v_min_u32_e32 v1, 32, v1
	s_delay_alu instid0(VALU_DEP_1) | instskip(SKIP_1) | instid1(VALU_DEP_2)
	v_subrev_nc_u32_e32 v2, 28, v1
	v_sub_nc_u32_e32 v1, 29, v1
	v_lshlrev_b64 v[2:3], v2, v[78:79]
	s_delay_alu instid0(VALU_DEP_1)
	v_and_b32_e32 v78, 7, v2
; %bb.223:                              ;   in Loop: Header=BB251_10 Depth=1
	s_or_b32 exec_lo, exec_lo, s24
	v_lshlrev_b32_e32 v2, 24, v0
	s_delay_alu instid0(VALU_DEP_2) | instskip(SKIP_1) | instid1(VALU_DEP_3)
	v_lshlrev_b32_e32 v3, 20, v78
	v_lshl_add_u32 v1, v1, 23, 0x3c000000
	v_and_b32_e32 v2, 0x80000000, v2
	s_delay_alu instid0(VALU_DEP_1) | instskip(NEXT) | instid1(VALU_DEP_1)
	v_or3_b32 v78, v3, v2, v1
	v_dual_mov_b32 v173, v79 :: v_dual_mov_b32 v172, v78
.LBB251_224:                            ;   in Loop: Header=BB251_10 Depth=1
	s_or_b32 exec_lo, exec_lo, s23
.LBB251_225:                            ;   in Loop: Header=BB251_10 Depth=1
	s_delay_alu instid0(SALU_CYCLE_1)
	s_or_b32 exec_lo, exec_lo, s18
.LBB251_226:                            ;   in Loop: Header=BB251_10 Depth=1
	s_delay_alu instid0(SALU_CYCLE_1) | instskip(SKIP_2) | instid1(VALU_DEP_1)
	s_or_b32 exec_lo, exec_lo, s3
	v_lshrrev_b16 v1, 8, v0
	s_mov_b32 s3, exec_lo
	v_cmpx_ne_u16_e32 0, v1
	s_cbranch_execz .LBB251_234
; %bb.227:                              ;   in Loop: Header=BB251_10 Depth=1
	v_dual_mov_b32 v171, s9 :: v_dual_mov_b32 v170, s8
	s_mov_b32 s23, exec_lo
	v_cmpx_ne_u16_e32 0x80, v1
	s_cbranch_execz .LBB251_233
; %bb.228:                              ;   in Loop: Header=BB251_10 Depth=1
	s_mov_b32 s18, s8
	v_and_b32_e32 v1, 0xffff, v1
	v_dual_mov_b32 v171, s19 :: v_dual_mov_b32 v170, s18
	s_mov_b32 s18, exec_lo
	s_delay_alu instid0(VALU_DEP_2) | instskip(NEXT) | instid1(VALU_DEP_1)
	v_and_b32_e32 v2, 0x7f, v1
	v_cmpx_ne_u32_e32 0x7f, v2
	s_cbranch_execz .LBB251_232
; %bb.229:                              ;   in Loop: Header=BB251_10 Depth=1
	v_and_b32_e32 v78, 7, v1
	v_lshrrev_b32_e32 v1, 3, v2
	s_mov_b32 s24, exec_lo
	v_cmpx_gt_u32_e32 8, v2
; %bb.230:                              ;   in Loop: Header=BB251_10 Depth=1
	s_delay_alu instid0(VALU_DEP_3) | instskip(NEXT) | instid1(VALU_DEP_1)
	v_clz_i32_u32_e32 v1, v78
	v_min_u32_e32 v1, 32, v1
	s_delay_alu instid0(VALU_DEP_1) | instskip(SKIP_1) | instid1(VALU_DEP_2)
	v_subrev_nc_u32_e32 v2, 28, v1
	v_sub_nc_u32_e32 v1, 29, v1
	v_lshlrev_b64 v[2:3], v2, v[78:79]
	s_delay_alu instid0(VALU_DEP_1)
	v_and_b32_e32 v78, 7, v2
; %bb.231:                              ;   in Loop: Header=BB251_10 Depth=1
	s_or_b32 exec_lo, exec_lo, s24
	v_lshlrev_b32_e32 v0, 16, v0
	s_delay_alu instid0(VALU_DEP_2) | instskip(SKIP_2) | instid1(VALU_DEP_4)
	v_lshlrev_b32_e32 v2, 20, v78
	v_lshl_add_u32 v1, v1, 23, 0x3c000000
	v_mov_b32_e32 v170, v79
	v_and_b32_e32 v0, 0x80000000, v0
	s_delay_alu instid0(VALU_DEP_1)
	v_or3_b32 v171, v2, v0, v1
.LBB251_232:                            ;   in Loop: Header=BB251_10 Depth=1
	s_or_b32 exec_lo, exec_lo, s18
.LBB251_233:                            ;   in Loop: Header=BB251_10 Depth=1
	s_delay_alu instid0(SALU_CYCLE_1)
	s_or_b32 exec_lo, exec_lo, s23
.LBB251_234:                            ;   in Loop: Header=BB251_10 Depth=1
	s_delay_alu instid0(SALU_CYCLE_1) | instskip(SKIP_1) | instid1(VALU_DEP_1)
	s_or_b32 exec_lo, exec_lo, s3
	v_add_co_u32 v0, s2, 0x300, v88
	v_add_co_ci_u32_e64 v1, s2, 0, v89, s2
	s_mov_b32 s3, exec_lo
	flat_load_u16 v2, v[0:1] offset:8
	v_mov_b32_e32 v174, 0
	v_mov_b32_e32 v175, 0
	s_waitcnt vmcnt(0) lgkmcnt(0)
	v_and_b32_e32 v3, 0xff, v2
	s_delay_alu instid0(VALU_DEP_2) | instskip(SKIP_1) | instid1(VALU_DEP_3)
	v_dual_mov_b32 v185, v175 :: v_dual_and_b32 v2, 0xffff, v2
	v_mov_b32_e32 v184, v174
	v_cmpx_ne_u16_e32 0, v3
	s_cbranch_execz .LBB251_242
; %bb.235:                              ;   in Loop: Header=BB251_10 Depth=1
	v_bfrev_b32_e32 v184, 1
	v_and_b32_e32 v3, 0xff, v2
	v_mov_b32_e32 v185, 0
	s_mov_b32 s18, exec_lo
	s_delay_alu instid0(VALU_DEP_2)
	v_cmpx_ne_u16_e32 0x80, v3
	s_cbranch_execz .LBB251_241
; %bb.236:                              ;   in Loop: Header=BB251_10 Depth=1
	v_mov_b32_e32 v184, 0x7f800001
	v_dual_mov_b32 v185, 0 :: v_dual_and_b32 v4, 0x7f, v2
	s_mov_b32 s23, exec_lo
	s_delay_alu instid0(VALU_DEP_1)
	v_cmpx_ne_u32_e32 0x7f, v4
	s_cbranch_execz .LBB251_240
; %bb.237:                              ;   in Loop: Header=BB251_10 Depth=1
	v_and_b32_e32 v78, 7, v2
	v_lshrrev_b32_e32 v3, 3, v4
	s_mov_b32 s24, exec_lo
	v_cmpx_gt_u32_e32 8, v4
; %bb.238:                              ;   in Loop: Header=BB251_10 Depth=1
	s_delay_alu instid0(VALU_DEP_3) | instskip(NEXT) | instid1(VALU_DEP_1)
	v_clz_i32_u32_e32 v3, v78
	v_min_u32_e32 v3, 32, v3
	s_delay_alu instid0(VALU_DEP_1) | instskip(SKIP_1) | instid1(VALU_DEP_2)
	v_subrev_nc_u32_e32 v4, 28, v3
	v_sub_nc_u32_e32 v3, 29, v3
	v_lshlrev_b64 v[4:5], v4, v[78:79]
	s_delay_alu instid0(VALU_DEP_1)
	v_and_b32_e32 v78, 7, v4
; %bb.239:                              ;   in Loop: Header=BB251_10 Depth=1
	s_or_b32 exec_lo, exec_lo, s24
	v_lshlrev_b32_e32 v4, 24, v2
	s_delay_alu instid0(VALU_DEP_2) | instskip(SKIP_1) | instid1(VALU_DEP_3)
	v_lshlrev_b32_e32 v5, 20, v78
	v_lshl_add_u32 v3, v3, 23, 0x3c000000
	v_and_b32_e32 v4, 0x80000000, v4
	s_delay_alu instid0(VALU_DEP_1) | instskip(NEXT) | instid1(VALU_DEP_1)
	v_or3_b32 v78, v5, v4, v3
	v_dual_mov_b32 v185, v79 :: v_dual_mov_b32 v184, v78
.LBB251_240:                            ;   in Loop: Header=BB251_10 Depth=1
	s_or_b32 exec_lo, exec_lo, s23
.LBB251_241:                            ;   in Loop: Header=BB251_10 Depth=1
	s_delay_alu instid0(SALU_CYCLE_1)
	s_or_b32 exec_lo, exec_lo, s18
.LBB251_242:                            ;   in Loop: Header=BB251_10 Depth=1
	s_delay_alu instid0(SALU_CYCLE_1) | instskip(SKIP_2) | instid1(VALU_DEP_1)
	s_or_b32 exec_lo, exec_lo, s3
	v_lshrrev_b16 v3, 8, v2
	s_mov_b32 s3, exec_lo
	v_cmpx_ne_u16_e32 0, v3
	s_cbranch_execz .LBB251_250
; %bb.243:                              ;   in Loop: Header=BB251_10 Depth=1
	v_dual_mov_b32 v175, s9 :: v_dual_mov_b32 v174, s8
	s_mov_b32 s23, exec_lo
	v_cmpx_ne_u16_e32 0x80, v3
	s_cbranch_execz .LBB251_249
; %bb.244:                              ;   in Loop: Header=BB251_10 Depth=1
	s_mov_b32 s18, s8
	v_and_b32_e32 v3, 0xffff, v3
	v_dual_mov_b32 v175, s19 :: v_dual_mov_b32 v174, s18
	s_mov_b32 s18, exec_lo
	s_delay_alu instid0(VALU_DEP_2) | instskip(NEXT) | instid1(VALU_DEP_1)
	v_and_b32_e32 v4, 0x7f, v3
	v_cmpx_ne_u32_e32 0x7f, v4
	s_cbranch_execz .LBB251_248
; %bb.245:                              ;   in Loop: Header=BB251_10 Depth=1
	v_and_b32_e32 v78, 7, v3
	v_lshrrev_b32_e32 v3, 3, v4
	s_mov_b32 s24, exec_lo
	v_cmpx_gt_u32_e32 8, v4
; %bb.246:                              ;   in Loop: Header=BB251_10 Depth=1
	s_delay_alu instid0(VALU_DEP_3) | instskip(NEXT) | instid1(VALU_DEP_1)
	v_clz_i32_u32_e32 v3, v78
	v_min_u32_e32 v3, 32, v3
	s_delay_alu instid0(VALU_DEP_1) | instskip(SKIP_1) | instid1(VALU_DEP_2)
	v_subrev_nc_u32_e32 v4, 28, v3
	v_sub_nc_u32_e32 v3, 29, v3
	v_lshlrev_b64 v[4:5], v4, v[78:79]
	s_delay_alu instid0(VALU_DEP_1)
	v_and_b32_e32 v78, 7, v4
; %bb.247:                              ;   in Loop: Header=BB251_10 Depth=1
	s_or_b32 exec_lo, exec_lo, s24
	v_lshlrev_b32_e32 v2, 16, v2
	s_delay_alu instid0(VALU_DEP_2) | instskip(SKIP_2) | instid1(VALU_DEP_4)
	v_lshlrev_b32_e32 v4, 20, v78
	v_lshl_add_u32 v3, v3, 23, 0x3c000000
	v_mov_b32_e32 v174, v79
	v_and_b32_e32 v2, 0x80000000, v2
	s_delay_alu instid0(VALU_DEP_1)
	v_or3_b32 v175, v4, v2, v3
.LBB251_248:                            ;   in Loop: Header=BB251_10 Depth=1
	s_or_b32 exec_lo, exec_lo, s18
.LBB251_249:                            ;   in Loop: Header=BB251_10 Depth=1
	s_delay_alu instid0(SALU_CYCLE_1)
	s_or_b32 exec_lo, exec_lo, s23
.LBB251_250:                            ;   in Loop: Header=BB251_10 Depth=1
	s_delay_alu instid0(SALU_CYCLE_1)
	s_or_b32 exec_lo, exec_lo, s3
	flat_load_u16 v0, v[0:1] offset:12
	v_mov_b32_e32 v186, 0
	v_mov_b32_e32 v187, 0
	s_mov_b32 s3, exec_lo
	s_waitcnt vmcnt(0) lgkmcnt(0)
	v_and_b32_e32 v1, 0xff, v0
	s_delay_alu instid0(VALU_DEP_2) | instskip(SKIP_1) | instid1(VALU_DEP_3)
	v_dual_mov_b32 v189, v187 :: v_dual_and_b32 v0, 0xffff, v0
	v_mov_b32_e32 v188, v186
	v_cmpx_ne_u16_e32 0, v1
	s_cbranch_execz .LBB251_258
; %bb.251:                              ;   in Loop: Header=BB251_10 Depth=1
	v_bfrev_b32_e32 v188, 1
	v_and_b32_e32 v1, 0xff, v0
	v_mov_b32_e32 v189, 0
	s_mov_b32 s18, exec_lo
	s_delay_alu instid0(VALU_DEP_2)
	v_cmpx_ne_u16_e32 0x80, v1
	s_cbranch_execz .LBB251_257
; %bb.252:                              ;   in Loop: Header=BB251_10 Depth=1
	v_mov_b32_e32 v188, 0x7f800001
	v_dual_mov_b32 v189, 0 :: v_dual_and_b32 v2, 0x7f, v0
	s_mov_b32 s23, exec_lo
	s_delay_alu instid0(VALU_DEP_1)
	v_cmpx_ne_u32_e32 0x7f, v2
	s_cbranch_execz .LBB251_256
; %bb.253:                              ;   in Loop: Header=BB251_10 Depth=1
	v_and_b32_e32 v78, 7, v0
	v_lshrrev_b32_e32 v1, 3, v2
	s_mov_b32 s24, exec_lo
	v_cmpx_gt_u32_e32 8, v2
; %bb.254:                              ;   in Loop: Header=BB251_10 Depth=1
	s_delay_alu instid0(VALU_DEP_3) | instskip(NEXT) | instid1(VALU_DEP_1)
	v_clz_i32_u32_e32 v1, v78
	v_min_u32_e32 v1, 32, v1
	s_delay_alu instid0(VALU_DEP_1) | instskip(SKIP_1) | instid1(VALU_DEP_2)
	v_subrev_nc_u32_e32 v2, 28, v1
	v_sub_nc_u32_e32 v1, 29, v1
	v_lshlrev_b64 v[2:3], v2, v[78:79]
	s_delay_alu instid0(VALU_DEP_1)
	v_and_b32_e32 v78, 7, v2
; %bb.255:                              ;   in Loop: Header=BB251_10 Depth=1
	s_or_b32 exec_lo, exec_lo, s24
	v_lshlrev_b32_e32 v2, 24, v0
	s_delay_alu instid0(VALU_DEP_2) | instskip(SKIP_1) | instid1(VALU_DEP_3)
	v_lshlrev_b32_e32 v3, 20, v78
	v_lshl_add_u32 v1, v1, 23, 0x3c000000
	v_and_b32_e32 v2, 0x80000000, v2
	s_delay_alu instid0(VALU_DEP_1) | instskip(NEXT) | instid1(VALU_DEP_1)
	v_or3_b32 v78, v3, v2, v1
	v_dual_mov_b32 v189, v79 :: v_dual_mov_b32 v188, v78
.LBB251_256:                            ;   in Loop: Header=BB251_10 Depth=1
	s_or_b32 exec_lo, exec_lo, s23
.LBB251_257:                            ;   in Loop: Header=BB251_10 Depth=1
	s_delay_alu instid0(SALU_CYCLE_1)
	s_or_b32 exec_lo, exec_lo, s18
.LBB251_258:                            ;   in Loop: Header=BB251_10 Depth=1
	s_delay_alu instid0(SALU_CYCLE_1) | instskip(SKIP_2) | instid1(VALU_DEP_1)
	s_or_b32 exec_lo, exec_lo, s3
	v_lshrrev_b16 v1, 8, v0
	s_mov_b32 s3, exec_lo
	v_cmpx_ne_u16_e32 0, v1
	s_cbranch_execz .LBB251_266
; %bb.259:                              ;   in Loop: Header=BB251_10 Depth=1
	v_dual_mov_b32 v187, s9 :: v_dual_mov_b32 v186, s8
	s_mov_b32 s23, exec_lo
	v_cmpx_ne_u16_e32 0x80, v1
	s_cbranch_execz .LBB251_265
; %bb.260:                              ;   in Loop: Header=BB251_10 Depth=1
	s_mov_b32 s18, s8
	v_and_b32_e32 v1, 0xffff, v1
	v_dual_mov_b32 v187, s19 :: v_dual_mov_b32 v186, s18
	s_mov_b32 s18, exec_lo
	s_delay_alu instid0(VALU_DEP_2) | instskip(NEXT) | instid1(VALU_DEP_1)
	v_and_b32_e32 v2, 0x7f, v1
	v_cmpx_ne_u32_e32 0x7f, v2
	s_cbranch_execz .LBB251_264
; %bb.261:                              ;   in Loop: Header=BB251_10 Depth=1
	v_and_b32_e32 v78, 7, v1
	v_lshrrev_b32_e32 v1, 3, v2
	s_mov_b32 s24, exec_lo
	v_cmpx_gt_u32_e32 8, v2
; %bb.262:                              ;   in Loop: Header=BB251_10 Depth=1
	s_delay_alu instid0(VALU_DEP_3) | instskip(NEXT) | instid1(VALU_DEP_1)
	v_clz_i32_u32_e32 v1, v78
	v_min_u32_e32 v1, 32, v1
	s_delay_alu instid0(VALU_DEP_1) | instskip(SKIP_1) | instid1(VALU_DEP_2)
	v_subrev_nc_u32_e32 v2, 28, v1
	v_sub_nc_u32_e32 v1, 29, v1
	v_lshlrev_b64 v[2:3], v2, v[78:79]
	s_delay_alu instid0(VALU_DEP_1)
	v_and_b32_e32 v78, 7, v2
; %bb.263:                              ;   in Loop: Header=BB251_10 Depth=1
	s_or_b32 exec_lo, exec_lo, s24
	v_lshlrev_b32_e32 v0, 16, v0
	s_delay_alu instid0(VALU_DEP_2) | instskip(SKIP_2) | instid1(VALU_DEP_4)
	v_lshlrev_b32_e32 v2, 20, v78
	v_lshl_add_u32 v1, v1, 23, 0x3c000000
	v_mov_b32_e32 v186, v79
	v_and_b32_e32 v0, 0x80000000, v0
	s_delay_alu instid0(VALU_DEP_1)
	v_or3_b32 v187, v2, v0, v1
.LBB251_264:                            ;   in Loop: Header=BB251_10 Depth=1
	s_or_b32 exec_lo, exec_lo, s18
.LBB251_265:                            ;   in Loop: Header=BB251_10 Depth=1
	s_delay_alu instid0(SALU_CYCLE_1)
	s_or_b32 exec_lo, exec_lo, s23
.LBB251_266:                            ;   in Loop: Header=BB251_10 Depth=1
	s_delay_alu instid0(SALU_CYCLE_1)
	s_or_b32 exec_lo, exec_lo, s3
	flat_load_u16 v0, v[88:89] offset:1024
	v_mov_b32_e32 v190, 0
	v_mov_b32_e32 v191, 0
	s_mov_b32 s3, exec_lo
	s_waitcnt vmcnt(0) lgkmcnt(0)
	v_and_b32_e32 v1, 0xff, v0
	v_and_b32_e32 v0, 0xffff, v0
	v_dual_mov_b32 v44, v190 :: v_dual_mov_b32 v45, v191
	s_delay_alu instid0(VALU_DEP_3)
	v_cmpx_ne_u16_e32 0, v1
	s_cbranch_execz .LBB251_274
; %bb.267:                              ;   in Loop: Header=BB251_10 Depth=1
	v_bfrev_b32_e32 v44, 1
	v_and_b32_e32 v1, 0xff, v0
	v_mov_b32_e32 v45, 0
	s_mov_b32 s18, exec_lo
	s_delay_alu instid0(VALU_DEP_2)
	v_cmpx_ne_u16_e32 0x80, v1
	s_cbranch_execz .LBB251_273
; %bb.268:                              ;   in Loop: Header=BB251_10 Depth=1
	v_mov_b32_e32 v44, 0x7f800001
	v_dual_mov_b32 v45, 0 :: v_dual_and_b32 v2, 0x7f, v0
	s_mov_b32 s23, exec_lo
	s_delay_alu instid0(VALU_DEP_1)
	v_cmpx_ne_u32_e32 0x7f, v2
	s_cbranch_execz .LBB251_272
; %bb.269:                              ;   in Loop: Header=BB251_10 Depth=1
	v_and_b32_e32 v78, 7, v0
	v_lshrrev_b32_e32 v1, 3, v2
	s_mov_b32 s24, exec_lo
	v_cmpx_gt_u32_e32 8, v2
; %bb.270:                              ;   in Loop: Header=BB251_10 Depth=1
	s_delay_alu instid0(VALU_DEP_3) | instskip(NEXT) | instid1(VALU_DEP_1)
	v_clz_i32_u32_e32 v1, v78
	v_min_u32_e32 v1, 32, v1
	s_delay_alu instid0(VALU_DEP_1) | instskip(SKIP_1) | instid1(VALU_DEP_2)
	v_subrev_nc_u32_e32 v2, 28, v1
	v_sub_nc_u32_e32 v1, 29, v1
	v_lshlrev_b64 v[2:3], v2, v[78:79]
	s_delay_alu instid0(VALU_DEP_1)
	v_and_b32_e32 v78, 7, v2
; %bb.271:                              ;   in Loop: Header=BB251_10 Depth=1
	s_or_b32 exec_lo, exec_lo, s24
	v_lshlrev_b32_e32 v2, 24, v0
	s_delay_alu instid0(VALU_DEP_2) | instskip(SKIP_1) | instid1(VALU_DEP_3)
	v_lshlrev_b32_e32 v3, 20, v78
	v_lshl_add_u32 v1, v1, 23, 0x3c000000
	v_and_b32_e32 v2, 0x80000000, v2
	s_delay_alu instid0(VALU_DEP_1) | instskip(NEXT) | instid1(VALU_DEP_1)
	v_or3_b32 v78, v3, v2, v1
	v_dual_mov_b32 v44, v78 :: v_dual_mov_b32 v45, v79
.LBB251_272:                            ;   in Loop: Header=BB251_10 Depth=1
	s_or_b32 exec_lo, exec_lo, s23
.LBB251_273:                            ;   in Loop: Header=BB251_10 Depth=1
	s_delay_alu instid0(SALU_CYCLE_1)
	s_or_b32 exec_lo, exec_lo, s18
.LBB251_274:                            ;   in Loop: Header=BB251_10 Depth=1
	s_delay_alu instid0(SALU_CYCLE_1) | instskip(SKIP_2) | instid1(VALU_DEP_1)
	s_or_b32 exec_lo, exec_lo, s3
	v_lshrrev_b16 v1, 8, v0
	s_mov_b32 s3, exec_lo
	v_cmpx_ne_u16_e32 0, v1
	s_cbranch_execz .LBB251_282
; %bb.275:                              ;   in Loop: Header=BB251_10 Depth=1
	v_dual_mov_b32 v191, s9 :: v_dual_mov_b32 v190, s8
	s_mov_b32 s23, exec_lo
	v_cmpx_ne_u16_e32 0x80, v1
	s_cbranch_execz .LBB251_281
; %bb.276:                              ;   in Loop: Header=BB251_10 Depth=1
	s_mov_b32 s18, s8
	v_and_b32_e32 v1, 0xffff, v1
	v_dual_mov_b32 v191, s19 :: v_dual_mov_b32 v190, s18
	s_mov_b32 s18, exec_lo
	s_delay_alu instid0(VALU_DEP_2) | instskip(NEXT) | instid1(VALU_DEP_1)
	v_and_b32_e32 v2, 0x7f, v1
	v_cmpx_ne_u32_e32 0x7f, v2
	s_cbranch_execz .LBB251_280
; %bb.277:                              ;   in Loop: Header=BB251_10 Depth=1
	v_and_b32_e32 v78, 7, v1
	v_lshrrev_b32_e32 v1, 3, v2
	s_mov_b32 s24, exec_lo
	v_cmpx_gt_u32_e32 8, v2
; %bb.278:                              ;   in Loop: Header=BB251_10 Depth=1
	s_delay_alu instid0(VALU_DEP_3) | instskip(NEXT) | instid1(VALU_DEP_1)
	v_clz_i32_u32_e32 v1, v78
	v_min_u32_e32 v1, 32, v1
	s_delay_alu instid0(VALU_DEP_1) | instskip(SKIP_1) | instid1(VALU_DEP_2)
	v_subrev_nc_u32_e32 v2, 28, v1
	v_sub_nc_u32_e32 v1, 29, v1
	v_lshlrev_b64 v[2:3], v2, v[78:79]
	s_delay_alu instid0(VALU_DEP_1)
	v_and_b32_e32 v78, 7, v2
; %bb.279:                              ;   in Loop: Header=BB251_10 Depth=1
	s_or_b32 exec_lo, exec_lo, s24
	v_lshlrev_b32_e32 v0, 16, v0
	s_delay_alu instid0(VALU_DEP_2) | instskip(SKIP_2) | instid1(VALU_DEP_4)
	v_lshlrev_b32_e32 v2, 20, v78
	v_lshl_add_u32 v1, v1, 23, 0x3c000000
	v_mov_b32_e32 v190, v79
	v_and_b32_e32 v0, 0x80000000, v0
	s_delay_alu instid0(VALU_DEP_1)
	v_or3_b32 v191, v2, v0, v1
.LBB251_280:                            ;   in Loop: Header=BB251_10 Depth=1
	s_or_b32 exec_lo, exec_lo, s18
.LBB251_281:                            ;   in Loop: Header=BB251_10 Depth=1
	s_delay_alu instid0(SALU_CYCLE_1)
	s_or_b32 exec_lo, exec_lo, s23
.LBB251_282:                            ;   in Loop: Header=BB251_10 Depth=1
	s_delay_alu instid0(SALU_CYCLE_1)
	s_or_b32 exec_lo, exec_lo, s3
	flat_load_u16 v0, v[88:89] offset:1028
	v_mov_b32_e32 v11, 0
	v_mov_b32_e32 v12, 0
	s_mov_b32 s3, exec_lo
	s_waitcnt vmcnt(0) lgkmcnt(0)
	v_and_b32_e32 v1, 0xff, v0
	v_and_b32_e32 v0, 0xffff, v0
	v_dual_mov_b32 v4, v11 :: v_dual_mov_b32 v5, v12
	s_delay_alu instid0(VALU_DEP_3)
	v_cmpx_ne_u16_e32 0, v1
	s_cbranch_execz .LBB251_290
; %bb.283:                              ;   in Loop: Header=BB251_10 Depth=1
	v_bfrev_b32_e32 v4, 1
	v_and_b32_e32 v1, 0xff, v0
	v_mov_b32_e32 v5, 0
	s_mov_b32 s18, exec_lo
	s_delay_alu instid0(VALU_DEP_2)
	v_cmpx_ne_u16_e32 0x80, v1
	s_cbranch_execz .LBB251_289
; %bb.284:                              ;   in Loop: Header=BB251_10 Depth=1
	v_mov_b32_e32 v4, 0x7f800001
	v_dual_mov_b32 v5, 0 :: v_dual_and_b32 v2, 0x7f, v0
	s_mov_b32 s23, exec_lo
	s_delay_alu instid0(VALU_DEP_1)
	v_cmpx_ne_u32_e32 0x7f, v2
	s_cbranch_execz .LBB251_288
; %bb.285:                              ;   in Loop: Header=BB251_10 Depth=1
	v_and_b32_e32 v78, 7, v0
	v_lshrrev_b32_e32 v1, 3, v2
	s_mov_b32 s24, exec_lo
	v_cmpx_gt_u32_e32 8, v2
; %bb.286:                              ;   in Loop: Header=BB251_10 Depth=1
	s_delay_alu instid0(VALU_DEP_3) | instskip(NEXT) | instid1(VALU_DEP_1)
	v_clz_i32_u32_e32 v1, v78
	v_min_u32_e32 v1, 32, v1
	s_delay_alu instid0(VALU_DEP_1) | instskip(SKIP_1) | instid1(VALU_DEP_2)
	v_subrev_nc_u32_e32 v2, 28, v1
	v_sub_nc_u32_e32 v1, 29, v1
	v_lshlrev_b64 v[2:3], v2, v[78:79]
	s_delay_alu instid0(VALU_DEP_1)
	v_and_b32_e32 v78, 7, v2
; %bb.287:                              ;   in Loop: Header=BB251_10 Depth=1
	s_or_b32 exec_lo, exec_lo, s24
	v_lshlrev_b32_e32 v2, 24, v0
	s_delay_alu instid0(VALU_DEP_2) | instskip(SKIP_1) | instid1(VALU_DEP_3)
	v_lshlrev_b32_e32 v3, 20, v78
	v_lshl_add_u32 v1, v1, 23, 0x3c000000
	v_and_b32_e32 v2, 0x80000000, v2
	s_delay_alu instid0(VALU_DEP_1) | instskip(NEXT) | instid1(VALU_DEP_1)
	v_or3_b32 v78, v3, v2, v1
	v_dual_mov_b32 v4, v78 :: v_dual_mov_b32 v5, v79
.LBB251_288:                            ;   in Loop: Header=BB251_10 Depth=1
	s_or_b32 exec_lo, exec_lo, s23
.LBB251_289:                            ;   in Loop: Header=BB251_10 Depth=1
	s_delay_alu instid0(SALU_CYCLE_1)
	s_or_b32 exec_lo, exec_lo, s18
.LBB251_290:                            ;   in Loop: Header=BB251_10 Depth=1
	s_delay_alu instid0(SALU_CYCLE_1) | instskip(SKIP_2) | instid1(VALU_DEP_1)
	s_or_b32 exec_lo, exec_lo, s3
	v_lshrrev_b16 v1, 8, v0
	s_mov_b32 s3, exec_lo
	v_cmpx_ne_u16_e32 0, v1
	s_cbranch_execz .LBB251_298
; %bb.291:                              ;   in Loop: Header=BB251_10 Depth=1
	v_dual_mov_b32 v12, s9 :: v_dual_mov_b32 v11, s8
	s_mov_b32 s23, exec_lo
	v_cmpx_ne_u16_e32 0x80, v1
	s_cbranch_execz .LBB251_297
; %bb.292:                              ;   in Loop: Header=BB251_10 Depth=1
	s_mov_b32 s18, s8
	v_and_b32_e32 v1, 0xffff, v1
	v_dual_mov_b32 v11, s18 :: v_dual_mov_b32 v12, s19
	s_mov_b32 s18, exec_lo
	s_delay_alu instid0(VALU_DEP_2) | instskip(NEXT) | instid1(VALU_DEP_1)
	v_and_b32_e32 v2, 0x7f, v1
	v_cmpx_ne_u32_e32 0x7f, v2
	s_cbranch_execz .LBB251_296
; %bb.293:                              ;   in Loop: Header=BB251_10 Depth=1
	v_and_b32_e32 v78, 7, v1
	v_lshrrev_b32_e32 v1, 3, v2
	s_mov_b32 s24, exec_lo
	v_cmpx_gt_u32_e32 8, v2
; %bb.294:                              ;   in Loop: Header=BB251_10 Depth=1
	s_delay_alu instid0(VALU_DEP_3) | instskip(NEXT) | instid1(VALU_DEP_1)
	v_clz_i32_u32_e32 v1, v78
	v_min_u32_e32 v1, 32, v1
	s_delay_alu instid0(VALU_DEP_1) | instskip(SKIP_1) | instid1(VALU_DEP_2)
	v_subrev_nc_u32_e32 v2, 28, v1
	v_sub_nc_u32_e32 v1, 29, v1
	v_lshlrev_b64 v[2:3], v2, v[78:79]
	s_delay_alu instid0(VALU_DEP_1)
	v_and_b32_e32 v78, 7, v2
; %bb.295:                              ;   in Loop: Header=BB251_10 Depth=1
	s_or_b32 exec_lo, exec_lo, s24
	v_dual_mov_b32 v11, v79 :: v_dual_lshlrev_b32 v0, 16, v0
	s_delay_alu instid0(VALU_DEP_2) | instskip(SKIP_1) | instid1(VALU_DEP_3)
	v_lshlrev_b32_e32 v2, 20, v78
	v_lshl_add_u32 v1, v1, 23, 0x3c000000
	v_and_b32_e32 v0, 0x80000000, v0
	s_delay_alu instid0(VALU_DEP_1)
	v_or3_b32 v12, v2, v0, v1
.LBB251_296:                            ;   in Loop: Header=BB251_10 Depth=1
	s_or_b32 exec_lo, exec_lo, s18
.LBB251_297:                            ;   in Loop: Header=BB251_10 Depth=1
	s_delay_alu instid0(SALU_CYCLE_1)
	s_or_b32 exec_lo, exec_lo, s23
.LBB251_298:                            ;   in Loop: Header=BB251_10 Depth=1
	s_delay_alu instid0(SALU_CYCLE_1) | instskip(SKIP_1) | instid1(VALU_DEP_1)
	s_or_b32 exec_lo, exec_lo, s3
	v_add_co_u32 v6, s2, 0x400, v88
	v_add_co_ci_u32_e64 v7, s2, 0, v89, s2
	flat_load_u16 v2, v[6:7] offset:8
	v_mov_b32_e32 v0, 0
	s_waitcnt vmcnt(0) lgkmcnt(0)
	v_dual_mov_b32 v1, 0 :: v_dual_and_b32 v8, 0xffff, v2
	v_and_b32_e32 v3, 0xff, v2
	s_delay_alu instid0(VALU_DEP_1) | instskip(NEXT) | instid1(VALU_DEP_3)
	v_cmp_ne_u16_e64 s2, 0, v3
	v_dual_mov_b32 v3, v1 :: v_dual_mov_b32 v2, v0
	s_delay_alu instid0(VALU_DEP_2)
	s_and_saveexec_b32 s3, s2
	s_cbranch_execz .LBB251_306
; %bb.299:                              ;   in Loop: Header=BB251_10 Depth=1
	v_and_b32_e32 v2, 0xff, v8
	s_delay_alu instid0(VALU_DEP_1) | instskip(SKIP_2) | instid1(VALU_DEP_3)
	v_cmp_ne_u16_e64 s2, 0x80, v2
	v_bfrev_b32_e32 v2, 1
	v_mov_b32_e32 v3, 0
	s_and_saveexec_b32 s18, s2
	s_cbranch_execz .LBB251_305
; %bb.300:                              ;   in Loop: Header=BB251_10 Depth=1
	v_mov_b32_e32 v2, 0x7f800001
	v_and_b32_e32 v9, 0x7f, v8
	v_mov_b32_e32 v3, 0
	s_mov_b32 s23, exec_lo
	s_delay_alu instid0(VALU_DEP_2)
	v_cmpx_ne_u32_e32 0x7f, v9
	s_cbranch_execz .LBB251_304
; %bb.301:                              ;   in Loop: Header=BB251_10 Depth=1
	v_and_b32_e32 v78, 7, v8
	v_lshrrev_b32_e32 v2, 3, v9
	s_mov_b32 s24, exec_lo
	v_cmpx_gt_u32_e32 8, v9
; %bb.302:                              ;   in Loop: Header=BB251_10 Depth=1
	s_delay_alu instid0(VALU_DEP_3) | instskip(NEXT) | instid1(VALU_DEP_1)
	v_clz_i32_u32_e32 v2, v78
	v_min_u32_e32 v2, 32, v2
	s_delay_alu instid0(VALU_DEP_1) | instskip(SKIP_1) | instid1(VALU_DEP_2)
	v_subrev_nc_u32_e32 v3, 28, v2
	v_sub_nc_u32_e32 v2, 29, v2
	v_lshlrev_b64 v[14:15], v3, v[78:79]
	s_delay_alu instid0(VALU_DEP_1)
	v_and_b32_e32 v78, 7, v14
; %bb.303:                              ;   in Loop: Header=BB251_10 Depth=1
	s_or_b32 exec_lo, exec_lo, s24
	v_lshlrev_b32_e32 v3, 24, v8
	s_delay_alu instid0(VALU_DEP_2) | instskip(SKIP_1) | instid1(VALU_DEP_3)
	v_lshlrev_b32_e32 v9, 20, v78
	v_lshl_add_u32 v2, v2, 23, 0x3c000000
	v_and_b32_e32 v3, 0x80000000, v3
	s_delay_alu instid0(VALU_DEP_1) | instskip(NEXT) | instid1(VALU_DEP_1)
	v_or3_b32 v78, v9, v3, v2
	v_dual_mov_b32 v2, v78 :: v_dual_mov_b32 v3, v79
.LBB251_304:                            ;   in Loop: Header=BB251_10 Depth=1
	s_or_b32 exec_lo, exec_lo, s23
.LBB251_305:                            ;   in Loop: Header=BB251_10 Depth=1
	s_delay_alu instid0(SALU_CYCLE_1)
	s_or_b32 exec_lo, exec_lo, s18
.LBB251_306:                            ;   in Loop: Header=BB251_10 Depth=1
	s_delay_alu instid0(SALU_CYCLE_1) | instskip(SKIP_2) | instid1(VALU_DEP_1)
	s_or_b32 exec_lo, exec_lo, s3
	v_lshrrev_b16 v9, 8, v8
	s_mov_b32 s3, exec_lo
	v_cmpx_ne_u16_e32 0, v9
	s_cbranch_execz .LBB251_314
; %bb.307:                              ;   in Loop: Header=BB251_10 Depth=1
	v_dual_mov_b32 v0, s8 :: v_dual_mov_b32 v1, s9
	s_mov_b32 s23, exec_lo
	v_cmpx_ne_u16_e32 0x80, v9
	s_cbranch_execz .LBB251_313
; %bb.308:                              ;   in Loop: Header=BB251_10 Depth=1
	s_mov_b32 s18, s8
	v_and_b32_e32 v14, 0xffff, v9
	v_dual_mov_b32 v0, s18 :: v_dual_mov_b32 v1, s19
	s_mov_b32 s18, exec_lo
	s_delay_alu instid0(VALU_DEP_2) | instskip(NEXT) | instid1(VALU_DEP_1)
	v_and_b32_e32 v9, 0x7f, v14
	v_cmpx_ne_u32_e32 0x7f, v9
	s_cbranch_execz .LBB251_312
; %bb.309:                              ;   in Loop: Header=BB251_10 Depth=1
	v_and_b32_e32 v78, 7, v14
	v_lshrrev_b32_e32 v0, 3, v9
	s_mov_b32 s24, exec_lo
	v_cmpx_gt_u32_e32 8, v9
; %bb.310:                              ;   in Loop: Header=BB251_10 Depth=1
	s_delay_alu instid0(VALU_DEP_3) | instskip(NEXT) | instid1(VALU_DEP_1)
	v_clz_i32_u32_e32 v0, v78
	v_min_u32_e32 v0, 32, v0
	s_delay_alu instid0(VALU_DEP_1) | instskip(SKIP_1) | instid1(VALU_DEP_2)
	v_subrev_nc_u32_e32 v1, 28, v0
	v_sub_nc_u32_e32 v0, 29, v0
	v_lshlrev_b64 v[14:15], v1, v[78:79]
	s_delay_alu instid0(VALU_DEP_1)
	v_and_b32_e32 v78, 7, v14
; %bb.311:                              ;   in Loop: Header=BB251_10 Depth=1
	s_or_b32 exec_lo, exec_lo, s24
	v_lshlrev_b32_e32 v1, 16, v8
	s_delay_alu instid0(VALU_DEP_2) | instskip(SKIP_1) | instid1(VALU_DEP_3)
	v_lshlrev_b32_e32 v8, 20, v78
	v_lshl_add_u32 v0, v0, 23, 0x3c000000
	v_and_b32_e32 v1, 0x80000000, v1
	s_delay_alu instid0(VALU_DEP_1)
	v_or3_b32 v1, v8, v1, v0
	v_mov_b32_e32 v0, v79
.LBB251_312:                            ;   in Loop: Header=BB251_10 Depth=1
	s_or_b32 exec_lo, exec_lo, s18
.LBB251_313:                            ;   in Loop: Header=BB251_10 Depth=1
	s_delay_alu instid0(SALU_CYCLE_1)
	s_or_b32 exec_lo, exec_lo, s23
.LBB251_314:                            ;   in Loop: Header=BB251_10 Depth=1
	s_delay_alu instid0(SALU_CYCLE_1)
	s_or_b32 exec_lo, exec_lo, s3
	flat_load_u16 v6, v[6:7] offset:12
	v_mov_b32_e32 v14, 0
	v_mov_b32_e32 v15, 0
	s_mov_b32 s3, exec_lo
	s_waitcnt vmcnt(0) lgkmcnt(0)
	v_and_b32_e32 v7, 0xff, v6
	s_delay_alu instid0(VALU_DEP_2) | instskip(SKIP_1) | instid1(VALU_DEP_3)
	v_dual_mov_b32 v57, v15 :: v_dual_and_b32 v6, 0xffff, v6
	v_mov_b32_e32 v56, v14
	v_cmpx_ne_u16_e32 0, v7
	s_cbranch_execz .LBB251_322
; %bb.315:                              ;   in Loop: Header=BB251_10 Depth=1
	v_bfrev_b32_e32 v56, 1
	v_and_b32_e32 v7, 0xff, v6
	v_mov_b32_e32 v57, 0
	s_mov_b32 s18, exec_lo
	s_delay_alu instid0(VALU_DEP_2)
	v_cmpx_ne_u16_e32 0x80, v7
	s_cbranch_execz .LBB251_321
; %bb.316:                              ;   in Loop: Header=BB251_10 Depth=1
	v_mov_b32_e32 v56, 0x7f800001
	v_dual_mov_b32 v57, 0 :: v_dual_and_b32 v8, 0x7f, v6
	s_mov_b32 s23, exec_lo
	s_delay_alu instid0(VALU_DEP_1)
	v_cmpx_ne_u32_e32 0x7f, v8
	s_cbranch_execz .LBB251_320
; %bb.317:                              ;   in Loop: Header=BB251_10 Depth=1
	v_and_b32_e32 v78, 7, v6
	v_lshrrev_b32_e32 v7, 3, v8
	s_mov_b32 s24, exec_lo
	v_cmpx_gt_u32_e32 8, v8
; %bb.318:                              ;   in Loop: Header=BB251_10 Depth=1
	s_delay_alu instid0(VALU_DEP_3) | instskip(NEXT) | instid1(VALU_DEP_1)
	v_clz_i32_u32_e32 v7, v78
	v_min_u32_e32 v7, 32, v7
	s_delay_alu instid0(VALU_DEP_1) | instskip(SKIP_1) | instid1(VALU_DEP_2)
	v_subrev_nc_u32_e32 v8, 28, v7
	v_sub_nc_u32_e32 v7, 29, v7
	v_lshlrev_b64 v[8:9], v8, v[78:79]
	s_delay_alu instid0(VALU_DEP_1)
	v_and_b32_e32 v78, 7, v8
; %bb.319:                              ;   in Loop: Header=BB251_10 Depth=1
	s_or_b32 exec_lo, exec_lo, s24
	v_lshlrev_b32_e32 v8, 24, v6
	s_delay_alu instid0(VALU_DEP_2) | instskip(SKIP_1) | instid1(VALU_DEP_3)
	v_lshlrev_b32_e32 v9, 20, v78
	v_lshl_add_u32 v7, v7, 23, 0x3c000000
	v_and_b32_e32 v8, 0x80000000, v8
	s_delay_alu instid0(VALU_DEP_1) | instskip(NEXT) | instid1(VALU_DEP_1)
	v_or3_b32 v78, v9, v8, v7
	v_dual_mov_b32 v56, v78 :: v_dual_mov_b32 v57, v79
.LBB251_320:                            ;   in Loop: Header=BB251_10 Depth=1
	s_or_b32 exec_lo, exec_lo, s23
.LBB251_321:                            ;   in Loop: Header=BB251_10 Depth=1
	s_delay_alu instid0(SALU_CYCLE_1)
	s_or_b32 exec_lo, exec_lo, s18
.LBB251_322:                            ;   in Loop: Header=BB251_10 Depth=1
	s_delay_alu instid0(SALU_CYCLE_1) | instskip(SKIP_2) | instid1(VALU_DEP_1)
	s_or_b32 exec_lo, exec_lo, s3
	v_lshrrev_b16 v7, 8, v6
	s_mov_b32 s3, exec_lo
	v_cmpx_ne_u16_e32 0, v7
	s_cbranch_execz .LBB251_330
; %bb.323:                              ;   in Loop: Header=BB251_10 Depth=1
	v_dual_mov_b32 v15, s9 :: v_dual_mov_b32 v14, s8
	s_mov_b32 s23, exec_lo
	v_cmpx_ne_u16_e32 0x80, v7
	s_cbranch_execz .LBB251_329
; %bb.324:                              ;   in Loop: Header=BB251_10 Depth=1
	s_mov_b32 s18, s8
	s_delay_alu instid0(SALU_CYCLE_1) | instskip(SKIP_2) | instid1(VALU_DEP_2)
	v_dual_mov_b32 v14, s18 :: v_dual_and_b32 v7, 0xffff, v7
	v_mov_b32_e32 v15, s19
	s_mov_b32 s18, exec_lo
	v_and_b32_e32 v8, 0x7f, v7
	s_delay_alu instid0(VALU_DEP_1)
	v_cmpx_ne_u32_e32 0x7f, v8
	s_cbranch_execz .LBB251_328
; %bb.325:                              ;   in Loop: Header=BB251_10 Depth=1
	v_and_b32_e32 v78, 7, v7
	v_lshrrev_b32_e32 v7, 3, v8
	s_mov_b32 s24, exec_lo
	v_cmpx_gt_u32_e32 8, v8
; %bb.326:                              ;   in Loop: Header=BB251_10 Depth=1
	s_delay_alu instid0(VALU_DEP_3) | instskip(NEXT) | instid1(VALU_DEP_1)
	v_clz_i32_u32_e32 v7, v78
	v_min_u32_e32 v7, 32, v7
	s_delay_alu instid0(VALU_DEP_1) | instskip(SKIP_1) | instid1(VALU_DEP_2)
	v_subrev_nc_u32_e32 v8, 28, v7
	v_sub_nc_u32_e32 v7, 29, v7
	v_lshlrev_b64 v[8:9], v8, v[78:79]
	s_delay_alu instid0(VALU_DEP_1)
	v_and_b32_e32 v78, 7, v8
; %bb.327:                              ;   in Loop: Header=BB251_10 Depth=1
	s_or_b32 exec_lo, exec_lo, s24
	v_lshlrev_b32_e32 v6, 16, v6
	s_delay_alu instid0(VALU_DEP_2) | instskip(SKIP_2) | instid1(VALU_DEP_4)
	v_lshlrev_b32_e32 v8, 20, v78
	v_lshl_add_u32 v7, v7, 23, 0x3c000000
	v_mov_b32_e32 v14, v79
	v_and_b32_e32 v6, 0x80000000, v6
	s_delay_alu instid0(VALU_DEP_1)
	v_or3_b32 v15, v8, v6, v7
.LBB251_328:                            ;   in Loop: Header=BB251_10 Depth=1
	s_or_b32 exec_lo, exec_lo, s18
.LBB251_329:                            ;   in Loop: Header=BB251_10 Depth=1
	s_delay_alu instid0(SALU_CYCLE_1)
	s_or_b32 exec_lo, exec_lo, s23
.LBB251_330:                            ;   in Loop: Header=BB251_10 Depth=1
	s_delay_alu instid0(SALU_CYCLE_1)
	s_or_b32 exec_lo, exec_lo, s3
	flat_load_u16 v6, v[88:89] offset:1280
	v_mov_b32_e32 v26, 0
	v_mov_b32_e32 v27, 0
	s_mov_b32 s3, exec_lo
	s_waitcnt vmcnt(0) lgkmcnt(0)
	v_and_b32_e32 v7, 0xff, v6
	s_delay_alu instid0(VALU_DEP_2) | instskip(SKIP_1) | instid1(VALU_DEP_3)
	v_dual_mov_b32 v121, v27 :: v_dual_and_b32 v6, 0xffff, v6
	v_mov_b32_e32 v120, v26
	v_cmpx_ne_u16_e32 0, v7
	s_cbranch_execz .LBB251_338
; %bb.331:                              ;   in Loop: Header=BB251_10 Depth=1
	v_bfrev_b32_e32 v120, 1
	v_and_b32_e32 v7, 0xff, v6
	v_mov_b32_e32 v121, 0
	s_mov_b32 s18, exec_lo
	s_delay_alu instid0(VALU_DEP_2)
	v_cmpx_ne_u16_e32 0x80, v7
	s_cbranch_execz .LBB251_337
; %bb.332:                              ;   in Loop: Header=BB251_10 Depth=1
	v_mov_b32_e32 v120, 0x7f800001
	v_dual_mov_b32 v121, 0 :: v_dual_and_b32 v8, 0x7f, v6
	s_mov_b32 s23, exec_lo
	s_delay_alu instid0(VALU_DEP_1)
	v_cmpx_ne_u32_e32 0x7f, v8
	s_cbranch_execz .LBB251_336
; %bb.333:                              ;   in Loop: Header=BB251_10 Depth=1
	v_and_b32_e32 v78, 7, v6
	v_lshrrev_b32_e32 v7, 3, v8
	s_mov_b32 s24, exec_lo
	v_cmpx_gt_u32_e32 8, v8
; %bb.334:                              ;   in Loop: Header=BB251_10 Depth=1
	s_delay_alu instid0(VALU_DEP_3) | instskip(NEXT) | instid1(VALU_DEP_1)
	v_clz_i32_u32_e32 v7, v78
	v_min_u32_e32 v7, 32, v7
	s_delay_alu instid0(VALU_DEP_1) | instskip(SKIP_1) | instid1(VALU_DEP_2)
	v_subrev_nc_u32_e32 v8, 28, v7
	v_sub_nc_u32_e32 v7, 29, v7
	v_lshlrev_b64 v[8:9], v8, v[78:79]
	s_delay_alu instid0(VALU_DEP_1)
	v_and_b32_e32 v78, 7, v8
; %bb.335:                              ;   in Loop: Header=BB251_10 Depth=1
	s_or_b32 exec_lo, exec_lo, s24
	v_lshlrev_b32_e32 v8, 24, v6
	s_delay_alu instid0(VALU_DEP_2) | instskip(SKIP_1) | instid1(VALU_DEP_3)
	v_lshlrev_b32_e32 v9, 20, v78
	v_lshl_add_u32 v7, v7, 23, 0x3c000000
	v_and_b32_e32 v8, 0x80000000, v8
	s_delay_alu instid0(VALU_DEP_1) | instskip(NEXT) | instid1(VALU_DEP_1)
	v_or3_b32 v78, v9, v8, v7
	v_dual_mov_b32 v121, v79 :: v_dual_mov_b32 v120, v78
.LBB251_336:                            ;   in Loop: Header=BB251_10 Depth=1
	s_or_b32 exec_lo, exec_lo, s23
.LBB251_337:                            ;   in Loop: Header=BB251_10 Depth=1
	s_delay_alu instid0(SALU_CYCLE_1)
	s_or_b32 exec_lo, exec_lo, s18
.LBB251_338:                            ;   in Loop: Header=BB251_10 Depth=1
	s_delay_alu instid0(SALU_CYCLE_1) | instskip(SKIP_2) | instid1(VALU_DEP_1)
	s_or_b32 exec_lo, exec_lo, s3
	v_lshrrev_b16 v7, 8, v6
	s_mov_b32 s3, exec_lo
	v_cmpx_ne_u16_e32 0, v7
	s_cbranch_execz .LBB251_346
; %bb.339:                              ;   in Loop: Header=BB251_10 Depth=1
	v_dual_mov_b32 v27, s9 :: v_dual_mov_b32 v26, s8
	s_mov_b32 s23, exec_lo
	v_cmpx_ne_u16_e32 0x80, v7
	s_cbranch_execz .LBB251_345
; %bb.340:                              ;   in Loop: Header=BB251_10 Depth=1
	s_mov_b32 s18, s8
	v_and_b32_e32 v7, 0xffff, v7
	v_dual_mov_b32 v27, s19 :: v_dual_mov_b32 v26, s18
	s_mov_b32 s18, exec_lo
	s_delay_alu instid0(VALU_DEP_2) | instskip(NEXT) | instid1(VALU_DEP_1)
	v_and_b32_e32 v8, 0x7f, v7
	v_cmpx_ne_u32_e32 0x7f, v8
	s_cbranch_execz .LBB251_344
; %bb.341:                              ;   in Loop: Header=BB251_10 Depth=1
	v_and_b32_e32 v78, 7, v7
	v_lshrrev_b32_e32 v7, 3, v8
	s_mov_b32 s24, exec_lo
	v_cmpx_gt_u32_e32 8, v8
; %bb.342:                              ;   in Loop: Header=BB251_10 Depth=1
	s_delay_alu instid0(VALU_DEP_3) | instskip(NEXT) | instid1(VALU_DEP_1)
	v_clz_i32_u32_e32 v7, v78
	v_min_u32_e32 v7, 32, v7
	s_delay_alu instid0(VALU_DEP_1) | instskip(SKIP_1) | instid1(VALU_DEP_2)
	v_subrev_nc_u32_e32 v8, 28, v7
	v_sub_nc_u32_e32 v7, 29, v7
	v_lshlrev_b64 v[8:9], v8, v[78:79]
	s_delay_alu instid0(VALU_DEP_1)
	v_and_b32_e32 v78, 7, v8
; %bb.343:                              ;   in Loop: Header=BB251_10 Depth=1
	s_or_b32 exec_lo, exec_lo, s24
	v_lshlrev_b32_e32 v6, 16, v6
	s_delay_alu instid0(VALU_DEP_2) | instskip(SKIP_2) | instid1(VALU_DEP_4)
	v_lshlrev_b32_e32 v8, 20, v78
	v_lshl_add_u32 v7, v7, 23, 0x3c000000
	v_mov_b32_e32 v26, v79
	v_and_b32_e32 v6, 0x80000000, v6
	s_delay_alu instid0(VALU_DEP_1)
	v_or3_b32 v27, v8, v6, v7
.LBB251_344:                            ;   in Loop: Header=BB251_10 Depth=1
	s_or_b32 exec_lo, exec_lo, s18
.LBB251_345:                            ;   in Loop: Header=BB251_10 Depth=1
	s_delay_alu instid0(SALU_CYCLE_1)
	s_or_b32 exec_lo, exec_lo, s23
.LBB251_346:                            ;   in Loop: Header=BB251_10 Depth=1
	s_delay_alu instid0(SALU_CYCLE_1)
	s_or_b32 exec_lo, exec_lo, s3
	flat_load_u16 v8, v[88:89] offset:1284
	v_mov_b32_e32 v6, 0
	s_waitcnt vmcnt(0) lgkmcnt(0)
	v_dual_mov_b32 v7, 0 :: v_dual_and_b32 v16, 0xffff, v8
	v_and_b32_e32 v9, 0xff, v8
	s_delay_alu instid0(VALU_DEP_1) | instskip(NEXT) | instid1(VALU_DEP_3)
	v_cmp_ne_u16_e64 s2, 0, v9
	v_dual_mov_b32 v9, v7 :: v_dual_mov_b32 v8, v6
	s_delay_alu instid0(VALU_DEP_2)
	s_and_saveexec_b32 s3, s2
	s_cbranch_execz .LBB251_354
; %bb.347:                              ;   in Loop: Header=BB251_10 Depth=1
	v_and_b32_e32 v8, 0xff, v16
	s_delay_alu instid0(VALU_DEP_1) | instskip(SKIP_2) | instid1(VALU_DEP_3)
	v_cmp_ne_u16_e64 s2, 0x80, v8
	v_bfrev_b32_e32 v8, 1
	v_mov_b32_e32 v9, 0
	s_and_saveexec_b32 s18, s2
	s_cbranch_execz .LBB251_353
; %bb.348:                              ;   in Loop: Header=BB251_10 Depth=1
	v_mov_b32_e32 v8, 0x7f800001
	v_and_b32_e32 v17, 0x7f, v16
	v_mov_b32_e32 v9, 0
	s_mov_b32 s23, exec_lo
	s_delay_alu instid0(VALU_DEP_2)
	v_cmpx_ne_u32_e32 0x7f, v17
	s_cbranch_execz .LBB251_352
; %bb.349:                              ;   in Loop: Header=BB251_10 Depth=1
	v_and_b32_e32 v78, 7, v16
	v_lshrrev_b32_e32 v8, 3, v17
	s_mov_b32 s24, exec_lo
	v_cmpx_gt_u32_e32 8, v17
; %bb.350:                              ;   in Loop: Header=BB251_10 Depth=1
	s_delay_alu instid0(VALU_DEP_3) | instskip(NEXT) | instid1(VALU_DEP_1)
	v_clz_i32_u32_e32 v8, v78
	v_min_u32_e32 v8, 32, v8
	s_delay_alu instid0(VALU_DEP_1) | instskip(SKIP_1) | instid1(VALU_DEP_2)
	v_subrev_nc_u32_e32 v9, 28, v8
	v_sub_nc_u32_e32 v8, 29, v8
	v_lshlrev_b64 v[17:18], v9, v[78:79]
	s_delay_alu instid0(VALU_DEP_1)
	v_and_b32_e32 v78, 7, v17
; %bb.351:                              ;   in Loop: Header=BB251_10 Depth=1
	s_or_b32 exec_lo, exec_lo, s24
	v_lshlrev_b32_e32 v9, 24, v16
	s_delay_alu instid0(VALU_DEP_2) | instskip(SKIP_1) | instid1(VALU_DEP_3)
	v_lshlrev_b32_e32 v17, 20, v78
	v_lshl_add_u32 v8, v8, 23, 0x3c000000
	v_and_b32_e32 v9, 0x80000000, v9
	s_delay_alu instid0(VALU_DEP_1) | instskip(NEXT) | instid1(VALU_DEP_1)
	v_or3_b32 v78, v17, v9, v8
	v_dual_mov_b32 v8, v78 :: v_dual_mov_b32 v9, v79
.LBB251_352:                            ;   in Loop: Header=BB251_10 Depth=1
	s_or_b32 exec_lo, exec_lo, s23
.LBB251_353:                            ;   in Loop: Header=BB251_10 Depth=1
	s_delay_alu instid0(SALU_CYCLE_1)
	s_or_b32 exec_lo, exec_lo, s18
.LBB251_354:                            ;   in Loop: Header=BB251_10 Depth=1
	s_delay_alu instid0(SALU_CYCLE_1) | instskip(SKIP_2) | instid1(VALU_DEP_1)
	s_or_b32 exec_lo, exec_lo, s3
	v_lshrrev_b16 v17, 8, v16
	s_mov_b32 s3, exec_lo
	v_cmpx_ne_u16_e32 0, v17
	s_cbranch_execz .LBB251_362
; %bb.355:                              ;   in Loop: Header=BB251_10 Depth=1
	v_dual_mov_b32 v6, s8 :: v_dual_mov_b32 v7, s9
	s_mov_b32 s23, exec_lo
	v_cmpx_ne_u16_e32 0x80, v17
	s_cbranch_execz .LBB251_361
; %bb.356:                              ;   in Loop: Header=BB251_10 Depth=1
	s_mov_b32 s18, s8
	v_and_b32_e32 v18, 0xffff, v17
	v_dual_mov_b32 v6, s18 :: v_dual_mov_b32 v7, s19
	s_mov_b32 s18, exec_lo
	s_delay_alu instid0(VALU_DEP_2) | instskip(NEXT) | instid1(VALU_DEP_1)
	v_and_b32_e32 v17, 0x7f, v18
	v_cmpx_ne_u32_e32 0x7f, v17
	s_cbranch_execz .LBB251_360
; %bb.357:                              ;   in Loop: Header=BB251_10 Depth=1
	v_and_b32_e32 v78, 7, v18
	v_lshrrev_b32_e32 v6, 3, v17
	s_mov_b32 s24, exec_lo
	v_cmpx_gt_u32_e32 8, v17
; %bb.358:                              ;   in Loop: Header=BB251_10 Depth=1
	s_delay_alu instid0(VALU_DEP_3) | instskip(NEXT) | instid1(VALU_DEP_1)
	v_clz_i32_u32_e32 v6, v78
	v_min_u32_e32 v6, 32, v6
	s_delay_alu instid0(VALU_DEP_1) | instskip(SKIP_1) | instid1(VALU_DEP_2)
	v_subrev_nc_u32_e32 v7, 28, v6
	v_sub_nc_u32_e32 v6, 29, v6
	v_lshlrev_b64 v[17:18], v7, v[78:79]
	s_delay_alu instid0(VALU_DEP_1)
	v_and_b32_e32 v78, 7, v17
; %bb.359:                              ;   in Loop: Header=BB251_10 Depth=1
	s_or_b32 exec_lo, exec_lo, s24
	v_lshlrev_b32_e32 v7, 16, v16
	s_delay_alu instid0(VALU_DEP_2) | instskip(SKIP_1) | instid1(VALU_DEP_3)
	v_lshlrev_b32_e32 v16, 20, v78
	v_lshl_add_u32 v6, v6, 23, 0x3c000000
	v_and_b32_e32 v7, 0x80000000, v7
	s_delay_alu instid0(VALU_DEP_1)
	v_or3_b32 v7, v16, v7, v6
	v_mov_b32_e32 v6, v79
.LBB251_360:                            ;   in Loop: Header=BB251_10 Depth=1
	s_or_b32 exec_lo, exec_lo, s18
.LBB251_361:                            ;   in Loop: Header=BB251_10 Depth=1
	s_delay_alu instid0(SALU_CYCLE_1)
	s_or_b32 exec_lo, exec_lo, s23
.LBB251_362:                            ;   in Loop: Header=BB251_10 Depth=1
	s_delay_alu instid0(SALU_CYCLE_1) | instskip(SKIP_1) | instid1(VALU_DEP_1)
	s_or_b32 exec_lo, exec_lo, s3
	v_add_co_u32 v20, s2, 0x500, v88
	v_add_co_ci_u32_e64 v21, s2, 0, v89, s2
	flat_load_u16 v18, v[20:21] offset:8
	v_mov_b32_e32 v16, 0
	s_waitcnt vmcnt(0) lgkmcnt(0)
	v_dual_mov_b32 v17, 0 :: v_dual_and_b32 v24, 0xffff, v18
	v_and_b32_e32 v19, 0xff, v18
	s_delay_alu instid0(VALU_DEP_1) | instskip(NEXT) | instid1(VALU_DEP_3)
	v_cmp_ne_u16_e64 s2, 0, v19
	v_dual_mov_b32 v19, v17 :: v_dual_mov_b32 v18, v16
	s_delay_alu instid0(VALU_DEP_2)
	s_and_saveexec_b32 s3, s2
	s_cbranch_execz .LBB251_370
; %bb.363:                              ;   in Loop: Header=BB251_10 Depth=1
	v_and_b32_e32 v18, 0xff, v24
	s_delay_alu instid0(VALU_DEP_1) | instskip(SKIP_2) | instid1(VALU_DEP_3)
	v_cmp_ne_u16_e64 s2, 0x80, v18
	v_bfrev_b32_e32 v18, 1
	v_mov_b32_e32 v19, 0
	s_and_saveexec_b32 s18, s2
	s_cbranch_execz .LBB251_369
; %bb.364:                              ;   in Loop: Header=BB251_10 Depth=1
	v_mov_b32_e32 v18, 0x7f800001
	v_and_b32_e32 v25, 0x7f, v24
	v_mov_b32_e32 v19, 0
	s_mov_b32 s23, exec_lo
	s_delay_alu instid0(VALU_DEP_2)
	v_cmpx_ne_u32_e32 0x7f, v25
	s_cbranch_execz .LBB251_368
; %bb.365:                              ;   in Loop: Header=BB251_10 Depth=1
	v_and_b32_e32 v78, 7, v24
	v_lshrrev_b32_e32 v18, 3, v25
	s_mov_b32 s24, exec_lo
	v_cmpx_gt_u32_e32 8, v25
; %bb.366:                              ;   in Loop: Header=BB251_10 Depth=1
	s_delay_alu instid0(VALU_DEP_3) | instskip(NEXT) | instid1(VALU_DEP_1)
	v_clz_i32_u32_e32 v18, v78
	v_min_u32_e32 v18, 32, v18
	s_delay_alu instid0(VALU_DEP_1) | instskip(SKIP_1) | instid1(VALU_DEP_2)
	v_subrev_nc_u32_e32 v19, 28, v18
	v_sub_nc_u32_e32 v18, 29, v18
	v_lshlrev_b64 v[28:29], v19, v[78:79]
	s_delay_alu instid0(VALU_DEP_1)
	v_and_b32_e32 v78, 7, v28
; %bb.367:                              ;   in Loop: Header=BB251_10 Depth=1
	s_or_b32 exec_lo, exec_lo, s24
	v_lshlrev_b32_e32 v19, 24, v24
	s_delay_alu instid0(VALU_DEP_2) | instskip(SKIP_1) | instid1(VALU_DEP_3)
	v_lshlrev_b32_e32 v25, 20, v78
	v_lshl_add_u32 v18, v18, 23, 0x3c000000
	v_and_b32_e32 v19, 0x80000000, v19
	s_delay_alu instid0(VALU_DEP_1) | instskip(NEXT) | instid1(VALU_DEP_1)
	v_or3_b32 v78, v25, v19, v18
	v_dual_mov_b32 v18, v78 :: v_dual_mov_b32 v19, v79
.LBB251_368:                            ;   in Loop: Header=BB251_10 Depth=1
	s_or_b32 exec_lo, exec_lo, s23
.LBB251_369:                            ;   in Loop: Header=BB251_10 Depth=1
	s_delay_alu instid0(SALU_CYCLE_1)
	s_or_b32 exec_lo, exec_lo, s18
.LBB251_370:                            ;   in Loop: Header=BB251_10 Depth=1
	s_delay_alu instid0(SALU_CYCLE_1) | instskip(SKIP_2) | instid1(VALU_DEP_1)
	s_or_b32 exec_lo, exec_lo, s3
	v_lshrrev_b16 v25, 8, v24
	s_mov_b32 s3, exec_lo
	v_cmpx_ne_u16_e32 0, v25
	s_cbranch_execz .LBB251_378
; %bb.371:                              ;   in Loop: Header=BB251_10 Depth=1
	v_dual_mov_b32 v17, s9 :: v_dual_mov_b32 v16, s8
	s_mov_b32 s23, exec_lo
	v_cmpx_ne_u16_e32 0x80, v25
	s_cbranch_execz .LBB251_377
; %bb.372:                              ;   in Loop: Header=BB251_10 Depth=1
	s_mov_b32 s18, s8
	v_and_b32_e32 v28, 0xffff, v25
	v_dual_mov_b32 v16, s18 :: v_dual_mov_b32 v17, s19
	s_mov_b32 s18, exec_lo
	s_delay_alu instid0(VALU_DEP_2) | instskip(NEXT) | instid1(VALU_DEP_1)
	v_and_b32_e32 v25, 0x7f, v28
	v_cmpx_ne_u32_e32 0x7f, v25
	s_cbranch_execz .LBB251_376
; %bb.373:                              ;   in Loop: Header=BB251_10 Depth=1
	v_and_b32_e32 v78, 7, v28
	v_lshrrev_b32_e32 v16, 3, v25
	s_mov_b32 s24, exec_lo
	v_cmpx_gt_u32_e32 8, v25
; %bb.374:                              ;   in Loop: Header=BB251_10 Depth=1
	s_delay_alu instid0(VALU_DEP_3) | instskip(NEXT) | instid1(VALU_DEP_1)
	v_clz_i32_u32_e32 v16, v78
	v_min_u32_e32 v16, 32, v16
	s_delay_alu instid0(VALU_DEP_1) | instskip(SKIP_1) | instid1(VALU_DEP_2)
	v_subrev_nc_u32_e32 v17, 28, v16
	v_sub_nc_u32_e32 v16, 29, v16
	v_lshlrev_b64 v[28:29], v17, v[78:79]
	s_delay_alu instid0(VALU_DEP_1)
	v_and_b32_e32 v78, 7, v28
; %bb.375:                              ;   in Loop: Header=BB251_10 Depth=1
	s_or_b32 exec_lo, exec_lo, s24
	v_lshlrev_b32_e32 v17, 16, v24
	s_delay_alu instid0(VALU_DEP_2) | instskip(SKIP_1) | instid1(VALU_DEP_3)
	v_lshlrev_b32_e32 v24, 20, v78
	v_lshl_add_u32 v16, v16, 23, 0x3c000000
	v_and_b32_e32 v17, 0x80000000, v17
	s_delay_alu instid0(VALU_DEP_1)
	v_or3_b32 v17, v24, v17, v16
	v_mov_b32_e32 v16, v79
.LBB251_376:                            ;   in Loop: Header=BB251_10 Depth=1
	s_or_b32 exec_lo, exec_lo, s18
.LBB251_377:                            ;   in Loop: Header=BB251_10 Depth=1
	s_delay_alu instid0(SALU_CYCLE_1)
	s_or_b32 exec_lo, exec_lo, s23
.LBB251_378:                            ;   in Loop: Header=BB251_10 Depth=1
	s_delay_alu instid0(SALU_CYCLE_1)
	s_or_b32 exec_lo, exec_lo, s3
	flat_load_u16 v20, v[20:21] offset:12
	v_mov_b32_e32 v28, 0
	v_mov_b32_e32 v29, 0
	s_mov_b32 s3, exec_lo
	s_waitcnt vmcnt(0) lgkmcnt(0)
	v_and_b32_e32 v21, 0xff, v20
	s_delay_alu instid0(VALU_DEP_2) | instskip(SKIP_1) | instid1(VALU_DEP_3)
	v_dual_mov_b32 v31, v29 :: v_dual_and_b32 v20, 0xffff, v20
	v_mov_b32_e32 v30, v28
	v_cmpx_ne_u16_e32 0, v21
	s_cbranch_execz .LBB251_386
; %bb.379:                              ;   in Loop: Header=BB251_10 Depth=1
	v_bfrev_b32_e32 v30, 1
	v_and_b32_e32 v21, 0xff, v20
	v_mov_b32_e32 v31, 0
	s_mov_b32 s18, exec_lo
	s_delay_alu instid0(VALU_DEP_2)
	v_cmpx_ne_u16_e32 0x80, v21
	s_cbranch_execz .LBB251_385
; %bb.380:                              ;   in Loop: Header=BB251_10 Depth=1
	v_mov_b32_e32 v30, 0x7f800001
	v_dual_mov_b32 v31, 0 :: v_dual_and_b32 v24, 0x7f, v20
	s_mov_b32 s23, exec_lo
	s_delay_alu instid0(VALU_DEP_1)
	v_cmpx_ne_u32_e32 0x7f, v24
	s_cbranch_execz .LBB251_384
; %bb.381:                              ;   in Loop: Header=BB251_10 Depth=1
	v_and_b32_e32 v78, 7, v20
	v_lshrrev_b32_e32 v21, 3, v24
	s_mov_b32 s24, exec_lo
	v_cmpx_gt_u32_e32 8, v24
; %bb.382:                              ;   in Loop: Header=BB251_10 Depth=1
	s_delay_alu instid0(VALU_DEP_3) | instskip(NEXT) | instid1(VALU_DEP_1)
	v_clz_i32_u32_e32 v21, v78
	v_min_u32_e32 v21, 32, v21
	s_delay_alu instid0(VALU_DEP_1) | instskip(SKIP_1) | instid1(VALU_DEP_2)
	v_subrev_nc_u32_e32 v24, 28, v21
	v_sub_nc_u32_e32 v21, 29, v21
	v_lshlrev_b64 v[24:25], v24, v[78:79]
	s_delay_alu instid0(VALU_DEP_1)
	v_and_b32_e32 v78, 7, v24
; %bb.383:                              ;   in Loop: Header=BB251_10 Depth=1
	s_or_b32 exec_lo, exec_lo, s24
	v_lshlrev_b32_e32 v24, 24, v20
	s_delay_alu instid0(VALU_DEP_2) | instskip(SKIP_1) | instid1(VALU_DEP_3)
	v_lshlrev_b32_e32 v25, 20, v78
	v_lshl_add_u32 v21, v21, 23, 0x3c000000
	v_and_b32_e32 v24, 0x80000000, v24
	s_delay_alu instid0(VALU_DEP_1) | instskip(NEXT) | instid1(VALU_DEP_1)
	v_or3_b32 v78, v25, v24, v21
	v_dual_mov_b32 v30, v78 :: v_dual_mov_b32 v31, v79
.LBB251_384:                            ;   in Loop: Header=BB251_10 Depth=1
	s_or_b32 exec_lo, exec_lo, s23
.LBB251_385:                            ;   in Loop: Header=BB251_10 Depth=1
	s_delay_alu instid0(SALU_CYCLE_1)
	s_or_b32 exec_lo, exec_lo, s18
.LBB251_386:                            ;   in Loop: Header=BB251_10 Depth=1
	s_delay_alu instid0(SALU_CYCLE_1) | instskip(SKIP_2) | instid1(VALU_DEP_1)
	s_or_b32 exec_lo, exec_lo, s3
	v_lshrrev_b16 v21, 8, v20
	s_mov_b32 s3, exec_lo
	v_cmpx_ne_u16_e32 0, v21
	s_cbranch_execz .LBB251_394
; %bb.387:                              ;   in Loop: Header=BB251_10 Depth=1
	v_dual_mov_b32 v29, s9 :: v_dual_mov_b32 v28, s8
	s_mov_b32 s23, exec_lo
	v_cmpx_ne_u16_e32 0x80, v21
	s_cbranch_execz .LBB251_393
; %bb.388:                              ;   in Loop: Header=BB251_10 Depth=1
	s_mov_b32 s18, s8
	v_and_b32_e32 v21, 0xffff, v21
	v_dual_mov_b32 v29, s19 :: v_dual_mov_b32 v28, s18
	s_mov_b32 s18, exec_lo
	s_delay_alu instid0(VALU_DEP_2) | instskip(NEXT) | instid1(VALU_DEP_1)
	v_and_b32_e32 v24, 0x7f, v21
	v_cmpx_ne_u32_e32 0x7f, v24
	s_cbranch_execz .LBB251_392
; %bb.389:                              ;   in Loop: Header=BB251_10 Depth=1
	v_and_b32_e32 v78, 7, v21
	v_lshrrev_b32_e32 v21, 3, v24
	s_mov_b32 s24, exec_lo
	v_cmpx_gt_u32_e32 8, v24
; %bb.390:                              ;   in Loop: Header=BB251_10 Depth=1
	s_delay_alu instid0(VALU_DEP_3) | instskip(NEXT) | instid1(VALU_DEP_1)
	v_clz_i32_u32_e32 v21, v78
	v_min_u32_e32 v21, 32, v21
	s_delay_alu instid0(VALU_DEP_1) | instskip(SKIP_1) | instid1(VALU_DEP_2)
	v_subrev_nc_u32_e32 v24, 28, v21
	v_sub_nc_u32_e32 v21, 29, v21
	v_lshlrev_b64 v[24:25], v24, v[78:79]
	s_delay_alu instid0(VALU_DEP_1)
	v_and_b32_e32 v78, 7, v24
; %bb.391:                              ;   in Loop: Header=BB251_10 Depth=1
	s_or_b32 exec_lo, exec_lo, s24
	v_lshlrev_b32_e32 v20, 16, v20
	s_delay_alu instid0(VALU_DEP_2) | instskip(SKIP_2) | instid1(VALU_DEP_4)
	v_lshlrev_b32_e32 v24, 20, v78
	v_lshl_add_u32 v21, v21, 23, 0x3c000000
	v_mov_b32_e32 v28, v79
	v_and_b32_e32 v20, 0x80000000, v20
	s_delay_alu instid0(VALU_DEP_1)
	v_or3_b32 v29, v24, v20, v21
.LBB251_392:                            ;   in Loop: Header=BB251_10 Depth=1
	s_or_b32 exec_lo, exec_lo, s18
.LBB251_393:                            ;   in Loop: Header=BB251_10 Depth=1
	s_delay_alu instid0(SALU_CYCLE_1)
	s_or_b32 exec_lo, exec_lo, s23
.LBB251_394:                            ;   in Loop: Header=BB251_10 Depth=1
	s_delay_alu instid0(SALU_CYCLE_1)
	s_or_b32 exec_lo, exec_lo, s3
	flat_load_u16 v20, v[88:89] offset:1536
	v_mov_b32_e32 v32, 0
	v_mov_b32_e32 v33, 0
	s_mov_b32 s3, exec_lo
	s_waitcnt vmcnt(0) lgkmcnt(0)
	v_and_b32_e32 v21, 0xff, v20
	s_delay_alu instid0(VALU_DEP_2) | instskip(SKIP_1) | instid1(VALU_DEP_3)
	v_dual_mov_b32 v35, v33 :: v_dual_and_b32 v20, 0xffff, v20
	v_mov_b32_e32 v34, v32
	v_cmpx_ne_u16_e32 0, v21
	s_cbranch_execz .LBB251_402
; %bb.395:                              ;   in Loop: Header=BB251_10 Depth=1
	v_bfrev_b32_e32 v34, 1
	v_and_b32_e32 v21, 0xff, v20
	v_mov_b32_e32 v35, 0
	s_mov_b32 s18, exec_lo
	s_delay_alu instid0(VALU_DEP_2)
	v_cmpx_ne_u16_e32 0x80, v21
	s_cbranch_execz .LBB251_401
; %bb.396:                              ;   in Loop: Header=BB251_10 Depth=1
	v_mov_b32_e32 v34, 0x7f800001
	v_dual_mov_b32 v35, 0 :: v_dual_and_b32 v24, 0x7f, v20
	s_mov_b32 s23, exec_lo
	s_delay_alu instid0(VALU_DEP_1)
	v_cmpx_ne_u32_e32 0x7f, v24
	s_cbranch_execz .LBB251_400
; %bb.397:                              ;   in Loop: Header=BB251_10 Depth=1
	v_and_b32_e32 v78, 7, v20
	v_lshrrev_b32_e32 v21, 3, v24
	s_mov_b32 s24, exec_lo
	v_cmpx_gt_u32_e32 8, v24
; %bb.398:                              ;   in Loop: Header=BB251_10 Depth=1
	s_delay_alu instid0(VALU_DEP_3) | instskip(NEXT) | instid1(VALU_DEP_1)
	v_clz_i32_u32_e32 v21, v78
	v_min_u32_e32 v21, 32, v21
	s_delay_alu instid0(VALU_DEP_1) | instskip(SKIP_1) | instid1(VALU_DEP_2)
	v_subrev_nc_u32_e32 v24, 28, v21
	v_sub_nc_u32_e32 v21, 29, v21
	v_lshlrev_b64 v[24:25], v24, v[78:79]
	s_delay_alu instid0(VALU_DEP_1)
	v_and_b32_e32 v78, 7, v24
; %bb.399:                              ;   in Loop: Header=BB251_10 Depth=1
	s_or_b32 exec_lo, exec_lo, s24
	v_lshlrev_b32_e32 v24, 24, v20
	s_delay_alu instid0(VALU_DEP_2) | instskip(SKIP_1) | instid1(VALU_DEP_3)
	v_lshlrev_b32_e32 v25, 20, v78
	v_lshl_add_u32 v21, v21, 23, 0x3c000000
	v_and_b32_e32 v24, 0x80000000, v24
	s_delay_alu instid0(VALU_DEP_1) | instskip(NEXT) | instid1(VALU_DEP_1)
	v_or3_b32 v78, v25, v24, v21
	v_dual_mov_b32 v34, v78 :: v_dual_mov_b32 v35, v79
.LBB251_400:                            ;   in Loop: Header=BB251_10 Depth=1
	s_or_b32 exec_lo, exec_lo, s23
.LBB251_401:                            ;   in Loop: Header=BB251_10 Depth=1
	s_delay_alu instid0(SALU_CYCLE_1)
	s_or_b32 exec_lo, exec_lo, s18
.LBB251_402:                            ;   in Loop: Header=BB251_10 Depth=1
	s_delay_alu instid0(SALU_CYCLE_1) | instskip(SKIP_2) | instid1(VALU_DEP_1)
	s_or_b32 exec_lo, exec_lo, s3
	v_lshrrev_b16 v21, 8, v20
	s_mov_b32 s3, exec_lo
	v_cmpx_ne_u16_e32 0, v21
	s_cbranch_execz .LBB251_410
; %bb.403:                              ;   in Loop: Header=BB251_10 Depth=1
	v_dual_mov_b32 v33, s9 :: v_dual_mov_b32 v32, s8
	s_mov_b32 s23, exec_lo
	v_cmpx_ne_u16_e32 0x80, v21
	s_cbranch_execz .LBB251_409
; %bb.404:                              ;   in Loop: Header=BB251_10 Depth=1
	s_mov_b32 s18, s8
	v_and_b32_e32 v21, 0xffff, v21
	v_dual_mov_b32 v33, s19 :: v_dual_mov_b32 v32, s18
	s_mov_b32 s18, exec_lo
	s_delay_alu instid0(VALU_DEP_2) | instskip(NEXT) | instid1(VALU_DEP_1)
	v_and_b32_e32 v24, 0x7f, v21
	v_cmpx_ne_u32_e32 0x7f, v24
	s_cbranch_execz .LBB251_408
; %bb.405:                              ;   in Loop: Header=BB251_10 Depth=1
	v_and_b32_e32 v78, 7, v21
	v_lshrrev_b32_e32 v21, 3, v24
	s_mov_b32 s24, exec_lo
	v_cmpx_gt_u32_e32 8, v24
; %bb.406:                              ;   in Loop: Header=BB251_10 Depth=1
	s_delay_alu instid0(VALU_DEP_3) | instskip(NEXT) | instid1(VALU_DEP_1)
	v_clz_i32_u32_e32 v21, v78
	v_min_u32_e32 v21, 32, v21
	s_delay_alu instid0(VALU_DEP_1) | instskip(SKIP_1) | instid1(VALU_DEP_2)
	v_subrev_nc_u32_e32 v24, 28, v21
	v_sub_nc_u32_e32 v21, 29, v21
	v_lshlrev_b64 v[24:25], v24, v[78:79]
	s_delay_alu instid0(VALU_DEP_1)
	v_and_b32_e32 v78, 7, v24
; %bb.407:                              ;   in Loop: Header=BB251_10 Depth=1
	s_or_b32 exec_lo, exec_lo, s24
	v_lshlrev_b32_e32 v20, 16, v20
	s_delay_alu instid0(VALU_DEP_2) | instskip(SKIP_2) | instid1(VALU_DEP_4)
	v_lshlrev_b32_e32 v24, 20, v78
	v_lshl_add_u32 v21, v21, 23, 0x3c000000
	v_mov_b32_e32 v32, v79
	v_and_b32_e32 v20, 0x80000000, v20
	s_delay_alu instid0(VALU_DEP_1)
	v_or3_b32 v33, v24, v20, v21
.LBB251_408:                            ;   in Loop: Header=BB251_10 Depth=1
	s_or_b32 exec_lo, exec_lo, s18
.LBB251_409:                            ;   in Loop: Header=BB251_10 Depth=1
	s_delay_alu instid0(SALU_CYCLE_1)
	s_or_b32 exec_lo, exec_lo, s23
.LBB251_410:                            ;   in Loop: Header=BB251_10 Depth=1
	s_delay_alu instid0(SALU_CYCLE_1)
	s_or_b32 exec_lo, exec_lo, s3
	flat_load_u16 v20, v[88:89] offset:1540
	v_mov_b32_e32 v36, 0
	v_mov_b32_e32 v37, 0
	s_mov_b32 s3, exec_lo
	s_waitcnt vmcnt(0) lgkmcnt(0)
	v_and_b32_e32 v21, 0xff, v20
	s_delay_alu instid0(VALU_DEP_2) | instskip(SKIP_1) | instid1(VALU_DEP_3)
	v_dual_mov_b32 v39, v37 :: v_dual_and_b32 v20, 0xffff, v20
	v_mov_b32_e32 v38, v36
	v_cmpx_ne_u16_e32 0, v21
	s_cbranch_execz .LBB251_418
; %bb.411:                              ;   in Loop: Header=BB251_10 Depth=1
	v_bfrev_b32_e32 v38, 1
	v_and_b32_e32 v21, 0xff, v20
	v_mov_b32_e32 v39, 0
	s_mov_b32 s18, exec_lo
	s_delay_alu instid0(VALU_DEP_2)
	v_cmpx_ne_u16_e32 0x80, v21
	s_cbranch_execz .LBB251_417
; %bb.412:                              ;   in Loop: Header=BB251_10 Depth=1
	v_mov_b32_e32 v38, 0x7f800001
	v_dual_mov_b32 v39, 0 :: v_dual_and_b32 v24, 0x7f, v20
	s_mov_b32 s23, exec_lo
	s_delay_alu instid0(VALU_DEP_1)
	v_cmpx_ne_u32_e32 0x7f, v24
	s_cbranch_execz .LBB251_416
; %bb.413:                              ;   in Loop: Header=BB251_10 Depth=1
	v_and_b32_e32 v78, 7, v20
	v_lshrrev_b32_e32 v21, 3, v24
	s_mov_b32 s24, exec_lo
	v_cmpx_gt_u32_e32 8, v24
; %bb.414:                              ;   in Loop: Header=BB251_10 Depth=1
	s_delay_alu instid0(VALU_DEP_3) | instskip(NEXT) | instid1(VALU_DEP_1)
	v_clz_i32_u32_e32 v21, v78
	v_min_u32_e32 v21, 32, v21
	s_delay_alu instid0(VALU_DEP_1) | instskip(SKIP_1) | instid1(VALU_DEP_2)
	v_subrev_nc_u32_e32 v24, 28, v21
	v_sub_nc_u32_e32 v21, 29, v21
	v_lshlrev_b64 v[24:25], v24, v[78:79]
	s_delay_alu instid0(VALU_DEP_1)
	v_and_b32_e32 v78, 7, v24
; %bb.415:                              ;   in Loop: Header=BB251_10 Depth=1
	s_or_b32 exec_lo, exec_lo, s24
	v_lshlrev_b32_e32 v24, 24, v20
	s_delay_alu instid0(VALU_DEP_2) | instskip(SKIP_1) | instid1(VALU_DEP_3)
	v_lshlrev_b32_e32 v25, 20, v78
	v_lshl_add_u32 v21, v21, 23, 0x3c000000
	v_and_b32_e32 v24, 0x80000000, v24
	s_delay_alu instid0(VALU_DEP_1) | instskip(NEXT) | instid1(VALU_DEP_1)
	v_or3_b32 v78, v25, v24, v21
	v_dual_mov_b32 v38, v78 :: v_dual_mov_b32 v39, v79
.LBB251_416:                            ;   in Loop: Header=BB251_10 Depth=1
	s_or_b32 exec_lo, exec_lo, s23
.LBB251_417:                            ;   in Loop: Header=BB251_10 Depth=1
	s_delay_alu instid0(SALU_CYCLE_1)
	s_or_b32 exec_lo, exec_lo, s18
.LBB251_418:                            ;   in Loop: Header=BB251_10 Depth=1
	s_delay_alu instid0(SALU_CYCLE_1) | instskip(SKIP_2) | instid1(VALU_DEP_1)
	s_or_b32 exec_lo, exec_lo, s3
	v_lshrrev_b16 v21, 8, v20
	s_mov_b32 s3, exec_lo
	v_cmpx_ne_u16_e32 0, v21
	s_cbranch_execz .LBB251_426
; %bb.419:                              ;   in Loop: Header=BB251_10 Depth=1
	v_dual_mov_b32 v37, s9 :: v_dual_mov_b32 v36, s8
	s_mov_b32 s23, exec_lo
	v_cmpx_ne_u16_e32 0x80, v21
	s_cbranch_execz .LBB251_425
; %bb.420:                              ;   in Loop: Header=BB251_10 Depth=1
	s_mov_b32 s18, s8
	v_and_b32_e32 v21, 0xffff, v21
	v_dual_mov_b32 v37, s19 :: v_dual_mov_b32 v36, s18
	s_mov_b32 s18, exec_lo
	s_delay_alu instid0(VALU_DEP_2) | instskip(NEXT) | instid1(VALU_DEP_1)
	v_and_b32_e32 v24, 0x7f, v21
	v_cmpx_ne_u32_e32 0x7f, v24
	s_cbranch_execz .LBB251_424
; %bb.421:                              ;   in Loop: Header=BB251_10 Depth=1
	v_and_b32_e32 v78, 7, v21
	v_lshrrev_b32_e32 v21, 3, v24
	s_mov_b32 s24, exec_lo
	v_cmpx_gt_u32_e32 8, v24
; %bb.422:                              ;   in Loop: Header=BB251_10 Depth=1
	s_delay_alu instid0(VALU_DEP_3) | instskip(NEXT) | instid1(VALU_DEP_1)
	v_clz_i32_u32_e32 v21, v78
	v_min_u32_e32 v21, 32, v21
	s_delay_alu instid0(VALU_DEP_1) | instskip(SKIP_1) | instid1(VALU_DEP_2)
	v_subrev_nc_u32_e32 v24, 28, v21
	v_sub_nc_u32_e32 v21, 29, v21
	v_lshlrev_b64 v[24:25], v24, v[78:79]
	s_delay_alu instid0(VALU_DEP_1)
	v_and_b32_e32 v78, 7, v24
; %bb.423:                              ;   in Loop: Header=BB251_10 Depth=1
	s_or_b32 exec_lo, exec_lo, s24
	v_lshlrev_b32_e32 v20, 16, v20
	s_delay_alu instid0(VALU_DEP_2) | instskip(SKIP_2) | instid1(VALU_DEP_4)
	v_lshlrev_b32_e32 v24, 20, v78
	v_lshl_add_u32 v21, v21, 23, 0x3c000000
	v_mov_b32_e32 v36, v79
	v_and_b32_e32 v20, 0x80000000, v20
	s_delay_alu instid0(VALU_DEP_1)
	v_or3_b32 v37, v24, v20, v21
.LBB251_424:                            ;   in Loop: Header=BB251_10 Depth=1
	s_or_b32 exec_lo, exec_lo, s18
.LBB251_425:                            ;   in Loop: Header=BB251_10 Depth=1
	s_delay_alu instid0(SALU_CYCLE_1)
	s_or_b32 exec_lo, exec_lo, s23
.LBB251_426:                            ;   in Loop: Header=BB251_10 Depth=1
	s_delay_alu instid0(SALU_CYCLE_1) | instskip(SKIP_1) | instid1(VALU_DEP_1)
	s_or_b32 exec_lo, exec_lo, s3
	v_add_co_u32 v20, s2, 0x600, v88
	v_add_co_ci_u32_e64 v21, s2, 0, v89, s2
	s_mov_b32 s3, exec_lo
	flat_load_u16 v24, v[20:21] offset:8
	v_mov_b32_e32 v48, 0
	v_mov_b32_e32 v49, 0
	s_waitcnt vmcnt(0) lgkmcnt(0)
	v_and_b32_e32 v25, 0xff, v24
	s_delay_alu instid0(VALU_DEP_2) | instskip(SKIP_1) | instid1(VALU_DEP_3)
	v_dual_mov_b32 v51, v49 :: v_dual_and_b32 v24, 0xffff, v24
	v_mov_b32_e32 v50, v48
	v_cmpx_ne_u16_e32 0, v25
	s_cbranch_execz .LBB251_434
; %bb.427:                              ;   in Loop: Header=BB251_10 Depth=1
	v_bfrev_b32_e32 v50, 1
	v_and_b32_e32 v25, 0xff, v24
	v_mov_b32_e32 v51, 0
	s_mov_b32 s18, exec_lo
	s_delay_alu instid0(VALU_DEP_2)
	v_cmpx_ne_u16_e32 0x80, v25
	s_cbranch_execz .LBB251_433
; %bb.428:                              ;   in Loop: Header=BB251_10 Depth=1
	v_mov_b32_e32 v50, 0x7f800001
	v_dual_mov_b32 v51, 0 :: v_dual_and_b32 v52, 0x7f, v24
	s_mov_b32 s23, exec_lo
	s_delay_alu instid0(VALU_DEP_1)
	v_cmpx_ne_u32_e32 0x7f, v52
	s_cbranch_execz .LBB251_432
; %bb.429:                              ;   in Loop: Header=BB251_10 Depth=1
	v_and_b32_e32 v78, 7, v24
	v_lshrrev_b32_e32 v25, 3, v52
	s_mov_b32 s24, exec_lo
	v_cmpx_gt_u32_e32 8, v52
; %bb.430:                              ;   in Loop: Header=BB251_10 Depth=1
	s_delay_alu instid0(VALU_DEP_3) | instskip(NEXT) | instid1(VALU_DEP_1)
	v_clz_i32_u32_e32 v25, v78
	v_min_u32_e32 v25, 32, v25
	s_delay_alu instid0(VALU_DEP_1) | instskip(SKIP_1) | instid1(VALU_DEP_2)
	v_subrev_nc_u32_e32 v50, 28, v25
	v_sub_nc_u32_e32 v25, 29, v25
	v_lshlrev_b64 v[50:51], v50, v[78:79]
	s_delay_alu instid0(VALU_DEP_1)
	v_and_b32_e32 v78, 7, v50
; %bb.431:                              ;   in Loop: Header=BB251_10 Depth=1
	s_or_b32 exec_lo, exec_lo, s24
	v_lshlrev_b32_e32 v50, 24, v24
	s_delay_alu instid0(VALU_DEP_2) | instskip(SKIP_1) | instid1(VALU_DEP_3)
	v_lshlrev_b32_e32 v51, 20, v78
	v_lshl_add_u32 v25, v25, 23, 0x3c000000
	v_and_b32_e32 v50, 0x80000000, v50
	s_delay_alu instid0(VALU_DEP_1) | instskip(NEXT) | instid1(VALU_DEP_1)
	v_or3_b32 v78, v51, v50, v25
	v_dual_mov_b32 v50, v78 :: v_dual_mov_b32 v51, v79
.LBB251_432:                            ;   in Loop: Header=BB251_10 Depth=1
	s_or_b32 exec_lo, exec_lo, s23
.LBB251_433:                            ;   in Loop: Header=BB251_10 Depth=1
	s_delay_alu instid0(SALU_CYCLE_1)
	s_or_b32 exec_lo, exec_lo, s18
.LBB251_434:                            ;   in Loop: Header=BB251_10 Depth=1
	s_delay_alu instid0(SALU_CYCLE_1) | instskip(SKIP_2) | instid1(VALU_DEP_1)
	s_or_b32 exec_lo, exec_lo, s3
	v_lshrrev_b16 v25, 8, v24
	s_mov_b32 s3, exec_lo
	v_cmpx_ne_u16_e32 0, v25
	s_cbranch_execz .LBB251_442
; %bb.435:                              ;   in Loop: Header=BB251_10 Depth=1
	v_dual_mov_b32 v49, s9 :: v_dual_mov_b32 v48, s8
	s_mov_b32 s23, exec_lo
	v_cmpx_ne_u16_e32 0x80, v25
	s_cbranch_execz .LBB251_441
; %bb.436:                              ;   in Loop: Header=BB251_10 Depth=1
	s_mov_b32 s18, s8
	v_and_b32_e32 v25, 0xffff, v25
	v_dual_mov_b32 v49, s19 :: v_dual_mov_b32 v48, s18
	s_mov_b32 s18, exec_lo
	s_delay_alu instid0(VALU_DEP_2) | instskip(NEXT) | instid1(VALU_DEP_1)
	v_and_b32_e32 v52, 0x7f, v25
	v_cmpx_ne_u32_e32 0x7f, v52
	s_cbranch_execz .LBB251_440
; %bb.437:                              ;   in Loop: Header=BB251_10 Depth=1
	v_and_b32_e32 v78, 7, v25
	v_lshrrev_b32_e32 v25, 3, v52
	s_mov_b32 s24, exec_lo
	v_cmpx_gt_u32_e32 8, v52
; %bb.438:                              ;   in Loop: Header=BB251_10 Depth=1
	s_delay_alu instid0(VALU_DEP_3) | instskip(NEXT) | instid1(VALU_DEP_1)
	v_clz_i32_u32_e32 v25, v78
	v_min_u32_e32 v25, 32, v25
	s_delay_alu instid0(VALU_DEP_1) | instskip(SKIP_1) | instid1(VALU_DEP_2)
	v_subrev_nc_u32_e32 v48, 28, v25
	v_sub_nc_u32_e32 v25, 29, v25
	v_lshlrev_b64 v[48:49], v48, v[78:79]
	s_delay_alu instid0(VALU_DEP_1)
	v_and_b32_e32 v78, 7, v48
; %bb.439:                              ;   in Loop: Header=BB251_10 Depth=1
	s_or_b32 exec_lo, exec_lo, s24
	v_lshlrev_b32_e32 v24, 16, v24
	s_delay_alu instid0(VALU_DEP_2) | instskip(SKIP_1) | instid1(VALU_DEP_3)
	v_lshlrev_b32_e32 v48, 20, v78
	v_lshl_add_u32 v25, v25, 23, 0x3c000000
	v_and_b32_e32 v24, 0x80000000, v24
	s_delay_alu instid0(VALU_DEP_1)
	v_or3_b32 v49, v48, v24, v25
	v_mov_b32_e32 v48, v79
.LBB251_440:                            ;   in Loop: Header=BB251_10 Depth=1
	s_or_b32 exec_lo, exec_lo, s18
.LBB251_441:                            ;   in Loop: Header=BB251_10 Depth=1
	s_delay_alu instid0(SALU_CYCLE_1)
	s_or_b32 exec_lo, exec_lo, s23
.LBB251_442:                            ;   in Loop: Header=BB251_10 Depth=1
	s_delay_alu instid0(SALU_CYCLE_1)
	s_or_b32 exec_lo, exec_lo, s3
	flat_load_u16 v20, v[20:21] offset:12
	v_mov_b32_e32 v52, 0
	v_mov_b32_e32 v53, 0
	s_mov_b32 s3, exec_lo
	s_waitcnt vmcnt(0) lgkmcnt(0)
	v_and_b32_e32 v21, 0xff, v20
	s_delay_alu instid0(VALU_DEP_2) | instskip(SKIP_1) | instid1(VALU_DEP_3)
	v_dual_mov_b32 v55, v53 :: v_dual_and_b32 v20, 0xffff, v20
	v_mov_b32_e32 v54, v52
	v_cmpx_ne_u16_e32 0, v21
	s_cbranch_execz .LBB251_450
; %bb.443:                              ;   in Loop: Header=BB251_10 Depth=1
	v_bfrev_b32_e32 v54, 1
	v_and_b32_e32 v21, 0xff, v20
	v_mov_b32_e32 v55, 0
	s_mov_b32 s18, exec_lo
	s_delay_alu instid0(VALU_DEP_2)
	v_cmpx_ne_u16_e32 0x80, v21
	s_cbranch_execz .LBB251_449
; %bb.444:                              ;   in Loop: Header=BB251_10 Depth=1
	v_mov_b32_e32 v54, 0x7f800001
	v_dual_mov_b32 v55, 0 :: v_dual_and_b32 v24, 0x7f, v20
	s_mov_b32 s23, exec_lo
	s_delay_alu instid0(VALU_DEP_1)
	v_cmpx_ne_u32_e32 0x7f, v24
	s_cbranch_execz .LBB251_448
; %bb.445:                              ;   in Loop: Header=BB251_10 Depth=1
	v_and_b32_e32 v78, 7, v20
	v_lshrrev_b32_e32 v21, 3, v24
	s_mov_b32 s24, exec_lo
	v_cmpx_gt_u32_e32 8, v24
; %bb.446:                              ;   in Loop: Header=BB251_10 Depth=1
	s_delay_alu instid0(VALU_DEP_3) | instskip(NEXT) | instid1(VALU_DEP_1)
	v_clz_i32_u32_e32 v21, v78
	v_min_u32_e32 v21, 32, v21
	s_delay_alu instid0(VALU_DEP_1) | instskip(SKIP_1) | instid1(VALU_DEP_2)
	v_subrev_nc_u32_e32 v24, 28, v21
	v_sub_nc_u32_e32 v21, 29, v21
	v_lshlrev_b64 v[24:25], v24, v[78:79]
	s_delay_alu instid0(VALU_DEP_1)
	v_and_b32_e32 v78, 7, v24
; %bb.447:                              ;   in Loop: Header=BB251_10 Depth=1
	s_or_b32 exec_lo, exec_lo, s24
	v_lshlrev_b32_e32 v24, 24, v20
	s_delay_alu instid0(VALU_DEP_2) | instskip(SKIP_1) | instid1(VALU_DEP_3)
	v_lshlrev_b32_e32 v25, 20, v78
	v_lshl_add_u32 v21, v21, 23, 0x3c000000
	v_and_b32_e32 v24, 0x80000000, v24
	s_delay_alu instid0(VALU_DEP_1) | instskip(NEXT) | instid1(VALU_DEP_1)
	v_or3_b32 v78, v25, v24, v21
	v_dual_mov_b32 v54, v78 :: v_dual_mov_b32 v55, v79
.LBB251_448:                            ;   in Loop: Header=BB251_10 Depth=1
	s_or_b32 exec_lo, exec_lo, s23
.LBB251_449:                            ;   in Loop: Header=BB251_10 Depth=1
	s_delay_alu instid0(SALU_CYCLE_1)
	s_or_b32 exec_lo, exec_lo, s18
.LBB251_450:                            ;   in Loop: Header=BB251_10 Depth=1
	s_delay_alu instid0(SALU_CYCLE_1) | instskip(SKIP_2) | instid1(VALU_DEP_1)
	s_or_b32 exec_lo, exec_lo, s3
	v_lshrrev_b16 v21, 8, v20
	s_mov_b32 s3, exec_lo
	v_cmpx_ne_u16_e32 0, v21
	s_cbranch_execz .LBB251_458
; %bb.451:                              ;   in Loop: Header=BB251_10 Depth=1
	v_dual_mov_b32 v53, s9 :: v_dual_mov_b32 v52, s8
	s_mov_b32 s23, exec_lo
	v_cmpx_ne_u16_e32 0x80, v21
	s_cbranch_execz .LBB251_457
; %bb.452:                              ;   in Loop: Header=BB251_10 Depth=1
	s_mov_b32 s18, s8
	v_and_b32_e32 v21, 0xffff, v21
	v_dual_mov_b32 v53, s19 :: v_dual_mov_b32 v52, s18
	s_mov_b32 s18, exec_lo
	s_delay_alu instid0(VALU_DEP_2) | instskip(NEXT) | instid1(VALU_DEP_1)
	v_and_b32_e32 v24, 0x7f, v21
	v_cmpx_ne_u32_e32 0x7f, v24
	s_cbranch_execz .LBB251_456
; %bb.453:                              ;   in Loop: Header=BB251_10 Depth=1
	v_and_b32_e32 v78, 7, v21
	v_lshrrev_b32_e32 v21, 3, v24
	s_mov_b32 s24, exec_lo
	v_cmpx_gt_u32_e32 8, v24
; %bb.454:                              ;   in Loop: Header=BB251_10 Depth=1
	s_delay_alu instid0(VALU_DEP_3) | instskip(NEXT) | instid1(VALU_DEP_1)
	v_clz_i32_u32_e32 v21, v78
	v_min_u32_e32 v21, 32, v21
	s_delay_alu instid0(VALU_DEP_1) | instskip(SKIP_1) | instid1(VALU_DEP_2)
	v_subrev_nc_u32_e32 v24, 28, v21
	v_sub_nc_u32_e32 v21, 29, v21
	v_lshlrev_b64 v[24:25], v24, v[78:79]
	s_delay_alu instid0(VALU_DEP_1)
	v_and_b32_e32 v78, 7, v24
; %bb.455:                              ;   in Loop: Header=BB251_10 Depth=1
	s_or_b32 exec_lo, exec_lo, s24
	v_lshlrev_b32_e32 v20, 16, v20
	s_delay_alu instid0(VALU_DEP_2) | instskip(SKIP_2) | instid1(VALU_DEP_4)
	v_lshlrev_b32_e32 v24, 20, v78
	v_lshl_add_u32 v21, v21, 23, 0x3c000000
	v_mov_b32_e32 v52, v79
	v_and_b32_e32 v20, 0x80000000, v20
	s_delay_alu instid0(VALU_DEP_1)
	v_or3_b32 v53, v24, v20, v21
.LBB251_456:                            ;   in Loop: Header=BB251_10 Depth=1
	s_or_b32 exec_lo, exec_lo, s18
.LBB251_457:                            ;   in Loop: Header=BB251_10 Depth=1
	s_delay_alu instid0(SALU_CYCLE_1)
	s_or_b32 exec_lo, exec_lo, s23
.LBB251_458:                            ;   in Loop: Header=BB251_10 Depth=1
	s_delay_alu instid0(SALU_CYCLE_1)
	s_or_b32 exec_lo, exec_lo, s3
	flat_load_u16 v20, v[88:89] offset:1792
	v_mov_b32_e32 v64, 0
	v_mov_b32_e32 v65, 0
	s_mov_b32 s3, exec_lo
	s_waitcnt vmcnt(0) lgkmcnt(0)
	v_and_b32_e32 v21, 0xff, v20
	s_delay_alu instid0(VALU_DEP_2) | instskip(SKIP_1) | instid1(VALU_DEP_3)
	v_dual_mov_b32 v67, v65 :: v_dual_and_b32 v20, 0xffff, v20
	v_mov_b32_e32 v66, v64
	v_cmpx_ne_u16_e32 0, v21
	s_cbranch_execz .LBB251_466
; %bb.459:                              ;   in Loop: Header=BB251_10 Depth=1
	v_bfrev_b32_e32 v66, 1
	v_and_b32_e32 v21, 0xff, v20
	v_mov_b32_e32 v67, 0
	s_mov_b32 s18, exec_lo
	s_delay_alu instid0(VALU_DEP_2)
	v_cmpx_ne_u16_e32 0x80, v21
	s_cbranch_execz .LBB251_465
; %bb.460:                              ;   in Loop: Header=BB251_10 Depth=1
	v_mov_b32_e32 v66, 0x7f800001
	v_dual_mov_b32 v67, 0 :: v_dual_and_b32 v24, 0x7f, v20
	s_mov_b32 s23, exec_lo
	s_delay_alu instid0(VALU_DEP_1)
	v_cmpx_ne_u32_e32 0x7f, v24
	s_cbranch_execz .LBB251_464
; %bb.461:                              ;   in Loop: Header=BB251_10 Depth=1
	v_and_b32_e32 v78, 7, v20
	v_lshrrev_b32_e32 v21, 3, v24
	s_mov_b32 s24, exec_lo
	v_cmpx_gt_u32_e32 8, v24
; %bb.462:                              ;   in Loop: Header=BB251_10 Depth=1
	s_delay_alu instid0(VALU_DEP_3) | instskip(NEXT) | instid1(VALU_DEP_1)
	v_clz_i32_u32_e32 v21, v78
	v_min_u32_e32 v21, 32, v21
	s_delay_alu instid0(VALU_DEP_1) | instskip(SKIP_1) | instid1(VALU_DEP_2)
	v_subrev_nc_u32_e32 v24, 28, v21
	v_sub_nc_u32_e32 v21, 29, v21
	v_lshlrev_b64 v[24:25], v24, v[78:79]
	s_delay_alu instid0(VALU_DEP_1)
	v_and_b32_e32 v78, 7, v24
; %bb.463:                              ;   in Loop: Header=BB251_10 Depth=1
	s_or_b32 exec_lo, exec_lo, s24
	v_lshlrev_b32_e32 v24, 24, v20
	s_delay_alu instid0(VALU_DEP_2) | instskip(SKIP_1) | instid1(VALU_DEP_3)
	v_lshlrev_b32_e32 v25, 20, v78
	v_lshl_add_u32 v21, v21, 23, 0x3c000000
	v_and_b32_e32 v24, 0x80000000, v24
	s_delay_alu instid0(VALU_DEP_1) | instskip(NEXT) | instid1(VALU_DEP_1)
	v_or3_b32 v78, v25, v24, v21
	v_dual_mov_b32 v66, v78 :: v_dual_mov_b32 v67, v79
.LBB251_464:                            ;   in Loop: Header=BB251_10 Depth=1
	s_or_b32 exec_lo, exec_lo, s23
.LBB251_465:                            ;   in Loop: Header=BB251_10 Depth=1
	s_delay_alu instid0(SALU_CYCLE_1)
	s_or_b32 exec_lo, exec_lo, s18
.LBB251_466:                            ;   in Loop: Header=BB251_10 Depth=1
	s_delay_alu instid0(SALU_CYCLE_1) | instskip(SKIP_2) | instid1(VALU_DEP_1)
	s_or_b32 exec_lo, exec_lo, s3
	v_lshrrev_b16 v21, 8, v20
	s_mov_b32 s3, exec_lo
	v_cmpx_ne_u16_e32 0, v21
	s_cbranch_execz .LBB251_474
; %bb.467:                              ;   in Loop: Header=BB251_10 Depth=1
	v_dual_mov_b32 v65, s9 :: v_dual_mov_b32 v64, s8
	s_mov_b32 s23, exec_lo
	v_cmpx_ne_u16_e32 0x80, v21
	s_cbranch_execz .LBB251_473
; %bb.468:                              ;   in Loop: Header=BB251_10 Depth=1
	s_mov_b32 s18, s8
	v_and_b32_e32 v21, 0xffff, v21
	v_dual_mov_b32 v65, s19 :: v_dual_mov_b32 v64, s18
	s_mov_b32 s18, exec_lo
	s_delay_alu instid0(VALU_DEP_2) | instskip(NEXT) | instid1(VALU_DEP_1)
	v_and_b32_e32 v24, 0x7f, v21
	v_cmpx_ne_u32_e32 0x7f, v24
	s_cbranch_execz .LBB251_472
; %bb.469:                              ;   in Loop: Header=BB251_10 Depth=1
	v_and_b32_e32 v78, 7, v21
	v_lshrrev_b32_e32 v21, 3, v24
	s_mov_b32 s24, exec_lo
	v_cmpx_gt_u32_e32 8, v24
; %bb.470:                              ;   in Loop: Header=BB251_10 Depth=1
	s_delay_alu instid0(VALU_DEP_3) | instskip(NEXT) | instid1(VALU_DEP_1)
	v_clz_i32_u32_e32 v21, v78
	v_min_u32_e32 v21, 32, v21
	s_delay_alu instid0(VALU_DEP_1) | instskip(SKIP_1) | instid1(VALU_DEP_2)
	v_subrev_nc_u32_e32 v24, 28, v21
	v_sub_nc_u32_e32 v21, 29, v21
	v_lshlrev_b64 v[24:25], v24, v[78:79]
	s_delay_alu instid0(VALU_DEP_1)
	v_and_b32_e32 v78, 7, v24
; %bb.471:                              ;   in Loop: Header=BB251_10 Depth=1
	s_or_b32 exec_lo, exec_lo, s24
	v_lshlrev_b32_e32 v20, 16, v20
	s_delay_alu instid0(VALU_DEP_2) | instskip(SKIP_2) | instid1(VALU_DEP_4)
	v_lshlrev_b32_e32 v24, 20, v78
	v_lshl_add_u32 v21, v21, 23, 0x3c000000
	v_mov_b32_e32 v64, v79
	v_and_b32_e32 v20, 0x80000000, v20
	s_delay_alu instid0(VALU_DEP_1)
	v_or3_b32 v65, v24, v20, v21
.LBB251_472:                            ;   in Loop: Header=BB251_10 Depth=1
	s_or_b32 exec_lo, exec_lo, s18
.LBB251_473:                            ;   in Loop: Header=BB251_10 Depth=1
	s_delay_alu instid0(SALU_CYCLE_1)
	s_or_b32 exec_lo, exec_lo, s23
.LBB251_474:                            ;   in Loop: Header=BB251_10 Depth=1
	s_delay_alu instid0(SALU_CYCLE_1)
	s_or_b32 exec_lo, exec_lo, s3
	flat_load_u16 v20, v[88:89] offset:1796
	v_mov_b32_e32 v80, 0
	v_mov_b32_e32 v81, 0
	s_mov_b32 s3, exec_lo
	s_waitcnt vmcnt(0) lgkmcnt(0)
	v_and_b32_e32 v21, 0xff, v20
	s_delay_alu instid0(VALU_DEP_2) | instskip(SKIP_1) | instid1(VALU_DEP_3)
	v_dual_mov_b32 v83, v81 :: v_dual_and_b32 v20, 0xffff, v20
	v_mov_b32_e32 v82, v80
	v_cmpx_ne_u16_e32 0, v21
	s_cbranch_execz .LBB251_482
; %bb.475:                              ;   in Loop: Header=BB251_10 Depth=1
	v_bfrev_b32_e32 v82, 1
	v_and_b32_e32 v21, 0xff, v20
	v_mov_b32_e32 v83, 0
	s_mov_b32 s18, exec_lo
	s_delay_alu instid0(VALU_DEP_2)
	v_cmpx_ne_u16_e32 0x80, v21
	s_cbranch_execz .LBB251_481
; %bb.476:                              ;   in Loop: Header=BB251_10 Depth=1
	v_mov_b32_e32 v82, 0x7f800001
	v_dual_mov_b32 v83, 0 :: v_dual_and_b32 v24, 0x7f, v20
	s_mov_b32 s23, exec_lo
	s_delay_alu instid0(VALU_DEP_1)
	v_cmpx_ne_u32_e32 0x7f, v24
	s_cbranch_execz .LBB251_480
; %bb.477:                              ;   in Loop: Header=BB251_10 Depth=1
	v_and_b32_e32 v78, 7, v20
	v_lshrrev_b32_e32 v21, 3, v24
	s_mov_b32 s24, exec_lo
	v_cmpx_gt_u32_e32 8, v24
; %bb.478:                              ;   in Loop: Header=BB251_10 Depth=1
	s_delay_alu instid0(VALU_DEP_3) | instskip(NEXT) | instid1(VALU_DEP_1)
	v_clz_i32_u32_e32 v21, v78
	v_min_u32_e32 v21, 32, v21
	s_delay_alu instid0(VALU_DEP_1) | instskip(SKIP_1) | instid1(VALU_DEP_2)
	v_subrev_nc_u32_e32 v24, 28, v21
	v_sub_nc_u32_e32 v21, 29, v21
	v_lshlrev_b64 v[24:25], v24, v[78:79]
	s_delay_alu instid0(VALU_DEP_1)
	v_and_b32_e32 v78, 7, v24
; %bb.479:                              ;   in Loop: Header=BB251_10 Depth=1
	s_or_b32 exec_lo, exec_lo, s24
	v_lshlrev_b32_e32 v24, 24, v20
	s_delay_alu instid0(VALU_DEP_2) | instskip(SKIP_1) | instid1(VALU_DEP_3)
	v_lshlrev_b32_e32 v25, 20, v78
	v_lshl_add_u32 v21, v21, 23, 0x3c000000
	v_and_b32_e32 v24, 0x80000000, v24
	s_delay_alu instid0(VALU_DEP_1) | instskip(NEXT) | instid1(VALU_DEP_1)
	v_or3_b32 v78, v25, v24, v21
	v_dual_mov_b32 v83, v79 :: v_dual_mov_b32 v82, v78
.LBB251_480:                            ;   in Loop: Header=BB251_10 Depth=1
	s_or_b32 exec_lo, exec_lo, s23
.LBB251_481:                            ;   in Loop: Header=BB251_10 Depth=1
	s_delay_alu instid0(SALU_CYCLE_1)
	s_or_b32 exec_lo, exec_lo, s18
.LBB251_482:                            ;   in Loop: Header=BB251_10 Depth=1
	s_delay_alu instid0(SALU_CYCLE_1) | instskip(SKIP_2) | instid1(VALU_DEP_1)
	s_or_b32 exec_lo, exec_lo, s3
	v_lshrrev_b16 v21, 8, v20
	s_mov_b32 s3, exec_lo
	v_cmpx_ne_u16_e32 0, v21
	s_cbranch_execz .LBB251_490
; %bb.483:                              ;   in Loop: Header=BB251_10 Depth=1
	v_dual_mov_b32 v81, s9 :: v_dual_mov_b32 v80, s8
	s_mov_b32 s23, exec_lo
	v_cmpx_ne_u16_e32 0x80, v21
	s_cbranch_execz .LBB251_489
; %bb.484:                              ;   in Loop: Header=BB251_10 Depth=1
	s_mov_b32 s18, s8
	v_and_b32_e32 v21, 0xffff, v21
	v_dual_mov_b32 v81, s19 :: v_dual_mov_b32 v80, s18
	s_mov_b32 s18, exec_lo
	s_delay_alu instid0(VALU_DEP_2) | instskip(NEXT) | instid1(VALU_DEP_1)
	v_and_b32_e32 v24, 0x7f, v21
	v_cmpx_ne_u32_e32 0x7f, v24
	s_cbranch_execz .LBB251_488
; %bb.485:                              ;   in Loop: Header=BB251_10 Depth=1
	v_and_b32_e32 v78, 7, v21
	v_lshrrev_b32_e32 v21, 3, v24
	s_mov_b32 s24, exec_lo
	v_cmpx_gt_u32_e32 8, v24
; %bb.486:                              ;   in Loop: Header=BB251_10 Depth=1
	s_delay_alu instid0(VALU_DEP_3) | instskip(NEXT) | instid1(VALU_DEP_1)
	v_clz_i32_u32_e32 v21, v78
	v_min_u32_e32 v21, 32, v21
	s_delay_alu instid0(VALU_DEP_1) | instskip(SKIP_1) | instid1(VALU_DEP_2)
	v_subrev_nc_u32_e32 v24, 28, v21
	v_sub_nc_u32_e32 v21, 29, v21
	v_lshlrev_b64 v[24:25], v24, v[78:79]
	s_delay_alu instid0(VALU_DEP_1)
	v_and_b32_e32 v78, 7, v24
; %bb.487:                              ;   in Loop: Header=BB251_10 Depth=1
	s_or_b32 exec_lo, exec_lo, s24
	v_lshlrev_b32_e32 v20, 16, v20
	s_delay_alu instid0(VALU_DEP_2) | instskip(SKIP_2) | instid1(VALU_DEP_4)
	v_lshlrev_b32_e32 v24, 20, v78
	v_lshl_add_u32 v21, v21, 23, 0x3c000000
	v_mov_b32_e32 v80, v79
	v_and_b32_e32 v20, 0x80000000, v20
	s_delay_alu instid0(VALU_DEP_1)
	v_or3_b32 v81, v24, v20, v21
.LBB251_488:                            ;   in Loop: Header=BB251_10 Depth=1
	s_or_b32 exec_lo, exec_lo, s18
.LBB251_489:                            ;   in Loop: Header=BB251_10 Depth=1
	s_delay_alu instid0(SALU_CYCLE_1)
	s_or_b32 exec_lo, exec_lo, s23
.LBB251_490:                            ;   in Loop: Header=BB251_10 Depth=1
	s_delay_alu instid0(SALU_CYCLE_1) | instskip(SKIP_1) | instid1(VALU_DEP_1)
	s_or_b32 exec_lo, exec_lo, s3
	v_add_co_u32 v20, s2, 0x700, v88
	v_add_co_ci_u32_e64 v21, s2, 0, v89, s2
	s_mov_b32 s3, exec_lo
	flat_load_u16 v24, v[20:21] offset:8
	v_mov_b32_e32 v96, 0
	v_mov_b32_e32 v97, 0
	s_waitcnt vmcnt(0) lgkmcnt(0)
	v_and_b32_e32 v25, 0xff, v24
	s_delay_alu instid0(VALU_DEP_2) | instskip(SKIP_1) | instid1(VALU_DEP_3)
	v_dual_mov_b32 v99, v97 :: v_dual_and_b32 v24, 0xffff, v24
	v_mov_b32_e32 v98, v96
	v_cmpx_ne_u16_e32 0, v25
	s_cbranch_execz .LBB251_498
; %bb.491:                              ;   in Loop: Header=BB251_10 Depth=1
	v_bfrev_b32_e32 v98, 1
	v_and_b32_e32 v25, 0xff, v24
	v_mov_b32_e32 v99, 0
	s_mov_b32 s18, exec_lo
	s_delay_alu instid0(VALU_DEP_2)
	v_cmpx_ne_u16_e32 0x80, v25
	s_cbranch_execz .LBB251_497
; %bb.492:                              ;   in Loop: Header=BB251_10 Depth=1
	v_mov_b32_e32 v98, 0x7f800001
	v_dual_mov_b32 v99, 0 :: v_dual_and_b32 v68, 0x7f, v24
	s_mov_b32 s23, exec_lo
	s_delay_alu instid0(VALU_DEP_1)
	v_cmpx_ne_u32_e32 0x7f, v68
	s_cbranch_execz .LBB251_496
; %bb.493:                              ;   in Loop: Header=BB251_10 Depth=1
	v_and_b32_e32 v78, 7, v24
	v_lshrrev_b32_e32 v25, 3, v68
	s_mov_b32 s24, exec_lo
	v_cmpx_gt_u32_e32 8, v68
; %bb.494:                              ;   in Loop: Header=BB251_10 Depth=1
	s_delay_alu instid0(VALU_DEP_3) | instskip(NEXT) | instid1(VALU_DEP_1)
	v_clz_i32_u32_e32 v25, v78
	v_min_u32_e32 v25, 32, v25
	s_delay_alu instid0(VALU_DEP_1) | instskip(SKIP_1) | instid1(VALU_DEP_2)
	v_subrev_nc_u32_e32 v68, 28, v25
	v_sub_nc_u32_e32 v25, 29, v25
	v_lshlrev_b64 v[68:69], v68, v[78:79]
	s_delay_alu instid0(VALU_DEP_1)
	v_and_b32_e32 v78, 7, v68
; %bb.495:                              ;   in Loop: Header=BB251_10 Depth=1
	s_or_b32 exec_lo, exec_lo, s24
	v_lshlrev_b32_e32 v68, 24, v24
	s_delay_alu instid0(VALU_DEP_2) | instskip(SKIP_1) | instid1(VALU_DEP_3)
	v_lshlrev_b32_e32 v69, 20, v78
	v_lshl_add_u32 v25, v25, 23, 0x3c000000
	v_and_b32_e32 v68, 0x80000000, v68
	s_delay_alu instid0(VALU_DEP_1) | instskip(NEXT) | instid1(VALU_DEP_1)
	v_or3_b32 v78, v69, v68, v25
	v_dual_mov_b32 v99, v79 :: v_dual_mov_b32 v98, v78
.LBB251_496:                            ;   in Loop: Header=BB251_10 Depth=1
	s_or_b32 exec_lo, exec_lo, s23
.LBB251_497:                            ;   in Loop: Header=BB251_10 Depth=1
	s_delay_alu instid0(SALU_CYCLE_1)
	s_or_b32 exec_lo, exec_lo, s18
.LBB251_498:                            ;   in Loop: Header=BB251_10 Depth=1
	s_delay_alu instid0(SALU_CYCLE_1) | instskip(SKIP_2) | instid1(VALU_DEP_1)
	s_or_b32 exec_lo, exec_lo, s3
	v_lshrrev_b16 v25, 8, v24
	s_mov_b32 s3, exec_lo
	v_cmpx_ne_u16_e32 0, v25
	s_cbranch_execz .LBB251_506
; %bb.499:                              ;   in Loop: Header=BB251_10 Depth=1
	v_dual_mov_b32 v97, s9 :: v_dual_mov_b32 v96, s8
	s_mov_b32 s23, exec_lo
	v_cmpx_ne_u16_e32 0x80, v25
	s_cbranch_execz .LBB251_505
; %bb.500:                              ;   in Loop: Header=BB251_10 Depth=1
	s_mov_b32 s18, s8
	v_and_b32_e32 v25, 0xffff, v25
	v_dual_mov_b32 v97, s19 :: v_dual_mov_b32 v96, s18
	s_mov_b32 s18, exec_lo
	s_delay_alu instid0(VALU_DEP_2) | instskip(NEXT) | instid1(VALU_DEP_1)
	v_and_b32_e32 v68, 0x7f, v25
	v_cmpx_ne_u32_e32 0x7f, v68
	s_cbranch_execz .LBB251_504
; %bb.501:                              ;   in Loop: Header=BB251_10 Depth=1
	v_and_b32_e32 v78, 7, v25
	v_lshrrev_b32_e32 v25, 3, v68
	s_mov_b32 s24, exec_lo
	v_cmpx_gt_u32_e32 8, v68
; %bb.502:                              ;   in Loop: Header=BB251_10 Depth=1
	s_delay_alu instid0(VALU_DEP_3) | instskip(NEXT) | instid1(VALU_DEP_1)
	v_clz_i32_u32_e32 v25, v78
	v_min_u32_e32 v25, 32, v25
	s_delay_alu instid0(VALU_DEP_1) | instskip(SKIP_1) | instid1(VALU_DEP_2)
	v_subrev_nc_u32_e32 v68, 28, v25
	v_sub_nc_u32_e32 v25, 29, v25
	v_lshlrev_b64 v[68:69], v68, v[78:79]
	s_delay_alu instid0(VALU_DEP_1)
	v_and_b32_e32 v78, 7, v68
; %bb.503:                              ;   in Loop: Header=BB251_10 Depth=1
	s_or_b32 exec_lo, exec_lo, s24
	v_lshlrev_b32_e32 v24, 16, v24
	s_delay_alu instid0(VALU_DEP_2) | instskip(SKIP_2) | instid1(VALU_DEP_4)
	v_lshlrev_b32_e32 v68, 20, v78
	v_lshl_add_u32 v25, v25, 23, 0x3c000000
	v_mov_b32_e32 v96, v79
	v_and_b32_e32 v24, 0x80000000, v24
	s_delay_alu instid0(VALU_DEP_1)
	v_or3_b32 v97, v68, v24, v25
.LBB251_504:                            ;   in Loop: Header=BB251_10 Depth=1
	s_or_b32 exec_lo, exec_lo, s18
.LBB251_505:                            ;   in Loop: Header=BB251_10 Depth=1
	s_delay_alu instid0(SALU_CYCLE_1)
	s_or_b32 exec_lo, exec_lo, s23
.LBB251_506:                            ;   in Loop: Header=BB251_10 Depth=1
	s_delay_alu instid0(SALU_CYCLE_1)
	s_or_b32 exec_lo, exec_lo, s3
	flat_load_u16 v20, v[20:21] offset:12
	v_mov_b32_e32 v68, 0
	v_mov_b32_e32 v69, 0
	s_mov_b32 s3, exec_lo
	s_waitcnt vmcnt(0) lgkmcnt(0)
	v_and_b32_e32 v21, 0xff, v20
	s_delay_alu instid0(VALU_DEP_2) | instskip(SKIP_1) | instid1(VALU_DEP_3)
	v_dual_mov_b32 v71, v69 :: v_dual_and_b32 v20, 0xffff, v20
	v_mov_b32_e32 v70, v68
	v_cmpx_ne_u16_e32 0, v21
	s_cbranch_execz .LBB251_514
; %bb.507:                              ;   in Loop: Header=BB251_10 Depth=1
	v_bfrev_b32_e32 v70, 1
	v_and_b32_e32 v21, 0xff, v20
	v_mov_b32_e32 v71, 0
	s_mov_b32 s18, exec_lo
	s_delay_alu instid0(VALU_DEP_2)
	v_cmpx_ne_u16_e32 0x80, v21
	s_cbranch_execz .LBB251_513
; %bb.508:                              ;   in Loop: Header=BB251_10 Depth=1
	v_mov_b32_e32 v70, 0x7f800001
	v_dual_mov_b32 v71, 0 :: v_dual_and_b32 v24, 0x7f, v20
	s_mov_b32 s23, exec_lo
	s_delay_alu instid0(VALU_DEP_1)
	v_cmpx_ne_u32_e32 0x7f, v24
	s_cbranch_execz .LBB251_512
; %bb.509:                              ;   in Loop: Header=BB251_10 Depth=1
	v_and_b32_e32 v78, 7, v20
	v_lshrrev_b32_e32 v21, 3, v24
	s_mov_b32 s24, exec_lo
	v_cmpx_gt_u32_e32 8, v24
; %bb.510:                              ;   in Loop: Header=BB251_10 Depth=1
	s_delay_alu instid0(VALU_DEP_3) | instskip(NEXT) | instid1(VALU_DEP_1)
	v_clz_i32_u32_e32 v21, v78
	v_min_u32_e32 v21, 32, v21
	s_delay_alu instid0(VALU_DEP_1) | instskip(SKIP_1) | instid1(VALU_DEP_2)
	v_subrev_nc_u32_e32 v24, 28, v21
	v_sub_nc_u32_e32 v21, 29, v21
	v_lshlrev_b64 v[24:25], v24, v[78:79]
	s_delay_alu instid0(VALU_DEP_1)
	v_and_b32_e32 v78, 7, v24
; %bb.511:                              ;   in Loop: Header=BB251_10 Depth=1
	s_or_b32 exec_lo, exec_lo, s24
	v_lshlrev_b32_e32 v24, 24, v20
	s_delay_alu instid0(VALU_DEP_2) | instskip(SKIP_1) | instid1(VALU_DEP_3)
	v_lshlrev_b32_e32 v25, 20, v78
	v_lshl_add_u32 v21, v21, 23, 0x3c000000
	v_and_b32_e32 v24, 0x80000000, v24
	s_delay_alu instid0(VALU_DEP_1) | instskip(NEXT) | instid1(VALU_DEP_1)
	v_or3_b32 v78, v25, v24, v21
	v_dual_mov_b32 v70, v78 :: v_dual_mov_b32 v71, v79
.LBB251_512:                            ;   in Loop: Header=BB251_10 Depth=1
	s_or_b32 exec_lo, exec_lo, s23
.LBB251_513:                            ;   in Loop: Header=BB251_10 Depth=1
	s_delay_alu instid0(SALU_CYCLE_1)
	s_or_b32 exec_lo, exec_lo, s18
.LBB251_514:                            ;   in Loop: Header=BB251_10 Depth=1
	s_delay_alu instid0(SALU_CYCLE_1) | instskip(SKIP_2) | instid1(VALU_DEP_1)
	s_or_b32 exec_lo, exec_lo, s3
	v_lshrrev_b16 v21, 8, v20
	s_mov_b32 s3, exec_lo
	v_cmpx_ne_u16_e32 0, v21
	s_cbranch_execz .LBB251_522
; %bb.515:                              ;   in Loop: Header=BB251_10 Depth=1
	v_dual_mov_b32 v69, s9 :: v_dual_mov_b32 v68, s8
	s_mov_b32 s23, exec_lo
	v_cmpx_ne_u16_e32 0x80, v21
	s_cbranch_execz .LBB251_521
; %bb.516:                              ;   in Loop: Header=BB251_10 Depth=1
	s_mov_b32 s18, s8
	v_and_b32_e32 v21, 0xffff, v21
	v_dual_mov_b32 v69, s19 :: v_dual_mov_b32 v68, s18
	s_mov_b32 s18, exec_lo
	s_delay_alu instid0(VALU_DEP_2) | instskip(NEXT) | instid1(VALU_DEP_1)
	v_and_b32_e32 v24, 0x7f, v21
	v_cmpx_ne_u32_e32 0x7f, v24
	s_cbranch_execz .LBB251_520
; %bb.517:                              ;   in Loop: Header=BB251_10 Depth=1
	v_and_b32_e32 v78, 7, v21
	v_lshrrev_b32_e32 v21, 3, v24
	s_mov_b32 s24, exec_lo
	v_cmpx_gt_u32_e32 8, v24
; %bb.518:                              ;   in Loop: Header=BB251_10 Depth=1
	s_delay_alu instid0(VALU_DEP_3) | instskip(NEXT) | instid1(VALU_DEP_1)
	v_clz_i32_u32_e32 v21, v78
	v_min_u32_e32 v21, 32, v21
	s_delay_alu instid0(VALU_DEP_1) | instskip(SKIP_1) | instid1(VALU_DEP_2)
	v_subrev_nc_u32_e32 v24, 28, v21
	v_sub_nc_u32_e32 v21, 29, v21
	v_lshlrev_b64 v[24:25], v24, v[78:79]
	s_delay_alu instid0(VALU_DEP_1)
	v_and_b32_e32 v78, 7, v24
; %bb.519:                              ;   in Loop: Header=BB251_10 Depth=1
	s_or_b32 exec_lo, exec_lo, s24
	v_lshlrev_b32_e32 v20, 16, v20
	s_delay_alu instid0(VALU_DEP_2) | instskip(SKIP_2) | instid1(VALU_DEP_4)
	v_lshlrev_b32_e32 v24, 20, v78
	v_lshl_add_u32 v21, v21, 23, 0x3c000000
	v_mov_b32_e32 v68, v79
	v_and_b32_e32 v20, 0x80000000, v20
	s_delay_alu instid0(VALU_DEP_1)
	v_or3_b32 v69, v24, v20, v21
.LBB251_520:                            ;   in Loop: Header=BB251_10 Depth=1
	s_or_b32 exec_lo, exec_lo, s18
.LBB251_521:                            ;   in Loop: Header=BB251_10 Depth=1
	s_delay_alu instid0(SALU_CYCLE_1)
	s_or_b32 exec_lo, exec_lo, s23
.LBB251_522:                            ;   in Loop: Header=BB251_10 Depth=1
	s_delay_alu instid0(SALU_CYCLE_1)
	s_or_b32 exec_lo, exec_lo, s3
	flat_load_u16 v20, v[88:89] offset:2048
	v_mov_b32_e32 v84, 0
	v_mov_b32_e32 v85, 0
	s_mov_b32 s3, exec_lo
	s_waitcnt vmcnt(0) lgkmcnt(0)
	v_and_b32_e32 v21, 0xff, v20
	s_delay_alu instid0(VALU_DEP_2) | instskip(SKIP_1) | instid1(VALU_DEP_3)
	v_dual_mov_b32 v87, v85 :: v_dual_and_b32 v20, 0xffff, v20
	v_mov_b32_e32 v86, v84
	v_cmpx_ne_u16_e32 0, v21
	s_cbranch_execz .LBB251_530
; %bb.523:                              ;   in Loop: Header=BB251_10 Depth=1
	v_bfrev_b32_e32 v86, 1
	v_and_b32_e32 v21, 0xff, v20
	v_mov_b32_e32 v87, 0
	s_mov_b32 s18, exec_lo
	s_delay_alu instid0(VALU_DEP_2)
	v_cmpx_ne_u16_e32 0x80, v21
	s_cbranch_execz .LBB251_529
; %bb.524:                              ;   in Loop: Header=BB251_10 Depth=1
	v_mov_b32_e32 v86, 0x7f800001
	v_dual_mov_b32 v87, 0 :: v_dual_and_b32 v24, 0x7f, v20
	s_mov_b32 s23, exec_lo
	s_delay_alu instid0(VALU_DEP_1)
	v_cmpx_ne_u32_e32 0x7f, v24
	s_cbranch_execz .LBB251_528
; %bb.525:                              ;   in Loop: Header=BB251_10 Depth=1
	v_and_b32_e32 v78, 7, v20
	v_lshrrev_b32_e32 v21, 3, v24
	s_mov_b32 s24, exec_lo
	v_cmpx_gt_u32_e32 8, v24
; %bb.526:                              ;   in Loop: Header=BB251_10 Depth=1
	s_delay_alu instid0(VALU_DEP_3) | instskip(NEXT) | instid1(VALU_DEP_1)
	v_clz_i32_u32_e32 v21, v78
	v_min_u32_e32 v21, 32, v21
	s_delay_alu instid0(VALU_DEP_1) | instskip(SKIP_1) | instid1(VALU_DEP_2)
	v_subrev_nc_u32_e32 v24, 28, v21
	v_sub_nc_u32_e32 v21, 29, v21
	v_lshlrev_b64 v[24:25], v24, v[78:79]
	s_delay_alu instid0(VALU_DEP_1)
	v_and_b32_e32 v78, 7, v24
; %bb.527:                              ;   in Loop: Header=BB251_10 Depth=1
	s_or_b32 exec_lo, exec_lo, s24
	v_lshlrev_b32_e32 v24, 24, v20
	s_delay_alu instid0(VALU_DEP_2) | instskip(SKIP_1) | instid1(VALU_DEP_3)
	v_lshlrev_b32_e32 v25, 20, v78
	v_lshl_add_u32 v21, v21, 23, 0x3c000000
	v_and_b32_e32 v24, 0x80000000, v24
	s_delay_alu instid0(VALU_DEP_1) | instskip(NEXT) | instid1(VALU_DEP_1)
	v_or3_b32 v78, v25, v24, v21
	v_dual_mov_b32 v87, v79 :: v_dual_mov_b32 v86, v78
.LBB251_528:                            ;   in Loop: Header=BB251_10 Depth=1
	s_or_b32 exec_lo, exec_lo, s23
.LBB251_529:                            ;   in Loop: Header=BB251_10 Depth=1
	s_delay_alu instid0(SALU_CYCLE_1)
	s_or_b32 exec_lo, exec_lo, s18
.LBB251_530:                            ;   in Loop: Header=BB251_10 Depth=1
	s_delay_alu instid0(SALU_CYCLE_1) | instskip(SKIP_2) | instid1(VALU_DEP_1)
	s_or_b32 exec_lo, exec_lo, s3
	v_lshrrev_b16 v21, 8, v20
	s_mov_b32 s3, exec_lo
	v_cmpx_ne_u16_e32 0, v21
	s_cbranch_execz .LBB251_538
; %bb.531:                              ;   in Loop: Header=BB251_10 Depth=1
	v_dual_mov_b32 v85, s9 :: v_dual_mov_b32 v84, s8
	s_mov_b32 s23, exec_lo
	v_cmpx_ne_u16_e32 0x80, v21
	s_cbranch_execz .LBB251_537
; %bb.532:                              ;   in Loop: Header=BB251_10 Depth=1
	s_mov_b32 s18, s8
	v_and_b32_e32 v21, 0xffff, v21
	v_dual_mov_b32 v85, s19 :: v_dual_mov_b32 v84, s18
	s_mov_b32 s18, exec_lo
	s_delay_alu instid0(VALU_DEP_2) | instskip(NEXT) | instid1(VALU_DEP_1)
	v_and_b32_e32 v24, 0x7f, v21
	v_cmpx_ne_u32_e32 0x7f, v24
	s_cbranch_execz .LBB251_536
; %bb.533:                              ;   in Loop: Header=BB251_10 Depth=1
	v_and_b32_e32 v78, 7, v21
	v_lshrrev_b32_e32 v21, 3, v24
	s_mov_b32 s24, exec_lo
	v_cmpx_gt_u32_e32 8, v24
; %bb.534:                              ;   in Loop: Header=BB251_10 Depth=1
	s_delay_alu instid0(VALU_DEP_3) | instskip(NEXT) | instid1(VALU_DEP_1)
	v_clz_i32_u32_e32 v21, v78
	v_min_u32_e32 v21, 32, v21
	s_delay_alu instid0(VALU_DEP_1) | instskip(SKIP_1) | instid1(VALU_DEP_2)
	v_subrev_nc_u32_e32 v24, 28, v21
	v_sub_nc_u32_e32 v21, 29, v21
	v_lshlrev_b64 v[24:25], v24, v[78:79]
	s_delay_alu instid0(VALU_DEP_1)
	v_and_b32_e32 v78, 7, v24
; %bb.535:                              ;   in Loop: Header=BB251_10 Depth=1
	s_or_b32 exec_lo, exec_lo, s24
	v_lshlrev_b32_e32 v20, 16, v20
	s_delay_alu instid0(VALU_DEP_2) | instskip(SKIP_2) | instid1(VALU_DEP_4)
	v_lshlrev_b32_e32 v24, 20, v78
	v_lshl_add_u32 v21, v21, 23, 0x3c000000
	v_mov_b32_e32 v84, v79
	v_and_b32_e32 v20, 0x80000000, v20
	s_delay_alu instid0(VALU_DEP_1)
	v_or3_b32 v85, v24, v20, v21
.LBB251_536:                            ;   in Loop: Header=BB251_10 Depth=1
	s_or_b32 exec_lo, exec_lo, s18
.LBB251_537:                            ;   in Loop: Header=BB251_10 Depth=1
	s_delay_alu instid0(SALU_CYCLE_1)
	s_or_b32 exec_lo, exec_lo, s23
.LBB251_538:                            ;   in Loop: Header=BB251_10 Depth=1
	s_delay_alu instid0(SALU_CYCLE_1)
	s_or_b32 exec_lo, exec_lo, s3
	flat_load_u16 v20, v[88:89] offset:2052
	v_mov_b32_e32 v100, 0
	v_mov_b32_e32 v101, 0
	s_mov_b32 s3, exec_lo
	s_waitcnt vmcnt(0) lgkmcnt(0)
	v_and_b32_e32 v21, 0xff, v20
	s_delay_alu instid0(VALU_DEP_2) | instskip(SKIP_1) | instid1(VALU_DEP_3)
	v_dual_mov_b32 v103, v101 :: v_dual_and_b32 v20, 0xffff, v20
	v_mov_b32_e32 v102, v100
	v_cmpx_ne_u16_e32 0, v21
	s_cbranch_execz .LBB251_546
; %bb.539:                              ;   in Loop: Header=BB251_10 Depth=1
	v_bfrev_b32_e32 v102, 1
	v_and_b32_e32 v21, 0xff, v20
	v_mov_b32_e32 v103, 0
	s_mov_b32 s18, exec_lo
	s_delay_alu instid0(VALU_DEP_2)
	v_cmpx_ne_u16_e32 0x80, v21
	s_cbranch_execz .LBB251_545
; %bb.540:                              ;   in Loop: Header=BB251_10 Depth=1
	v_mov_b32_e32 v102, 0x7f800001
	v_dual_mov_b32 v103, 0 :: v_dual_and_b32 v24, 0x7f, v20
	s_mov_b32 s23, exec_lo
	s_delay_alu instid0(VALU_DEP_1)
	v_cmpx_ne_u32_e32 0x7f, v24
	s_cbranch_execz .LBB251_544
; %bb.541:                              ;   in Loop: Header=BB251_10 Depth=1
	v_and_b32_e32 v78, 7, v20
	v_lshrrev_b32_e32 v21, 3, v24
	s_mov_b32 s24, exec_lo
	v_cmpx_gt_u32_e32 8, v24
; %bb.542:                              ;   in Loop: Header=BB251_10 Depth=1
	s_delay_alu instid0(VALU_DEP_3) | instskip(NEXT) | instid1(VALU_DEP_1)
	v_clz_i32_u32_e32 v21, v78
	v_min_u32_e32 v21, 32, v21
	s_delay_alu instid0(VALU_DEP_1) | instskip(SKIP_1) | instid1(VALU_DEP_2)
	v_subrev_nc_u32_e32 v24, 28, v21
	v_sub_nc_u32_e32 v21, 29, v21
	v_lshlrev_b64 v[24:25], v24, v[78:79]
	s_delay_alu instid0(VALU_DEP_1)
	v_and_b32_e32 v78, 7, v24
; %bb.543:                              ;   in Loop: Header=BB251_10 Depth=1
	s_or_b32 exec_lo, exec_lo, s24
	v_lshlrev_b32_e32 v24, 24, v20
	s_delay_alu instid0(VALU_DEP_2) | instskip(SKIP_1) | instid1(VALU_DEP_3)
	v_lshlrev_b32_e32 v25, 20, v78
	v_lshl_add_u32 v21, v21, 23, 0x3c000000
	v_and_b32_e32 v24, 0x80000000, v24
	s_delay_alu instid0(VALU_DEP_1) | instskip(NEXT) | instid1(VALU_DEP_1)
	v_or3_b32 v78, v25, v24, v21
	v_dual_mov_b32 v103, v79 :: v_dual_mov_b32 v102, v78
.LBB251_544:                            ;   in Loop: Header=BB251_10 Depth=1
	s_or_b32 exec_lo, exec_lo, s23
.LBB251_545:                            ;   in Loop: Header=BB251_10 Depth=1
	s_delay_alu instid0(SALU_CYCLE_1)
	s_or_b32 exec_lo, exec_lo, s18
.LBB251_546:                            ;   in Loop: Header=BB251_10 Depth=1
	s_delay_alu instid0(SALU_CYCLE_1) | instskip(SKIP_2) | instid1(VALU_DEP_1)
	s_or_b32 exec_lo, exec_lo, s3
	v_lshrrev_b16 v21, 8, v20
	s_mov_b32 s3, exec_lo
	v_cmpx_ne_u16_e32 0, v21
	s_cbranch_execz .LBB251_554
; %bb.547:                              ;   in Loop: Header=BB251_10 Depth=1
	v_dual_mov_b32 v101, s9 :: v_dual_mov_b32 v100, s8
	s_mov_b32 s23, exec_lo
	v_cmpx_ne_u16_e32 0x80, v21
	s_cbranch_execz .LBB251_553
; %bb.548:                              ;   in Loop: Header=BB251_10 Depth=1
	s_mov_b32 s18, s8
	v_and_b32_e32 v21, 0xffff, v21
	v_dual_mov_b32 v101, s19 :: v_dual_mov_b32 v100, s18
	s_mov_b32 s18, exec_lo
	s_delay_alu instid0(VALU_DEP_2) | instskip(NEXT) | instid1(VALU_DEP_1)
	v_and_b32_e32 v24, 0x7f, v21
	v_cmpx_ne_u32_e32 0x7f, v24
	s_cbranch_execz .LBB251_552
; %bb.549:                              ;   in Loop: Header=BB251_10 Depth=1
	v_and_b32_e32 v78, 7, v21
	v_lshrrev_b32_e32 v21, 3, v24
	s_mov_b32 s24, exec_lo
	v_cmpx_gt_u32_e32 8, v24
; %bb.550:                              ;   in Loop: Header=BB251_10 Depth=1
	s_delay_alu instid0(VALU_DEP_3) | instskip(NEXT) | instid1(VALU_DEP_1)
	v_clz_i32_u32_e32 v21, v78
	v_min_u32_e32 v21, 32, v21
	s_delay_alu instid0(VALU_DEP_1) | instskip(SKIP_1) | instid1(VALU_DEP_2)
	v_subrev_nc_u32_e32 v24, 28, v21
	v_sub_nc_u32_e32 v21, 29, v21
	v_lshlrev_b64 v[24:25], v24, v[78:79]
	s_delay_alu instid0(VALU_DEP_1)
	v_and_b32_e32 v78, 7, v24
; %bb.551:                              ;   in Loop: Header=BB251_10 Depth=1
	s_or_b32 exec_lo, exec_lo, s24
	v_lshlrev_b32_e32 v20, 16, v20
	s_delay_alu instid0(VALU_DEP_2) | instskip(SKIP_2) | instid1(VALU_DEP_4)
	v_lshlrev_b32_e32 v24, 20, v78
	v_lshl_add_u32 v21, v21, 23, 0x3c000000
	v_mov_b32_e32 v100, v79
	v_and_b32_e32 v20, 0x80000000, v20
	s_delay_alu instid0(VALU_DEP_1)
	v_or3_b32 v101, v24, v20, v21
.LBB251_552:                            ;   in Loop: Header=BB251_10 Depth=1
	s_or_b32 exec_lo, exec_lo, s18
.LBB251_553:                            ;   in Loop: Header=BB251_10 Depth=1
	s_delay_alu instid0(SALU_CYCLE_1)
	s_or_b32 exec_lo, exec_lo, s23
.LBB251_554:                            ;   in Loop: Header=BB251_10 Depth=1
	s_delay_alu instid0(SALU_CYCLE_1) | instskip(SKIP_1) | instid1(VALU_DEP_1)
	s_or_b32 exec_lo, exec_lo, s3
	v_add_co_u32 v20, s2, 0x800, v88
	v_add_co_ci_u32_e64 v21, s2, 0, v89, s2
	s_mov_b32 s3, exec_lo
	flat_load_u16 v24, v[20:21] offset:8
	v_mov_b32_e32 v112, 0
	v_mov_b32_e32 v113, 0
	s_waitcnt vmcnt(0) lgkmcnt(0)
	v_and_b32_e32 v25, 0xff, v24
	s_delay_alu instid0(VALU_DEP_2) | instskip(SKIP_1) | instid1(VALU_DEP_3)
	v_dual_mov_b32 v115, v113 :: v_dual_and_b32 v24, 0xffff, v24
	v_mov_b32_e32 v114, v112
	v_cmpx_ne_u16_e32 0, v25
	s_cbranch_execz .LBB251_562
; %bb.555:                              ;   in Loop: Header=BB251_10 Depth=1
	v_bfrev_b32_e32 v114, 1
	v_and_b32_e32 v25, 0xff, v24
	v_mov_b32_e32 v115, 0
	s_mov_b32 s18, exec_lo
	s_delay_alu instid0(VALU_DEP_2)
	v_cmpx_ne_u16_e32 0x80, v25
	s_cbranch_execz .LBB251_561
; %bb.556:                              ;   in Loop: Header=BB251_10 Depth=1
	v_mov_b32_e32 v114, 0x7f800001
	v_dual_mov_b32 v115, 0 :: v_dual_and_b32 v116, 0x7f, v24
	s_mov_b32 s23, exec_lo
	s_delay_alu instid0(VALU_DEP_1)
	v_cmpx_ne_u32_e32 0x7f, v116
	s_cbranch_execz .LBB251_560
; %bb.557:                              ;   in Loop: Header=BB251_10 Depth=1
	v_and_b32_e32 v78, 7, v24
	v_lshrrev_b32_e32 v25, 3, v116
	s_mov_b32 s24, exec_lo
	v_cmpx_gt_u32_e32 8, v116
; %bb.558:                              ;   in Loop: Header=BB251_10 Depth=1
	s_delay_alu instid0(VALU_DEP_3) | instskip(NEXT) | instid1(VALU_DEP_1)
	v_clz_i32_u32_e32 v25, v78
	v_min_u32_e32 v25, 32, v25
	s_delay_alu instid0(VALU_DEP_1) | instskip(SKIP_1) | instid1(VALU_DEP_2)
	v_subrev_nc_u32_e32 v114, 28, v25
	v_sub_nc_u32_e32 v25, 29, v25
	v_lshlrev_b64 v[114:115], v114, v[78:79]
	s_delay_alu instid0(VALU_DEP_1)
	v_and_b32_e32 v78, 7, v114
; %bb.559:                              ;   in Loop: Header=BB251_10 Depth=1
	s_or_b32 exec_lo, exec_lo, s24
	v_lshlrev_b32_e32 v114, 24, v24
	s_delay_alu instid0(VALU_DEP_2) | instskip(SKIP_1) | instid1(VALU_DEP_3)
	v_lshlrev_b32_e32 v115, 20, v78
	v_lshl_add_u32 v25, v25, 23, 0x3c000000
	v_and_b32_e32 v114, 0x80000000, v114
	s_delay_alu instid0(VALU_DEP_1) | instskip(NEXT) | instid1(VALU_DEP_1)
	v_or3_b32 v78, v115, v114, v25
	v_dual_mov_b32 v115, v79 :: v_dual_mov_b32 v114, v78
.LBB251_560:                            ;   in Loop: Header=BB251_10 Depth=1
	s_or_b32 exec_lo, exec_lo, s23
.LBB251_561:                            ;   in Loop: Header=BB251_10 Depth=1
	s_delay_alu instid0(SALU_CYCLE_1)
	s_or_b32 exec_lo, exec_lo, s18
.LBB251_562:                            ;   in Loop: Header=BB251_10 Depth=1
	s_delay_alu instid0(SALU_CYCLE_1) | instskip(SKIP_2) | instid1(VALU_DEP_1)
	s_or_b32 exec_lo, exec_lo, s3
	v_lshrrev_b16 v25, 8, v24
	s_mov_b32 s3, exec_lo
	v_cmpx_ne_u16_e32 0, v25
	s_cbranch_execz .LBB251_570
; %bb.563:                              ;   in Loop: Header=BB251_10 Depth=1
	v_dual_mov_b32 v113, s9 :: v_dual_mov_b32 v112, s8
	s_mov_b32 s23, exec_lo
	v_cmpx_ne_u16_e32 0x80, v25
	s_cbranch_execz .LBB251_569
; %bb.564:                              ;   in Loop: Header=BB251_10 Depth=1
	s_mov_b32 s18, s8
	v_and_b32_e32 v25, 0xffff, v25
	v_dual_mov_b32 v113, s19 :: v_dual_mov_b32 v112, s18
	s_mov_b32 s18, exec_lo
	s_delay_alu instid0(VALU_DEP_2) | instskip(NEXT) | instid1(VALU_DEP_1)
	v_and_b32_e32 v116, 0x7f, v25
	v_cmpx_ne_u32_e32 0x7f, v116
	s_cbranch_execz .LBB251_568
; %bb.565:                              ;   in Loop: Header=BB251_10 Depth=1
	v_and_b32_e32 v78, 7, v25
	v_lshrrev_b32_e32 v25, 3, v116
	s_mov_b32 s24, exec_lo
	v_cmpx_gt_u32_e32 8, v116
; %bb.566:                              ;   in Loop: Header=BB251_10 Depth=1
	s_delay_alu instid0(VALU_DEP_3) | instskip(NEXT) | instid1(VALU_DEP_1)
	v_clz_i32_u32_e32 v25, v78
	v_min_u32_e32 v25, 32, v25
	s_delay_alu instid0(VALU_DEP_1) | instskip(SKIP_1) | instid1(VALU_DEP_2)
	v_subrev_nc_u32_e32 v112, 28, v25
	v_sub_nc_u32_e32 v25, 29, v25
	v_lshlrev_b64 v[112:113], v112, v[78:79]
	s_delay_alu instid0(VALU_DEP_1)
	v_and_b32_e32 v78, 7, v112
; %bb.567:                              ;   in Loop: Header=BB251_10 Depth=1
	s_or_b32 exec_lo, exec_lo, s24
	v_lshlrev_b32_e32 v24, 16, v24
	s_delay_alu instid0(VALU_DEP_2) | instskip(SKIP_1) | instid1(VALU_DEP_3)
	v_lshlrev_b32_e32 v112, 20, v78
	v_lshl_add_u32 v25, v25, 23, 0x3c000000
	v_and_b32_e32 v24, 0x80000000, v24
	s_delay_alu instid0(VALU_DEP_1)
	v_or3_b32 v113, v112, v24, v25
	v_mov_b32_e32 v112, v79
.LBB251_568:                            ;   in Loop: Header=BB251_10 Depth=1
	s_or_b32 exec_lo, exec_lo, s18
.LBB251_569:                            ;   in Loop: Header=BB251_10 Depth=1
	s_delay_alu instid0(SALU_CYCLE_1)
	s_or_b32 exec_lo, exec_lo, s23
.LBB251_570:                            ;   in Loop: Header=BB251_10 Depth=1
	s_delay_alu instid0(SALU_CYCLE_1)
	s_or_b32 exec_lo, exec_lo, s3
	flat_load_u16 v20, v[20:21] offset:12
	v_mov_b32_e32 v116, 0
	v_mov_b32_e32 v117, 0
	s_mov_b32 s3, exec_lo
	s_waitcnt vmcnt(0) lgkmcnt(0)
	v_and_b32_e32 v21, 0xff, v20
	s_delay_alu instid0(VALU_DEP_2) | instskip(SKIP_1) | instid1(VALU_DEP_3)
	v_dual_mov_b32 v119, v117 :: v_dual_and_b32 v20, 0xffff, v20
	v_mov_b32_e32 v118, v116
	v_cmpx_ne_u16_e32 0, v21
	s_cbranch_execz .LBB251_578
; %bb.571:                              ;   in Loop: Header=BB251_10 Depth=1
	v_bfrev_b32_e32 v118, 1
	v_and_b32_e32 v21, 0xff, v20
	v_mov_b32_e32 v119, 0
	s_mov_b32 s18, exec_lo
	s_delay_alu instid0(VALU_DEP_2)
	v_cmpx_ne_u16_e32 0x80, v21
	s_cbranch_execz .LBB251_577
; %bb.572:                              ;   in Loop: Header=BB251_10 Depth=1
	v_mov_b32_e32 v118, 0x7f800001
	v_dual_mov_b32 v119, 0 :: v_dual_and_b32 v24, 0x7f, v20
	s_mov_b32 s23, exec_lo
	s_delay_alu instid0(VALU_DEP_1)
	v_cmpx_ne_u32_e32 0x7f, v24
	s_cbranch_execz .LBB251_576
; %bb.573:                              ;   in Loop: Header=BB251_10 Depth=1
	v_and_b32_e32 v78, 7, v20
	v_lshrrev_b32_e32 v21, 3, v24
	s_mov_b32 s24, exec_lo
	v_cmpx_gt_u32_e32 8, v24
; %bb.574:                              ;   in Loop: Header=BB251_10 Depth=1
	s_delay_alu instid0(VALU_DEP_3) | instskip(NEXT) | instid1(VALU_DEP_1)
	v_clz_i32_u32_e32 v21, v78
	v_min_u32_e32 v21, 32, v21
	s_delay_alu instid0(VALU_DEP_1) | instskip(SKIP_1) | instid1(VALU_DEP_2)
	v_subrev_nc_u32_e32 v24, 28, v21
	v_sub_nc_u32_e32 v21, 29, v21
	v_lshlrev_b64 v[24:25], v24, v[78:79]
	s_delay_alu instid0(VALU_DEP_1)
	v_and_b32_e32 v78, 7, v24
; %bb.575:                              ;   in Loop: Header=BB251_10 Depth=1
	s_or_b32 exec_lo, exec_lo, s24
	v_lshlrev_b32_e32 v24, 24, v20
	s_delay_alu instid0(VALU_DEP_2) | instskip(SKIP_1) | instid1(VALU_DEP_3)
	v_lshlrev_b32_e32 v25, 20, v78
	v_lshl_add_u32 v21, v21, 23, 0x3c000000
	v_and_b32_e32 v24, 0x80000000, v24
	s_delay_alu instid0(VALU_DEP_1) | instskip(NEXT) | instid1(VALU_DEP_1)
	v_or3_b32 v78, v25, v24, v21
	v_dual_mov_b32 v119, v79 :: v_dual_mov_b32 v118, v78
.LBB251_576:                            ;   in Loop: Header=BB251_10 Depth=1
	s_or_b32 exec_lo, exec_lo, s23
.LBB251_577:                            ;   in Loop: Header=BB251_10 Depth=1
	s_delay_alu instid0(SALU_CYCLE_1)
	s_or_b32 exec_lo, exec_lo, s18
.LBB251_578:                            ;   in Loop: Header=BB251_10 Depth=1
	s_delay_alu instid0(SALU_CYCLE_1) | instskip(SKIP_2) | instid1(VALU_DEP_1)
	s_or_b32 exec_lo, exec_lo, s3
	v_lshrrev_b16 v21, 8, v20
	s_mov_b32 s3, exec_lo
	v_cmpx_ne_u16_e32 0, v21
	s_cbranch_execz .LBB251_586
; %bb.579:                              ;   in Loop: Header=BB251_10 Depth=1
	v_dual_mov_b32 v117, s9 :: v_dual_mov_b32 v116, s8
	s_mov_b32 s23, exec_lo
	v_cmpx_ne_u16_e32 0x80, v21
	s_cbranch_execz .LBB251_585
; %bb.580:                              ;   in Loop: Header=BB251_10 Depth=1
	s_mov_b32 s18, s8
	v_and_b32_e32 v21, 0xffff, v21
	v_dual_mov_b32 v117, s19 :: v_dual_mov_b32 v116, s18
	s_mov_b32 s18, exec_lo
	s_delay_alu instid0(VALU_DEP_2) | instskip(NEXT) | instid1(VALU_DEP_1)
	v_and_b32_e32 v24, 0x7f, v21
	v_cmpx_ne_u32_e32 0x7f, v24
	s_cbranch_execz .LBB251_584
; %bb.581:                              ;   in Loop: Header=BB251_10 Depth=1
	v_and_b32_e32 v78, 7, v21
	v_lshrrev_b32_e32 v21, 3, v24
	s_mov_b32 s24, exec_lo
	v_cmpx_gt_u32_e32 8, v24
; %bb.582:                              ;   in Loop: Header=BB251_10 Depth=1
	s_delay_alu instid0(VALU_DEP_3) | instskip(NEXT) | instid1(VALU_DEP_1)
	v_clz_i32_u32_e32 v21, v78
	v_min_u32_e32 v21, 32, v21
	s_delay_alu instid0(VALU_DEP_1) | instskip(SKIP_1) | instid1(VALU_DEP_2)
	v_subrev_nc_u32_e32 v24, 28, v21
	v_sub_nc_u32_e32 v21, 29, v21
	v_lshlrev_b64 v[24:25], v24, v[78:79]
	s_delay_alu instid0(VALU_DEP_1)
	v_and_b32_e32 v78, 7, v24
; %bb.583:                              ;   in Loop: Header=BB251_10 Depth=1
	s_or_b32 exec_lo, exec_lo, s24
	v_lshlrev_b32_e32 v20, 16, v20
	s_delay_alu instid0(VALU_DEP_2) | instskip(SKIP_2) | instid1(VALU_DEP_4)
	v_lshlrev_b32_e32 v24, 20, v78
	v_lshl_add_u32 v21, v21, 23, 0x3c000000
	v_mov_b32_e32 v116, v79
	v_and_b32_e32 v20, 0x80000000, v20
	s_delay_alu instid0(VALU_DEP_1)
	v_or3_b32 v117, v24, v20, v21
.LBB251_584:                            ;   in Loop: Header=BB251_10 Depth=1
	s_or_b32 exec_lo, exec_lo, s18
.LBB251_585:                            ;   in Loop: Header=BB251_10 Depth=1
	s_delay_alu instid0(SALU_CYCLE_1)
	s_or_b32 exec_lo, exec_lo, s23
.LBB251_586:                            ;   in Loop: Header=BB251_10 Depth=1
	s_delay_alu instid0(SALU_CYCLE_1)
	s_or_b32 exec_lo, exec_lo, s3
	flat_load_u16 v20, v[88:89] offset:2304
	v_mov_b32_e32 v128, 0
	v_mov_b32_e32 v129, 0
	s_mov_b32 s3, exec_lo
	s_waitcnt vmcnt(0) lgkmcnt(0)
	v_and_b32_e32 v21, 0xff, v20
	s_delay_alu instid0(VALU_DEP_2) | instskip(SKIP_1) | instid1(VALU_DEP_3)
	v_dual_mov_b32 v131, v129 :: v_dual_and_b32 v20, 0xffff, v20
	v_mov_b32_e32 v130, v128
	v_cmpx_ne_u16_e32 0, v21
	s_cbranch_execz .LBB251_594
; %bb.587:                              ;   in Loop: Header=BB251_10 Depth=1
	v_bfrev_b32_e32 v130, 1
	v_and_b32_e32 v21, 0xff, v20
	v_mov_b32_e32 v131, 0
	s_mov_b32 s18, exec_lo
	s_delay_alu instid0(VALU_DEP_2)
	v_cmpx_ne_u16_e32 0x80, v21
	s_cbranch_execz .LBB251_593
; %bb.588:                              ;   in Loop: Header=BB251_10 Depth=1
	v_mov_b32_e32 v130, 0x7f800001
	v_dual_mov_b32 v131, 0 :: v_dual_and_b32 v24, 0x7f, v20
	s_mov_b32 s23, exec_lo
	s_delay_alu instid0(VALU_DEP_1)
	v_cmpx_ne_u32_e32 0x7f, v24
	s_cbranch_execz .LBB251_592
; %bb.589:                              ;   in Loop: Header=BB251_10 Depth=1
	v_and_b32_e32 v78, 7, v20
	v_lshrrev_b32_e32 v21, 3, v24
	s_mov_b32 s24, exec_lo
	v_cmpx_gt_u32_e32 8, v24
; %bb.590:                              ;   in Loop: Header=BB251_10 Depth=1
	s_delay_alu instid0(VALU_DEP_3) | instskip(NEXT) | instid1(VALU_DEP_1)
	v_clz_i32_u32_e32 v21, v78
	v_min_u32_e32 v21, 32, v21
	s_delay_alu instid0(VALU_DEP_1) | instskip(SKIP_1) | instid1(VALU_DEP_2)
	v_subrev_nc_u32_e32 v24, 28, v21
	v_sub_nc_u32_e32 v21, 29, v21
	v_lshlrev_b64 v[24:25], v24, v[78:79]
	s_delay_alu instid0(VALU_DEP_1)
	v_and_b32_e32 v78, 7, v24
; %bb.591:                              ;   in Loop: Header=BB251_10 Depth=1
	s_or_b32 exec_lo, exec_lo, s24
	v_lshlrev_b32_e32 v24, 24, v20
	s_delay_alu instid0(VALU_DEP_2) | instskip(SKIP_1) | instid1(VALU_DEP_3)
	v_lshlrev_b32_e32 v25, 20, v78
	v_lshl_add_u32 v21, v21, 23, 0x3c000000
	v_and_b32_e32 v24, 0x80000000, v24
	s_delay_alu instid0(VALU_DEP_1) | instskip(NEXT) | instid1(VALU_DEP_1)
	v_or3_b32 v78, v25, v24, v21
	v_dual_mov_b32 v131, v79 :: v_dual_mov_b32 v130, v78
.LBB251_592:                            ;   in Loop: Header=BB251_10 Depth=1
	s_or_b32 exec_lo, exec_lo, s23
.LBB251_593:                            ;   in Loop: Header=BB251_10 Depth=1
	s_delay_alu instid0(SALU_CYCLE_1)
	s_or_b32 exec_lo, exec_lo, s18
.LBB251_594:                            ;   in Loop: Header=BB251_10 Depth=1
	s_delay_alu instid0(SALU_CYCLE_1) | instskip(SKIP_2) | instid1(VALU_DEP_1)
	s_or_b32 exec_lo, exec_lo, s3
	v_lshrrev_b16 v21, 8, v20
	s_mov_b32 s3, exec_lo
	v_cmpx_ne_u16_e32 0, v21
	s_cbranch_execz .LBB251_602
; %bb.595:                              ;   in Loop: Header=BB251_10 Depth=1
	v_dual_mov_b32 v129, s9 :: v_dual_mov_b32 v128, s8
	s_mov_b32 s23, exec_lo
	v_cmpx_ne_u16_e32 0x80, v21
	s_cbranch_execz .LBB251_601
; %bb.596:                              ;   in Loop: Header=BB251_10 Depth=1
	s_mov_b32 s18, s8
	v_and_b32_e32 v21, 0xffff, v21
	v_dual_mov_b32 v129, s19 :: v_dual_mov_b32 v128, s18
	s_mov_b32 s18, exec_lo
	s_delay_alu instid0(VALU_DEP_2) | instskip(NEXT) | instid1(VALU_DEP_1)
	v_and_b32_e32 v24, 0x7f, v21
	v_cmpx_ne_u32_e32 0x7f, v24
	s_cbranch_execz .LBB251_600
; %bb.597:                              ;   in Loop: Header=BB251_10 Depth=1
	v_and_b32_e32 v78, 7, v21
	v_lshrrev_b32_e32 v21, 3, v24
	s_mov_b32 s24, exec_lo
	v_cmpx_gt_u32_e32 8, v24
; %bb.598:                              ;   in Loop: Header=BB251_10 Depth=1
	s_delay_alu instid0(VALU_DEP_3) | instskip(NEXT) | instid1(VALU_DEP_1)
	v_clz_i32_u32_e32 v21, v78
	v_min_u32_e32 v21, 32, v21
	s_delay_alu instid0(VALU_DEP_1) | instskip(SKIP_1) | instid1(VALU_DEP_2)
	v_subrev_nc_u32_e32 v24, 28, v21
	v_sub_nc_u32_e32 v21, 29, v21
	v_lshlrev_b64 v[24:25], v24, v[78:79]
	s_delay_alu instid0(VALU_DEP_1)
	v_and_b32_e32 v78, 7, v24
; %bb.599:                              ;   in Loop: Header=BB251_10 Depth=1
	s_or_b32 exec_lo, exec_lo, s24
	v_lshlrev_b32_e32 v20, 16, v20
	s_delay_alu instid0(VALU_DEP_2) | instskip(SKIP_2) | instid1(VALU_DEP_4)
	v_lshlrev_b32_e32 v24, 20, v78
	v_lshl_add_u32 v21, v21, 23, 0x3c000000
	v_mov_b32_e32 v128, v79
	v_and_b32_e32 v20, 0x80000000, v20
	s_delay_alu instid0(VALU_DEP_1)
	v_or3_b32 v129, v24, v20, v21
.LBB251_600:                            ;   in Loop: Header=BB251_10 Depth=1
	s_or_b32 exec_lo, exec_lo, s18
.LBB251_601:                            ;   in Loop: Header=BB251_10 Depth=1
	s_delay_alu instid0(SALU_CYCLE_1)
	s_or_b32 exec_lo, exec_lo, s23
.LBB251_602:                            ;   in Loop: Header=BB251_10 Depth=1
	s_delay_alu instid0(SALU_CYCLE_1)
	s_or_b32 exec_lo, exec_lo, s3
	flat_load_u16 v20, v[88:89] offset:2308
	v_mov_b32_e32 v132, 0
	v_mov_b32_e32 v133, 0
	s_mov_b32 s3, exec_lo
	s_waitcnt vmcnt(0) lgkmcnt(0)
	v_and_b32_e32 v21, 0xff, v20
	s_delay_alu instid0(VALU_DEP_2) | instskip(SKIP_1) | instid1(VALU_DEP_3)
	v_dual_mov_b32 v135, v133 :: v_dual_and_b32 v20, 0xffff, v20
	v_mov_b32_e32 v134, v132
	v_cmpx_ne_u16_e32 0, v21
	s_cbranch_execz .LBB251_610
; %bb.603:                              ;   in Loop: Header=BB251_10 Depth=1
	v_bfrev_b32_e32 v134, 1
	v_and_b32_e32 v21, 0xff, v20
	v_mov_b32_e32 v135, 0
	s_mov_b32 s18, exec_lo
	s_delay_alu instid0(VALU_DEP_2)
	v_cmpx_ne_u16_e32 0x80, v21
	s_cbranch_execz .LBB251_609
; %bb.604:                              ;   in Loop: Header=BB251_10 Depth=1
	v_mov_b32_e32 v134, 0x7f800001
	v_dual_mov_b32 v135, 0 :: v_dual_and_b32 v24, 0x7f, v20
	s_mov_b32 s23, exec_lo
	s_delay_alu instid0(VALU_DEP_1)
	v_cmpx_ne_u32_e32 0x7f, v24
	s_cbranch_execz .LBB251_608
; %bb.605:                              ;   in Loop: Header=BB251_10 Depth=1
	v_and_b32_e32 v78, 7, v20
	v_lshrrev_b32_e32 v21, 3, v24
	s_mov_b32 s24, exec_lo
	v_cmpx_gt_u32_e32 8, v24
; %bb.606:                              ;   in Loop: Header=BB251_10 Depth=1
	s_delay_alu instid0(VALU_DEP_3) | instskip(NEXT) | instid1(VALU_DEP_1)
	v_clz_i32_u32_e32 v21, v78
	v_min_u32_e32 v21, 32, v21
	s_delay_alu instid0(VALU_DEP_1) | instskip(SKIP_1) | instid1(VALU_DEP_2)
	v_subrev_nc_u32_e32 v24, 28, v21
	v_sub_nc_u32_e32 v21, 29, v21
	v_lshlrev_b64 v[24:25], v24, v[78:79]
	s_delay_alu instid0(VALU_DEP_1)
	v_and_b32_e32 v78, 7, v24
; %bb.607:                              ;   in Loop: Header=BB251_10 Depth=1
	s_or_b32 exec_lo, exec_lo, s24
	v_lshlrev_b32_e32 v24, 24, v20
	s_delay_alu instid0(VALU_DEP_2) | instskip(SKIP_1) | instid1(VALU_DEP_3)
	v_lshlrev_b32_e32 v25, 20, v78
	v_lshl_add_u32 v21, v21, 23, 0x3c000000
	v_and_b32_e32 v24, 0x80000000, v24
	s_delay_alu instid0(VALU_DEP_1) | instskip(NEXT) | instid1(VALU_DEP_1)
	v_or3_b32 v78, v25, v24, v21
	v_dual_mov_b32 v135, v79 :: v_dual_mov_b32 v134, v78
.LBB251_608:                            ;   in Loop: Header=BB251_10 Depth=1
	s_or_b32 exec_lo, exec_lo, s23
.LBB251_609:                            ;   in Loop: Header=BB251_10 Depth=1
	s_delay_alu instid0(SALU_CYCLE_1)
	s_or_b32 exec_lo, exec_lo, s18
.LBB251_610:                            ;   in Loop: Header=BB251_10 Depth=1
	s_delay_alu instid0(SALU_CYCLE_1) | instskip(SKIP_2) | instid1(VALU_DEP_1)
	s_or_b32 exec_lo, exec_lo, s3
	v_lshrrev_b16 v21, 8, v20
	s_mov_b32 s3, exec_lo
	v_cmpx_ne_u16_e32 0, v21
	s_cbranch_execz .LBB251_618
; %bb.611:                              ;   in Loop: Header=BB251_10 Depth=1
	v_dual_mov_b32 v133, s9 :: v_dual_mov_b32 v132, s8
	s_mov_b32 s23, exec_lo
	v_cmpx_ne_u16_e32 0x80, v21
	s_cbranch_execz .LBB251_617
; %bb.612:                              ;   in Loop: Header=BB251_10 Depth=1
	s_mov_b32 s18, s8
	v_and_b32_e32 v21, 0xffff, v21
	v_dual_mov_b32 v133, s19 :: v_dual_mov_b32 v132, s18
	s_mov_b32 s18, exec_lo
	s_delay_alu instid0(VALU_DEP_2) | instskip(NEXT) | instid1(VALU_DEP_1)
	v_and_b32_e32 v24, 0x7f, v21
	v_cmpx_ne_u32_e32 0x7f, v24
	s_cbranch_execz .LBB251_616
; %bb.613:                              ;   in Loop: Header=BB251_10 Depth=1
	v_and_b32_e32 v78, 7, v21
	v_lshrrev_b32_e32 v21, 3, v24
	s_mov_b32 s24, exec_lo
	v_cmpx_gt_u32_e32 8, v24
; %bb.614:                              ;   in Loop: Header=BB251_10 Depth=1
	s_delay_alu instid0(VALU_DEP_3) | instskip(NEXT) | instid1(VALU_DEP_1)
	v_clz_i32_u32_e32 v21, v78
	v_min_u32_e32 v21, 32, v21
	s_delay_alu instid0(VALU_DEP_1) | instskip(SKIP_1) | instid1(VALU_DEP_2)
	v_subrev_nc_u32_e32 v24, 28, v21
	v_sub_nc_u32_e32 v21, 29, v21
	v_lshlrev_b64 v[24:25], v24, v[78:79]
	s_delay_alu instid0(VALU_DEP_1)
	v_and_b32_e32 v78, 7, v24
; %bb.615:                              ;   in Loop: Header=BB251_10 Depth=1
	s_or_b32 exec_lo, exec_lo, s24
	v_lshlrev_b32_e32 v20, 16, v20
	s_delay_alu instid0(VALU_DEP_2) | instskip(SKIP_2) | instid1(VALU_DEP_4)
	v_lshlrev_b32_e32 v24, 20, v78
	v_lshl_add_u32 v21, v21, 23, 0x3c000000
	v_mov_b32_e32 v132, v79
	v_and_b32_e32 v20, 0x80000000, v20
	s_delay_alu instid0(VALU_DEP_1)
	v_or3_b32 v133, v24, v20, v21
.LBB251_616:                            ;   in Loop: Header=BB251_10 Depth=1
	s_or_b32 exec_lo, exec_lo, s18
.LBB251_617:                            ;   in Loop: Header=BB251_10 Depth=1
	s_delay_alu instid0(SALU_CYCLE_1)
	s_or_b32 exec_lo, exec_lo, s23
.LBB251_618:                            ;   in Loop: Header=BB251_10 Depth=1
	s_delay_alu instid0(SALU_CYCLE_1) | instskip(SKIP_1) | instid1(VALU_DEP_1)
	s_or_b32 exec_lo, exec_lo, s3
	v_add_co_u32 v20, s2, 0x900, v88
	v_add_co_ci_u32_e64 v21, s2, 0, v89, s2
	s_mov_b32 s3, exec_lo
	flat_load_u16 v24, v[20:21] offset:8
	v_mov_b32_e32 v144, 0
	v_mov_b32_e32 v145, 0
	s_waitcnt vmcnt(0) lgkmcnt(0)
	v_and_b32_e32 v25, 0xff, v24
	s_delay_alu instid0(VALU_DEP_2) | instskip(SKIP_1) | instid1(VALU_DEP_3)
	v_dual_mov_b32 v147, v145 :: v_dual_and_b32 v24, 0xffff, v24
	v_mov_b32_e32 v146, v144
	v_cmpx_ne_u16_e32 0, v25
	s_cbranch_execz .LBB251_626
; %bb.619:                              ;   in Loop: Header=BB251_10 Depth=1
	v_bfrev_b32_e32 v146, 1
	v_and_b32_e32 v25, 0xff, v24
	v_mov_b32_e32 v147, 0
	s_mov_b32 s18, exec_lo
	s_delay_alu instid0(VALU_DEP_2)
	v_cmpx_ne_u16_e32 0x80, v25
	s_cbranch_execz .LBB251_625
; %bb.620:                              ;   in Loop: Header=BB251_10 Depth=1
	v_mov_b32_e32 v146, 0x7f800001
	v_dual_mov_b32 v147, 0 :: v_dual_and_b32 v148, 0x7f, v24
	s_mov_b32 s23, exec_lo
	s_delay_alu instid0(VALU_DEP_1)
	v_cmpx_ne_u32_e32 0x7f, v148
	s_cbranch_execz .LBB251_624
; %bb.621:                              ;   in Loop: Header=BB251_10 Depth=1
	v_and_b32_e32 v78, 7, v24
	v_lshrrev_b32_e32 v25, 3, v148
	s_mov_b32 s24, exec_lo
	v_cmpx_gt_u32_e32 8, v148
; %bb.622:                              ;   in Loop: Header=BB251_10 Depth=1
	s_delay_alu instid0(VALU_DEP_3) | instskip(NEXT) | instid1(VALU_DEP_1)
	v_clz_i32_u32_e32 v25, v78
	v_min_u32_e32 v25, 32, v25
	s_delay_alu instid0(VALU_DEP_1) | instskip(SKIP_1) | instid1(VALU_DEP_2)
	v_subrev_nc_u32_e32 v146, 28, v25
	v_sub_nc_u32_e32 v25, 29, v25
	v_lshlrev_b64 v[146:147], v146, v[78:79]
	s_delay_alu instid0(VALU_DEP_1)
	v_and_b32_e32 v78, 7, v146
; %bb.623:                              ;   in Loop: Header=BB251_10 Depth=1
	s_or_b32 exec_lo, exec_lo, s24
	v_lshlrev_b32_e32 v146, 24, v24
	s_delay_alu instid0(VALU_DEP_2) | instskip(SKIP_1) | instid1(VALU_DEP_3)
	v_lshlrev_b32_e32 v147, 20, v78
	v_lshl_add_u32 v25, v25, 23, 0x3c000000
	v_and_b32_e32 v146, 0x80000000, v146
	s_delay_alu instid0(VALU_DEP_1) | instskip(NEXT) | instid1(VALU_DEP_1)
	v_or3_b32 v78, v147, v146, v25
	v_dual_mov_b32 v147, v79 :: v_dual_mov_b32 v146, v78
.LBB251_624:                            ;   in Loop: Header=BB251_10 Depth=1
	s_or_b32 exec_lo, exec_lo, s23
.LBB251_625:                            ;   in Loop: Header=BB251_10 Depth=1
	s_delay_alu instid0(SALU_CYCLE_1)
	s_or_b32 exec_lo, exec_lo, s18
.LBB251_626:                            ;   in Loop: Header=BB251_10 Depth=1
	s_delay_alu instid0(SALU_CYCLE_1) | instskip(SKIP_2) | instid1(VALU_DEP_1)
	s_or_b32 exec_lo, exec_lo, s3
	v_lshrrev_b16 v25, 8, v24
	s_mov_b32 s3, exec_lo
	v_cmpx_ne_u16_e32 0, v25
	s_cbranch_execz .LBB251_634
; %bb.627:                              ;   in Loop: Header=BB251_10 Depth=1
	v_dual_mov_b32 v145, s9 :: v_dual_mov_b32 v144, s8
	s_mov_b32 s23, exec_lo
	v_cmpx_ne_u16_e32 0x80, v25
	s_cbranch_execz .LBB251_633
; %bb.628:                              ;   in Loop: Header=BB251_10 Depth=1
	s_mov_b32 s18, s8
	v_and_b32_e32 v25, 0xffff, v25
	v_dual_mov_b32 v145, s19 :: v_dual_mov_b32 v144, s18
	s_mov_b32 s18, exec_lo
	s_delay_alu instid0(VALU_DEP_2) | instskip(NEXT) | instid1(VALU_DEP_1)
	v_and_b32_e32 v148, 0x7f, v25
	v_cmpx_ne_u32_e32 0x7f, v148
	s_cbranch_execz .LBB251_632
; %bb.629:                              ;   in Loop: Header=BB251_10 Depth=1
	v_and_b32_e32 v78, 7, v25
	v_lshrrev_b32_e32 v25, 3, v148
	s_mov_b32 s24, exec_lo
	v_cmpx_gt_u32_e32 8, v148
; %bb.630:                              ;   in Loop: Header=BB251_10 Depth=1
	s_delay_alu instid0(VALU_DEP_3) | instskip(NEXT) | instid1(VALU_DEP_1)
	v_clz_i32_u32_e32 v25, v78
	v_min_u32_e32 v25, 32, v25
	s_delay_alu instid0(VALU_DEP_1) | instskip(SKIP_1) | instid1(VALU_DEP_2)
	v_subrev_nc_u32_e32 v144, 28, v25
	v_sub_nc_u32_e32 v25, 29, v25
	v_lshlrev_b64 v[144:145], v144, v[78:79]
	s_delay_alu instid0(VALU_DEP_1)
	v_and_b32_e32 v78, 7, v144
; %bb.631:                              ;   in Loop: Header=BB251_10 Depth=1
	s_or_b32 exec_lo, exec_lo, s24
	v_lshlrev_b32_e32 v24, 16, v24
	s_delay_alu instid0(VALU_DEP_2) | instskip(SKIP_1) | instid1(VALU_DEP_3)
	v_lshlrev_b32_e32 v144, 20, v78
	v_lshl_add_u32 v25, v25, 23, 0x3c000000
	v_and_b32_e32 v24, 0x80000000, v24
	s_delay_alu instid0(VALU_DEP_1)
	v_or3_b32 v145, v144, v24, v25
	v_mov_b32_e32 v144, v79
.LBB251_632:                            ;   in Loop: Header=BB251_10 Depth=1
	s_or_b32 exec_lo, exec_lo, s18
.LBB251_633:                            ;   in Loop: Header=BB251_10 Depth=1
	s_delay_alu instid0(SALU_CYCLE_1)
	s_or_b32 exec_lo, exec_lo, s23
.LBB251_634:                            ;   in Loop: Header=BB251_10 Depth=1
	s_delay_alu instid0(SALU_CYCLE_1)
	s_or_b32 exec_lo, exec_lo, s3
	flat_load_u16 v20, v[20:21] offset:12
	v_mov_b32_e32 v148, 0
	v_mov_b32_e32 v149, 0
	s_mov_b32 s3, exec_lo
	s_waitcnt vmcnt(0) lgkmcnt(0)
	v_and_b32_e32 v21, 0xff, v20
	s_delay_alu instid0(VALU_DEP_2) | instskip(SKIP_1) | instid1(VALU_DEP_3)
	v_dual_mov_b32 v151, v149 :: v_dual_and_b32 v20, 0xffff, v20
	v_mov_b32_e32 v150, v148
	v_cmpx_ne_u16_e32 0, v21
	s_cbranch_execz .LBB251_642
; %bb.635:                              ;   in Loop: Header=BB251_10 Depth=1
	v_bfrev_b32_e32 v150, 1
	v_and_b32_e32 v21, 0xff, v20
	v_mov_b32_e32 v151, 0
	s_mov_b32 s18, exec_lo
	s_delay_alu instid0(VALU_DEP_2)
	v_cmpx_ne_u16_e32 0x80, v21
	s_cbranch_execz .LBB251_641
; %bb.636:                              ;   in Loop: Header=BB251_10 Depth=1
	v_mov_b32_e32 v150, 0x7f800001
	v_dual_mov_b32 v151, 0 :: v_dual_and_b32 v24, 0x7f, v20
	s_mov_b32 s23, exec_lo
	s_delay_alu instid0(VALU_DEP_1)
	v_cmpx_ne_u32_e32 0x7f, v24
	s_cbranch_execz .LBB251_640
; %bb.637:                              ;   in Loop: Header=BB251_10 Depth=1
	v_and_b32_e32 v78, 7, v20
	v_lshrrev_b32_e32 v21, 3, v24
	s_mov_b32 s24, exec_lo
	v_cmpx_gt_u32_e32 8, v24
; %bb.638:                              ;   in Loop: Header=BB251_10 Depth=1
	s_delay_alu instid0(VALU_DEP_3) | instskip(NEXT) | instid1(VALU_DEP_1)
	v_clz_i32_u32_e32 v21, v78
	v_min_u32_e32 v21, 32, v21
	s_delay_alu instid0(VALU_DEP_1) | instskip(SKIP_1) | instid1(VALU_DEP_2)
	v_subrev_nc_u32_e32 v24, 28, v21
	v_sub_nc_u32_e32 v21, 29, v21
	v_lshlrev_b64 v[24:25], v24, v[78:79]
	s_delay_alu instid0(VALU_DEP_1)
	v_and_b32_e32 v78, 7, v24
; %bb.639:                              ;   in Loop: Header=BB251_10 Depth=1
	s_or_b32 exec_lo, exec_lo, s24
	v_lshlrev_b32_e32 v24, 24, v20
	s_delay_alu instid0(VALU_DEP_2) | instskip(SKIP_1) | instid1(VALU_DEP_3)
	v_lshlrev_b32_e32 v25, 20, v78
	v_lshl_add_u32 v21, v21, 23, 0x3c000000
	v_and_b32_e32 v24, 0x80000000, v24
	s_delay_alu instid0(VALU_DEP_1) | instskip(NEXT) | instid1(VALU_DEP_1)
	v_or3_b32 v78, v25, v24, v21
	v_dual_mov_b32 v151, v79 :: v_dual_mov_b32 v150, v78
.LBB251_640:                            ;   in Loop: Header=BB251_10 Depth=1
	s_or_b32 exec_lo, exec_lo, s23
.LBB251_641:                            ;   in Loop: Header=BB251_10 Depth=1
	s_delay_alu instid0(SALU_CYCLE_1)
	s_or_b32 exec_lo, exec_lo, s18
.LBB251_642:                            ;   in Loop: Header=BB251_10 Depth=1
	s_delay_alu instid0(SALU_CYCLE_1) | instskip(SKIP_2) | instid1(VALU_DEP_1)
	s_or_b32 exec_lo, exec_lo, s3
	v_lshrrev_b16 v21, 8, v20
	s_mov_b32 s3, exec_lo
	v_cmpx_ne_u16_e32 0, v21
	s_cbranch_execz .LBB251_650
; %bb.643:                              ;   in Loop: Header=BB251_10 Depth=1
	v_dual_mov_b32 v149, s9 :: v_dual_mov_b32 v148, s8
	s_mov_b32 s23, exec_lo
	v_cmpx_ne_u16_e32 0x80, v21
	s_cbranch_execz .LBB251_649
; %bb.644:                              ;   in Loop: Header=BB251_10 Depth=1
	s_mov_b32 s18, s8
	v_and_b32_e32 v21, 0xffff, v21
	v_dual_mov_b32 v149, s19 :: v_dual_mov_b32 v148, s18
	s_mov_b32 s18, exec_lo
	s_delay_alu instid0(VALU_DEP_2) | instskip(NEXT) | instid1(VALU_DEP_1)
	v_and_b32_e32 v24, 0x7f, v21
	v_cmpx_ne_u32_e32 0x7f, v24
	s_cbranch_execz .LBB251_648
; %bb.645:                              ;   in Loop: Header=BB251_10 Depth=1
	v_and_b32_e32 v78, 7, v21
	v_lshrrev_b32_e32 v21, 3, v24
	s_mov_b32 s24, exec_lo
	v_cmpx_gt_u32_e32 8, v24
; %bb.646:                              ;   in Loop: Header=BB251_10 Depth=1
	s_delay_alu instid0(VALU_DEP_3) | instskip(NEXT) | instid1(VALU_DEP_1)
	v_clz_i32_u32_e32 v21, v78
	v_min_u32_e32 v21, 32, v21
	s_delay_alu instid0(VALU_DEP_1) | instskip(SKIP_1) | instid1(VALU_DEP_2)
	v_subrev_nc_u32_e32 v24, 28, v21
	v_sub_nc_u32_e32 v21, 29, v21
	v_lshlrev_b64 v[24:25], v24, v[78:79]
	s_delay_alu instid0(VALU_DEP_1)
	v_and_b32_e32 v78, 7, v24
; %bb.647:                              ;   in Loop: Header=BB251_10 Depth=1
	s_or_b32 exec_lo, exec_lo, s24
	v_lshlrev_b32_e32 v20, 16, v20
	s_delay_alu instid0(VALU_DEP_2) | instskip(SKIP_2) | instid1(VALU_DEP_4)
	v_lshlrev_b32_e32 v24, 20, v78
	v_lshl_add_u32 v21, v21, 23, 0x3c000000
	v_mov_b32_e32 v148, v79
	v_and_b32_e32 v20, 0x80000000, v20
	s_delay_alu instid0(VALU_DEP_1)
	v_or3_b32 v149, v24, v20, v21
.LBB251_648:                            ;   in Loop: Header=BB251_10 Depth=1
	s_or_b32 exec_lo, exec_lo, s18
.LBB251_649:                            ;   in Loop: Header=BB251_10 Depth=1
	s_delay_alu instid0(SALU_CYCLE_1)
	s_or_b32 exec_lo, exec_lo, s23
.LBB251_650:                            ;   in Loop: Header=BB251_10 Depth=1
	s_delay_alu instid0(SALU_CYCLE_1)
	s_or_b32 exec_lo, exec_lo, s3
	flat_load_u16 v20, v[88:89] offset:2560
	v_mov_b32_e32 v160, 0
	v_mov_b32_e32 v161, 0
	s_mov_b32 s3, exec_lo
	s_waitcnt vmcnt(0) lgkmcnt(0)
	v_and_b32_e32 v21, 0xff, v20
	s_delay_alu instid0(VALU_DEP_2) | instskip(SKIP_1) | instid1(VALU_DEP_3)
	v_dual_mov_b32 v163, v161 :: v_dual_and_b32 v20, 0xffff, v20
	v_mov_b32_e32 v162, v160
	v_cmpx_ne_u16_e32 0, v21
	s_cbranch_execz .LBB251_658
; %bb.651:                              ;   in Loop: Header=BB251_10 Depth=1
	v_bfrev_b32_e32 v162, 1
	v_and_b32_e32 v21, 0xff, v20
	v_mov_b32_e32 v163, 0
	s_mov_b32 s18, exec_lo
	s_delay_alu instid0(VALU_DEP_2)
	v_cmpx_ne_u16_e32 0x80, v21
	s_cbranch_execz .LBB251_657
; %bb.652:                              ;   in Loop: Header=BB251_10 Depth=1
	v_mov_b32_e32 v162, 0x7f800001
	v_dual_mov_b32 v163, 0 :: v_dual_and_b32 v24, 0x7f, v20
	s_mov_b32 s23, exec_lo
	s_delay_alu instid0(VALU_DEP_1)
	v_cmpx_ne_u32_e32 0x7f, v24
	s_cbranch_execz .LBB251_656
; %bb.653:                              ;   in Loop: Header=BB251_10 Depth=1
	v_and_b32_e32 v78, 7, v20
	v_lshrrev_b32_e32 v21, 3, v24
	s_mov_b32 s24, exec_lo
	v_cmpx_gt_u32_e32 8, v24
; %bb.654:                              ;   in Loop: Header=BB251_10 Depth=1
	s_delay_alu instid0(VALU_DEP_3) | instskip(NEXT) | instid1(VALU_DEP_1)
	v_clz_i32_u32_e32 v21, v78
	v_min_u32_e32 v21, 32, v21
	s_delay_alu instid0(VALU_DEP_1) | instskip(SKIP_1) | instid1(VALU_DEP_2)
	v_subrev_nc_u32_e32 v24, 28, v21
	v_sub_nc_u32_e32 v21, 29, v21
	v_lshlrev_b64 v[24:25], v24, v[78:79]
	s_delay_alu instid0(VALU_DEP_1)
	v_and_b32_e32 v78, 7, v24
; %bb.655:                              ;   in Loop: Header=BB251_10 Depth=1
	s_or_b32 exec_lo, exec_lo, s24
	v_lshlrev_b32_e32 v24, 24, v20
	s_delay_alu instid0(VALU_DEP_2) | instskip(SKIP_1) | instid1(VALU_DEP_3)
	v_lshlrev_b32_e32 v25, 20, v78
	v_lshl_add_u32 v21, v21, 23, 0x3c000000
	v_and_b32_e32 v24, 0x80000000, v24
	s_delay_alu instid0(VALU_DEP_1) | instskip(NEXT) | instid1(VALU_DEP_1)
	v_or3_b32 v78, v25, v24, v21
	v_dual_mov_b32 v163, v79 :: v_dual_mov_b32 v162, v78
.LBB251_656:                            ;   in Loop: Header=BB251_10 Depth=1
	s_or_b32 exec_lo, exec_lo, s23
.LBB251_657:                            ;   in Loop: Header=BB251_10 Depth=1
	s_delay_alu instid0(SALU_CYCLE_1)
	s_or_b32 exec_lo, exec_lo, s18
.LBB251_658:                            ;   in Loop: Header=BB251_10 Depth=1
	s_delay_alu instid0(SALU_CYCLE_1) | instskip(SKIP_2) | instid1(VALU_DEP_1)
	s_or_b32 exec_lo, exec_lo, s3
	v_lshrrev_b16 v21, 8, v20
	s_mov_b32 s3, exec_lo
	v_cmpx_ne_u16_e32 0, v21
	s_cbranch_execz .LBB251_666
; %bb.659:                              ;   in Loop: Header=BB251_10 Depth=1
	v_dual_mov_b32 v161, s9 :: v_dual_mov_b32 v160, s8
	s_mov_b32 s23, exec_lo
	v_cmpx_ne_u16_e32 0x80, v21
	s_cbranch_execz .LBB251_665
; %bb.660:                              ;   in Loop: Header=BB251_10 Depth=1
	s_mov_b32 s18, s8
	v_and_b32_e32 v21, 0xffff, v21
	v_dual_mov_b32 v161, s19 :: v_dual_mov_b32 v160, s18
	s_mov_b32 s18, exec_lo
	s_delay_alu instid0(VALU_DEP_2) | instskip(NEXT) | instid1(VALU_DEP_1)
	v_and_b32_e32 v24, 0x7f, v21
	v_cmpx_ne_u32_e32 0x7f, v24
	s_cbranch_execz .LBB251_664
; %bb.661:                              ;   in Loop: Header=BB251_10 Depth=1
	v_and_b32_e32 v78, 7, v21
	v_lshrrev_b32_e32 v21, 3, v24
	s_mov_b32 s24, exec_lo
	v_cmpx_gt_u32_e32 8, v24
; %bb.662:                              ;   in Loop: Header=BB251_10 Depth=1
	s_delay_alu instid0(VALU_DEP_3) | instskip(NEXT) | instid1(VALU_DEP_1)
	v_clz_i32_u32_e32 v21, v78
	v_min_u32_e32 v21, 32, v21
	s_delay_alu instid0(VALU_DEP_1) | instskip(SKIP_1) | instid1(VALU_DEP_2)
	v_subrev_nc_u32_e32 v24, 28, v21
	v_sub_nc_u32_e32 v21, 29, v21
	v_lshlrev_b64 v[24:25], v24, v[78:79]
	s_delay_alu instid0(VALU_DEP_1)
	v_and_b32_e32 v78, 7, v24
; %bb.663:                              ;   in Loop: Header=BB251_10 Depth=1
	s_or_b32 exec_lo, exec_lo, s24
	v_lshlrev_b32_e32 v20, 16, v20
	s_delay_alu instid0(VALU_DEP_2) | instskip(SKIP_2) | instid1(VALU_DEP_4)
	v_lshlrev_b32_e32 v24, 20, v78
	v_lshl_add_u32 v21, v21, 23, 0x3c000000
	v_mov_b32_e32 v160, v79
	v_and_b32_e32 v20, 0x80000000, v20
	s_delay_alu instid0(VALU_DEP_1)
	v_or3_b32 v161, v24, v20, v21
.LBB251_664:                            ;   in Loop: Header=BB251_10 Depth=1
	s_or_b32 exec_lo, exec_lo, s18
.LBB251_665:                            ;   in Loop: Header=BB251_10 Depth=1
	s_delay_alu instid0(SALU_CYCLE_1)
	s_or_b32 exec_lo, exec_lo, s23
.LBB251_666:                            ;   in Loop: Header=BB251_10 Depth=1
	s_delay_alu instid0(SALU_CYCLE_1)
	s_or_b32 exec_lo, exec_lo, s3
	flat_load_u16 v20, v[88:89] offset:2564
	v_mov_b32_e32 v164, 0
	v_mov_b32_e32 v165, 0
	s_mov_b32 s3, exec_lo
	s_waitcnt vmcnt(0) lgkmcnt(0)
	v_and_b32_e32 v21, 0xff, v20
	s_delay_alu instid0(VALU_DEP_2) | instskip(SKIP_1) | instid1(VALU_DEP_3)
	v_dual_mov_b32 v167, v165 :: v_dual_and_b32 v20, 0xffff, v20
	v_mov_b32_e32 v166, v164
	v_cmpx_ne_u16_e32 0, v21
	s_cbranch_execz .LBB251_674
; %bb.667:                              ;   in Loop: Header=BB251_10 Depth=1
	v_bfrev_b32_e32 v166, 1
	v_and_b32_e32 v21, 0xff, v20
	v_mov_b32_e32 v167, 0
	s_mov_b32 s18, exec_lo
	s_delay_alu instid0(VALU_DEP_2)
	v_cmpx_ne_u16_e32 0x80, v21
	s_cbranch_execz .LBB251_673
; %bb.668:                              ;   in Loop: Header=BB251_10 Depth=1
	v_mov_b32_e32 v166, 0x7f800001
	v_dual_mov_b32 v167, 0 :: v_dual_and_b32 v24, 0x7f, v20
	s_mov_b32 s23, exec_lo
	s_delay_alu instid0(VALU_DEP_1)
	v_cmpx_ne_u32_e32 0x7f, v24
	s_cbranch_execz .LBB251_672
; %bb.669:                              ;   in Loop: Header=BB251_10 Depth=1
	v_and_b32_e32 v78, 7, v20
	v_lshrrev_b32_e32 v21, 3, v24
	s_mov_b32 s24, exec_lo
	v_cmpx_gt_u32_e32 8, v24
; %bb.670:                              ;   in Loop: Header=BB251_10 Depth=1
	s_delay_alu instid0(VALU_DEP_3) | instskip(NEXT) | instid1(VALU_DEP_1)
	v_clz_i32_u32_e32 v21, v78
	v_min_u32_e32 v21, 32, v21
	s_delay_alu instid0(VALU_DEP_1) | instskip(SKIP_1) | instid1(VALU_DEP_2)
	v_subrev_nc_u32_e32 v24, 28, v21
	v_sub_nc_u32_e32 v21, 29, v21
	v_lshlrev_b64 v[24:25], v24, v[78:79]
	s_delay_alu instid0(VALU_DEP_1)
	v_and_b32_e32 v78, 7, v24
; %bb.671:                              ;   in Loop: Header=BB251_10 Depth=1
	s_or_b32 exec_lo, exec_lo, s24
	v_lshlrev_b32_e32 v24, 24, v20
	s_delay_alu instid0(VALU_DEP_2) | instskip(SKIP_1) | instid1(VALU_DEP_3)
	v_lshlrev_b32_e32 v25, 20, v78
	v_lshl_add_u32 v21, v21, 23, 0x3c000000
	v_and_b32_e32 v24, 0x80000000, v24
	s_delay_alu instid0(VALU_DEP_1) | instskip(NEXT) | instid1(VALU_DEP_1)
	v_or3_b32 v78, v25, v24, v21
	v_dual_mov_b32 v167, v79 :: v_dual_mov_b32 v166, v78
.LBB251_672:                            ;   in Loop: Header=BB251_10 Depth=1
	s_or_b32 exec_lo, exec_lo, s23
.LBB251_673:                            ;   in Loop: Header=BB251_10 Depth=1
	s_delay_alu instid0(SALU_CYCLE_1)
	s_or_b32 exec_lo, exec_lo, s18
.LBB251_674:                            ;   in Loop: Header=BB251_10 Depth=1
	s_delay_alu instid0(SALU_CYCLE_1) | instskip(SKIP_2) | instid1(VALU_DEP_1)
	s_or_b32 exec_lo, exec_lo, s3
	v_lshrrev_b16 v21, 8, v20
	s_mov_b32 s3, exec_lo
	v_cmpx_ne_u16_e32 0, v21
	s_cbranch_execz .LBB251_682
; %bb.675:                              ;   in Loop: Header=BB251_10 Depth=1
	v_dual_mov_b32 v165, s9 :: v_dual_mov_b32 v164, s8
	s_mov_b32 s23, exec_lo
	v_cmpx_ne_u16_e32 0x80, v21
	s_cbranch_execz .LBB251_681
; %bb.676:                              ;   in Loop: Header=BB251_10 Depth=1
	s_mov_b32 s18, s8
	v_and_b32_e32 v21, 0xffff, v21
	v_dual_mov_b32 v165, s19 :: v_dual_mov_b32 v164, s18
	s_mov_b32 s18, exec_lo
	s_delay_alu instid0(VALU_DEP_2) | instskip(NEXT) | instid1(VALU_DEP_1)
	v_and_b32_e32 v24, 0x7f, v21
	v_cmpx_ne_u32_e32 0x7f, v24
	s_cbranch_execz .LBB251_680
; %bb.677:                              ;   in Loop: Header=BB251_10 Depth=1
	v_and_b32_e32 v78, 7, v21
	v_lshrrev_b32_e32 v21, 3, v24
	s_mov_b32 s24, exec_lo
	v_cmpx_gt_u32_e32 8, v24
; %bb.678:                              ;   in Loop: Header=BB251_10 Depth=1
	s_delay_alu instid0(VALU_DEP_3) | instskip(NEXT) | instid1(VALU_DEP_1)
	v_clz_i32_u32_e32 v21, v78
	v_min_u32_e32 v21, 32, v21
	s_delay_alu instid0(VALU_DEP_1) | instskip(SKIP_1) | instid1(VALU_DEP_2)
	v_subrev_nc_u32_e32 v24, 28, v21
	v_sub_nc_u32_e32 v21, 29, v21
	v_lshlrev_b64 v[24:25], v24, v[78:79]
	s_delay_alu instid0(VALU_DEP_1)
	v_and_b32_e32 v78, 7, v24
; %bb.679:                              ;   in Loop: Header=BB251_10 Depth=1
	s_or_b32 exec_lo, exec_lo, s24
	v_lshlrev_b32_e32 v20, 16, v20
	s_delay_alu instid0(VALU_DEP_2) | instskip(SKIP_2) | instid1(VALU_DEP_4)
	v_lshlrev_b32_e32 v24, 20, v78
	v_lshl_add_u32 v21, v21, 23, 0x3c000000
	v_mov_b32_e32 v164, v79
	v_and_b32_e32 v20, 0x80000000, v20
	s_delay_alu instid0(VALU_DEP_1)
	v_or3_b32 v165, v24, v20, v21
.LBB251_680:                            ;   in Loop: Header=BB251_10 Depth=1
	s_or_b32 exec_lo, exec_lo, s18
.LBB251_681:                            ;   in Loop: Header=BB251_10 Depth=1
	s_delay_alu instid0(SALU_CYCLE_1)
	s_or_b32 exec_lo, exec_lo, s23
.LBB251_682:                            ;   in Loop: Header=BB251_10 Depth=1
	s_delay_alu instid0(SALU_CYCLE_1) | instskip(SKIP_1) | instid1(VALU_DEP_1)
	s_or_b32 exec_lo, exec_lo, s3
	v_add_co_u32 v20, s2, 0xa00, v88
	v_add_co_ci_u32_e64 v21, s2, 0, v89, s2
	s_mov_b32 s3, exec_lo
	flat_load_u16 v24, v[20:21] offset:8
	v_mov_b32_e32 v176, 0
	v_mov_b32_e32 v177, 0
	s_waitcnt vmcnt(0) lgkmcnt(0)
	v_and_b32_e32 v25, 0xff, v24
	s_delay_alu instid0(VALU_DEP_2) | instskip(SKIP_1) | instid1(VALU_DEP_3)
	v_dual_mov_b32 v179, v177 :: v_dual_and_b32 v24, 0xffff, v24
	v_mov_b32_e32 v178, v176
	v_cmpx_ne_u16_e32 0, v25
	s_cbranch_execz .LBB251_690
; %bb.683:                              ;   in Loop: Header=BB251_10 Depth=1
	v_bfrev_b32_e32 v178, 1
	v_and_b32_e32 v25, 0xff, v24
	v_mov_b32_e32 v179, 0
	s_mov_b32 s18, exec_lo
	s_delay_alu instid0(VALU_DEP_2)
	v_cmpx_ne_u16_e32 0x80, v25
	s_cbranch_execz .LBB251_689
; %bb.684:                              ;   in Loop: Header=BB251_10 Depth=1
	v_mov_b32_e32 v178, 0x7f800001
	v_dual_mov_b32 v179, 0 :: v_dual_and_b32 v180, 0x7f, v24
	s_mov_b32 s23, exec_lo
	s_delay_alu instid0(VALU_DEP_1)
	v_cmpx_ne_u32_e32 0x7f, v180
	s_cbranch_execz .LBB251_688
; %bb.685:                              ;   in Loop: Header=BB251_10 Depth=1
	v_and_b32_e32 v78, 7, v24
	v_lshrrev_b32_e32 v25, 3, v180
	s_mov_b32 s24, exec_lo
	v_cmpx_gt_u32_e32 8, v180
; %bb.686:                              ;   in Loop: Header=BB251_10 Depth=1
	s_delay_alu instid0(VALU_DEP_3) | instskip(NEXT) | instid1(VALU_DEP_1)
	v_clz_i32_u32_e32 v25, v78
	v_min_u32_e32 v25, 32, v25
	s_delay_alu instid0(VALU_DEP_1) | instskip(SKIP_1) | instid1(VALU_DEP_2)
	v_subrev_nc_u32_e32 v178, 28, v25
	v_sub_nc_u32_e32 v25, 29, v25
	v_lshlrev_b64 v[178:179], v178, v[78:79]
	s_delay_alu instid0(VALU_DEP_1)
	v_and_b32_e32 v78, 7, v178
; %bb.687:                              ;   in Loop: Header=BB251_10 Depth=1
	s_or_b32 exec_lo, exec_lo, s24
	v_lshlrev_b32_e32 v178, 24, v24
	s_delay_alu instid0(VALU_DEP_2) | instskip(SKIP_1) | instid1(VALU_DEP_3)
	v_lshlrev_b32_e32 v179, 20, v78
	v_lshl_add_u32 v25, v25, 23, 0x3c000000
	v_and_b32_e32 v178, 0x80000000, v178
	s_delay_alu instid0(VALU_DEP_1) | instskip(NEXT) | instid1(VALU_DEP_1)
	v_or3_b32 v78, v179, v178, v25
	v_dual_mov_b32 v179, v79 :: v_dual_mov_b32 v178, v78
.LBB251_688:                            ;   in Loop: Header=BB251_10 Depth=1
	s_or_b32 exec_lo, exec_lo, s23
.LBB251_689:                            ;   in Loop: Header=BB251_10 Depth=1
	s_delay_alu instid0(SALU_CYCLE_1)
	s_or_b32 exec_lo, exec_lo, s18
.LBB251_690:                            ;   in Loop: Header=BB251_10 Depth=1
	s_delay_alu instid0(SALU_CYCLE_1) | instskip(SKIP_2) | instid1(VALU_DEP_1)
	s_or_b32 exec_lo, exec_lo, s3
	v_lshrrev_b16 v25, 8, v24
	s_mov_b32 s3, exec_lo
	v_cmpx_ne_u16_e32 0, v25
	s_cbranch_execz .LBB251_698
; %bb.691:                              ;   in Loop: Header=BB251_10 Depth=1
	v_dual_mov_b32 v177, s9 :: v_dual_mov_b32 v176, s8
	s_mov_b32 s23, exec_lo
	v_cmpx_ne_u16_e32 0x80, v25
	s_cbranch_execz .LBB251_697
; %bb.692:                              ;   in Loop: Header=BB251_10 Depth=1
	s_mov_b32 s18, s8
	v_and_b32_e32 v25, 0xffff, v25
	v_dual_mov_b32 v177, s19 :: v_dual_mov_b32 v176, s18
	s_mov_b32 s18, exec_lo
	s_delay_alu instid0(VALU_DEP_2) | instskip(NEXT) | instid1(VALU_DEP_1)
	v_and_b32_e32 v180, 0x7f, v25
	v_cmpx_ne_u32_e32 0x7f, v180
	s_cbranch_execz .LBB251_696
; %bb.693:                              ;   in Loop: Header=BB251_10 Depth=1
	v_and_b32_e32 v78, 7, v25
	v_lshrrev_b32_e32 v25, 3, v180
	s_mov_b32 s24, exec_lo
	v_cmpx_gt_u32_e32 8, v180
; %bb.694:                              ;   in Loop: Header=BB251_10 Depth=1
	s_delay_alu instid0(VALU_DEP_3) | instskip(NEXT) | instid1(VALU_DEP_1)
	v_clz_i32_u32_e32 v25, v78
	v_min_u32_e32 v25, 32, v25
	s_delay_alu instid0(VALU_DEP_1) | instskip(SKIP_1) | instid1(VALU_DEP_2)
	v_subrev_nc_u32_e32 v176, 28, v25
	v_sub_nc_u32_e32 v25, 29, v25
	v_lshlrev_b64 v[176:177], v176, v[78:79]
	s_delay_alu instid0(VALU_DEP_1)
	v_and_b32_e32 v78, 7, v176
; %bb.695:                              ;   in Loop: Header=BB251_10 Depth=1
	s_or_b32 exec_lo, exec_lo, s24
	v_lshlrev_b32_e32 v24, 16, v24
	s_delay_alu instid0(VALU_DEP_2) | instskip(SKIP_1) | instid1(VALU_DEP_3)
	v_lshlrev_b32_e32 v176, 20, v78
	v_lshl_add_u32 v25, v25, 23, 0x3c000000
	v_and_b32_e32 v24, 0x80000000, v24
	s_delay_alu instid0(VALU_DEP_1)
	v_or3_b32 v177, v176, v24, v25
	v_mov_b32_e32 v176, v79
.LBB251_696:                            ;   in Loop: Header=BB251_10 Depth=1
	s_or_b32 exec_lo, exec_lo, s18
.LBB251_697:                            ;   in Loop: Header=BB251_10 Depth=1
	s_delay_alu instid0(SALU_CYCLE_1)
	s_or_b32 exec_lo, exec_lo, s23
.LBB251_698:                            ;   in Loop: Header=BB251_10 Depth=1
	s_delay_alu instid0(SALU_CYCLE_1)
	s_or_b32 exec_lo, exec_lo, s3
	flat_load_u16 v20, v[20:21] offset:12
	v_mov_b32_e32 v180, 0
	v_mov_b32_e32 v181, 0
	s_mov_b32 s3, exec_lo
	s_waitcnt vmcnt(0) lgkmcnt(0)
	v_and_b32_e32 v21, 0xff, v20
	s_delay_alu instid0(VALU_DEP_2) | instskip(SKIP_1) | instid1(VALU_DEP_3)
	v_dual_mov_b32 v183, v181 :: v_dual_and_b32 v20, 0xffff, v20
	v_mov_b32_e32 v182, v180
	v_cmpx_ne_u16_e32 0, v21
	s_cbranch_execz .LBB251_706
; %bb.699:                              ;   in Loop: Header=BB251_10 Depth=1
	v_bfrev_b32_e32 v182, 1
	v_and_b32_e32 v21, 0xff, v20
	v_mov_b32_e32 v183, 0
	s_mov_b32 s18, exec_lo
	s_delay_alu instid0(VALU_DEP_2)
	v_cmpx_ne_u16_e32 0x80, v21
	s_cbranch_execz .LBB251_705
; %bb.700:                              ;   in Loop: Header=BB251_10 Depth=1
	v_mov_b32_e32 v182, 0x7f800001
	v_dual_mov_b32 v183, 0 :: v_dual_and_b32 v24, 0x7f, v20
	s_mov_b32 s23, exec_lo
	s_delay_alu instid0(VALU_DEP_1)
	v_cmpx_ne_u32_e32 0x7f, v24
	s_cbranch_execz .LBB251_704
; %bb.701:                              ;   in Loop: Header=BB251_10 Depth=1
	v_and_b32_e32 v78, 7, v20
	v_lshrrev_b32_e32 v21, 3, v24
	s_mov_b32 s24, exec_lo
	v_cmpx_gt_u32_e32 8, v24
; %bb.702:                              ;   in Loop: Header=BB251_10 Depth=1
	s_delay_alu instid0(VALU_DEP_3) | instskip(NEXT) | instid1(VALU_DEP_1)
	v_clz_i32_u32_e32 v21, v78
	v_min_u32_e32 v21, 32, v21
	s_delay_alu instid0(VALU_DEP_1) | instskip(SKIP_1) | instid1(VALU_DEP_2)
	v_subrev_nc_u32_e32 v24, 28, v21
	v_sub_nc_u32_e32 v21, 29, v21
	v_lshlrev_b64 v[24:25], v24, v[78:79]
	s_delay_alu instid0(VALU_DEP_1)
	v_and_b32_e32 v78, 7, v24
; %bb.703:                              ;   in Loop: Header=BB251_10 Depth=1
	s_or_b32 exec_lo, exec_lo, s24
	v_lshlrev_b32_e32 v24, 24, v20
	s_delay_alu instid0(VALU_DEP_2) | instskip(SKIP_1) | instid1(VALU_DEP_3)
	v_lshlrev_b32_e32 v25, 20, v78
	v_lshl_add_u32 v21, v21, 23, 0x3c000000
	v_and_b32_e32 v24, 0x80000000, v24
	s_delay_alu instid0(VALU_DEP_1) | instskip(NEXT) | instid1(VALU_DEP_1)
	v_or3_b32 v78, v25, v24, v21
	v_dual_mov_b32 v183, v79 :: v_dual_mov_b32 v182, v78
.LBB251_704:                            ;   in Loop: Header=BB251_10 Depth=1
	s_or_b32 exec_lo, exec_lo, s23
.LBB251_705:                            ;   in Loop: Header=BB251_10 Depth=1
	s_delay_alu instid0(SALU_CYCLE_1)
	s_or_b32 exec_lo, exec_lo, s18
.LBB251_706:                            ;   in Loop: Header=BB251_10 Depth=1
	s_delay_alu instid0(SALU_CYCLE_1) | instskip(SKIP_2) | instid1(VALU_DEP_1)
	s_or_b32 exec_lo, exec_lo, s3
	v_lshrrev_b16 v21, 8, v20
	s_mov_b32 s3, exec_lo
	v_cmpx_ne_u16_e32 0, v21
	s_cbranch_execz .LBB251_714
; %bb.707:                              ;   in Loop: Header=BB251_10 Depth=1
	v_dual_mov_b32 v181, s9 :: v_dual_mov_b32 v180, s8
	s_mov_b32 s23, exec_lo
	v_cmpx_ne_u16_e32 0x80, v21
	s_cbranch_execz .LBB251_713
; %bb.708:                              ;   in Loop: Header=BB251_10 Depth=1
	s_mov_b32 s18, s8
	v_and_b32_e32 v21, 0xffff, v21
	v_dual_mov_b32 v181, s19 :: v_dual_mov_b32 v180, s18
	s_mov_b32 s18, exec_lo
	s_delay_alu instid0(VALU_DEP_2) | instskip(NEXT) | instid1(VALU_DEP_1)
	v_and_b32_e32 v24, 0x7f, v21
	v_cmpx_ne_u32_e32 0x7f, v24
	s_cbranch_execz .LBB251_712
; %bb.709:                              ;   in Loop: Header=BB251_10 Depth=1
	v_and_b32_e32 v78, 7, v21
	v_lshrrev_b32_e32 v21, 3, v24
	s_mov_b32 s24, exec_lo
	v_cmpx_gt_u32_e32 8, v24
; %bb.710:                              ;   in Loop: Header=BB251_10 Depth=1
	s_delay_alu instid0(VALU_DEP_3) | instskip(NEXT) | instid1(VALU_DEP_1)
	v_clz_i32_u32_e32 v21, v78
	v_min_u32_e32 v21, 32, v21
	s_delay_alu instid0(VALU_DEP_1) | instskip(SKIP_1) | instid1(VALU_DEP_2)
	v_subrev_nc_u32_e32 v24, 28, v21
	v_sub_nc_u32_e32 v21, 29, v21
	v_lshlrev_b64 v[24:25], v24, v[78:79]
	s_delay_alu instid0(VALU_DEP_1)
	v_and_b32_e32 v78, 7, v24
; %bb.711:                              ;   in Loop: Header=BB251_10 Depth=1
	s_or_b32 exec_lo, exec_lo, s24
	v_lshlrev_b32_e32 v20, 16, v20
	s_delay_alu instid0(VALU_DEP_2) | instskip(SKIP_2) | instid1(VALU_DEP_4)
	v_lshlrev_b32_e32 v24, 20, v78
	v_lshl_add_u32 v21, v21, 23, 0x3c000000
	v_mov_b32_e32 v180, v79
	v_and_b32_e32 v20, 0x80000000, v20
	s_delay_alu instid0(VALU_DEP_1)
	v_or3_b32 v181, v24, v20, v21
.LBB251_712:                            ;   in Loop: Header=BB251_10 Depth=1
	s_or_b32 exec_lo, exec_lo, s18
.LBB251_713:                            ;   in Loop: Header=BB251_10 Depth=1
	s_delay_alu instid0(SALU_CYCLE_1)
	s_or_b32 exec_lo, exec_lo, s23
.LBB251_714:                            ;   in Loop: Header=BB251_10 Depth=1
	s_delay_alu instid0(SALU_CYCLE_1)
	s_or_b32 exec_lo, exec_lo, s3
	flat_load_u16 v20, v[88:89] offset:2816
	v_mov_b32_e32 v40, 0
	v_mov_b32_e32 v41, 0
	s_mov_b32 s3, exec_lo
	s_waitcnt vmcnt(0) lgkmcnt(0)
	v_and_b32_e32 v21, 0xff, v20
	s_delay_alu instid0(VALU_DEP_2) | instskip(SKIP_1) | instid1(VALU_DEP_3)
	v_dual_mov_b32 v43, v41 :: v_dual_and_b32 v20, 0xffff, v20
	v_mov_b32_e32 v42, v40
	v_cmpx_ne_u16_e32 0, v21
	s_cbranch_execz .LBB251_722
; %bb.715:                              ;   in Loop: Header=BB251_10 Depth=1
	v_bfrev_b32_e32 v42, 1
	v_and_b32_e32 v21, 0xff, v20
	v_mov_b32_e32 v43, 0
	s_mov_b32 s18, exec_lo
	s_delay_alu instid0(VALU_DEP_2)
	v_cmpx_ne_u16_e32 0x80, v21
	s_cbranch_execz .LBB251_721
; %bb.716:                              ;   in Loop: Header=BB251_10 Depth=1
	v_mov_b32_e32 v42, 0x7f800001
	v_dual_mov_b32 v43, 0 :: v_dual_and_b32 v24, 0x7f, v20
	s_mov_b32 s23, exec_lo
	s_delay_alu instid0(VALU_DEP_1)
	v_cmpx_ne_u32_e32 0x7f, v24
	s_cbranch_execz .LBB251_720
; %bb.717:                              ;   in Loop: Header=BB251_10 Depth=1
	v_and_b32_e32 v78, 7, v20
	v_lshrrev_b32_e32 v21, 3, v24
	s_mov_b32 s24, exec_lo
	v_cmpx_gt_u32_e32 8, v24
; %bb.718:                              ;   in Loop: Header=BB251_10 Depth=1
	s_delay_alu instid0(VALU_DEP_3) | instskip(NEXT) | instid1(VALU_DEP_1)
	v_clz_i32_u32_e32 v21, v78
	v_min_u32_e32 v21, 32, v21
	s_delay_alu instid0(VALU_DEP_1) | instskip(SKIP_1) | instid1(VALU_DEP_2)
	v_subrev_nc_u32_e32 v24, 28, v21
	v_sub_nc_u32_e32 v21, 29, v21
	v_lshlrev_b64 v[24:25], v24, v[78:79]
	s_delay_alu instid0(VALU_DEP_1)
	v_and_b32_e32 v78, 7, v24
; %bb.719:                              ;   in Loop: Header=BB251_10 Depth=1
	s_or_b32 exec_lo, exec_lo, s24
	v_lshlrev_b32_e32 v24, 24, v20
	s_delay_alu instid0(VALU_DEP_2) | instskip(SKIP_1) | instid1(VALU_DEP_3)
	v_lshlrev_b32_e32 v25, 20, v78
	v_lshl_add_u32 v21, v21, 23, 0x3c000000
	v_and_b32_e32 v24, 0x80000000, v24
	s_delay_alu instid0(VALU_DEP_1) | instskip(NEXT) | instid1(VALU_DEP_1)
	v_or3_b32 v78, v25, v24, v21
	v_dual_mov_b32 v42, v78 :: v_dual_mov_b32 v43, v79
.LBB251_720:                            ;   in Loop: Header=BB251_10 Depth=1
	s_or_b32 exec_lo, exec_lo, s23
.LBB251_721:                            ;   in Loop: Header=BB251_10 Depth=1
	s_delay_alu instid0(SALU_CYCLE_1)
	s_or_b32 exec_lo, exec_lo, s18
.LBB251_722:                            ;   in Loop: Header=BB251_10 Depth=1
	s_delay_alu instid0(SALU_CYCLE_1) | instskip(SKIP_2) | instid1(VALU_DEP_1)
	s_or_b32 exec_lo, exec_lo, s3
	v_lshrrev_b16 v21, 8, v20
	s_mov_b32 s3, exec_lo
	v_cmpx_ne_u16_e32 0, v21
	s_cbranch_execz .LBB251_730
; %bb.723:                              ;   in Loop: Header=BB251_10 Depth=1
	v_dual_mov_b32 v41, s9 :: v_dual_mov_b32 v40, s8
	s_mov_b32 s23, exec_lo
	v_cmpx_ne_u16_e32 0x80, v21
	s_cbranch_execz .LBB251_729
; %bb.724:                              ;   in Loop: Header=BB251_10 Depth=1
	s_mov_b32 s18, s8
	v_and_b32_e32 v21, 0xffff, v21
	v_dual_mov_b32 v41, s19 :: v_dual_mov_b32 v40, s18
	s_mov_b32 s18, exec_lo
	s_delay_alu instid0(VALU_DEP_2) | instskip(NEXT) | instid1(VALU_DEP_1)
	v_and_b32_e32 v24, 0x7f, v21
	v_cmpx_ne_u32_e32 0x7f, v24
	s_cbranch_execz .LBB251_728
; %bb.725:                              ;   in Loop: Header=BB251_10 Depth=1
	v_and_b32_e32 v78, 7, v21
	v_lshrrev_b32_e32 v21, 3, v24
	s_mov_b32 s24, exec_lo
	v_cmpx_gt_u32_e32 8, v24
; %bb.726:                              ;   in Loop: Header=BB251_10 Depth=1
	s_delay_alu instid0(VALU_DEP_3) | instskip(NEXT) | instid1(VALU_DEP_1)
	v_clz_i32_u32_e32 v21, v78
	v_min_u32_e32 v21, 32, v21
	s_delay_alu instid0(VALU_DEP_1) | instskip(SKIP_1) | instid1(VALU_DEP_2)
	v_subrev_nc_u32_e32 v24, 28, v21
	v_sub_nc_u32_e32 v21, 29, v21
	v_lshlrev_b64 v[24:25], v24, v[78:79]
	s_delay_alu instid0(VALU_DEP_1)
	v_and_b32_e32 v78, 7, v24
; %bb.727:                              ;   in Loop: Header=BB251_10 Depth=1
	s_or_b32 exec_lo, exec_lo, s24
	v_lshlrev_b32_e32 v20, 16, v20
	s_delay_alu instid0(VALU_DEP_2) | instskip(SKIP_2) | instid1(VALU_DEP_4)
	v_lshlrev_b32_e32 v24, 20, v78
	v_lshl_add_u32 v21, v21, 23, 0x3c000000
	v_mov_b32_e32 v40, v79
	v_and_b32_e32 v20, 0x80000000, v20
	s_delay_alu instid0(VALU_DEP_1)
	v_or3_b32 v41, v24, v20, v21
.LBB251_728:                            ;   in Loop: Header=BB251_10 Depth=1
	s_or_b32 exec_lo, exec_lo, s18
.LBB251_729:                            ;   in Loop: Header=BB251_10 Depth=1
	s_delay_alu instid0(SALU_CYCLE_1)
	s_or_b32 exec_lo, exec_lo, s23
.LBB251_730:                            ;   in Loop: Header=BB251_10 Depth=1
	s_delay_alu instid0(SALU_CYCLE_1)
	s_or_b32 exec_lo, exec_lo, s3
	flat_load_u16 v24, v[88:89] offset:2820
	v_mov_b32_e32 v20, 0
	s_waitcnt vmcnt(0) lgkmcnt(0)
	v_dual_mov_b32 v21, 0 :: v_dual_and_b32 v46, 0xffff, v24
	v_and_b32_e32 v25, 0xff, v24
	s_delay_alu instid0(VALU_DEP_1) | instskip(NEXT) | instid1(VALU_DEP_3)
	v_cmp_ne_u16_e64 s2, 0, v25
	v_dual_mov_b32 v25, v21 :: v_dual_mov_b32 v24, v20
	s_delay_alu instid0(VALU_DEP_2)
	s_and_saveexec_b32 s3, s2
	s_cbranch_execz .LBB251_738
; %bb.731:                              ;   in Loop: Header=BB251_10 Depth=1
	v_and_b32_e32 v24, 0xff, v46
	s_delay_alu instid0(VALU_DEP_1) | instskip(SKIP_2) | instid1(VALU_DEP_3)
	v_cmp_ne_u16_e64 s2, 0x80, v24
	v_bfrev_b32_e32 v24, 1
	v_mov_b32_e32 v25, 0
	s_and_saveexec_b32 s18, s2
	s_cbranch_execz .LBB251_737
; %bb.732:                              ;   in Loop: Header=BB251_10 Depth=1
	v_mov_b32_e32 v24, 0x7f800001
	v_and_b32_e32 v47, 0x7f, v46
	v_mov_b32_e32 v25, 0
	s_mov_b32 s23, exec_lo
	s_delay_alu instid0(VALU_DEP_2)
	v_cmpx_ne_u32_e32 0x7f, v47
	s_cbranch_execz .LBB251_736
; %bb.733:                              ;   in Loop: Header=BB251_10 Depth=1
	v_and_b32_e32 v78, 7, v46
	v_lshrrev_b32_e32 v24, 3, v47
	s_mov_b32 s24, exec_lo
	v_cmpx_gt_u32_e32 8, v47
; %bb.734:                              ;   in Loop: Header=BB251_10 Depth=1
	s_delay_alu instid0(VALU_DEP_3) | instskip(NEXT) | instid1(VALU_DEP_1)
	v_clz_i32_u32_e32 v24, v78
	v_min_u32_e32 v24, 32, v24
	s_delay_alu instid0(VALU_DEP_1) | instskip(SKIP_1) | instid1(VALU_DEP_2)
	v_subrev_nc_u32_e32 v25, 28, v24
	v_sub_nc_u32_e32 v24, 29, v24
	v_lshlrev_b64 v[62:63], v25, v[78:79]
	s_delay_alu instid0(VALU_DEP_1)
	v_and_b32_e32 v78, 7, v62
; %bb.735:                              ;   in Loop: Header=BB251_10 Depth=1
	s_or_b32 exec_lo, exec_lo, s24
	v_lshlrev_b32_e32 v25, 24, v46
	s_delay_alu instid0(VALU_DEP_2) | instskip(SKIP_1) | instid1(VALU_DEP_3)
	v_lshlrev_b32_e32 v47, 20, v78
	v_lshl_add_u32 v24, v24, 23, 0x3c000000
	v_and_b32_e32 v25, 0x80000000, v25
	s_delay_alu instid0(VALU_DEP_1) | instskip(NEXT) | instid1(VALU_DEP_1)
	v_or3_b32 v78, v47, v25, v24
	v_dual_mov_b32 v24, v78 :: v_dual_mov_b32 v25, v79
.LBB251_736:                            ;   in Loop: Header=BB251_10 Depth=1
	s_or_b32 exec_lo, exec_lo, s23
.LBB251_737:                            ;   in Loop: Header=BB251_10 Depth=1
	s_delay_alu instid0(SALU_CYCLE_1)
	s_or_b32 exec_lo, exec_lo, s18
.LBB251_738:                            ;   in Loop: Header=BB251_10 Depth=1
	s_delay_alu instid0(SALU_CYCLE_1) | instskip(SKIP_2) | instid1(VALU_DEP_1)
	s_or_b32 exec_lo, exec_lo, s3
	v_lshrrev_b16 v47, 8, v46
	s_mov_b32 s3, exec_lo
	v_cmpx_ne_u16_e32 0, v47
	s_cbranch_execz .LBB251_746
; %bb.739:                              ;   in Loop: Header=BB251_10 Depth=1
	v_dual_mov_b32 v21, s9 :: v_dual_mov_b32 v20, s8
	s_mov_b32 s23, exec_lo
	v_cmpx_ne_u16_e32 0x80, v47
	s_cbranch_execz .LBB251_745
; %bb.740:                              ;   in Loop: Header=BB251_10 Depth=1
	s_mov_b32 s18, s8
	v_dual_mov_b32 v21, s19 :: v_dual_and_b32 v62, 0xffff, v47
	v_mov_b32_e32 v20, s18
	s_mov_b32 s18, exec_lo
	s_delay_alu instid0(VALU_DEP_2) | instskip(NEXT) | instid1(VALU_DEP_1)
	v_and_b32_e32 v47, 0x7f, v62
	v_cmpx_ne_u32_e32 0x7f, v47
	s_cbranch_execz .LBB251_744
; %bb.741:                              ;   in Loop: Header=BB251_10 Depth=1
	v_and_b32_e32 v78, 7, v62
	v_lshrrev_b32_e32 v20, 3, v47
	s_mov_b32 s24, exec_lo
	v_cmpx_gt_u32_e32 8, v47
; %bb.742:                              ;   in Loop: Header=BB251_10 Depth=1
	s_delay_alu instid0(VALU_DEP_3) | instskip(NEXT) | instid1(VALU_DEP_1)
	v_clz_i32_u32_e32 v20, v78
	v_min_u32_e32 v20, 32, v20
	s_delay_alu instid0(VALU_DEP_1) | instskip(SKIP_1) | instid1(VALU_DEP_2)
	v_subrev_nc_u32_e32 v21, 28, v20
	v_sub_nc_u32_e32 v20, 29, v20
	v_lshlrev_b64 v[62:63], v21, v[78:79]
	s_delay_alu instid0(VALU_DEP_1)
	v_and_b32_e32 v78, 7, v62
; %bb.743:                              ;   in Loop: Header=BB251_10 Depth=1
	s_or_b32 exec_lo, exec_lo, s24
	v_lshlrev_b32_e32 v21, 16, v46
	s_delay_alu instid0(VALU_DEP_2) | instskip(SKIP_1) | instid1(VALU_DEP_3)
	v_lshlrev_b32_e32 v46, 20, v78
	v_lshl_add_u32 v20, v20, 23, 0x3c000000
	v_and_b32_e32 v21, 0x80000000, v21
	s_delay_alu instid0(VALU_DEP_1)
	v_or3_b32 v21, v46, v21, v20
	v_mov_b32_e32 v20, v79
.LBB251_744:                            ;   in Loop: Header=BB251_10 Depth=1
	s_or_b32 exec_lo, exec_lo, s18
.LBB251_745:                            ;   in Loop: Header=BB251_10 Depth=1
	s_delay_alu instid0(SALU_CYCLE_1)
	s_or_b32 exec_lo, exec_lo, s23
.LBB251_746:                            ;   in Loop: Header=BB251_10 Depth=1
	s_delay_alu instid0(SALU_CYCLE_1) | instskip(SKIP_1) | instid1(VALU_DEP_1)
	s_or_b32 exec_lo, exec_lo, s3
	v_add_co_u32 v62, s2, 0xb00, v88
	v_add_co_ci_u32_e64 v63, s2, 0, v89, s2
	flat_load_u16 v46, v[62:63] offset:8
	v_mov_b32_e32 v74, 0
	s_waitcnt vmcnt(0) lgkmcnt(0)
	v_dual_mov_b32 v75, 0 :: v_dual_and_b32 v88, 0xffff, v46
	v_and_b32_e32 v47, 0xff, v46
	s_delay_alu instid0(VALU_DEP_1) | instskip(NEXT) | instid1(VALU_DEP_3)
	v_cmp_ne_u16_e64 s2, 0, v47
	v_dual_mov_b32 v46, v74 :: v_dual_mov_b32 v47, v75
	s_delay_alu instid0(VALU_DEP_2)
	s_and_saveexec_b32 s3, s2
	s_cbranch_execz .LBB251_754
; %bb.747:                              ;   in Loop: Header=BB251_10 Depth=1
	v_and_b32_e32 v46, 0xff, v88
	s_delay_alu instid0(VALU_DEP_1) | instskip(SKIP_2) | instid1(VALU_DEP_3)
	v_cmp_ne_u16_e64 s2, 0x80, v46
	v_bfrev_b32_e32 v46, 1
	v_mov_b32_e32 v47, 0
	s_and_saveexec_b32 s18, s2
	s_cbranch_execz .LBB251_753
; %bb.748:                              ;   in Loop: Header=BB251_10 Depth=1
	v_mov_b32_e32 v46, 0x7f800001
	v_and_b32_e32 v89, 0x7f, v88
	v_mov_b32_e32 v47, 0
	s_mov_b32 s23, exec_lo
	s_delay_alu instid0(VALU_DEP_2)
	v_cmpx_ne_u32_e32 0x7f, v89
	s_cbranch_execz .LBB251_752
; %bb.749:                              ;   in Loop: Header=BB251_10 Depth=1
	v_and_b32_e32 v78, 7, v88
	v_lshrrev_b32_e32 v46, 3, v89
	s_mov_b32 s24, exec_lo
	v_cmpx_gt_u32_e32 8, v89
; %bb.750:                              ;   in Loop: Header=BB251_10 Depth=1
	s_delay_alu instid0(VALU_DEP_3) | instskip(NEXT) | instid1(VALU_DEP_1)
	v_clz_i32_u32_e32 v46, v78
	v_min_u32_e32 v46, 32, v46
	s_delay_alu instid0(VALU_DEP_1) | instskip(SKIP_1) | instid1(VALU_DEP_2)
	v_subrev_nc_u32_e32 v47, 28, v46
	v_sub_nc_u32_e32 v46, 29, v46
	v_lshlrev_b64 v[108:109], v47, v[78:79]
	s_clause 0x1
	scratch_load_b32 v109, off, s32 offset:804
	scratch_load_b32 v22, off, s32 offset:800
	v_and_b32_e32 v78, 7, v108
; %bb.751:                              ;   in Loop: Header=BB251_10 Depth=1
	s_or_b32 exec_lo, exec_lo, s24
	v_lshlrev_b32_e32 v47, 24, v88
	s_delay_alu instid0(VALU_DEP_2) | instskip(SKIP_1) | instid1(VALU_DEP_3)
	v_lshlrev_b32_e32 v78, 20, v78
	v_lshl_add_u32 v46, v46, 23, 0x3c000000
	v_and_b32_e32 v47, 0x80000000, v47
	s_delay_alu instid0(VALU_DEP_1) | instskip(NEXT) | instid1(VALU_DEP_1)
	v_or3_b32 v78, v78, v47, v46
	v_dual_mov_b32 v46, v78 :: v_dual_mov_b32 v47, v79
.LBB251_752:                            ;   in Loop: Header=BB251_10 Depth=1
	s_or_b32 exec_lo, exec_lo, s23
.LBB251_753:                            ;   in Loop: Header=BB251_10 Depth=1
	s_delay_alu instid0(SALU_CYCLE_1)
	s_or_b32 exec_lo, exec_lo, s18
.LBB251_754:                            ;   in Loop: Header=BB251_10 Depth=1
	s_delay_alu instid0(SALU_CYCLE_1) | instskip(SKIP_2) | instid1(VALU_DEP_1)
	s_or_b32 exec_lo, exec_lo, s3
	v_lshrrev_b16 v78, 8, v88
	s_mov_b32 s3, exec_lo
	v_cmpx_ne_u16_e32 0, v78
	s_cbranch_execz .LBB251_762
; %bb.755:                              ;   in Loop: Header=BB251_10 Depth=1
	v_dual_mov_b32 v75, s9 :: v_dual_mov_b32 v74, s8
	s_mov_b32 s23, exec_lo
	v_cmpx_ne_u16_e32 0x80, v78
	s_cbranch_execz .LBB251_761
; %bb.756:                              ;   in Loop: Header=BB251_10 Depth=1
	s_mov_b32 s18, s8
	v_dual_mov_b32 v75, s19 :: v_dual_and_b32 v78, 0xffff, v78
	v_mov_b32_e32 v74, s18
	s_mov_b32 s18, exec_lo
	s_delay_alu instid0(VALU_DEP_2) | instskip(NEXT) | instid1(VALU_DEP_1)
	v_and_b32_e32 v89, 0x7f, v78
	v_cmpx_ne_u32_e32 0x7f, v89
	s_cbranch_execz .LBB251_760
; %bb.757:                              ;   in Loop: Header=BB251_10 Depth=1
	v_and_b32_e32 v78, 7, v78
	v_lshrrev_b32_e32 v74, 3, v89
	s_mov_b32 s24, exec_lo
	v_cmpx_gt_u32_e32 8, v89
	s_cbranch_execz .LBB251_759
; %bb.758:                              ;   in Loop: Header=BB251_10 Depth=1
	v_clz_i32_u32_e32 v74, v78
	s_delay_alu instid0(VALU_DEP_1) | instskip(NEXT) | instid1(VALU_DEP_1)
	v_min_u32_e32 v74, 32, v74
	v_subrev_nc_u32_e32 v75, 28, v74
	v_sub_nc_u32_e32 v74, 29, v74
	s_waitcnt vmcnt(1)
	s_delay_alu instid0(VALU_DEP_2)
	v_lshlrev_b64 v[108:109], v75, v[78:79]
	s_clause 0x1
	scratch_load_b32 v109, off, s32 offset:804
	scratch_load_b32 v22, off, s32 offset:800
	v_and_b32_e32 v78, 7, v108
.LBB251_759:                            ;   in Loop: Header=BB251_10 Depth=1
	s_or_b32 exec_lo, exec_lo, s24
	v_lshlrev_b32_e32 v75, 16, v88
	s_delay_alu instid0(VALU_DEP_2) | instskip(SKIP_1) | instid1(VALU_DEP_3)
	v_lshlrev_b32_e32 v78, 20, v78
	v_lshl_add_u32 v74, v74, 23, 0x3c000000
	v_and_b32_e32 v75, 0x80000000, v75
	s_delay_alu instid0(VALU_DEP_1)
	v_or3_b32 v75, v78, v75, v74
	v_mov_b32_e32 v74, v79
.LBB251_760:                            ;   in Loop: Header=BB251_10 Depth=1
	s_or_b32 exec_lo, exec_lo, s18
.LBB251_761:                            ;   in Loop: Header=BB251_10 Depth=1
	s_delay_alu instid0(SALU_CYCLE_1)
	s_or_b32 exec_lo, exec_lo, s23
.LBB251_762:                            ;   in Loop: Header=BB251_10 Depth=1
	s_delay_alu instid0(SALU_CYCLE_1)
	s_or_b32 exec_lo, exec_lo, s3
	flat_load_u16 v62, v[62:63] offset:12
	v_mov_b32_e32 v88, 0
	v_mov_b32_e32 v89, 0
	s_waitcnt vmcnt(0) lgkmcnt(0)
	v_and_b32_e32 v63, 0xff, v62
	v_and_b32_e32 v105, 0xffff, v62
	s_delay_alu instid0(VALU_DEP_2) | instskip(SKIP_1) | instid1(VALU_DEP_2)
	v_cmp_ne_u16_e64 s2, 0, v63
	v_dual_mov_b32 v62, v88 :: v_dual_mov_b32 v63, v89
	s_and_saveexec_b32 s3, s2
	s_cbranch_execz .LBB251_770
; %bb.763:                              ;   in Loop: Header=BB251_10 Depth=1
	v_and_b32_e32 v62, 0xff, v105
	s_delay_alu instid0(VALU_DEP_1) | instskip(SKIP_2) | instid1(VALU_DEP_3)
	v_cmp_ne_u16_e64 s2, 0x80, v62
	v_bfrev_b32_e32 v62, 1
	v_mov_b32_e32 v63, 0
	s_and_saveexec_b32 s18, s2
	s_cbranch_execz .LBB251_769
; %bb.764:                              ;   in Loop: Header=BB251_10 Depth=1
	v_mov_b32_e32 v62, 0x7f800001
	v_dual_mov_b32 v63, 0 :: v_dual_and_b32 v108, 0x7f, v105
	s_mov_b32 s23, exec_lo
	s_delay_alu instid0(VALU_DEP_1)
	v_cmpx_ne_u32_e32 0x7f, v108
	s_cbranch_execz .LBB251_768
; %bb.765:                              ;   in Loop: Header=BB251_10 Depth=1
	v_and_b32_e32 v78, 7, v105
	v_lshrrev_b32_e32 v62, 3, v108
	s_mov_b32 s24, exec_lo
	v_cmpx_gt_u32_e32 8, v108
; %bb.766:                              ;   in Loop: Header=BB251_10 Depth=1
	s_delay_alu instid0(VALU_DEP_3) | instskip(NEXT) | instid1(VALU_DEP_1)
	v_clz_i32_u32_e32 v62, v78
	v_min_u32_e32 v62, 32, v62
	s_delay_alu instid0(VALU_DEP_1) | instskip(SKIP_1) | instid1(VALU_DEP_2)
	v_subrev_nc_u32_e32 v63, 28, v62
	v_sub_nc_u32_e32 v62, 29, v62
	v_lshlrev_b64 v[108:109], v63, v[78:79]
	s_clause 0x1
	scratch_load_b32 v109, off, s32 offset:804
	scratch_load_b32 v22, off, s32 offset:800
	v_and_b32_e32 v78, 7, v108
; %bb.767:                              ;   in Loop: Header=BB251_10 Depth=1
	s_or_b32 exec_lo, exec_lo, s24
	v_lshlrev_b32_e32 v63, 24, v105
	s_delay_alu instid0(VALU_DEP_2) | instskip(SKIP_1) | instid1(VALU_DEP_3)
	v_lshlrev_b32_e32 v78, 20, v78
	v_lshl_add_u32 v62, v62, 23, 0x3c000000
	v_and_b32_e32 v63, 0x80000000, v63
	s_delay_alu instid0(VALU_DEP_1) | instskip(NEXT) | instid1(VALU_DEP_1)
	v_or3_b32 v78, v78, v63, v62
	v_dual_mov_b32 v62, v78 :: v_dual_mov_b32 v63, v79
.LBB251_768:                            ;   in Loop: Header=BB251_10 Depth=1
	s_or_b32 exec_lo, exec_lo, s23
.LBB251_769:                            ;   in Loop: Header=BB251_10 Depth=1
	s_delay_alu instid0(SALU_CYCLE_1)
	s_or_b32 exec_lo, exec_lo, s18
.LBB251_770:                            ;   in Loop: Header=BB251_10 Depth=1
	s_delay_alu instid0(SALU_CYCLE_1) | instskip(SKIP_2) | instid1(VALU_DEP_1)
	s_or_b32 exec_lo, exec_lo, s3
	v_lshrrev_b16 v78, 8, v105
	s_mov_b32 s3, exec_lo
	v_cmpx_ne_u16_e32 0, v78
	s_cbranch_execz .LBB251_778
; %bb.771:                              ;   in Loop: Header=BB251_10 Depth=1
	v_dual_mov_b32 v89, s9 :: v_dual_mov_b32 v88, s8
	s_mov_b32 s23, exec_lo
	v_cmpx_ne_u16_e32 0x80, v78
	s_cbranch_execz .LBB251_777
; %bb.772:                              ;   in Loop: Header=BB251_10 Depth=1
	s_mov_b32 s18, s8
	v_dual_mov_b32 v89, s19 :: v_dual_and_b32 v78, 0xffff, v78
	v_mov_b32_e32 v88, s18
	s_mov_b32 s18, exec_lo
	s_delay_alu instid0(VALU_DEP_2) | instskip(NEXT) | instid1(VALU_DEP_1)
	v_and_b32_e32 v108, 0x7f, v78
	v_cmpx_ne_u32_e32 0x7f, v108
	s_cbranch_execz .LBB251_776
; %bb.773:                              ;   in Loop: Header=BB251_10 Depth=1
	v_and_b32_e32 v78, 7, v78
	v_lshrrev_b32_e32 v88, 3, v108
	s_mov_b32 s24, exec_lo
	v_cmpx_gt_u32_e32 8, v108
	s_cbranch_execz .LBB251_775
; %bb.774:                              ;   in Loop: Header=BB251_10 Depth=1
	v_clz_i32_u32_e32 v88, v78
	s_delay_alu instid0(VALU_DEP_1) | instskip(NEXT) | instid1(VALU_DEP_1)
	v_min_u32_e32 v88, 32, v88
	v_subrev_nc_u32_e32 v89, 28, v88
	v_sub_nc_u32_e32 v88, 29, v88
	s_waitcnt vmcnt(1)
	s_delay_alu instid0(VALU_DEP_2)
	v_lshlrev_b64 v[108:109], v89, v[78:79]
	s_clause 0x1
	scratch_load_b32 v109, off, s32 offset:804
	scratch_load_b32 v22, off, s32 offset:800
	v_and_b32_e32 v78, 7, v108
.LBB251_775:                            ;   in Loop: Header=BB251_10 Depth=1
	s_or_b32 exec_lo, exec_lo, s24
	v_lshlrev_b32_e32 v89, 16, v105
	s_delay_alu instid0(VALU_DEP_2) | instskip(SKIP_1) | instid1(VALU_DEP_3)
	v_lshlrev_b32_e32 v78, 20, v78
	v_lshl_add_u32 v88, v88, 23, 0x3c000000
	v_and_b32_e32 v89, 0x80000000, v89
	s_delay_alu instid0(VALU_DEP_1)
	v_or3_b32 v89, v78, v89, v88
	v_mov_b32_e32 v88, v79
.LBB251_776:                            ;   in Loop: Header=BB251_10 Depth=1
	s_or_b32 exec_lo, exec_lo, s18
.LBB251_777:                            ;   in Loop: Header=BB251_10 Depth=1
	s_delay_alu instid0(SALU_CYCLE_1)
	s_or_b32 exec_lo, exec_lo, s23
.LBB251_778:                            ;   in Loop: Header=BB251_10 Depth=1
	s_delay_alu instid0(SALU_CYCLE_1)
	s_or_b32 exec_lo, exec_lo, s3
	v_or_b32_e32 v97, v97, v99
	v_or_b32_e32 v96, v96, v98
	;; [unrolled: 1-line block ×12, first 2 shown]
	s_clause 0x3
	scratch_load_b64 v[82:83], off, s32 offset:368
	scratch_load_b64 v[98:99], off, s32 offset:360
	;; [unrolled: 1-line block ×4, first 2 shown]
	v_or_b32_e32 v65, v65, v67
	v_or_b32_e32 v64, v64, v66
	v_or_b32_e32 v46, v74, v46
	v_or_b32_e32 v69, v69, v71
	v_or_b32_e32 v68, v68, v70
	v_or_b32_e32 v70, v85, v87
	v_or_b32_e32 v71, v84, v86
	v_or_b32_e32 v84, v101, v103
	v_or_b32_e32 v85, v100, v102
	v_or_b32_e32 v86, v113, v115
	v_or_b32_e32 v87, v112, v114
	v_or_b32_e32 v100, v117, v119
	v_or_b32_e32 v101, v116, v118
	v_or_b32_e32 v114, v145, v147
	v_or_b32_e32 v115, v144, v146
	v_or_b32_e32 v116, v149, v151
	v_or_b32_e32 v117, v148, v150
	v_or_b32_e32 v11, v187, v189
	v_or_b32_e32 v52, v52, v54
	v_or_b32_e32 v54, v123, v125
	v_mul_f32_e32 v4, v104, v4
	v_or_b32_e32 v48, v48, v50
	v_mul_f32_e32 v11, v104, v11
	v_or_b32_e32 v50, v127, v137
	v_mul_f32_e32 v54, v104, v54
	v_mul_f32_e32 v5, v104, v5
	v_or_b32_e32 v53, v53, v55
	v_or_b32_e32 v36, v36, v38
	v_mul_f32_e32 v50, v104, v50
	v_or_b32_e32 v38, v139, v141
	v_or_b32_e32 v55, v122, v124
	;; [unrolled: 3-line block ×3, first 2 shown]
	v_mul_f32_e32 v38, v104, v38
	v_mul_f32_e32 v55, v104, v55
	v_or_b32_e32 v49, v49, v51
	v_or_b32_e32 v51, v126, v136
	v_mul_f32_e32 v34, v104, v34
	v_or_b32_e32 v37, v37, v39
	v_or_b32_e32 v28, v28, v30
	;; [unrolled: 1-line block ×4, first 2 shown]
	v_mul_f32_e32 v51, v104, v51
	v_or_b32_e32 v7, v7, v9
	v_or_b32_e32 v9, v26, v120
	v_or_b32_e32 v26, v159, v169
	v_mul_f32_e32 v39, v104, v39
	v_mul_f32_e32 v30, v104, v30
	v_or_b32_e32 v33, v33, v35
	v_or_b32_e32 v35, v142, v152
	v_mul_f32_e32 v26, v104, v26
	v_or_b32_e32 v29, v29, v31
	v_or_b32_e32 v16, v16, v18
	;; [unrolled: 1-line block ×4, first 2 shown]
	v_mul_f32_e32 v35, v104, v35
	v_mul_f32_e32 v2, v104, v2
	v_or_b32_e32 v6, v6, v8
	v_mul_f32_e32 v18, v104, v18
	v_mul_f32_e32 v31, v104, v31
	v_or_b32_e32 v8, v27, v121
	v_or_b32_e32 v27, v158, v168
	;; [unrolled: 1-line block ×6, first 2 shown]
	v_mul_f32_e32 v27, v104, v27
	v_mul_f32_e32 v23, v104, v23
	v_or_b32_e32 v19, v174, v184
	v_or_b32_e32 v12, v186, v188
	v_mul_f32_e32 v3, v104, v3
	v_or_b32_e32 v21, v21, v25
	v_or_b32_e32 v25, v88, v62
	v_mul_f32_e32 v19, v104, v19
	v_mul_f32_e32 v12, v104, v12
	v_or_b32_e32 v103, v128, v130
	v_or_b32_e32 v102, v129, v131
	;; [unrolled: 1-line block ×16, first 2 shown]
	scratch_load_b128 v[146:149], off, s32 offset:400 ; 16-byte Folded Reload
	s_waitcnt vmcnt(4)
	v_or_b32_e32 v66, v111, v83
	v_or_b32_e32 v67, v110, v82
	s_waitcnt vmcnt(3)
	v_or_b32_e32 v82, v107, v99
	v_or_b32_e32 v83, v106, v98
	;; [unrolled: 3-line block ×4, first 2 shown]
	scratch_load_b64 v[90:91], off, s32 offset:336 ; 8-byte Folded Reload
	v_mul_f32_e32 v98, v104, v98
	v_mul_f32_e32 v82, v104, v82
	v_mul_f32_e32 v66, v104, v66
	v_mul_f32_e32 v99, v104, v99
	v_mul_f32_e32 v67, v104, v67
	v_mul_f32_e32 v83, v104, v83
	s_waitcnt vmcnt(0)
	v_or_b32_e32 v56, v77, v91
	v_or_b32_e32 v57, v76, v90
	scratch_load_b64 v[76:77], off, s32 offset:328 ; 8-byte Folded Reload
	s_waitcnt vmcnt(0)
	v_or_b32_e32 v74, v72, v76
	v_or_b32_e32 v72, v73, v77
	scratch_load_b64 v[76:77], off, s32 offset:320 ; 8-byte Folded Reload
	v_mul_f32_e32 v144, v104, v74
	s_delay_alu instid0(VALU_DEP_1) | instskip(SKIP_3) | instid1(VALU_DEP_2)
	v_mul_f32_e32 v144, v148, v144
	s_waitcnt vmcnt(0)
	v_or_b32_e32 v60, v60, v76
	v_or_b32_e32 v61, v61, v77
	v_mul_f32_e32 v145, v104, v60
	s_delay_alu instid0(VALU_DEP_1) | instskip(NEXT) | instid1(VALU_DEP_3)
	v_dual_fmac_f32 v144, v146, v145 :: v_dual_mul_f32 v145, v104, v72
	v_mul_f32_e32 v146, v104, v61
	s_delay_alu instid0(VALU_DEP_2) | instskip(NEXT) | instid1(VALU_DEP_1)
	v_mul_f32_e32 v145, v149, v145
	v_fmac_f32_e32 v145, v147, v146
	scratch_load_b128 v[147:150], off, s32 offset:416 ; 16-byte Folded Reload
	v_mul_f32_e32 v146, v104, v57
	s_waitcnt vmcnt(0)
	s_delay_alu instid0(VALU_DEP_1) | instskip(SKIP_1) | instid1(VALU_DEP_1)
	v_fmac_f32_e32 v144, v147, v146
	v_mul_f32_e32 v146, v104, v56
	v_fmac_f32_e32 v145, v148, v146
	v_mul_f32_e32 v146, v104, v45
	s_delay_alu instid0(VALU_DEP_1) | instskip(SKIP_1) | instid1(VALU_DEP_1)
	v_fmac_f32_e32 v144, v149, v146
	v_mul_f32_e32 v146, v104, v44
	v_fmac_f32_e32 v145, v150, v146
	scratch_load_b128 v[146:149], off, s32 offset:432 ; 16-byte Folded Reload
	s_waitcnt vmcnt(0)
	v_fmac_f32_e32 v144, v146, v99
	s_delay_alu instid0(VALU_DEP_1) | instskip(NEXT) | instid1(VALU_DEP_1)
	v_dual_fmac_f32 v144, v148, v83 :: v_dual_fmac_f32 v145, v147, v98
	v_fmac_f32_e32 v145, v149, v82
	scratch_load_b128 v[146:149], off, s32 offset:448 ; 16-byte Folded Reload
	s_waitcnt vmcnt(0)
	v_dual_fmac_f32 v144, v146, v67 :: v_dual_fmac_f32 v145, v147, v66
	s_delay_alu instid0(VALU_DEP_1) | instskip(SKIP_3) | instid1(VALU_DEP_1)
	v_dual_fmac_f32 v144, v148, v55 :: v_dual_fmac_f32 v145, v149, v54
	scratch_load_b128 v[146:149], off, s32 offset:464 ; 16-byte Folded Reload
	s_waitcnt vmcnt(0)
	v_dual_fmac_f32 v144, v146, v51 :: v_dual_fmac_f32 v145, v147, v50
	v_dual_fmac_f32 v144, v148, v39 :: v_dual_fmac_f32 v145, v149, v38
	scratch_load_b128 v[146:149], off, s32 offset:480 ; 16-byte Folded Reload
	s_waitcnt vmcnt(0)
	v_dual_fmac_f32 v144, v146, v35 :: v_dual_fmac_f32 v145, v147, v34
	s_delay_alu instid0(VALU_DEP_1) | instskip(SKIP_3) | instid1(VALU_DEP_1)
	v_dual_fmac_f32 v144, v148, v31 :: v_dual_fmac_f32 v145, v149, v30
	scratch_load_b128 v[146:149], off, s32 offset:496 ; 16-byte Folded Reload
	s_waitcnt vmcnt(0)
	v_dual_fmac_f32 v144, v146, v27 :: v_dual_fmac_f32 v145, v147, v26
	v_fmac_f32_e32 v144, v148, v23
	v_mul_f32_e32 v23, v104, v75
	s_delay_alu instid0(VALU_DEP_1) | instskip(SKIP_3) | instid1(VALU_DEP_1)
	v_fmac_f32_e32 v145, v149, v23
	scratch_load_b128 v[146:149], off, s32 offset:512 ; 16-byte Folded Reload
	s_waitcnt vmcnt(0)
	v_dual_fmac_f32 v144, v146, v19 :: v_dual_fmac_f32 v145, v147, v18
	v_dual_fmac_f32 v144, v148, v12 :: v_dual_fmac_f32 v145, v149, v11
	scratch_load_b128 v[146:149], off, s32 offset:528 ; 16-byte Folded Reload
	s_waitcnt vmcnt(0)
	v_dual_fmac_f32 v144, v146, v5 :: v_dual_fmac_f32 v145, v147, v4
	s_delay_alu instid0(VALU_DEP_1) | instskip(SKIP_4) | instid1(VALU_DEP_1)
	v_dual_fmac_f32 v144, v148, v3 :: v_dual_fmac_f32 v145, v149, v2
	scratch_load_b128 v[2:5], off, s32 offset:544 ; 16-byte Folded Reload
	s_waitcnt vmcnt(0)
	v_fmac_f32_e32 v144, v2, v0
	v_mul_f32_e32 v0, v104, v1
	v_dual_fmac_f32 v145, v3, v0 :: v_dual_mul_f32 v0, v104, v14
	s_delay_alu instid0(VALU_DEP_1) | instskip(SKIP_2) | instid1(VALU_DEP_1)
	v_fmac_f32_e32 v144, v4, v0
	scratch_load_b128 v[1:4], off, s32 offset:560 ; 16-byte Folded Reload
	v_mul_f32_e32 v0, v104, v15
	v_dual_fmac_f32 v145, v5, v0 :: v_dual_mul_f32 v0, v104, v9
	s_waitcnt vmcnt(0)
	s_delay_alu instid0(VALU_DEP_1) | instskip(SKIP_1) | instid1(VALU_DEP_1)
	v_fmac_f32_e32 v144, v1, v0
	v_mul_f32_e32 v0, v104, v8
	v_dual_fmac_f32 v145, v2, v0 :: v_dual_mul_f32 v0, v104, v6
	s_delay_alu instid0(VALU_DEP_1) | instskip(SKIP_1) | instid1(VALU_DEP_1)
	v_fmac_f32_e32 v144, v3, v0
	v_mul_f32_e32 v0, v104, v7
	v_fmac_f32_e32 v145, v4, v0
	scratch_load_b128 v[1:4], off, s32 offset:576 ; 16-byte Folded Reload
	v_mul_f32_e32 v0, v104, v16
	s_waitcnt vmcnt(0)
	s_delay_alu instid0(VALU_DEP_1) | instskip(SKIP_1) | instid1(VALU_DEP_1)
	v_fmac_f32_e32 v144, v1, v0
	v_mul_f32_e32 v0, v104, v17
	v_fmac_f32_e32 v145, v2, v0
	v_mul_f32_e32 v0, v104, v28
	s_delay_alu instid0(VALU_DEP_1) | instskip(SKIP_1) | instid1(VALU_DEP_1)
	v_fmac_f32_e32 v144, v3, v0
	v_mul_f32_e32 v0, v104, v29
	v_fmac_f32_e32 v145, v4, v0
	scratch_load_b128 v[1:4], off, s32 offset:596 ; 16-byte Folded Reload
	v_mul_f32_e32 v0, v104, v32
	s_waitcnt vmcnt(0)
	s_delay_alu instid0(VALU_DEP_1) | instskip(SKIP_1) | instid1(VALU_DEP_1)
	v_fmac_f32_e32 v144, v1, v0
	v_mul_f32_e32 v0, v104, v33
	v_fmac_f32_e32 v145, v2, v0
	v_mul_f32_e32 v0, v104, v36
	;; [unrolled: 12-line block ×5, first 2 shown]
	s_delay_alu instid0(VALU_DEP_1) | instskip(SKIP_1) | instid1(VALU_DEP_1)
	v_fmac_f32_e32 v144, v3, v0
	v_mul_f32_e32 v0, v104, v69
	v_fmac_f32_e32 v145, v4, v0
	scratch_load_b128 v[1:4], off, s32 offset:660 ; 16-byte Folded Reload
	v_mul_f32_e32 v0, v104, v71
	s_waitcnt vmcnt(0)
	s_delay_alu instid0(VALU_DEP_1) | instskip(SKIP_1) | instid1(VALU_DEP_1)
	v_fmac_f32_e32 v144, v1, v0
	v_mul_f32_e32 v0, v104, v70
	v_dual_fmac_f32 v145, v2, v0 :: v_dual_mul_f32 v0, v104, v85
	s_delay_alu instid0(VALU_DEP_1) | instskip(SKIP_1) | instid1(VALU_DEP_1)
	v_fmac_f32_e32 v144, v3, v0
	v_mul_f32_e32 v0, v104, v84
	v_fmac_f32_e32 v145, v4, v0
	scratch_load_b128 v[1:4], off, s32 offset:676 ; 16-byte Folded Reload
	v_mul_f32_e32 v0, v104, v87
	s_waitcnt vmcnt(0)
	s_delay_alu instid0(VALU_DEP_1) | instskip(SKIP_1) | instid1(VALU_DEP_1)
	v_fmac_f32_e32 v144, v1, v0
	v_mul_f32_e32 v0, v104, v86
	v_dual_fmac_f32 v145, v2, v0 :: v_dual_mul_f32 v0, v104, v101
	s_delay_alu instid0(VALU_DEP_1) | instskip(SKIP_1) | instid1(VALU_DEP_1)
	v_fmac_f32_e32 v144, v3, v0
	v_mul_f32_e32 v0, v104, v100
	v_fmac_f32_e32 v145, v4, v0
	scratch_load_b128 v[1:4], off, s32 offset:692 ; 16-byte Folded Reload
	v_mul_f32_e32 v0, v104, v103
	s_waitcnt vmcnt(0)
	s_delay_alu instid0(VALU_DEP_1) | instskip(SKIP_1) | instid1(VALU_DEP_1)
	v_fmac_f32_e32 v144, v1, v0
	v_mul_f32_e32 v0, v104, v102
	v_dual_fmac_f32 v145, v2, v0 :: v_dual_mul_f32 v0, v104, v113
	s_delay_alu instid0(VALU_DEP_1) | instskip(SKIP_1) | instid1(VALU_DEP_1)
	v_fmac_f32_e32 v144, v3, v0
	v_mul_f32_e32 v0, v104, v112
	v_fmac_f32_e32 v145, v4, v0
	scratch_load_b128 v[1:4], off, s32 offset:708 ; 16-byte Folded Reload
	v_mul_f32_e32 v0, v104, v115
	s_waitcnt vmcnt(0)
	s_delay_alu instid0(VALU_DEP_1) | instskip(SKIP_1) | instid1(VALU_DEP_1)
	v_fmac_f32_e32 v144, v1, v0
	v_mul_f32_e32 v0, v104, v114
	v_dual_fmac_f32 v145, v2, v0 :: v_dual_mul_f32 v0, v104, v117
	s_delay_alu instid0(VALU_DEP_1) | instskip(SKIP_1) | instid1(VALU_DEP_1)
	v_fmac_f32_e32 v144, v3, v0
	v_mul_f32_e32 v0, v104, v116
	v_fmac_f32_e32 v145, v4, v0
	scratch_load_b128 v[1:4], off, s32 offset:724 ; 16-byte Folded Reload
	v_mul_f32_e32 v0, v104, v119
	s_waitcnt vmcnt(0)
	s_delay_alu instid0(VALU_DEP_1) | instskip(SKIP_1) | instid1(VALU_DEP_1)
	v_fmac_f32_e32 v144, v1, v0
	v_mul_f32_e32 v0, v104, v118
	v_dual_fmac_f32 v145, v2, v0 :: v_dual_mul_f32 v0, v104, v129
	s_delay_alu instid0(VALU_DEP_1) | instskip(SKIP_1) | instid1(VALU_DEP_1)
	v_fmac_f32_e32 v144, v3, v0
	v_mul_f32_e32 v0, v104, v128
	v_fmac_f32_e32 v145, v4, v0
	scratch_load_b128 v[1:4], off, s32 offset:740 ; 16-byte Folded Reload
	v_mul_f32_e32 v0, v104, v131
	s_waitcnt vmcnt(0)
	s_delay_alu instid0(VALU_DEP_1) | instskip(SKIP_1) | instid1(VALU_DEP_1)
	v_fmac_f32_e32 v144, v1, v0
	v_mul_f32_e32 v0, v104, v130
	v_dual_fmac_f32 v145, v2, v0 :: v_dual_mul_f32 v0, v104, v133
	s_delay_alu instid0(VALU_DEP_1) | instskip(SKIP_1) | instid1(VALU_DEP_1)
	v_fmac_f32_e32 v144, v3, v0
	v_mul_f32_e32 v0, v104, v132
	v_fmac_f32_e32 v145, v4, v0
	scratch_load_b128 v[1:4], off, s32 offset:756 ; 16-byte Folded Reload
	v_mul_f32_e32 v0, v104, v135
	s_waitcnt vmcnt(0)
	s_delay_alu instid0(VALU_DEP_1) | instskip(SKIP_2) | instid1(VALU_DEP_2)
	v_fmac_f32_e32 v144, v1, v0
	v_mul_f32_e32 v0, v104, v134
	v_mul_f32_e32 v1, v104, v47
	v_fmac_f32_e32 v145, v2, v0
	v_mul_f32_e32 v0, v104, v20
	v_mul_f32_e32 v2, v104, v24
	s_delay_alu instid0(VALU_DEP_2) | instskip(SKIP_2) | instid1(VALU_DEP_2)
	v_fmac_f32_e32 v144, v3, v0
	v_mul_f32_e32 v0, v104, v21
	v_mul_f32_e32 v3, v104, v25
	v_fmac_f32_e32 v145, v4, v0
	scratch_load_b128 v[4:7], off, s32 offset:772 ; 16-byte Folded Reload
	s_waitcnt vmcnt(0)
	v_dual_mul_f32 v0, v104, v46 :: v_dual_fmac_f32 v145, v5, v1
	scratch_load_b32 v1, off, s32 offset:592 ; 4-byte Folded Reload
	v_dual_fmac_f32 v144, v4, v0 :: v_dual_fmac_f32 v145, v7, v2
	s_delay_alu instid0(VALU_DEP_1) | instskip(NEXT) | instid1(VALU_DEP_1)
	v_fmac_f32_e32 v144, v6, v3
	v_add_f32_e32 v0, v144, v145
	s_waitcnt vmcnt(0)
	ds_bpermute_b32 v1, v1, v0
	s_and_saveexec_b32 s3, vcc_lo
	s_cbranch_execz .LBB251_9
; %bb.779:                              ;   in Loop: Header=BB251_10 Depth=1
	scratch_load_b32 v3, off, s32 offset:792 ; 4-byte Folded Reload
	v_sub_nc_u32_e32 v2, 1, v92
	s_waitcnt lgkmcnt(0)
	v_add_f32_e32 v0, v0, v1
	scratch_load_b32 v4, off, s32 offset:384 ; 4-byte Folded Reload
	s_load_b32 s18, s[16:17], 0x0
	v_cmp_lt_i32_e64 s2, v10, v92
	v_add_nc_u32_e32 v2, v2, v10
	s_delay_alu instid0(VALU_DEP_1) | instskip(SKIP_1) | instid1(VALU_DEP_1)
	v_cvt_f32_i32_e32 v2, v2
	s_waitcnt vmcnt(1)
	v_mul_f32_e32 v2, v3, v2
	scratch_load_b32 v3, off, s32 offset:788 ; 4-byte Folded Reload
	v_cndmask_b32_e64 v1, 0, v2, s1
	s_waitcnt vmcnt(1)
	v_max_f32_e32 v2, v4, v4
	s_waitcnt vmcnt(0)
	s_delay_alu instid0(VALU_DEP_2) | instskip(NEXT) | instid1(VALU_DEP_1)
	v_fmac_f32_e32 v1, v0, v3
	v_max_f32_e32 v0, v2, v1
	s_waitcnt lgkmcnt(0)
	v_add_nc_u32_e32 v2, s18, v93
	v_cndmask_b32_e64 v1, 0, v1, s2
	s_delay_alu instid0(VALU_DEP_3)
	v_cndmask_b32_e64 v4, v4, v0, s2
	ds_store_b32 v2, v1
	scratch_store_b32 off, v4, s32 offset:384 ; 4-byte Folded Spill
	s_branch .LBB251_9
.LBB251_780:
	s_or_b32 exec_lo, exec_lo, s7
	s_clause 0x10
	scratch_load_b64 v[80:81], off, s32 offset:820
	scratch_load_b32 v15, off, s32 offset:828
	scratch_load_b32 v14, off, s32 offset:832
	scratch_load_b64 v[26:27], off, s32 offset:836
	scratch_load_b32 v11, off, s32 offset:844
	scratch_load_b32 v13, off, s32 offset:848
	;; [unrolled: 1-line block ×8, first 2 shown]
	scratch_load_b64 v[18:19], off, s32 offset:876
	scratch_load_b32 v65, off, s32 offset:884
	scratch_load_b32 v66, off, s32 offset:888
	;; [unrolled: 1-line block ×4, first 2 shown]
	v_mov_b32_e32 v12, 32
.LBB251_781:
	s_or_b32 exec_lo, exec_lo, s21
	s_waitcnt vmcnt(1)
	v_xor_b32_e32 v0, 16, v10
	s_waitcnt lgkmcnt(0)
	v_xor_b32_e32 v1, 8, v10
	s_waitcnt vmcnt(0)
	v_max_f32_e32 v4, v3, v3
	v_xor_b32_e32 v5, 2, v10
	s_lshr_b32 s8, s22, 16
	v_cmp_lt_i32_e32 vcc_lo, v0, v12
	v_cndmask_b32_e32 v0, v10, v0, vcc_lo
	v_cmp_lt_i32_e32 vcc_lo, v1, v12
	s_delay_alu instid0(VALU_DEP_2) | instskip(SKIP_3) | instid1(VALU_DEP_1)
	v_dual_cndmask_b32 v1, v10, v1 :: v_dual_lshlrev_b32 v2, 2, v0
	ds_bpermute_b32 v0, v2, v3
	s_waitcnt lgkmcnt(0)
	v_dual_max_f32 v0, v0, v0 :: v_dual_lshlrev_b32 v3, 2, v1
	v_max_f32_e32 v0, v4, v0
	v_xor_b32_e32 v4, 4, v10
	s_delay_alu instid0(VALU_DEP_1)
	v_cmp_lt_i32_e32 vcc_lo, v4, v12
	v_cndmask_b32_e32 v4, v10, v4, vcc_lo
	v_cmp_lt_i32_e32 vcc_lo, v5, v12
	v_cndmask_b32_e32 v5, v10, v5, vcc_lo
	ds_bpermute_b32 v1, v3, v0
	v_lshlrev_b32_e32 v20, 2, v5
	scratch_load_b32 v5, off, s32 offset:796 ; 4-byte Folded Reload
	s_waitcnt lgkmcnt(0)
	v_max_f32_e32 v1, v1, v1
	s_delay_alu instid0(VALU_DEP_1)
	v_max_f32_e32 v0, v0, v1
	s_waitcnt vmcnt(0)
	v_and_b32_e32 v21, 31, v5
	scratch_load_b32 v5, off, s32 offset:808 ; 4-byte Folded Reload
	v_lshlrev_b32_e32 v4, 2, v4
	v_cmp_eq_u32_e32 vcc_lo, 0, v21
	ds_bpermute_b32 v1, v4, v0
	s_waitcnt lgkmcnt(0)
	v_max_f32_e32 v1, v1, v1
	s_delay_alu instid0(VALU_DEP_1)
	v_max_f32_e32 v0, v0, v1
	ds_bpermute_b32 v1, v20, v0
	s_waitcnt vmcnt(0)
	v_lshlrev_b32_e32 v5, 2, v5
	s_and_saveexec_b32 s1, vcc_lo
	s_cbranch_execz .LBB251_783
; %bb.782:
	s_waitcnt lgkmcnt(0)
	v_dual_max_f32 v1, v1, v1 :: v_dual_max_f32 v0, v0, v0
	s_delay_alu instid0(VALU_DEP_1)
	v_max_f32_e32 v0, v0, v1
	ds_store_b32 v5, v0 offset:768
.LBB251_783:
	s_or_b32 exec_lo, exec_lo, s1
	v_cmp_gt_u32_e64 s1, 4, v21
	v_mov_b32_e32 v0, 0xff7fffff
	v_lshlrev_b32_e32 v6, 2, v21
	s_waitcnt lgkmcnt(0)
	s_waitcnt_vscnt null, 0x0
	s_barrier
	buffer_gl0_inv
	s_and_saveexec_b32 s2, s1
	s_cbranch_execz .LBB251_785
; %bb.784:
	ds_load_b32 v0, v6 offset:768
.LBB251_785:
	s_or_b32 exec_lo, exec_lo, s2
	s_waitcnt lgkmcnt(0)
	ds_bpermute_b32 v1, v20, v0
	v_xor_b32_e32 v7, 1, v10
	v_max_f32_e32 v0, v0, v0
	v_subrev_nc_u32_e32 v8, s13, v109
	s_delay_alu instid0(VALU_DEP_3) | instskip(NEXT) | instid1(VALU_DEP_1)
	v_cmp_lt_i32_e64 s2, v7, v12
	v_cndmask_b32_e64 v7, v10, v7, s2
	s_waitcnt lgkmcnt(0)
	v_max_f32_e32 v1, v1, v1
	s_delay_alu instid0(VALU_DEP_1) | instskip(SKIP_3) | instid1(VALU_DEP_1)
	v_dual_max_f32 v0, v0, v1 :: v_dual_lshlrev_b32 v111, 2, v7
	ds_bpermute_b32 v1, v111, v0
	s_waitcnt lgkmcnt(0)
	v_max_f32_e32 v1, v1, v1
	v_dual_max_f32 v0, v0, v1 :: v_dual_lshlrev_b32 v7, 2, v10
	v_lshl_add_u32 v1, v8, 4, s11
	scratch_load_b32 v8, off, s32 offset:796 ; 4-byte Folded Reload
	v_and_b32_e32 v7, 0xffffff80, v7
	v_min_i32_e32 v1, v1, v92
	ds_bpermute_b32 v0, v7, v0
	v_subrev_nc_u32_e32 v1, s11, v1
	s_waitcnt vmcnt(0)
	s_delay_alu instid0(VALU_DEP_1) | instskip(SKIP_1) | instid1(VALU_DEP_2)
	v_cmp_lt_i32_e64 s2, v8, v1
	v_mov_b32_e32 v8, 0
	s_and_saveexec_b32 s9, s2
	s_cbranch_execz .LBB251_789
; %bb.786:
	scratch_load_b32 v10, off, s32 offset:796 ; 4-byte Folded Reload
	s_getpc_b64 s[16:17]
	s_add_u32 s16, s16, llvm.amdgcn.dynlds.offset.table@rel32@lo+4
	s_addc_u32 s17, s17, llvm.amdgcn.dynlds.offset.table@rel32@hi+12
	s_ashr_i32 s7, s6, 31
	v_mov_b32_e32 v8, 0
	s_lshl_b64 s[18:19], s[6:7], 2
	s_mov_b32 s7, 0
	s_add_u32 s16, s18, s16
	s_addc_u32 s17, s19, s17
	s_load_b32 s3, s[16:17], 0x0
	s_waitcnt vmcnt(0) lgkmcnt(0)
	v_lshl_add_u32 v9, v10, 2, s3
	.p2align	6
.LBB251_787:                            ; =>This Inner Loop Header: Depth=1
	ds_load_b32 v12, v9
	v_add_nc_u32_e32 v10, 0x80, v10
	s_delay_alu instid0(VALU_DEP_1) | instskip(NEXT) | instid1(VALU_DEP_1)
	v_cmp_ge_i32_e64 s3, v10, v1
	s_or_b32 s7, s3, s7
	s_waitcnt lgkmcnt(0)
	v_sub_f32_e32 v12, v12, v0
	s_delay_alu instid0(VALU_DEP_1) | instskip(NEXT) | instid1(VALU_DEP_1)
	v_mul_f32_e32 v12, 0x3fb8aa3b, v12
	v_exp_f32_e32 v12, v12
	ds_store_b32 v9, v12
	v_dual_add_f32 v8, v8, v12 :: v_dual_add_nc_u32 v9, 0x200, v9
	s_and_not1_b32 exec_lo, exec_lo, s7
	s_cbranch_execnz .LBB251_787
; %bb.788:
	s_or_b32 exec_lo, exec_lo, s7
.LBB251_789:
	s_delay_alu instid0(SALU_CYCLE_1)
	s_or_b32 exec_lo, exec_lo, s9
	ds_bpermute_b32 v2, v2, v8
	s_waitcnt lgkmcnt(0)
	v_add_f32_e32 v2, v8, v2
	ds_bpermute_b32 v3, v3, v2
	s_waitcnt lgkmcnt(0)
	v_add_f32_e32 v2, v2, v3
	;; [unrolled: 3-line block ×5, first 2 shown]
	s_and_saveexec_b32 s3, vcc_lo
	s_cbranch_execz .LBB251_791
; %bb.790:
	ds_store_b32 v5, v2 offset:784
.LBB251_791:
	s_or_b32 exec_lo, exec_lo, s3
	s_waitcnt lgkmcnt(0)
	s_barrier
	buffer_gl0_inv
	s_and_saveexec_b32 s3, s1
	s_cbranch_execz .LBB251_793
; %bb.792:
	ds_load_b32 v2, v6 offset:784
.LBB251_793:
	s_or_b32 exec_lo, exec_lo, s3
	s_waitcnt lgkmcnt(0)
	ds_bpermute_b32 v3, v20, v2
	s_waitcnt lgkmcnt(0)
	v_add_f32_e32 v2, v2, v3
	ds_bpermute_b32 v3, v111, v2
	s_waitcnt lgkmcnt(0)
	v_add_f32_e32 v2, v2, v3
	ds_bpermute_b32 v2, v7, v2
	s_and_saveexec_b32 s1, s2
	s_cbranch_execz .LBB251_796
; %bb.794:
	s_waitcnt lgkmcnt(0)
	v_add_f32_e32 v4, 0x358637bd, v2
	s_getpc_b64 s[2:3]
	s_add_u32 s2, s2, llvm.amdgcn.dynlds.offset.table@rel32@lo+4
	s_addc_u32 s3, s3, llvm.amdgcn.dynlds.offset.table@rel32@hi+12
	s_ashr_i32 s7, s6, 31
	s_delay_alu instid0(SALU_CYCLE_1) | instskip(SKIP_4) | instid1(VALU_DEP_1)
	s_lshl_b64 s[16:17], s[6:7], 2
	v_div_scale_f32 v3, null, v4, v4, 1.0
	s_add_u32 s2, s16, s2
	s_addc_u32 s3, s17, s3
	s_load_b32 s2, s[2:3], 0x0
	v_rcp_f32_e32 v5, v3
	s_waitcnt_depctr 0xfff
	v_fma_f32 v6, -v3, v5, 1.0
	s_delay_alu instid0(VALU_DEP_1) | instskip(SKIP_1) | instid1(VALU_DEP_1)
	v_fmac_f32_e32 v5, v6, v5
	v_div_scale_f32 v7, vcc_lo, 1.0, v4, 1.0
	v_mul_f32_e32 v6, v7, v5
	s_delay_alu instid0(VALU_DEP_1) | instskip(NEXT) | instid1(VALU_DEP_1)
	v_fma_f32 v8, -v3, v6, v7
	v_fmac_f32_e32 v6, v8, v5
	s_delay_alu instid0(VALU_DEP_1) | instskip(NEXT) | instid1(VALU_DEP_1)
	v_fma_f32 v3, -v3, v6, v7
	v_div_fmas_f32 v5, v3, v5, v6
	scratch_load_b32 v6, off, s32 offset:796 ; 4-byte Folded Reload
	v_div_fixup_f32 v4, v5, v4, 1.0
	s_waitcnt vmcnt(0) lgkmcnt(0)
	v_lshl_add_u32 v3, v6, 2, s2
	v_mov_b32_e32 v5, v6
	s_mov_b32 s2, 0
.LBB251_795:                            ; =>This Inner Loop Header: Depth=1
	ds_load_b32 v6, v3
	s_waitcnt lgkmcnt(0)
	v_dual_mul_f32 v6, v4, v6 :: v_dual_add_nc_u32 v5, 0x80, v5
	s_delay_alu instid0(VALU_DEP_1) | instskip(SKIP_3) | instid1(SALU_CYCLE_1)
	v_cmp_ge_i32_e32 vcc_lo, v5, v1
	ds_store_b32 v3, v6
	v_add_nc_u32_e32 v3, 0x200, v3
	s_or_b32 s2, vcc_lo, s2
	s_and_not1_b32 exec_lo, exec_lo, s2
	s_cbranch_execnz .LBB251_795
.LBB251_796:
	s_or_b32 exec_lo, exec_lo, s1
	s_waitcnt lgkmcnt(0)
	scratch_load_b32 v1, off, s32 offset:796 ; 4-byte Folded Reload
	v_cmp_ne_u16_e64 s1, s8, 0
	s_waitcnt vmcnt(0)
	s_barrier
	buffer_gl0_inv
	s_cmp_lg_u32 s1, 0
	s_addc_u32 s1, s5, 0
	s_mov_b32 s5, exec_lo
	s_mul_i32 s2, s1, s10
	s_delay_alu instid0(SALU_CYCLE_1)
	s_mul_i32 s2, s2, s15
	v_cmpx_eq_u32_e32 0, v1
	s_cbranch_execz .LBB251_798
; %bb.797:
	s_mul_i32 s8, s1, s12
	s_ashr_i32 s15, s14, 31
	s_ashr_i32 s9, s8, 31
	s_ashr_i32 s3, s2, 31
	s_lshl_b64 s[8:9], s[8:9], 2
	s_lshl_b64 s[12:13], s[14:15], 2
	;; [unrolled: 1-line block ×3, first 2 shown]
	s_add_u32 s3, s12, s8
	s_addc_u32 s7, s13, s9
	s_add_u32 s3, s3, s16
	s_addc_u32 s7, s7, s17
	v_add_co_u32 v3, vcc_lo, s3, v29
	v_add_co_ci_u32_e32 v4, vcc_lo, s7, v28, vcc_lo
	v_add_co_u32 v5, vcc_lo, s3, v25
	v_add_co_ci_u32_e32 v6, vcc_lo, s7, v24, vcc_lo
	flat_store_b32 v[3:4], v0
	flat_store_b32 v[5:6], v2
.LBB251_798:
	s_or_b32 exec_lo, exec_lo, s5
                                        ; implicit-def: $sgpr5
	s_and_saveexec_b32 s3, s0
	s_delay_alu instid0(SALU_CYCLE_1)
	s_xor_b32 s0, exec_lo, s3
; %bb.799:
	s_ashr_i32 s7, s6, 31
	s_mov_b32 s5, 0
                                        ; implicit-def: $vgpr92
                                        ; implicit-def: $vgpr17
                                        ; implicit-def: $vgpr109
                                        ; implicit-def: $vgpr80
                                        ; implicit-def: $vgpr13
                                        ; implicit-def: $vgpr11
                                        ; implicit-def: $vgpr14
                                        ; implicit-def: $vgpr15
                                        ; implicit-def: $vgpr22
                                        ; implicit-def: $vgpr26_vgpr27
                                        ; implicit-def: $vgpr65
                                        ; implicit-def: $vgpr66
                                        ; implicit-def: $vgpr18_vgpr19
                                        ; implicit-def: $vgpr16
; %bb.800:
	s_or_saveexec_b32 s3, s0
	scratch_load_b32 v2, off, s32 offset:796 ; 4-byte Folded Reload
	v_mov_b32_e32 v0, s6
	v_dual_mov_b32 v52, s5 :: v_dual_mov_b32 v1, s7
	v_dual_mov_b32 v55, s5 :: v_dual_mov_b32 v54, s5
	;; [unrolled: 1-line block ×12, first 2 shown]
	v_mov_b32_e32 v25, s5
	s_waitcnt vmcnt(0)
	v_and_b32_e32 v23, 3, v2
	s_xor_b32 exec_lo, exec_lo, s3
	s_cbranch_execz .LBB251_1620
; %bb.801:
	v_add_co_u32 v3, vcc_lo, v13, v65
	v_add_co_ci_u32_e32 v4, vcc_lo, v11, v66, vcc_lo
	scratch_load_b32 v11, off, s32 offset:808 ; 4-byte Folded Reload
	flat_load_b32 v64, v[26:27]
	s_ashr_i32 s7, s6, 31
	s_getpc_b64 s[8:9]
	s_add_u32 s8, s8, llvm.amdgcn.dynlds.offset.table@rel32@lo+4
	s_addc_u32 s9, s9, llvm.amdgcn.dynlds.offset.table@rel32@hi+12
	v_dual_mov_b32 v124, 0 :: v_dual_and_b32 v5, 0x7c, v16
	v_lshlrev_b64 v[0:1], 2, v[80:81]
	v_dual_mov_b32 v7, 0 :: v_dual_and_b32 v2, 12, v16
	v_dual_mov_b32 v25, 0 :: v_dual_lshlrev_b32 v10, 4, v23
	s_delay_alu instid0(VALU_DEP_4)
	v_add_co_u32 v8, vcc_lo, v3, v5
	v_add_co_ci_u32_e32 v9, vcc_lo, 0, v4, vcc_lo
	v_add_co_u32 v0, vcc_lo, v18, v0
	v_add_co_ci_u32_e32 v1, vcc_lo, v19, v1, vcc_lo
	v_dual_mov_b32 v24, 0 :: v_dual_add_nc_u32 v65, -1, v17
	v_dual_mov_b32 v123, 0 :: v_dual_mov_b32 v28, 0
	v_dual_mov_b32 v29, 0 :: v_dual_mov_b32 v30, 0
	;; [unrolled: 1-line block ×11, first 2 shown]
	v_mov_b32_e32 v120, v22
	s_waitcnt vmcnt(1)
	v_lshl_add_u32 v6, v11, 4, s11
	s_waitcnt vmcnt(0) lgkmcnt(0)
	v_mov_b32_e32 v68, v64
	s_lshl_b64 s[10:11], s[6:7], 2
	s_delay_alu instid0(SALU_CYCLE_1)
	s_add_u32 s8, s10, s8
	s_addc_u32 s9, s11, s9
	v_add3_u32 v66, v6, v2, 3
	s_load_b32 s0, s[8:9], 0x0
	v_lshl_or_b32 v2, v11, 6, v10
	v_add_co_u32 v10, vcc_lo, v14, v0
	v_add_co_ci_u32_e32 v11, vcc_lo, v15, v1, vcc_lo
	s_mov_b32 s8, 0
	s_brev_b32 s9, 1
	s_mov_b32 s11, 0x7f800001
	s_mov_b32 s5, s8
	s_waitcnt lgkmcnt(0)
	v_add_nc_u32_e32 v67, s0, v2
	s_branch .LBB251_803
.LBB251_802:                            ;   in Loop: Header=BB251_803 Depth=1
	s_or_b32 exec_lo, exec_lo, s0
	v_mul_f32_e32 v16, v1, v79
	v_mul_f32_e32 v14, v1, v104
	;; [unrolled: 1-line block ×4, first 2 shown]
	v_add_co_u32 v10, s0, v10, 16
	s_delay_alu instid0(VALU_DEP_4) | instskip(SKIP_4) | instid1(VALU_DEP_4)
	v_fmac_f32_e32 v14, v0, v95
	v_fmac_f32_e32 v16, v0, v78
	;; [unrolled: 1-line block ×4, first 2 shown]
	v_add_co_ci_u32_e64 v11, s0, 0, v11, s0
	v_fmac_f32_e32 v16, v2, v77
	s_delay_alu instid0(VALU_DEP_4) | instskip(SKIP_2) | instid1(VALU_DEP_4)
	v_fmac_f32_e32 v15, v2, v89
	v_add_nc_u32_e32 v67, 0x100, v67
	v_add_nc_u32_e32 v66, 64, v66
	v_fmac_f32_e32 v16, v3, v76
	s_delay_alu instid0(VALU_DEP_4) | instskip(SKIP_1) | instid1(VALU_DEP_3)
	v_dual_fmac_f32 v14, v2, v94 :: v_dual_fmac_f32 v15, v3, v88
	v_fmac_f32_e32 v13, v2, v19
	v_dual_mul_f32 v17, v1, v75 :: v_dual_add_f32 v28, v28, v16
	s_delay_alu instid0(VALU_DEP_3) | instskip(NEXT) | instid1(VALU_DEP_3)
	v_fmac_f32_e32 v14, v3, v93
	v_dual_mul_f32 v16, v1, v43 :: v_dual_fmac_f32 v13, v3, v18
	s_delay_alu instid0(VALU_DEP_3) | instskip(NEXT) | instid1(VALU_DEP_3)
	v_fmac_f32_e32 v17, v0, v74
	v_dual_add_f32 v124, v124, v15 :: v_dual_add_f32 v123, v123, v14
	v_mul_f32_e32 v14, v1, v59
	s_delay_alu instid0(VALU_DEP_4) | instskip(SKIP_2) | instid1(VALU_DEP_4)
	v_add_f32_e32 v25, v25, v13
	v_mul_f32_e32 v13, v1, v63
	v_dual_mul_f32 v15, v1, v47 :: v_dual_fmac_f32 v16, v0, v42
	v_fmac_f32_e32 v14, v0, v58
	s_delay_alu instid0(VALU_DEP_3) | instskip(NEXT) | instid1(VALU_DEP_3)
	v_fmac_f32_e32 v13, v0, v62
	v_dual_fmac_f32 v15, v0, v46 :: v_dual_fmac_f32 v16, v2, v41
	s_delay_alu instid0(VALU_DEP_3) | instskip(SKIP_1) | instid1(VALU_DEP_4)
	v_fmac_f32_e32 v14, v2, v57
	v_fmac_f32_e32 v17, v2, v73
	v_fmac_f32_e32 v13, v2, v61
	s_delay_alu instid0(VALU_DEP_4) | instskip(NEXT) | instid1(VALU_DEP_4)
	v_dual_fmac_f32 v15, v2, v45 :: v_dual_fmac_f32 v16, v3, v40
	v_fmac_f32_e32 v14, v3, v56
	s_delay_alu instid0(VALU_DEP_3) | instskip(NEXT) | instid1(VALU_DEP_3)
	v_fmac_f32_e32 v13, v3, v60
	v_add_f32_e32 v33, v33, v16
	s_delay_alu instid0(VALU_DEP_3) | instskip(SKIP_1) | instid1(VALU_DEP_4)
	v_dual_add_f32 v31, v31, v14 :: v_dual_mul_f32 v14, v1, v167
	v_dual_mul_f32 v16, v1, v151 :: v_dual_fmac_f32 v17, v3, v72
	v_dual_add_f32 v30, v30, v13 :: v_dual_fmac_f32 v15, v3, v44
	s_delay_alu instid0(VALU_DEP_3) | instskip(NEXT) | instid1(VALU_DEP_3)
	v_fmac_f32_e32 v14, v0, v166
	v_dual_fmac_f32 v16, v0, v150 :: v_dual_add_f32 v29, v29, v17
	v_mul_f32_e32 v17, v1, v183
	s_delay_alu instid0(VALU_DEP_4) | instskip(NEXT) | instid1(VALU_DEP_4)
	v_add_f32_e32 v32, v32, v15
	v_fmac_f32_e32 v14, v2, v165
	s_delay_alu instid0(VALU_DEP_4) | instskip(NEXT) | instid1(VALU_DEP_2)
	v_dual_fmac_f32 v16, v2, v149 :: v_dual_mul_f32 v15, v1, v163
	v_dual_fmac_f32 v17, v0, v182 :: v_dual_fmac_f32 v14, v3, v164
	s_delay_alu instid0(VALU_DEP_2) | instskip(NEXT) | instid1(VALU_DEP_2)
	v_dual_fmac_f32 v16, v3, v148 :: v_dual_fmac_f32 v15, v0, v162
	v_dual_fmac_f32 v17, v2, v181 :: v_dual_add_f32 v36, v36, v14
	s_delay_alu instid0(VALU_DEP_2) | instskip(NEXT) | instid1(VALU_DEP_2)
	v_add_f32_e32 v38, v38, v16
	v_dual_mul_f32 v14, v1, v131 :: v_dual_fmac_f32 v17, v3, v180
	v_mul_f32_e32 v16, v1, v115
	v_mul_f32_e32 v13, v1, v179
	s_delay_alu instid0(VALU_DEP_3) | instskip(NEXT) | instid1(VALU_DEP_4)
	v_dual_fmac_f32 v15, v2, v161 :: v_dual_fmac_f32 v14, v0, v130
	v_add_f32_e32 v34, v34, v17
	s_delay_alu instid0(VALU_DEP_4) | instskip(NEXT) | instid1(VALU_DEP_4)
	v_fmac_f32_e32 v16, v0, v114
	v_fmac_f32_e32 v13, v0, v178
	s_delay_alu instid0(VALU_DEP_4) | instskip(NEXT) | instid1(VALU_DEP_3)
	v_dual_fmac_f32 v15, v3, v160 :: v_dual_fmac_f32 v14, v2, v129
	v_dual_mul_f32 v17, v1, v147 :: v_dual_fmac_f32 v16, v2, v113
	s_delay_alu instid0(VALU_DEP_3) | instskip(NEXT) | instid1(VALU_DEP_3)
	v_fmac_f32_e32 v13, v2, v177
	v_add_f32_e32 v37, v37, v15
	s_delay_alu instid0(VALU_DEP_4) | instskip(NEXT) | instid1(VALU_DEP_4)
	v_dual_mul_f32 v15, v1, v119 :: v_dual_fmac_f32 v14, v3, v128
	v_fmac_f32_e32 v17, v0, v146
	s_delay_alu instid0(VALU_DEP_4) | instskip(NEXT) | instid1(VALU_DEP_3)
	v_fmac_f32_e32 v13, v3, v176
	v_dual_fmac_f32 v16, v3, v112 :: v_dual_fmac_f32 v15, v0, v118
	s_delay_alu instid0(VALU_DEP_4) | instskip(NEXT) | instid1(VALU_DEP_2)
	v_add_f32_e32 v49, v49, v14
	v_dual_mul_f32 v14, v1, v87 :: v_dual_add_f32 v51, v51, v16
	s_delay_alu instid0(VALU_DEP_1) | instskip(NEXT) | instid1(VALU_DEP_1)
	v_dual_fmac_f32 v15, v2, v117 :: v_dual_fmac_f32 v14, v0, v86
	v_fmac_f32_e32 v15, v3, v116
	v_add_f32_e32 v35, v35, v13
	s_delay_alu instid0(VALU_DEP_3) | instskip(SKIP_1) | instid1(VALU_DEP_4)
	v_dual_mul_f32 v13, v1, v135 :: v_dual_fmac_f32 v14, v2, v85
	v_fmac_f32_e32 v17, v2, v145
	v_dual_add_f32 v50, v50, v15 :: v_dual_mul_f32 v15, v1, v80
	s_delay_alu instid0(VALU_DEP_3) | instskip(NEXT) | instid1(VALU_DEP_2)
	v_dual_fmac_f32 v13, v0, v134 :: v_dual_mov_b32 v80, v121
	v_dual_fmac_f32 v14, v3, v84 :: v_dual_fmac_f32 v15, v0, v71
	s_delay_alu instid0(VALU_DEP_2) | instskip(NEXT) | instid1(VALU_DEP_2)
	v_dual_fmac_f32 v13, v2, v133 :: v_dual_add_nc_u32 v80, 4, v80
	v_add_f32_e32 v55, v55, v14
	s_delay_alu instid0(VALU_DEP_3) | instskip(NEXT) | instid1(VALU_DEP_3)
	v_fmac_f32_e32 v15, v2, v70
	v_fmac_f32_e32 v13, v3, v132
	s_delay_alu instid0(VALU_DEP_4) | instskip(NEXT) | instid1(VALU_DEP_3)
	v_cmp_ge_i32_e32 vcc_lo, v80, v109
	v_fmac_f32_e32 v15, v3, v69
	s_delay_alu instid0(VALU_DEP_3) | instskip(SKIP_1) | instid1(VALU_DEP_2)
	v_dual_add_f32 v48, v48, v13 :: v_dual_mul_f32 v13, v1, v99
	s_or_b32 s5, vcc_lo, s5
	v_add_f32_e32 v52, v52, v15
	s_delay_alu instid0(VALU_DEP_2) | instskip(NEXT) | instid1(VALU_DEP_1)
	v_fmac_f32_e32 v13, v0, v98
	v_fmac_f32_e32 v13, v2, v97
	s_delay_alu instid0(VALU_DEP_1) | instskip(NEXT) | instid1(VALU_DEP_1)
	v_fmac_f32_e32 v13, v3, v96
	v_dual_fmac_f32 v17, v3, v144 :: v_dual_add_f32 v54, v54, v13
	s_delay_alu instid0(VALU_DEP_1) | instskip(SKIP_2) | instid1(VALU_DEP_2)
	v_add_f32_e32 v39, v39, v17
	v_mul_f32_e32 v17, v1, v103
	v_mul_f32_e32 v1, v1, v12
	v_fmac_f32_e32 v17, v0, v102
	s_delay_alu instid0(VALU_DEP_2) | instskip(NEXT) | instid1(VALU_DEP_2)
	v_fmac_f32_e32 v1, v0, v6
	v_fmac_f32_e32 v17, v2, v101
	s_delay_alu instid0(VALU_DEP_2) | instskip(NEXT) | instid1(VALU_DEP_2)
	v_fmac_f32_e32 v1, v2, v5
	;; [unrolled: 3-line block ×3, first 2 shown]
	v_add_f32_e32 v53, v53, v17
	s_delay_alu instid0(VALU_DEP_2)
	v_add_f32_e32 v24, v24, v1
	s_and_not1_b32 exec_lo, exec_lo, s5
	s_cbranch_execz .LBB251_1619
.LBB251_803:                            ; =>This Inner Loop Header: Depth=1
	flat_load_b32 v0, v[10:11]
	v_mov_b32_e32 v14, 0
	s_mov_b32 s0, exec_lo
	s_waitcnt vmcnt(0) lgkmcnt(0)
	v_mad_i64_i32 v[12:13], null, v0, v22, v[8:9]
	ds_load_b128 v[0:3], v67
	flat_load_b32 v69, v[12:13]
	s_waitcnt vmcnt(0) lgkmcnt(0)
	v_dual_mov_b32 v15, 0 :: v_dual_and_b32 v6, 0xff, v69
	s_delay_alu instid0(VALU_DEP_1) | instskip(NEXT) | instid1(VALU_DEP_2)
	v_dual_mov_b32 v4, v14 :: v_dual_mov_b32 v5, v15
	v_cmpx_ne_u16_e32 0, v6
	s_cbranch_execz .LBB251_811
; %bb.804:                              ;   in Loop: Header=BB251_803 Depth=1
	v_bfrev_b32_e32 v4, 1
	v_mov_b32_e32 v5, 0
	s_mov_b32 s10, exec_lo
	v_cmpx_ne_u16_e32 0x80, v6
	s_cbranch_execz .LBB251_810
; %bb.805:                              ;   in Loop: Header=BB251_803 Depth=1
	v_mov_b32_e32 v4, 0x7f800001
	v_dual_mov_b32 v5, 0 :: v_dual_and_b32 v16, 0x7f, v69
	s_mov_b32 s12, exec_lo
	s_delay_alu instid0(VALU_DEP_1)
	v_cmpx_ne_u32_e32 0x7f, v16
	s_cbranch_execz .LBB251_809
; %bb.806:                              ;   in Loop: Header=BB251_803 Depth=1
	v_and_b32_e32 v6, 7, v69
	v_lshrrev_b32_e32 v4, 3, v16
	s_mov_b32 s13, exec_lo
	v_cmpx_gt_u32_e32 8, v16
; %bb.807:                              ;   in Loop: Header=BB251_803 Depth=1
	s_delay_alu instid0(VALU_DEP_3) | instskip(NEXT) | instid1(VALU_DEP_1)
	v_clz_i32_u32_e32 v4, v6
	v_min_u32_e32 v4, 32, v4
	s_delay_alu instid0(VALU_DEP_1) | instskip(SKIP_1) | instid1(VALU_DEP_2)
	v_subrev_nc_u32_e32 v5, 28, v4
	v_sub_nc_u32_e32 v4, 29, v4
	v_lshlrev_b64 v[5:6], v5, v[6:7]
	s_delay_alu instid0(VALU_DEP_1)
	v_and_b32_e32 v6, 7, v5
; %bb.808:                              ;   in Loop: Header=BB251_803 Depth=1
	s_or_b32 exec_lo, exec_lo, s13
	v_lshlrev_b32_e32 v5, 24, v69
	s_delay_alu instid0(VALU_DEP_2) | instskip(SKIP_1) | instid1(VALU_DEP_3)
	v_lshlrev_b32_e32 v6, 20, v6
	v_lshl_add_u32 v4, v4, 23, 0x3c000000
	v_and_b32_e32 v5, 0x80000000, v5
	s_delay_alu instid0(VALU_DEP_1) | instskip(NEXT) | instid1(VALU_DEP_1)
	v_or3_b32 v6, v6, v5, v4
	v_dual_mov_b32 v4, v6 :: v_dual_mov_b32 v5, v7
.LBB251_809:                            ;   in Loop: Header=BB251_803 Depth=1
	s_or_b32 exec_lo, exec_lo, s12
.LBB251_810:                            ;   in Loop: Header=BB251_803 Depth=1
	s_delay_alu instid0(SALU_CYCLE_1)
	s_or_b32 exec_lo, exec_lo, s10
.LBB251_811:                            ;   in Loop: Header=BB251_803 Depth=1
	s_delay_alu instid0(SALU_CYCLE_1) | instskip(SKIP_2) | instid1(VALU_DEP_1)
	s_or_b32 exec_lo, exec_lo, s0
	v_lshrrev_b16 v6, 8, v69
	s_mov_b32 s0, exec_lo
	v_cmpx_ne_u16_e32 0, v6
	s_cbranch_execz .LBB251_819
; %bb.812:                              ;   in Loop: Header=BB251_803 Depth=1
	v_dual_mov_b32 v15, s9 :: v_dual_mov_b32 v14, s8
	s_mov_b32 s12, exec_lo
	v_cmpx_ne_u16_e32 0x80, v6
	s_cbranch_execz .LBB251_818
; %bb.813:                              ;   in Loop: Header=BB251_803 Depth=1
	s_mov_b32 s10, s8
	v_dual_mov_b32 v15, s11 :: v_dual_and_b32 v6, 0xffff, v6
	v_mov_b32_e32 v14, s10
	s_mov_b32 s10, exec_lo
	s_delay_alu instid0(VALU_DEP_2) | instskip(NEXT) | instid1(VALU_DEP_1)
	v_and_b32_e32 v16, 0x7f, v6
	v_cmpx_ne_u32_e32 0x7f, v16
	s_cbranch_execz .LBB251_817
; %bb.814:                              ;   in Loop: Header=BB251_803 Depth=1
	v_and_b32_e32 v6, 7, v6
	v_lshrrev_b32_e32 v14, 3, v16
	s_mov_b32 s13, exec_lo
	v_cmpx_gt_u32_e32 8, v16
; %bb.815:                              ;   in Loop: Header=BB251_803 Depth=1
	s_delay_alu instid0(VALU_DEP_3) | instskip(NEXT) | instid1(VALU_DEP_1)
	v_clz_i32_u32_e32 v14, v6
	v_min_u32_e32 v14, 32, v14
	s_delay_alu instid0(VALU_DEP_1) | instskip(SKIP_1) | instid1(VALU_DEP_2)
	v_subrev_nc_u32_e32 v15, 28, v14
	v_sub_nc_u32_e32 v14, 29, v14
	v_lshlrev_b64 v[15:16], v15, v[6:7]
	s_delay_alu instid0(VALU_DEP_1)
	v_and_b32_e32 v6, 7, v15
; %bb.816:                              ;   in Loop: Header=BB251_803 Depth=1
	s_or_b32 exec_lo, exec_lo, s13
	v_lshlrev_b32_e32 v15, 16, v69
	s_delay_alu instid0(VALU_DEP_2) | instskip(SKIP_1) | instid1(VALU_DEP_3)
	v_lshlrev_b32_e32 v6, 20, v6
	v_lshl_add_u32 v14, v14, 23, 0x3c000000
	v_and_b32_e32 v15, 0x80000000, v15
	s_delay_alu instid0(VALU_DEP_1)
	v_or3_b32 v15, v6, v15, v14
	v_mov_b32_e32 v14, v7
.LBB251_817:                            ;   in Loop: Header=BB251_803 Depth=1
	s_or_b32 exec_lo, exec_lo, s10
.LBB251_818:                            ;   in Loop: Header=BB251_803 Depth=1
	s_delay_alu instid0(SALU_CYCLE_1)
	s_or_b32 exec_lo, exec_lo, s12
.LBB251_819:                            ;   in Loop: Header=BB251_803 Depth=1
	s_delay_alu instid0(SALU_CYCLE_1) | instskip(SKIP_4) | instid1(VALU_DEP_2)
	s_or_b32 exec_lo, exec_lo, s0
	v_mov_b32_e32 v18, 0
	v_lshrrev_b32_e32 v70, 16, v69
	v_mov_b32_e32 v19, 0
	s_mov_b32 s0, exec_lo
	v_and_b32_e32 v6, 0xff, v70
	s_delay_alu instid0(VALU_DEP_2) | instskip(NEXT) | instid1(VALU_DEP_2)
	v_dual_mov_b32 v16, v18 :: v_dual_mov_b32 v17, v19
	v_cmpx_ne_u16_e32 0, v6
	s_cbranch_execz .LBB251_827
; %bb.820:                              ;   in Loop: Header=BB251_803 Depth=1
	v_bfrev_b32_e32 v16, 1
	v_mov_b32_e32 v17, 0
	s_mov_b32 s10, exec_lo
	v_cmpx_ne_u16_e32 0x80, v6
	s_cbranch_execz .LBB251_826
; %bb.821:                              ;   in Loop: Header=BB251_803 Depth=1
	v_mov_b32_e32 v16, 0x7f800001
	v_bfe_u32 v71, v69, 16, 7
	v_mov_b32_e32 v17, 0
	s_mov_b32 s12, exec_lo
	s_delay_alu instid0(VALU_DEP_2)
	v_cmpx_ne_u32_e32 0x7f, v71
	s_cbranch_execz .LBB251_825
; %bb.822:                              ;   in Loop: Header=BB251_803 Depth=1
	v_and_b32_e32 v6, 7, v70
	v_lshrrev_b32_e32 v16, 3, v71
	s_mov_b32 s13, exec_lo
	v_cmpx_gt_u32_e32 8, v71
; %bb.823:                              ;   in Loop: Header=BB251_803 Depth=1
	s_delay_alu instid0(VALU_DEP_3) | instskip(SKIP_1) | instid1(VALU_DEP_2)
	v_clz_i32_u32_e32 v16, v6
	v_mov_b32_e32 v82, v80
	v_min_u32_e32 v16, 32, v16
	s_delay_alu instid0(VALU_DEP_1) | instskip(SKIP_1) | instid1(VALU_DEP_2)
	v_subrev_nc_u32_e32 v17, 28, v16
	v_sub_nc_u32_e32 v16, 29, v16
	v_lshlrev_b64 v[80:81], v17, v[6:7]
	s_delay_alu instid0(VALU_DEP_1)
	v_and_b32_e32 v6, 7, v80
	v_mov_b32_e32 v80, v82
; %bb.824:                              ;   in Loop: Header=BB251_803 Depth=1
	s_or_b32 exec_lo, exec_lo, s13
	v_lshlrev_b32_e32 v17, 24, v70
	s_delay_alu instid0(VALU_DEP_3) | instskip(SKIP_1) | instid1(VALU_DEP_3)
	v_lshlrev_b32_e32 v6, 20, v6
	v_lshl_add_u32 v16, v16, 23, 0x3c000000
	v_and_b32_e32 v17, 0x80000000, v17
	s_delay_alu instid0(VALU_DEP_1) | instskip(NEXT) | instid1(VALU_DEP_1)
	v_or3_b32 v6, v6, v17, v16
	v_dual_mov_b32 v17, v7 :: v_dual_mov_b32 v16, v6
.LBB251_825:                            ;   in Loop: Header=BB251_803 Depth=1
	s_or_b32 exec_lo, exec_lo, s12
.LBB251_826:                            ;   in Loop: Header=BB251_803 Depth=1
	s_delay_alu instid0(SALU_CYCLE_1)
	s_or_b32 exec_lo, exec_lo, s10
.LBB251_827:                            ;   in Loop: Header=BB251_803 Depth=1
	s_delay_alu instid0(SALU_CYCLE_1) | instskip(NEXT) | instid1(SALU_CYCLE_1)
	s_or_b32 exec_lo, exec_lo, s0
	s_mov_b32 s0, exec_lo
	v_cmpx_lt_u32_e32 0xffffff, v69
	s_cbranch_execz .LBB251_835
; %bb.828:                              ;   in Loop: Header=BB251_803 Depth=1
	v_lshrrev_b32_e32 v70, 24, v69
	v_dual_mov_b32 v19, s9 :: v_dual_mov_b32 v18, s8
	s_mov_b32 s12, exec_lo
	s_delay_alu instid0(VALU_DEP_2)
	v_cmpx_ne_u32_e32 0x80, v70
	s_cbranch_execz .LBB251_834
; %bb.829:                              ;   in Loop: Header=BB251_803 Depth=1
	s_mov_b32 s10, s8
	v_bfe_u32 v69, v69, 24, 7
	v_dual_mov_b32 v19, s11 :: v_dual_mov_b32 v18, s10
	s_mov_b32 s10, exec_lo
	s_delay_alu instid0(VALU_DEP_2)
	v_cmpx_ne_u32_e32 0x7f, v69
	s_cbranch_execz .LBB251_833
; %bb.830:                              ;   in Loop: Header=BB251_803 Depth=1
	v_and_b32_e32 v6, 7, v70
	v_lshrrev_b32_e32 v18, 3, v69
	s_mov_b32 s13, exec_lo
	v_cmpx_gt_u32_e32 8, v69
; %bb.831:                              ;   in Loop: Header=BB251_803 Depth=1
	s_delay_alu instid0(VALU_DEP_3) | instskip(SKIP_1) | instid1(VALU_DEP_2)
	v_clz_i32_u32_e32 v18, v6
	v_mov_b32_e32 v69, v80
	v_min_u32_e32 v18, 32, v18
	s_delay_alu instid0(VALU_DEP_1) | instskip(SKIP_1) | instid1(VALU_DEP_2)
	v_subrev_nc_u32_e32 v19, 28, v18
	v_sub_nc_u32_e32 v18, 29, v18
	v_lshlrev_b64 v[80:81], v19, v[6:7]
	s_delay_alu instid0(VALU_DEP_1)
	v_and_b32_e32 v6, 7, v80
	v_mov_b32_e32 v80, v69
; %bb.832:                              ;   in Loop: Header=BB251_803 Depth=1
	s_or_b32 exec_lo, exec_lo, s13
	v_lshlrev_b32_e32 v19, 24, v70
	s_delay_alu instid0(VALU_DEP_3) | instskip(SKIP_1) | instid1(VALU_DEP_3)
	v_lshlrev_b32_e32 v6, 20, v6
	v_lshl_add_u32 v18, v18, 23, 0x3c000000
	v_and_b32_e32 v19, 0x80000000, v19
	s_delay_alu instid0(VALU_DEP_1)
	v_or3_b32 v19, v6, v19, v18
	v_mov_b32_e32 v18, v7
.LBB251_833:                            ;   in Loop: Header=BB251_803 Depth=1
	s_or_b32 exec_lo, exec_lo, s10
.LBB251_834:                            ;   in Loop: Header=BB251_803 Depth=1
	s_delay_alu instid0(SALU_CYCLE_1)
	s_or_b32 exec_lo, exec_lo, s12
.LBB251_835:                            ;   in Loop: Header=BB251_803 Depth=1
	s_delay_alu instid0(SALU_CYCLE_1)
	s_or_b32 exec_lo, exec_lo, s0
	v_or_b32_e32 v5, v15, v5
	v_or_b32_e32 v4, v14, v4
	;; [unrolled: 1-line block ×4, first 2 shown]
	v_add_nc_u32_e32 v81, -3, v66
	v_dual_mov_b32 v121, v80 :: v_dual_add_nc_u32 v82, -1, v66
	v_cmp_eq_u32_e32 vcc_lo, v65, v80
	v_mul_f32_e32 v80, v68, v5
	v_mul_f32_e32 v71, v64, v4
	;; [unrolled: 1-line block ×4, first 2 shown]
	v_add_nc_u32_e32 v83, -2, v66
	s_and_saveexec_b32 s10, vcc_lo
; %bb.836:                              ;   in Loop: Header=BB251_803 Depth=1
	v_cmp_lt_i32_e64 s0, v81, v92
	s_delay_alu instid0(VALU_DEP_1) | instskip(NEXT) | instid1(VALU_DEP_3)
	v_cndmask_b32_e64 v71, 0, v71, s0
	v_cmp_lt_i32_e64 s0, v83, v92
	s_delay_alu instid0(VALU_DEP_1) | instskip(SKIP_1) | instid1(VALU_DEP_1)
	v_cndmask_b32_e64 v80, 0, v80, s0
	v_cmp_lt_i32_e64 s0, v82, v92
	v_cndmask_b32_e64 v70, 0, v70, s0
	v_cmp_lt_i32_e64 s0, v66, v92
	s_delay_alu instid0(VALU_DEP_1)
	v_cndmask_b32_e64 v69, 0, v69, s0
; %bb.837:                              ;   in Loop: Header=BB251_803 Depth=1
	s_or_b32 exec_lo, exec_lo, s10
	flat_load_b32 v84, v[12:13] offset:128
	v_mov_b32_e32 v14, 0
	v_mov_b32_e32 v15, 0
	s_mov_b32 s10, exec_lo
	s_waitcnt vmcnt(0) lgkmcnt(0)
	v_and_b32_e32 v6, 0xff, v84
	s_delay_alu instid0(VALU_DEP_2) | instskip(NEXT) | instid1(VALU_DEP_2)
	v_dual_mov_b32 v4, v14 :: v_dual_mov_b32 v5, v15
	v_cmpx_ne_u16_e32 0, v6
	s_cbranch_execz .LBB251_845
; %bb.838:                              ;   in Loop: Header=BB251_803 Depth=1
	v_bfrev_b32_e32 v4, 1
	v_mov_b32_e32 v5, 0
	s_mov_b32 s12, exec_lo
	v_cmpx_ne_u16_e32 0x80, v6
	s_cbranch_execz .LBB251_844
; %bb.839:                              ;   in Loop: Header=BB251_803 Depth=1
	v_mov_b32_e32 v4, 0x7f800001
	v_dual_mov_b32 v5, 0 :: v_dual_and_b32 v16, 0x7f, v84
	s_mov_b32 s13, exec_lo
	s_delay_alu instid0(VALU_DEP_1)
	v_cmpx_ne_u32_e32 0x7f, v16
	s_cbranch_execz .LBB251_843
; %bb.840:                              ;   in Loop: Header=BB251_803 Depth=1
	v_and_b32_e32 v6, 7, v84
	v_lshrrev_b32_e32 v4, 3, v16
	s_mov_b32 s15, exec_lo
	v_cmpx_gt_u32_e32 8, v16
; %bb.841:                              ;   in Loop: Header=BB251_803 Depth=1
	s_delay_alu instid0(VALU_DEP_3) | instskip(NEXT) | instid1(VALU_DEP_1)
	v_clz_i32_u32_e32 v4, v6
	v_min_u32_e32 v4, 32, v4
	s_delay_alu instid0(VALU_DEP_1) | instskip(SKIP_1) | instid1(VALU_DEP_2)
	v_subrev_nc_u32_e32 v5, 28, v4
	v_sub_nc_u32_e32 v4, 29, v4
	v_lshlrev_b64 v[5:6], v5, v[6:7]
	s_delay_alu instid0(VALU_DEP_1)
	v_and_b32_e32 v6, 7, v5
; %bb.842:                              ;   in Loop: Header=BB251_803 Depth=1
	s_or_b32 exec_lo, exec_lo, s15
	v_lshlrev_b32_e32 v5, 24, v84
	s_delay_alu instid0(VALU_DEP_2) | instskip(SKIP_1) | instid1(VALU_DEP_3)
	v_lshlrev_b32_e32 v6, 20, v6
	v_lshl_add_u32 v4, v4, 23, 0x3c000000
	v_and_b32_e32 v5, 0x80000000, v5
	s_delay_alu instid0(VALU_DEP_1) | instskip(NEXT) | instid1(VALU_DEP_1)
	v_or3_b32 v6, v6, v5, v4
	v_dual_mov_b32 v4, v6 :: v_dual_mov_b32 v5, v7
.LBB251_843:                            ;   in Loop: Header=BB251_803 Depth=1
	s_or_b32 exec_lo, exec_lo, s13
.LBB251_844:                            ;   in Loop: Header=BB251_803 Depth=1
	s_delay_alu instid0(SALU_CYCLE_1)
	s_or_b32 exec_lo, exec_lo, s12
.LBB251_845:                            ;   in Loop: Header=BB251_803 Depth=1
	s_delay_alu instid0(SALU_CYCLE_1) | instskip(SKIP_2) | instid1(VALU_DEP_1)
	s_or_b32 exec_lo, exec_lo, s10
	v_lshrrev_b16 v6, 8, v84
	s_mov_b32 s12, exec_lo
	v_cmpx_ne_u16_e32 0, v6
	s_cbranch_execz .LBB251_853
; %bb.846:                              ;   in Loop: Header=BB251_803 Depth=1
	v_dual_mov_b32 v15, s9 :: v_dual_mov_b32 v14, s8
	s_mov_b32 s13, exec_lo
	v_cmpx_ne_u16_e32 0x80, v6
	s_cbranch_execz .LBB251_852
; %bb.847:                              ;   in Loop: Header=BB251_803 Depth=1
	s_mov_b32 s10, s8
	v_dual_mov_b32 v15, s11 :: v_dual_and_b32 v6, 0xffff, v6
	v_mov_b32_e32 v14, s10
	s_mov_b32 s10, exec_lo
	s_delay_alu instid0(VALU_DEP_2) | instskip(NEXT) | instid1(VALU_DEP_1)
	v_and_b32_e32 v16, 0x7f, v6
	v_cmpx_ne_u32_e32 0x7f, v16
	s_cbranch_execz .LBB251_851
; %bb.848:                              ;   in Loop: Header=BB251_803 Depth=1
	v_and_b32_e32 v6, 7, v6
	v_lshrrev_b32_e32 v14, 3, v16
	s_mov_b32 s15, exec_lo
	v_cmpx_gt_u32_e32 8, v16
; %bb.849:                              ;   in Loop: Header=BB251_803 Depth=1
	s_delay_alu instid0(VALU_DEP_3) | instskip(NEXT) | instid1(VALU_DEP_1)
	v_clz_i32_u32_e32 v14, v6
	v_min_u32_e32 v14, 32, v14
	s_delay_alu instid0(VALU_DEP_1) | instskip(SKIP_1) | instid1(VALU_DEP_2)
	v_subrev_nc_u32_e32 v15, 28, v14
	v_sub_nc_u32_e32 v14, 29, v14
	v_lshlrev_b64 v[15:16], v15, v[6:7]
	s_delay_alu instid0(VALU_DEP_1)
	v_and_b32_e32 v6, 7, v15
; %bb.850:                              ;   in Loop: Header=BB251_803 Depth=1
	s_or_b32 exec_lo, exec_lo, s15
	v_lshlrev_b32_e32 v15, 16, v84
	s_delay_alu instid0(VALU_DEP_2) | instskip(SKIP_1) | instid1(VALU_DEP_3)
	v_lshlrev_b32_e32 v6, 20, v6
	v_lshl_add_u32 v14, v14, 23, 0x3c000000
	v_and_b32_e32 v15, 0x80000000, v15
	s_delay_alu instid0(VALU_DEP_1)
	v_or3_b32 v15, v6, v15, v14
	v_mov_b32_e32 v14, v7
.LBB251_851:                            ;   in Loop: Header=BB251_803 Depth=1
	s_or_b32 exec_lo, exec_lo, s10
.LBB251_852:                            ;   in Loop: Header=BB251_803 Depth=1
	s_delay_alu instid0(SALU_CYCLE_1)
	s_or_b32 exec_lo, exec_lo, s13
.LBB251_853:                            ;   in Loop: Header=BB251_803 Depth=1
	s_delay_alu instid0(SALU_CYCLE_1) | instskip(SKIP_4) | instid1(VALU_DEP_2)
	s_or_b32 exec_lo, exec_lo, s12
	v_mov_b32_e32 v18, 0
	v_lshrrev_b32_e32 v85, 16, v84
	v_mov_b32_e32 v19, 0
	s_mov_b32 s10, exec_lo
	v_and_b32_e32 v6, 0xff, v85
	s_delay_alu instid0(VALU_DEP_2) | instskip(NEXT) | instid1(VALU_DEP_2)
	v_dual_mov_b32 v16, v18 :: v_dual_mov_b32 v17, v19
	v_cmpx_ne_u16_e32 0, v6
	s_cbranch_execz .LBB251_861
; %bb.854:                              ;   in Loop: Header=BB251_803 Depth=1
	v_bfrev_b32_e32 v16, 1
	v_mov_b32_e32 v17, 0
	s_mov_b32 s12, exec_lo
	v_cmpx_ne_u16_e32 0x80, v6
	s_cbranch_execz .LBB251_860
; %bb.855:                              ;   in Loop: Header=BB251_803 Depth=1
	v_mov_b32_e32 v16, 0x7f800001
	v_bfe_u32 v86, v84, 16, 7
	v_mov_b32_e32 v17, 0
	s_mov_b32 s13, exec_lo
	s_delay_alu instid0(VALU_DEP_2)
	v_cmpx_ne_u32_e32 0x7f, v86
	s_cbranch_execz .LBB251_859
; %bb.856:                              ;   in Loop: Header=BB251_803 Depth=1
	v_and_b32_e32 v6, 7, v85
	v_lshrrev_b32_e32 v16, 3, v86
	s_mov_b32 s15, exec_lo
	v_cmpx_gt_u32_e32 8, v86
; %bb.857:                              ;   in Loop: Header=BB251_803 Depth=1
	s_delay_alu instid0(VALU_DEP_3) | instskip(NEXT) | instid1(VALU_DEP_1)
	v_clz_i32_u32_e32 v16, v6
	v_min_u32_e32 v16, 32, v16
	s_delay_alu instid0(VALU_DEP_1) | instskip(SKIP_1) | instid1(VALU_DEP_2)
	v_subrev_nc_u32_e32 v17, 28, v16
	v_sub_nc_u32_e32 v16, 29, v16
	v_lshlrev_b64 v[86:87], v17, v[6:7]
	s_delay_alu instid0(VALU_DEP_1)
	v_and_b32_e32 v6, 7, v86
; %bb.858:                              ;   in Loop: Header=BB251_803 Depth=1
	s_or_b32 exec_lo, exec_lo, s15
	v_lshlrev_b32_e32 v17, 24, v85
	s_delay_alu instid0(VALU_DEP_2) | instskip(SKIP_1) | instid1(VALU_DEP_3)
	v_lshlrev_b32_e32 v6, 20, v6
	v_lshl_add_u32 v16, v16, 23, 0x3c000000
	v_and_b32_e32 v17, 0x80000000, v17
	s_delay_alu instid0(VALU_DEP_1) | instskip(NEXT) | instid1(VALU_DEP_1)
	v_or3_b32 v6, v6, v17, v16
	v_dual_mov_b32 v17, v7 :: v_dual_mov_b32 v16, v6
.LBB251_859:                            ;   in Loop: Header=BB251_803 Depth=1
	s_or_b32 exec_lo, exec_lo, s13
.LBB251_860:                            ;   in Loop: Header=BB251_803 Depth=1
	s_delay_alu instid0(SALU_CYCLE_1)
	s_or_b32 exec_lo, exec_lo, s12
.LBB251_861:                            ;   in Loop: Header=BB251_803 Depth=1
	s_delay_alu instid0(SALU_CYCLE_1) | instskip(NEXT) | instid1(SALU_CYCLE_1)
	s_or_b32 exec_lo, exec_lo, s10
	s_mov_b32 s12, exec_lo
	v_cmpx_lt_u32_e32 0xffffff, v84
	s_cbranch_execz .LBB251_869
; %bb.862:                              ;   in Loop: Header=BB251_803 Depth=1
	v_lshrrev_b32_e32 v85, 24, v84
	v_dual_mov_b32 v19, s9 :: v_dual_mov_b32 v18, s8
	s_mov_b32 s13, exec_lo
	s_delay_alu instid0(VALU_DEP_2)
	v_cmpx_ne_u32_e32 0x80, v85
	s_cbranch_execz .LBB251_868
; %bb.863:                              ;   in Loop: Header=BB251_803 Depth=1
	s_mov_b32 s10, s8
	v_bfe_u32 v84, v84, 24, 7
	v_dual_mov_b32 v19, s11 :: v_dual_mov_b32 v18, s10
	s_mov_b32 s10, exec_lo
	s_delay_alu instid0(VALU_DEP_2)
	v_cmpx_ne_u32_e32 0x7f, v84
	s_cbranch_execz .LBB251_867
; %bb.864:                              ;   in Loop: Header=BB251_803 Depth=1
	v_and_b32_e32 v6, 7, v85
	v_lshrrev_b32_e32 v18, 3, v84
	s_mov_b32 s15, exec_lo
	v_cmpx_gt_u32_e32 8, v84
; %bb.865:                              ;   in Loop: Header=BB251_803 Depth=1
	s_delay_alu instid0(VALU_DEP_3) | instskip(NEXT) | instid1(VALU_DEP_1)
	v_clz_i32_u32_e32 v18, v6
	v_min_u32_e32 v18, 32, v18
	s_delay_alu instid0(VALU_DEP_1) | instskip(SKIP_1) | instid1(VALU_DEP_2)
	v_subrev_nc_u32_e32 v19, 28, v18
	v_sub_nc_u32_e32 v18, 29, v18
	v_lshlrev_b64 v[86:87], v19, v[6:7]
	s_delay_alu instid0(VALU_DEP_1)
	v_and_b32_e32 v6, 7, v86
; %bb.866:                              ;   in Loop: Header=BB251_803 Depth=1
	s_or_b32 exec_lo, exec_lo, s15
	v_lshlrev_b32_e32 v19, 24, v85
	s_delay_alu instid0(VALU_DEP_2) | instskip(SKIP_1) | instid1(VALU_DEP_3)
	v_lshlrev_b32_e32 v6, 20, v6
	v_lshl_add_u32 v18, v18, 23, 0x3c000000
	v_and_b32_e32 v19, 0x80000000, v19
	s_delay_alu instid0(VALU_DEP_1)
	v_or3_b32 v19, v6, v19, v18
	v_mov_b32_e32 v18, v7
.LBB251_867:                            ;   in Loop: Header=BB251_803 Depth=1
	s_or_b32 exec_lo, exec_lo, s10
.LBB251_868:                            ;   in Loop: Header=BB251_803 Depth=1
	s_delay_alu instid0(SALU_CYCLE_1)
	s_or_b32 exec_lo, exec_lo, s13
.LBB251_869:                            ;   in Loop: Header=BB251_803 Depth=1
	s_delay_alu instid0(SALU_CYCLE_1) | instskip(SKIP_4) | instid1(VALU_DEP_4)
	s_or_b32 exec_lo, exec_lo, s12
	v_or_b32_e32 v5, v15, v5
	v_or_b32_e32 v4, v14, v4
	;; [unrolled: 1-line block ×4, first 2 shown]
	v_mul_f32_e32 v87, v68, v5
	s_delay_alu instid0(VALU_DEP_4) | instskip(NEXT) | instid1(VALU_DEP_4)
	v_mul_f32_e32 v86, v64, v4
	v_mul_f32_e32 v84, v68, v6
	s_delay_alu instid0(VALU_DEP_4)
	v_mul_f32_e32 v85, v64, v14
	s_and_saveexec_b32 s10, vcc_lo
; %bb.870:                              ;   in Loop: Header=BB251_803 Depth=1
	v_cmp_lt_i32_e64 s0, v81, v92
	s_delay_alu instid0(VALU_DEP_1) | instskip(SKIP_1) | instid1(VALU_DEP_1)
	v_cndmask_b32_e64 v86, 0, v86, s0
	v_cmp_lt_i32_e64 s0, v83, v92
	v_cndmask_b32_e64 v87, 0, v87, s0
	v_cmp_lt_i32_e64 s0, v82, v92
	s_delay_alu instid0(VALU_DEP_1) | instskip(SKIP_1) | instid1(VALU_DEP_1)
	v_cndmask_b32_e64 v85, 0, v85, s0
	v_cmp_lt_i32_e64 s0, v66, v92
	v_cndmask_b32_e64 v84, 0, v84, s0
; %bb.871:                              ;   in Loop: Header=BB251_803 Depth=1
	s_or_b32 exec_lo, exec_lo, s10
	flat_load_b32 v96, v[12:13] offset:256
	v_mov_b32_e32 v14, 0
	v_mov_b32_e32 v15, 0
	s_mov_b32 s10, exec_lo
	s_waitcnt vmcnt(0) lgkmcnt(0)
	v_and_b32_e32 v6, 0xff, v96
	s_delay_alu instid0(VALU_DEP_2) | instskip(NEXT) | instid1(VALU_DEP_2)
	v_dual_mov_b32 v4, v14 :: v_dual_mov_b32 v5, v15
	v_cmpx_ne_u16_e32 0, v6
	s_cbranch_execz .LBB251_879
; %bb.872:                              ;   in Loop: Header=BB251_803 Depth=1
	v_bfrev_b32_e32 v4, 1
	v_mov_b32_e32 v5, 0
	s_mov_b32 s12, exec_lo
	v_cmpx_ne_u16_e32 0x80, v6
	s_cbranch_execz .LBB251_878
; %bb.873:                              ;   in Loop: Header=BB251_803 Depth=1
	v_mov_b32_e32 v4, 0x7f800001
	v_dual_mov_b32 v5, 0 :: v_dual_and_b32 v16, 0x7f, v96
	s_mov_b32 s13, exec_lo
	s_delay_alu instid0(VALU_DEP_1)
	v_cmpx_ne_u32_e32 0x7f, v16
	s_cbranch_execz .LBB251_877
; %bb.874:                              ;   in Loop: Header=BB251_803 Depth=1
	v_and_b32_e32 v6, 7, v96
	v_lshrrev_b32_e32 v4, 3, v16
	s_mov_b32 s15, exec_lo
	v_cmpx_gt_u32_e32 8, v16
; %bb.875:                              ;   in Loop: Header=BB251_803 Depth=1
	s_delay_alu instid0(VALU_DEP_3) | instskip(NEXT) | instid1(VALU_DEP_1)
	v_clz_i32_u32_e32 v4, v6
	v_min_u32_e32 v4, 32, v4
	s_delay_alu instid0(VALU_DEP_1) | instskip(SKIP_1) | instid1(VALU_DEP_2)
	v_subrev_nc_u32_e32 v5, 28, v4
	v_sub_nc_u32_e32 v4, 29, v4
	v_lshlrev_b64 v[5:6], v5, v[6:7]
	s_delay_alu instid0(VALU_DEP_1)
	v_and_b32_e32 v6, 7, v5
; %bb.876:                              ;   in Loop: Header=BB251_803 Depth=1
	s_or_b32 exec_lo, exec_lo, s15
	v_lshlrev_b32_e32 v5, 24, v96
	s_delay_alu instid0(VALU_DEP_2) | instskip(SKIP_1) | instid1(VALU_DEP_3)
	v_lshlrev_b32_e32 v6, 20, v6
	v_lshl_add_u32 v4, v4, 23, 0x3c000000
	v_and_b32_e32 v5, 0x80000000, v5
	s_delay_alu instid0(VALU_DEP_1) | instskip(NEXT) | instid1(VALU_DEP_1)
	v_or3_b32 v6, v6, v5, v4
	v_dual_mov_b32 v4, v6 :: v_dual_mov_b32 v5, v7
.LBB251_877:                            ;   in Loop: Header=BB251_803 Depth=1
	s_or_b32 exec_lo, exec_lo, s13
.LBB251_878:                            ;   in Loop: Header=BB251_803 Depth=1
	s_delay_alu instid0(SALU_CYCLE_1)
	s_or_b32 exec_lo, exec_lo, s12
.LBB251_879:                            ;   in Loop: Header=BB251_803 Depth=1
	s_delay_alu instid0(SALU_CYCLE_1) | instskip(SKIP_2) | instid1(VALU_DEP_1)
	s_or_b32 exec_lo, exec_lo, s10
	v_lshrrev_b16 v6, 8, v96
	s_mov_b32 s12, exec_lo
	v_cmpx_ne_u16_e32 0, v6
	s_cbranch_execz .LBB251_887
; %bb.880:                              ;   in Loop: Header=BB251_803 Depth=1
	v_dual_mov_b32 v15, s9 :: v_dual_mov_b32 v14, s8
	s_mov_b32 s13, exec_lo
	v_cmpx_ne_u16_e32 0x80, v6
	s_cbranch_execz .LBB251_886
; %bb.881:                              ;   in Loop: Header=BB251_803 Depth=1
	s_mov_b32 s10, s8
	v_dual_mov_b32 v15, s11 :: v_dual_and_b32 v6, 0xffff, v6
	v_mov_b32_e32 v14, s10
	s_mov_b32 s10, exec_lo
	s_delay_alu instid0(VALU_DEP_2) | instskip(NEXT) | instid1(VALU_DEP_1)
	v_and_b32_e32 v16, 0x7f, v6
	v_cmpx_ne_u32_e32 0x7f, v16
	s_cbranch_execz .LBB251_885
; %bb.882:                              ;   in Loop: Header=BB251_803 Depth=1
	v_and_b32_e32 v6, 7, v6
	v_lshrrev_b32_e32 v14, 3, v16
	s_mov_b32 s15, exec_lo
	v_cmpx_gt_u32_e32 8, v16
; %bb.883:                              ;   in Loop: Header=BB251_803 Depth=1
	s_delay_alu instid0(VALU_DEP_3) | instskip(NEXT) | instid1(VALU_DEP_1)
	v_clz_i32_u32_e32 v14, v6
	v_min_u32_e32 v14, 32, v14
	s_delay_alu instid0(VALU_DEP_1) | instskip(SKIP_1) | instid1(VALU_DEP_2)
	v_subrev_nc_u32_e32 v15, 28, v14
	v_sub_nc_u32_e32 v14, 29, v14
	v_lshlrev_b64 v[15:16], v15, v[6:7]
	s_delay_alu instid0(VALU_DEP_1)
	v_and_b32_e32 v6, 7, v15
; %bb.884:                              ;   in Loop: Header=BB251_803 Depth=1
	s_or_b32 exec_lo, exec_lo, s15
	v_lshlrev_b32_e32 v15, 16, v96
	s_delay_alu instid0(VALU_DEP_2) | instskip(SKIP_1) | instid1(VALU_DEP_3)
	v_lshlrev_b32_e32 v6, 20, v6
	v_lshl_add_u32 v14, v14, 23, 0x3c000000
	v_and_b32_e32 v15, 0x80000000, v15
	s_delay_alu instid0(VALU_DEP_1)
	v_or3_b32 v15, v6, v15, v14
	v_mov_b32_e32 v14, v7
.LBB251_885:                            ;   in Loop: Header=BB251_803 Depth=1
	s_or_b32 exec_lo, exec_lo, s10
.LBB251_886:                            ;   in Loop: Header=BB251_803 Depth=1
	s_delay_alu instid0(SALU_CYCLE_1)
	s_or_b32 exec_lo, exec_lo, s13
.LBB251_887:                            ;   in Loop: Header=BB251_803 Depth=1
	s_delay_alu instid0(SALU_CYCLE_1) | instskip(SKIP_4) | instid1(VALU_DEP_2)
	s_or_b32 exec_lo, exec_lo, s12
	v_mov_b32_e32 v18, 0
	v_lshrrev_b32_e32 v97, 16, v96
	v_mov_b32_e32 v19, 0
	s_mov_b32 s10, exec_lo
	v_and_b32_e32 v6, 0xff, v97
	s_delay_alu instid0(VALU_DEP_2) | instskip(NEXT) | instid1(VALU_DEP_2)
	v_dual_mov_b32 v16, v18 :: v_dual_mov_b32 v17, v19
	v_cmpx_ne_u16_e32 0, v6
	s_cbranch_execz .LBB251_895
; %bb.888:                              ;   in Loop: Header=BB251_803 Depth=1
	v_bfrev_b32_e32 v16, 1
	v_mov_b32_e32 v17, 0
	s_mov_b32 s12, exec_lo
	v_cmpx_ne_u16_e32 0x80, v6
	s_cbranch_execz .LBB251_894
; %bb.889:                              ;   in Loop: Header=BB251_803 Depth=1
	v_mov_b32_e32 v16, 0x7f800001
	v_bfe_u32 v98, v96, 16, 7
	v_mov_b32_e32 v17, 0
	s_mov_b32 s13, exec_lo
	s_delay_alu instid0(VALU_DEP_2)
	v_cmpx_ne_u32_e32 0x7f, v98
	s_cbranch_execz .LBB251_893
; %bb.890:                              ;   in Loop: Header=BB251_803 Depth=1
	v_and_b32_e32 v6, 7, v97
	v_lshrrev_b32_e32 v16, 3, v98
	s_mov_b32 s15, exec_lo
	v_cmpx_gt_u32_e32 8, v98
; %bb.891:                              ;   in Loop: Header=BB251_803 Depth=1
	s_delay_alu instid0(VALU_DEP_3) | instskip(NEXT) | instid1(VALU_DEP_1)
	v_clz_i32_u32_e32 v16, v6
	v_min_u32_e32 v16, 32, v16
	s_delay_alu instid0(VALU_DEP_1) | instskip(SKIP_1) | instid1(VALU_DEP_2)
	v_subrev_nc_u32_e32 v17, 28, v16
	v_sub_nc_u32_e32 v16, 29, v16
	v_lshlrev_b64 v[98:99], v17, v[6:7]
	s_delay_alu instid0(VALU_DEP_1)
	v_and_b32_e32 v6, 7, v98
; %bb.892:                              ;   in Loop: Header=BB251_803 Depth=1
	s_or_b32 exec_lo, exec_lo, s15
	v_lshlrev_b32_e32 v17, 24, v97
	s_delay_alu instid0(VALU_DEP_2) | instskip(SKIP_1) | instid1(VALU_DEP_3)
	v_lshlrev_b32_e32 v6, 20, v6
	v_lshl_add_u32 v16, v16, 23, 0x3c000000
	v_and_b32_e32 v17, 0x80000000, v17
	s_delay_alu instid0(VALU_DEP_1) | instskip(NEXT) | instid1(VALU_DEP_1)
	v_or3_b32 v6, v6, v17, v16
	v_dual_mov_b32 v17, v7 :: v_dual_mov_b32 v16, v6
.LBB251_893:                            ;   in Loop: Header=BB251_803 Depth=1
	s_or_b32 exec_lo, exec_lo, s13
.LBB251_894:                            ;   in Loop: Header=BB251_803 Depth=1
	s_delay_alu instid0(SALU_CYCLE_1)
	s_or_b32 exec_lo, exec_lo, s12
.LBB251_895:                            ;   in Loop: Header=BB251_803 Depth=1
	s_delay_alu instid0(SALU_CYCLE_1) | instskip(NEXT) | instid1(SALU_CYCLE_1)
	s_or_b32 exec_lo, exec_lo, s10
	s_mov_b32 s12, exec_lo
	v_cmpx_lt_u32_e32 0xffffff, v96
	s_cbranch_execz .LBB251_903
; %bb.896:                              ;   in Loop: Header=BB251_803 Depth=1
	v_lshrrev_b32_e32 v97, 24, v96
	v_dual_mov_b32 v19, s9 :: v_dual_mov_b32 v18, s8
	s_mov_b32 s13, exec_lo
	s_delay_alu instid0(VALU_DEP_2)
	v_cmpx_ne_u32_e32 0x80, v97
	s_cbranch_execz .LBB251_902
; %bb.897:                              ;   in Loop: Header=BB251_803 Depth=1
	s_mov_b32 s10, s8
	v_bfe_u32 v96, v96, 24, 7
	v_dual_mov_b32 v19, s11 :: v_dual_mov_b32 v18, s10
	s_mov_b32 s10, exec_lo
	s_delay_alu instid0(VALU_DEP_2)
	v_cmpx_ne_u32_e32 0x7f, v96
	s_cbranch_execz .LBB251_901
; %bb.898:                              ;   in Loop: Header=BB251_803 Depth=1
	v_and_b32_e32 v6, 7, v97
	v_lshrrev_b32_e32 v18, 3, v96
	s_mov_b32 s15, exec_lo
	v_cmpx_gt_u32_e32 8, v96
; %bb.899:                              ;   in Loop: Header=BB251_803 Depth=1
	s_delay_alu instid0(VALU_DEP_3) | instskip(NEXT) | instid1(VALU_DEP_1)
	v_clz_i32_u32_e32 v18, v6
	v_min_u32_e32 v18, 32, v18
	s_delay_alu instid0(VALU_DEP_1) | instskip(SKIP_1) | instid1(VALU_DEP_2)
	v_subrev_nc_u32_e32 v19, 28, v18
	v_sub_nc_u32_e32 v18, 29, v18
	v_lshlrev_b64 v[98:99], v19, v[6:7]
	s_delay_alu instid0(VALU_DEP_1)
	v_and_b32_e32 v6, 7, v98
; %bb.900:                              ;   in Loop: Header=BB251_803 Depth=1
	s_or_b32 exec_lo, exec_lo, s15
	v_lshlrev_b32_e32 v19, 24, v97
	s_delay_alu instid0(VALU_DEP_2) | instskip(SKIP_1) | instid1(VALU_DEP_3)
	v_lshlrev_b32_e32 v6, 20, v6
	v_lshl_add_u32 v18, v18, 23, 0x3c000000
	v_and_b32_e32 v19, 0x80000000, v19
	s_delay_alu instid0(VALU_DEP_1)
	v_or3_b32 v19, v6, v19, v18
	v_mov_b32_e32 v18, v7
.LBB251_901:                            ;   in Loop: Header=BB251_803 Depth=1
	s_or_b32 exec_lo, exec_lo, s10
.LBB251_902:                            ;   in Loop: Header=BB251_803 Depth=1
	s_delay_alu instid0(SALU_CYCLE_1)
	s_or_b32 exec_lo, exec_lo, s13
.LBB251_903:                            ;   in Loop: Header=BB251_803 Depth=1
	s_delay_alu instid0(SALU_CYCLE_1) | instskip(SKIP_4) | instid1(VALU_DEP_4)
	s_or_b32 exec_lo, exec_lo, s12
	v_or_b32_e32 v5, v15, v5
	v_or_b32_e32 v4, v14, v4
	;; [unrolled: 1-line block ×4, first 2 shown]
	v_mul_f32_e32 v99, v68, v5
	s_delay_alu instid0(VALU_DEP_4) | instskip(NEXT) | instid1(VALU_DEP_4)
	v_mul_f32_e32 v98, v64, v4
	v_mul_f32_e32 v96, v68, v6
	s_delay_alu instid0(VALU_DEP_4)
	v_mul_f32_e32 v97, v64, v14
	s_and_saveexec_b32 s10, vcc_lo
; %bb.904:                              ;   in Loop: Header=BB251_803 Depth=1
	v_cmp_lt_i32_e64 s0, v81, v92
	s_delay_alu instid0(VALU_DEP_1) | instskip(SKIP_1) | instid1(VALU_DEP_1)
	v_cndmask_b32_e64 v98, 0, v98, s0
	v_cmp_lt_i32_e64 s0, v83, v92
	v_cndmask_b32_e64 v99, 0, v99, s0
	v_cmp_lt_i32_e64 s0, v82, v92
	s_delay_alu instid0(VALU_DEP_1) | instskip(SKIP_1) | instid1(VALU_DEP_1)
	v_cndmask_b32_e64 v97, 0, v97, s0
	v_cmp_lt_i32_e64 s0, v66, v92
	v_cndmask_b32_e64 v96, 0, v96, s0
; %bb.905:                              ;   in Loop: Header=BB251_803 Depth=1
	s_or_b32 exec_lo, exec_lo, s10
	flat_load_b32 v100, v[12:13] offset:384
	v_mov_b32_e32 v14, 0
	v_mov_b32_e32 v15, 0
	s_mov_b32 s10, exec_lo
	s_waitcnt vmcnt(0) lgkmcnt(0)
	v_and_b32_e32 v6, 0xff, v100
	s_delay_alu instid0(VALU_DEP_2) | instskip(NEXT) | instid1(VALU_DEP_2)
	v_dual_mov_b32 v4, v14 :: v_dual_mov_b32 v5, v15
	v_cmpx_ne_u16_e32 0, v6
	s_cbranch_execz .LBB251_913
; %bb.906:                              ;   in Loop: Header=BB251_803 Depth=1
	v_bfrev_b32_e32 v4, 1
	v_mov_b32_e32 v5, 0
	s_mov_b32 s12, exec_lo
	v_cmpx_ne_u16_e32 0x80, v6
	s_cbranch_execz .LBB251_912
; %bb.907:                              ;   in Loop: Header=BB251_803 Depth=1
	v_mov_b32_e32 v4, 0x7f800001
	v_dual_mov_b32 v5, 0 :: v_dual_and_b32 v16, 0x7f, v100
	s_mov_b32 s13, exec_lo
	s_delay_alu instid0(VALU_DEP_1)
	v_cmpx_ne_u32_e32 0x7f, v16
	s_cbranch_execz .LBB251_911
; %bb.908:                              ;   in Loop: Header=BB251_803 Depth=1
	v_and_b32_e32 v6, 7, v100
	v_lshrrev_b32_e32 v4, 3, v16
	s_mov_b32 s15, exec_lo
	v_cmpx_gt_u32_e32 8, v16
; %bb.909:                              ;   in Loop: Header=BB251_803 Depth=1
	s_delay_alu instid0(VALU_DEP_3) | instskip(NEXT) | instid1(VALU_DEP_1)
	v_clz_i32_u32_e32 v4, v6
	v_min_u32_e32 v4, 32, v4
	s_delay_alu instid0(VALU_DEP_1) | instskip(SKIP_1) | instid1(VALU_DEP_2)
	v_subrev_nc_u32_e32 v5, 28, v4
	v_sub_nc_u32_e32 v4, 29, v4
	v_lshlrev_b64 v[5:6], v5, v[6:7]
	s_delay_alu instid0(VALU_DEP_1)
	v_and_b32_e32 v6, 7, v5
; %bb.910:                              ;   in Loop: Header=BB251_803 Depth=1
	s_or_b32 exec_lo, exec_lo, s15
	v_lshlrev_b32_e32 v5, 24, v100
	s_delay_alu instid0(VALU_DEP_2) | instskip(SKIP_1) | instid1(VALU_DEP_3)
	v_lshlrev_b32_e32 v6, 20, v6
	v_lshl_add_u32 v4, v4, 23, 0x3c000000
	v_and_b32_e32 v5, 0x80000000, v5
	s_delay_alu instid0(VALU_DEP_1) | instskip(NEXT) | instid1(VALU_DEP_1)
	v_or3_b32 v6, v6, v5, v4
	v_dual_mov_b32 v4, v6 :: v_dual_mov_b32 v5, v7
.LBB251_911:                            ;   in Loop: Header=BB251_803 Depth=1
	s_or_b32 exec_lo, exec_lo, s13
.LBB251_912:                            ;   in Loop: Header=BB251_803 Depth=1
	s_delay_alu instid0(SALU_CYCLE_1)
	s_or_b32 exec_lo, exec_lo, s12
.LBB251_913:                            ;   in Loop: Header=BB251_803 Depth=1
	s_delay_alu instid0(SALU_CYCLE_1) | instskip(SKIP_2) | instid1(VALU_DEP_1)
	s_or_b32 exec_lo, exec_lo, s10
	v_lshrrev_b16 v6, 8, v100
	s_mov_b32 s12, exec_lo
	v_cmpx_ne_u16_e32 0, v6
	s_cbranch_execz .LBB251_921
; %bb.914:                              ;   in Loop: Header=BB251_803 Depth=1
	v_dual_mov_b32 v15, s9 :: v_dual_mov_b32 v14, s8
	s_mov_b32 s13, exec_lo
	v_cmpx_ne_u16_e32 0x80, v6
	s_cbranch_execz .LBB251_920
; %bb.915:                              ;   in Loop: Header=BB251_803 Depth=1
	s_mov_b32 s10, s8
	v_dual_mov_b32 v15, s11 :: v_dual_and_b32 v6, 0xffff, v6
	v_mov_b32_e32 v14, s10
	s_mov_b32 s10, exec_lo
	s_delay_alu instid0(VALU_DEP_2) | instskip(NEXT) | instid1(VALU_DEP_1)
	v_and_b32_e32 v16, 0x7f, v6
	v_cmpx_ne_u32_e32 0x7f, v16
	s_cbranch_execz .LBB251_919
; %bb.916:                              ;   in Loop: Header=BB251_803 Depth=1
	v_and_b32_e32 v6, 7, v6
	v_lshrrev_b32_e32 v14, 3, v16
	s_mov_b32 s15, exec_lo
	v_cmpx_gt_u32_e32 8, v16
; %bb.917:                              ;   in Loop: Header=BB251_803 Depth=1
	s_delay_alu instid0(VALU_DEP_3) | instskip(NEXT) | instid1(VALU_DEP_1)
	v_clz_i32_u32_e32 v14, v6
	v_min_u32_e32 v14, 32, v14
	s_delay_alu instid0(VALU_DEP_1) | instskip(SKIP_1) | instid1(VALU_DEP_2)
	v_subrev_nc_u32_e32 v15, 28, v14
	v_sub_nc_u32_e32 v14, 29, v14
	v_lshlrev_b64 v[15:16], v15, v[6:7]
	s_delay_alu instid0(VALU_DEP_1)
	v_and_b32_e32 v6, 7, v15
; %bb.918:                              ;   in Loop: Header=BB251_803 Depth=1
	s_or_b32 exec_lo, exec_lo, s15
	v_lshlrev_b32_e32 v15, 16, v100
	s_delay_alu instid0(VALU_DEP_2) | instskip(SKIP_1) | instid1(VALU_DEP_3)
	v_lshlrev_b32_e32 v6, 20, v6
	v_lshl_add_u32 v14, v14, 23, 0x3c000000
	v_and_b32_e32 v15, 0x80000000, v15
	s_delay_alu instid0(VALU_DEP_1)
	v_or3_b32 v15, v6, v15, v14
	v_mov_b32_e32 v14, v7
.LBB251_919:                            ;   in Loop: Header=BB251_803 Depth=1
	s_or_b32 exec_lo, exec_lo, s10
.LBB251_920:                            ;   in Loop: Header=BB251_803 Depth=1
	s_delay_alu instid0(SALU_CYCLE_1)
	s_or_b32 exec_lo, exec_lo, s13
.LBB251_921:                            ;   in Loop: Header=BB251_803 Depth=1
	s_delay_alu instid0(SALU_CYCLE_1) | instskip(SKIP_4) | instid1(VALU_DEP_2)
	s_or_b32 exec_lo, exec_lo, s12
	v_mov_b32_e32 v18, 0
	v_lshrrev_b32_e32 v101, 16, v100
	v_mov_b32_e32 v19, 0
	s_mov_b32 s10, exec_lo
	v_and_b32_e32 v6, 0xff, v101
	s_delay_alu instid0(VALU_DEP_2) | instskip(NEXT) | instid1(VALU_DEP_2)
	v_dual_mov_b32 v16, v18 :: v_dual_mov_b32 v17, v19
	v_cmpx_ne_u16_e32 0, v6
	s_cbranch_execz .LBB251_929
; %bb.922:                              ;   in Loop: Header=BB251_803 Depth=1
	v_bfrev_b32_e32 v16, 1
	v_mov_b32_e32 v17, 0
	s_mov_b32 s12, exec_lo
	v_cmpx_ne_u16_e32 0x80, v6
	s_cbranch_execz .LBB251_928
; %bb.923:                              ;   in Loop: Header=BB251_803 Depth=1
	v_mov_b32_e32 v16, 0x7f800001
	v_bfe_u32 v102, v100, 16, 7
	v_mov_b32_e32 v17, 0
	s_mov_b32 s13, exec_lo
	s_delay_alu instid0(VALU_DEP_2)
	v_cmpx_ne_u32_e32 0x7f, v102
	s_cbranch_execz .LBB251_927
; %bb.924:                              ;   in Loop: Header=BB251_803 Depth=1
	v_and_b32_e32 v6, 7, v101
	v_lshrrev_b32_e32 v16, 3, v102
	s_mov_b32 s15, exec_lo
	v_cmpx_gt_u32_e32 8, v102
; %bb.925:                              ;   in Loop: Header=BB251_803 Depth=1
	s_delay_alu instid0(VALU_DEP_3) | instskip(NEXT) | instid1(VALU_DEP_1)
	v_clz_i32_u32_e32 v16, v6
	v_min_u32_e32 v16, 32, v16
	s_delay_alu instid0(VALU_DEP_1) | instskip(SKIP_1) | instid1(VALU_DEP_2)
	v_subrev_nc_u32_e32 v17, 28, v16
	v_sub_nc_u32_e32 v16, 29, v16
	v_lshlrev_b64 v[102:103], v17, v[6:7]
	s_delay_alu instid0(VALU_DEP_1)
	v_and_b32_e32 v6, 7, v102
; %bb.926:                              ;   in Loop: Header=BB251_803 Depth=1
	s_or_b32 exec_lo, exec_lo, s15
	v_lshlrev_b32_e32 v17, 24, v101
	s_delay_alu instid0(VALU_DEP_2) | instskip(SKIP_1) | instid1(VALU_DEP_3)
	v_lshlrev_b32_e32 v6, 20, v6
	v_lshl_add_u32 v16, v16, 23, 0x3c000000
	v_and_b32_e32 v17, 0x80000000, v17
	s_delay_alu instid0(VALU_DEP_1) | instskip(NEXT) | instid1(VALU_DEP_1)
	v_or3_b32 v6, v6, v17, v16
	v_dual_mov_b32 v17, v7 :: v_dual_mov_b32 v16, v6
.LBB251_927:                            ;   in Loop: Header=BB251_803 Depth=1
	s_or_b32 exec_lo, exec_lo, s13
.LBB251_928:                            ;   in Loop: Header=BB251_803 Depth=1
	s_delay_alu instid0(SALU_CYCLE_1)
	s_or_b32 exec_lo, exec_lo, s12
.LBB251_929:                            ;   in Loop: Header=BB251_803 Depth=1
	s_delay_alu instid0(SALU_CYCLE_1) | instskip(NEXT) | instid1(SALU_CYCLE_1)
	s_or_b32 exec_lo, exec_lo, s10
	s_mov_b32 s12, exec_lo
	v_cmpx_lt_u32_e32 0xffffff, v100
	s_cbranch_execz .LBB251_937
; %bb.930:                              ;   in Loop: Header=BB251_803 Depth=1
	v_lshrrev_b32_e32 v101, 24, v100
	v_dual_mov_b32 v19, s9 :: v_dual_mov_b32 v18, s8
	s_mov_b32 s13, exec_lo
	s_delay_alu instid0(VALU_DEP_2)
	v_cmpx_ne_u32_e32 0x80, v101
	s_cbranch_execz .LBB251_936
; %bb.931:                              ;   in Loop: Header=BB251_803 Depth=1
	s_mov_b32 s10, s8
	v_bfe_u32 v100, v100, 24, 7
	v_dual_mov_b32 v19, s11 :: v_dual_mov_b32 v18, s10
	s_mov_b32 s10, exec_lo
	s_delay_alu instid0(VALU_DEP_2)
	v_cmpx_ne_u32_e32 0x7f, v100
	s_cbranch_execz .LBB251_935
; %bb.932:                              ;   in Loop: Header=BB251_803 Depth=1
	v_and_b32_e32 v6, 7, v101
	v_lshrrev_b32_e32 v18, 3, v100
	s_mov_b32 s15, exec_lo
	v_cmpx_gt_u32_e32 8, v100
; %bb.933:                              ;   in Loop: Header=BB251_803 Depth=1
	s_delay_alu instid0(VALU_DEP_3) | instskip(NEXT) | instid1(VALU_DEP_1)
	v_clz_i32_u32_e32 v18, v6
	v_min_u32_e32 v18, 32, v18
	s_delay_alu instid0(VALU_DEP_1) | instskip(SKIP_1) | instid1(VALU_DEP_2)
	v_subrev_nc_u32_e32 v19, 28, v18
	v_sub_nc_u32_e32 v18, 29, v18
	v_lshlrev_b64 v[102:103], v19, v[6:7]
	s_delay_alu instid0(VALU_DEP_1)
	v_and_b32_e32 v6, 7, v102
; %bb.934:                              ;   in Loop: Header=BB251_803 Depth=1
	s_or_b32 exec_lo, exec_lo, s15
	v_lshlrev_b32_e32 v19, 24, v101
	s_delay_alu instid0(VALU_DEP_2) | instskip(SKIP_1) | instid1(VALU_DEP_3)
	v_lshlrev_b32_e32 v6, 20, v6
	v_lshl_add_u32 v18, v18, 23, 0x3c000000
	v_and_b32_e32 v19, 0x80000000, v19
	s_delay_alu instid0(VALU_DEP_1)
	v_or3_b32 v19, v6, v19, v18
	v_mov_b32_e32 v18, v7
.LBB251_935:                            ;   in Loop: Header=BB251_803 Depth=1
	s_or_b32 exec_lo, exec_lo, s10
.LBB251_936:                            ;   in Loop: Header=BB251_803 Depth=1
	s_delay_alu instid0(SALU_CYCLE_1)
	s_or_b32 exec_lo, exec_lo, s13
.LBB251_937:                            ;   in Loop: Header=BB251_803 Depth=1
	s_delay_alu instid0(SALU_CYCLE_1) | instskip(SKIP_4) | instid1(VALU_DEP_4)
	s_or_b32 exec_lo, exec_lo, s12
	v_or_b32_e32 v5, v15, v5
	v_or_b32_e32 v4, v14, v4
	;; [unrolled: 1-line block ×4, first 2 shown]
	v_mul_f32_e32 v103, v68, v5
	s_delay_alu instid0(VALU_DEP_4) | instskip(NEXT) | instid1(VALU_DEP_4)
	v_mul_f32_e32 v102, v64, v4
	v_mul_f32_e32 v100, v68, v6
	s_delay_alu instid0(VALU_DEP_4)
	v_mul_f32_e32 v101, v64, v14
	s_and_saveexec_b32 s10, vcc_lo
; %bb.938:                              ;   in Loop: Header=BB251_803 Depth=1
	v_cmp_lt_i32_e64 s0, v81, v92
	s_delay_alu instid0(VALU_DEP_1) | instskip(SKIP_1) | instid1(VALU_DEP_1)
	v_cndmask_b32_e64 v102, 0, v102, s0
	v_cmp_lt_i32_e64 s0, v83, v92
	v_cndmask_b32_e64 v103, 0, v103, s0
	v_cmp_lt_i32_e64 s0, v82, v92
	s_delay_alu instid0(VALU_DEP_1) | instskip(SKIP_1) | instid1(VALU_DEP_1)
	v_cndmask_b32_e64 v101, 0, v101, s0
	v_cmp_lt_i32_e64 s0, v66, v92
	v_cndmask_b32_e64 v100, 0, v100, s0
; %bb.939:                              ;   in Loop: Header=BB251_803 Depth=1
	s_or_b32 exec_lo, exec_lo, s10
	flat_load_b32 v112, v[12:13] offset:512
	v_mov_b32_e32 v14, 0
	v_mov_b32_e32 v15, 0
	s_mov_b32 s10, exec_lo
	s_waitcnt vmcnt(0) lgkmcnt(0)
	v_and_b32_e32 v6, 0xff, v112
	s_delay_alu instid0(VALU_DEP_2) | instskip(NEXT) | instid1(VALU_DEP_2)
	v_dual_mov_b32 v4, v14 :: v_dual_mov_b32 v5, v15
	v_cmpx_ne_u16_e32 0, v6
	s_cbranch_execz .LBB251_947
; %bb.940:                              ;   in Loop: Header=BB251_803 Depth=1
	v_bfrev_b32_e32 v4, 1
	v_mov_b32_e32 v5, 0
	s_mov_b32 s12, exec_lo
	v_cmpx_ne_u16_e32 0x80, v6
	s_cbranch_execz .LBB251_946
; %bb.941:                              ;   in Loop: Header=BB251_803 Depth=1
	v_mov_b32_e32 v4, 0x7f800001
	v_dual_mov_b32 v5, 0 :: v_dual_and_b32 v16, 0x7f, v112
	s_mov_b32 s13, exec_lo
	s_delay_alu instid0(VALU_DEP_1)
	v_cmpx_ne_u32_e32 0x7f, v16
	s_cbranch_execz .LBB251_945
; %bb.942:                              ;   in Loop: Header=BB251_803 Depth=1
	v_and_b32_e32 v6, 7, v112
	v_lshrrev_b32_e32 v4, 3, v16
	s_mov_b32 s15, exec_lo
	v_cmpx_gt_u32_e32 8, v16
; %bb.943:                              ;   in Loop: Header=BB251_803 Depth=1
	s_delay_alu instid0(VALU_DEP_3) | instskip(NEXT) | instid1(VALU_DEP_1)
	v_clz_i32_u32_e32 v4, v6
	v_min_u32_e32 v4, 32, v4
	s_delay_alu instid0(VALU_DEP_1) | instskip(SKIP_1) | instid1(VALU_DEP_2)
	v_subrev_nc_u32_e32 v5, 28, v4
	v_sub_nc_u32_e32 v4, 29, v4
	v_lshlrev_b64 v[5:6], v5, v[6:7]
	s_delay_alu instid0(VALU_DEP_1)
	v_and_b32_e32 v6, 7, v5
; %bb.944:                              ;   in Loop: Header=BB251_803 Depth=1
	s_or_b32 exec_lo, exec_lo, s15
	v_lshlrev_b32_e32 v5, 24, v112
	s_delay_alu instid0(VALU_DEP_2) | instskip(SKIP_1) | instid1(VALU_DEP_3)
	v_lshlrev_b32_e32 v6, 20, v6
	v_lshl_add_u32 v4, v4, 23, 0x3c000000
	v_and_b32_e32 v5, 0x80000000, v5
	s_delay_alu instid0(VALU_DEP_1) | instskip(NEXT) | instid1(VALU_DEP_1)
	v_or3_b32 v6, v6, v5, v4
	v_dual_mov_b32 v4, v6 :: v_dual_mov_b32 v5, v7
.LBB251_945:                            ;   in Loop: Header=BB251_803 Depth=1
	s_or_b32 exec_lo, exec_lo, s13
.LBB251_946:                            ;   in Loop: Header=BB251_803 Depth=1
	s_delay_alu instid0(SALU_CYCLE_1)
	s_or_b32 exec_lo, exec_lo, s12
.LBB251_947:                            ;   in Loop: Header=BB251_803 Depth=1
	s_delay_alu instid0(SALU_CYCLE_1) | instskip(SKIP_2) | instid1(VALU_DEP_1)
	s_or_b32 exec_lo, exec_lo, s10
	v_lshrrev_b16 v6, 8, v112
	s_mov_b32 s12, exec_lo
	v_cmpx_ne_u16_e32 0, v6
	s_cbranch_execz .LBB251_955
; %bb.948:                              ;   in Loop: Header=BB251_803 Depth=1
	v_dual_mov_b32 v15, s9 :: v_dual_mov_b32 v14, s8
	s_mov_b32 s13, exec_lo
	v_cmpx_ne_u16_e32 0x80, v6
	s_cbranch_execz .LBB251_954
; %bb.949:                              ;   in Loop: Header=BB251_803 Depth=1
	s_mov_b32 s10, s8
	v_dual_mov_b32 v15, s11 :: v_dual_and_b32 v6, 0xffff, v6
	v_mov_b32_e32 v14, s10
	s_mov_b32 s10, exec_lo
	s_delay_alu instid0(VALU_DEP_2) | instskip(NEXT) | instid1(VALU_DEP_1)
	v_and_b32_e32 v16, 0x7f, v6
	v_cmpx_ne_u32_e32 0x7f, v16
	s_cbranch_execz .LBB251_953
; %bb.950:                              ;   in Loop: Header=BB251_803 Depth=1
	v_and_b32_e32 v6, 7, v6
	v_lshrrev_b32_e32 v14, 3, v16
	s_mov_b32 s15, exec_lo
	v_cmpx_gt_u32_e32 8, v16
; %bb.951:                              ;   in Loop: Header=BB251_803 Depth=1
	s_delay_alu instid0(VALU_DEP_3) | instskip(NEXT) | instid1(VALU_DEP_1)
	v_clz_i32_u32_e32 v14, v6
	v_min_u32_e32 v14, 32, v14
	s_delay_alu instid0(VALU_DEP_1) | instskip(SKIP_1) | instid1(VALU_DEP_2)
	v_subrev_nc_u32_e32 v15, 28, v14
	v_sub_nc_u32_e32 v14, 29, v14
	v_lshlrev_b64 v[15:16], v15, v[6:7]
	s_delay_alu instid0(VALU_DEP_1)
	v_and_b32_e32 v6, 7, v15
; %bb.952:                              ;   in Loop: Header=BB251_803 Depth=1
	s_or_b32 exec_lo, exec_lo, s15
	v_lshlrev_b32_e32 v15, 16, v112
	s_delay_alu instid0(VALU_DEP_2) | instskip(SKIP_1) | instid1(VALU_DEP_3)
	v_lshlrev_b32_e32 v6, 20, v6
	v_lshl_add_u32 v14, v14, 23, 0x3c000000
	v_and_b32_e32 v15, 0x80000000, v15
	s_delay_alu instid0(VALU_DEP_1)
	v_or3_b32 v15, v6, v15, v14
	v_mov_b32_e32 v14, v7
.LBB251_953:                            ;   in Loop: Header=BB251_803 Depth=1
	s_or_b32 exec_lo, exec_lo, s10
.LBB251_954:                            ;   in Loop: Header=BB251_803 Depth=1
	s_delay_alu instid0(SALU_CYCLE_1)
	s_or_b32 exec_lo, exec_lo, s13
.LBB251_955:                            ;   in Loop: Header=BB251_803 Depth=1
	s_delay_alu instid0(SALU_CYCLE_1) | instskip(SKIP_4) | instid1(VALU_DEP_2)
	s_or_b32 exec_lo, exec_lo, s12
	v_mov_b32_e32 v18, 0
	v_lshrrev_b32_e32 v113, 16, v112
	v_mov_b32_e32 v19, 0
	s_mov_b32 s10, exec_lo
	v_and_b32_e32 v6, 0xff, v113
	s_delay_alu instid0(VALU_DEP_2) | instskip(NEXT) | instid1(VALU_DEP_2)
	v_dual_mov_b32 v16, v18 :: v_dual_mov_b32 v17, v19
	v_cmpx_ne_u16_e32 0, v6
	s_cbranch_execz .LBB251_963
; %bb.956:                              ;   in Loop: Header=BB251_803 Depth=1
	v_bfrev_b32_e32 v16, 1
	v_mov_b32_e32 v17, 0
	s_mov_b32 s12, exec_lo
	v_cmpx_ne_u16_e32 0x80, v6
	s_cbranch_execz .LBB251_962
; %bb.957:                              ;   in Loop: Header=BB251_803 Depth=1
	v_mov_b32_e32 v16, 0x7f800001
	v_bfe_u32 v114, v112, 16, 7
	v_mov_b32_e32 v17, 0
	s_mov_b32 s13, exec_lo
	s_delay_alu instid0(VALU_DEP_2)
	v_cmpx_ne_u32_e32 0x7f, v114
	s_cbranch_execz .LBB251_961
; %bb.958:                              ;   in Loop: Header=BB251_803 Depth=1
	v_and_b32_e32 v6, 7, v113
	v_lshrrev_b32_e32 v16, 3, v114
	s_mov_b32 s15, exec_lo
	v_cmpx_gt_u32_e32 8, v114
; %bb.959:                              ;   in Loop: Header=BB251_803 Depth=1
	s_delay_alu instid0(VALU_DEP_3) | instskip(NEXT) | instid1(VALU_DEP_1)
	v_clz_i32_u32_e32 v16, v6
	v_min_u32_e32 v16, 32, v16
	s_delay_alu instid0(VALU_DEP_1) | instskip(SKIP_1) | instid1(VALU_DEP_2)
	v_subrev_nc_u32_e32 v17, 28, v16
	v_sub_nc_u32_e32 v16, 29, v16
	v_lshlrev_b64 v[114:115], v17, v[6:7]
	s_delay_alu instid0(VALU_DEP_1)
	v_and_b32_e32 v6, 7, v114
; %bb.960:                              ;   in Loop: Header=BB251_803 Depth=1
	s_or_b32 exec_lo, exec_lo, s15
	v_lshlrev_b32_e32 v17, 24, v113
	s_delay_alu instid0(VALU_DEP_2) | instskip(SKIP_1) | instid1(VALU_DEP_3)
	v_lshlrev_b32_e32 v6, 20, v6
	v_lshl_add_u32 v16, v16, 23, 0x3c000000
	v_and_b32_e32 v17, 0x80000000, v17
	s_delay_alu instid0(VALU_DEP_1) | instskip(NEXT) | instid1(VALU_DEP_1)
	v_or3_b32 v6, v6, v17, v16
	v_dual_mov_b32 v17, v7 :: v_dual_mov_b32 v16, v6
.LBB251_961:                            ;   in Loop: Header=BB251_803 Depth=1
	s_or_b32 exec_lo, exec_lo, s13
.LBB251_962:                            ;   in Loop: Header=BB251_803 Depth=1
	s_delay_alu instid0(SALU_CYCLE_1)
	s_or_b32 exec_lo, exec_lo, s12
.LBB251_963:                            ;   in Loop: Header=BB251_803 Depth=1
	s_delay_alu instid0(SALU_CYCLE_1) | instskip(NEXT) | instid1(SALU_CYCLE_1)
	s_or_b32 exec_lo, exec_lo, s10
	s_mov_b32 s12, exec_lo
	v_cmpx_lt_u32_e32 0xffffff, v112
	s_cbranch_execz .LBB251_971
; %bb.964:                              ;   in Loop: Header=BB251_803 Depth=1
	v_lshrrev_b32_e32 v113, 24, v112
	v_dual_mov_b32 v19, s9 :: v_dual_mov_b32 v18, s8
	s_mov_b32 s13, exec_lo
	s_delay_alu instid0(VALU_DEP_2)
	v_cmpx_ne_u32_e32 0x80, v113
	s_cbranch_execz .LBB251_970
; %bb.965:                              ;   in Loop: Header=BB251_803 Depth=1
	s_mov_b32 s10, s8
	v_bfe_u32 v112, v112, 24, 7
	v_dual_mov_b32 v19, s11 :: v_dual_mov_b32 v18, s10
	s_mov_b32 s10, exec_lo
	s_delay_alu instid0(VALU_DEP_2)
	v_cmpx_ne_u32_e32 0x7f, v112
	s_cbranch_execz .LBB251_969
; %bb.966:                              ;   in Loop: Header=BB251_803 Depth=1
	v_and_b32_e32 v6, 7, v113
	v_lshrrev_b32_e32 v18, 3, v112
	s_mov_b32 s15, exec_lo
	v_cmpx_gt_u32_e32 8, v112
; %bb.967:                              ;   in Loop: Header=BB251_803 Depth=1
	s_delay_alu instid0(VALU_DEP_3) | instskip(NEXT) | instid1(VALU_DEP_1)
	v_clz_i32_u32_e32 v18, v6
	v_min_u32_e32 v18, 32, v18
	s_delay_alu instid0(VALU_DEP_1) | instskip(SKIP_1) | instid1(VALU_DEP_2)
	v_subrev_nc_u32_e32 v19, 28, v18
	v_sub_nc_u32_e32 v18, 29, v18
	v_lshlrev_b64 v[114:115], v19, v[6:7]
	s_delay_alu instid0(VALU_DEP_1)
	v_and_b32_e32 v6, 7, v114
; %bb.968:                              ;   in Loop: Header=BB251_803 Depth=1
	s_or_b32 exec_lo, exec_lo, s15
	v_lshlrev_b32_e32 v19, 24, v113
	s_delay_alu instid0(VALU_DEP_2) | instskip(SKIP_1) | instid1(VALU_DEP_3)
	v_lshlrev_b32_e32 v6, 20, v6
	v_lshl_add_u32 v18, v18, 23, 0x3c000000
	v_and_b32_e32 v19, 0x80000000, v19
	s_delay_alu instid0(VALU_DEP_1)
	v_or3_b32 v19, v6, v19, v18
	v_mov_b32_e32 v18, v7
.LBB251_969:                            ;   in Loop: Header=BB251_803 Depth=1
	s_or_b32 exec_lo, exec_lo, s10
.LBB251_970:                            ;   in Loop: Header=BB251_803 Depth=1
	s_delay_alu instid0(SALU_CYCLE_1)
	s_or_b32 exec_lo, exec_lo, s13
.LBB251_971:                            ;   in Loop: Header=BB251_803 Depth=1
	s_delay_alu instid0(SALU_CYCLE_1) | instskip(SKIP_4) | instid1(VALU_DEP_4)
	s_or_b32 exec_lo, exec_lo, s12
	v_or_b32_e32 v5, v15, v5
	v_or_b32_e32 v4, v14, v4
	;; [unrolled: 1-line block ×4, first 2 shown]
	v_mul_f32_e32 v115, v68, v5
	s_delay_alu instid0(VALU_DEP_4) | instskip(NEXT) | instid1(VALU_DEP_4)
	v_mul_f32_e32 v114, v64, v4
	v_mul_f32_e32 v112, v68, v6
	s_delay_alu instid0(VALU_DEP_4)
	v_mul_f32_e32 v113, v64, v14
	s_and_saveexec_b32 s10, vcc_lo
; %bb.972:                              ;   in Loop: Header=BB251_803 Depth=1
	v_cmp_lt_i32_e64 s0, v81, v92
	s_delay_alu instid0(VALU_DEP_1) | instskip(SKIP_1) | instid1(VALU_DEP_1)
	v_cndmask_b32_e64 v114, 0, v114, s0
	v_cmp_lt_i32_e64 s0, v83, v92
	v_cndmask_b32_e64 v115, 0, v115, s0
	v_cmp_lt_i32_e64 s0, v82, v92
	s_delay_alu instid0(VALU_DEP_1) | instskip(SKIP_1) | instid1(VALU_DEP_1)
	v_cndmask_b32_e64 v113, 0, v113, s0
	v_cmp_lt_i32_e64 s0, v66, v92
	v_cndmask_b32_e64 v112, 0, v112, s0
; %bb.973:                              ;   in Loop: Header=BB251_803 Depth=1
	s_or_b32 exec_lo, exec_lo, s10
	flat_load_b32 v116, v[12:13] offset:640
	v_mov_b32_e32 v14, 0
	v_mov_b32_e32 v15, 0
	s_mov_b32 s10, exec_lo
	s_waitcnt vmcnt(0) lgkmcnt(0)
	v_and_b32_e32 v6, 0xff, v116
	s_delay_alu instid0(VALU_DEP_2) | instskip(NEXT) | instid1(VALU_DEP_2)
	v_dual_mov_b32 v4, v14 :: v_dual_mov_b32 v5, v15
	v_cmpx_ne_u16_e32 0, v6
	s_cbranch_execz .LBB251_981
; %bb.974:                              ;   in Loop: Header=BB251_803 Depth=1
	v_bfrev_b32_e32 v4, 1
	v_mov_b32_e32 v5, 0
	s_mov_b32 s12, exec_lo
	v_cmpx_ne_u16_e32 0x80, v6
	s_cbranch_execz .LBB251_980
; %bb.975:                              ;   in Loop: Header=BB251_803 Depth=1
	v_mov_b32_e32 v4, 0x7f800001
	v_dual_mov_b32 v5, 0 :: v_dual_and_b32 v16, 0x7f, v116
	s_mov_b32 s13, exec_lo
	s_delay_alu instid0(VALU_DEP_1)
	v_cmpx_ne_u32_e32 0x7f, v16
	s_cbranch_execz .LBB251_979
; %bb.976:                              ;   in Loop: Header=BB251_803 Depth=1
	v_and_b32_e32 v6, 7, v116
	v_lshrrev_b32_e32 v4, 3, v16
	s_mov_b32 s15, exec_lo
	v_cmpx_gt_u32_e32 8, v16
; %bb.977:                              ;   in Loop: Header=BB251_803 Depth=1
	s_delay_alu instid0(VALU_DEP_3) | instskip(NEXT) | instid1(VALU_DEP_1)
	v_clz_i32_u32_e32 v4, v6
	v_min_u32_e32 v4, 32, v4
	s_delay_alu instid0(VALU_DEP_1) | instskip(SKIP_1) | instid1(VALU_DEP_2)
	v_subrev_nc_u32_e32 v5, 28, v4
	v_sub_nc_u32_e32 v4, 29, v4
	v_lshlrev_b64 v[5:6], v5, v[6:7]
	s_delay_alu instid0(VALU_DEP_1)
	v_and_b32_e32 v6, 7, v5
; %bb.978:                              ;   in Loop: Header=BB251_803 Depth=1
	s_or_b32 exec_lo, exec_lo, s15
	v_lshlrev_b32_e32 v5, 24, v116
	s_delay_alu instid0(VALU_DEP_2) | instskip(SKIP_1) | instid1(VALU_DEP_3)
	v_lshlrev_b32_e32 v6, 20, v6
	v_lshl_add_u32 v4, v4, 23, 0x3c000000
	v_and_b32_e32 v5, 0x80000000, v5
	s_delay_alu instid0(VALU_DEP_1) | instskip(NEXT) | instid1(VALU_DEP_1)
	v_or3_b32 v6, v6, v5, v4
	v_dual_mov_b32 v4, v6 :: v_dual_mov_b32 v5, v7
.LBB251_979:                            ;   in Loop: Header=BB251_803 Depth=1
	s_or_b32 exec_lo, exec_lo, s13
.LBB251_980:                            ;   in Loop: Header=BB251_803 Depth=1
	s_delay_alu instid0(SALU_CYCLE_1)
	s_or_b32 exec_lo, exec_lo, s12
.LBB251_981:                            ;   in Loop: Header=BB251_803 Depth=1
	s_delay_alu instid0(SALU_CYCLE_1) | instskip(SKIP_2) | instid1(VALU_DEP_1)
	s_or_b32 exec_lo, exec_lo, s10
	v_lshrrev_b16 v6, 8, v116
	s_mov_b32 s12, exec_lo
	v_cmpx_ne_u16_e32 0, v6
	s_cbranch_execz .LBB251_989
; %bb.982:                              ;   in Loop: Header=BB251_803 Depth=1
	v_dual_mov_b32 v15, s9 :: v_dual_mov_b32 v14, s8
	s_mov_b32 s13, exec_lo
	v_cmpx_ne_u16_e32 0x80, v6
	s_cbranch_execz .LBB251_988
; %bb.983:                              ;   in Loop: Header=BB251_803 Depth=1
	s_mov_b32 s10, s8
	v_dual_mov_b32 v15, s11 :: v_dual_and_b32 v6, 0xffff, v6
	v_mov_b32_e32 v14, s10
	s_mov_b32 s10, exec_lo
	s_delay_alu instid0(VALU_DEP_2) | instskip(NEXT) | instid1(VALU_DEP_1)
	v_and_b32_e32 v16, 0x7f, v6
	v_cmpx_ne_u32_e32 0x7f, v16
	s_cbranch_execz .LBB251_987
; %bb.984:                              ;   in Loop: Header=BB251_803 Depth=1
	v_and_b32_e32 v6, 7, v6
	v_lshrrev_b32_e32 v14, 3, v16
	s_mov_b32 s15, exec_lo
	v_cmpx_gt_u32_e32 8, v16
; %bb.985:                              ;   in Loop: Header=BB251_803 Depth=1
	s_delay_alu instid0(VALU_DEP_3) | instskip(NEXT) | instid1(VALU_DEP_1)
	v_clz_i32_u32_e32 v14, v6
	v_min_u32_e32 v14, 32, v14
	s_delay_alu instid0(VALU_DEP_1) | instskip(SKIP_1) | instid1(VALU_DEP_2)
	v_subrev_nc_u32_e32 v15, 28, v14
	v_sub_nc_u32_e32 v14, 29, v14
	v_lshlrev_b64 v[15:16], v15, v[6:7]
	s_delay_alu instid0(VALU_DEP_1)
	v_and_b32_e32 v6, 7, v15
; %bb.986:                              ;   in Loop: Header=BB251_803 Depth=1
	s_or_b32 exec_lo, exec_lo, s15
	v_lshlrev_b32_e32 v15, 16, v116
	s_delay_alu instid0(VALU_DEP_2) | instskip(SKIP_1) | instid1(VALU_DEP_3)
	v_lshlrev_b32_e32 v6, 20, v6
	v_lshl_add_u32 v14, v14, 23, 0x3c000000
	v_and_b32_e32 v15, 0x80000000, v15
	s_delay_alu instid0(VALU_DEP_1)
	v_or3_b32 v15, v6, v15, v14
	v_mov_b32_e32 v14, v7
.LBB251_987:                            ;   in Loop: Header=BB251_803 Depth=1
	s_or_b32 exec_lo, exec_lo, s10
.LBB251_988:                            ;   in Loop: Header=BB251_803 Depth=1
	s_delay_alu instid0(SALU_CYCLE_1)
	s_or_b32 exec_lo, exec_lo, s13
.LBB251_989:                            ;   in Loop: Header=BB251_803 Depth=1
	s_delay_alu instid0(SALU_CYCLE_1) | instskip(SKIP_4) | instid1(VALU_DEP_2)
	s_or_b32 exec_lo, exec_lo, s12
	v_mov_b32_e32 v18, 0
	v_lshrrev_b32_e32 v117, 16, v116
	v_mov_b32_e32 v19, 0
	s_mov_b32 s10, exec_lo
	v_and_b32_e32 v6, 0xff, v117
	s_delay_alu instid0(VALU_DEP_2) | instskip(NEXT) | instid1(VALU_DEP_2)
	v_dual_mov_b32 v16, v18 :: v_dual_mov_b32 v17, v19
	v_cmpx_ne_u16_e32 0, v6
	s_cbranch_execz .LBB251_997
; %bb.990:                              ;   in Loop: Header=BB251_803 Depth=1
	v_bfrev_b32_e32 v16, 1
	v_mov_b32_e32 v17, 0
	s_mov_b32 s12, exec_lo
	v_cmpx_ne_u16_e32 0x80, v6
	s_cbranch_execz .LBB251_996
; %bb.991:                              ;   in Loop: Header=BB251_803 Depth=1
	v_mov_b32_e32 v16, 0x7f800001
	v_bfe_u32 v118, v116, 16, 7
	v_mov_b32_e32 v17, 0
	s_mov_b32 s13, exec_lo
	s_delay_alu instid0(VALU_DEP_2)
	v_cmpx_ne_u32_e32 0x7f, v118
	s_cbranch_execz .LBB251_995
; %bb.992:                              ;   in Loop: Header=BB251_803 Depth=1
	v_and_b32_e32 v6, 7, v117
	v_lshrrev_b32_e32 v16, 3, v118
	s_mov_b32 s15, exec_lo
	v_cmpx_gt_u32_e32 8, v118
; %bb.993:                              ;   in Loop: Header=BB251_803 Depth=1
	s_delay_alu instid0(VALU_DEP_3) | instskip(NEXT) | instid1(VALU_DEP_1)
	v_clz_i32_u32_e32 v16, v6
	v_min_u32_e32 v16, 32, v16
	s_delay_alu instid0(VALU_DEP_1) | instskip(SKIP_1) | instid1(VALU_DEP_2)
	v_subrev_nc_u32_e32 v17, 28, v16
	v_sub_nc_u32_e32 v16, 29, v16
	v_lshlrev_b64 v[118:119], v17, v[6:7]
	s_delay_alu instid0(VALU_DEP_1)
	v_and_b32_e32 v6, 7, v118
; %bb.994:                              ;   in Loop: Header=BB251_803 Depth=1
	s_or_b32 exec_lo, exec_lo, s15
	v_lshlrev_b32_e32 v17, 24, v117
	s_delay_alu instid0(VALU_DEP_2) | instskip(SKIP_1) | instid1(VALU_DEP_3)
	v_lshlrev_b32_e32 v6, 20, v6
	v_lshl_add_u32 v16, v16, 23, 0x3c000000
	v_and_b32_e32 v17, 0x80000000, v17
	s_delay_alu instid0(VALU_DEP_1) | instskip(NEXT) | instid1(VALU_DEP_1)
	v_or3_b32 v6, v6, v17, v16
	v_dual_mov_b32 v17, v7 :: v_dual_mov_b32 v16, v6
.LBB251_995:                            ;   in Loop: Header=BB251_803 Depth=1
	s_or_b32 exec_lo, exec_lo, s13
.LBB251_996:                            ;   in Loop: Header=BB251_803 Depth=1
	s_delay_alu instid0(SALU_CYCLE_1)
	s_or_b32 exec_lo, exec_lo, s12
.LBB251_997:                            ;   in Loop: Header=BB251_803 Depth=1
	s_delay_alu instid0(SALU_CYCLE_1) | instskip(NEXT) | instid1(SALU_CYCLE_1)
	s_or_b32 exec_lo, exec_lo, s10
	s_mov_b32 s12, exec_lo
	v_cmpx_lt_u32_e32 0xffffff, v116
	s_cbranch_execz .LBB251_1005
; %bb.998:                              ;   in Loop: Header=BB251_803 Depth=1
	v_lshrrev_b32_e32 v117, 24, v116
	v_dual_mov_b32 v19, s9 :: v_dual_mov_b32 v18, s8
	s_mov_b32 s13, exec_lo
	s_delay_alu instid0(VALU_DEP_2)
	v_cmpx_ne_u32_e32 0x80, v117
	s_cbranch_execz .LBB251_1004
; %bb.999:                              ;   in Loop: Header=BB251_803 Depth=1
	s_mov_b32 s10, s8
	v_bfe_u32 v116, v116, 24, 7
	v_dual_mov_b32 v19, s11 :: v_dual_mov_b32 v18, s10
	s_mov_b32 s10, exec_lo
	s_delay_alu instid0(VALU_DEP_2)
	v_cmpx_ne_u32_e32 0x7f, v116
	s_cbranch_execz .LBB251_1003
; %bb.1000:                             ;   in Loop: Header=BB251_803 Depth=1
	v_and_b32_e32 v6, 7, v117
	v_lshrrev_b32_e32 v18, 3, v116
	s_mov_b32 s15, exec_lo
	v_cmpx_gt_u32_e32 8, v116
; %bb.1001:                             ;   in Loop: Header=BB251_803 Depth=1
	s_delay_alu instid0(VALU_DEP_3) | instskip(NEXT) | instid1(VALU_DEP_1)
	v_clz_i32_u32_e32 v18, v6
	v_min_u32_e32 v18, 32, v18
	s_delay_alu instid0(VALU_DEP_1) | instskip(SKIP_1) | instid1(VALU_DEP_2)
	v_subrev_nc_u32_e32 v19, 28, v18
	v_sub_nc_u32_e32 v18, 29, v18
	v_lshlrev_b64 v[118:119], v19, v[6:7]
	s_delay_alu instid0(VALU_DEP_1)
	v_and_b32_e32 v6, 7, v118
; %bb.1002:                             ;   in Loop: Header=BB251_803 Depth=1
	s_or_b32 exec_lo, exec_lo, s15
	v_lshlrev_b32_e32 v19, 24, v117
	s_delay_alu instid0(VALU_DEP_2) | instskip(SKIP_1) | instid1(VALU_DEP_3)
	v_lshlrev_b32_e32 v6, 20, v6
	v_lshl_add_u32 v18, v18, 23, 0x3c000000
	v_and_b32_e32 v19, 0x80000000, v19
	s_delay_alu instid0(VALU_DEP_1)
	v_or3_b32 v19, v6, v19, v18
	v_mov_b32_e32 v18, v7
.LBB251_1003:                           ;   in Loop: Header=BB251_803 Depth=1
	s_or_b32 exec_lo, exec_lo, s10
.LBB251_1004:                           ;   in Loop: Header=BB251_803 Depth=1
	s_delay_alu instid0(SALU_CYCLE_1)
	s_or_b32 exec_lo, exec_lo, s13
.LBB251_1005:                           ;   in Loop: Header=BB251_803 Depth=1
	s_delay_alu instid0(SALU_CYCLE_1) | instskip(SKIP_4) | instid1(VALU_DEP_4)
	s_or_b32 exec_lo, exec_lo, s12
	v_or_b32_e32 v5, v15, v5
	v_or_b32_e32 v4, v14, v4
	;; [unrolled: 1-line block ×4, first 2 shown]
	v_mul_f32_e32 v119, v68, v5
	s_delay_alu instid0(VALU_DEP_4) | instskip(NEXT) | instid1(VALU_DEP_4)
	v_mul_f32_e32 v118, v64, v4
	v_mul_f32_e32 v116, v68, v6
	s_delay_alu instid0(VALU_DEP_4)
	v_mul_f32_e32 v117, v64, v14
	s_and_saveexec_b32 s10, vcc_lo
; %bb.1006:                             ;   in Loop: Header=BB251_803 Depth=1
	v_cmp_lt_i32_e64 s0, v81, v92
	s_delay_alu instid0(VALU_DEP_1) | instskip(SKIP_1) | instid1(VALU_DEP_1)
	v_cndmask_b32_e64 v118, 0, v118, s0
	v_cmp_lt_i32_e64 s0, v83, v92
	v_cndmask_b32_e64 v119, 0, v119, s0
	v_cmp_lt_i32_e64 s0, v82, v92
	s_delay_alu instid0(VALU_DEP_1) | instskip(SKIP_1) | instid1(VALU_DEP_1)
	v_cndmask_b32_e64 v117, 0, v117, s0
	v_cmp_lt_i32_e64 s0, v66, v92
	v_cndmask_b32_e64 v116, 0, v116, s0
; %bb.1007:                             ;   in Loop: Header=BB251_803 Depth=1
	s_or_b32 exec_lo, exec_lo, s10
	flat_load_b32 v128, v[12:13] offset:768
	v_mov_b32_e32 v14, 0
	v_mov_b32_e32 v15, 0
	s_mov_b32 s10, exec_lo
	s_waitcnt vmcnt(0) lgkmcnt(0)
	v_and_b32_e32 v6, 0xff, v128
	s_delay_alu instid0(VALU_DEP_2) | instskip(NEXT) | instid1(VALU_DEP_2)
	v_dual_mov_b32 v4, v14 :: v_dual_mov_b32 v5, v15
	v_cmpx_ne_u16_e32 0, v6
	s_cbranch_execz .LBB251_1015
; %bb.1008:                             ;   in Loop: Header=BB251_803 Depth=1
	v_bfrev_b32_e32 v4, 1
	v_mov_b32_e32 v5, 0
	s_mov_b32 s12, exec_lo
	v_cmpx_ne_u16_e32 0x80, v6
	s_cbranch_execz .LBB251_1014
; %bb.1009:                             ;   in Loop: Header=BB251_803 Depth=1
	v_mov_b32_e32 v4, 0x7f800001
	v_dual_mov_b32 v5, 0 :: v_dual_and_b32 v16, 0x7f, v128
	s_mov_b32 s13, exec_lo
	s_delay_alu instid0(VALU_DEP_1)
	v_cmpx_ne_u32_e32 0x7f, v16
	s_cbranch_execz .LBB251_1013
; %bb.1010:                             ;   in Loop: Header=BB251_803 Depth=1
	v_and_b32_e32 v6, 7, v128
	v_lshrrev_b32_e32 v4, 3, v16
	s_mov_b32 s15, exec_lo
	v_cmpx_gt_u32_e32 8, v16
; %bb.1011:                             ;   in Loop: Header=BB251_803 Depth=1
	s_delay_alu instid0(VALU_DEP_3) | instskip(NEXT) | instid1(VALU_DEP_1)
	v_clz_i32_u32_e32 v4, v6
	v_min_u32_e32 v4, 32, v4
	s_delay_alu instid0(VALU_DEP_1) | instskip(SKIP_1) | instid1(VALU_DEP_2)
	v_subrev_nc_u32_e32 v5, 28, v4
	v_sub_nc_u32_e32 v4, 29, v4
	v_lshlrev_b64 v[5:6], v5, v[6:7]
	s_delay_alu instid0(VALU_DEP_1)
	v_and_b32_e32 v6, 7, v5
; %bb.1012:                             ;   in Loop: Header=BB251_803 Depth=1
	s_or_b32 exec_lo, exec_lo, s15
	v_lshlrev_b32_e32 v5, 24, v128
	s_delay_alu instid0(VALU_DEP_2) | instskip(SKIP_1) | instid1(VALU_DEP_3)
	v_lshlrev_b32_e32 v6, 20, v6
	v_lshl_add_u32 v4, v4, 23, 0x3c000000
	v_and_b32_e32 v5, 0x80000000, v5
	s_delay_alu instid0(VALU_DEP_1) | instskip(NEXT) | instid1(VALU_DEP_1)
	v_or3_b32 v6, v6, v5, v4
	v_dual_mov_b32 v4, v6 :: v_dual_mov_b32 v5, v7
.LBB251_1013:                           ;   in Loop: Header=BB251_803 Depth=1
	s_or_b32 exec_lo, exec_lo, s13
.LBB251_1014:                           ;   in Loop: Header=BB251_803 Depth=1
	s_delay_alu instid0(SALU_CYCLE_1)
	s_or_b32 exec_lo, exec_lo, s12
.LBB251_1015:                           ;   in Loop: Header=BB251_803 Depth=1
	s_delay_alu instid0(SALU_CYCLE_1) | instskip(SKIP_2) | instid1(VALU_DEP_1)
	s_or_b32 exec_lo, exec_lo, s10
	v_lshrrev_b16 v6, 8, v128
	s_mov_b32 s12, exec_lo
	v_cmpx_ne_u16_e32 0, v6
	s_cbranch_execz .LBB251_1023
; %bb.1016:                             ;   in Loop: Header=BB251_803 Depth=1
	v_dual_mov_b32 v15, s9 :: v_dual_mov_b32 v14, s8
	s_mov_b32 s13, exec_lo
	v_cmpx_ne_u16_e32 0x80, v6
	s_cbranch_execz .LBB251_1022
; %bb.1017:                             ;   in Loop: Header=BB251_803 Depth=1
	s_mov_b32 s10, s8
	v_dual_mov_b32 v15, s11 :: v_dual_and_b32 v6, 0xffff, v6
	v_mov_b32_e32 v14, s10
	s_mov_b32 s10, exec_lo
	s_delay_alu instid0(VALU_DEP_2) | instskip(NEXT) | instid1(VALU_DEP_1)
	v_and_b32_e32 v16, 0x7f, v6
	v_cmpx_ne_u32_e32 0x7f, v16
	s_cbranch_execz .LBB251_1021
; %bb.1018:                             ;   in Loop: Header=BB251_803 Depth=1
	v_and_b32_e32 v6, 7, v6
	v_lshrrev_b32_e32 v14, 3, v16
	s_mov_b32 s15, exec_lo
	v_cmpx_gt_u32_e32 8, v16
; %bb.1019:                             ;   in Loop: Header=BB251_803 Depth=1
	s_delay_alu instid0(VALU_DEP_3) | instskip(NEXT) | instid1(VALU_DEP_1)
	v_clz_i32_u32_e32 v14, v6
	v_min_u32_e32 v14, 32, v14
	s_delay_alu instid0(VALU_DEP_1) | instskip(SKIP_1) | instid1(VALU_DEP_2)
	v_subrev_nc_u32_e32 v15, 28, v14
	v_sub_nc_u32_e32 v14, 29, v14
	v_lshlrev_b64 v[15:16], v15, v[6:7]
	s_delay_alu instid0(VALU_DEP_1)
	v_and_b32_e32 v6, 7, v15
; %bb.1020:                             ;   in Loop: Header=BB251_803 Depth=1
	s_or_b32 exec_lo, exec_lo, s15
	v_lshlrev_b32_e32 v15, 16, v128
	s_delay_alu instid0(VALU_DEP_2) | instskip(SKIP_1) | instid1(VALU_DEP_3)
	v_lshlrev_b32_e32 v6, 20, v6
	v_lshl_add_u32 v14, v14, 23, 0x3c000000
	v_and_b32_e32 v15, 0x80000000, v15
	s_delay_alu instid0(VALU_DEP_1)
	v_or3_b32 v15, v6, v15, v14
	v_mov_b32_e32 v14, v7
.LBB251_1021:                           ;   in Loop: Header=BB251_803 Depth=1
	s_or_b32 exec_lo, exec_lo, s10
.LBB251_1022:                           ;   in Loop: Header=BB251_803 Depth=1
	s_delay_alu instid0(SALU_CYCLE_1)
	s_or_b32 exec_lo, exec_lo, s13
.LBB251_1023:                           ;   in Loop: Header=BB251_803 Depth=1
	s_delay_alu instid0(SALU_CYCLE_1) | instskip(SKIP_4) | instid1(VALU_DEP_2)
	s_or_b32 exec_lo, exec_lo, s12
	v_mov_b32_e32 v18, 0
	v_lshrrev_b32_e32 v129, 16, v128
	v_mov_b32_e32 v19, 0
	s_mov_b32 s10, exec_lo
	v_and_b32_e32 v6, 0xff, v129
	s_delay_alu instid0(VALU_DEP_2) | instskip(NEXT) | instid1(VALU_DEP_2)
	v_dual_mov_b32 v16, v18 :: v_dual_mov_b32 v17, v19
	v_cmpx_ne_u16_e32 0, v6
	s_cbranch_execz .LBB251_1031
; %bb.1024:                             ;   in Loop: Header=BB251_803 Depth=1
	v_bfrev_b32_e32 v16, 1
	v_mov_b32_e32 v17, 0
	s_mov_b32 s12, exec_lo
	v_cmpx_ne_u16_e32 0x80, v6
	s_cbranch_execz .LBB251_1030
; %bb.1025:                             ;   in Loop: Header=BB251_803 Depth=1
	v_mov_b32_e32 v16, 0x7f800001
	v_bfe_u32 v130, v128, 16, 7
	v_mov_b32_e32 v17, 0
	s_mov_b32 s13, exec_lo
	s_delay_alu instid0(VALU_DEP_2)
	v_cmpx_ne_u32_e32 0x7f, v130
	s_cbranch_execz .LBB251_1029
; %bb.1026:                             ;   in Loop: Header=BB251_803 Depth=1
	v_and_b32_e32 v6, 7, v129
	v_lshrrev_b32_e32 v16, 3, v130
	s_mov_b32 s15, exec_lo
	v_cmpx_gt_u32_e32 8, v130
; %bb.1027:                             ;   in Loop: Header=BB251_803 Depth=1
	s_delay_alu instid0(VALU_DEP_3) | instskip(NEXT) | instid1(VALU_DEP_1)
	v_clz_i32_u32_e32 v16, v6
	v_min_u32_e32 v16, 32, v16
	s_delay_alu instid0(VALU_DEP_1) | instskip(SKIP_1) | instid1(VALU_DEP_2)
	v_subrev_nc_u32_e32 v17, 28, v16
	v_sub_nc_u32_e32 v16, 29, v16
	v_lshlrev_b64 v[130:131], v17, v[6:7]
	s_delay_alu instid0(VALU_DEP_1)
	v_and_b32_e32 v6, 7, v130
; %bb.1028:                             ;   in Loop: Header=BB251_803 Depth=1
	s_or_b32 exec_lo, exec_lo, s15
	v_lshlrev_b32_e32 v17, 24, v129
	s_delay_alu instid0(VALU_DEP_2) | instskip(SKIP_1) | instid1(VALU_DEP_3)
	v_lshlrev_b32_e32 v6, 20, v6
	v_lshl_add_u32 v16, v16, 23, 0x3c000000
	v_and_b32_e32 v17, 0x80000000, v17
	s_delay_alu instid0(VALU_DEP_1) | instskip(NEXT) | instid1(VALU_DEP_1)
	v_or3_b32 v6, v6, v17, v16
	v_dual_mov_b32 v17, v7 :: v_dual_mov_b32 v16, v6
.LBB251_1029:                           ;   in Loop: Header=BB251_803 Depth=1
	s_or_b32 exec_lo, exec_lo, s13
.LBB251_1030:                           ;   in Loop: Header=BB251_803 Depth=1
	s_delay_alu instid0(SALU_CYCLE_1)
	s_or_b32 exec_lo, exec_lo, s12
.LBB251_1031:                           ;   in Loop: Header=BB251_803 Depth=1
	s_delay_alu instid0(SALU_CYCLE_1) | instskip(NEXT) | instid1(SALU_CYCLE_1)
	s_or_b32 exec_lo, exec_lo, s10
	s_mov_b32 s12, exec_lo
	v_cmpx_lt_u32_e32 0xffffff, v128
	s_cbranch_execz .LBB251_1039
; %bb.1032:                             ;   in Loop: Header=BB251_803 Depth=1
	v_lshrrev_b32_e32 v129, 24, v128
	v_dual_mov_b32 v19, s9 :: v_dual_mov_b32 v18, s8
	s_mov_b32 s13, exec_lo
	s_delay_alu instid0(VALU_DEP_2)
	v_cmpx_ne_u32_e32 0x80, v129
	s_cbranch_execz .LBB251_1038
; %bb.1033:                             ;   in Loop: Header=BB251_803 Depth=1
	s_mov_b32 s10, s8
	v_bfe_u32 v128, v128, 24, 7
	v_dual_mov_b32 v19, s11 :: v_dual_mov_b32 v18, s10
	s_mov_b32 s10, exec_lo
	s_delay_alu instid0(VALU_DEP_2)
	v_cmpx_ne_u32_e32 0x7f, v128
	s_cbranch_execz .LBB251_1037
; %bb.1034:                             ;   in Loop: Header=BB251_803 Depth=1
	v_and_b32_e32 v6, 7, v129
	v_lshrrev_b32_e32 v18, 3, v128
	s_mov_b32 s15, exec_lo
	v_cmpx_gt_u32_e32 8, v128
; %bb.1035:                             ;   in Loop: Header=BB251_803 Depth=1
	s_delay_alu instid0(VALU_DEP_3) | instskip(NEXT) | instid1(VALU_DEP_1)
	v_clz_i32_u32_e32 v18, v6
	v_min_u32_e32 v18, 32, v18
	s_delay_alu instid0(VALU_DEP_1) | instskip(SKIP_1) | instid1(VALU_DEP_2)
	v_subrev_nc_u32_e32 v19, 28, v18
	v_sub_nc_u32_e32 v18, 29, v18
	v_lshlrev_b64 v[130:131], v19, v[6:7]
	s_delay_alu instid0(VALU_DEP_1)
	v_and_b32_e32 v6, 7, v130
; %bb.1036:                             ;   in Loop: Header=BB251_803 Depth=1
	s_or_b32 exec_lo, exec_lo, s15
	v_lshlrev_b32_e32 v19, 24, v129
	s_delay_alu instid0(VALU_DEP_2) | instskip(SKIP_1) | instid1(VALU_DEP_3)
	v_lshlrev_b32_e32 v6, 20, v6
	v_lshl_add_u32 v18, v18, 23, 0x3c000000
	v_and_b32_e32 v19, 0x80000000, v19
	s_delay_alu instid0(VALU_DEP_1)
	v_or3_b32 v19, v6, v19, v18
	v_mov_b32_e32 v18, v7
.LBB251_1037:                           ;   in Loop: Header=BB251_803 Depth=1
	s_or_b32 exec_lo, exec_lo, s10
.LBB251_1038:                           ;   in Loop: Header=BB251_803 Depth=1
	s_delay_alu instid0(SALU_CYCLE_1)
	s_or_b32 exec_lo, exec_lo, s13
.LBB251_1039:                           ;   in Loop: Header=BB251_803 Depth=1
	s_delay_alu instid0(SALU_CYCLE_1) | instskip(SKIP_4) | instid1(VALU_DEP_4)
	s_or_b32 exec_lo, exec_lo, s12
	v_or_b32_e32 v5, v15, v5
	v_or_b32_e32 v4, v14, v4
	;; [unrolled: 1-line block ×4, first 2 shown]
	v_mul_f32_e32 v131, v68, v5
	s_delay_alu instid0(VALU_DEP_4) | instskip(NEXT) | instid1(VALU_DEP_4)
	v_mul_f32_e32 v130, v64, v4
	v_mul_f32_e32 v128, v68, v6
	s_delay_alu instid0(VALU_DEP_4)
	v_mul_f32_e32 v129, v64, v14
	s_and_saveexec_b32 s10, vcc_lo
; %bb.1040:                             ;   in Loop: Header=BB251_803 Depth=1
	v_cmp_lt_i32_e64 s0, v81, v92
	s_delay_alu instid0(VALU_DEP_1) | instskip(SKIP_1) | instid1(VALU_DEP_1)
	v_cndmask_b32_e64 v130, 0, v130, s0
	v_cmp_lt_i32_e64 s0, v83, v92
	v_cndmask_b32_e64 v131, 0, v131, s0
	v_cmp_lt_i32_e64 s0, v82, v92
	s_delay_alu instid0(VALU_DEP_1) | instskip(SKIP_1) | instid1(VALU_DEP_1)
	v_cndmask_b32_e64 v129, 0, v129, s0
	v_cmp_lt_i32_e64 s0, v66, v92
	v_cndmask_b32_e64 v128, 0, v128, s0
; %bb.1041:                             ;   in Loop: Header=BB251_803 Depth=1
	s_or_b32 exec_lo, exec_lo, s10
	flat_load_b32 v132, v[12:13] offset:896
	v_mov_b32_e32 v14, 0
	v_mov_b32_e32 v15, 0
	s_mov_b32 s10, exec_lo
	s_waitcnt vmcnt(0) lgkmcnt(0)
	v_and_b32_e32 v6, 0xff, v132
	s_delay_alu instid0(VALU_DEP_2) | instskip(NEXT) | instid1(VALU_DEP_2)
	v_dual_mov_b32 v4, v14 :: v_dual_mov_b32 v5, v15
	v_cmpx_ne_u16_e32 0, v6
	s_cbranch_execz .LBB251_1049
; %bb.1042:                             ;   in Loop: Header=BB251_803 Depth=1
	v_bfrev_b32_e32 v4, 1
	v_mov_b32_e32 v5, 0
	s_mov_b32 s12, exec_lo
	v_cmpx_ne_u16_e32 0x80, v6
	s_cbranch_execz .LBB251_1048
; %bb.1043:                             ;   in Loop: Header=BB251_803 Depth=1
	v_mov_b32_e32 v4, 0x7f800001
	v_dual_mov_b32 v5, 0 :: v_dual_and_b32 v16, 0x7f, v132
	s_mov_b32 s13, exec_lo
	s_delay_alu instid0(VALU_DEP_1)
	v_cmpx_ne_u32_e32 0x7f, v16
	s_cbranch_execz .LBB251_1047
; %bb.1044:                             ;   in Loop: Header=BB251_803 Depth=1
	v_and_b32_e32 v6, 7, v132
	v_lshrrev_b32_e32 v4, 3, v16
	s_mov_b32 s15, exec_lo
	v_cmpx_gt_u32_e32 8, v16
; %bb.1045:                             ;   in Loop: Header=BB251_803 Depth=1
	s_delay_alu instid0(VALU_DEP_3) | instskip(NEXT) | instid1(VALU_DEP_1)
	v_clz_i32_u32_e32 v4, v6
	v_min_u32_e32 v4, 32, v4
	s_delay_alu instid0(VALU_DEP_1) | instskip(SKIP_1) | instid1(VALU_DEP_2)
	v_subrev_nc_u32_e32 v5, 28, v4
	v_sub_nc_u32_e32 v4, 29, v4
	v_lshlrev_b64 v[5:6], v5, v[6:7]
	s_delay_alu instid0(VALU_DEP_1)
	v_and_b32_e32 v6, 7, v5
; %bb.1046:                             ;   in Loop: Header=BB251_803 Depth=1
	s_or_b32 exec_lo, exec_lo, s15
	v_lshlrev_b32_e32 v5, 24, v132
	s_delay_alu instid0(VALU_DEP_2) | instskip(SKIP_1) | instid1(VALU_DEP_3)
	v_lshlrev_b32_e32 v6, 20, v6
	v_lshl_add_u32 v4, v4, 23, 0x3c000000
	v_and_b32_e32 v5, 0x80000000, v5
	s_delay_alu instid0(VALU_DEP_1) | instskip(NEXT) | instid1(VALU_DEP_1)
	v_or3_b32 v6, v6, v5, v4
	v_dual_mov_b32 v4, v6 :: v_dual_mov_b32 v5, v7
.LBB251_1047:                           ;   in Loop: Header=BB251_803 Depth=1
	s_or_b32 exec_lo, exec_lo, s13
.LBB251_1048:                           ;   in Loop: Header=BB251_803 Depth=1
	s_delay_alu instid0(SALU_CYCLE_1)
	s_or_b32 exec_lo, exec_lo, s12
.LBB251_1049:                           ;   in Loop: Header=BB251_803 Depth=1
	s_delay_alu instid0(SALU_CYCLE_1) | instskip(SKIP_2) | instid1(VALU_DEP_1)
	s_or_b32 exec_lo, exec_lo, s10
	v_lshrrev_b16 v6, 8, v132
	s_mov_b32 s12, exec_lo
	v_cmpx_ne_u16_e32 0, v6
	s_cbranch_execz .LBB251_1057
; %bb.1050:                             ;   in Loop: Header=BB251_803 Depth=1
	v_dual_mov_b32 v15, s9 :: v_dual_mov_b32 v14, s8
	s_mov_b32 s13, exec_lo
	v_cmpx_ne_u16_e32 0x80, v6
	s_cbranch_execz .LBB251_1056
; %bb.1051:                             ;   in Loop: Header=BB251_803 Depth=1
	s_mov_b32 s10, s8
	v_dual_mov_b32 v15, s11 :: v_dual_and_b32 v6, 0xffff, v6
	v_mov_b32_e32 v14, s10
	s_mov_b32 s10, exec_lo
	s_delay_alu instid0(VALU_DEP_2) | instskip(NEXT) | instid1(VALU_DEP_1)
	v_and_b32_e32 v16, 0x7f, v6
	v_cmpx_ne_u32_e32 0x7f, v16
	s_cbranch_execz .LBB251_1055
; %bb.1052:                             ;   in Loop: Header=BB251_803 Depth=1
	v_and_b32_e32 v6, 7, v6
	v_lshrrev_b32_e32 v14, 3, v16
	s_mov_b32 s15, exec_lo
	v_cmpx_gt_u32_e32 8, v16
; %bb.1053:                             ;   in Loop: Header=BB251_803 Depth=1
	s_delay_alu instid0(VALU_DEP_3) | instskip(NEXT) | instid1(VALU_DEP_1)
	v_clz_i32_u32_e32 v14, v6
	v_min_u32_e32 v14, 32, v14
	s_delay_alu instid0(VALU_DEP_1) | instskip(SKIP_1) | instid1(VALU_DEP_2)
	v_subrev_nc_u32_e32 v15, 28, v14
	v_sub_nc_u32_e32 v14, 29, v14
	v_lshlrev_b64 v[15:16], v15, v[6:7]
	s_delay_alu instid0(VALU_DEP_1)
	v_and_b32_e32 v6, 7, v15
; %bb.1054:                             ;   in Loop: Header=BB251_803 Depth=1
	s_or_b32 exec_lo, exec_lo, s15
	v_lshlrev_b32_e32 v15, 16, v132
	s_delay_alu instid0(VALU_DEP_2) | instskip(SKIP_1) | instid1(VALU_DEP_3)
	v_lshlrev_b32_e32 v6, 20, v6
	v_lshl_add_u32 v14, v14, 23, 0x3c000000
	v_and_b32_e32 v15, 0x80000000, v15
	s_delay_alu instid0(VALU_DEP_1)
	v_or3_b32 v15, v6, v15, v14
	v_mov_b32_e32 v14, v7
.LBB251_1055:                           ;   in Loop: Header=BB251_803 Depth=1
	s_or_b32 exec_lo, exec_lo, s10
.LBB251_1056:                           ;   in Loop: Header=BB251_803 Depth=1
	s_delay_alu instid0(SALU_CYCLE_1)
	s_or_b32 exec_lo, exec_lo, s13
.LBB251_1057:                           ;   in Loop: Header=BB251_803 Depth=1
	s_delay_alu instid0(SALU_CYCLE_1) | instskip(SKIP_4) | instid1(VALU_DEP_2)
	s_or_b32 exec_lo, exec_lo, s12
	v_mov_b32_e32 v18, 0
	v_lshrrev_b32_e32 v133, 16, v132
	v_mov_b32_e32 v19, 0
	s_mov_b32 s10, exec_lo
	v_and_b32_e32 v6, 0xff, v133
	s_delay_alu instid0(VALU_DEP_2) | instskip(NEXT) | instid1(VALU_DEP_2)
	v_dual_mov_b32 v16, v18 :: v_dual_mov_b32 v17, v19
	v_cmpx_ne_u16_e32 0, v6
	s_cbranch_execz .LBB251_1065
; %bb.1058:                             ;   in Loop: Header=BB251_803 Depth=1
	v_bfrev_b32_e32 v16, 1
	v_mov_b32_e32 v17, 0
	s_mov_b32 s12, exec_lo
	v_cmpx_ne_u16_e32 0x80, v6
	s_cbranch_execz .LBB251_1064
; %bb.1059:                             ;   in Loop: Header=BB251_803 Depth=1
	v_mov_b32_e32 v16, 0x7f800001
	v_bfe_u32 v134, v132, 16, 7
	v_mov_b32_e32 v17, 0
	s_mov_b32 s13, exec_lo
	s_delay_alu instid0(VALU_DEP_2)
	v_cmpx_ne_u32_e32 0x7f, v134
	s_cbranch_execz .LBB251_1063
; %bb.1060:                             ;   in Loop: Header=BB251_803 Depth=1
	v_and_b32_e32 v6, 7, v133
	v_lshrrev_b32_e32 v16, 3, v134
	s_mov_b32 s15, exec_lo
	v_cmpx_gt_u32_e32 8, v134
; %bb.1061:                             ;   in Loop: Header=BB251_803 Depth=1
	s_delay_alu instid0(VALU_DEP_3) | instskip(NEXT) | instid1(VALU_DEP_1)
	v_clz_i32_u32_e32 v16, v6
	v_min_u32_e32 v16, 32, v16
	s_delay_alu instid0(VALU_DEP_1) | instskip(SKIP_1) | instid1(VALU_DEP_2)
	v_subrev_nc_u32_e32 v17, 28, v16
	v_sub_nc_u32_e32 v16, 29, v16
	v_lshlrev_b64 v[134:135], v17, v[6:7]
	s_delay_alu instid0(VALU_DEP_1)
	v_and_b32_e32 v6, 7, v134
; %bb.1062:                             ;   in Loop: Header=BB251_803 Depth=1
	s_or_b32 exec_lo, exec_lo, s15
	v_lshlrev_b32_e32 v17, 24, v133
	s_delay_alu instid0(VALU_DEP_2) | instskip(SKIP_1) | instid1(VALU_DEP_3)
	v_lshlrev_b32_e32 v6, 20, v6
	v_lshl_add_u32 v16, v16, 23, 0x3c000000
	v_and_b32_e32 v17, 0x80000000, v17
	s_delay_alu instid0(VALU_DEP_1) | instskip(NEXT) | instid1(VALU_DEP_1)
	v_or3_b32 v6, v6, v17, v16
	v_dual_mov_b32 v17, v7 :: v_dual_mov_b32 v16, v6
.LBB251_1063:                           ;   in Loop: Header=BB251_803 Depth=1
	s_or_b32 exec_lo, exec_lo, s13
.LBB251_1064:                           ;   in Loop: Header=BB251_803 Depth=1
	s_delay_alu instid0(SALU_CYCLE_1)
	s_or_b32 exec_lo, exec_lo, s12
.LBB251_1065:                           ;   in Loop: Header=BB251_803 Depth=1
	s_delay_alu instid0(SALU_CYCLE_1) | instskip(NEXT) | instid1(SALU_CYCLE_1)
	s_or_b32 exec_lo, exec_lo, s10
	s_mov_b32 s12, exec_lo
	v_cmpx_lt_u32_e32 0xffffff, v132
	s_cbranch_execz .LBB251_1073
; %bb.1066:                             ;   in Loop: Header=BB251_803 Depth=1
	v_lshrrev_b32_e32 v133, 24, v132
	v_dual_mov_b32 v19, s9 :: v_dual_mov_b32 v18, s8
	s_mov_b32 s13, exec_lo
	s_delay_alu instid0(VALU_DEP_2)
	v_cmpx_ne_u32_e32 0x80, v133
	s_cbranch_execz .LBB251_1072
; %bb.1067:                             ;   in Loop: Header=BB251_803 Depth=1
	s_mov_b32 s10, s8
	v_bfe_u32 v132, v132, 24, 7
	v_dual_mov_b32 v19, s11 :: v_dual_mov_b32 v18, s10
	s_mov_b32 s10, exec_lo
	s_delay_alu instid0(VALU_DEP_2)
	v_cmpx_ne_u32_e32 0x7f, v132
	s_cbranch_execz .LBB251_1071
; %bb.1068:                             ;   in Loop: Header=BB251_803 Depth=1
	v_and_b32_e32 v6, 7, v133
	v_lshrrev_b32_e32 v18, 3, v132
	s_mov_b32 s15, exec_lo
	v_cmpx_gt_u32_e32 8, v132
; %bb.1069:                             ;   in Loop: Header=BB251_803 Depth=1
	s_delay_alu instid0(VALU_DEP_3) | instskip(NEXT) | instid1(VALU_DEP_1)
	v_clz_i32_u32_e32 v18, v6
	v_min_u32_e32 v18, 32, v18
	s_delay_alu instid0(VALU_DEP_1) | instskip(SKIP_1) | instid1(VALU_DEP_2)
	v_subrev_nc_u32_e32 v19, 28, v18
	v_sub_nc_u32_e32 v18, 29, v18
	v_lshlrev_b64 v[134:135], v19, v[6:7]
	s_delay_alu instid0(VALU_DEP_1)
	v_and_b32_e32 v6, 7, v134
; %bb.1070:                             ;   in Loop: Header=BB251_803 Depth=1
	s_or_b32 exec_lo, exec_lo, s15
	v_lshlrev_b32_e32 v19, 24, v133
	s_delay_alu instid0(VALU_DEP_2) | instskip(SKIP_1) | instid1(VALU_DEP_3)
	v_lshlrev_b32_e32 v6, 20, v6
	v_lshl_add_u32 v18, v18, 23, 0x3c000000
	v_and_b32_e32 v19, 0x80000000, v19
	s_delay_alu instid0(VALU_DEP_1)
	v_or3_b32 v19, v6, v19, v18
	v_mov_b32_e32 v18, v7
.LBB251_1071:                           ;   in Loop: Header=BB251_803 Depth=1
	s_or_b32 exec_lo, exec_lo, s10
.LBB251_1072:                           ;   in Loop: Header=BB251_803 Depth=1
	s_delay_alu instid0(SALU_CYCLE_1)
	s_or_b32 exec_lo, exec_lo, s13
.LBB251_1073:                           ;   in Loop: Header=BB251_803 Depth=1
	s_delay_alu instid0(SALU_CYCLE_1) | instskip(SKIP_4) | instid1(VALU_DEP_4)
	s_or_b32 exec_lo, exec_lo, s12
	v_or_b32_e32 v5, v15, v5
	v_or_b32_e32 v4, v14, v4
	;; [unrolled: 1-line block ×4, first 2 shown]
	v_mul_f32_e32 v135, v68, v5
	s_delay_alu instid0(VALU_DEP_4) | instskip(NEXT) | instid1(VALU_DEP_4)
	v_mul_f32_e32 v134, v64, v4
	v_mul_f32_e32 v132, v68, v6
	s_delay_alu instid0(VALU_DEP_4)
	v_mul_f32_e32 v133, v64, v14
	s_and_saveexec_b32 s10, vcc_lo
; %bb.1074:                             ;   in Loop: Header=BB251_803 Depth=1
	v_cmp_lt_i32_e64 s0, v81, v92
	s_delay_alu instid0(VALU_DEP_1) | instskip(SKIP_1) | instid1(VALU_DEP_1)
	v_cndmask_b32_e64 v134, 0, v134, s0
	v_cmp_lt_i32_e64 s0, v83, v92
	v_cndmask_b32_e64 v135, 0, v135, s0
	v_cmp_lt_i32_e64 s0, v82, v92
	s_delay_alu instid0(VALU_DEP_1) | instskip(SKIP_1) | instid1(VALU_DEP_1)
	v_cndmask_b32_e64 v133, 0, v133, s0
	v_cmp_lt_i32_e64 s0, v66, v92
	v_cndmask_b32_e64 v132, 0, v132, s0
; %bb.1075:                             ;   in Loop: Header=BB251_803 Depth=1
	s_or_b32 exec_lo, exec_lo, s10
	flat_load_b32 v144, v[12:13] offset:1024
	v_mov_b32_e32 v14, 0
	v_mov_b32_e32 v15, 0
	s_mov_b32 s10, exec_lo
	s_waitcnt vmcnt(0) lgkmcnt(0)
	v_and_b32_e32 v6, 0xff, v144
	s_delay_alu instid0(VALU_DEP_2) | instskip(NEXT) | instid1(VALU_DEP_2)
	v_dual_mov_b32 v4, v14 :: v_dual_mov_b32 v5, v15
	v_cmpx_ne_u16_e32 0, v6
	s_cbranch_execz .LBB251_1083
; %bb.1076:                             ;   in Loop: Header=BB251_803 Depth=1
	v_bfrev_b32_e32 v4, 1
	v_mov_b32_e32 v5, 0
	s_mov_b32 s12, exec_lo
	v_cmpx_ne_u16_e32 0x80, v6
	s_cbranch_execz .LBB251_1082
; %bb.1077:                             ;   in Loop: Header=BB251_803 Depth=1
	v_mov_b32_e32 v4, 0x7f800001
	v_dual_mov_b32 v5, 0 :: v_dual_and_b32 v16, 0x7f, v144
	s_mov_b32 s13, exec_lo
	s_delay_alu instid0(VALU_DEP_1)
	v_cmpx_ne_u32_e32 0x7f, v16
	s_cbranch_execz .LBB251_1081
; %bb.1078:                             ;   in Loop: Header=BB251_803 Depth=1
	v_and_b32_e32 v6, 7, v144
	v_lshrrev_b32_e32 v4, 3, v16
	s_mov_b32 s15, exec_lo
	v_cmpx_gt_u32_e32 8, v16
; %bb.1079:                             ;   in Loop: Header=BB251_803 Depth=1
	s_delay_alu instid0(VALU_DEP_3) | instskip(NEXT) | instid1(VALU_DEP_1)
	v_clz_i32_u32_e32 v4, v6
	v_min_u32_e32 v4, 32, v4
	s_delay_alu instid0(VALU_DEP_1) | instskip(SKIP_1) | instid1(VALU_DEP_2)
	v_subrev_nc_u32_e32 v5, 28, v4
	v_sub_nc_u32_e32 v4, 29, v4
	v_lshlrev_b64 v[5:6], v5, v[6:7]
	s_delay_alu instid0(VALU_DEP_1)
	v_and_b32_e32 v6, 7, v5
; %bb.1080:                             ;   in Loop: Header=BB251_803 Depth=1
	s_or_b32 exec_lo, exec_lo, s15
	v_lshlrev_b32_e32 v5, 24, v144
	s_delay_alu instid0(VALU_DEP_2) | instskip(SKIP_1) | instid1(VALU_DEP_3)
	v_lshlrev_b32_e32 v6, 20, v6
	v_lshl_add_u32 v4, v4, 23, 0x3c000000
	v_and_b32_e32 v5, 0x80000000, v5
	s_delay_alu instid0(VALU_DEP_1) | instskip(NEXT) | instid1(VALU_DEP_1)
	v_or3_b32 v6, v6, v5, v4
	v_dual_mov_b32 v4, v6 :: v_dual_mov_b32 v5, v7
.LBB251_1081:                           ;   in Loop: Header=BB251_803 Depth=1
	s_or_b32 exec_lo, exec_lo, s13
.LBB251_1082:                           ;   in Loop: Header=BB251_803 Depth=1
	s_delay_alu instid0(SALU_CYCLE_1)
	s_or_b32 exec_lo, exec_lo, s12
.LBB251_1083:                           ;   in Loop: Header=BB251_803 Depth=1
	s_delay_alu instid0(SALU_CYCLE_1) | instskip(SKIP_2) | instid1(VALU_DEP_1)
	s_or_b32 exec_lo, exec_lo, s10
	v_lshrrev_b16 v6, 8, v144
	s_mov_b32 s12, exec_lo
	v_cmpx_ne_u16_e32 0, v6
	s_cbranch_execz .LBB251_1091
; %bb.1084:                             ;   in Loop: Header=BB251_803 Depth=1
	v_dual_mov_b32 v15, s9 :: v_dual_mov_b32 v14, s8
	s_mov_b32 s13, exec_lo
	v_cmpx_ne_u16_e32 0x80, v6
	s_cbranch_execz .LBB251_1090
; %bb.1085:                             ;   in Loop: Header=BB251_803 Depth=1
	s_mov_b32 s10, s8
	v_dual_mov_b32 v15, s11 :: v_dual_and_b32 v6, 0xffff, v6
	v_mov_b32_e32 v14, s10
	s_mov_b32 s10, exec_lo
	s_delay_alu instid0(VALU_DEP_2) | instskip(NEXT) | instid1(VALU_DEP_1)
	v_and_b32_e32 v16, 0x7f, v6
	v_cmpx_ne_u32_e32 0x7f, v16
	s_cbranch_execz .LBB251_1089
; %bb.1086:                             ;   in Loop: Header=BB251_803 Depth=1
	v_and_b32_e32 v6, 7, v6
	v_lshrrev_b32_e32 v14, 3, v16
	s_mov_b32 s15, exec_lo
	v_cmpx_gt_u32_e32 8, v16
; %bb.1087:                             ;   in Loop: Header=BB251_803 Depth=1
	s_delay_alu instid0(VALU_DEP_3) | instskip(NEXT) | instid1(VALU_DEP_1)
	v_clz_i32_u32_e32 v14, v6
	v_min_u32_e32 v14, 32, v14
	s_delay_alu instid0(VALU_DEP_1) | instskip(SKIP_1) | instid1(VALU_DEP_2)
	v_subrev_nc_u32_e32 v15, 28, v14
	v_sub_nc_u32_e32 v14, 29, v14
	v_lshlrev_b64 v[15:16], v15, v[6:7]
	s_delay_alu instid0(VALU_DEP_1)
	v_and_b32_e32 v6, 7, v15
; %bb.1088:                             ;   in Loop: Header=BB251_803 Depth=1
	s_or_b32 exec_lo, exec_lo, s15
	v_lshlrev_b32_e32 v15, 16, v144
	s_delay_alu instid0(VALU_DEP_2) | instskip(SKIP_1) | instid1(VALU_DEP_3)
	v_lshlrev_b32_e32 v6, 20, v6
	v_lshl_add_u32 v14, v14, 23, 0x3c000000
	v_and_b32_e32 v15, 0x80000000, v15
	s_delay_alu instid0(VALU_DEP_1)
	v_or3_b32 v15, v6, v15, v14
	v_mov_b32_e32 v14, v7
.LBB251_1089:                           ;   in Loop: Header=BB251_803 Depth=1
	s_or_b32 exec_lo, exec_lo, s10
.LBB251_1090:                           ;   in Loop: Header=BB251_803 Depth=1
	s_delay_alu instid0(SALU_CYCLE_1)
	s_or_b32 exec_lo, exec_lo, s13
.LBB251_1091:                           ;   in Loop: Header=BB251_803 Depth=1
	s_delay_alu instid0(SALU_CYCLE_1) | instskip(SKIP_4) | instid1(VALU_DEP_2)
	s_or_b32 exec_lo, exec_lo, s12
	v_mov_b32_e32 v18, 0
	v_lshrrev_b32_e32 v145, 16, v144
	v_mov_b32_e32 v19, 0
	s_mov_b32 s10, exec_lo
	v_and_b32_e32 v6, 0xff, v145
	s_delay_alu instid0(VALU_DEP_2) | instskip(NEXT) | instid1(VALU_DEP_2)
	v_dual_mov_b32 v16, v18 :: v_dual_mov_b32 v17, v19
	v_cmpx_ne_u16_e32 0, v6
	s_cbranch_execz .LBB251_1099
; %bb.1092:                             ;   in Loop: Header=BB251_803 Depth=1
	v_bfrev_b32_e32 v16, 1
	v_mov_b32_e32 v17, 0
	s_mov_b32 s12, exec_lo
	v_cmpx_ne_u16_e32 0x80, v6
	s_cbranch_execz .LBB251_1098
; %bb.1093:                             ;   in Loop: Header=BB251_803 Depth=1
	v_mov_b32_e32 v16, 0x7f800001
	v_bfe_u32 v146, v144, 16, 7
	v_mov_b32_e32 v17, 0
	s_mov_b32 s13, exec_lo
	s_delay_alu instid0(VALU_DEP_2)
	v_cmpx_ne_u32_e32 0x7f, v146
	s_cbranch_execz .LBB251_1097
; %bb.1094:                             ;   in Loop: Header=BB251_803 Depth=1
	v_and_b32_e32 v6, 7, v145
	v_lshrrev_b32_e32 v16, 3, v146
	s_mov_b32 s15, exec_lo
	v_cmpx_gt_u32_e32 8, v146
; %bb.1095:                             ;   in Loop: Header=BB251_803 Depth=1
	s_delay_alu instid0(VALU_DEP_3) | instskip(NEXT) | instid1(VALU_DEP_1)
	v_clz_i32_u32_e32 v16, v6
	v_min_u32_e32 v16, 32, v16
	s_delay_alu instid0(VALU_DEP_1) | instskip(SKIP_1) | instid1(VALU_DEP_2)
	v_subrev_nc_u32_e32 v17, 28, v16
	v_sub_nc_u32_e32 v16, 29, v16
	v_lshlrev_b64 v[146:147], v17, v[6:7]
	s_delay_alu instid0(VALU_DEP_1)
	v_and_b32_e32 v6, 7, v146
; %bb.1096:                             ;   in Loop: Header=BB251_803 Depth=1
	s_or_b32 exec_lo, exec_lo, s15
	v_lshlrev_b32_e32 v17, 24, v145
	s_delay_alu instid0(VALU_DEP_2) | instskip(SKIP_1) | instid1(VALU_DEP_3)
	v_lshlrev_b32_e32 v6, 20, v6
	v_lshl_add_u32 v16, v16, 23, 0x3c000000
	v_and_b32_e32 v17, 0x80000000, v17
	s_delay_alu instid0(VALU_DEP_1) | instskip(NEXT) | instid1(VALU_DEP_1)
	v_or3_b32 v6, v6, v17, v16
	v_dual_mov_b32 v17, v7 :: v_dual_mov_b32 v16, v6
.LBB251_1097:                           ;   in Loop: Header=BB251_803 Depth=1
	s_or_b32 exec_lo, exec_lo, s13
.LBB251_1098:                           ;   in Loop: Header=BB251_803 Depth=1
	s_delay_alu instid0(SALU_CYCLE_1)
	s_or_b32 exec_lo, exec_lo, s12
.LBB251_1099:                           ;   in Loop: Header=BB251_803 Depth=1
	s_delay_alu instid0(SALU_CYCLE_1) | instskip(NEXT) | instid1(SALU_CYCLE_1)
	s_or_b32 exec_lo, exec_lo, s10
	s_mov_b32 s12, exec_lo
	v_cmpx_lt_u32_e32 0xffffff, v144
	s_cbranch_execz .LBB251_1107
; %bb.1100:                             ;   in Loop: Header=BB251_803 Depth=1
	v_lshrrev_b32_e32 v145, 24, v144
	v_dual_mov_b32 v19, s9 :: v_dual_mov_b32 v18, s8
	s_mov_b32 s13, exec_lo
	s_delay_alu instid0(VALU_DEP_2)
	v_cmpx_ne_u32_e32 0x80, v145
	s_cbranch_execz .LBB251_1106
; %bb.1101:                             ;   in Loop: Header=BB251_803 Depth=1
	s_mov_b32 s10, s8
	v_bfe_u32 v144, v144, 24, 7
	v_dual_mov_b32 v19, s11 :: v_dual_mov_b32 v18, s10
	s_mov_b32 s10, exec_lo
	s_delay_alu instid0(VALU_DEP_2)
	v_cmpx_ne_u32_e32 0x7f, v144
	s_cbranch_execz .LBB251_1105
; %bb.1102:                             ;   in Loop: Header=BB251_803 Depth=1
	v_and_b32_e32 v6, 7, v145
	v_lshrrev_b32_e32 v18, 3, v144
	s_mov_b32 s15, exec_lo
	v_cmpx_gt_u32_e32 8, v144
; %bb.1103:                             ;   in Loop: Header=BB251_803 Depth=1
	s_delay_alu instid0(VALU_DEP_3) | instskip(NEXT) | instid1(VALU_DEP_1)
	v_clz_i32_u32_e32 v18, v6
	v_min_u32_e32 v18, 32, v18
	s_delay_alu instid0(VALU_DEP_1) | instskip(SKIP_1) | instid1(VALU_DEP_2)
	v_subrev_nc_u32_e32 v19, 28, v18
	v_sub_nc_u32_e32 v18, 29, v18
	v_lshlrev_b64 v[146:147], v19, v[6:7]
	s_delay_alu instid0(VALU_DEP_1)
	v_and_b32_e32 v6, 7, v146
; %bb.1104:                             ;   in Loop: Header=BB251_803 Depth=1
	s_or_b32 exec_lo, exec_lo, s15
	v_lshlrev_b32_e32 v19, 24, v145
	s_delay_alu instid0(VALU_DEP_2) | instskip(SKIP_1) | instid1(VALU_DEP_3)
	v_lshlrev_b32_e32 v6, 20, v6
	v_lshl_add_u32 v18, v18, 23, 0x3c000000
	v_and_b32_e32 v19, 0x80000000, v19
	s_delay_alu instid0(VALU_DEP_1)
	v_or3_b32 v19, v6, v19, v18
	v_mov_b32_e32 v18, v7
.LBB251_1105:                           ;   in Loop: Header=BB251_803 Depth=1
	s_or_b32 exec_lo, exec_lo, s10
.LBB251_1106:                           ;   in Loop: Header=BB251_803 Depth=1
	s_delay_alu instid0(SALU_CYCLE_1)
	s_or_b32 exec_lo, exec_lo, s13
.LBB251_1107:                           ;   in Loop: Header=BB251_803 Depth=1
	s_delay_alu instid0(SALU_CYCLE_1) | instskip(SKIP_4) | instid1(VALU_DEP_4)
	s_or_b32 exec_lo, exec_lo, s12
	v_or_b32_e32 v5, v15, v5
	v_or_b32_e32 v4, v14, v4
	;; [unrolled: 1-line block ×4, first 2 shown]
	v_mul_f32_e32 v147, v68, v5
	s_delay_alu instid0(VALU_DEP_4) | instskip(NEXT) | instid1(VALU_DEP_4)
	v_mul_f32_e32 v146, v64, v4
	v_mul_f32_e32 v144, v68, v6
	s_delay_alu instid0(VALU_DEP_4)
	v_mul_f32_e32 v145, v64, v14
	s_and_saveexec_b32 s10, vcc_lo
; %bb.1108:                             ;   in Loop: Header=BB251_803 Depth=1
	v_cmp_lt_i32_e64 s0, v81, v92
	s_delay_alu instid0(VALU_DEP_1) | instskip(SKIP_1) | instid1(VALU_DEP_1)
	v_cndmask_b32_e64 v146, 0, v146, s0
	v_cmp_lt_i32_e64 s0, v83, v92
	v_cndmask_b32_e64 v147, 0, v147, s0
	v_cmp_lt_i32_e64 s0, v82, v92
	s_delay_alu instid0(VALU_DEP_1) | instskip(SKIP_1) | instid1(VALU_DEP_1)
	v_cndmask_b32_e64 v145, 0, v145, s0
	v_cmp_lt_i32_e64 s0, v66, v92
	v_cndmask_b32_e64 v144, 0, v144, s0
; %bb.1109:                             ;   in Loop: Header=BB251_803 Depth=1
	s_or_b32 exec_lo, exec_lo, s10
	flat_load_b32 v148, v[12:13] offset:1152
	v_mov_b32_e32 v14, 0
	v_mov_b32_e32 v15, 0
	s_mov_b32 s10, exec_lo
	s_waitcnt vmcnt(0) lgkmcnt(0)
	v_and_b32_e32 v6, 0xff, v148
	s_delay_alu instid0(VALU_DEP_2) | instskip(NEXT) | instid1(VALU_DEP_2)
	v_dual_mov_b32 v4, v14 :: v_dual_mov_b32 v5, v15
	v_cmpx_ne_u16_e32 0, v6
	s_cbranch_execz .LBB251_1117
; %bb.1110:                             ;   in Loop: Header=BB251_803 Depth=1
	v_bfrev_b32_e32 v4, 1
	v_mov_b32_e32 v5, 0
	s_mov_b32 s12, exec_lo
	v_cmpx_ne_u16_e32 0x80, v6
	s_cbranch_execz .LBB251_1116
; %bb.1111:                             ;   in Loop: Header=BB251_803 Depth=1
	v_mov_b32_e32 v4, 0x7f800001
	v_dual_mov_b32 v5, 0 :: v_dual_and_b32 v16, 0x7f, v148
	s_mov_b32 s13, exec_lo
	s_delay_alu instid0(VALU_DEP_1)
	v_cmpx_ne_u32_e32 0x7f, v16
	s_cbranch_execz .LBB251_1115
; %bb.1112:                             ;   in Loop: Header=BB251_803 Depth=1
	v_and_b32_e32 v6, 7, v148
	v_lshrrev_b32_e32 v4, 3, v16
	s_mov_b32 s15, exec_lo
	v_cmpx_gt_u32_e32 8, v16
; %bb.1113:                             ;   in Loop: Header=BB251_803 Depth=1
	s_delay_alu instid0(VALU_DEP_3) | instskip(NEXT) | instid1(VALU_DEP_1)
	v_clz_i32_u32_e32 v4, v6
	v_min_u32_e32 v4, 32, v4
	s_delay_alu instid0(VALU_DEP_1) | instskip(SKIP_1) | instid1(VALU_DEP_2)
	v_subrev_nc_u32_e32 v5, 28, v4
	v_sub_nc_u32_e32 v4, 29, v4
	v_lshlrev_b64 v[5:6], v5, v[6:7]
	s_delay_alu instid0(VALU_DEP_1)
	v_and_b32_e32 v6, 7, v5
; %bb.1114:                             ;   in Loop: Header=BB251_803 Depth=1
	s_or_b32 exec_lo, exec_lo, s15
	v_lshlrev_b32_e32 v5, 24, v148
	s_delay_alu instid0(VALU_DEP_2) | instskip(SKIP_1) | instid1(VALU_DEP_3)
	v_lshlrev_b32_e32 v6, 20, v6
	v_lshl_add_u32 v4, v4, 23, 0x3c000000
	v_and_b32_e32 v5, 0x80000000, v5
	s_delay_alu instid0(VALU_DEP_1) | instskip(NEXT) | instid1(VALU_DEP_1)
	v_or3_b32 v6, v6, v5, v4
	v_dual_mov_b32 v4, v6 :: v_dual_mov_b32 v5, v7
.LBB251_1115:                           ;   in Loop: Header=BB251_803 Depth=1
	s_or_b32 exec_lo, exec_lo, s13
.LBB251_1116:                           ;   in Loop: Header=BB251_803 Depth=1
	s_delay_alu instid0(SALU_CYCLE_1)
	s_or_b32 exec_lo, exec_lo, s12
.LBB251_1117:                           ;   in Loop: Header=BB251_803 Depth=1
	s_delay_alu instid0(SALU_CYCLE_1) | instskip(SKIP_2) | instid1(VALU_DEP_1)
	s_or_b32 exec_lo, exec_lo, s10
	v_lshrrev_b16 v6, 8, v148
	s_mov_b32 s12, exec_lo
	v_cmpx_ne_u16_e32 0, v6
	s_cbranch_execz .LBB251_1125
; %bb.1118:                             ;   in Loop: Header=BB251_803 Depth=1
	v_dual_mov_b32 v15, s9 :: v_dual_mov_b32 v14, s8
	s_mov_b32 s13, exec_lo
	v_cmpx_ne_u16_e32 0x80, v6
	s_cbranch_execz .LBB251_1124
; %bb.1119:                             ;   in Loop: Header=BB251_803 Depth=1
	s_mov_b32 s10, s8
	v_dual_mov_b32 v15, s11 :: v_dual_and_b32 v6, 0xffff, v6
	v_mov_b32_e32 v14, s10
	s_mov_b32 s10, exec_lo
	s_delay_alu instid0(VALU_DEP_2) | instskip(NEXT) | instid1(VALU_DEP_1)
	v_and_b32_e32 v16, 0x7f, v6
	v_cmpx_ne_u32_e32 0x7f, v16
	s_cbranch_execz .LBB251_1123
; %bb.1120:                             ;   in Loop: Header=BB251_803 Depth=1
	v_and_b32_e32 v6, 7, v6
	v_lshrrev_b32_e32 v14, 3, v16
	s_mov_b32 s15, exec_lo
	v_cmpx_gt_u32_e32 8, v16
; %bb.1121:                             ;   in Loop: Header=BB251_803 Depth=1
	s_delay_alu instid0(VALU_DEP_3) | instskip(NEXT) | instid1(VALU_DEP_1)
	v_clz_i32_u32_e32 v14, v6
	v_min_u32_e32 v14, 32, v14
	s_delay_alu instid0(VALU_DEP_1) | instskip(SKIP_1) | instid1(VALU_DEP_2)
	v_subrev_nc_u32_e32 v15, 28, v14
	v_sub_nc_u32_e32 v14, 29, v14
	v_lshlrev_b64 v[15:16], v15, v[6:7]
	s_delay_alu instid0(VALU_DEP_1)
	v_and_b32_e32 v6, 7, v15
; %bb.1122:                             ;   in Loop: Header=BB251_803 Depth=1
	s_or_b32 exec_lo, exec_lo, s15
	v_lshlrev_b32_e32 v15, 16, v148
	s_delay_alu instid0(VALU_DEP_2) | instskip(SKIP_1) | instid1(VALU_DEP_3)
	v_lshlrev_b32_e32 v6, 20, v6
	v_lshl_add_u32 v14, v14, 23, 0x3c000000
	v_and_b32_e32 v15, 0x80000000, v15
	s_delay_alu instid0(VALU_DEP_1)
	v_or3_b32 v15, v6, v15, v14
	v_mov_b32_e32 v14, v7
.LBB251_1123:                           ;   in Loop: Header=BB251_803 Depth=1
	s_or_b32 exec_lo, exec_lo, s10
.LBB251_1124:                           ;   in Loop: Header=BB251_803 Depth=1
	s_delay_alu instid0(SALU_CYCLE_1)
	s_or_b32 exec_lo, exec_lo, s13
.LBB251_1125:                           ;   in Loop: Header=BB251_803 Depth=1
	s_delay_alu instid0(SALU_CYCLE_1) | instskip(SKIP_4) | instid1(VALU_DEP_2)
	s_or_b32 exec_lo, exec_lo, s12
	v_mov_b32_e32 v18, 0
	v_lshrrev_b32_e32 v149, 16, v148
	v_mov_b32_e32 v19, 0
	s_mov_b32 s10, exec_lo
	v_and_b32_e32 v6, 0xff, v149
	s_delay_alu instid0(VALU_DEP_2) | instskip(NEXT) | instid1(VALU_DEP_2)
	v_dual_mov_b32 v16, v18 :: v_dual_mov_b32 v17, v19
	v_cmpx_ne_u16_e32 0, v6
	s_cbranch_execz .LBB251_1133
; %bb.1126:                             ;   in Loop: Header=BB251_803 Depth=1
	v_bfrev_b32_e32 v16, 1
	v_mov_b32_e32 v17, 0
	s_mov_b32 s12, exec_lo
	v_cmpx_ne_u16_e32 0x80, v6
	s_cbranch_execz .LBB251_1132
; %bb.1127:                             ;   in Loop: Header=BB251_803 Depth=1
	v_mov_b32_e32 v16, 0x7f800001
	v_bfe_u32 v150, v148, 16, 7
	v_mov_b32_e32 v17, 0
	s_mov_b32 s13, exec_lo
	s_delay_alu instid0(VALU_DEP_2)
	v_cmpx_ne_u32_e32 0x7f, v150
	s_cbranch_execz .LBB251_1131
; %bb.1128:                             ;   in Loop: Header=BB251_803 Depth=1
	v_and_b32_e32 v6, 7, v149
	v_lshrrev_b32_e32 v16, 3, v150
	s_mov_b32 s15, exec_lo
	v_cmpx_gt_u32_e32 8, v150
; %bb.1129:                             ;   in Loop: Header=BB251_803 Depth=1
	s_delay_alu instid0(VALU_DEP_3) | instskip(NEXT) | instid1(VALU_DEP_1)
	v_clz_i32_u32_e32 v16, v6
	v_min_u32_e32 v16, 32, v16
	s_delay_alu instid0(VALU_DEP_1) | instskip(SKIP_1) | instid1(VALU_DEP_2)
	v_subrev_nc_u32_e32 v17, 28, v16
	v_sub_nc_u32_e32 v16, 29, v16
	v_lshlrev_b64 v[150:151], v17, v[6:7]
	s_delay_alu instid0(VALU_DEP_1)
	v_and_b32_e32 v6, 7, v150
; %bb.1130:                             ;   in Loop: Header=BB251_803 Depth=1
	s_or_b32 exec_lo, exec_lo, s15
	v_lshlrev_b32_e32 v17, 24, v149
	s_delay_alu instid0(VALU_DEP_2) | instskip(SKIP_1) | instid1(VALU_DEP_3)
	v_lshlrev_b32_e32 v6, 20, v6
	v_lshl_add_u32 v16, v16, 23, 0x3c000000
	v_and_b32_e32 v17, 0x80000000, v17
	s_delay_alu instid0(VALU_DEP_1) | instskip(NEXT) | instid1(VALU_DEP_1)
	v_or3_b32 v6, v6, v17, v16
	v_dual_mov_b32 v17, v7 :: v_dual_mov_b32 v16, v6
.LBB251_1131:                           ;   in Loop: Header=BB251_803 Depth=1
	s_or_b32 exec_lo, exec_lo, s13
.LBB251_1132:                           ;   in Loop: Header=BB251_803 Depth=1
	s_delay_alu instid0(SALU_CYCLE_1)
	s_or_b32 exec_lo, exec_lo, s12
.LBB251_1133:                           ;   in Loop: Header=BB251_803 Depth=1
	s_delay_alu instid0(SALU_CYCLE_1) | instskip(NEXT) | instid1(SALU_CYCLE_1)
	s_or_b32 exec_lo, exec_lo, s10
	s_mov_b32 s12, exec_lo
	v_cmpx_lt_u32_e32 0xffffff, v148
	s_cbranch_execz .LBB251_1141
; %bb.1134:                             ;   in Loop: Header=BB251_803 Depth=1
	v_lshrrev_b32_e32 v149, 24, v148
	v_dual_mov_b32 v19, s9 :: v_dual_mov_b32 v18, s8
	s_mov_b32 s13, exec_lo
	s_delay_alu instid0(VALU_DEP_2)
	v_cmpx_ne_u32_e32 0x80, v149
	s_cbranch_execz .LBB251_1140
; %bb.1135:                             ;   in Loop: Header=BB251_803 Depth=1
	s_mov_b32 s10, s8
	v_bfe_u32 v148, v148, 24, 7
	v_dual_mov_b32 v19, s11 :: v_dual_mov_b32 v18, s10
	s_mov_b32 s10, exec_lo
	s_delay_alu instid0(VALU_DEP_2)
	v_cmpx_ne_u32_e32 0x7f, v148
	s_cbranch_execz .LBB251_1139
; %bb.1136:                             ;   in Loop: Header=BB251_803 Depth=1
	v_and_b32_e32 v6, 7, v149
	v_lshrrev_b32_e32 v18, 3, v148
	s_mov_b32 s15, exec_lo
	v_cmpx_gt_u32_e32 8, v148
; %bb.1137:                             ;   in Loop: Header=BB251_803 Depth=1
	s_delay_alu instid0(VALU_DEP_3) | instskip(NEXT) | instid1(VALU_DEP_1)
	v_clz_i32_u32_e32 v18, v6
	v_min_u32_e32 v18, 32, v18
	s_delay_alu instid0(VALU_DEP_1) | instskip(SKIP_1) | instid1(VALU_DEP_2)
	v_subrev_nc_u32_e32 v19, 28, v18
	v_sub_nc_u32_e32 v18, 29, v18
	v_lshlrev_b64 v[150:151], v19, v[6:7]
	s_delay_alu instid0(VALU_DEP_1)
	v_and_b32_e32 v6, 7, v150
; %bb.1138:                             ;   in Loop: Header=BB251_803 Depth=1
	s_or_b32 exec_lo, exec_lo, s15
	v_lshlrev_b32_e32 v19, 24, v149
	s_delay_alu instid0(VALU_DEP_2) | instskip(SKIP_1) | instid1(VALU_DEP_3)
	v_lshlrev_b32_e32 v6, 20, v6
	v_lshl_add_u32 v18, v18, 23, 0x3c000000
	v_and_b32_e32 v19, 0x80000000, v19
	s_delay_alu instid0(VALU_DEP_1)
	v_or3_b32 v19, v6, v19, v18
	v_mov_b32_e32 v18, v7
.LBB251_1139:                           ;   in Loop: Header=BB251_803 Depth=1
	s_or_b32 exec_lo, exec_lo, s10
.LBB251_1140:                           ;   in Loop: Header=BB251_803 Depth=1
	s_delay_alu instid0(SALU_CYCLE_1)
	s_or_b32 exec_lo, exec_lo, s13
.LBB251_1141:                           ;   in Loop: Header=BB251_803 Depth=1
	s_delay_alu instid0(SALU_CYCLE_1) | instskip(SKIP_4) | instid1(VALU_DEP_4)
	s_or_b32 exec_lo, exec_lo, s12
	v_or_b32_e32 v5, v15, v5
	v_or_b32_e32 v4, v14, v4
	;; [unrolled: 1-line block ×4, first 2 shown]
	v_mul_f32_e32 v151, v68, v5
	s_delay_alu instid0(VALU_DEP_4) | instskip(NEXT) | instid1(VALU_DEP_4)
	v_mul_f32_e32 v150, v64, v4
	v_mul_f32_e32 v148, v68, v6
	s_delay_alu instid0(VALU_DEP_4)
	v_mul_f32_e32 v149, v64, v14
	s_and_saveexec_b32 s10, vcc_lo
; %bb.1142:                             ;   in Loop: Header=BB251_803 Depth=1
	v_cmp_lt_i32_e64 s0, v81, v92
	s_delay_alu instid0(VALU_DEP_1) | instskip(SKIP_1) | instid1(VALU_DEP_1)
	v_cndmask_b32_e64 v150, 0, v150, s0
	v_cmp_lt_i32_e64 s0, v83, v92
	v_cndmask_b32_e64 v151, 0, v151, s0
	v_cmp_lt_i32_e64 s0, v82, v92
	s_delay_alu instid0(VALU_DEP_1) | instskip(SKIP_1) | instid1(VALU_DEP_1)
	v_cndmask_b32_e64 v149, 0, v149, s0
	v_cmp_lt_i32_e64 s0, v66, v92
	v_cndmask_b32_e64 v148, 0, v148, s0
; %bb.1143:                             ;   in Loop: Header=BB251_803 Depth=1
	s_or_b32 exec_lo, exec_lo, s10
	flat_load_b32 v160, v[12:13] offset:1280
	v_mov_b32_e32 v14, 0
	v_mov_b32_e32 v15, 0
	s_mov_b32 s10, exec_lo
	s_waitcnt vmcnt(0) lgkmcnt(0)
	v_and_b32_e32 v6, 0xff, v160
	s_delay_alu instid0(VALU_DEP_2) | instskip(NEXT) | instid1(VALU_DEP_2)
	v_dual_mov_b32 v4, v14 :: v_dual_mov_b32 v5, v15
	v_cmpx_ne_u16_e32 0, v6
	s_cbranch_execz .LBB251_1151
; %bb.1144:                             ;   in Loop: Header=BB251_803 Depth=1
	v_bfrev_b32_e32 v4, 1
	v_mov_b32_e32 v5, 0
	s_mov_b32 s12, exec_lo
	v_cmpx_ne_u16_e32 0x80, v6
	s_cbranch_execz .LBB251_1150
; %bb.1145:                             ;   in Loop: Header=BB251_803 Depth=1
	v_mov_b32_e32 v4, 0x7f800001
	v_dual_mov_b32 v5, 0 :: v_dual_and_b32 v16, 0x7f, v160
	s_mov_b32 s13, exec_lo
	s_delay_alu instid0(VALU_DEP_1)
	v_cmpx_ne_u32_e32 0x7f, v16
	s_cbranch_execz .LBB251_1149
; %bb.1146:                             ;   in Loop: Header=BB251_803 Depth=1
	v_and_b32_e32 v6, 7, v160
	v_lshrrev_b32_e32 v4, 3, v16
	s_mov_b32 s15, exec_lo
	v_cmpx_gt_u32_e32 8, v16
; %bb.1147:                             ;   in Loop: Header=BB251_803 Depth=1
	s_delay_alu instid0(VALU_DEP_3) | instskip(NEXT) | instid1(VALU_DEP_1)
	v_clz_i32_u32_e32 v4, v6
	v_min_u32_e32 v4, 32, v4
	s_delay_alu instid0(VALU_DEP_1) | instskip(SKIP_1) | instid1(VALU_DEP_2)
	v_subrev_nc_u32_e32 v5, 28, v4
	v_sub_nc_u32_e32 v4, 29, v4
	v_lshlrev_b64 v[5:6], v5, v[6:7]
	s_delay_alu instid0(VALU_DEP_1)
	v_and_b32_e32 v6, 7, v5
; %bb.1148:                             ;   in Loop: Header=BB251_803 Depth=1
	s_or_b32 exec_lo, exec_lo, s15
	v_lshlrev_b32_e32 v5, 24, v160
	s_delay_alu instid0(VALU_DEP_2) | instskip(SKIP_1) | instid1(VALU_DEP_3)
	v_lshlrev_b32_e32 v6, 20, v6
	v_lshl_add_u32 v4, v4, 23, 0x3c000000
	v_and_b32_e32 v5, 0x80000000, v5
	s_delay_alu instid0(VALU_DEP_1) | instskip(NEXT) | instid1(VALU_DEP_1)
	v_or3_b32 v6, v6, v5, v4
	v_dual_mov_b32 v4, v6 :: v_dual_mov_b32 v5, v7
.LBB251_1149:                           ;   in Loop: Header=BB251_803 Depth=1
	s_or_b32 exec_lo, exec_lo, s13
.LBB251_1150:                           ;   in Loop: Header=BB251_803 Depth=1
	s_delay_alu instid0(SALU_CYCLE_1)
	s_or_b32 exec_lo, exec_lo, s12
.LBB251_1151:                           ;   in Loop: Header=BB251_803 Depth=1
	s_delay_alu instid0(SALU_CYCLE_1) | instskip(SKIP_2) | instid1(VALU_DEP_1)
	s_or_b32 exec_lo, exec_lo, s10
	v_lshrrev_b16 v6, 8, v160
	s_mov_b32 s12, exec_lo
	v_cmpx_ne_u16_e32 0, v6
	s_cbranch_execz .LBB251_1159
; %bb.1152:                             ;   in Loop: Header=BB251_803 Depth=1
	v_dual_mov_b32 v15, s9 :: v_dual_mov_b32 v14, s8
	s_mov_b32 s13, exec_lo
	v_cmpx_ne_u16_e32 0x80, v6
	s_cbranch_execz .LBB251_1158
; %bb.1153:                             ;   in Loop: Header=BB251_803 Depth=1
	s_mov_b32 s10, s8
	v_dual_mov_b32 v15, s11 :: v_dual_and_b32 v6, 0xffff, v6
	v_mov_b32_e32 v14, s10
	s_mov_b32 s10, exec_lo
	s_delay_alu instid0(VALU_DEP_2) | instskip(NEXT) | instid1(VALU_DEP_1)
	v_and_b32_e32 v16, 0x7f, v6
	v_cmpx_ne_u32_e32 0x7f, v16
	s_cbranch_execz .LBB251_1157
; %bb.1154:                             ;   in Loop: Header=BB251_803 Depth=1
	v_and_b32_e32 v6, 7, v6
	v_lshrrev_b32_e32 v14, 3, v16
	s_mov_b32 s15, exec_lo
	v_cmpx_gt_u32_e32 8, v16
; %bb.1155:                             ;   in Loop: Header=BB251_803 Depth=1
	s_delay_alu instid0(VALU_DEP_3) | instskip(NEXT) | instid1(VALU_DEP_1)
	v_clz_i32_u32_e32 v14, v6
	v_min_u32_e32 v14, 32, v14
	s_delay_alu instid0(VALU_DEP_1) | instskip(SKIP_1) | instid1(VALU_DEP_2)
	v_subrev_nc_u32_e32 v15, 28, v14
	v_sub_nc_u32_e32 v14, 29, v14
	v_lshlrev_b64 v[15:16], v15, v[6:7]
	s_delay_alu instid0(VALU_DEP_1)
	v_and_b32_e32 v6, 7, v15
; %bb.1156:                             ;   in Loop: Header=BB251_803 Depth=1
	s_or_b32 exec_lo, exec_lo, s15
	v_lshlrev_b32_e32 v15, 16, v160
	s_delay_alu instid0(VALU_DEP_2) | instskip(SKIP_1) | instid1(VALU_DEP_3)
	v_lshlrev_b32_e32 v6, 20, v6
	v_lshl_add_u32 v14, v14, 23, 0x3c000000
	v_and_b32_e32 v15, 0x80000000, v15
	s_delay_alu instid0(VALU_DEP_1)
	v_or3_b32 v15, v6, v15, v14
	v_mov_b32_e32 v14, v7
.LBB251_1157:                           ;   in Loop: Header=BB251_803 Depth=1
	s_or_b32 exec_lo, exec_lo, s10
.LBB251_1158:                           ;   in Loop: Header=BB251_803 Depth=1
	s_delay_alu instid0(SALU_CYCLE_1)
	s_or_b32 exec_lo, exec_lo, s13
.LBB251_1159:                           ;   in Loop: Header=BB251_803 Depth=1
	s_delay_alu instid0(SALU_CYCLE_1) | instskip(SKIP_4) | instid1(VALU_DEP_2)
	s_or_b32 exec_lo, exec_lo, s12
	v_mov_b32_e32 v18, 0
	v_lshrrev_b32_e32 v161, 16, v160
	v_mov_b32_e32 v19, 0
	s_mov_b32 s10, exec_lo
	v_and_b32_e32 v6, 0xff, v161
	s_delay_alu instid0(VALU_DEP_2) | instskip(NEXT) | instid1(VALU_DEP_2)
	v_dual_mov_b32 v16, v18 :: v_dual_mov_b32 v17, v19
	v_cmpx_ne_u16_e32 0, v6
	s_cbranch_execz .LBB251_1167
; %bb.1160:                             ;   in Loop: Header=BB251_803 Depth=1
	v_bfrev_b32_e32 v16, 1
	v_mov_b32_e32 v17, 0
	s_mov_b32 s12, exec_lo
	v_cmpx_ne_u16_e32 0x80, v6
	s_cbranch_execz .LBB251_1166
; %bb.1161:                             ;   in Loop: Header=BB251_803 Depth=1
	v_mov_b32_e32 v16, 0x7f800001
	v_bfe_u32 v162, v160, 16, 7
	v_mov_b32_e32 v17, 0
	s_mov_b32 s13, exec_lo
	s_delay_alu instid0(VALU_DEP_2)
	v_cmpx_ne_u32_e32 0x7f, v162
	s_cbranch_execz .LBB251_1165
; %bb.1162:                             ;   in Loop: Header=BB251_803 Depth=1
	v_and_b32_e32 v6, 7, v161
	v_lshrrev_b32_e32 v16, 3, v162
	s_mov_b32 s15, exec_lo
	v_cmpx_gt_u32_e32 8, v162
; %bb.1163:                             ;   in Loop: Header=BB251_803 Depth=1
	s_delay_alu instid0(VALU_DEP_3) | instskip(NEXT) | instid1(VALU_DEP_1)
	v_clz_i32_u32_e32 v16, v6
	v_min_u32_e32 v16, 32, v16
	s_delay_alu instid0(VALU_DEP_1) | instskip(SKIP_1) | instid1(VALU_DEP_2)
	v_subrev_nc_u32_e32 v17, 28, v16
	v_sub_nc_u32_e32 v16, 29, v16
	v_lshlrev_b64 v[162:163], v17, v[6:7]
	s_delay_alu instid0(VALU_DEP_1)
	v_and_b32_e32 v6, 7, v162
; %bb.1164:                             ;   in Loop: Header=BB251_803 Depth=1
	s_or_b32 exec_lo, exec_lo, s15
	v_lshlrev_b32_e32 v17, 24, v161
	s_delay_alu instid0(VALU_DEP_2) | instskip(SKIP_1) | instid1(VALU_DEP_3)
	v_lshlrev_b32_e32 v6, 20, v6
	v_lshl_add_u32 v16, v16, 23, 0x3c000000
	v_and_b32_e32 v17, 0x80000000, v17
	s_delay_alu instid0(VALU_DEP_1) | instskip(NEXT) | instid1(VALU_DEP_1)
	v_or3_b32 v6, v6, v17, v16
	v_dual_mov_b32 v17, v7 :: v_dual_mov_b32 v16, v6
.LBB251_1165:                           ;   in Loop: Header=BB251_803 Depth=1
	s_or_b32 exec_lo, exec_lo, s13
.LBB251_1166:                           ;   in Loop: Header=BB251_803 Depth=1
	s_delay_alu instid0(SALU_CYCLE_1)
	s_or_b32 exec_lo, exec_lo, s12
.LBB251_1167:                           ;   in Loop: Header=BB251_803 Depth=1
	s_delay_alu instid0(SALU_CYCLE_1) | instskip(NEXT) | instid1(SALU_CYCLE_1)
	s_or_b32 exec_lo, exec_lo, s10
	s_mov_b32 s12, exec_lo
	v_cmpx_lt_u32_e32 0xffffff, v160
	s_cbranch_execz .LBB251_1175
; %bb.1168:                             ;   in Loop: Header=BB251_803 Depth=1
	v_lshrrev_b32_e32 v161, 24, v160
	v_dual_mov_b32 v19, s9 :: v_dual_mov_b32 v18, s8
	s_mov_b32 s13, exec_lo
	s_delay_alu instid0(VALU_DEP_2)
	v_cmpx_ne_u32_e32 0x80, v161
	s_cbranch_execz .LBB251_1174
; %bb.1169:                             ;   in Loop: Header=BB251_803 Depth=1
	s_mov_b32 s10, s8
	v_bfe_u32 v160, v160, 24, 7
	v_dual_mov_b32 v19, s11 :: v_dual_mov_b32 v18, s10
	s_mov_b32 s10, exec_lo
	s_delay_alu instid0(VALU_DEP_2)
	v_cmpx_ne_u32_e32 0x7f, v160
	s_cbranch_execz .LBB251_1173
; %bb.1170:                             ;   in Loop: Header=BB251_803 Depth=1
	v_and_b32_e32 v6, 7, v161
	v_lshrrev_b32_e32 v18, 3, v160
	s_mov_b32 s15, exec_lo
	v_cmpx_gt_u32_e32 8, v160
; %bb.1171:                             ;   in Loop: Header=BB251_803 Depth=1
	s_delay_alu instid0(VALU_DEP_3) | instskip(NEXT) | instid1(VALU_DEP_1)
	v_clz_i32_u32_e32 v18, v6
	v_min_u32_e32 v18, 32, v18
	s_delay_alu instid0(VALU_DEP_1) | instskip(SKIP_1) | instid1(VALU_DEP_2)
	v_subrev_nc_u32_e32 v19, 28, v18
	v_sub_nc_u32_e32 v18, 29, v18
	v_lshlrev_b64 v[162:163], v19, v[6:7]
	s_delay_alu instid0(VALU_DEP_1)
	v_and_b32_e32 v6, 7, v162
; %bb.1172:                             ;   in Loop: Header=BB251_803 Depth=1
	s_or_b32 exec_lo, exec_lo, s15
	v_lshlrev_b32_e32 v19, 24, v161
	s_delay_alu instid0(VALU_DEP_2) | instskip(SKIP_1) | instid1(VALU_DEP_3)
	v_lshlrev_b32_e32 v6, 20, v6
	v_lshl_add_u32 v18, v18, 23, 0x3c000000
	v_and_b32_e32 v19, 0x80000000, v19
	s_delay_alu instid0(VALU_DEP_1)
	v_or3_b32 v19, v6, v19, v18
	v_mov_b32_e32 v18, v7
.LBB251_1173:                           ;   in Loop: Header=BB251_803 Depth=1
	s_or_b32 exec_lo, exec_lo, s10
.LBB251_1174:                           ;   in Loop: Header=BB251_803 Depth=1
	s_delay_alu instid0(SALU_CYCLE_1)
	s_or_b32 exec_lo, exec_lo, s13
.LBB251_1175:                           ;   in Loop: Header=BB251_803 Depth=1
	s_delay_alu instid0(SALU_CYCLE_1) | instskip(SKIP_4) | instid1(VALU_DEP_4)
	s_or_b32 exec_lo, exec_lo, s12
	v_or_b32_e32 v5, v15, v5
	v_or_b32_e32 v4, v14, v4
	;; [unrolled: 1-line block ×4, first 2 shown]
	v_mul_f32_e32 v163, v68, v5
	s_delay_alu instid0(VALU_DEP_4) | instskip(NEXT) | instid1(VALU_DEP_4)
	v_mul_f32_e32 v162, v64, v4
	v_mul_f32_e32 v160, v68, v6
	s_delay_alu instid0(VALU_DEP_4)
	v_mul_f32_e32 v161, v64, v14
	s_and_saveexec_b32 s10, vcc_lo
; %bb.1176:                             ;   in Loop: Header=BB251_803 Depth=1
	v_cmp_lt_i32_e64 s0, v81, v92
	s_delay_alu instid0(VALU_DEP_1) | instskip(SKIP_1) | instid1(VALU_DEP_1)
	v_cndmask_b32_e64 v162, 0, v162, s0
	v_cmp_lt_i32_e64 s0, v83, v92
	v_cndmask_b32_e64 v163, 0, v163, s0
	v_cmp_lt_i32_e64 s0, v82, v92
	s_delay_alu instid0(VALU_DEP_1) | instskip(SKIP_1) | instid1(VALU_DEP_1)
	v_cndmask_b32_e64 v161, 0, v161, s0
	v_cmp_lt_i32_e64 s0, v66, v92
	v_cndmask_b32_e64 v160, 0, v160, s0
; %bb.1177:                             ;   in Loop: Header=BB251_803 Depth=1
	s_or_b32 exec_lo, exec_lo, s10
	flat_load_b32 v164, v[12:13] offset:1408
	v_mov_b32_e32 v14, 0
	v_mov_b32_e32 v15, 0
	s_mov_b32 s10, exec_lo
	s_waitcnt vmcnt(0) lgkmcnt(0)
	v_and_b32_e32 v6, 0xff, v164
	s_delay_alu instid0(VALU_DEP_2) | instskip(NEXT) | instid1(VALU_DEP_2)
	v_dual_mov_b32 v4, v14 :: v_dual_mov_b32 v5, v15
	v_cmpx_ne_u16_e32 0, v6
	s_cbranch_execz .LBB251_1185
; %bb.1178:                             ;   in Loop: Header=BB251_803 Depth=1
	v_bfrev_b32_e32 v4, 1
	v_mov_b32_e32 v5, 0
	s_mov_b32 s12, exec_lo
	v_cmpx_ne_u16_e32 0x80, v6
	s_cbranch_execz .LBB251_1184
; %bb.1179:                             ;   in Loop: Header=BB251_803 Depth=1
	v_mov_b32_e32 v4, 0x7f800001
	v_dual_mov_b32 v5, 0 :: v_dual_and_b32 v16, 0x7f, v164
	s_mov_b32 s13, exec_lo
	s_delay_alu instid0(VALU_DEP_1)
	v_cmpx_ne_u32_e32 0x7f, v16
	s_cbranch_execz .LBB251_1183
; %bb.1180:                             ;   in Loop: Header=BB251_803 Depth=1
	v_and_b32_e32 v6, 7, v164
	v_lshrrev_b32_e32 v4, 3, v16
	s_mov_b32 s15, exec_lo
	v_cmpx_gt_u32_e32 8, v16
; %bb.1181:                             ;   in Loop: Header=BB251_803 Depth=1
	s_delay_alu instid0(VALU_DEP_3) | instskip(NEXT) | instid1(VALU_DEP_1)
	v_clz_i32_u32_e32 v4, v6
	v_min_u32_e32 v4, 32, v4
	s_delay_alu instid0(VALU_DEP_1) | instskip(SKIP_1) | instid1(VALU_DEP_2)
	v_subrev_nc_u32_e32 v5, 28, v4
	v_sub_nc_u32_e32 v4, 29, v4
	v_lshlrev_b64 v[5:6], v5, v[6:7]
	s_delay_alu instid0(VALU_DEP_1)
	v_and_b32_e32 v6, 7, v5
; %bb.1182:                             ;   in Loop: Header=BB251_803 Depth=1
	s_or_b32 exec_lo, exec_lo, s15
	v_lshlrev_b32_e32 v5, 24, v164
	s_delay_alu instid0(VALU_DEP_2) | instskip(SKIP_1) | instid1(VALU_DEP_3)
	v_lshlrev_b32_e32 v6, 20, v6
	v_lshl_add_u32 v4, v4, 23, 0x3c000000
	v_and_b32_e32 v5, 0x80000000, v5
	s_delay_alu instid0(VALU_DEP_1) | instskip(NEXT) | instid1(VALU_DEP_1)
	v_or3_b32 v6, v6, v5, v4
	v_dual_mov_b32 v4, v6 :: v_dual_mov_b32 v5, v7
.LBB251_1183:                           ;   in Loop: Header=BB251_803 Depth=1
	s_or_b32 exec_lo, exec_lo, s13
.LBB251_1184:                           ;   in Loop: Header=BB251_803 Depth=1
	s_delay_alu instid0(SALU_CYCLE_1)
	s_or_b32 exec_lo, exec_lo, s12
.LBB251_1185:                           ;   in Loop: Header=BB251_803 Depth=1
	s_delay_alu instid0(SALU_CYCLE_1) | instskip(SKIP_2) | instid1(VALU_DEP_1)
	s_or_b32 exec_lo, exec_lo, s10
	v_lshrrev_b16 v6, 8, v164
	s_mov_b32 s12, exec_lo
	v_cmpx_ne_u16_e32 0, v6
	s_cbranch_execz .LBB251_1193
; %bb.1186:                             ;   in Loop: Header=BB251_803 Depth=1
	v_dual_mov_b32 v15, s9 :: v_dual_mov_b32 v14, s8
	s_mov_b32 s13, exec_lo
	v_cmpx_ne_u16_e32 0x80, v6
	s_cbranch_execz .LBB251_1192
; %bb.1187:                             ;   in Loop: Header=BB251_803 Depth=1
	s_mov_b32 s10, s8
	v_dual_mov_b32 v15, s11 :: v_dual_and_b32 v6, 0xffff, v6
	v_mov_b32_e32 v14, s10
	s_mov_b32 s10, exec_lo
	s_delay_alu instid0(VALU_DEP_2) | instskip(NEXT) | instid1(VALU_DEP_1)
	v_and_b32_e32 v16, 0x7f, v6
	v_cmpx_ne_u32_e32 0x7f, v16
	s_cbranch_execz .LBB251_1191
; %bb.1188:                             ;   in Loop: Header=BB251_803 Depth=1
	v_and_b32_e32 v6, 7, v6
	v_lshrrev_b32_e32 v14, 3, v16
	s_mov_b32 s15, exec_lo
	v_cmpx_gt_u32_e32 8, v16
; %bb.1189:                             ;   in Loop: Header=BB251_803 Depth=1
	s_delay_alu instid0(VALU_DEP_3) | instskip(NEXT) | instid1(VALU_DEP_1)
	v_clz_i32_u32_e32 v14, v6
	v_min_u32_e32 v14, 32, v14
	s_delay_alu instid0(VALU_DEP_1) | instskip(SKIP_1) | instid1(VALU_DEP_2)
	v_subrev_nc_u32_e32 v15, 28, v14
	v_sub_nc_u32_e32 v14, 29, v14
	v_lshlrev_b64 v[15:16], v15, v[6:7]
	s_delay_alu instid0(VALU_DEP_1)
	v_and_b32_e32 v6, 7, v15
; %bb.1190:                             ;   in Loop: Header=BB251_803 Depth=1
	s_or_b32 exec_lo, exec_lo, s15
	v_lshlrev_b32_e32 v15, 16, v164
	s_delay_alu instid0(VALU_DEP_2) | instskip(SKIP_1) | instid1(VALU_DEP_3)
	v_lshlrev_b32_e32 v6, 20, v6
	v_lshl_add_u32 v14, v14, 23, 0x3c000000
	v_and_b32_e32 v15, 0x80000000, v15
	s_delay_alu instid0(VALU_DEP_1)
	v_or3_b32 v15, v6, v15, v14
	v_mov_b32_e32 v14, v7
.LBB251_1191:                           ;   in Loop: Header=BB251_803 Depth=1
	s_or_b32 exec_lo, exec_lo, s10
.LBB251_1192:                           ;   in Loop: Header=BB251_803 Depth=1
	s_delay_alu instid0(SALU_CYCLE_1)
	s_or_b32 exec_lo, exec_lo, s13
.LBB251_1193:                           ;   in Loop: Header=BB251_803 Depth=1
	s_delay_alu instid0(SALU_CYCLE_1) | instskip(SKIP_4) | instid1(VALU_DEP_2)
	s_or_b32 exec_lo, exec_lo, s12
	v_mov_b32_e32 v18, 0
	v_lshrrev_b32_e32 v165, 16, v164
	v_mov_b32_e32 v19, 0
	s_mov_b32 s10, exec_lo
	v_and_b32_e32 v6, 0xff, v165
	s_delay_alu instid0(VALU_DEP_2) | instskip(NEXT) | instid1(VALU_DEP_2)
	v_dual_mov_b32 v16, v18 :: v_dual_mov_b32 v17, v19
	v_cmpx_ne_u16_e32 0, v6
	s_cbranch_execz .LBB251_1201
; %bb.1194:                             ;   in Loop: Header=BB251_803 Depth=1
	v_bfrev_b32_e32 v16, 1
	v_mov_b32_e32 v17, 0
	s_mov_b32 s12, exec_lo
	v_cmpx_ne_u16_e32 0x80, v6
	s_cbranch_execz .LBB251_1200
; %bb.1195:                             ;   in Loop: Header=BB251_803 Depth=1
	v_mov_b32_e32 v16, 0x7f800001
	v_bfe_u32 v166, v164, 16, 7
	v_mov_b32_e32 v17, 0
	s_mov_b32 s13, exec_lo
	s_delay_alu instid0(VALU_DEP_2)
	v_cmpx_ne_u32_e32 0x7f, v166
	s_cbranch_execz .LBB251_1199
; %bb.1196:                             ;   in Loop: Header=BB251_803 Depth=1
	v_and_b32_e32 v6, 7, v165
	v_lshrrev_b32_e32 v16, 3, v166
	s_mov_b32 s15, exec_lo
	v_cmpx_gt_u32_e32 8, v166
; %bb.1197:                             ;   in Loop: Header=BB251_803 Depth=1
	s_delay_alu instid0(VALU_DEP_3) | instskip(NEXT) | instid1(VALU_DEP_1)
	v_clz_i32_u32_e32 v16, v6
	v_min_u32_e32 v16, 32, v16
	s_delay_alu instid0(VALU_DEP_1) | instskip(SKIP_1) | instid1(VALU_DEP_2)
	v_subrev_nc_u32_e32 v17, 28, v16
	v_sub_nc_u32_e32 v16, 29, v16
	v_lshlrev_b64 v[166:167], v17, v[6:7]
	s_delay_alu instid0(VALU_DEP_1)
	v_and_b32_e32 v6, 7, v166
; %bb.1198:                             ;   in Loop: Header=BB251_803 Depth=1
	s_or_b32 exec_lo, exec_lo, s15
	v_lshlrev_b32_e32 v17, 24, v165
	s_delay_alu instid0(VALU_DEP_2) | instskip(SKIP_1) | instid1(VALU_DEP_3)
	v_lshlrev_b32_e32 v6, 20, v6
	v_lshl_add_u32 v16, v16, 23, 0x3c000000
	v_and_b32_e32 v17, 0x80000000, v17
	s_delay_alu instid0(VALU_DEP_1) | instskip(NEXT) | instid1(VALU_DEP_1)
	v_or3_b32 v6, v6, v17, v16
	v_dual_mov_b32 v17, v7 :: v_dual_mov_b32 v16, v6
.LBB251_1199:                           ;   in Loop: Header=BB251_803 Depth=1
	s_or_b32 exec_lo, exec_lo, s13
.LBB251_1200:                           ;   in Loop: Header=BB251_803 Depth=1
	s_delay_alu instid0(SALU_CYCLE_1)
	s_or_b32 exec_lo, exec_lo, s12
.LBB251_1201:                           ;   in Loop: Header=BB251_803 Depth=1
	s_delay_alu instid0(SALU_CYCLE_1) | instskip(NEXT) | instid1(SALU_CYCLE_1)
	s_or_b32 exec_lo, exec_lo, s10
	s_mov_b32 s12, exec_lo
	v_cmpx_lt_u32_e32 0xffffff, v164
	s_cbranch_execz .LBB251_1209
; %bb.1202:                             ;   in Loop: Header=BB251_803 Depth=1
	v_lshrrev_b32_e32 v165, 24, v164
	v_dual_mov_b32 v19, s9 :: v_dual_mov_b32 v18, s8
	s_mov_b32 s13, exec_lo
	s_delay_alu instid0(VALU_DEP_2)
	v_cmpx_ne_u32_e32 0x80, v165
	s_cbranch_execz .LBB251_1208
; %bb.1203:                             ;   in Loop: Header=BB251_803 Depth=1
	s_mov_b32 s10, s8
	v_bfe_u32 v164, v164, 24, 7
	v_dual_mov_b32 v19, s11 :: v_dual_mov_b32 v18, s10
	s_mov_b32 s10, exec_lo
	s_delay_alu instid0(VALU_DEP_2)
	v_cmpx_ne_u32_e32 0x7f, v164
	s_cbranch_execz .LBB251_1207
; %bb.1204:                             ;   in Loop: Header=BB251_803 Depth=1
	v_and_b32_e32 v6, 7, v165
	v_lshrrev_b32_e32 v18, 3, v164
	s_mov_b32 s15, exec_lo
	v_cmpx_gt_u32_e32 8, v164
; %bb.1205:                             ;   in Loop: Header=BB251_803 Depth=1
	s_delay_alu instid0(VALU_DEP_3) | instskip(NEXT) | instid1(VALU_DEP_1)
	v_clz_i32_u32_e32 v18, v6
	v_min_u32_e32 v18, 32, v18
	s_delay_alu instid0(VALU_DEP_1) | instskip(SKIP_1) | instid1(VALU_DEP_2)
	v_subrev_nc_u32_e32 v19, 28, v18
	v_sub_nc_u32_e32 v18, 29, v18
	v_lshlrev_b64 v[166:167], v19, v[6:7]
	s_delay_alu instid0(VALU_DEP_1)
	v_and_b32_e32 v6, 7, v166
; %bb.1206:                             ;   in Loop: Header=BB251_803 Depth=1
	s_or_b32 exec_lo, exec_lo, s15
	v_lshlrev_b32_e32 v19, 24, v165
	s_delay_alu instid0(VALU_DEP_2) | instskip(SKIP_1) | instid1(VALU_DEP_3)
	v_lshlrev_b32_e32 v6, 20, v6
	v_lshl_add_u32 v18, v18, 23, 0x3c000000
	v_and_b32_e32 v19, 0x80000000, v19
	s_delay_alu instid0(VALU_DEP_1)
	v_or3_b32 v19, v6, v19, v18
	v_mov_b32_e32 v18, v7
.LBB251_1207:                           ;   in Loop: Header=BB251_803 Depth=1
	s_or_b32 exec_lo, exec_lo, s10
.LBB251_1208:                           ;   in Loop: Header=BB251_803 Depth=1
	s_delay_alu instid0(SALU_CYCLE_1)
	s_or_b32 exec_lo, exec_lo, s13
.LBB251_1209:                           ;   in Loop: Header=BB251_803 Depth=1
	s_delay_alu instid0(SALU_CYCLE_1) | instskip(SKIP_4) | instid1(VALU_DEP_4)
	s_or_b32 exec_lo, exec_lo, s12
	v_or_b32_e32 v5, v15, v5
	v_or_b32_e32 v4, v14, v4
	;; [unrolled: 1-line block ×4, first 2 shown]
	v_mul_f32_e32 v167, v68, v5
	s_delay_alu instid0(VALU_DEP_4) | instskip(NEXT) | instid1(VALU_DEP_4)
	v_mul_f32_e32 v166, v64, v4
	v_mul_f32_e32 v164, v68, v6
	s_delay_alu instid0(VALU_DEP_4)
	v_mul_f32_e32 v165, v64, v14
	s_and_saveexec_b32 s10, vcc_lo
; %bb.1210:                             ;   in Loop: Header=BB251_803 Depth=1
	v_cmp_lt_i32_e64 s0, v81, v92
	s_delay_alu instid0(VALU_DEP_1) | instskip(SKIP_1) | instid1(VALU_DEP_1)
	v_cndmask_b32_e64 v166, 0, v166, s0
	v_cmp_lt_i32_e64 s0, v83, v92
	v_cndmask_b32_e64 v167, 0, v167, s0
	v_cmp_lt_i32_e64 s0, v82, v92
	s_delay_alu instid0(VALU_DEP_1) | instskip(SKIP_1) | instid1(VALU_DEP_1)
	v_cndmask_b32_e64 v165, 0, v165, s0
	v_cmp_lt_i32_e64 s0, v66, v92
	v_cndmask_b32_e64 v164, 0, v164, s0
; %bb.1211:                             ;   in Loop: Header=BB251_803 Depth=1
	s_or_b32 exec_lo, exec_lo, s10
	flat_load_b32 v176, v[12:13] offset:1536
	v_mov_b32_e32 v14, 0
	v_mov_b32_e32 v15, 0
	s_mov_b32 s10, exec_lo
	s_waitcnt vmcnt(0) lgkmcnt(0)
	v_and_b32_e32 v6, 0xff, v176
	s_delay_alu instid0(VALU_DEP_2) | instskip(NEXT) | instid1(VALU_DEP_2)
	v_dual_mov_b32 v4, v14 :: v_dual_mov_b32 v5, v15
	v_cmpx_ne_u16_e32 0, v6
	s_cbranch_execz .LBB251_1219
; %bb.1212:                             ;   in Loop: Header=BB251_803 Depth=1
	v_bfrev_b32_e32 v4, 1
	v_mov_b32_e32 v5, 0
	s_mov_b32 s12, exec_lo
	v_cmpx_ne_u16_e32 0x80, v6
	s_cbranch_execz .LBB251_1218
; %bb.1213:                             ;   in Loop: Header=BB251_803 Depth=1
	v_mov_b32_e32 v4, 0x7f800001
	v_dual_mov_b32 v5, 0 :: v_dual_and_b32 v16, 0x7f, v176
	s_mov_b32 s13, exec_lo
	s_delay_alu instid0(VALU_DEP_1)
	v_cmpx_ne_u32_e32 0x7f, v16
	s_cbranch_execz .LBB251_1217
; %bb.1214:                             ;   in Loop: Header=BB251_803 Depth=1
	v_and_b32_e32 v6, 7, v176
	v_lshrrev_b32_e32 v4, 3, v16
	s_mov_b32 s15, exec_lo
	v_cmpx_gt_u32_e32 8, v16
; %bb.1215:                             ;   in Loop: Header=BB251_803 Depth=1
	s_delay_alu instid0(VALU_DEP_3) | instskip(NEXT) | instid1(VALU_DEP_1)
	v_clz_i32_u32_e32 v4, v6
	v_min_u32_e32 v4, 32, v4
	s_delay_alu instid0(VALU_DEP_1) | instskip(SKIP_1) | instid1(VALU_DEP_2)
	v_subrev_nc_u32_e32 v5, 28, v4
	v_sub_nc_u32_e32 v4, 29, v4
	v_lshlrev_b64 v[5:6], v5, v[6:7]
	s_delay_alu instid0(VALU_DEP_1)
	v_and_b32_e32 v6, 7, v5
; %bb.1216:                             ;   in Loop: Header=BB251_803 Depth=1
	s_or_b32 exec_lo, exec_lo, s15
	v_lshlrev_b32_e32 v5, 24, v176
	s_delay_alu instid0(VALU_DEP_2) | instskip(SKIP_1) | instid1(VALU_DEP_3)
	v_lshlrev_b32_e32 v6, 20, v6
	v_lshl_add_u32 v4, v4, 23, 0x3c000000
	v_and_b32_e32 v5, 0x80000000, v5
	s_delay_alu instid0(VALU_DEP_1) | instskip(NEXT) | instid1(VALU_DEP_1)
	v_or3_b32 v6, v6, v5, v4
	v_dual_mov_b32 v4, v6 :: v_dual_mov_b32 v5, v7
.LBB251_1217:                           ;   in Loop: Header=BB251_803 Depth=1
	s_or_b32 exec_lo, exec_lo, s13
.LBB251_1218:                           ;   in Loop: Header=BB251_803 Depth=1
	s_delay_alu instid0(SALU_CYCLE_1)
	s_or_b32 exec_lo, exec_lo, s12
.LBB251_1219:                           ;   in Loop: Header=BB251_803 Depth=1
	s_delay_alu instid0(SALU_CYCLE_1) | instskip(SKIP_2) | instid1(VALU_DEP_1)
	s_or_b32 exec_lo, exec_lo, s10
	v_lshrrev_b16 v6, 8, v176
	s_mov_b32 s12, exec_lo
	v_cmpx_ne_u16_e32 0, v6
	s_cbranch_execz .LBB251_1227
; %bb.1220:                             ;   in Loop: Header=BB251_803 Depth=1
	v_dual_mov_b32 v15, s9 :: v_dual_mov_b32 v14, s8
	s_mov_b32 s13, exec_lo
	v_cmpx_ne_u16_e32 0x80, v6
	s_cbranch_execz .LBB251_1226
; %bb.1221:                             ;   in Loop: Header=BB251_803 Depth=1
	s_mov_b32 s10, s8
	v_dual_mov_b32 v15, s11 :: v_dual_and_b32 v6, 0xffff, v6
	v_mov_b32_e32 v14, s10
	s_mov_b32 s10, exec_lo
	s_delay_alu instid0(VALU_DEP_2) | instskip(NEXT) | instid1(VALU_DEP_1)
	v_and_b32_e32 v16, 0x7f, v6
	v_cmpx_ne_u32_e32 0x7f, v16
	s_cbranch_execz .LBB251_1225
; %bb.1222:                             ;   in Loop: Header=BB251_803 Depth=1
	v_and_b32_e32 v6, 7, v6
	v_lshrrev_b32_e32 v14, 3, v16
	s_mov_b32 s15, exec_lo
	v_cmpx_gt_u32_e32 8, v16
; %bb.1223:                             ;   in Loop: Header=BB251_803 Depth=1
	s_delay_alu instid0(VALU_DEP_3) | instskip(NEXT) | instid1(VALU_DEP_1)
	v_clz_i32_u32_e32 v14, v6
	v_min_u32_e32 v14, 32, v14
	s_delay_alu instid0(VALU_DEP_1) | instskip(SKIP_1) | instid1(VALU_DEP_2)
	v_subrev_nc_u32_e32 v15, 28, v14
	v_sub_nc_u32_e32 v14, 29, v14
	v_lshlrev_b64 v[15:16], v15, v[6:7]
	s_delay_alu instid0(VALU_DEP_1)
	v_and_b32_e32 v6, 7, v15
; %bb.1224:                             ;   in Loop: Header=BB251_803 Depth=1
	s_or_b32 exec_lo, exec_lo, s15
	v_lshlrev_b32_e32 v15, 16, v176
	s_delay_alu instid0(VALU_DEP_2) | instskip(SKIP_1) | instid1(VALU_DEP_3)
	v_lshlrev_b32_e32 v6, 20, v6
	v_lshl_add_u32 v14, v14, 23, 0x3c000000
	v_and_b32_e32 v15, 0x80000000, v15
	s_delay_alu instid0(VALU_DEP_1)
	v_or3_b32 v15, v6, v15, v14
	v_mov_b32_e32 v14, v7
.LBB251_1225:                           ;   in Loop: Header=BB251_803 Depth=1
	s_or_b32 exec_lo, exec_lo, s10
.LBB251_1226:                           ;   in Loop: Header=BB251_803 Depth=1
	s_delay_alu instid0(SALU_CYCLE_1)
	s_or_b32 exec_lo, exec_lo, s13
.LBB251_1227:                           ;   in Loop: Header=BB251_803 Depth=1
	s_delay_alu instid0(SALU_CYCLE_1) | instskip(SKIP_4) | instid1(VALU_DEP_2)
	s_or_b32 exec_lo, exec_lo, s12
	v_mov_b32_e32 v18, 0
	v_lshrrev_b32_e32 v177, 16, v176
	v_mov_b32_e32 v19, 0
	s_mov_b32 s10, exec_lo
	v_and_b32_e32 v6, 0xff, v177
	s_delay_alu instid0(VALU_DEP_2) | instskip(NEXT) | instid1(VALU_DEP_2)
	v_dual_mov_b32 v16, v18 :: v_dual_mov_b32 v17, v19
	v_cmpx_ne_u16_e32 0, v6
	s_cbranch_execz .LBB251_1235
; %bb.1228:                             ;   in Loop: Header=BB251_803 Depth=1
	v_bfrev_b32_e32 v16, 1
	v_mov_b32_e32 v17, 0
	s_mov_b32 s12, exec_lo
	v_cmpx_ne_u16_e32 0x80, v6
	s_cbranch_execz .LBB251_1234
; %bb.1229:                             ;   in Loop: Header=BB251_803 Depth=1
	v_mov_b32_e32 v16, 0x7f800001
	v_bfe_u32 v178, v176, 16, 7
	v_mov_b32_e32 v17, 0
	s_mov_b32 s13, exec_lo
	s_delay_alu instid0(VALU_DEP_2)
	v_cmpx_ne_u32_e32 0x7f, v178
	s_cbranch_execz .LBB251_1233
; %bb.1230:                             ;   in Loop: Header=BB251_803 Depth=1
	v_and_b32_e32 v6, 7, v177
	v_lshrrev_b32_e32 v16, 3, v178
	s_mov_b32 s15, exec_lo
	v_cmpx_gt_u32_e32 8, v178
; %bb.1231:                             ;   in Loop: Header=BB251_803 Depth=1
	s_delay_alu instid0(VALU_DEP_3) | instskip(NEXT) | instid1(VALU_DEP_1)
	v_clz_i32_u32_e32 v16, v6
	v_min_u32_e32 v16, 32, v16
	s_delay_alu instid0(VALU_DEP_1) | instskip(SKIP_1) | instid1(VALU_DEP_2)
	v_subrev_nc_u32_e32 v17, 28, v16
	v_sub_nc_u32_e32 v16, 29, v16
	v_lshlrev_b64 v[178:179], v17, v[6:7]
	s_delay_alu instid0(VALU_DEP_1)
	v_and_b32_e32 v6, 7, v178
; %bb.1232:                             ;   in Loop: Header=BB251_803 Depth=1
	s_or_b32 exec_lo, exec_lo, s15
	v_lshlrev_b32_e32 v17, 24, v177
	s_delay_alu instid0(VALU_DEP_2) | instskip(SKIP_1) | instid1(VALU_DEP_3)
	v_lshlrev_b32_e32 v6, 20, v6
	v_lshl_add_u32 v16, v16, 23, 0x3c000000
	v_and_b32_e32 v17, 0x80000000, v17
	s_delay_alu instid0(VALU_DEP_1) | instskip(NEXT) | instid1(VALU_DEP_1)
	v_or3_b32 v6, v6, v17, v16
	v_dual_mov_b32 v17, v7 :: v_dual_mov_b32 v16, v6
.LBB251_1233:                           ;   in Loop: Header=BB251_803 Depth=1
	s_or_b32 exec_lo, exec_lo, s13
.LBB251_1234:                           ;   in Loop: Header=BB251_803 Depth=1
	s_delay_alu instid0(SALU_CYCLE_1)
	s_or_b32 exec_lo, exec_lo, s12
.LBB251_1235:                           ;   in Loop: Header=BB251_803 Depth=1
	s_delay_alu instid0(SALU_CYCLE_1) | instskip(NEXT) | instid1(SALU_CYCLE_1)
	s_or_b32 exec_lo, exec_lo, s10
	s_mov_b32 s12, exec_lo
	v_cmpx_lt_u32_e32 0xffffff, v176
	s_cbranch_execz .LBB251_1243
; %bb.1236:                             ;   in Loop: Header=BB251_803 Depth=1
	v_lshrrev_b32_e32 v177, 24, v176
	v_dual_mov_b32 v19, s9 :: v_dual_mov_b32 v18, s8
	s_mov_b32 s13, exec_lo
	s_delay_alu instid0(VALU_DEP_2)
	v_cmpx_ne_u32_e32 0x80, v177
	s_cbranch_execz .LBB251_1242
; %bb.1237:                             ;   in Loop: Header=BB251_803 Depth=1
	s_mov_b32 s10, s8
	v_bfe_u32 v176, v176, 24, 7
	v_dual_mov_b32 v19, s11 :: v_dual_mov_b32 v18, s10
	s_mov_b32 s10, exec_lo
	s_delay_alu instid0(VALU_DEP_2)
	v_cmpx_ne_u32_e32 0x7f, v176
	s_cbranch_execz .LBB251_1241
; %bb.1238:                             ;   in Loop: Header=BB251_803 Depth=1
	v_and_b32_e32 v6, 7, v177
	v_lshrrev_b32_e32 v18, 3, v176
	s_mov_b32 s15, exec_lo
	v_cmpx_gt_u32_e32 8, v176
; %bb.1239:                             ;   in Loop: Header=BB251_803 Depth=1
	s_delay_alu instid0(VALU_DEP_3) | instskip(NEXT) | instid1(VALU_DEP_1)
	v_clz_i32_u32_e32 v18, v6
	v_min_u32_e32 v18, 32, v18
	s_delay_alu instid0(VALU_DEP_1) | instskip(SKIP_1) | instid1(VALU_DEP_2)
	v_subrev_nc_u32_e32 v19, 28, v18
	v_sub_nc_u32_e32 v18, 29, v18
	v_lshlrev_b64 v[178:179], v19, v[6:7]
	s_delay_alu instid0(VALU_DEP_1)
	v_and_b32_e32 v6, 7, v178
; %bb.1240:                             ;   in Loop: Header=BB251_803 Depth=1
	s_or_b32 exec_lo, exec_lo, s15
	v_lshlrev_b32_e32 v19, 24, v177
	s_delay_alu instid0(VALU_DEP_2) | instskip(SKIP_1) | instid1(VALU_DEP_3)
	v_lshlrev_b32_e32 v6, 20, v6
	v_lshl_add_u32 v18, v18, 23, 0x3c000000
	v_and_b32_e32 v19, 0x80000000, v19
	s_delay_alu instid0(VALU_DEP_1)
	v_or3_b32 v19, v6, v19, v18
	v_mov_b32_e32 v18, v7
.LBB251_1241:                           ;   in Loop: Header=BB251_803 Depth=1
	s_or_b32 exec_lo, exec_lo, s10
.LBB251_1242:                           ;   in Loop: Header=BB251_803 Depth=1
	s_delay_alu instid0(SALU_CYCLE_1)
	s_or_b32 exec_lo, exec_lo, s13
.LBB251_1243:                           ;   in Loop: Header=BB251_803 Depth=1
	s_delay_alu instid0(SALU_CYCLE_1) | instskip(SKIP_4) | instid1(VALU_DEP_4)
	s_or_b32 exec_lo, exec_lo, s12
	v_or_b32_e32 v5, v15, v5
	v_or_b32_e32 v4, v14, v4
	v_or_b32_e32 v6, v19, v17
	v_or_b32_e32 v14, v18, v16
	v_mul_f32_e32 v179, v68, v5
	s_delay_alu instid0(VALU_DEP_4) | instskip(NEXT) | instid1(VALU_DEP_4)
	v_mul_f32_e32 v178, v64, v4
	v_mul_f32_e32 v176, v68, v6
	s_delay_alu instid0(VALU_DEP_4)
	v_mul_f32_e32 v177, v64, v14
	s_and_saveexec_b32 s10, vcc_lo
; %bb.1244:                             ;   in Loop: Header=BB251_803 Depth=1
	v_cmp_lt_i32_e64 s0, v81, v92
	s_delay_alu instid0(VALU_DEP_1) | instskip(SKIP_1) | instid1(VALU_DEP_1)
	v_cndmask_b32_e64 v178, 0, v178, s0
	v_cmp_lt_i32_e64 s0, v83, v92
	v_cndmask_b32_e64 v179, 0, v179, s0
	v_cmp_lt_i32_e64 s0, v82, v92
	s_delay_alu instid0(VALU_DEP_1) | instskip(SKIP_1) | instid1(VALU_DEP_1)
	v_cndmask_b32_e64 v177, 0, v177, s0
	v_cmp_lt_i32_e64 s0, v66, v92
	v_cndmask_b32_e64 v176, 0, v176, s0
; %bb.1245:                             ;   in Loop: Header=BB251_803 Depth=1
	s_or_b32 exec_lo, exec_lo, s10
	flat_load_b32 v180, v[12:13] offset:1664
	v_mov_b32_e32 v14, 0
	v_mov_b32_e32 v15, 0
	s_mov_b32 s10, exec_lo
	s_waitcnt vmcnt(0) lgkmcnt(0)
	v_and_b32_e32 v6, 0xff, v180
	s_delay_alu instid0(VALU_DEP_2) | instskip(NEXT) | instid1(VALU_DEP_2)
	v_dual_mov_b32 v4, v14 :: v_dual_mov_b32 v5, v15
	v_cmpx_ne_u16_e32 0, v6
	s_cbranch_execz .LBB251_1253
; %bb.1246:                             ;   in Loop: Header=BB251_803 Depth=1
	v_bfrev_b32_e32 v4, 1
	v_mov_b32_e32 v5, 0
	s_mov_b32 s12, exec_lo
	v_cmpx_ne_u16_e32 0x80, v6
	s_cbranch_execz .LBB251_1252
; %bb.1247:                             ;   in Loop: Header=BB251_803 Depth=1
	v_mov_b32_e32 v4, 0x7f800001
	v_dual_mov_b32 v5, 0 :: v_dual_and_b32 v16, 0x7f, v180
	s_mov_b32 s13, exec_lo
	s_delay_alu instid0(VALU_DEP_1)
	v_cmpx_ne_u32_e32 0x7f, v16
	s_cbranch_execz .LBB251_1251
; %bb.1248:                             ;   in Loop: Header=BB251_803 Depth=1
	v_and_b32_e32 v6, 7, v180
	v_lshrrev_b32_e32 v4, 3, v16
	s_mov_b32 s15, exec_lo
	v_cmpx_gt_u32_e32 8, v16
; %bb.1249:                             ;   in Loop: Header=BB251_803 Depth=1
	s_delay_alu instid0(VALU_DEP_3) | instskip(NEXT) | instid1(VALU_DEP_1)
	v_clz_i32_u32_e32 v4, v6
	v_min_u32_e32 v4, 32, v4
	s_delay_alu instid0(VALU_DEP_1) | instskip(SKIP_1) | instid1(VALU_DEP_2)
	v_subrev_nc_u32_e32 v5, 28, v4
	v_sub_nc_u32_e32 v4, 29, v4
	v_lshlrev_b64 v[5:6], v5, v[6:7]
	s_delay_alu instid0(VALU_DEP_1)
	v_and_b32_e32 v6, 7, v5
; %bb.1250:                             ;   in Loop: Header=BB251_803 Depth=1
	s_or_b32 exec_lo, exec_lo, s15
	v_lshlrev_b32_e32 v5, 24, v180
	s_delay_alu instid0(VALU_DEP_2) | instskip(SKIP_1) | instid1(VALU_DEP_3)
	v_lshlrev_b32_e32 v6, 20, v6
	v_lshl_add_u32 v4, v4, 23, 0x3c000000
	v_and_b32_e32 v5, 0x80000000, v5
	s_delay_alu instid0(VALU_DEP_1) | instskip(NEXT) | instid1(VALU_DEP_1)
	v_or3_b32 v6, v6, v5, v4
	v_dual_mov_b32 v4, v6 :: v_dual_mov_b32 v5, v7
.LBB251_1251:                           ;   in Loop: Header=BB251_803 Depth=1
	s_or_b32 exec_lo, exec_lo, s13
.LBB251_1252:                           ;   in Loop: Header=BB251_803 Depth=1
	s_delay_alu instid0(SALU_CYCLE_1)
	s_or_b32 exec_lo, exec_lo, s12
.LBB251_1253:                           ;   in Loop: Header=BB251_803 Depth=1
	s_delay_alu instid0(SALU_CYCLE_1) | instskip(SKIP_2) | instid1(VALU_DEP_1)
	s_or_b32 exec_lo, exec_lo, s10
	v_lshrrev_b16 v6, 8, v180
	s_mov_b32 s12, exec_lo
	v_cmpx_ne_u16_e32 0, v6
	s_cbranch_execz .LBB251_1261
; %bb.1254:                             ;   in Loop: Header=BB251_803 Depth=1
	v_dual_mov_b32 v15, s9 :: v_dual_mov_b32 v14, s8
	s_mov_b32 s13, exec_lo
	v_cmpx_ne_u16_e32 0x80, v6
	s_cbranch_execz .LBB251_1260
; %bb.1255:                             ;   in Loop: Header=BB251_803 Depth=1
	s_mov_b32 s10, s8
	v_dual_mov_b32 v15, s11 :: v_dual_and_b32 v6, 0xffff, v6
	v_mov_b32_e32 v14, s10
	s_mov_b32 s10, exec_lo
	s_delay_alu instid0(VALU_DEP_2) | instskip(NEXT) | instid1(VALU_DEP_1)
	v_and_b32_e32 v16, 0x7f, v6
	v_cmpx_ne_u32_e32 0x7f, v16
	s_cbranch_execz .LBB251_1259
; %bb.1256:                             ;   in Loop: Header=BB251_803 Depth=1
	v_and_b32_e32 v6, 7, v6
	v_lshrrev_b32_e32 v14, 3, v16
	s_mov_b32 s15, exec_lo
	v_cmpx_gt_u32_e32 8, v16
; %bb.1257:                             ;   in Loop: Header=BB251_803 Depth=1
	s_delay_alu instid0(VALU_DEP_3) | instskip(NEXT) | instid1(VALU_DEP_1)
	v_clz_i32_u32_e32 v14, v6
	v_min_u32_e32 v14, 32, v14
	s_delay_alu instid0(VALU_DEP_1) | instskip(SKIP_1) | instid1(VALU_DEP_2)
	v_subrev_nc_u32_e32 v15, 28, v14
	v_sub_nc_u32_e32 v14, 29, v14
	v_lshlrev_b64 v[15:16], v15, v[6:7]
	s_delay_alu instid0(VALU_DEP_1)
	v_and_b32_e32 v6, 7, v15
; %bb.1258:                             ;   in Loop: Header=BB251_803 Depth=1
	s_or_b32 exec_lo, exec_lo, s15
	v_lshlrev_b32_e32 v15, 16, v180
	s_delay_alu instid0(VALU_DEP_2) | instskip(SKIP_1) | instid1(VALU_DEP_3)
	v_lshlrev_b32_e32 v6, 20, v6
	v_lshl_add_u32 v14, v14, 23, 0x3c000000
	v_and_b32_e32 v15, 0x80000000, v15
	s_delay_alu instid0(VALU_DEP_1)
	v_or3_b32 v15, v6, v15, v14
	v_mov_b32_e32 v14, v7
.LBB251_1259:                           ;   in Loop: Header=BB251_803 Depth=1
	s_or_b32 exec_lo, exec_lo, s10
.LBB251_1260:                           ;   in Loop: Header=BB251_803 Depth=1
	s_delay_alu instid0(SALU_CYCLE_1)
	s_or_b32 exec_lo, exec_lo, s13
.LBB251_1261:                           ;   in Loop: Header=BB251_803 Depth=1
	s_delay_alu instid0(SALU_CYCLE_1) | instskip(SKIP_4) | instid1(VALU_DEP_2)
	s_or_b32 exec_lo, exec_lo, s12
	v_mov_b32_e32 v18, 0
	v_lshrrev_b32_e32 v181, 16, v180
	v_mov_b32_e32 v19, 0
	s_mov_b32 s10, exec_lo
	v_and_b32_e32 v6, 0xff, v181
	s_delay_alu instid0(VALU_DEP_2) | instskip(NEXT) | instid1(VALU_DEP_2)
	v_dual_mov_b32 v16, v18 :: v_dual_mov_b32 v17, v19
	v_cmpx_ne_u16_e32 0, v6
	s_cbranch_execz .LBB251_1269
; %bb.1262:                             ;   in Loop: Header=BB251_803 Depth=1
	v_bfrev_b32_e32 v16, 1
	v_mov_b32_e32 v17, 0
	s_mov_b32 s12, exec_lo
	v_cmpx_ne_u16_e32 0x80, v6
	s_cbranch_execz .LBB251_1268
; %bb.1263:                             ;   in Loop: Header=BB251_803 Depth=1
	v_mov_b32_e32 v16, 0x7f800001
	v_bfe_u32 v182, v180, 16, 7
	v_mov_b32_e32 v17, 0
	s_mov_b32 s13, exec_lo
	s_delay_alu instid0(VALU_DEP_2)
	v_cmpx_ne_u32_e32 0x7f, v182
	s_cbranch_execz .LBB251_1267
; %bb.1264:                             ;   in Loop: Header=BB251_803 Depth=1
	v_and_b32_e32 v6, 7, v181
	v_lshrrev_b32_e32 v16, 3, v182
	s_mov_b32 s15, exec_lo
	v_cmpx_gt_u32_e32 8, v182
; %bb.1265:                             ;   in Loop: Header=BB251_803 Depth=1
	s_delay_alu instid0(VALU_DEP_3) | instskip(NEXT) | instid1(VALU_DEP_1)
	v_clz_i32_u32_e32 v16, v6
	v_min_u32_e32 v16, 32, v16
	s_delay_alu instid0(VALU_DEP_1) | instskip(SKIP_1) | instid1(VALU_DEP_2)
	v_subrev_nc_u32_e32 v17, 28, v16
	v_sub_nc_u32_e32 v16, 29, v16
	v_lshlrev_b64 v[182:183], v17, v[6:7]
	s_delay_alu instid0(VALU_DEP_1)
	v_and_b32_e32 v6, 7, v182
; %bb.1266:                             ;   in Loop: Header=BB251_803 Depth=1
	s_or_b32 exec_lo, exec_lo, s15
	v_lshlrev_b32_e32 v17, 24, v181
	s_delay_alu instid0(VALU_DEP_2) | instskip(SKIP_1) | instid1(VALU_DEP_3)
	v_lshlrev_b32_e32 v6, 20, v6
	v_lshl_add_u32 v16, v16, 23, 0x3c000000
	v_and_b32_e32 v17, 0x80000000, v17
	s_delay_alu instid0(VALU_DEP_1) | instskip(NEXT) | instid1(VALU_DEP_1)
	v_or3_b32 v6, v6, v17, v16
	v_dual_mov_b32 v17, v7 :: v_dual_mov_b32 v16, v6
.LBB251_1267:                           ;   in Loop: Header=BB251_803 Depth=1
	s_or_b32 exec_lo, exec_lo, s13
.LBB251_1268:                           ;   in Loop: Header=BB251_803 Depth=1
	s_delay_alu instid0(SALU_CYCLE_1)
	s_or_b32 exec_lo, exec_lo, s12
.LBB251_1269:                           ;   in Loop: Header=BB251_803 Depth=1
	s_delay_alu instid0(SALU_CYCLE_1) | instskip(NEXT) | instid1(SALU_CYCLE_1)
	s_or_b32 exec_lo, exec_lo, s10
	s_mov_b32 s12, exec_lo
	v_cmpx_lt_u32_e32 0xffffff, v180
	s_cbranch_execz .LBB251_1277
; %bb.1270:                             ;   in Loop: Header=BB251_803 Depth=1
	v_lshrrev_b32_e32 v181, 24, v180
	v_dual_mov_b32 v19, s9 :: v_dual_mov_b32 v18, s8
	s_mov_b32 s13, exec_lo
	s_delay_alu instid0(VALU_DEP_2)
	v_cmpx_ne_u32_e32 0x80, v181
	s_cbranch_execz .LBB251_1276
; %bb.1271:                             ;   in Loop: Header=BB251_803 Depth=1
	s_mov_b32 s10, s8
	v_bfe_u32 v180, v180, 24, 7
	v_dual_mov_b32 v19, s11 :: v_dual_mov_b32 v18, s10
	s_mov_b32 s10, exec_lo
	s_delay_alu instid0(VALU_DEP_2)
	v_cmpx_ne_u32_e32 0x7f, v180
	s_cbranch_execz .LBB251_1275
; %bb.1272:                             ;   in Loop: Header=BB251_803 Depth=1
	v_and_b32_e32 v6, 7, v181
	v_lshrrev_b32_e32 v18, 3, v180
	s_mov_b32 s15, exec_lo
	v_cmpx_gt_u32_e32 8, v180
; %bb.1273:                             ;   in Loop: Header=BB251_803 Depth=1
	s_delay_alu instid0(VALU_DEP_3) | instskip(NEXT) | instid1(VALU_DEP_1)
	v_clz_i32_u32_e32 v18, v6
	v_min_u32_e32 v18, 32, v18
	s_delay_alu instid0(VALU_DEP_1) | instskip(SKIP_1) | instid1(VALU_DEP_2)
	v_subrev_nc_u32_e32 v19, 28, v18
	v_sub_nc_u32_e32 v18, 29, v18
	v_lshlrev_b64 v[182:183], v19, v[6:7]
	s_delay_alu instid0(VALU_DEP_1)
	v_and_b32_e32 v6, 7, v182
; %bb.1274:                             ;   in Loop: Header=BB251_803 Depth=1
	s_or_b32 exec_lo, exec_lo, s15
	v_lshlrev_b32_e32 v19, 24, v181
	s_delay_alu instid0(VALU_DEP_2) | instskip(SKIP_1) | instid1(VALU_DEP_3)
	v_lshlrev_b32_e32 v6, 20, v6
	v_lshl_add_u32 v18, v18, 23, 0x3c000000
	v_and_b32_e32 v19, 0x80000000, v19
	s_delay_alu instid0(VALU_DEP_1)
	v_or3_b32 v19, v6, v19, v18
	v_mov_b32_e32 v18, v7
.LBB251_1275:                           ;   in Loop: Header=BB251_803 Depth=1
	s_or_b32 exec_lo, exec_lo, s10
.LBB251_1276:                           ;   in Loop: Header=BB251_803 Depth=1
	s_delay_alu instid0(SALU_CYCLE_1)
	s_or_b32 exec_lo, exec_lo, s13
.LBB251_1277:                           ;   in Loop: Header=BB251_803 Depth=1
	s_delay_alu instid0(SALU_CYCLE_1) | instskip(SKIP_4) | instid1(VALU_DEP_4)
	s_or_b32 exec_lo, exec_lo, s12
	v_or_b32_e32 v5, v15, v5
	v_or_b32_e32 v4, v14, v4
	;; [unrolled: 1-line block ×4, first 2 shown]
	v_mul_f32_e32 v183, v68, v5
	s_delay_alu instid0(VALU_DEP_4) | instskip(NEXT) | instid1(VALU_DEP_4)
	v_mul_f32_e32 v182, v64, v4
	v_mul_f32_e32 v180, v68, v6
	s_delay_alu instid0(VALU_DEP_4)
	v_mul_f32_e32 v181, v64, v14
	s_and_saveexec_b32 s10, vcc_lo
; %bb.1278:                             ;   in Loop: Header=BB251_803 Depth=1
	v_cmp_lt_i32_e64 s0, v81, v92
	s_delay_alu instid0(VALU_DEP_1) | instskip(SKIP_1) | instid1(VALU_DEP_1)
	v_cndmask_b32_e64 v182, 0, v182, s0
	v_cmp_lt_i32_e64 s0, v83, v92
	v_cndmask_b32_e64 v183, 0, v183, s0
	v_cmp_lt_i32_e64 s0, v82, v92
	s_delay_alu instid0(VALU_DEP_1) | instskip(SKIP_1) | instid1(VALU_DEP_1)
	v_cndmask_b32_e64 v181, 0, v181, s0
	v_cmp_lt_i32_e64 s0, v66, v92
	v_cndmask_b32_e64 v180, 0, v180, s0
; %bb.1279:                             ;   in Loop: Header=BB251_803 Depth=1
	s_or_b32 exec_lo, exec_lo, s10
	flat_load_b32 v40, v[12:13] offset:1792
	v_mov_b32_e32 v14, 0
	v_mov_b32_e32 v15, 0
	s_mov_b32 s10, exec_lo
	s_waitcnt vmcnt(0) lgkmcnt(0)
	v_and_b32_e32 v6, 0xff, v40
	s_delay_alu instid0(VALU_DEP_2) | instskip(NEXT) | instid1(VALU_DEP_2)
	v_dual_mov_b32 v4, v14 :: v_dual_mov_b32 v5, v15
	v_cmpx_ne_u16_e32 0, v6
	s_cbranch_execz .LBB251_1287
; %bb.1280:                             ;   in Loop: Header=BB251_803 Depth=1
	v_bfrev_b32_e32 v4, 1
	v_mov_b32_e32 v5, 0
	s_mov_b32 s12, exec_lo
	v_cmpx_ne_u16_e32 0x80, v6
	s_cbranch_execz .LBB251_1286
; %bb.1281:                             ;   in Loop: Header=BB251_803 Depth=1
	v_mov_b32_e32 v4, 0x7f800001
	v_dual_mov_b32 v5, 0 :: v_dual_and_b32 v16, 0x7f, v40
	s_mov_b32 s13, exec_lo
	s_delay_alu instid0(VALU_DEP_1)
	v_cmpx_ne_u32_e32 0x7f, v16
	s_cbranch_execz .LBB251_1285
; %bb.1282:                             ;   in Loop: Header=BB251_803 Depth=1
	v_and_b32_e32 v6, 7, v40
	v_lshrrev_b32_e32 v4, 3, v16
	s_mov_b32 s15, exec_lo
	v_cmpx_gt_u32_e32 8, v16
; %bb.1283:                             ;   in Loop: Header=BB251_803 Depth=1
	s_delay_alu instid0(VALU_DEP_3) | instskip(NEXT) | instid1(VALU_DEP_1)
	v_clz_i32_u32_e32 v4, v6
	v_min_u32_e32 v4, 32, v4
	s_delay_alu instid0(VALU_DEP_1) | instskip(SKIP_1) | instid1(VALU_DEP_2)
	v_subrev_nc_u32_e32 v5, 28, v4
	v_sub_nc_u32_e32 v4, 29, v4
	v_lshlrev_b64 v[5:6], v5, v[6:7]
	s_delay_alu instid0(VALU_DEP_1)
	v_and_b32_e32 v6, 7, v5
; %bb.1284:                             ;   in Loop: Header=BB251_803 Depth=1
	s_or_b32 exec_lo, exec_lo, s15
	v_lshlrev_b32_e32 v5, 24, v40
	s_delay_alu instid0(VALU_DEP_2) | instskip(SKIP_1) | instid1(VALU_DEP_3)
	v_lshlrev_b32_e32 v6, 20, v6
	v_lshl_add_u32 v4, v4, 23, 0x3c000000
	v_and_b32_e32 v5, 0x80000000, v5
	s_delay_alu instid0(VALU_DEP_1) | instskip(NEXT) | instid1(VALU_DEP_1)
	v_or3_b32 v6, v6, v5, v4
	v_dual_mov_b32 v4, v6 :: v_dual_mov_b32 v5, v7
.LBB251_1285:                           ;   in Loop: Header=BB251_803 Depth=1
	s_or_b32 exec_lo, exec_lo, s13
.LBB251_1286:                           ;   in Loop: Header=BB251_803 Depth=1
	s_delay_alu instid0(SALU_CYCLE_1)
	s_or_b32 exec_lo, exec_lo, s12
.LBB251_1287:                           ;   in Loop: Header=BB251_803 Depth=1
	s_delay_alu instid0(SALU_CYCLE_1) | instskip(SKIP_2) | instid1(VALU_DEP_1)
	s_or_b32 exec_lo, exec_lo, s10
	v_lshrrev_b16 v6, 8, v40
	s_mov_b32 s12, exec_lo
	v_cmpx_ne_u16_e32 0, v6
	s_cbranch_execz .LBB251_1295
; %bb.1288:                             ;   in Loop: Header=BB251_803 Depth=1
	v_dual_mov_b32 v15, s9 :: v_dual_mov_b32 v14, s8
	s_mov_b32 s13, exec_lo
	v_cmpx_ne_u16_e32 0x80, v6
	s_cbranch_execz .LBB251_1294
; %bb.1289:                             ;   in Loop: Header=BB251_803 Depth=1
	s_mov_b32 s10, s8
	v_dual_mov_b32 v15, s11 :: v_dual_and_b32 v6, 0xffff, v6
	v_mov_b32_e32 v14, s10
	s_mov_b32 s10, exec_lo
	s_delay_alu instid0(VALU_DEP_2) | instskip(NEXT) | instid1(VALU_DEP_1)
	v_and_b32_e32 v16, 0x7f, v6
	v_cmpx_ne_u32_e32 0x7f, v16
	s_cbranch_execz .LBB251_1293
; %bb.1290:                             ;   in Loop: Header=BB251_803 Depth=1
	v_and_b32_e32 v6, 7, v6
	v_lshrrev_b32_e32 v14, 3, v16
	s_mov_b32 s15, exec_lo
	v_cmpx_gt_u32_e32 8, v16
; %bb.1291:                             ;   in Loop: Header=BB251_803 Depth=1
	s_delay_alu instid0(VALU_DEP_3) | instskip(NEXT) | instid1(VALU_DEP_1)
	v_clz_i32_u32_e32 v14, v6
	v_min_u32_e32 v14, 32, v14
	s_delay_alu instid0(VALU_DEP_1) | instskip(SKIP_1) | instid1(VALU_DEP_2)
	v_subrev_nc_u32_e32 v15, 28, v14
	v_sub_nc_u32_e32 v14, 29, v14
	v_lshlrev_b64 v[15:16], v15, v[6:7]
	s_delay_alu instid0(VALU_DEP_1)
	v_and_b32_e32 v6, 7, v15
; %bb.1292:                             ;   in Loop: Header=BB251_803 Depth=1
	s_or_b32 exec_lo, exec_lo, s15
	v_lshlrev_b32_e32 v15, 16, v40
	s_delay_alu instid0(VALU_DEP_2) | instskip(SKIP_1) | instid1(VALU_DEP_3)
	v_lshlrev_b32_e32 v6, 20, v6
	v_lshl_add_u32 v14, v14, 23, 0x3c000000
	v_and_b32_e32 v15, 0x80000000, v15
	s_delay_alu instid0(VALU_DEP_1)
	v_or3_b32 v15, v6, v15, v14
	v_mov_b32_e32 v14, v7
.LBB251_1293:                           ;   in Loop: Header=BB251_803 Depth=1
	s_or_b32 exec_lo, exec_lo, s10
.LBB251_1294:                           ;   in Loop: Header=BB251_803 Depth=1
	s_delay_alu instid0(SALU_CYCLE_1)
	s_or_b32 exec_lo, exec_lo, s13
.LBB251_1295:                           ;   in Loop: Header=BB251_803 Depth=1
	s_delay_alu instid0(SALU_CYCLE_1) | instskip(SKIP_4) | instid1(VALU_DEP_2)
	s_or_b32 exec_lo, exec_lo, s12
	v_mov_b32_e32 v18, 0
	v_lshrrev_b32_e32 v41, 16, v40
	v_mov_b32_e32 v19, 0
	s_mov_b32 s10, exec_lo
	v_and_b32_e32 v6, 0xff, v41
	s_delay_alu instid0(VALU_DEP_2) | instskip(NEXT) | instid1(VALU_DEP_2)
	v_dual_mov_b32 v16, v18 :: v_dual_mov_b32 v17, v19
	v_cmpx_ne_u16_e32 0, v6
	s_cbranch_execz .LBB251_1303
; %bb.1296:                             ;   in Loop: Header=BB251_803 Depth=1
	v_bfrev_b32_e32 v16, 1
	v_mov_b32_e32 v17, 0
	s_mov_b32 s12, exec_lo
	v_cmpx_ne_u16_e32 0x80, v6
	s_cbranch_execz .LBB251_1302
; %bb.1297:                             ;   in Loop: Header=BB251_803 Depth=1
	v_mov_b32_e32 v16, 0x7f800001
	v_bfe_u32 v42, v40, 16, 7
	v_mov_b32_e32 v17, 0
	s_mov_b32 s13, exec_lo
	s_delay_alu instid0(VALU_DEP_2)
	v_cmpx_ne_u32_e32 0x7f, v42
	s_cbranch_execz .LBB251_1301
; %bb.1298:                             ;   in Loop: Header=BB251_803 Depth=1
	v_and_b32_e32 v6, 7, v41
	v_lshrrev_b32_e32 v16, 3, v42
	s_mov_b32 s15, exec_lo
	v_cmpx_gt_u32_e32 8, v42
; %bb.1299:                             ;   in Loop: Header=BB251_803 Depth=1
	s_delay_alu instid0(VALU_DEP_3) | instskip(NEXT) | instid1(VALU_DEP_1)
	v_clz_i32_u32_e32 v16, v6
	v_min_u32_e32 v16, 32, v16
	s_delay_alu instid0(VALU_DEP_1) | instskip(SKIP_1) | instid1(VALU_DEP_2)
	v_subrev_nc_u32_e32 v17, 28, v16
	v_sub_nc_u32_e32 v16, 29, v16
	v_lshlrev_b64 v[42:43], v17, v[6:7]
	s_delay_alu instid0(VALU_DEP_1)
	v_and_b32_e32 v6, 7, v42
; %bb.1300:                             ;   in Loop: Header=BB251_803 Depth=1
	s_or_b32 exec_lo, exec_lo, s15
	v_lshlrev_b32_e32 v17, 24, v41
	s_delay_alu instid0(VALU_DEP_2) | instskip(SKIP_1) | instid1(VALU_DEP_3)
	v_lshlrev_b32_e32 v6, 20, v6
	v_lshl_add_u32 v16, v16, 23, 0x3c000000
	v_and_b32_e32 v17, 0x80000000, v17
	s_delay_alu instid0(VALU_DEP_1) | instskip(NEXT) | instid1(VALU_DEP_1)
	v_or3_b32 v6, v6, v17, v16
	v_dual_mov_b32 v17, v7 :: v_dual_mov_b32 v16, v6
.LBB251_1301:                           ;   in Loop: Header=BB251_803 Depth=1
	s_or_b32 exec_lo, exec_lo, s13
.LBB251_1302:                           ;   in Loop: Header=BB251_803 Depth=1
	s_delay_alu instid0(SALU_CYCLE_1)
	s_or_b32 exec_lo, exec_lo, s12
.LBB251_1303:                           ;   in Loop: Header=BB251_803 Depth=1
	s_delay_alu instid0(SALU_CYCLE_1) | instskip(NEXT) | instid1(SALU_CYCLE_1)
	s_or_b32 exec_lo, exec_lo, s10
	s_mov_b32 s12, exec_lo
	v_cmpx_lt_u32_e32 0xffffff, v40
	s_cbranch_execz .LBB251_1311
; %bb.1304:                             ;   in Loop: Header=BB251_803 Depth=1
	v_lshrrev_b32_e32 v41, 24, v40
	v_dual_mov_b32 v19, s9 :: v_dual_mov_b32 v18, s8
	s_mov_b32 s13, exec_lo
	s_delay_alu instid0(VALU_DEP_2)
	v_cmpx_ne_u32_e32 0x80, v41
	s_cbranch_execz .LBB251_1310
; %bb.1305:                             ;   in Loop: Header=BB251_803 Depth=1
	s_mov_b32 s10, s8
	v_bfe_u32 v40, v40, 24, 7
	v_dual_mov_b32 v19, s11 :: v_dual_mov_b32 v18, s10
	s_mov_b32 s10, exec_lo
	s_delay_alu instid0(VALU_DEP_2)
	v_cmpx_ne_u32_e32 0x7f, v40
	s_cbranch_execz .LBB251_1309
; %bb.1306:                             ;   in Loop: Header=BB251_803 Depth=1
	v_and_b32_e32 v6, 7, v41
	v_lshrrev_b32_e32 v18, 3, v40
	s_mov_b32 s15, exec_lo
	v_cmpx_gt_u32_e32 8, v40
; %bb.1307:                             ;   in Loop: Header=BB251_803 Depth=1
	s_delay_alu instid0(VALU_DEP_3) | instskip(NEXT) | instid1(VALU_DEP_1)
	v_clz_i32_u32_e32 v18, v6
	v_min_u32_e32 v18, 32, v18
	s_delay_alu instid0(VALU_DEP_1) | instskip(SKIP_1) | instid1(VALU_DEP_2)
	v_subrev_nc_u32_e32 v19, 28, v18
	v_sub_nc_u32_e32 v18, 29, v18
	v_lshlrev_b64 v[42:43], v19, v[6:7]
	s_delay_alu instid0(VALU_DEP_1)
	v_and_b32_e32 v6, 7, v42
; %bb.1308:                             ;   in Loop: Header=BB251_803 Depth=1
	s_or_b32 exec_lo, exec_lo, s15
	v_lshlrev_b32_e32 v19, 24, v41
	s_delay_alu instid0(VALU_DEP_2) | instskip(SKIP_1) | instid1(VALU_DEP_3)
	v_lshlrev_b32_e32 v6, 20, v6
	v_lshl_add_u32 v18, v18, 23, 0x3c000000
	v_and_b32_e32 v19, 0x80000000, v19
	s_delay_alu instid0(VALU_DEP_1)
	v_or3_b32 v19, v6, v19, v18
	v_mov_b32_e32 v18, v7
.LBB251_1309:                           ;   in Loop: Header=BB251_803 Depth=1
	s_or_b32 exec_lo, exec_lo, s10
.LBB251_1310:                           ;   in Loop: Header=BB251_803 Depth=1
	s_delay_alu instid0(SALU_CYCLE_1)
	s_or_b32 exec_lo, exec_lo, s13
.LBB251_1311:                           ;   in Loop: Header=BB251_803 Depth=1
	s_delay_alu instid0(SALU_CYCLE_1) | instskip(SKIP_4) | instid1(VALU_DEP_4)
	s_or_b32 exec_lo, exec_lo, s12
	v_or_b32_e32 v5, v15, v5
	v_or_b32_e32 v4, v14, v4
	v_or_b32_e32 v6, v19, v17
	v_or_b32_e32 v14, v18, v16
	v_mul_f32_e32 v43, v68, v5
	s_delay_alu instid0(VALU_DEP_4) | instskip(NEXT) | instid1(VALU_DEP_4)
	v_mul_f32_e32 v42, v64, v4
	v_mul_f32_e32 v40, v68, v6
	s_delay_alu instid0(VALU_DEP_4)
	v_mul_f32_e32 v41, v64, v14
	s_and_saveexec_b32 s10, vcc_lo
; %bb.1312:                             ;   in Loop: Header=BB251_803 Depth=1
	v_cmp_lt_i32_e64 s0, v81, v92
	s_delay_alu instid0(VALU_DEP_1) | instskip(SKIP_1) | instid1(VALU_DEP_1)
	v_cndmask_b32_e64 v42, 0, v42, s0
	v_cmp_lt_i32_e64 s0, v83, v92
	v_cndmask_b32_e64 v43, 0, v43, s0
	v_cmp_lt_i32_e64 s0, v82, v92
	s_delay_alu instid0(VALU_DEP_1) | instskip(SKIP_1) | instid1(VALU_DEP_1)
	v_cndmask_b32_e64 v41, 0, v41, s0
	v_cmp_lt_i32_e64 s0, v66, v92
	v_cndmask_b32_e64 v40, 0, v40, s0
; %bb.1313:                             ;   in Loop: Header=BB251_803 Depth=1
	s_or_b32 exec_lo, exec_lo, s10
	flat_load_b32 v44, v[12:13] offset:1920
	v_mov_b32_e32 v14, 0
	v_mov_b32_e32 v15, 0
	s_mov_b32 s10, exec_lo
	s_waitcnt vmcnt(0) lgkmcnt(0)
	v_and_b32_e32 v6, 0xff, v44
	s_delay_alu instid0(VALU_DEP_2) | instskip(NEXT) | instid1(VALU_DEP_2)
	v_dual_mov_b32 v4, v14 :: v_dual_mov_b32 v5, v15
	v_cmpx_ne_u16_e32 0, v6
	s_cbranch_execz .LBB251_1321
; %bb.1314:                             ;   in Loop: Header=BB251_803 Depth=1
	v_bfrev_b32_e32 v4, 1
	v_mov_b32_e32 v5, 0
	s_mov_b32 s12, exec_lo
	v_cmpx_ne_u16_e32 0x80, v6
	s_cbranch_execz .LBB251_1320
; %bb.1315:                             ;   in Loop: Header=BB251_803 Depth=1
	v_mov_b32_e32 v4, 0x7f800001
	v_dual_mov_b32 v5, 0 :: v_dual_and_b32 v16, 0x7f, v44
	s_mov_b32 s13, exec_lo
	s_delay_alu instid0(VALU_DEP_1)
	v_cmpx_ne_u32_e32 0x7f, v16
	s_cbranch_execz .LBB251_1319
; %bb.1316:                             ;   in Loop: Header=BB251_803 Depth=1
	v_and_b32_e32 v6, 7, v44
	v_lshrrev_b32_e32 v4, 3, v16
	s_mov_b32 s15, exec_lo
	v_cmpx_gt_u32_e32 8, v16
; %bb.1317:                             ;   in Loop: Header=BB251_803 Depth=1
	s_delay_alu instid0(VALU_DEP_3) | instskip(NEXT) | instid1(VALU_DEP_1)
	v_clz_i32_u32_e32 v4, v6
	v_min_u32_e32 v4, 32, v4
	s_delay_alu instid0(VALU_DEP_1) | instskip(SKIP_1) | instid1(VALU_DEP_2)
	v_subrev_nc_u32_e32 v5, 28, v4
	v_sub_nc_u32_e32 v4, 29, v4
	v_lshlrev_b64 v[5:6], v5, v[6:7]
	s_delay_alu instid0(VALU_DEP_1)
	v_and_b32_e32 v6, 7, v5
; %bb.1318:                             ;   in Loop: Header=BB251_803 Depth=1
	s_or_b32 exec_lo, exec_lo, s15
	v_lshlrev_b32_e32 v5, 24, v44
	s_delay_alu instid0(VALU_DEP_2) | instskip(SKIP_1) | instid1(VALU_DEP_3)
	v_lshlrev_b32_e32 v6, 20, v6
	v_lshl_add_u32 v4, v4, 23, 0x3c000000
	v_and_b32_e32 v5, 0x80000000, v5
	s_delay_alu instid0(VALU_DEP_1) | instskip(NEXT) | instid1(VALU_DEP_1)
	v_or3_b32 v6, v6, v5, v4
	v_dual_mov_b32 v4, v6 :: v_dual_mov_b32 v5, v7
.LBB251_1319:                           ;   in Loop: Header=BB251_803 Depth=1
	s_or_b32 exec_lo, exec_lo, s13
.LBB251_1320:                           ;   in Loop: Header=BB251_803 Depth=1
	s_delay_alu instid0(SALU_CYCLE_1)
	s_or_b32 exec_lo, exec_lo, s12
.LBB251_1321:                           ;   in Loop: Header=BB251_803 Depth=1
	s_delay_alu instid0(SALU_CYCLE_1) | instskip(SKIP_2) | instid1(VALU_DEP_1)
	s_or_b32 exec_lo, exec_lo, s10
	v_lshrrev_b16 v6, 8, v44
	s_mov_b32 s12, exec_lo
	v_cmpx_ne_u16_e32 0, v6
	s_cbranch_execz .LBB251_1329
; %bb.1322:                             ;   in Loop: Header=BB251_803 Depth=1
	v_dual_mov_b32 v15, s9 :: v_dual_mov_b32 v14, s8
	s_mov_b32 s13, exec_lo
	v_cmpx_ne_u16_e32 0x80, v6
	s_cbranch_execz .LBB251_1328
; %bb.1323:                             ;   in Loop: Header=BB251_803 Depth=1
	s_mov_b32 s10, s8
	v_dual_mov_b32 v15, s11 :: v_dual_and_b32 v6, 0xffff, v6
	v_mov_b32_e32 v14, s10
	s_mov_b32 s10, exec_lo
	s_delay_alu instid0(VALU_DEP_2) | instskip(NEXT) | instid1(VALU_DEP_1)
	v_and_b32_e32 v16, 0x7f, v6
	v_cmpx_ne_u32_e32 0x7f, v16
	s_cbranch_execz .LBB251_1327
; %bb.1324:                             ;   in Loop: Header=BB251_803 Depth=1
	v_and_b32_e32 v6, 7, v6
	v_lshrrev_b32_e32 v14, 3, v16
	s_mov_b32 s15, exec_lo
	v_cmpx_gt_u32_e32 8, v16
; %bb.1325:                             ;   in Loop: Header=BB251_803 Depth=1
	s_delay_alu instid0(VALU_DEP_3) | instskip(NEXT) | instid1(VALU_DEP_1)
	v_clz_i32_u32_e32 v14, v6
	v_min_u32_e32 v14, 32, v14
	s_delay_alu instid0(VALU_DEP_1) | instskip(SKIP_1) | instid1(VALU_DEP_2)
	v_subrev_nc_u32_e32 v15, 28, v14
	v_sub_nc_u32_e32 v14, 29, v14
	v_lshlrev_b64 v[15:16], v15, v[6:7]
	s_delay_alu instid0(VALU_DEP_1)
	v_and_b32_e32 v6, 7, v15
; %bb.1326:                             ;   in Loop: Header=BB251_803 Depth=1
	s_or_b32 exec_lo, exec_lo, s15
	v_lshlrev_b32_e32 v15, 16, v44
	s_delay_alu instid0(VALU_DEP_2) | instskip(SKIP_1) | instid1(VALU_DEP_3)
	v_lshlrev_b32_e32 v6, 20, v6
	v_lshl_add_u32 v14, v14, 23, 0x3c000000
	v_and_b32_e32 v15, 0x80000000, v15
	s_delay_alu instid0(VALU_DEP_1)
	v_or3_b32 v15, v6, v15, v14
	v_mov_b32_e32 v14, v7
.LBB251_1327:                           ;   in Loop: Header=BB251_803 Depth=1
	s_or_b32 exec_lo, exec_lo, s10
.LBB251_1328:                           ;   in Loop: Header=BB251_803 Depth=1
	s_delay_alu instid0(SALU_CYCLE_1)
	s_or_b32 exec_lo, exec_lo, s13
.LBB251_1329:                           ;   in Loop: Header=BB251_803 Depth=1
	s_delay_alu instid0(SALU_CYCLE_1) | instskip(SKIP_4) | instid1(VALU_DEP_2)
	s_or_b32 exec_lo, exec_lo, s12
	v_mov_b32_e32 v18, 0
	v_lshrrev_b32_e32 v45, 16, v44
	v_mov_b32_e32 v19, 0
	s_mov_b32 s10, exec_lo
	v_and_b32_e32 v6, 0xff, v45
	s_delay_alu instid0(VALU_DEP_2) | instskip(NEXT) | instid1(VALU_DEP_2)
	v_dual_mov_b32 v16, v18 :: v_dual_mov_b32 v17, v19
	v_cmpx_ne_u16_e32 0, v6
	s_cbranch_execz .LBB251_1337
; %bb.1330:                             ;   in Loop: Header=BB251_803 Depth=1
	v_bfrev_b32_e32 v16, 1
	v_mov_b32_e32 v17, 0
	s_mov_b32 s12, exec_lo
	v_cmpx_ne_u16_e32 0x80, v6
	s_cbranch_execz .LBB251_1336
; %bb.1331:                             ;   in Loop: Header=BB251_803 Depth=1
	v_mov_b32_e32 v16, 0x7f800001
	v_bfe_u32 v46, v44, 16, 7
	v_mov_b32_e32 v17, 0
	s_mov_b32 s13, exec_lo
	s_delay_alu instid0(VALU_DEP_2)
	v_cmpx_ne_u32_e32 0x7f, v46
	s_cbranch_execz .LBB251_1335
; %bb.1332:                             ;   in Loop: Header=BB251_803 Depth=1
	v_and_b32_e32 v6, 7, v45
	v_lshrrev_b32_e32 v16, 3, v46
	s_mov_b32 s15, exec_lo
	v_cmpx_gt_u32_e32 8, v46
; %bb.1333:                             ;   in Loop: Header=BB251_803 Depth=1
	s_delay_alu instid0(VALU_DEP_3) | instskip(NEXT) | instid1(VALU_DEP_1)
	v_clz_i32_u32_e32 v16, v6
	v_min_u32_e32 v16, 32, v16
	s_delay_alu instid0(VALU_DEP_1) | instskip(SKIP_1) | instid1(VALU_DEP_2)
	v_subrev_nc_u32_e32 v17, 28, v16
	v_sub_nc_u32_e32 v16, 29, v16
	v_lshlrev_b64 v[46:47], v17, v[6:7]
	s_delay_alu instid0(VALU_DEP_1)
	v_and_b32_e32 v6, 7, v46
; %bb.1334:                             ;   in Loop: Header=BB251_803 Depth=1
	s_or_b32 exec_lo, exec_lo, s15
	v_lshlrev_b32_e32 v17, 24, v45
	s_delay_alu instid0(VALU_DEP_2) | instskip(SKIP_1) | instid1(VALU_DEP_3)
	v_lshlrev_b32_e32 v6, 20, v6
	v_lshl_add_u32 v16, v16, 23, 0x3c000000
	v_and_b32_e32 v17, 0x80000000, v17
	s_delay_alu instid0(VALU_DEP_1) | instskip(NEXT) | instid1(VALU_DEP_1)
	v_or3_b32 v6, v6, v17, v16
	v_dual_mov_b32 v17, v7 :: v_dual_mov_b32 v16, v6
.LBB251_1335:                           ;   in Loop: Header=BB251_803 Depth=1
	s_or_b32 exec_lo, exec_lo, s13
.LBB251_1336:                           ;   in Loop: Header=BB251_803 Depth=1
	s_delay_alu instid0(SALU_CYCLE_1)
	s_or_b32 exec_lo, exec_lo, s12
.LBB251_1337:                           ;   in Loop: Header=BB251_803 Depth=1
	s_delay_alu instid0(SALU_CYCLE_1) | instskip(NEXT) | instid1(SALU_CYCLE_1)
	s_or_b32 exec_lo, exec_lo, s10
	s_mov_b32 s12, exec_lo
	v_cmpx_lt_u32_e32 0xffffff, v44
	s_cbranch_execz .LBB251_1345
; %bb.1338:                             ;   in Loop: Header=BB251_803 Depth=1
	v_lshrrev_b32_e32 v45, 24, v44
	v_dual_mov_b32 v19, s9 :: v_dual_mov_b32 v18, s8
	s_mov_b32 s13, exec_lo
	s_delay_alu instid0(VALU_DEP_2)
	v_cmpx_ne_u32_e32 0x80, v45
	s_cbranch_execz .LBB251_1344
; %bb.1339:                             ;   in Loop: Header=BB251_803 Depth=1
	s_mov_b32 s10, s8
	v_bfe_u32 v44, v44, 24, 7
	v_dual_mov_b32 v19, s11 :: v_dual_mov_b32 v18, s10
	s_mov_b32 s10, exec_lo
	s_delay_alu instid0(VALU_DEP_2)
	v_cmpx_ne_u32_e32 0x7f, v44
	s_cbranch_execz .LBB251_1343
; %bb.1340:                             ;   in Loop: Header=BB251_803 Depth=1
	v_and_b32_e32 v6, 7, v45
	v_lshrrev_b32_e32 v18, 3, v44
	s_mov_b32 s15, exec_lo
	v_cmpx_gt_u32_e32 8, v44
; %bb.1341:                             ;   in Loop: Header=BB251_803 Depth=1
	s_delay_alu instid0(VALU_DEP_3) | instskip(NEXT) | instid1(VALU_DEP_1)
	v_clz_i32_u32_e32 v18, v6
	v_min_u32_e32 v18, 32, v18
	s_delay_alu instid0(VALU_DEP_1) | instskip(SKIP_1) | instid1(VALU_DEP_2)
	v_subrev_nc_u32_e32 v19, 28, v18
	v_sub_nc_u32_e32 v18, 29, v18
	v_lshlrev_b64 v[46:47], v19, v[6:7]
	s_delay_alu instid0(VALU_DEP_1)
	v_and_b32_e32 v6, 7, v46
; %bb.1342:                             ;   in Loop: Header=BB251_803 Depth=1
	s_or_b32 exec_lo, exec_lo, s15
	v_lshlrev_b32_e32 v19, 24, v45
	s_delay_alu instid0(VALU_DEP_2) | instskip(SKIP_1) | instid1(VALU_DEP_3)
	v_lshlrev_b32_e32 v6, 20, v6
	v_lshl_add_u32 v18, v18, 23, 0x3c000000
	v_and_b32_e32 v19, 0x80000000, v19
	s_delay_alu instid0(VALU_DEP_1)
	v_or3_b32 v19, v6, v19, v18
	v_mov_b32_e32 v18, v7
.LBB251_1343:                           ;   in Loop: Header=BB251_803 Depth=1
	s_or_b32 exec_lo, exec_lo, s10
.LBB251_1344:                           ;   in Loop: Header=BB251_803 Depth=1
	s_delay_alu instid0(SALU_CYCLE_1)
	s_or_b32 exec_lo, exec_lo, s13
.LBB251_1345:                           ;   in Loop: Header=BB251_803 Depth=1
	s_delay_alu instid0(SALU_CYCLE_1) | instskip(SKIP_4) | instid1(VALU_DEP_4)
	s_or_b32 exec_lo, exec_lo, s12
	v_or_b32_e32 v5, v15, v5
	v_or_b32_e32 v4, v14, v4
	;; [unrolled: 1-line block ×4, first 2 shown]
	v_mul_f32_e32 v47, v68, v5
	s_delay_alu instid0(VALU_DEP_4) | instskip(NEXT) | instid1(VALU_DEP_4)
	v_mul_f32_e32 v46, v64, v4
	v_mul_f32_e32 v44, v68, v6
	s_delay_alu instid0(VALU_DEP_4)
	v_mul_f32_e32 v45, v64, v14
	s_and_saveexec_b32 s10, vcc_lo
; %bb.1346:                             ;   in Loop: Header=BB251_803 Depth=1
	v_cmp_lt_i32_e64 s0, v81, v92
	s_delay_alu instid0(VALU_DEP_1) | instskip(SKIP_1) | instid1(VALU_DEP_1)
	v_cndmask_b32_e64 v46, 0, v46, s0
	v_cmp_lt_i32_e64 s0, v83, v92
	v_cndmask_b32_e64 v47, 0, v47, s0
	v_cmp_lt_i32_e64 s0, v82, v92
	s_delay_alu instid0(VALU_DEP_1) | instskip(SKIP_1) | instid1(VALU_DEP_1)
	v_cndmask_b32_e64 v45, 0, v45, s0
	v_cmp_lt_i32_e64 s0, v66, v92
	v_cndmask_b32_e64 v44, 0, v44, s0
; %bb.1347:                             ;   in Loop: Header=BB251_803 Depth=1
	s_or_b32 exec_lo, exec_lo, s10
	flat_load_b32 v56, v[12:13] offset:2048
	v_mov_b32_e32 v14, 0
	v_mov_b32_e32 v15, 0
	s_mov_b32 s10, exec_lo
	s_waitcnt vmcnt(0) lgkmcnt(0)
	v_and_b32_e32 v6, 0xff, v56
	s_delay_alu instid0(VALU_DEP_2) | instskip(NEXT) | instid1(VALU_DEP_2)
	v_dual_mov_b32 v4, v14 :: v_dual_mov_b32 v5, v15
	v_cmpx_ne_u16_e32 0, v6
	s_cbranch_execz .LBB251_1355
; %bb.1348:                             ;   in Loop: Header=BB251_803 Depth=1
	v_bfrev_b32_e32 v4, 1
	v_mov_b32_e32 v5, 0
	s_mov_b32 s12, exec_lo
	v_cmpx_ne_u16_e32 0x80, v6
	s_cbranch_execz .LBB251_1354
; %bb.1349:                             ;   in Loop: Header=BB251_803 Depth=1
	v_mov_b32_e32 v4, 0x7f800001
	v_dual_mov_b32 v5, 0 :: v_dual_and_b32 v16, 0x7f, v56
	s_mov_b32 s13, exec_lo
	s_delay_alu instid0(VALU_DEP_1)
	v_cmpx_ne_u32_e32 0x7f, v16
	s_cbranch_execz .LBB251_1353
; %bb.1350:                             ;   in Loop: Header=BB251_803 Depth=1
	v_and_b32_e32 v6, 7, v56
	v_lshrrev_b32_e32 v4, 3, v16
	s_mov_b32 s15, exec_lo
	v_cmpx_gt_u32_e32 8, v16
; %bb.1351:                             ;   in Loop: Header=BB251_803 Depth=1
	s_delay_alu instid0(VALU_DEP_3) | instskip(NEXT) | instid1(VALU_DEP_1)
	v_clz_i32_u32_e32 v4, v6
	v_min_u32_e32 v4, 32, v4
	s_delay_alu instid0(VALU_DEP_1) | instskip(SKIP_1) | instid1(VALU_DEP_2)
	v_subrev_nc_u32_e32 v5, 28, v4
	v_sub_nc_u32_e32 v4, 29, v4
	v_lshlrev_b64 v[5:6], v5, v[6:7]
	s_delay_alu instid0(VALU_DEP_1)
	v_and_b32_e32 v6, 7, v5
; %bb.1352:                             ;   in Loop: Header=BB251_803 Depth=1
	s_or_b32 exec_lo, exec_lo, s15
	v_lshlrev_b32_e32 v5, 24, v56
	s_delay_alu instid0(VALU_DEP_2) | instskip(SKIP_1) | instid1(VALU_DEP_3)
	v_lshlrev_b32_e32 v6, 20, v6
	v_lshl_add_u32 v4, v4, 23, 0x3c000000
	v_and_b32_e32 v5, 0x80000000, v5
	s_delay_alu instid0(VALU_DEP_1) | instskip(NEXT) | instid1(VALU_DEP_1)
	v_or3_b32 v6, v6, v5, v4
	v_dual_mov_b32 v4, v6 :: v_dual_mov_b32 v5, v7
.LBB251_1353:                           ;   in Loop: Header=BB251_803 Depth=1
	s_or_b32 exec_lo, exec_lo, s13
.LBB251_1354:                           ;   in Loop: Header=BB251_803 Depth=1
	s_delay_alu instid0(SALU_CYCLE_1)
	s_or_b32 exec_lo, exec_lo, s12
.LBB251_1355:                           ;   in Loop: Header=BB251_803 Depth=1
	s_delay_alu instid0(SALU_CYCLE_1) | instskip(SKIP_2) | instid1(VALU_DEP_1)
	s_or_b32 exec_lo, exec_lo, s10
	v_lshrrev_b16 v6, 8, v56
	s_mov_b32 s12, exec_lo
	v_cmpx_ne_u16_e32 0, v6
	s_cbranch_execz .LBB251_1363
; %bb.1356:                             ;   in Loop: Header=BB251_803 Depth=1
	v_dual_mov_b32 v15, s9 :: v_dual_mov_b32 v14, s8
	s_mov_b32 s13, exec_lo
	v_cmpx_ne_u16_e32 0x80, v6
	s_cbranch_execz .LBB251_1362
; %bb.1357:                             ;   in Loop: Header=BB251_803 Depth=1
	s_mov_b32 s10, s8
	v_dual_mov_b32 v15, s11 :: v_dual_and_b32 v6, 0xffff, v6
	v_mov_b32_e32 v14, s10
	s_mov_b32 s10, exec_lo
	s_delay_alu instid0(VALU_DEP_2) | instskip(NEXT) | instid1(VALU_DEP_1)
	v_and_b32_e32 v16, 0x7f, v6
	v_cmpx_ne_u32_e32 0x7f, v16
	s_cbranch_execz .LBB251_1361
; %bb.1358:                             ;   in Loop: Header=BB251_803 Depth=1
	v_and_b32_e32 v6, 7, v6
	v_lshrrev_b32_e32 v14, 3, v16
	s_mov_b32 s15, exec_lo
	v_cmpx_gt_u32_e32 8, v16
; %bb.1359:                             ;   in Loop: Header=BB251_803 Depth=1
	s_delay_alu instid0(VALU_DEP_3) | instskip(NEXT) | instid1(VALU_DEP_1)
	v_clz_i32_u32_e32 v14, v6
	v_min_u32_e32 v14, 32, v14
	s_delay_alu instid0(VALU_DEP_1) | instskip(SKIP_1) | instid1(VALU_DEP_2)
	v_subrev_nc_u32_e32 v15, 28, v14
	v_sub_nc_u32_e32 v14, 29, v14
	v_lshlrev_b64 v[15:16], v15, v[6:7]
	s_delay_alu instid0(VALU_DEP_1)
	v_and_b32_e32 v6, 7, v15
; %bb.1360:                             ;   in Loop: Header=BB251_803 Depth=1
	s_or_b32 exec_lo, exec_lo, s15
	v_lshlrev_b32_e32 v15, 16, v56
	s_delay_alu instid0(VALU_DEP_2) | instskip(SKIP_1) | instid1(VALU_DEP_3)
	v_lshlrev_b32_e32 v6, 20, v6
	v_lshl_add_u32 v14, v14, 23, 0x3c000000
	v_and_b32_e32 v15, 0x80000000, v15
	s_delay_alu instid0(VALU_DEP_1)
	v_or3_b32 v15, v6, v15, v14
	v_mov_b32_e32 v14, v7
.LBB251_1361:                           ;   in Loop: Header=BB251_803 Depth=1
	s_or_b32 exec_lo, exec_lo, s10
.LBB251_1362:                           ;   in Loop: Header=BB251_803 Depth=1
	s_delay_alu instid0(SALU_CYCLE_1)
	s_or_b32 exec_lo, exec_lo, s13
.LBB251_1363:                           ;   in Loop: Header=BB251_803 Depth=1
	s_delay_alu instid0(SALU_CYCLE_1) | instskip(SKIP_4) | instid1(VALU_DEP_2)
	s_or_b32 exec_lo, exec_lo, s12
	v_mov_b32_e32 v18, 0
	v_lshrrev_b32_e32 v57, 16, v56
	v_mov_b32_e32 v19, 0
	s_mov_b32 s10, exec_lo
	v_and_b32_e32 v6, 0xff, v57
	s_delay_alu instid0(VALU_DEP_2) | instskip(NEXT) | instid1(VALU_DEP_2)
	v_dual_mov_b32 v16, v18 :: v_dual_mov_b32 v17, v19
	v_cmpx_ne_u16_e32 0, v6
	s_cbranch_execz .LBB251_1371
; %bb.1364:                             ;   in Loop: Header=BB251_803 Depth=1
	v_bfrev_b32_e32 v16, 1
	v_mov_b32_e32 v17, 0
	s_mov_b32 s12, exec_lo
	v_cmpx_ne_u16_e32 0x80, v6
	s_cbranch_execz .LBB251_1370
; %bb.1365:                             ;   in Loop: Header=BB251_803 Depth=1
	v_mov_b32_e32 v16, 0x7f800001
	v_bfe_u32 v58, v56, 16, 7
	v_mov_b32_e32 v17, 0
	s_mov_b32 s13, exec_lo
	s_delay_alu instid0(VALU_DEP_2)
	v_cmpx_ne_u32_e32 0x7f, v58
	s_cbranch_execz .LBB251_1369
; %bb.1366:                             ;   in Loop: Header=BB251_803 Depth=1
	v_and_b32_e32 v6, 7, v57
	v_lshrrev_b32_e32 v16, 3, v58
	s_mov_b32 s15, exec_lo
	v_cmpx_gt_u32_e32 8, v58
; %bb.1367:                             ;   in Loop: Header=BB251_803 Depth=1
	s_delay_alu instid0(VALU_DEP_3) | instskip(NEXT) | instid1(VALU_DEP_1)
	v_clz_i32_u32_e32 v16, v6
	v_min_u32_e32 v16, 32, v16
	s_delay_alu instid0(VALU_DEP_1) | instskip(SKIP_1) | instid1(VALU_DEP_2)
	v_subrev_nc_u32_e32 v17, 28, v16
	v_sub_nc_u32_e32 v16, 29, v16
	v_lshlrev_b64 v[58:59], v17, v[6:7]
	s_delay_alu instid0(VALU_DEP_1)
	v_and_b32_e32 v6, 7, v58
; %bb.1368:                             ;   in Loop: Header=BB251_803 Depth=1
	s_or_b32 exec_lo, exec_lo, s15
	v_lshlrev_b32_e32 v17, 24, v57
	s_delay_alu instid0(VALU_DEP_2) | instskip(SKIP_1) | instid1(VALU_DEP_3)
	v_lshlrev_b32_e32 v6, 20, v6
	v_lshl_add_u32 v16, v16, 23, 0x3c000000
	v_and_b32_e32 v17, 0x80000000, v17
	s_delay_alu instid0(VALU_DEP_1) | instskip(NEXT) | instid1(VALU_DEP_1)
	v_or3_b32 v6, v6, v17, v16
	v_dual_mov_b32 v17, v7 :: v_dual_mov_b32 v16, v6
.LBB251_1369:                           ;   in Loop: Header=BB251_803 Depth=1
	s_or_b32 exec_lo, exec_lo, s13
.LBB251_1370:                           ;   in Loop: Header=BB251_803 Depth=1
	s_delay_alu instid0(SALU_CYCLE_1)
	s_or_b32 exec_lo, exec_lo, s12
.LBB251_1371:                           ;   in Loop: Header=BB251_803 Depth=1
	s_delay_alu instid0(SALU_CYCLE_1) | instskip(NEXT) | instid1(SALU_CYCLE_1)
	s_or_b32 exec_lo, exec_lo, s10
	s_mov_b32 s12, exec_lo
	v_cmpx_lt_u32_e32 0xffffff, v56
	s_cbranch_execz .LBB251_1379
; %bb.1372:                             ;   in Loop: Header=BB251_803 Depth=1
	v_lshrrev_b32_e32 v57, 24, v56
	v_dual_mov_b32 v19, s9 :: v_dual_mov_b32 v18, s8
	s_mov_b32 s13, exec_lo
	s_delay_alu instid0(VALU_DEP_2)
	v_cmpx_ne_u32_e32 0x80, v57
	s_cbranch_execz .LBB251_1378
; %bb.1373:                             ;   in Loop: Header=BB251_803 Depth=1
	s_mov_b32 s10, s8
	v_bfe_u32 v56, v56, 24, 7
	v_dual_mov_b32 v19, s11 :: v_dual_mov_b32 v18, s10
	s_mov_b32 s10, exec_lo
	s_delay_alu instid0(VALU_DEP_2)
	v_cmpx_ne_u32_e32 0x7f, v56
	s_cbranch_execz .LBB251_1377
; %bb.1374:                             ;   in Loop: Header=BB251_803 Depth=1
	v_and_b32_e32 v6, 7, v57
	v_lshrrev_b32_e32 v18, 3, v56
	s_mov_b32 s15, exec_lo
	v_cmpx_gt_u32_e32 8, v56
; %bb.1375:                             ;   in Loop: Header=BB251_803 Depth=1
	s_delay_alu instid0(VALU_DEP_3) | instskip(NEXT) | instid1(VALU_DEP_1)
	v_clz_i32_u32_e32 v18, v6
	v_min_u32_e32 v18, 32, v18
	s_delay_alu instid0(VALU_DEP_1) | instskip(SKIP_1) | instid1(VALU_DEP_2)
	v_subrev_nc_u32_e32 v19, 28, v18
	v_sub_nc_u32_e32 v18, 29, v18
	v_lshlrev_b64 v[58:59], v19, v[6:7]
	s_delay_alu instid0(VALU_DEP_1)
	v_and_b32_e32 v6, 7, v58
; %bb.1376:                             ;   in Loop: Header=BB251_803 Depth=1
	s_or_b32 exec_lo, exec_lo, s15
	v_lshlrev_b32_e32 v19, 24, v57
	s_delay_alu instid0(VALU_DEP_2) | instskip(SKIP_1) | instid1(VALU_DEP_3)
	v_lshlrev_b32_e32 v6, 20, v6
	v_lshl_add_u32 v18, v18, 23, 0x3c000000
	v_and_b32_e32 v19, 0x80000000, v19
	s_delay_alu instid0(VALU_DEP_1)
	v_or3_b32 v19, v6, v19, v18
	v_mov_b32_e32 v18, v7
.LBB251_1377:                           ;   in Loop: Header=BB251_803 Depth=1
	s_or_b32 exec_lo, exec_lo, s10
.LBB251_1378:                           ;   in Loop: Header=BB251_803 Depth=1
	s_delay_alu instid0(SALU_CYCLE_1)
	s_or_b32 exec_lo, exec_lo, s13
.LBB251_1379:                           ;   in Loop: Header=BB251_803 Depth=1
	s_delay_alu instid0(SALU_CYCLE_1) | instskip(SKIP_4) | instid1(VALU_DEP_4)
	s_or_b32 exec_lo, exec_lo, s12
	v_or_b32_e32 v5, v15, v5
	v_or_b32_e32 v4, v14, v4
	;; [unrolled: 1-line block ×4, first 2 shown]
	v_mul_f32_e32 v59, v68, v5
	s_delay_alu instid0(VALU_DEP_4) | instskip(NEXT) | instid1(VALU_DEP_4)
	v_mul_f32_e32 v58, v64, v4
	v_mul_f32_e32 v56, v68, v6
	s_delay_alu instid0(VALU_DEP_4)
	v_mul_f32_e32 v57, v64, v14
	s_and_saveexec_b32 s10, vcc_lo
; %bb.1380:                             ;   in Loop: Header=BB251_803 Depth=1
	v_cmp_lt_i32_e64 s0, v81, v92
	s_delay_alu instid0(VALU_DEP_1) | instskip(SKIP_1) | instid1(VALU_DEP_1)
	v_cndmask_b32_e64 v58, 0, v58, s0
	v_cmp_lt_i32_e64 s0, v83, v92
	v_cndmask_b32_e64 v59, 0, v59, s0
	v_cmp_lt_i32_e64 s0, v82, v92
	s_delay_alu instid0(VALU_DEP_1) | instskip(SKIP_1) | instid1(VALU_DEP_1)
	v_cndmask_b32_e64 v57, 0, v57, s0
	v_cmp_lt_i32_e64 s0, v66, v92
	v_cndmask_b32_e64 v56, 0, v56, s0
; %bb.1381:                             ;   in Loop: Header=BB251_803 Depth=1
	s_or_b32 exec_lo, exec_lo, s10
	flat_load_b32 v60, v[12:13] offset:2176
	v_mov_b32_e32 v14, 0
	v_mov_b32_e32 v15, 0
	s_mov_b32 s10, exec_lo
	s_waitcnt vmcnt(0) lgkmcnt(0)
	v_and_b32_e32 v6, 0xff, v60
	s_delay_alu instid0(VALU_DEP_2) | instskip(NEXT) | instid1(VALU_DEP_2)
	v_dual_mov_b32 v4, v14 :: v_dual_mov_b32 v5, v15
	v_cmpx_ne_u16_e32 0, v6
	s_cbranch_execz .LBB251_1389
; %bb.1382:                             ;   in Loop: Header=BB251_803 Depth=1
	v_bfrev_b32_e32 v4, 1
	v_mov_b32_e32 v5, 0
	s_mov_b32 s12, exec_lo
	v_cmpx_ne_u16_e32 0x80, v6
	s_cbranch_execz .LBB251_1388
; %bb.1383:                             ;   in Loop: Header=BB251_803 Depth=1
	v_mov_b32_e32 v4, 0x7f800001
	v_dual_mov_b32 v5, 0 :: v_dual_and_b32 v16, 0x7f, v60
	s_mov_b32 s13, exec_lo
	s_delay_alu instid0(VALU_DEP_1)
	v_cmpx_ne_u32_e32 0x7f, v16
	s_cbranch_execz .LBB251_1387
; %bb.1384:                             ;   in Loop: Header=BB251_803 Depth=1
	v_and_b32_e32 v6, 7, v60
	v_lshrrev_b32_e32 v4, 3, v16
	s_mov_b32 s15, exec_lo
	v_cmpx_gt_u32_e32 8, v16
; %bb.1385:                             ;   in Loop: Header=BB251_803 Depth=1
	s_delay_alu instid0(VALU_DEP_3) | instskip(NEXT) | instid1(VALU_DEP_1)
	v_clz_i32_u32_e32 v4, v6
	v_min_u32_e32 v4, 32, v4
	s_delay_alu instid0(VALU_DEP_1) | instskip(SKIP_1) | instid1(VALU_DEP_2)
	v_subrev_nc_u32_e32 v5, 28, v4
	v_sub_nc_u32_e32 v4, 29, v4
	v_lshlrev_b64 v[5:6], v5, v[6:7]
	s_delay_alu instid0(VALU_DEP_1)
	v_and_b32_e32 v6, 7, v5
; %bb.1386:                             ;   in Loop: Header=BB251_803 Depth=1
	s_or_b32 exec_lo, exec_lo, s15
	v_lshlrev_b32_e32 v5, 24, v60
	s_delay_alu instid0(VALU_DEP_2) | instskip(SKIP_1) | instid1(VALU_DEP_3)
	v_lshlrev_b32_e32 v6, 20, v6
	v_lshl_add_u32 v4, v4, 23, 0x3c000000
	v_and_b32_e32 v5, 0x80000000, v5
	s_delay_alu instid0(VALU_DEP_1) | instskip(NEXT) | instid1(VALU_DEP_1)
	v_or3_b32 v6, v6, v5, v4
	v_dual_mov_b32 v4, v6 :: v_dual_mov_b32 v5, v7
.LBB251_1387:                           ;   in Loop: Header=BB251_803 Depth=1
	s_or_b32 exec_lo, exec_lo, s13
.LBB251_1388:                           ;   in Loop: Header=BB251_803 Depth=1
	s_delay_alu instid0(SALU_CYCLE_1)
	s_or_b32 exec_lo, exec_lo, s12
.LBB251_1389:                           ;   in Loop: Header=BB251_803 Depth=1
	s_delay_alu instid0(SALU_CYCLE_1) | instskip(SKIP_2) | instid1(VALU_DEP_1)
	s_or_b32 exec_lo, exec_lo, s10
	v_lshrrev_b16 v6, 8, v60
	s_mov_b32 s12, exec_lo
	v_cmpx_ne_u16_e32 0, v6
	s_cbranch_execz .LBB251_1397
; %bb.1390:                             ;   in Loop: Header=BB251_803 Depth=1
	v_dual_mov_b32 v15, s9 :: v_dual_mov_b32 v14, s8
	s_mov_b32 s13, exec_lo
	v_cmpx_ne_u16_e32 0x80, v6
	s_cbranch_execz .LBB251_1396
; %bb.1391:                             ;   in Loop: Header=BB251_803 Depth=1
	s_mov_b32 s10, s8
	v_dual_mov_b32 v15, s11 :: v_dual_and_b32 v6, 0xffff, v6
	v_mov_b32_e32 v14, s10
	s_mov_b32 s10, exec_lo
	s_delay_alu instid0(VALU_DEP_2) | instskip(NEXT) | instid1(VALU_DEP_1)
	v_and_b32_e32 v16, 0x7f, v6
	v_cmpx_ne_u32_e32 0x7f, v16
	s_cbranch_execz .LBB251_1395
; %bb.1392:                             ;   in Loop: Header=BB251_803 Depth=1
	v_and_b32_e32 v6, 7, v6
	v_lshrrev_b32_e32 v14, 3, v16
	s_mov_b32 s15, exec_lo
	v_cmpx_gt_u32_e32 8, v16
; %bb.1393:                             ;   in Loop: Header=BB251_803 Depth=1
	s_delay_alu instid0(VALU_DEP_3) | instskip(NEXT) | instid1(VALU_DEP_1)
	v_clz_i32_u32_e32 v14, v6
	v_min_u32_e32 v14, 32, v14
	s_delay_alu instid0(VALU_DEP_1) | instskip(SKIP_1) | instid1(VALU_DEP_2)
	v_subrev_nc_u32_e32 v15, 28, v14
	v_sub_nc_u32_e32 v14, 29, v14
	v_lshlrev_b64 v[15:16], v15, v[6:7]
	s_delay_alu instid0(VALU_DEP_1)
	v_and_b32_e32 v6, 7, v15
; %bb.1394:                             ;   in Loop: Header=BB251_803 Depth=1
	s_or_b32 exec_lo, exec_lo, s15
	v_lshlrev_b32_e32 v15, 16, v60
	s_delay_alu instid0(VALU_DEP_2) | instskip(SKIP_1) | instid1(VALU_DEP_3)
	v_lshlrev_b32_e32 v6, 20, v6
	v_lshl_add_u32 v14, v14, 23, 0x3c000000
	v_and_b32_e32 v15, 0x80000000, v15
	s_delay_alu instid0(VALU_DEP_1)
	v_or3_b32 v15, v6, v15, v14
	v_mov_b32_e32 v14, v7
.LBB251_1395:                           ;   in Loop: Header=BB251_803 Depth=1
	s_or_b32 exec_lo, exec_lo, s10
.LBB251_1396:                           ;   in Loop: Header=BB251_803 Depth=1
	s_delay_alu instid0(SALU_CYCLE_1)
	s_or_b32 exec_lo, exec_lo, s13
.LBB251_1397:                           ;   in Loop: Header=BB251_803 Depth=1
	s_delay_alu instid0(SALU_CYCLE_1) | instskip(SKIP_4) | instid1(VALU_DEP_2)
	s_or_b32 exec_lo, exec_lo, s12
	v_mov_b32_e32 v18, 0
	v_lshrrev_b32_e32 v61, 16, v60
	v_mov_b32_e32 v19, 0
	s_mov_b32 s10, exec_lo
	v_and_b32_e32 v6, 0xff, v61
	s_delay_alu instid0(VALU_DEP_2) | instskip(NEXT) | instid1(VALU_DEP_2)
	v_dual_mov_b32 v16, v18 :: v_dual_mov_b32 v17, v19
	v_cmpx_ne_u16_e32 0, v6
	s_cbranch_execz .LBB251_1405
; %bb.1398:                             ;   in Loop: Header=BB251_803 Depth=1
	v_bfrev_b32_e32 v16, 1
	v_mov_b32_e32 v17, 0
	s_mov_b32 s12, exec_lo
	v_cmpx_ne_u16_e32 0x80, v6
	s_cbranch_execz .LBB251_1404
; %bb.1399:                             ;   in Loop: Header=BB251_803 Depth=1
	v_mov_b32_e32 v16, 0x7f800001
	v_bfe_u32 v62, v60, 16, 7
	v_mov_b32_e32 v17, 0
	s_mov_b32 s13, exec_lo
	s_delay_alu instid0(VALU_DEP_2)
	v_cmpx_ne_u32_e32 0x7f, v62
	s_cbranch_execz .LBB251_1403
; %bb.1400:                             ;   in Loop: Header=BB251_803 Depth=1
	v_and_b32_e32 v6, 7, v61
	v_lshrrev_b32_e32 v16, 3, v62
	s_mov_b32 s15, exec_lo
	v_cmpx_gt_u32_e32 8, v62
; %bb.1401:                             ;   in Loop: Header=BB251_803 Depth=1
	s_delay_alu instid0(VALU_DEP_3) | instskip(NEXT) | instid1(VALU_DEP_1)
	v_clz_i32_u32_e32 v16, v6
	v_min_u32_e32 v16, 32, v16
	s_delay_alu instid0(VALU_DEP_1) | instskip(SKIP_1) | instid1(VALU_DEP_2)
	v_subrev_nc_u32_e32 v17, 28, v16
	v_sub_nc_u32_e32 v16, 29, v16
	v_lshlrev_b64 v[62:63], v17, v[6:7]
	s_delay_alu instid0(VALU_DEP_1)
	v_and_b32_e32 v6, 7, v62
; %bb.1402:                             ;   in Loop: Header=BB251_803 Depth=1
	s_or_b32 exec_lo, exec_lo, s15
	v_lshlrev_b32_e32 v17, 24, v61
	s_delay_alu instid0(VALU_DEP_2) | instskip(SKIP_1) | instid1(VALU_DEP_3)
	v_lshlrev_b32_e32 v6, 20, v6
	v_lshl_add_u32 v16, v16, 23, 0x3c000000
	v_and_b32_e32 v17, 0x80000000, v17
	s_delay_alu instid0(VALU_DEP_1) | instskip(NEXT) | instid1(VALU_DEP_1)
	v_or3_b32 v6, v6, v17, v16
	v_dual_mov_b32 v17, v7 :: v_dual_mov_b32 v16, v6
.LBB251_1403:                           ;   in Loop: Header=BB251_803 Depth=1
	s_or_b32 exec_lo, exec_lo, s13
.LBB251_1404:                           ;   in Loop: Header=BB251_803 Depth=1
	s_delay_alu instid0(SALU_CYCLE_1)
	s_or_b32 exec_lo, exec_lo, s12
.LBB251_1405:                           ;   in Loop: Header=BB251_803 Depth=1
	s_delay_alu instid0(SALU_CYCLE_1) | instskip(NEXT) | instid1(SALU_CYCLE_1)
	s_or_b32 exec_lo, exec_lo, s10
	s_mov_b32 s12, exec_lo
	v_cmpx_lt_u32_e32 0xffffff, v60
	s_cbranch_execz .LBB251_1413
; %bb.1406:                             ;   in Loop: Header=BB251_803 Depth=1
	v_lshrrev_b32_e32 v61, 24, v60
	v_dual_mov_b32 v19, s9 :: v_dual_mov_b32 v18, s8
	s_mov_b32 s13, exec_lo
	s_delay_alu instid0(VALU_DEP_2)
	v_cmpx_ne_u32_e32 0x80, v61
	s_cbranch_execz .LBB251_1412
; %bb.1407:                             ;   in Loop: Header=BB251_803 Depth=1
	s_mov_b32 s10, s8
	v_bfe_u32 v60, v60, 24, 7
	v_dual_mov_b32 v19, s11 :: v_dual_mov_b32 v18, s10
	s_mov_b32 s10, exec_lo
	s_delay_alu instid0(VALU_DEP_2)
	v_cmpx_ne_u32_e32 0x7f, v60
	s_cbranch_execz .LBB251_1411
; %bb.1408:                             ;   in Loop: Header=BB251_803 Depth=1
	v_and_b32_e32 v6, 7, v61
	v_lshrrev_b32_e32 v18, 3, v60
	s_mov_b32 s15, exec_lo
	v_cmpx_gt_u32_e32 8, v60
; %bb.1409:                             ;   in Loop: Header=BB251_803 Depth=1
	s_delay_alu instid0(VALU_DEP_3) | instskip(NEXT) | instid1(VALU_DEP_1)
	v_clz_i32_u32_e32 v18, v6
	v_min_u32_e32 v18, 32, v18
	s_delay_alu instid0(VALU_DEP_1) | instskip(SKIP_1) | instid1(VALU_DEP_2)
	v_subrev_nc_u32_e32 v19, 28, v18
	v_sub_nc_u32_e32 v18, 29, v18
	v_lshlrev_b64 v[62:63], v19, v[6:7]
	s_delay_alu instid0(VALU_DEP_1)
	v_and_b32_e32 v6, 7, v62
; %bb.1410:                             ;   in Loop: Header=BB251_803 Depth=1
	s_or_b32 exec_lo, exec_lo, s15
	v_lshlrev_b32_e32 v19, 24, v61
	s_delay_alu instid0(VALU_DEP_2) | instskip(SKIP_1) | instid1(VALU_DEP_3)
	v_lshlrev_b32_e32 v6, 20, v6
	v_lshl_add_u32 v18, v18, 23, 0x3c000000
	v_and_b32_e32 v19, 0x80000000, v19
	s_delay_alu instid0(VALU_DEP_1)
	v_or3_b32 v19, v6, v19, v18
	v_mov_b32_e32 v18, v7
.LBB251_1411:                           ;   in Loop: Header=BB251_803 Depth=1
	s_or_b32 exec_lo, exec_lo, s10
.LBB251_1412:                           ;   in Loop: Header=BB251_803 Depth=1
	s_delay_alu instid0(SALU_CYCLE_1)
	s_or_b32 exec_lo, exec_lo, s13
.LBB251_1413:                           ;   in Loop: Header=BB251_803 Depth=1
	s_delay_alu instid0(SALU_CYCLE_1) | instskip(SKIP_4) | instid1(VALU_DEP_4)
	s_or_b32 exec_lo, exec_lo, s12
	v_or_b32_e32 v5, v15, v5
	v_or_b32_e32 v4, v14, v4
	;; [unrolled: 1-line block ×4, first 2 shown]
	v_mul_f32_e32 v63, v68, v5
	s_delay_alu instid0(VALU_DEP_4) | instskip(NEXT) | instid1(VALU_DEP_4)
	v_mul_f32_e32 v62, v64, v4
	v_mul_f32_e32 v60, v68, v6
	s_delay_alu instid0(VALU_DEP_4)
	v_mul_f32_e32 v61, v64, v14
	s_and_saveexec_b32 s10, vcc_lo
; %bb.1414:                             ;   in Loop: Header=BB251_803 Depth=1
	v_cmp_lt_i32_e64 s0, v81, v92
	s_delay_alu instid0(VALU_DEP_1) | instskip(SKIP_1) | instid1(VALU_DEP_1)
	v_cndmask_b32_e64 v62, 0, v62, s0
	v_cmp_lt_i32_e64 s0, v83, v92
	v_cndmask_b32_e64 v63, 0, v63, s0
	v_cmp_lt_i32_e64 s0, v82, v92
	s_delay_alu instid0(VALU_DEP_1) | instskip(SKIP_1) | instid1(VALU_DEP_1)
	v_cndmask_b32_e64 v61, 0, v61, s0
	v_cmp_lt_i32_e64 s0, v66, v92
	v_cndmask_b32_e64 v60, 0, v60, s0
; %bb.1415:                             ;   in Loop: Header=BB251_803 Depth=1
	s_or_b32 exec_lo, exec_lo, s10
	flat_load_b32 v72, v[12:13] offset:2304
	v_mov_b32_e32 v14, 0
	v_mov_b32_e32 v15, 0
	s_mov_b32 s10, exec_lo
	s_waitcnt vmcnt(0) lgkmcnt(0)
	v_and_b32_e32 v6, 0xff, v72
	s_delay_alu instid0(VALU_DEP_2) | instskip(NEXT) | instid1(VALU_DEP_2)
	v_dual_mov_b32 v4, v14 :: v_dual_mov_b32 v5, v15
	v_cmpx_ne_u16_e32 0, v6
	s_cbranch_execz .LBB251_1423
; %bb.1416:                             ;   in Loop: Header=BB251_803 Depth=1
	v_bfrev_b32_e32 v4, 1
	v_mov_b32_e32 v5, 0
	s_mov_b32 s12, exec_lo
	v_cmpx_ne_u16_e32 0x80, v6
	s_cbranch_execz .LBB251_1422
; %bb.1417:                             ;   in Loop: Header=BB251_803 Depth=1
	v_mov_b32_e32 v4, 0x7f800001
	v_dual_mov_b32 v5, 0 :: v_dual_and_b32 v16, 0x7f, v72
	s_mov_b32 s13, exec_lo
	s_delay_alu instid0(VALU_DEP_1)
	v_cmpx_ne_u32_e32 0x7f, v16
	s_cbranch_execz .LBB251_1421
; %bb.1418:                             ;   in Loop: Header=BB251_803 Depth=1
	v_and_b32_e32 v6, 7, v72
	v_lshrrev_b32_e32 v4, 3, v16
	s_mov_b32 s15, exec_lo
	v_cmpx_gt_u32_e32 8, v16
; %bb.1419:                             ;   in Loop: Header=BB251_803 Depth=1
	s_delay_alu instid0(VALU_DEP_3) | instskip(NEXT) | instid1(VALU_DEP_1)
	v_clz_i32_u32_e32 v4, v6
	v_min_u32_e32 v4, 32, v4
	s_delay_alu instid0(VALU_DEP_1) | instskip(SKIP_1) | instid1(VALU_DEP_2)
	v_subrev_nc_u32_e32 v5, 28, v4
	v_sub_nc_u32_e32 v4, 29, v4
	v_lshlrev_b64 v[5:6], v5, v[6:7]
	s_delay_alu instid0(VALU_DEP_1)
	v_and_b32_e32 v6, 7, v5
; %bb.1420:                             ;   in Loop: Header=BB251_803 Depth=1
	s_or_b32 exec_lo, exec_lo, s15
	v_lshlrev_b32_e32 v5, 24, v72
	s_delay_alu instid0(VALU_DEP_2) | instskip(SKIP_1) | instid1(VALU_DEP_3)
	v_lshlrev_b32_e32 v6, 20, v6
	v_lshl_add_u32 v4, v4, 23, 0x3c000000
	v_and_b32_e32 v5, 0x80000000, v5
	s_delay_alu instid0(VALU_DEP_1) | instskip(NEXT) | instid1(VALU_DEP_1)
	v_or3_b32 v6, v6, v5, v4
	v_dual_mov_b32 v4, v6 :: v_dual_mov_b32 v5, v7
.LBB251_1421:                           ;   in Loop: Header=BB251_803 Depth=1
	s_or_b32 exec_lo, exec_lo, s13
.LBB251_1422:                           ;   in Loop: Header=BB251_803 Depth=1
	s_delay_alu instid0(SALU_CYCLE_1)
	s_or_b32 exec_lo, exec_lo, s12
.LBB251_1423:                           ;   in Loop: Header=BB251_803 Depth=1
	s_delay_alu instid0(SALU_CYCLE_1) | instskip(SKIP_2) | instid1(VALU_DEP_1)
	s_or_b32 exec_lo, exec_lo, s10
	v_lshrrev_b16 v6, 8, v72
	s_mov_b32 s12, exec_lo
	v_cmpx_ne_u16_e32 0, v6
	s_cbranch_execz .LBB251_1431
; %bb.1424:                             ;   in Loop: Header=BB251_803 Depth=1
	v_dual_mov_b32 v15, s9 :: v_dual_mov_b32 v14, s8
	s_mov_b32 s13, exec_lo
	v_cmpx_ne_u16_e32 0x80, v6
	s_cbranch_execz .LBB251_1430
; %bb.1425:                             ;   in Loop: Header=BB251_803 Depth=1
	s_mov_b32 s10, s8
	v_dual_mov_b32 v15, s11 :: v_dual_and_b32 v6, 0xffff, v6
	v_mov_b32_e32 v14, s10
	s_mov_b32 s10, exec_lo
	s_delay_alu instid0(VALU_DEP_2) | instskip(NEXT) | instid1(VALU_DEP_1)
	v_and_b32_e32 v16, 0x7f, v6
	v_cmpx_ne_u32_e32 0x7f, v16
	s_cbranch_execz .LBB251_1429
; %bb.1426:                             ;   in Loop: Header=BB251_803 Depth=1
	v_and_b32_e32 v6, 7, v6
	v_lshrrev_b32_e32 v14, 3, v16
	s_mov_b32 s15, exec_lo
	v_cmpx_gt_u32_e32 8, v16
; %bb.1427:                             ;   in Loop: Header=BB251_803 Depth=1
	s_delay_alu instid0(VALU_DEP_3) | instskip(NEXT) | instid1(VALU_DEP_1)
	v_clz_i32_u32_e32 v14, v6
	v_min_u32_e32 v14, 32, v14
	s_delay_alu instid0(VALU_DEP_1) | instskip(SKIP_1) | instid1(VALU_DEP_2)
	v_subrev_nc_u32_e32 v15, 28, v14
	v_sub_nc_u32_e32 v14, 29, v14
	v_lshlrev_b64 v[15:16], v15, v[6:7]
	s_delay_alu instid0(VALU_DEP_1)
	v_and_b32_e32 v6, 7, v15
; %bb.1428:                             ;   in Loop: Header=BB251_803 Depth=1
	s_or_b32 exec_lo, exec_lo, s15
	v_lshlrev_b32_e32 v15, 16, v72
	s_delay_alu instid0(VALU_DEP_2) | instskip(SKIP_1) | instid1(VALU_DEP_3)
	v_lshlrev_b32_e32 v6, 20, v6
	v_lshl_add_u32 v14, v14, 23, 0x3c000000
	v_and_b32_e32 v15, 0x80000000, v15
	s_delay_alu instid0(VALU_DEP_1)
	v_or3_b32 v15, v6, v15, v14
	v_mov_b32_e32 v14, v7
.LBB251_1429:                           ;   in Loop: Header=BB251_803 Depth=1
	s_or_b32 exec_lo, exec_lo, s10
.LBB251_1430:                           ;   in Loop: Header=BB251_803 Depth=1
	s_delay_alu instid0(SALU_CYCLE_1)
	s_or_b32 exec_lo, exec_lo, s13
.LBB251_1431:                           ;   in Loop: Header=BB251_803 Depth=1
	s_delay_alu instid0(SALU_CYCLE_1) | instskip(SKIP_4) | instid1(VALU_DEP_2)
	s_or_b32 exec_lo, exec_lo, s12
	v_mov_b32_e32 v18, 0
	v_lshrrev_b32_e32 v73, 16, v72
	v_mov_b32_e32 v19, 0
	s_mov_b32 s10, exec_lo
	v_and_b32_e32 v6, 0xff, v73
	s_delay_alu instid0(VALU_DEP_2) | instskip(NEXT) | instid1(VALU_DEP_2)
	v_dual_mov_b32 v16, v18 :: v_dual_mov_b32 v17, v19
	v_cmpx_ne_u16_e32 0, v6
	s_cbranch_execz .LBB251_1439
; %bb.1432:                             ;   in Loop: Header=BB251_803 Depth=1
	v_bfrev_b32_e32 v16, 1
	v_mov_b32_e32 v17, 0
	s_mov_b32 s12, exec_lo
	v_cmpx_ne_u16_e32 0x80, v6
	s_cbranch_execz .LBB251_1438
; %bb.1433:                             ;   in Loop: Header=BB251_803 Depth=1
	v_mov_b32_e32 v16, 0x7f800001
	v_bfe_u32 v74, v72, 16, 7
	v_mov_b32_e32 v17, 0
	s_mov_b32 s13, exec_lo
	s_delay_alu instid0(VALU_DEP_2)
	v_cmpx_ne_u32_e32 0x7f, v74
	s_cbranch_execz .LBB251_1437
; %bb.1434:                             ;   in Loop: Header=BB251_803 Depth=1
	v_and_b32_e32 v6, 7, v73
	v_lshrrev_b32_e32 v16, 3, v74
	s_mov_b32 s15, exec_lo
	v_cmpx_gt_u32_e32 8, v74
; %bb.1435:                             ;   in Loop: Header=BB251_803 Depth=1
	s_delay_alu instid0(VALU_DEP_3) | instskip(NEXT) | instid1(VALU_DEP_1)
	v_clz_i32_u32_e32 v16, v6
	v_min_u32_e32 v16, 32, v16
	s_delay_alu instid0(VALU_DEP_1) | instskip(SKIP_1) | instid1(VALU_DEP_2)
	v_subrev_nc_u32_e32 v17, 28, v16
	v_sub_nc_u32_e32 v16, 29, v16
	v_lshlrev_b64 v[74:75], v17, v[6:7]
	s_delay_alu instid0(VALU_DEP_1)
	v_and_b32_e32 v6, 7, v74
; %bb.1436:                             ;   in Loop: Header=BB251_803 Depth=1
	s_or_b32 exec_lo, exec_lo, s15
	v_lshlrev_b32_e32 v17, 24, v73
	s_delay_alu instid0(VALU_DEP_2) | instskip(SKIP_1) | instid1(VALU_DEP_3)
	v_lshlrev_b32_e32 v6, 20, v6
	v_lshl_add_u32 v16, v16, 23, 0x3c000000
	v_and_b32_e32 v17, 0x80000000, v17
	s_delay_alu instid0(VALU_DEP_1) | instskip(NEXT) | instid1(VALU_DEP_1)
	v_or3_b32 v6, v6, v17, v16
	v_dual_mov_b32 v17, v7 :: v_dual_mov_b32 v16, v6
.LBB251_1437:                           ;   in Loop: Header=BB251_803 Depth=1
	s_or_b32 exec_lo, exec_lo, s13
.LBB251_1438:                           ;   in Loop: Header=BB251_803 Depth=1
	s_delay_alu instid0(SALU_CYCLE_1)
	s_or_b32 exec_lo, exec_lo, s12
.LBB251_1439:                           ;   in Loop: Header=BB251_803 Depth=1
	s_delay_alu instid0(SALU_CYCLE_1) | instskip(NEXT) | instid1(SALU_CYCLE_1)
	s_or_b32 exec_lo, exec_lo, s10
	s_mov_b32 s12, exec_lo
	v_cmpx_lt_u32_e32 0xffffff, v72
	s_cbranch_execz .LBB251_1447
; %bb.1440:                             ;   in Loop: Header=BB251_803 Depth=1
	v_lshrrev_b32_e32 v73, 24, v72
	v_dual_mov_b32 v19, s9 :: v_dual_mov_b32 v18, s8
	s_mov_b32 s13, exec_lo
	s_delay_alu instid0(VALU_DEP_2)
	v_cmpx_ne_u32_e32 0x80, v73
	s_cbranch_execz .LBB251_1446
; %bb.1441:                             ;   in Loop: Header=BB251_803 Depth=1
	s_mov_b32 s10, s8
	v_bfe_u32 v72, v72, 24, 7
	v_dual_mov_b32 v19, s11 :: v_dual_mov_b32 v18, s10
	s_mov_b32 s10, exec_lo
	s_delay_alu instid0(VALU_DEP_2)
	v_cmpx_ne_u32_e32 0x7f, v72
	s_cbranch_execz .LBB251_1445
; %bb.1442:                             ;   in Loop: Header=BB251_803 Depth=1
	v_and_b32_e32 v6, 7, v73
	v_lshrrev_b32_e32 v18, 3, v72
	s_mov_b32 s15, exec_lo
	v_cmpx_gt_u32_e32 8, v72
; %bb.1443:                             ;   in Loop: Header=BB251_803 Depth=1
	s_delay_alu instid0(VALU_DEP_3) | instskip(NEXT) | instid1(VALU_DEP_1)
	v_clz_i32_u32_e32 v18, v6
	v_min_u32_e32 v18, 32, v18
	s_delay_alu instid0(VALU_DEP_1) | instskip(SKIP_1) | instid1(VALU_DEP_2)
	v_subrev_nc_u32_e32 v19, 28, v18
	v_sub_nc_u32_e32 v18, 29, v18
	v_lshlrev_b64 v[74:75], v19, v[6:7]
	s_delay_alu instid0(VALU_DEP_1)
	v_and_b32_e32 v6, 7, v74
; %bb.1444:                             ;   in Loop: Header=BB251_803 Depth=1
	s_or_b32 exec_lo, exec_lo, s15
	v_lshlrev_b32_e32 v19, 24, v73
	s_delay_alu instid0(VALU_DEP_2) | instskip(SKIP_1) | instid1(VALU_DEP_3)
	v_lshlrev_b32_e32 v6, 20, v6
	v_lshl_add_u32 v18, v18, 23, 0x3c000000
	v_and_b32_e32 v19, 0x80000000, v19
	s_delay_alu instid0(VALU_DEP_1)
	v_or3_b32 v19, v6, v19, v18
	v_mov_b32_e32 v18, v7
.LBB251_1445:                           ;   in Loop: Header=BB251_803 Depth=1
	s_or_b32 exec_lo, exec_lo, s10
.LBB251_1446:                           ;   in Loop: Header=BB251_803 Depth=1
	s_delay_alu instid0(SALU_CYCLE_1)
	s_or_b32 exec_lo, exec_lo, s13
.LBB251_1447:                           ;   in Loop: Header=BB251_803 Depth=1
	s_delay_alu instid0(SALU_CYCLE_1) | instskip(SKIP_4) | instid1(VALU_DEP_4)
	s_or_b32 exec_lo, exec_lo, s12
	v_or_b32_e32 v5, v15, v5
	v_or_b32_e32 v4, v14, v4
	;; [unrolled: 1-line block ×4, first 2 shown]
	v_mul_f32_e32 v75, v68, v5
	s_delay_alu instid0(VALU_DEP_4) | instskip(NEXT) | instid1(VALU_DEP_4)
	v_mul_f32_e32 v74, v64, v4
	v_mul_f32_e32 v72, v68, v6
	s_delay_alu instid0(VALU_DEP_4)
	v_mul_f32_e32 v73, v64, v14
	s_and_saveexec_b32 s10, vcc_lo
; %bb.1448:                             ;   in Loop: Header=BB251_803 Depth=1
	v_cmp_lt_i32_e64 s0, v81, v92
	s_delay_alu instid0(VALU_DEP_1) | instskip(SKIP_1) | instid1(VALU_DEP_1)
	v_cndmask_b32_e64 v74, 0, v74, s0
	v_cmp_lt_i32_e64 s0, v83, v92
	v_cndmask_b32_e64 v75, 0, v75, s0
	v_cmp_lt_i32_e64 s0, v82, v92
	s_delay_alu instid0(VALU_DEP_1) | instskip(SKIP_1) | instid1(VALU_DEP_1)
	v_cndmask_b32_e64 v73, 0, v73, s0
	v_cmp_lt_i32_e64 s0, v66, v92
	v_cndmask_b32_e64 v72, 0, v72, s0
; %bb.1449:                             ;   in Loop: Header=BB251_803 Depth=1
	s_or_b32 exec_lo, exec_lo, s10
	flat_load_b32 v76, v[12:13] offset:2432
	v_mov_b32_e32 v14, 0
	v_mov_b32_e32 v15, 0
	s_mov_b32 s10, exec_lo
	s_waitcnt vmcnt(0) lgkmcnt(0)
	v_and_b32_e32 v6, 0xff, v76
	s_delay_alu instid0(VALU_DEP_2) | instskip(NEXT) | instid1(VALU_DEP_2)
	v_dual_mov_b32 v4, v14 :: v_dual_mov_b32 v5, v15
	v_cmpx_ne_u16_e32 0, v6
	s_cbranch_execz .LBB251_1457
; %bb.1450:                             ;   in Loop: Header=BB251_803 Depth=1
	v_bfrev_b32_e32 v4, 1
	v_mov_b32_e32 v5, 0
	s_mov_b32 s12, exec_lo
	v_cmpx_ne_u16_e32 0x80, v6
	s_cbranch_execz .LBB251_1456
; %bb.1451:                             ;   in Loop: Header=BB251_803 Depth=1
	v_mov_b32_e32 v4, 0x7f800001
	v_dual_mov_b32 v5, 0 :: v_dual_and_b32 v16, 0x7f, v76
	s_mov_b32 s13, exec_lo
	s_delay_alu instid0(VALU_DEP_1)
	v_cmpx_ne_u32_e32 0x7f, v16
	s_cbranch_execz .LBB251_1455
; %bb.1452:                             ;   in Loop: Header=BB251_803 Depth=1
	v_and_b32_e32 v6, 7, v76
	v_lshrrev_b32_e32 v4, 3, v16
	s_mov_b32 s15, exec_lo
	v_cmpx_gt_u32_e32 8, v16
; %bb.1453:                             ;   in Loop: Header=BB251_803 Depth=1
	s_delay_alu instid0(VALU_DEP_3) | instskip(NEXT) | instid1(VALU_DEP_1)
	v_clz_i32_u32_e32 v4, v6
	v_min_u32_e32 v4, 32, v4
	s_delay_alu instid0(VALU_DEP_1) | instskip(SKIP_1) | instid1(VALU_DEP_2)
	v_subrev_nc_u32_e32 v5, 28, v4
	v_sub_nc_u32_e32 v4, 29, v4
	v_lshlrev_b64 v[5:6], v5, v[6:7]
	s_delay_alu instid0(VALU_DEP_1)
	v_and_b32_e32 v6, 7, v5
; %bb.1454:                             ;   in Loop: Header=BB251_803 Depth=1
	s_or_b32 exec_lo, exec_lo, s15
	v_lshlrev_b32_e32 v5, 24, v76
	s_delay_alu instid0(VALU_DEP_2) | instskip(SKIP_1) | instid1(VALU_DEP_3)
	v_lshlrev_b32_e32 v6, 20, v6
	v_lshl_add_u32 v4, v4, 23, 0x3c000000
	v_and_b32_e32 v5, 0x80000000, v5
	s_delay_alu instid0(VALU_DEP_1) | instskip(NEXT) | instid1(VALU_DEP_1)
	v_or3_b32 v6, v6, v5, v4
	v_dual_mov_b32 v4, v6 :: v_dual_mov_b32 v5, v7
.LBB251_1455:                           ;   in Loop: Header=BB251_803 Depth=1
	s_or_b32 exec_lo, exec_lo, s13
.LBB251_1456:                           ;   in Loop: Header=BB251_803 Depth=1
	s_delay_alu instid0(SALU_CYCLE_1)
	s_or_b32 exec_lo, exec_lo, s12
.LBB251_1457:                           ;   in Loop: Header=BB251_803 Depth=1
	s_delay_alu instid0(SALU_CYCLE_1) | instskip(SKIP_2) | instid1(VALU_DEP_1)
	s_or_b32 exec_lo, exec_lo, s10
	v_lshrrev_b16 v6, 8, v76
	s_mov_b32 s12, exec_lo
	v_cmpx_ne_u16_e32 0, v6
	s_cbranch_execz .LBB251_1465
; %bb.1458:                             ;   in Loop: Header=BB251_803 Depth=1
	v_dual_mov_b32 v15, s9 :: v_dual_mov_b32 v14, s8
	s_mov_b32 s13, exec_lo
	v_cmpx_ne_u16_e32 0x80, v6
	s_cbranch_execz .LBB251_1464
; %bb.1459:                             ;   in Loop: Header=BB251_803 Depth=1
	s_mov_b32 s10, s8
	v_dual_mov_b32 v15, s11 :: v_dual_and_b32 v6, 0xffff, v6
	v_mov_b32_e32 v14, s10
	s_mov_b32 s10, exec_lo
	s_delay_alu instid0(VALU_DEP_2) | instskip(NEXT) | instid1(VALU_DEP_1)
	v_and_b32_e32 v16, 0x7f, v6
	v_cmpx_ne_u32_e32 0x7f, v16
	s_cbranch_execz .LBB251_1463
; %bb.1460:                             ;   in Loop: Header=BB251_803 Depth=1
	v_and_b32_e32 v6, 7, v6
	v_lshrrev_b32_e32 v14, 3, v16
	s_mov_b32 s15, exec_lo
	v_cmpx_gt_u32_e32 8, v16
; %bb.1461:                             ;   in Loop: Header=BB251_803 Depth=1
	s_delay_alu instid0(VALU_DEP_3) | instskip(NEXT) | instid1(VALU_DEP_1)
	v_clz_i32_u32_e32 v14, v6
	v_min_u32_e32 v14, 32, v14
	s_delay_alu instid0(VALU_DEP_1) | instskip(SKIP_1) | instid1(VALU_DEP_2)
	v_subrev_nc_u32_e32 v15, 28, v14
	v_sub_nc_u32_e32 v14, 29, v14
	v_lshlrev_b64 v[15:16], v15, v[6:7]
	s_delay_alu instid0(VALU_DEP_1)
	v_and_b32_e32 v6, 7, v15
; %bb.1462:                             ;   in Loop: Header=BB251_803 Depth=1
	s_or_b32 exec_lo, exec_lo, s15
	v_lshlrev_b32_e32 v15, 16, v76
	s_delay_alu instid0(VALU_DEP_2) | instskip(SKIP_1) | instid1(VALU_DEP_3)
	v_lshlrev_b32_e32 v6, 20, v6
	v_lshl_add_u32 v14, v14, 23, 0x3c000000
	v_and_b32_e32 v15, 0x80000000, v15
	s_delay_alu instid0(VALU_DEP_1)
	v_or3_b32 v15, v6, v15, v14
	v_mov_b32_e32 v14, v7
.LBB251_1463:                           ;   in Loop: Header=BB251_803 Depth=1
	s_or_b32 exec_lo, exec_lo, s10
.LBB251_1464:                           ;   in Loop: Header=BB251_803 Depth=1
	s_delay_alu instid0(SALU_CYCLE_1)
	s_or_b32 exec_lo, exec_lo, s13
.LBB251_1465:                           ;   in Loop: Header=BB251_803 Depth=1
	s_delay_alu instid0(SALU_CYCLE_1) | instskip(SKIP_4) | instid1(VALU_DEP_2)
	s_or_b32 exec_lo, exec_lo, s12
	v_mov_b32_e32 v18, 0
	v_lshrrev_b32_e32 v77, 16, v76
	v_mov_b32_e32 v19, 0
	s_mov_b32 s10, exec_lo
	v_and_b32_e32 v6, 0xff, v77
	s_delay_alu instid0(VALU_DEP_2) | instskip(NEXT) | instid1(VALU_DEP_2)
	v_dual_mov_b32 v16, v18 :: v_dual_mov_b32 v17, v19
	v_cmpx_ne_u16_e32 0, v6
	s_cbranch_execz .LBB251_1473
; %bb.1466:                             ;   in Loop: Header=BB251_803 Depth=1
	v_bfrev_b32_e32 v16, 1
	v_mov_b32_e32 v17, 0
	s_mov_b32 s12, exec_lo
	v_cmpx_ne_u16_e32 0x80, v6
	s_cbranch_execz .LBB251_1472
; %bb.1467:                             ;   in Loop: Header=BB251_803 Depth=1
	v_mov_b32_e32 v16, 0x7f800001
	v_bfe_u32 v78, v76, 16, 7
	v_mov_b32_e32 v17, 0
	s_mov_b32 s13, exec_lo
	s_delay_alu instid0(VALU_DEP_2)
	v_cmpx_ne_u32_e32 0x7f, v78
	s_cbranch_execz .LBB251_1471
; %bb.1468:                             ;   in Loop: Header=BB251_803 Depth=1
	v_and_b32_e32 v6, 7, v77
	v_lshrrev_b32_e32 v16, 3, v78
	s_mov_b32 s15, exec_lo
	v_cmpx_gt_u32_e32 8, v78
; %bb.1469:                             ;   in Loop: Header=BB251_803 Depth=1
	s_delay_alu instid0(VALU_DEP_3) | instskip(NEXT) | instid1(VALU_DEP_1)
	v_clz_i32_u32_e32 v16, v6
	v_min_u32_e32 v16, 32, v16
	s_delay_alu instid0(VALU_DEP_1) | instskip(SKIP_1) | instid1(VALU_DEP_2)
	v_subrev_nc_u32_e32 v17, 28, v16
	v_sub_nc_u32_e32 v16, 29, v16
	v_lshlrev_b64 v[78:79], v17, v[6:7]
	s_delay_alu instid0(VALU_DEP_1)
	v_and_b32_e32 v6, 7, v78
; %bb.1470:                             ;   in Loop: Header=BB251_803 Depth=1
	s_or_b32 exec_lo, exec_lo, s15
	v_lshlrev_b32_e32 v17, 24, v77
	s_delay_alu instid0(VALU_DEP_2) | instskip(SKIP_1) | instid1(VALU_DEP_3)
	v_lshlrev_b32_e32 v6, 20, v6
	v_lshl_add_u32 v16, v16, 23, 0x3c000000
	v_and_b32_e32 v17, 0x80000000, v17
	s_delay_alu instid0(VALU_DEP_1) | instskip(NEXT) | instid1(VALU_DEP_1)
	v_or3_b32 v6, v6, v17, v16
	v_dual_mov_b32 v17, v7 :: v_dual_mov_b32 v16, v6
.LBB251_1471:                           ;   in Loop: Header=BB251_803 Depth=1
	s_or_b32 exec_lo, exec_lo, s13
.LBB251_1472:                           ;   in Loop: Header=BB251_803 Depth=1
	s_delay_alu instid0(SALU_CYCLE_1)
	s_or_b32 exec_lo, exec_lo, s12
.LBB251_1473:                           ;   in Loop: Header=BB251_803 Depth=1
	s_delay_alu instid0(SALU_CYCLE_1) | instskip(NEXT) | instid1(SALU_CYCLE_1)
	s_or_b32 exec_lo, exec_lo, s10
	s_mov_b32 s12, exec_lo
	v_cmpx_lt_u32_e32 0xffffff, v76
	s_cbranch_execz .LBB251_1481
; %bb.1474:                             ;   in Loop: Header=BB251_803 Depth=1
	v_lshrrev_b32_e32 v77, 24, v76
	v_dual_mov_b32 v19, s9 :: v_dual_mov_b32 v18, s8
	s_mov_b32 s13, exec_lo
	s_delay_alu instid0(VALU_DEP_2)
	v_cmpx_ne_u32_e32 0x80, v77
	s_cbranch_execz .LBB251_1480
; %bb.1475:                             ;   in Loop: Header=BB251_803 Depth=1
	s_mov_b32 s10, s8
	v_bfe_u32 v76, v76, 24, 7
	v_dual_mov_b32 v19, s11 :: v_dual_mov_b32 v18, s10
	s_mov_b32 s10, exec_lo
	s_delay_alu instid0(VALU_DEP_2)
	v_cmpx_ne_u32_e32 0x7f, v76
	s_cbranch_execz .LBB251_1479
; %bb.1476:                             ;   in Loop: Header=BB251_803 Depth=1
	v_and_b32_e32 v6, 7, v77
	v_lshrrev_b32_e32 v18, 3, v76
	s_mov_b32 s15, exec_lo
	v_cmpx_gt_u32_e32 8, v76
; %bb.1477:                             ;   in Loop: Header=BB251_803 Depth=1
	s_delay_alu instid0(VALU_DEP_3) | instskip(NEXT) | instid1(VALU_DEP_1)
	v_clz_i32_u32_e32 v18, v6
	v_min_u32_e32 v18, 32, v18
	s_delay_alu instid0(VALU_DEP_1) | instskip(SKIP_1) | instid1(VALU_DEP_2)
	v_subrev_nc_u32_e32 v19, 28, v18
	v_sub_nc_u32_e32 v18, 29, v18
	v_lshlrev_b64 v[78:79], v19, v[6:7]
	s_delay_alu instid0(VALU_DEP_1)
	v_and_b32_e32 v6, 7, v78
; %bb.1478:                             ;   in Loop: Header=BB251_803 Depth=1
	s_or_b32 exec_lo, exec_lo, s15
	v_lshlrev_b32_e32 v19, 24, v77
	s_delay_alu instid0(VALU_DEP_2) | instskip(SKIP_1) | instid1(VALU_DEP_3)
	v_lshlrev_b32_e32 v6, 20, v6
	v_lshl_add_u32 v18, v18, 23, 0x3c000000
	v_and_b32_e32 v19, 0x80000000, v19
	s_delay_alu instid0(VALU_DEP_1)
	v_or3_b32 v19, v6, v19, v18
	v_mov_b32_e32 v18, v7
.LBB251_1479:                           ;   in Loop: Header=BB251_803 Depth=1
	s_or_b32 exec_lo, exec_lo, s10
.LBB251_1480:                           ;   in Loop: Header=BB251_803 Depth=1
	s_delay_alu instid0(SALU_CYCLE_1)
	s_or_b32 exec_lo, exec_lo, s13
.LBB251_1481:                           ;   in Loop: Header=BB251_803 Depth=1
	s_delay_alu instid0(SALU_CYCLE_1) | instskip(SKIP_4) | instid1(VALU_DEP_4)
	s_or_b32 exec_lo, exec_lo, s12
	v_or_b32_e32 v5, v15, v5
	v_or_b32_e32 v4, v14, v4
	;; [unrolled: 1-line block ×4, first 2 shown]
	v_mul_f32_e32 v79, v68, v5
	s_delay_alu instid0(VALU_DEP_4) | instskip(NEXT) | instid1(VALU_DEP_4)
	v_mul_f32_e32 v78, v64, v4
	v_mul_f32_e32 v76, v68, v6
	s_delay_alu instid0(VALU_DEP_4)
	v_mul_f32_e32 v77, v64, v14
	s_and_saveexec_b32 s10, vcc_lo
; %bb.1482:                             ;   in Loop: Header=BB251_803 Depth=1
	v_cmp_lt_i32_e64 s0, v81, v92
	s_delay_alu instid0(VALU_DEP_1) | instskip(SKIP_1) | instid1(VALU_DEP_1)
	v_cndmask_b32_e64 v78, 0, v78, s0
	v_cmp_lt_i32_e64 s0, v83, v92
	v_cndmask_b32_e64 v79, 0, v79, s0
	v_cmp_lt_i32_e64 s0, v82, v92
	s_delay_alu instid0(VALU_DEP_1) | instskip(SKIP_1) | instid1(VALU_DEP_1)
	v_cndmask_b32_e64 v77, 0, v77, s0
	v_cmp_lt_i32_e64 s0, v66, v92
	v_cndmask_b32_e64 v76, 0, v76, s0
; %bb.1483:                             ;   in Loop: Header=BB251_803 Depth=1
	s_or_b32 exec_lo, exec_lo, s10
	flat_load_b32 v88, v[12:13] offset:2560
	v_mov_b32_e32 v14, 0
	v_mov_b32_e32 v15, 0
	s_mov_b32 s10, exec_lo
	s_waitcnt vmcnt(0) lgkmcnt(0)
	v_and_b32_e32 v6, 0xff, v88
	s_delay_alu instid0(VALU_DEP_2) | instskip(NEXT) | instid1(VALU_DEP_2)
	v_dual_mov_b32 v4, v14 :: v_dual_mov_b32 v5, v15
	v_cmpx_ne_u16_e32 0, v6
	s_cbranch_execz .LBB251_1491
; %bb.1484:                             ;   in Loop: Header=BB251_803 Depth=1
	v_bfrev_b32_e32 v4, 1
	v_mov_b32_e32 v5, 0
	s_mov_b32 s12, exec_lo
	v_cmpx_ne_u16_e32 0x80, v6
	s_cbranch_execz .LBB251_1490
; %bb.1485:                             ;   in Loop: Header=BB251_803 Depth=1
	v_mov_b32_e32 v4, 0x7f800001
	v_dual_mov_b32 v5, 0 :: v_dual_and_b32 v16, 0x7f, v88
	s_mov_b32 s13, exec_lo
	s_delay_alu instid0(VALU_DEP_1)
	v_cmpx_ne_u32_e32 0x7f, v16
	s_cbranch_execz .LBB251_1489
; %bb.1486:                             ;   in Loop: Header=BB251_803 Depth=1
	v_and_b32_e32 v6, 7, v88
	v_lshrrev_b32_e32 v4, 3, v16
	s_mov_b32 s15, exec_lo
	v_cmpx_gt_u32_e32 8, v16
; %bb.1487:                             ;   in Loop: Header=BB251_803 Depth=1
	s_delay_alu instid0(VALU_DEP_3) | instskip(NEXT) | instid1(VALU_DEP_1)
	v_clz_i32_u32_e32 v4, v6
	v_min_u32_e32 v4, 32, v4
	s_delay_alu instid0(VALU_DEP_1) | instskip(SKIP_1) | instid1(VALU_DEP_2)
	v_subrev_nc_u32_e32 v5, 28, v4
	v_sub_nc_u32_e32 v4, 29, v4
	v_lshlrev_b64 v[5:6], v5, v[6:7]
	s_delay_alu instid0(VALU_DEP_1)
	v_and_b32_e32 v6, 7, v5
; %bb.1488:                             ;   in Loop: Header=BB251_803 Depth=1
	s_or_b32 exec_lo, exec_lo, s15
	v_lshlrev_b32_e32 v5, 24, v88
	s_delay_alu instid0(VALU_DEP_2) | instskip(SKIP_1) | instid1(VALU_DEP_3)
	v_lshlrev_b32_e32 v6, 20, v6
	v_lshl_add_u32 v4, v4, 23, 0x3c000000
	v_and_b32_e32 v5, 0x80000000, v5
	s_delay_alu instid0(VALU_DEP_1) | instskip(NEXT) | instid1(VALU_DEP_1)
	v_or3_b32 v6, v6, v5, v4
	v_dual_mov_b32 v4, v6 :: v_dual_mov_b32 v5, v7
.LBB251_1489:                           ;   in Loop: Header=BB251_803 Depth=1
	s_or_b32 exec_lo, exec_lo, s13
.LBB251_1490:                           ;   in Loop: Header=BB251_803 Depth=1
	s_delay_alu instid0(SALU_CYCLE_1)
	s_or_b32 exec_lo, exec_lo, s12
.LBB251_1491:                           ;   in Loop: Header=BB251_803 Depth=1
	s_delay_alu instid0(SALU_CYCLE_1) | instskip(SKIP_2) | instid1(VALU_DEP_1)
	s_or_b32 exec_lo, exec_lo, s10
	v_lshrrev_b16 v6, 8, v88
	s_mov_b32 s12, exec_lo
	v_cmpx_ne_u16_e32 0, v6
	s_cbranch_execz .LBB251_1499
; %bb.1492:                             ;   in Loop: Header=BB251_803 Depth=1
	v_dual_mov_b32 v15, s9 :: v_dual_mov_b32 v14, s8
	s_mov_b32 s13, exec_lo
	v_cmpx_ne_u16_e32 0x80, v6
	s_cbranch_execz .LBB251_1498
; %bb.1493:                             ;   in Loop: Header=BB251_803 Depth=1
	s_mov_b32 s10, s8
	v_dual_mov_b32 v15, s11 :: v_dual_and_b32 v6, 0xffff, v6
	v_mov_b32_e32 v14, s10
	s_mov_b32 s10, exec_lo
	s_delay_alu instid0(VALU_DEP_2) | instskip(NEXT) | instid1(VALU_DEP_1)
	v_and_b32_e32 v16, 0x7f, v6
	v_cmpx_ne_u32_e32 0x7f, v16
	s_cbranch_execz .LBB251_1497
; %bb.1494:                             ;   in Loop: Header=BB251_803 Depth=1
	v_and_b32_e32 v6, 7, v6
	v_lshrrev_b32_e32 v14, 3, v16
	s_mov_b32 s15, exec_lo
	v_cmpx_gt_u32_e32 8, v16
; %bb.1495:                             ;   in Loop: Header=BB251_803 Depth=1
	s_delay_alu instid0(VALU_DEP_3) | instskip(NEXT) | instid1(VALU_DEP_1)
	v_clz_i32_u32_e32 v14, v6
	v_min_u32_e32 v14, 32, v14
	s_delay_alu instid0(VALU_DEP_1) | instskip(SKIP_1) | instid1(VALU_DEP_2)
	v_subrev_nc_u32_e32 v15, 28, v14
	v_sub_nc_u32_e32 v14, 29, v14
	v_lshlrev_b64 v[15:16], v15, v[6:7]
	s_delay_alu instid0(VALU_DEP_1)
	v_and_b32_e32 v6, 7, v15
; %bb.1496:                             ;   in Loop: Header=BB251_803 Depth=1
	s_or_b32 exec_lo, exec_lo, s15
	v_lshlrev_b32_e32 v15, 16, v88
	s_delay_alu instid0(VALU_DEP_2) | instskip(SKIP_1) | instid1(VALU_DEP_3)
	v_lshlrev_b32_e32 v6, 20, v6
	v_lshl_add_u32 v14, v14, 23, 0x3c000000
	v_and_b32_e32 v15, 0x80000000, v15
	s_delay_alu instid0(VALU_DEP_1)
	v_or3_b32 v15, v6, v15, v14
	v_mov_b32_e32 v14, v7
.LBB251_1497:                           ;   in Loop: Header=BB251_803 Depth=1
	s_or_b32 exec_lo, exec_lo, s10
.LBB251_1498:                           ;   in Loop: Header=BB251_803 Depth=1
	s_delay_alu instid0(SALU_CYCLE_1)
	s_or_b32 exec_lo, exec_lo, s13
.LBB251_1499:                           ;   in Loop: Header=BB251_803 Depth=1
	s_delay_alu instid0(SALU_CYCLE_1) | instskip(SKIP_4) | instid1(VALU_DEP_2)
	s_or_b32 exec_lo, exec_lo, s12
	v_mov_b32_e32 v18, 0
	v_lshrrev_b32_e32 v89, 16, v88
	v_mov_b32_e32 v19, 0
	s_mov_b32 s10, exec_lo
	v_and_b32_e32 v6, 0xff, v89
	s_delay_alu instid0(VALU_DEP_2) | instskip(NEXT) | instid1(VALU_DEP_2)
	v_dual_mov_b32 v16, v18 :: v_dual_mov_b32 v17, v19
	v_cmpx_ne_u16_e32 0, v6
	s_cbranch_execz .LBB251_1507
; %bb.1500:                             ;   in Loop: Header=BB251_803 Depth=1
	v_bfrev_b32_e32 v16, 1
	v_mov_b32_e32 v17, 0
	s_mov_b32 s12, exec_lo
	v_cmpx_ne_u16_e32 0x80, v6
	s_cbranch_execz .LBB251_1506
; %bb.1501:                             ;   in Loop: Header=BB251_803 Depth=1
	v_mov_b32_e32 v16, 0x7f800001
	v_bfe_u32 v90, v88, 16, 7
	v_mov_b32_e32 v17, 0
	s_mov_b32 s13, exec_lo
	s_delay_alu instid0(VALU_DEP_2)
	v_cmpx_ne_u32_e32 0x7f, v90
	s_cbranch_execz .LBB251_1505
; %bb.1502:                             ;   in Loop: Header=BB251_803 Depth=1
	v_and_b32_e32 v6, 7, v89
	v_lshrrev_b32_e32 v16, 3, v90
	s_mov_b32 s15, exec_lo
	v_cmpx_gt_u32_e32 8, v90
; %bb.1503:                             ;   in Loop: Header=BB251_803 Depth=1
	s_delay_alu instid0(VALU_DEP_3) | instskip(NEXT) | instid1(VALU_DEP_1)
	v_clz_i32_u32_e32 v16, v6
	v_min_u32_e32 v16, 32, v16
	s_delay_alu instid0(VALU_DEP_1) | instskip(SKIP_1) | instid1(VALU_DEP_2)
	v_subrev_nc_u32_e32 v17, 28, v16
	v_sub_nc_u32_e32 v16, 29, v16
	v_lshlrev_b64 v[90:91], v17, v[6:7]
	s_delay_alu instid0(VALU_DEP_1)
	v_and_b32_e32 v6, 7, v90
; %bb.1504:                             ;   in Loop: Header=BB251_803 Depth=1
	s_or_b32 exec_lo, exec_lo, s15
	v_lshlrev_b32_e32 v17, 24, v89
	s_delay_alu instid0(VALU_DEP_2) | instskip(SKIP_1) | instid1(VALU_DEP_3)
	v_lshlrev_b32_e32 v6, 20, v6
	v_lshl_add_u32 v16, v16, 23, 0x3c000000
	v_and_b32_e32 v17, 0x80000000, v17
	s_delay_alu instid0(VALU_DEP_1) | instskip(NEXT) | instid1(VALU_DEP_1)
	v_or3_b32 v6, v6, v17, v16
	v_dual_mov_b32 v17, v7 :: v_dual_mov_b32 v16, v6
.LBB251_1505:                           ;   in Loop: Header=BB251_803 Depth=1
	s_or_b32 exec_lo, exec_lo, s13
.LBB251_1506:                           ;   in Loop: Header=BB251_803 Depth=1
	s_delay_alu instid0(SALU_CYCLE_1)
	s_or_b32 exec_lo, exec_lo, s12
.LBB251_1507:                           ;   in Loop: Header=BB251_803 Depth=1
	s_delay_alu instid0(SALU_CYCLE_1) | instskip(NEXT) | instid1(SALU_CYCLE_1)
	s_or_b32 exec_lo, exec_lo, s10
	s_mov_b32 s12, exec_lo
	v_cmpx_lt_u32_e32 0xffffff, v88
	s_cbranch_execz .LBB251_1515
; %bb.1508:                             ;   in Loop: Header=BB251_803 Depth=1
	v_lshrrev_b32_e32 v89, 24, v88
	v_dual_mov_b32 v19, s9 :: v_dual_mov_b32 v18, s8
	s_mov_b32 s13, exec_lo
	s_delay_alu instid0(VALU_DEP_2)
	v_cmpx_ne_u32_e32 0x80, v89
	s_cbranch_execz .LBB251_1514
; %bb.1509:                             ;   in Loop: Header=BB251_803 Depth=1
	s_mov_b32 s10, s8
	v_bfe_u32 v88, v88, 24, 7
	v_dual_mov_b32 v19, s11 :: v_dual_mov_b32 v18, s10
	s_mov_b32 s10, exec_lo
	s_delay_alu instid0(VALU_DEP_2)
	v_cmpx_ne_u32_e32 0x7f, v88
	s_cbranch_execz .LBB251_1513
; %bb.1510:                             ;   in Loop: Header=BB251_803 Depth=1
	v_and_b32_e32 v6, 7, v89
	v_lshrrev_b32_e32 v18, 3, v88
	s_mov_b32 s15, exec_lo
	v_cmpx_gt_u32_e32 8, v88
; %bb.1511:                             ;   in Loop: Header=BB251_803 Depth=1
	s_delay_alu instid0(VALU_DEP_3) | instskip(NEXT) | instid1(VALU_DEP_1)
	v_clz_i32_u32_e32 v18, v6
	v_min_u32_e32 v18, 32, v18
	s_delay_alu instid0(VALU_DEP_1) | instskip(SKIP_1) | instid1(VALU_DEP_2)
	v_subrev_nc_u32_e32 v19, 28, v18
	v_sub_nc_u32_e32 v18, 29, v18
	v_lshlrev_b64 v[90:91], v19, v[6:7]
	s_delay_alu instid0(VALU_DEP_1)
	v_and_b32_e32 v6, 7, v90
; %bb.1512:                             ;   in Loop: Header=BB251_803 Depth=1
	s_or_b32 exec_lo, exec_lo, s15
	v_lshlrev_b32_e32 v19, 24, v89
	s_delay_alu instid0(VALU_DEP_2) | instskip(SKIP_1) | instid1(VALU_DEP_3)
	v_lshlrev_b32_e32 v6, 20, v6
	v_lshl_add_u32 v18, v18, 23, 0x3c000000
	v_and_b32_e32 v19, 0x80000000, v19
	s_delay_alu instid0(VALU_DEP_1)
	v_or3_b32 v19, v6, v19, v18
	v_mov_b32_e32 v18, v7
.LBB251_1513:                           ;   in Loop: Header=BB251_803 Depth=1
	s_or_b32 exec_lo, exec_lo, s10
.LBB251_1514:                           ;   in Loop: Header=BB251_803 Depth=1
	s_delay_alu instid0(SALU_CYCLE_1)
	s_or_b32 exec_lo, exec_lo, s13
.LBB251_1515:                           ;   in Loop: Header=BB251_803 Depth=1
	s_delay_alu instid0(SALU_CYCLE_1) | instskip(SKIP_4) | instid1(VALU_DEP_4)
	s_or_b32 exec_lo, exec_lo, s12
	v_or_b32_e32 v5, v15, v5
	v_or_b32_e32 v4, v14, v4
	;; [unrolled: 1-line block ×4, first 2 shown]
	v_mul_f32_e32 v91, v68, v5
	s_delay_alu instid0(VALU_DEP_4) | instskip(NEXT) | instid1(VALU_DEP_4)
	v_mul_f32_e32 v90, v64, v4
	v_mul_f32_e32 v88, v68, v6
	s_delay_alu instid0(VALU_DEP_4)
	v_mul_f32_e32 v89, v64, v14
	s_and_saveexec_b32 s10, vcc_lo
; %bb.1516:                             ;   in Loop: Header=BB251_803 Depth=1
	v_cmp_lt_i32_e64 s0, v81, v92
	s_delay_alu instid0(VALU_DEP_1) | instskip(SKIP_1) | instid1(VALU_DEP_1)
	v_cndmask_b32_e64 v90, 0, v90, s0
	v_cmp_lt_i32_e64 s0, v83, v92
	v_cndmask_b32_e64 v91, 0, v91, s0
	v_cmp_lt_i32_e64 s0, v82, v92
	s_delay_alu instid0(VALU_DEP_1) | instskip(SKIP_1) | instid1(VALU_DEP_1)
	v_cndmask_b32_e64 v89, 0, v89, s0
	v_cmp_lt_i32_e64 s0, v66, v92
	v_cndmask_b32_e64 v88, 0, v88, s0
; %bb.1517:                             ;   in Loop: Header=BB251_803 Depth=1
	s_or_b32 exec_lo, exec_lo, s10
	flat_load_b32 v93, v[12:13] offset:2688
	v_mov_b32_e32 v14, 0
	v_mov_b32_e32 v15, 0
	s_mov_b32 s10, exec_lo
	s_waitcnt vmcnt(0) lgkmcnt(0)
	v_and_b32_e32 v6, 0xff, v93
	s_delay_alu instid0(VALU_DEP_2) | instskip(NEXT) | instid1(VALU_DEP_2)
	v_dual_mov_b32 v4, v14 :: v_dual_mov_b32 v5, v15
	v_cmpx_ne_u16_e32 0, v6
	s_cbranch_execz .LBB251_1525
; %bb.1518:                             ;   in Loop: Header=BB251_803 Depth=1
	v_bfrev_b32_e32 v4, 1
	v_mov_b32_e32 v5, 0
	s_mov_b32 s12, exec_lo
	v_cmpx_ne_u16_e32 0x80, v6
	s_cbranch_execz .LBB251_1524
; %bb.1519:                             ;   in Loop: Header=BB251_803 Depth=1
	v_mov_b32_e32 v4, 0x7f800001
	v_dual_mov_b32 v5, 0 :: v_dual_and_b32 v16, 0x7f, v93
	s_mov_b32 s13, exec_lo
	s_delay_alu instid0(VALU_DEP_1)
	v_cmpx_ne_u32_e32 0x7f, v16
	s_cbranch_execz .LBB251_1523
; %bb.1520:                             ;   in Loop: Header=BB251_803 Depth=1
	v_and_b32_e32 v6, 7, v93
	v_lshrrev_b32_e32 v4, 3, v16
	s_mov_b32 s15, exec_lo
	v_cmpx_gt_u32_e32 8, v16
; %bb.1521:                             ;   in Loop: Header=BB251_803 Depth=1
	s_delay_alu instid0(VALU_DEP_3) | instskip(NEXT) | instid1(VALU_DEP_1)
	v_clz_i32_u32_e32 v4, v6
	v_min_u32_e32 v4, 32, v4
	s_delay_alu instid0(VALU_DEP_1) | instskip(SKIP_1) | instid1(VALU_DEP_2)
	v_subrev_nc_u32_e32 v5, 28, v4
	v_sub_nc_u32_e32 v4, 29, v4
	v_lshlrev_b64 v[5:6], v5, v[6:7]
	s_delay_alu instid0(VALU_DEP_1)
	v_and_b32_e32 v6, 7, v5
; %bb.1522:                             ;   in Loop: Header=BB251_803 Depth=1
	s_or_b32 exec_lo, exec_lo, s15
	v_lshlrev_b32_e32 v5, 24, v93
	s_delay_alu instid0(VALU_DEP_2) | instskip(SKIP_1) | instid1(VALU_DEP_3)
	v_lshlrev_b32_e32 v6, 20, v6
	v_lshl_add_u32 v4, v4, 23, 0x3c000000
	v_and_b32_e32 v5, 0x80000000, v5
	s_delay_alu instid0(VALU_DEP_1) | instskip(NEXT) | instid1(VALU_DEP_1)
	v_or3_b32 v6, v6, v5, v4
	v_dual_mov_b32 v4, v6 :: v_dual_mov_b32 v5, v7
.LBB251_1523:                           ;   in Loop: Header=BB251_803 Depth=1
	s_or_b32 exec_lo, exec_lo, s13
.LBB251_1524:                           ;   in Loop: Header=BB251_803 Depth=1
	s_delay_alu instid0(SALU_CYCLE_1)
	s_or_b32 exec_lo, exec_lo, s12
.LBB251_1525:                           ;   in Loop: Header=BB251_803 Depth=1
	s_delay_alu instid0(SALU_CYCLE_1) | instskip(SKIP_2) | instid1(VALU_DEP_1)
	s_or_b32 exec_lo, exec_lo, s10
	v_lshrrev_b16 v6, 8, v93
	s_mov_b32 s12, exec_lo
	v_cmpx_ne_u16_e32 0, v6
	s_cbranch_execz .LBB251_1533
; %bb.1526:                             ;   in Loop: Header=BB251_803 Depth=1
	v_dual_mov_b32 v15, s9 :: v_dual_mov_b32 v14, s8
	s_mov_b32 s13, exec_lo
	v_cmpx_ne_u16_e32 0x80, v6
	s_cbranch_execz .LBB251_1532
; %bb.1527:                             ;   in Loop: Header=BB251_803 Depth=1
	s_mov_b32 s10, s8
	v_dual_mov_b32 v15, s11 :: v_dual_and_b32 v6, 0xffff, v6
	v_mov_b32_e32 v14, s10
	s_mov_b32 s10, exec_lo
	s_delay_alu instid0(VALU_DEP_2) | instskip(NEXT) | instid1(VALU_DEP_1)
	v_and_b32_e32 v16, 0x7f, v6
	v_cmpx_ne_u32_e32 0x7f, v16
	s_cbranch_execz .LBB251_1531
; %bb.1528:                             ;   in Loop: Header=BB251_803 Depth=1
	v_and_b32_e32 v6, 7, v6
	v_lshrrev_b32_e32 v14, 3, v16
	s_mov_b32 s15, exec_lo
	v_cmpx_gt_u32_e32 8, v16
; %bb.1529:                             ;   in Loop: Header=BB251_803 Depth=1
	s_delay_alu instid0(VALU_DEP_3) | instskip(NEXT) | instid1(VALU_DEP_1)
	v_clz_i32_u32_e32 v14, v6
	v_min_u32_e32 v14, 32, v14
	s_delay_alu instid0(VALU_DEP_1) | instskip(SKIP_1) | instid1(VALU_DEP_2)
	v_subrev_nc_u32_e32 v15, 28, v14
	v_sub_nc_u32_e32 v14, 29, v14
	v_lshlrev_b64 v[15:16], v15, v[6:7]
	s_delay_alu instid0(VALU_DEP_1)
	v_and_b32_e32 v6, 7, v15
; %bb.1530:                             ;   in Loop: Header=BB251_803 Depth=1
	s_or_b32 exec_lo, exec_lo, s15
	v_lshlrev_b32_e32 v15, 16, v93
	s_delay_alu instid0(VALU_DEP_2) | instskip(SKIP_1) | instid1(VALU_DEP_3)
	v_lshlrev_b32_e32 v6, 20, v6
	v_lshl_add_u32 v14, v14, 23, 0x3c000000
	v_and_b32_e32 v15, 0x80000000, v15
	s_delay_alu instid0(VALU_DEP_1)
	v_or3_b32 v15, v6, v15, v14
	v_mov_b32_e32 v14, v7
.LBB251_1531:                           ;   in Loop: Header=BB251_803 Depth=1
	s_or_b32 exec_lo, exec_lo, s10
.LBB251_1532:                           ;   in Loop: Header=BB251_803 Depth=1
	s_delay_alu instid0(SALU_CYCLE_1)
	s_or_b32 exec_lo, exec_lo, s13
.LBB251_1533:                           ;   in Loop: Header=BB251_803 Depth=1
	s_delay_alu instid0(SALU_CYCLE_1) | instskip(SKIP_4) | instid1(VALU_DEP_2)
	s_or_b32 exec_lo, exec_lo, s12
	v_mov_b32_e32 v18, 0
	v_lshrrev_b32_e32 v94, 16, v93
	v_mov_b32_e32 v19, 0
	s_mov_b32 s10, exec_lo
	v_and_b32_e32 v6, 0xff, v94
	s_delay_alu instid0(VALU_DEP_2) | instskip(NEXT) | instid1(VALU_DEP_2)
	v_dual_mov_b32 v16, v18 :: v_dual_mov_b32 v17, v19
	v_cmpx_ne_u16_e32 0, v6
	s_cbranch_execz .LBB251_1541
; %bb.1534:                             ;   in Loop: Header=BB251_803 Depth=1
	v_bfrev_b32_e32 v16, 1
	v_mov_b32_e32 v17, 0
	s_mov_b32 s12, exec_lo
	v_cmpx_ne_u16_e32 0x80, v6
	s_cbranch_execz .LBB251_1540
; %bb.1535:                             ;   in Loop: Header=BB251_803 Depth=1
	v_mov_b32_e32 v16, 0x7f800001
	v_bfe_u32 v95, v93, 16, 7
	v_mov_b32_e32 v17, 0
	s_mov_b32 s13, exec_lo
	s_delay_alu instid0(VALU_DEP_2)
	v_cmpx_ne_u32_e32 0x7f, v95
	s_cbranch_execz .LBB251_1539
; %bb.1536:                             ;   in Loop: Header=BB251_803 Depth=1
	v_and_b32_e32 v6, 7, v94
	v_lshrrev_b32_e32 v16, 3, v95
	s_mov_b32 s15, exec_lo
	v_cmpx_gt_u32_e32 8, v95
; %bb.1537:                             ;   in Loop: Header=BB251_803 Depth=1
	s_delay_alu instid0(VALU_DEP_3) | instskip(NEXT) | instid1(VALU_DEP_1)
	v_clz_i32_u32_e32 v16, v6
	v_min_u32_e32 v16, 32, v16
	s_delay_alu instid0(VALU_DEP_1) | instskip(SKIP_1) | instid1(VALU_DEP_2)
	v_subrev_nc_u32_e32 v17, 28, v16
	v_sub_nc_u32_e32 v16, 29, v16
	v_lshlrev_b64 v[104:105], v17, v[6:7]
	s_delay_alu instid0(VALU_DEP_1)
	v_and_b32_e32 v6, 7, v104
; %bb.1538:                             ;   in Loop: Header=BB251_803 Depth=1
	s_or_b32 exec_lo, exec_lo, s15
	v_lshlrev_b32_e32 v17, 24, v94
	s_delay_alu instid0(VALU_DEP_2) | instskip(SKIP_1) | instid1(VALU_DEP_3)
	v_lshlrev_b32_e32 v6, 20, v6
	v_lshl_add_u32 v16, v16, 23, 0x3c000000
	v_and_b32_e32 v17, 0x80000000, v17
	s_delay_alu instid0(VALU_DEP_1) | instskip(NEXT) | instid1(VALU_DEP_1)
	v_or3_b32 v6, v6, v17, v16
	v_dual_mov_b32 v17, v7 :: v_dual_mov_b32 v16, v6
.LBB251_1539:                           ;   in Loop: Header=BB251_803 Depth=1
	s_or_b32 exec_lo, exec_lo, s13
.LBB251_1540:                           ;   in Loop: Header=BB251_803 Depth=1
	s_delay_alu instid0(SALU_CYCLE_1)
	s_or_b32 exec_lo, exec_lo, s12
.LBB251_1541:                           ;   in Loop: Header=BB251_803 Depth=1
	s_delay_alu instid0(SALU_CYCLE_1) | instskip(NEXT) | instid1(SALU_CYCLE_1)
	s_or_b32 exec_lo, exec_lo, s10
	s_mov_b32 s12, exec_lo
	v_cmpx_lt_u32_e32 0xffffff, v93
	s_cbranch_execz .LBB251_1549
; %bb.1542:                             ;   in Loop: Header=BB251_803 Depth=1
	v_lshrrev_b32_e32 v94, 24, v93
	v_dual_mov_b32 v19, s9 :: v_dual_mov_b32 v18, s8
	s_mov_b32 s13, exec_lo
	s_delay_alu instid0(VALU_DEP_2)
	v_cmpx_ne_u32_e32 0x80, v94
	s_cbranch_execz .LBB251_1548
; %bb.1543:                             ;   in Loop: Header=BB251_803 Depth=1
	s_mov_b32 s10, s8
	v_bfe_u32 v93, v93, 24, 7
	v_dual_mov_b32 v19, s11 :: v_dual_mov_b32 v18, s10
	s_mov_b32 s10, exec_lo
	s_delay_alu instid0(VALU_DEP_2)
	v_cmpx_ne_u32_e32 0x7f, v93
	s_cbranch_execz .LBB251_1547
; %bb.1544:                             ;   in Loop: Header=BB251_803 Depth=1
	v_and_b32_e32 v6, 7, v94
	v_lshrrev_b32_e32 v18, 3, v93
	s_mov_b32 s15, exec_lo
	v_cmpx_gt_u32_e32 8, v93
; %bb.1545:                             ;   in Loop: Header=BB251_803 Depth=1
	s_delay_alu instid0(VALU_DEP_3) | instskip(NEXT) | instid1(VALU_DEP_1)
	v_clz_i32_u32_e32 v18, v6
	v_min_u32_e32 v18, 32, v18
	s_delay_alu instid0(VALU_DEP_1) | instskip(SKIP_1) | instid1(VALU_DEP_2)
	v_subrev_nc_u32_e32 v19, 28, v18
	v_sub_nc_u32_e32 v18, 29, v18
	v_lshlrev_b64 v[104:105], v19, v[6:7]
	s_delay_alu instid0(VALU_DEP_1)
	v_and_b32_e32 v6, 7, v104
; %bb.1546:                             ;   in Loop: Header=BB251_803 Depth=1
	s_or_b32 exec_lo, exec_lo, s15
	v_lshlrev_b32_e32 v19, 24, v94
	s_delay_alu instid0(VALU_DEP_2) | instskip(SKIP_1) | instid1(VALU_DEP_3)
	v_lshlrev_b32_e32 v6, 20, v6
	v_lshl_add_u32 v18, v18, 23, 0x3c000000
	v_and_b32_e32 v19, 0x80000000, v19
	s_delay_alu instid0(VALU_DEP_1)
	v_or3_b32 v19, v6, v19, v18
	v_mov_b32_e32 v18, v7
.LBB251_1547:                           ;   in Loop: Header=BB251_803 Depth=1
	s_or_b32 exec_lo, exec_lo, s10
.LBB251_1548:                           ;   in Loop: Header=BB251_803 Depth=1
	s_delay_alu instid0(SALU_CYCLE_1)
	s_or_b32 exec_lo, exec_lo, s13
.LBB251_1549:                           ;   in Loop: Header=BB251_803 Depth=1
	s_delay_alu instid0(SALU_CYCLE_1) | instskip(SKIP_4) | instid1(VALU_DEP_4)
	s_or_b32 exec_lo, exec_lo, s12
	v_or_b32_e32 v5, v15, v5
	v_or_b32_e32 v4, v14, v4
	;; [unrolled: 1-line block ×4, first 2 shown]
	v_mul_f32_e32 v104, v68, v5
	s_delay_alu instid0(VALU_DEP_4) | instskip(NEXT) | instid1(VALU_DEP_4)
	v_mul_f32_e32 v95, v64, v4
	v_mul_f32_e32 v93, v68, v6
	s_delay_alu instid0(VALU_DEP_4)
	v_mul_f32_e32 v94, v64, v14
	s_and_saveexec_b32 s10, vcc_lo
; %bb.1550:                             ;   in Loop: Header=BB251_803 Depth=1
	v_cmp_lt_i32_e64 s0, v81, v92
	s_delay_alu instid0(VALU_DEP_1) | instskip(SKIP_1) | instid1(VALU_DEP_1)
	v_cndmask_b32_e64 v95, 0, v95, s0
	v_cmp_lt_i32_e64 s0, v83, v92
	v_cndmask_b32_e64 v104, 0, v104, s0
	v_cmp_lt_i32_e64 s0, v82, v92
	s_delay_alu instid0(VALU_DEP_1) | instskip(SKIP_1) | instid1(VALU_DEP_1)
	v_cndmask_b32_e64 v94, 0, v94, s0
	v_cmp_lt_i32_e64 s0, v66, v92
	v_cndmask_b32_e64 v93, 0, v93, s0
; %bb.1551:                             ;   in Loop: Header=BB251_803 Depth=1
	s_or_b32 exec_lo, exec_lo, s10
	flat_load_b32 v105, v[12:13] offset:2816
	v_mov_b32_e32 v14, 0
	v_mov_b32_e32 v15, 0
	s_mov_b32 s10, exec_lo
	s_waitcnt vmcnt(0) lgkmcnt(0)
	v_and_b32_e32 v6, 0xff, v105
	s_delay_alu instid0(VALU_DEP_2) | instskip(NEXT) | instid1(VALU_DEP_2)
	v_dual_mov_b32 v4, v14 :: v_dual_mov_b32 v5, v15
	v_cmpx_ne_u16_e32 0, v6
	s_cbranch_execz .LBB251_1559
; %bb.1552:                             ;   in Loop: Header=BB251_803 Depth=1
	v_bfrev_b32_e32 v4, 1
	v_mov_b32_e32 v5, 0
	s_mov_b32 s12, exec_lo
	v_cmpx_ne_u16_e32 0x80, v6
	s_cbranch_execz .LBB251_1558
; %bb.1553:                             ;   in Loop: Header=BB251_803 Depth=1
	v_mov_b32_e32 v4, 0x7f800001
	v_dual_mov_b32 v5, 0 :: v_dual_and_b32 v16, 0x7f, v105
	s_mov_b32 s13, exec_lo
	s_delay_alu instid0(VALU_DEP_1)
	v_cmpx_ne_u32_e32 0x7f, v16
	s_cbranch_execz .LBB251_1557
; %bb.1554:                             ;   in Loop: Header=BB251_803 Depth=1
	v_and_b32_e32 v6, 7, v105
	v_lshrrev_b32_e32 v4, 3, v16
	s_mov_b32 s15, exec_lo
	v_cmpx_gt_u32_e32 8, v16
; %bb.1555:                             ;   in Loop: Header=BB251_803 Depth=1
	s_delay_alu instid0(VALU_DEP_3) | instskip(NEXT) | instid1(VALU_DEP_1)
	v_clz_i32_u32_e32 v4, v6
	v_min_u32_e32 v4, 32, v4
	s_delay_alu instid0(VALU_DEP_1) | instskip(SKIP_1) | instid1(VALU_DEP_2)
	v_subrev_nc_u32_e32 v5, 28, v4
	v_sub_nc_u32_e32 v4, 29, v4
	v_lshlrev_b64 v[5:6], v5, v[6:7]
	s_delay_alu instid0(VALU_DEP_1)
	v_and_b32_e32 v6, 7, v5
; %bb.1556:                             ;   in Loop: Header=BB251_803 Depth=1
	s_or_b32 exec_lo, exec_lo, s15
	v_lshlrev_b32_e32 v5, 24, v105
	s_delay_alu instid0(VALU_DEP_2) | instskip(SKIP_1) | instid1(VALU_DEP_3)
	v_lshlrev_b32_e32 v6, 20, v6
	v_lshl_add_u32 v4, v4, 23, 0x3c000000
	v_and_b32_e32 v5, 0x80000000, v5
	s_delay_alu instid0(VALU_DEP_1) | instskip(NEXT) | instid1(VALU_DEP_1)
	v_or3_b32 v6, v6, v5, v4
	v_dual_mov_b32 v4, v6 :: v_dual_mov_b32 v5, v7
.LBB251_1557:                           ;   in Loop: Header=BB251_803 Depth=1
	s_or_b32 exec_lo, exec_lo, s13
.LBB251_1558:                           ;   in Loop: Header=BB251_803 Depth=1
	s_delay_alu instid0(SALU_CYCLE_1)
	s_or_b32 exec_lo, exec_lo, s12
.LBB251_1559:                           ;   in Loop: Header=BB251_803 Depth=1
	s_delay_alu instid0(SALU_CYCLE_1) | instskip(SKIP_2) | instid1(VALU_DEP_1)
	s_or_b32 exec_lo, exec_lo, s10
	v_lshrrev_b16 v6, 8, v105
	s_mov_b32 s12, exec_lo
	v_cmpx_ne_u16_e32 0, v6
	s_cbranch_execz .LBB251_1567
; %bb.1560:                             ;   in Loop: Header=BB251_803 Depth=1
	v_dual_mov_b32 v15, s9 :: v_dual_mov_b32 v14, s8
	s_mov_b32 s13, exec_lo
	v_cmpx_ne_u16_e32 0x80, v6
	s_cbranch_execz .LBB251_1566
; %bb.1561:                             ;   in Loop: Header=BB251_803 Depth=1
	s_mov_b32 s10, s8
	v_dual_mov_b32 v15, s11 :: v_dual_and_b32 v6, 0xffff, v6
	v_mov_b32_e32 v14, s10
	s_mov_b32 s10, exec_lo
	s_delay_alu instid0(VALU_DEP_2) | instskip(NEXT) | instid1(VALU_DEP_1)
	v_and_b32_e32 v16, 0x7f, v6
	v_cmpx_ne_u32_e32 0x7f, v16
	s_cbranch_execz .LBB251_1565
; %bb.1562:                             ;   in Loop: Header=BB251_803 Depth=1
	v_and_b32_e32 v6, 7, v6
	v_lshrrev_b32_e32 v14, 3, v16
	s_mov_b32 s15, exec_lo
	v_cmpx_gt_u32_e32 8, v16
; %bb.1563:                             ;   in Loop: Header=BB251_803 Depth=1
	s_delay_alu instid0(VALU_DEP_3) | instskip(NEXT) | instid1(VALU_DEP_1)
	v_clz_i32_u32_e32 v14, v6
	v_min_u32_e32 v14, 32, v14
	s_delay_alu instid0(VALU_DEP_1) | instskip(SKIP_1) | instid1(VALU_DEP_2)
	v_subrev_nc_u32_e32 v15, 28, v14
	v_sub_nc_u32_e32 v14, 29, v14
	v_lshlrev_b64 v[15:16], v15, v[6:7]
	s_delay_alu instid0(VALU_DEP_1)
	v_and_b32_e32 v6, 7, v15
; %bb.1564:                             ;   in Loop: Header=BB251_803 Depth=1
	s_or_b32 exec_lo, exec_lo, s15
	v_lshlrev_b32_e32 v15, 16, v105
	s_delay_alu instid0(VALU_DEP_2) | instskip(SKIP_1) | instid1(VALU_DEP_3)
	v_lshlrev_b32_e32 v6, 20, v6
	v_lshl_add_u32 v14, v14, 23, 0x3c000000
	v_and_b32_e32 v15, 0x80000000, v15
	s_delay_alu instid0(VALU_DEP_1)
	v_or3_b32 v15, v6, v15, v14
	v_mov_b32_e32 v14, v7
.LBB251_1565:                           ;   in Loop: Header=BB251_803 Depth=1
	s_or_b32 exec_lo, exec_lo, s10
.LBB251_1566:                           ;   in Loop: Header=BB251_803 Depth=1
	s_delay_alu instid0(SALU_CYCLE_1)
	s_or_b32 exec_lo, exec_lo, s13
.LBB251_1567:                           ;   in Loop: Header=BB251_803 Depth=1
	s_delay_alu instid0(SALU_CYCLE_1) | instskip(SKIP_4) | instid1(VALU_DEP_2)
	s_or_b32 exec_lo, exec_lo, s12
	v_mov_b32_e32 v18, 0
	v_lshrrev_b32_e32 v106, 16, v105
	v_mov_b32_e32 v19, 0
	s_mov_b32 s10, exec_lo
	v_and_b32_e32 v6, 0xff, v106
	s_delay_alu instid0(VALU_DEP_2) | instskip(NEXT) | instid1(VALU_DEP_2)
	v_dual_mov_b32 v16, v18 :: v_dual_mov_b32 v17, v19
	v_cmpx_ne_u16_e32 0, v6
	s_cbranch_execz .LBB251_1575
; %bb.1568:                             ;   in Loop: Header=BB251_803 Depth=1
	v_bfrev_b32_e32 v16, 1
	v_mov_b32_e32 v17, 0
	s_mov_b32 s12, exec_lo
	v_cmpx_ne_u16_e32 0x80, v6
	s_cbranch_execz .LBB251_1574
; %bb.1569:                             ;   in Loop: Header=BB251_803 Depth=1
	v_mov_b32_e32 v16, 0x7f800001
	v_bfe_u32 v107, v105, 16, 7
	v_mov_b32_e32 v17, 0
	s_mov_b32 s13, exec_lo
	s_delay_alu instid0(VALU_DEP_2)
	v_cmpx_ne_u32_e32 0x7f, v107
	s_cbranch_execz .LBB251_1573
; %bb.1570:                             ;   in Loop: Header=BB251_803 Depth=1
	v_and_b32_e32 v6, 7, v106
	v_lshrrev_b32_e32 v16, 3, v107
	s_mov_b32 s15, exec_lo
	v_cmpx_gt_u32_e32 8, v107
; %bb.1571:                             ;   in Loop: Header=BB251_803 Depth=1
	s_delay_alu instid0(VALU_DEP_3) | instskip(NEXT) | instid1(VALU_DEP_1)
	v_clz_i32_u32_e32 v16, v6
	v_min_u32_e32 v16, 32, v16
	s_delay_alu instid0(VALU_DEP_1) | instskip(SKIP_1) | instid1(VALU_DEP_2)
	v_subrev_nc_u32_e32 v17, 28, v16
	v_sub_nc_u32_e32 v16, 29, v16
	v_lshlrev_b64 v[107:108], v17, v[6:7]
	s_delay_alu instid0(VALU_DEP_1)
	v_and_b32_e32 v6, 7, v107
; %bb.1572:                             ;   in Loop: Header=BB251_803 Depth=1
	s_or_b32 exec_lo, exec_lo, s15
	v_lshlrev_b32_e32 v17, 24, v106
	s_delay_alu instid0(VALU_DEP_2) | instskip(SKIP_1) | instid1(VALU_DEP_3)
	v_lshlrev_b32_e32 v6, 20, v6
	v_lshl_add_u32 v16, v16, 23, 0x3c000000
	v_and_b32_e32 v17, 0x80000000, v17
	s_delay_alu instid0(VALU_DEP_1) | instskip(NEXT) | instid1(VALU_DEP_1)
	v_or3_b32 v6, v6, v17, v16
	v_dual_mov_b32 v17, v7 :: v_dual_mov_b32 v16, v6
.LBB251_1573:                           ;   in Loop: Header=BB251_803 Depth=1
	s_or_b32 exec_lo, exec_lo, s13
.LBB251_1574:                           ;   in Loop: Header=BB251_803 Depth=1
	s_delay_alu instid0(SALU_CYCLE_1)
	s_or_b32 exec_lo, exec_lo, s12
.LBB251_1575:                           ;   in Loop: Header=BB251_803 Depth=1
	s_delay_alu instid0(SALU_CYCLE_1) | instskip(NEXT) | instid1(SALU_CYCLE_1)
	s_or_b32 exec_lo, exec_lo, s10
	s_mov_b32 s12, exec_lo
	v_cmpx_lt_u32_e32 0xffffff, v105
	s_cbranch_execz .LBB251_1583
; %bb.1576:                             ;   in Loop: Header=BB251_803 Depth=1
	v_lshrrev_b32_e32 v106, 24, v105
	v_dual_mov_b32 v19, s9 :: v_dual_mov_b32 v18, s8
	s_mov_b32 s13, exec_lo
	s_delay_alu instid0(VALU_DEP_2)
	v_cmpx_ne_u32_e32 0x80, v106
	s_cbranch_execz .LBB251_1582
; %bb.1577:                             ;   in Loop: Header=BB251_803 Depth=1
	s_mov_b32 s10, s8
	v_bfe_u32 v105, v105, 24, 7
	v_dual_mov_b32 v19, s11 :: v_dual_mov_b32 v18, s10
	s_mov_b32 s10, exec_lo
	s_delay_alu instid0(VALU_DEP_2)
	v_cmpx_ne_u32_e32 0x7f, v105
	s_cbranch_execz .LBB251_1581
; %bb.1578:                             ;   in Loop: Header=BB251_803 Depth=1
	v_and_b32_e32 v6, 7, v106
	v_lshrrev_b32_e32 v18, 3, v105
	s_mov_b32 s15, exec_lo
	v_cmpx_gt_u32_e32 8, v105
; %bb.1579:                             ;   in Loop: Header=BB251_803 Depth=1
	s_delay_alu instid0(VALU_DEP_3) | instskip(NEXT) | instid1(VALU_DEP_1)
	v_clz_i32_u32_e32 v18, v6
	v_min_u32_e32 v18, 32, v18
	s_delay_alu instid0(VALU_DEP_1) | instskip(SKIP_1) | instid1(VALU_DEP_2)
	v_subrev_nc_u32_e32 v19, 28, v18
	v_sub_nc_u32_e32 v18, 29, v18
	v_lshlrev_b64 v[107:108], v19, v[6:7]
	s_delay_alu instid0(VALU_DEP_1)
	v_and_b32_e32 v6, 7, v107
; %bb.1580:                             ;   in Loop: Header=BB251_803 Depth=1
	s_or_b32 exec_lo, exec_lo, s15
	v_lshlrev_b32_e32 v19, 24, v106
	s_delay_alu instid0(VALU_DEP_2) | instskip(SKIP_1) | instid1(VALU_DEP_3)
	v_lshlrev_b32_e32 v6, 20, v6
	v_lshl_add_u32 v18, v18, 23, 0x3c000000
	v_and_b32_e32 v19, 0x80000000, v19
	s_delay_alu instid0(VALU_DEP_1)
	v_or3_b32 v19, v6, v19, v18
	v_mov_b32_e32 v18, v7
.LBB251_1581:                           ;   in Loop: Header=BB251_803 Depth=1
	s_or_b32 exec_lo, exec_lo, s10
.LBB251_1582:                           ;   in Loop: Header=BB251_803 Depth=1
	s_delay_alu instid0(SALU_CYCLE_1)
	s_or_b32 exec_lo, exec_lo, s13
.LBB251_1583:                           ;   in Loop: Header=BB251_803 Depth=1
	s_delay_alu instid0(SALU_CYCLE_1) | instskip(SKIP_4) | instid1(VALU_DEP_4)
	s_or_b32 exec_lo, exec_lo, s12
	v_or_b32_e32 v5, v15, v5
	v_or_b32_e32 v4, v14, v4
	;; [unrolled: 1-line block ×4, first 2 shown]
	v_mul_f32_e32 v106, v68, v5
	s_delay_alu instid0(VALU_DEP_4) | instskip(NEXT) | instid1(VALU_DEP_4)
	v_mul_f32_e32 v105, v64, v4
	v_mul_f32_e32 v18, v68, v6
	s_delay_alu instid0(VALU_DEP_4)
	v_mul_f32_e32 v19, v64, v14
	s_and_saveexec_b32 s10, vcc_lo
; %bb.1584:                             ;   in Loop: Header=BB251_803 Depth=1
	v_cmp_lt_i32_e64 s0, v81, v92
	s_delay_alu instid0(VALU_DEP_1) | instskip(SKIP_1) | instid1(VALU_DEP_1)
	v_cndmask_b32_e64 v105, 0, v105, s0
	v_cmp_lt_i32_e64 s0, v83, v92
	v_cndmask_b32_e64 v106, 0, v106, s0
	v_cmp_lt_i32_e64 s0, v82, v92
	s_delay_alu instid0(VALU_DEP_1) | instskip(SKIP_1) | instid1(VALU_DEP_1)
	v_cndmask_b32_e64 v19, 0, v19, s0
	v_cmp_lt_i32_e64 s0, v66, v92
	v_cndmask_b32_e64 v18, 0, v18, s0
; %bb.1585:                             ;   in Loop: Header=BB251_803 Depth=1
	s_or_b32 exec_lo, exec_lo, s10
	flat_load_b32 v107, v[12:13] offset:2944
	v_mov_b32_e32 v12, 0
	v_mov_b32_e32 v13, 0
	s_mov_b32 s10, exec_lo
	s_waitcnt vmcnt(0) lgkmcnt(0)
	v_and_b32_e32 v6, 0xff, v107
	s_delay_alu instid0(VALU_DEP_2) | instskip(NEXT) | instid1(VALU_DEP_2)
	v_dual_mov_b32 v4, v12 :: v_dual_mov_b32 v5, v13
	v_cmpx_ne_u16_e32 0, v6
	s_cbranch_execz .LBB251_1593
; %bb.1586:                             ;   in Loop: Header=BB251_803 Depth=1
	v_bfrev_b32_e32 v4, 1
	v_mov_b32_e32 v5, 0
	s_mov_b32 s12, exec_lo
	v_cmpx_ne_u16_e32 0x80, v6
	s_cbranch_execz .LBB251_1592
; %bb.1587:                             ;   in Loop: Header=BB251_803 Depth=1
	v_mov_b32_e32 v4, 0x7f800001
	v_dual_mov_b32 v5, 0 :: v_dual_and_b32 v14, 0x7f, v107
	s_mov_b32 s13, exec_lo
	s_delay_alu instid0(VALU_DEP_1)
	v_cmpx_ne_u32_e32 0x7f, v14
	s_cbranch_execz .LBB251_1591
; %bb.1588:                             ;   in Loop: Header=BB251_803 Depth=1
	v_and_b32_e32 v6, 7, v107
	v_lshrrev_b32_e32 v4, 3, v14
	s_mov_b32 s15, exec_lo
	v_cmpx_gt_u32_e32 8, v14
; %bb.1589:                             ;   in Loop: Header=BB251_803 Depth=1
	s_delay_alu instid0(VALU_DEP_3) | instskip(NEXT) | instid1(VALU_DEP_1)
	v_clz_i32_u32_e32 v4, v6
	v_min_u32_e32 v4, 32, v4
	s_delay_alu instid0(VALU_DEP_1) | instskip(SKIP_1) | instid1(VALU_DEP_2)
	v_subrev_nc_u32_e32 v5, 28, v4
	v_sub_nc_u32_e32 v4, 29, v4
	v_lshlrev_b64 v[5:6], v5, v[6:7]
	s_delay_alu instid0(VALU_DEP_1)
	v_and_b32_e32 v6, 7, v5
; %bb.1590:                             ;   in Loop: Header=BB251_803 Depth=1
	s_or_b32 exec_lo, exec_lo, s15
	v_lshlrev_b32_e32 v5, 24, v107
	s_delay_alu instid0(VALU_DEP_2) | instskip(SKIP_1) | instid1(VALU_DEP_3)
	v_lshlrev_b32_e32 v6, 20, v6
	v_lshl_add_u32 v4, v4, 23, 0x3c000000
	v_and_b32_e32 v5, 0x80000000, v5
	s_delay_alu instid0(VALU_DEP_1) | instskip(NEXT) | instid1(VALU_DEP_1)
	v_or3_b32 v6, v6, v5, v4
	v_dual_mov_b32 v4, v6 :: v_dual_mov_b32 v5, v7
.LBB251_1591:                           ;   in Loop: Header=BB251_803 Depth=1
	s_or_b32 exec_lo, exec_lo, s13
.LBB251_1592:                           ;   in Loop: Header=BB251_803 Depth=1
	s_delay_alu instid0(SALU_CYCLE_1)
	s_or_b32 exec_lo, exec_lo, s12
.LBB251_1593:                           ;   in Loop: Header=BB251_803 Depth=1
	s_delay_alu instid0(SALU_CYCLE_1) | instskip(SKIP_2) | instid1(VALU_DEP_1)
	s_or_b32 exec_lo, exec_lo, s10
	v_lshrrev_b16 v6, 8, v107
	s_mov_b32 s12, exec_lo
	v_cmpx_ne_u16_e32 0, v6
	s_cbranch_execz .LBB251_1601
; %bb.1594:                             ;   in Loop: Header=BB251_803 Depth=1
	v_dual_mov_b32 v13, s9 :: v_dual_mov_b32 v12, s8
	s_mov_b32 s13, exec_lo
	v_cmpx_ne_u16_e32 0x80, v6
	s_cbranch_execz .LBB251_1600
; %bb.1595:                             ;   in Loop: Header=BB251_803 Depth=1
	s_mov_b32 s10, s8
	v_dual_mov_b32 v13, s11 :: v_dual_and_b32 v6, 0xffff, v6
	v_mov_b32_e32 v12, s10
	s_mov_b32 s10, exec_lo
	s_delay_alu instid0(VALU_DEP_2) | instskip(NEXT) | instid1(VALU_DEP_1)
	v_and_b32_e32 v14, 0x7f, v6
	v_cmpx_ne_u32_e32 0x7f, v14
	s_cbranch_execz .LBB251_1599
; %bb.1596:                             ;   in Loop: Header=BB251_803 Depth=1
	v_and_b32_e32 v6, 7, v6
	v_lshrrev_b32_e32 v12, 3, v14
	s_mov_b32 s15, exec_lo
	v_cmpx_gt_u32_e32 8, v14
; %bb.1597:                             ;   in Loop: Header=BB251_803 Depth=1
	s_delay_alu instid0(VALU_DEP_3) | instskip(NEXT) | instid1(VALU_DEP_1)
	v_clz_i32_u32_e32 v12, v6
	v_min_u32_e32 v12, 32, v12
	s_delay_alu instid0(VALU_DEP_1) | instskip(SKIP_1) | instid1(VALU_DEP_2)
	v_subrev_nc_u32_e32 v13, 28, v12
	v_sub_nc_u32_e32 v12, 29, v12
	v_lshlrev_b64 v[13:14], v13, v[6:7]
	s_delay_alu instid0(VALU_DEP_1)
	v_and_b32_e32 v6, 7, v13
; %bb.1598:                             ;   in Loop: Header=BB251_803 Depth=1
	s_or_b32 exec_lo, exec_lo, s15
	v_lshlrev_b32_e32 v13, 16, v107
	s_delay_alu instid0(VALU_DEP_2) | instskip(SKIP_1) | instid1(VALU_DEP_3)
	v_lshlrev_b32_e32 v6, 20, v6
	v_lshl_add_u32 v12, v12, 23, 0x3c000000
	v_and_b32_e32 v13, 0x80000000, v13
	s_delay_alu instid0(VALU_DEP_1)
	v_or3_b32 v13, v6, v13, v12
	v_mov_b32_e32 v12, v7
.LBB251_1599:                           ;   in Loop: Header=BB251_803 Depth=1
	s_or_b32 exec_lo, exec_lo, s10
.LBB251_1600:                           ;   in Loop: Header=BB251_803 Depth=1
	s_delay_alu instid0(SALU_CYCLE_1)
	s_or_b32 exec_lo, exec_lo, s13
.LBB251_1601:                           ;   in Loop: Header=BB251_803 Depth=1
	s_delay_alu instid0(SALU_CYCLE_1) | instskip(SKIP_4) | instid1(VALU_DEP_2)
	s_or_b32 exec_lo, exec_lo, s12
	v_mov_b32_e32 v16, 0
	v_lshrrev_b32_e32 v108, 16, v107
	v_mov_b32_e32 v17, 0
	s_mov_b32 s10, exec_lo
	v_and_b32_e32 v6, 0xff, v108
	s_delay_alu instid0(VALU_DEP_2) | instskip(NEXT) | instid1(VALU_DEP_2)
	v_dual_mov_b32 v14, v16 :: v_dual_mov_b32 v15, v17
	v_cmpx_ne_u16_e32 0, v6
	s_cbranch_execz .LBB251_1609
; %bb.1602:                             ;   in Loop: Header=BB251_803 Depth=1
	v_bfrev_b32_e32 v14, 1
	v_mov_b32_e32 v15, 0
	s_mov_b32 s12, exec_lo
	v_cmpx_ne_u16_e32 0x80, v6
	s_cbranch_execz .LBB251_1608
; %bb.1603:                             ;   in Loop: Header=BB251_803 Depth=1
	v_mov_b32_e32 v14, 0x7f800001
	v_bfe_u32 v109, v107, 16, 7
	v_mov_b32_e32 v15, 0
	s_mov_b32 s13, exec_lo
	s_delay_alu instid0(VALU_DEP_2)
	v_cmpx_ne_u32_e32 0x7f, v109
	s_cbranch_execz .LBB251_1607
; %bb.1604:                             ;   in Loop: Header=BB251_803 Depth=1
	v_and_b32_e32 v6, 7, v108
	v_lshrrev_b32_e32 v14, 3, v109
	s_mov_b32 s15, exec_lo
	v_cmpx_gt_u32_e32 8, v109
; %bb.1605:                             ;   in Loop: Header=BB251_803 Depth=1
	s_delay_alu instid0(VALU_DEP_3) | instskip(NEXT) | instid1(VALU_DEP_1)
	v_clz_i32_u32_e32 v14, v6
	v_min_u32_e32 v14, 32, v14
	s_delay_alu instid0(VALU_DEP_1) | instskip(SKIP_1) | instid1(VALU_DEP_2)
	v_subrev_nc_u32_e32 v15, 28, v14
	v_sub_nc_u32_e32 v14, 29, v14
	v_lshlrev_b64 v[109:110], v15, v[6:7]
	s_delay_alu instid0(VALU_DEP_1)
	v_and_b32_e32 v6, 7, v109
; %bb.1606:                             ;   in Loop: Header=BB251_803 Depth=1
	s_or_b32 exec_lo, exec_lo, s15
	v_lshlrev_b32_e32 v15, 24, v108
	s_delay_alu instid0(VALU_DEP_2) | instskip(SKIP_1) | instid1(VALU_DEP_3)
	v_lshlrev_b32_e32 v6, 20, v6
	v_lshl_add_u32 v14, v14, 23, 0x3c000000
	v_and_b32_e32 v15, 0x80000000, v15
	s_delay_alu instid0(VALU_DEP_1) | instskip(NEXT) | instid1(VALU_DEP_1)
	v_or3_b32 v6, v6, v15, v14
	v_dual_mov_b32 v15, v7 :: v_dual_mov_b32 v14, v6
.LBB251_1607:                           ;   in Loop: Header=BB251_803 Depth=1
	s_or_b32 exec_lo, exec_lo, s13
	v_dual_mov_b32 v22, v120 :: v_dual_mov_b32 v109, v122
.LBB251_1608:                           ;   in Loop: Header=BB251_803 Depth=1
	s_or_b32 exec_lo, exec_lo, s12
.LBB251_1609:                           ;   in Loop: Header=BB251_803 Depth=1
	s_delay_alu instid0(SALU_CYCLE_1) | instskip(NEXT) | instid1(SALU_CYCLE_1)
	s_or_b32 exec_lo, exec_lo, s10
	s_mov_b32 s12, exec_lo
	v_cmpx_lt_u32_e32 0xffffff, v107
	s_cbranch_execz .LBB251_1617
; %bb.1610:                             ;   in Loop: Header=BB251_803 Depth=1
	v_lshrrev_b32_e32 v108, 24, v107
	v_dual_mov_b32 v17, s9 :: v_dual_mov_b32 v16, s8
	s_mov_b32 s13, exec_lo
	s_delay_alu instid0(VALU_DEP_2)
	v_cmpx_ne_u32_e32 0x80, v108
	s_cbranch_execz .LBB251_1616
; %bb.1611:                             ;   in Loop: Header=BB251_803 Depth=1
	s_mov_b32 s10, s8
	v_bfe_u32 v107, v107, 24, 7
	v_dual_mov_b32 v17, s11 :: v_dual_mov_b32 v16, s10
	s_mov_b32 s10, exec_lo
	s_delay_alu instid0(VALU_DEP_2)
	v_cmpx_ne_u32_e32 0x7f, v107
	s_cbranch_execz .LBB251_1615
; %bb.1612:                             ;   in Loop: Header=BB251_803 Depth=1
	v_and_b32_e32 v6, 7, v108
	v_lshrrev_b32_e32 v16, 3, v107
	s_mov_b32 s15, exec_lo
	v_cmpx_gt_u32_e32 8, v107
; %bb.1613:                             ;   in Loop: Header=BB251_803 Depth=1
	s_delay_alu instid0(VALU_DEP_3) | instskip(SKIP_1) | instid1(VALU_DEP_2)
	v_clz_i32_u32_e32 v16, v6
	v_mov_b32_e32 v22, v120
	v_min_u32_e32 v16, 32, v16
	s_delay_alu instid0(VALU_DEP_1) | instskip(SKIP_1) | instid1(VALU_DEP_2)
	v_subrev_nc_u32_e32 v17, 28, v16
	v_sub_nc_u32_e32 v16, 29, v16
	v_lshlrev_b64 v[109:110], v17, v[6:7]
	s_delay_alu instid0(VALU_DEP_1)
	v_dual_mov_b32 v109, v122 :: v_dual_and_b32 v6, 7, v109
; %bb.1614:                             ;   in Loop: Header=BB251_803 Depth=1
	s_or_b32 exec_lo, exec_lo, s15
	v_lshlrev_b32_e32 v17, 24, v108
	s_delay_alu instid0(VALU_DEP_2) | instskip(SKIP_1) | instid1(VALU_DEP_3)
	v_lshlrev_b32_e32 v6, 20, v6
	v_lshl_add_u32 v16, v16, 23, 0x3c000000
	v_and_b32_e32 v17, 0x80000000, v17
	s_delay_alu instid0(VALU_DEP_1)
	v_or3_b32 v17, v6, v17, v16
	v_mov_b32_e32 v16, v7
.LBB251_1615:                           ;   in Loop: Header=BB251_803 Depth=1
	s_or_b32 exec_lo, exec_lo, s10
.LBB251_1616:                           ;   in Loop: Header=BB251_803 Depth=1
	s_delay_alu instid0(SALU_CYCLE_1)
	s_or_b32 exec_lo, exec_lo, s13
.LBB251_1617:                           ;   in Loop: Header=BB251_803 Depth=1
	s_delay_alu instid0(SALU_CYCLE_1) | instskip(SKIP_4) | instid1(VALU_DEP_4)
	s_or_b32 exec_lo, exec_lo, s12
	v_or_b32_e32 v5, v13, v5
	v_or_b32_e32 v4, v12, v4
	;; [unrolled: 1-line block ×4, first 2 shown]
	v_mul_f32_e32 v12, v68, v5
	s_delay_alu instid0(VALU_DEP_4) | instskip(NEXT) | instid1(VALU_DEP_4)
	v_mul_f32_e32 v6, v64, v4
	v_mul_f32_e32 v4, v68, v13
	s_delay_alu instid0(VALU_DEP_4)
	v_mul_f32_e32 v5, v64, v14
	s_and_saveexec_b32 s0, vcc_lo
	s_cbranch_execz .LBB251_802
; %bb.1618:                             ;   in Loop: Header=BB251_803 Depth=1
	v_cmp_lt_i32_e32 vcc_lo, v81, v92
	v_cndmask_b32_e32 v6, 0, v6, vcc_lo
	v_cmp_lt_i32_e32 vcc_lo, v83, v92
	v_cndmask_b32_e32 v12, 0, v12, vcc_lo
	;; [unrolled: 2-line block ×4, first 2 shown]
	s_branch .LBB251_802
.LBB251_1619:
	s_or_b32 exec_lo, exec_lo, s5
	v_dual_mov_b32 v0, s6 :: v_dual_mov_b32 v1, s7
.LBB251_1620:
	s_or_b32 exec_lo, exec_lo, s3
	s_delay_alu instid0(VALU_DEP_1)
	v_lshlrev_b64 v[0:1], 2, v[0:1]
	s_getpc_b64 s[6:7]
	s_add_u32 s6, s6, llvm.amdgcn.dynlds.offset.table@rel32@lo+4
	s_addc_u32 s7, s7, llvm.amdgcn.dynlds.offset.table@rel32@hi+12
	s_waitcnt lgkmcnt(0)
	s_waitcnt_vscnt null, 0x0
	s_barrier
	buffer_gl0_inv
	ds_bpermute_b32 v2, v20, v54
	v_add_co_u32 v0, vcc_lo, v0, s6
	v_add_co_ci_u32_e32 v1, vcc_lo, s7, v1, vcc_lo
	ds_bpermute_b32 v69, v20, v25
	ds_bpermute_b32 v3, v20, v53
	;; [unrolled: 1-line block ×3, first 2 shown]
	global_load_b32 v65, v[0:1], off
	ds_bpermute_b32 v1, v20, v55
	ds_bpermute_b32 v0, v20, v52
	;; [unrolled: 1-line block ×20, first 2 shown]
	scratch_load_b32 v70, off, s32 offset:796 ; 4-byte Folded Reload
	s_waitcnt lgkmcnt(19)
	v_dual_add_f32 v1, v55, v1 :: v_dual_add_f32 v2, v54, v2
	v_add_f32_e32 v25, v25, v69
	v_lshrrev_b32_e32 v64, 2, v21
	v_dual_add_f32 v3, v53, v3 :: v_dual_add_f32 v4, v51, v4
	s_waitcnt lgkmcnt(16)
	v_dual_add_f32 v5, v50, v5 :: v_dual_add_f32 v6, v49, v6
	s_waitcnt lgkmcnt(14)
	;; [unrolled: 2-line block ×7, first 2 shown]
	v_add_f32_e32 v24, v24, v20
	ds_bpermute_b32 v28, v111, v2
	v_add_f32_e32 v21, v124, v66
	ds_bpermute_b32 v66, v111, v25
	v_dual_add_f32 v15, v32, v15 :: v_dual_add_f32 v16, v31, v16
	v_dual_add_f32 v17, v30, v17 :: v_dual_add_f32 v18, v29, v18
	ds_bpermute_b32 v27, v111, v1
	ds_bpermute_b32 v29, v111, v3
	;; [unrolled: 1-line block ×15, first 2 shown]
	s_waitcnt lgkmcnt(15)
	v_add_f32_e32 v22, v25, v66
	scratch_load_b32 v25, off, s32 offset:808 ; 4-byte Folded Reload
	ds_bpermute_b32 v51, v111, v17
	ds_bpermute_b32 v53, v111, v19
	;; [unrolled: 1-line block ×3, first 2 shown]
	v_add_f32_e32 v2, v2, v28
	ds_bpermute_b32 v54, v111, v21
	s_waitcnt lgkmcnt(16)
	v_dual_add_f32 v3, v3, v29 :: v_dual_add_f32 v4, v4, v30
	s_waitcnt lgkmcnt(14)
	v_dual_add_f32 v5, v5, v31 :: v_dual_add_f32 v6, v6, v32
	;; [unrolled: 2-line block ×7, first 2 shown]
	v_add_f32_e32 v0, v52, v0
	ds_bpermute_b32 v52, v111, v18
	s_waitcnt lgkmcnt(4)
	v_add_f32_e32 v17, v17, v51
	s_waitcnt lgkmcnt(3)
	v_add_f32_e32 v19, v19, v53
	v_add_f32_e32 v1, v1, v27
	ds_bpermute_b32 v20, v111, v0
	s_waitcnt lgkmcnt(1)
	v_add_f32_e32 v18, v18, v52
	s_waitcnt lgkmcnt(0)
	v_add_f32_e32 v0, v0, v20
	v_dual_add_f32 v20, v21, v54 :: v_dual_add_f32 v21, v26, v55
	v_lshlrev_b32_e32 v26, 2, v64
	s_waitcnt vmcnt(1)
	v_and_b32_e32 v67, 0x3c3, v70
	s_delay_alu instid0(VALU_DEP_1)
	v_cmp_eq_u32_e32 vcc_lo, 64, v67
	ds_bpermute_b32 v67, v111, v24
	s_waitcnt lgkmcnt(0)
	v_add_f32_e32 v24, v24, v67
	s_waitcnt vmcnt(0)
	v_mad_u32_u24 v25, 0x300, v25, v65
	s_and_saveexec_b32 s0, vcc_lo
	s_cbranch_execz .LBB251_1622
; %bb.1621:
	s_delay_alu instid0(VALU_DEP_1)
	v_add3_u32 v27, v25, v26, 0xfffffa00
	ds_store_2addr_b32 v27, v0, v1 offset1:8
	ds_store_2addr_b32 v27, v2, v3 offset0:16 offset1:24
	ds_store_2addr_b32 v27, v4, v5 offset0:32 offset1:40
	;; [unrolled: 1-line block ×11, first 2 shown]
.LBB251_1622:
	s_or_b32 exec_lo, exec_lo, s0
	v_cmp_eq_u32_e32 vcc_lo, 0, v23
	s_mov_b32 s3, exec_lo
	s_waitcnt lgkmcnt(0)
	s_barrier
	buffer_gl0_inv
	v_cmpx_gt_u32_e32 64, v70
	s_cbranch_execz .LBB251_1649
; %bb.1623:
	s_and_saveexec_b32 s0, vcc_lo
	s_cbranch_execnz .LBB251_1681
; %bb.1624:
	s_or_b32 exec_lo, exec_lo, s0
	s_and_saveexec_b32 s0, vcc_lo
	s_cbranch_execnz .LBB251_1682
.LBB251_1625:
	s_or_b32 exec_lo, exec_lo, s0
	s_and_saveexec_b32 s0, vcc_lo
	s_cbranch_execnz .LBB251_1683
.LBB251_1626:
	s_or_b32 exec_lo, exec_lo, s0
	s_and_saveexec_b32 s0, vcc_lo
	s_cbranch_execnz .LBB251_1684
.LBB251_1627:
	s_or_b32 exec_lo, exec_lo, s0
	s_and_saveexec_b32 s0, vcc_lo
	s_cbranch_execnz .LBB251_1685
.LBB251_1628:
	s_or_b32 exec_lo, exec_lo, s0
	s_and_saveexec_b32 s0, vcc_lo
	s_cbranch_execnz .LBB251_1686
.LBB251_1629:
	s_or_b32 exec_lo, exec_lo, s0
	s_and_saveexec_b32 s0, vcc_lo
	s_cbranch_execnz .LBB251_1687
.LBB251_1630:
	s_or_b32 exec_lo, exec_lo, s0
	s_and_saveexec_b32 s0, vcc_lo
	s_cbranch_execnz .LBB251_1688
.LBB251_1631:
	s_or_b32 exec_lo, exec_lo, s0
	s_and_saveexec_b32 s0, vcc_lo
	s_cbranch_execnz .LBB251_1689
.LBB251_1632:
	s_or_b32 exec_lo, exec_lo, s0
	s_and_saveexec_b32 s0, vcc_lo
	s_cbranch_execnz .LBB251_1690
.LBB251_1633:
	s_or_b32 exec_lo, exec_lo, s0
	s_and_saveexec_b32 s0, vcc_lo
	s_cbranch_execnz .LBB251_1691
.LBB251_1634:
	s_or_b32 exec_lo, exec_lo, s0
	s_and_saveexec_b32 s0, vcc_lo
	s_cbranch_execnz .LBB251_1692
.LBB251_1635:
	s_or_b32 exec_lo, exec_lo, s0
	s_and_saveexec_b32 s0, vcc_lo
	s_cbranch_execnz .LBB251_1693
.LBB251_1636:
	s_or_b32 exec_lo, exec_lo, s0
	s_and_saveexec_b32 s0, vcc_lo
	s_cbranch_execnz .LBB251_1694
.LBB251_1637:
	s_or_b32 exec_lo, exec_lo, s0
	s_and_saveexec_b32 s0, vcc_lo
	s_cbranch_execnz .LBB251_1695
.LBB251_1638:
	s_or_b32 exec_lo, exec_lo, s0
	s_and_saveexec_b32 s0, vcc_lo
	s_cbranch_execnz .LBB251_1696
.LBB251_1639:
	s_or_b32 exec_lo, exec_lo, s0
	s_and_saveexec_b32 s0, vcc_lo
	s_cbranch_execnz .LBB251_1697
.LBB251_1640:
	s_or_b32 exec_lo, exec_lo, s0
	s_and_saveexec_b32 s0, vcc_lo
	s_cbranch_execnz .LBB251_1698
.LBB251_1641:
	s_or_b32 exec_lo, exec_lo, s0
	s_and_saveexec_b32 s0, vcc_lo
	s_cbranch_execnz .LBB251_1699
.LBB251_1642:
	s_or_b32 exec_lo, exec_lo, s0
	s_and_saveexec_b32 s0, vcc_lo
	s_cbranch_execnz .LBB251_1700
.LBB251_1643:
	s_or_b32 exec_lo, exec_lo, s0
	s_and_saveexec_b32 s0, vcc_lo
	s_cbranch_execnz .LBB251_1701
.LBB251_1644:
	s_or_b32 exec_lo, exec_lo, s0
	s_and_saveexec_b32 s0, vcc_lo
	s_cbranch_execnz .LBB251_1702
.LBB251_1645:
	s_or_b32 exec_lo, exec_lo, s0
	s_and_saveexec_b32 s0, vcc_lo
	s_cbranch_execnz .LBB251_1703
.LBB251_1646:
	s_or_b32 exec_lo, exec_lo, s0
	s_and_saveexec_b32 s0, vcc_lo
	s_cbranch_execz .LBB251_1648
.LBB251_1647:
	v_lshl_add_u32 v23, v64, 2, v25
	ds_load_b32 v23, v23 offset:736
	s_waitcnt lgkmcnt(0)
	v_add_f32_e32 v24, v23, v24
.LBB251_1648:
	s_or_b32 exec_lo, exec_lo, s0
.LBB251_1649:
	s_delay_alu instid0(SALU_CYCLE_1)
	s_or_b32 exec_lo, exec_lo, s3
	v_and_b32_e32 v23, 0x3e3, v70
	s_mov_b32 s3, exec_lo
	s_barrier
	buffer_gl0_inv
	v_cmpx_eq_u32_e32 32, v23
	s_cbranch_execz .LBB251_1651
; %bb.1650:
	v_add3_u32 v26, v25, v26, 0xfffffd00
	ds_store_2addr_b32 v26, v0, v1 offset1:8
	ds_store_2addr_b32 v26, v2, v3 offset0:16 offset1:24
	ds_store_2addr_b32 v26, v4, v5 offset0:32 offset1:40
	ds_store_2addr_b32 v26, v6, v7 offset0:48 offset1:56
	ds_store_2addr_b32 v26, v8, v9 offset0:64 offset1:72
	ds_store_2addr_b32 v26, v10, v11 offset0:80 offset1:88
	ds_store_2addr_b32 v26, v12, v13 offset0:96 offset1:104
	ds_store_2addr_b32 v26, v14, v15 offset0:112 offset1:120
	ds_store_2addr_b32 v26, v16, v17 offset0:128 offset1:136
	ds_store_2addr_b32 v26, v18, v19 offset0:144 offset1:152
	ds_store_2addr_b32 v26, v20, v21 offset0:160 offset1:168
	ds_store_2addr_b32 v26, v22, v24 offset0:176 offset1:184
.LBB251_1651:
	s_or_b32 exec_lo, exec_lo, s3
	s_delay_alu instid0(SALU_CYCLE_1)
	s_mov_b32 s3, exec_lo
	s_waitcnt lgkmcnt(0)
	s_barrier
	buffer_gl0_inv
	v_cmpx_gt_u32_e32 32, v70
	s_cbranch_execz .LBB251_1678
; %bb.1652:
	v_lshl_add_u32 v25, v64, 2, v25
	s_and_saveexec_b32 s0, vcc_lo
	s_cbranch_execnz .LBB251_1704
; %bb.1653:
	s_or_b32 exec_lo, exec_lo, s0
	s_and_saveexec_b32 s0, vcc_lo
	s_cbranch_execnz .LBB251_1705
.LBB251_1654:
	s_or_b32 exec_lo, exec_lo, s0
	s_and_saveexec_b32 s0, vcc_lo
	s_cbranch_execnz .LBB251_1706
.LBB251_1655:
	s_or_b32 exec_lo, exec_lo, s0
	s_and_saveexec_b32 s0, vcc_lo
	s_cbranch_execnz .LBB251_1707
.LBB251_1656:
	s_or_b32 exec_lo, exec_lo, s0
	s_and_saveexec_b32 s0, vcc_lo
	s_cbranch_execnz .LBB251_1708
.LBB251_1657:
	s_or_b32 exec_lo, exec_lo, s0
	s_and_saveexec_b32 s0, vcc_lo
	s_cbranch_execnz .LBB251_1709
.LBB251_1658:
	s_or_b32 exec_lo, exec_lo, s0
	s_and_saveexec_b32 s0, vcc_lo
	s_cbranch_execnz .LBB251_1710
.LBB251_1659:
	s_or_b32 exec_lo, exec_lo, s0
	s_and_saveexec_b32 s0, vcc_lo
	s_cbranch_execnz .LBB251_1711
.LBB251_1660:
	s_or_b32 exec_lo, exec_lo, s0
	s_and_saveexec_b32 s0, vcc_lo
	s_cbranch_execnz .LBB251_1712
.LBB251_1661:
	s_or_b32 exec_lo, exec_lo, s0
	s_and_saveexec_b32 s0, vcc_lo
	s_cbranch_execnz .LBB251_1713
.LBB251_1662:
	s_or_b32 exec_lo, exec_lo, s0
	s_and_saveexec_b32 s0, vcc_lo
	s_cbranch_execnz .LBB251_1714
.LBB251_1663:
	s_or_b32 exec_lo, exec_lo, s0
	s_and_saveexec_b32 s0, vcc_lo
	s_cbranch_execnz .LBB251_1715
.LBB251_1664:
	s_or_b32 exec_lo, exec_lo, s0
	s_and_saveexec_b32 s0, vcc_lo
	s_cbranch_execnz .LBB251_1716
.LBB251_1665:
	s_or_b32 exec_lo, exec_lo, s0
	s_and_saveexec_b32 s0, vcc_lo
	s_cbranch_execnz .LBB251_1717
.LBB251_1666:
	s_or_b32 exec_lo, exec_lo, s0
	s_and_saveexec_b32 s0, vcc_lo
	s_cbranch_execnz .LBB251_1718
.LBB251_1667:
	s_or_b32 exec_lo, exec_lo, s0
	s_and_saveexec_b32 s0, vcc_lo
	s_cbranch_execnz .LBB251_1719
.LBB251_1668:
	s_or_b32 exec_lo, exec_lo, s0
	s_and_saveexec_b32 s0, vcc_lo
	s_cbranch_execnz .LBB251_1720
.LBB251_1669:
	s_or_b32 exec_lo, exec_lo, s0
	s_and_saveexec_b32 s0, vcc_lo
	s_cbranch_execnz .LBB251_1721
.LBB251_1670:
	s_or_b32 exec_lo, exec_lo, s0
	s_and_saveexec_b32 s0, vcc_lo
	s_cbranch_execnz .LBB251_1722
.LBB251_1671:
	s_or_b32 exec_lo, exec_lo, s0
	s_and_saveexec_b32 s0, vcc_lo
	s_cbranch_execnz .LBB251_1723
.LBB251_1672:
	s_or_b32 exec_lo, exec_lo, s0
	s_and_saveexec_b32 s0, vcc_lo
	s_cbranch_execnz .LBB251_1724
.LBB251_1673:
	s_or_b32 exec_lo, exec_lo, s0
	s_and_saveexec_b32 s0, vcc_lo
	s_cbranch_execnz .LBB251_1725
.LBB251_1674:
	s_or_b32 exec_lo, exec_lo, s0
	s_and_saveexec_b32 s0, vcc_lo
	s_cbranch_execnz .LBB251_1726
.LBB251_1675:
	s_or_b32 exec_lo, exec_lo, s0
	s_and_saveexec_b32 s0, vcc_lo
	s_cbranch_execz .LBB251_1677
.LBB251_1676:
	ds_load_b32 v25, v25 offset:736
	s_waitcnt lgkmcnt(0)
	v_add_f32_e32 v24, v25, v24
.LBB251_1677:
	s_or_b32 exec_lo, exec_lo, s0
.LBB251_1678:
	s_delay_alu instid0(SALU_CYCLE_1)
	s_or_b32 exec_lo, exec_lo, s3
	v_cmp_eq_u32_e32 vcc_lo, 0, v23
	s_barrier
	buffer_gl0_inv
	s_and_b32 exec_lo, exec_lo, vcc_lo
	s_cbranch_execz .LBB251_1680
; %bb.1679:
	s_clause 0x1
	scratch_load_b32 v23, off, s32 offset:816
	scratch_load_b32 v25, off, s32 offset:812
	s_mul_i32 s0, s2, 0xc0
	s_mul_i32 s2, s4, s1
	;; [unrolled: 1-line block ×3, first 2 shown]
	s_ashr_i32 s3, s2, 31
	s_ashr_i32 s5, s4, 31
	s_ashr_i32 s1, s0, 31
	s_lshl_b64 s[2:3], s[2:3], 2
	s_lshl_b64 s[4:5], s[4:5], 2
	;; [unrolled: 1-line block ×3, first 2 shown]
	s_add_u32 s2, s4, s2
	s_addc_u32 s3, s5, s3
	s_add_u32 s0, s2, s0
	s_addc_u32 s1, s3, s1
	s_waitcnt vmcnt(1)
	v_add_co_u32 v23, vcc_lo, s0, v23
	s_waitcnt vmcnt(0)
	v_add_co_ci_u32_e32 v26, vcc_lo, s1, v25, vcc_lo
	s_delay_alu instid0(VALU_DEP_2) | instskip(NEXT) | instid1(VALU_DEP_2)
	v_add_co_u32 v25, vcc_lo, v23, v70
	v_add_co_ci_u32_e32 v26, vcc_lo, 0, v26, vcc_lo
	s_clause 0x17
	flat_store_b32 v[25:26], v0
	flat_store_b32 v[25:26], v1 offset:32
	flat_store_b32 v[25:26], v2 offset:64
	;; [unrolled: 1-line block ×23, first 2 shown]
.LBB251_1680:
	s_or_b32 exec_lo, exec_lo, s20
	s_clause 0x1f
	scratch_load_b32 v191, off, s32
	scratch_load_b32 v190, off, s32 offset:4
	scratch_load_b32 v189, off, s32 offset:8
	;; [unrolled: 1-line block ×31, first 2 shown]
	s_clause 0x1f
	scratch_load_b32 v127, off, s32 offset:128
	scratch_load_b32 v126, off, s32 offset:132
	;; [unrolled: 1-line block ×32, first 2 shown]
	s_clause 0xf
	scratch_load_b32 v63, off, s32 offset:256
	scratch_load_b32 v62, off, s32 offset:260
	;; [unrolled: 1-line block ×16, first 2 shown]
	s_waitcnt vmcnt(0) lgkmcnt(0)
	s_setpc_b64 s[30:31]
.LBB251_1681:
	v_lshl_add_u32 v23, v64, 2, v25
	ds_load_b32 v23, v23
	s_waitcnt lgkmcnt(0)
	v_add_f32_e32 v0, v23, v0
	s_or_b32 exec_lo, exec_lo, s0
	s_and_saveexec_b32 s0, vcc_lo
	s_cbranch_execz .LBB251_1625
.LBB251_1682:
	v_lshl_add_u32 v23, v64, 2, v25
	ds_load_b32 v23, v23 offset:32
	s_waitcnt lgkmcnt(0)
	v_add_f32_e32 v1, v23, v1
	s_or_b32 exec_lo, exec_lo, s0
	s_and_saveexec_b32 s0, vcc_lo
	s_cbranch_execz .LBB251_1626
.LBB251_1683:
	v_lshl_add_u32 v23, v64, 2, v25
	ds_load_b32 v23, v23 offset:64
	s_waitcnt lgkmcnt(0)
	v_add_f32_e32 v2, v23, v2
	s_or_b32 exec_lo, exec_lo, s0
	s_and_saveexec_b32 s0, vcc_lo
	s_cbranch_execz .LBB251_1627
.LBB251_1684:
	v_lshl_add_u32 v23, v64, 2, v25
	ds_load_b32 v23, v23 offset:96
	s_waitcnt lgkmcnt(0)
	v_add_f32_e32 v3, v23, v3
	s_or_b32 exec_lo, exec_lo, s0
	s_and_saveexec_b32 s0, vcc_lo
	s_cbranch_execz .LBB251_1628
.LBB251_1685:
	v_lshl_add_u32 v23, v64, 2, v25
	ds_load_b32 v23, v23 offset:128
	s_waitcnt lgkmcnt(0)
	v_add_f32_e32 v4, v23, v4
	s_or_b32 exec_lo, exec_lo, s0
	s_and_saveexec_b32 s0, vcc_lo
	s_cbranch_execz .LBB251_1629
.LBB251_1686:
	v_lshl_add_u32 v23, v64, 2, v25
	ds_load_b32 v23, v23 offset:160
	s_waitcnt lgkmcnt(0)
	v_add_f32_e32 v5, v23, v5
	s_or_b32 exec_lo, exec_lo, s0
	s_and_saveexec_b32 s0, vcc_lo
	s_cbranch_execz .LBB251_1630
.LBB251_1687:
	v_lshl_add_u32 v23, v64, 2, v25
	ds_load_b32 v23, v23 offset:192
	s_waitcnt lgkmcnt(0)
	v_add_f32_e32 v6, v23, v6
	s_or_b32 exec_lo, exec_lo, s0
	s_and_saveexec_b32 s0, vcc_lo
	s_cbranch_execz .LBB251_1631
.LBB251_1688:
	v_lshl_add_u32 v23, v64, 2, v25
	ds_load_b32 v23, v23 offset:224
	s_waitcnt lgkmcnt(0)
	v_add_f32_e32 v7, v23, v7
	s_or_b32 exec_lo, exec_lo, s0
	s_and_saveexec_b32 s0, vcc_lo
	s_cbranch_execz .LBB251_1632
.LBB251_1689:
	v_lshl_add_u32 v23, v64, 2, v25
	ds_load_b32 v23, v23 offset:256
	s_waitcnt lgkmcnt(0)
	v_add_f32_e32 v8, v23, v8
	s_or_b32 exec_lo, exec_lo, s0
	s_and_saveexec_b32 s0, vcc_lo
	s_cbranch_execz .LBB251_1633
.LBB251_1690:
	v_lshl_add_u32 v23, v64, 2, v25
	ds_load_b32 v23, v23 offset:288
	s_waitcnt lgkmcnt(0)
	v_add_f32_e32 v9, v23, v9
	s_or_b32 exec_lo, exec_lo, s0
	s_and_saveexec_b32 s0, vcc_lo
	s_cbranch_execz .LBB251_1634
.LBB251_1691:
	v_lshl_add_u32 v23, v64, 2, v25
	ds_load_b32 v23, v23 offset:320
	s_waitcnt lgkmcnt(0)
	v_add_f32_e32 v10, v23, v10
	s_or_b32 exec_lo, exec_lo, s0
	s_and_saveexec_b32 s0, vcc_lo
	s_cbranch_execz .LBB251_1635
.LBB251_1692:
	v_lshl_add_u32 v23, v64, 2, v25
	ds_load_b32 v23, v23 offset:352
	s_waitcnt lgkmcnt(0)
	v_add_f32_e32 v11, v23, v11
	s_or_b32 exec_lo, exec_lo, s0
	s_and_saveexec_b32 s0, vcc_lo
	s_cbranch_execz .LBB251_1636
.LBB251_1693:
	v_lshl_add_u32 v23, v64, 2, v25
	ds_load_b32 v23, v23 offset:384
	s_waitcnt lgkmcnt(0)
	v_add_f32_e32 v12, v23, v12
	s_or_b32 exec_lo, exec_lo, s0
	s_and_saveexec_b32 s0, vcc_lo
	s_cbranch_execz .LBB251_1637
.LBB251_1694:
	v_lshl_add_u32 v23, v64, 2, v25
	ds_load_b32 v23, v23 offset:416
	s_waitcnt lgkmcnt(0)
	v_add_f32_e32 v13, v23, v13
	s_or_b32 exec_lo, exec_lo, s0
	s_and_saveexec_b32 s0, vcc_lo
	s_cbranch_execz .LBB251_1638
.LBB251_1695:
	v_lshl_add_u32 v23, v64, 2, v25
	ds_load_b32 v23, v23 offset:448
	s_waitcnt lgkmcnt(0)
	v_add_f32_e32 v14, v23, v14
	s_or_b32 exec_lo, exec_lo, s0
	s_and_saveexec_b32 s0, vcc_lo
	s_cbranch_execz .LBB251_1639
.LBB251_1696:
	v_lshl_add_u32 v23, v64, 2, v25
	ds_load_b32 v23, v23 offset:480
	s_waitcnt lgkmcnt(0)
	v_add_f32_e32 v15, v23, v15
	s_or_b32 exec_lo, exec_lo, s0
	s_and_saveexec_b32 s0, vcc_lo
	s_cbranch_execz .LBB251_1640
.LBB251_1697:
	v_lshl_add_u32 v23, v64, 2, v25
	ds_load_b32 v23, v23 offset:512
	s_waitcnt lgkmcnt(0)
	v_add_f32_e32 v16, v23, v16
	s_or_b32 exec_lo, exec_lo, s0
	s_and_saveexec_b32 s0, vcc_lo
	s_cbranch_execz .LBB251_1641
.LBB251_1698:
	v_lshl_add_u32 v23, v64, 2, v25
	ds_load_b32 v23, v23 offset:544
	s_waitcnt lgkmcnt(0)
	v_add_f32_e32 v17, v23, v17
	s_or_b32 exec_lo, exec_lo, s0
	s_and_saveexec_b32 s0, vcc_lo
	s_cbranch_execz .LBB251_1642
.LBB251_1699:
	v_lshl_add_u32 v23, v64, 2, v25
	ds_load_b32 v23, v23 offset:576
	s_waitcnt lgkmcnt(0)
	v_add_f32_e32 v18, v23, v18
	s_or_b32 exec_lo, exec_lo, s0
	s_and_saveexec_b32 s0, vcc_lo
	s_cbranch_execz .LBB251_1643
.LBB251_1700:
	v_lshl_add_u32 v23, v64, 2, v25
	ds_load_b32 v23, v23 offset:608
	s_waitcnt lgkmcnt(0)
	v_add_f32_e32 v19, v23, v19
	s_or_b32 exec_lo, exec_lo, s0
	s_and_saveexec_b32 s0, vcc_lo
	s_cbranch_execz .LBB251_1644
.LBB251_1701:
	v_lshl_add_u32 v23, v64, 2, v25
	ds_load_b32 v23, v23 offset:640
	s_waitcnt lgkmcnt(0)
	v_add_f32_e32 v20, v23, v20
	s_or_b32 exec_lo, exec_lo, s0
	s_and_saveexec_b32 s0, vcc_lo
	s_cbranch_execz .LBB251_1645
.LBB251_1702:
	v_lshl_add_u32 v23, v64, 2, v25
	ds_load_b32 v23, v23 offset:672
	s_waitcnt lgkmcnt(0)
	v_add_f32_e32 v21, v23, v21
	s_or_b32 exec_lo, exec_lo, s0
	s_and_saveexec_b32 s0, vcc_lo
	s_cbranch_execz .LBB251_1646
.LBB251_1703:
	v_lshl_add_u32 v23, v64, 2, v25
	ds_load_b32 v23, v23 offset:704
	s_waitcnt lgkmcnt(0)
	v_add_f32_e32 v22, v23, v22
	s_or_b32 exec_lo, exec_lo, s0
	s_and_saveexec_b32 s0, vcc_lo
	s_cbranch_execnz .LBB251_1647
	s_branch .LBB251_1648
.LBB251_1704:
	ds_load_b32 v26, v25
	s_waitcnt lgkmcnt(0)
	v_add_f32_e32 v0, v26, v0
	s_or_b32 exec_lo, exec_lo, s0
	s_and_saveexec_b32 s0, vcc_lo
	s_cbranch_execz .LBB251_1654
.LBB251_1705:
	ds_load_b32 v26, v25 offset:32
	s_waitcnt lgkmcnt(0)
	v_add_f32_e32 v1, v26, v1
	s_or_b32 exec_lo, exec_lo, s0
	s_and_saveexec_b32 s0, vcc_lo
	s_cbranch_execz .LBB251_1655
.LBB251_1706:
	ds_load_b32 v26, v25 offset:64
	s_waitcnt lgkmcnt(0)
	v_add_f32_e32 v2, v26, v2
	s_or_b32 exec_lo, exec_lo, s0
	s_and_saveexec_b32 s0, vcc_lo
	s_cbranch_execz .LBB251_1656
.LBB251_1707:
	ds_load_b32 v26, v25 offset:96
	s_waitcnt lgkmcnt(0)
	v_add_f32_e32 v3, v26, v3
	s_or_b32 exec_lo, exec_lo, s0
	s_and_saveexec_b32 s0, vcc_lo
	s_cbranch_execz .LBB251_1657
.LBB251_1708:
	ds_load_b32 v26, v25 offset:128
	s_waitcnt lgkmcnt(0)
	v_add_f32_e32 v4, v26, v4
	s_or_b32 exec_lo, exec_lo, s0
	s_and_saveexec_b32 s0, vcc_lo
	s_cbranch_execz .LBB251_1658
.LBB251_1709:
	ds_load_b32 v26, v25 offset:160
	s_waitcnt lgkmcnt(0)
	v_add_f32_e32 v5, v26, v5
	s_or_b32 exec_lo, exec_lo, s0
	s_and_saveexec_b32 s0, vcc_lo
	s_cbranch_execz .LBB251_1659
.LBB251_1710:
	ds_load_b32 v26, v25 offset:192
	s_waitcnt lgkmcnt(0)
	v_add_f32_e32 v6, v26, v6
	s_or_b32 exec_lo, exec_lo, s0
	s_and_saveexec_b32 s0, vcc_lo
	s_cbranch_execz .LBB251_1660
.LBB251_1711:
	ds_load_b32 v26, v25 offset:224
	s_waitcnt lgkmcnt(0)
	v_add_f32_e32 v7, v26, v7
	s_or_b32 exec_lo, exec_lo, s0
	s_and_saveexec_b32 s0, vcc_lo
	s_cbranch_execz .LBB251_1661
.LBB251_1712:
	ds_load_b32 v26, v25 offset:256
	s_waitcnt lgkmcnt(0)
	v_add_f32_e32 v8, v26, v8
	s_or_b32 exec_lo, exec_lo, s0
	s_and_saveexec_b32 s0, vcc_lo
	s_cbranch_execz .LBB251_1662
.LBB251_1713:
	ds_load_b32 v26, v25 offset:288
	s_waitcnt lgkmcnt(0)
	v_add_f32_e32 v9, v26, v9
	s_or_b32 exec_lo, exec_lo, s0
	s_and_saveexec_b32 s0, vcc_lo
	s_cbranch_execz .LBB251_1663
.LBB251_1714:
	ds_load_b32 v26, v25 offset:320
	s_waitcnt lgkmcnt(0)
	v_add_f32_e32 v10, v26, v10
	s_or_b32 exec_lo, exec_lo, s0
	s_and_saveexec_b32 s0, vcc_lo
	s_cbranch_execz .LBB251_1664
.LBB251_1715:
	ds_load_b32 v26, v25 offset:352
	s_waitcnt lgkmcnt(0)
	v_add_f32_e32 v11, v26, v11
	s_or_b32 exec_lo, exec_lo, s0
	s_and_saveexec_b32 s0, vcc_lo
	s_cbranch_execz .LBB251_1665
.LBB251_1716:
	ds_load_b32 v26, v25 offset:384
	s_waitcnt lgkmcnt(0)
	v_add_f32_e32 v12, v26, v12
	s_or_b32 exec_lo, exec_lo, s0
	s_and_saveexec_b32 s0, vcc_lo
	s_cbranch_execz .LBB251_1666
.LBB251_1717:
	ds_load_b32 v26, v25 offset:416
	s_waitcnt lgkmcnt(0)
	v_add_f32_e32 v13, v26, v13
	s_or_b32 exec_lo, exec_lo, s0
	s_and_saveexec_b32 s0, vcc_lo
	s_cbranch_execz .LBB251_1667
.LBB251_1718:
	ds_load_b32 v26, v25 offset:448
	s_waitcnt lgkmcnt(0)
	v_add_f32_e32 v14, v26, v14
	s_or_b32 exec_lo, exec_lo, s0
	s_and_saveexec_b32 s0, vcc_lo
	s_cbranch_execz .LBB251_1668
.LBB251_1719:
	ds_load_b32 v26, v25 offset:480
	s_waitcnt lgkmcnt(0)
	v_add_f32_e32 v15, v26, v15
	s_or_b32 exec_lo, exec_lo, s0
	s_and_saveexec_b32 s0, vcc_lo
	s_cbranch_execz .LBB251_1669
.LBB251_1720:
	ds_load_b32 v26, v25 offset:512
	s_waitcnt lgkmcnt(0)
	v_add_f32_e32 v16, v26, v16
	s_or_b32 exec_lo, exec_lo, s0
	s_and_saveexec_b32 s0, vcc_lo
	s_cbranch_execz .LBB251_1670
.LBB251_1721:
	ds_load_b32 v26, v25 offset:544
	s_waitcnt lgkmcnt(0)
	v_add_f32_e32 v17, v26, v17
	s_or_b32 exec_lo, exec_lo, s0
	s_and_saveexec_b32 s0, vcc_lo
	s_cbranch_execz .LBB251_1671
.LBB251_1722:
	ds_load_b32 v26, v25 offset:576
	s_waitcnt lgkmcnt(0)
	v_add_f32_e32 v18, v26, v18
	s_or_b32 exec_lo, exec_lo, s0
	s_and_saveexec_b32 s0, vcc_lo
	s_cbranch_execz .LBB251_1672
.LBB251_1723:
	ds_load_b32 v26, v25 offset:608
	s_waitcnt lgkmcnt(0)
	v_add_f32_e32 v19, v26, v19
	s_or_b32 exec_lo, exec_lo, s0
	s_and_saveexec_b32 s0, vcc_lo
	s_cbranch_execz .LBB251_1673
.LBB251_1724:
	ds_load_b32 v26, v25 offset:640
	s_waitcnt lgkmcnt(0)
	v_add_f32_e32 v20, v26, v20
	s_or_b32 exec_lo, exec_lo, s0
	s_and_saveexec_b32 s0, vcc_lo
	s_cbranch_execz .LBB251_1674
.LBB251_1725:
	ds_load_b32 v26, v25 offset:672
	s_waitcnt lgkmcnt(0)
	v_add_f32_e32 v21, v26, v21
	s_or_b32 exec_lo, exec_lo, s0
	s_and_saveexec_b32 s0, vcc_lo
	s_cbranch_execz .LBB251_1675
.LBB251_1726:
	ds_load_b32 v26, v25 offset:704
	s_waitcnt lgkmcnt(0)
	v_add_f32_e32 v22, v26, v22
	s_or_b32 exec_lo, exec_lo, s0
	s_and_saveexec_b32 s0, vcc_lo
	s_cbranch_execnz .LBB251_1676
	s_branch .LBB251_1677
.Lfunc_end251:
	.size	_ZN4vllm22paged_attention_kernelIfhLi192ELi16ELi128ELNS_18Fp8KVCacheDataTypeE1ELb0ELi512EEEvPfS2_PT_PKS3_PKT0_S9_ifPKiSB_iPKfiiiSD_SD_iiiii, .Lfunc_end251-_ZN4vllm22paged_attention_kernelIfhLi192ELi16ELi128ELNS_18Fp8KVCacheDataTypeE1ELb0ELi512EEEvPfS2_PT_PKS3_PKT0_S9_ifPKiSB_iPKfiiiSD_SD_iiiii
                                        ; -- End function
	.section	.AMDGPU.csdata,"",@progbits
; Function info:
; codeLenInByte = 60252
; NumSgprs: 35
; NumVgprs: 192
; ScratchSize: 900
; MemoryBound: 0
	.section	.text._ZN4vllm25paged_attention_v2_kernelIfhLi192ELi16ELi128ELNS_18Fp8KVCacheDataTypeE1ELb0ELi512EEEvPfS2_PT_PKS3_PKT0_S9_ifPKiSB_iPKfiiiSD_SD_iiiii,"axG",@progbits,_ZN4vllm25paged_attention_v2_kernelIfhLi192ELi16ELi128ELNS_18Fp8KVCacheDataTypeE1ELb0ELi512EEEvPfS2_PT_PKS3_PKT0_S9_ifPKiSB_iPKfiiiSD_SD_iiiii,comdat
	.protected	_ZN4vllm25paged_attention_v2_kernelIfhLi192ELi16ELi128ELNS_18Fp8KVCacheDataTypeE1ELb0ELi512EEEvPfS2_PT_PKS3_PKT0_S9_ifPKiSB_iPKfiiiSD_SD_iiiii ; -- Begin function _ZN4vllm25paged_attention_v2_kernelIfhLi192ELi16ELi128ELNS_18Fp8KVCacheDataTypeE1ELb0ELi512EEEvPfS2_PT_PKS3_PKT0_S9_ifPKiSB_iPKfiiiSD_SD_iiiii
	.globl	_ZN4vllm25paged_attention_v2_kernelIfhLi192ELi16ELi128ELNS_18Fp8KVCacheDataTypeE1ELb0ELi512EEEvPfS2_PT_PKS3_PKT0_S9_ifPKiSB_iPKfiiiSD_SD_iiiii
	.p2align	8
	.type	_ZN4vllm25paged_attention_v2_kernelIfhLi192ELi16ELi128ELNS_18Fp8KVCacheDataTypeE1ELb0ELi512EEEvPfS2_PT_PKS3_PKT0_S9_ifPKiSB_iPKfiiiSD_SD_iiiii,@function
_ZN4vllm25paged_attention_v2_kernelIfhLi192ELi16ELi128ELNS_18Fp8KVCacheDataTypeE1ELb0ELi512EEEvPfS2_PT_PKS3_PKT0_S9_ifPKiSB_iPKfiiiSD_SD_iiiii: ; @_ZN4vllm25paged_attention_v2_kernelIfhLi192ELi16ELi128ELNS_18Fp8KVCacheDataTypeE1ELb0ELi512EEEvPfS2_PT_PKS3_PKT0_S9_ifPKiSB_iPKfiiiSD_SD_iiiii
; %bb.0:
	s_clause 0x5
	s_load_b256 s[24:31], s[0:1], 0x0
	s_load_b256 s[16:23], s[0:1], 0x20
	s_load_b64 s[2:3], s[0:1], 0x40
	s_load_b64 s[4:5], s[0:1], 0x50
	s_load_b32 s6, s[0:1], 0x48
	s_load_b256 s[36:43], s[0:1], 0x58
	v_mov_b32_e32 v31, v0
	s_add_u32 s8, s0, 0x90
	s_mov_b32 s12, s13
	s_addc_u32 s9, s1, 0
	s_mov_b32 s13, s14
	s_mov_b32 s14, s15
	s_movk_i32 s15, 0x43
	s_mov_b32 s32, 0
	s_getpc_b64 s[0:1]
	s_add_u32 s0, s0, _ZN4vllm22paged_attention_kernelIfhLi192ELi16ELi128ELNS_18Fp8KVCacheDataTypeE1ELb0ELi512EEEvPfS2_PT_PKS3_PKT0_S9_ifPKiSB_iPKfiiiSD_SD_iiiii@rel32@lo+4
	s_addc_u32 s1, s1, _ZN4vllm22paged_attention_kernelIfhLi192ELi16ELi128ELNS_18Fp8KVCacheDataTypeE1ELb0ELi512EEEvPfS2_PT_PKS3_PKT0_S9_ifPKiSB_iPKfiiiSD_SD_iiiii@rel32@hi+12
	s_waitcnt lgkmcnt(0)
	v_dual_mov_b32 v0, s24 :: v_dual_mov_b32 v1, s25
	v_dual_mov_b32 v2, s26 :: v_dual_mov_b32 v3, s27
	;; [unrolled: 1-line block ×14, first 2 shown]
	s_swappc_b64 s[30:31], s[0:1]
	s_endpgm
	.section	.rodata,"a",@progbits
	.p2align	6, 0x0
	.amdhsa_kernel _ZN4vllm25paged_attention_v2_kernelIfhLi192ELi16ELi128ELNS_18Fp8KVCacheDataTypeE1ELb0ELi512EEEvPfS2_PT_PKS3_PKT0_S9_ifPKiSB_iPKfiiiSD_SD_iiiii
		.amdhsa_group_segment_fixed_size 800
		.amdhsa_private_segment_fixed_size 900
		.amdhsa_kernarg_size 400
		.amdhsa_user_sgpr_count 13
		.amdhsa_user_sgpr_dispatch_ptr 0
		.amdhsa_user_sgpr_queue_ptr 0
		.amdhsa_user_sgpr_kernarg_segment_ptr 1
		.amdhsa_user_sgpr_dispatch_id 0
		.amdhsa_user_sgpr_private_segment_size 0
		.amdhsa_wavefront_size32 1
		.amdhsa_uses_dynamic_stack 0
		.amdhsa_enable_private_segment 1
		.amdhsa_system_sgpr_workgroup_id_x 1
		.amdhsa_system_sgpr_workgroup_id_y 1
		.amdhsa_system_sgpr_workgroup_id_z 1
		.amdhsa_system_sgpr_workgroup_info 0
		.amdhsa_system_vgpr_workitem_id 0
		.amdhsa_next_free_vgpr 192
		.amdhsa_next_free_sgpr 44
		.amdhsa_reserve_vcc 1
		.amdhsa_float_round_mode_32 0
		.amdhsa_float_round_mode_16_64 0
		.amdhsa_float_denorm_mode_32 3
		.amdhsa_float_denorm_mode_16_64 3
		.amdhsa_dx10_clamp 1
		.amdhsa_ieee_mode 1
		.amdhsa_fp16_overflow 0
		.amdhsa_workgroup_processor_mode 1
		.amdhsa_memory_ordered 1
		.amdhsa_forward_progress 0
		.amdhsa_shared_vgpr_count 0
		.amdhsa_exception_fp_ieee_invalid_op 0
		.amdhsa_exception_fp_denorm_src 0
		.amdhsa_exception_fp_ieee_div_zero 0
		.amdhsa_exception_fp_ieee_overflow 0
		.amdhsa_exception_fp_ieee_underflow 0
		.amdhsa_exception_fp_ieee_inexact 0
		.amdhsa_exception_int_div_zero 0
	.end_amdhsa_kernel
	.section	.text._ZN4vllm25paged_attention_v2_kernelIfhLi192ELi16ELi128ELNS_18Fp8KVCacheDataTypeE1ELb0ELi512EEEvPfS2_PT_PKS3_PKT0_S9_ifPKiSB_iPKfiiiSD_SD_iiiii,"axG",@progbits,_ZN4vllm25paged_attention_v2_kernelIfhLi192ELi16ELi128ELNS_18Fp8KVCacheDataTypeE1ELb0ELi512EEEvPfS2_PT_PKS3_PKT0_S9_ifPKiSB_iPKfiiiSD_SD_iiiii,comdat
.Lfunc_end252:
	.size	_ZN4vllm25paged_attention_v2_kernelIfhLi192ELi16ELi128ELNS_18Fp8KVCacheDataTypeE1ELb0ELi512EEEvPfS2_PT_PKS3_PKT0_S9_ifPKiSB_iPKfiiiSD_SD_iiiii, .Lfunc_end252-_ZN4vllm25paged_attention_v2_kernelIfhLi192ELi16ELi128ELNS_18Fp8KVCacheDataTypeE1ELb0ELi512EEEvPfS2_PT_PKS3_PKT0_S9_ifPKiSB_iPKfiiiSD_SD_iiiii
                                        ; -- End function
	.section	.AMDGPU.csdata,"",@progbits
; Kernel info:
; codeLenInByte = 232
; NumSgprs: 46
; NumVgprs: 192
; ScratchSize: 900
; MemoryBound: 0
; FloatMode: 240
; IeeeMode: 1
; LDSByteSize: 800 bytes/workgroup (compile time only)
; SGPRBlocks: 5
; VGPRBlocks: 23
; NumSGPRsForWavesPerEU: 46
; NumVGPRsForWavesPerEU: 192
; Occupancy: 8
; WaveLimiterHint : 1
; COMPUTE_PGM_RSRC2:SCRATCH_EN: 1
; COMPUTE_PGM_RSRC2:USER_SGPR: 13
; COMPUTE_PGM_RSRC2:TRAP_HANDLER: 0
; COMPUTE_PGM_RSRC2:TGID_X_EN: 1
; COMPUTE_PGM_RSRC2:TGID_Y_EN: 1
; COMPUTE_PGM_RSRC2:TGID_Z_EN: 1
; COMPUTE_PGM_RSRC2:TIDIG_COMP_CNT: 0
	.text
	.p2align	2                               ; -- Begin function _ZN4vllm22paged_attention_kernelIfhLi256ELi16ELi128ELNS_18Fp8KVCacheDataTypeE1ELb0ELi512EEEvPfS2_PT_PKS3_PKT0_S9_ifPKiSB_iPKfiiiSD_SD_iiiii
	.type	_ZN4vllm22paged_attention_kernelIfhLi256ELi16ELi128ELNS_18Fp8KVCacheDataTypeE1ELb0ELi512EEEvPfS2_PT_PKS3_PKT0_S9_ifPKiSB_iPKfiiiSD_SD_iiiii,@function
_ZN4vllm22paged_attention_kernelIfhLi256ELi16ELi128ELNS_18Fp8KVCacheDataTypeE1ELb0ELi512EEEvPfS2_PT_PKS3_PKT0_S9_ifPKiSB_iPKfiiiSD_SD_iiiii: ; @_ZN4vllm22paged_attention_kernelIfhLi256ELi16ELi128ELNS_18Fp8KVCacheDataTypeE1ELb0ELi512EEEvPfS2_PT_PKS3_PKT0_S9_ifPKiSB_iPKfiiiSD_SD_iiiii
; %bb.0:
	s_waitcnt vmcnt(0) expcnt(0) lgkmcnt(0)
	s_clause 0x1f
	scratch_store_b32 off, v40, s32 offset:316
	; meta instruction
	scratch_store_b32 off, v41, s32 offset:312
	; meta instruction
	;; [unrolled: 2-line block ×31, first 2 shown]
	scratch_store_b32 off, v95, s32 offset:192
	s_clause 0x1f
	scratch_store_b32 off, v104, s32 offset:188
	; meta instruction
	scratch_store_b32 off, v105, s32 offset:184
	; meta instruction
	;; [unrolled: 2-line block ×31, first 2 shown]
	scratch_store_b32 off, v159, s32 offset:64
	s_clause 0xf
	scratch_store_b32 off, v168, s32 offset:60
	; meta instruction
	scratch_store_b32 off, v169, s32 offset:56
	; meta instruction
	;; [unrolled: 2-line block ×15, first 2 shown]
	scratch_store_b32 off, v191, s32
	s_mov_b32 s10, s13
	s_ashr_i32 s11, s13, 31
	s_clause 0x4
	scratch_store_b64 off, v[24:25], s32 offset:640
	scratch_store_b32 off, v22, s32 offset:632
	scratch_store_b32 off, v13, s32 offset:1180
	;; [unrolled: 1-line block ×4, first 2 shown]
	s_lshl_b64 s[0:1], s[10:11], 2
	v_mov_b32_e32 v24, v0
	v_add_co_u32 v0, vcc_lo, v16, s0
	v_mov_b32_e32 v22, v1
	v_add_co_ci_u32_e32 v1, vcc_lo, s1, v17, vcc_lo
	v_dual_mov_b32 v25, v3 :: v_dual_mov_b32 v28, v2
	s_lshl_b32 s11, s14, 9
	flat_load_b32 v98, v[0:1]
	s_mov_b32 s20, exec_lo
	s_waitcnt vmcnt(0) lgkmcnt(0)
	v_cmpx_lt_i32_e64 s11, v98
	s_cbranch_execz .LBB253_2224
; %bb.1:
	v_sub_nc_u32_e32 v0, 0, v12
	s_clause 0x1
	s_load_b32 s0, s[8:9], 0x10
	s_load_b32 s1, s[8:9], 0x0
	s_mov_b32 s6, s15
	v_max_i32_e32 v0, v12, v0
	s_delay_alu instid0(VALU_DEP_1) | instskip(SKIP_1) | instid1(VALU_DEP_2)
	v_cvt_f32_u32_e32 v1, v0
	v_sub_nc_u32_e32 v2, 0, v0
	v_rcp_iflag_f32_e32 v1, v1
	s_waitcnt lgkmcnt(0)
	s_lshr_b32 s0, s0, 16
	s_delay_alu instid0(SALU_CYCLE_1)
	s_cmp_lg_u32 s0, 0
	s_cselect_b32 s0, -1, 0
	s_waitcnt_depctr 0xfff
	v_mul_f32_e32 v1, 0x4f7ffffe, v1
	s_cmp_lg_u32 s0, 0
	s_addc_u32 s15, s1, 0
	s_mov_b32 s1, exec_lo
	s_delay_alu instid0(VALU_DEP_1) | instskip(SKIP_1) | instid1(VALU_DEP_1)
	v_cvt_u32_f32_e32 v1, v1
	s_abs_i32 s0, s15
	v_mul_lo_u32 v2, v2, v1
	s_delay_alu instid0(VALU_DEP_1) | instskip(NEXT) | instid1(VALU_DEP_1)
	v_mul_hi_u32 v2, v1, v2
	v_add_nc_u32_e32 v1, v1, v2
	s_delay_alu instid0(VALU_DEP_1) | instskip(NEXT) | instid1(VALU_DEP_1)
	v_mul_hi_u32 v1, s0, v1
	v_mul_lo_u32 v2, v1, v0
	v_add_nc_u32_e32 v3, 1, v1
	s_delay_alu instid0(VALU_DEP_2) | instskip(SKIP_1) | instid1(VALU_DEP_1)
	v_sub_nc_u32_e32 v2, s0, v2
	s_abs_i32 s0, s12
	v_sub_nc_u32_e32 v4, v2, v0
	v_cmp_ge_u32_e32 vcc_lo, v2, v0
	s_delay_alu instid0(VALU_DEP_2) | instskip(SKIP_1) | instid1(VALU_DEP_2)
	v_dual_cndmask_b32 v1, v1, v3 :: v_dual_cndmask_b32 v2, v2, v4
	v_xor_b32_e32 v3, s15, v12
	v_add_nc_u32_e32 v4, 1, v1
	s_delay_alu instid0(VALU_DEP_3) | instskip(NEXT) | instid1(VALU_DEP_3)
	v_cmp_ge_u32_e32 vcc_lo, v2, v0
	v_ashrrev_i32_e32 v3, 31, v3
	s_delay_alu instid0(VALU_DEP_3) | instskip(NEXT) | instid1(VALU_DEP_1)
	v_cndmask_b32_e32 v0, v1, v4, vcc_lo
	v_xor_b32_e32 v0, v0, v3
	s_delay_alu instid0(VALU_DEP_1) | instskip(NEXT) | instid1(VALU_DEP_1)
	v_sub_nc_u32_e32 v2, v0, v3
	v_sub_nc_u32_e32 v0, 0, v2
	s_delay_alu instid0(VALU_DEP_1) | instskip(NEXT) | instid1(VALU_DEP_1)
	v_max_i32_e32 v3, v2, v0
	v_cvt_f32_u32_e32 v0, v3
	v_sub_nc_u32_e32 v1, 0, v3
	s_delay_alu instid0(VALU_DEP_2) | instskip(SKIP_2) | instid1(VALU_DEP_1)
	v_rcp_iflag_f32_e32 v0, v0
	s_waitcnt_depctr 0xfff
	v_mul_f32_e32 v0, 0x4f7ffffe, v0
	v_cvt_u32_f32_e32 v0, v0
	s_delay_alu instid0(VALU_DEP_1) | instskip(NEXT) | instid1(VALU_DEP_1)
	v_mul_lo_u32 v1, v1, v0
	v_mul_hi_u32 v1, v0, v1
	s_delay_alu instid0(VALU_DEP_1) | instskip(NEXT) | instid1(VALU_DEP_1)
	v_add_nc_u32_e32 v4, v0, v1
	v_mad_u64_u32 v[0:1], null, s0, v4, 0
	v_mov_b32_e32 v0, 0
	scratch_store_b32 off, v0, s32 offset:1184 ; 4-byte Folded Spill
	v_cmpx_ne_u64_e32 0, v[19:20]
	s_cbranch_execz .LBB253_3
; %bb.2:
	s_ashr_i32 s13, s12, 31
	s_delay_alu instid0(SALU_CYCLE_1) | instskip(NEXT) | instid1(SALU_CYCLE_1)
	s_lshl_b64 s[2:3], s[12:13], 2
	v_add_co_u32 v4, vcc_lo, v19, s2
	v_add_co_ci_u32_e32 v5, vcc_lo, s3, v20, vcc_lo
	flat_load_b32 v0, v[4:5]
	s_waitcnt vmcnt(0) lgkmcnt(0)
	scratch_store_b32 off, v0, s32 offset:1184 ; 4-byte Folded Spill
.LBB253_3:
	s_or_b32 exec_lo, exec_lo, s1
	v_and_b32_e32 v12, 0x3ff, v31
	v_ashrrev_i32_e32 v0, 31, v2
	s_ashr_i32 s1, s12, 31
	s_lshl_b32 s4, s12, 8
	s_mov_b32 s2, exec_lo
	v_and_b32_e32 v2, 1, v12
	v_lshlrev_b32_e32 v17, 2, v12
	v_cmpx_gt_u32_e32 0x80, v12
	s_cbranch_execz .LBB253_5
; %bb.4:
	v_mul_lo_u32 v4, s10, v21
	s_ashr_i32 s5, s4, 31
	v_lshlrev_b32_e32 v13, 3, v12
	s_lshl_b64 s[16:17], s[4:5], 2
	s_delay_alu instid0(VALU_DEP_2) | instskip(NEXT) | instid1(VALU_DEP_1)
	v_ashrrev_i32_e32 v5, 31, v4
	v_lshlrev_b64 v[4:5], 2, v[4:5]
	s_delay_alu instid0(VALU_DEP_1) | instskip(NEXT) | instid1(VALU_DEP_2)
	v_add_co_u32 v4, vcc_lo, v6, v4
	v_add_co_ci_u32_e32 v5, vcc_lo, v7, v5, vcc_lo
	v_and_b32_e32 v6, 0xff8, v17
	s_delay_alu instid0(VALU_DEP_3) | instskip(NEXT) | instid1(VALU_DEP_3)
	v_add_co_u32 v4, vcc_lo, v4, s16
	v_add_co_ci_u32_e32 v5, vcc_lo, s17, v5, vcc_lo
	s_delay_alu instid0(VALU_DEP_3) | instskip(NEXT) | instid1(VALU_DEP_3)
	v_lshl_add_u32 v6, v2, 9, v6
	v_add_co_u32 v4, vcc_lo, v4, v13
	s_delay_alu instid0(VALU_DEP_3)
	v_add_co_ci_u32_e32 v5, vcc_lo, 0, v5, vcc_lo
	flat_load_b64 v[4:5], v[4:5]
	s_waitcnt vmcnt(0) lgkmcnt(0)
	ds_store_b64 v6, v[4:5]
.LBB253_5:
	s_or_b32 exec_lo, exec_lo, s2
	v_mul_lo_u32 v4, v1, v3
	v_add_nc_u32_e32 v7, 1, v1
	v_lshrrev_b32_e32 v13, 5, v12
	s_lshl_b32 s13, s14, 5
	scratch_store_b32 off, v13, s32 offset:1188 ; 4-byte Folded Spill
	v_sub_nc_u32_e32 v4, s0, v4
	s_add_i32 s0, s13, 32
	s_delay_alu instid0(VALU_DEP_1) | instskip(SKIP_1) | instid1(VALU_DEP_2)
	v_sub_nc_u32_e32 v16, v4, v3
	v_cmp_ge_u32_e32 vcc_lo, v4, v3
	v_dual_cndmask_b32 v4, v4, v16 :: v_dual_add_nc_u32 v5, 15, v98
	s_delay_alu instid0(VALU_DEP_1)
	v_ashrrev_i32_e32 v6, 31, v5
	v_cndmask_b32_e32 v1, v1, v7, vcc_lo
	v_xor_b32_e32 v7, s1, v0
	v_mul_lo_u32 v0, s10, v18
	v_cmp_ge_u32_e32 vcc_lo, v4, v3
	v_lshrrev_b32_e32 v6, 28, v6
                                        ; implicit-def: $sgpr1
                                        ; implicit-def: $vgpr16
	s_delay_alu instid0(VALU_DEP_1) | instskip(SKIP_1) | instid1(VALU_DEP_2)
	v_add_nc_u32_e32 v5, v5, v6
	v_add_nc_u32_e32 v6, 1, v1
	v_ashrrev_i32_e32 v18, 4, v5
	s_delay_alu instid0(VALU_DEP_2) | instskip(SKIP_2) | instid1(VALU_DEP_4)
	v_cndmask_b32_e32 v1, v1, v6, vcc_lo
	v_or_b32_e32 v5, s13, v13
	v_mbcnt_lo_u32_b32 v13, -1, 0
	v_min_i32_e32 v6, s0, v18
	s_delay_alu instid0(VALU_DEP_4)
	v_xor_b32_e32 v3, v1, v7
	v_ashrrev_i32_e32 v1, 31, v0
	v_mov_b32_e32 v4, v5
	s_clause 0x1
	scratch_store_b64 off, v[4:5], s32 offset:320
	scratch_store_b32 off, v6, s32 offset:636
	v_cmp_ge_i32_e64 s0, v5, v6
	v_sub_nc_u32_e32 v3, v3, v7
	s_waitcnt lgkmcnt(0)
	s_waitcnt_vscnt null, 0x0
	s_barrier
	buffer_gl0_inv
	s_and_saveexec_b32 s2, s0
	s_delay_alu instid0(SALU_CYCLE_1)
	s_xor_b32 s2, exec_lo, s2
	s_cbranch_execz .LBB253_7
; %bb.6:
	v_mbcnt_lo_u32_b32 v13, -1, 0
	v_mov_b32_e32 v16, 32
                                        ; implicit-def: $vgpr2
	s_mov_b32 s1, 0xff7fffff
                                        ; kill: killed $vgpr2
                                        ; implicit-def: $vgpr2
                                        ; kill: killed $vgpr2
                                        ; implicit-def: $vgpr2
	scratch_store_b64 off, v[2:3], s32 offset:640 ; 8-byte Folded Spill
                                        ; implicit-def: $vgpr8
                                        ; implicit-def: $vgpr9
                                        ; implicit-def: $vgpr2
.LBB253_7:
	s_or_saveexec_b32 s21, s2
	s_clause 0x1
	s_load_b32 s22, s[8:9], 0x14
	s_load_b32 s5, s[8:9], 0x8
	v_mul_lo_u32 v21, v3, v23
	scratch_load_b64 v[3:4], off, s32 offset:320 ; 8-byte Folded Reload
	v_lshlrev_b64 v[19:20], 2, v[0:1]
	v_mov_b32_e32 v5, s1
	scratch_store_b32 off, v12, s32 offset:1192 ; 4-byte Folded Spill
	v_ashrrev_i32_e32 v84, 31, v21
	s_waitcnt vmcnt(0)
	v_ashrrev_i32_e32 v4, 31, v3
	scratch_store_b64 off, v[3:4], s32 offset:320 ; 8-byte Folded Spill
	s_xor_b32 exec_lo, exec_lo, s21
	s_cbranch_execz .LBB253_1037
; %bb.8:
	v_lshlrev_b32_e32 v5, 9, v2
	v_add_co_u32 v0, vcc_lo, v8, v21
	s_clause 0x8
	scratch_store_b32 off, v18, s32 offset:1248
	scratch_store_b32 off, v28, s32 offset:1244
	;; [unrolled: 1-line block ×8, first 2 shown]
	scratch_store_b64 off, v[26:27], s32 offset:1212
	v_add_co_ci_u32_e32 v1, vcc_lo, v9, v84, vcc_lo
	ds_load_b128 v[6:9], v5
	v_bfe_u32 v3, v12, 1, 4
	v_mov_b32_e32 v87, 0
	s_ashr_i32 s7, s6, 31
	s_getpc_b64 s[2:3]
	s_add_u32 s2, s2, llvm.amdgcn.dynlds.offset.table@rel32@lo+4
	s_addc_u32 s3, s3, llvm.amdgcn.dynlds.offset.table@rel32@hi+12
	s_lshl_b64 s[16:17], s[6:7], 2
	v_lshlrev_b32_e32 v4, 4, v3
	s_add_u32 s16, s16, s2
	s_mov_b32 s8, 0
	s_brev_b32 s9, 1
	s_addc_u32 s17, s17, s3
	v_add_co_u32 v0, vcc_lo, v0, v4
	v_add_co_ci_u32_e32 v1, vcc_lo, 0, v1, vcc_lo
	v_lshlrev_b32_e32 v4, 2, v3
	s_mov_b32 s19, 0x7f800001
	s_mov_b32 s7, s8
	scratch_store_b64 off, v[0:1], s32 offset:652 ; 8-byte Folded Spill
	v_lshlrev_b32_e32 v0, 1, v2
	s_waitcnt lgkmcnt(0)
	scratch_store_b128 off, v[6:9], s32 offset:664 ; 16-byte Folded Spill
	ds_load_b128 v[6:9], v5 offset:16
	s_clause 0x2
	scratch_store_b64 off, v[19:20], s32 offset:1252
	scratch_store_b32 off, v13, s32 offset:1268
	scratch_store_b32 off, v0, s32 offset:660
	v_xor_b32_e32 v0, 1, v13
	s_delay_alu instid0(VALU_DEP_1) | instskip(SKIP_2) | instid1(VALU_DEP_2)
	v_cmp_gt_i32_e32 vcc_lo, 32, v0
	v_cndmask_b32_e32 v0, v13, v0, vcc_lo
	v_cmp_eq_u32_e32 vcc_lo, 0, v2
	v_lshlrev_b32_e32 v0, 2, v0
	s_waitcnt lgkmcnt(0)
	scratch_store_b128 off, v[6:9], s32 offset:680 ; 16-byte Folded Spill
	ds_load_b128 v[6:9], v5 offset:32
	scratch_store_b32 off, v0, s32 offset:856 ; 4-byte Folded Spill
	scratch_load_b32 v0, off, s32 offset:1184 ; 4-byte Folded Reload
	s_waitcnt lgkmcnt(0)
	scratch_store_b128 off, v[6:9], s32 offset:696 ; 16-byte Folded Spill
	ds_load_b128 v[6:9], v5 offset:48
	scratch_store_b32 off, v21, s32 offset:1260 ; 4-byte Folded Spill
	s_waitcnt lgkmcnt(0)
	scratch_store_b128 off, v[6:9], s32 offset:712 ; 16-byte Folded Spill
	ds_load_b128 v[6:9], v5 offset:64
	scratch_store_b32 off, v84, s32 offset:1264 ; 4-byte Folded Spill
	s_waitcnt lgkmcnt(0)
	scratch_store_b128 off, v[6:9], s32 offset:728 ; 16-byte Folded Spill
	ds_load_b128 v[6:9], v5 offset:80
	s_waitcnt lgkmcnt(0)
	scratch_store_b128 off, v[6:9], s32 offset:744 ; 16-byte Folded Spill
	ds_load_b128 v[6:9], v5 offset:96
	s_waitcnt lgkmcnt(0)
	scratch_store_b128 off, v[6:9], s32 offset:760 ; 16-byte Folded Spill
	ds_load_b128 v[6:9], v5 offset:112
	s_waitcnt lgkmcnt(0)
	scratch_store_b128 off, v[6:9], s32 offset:776 ; 16-byte Folded Spill
	ds_load_b128 v[6:9], v5 offset:128
	s_waitcnt lgkmcnt(0)
	scratch_store_b128 off, v[6:9], s32 offset:792 ; 16-byte Folded Spill
	ds_load_b128 v[6:9], v5 offset:144
	s_waitcnt lgkmcnt(0)
	scratch_store_b128 off, v[6:9], s32 offset:808 ; 16-byte Folded Spill
	ds_load_b128 v[6:9], v5 offset:160
	s_waitcnt lgkmcnt(0)
	scratch_store_b128 off, v[6:9], s32 offset:824 ; 16-byte Folded Spill
	ds_load_b128 v[6:9], v5 offset:176
	s_waitcnt lgkmcnt(0)
	scratch_store_b128 off, v[6:9], s32 offset:840 ; 16-byte Folded Spill
	ds_load_b128 v[6:9], v5 offset:192
	s_waitcnt lgkmcnt(0)
	scratch_store_b128 off, v[6:9], s32 offset:860 ; 16-byte Folded Spill
	ds_load_b128 v[6:9], v5 offset:208
	s_waitcnt lgkmcnt(0)
	scratch_store_b128 off, v[6:9], s32 offset:876 ; 16-byte Folded Spill
	scratch_load_b64 v[6:7], off, s32 offset:320 ; 8-byte Folded Reload
	s_waitcnt vmcnt(1)
	v_cmp_neq_f32_e64 s1, 0, v0
	s_waitcnt vmcnt(0)
	v_lshlrev_b64 v[0:1], 2, v[6:7]
	ds_load_b128 v[7:10], v5 offset:224
	v_add_co_u32 v0, s2, v19, v0
	s_delay_alu instid0(VALU_DEP_1) | instskip(NEXT) | instid1(VALU_DEP_2)
	v_add_co_ci_u32_e64 v1, s2, v20, v1, s2
	v_add_co_u32 v122, s2, v14, v0
	s_delay_alu instid0(VALU_DEP_1)
	v_add_co_ci_u32_e64 v123, s2, v15, v1, s2
	s_waitcnt lgkmcnt(0)
	scratch_store_b128 off, v[7:10], s32 offset:892 ; 16-byte Folded Spill
	ds_load_b128 v[7:10], v5 offset:240
	s_waitcnt lgkmcnt(0)
	scratch_store_b128 off, v[7:10], s32 offset:908 ; 16-byte Folded Spill
	ds_load_b128 v[7:10], v5 offset:256
	;; [unrolled: 3-line block ×17, first 2 shown]
	scratch_load_b32 v5, off, s32 offset:1188 ; 4-byte Folded Reload
	s_waitcnt vmcnt(0)
	v_lshlrev_b32_e32 v2, 4, v5
	s_delay_alu instid0(VALU_DEP_1)
	v_add3_u32 v0, s11, v2, v3
	s_waitcnt lgkmcnt(0)
	s_clause 0x1
	scratch_store_b128 off, v[7:10], s32 offset:1164
	scratch_store_b32 off, v0, s32 offset:624
	v_lshl_or_b32 v0, v5, 6, v4
	s_clause 0x1
	scratch_store_b32 off, v15, s32 offset:1204
	scratch_store_b32 off, v0, s32 offset:628
	v_mov_b32_e32 v0, 0xff7fffff
	scratch_store_b32 off, v14, s32 offset:1208 ; 4-byte Folded Spill
	v_mov_b32_e32 v14, v6
	scratch_store_b32 off, v0, s32 offset:648 ; 4-byte Folded Spill
	s_branch .LBB253_10
.LBB253_9:                              ;   in Loop: Header=BB253_10 Depth=1
	s_or_b32 exec_lo, exec_lo, s3
	scratch_load_b32 v0, off, s32 offset:636 ; 4-byte Folded Reload
	v_add_nc_u32_e32 v14, 4, v14
	v_add_co_u32 v122, s3, v122, 16
	s_delay_alu instid0(VALU_DEP_1) | instskip(SKIP_1) | instid1(VALU_DEP_3)
	v_add_co_ci_u32_e64 v123, s3, 0, v123, s3
	s_waitcnt vmcnt(0)
	v_cmp_ge_i32_e64 s2, v14, v0
	scratch_load_b32 v0, off, s32 offset:624 ; 4-byte Folded Reload
	s_or_b32 s7, s2, s7
	s_waitcnt vmcnt(0)
	v_add_nc_u32_e32 v0, 64, v0
	scratch_store_b32 off, v0, s32 offset:624 ; 4-byte Folded Spill
	scratch_load_b32 v0, off, s32 offset:628 ; 4-byte Folded Reload
	s_waitcnt vmcnt(0)
	v_add_nc_u32_e32 v0, 0x100, v0
	scratch_store_b32 off, v0, s32 offset:628 ; 4-byte Folded Spill
	s_and_not1_b32 exec_lo, exec_lo, s7
	s_cbranch_execz .LBB253_1036
.LBB253_10:                             ; =>This Inner Loop Header: Depth=1
	flat_load_b32 v2, v[122:123]
	s_clause 0x1
	scratch_load_b32 v3, off, s32 offset:632
	scratch_load_b64 v[4:5], off, s32 offset:652
	s_mov_b32 s3, exec_lo
	s_waitcnt vmcnt(0) lgkmcnt(0)
	v_mad_i64_i32 v[0:1], null, v2, v3, v[4:5]
	scratch_load_b32 v2, off, s32 offset:660 ; 4-byte Folded Reload
	s_waitcnt vmcnt(0)
	v_add_co_u32 v156, s2, v0, v2
	s_delay_alu instid0(VALU_DEP_1)
	v_add_co_ci_u32_e64 v157, s2, 0, v1, s2
	flat_load_u16 v0, v[156:157]
	scratch_load_b64 v[1:2], off, s32 offset:640 ; 8-byte Folded Reload
	s_waitcnt vmcnt(0)
	flat_load_b32 v15, v[1:2]
	s_waitcnt lgkmcnt(1)
	v_dual_mov_b32 v2, 0 :: v_dual_and_b32 v1, 0xff, v0
	v_dual_mov_b32 v3, 0 :: v_dual_and_b32 v0, 0xffff, v0
	s_clause 0x1
	scratch_store_b64 off, v[2:3], s32 offset:328
	scratch_store_b64 off, v[2:3], s32 offset:336
	v_cmpx_ne_u16_e32 0, v1
	s_cbranch_execz .LBB253_18
; %bb.11:                               ;   in Loop: Header=BB253_10 Depth=1
	v_bfrev_b32_e32 v2, 1
	v_and_b32_e32 v1, 0xff, v0
	v_mov_b32_e32 v3, 0
	s_mov_b32 s18, exec_lo
	scratch_store_b64 off, v[2:3], s32 offset:336 ; 8-byte Folded Spill
	v_cmpx_ne_u16_e32 0x80, v1
	s_cbranch_execz .LBB253_17
; %bb.12:                               ;   in Loop: Header=BB253_10 Depth=1
	v_mov_b32_e32 v3, 0x7f800001
	v_and_b32_e32 v2, 0x7f, v0
	v_mov_b32_e32 v4, 0
	s_mov_b32 s23, exec_lo
	scratch_store_b64 off, v[3:4], s32 offset:336 ; 8-byte Folded Spill
	v_cmpx_ne_u32_e32 0x7f, v2
	s_cbranch_execz .LBB253_16
; %bb.13:                               ;   in Loop: Header=BB253_10 Depth=1
	v_and_b32_e32 v86, 7, v0
	v_lshrrev_b32_e32 v1, 3, v2
	s_mov_b32 s24, exec_lo
	v_cmpx_gt_u32_e32 8, v2
; %bb.14:                               ;   in Loop: Header=BB253_10 Depth=1
	s_delay_alu instid0(VALU_DEP_3) | instskip(NEXT) | instid1(VALU_DEP_1)
	v_clz_i32_u32_e32 v1, v86
	v_min_u32_e32 v1, 32, v1
	s_delay_alu instid0(VALU_DEP_1) | instskip(SKIP_1) | instid1(VALU_DEP_2)
	v_subrev_nc_u32_e32 v2, 28, v1
	v_sub_nc_u32_e32 v1, 29, v1
	v_lshlrev_b64 v[2:3], v2, v[86:87]
	s_delay_alu instid0(VALU_DEP_1)
	v_and_b32_e32 v86, 7, v2
; %bb.15:                               ;   in Loop: Header=BB253_10 Depth=1
	s_or_b32 exec_lo, exec_lo, s24
	v_lshlrev_b32_e32 v2, 24, v0
	s_delay_alu instid0(VALU_DEP_2) | instskip(SKIP_1) | instid1(VALU_DEP_3)
	v_lshlrev_b32_e32 v3, 20, v86
	v_lshl_add_u32 v1, v1, 23, 0x3c000000
	v_and_b32_e32 v2, 0x80000000, v2
	s_delay_alu instid0(VALU_DEP_1)
	v_or3_b32 v86, v3, v2, v1
	scratch_store_b64 off, v[86:87], s32 offset:336 ; 8-byte Folded Spill
.LBB253_16:                             ;   in Loop: Header=BB253_10 Depth=1
	s_or_b32 exec_lo, exec_lo, s23
.LBB253_17:                             ;   in Loop: Header=BB253_10 Depth=1
	s_delay_alu instid0(SALU_CYCLE_1)
	s_or_b32 exec_lo, exec_lo, s18
.LBB253_18:                             ;   in Loop: Header=BB253_10 Depth=1
	s_delay_alu instid0(SALU_CYCLE_1) | instskip(SKIP_2) | instid1(VALU_DEP_1)
	s_or_b32 exec_lo, exec_lo, s3
	v_lshrrev_b16 v1, 8, v0
	s_mov_b32 s3, exec_lo
	v_cmpx_ne_u16_e32 0, v1
	s_cbranch_execz .LBB253_26
; %bb.19:                               ;   in Loop: Header=BB253_10 Depth=1
	v_dual_mov_b32 v2, s8 :: v_dual_mov_b32 v3, s9
	s_mov_b32 s23, exec_lo
	scratch_store_b64 off, v[2:3], s32 offset:328 ; 8-byte Folded Spill
	v_cmpx_ne_u16_e32 0x80, v1
	s_cbranch_execz .LBB253_25
; %bb.20:                               ;   in Loop: Header=BB253_10 Depth=1
	s_mov_b32 s18, s8
	v_and_b32_e32 v1, 0xffff, v1
	v_dual_mov_b32 v3, s18 :: v_dual_mov_b32 v4, s19
	s_mov_b32 s18, exec_lo
	s_delay_alu instid0(VALU_DEP_2)
	v_and_b32_e32 v2, 0x7f, v1
	scratch_store_b64 off, v[3:4], s32 offset:328 ; 8-byte Folded Spill
	v_cmpx_ne_u32_e32 0x7f, v2
	s_cbranch_execz .LBB253_24
; %bb.21:                               ;   in Loop: Header=BB253_10 Depth=1
	v_and_b32_e32 v86, 7, v1
	v_lshrrev_b32_e32 v1, 3, v2
	s_mov_b32 s24, exec_lo
	v_cmpx_gt_u32_e32 8, v2
; %bb.22:                               ;   in Loop: Header=BB253_10 Depth=1
	s_delay_alu instid0(VALU_DEP_3) | instskip(NEXT) | instid1(VALU_DEP_1)
	v_clz_i32_u32_e32 v1, v86
	v_min_u32_e32 v1, 32, v1
	s_delay_alu instid0(VALU_DEP_1) | instskip(SKIP_1) | instid1(VALU_DEP_2)
	v_subrev_nc_u32_e32 v2, 28, v1
	v_sub_nc_u32_e32 v1, 29, v1
	v_lshlrev_b64 v[2:3], v2, v[86:87]
	s_delay_alu instid0(VALU_DEP_1)
	v_and_b32_e32 v86, 7, v2
; %bb.23:                               ;   in Loop: Header=BB253_10 Depth=1
	s_or_b32 exec_lo, exec_lo, s24
	v_lshlrev_b32_e32 v0, 16, v0
	s_delay_alu instid0(VALU_DEP_2) | instskip(SKIP_1) | instid1(VALU_DEP_3)
	v_lshlrev_b32_e32 v2, 20, v86
	v_lshl_add_u32 v1, v1, 23, 0x3c000000
	v_and_b32_e32 v0, 0x80000000, v0
	s_delay_alu instid0(VALU_DEP_1)
	v_or3_b32 v1, v2, v0, v1
	v_mov_b32_e32 v0, v87
	scratch_store_b64 off, v[0:1], s32 offset:328 ; 8-byte Folded Spill
.LBB253_24:                             ;   in Loop: Header=BB253_10 Depth=1
	s_or_b32 exec_lo, exec_lo, s18
.LBB253_25:                             ;   in Loop: Header=BB253_10 Depth=1
	s_delay_alu instid0(SALU_CYCLE_1)
	s_or_b32 exec_lo, exec_lo, s23
.LBB253_26:                             ;   in Loop: Header=BB253_10 Depth=1
	s_delay_alu instid0(SALU_CYCLE_1)
	s_or_b32 exec_lo, exec_lo, s3
	flat_load_u16 v0, v[156:157] offset:4
	v_mov_b32_e32 v2, 0
	v_mov_b32_e32 v3, 0
	s_mov_b32 s3, exec_lo
	s_waitcnt vmcnt(0) lgkmcnt(0)
	v_and_b32_e32 v1, 0xff, v0
	v_and_b32_e32 v0, 0xffff, v0
	s_clause 0x1
	scratch_store_b64 off, v[2:3], s32 offset:344
	scratch_store_b64 off, v[2:3], s32 offset:352
	v_cmpx_ne_u16_e32 0, v1
	s_cbranch_execz .LBB253_34
; %bb.27:                               ;   in Loop: Header=BB253_10 Depth=1
	v_bfrev_b32_e32 v2, 1
	v_and_b32_e32 v1, 0xff, v0
	v_mov_b32_e32 v3, 0
	s_mov_b32 s18, exec_lo
	scratch_store_b64 off, v[2:3], s32 offset:352 ; 8-byte Folded Spill
	v_cmpx_ne_u16_e32 0x80, v1
	s_cbranch_execz .LBB253_33
; %bb.28:                               ;   in Loop: Header=BB253_10 Depth=1
	v_mov_b32_e32 v3, 0x7f800001
	v_and_b32_e32 v2, 0x7f, v0
	v_mov_b32_e32 v4, 0
	s_mov_b32 s23, exec_lo
	scratch_store_b64 off, v[3:4], s32 offset:352 ; 8-byte Folded Spill
	v_cmpx_ne_u32_e32 0x7f, v2
	s_cbranch_execz .LBB253_32
; %bb.29:                               ;   in Loop: Header=BB253_10 Depth=1
	v_and_b32_e32 v86, 7, v0
	v_lshrrev_b32_e32 v1, 3, v2
	s_mov_b32 s24, exec_lo
	v_cmpx_gt_u32_e32 8, v2
; %bb.30:                               ;   in Loop: Header=BB253_10 Depth=1
	s_delay_alu instid0(VALU_DEP_3) | instskip(NEXT) | instid1(VALU_DEP_1)
	v_clz_i32_u32_e32 v1, v86
	v_min_u32_e32 v1, 32, v1
	s_delay_alu instid0(VALU_DEP_1) | instskip(SKIP_1) | instid1(VALU_DEP_2)
	v_subrev_nc_u32_e32 v2, 28, v1
	v_sub_nc_u32_e32 v1, 29, v1
	v_lshlrev_b64 v[2:3], v2, v[86:87]
	s_delay_alu instid0(VALU_DEP_1)
	v_and_b32_e32 v86, 7, v2
; %bb.31:                               ;   in Loop: Header=BB253_10 Depth=1
	s_or_b32 exec_lo, exec_lo, s24
	v_lshlrev_b32_e32 v2, 24, v0
	s_delay_alu instid0(VALU_DEP_2) | instskip(SKIP_1) | instid1(VALU_DEP_3)
	v_lshlrev_b32_e32 v3, 20, v86
	v_lshl_add_u32 v1, v1, 23, 0x3c000000
	v_and_b32_e32 v2, 0x80000000, v2
	s_delay_alu instid0(VALU_DEP_1)
	v_or3_b32 v86, v3, v2, v1
	scratch_store_b64 off, v[86:87], s32 offset:352 ; 8-byte Folded Spill
.LBB253_32:                             ;   in Loop: Header=BB253_10 Depth=1
	s_or_b32 exec_lo, exec_lo, s23
.LBB253_33:                             ;   in Loop: Header=BB253_10 Depth=1
	s_delay_alu instid0(SALU_CYCLE_1)
	s_or_b32 exec_lo, exec_lo, s18
.LBB253_34:                             ;   in Loop: Header=BB253_10 Depth=1
	s_delay_alu instid0(SALU_CYCLE_1) | instskip(SKIP_2) | instid1(VALU_DEP_1)
	s_or_b32 exec_lo, exec_lo, s3
	v_lshrrev_b16 v1, 8, v0
	s_mov_b32 s3, exec_lo
	v_cmpx_ne_u16_e32 0, v1
	s_cbranch_execz .LBB253_42
; %bb.35:                               ;   in Loop: Header=BB253_10 Depth=1
	v_dual_mov_b32 v2, s8 :: v_dual_mov_b32 v3, s9
	s_mov_b32 s23, exec_lo
	scratch_store_b64 off, v[2:3], s32 offset:344 ; 8-byte Folded Spill
	v_cmpx_ne_u16_e32 0x80, v1
	s_cbranch_execz .LBB253_41
; %bb.36:                               ;   in Loop: Header=BB253_10 Depth=1
	s_mov_b32 s18, s8
	v_and_b32_e32 v1, 0xffff, v1
	v_dual_mov_b32 v3, s18 :: v_dual_mov_b32 v4, s19
	s_mov_b32 s18, exec_lo
	s_delay_alu instid0(VALU_DEP_2)
	v_and_b32_e32 v2, 0x7f, v1
	scratch_store_b64 off, v[3:4], s32 offset:344 ; 8-byte Folded Spill
	v_cmpx_ne_u32_e32 0x7f, v2
	s_cbranch_execz .LBB253_40
; %bb.37:                               ;   in Loop: Header=BB253_10 Depth=1
	v_and_b32_e32 v86, 7, v1
	v_lshrrev_b32_e32 v1, 3, v2
	s_mov_b32 s24, exec_lo
	v_cmpx_gt_u32_e32 8, v2
; %bb.38:                               ;   in Loop: Header=BB253_10 Depth=1
	s_delay_alu instid0(VALU_DEP_3) | instskip(NEXT) | instid1(VALU_DEP_1)
	v_clz_i32_u32_e32 v1, v86
	v_min_u32_e32 v1, 32, v1
	s_delay_alu instid0(VALU_DEP_1) | instskip(SKIP_1) | instid1(VALU_DEP_2)
	v_subrev_nc_u32_e32 v2, 28, v1
	v_sub_nc_u32_e32 v1, 29, v1
	v_lshlrev_b64 v[2:3], v2, v[86:87]
	s_delay_alu instid0(VALU_DEP_1)
	v_and_b32_e32 v86, 7, v2
; %bb.39:                               ;   in Loop: Header=BB253_10 Depth=1
	s_or_b32 exec_lo, exec_lo, s24
	v_lshlrev_b32_e32 v0, 16, v0
	s_delay_alu instid0(VALU_DEP_2) | instskip(SKIP_1) | instid1(VALU_DEP_3)
	v_lshlrev_b32_e32 v2, 20, v86
	v_lshl_add_u32 v1, v1, 23, 0x3c000000
	v_and_b32_e32 v0, 0x80000000, v0
	s_delay_alu instid0(VALU_DEP_1)
	v_or3_b32 v1, v2, v0, v1
	v_mov_b32_e32 v0, v87
	scratch_store_b64 off, v[0:1], s32 offset:344 ; 8-byte Folded Spill
.LBB253_40:                             ;   in Loop: Header=BB253_10 Depth=1
	s_or_b32 exec_lo, exec_lo, s18
.LBB253_41:                             ;   in Loop: Header=BB253_10 Depth=1
	s_delay_alu instid0(SALU_CYCLE_1)
	s_or_b32 exec_lo, exec_lo, s23
.LBB253_42:                             ;   in Loop: Header=BB253_10 Depth=1
	s_delay_alu instid0(SALU_CYCLE_1)
	s_or_b32 exec_lo, exec_lo, s3
	flat_load_u16 v0, v[156:157] offset:8
	v_mov_b32_e32 v2, 0
	v_mov_b32_e32 v3, 0
	s_mov_b32 s3, exec_lo
	s_waitcnt vmcnt(0) lgkmcnt(0)
	v_and_b32_e32 v1, 0xff, v0
	v_and_b32_e32 v0, 0xffff, v0
	s_clause 0x1
	scratch_store_b64 off, v[2:3], s32 offset:360
	scratch_store_b64 off, v[2:3], s32 offset:368
	v_cmpx_ne_u16_e32 0, v1
	s_cbranch_execz .LBB253_50
; %bb.43:                               ;   in Loop: Header=BB253_10 Depth=1
	v_bfrev_b32_e32 v2, 1
	v_and_b32_e32 v1, 0xff, v0
	v_mov_b32_e32 v3, 0
	s_mov_b32 s18, exec_lo
	scratch_store_b64 off, v[2:3], s32 offset:368 ; 8-byte Folded Spill
	v_cmpx_ne_u16_e32 0x80, v1
	s_cbranch_execz .LBB253_49
; %bb.44:                               ;   in Loop: Header=BB253_10 Depth=1
	v_mov_b32_e32 v3, 0x7f800001
	v_and_b32_e32 v2, 0x7f, v0
	v_mov_b32_e32 v4, 0
	s_mov_b32 s23, exec_lo
	scratch_store_b64 off, v[3:4], s32 offset:368 ; 8-byte Folded Spill
	v_cmpx_ne_u32_e32 0x7f, v2
	s_cbranch_execz .LBB253_48
; %bb.45:                               ;   in Loop: Header=BB253_10 Depth=1
	v_and_b32_e32 v86, 7, v0
	v_lshrrev_b32_e32 v1, 3, v2
	s_mov_b32 s24, exec_lo
	v_cmpx_gt_u32_e32 8, v2
; %bb.46:                               ;   in Loop: Header=BB253_10 Depth=1
	s_delay_alu instid0(VALU_DEP_3) | instskip(NEXT) | instid1(VALU_DEP_1)
	v_clz_i32_u32_e32 v1, v86
	v_min_u32_e32 v1, 32, v1
	s_delay_alu instid0(VALU_DEP_1) | instskip(SKIP_1) | instid1(VALU_DEP_2)
	v_subrev_nc_u32_e32 v2, 28, v1
	v_sub_nc_u32_e32 v1, 29, v1
	v_lshlrev_b64 v[2:3], v2, v[86:87]
	s_delay_alu instid0(VALU_DEP_1)
	v_and_b32_e32 v86, 7, v2
; %bb.47:                               ;   in Loop: Header=BB253_10 Depth=1
	s_or_b32 exec_lo, exec_lo, s24
	v_lshlrev_b32_e32 v2, 24, v0
	s_delay_alu instid0(VALU_DEP_2) | instskip(SKIP_1) | instid1(VALU_DEP_3)
	v_lshlrev_b32_e32 v3, 20, v86
	v_lshl_add_u32 v1, v1, 23, 0x3c000000
	v_and_b32_e32 v2, 0x80000000, v2
	s_delay_alu instid0(VALU_DEP_1)
	v_or3_b32 v86, v3, v2, v1
	scratch_store_b64 off, v[86:87], s32 offset:368 ; 8-byte Folded Spill
.LBB253_48:                             ;   in Loop: Header=BB253_10 Depth=1
	s_or_b32 exec_lo, exec_lo, s23
.LBB253_49:                             ;   in Loop: Header=BB253_10 Depth=1
	s_delay_alu instid0(SALU_CYCLE_1)
	s_or_b32 exec_lo, exec_lo, s18
.LBB253_50:                             ;   in Loop: Header=BB253_10 Depth=1
	s_delay_alu instid0(SALU_CYCLE_1) | instskip(SKIP_2) | instid1(VALU_DEP_1)
	s_or_b32 exec_lo, exec_lo, s3
	v_lshrrev_b16 v1, 8, v0
	s_mov_b32 s3, exec_lo
	v_cmpx_ne_u16_e32 0, v1
	s_cbranch_execz .LBB253_58
; %bb.51:                               ;   in Loop: Header=BB253_10 Depth=1
	v_dual_mov_b32 v2, s8 :: v_dual_mov_b32 v3, s9
	s_mov_b32 s23, exec_lo
	scratch_store_b64 off, v[2:3], s32 offset:360 ; 8-byte Folded Spill
	v_cmpx_ne_u16_e32 0x80, v1
	s_cbranch_execz .LBB253_57
; %bb.52:                               ;   in Loop: Header=BB253_10 Depth=1
	s_mov_b32 s18, s8
	v_and_b32_e32 v1, 0xffff, v1
	v_dual_mov_b32 v3, s18 :: v_dual_mov_b32 v4, s19
	s_mov_b32 s18, exec_lo
	s_delay_alu instid0(VALU_DEP_2)
	v_and_b32_e32 v2, 0x7f, v1
	scratch_store_b64 off, v[3:4], s32 offset:360 ; 8-byte Folded Spill
	v_cmpx_ne_u32_e32 0x7f, v2
	s_cbranch_execz .LBB253_56
; %bb.53:                               ;   in Loop: Header=BB253_10 Depth=1
	v_and_b32_e32 v86, 7, v1
	v_lshrrev_b32_e32 v1, 3, v2
	s_mov_b32 s24, exec_lo
	v_cmpx_gt_u32_e32 8, v2
; %bb.54:                               ;   in Loop: Header=BB253_10 Depth=1
	s_delay_alu instid0(VALU_DEP_3) | instskip(NEXT) | instid1(VALU_DEP_1)
	v_clz_i32_u32_e32 v1, v86
	v_min_u32_e32 v1, 32, v1
	s_delay_alu instid0(VALU_DEP_1) | instskip(SKIP_1) | instid1(VALU_DEP_2)
	v_subrev_nc_u32_e32 v2, 28, v1
	v_sub_nc_u32_e32 v1, 29, v1
	v_lshlrev_b64 v[2:3], v2, v[86:87]
	s_delay_alu instid0(VALU_DEP_1)
	v_and_b32_e32 v86, 7, v2
; %bb.55:                               ;   in Loop: Header=BB253_10 Depth=1
	s_or_b32 exec_lo, exec_lo, s24
	v_lshlrev_b32_e32 v0, 16, v0
	s_delay_alu instid0(VALU_DEP_2) | instskip(SKIP_1) | instid1(VALU_DEP_3)
	v_lshlrev_b32_e32 v2, 20, v86
	v_lshl_add_u32 v1, v1, 23, 0x3c000000
	v_and_b32_e32 v0, 0x80000000, v0
	s_delay_alu instid0(VALU_DEP_1)
	v_or3_b32 v1, v2, v0, v1
	v_mov_b32_e32 v0, v87
	scratch_store_b64 off, v[0:1], s32 offset:360 ; 8-byte Folded Spill
.LBB253_56:                             ;   in Loop: Header=BB253_10 Depth=1
	s_or_b32 exec_lo, exec_lo, s18
.LBB253_57:                             ;   in Loop: Header=BB253_10 Depth=1
	s_delay_alu instid0(SALU_CYCLE_1)
	s_or_b32 exec_lo, exec_lo, s23
.LBB253_58:                             ;   in Loop: Header=BB253_10 Depth=1
	s_delay_alu instid0(SALU_CYCLE_1)
	s_or_b32 exec_lo, exec_lo, s3
	flat_load_u16 v0, v[156:157] offset:12
	v_mov_b32_e32 v2, 0
	v_mov_b32_e32 v3, 0
	s_mov_b32 s3, exec_lo
	s_waitcnt vmcnt(0) lgkmcnt(0)
	v_and_b32_e32 v1, 0xff, v0
	v_and_b32_e32 v0, 0xffff, v0
	s_clause 0x1
	scratch_store_b64 off, v[2:3], s32 offset:376
	scratch_store_b64 off, v[2:3], s32 offset:384
	v_cmpx_ne_u16_e32 0, v1
	s_cbranch_execz .LBB253_66
; %bb.59:                               ;   in Loop: Header=BB253_10 Depth=1
	v_bfrev_b32_e32 v2, 1
	v_and_b32_e32 v1, 0xff, v0
	v_mov_b32_e32 v3, 0
	s_mov_b32 s18, exec_lo
	scratch_store_b64 off, v[2:3], s32 offset:384 ; 8-byte Folded Spill
	v_cmpx_ne_u16_e32 0x80, v1
	s_cbranch_execz .LBB253_65
; %bb.60:                               ;   in Loop: Header=BB253_10 Depth=1
	v_mov_b32_e32 v3, 0x7f800001
	v_and_b32_e32 v2, 0x7f, v0
	v_mov_b32_e32 v4, 0
	s_mov_b32 s23, exec_lo
	scratch_store_b64 off, v[3:4], s32 offset:384 ; 8-byte Folded Spill
	v_cmpx_ne_u32_e32 0x7f, v2
	s_cbranch_execz .LBB253_64
; %bb.61:                               ;   in Loop: Header=BB253_10 Depth=1
	v_and_b32_e32 v86, 7, v0
	v_lshrrev_b32_e32 v1, 3, v2
	s_mov_b32 s24, exec_lo
	v_cmpx_gt_u32_e32 8, v2
; %bb.62:                               ;   in Loop: Header=BB253_10 Depth=1
	s_delay_alu instid0(VALU_DEP_3) | instskip(NEXT) | instid1(VALU_DEP_1)
	v_clz_i32_u32_e32 v1, v86
	v_min_u32_e32 v1, 32, v1
	s_delay_alu instid0(VALU_DEP_1) | instskip(SKIP_1) | instid1(VALU_DEP_2)
	v_subrev_nc_u32_e32 v2, 28, v1
	v_sub_nc_u32_e32 v1, 29, v1
	v_lshlrev_b64 v[2:3], v2, v[86:87]
	s_delay_alu instid0(VALU_DEP_1)
	v_and_b32_e32 v86, 7, v2
; %bb.63:                               ;   in Loop: Header=BB253_10 Depth=1
	s_or_b32 exec_lo, exec_lo, s24
	v_lshlrev_b32_e32 v2, 24, v0
	s_delay_alu instid0(VALU_DEP_2) | instskip(SKIP_1) | instid1(VALU_DEP_3)
	v_lshlrev_b32_e32 v3, 20, v86
	v_lshl_add_u32 v1, v1, 23, 0x3c000000
	v_and_b32_e32 v2, 0x80000000, v2
	s_delay_alu instid0(VALU_DEP_1)
	v_or3_b32 v86, v3, v2, v1
	scratch_store_b64 off, v[86:87], s32 offset:384 ; 8-byte Folded Spill
.LBB253_64:                             ;   in Loop: Header=BB253_10 Depth=1
	s_or_b32 exec_lo, exec_lo, s23
.LBB253_65:                             ;   in Loop: Header=BB253_10 Depth=1
	s_delay_alu instid0(SALU_CYCLE_1)
	s_or_b32 exec_lo, exec_lo, s18
.LBB253_66:                             ;   in Loop: Header=BB253_10 Depth=1
	s_delay_alu instid0(SALU_CYCLE_1) | instskip(SKIP_2) | instid1(VALU_DEP_1)
	s_or_b32 exec_lo, exec_lo, s3
	v_lshrrev_b16 v1, 8, v0
	s_mov_b32 s3, exec_lo
	v_cmpx_ne_u16_e32 0, v1
	s_cbranch_execz .LBB253_74
; %bb.67:                               ;   in Loop: Header=BB253_10 Depth=1
	v_dual_mov_b32 v2, s8 :: v_dual_mov_b32 v3, s9
	s_mov_b32 s23, exec_lo
	scratch_store_b64 off, v[2:3], s32 offset:376 ; 8-byte Folded Spill
	v_cmpx_ne_u16_e32 0x80, v1
	s_cbranch_execz .LBB253_73
; %bb.68:                               ;   in Loop: Header=BB253_10 Depth=1
	s_mov_b32 s18, s8
	v_and_b32_e32 v1, 0xffff, v1
	v_dual_mov_b32 v3, s18 :: v_dual_mov_b32 v4, s19
	s_mov_b32 s18, exec_lo
	s_delay_alu instid0(VALU_DEP_2)
	v_and_b32_e32 v2, 0x7f, v1
	scratch_store_b64 off, v[3:4], s32 offset:376 ; 8-byte Folded Spill
	v_cmpx_ne_u32_e32 0x7f, v2
	s_cbranch_execz .LBB253_72
; %bb.69:                               ;   in Loop: Header=BB253_10 Depth=1
	v_and_b32_e32 v86, 7, v1
	v_lshrrev_b32_e32 v1, 3, v2
	s_mov_b32 s24, exec_lo
	v_cmpx_gt_u32_e32 8, v2
; %bb.70:                               ;   in Loop: Header=BB253_10 Depth=1
	s_delay_alu instid0(VALU_DEP_3) | instskip(NEXT) | instid1(VALU_DEP_1)
	v_clz_i32_u32_e32 v1, v86
	v_min_u32_e32 v1, 32, v1
	s_delay_alu instid0(VALU_DEP_1) | instskip(SKIP_1) | instid1(VALU_DEP_2)
	v_subrev_nc_u32_e32 v2, 28, v1
	v_sub_nc_u32_e32 v1, 29, v1
	v_lshlrev_b64 v[2:3], v2, v[86:87]
	s_delay_alu instid0(VALU_DEP_1)
	v_and_b32_e32 v86, 7, v2
; %bb.71:                               ;   in Loop: Header=BB253_10 Depth=1
	s_or_b32 exec_lo, exec_lo, s24
	v_lshlrev_b32_e32 v0, 16, v0
	s_delay_alu instid0(VALU_DEP_2) | instskip(SKIP_1) | instid1(VALU_DEP_3)
	v_lshlrev_b32_e32 v2, 20, v86
	v_lshl_add_u32 v1, v1, 23, 0x3c000000
	v_and_b32_e32 v0, 0x80000000, v0
	s_delay_alu instid0(VALU_DEP_1)
	v_or3_b32 v1, v2, v0, v1
	v_mov_b32_e32 v0, v87
	scratch_store_b64 off, v[0:1], s32 offset:376 ; 8-byte Folded Spill
.LBB253_72:                             ;   in Loop: Header=BB253_10 Depth=1
	s_or_b32 exec_lo, exec_lo, s18
.LBB253_73:                             ;   in Loop: Header=BB253_10 Depth=1
	s_delay_alu instid0(SALU_CYCLE_1)
	s_or_b32 exec_lo, exec_lo, s23
.LBB253_74:                             ;   in Loop: Header=BB253_10 Depth=1
	s_delay_alu instid0(SALU_CYCLE_1)
	s_or_b32 exec_lo, exec_lo, s3
	flat_load_u16 v0, v[156:157] offset:256
	v_mov_b32_e32 v2, 0
	v_mov_b32_e32 v3, 0
	s_mov_b32 s3, exec_lo
	s_waitcnt vmcnt(0) lgkmcnt(0)
	v_and_b32_e32 v1, 0xff, v0
	v_and_b32_e32 v0, 0xffff, v0
	s_clause 0x1
	scratch_store_b64 off, v[2:3], s32 offset:392
	scratch_store_b64 off, v[2:3], s32 offset:400
	v_cmpx_ne_u16_e32 0, v1
	s_cbranch_execz .LBB253_82
; %bb.75:                               ;   in Loop: Header=BB253_10 Depth=1
	v_and_b32_e32 v1, 0xff, v0
	s_delay_alu instid0(VALU_DEP_1)
	v_cmp_ne_u16_e64 s2, 0x80, v1
	v_bfrev_b32_e32 v1, 1
	v_mov_b32_e32 v2, 0
	scratch_store_b64 off, v[1:2], s32 offset:400 ; 8-byte Folded Spill
	s_and_saveexec_b32 s18, s2
	s_cbranch_execz .LBB253_81
; %bb.76:                               ;   in Loop: Header=BB253_10 Depth=1
	v_mov_b32_e32 v3, 0x7f800001
	v_and_b32_e32 v2, 0x7f, v0
	v_mov_b32_e32 v4, 0
	s_mov_b32 s23, exec_lo
	scratch_store_b64 off, v[3:4], s32 offset:400 ; 8-byte Folded Spill
	v_cmpx_ne_u32_e32 0x7f, v2
	s_cbranch_execz .LBB253_80
; %bb.77:                               ;   in Loop: Header=BB253_10 Depth=1
	v_and_b32_e32 v86, 7, v0
	v_lshrrev_b32_e32 v1, 3, v2
	s_mov_b32 s24, exec_lo
	v_cmpx_gt_u32_e32 8, v2
; %bb.78:                               ;   in Loop: Header=BB253_10 Depth=1
	s_delay_alu instid0(VALU_DEP_3) | instskip(NEXT) | instid1(VALU_DEP_1)
	v_clz_i32_u32_e32 v1, v86
	v_min_u32_e32 v1, 32, v1
	s_delay_alu instid0(VALU_DEP_1) | instskip(SKIP_1) | instid1(VALU_DEP_2)
	v_subrev_nc_u32_e32 v2, 28, v1
	v_sub_nc_u32_e32 v1, 29, v1
	v_lshlrev_b64 v[2:3], v2, v[86:87]
	s_delay_alu instid0(VALU_DEP_1)
	v_and_b32_e32 v86, 7, v2
; %bb.79:                               ;   in Loop: Header=BB253_10 Depth=1
	s_or_b32 exec_lo, exec_lo, s24
	v_lshlrev_b32_e32 v2, 24, v0
	s_delay_alu instid0(VALU_DEP_2) | instskip(SKIP_1) | instid1(VALU_DEP_3)
	v_lshlrev_b32_e32 v3, 20, v86
	v_lshl_add_u32 v1, v1, 23, 0x3c000000
	v_and_b32_e32 v2, 0x80000000, v2
	s_delay_alu instid0(VALU_DEP_1)
	v_or3_b32 v86, v3, v2, v1
	scratch_store_b64 off, v[86:87], s32 offset:400 ; 8-byte Folded Spill
.LBB253_80:                             ;   in Loop: Header=BB253_10 Depth=1
	s_or_b32 exec_lo, exec_lo, s23
.LBB253_81:                             ;   in Loop: Header=BB253_10 Depth=1
	s_delay_alu instid0(SALU_CYCLE_1)
	s_or_b32 exec_lo, exec_lo, s18
.LBB253_82:                             ;   in Loop: Header=BB253_10 Depth=1
	s_delay_alu instid0(SALU_CYCLE_1) | instskip(SKIP_2) | instid1(VALU_DEP_1)
	s_or_b32 exec_lo, exec_lo, s3
	v_lshrrev_b16 v1, 8, v0
	s_mov_b32 s3, exec_lo
	v_cmpx_ne_u16_e32 0, v1
	s_cbranch_execz .LBB253_90
; %bb.83:                               ;   in Loop: Header=BB253_10 Depth=1
	v_dual_mov_b32 v2, s8 :: v_dual_mov_b32 v3, s9
	s_mov_b32 s23, exec_lo
	scratch_store_b64 off, v[2:3], s32 offset:392 ; 8-byte Folded Spill
	v_cmpx_ne_u16_e32 0x80, v1
	s_cbranch_execz .LBB253_89
; %bb.84:                               ;   in Loop: Header=BB253_10 Depth=1
	s_mov_b32 s18, s8
	v_and_b32_e32 v1, 0xffff, v1
	v_dual_mov_b32 v3, s18 :: v_dual_mov_b32 v4, s19
	s_mov_b32 s18, exec_lo
	s_delay_alu instid0(VALU_DEP_2)
	v_and_b32_e32 v2, 0x7f, v1
	scratch_store_b64 off, v[3:4], s32 offset:392 ; 8-byte Folded Spill
	v_cmpx_ne_u32_e32 0x7f, v2
	s_cbranch_execz .LBB253_88
; %bb.85:                               ;   in Loop: Header=BB253_10 Depth=1
	v_and_b32_e32 v86, 7, v1
	v_lshrrev_b32_e32 v1, 3, v2
	s_mov_b32 s24, exec_lo
	v_cmpx_gt_u32_e32 8, v2
; %bb.86:                               ;   in Loop: Header=BB253_10 Depth=1
	s_delay_alu instid0(VALU_DEP_3) | instskip(NEXT) | instid1(VALU_DEP_1)
	v_clz_i32_u32_e32 v1, v86
	v_min_u32_e32 v1, 32, v1
	s_delay_alu instid0(VALU_DEP_1) | instskip(SKIP_1) | instid1(VALU_DEP_2)
	v_subrev_nc_u32_e32 v2, 28, v1
	v_sub_nc_u32_e32 v1, 29, v1
	v_lshlrev_b64 v[2:3], v2, v[86:87]
	s_delay_alu instid0(VALU_DEP_1)
	v_and_b32_e32 v86, 7, v2
; %bb.87:                               ;   in Loop: Header=BB253_10 Depth=1
	s_or_b32 exec_lo, exec_lo, s24
	v_lshlrev_b32_e32 v0, 16, v0
	s_delay_alu instid0(VALU_DEP_2) | instskip(SKIP_1) | instid1(VALU_DEP_3)
	v_lshlrev_b32_e32 v2, 20, v86
	v_lshl_add_u32 v1, v1, 23, 0x3c000000
	v_and_b32_e32 v0, 0x80000000, v0
	s_delay_alu instid0(VALU_DEP_1)
	v_or3_b32 v1, v2, v0, v1
	v_mov_b32_e32 v0, v87
	scratch_store_b64 off, v[0:1], s32 offset:392 ; 8-byte Folded Spill
.LBB253_88:                             ;   in Loop: Header=BB253_10 Depth=1
	s_or_b32 exec_lo, exec_lo, s18
.LBB253_89:                             ;   in Loop: Header=BB253_10 Depth=1
	s_delay_alu instid0(SALU_CYCLE_1)
	s_or_b32 exec_lo, exec_lo, s23
.LBB253_90:                             ;   in Loop: Header=BB253_10 Depth=1
	s_delay_alu instid0(SALU_CYCLE_1)
	s_or_b32 exec_lo, exec_lo, s3
	flat_load_u16 v0, v[156:157] offset:260
	v_mov_b32_e32 v2, 0
	v_mov_b32_e32 v3, 0
	s_mov_b32 s3, exec_lo
	s_waitcnt vmcnt(0) lgkmcnt(0)
	v_and_b32_e32 v1, 0xff, v0
	v_and_b32_e32 v0, 0xffff, v0
	s_clause 0x1
	scratch_store_b64 off, v[2:3], s32 offset:408
	scratch_store_b64 off, v[2:3], s32 offset:416
	v_cmpx_ne_u16_e32 0, v1
	s_cbranch_execz .LBB253_98
; %bb.91:                               ;   in Loop: Header=BB253_10 Depth=1
	v_and_b32_e32 v1, 0xff, v0
	s_delay_alu instid0(VALU_DEP_1)
	v_cmp_ne_u16_e64 s2, 0x80, v1
	v_bfrev_b32_e32 v1, 1
	v_mov_b32_e32 v2, 0
	scratch_store_b64 off, v[1:2], s32 offset:416 ; 8-byte Folded Spill
	s_and_saveexec_b32 s18, s2
	s_cbranch_execz .LBB253_97
; %bb.92:                               ;   in Loop: Header=BB253_10 Depth=1
	v_mov_b32_e32 v3, 0x7f800001
	v_and_b32_e32 v2, 0x7f, v0
	v_mov_b32_e32 v4, 0
	s_mov_b32 s23, exec_lo
	scratch_store_b64 off, v[3:4], s32 offset:416 ; 8-byte Folded Spill
	v_cmpx_ne_u32_e32 0x7f, v2
	s_cbranch_execz .LBB253_96
; %bb.93:                               ;   in Loop: Header=BB253_10 Depth=1
	v_and_b32_e32 v86, 7, v0
	v_lshrrev_b32_e32 v1, 3, v2
	s_mov_b32 s24, exec_lo
	v_cmpx_gt_u32_e32 8, v2
; %bb.94:                               ;   in Loop: Header=BB253_10 Depth=1
	s_delay_alu instid0(VALU_DEP_3) | instskip(NEXT) | instid1(VALU_DEP_1)
	v_clz_i32_u32_e32 v1, v86
	v_min_u32_e32 v1, 32, v1
	s_delay_alu instid0(VALU_DEP_1) | instskip(SKIP_1) | instid1(VALU_DEP_2)
	v_subrev_nc_u32_e32 v2, 28, v1
	v_sub_nc_u32_e32 v1, 29, v1
	v_lshlrev_b64 v[2:3], v2, v[86:87]
	s_delay_alu instid0(VALU_DEP_1)
	v_and_b32_e32 v86, 7, v2
; %bb.95:                               ;   in Loop: Header=BB253_10 Depth=1
	s_or_b32 exec_lo, exec_lo, s24
	v_lshlrev_b32_e32 v2, 24, v0
	s_delay_alu instid0(VALU_DEP_2) | instskip(SKIP_1) | instid1(VALU_DEP_3)
	v_lshlrev_b32_e32 v3, 20, v86
	v_lshl_add_u32 v1, v1, 23, 0x3c000000
	v_and_b32_e32 v2, 0x80000000, v2
	s_delay_alu instid0(VALU_DEP_1)
	v_or3_b32 v86, v3, v2, v1
	scratch_store_b64 off, v[86:87], s32 offset:416 ; 8-byte Folded Spill
.LBB253_96:                             ;   in Loop: Header=BB253_10 Depth=1
	s_or_b32 exec_lo, exec_lo, s23
.LBB253_97:                             ;   in Loop: Header=BB253_10 Depth=1
	s_delay_alu instid0(SALU_CYCLE_1)
	s_or_b32 exec_lo, exec_lo, s18
.LBB253_98:                             ;   in Loop: Header=BB253_10 Depth=1
	s_delay_alu instid0(SALU_CYCLE_1) | instskip(SKIP_2) | instid1(VALU_DEP_1)
	s_or_b32 exec_lo, exec_lo, s3
	v_lshrrev_b16 v1, 8, v0
	s_mov_b32 s3, exec_lo
	v_cmpx_ne_u16_e32 0, v1
	s_cbranch_execz .LBB253_106
; %bb.99:                               ;   in Loop: Header=BB253_10 Depth=1
	v_dual_mov_b32 v2, s8 :: v_dual_mov_b32 v3, s9
	s_mov_b32 s23, exec_lo
	scratch_store_b64 off, v[2:3], s32 offset:408 ; 8-byte Folded Spill
	v_cmpx_ne_u16_e32 0x80, v1
	s_cbranch_execz .LBB253_105
; %bb.100:                              ;   in Loop: Header=BB253_10 Depth=1
	s_mov_b32 s18, s8
	v_and_b32_e32 v1, 0xffff, v1
	v_dual_mov_b32 v3, s18 :: v_dual_mov_b32 v4, s19
	s_mov_b32 s18, exec_lo
	s_delay_alu instid0(VALU_DEP_2)
	v_and_b32_e32 v2, 0x7f, v1
	scratch_store_b64 off, v[3:4], s32 offset:408 ; 8-byte Folded Spill
	v_cmpx_ne_u32_e32 0x7f, v2
	s_cbranch_execz .LBB253_104
; %bb.101:                              ;   in Loop: Header=BB253_10 Depth=1
	v_and_b32_e32 v86, 7, v1
	v_lshrrev_b32_e32 v1, 3, v2
	s_mov_b32 s24, exec_lo
	v_cmpx_gt_u32_e32 8, v2
; %bb.102:                              ;   in Loop: Header=BB253_10 Depth=1
	s_delay_alu instid0(VALU_DEP_3) | instskip(NEXT) | instid1(VALU_DEP_1)
	v_clz_i32_u32_e32 v1, v86
	v_min_u32_e32 v1, 32, v1
	s_delay_alu instid0(VALU_DEP_1) | instskip(SKIP_1) | instid1(VALU_DEP_2)
	v_subrev_nc_u32_e32 v2, 28, v1
	v_sub_nc_u32_e32 v1, 29, v1
	v_lshlrev_b64 v[2:3], v2, v[86:87]
	s_delay_alu instid0(VALU_DEP_1)
	v_and_b32_e32 v86, 7, v2
; %bb.103:                              ;   in Loop: Header=BB253_10 Depth=1
	s_or_b32 exec_lo, exec_lo, s24
	v_lshlrev_b32_e32 v0, 16, v0
	s_delay_alu instid0(VALU_DEP_2) | instskip(SKIP_1) | instid1(VALU_DEP_3)
	v_lshlrev_b32_e32 v2, 20, v86
	v_lshl_add_u32 v1, v1, 23, 0x3c000000
	v_and_b32_e32 v0, 0x80000000, v0
	s_delay_alu instid0(VALU_DEP_1)
	v_or3_b32 v1, v2, v0, v1
	v_mov_b32_e32 v0, v87
	scratch_store_b64 off, v[0:1], s32 offset:408 ; 8-byte Folded Spill
.LBB253_104:                            ;   in Loop: Header=BB253_10 Depth=1
	s_or_b32 exec_lo, exec_lo, s18
.LBB253_105:                            ;   in Loop: Header=BB253_10 Depth=1
	s_delay_alu instid0(SALU_CYCLE_1)
	s_or_b32 exec_lo, exec_lo, s23
.LBB253_106:                            ;   in Loop: Header=BB253_10 Depth=1
	s_delay_alu instid0(SALU_CYCLE_1) | instskip(SKIP_1) | instid1(VALU_DEP_1)
	s_or_b32 exec_lo, exec_lo, s3
	v_add_co_u32 v0, s2, 0x100, v156
	v_add_co_ci_u32_e64 v1, s2, 0, v157, s2
	s_mov_b32 s3, exec_lo
	flat_load_u16 v2, v[0:1] offset:8
	v_mov_b32_e32 v4, 0
	v_mov_b32_e32 v5, 0
	s_waitcnt vmcnt(0) lgkmcnt(0)
	v_and_b32_e32 v3, 0xff, v2
	v_and_b32_e32 v2, 0xffff, v2
	s_clause 0x1
	scratch_store_b64 off, v[4:5], s32 offset:424
	scratch_store_b64 off, v[4:5], s32 offset:432
	v_cmpx_ne_u16_e32 0, v3
	s_cbranch_execz .LBB253_114
; %bb.107:                              ;   in Loop: Header=BB253_10 Depth=1
	v_and_b32_e32 v3, 0xff, v2
	s_delay_alu instid0(VALU_DEP_1)
	v_cmp_ne_u16_e64 s2, 0x80, v3
	v_bfrev_b32_e32 v3, 1
	v_mov_b32_e32 v4, 0
	scratch_store_b64 off, v[3:4], s32 offset:432 ; 8-byte Folded Spill
	s_and_saveexec_b32 s18, s2
	s_cbranch_execz .LBB253_113
; %bb.108:                              ;   in Loop: Header=BB253_10 Depth=1
	v_mov_b32_e32 v5, 0x7f800001
	v_and_b32_e32 v4, 0x7f, v2
	v_mov_b32_e32 v6, 0
	s_mov_b32 s23, exec_lo
	scratch_store_b64 off, v[5:6], s32 offset:432 ; 8-byte Folded Spill
	v_cmpx_ne_u32_e32 0x7f, v4
	s_cbranch_execz .LBB253_112
; %bb.109:                              ;   in Loop: Header=BB253_10 Depth=1
	v_and_b32_e32 v86, 7, v2
	v_lshrrev_b32_e32 v3, 3, v4
	s_mov_b32 s24, exec_lo
	v_cmpx_gt_u32_e32 8, v4
; %bb.110:                              ;   in Loop: Header=BB253_10 Depth=1
	s_delay_alu instid0(VALU_DEP_3) | instskip(NEXT) | instid1(VALU_DEP_1)
	v_clz_i32_u32_e32 v3, v86
	v_min_u32_e32 v3, 32, v3
	s_delay_alu instid0(VALU_DEP_1) | instskip(SKIP_1) | instid1(VALU_DEP_2)
	v_subrev_nc_u32_e32 v4, 28, v3
	v_sub_nc_u32_e32 v3, 29, v3
	v_lshlrev_b64 v[4:5], v4, v[86:87]
	s_delay_alu instid0(VALU_DEP_1)
	v_and_b32_e32 v86, 7, v4
; %bb.111:                              ;   in Loop: Header=BB253_10 Depth=1
	s_or_b32 exec_lo, exec_lo, s24
	v_lshlrev_b32_e32 v4, 24, v2
	s_delay_alu instid0(VALU_DEP_2) | instskip(SKIP_1) | instid1(VALU_DEP_3)
	v_lshlrev_b32_e32 v5, 20, v86
	v_lshl_add_u32 v3, v3, 23, 0x3c000000
	v_and_b32_e32 v4, 0x80000000, v4
	s_delay_alu instid0(VALU_DEP_1)
	v_or3_b32 v86, v5, v4, v3
	scratch_store_b64 off, v[86:87], s32 offset:432 ; 8-byte Folded Spill
.LBB253_112:                            ;   in Loop: Header=BB253_10 Depth=1
	s_or_b32 exec_lo, exec_lo, s23
.LBB253_113:                            ;   in Loop: Header=BB253_10 Depth=1
	s_delay_alu instid0(SALU_CYCLE_1)
	s_or_b32 exec_lo, exec_lo, s18
.LBB253_114:                            ;   in Loop: Header=BB253_10 Depth=1
	s_delay_alu instid0(SALU_CYCLE_1) | instskip(SKIP_2) | instid1(VALU_DEP_1)
	s_or_b32 exec_lo, exec_lo, s3
	v_lshrrev_b16 v3, 8, v2
	s_mov_b32 s3, exec_lo
	v_cmpx_ne_u16_e32 0, v3
	s_cbranch_execz .LBB253_122
; %bb.115:                              ;   in Loop: Header=BB253_10 Depth=1
	v_dual_mov_b32 v4, s8 :: v_dual_mov_b32 v5, s9
	s_mov_b32 s23, exec_lo
	scratch_store_b64 off, v[4:5], s32 offset:424 ; 8-byte Folded Spill
	v_cmpx_ne_u16_e32 0x80, v3
	s_cbranch_execz .LBB253_121
; %bb.116:                              ;   in Loop: Header=BB253_10 Depth=1
	s_mov_b32 s18, s8
	v_and_b32_e32 v3, 0xffff, v3
	v_dual_mov_b32 v5, s18 :: v_dual_mov_b32 v6, s19
	s_mov_b32 s18, exec_lo
	s_delay_alu instid0(VALU_DEP_2)
	v_and_b32_e32 v4, 0x7f, v3
	scratch_store_b64 off, v[5:6], s32 offset:424 ; 8-byte Folded Spill
	v_cmpx_ne_u32_e32 0x7f, v4
	s_cbranch_execz .LBB253_120
; %bb.117:                              ;   in Loop: Header=BB253_10 Depth=1
	v_and_b32_e32 v86, 7, v3
	v_lshrrev_b32_e32 v3, 3, v4
	s_mov_b32 s24, exec_lo
	v_cmpx_gt_u32_e32 8, v4
; %bb.118:                              ;   in Loop: Header=BB253_10 Depth=1
	s_delay_alu instid0(VALU_DEP_3) | instskip(NEXT) | instid1(VALU_DEP_1)
	v_clz_i32_u32_e32 v3, v86
	v_min_u32_e32 v3, 32, v3
	s_delay_alu instid0(VALU_DEP_1) | instskip(SKIP_1) | instid1(VALU_DEP_2)
	v_subrev_nc_u32_e32 v4, 28, v3
	v_sub_nc_u32_e32 v3, 29, v3
	v_lshlrev_b64 v[4:5], v4, v[86:87]
	s_delay_alu instid0(VALU_DEP_1)
	v_and_b32_e32 v86, 7, v4
; %bb.119:                              ;   in Loop: Header=BB253_10 Depth=1
	s_or_b32 exec_lo, exec_lo, s24
	v_lshlrev_b32_e32 v2, 16, v2
	s_delay_alu instid0(VALU_DEP_2) | instskip(SKIP_1) | instid1(VALU_DEP_3)
	v_lshlrev_b32_e32 v4, 20, v86
	v_lshl_add_u32 v3, v3, 23, 0x3c000000
	v_and_b32_e32 v2, 0x80000000, v2
	s_delay_alu instid0(VALU_DEP_1)
	v_or3_b32 v3, v4, v2, v3
	v_mov_b32_e32 v2, v87
	scratch_store_b64 off, v[2:3], s32 offset:424 ; 8-byte Folded Spill
.LBB253_120:                            ;   in Loop: Header=BB253_10 Depth=1
	s_or_b32 exec_lo, exec_lo, s18
.LBB253_121:                            ;   in Loop: Header=BB253_10 Depth=1
	s_delay_alu instid0(SALU_CYCLE_1)
	s_or_b32 exec_lo, exec_lo, s23
.LBB253_122:                            ;   in Loop: Header=BB253_10 Depth=1
	s_delay_alu instid0(SALU_CYCLE_1)
	s_or_b32 exec_lo, exec_lo, s3
	flat_load_u16 v0, v[0:1] offset:12
	v_mov_b32_e32 v2, 0
	v_mov_b32_e32 v3, 0
	s_mov_b32 s3, exec_lo
	s_waitcnt vmcnt(0) lgkmcnt(0)
	v_and_b32_e32 v1, 0xff, v0
	v_and_b32_e32 v0, 0xffff, v0
	s_clause 0x1
	scratch_store_b64 off, v[2:3], s32 offset:440
	scratch_store_b64 off, v[2:3], s32 offset:448
	v_cmpx_ne_u16_e32 0, v1
	s_cbranch_execz .LBB253_130
; %bb.123:                              ;   in Loop: Header=BB253_10 Depth=1
	v_and_b32_e32 v1, 0xff, v0
	s_delay_alu instid0(VALU_DEP_1)
	v_cmp_ne_u16_e64 s2, 0x80, v1
	v_bfrev_b32_e32 v1, 1
	v_mov_b32_e32 v2, 0
	scratch_store_b64 off, v[1:2], s32 offset:448 ; 8-byte Folded Spill
	s_and_saveexec_b32 s18, s2
	s_cbranch_execz .LBB253_129
; %bb.124:                              ;   in Loop: Header=BB253_10 Depth=1
	v_mov_b32_e32 v3, 0x7f800001
	v_and_b32_e32 v2, 0x7f, v0
	v_mov_b32_e32 v4, 0
	s_mov_b32 s23, exec_lo
	scratch_store_b64 off, v[3:4], s32 offset:448 ; 8-byte Folded Spill
	v_cmpx_ne_u32_e32 0x7f, v2
	s_cbranch_execz .LBB253_128
; %bb.125:                              ;   in Loop: Header=BB253_10 Depth=1
	v_and_b32_e32 v86, 7, v0
	v_lshrrev_b32_e32 v1, 3, v2
	s_mov_b32 s24, exec_lo
	v_cmpx_gt_u32_e32 8, v2
; %bb.126:                              ;   in Loop: Header=BB253_10 Depth=1
	s_delay_alu instid0(VALU_DEP_3) | instskip(NEXT) | instid1(VALU_DEP_1)
	v_clz_i32_u32_e32 v1, v86
	v_min_u32_e32 v1, 32, v1
	s_delay_alu instid0(VALU_DEP_1) | instskip(SKIP_1) | instid1(VALU_DEP_2)
	v_subrev_nc_u32_e32 v2, 28, v1
	v_sub_nc_u32_e32 v1, 29, v1
	v_lshlrev_b64 v[2:3], v2, v[86:87]
	s_delay_alu instid0(VALU_DEP_1)
	v_and_b32_e32 v86, 7, v2
; %bb.127:                              ;   in Loop: Header=BB253_10 Depth=1
	s_or_b32 exec_lo, exec_lo, s24
	v_lshlrev_b32_e32 v2, 24, v0
	s_delay_alu instid0(VALU_DEP_2) | instskip(SKIP_1) | instid1(VALU_DEP_3)
	v_lshlrev_b32_e32 v3, 20, v86
	v_lshl_add_u32 v1, v1, 23, 0x3c000000
	v_and_b32_e32 v2, 0x80000000, v2
	s_delay_alu instid0(VALU_DEP_1)
	v_or3_b32 v86, v3, v2, v1
	scratch_store_b64 off, v[86:87], s32 offset:448 ; 8-byte Folded Spill
.LBB253_128:                            ;   in Loop: Header=BB253_10 Depth=1
	s_or_b32 exec_lo, exec_lo, s23
.LBB253_129:                            ;   in Loop: Header=BB253_10 Depth=1
	s_delay_alu instid0(SALU_CYCLE_1)
	s_or_b32 exec_lo, exec_lo, s18
.LBB253_130:                            ;   in Loop: Header=BB253_10 Depth=1
	s_delay_alu instid0(SALU_CYCLE_1) | instskip(SKIP_2) | instid1(VALU_DEP_1)
	s_or_b32 exec_lo, exec_lo, s3
	v_lshrrev_b16 v1, 8, v0
	s_mov_b32 s3, exec_lo
	v_cmpx_ne_u16_e32 0, v1
	s_cbranch_execz .LBB253_138
; %bb.131:                              ;   in Loop: Header=BB253_10 Depth=1
	v_dual_mov_b32 v2, s8 :: v_dual_mov_b32 v3, s9
	s_mov_b32 s23, exec_lo
	scratch_store_b64 off, v[2:3], s32 offset:440 ; 8-byte Folded Spill
	v_cmpx_ne_u16_e32 0x80, v1
	s_cbranch_execz .LBB253_137
; %bb.132:                              ;   in Loop: Header=BB253_10 Depth=1
	s_mov_b32 s18, s8
	v_and_b32_e32 v1, 0xffff, v1
	v_dual_mov_b32 v3, s18 :: v_dual_mov_b32 v4, s19
	s_mov_b32 s18, exec_lo
	s_delay_alu instid0(VALU_DEP_2)
	v_and_b32_e32 v2, 0x7f, v1
	scratch_store_b64 off, v[3:4], s32 offset:440 ; 8-byte Folded Spill
	v_cmpx_ne_u32_e32 0x7f, v2
	s_cbranch_execz .LBB253_136
; %bb.133:                              ;   in Loop: Header=BB253_10 Depth=1
	v_and_b32_e32 v86, 7, v1
	v_lshrrev_b32_e32 v1, 3, v2
	s_mov_b32 s24, exec_lo
	v_cmpx_gt_u32_e32 8, v2
; %bb.134:                              ;   in Loop: Header=BB253_10 Depth=1
	s_delay_alu instid0(VALU_DEP_3) | instskip(NEXT) | instid1(VALU_DEP_1)
	v_clz_i32_u32_e32 v1, v86
	v_min_u32_e32 v1, 32, v1
	s_delay_alu instid0(VALU_DEP_1) | instskip(SKIP_1) | instid1(VALU_DEP_2)
	v_subrev_nc_u32_e32 v2, 28, v1
	v_sub_nc_u32_e32 v1, 29, v1
	v_lshlrev_b64 v[2:3], v2, v[86:87]
	s_delay_alu instid0(VALU_DEP_1)
	v_and_b32_e32 v86, 7, v2
; %bb.135:                              ;   in Loop: Header=BB253_10 Depth=1
	s_or_b32 exec_lo, exec_lo, s24
	v_lshlrev_b32_e32 v0, 16, v0
	s_delay_alu instid0(VALU_DEP_2) | instskip(SKIP_1) | instid1(VALU_DEP_3)
	v_lshlrev_b32_e32 v2, 20, v86
	v_lshl_add_u32 v1, v1, 23, 0x3c000000
	v_and_b32_e32 v0, 0x80000000, v0
	s_delay_alu instid0(VALU_DEP_1)
	v_or3_b32 v1, v2, v0, v1
	v_mov_b32_e32 v0, v87
	scratch_store_b64 off, v[0:1], s32 offset:440 ; 8-byte Folded Spill
.LBB253_136:                            ;   in Loop: Header=BB253_10 Depth=1
	s_or_b32 exec_lo, exec_lo, s18
.LBB253_137:                            ;   in Loop: Header=BB253_10 Depth=1
	s_delay_alu instid0(SALU_CYCLE_1)
	s_or_b32 exec_lo, exec_lo, s23
.LBB253_138:                            ;   in Loop: Header=BB253_10 Depth=1
	s_delay_alu instid0(SALU_CYCLE_1)
	s_or_b32 exec_lo, exec_lo, s3
	flat_load_u16 v0, v[156:157] offset:512
	v_mov_b32_e32 v2, 0
	v_mov_b32_e32 v3, 0
	s_mov_b32 s3, exec_lo
	s_waitcnt vmcnt(0) lgkmcnt(0)
	v_and_b32_e32 v1, 0xff, v0
	v_and_b32_e32 v0, 0xffff, v0
	s_clause 0x1
	scratch_store_b64 off, v[2:3], s32 offset:456
	scratch_store_b64 off, v[2:3], s32 offset:464
	v_cmpx_ne_u16_e32 0, v1
	s_cbranch_execz .LBB253_146
; %bb.139:                              ;   in Loop: Header=BB253_10 Depth=1
	v_and_b32_e32 v1, 0xff, v0
	s_delay_alu instid0(VALU_DEP_1)
	v_cmp_ne_u16_e64 s2, 0x80, v1
	v_bfrev_b32_e32 v1, 1
	v_mov_b32_e32 v2, 0
	scratch_store_b64 off, v[1:2], s32 offset:464 ; 8-byte Folded Spill
	s_and_saveexec_b32 s18, s2
	s_cbranch_execz .LBB253_145
; %bb.140:                              ;   in Loop: Header=BB253_10 Depth=1
	v_mov_b32_e32 v3, 0x7f800001
	v_and_b32_e32 v2, 0x7f, v0
	v_mov_b32_e32 v4, 0
	s_mov_b32 s23, exec_lo
	scratch_store_b64 off, v[3:4], s32 offset:464 ; 8-byte Folded Spill
	v_cmpx_ne_u32_e32 0x7f, v2
	s_cbranch_execz .LBB253_144
; %bb.141:                              ;   in Loop: Header=BB253_10 Depth=1
	v_and_b32_e32 v86, 7, v0
	v_lshrrev_b32_e32 v1, 3, v2
	s_mov_b32 s24, exec_lo
	v_cmpx_gt_u32_e32 8, v2
; %bb.142:                              ;   in Loop: Header=BB253_10 Depth=1
	s_delay_alu instid0(VALU_DEP_3) | instskip(NEXT) | instid1(VALU_DEP_1)
	v_clz_i32_u32_e32 v1, v86
	v_min_u32_e32 v1, 32, v1
	s_delay_alu instid0(VALU_DEP_1) | instskip(SKIP_1) | instid1(VALU_DEP_2)
	v_subrev_nc_u32_e32 v2, 28, v1
	v_sub_nc_u32_e32 v1, 29, v1
	v_lshlrev_b64 v[2:3], v2, v[86:87]
	s_delay_alu instid0(VALU_DEP_1)
	v_and_b32_e32 v86, 7, v2
; %bb.143:                              ;   in Loop: Header=BB253_10 Depth=1
	s_or_b32 exec_lo, exec_lo, s24
	v_lshlrev_b32_e32 v2, 24, v0
	s_delay_alu instid0(VALU_DEP_2) | instskip(SKIP_1) | instid1(VALU_DEP_3)
	v_lshlrev_b32_e32 v3, 20, v86
	v_lshl_add_u32 v1, v1, 23, 0x3c000000
	v_and_b32_e32 v2, 0x80000000, v2
	s_delay_alu instid0(VALU_DEP_1)
	v_or3_b32 v86, v3, v2, v1
	scratch_store_b64 off, v[86:87], s32 offset:464 ; 8-byte Folded Spill
.LBB253_144:                            ;   in Loop: Header=BB253_10 Depth=1
	s_or_b32 exec_lo, exec_lo, s23
.LBB253_145:                            ;   in Loop: Header=BB253_10 Depth=1
	s_delay_alu instid0(SALU_CYCLE_1)
	s_or_b32 exec_lo, exec_lo, s18
.LBB253_146:                            ;   in Loop: Header=BB253_10 Depth=1
	s_delay_alu instid0(SALU_CYCLE_1) | instskip(SKIP_2) | instid1(VALU_DEP_1)
	s_or_b32 exec_lo, exec_lo, s3
	v_lshrrev_b16 v1, 8, v0
	s_mov_b32 s3, exec_lo
	v_cmpx_ne_u16_e32 0, v1
	s_cbranch_execz .LBB253_154
; %bb.147:                              ;   in Loop: Header=BB253_10 Depth=1
	v_dual_mov_b32 v2, s8 :: v_dual_mov_b32 v3, s9
	s_mov_b32 s23, exec_lo
	scratch_store_b64 off, v[2:3], s32 offset:456 ; 8-byte Folded Spill
	v_cmpx_ne_u16_e32 0x80, v1
	s_cbranch_execz .LBB253_153
; %bb.148:                              ;   in Loop: Header=BB253_10 Depth=1
	s_mov_b32 s18, s8
	v_and_b32_e32 v1, 0xffff, v1
	v_dual_mov_b32 v3, s18 :: v_dual_mov_b32 v4, s19
	s_mov_b32 s18, exec_lo
	s_delay_alu instid0(VALU_DEP_2)
	v_and_b32_e32 v2, 0x7f, v1
	scratch_store_b64 off, v[3:4], s32 offset:456 ; 8-byte Folded Spill
	v_cmpx_ne_u32_e32 0x7f, v2
	s_cbranch_execz .LBB253_152
; %bb.149:                              ;   in Loop: Header=BB253_10 Depth=1
	v_and_b32_e32 v86, 7, v1
	v_lshrrev_b32_e32 v1, 3, v2
	s_mov_b32 s24, exec_lo
	v_cmpx_gt_u32_e32 8, v2
; %bb.150:                              ;   in Loop: Header=BB253_10 Depth=1
	s_delay_alu instid0(VALU_DEP_3) | instskip(NEXT) | instid1(VALU_DEP_1)
	v_clz_i32_u32_e32 v1, v86
	v_min_u32_e32 v1, 32, v1
	s_delay_alu instid0(VALU_DEP_1) | instskip(SKIP_1) | instid1(VALU_DEP_2)
	v_subrev_nc_u32_e32 v2, 28, v1
	v_sub_nc_u32_e32 v1, 29, v1
	v_lshlrev_b64 v[2:3], v2, v[86:87]
	s_delay_alu instid0(VALU_DEP_1)
	v_and_b32_e32 v86, 7, v2
; %bb.151:                              ;   in Loop: Header=BB253_10 Depth=1
	s_or_b32 exec_lo, exec_lo, s24
	v_lshlrev_b32_e32 v0, 16, v0
	s_delay_alu instid0(VALU_DEP_2) | instskip(SKIP_1) | instid1(VALU_DEP_3)
	v_lshlrev_b32_e32 v2, 20, v86
	v_lshl_add_u32 v1, v1, 23, 0x3c000000
	v_and_b32_e32 v0, 0x80000000, v0
	s_delay_alu instid0(VALU_DEP_1)
	v_or3_b32 v1, v2, v0, v1
	v_mov_b32_e32 v0, v87
	scratch_store_b64 off, v[0:1], s32 offset:456 ; 8-byte Folded Spill
.LBB253_152:                            ;   in Loop: Header=BB253_10 Depth=1
	s_or_b32 exec_lo, exec_lo, s18
.LBB253_153:                            ;   in Loop: Header=BB253_10 Depth=1
	s_delay_alu instid0(SALU_CYCLE_1)
	s_or_b32 exec_lo, exec_lo, s23
.LBB253_154:                            ;   in Loop: Header=BB253_10 Depth=1
	s_delay_alu instid0(SALU_CYCLE_1)
	s_or_b32 exec_lo, exec_lo, s3
	flat_load_u16 v0, v[156:157] offset:516
	v_mov_b32_e32 v2, 0
	v_mov_b32_e32 v3, 0
	s_mov_b32 s3, exec_lo
	s_waitcnt vmcnt(0) lgkmcnt(0)
	v_and_b32_e32 v1, 0xff, v0
	v_and_b32_e32 v0, 0xffff, v0
	s_clause 0x1
	scratch_store_b64 off, v[2:3], s32 offset:472
	scratch_store_b64 off, v[2:3], s32 offset:480
	v_cmpx_ne_u16_e32 0, v1
	s_cbranch_execz .LBB253_162
; %bb.155:                              ;   in Loop: Header=BB253_10 Depth=1
	v_and_b32_e32 v1, 0xff, v0
	s_delay_alu instid0(VALU_DEP_1)
	v_cmp_ne_u16_e64 s2, 0x80, v1
	v_bfrev_b32_e32 v1, 1
	v_mov_b32_e32 v2, 0
	scratch_store_b64 off, v[1:2], s32 offset:480 ; 8-byte Folded Spill
	s_and_saveexec_b32 s18, s2
	s_cbranch_execz .LBB253_161
; %bb.156:                              ;   in Loop: Header=BB253_10 Depth=1
	v_mov_b32_e32 v3, 0x7f800001
	v_and_b32_e32 v2, 0x7f, v0
	v_mov_b32_e32 v4, 0
	s_mov_b32 s23, exec_lo
	scratch_store_b64 off, v[3:4], s32 offset:480 ; 8-byte Folded Spill
	v_cmpx_ne_u32_e32 0x7f, v2
	s_cbranch_execz .LBB253_160
; %bb.157:                              ;   in Loop: Header=BB253_10 Depth=1
	v_and_b32_e32 v86, 7, v0
	v_lshrrev_b32_e32 v1, 3, v2
	s_mov_b32 s24, exec_lo
	v_cmpx_gt_u32_e32 8, v2
; %bb.158:                              ;   in Loop: Header=BB253_10 Depth=1
	s_delay_alu instid0(VALU_DEP_3) | instskip(NEXT) | instid1(VALU_DEP_1)
	v_clz_i32_u32_e32 v1, v86
	v_min_u32_e32 v1, 32, v1
	s_delay_alu instid0(VALU_DEP_1) | instskip(SKIP_1) | instid1(VALU_DEP_2)
	v_subrev_nc_u32_e32 v2, 28, v1
	v_sub_nc_u32_e32 v1, 29, v1
	v_lshlrev_b64 v[2:3], v2, v[86:87]
	s_delay_alu instid0(VALU_DEP_1)
	v_and_b32_e32 v86, 7, v2
; %bb.159:                              ;   in Loop: Header=BB253_10 Depth=1
	s_or_b32 exec_lo, exec_lo, s24
	v_lshlrev_b32_e32 v2, 24, v0
	s_delay_alu instid0(VALU_DEP_2) | instskip(SKIP_1) | instid1(VALU_DEP_3)
	v_lshlrev_b32_e32 v3, 20, v86
	v_lshl_add_u32 v1, v1, 23, 0x3c000000
	v_and_b32_e32 v2, 0x80000000, v2
	s_delay_alu instid0(VALU_DEP_1)
	v_or3_b32 v86, v3, v2, v1
	scratch_store_b64 off, v[86:87], s32 offset:480 ; 8-byte Folded Spill
.LBB253_160:                            ;   in Loop: Header=BB253_10 Depth=1
	s_or_b32 exec_lo, exec_lo, s23
.LBB253_161:                            ;   in Loop: Header=BB253_10 Depth=1
	s_delay_alu instid0(SALU_CYCLE_1)
	s_or_b32 exec_lo, exec_lo, s18
.LBB253_162:                            ;   in Loop: Header=BB253_10 Depth=1
	s_delay_alu instid0(SALU_CYCLE_1) | instskip(SKIP_2) | instid1(VALU_DEP_1)
	s_or_b32 exec_lo, exec_lo, s3
	v_lshrrev_b16 v1, 8, v0
	s_mov_b32 s3, exec_lo
	v_cmpx_ne_u16_e32 0, v1
	s_cbranch_execz .LBB253_170
; %bb.163:                              ;   in Loop: Header=BB253_10 Depth=1
	v_dual_mov_b32 v2, s8 :: v_dual_mov_b32 v3, s9
	s_mov_b32 s23, exec_lo
	scratch_store_b64 off, v[2:3], s32 offset:472 ; 8-byte Folded Spill
	v_cmpx_ne_u16_e32 0x80, v1
	s_cbranch_execz .LBB253_169
; %bb.164:                              ;   in Loop: Header=BB253_10 Depth=1
	s_mov_b32 s18, s8
	v_and_b32_e32 v1, 0xffff, v1
	v_dual_mov_b32 v3, s18 :: v_dual_mov_b32 v4, s19
	s_mov_b32 s18, exec_lo
	s_delay_alu instid0(VALU_DEP_2)
	v_and_b32_e32 v2, 0x7f, v1
	scratch_store_b64 off, v[3:4], s32 offset:472 ; 8-byte Folded Spill
	v_cmpx_ne_u32_e32 0x7f, v2
	s_cbranch_execz .LBB253_168
; %bb.165:                              ;   in Loop: Header=BB253_10 Depth=1
	v_and_b32_e32 v86, 7, v1
	v_lshrrev_b32_e32 v1, 3, v2
	s_mov_b32 s24, exec_lo
	v_cmpx_gt_u32_e32 8, v2
; %bb.166:                              ;   in Loop: Header=BB253_10 Depth=1
	s_delay_alu instid0(VALU_DEP_3) | instskip(NEXT) | instid1(VALU_DEP_1)
	v_clz_i32_u32_e32 v1, v86
	v_min_u32_e32 v1, 32, v1
	s_delay_alu instid0(VALU_DEP_1) | instskip(SKIP_1) | instid1(VALU_DEP_2)
	v_subrev_nc_u32_e32 v2, 28, v1
	v_sub_nc_u32_e32 v1, 29, v1
	v_lshlrev_b64 v[2:3], v2, v[86:87]
	s_delay_alu instid0(VALU_DEP_1)
	v_and_b32_e32 v86, 7, v2
; %bb.167:                              ;   in Loop: Header=BB253_10 Depth=1
	s_or_b32 exec_lo, exec_lo, s24
	v_lshlrev_b32_e32 v0, 16, v0
	s_delay_alu instid0(VALU_DEP_2) | instskip(SKIP_1) | instid1(VALU_DEP_3)
	v_lshlrev_b32_e32 v2, 20, v86
	v_lshl_add_u32 v1, v1, 23, 0x3c000000
	v_and_b32_e32 v0, 0x80000000, v0
	s_delay_alu instid0(VALU_DEP_1)
	v_or3_b32 v1, v2, v0, v1
	v_mov_b32_e32 v0, v87
	scratch_store_b64 off, v[0:1], s32 offset:472 ; 8-byte Folded Spill
.LBB253_168:                            ;   in Loop: Header=BB253_10 Depth=1
	s_or_b32 exec_lo, exec_lo, s18
.LBB253_169:                            ;   in Loop: Header=BB253_10 Depth=1
	s_delay_alu instid0(SALU_CYCLE_1)
	s_or_b32 exec_lo, exec_lo, s23
.LBB253_170:                            ;   in Loop: Header=BB253_10 Depth=1
	s_delay_alu instid0(SALU_CYCLE_1) | instskip(SKIP_1) | instid1(VALU_DEP_1)
	s_or_b32 exec_lo, exec_lo, s3
	v_add_co_u32 v2, s2, 0x200, v156
	v_add_co_ci_u32_e64 v3, s2, 0, v157, s2
	s_mov_b32 s3, exec_lo
	flat_load_u16 v0, v[2:3] offset:8
	v_mov_b32_e32 v4, 0
	v_mov_b32_e32 v5, 0
	s_waitcnt vmcnt(0) lgkmcnt(0)
	v_and_b32_e32 v1, 0xff, v0
	v_and_b32_e32 v0, 0xffff, v0
	s_clause 0x1
	scratch_store_b64 off, v[4:5], s32 offset:488
	scratch_store_b64 off, v[4:5], s32 offset:496
	v_cmpx_ne_u16_e32 0, v1
	s_cbranch_execz .LBB253_178
; %bb.171:                              ;   in Loop: Header=BB253_10 Depth=1
	v_bfrev_b32_e32 v4, 1
	v_and_b32_e32 v1, 0xff, v0
	v_mov_b32_e32 v5, 0
	s_mov_b32 s18, exec_lo
	scratch_store_b64 off, v[4:5], s32 offset:496 ; 8-byte Folded Spill
	v_cmpx_ne_u16_e32 0x80, v1
	s_cbranch_execz .LBB253_177
; %bb.172:                              ;   in Loop: Header=BB253_10 Depth=1
	v_mov_b32_e32 v5, 0x7f800001
	v_and_b32_e32 v4, 0x7f, v0
	v_mov_b32_e32 v6, 0
	s_mov_b32 s23, exec_lo
	scratch_store_b64 off, v[5:6], s32 offset:496 ; 8-byte Folded Spill
	v_cmpx_ne_u32_e32 0x7f, v4
	s_cbranch_execz .LBB253_176
; %bb.173:                              ;   in Loop: Header=BB253_10 Depth=1
	v_and_b32_e32 v86, 7, v0
	v_lshrrev_b32_e32 v1, 3, v4
	s_mov_b32 s24, exec_lo
	v_cmpx_gt_u32_e32 8, v4
; %bb.174:                              ;   in Loop: Header=BB253_10 Depth=1
	s_delay_alu instid0(VALU_DEP_3) | instskip(NEXT) | instid1(VALU_DEP_1)
	v_clz_i32_u32_e32 v1, v86
	v_min_u32_e32 v1, 32, v1
	s_delay_alu instid0(VALU_DEP_1) | instskip(SKIP_1) | instid1(VALU_DEP_2)
	v_subrev_nc_u32_e32 v4, 28, v1
	v_sub_nc_u32_e32 v1, 29, v1
	v_lshlrev_b64 v[4:5], v4, v[86:87]
	s_delay_alu instid0(VALU_DEP_1)
	v_and_b32_e32 v86, 7, v4
; %bb.175:                              ;   in Loop: Header=BB253_10 Depth=1
	s_or_b32 exec_lo, exec_lo, s24
	v_lshlrev_b32_e32 v4, 24, v0
	s_delay_alu instid0(VALU_DEP_2) | instskip(SKIP_1) | instid1(VALU_DEP_3)
	v_lshlrev_b32_e32 v5, 20, v86
	v_lshl_add_u32 v1, v1, 23, 0x3c000000
	v_and_b32_e32 v4, 0x80000000, v4
	s_delay_alu instid0(VALU_DEP_1)
	v_or3_b32 v86, v5, v4, v1
	scratch_store_b64 off, v[86:87], s32 offset:496 ; 8-byte Folded Spill
.LBB253_176:                            ;   in Loop: Header=BB253_10 Depth=1
	s_or_b32 exec_lo, exec_lo, s23
.LBB253_177:                            ;   in Loop: Header=BB253_10 Depth=1
	s_delay_alu instid0(SALU_CYCLE_1)
	s_or_b32 exec_lo, exec_lo, s18
.LBB253_178:                            ;   in Loop: Header=BB253_10 Depth=1
	s_delay_alu instid0(SALU_CYCLE_1) | instskip(SKIP_2) | instid1(VALU_DEP_1)
	s_or_b32 exec_lo, exec_lo, s3
	v_lshrrev_b16 v1, 8, v0
	s_mov_b32 s3, exec_lo
	v_cmpx_ne_u16_e32 0, v1
	s_cbranch_execz .LBB253_186
; %bb.179:                              ;   in Loop: Header=BB253_10 Depth=1
	v_dual_mov_b32 v4, s8 :: v_dual_mov_b32 v5, s9
	s_mov_b32 s23, exec_lo
	scratch_store_b64 off, v[4:5], s32 offset:488 ; 8-byte Folded Spill
	v_cmpx_ne_u16_e32 0x80, v1
	s_cbranch_execz .LBB253_185
; %bb.180:                              ;   in Loop: Header=BB253_10 Depth=1
	s_mov_b32 s18, s8
	v_and_b32_e32 v1, 0xffff, v1
	v_dual_mov_b32 v5, s18 :: v_dual_mov_b32 v6, s19
	s_mov_b32 s18, exec_lo
	s_delay_alu instid0(VALU_DEP_2)
	v_and_b32_e32 v4, 0x7f, v1
	scratch_store_b64 off, v[5:6], s32 offset:488 ; 8-byte Folded Spill
	v_cmpx_ne_u32_e32 0x7f, v4
	s_cbranch_execz .LBB253_184
; %bb.181:                              ;   in Loop: Header=BB253_10 Depth=1
	v_and_b32_e32 v86, 7, v1
	v_lshrrev_b32_e32 v1, 3, v4
	s_mov_b32 s24, exec_lo
	v_cmpx_gt_u32_e32 8, v4
; %bb.182:                              ;   in Loop: Header=BB253_10 Depth=1
	s_delay_alu instid0(VALU_DEP_3) | instskip(NEXT) | instid1(VALU_DEP_1)
	v_clz_i32_u32_e32 v1, v86
	v_min_u32_e32 v1, 32, v1
	s_delay_alu instid0(VALU_DEP_1) | instskip(SKIP_1) | instid1(VALU_DEP_2)
	v_subrev_nc_u32_e32 v4, 28, v1
	v_sub_nc_u32_e32 v1, 29, v1
	v_lshlrev_b64 v[4:5], v4, v[86:87]
	s_delay_alu instid0(VALU_DEP_1)
	v_and_b32_e32 v86, 7, v4
; %bb.183:                              ;   in Loop: Header=BB253_10 Depth=1
	s_or_b32 exec_lo, exec_lo, s24
	v_lshlrev_b32_e32 v0, 16, v0
	s_delay_alu instid0(VALU_DEP_2) | instskip(SKIP_1) | instid1(VALU_DEP_3)
	v_lshlrev_b32_e32 v4, 20, v86
	v_lshl_add_u32 v1, v1, 23, 0x3c000000
	v_and_b32_e32 v0, 0x80000000, v0
	s_delay_alu instid0(VALU_DEP_1)
	v_or3_b32 v1, v4, v0, v1
	v_mov_b32_e32 v0, v87
	scratch_store_b64 off, v[0:1], s32 offset:488 ; 8-byte Folded Spill
.LBB253_184:                            ;   in Loop: Header=BB253_10 Depth=1
	s_or_b32 exec_lo, exec_lo, s18
.LBB253_185:                            ;   in Loop: Header=BB253_10 Depth=1
	s_delay_alu instid0(SALU_CYCLE_1)
	s_or_b32 exec_lo, exec_lo, s23
.LBB253_186:                            ;   in Loop: Header=BB253_10 Depth=1
	s_delay_alu instid0(SALU_CYCLE_1)
	s_or_b32 exec_lo, exec_lo, s3
	flat_load_u16 v0, v[2:3] offset:12
	v_mov_b32_e32 v2, 0
	v_mov_b32_e32 v3, 0
	s_mov_b32 s3, exec_lo
	s_waitcnt vmcnt(0) lgkmcnt(0)
	v_and_b32_e32 v1, 0xff, v0
	v_and_b32_e32 v0, 0xffff, v0
	s_clause 0x1
	scratch_store_b64 off, v[2:3], s32 offset:504
	scratch_store_b64 off, v[2:3], s32 offset:512
	v_cmpx_ne_u16_e32 0, v1
	s_cbranch_execz .LBB253_194
; %bb.187:                              ;   in Loop: Header=BB253_10 Depth=1
	v_and_b32_e32 v1, 0xff, v0
	s_delay_alu instid0(VALU_DEP_1)
	v_cmp_ne_u16_e64 s2, 0x80, v1
	v_bfrev_b32_e32 v1, 1
	v_mov_b32_e32 v2, 0
	scratch_store_b64 off, v[1:2], s32 offset:512 ; 8-byte Folded Spill
	s_and_saveexec_b32 s18, s2
	s_cbranch_execz .LBB253_193
; %bb.188:                              ;   in Loop: Header=BB253_10 Depth=1
	v_mov_b32_e32 v3, 0x7f800001
	v_and_b32_e32 v2, 0x7f, v0
	v_mov_b32_e32 v4, 0
	s_mov_b32 s23, exec_lo
	scratch_store_b64 off, v[3:4], s32 offset:512 ; 8-byte Folded Spill
	v_cmpx_ne_u32_e32 0x7f, v2
	s_cbranch_execz .LBB253_192
; %bb.189:                              ;   in Loop: Header=BB253_10 Depth=1
	v_and_b32_e32 v86, 7, v0
	v_lshrrev_b32_e32 v1, 3, v2
	s_mov_b32 s24, exec_lo
	v_cmpx_gt_u32_e32 8, v2
; %bb.190:                              ;   in Loop: Header=BB253_10 Depth=1
	s_delay_alu instid0(VALU_DEP_3) | instskip(NEXT) | instid1(VALU_DEP_1)
	v_clz_i32_u32_e32 v1, v86
	v_min_u32_e32 v1, 32, v1
	s_delay_alu instid0(VALU_DEP_1) | instskip(SKIP_1) | instid1(VALU_DEP_2)
	v_subrev_nc_u32_e32 v2, 28, v1
	v_sub_nc_u32_e32 v1, 29, v1
	v_lshlrev_b64 v[2:3], v2, v[86:87]
	s_delay_alu instid0(VALU_DEP_1)
	v_and_b32_e32 v86, 7, v2
; %bb.191:                              ;   in Loop: Header=BB253_10 Depth=1
	s_or_b32 exec_lo, exec_lo, s24
	v_lshlrev_b32_e32 v2, 24, v0
	s_delay_alu instid0(VALU_DEP_2) | instskip(SKIP_1) | instid1(VALU_DEP_3)
	v_lshlrev_b32_e32 v3, 20, v86
	v_lshl_add_u32 v1, v1, 23, 0x3c000000
	v_and_b32_e32 v2, 0x80000000, v2
	s_delay_alu instid0(VALU_DEP_1)
	v_or3_b32 v86, v3, v2, v1
	scratch_store_b64 off, v[86:87], s32 offset:512 ; 8-byte Folded Spill
.LBB253_192:                            ;   in Loop: Header=BB253_10 Depth=1
	s_or_b32 exec_lo, exec_lo, s23
.LBB253_193:                            ;   in Loop: Header=BB253_10 Depth=1
	s_delay_alu instid0(SALU_CYCLE_1)
	s_or_b32 exec_lo, exec_lo, s18
.LBB253_194:                            ;   in Loop: Header=BB253_10 Depth=1
	s_delay_alu instid0(SALU_CYCLE_1) | instskip(SKIP_2) | instid1(VALU_DEP_1)
	s_or_b32 exec_lo, exec_lo, s3
	v_lshrrev_b16 v1, 8, v0
	s_mov_b32 s3, exec_lo
	v_cmpx_ne_u16_e32 0, v1
	s_cbranch_execz .LBB253_202
; %bb.195:                              ;   in Loop: Header=BB253_10 Depth=1
	v_dual_mov_b32 v2, s8 :: v_dual_mov_b32 v3, s9
	s_mov_b32 s23, exec_lo
	scratch_store_b64 off, v[2:3], s32 offset:504 ; 8-byte Folded Spill
	v_cmpx_ne_u16_e32 0x80, v1
	s_cbranch_execz .LBB253_201
; %bb.196:                              ;   in Loop: Header=BB253_10 Depth=1
	s_mov_b32 s18, s8
	v_and_b32_e32 v1, 0xffff, v1
	v_dual_mov_b32 v3, s18 :: v_dual_mov_b32 v4, s19
	s_mov_b32 s18, exec_lo
	s_delay_alu instid0(VALU_DEP_2)
	v_and_b32_e32 v2, 0x7f, v1
	scratch_store_b64 off, v[3:4], s32 offset:504 ; 8-byte Folded Spill
	v_cmpx_ne_u32_e32 0x7f, v2
	s_cbranch_execz .LBB253_200
; %bb.197:                              ;   in Loop: Header=BB253_10 Depth=1
	v_and_b32_e32 v86, 7, v1
	v_lshrrev_b32_e32 v1, 3, v2
	s_mov_b32 s24, exec_lo
	v_cmpx_gt_u32_e32 8, v2
; %bb.198:                              ;   in Loop: Header=BB253_10 Depth=1
	s_delay_alu instid0(VALU_DEP_3) | instskip(NEXT) | instid1(VALU_DEP_1)
	v_clz_i32_u32_e32 v1, v86
	v_min_u32_e32 v1, 32, v1
	s_delay_alu instid0(VALU_DEP_1) | instskip(SKIP_1) | instid1(VALU_DEP_2)
	v_subrev_nc_u32_e32 v2, 28, v1
	v_sub_nc_u32_e32 v1, 29, v1
	v_lshlrev_b64 v[2:3], v2, v[86:87]
	s_delay_alu instid0(VALU_DEP_1)
	v_and_b32_e32 v86, 7, v2
; %bb.199:                              ;   in Loop: Header=BB253_10 Depth=1
	s_or_b32 exec_lo, exec_lo, s24
	v_lshlrev_b32_e32 v0, 16, v0
	s_delay_alu instid0(VALU_DEP_2) | instskip(SKIP_1) | instid1(VALU_DEP_3)
	v_lshlrev_b32_e32 v2, 20, v86
	v_lshl_add_u32 v1, v1, 23, 0x3c000000
	v_and_b32_e32 v0, 0x80000000, v0
	s_delay_alu instid0(VALU_DEP_1)
	v_or3_b32 v1, v2, v0, v1
	v_mov_b32_e32 v0, v87
	scratch_store_b64 off, v[0:1], s32 offset:504 ; 8-byte Folded Spill
.LBB253_200:                            ;   in Loop: Header=BB253_10 Depth=1
	s_or_b32 exec_lo, exec_lo, s18
.LBB253_201:                            ;   in Loop: Header=BB253_10 Depth=1
	s_delay_alu instid0(SALU_CYCLE_1)
	s_or_b32 exec_lo, exec_lo, s23
.LBB253_202:                            ;   in Loop: Header=BB253_10 Depth=1
	s_delay_alu instid0(SALU_CYCLE_1)
	s_or_b32 exec_lo, exec_lo, s3
	flat_load_u16 v0, v[156:157] offset:768
	v_mov_b32_e32 v26, 0
	v_mov_b32_e32 v27, 0
	s_mov_b32 s3, exec_lo
	s_waitcnt vmcnt(0) lgkmcnt(0)
	v_and_b32_e32 v1, 0xff, v0
	v_and_b32_e32 v0, 0xffff, v0
	scratch_store_b64 off, v[26:27], s32 offset:520 ; 8-byte Folded Spill
	v_cmpx_ne_u16_e32 0, v1
	s_cbranch_execz .LBB253_210
; %bb.203:                              ;   in Loop: Header=BB253_10 Depth=1
	v_and_b32_e32 v1, 0xff, v0
	s_delay_alu instid0(VALU_DEP_1)
	v_cmp_ne_u16_e64 s2, 0x80, v1
	v_bfrev_b32_e32 v1, 1
	v_mov_b32_e32 v2, 0
	scratch_store_b64 off, v[1:2], s32 offset:520 ; 8-byte Folded Spill
	s_and_saveexec_b32 s18, s2
	s_cbranch_execz .LBB253_209
; %bb.204:                              ;   in Loop: Header=BB253_10 Depth=1
	v_mov_b32_e32 v3, 0x7f800001
	v_and_b32_e32 v2, 0x7f, v0
	v_mov_b32_e32 v4, 0
	s_mov_b32 s23, exec_lo
	scratch_store_b64 off, v[3:4], s32 offset:520 ; 8-byte Folded Spill
	v_cmpx_ne_u32_e32 0x7f, v2
	s_cbranch_execz .LBB253_208
; %bb.205:                              ;   in Loop: Header=BB253_10 Depth=1
	v_and_b32_e32 v86, 7, v0
	v_lshrrev_b32_e32 v1, 3, v2
	s_mov_b32 s24, exec_lo
	v_cmpx_gt_u32_e32 8, v2
; %bb.206:                              ;   in Loop: Header=BB253_10 Depth=1
	s_delay_alu instid0(VALU_DEP_3) | instskip(NEXT) | instid1(VALU_DEP_1)
	v_clz_i32_u32_e32 v1, v86
	v_min_u32_e32 v1, 32, v1
	s_delay_alu instid0(VALU_DEP_1) | instskip(SKIP_1) | instid1(VALU_DEP_2)
	v_subrev_nc_u32_e32 v2, 28, v1
	v_sub_nc_u32_e32 v1, 29, v1
	v_lshlrev_b64 v[2:3], v2, v[86:87]
	s_delay_alu instid0(VALU_DEP_1)
	v_and_b32_e32 v86, 7, v2
; %bb.207:                              ;   in Loop: Header=BB253_10 Depth=1
	s_or_b32 exec_lo, exec_lo, s24
	v_lshlrev_b32_e32 v2, 24, v0
	s_delay_alu instid0(VALU_DEP_2) | instskip(SKIP_1) | instid1(VALU_DEP_3)
	v_lshlrev_b32_e32 v3, 20, v86
	v_lshl_add_u32 v1, v1, 23, 0x3c000000
	v_and_b32_e32 v2, 0x80000000, v2
	s_delay_alu instid0(VALU_DEP_1)
	v_or3_b32 v86, v3, v2, v1
	scratch_store_b64 off, v[86:87], s32 offset:520 ; 8-byte Folded Spill
.LBB253_208:                            ;   in Loop: Header=BB253_10 Depth=1
	s_or_b32 exec_lo, exec_lo, s23
.LBB253_209:                            ;   in Loop: Header=BB253_10 Depth=1
	s_delay_alu instid0(SALU_CYCLE_1)
	s_or_b32 exec_lo, exec_lo, s18
.LBB253_210:                            ;   in Loop: Header=BB253_10 Depth=1
	s_delay_alu instid0(SALU_CYCLE_1) | instskip(SKIP_2) | instid1(VALU_DEP_1)
	s_or_b32 exec_lo, exec_lo, s3
	v_lshrrev_b16 v1, 8, v0
	s_mov_b32 s3, exec_lo
	v_cmpx_ne_u16_e32 0, v1
	s_cbranch_execz .LBB253_218
; %bb.211:                              ;   in Loop: Header=BB253_10 Depth=1
	v_dual_mov_b32 v27, s9 :: v_dual_mov_b32 v26, s8
	s_mov_b32 s23, exec_lo
	v_cmpx_ne_u16_e32 0x80, v1
	s_cbranch_execz .LBB253_217
; %bb.212:                              ;   in Loop: Header=BB253_10 Depth=1
	s_mov_b32 s18, s8
	v_and_b32_e32 v1, 0xffff, v1
	v_dual_mov_b32 v27, s19 :: v_dual_mov_b32 v26, s18
	s_mov_b32 s18, exec_lo
	s_delay_alu instid0(VALU_DEP_2) | instskip(NEXT) | instid1(VALU_DEP_1)
	v_and_b32_e32 v2, 0x7f, v1
	v_cmpx_ne_u32_e32 0x7f, v2
	s_cbranch_execz .LBB253_216
; %bb.213:                              ;   in Loop: Header=BB253_10 Depth=1
	v_and_b32_e32 v86, 7, v1
	v_lshrrev_b32_e32 v1, 3, v2
	s_mov_b32 s24, exec_lo
	v_cmpx_gt_u32_e32 8, v2
; %bb.214:                              ;   in Loop: Header=BB253_10 Depth=1
	s_delay_alu instid0(VALU_DEP_3) | instskip(NEXT) | instid1(VALU_DEP_1)
	v_clz_i32_u32_e32 v1, v86
	v_min_u32_e32 v1, 32, v1
	s_delay_alu instid0(VALU_DEP_1) | instskip(SKIP_1) | instid1(VALU_DEP_2)
	v_subrev_nc_u32_e32 v2, 28, v1
	v_sub_nc_u32_e32 v1, 29, v1
	v_lshlrev_b64 v[2:3], v2, v[86:87]
	s_delay_alu instid0(VALU_DEP_1)
	v_and_b32_e32 v86, 7, v2
; %bb.215:                              ;   in Loop: Header=BB253_10 Depth=1
	s_or_b32 exec_lo, exec_lo, s24
	v_lshlrev_b32_e32 v0, 16, v0
	s_delay_alu instid0(VALU_DEP_2) | instskip(SKIP_2) | instid1(VALU_DEP_4)
	v_lshlrev_b32_e32 v2, 20, v86
	v_lshl_add_u32 v1, v1, 23, 0x3c000000
	v_mov_b32_e32 v26, v87
	v_and_b32_e32 v0, 0x80000000, v0
	s_delay_alu instid0(VALU_DEP_1)
	v_or3_b32 v27, v2, v0, v1
.LBB253_216:                            ;   in Loop: Header=BB253_10 Depth=1
	s_or_b32 exec_lo, exec_lo, s18
.LBB253_217:                            ;   in Loop: Header=BB253_10 Depth=1
	s_delay_alu instid0(SALU_CYCLE_1)
	s_or_b32 exec_lo, exec_lo, s23
.LBB253_218:                            ;   in Loop: Header=BB253_10 Depth=1
	s_delay_alu instid0(SALU_CYCLE_1)
	s_or_b32 exec_lo, exec_lo, s3
	flat_load_u16 v0, v[156:157] offset:772
	v_mov_b32_e32 v6, 0
	v_mov_b32_e32 v7, 0
	s_mov_b32 s3, exec_lo
	s_waitcnt vmcnt(0) lgkmcnt(0)
	v_and_b32_e32 v1, 0xff, v0
	v_and_b32_e32 v0, 0xffff, v0
	scratch_store_b64 off, v[6:7], s32 offset:528 ; 8-byte Folded Spill
	v_cmpx_ne_u16_e32 0, v1
	s_cbranch_execz .LBB253_226
; %bb.219:                              ;   in Loop: Header=BB253_10 Depth=1
	v_and_b32_e32 v1, 0xff, v0
	s_delay_alu instid0(VALU_DEP_1)
	v_cmp_ne_u16_e64 s2, 0x80, v1
	v_bfrev_b32_e32 v1, 1
	v_mov_b32_e32 v2, 0
	scratch_store_b64 off, v[1:2], s32 offset:528 ; 8-byte Folded Spill
	s_and_saveexec_b32 s18, s2
	s_cbranch_execz .LBB253_225
; %bb.220:                              ;   in Loop: Header=BB253_10 Depth=1
	v_mov_b32_e32 v3, 0x7f800001
	v_and_b32_e32 v2, 0x7f, v0
	v_mov_b32_e32 v4, 0
	s_mov_b32 s23, exec_lo
	scratch_store_b64 off, v[3:4], s32 offset:528 ; 8-byte Folded Spill
	v_cmpx_ne_u32_e32 0x7f, v2
	s_cbranch_execz .LBB253_224
; %bb.221:                              ;   in Loop: Header=BB253_10 Depth=1
	v_and_b32_e32 v86, 7, v0
	v_lshrrev_b32_e32 v1, 3, v2
	s_mov_b32 s24, exec_lo
	v_cmpx_gt_u32_e32 8, v2
; %bb.222:                              ;   in Loop: Header=BB253_10 Depth=1
	s_delay_alu instid0(VALU_DEP_3) | instskip(NEXT) | instid1(VALU_DEP_1)
	v_clz_i32_u32_e32 v1, v86
	v_min_u32_e32 v1, 32, v1
	s_delay_alu instid0(VALU_DEP_1) | instskip(SKIP_1) | instid1(VALU_DEP_2)
	v_subrev_nc_u32_e32 v2, 28, v1
	v_sub_nc_u32_e32 v1, 29, v1
	v_lshlrev_b64 v[2:3], v2, v[86:87]
	s_delay_alu instid0(VALU_DEP_1)
	v_and_b32_e32 v86, 7, v2
; %bb.223:                              ;   in Loop: Header=BB253_10 Depth=1
	s_or_b32 exec_lo, exec_lo, s24
	v_lshlrev_b32_e32 v2, 24, v0
	s_delay_alu instid0(VALU_DEP_2) | instskip(SKIP_1) | instid1(VALU_DEP_3)
	v_lshlrev_b32_e32 v3, 20, v86
	v_lshl_add_u32 v1, v1, 23, 0x3c000000
	v_and_b32_e32 v2, 0x80000000, v2
	s_delay_alu instid0(VALU_DEP_1)
	v_or3_b32 v86, v3, v2, v1
	scratch_store_b64 off, v[86:87], s32 offset:528 ; 8-byte Folded Spill
.LBB253_224:                            ;   in Loop: Header=BB253_10 Depth=1
	s_or_b32 exec_lo, exec_lo, s23
.LBB253_225:                            ;   in Loop: Header=BB253_10 Depth=1
	s_delay_alu instid0(SALU_CYCLE_1)
	s_or_b32 exec_lo, exec_lo, s18
.LBB253_226:                            ;   in Loop: Header=BB253_10 Depth=1
	s_delay_alu instid0(SALU_CYCLE_1) | instskip(SKIP_2) | instid1(VALU_DEP_1)
	s_or_b32 exec_lo, exec_lo, s3
	v_lshrrev_b16 v1, 8, v0
	s_mov_b32 s3, exec_lo
	v_cmpx_ne_u16_e32 0, v1
	s_cbranch_execz .LBB253_234
; %bb.227:                              ;   in Loop: Header=BB253_10 Depth=1
	v_dual_mov_b32 v6, s8 :: v_dual_mov_b32 v7, s9
	s_mov_b32 s23, exec_lo
	v_cmpx_ne_u16_e32 0x80, v1
	s_cbranch_execz .LBB253_233
; %bb.228:                              ;   in Loop: Header=BB253_10 Depth=1
	s_mov_b32 s18, s8
	s_delay_alu instid0(SALU_CYCLE_1) | instskip(SKIP_2) | instid1(VALU_DEP_2)
	v_dual_mov_b32 v6, s18 :: v_dual_and_b32 v1, 0xffff, v1
	v_mov_b32_e32 v7, s19
	s_mov_b32 s18, exec_lo
	v_and_b32_e32 v2, 0x7f, v1
	s_delay_alu instid0(VALU_DEP_1)
	v_cmpx_ne_u32_e32 0x7f, v2
	s_cbranch_execz .LBB253_232
; %bb.229:                              ;   in Loop: Header=BB253_10 Depth=1
	v_and_b32_e32 v86, 7, v1
	v_lshrrev_b32_e32 v1, 3, v2
	s_mov_b32 s24, exec_lo
	v_cmpx_gt_u32_e32 8, v2
; %bb.230:                              ;   in Loop: Header=BB253_10 Depth=1
	s_delay_alu instid0(VALU_DEP_3) | instskip(NEXT) | instid1(VALU_DEP_1)
	v_clz_i32_u32_e32 v1, v86
	v_min_u32_e32 v1, 32, v1
	s_delay_alu instid0(VALU_DEP_1) | instskip(SKIP_1) | instid1(VALU_DEP_2)
	v_subrev_nc_u32_e32 v2, 28, v1
	v_sub_nc_u32_e32 v1, 29, v1
	v_lshlrev_b64 v[2:3], v2, v[86:87]
	s_delay_alu instid0(VALU_DEP_1)
	v_and_b32_e32 v86, 7, v2
; %bb.231:                              ;   in Loop: Header=BB253_10 Depth=1
	s_or_b32 exec_lo, exec_lo, s24
	v_lshlrev_b32_e32 v0, 16, v0
	s_delay_alu instid0(VALU_DEP_2) | instskip(SKIP_2) | instid1(VALU_DEP_4)
	v_lshlrev_b32_e32 v2, 20, v86
	v_lshl_add_u32 v1, v1, 23, 0x3c000000
	v_mov_b32_e32 v6, v87
	v_and_b32_e32 v0, 0x80000000, v0
	s_delay_alu instid0(VALU_DEP_1)
	v_or3_b32 v7, v2, v0, v1
.LBB253_232:                            ;   in Loop: Header=BB253_10 Depth=1
	s_or_b32 exec_lo, exec_lo, s18
.LBB253_233:                            ;   in Loop: Header=BB253_10 Depth=1
	s_delay_alu instid0(SALU_CYCLE_1)
	s_or_b32 exec_lo, exec_lo, s23
.LBB253_234:                            ;   in Loop: Header=BB253_10 Depth=1
	s_delay_alu instid0(SALU_CYCLE_1) | instskip(SKIP_1) | instid1(VALU_DEP_1)
	s_or_b32 exec_lo, exec_lo, s3
	v_add_co_u32 v2, s2, 0x300, v156
	v_add_co_ci_u32_e64 v3, s2, 0, v157, s2
	s_mov_b32 s3, exec_lo
	flat_load_u16 v0, v[2:3] offset:8
	v_mov_b32_e32 v16, 0
	v_mov_b32_e32 v17, 0
	s_waitcnt vmcnt(0) lgkmcnt(0)
	v_and_b32_e32 v1, 0xff, v0
	v_and_b32_e32 v0, 0xffff, v0
	scratch_store_b64 off, v[16:17], s32 offset:536 ; 8-byte Folded Spill
	v_cmpx_ne_u16_e32 0, v1
	s_cbranch_execz .LBB253_242
; %bb.235:                              ;   in Loop: Header=BB253_10 Depth=1
	v_bfrev_b32_e32 v4, 1
	v_and_b32_e32 v1, 0xff, v0
	v_mov_b32_e32 v5, 0
	s_mov_b32 s18, exec_lo
	scratch_store_b64 off, v[4:5], s32 offset:536 ; 8-byte Folded Spill
	v_cmpx_ne_u16_e32 0x80, v1
	s_cbranch_execz .LBB253_241
; %bb.236:                              ;   in Loop: Header=BB253_10 Depth=1
	v_mov_b32_e32 v8, 0x7f800001
	v_dual_mov_b32 v9, 0 :: v_dual_and_b32 v4, 0x7f, v0
	s_mov_b32 s23, exec_lo
	scratch_store_b64 off, v[8:9], s32 offset:536 ; 8-byte Folded Spill
	v_cmpx_ne_u32_e32 0x7f, v4
	s_cbranch_execz .LBB253_240
; %bb.237:                              ;   in Loop: Header=BB253_10 Depth=1
	v_and_b32_e32 v86, 7, v0
	v_lshrrev_b32_e32 v1, 3, v4
	s_mov_b32 s24, exec_lo
	v_cmpx_gt_u32_e32 8, v4
; %bb.238:                              ;   in Loop: Header=BB253_10 Depth=1
	s_delay_alu instid0(VALU_DEP_3) | instskip(NEXT) | instid1(VALU_DEP_1)
	v_clz_i32_u32_e32 v1, v86
	v_min_u32_e32 v1, 32, v1
	s_delay_alu instid0(VALU_DEP_1) | instskip(SKIP_1) | instid1(VALU_DEP_2)
	v_subrev_nc_u32_e32 v4, 28, v1
	v_sub_nc_u32_e32 v1, 29, v1
	v_lshlrev_b64 v[4:5], v4, v[86:87]
	s_delay_alu instid0(VALU_DEP_1)
	v_and_b32_e32 v86, 7, v4
; %bb.239:                              ;   in Loop: Header=BB253_10 Depth=1
	s_or_b32 exec_lo, exec_lo, s24
	v_lshlrev_b32_e32 v4, 24, v0
	s_delay_alu instid0(VALU_DEP_2) | instskip(SKIP_1) | instid1(VALU_DEP_3)
	v_lshlrev_b32_e32 v5, 20, v86
	v_lshl_add_u32 v1, v1, 23, 0x3c000000
	v_and_b32_e32 v4, 0x80000000, v4
	s_delay_alu instid0(VALU_DEP_1)
	v_or3_b32 v86, v5, v4, v1
	scratch_store_b64 off, v[86:87], s32 offset:536 ; 8-byte Folded Spill
.LBB253_240:                            ;   in Loop: Header=BB253_10 Depth=1
	s_or_b32 exec_lo, exec_lo, s23
.LBB253_241:                            ;   in Loop: Header=BB253_10 Depth=1
	s_delay_alu instid0(SALU_CYCLE_1)
	s_or_b32 exec_lo, exec_lo, s18
.LBB253_242:                            ;   in Loop: Header=BB253_10 Depth=1
	s_delay_alu instid0(SALU_CYCLE_1) | instskip(SKIP_2) | instid1(VALU_DEP_1)
	s_or_b32 exec_lo, exec_lo, s3
	v_lshrrev_b16 v1, 8, v0
	s_mov_b32 s3, exec_lo
	v_cmpx_ne_u16_e32 0, v1
	s_cbranch_execz .LBB253_250
; %bb.243:                              ;   in Loop: Header=BB253_10 Depth=1
	v_dual_mov_b32 v17, s9 :: v_dual_mov_b32 v16, s8
	s_mov_b32 s23, exec_lo
	v_cmpx_ne_u16_e32 0x80, v1
	s_cbranch_execz .LBB253_249
; %bb.244:                              ;   in Loop: Header=BB253_10 Depth=1
	s_mov_b32 s18, s8
	s_delay_alu instid0(SALU_CYCLE_1) | instskip(SKIP_2) | instid1(VALU_DEP_2)
	v_dual_mov_b32 v16, s18 :: v_dual_and_b32 v1, 0xffff, v1
	v_mov_b32_e32 v17, s19
	s_mov_b32 s18, exec_lo
	v_and_b32_e32 v4, 0x7f, v1
	s_delay_alu instid0(VALU_DEP_1)
	v_cmpx_ne_u32_e32 0x7f, v4
	s_cbranch_execz .LBB253_248
; %bb.245:                              ;   in Loop: Header=BB253_10 Depth=1
	v_and_b32_e32 v86, 7, v1
	v_lshrrev_b32_e32 v1, 3, v4
	s_mov_b32 s24, exec_lo
	v_cmpx_gt_u32_e32 8, v4
; %bb.246:                              ;   in Loop: Header=BB253_10 Depth=1
	s_delay_alu instid0(VALU_DEP_3) | instskip(NEXT) | instid1(VALU_DEP_1)
	v_clz_i32_u32_e32 v1, v86
	v_min_u32_e32 v1, 32, v1
	s_delay_alu instid0(VALU_DEP_1) | instskip(SKIP_1) | instid1(VALU_DEP_2)
	v_subrev_nc_u32_e32 v4, 28, v1
	v_sub_nc_u32_e32 v1, 29, v1
	v_lshlrev_b64 v[4:5], v4, v[86:87]
	s_delay_alu instid0(VALU_DEP_1)
	v_and_b32_e32 v86, 7, v4
; %bb.247:                              ;   in Loop: Header=BB253_10 Depth=1
	s_or_b32 exec_lo, exec_lo, s24
	v_lshlrev_b32_e32 v0, 16, v0
	s_delay_alu instid0(VALU_DEP_2) | instskip(SKIP_2) | instid1(VALU_DEP_4)
	v_lshlrev_b32_e32 v4, 20, v86
	v_lshl_add_u32 v1, v1, 23, 0x3c000000
	v_mov_b32_e32 v16, v87
	v_and_b32_e32 v0, 0x80000000, v0
	s_delay_alu instid0(VALU_DEP_1)
	v_or3_b32 v17, v4, v0, v1
.LBB253_248:                            ;   in Loop: Header=BB253_10 Depth=1
	s_or_b32 exec_lo, exec_lo, s18
.LBB253_249:                            ;   in Loop: Header=BB253_10 Depth=1
	s_delay_alu instid0(SALU_CYCLE_1)
	s_or_b32 exec_lo, exec_lo, s23
.LBB253_250:                            ;   in Loop: Header=BB253_10 Depth=1
	s_delay_alu instid0(SALU_CYCLE_1)
	s_or_b32 exec_lo, exec_lo, s3
	flat_load_u16 v0, v[2:3] offset:12
	v_mov_b32_e32 v28, 0
	v_mov_b32_e32 v29, 0
	s_mov_b32 s3, exec_lo
	s_waitcnt vmcnt(0) lgkmcnt(0)
	v_and_b32_e32 v1, 0xff, v0
	v_and_b32_e32 v0, 0xffff, v0
	scratch_store_b64 off, v[28:29], s32 offset:544 ; 8-byte Folded Spill
	v_cmpx_ne_u16_e32 0, v1
	s_cbranch_execz .LBB253_258
; %bb.251:                              ;   in Loop: Header=BB253_10 Depth=1
	v_and_b32_e32 v1, 0xff, v0
	s_delay_alu instid0(VALU_DEP_1)
	v_cmp_ne_u16_e64 s2, 0x80, v1
	v_bfrev_b32_e32 v1, 1
	v_mov_b32_e32 v2, 0
	scratch_store_b64 off, v[1:2], s32 offset:544 ; 8-byte Folded Spill
	s_and_saveexec_b32 s18, s2
	s_cbranch_execz .LBB253_257
; %bb.252:                              ;   in Loop: Header=BB253_10 Depth=1
	v_mov_b32_e32 v3, 0x7f800001
	v_and_b32_e32 v2, 0x7f, v0
	v_mov_b32_e32 v4, 0
	s_mov_b32 s23, exec_lo
	scratch_store_b64 off, v[3:4], s32 offset:544 ; 8-byte Folded Spill
	v_cmpx_ne_u32_e32 0x7f, v2
	s_cbranch_execz .LBB253_256
; %bb.253:                              ;   in Loop: Header=BB253_10 Depth=1
	v_and_b32_e32 v86, 7, v0
	v_lshrrev_b32_e32 v1, 3, v2
	s_mov_b32 s24, exec_lo
	v_cmpx_gt_u32_e32 8, v2
; %bb.254:                              ;   in Loop: Header=BB253_10 Depth=1
	s_delay_alu instid0(VALU_DEP_3) | instskip(NEXT) | instid1(VALU_DEP_1)
	v_clz_i32_u32_e32 v1, v86
	v_min_u32_e32 v1, 32, v1
	s_delay_alu instid0(VALU_DEP_1) | instskip(SKIP_1) | instid1(VALU_DEP_2)
	v_subrev_nc_u32_e32 v2, 28, v1
	v_sub_nc_u32_e32 v1, 29, v1
	v_lshlrev_b64 v[2:3], v2, v[86:87]
	s_delay_alu instid0(VALU_DEP_1)
	v_and_b32_e32 v86, 7, v2
; %bb.255:                              ;   in Loop: Header=BB253_10 Depth=1
	s_or_b32 exec_lo, exec_lo, s24
	v_lshlrev_b32_e32 v2, 24, v0
	s_delay_alu instid0(VALU_DEP_2) | instskip(SKIP_1) | instid1(VALU_DEP_3)
	v_lshlrev_b32_e32 v3, 20, v86
	v_lshl_add_u32 v1, v1, 23, 0x3c000000
	v_and_b32_e32 v2, 0x80000000, v2
	s_delay_alu instid0(VALU_DEP_1)
	v_or3_b32 v86, v3, v2, v1
	scratch_store_b64 off, v[86:87], s32 offset:544 ; 8-byte Folded Spill
.LBB253_256:                            ;   in Loop: Header=BB253_10 Depth=1
	s_or_b32 exec_lo, exec_lo, s23
.LBB253_257:                            ;   in Loop: Header=BB253_10 Depth=1
	s_delay_alu instid0(SALU_CYCLE_1)
	s_or_b32 exec_lo, exec_lo, s18
.LBB253_258:                            ;   in Loop: Header=BB253_10 Depth=1
	s_delay_alu instid0(SALU_CYCLE_1) | instskip(SKIP_2) | instid1(VALU_DEP_1)
	s_or_b32 exec_lo, exec_lo, s3
	v_lshrrev_b16 v1, 8, v0
	s_mov_b32 s3, exec_lo
	v_cmpx_ne_u16_e32 0, v1
	s_cbranch_execz .LBB253_266
; %bb.259:                              ;   in Loop: Header=BB253_10 Depth=1
	v_dual_mov_b32 v29, s9 :: v_dual_mov_b32 v28, s8
	s_mov_b32 s23, exec_lo
	v_cmpx_ne_u16_e32 0x80, v1
	s_cbranch_execz .LBB253_265
; %bb.260:                              ;   in Loop: Header=BB253_10 Depth=1
	s_mov_b32 s18, s8
	v_and_b32_e32 v1, 0xffff, v1
	v_dual_mov_b32 v29, s19 :: v_dual_mov_b32 v28, s18
	s_mov_b32 s18, exec_lo
	s_delay_alu instid0(VALU_DEP_2) | instskip(NEXT) | instid1(VALU_DEP_1)
	v_and_b32_e32 v2, 0x7f, v1
	v_cmpx_ne_u32_e32 0x7f, v2
	s_cbranch_execz .LBB253_264
; %bb.261:                              ;   in Loop: Header=BB253_10 Depth=1
	v_and_b32_e32 v86, 7, v1
	v_lshrrev_b32_e32 v1, 3, v2
	s_mov_b32 s24, exec_lo
	v_cmpx_gt_u32_e32 8, v2
; %bb.262:                              ;   in Loop: Header=BB253_10 Depth=1
	s_delay_alu instid0(VALU_DEP_3) | instskip(NEXT) | instid1(VALU_DEP_1)
	v_clz_i32_u32_e32 v1, v86
	v_min_u32_e32 v1, 32, v1
	s_delay_alu instid0(VALU_DEP_1) | instskip(SKIP_1) | instid1(VALU_DEP_2)
	v_subrev_nc_u32_e32 v2, 28, v1
	v_sub_nc_u32_e32 v1, 29, v1
	v_lshlrev_b64 v[2:3], v2, v[86:87]
	s_delay_alu instid0(VALU_DEP_1)
	v_and_b32_e32 v86, 7, v2
; %bb.263:                              ;   in Loop: Header=BB253_10 Depth=1
	s_or_b32 exec_lo, exec_lo, s24
	v_lshlrev_b32_e32 v0, 16, v0
	s_delay_alu instid0(VALU_DEP_2) | instskip(SKIP_2) | instid1(VALU_DEP_4)
	v_lshlrev_b32_e32 v2, 20, v86
	v_lshl_add_u32 v1, v1, 23, 0x3c000000
	v_mov_b32_e32 v28, v87
	v_and_b32_e32 v0, 0x80000000, v0
	s_delay_alu instid0(VALU_DEP_1)
	v_or3_b32 v29, v2, v0, v1
.LBB253_264:                            ;   in Loop: Header=BB253_10 Depth=1
	s_or_b32 exec_lo, exec_lo, s18
.LBB253_265:                            ;   in Loop: Header=BB253_10 Depth=1
	s_delay_alu instid0(SALU_CYCLE_1)
	s_or_b32 exec_lo, exec_lo, s23
.LBB253_266:                            ;   in Loop: Header=BB253_10 Depth=1
	s_delay_alu instid0(SALU_CYCLE_1)
	s_or_b32 exec_lo, exec_lo, s3
	flat_load_u16 v0, v[156:157] offset:1024
	v_mov_b32_e32 v32, 0
	v_mov_b32_e32 v33, 0
	s_mov_b32 s3, exec_lo
	s_waitcnt vmcnt(0) lgkmcnt(0)
	v_and_b32_e32 v1, 0xff, v0
	v_and_b32_e32 v0, 0xffff, v0
	scratch_store_b64 off, v[32:33], s32 offset:552 ; 8-byte Folded Spill
	v_cmpx_ne_u16_e32 0, v1
	s_cbranch_execz .LBB253_274
; %bb.267:                              ;   in Loop: Header=BB253_10 Depth=1
	v_and_b32_e32 v1, 0xff, v0
	s_delay_alu instid0(VALU_DEP_1)
	v_cmp_ne_u16_e64 s2, 0x80, v1
	v_bfrev_b32_e32 v1, 1
	v_mov_b32_e32 v2, 0
	scratch_store_b64 off, v[1:2], s32 offset:552 ; 8-byte Folded Spill
	s_and_saveexec_b32 s18, s2
	s_cbranch_execz .LBB253_273
; %bb.268:                              ;   in Loop: Header=BB253_10 Depth=1
	v_mov_b32_e32 v3, 0x7f800001
	v_and_b32_e32 v2, 0x7f, v0
	v_mov_b32_e32 v4, 0
	s_mov_b32 s23, exec_lo
	scratch_store_b64 off, v[3:4], s32 offset:552 ; 8-byte Folded Spill
	v_cmpx_ne_u32_e32 0x7f, v2
	s_cbranch_execz .LBB253_272
; %bb.269:                              ;   in Loop: Header=BB253_10 Depth=1
	v_and_b32_e32 v86, 7, v0
	v_lshrrev_b32_e32 v1, 3, v2
	s_mov_b32 s24, exec_lo
	v_cmpx_gt_u32_e32 8, v2
; %bb.270:                              ;   in Loop: Header=BB253_10 Depth=1
	s_delay_alu instid0(VALU_DEP_3) | instskip(NEXT) | instid1(VALU_DEP_1)
	v_clz_i32_u32_e32 v1, v86
	v_min_u32_e32 v1, 32, v1
	s_delay_alu instid0(VALU_DEP_1) | instskip(SKIP_1) | instid1(VALU_DEP_2)
	v_subrev_nc_u32_e32 v2, 28, v1
	v_sub_nc_u32_e32 v1, 29, v1
	v_lshlrev_b64 v[2:3], v2, v[86:87]
	s_delay_alu instid0(VALU_DEP_1)
	v_and_b32_e32 v86, 7, v2
; %bb.271:                              ;   in Loop: Header=BB253_10 Depth=1
	s_or_b32 exec_lo, exec_lo, s24
	v_lshlrev_b32_e32 v2, 24, v0
	s_delay_alu instid0(VALU_DEP_2) | instskip(SKIP_1) | instid1(VALU_DEP_3)
	v_lshlrev_b32_e32 v3, 20, v86
	v_lshl_add_u32 v1, v1, 23, 0x3c000000
	v_and_b32_e32 v2, 0x80000000, v2
	s_delay_alu instid0(VALU_DEP_1)
	v_or3_b32 v86, v3, v2, v1
	scratch_store_b64 off, v[86:87], s32 offset:552 ; 8-byte Folded Spill
.LBB253_272:                            ;   in Loop: Header=BB253_10 Depth=1
	s_or_b32 exec_lo, exec_lo, s23
.LBB253_273:                            ;   in Loop: Header=BB253_10 Depth=1
	s_delay_alu instid0(SALU_CYCLE_1)
	s_or_b32 exec_lo, exec_lo, s18
.LBB253_274:                            ;   in Loop: Header=BB253_10 Depth=1
	s_delay_alu instid0(SALU_CYCLE_1) | instskip(SKIP_2) | instid1(VALU_DEP_1)
	s_or_b32 exec_lo, exec_lo, s3
	v_lshrrev_b16 v1, 8, v0
	s_mov_b32 s3, exec_lo
	v_cmpx_ne_u16_e32 0, v1
	s_cbranch_execz .LBB253_282
; %bb.275:                              ;   in Loop: Header=BB253_10 Depth=1
	v_dual_mov_b32 v33, s9 :: v_dual_mov_b32 v32, s8
	s_mov_b32 s23, exec_lo
	v_cmpx_ne_u16_e32 0x80, v1
	s_cbranch_execz .LBB253_281
; %bb.276:                              ;   in Loop: Header=BB253_10 Depth=1
	s_mov_b32 s18, s8
	v_and_b32_e32 v1, 0xffff, v1
	v_dual_mov_b32 v33, s19 :: v_dual_mov_b32 v32, s18
	s_mov_b32 s18, exec_lo
	s_delay_alu instid0(VALU_DEP_2) | instskip(NEXT) | instid1(VALU_DEP_1)
	v_and_b32_e32 v2, 0x7f, v1
	v_cmpx_ne_u32_e32 0x7f, v2
	s_cbranch_execz .LBB253_280
; %bb.277:                              ;   in Loop: Header=BB253_10 Depth=1
	v_and_b32_e32 v86, 7, v1
	v_lshrrev_b32_e32 v1, 3, v2
	s_mov_b32 s24, exec_lo
	v_cmpx_gt_u32_e32 8, v2
; %bb.278:                              ;   in Loop: Header=BB253_10 Depth=1
	s_delay_alu instid0(VALU_DEP_3) | instskip(NEXT) | instid1(VALU_DEP_1)
	v_clz_i32_u32_e32 v1, v86
	v_min_u32_e32 v1, 32, v1
	s_delay_alu instid0(VALU_DEP_1) | instskip(SKIP_1) | instid1(VALU_DEP_2)
	v_subrev_nc_u32_e32 v2, 28, v1
	v_sub_nc_u32_e32 v1, 29, v1
	v_lshlrev_b64 v[2:3], v2, v[86:87]
	s_delay_alu instid0(VALU_DEP_1)
	v_and_b32_e32 v86, 7, v2
; %bb.279:                              ;   in Loop: Header=BB253_10 Depth=1
	s_or_b32 exec_lo, exec_lo, s24
	v_lshlrev_b32_e32 v0, 16, v0
	s_delay_alu instid0(VALU_DEP_2) | instskip(SKIP_2) | instid1(VALU_DEP_4)
	v_lshlrev_b32_e32 v2, 20, v86
	v_lshl_add_u32 v1, v1, 23, 0x3c000000
	v_mov_b32_e32 v32, v87
	v_and_b32_e32 v0, 0x80000000, v0
	s_delay_alu instid0(VALU_DEP_1)
	v_or3_b32 v33, v2, v0, v1
.LBB253_280:                            ;   in Loop: Header=BB253_10 Depth=1
	s_or_b32 exec_lo, exec_lo, s18
.LBB253_281:                            ;   in Loop: Header=BB253_10 Depth=1
	s_delay_alu instid0(SALU_CYCLE_1)
	s_or_b32 exec_lo, exec_lo, s23
.LBB253_282:                            ;   in Loop: Header=BB253_10 Depth=1
	s_delay_alu instid0(SALU_CYCLE_1)
	s_or_b32 exec_lo, exec_lo, s3
	flat_load_u16 v0, v[156:157] offset:1028
	v_mov_b32_e32 v36, 0
	v_mov_b32_e32 v37, 0
	s_mov_b32 s3, exec_lo
	s_waitcnt vmcnt(0) lgkmcnt(0)
	v_and_b32_e32 v1, 0xff, v0
	v_and_b32_e32 v0, 0xffff, v0
	scratch_store_b64 off, v[36:37], s32 offset:560 ; 8-byte Folded Spill
	v_cmpx_ne_u16_e32 0, v1
	s_cbranch_execz .LBB253_290
; %bb.283:                              ;   in Loop: Header=BB253_10 Depth=1
	v_and_b32_e32 v1, 0xff, v0
	s_delay_alu instid0(VALU_DEP_1)
	v_cmp_ne_u16_e64 s2, 0x80, v1
	v_bfrev_b32_e32 v1, 1
	v_mov_b32_e32 v2, 0
	scratch_store_b64 off, v[1:2], s32 offset:560 ; 8-byte Folded Spill
	s_and_saveexec_b32 s18, s2
	s_cbranch_execz .LBB253_289
; %bb.284:                              ;   in Loop: Header=BB253_10 Depth=1
	v_mov_b32_e32 v3, 0x7f800001
	v_and_b32_e32 v2, 0x7f, v0
	v_mov_b32_e32 v4, 0
	s_mov_b32 s23, exec_lo
	scratch_store_b64 off, v[3:4], s32 offset:560 ; 8-byte Folded Spill
	v_cmpx_ne_u32_e32 0x7f, v2
	s_cbranch_execz .LBB253_288
; %bb.285:                              ;   in Loop: Header=BB253_10 Depth=1
	v_and_b32_e32 v86, 7, v0
	v_lshrrev_b32_e32 v1, 3, v2
	s_mov_b32 s24, exec_lo
	v_cmpx_gt_u32_e32 8, v2
; %bb.286:                              ;   in Loop: Header=BB253_10 Depth=1
	s_delay_alu instid0(VALU_DEP_3) | instskip(NEXT) | instid1(VALU_DEP_1)
	v_clz_i32_u32_e32 v1, v86
	v_min_u32_e32 v1, 32, v1
	s_delay_alu instid0(VALU_DEP_1) | instskip(SKIP_1) | instid1(VALU_DEP_2)
	v_subrev_nc_u32_e32 v2, 28, v1
	v_sub_nc_u32_e32 v1, 29, v1
	v_lshlrev_b64 v[2:3], v2, v[86:87]
	s_delay_alu instid0(VALU_DEP_1)
	v_and_b32_e32 v86, 7, v2
; %bb.287:                              ;   in Loop: Header=BB253_10 Depth=1
	s_or_b32 exec_lo, exec_lo, s24
	v_lshlrev_b32_e32 v2, 24, v0
	s_delay_alu instid0(VALU_DEP_2) | instskip(SKIP_1) | instid1(VALU_DEP_3)
	v_lshlrev_b32_e32 v3, 20, v86
	v_lshl_add_u32 v1, v1, 23, 0x3c000000
	v_and_b32_e32 v2, 0x80000000, v2
	s_delay_alu instid0(VALU_DEP_1)
	v_or3_b32 v86, v3, v2, v1
	scratch_store_b64 off, v[86:87], s32 offset:560 ; 8-byte Folded Spill
.LBB253_288:                            ;   in Loop: Header=BB253_10 Depth=1
	s_or_b32 exec_lo, exec_lo, s23
.LBB253_289:                            ;   in Loop: Header=BB253_10 Depth=1
	s_delay_alu instid0(SALU_CYCLE_1)
	s_or_b32 exec_lo, exec_lo, s18
.LBB253_290:                            ;   in Loop: Header=BB253_10 Depth=1
	s_delay_alu instid0(SALU_CYCLE_1) | instskip(SKIP_2) | instid1(VALU_DEP_1)
	s_or_b32 exec_lo, exec_lo, s3
	v_lshrrev_b16 v1, 8, v0
	s_mov_b32 s3, exec_lo
	v_cmpx_ne_u16_e32 0, v1
	s_cbranch_execz .LBB253_298
; %bb.291:                              ;   in Loop: Header=BB253_10 Depth=1
	v_dual_mov_b32 v37, s9 :: v_dual_mov_b32 v36, s8
	s_mov_b32 s23, exec_lo
	v_cmpx_ne_u16_e32 0x80, v1
	s_cbranch_execz .LBB253_297
; %bb.292:                              ;   in Loop: Header=BB253_10 Depth=1
	s_mov_b32 s18, s8
	v_and_b32_e32 v1, 0xffff, v1
	v_dual_mov_b32 v37, s19 :: v_dual_mov_b32 v36, s18
	s_mov_b32 s18, exec_lo
	s_delay_alu instid0(VALU_DEP_2) | instskip(NEXT) | instid1(VALU_DEP_1)
	v_and_b32_e32 v2, 0x7f, v1
	v_cmpx_ne_u32_e32 0x7f, v2
	s_cbranch_execz .LBB253_296
; %bb.293:                              ;   in Loop: Header=BB253_10 Depth=1
	v_and_b32_e32 v86, 7, v1
	v_lshrrev_b32_e32 v1, 3, v2
	s_mov_b32 s24, exec_lo
	v_cmpx_gt_u32_e32 8, v2
; %bb.294:                              ;   in Loop: Header=BB253_10 Depth=1
	s_delay_alu instid0(VALU_DEP_3) | instskip(NEXT) | instid1(VALU_DEP_1)
	v_clz_i32_u32_e32 v1, v86
	v_min_u32_e32 v1, 32, v1
	s_delay_alu instid0(VALU_DEP_1) | instskip(SKIP_1) | instid1(VALU_DEP_2)
	v_subrev_nc_u32_e32 v2, 28, v1
	v_sub_nc_u32_e32 v1, 29, v1
	v_lshlrev_b64 v[2:3], v2, v[86:87]
	s_delay_alu instid0(VALU_DEP_1)
	v_and_b32_e32 v86, 7, v2
; %bb.295:                              ;   in Loop: Header=BB253_10 Depth=1
	s_or_b32 exec_lo, exec_lo, s24
	v_lshlrev_b32_e32 v0, 16, v0
	s_delay_alu instid0(VALU_DEP_2) | instskip(SKIP_2) | instid1(VALU_DEP_4)
	v_lshlrev_b32_e32 v2, 20, v86
	v_lshl_add_u32 v1, v1, 23, 0x3c000000
	v_mov_b32_e32 v36, v87
	v_and_b32_e32 v0, 0x80000000, v0
	s_delay_alu instid0(VALU_DEP_1)
	v_or3_b32 v37, v2, v0, v1
.LBB253_296:                            ;   in Loop: Header=BB253_10 Depth=1
	s_or_b32 exec_lo, exec_lo, s18
.LBB253_297:                            ;   in Loop: Header=BB253_10 Depth=1
	s_delay_alu instid0(SALU_CYCLE_1)
	s_or_b32 exec_lo, exec_lo, s23
.LBB253_298:                            ;   in Loop: Header=BB253_10 Depth=1
	s_delay_alu instid0(SALU_CYCLE_1) | instskip(SKIP_1) | instid1(VALU_DEP_1)
	s_or_b32 exec_lo, exec_lo, s3
	v_add_co_u32 v2, s2, 0x400, v156
	v_add_co_ci_u32_e64 v3, s2, 0, v157, s2
	s_mov_b32 s3, exec_lo
	flat_load_u16 v0, v[2:3] offset:8
	v_mov_b32_e32 v48, 0
	v_mov_b32_e32 v49, 0
	s_waitcnt vmcnt(0) lgkmcnt(0)
	v_and_b32_e32 v1, 0xff, v0
	v_and_b32_e32 v0, 0xffff, v0
	scratch_store_b64 off, v[48:49], s32 offset:568 ; 8-byte Folded Spill
	v_cmpx_ne_u16_e32 0, v1
	s_cbranch_execz .LBB253_306
; %bb.299:                              ;   in Loop: Header=BB253_10 Depth=1
	v_bfrev_b32_e32 v4, 1
	v_and_b32_e32 v1, 0xff, v0
	v_mov_b32_e32 v5, 0
	s_mov_b32 s18, exec_lo
	scratch_store_b64 off, v[4:5], s32 offset:568 ; 8-byte Folded Spill
	v_cmpx_ne_u16_e32 0x80, v1
	s_cbranch_execz .LBB253_305
; %bb.300:                              ;   in Loop: Header=BB253_10 Depth=1
	v_mov_b32_e32 v8, 0x7f800001
	v_dual_mov_b32 v9, 0 :: v_dual_and_b32 v4, 0x7f, v0
	s_mov_b32 s23, exec_lo
	scratch_store_b64 off, v[8:9], s32 offset:568 ; 8-byte Folded Spill
	v_cmpx_ne_u32_e32 0x7f, v4
	s_cbranch_execz .LBB253_304
; %bb.301:                              ;   in Loop: Header=BB253_10 Depth=1
	v_and_b32_e32 v86, 7, v0
	v_lshrrev_b32_e32 v1, 3, v4
	s_mov_b32 s24, exec_lo
	v_cmpx_gt_u32_e32 8, v4
; %bb.302:                              ;   in Loop: Header=BB253_10 Depth=1
	s_delay_alu instid0(VALU_DEP_3) | instskip(NEXT) | instid1(VALU_DEP_1)
	v_clz_i32_u32_e32 v1, v86
	v_min_u32_e32 v1, 32, v1
	s_delay_alu instid0(VALU_DEP_1) | instskip(SKIP_1) | instid1(VALU_DEP_2)
	v_subrev_nc_u32_e32 v4, 28, v1
	v_sub_nc_u32_e32 v1, 29, v1
	v_lshlrev_b64 v[4:5], v4, v[86:87]
	s_delay_alu instid0(VALU_DEP_1)
	v_and_b32_e32 v86, 7, v4
; %bb.303:                              ;   in Loop: Header=BB253_10 Depth=1
	s_or_b32 exec_lo, exec_lo, s24
	v_lshlrev_b32_e32 v4, 24, v0
	s_delay_alu instid0(VALU_DEP_2) | instskip(SKIP_1) | instid1(VALU_DEP_3)
	v_lshlrev_b32_e32 v5, 20, v86
	v_lshl_add_u32 v1, v1, 23, 0x3c000000
	v_and_b32_e32 v4, 0x80000000, v4
	s_delay_alu instid0(VALU_DEP_1)
	v_or3_b32 v86, v5, v4, v1
	scratch_store_b64 off, v[86:87], s32 offset:568 ; 8-byte Folded Spill
.LBB253_304:                            ;   in Loop: Header=BB253_10 Depth=1
	s_or_b32 exec_lo, exec_lo, s23
.LBB253_305:                            ;   in Loop: Header=BB253_10 Depth=1
	s_delay_alu instid0(SALU_CYCLE_1)
	s_or_b32 exec_lo, exec_lo, s18
.LBB253_306:                            ;   in Loop: Header=BB253_10 Depth=1
	s_delay_alu instid0(SALU_CYCLE_1) | instskip(SKIP_2) | instid1(VALU_DEP_1)
	s_or_b32 exec_lo, exec_lo, s3
	v_lshrrev_b16 v1, 8, v0
	s_mov_b32 s3, exec_lo
	v_cmpx_ne_u16_e32 0, v1
	s_cbranch_execz .LBB253_314
; %bb.307:                              ;   in Loop: Header=BB253_10 Depth=1
	v_dual_mov_b32 v49, s9 :: v_dual_mov_b32 v48, s8
	s_mov_b32 s23, exec_lo
	v_cmpx_ne_u16_e32 0x80, v1
	s_cbranch_execz .LBB253_313
; %bb.308:                              ;   in Loop: Header=BB253_10 Depth=1
	s_mov_b32 s18, s8
	v_and_b32_e32 v1, 0xffff, v1
	v_dual_mov_b32 v49, s19 :: v_dual_mov_b32 v48, s18
	s_mov_b32 s18, exec_lo
	s_delay_alu instid0(VALU_DEP_2) | instskip(NEXT) | instid1(VALU_DEP_1)
	v_and_b32_e32 v4, 0x7f, v1
	v_cmpx_ne_u32_e32 0x7f, v4
	s_cbranch_execz .LBB253_312
; %bb.309:                              ;   in Loop: Header=BB253_10 Depth=1
	v_and_b32_e32 v86, 7, v1
	v_lshrrev_b32_e32 v1, 3, v4
	s_mov_b32 s24, exec_lo
	v_cmpx_gt_u32_e32 8, v4
; %bb.310:                              ;   in Loop: Header=BB253_10 Depth=1
	s_delay_alu instid0(VALU_DEP_3) | instskip(NEXT) | instid1(VALU_DEP_1)
	v_clz_i32_u32_e32 v1, v86
	v_min_u32_e32 v1, 32, v1
	s_delay_alu instid0(VALU_DEP_1) | instskip(SKIP_1) | instid1(VALU_DEP_2)
	v_subrev_nc_u32_e32 v4, 28, v1
	v_sub_nc_u32_e32 v1, 29, v1
	v_lshlrev_b64 v[4:5], v4, v[86:87]
	s_delay_alu instid0(VALU_DEP_1)
	v_and_b32_e32 v86, 7, v4
; %bb.311:                              ;   in Loop: Header=BB253_10 Depth=1
	s_or_b32 exec_lo, exec_lo, s24
	v_lshlrev_b32_e32 v0, 16, v0
	s_delay_alu instid0(VALU_DEP_2) | instskip(SKIP_2) | instid1(VALU_DEP_4)
	v_lshlrev_b32_e32 v4, 20, v86
	v_lshl_add_u32 v1, v1, 23, 0x3c000000
	v_mov_b32_e32 v48, v87
	v_and_b32_e32 v0, 0x80000000, v0
	s_delay_alu instid0(VALU_DEP_1)
	v_or3_b32 v49, v4, v0, v1
.LBB253_312:                            ;   in Loop: Header=BB253_10 Depth=1
	s_or_b32 exec_lo, exec_lo, s18
.LBB253_313:                            ;   in Loop: Header=BB253_10 Depth=1
	s_delay_alu instid0(SALU_CYCLE_1)
	s_or_b32 exec_lo, exec_lo, s23
.LBB253_314:                            ;   in Loop: Header=BB253_10 Depth=1
	s_delay_alu instid0(SALU_CYCLE_1)
	s_or_b32 exec_lo, exec_lo, s3
	flat_load_u16 v0, v[2:3] offset:12
	v_mov_b32_e32 v52, 0
	v_mov_b32_e32 v53, 0
	s_mov_b32 s3, exec_lo
	s_waitcnt vmcnt(0) lgkmcnt(0)
	v_and_b32_e32 v1, 0xff, v0
	v_and_b32_e32 v0, 0xffff, v0
	scratch_store_b64 off, v[52:53], s32 offset:576 ; 8-byte Folded Spill
	v_cmpx_ne_u16_e32 0, v1
	s_cbranch_execz .LBB253_322
; %bb.315:                              ;   in Loop: Header=BB253_10 Depth=1
	v_and_b32_e32 v1, 0xff, v0
	s_delay_alu instid0(VALU_DEP_1)
	v_cmp_ne_u16_e64 s2, 0x80, v1
	v_bfrev_b32_e32 v1, 1
	v_mov_b32_e32 v2, 0
	scratch_store_b64 off, v[1:2], s32 offset:576 ; 8-byte Folded Spill
	s_and_saveexec_b32 s18, s2
	s_cbranch_execz .LBB253_321
; %bb.316:                              ;   in Loop: Header=BB253_10 Depth=1
	v_mov_b32_e32 v3, 0x7f800001
	v_and_b32_e32 v2, 0x7f, v0
	v_mov_b32_e32 v4, 0
	s_mov_b32 s23, exec_lo
	scratch_store_b64 off, v[3:4], s32 offset:576 ; 8-byte Folded Spill
	v_cmpx_ne_u32_e32 0x7f, v2
	s_cbranch_execz .LBB253_320
; %bb.317:                              ;   in Loop: Header=BB253_10 Depth=1
	v_and_b32_e32 v86, 7, v0
	v_lshrrev_b32_e32 v1, 3, v2
	s_mov_b32 s24, exec_lo
	v_cmpx_gt_u32_e32 8, v2
; %bb.318:                              ;   in Loop: Header=BB253_10 Depth=1
	s_delay_alu instid0(VALU_DEP_3) | instskip(NEXT) | instid1(VALU_DEP_1)
	v_clz_i32_u32_e32 v1, v86
	v_min_u32_e32 v1, 32, v1
	s_delay_alu instid0(VALU_DEP_1) | instskip(SKIP_1) | instid1(VALU_DEP_2)
	v_subrev_nc_u32_e32 v2, 28, v1
	v_sub_nc_u32_e32 v1, 29, v1
	v_lshlrev_b64 v[2:3], v2, v[86:87]
	s_delay_alu instid0(VALU_DEP_1)
	v_and_b32_e32 v86, 7, v2
; %bb.319:                              ;   in Loop: Header=BB253_10 Depth=1
	s_or_b32 exec_lo, exec_lo, s24
	v_lshlrev_b32_e32 v2, 24, v0
	s_delay_alu instid0(VALU_DEP_2) | instskip(SKIP_1) | instid1(VALU_DEP_3)
	v_lshlrev_b32_e32 v3, 20, v86
	v_lshl_add_u32 v1, v1, 23, 0x3c000000
	v_and_b32_e32 v2, 0x80000000, v2
	s_delay_alu instid0(VALU_DEP_1)
	v_or3_b32 v86, v3, v2, v1
	scratch_store_b64 off, v[86:87], s32 offset:576 ; 8-byte Folded Spill
.LBB253_320:                            ;   in Loop: Header=BB253_10 Depth=1
	s_or_b32 exec_lo, exec_lo, s23
.LBB253_321:                            ;   in Loop: Header=BB253_10 Depth=1
	s_delay_alu instid0(SALU_CYCLE_1)
	s_or_b32 exec_lo, exec_lo, s18
.LBB253_322:                            ;   in Loop: Header=BB253_10 Depth=1
	s_delay_alu instid0(SALU_CYCLE_1) | instskip(SKIP_2) | instid1(VALU_DEP_1)
	s_or_b32 exec_lo, exec_lo, s3
	v_lshrrev_b16 v1, 8, v0
	s_mov_b32 s3, exec_lo
	v_cmpx_ne_u16_e32 0, v1
	s_cbranch_execz .LBB253_330
; %bb.323:                              ;   in Loop: Header=BB253_10 Depth=1
	v_dual_mov_b32 v53, s9 :: v_dual_mov_b32 v52, s8
	s_mov_b32 s23, exec_lo
	v_cmpx_ne_u16_e32 0x80, v1
	s_cbranch_execz .LBB253_329
; %bb.324:                              ;   in Loop: Header=BB253_10 Depth=1
	s_mov_b32 s18, s8
	v_and_b32_e32 v1, 0xffff, v1
	v_dual_mov_b32 v53, s19 :: v_dual_mov_b32 v52, s18
	s_mov_b32 s18, exec_lo
	s_delay_alu instid0(VALU_DEP_2) | instskip(NEXT) | instid1(VALU_DEP_1)
	v_and_b32_e32 v2, 0x7f, v1
	v_cmpx_ne_u32_e32 0x7f, v2
	s_cbranch_execz .LBB253_328
; %bb.325:                              ;   in Loop: Header=BB253_10 Depth=1
	v_and_b32_e32 v86, 7, v1
	v_lshrrev_b32_e32 v1, 3, v2
	s_mov_b32 s24, exec_lo
	v_cmpx_gt_u32_e32 8, v2
; %bb.326:                              ;   in Loop: Header=BB253_10 Depth=1
	s_delay_alu instid0(VALU_DEP_3) | instskip(NEXT) | instid1(VALU_DEP_1)
	v_clz_i32_u32_e32 v1, v86
	v_min_u32_e32 v1, 32, v1
	s_delay_alu instid0(VALU_DEP_1) | instskip(SKIP_1) | instid1(VALU_DEP_2)
	v_subrev_nc_u32_e32 v2, 28, v1
	v_sub_nc_u32_e32 v1, 29, v1
	v_lshlrev_b64 v[2:3], v2, v[86:87]
	s_delay_alu instid0(VALU_DEP_1)
	v_and_b32_e32 v86, 7, v2
; %bb.327:                              ;   in Loop: Header=BB253_10 Depth=1
	s_or_b32 exec_lo, exec_lo, s24
	v_lshlrev_b32_e32 v0, 16, v0
	s_delay_alu instid0(VALU_DEP_2) | instskip(SKIP_2) | instid1(VALU_DEP_4)
	v_lshlrev_b32_e32 v2, 20, v86
	v_lshl_add_u32 v1, v1, 23, 0x3c000000
	v_mov_b32_e32 v52, v87
	v_and_b32_e32 v0, 0x80000000, v0
	s_delay_alu instid0(VALU_DEP_1)
	v_or3_b32 v53, v2, v0, v1
.LBB253_328:                            ;   in Loop: Header=BB253_10 Depth=1
	s_or_b32 exec_lo, exec_lo, s18
.LBB253_329:                            ;   in Loop: Header=BB253_10 Depth=1
	s_delay_alu instid0(SALU_CYCLE_1)
	s_or_b32 exec_lo, exec_lo, s23
.LBB253_330:                            ;   in Loop: Header=BB253_10 Depth=1
	s_delay_alu instid0(SALU_CYCLE_1)
	s_or_b32 exec_lo, exec_lo, s3
	flat_load_u16 v0, v[156:157] offset:1280
	v_mov_b32_e32 v64, 0
	v_mov_b32_e32 v65, 0
	s_mov_b32 s3, exec_lo
	s_waitcnt vmcnt(0) lgkmcnt(0)
	v_and_b32_e32 v1, 0xff, v0
	v_and_b32_e32 v0, 0xffff, v0
	scratch_store_b64 off, v[64:65], s32 offset:584 ; 8-byte Folded Spill
	v_cmpx_ne_u16_e32 0, v1
	s_cbranch_execz .LBB253_338
; %bb.331:                              ;   in Loop: Header=BB253_10 Depth=1
	v_and_b32_e32 v1, 0xff, v0
	s_delay_alu instid0(VALU_DEP_1)
	v_cmp_ne_u16_e64 s2, 0x80, v1
	v_bfrev_b32_e32 v1, 1
	v_mov_b32_e32 v2, 0
	scratch_store_b64 off, v[1:2], s32 offset:584 ; 8-byte Folded Spill
	s_and_saveexec_b32 s18, s2
	s_cbranch_execz .LBB253_337
; %bb.332:                              ;   in Loop: Header=BB253_10 Depth=1
	v_mov_b32_e32 v3, 0x7f800001
	v_and_b32_e32 v2, 0x7f, v0
	v_mov_b32_e32 v4, 0
	s_mov_b32 s23, exec_lo
	scratch_store_b64 off, v[3:4], s32 offset:584 ; 8-byte Folded Spill
	v_cmpx_ne_u32_e32 0x7f, v2
	s_cbranch_execz .LBB253_336
; %bb.333:                              ;   in Loop: Header=BB253_10 Depth=1
	v_and_b32_e32 v86, 7, v0
	v_lshrrev_b32_e32 v1, 3, v2
	s_mov_b32 s24, exec_lo
	v_cmpx_gt_u32_e32 8, v2
; %bb.334:                              ;   in Loop: Header=BB253_10 Depth=1
	s_delay_alu instid0(VALU_DEP_3) | instskip(NEXT) | instid1(VALU_DEP_1)
	v_clz_i32_u32_e32 v1, v86
	v_min_u32_e32 v1, 32, v1
	s_delay_alu instid0(VALU_DEP_1) | instskip(SKIP_1) | instid1(VALU_DEP_2)
	v_subrev_nc_u32_e32 v2, 28, v1
	v_sub_nc_u32_e32 v1, 29, v1
	v_lshlrev_b64 v[2:3], v2, v[86:87]
	s_delay_alu instid0(VALU_DEP_1)
	v_and_b32_e32 v86, 7, v2
; %bb.335:                              ;   in Loop: Header=BB253_10 Depth=1
	s_or_b32 exec_lo, exec_lo, s24
	v_lshlrev_b32_e32 v2, 24, v0
	s_delay_alu instid0(VALU_DEP_2) | instskip(SKIP_1) | instid1(VALU_DEP_3)
	v_lshlrev_b32_e32 v3, 20, v86
	v_lshl_add_u32 v1, v1, 23, 0x3c000000
	v_and_b32_e32 v2, 0x80000000, v2
	s_delay_alu instid0(VALU_DEP_1)
	v_or3_b32 v86, v3, v2, v1
	scratch_store_b64 off, v[86:87], s32 offset:584 ; 8-byte Folded Spill
.LBB253_336:                            ;   in Loop: Header=BB253_10 Depth=1
	s_or_b32 exec_lo, exec_lo, s23
.LBB253_337:                            ;   in Loop: Header=BB253_10 Depth=1
	s_delay_alu instid0(SALU_CYCLE_1)
	s_or_b32 exec_lo, exec_lo, s18
.LBB253_338:                            ;   in Loop: Header=BB253_10 Depth=1
	s_delay_alu instid0(SALU_CYCLE_1) | instskip(SKIP_2) | instid1(VALU_DEP_1)
	s_or_b32 exec_lo, exec_lo, s3
	v_lshrrev_b16 v1, 8, v0
	s_mov_b32 s3, exec_lo
	v_cmpx_ne_u16_e32 0, v1
	s_cbranch_execz .LBB253_346
; %bb.339:                              ;   in Loop: Header=BB253_10 Depth=1
	v_dual_mov_b32 v65, s9 :: v_dual_mov_b32 v64, s8
	s_mov_b32 s23, exec_lo
	v_cmpx_ne_u16_e32 0x80, v1
	s_cbranch_execz .LBB253_345
; %bb.340:                              ;   in Loop: Header=BB253_10 Depth=1
	s_mov_b32 s18, s8
	v_and_b32_e32 v1, 0xffff, v1
	v_dual_mov_b32 v65, s19 :: v_dual_mov_b32 v64, s18
	s_mov_b32 s18, exec_lo
	s_delay_alu instid0(VALU_DEP_2) | instskip(NEXT) | instid1(VALU_DEP_1)
	v_and_b32_e32 v2, 0x7f, v1
	v_cmpx_ne_u32_e32 0x7f, v2
	s_cbranch_execz .LBB253_344
; %bb.341:                              ;   in Loop: Header=BB253_10 Depth=1
	v_and_b32_e32 v86, 7, v1
	v_lshrrev_b32_e32 v1, 3, v2
	s_mov_b32 s24, exec_lo
	v_cmpx_gt_u32_e32 8, v2
; %bb.342:                              ;   in Loop: Header=BB253_10 Depth=1
	s_delay_alu instid0(VALU_DEP_3) | instskip(NEXT) | instid1(VALU_DEP_1)
	v_clz_i32_u32_e32 v1, v86
	v_min_u32_e32 v1, 32, v1
	s_delay_alu instid0(VALU_DEP_1) | instskip(SKIP_1) | instid1(VALU_DEP_2)
	v_subrev_nc_u32_e32 v2, 28, v1
	v_sub_nc_u32_e32 v1, 29, v1
	v_lshlrev_b64 v[2:3], v2, v[86:87]
	s_delay_alu instid0(VALU_DEP_1)
	v_and_b32_e32 v86, 7, v2
; %bb.343:                              ;   in Loop: Header=BB253_10 Depth=1
	s_or_b32 exec_lo, exec_lo, s24
	v_lshlrev_b32_e32 v0, 16, v0
	s_delay_alu instid0(VALU_DEP_2) | instskip(SKIP_2) | instid1(VALU_DEP_4)
	v_lshlrev_b32_e32 v2, 20, v86
	v_lshl_add_u32 v1, v1, 23, 0x3c000000
	v_mov_b32_e32 v64, v87
	v_and_b32_e32 v0, 0x80000000, v0
	s_delay_alu instid0(VALU_DEP_1)
	v_or3_b32 v65, v2, v0, v1
.LBB253_344:                            ;   in Loop: Header=BB253_10 Depth=1
	s_or_b32 exec_lo, exec_lo, s18
.LBB253_345:                            ;   in Loop: Header=BB253_10 Depth=1
	s_delay_alu instid0(SALU_CYCLE_1)
	s_or_b32 exec_lo, exec_lo, s23
.LBB253_346:                            ;   in Loop: Header=BB253_10 Depth=1
	s_delay_alu instid0(SALU_CYCLE_1)
	s_or_b32 exec_lo, exec_lo, s3
	flat_load_u16 v0, v[156:157] offset:1284
	v_mov_b32_e32 v68, 0
	v_mov_b32_e32 v69, 0
	s_mov_b32 s3, exec_lo
	s_waitcnt vmcnt(0) lgkmcnt(0)
	v_and_b32_e32 v1, 0xff, v0
	v_and_b32_e32 v0, 0xffff, v0
	scratch_store_b64 off, v[68:69], s32 offset:592 ; 8-byte Folded Spill
	v_cmpx_ne_u16_e32 0, v1
	s_cbranch_execz .LBB253_354
; %bb.347:                              ;   in Loop: Header=BB253_10 Depth=1
	v_and_b32_e32 v1, 0xff, v0
	s_delay_alu instid0(VALU_DEP_1)
	v_cmp_ne_u16_e64 s2, 0x80, v1
	v_bfrev_b32_e32 v1, 1
	v_mov_b32_e32 v2, 0
	scratch_store_b64 off, v[1:2], s32 offset:592 ; 8-byte Folded Spill
	s_and_saveexec_b32 s18, s2
	s_cbranch_execz .LBB253_353
; %bb.348:                              ;   in Loop: Header=BB253_10 Depth=1
	v_mov_b32_e32 v3, 0x7f800001
	v_and_b32_e32 v2, 0x7f, v0
	v_mov_b32_e32 v4, 0
	s_mov_b32 s23, exec_lo
	scratch_store_b64 off, v[3:4], s32 offset:592 ; 8-byte Folded Spill
	v_cmpx_ne_u32_e32 0x7f, v2
	s_cbranch_execz .LBB253_352
; %bb.349:                              ;   in Loop: Header=BB253_10 Depth=1
	v_and_b32_e32 v86, 7, v0
	v_lshrrev_b32_e32 v1, 3, v2
	s_mov_b32 s24, exec_lo
	v_cmpx_gt_u32_e32 8, v2
; %bb.350:                              ;   in Loop: Header=BB253_10 Depth=1
	s_delay_alu instid0(VALU_DEP_3) | instskip(NEXT) | instid1(VALU_DEP_1)
	v_clz_i32_u32_e32 v1, v86
	v_min_u32_e32 v1, 32, v1
	s_delay_alu instid0(VALU_DEP_1) | instskip(SKIP_1) | instid1(VALU_DEP_2)
	v_subrev_nc_u32_e32 v2, 28, v1
	v_sub_nc_u32_e32 v1, 29, v1
	v_lshlrev_b64 v[2:3], v2, v[86:87]
	s_delay_alu instid0(VALU_DEP_1)
	v_and_b32_e32 v86, 7, v2
; %bb.351:                              ;   in Loop: Header=BB253_10 Depth=1
	s_or_b32 exec_lo, exec_lo, s24
	v_lshlrev_b32_e32 v2, 24, v0
	s_delay_alu instid0(VALU_DEP_2) | instskip(SKIP_1) | instid1(VALU_DEP_3)
	v_lshlrev_b32_e32 v3, 20, v86
	v_lshl_add_u32 v1, v1, 23, 0x3c000000
	v_and_b32_e32 v2, 0x80000000, v2
	s_delay_alu instid0(VALU_DEP_1)
	v_or3_b32 v86, v3, v2, v1
	scratch_store_b64 off, v[86:87], s32 offset:592 ; 8-byte Folded Spill
.LBB253_352:                            ;   in Loop: Header=BB253_10 Depth=1
	s_or_b32 exec_lo, exec_lo, s23
.LBB253_353:                            ;   in Loop: Header=BB253_10 Depth=1
	s_delay_alu instid0(SALU_CYCLE_1)
	s_or_b32 exec_lo, exec_lo, s18
.LBB253_354:                            ;   in Loop: Header=BB253_10 Depth=1
	s_delay_alu instid0(SALU_CYCLE_1) | instskip(SKIP_2) | instid1(VALU_DEP_1)
	s_or_b32 exec_lo, exec_lo, s3
	v_lshrrev_b16 v1, 8, v0
	s_mov_b32 s3, exec_lo
	v_cmpx_ne_u16_e32 0, v1
	s_cbranch_execz .LBB253_362
; %bb.355:                              ;   in Loop: Header=BB253_10 Depth=1
	v_dual_mov_b32 v69, s9 :: v_dual_mov_b32 v68, s8
	s_mov_b32 s23, exec_lo
	v_cmpx_ne_u16_e32 0x80, v1
	s_cbranch_execz .LBB253_361
; %bb.356:                              ;   in Loop: Header=BB253_10 Depth=1
	s_mov_b32 s18, s8
	v_and_b32_e32 v1, 0xffff, v1
	v_dual_mov_b32 v69, s19 :: v_dual_mov_b32 v68, s18
	s_mov_b32 s18, exec_lo
	s_delay_alu instid0(VALU_DEP_2) | instskip(NEXT) | instid1(VALU_DEP_1)
	v_and_b32_e32 v2, 0x7f, v1
	v_cmpx_ne_u32_e32 0x7f, v2
	s_cbranch_execz .LBB253_360
; %bb.357:                              ;   in Loop: Header=BB253_10 Depth=1
	v_and_b32_e32 v86, 7, v1
	v_lshrrev_b32_e32 v1, 3, v2
	s_mov_b32 s24, exec_lo
	v_cmpx_gt_u32_e32 8, v2
; %bb.358:                              ;   in Loop: Header=BB253_10 Depth=1
	s_delay_alu instid0(VALU_DEP_3) | instskip(NEXT) | instid1(VALU_DEP_1)
	v_clz_i32_u32_e32 v1, v86
	v_min_u32_e32 v1, 32, v1
	s_delay_alu instid0(VALU_DEP_1) | instskip(SKIP_1) | instid1(VALU_DEP_2)
	v_subrev_nc_u32_e32 v2, 28, v1
	v_sub_nc_u32_e32 v1, 29, v1
	v_lshlrev_b64 v[2:3], v2, v[86:87]
	s_delay_alu instid0(VALU_DEP_1)
	v_and_b32_e32 v86, 7, v2
; %bb.359:                              ;   in Loop: Header=BB253_10 Depth=1
	s_or_b32 exec_lo, exec_lo, s24
	v_lshlrev_b32_e32 v0, 16, v0
	s_delay_alu instid0(VALU_DEP_2) | instskip(SKIP_2) | instid1(VALU_DEP_4)
	v_lshlrev_b32_e32 v2, 20, v86
	v_lshl_add_u32 v1, v1, 23, 0x3c000000
	v_mov_b32_e32 v68, v87
	v_and_b32_e32 v0, 0x80000000, v0
	s_delay_alu instid0(VALU_DEP_1)
	v_or3_b32 v69, v2, v0, v1
.LBB253_360:                            ;   in Loop: Header=BB253_10 Depth=1
	s_or_b32 exec_lo, exec_lo, s18
.LBB253_361:                            ;   in Loop: Header=BB253_10 Depth=1
	s_delay_alu instid0(SALU_CYCLE_1)
	s_or_b32 exec_lo, exec_lo, s23
.LBB253_362:                            ;   in Loop: Header=BB253_10 Depth=1
	s_delay_alu instid0(SALU_CYCLE_1) | instskip(SKIP_1) | instid1(VALU_DEP_1)
	s_or_b32 exec_lo, exec_lo, s3
	v_add_co_u32 v2, s2, 0x500, v156
	v_add_co_ci_u32_e64 v3, s2, 0, v157, s2
	s_mov_b32 s3, exec_lo
	flat_load_u16 v0, v[2:3] offset:8
	v_mov_b32_e32 v80, 0
	v_mov_b32_e32 v81, 0
	s_waitcnt vmcnt(0) lgkmcnt(0)
	v_and_b32_e32 v1, 0xff, v0
	v_and_b32_e32 v0, 0xffff, v0
	scratch_store_b64 off, v[80:81], s32 offset:600 ; 8-byte Folded Spill
	v_cmpx_ne_u16_e32 0, v1
	s_cbranch_execz .LBB253_370
; %bb.363:                              ;   in Loop: Header=BB253_10 Depth=1
	v_bfrev_b32_e32 v4, 1
	v_and_b32_e32 v1, 0xff, v0
	v_mov_b32_e32 v5, 0
	s_mov_b32 s18, exec_lo
	scratch_store_b64 off, v[4:5], s32 offset:600 ; 8-byte Folded Spill
	v_cmpx_ne_u16_e32 0x80, v1
	s_cbranch_execz .LBB253_369
; %bb.364:                              ;   in Loop: Header=BB253_10 Depth=1
	v_mov_b32_e32 v8, 0x7f800001
	v_dual_mov_b32 v9, 0 :: v_dual_and_b32 v4, 0x7f, v0
	s_mov_b32 s23, exec_lo
	scratch_store_b64 off, v[8:9], s32 offset:600 ; 8-byte Folded Spill
	v_cmpx_ne_u32_e32 0x7f, v4
	s_cbranch_execz .LBB253_368
; %bb.365:                              ;   in Loop: Header=BB253_10 Depth=1
	v_and_b32_e32 v86, 7, v0
	v_lshrrev_b32_e32 v1, 3, v4
	s_mov_b32 s24, exec_lo
	v_cmpx_gt_u32_e32 8, v4
; %bb.366:                              ;   in Loop: Header=BB253_10 Depth=1
	s_delay_alu instid0(VALU_DEP_3) | instskip(NEXT) | instid1(VALU_DEP_1)
	v_clz_i32_u32_e32 v1, v86
	v_min_u32_e32 v1, 32, v1
	s_delay_alu instid0(VALU_DEP_1) | instskip(SKIP_1) | instid1(VALU_DEP_2)
	v_subrev_nc_u32_e32 v4, 28, v1
	v_sub_nc_u32_e32 v1, 29, v1
	v_lshlrev_b64 v[4:5], v4, v[86:87]
	s_delay_alu instid0(VALU_DEP_1)
	v_and_b32_e32 v86, 7, v4
; %bb.367:                              ;   in Loop: Header=BB253_10 Depth=1
	s_or_b32 exec_lo, exec_lo, s24
	v_lshlrev_b32_e32 v4, 24, v0
	s_delay_alu instid0(VALU_DEP_2) | instskip(SKIP_1) | instid1(VALU_DEP_3)
	v_lshlrev_b32_e32 v5, 20, v86
	v_lshl_add_u32 v1, v1, 23, 0x3c000000
	v_and_b32_e32 v4, 0x80000000, v4
	s_delay_alu instid0(VALU_DEP_1)
	v_or3_b32 v86, v5, v4, v1
	scratch_store_b64 off, v[86:87], s32 offset:600 ; 8-byte Folded Spill
.LBB253_368:                            ;   in Loop: Header=BB253_10 Depth=1
	s_or_b32 exec_lo, exec_lo, s23
.LBB253_369:                            ;   in Loop: Header=BB253_10 Depth=1
	s_delay_alu instid0(SALU_CYCLE_1)
	s_or_b32 exec_lo, exec_lo, s18
.LBB253_370:                            ;   in Loop: Header=BB253_10 Depth=1
	s_delay_alu instid0(SALU_CYCLE_1) | instskip(SKIP_2) | instid1(VALU_DEP_1)
	s_or_b32 exec_lo, exec_lo, s3
	v_lshrrev_b16 v1, 8, v0
	s_mov_b32 s3, exec_lo
	v_cmpx_ne_u16_e32 0, v1
	s_cbranch_execz .LBB253_378
; %bb.371:                              ;   in Loop: Header=BB253_10 Depth=1
	v_dual_mov_b32 v81, s9 :: v_dual_mov_b32 v80, s8
	s_mov_b32 s23, exec_lo
	v_cmpx_ne_u16_e32 0x80, v1
	s_cbranch_execz .LBB253_377
; %bb.372:                              ;   in Loop: Header=BB253_10 Depth=1
	s_mov_b32 s18, s8
	v_and_b32_e32 v1, 0xffff, v1
	v_dual_mov_b32 v81, s19 :: v_dual_mov_b32 v80, s18
	s_mov_b32 s18, exec_lo
	s_delay_alu instid0(VALU_DEP_2) | instskip(NEXT) | instid1(VALU_DEP_1)
	v_and_b32_e32 v4, 0x7f, v1
	v_cmpx_ne_u32_e32 0x7f, v4
	s_cbranch_execz .LBB253_376
; %bb.373:                              ;   in Loop: Header=BB253_10 Depth=1
	v_and_b32_e32 v86, 7, v1
	v_lshrrev_b32_e32 v1, 3, v4
	s_mov_b32 s24, exec_lo
	v_cmpx_gt_u32_e32 8, v4
; %bb.374:                              ;   in Loop: Header=BB253_10 Depth=1
	s_delay_alu instid0(VALU_DEP_3) | instskip(NEXT) | instid1(VALU_DEP_1)
	v_clz_i32_u32_e32 v1, v86
	v_min_u32_e32 v1, 32, v1
	s_delay_alu instid0(VALU_DEP_1) | instskip(SKIP_1) | instid1(VALU_DEP_2)
	v_subrev_nc_u32_e32 v4, 28, v1
	v_sub_nc_u32_e32 v1, 29, v1
	v_lshlrev_b64 v[4:5], v4, v[86:87]
	s_delay_alu instid0(VALU_DEP_1)
	v_and_b32_e32 v86, 7, v4
; %bb.375:                              ;   in Loop: Header=BB253_10 Depth=1
	s_or_b32 exec_lo, exec_lo, s24
	v_lshlrev_b32_e32 v0, 16, v0
	s_delay_alu instid0(VALU_DEP_2) | instskip(SKIP_2) | instid1(VALU_DEP_4)
	v_lshlrev_b32_e32 v4, 20, v86
	v_lshl_add_u32 v1, v1, 23, 0x3c000000
	v_mov_b32_e32 v80, v87
	v_and_b32_e32 v0, 0x80000000, v0
	s_delay_alu instid0(VALU_DEP_1)
	v_or3_b32 v81, v4, v0, v1
.LBB253_376:                            ;   in Loop: Header=BB253_10 Depth=1
	s_or_b32 exec_lo, exec_lo, s18
.LBB253_377:                            ;   in Loop: Header=BB253_10 Depth=1
	s_delay_alu instid0(SALU_CYCLE_1)
	s_or_b32 exec_lo, exec_lo, s23
.LBB253_378:                            ;   in Loop: Header=BB253_10 Depth=1
	s_delay_alu instid0(SALU_CYCLE_1)
	s_or_b32 exec_lo, exec_lo, s3
	flat_load_u16 v0, v[2:3] offset:12
	v_mov_b32_e32 v84, 0
	v_mov_b32_e32 v85, 0
	s_mov_b32 s3, exec_lo
	s_waitcnt vmcnt(0) lgkmcnt(0)
	v_and_b32_e32 v1, 0xff, v0
	v_and_b32_e32 v0, 0xffff, v0
	scratch_store_b64 off, v[84:85], s32 offset:608 ; 8-byte Folded Spill
	v_cmpx_ne_u16_e32 0, v1
	s_cbranch_execz .LBB253_386
; %bb.379:                              ;   in Loop: Header=BB253_10 Depth=1
	v_and_b32_e32 v1, 0xff, v0
	s_delay_alu instid0(VALU_DEP_1)
	v_cmp_ne_u16_e64 s2, 0x80, v1
	v_bfrev_b32_e32 v1, 1
	v_mov_b32_e32 v2, 0
	scratch_store_b64 off, v[1:2], s32 offset:608 ; 8-byte Folded Spill
	s_and_saveexec_b32 s18, s2
	s_cbranch_execz .LBB253_385
; %bb.380:                              ;   in Loop: Header=BB253_10 Depth=1
	v_mov_b32_e32 v3, 0x7f800001
	v_and_b32_e32 v2, 0x7f, v0
	v_mov_b32_e32 v4, 0
	s_mov_b32 s23, exec_lo
	scratch_store_b64 off, v[3:4], s32 offset:608 ; 8-byte Folded Spill
	v_cmpx_ne_u32_e32 0x7f, v2
	s_cbranch_execz .LBB253_384
; %bb.381:                              ;   in Loop: Header=BB253_10 Depth=1
	v_and_b32_e32 v86, 7, v0
	v_lshrrev_b32_e32 v1, 3, v2
	s_mov_b32 s24, exec_lo
	v_cmpx_gt_u32_e32 8, v2
; %bb.382:                              ;   in Loop: Header=BB253_10 Depth=1
	s_delay_alu instid0(VALU_DEP_3) | instskip(NEXT) | instid1(VALU_DEP_1)
	v_clz_i32_u32_e32 v1, v86
	v_min_u32_e32 v1, 32, v1
	s_delay_alu instid0(VALU_DEP_1) | instskip(SKIP_1) | instid1(VALU_DEP_2)
	v_subrev_nc_u32_e32 v2, 28, v1
	v_sub_nc_u32_e32 v1, 29, v1
	v_lshlrev_b64 v[2:3], v2, v[86:87]
	s_delay_alu instid0(VALU_DEP_1)
	v_and_b32_e32 v86, 7, v2
; %bb.383:                              ;   in Loop: Header=BB253_10 Depth=1
	s_or_b32 exec_lo, exec_lo, s24
	v_lshlrev_b32_e32 v2, 24, v0
	s_delay_alu instid0(VALU_DEP_2) | instskip(SKIP_1) | instid1(VALU_DEP_3)
	v_lshlrev_b32_e32 v3, 20, v86
	v_lshl_add_u32 v1, v1, 23, 0x3c000000
	v_and_b32_e32 v2, 0x80000000, v2
	s_delay_alu instid0(VALU_DEP_1)
	v_or3_b32 v86, v3, v2, v1
	scratch_store_b64 off, v[86:87], s32 offset:608 ; 8-byte Folded Spill
.LBB253_384:                            ;   in Loop: Header=BB253_10 Depth=1
	s_or_b32 exec_lo, exec_lo, s23
.LBB253_385:                            ;   in Loop: Header=BB253_10 Depth=1
	s_delay_alu instid0(SALU_CYCLE_1)
	s_or_b32 exec_lo, exec_lo, s18
.LBB253_386:                            ;   in Loop: Header=BB253_10 Depth=1
	s_delay_alu instid0(SALU_CYCLE_1) | instskip(SKIP_2) | instid1(VALU_DEP_1)
	s_or_b32 exec_lo, exec_lo, s3
	v_lshrrev_b16 v1, 8, v0
	s_mov_b32 s3, exec_lo
	v_cmpx_ne_u16_e32 0, v1
	s_cbranch_execz .LBB253_394
; %bb.387:                              ;   in Loop: Header=BB253_10 Depth=1
	v_dual_mov_b32 v85, s9 :: v_dual_mov_b32 v84, s8
	s_mov_b32 s23, exec_lo
	v_cmpx_ne_u16_e32 0x80, v1
	s_cbranch_execz .LBB253_393
; %bb.388:                              ;   in Loop: Header=BB253_10 Depth=1
	s_mov_b32 s18, s8
	v_and_b32_e32 v1, 0xffff, v1
	v_dual_mov_b32 v85, s19 :: v_dual_mov_b32 v84, s18
	s_mov_b32 s18, exec_lo
	s_delay_alu instid0(VALU_DEP_2) | instskip(NEXT) | instid1(VALU_DEP_1)
	v_and_b32_e32 v2, 0x7f, v1
	v_cmpx_ne_u32_e32 0x7f, v2
	s_cbranch_execz .LBB253_392
; %bb.389:                              ;   in Loop: Header=BB253_10 Depth=1
	v_and_b32_e32 v86, 7, v1
	v_lshrrev_b32_e32 v1, 3, v2
	s_mov_b32 s24, exec_lo
	v_cmpx_gt_u32_e32 8, v2
; %bb.390:                              ;   in Loop: Header=BB253_10 Depth=1
	s_delay_alu instid0(VALU_DEP_3) | instskip(NEXT) | instid1(VALU_DEP_1)
	v_clz_i32_u32_e32 v1, v86
	v_min_u32_e32 v1, 32, v1
	s_delay_alu instid0(VALU_DEP_1) | instskip(SKIP_1) | instid1(VALU_DEP_2)
	v_subrev_nc_u32_e32 v2, 28, v1
	v_sub_nc_u32_e32 v1, 29, v1
	v_lshlrev_b64 v[2:3], v2, v[86:87]
	s_delay_alu instid0(VALU_DEP_1)
	v_and_b32_e32 v86, 7, v2
; %bb.391:                              ;   in Loop: Header=BB253_10 Depth=1
	s_or_b32 exec_lo, exec_lo, s24
	v_lshlrev_b32_e32 v0, 16, v0
	s_delay_alu instid0(VALU_DEP_2) | instskip(SKIP_2) | instid1(VALU_DEP_4)
	v_lshlrev_b32_e32 v2, 20, v86
	v_lshl_add_u32 v1, v1, 23, 0x3c000000
	v_mov_b32_e32 v84, v87
	v_and_b32_e32 v0, 0x80000000, v0
	s_delay_alu instid0(VALU_DEP_1)
	v_or3_b32 v85, v2, v0, v1
.LBB253_392:                            ;   in Loop: Header=BB253_10 Depth=1
	s_or_b32 exec_lo, exec_lo, s18
.LBB253_393:                            ;   in Loop: Header=BB253_10 Depth=1
	s_delay_alu instid0(SALU_CYCLE_1)
	s_or_b32 exec_lo, exec_lo, s23
.LBB253_394:                            ;   in Loop: Header=BB253_10 Depth=1
	s_delay_alu instid0(SALU_CYCLE_1)
	s_or_b32 exec_lo, exec_lo, s3
	flat_load_u16 v0, v[156:157] offset:1536
	v_mov_b32_e32 v96, 0
	v_mov_b32_e32 v97, 0
	s_mov_b32 s3, exec_lo
	s_waitcnt vmcnt(0) lgkmcnt(0)
	v_and_b32_e32 v2, 0xffff, v0
	v_and_b32_e32 v1, 0xff, v0
	scratch_store_b64 off, v[96:97], s32 offset:616 ; 8-byte Folded Spill
	v_cmpx_ne_u16_e32 0, v1
	s_cbranch_execz .LBB253_402
; %bb.395:                              ;   in Loop: Header=BB253_10 Depth=1
	v_and_b32_e32 v0, 0xff, v2
	s_delay_alu instid0(VALU_DEP_1)
	v_cmp_ne_u16_e64 s2, 0x80, v0
	v_bfrev_b32_e32 v0, 1
	v_mov_b32_e32 v1, 0
	scratch_store_b64 off, v[0:1], s32 offset:616 ; 8-byte Folded Spill
	s_and_saveexec_b32 s18, s2
	s_cbranch_execz .LBB253_401
; %bb.396:                              ;   in Loop: Header=BB253_10 Depth=1
	v_mov_b32_e32 v3, 0x7f800001
	v_dual_mov_b32 v4, 0 :: v_dual_and_b32 v1, 0x7f, v2
	s_mov_b32 s23, exec_lo
	scratch_store_b64 off, v[3:4], s32 offset:616 ; 8-byte Folded Spill
	v_cmpx_ne_u32_e32 0x7f, v1
	s_cbranch_execz .LBB253_400
; %bb.397:                              ;   in Loop: Header=BB253_10 Depth=1
	v_and_b32_e32 v86, 7, v2
	v_lshrrev_b32_e32 v0, 3, v1
	s_mov_b32 s24, exec_lo
	v_cmpx_gt_u32_e32 8, v1
; %bb.398:                              ;   in Loop: Header=BB253_10 Depth=1
	s_delay_alu instid0(VALU_DEP_3) | instskip(NEXT) | instid1(VALU_DEP_1)
	v_clz_i32_u32_e32 v0, v86
	v_min_u32_e32 v0, 32, v0
	s_delay_alu instid0(VALU_DEP_1) | instskip(SKIP_1) | instid1(VALU_DEP_2)
	v_subrev_nc_u32_e32 v1, 28, v0
	v_sub_nc_u32_e32 v0, 29, v0
	v_lshlrev_b64 v[3:4], v1, v[86:87]
	s_delay_alu instid0(VALU_DEP_1)
	v_and_b32_e32 v86, 7, v3
; %bb.399:                              ;   in Loop: Header=BB253_10 Depth=1
	s_or_b32 exec_lo, exec_lo, s24
	v_lshlrev_b32_e32 v1, 24, v2
	s_delay_alu instid0(VALU_DEP_2) | instskip(SKIP_1) | instid1(VALU_DEP_3)
	v_lshlrev_b32_e32 v3, 20, v86
	v_lshl_add_u32 v0, v0, 23, 0x3c000000
	v_and_b32_e32 v1, 0x80000000, v1
	s_delay_alu instid0(VALU_DEP_1)
	v_or3_b32 v86, v3, v1, v0
	scratch_store_b64 off, v[86:87], s32 offset:616 ; 8-byte Folded Spill
.LBB253_400:                            ;   in Loop: Header=BB253_10 Depth=1
	s_or_b32 exec_lo, exec_lo, s23
.LBB253_401:                            ;   in Loop: Header=BB253_10 Depth=1
	s_delay_alu instid0(SALU_CYCLE_1)
	s_or_b32 exec_lo, exec_lo, s18
.LBB253_402:                            ;   in Loop: Header=BB253_10 Depth=1
	s_delay_alu instid0(SALU_CYCLE_1) | instskip(SKIP_2) | instid1(VALU_DEP_1)
	s_or_b32 exec_lo, exec_lo, s3
	v_lshrrev_b16 v0, 8, v2
	s_mov_b32 s3, exec_lo
	v_cmpx_ne_u16_e32 0, v0
	s_cbranch_execz .LBB253_410
; %bb.403:                              ;   in Loop: Header=BB253_10 Depth=1
	v_dual_mov_b32 v97, s9 :: v_dual_mov_b32 v96, s8
	s_mov_b32 s23, exec_lo
	v_cmpx_ne_u16_e32 0x80, v0
	s_cbranch_execz .LBB253_409
; %bb.404:                              ;   in Loop: Header=BB253_10 Depth=1
	s_mov_b32 s18, s8
	v_dual_mov_b32 v97, s19 :: v_dual_and_b32 v0, 0xffff, v0
	v_mov_b32_e32 v96, s18
	s_mov_b32 s18, exec_lo
	s_delay_alu instid0(VALU_DEP_2) | instskip(NEXT) | instid1(VALU_DEP_1)
	v_and_b32_e32 v1, 0x7f, v0
	v_cmpx_ne_u32_e32 0x7f, v1
	s_cbranch_execz .LBB253_408
; %bb.405:                              ;   in Loop: Header=BB253_10 Depth=1
	v_and_b32_e32 v86, 7, v0
	v_lshrrev_b32_e32 v0, 3, v1
	s_mov_b32 s24, exec_lo
	v_cmpx_gt_u32_e32 8, v1
; %bb.406:                              ;   in Loop: Header=BB253_10 Depth=1
	s_delay_alu instid0(VALU_DEP_3) | instskip(NEXT) | instid1(VALU_DEP_1)
	v_clz_i32_u32_e32 v0, v86
	v_min_u32_e32 v0, 32, v0
	s_delay_alu instid0(VALU_DEP_1) | instskip(SKIP_1) | instid1(VALU_DEP_2)
	v_subrev_nc_u32_e32 v1, 28, v0
	v_sub_nc_u32_e32 v0, 29, v0
	v_lshlrev_b64 v[3:4], v1, v[86:87]
	s_delay_alu instid0(VALU_DEP_1)
	v_and_b32_e32 v86, 7, v3
; %bb.407:                              ;   in Loop: Header=BB253_10 Depth=1
	s_or_b32 exec_lo, exec_lo, s24
	v_dual_mov_b32 v96, v87 :: v_dual_lshlrev_b32 v1, 16, v2
	s_delay_alu instid0(VALU_DEP_2) | instskip(SKIP_1) | instid1(VALU_DEP_3)
	v_lshlrev_b32_e32 v2, 20, v86
	v_lshl_add_u32 v0, v0, 23, 0x3c000000
	v_and_b32_e32 v1, 0x80000000, v1
	s_delay_alu instid0(VALU_DEP_1)
	v_or3_b32 v97, v2, v1, v0
.LBB253_408:                            ;   in Loop: Header=BB253_10 Depth=1
	s_or_b32 exec_lo, exec_lo, s18
.LBB253_409:                            ;   in Loop: Header=BB253_10 Depth=1
	s_delay_alu instid0(SALU_CYCLE_1)
	s_or_b32 exec_lo, exec_lo, s23
.LBB253_410:                            ;   in Loop: Header=BB253_10 Depth=1
	s_delay_alu instid0(SALU_CYCLE_1)
	s_or_b32 exec_lo, exec_lo, s3
	flat_load_u16 v0, v[156:157] offset:1540
	v_mov_b32_e32 v100, 0
	v_mov_b32_e32 v101, 0
	s_mov_b32 s3, exec_lo
	s_waitcnt vmcnt(0) lgkmcnt(0)
	v_and_b32_e32 v2, 0xffff, v0
	v_and_b32_e32 v1, 0xff, v0
	v_dual_mov_b32 v103, v101 :: v_dual_mov_b32 v102, v100
	s_delay_alu instid0(VALU_DEP_2)
	v_cmpx_ne_u16_e32 0, v1
	s_cbranch_execz .LBB253_418
; %bb.411:                              ;   in Loop: Header=BB253_10 Depth=1
	v_bfrev_b32_e32 v102, 1
	v_dual_mov_b32 v103, 0 :: v_dual_and_b32 v0, 0xff, v2
	s_mov_b32 s18, exec_lo
	s_delay_alu instid0(VALU_DEP_1)
	v_cmpx_ne_u16_e32 0x80, v0
	s_cbranch_execz .LBB253_417
; %bb.412:                              ;   in Loop: Header=BB253_10 Depth=1
	v_mov_b32_e32 v102, 0x7f800001
	v_and_b32_e32 v1, 0x7f, v2
	v_mov_b32_e32 v103, 0
	s_mov_b32 s23, exec_lo
	s_delay_alu instid0(VALU_DEP_2)
	v_cmpx_ne_u32_e32 0x7f, v1
	s_cbranch_execz .LBB253_416
; %bb.413:                              ;   in Loop: Header=BB253_10 Depth=1
	v_and_b32_e32 v86, 7, v2
	v_lshrrev_b32_e32 v0, 3, v1
	s_mov_b32 s24, exec_lo
	v_cmpx_gt_u32_e32 8, v1
; %bb.414:                              ;   in Loop: Header=BB253_10 Depth=1
	s_delay_alu instid0(VALU_DEP_3) | instskip(NEXT) | instid1(VALU_DEP_1)
	v_clz_i32_u32_e32 v0, v86
	v_min_u32_e32 v0, 32, v0
	s_delay_alu instid0(VALU_DEP_1) | instskip(SKIP_1) | instid1(VALU_DEP_2)
	v_subrev_nc_u32_e32 v1, 28, v0
	v_sub_nc_u32_e32 v0, 29, v0
	v_lshlrev_b64 v[3:4], v1, v[86:87]
	s_delay_alu instid0(VALU_DEP_1)
	v_and_b32_e32 v86, 7, v3
; %bb.415:                              ;   in Loop: Header=BB253_10 Depth=1
	s_or_b32 exec_lo, exec_lo, s24
	v_lshlrev_b32_e32 v1, 24, v2
	s_delay_alu instid0(VALU_DEP_2) | instskip(SKIP_1) | instid1(VALU_DEP_3)
	v_lshlrev_b32_e32 v3, 20, v86
	v_lshl_add_u32 v0, v0, 23, 0x3c000000
	v_and_b32_e32 v1, 0x80000000, v1
	s_delay_alu instid0(VALU_DEP_1) | instskip(NEXT) | instid1(VALU_DEP_1)
	v_or3_b32 v86, v3, v1, v0
	v_dual_mov_b32 v103, v87 :: v_dual_mov_b32 v102, v86
.LBB253_416:                            ;   in Loop: Header=BB253_10 Depth=1
	s_or_b32 exec_lo, exec_lo, s23
.LBB253_417:                            ;   in Loop: Header=BB253_10 Depth=1
	s_delay_alu instid0(SALU_CYCLE_1)
	s_or_b32 exec_lo, exec_lo, s18
.LBB253_418:                            ;   in Loop: Header=BB253_10 Depth=1
	s_delay_alu instid0(SALU_CYCLE_1) | instskip(SKIP_2) | instid1(VALU_DEP_1)
	s_or_b32 exec_lo, exec_lo, s3
	v_lshrrev_b16 v0, 8, v2
	s_mov_b32 s3, exec_lo
	v_cmpx_ne_u16_e32 0, v0
	s_cbranch_execz .LBB253_426
; %bb.419:                              ;   in Loop: Header=BB253_10 Depth=1
	v_dual_mov_b32 v101, s9 :: v_dual_mov_b32 v100, s8
	s_mov_b32 s23, exec_lo
	v_cmpx_ne_u16_e32 0x80, v0
	s_cbranch_execz .LBB253_425
; %bb.420:                              ;   in Loop: Header=BB253_10 Depth=1
	s_mov_b32 s18, s8
	v_dual_mov_b32 v101, s19 :: v_dual_and_b32 v0, 0xffff, v0
	v_mov_b32_e32 v100, s18
	s_mov_b32 s18, exec_lo
	s_delay_alu instid0(VALU_DEP_2) | instskip(NEXT) | instid1(VALU_DEP_1)
	v_and_b32_e32 v1, 0x7f, v0
	v_cmpx_ne_u32_e32 0x7f, v1
	s_cbranch_execz .LBB253_424
; %bb.421:                              ;   in Loop: Header=BB253_10 Depth=1
	v_and_b32_e32 v86, 7, v0
	v_lshrrev_b32_e32 v0, 3, v1
	s_mov_b32 s24, exec_lo
	v_cmpx_gt_u32_e32 8, v1
; %bb.422:                              ;   in Loop: Header=BB253_10 Depth=1
	s_delay_alu instid0(VALU_DEP_3) | instskip(NEXT) | instid1(VALU_DEP_1)
	v_clz_i32_u32_e32 v0, v86
	v_min_u32_e32 v0, 32, v0
	s_delay_alu instid0(VALU_DEP_1) | instskip(SKIP_1) | instid1(VALU_DEP_2)
	v_subrev_nc_u32_e32 v1, 28, v0
	v_sub_nc_u32_e32 v0, 29, v0
	v_lshlrev_b64 v[3:4], v1, v[86:87]
	s_delay_alu instid0(VALU_DEP_1)
	v_and_b32_e32 v86, 7, v3
; %bb.423:                              ;   in Loop: Header=BB253_10 Depth=1
	s_or_b32 exec_lo, exec_lo, s24
	v_dual_mov_b32 v100, v87 :: v_dual_lshlrev_b32 v1, 16, v2
	s_delay_alu instid0(VALU_DEP_2) | instskip(SKIP_1) | instid1(VALU_DEP_3)
	v_lshlrev_b32_e32 v2, 20, v86
	v_lshl_add_u32 v0, v0, 23, 0x3c000000
	v_and_b32_e32 v1, 0x80000000, v1
	s_delay_alu instid0(VALU_DEP_1)
	v_or3_b32 v101, v2, v1, v0
.LBB253_424:                            ;   in Loop: Header=BB253_10 Depth=1
	s_or_b32 exec_lo, exec_lo, s18
.LBB253_425:                            ;   in Loop: Header=BB253_10 Depth=1
	s_delay_alu instid0(SALU_CYCLE_1)
	s_or_b32 exec_lo, exec_lo, s23
.LBB253_426:                            ;   in Loop: Header=BB253_10 Depth=1
	s_delay_alu instid0(SALU_CYCLE_1) | instskip(SKIP_1) | instid1(VALU_DEP_1)
	s_or_b32 exec_lo, exec_lo, s3
	v_add_co_u32 v2, s2, 0x600, v156
	v_add_co_ci_u32_e64 v3, s2, 0, v157, s2
	s_mov_b32 s3, exec_lo
	flat_load_u16 v0, v[2:3] offset:8
	v_mov_b32_e32 v112, 0
	s_waitcnt vmcnt(0) lgkmcnt(0)
	v_dual_mov_b32 v113, 0 :: v_dual_and_b32 v4, 0xffff, v0
	v_and_b32_e32 v1, 0xff, v0
	s_delay_alu instid0(VALU_DEP_2) | instskip(NEXT) | instid1(VALU_DEP_2)
	v_dual_mov_b32 v115, v113 :: v_dual_mov_b32 v114, v112
	v_cmpx_ne_u16_e32 0, v1
	s_cbranch_execz .LBB253_434
; %bb.427:                              ;   in Loop: Header=BB253_10 Depth=1
	v_bfrev_b32_e32 v114, 1
	v_dual_mov_b32 v115, 0 :: v_dual_and_b32 v0, 0xff, v4
	s_mov_b32 s18, exec_lo
	s_delay_alu instid0(VALU_DEP_1)
	v_cmpx_ne_u16_e32 0x80, v0
	s_cbranch_execz .LBB253_433
; %bb.428:                              ;   in Loop: Header=BB253_10 Depth=1
	v_mov_b32_e32 v114, 0x7f800001
	v_and_b32_e32 v1, 0x7f, v4
	v_mov_b32_e32 v115, 0
	s_mov_b32 s23, exec_lo
	s_delay_alu instid0(VALU_DEP_2)
	v_cmpx_ne_u32_e32 0x7f, v1
	s_cbranch_execz .LBB253_432
; %bb.429:                              ;   in Loop: Header=BB253_10 Depth=1
	v_and_b32_e32 v86, 7, v4
	v_lshrrev_b32_e32 v0, 3, v1
	s_mov_b32 s24, exec_lo
	v_cmpx_gt_u32_e32 8, v1
; %bb.430:                              ;   in Loop: Header=BB253_10 Depth=1
	s_delay_alu instid0(VALU_DEP_3) | instskip(NEXT) | instid1(VALU_DEP_1)
	v_clz_i32_u32_e32 v0, v86
	v_min_u32_e32 v0, 32, v0
	s_delay_alu instid0(VALU_DEP_1) | instskip(SKIP_1) | instid1(VALU_DEP_2)
	v_subrev_nc_u32_e32 v1, 28, v0
	v_sub_nc_u32_e32 v0, 29, v0
	v_lshlrev_b64 v[8:9], v1, v[86:87]
	s_delay_alu instid0(VALU_DEP_1)
	v_and_b32_e32 v86, 7, v8
; %bb.431:                              ;   in Loop: Header=BB253_10 Depth=1
	s_or_b32 exec_lo, exec_lo, s24
	v_lshlrev_b32_e32 v1, 24, v4
	s_delay_alu instid0(VALU_DEP_2) | instskip(SKIP_1) | instid1(VALU_DEP_3)
	v_lshlrev_b32_e32 v5, 20, v86
	v_lshl_add_u32 v0, v0, 23, 0x3c000000
	v_and_b32_e32 v1, 0x80000000, v1
	s_delay_alu instid0(VALU_DEP_1) | instskip(NEXT) | instid1(VALU_DEP_1)
	v_or3_b32 v86, v5, v1, v0
	v_dual_mov_b32 v115, v87 :: v_dual_mov_b32 v114, v86
.LBB253_432:                            ;   in Loop: Header=BB253_10 Depth=1
	s_or_b32 exec_lo, exec_lo, s23
.LBB253_433:                            ;   in Loop: Header=BB253_10 Depth=1
	s_delay_alu instid0(SALU_CYCLE_1)
	s_or_b32 exec_lo, exec_lo, s18
.LBB253_434:                            ;   in Loop: Header=BB253_10 Depth=1
	s_delay_alu instid0(SALU_CYCLE_1) | instskip(SKIP_2) | instid1(VALU_DEP_1)
	s_or_b32 exec_lo, exec_lo, s3
	v_lshrrev_b16 v0, 8, v4
	s_mov_b32 s3, exec_lo
	v_cmpx_ne_u16_e32 0, v0
	s_cbranch_execz .LBB253_442
; %bb.435:                              ;   in Loop: Header=BB253_10 Depth=1
	v_dual_mov_b32 v113, s9 :: v_dual_mov_b32 v112, s8
	s_mov_b32 s23, exec_lo
	v_cmpx_ne_u16_e32 0x80, v0
	s_cbranch_execz .LBB253_441
; %bb.436:                              ;   in Loop: Header=BB253_10 Depth=1
	s_mov_b32 s18, s8
	v_dual_mov_b32 v113, s19 :: v_dual_and_b32 v0, 0xffff, v0
	v_mov_b32_e32 v112, s18
	s_mov_b32 s18, exec_lo
	s_delay_alu instid0(VALU_DEP_2) | instskip(NEXT) | instid1(VALU_DEP_1)
	v_and_b32_e32 v1, 0x7f, v0
	v_cmpx_ne_u32_e32 0x7f, v1
	s_cbranch_execz .LBB253_440
; %bb.437:                              ;   in Loop: Header=BB253_10 Depth=1
	v_and_b32_e32 v86, 7, v0
	v_lshrrev_b32_e32 v0, 3, v1
	s_mov_b32 s24, exec_lo
	v_cmpx_gt_u32_e32 8, v1
; %bb.438:                              ;   in Loop: Header=BB253_10 Depth=1
	s_delay_alu instid0(VALU_DEP_3) | instskip(NEXT) | instid1(VALU_DEP_1)
	v_clz_i32_u32_e32 v0, v86
	v_min_u32_e32 v0, 32, v0
	s_delay_alu instid0(VALU_DEP_1) | instskip(SKIP_1) | instid1(VALU_DEP_2)
	v_subrev_nc_u32_e32 v1, 28, v0
	v_sub_nc_u32_e32 v0, 29, v0
	v_lshlrev_b64 v[8:9], v1, v[86:87]
	s_delay_alu instid0(VALU_DEP_1)
	v_and_b32_e32 v86, 7, v8
; %bb.439:                              ;   in Loop: Header=BB253_10 Depth=1
	s_or_b32 exec_lo, exec_lo, s24
	v_dual_mov_b32 v112, v87 :: v_dual_lshlrev_b32 v1, 16, v4
	s_delay_alu instid0(VALU_DEP_2) | instskip(SKIP_1) | instid1(VALU_DEP_3)
	v_lshlrev_b32_e32 v4, 20, v86
	v_lshl_add_u32 v0, v0, 23, 0x3c000000
	v_and_b32_e32 v1, 0x80000000, v1
	s_delay_alu instid0(VALU_DEP_1)
	v_or3_b32 v113, v4, v1, v0
.LBB253_440:                            ;   in Loop: Header=BB253_10 Depth=1
	s_or_b32 exec_lo, exec_lo, s18
.LBB253_441:                            ;   in Loop: Header=BB253_10 Depth=1
	s_delay_alu instid0(SALU_CYCLE_1)
	s_or_b32 exec_lo, exec_lo, s23
.LBB253_442:                            ;   in Loop: Header=BB253_10 Depth=1
	s_delay_alu instid0(SALU_CYCLE_1)
	s_or_b32 exec_lo, exec_lo, s3
	flat_load_u16 v0, v[2:3] offset:12
	v_mov_b32_e32 v116, 0
	v_mov_b32_e32 v117, 0
	s_mov_b32 s3, exec_lo
	s_waitcnt vmcnt(0) lgkmcnt(0)
	v_and_b32_e32 v2, 0xffff, v0
	v_and_b32_e32 v1, 0xff, v0
	v_dual_mov_b32 v119, v117 :: v_dual_mov_b32 v118, v116
	s_delay_alu instid0(VALU_DEP_2)
	v_cmpx_ne_u16_e32 0, v1
	s_cbranch_execz .LBB253_450
; %bb.443:                              ;   in Loop: Header=BB253_10 Depth=1
	v_bfrev_b32_e32 v118, 1
	v_dual_mov_b32 v119, 0 :: v_dual_and_b32 v0, 0xff, v2
	s_mov_b32 s18, exec_lo
	s_delay_alu instid0(VALU_DEP_1)
	v_cmpx_ne_u16_e32 0x80, v0
	s_cbranch_execz .LBB253_449
; %bb.444:                              ;   in Loop: Header=BB253_10 Depth=1
	v_mov_b32_e32 v118, 0x7f800001
	v_and_b32_e32 v1, 0x7f, v2
	v_mov_b32_e32 v119, 0
	s_mov_b32 s23, exec_lo
	s_delay_alu instid0(VALU_DEP_2)
	v_cmpx_ne_u32_e32 0x7f, v1
	s_cbranch_execz .LBB253_448
; %bb.445:                              ;   in Loop: Header=BB253_10 Depth=1
	v_and_b32_e32 v86, 7, v2
	v_lshrrev_b32_e32 v0, 3, v1
	s_mov_b32 s24, exec_lo
	v_cmpx_gt_u32_e32 8, v1
; %bb.446:                              ;   in Loop: Header=BB253_10 Depth=1
	s_delay_alu instid0(VALU_DEP_3) | instskip(NEXT) | instid1(VALU_DEP_1)
	v_clz_i32_u32_e32 v0, v86
	v_min_u32_e32 v0, 32, v0
	s_delay_alu instid0(VALU_DEP_1) | instskip(SKIP_1) | instid1(VALU_DEP_2)
	v_subrev_nc_u32_e32 v1, 28, v0
	v_sub_nc_u32_e32 v0, 29, v0
	v_lshlrev_b64 v[3:4], v1, v[86:87]
	s_delay_alu instid0(VALU_DEP_1)
	v_and_b32_e32 v86, 7, v3
; %bb.447:                              ;   in Loop: Header=BB253_10 Depth=1
	s_or_b32 exec_lo, exec_lo, s24
	v_lshlrev_b32_e32 v1, 24, v2
	s_delay_alu instid0(VALU_DEP_2) | instskip(SKIP_1) | instid1(VALU_DEP_3)
	v_lshlrev_b32_e32 v3, 20, v86
	v_lshl_add_u32 v0, v0, 23, 0x3c000000
	v_and_b32_e32 v1, 0x80000000, v1
	s_delay_alu instid0(VALU_DEP_1) | instskip(NEXT) | instid1(VALU_DEP_1)
	v_or3_b32 v86, v3, v1, v0
	v_dual_mov_b32 v119, v87 :: v_dual_mov_b32 v118, v86
.LBB253_448:                            ;   in Loop: Header=BB253_10 Depth=1
	s_or_b32 exec_lo, exec_lo, s23
.LBB253_449:                            ;   in Loop: Header=BB253_10 Depth=1
	s_delay_alu instid0(SALU_CYCLE_1)
	s_or_b32 exec_lo, exec_lo, s18
.LBB253_450:                            ;   in Loop: Header=BB253_10 Depth=1
	s_delay_alu instid0(SALU_CYCLE_1) | instskip(SKIP_2) | instid1(VALU_DEP_1)
	s_or_b32 exec_lo, exec_lo, s3
	v_lshrrev_b16 v0, 8, v2
	s_mov_b32 s3, exec_lo
	v_cmpx_ne_u16_e32 0, v0
	s_cbranch_execz .LBB253_458
; %bb.451:                              ;   in Loop: Header=BB253_10 Depth=1
	v_dual_mov_b32 v117, s9 :: v_dual_mov_b32 v116, s8
	s_mov_b32 s23, exec_lo
	v_cmpx_ne_u16_e32 0x80, v0
	s_cbranch_execz .LBB253_457
; %bb.452:                              ;   in Loop: Header=BB253_10 Depth=1
	s_mov_b32 s18, s8
	v_dual_mov_b32 v117, s19 :: v_dual_and_b32 v0, 0xffff, v0
	v_mov_b32_e32 v116, s18
	s_mov_b32 s18, exec_lo
	s_delay_alu instid0(VALU_DEP_2) | instskip(NEXT) | instid1(VALU_DEP_1)
	v_and_b32_e32 v1, 0x7f, v0
	v_cmpx_ne_u32_e32 0x7f, v1
	s_cbranch_execz .LBB253_456
; %bb.453:                              ;   in Loop: Header=BB253_10 Depth=1
	v_and_b32_e32 v86, 7, v0
	v_lshrrev_b32_e32 v0, 3, v1
	s_mov_b32 s24, exec_lo
	v_cmpx_gt_u32_e32 8, v1
; %bb.454:                              ;   in Loop: Header=BB253_10 Depth=1
	s_delay_alu instid0(VALU_DEP_3) | instskip(NEXT) | instid1(VALU_DEP_1)
	v_clz_i32_u32_e32 v0, v86
	v_min_u32_e32 v0, 32, v0
	s_delay_alu instid0(VALU_DEP_1) | instskip(SKIP_1) | instid1(VALU_DEP_2)
	v_subrev_nc_u32_e32 v1, 28, v0
	v_sub_nc_u32_e32 v0, 29, v0
	v_lshlrev_b64 v[3:4], v1, v[86:87]
	s_delay_alu instid0(VALU_DEP_1)
	v_and_b32_e32 v86, 7, v3
; %bb.455:                              ;   in Loop: Header=BB253_10 Depth=1
	s_or_b32 exec_lo, exec_lo, s24
	v_dual_mov_b32 v116, v87 :: v_dual_lshlrev_b32 v1, 16, v2
	s_delay_alu instid0(VALU_DEP_2) | instskip(SKIP_1) | instid1(VALU_DEP_3)
	v_lshlrev_b32_e32 v2, 20, v86
	v_lshl_add_u32 v0, v0, 23, 0x3c000000
	v_and_b32_e32 v1, 0x80000000, v1
	s_delay_alu instid0(VALU_DEP_1)
	v_or3_b32 v117, v2, v1, v0
.LBB253_456:                            ;   in Loop: Header=BB253_10 Depth=1
	s_or_b32 exec_lo, exec_lo, s18
.LBB253_457:                            ;   in Loop: Header=BB253_10 Depth=1
	s_delay_alu instid0(SALU_CYCLE_1)
	s_or_b32 exec_lo, exec_lo, s23
.LBB253_458:                            ;   in Loop: Header=BB253_10 Depth=1
	s_delay_alu instid0(SALU_CYCLE_1)
	s_or_b32 exec_lo, exec_lo, s3
	flat_load_u16 v0, v[156:157] offset:1792
	v_mov_b32_e32 v128, 0
	v_mov_b32_e32 v129, 0
	s_mov_b32 s3, exec_lo
	s_waitcnt vmcnt(0) lgkmcnt(0)
	v_and_b32_e32 v2, 0xffff, v0
	v_and_b32_e32 v1, 0xff, v0
	v_dual_mov_b32 v131, v129 :: v_dual_mov_b32 v130, v128
	s_delay_alu instid0(VALU_DEP_2)
	v_cmpx_ne_u16_e32 0, v1
	s_cbranch_execz .LBB253_466
; %bb.459:                              ;   in Loop: Header=BB253_10 Depth=1
	v_bfrev_b32_e32 v130, 1
	v_dual_mov_b32 v131, 0 :: v_dual_and_b32 v0, 0xff, v2
	s_mov_b32 s18, exec_lo
	s_delay_alu instid0(VALU_DEP_1)
	v_cmpx_ne_u16_e32 0x80, v0
	s_cbranch_execz .LBB253_465
; %bb.460:                              ;   in Loop: Header=BB253_10 Depth=1
	v_mov_b32_e32 v130, 0x7f800001
	v_and_b32_e32 v1, 0x7f, v2
	v_mov_b32_e32 v131, 0
	s_mov_b32 s23, exec_lo
	s_delay_alu instid0(VALU_DEP_2)
	v_cmpx_ne_u32_e32 0x7f, v1
	s_cbranch_execz .LBB253_464
; %bb.461:                              ;   in Loop: Header=BB253_10 Depth=1
	v_and_b32_e32 v86, 7, v2
	v_lshrrev_b32_e32 v0, 3, v1
	s_mov_b32 s24, exec_lo
	v_cmpx_gt_u32_e32 8, v1
; %bb.462:                              ;   in Loop: Header=BB253_10 Depth=1
	s_delay_alu instid0(VALU_DEP_3) | instskip(NEXT) | instid1(VALU_DEP_1)
	v_clz_i32_u32_e32 v0, v86
	v_min_u32_e32 v0, 32, v0
	s_delay_alu instid0(VALU_DEP_1) | instskip(SKIP_1) | instid1(VALU_DEP_2)
	v_subrev_nc_u32_e32 v1, 28, v0
	v_sub_nc_u32_e32 v0, 29, v0
	v_lshlrev_b64 v[3:4], v1, v[86:87]
	s_delay_alu instid0(VALU_DEP_1)
	v_and_b32_e32 v86, 7, v3
; %bb.463:                              ;   in Loop: Header=BB253_10 Depth=1
	s_or_b32 exec_lo, exec_lo, s24
	v_lshlrev_b32_e32 v1, 24, v2
	s_delay_alu instid0(VALU_DEP_2) | instskip(SKIP_1) | instid1(VALU_DEP_3)
	v_lshlrev_b32_e32 v3, 20, v86
	v_lshl_add_u32 v0, v0, 23, 0x3c000000
	v_and_b32_e32 v1, 0x80000000, v1
	s_delay_alu instid0(VALU_DEP_1) | instskip(NEXT) | instid1(VALU_DEP_1)
	v_or3_b32 v86, v3, v1, v0
	v_dual_mov_b32 v131, v87 :: v_dual_mov_b32 v130, v86
.LBB253_464:                            ;   in Loop: Header=BB253_10 Depth=1
	s_or_b32 exec_lo, exec_lo, s23
.LBB253_465:                            ;   in Loop: Header=BB253_10 Depth=1
	s_delay_alu instid0(SALU_CYCLE_1)
	s_or_b32 exec_lo, exec_lo, s18
.LBB253_466:                            ;   in Loop: Header=BB253_10 Depth=1
	s_delay_alu instid0(SALU_CYCLE_1) | instskip(SKIP_2) | instid1(VALU_DEP_1)
	s_or_b32 exec_lo, exec_lo, s3
	v_lshrrev_b16 v0, 8, v2
	s_mov_b32 s3, exec_lo
	v_cmpx_ne_u16_e32 0, v0
	s_cbranch_execz .LBB253_474
; %bb.467:                              ;   in Loop: Header=BB253_10 Depth=1
	v_dual_mov_b32 v129, s9 :: v_dual_mov_b32 v128, s8
	s_mov_b32 s23, exec_lo
	v_cmpx_ne_u16_e32 0x80, v0
	s_cbranch_execz .LBB253_473
; %bb.468:                              ;   in Loop: Header=BB253_10 Depth=1
	s_mov_b32 s18, s8
	v_dual_mov_b32 v129, s19 :: v_dual_and_b32 v0, 0xffff, v0
	v_mov_b32_e32 v128, s18
	s_mov_b32 s18, exec_lo
	s_delay_alu instid0(VALU_DEP_2) | instskip(NEXT) | instid1(VALU_DEP_1)
	v_and_b32_e32 v1, 0x7f, v0
	v_cmpx_ne_u32_e32 0x7f, v1
	s_cbranch_execz .LBB253_472
; %bb.469:                              ;   in Loop: Header=BB253_10 Depth=1
	v_and_b32_e32 v86, 7, v0
	v_lshrrev_b32_e32 v0, 3, v1
	s_mov_b32 s24, exec_lo
	v_cmpx_gt_u32_e32 8, v1
; %bb.470:                              ;   in Loop: Header=BB253_10 Depth=1
	s_delay_alu instid0(VALU_DEP_3) | instskip(NEXT) | instid1(VALU_DEP_1)
	v_clz_i32_u32_e32 v0, v86
	v_min_u32_e32 v0, 32, v0
	s_delay_alu instid0(VALU_DEP_1) | instskip(SKIP_1) | instid1(VALU_DEP_2)
	v_subrev_nc_u32_e32 v1, 28, v0
	v_sub_nc_u32_e32 v0, 29, v0
	v_lshlrev_b64 v[3:4], v1, v[86:87]
	s_delay_alu instid0(VALU_DEP_1)
	v_and_b32_e32 v86, 7, v3
; %bb.471:                              ;   in Loop: Header=BB253_10 Depth=1
	s_or_b32 exec_lo, exec_lo, s24
	v_dual_mov_b32 v128, v87 :: v_dual_lshlrev_b32 v1, 16, v2
	s_delay_alu instid0(VALU_DEP_2) | instskip(SKIP_1) | instid1(VALU_DEP_3)
	v_lshlrev_b32_e32 v2, 20, v86
	v_lshl_add_u32 v0, v0, 23, 0x3c000000
	v_and_b32_e32 v1, 0x80000000, v1
	s_delay_alu instid0(VALU_DEP_1)
	v_or3_b32 v129, v2, v1, v0
.LBB253_472:                            ;   in Loop: Header=BB253_10 Depth=1
	s_or_b32 exec_lo, exec_lo, s18
.LBB253_473:                            ;   in Loop: Header=BB253_10 Depth=1
	s_delay_alu instid0(SALU_CYCLE_1)
	s_or_b32 exec_lo, exec_lo, s23
.LBB253_474:                            ;   in Loop: Header=BB253_10 Depth=1
	s_delay_alu instid0(SALU_CYCLE_1)
	s_or_b32 exec_lo, exec_lo, s3
	flat_load_u16 v0, v[156:157] offset:1796
	v_mov_b32_e32 v132, 0
	v_mov_b32_e32 v133, 0
	s_mov_b32 s3, exec_lo
	s_waitcnt vmcnt(0) lgkmcnt(0)
	v_and_b32_e32 v2, 0xffff, v0
	v_and_b32_e32 v1, 0xff, v0
	v_dual_mov_b32 v135, v133 :: v_dual_mov_b32 v134, v132
	s_delay_alu instid0(VALU_DEP_2)
	v_cmpx_ne_u16_e32 0, v1
	s_cbranch_execz .LBB253_482
; %bb.475:                              ;   in Loop: Header=BB253_10 Depth=1
	v_bfrev_b32_e32 v134, 1
	v_dual_mov_b32 v135, 0 :: v_dual_and_b32 v0, 0xff, v2
	s_mov_b32 s18, exec_lo
	s_delay_alu instid0(VALU_DEP_1)
	v_cmpx_ne_u16_e32 0x80, v0
	s_cbranch_execz .LBB253_481
; %bb.476:                              ;   in Loop: Header=BB253_10 Depth=1
	v_mov_b32_e32 v134, 0x7f800001
	v_and_b32_e32 v1, 0x7f, v2
	v_mov_b32_e32 v135, 0
	s_mov_b32 s23, exec_lo
	s_delay_alu instid0(VALU_DEP_2)
	v_cmpx_ne_u32_e32 0x7f, v1
	s_cbranch_execz .LBB253_480
; %bb.477:                              ;   in Loop: Header=BB253_10 Depth=1
	v_and_b32_e32 v86, 7, v2
	v_lshrrev_b32_e32 v0, 3, v1
	s_mov_b32 s24, exec_lo
	v_cmpx_gt_u32_e32 8, v1
; %bb.478:                              ;   in Loop: Header=BB253_10 Depth=1
	s_delay_alu instid0(VALU_DEP_3) | instskip(NEXT) | instid1(VALU_DEP_1)
	v_clz_i32_u32_e32 v0, v86
	v_min_u32_e32 v0, 32, v0
	s_delay_alu instid0(VALU_DEP_1) | instskip(SKIP_1) | instid1(VALU_DEP_2)
	v_subrev_nc_u32_e32 v1, 28, v0
	v_sub_nc_u32_e32 v0, 29, v0
	v_lshlrev_b64 v[3:4], v1, v[86:87]
	s_delay_alu instid0(VALU_DEP_1)
	v_and_b32_e32 v86, 7, v3
; %bb.479:                              ;   in Loop: Header=BB253_10 Depth=1
	s_or_b32 exec_lo, exec_lo, s24
	v_lshlrev_b32_e32 v1, 24, v2
	s_delay_alu instid0(VALU_DEP_2) | instskip(SKIP_1) | instid1(VALU_DEP_3)
	v_lshlrev_b32_e32 v3, 20, v86
	v_lshl_add_u32 v0, v0, 23, 0x3c000000
	v_and_b32_e32 v1, 0x80000000, v1
	s_delay_alu instid0(VALU_DEP_1) | instskip(NEXT) | instid1(VALU_DEP_1)
	v_or3_b32 v86, v3, v1, v0
	v_dual_mov_b32 v135, v87 :: v_dual_mov_b32 v134, v86
.LBB253_480:                            ;   in Loop: Header=BB253_10 Depth=1
	s_or_b32 exec_lo, exec_lo, s23
.LBB253_481:                            ;   in Loop: Header=BB253_10 Depth=1
	s_delay_alu instid0(SALU_CYCLE_1)
	s_or_b32 exec_lo, exec_lo, s18
.LBB253_482:                            ;   in Loop: Header=BB253_10 Depth=1
	s_delay_alu instid0(SALU_CYCLE_1) | instskip(SKIP_2) | instid1(VALU_DEP_1)
	s_or_b32 exec_lo, exec_lo, s3
	v_lshrrev_b16 v0, 8, v2
	s_mov_b32 s3, exec_lo
	v_cmpx_ne_u16_e32 0, v0
	s_cbranch_execz .LBB253_490
; %bb.483:                              ;   in Loop: Header=BB253_10 Depth=1
	v_dual_mov_b32 v133, s9 :: v_dual_mov_b32 v132, s8
	s_mov_b32 s23, exec_lo
	v_cmpx_ne_u16_e32 0x80, v0
	s_cbranch_execz .LBB253_489
; %bb.484:                              ;   in Loop: Header=BB253_10 Depth=1
	s_mov_b32 s18, s8
	v_dual_mov_b32 v133, s19 :: v_dual_and_b32 v0, 0xffff, v0
	v_mov_b32_e32 v132, s18
	s_mov_b32 s18, exec_lo
	s_delay_alu instid0(VALU_DEP_2) | instskip(NEXT) | instid1(VALU_DEP_1)
	v_and_b32_e32 v1, 0x7f, v0
	v_cmpx_ne_u32_e32 0x7f, v1
	s_cbranch_execz .LBB253_488
; %bb.485:                              ;   in Loop: Header=BB253_10 Depth=1
	v_and_b32_e32 v86, 7, v0
	v_lshrrev_b32_e32 v0, 3, v1
	s_mov_b32 s24, exec_lo
	v_cmpx_gt_u32_e32 8, v1
; %bb.486:                              ;   in Loop: Header=BB253_10 Depth=1
	s_delay_alu instid0(VALU_DEP_3) | instskip(NEXT) | instid1(VALU_DEP_1)
	v_clz_i32_u32_e32 v0, v86
	v_min_u32_e32 v0, 32, v0
	s_delay_alu instid0(VALU_DEP_1) | instskip(SKIP_1) | instid1(VALU_DEP_2)
	v_subrev_nc_u32_e32 v1, 28, v0
	v_sub_nc_u32_e32 v0, 29, v0
	v_lshlrev_b64 v[3:4], v1, v[86:87]
	s_delay_alu instid0(VALU_DEP_1)
	v_and_b32_e32 v86, 7, v3
; %bb.487:                              ;   in Loop: Header=BB253_10 Depth=1
	s_or_b32 exec_lo, exec_lo, s24
	v_dual_mov_b32 v132, v87 :: v_dual_lshlrev_b32 v1, 16, v2
	s_delay_alu instid0(VALU_DEP_2) | instskip(SKIP_1) | instid1(VALU_DEP_3)
	v_lshlrev_b32_e32 v2, 20, v86
	v_lshl_add_u32 v0, v0, 23, 0x3c000000
	v_and_b32_e32 v1, 0x80000000, v1
	s_delay_alu instid0(VALU_DEP_1)
	v_or3_b32 v133, v2, v1, v0
.LBB253_488:                            ;   in Loop: Header=BB253_10 Depth=1
	s_or_b32 exec_lo, exec_lo, s18
.LBB253_489:                            ;   in Loop: Header=BB253_10 Depth=1
	s_delay_alu instid0(SALU_CYCLE_1)
	s_or_b32 exec_lo, exec_lo, s23
.LBB253_490:                            ;   in Loop: Header=BB253_10 Depth=1
	s_delay_alu instid0(SALU_CYCLE_1) | instskip(SKIP_1) | instid1(VALU_DEP_1)
	s_or_b32 exec_lo, exec_lo, s3
	v_add_co_u32 v2, s2, 0x700, v156
	v_add_co_ci_u32_e64 v3, s2, 0, v157, s2
	s_mov_b32 s3, exec_lo
	flat_load_u16 v0, v[2:3] offset:8
	v_mov_b32_e32 v144, 0
	s_waitcnt vmcnt(0) lgkmcnt(0)
	v_dual_mov_b32 v145, 0 :: v_dual_and_b32 v4, 0xffff, v0
	v_and_b32_e32 v1, 0xff, v0
	s_delay_alu instid0(VALU_DEP_2) | instskip(NEXT) | instid1(VALU_DEP_2)
	v_dual_mov_b32 v147, v145 :: v_dual_mov_b32 v146, v144
	v_cmpx_ne_u16_e32 0, v1
	s_cbranch_execz .LBB253_498
; %bb.491:                              ;   in Loop: Header=BB253_10 Depth=1
	v_bfrev_b32_e32 v146, 1
	v_dual_mov_b32 v147, 0 :: v_dual_and_b32 v0, 0xff, v4
	s_mov_b32 s18, exec_lo
	s_delay_alu instid0(VALU_DEP_1)
	v_cmpx_ne_u16_e32 0x80, v0
	s_cbranch_execz .LBB253_497
; %bb.492:                              ;   in Loop: Header=BB253_10 Depth=1
	v_mov_b32_e32 v146, 0x7f800001
	v_and_b32_e32 v1, 0x7f, v4
	v_mov_b32_e32 v147, 0
	s_mov_b32 s23, exec_lo
	s_delay_alu instid0(VALU_DEP_2)
	v_cmpx_ne_u32_e32 0x7f, v1
	s_cbranch_execz .LBB253_496
; %bb.493:                              ;   in Loop: Header=BB253_10 Depth=1
	v_and_b32_e32 v86, 7, v4
	v_lshrrev_b32_e32 v0, 3, v1
	s_mov_b32 s24, exec_lo
	v_cmpx_gt_u32_e32 8, v1
; %bb.494:                              ;   in Loop: Header=BB253_10 Depth=1
	s_delay_alu instid0(VALU_DEP_3) | instskip(NEXT) | instid1(VALU_DEP_1)
	v_clz_i32_u32_e32 v0, v86
	v_min_u32_e32 v0, 32, v0
	s_delay_alu instid0(VALU_DEP_1) | instskip(SKIP_1) | instid1(VALU_DEP_2)
	v_subrev_nc_u32_e32 v1, 28, v0
	v_sub_nc_u32_e32 v0, 29, v0
	v_lshlrev_b64 v[8:9], v1, v[86:87]
	s_delay_alu instid0(VALU_DEP_1)
	v_and_b32_e32 v86, 7, v8
; %bb.495:                              ;   in Loop: Header=BB253_10 Depth=1
	s_or_b32 exec_lo, exec_lo, s24
	v_lshlrev_b32_e32 v1, 24, v4
	s_delay_alu instid0(VALU_DEP_2) | instskip(SKIP_1) | instid1(VALU_DEP_3)
	v_lshlrev_b32_e32 v5, 20, v86
	v_lshl_add_u32 v0, v0, 23, 0x3c000000
	v_and_b32_e32 v1, 0x80000000, v1
	s_delay_alu instid0(VALU_DEP_1) | instskip(NEXT) | instid1(VALU_DEP_1)
	v_or3_b32 v86, v5, v1, v0
	v_dual_mov_b32 v147, v87 :: v_dual_mov_b32 v146, v86
.LBB253_496:                            ;   in Loop: Header=BB253_10 Depth=1
	s_or_b32 exec_lo, exec_lo, s23
.LBB253_497:                            ;   in Loop: Header=BB253_10 Depth=1
	s_delay_alu instid0(SALU_CYCLE_1)
	s_or_b32 exec_lo, exec_lo, s18
.LBB253_498:                            ;   in Loop: Header=BB253_10 Depth=1
	s_delay_alu instid0(SALU_CYCLE_1) | instskip(SKIP_2) | instid1(VALU_DEP_1)
	s_or_b32 exec_lo, exec_lo, s3
	v_lshrrev_b16 v0, 8, v4
	s_mov_b32 s3, exec_lo
	v_cmpx_ne_u16_e32 0, v0
	s_cbranch_execz .LBB253_506
; %bb.499:                              ;   in Loop: Header=BB253_10 Depth=1
	v_dual_mov_b32 v145, s9 :: v_dual_mov_b32 v144, s8
	s_mov_b32 s23, exec_lo
	v_cmpx_ne_u16_e32 0x80, v0
	s_cbranch_execz .LBB253_505
; %bb.500:                              ;   in Loop: Header=BB253_10 Depth=1
	s_mov_b32 s18, s8
	v_dual_mov_b32 v145, s19 :: v_dual_and_b32 v0, 0xffff, v0
	v_mov_b32_e32 v144, s18
	s_mov_b32 s18, exec_lo
	s_delay_alu instid0(VALU_DEP_2) | instskip(NEXT) | instid1(VALU_DEP_1)
	v_and_b32_e32 v1, 0x7f, v0
	v_cmpx_ne_u32_e32 0x7f, v1
	s_cbranch_execz .LBB253_504
; %bb.501:                              ;   in Loop: Header=BB253_10 Depth=1
	v_and_b32_e32 v86, 7, v0
	v_lshrrev_b32_e32 v0, 3, v1
	s_mov_b32 s24, exec_lo
	v_cmpx_gt_u32_e32 8, v1
; %bb.502:                              ;   in Loop: Header=BB253_10 Depth=1
	s_delay_alu instid0(VALU_DEP_3) | instskip(NEXT) | instid1(VALU_DEP_1)
	v_clz_i32_u32_e32 v0, v86
	v_min_u32_e32 v0, 32, v0
	s_delay_alu instid0(VALU_DEP_1) | instskip(SKIP_1) | instid1(VALU_DEP_2)
	v_subrev_nc_u32_e32 v1, 28, v0
	v_sub_nc_u32_e32 v0, 29, v0
	v_lshlrev_b64 v[8:9], v1, v[86:87]
	s_delay_alu instid0(VALU_DEP_1)
	v_and_b32_e32 v86, 7, v8
; %bb.503:                              ;   in Loop: Header=BB253_10 Depth=1
	s_or_b32 exec_lo, exec_lo, s24
	v_dual_mov_b32 v144, v87 :: v_dual_lshlrev_b32 v1, 16, v4
	s_delay_alu instid0(VALU_DEP_2) | instskip(SKIP_1) | instid1(VALU_DEP_3)
	v_lshlrev_b32_e32 v4, 20, v86
	v_lshl_add_u32 v0, v0, 23, 0x3c000000
	v_and_b32_e32 v1, 0x80000000, v1
	s_delay_alu instid0(VALU_DEP_1)
	v_or3_b32 v145, v4, v1, v0
.LBB253_504:                            ;   in Loop: Header=BB253_10 Depth=1
	s_or_b32 exec_lo, exec_lo, s18
.LBB253_505:                            ;   in Loop: Header=BB253_10 Depth=1
	s_delay_alu instid0(SALU_CYCLE_1)
	s_or_b32 exec_lo, exec_lo, s23
.LBB253_506:                            ;   in Loop: Header=BB253_10 Depth=1
	s_delay_alu instid0(SALU_CYCLE_1)
	s_or_b32 exec_lo, exec_lo, s3
	flat_load_u16 v0, v[2:3] offset:12
	v_mov_b32_e32 v148, 0
	v_mov_b32_e32 v149, 0
	s_mov_b32 s3, exec_lo
	s_waitcnt vmcnt(0) lgkmcnt(0)
	v_and_b32_e32 v2, 0xffff, v0
	v_and_b32_e32 v1, 0xff, v0
	v_dual_mov_b32 v151, v149 :: v_dual_mov_b32 v150, v148
	s_delay_alu instid0(VALU_DEP_2)
	v_cmpx_ne_u16_e32 0, v1
	s_cbranch_execz .LBB253_514
; %bb.507:                              ;   in Loop: Header=BB253_10 Depth=1
	v_bfrev_b32_e32 v150, 1
	v_dual_mov_b32 v151, 0 :: v_dual_and_b32 v0, 0xff, v2
	s_mov_b32 s18, exec_lo
	s_delay_alu instid0(VALU_DEP_1)
	v_cmpx_ne_u16_e32 0x80, v0
	s_cbranch_execz .LBB253_513
; %bb.508:                              ;   in Loop: Header=BB253_10 Depth=1
	v_mov_b32_e32 v150, 0x7f800001
	v_and_b32_e32 v1, 0x7f, v2
	v_mov_b32_e32 v151, 0
	s_mov_b32 s23, exec_lo
	s_delay_alu instid0(VALU_DEP_2)
	v_cmpx_ne_u32_e32 0x7f, v1
	s_cbranch_execz .LBB253_512
; %bb.509:                              ;   in Loop: Header=BB253_10 Depth=1
	v_and_b32_e32 v86, 7, v2
	v_lshrrev_b32_e32 v0, 3, v1
	s_mov_b32 s24, exec_lo
	v_cmpx_gt_u32_e32 8, v1
; %bb.510:                              ;   in Loop: Header=BB253_10 Depth=1
	s_delay_alu instid0(VALU_DEP_3) | instskip(NEXT) | instid1(VALU_DEP_1)
	v_clz_i32_u32_e32 v0, v86
	v_min_u32_e32 v0, 32, v0
	s_delay_alu instid0(VALU_DEP_1) | instskip(SKIP_1) | instid1(VALU_DEP_2)
	v_subrev_nc_u32_e32 v1, 28, v0
	v_sub_nc_u32_e32 v0, 29, v0
	v_lshlrev_b64 v[3:4], v1, v[86:87]
	s_delay_alu instid0(VALU_DEP_1)
	v_and_b32_e32 v86, 7, v3
; %bb.511:                              ;   in Loop: Header=BB253_10 Depth=1
	s_or_b32 exec_lo, exec_lo, s24
	v_lshlrev_b32_e32 v1, 24, v2
	s_delay_alu instid0(VALU_DEP_2) | instskip(SKIP_1) | instid1(VALU_DEP_3)
	v_lshlrev_b32_e32 v3, 20, v86
	v_lshl_add_u32 v0, v0, 23, 0x3c000000
	v_and_b32_e32 v1, 0x80000000, v1
	s_delay_alu instid0(VALU_DEP_1) | instskip(NEXT) | instid1(VALU_DEP_1)
	v_or3_b32 v86, v3, v1, v0
	v_dual_mov_b32 v151, v87 :: v_dual_mov_b32 v150, v86
.LBB253_512:                            ;   in Loop: Header=BB253_10 Depth=1
	s_or_b32 exec_lo, exec_lo, s23
.LBB253_513:                            ;   in Loop: Header=BB253_10 Depth=1
	s_delay_alu instid0(SALU_CYCLE_1)
	s_or_b32 exec_lo, exec_lo, s18
.LBB253_514:                            ;   in Loop: Header=BB253_10 Depth=1
	s_delay_alu instid0(SALU_CYCLE_1) | instskip(SKIP_2) | instid1(VALU_DEP_1)
	s_or_b32 exec_lo, exec_lo, s3
	v_lshrrev_b16 v0, 8, v2
	s_mov_b32 s3, exec_lo
	v_cmpx_ne_u16_e32 0, v0
	s_cbranch_execz .LBB253_522
; %bb.515:                              ;   in Loop: Header=BB253_10 Depth=1
	v_dual_mov_b32 v149, s9 :: v_dual_mov_b32 v148, s8
	s_mov_b32 s23, exec_lo
	v_cmpx_ne_u16_e32 0x80, v0
	s_cbranch_execz .LBB253_521
; %bb.516:                              ;   in Loop: Header=BB253_10 Depth=1
	s_mov_b32 s18, s8
	v_dual_mov_b32 v149, s19 :: v_dual_and_b32 v0, 0xffff, v0
	v_mov_b32_e32 v148, s18
	s_mov_b32 s18, exec_lo
	s_delay_alu instid0(VALU_DEP_2) | instskip(NEXT) | instid1(VALU_DEP_1)
	v_and_b32_e32 v1, 0x7f, v0
	v_cmpx_ne_u32_e32 0x7f, v1
	s_cbranch_execz .LBB253_520
; %bb.517:                              ;   in Loop: Header=BB253_10 Depth=1
	v_and_b32_e32 v86, 7, v0
	v_lshrrev_b32_e32 v0, 3, v1
	s_mov_b32 s24, exec_lo
	v_cmpx_gt_u32_e32 8, v1
; %bb.518:                              ;   in Loop: Header=BB253_10 Depth=1
	s_delay_alu instid0(VALU_DEP_3) | instskip(NEXT) | instid1(VALU_DEP_1)
	v_clz_i32_u32_e32 v0, v86
	v_min_u32_e32 v0, 32, v0
	s_delay_alu instid0(VALU_DEP_1) | instskip(SKIP_1) | instid1(VALU_DEP_2)
	v_subrev_nc_u32_e32 v1, 28, v0
	v_sub_nc_u32_e32 v0, 29, v0
	v_lshlrev_b64 v[3:4], v1, v[86:87]
	s_delay_alu instid0(VALU_DEP_1)
	v_and_b32_e32 v86, 7, v3
; %bb.519:                              ;   in Loop: Header=BB253_10 Depth=1
	s_or_b32 exec_lo, exec_lo, s24
	v_dual_mov_b32 v148, v87 :: v_dual_lshlrev_b32 v1, 16, v2
	s_delay_alu instid0(VALU_DEP_2) | instskip(SKIP_1) | instid1(VALU_DEP_3)
	v_lshlrev_b32_e32 v2, 20, v86
	v_lshl_add_u32 v0, v0, 23, 0x3c000000
	v_and_b32_e32 v1, 0x80000000, v1
	s_delay_alu instid0(VALU_DEP_1)
	v_or3_b32 v149, v2, v1, v0
.LBB253_520:                            ;   in Loop: Header=BB253_10 Depth=1
	s_or_b32 exec_lo, exec_lo, s18
.LBB253_521:                            ;   in Loop: Header=BB253_10 Depth=1
	s_delay_alu instid0(SALU_CYCLE_1)
	s_or_b32 exec_lo, exec_lo, s23
.LBB253_522:                            ;   in Loop: Header=BB253_10 Depth=1
	s_delay_alu instid0(SALU_CYCLE_1)
	s_or_b32 exec_lo, exec_lo, s3
	flat_load_u16 v0, v[156:157] offset:2048
	v_mov_b32_e32 v160, 0
	v_mov_b32_e32 v161, 0
	s_mov_b32 s3, exec_lo
	s_waitcnt vmcnt(0) lgkmcnt(0)
	v_and_b32_e32 v2, 0xffff, v0
	v_and_b32_e32 v1, 0xff, v0
	v_dual_mov_b32 v163, v161 :: v_dual_mov_b32 v162, v160
	s_delay_alu instid0(VALU_DEP_2)
	v_cmpx_ne_u16_e32 0, v1
	s_cbranch_execz .LBB253_530
; %bb.523:                              ;   in Loop: Header=BB253_10 Depth=1
	v_bfrev_b32_e32 v162, 1
	v_dual_mov_b32 v163, 0 :: v_dual_and_b32 v0, 0xff, v2
	s_mov_b32 s18, exec_lo
	s_delay_alu instid0(VALU_DEP_1)
	v_cmpx_ne_u16_e32 0x80, v0
	s_cbranch_execz .LBB253_529
; %bb.524:                              ;   in Loop: Header=BB253_10 Depth=1
	v_mov_b32_e32 v162, 0x7f800001
	v_and_b32_e32 v1, 0x7f, v2
	v_mov_b32_e32 v163, 0
	s_mov_b32 s23, exec_lo
	s_delay_alu instid0(VALU_DEP_2)
	v_cmpx_ne_u32_e32 0x7f, v1
	s_cbranch_execz .LBB253_528
; %bb.525:                              ;   in Loop: Header=BB253_10 Depth=1
	v_and_b32_e32 v86, 7, v2
	v_lshrrev_b32_e32 v0, 3, v1
	s_mov_b32 s24, exec_lo
	v_cmpx_gt_u32_e32 8, v1
; %bb.526:                              ;   in Loop: Header=BB253_10 Depth=1
	s_delay_alu instid0(VALU_DEP_3) | instskip(NEXT) | instid1(VALU_DEP_1)
	v_clz_i32_u32_e32 v0, v86
	v_min_u32_e32 v0, 32, v0
	s_delay_alu instid0(VALU_DEP_1) | instskip(SKIP_1) | instid1(VALU_DEP_2)
	v_subrev_nc_u32_e32 v1, 28, v0
	v_sub_nc_u32_e32 v0, 29, v0
	v_lshlrev_b64 v[3:4], v1, v[86:87]
	s_delay_alu instid0(VALU_DEP_1)
	v_and_b32_e32 v86, 7, v3
; %bb.527:                              ;   in Loop: Header=BB253_10 Depth=1
	s_or_b32 exec_lo, exec_lo, s24
	v_lshlrev_b32_e32 v1, 24, v2
	s_delay_alu instid0(VALU_DEP_2) | instskip(SKIP_1) | instid1(VALU_DEP_3)
	v_lshlrev_b32_e32 v3, 20, v86
	v_lshl_add_u32 v0, v0, 23, 0x3c000000
	v_and_b32_e32 v1, 0x80000000, v1
	s_delay_alu instid0(VALU_DEP_1) | instskip(NEXT) | instid1(VALU_DEP_1)
	v_or3_b32 v86, v3, v1, v0
	v_dual_mov_b32 v163, v87 :: v_dual_mov_b32 v162, v86
.LBB253_528:                            ;   in Loop: Header=BB253_10 Depth=1
	s_or_b32 exec_lo, exec_lo, s23
.LBB253_529:                            ;   in Loop: Header=BB253_10 Depth=1
	s_delay_alu instid0(SALU_CYCLE_1)
	s_or_b32 exec_lo, exec_lo, s18
.LBB253_530:                            ;   in Loop: Header=BB253_10 Depth=1
	s_delay_alu instid0(SALU_CYCLE_1) | instskip(SKIP_2) | instid1(VALU_DEP_1)
	s_or_b32 exec_lo, exec_lo, s3
	v_lshrrev_b16 v0, 8, v2
	s_mov_b32 s3, exec_lo
	v_cmpx_ne_u16_e32 0, v0
	s_cbranch_execz .LBB253_538
; %bb.531:                              ;   in Loop: Header=BB253_10 Depth=1
	v_dual_mov_b32 v161, s9 :: v_dual_mov_b32 v160, s8
	s_mov_b32 s23, exec_lo
	v_cmpx_ne_u16_e32 0x80, v0
	s_cbranch_execz .LBB253_537
; %bb.532:                              ;   in Loop: Header=BB253_10 Depth=1
	s_mov_b32 s18, s8
	v_dual_mov_b32 v161, s19 :: v_dual_and_b32 v0, 0xffff, v0
	v_mov_b32_e32 v160, s18
	s_mov_b32 s18, exec_lo
	s_delay_alu instid0(VALU_DEP_2) | instskip(NEXT) | instid1(VALU_DEP_1)
	v_and_b32_e32 v1, 0x7f, v0
	v_cmpx_ne_u32_e32 0x7f, v1
	s_cbranch_execz .LBB253_536
; %bb.533:                              ;   in Loop: Header=BB253_10 Depth=1
	v_and_b32_e32 v86, 7, v0
	v_lshrrev_b32_e32 v0, 3, v1
	s_mov_b32 s24, exec_lo
	v_cmpx_gt_u32_e32 8, v1
; %bb.534:                              ;   in Loop: Header=BB253_10 Depth=1
	s_delay_alu instid0(VALU_DEP_3) | instskip(NEXT) | instid1(VALU_DEP_1)
	v_clz_i32_u32_e32 v0, v86
	v_min_u32_e32 v0, 32, v0
	s_delay_alu instid0(VALU_DEP_1) | instskip(SKIP_1) | instid1(VALU_DEP_2)
	v_subrev_nc_u32_e32 v1, 28, v0
	v_sub_nc_u32_e32 v0, 29, v0
	v_lshlrev_b64 v[3:4], v1, v[86:87]
	s_delay_alu instid0(VALU_DEP_1)
	v_and_b32_e32 v86, 7, v3
; %bb.535:                              ;   in Loop: Header=BB253_10 Depth=1
	s_or_b32 exec_lo, exec_lo, s24
	v_dual_mov_b32 v160, v87 :: v_dual_lshlrev_b32 v1, 16, v2
	s_delay_alu instid0(VALU_DEP_2) | instskip(SKIP_1) | instid1(VALU_DEP_3)
	v_lshlrev_b32_e32 v2, 20, v86
	v_lshl_add_u32 v0, v0, 23, 0x3c000000
	v_and_b32_e32 v1, 0x80000000, v1
	s_delay_alu instid0(VALU_DEP_1)
	v_or3_b32 v161, v2, v1, v0
.LBB253_536:                            ;   in Loop: Header=BB253_10 Depth=1
	s_or_b32 exec_lo, exec_lo, s18
.LBB253_537:                            ;   in Loop: Header=BB253_10 Depth=1
	s_delay_alu instid0(SALU_CYCLE_1)
	s_or_b32 exec_lo, exec_lo, s23
.LBB253_538:                            ;   in Loop: Header=BB253_10 Depth=1
	s_delay_alu instid0(SALU_CYCLE_1)
	s_or_b32 exec_lo, exec_lo, s3
	flat_load_u16 v0, v[156:157] offset:2052
	v_mov_b32_e32 v164, 0
	v_mov_b32_e32 v165, 0
	s_mov_b32 s3, exec_lo
	s_waitcnt vmcnt(0) lgkmcnt(0)
	v_and_b32_e32 v2, 0xffff, v0
	v_and_b32_e32 v1, 0xff, v0
	v_dual_mov_b32 v167, v165 :: v_dual_mov_b32 v166, v164
	s_delay_alu instid0(VALU_DEP_2)
	v_cmpx_ne_u16_e32 0, v1
	s_cbranch_execz .LBB253_546
; %bb.539:                              ;   in Loop: Header=BB253_10 Depth=1
	v_bfrev_b32_e32 v166, 1
	v_dual_mov_b32 v167, 0 :: v_dual_and_b32 v0, 0xff, v2
	s_mov_b32 s18, exec_lo
	s_delay_alu instid0(VALU_DEP_1)
	v_cmpx_ne_u16_e32 0x80, v0
	s_cbranch_execz .LBB253_545
; %bb.540:                              ;   in Loop: Header=BB253_10 Depth=1
	v_mov_b32_e32 v166, 0x7f800001
	v_and_b32_e32 v1, 0x7f, v2
	v_mov_b32_e32 v167, 0
	s_mov_b32 s23, exec_lo
	s_delay_alu instid0(VALU_DEP_2)
	v_cmpx_ne_u32_e32 0x7f, v1
	s_cbranch_execz .LBB253_544
; %bb.541:                              ;   in Loop: Header=BB253_10 Depth=1
	v_and_b32_e32 v86, 7, v2
	v_lshrrev_b32_e32 v0, 3, v1
	s_mov_b32 s24, exec_lo
	v_cmpx_gt_u32_e32 8, v1
; %bb.542:                              ;   in Loop: Header=BB253_10 Depth=1
	s_delay_alu instid0(VALU_DEP_3) | instskip(NEXT) | instid1(VALU_DEP_1)
	v_clz_i32_u32_e32 v0, v86
	v_min_u32_e32 v0, 32, v0
	s_delay_alu instid0(VALU_DEP_1) | instskip(SKIP_1) | instid1(VALU_DEP_2)
	v_subrev_nc_u32_e32 v1, 28, v0
	v_sub_nc_u32_e32 v0, 29, v0
	v_lshlrev_b64 v[3:4], v1, v[86:87]
	s_delay_alu instid0(VALU_DEP_1)
	v_and_b32_e32 v86, 7, v3
; %bb.543:                              ;   in Loop: Header=BB253_10 Depth=1
	s_or_b32 exec_lo, exec_lo, s24
	v_lshlrev_b32_e32 v1, 24, v2
	s_delay_alu instid0(VALU_DEP_2) | instskip(SKIP_1) | instid1(VALU_DEP_3)
	v_lshlrev_b32_e32 v3, 20, v86
	v_lshl_add_u32 v0, v0, 23, 0x3c000000
	v_and_b32_e32 v1, 0x80000000, v1
	s_delay_alu instid0(VALU_DEP_1) | instskip(NEXT) | instid1(VALU_DEP_1)
	v_or3_b32 v86, v3, v1, v0
	v_dual_mov_b32 v167, v87 :: v_dual_mov_b32 v166, v86
.LBB253_544:                            ;   in Loop: Header=BB253_10 Depth=1
	s_or_b32 exec_lo, exec_lo, s23
.LBB253_545:                            ;   in Loop: Header=BB253_10 Depth=1
	s_delay_alu instid0(SALU_CYCLE_1)
	s_or_b32 exec_lo, exec_lo, s18
.LBB253_546:                            ;   in Loop: Header=BB253_10 Depth=1
	s_delay_alu instid0(SALU_CYCLE_1) | instskip(SKIP_2) | instid1(VALU_DEP_1)
	s_or_b32 exec_lo, exec_lo, s3
	v_lshrrev_b16 v0, 8, v2
	s_mov_b32 s3, exec_lo
	v_cmpx_ne_u16_e32 0, v0
	s_cbranch_execz .LBB253_554
; %bb.547:                              ;   in Loop: Header=BB253_10 Depth=1
	v_dual_mov_b32 v165, s9 :: v_dual_mov_b32 v164, s8
	s_mov_b32 s23, exec_lo
	v_cmpx_ne_u16_e32 0x80, v0
	s_cbranch_execz .LBB253_553
; %bb.548:                              ;   in Loop: Header=BB253_10 Depth=1
	s_mov_b32 s18, s8
	v_dual_mov_b32 v165, s19 :: v_dual_and_b32 v0, 0xffff, v0
	v_mov_b32_e32 v164, s18
	s_mov_b32 s18, exec_lo
	s_delay_alu instid0(VALU_DEP_2) | instskip(NEXT) | instid1(VALU_DEP_1)
	v_and_b32_e32 v1, 0x7f, v0
	v_cmpx_ne_u32_e32 0x7f, v1
	s_cbranch_execz .LBB253_552
; %bb.549:                              ;   in Loop: Header=BB253_10 Depth=1
	v_and_b32_e32 v86, 7, v0
	v_lshrrev_b32_e32 v0, 3, v1
	s_mov_b32 s24, exec_lo
	v_cmpx_gt_u32_e32 8, v1
; %bb.550:                              ;   in Loop: Header=BB253_10 Depth=1
	s_delay_alu instid0(VALU_DEP_3) | instskip(NEXT) | instid1(VALU_DEP_1)
	v_clz_i32_u32_e32 v0, v86
	v_min_u32_e32 v0, 32, v0
	s_delay_alu instid0(VALU_DEP_1) | instskip(SKIP_1) | instid1(VALU_DEP_2)
	v_subrev_nc_u32_e32 v1, 28, v0
	v_sub_nc_u32_e32 v0, 29, v0
	v_lshlrev_b64 v[3:4], v1, v[86:87]
	s_delay_alu instid0(VALU_DEP_1)
	v_and_b32_e32 v86, 7, v3
; %bb.551:                              ;   in Loop: Header=BB253_10 Depth=1
	s_or_b32 exec_lo, exec_lo, s24
	v_dual_mov_b32 v164, v87 :: v_dual_lshlrev_b32 v1, 16, v2
	s_delay_alu instid0(VALU_DEP_2) | instskip(SKIP_1) | instid1(VALU_DEP_3)
	v_lshlrev_b32_e32 v2, 20, v86
	v_lshl_add_u32 v0, v0, 23, 0x3c000000
	v_and_b32_e32 v1, 0x80000000, v1
	s_delay_alu instid0(VALU_DEP_1)
	v_or3_b32 v165, v2, v1, v0
.LBB253_552:                            ;   in Loop: Header=BB253_10 Depth=1
	s_or_b32 exec_lo, exec_lo, s18
.LBB253_553:                            ;   in Loop: Header=BB253_10 Depth=1
	s_delay_alu instid0(SALU_CYCLE_1)
	s_or_b32 exec_lo, exec_lo, s23
.LBB253_554:                            ;   in Loop: Header=BB253_10 Depth=1
	s_delay_alu instid0(SALU_CYCLE_1) | instskip(SKIP_1) | instid1(VALU_DEP_1)
	s_or_b32 exec_lo, exec_lo, s3
	v_add_co_u32 v2, s2, 0x800, v156
	v_add_co_ci_u32_e64 v3, s2, 0, v157, s2
	s_mov_b32 s3, exec_lo
	flat_load_u16 v0, v[2:3] offset:8
	v_mov_b32_e32 v176, 0
	s_waitcnt vmcnt(0) lgkmcnt(0)
	v_dual_mov_b32 v177, 0 :: v_dual_and_b32 v4, 0xffff, v0
	v_and_b32_e32 v1, 0xff, v0
	s_delay_alu instid0(VALU_DEP_2) | instskip(NEXT) | instid1(VALU_DEP_2)
	v_dual_mov_b32 v179, v177 :: v_dual_mov_b32 v178, v176
	v_cmpx_ne_u16_e32 0, v1
	s_cbranch_execz .LBB253_562
; %bb.555:                              ;   in Loop: Header=BB253_10 Depth=1
	v_bfrev_b32_e32 v178, 1
	v_dual_mov_b32 v179, 0 :: v_dual_and_b32 v0, 0xff, v4
	s_mov_b32 s18, exec_lo
	s_delay_alu instid0(VALU_DEP_1)
	v_cmpx_ne_u16_e32 0x80, v0
	s_cbranch_execz .LBB253_561
; %bb.556:                              ;   in Loop: Header=BB253_10 Depth=1
	v_mov_b32_e32 v178, 0x7f800001
	v_and_b32_e32 v1, 0x7f, v4
	v_mov_b32_e32 v179, 0
	s_mov_b32 s23, exec_lo
	s_delay_alu instid0(VALU_DEP_2)
	v_cmpx_ne_u32_e32 0x7f, v1
	s_cbranch_execz .LBB253_560
; %bb.557:                              ;   in Loop: Header=BB253_10 Depth=1
	v_and_b32_e32 v86, 7, v4
	v_lshrrev_b32_e32 v0, 3, v1
	s_mov_b32 s24, exec_lo
	v_cmpx_gt_u32_e32 8, v1
; %bb.558:                              ;   in Loop: Header=BB253_10 Depth=1
	s_delay_alu instid0(VALU_DEP_3) | instskip(NEXT) | instid1(VALU_DEP_1)
	v_clz_i32_u32_e32 v0, v86
	v_min_u32_e32 v0, 32, v0
	s_delay_alu instid0(VALU_DEP_1) | instskip(SKIP_1) | instid1(VALU_DEP_2)
	v_subrev_nc_u32_e32 v1, 28, v0
	v_sub_nc_u32_e32 v0, 29, v0
	v_lshlrev_b64 v[8:9], v1, v[86:87]
	s_delay_alu instid0(VALU_DEP_1)
	v_and_b32_e32 v86, 7, v8
; %bb.559:                              ;   in Loop: Header=BB253_10 Depth=1
	s_or_b32 exec_lo, exec_lo, s24
	v_lshlrev_b32_e32 v1, 24, v4
	s_delay_alu instid0(VALU_DEP_2) | instskip(SKIP_1) | instid1(VALU_DEP_3)
	v_lshlrev_b32_e32 v5, 20, v86
	v_lshl_add_u32 v0, v0, 23, 0x3c000000
	v_and_b32_e32 v1, 0x80000000, v1
	s_delay_alu instid0(VALU_DEP_1) | instskip(NEXT) | instid1(VALU_DEP_1)
	v_or3_b32 v86, v5, v1, v0
	v_dual_mov_b32 v179, v87 :: v_dual_mov_b32 v178, v86
.LBB253_560:                            ;   in Loop: Header=BB253_10 Depth=1
	s_or_b32 exec_lo, exec_lo, s23
.LBB253_561:                            ;   in Loop: Header=BB253_10 Depth=1
	s_delay_alu instid0(SALU_CYCLE_1)
	s_or_b32 exec_lo, exec_lo, s18
.LBB253_562:                            ;   in Loop: Header=BB253_10 Depth=1
	s_delay_alu instid0(SALU_CYCLE_1) | instskip(SKIP_2) | instid1(VALU_DEP_1)
	s_or_b32 exec_lo, exec_lo, s3
	v_lshrrev_b16 v0, 8, v4
	s_mov_b32 s3, exec_lo
	v_cmpx_ne_u16_e32 0, v0
	s_cbranch_execz .LBB253_570
; %bb.563:                              ;   in Loop: Header=BB253_10 Depth=1
	v_dual_mov_b32 v177, s9 :: v_dual_mov_b32 v176, s8
	s_mov_b32 s23, exec_lo
	v_cmpx_ne_u16_e32 0x80, v0
	s_cbranch_execz .LBB253_569
; %bb.564:                              ;   in Loop: Header=BB253_10 Depth=1
	s_mov_b32 s18, s8
	v_dual_mov_b32 v177, s19 :: v_dual_and_b32 v0, 0xffff, v0
	v_mov_b32_e32 v176, s18
	s_mov_b32 s18, exec_lo
	s_delay_alu instid0(VALU_DEP_2) | instskip(NEXT) | instid1(VALU_DEP_1)
	v_and_b32_e32 v1, 0x7f, v0
	v_cmpx_ne_u32_e32 0x7f, v1
	s_cbranch_execz .LBB253_568
; %bb.565:                              ;   in Loop: Header=BB253_10 Depth=1
	v_and_b32_e32 v86, 7, v0
	v_lshrrev_b32_e32 v0, 3, v1
	s_mov_b32 s24, exec_lo
	v_cmpx_gt_u32_e32 8, v1
; %bb.566:                              ;   in Loop: Header=BB253_10 Depth=1
	s_delay_alu instid0(VALU_DEP_3) | instskip(NEXT) | instid1(VALU_DEP_1)
	v_clz_i32_u32_e32 v0, v86
	v_min_u32_e32 v0, 32, v0
	s_delay_alu instid0(VALU_DEP_1) | instskip(SKIP_1) | instid1(VALU_DEP_2)
	v_subrev_nc_u32_e32 v1, 28, v0
	v_sub_nc_u32_e32 v0, 29, v0
	v_lshlrev_b64 v[8:9], v1, v[86:87]
	s_delay_alu instid0(VALU_DEP_1)
	v_and_b32_e32 v86, 7, v8
; %bb.567:                              ;   in Loop: Header=BB253_10 Depth=1
	s_or_b32 exec_lo, exec_lo, s24
	v_dual_mov_b32 v176, v87 :: v_dual_lshlrev_b32 v1, 16, v4
	s_delay_alu instid0(VALU_DEP_2) | instskip(SKIP_1) | instid1(VALU_DEP_3)
	v_lshlrev_b32_e32 v4, 20, v86
	v_lshl_add_u32 v0, v0, 23, 0x3c000000
	v_and_b32_e32 v1, 0x80000000, v1
	s_delay_alu instid0(VALU_DEP_1)
	v_or3_b32 v177, v4, v1, v0
.LBB253_568:                            ;   in Loop: Header=BB253_10 Depth=1
	s_or_b32 exec_lo, exec_lo, s18
.LBB253_569:                            ;   in Loop: Header=BB253_10 Depth=1
	s_delay_alu instid0(SALU_CYCLE_1)
	s_or_b32 exec_lo, exec_lo, s23
.LBB253_570:                            ;   in Loop: Header=BB253_10 Depth=1
	s_delay_alu instid0(SALU_CYCLE_1)
	s_or_b32 exec_lo, exec_lo, s3
	flat_load_u16 v0, v[2:3] offset:12
	v_mov_b32_e32 v180, 0
	v_mov_b32_e32 v181, 0
	s_mov_b32 s3, exec_lo
	s_waitcnt vmcnt(0) lgkmcnt(0)
	v_and_b32_e32 v2, 0xffff, v0
	v_and_b32_e32 v1, 0xff, v0
	v_dual_mov_b32 v183, v181 :: v_dual_mov_b32 v182, v180
	s_delay_alu instid0(VALU_DEP_2)
	v_cmpx_ne_u16_e32 0, v1
	s_cbranch_execz .LBB253_578
; %bb.571:                              ;   in Loop: Header=BB253_10 Depth=1
	v_bfrev_b32_e32 v182, 1
	v_dual_mov_b32 v183, 0 :: v_dual_and_b32 v0, 0xff, v2
	s_mov_b32 s18, exec_lo
	s_delay_alu instid0(VALU_DEP_1)
	v_cmpx_ne_u16_e32 0x80, v0
	s_cbranch_execz .LBB253_577
; %bb.572:                              ;   in Loop: Header=BB253_10 Depth=1
	v_mov_b32_e32 v182, 0x7f800001
	v_and_b32_e32 v1, 0x7f, v2
	v_mov_b32_e32 v183, 0
	s_mov_b32 s23, exec_lo
	s_delay_alu instid0(VALU_DEP_2)
	v_cmpx_ne_u32_e32 0x7f, v1
	s_cbranch_execz .LBB253_576
; %bb.573:                              ;   in Loop: Header=BB253_10 Depth=1
	v_and_b32_e32 v86, 7, v2
	v_lshrrev_b32_e32 v0, 3, v1
	s_mov_b32 s24, exec_lo
	v_cmpx_gt_u32_e32 8, v1
; %bb.574:                              ;   in Loop: Header=BB253_10 Depth=1
	s_delay_alu instid0(VALU_DEP_3) | instskip(NEXT) | instid1(VALU_DEP_1)
	v_clz_i32_u32_e32 v0, v86
	v_min_u32_e32 v0, 32, v0
	s_delay_alu instid0(VALU_DEP_1) | instskip(SKIP_1) | instid1(VALU_DEP_2)
	v_subrev_nc_u32_e32 v1, 28, v0
	v_sub_nc_u32_e32 v0, 29, v0
	v_lshlrev_b64 v[3:4], v1, v[86:87]
	s_delay_alu instid0(VALU_DEP_1)
	v_and_b32_e32 v86, 7, v3
; %bb.575:                              ;   in Loop: Header=BB253_10 Depth=1
	s_or_b32 exec_lo, exec_lo, s24
	v_lshlrev_b32_e32 v1, 24, v2
	s_delay_alu instid0(VALU_DEP_2) | instskip(SKIP_1) | instid1(VALU_DEP_3)
	v_lshlrev_b32_e32 v3, 20, v86
	v_lshl_add_u32 v0, v0, 23, 0x3c000000
	v_and_b32_e32 v1, 0x80000000, v1
	s_delay_alu instid0(VALU_DEP_1) | instskip(NEXT) | instid1(VALU_DEP_1)
	v_or3_b32 v86, v3, v1, v0
	v_dual_mov_b32 v183, v87 :: v_dual_mov_b32 v182, v86
.LBB253_576:                            ;   in Loop: Header=BB253_10 Depth=1
	s_or_b32 exec_lo, exec_lo, s23
.LBB253_577:                            ;   in Loop: Header=BB253_10 Depth=1
	s_delay_alu instid0(SALU_CYCLE_1)
	s_or_b32 exec_lo, exec_lo, s18
.LBB253_578:                            ;   in Loop: Header=BB253_10 Depth=1
	s_delay_alu instid0(SALU_CYCLE_1) | instskip(SKIP_2) | instid1(VALU_DEP_1)
	s_or_b32 exec_lo, exec_lo, s3
	v_lshrrev_b16 v0, 8, v2
	s_mov_b32 s3, exec_lo
	v_cmpx_ne_u16_e32 0, v0
	s_cbranch_execz .LBB253_586
; %bb.579:                              ;   in Loop: Header=BB253_10 Depth=1
	v_dual_mov_b32 v181, s9 :: v_dual_mov_b32 v180, s8
	s_mov_b32 s23, exec_lo
	v_cmpx_ne_u16_e32 0x80, v0
	s_cbranch_execz .LBB253_585
; %bb.580:                              ;   in Loop: Header=BB253_10 Depth=1
	s_mov_b32 s18, s8
	v_dual_mov_b32 v181, s19 :: v_dual_and_b32 v0, 0xffff, v0
	v_mov_b32_e32 v180, s18
	s_mov_b32 s18, exec_lo
	s_delay_alu instid0(VALU_DEP_2) | instskip(NEXT) | instid1(VALU_DEP_1)
	v_and_b32_e32 v1, 0x7f, v0
	v_cmpx_ne_u32_e32 0x7f, v1
	s_cbranch_execz .LBB253_584
; %bb.581:                              ;   in Loop: Header=BB253_10 Depth=1
	v_and_b32_e32 v86, 7, v0
	v_lshrrev_b32_e32 v0, 3, v1
	s_mov_b32 s24, exec_lo
	v_cmpx_gt_u32_e32 8, v1
; %bb.582:                              ;   in Loop: Header=BB253_10 Depth=1
	s_delay_alu instid0(VALU_DEP_3) | instskip(NEXT) | instid1(VALU_DEP_1)
	v_clz_i32_u32_e32 v0, v86
	v_min_u32_e32 v0, 32, v0
	s_delay_alu instid0(VALU_DEP_1) | instskip(SKIP_1) | instid1(VALU_DEP_2)
	v_subrev_nc_u32_e32 v1, 28, v0
	v_sub_nc_u32_e32 v0, 29, v0
	v_lshlrev_b64 v[3:4], v1, v[86:87]
	s_delay_alu instid0(VALU_DEP_1)
	v_and_b32_e32 v86, 7, v3
; %bb.583:                              ;   in Loop: Header=BB253_10 Depth=1
	s_or_b32 exec_lo, exec_lo, s24
	v_dual_mov_b32 v180, v87 :: v_dual_lshlrev_b32 v1, 16, v2
	s_delay_alu instid0(VALU_DEP_2) | instskip(SKIP_1) | instid1(VALU_DEP_3)
	v_lshlrev_b32_e32 v2, 20, v86
	v_lshl_add_u32 v0, v0, 23, 0x3c000000
	v_and_b32_e32 v1, 0x80000000, v1
	s_delay_alu instid0(VALU_DEP_1)
	v_or3_b32 v181, v2, v1, v0
.LBB253_584:                            ;   in Loop: Header=BB253_10 Depth=1
	s_or_b32 exec_lo, exec_lo, s18
.LBB253_585:                            ;   in Loop: Header=BB253_10 Depth=1
	s_delay_alu instid0(SALU_CYCLE_1)
	s_or_b32 exec_lo, exec_lo, s23
.LBB253_586:                            ;   in Loop: Header=BB253_10 Depth=1
	s_delay_alu instid0(SALU_CYCLE_1)
	s_or_b32 exec_lo, exec_lo, s3
	flat_load_u16 v0, v[156:157] offset:2304
	v_mov_b32_e32 v40, 0
	v_mov_b32_e32 v41, 0
	s_mov_b32 s3, exec_lo
	s_waitcnt vmcnt(0) lgkmcnt(0)
	v_and_b32_e32 v2, 0xffff, v0
	v_and_b32_e32 v1, 0xff, v0
	v_dual_mov_b32 v43, v41 :: v_dual_mov_b32 v42, v40
	s_delay_alu instid0(VALU_DEP_2)
	v_cmpx_ne_u16_e32 0, v1
	s_cbranch_execz .LBB253_594
; %bb.587:                              ;   in Loop: Header=BB253_10 Depth=1
	v_bfrev_b32_e32 v42, 1
	v_dual_mov_b32 v43, 0 :: v_dual_and_b32 v0, 0xff, v2
	s_mov_b32 s18, exec_lo
	s_delay_alu instid0(VALU_DEP_1)
	v_cmpx_ne_u16_e32 0x80, v0
	s_cbranch_execz .LBB253_593
; %bb.588:                              ;   in Loop: Header=BB253_10 Depth=1
	v_mov_b32_e32 v42, 0x7f800001
	v_and_b32_e32 v1, 0x7f, v2
	v_mov_b32_e32 v43, 0
	s_mov_b32 s23, exec_lo
	s_delay_alu instid0(VALU_DEP_2)
	v_cmpx_ne_u32_e32 0x7f, v1
	s_cbranch_execz .LBB253_592
; %bb.589:                              ;   in Loop: Header=BB253_10 Depth=1
	v_and_b32_e32 v86, 7, v2
	v_lshrrev_b32_e32 v0, 3, v1
	s_mov_b32 s24, exec_lo
	v_cmpx_gt_u32_e32 8, v1
; %bb.590:                              ;   in Loop: Header=BB253_10 Depth=1
	s_delay_alu instid0(VALU_DEP_3) | instskip(NEXT) | instid1(VALU_DEP_1)
	v_clz_i32_u32_e32 v0, v86
	v_min_u32_e32 v0, 32, v0
	s_delay_alu instid0(VALU_DEP_1) | instskip(SKIP_1) | instid1(VALU_DEP_2)
	v_subrev_nc_u32_e32 v1, 28, v0
	v_sub_nc_u32_e32 v0, 29, v0
	v_lshlrev_b64 v[3:4], v1, v[86:87]
	s_delay_alu instid0(VALU_DEP_1)
	v_and_b32_e32 v86, 7, v3
; %bb.591:                              ;   in Loop: Header=BB253_10 Depth=1
	s_or_b32 exec_lo, exec_lo, s24
	v_lshlrev_b32_e32 v1, 24, v2
	s_delay_alu instid0(VALU_DEP_2) | instskip(SKIP_1) | instid1(VALU_DEP_3)
	v_lshlrev_b32_e32 v3, 20, v86
	v_lshl_add_u32 v0, v0, 23, 0x3c000000
	v_and_b32_e32 v1, 0x80000000, v1
	s_delay_alu instid0(VALU_DEP_1) | instskip(NEXT) | instid1(VALU_DEP_1)
	v_or3_b32 v86, v3, v1, v0
	v_dual_mov_b32 v42, v86 :: v_dual_mov_b32 v43, v87
.LBB253_592:                            ;   in Loop: Header=BB253_10 Depth=1
	s_or_b32 exec_lo, exec_lo, s23
.LBB253_593:                            ;   in Loop: Header=BB253_10 Depth=1
	s_delay_alu instid0(SALU_CYCLE_1)
	s_or_b32 exec_lo, exec_lo, s18
.LBB253_594:                            ;   in Loop: Header=BB253_10 Depth=1
	s_delay_alu instid0(SALU_CYCLE_1) | instskip(SKIP_2) | instid1(VALU_DEP_1)
	s_or_b32 exec_lo, exec_lo, s3
	v_lshrrev_b16 v0, 8, v2
	s_mov_b32 s3, exec_lo
	v_cmpx_ne_u16_e32 0, v0
	s_cbranch_execz .LBB253_602
; %bb.595:                              ;   in Loop: Header=BB253_10 Depth=1
	v_dual_mov_b32 v41, s9 :: v_dual_mov_b32 v40, s8
	s_mov_b32 s23, exec_lo
	v_cmpx_ne_u16_e32 0x80, v0
	s_cbranch_execz .LBB253_601
; %bb.596:                              ;   in Loop: Header=BB253_10 Depth=1
	s_mov_b32 s18, s8
	v_dual_mov_b32 v41, s19 :: v_dual_and_b32 v0, 0xffff, v0
	v_mov_b32_e32 v40, s18
	s_mov_b32 s18, exec_lo
	s_delay_alu instid0(VALU_DEP_2) | instskip(NEXT) | instid1(VALU_DEP_1)
	v_and_b32_e32 v1, 0x7f, v0
	v_cmpx_ne_u32_e32 0x7f, v1
	s_cbranch_execz .LBB253_600
; %bb.597:                              ;   in Loop: Header=BB253_10 Depth=1
	v_and_b32_e32 v86, 7, v0
	v_lshrrev_b32_e32 v0, 3, v1
	s_mov_b32 s24, exec_lo
	v_cmpx_gt_u32_e32 8, v1
; %bb.598:                              ;   in Loop: Header=BB253_10 Depth=1
	s_delay_alu instid0(VALU_DEP_3) | instskip(NEXT) | instid1(VALU_DEP_1)
	v_clz_i32_u32_e32 v0, v86
	v_min_u32_e32 v0, 32, v0
	s_delay_alu instid0(VALU_DEP_1) | instskip(SKIP_1) | instid1(VALU_DEP_2)
	v_subrev_nc_u32_e32 v1, 28, v0
	v_sub_nc_u32_e32 v0, 29, v0
	v_lshlrev_b64 v[3:4], v1, v[86:87]
	s_delay_alu instid0(VALU_DEP_1)
	v_and_b32_e32 v86, 7, v3
; %bb.599:                              ;   in Loop: Header=BB253_10 Depth=1
	s_or_b32 exec_lo, exec_lo, s24
	v_dual_mov_b32 v40, v87 :: v_dual_lshlrev_b32 v1, 16, v2
	s_delay_alu instid0(VALU_DEP_2) | instskip(SKIP_1) | instid1(VALU_DEP_3)
	v_lshlrev_b32_e32 v2, 20, v86
	v_lshl_add_u32 v0, v0, 23, 0x3c000000
	v_and_b32_e32 v1, 0x80000000, v1
	s_delay_alu instid0(VALU_DEP_1)
	v_or3_b32 v41, v2, v1, v0
.LBB253_600:                            ;   in Loop: Header=BB253_10 Depth=1
	s_or_b32 exec_lo, exec_lo, s18
.LBB253_601:                            ;   in Loop: Header=BB253_10 Depth=1
	s_delay_alu instid0(SALU_CYCLE_1)
	s_or_b32 exec_lo, exec_lo, s23
.LBB253_602:                            ;   in Loop: Header=BB253_10 Depth=1
	s_delay_alu instid0(SALU_CYCLE_1)
	s_or_b32 exec_lo, exec_lo, s3
	flat_load_u16 v0, v[156:157] offset:2308
	v_mov_b32_e32 v44, 0
	v_mov_b32_e32 v45, 0
	s_mov_b32 s3, exec_lo
	s_waitcnt vmcnt(0) lgkmcnt(0)
	v_and_b32_e32 v2, 0xffff, v0
	v_and_b32_e32 v1, 0xff, v0
	v_dual_mov_b32 v47, v45 :: v_dual_mov_b32 v46, v44
	s_delay_alu instid0(VALU_DEP_2)
	v_cmpx_ne_u16_e32 0, v1
	s_cbranch_execz .LBB253_610
; %bb.603:                              ;   in Loop: Header=BB253_10 Depth=1
	v_bfrev_b32_e32 v46, 1
	v_dual_mov_b32 v47, 0 :: v_dual_and_b32 v0, 0xff, v2
	s_mov_b32 s18, exec_lo
	s_delay_alu instid0(VALU_DEP_1)
	v_cmpx_ne_u16_e32 0x80, v0
	s_cbranch_execz .LBB253_609
; %bb.604:                              ;   in Loop: Header=BB253_10 Depth=1
	v_mov_b32_e32 v46, 0x7f800001
	v_and_b32_e32 v1, 0x7f, v2
	v_mov_b32_e32 v47, 0
	s_mov_b32 s23, exec_lo
	s_delay_alu instid0(VALU_DEP_2)
	v_cmpx_ne_u32_e32 0x7f, v1
	s_cbranch_execz .LBB253_608
; %bb.605:                              ;   in Loop: Header=BB253_10 Depth=1
	v_and_b32_e32 v86, 7, v2
	v_lshrrev_b32_e32 v0, 3, v1
	s_mov_b32 s24, exec_lo
	v_cmpx_gt_u32_e32 8, v1
; %bb.606:                              ;   in Loop: Header=BB253_10 Depth=1
	s_delay_alu instid0(VALU_DEP_3) | instskip(NEXT) | instid1(VALU_DEP_1)
	v_clz_i32_u32_e32 v0, v86
	v_min_u32_e32 v0, 32, v0
	s_delay_alu instid0(VALU_DEP_1) | instskip(SKIP_1) | instid1(VALU_DEP_2)
	v_subrev_nc_u32_e32 v1, 28, v0
	v_sub_nc_u32_e32 v0, 29, v0
	v_lshlrev_b64 v[3:4], v1, v[86:87]
	s_delay_alu instid0(VALU_DEP_1)
	v_and_b32_e32 v86, 7, v3
; %bb.607:                              ;   in Loop: Header=BB253_10 Depth=1
	s_or_b32 exec_lo, exec_lo, s24
	v_lshlrev_b32_e32 v1, 24, v2
	s_delay_alu instid0(VALU_DEP_2) | instskip(SKIP_1) | instid1(VALU_DEP_3)
	v_lshlrev_b32_e32 v3, 20, v86
	v_lshl_add_u32 v0, v0, 23, 0x3c000000
	v_and_b32_e32 v1, 0x80000000, v1
	s_delay_alu instid0(VALU_DEP_1) | instskip(NEXT) | instid1(VALU_DEP_1)
	v_or3_b32 v86, v3, v1, v0
	v_dual_mov_b32 v46, v86 :: v_dual_mov_b32 v47, v87
.LBB253_608:                            ;   in Loop: Header=BB253_10 Depth=1
	s_or_b32 exec_lo, exec_lo, s23
.LBB253_609:                            ;   in Loop: Header=BB253_10 Depth=1
	s_delay_alu instid0(SALU_CYCLE_1)
	s_or_b32 exec_lo, exec_lo, s18
.LBB253_610:                            ;   in Loop: Header=BB253_10 Depth=1
	s_delay_alu instid0(SALU_CYCLE_1) | instskip(SKIP_2) | instid1(VALU_DEP_1)
	s_or_b32 exec_lo, exec_lo, s3
	v_lshrrev_b16 v0, 8, v2
	s_mov_b32 s3, exec_lo
	v_cmpx_ne_u16_e32 0, v0
	s_cbranch_execz .LBB253_618
; %bb.611:                              ;   in Loop: Header=BB253_10 Depth=1
	v_dual_mov_b32 v45, s9 :: v_dual_mov_b32 v44, s8
	s_mov_b32 s23, exec_lo
	v_cmpx_ne_u16_e32 0x80, v0
	s_cbranch_execz .LBB253_617
; %bb.612:                              ;   in Loop: Header=BB253_10 Depth=1
	s_mov_b32 s18, s8
	v_dual_mov_b32 v45, s19 :: v_dual_and_b32 v0, 0xffff, v0
	v_mov_b32_e32 v44, s18
	s_mov_b32 s18, exec_lo
	s_delay_alu instid0(VALU_DEP_2) | instskip(NEXT) | instid1(VALU_DEP_1)
	v_and_b32_e32 v1, 0x7f, v0
	v_cmpx_ne_u32_e32 0x7f, v1
	s_cbranch_execz .LBB253_616
; %bb.613:                              ;   in Loop: Header=BB253_10 Depth=1
	v_and_b32_e32 v86, 7, v0
	v_lshrrev_b32_e32 v0, 3, v1
	s_mov_b32 s24, exec_lo
	v_cmpx_gt_u32_e32 8, v1
; %bb.614:                              ;   in Loop: Header=BB253_10 Depth=1
	s_delay_alu instid0(VALU_DEP_3) | instskip(NEXT) | instid1(VALU_DEP_1)
	v_clz_i32_u32_e32 v0, v86
	v_min_u32_e32 v0, 32, v0
	s_delay_alu instid0(VALU_DEP_1) | instskip(SKIP_1) | instid1(VALU_DEP_2)
	v_subrev_nc_u32_e32 v1, 28, v0
	v_sub_nc_u32_e32 v0, 29, v0
	v_lshlrev_b64 v[3:4], v1, v[86:87]
	s_delay_alu instid0(VALU_DEP_1)
	v_and_b32_e32 v86, 7, v3
; %bb.615:                              ;   in Loop: Header=BB253_10 Depth=1
	s_or_b32 exec_lo, exec_lo, s24
	v_dual_mov_b32 v44, v87 :: v_dual_lshlrev_b32 v1, 16, v2
	s_delay_alu instid0(VALU_DEP_2) | instskip(SKIP_1) | instid1(VALU_DEP_3)
	v_lshlrev_b32_e32 v2, 20, v86
	v_lshl_add_u32 v0, v0, 23, 0x3c000000
	v_and_b32_e32 v1, 0x80000000, v1
	s_delay_alu instid0(VALU_DEP_1)
	v_or3_b32 v45, v2, v1, v0
.LBB253_616:                            ;   in Loop: Header=BB253_10 Depth=1
	s_or_b32 exec_lo, exec_lo, s18
.LBB253_617:                            ;   in Loop: Header=BB253_10 Depth=1
	s_delay_alu instid0(SALU_CYCLE_1)
	s_or_b32 exec_lo, exec_lo, s23
.LBB253_618:                            ;   in Loop: Header=BB253_10 Depth=1
	s_delay_alu instid0(SALU_CYCLE_1) | instskip(SKIP_1) | instid1(VALU_DEP_1)
	s_or_b32 exec_lo, exec_lo, s3
	v_add_co_u32 v2, s2, 0x900, v156
	v_add_co_ci_u32_e64 v3, s2, 0, v157, s2
	s_mov_b32 s3, exec_lo
	flat_load_u16 v0, v[2:3] offset:8
	v_mov_b32_e32 v56, 0
	s_waitcnt vmcnt(0) lgkmcnt(0)
	v_dual_mov_b32 v57, 0 :: v_dual_and_b32 v4, 0xffff, v0
	v_and_b32_e32 v1, 0xff, v0
	s_delay_alu instid0(VALU_DEP_2) | instskip(NEXT) | instid1(VALU_DEP_2)
	v_dual_mov_b32 v59, v57 :: v_dual_mov_b32 v58, v56
	v_cmpx_ne_u16_e32 0, v1
	s_cbranch_execz .LBB253_626
; %bb.619:                              ;   in Loop: Header=BB253_10 Depth=1
	v_bfrev_b32_e32 v58, 1
	v_dual_mov_b32 v59, 0 :: v_dual_and_b32 v0, 0xff, v4
	s_mov_b32 s18, exec_lo
	s_delay_alu instid0(VALU_DEP_1)
	v_cmpx_ne_u16_e32 0x80, v0
	s_cbranch_execz .LBB253_625
; %bb.620:                              ;   in Loop: Header=BB253_10 Depth=1
	v_mov_b32_e32 v58, 0x7f800001
	v_and_b32_e32 v1, 0x7f, v4
	v_mov_b32_e32 v59, 0
	s_mov_b32 s23, exec_lo
	s_delay_alu instid0(VALU_DEP_2)
	v_cmpx_ne_u32_e32 0x7f, v1
	s_cbranch_execz .LBB253_624
; %bb.621:                              ;   in Loop: Header=BB253_10 Depth=1
	v_and_b32_e32 v86, 7, v4
	v_lshrrev_b32_e32 v0, 3, v1
	s_mov_b32 s24, exec_lo
	v_cmpx_gt_u32_e32 8, v1
; %bb.622:                              ;   in Loop: Header=BB253_10 Depth=1
	s_delay_alu instid0(VALU_DEP_3) | instskip(NEXT) | instid1(VALU_DEP_1)
	v_clz_i32_u32_e32 v0, v86
	v_min_u32_e32 v0, 32, v0
	s_delay_alu instid0(VALU_DEP_1) | instskip(SKIP_1) | instid1(VALU_DEP_2)
	v_subrev_nc_u32_e32 v1, 28, v0
	v_sub_nc_u32_e32 v0, 29, v0
	v_lshlrev_b64 v[8:9], v1, v[86:87]
	s_delay_alu instid0(VALU_DEP_1)
	v_and_b32_e32 v86, 7, v8
; %bb.623:                              ;   in Loop: Header=BB253_10 Depth=1
	s_or_b32 exec_lo, exec_lo, s24
	v_lshlrev_b32_e32 v1, 24, v4
	s_delay_alu instid0(VALU_DEP_2) | instskip(SKIP_1) | instid1(VALU_DEP_3)
	v_lshlrev_b32_e32 v5, 20, v86
	v_lshl_add_u32 v0, v0, 23, 0x3c000000
	v_and_b32_e32 v1, 0x80000000, v1
	s_delay_alu instid0(VALU_DEP_1) | instskip(NEXT) | instid1(VALU_DEP_1)
	v_or3_b32 v86, v5, v1, v0
	v_dual_mov_b32 v58, v86 :: v_dual_mov_b32 v59, v87
.LBB253_624:                            ;   in Loop: Header=BB253_10 Depth=1
	s_or_b32 exec_lo, exec_lo, s23
.LBB253_625:                            ;   in Loop: Header=BB253_10 Depth=1
	s_delay_alu instid0(SALU_CYCLE_1)
	s_or_b32 exec_lo, exec_lo, s18
.LBB253_626:                            ;   in Loop: Header=BB253_10 Depth=1
	s_delay_alu instid0(SALU_CYCLE_1) | instskip(SKIP_2) | instid1(VALU_DEP_1)
	s_or_b32 exec_lo, exec_lo, s3
	v_lshrrev_b16 v0, 8, v4
	s_mov_b32 s3, exec_lo
	v_cmpx_ne_u16_e32 0, v0
	s_cbranch_execz .LBB253_634
; %bb.627:                              ;   in Loop: Header=BB253_10 Depth=1
	v_dual_mov_b32 v57, s9 :: v_dual_mov_b32 v56, s8
	s_mov_b32 s23, exec_lo
	v_cmpx_ne_u16_e32 0x80, v0
	s_cbranch_execz .LBB253_633
; %bb.628:                              ;   in Loop: Header=BB253_10 Depth=1
	s_mov_b32 s18, s8
	v_dual_mov_b32 v57, s19 :: v_dual_and_b32 v0, 0xffff, v0
	v_mov_b32_e32 v56, s18
	s_mov_b32 s18, exec_lo
	s_delay_alu instid0(VALU_DEP_2) | instskip(NEXT) | instid1(VALU_DEP_1)
	v_and_b32_e32 v1, 0x7f, v0
	v_cmpx_ne_u32_e32 0x7f, v1
	s_cbranch_execz .LBB253_632
; %bb.629:                              ;   in Loop: Header=BB253_10 Depth=1
	v_and_b32_e32 v86, 7, v0
	v_lshrrev_b32_e32 v0, 3, v1
	s_mov_b32 s24, exec_lo
	v_cmpx_gt_u32_e32 8, v1
; %bb.630:                              ;   in Loop: Header=BB253_10 Depth=1
	s_delay_alu instid0(VALU_DEP_3) | instskip(NEXT) | instid1(VALU_DEP_1)
	v_clz_i32_u32_e32 v0, v86
	v_min_u32_e32 v0, 32, v0
	s_delay_alu instid0(VALU_DEP_1) | instskip(SKIP_1) | instid1(VALU_DEP_2)
	v_subrev_nc_u32_e32 v1, 28, v0
	v_sub_nc_u32_e32 v0, 29, v0
	v_lshlrev_b64 v[8:9], v1, v[86:87]
	s_delay_alu instid0(VALU_DEP_1)
	v_and_b32_e32 v86, 7, v8
; %bb.631:                              ;   in Loop: Header=BB253_10 Depth=1
	s_or_b32 exec_lo, exec_lo, s24
	v_dual_mov_b32 v56, v87 :: v_dual_lshlrev_b32 v1, 16, v4
	s_delay_alu instid0(VALU_DEP_2) | instskip(SKIP_1) | instid1(VALU_DEP_3)
	v_lshlrev_b32_e32 v4, 20, v86
	v_lshl_add_u32 v0, v0, 23, 0x3c000000
	v_and_b32_e32 v1, 0x80000000, v1
	s_delay_alu instid0(VALU_DEP_1)
	v_or3_b32 v57, v4, v1, v0
.LBB253_632:                            ;   in Loop: Header=BB253_10 Depth=1
	s_or_b32 exec_lo, exec_lo, s18
.LBB253_633:                            ;   in Loop: Header=BB253_10 Depth=1
	s_delay_alu instid0(SALU_CYCLE_1)
	s_or_b32 exec_lo, exec_lo, s23
.LBB253_634:                            ;   in Loop: Header=BB253_10 Depth=1
	s_delay_alu instid0(SALU_CYCLE_1)
	s_or_b32 exec_lo, exec_lo, s3
	flat_load_u16 v0, v[2:3] offset:12
	v_mov_b32_e32 v60, 0
	v_mov_b32_e32 v61, 0
	s_mov_b32 s3, exec_lo
	s_waitcnt vmcnt(0) lgkmcnt(0)
	v_and_b32_e32 v2, 0xffff, v0
	v_and_b32_e32 v1, 0xff, v0
	v_dual_mov_b32 v63, v61 :: v_dual_mov_b32 v62, v60
	s_delay_alu instid0(VALU_DEP_2)
	v_cmpx_ne_u16_e32 0, v1
	s_cbranch_execz .LBB253_642
; %bb.635:                              ;   in Loop: Header=BB253_10 Depth=1
	v_bfrev_b32_e32 v62, 1
	v_dual_mov_b32 v63, 0 :: v_dual_and_b32 v0, 0xff, v2
	s_mov_b32 s18, exec_lo
	s_delay_alu instid0(VALU_DEP_1)
	v_cmpx_ne_u16_e32 0x80, v0
	s_cbranch_execz .LBB253_641
; %bb.636:                              ;   in Loop: Header=BB253_10 Depth=1
	v_mov_b32_e32 v62, 0x7f800001
	v_and_b32_e32 v1, 0x7f, v2
	v_mov_b32_e32 v63, 0
	s_mov_b32 s23, exec_lo
	s_delay_alu instid0(VALU_DEP_2)
	v_cmpx_ne_u32_e32 0x7f, v1
	s_cbranch_execz .LBB253_640
; %bb.637:                              ;   in Loop: Header=BB253_10 Depth=1
	v_and_b32_e32 v86, 7, v2
	v_lshrrev_b32_e32 v0, 3, v1
	s_mov_b32 s24, exec_lo
	v_cmpx_gt_u32_e32 8, v1
; %bb.638:                              ;   in Loop: Header=BB253_10 Depth=1
	s_delay_alu instid0(VALU_DEP_3) | instskip(NEXT) | instid1(VALU_DEP_1)
	v_clz_i32_u32_e32 v0, v86
	v_min_u32_e32 v0, 32, v0
	s_delay_alu instid0(VALU_DEP_1) | instskip(SKIP_1) | instid1(VALU_DEP_2)
	v_subrev_nc_u32_e32 v1, 28, v0
	v_sub_nc_u32_e32 v0, 29, v0
	v_lshlrev_b64 v[3:4], v1, v[86:87]
	s_delay_alu instid0(VALU_DEP_1)
	v_and_b32_e32 v86, 7, v3
; %bb.639:                              ;   in Loop: Header=BB253_10 Depth=1
	s_or_b32 exec_lo, exec_lo, s24
	v_lshlrev_b32_e32 v1, 24, v2
	s_delay_alu instid0(VALU_DEP_2) | instskip(SKIP_1) | instid1(VALU_DEP_3)
	v_lshlrev_b32_e32 v3, 20, v86
	v_lshl_add_u32 v0, v0, 23, 0x3c000000
	v_and_b32_e32 v1, 0x80000000, v1
	s_delay_alu instid0(VALU_DEP_1) | instskip(NEXT) | instid1(VALU_DEP_1)
	v_or3_b32 v86, v3, v1, v0
	v_dual_mov_b32 v62, v86 :: v_dual_mov_b32 v63, v87
.LBB253_640:                            ;   in Loop: Header=BB253_10 Depth=1
	s_or_b32 exec_lo, exec_lo, s23
.LBB253_641:                            ;   in Loop: Header=BB253_10 Depth=1
	s_delay_alu instid0(SALU_CYCLE_1)
	s_or_b32 exec_lo, exec_lo, s18
.LBB253_642:                            ;   in Loop: Header=BB253_10 Depth=1
	s_delay_alu instid0(SALU_CYCLE_1) | instskip(SKIP_2) | instid1(VALU_DEP_1)
	s_or_b32 exec_lo, exec_lo, s3
	v_lshrrev_b16 v0, 8, v2
	s_mov_b32 s3, exec_lo
	v_cmpx_ne_u16_e32 0, v0
	s_cbranch_execz .LBB253_650
; %bb.643:                              ;   in Loop: Header=BB253_10 Depth=1
	v_dual_mov_b32 v61, s9 :: v_dual_mov_b32 v60, s8
	s_mov_b32 s23, exec_lo
	v_cmpx_ne_u16_e32 0x80, v0
	s_cbranch_execz .LBB253_649
; %bb.644:                              ;   in Loop: Header=BB253_10 Depth=1
	s_mov_b32 s18, s8
	v_dual_mov_b32 v61, s19 :: v_dual_and_b32 v0, 0xffff, v0
	v_mov_b32_e32 v60, s18
	s_mov_b32 s18, exec_lo
	s_delay_alu instid0(VALU_DEP_2) | instskip(NEXT) | instid1(VALU_DEP_1)
	v_and_b32_e32 v1, 0x7f, v0
	v_cmpx_ne_u32_e32 0x7f, v1
	s_cbranch_execz .LBB253_648
; %bb.645:                              ;   in Loop: Header=BB253_10 Depth=1
	v_and_b32_e32 v86, 7, v0
	v_lshrrev_b32_e32 v0, 3, v1
	s_mov_b32 s24, exec_lo
	v_cmpx_gt_u32_e32 8, v1
; %bb.646:                              ;   in Loop: Header=BB253_10 Depth=1
	s_delay_alu instid0(VALU_DEP_3) | instskip(NEXT) | instid1(VALU_DEP_1)
	v_clz_i32_u32_e32 v0, v86
	v_min_u32_e32 v0, 32, v0
	s_delay_alu instid0(VALU_DEP_1) | instskip(SKIP_1) | instid1(VALU_DEP_2)
	v_subrev_nc_u32_e32 v1, 28, v0
	v_sub_nc_u32_e32 v0, 29, v0
	v_lshlrev_b64 v[3:4], v1, v[86:87]
	s_delay_alu instid0(VALU_DEP_1)
	v_and_b32_e32 v86, 7, v3
; %bb.647:                              ;   in Loop: Header=BB253_10 Depth=1
	s_or_b32 exec_lo, exec_lo, s24
	v_dual_mov_b32 v60, v87 :: v_dual_lshlrev_b32 v1, 16, v2
	s_delay_alu instid0(VALU_DEP_2) | instskip(SKIP_1) | instid1(VALU_DEP_3)
	v_lshlrev_b32_e32 v2, 20, v86
	v_lshl_add_u32 v0, v0, 23, 0x3c000000
	v_and_b32_e32 v1, 0x80000000, v1
	s_delay_alu instid0(VALU_DEP_1)
	v_or3_b32 v61, v2, v1, v0
.LBB253_648:                            ;   in Loop: Header=BB253_10 Depth=1
	s_or_b32 exec_lo, exec_lo, s18
.LBB253_649:                            ;   in Loop: Header=BB253_10 Depth=1
	s_delay_alu instid0(SALU_CYCLE_1)
	s_or_b32 exec_lo, exec_lo, s23
.LBB253_650:                            ;   in Loop: Header=BB253_10 Depth=1
	s_delay_alu instid0(SALU_CYCLE_1)
	s_or_b32 exec_lo, exec_lo, s3
	flat_load_u16 v0, v[156:157] offset:2560
	v_mov_b32_e32 v72, 0
	v_mov_b32_e32 v73, 0
	s_mov_b32 s3, exec_lo
	s_waitcnt vmcnt(0) lgkmcnt(0)
	v_and_b32_e32 v2, 0xffff, v0
	v_and_b32_e32 v1, 0xff, v0
	v_dual_mov_b32 v75, v73 :: v_dual_mov_b32 v74, v72
	s_delay_alu instid0(VALU_DEP_2)
	v_cmpx_ne_u16_e32 0, v1
	s_cbranch_execz .LBB253_658
; %bb.651:                              ;   in Loop: Header=BB253_10 Depth=1
	v_bfrev_b32_e32 v74, 1
	v_dual_mov_b32 v75, 0 :: v_dual_and_b32 v0, 0xff, v2
	s_mov_b32 s18, exec_lo
	s_delay_alu instid0(VALU_DEP_1)
	v_cmpx_ne_u16_e32 0x80, v0
	s_cbranch_execz .LBB253_657
; %bb.652:                              ;   in Loop: Header=BB253_10 Depth=1
	v_mov_b32_e32 v74, 0x7f800001
	v_and_b32_e32 v1, 0x7f, v2
	v_mov_b32_e32 v75, 0
	s_mov_b32 s23, exec_lo
	s_delay_alu instid0(VALU_DEP_2)
	v_cmpx_ne_u32_e32 0x7f, v1
	s_cbranch_execz .LBB253_656
; %bb.653:                              ;   in Loop: Header=BB253_10 Depth=1
	v_and_b32_e32 v86, 7, v2
	v_lshrrev_b32_e32 v0, 3, v1
	s_mov_b32 s24, exec_lo
	v_cmpx_gt_u32_e32 8, v1
; %bb.654:                              ;   in Loop: Header=BB253_10 Depth=1
	s_delay_alu instid0(VALU_DEP_3) | instskip(NEXT) | instid1(VALU_DEP_1)
	v_clz_i32_u32_e32 v0, v86
	v_min_u32_e32 v0, 32, v0
	s_delay_alu instid0(VALU_DEP_1) | instskip(SKIP_1) | instid1(VALU_DEP_2)
	v_subrev_nc_u32_e32 v1, 28, v0
	v_sub_nc_u32_e32 v0, 29, v0
	v_lshlrev_b64 v[3:4], v1, v[86:87]
	s_delay_alu instid0(VALU_DEP_1)
	v_and_b32_e32 v86, 7, v3
; %bb.655:                              ;   in Loop: Header=BB253_10 Depth=1
	s_or_b32 exec_lo, exec_lo, s24
	v_lshlrev_b32_e32 v1, 24, v2
	s_delay_alu instid0(VALU_DEP_2) | instskip(SKIP_1) | instid1(VALU_DEP_3)
	v_lshlrev_b32_e32 v3, 20, v86
	v_lshl_add_u32 v0, v0, 23, 0x3c000000
	v_and_b32_e32 v1, 0x80000000, v1
	s_delay_alu instid0(VALU_DEP_1) | instskip(NEXT) | instid1(VALU_DEP_1)
	v_or3_b32 v86, v3, v1, v0
	v_dual_mov_b32 v74, v86 :: v_dual_mov_b32 v75, v87
.LBB253_656:                            ;   in Loop: Header=BB253_10 Depth=1
	s_or_b32 exec_lo, exec_lo, s23
.LBB253_657:                            ;   in Loop: Header=BB253_10 Depth=1
	s_delay_alu instid0(SALU_CYCLE_1)
	s_or_b32 exec_lo, exec_lo, s18
.LBB253_658:                            ;   in Loop: Header=BB253_10 Depth=1
	s_delay_alu instid0(SALU_CYCLE_1) | instskip(SKIP_2) | instid1(VALU_DEP_1)
	s_or_b32 exec_lo, exec_lo, s3
	v_lshrrev_b16 v0, 8, v2
	s_mov_b32 s3, exec_lo
	v_cmpx_ne_u16_e32 0, v0
	s_cbranch_execz .LBB253_666
; %bb.659:                              ;   in Loop: Header=BB253_10 Depth=1
	v_dual_mov_b32 v73, s9 :: v_dual_mov_b32 v72, s8
	s_mov_b32 s23, exec_lo
	v_cmpx_ne_u16_e32 0x80, v0
	s_cbranch_execz .LBB253_665
; %bb.660:                              ;   in Loop: Header=BB253_10 Depth=1
	s_mov_b32 s18, s8
	v_dual_mov_b32 v73, s19 :: v_dual_and_b32 v0, 0xffff, v0
	v_mov_b32_e32 v72, s18
	s_mov_b32 s18, exec_lo
	s_delay_alu instid0(VALU_DEP_2) | instskip(NEXT) | instid1(VALU_DEP_1)
	v_and_b32_e32 v1, 0x7f, v0
	v_cmpx_ne_u32_e32 0x7f, v1
	s_cbranch_execz .LBB253_664
; %bb.661:                              ;   in Loop: Header=BB253_10 Depth=1
	v_and_b32_e32 v86, 7, v0
	v_lshrrev_b32_e32 v0, 3, v1
	s_mov_b32 s24, exec_lo
	v_cmpx_gt_u32_e32 8, v1
; %bb.662:                              ;   in Loop: Header=BB253_10 Depth=1
	s_delay_alu instid0(VALU_DEP_3) | instskip(NEXT) | instid1(VALU_DEP_1)
	v_clz_i32_u32_e32 v0, v86
	v_min_u32_e32 v0, 32, v0
	s_delay_alu instid0(VALU_DEP_1) | instskip(SKIP_1) | instid1(VALU_DEP_2)
	v_subrev_nc_u32_e32 v1, 28, v0
	v_sub_nc_u32_e32 v0, 29, v0
	v_lshlrev_b64 v[3:4], v1, v[86:87]
	s_delay_alu instid0(VALU_DEP_1)
	v_and_b32_e32 v86, 7, v3
; %bb.663:                              ;   in Loop: Header=BB253_10 Depth=1
	s_or_b32 exec_lo, exec_lo, s24
	v_dual_mov_b32 v72, v87 :: v_dual_lshlrev_b32 v1, 16, v2
	s_delay_alu instid0(VALU_DEP_2) | instskip(SKIP_1) | instid1(VALU_DEP_3)
	v_lshlrev_b32_e32 v2, 20, v86
	v_lshl_add_u32 v0, v0, 23, 0x3c000000
	v_and_b32_e32 v1, 0x80000000, v1
	s_delay_alu instid0(VALU_DEP_1)
	v_or3_b32 v73, v2, v1, v0
.LBB253_664:                            ;   in Loop: Header=BB253_10 Depth=1
	s_or_b32 exec_lo, exec_lo, s18
.LBB253_665:                            ;   in Loop: Header=BB253_10 Depth=1
	s_delay_alu instid0(SALU_CYCLE_1)
	s_or_b32 exec_lo, exec_lo, s23
.LBB253_666:                            ;   in Loop: Header=BB253_10 Depth=1
	s_delay_alu instid0(SALU_CYCLE_1)
	s_or_b32 exec_lo, exec_lo, s3
	flat_load_u16 v0, v[156:157] offset:2564
	v_mov_b32_e32 v76, 0
	v_mov_b32_e32 v77, 0
	s_mov_b32 s3, exec_lo
	s_waitcnt vmcnt(0) lgkmcnt(0)
	v_and_b32_e32 v2, 0xffff, v0
	v_and_b32_e32 v1, 0xff, v0
	v_dual_mov_b32 v79, v77 :: v_dual_mov_b32 v78, v76
	s_delay_alu instid0(VALU_DEP_2)
	v_cmpx_ne_u16_e32 0, v1
	s_cbranch_execz .LBB253_674
; %bb.667:                              ;   in Loop: Header=BB253_10 Depth=1
	v_bfrev_b32_e32 v78, 1
	v_dual_mov_b32 v79, 0 :: v_dual_and_b32 v0, 0xff, v2
	s_mov_b32 s18, exec_lo
	s_delay_alu instid0(VALU_DEP_1)
	v_cmpx_ne_u16_e32 0x80, v0
	s_cbranch_execz .LBB253_673
; %bb.668:                              ;   in Loop: Header=BB253_10 Depth=1
	v_mov_b32_e32 v78, 0x7f800001
	v_and_b32_e32 v1, 0x7f, v2
	v_mov_b32_e32 v79, 0
	s_mov_b32 s23, exec_lo
	s_delay_alu instid0(VALU_DEP_2)
	v_cmpx_ne_u32_e32 0x7f, v1
	s_cbranch_execz .LBB253_672
; %bb.669:                              ;   in Loop: Header=BB253_10 Depth=1
	v_and_b32_e32 v86, 7, v2
	v_lshrrev_b32_e32 v0, 3, v1
	s_mov_b32 s24, exec_lo
	v_cmpx_gt_u32_e32 8, v1
; %bb.670:                              ;   in Loop: Header=BB253_10 Depth=1
	s_delay_alu instid0(VALU_DEP_3) | instskip(NEXT) | instid1(VALU_DEP_1)
	v_clz_i32_u32_e32 v0, v86
	v_min_u32_e32 v0, 32, v0
	s_delay_alu instid0(VALU_DEP_1) | instskip(SKIP_1) | instid1(VALU_DEP_2)
	v_subrev_nc_u32_e32 v1, 28, v0
	v_sub_nc_u32_e32 v0, 29, v0
	v_lshlrev_b64 v[3:4], v1, v[86:87]
	s_delay_alu instid0(VALU_DEP_1)
	v_and_b32_e32 v86, 7, v3
; %bb.671:                              ;   in Loop: Header=BB253_10 Depth=1
	s_or_b32 exec_lo, exec_lo, s24
	v_lshlrev_b32_e32 v1, 24, v2
	s_delay_alu instid0(VALU_DEP_2) | instskip(SKIP_1) | instid1(VALU_DEP_3)
	v_lshlrev_b32_e32 v3, 20, v86
	v_lshl_add_u32 v0, v0, 23, 0x3c000000
	v_and_b32_e32 v1, 0x80000000, v1
	s_delay_alu instid0(VALU_DEP_1) | instskip(NEXT) | instid1(VALU_DEP_1)
	v_or3_b32 v86, v3, v1, v0
	v_dual_mov_b32 v78, v86 :: v_dual_mov_b32 v79, v87
.LBB253_672:                            ;   in Loop: Header=BB253_10 Depth=1
	s_or_b32 exec_lo, exec_lo, s23
.LBB253_673:                            ;   in Loop: Header=BB253_10 Depth=1
	s_delay_alu instid0(SALU_CYCLE_1)
	s_or_b32 exec_lo, exec_lo, s18
.LBB253_674:                            ;   in Loop: Header=BB253_10 Depth=1
	s_delay_alu instid0(SALU_CYCLE_1) | instskip(SKIP_2) | instid1(VALU_DEP_1)
	s_or_b32 exec_lo, exec_lo, s3
	v_lshrrev_b16 v0, 8, v2
	s_mov_b32 s3, exec_lo
	v_cmpx_ne_u16_e32 0, v0
	s_cbranch_execz .LBB253_682
; %bb.675:                              ;   in Loop: Header=BB253_10 Depth=1
	v_dual_mov_b32 v77, s9 :: v_dual_mov_b32 v76, s8
	s_mov_b32 s23, exec_lo
	v_cmpx_ne_u16_e32 0x80, v0
	s_cbranch_execz .LBB253_681
; %bb.676:                              ;   in Loop: Header=BB253_10 Depth=1
	s_mov_b32 s18, s8
	v_dual_mov_b32 v77, s19 :: v_dual_and_b32 v0, 0xffff, v0
	v_mov_b32_e32 v76, s18
	s_mov_b32 s18, exec_lo
	s_delay_alu instid0(VALU_DEP_2) | instskip(NEXT) | instid1(VALU_DEP_1)
	v_and_b32_e32 v1, 0x7f, v0
	v_cmpx_ne_u32_e32 0x7f, v1
	s_cbranch_execz .LBB253_680
; %bb.677:                              ;   in Loop: Header=BB253_10 Depth=1
	v_and_b32_e32 v86, 7, v0
	v_lshrrev_b32_e32 v0, 3, v1
	s_mov_b32 s24, exec_lo
	v_cmpx_gt_u32_e32 8, v1
; %bb.678:                              ;   in Loop: Header=BB253_10 Depth=1
	s_delay_alu instid0(VALU_DEP_3) | instskip(NEXT) | instid1(VALU_DEP_1)
	v_clz_i32_u32_e32 v0, v86
	v_min_u32_e32 v0, 32, v0
	s_delay_alu instid0(VALU_DEP_1) | instskip(SKIP_1) | instid1(VALU_DEP_2)
	v_subrev_nc_u32_e32 v1, 28, v0
	v_sub_nc_u32_e32 v0, 29, v0
	v_lshlrev_b64 v[3:4], v1, v[86:87]
	s_delay_alu instid0(VALU_DEP_1)
	v_and_b32_e32 v86, 7, v3
; %bb.679:                              ;   in Loop: Header=BB253_10 Depth=1
	s_or_b32 exec_lo, exec_lo, s24
	v_dual_mov_b32 v76, v87 :: v_dual_lshlrev_b32 v1, 16, v2
	s_delay_alu instid0(VALU_DEP_2) | instskip(SKIP_1) | instid1(VALU_DEP_3)
	v_lshlrev_b32_e32 v2, 20, v86
	v_lshl_add_u32 v0, v0, 23, 0x3c000000
	v_and_b32_e32 v1, 0x80000000, v1
	s_delay_alu instid0(VALU_DEP_1)
	v_or3_b32 v77, v2, v1, v0
.LBB253_680:                            ;   in Loop: Header=BB253_10 Depth=1
	s_or_b32 exec_lo, exec_lo, s18
.LBB253_681:                            ;   in Loop: Header=BB253_10 Depth=1
	s_delay_alu instid0(SALU_CYCLE_1)
	s_or_b32 exec_lo, exec_lo, s23
.LBB253_682:                            ;   in Loop: Header=BB253_10 Depth=1
	s_delay_alu instid0(SALU_CYCLE_1) | instskip(SKIP_1) | instid1(VALU_DEP_1)
	s_or_b32 exec_lo, exec_lo, s3
	v_add_co_u32 v2, s2, 0xa00, v156
	v_add_co_ci_u32_e64 v3, s2, 0, v157, s2
	s_mov_b32 s3, exec_lo
	flat_load_u16 v0, v[2:3] offset:8
	v_mov_b32_e32 v88, 0
	s_waitcnt vmcnt(0) lgkmcnt(0)
	v_dual_mov_b32 v89, 0 :: v_dual_and_b32 v4, 0xffff, v0
	v_and_b32_e32 v1, 0xff, v0
	s_delay_alu instid0(VALU_DEP_2) | instskip(NEXT) | instid1(VALU_DEP_2)
	v_dual_mov_b32 v91, v89 :: v_dual_mov_b32 v90, v88
	v_cmpx_ne_u16_e32 0, v1
	s_cbranch_execz .LBB253_690
; %bb.683:                              ;   in Loop: Header=BB253_10 Depth=1
	v_bfrev_b32_e32 v90, 1
	v_dual_mov_b32 v91, 0 :: v_dual_and_b32 v0, 0xff, v4
	s_mov_b32 s18, exec_lo
	s_delay_alu instid0(VALU_DEP_1)
	v_cmpx_ne_u16_e32 0x80, v0
	s_cbranch_execz .LBB253_689
; %bb.684:                              ;   in Loop: Header=BB253_10 Depth=1
	v_mov_b32_e32 v90, 0x7f800001
	v_and_b32_e32 v1, 0x7f, v4
	v_mov_b32_e32 v91, 0
	s_mov_b32 s23, exec_lo
	s_delay_alu instid0(VALU_DEP_2)
	v_cmpx_ne_u32_e32 0x7f, v1
	s_cbranch_execz .LBB253_688
; %bb.685:                              ;   in Loop: Header=BB253_10 Depth=1
	v_and_b32_e32 v86, 7, v4
	v_lshrrev_b32_e32 v0, 3, v1
	s_mov_b32 s24, exec_lo
	v_cmpx_gt_u32_e32 8, v1
; %bb.686:                              ;   in Loop: Header=BB253_10 Depth=1
	s_delay_alu instid0(VALU_DEP_3) | instskip(NEXT) | instid1(VALU_DEP_1)
	v_clz_i32_u32_e32 v0, v86
	v_min_u32_e32 v0, 32, v0
	s_delay_alu instid0(VALU_DEP_1) | instskip(SKIP_1) | instid1(VALU_DEP_2)
	v_subrev_nc_u32_e32 v1, 28, v0
	v_sub_nc_u32_e32 v0, 29, v0
	v_lshlrev_b64 v[8:9], v1, v[86:87]
	s_delay_alu instid0(VALU_DEP_1)
	v_and_b32_e32 v86, 7, v8
; %bb.687:                              ;   in Loop: Header=BB253_10 Depth=1
	s_or_b32 exec_lo, exec_lo, s24
	v_lshlrev_b32_e32 v1, 24, v4
	s_delay_alu instid0(VALU_DEP_2) | instskip(SKIP_1) | instid1(VALU_DEP_3)
	v_lshlrev_b32_e32 v5, 20, v86
	v_lshl_add_u32 v0, v0, 23, 0x3c000000
	v_and_b32_e32 v1, 0x80000000, v1
	s_delay_alu instid0(VALU_DEP_1) | instskip(NEXT) | instid1(VALU_DEP_1)
	v_or3_b32 v86, v5, v1, v0
	v_dual_mov_b32 v91, v87 :: v_dual_mov_b32 v90, v86
.LBB253_688:                            ;   in Loop: Header=BB253_10 Depth=1
	s_or_b32 exec_lo, exec_lo, s23
.LBB253_689:                            ;   in Loop: Header=BB253_10 Depth=1
	s_delay_alu instid0(SALU_CYCLE_1)
	s_or_b32 exec_lo, exec_lo, s18
.LBB253_690:                            ;   in Loop: Header=BB253_10 Depth=1
	s_delay_alu instid0(SALU_CYCLE_1) | instskip(SKIP_2) | instid1(VALU_DEP_1)
	s_or_b32 exec_lo, exec_lo, s3
	v_lshrrev_b16 v0, 8, v4
	s_mov_b32 s3, exec_lo
	v_cmpx_ne_u16_e32 0, v0
	s_cbranch_execz .LBB253_698
; %bb.691:                              ;   in Loop: Header=BB253_10 Depth=1
	v_dual_mov_b32 v89, s9 :: v_dual_mov_b32 v88, s8
	s_mov_b32 s23, exec_lo
	v_cmpx_ne_u16_e32 0x80, v0
	s_cbranch_execz .LBB253_697
; %bb.692:                              ;   in Loop: Header=BB253_10 Depth=1
	s_mov_b32 s18, s8
	v_dual_mov_b32 v89, s19 :: v_dual_and_b32 v0, 0xffff, v0
	v_mov_b32_e32 v88, s18
	s_mov_b32 s18, exec_lo
	s_delay_alu instid0(VALU_DEP_2) | instskip(NEXT) | instid1(VALU_DEP_1)
	v_and_b32_e32 v1, 0x7f, v0
	v_cmpx_ne_u32_e32 0x7f, v1
	s_cbranch_execz .LBB253_696
; %bb.693:                              ;   in Loop: Header=BB253_10 Depth=1
	v_and_b32_e32 v86, 7, v0
	v_lshrrev_b32_e32 v0, 3, v1
	s_mov_b32 s24, exec_lo
	v_cmpx_gt_u32_e32 8, v1
; %bb.694:                              ;   in Loop: Header=BB253_10 Depth=1
	s_delay_alu instid0(VALU_DEP_3) | instskip(NEXT) | instid1(VALU_DEP_1)
	v_clz_i32_u32_e32 v0, v86
	v_min_u32_e32 v0, 32, v0
	s_delay_alu instid0(VALU_DEP_1) | instskip(SKIP_1) | instid1(VALU_DEP_2)
	v_subrev_nc_u32_e32 v1, 28, v0
	v_sub_nc_u32_e32 v0, 29, v0
	v_lshlrev_b64 v[8:9], v1, v[86:87]
	s_delay_alu instid0(VALU_DEP_1)
	v_and_b32_e32 v86, 7, v8
; %bb.695:                              ;   in Loop: Header=BB253_10 Depth=1
	s_or_b32 exec_lo, exec_lo, s24
	v_dual_mov_b32 v88, v87 :: v_dual_lshlrev_b32 v1, 16, v4
	s_delay_alu instid0(VALU_DEP_2) | instskip(SKIP_1) | instid1(VALU_DEP_3)
	v_lshlrev_b32_e32 v4, 20, v86
	v_lshl_add_u32 v0, v0, 23, 0x3c000000
	v_and_b32_e32 v1, 0x80000000, v1
	s_delay_alu instid0(VALU_DEP_1)
	v_or3_b32 v89, v4, v1, v0
.LBB253_696:                            ;   in Loop: Header=BB253_10 Depth=1
	s_or_b32 exec_lo, exec_lo, s18
.LBB253_697:                            ;   in Loop: Header=BB253_10 Depth=1
	s_delay_alu instid0(SALU_CYCLE_1)
	s_or_b32 exec_lo, exec_lo, s23
.LBB253_698:                            ;   in Loop: Header=BB253_10 Depth=1
	s_delay_alu instid0(SALU_CYCLE_1)
	s_or_b32 exec_lo, exec_lo, s3
	flat_load_u16 v0, v[2:3] offset:12
	v_mov_b32_e32 v92, 0
	v_mov_b32_e32 v93, 0
	s_mov_b32 s3, exec_lo
	s_waitcnt vmcnt(0) lgkmcnt(0)
	v_and_b32_e32 v2, 0xffff, v0
	v_and_b32_e32 v1, 0xff, v0
	v_dual_mov_b32 v95, v93 :: v_dual_mov_b32 v94, v92
	s_delay_alu instid0(VALU_DEP_2)
	v_cmpx_ne_u16_e32 0, v1
	s_cbranch_execz .LBB253_706
; %bb.699:                              ;   in Loop: Header=BB253_10 Depth=1
	v_bfrev_b32_e32 v94, 1
	v_dual_mov_b32 v95, 0 :: v_dual_and_b32 v0, 0xff, v2
	s_mov_b32 s18, exec_lo
	s_delay_alu instid0(VALU_DEP_1)
	v_cmpx_ne_u16_e32 0x80, v0
	s_cbranch_execz .LBB253_705
; %bb.700:                              ;   in Loop: Header=BB253_10 Depth=1
	v_mov_b32_e32 v94, 0x7f800001
	v_and_b32_e32 v1, 0x7f, v2
	v_mov_b32_e32 v95, 0
	s_mov_b32 s23, exec_lo
	s_delay_alu instid0(VALU_DEP_2)
	v_cmpx_ne_u32_e32 0x7f, v1
	s_cbranch_execz .LBB253_704
; %bb.701:                              ;   in Loop: Header=BB253_10 Depth=1
	v_and_b32_e32 v86, 7, v2
	v_lshrrev_b32_e32 v0, 3, v1
	s_mov_b32 s24, exec_lo
	v_cmpx_gt_u32_e32 8, v1
; %bb.702:                              ;   in Loop: Header=BB253_10 Depth=1
	s_delay_alu instid0(VALU_DEP_3) | instskip(NEXT) | instid1(VALU_DEP_1)
	v_clz_i32_u32_e32 v0, v86
	v_min_u32_e32 v0, 32, v0
	s_delay_alu instid0(VALU_DEP_1) | instskip(SKIP_1) | instid1(VALU_DEP_2)
	v_subrev_nc_u32_e32 v1, 28, v0
	v_sub_nc_u32_e32 v0, 29, v0
	v_lshlrev_b64 v[3:4], v1, v[86:87]
	s_delay_alu instid0(VALU_DEP_1)
	v_and_b32_e32 v86, 7, v3
; %bb.703:                              ;   in Loop: Header=BB253_10 Depth=1
	s_or_b32 exec_lo, exec_lo, s24
	v_lshlrev_b32_e32 v1, 24, v2
	s_delay_alu instid0(VALU_DEP_2) | instskip(SKIP_1) | instid1(VALU_DEP_3)
	v_lshlrev_b32_e32 v3, 20, v86
	v_lshl_add_u32 v0, v0, 23, 0x3c000000
	v_and_b32_e32 v1, 0x80000000, v1
	s_delay_alu instid0(VALU_DEP_1) | instskip(NEXT) | instid1(VALU_DEP_1)
	v_or3_b32 v86, v3, v1, v0
	v_dual_mov_b32 v95, v87 :: v_dual_mov_b32 v94, v86
.LBB253_704:                            ;   in Loop: Header=BB253_10 Depth=1
	s_or_b32 exec_lo, exec_lo, s23
.LBB253_705:                            ;   in Loop: Header=BB253_10 Depth=1
	s_delay_alu instid0(SALU_CYCLE_1)
	s_or_b32 exec_lo, exec_lo, s18
.LBB253_706:                            ;   in Loop: Header=BB253_10 Depth=1
	s_delay_alu instid0(SALU_CYCLE_1) | instskip(SKIP_2) | instid1(VALU_DEP_1)
	s_or_b32 exec_lo, exec_lo, s3
	v_lshrrev_b16 v0, 8, v2
	s_mov_b32 s3, exec_lo
	v_cmpx_ne_u16_e32 0, v0
	s_cbranch_execz .LBB253_714
; %bb.707:                              ;   in Loop: Header=BB253_10 Depth=1
	v_dual_mov_b32 v93, s9 :: v_dual_mov_b32 v92, s8
	s_mov_b32 s23, exec_lo
	v_cmpx_ne_u16_e32 0x80, v0
	s_cbranch_execz .LBB253_713
; %bb.708:                              ;   in Loop: Header=BB253_10 Depth=1
	s_mov_b32 s18, s8
	v_dual_mov_b32 v93, s19 :: v_dual_and_b32 v0, 0xffff, v0
	v_mov_b32_e32 v92, s18
	s_mov_b32 s18, exec_lo
	s_delay_alu instid0(VALU_DEP_2) | instskip(NEXT) | instid1(VALU_DEP_1)
	v_and_b32_e32 v1, 0x7f, v0
	v_cmpx_ne_u32_e32 0x7f, v1
	s_cbranch_execz .LBB253_712
; %bb.709:                              ;   in Loop: Header=BB253_10 Depth=1
	v_and_b32_e32 v86, 7, v0
	v_lshrrev_b32_e32 v0, 3, v1
	s_mov_b32 s24, exec_lo
	v_cmpx_gt_u32_e32 8, v1
; %bb.710:                              ;   in Loop: Header=BB253_10 Depth=1
	s_delay_alu instid0(VALU_DEP_3) | instskip(NEXT) | instid1(VALU_DEP_1)
	v_clz_i32_u32_e32 v0, v86
	v_min_u32_e32 v0, 32, v0
	s_delay_alu instid0(VALU_DEP_1) | instskip(SKIP_1) | instid1(VALU_DEP_2)
	v_subrev_nc_u32_e32 v1, 28, v0
	v_sub_nc_u32_e32 v0, 29, v0
	v_lshlrev_b64 v[3:4], v1, v[86:87]
	s_delay_alu instid0(VALU_DEP_1)
	v_and_b32_e32 v86, 7, v3
; %bb.711:                              ;   in Loop: Header=BB253_10 Depth=1
	s_or_b32 exec_lo, exec_lo, s24
	v_dual_mov_b32 v92, v87 :: v_dual_lshlrev_b32 v1, 16, v2
	s_delay_alu instid0(VALU_DEP_2) | instskip(SKIP_1) | instid1(VALU_DEP_3)
	v_lshlrev_b32_e32 v2, 20, v86
	v_lshl_add_u32 v0, v0, 23, 0x3c000000
	v_and_b32_e32 v1, 0x80000000, v1
	s_delay_alu instid0(VALU_DEP_1)
	v_or3_b32 v93, v2, v1, v0
.LBB253_712:                            ;   in Loop: Header=BB253_10 Depth=1
	s_or_b32 exec_lo, exec_lo, s18
.LBB253_713:                            ;   in Loop: Header=BB253_10 Depth=1
	s_delay_alu instid0(SALU_CYCLE_1)
	s_or_b32 exec_lo, exec_lo, s23
.LBB253_714:                            ;   in Loop: Header=BB253_10 Depth=1
	s_delay_alu instid0(SALU_CYCLE_1)
	s_or_b32 exec_lo, exec_lo, s3
	flat_load_u16 v0, v[156:157] offset:2816
	v_mov_b32_e32 v104, 0
	v_mov_b32_e32 v105, 0
	s_mov_b32 s3, exec_lo
	s_waitcnt vmcnt(0) lgkmcnt(0)
	v_and_b32_e32 v2, 0xffff, v0
	v_and_b32_e32 v1, 0xff, v0
	v_dual_mov_b32 v107, v105 :: v_dual_mov_b32 v106, v104
	s_delay_alu instid0(VALU_DEP_2)
	v_cmpx_ne_u16_e32 0, v1
	s_cbranch_execz .LBB253_722
; %bb.715:                              ;   in Loop: Header=BB253_10 Depth=1
	v_bfrev_b32_e32 v106, 1
	v_dual_mov_b32 v107, 0 :: v_dual_and_b32 v0, 0xff, v2
	s_mov_b32 s18, exec_lo
	s_delay_alu instid0(VALU_DEP_1)
	v_cmpx_ne_u16_e32 0x80, v0
	s_cbranch_execz .LBB253_721
; %bb.716:                              ;   in Loop: Header=BB253_10 Depth=1
	v_mov_b32_e32 v106, 0x7f800001
	v_and_b32_e32 v1, 0x7f, v2
	v_mov_b32_e32 v107, 0
	s_mov_b32 s23, exec_lo
	s_delay_alu instid0(VALU_DEP_2)
	v_cmpx_ne_u32_e32 0x7f, v1
	s_cbranch_execz .LBB253_720
; %bb.717:                              ;   in Loop: Header=BB253_10 Depth=1
	v_and_b32_e32 v86, 7, v2
	v_lshrrev_b32_e32 v0, 3, v1
	s_mov_b32 s24, exec_lo
	v_cmpx_gt_u32_e32 8, v1
; %bb.718:                              ;   in Loop: Header=BB253_10 Depth=1
	s_delay_alu instid0(VALU_DEP_3) | instskip(NEXT) | instid1(VALU_DEP_1)
	v_clz_i32_u32_e32 v0, v86
	v_min_u32_e32 v0, 32, v0
	s_delay_alu instid0(VALU_DEP_1) | instskip(SKIP_1) | instid1(VALU_DEP_2)
	v_subrev_nc_u32_e32 v1, 28, v0
	v_sub_nc_u32_e32 v0, 29, v0
	v_lshlrev_b64 v[3:4], v1, v[86:87]
	s_delay_alu instid0(VALU_DEP_1)
	v_and_b32_e32 v86, 7, v3
; %bb.719:                              ;   in Loop: Header=BB253_10 Depth=1
	s_or_b32 exec_lo, exec_lo, s24
	v_lshlrev_b32_e32 v1, 24, v2
	s_delay_alu instid0(VALU_DEP_2) | instskip(SKIP_1) | instid1(VALU_DEP_3)
	v_lshlrev_b32_e32 v3, 20, v86
	v_lshl_add_u32 v0, v0, 23, 0x3c000000
	v_and_b32_e32 v1, 0x80000000, v1
	s_delay_alu instid0(VALU_DEP_1) | instskip(NEXT) | instid1(VALU_DEP_1)
	v_or3_b32 v86, v3, v1, v0
	v_dual_mov_b32 v107, v87 :: v_dual_mov_b32 v106, v86
.LBB253_720:                            ;   in Loop: Header=BB253_10 Depth=1
	s_or_b32 exec_lo, exec_lo, s23
.LBB253_721:                            ;   in Loop: Header=BB253_10 Depth=1
	s_delay_alu instid0(SALU_CYCLE_1)
	s_or_b32 exec_lo, exec_lo, s18
.LBB253_722:                            ;   in Loop: Header=BB253_10 Depth=1
	s_delay_alu instid0(SALU_CYCLE_1) | instskip(SKIP_2) | instid1(VALU_DEP_1)
	s_or_b32 exec_lo, exec_lo, s3
	v_lshrrev_b16 v0, 8, v2
	s_mov_b32 s3, exec_lo
	v_cmpx_ne_u16_e32 0, v0
	s_cbranch_execz .LBB253_730
; %bb.723:                              ;   in Loop: Header=BB253_10 Depth=1
	v_dual_mov_b32 v105, s9 :: v_dual_mov_b32 v104, s8
	s_mov_b32 s23, exec_lo
	v_cmpx_ne_u16_e32 0x80, v0
	s_cbranch_execz .LBB253_729
; %bb.724:                              ;   in Loop: Header=BB253_10 Depth=1
	s_mov_b32 s18, s8
	v_dual_mov_b32 v105, s19 :: v_dual_and_b32 v0, 0xffff, v0
	v_mov_b32_e32 v104, s18
	s_mov_b32 s18, exec_lo
	s_delay_alu instid0(VALU_DEP_2) | instskip(NEXT) | instid1(VALU_DEP_1)
	v_and_b32_e32 v1, 0x7f, v0
	v_cmpx_ne_u32_e32 0x7f, v1
	s_cbranch_execz .LBB253_728
; %bb.725:                              ;   in Loop: Header=BB253_10 Depth=1
	v_and_b32_e32 v86, 7, v0
	v_lshrrev_b32_e32 v0, 3, v1
	s_mov_b32 s24, exec_lo
	v_cmpx_gt_u32_e32 8, v1
; %bb.726:                              ;   in Loop: Header=BB253_10 Depth=1
	s_delay_alu instid0(VALU_DEP_3) | instskip(NEXT) | instid1(VALU_DEP_1)
	v_clz_i32_u32_e32 v0, v86
	v_min_u32_e32 v0, 32, v0
	s_delay_alu instid0(VALU_DEP_1) | instskip(SKIP_1) | instid1(VALU_DEP_2)
	v_subrev_nc_u32_e32 v1, 28, v0
	v_sub_nc_u32_e32 v0, 29, v0
	v_lshlrev_b64 v[3:4], v1, v[86:87]
	s_delay_alu instid0(VALU_DEP_1)
	v_and_b32_e32 v86, 7, v3
; %bb.727:                              ;   in Loop: Header=BB253_10 Depth=1
	s_or_b32 exec_lo, exec_lo, s24
	v_dual_mov_b32 v104, v87 :: v_dual_lshlrev_b32 v1, 16, v2
	s_delay_alu instid0(VALU_DEP_2) | instskip(SKIP_1) | instid1(VALU_DEP_3)
	v_lshlrev_b32_e32 v2, 20, v86
	v_lshl_add_u32 v0, v0, 23, 0x3c000000
	v_and_b32_e32 v1, 0x80000000, v1
	s_delay_alu instid0(VALU_DEP_1)
	v_or3_b32 v105, v2, v1, v0
.LBB253_728:                            ;   in Loop: Header=BB253_10 Depth=1
	s_or_b32 exec_lo, exec_lo, s18
.LBB253_729:                            ;   in Loop: Header=BB253_10 Depth=1
	s_delay_alu instid0(SALU_CYCLE_1)
	s_or_b32 exec_lo, exec_lo, s23
.LBB253_730:                            ;   in Loop: Header=BB253_10 Depth=1
	s_delay_alu instid0(SALU_CYCLE_1)
	s_or_b32 exec_lo, exec_lo, s3
	flat_load_u16 v0, v[156:157] offset:2820
	v_mov_b32_e32 v20, 0
	v_mov_b32_e32 v21, 0
	s_mov_b32 s3, exec_lo
	s_waitcnt vmcnt(0) lgkmcnt(0)
	v_and_b32_e32 v2, 0xffff, v0
	v_and_b32_e32 v1, 0xff, v0
	v_dual_mov_b32 v25, v21 :: v_dual_mov_b32 v24, v20
	s_delay_alu instid0(VALU_DEP_2)
	v_cmpx_ne_u16_e32 0, v1
	s_cbranch_execz .LBB253_738
; %bb.731:                              ;   in Loop: Header=BB253_10 Depth=1
	v_bfrev_b32_e32 v24, 1
	v_dual_mov_b32 v25, 0 :: v_dual_and_b32 v0, 0xff, v2
	s_mov_b32 s18, exec_lo
	s_delay_alu instid0(VALU_DEP_1)
	v_cmpx_ne_u16_e32 0x80, v0
	s_cbranch_execz .LBB253_737
; %bb.732:                              ;   in Loop: Header=BB253_10 Depth=1
	v_mov_b32_e32 v24, 0x7f800001
	v_and_b32_e32 v1, 0x7f, v2
	v_mov_b32_e32 v25, 0
	s_mov_b32 s23, exec_lo
	s_delay_alu instid0(VALU_DEP_2)
	v_cmpx_ne_u32_e32 0x7f, v1
	s_cbranch_execz .LBB253_736
; %bb.733:                              ;   in Loop: Header=BB253_10 Depth=1
	v_and_b32_e32 v86, 7, v2
	v_lshrrev_b32_e32 v0, 3, v1
	s_mov_b32 s24, exec_lo
	v_cmpx_gt_u32_e32 8, v1
; %bb.734:                              ;   in Loop: Header=BB253_10 Depth=1
	s_delay_alu instid0(VALU_DEP_3) | instskip(NEXT) | instid1(VALU_DEP_1)
	v_clz_i32_u32_e32 v0, v86
	v_min_u32_e32 v0, 32, v0
	s_delay_alu instid0(VALU_DEP_1) | instskip(SKIP_1) | instid1(VALU_DEP_2)
	v_subrev_nc_u32_e32 v1, 28, v0
	v_sub_nc_u32_e32 v0, 29, v0
	v_lshlrev_b64 v[3:4], v1, v[86:87]
	s_delay_alu instid0(VALU_DEP_1)
	v_and_b32_e32 v86, 7, v3
; %bb.735:                              ;   in Loop: Header=BB253_10 Depth=1
	s_or_b32 exec_lo, exec_lo, s24
	v_lshlrev_b32_e32 v1, 24, v2
	s_delay_alu instid0(VALU_DEP_2) | instskip(SKIP_1) | instid1(VALU_DEP_3)
	v_lshlrev_b32_e32 v3, 20, v86
	v_lshl_add_u32 v0, v0, 23, 0x3c000000
	v_and_b32_e32 v1, 0x80000000, v1
	s_delay_alu instid0(VALU_DEP_1) | instskip(NEXT) | instid1(VALU_DEP_1)
	v_or3_b32 v86, v3, v1, v0
	v_dual_mov_b32 v24, v86 :: v_dual_mov_b32 v25, v87
.LBB253_736:                            ;   in Loop: Header=BB253_10 Depth=1
	s_or_b32 exec_lo, exec_lo, s23
.LBB253_737:                            ;   in Loop: Header=BB253_10 Depth=1
	s_delay_alu instid0(SALU_CYCLE_1)
	s_or_b32 exec_lo, exec_lo, s18
.LBB253_738:                            ;   in Loop: Header=BB253_10 Depth=1
	s_delay_alu instid0(SALU_CYCLE_1) | instskip(SKIP_2) | instid1(VALU_DEP_1)
	s_or_b32 exec_lo, exec_lo, s3
	v_lshrrev_b16 v0, 8, v2
	s_mov_b32 s3, exec_lo
	v_cmpx_ne_u16_e32 0, v0
	s_cbranch_execz .LBB253_746
; %bb.739:                              ;   in Loop: Header=BB253_10 Depth=1
	v_dual_mov_b32 v21, s9 :: v_dual_mov_b32 v20, s8
	s_mov_b32 s23, exec_lo
	v_cmpx_ne_u16_e32 0x80, v0
	s_cbranch_execz .LBB253_745
; %bb.740:                              ;   in Loop: Header=BB253_10 Depth=1
	s_mov_b32 s18, s8
	v_dual_mov_b32 v21, s19 :: v_dual_and_b32 v0, 0xffff, v0
	v_mov_b32_e32 v20, s18
	s_mov_b32 s18, exec_lo
	s_delay_alu instid0(VALU_DEP_2) | instskip(NEXT) | instid1(VALU_DEP_1)
	v_and_b32_e32 v1, 0x7f, v0
	v_cmpx_ne_u32_e32 0x7f, v1
	s_cbranch_execz .LBB253_744
; %bb.741:                              ;   in Loop: Header=BB253_10 Depth=1
	v_and_b32_e32 v86, 7, v0
	v_lshrrev_b32_e32 v0, 3, v1
	s_mov_b32 s24, exec_lo
	v_cmpx_gt_u32_e32 8, v1
; %bb.742:                              ;   in Loop: Header=BB253_10 Depth=1
	s_delay_alu instid0(VALU_DEP_3) | instskip(NEXT) | instid1(VALU_DEP_1)
	v_clz_i32_u32_e32 v0, v86
	v_min_u32_e32 v0, 32, v0
	s_delay_alu instid0(VALU_DEP_1) | instskip(SKIP_1) | instid1(VALU_DEP_2)
	v_subrev_nc_u32_e32 v1, 28, v0
	v_sub_nc_u32_e32 v0, 29, v0
	v_lshlrev_b64 v[3:4], v1, v[86:87]
	s_delay_alu instid0(VALU_DEP_1)
	v_and_b32_e32 v86, 7, v3
; %bb.743:                              ;   in Loop: Header=BB253_10 Depth=1
	s_or_b32 exec_lo, exec_lo, s24
	v_dual_mov_b32 v20, v87 :: v_dual_lshlrev_b32 v1, 16, v2
	s_delay_alu instid0(VALU_DEP_2) | instskip(SKIP_1) | instid1(VALU_DEP_3)
	v_lshlrev_b32_e32 v2, 20, v86
	v_lshl_add_u32 v0, v0, 23, 0x3c000000
	v_and_b32_e32 v1, 0x80000000, v1
	s_delay_alu instid0(VALU_DEP_1)
	v_or3_b32 v21, v2, v1, v0
.LBB253_744:                            ;   in Loop: Header=BB253_10 Depth=1
	s_or_b32 exec_lo, exec_lo, s18
.LBB253_745:                            ;   in Loop: Header=BB253_10 Depth=1
	s_delay_alu instid0(SALU_CYCLE_1)
	s_or_b32 exec_lo, exec_lo, s23
.LBB253_746:                            ;   in Loop: Header=BB253_10 Depth=1
	s_delay_alu instid0(SALU_CYCLE_1) | instskip(SKIP_1) | instid1(VALU_DEP_1)
	s_or_b32 exec_lo, exec_lo, s3
	v_add_co_u32 v2, s2, 0xb00, v156
	v_add_co_ci_u32_e64 v3, s2, 0, v157, s2
	s_mov_b32 s3, exec_lo
	flat_load_u16 v0, v[2:3] offset:8
	v_mov_b32_e32 v126, 0
	s_waitcnt vmcnt(0) lgkmcnt(0)
	v_dual_mov_b32 v127, 0 :: v_dual_and_b32 v4, 0xffff, v0
	v_and_b32_e32 v1, 0xff, v0
	s_delay_alu instid0(VALU_DEP_2) | instskip(NEXT) | instid1(VALU_DEP_2)
	v_dual_mov_b32 v139, v127 :: v_dual_mov_b32 v138, v126
	v_cmpx_ne_u16_e32 0, v1
	s_cbranch_execz .LBB253_754
; %bb.747:                              ;   in Loop: Header=BB253_10 Depth=1
	v_bfrev_b32_e32 v138, 1
	v_dual_mov_b32 v139, 0 :: v_dual_and_b32 v0, 0xff, v4
	s_mov_b32 s18, exec_lo
	s_delay_alu instid0(VALU_DEP_1)
	v_cmpx_ne_u16_e32 0x80, v0
	s_cbranch_execz .LBB253_753
; %bb.748:                              ;   in Loop: Header=BB253_10 Depth=1
	v_mov_b32_e32 v138, 0x7f800001
	v_and_b32_e32 v1, 0x7f, v4
	v_mov_b32_e32 v139, 0
	s_mov_b32 s23, exec_lo
	s_delay_alu instid0(VALU_DEP_2)
	v_cmpx_ne_u32_e32 0x7f, v1
	s_cbranch_execz .LBB253_752
; %bb.749:                              ;   in Loop: Header=BB253_10 Depth=1
	v_and_b32_e32 v86, 7, v4
	v_lshrrev_b32_e32 v0, 3, v1
	s_mov_b32 s24, exec_lo
	v_cmpx_gt_u32_e32 8, v1
; %bb.750:                              ;   in Loop: Header=BB253_10 Depth=1
	s_delay_alu instid0(VALU_DEP_3) | instskip(NEXT) | instid1(VALU_DEP_1)
	v_clz_i32_u32_e32 v0, v86
	v_min_u32_e32 v0, 32, v0
	s_delay_alu instid0(VALU_DEP_1) | instskip(SKIP_1) | instid1(VALU_DEP_2)
	v_subrev_nc_u32_e32 v1, 28, v0
	v_sub_nc_u32_e32 v0, 29, v0
	v_lshlrev_b64 v[8:9], v1, v[86:87]
	s_delay_alu instid0(VALU_DEP_1)
	v_and_b32_e32 v86, 7, v8
; %bb.751:                              ;   in Loop: Header=BB253_10 Depth=1
	s_or_b32 exec_lo, exec_lo, s24
	v_lshlrev_b32_e32 v1, 24, v4
	s_delay_alu instid0(VALU_DEP_2) | instskip(SKIP_1) | instid1(VALU_DEP_3)
	v_lshlrev_b32_e32 v5, 20, v86
	v_lshl_add_u32 v0, v0, 23, 0x3c000000
	v_and_b32_e32 v1, 0x80000000, v1
	s_delay_alu instid0(VALU_DEP_1) | instskip(NEXT) | instid1(VALU_DEP_1)
	v_or3_b32 v86, v5, v1, v0
	v_dual_mov_b32 v139, v87 :: v_dual_mov_b32 v138, v86
.LBB253_752:                            ;   in Loop: Header=BB253_10 Depth=1
	s_or_b32 exec_lo, exec_lo, s23
.LBB253_753:                            ;   in Loop: Header=BB253_10 Depth=1
	s_delay_alu instid0(SALU_CYCLE_1)
	s_or_b32 exec_lo, exec_lo, s18
.LBB253_754:                            ;   in Loop: Header=BB253_10 Depth=1
	s_delay_alu instid0(SALU_CYCLE_1) | instskip(SKIP_2) | instid1(VALU_DEP_1)
	s_or_b32 exec_lo, exec_lo, s3
	v_lshrrev_b16 v0, 8, v4
	s_mov_b32 s3, exec_lo
	v_cmpx_ne_u16_e32 0, v0
	s_cbranch_execz .LBB253_762
; %bb.755:                              ;   in Loop: Header=BB253_10 Depth=1
	v_dual_mov_b32 v127, s9 :: v_dual_mov_b32 v126, s8
	s_mov_b32 s23, exec_lo
	v_cmpx_ne_u16_e32 0x80, v0
	s_cbranch_execz .LBB253_761
; %bb.756:                              ;   in Loop: Header=BB253_10 Depth=1
	s_mov_b32 s18, s8
	v_dual_mov_b32 v127, s19 :: v_dual_and_b32 v0, 0xffff, v0
	v_mov_b32_e32 v126, s18
	s_mov_b32 s18, exec_lo
	s_delay_alu instid0(VALU_DEP_2) | instskip(NEXT) | instid1(VALU_DEP_1)
	v_and_b32_e32 v1, 0x7f, v0
	v_cmpx_ne_u32_e32 0x7f, v1
	s_cbranch_execz .LBB253_760
; %bb.757:                              ;   in Loop: Header=BB253_10 Depth=1
	v_and_b32_e32 v86, 7, v0
	v_lshrrev_b32_e32 v0, 3, v1
	s_mov_b32 s24, exec_lo
	v_cmpx_gt_u32_e32 8, v1
; %bb.758:                              ;   in Loop: Header=BB253_10 Depth=1
	s_delay_alu instid0(VALU_DEP_3) | instskip(NEXT) | instid1(VALU_DEP_1)
	v_clz_i32_u32_e32 v0, v86
	v_min_u32_e32 v0, 32, v0
	s_delay_alu instid0(VALU_DEP_1) | instskip(SKIP_1) | instid1(VALU_DEP_2)
	v_subrev_nc_u32_e32 v1, 28, v0
	v_sub_nc_u32_e32 v0, 29, v0
	v_lshlrev_b64 v[8:9], v1, v[86:87]
	s_delay_alu instid0(VALU_DEP_1)
	v_and_b32_e32 v86, 7, v8
; %bb.759:                              ;   in Loop: Header=BB253_10 Depth=1
	s_or_b32 exec_lo, exec_lo, s24
	v_dual_mov_b32 v126, v87 :: v_dual_lshlrev_b32 v1, 16, v4
	s_delay_alu instid0(VALU_DEP_2) | instskip(SKIP_1) | instid1(VALU_DEP_3)
	v_lshlrev_b32_e32 v4, 20, v86
	v_lshl_add_u32 v0, v0, 23, 0x3c000000
	v_and_b32_e32 v1, 0x80000000, v1
	s_delay_alu instid0(VALU_DEP_1)
	v_or3_b32 v127, v4, v1, v0
.LBB253_760:                            ;   in Loop: Header=BB253_10 Depth=1
	s_or_b32 exec_lo, exec_lo, s18
.LBB253_761:                            ;   in Loop: Header=BB253_10 Depth=1
	s_delay_alu instid0(SALU_CYCLE_1)
	s_or_b32 exec_lo, exec_lo, s23
.LBB253_762:                            ;   in Loop: Header=BB253_10 Depth=1
	s_delay_alu instid0(SALU_CYCLE_1)
	s_or_b32 exec_lo, exec_lo, s3
	flat_load_u16 v0, v[2:3] offset:12
	v_mov_b32_e32 v142, 0
	v_mov_b32_e32 v143, 0
	s_mov_b32 s3, exec_lo
	s_waitcnt vmcnt(0) lgkmcnt(0)
	v_and_b32_e32 v2, 0xffff, v0
	v_and_b32_e32 v1, 0xff, v0
	v_dual_mov_b32 v155, v143 :: v_dual_mov_b32 v154, v142
	s_delay_alu instid0(VALU_DEP_2)
	v_cmpx_ne_u16_e32 0, v1
	s_cbranch_execz .LBB253_770
; %bb.763:                              ;   in Loop: Header=BB253_10 Depth=1
	v_bfrev_b32_e32 v154, 1
	v_dual_mov_b32 v155, 0 :: v_dual_and_b32 v0, 0xff, v2
	s_mov_b32 s18, exec_lo
	s_delay_alu instid0(VALU_DEP_1)
	v_cmpx_ne_u16_e32 0x80, v0
	s_cbranch_execz .LBB253_769
; %bb.764:                              ;   in Loop: Header=BB253_10 Depth=1
	v_mov_b32_e32 v154, 0x7f800001
	v_and_b32_e32 v1, 0x7f, v2
	v_mov_b32_e32 v155, 0
	s_mov_b32 s23, exec_lo
	s_delay_alu instid0(VALU_DEP_2)
	v_cmpx_ne_u32_e32 0x7f, v1
	s_cbranch_execz .LBB253_768
; %bb.765:                              ;   in Loop: Header=BB253_10 Depth=1
	v_and_b32_e32 v86, 7, v2
	v_lshrrev_b32_e32 v0, 3, v1
	s_mov_b32 s24, exec_lo
	v_cmpx_gt_u32_e32 8, v1
; %bb.766:                              ;   in Loop: Header=BB253_10 Depth=1
	s_delay_alu instid0(VALU_DEP_3) | instskip(NEXT) | instid1(VALU_DEP_1)
	v_clz_i32_u32_e32 v0, v86
	v_min_u32_e32 v0, 32, v0
	s_delay_alu instid0(VALU_DEP_1) | instskip(SKIP_1) | instid1(VALU_DEP_2)
	v_subrev_nc_u32_e32 v1, 28, v0
	v_sub_nc_u32_e32 v0, 29, v0
	v_lshlrev_b64 v[3:4], v1, v[86:87]
	s_delay_alu instid0(VALU_DEP_1)
	v_and_b32_e32 v86, 7, v3
; %bb.767:                              ;   in Loop: Header=BB253_10 Depth=1
	s_or_b32 exec_lo, exec_lo, s24
	v_lshlrev_b32_e32 v1, 24, v2
	s_delay_alu instid0(VALU_DEP_2) | instskip(SKIP_1) | instid1(VALU_DEP_3)
	v_lshlrev_b32_e32 v3, 20, v86
	v_lshl_add_u32 v0, v0, 23, 0x3c000000
	v_and_b32_e32 v1, 0x80000000, v1
	s_delay_alu instid0(VALU_DEP_1) | instskip(NEXT) | instid1(VALU_DEP_1)
	v_or3_b32 v86, v3, v1, v0
	v_dual_mov_b32 v155, v87 :: v_dual_mov_b32 v154, v86
.LBB253_768:                            ;   in Loop: Header=BB253_10 Depth=1
	s_or_b32 exec_lo, exec_lo, s23
.LBB253_769:                            ;   in Loop: Header=BB253_10 Depth=1
	s_delay_alu instid0(SALU_CYCLE_1)
	s_or_b32 exec_lo, exec_lo, s18
.LBB253_770:                            ;   in Loop: Header=BB253_10 Depth=1
	s_delay_alu instid0(SALU_CYCLE_1) | instskip(SKIP_2) | instid1(VALU_DEP_1)
	s_or_b32 exec_lo, exec_lo, s3
	v_lshrrev_b16 v0, 8, v2
	s_mov_b32 s3, exec_lo
	v_cmpx_ne_u16_e32 0, v0
	s_cbranch_execz .LBB253_778
; %bb.771:                              ;   in Loop: Header=BB253_10 Depth=1
	v_dual_mov_b32 v143, s9 :: v_dual_mov_b32 v142, s8
	s_mov_b32 s23, exec_lo
	v_cmpx_ne_u16_e32 0x80, v0
	s_cbranch_execz .LBB253_777
; %bb.772:                              ;   in Loop: Header=BB253_10 Depth=1
	s_mov_b32 s18, s8
	v_dual_mov_b32 v143, s19 :: v_dual_and_b32 v0, 0xffff, v0
	v_mov_b32_e32 v142, s18
	s_mov_b32 s18, exec_lo
	s_delay_alu instid0(VALU_DEP_2) | instskip(NEXT) | instid1(VALU_DEP_1)
	v_and_b32_e32 v1, 0x7f, v0
	v_cmpx_ne_u32_e32 0x7f, v1
	s_cbranch_execz .LBB253_776
; %bb.773:                              ;   in Loop: Header=BB253_10 Depth=1
	v_and_b32_e32 v86, 7, v0
	v_lshrrev_b32_e32 v0, 3, v1
	s_mov_b32 s24, exec_lo
	v_cmpx_gt_u32_e32 8, v1
; %bb.774:                              ;   in Loop: Header=BB253_10 Depth=1
	s_delay_alu instid0(VALU_DEP_3) | instskip(NEXT) | instid1(VALU_DEP_1)
	v_clz_i32_u32_e32 v0, v86
	v_min_u32_e32 v0, 32, v0
	s_delay_alu instid0(VALU_DEP_1) | instskip(SKIP_1) | instid1(VALU_DEP_2)
	v_subrev_nc_u32_e32 v1, 28, v0
	v_sub_nc_u32_e32 v0, 29, v0
	v_lshlrev_b64 v[3:4], v1, v[86:87]
	s_delay_alu instid0(VALU_DEP_1)
	v_and_b32_e32 v86, 7, v3
; %bb.775:                              ;   in Loop: Header=BB253_10 Depth=1
	s_or_b32 exec_lo, exec_lo, s24
	v_dual_mov_b32 v142, v87 :: v_dual_lshlrev_b32 v1, 16, v2
	s_delay_alu instid0(VALU_DEP_2) | instskip(SKIP_1) | instid1(VALU_DEP_3)
	v_lshlrev_b32_e32 v2, 20, v86
	v_lshl_add_u32 v0, v0, 23, 0x3c000000
	v_and_b32_e32 v1, 0x80000000, v1
	s_delay_alu instid0(VALU_DEP_1)
	v_or3_b32 v143, v2, v1, v0
.LBB253_776:                            ;   in Loop: Header=BB253_10 Depth=1
	s_or_b32 exec_lo, exec_lo, s18
.LBB253_777:                            ;   in Loop: Header=BB253_10 Depth=1
	s_delay_alu instid0(SALU_CYCLE_1)
	s_or_b32 exec_lo, exec_lo, s23
.LBB253_778:                            ;   in Loop: Header=BB253_10 Depth=1
	s_delay_alu instid0(SALU_CYCLE_1)
	s_or_b32 exec_lo, exec_lo, s3
	flat_load_u16 v0, v[156:157] offset:3072
	v_mov_b32_e32 v168, 0
	v_mov_b32_e32 v169, 0
	s_mov_b32 s3, exec_lo
	s_waitcnt vmcnt(0) lgkmcnt(0)
	v_and_b32_e32 v2, 0xffff, v0
	v_and_b32_e32 v1, 0xff, v0
	v_dual_mov_b32 v173, v169 :: v_dual_mov_b32 v172, v168
	s_delay_alu instid0(VALU_DEP_2)
	v_cmpx_ne_u16_e32 0, v1
	s_cbranch_execz .LBB253_786
; %bb.779:                              ;   in Loop: Header=BB253_10 Depth=1
	v_bfrev_b32_e32 v172, 1
	v_dual_mov_b32 v173, 0 :: v_dual_and_b32 v0, 0xff, v2
	s_mov_b32 s18, exec_lo
	s_delay_alu instid0(VALU_DEP_1)
	v_cmpx_ne_u16_e32 0x80, v0
	s_cbranch_execz .LBB253_785
; %bb.780:                              ;   in Loop: Header=BB253_10 Depth=1
	v_mov_b32_e32 v172, 0x7f800001
	v_and_b32_e32 v1, 0x7f, v2
	v_mov_b32_e32 v173, 0
	s_mov_b32 s23, exec_lo
	s_delay_alu instid0(VALU_DEP_2)
	v_cmpx_ne_u32_e32 0x7f, v1
	s_cbranch_execz .LBB253_784
; %bb.781:                              ;   in Loop: Header=BB253_10 Depth=1
	v_and_b32_e32 v86, 7, v2
	v_lshrrev_b32_e32 v0, 3, v1
	s_mov_b32 s24, exec_lo
	v_cmpx_gt_u32_e32 8, v1
; %bb.782:                              ;   in Loop: Header=BB253_10 Depth=1
	s_delay_alu instid0(VALU_DEP_3) | instskip(NEXT) | instid1(VALU_DEP_1)
	v_clz_i32_u32_e32 v0, v86
	v_min_u32_e32 v0, 32, v0
	s_delay_alu instid0(VALU_DEP_1) | instskip(SKIP_1) | instid1(VALU_DEP_2)
	v_subrev_nc_u32_e32 v1, 28, v0
	v_sub_nc_u32_e32 v0, 29, v0
	v_lshlrev_b64 v[3:4], v1, v[86:87]
	s_delay_alu instid0(VALU_DEP_1)
	v_and_b32_e32 v86, 7, v3
; %bb.783:                              ;   in Loop: Header=BB253_10 Depth=1
	s_or_b32 exec_lo, exec_lo, s24
	v_lshlrev_b32_e32 v1, 24, v2
	s_delay_alu instid0(VALU_DEP_2) | instskip(SKIP_1) | instid1(VALU_DEP_3)
	v_lshlrev_b32_e32 v3, 20, v86
	v_lshl_add_u32 v0, v0, 23, 0x3c000000
	v_and_b32_e32 v1, 0x80000000, v1
	s_delay_alu instid0(VALU_DEP_1) | instskip(NEXT) | instid1(VALU_DEP_1)
	v_or3_b32 v86, v3, v1, v0
	v_dual_mov_b32 v173, v87 :: v_dual_mov_b32 v172, v86
.LBB253_784:                            ;   in Loop: Header=BB253_10 Depth=1
	s_or_b32 exec_lo, exec_lo, s23
.LBB253_785:                            ;   in Loop: Header=BB253_10 Depth=1
	s_delay_alu instid0(SALU_CYCLE_1)
	s_or_b32 exec_lo, exec_lo, s18
.LBB253_786:                            ;   in Loop: Header=BB253_10 Depth=1
	s_delay_alu instid0(SALU_CYCLE_1) | instskip(SKIP_2) | instid1(VALU_DEP_1)
	s_or_b32 exec_lo, exec_lo, s3
	v_lshrrev_b16 v0, 8, v2
	s_mov_b32 s3, exec_lo
	v_cmpx_ne_u16_e32 0, v0
	s_cbranch_execz .LBB253_794
; %bb.787:                              ;   in Loop: Header=BB253_10 Depth=1
	v_dual_mov_b32 v169, s9 :: v_dual_mov_b32 v168, s8
	s_mov_b32 s23, exec_lo
	v_cmpx_ne_u16_e32 0x80, v0
	s_cbranch_execz .LBB253_793
; %bb.788:                              ;   in Loop: Header=BB253_10 Depth=1
	s_mov_b32 s18, s8
	v_dual_mov_b32 v169, s19 :: v_dual_and_b32 v0, 0xffff, v0
	v_mov_b32_e32 v168, s18
	s_mov_b32 s18, exec_lo
	s_delay_alu instid0(VALU_DEP_2) | instskip(NEXT) | instid1(VALU_DEP_1)
	v_and_b32_e32 v1, 0x7f, v0
	v_cmpx_ne_u32_e32 0x7f, v1
	s_cbranch_execz .LBB253_792
; %bb.789:                              ;   in Loop: Header=BB253_10 Depth=1
	v_and_b32_e32 v86, 7, v0
	v_lshrrev_b32_e32 v0, 3, v1
	s_mov_b32 s24, exec_lo
	v_cmpx_gt_u32_e32 8, v1
; %bb.790:                              ;   in Loop: Header=BB253_10 Depth=1
	s_delay_alu instid0(VALU_DEP_3) | instskip(NEXT) | instid1(VALU_DEP_1)
	v_clz_i32_u32_e32 v0, v86
	v_min_u32_e32 v0, 32, v0
	s_delay_alu instid0(VALU_DEP_1) | instskip(SKIP_1) | instid1(VALU_DEP_2)
	v_subrev_nc_u32_e32 v1, 28, v0
	v_sub_nc_u32_e32 v0, 29, v0
	v_lshlrev_b64 v[3:4], v1, v[86:87]
	s_delay_alu instid0(VALU_DEP_1)
	v_and_b32_e32 v86, 7, v3
; %bb.791:                              ;   in Loop: Header=BB253_10 Depth=1
	s_or_b32 exec_lo, exec_lo, s24
	v_dual_mov_b32 v168, v87 :: v_dual_lshlrev_b32 v1, 16, v2
	s_delay_alu instid0(VALU_DEP_2) | instskip(SKIP_1) | instid1(VALU_DEP_3)
	v_lshlrev_b32_e32 v2, 20, v86
	v_lshl_add_u32 v0, v0, 23, 0x3c000000
	v_and_b32_e32 v1, 0x80000000, v1
	s_delay_alu instid0(VALU_DEP_1)
	v_or3_b32 v169, v2, v1, v0
.LBB253_792:                            ;   in Loop: Header=BB253_10 Depth=1
	s_or_b32 exec_lo, exec_lo, s18
.LBB253_793:                            ;   in Loop: Header=BB253_10 Depth=1
	s_delay_alu instid0(SALU_CYCLE_1)
	s_or_b32 exec_lo, exec_lo, s23
.LBB253_794:                            ;   in Loop: Header=BB253_10 Depth=1
	s_delay_alu instid0(SALU_CYCLE_1)
	s_or_b32 exec_lo, exec_lo, s3
	flat_load_u16 v0, v[156:157] offset:3076
	v_mov_b32_e32 v188, 0
	v_mov_b32_e32 v189, 0
	s_mov_b32 s3, exec_lo
	s_waitcnt vmcnt(0) lgkmcnt(0)
	v_and_b32_e32 v2, 0xffff, v0
	v_dual_mov_b32 v4, v188 :: v_dual_and_b32 v1, 0xff, v0
	v_mov_b32_e32 v5, v189
	s_delay_alu instid0(VALU_DEP_2)
	v_cmpx_ne_u16_e32 0, v1
	s_cbranch_execz .LBB253_802
; %bb.795:                              ;   in Loop: Header=BB253_10 Depth=1
	v_bfrev_b32_e32 v4, 1
	v_dual_mov_b32 v5, 0 :: v_dual_and_b32 v0, 0xff, v2
	s_mov_b32 s18, exec_lo
	s_delay_alu instid0(VALU_DEP_1)
	v_cmpx_ne_u16_e32 0x80, v0
	s_cbranch_execz .LBB253_801
; %bb.796:                              ;   in Loop: Header=BB253_10 Depth=1
	v_mov_b32_e32 v4, 0x7f800001
	v_and_b32_e32 v1, 0x7f, v2
	v_mov_b32_e32 v5, 0
	s_mov_b32 s23, exec_lo
	s_delay_alu instid0(VALU_DEP_2)
	v_cmpx_ne_u32_e32 0x7f, v1
	s_cbranch_execz .LBB253_800
; %bb.797:                              ;   in Loop: Header=BB253_10 Depth=1
	v_and_b32_e32 v86, 7, v2
	v_lshrrev_b32_e32 v0, 3, v1
	s_mov_b32 s24, exec_lo
	v_cmpx_gt_u32_e32 8, v1
; %bb.798:                              ;   in Loop: Header=BB253_10 Depth=1
	s_delay_alu instid0(VALU_DEP_3) | instskip(NEXT) | instid1(VALU_DEP_1)
	v_clz_i32_u32_e32 v0, v86
	v_min_u32_e32 v0, 32, v0
	s_delay_alu instid0(VALU_DEP_1) | instskip(SKIP_1) | instid1(VALU_DEP_2)
	v_subrev_nc_u32_e32 v1, 28, v0
	v_sub_nc_u32_e32 v0, 29, v0
	v_lshlrev_b64 v[3:4], v1, v[86:87]
	s_delay_alu instid0(VALU_DEP_1)
	v_and_b32_e32 v86, 7, v3
; %bb.799:                              ;   in Loop: Header=BB253_10 Depth=1
	s_or_b32 exec_lo, exec_lo, s24
	v_lshlrev_b32_e32 v1, 24, v2
	s_delay_alu instid0(VALU_DEP_2) | instskip(SKIP_1) | instid1(VALU_DEP_3)
	v_lshlrev_b32_e32 v3, 20, v86
	v_lshl_add_u32 v0, v0, 23, 0x3c000000
	v_and_b32_e32 v1, 0x80000000, v1
	s_delay_alu instid0(VALU_DEP_1) | instskip(NEXT) | instid1(VALU_DEP_1)
	v_or3_b32 v86, v3, v1, v0
	v_dual_mov_b32 v4, v86 :: v_dual_mov_b32 v5, v87
.LBB253_800:                            ;   in Loop: Header=BB253_10 Depth=1
	s_or_b32 exec_lo, exec_lo, s23
.LBB253_801:                            ;   in Loop: Header=BB253_10 Depth=1
	s_delay_alu instid0(SALU_CYCLE_1)
	s_or_b32 exec_lo, exec_lo, s18
.LBB253_802:                            ;   in Loop: Header=BB253_10 Depth=1
	s_delay_alu instid0(SALU_CYCLE_1) | instskip(SKIP_2) | instid1(VALU_DEP_1)
	s_or_b32 exec_lo, exec_lo, s3
	v_lshrrev_b16 v0, 8, v2
	s_mov_b32 s3, exec_lo
	v_cmpx_ne_u16_e32 0, v0
	s_cbranch_execz .LBB253_810
; %bb.803:                              ;   in Loop: Header=BB253_10 Depth=1
	v_dual_mov_b32 v189, s9 :: v_dual_mov_b32 v188, s8
	s_mov_b32 s23, exec_lo
	v_cmpx_ne_u16_e32 0x80, v0
	s_cbranch_execz .LBB253_809
; %bb.804:                              ;   in Loop: Header=BB253_10 Depth=1
	s_mov_b32 s18, s8
	v_dual_mov_b32 v189, s19 :: v_dual_and_b32 v0, 0xffff, v0
	v_mov_b32_e32 v188, s18
	s_mov_b32 s18, exec_lo
	s_delay_alu instid0(VALU_DEP_2) | instskip(NEXT) | instid1(VALU_DEP_1)
	v_and_b32_e32 v1, 0x7f, v0
	v_cmpx_ne_u32_e32 0x7f, v1
	s_cbranch_execz .LBB253_808
; %bb.805:                              ;   in Loop: Header=BB253_10 Depth=1
	v_and_b32_e32 v86, 7, v0
	v_lshrrev_b32_e32 v0, 3, v1
	s_mov_b32 s24, exec_lo
	v_cmpx_gt_u32_e32 8, v1
; %bb.806:                              ;   in Loop: Header=BB253_10 Depth=1
	s_delay_alu instid0(VALU_DEP_3) | instskip(NEXT) | instid1(VALU_DEP_1)
	v_clz_i32_u32_e32 v0, v86
	v_min_u32_e32 v0, 32, v0
	s_delay_alu instid0(VALU_DEP_1) | instskip(SKIP_1) | instid1(VALU_DEP_2)
	v_subrev_nc_u32_e32 v1, 28, v0
	v_sub_nc_u32_e32 v0, 29, v0
	v_lshlrev_b64 v[8:9], v1, v[86:87]
	s_delay_alu instid0(VALU_DEP_1)
	v_and_b32_e32 v86, 7, v8
; %bb.807:                              ;   in Loop: Header=BB253_10 Depth=1
	s_or_b32 exec_lo, exec_lo, s24
	v_dual_mov_b32 v188, v87 :: v_dual_lshlrev_b32 v1, 16, v2
	s_delay_alu instid0(VALU_DEP_2) | instskip(SKIP_1) | instid1(VALU_DEP_3)
	v_lshlrev_b32_e32 v2, 20, v86
	v_lshl_add_u32 v0, v0, 23, 0x3c000000
	v_and_b32_e32 v1, 0x80000000, v1
	s_delay_alu instid0(VALU_DEP_1)
	v_or3_b32 v189, v2, v1, v0
.LBB253_808:                            ;   in Loop: Header=BB253_10 Depth=1
	s_or_b32 exec_lo, exec_lo, s18
.LBB253_809:                            ;   in Loop: Header=BB253_10 Depth=1
	s_delay_alu instid0(SALU_CYCLE_1)
	s_or_b32 exec_lo, exec_lo, s23
.LBB253_810:                            ;   in Loop: Header=BB253_10 Depth=1
	s_delay_alu instid0(SALU_CYCLE_1) | instskip(SKIP_1) | instid1(VALU_DEP_1)
	s_or_b32 exec_lo, exec_lo, s3
	v_add_co_u32 v2, s2, 0xc00, v156
	v_add_co_ci_u32_e64 v3, s2, 0, v157, s2
	s_mov_b32 s3, exec_lo
	flat_load_u16 v0, v[2:3] offset:8
	v_mov_b32_e32 v22, 0
	s_waitcnt vmcnt(0) lgkmcnt(0)
	v_dual_mov_b32 v23, 0 :: v_dual_and_b32 v10, 0xffff, v0
	s_delay_alu instid0(VALU_DEP_2) | instskip(NEXT) | instid1(VALU_DEP_2)
	v_dual_mov_b32 v8, v22 :: v_dual_and_b32 v1, 0xff, v0
	v_mov_b32_e32 v9, v23
	s_delay_alu instid0(VALU_DEP_2)
	v_cmpx_ne_u16_e32 0, v1
	s_cbranch_execz .LBB253_818
; %bb.811:                              ;   in Loop: Header=BB253_10 Depth=1
	v_bfrev_b32_e32 v8, 1
	v_dual_mov_b32 v9, 0 :: v_dual_and_b32 v0, 0xff, v10
	s_mov_b32 s18, exec_lo
	s_delay_alu instid0(VALU_DEP_1)
	v_cmpx_ne_u16_e32 0x80, v0
	s_cbranch_execz .LBB253_817
; %bb.812:                              ;   in Loop: Header=BB253_10 Depth=1
	v_mov_b32_e32 v8, 0x7f800001
	v_and_b32_e32 v1, 0x7f, v10
	v_mov_b32_e32 v9, 0
	s_mov_b32 s23, exec_lo
	s_delay_alu instid0(VALU_DEP_2)
	v_cmpx_ne_u32_e32 0x7f, v1
	s_cbranch_execz .LBB253_816
; %bb.813:                              ;   in Loop: Header=BB253_10 Depth=1
	v_and_b32_e32 v86, 7, v10
	v_lshrrev_b32_e32 v0, 3, v1
	s_mov_b32 s24, exec_lo
	v_cmpx_gt_u32_e32 8, v1
; %bb.814:                              ;   in Loop: Header=BB253_10 Depth=1
	s_delay_alu instid0(VALU_DEP_3) | instskip(NEXT) | instid1(VALU_DEP_1)
	v_clz_i32_u32_e32 v0, v86
	v_min_u32_e32 v0, 32, v0
	s_delay_alu instid0(VALU_DEP_1) | instskip(SKIP_1) | instid1(VALU_DEP_2)
	v_subrev_nc_u32_e32 v1, 28, v0
	v_sub_nc_u32_e32 v0, 29, v0
	v_lshlrev_b64 v[8:9], v1, v[86:87]
	s_delay_alu instid0(VALU_DEP_1)
	v_and_b32_e32 v86, 7, v8
; %bb.815:                              ;   in Loop: Header=BB253_10 Depth=1
	s_or_b32 exec_lo, exec_lo, s24
	v_lshlrev_b32_e32 v1, 24, v10
	s_delay_alu instid0(VALU_DEP_2) | instskip(SKIP_1) | instid1(VALU_DEP_3)
	v_lshlrev_b32_e32 v8, 20, v86
	v_lshl_add_u32 v0, v0, 23, 0x3c000000
	v_and_b32_e32 v1, 0x80000000, v1
	s_delay_alu instid0(VALU_DEP_1) | instskip(NEXT) | instid1(VALU_DEP_1)
	v_or3_b32 v86, v8, v1, v0
	v_dual_mov_b32 v8, v86 :: v_dual_mov_b32 v9, v87
.LBB253_816:                            ;   in Loop: Header=BB253_10 Depth=1
	s_or_b32 exec_lo, exec_lo, s23
.LBB253_817:                            ;   in Loop: Header=BB253_10 Depth=1
	s_delay_alu instid0(SALU_CYCLE_1)
	s_or_b32 exec_lo, exec_lo, s18
.LBB253_818:                            ;   in Loop: Header=BB253_10 Depth=1
	s_delay_alu instid0(SALU_CYCLE_1) | instskip(SKIP_2) | instid1(VALU_DEP_1)
	s_or_b32 exec_lo, exec_lo, s3
	v_lshrrev_b16 v0, 8, v10
	s_mov_b32 s3, exec_lo
	v_cmpx_ne_u16_e32 0, v0
	s_cbranch_execz .LBB253_826
; %bb.819:                              ;   in Loop: Header=BB253_10 Depth=1
	v_dual_mov_b32 v23, s9 :: v_dual_mov_b32 v22, s8
	s_mov_b32 s23, exec_lo
	v_cmpx_ne_u16_e32 0x80, v0
	s_cbranch_execz .LBB253_825
; %bb.820:                              ;   in Loop: Header=BB253_10 Depth=1
	s_mov_b32 s18, s8
	v_dual_mov_b32 v23, s19 :: v_dual_and_b32 v0, 0xffff, v0
	v_mov_b32_e32 v22, s18
	s_mov_b32 s18, exec_lo
	s_delay_alu instid0(VALU_DEP_2) | instskip(NEXT) | instid1(VALU_DEP_1)
	v_and_b32_e32 v1, 0x7f, v0
	v_cmpx_ne_u32_e32 0x7f, v1
	s_cbranch_execz .LBB253_824
; %bb.821:                              ;   in Loop: Header=BB253_10 Depth=1
	v_and_b32_e32 v86, 7, v0
	v_lshrrev_b32_e32 v0, 3, v1
	s_mov_b32 s24, exec_lo
	v_cmpx_gt_u32_e32 8, v1
; %bb.822:                              ;   in Loop: Header=BB253_10 Depth=1
	s_delay_alu instid0(VALU_DEP_3) | instskip(NEXT) | instid1(VALU_DEP_1)
	v_clz_i32_u32_e32 v0, v86
	v_min_u32_e32 v0, 32, v0
	s_delay_alu instid0(VALU_DEP_1) | instskip(SKIP_1) | instid1(VALU_DEP_2)
	v_subrev_nc_u32_e32 v1, 28, v0
	v_sub_nc_u32_e32 v0, 29, v0
	v_lshlrev_b64 v[11:12], v1, v[86:87]
	s_delay_alu instid0(VALU_DEP_1)
	v_and_b32_e32 v86, 7, v11
; %bb.823:                              ;   in Loop: Header=BB253_10 Depth=1
	s_or_b32 exec_lo, exec_lo, s24
	v_dual_mov_b32 v22, v87 :: v_dual_lshlrev_b32 v1, 16, v10
	s_delay_alu instid0(VALU_DEP_2) | instskip(SKIP_1) | instid1(VALU_DEP_3)
	v_lshlrev_b32_e32 v10, 20, v86
	v_lshl_add_u32 v0, v0, 23, 0x3c000000
	v_and_b32_e32 v1, 0x80000000, v1
	s_delay_alu instid0(VALU_DEP_1)
	v_or3_b32 v23, v10, v1, v0
.LBB253_824:                            ;   in Loop: Header=BB253_10 Depth=1
	s_or_b32 exec_lo, exec_lo, s18
.LBB253_825:                            ;   in Loop: Header=BB253_10 Depth=1
	s_delay_alu instid0(SALU_CYCLE_1)
	s_or_b32 exec_lo, exec_lo, s23
.LBB253_826:                            ;   in Loop: Header=BB253_10 Depth=1
	s_delay_alu instid0(SALU_CYCLE_1)
	s_or_b32 exec_lo, exec_lo, s3
	flat_load_u16 v0, v[2:3] offset:12
	v_mov_b32_e32 v124, 0
	v_mov_b32_e32 v125, 0
	s_mov_b32 s3, exec_lo
	s_waitcnt vmcnt(0) lgkmcnt(0)
	v_and_b32_e32 v2, 0xffff, v0
	v_dual_mov_b32 v34, v124 :: v_dual_and_b32 v1, 0xff, v0
	v_mov_b32_e32 v35, v125
	s_delay_alu instid0(VALU_DEP_2)
	v_cmpx_ne_u16_e32 0, v1
	s_cbranch_execz .LBB253_834
; %bb.827:                              ;   in Loop: Header=BB253_10 Depth=1
	v_bfrev_b32_e32 v34, 1
	v_dual_mov_b32 v35, 0 :: v_dual_and_b32 v0, 0xff, v2
	s_mov_b32 s18, exec_lo
	s_delay_alu instid0(VALU_DEP_1)
	v_cmpx_ne_u16_e32 0x80, v0
	s_cbranch_execz .LBB253_833
; %bb.828:                              ;   in Loop: Header=BB253_10 Depth=1
	v_mov_b32_e32 v34, 0x7f800001
	v_and_b32_e32 v1, 0x7f, v2
	v_mov_b32_e32 v35, 0
	s_mov_b32 s23, exec_lo
	s_delay_alu instid0(VALU_DEP_2)
	v_cmpx_ne_u32_e32 0x7f, v1
	s_cbranch_execz .LBB253_832
; %bb.829:                              ;   in Loop: Header=BB253_10 Depth=1
	v_and_b32_e32 v86, 7, v2
	v_lshrrev_b32_e32 v0, 3, v1
	s_mov_b32 s24, exec_lo
	v_cmpx_gt_u32_e32 8, v1
; %bb.830:                              ;   in Loop: Header=BB253_10 Depth=1
	s_delay_alu instid0(VALU_DEP_3) | instskip(NEXT) | instid1(VALU_DEP_1)
	v_clz_i32_u32_e32 v0, v86
	v_min_u32_e32 v0, 32, v0
	s_delay_alu instid0(VALU_DEP_1) | instskip(SKIP_1) | instid1(VALU_DEP_2)
	v_subrev_nc_u32_e32 v1, 28, v0
	v_sub_nc_u32_e32 v0, 29, v0
	v_lshlrev_b64 v[10:11], v1, v[86:87]
	s_delay_alu instid0(VALU_DEP_1)
	v_and_b32_e32 v86, 7, v10
; %bb.831:                              ;   in Loop: Header=BB253_10 Depth=1
	s_or_b32 exec_lo, exec_lo, s24
	v_lshlrev_b32_e32 v1, 24, v2
	s_delay_alu instid0(VALU_DEP_2) | instskip(SKIP_1) | instid1(VALU_DEP_3)
	v_lshlrev_b32_e32 v3, 20, v86
	v_lshl_add_u32 v0, v0, 23, 0x3c000000
	v_and_b32_e32 v1, 0x80000000, v1
	s_delay_alu instid0(VALU_DEP_1) | instskip(NEXT) | instid1(VALU_DEP_1)
	v_or3_b32 v86, v3, v1, v0
	v_dual_mov_b32 v34, v86 :: v_dual_mov_b32 v35, v87
.LBB253_832:                            ;   in Loop: Header=BB253_10 Depth=1
	s_or_b32 exec_lo, exec_lo, s23
.LBB253_833:                            ;   in Loop: Header=BB253_10 Depth=1
	s_delay_alu instid0(SALU_CYCLE_1)
	s_or_b32 exec_lo, exec_lo, s18
.LBB253_834:                            ;   in Loop: Header=BB253_10 Depth=1
	s_delay_alu instid0(SALU_CYCLE_1) | instskip(SKIP_2) | instid1(VALU_DEP_1)
	s_or_b32 exec_lo, exec_lo, s3
	v_lshrrev_b16 v0, 8, v2
	s_mov_b32 s3, exec_lo
	v_cmpx_ne_u16_e32 0, v0
	s_cbranch_execz .LBB253_842
; %bb.835:                              ;   in Loop: Header=BB253_10 Depth=1
	v_dual_mov_b32 v125, s9 :: v_dual_mov_b32 v124, s8
	s_mov_b32 s23, exec_lo
	v_cmpx_ne_u16_e32 0x80, v0
	s_cbranch_execz .LBB253_841
; %bb.836:                              ;   in Loop: Header=BB253_10 Depth=1
	s_mov_b32 s18, s8
	v_dual_mov_b32 v125, s19 :: v_dual_and_b32 v0, 0xffff, v0
	v_mov_b32_e32 v124, s18
	s_mov_b32 s18, exec_lo
	s_delay_alu instid0(VALU_DEP_2) | instskip(NEXT) | instid1(VALU_DEP_1)
	v_and_b32_e32 v1, 0x7f, v0
	v_cmpx_ne_u32_e32 0x7f, v1
	s_cbranch_execz .LBB253_840
; %bb.837:                              ;   in Loop: Header=BB253_10 Depth=1
	v_and_b32_e32 v86, 7, v0
	v_lshrrev_b32_e32 v0, 3, v1
	s_mov_b32 s24, exec_lo
	v_cmpx_gt_u32_e32 8, v1
; %bb.838:                              ;   in Loop: Header=BB253_10 Depth=1
	s_delay_alu instid0(VALU_DEP_3) | instskip(NEXT) | instid1(VALU_DEP_1)
	v_clz_i32_u32_e32 v0, v86
	v_min_u32_e32 v0, 32, v0
	s_delay_alu instid0(VALU_DEP_1) | instskip(SKIP_1) | instid1(VALU_DEP_2)
	v_subrev_nc_u32_e32 v1, 28, v0
	v_sub_nc_u32_e32 v0, 29, v0
	v_lshlrev_b64 v[10:11], v1, v[86:87]
	s_delay_alu instid0(VALU_DEP_1)
	v_and_b32_e32 v86, 7, v10
; %bb.839:                              ;   in Loop: Header=BB253_10 Depth=1
	s_or_b32 exec_lo, exec_lo, s24
	v_dual_mov_b32 v124, v87 :: v_dual_lshlrev_b32 v1, 16, v2
	s_delay_alu instid0(VALU_DEP_2) | instskip(SKIP_1) | instid1(VALU_DEP_3)
	v_lshlrev_b32_e32 v2, 20, v86
	v_lshl_add_u32 v0, v0, 23, 0x3c000000
	v_and_b32_e32 v1, 0x80000000, v1
	s_delay_alu instid0(VALU_DEP_1)
	v_or3_b32 v125, v2, v1, v0
.LBB253_840:                            ;   in Loop: Header=BB253_10 Depth=1
	s_or_b32 exec_lo, exec_lo, s18
.LBB253_841:                            ;   in Loop: Header=BB253_10 Depth=1
	s_delay_alu instid0(SALU_CYCLE_1)
	s_or_b32 exec_lo, exec_lo, s23
.LBB253_842:                            ;   in Loop: Header=BB253_10 Depth=1
	s_delay_alu instid0(SALU_CYCLE_1)
	s_or_b32 exec_lo, exec_lo, s3
	flat_load_u16 v0, v[156:157] offset:3328
	v_mov_b32_e32 v140, 0
	v_mov_b32_e32 v141, 0
	s_mov_b32 s3, exec_lo
	s_waitcnt vmcnt(0) lgkmcnt(0)
	v_and_b32_e32 v2, 0xffff, v0
	v_and_b32_e32 v1, 0xff, v0
	v_dual_mov_b32 v153, v141 :: v_dual_mov_b32 v152, v140
	s_delay_alu instid0(VALU_DEP_2)
	v_cmpx_ne_u16_e32 0, v1
	s_cbranch_execz .LBB253_850
; %bb.843:                              ;   in Loop: Header=BB253_10 Depth=1
	v_bfrev_b32_e32 v152, 1
	v_dual_mov_b32 v153, 0 :: v_dual_and_b32 v0, 0xff, v2
	s_mov_b32 s18, exec_lo
	s_delay_alu instid0(VALU_DEP_1)
	v_cmpx_ne_u16_e32 0x80, v0
	s_cbranch_execz .LBB253_849
; %bb.844:                              ;   in Loop: Header=BB253_10 Depth=1
	v_mov_b32_e32 v152, 0x7f800001
	v_and_b32_e32 v1, 0x7f, v2
	v_mov_b32_e32 v153, 0
	s_mov_b32 s23, exec_lo
	s_delay_alu instid0(VALU_DEP_2)
	v_cmpx_ne_u32_e32 0x7f, v1
	s_cbranch_execz .LBB253_848
; %bb.845:                              ;   in Loop: Header=BB253_10 Depth=1
	v_and_b32_e32 v86, 7, v2
	v_lshrrev_b32_e32 v0, 3, v1
	s_mov_b32 s24, exec_lo
	v_cmpx_gt_u32_e32 8, v1
; %bb.846:                              ;   in Loop: Header=BB253_10 Depth=1
	s_delay_alu instid0(VALU_DEP_3) | instskip(NEXT) | instid1(VALU_DEP_1)
	v_clz_i32_u32_e32 v0, v86
	v_min_u32_e32 v0, 32, v0
	s_delay_alu instid0(VALU_DEP_1) | instskip(SKIP_1) | instid1(VALU_DEP_2)
	v_subrev_nc_u32_e32 v1, 28, v0
	v_sub_nc_u32_e32 v0, 29, v0
	v_lshlrev_b64 v[10:11], v1, v[86:87]
	s_delay_alu instid0(VALU_DEP_1)
	v_and_b32_e32 v86, 7, v10
; %bb.847:                              ;   in Loop: Header=BB253_10 Depth=1
	s_or_b32 exec_lo, exec_lo, s24
	v_lshlrev_b32_e32 v1, 24, v2
	s_delay_alu instid0(VALU_DEP_2) | instskip(SKIP_1) | instid1(VALU_DEP_3)
	v_lshlrev_b32_e32 v3, 20, v86
	v_lshl_add_u32 v0, v0, 23, 0x3c000000
	v_and_b32_e32 v1, 0x80000000, v1
	s_delay_alu instid0(VALU_DEP_1) | instskip(NEXT) | instid1(VALU_DEP_1)
	v_or3_b32 v86, v3, v1, v0
	v_dual_mov_b32 v153, v87 :: v_dual_mov_b32 v152, v86
.LBB253_848:                            ;   in Loop: Header=BB253_10 Depth=1
	s_or_b32 exec_lo, exec_lo, s23
.LBB253_849:                            ;   in Loop: Header=BB253_10 Depth=1
	s_delay_alu instid0(SALU_CYCLE_1)
	s_or_b32 exec_lo, exec_lo, s18
.LBB253_850:                            ;   in Loop: Header=BB253_10 Depth=1
	s_delay_alu instid0(SALU_CYCLE_1) | instskip(SKIP_2) | instid1(VALU_DEP_1)
	s_or_b32 exec_lo, exec_lo, s3
	v_lshrrev_b16 v0, 8, v2
	s_mov_b32 s3, exec_lo
	v_cmpx_ne_u16_e32 0, v0
	s_cbranch_execz .LBB253_858
; %bb.851:                              ;   in Loop: Header=BB253_10 Depth=1
	v_dual_mov_b32 v141, s9 :: v_dual_mov_b32 v140, s8
	s_mov_b32 s23, exec_lo
	v_cmpx_ne_u16_e32 0x80, v0
	s_cbranch_execz .LBB253_857
; %bb.852:                              ;   in Loop: Header=BB253_10 Depth=1
	s_mov_b32 s18, s8
	v_dual_mov_b32 v141, s19 :: v_dual_and_b32 v0, 0xffff, v0
	v_mov_b32_e32 v140, s18
	s_mov_b32 s18, exec_lo
	s_delay_alu instid0(VALU_DEP_2) | instskip(NEXT) | instid1(VALU_DEP_1)
	v_and_b32_e32 v1, 0x7f, v0
	v_cmpx_ne_u32_e32 0x7f, v1
	s_cbranch_execz .LBB253_856
; %bb.853:                              ;   in Loop: Header=BB253_10 Depth=1
	v_and_b32_e32 v86, 7, v0
	v_lshrrev_b32_e32 v0, 3, v1
	s_mov_b32 s24, exec_lo
	v_cmpx_gt_u32_e32 8, v1
; %bb.854:                              ;   in Loop: Header=BB253_10 Depth=1
	s_delay_alu instid0(VALU_DEP_3) | instskip(NEXT) | instid1(VALU_DEP_1)
	v_clz_i32_u32_e32 v0, v86
	v_min_u32_e32 v0, 32, v0
	s_delay_alu instid0(VALU_DEP_1) | instskip(SKIP_1) | instid1(VALU_DEP_2)
	v_subrev_nc_u32_e32 v1, 28, v0
	v_sub_nc_u32_e32 v0, 29, v0
	v_lshlrev_b64 v[10:11], v1, v[86:87]
	s_delay_alu instid0(VALU_DEP_1)
	v_and_b32_e32 v86, 7, v10
; %bb.855:                              ;   in Loop: Header=BB253_10 Depth=1
	s_or_b32 exec_lo, exec_lo, s24
	v_dual_mov_b32 v140, v87 :: v_dual_lshlrev_b32 v1, 16, v2
	s_delay_alu instid0(VALU_DEP_2) | instskip(SKIP_1) | instid1(VALU_DEP_3)
	v_lshlrev_b32_e32 v2, 20, v86
	v_lshl_add_u32 v0, v0, 23, 0x3c000000
	v_and_b32_e32 v1, 0x80000000, v1
	s_delay_alu instid0(VALU_DEP_1)
	v_or3_b32 v141, v2, v1, v0
.LBB253_856:                            ;   in Loop: Header=BB253_10 Depth=1
	s_or_b32 exec_lo, exec_lo, s18
.LBB253_857:                            ;   in Loop: Header=BB253_10 Depth=1
	s_delay_alu instid0(SALU_CYCLE_1)
	s_or_b32 exec_lo, exec_lo, s23
.LBB253_858:                            ;   in Loop: Header=BB253_10 Depth=1
	s_delay_alu instid0(SALU_CYCLE_1)
	s_or_b32 exec_lo, exec_lo, s3
	flat_load_u16 v0, v[156:157] offset:3332
	v_mov_b32_e32 v184, 0
	v_mov_b32_e32 v185, 0
	s_mov_b32 s3, exec_lo
	s_waitcnt vmcnt(0) lgkmcnt(0)
	v_and_b32_e32 v2, 0xffff, v0
	v_dual_mov_b32 v108, v184 :: v_dual_and_b32 v1, 0xff, v0
	v_mov_b32_e32 v109, v185
	s_delay_alu instid0(VALU_DEP_2)
	v_cmpx_ne_u16_e32 0, v1
	s_cbranch_execz .LBB253_866
; %bb.859:                              ;   in Loop: Header=BB253_10 Depth=1
	v_bfrev_b32_e32 v108, 1
	v_dual_mov_b32 v109, 0 :: v_dual_and_b32 v0, 0xff, v2
	s_mov_b32 s18, exec_lo
	s_delay_alu instid0(VALU_DEP_1)
	v_cmpx_ne_u16_e32 0x80, v0
	s_cbranch_execz .LBB253_865
; %bb.860:                              ;   in Loop: Header=BB253_10 Depth=1
	v_mov_b32_e32 v108, 0x7f800001
	v_and_b32_e32 v1, 0x7f, v2
	v_mov_b32_e32 v109, 0
	s_mov_b32 s23, exec_lo
	s_delay_alu instid0(VALU_DEP_2)
	v_cmpx_ne_u32_e32 0x7f, v1
	s_cbranch_execz .LBB253_864
; %bb.861:                              ;   in Loop: Header=BB253_10 Depth=1
	v_and_b32_e32 v86, 7, v2
	v_lshrrev_b32_e32 v0, 3, v1
	s_mov_b32 s24, exec_lo
	v_cmpx_gt_u32_e32 8, v1
; %bb.862:                              ;   in Loop: Header=BB253_10 Depth=1
	s_delay_alu instid0(VALU_DEP_3) | instskip(NEXT) | instid1(VALU_DEP_1)
	v_clz_i32_u32_e32 v0, v86
	v_min_u32_e32 v0, 32, v0
	s_delay_alu instid0(VALU_DEP_1) | instskip(SKIP_1) | instid1(VALU_DEP_2)
	v_subrev_nc_u32_e32 v1, 28, v0
	v_sub_nc_u32_e32 v0, 29, v0
	v_lshlrev_b64 v[10:11], v1, v[86:87]
	s_delay_alu instid0(VALU_DEP_1)
	v_and_b32_e32 v86, 7, v10
; %bb.863:                              ;   in Loop: Header=BB253_10 Depth=1
	s_or_b32 exec_lo, exec_lo, s24
	v_lshlrev_b32_e32 v1, 24, v2
	s_delay_alu instid0(VALU_DEP_2) | instskip(SKIP_1) | instid1(VALU_DEP_3)
	v_lshlrev_b32_e32 v3, 20, v86
	v_lshl_add_u32 v0, v0, 23, 0x3c000000
	v_and_b32_e32 v1, 0x80000000, v1
	s_delay_alu instid0(VALU_DEP_1) | instskip(NEXT) | instid1(VALU_DEP_1)
	v_or3_b32 v86, v3, v1, v0
	v_dual_mov_b32 v109, v87 :: v_dual_mov_b32 v108, v86
.LBB253_864:                            ;   in Loop: Header=BB253_10 Depth=1
	s_or_b32 exec_lo, exec_lo, s23
.LBB253_865:                            ;   in Loop: Header=BB253_10 Depth=1
	s_delay_alu instid0(SALU_CYCLE_1)
	s_or_b32 exec_lo, exec_lo, s18
.LBB253_866:                            ;   in Loop: Header=BB253_10 Depth=1
	s_delay_alu instid0(SALU_CYCLE_1) | instskip(SKIP_2) | instid1(VALU_DEP_1)
	s_or_b32 exec_lo, exec_lo, s3
	v_lshrrev_b16 v0, 8, v2
	s_mov_b32 s3, exec_lo
	v_cmpx_ne_u16_e32 0, v0
	s_cbranch_execz .LBB253_874
; %bb.867:                              ;   in Loop: Header=BB253_10 Depth=1
	v_dual_mov_b32 v185, s9 :: v_dual_mov_b32 v184, s8
	s_mov_b32 s23, exec_lo
	v_cmpx_ne_u16_e32 0x80, v0
	s_cbranch_execz .LBB253_873
; %bb.868:                              ;   in Loop: Header=BB253_10 Depth=1
	s_mov_b32 s18, s8
	v_dual_mov_b32 v185, s19 :: v_dual_and_b32 v0, 0xffff, v0
	v_mov_b32_e32 v184, s18
	s_mov_b32 s18, exec_lo
	s_delay_alu instid0(VALU_DEP_2) | instskip(NEXT) | instid1(VALU_DEP_1)
	v_and_b32_e32 v1, 0x7f, v0
	v_cmpx_ne_u32_e32 0x7f, v1
	s_cbranch_execz .LBB253_872
; %bb.869:                              ;   in Loop: Header=BB253_10 Depth=1
	v_and_b32_e32 v86, 7, v0
	v_lshrrev_b32_e32 v0, 3, v1
	s_mov_b32 s24, exec_lo
	v_cmpx_gt_u32_e32 8, v1
; %bb.870:                              ;   in Loop: Header=BB253_10 Depth=1
	s_delay_alu instid0(VALU_DEP_3) | instskip(NEXT) | instid1(VALU_DEP_1)
	v_clz_i32_u32_e32 v0, v86
	v_min_u32_e32 v0, 32, v0
	s_delay_alu instid0(VALU_DEP_1) | instskip(SKIP_1) | instid1(VALU_DEP_2)
	v_subrev_nc_u32_e32 v1, 28, v0
	v_sub_nc_u32_e32 v0, 29, v0
	v_lshlrev_b64 v[10:11], v1, v[86:87]
	s_delay_alu instid0(VALU_DEP_1)
	v_and_b32_e32 v86, 7, v10
; %bb.871:                              ;   in Loop: Header=BB253_10 Depth=1
	s_or_b32 exec_lo, exec_lo, s24
	v_dual_mov_b32 v184, v87 :: v_dual_lshlrev_b32 v1, 16, v2
	s_delay_alu instid0(VALU_DEP_2) | instskip(SKIP_1) | instid1(VALU_DEP_3)
	v_lshlrev_b32_e32 v2, 20, v86
	v_lshl_add_u32 v0, v0, 23, 0x3c000000
	v_and_b32_e32 v1, 0x80000000, v1
	s_delay_alu instid0(VALU_DEP_1)
	v_or3_b32 v185, v2, v1, v0
.LBB253_872:                            ;   in Loop: Header=BB253_10 Depth=1
	s_or_b32 exec_lo, exec_lo, s18
.LBB253_873:                            ;   in Loop: Header=BB253_10 Depth=1
	s_delay_alu instid0(SALU_CYCLE_1)
	s_or_b32 exec_lo, exec_lo, s23
.LBB253_874:                            ;   in Loop: Header=BB253_10 Depth=1
	s_delay_alu instid0(SALU_CYCLE_1) | instskip(SKIP_1) | instid1(VALU_DEP_1)
	s_or_b32 exec_lo, exec_lo, s3
	v_add_co_u32 v10, s2, 0xd00, v156
	v_add_co_ci_u32_e64 v11, s2, 0, v157, s2
	s_mov_b32 s3, exec_lo
	flat_load_u16 v0, v[10:11] offset:8
	v_mov_b32_e32 v2, 0
	s_waitcnt vmcnt(0) lgkmcnt(0)
	v_dual_mov_b32 v3, 0 :: v_dual_and_b32 v12, 0xffff, v0
	v_and_b32_e32 v1, 0xff, v0
	s_delay_alu instid0(VALU_DEP_2) | instskip(NEXT) | instid1(VALU_DEP_2)
	v_dual_mov_b32 v121, v3 :: v_dual_mov_b32 v120, v2
	v_cmpx_ne_u16_e32 0, v1
	s_cbranch_execz .LBB253_882
; %bb.875:                              ;   in Loop: Header=BB253_10 Depth=1
	v_bfrev_b32_e32 v120, 1
	v_dual_mov_b32 v121, 0 :: v_dual_and_b32 v0, 0xff, v12
	s_mov_b32 s18, exec_lo
	s_delay_alu instid0(VALU_DEP_1)
	v_cmpx_ne_u16_e32 0x80, v0
	s_cbranch_execz .LBB253_881
; %bb.876:                              ;   in Loop: Header=BB253_10 Depth=1
	v_mov_b32_e32 v120, 0x7f800001
	v_and_b32_e32 v1, 0x7f, v12
	v_mov_b32_e32 v121, 0
	s_mov_b32 s23, exec_lo
	s_delay_alu instid0(VALU_DEP_2)
	v_cmpx_ne_u32_e32 0x7f, v1
	s_cbranch_execz .LBB253_880
; %bb.877:                              ;   in Loop: Header=BB253_10 Depth=1
	v_and_b32_e32 v86, 7, v12
	v_lshrrev_b32_e32 v0, 3, v1
	s_mov_b32 s24, exec_lo
	v_cmpx_gt_u32_e32 8, v1
; %bb.878:                              ;   in Loop: Header=BB253_10 Depth=1
	s_delay_alu instid0(VALU_DEP_3) | instskip(NEXT) | instid1(VALU_DEP_1)
	v_clz_i32_u32_e32 v0, v86
	v_min_u32_e32 v0, 32, v0
	s_delay_alu instid0(VALU_DEP_1) | instskip(SKIP_1) | instid1(VALU_DEP_2)
	v_subrev_nc_u32_e32 v1, 28, v0
	v_sub_nc_u32_e32 v0, 29, v0
	v_lshlrev_b64 v[18:19], v1, v[86:87]
	s_delay_alu instid0(VALU_DEP_1)
	v_and_b32_e32 v86, 7, v18
; %bb.879:                              ;   in Loop: Header=BB253_10 Depth=1
	s_or_b32 exec_lo, exec_lo, s24
	v_lshlrev_b32_e32 v1, 24, v12
	s_delay_alu instid0(VALU_DEP_2) | instskip(SKIP_1) | instid1(VALU_DEP_3)
	v_lshlrev_b32_e32 v13, 20, v86
	v_lshl_add_u32 v0, v0, 23, 0x3c000000
	v_and_b32_e32 v1, 0x80000000, v1
	s_delay_alu instid0(VALU_DEP_1) | instskip(NEXT) | instid1(VALU_DEP_1)
	v_or3_b32 v86, v13, v1, v0
	v_dual_mov_b32 v121, v87 :: v_dual_mov_b32 v120, v86
.LBB253_880:                            ;   in Loop: Header=BB253_10 Depth=1
	s_or_b32 exec_lo, exec_lo, s23
.LBB253_881:                            ;   in Loop: Header=BB253_10 Depth=1
	s_delay_alu instid0(SALU_CYCLE_1)
	s_or_b32 exec_lo, exec_lo, s18
.LBB253_882:                            ;   in Loop: Header=BB253_10 Depth=1
	s_delay_alu instid0(SALU_CYCLE_1) | instskip(SKIP_2) | instid1(VALU_DEP_1)
	s_or_b32 exec_lo, exec_lo, s3
	v_lshrrev_b16 v0, 8, v12
	s_mov_b32 s3, exec_lo
	v_cmpx_ne_u16_e32 0, v0
	s_cbranch_execz .LBB253_890
; %bb.883:                              ;   in Loop: Header=BB253_10 Depth=1
	v_dual_mov_b32 v2, s8 :: v_dual_mov_b32 v3, s9
	s_mov_b32 s23, exec_lo
	v_cmpx_ne_u16_e32 0x80, v0
	s_cbranch_execz .LBB253_889
; %bb.884:                              ;   in Loop: Header=BB253_10 Depth=1
	s_mov_b32 s18, s8
	v_and_b32_e32 v0, 0xffff, v0
	v_dual_mov_b32 v2, s18 :: v_dual_mov_b32 v3, s19
	s_mov_b32 s18, exec_lo
	s_delay_alu instid0(VALU_DEP_2) | instskip(NEXT) | instid1(VALU_DEP_1)
	v_and_b32_e32 v1, 0x7f, v0
	v_cmpx_ne_u32_e32 0x7f, v1
	s_cbranch_execz .LBB253_888
; %bb.885:                              ;   in Loop: Header=BB253_10 Depth=1
	v_and_b32_e32 v86, 7, v0
	v_lshrrev_b32_e32 v0, 3, v1
	s_mov_b32 s24, exec_lo
	v_cmpx_gt_u32_e32 8, v1
; %bb.886:                              ;   in Loop: Header=BB253_10 Depth=1
	s_delay_alu instid0(VALU_DEP_3) | instskip(NEXT) | instid1(VALU_DEP_1)
	v_clz_i32_u32_e32 v0, v86
	v_min_u32_e32 v0, 32, v0
	s_delay_alu instid0(VALU_DEP_1) | instskip(SKIP_1) | instid1(VALU_DEP_2)
	v_subrev_nc_u32_e32 v1, 28, v0
	v_sub_nc_u32_e32 v0, 29, v0
	v_lshlrev_b64 v[1:2], v1, v[86:87]
	s_delay_alu instid0(VALU_DEP_1)
	v_and_b32_e32 v86, 7, v1
; %bb.887:                              ;   in Loop: Header=BB253_10 Depth=1
	s_or_b32 exec_lo, exec_lo, s24
	v_lshlrev_b32_e32 v1, 16, v12
	s_delay_alu instid0(VALU_DEP_2) | instskip(SKIP_1) | instid1(VALU_DEP_3)
	v_lshlrev_b32_e32 v2, 20, v86
	v_lshl_add_u32 v0, v0, 23, 0x3c000000
	v_and_b32_e32 v1, 0x80000000, v1
	s_delay_alu instid0(VALU_DEP_1)
	v_or3_b32 v3, v2, v1, v0
	v_mov_b32_e32 v2, v87
.LBB253_888:                            ;   in Loop: Header=BB253_10 Depth=1
	s_or_b32 exec_lo, exec_lo, s18
.LBB253_889:                            ;   in Loop: Header=BB253_10 Depth=1
	s_delay_alu instid0(SALU_CYCLE_1)
	s_or_b32 exec_lo, exec_lo, s23
.LBB253_890:                            ;   in Loop: Header=BB253_10 Depth=1
	s_delay_alu instid0(SALU_CYCLE_1)
	s_or_b32 exec_lo, exec_lo, s3
	flat_load_u16 v0, v[10:11] offset:12
	v_mov_b32_e32 v18, 0
	v_mov_b32_e32 v19, 0
	s_mov_b32 s3, exec_lo
	s_waitcnt vmcnt(0) lgkmcnt(0)
	v_and_b32_e32 v10, 0xffff, v0
	v_and_b32_e32 v1, 0xff, v0
	v_dual_mov_b32 v31, v19 :: v_dual_mov_b32 v30, v18
	s_delay_alu instid0(VALU_DEP_2)
	v_cmpx_ne_u16_e32 0, v1
	s_cbranch_execz .LBB253_898
; %bb.891:                              ;   in Loop: Header=BB253_10 Depth=1
	v_bfrev_b32_e32 v30, 1
	v_dual_mov_b32 v31, 0 :: v_dual_and_b32 v0, 0xff, v10
	s_mov_b32 s18, exec_lo
	s_delay_alu instid0(VALU_DEP_1)
	v_cmpx_ne_u16_e32 0x80, v0
	s_cbranch_execz .LBB253_897
; %bb.892:                              ;   in Loop: Header=BB253_10 Depth=1
	v_mov_b32_e32 v30, 0x7f800001
	v_and_b32_e32 v1, 0x7f, v10
	v_mov_b32_e32 v31, 0
	s_mov_b32 s23, exec_lo
	s_delay_alu instid0(VALU_DEP_2)
	v_cmpx_ne_u32_e32 0x7f, v1
	s_cbranch_execz .LBB253_896
; %bb.893:                              ;   in Loop: Header=BB253_10 Depth=1
	v_and_b32_e32 v86, 7, v10
	v_lshrrev_b32_e32 v0, 3, v1
	s_mov_b32 s24, exec_lo
	v_cmpx_gt_u32_e32 8, v1
; %bb.894:                              ;   in Loop: Header=BB253_10 Depth=1
	s_delay_alu instid0(VALU_DEP_3) | instskip(NEXT) | instid1(VALU_DEP_1)
	v_clz_i32_u32_e32 v0, v86
	v_min_u32_e32 v0, 32, v0
	s_delay_alu instid0(VALU_DEP_1) | instskip(SKIP_1) | instid1(VALU_DEP_2)
	v_subrev_nc_u32_e32 v1, 28, v0
	v_sub_nc_u32_e32 v0, 29, v0
	v_lshlrev_b64 v[11:12], v1, v[86:87]
	s_delay_alu instid0(VALU_DEP_1)
	v_and_b32_e32 v86, 7, v11
; %bb.895:                              ;   in Loop: Header=BB253_10 Depth=1
	s_or_b32 exec_lo, exec_lo, s24
	v_lshlrev_b32_e32 v1, 24, v10
	s_delay_alu instid0(VALU_DEP_2) | instskip(SKIP_1) | instid1(VALU_DEP_3)
	v_lshlrev_b32_e32 v11, 20, v86
	v_lshl_add_u32 v0, v0, 23, 0x3c000000
	v_and_b32_e32 v1, 0x80000000, v1
	s_delay_alu instid0(VALU_DEP_1) | instskip(NEXT) | instid1(VALU_DEP_1)
	v_or3_b32 v86, v11, v1, v0
	v_dual_mov_b32 v30, v86 :: v_dual_mov_b32 v31, v87
.LBB253_896:                            ;   in Loop: Header=BB253_10 Depth=1
	s_or_b32 exec_lo, exec_lo, s23
.LBB253_897:                            ;   in Loop: Header=BB253_10 Depth=1
	s_delay_alu instid0(SALU_CYCLE_1)
	s_or_b32 exec_lo, exec_lo, s18
.LBB253_898:                            ;   in Loop: Header=BB253_10 Depth=1
	s_delay_alu instid0(SALU_CYCLE_1) | instskip(SKIP_2) | instid1(VALU_DEP_1)
	s_or_b32 exec_lo, exec_lo, s3
	v_lshrrev_b16 v0, 8, v10
	s_mov_b32 s3, exec_lo
	v_cmpx_ne_u16_e32 0, v0
	s_cbranch_execz .LBB253_906
; %bb.899:                              ;   in Loop: Header=BB253_10 Depth=1
	v_dual_mov_b32 v19, s9 :: v_dual_mov_b32 v18, s8
	s_mov_b32 s23, exec_lo
	v_cmpx_ne_u16_e32 0x80, v0
	s_cbranch_execz .LBB253_905
; %bb.900:                              ;   in Loop: Header=BB253_10 Depth=1
	s_mov_b32 s18, s8
	v_and_b32_e32 v0, 0xffff, v0
	v_dual_mov_b32 v18, s18 :: v_dual_mov_b32 v19, s19
	s_mov_b32 s18, exec_lo
	s_delay_alu instid0(VALU_DEP_2) | instskip(NEXT) | instid1(VALU_DEP_1)
	v_and_b32_e32 v1, 0x7f, v0
	v_cmpx_ne_u32_e32 0x7f, v1
	s_cbranch_execz .LBB253_904
; %bb.901:                              ;   in Loop: Header=BB253_10 Depth=1
	v_and_b32_e32 v86, 7, v0
	v_lshrrev_b32_e32 v0, 3, v1
	s_mov_b32 s24, exec_lo
	v_cmpx_gt_u32_e32 8, v1
; %bb.902:                              ;   in Loop: Header=BB253_10 Depth=1
	s_delay_alu instid0(VALU_DEP_3) | instskip(NEXT) | instid1(VALU_DEP_1)
	v_clz_i32_u32_e32 v0, v86
	v_min_u32_e32 v0, 32, v0
	s_delay_alu instid0(VALU_DEP_1) | instskip(SKIP_1) | instid1(VALU_DEP_2)
	v_subrev_nc_u32_e32 v1, 28, v0
	v_sub_nc_u32_e32 v0, 29, v0
	v_lshlrev_b64 v[11:12], v1, v[86:87]
	s_delay_alu instid0(VALU_DEP_1)
	v_and_b32_e32 v86, 7, v11
; %bb.903:                              ;   in Loop: Header=BB253_10 Depth=1
	s_or_b32 exec_lo, exec_lo, s24
	v_dual_mov_b32 v18, v87 :: v_dual_lshlrev_b32 v1, 16, v10
	s_delay_alu instid0(VALU_DEP_2) | instskip(SKIP_1) | instid1(VALU_DEP_3)
	v_lshlrev_b32_e32 v10, 20, v86
	v_lshl_add_u32 v0, v0, 23, 0x3c000000
	v_and_b32_e32 v1, 0x80000000, v1
	s_delay_alu instid0(VALU_DEP_1)
	v_or3_b32 v19, v10, v1, v0
.LBB253_904:                            ;   in Loop: Header=BB253_10 Depth=1
	s_or_b32 exec_lo, exec_lo, s18
.LBB253_905:                            ;   in Loop: Header=BB253_10 Depth=1
	s_delay_alu instid0(SALU_CYCLE_1)
	s_or_b32 exec_lo, exec_lo, s23
.LBB253_906:                            ;   in Loop: Header=BB253_10 Depth=1
	s_delay_alu instid0(SALU_CYCLE_1)
	s_or_b32 exec_lo, exec_lo, s3
	flat_load_u16 v0, v[156:157] offset:3584
	v_mov_b32_e32 v136, 0
	v_mov_b32_e32 v137, 0
	s_mov_b32 s3, exec_lo
	s_waitcnt vmcnt(0) lgkmcnt(0)
	v_and_b32_e32 v10, 0xffff, v0
	v_dual_mov_b32 v38, v136 :: v_dual_and_b32 v1, 0xff, v0
	v_mov_b32_e32 v39, v137
	s_delay_alu instid0(VALU_DEP_2)
	v_cmpx_ne_u16_e32 0, v1
	s_cbranch_execz .LBB253_914
; %bb.907:                              ;   in Loop: Header=BB253_10 Depth=1
	v_bfrev_b32_e32 v38, 1
	v_dual_mov_b32 v39, 0 :: v_dual_and_b32 v0, 0xff, v10
	s_mov_b32 s18, exec_lo
	s_delay_alu instid0(VALU_DEP_1)
	v_cmpx_ne_u16_e32 0x80, v0
	s_cbranch_execz .LBB253_913
; %bb.908:                              ;   in Loop: Header=BB253_10 Depth=1
	v_mov_b32_e32 v38, 0x7f800001
	v_and_b32_e32 v1, 0x7f, v10
	v_mov_b32_e32 v39, 0
	s_mov_b32 s23, exec_lo
	s_delay_alu instid0(VALU_DEP_2)
	v_cmpx_ne_u32_e32 0x7f, v1
	s_cbranch_execz .LBB253_912
; %bb.909:                              ;   in Loop: Header=BB253_10 Depth=1
	v_and_b32_e32 v86, 7, v10
	v_lshrrev_b32_e32 v0, 3, v1
	s_mov_b32 s24, exec_lo
	v_cmpx_gt_u32_e32 8, v1
; %bb.910:                              ;   in Loop: Header=BB253_10 Depth=1
	s_delay_alu instid0(VALU_DEP_3) | instskip(NEXT) | instid1(VALU_DEP_1)
	v_clz_i32_u32_e32 v0, v86
	v_min_u32_e32 v0, 32, v0
	s_delay_alu instid0(VALU_DEP_1) | instskip(SKIP_1) | instid1(VALU_DEP_2)
	v_subrev_nc_u32_e32 v1, 28, v0
	v_sub_nc_u32_e32 v0, 29, v0
	v_lshlrev_b64 v[11:12], v1, v[86:87]
	s_delay_alu instid0(VALU_DEP_1)
	v_and_b32_e32 v86, 7, v11
; %bb.911:                              ;   in Loop: Header=BB253_10 Depth=1
	s_or_b32 exec_lo, exec_lo, s24
	v_lshlrev_b32_e32 v1, 24, v10
	s_delay_alu instid0(VALU_DEP_2) | instskip(SKIP_1) | instid1(VALU_DEP_3)
	v_lshlrev_b32_e32 v11, 20, v86
	v_lshl_add_u32 v0, v0, 23, 0x3c000000
	v_and_b32_e32 v1, 0x80000000, v1
	s_delay_alu instid0(VALU_DEP_1) | instskip(NEXT) | instid1(VALU_DEP_1)
	v_or3_b32 v86, v11, v1, v0
	v_dual_mov_b32 v38, v86 :: v_dual_mov_b32 v39, v87
.LBB253_912:                            ;   in Loop: Header=BB253_10 Depth=1
	s_or_b32 exec_lo, exec_lo, s23
.LBB253_913:                            ;   in Loop: Header=BB253_10 Depth=1
	s_delay_alu instid0(SALU_CYCLE_1)
	s_or_b32 exec_lo, exec_lo, s18
.LBB253_914:                            ;   in Loop: Header=BB253_10 Depth=1
	s_delay_alu instid0(SALU_CYCLE_1) | instskip(SKIP_2) | instid1(VALU_DEP_1)
	s_or_b32 exec_lo, exec_lo, s3
	v_lshrrev_b16 v0, 8, v10
	s_mov_b32 s3, exec_lo
	v_cmpx_ne_u16_e32 0, v0
	s_cbranch_execz .LBB253_922
; %bb.915:                              ;   in Loop: Header=BB253_10 Depth=1
	v_dual_mov_b32 v137, s9 :: v_dual_mov_b32 v136, s8
	s_mov_b32 s23, exec_lo
	v_cmpx_ne_u16_e32 0x80, v0
	s_cbranch_execz .LBB253_921
; %bb.916:                              ;   in Loop: Header=BB253_10 Depth=1
	s_mov_b32 s18, s8
	v_dual_mov_b32 v137, s19 :: v_dual_and_b32 v0, 0xffff, v0
	v_mov_b32_e32 v136, s18
	s_mov_b32 s18, exec_lo
	s_delay_alu instid0(VALU_DEP_2) | instskip(NEXT) | instid1(VALU_DEP_1)
	v_and_b32_e32 v1, 0x7f, v0
	v_cmpx_ne_u32_e32 0x7f, v1
	s_cbranch_execz .LBB253_920
; %bb.917:                              ;   in Loop: Header=BB253_10 Depth=1
	v_and_b32_e32 v86, 7, v0
	v_lshrrev_b32_e32 v0, 3, v1
	s_mov_b32 s24, exec_lo
	v_cmpx_gt_u32_e32 8, v1
; %bb.918:                              ;   in Loop: Header=BB253_10 Depth=1
	s_delay_alu instid0(VALU_DEP_3) | instskip(NEXT) | instid1(VALU_DEP_1)
	v_clz_i32_u32_e32 v0, v86
	v_min_u32_e32 v0, 32, v0
	s_delay_alu instid0(VALU_DEP_1) | instskip(SKIP_1) | instid1(VALU_DEP_2)
	v_subrev_nc_u32_e32 v1, 28, v0
	v_sub_nc_u32_e32 v0, 29, v0
	v_lshlrev_b64 v[11:12], v1, v[86:87]
	s_delay_alu instid0(VALU_DEP_1)
	v_and_b32_e32 v86, 7, v11
; %bb.919:                              ;   in Loop: Header=BB253_10 Depth=1
	s_or_b32 exec_lo, exec_lo, s24
	v_dual_mov_b32 v136, v87 :: v_dual_lshlrev_b32 v1, 16, v10
	s_delay_alu instid0(VALU_DEP_2) | instskip(SKIP_1) | instid1(VALU_DEP_3)
	v_lshlrev_b32_e32 v10, 20, v86
	v_lshl_add_u32 v0, v0, 23, 0x3c000000
	v_and_b32_e32 v1, 0x80000000, v1
	s_delay_alu instid0(VALU_DEP_1)
	v_or3_b32 v137, v10, v1, v0
.LBB253_920:                            ;   in Loop: Header=BB253_10 Depth=1
	s_or_b32 exec_lo, exec_lo, s18
.LBB253_921:                            ;   in Loop: Header=BB253_10 Depth=1
	s_delay_alu instid0(SALU_CYCLE_1)
	s_or_b32 exec_lo, exec_lo, s23
.LBB253_922:                            ;   in Loop: Header=BB253_10 Depth=1
	s_delay_alu instid0(SALU_CYCLE_1)
	s_or_b32 exec_lo, exec_lo, s3
	flat_load_u16 v0, v[156:157] offset:3588
	v_mov_b32_e32 v50, 0
	v_mov_b32_e32 v51, 0
	s_mov_b32 s3, exec_lo
	s_waitcnt vmcnt(0) lgkmcnt(0)
	v_and_b32_e32 v10, 0xffff, v0
	v_and_b32_e32 v1, 0xff, v0
	v_dual_mov_b32 v159, v51 :: v_dual_mov_b32 v158, v50
	s_delay_alu instid0(VALU_DEP_2)
	v_cmpx_ne_u16_e32 0, v1
	s_cbranch_execz .LBB253_930
; %bb.923:                              ;   in Loop: Header=BB253_10 Depth=1
	v_bfrev_b32_e32 v158, 1
	v_dual_mov_b32 v159, 0 :: v_dual_and_b32 v0, 0xff, v10
	s_mov_b32 s18, exec_lo
	s_delay_alu instid0(VALU_DEP_1)
	v_cmpx_ne_u16_e32 0x80, v0
	s_cbranch_execz .LBB253_929
; %bb.924:                              ;   in Loop: Header=BB253_10 Depth=1
	v_mov_b32_e32 v158, 0x7f800001
	v_and_b32_e32 v1, 0x7f, v10
	v_mov_b32_e32 v159, 0
	s_mov_b32 s23, exec_lo
	s_delay_alu instid0(VALU_DEP_2)
	v_cmpx_ne_u32_e32 0x7f, v1
	s_cbranch_execz .LBB253_928
; %bb.925:                              ;   in Loop: Header=BB253_10 Depth=1
	v_and_b32_e32 v86, 7, v10
	v_lshrrev_b32_e32 v0, 3, v1
	s_mov_b32 s24, exec_lo
	v_cmpx_gt_u32_e32 8, v1
; %bb.926:                              ;   in Loop: Header=BB253_10 Depth=1
	s_delay_alu instid0(VALU_DEP_3) | instskip(NEXT) | instid1(VALU_DEP_1)
	v_clz_i32_u32_e32 v0, v86
	v_min_u32_e32 v0, 32, v0
	s_delay_alu instid0(VALU_DEP_1) | instskip(SKIP_1) | instid1(VALU_DEP_2)
	v_subrev_nc_u32_e32 v1, 28, v0
	v_sub_nc_u32_e32 v0, 29, v0
	v_lshlrev_b64 v[11:12], v1, v[86:87]
	s_delay_alu instid0(VALU_DEP_1)
	v_and_b32_e32 v86, 7, v11
; %bb.927:                              ;   in Loop: Header=BB253_10 Depth=1
	s_or_b32 exec_lo, exec_lo, s24
	v_lshlrev_b32_e32 v1, 24, v10
	s_delay_alu instid0(VALU_DEP_2) | instskip(SKIP_1) | instid1(VALU_DEP_3)
	v_lshlrev_b32_e32 v11, 20, v86
	v_lshl_add_u32 v0, v0, 23, 0x3c000000
	v_and_b32_e32 v1, 0x80000000, v1
	s_delay_alu instid0(VALU_DEP_1) | instskip(NEXT) | instid1(VALU_DEP_1)
	v_or3_b32 v86, v11, v1, v0
	v_dual_mov_b32 v159, v87 :: v_dual_mov_b32 v158, v86
.LBB253_928:                            ;   in Loop: Header=BB253_10 Depth=1
	s_or_b32 exec_lo, exec_lo, s23
.LBB253_929:                            ;   in Loop: Header=BB253_10 Depth=1
	s_delay_alu instid0(SALU_CYCLE_1)
	s_or_b32 exec_lo, exec_lo, s18
.LBB253_930:                            ;   in Loop: Header=BB253_10 Depth=1
	s_delay_alu instid0(SALU_CYCLE_1) | instskip(SKIP_2) | instid1(VALU_DEP_1)
	s_or_b32 exec_lo, exec_lo, s3
	v_lshrrev_b16 v0, 8, v10
	s_mov_b32 s3, exec_lo
	v_cmpx_ne_u16_e32 0, v0
	s_cbranch_execz .LBB253_938
; %bb.931:                              ;   in Loop: Header=BB253_10 Depth=1
	v_dual_mov_b32 v51, s9 :: v_dual_mov_b32 v50, s8
	s_mov_b32 s23, exec_lo
	v_cmpx_ne_u16_e32 0x80, v0
	s_cbranch_execz .LBB253_937
; %bb.932:                              ;   in Loop: Header=BB253_10 Depth=1
	s_mov_b32 s18, s8
	v_dual_mov_b32 v51, s19 :: v_dual_and_b32 v0, 0xffff, v0
	v_mov_b32_e32 v50, s18
	s_mov_b32 s18, exec_lo
	s_delay_alu instid0(VALU_DEP_2) | instskip(NEXT) | instid1(VALU_DEP_1)
	v_and_b32_e32 v1, 0x7f, v0
	v_cmpx_ne_u32_e32 0x7f, v1
	s_cbranch_execz .LBB253_936
; %bb.933:                              ;   in Loop: Header=BB253_10 Depth=1
	v_and_b32_e32 v86, 7, v0
	v_lshrrev_b32_e32 v0, 3, v1
	s_mov_b32 s24, exec_lo
	v_cmpx_gt_u32_e32 8, v1
; %bb.934:                              ;   in Loop: Header=BB253_10 Depth=1
	s_delay_alu instid0(VALU_DEP_3) | instskip(NEXT) | instid1(VALU_DEP_1)
	v_clz_i32_u32_e32 v0, v86
	v_min_u32_e32 v0, 32, v0
	s_delay_alu instid0(VALU_DEP_1) | instskip(SKIP_1) | instid1(VALU_DEP_2)
	v_subrev_nc_u32_e32 v1, 28, v0
	v_sub_nc_u32_e32 v0, 29, v0
	v_lshlrev_b64 v[11:12], v1, v[86:87]
	s_delay_alu instid0(VALU_DEP_1)
	v_and_b32_e32 v86, 7, v11
; %bb.935:                              ;   in Loop: Header=BB253_10 Depth=1
	s_or_b32 exec_lo, exec_lo, s24
	v_dual_mov_b32 v50, v87 :: v_dual_lshlrev_b32 v1, 16, v10
	s_delay_alu instid0(VALU_DEP_2) | instskip(SKIP_1) | instid1(VALU_DEP_3)
	v_lshlrev_b32_e32 v10, 20, v86
	v_lshl_add_u32 v0, v0, 23, 0x3c000000
	v_and_b32_e32 v1, 0x80000000, v1
	s_delay_alu instid0(VALU_DEP_1)
	v_or3_b32 v51, v10, v1, v0
.LBB253_936:                            ;   in Loop: Header=BB253_10 Depth=1
	s_or_b32 exec_lo, exec_lo, s18
.LBB253_937:                            ;   in Loop: Header=BB253_10 Depth=1
	s_delay_alu instid0(SALU_CYCLE_1)
	s_or_b32 exec_lo, exec_lo, s23
.LBB253_938:                            ;   in Loop: Header=BB253_10 Depth=1
	s_delay_alu instid0(SALU_CYCLE_1) | instskip(SKIP_1) | instid1(VALU_DEP_1)
	s_or_b32 exec_lo, exec_lo, s3
	v_add_co_u32 v10, s2, 0xe00, v156
	v_add_co_ci_u32_e64 v11, s2, 0, v157, s2
	s_mov_b32 s3, exec_lo
	flat_load_u16 v0, v[10:11] offset:8
	v_mov_b32_e32 v54, 0
	s_waitcnt vmcnt(0) lgkmcnt(0)
	v_dual_mov_b32 v55, 0 :: v_dual_and_b32 v12, 0xffff, v0
	v_and_b32_e32 v1, 0xff, v0
	s_delay_alu instid0(VALU_DEP_2) | instskip(NEXT) | instid1(VALU_DEP_2)
	v_dual_mov_b32 v171, v55 :: v_dual_mov_b32 v170, v54
	v_cmpx_ne_u16_e32 0, v1
	s_cbranch_execz .LBB253_946
; %bb.939:                              ;   in Loop: Header=BB253_10 Depth=1
	v_bfrev_b32_e32 v170, 1
	v_dual_mov_b32 v171, 0 :: v_dual_and_b32 v0, 0xff, v12
	s_mov_b32 s18, exec_lo
	s_delay_alu instid0(VALU_DEP_1)
	v_cmpx_ne_u16_e32 0x80, v0
	s_cbranch_execz .LBB253_945
; %bb.940:                              ;   in Loop: Header=BB253_10 Depth=1
	v_mov_b32_e32 v170, 0x7f800001
	v_and_b32_e32 v1, 0x7f, v12
	v_mov_b32_e32 v171, 0
	s_mov_b32 s23, exec_lo
	s_delay_alu instid0(VALU_DEP_2)
	v_cmpx_ne_u32_e32 0x7f, v1
	s_cbranch_execz .LBB253_944
; %bb.941:                              ;   in Loop: Header=BB253_10 Depth=1
	v_and_b32_e32 v86, 7, v12
	v_lshrrev_b32_e32 v0, 3, v1
	s_mov_b32 s24, exec_lo
	v_cmpx_gt_u32_e32 8, v1
; %bb.942:                              ;   in Loop: Header=BB253_10 Depth=1
	s_delay_alu instid0(VALU_DEP_3) | instskip(NEXT) | instid1(VALU_DEP_1)
	v_clz_i32_u32_e32 v0, v86
	v_min_u32_e32 v0, 32, v0
	s_delay_alu instid0(VALU_DEP_1) | instskip(SKIP_1) | instid1(VALU_DEP_2)
	v_subrev_nc_u32_e32 v1, 28, v0
	v_sub_nc_u32_e32 v0, 29, v0
	v_lshlrev_b64 v[66:67], v1, v[86:87]
	s_delay_alu instid0(VALU_DEP_1)
	v_and_b32_e32 v86, 7, v66
; %bb.943:                              ;   in Loop: Header=BB253_10 Depth=1
	s_or_b32 exec_lo, exec_lo, s24
	v_lshlrev_b32_e32 v1, 24, v12
	s_delay_alu instid0(VALU_DEP_2) | instskip(SKIP_1) | instid1(VALU_DEP_3)
	v_lshlrev_b32_e32 v13, 20, v86
	v_lshl_add_u32 v0, v0, 23, 0x3c000000
	v_and_b32_e32 v1, 0x80000000, v1
	s_delay_alu instid0(VALU_DEP_1) | instskip(NEXT) | instid1(VALU_DEP_1)
	v_or3_b32 v86, v13, v1, v0
	v_dual_mov_b32 v171, v87 :: v_dual_mov_b32 v170, v86
.LBB253_944:                            ;   in Loop: Header=BB253_10 Depth=1
	s_or_b32 exec_lo, exec_lo, s23
.LBB253_945:                            ;   in Loop: Header=BB253_10 Depth=1
	s_delay_alu instid0(SALU_CYCLE_1)
	s_or_b32 exec_lo, exec_lo, s18
.LBB253_946:                            ;   in Loop: Header=BB253_10 Depth=1
	s_delay_alu instid0(SALU_CYCLE_1) | instskip(SKIP_2) | instid1(VALU_DEP_1)
	s_or_b32 exec_lo, exec_lo, s3
	v_lshrrev_b16 v0, 8, v12
	s_mov_b32 s3, exec_lo
	v_cmpx_ne_u16_e32 0, v0
	s_cbranch_execz .LBB253_954
; %bb.947:                              ;   in Loop: Header=BB253_10 Depth=1
	v_dual_mov_b32 v55, s9 :: v_dual_mov_b32 v54, s8
	s_mov_b32 s23, exec_lo
	v_cmpx_ne_u16_e32 0x80, v0
	s_cbranch_execz .LBB253_953
; %bb.948:                              ;   in Loop: Header=BB253_10 Depth=1
	s_mov_b32 s18, s8
	v_dual_mov_b32 v55, s19 :: v_dual_and_b32 v0, 0xffff, v0
	v_mov_b32_e32 v54, s18
	s_mov_b32 s18, exec_lo
	s_delay_alu instid0(VALU_DEP_2) | instskip(NEXT) | instid1(VALU_DEP_1)
	v_and_b32_e32 v1, 0x7f, v0
	v_cmpx_ne_u32_e32 0x7f, v1
	s_cbranch_execz .LBB253_952
; %bb.949:                              ;   in Loop: Header=BB253_10 Depth=1
	v_and_b32_e32 v86, 7, v0
	v_lshrrev_b32_e32 v0, 3, v1
	s_mov_b32 s24, exec_lo
	v_cmpx_gt_u32_e32 8, v1
; %bb.950:                              ;   in Loop: Header=BB253_10 Depth=1
	s_delay_alu instid0(VALU_DEP_3) | instskip(NEXT) | instid1(VALU_DEP_1)
	v_clz_i32_u32_e32 v0, v86
	v_min_u32_e32 v0, 32, v0
	s_delay_alu instid0(VALU_DEP_1) | instskip(SKIP_1) | instid1(VALU_DEP_2)
	v_subrev_nc_u32_e32 v1, 28, v0
	v_sub_nc_u32_e32 v0, 29, v0
	v_lshlrev_b64 v[54:55], v1, v[86:87]
	s_delay_alu instid0(VALU_DEP_1)
	v_and_b32_e32 v86, 7, v54
; %bb.951:                              ;   in Loop: Header=BB253_10 Depth=1
	s_or_b32 exec_lo, exec_lo, s24
	v_dual_mov_b32 v54, v87 :: v_dual_lshlrev_b32 v1, 16, v12
	s_delay_alu instid0(VALU_DEP_2) | instskip(SKIP_1) | instid1(VALU_DEP_3)
	v_lshlrev_b32_e32 v12, 20, v86
	v_lshl_add_u32 v0, v0, 23, 0x3c000000
	v_and_b32_e32 v1, 0x80000000, v1
	s_delay_alu instid0(VALU_DEP_1)
	v_or3_b32 v55, v12, v1, v0
.LBB253_952:                            ;   in Loop: Header=BB253_10 Depth=1
	s_or_b32 exec_lo, exec_lo, s18
.LBB253_953:                            ;   in Loop: Header=BB253_10 Depth=1
	s_delay_alu instid0(SALU_CYCLE_1)
	s_or_b32 exec_lo, exec_lo, s23
.LBB253_954:                            ;   in Loop: Header=BB253_10 Depth=1
	s_delay_alu instid0(SALU_CYCLE_1)
	s_or_b32 exec_lo, exec_lo, s3
	flat_load_u16 v0, v[10:11] offset:12
	v_mov_b32_e32 v66, 0
	v_mov_b32_e32 v67, 0
	s_mov_b32 s3, exec_lo
	s_waitcnt vmcnt(0) lgkmcnt(0)
	v_and_b32_e32 v10, 0xffff, v0
	v_and_b32_e32 v1, 0xff, v0
	v_dual_mov_b32 v175, v67 :: v_dual_mov_b32 v174, v66
	s_delay_alu instid0(VALU_DEP_2)
	v_cmpx_ne_u16_e32 0, v1
	s_cbranch_execz .LBB253_962
; %bb.955:                              ;   in Loop: Header=BB253_10 Depth=1
	v_bfrev_b32_e32 v174, 1
	v_dual_mov_b32 v175, 0 :: v_dual_and_b32 v0, 0xff, v10
	s_mov_b32 s18, exec_lo
	s_delay_alu instid0(VALU_DEP_1)
	v_cmpx_ne_u16_e32 0x80, v0
	s_cbranch_execz .LBB253_961
; %bb.956:                              ;   in Loop: Header=BB253_10 Depth=1
	v_mov_b32_e32 v174, 0x7f800001
	v_and_b32_e32 v1, 0x7f, v10
	v_mov_b32_e32 v175, 0
	s_mov_b32 s23, exec_lo
	s_delay_alu instid0(VALU_DEP_2)
	v_cmpx_ne_u32_e32 0x7f, v1
	s_cbranch_execz .LBB253_960
; %bb.957:                              ;   in Loop: Header=BB253_10 Depth=1
	v_and_b32_e32 v86, 7, v10
	v_lshrrev_b32_e32 v0, 3, v1
	s_mov_b32 s24, exec_lo
	v_cmpx_gt_u32_e32 8, v1
; %bb.958:                              ;   in Loop: Header=BB253_10 Depth=1
	s_delay_alu instid0(VALU_DEP_3) | instskip(NEXT) | instid1(VALU_DEP_1)
	v_clz_i32_u32_e32 v0, v86
	v_min_u32_e32 v0, 32, v0
	s_delay_alu instid0(VALU_DEP_1) | instskip(SKIP_1) | instid1(VALU_DEP_2)
	v_subrev_nc_u32_e32 v1, 28, v0
	v_sub_nc_u32_e32 v0, 29, v0
	v_lshlrev_b64 v[11:12], v1, v[86:87]
	s_delay_alu instid0(VALU_DEP_1)
	v_and_b32_e32 v86, 7, v11
; %bb.959:                              ;   in Loop: Header=BB253_10 Depth=1
	s_or_b32 exec_lo, exec_lo, s24
	v_lshlrev_b32_e32 v1, 24, v10
	s_delay_alu instid0(VALU_DEP_2) | instskip(SKIP_1) | instid1(VALU_DEP_3)
	v_lshlrev_b32_e32 v11, 20, v86
	v_lshl_add_u32 v0, v0, 23, 0x3c000000
	v_and_b32_e32 v1, 0x80000000, v1
	s_delay_alu instid0(VALU_DEP_1) | instskip(NEXT) | instid1(VALU_DEP_1)
	v_or3_b32 v86, v11, v1, v0
	v_dual_mov_b32 v175, v87 :: v_dual_mov_b32 v174, v86
.LBB253_960:                            ;   in Loop: Header=BB253_10 Depth=1
	s_or_b32 exec_lo, exec_lo, s23
.LBB253_961:                            ;   in Loop: Header=BB253_10 Depth=1
	s_delay_alu instid0(SALU_CYCLE_1)
	s_or_b32 exec_lo, exec_lo, s18
.LBB253_962:                            ;   in Loop: Header=BB253_10 Depth=1
	s_delay_alu instid0(SALU_CYCLE_1) | instskip(SKIP_2) | instid1(VALU_DEP_1)
	s_or_b32 exec_lo, exec_lo, s3
	v_lshrrev_b16 v0, 8, v10
	s_mov_b32 s3, exec_lo
	v_cmpx_ne_u16_e32 0, v0
	s_cbranch_execz .LBB253_970
; %bb.963:                              ;   in Loop: Header=BB253_10 Depth=1
	v_dual_mov_b32 v67, s9 :: v_dual_mov_b32 v66, s8
	s_mov_b32 s23, exec_lo
	v_cmpx_ne_u16_e32 0x80, v0
	s_cbranch_execz .LBB253_969
; %bb.964:                              ;   in Loop: Header=BB253_10 Depth=1
	s_mov_b32 s18, s8
	v_dual_mov_b32 v67, s19 :: v_dual_and_b32 v0, 0xffff, v0
	v_mov_b32_e32 v66, s18
	s_mov_b32 s18, exec_lo
	s_delay_alu instid0(VALU_DEP_2) | instskip(NEXT) | instid1(VALU_DEP_1)
	v_and_b32_e32 v1, 0x7f, v0
	v_cmpx_ne_u32_e32 0x7f, v1
	s_cbranch_execz .LBB253_968
; %bb.965:                              ;   in Loop: Header=BB253_10 Depth=1
	v_and_b32_e32 v86, 7, v0
	v_lshrrev_b32_e32 v0, 3, v1
	s_mov_b32 s24, exec_lo
	v_cmpx_gt_u32_e32 8, v1
; %bb.966:                              ;   in Loop: Header=BB253_10 Depth=1
	s_delay_alu instid0(VALU_DEP_3) | instskip(NEXT) | instid1(VALU_DEP_1)
	v_clz_i32_u32_e32 v0, v86
	v_min_u32_e32 v0, 32, v0
	s_delay_alu instid0(VALU_DEP_1) | instskip(SKIP_1) | instid1(VALU_DEP_2)
	v_subrev_nc_u32_e32 v1, 28, v0
	v_sub_nc_u32_e32 v0, 29, v0
	v_lshlrev_b64 v[11:12], v1, v[86:87]
	s_delay_alu instid0(VALU_DEP_1)
	v_and_b32_e32 v86, 7, v11
; %bb.967:                              ;   in Loop: Header=BB253_10 Depth=1
	s_or_b32 exec_lo, exec_lo, s24
	v_dual_mov_b32 v66, v87 :: v_dual_lshlrev_b32 v1, 16, v10
	s_delay_alu instid0(VALU_DEP_2) | instskip(SKIP_1) | instid1(VALU_DEP_3)
	v_lshlrev_b32_e32 v10, 20, v86
	v_lshl_add_u32 v0, v0, 23, 0x3c000000
	v_and_b32_e32 v1, 0x80000000, v1
	s_delay_alu instid0(VALU_DEP_1)
	v_or3_b32 v67, v10, v1, v0
.LBB253_968:                            ;   in Loop: Header=BB253_10 Depth=1
	s_or_b32 exec_lo, exec_lo, s18
.LBB253_969:                            ;   in Loop: Header=BB253_10 Depth=1
	s_delay_alu instid0(SALU_CYCLE_1)
	s_or_b32 exec_lo, exec_lo, s23
.LBB253_970:                            ;   in Loop: Header=BB253_10 Depth=1
	s_delay_alu instid0(SALU_CYCLE_1)
	s_or_b32 exec_lo, exec_lo, s3
	flat_load_u16 v0, v[156:157] offset:3840
	v_mov_b32_e32 v186, 0
	v_mov_b32_e32 v187, 0
	s_mov_b32 s3, exec_lo
	s_waitcnt vmcnt(0) lgkmcnt(0)
	v_and_b32_e32 v10, 0xffff, v0
	v_dual_mov_b32 v70, v186 :: v_dual_and_b32 v1, 0xff, v0
	v_mov_b32_e32 v71, v187
	s_delay_alu instid0(VALU_DEP_2)
	v_cmpx_ne_u16_e32 0, v1
	s_cbranch_execz .LBB253_978
; %bb.971:                              ;   in Loop: Header=BB253_10 Depth=1
	v_bfrev_b32_e32 v70, 1
	v_dual_mov_b32 v71, 0 :: v_dual_and_b32 v0, 0xff, v10
	s_mov_b32 s18, exec_lo
	s_delay_alu instid0(VALU_DEP_1)
	v_cmpx_ne_u16_e32 0x80, v0
	s_cbranch_execz .LBB253_977
; %bb.972:                              ;   in Loop: Header=BB253_10 Depth=1
	v_mov_b32_e32 v70, 0x7f800001
	v_and_b32_e32 v1, 0x7f, v10
	v_mov_b32_e32 v71, 0
	s_mov_b32 s23, exec_lo
	s_delay_alu instid0(VALU_DEP_2)
	v_cmpx_ne_u32_e32 0x7f, v1
	s_cbranch_execz .LBB253_976
; %bb.973:                              ;   in Loop: Header=BB253_10 Depth=1
	v_and_b32_e32 v86, 7, v10
	v_lshrrev_b32_e32 v0, 3, v1
	s_mov_b32 s24, exec_lo
	v_cmpx_gt_u32_e32 8, v1
; %bb.974:                              ;   in Loop: Header=BB253_10 Depth=1
	s_delay_alu instid0(VALU_DEP_3) | instskip(NEXT) | instid1(VALU_DEP_1)
	v_clz_i32_u32_e32 v0, v86
	v_min_u32_e32 v0, 32, v0
	s_delay_alu instid0(VALU_DEP_1) | instskip(SKIP_1) | instid1(VALU_DEP_2)
	v_subrev_nc_u32_e32 v1, 28, v0
	v_sub_nc_u32_e32 v0, 29, v0
	v_lshlrev_b64 v[11:12], v1, v[86:87]
	s_delay_alu instid0(VALU_DEP_1)
	v_and_b32_e32 v86, 7, v11
; %bb.975:                              ;   in Loop: Header=BB253_10 Depth=1
	s_or_b32 exec_lo, exec_lo, s24
	v_lshlrev_b32_e32 v1, 24, v10
	s_delay_alu instid0(VALU_DEP_2) | instskip(SKIP_1) | instid1(VALU_DEP_3)
	v_lshlrev_b32_e32 v11, 20, v86
	v_lshl_add_u32 v0, v0, 23, 0x3c000000
	v_and_b32_e32 v1, 0x80000000, v1
	s_delay_alu instid0(VALU_DEP_1) | instskip(NEXT) | instid1(VALU_DEP_1)
	v_or3_b32 v86, v11, v1, v0
	v_dual_mov_b32 v70, v86 :: v_dual_mov_b32 v71, v87
.LBB253_976:                            ;   in Loop: Header=BB253_10 Depth=1
	s_or_b32 exec_lo, exec_lo, s23
.LBB253_977:                            ;   in Loop: Header=BB253_10 Depth=1
	s_delay_alu instid0(SALU_CYCLE_1)
	s_or_b32 exec_lo, exec_lo, s18
.LBB253_978:                            ;   in Loop: Header=BB253_10 Depth=1
	s_delay_alu instid0(SALU_CYCLE_1) | instskip(SKIP_2) | instid1(VALU_DEP_1)
	s_or_b32 exec_lo, exec_lo, s3
	v_lshrrev_b16 v0, 8, v10
	s_mov_b32 s3, exec_lo
	v_cmpx_ne_u16_e32 0, v0
	s_cbranch_execz .LBB253_986
; %bb.979:                              ;   in Loop: Header=BB253_10 Depth=1
	v_dual_mov_b32 v187, s9 :: v_dual_mov_b32 v186, s8
	s_mov_b32 s23, exec_lo
	v_cmpx_ne_u16_e32 0x80, v0
	s_cbranch_execz .LBB253_985
; %bb.980:                              ;   in Loop: Header=BB253_10 Depth=1
	s_mov_b32 s18, s8
	v_dual_mov_b32 v187, s19 :: v_dual_and_b32 v0, 0xffff, v0
	v_mov_b32_e32 v186, s18
	s_mov_b32 s18, exec_lo
	s_delay_alu instid0(VALU_DEP_2) | instskip(NEXT) | instid1(VALU_DEP_1)
	v_and_b32_e32 v1, 0x7f, v0
	v_cmpx_ne_u32_e32 0x7f, v1
	s_cbranch_execz .LBB253_984
; %bb.981:                              ;   in Loop: Header=BB253_10 Depth=1
	v_and_b32_e32 v86, 7, v0
	v_lshrrev_b32_e32 v0, 3, v1
	s_mov_b32 s24, exec_lo
	v_cmpx_gt_u32_e32 8, v1
; %bb.982:                              ;   in Loop: Header=BB253_10 Depth=1
	s_delay_alu instid0(VALU_DEP_3) | instskip(NEXT) | instid1(VALU_DEP_1)
	v_clz_i32_u32_e32 v0, v86
	v_min_u32_e32 v0, 32, v0
	s_delay_alu instid0(VALU_DEP_1) | instskip(SKIP_1) | instid1(VALU_DEP_2)
	v_subrev_nc_u32_e32 v1, 28, v0
	v_sub_nc_u32_e32 v0, 29, v0
	v_lshlrev_b64 v[11:12], v1, v[86:87]
	s_delay_alu instid0(VALU_DEP_1)
	v_and_b32_e32 v86, 7, v11
; %bb.983:                              ;   in Loop: Header=BB253_10 Depth=1
	s_or_b32 exec_lo, exec_lo, s24
	v_dual_mov_b32 v186, v87 :: v_dual_lshlrev_b32 v1, 16, v10
	s_delay_alu instid0(VALU_DEP_2) | instskip(SKIP_1) | instid1(VALU_DEP_3)
	v_lshlrev_b32_e32 v10, 20, v86
	v_lshl_add_u32 v0, v0, 23, 0x3c000000
	v_and_b32_e32 v1, 0x80000000, v1
	s_delay_alu instid0(VALU_DEP_1)
	v_or3_b32 v187, v10, v1, v0
.LBB253_984:                            ;   in Loop: Header=BB253_10 Depth=1
	s_or_b32 exec_lo, exec_lo, s18
.LBB253_985:                            ;   in Loop: Header=BB253_10 Depth=1
	s_delay_alu instid0(SALU_CYCLE_1)
	s_or_b32 exec_lo, exec_lo, s23
.LBB253_986:                            ;   in Loop: Header=BB253_10 Depth=1
	s_delay_alu instid0(SALU_CYCLE_1)
	s_or_b32 exec_lo, exec_lo, s3
	flat_load_u16 v0, v[156:157] offset:3844
	v_mov_b32_e32 v190, 0
	v_mov_b32_e32 v191, 0
	s_mov_b32 s3, exec_lo
	s_waitcnt vmcnt(0) lgkmcnt(0)
	v_and_b32_e32 v10, 0xffff, v0
	v_dual_mov_b32 v82, v190 :: v_dual_and_b32 v1, 0xff, v0
	v_mov_b32_e32 v83, v191
	s_delay_alu instid0(VALU_DEP_2)
	v_cmpx_ne_u16_e32 0, v1
	s_cbranch_execz .LBB253_994
; %bb.987:                              ;   in Loop: Header=BB253_10 Depth=1
	v_bfrev_b32_e32 v82, 1
	v_dual_mov_b32 v83, 0 :: v_dual_and_b32 v0, 0xff, v10
	s_mov_b32 s18, exec_lo
	s_delay_alu instid0(VALU_DEP_1)
	v_cmpx_ne_u16_e32 0x80, v0
	s_cbranch_execz .LBB253_993
; %bb.988:                              ;   in Loop: Header=BB253_10 Depth=1
	v_mov_b32_e32 v82, 0x7f800001
	v_and_b32_e32 v1, 0x7f, v10
	v_mov_b32_e32 v83, 0
	s_mov_b32 s23, exec_lo
	s_delay_alu instid0(VALU_DEP_2)
	v_cmpx_ne_u32_e32 0x7f, v1
	s_cbranch_execz .LBB253_992
; %bb.989:                              ;   in Loop: Header=BB253_10 Depth=1
	v_and_b32_e32 v86, 7, v10
	v_lshrrev_b32_e32 v0, 3, v1
	s_mov_b32 s24, exec_lo
	v_cmpx_gt_u32_e32 8, v1
; %bb.990:                              ;   in Loop: Header=BB253_10 Depth=1
	s_delay_alu instid0(VALU_DEP_3) | instskip(NEXT) | instid1(VALU_DEP_1)
	v_clz_i32_u32_e32 v0, v86
	v_min_u32_e32 v0, 32, v0
	s_delay_alu instid0(VALU_DEP_1) | instskip(SKIP_1) | instid1(VALU_DEP_2)
	v_subrev_nc_u32_e32 v1, 28, v0
	v_sub_nc_u32_e32 v0, 29, v0
	v_lshlrev_b64 v[11:12], v1, v[86:87]
	s_delay_alu instid0(VALU_DEP_1)
	v_and_b32_e32 v86, 7, v11
; %bb.991:                              ;   in Loop: Header=BB253_10 Depth=1
	s_or_b32 exec_lo, exec_lo, s24
	v_lshlrev_b32_e32 v1, 24, v10
	s_delay_alu instid0(VALU_DEP_2) | instskip(SKIP_1) | instid1(VALU_DEP_3)
	v_lshlrev_b32_e32 v11, 20, v86
	v_lshl_add_u32 v0, v0, 23, 0x3c000000
	v_and_b32_e32 v1, 0x80000000, v1
	s_delay_alu instid0(VALU_DEP_1) | instskip(NEXT) | instid1(VALU_DEP_1)
	v_or3_b32 v86, v11, v1, v0
	v_dual_mov_b32 v82, v86 :: v_dual_mov_b32 v83, v87
.LBB253_992:                            ;   in Loop: Header=BB253_10 Depth=1
	s_or_b32 exec_lo, exec_lo, s23
.LBB253_993:                            ;   in Loop: Header=BB253_10 Depth=1
	s_delay_alu instid0(SALU_CYCLE_1)
	s_or_b32 exec_lo, exec_lo, s18
.LBB253_994:                            ;   in Loop: Header=BB253_10 Depth=1
	s_delay_alu instid0(SALU_CYCLE_1) | instskip(SKIP_2) | instid1(VALU_DEP_1)
	s_or_b32 exec_lo, exec_lo, s3
	v_lshrrev_b16 v0, 8, v10
	s_mov_b32 s3, exec_lo
	v_cmpx_ne_u16_e32 0, v0
	s_cbranch_execz .LBB253_1002
; %bb.995:                              ;   in Loop: Header=BB253_10 Depth=1
	v_dual_mov_b32 v191, s9 :: v_dual_mov_b32 v190, s8
	s_mov_b32 s23, exec_lo
	v_cmpx_ne_u16_e32 0x80, v0
	s_cbranch_execz .LBB253_1001
; %bb.996:                              ;   in Loop: Header=BB253_10 Depth=1
	s_mov_b32 s18, s8
	v_dual_mov_b32 v191, s19 :: v_dual_and_b32 v0, 0xffff, v0
	v_mov_b32_e32 v190, s18
	s_mov_b32 s18, exec_lo
	s_delay_alu instid0(VALU_DEP_2) | instskip(NEXT) | instid1(VALU_DEP_1)
	v_and_b32_e32 v1, 0x7f, v0
	v_cmpx_ne_u32_e32 0x7f, v1
	s_cbranch_execz .LBB253_1000
; %bb.997:                              ;   in Loop: Header=BB253_10 Depth=1
	v_and_b32_e32 v86, 7, v0
	v_lshrrev_b32_e32 v0, 3, v1
	s_mov_b32 s24, exec_lo
	v_cmpx_gt_u32_e32 8, v1
; %bb.998:                              ;   in Loop: Header=BB253_10 Depth=1
	s_delay_alu instid0(VALU_DEP_3) | instskip(NEXT) | instid1(VALU_DEP_1)
	v_clz_i32_u32_e32 v0, v86
	v_min_u32_e32 v0, 32, v0
	s_delay_alu instid0(VALU_DEP_1) | instskip(SKIP_1) | instid1(VALU_DEP_2)
	v_subrev_nc_u32_e32 v1, 28, v0
	v_sub_nc_u32_e32 v0, 29, v0
	v_lshlrev_b64 v[11:12], v1, v[86:87]
	s_delay_alu instid0(VALU_DEP_1)
	v_and_b32_e32 v86, 7, v11
; %bb.999:                              ;   in Loop: Header=BB253_10 Depth=1
	s_or_b32 exec_lo, exec_lo, s24
	v_dual_mov_b32 v190, v87 :: v_dual_lshlrev_b32 v1, 16, v10
	s_delay_alu instid0(VALU_DEP_2) | instskip(SKIP_1) | instid1(VALU_DEP_3)
	v_lshlrev_b32_e32 v10, 20, v86
	v_lshl_add_u32 v0, v0, 23, 0x3c000000
	v_and_b32_e32 v1, 0x80000000, v1
	s_delay_alu instid0(VALU_DEP_1)
	v_or3_b32 v191, v10, v1, v0
.LBB253_1000:                           ;   in Loop: Header=BB253_10 Depth=1
	s_or_b32 exec_lo, exec_lo, s18
.LBB253_1001:                           ;   in Loop: Header=BB253_10 Depth=1
	s_delay_alu instid0(SALU_CYCLE_1)
	s_or_b32 exec_lo, exec_lo, s23
.LBB253_1002:                           ;   in Loop: Header=BB253_10 Depth=1
	s_delay_alu instid0(SALU_CYCLE_1) | instskip(SKIP_1) | instid1(VALU_DEP_1)
	s_or_b32 exec_lo, exec_lo, s3
	v_add_co_u32 v10, s2, 0xf00, v156
	v_add_co_ci_u32_e64 v11, s2, 0, v157, s2
	s_mov_b32 s3, exec_lo
	flat_load_u16 v0, v[10:11] offset:8
	v_mov_b32_e32 v12, 0
	s_waitcnt vmcnt(0) lgkmcnt(0)
	v_dual_mov_b32 v13, 0 :: v_dual_and_b32 v156, 0xffff, v0
	v_and_b32_e32 v1, 0xff, v0
	s_delay_alu instid0(VALU_DEP_2) | instskip(NEXT) | instid1(VALU_DEP_2)
	v_dual_mov_b32 v111, v13 :: v_dual_mov_b32 v110, v12
	v_cmpx_ne_u16_e32 0, v1
	s_cbranch_execz .LBB253_1010
; %bb.1003:                             ;   in Loop: Header=BB253_10 Depth=1
	v_bfrev_b32_e32 v110, 1
	v_dual_mov_b32 v111, 0 :: v_dual_and_b32 v0, 0xff, v156
	s_mov_b32 s18, exec_lo
	s_delay_alu instid0(VALU_DEP_1)
	v_cmpx_ne_u16_e32 0x80, v0
	s_cbranch_execz .LBB253_1009
; %bb.1004:                             ;   in Loop: Header=BB253_10 Depth=1
	v_mov_b32_e32 v110, 0x7f800001
	v_and_b32_e32 v1, 0x7f, v156
	v_mov_b32_e32 v111, 0
	s_mov_b32 s23, exec_lo
	s_delay_alu instid0(VALU_DEP_2)
	v_cmpx_ne_u32_e32 0x7f, v1
	s_cbranch_execz .LBB253_1008
; %bb.1005:                             ;   in Loop: Header=BB253_10 Depth=1
	v_and_b32_e32 v86, 7, v156
	v_lshrrev_b32_e32 v0, 3, v1
	s_mov_b32 s24, exec_lo
	v_cmpx_gt_u32_e32 8, v1
; %bb.1006:                             ;   in Loop: Header=BB253_10 Depth=1
	s_delay_alu instid0(VALU_DEP_3) | instskip(NEXT) | instid1(VALU_DEP_1)
	v_clz_i32_u32_e32 v0, v86
	v_min_u32_e32 v0, 32, v0
	s_delay_alu instid0(VALU_DEP_1) | instskip(SKIP_1) | instid1(VALU_DEP_2)
	v_subrev_nc_u32_e32 v1, 28, v0
	v_sub_nc_u32_e32 v0, 29, v0
	v_lshlrev_b64 v[110:111], v1, v[86:87]
	s_delay_alu instid0(VALU_DEP_1)
	v_and_b32_e32 v86, 7, v110
; %bb.1007:                             ;   in Loop: Header=BB253_10 Depth=1
	s_or_b32 exec_lo, exec_lo, s24
	v_lshlrev_b32_e32 v1, 24, v156
	s_delay_alu instid0(VALU_DEP_2) | instskip(SKIP_1) | instid1(VALU_DEP_3)
	v_lshlrev_b32_e32 v86, 20, v86
	v_lshl_add_u32 v0, v0, 23, 0x3c000000
	v_and_b32_e32 v1, 0x80000000, v1
	s_delay_alu instid0(VALU_DEP_1) | instskip(NEXT) | instid1(VALU_DEP_1)
	v_or3_b32 v86, v86, v1, v0
	v_dual_mov_b32 v111, v87 :: v_dual_mov_b32 v110, v86
.LBB253_1008:                           ;   in Loop: Header=BB253_10 Depth=1
	s_or_b32 exec_lo, exec_lo, s23
.LBB253_1009:                           ;   in Loop: Header=BB253_10 Depth=1
	s_delay_alu instid0(SALU_CYCLE_1)
	s_or_b32 exec_lo, exec_lo, s18
.LBB253_1010:                           ;   in Loop: Header=BB253_10 Depth=1
	s_delay_alu instid0(SALU_CYCLE_1) | instskip(SKIP_2) | instid1(VALU_DEP_1)
	s_or_b32 exec_lo, exec_lo, s3
	v_lshrrev_b16 v0, 8, v156
	s_mov_b32 s3, exec_lo
	v_cmpx_ne_u16_e32 0, v0
	s_cbranch_execz .LBB253_1018
; %bb.1011:                             ;   in Loop: Header=BB253_10 Depth=1
	v_dual_mov_b32 v13, s9 :: v_dual_mov_b32 v12, s8
	s_mov_b32 s23, exec_lo
	v_cmpx_ne_u16_e32 0x80, v0
	s_cbranch_execz .LBB253_1017
; %bb.1012:                             ;   in Loop: Header=BB253_10 Depth=1
	s_mov_b32 s18, s8
	v_and_b32_e32 v0, 0xffff, v0
	v_dual_mov_b32 v12, s18 :: v_dual_mov_b32 v13, s19
	s_mov_b32 s18, exec_lo
	s_delay_alu instid0(VALU_DEP_2) | instskip(NEXT) | instid1(VALU_DEP_1)
	v_and_b32_e32 v1, 0x7f, v0
	v_cmpx_ne_u32_e32 0x7f, v1
	s_cbranch_execz .LBB253_1016
; %bb.1013:                             ;   in Loop: Header=BB253_10 Depth=1
	v_and_b32_e32 v86, 7, v0
	v_lshrrev_b32_e32 v0, 3, v1
	s_mov_b32 s24, exec_lo
	v_cmpx_gt_u32_e32 8, v1
; %bb.1014:                             ;   in Loop: Header=BB253_10 Depth=1
	s_delay_alu instid0(VALU_DEP_3) | instskip(NEXT) | instid1(VALU_DEP_1)
	v_clz_i32_u32_e32 v0, v86
	v_min_u32_e32 v0, 32, v0
	s_delay_alu instid0(VALU_DEP_1) | instskip(SKIP_1) | instid1(VALU_DEP_2)
	v_subrev_nc_u32_e32 v1, 28, v0
	v_sub_nc_u32_e32 v0, 29, v0
	v_lshlrev_b64 v[12:13], v1, v[86:87]
	s_delay_alu instid0(VALU_DEP_1)
	v_and_b32_e32 v86, 7, v12
; %bb.1015:                             ;   in Loop: Header=BB253_10 Depth=1
	s_or_b32 exec_lo, exec_lo, s24
	v_lshlrev_b32_e32 v1, 16, v156
	s_delay_alu instid0(VALU_DEP_2) | instskip(SKIP_1) | instid1(VALU_DEP_3)
	v_lshlrev_b32_e32 v12, 20, v86
	v_lshl_add_u32 v0, v0, 23, 0x3c000000
	v_and_b32_e32 v1, 0x80000000, v1
	s_delay_alu instid0(VALU_DEP_1)
	v_or3_b32 v13, v12, v1, v0
	v_mov_b32_e32 v12, v87
.LBB253_1016:                           ;   in Loop: Header=BB253_10 Depth=1
	s_or_b32 exec_lo, exec_lo, s18
.LBB253_1017:                           ;   in Loop: Header=BB253_10 Depth=1
	s_delay_alu instid0(SALU_CYCLE_1)
	s_or_b32 exec_lo, exec_lo, s23
.LBB253_1018:                           ;   in Loop: Header=BB253_10 Depth=1
	s_delay_alu instid0(SALU_CYCLE_1)
	s_or_b32 exec_lo, exec_lo, s3
	flat_load_u16 v0, v[10:11] offset:12
	v_mov_b32_e32 v156, 0
	v_mov_b32_e32 v157, 0
	s_mov_b32 s3, exec_lo
	s_waitcnt vmcnt(0) lgkmcnt(0)
	v_and_b32_e32 v1, 0xff, v0
	v_and_b32_e32 v0, 0xffff, v0
	v_dual_mov_b32 v10, v156 :: v_dual_mov_b32 v11, v157
	s_delay_alu instid0(VALU_DEP_3)
	v_cmpx_ne_u16_e32 0, v1
	s_cbranch_execz .LBB253_1026
; %bb.1019:                             ;   in Loop: Header=BB253_10 Depth=1
	v_bfrev_b32_e32 v10, 1
	v_and_b32_e32 v1, 0xff, v0
	v_mov_b32_e32 v11, 0
	s_mov_b32 s18, exec_lo
	s_delay_alu instid0(VALU_DEP_2)
	v_cmpx_ne_u16_e32 0x80, v1
	s_cbranch_execz .LBB253_1025
; %bb.1020:                             ;   in Loop: Header=BB253_10 Depth=1
	v_mov_b32_e32 v10, 0x7f800001
	v_and_b32_e32 v99, 0x7f, v0
	v_mov_b32_e32 v11, 0
	s_mov_b32 s23, exec_lo
	s_delay_alu instid0(VALU_DEP_2)
	v_cmpx_ne_u32_e32 0x7f, v99
	s_cbranch_execz .LBB253_1024
; %bb.1021:                             ;   in Loop: Header=BB253_10 Depth=1
	v_and_b32_e32 v86, 7, v0
	v_lshrrev_b32_e32 v1, 3, v99
	s_mov_b32 s24, exec_lo
	v_cmpx_gt_u32_e32 8, v99
; %bb.1022:                             ;   in Loop: Header=BB253_10 Depth=1
	s_delay_alu instid0(VALU_DEP_3) | instskip(NEXT) | instid1(VALU_DEP_1)
	v_clz_i32_u32_e32 v1, v86
	v_min_u32_e32 v1, 32, v1
	s_delay_alu instid0(VALU_DEP_1) | instskip(SKIP_1) | instid1(VALU_DEP_2)
	v_subrev_nc_u32_e32 v10, 28, v1
	v_sub_nc_u32_e32 v1, 29, v1
	v_lshlrev_b64 v[10:11], v10, v[86:87]
	s_delay_alu instid0(VALU_DEP_1)
	v_and_b32_e32 v86, 7, v10
; %bb.1023:                             ;   in Loop: Header=BB253_10 Depth=1
	s_or_b32 exec_lo, exec_lo, s24
	v_lshlrev_b32_e32 v10, 24, v0
	s_delay_alu instid0(VALU_DEP_2) | instskip(SKIP_1) | instid1(VALU_DEP_3)
	v_lshlrev_b32_e32 v11, 20, v86
	v_lshl_add_u32 v1, v1, 23, 0x3c000000
	v_and_b32_e32 v10, 0x80000000, v10
	s_delay_alu instid0(VALU_DEP_1) | instskip(NEXT) | instid1(VALU_DEP_1)
	v_or3_b32 v86, v11, v10, v1
	v_dual_mov_b32 v10, v86 :: v_dual_mov_b32 v11, v87
.LBB253_1024:                           ;   in Loop: Header=BB253_10 Depth=1
	s_or_b32 exec_lo, exec_lo, s23
.LBB253_1025:                           ;   in Loop: Header=BB253_10 Depth=1
	s_delay_alu instid0(SALU_CYCLE_1)
	s_or_b32 exec_lo, exec_lo, s18
.LBB253_1026:                           ;   in Loop: Header=BB253_10 Depth=1
	s_delay_alu instid0(SALU_CYCLE_1) | instskip(SKIP_2) | instid1(VALU_DEP_1)
	s_or_b32 exec_lo, exec_lo, s3
	v_lshrrev_b16 v1, 8, v0
	s_mov_b32 s3, exec_lo
	v_cmpx_ne_u16_e32 0, v1
	s_cbranch_execz .LBB253_1034
; %bb.1027:                             ;   in Loop: Header=BB253_10 Depth=1
	v_dual_mov_b32 v157, s9 :: v_dual_mov_b32 v156, s8
	s_mov_b32 s23, exec_lo
	v_cmpx_ne_u16_e32 0x80, v1
	s_cbranch_execz .LBB253_1033
; %bb.1028:                             ;   in Loop: Header=BB253_10 Depth=1
	s_mov_b32 s18, s8
	v_and_b32_e32 v1, 0xffff, v1
	v_dual_mov_b32 v157, s19 :: v_dual_mov_b32 v156, s18
	s_mov_b32 s18, exec_lo
	s_delay_alu instid0(VALU_DEP_2) | instskip(NEXT) | instid1(VALU_DEP_1)
	v_and_b32_e32 v99, 0x7f, v1
	v_cmpx_ne_u32_e32 0x7f, v99
	s_cbranch_execz .LBB253_1032
; %bb.1029:                             ;   in Loop: Header=BB253_10 Depth=1
	v_and_b32_e32 v86, 7, v1
	v_lshrrev_b32_e32 v1, 3, v99
	s_mov_b32 s24, exec_lo
	v_cmpx_gt_u32_e32 8, v99
; %bb.1030:                             ;   in Loop: Header=BB253_10 Depth=1
	s_delay_alu instid0(VALU_DEP_3) | instskip(NEXT) | instid1(VALU_DEP_1)
	v_clz_i32_u32_e32 v1, v86
	v_min_u32_e32 v1, 32, v1
	s_delay_alu instid0(VALU_DEP_1) | instskip(SKIP_1) | instid1(VALU_DEP_2)
	v_subrev_nc_u32_e32 v99, 28, v1
	v_sub_nc_u32_e32 v1, 29, v1
	v_lshlrev_b64 v[156:157], v99, v[86:87]
	s_delay_alu instid0(VALU_DEP_1)
	v_and_b32_e32 v86, 7, v156
; %bb.1031:                             ;   in Loop: Header=BB253_10 Depth=1
	s_or_b32 exec_lo, exec_lo, s24
	v_lshlrev_b32_e32 v0, 16, v0
	s_delay_alu instid0(VALU_DEP_2) | instskip(SKIP_2) | instid1(VALU_DEP_4)
	v_lshlrev_b32_e32 v86, 20, v86
	v_lshl_add_u32 v1, v1, 23, 0x3c000000
	v_mov_b32_e32 v156, v87
	v_and_b32_e32 v0, 0x80000000, v0
	s_delay_alu instid0(VALU_DEP_1)
	v_or3_b32 v157, v86, v0, v1
.LBB253_1032:                           ;   in Loop: Header=BB253_10 Depth=1
	s_or_b32 exec_lo, exec_lo, s18
.LBB253_1033:                           ;   in Loop: Header=BB253_10 Depth=1
	s_delay_alu instid0(SALU_CYCLE_1)
	s_or_b32 exec_lo, exec_lo, s23
.LBB253_1034:                           ;   in Loop: Header=BB253_10 Depth=1
	s_delay_alu instid0(SALU_CYCLE_1)
	s_or_b32 exec_lo, exec_lo, s3
	scratch_load_b64 v[0:1], off, s32 offset:616 ; 8-byte Folded Reload
	v_or_b32_e32 v113, v113, v115
	v_or_b32_e32 v112, v112, v114
	v_or_b32_e32 v101, v101, v103
	v_or_b32_e32 v100, v100, v102
	v_or_b32_e32 v117, v117, v119
	v_or_b32_e32 v116, v116, v118
	v_or_b32_e32 v129, v129, v131
	v_or_b32_e32 v128, v128, v130
	v_or_b32_e32 v133, v133, v135
	v_or_b32_e32 v132, v132, v134
	v_or_b32_e32 v145, v145, v147
	v_or_b32_e32 v144, v144, v146
	v_or_b32_e32 v149, v149, v151
	v_or_b32_e32 v148, v148, v150
	v_or_b32_e32 v161, v161, v163
	v_or_b32_e32 v160, v160, v162
	v_or_b32_e32 v165, v165, v167
	v_or_b32_e32 v164, v164, v166
	v_or_b32_e32 v177, v177, v179
	v_or_b32_e32 v176, v176, v178
	v_or_b32_e32 v181, v181, v183
	v_or_b32_e32 v180, v180, v182
	v_or_b32_e32 v45, v45, v47
	v_or_b32_e32 v44, v44, v46
	v_or_b32_e32 v41, v41, v43
	v_or_b32_e32 v40, v40, v42
	v_or_b32_e32 v21, v21, v25
	v_or_b32_e32 v20, v20, v24
	v_or_b32_e32 v24, v105, v107
	v_or_b32_e32 v25, v104, v106
	v_or_b32_e32 v30, v18, v30
	v_or_b32_e32 v18, v156, v10
	v_or_b32_e32 v19, v19, v31
	v_or_b32_e32 v31, v137, v39
	v_or_b32_e32 v39, v51, v159
	v_or_b32_e32 v51, v55, v171
	v_or_b32_e32 v55, v67, v175
	v_or_b32_e32 v67, v187, v71
	v_or_b32_e32 v71, v190, v82
	v_or_b32_e32 v93, v93, v95
	v_or_b32_e32 v92, v92, v94
	v_or_b32_e32 v13, v13, v111
	v_or_b32_e32 v56, v56, v58
	v_or_b32_e32 v57, v57, v59
	v_or_b32_e32 v60, v60, v62
	v_or_b32_e32 v61, v61, v63
	v_or_b32_e32 v72, v72, v74
	v_or_b32_e32 v73, v73, v75
	v_or_b32_e32 v76, v76, v78
	v_or_b32_e32 v77, v77, v79
	v_or_b32_e32 v88, v88, v90
	v_or_b32_e32 v89, v89, v91
	v_or_b32_e32 v126, v126, v138
	v_or_b32_e32 v35, v125, v35
	v_or_b32_e32 v125, v127, v139
	v_or_b32_e32 v34, v124, v34
	v_or_b32_e32 v124, v142, v154
	v_or_b32_e32 v111, v143, v155
	v_or_b32_e32 v9, v23, v9
	v_or_b32_e32 v23, v168, v172
	v_or_b32_e32 v8, v22, v8
	v_or_b32_e32 v22, v169, v173
	v_or_b32_e32 v4, v188, v4
	v_or_b32_e32 v5, v189, v5
	v_or_b32_e32 v12, v12, v110
	v_or_b32_e32 v110, v140, v152
	v_or_b32_e32 v86, v141, v153
	v_or_b32_e32 v99, v185, v109
	v_or_b32_e32 v38, v136, v38
	v_or_b32_e32 v50, v50, v158
	v_or_b32_e32 v54, v54, v170
	v_or_b32_e32 v66, v66, v174
	v_or_b32_e32 v70, v186, v70
	v_or_b32_e32 v11, v157, v11
	s_waitcnt vmcnt(0)
	v_or_b32_e32 v1, v97, v1
	v_or_b32_e32 v0, v96, v0
	scratch_load_b64 v[96:97], off, s32 offset:608 ; 8-byte Folded Reload
	v_mul_f32_e32 v0, v15, v0
	s_waitcnt vmcnt(0)
	v_or_b32_e32 v85, v85, v97
	v_or_b32_e32 v84, v84, v96
	scratch_load_b64 v[96:97], off, s32 offset:600 ; 8-byte Folded Reload
	s_waitcnt vmcnt(0)
	v_or_b32_e32 v81, v81, v97
	v_or_b32_e32 v80, v80, v96
	scratch_load_b64 v[96:97], off, s32 offset:592 ; 8-byte Folded Reload
	;; [unrolled: 4-line block ×10, first 2 shown]
	s_waitcnt vmcnt(0)
	v_or_b32_e32 v7, v7, v97
	v_or_b32_e32 v6, v6, v96
	s_clause 0x2
	scratch_load_b64 v[96:97], off, s32 offset:520
	scratch_load_b64 v[102:103], off, s32 offset:504
	;; [unrolled: 1-line block ×3, first 2 shown]
	v_mul_f32_e32 v6, v15, v6
	s_waitcnt vmcnt(2)
	v_or_b32_e32 v27, v27, v97
	v_or_b32_e32 v26, v26, v96
	s_waitcnt vmcnt(0)
	v_or_b32_e32 v96, v103, v115
	v_or_b32_e32 v97, v102, v114
	s_clause 0x1
	scratch_load_b64 v[114:115], off, s32 offset:488
	scratch_load_b64 v[118:119], off, s32 offset:496
	v_mul_f32_e32 v26, v15, v26
	s_waitcnt vmcnt(0)
	v_or_b32_e32 v102, v115, v119
	v_or_b32_e32 v103, v114, v118
	s_clause 0x1
	scratch_load_b64 v[118:119], off, s32 offset:472
	scratch_load_b64 v[130:131], off, s32 offset:480
	s_waitcnt vmcnt(0)
	v_or_b32_e32 v114, v119, v131
	v_or_b32_e32 v115, v118, v130
	s_clause 0x1
	scratch_load_b64 v[130:131], off, s32 offset:456
	scratch_load_b64 v[134:135], off, s32 offset:464
	;; [unrolled: 6-line block ×9, first 2 shown]
	scratch_load_b64 v[42:43], off, s32 offset:328
	scratch_load_b64 v[46:47], off, s32 offset:336
	scratch_load_b128 v[104:107], off, s32 offset:664
	s_waitcnt vmcnt(3)
	v_or_b32_e32 v182, v178, v182
	v_or_b32_e32 v178, v179, v183
	s_waitcnt vmcnt(1)
	v_or_b32_e32 v179, v43, v47
	v_or_b32_e32 v183, v42, v46
	;; [unrolled: 1-line block ×3, first 2 shown]
	v_mul_f32_e32 v3, v15, v182
	v_or_b32_e32 v42, v184, v108
	v_mul_f32_e32 v82, v15, v179
	v_mul_f32_e32 v10, v15, v183
	v_or_b32_e32 v46, v2, v120
	s_waitcnt vmcnt(0)
	v_mul_f32_e32 v3, v106, v3
	v_or_b32_e32 v2, v191, v83
	s_delay_alu instid0(VALU_DEP_2) | instskip(SKIP_1) | instid1(VALU_DEP_1)
	v_fmac_f32_e32 v3, v104, v10
	v_mul_f32_e32 v10, v15, v178
	v_mul_f32_e32 v10, v107, v10
	s_delay_alu instid0(VALU_DEP_1) | instskip(SKIP_3) | instid1(VALU_DEP_1)
	v_fmac_f32_e32 v10, v105, v82
	scratch_load_b128 v[104:107], off, s32 offset:680 ; 16-byte Folded Reload
	v_mul_f32_e32 v82, v15, v167
	s_waitcnt vmcnt(0)
	v_fmac_f32_e32 v3, v104, v82
	v_mul_f32_e32 v82, v15, v166
	s_delay_alu instid0(VALU_DEP_1) | instskip(SKIP_1) | instid1(VALU_DEP_1)
	v_fmac_f32_e32 v10, v105, v82
	v_mul_f32_e32 v82, v15, v163
	v_fmac_f32_e32 v3, v106, v82
	v_mul_f32_e32 v82, v15, v162
	s_delay_alu instid0(VALU_DEP_1) | instskip(SKIP_3) | instid1(VALU_DEP_1)
	v_fmac_f32_e32 v10, v107, v82
	scratch_load_b128 v[104:107], off, s32 offset:696 ; 16-byte Folded Reload
	v_mul_f32_e32 v82, v15, v151
	s_waitcnt vmcnt(0)
	v_fmac_f32_e32 v3, v104, v82
	v_mul_f32_e32 v82, v15, v150
	s_delay_alu instid0(VALU_DEP_1) | instskip(SKIP_1) | instid1(VALU_DEP_1)
	v_fmac_f32_e32 v10, v105, v82
	v_mul_f32_e32 v82, v15, v147
	v_fmac_f32_e32 v3, v106, v82
	;; [unrolled: 12-line block ×4, first 2 shown]
	v_mul_f32_e32 v82, v15, v114
	s_delay_alu instid0(VALU_DEP_1)
	v_fmac_f32_e32 v10, v107, v82
	v_mul_f32_e32 v82, v15, v103
	scratch_load_b128 v[103:106], off, s32 offset:744 ; 16-byte Folded Reload
	s_waitcnt vmcnt(0)
	v_fmac_f32_e32 v3, v103, v82
	v_mul_f32_e32 v82, v15, v102
	s_delay_alu instid0(VALU_DEP_1) | instskip(SKIP_1) | instid1(VALU_DEP_1)
	v_fmac_f32_e32 v10, v104, v82
	v_mul_f32_e32 v82, v15, v97
	v_dual_fmac_f32 v3, v105, v82 :: v_dual_mul_f32 v82, v15, v96
	scratch_load_b128 v[94:97], off, s32 offset:760 ; 16-byte Folded Reload
	v_fmac_f32_e32 v10, v106, v82
	s_waitcnt vmcnt(0)
	v_dual_fmac_f32 v3, v94, v26 :: v_dual_mul_f32 v26, v15, v27
	s_delay_alu instid0(VALU_DEP_1) | instskip(NEXT) | instid1(VALU_DEP_2)
	v_fmac_f32_e32 v3, v96, v6
	v_fmac_f32_e32 v10, v95, v26
	v_mul_f32_e32 v6, v15, v7
	s_delay_alu instid0(VALU_DEP_1) | instskip(SKIP_3) | instid1(VALU_DEP_1)
	v_fmac_f32_e32 v10, v97, v6
	scratch_load_b128 v[94:97], off, s32 offset:776 ; 16-byte Folded Reload
	v_mul_f32_e32 v6, v15, v16
	s_waitcnt vmcnt(0)
	v_dual_fmac_f32 v3, v94, v6 :: v_dual_mul_f32 v6, v15, v17
	s_delay_alu instid0(VALU_DEP_1) | instskip(SKIP_1) | instid1(VALU_DEP_1)
	v_fmac_f32_e32 v10, v95, v6
	v_mul_f32_e32 v6, v15, v28
	v_dual_fmac_f32 v3, v96, v6 :: v_dual_mul_f32 v6, v15, v29
	scratch_load_b128 v[26:29], off, s32 offset:792 ; 16-byte Folded Reload
	v_fmac_f32_e32 v10, v97, v6
	v_mul_f32_e32 v6, v15, v32
	s_waitcnt vmcnt(0)
	s_delay_alu instid0(VALU_DEP_1) | instskip(NEXT) | instid1(VALU_DEP_1)
	v_dual_fmac_f32 v3, v26, v6 :: v_dual_mul_f32 v6, v15, v33
	v_fmac_f32_e32 v10, v27, v6
	v_mul_f32_e32 v6, v15, v36
	s_delay_alu instid0(VALU_DEP_1) | instskip(NEXT) | instid1(VALU_DEP_1)
	v_dual_fmac_f32 v3, v28, v6 :: v_dual_mul_f32 v6, v15, v37
	v_fmac_f32_e32 v10, v29, v6
	scratch_load_b128 v[26:29], off, s32 offset:808 ; 16-byte Folded Reload
	v_mul_f32_e32 v6, v15, v48
	s_waitcnt vmcnt(0)
	s_delay_alu instid0(VALU_DEP_1) | instskip(NEXT) | instid1(VALU_DEP_1)
	v_dual_fmac_f32 v3, v26, v6 :: v_dual_mul_f32 v6, v15, v49
	v_fmac_f32_e32 v10, v27, v6
	v_mul_f32_e32 v6, v15, v52
	s_delay_alu instid0(VALU_DEP_1) | instskip(NEXT) | instid1(VALU_DEP_1)
	v_dual_fmac_f32 v3, v28, v6 :: v_dual_mul_f32 v6, v15, v53
	v_fmac_f32_e32 v10, v29, v6
	scratch_load_b128 v[26:29], off, s32 offset:824 ; 16-byte Folded Reload
	;; [unrolled: 10-line block ×4, first 2 shown]
	s_waitcnt vmcnt(0)
	v_dual_fmac_f32 v3, v26, v0 :: v_dual_mul_f32 v0, v15, v1
	v_mul_f32_e32 v1, v15, v13
	s_delay_alu instid0(VALU_DEP_2) | instskip(SKIP_1) | instid1(VALU_DEP_1)
	v_fmac_f32_e32 v10, v27, v0
	v_mul_f32_e32 v0, v15, v100
	v_dual_fmac_f32 v3, v28, v0 :: v_dual_mul_f32 v0, v15, v101
	s_delay_alu instid0(VALU_DEP_1) | instskip(SKIP_3) | instid1(VALU_DEP_1)
	v_fmac_f32_e32 v10, v29, v0
	scratch_load_b128 v[26:29], off, s32 offset:876 ; 16-byte Folded Reload
	v_mul_f32_e32 v0, v15, v112
	s_waitcnt vmcnt(0)
	v_dual_fmac_f32 v3, v26, v0 :: v_dual_mul_f32 v0, v15, v113
	s_delay_alu instid0(VALU_DEP_1) | instskip(SKIP_1) | instid1(VALU_DEP_1)
	v_fmac_f32_e32 v10, v27, v0
	v_mul_f32_e32 v0, v15, v116
	v_dual_fmac_f32 v3, v28, v0 :: v_dual_mul_f32 v0, v15, v117
	s_delay_alu instid0(VALU_DEP_1) | instskip(SKIP_3) | instid1(VALU_DEP_1)
	v_fmac_f32_e32 v10, v29, v0
	scratch_load_b128 v[26:29], off, s32 offset:892 ; 16-byte Folded Reload
	v_mul_f32_e32 v0, v15, v128
	s_waitcnt vmcnt(0)
	v_dual_fmac_f32 v3, v26, v0 :: v_dual_mul_f32 v0, v15, v129
	s_delay_alu instid0(VALU_DEP_1) | instskip(SKIP_1) | instid1(VALU_DEP_1)
	;; [unrolled: 10-line block ×9, first 2 shown]
	v_fmac_f32_e32 v10, v27, v0
	v_mul_f32_e32 v0, v15, v92
	v_dual_fmac_f32 v3, v28, v0 :: v_dual_mul_f32 v0, v15, v93
	s_delay_alu instid0(VALU_DEP_1)
	v_fmac_f32_e32 v10, v29, v0
	v_mul_f32_e32 v0, v15, v25
	scratch_load_b128 v[25:28], off, s32 offset:1020 ; 16-byte Folded Reload
	s_waitcnt vmcnt(0)
	v_fmac_f32_e32 v3, v25, v0
	v_mul_f32_e32 v0, v15, v24
	s_delay_alu instid0(VALU_DEP_1) | instskip(SKIP_1) | instid1(VALU_DEP_1)
	v_fmac_f32_e32 v10, v26, v0
	v_mul_f32_e32 v0, v15, v20
	v_fmac_f32_e32 v3, v27, v0
	scratch_load_b128 v[24:27], off, s32 offset:1036 ; 16-byte Folded Reload
	v_mul_f32_e32 v0, v15, v21
	s_delay_alu instid0(VALU_DEP_1) | instskip(SKIP_2) | instid1(VALU_DEP_1)
	v_fmac_f32_e32 v10, v28, v0
	v_mul_f32_e32 v0, v15, v126
	s_waitcnt vmcnt(0)
	v_dual_fmac_f32 v3, v24, v0 :: v_dual_mul_f32 v0, v15, v125
	s_delay_alu instid0(VALU_DEP_1) | instskip(SKIP_1) | instid1(VALU_DEP_1)
	v_fmac_f32_e32 v10, v25, v0
	v_mul_f32_e32 v0, v15, v124
	v_dual_fmac_f32 v3, v26, v0 :: v_dual_mul_f32 v0, v15, v111
	s_delay_alu instid0(VALU_DEP_1)
	v_fmac_f32_e32 v10, v27, v0
	v_mul_f32_e32 v0, v15, v23
	scratch_load_b128 v[23:26], off, s32 offset:1052 ; 16-byte Folded Reload
	s_waitcnt vmcnt(0)
	v_fmac_f32_e32 v3, v23, v0
	v_mul_f32_e32 v0, v15, v22
	s_delay_alu instid0(VALU_DEP_1) | instskip(SKIP_1) | instid1(VALU_DEP_1)
	v_fmac_f32_e32 v10, v24, v0
	v_mul_f32_e32 v0, v15, v4
	v_dual_fmac_f32 v3, v25, v0 :: v_dual_mul_f32 v0, v15, v5
	scratch_load_b128 v[4:7], off, s32 offset:1068 ; 16-byte Folded Reload
	v_fmac_f32_e32 v10, v26, v0
	v_mul_f32_e32 v0, v15, v8
	s_waitcnt vmcnt(0)
	s_delay_alu instid0(VALU_DEP_1) | instskip(NEXT) | instid1(VALU_DEP_1)
	v_dual_fmac_f32 v3, v4, v0 :: v_dual_mul_f32 v0, v15, v9
	v_fmac_f32_e32 v10, v5, v0
	v_mul_f32_e32 v0, v15, v34
	s_delay_alu instid0(VALU_DEP_1) | instskip(NEXT) | instid1(VALU_DEP_1)
	v_dual_fmac_f32 v3, v6, v0 :: v_dual_mul_f32 v0, v15, v35
	v_fmac_f32_e32 v10, v7, v0
	scratch_load_b128 v[4:7], off, s32 offset:1084 ; 16-byte Folded Reload
	v_mul_f32_e32 v0, v15, v110
	s_waitcnt vmcnt(0)
	s_delay_alu instid0(VALU_DEP_1) | instskip(NEXT) | instid1(VALU_DEP_1)
	v_dual_fmac_f32 v3, v4, v0 :: v_dual_mul_f32 v0, v15, v86
	v_fmac_f32_e32 v10, v5, v0
	v_mul_f32_e32 v0, v15, v42
	s_delay_alu instid0(VALU_DEP_1) | instskip(NEXT) | instid1(VALU_DEP_1)
	v_dual_fmac_f32 v3, v6, v0 :: v_dual_mul_f32 v0, v15, v99
	v_fmac_f32_e32 v10, v7, v0
	scratch_load_b128 v[4:7], off, s32 offset:1100 ; 16-byte Folded Reload
	;; [unrolled: 10-line block ×5, first 2 shown]
	v_mul_f32_e32 v0, v15, v70
	s_waitcnt vmcnt(0)
	s_delay_alu instid0(VALU_DEP_1) | instskip(SKIP_1) | instid1(VALU_DEP_2)
	v_dual_fmac_f32 v3, v4, v0 :: v_dual_mul_f32 v0, v15, v67
	v_mul_f32_e32 v4, v15, v18
	v_fmac_f32_e32 v10, v5, v0
	v_mul_f32_e32 v0, v15, v71
	s_delay_alu instid0(VALU_DEP_1) | instskip(NEXT) | instid1(VALU_DEP_1)
	v_dual_fmac_f32 v3, v6, v0 :: v_dual_mul_f32 v0, v15, v2
	v_fmac_f32_e32 v10, v7, v0
	scratch_load_b128 v[5:8], off, s32 offset:1164 ; 16-byte Folded Reload
	v_mul_f32_e32 v0, v15, v12
	s_waitcnt vmcnt(0)
	s_delay_alu instid0(VALU_DEP_1) | instskip(SKIP_3) | instid1(VALU_DEP_1)
	v_dual_mul_f32 v2, v15, v11 :: v_dual_fmac_f32 v3, v5, v0
	v_fmac_f32_e32 v10, v6, v1
	scratch_load_b32 v1, off, s32 offset:856 ; 4-byte Folded Reload
	v_dual_fmac_f32 v3, v7, v4 :: v_dual_fmac_f32 v10, v8, v2
	v_add_f32_e32 v0, v3, v10
	s_waitcnt vmcnt(0)
	ds_bpermute_b32 v1, v1, v0
	s_and_saveexec_b32 s3, vcc_lo
	s_cbranch_execz .LBB253_9
; %bb.1035:                             ;   in Loop: Header=BB253_10 Depth=1
	s_clause 0x2
	scratch_load_b32 v5, off, s32 offset:624
	scratch_load_b32 v4, off, s32 offset:648
	;; [unrolled: 1-line block ×3, first 2 shown]
	v_sub_nc_u32_e32 v2, 1, v98
	s_waitcnt lgkmcnt(0)
	v_add_f32_e32 v0, v0, v1
	s_load_b32 s18, s[16:17], 0x0
	s_waitcnt vmcnt(2)
	v_add_nc_u32_e32 v2, v2, v5
	v_cmp_lt_i32_e64 s2, v5, v98
	s_delay_alu instid0(VALU_DEP_2) | instskip(SKIP_1) | instid1(VALU_DEP_1)
	v_cvt_f32_i32_e32 v2, v2
	s_waitcnt vmcnt(0)
	v_mul_f32_e32 v2, v3, v2
	scratch_load_b32 v3, off, s32 offset:1180 ; 4-byte Folded Reload
	v_cndmask_b32_e64 v1, 0, v2, s1
	v_max_f32_e32 v2, v4, v4
	s_waitcnt vmcnt(0)
	s_delay_alu instid0(VALU_DEP_2) | instskip(NEXT) | instid1(VALU_DEP_1)
	v_fmac_f32_e32 v1, v0, v3
	v_max_f32_e32 v0, v2, v1
	scratch_load_b32 v2, off, s32 offset:628 ; 4-byte Folded Reload
	v_cndmask_b32_e64 v1, 0, v1, s2
	v_cndmask_b32_e64 v4, v4, v0, s2
	scratch_store_b32 off, v4, s32 offset:648 ; 4-byte Folded Spill
	s_waitcnt vmcnt(0) lgkmcnt(0)
	v_add_nc_u32_e32 v2, s18, v2
	ds_store_b32 v2, v1
	s_branch .LBB253_9
.LBB253_1036:
	s_or_b32 exec_lo, exec_lo, s7
	s_clause 0x10
	scratch_load_b32 v12, off, s32 offset:1192
	scratch_load_b32 v15, off, s32 offset:1204
	;; [unrolled: 1-line block ×3, first 2 shown]
	scratch_load_b64 v[26:27], off, s32 offset:1212
	scratch_load_b32 v11, off, s32 offset:1220
	scratch_load_b32 v10, off, s32 offset:1224
	;; [unrolled: 1-line block ×8, first 2 shown]
	scratch_load_b64 v[19:20], off, s32 offset:1252
	scratch_load_b32 v21, off, s32 offset:1260
	scratch_load_b32 v84, off, s32 offset:1264
	;; [unrolled: 1-line block ×4, first 2 shown]
	v_mov_b32_e32 v16, 32
.LBB253_1037:
	s_or_b32 exec_lo, exec_lo, s21
	s_waitcnt vmcnt(1)
	v_xor_b32_e32 v0, 16, v13
	s_waitcnt lgkmcnt(0)
	v_xor_b32_e32 v1, 8, v13
	s_waitcnt vmcnt(0)
	v_max_f32_e32 v4, v5, v5
	s_lshr_b32 s8, s22, 16
	v_and_b32_e32 v82, 31, v12
	v_cmp_lt_i32_e32 vcc_lo, v0, v16
	v_cndmask_b32_e32 v0, v13, v0, vcc_lo
	v_cmp_lt_i32_e32 vcc_lo, v1, v16
	v_cndmask_b32_e32 v1, v13, v1, vcc_lo
	s_delay_alu instid0(VALU_DEP_1) | instskip(NEXT) | instid1(VALU_DEP_4)
	v_lshlrev_b32_e32 v3, 2, v1
	v_lshlrev_b32_e32 v2, 2, v0
	ds_bpermute_b32 v0, v2, v5
	v_xor_b32_e32 v5, 2, v13
	s_waitcnt lgkmcnt(0)
	v_max_f32_e32 v0, v0, v0
	s_delay_alu instid0(VALU_DEP_1)
	v_max_f32_e32 v0, v4, v0
	v_xor_b32_e32 v4, 4, v13
	ds_bpermute_b32 v1, v3, v0
	v_cmp_lt_i32_e32 vcc_lo, v4, v16
	v_cndmask_b32_e32 v4, v13, v4, vcc_lo
	v_cmp_lt_i32_e32 vcc_lo, v5, v16
	v_cndmask_b32_e32 v5, v13, v5, vcc_lo
	v_cmp_eq_u32_e32 vcc_lo, 0, v82
	s_delay_alu instid0(VALU_DEP_2) | instskip(SKIP_3) | instid1(VALU_DEP_1)
	v_lshlrev_b32_e32 v23, 2, v5
	scratch_load_b32 v5, off, s32 offset:1188 ; 4-byte Folded Reload
	s_waitcnt lgkmcnt(0)
	v_dual_max_f32 v1, v1, v1 :: v_dual_lshlrev_b32 v4, 2, v4
	v_max_f32_e32 v0, v0, v1
	ds_bpermute_b32 v1, v4, v0
	s_waitcnt lgkmcnt(0)
	v_max_f32_e32 v1, v1, v1
	s_delay_alu instid0(VALU_DEP_1)
	v_max_f32_e32 v0, v0, v1
	ds_bpermute_b32 v1, v23, v0
	s_waitcnt vmcnt(0)
	v_lshlrev_b32_e32 v5, 2, v5
	s_and_saveexec_b32 s1, vcc_lo
	s_cbranch_execz .LBB253_1039
; %bb.1038:
	s_waitcnt lgkmcnt(0)
	v_dual_max_f32 v1, v1, v1 :: v_dual_max_f32 v0, v0, v0
	s_delay_alu instid0(VALU_DEP_1)
	v_max_f32_e32 v0, v0, v1
	ds_store_b32 v5, v0 offset:1024
.LBB253_1039:
	s_or_b32 exec_lo, exec_lo, s1
	v_cmp_gt_u32_e64 s1, 4, v82
	v_mov_b32_e32 v0, 0xff7fffff
	v_lshlrev_b32_e32 v6, 2, v82
	s_waitcnt lgkmcnt(0)
	s_waitcnt_vscnt null, 0x0
	s_barrier
	buffer_gl0_inv
	s_and_saveexec_b32 s2, s1
	s_cbranch_execz .LBB253_1041
; %bb.1040:
	ds_load_b32 v0, v6 offset:1024
.LBB253_1041:
	s_or_b32 exec_lo, exec_lo, s2
	scratch_load_b32 v8, off, s32 offset:636 ; 4-byte Folded Reload
	s_waitcnt lgkmcnt(0)
	ds_bpermute_b32 v1, v23, v0
	v_xor_b32_e32 v7, 1, v13
	v_max_f32_e32 v0, v0, v0
	s_delay_alu instid0(VALU_DEP_2) | instskip(NEXT) | instid1(VALU_DEP_1)
	v_cmp_lt_i32_e64 s2, v7, v16
	v_cndmask_b32_e64 v7, v13, v7, s2
	s_waitcnt lgkmcnt(0)
	v_max_f32_e32 v1, v1, v1
	s_delay_alu instid0(VALU_DEP_2) | instskip(SKIP_1) | instid1(VALU_DEP_1)
	v_lshlrev_b32_e32 v29, 2, v7
	v_lshlrev_b32_e32 v7, 2, v13
	v_dual_max_f32 v0, v0, v1 :: v_dual_and_b32 v7, 0xffffff80, v7
	ds_bpermute_b32 v1, v29, v0
	s_waitcnt lgkmcnt(0)
	v_max_f32_e32 v1, v1, v1
	s_delay_alu instid0(VALU_DEP_1) | instskip(SKIP_3) | instid1(VALU_DEP_1)
	v_max_f32_e32 v0, v0, v1
	ds_bpermute_b32 v0, v7, v0
	s_waitcnt vmcnt(0)
	v_subrev_nc_u32_e32 v8, s13, v8
	v_lshl_add_u32 v1, v8, 4, s11
	v_mov_b32_e32 v8, 0
	s_delay_alu instid0(VALU_DEP_2) | instskip(NEXT) | instid1(VALU_DEP_1)
	v_min_i32_e32 v1, v1, v98
	v_subrev_nc_u32_e32 v1, s11, v1
	s_delay_alu instid0(VALU_DEP_1) | instskip(NEXT) | instid1(VALU_DEP_1)
	v_cmp_lt_i32_e64 s2, v12, v1
	s_and_saveexec_b32 s9, s2
	s_cbranch_execz .LBB253_1045
; %bb.1042:
	s_getpc_b64 s[16:17]
	s_add_u32 s16, s16, llvm.amdgcn.dynlds.offset.table@rel32@lo+4
	s_addc_u32 s17, s17, llvm.amdgcn.dynlds.offset.table@rel32@hi+12
	s_ashr_i32 s7, s6, 31
	v_mov_b32_e32 v8, 0
	s_lshl_b64 s[18:19], s[6:7], 2
	v_mov_b32_e32 v16, v12
	s_add_u32 s16, s18, s16
	s_addc_u32 s17, s19, s17
	s_mov_b32 s7, 0
	s_load_b32 s3, s[16:17], 0x0
	s_waitcnt lgkmcnt(0)
	v_lshl_add_u32 v9, v12, 2, s3
	.p2align	6
.LBB253_1043:                           ; =>This Inner Loop Header: Depth=1
	ds_load_b32 v13, v9
	v_add_nc_u32_e32 v16, 0x80, v16
	s_delay_alu instid0(VALU_DEP_1) | instskip(NEXT) | instid1(VALU_DEP_1)
	v_cmp_ge_i32_e64 s3, v16, v1
	s_or_b32 s7, s3, s7
	s_waitcnt lgkmcnt(0)
	v_sub_f32_e32 v13, v13, v0
	s_delay_alu instid0(VALU_DEP_1) | instskip(NEXT) | instid1(VALU_DEP_1)
	v_mul_f32_e32 v13, 0x3fb8aa3b, v13
	v_exp_f32_e32 v13, v13
	ds_store_b32 v9, v13
	v_add_f32_e32 v8, v8, v13
	v_add_nc_u32_e32 v9, 0x200, v9
	s_and_not1_b32 exec_lo, exec_lo, s7
	s_cbranch_execnz .LBB253_1043
; %bb.1044:
	s_or_b32 exec_lo, exec_lo, s7
.LBB253_1045:
	s_delay_alu instid0(SALU_CYCLE_1)
	s_or_b32 exec_lo, exec_lo, s9
	ds_bpermute_b32 v2, v2, v8
	s_waitcnt lgkmcnt(0)
	v_add_f32_e32 v2, v8, v2
	ds_bpermute_b32 v3, v3, v2
	s_waitcnt lgkmcnt(0)
	v_add_f32_e32 v2, v2, v3
	;; [unrolled: 3-line block ×5, first 2 shown]
	s_and_saveexec_b32 s3, vcc_lo
	s_cbranch_execz .LBB253_1047
; %bb.1046:
	ds_store_b32 v5, v2 offset:1040
.LBB253_1047:
	s_or_b32 exec_lo, exec_lo, s3
	s_waitcnt lgkmcnt(0)
	s_barrier
	buffer_gl0_inv
	s_and_saveexec_b32 s3, s1
	s_cbranch_execz .LBB253_1049
; %bb.1048:
	ds_load_b32 v2, v6 offset:1040
.LBB253_1049:
	s_or_b32 exec_lo, exec_lo, s3
	s_waitcnt lgkmcnt(0)
	ds_bpermute_b32 v3, v23, v2
	s_waitcnt lgkmcnt(0)
	v_add_f32_e32 v2, v2, v3
	ds_bpermute_b32 v3, v29, v2
	s_waitcnt lgkmcnt(0)
	v_add_f32_e32 v2, v2, v3
	ds_bpermute_b32 v2, v7, v2
	s_and_saveexec_b32 s1, s2
	s_cbranch_execz .LBB253_1052
; %bb.1050:
	s_waitcnt lgkmcnt(0)
	v_add_f32_e32 v4, 0x358637bd, v2
	s_getpc_b64 s[2:3]
	s_add_u32 s2, s2, llvm.amdgcn.dynlds.offset.table@rel32@lo+4
	s_addc_u32 s3, s3, llvm.amdgcn.dynlds.offset.table@rel32@hi+12
	s_ashr_i32 s7, s6, 31
	s_delay_alu instid0(SALU_CYCLE_1) | instskip(SKIP_4) | instid1(VALU_DEP_1)
	s_lshl_b64 s[16:17], s[6:7], 2
	v_div_scale_f32 v3, null, v4, v4, 1.0
	s_add_u32 s2, s16, s2
	s_addc_u32 s3, s17, s3
	s_load_b32 s2, s[2:3], 0x0
	v_rcp_f32_e32 v5, v3
	s_waitcnt_depctr 0xfff
	v_fma_f32 v6, -v3, v5, 1.0
	s_delay_alu instid0(VALU_DEP_1) | instskip(SKIP_1) | instid1(VALU_DEP_1)
	v_fmac_f32_e32 v5, v6, v5
	v_div_scale_f32 v7, vcc_lo, 1.0, v4, 1.0
	v_mul_f32_e32 v6, v7, v5
	s_delay_alu instid0(VALU_DEP_1) | instskip(NEXT) | instid1(VALU_DEP_1)
	v_fma_f32 v8, -v3, v6, v7
	v_fmac_f32_e32 v6, v8, v5
	s_delay_alu instid0(VALU_DEP_1) | instskip(NEXT) | instid1(VALU_DEP_1)
	v_fma_f32 v3, -v3, v6, v7
	v_div_fmas_f32 v5, v3, v5, v6
	s_waitcnt lgkmcnt(0)
	v_lshl_add_u32 v3, v12, 2, s2
	s_mov_b32 s2, 0
	s_delay_alu instid0(VALU_DEP_2)
	v_div_fixup_f32 v4, v5, v4, 1.0
	v_mov_b32_e32 v5, v12
.LBB253_1051:                           ; =>This Inner Loop Header: Depth=1
	ds_load_b32 v6, v3
	s_waitcnt lgkmcnt(0)
	v_dual_mul_f32 v6, v4, v6 :: v_dual_add_nc_u32 v5, 0x80, v5
	s_delay_alu instid0(VALU_DEP_1) | instskip(SKIP_3) | instid1(SALU_CYCLE_1)
	v_cmp_ge_i32_e32 vcc_lo, v5, v1
	ds_store_b32 v3, v6
	v_add_nc_u32_e32 v3, 0x200, v3
	s_or_b32 s2, vcc_lo, s2
	s_and_not1_b32 exec_lo, exec_lo, s2
	s_cbranch_execnz .LBB253_1051
.LBB253_1052:
	s_or_b32 exec_lo, exec_lo, s1
	v_cmp_ne_u16_e64 s1, s8, 0
	s_waitcnt lgkmcnt(0)
	s_barrier
	buffer_gl0_inv
	s_cmp_lg_u32 s1, 0
	s_addc_u32 s1, s5, 0
	s_mov_b32 s5, exec_lo
	s_mul_i32 s2, s1, s10
	s_delay_alu instid0(SALU_CYCLE_1)
	s_mul_i32 s2, s2, s15
	v_cmpx_eq_u32_e32 0, v12
	s_cbranch_execz .LBB253_1054
; %bb.1053:
	s_mul_i32 s8, s1, s12
	s_ashr_i32 s15, s14, 31
	s_ashr_i32 s9, s8, 31
	;; [unrolled: 1-line block ×3, first 2 shown]
	s_lshl_b64 s[8:9], s[8:9], 2
	s_lshl_b64 s[12:13], s[14:15], 2
	;; [unrolled: 1-line block ×3, first 2 shown]
	s_add_u32 s3, s12, s8
	s_addc_u32 s7, s13, s9
	s_add_u32 s3, s3, s16
	s_addc_u32 s7, s7, s17
	v_add_co_u32 v3, vcc_lo, s3, v28
	v_add_co_ci_u32_e32 v4, vcc_lo, s7, v25, vcc_lo
	v_add_co_u32 v5, vcc_lo, s3, v24
	v_add_co_ci_u32_e32 v6, vcc_lo, s7, v22, vcc_lo
	flat_store_b32 v[3:4], v0
	flat_store_b32 v[5:6], v2
.LBB253_1054:
	s_or_b32 exec_lo, exec_lo, s5
                                        ; implicit-def: $sgpr5
	s_and_saveexec_b32 s3, s0
	s_delay_alu instid0(SALU_CYCLE_1)
	s_xor_b32 s0, exec_lo, s3
	s_cbranch_execz .LBB253_1056
; %bb.1055:
	s_ashr_i32 s7, s6, 31
	s_mov_b32 s5, 0
                                        ; implicit-def: $vgpr0
                                        ; kill: killed $vgpr0
                                        ; implicit-def: $vgpr0
                                        ; implicit-def: $vgpr98
                                        ; implicit-def: $vgpr18
	scratch_store_b64 off, v[0:1], s32 offset:320 ; 8-byte Folded Spill
                                        ; implicit-def: $vgpr10
                                        ; implicit-def: $vgpr11
                                        ; implicit-def: $vgpr14
                                        ; implicit-def: $vgpr15
                                        ; implicit-def: $vgpr0
                                        ; kill: killed $vgpr0
                                        ; implicit-def: $vgpr26_vgpr27
                                        ; implicit-def: $vgpr21
                                        ; implicit-def: $vgpr84
                                        ; implicit-def: $vgpr19_vgpr20
                                        ; implicit-def: $vgpr17
.LBB253_1056:
	s_or_saveexec_b32 s3, s0
	v_dual_mov_b32 v0, s6 :: v_dual_mov_b32 v81, s5
	v_dual_mov_b32 v70, s5 :: v_dual_mov_b32 v1, s7
	v_dual_mov_b32 v71, s5 :: v_dual_and_b32 v2, 3, v12
	scratch_store_b32 off, v29, s32 offset:336 ; 4-byte Folded Spill
	v_dual_mov_b32 v80, s5 :: v_dual_mov_b32 v69, s5
	v_dual_mov_b32 v68, s5 :: v_dual_mov_b32 v67, s5
	;; [unrolled: 1-line block ×14, first 2 shown]
	v_mov_b32_e32 v22, s5
	scratch_store_b32 off, v2, s32 offset:328 ; 4-byte Folded Spill
	s_xor_b32 exec_lo, exec_lo, s3
	s_cbranch_execz .LBB253_2148
; %bb.1057:
	s_clause 0x2
	scratch_load_b32 v5, off, s32 offset:1188
	scratch_load_b32 v4, off, s32 offset:328
	scratch_load_b64 v[0:1], off, s32 offset:320
	scratch_store_b32 off, v82, s32 offset:344 ; 4-byte Folded Spill
	flat_load_b32 v82, v[26:27]
	s_ashr_i32 s7, s6, 31
	s_getpc_b64 s[8:9]
	s_add_u32 s8, s8, llvm.amdgcn.dynlds.offset.table@rel32@lo+4
	s_addc_u32 s9, s9, llvm.amdgcn.dynlds.offset.table@rel32@hi+12
	v_dual_mov_b32 v9, 0 :: v_dual_and_b32 v2, 12, v17
	v_add_co_u32 v6, vcc_lo, v10, v21
	v_add_co_ci_u32_e32 v7, vcc_lo, v11, v84, vcc_lo
	v_dual_mov_b32 v83, 0 :: v_dual_add_nc_u32 v26, -1, v18
	v_dual_mov_b32 v29, 0 :: v_dual_and_b32 v84, 0x7c, v17
	v_or_b32_e32 v85, 0xf80, v17
	v_dual_mov_b32 v22, 0 :: v_dual_mov_b32 v33, 0
	v_dual_mov_b32 v28, 0 :: v_dual_mov_b32 v35, 0
	;; [unrolled: 1-line block ×13, first 2 shown]
	v_mov_b32_e32 v80, 0
	v_dual_mov_b32 v70, 0 :: v_dual_mov_b32 v31, 0
	s_waitcnt vmcnt(3)
	v_lshl_add_u32 v3, v5, 4, s11
	s_lshl_b64 s[10:11], s[6:7], 2
	s_waitcnt vmcnt(1)
	v_lshlrev_b64 v[0:1], 2, v[0:1]
	s_add_u32 s8, s10, s8
	s_addc_u32 s9, s11, s9
	v_lshlrev_b32_e32 v4, 4, v4
	s_load_b32 s0, s[8:9], 0x0
	v_add3_u32 v86, v3, v2, 3
	v_add_co_u32 v0, vcc_lo, v19, v0
	v_add_co_ci_u32_e32 v1, vcc_lo, v20, v1, vcc_lo
	v_lshl_or_b32 v2, v5, 6, v4
	s_delay_alu instid0(VALU_DEP_3) | instskip(SKIP_1) | instid1(VALU_DEP_4)
	v_add_co_u32 v10, vcc_lo, v14, v0
	v_mov_b32_e32 v68, 0
	v_add_co_ci_u32_e32 v11, vcc_lo, v15, v1, vcc_lo
	s_waitcnt vmcnt(0) lgkmcnt(0)
	v_mov_b32_e32 v96, v82
	s_mov_b32 s8, 0
	s_brev_b32 s9, 1
	s_mov_b32 s11, 0x7f800001
	s_mov_b32 s5, s8
	v_add_nc_u32_e32 v87, s0, v2
	s_branch .LBB253_1059
.LBB253_1058:                           ;   in Loop: Header=BB253_1059 Depth=1
	s_or_b32 exec_lo, exec_lo, s0
	v_mul_f32_e32 v14, v1, v186
	v_mul_f32_e32 v13, v1, v188
	v_add_co_u32 v10, s0, v10, 16
	s_delay_alu instid0(VALU_DEP_1) | instskip(NEXT) | instid1(VALU_DEP_4)
	v_add_co_ci_u32_e64 v11, s0, 0, v11, s0
	v_dual_fmac_f32 v14, v0, v185 :: v_dual_mul_f32 v15, v1, v184
	s_delay_alu instid0(VALU_DEP_4) | instskip(NEXT) | instid1(VALU_DEP_2)
	v_dual_fmac_f32 v13, v0, v187 :: v_dual_mul_f32 v16, v1, v172
	v_dual_fmac_f32 v14, v2, v21 :: v_dual_add_nc_u32 v87, 0x100, v87
	s_delay_alu instid0(VALU_DEP_3) | instskip(SKIP_1) | instid1(VALU_DEP_4)
	v_dual_mul_f32 v24, v1, v156 :: v_dual_fmac_f32 v15, v0, v175
	v_mul_f32_e32 v25, v1, v152
	v_fmac_f32_e32 v13, v2, v19
	v_dual_mul_f32 v17, v1, v168 :: v_dual_fmac_f32 v16, v0, v171
	s_delay_alu instid0(VALU_DEP_4) | instskip(NEXT) | instid1(VALU_DEP_4)
	v_fmac_f32_e32 v24, v0, v155
	v_dual_fmac_f32 v25, v0, v143 :: v_dual_fmac_f32 v14, v3, v20
	s_delay_alu instid0(VALU_DEP_3) | instskip(SKIP_1) | instid1(VALU_DEP_4)
	v_dual_fmac_f32 v17, v0, v159 :: v_dual_fmac_f32 v16, v2, v170
	v_fmac_f32_e32 v15, v2, v174
	v_fmac_f32_e32 v24, v2, v154
	s_delay_alu instid0(VALU_DEP_4) | instskip(NEXT) | instid1(VALU_DEP_4)
	v_add_f32_e32 v28, v28, v14
	v_dual_fmac_f32 v17, v2, v158 :: v_dual_fmac_f32 v16, v3, v169
	s_delay_alu instid0(VALU_DEP_4) | instskip(SKIP_2) | instid1(VALU_DEP_4)
	v_fmac_f32_e32 v15, v3, v173
	v_fmac_f32_e32 v13, v3, v18
	v_dual_fmac_f32 v24, v3, v153 :: v_dual_fmac_f32 v25, v2, v142
	v_dual_fmac_f32 v17, v3, v157 :: v_dual_mul_f32 v14, v1, v136
	s_delay_alu instid0(VALU_DEP_3) | instskip(NEXT) | instid1(VALU_DEP_3)
	v_dual_add_f32 v30, v30, v16 :: v_dual_add_f32 v83, v83, v13
	v_dual_add_f32 v32, v32, v24 :: v_dual_fmac_f32 v25, v3, v141
	v_mul_f32_e32 v16, v1, v120
	s_delay_alu instid0(VALU_DEP_4) | instskip(SKIP_2) | instid1(VALU_DEP_4)
	v_dual_mul_f32 v13, v1, v140 :: v_dual_fmac_f32 v14, v0, v127
	v_add_f32_e32 v31, v31, v17
	v_add_f32_e32 v29, v29, v15
	v_dual_fmac_f32 v16, v0, v111 :: v_dual_add_f32 v33, v33, v25
	s_delay_alu instid0(VALU_DEP_4) | instskip(SKIP_1) | instid1(VALU_DEP_3)
	v_dual_fmac_f32 v14, v2, v126 :: v_dual_fmac_f32 v13, v0, v139
	v_add_nc_u32_e32 v86, 64, v86
	v_dual_fmac_f32 v16, v2, v110 :: v_dual_mul_f32 v17, v1, v108
	s_delay_alu instid0(VALU_DEP_3) | instskip(NEXT) | instid1(VALU_DEP_2)
	v_dual_fmac_f32 v14, v3, v125 :: v_dual_fmac_f32 v13, v2, v138
	v_dual_fmac_f32 v16, v3, v109 :: v_dual_fmac_f32 v17, v0, v107
	s_delay_alu instid0(VALU_DEP_2) | instskip(NEXT) | instid1(VALU_DEP_3)
	v_add_f32_e32 v35, v35, v14
	v_dual_fmac_f32 v13, v3, v137 :: v_dual_mul_f32 v14, v1, v92
	s_delay_alu instid0(VALU_DEP_3) | instskip(SKIP_1) | instid1(VALU_DEP_3)
	v_add_f32_e32 v37, v37, v16
	v_mul_f32_e32 v16, v1, v76
	v_dual_mul_f32 v15, v1, v124 :: v_dual_add_f32 v34, v34, v13
	s_delay_alu instid0(VALU_DEP_4) | instskip(NEXT) | instid1(VALU_DEP_1)
	v_dual_fmac_f32 v17, v2, v106 :: v_dual_fmac_f32 v14, v0, v91
	v_dual_fmac_f32 v16, v0, v75 :: v_dual_fmac_f32 v17, v3, v105
	s_delay_alu instid0(VALU_DEP_2) | instskip(NEXT) | instid1(VALU_DEP_2)
	v_fmac_f32_e32 v14, v2, v90
	v_dual_fmac_f32 v16, v2, v74 :: v_dual_fmac_f32 v15, v0, v123
	s_delay_alu instid0(VALU_DEP_3) | instskip(NEXT) | instid1(VALU_DEP_3)
	v_dual_mul_f32 v13, v1, v104 :: v_dual_add_f32 v38, v38, v17
	v_fmac_f32_e32 v14, v3, v89
	s_delay_alu instid0(VALU_DEP_3) | instskip(NEXT) | instid1(VALU_DEP_3)
	v_dual_fmac_f32 v16, v3, v73 :: v_dual_fmac_f32 v15, v2, v122
	v_fmac_f32_e32 v13, v0, v95
	s_delay_alu instid0(VALU_DEP_3) | instskip(NEXT) | instid1(VALU_DEP_3)
	v_add_f32_e32 v48, v48, v14
	v_dual_mul_f32 v14, v1, v56 :: v_dual_fmac_f32 v15, v3, v121
	s_delay_alu instid0(VALU_DEP_3) | instskip(SKIP_2) | instid1(VALU_DEP_4)
	v_fmac_f32_e32 v13, v2, v94
	v_add_f32_e32 v50, v50, v16
	v_mul_f32_e32 v16, v1, v40
	v_dual_mul_f32 v17, v1, v72 :: v_dual_fmac_f32 v14, v0, v47
	v_dual_add_f32 v36, v36, v15 :: v_dual_mul_f32 v15, v1, v88
	s_delay_alu instid0(VALU_DEP_3) | instskip(NEXT) | instid1(VALU_DEP_3)
	v_dual_fmac_f32 v13, v3, v93 :: v_dual_fmac_f32 v16, v0, v183
	v_dual_fmac_f32 v17, v0, v63 :: v_dual_fmac_f32 v14, v2, v46
	s_delay_alu instid0(VALU_DEP_3) | instskip(NEXT) | instid1(VALU_DEP_3)
	v_fmac_f32_e32 v15, v0, v79
	v_dual_add_f32 v39, v39, v13 :: v_dual_fmac_f32 v16, v2, v182
	v_mul_f32_e32 v13, v1, v60
	s_delay_alu instid0(VALU_DEP_4) | instskip(NEXT) | instid1(VALU_DEP_2)
	v_dual_fmac_f32 v17, v2, v62 :: v_dual_fmac_f32 v14, v3, v45
	v_dual_fmac_f32 v16, v3, v181 :: v_dual_fmac_f32 v13, v0, v59
	s_delay_alu instid0(VALU_DEP_2) | instskip(NEXT) | instid1(VALU_DEP_3)
	v_fmac_f32_e32 v17, v3, v61
	v_add_f32_e32 v53, v53, v14
	v_mul_f32_e32 v14, v1, v164
	s_delay_alu instid0(VALU_DEP_4) | instskip(SKIP_1) | instid1(VALU_DEP_3)
	v_add_f32_e32 v55, v55, v16
	v_dual_fmac_f32 v13, v2, v58 :: v_dual_mul_f32 v16, v1, v148
	v_dual_add_f32 v51, v51, v17 :: v_dual_fmac_f32 v14, v0, v163
	v_mul_f32_e32 v17, v1, v180
	s_delay_alu instid0(VALU_DEP_3) | instskip(NEXT) | instid1(VALU_DEP_4)
	v_fmac_f32_e32 v13, v3, v57
	v_dual_fmac_f32 v15, v2, v78 :: v_dual_fmac_f32 v16, v0, v147
	s_delay_alu instid0(VALU_DEP_4) | instskip(NEXT) | instid1(VALU_DEP_3)
	v_fmac_f32_e32 v14, v2, v162
	v_add_f32_e32 v52, v52, v13
	s_delay_alu instid0(VALU_DEP_3) | instskip(NEXT) | instid1(VALU_DEP_3)
	v_dual_fmac_f32 v15, v3, v77 :: v_dual_fmac_f32 v16, v2, v146
	v_dual_fmac_f32 v14, v3, v161 :: v_dual_fmac_f32 v17, v0, v179
	s_delay_alu instid0(VALU_DEP_2) | instskip(NEXT) | instid1(VALU_DEP_2)
	v_fmac_f32_e32 v16, v3, v145
	v_add_f32_e32 v66, v66, v14
	s_delay_alu instid0(VALU_DEP_3) | instskip(NEXT) | instid1(VALU_DEP_3)
	v_dual_fmac_f32 v17, v2, v178 :: v_dual_mul_f32 v14, v1, v128
	v_add_f32_e32 v68, v68, v16
	v_mul_f32_e32 v16, v1, v101
	s_delay_alu instid0(VALU_DEP_3) | instskip(SKIP_2) | instid1(VALU_DEP_4)
	v_fmac_f32_e32 v17, v3, v177
	v_add_f32_e32 v49, v49, v15
	v_dual_mul_f32 v15, v1, v44 :: v_dual_fmac_f32 v14, v0, v119
	v_fmac_f32_e32 v16, v0, v100
	s_delay_alu instid0(VALU_DEP_4) | instskip(NEXT) | instid1(VALU_DEP_3)
	v_dual_mul_f32 v13, v1, v176 :: v_dual_add_f32 v64, v64, v17
	v_dual_fmac_f32 v15, v0, v43 :: v_dual_fmac_f32 v14, v2, v118
	s_delay_alu instid0(VALU_DEP_3) | instskip(NEXT) | instid1(VALU_DEP_3)
	v_fmac_f32_e32 v16, v2, v99
	v_fmac_f32_e32 v13, v0, v167
	s_delay_alu instid0(VALU_DEP_3) | instskip(NEXT) | instid1(VALU_DEP_2)
	v_dual_fmac_f32 v15, v2, v42 :: v_dual_fmac_f32 v14, v3, v117
	v_dual_fmac_f32 v16, v3, v97 :: v_dual_fmac_f32 v13, v2, v166
	v_mul_f32_e32 v17, v1, v144
	s_delay_alu instid0(VALU_DEP_3) | instskip(NEXT) | instid1(VALU_DEP_3)
	v_dual_fmac_f32 v15, v3, v41 :: v_dual_add_f32 v80, v80, v14
	v_dual_add_f32 v70, v70, v16 :: v_dual_fmac_f32 v13, v3, v165
	s_delay_alu instid0(VALU_DEP_2) | instskip(NEXT) | instid1(VALU_DEP_2)
	v_dual_add_f32 v54, v54, v15 :: v_dual_mul_f32 v15, v1, v160
	v_add_f32_e32 v65, v65, v13
	v_mul_f32_e32 v13, v1, v132
	s_delay_alu instid0(VALU_DEP_3) | instskip(NEXT) | instid1(VALU_DEP_2)
	v_fmac_f32_e32 v15, v0, v151
	v_fmac_f32_e32 v13, v0, v131
	s_delay_alu instid0(VALU_DEP_2) | instskip(NEXT) | instid1(VALU_DEP_2)
	v_fmac_f32_e32 v15, v2, v150
	v_fmac_f32_e32 v13, v2, v130
	s_delay_alu instid0(VALU_DEP_2) | instskip(NEXT) | instid1(VALU_DEP_2)
	v_fmac_f32_e32 v15, v3, v149
	v_fmac_f32_e32 v13, v3, v129
	s_delay_alu instid0(VALU_DEP_2) | instskip(SKIP_2) | instid1(VALU_DEP_4)
	v_add_f32_e32 v67, v67, v15
	v_mul_f32_e32 v15, v1, v116
	v_mul_f32_e32 v1, v1, v12
	v_add_f32_e32 v71, v71, v13
	s_delay_alu instid0(VALU_DEP_3) | instskip(NEXT) | instid1(VALU_DEP_3)
	v_fmac_f32_e32 v15, v0, v115
	v_fmac_f32_e32 v1, v0, v8
	s_delay_alu instid0(VALU_DEP_2) | instskip(NEXT) | instid1(VALU_DEP_2)
	v_fmac_f32_e32 v15, v2, v114
	v_fmac_f32_e32 v1, v2, v5
	s_delay_alu instid0(VALU_DEP_2) | instskip(NEXT) | instid1(VALU_DEP_2)
	v_fmac_f32_e32 v15, v3, v113
	v_fmac_f32_e32 v1, v3, v4
	;; [unrolled: 1-line block ×3, first 2 shown]
	s_delay_alu instid0(VALU_DEP_2) | instskip(NEXT) | instid1(VALU_DEP_2)
	v_dual_add_f32 v81, v81, v15 :: v_dual_add_f32 v22, v22, v1
	v_fmac_f32_e32 v17, v2, v134
	s_delay_alu instid0(VALU_DEP_1) | instskip(SKIP_3) | instid1(VALU_DEP_1)
	v_fmac_f32_e32 v17, v3, v133
	scratch_load_b64 v[2:3], off, s32 offset:320 ; 8-byte Folded Reload
	s_waitcnt vmcnt(0)
	v_dual_add_f32 v69, v69, v17 :: v_dual_add_nc_u32 v2, 4, v2
	v_mov_b32_e32 v0, v2
	scratch_store_b64 off, v[0:1], s32 offset:320 ; 8-byte Folded Spill
	scratch_load_b32 v0, off, s32 offset:636 ; 4-byte Folded Reload
	s_waitcnt vmcnt(0)
	v_cmp_ge_i32_e32 vcc_lo, v2, v0
	s_or_b32 s5, vcc_lo, s5
	s_delay_alu instid0(SALU_CYCLE_1)
	s_and_not1_b32 exec_lo, exec_lo, s5
	s_cbranch_execz .LBB253_2147
.LBB253_1059:                           ; =>This Inner Loop Header: Depth=1
	flat_load_b32 v0, v[10:11]
	scratch_load_b32 v1, off, s32 offset:632 ; 4-byte Folded Reload
	v_mov_b32_e32 v16, 0
	s_mov_b32 s0, exec_lo
	s_waitcnt vmcnt(0) lgkmcnt(0)
	v_mad_i64_i32 v[12:13], null, v0, v1, v[6:7]
	ds_load_b128 v[0:3], v87
	v_add_co_u32 v14, vcc_lo, v12, v84
	v_add_co_ci_u32_e32 v15, vcc_lo, 0, v13, vcc_lo
	flat_load_b32 v97, v[14:15]
	s_waitcnt vmcnt(0) lgkmcnt(0)
	v_dual_mov_b32 v17, 0 :: v_dual_and_b32 v8, 0xff, v97
	s_delay_alu instid0(VALU_DEP_1) | instskip(NEXT) | instid1(VALU_DEP_2)
	v_dual_mov_b32 v4, v16 :: v_dual_mov_b32 v5, v17
	v_cmpx_ne_u16_e32 0, v8
	s_cbranch_execz .LBB253_1067
; %bb.1060:                             ;   in Loop: Header=BB253_1059 Depth=1
	v_bfrev_b32_e32 v4, 1
	v_mov_b32_e32 v5, 0
	s_mov_b32 s10, exec_lo
	v_cmpx_ne_u16_e32 0x80, v8
	s_cbranch_execz .LBB253_1066
; %bb.1061:                             ;   in Loop: Header=BB253_1059 Depth=1
	v_mov_b32_e32 v4, 0x7f800001
	v_dual_mov_b32 v5, 0 :: v_dual_and_b32 v18, 0x7f, v97
	s_mov_b32 s12, exec_lo
	s_delay_alu instid0(VALU_DEP_1)
	v_cmpx_ne_u32_e32 0x7f, v18
	s_cbranch_execz .LBB253_1065
; %bb.1062:                             ;   in Loop: Header=BB253_1059 Depth=1
	v_and_b32_e32 v8, 7, v97
	v_lshrrev_b32_e32 v4, 3, v18
	s_mov_b32 s13, exec_lo
	v_cmpx_gt_u32_e32 8, v18
; %bb.1063:                             ;   in Loop: Header=BB253_1059 Depth=1
	s_delay_alu instid0(VALU_DEP_3) | instskip(NEXT) | instid1(VALU_DEP_1)
	v_clz_i32_u32_e32 v4, v8
	v_min_u32_e32 v4, 32, v4
	s_delay_alu instid0(VALU_DEP_1) | instskip(SKIP_1) | instid1(VALU_DEP_2)
	v_subrev_nc_u32_e32 v5, 28, v4
	v_sub_nc_u32_e32 v4, 29, v4
	v_lshlrev_b64 v[18:19], v5, v[8:9]
	s_delay_alu instid0(VALU_DEP_1)
	v_and_b32_e32 v8, 7, v18
; %bb.1064:                             ;   in Loop: Header=BB253_1059 Depth=1
	s_or_b32 exec_lo, exec_lo, s13
	v_lshlrev_b32_e32 v5, 24, v97
	s_delay_alu instid0(VALU_DEP_2) | instskip(SKIP_1) | instid1(VALU_DEP_3)
	v_lshlrev_b32_e32 v8, 20, v8
	v_lshl_add_u32 v4, v4, 23, 0x3c000000
	v_and_b32_e32 v5, 0x80000000, v5
	s_delay_alu instid0(VALU_DEP_1) | instskip(NEXT) | instid1(VALU_DEP_1)
	v_or3_b32 v8, v8, v5, v4
	v_dual_mov_b32 v4, v8 :: v_dual_mov_b32 v5, v9
.LBB253_1065:                           ;   in Loop: Header=BB253_1059 Depth=1
	s_or_b32 exec_lo, exec_lo, s12
.LBB253_1066:                           ;   in Loop: Header=BB253_1059 Depth=1
	s_delay_alu instid0(SALU_CYCLE_1)
	s_or_b32 exec_lo, exec_lo, s10
.LBB253_1067:                           ;   in Loop: Header=BB253_1059 Depth=1
	s_delay_alu instid0(SALU_CYCLE_1) | instskip(SKIP_2) | instid1(VALU_DEP_1)
	s_or_b32 exec_lo, exec_lo, s0
	v_lshrrev_b16 v8, 8, v97
	s_mov_b32 s0, exec_lo
	v_cmpx_ne_u16_e32 0, v8
	s_cbranch_execz .LBB253_1075
; %bb.1068:                             ;   in Loop: Header=BB253_1059 Depth=1
	v_dual_mov_b32 v17, s9 :: v_dual_mov_b32 v16, s8
	s_mov_b32 s12, exec_lo
	v_cmpx_ne_u16_e32 0x80, v8
	s_cbranch_execz .LBB253_1074
; %bb.1069:                             ;   in Loop: Header=BB253_1059 Depth=1
	s_mov_b32 s10, s8
	v_dual_mov_b32 v17, s11 :: v_dual_and_b32 v8, 0xffff, v8
	v_mov_b32_e32 v16, s10
	s_mov_b32 s10, exec_lo
	s_delay_alu instid0(VALU_DEP_2) | instskip(NEXT) | instid1(VALU_DEP_1)
	v_and_b32_e32 v18, 0x7f, v8
	v_cmpx_ne_u32_e32 0x7f, v18
	s_cbranch_execz .LBB253_1073
; %bb.1070:                             ;   in Loop: Header=BB253_1059 Depth=1
	v_and_b32_e32 v8, 7, v8
	v_lshrrev_b32_e32 v16, 3, v18
	s_mov_b32 s13, exec_lo
	v_cmpx_gt_u32_e32 8, v18
; %bb.1071:                             ;   in Loop: Header=BB253_1059 Depth=1
	s_delay_alu instid0(VALU_DEP_3) | instskip(NEXT) | instid1(VALU_DEP_1)
	v_clz_i32_u32_e32 v16, v8
	v_min_u32_e32 v16, 32, v16
	s_delay_alu instid0(VALU_DEP_1) | instskip(SKIP_1) | instid1(VALU_DEP_2)
	v_subrev_nc_u32_e32 v17, 28, v16
	v_sub_nc_u32_e32 v16, 29, v16
	v_lshlrev_b64 v[17:18], v17, v[8:9]
	s_delay_alu instid0(VALU_DEP_1)
	v_and_b32_e32 v8, 7, v17
; %bb.1072:                             ;   in Loop: Header=BB253_1059 Depth=1
	s_or_b32 exec_lo, exec_lo, s13
	v_lshlrev_b32_e32 v17, 16, v97
	s_delay_alu instid0(VALU_DEP_2) | instskip(SKIP_1) | instid1(VALU_DEP_3)
	v_lshlrev_b32_e32 v8, 20, v8
	v_lshl_add_u32 v16, v16, 23, 0x3c000000
	v_and_b32_e32 v17, 0x80000000, v17
	s_delay_alu instid0(VALU_DEP_1)
	v_or3_b32 v17, v8, v17, v16
	v_mov_b32_e32 v16, v9
.LBB253_1073:                           ;   in Loop: Header=BB253_1059 Depth=1
	s_or_b32 exec_lo, exec_lo, s10
.LBB253_1074:                           ;   in Loop: Header=BB253_1059 Depth=1
	s_delay_alu instid0(SALU_CYCLE_1)
	s_or_b32 exec_lo, exec_lo, s12
.LBB253_1075:                           ;   in Loop: Header=BB253_1059 Depth=1
	s_delay_alu instid0(SALU_CYCLE_1) | instskip(SKIP_4) | instid1(VALU_DEP_2)
	s_or_b32 exec_lo, exec_lo, s0
	v_mov_b32_e32 v20, 0
	v_lshrrev_b32_e32 v99, 16, v97
	v_mov_b32_e32 v21, 0
	s_mov_b32 s0, exec_lo
	v_and_b32_e32 v8, 0xff, v99
	s_delay_alu instid0(VALU_DEP_2) | instskip(NEXT) | instid1(VALU_DEP_2)
	v_dual_mov_b32 v18, v20 :: v_dual_mov_b32 v19, v21
	v_cmpx_ne_u16_e32 0, v8
	s_cbranch_execz .LBB253_1083
; %bb.1076:                             ;   in Loop: Header=BB253_1059 Depth=1
	v_bfrev_b32_e32 v18, 1
	v_mov_b32_e32 v19, 0
	s_mov_b32 s10, exec_lo
	v_cmpx_ne_u16_e32 0x80, v8
	s_cbranch_execz .LBB253_1082
; %bb.1077:                             ;   in Loop: Header=BB253_1059 Depth=1
	v_mov_b32_e32 v18, 0x7f800001
	v_bfe_u32 v100, v97, 16, 7
	v_mov_b32_e32 v19, 0
	s_mov_b32 s12, exec_lo
	s_delay_alu instid0(VALU_DEP_2)
	v_cmpx_ne_u32_e32 0x7f, v100
	s_cbranch_execz .LBB253_1081
; %bb.1078:                             ;   in Loop: Header=BB253_1059 Depth=1
	v_and_b32_e32 v8, 7, v99
	v_lshrrev_b32_e32 v18, 3, v100
	s_mov_b32 s13, exec_lo
	v_cmpx_gt_u32_e32 8, v100
; %bb.1079:                             ;   in Loop: Header=BB253_1059 Depth=1
	s_delay_alu instid0(VALU_DEP_3) | instskip(NEXT) | instid1(VALU_DEP_1)
	v_clz_i32_u32_e32 v18, v8
	v_min_u32_e32 v18, 32, v18
	s_delay_alu instid0(VALU_DEP_1) | instskip(SKIP_1) | instid1(VALU_DEP_2)
	v_subrev_nc_u32_e32 v19, 28, v18
	v_sub_nc_u32_e32 v18, 29, v18
	v_lshlrev_b64 v[100:101], v19, v[8:9]
	s_delay_alu instid0(VALU_DEP_1)
	v_and_b32_e32 v8, 7, v100
; %bb.1080:                             ;   in Loop: Header=BB253_1059 Depth=1
	s_or_b32 exec_lo, exec_lo, s13
	v_lshlrev_b32_e32 v19, 24, v99
	s_delay_alu instid0(VALU_DEP_2) | instskip(SKIP_1) | instid1(VALU_DEP_3)
	v_lshlrev_b32_e32 v8, 20, v8
	v_lshl_add_u32 v18, v18, 23, 0x3c000000
	v_and_b32_e32 v19, 0x80000000, v19
	s_delay_alu instid0(VALU_DEP_1) | instskip(NEXT) | instid1(VALU_DEP_1)
	v_or3_b32 v8, v8, v19, v18
	v_dual_mov_b32 v19, v9 :: v_dual_mov_b32 v18, v8
.LBB253_1081:                           ;   in Loop: Header=BB253_1059 Depth=1
	s_or_b32 exec_lo, exec_lo, s12
.LBB253_1082:                           ;   in Loop: Header=BB253_1059 Depth=1
	s_delay_alu instid0(SALU_CYCLE_1)
	s_or_b32 exec_lo, exec_lo, s10
.LBB253_1083:                           ;   in Loop: Header=BB253_1059 Depth=1
	s_delay_alu instid0(SALU_CYCLE_1) | instskip(NEXT) | instid1(SALU_CYCLE_1)
	s_or_b32 exec_lo, exec_lo, s0
	s_mov_b32 s0, exec_lo
	v_cmpx_lt_u32_e32 0xffffff, v97
	s_cbranch_execz .LBB253_1091
; %bb.1084:                             ;   in Loop: Header=BB253_1059 Depth=1
	v_lshrrev_b32_e32 v99, 24, v97
	v_dual_mov_b32 v21, s9 :: v_dual_mov_b32 v20, s8
	s_mov_b32 s12, exec_lo
	s_delay_alu instid0(VALU_DEP_2)
	v_cmpx_ne_u32_e32 0x80, v99
	s_cbranch_execz .LBB253_1090
; %bb.1085:                             ;   in Loop: Header=BB253_1059 Depth=1
	s_mov_b32 s10, s8
	v_bfe_u32 v97, v97, 24, 7
	v_dual_mov_b32 v21, s11 :: v_dual_mov_b32 v20, s10
	s_mov_b32 s10, exec_lo
	s_delay_alu instid0(VALU_DEP_2)
	v_cmpx_ne_u32_e32 0x7f, v97
	s_cbranch_execz .LBB253_1089
; %bb.1086:                             ;   in Loop: Header=BB253_1059 Depth=1
	v_and_b32_e32 v8, 7, v99
	v_lshrrev_b32_e32 v20, 3, v97
	s_mov_b32 s13, exec_lo
	v_cmpx_gt_u32_e32 8, v97
; %bb.1087:                             ;   in Loop: Header=BB253_1059 Depth=1
	s_delay_alu instid0(VALU_DEP_3) | instskip(NEXT) | instid1(VALU_DEP_1)
	v_clz_i32_u32_e32 v20, v8
	v_min_u32_e32 v20, 32, v20
	s_delay_alu instid0(VALU_DEP_1) | instskip(SKIP_1) | instid1(VALU_DEP_2)
	v_subrev_nc_u32_e32 v21, 28, v20
	v_sub_nc_u32_e32 v20, 29, v20
	v_lshlrev_b64 v[100:101], v21, v[8:9]
	s_delay_alu instid0(VALU_DEP_1)
	v_and_b32_e32 v8, 7, v100
; %bb.1088:                             ;   in Loop: Header=BB253_1059 Depth=1
	s_or_b32 exec_lo, exec_lo, s13
	v_lshlrev_b32_e32 v21, 24, v99
	s_delay_alu instid0(VALU_DEP_2) | instskip(SKIP_1) | instid1(VALU_DEP_3)
	v_lshlrev_b32_e32 v8, 20, v8
	v_lshl_add_u32 v20, v20, 23, 0x3c000000
	v_and_b32_e32 v21, 0x80000000, v21
	s_delay_alu instid0(VALU_DEP_1)
	v_or3_b32 v21, v8, v21, v20
	v_mov_b32_e32 v20, v9
.LBB253_1089:                           ;   in Loop: Header=BB253_1059 Depth=1
	s_or_b32 exec_lo, exec_lo, s10
.LBB253_1090:                           ;   in Loop: Header=BB253_1059 Depth=1
	s_delay_alu instid0(SALU_CYCLE_1)
	s_or_b32 exec_lo, exec_lo, s12
.LBB253_1091:                           ;   in Loop: Header=BB253_1059 Depth=1
	s_delay_alu instid0(SALU_CYCLE_1)
	s_or_b32 exec_lo, exec_lo, s0
	v_or_b32_e32 v5, v17, v5
	v_or_b32_e32 v4, v16, v4
	;; [unrolled: 1-line block ×3, first 2 shown]
	scratch_load_b64 v[17:18], off, s32 offset:320 ; 8-byte Folded Reload
	v_or_b32_e32 v8, v21, v19
	v_dual_mul_f32 v101, v96, v5 :: v_dual_add_nc_u32 v102, -3, v86
	v_dual_mul_f32 v100, v82, v4 :: v_dual_add_nc_u32 v103, -1, v86
	s_delay_alu instid0(VALU_DEP_3)
	v_dual_mul_f32 v97, v96, v8 :: v_dual_add_nc_u32 v112, -2, v86
	v_mul_f32_e32 v99, v82, v16
	s_waitcnt vmcnt(0)
	v_cmp_eq_u32_e32 vcc_lo, v26, v17
	s_and_saveexec_b32 s10, vcc_lo
; %bb.1092:                             ;   in Loop: Header=BB253_1059 Depth=1
	v_cmp_lt_i32_e64 s0, v102, v98
	s_delay_alu instid0(VALU_DEP_1) | instskip(SKIP_1) | instid1(VALU_DEP_1)
	v_cndmask_b32_e64 v100, 0, v100, s0
	v_cmp_lt_i32_e64 s0, v112, v98
	v_cndmask_b32_e64 v101, 0, v101, s0
	v_cmp_lt_i32_e64 s0, v103, v98
	s_delay_alu instid0(VALU_DEP_1) | instskip(SKIP_1) | instid1(VALU_DEP_1)
	v_cndmask_b32_e64 v99, 0, v99, s0
	v_cmp_lt_i32_e64 s0, v86, v98
	v_cndmask_b32_e64 v97, 0, v97, s0
; %bb.1093:                             ;   in Loop: Header=BB253_1059 Depth=1
	s_or_b32 exec_lo, exec_lo, s10
	flat_load_b32 v113, v[14:15] offset:128
	v_mov_b32_e32 v16, 0
	v_mov_b32_e32 v17, 0
	s_mov_b32 s10, exec_lo
	s_waitcnt vmcnt(0) lgkmcnt(0)
	v_and_b32_e32 v8, 0xff, v113
	s_delay_alu instid0(VALU_DEP_2) | instskip(NEXT) | instid1(VALU_DEP_2)
	v_dual_mov_b32 v4, v16 :: v_dual_mov_b32 v5, v17
	v_cmpx_ne_u16_e32 0, v8
	s_cbranch_execz .LBB253_1101
; %bb.1094:                             ;   in Loop: Header=BB253_1059 Depth=1
	v_bfrev_b32_e32 v4, 1
	v_mov_b32_e32 v5, 0
	s_mov_b32 s12, exec_lo
	v_cmpx_ne_u16_e32 0x80, v8
	s_cbranch_execz .LBB253_1100
; %bb.1095:                             ;   in Loop: Header=BB253_1059 Depth=1
	v_mov_b32_e32 v4, 0x7f800001
	v_dual_mov_b32 v5, 0 :: v_dual_and_b32 v18, 0x7f, v113
	s_mov_b32 s13, exec_lo
	s_delay_alu instid0(VALU_DEP_1)
	v_cmpx_ne_u32_e32 0x7f, v18
	s_cbranch_execz .LBB253_1099
; %bb.1096:                             ;   in Loop: Header=BB253_1059 Depth=1
	v_and_b32_e32 v8, 7, v113
	v_lshrrev_b32_e32 v4, 3, v18
	s_mov_b32 s15, exec_lo
	v_cmpx_gt_u32_e32 8, v18
; %bb.1097:                             ;   in Loop: Header=BB253_1059 Depth=1
	s_delay_alu instid0(VALU_DEP_3) | instskip(NEXT) | instid1(VALU_DEP_1)
	v_clz_i32_u32_e32 v4, v8
	v_min_u32_e32 v4, 32, v4
	s_delay_alu instid0(VALU_DEP_1) | instskip(SKIP_1) | instid1(VALU_DEP_2)
	v_subrev_nc_u32_e32 v5, 28, v4
	v_sub_nc_u32_e32 v4, 29, v4
	v_lshlrev_b64 v[18:19], v5, v[8:9]
	s_delay_alu instid0(VALU_DEP_1)
	v_and_b32_e32 v8, 7, v18
; %bb.1098:                             ;   in Loop: Header=BB253_1059 Depth=1
	s_or_b32 exec_lo, exec_lo, s15
	v_lshlrev_b32_e32 v5, 24, v113
	s_delay_alu instid0(VALU_DEP_2) | instskip(SKIP_1) | instid1(VALU_DEP_3)
	v_lshlrev_b32_e32 v8, 20, v8
	v_lshl_add_u32 v4, v4, 23, 0x3c000000
	v_and_b32_e32 v5, 0x80000000, v5
	s_delay_alu instid0(VALU_DEP_1) | instskip(NEXT) | instid1(VALU_DEP_1)
	v_or3_b32 v8, v8, v5, v4
	v_dual_mov_b32 v4, v8 :: v_dual_mov_b32 v5, v9
.LBB253_1099:                           ;   in Loop: Header=BB253_1059 Depth=1
	s_or_b32 exec_lo, exec_lo, s13
.LBB253_1100:                           ;   in Loop: Header=BB253_1059 Depth=1
	s_delay_alu instid0(SALU_CYCLE_1)
	s_or_b32 exec_lo, exec_lo, s12
.LBB253_1101:                           ;   in Loop: Header=BB253_1059 Depth=1
	s_delay_alu instid0(SALU_CYCLE_1) | instskip(SKIP_2) | instid1(VALU_DEP_1)
	s_or_b32 exec_lo, exec_lo, s10
	v_lshrrev_b16 v8, 8, v113
	s_mov_b32 s12, exec_lo
	v_cmpx_ne_u16_e32 0, v8
	s_cbranch_execz .LBB253_1109
; %bb.1102:                             ;   in Loop: Header=BB253_1059 Depth=1
	v_dual_mov_b32 v17, s9 :: v_dual_mov_b32 v16, s8
	s_mov_b32 s13, exec_lo
	v_cmpx_ne_u16_e32 0x80, v8
	s_cbranch_execz .LBB253_1108
; %bb.1103:                             ;   in Loop: Header=BB253_1059 Depth=1
	s_mov_b32 s10, s8
	v_dual_mov_b32 v17, s11 :: v_dual_and_b32 v8, 0xffff, v8
	v_mov_b32_e32 v16, s10
	s_mov_b32 s10, exec_lo
	s_delay_alu instid0(VALU_DEP_2) | instskip(NEXT) | instid1(VALU_DEP_1)
	v_and_b32_e32 v18, 0x7f, v8
	v_cmpx_ne_u32_e32 0x7f, v18
	s_cbranch_execz .LBB253_1107
; %bb.1104:                             ;   in Loop: Header=BB253_1059 Depth=1
	v_and_b32_e32 v8, 7, v8
	v_lshrrev_b32_e32 v16, 3, v18
	s_mov_b32 s15, exec_lo
	v_cmpx_gt_u32_e32 8, v18
; %bb.1105:                             ;   in Loop: Header=BB253_1059 Depth=1
	s_delay_alu instid0(VALU_DEP_3) | instskip(NEXT) | instid1(VALU_DEP_1)
	v_clz_i32_u32_e32 v16, v8
	v_min_u32_e32 v16, 32, v16
	s_delay_alu instid0(VALU_DEP_1) | instskip(SKIP_1) | instid1(VALU_DEP_2)
	v_subrev_nc_u32_e32 v17, 28, v16
	v_sub_nc_u32_e32 v16, 29, v16
	v_lshlrev_b64 v[17:18], v17, v[8:9]
	s_delay_alu instid0(VALU_DEP_1)
	v_and_b32_e32 v8, 7, v17
; %bb.1106:                             ;   in Loop: Header=BB253_1059 Depth=1
	s_or_b32 exec_lo, exec_lo, s15
	v_lshlrev_b32_e32 v17, 16, v113
	s_delay_alu instid0(VALU_DEP_2) | instskip(SKIP_1) | instid1(VALU_DEP_3)
	v_lshlrev_b32_e32 v8, 20, v8
	v_lshl_add_u32 v16, v16, 23, 0x3c000000
	v_and_b32_e32 v17, 0x80000000, v17
	s_delay_alu instid0(VALU_DEP_1)
	v_or3_b32 v17, v8, v17, v16
	v_mov_b32_e32 v16, v9
.LBB253_1107:                           ;   in Loop: Header=BB253_1059 Depth=1
	s_or_b32 exec_lo, exec_lo, s10
.LBB253_1108:                           ;   in Loop: Header=BB253_1059 Depth=1
	s_delay_alu instid0(SALU_CYCLE_1)
	s_or_b32 exec_lo, exec_lo, s13
.LBB253_1109:                           ;   in Loop: Header=BB253_1059 Depth=1
	s_delay_alu instid0(SALU_CYCLE_1) | instskip(SKIP_4) | instid1(VALU_DEP_2)
	s_or_b32 exec_lo, exec_lo, s12
	v_mov_b32_e32 v20, 0
	v_lshrrev_b32_e32 v114, 16, v113
	v_mov_b32_e32 v21, 0
	s_mov_b32 s10, exec_lo
	v_and_b32_e32 v8, 0xff, v114
	s_delay_alu instid0(VALU_DEP_2) | instskip(NEXT) | instid1(VALU_DEP_2)
	v_dual_mov_b32 v18, v20 :: v_dual_mov_b32 v19, v21
	v_cmpx_ne_u16_e32 0, v8
	s_cbranch_execz .LBB253_1117
; %bb.1110:                             ;   in Loop: Header=BB253_1059 Depth=1
	v_bfrev_b32_e32 v18, 1
	v_mov_b32_e32 v19, 0
	s_mov_b32 s12, exec_lo
	v_cmpx_ne_u16_e32 0x80, v8
	s_cbranch_execz .LBB253_1116
; %bb.1111:                             ;   in Loop: Header=BB253_1059 Depth=1
	v_mov_b32_e32 v18, 0x7f800001
	v_bfe_u32 v115, v113, 16, 7
	v_mov_b32_e32 v19, 0
	s_mov_b32 s13, exec_lo
	s_delay_alu instid0(VALU_DEP_2)
	v_cmpx_ne_u32_e32 0x7f, v115
	s_cbranch_execz .LBB253_1115
; %bb.1112:                             ;   in Loop: Header=BB253_1059 Depth=1
	v_and_b32_e32 v8, 7, v114
	v_lshrrev_b32_e32 v18, 3, v115
	s_mov_b32 s15, exec_lo
	v_cmpx_gt_u32_e32 8, v115
; %bb.1113:                             ;   in Loop: Header=BB253_1059 Depth=1
	s_delay_alu instid0(VALU_DEP_3) | instskip(NEXT) | instid1(VALU_DEP_1)
	v_clz_i32_u32_e32 v18, v8
	v_min_u32_e32 v18, 32, v18
	s_delay_alu instid0(VALU_DEP_1) | instskip(SKIP_1) | instid1(VALU_DEP_2)
	v_subrev_nc_u32_e32 v19, 28, v18
	v_sub_nc_u32_e32 v18, 29, v18
	v_lshlrev_b64 v[115:116], v19, v[8:9]
	s_delay_alu instid0(VALU_DEP_1)
	v_and_b32_e32 v8, 7, v115
; %bb.1114:                             ;   in Loop: Header=BB253_1059 Depth=1
	s_or_b32 exec_lo, exec_lo, s15
	v_lshlrev_b32_e32 v19, 24, v114
	s_delay_alu instid0(VALU_DEP_2) | instskip(SKIP_1) | instid1(VALU_DEP_3)
	v_lshlrev_b32_e32 v8, 20, v8
	v_lshl_add_u32 v18, v18, 23, 0x3c000000
	v_and_b32_e32 v19, 0x80000000, v19
	s_delay_alu instid0(VALU_DEP_1) | instskip(NEXT) | instid1(VALU_DEP_1)
	v_or3_b32 v8, v8, v19, v18
	v_dual_mov_b32 v19, v9 :: v_dual_mov_b32 v18, v8
.LBB253_1115:                           ;   in Loop: Header=BB253_1059 Depth=1
	s_or_b32 exec_lo, exec_lo, s13
.LBB253_1116:                           ;   in Loop: Header=BB253_1059 Depth=1
	s_delay_alu instid0(SALU_CYCLE_1)
	s_or_b32 exec_lo, exec_lo, s12
.LBB253_1117:                           ;   in Loop: Header=BB253_1059 Depth=1
	s_delay_alu instid0(SALU_CYCLE_1) | instskip(NEXT) | instid1(SALU_CYCLE_1)
	s_or_b32 exec_lo, exec_lo, s10
	s_mov_b32 s12, exec_lo
	v_cmpx_lt_u32_e32 0xffffff, v113
	s_cbranch_execz .LBB253_1125
; %bb.1118:                             ;   in Loop: Header=BB253_1059 Depth=1
	v_lshrrev_b32_e32 v114, 24, v113
	v_dual_mov_b32 v21, s9 :: v_dual_mov_b32 v20, s8
	s_mov_b32 s13, exec_lo
	s_delay_alu instid0(VALU_DEP_2)
	v_cmpx_ne_u32_e32 0x80, v114
	s_cbranch_execz .LBB253_1124
; %bb.1119:                             ;   in Loop: Header=BB253_1059 Depth=1
	s_mov_b32 s10, s8
	v_bfe_u32 v113, v113, 24, 7
	v_dual_mov_b32 v21, s11 :: v_dual_mov_b32 v20, s10
	s_mov_b32 s10, exec_lo
	s_delay_alu instid0(VALU_DEP_2)
	v_cmpx_ne_u32_e32 0x7f, v113
	s_cbranch_execz .LBB253_1123
; %bb.1120:                             ;   in Loop: Header=BB253_1059 Depth=1
	v_and_b32_e32 v8, 7, v114
	v_lshrrev_b32_e32 v20, 3, v113
	s_mov_b32 s15, exec_lo
	v_cmpx_gt_u32_e32 8, v113
; %bb.1121:                             ;   in Loop: Header=BB253_1059 Depth=1
	s_delay_alu instid0(VALU_DEP_3) | instskip(NEXT) | instid1(VALU_DEP_1)
	v_clz_i32_u32_e32 v20, v8
	v_min_u32_e32 v20, 32, v20
	s_delay_alu instid0(VALU_DEP_1) | instskip(SKIP_1) | instid1(VALU_DEP_2)
	v_subrev_nc_u32_e32 v21, 28, v20
	v_sub_nc_u32_e32 v20, 29, v20
	v_lshlrev_b64 v[115:116], v21, v[8:9]
	s_delay_alu instid0(VALU_DEP_1)
	v_and_b32_e32 v8, 7, v115
; %bb.1122:                             ;   in Loop: Header=BB253_1059 Depth=1
	s_or_b32 exec_lo, exec_lo, s15
	v_lshlrev_b32_e32 v21, 24, v114
	s_delay_alu instid0(VALU_DEP_2) | instskip(SKIP_1) | instid1(VALU_DEP_3)
	v_lshlrev_b32_e32 v8, 20, v8
	v_lshl_add_u32 v20, v20, 23, 0x3c000000
	v_and_b32_e32 v21, 0x80000000, v21
	s_delay_alu instid0(VALU_DEP_1)
	v_or3_b32 v21, v8, v21, v20
	v_mov_b32_e32 v20, v9
.LBB253_1123:                           ;   in Loop: Header=BB253_1059 Depth=1
	s_or_b32 exec_lo, exec_lo, s10
.LBB253_1124:                           ;   in Loop: Header=BB253_1059 Depth=1
	s_delay_alu instid0(SALU_CYCLE_1)
	s_or_b32 exec_lo, exec_lo, s13
.LBB253_1125:                           ;   in Loop: Header=BB253_1059 Depth=1
	s_delay_alu instid0(SALU_CYCLE_1) | instskip(SKIP_4) | instid1(VALU_DEP_3)
	s_or_b32 exec_lo, exec_lo, s12
	v_or_b32_e32 v5, v17, v5
	v_or_b32_e32 v4, v16, v4
	;; [unrolled: 1-line block ×4, first 2 shown]
	v_dual_mul_f32 v116, v96, v5 :: v_dual_mul_f32 v115, v82, v4
	s_delay_alu instid0(VALU_DEP_3) | instskip(NEXT) | instid1(VALU_DEP_3)
	v_mul_f32_e32 v113, v96, v8
	v_mul_f32_e32 v114, v82, v16
	s_and_saveexec_b32 s10, vcc_lo
; %bb.1126:                             ;   in Loop: Header=BB253_1059 Depth=1
	v_cmp_lt_i32_e64 s0, v102, v98
	s_delay_alu instid0(VALU_DEP_1) | instskip(SKIP_1) | instid1(VALU_DEP_1)
	v_cndmask_b32_e64 v115, 0, v115, s0
	v_cmp_lt_i32_e64 s0, v112, v98
	v_cndmask_b32_e64 v116, 0, v116, s0
	v_cmp_lt_i32_e64 s0, v103, v98
	s_delay_alu instid0(VALU_DEP_1) | instskip(SKIP_1) | instid1(VALU_DEP_1)
	v_cndmask_b32_e64 v114, 0, v114, s0
	v_cmp_lt_i32_e64 s0, v86, v98
	v_cndmask_b32_e64 v113, 0, v113, s0
; %bb.1127:                             ;   in Loop: Header=BB253_1059 Depth=1
	s_or_b32 exec_lo, exec_lo, s10
	flat_load_b32 v117, v[14:15] offset:256
	v_mov_b32_e32 v16, 0
	v_mov_b32_e32 v17, 0
	s_mov_b32 s10, exec_lo
	s_waitcnt vmcnt(0) lgkmcnt(0)
	v_and_b32_e32 v8, 0xff, v117
	s_delay_alu instid0(VALU_DEP_2) | instskip(NEXT) | instid1(VALU_DEP_2)
	v_dual_mov_b32 v4, v16 :: v_dual_mov_b32 v5, v17
	v_cmpx_ne_u16_e32 0, v8
	s_cbranch_execz .LBB253_1135
; %bb.1128:                             ;   in Loop: Header=BB253_1059 Depth=1
	v_bfrev_b32_e32 v4, 1
	v_mov_b32_e32 v5, 0
	s_mov_b32 s12, exec_lo
	v_cmpx_ne_u16_e32 0x80, v8
	s_cbranch_execz .LBB253_1134
; %bb.1129:                             ;   in Loop: Header=BB253_1059 Depth=1
	v_mov_b32_e32 v4, 0x7f800001
	v_dual_mov_b32 v5, 0 :: v_dual_and_b32 v18, 0x7f, v117
	s_mov_b32 s13, exec_lo
	s_delay_alu instid0(VALU_DEP_1)
	v_cmpx_ne_u32_e32 0x7f, v18
	s_cbranch_execz .LBB253_1133
; %bb.1130:                             ;   in Loop: Header=BB253_1059 Depth=1
	v_and_b32_e32 v8, 7, v117
	v_lshrrev_b32_e32 v4, 3, v18
	s_mov_b32 s15, exec_lo
	v_cmpx_gt_u32_e32 8, v18
; %bb.1131:                             ;   in Loop: Header=BB253_1059 Depth=1
	s_delay_alu instid0(VALU_DEP_3) | instskip(NEXT) | instid1(VALU_DEP_1)
	v_clz_i32_u32_e32 v4, v8
	v_min_u32_e32 v4, 32, v4
	s_delay_alu instid0(VALU_DEP_1) | instskip(SKIP_1) | instid1(VALU_DEP_2)
	v_subrev_nc_u32_e32 v5, 28, v4
	v_sub_nc_u32_e32 v4, 29, v4
	v_lshlrev_b64 v[18:19], v5, v[8:9]
	s_delay_alu instid0(VALU_DEP_1)
	v_and_b32_e32 v8, 7, v18
; %bb.1132:                             ;   in Loop: Header=BB253_1059 Depth=1
	s_or_b32 exec_lo, exec_lo, s15
	v_lshlrev_b32_e32 v5, 24, v117
	s_delay_alu instid0(VALU_DEP_2) | instskip(SKIP_1) | instid1(VALU_DEP_3)
	v_lshlrev_b32_e32 v8, 20, v8
	v_lshl_add_u32 v4, v4, 23, 0x3c000000
	v_and_b32_e32 v5, 0x80000000, v5
	s_delay_alu instid0(VALU_DEP_1) | instskip(NEXT) | instid1(VALU_DEP_1)
	v_or3_b32 v8, v8, v5, v4
	v_dual_mov_b32 v4, v8 :: v_dual_mov_b32 v5, v9
.LBB253_1133:                           ;   in Loop: Header=BB253_1059 Depth=1
	s_or_b32 exec_lo, exec_lo, s13
.LBB253_1134:                           ;   in Loop: Header=BB253_1059 Depth=1
	s_delay_alu instid0(SALU_CYCLE_1)
	s_or_b32 exec_lo, exec_lo, s12
.LBB253_1135:                           ;   in Loop: Header=BB253_1059 Depth=1
	s_delay_alu instid0(SALU_CYCLE_1) | instskip(SKIP_2) | instid1(VALU_DEP_1)
	s_or_b32 exec_lo, exec_lo, s10
	v_lshrrev_b16 v8, 8, v117
	s_mov_b32 s12, exec_lo
	v_cmpx_ne_u16_e32 0, v8
	s_cbranch_execz .LBB253_1143
; %bb.1136:                             ;   in Loop: Header=BB253_1059 Depth=1
	v_dual_mov_b32 v17, s9 :: v_dual_mov_b32 v16, s8
	s_mov_b32 s13, exec_lo
	v_cmpx_ne_u16_e32 0x80, v8
	s_cbranch_execz .LBB253_1142
; %bb.1137:                             ;   in Loop: Header=BB253_1059 Depth=1
	s_mov_b32 s10, s8
	v_dual_mov_b32 v17, s11 :: v_dual_and_b32 v8, 0xffff, v8
	v_mov_b32_e32 v16, s10
	s_mov_b32 s10, exec_lo
	s_delay_alu instid0(VALU_DEP_2) | instskip(NEXT) | instid1(VALU_DEP_1)
	v_and_b32_e32 v18, 0x7f, v8
	v_cmpx_ne_u32_e32 0x7f, v18
	s_cbranch_execz .LBB253_1141
; %bb.1138:                             ;   in Loop: Header=BB253_1059 Depth=1
	v_and_b32_e32 v8, 7, v8
	v_lshrrev_b32_e32 v16, 3, v18
	s_mov_b32 s15, exec_lo
	v_cmpx_gt_u32_e32 8, v18
; %bb.1139:                             ;   in Loop: Header=BB253_1059 Depth=1
	s_delay_alu instid0(VALU_DEP_3) | instskip(NEXT) | instid1(VALU_DEP_1)
	v_clz_i32_u32_e32 v16, v8
	v_min_u32_e32 v16, 32, v16
	s_delay_alu instid0(VALU_DEP_1) | instskip(SKIP_1) | instid1(VALU_DEP_2)
	v_subrev_nc_u32_e32 v17, 28, v16
	v_sub_nc_u32_e32 v16, 29, v16
	v_lshlrev_b64 v[17:18], v17, v[8:9]
	s_delay_alu instid0(VALU_DEP_1)
	v_and_b32_e32 v8, 7, v17
; %bb.1140:                             ;   in Loop: Header=BB253_1059 Depth=1
	s_or_b32 exec_lo, exec_lo, s15
	v_lshlrev_b32_e32 v17, 16, v117
	s_delay_alu instid0(VALU_DEP_2) | instskip(SKIP_1) | instid1(VALU_DEP_3)
	v_lshlrev_b32_e32 v8, 20, v8
	v_lshl_add_u32 v16, v16, 23, 0x3c000000
	v_and_b32_e32 v17, 0x80000000, v17
	s_delay_alu instid0(VALU_DEP_1)
	v_or3_b32 v17, v8, v17, v16
	v_mov_b32_e32 v16, v9
.LBB253_1141:                           ;   in Loop: Header=BB253_1059 Depth=1
	s_or_b32 exec_lo, exec_lo, s10
.LBB253_1142:                           ;   in Loop: Header=BB253_1059 Depth=1
	s_delay_alu instid0(SALU_CYCLE_1)
	s_or_b32 exec_lo, exec_lo, s13
.LBB253_1143:                           ;   in Loop: Header=BB253_1059 Depth=1
	s_delay_alu instid0(SALU_CYCLE_1) | instskip(SKIP_4) | instid1(VALU_DEP_2)
	s_or_b32 exec_lo, exec_lo, s12
	v_mov_b32_e32 v20, 0
	v_lshrrev_b32_e32 v118, 16, v117
	v_mov_b32_e32 v21, 0
	s_mov_b32 s10, exec_lo
	v_and_b32_e32 v8, 0xff, v118
	s_delay_alu instid0(VALU_DEP_2) | instskip(NEXT) | instid1(VALU_DEP_2)
	v_dual_mov_b32 v18, v20 :: v_dual_mov_b32 v19, v21
	v_cmpx_ne_u16_e32 0, v8
	s_cbranch_execz .LBB253_1151
; %bb.1144:                             ;   in Loop: Header=BB253_1059 Depth=1
	v_bfrev_b32_e32 v18, 1
	v_mov_b32_e32 v19, 0
	s_mov_b32 s12, exec_lo
	v_cmpx_ne_u16_e32 0x80, v8
	s_cbranch_execz .LBB253_1150
; %bb.1145:                             ;   in Loop: Header=BB253_1059 Depth=1
	v_mov_b32_e32 v18, 0x7f800001
	v_bfe_u32 v119, v117, 16, 7
	v_mov_b32_e32 v19, 0
	s_mov_b32 s13, exec_lo
	s_delay_alu instid0(VALU_DEP_2)
	v_cmpx_ne_u32_e32 0x7f, v119
	s_cbranch_execz .LBB253_1149
; %bb.1146:                             ;   in Loop: Header=BB253_1059 Depth=1
	v_and_b32_e32 v8, 7, v118
	v_lshrrev_b32_e32 v18, 3, v119
	s_mov_b32 s15, exec_lo
	v_cmpx_gt_u32_e32 8, v119
; %bb.1147:                             ;   in Loop: Header=BB253_1059 Depth=1
	s_delay_alu instid0(VALU_DEP_3) | instskip(NEXT) | instid1(VALU_DEP_1)
	v_clz_i32_u32_e32 v18, v8
	v_min_u32_e32 v18, 32, v18
	s_delay_alu instid0(VALU_DEP_1) | instskip(SKIP_1) | instid1(VALU_DEP_2)
	v_subrev_nc_u32_e32 v19, 28, v18
	v_sub_nc_u32_e32 v18, 29, v18
	v_lshlrev_b64 v[128:129], v19, v[8:9]
	s_delay_alu instid0(VALU_DEP_1)
	v_and_b32_e32 v8, 7, v128
; %bb.1148:                             ;   in Loop: Header=BB253_1059 Depth=1
	s_or_b32 exec_lo, exec_lo, s15
	v_lshlrev_b32_e32 v19, 24, v118
	s_delay_alu instid0(VALU_DEP_2) | instskip(SKIP_1) | instid1(VALU_DEP_3)
	v_lshlrev_b32_e32 v8, 20, v8
	v_lshl_add_u32 v18, v18, 23, 0x3c000000
	v_and_b32_e32 v19, 0x80000000, v19
	s_delay_alu instid0(VALU_DEP_1) | instskip(NEXT) | instid1(VALU_DEP_1)
	v_or3_b32 v8, v8, v19, v18
	v_dual_mov_b32 v19, v9 :: v_dual_mov_b32 v18, v8
.LBB253_1149:                           ;   in Loop: Header=BB253_1059 Depth=1
	s_or_b32 exec_lo, exec_lo, s13
.LBB253_1150:                           ;   in Loop: Header=BB253_1059 Depth=1
	s_delay_alu instid0(SALU_CYCLE_1)
	s_or_b32 exec_lo, exec_lo, s12
.LBB253_1151:                           ;   in Loop: Header=BB253_1059 Depth=1
	s_delay_alu instid0(SALU_CYCLE_1) | instskip(NEXT) | instid1(SALU_CYCLE_1)
	s_or_b32 exec_lo, exec_lo, s10
	s_mov_b32 s12, exec_lo
	v_cmpx_lt_u32_e32 0xffffff, v117
	s_cbranch_execz .LBB253_1159
; %bb.1152:                             ;   in Loop: Header=BB253_1059 Depth=1
	v_lshrrev_b32_e32 v118, 24, v117
	v_dual_mov_b32 v21, s9 :: v_dual_mov_b32 v20, s8
	s_mov_b32 s13, exec_lo
	s_delay_alu instid0(VALU_DEP_2)
	v_cmpx_ne_u32_e32 0x80, v118
	s_cbranch_execz .LBB253_1158
; %bb.1153:                             ;   in Loop: Header=BB253_1059 Depth=1
	s_mov_b32 s10, s8
	v_bfe_u32 v117, v117, 24, 7
	v_dual_mov_b32 v21, s11 :: v_dual_mov_b32 v20, s10
	s_mov_b32 s10, exec_lo
	s_delay_alu instid0(VALU_DEP_2)
	v_cmpx_ne_u32_e32 0x7f, v117
	s_cbranch_execz .LBB253_1157
; %bb.1154:                             ;   in Loop: Header=BB253_1059 Depth=1
	v_and_b32_e32 v8, 7, v118
	v_lshrrev_b32_e32 v20, 3, v117
	s_mov_b32 s15, exec_lo
	v_cmpx_gt_u32_e32 8, v117
; %bb.1155:                             ;   in Loop: Header=BB253_1059 Depth=1
	s_delay_alu instid0(VALU_DEP_3) | instskip(NEXT) | instid1(VALU_DEP_1)
	v_clz_i32_u32_e32 v20, v8
	v_min_u32_e32 v20, 32, v20
	s_delay_alu instid0(VALU_DEP_1) | instskip(SKIP_1) | instid1(VALU_DEP_2)
	v_subrev_nc_u32_e32 v21, 28, v20
	v_sub_nc_u32_e32 v20, 29, v20
	v_lshlrev_b64 v[128:129], v21, v[8:9]
	s_delay_alu instid0(VALU_DEP_1)
	v_and_b32_e32 v8, 7, v128
; %bb.1156:                             ;   in Loop: Header=BB253_1059 Depth=1
	s_or_b32 exec_lo, exec_lo, s15
	v_lshlrev_b32_e32 v21, 24, v118
	s_delay_alu instid0(VALU_DEP_2) | instskip(SKIP_1) | instid1(VALU_DEP_3)
	v_lshlrev_b32_e32 v8, 20, v8
	v_lshl_add_u32 v20, v20, 23, 0x3c000000
	v_and_b32_e32 v21, 0x80000000, v21
	s_delay_alu instid0(VALU_DEP_1)
	v_or3_b32 v21, v8, v21, v20
	v_mov_b32_e32 v20, v9
.LBB253_1157:                           ;   in Loop: Header=BB253_1059 Depth=1
	s_or_b32 exec_lo, exec_lo, s10
.LBB253_1158:                           ;   in Loop: Header=BB253_1059 Depth=1
	s_delay_alu instid0(SALU_CYCLE_1)
	s_or_b32 exec_lo, exec_lo, s13
.LBB253_1159:                           ;   in Loop: Header=BB253_1059 Depth=1
	s_delay_alu instid0(SALU_CYCLE_1) | instskip(SKIP_4) | instid1(VALU_DEP_3)
	s_or_b32 exec_lo, exec_lo, s12
	v_or_b32_e32 v5, v17, v5
	v_or_b32_e32 v4, v16, v4
	;; [unrolled: 1-line block ×4, first 2 shown]
	v_dual_mul_f32 v128, v96, v5 :: v_dual_mul_f32 v119, v82, v4
	s_delay_alu instid0(VALU_DEP_3) | instskip(NEXT) | instid1(VALU_DEP_3)
	v_mul_f32_e32 v117, v96, v8
	v_mul_f32_e32 v118, v82, v16
	s_and_saveexec_b32 s10, vcc_lo
; %bb.1160:                             ;   in Loop: Header=BB253_1059 Depth=1
	v_cmp_lt_i32_e64 s0, v102, v98
	s_delay_alu instid0(VALU_DEP_1) | instskip(SKIP_1) | instid1(VALU_DEP_1)
	v_cndmask_b32_e64 v119, 0, v119, s0
	v_cmp_lt_i32_e64 s0, v112, v98
	v_cndmask_b32_e64 v128, 0, v128, s0
	v_cmp_lt_i32_e64 s0, v103, v98
	s_delay_alu instid0(VALU_DEP_1) | instskip(SKIP_1) | instid1(VALU_DEP_1)
	v_cndmask_b32_e64 v118, 0, v118, s0
	v_cmp_lt_i32_e64 s0, v86, v98
	v_cndmask_b32_e64 v117, 0, v117, s0
; %bb.1161:                             ;   in Loop: Header=BB253_1059 Depth=1
	s_or_b32 exec_lo, exec_lo, s10
	flat_load_b32 v129, v[14:15] offset:384
	v_mov_b32_e32 v16, 0
	v_mov_b32_e32 v17, 0
	s_mov_b32 s10, exec_lo
	s_waitcnt vmcnt(0) lgkmcnt(0)
	v_and_b32_e32 v8, 0xff, v129
	s_delay_alu instid0(VALU_DEP_2) | instskip(NEXT) | instid1(VALU_DEP_2)
	v_dual_mov_b32 v4, v16 :: v_dual_mov_b32 v5, v17
	v_cmpx_ne_u16_e32 0, v8
	s_cbranch_execz .LBB253_1169
; %bb.1162:                             ;   in Loop: Header=BB253_1059 Depth=1
	v_bfrev_b32_e32 v4, 1
	v_mov_b32_e32 v5, 0
	s_mov_b32 s12, exec_lo
	v_cmpx_ne_u16_e32 0x80, v8
	s_cbranch_execz .LBB253_1168
; %bb.1163:                             ;   in Loop: Header=BB253_1059 Depth=1
	v_mov_b32_e32 v4, 0x7f800001
	v_dual_mov_b32 v5, 0 :: v_dual_and_b32 v18, 0x7f, v129
	s_mov_b32 s13, exec_lo
	s_delay_alu instid0(VALU_DEP_1)
	v_cmpx_ne_u32_e32 0x7f, v18
	s_cbranch_execz .LBB253_1167
; %bb.1164:                             ;   in Loop: Header=BB253_1059 Depth=1
	v_and_b32_e32 v8, 7, v129
	v_lshrrev_b32_e32 v4, 3, v18
	s_mov_b32 s15, exec_lo
	v_cmpx_gt_u32_e32 8, v18
; %bb.1165:                             ;   in Loop: Header=BB253_1059 Depth=1
	s_delay_alu instid0(VALU_DEP_3) | instskip(NEXT) | instid1(VALU_DEP_1)
	v_clz_i32_u32_e32 v4, v8
	v_min_u32_e32 v4, 32, v4
	s_delay_alu instid0(VALU_DEP_1) | instskip(SKIP_1) | instid1(VALU_DEP_2)
	v_subrev_nc_u32_e32 v5, 28, v4
	v_sub_nc_u32_e32 v4, 29, v4
	v_lshlrev_b64 v[18:19], v5, v[8:9]
	s_delay_alu instid0(VALU_DEP_1)
	v_and_b32_e32 v8, 7, v18
; %bb.1166:                             ;   in Loop: Header=BB253_1059 Depth=1
	s_or_b32 exec_lo, exec_lo, s15
	v_lshlrev_b32_e32 v5, 24, v129
	s_delay_alu instid0(VALU_DEP_2) | instskip(SKIP_1) | instid1(VALU_DEP_3)
	v_lshlrev_b32_e32 v8, 20, v8
	v_lshl_add_u32 v4, v4, 23, 0x3c000000
	v_and_b32_e32 v5, 0x80000000, v5
	s_delay_alu instid0(VALU_DEP_1) | instskip(NEXT) | instid1(VALU_DEP_1)
	v_or3_b32 v8, v8, v5, v4
	v_dual_mov_b32 v4, v8 :: v_dual_mov_b32 v5, v9
.LBB253_1167:                           ;   in Loop: Header=BB253_1059 Depth=1
	s_or_b32 exec_lo, exec_lo, s13
.LBB253_1168:                           ;   in Loop: Header=BB253_1059 Depth=1
	s_delay_alu instid0(SALU_CYCLE_1)
	s_or_b32 exec_lo, exec_lo, s12
.LBB253_1169:                           ;   in Loop: Header=BB253_1059 Depth=1
	s_delay_alu instid0(SALU_CYCLE_1) | instskip(SKIP_2) | instid1(VALU_DEP_1)
	s_or_b32 exec_lo, exec_lo, s10
	v_lshrrev_b16 v8, 8, v129
	s_mov_b32 s12, exec_lo
	v_cmpx_ne_u16_e32 0, v8
	s_cbranch_execz .LBB253_1177
; %bb.1170:                             ;   in Loop: Header=BB253_1059 Depth=1
	v_dual_mov_b32 v17, s9 :: v_dual_mov_b32 v16, s8
	s_mov_b32 s13, exec_lo
	v_cmpx_ne_u16_e32 0x80, v8
	s_cbranch_execz .LBB253_1176
; %bb.1171:                             ;   in Loop: Header=BB253_1059 Depth=1
	s_mov_b32 s10, s8
	v_dual_mov_b32 v17, s11 :: v_dual_and_b32 v8, 0xffff, v8
	v_mov_b32_e32 v16, s10
	s_mov_b32 s10, exec_lo
	s_delay_alu instid0(VALU_DEP_2) | instskip(NEXT) | instid1(VALU_DEP_1)
	v_and_b32_e32 v18, 0x7f, v8
	v_cmpx_ne_u32_e32 0x7f, v18
	s_cbranch_execz .LBB253_1175
; %bb.1172:                             ;   in Loop: Header=BB253_1059 Depth=1
	v_and_b32_e32 v8, 7, v8
	v_lshrrev_b32_e32 v16, 3, v18
	s_mov_b32 s15, exec_lo
	v_cmpx_gt_u32_e32 8, v18
; %bb.1173:                             ;   in Loop: Header=BB253_1059 Depth=1
	s_delay_alu instid0(VALU_DEP_3) | instskip(NEXT) | instid1(VALU_DEP_1)
	v_clz_i32_u32_e32 v16, v8
	v_min_u32_e32 v16, 32, v16
	s_delay_alu instid0(VALU_DEP_1) | instskip(SKIP_1) | instid1(VALU_DEP_2)
	v_subrev_nc_u32_e32 v17, 28, v16
	v_sub_nc_u32_e32 v16, 29, v16
	v_lshlrev_b64 v[17:18], v17, v[8:9]
	s_delay_alu instid0(VALU_DEP_1)
	v_and_b32_e32 v8, 7, v17
; %bb.1174:                             ;   in Loop: Header=BB253_1059 Depth=1
	s_or_b32 exec_lo, exec_lo, s15
	v_lshlrev_b32_e32 v17, 16, v129
	s_delay_alu instid0(VALU_DEP_2) | instskip(SKIP_1) | instid1(VALU_DEP_3)
	v_lshlrev_b32_e32 v8, 20, v8
	v_lshl_add_u32 v16, v16, 23, 0x3c000000
	v_and_b32_e32 v17, 0x80000000, v17
	s_delay_alu instid0(VALU_DEP_1)
	v_or3_b32 v17, v8, v17, v16
	v_mov_b32_e32 v16, v9
.LBB253_1175:                           ;   in Loop: Header=BB253_1059 Depth=1
	s_or_b32 exec_lo, exec_lo, s10
.LBB253_1176:                           ;   in Loop: Header=BB253_1059 Depth=1
	s_delay_alu instid0(SALU_CYCLE_1)
	s_or_b32 exec_lo, exec_lo, s13
.LBB253_1177:                           ;   in Loop: Header=BB253_1059 Depth=1
	s_delay_alu instid0(SALU_CYCLE_1) | instskip(SKIP_4) | instid1(VALU_DEP_2)
	s_or_b32 exec_lo, exec_lo, s12
	v_mov_b32_e32 v20, 0
	v_lshrrev_b32_e32 v130, 16, v129
	v_mov_b32_e32 v21, 0
	s_mov_b32 s10, exec_lo
	v_and_b32_e32 v8, 0xff, v130
	s_delay_alu instid0(VALU_DEP_2) | instskip(NEXT) | instid1(VALU_DEP_2)
	v_dual_mov_b32 v18, v20 :: v_dual_mov_b32 v19, v21
	v_cmpx_ne_u16_e32 0, v8
	s_cbranch_execz .LBB253_1185
; %bb.1178:                             ;   in Loop: Header=BB253_1059 Depth=1
	v_bfrev_b32_e32 v18, 1
	v_mov_b32_e32 v19, 0
	s_mov_b32 s12, exec_lo
	v_cmpx_ne_u16_e32 0x80, v8
	s_cbranch_execz .LBB253_1184
; %bb.1179:                             ;   in Loop: Header=BB253_1059 Depth=1
	v_mov_b32_e32 v18, 0x7f800001
	v_bfe_u32 v131, v129, 16, 7
	v_mov_b32_e32 v19, 0
	s_mov_b32 s13, exec_lo
	s_delay_alu instid0(VALU_DEP_2)
	v_cmpx_ne_u32_e32 0x7f, v131
	s_cbranch_execz .LBB253_1183
; %bb.1180:                             ;   in Loop: Header=BB253_1059 Depth=1
	v_and_b32_e32 v8, 7, v130
	v_lshrrev_b32_e32 v18, 3, v131
	s_mov_b32 s15, exec_lo
	v_cmpx_gt_u32_e32 8, v131
; %bb.1181:                             ;   in Loop: Header=BB253_1059 Depth=1
	s_delay_alu instid0(VALU_DEP_3) | instskip(NEXT) | instid1(VALU_DEP_1)
	v_clz_i32_u32_e32 v18, v8
	v_min_u32_e32 v18, 32, v18
	s_delay_alu instid0(VALU_DEP_1) | instskip(SKIP_1) | instid1(VALU_DEP_2)
	v_subrev_nc_u32_e32 v19, 28, v18
	v_sub_nc_u32_e32 v18, 29, v18
	v_lshlrev_b64 v[131:132], v19, v[8:9]
	s_delay_alu instid0(VALU_DEP_1)
	v_and_b32_e32 v8, 7, v131
; %bb.1182:                             ;   in Loop: Header=BB253_1059 Depth=1
	s_or_b32 exec_lo, exec_lo, s15
	v_lshlrev_b32_e32 v19, 24, v130
	s_delay_alu instid0(VALU_DEP_2) | instskip(SKIP_1) | instid1(VALU_DEP_3)
	v_lshlrev_b32_e32 v8, 20, v8
	v_lshl_add_u32 v18, v18, 23, 0x3c000000
	v_and_b32_e32 v19, 0x80000000, v19
	s_delay_alu instid0(VALU_DEP_1) | instskip(NEXT) | instid1(VALU_DEP_1)
	v_or3_b32 v8, v8, v19, v18
	v_dual_mov_b32 v19, v9 :: v_dual_mov_b32 v18, v8
.LBB253_1183:                           ;   in Loop: Header=BB253_1059 Depth=1
	s_or_b32 exec_lo, exec_lo, s13
.LBB253_1184:                           ;   in Loop: Header=BB253_1059 Depth=1
	s_delay_alu instid0(SALU_CYCLE_1)
	s_or_b32 exec_lo, exec_lo, s12
.LBB253_1185:                           ;   in Loop: Header=BB253_1059 Depth=1
	s_delay_alu instid0(SALU_CYCLE_1) | instskip(NEXT) | instid1(SALU_CYCLE_1)
	s_or_b32 exec_lo, exec_lo, s10
	s_mov_b32 s12, exec_lo
	v_cmpx_lt_u32_e32 0xffffff, v129
	s_cbranch_execz .LBB253_1193
; %bb.1186:                             ;   in Loop: Header=BB253_1059 Depth=1
	v_lshrrev_b32_e32 v130, 24, v129
	v_dual_mov_b32 v21, s9 :: v_dual_mov_b32 v20, s8
	s_mov_b32 s13, exec_lo
	s_delay_alu instid0(VALU_DEP_2)
	v_cmpx_ne_u32_e32 0x80, v130
	s_cbranch_execz .LBB253_1192
; %bb.1187:                             ;   in Loop: Header=BB253_1059 Depth=1
	s_mov_b32 s10, s8
	v_bfe_u32 v129, v129, 24, 7
	v_dual_mov_b32 v21, s11 :: v_dual_mov_b32 v20, s10
	s_mov_b32 s10, exec_lo
	s_delay_alu instid0(VALU_DEP_2)
	v_cmpx_ne_u32_e32 0x7f, v129
	s_cbranch_execz .LBB253_1191
; %bb.1188:                             ;   in Loop: Header=BB253_1059 Depth=1
	v_and_b32_e32 v8, 7, v130
	v_lshrrev_b32_e32 v20, 3, v129
	s_mov_b32 s15, exec_lo
	v_cmpx_gt_u32_e32 8, v129
; %bb.1189:                             ;   in Loop: Header=BB253_1059 Depth=1
	s_delay_alu instid0(VALU_DEP_3) | instskip(NEXT) | instid1(VALU_DEP_1)
	v_clz_i32_u32_e32 v20, v8
	v_min_u32_e32 v20, 32, v20
	s_delay_alu instid0(VALU_DEP_1) | instskip(SKIP_1) | instid1(VALU_DEP_2)
	v_subrev_nc_u32_e32 v21, 28, v20
	v_sub_nc_u32_e32 v20, 29, v20
	v_lshlrev_b64 v[131:132], v21, v[8:9]
	s_delay_alu instid0(VALU_DEP_1)
	v_and_b32_e32 v8, 7, v131
; %bb.1190:                             ;   in Loop: Header=BB253_1059 Depth=1
	s_or_b32 exec_lo, exec_lo, s15
	v_lshlrev_b32_e32 v21, 24, v130
	s_delay_alu instid0(VALU_DEP_2) | instskip(SKIP_1) | instid1(VALU_DEP_3)
	v_lshlrev_b32_e32 v8, 20, v8
	v_lshl_add_u32 v20, v20, 23, 0x3c000000
	v_and_b32_e32 v21, 0x80000000, v21
	s_delay_alu instid0(VALU_DEP_1)
	v_or3_b32 v21, v8, v21, v20
	v_mov_b32_e32 v20, v9
.LBB253_1191:                           ;   in Loop: Header=BB253_1059 Depth=1
	s_or_b32 exec_lo, exec_lo, s10
.LBB253_1192:                           ;   in Loop: Header=BB253_1059 Depth=1
	s_delay_alu instid0(SALU_CYCLE_1)
	s_or_b32 exec_lo, exec_lo, s13
.LBB253_1193:                           ;   in Loop: Header=BB253_1059 Depth=1
	s_delay_alu instid0(SALU_CYCLE_1) | instskip(SKIP_4) | instid1(VALU_DEP_3)
	s_or_b32 exec_lo, exec_lo, s12
	v_or_b32_e32 v5, v17, v5
	v_or_b32_e32 v4, v16, v4
	;; [unrolled: 1-line block ×4, first 2 shown]
	v_dual_mul_f32 v132, v96, v5 :: v_dual_mul_f32 v131, v82, v4
	s_delay_alu instid0(VALU_DEP_3) | instskip(NEXT) | instid1(VALU_DEP_3)
	v_mul_f32_e32 v129, v96, v8
	v_mul_f32_e32 v130, v82, v16
	s_and_saveexec_b32 s10, vcc_lo
; %bb.1194:                             ;   in Loop: Header=BB253_1059 Depth=1
	v_cmp_lt_i32_e64 s0, v102, v98
	s_delay_alu instid0(VALU_DEP_1) | instskip(SKIP_1) | instid1(VALU_DEP_1)
	v_cndmask_b32_e64 v131, 0, v131, s0
	v_cmp_lt_i32_e64 s0, v112, v98
	v_cndmask_b32_e64 v132, 0, v132, s0
	v_cmp_lt_i32_e64 s0, v103, v98
	s_delay_alu instid0(VALU_DEP_1) | instskip(SKIP_1) | instid1(VALU_DEP_1)
	v_cndmask_b32_e64 v130, 0, v130, s0
	v_cmp_lt_i32_e64 s0, v86, v98
	v_cndmask_b32_e64 v129, 0, v129, s0
; %bb.1195:                             ;   in Loop: Header=BB253_1059 Depth=1
	s_or_b32 exec_lo, exec_lo, s10
	flat_load_b32 v133, v[14:15] offset:512
	v_mov_b32_e32 v16, 0
	v_mov_b32_e32 v17, 0
	s_mov_b32 s10, exec_lo
	s_waitcnt vmcnt(0) lgkmcnt(0)
	v_and_b32_e32 v8, 0xff, v133
	s_delay_alu instid0(VALU_DEP_2) | instskip(NEXT) | instid1(VALU_DEP_2)
	v_dual_mov_b32 v4, v16 :: v_dual_mov_b32 v5, v17
	v_cmpx_ne_u16_e32 0, v8
	s_cbranch_execz .LBB253_1203
; %bb.1196:                             ;   in Loop: Header=BB253_1059 Depth=1
	v_bfrev_b32_e32 v4, 1
	v_mov_b32_e32 v5, 0
	s_mov_b32 s12, exec_lo
	v_cmpx_ne_u16_e32 0x80, v8
	s_cbranch_execz .LBB253_1202
; %bb.1197:                             ;   in Loop: Header=BB253_1059 Depth=1
	v_mov_b32_e32 v4, 0x7f800001
	v_dual_mov_b32 v5, 0 :: v_dual_and_b32 v18, 0x7f, v133
	s_mov_b32 s13, exec_lo
	s_delay_alu instid0(VALU_DEP_1)
	v_cmpx_ne_u32_e32 0x7f, v18
	s_cbranch_execz .LBB253_1201
; %bb.1198:                             ;   in Loop: Header=BB253_1059 Depth=1
	v_and_b32_e32 v8, 7, v133
	v_lshrrev_b32_e32 v4, 3, v18
	s_mov_b32 s15, exec_lo
	v_cmpx_gt_u32_e32 8, v18
; %bb.1199:                             ;   in Loop: Header=BB253_1059 Depth=1
	s_delay_alu instid0(VALU_DEP_3) | instskip(NEXT) | instid1(VALU_DEP_1)
	v_clz_i32_u32_e32 v4, v8
	v_min_u32_e32 v4, 32, v4
	s_delay_alu instid0(VALU_DEP_1) | instskip(SKIP_1) | instid1(VALU_DEP_2)
	v_subrev_nc_u32_e32 v5, 28, v4
	v_sub_nc_u32_e32 v4, 29, v4
	v_lshlrev_b64 v[18:19], v5, v[8:9]
	s_delay_alu instid0(VALU_DEP_1)
	v_and_b32_e32 v8, 7, v18
; %bb.1200:                             ;   in Loop: Header=BB253_1059 Depth=1
	s_or_b32 exec_lo, exec_lo, s15
	v_lshlrev_b32_e32 v5, 24, v133
	s_delay_alu instid0(VALU_DEP_2) | instskip(SKIP_1) | instid1(VALU_DEP_3)
	v_lshlrev_b32_e32 v8, 20, v8
	v_lshl_add_u32 v4, v4, 23, 0x3c000000
	v_and_b32_e32 v5, 0x80000000, v5
	s_delay_alu instid0(VALU_DEP_1) | instskip(NEXT) | instid1(VALU_DEP_1)
	v_or3_b32 v8, v8, v5, v4
	v_dual_mov_b32 v4, v8 :: v_dual_mov_b32 v5, v9
.LBB253_1201:                           ;   in Loop: Header=BB253_1059 Depth=1
	s_or_b32 exec_lo, exec_lo, s13
.LBB253_1202:                           ;   in Loop: Header=BB253_1059 Depth=1
	s_delay_alu instid0(SALU_CYCLE_1)
	s_or_b32 exec_lo, exec_lo, s12
.LBB253_1203:                           ;   in Loop: Header=BB253_1059 Depth=1
	s_delay_alu instid0(SALU_CYCLE_1) | instskip(SKIP_2) | instid1(VALU_DEP_1)
	s_or_b32 exec_lo, exec_lo, s10
	v_lshrrev_b16 v8, 8, v133
	s_mov_b32 s12, exec_lo
	v_cmpx_ne_u16_e32 0, v8
	s_cbranch_execz .LBB253_1211
; %bb.1204:                             ;   in Loop: Header=BB253_1059 Depth=1
	v_dual_mov_b32 v17, s9 :: v_dual_mov_b32 v16, s8
	s_mov_b32 s13, exec_lo
	v_cmpx_ne_u16_e32 0x80, v8
	s_cbranch_execz .LBB253_1210
; %bb.1205:                             ;   in Loop: Header=BB253_1059 Depth=1
	s_mov_b32 s10, s8
	v_dual_mov_b32 v17, s11 :: v_dual_and_b32 v8, 0xffff, v8
	v_mov_b32_e32 v16, s10
	s_mov_b32 s10, exec_lo
	s_delay_alu instid0(VALU_DEP_2) | instskip(NEXT) | instid1(VALU_DEP_1)
	v_and_b32_e32 v18, 0x7f, v8
	v_cmpx_ne_u32_e32 0x7f, v18
	s_cbranch_execz .LBB253_1209
; %bb.1206:                             ;   in Loop: Header=BB253_1059 Depth=1
	v_and_b32_e32 v8, 7, v8
	v_lshrrev_b32_e32 v16, 3, v18
	s_mov_b32 s15, exec_lo
	v_cmpx_gt_u32_e32 8, v18
; %bb.1207:                             ;   in Loop: Header=BB253_1059 Depth=1
	s_delay_alu instid0(VALU_DEP_3) | instskip(NEXT) | instid1(VALU_DEP_1)
	v_clz_i32_u32_e32 v16, v8
	v_min_u32_e32 v16, 32, v16
	s_delay_alu instid0(VALU_DEP_1) | instskip(SKIP_1) | instid1(VALU_DEP_2)
	v_subrev_nc_u32_e32 v17, 28, v16
	v_sub_nc_u32_e32 v16, 29, v16
	v_lshlrev_b64 v[17:18], v17, v[8:9]
	s_delay_alu instid0(VALU_DEP_1)
	v_and_b32_e32 v8, 7, v17
; %bb.1208:                             ;   in Loop: Header=BB253_1059 Depth=1
	s_or_b32 exec_lo, exec_lo, s15
	v_lshlrev_b32_e32 v17, 16, v133
	s_delay_alu instid0(VALU_DEP_2) | instskip(SKIP_1) | instid1(VALU_DEP_3)
	v_lshlrev_b32_e32 v8, 20, v8
	v_lshl_add_u32 v16, v16, 23, 0x3c000000
	v_and_b32_e32 v17, 0x80000000, v17
	s_delay_alu instid0(VALU_DEP_1)
	v_or3_b32 v17, v8, v17, v16
	v_mov_b32_e32 v16, v9
.LBB253_1209:                           ;   in Loop: Header=BB253_1059 Depth=1
	s_or_b32 exec_lo, exec_lo, s10
.LBB253_1210:                           ;   in Loop: Header=BB253_1059 Depth=1
	s_delay_alu instid0(SALU_CYCLE_1)
	s_or_b32 exec_lo, exec_lo, s13
.LBB253_1211:                           ;   in Loop: Header=BB253_1059 Depth=1
	s_delay_alu instid0(SALU_CYCLE_1) | instskip(SKIP_4) | instid1(VALU_DEP_2)
	s_or_b32 exec_lo, exec_lo, s12
	v_mov_b32_e32 v20, 0
	v_lshrrev_b32_e32 v134, 16, v133
	v_mov_b32_e32 v21, 0
	s_mov_b32 s10, exec_lo
	v_and_b32_e32 v8, 0xff, v134
	s_delay_alu instid0(VALU_DEP_2) | instskip(NEXT) | instid1(VALU_DEP_2)
	v_dual_mov_b32 v18, v20 :: v_dual_mov_b32 v19, v21
	v_cmpx_ne_u16_e32 0, v8
	s_cbranch_execz .LBB253_1219
; %bb.1212:                             ;   in Loop: Header=BB253_1059 Depth=1
	v_bfrev_b32_e32 v18, 1
	v_mov_b32_e32 v19, 0
	s_mov_b32 s12, exec_lo
	v_cmpx_ne_u16_e32 0x80, v8
	s_cbranch_execz .LBB253_1218
; %bb.1213:                             ;   in Loop: Header=BB253_1059 Depth=1
	v_mov_b32_e32 v18, 0x7f800001
	v_bfe_u32 v135, v133, 16, 7
	v_mov_b32_e32 v19, 0
	s_mov_b32 s13, exec_lo
	s_delay_alu instid0(VALU_DEP_2)
	v_cmpx_ne_u32_e32 0x7f, v135
	s_cbranch_execz .LBB253_1217
; %bb.1214:                             ;   in Loop: Header=BB253_1059 Depth=1
	v_and_b32_e32 v8, 7, v134
	v_lshrrev_b32_e32 v18, 3, v135
	s_mov_b32 s15, exec_lo
	v_cmpx_gt_u32_e32 8, v135
; %bb.1215:                             ;   in Loop: Header=BB253_1059 Depth=1
	s_delay_alu instid0(VALU_DEP_3) | instskip(NEXT) | instid1(VALU_DEP_1)
	v_clz_i32_u32_e32 v18, v8
	v_min_u32_e32 v18, 32, v18
	s_delay_alu instid0(VALU_DEP_1) | instskip(SKIP_1) | instid1(VALU_DEP_2)
	v_subrev_nc_u32_e32 v19, 28, v18
	v_sub_nc_u32_e32 v18, 29, v18
	v_lshlrev_b64 v[144:145], v19, v[8:9]
	s_delay_alu instid0(VALU_DEP_1)
	v_and_b32_e32 v8, 7, v144
; %bb.1216:                             ;   in Loop: Header=BB253_1059 Depth=1
	s_or_b32 exec_lo, exec_lo, s15
	v_lshlrev_b32_e32 v19, 24, v134
	s_delay_alu instid0(VALU_DEP_2) | instskip(SKIP_1) | instid1(VALU_DEP_3)
	v_lshlrev_b32_e32 v8, 20, v8
	v_lshl_add_u32 v18, v18, 23, 0x3c000000
	v_and_b32_e32 v19, 0x80000000, v19
	s_delay_alu instid0(VALU_DEP_1) | instskip(NEXT) | instid1(VALU_DEP_1)
	v_or3_b32 v8, v8, v19, v18
	v_dual_mov_b32 v19, v9 :: v_dual_mov_b32 v18, v8
.LBB253_1217:                           ;   in Loop: Header=BB253_1059 Depth=1
	s_or_b32 exec_lo, exec_lo, s13
.LBB253_1218:                           ;   in Loop: Header=BB253_1059 Depth=1
	s_delay_alu instid0(SALU_CYCLE_1)
	s_or_b32 exec_lo, exec_lo, s12
.LBB253_1219:                           ;   in Loop: Header=BB253_1059 Depth=1
	s_delay_alu instid0(SALU_CYCLE_1) | instskip(NEXT) | instid1(SALU_CYCLE_1)
	s_or_b32 exec_lo, exec_lo, s10
	s_mov_b32 s12, exec_lo
	v_cmpx_lt_u32_e32 0xffffff, v133
	s_cbranch_execz .LBB253_1227
; %bb.1220:                             ;   in Loop: Header=BB253_1059 Depth=1
	v_lshrrev_b32_e32 v134, 24, v133
	v_dual_mov_b32 v21, s9 :: v_dual_mov_b32 v20, s8
	s_mov_b32 s13, exec_lo
	s_delay_alu instid0(VALU_DEP_2)
	v_cmpx_ne_u32_e32 0x80, v134
	s_cbranch_execz .LBB253_1226
; %bb.1221:                             ;   in Loop: Header=BB253_1059 Depth=1
	s_mov_b32 s10, s8
	v_bfe_u32 v133, v133, 24, 7
	v_dual_mov_b32 v21, s11 :: v_dual_mov_b32 v20, s10
	s_mov_b32 s10, exec_lo
	s_delay_alu instid0(VALU_DEP_2)
	v_cmpx_ne_u32_e32 0x7f, v133
	s_cbranch_execz .LBB253_1225
; %bb.1222:                             ;   in Loop: Header=BB253_1059 Depth=1
	v_and_b32_e32 v8, 7, v134
	v_lshrrev_b32_e32 v20, 3, v133
	s_mov_b32 s15, exec_lo
	v_cmpx_gt_u32_e32 8, v133
; %bb.1223:                             ;   in Loop: Header=BB253_1059 Depth=1
	s_delay_alu instid0(VALU_DEP_3) | instskip(NEXT) | instid1(VALU_DEP_1)
	v_clz_i32_u32_e32 v20, v8
	v_min_u32_e32 v20, 32, v20
	s_delay_alu instid0(VALU_DEP_1) | instskip(SKIP_1) | instid1(VALU_DEP_2)
	v_subrev_nc_u32_e32 v21, 28, v20
	v_sub_nc_u32_e32 v20, 29, v20
	v_lshlrev_b64 v[144:145], v21, v[8:9]
	s_delay_alu instid0(VALU_DEP_1)
	v_and_b32_e32 v8, 7, v144
; %bb.1224:                             ;   in Loop: Header=BB253_1059 Depth=1
	s_or_b32 exec_lo, exec_lo, s15
	v_lshlrev_b32_e32 v21, 24, v134
	s_delay_alu instid0(VALU_DEP_2) | instskip(SKIP_1) | instid1(VALU_DEP_3)
	v_lshlrev_b32_e32 v8, 20, v8
	v_lshl_add_u32 v20, v20, 23, 0x3c000000
	v_and_b32_e32 v21, 0x80000000, v21
	s_delay_alu instid0(VALU_DEP_1)
	v_or3_b32 v21, v8, v21, v20
	v_mov_b32_e32 v20, v9
.LBB253_1225:                           ;   in Loop: Header=BB253_1059 Depth=1
	s_or_b32 exec_lo, exec_lo, s10
.LBB253_1226:                           ;   in Loop: Header=BB253_1059 Depth=1
	s_delay_alu instid0(SALU_CYCLE_1)
	s_or_b32 exec_lo, exec_lo, s13
.LBB253_1227:                           ;   in Loop: Header=BB253_1059 Depth=1
	s_delay_alu instid0(SALU_CYCLE_1) | instskip(SKIP_4) | instid1(VALU_DEP_3)
	s_or_b32 exec_lo, exec_lo, s12
	v_or_b32_e32 v5, v17, v5
	v_or_b32_e32 v4, v16, v4
	;; [unrolled: 1-line block ×4, first 2 shown]
	v_dual_mul_f32 v144, v96, v5 :: v_dual_mul_f32 v135, v82, v4
	s_delay_alu instid0(VALU_DEP_3) | instskip(NEXT) | instid1(VALU_DEP_3)
	v_mul_f32_e32 v133, v96, v8
	v_mul_f32_e32 v134, v82, v16
	s_and_saveexec_b32 s10, vcc_lo
; %bb.1228:                             ;   in Loop: Header=BB253_1059 Depth=1
	v_cmp_lt_i32_e64 s0, v102, v98
	s_delay_alu instid0(VALU_DEP_1) | instskip(SKIP_1) | instid1(VALU_DEP_1)
	v_cndmask_b32_e64 v135, 0, v135, s0
	v_cmp_lt_i32_e64 s0, v112, v98
	v_cndmask_b32_e64 v144, 0, v144, s0
	v_cmp_lt_i32_e64 s0, v103, v98
	s_delay_alu instid0(VALU_DEP_1) | instskip(SKIP_1) | instid1(VALU_DEP_1)
	v_cndmask_b32_e64 v134, 0, v134, s0
	v_cmp_lt_i32_e64 s0, v86, v98
	v_cndmask_b32_e64 v133, 0, v133, s0
; %bb.1229:                             ;   in Loop: Header=BB253_1059 Depth=1
	s_or_b32 exec_lo, exec_lo, s10
	flat_load_b32 v145, v[14:15] offset:640
	v_mov_b32_e32 v16, 0
	v_mov_b32_e32 v17, 0
	s_mov_b32 s10, exec_lo
	s_waitcnt vmcnt(0) lgkmcnt(0)
	v_and_b32_e32 v8, 0xff, v145
	s_delay_alu instid0(VALU_DEP_2) | instskip(NEXT) | instid1(VALU_DEP_2)
	v_dual_mov_b32 v4, v16 :: v_dual_mov_b32 v5, v17
	v_cmpx_ne_u16_e32 0, v8
	s_cbranch_execz .LBB253_1237
; %bb.1230:                             ;   in Loop: Header=BB253_1059 Depth=1
	v_bfrev_b32_e32 v4, 1
	v_mov_b32_e32 v5, 0
	s_mov_b32 s12, exec_lo
	v_cmpx_ne_u16_e32 0x80, v8
	s_cbranch_execz .LBB253_1236
; %bb.1231:                             ;   in Loop: Header=BB253_1059 Depth=1
	v_mov_b32_e32 v4, 0x7f800001
	v_dual_mov_b32 v5, 0 :: v_dual_and_b32 v18, 0x7f, v145
	s_mov_b32 s13, exec_lo
	s_delay_alu instid0(VALU_DEP_1)
	v_cmpx_ne_u32_e32 0x7f, v18
	s_cbranch_execz .LBB253_1235
; %bb.1232:                             ;   in Loop: Header=BB253_1059 Depth=1
	v_and_b32_e32 v8, 7, v145
	v_lshrrev_b32_e32 v4, 3, v18
	s_mov_b32 s15, exec_lo
	v_cmpx_gt_u32_e32 8, v18
; %bb.1233:                             ;   in Loop: Header=BB253_1059 Depth=1
	s_delay_alu instid0(VALU_DEP_3) | instskip(NEXT) | instid1(VALU_DEP_1)
	v_clz_i32_u32_e32 v4, v8
	v_min_u32_e32 v4, 32, v4
	s_delay_alu instid0(VALU_DEP_1) | instskip(SKIP_1) | instid1(VALU_DEP_2)
	v_subrev_nc_u32_e32 v5, 28, v4
	v_sub_nc_u32_e32 v4, 29, v4
	v_lshlrev_b64 v[18:19], v5, v[8:9]
	s_delay_alu instid0(VALU_DEP_1)
	v_and_b32_e32 v8, 7, v18
; %bb.1234:                             ;   in Loop: Header=BB253_1059 Depth=1
	s_or_b32 exec_lo, exec_lo, s15
	v_lshlrev_b32_e32 v5, 24, v145
	s_delay_alu instid0(VALU_DEP_2) | instskip(SKIP_1) | instid1(VALU_DEP_3)
	v_lshlrev_b32_e32 v8, 20, v8
	v_lshl_add_u32 v4, v4, 23, 0x3c000000
	v_and_b32_e32 v5, 0x80000000, v5
	s_delay_alu instid0(VALU_DEP_1) | instskip(NEXT) | instid1(VALU_DEP_1)
	v_or3_b32 v8, v8, v5, v4
	v_dual_mov_b32 v4, v8 :: v_dual_mov_b32 v5, v9
.LBB253_1235:                           ;   in Loop: Header=BB253_1059 Depth=1
	s_or_b32 exec_lo, exec_lo, s13
.LBB253_1236:                           ;   in Loop: Header=BB253_1059 Depth=1
	s_delay_alu instid0(SALU_CYCLE_1)
	s_or_b32 exec_lo, exec_lo, s12
.LBB253_1237:                           ;   in Loop: Header=BB253_1059 Depth=1
	s_delay_alu instid0(SALU_CYCLE_1) | instskip(SKIP_2) | instid1(VALU_DEP_1)
	s_or_b32 exec_lo, exec_lo, s10
	v_lshrrev_b16 v8, 8, v145
	s_mov_b32 s12, exec_lo
	v_cmpx_ne_u16_e32 0, v8
	s_cbranch_execz .LBB253_1245
; %bb.1238:                             ;   in Loop: Header=BB253_1059 Depth=1
	v_dual_mov_b32 v17, s9 :: v_dual_mov_b32 v16, s8
	s_mov_b32 s13, exec_lo
	v_cmpx_ne_u16_e32 0x80, v8
	s_cbranch_execz .LBB253_1244
; %bb.1239:                             ;   in Loop: Header=BB253_1059 Depth=1
	s_mov_b32 s10, s8
	v_dual_mov_b32 v17, s11 :: v_dual_and_b32 v8, 0xffff, v8
	v_mov_b32_e32 v16, s10
	s_mov_b32 s10, exec_lo
	s_delay_alu instid0(VALU_DEP_2) | instskip(NEXT) | instid1(VALU_DEP_1)
	v_and_b32_e32 v18, 0x7f, v8
	v_cmpx_ne_u32_e32 0x7f, v18
	s_cbranch_execz .LBB253_1243
; %bb.1240:                             ;   in Loop: Header=BB253_1059 Depth=1
	v_and_b32_e32 v8, 7, v8
	v_lshrrev_b32_e32 v16, 3, v18
	s_mov_b32 s15, exec_lo
	v_cmpx_gt_u32_e32 8, v18
; %bb.1241:                             ;   in Loop: Header=BB253_1059 Depth=1
	s_delay_alu instid0(VALU_DEP_3) | instskip(NEXT) | instid1(VALU_DEP_1)
	v_clz_i32_u32_e32 v16, v8
	v_min_u32_e32 v16, 32, v16
	s_delay_alu instid0(VALU_DEP_1) | instskip(SKIP_1) | instid1(VALU_DEP_2)
	v_subrev_nc_u32_e32 v17, 28, v16
	v_sub_nc_u32_e32 v16, 29, v16
	v_lshlrev_b64 v[17:18], v17, v[8:9]
	s_delay_alu instid0(VALU_DEP_1)
	v_and_b32_e32 v8, 7, v17
; %bb.1242:                             ;   in Loop: Header=BB253_1059 Depth=1
	s_or_b32 exec_lo, exec_lo, s15
	v_lshlrev_b32_e32 v17, 16, v145
	s_delay_alu instid0(VALU_DEP_2) | instskip(SKIP_1) | instid1(VALU_DEP_3)
	v_lshlrev_b32_e32 v8, 20, v8
	v_lshl_add_u32 v16, v16, 23, 0x3c000000
	v_and_b32_e32 v17, 0x80000000, v17
	s_delay_alu instid0(VALU_DEP_1)
	v_or3_b32 v17, v8, v17, v16
	v_mov_b32_e32 v16, v9
.LBB253_1243:                           ;   in Loop: Header=BB253_1059 Depth=1
	s_or_b32 exec_lo, exec_lo, s10
.LBB253_1244:                           ;   in Loop: Header=BB253_1059 Depth=1
	s_delay_alu instid0(SALU_CYCLE_1)
	s_or_b32 exec_lo, exec_lo, s13
.LBB253_1245:                           ;   in Loop: Header=BB253_1059 Depth=1
	s_delay_alu instid0(SALU_CYCLE_1) | instskip(SKIP_4) | instid1(VALU_DEP_2)
	s_or_b32 exec_lo, exec_lo, s12
	v_mov_b32_e32 v20, 0
	v_lshrrev_b32_e32 v146, 16, v145
	v_mov_b32_e32 v21, 0
	s_mov_b32 s10, exec_lo
	v_and_b32_e32 v8, 0xff, v146
	s_delay_alu instid0(VALU_DEP_2) | instskip(NEXT) | instid1(VALU_DEP_2)
	v_dual_mov_b32 v18, v20 :: v_dual_mov_b32 v19, v21
	v_cmpx_ne_u16_e32 0, v8
	s_cbranch_execz .LBB253_1253
; %bb.1246:                             ;   in Loop: Header=BB253_1059 Depth=1
	v_bfrev_b32_e32 v18, 1
	v_mov_b32_e32 v19, 0
	s_mov_b32 s12, exec_lo
	v_cmpx_ne_u16_e32 0x80, v8
	s_cbranch_execz .LBB253_1252
; %bb.1247:                             ;   in Loop: Header=BB253_1059 Depth=1
	v_mov_b32_e32 v18, 0x7f800001
	v_bfe_u32 v147, v145, 16, 7
	v_mov_b32_e32 v19, 0
	s_mov_b32 s13, exec_lo
	s_delay_alu instid0(VALU_DEP_2)
	v_cmpx_ne_u32_e32 0x7f, v147
	s_cbranch_execz .LBB253_1251
; %bb.1248:                             ;   in Loop: Header=BB253_1059 Depth=1
	v_and_b32_e32 v8, 7, v146
	v_lshrrev_b32_e32 v18, 3, v147
	s_mov_b32 s15, exec_lo
	v_cmpx_gt_u32_e32 8, v147
; %bb.1249:                             ;   in Loop: Header=BB253_1059 Depth=1
	s_delay_alu instid0(VALU_DEP_3) | instskip(NEXT) | instid1(VALU_DEP_1)
	v_clz_i32_u32_e32 v18, v8
	v_min_u32_e32 v18, 32, v18
	s_delay_alu instid0(VALU_DEP_1) | instskip(SKIP_1) | instid1(VALU_DEP_2)
	v_subrev_nc_u32_e32 v19, 28, v18
	v_sub_nc_u32_e32 v18, 29, v18
	v_lshlrev_b64 v[147:148], v19, v[8:9]
	s_delay_alu instid0(VALU_DEP_1)
	v_and_b32_e32 v8, 7, v147
; %bb.1250:                             ;   in Loop: Header=BB253_1059 Depth=1
	s_or_b32 exec_lo, exec_lo, s15
	v_lshlrev_b32_e32 v19, 24, v146
	s_delay_alu instid0(VALU_DEP_2) | instskip(SKIP_1) | instid1(VALU_DEP_3)
	v_lshlrev_b32_e32 v8, 20, v8
	v_lshl_add_u32 v18, v18, 23, 0x3c000000
	v_and_b32_e32 v19, 0x80000000, v19
	s_delay_alu instid0(VALU_DEP_1) | instskip(NEXT) | instid1(VALU_DEP_1)
	v_or3_b32 v8, v8, v19, v18
	v_dual_mov_b32 v19, v9 :: v_dual_mov_b32 v18, v8
.LBB253_1251:                           ;   in Loop: Header=BB253_1059 Depth=1
	s_or_b32 exec_lo, exec_lo, s13
.LBB253_1252:                           ;   in Loop: Header=BB253_1059 Depth=1
	s_delay_alu instid0(SALU_CYCLE_1)
	s_or_b32 exec_lo, exec_lo, s12
.LBB253_1253:                           ;   in Loop: Header=BB253_1059 Depth=1
	s_delay_alu instid0(SALU_CYCLE_1) | instskip(NEXT) | instid1(SALU_CYCLE_1)
	s_or_b32 exec_lo, exec_lo, s10
	s_mov_b32 s12, exec_lo
	v_cmpx_lt_u32_e32 0xffffff, v145
	s_cbranch_execz .LBB253_1261
; %bb.1254:                             ;   in Loop: Header=BB253_1059 Depth=1
	v_lshrrev_b32_e32 v146, 24, v145
	v_dual_mov_b32 v21, s9 :: v_dual_mov_b32 v20, s8
	s_mov_b32 s13, exec_lo
	s_delay_alu instid0(VALU_DEP_2)
	v_cmpx_ne_u32_e32 0x80, v146
	s_cbranch_execz .LBB253_1260
; %bb.1255:                             ;   in Loop: Header=BB253_1059 Depth=1
	s_mov_b32 s10, s8
	v_bfe_u32 v145, v145, 24, 7
	v_dual_mov_b32 v21, s11 :: v_dual_mov_b32 v20, s10
	s_mov_b32 s10, exec_lo
	s_delay_alu instid0(VALU_DEP_2)
	v_cmpx_ne_u32_e32 0x7f, v145
	s_cbranch_execz .LBB253_1259
; %bb.1256:                             ;   in Loop: Header=BB253_1059 Depth=1
	v_and_b32_e32 v8, 7, v146
	v_lshrrev_b32_e32 v20, 3, v145
	s_mov_b32 s15, exec_lo
	v_cmpx_gt_u32_e32 8, v145
; %bb.1257:                             ;   in Loop: Header=BB253_1059 Depth=1
	s_delay_alu instid0(VALU_DEP_3) | instskip(NEXT) | instid1(VALU_DEP_1)
	v_clz_i32_u32_e32 v20, v8
	v_min_u32_e32 v20, 32, v20
	s_delay_alu instid0(VALU_DEP_1) | instskip(SKIP_1) | instid1(VALU_DEP_2)
	v_subrev_nc_u32_e32 v21, 28, v20
	v_sub_nc_u32_e32 v20, 29, v20
	v_lshlrev_b64 v[147:148], v21, v[8:9]
	s_delay_alu instid0(VALU_DEP_1)
	v_and_b32_e32 v8, 7, v147
; %bb.1258:                             ;   in Loop: Header=BB253_1059 Depth=1
	s_or_b32 exec_lo, exec_lo, s15
	v_lshlrev_b32_e32 v21, 24, v146
	s_delay_alu instid0(VALU_DEP_2) | instskip(SKIP_1) | instid1(VALU_DEP_3)
	v_lshlrev_b32_e32 v8, 20, v8
	v_lshl_add_u32 v20, v20, 23, 0x3c000000
	v_and_b32_e32 v21, 0x80000000, v21
	s_delay_alu instid0(VALU_DEP_1)
	v_or3_b32 v21, v8, v21, v20
	v_mov_b32_e32 v20, v9
.LBB253_1259:                           ;   in Loop: Header=BB253_1059 Depth=1
	s_or_b32 exec_lo, exec_lo, s10
.LBB253_1260:                           ;   in Loop: Header=BB253_1059 Depth=1
	s_delay_alu instid0(SALU_CYCLE_1)
	s_or_b32 exec_lo, exec_lo, s13
.LBB253_1261:                           ;   in Loop: Header=BB253_1059 Depth=1
	s_delay_alu instid0(SALU_CYCLE_1) | instskip(SKIP_4) | instid1(VALU_DEP_3)
	s_or_b32 exec_lo, exec_lo, s12
	v_or_b32_e32 v5, v17, v5
	v_or_b32_e32 v4, v16, v4
	;; [unrolled: 1-line block ×4, first 2 shown]
	v_dual_mul_f32 v148, v96, v5 :: v_dual_mul_f32 v147, v82, v4
	s_delay_alu instid0(VALU_DEP_3) | instskip(NEXT) | instid1(VALU_DEP_3)
	v_mul_f32_e32 v145, v96, v8
	v_mul_f32_e32 v146, v82, v16
	s_and_saveexec_b32 s10, vcc_lo
; %bb.1262:                             ;   in Loop: Header=BB253_1059 Depth=1
	v_cmp_lt_i32_e64 s0, v102, v98
	s_delay_alu instid0(VALU_DEP_1) | instskip(SKIP_1) | instid1(VALU_DEP_1)
	v_cndmask_b32_e64 v147, 0, v147, s0
	v_cmp_lt_i32_e64 s0, v112, v98
	v_cndmask_b32_e64 v148, 0, v148, s0
	v_cmp_lt_i32_e64 s0, v103, v98
	s_delay_alu instid0(VALU_DEP_1) | instskip(SKIP_1) | instid1(VALU_DEP_1)
	v_cndmask_b32_e64 v146, 0, v146, s0
	v_cmp_lt_i32_e64 s0, v86, v98
	v_cndmask_b32_e64 v145, 0, v145, s0
; %bb.1263:                             ;   in Loop: Header=BB253_1059 Depth=1
	s_or_b32 exec_lo, exec_lo, s10
	flat_load_b32 v149, v[14:15] offset:768
	v_mov_b32_e32 v16, 0
	v_mov_b32_e32 v17, 0
	s_mov_b32 s10, exec_lo
	s_waitcnt vmcnt(0) lgkmcnt(0)
	v_and_b32_e32 v8, 0xff, v149
	s_delay_alu instid0(VALU_DEP_2) | instskip(NEXT) | instid1(VALU_DEP_2)
	v_dual_mov_b32 v4, v16 :: v_dual_mov_b32 v5, v17
	v_cmpx_ne_u16_e32 0, v8
	s_cbranch_execz .LBB253_1271
; %bb.1264:                             ;   in Loop: Header=BB253_1059 Depth=1
	v_bfrev_b32_e32 v4, 1
	v_mov_b32_e32 v5, 0
	s_mov_b32 s12, exec_lo
	v_cmpx_ne_u16_e32 0x80, v8
	s_cbranch_execz .LBB253_1270
; %bb.1265:                             ;   in Loop: Header=BB253_1059 Depth=1
	v_mov_b32_e32 v4, 0x7f800001
	v_dual_mov_b32 v5, 0 :: v_dual_and_b32 v18, 0x7f, v149
	s_mov_b32 s13, exec_lo
	s_delay_alu instid0(VALU_DEP_1)
	v_cmpx_ne_u32_e32 0x7f, v18
	s_cbranch_execz .LBB253_1269
; %bb.1266:                             ;   in Loop: Header=BB253_1059 Depth=1
	v_and_b32_e32 v8, 7, v149
	v_lshrrev_b32_e32 v4, 3, v18
	s_mov_b32 s15, exec_lo
	v_cmpx_gt_u32_e32 8, v18
; %bb.1267:                             ;   in Loop: Header=BB253_1059 Depth=1
	s_delay_alu instid0(VALU_DEP_3) | instskip(NEXT) | instid1(VALU_DEP_1)
	v_clz_i32_u32_e32 v4, v8
	v_min_u32_e32 v4, 32, v4
	s_delay_alu instid0(VALU_DEP_1) | instskip(SKIP_1) | instid1(VALU_DEP_2)
	v_subrev_nc_u32_e32 v5, 28, v4
	v_sub_nc_u32_e32 v4, 29, v4
	v_lshlrev_b64 v[18:19], v5, v[8:9]
	s_delay_alu instid0(VALU_DEP_1)
	v_and_b32_e32 v8, 7, v18
; %bb.1268:                             ;   in Loop: Header=BB253_1059 Depth=1
	s_or_b32 exec_lo, exec_lo, s15
	v_lshlrev_b32_e32 v5, 24, v149
	s_delay_alu instid0(VALU_DEP_2) | instskip(SKIP_1) | instid1(VALU_DEP_3)
	v_lshlrev_b32_e32 v8, 20, v8
	v_lshl_add_u32 v4, v4, 23, 0x3c000000
	v_and_b32_e32 v5, 0x80000000, v5
	s_delay_alu instid0(VALU_DEP_1) | instskip(NEXT) | instid1(VALU_DEP_1)
	v_or3_b32 v8, v8, v5, v4
	v_dual_mov_b32 v4, v8 :: v_dual_mov_b32 v5, v9
.LBB253_1269:                           ;   in Loop: Header=BB253_1059 Depth=1
	s_or_b32 exec_lo, exec_lo, s13
.LBB253_1270:                           ;   in Loop: Header=BB253_1059 Depth=1
	s_delay_alu instid0(SALU_CYCLE_1)
	s_or_b32 exec_lo, exec_lo, s12
.LBB253_1271:                           ;   in Loop: Header=BB253_1059 Depth=1
	s_delay_alu instid0(SALU_CYCLE_1) | instskip(SKIP_2) | instid1(VALU_DEP_1)
	s_or_b32 exec_lo, exec_lo, s10
	v_lshrrev_b16 v8, 8, v149
	s_mov_b32 s12, exec_lo
	v_cmpx_ne_u16_e32 0, v8
	s_cbranch_execz .LBB253_1279
; %bb.1272:                             ;   in Loop: Header=BB253_1059 Depth=1
	v_dual_mov_b32 v17, s9 :: v_dual_mov_b32 v16, s8
	s_mov_b32 s13, exec_lo
	v_cmpx_ne_u16_e32 0x80, v8
	s_cbranch_execz .LBB253_1278
; %bb.1273:                             ;   in Loop: Header=BB253_1059 Depth=1
	s_mov_b32 s10, s8
	v_dual_mov_b32 v17, s11 :: v_dual_and_b32 v8, 0xffff, v8
	v_mov_b32_e32 v16, s10
	s_mov_b32 s10, exec_lo
	s_delay_alu instid0(VALU_DEP_2) | instskip(NEXT) | instid1(VALU_DEP_1)
	v_and_b32_e32 v18, 0x7f, v8
	v_cmpx_ne_u32_e32 0x7f, v18
	s_cbranch_execz .LBB253_1277
; %bb.1274:                             ;   in Loop: Header=BB253_1059 Depth=1
	v_and_b32_e32 v8, 7, v8
	v_lshrrev_b32_e32 v16, 3, v18
	s_mov_b32 s15, exec_lo
	v_cmpx_gt_u32_e32 8, v18
; %bb.1275:                             ;   in Loop: Header=BB253_1059 Depth=1
	s_delay_alu instid0(VALU_DEP_3) | instskip(NEXT) | instid1(VALU_DEP_1)
	v_clz_i32_u32_e32 v16, v8
	v_min_u32_e32 v16, 32, v16
	s_delay_alu instid0(VALU_DEP_1) | instskip(SKIP_1) | instid1(VALU_DEP_2)
	v_subrev_nc_u32_e32 v17, 28, v16
	v_sub_nc_u32_e32 v16, 29, v16
	v_lshlrev_b64 v[17:18], v17, v[8:9]
	s_delay_alu instid0(VALU_DEP_1)
	v_and_b32_e32 v8, 7, v17
; %bb.1276:                             ;   in Loop: Header=BB253_1059 Depth=1
	s_or_b32 exec_lo, exec_lo, s15
	v_lshlrev_b32_e32 v17, 16, v149
	s_delay_alu instid0(VALU_DEP_2) | instskip(SKIP_1) | instid1(VALU_DEP_3)
	v_lshlrev_b32_e32 v8, 20, v8
	v_lshl_add_u32 v16, v16, 23, 0x3c000000
	v_and_b32_e32 v17, 0x80000000, v17
	s_delay_alu instid0(VALU_DEP_1)
	v_or3_b32 v17, v8, v17, v16
	v_mov_b32_e32 v16, v9
.LBB253_1277:                           ;   in Loop: Header=BB253_1059 Depth=1
	s_or_b32 exec_lo, exec_lo, s10
.LBB253_1278:                           ;   in Loop: Header=BB253_1059 Depth=1
	s_delay_alu instid0(SALU_CYCLE_1)
	s_or_b32 exec_lo, exec_lo, s13
.LBB253_1279:                           ;   in Loop: Header=BB253_1059 Depth=1
	s_delay_alu instid0(SALU_CYCLE_1) | instskip(SKIP_4) | instid1(VALU_DEP_2)
	s_or_b32 exec_lo, exec_lo, s12
	v_mov_b32_e32 v20, 0
	v_lshrrev_b32_e32 v150, 16, v149
	v_mov_b32_e32 v21, 0
	s_mov_b32 s10, exec_lo
	v_and_b32_e32 v8, 0xff, v150
	s_delay_alu instid0(VALU_DEP_2) | instskip(NEXT) | instid1(VALU_DEP_2)
	v_dual_mov_b32 v18, v20 :: v_dual_mov_b32 v19, v21
	v_cmpx_ne_u16_e32 0, v8
	s_cbranch_execz .LBB253_1287
; %bb.1280:                             ;   in Loop: Header=BB253_1059 Depth=1
	v_bfrev_b32_e32 v18, 1
	v_mov_b32_e32 v19, 0
	s_mov_b32 s12, exec_lo
	v_cmpx_ne_u16_e32 0x80, v8
	s_cbranch_execz .LBB253_1286
; %bb.1281:                             ;   in Loop: Header=BB253_1059 Depth=1
	v_mov_b32_e32 v18, 0x7f800001
	v_bfe_u32 v151, v149, 16, 7
	v_mov_b32_e32 v19, 0
	s_mov_b32 s13, exec_lo
	s_delay_alu instid0(VALU_DEP_2)
	v_cmpx_ne_u32_e32 0x7f, v151
	s_cbranch_execz .LBB253_1285
; %bb.1282:                             ;   in Loop: Header=BB253_1059 Depth=1
	v_and_b32_e32 v8, 7, v150
	v_lshrrev_b32_e32 v18, 3, v151
	s_mov_b32 s15, exec_lo
	v_cmpx_gt_u32_e32 8, v151
; %bb.1283:                             ;   in Loop: Header=BB253_1059 Depth=1
	s_delay_alu instid0(VALU_DEP_3) | instskip(NEXT) | instid1(VALU_DEP_1)
	v_clz_i32_u32_e32 v18, v8
	v_min_u32_e32 v18, 32, v18
	s_delay_alu instid0(VALU_DEP_1) | instskip(SKIP_1) | instid1(VALU_DEP_2)
	v_subrev_nc_u32_e32 v19, 28, v18
	v_sub_nc_u32_e32 v18, 29, v18
	v_lshlrev_b64 v[160:161], v19, v[8:9]
	s_delay_alu instid0(VALU_DEP_1)
	v_and_b32_e32 v8, 7, v160
; %bb.1284:                             ;   in Loop: Header=BB253_1059 Depth=1
	s_or_b32 exec_lo, exec_lo, s15
	v_lshlrev_b32_e32 v19, 24, v150
	s_delay_alu instid0(VALU_DEP_2) | instskip(SKIP_1) | instid1(VALU_DEP_3)
	v_lshlrev_b32_e32 v8, 20, v8
	v_lshl_add_u32 v18, v18, 23, 0x3c000000
	v_and_b32_e32 v19, 0x80000000, v19
	s_delay_alu instid0(VALU_DEP_1) | instskip(NEXT) | instid1(VALU_DEP_1)
	v_or3_b32 v8, v8, v19, v18
	v_dual_mov_b32 v19, v9 :: v_dual_mov_b32 v18, v8
.LBB253_1285:                           ;   in Loop: Header=BB253_1059 Depth=1
	s_or_b32 exec_lo, exec_lo, s13
.LBB253_1286:                           ;   in Loop: Header=BB253_1059 Depth=1
	s_delay_alu instid0(SALU_CYCLE_1)
	s_or_b32 exec_lo, exec_lo, s12
.LBB253_1287:                           ;   in Loop: Header=BB253_1059 Depth=1
	s_delay_alu instid0(SALU_CYCLE_1) | instskip(NEXT) | instid1(SALU_CYCLE_1)
	s_or_b32 exec_lo, exec_lo, s10
	s_mov_b32 s12, exec_lo
	v_cmpx_lt_u32_e32 0xffffff, v149
	s_cbranch_execz .LBB253_1295
; %bb.1288:                             ;   in Loop: Header=BB253_1059 Depth=1
	v_lshrrev_b32_e32 v150, 24, v149
	v_dual_mov_b32 v21, s9 :: v_dual_mov_b32 v20, s8
	s_mov_b32 s13, exec_lo
	s_delay_alu instid0(VALU_DEP_2)
	v_cmpx_ne_u32_e32 0x80, v150
	s_cbranch_execz .LBB253_1294
; %bb.1289:                             ;   in Loop: Header=BB253_1059 Depth=1
	s_mov_b32 s10, s8
	v_bfe_u32 v149, v149, 24, 7
	v_dual_mov_b32 v21, s11 :: v_dual_mov_b32 v20, s10
	s_mov_b32 s10, exec_lo
	s_delay_alu instid0(VALU_DEP_2)
	v_cmpx_ne_u32_e32 0x7f, v149
	s_cbranch_execz .LBB253_1293
; %bb.1290:                             ;   in Loop: Header=BB253_1059 Depth=1
	v_and_b32_e32 v8, 7, v150
	v_lshrrev_b32_e32 v20, 3, v149
	s_mov_b32 s15, exec_lo
	v_cmpx_gt_u32_e32 8, v149
; %bb.1291:                             ;   in Loop: Header=BB253_1059 Depth=1
	s_delay_alu instid0(VALU_DEP_3) | instskip(NEXT) | instid1(VALU_DEP_1)
	v_clz_i32_u32_e32 v20, v8
	v_min_u32_e32 v20, 32, v20
	s_delay_alu instid0(VALU_DEP_1) | instskip(SKIP_1) | instid1(VALU_DEP_2)
	v_subrev_nc_u32_e32 v21, 28, v20
	v_sub_nc_u32_e32 v20, 29, v20
	v_lshlrev_b64 v[160:161], v21, v[8:9]
	s_delay_alu instid0(VALU_DEP_1)
	v_and_b32_e32 v8, 7, v160
; %bb.1292:                             ;   in Loop: Header=BB253_1059 Depth=1
	s_or_b32 exec_lo, exec_lo, s15
	v_lshlrev_b32_e32 v21, 24, v150
	s_delay_alu instid0(VALU_DEP_2) | instskip(SKIP_1) | instid1(VALU_DEP_3)
	v_lshlrev_b32_e32 v8, 20, v8
	v_lshl_add_u32 v20, v20, 23, 0x3c000000
	v_and_b32_e32 v21, 0x80000000, v21
	s_delay_alu instid0(VALU_DEP_1)
	v_or3_b32 v21, v8, v21, v20
	v_mov_b32_e32 v20, v9
.LBB253_1293:                           ;   in Loop: Header=BB253_1059 Depth=1
	s_or_b32 exec_lo, exec_lo, s10
.LBB253_1294:                           ;   in Loop: Header=BB253_1059 Depth=1
	s_delay_alu instid0(SALU_CYCLE_1)
	s_or_b32 exec_lo, exec_lo, s13
.LBB253_1295:                           ;   in Loop: Header=BB253_1059 Depth=1
	s_delay_alu instid0(SALU_CYCLE_1) | instskip(SKIP_4) | instid1(VALU_DEP_3)
	s_or_b32 exec_lo, exec_lo, s12
	v_or_b32_e32 v5, v17, v5
	v_or_b32_e32 v4, v16, v4
	;; [unrolled: 1-line block ×4, first 2 shown]
	v_dual_mul_f32 v160, v96, v5 :: v_dual_mul_f32 v151, v82, v4
	s_delay_alu instid0(VALU_DEP_3) | instskip(NEXT) | instid1(VALU_DEP_3)
	v_mul_f32_e32 v149, v96, v8
	v_mul_f32_e32 v150, v82, v16
	s_and_saveexec_b32 s10, vcc_lo
; %bb.1296:                             ;   in Loop: Header=BB253_1059 Depth=1
	v_cmp_lt_i32_e64 s0, v102, v98
	s_delay_alu instid0(VALU_DEP_1) | instskip(SKIP_1) | instid1(VALU_DEP_1)
	v_cndmask_b32_e64 v151, 0, v151, s0
	v_cmp_lt_i32_e64 s0, v112, v98
	v_cndmask_b32_e64 v160, 0, v160, s0
	v_cmp_lt_i32_e64 s0, v103, v98
	s_delay_alu instid0(VALU_DEP_1) | instskip(SKIP_1) | instid1(VALU_DEP_1)
	v_cndmask_b32_e64 v150, 0, v150, s0
	v_cmp_lt_i32_e64 s0, v86, v98
	v_cndmask_b32_e64 v149, 0, v149, s0
; %bb.1297:                             ;   in Loop: Header=BB253_1059 Depth=1
	s_or_b32 exec_lo, exec_lo, s10
	flat_load_b32 v161, v[14:15] offset:896
	v_mov_b32_e32 v16, 0
	v_mov_b32_e32 v17, 0
	s_mov_b32 s10, exec_lo
	s_waitcnt vmcnt(0) lgkmcnt(0)
	v_and_b32_e32 v8, 0xff, v161
	s_delay_alu instid0(VALU_DEP_2) | instskip(NEXT) | instid1(VALU_DEP_2)
	v_dual_mov_b32 v4, v16 :: v_dual_mov_b32 v5, v17
	v_cmpx_ne_u16_e32 0, v8
	s_cbranch_execz .LBB253_1305
; %bb.1298:                             ;   in Loop: Header=BB253_1059 Depth=1
	v_bfrev_b32_e32 v4, 1
	v_mov_b32_e32 v5, 0
	s_mov_b32 s12, exec_lo
	v_cmpx_ne_u16_e32 0x80, v8
	s_cbranch_execz .LBB253_1304
; %bb.1299:                             ;   in Loop: Header=BB253_1059 Depth=1
	v_mov_b32_e32 v4, 0x7f800001
	v_dual_mov_b32 v5, 0 :: v_dual_and_b32 v18, 0x7f, v161
	s_mov_b32 s13, exec_lo
	s_delay_alu instid0(VALU_DEP_1)
	v_cmpx_ne_u32_e32 0x7f, v18
	s_cbranch_execz .LBB253_1303
; %bb.1300:                             ;   in Loop: Header=BB253_1059 Depth=1
	v_and_b32_e32 v8, 7, v161
	v_lshrrev_b32_e32 v4, 3, v18
	s_mov_b32 s15, exec_lo
	v_cmpx_gt_u32_e32 8, v18
; %bb.1301:                             ;   in Loop: Header=BB253_1059 Depth=1
	s_delay_alu instid0(VALU_DEP_3) | instskip(NEXT) | instid1(VALU_DEP_1)
	v_clz_i32_u32_e32 v4, v8
	v_min_u32_e32 v4, 32, v4
	s_delay_alu instid0(VALU_DEP_1) | instskip(SKIP_1) | instid1(VALU_DEP_2)
	v_subrev_nc_u32_e32 v5, 28, v4
	v_sub_nc_u32_e32 v4, 29, v4
	v_lshlrev_b64 v[18:19], v5, v[8:9]
	s_delay_alu instid0(VALU_DEP_1)
	v_and_b32_e32 v8, 7, v18
; %bb.1302:                             ;   in Loop: Header=BB253_1059 Depth=1
	s_or_b32 exec_lo, exec_lo, s15
	v_lshlrev_b32_e32 v5, 24, v161
	s_delay_alu instid0(VALU_DEP_2) | instskip(SKIP_1) | instid1(VALU_DEP_3)
	v_lshlrev_b32_e32 v8, 20, v8
	v_lshl_add_u32 v4, v4, 23, 0x3c000000
	v_and_b32_e32 v5, 0x80000000, v5
	s_delay_alu instid0(VALU_DEP_1) | instskip(NEXT) | instid1(VALU_DEP_1)
	v_or3_b32 v8, v8, v5, v4
	v_dual_mov_b32 v4, v8 :: v_dual_mov_b32 v5, v9
.LBB253_1303:                           ;   in Loop: Header=BB253_1059 Depth=1
	s_or_b32 exec_lo, exec_lo, s13
.LBB253_1304:                           ;   in Loop: Header=BB253_1059 Depth=1
	s_delay_alu instid0(SALU_CYCLE_1)
	s_or_b32 exec_lo, exec_lo, s12
.LBB253_1305:                           ;   in Loop: Header=BB253_1059 Depth=1
	s_delay_alu instid0(SALU_CYCLE_1) | instskip(SKIP_2) | instid1(VALU_DEP_1)
	s_or_b32 exec_lo, exec_lo, s10
	v_lshrrev_b16 v8, 8, v161
	s_mov_b32 s12, exec_lo
	v_cmpx_ne_u16_e32 0, v8
	s_cbranch_execz .LBB253_1313
; %bb.1306:                             ;   in Loop: Header=BB253_1059 Depth=1
	v_dual_mov_b32 v17, s9 :: v_dual_mov_b32 v16, s8
	s_mov_b32 s13, exec_lo
	v_cmpx_ne_u16_e32 0x80, v8
	s_cbranch_execz .LBB253_1312
; %bb.1307:                             ;   in Loop: Header=BB253_1059 Depth=1
	s_mov_b32 s10, s8
	v_dual_mov_b32 v17, s11 :: v_dual_and_b32 v8, 0xffff, v8
	v_mov_b32_e32 v16, s10
	s_mov_b32 s10, exec_lo
	s_delay_alu instid0(VALU_DEP_2) | instskip(NEXT) | instid1(VALU_DEP_1)
	v_and_b32_e32 v18, 0x7f, v8
	v_cmpx_ne_u32_e32 0x7f, v18
	s_cbranch_execz .LBB253_1311
; %bb.1308:                             ;   in Loop: Header=BB253_1059 Depth=1
	v_and_b32_e32 v8, 7, v8
	v_lshrrev_b32_e32 v16, 3, v18
	s_mov_b32 s15, exec_lo
	v_cmpx_gt_u32_e32 8, v18
; %bb.1309:                             ;   in Loop: Header=BB253_1059 Depth=1
	s_delay_alu instid0(VALU_DEP_3) | instskip(NEXT) | instid1(VALU_DEP_1)
	v_clz_i32_u32_e32 v16, v8
	v_min_u32_e32 v16, 32, v16
	s_delay_alu instid0(VALU_DEP_1) | instskip(SKIP_1) | instid1(VALU_DEP_2)
	v_subrev_nc_u32_e32 v17, 28, v16
	v_sub_nc_u32_e32 v16, 29, v16
	v_lshlrev_b64 v[17:18], v17, v[8:9]
	s_delay_alu instid0(VALU_DEP_1)
	v_and_b32_e32 v8, 7, v17
; %bb.1310:                             ;   in Loop: Header=BB253_1059 Depth=1
	s_or_b32 exec_lo, exec_lo, s15
	v_lshlrev_b32_e32 v17, 16, v161
	s_delay_alu instid0(VALU_DEP_2) | instskip(SKIP_1) | instid1(VALU_DEP_3)
	v_lshlrev_b32_e32 v8, 20, v8
	v_lshl_add_u32 v16, v16, 23, 0x3c000000
	v_and_b32_e32 v17, 0x80000000, v17
	s_delay_alu instid0(VALU_DEP_1)
	v_or3_b32 v17, v8, v17, v16
	v_mov_b32_e32 v16, v9
.LBB253_1311:                           ;   in Loop: Header=BB253_1059 Depth=1
	s_or_b32 exec_lo, exec_lo, s10
.LBB253_1312:                           ;   in Loop: Header=BB253_1059 Depth=1
	s_delay_alu instid0(SALU_CYCLE_1)
	s_or_b32 exec_lo, exec_lo, s13
.LBB253_1313:                           ;   in Loop: Header=BB253_1059 Depth=1
	s_delay_alu instid0(SALU_CYCLE_1) | instskip(SKIP_4) | instid1(VALU_DEP_2)
	s_or_b32 exec_lo, exec_lo, s12
	v_mov_b32_e32 v20, 0
	v_lshrrev_b32_e32 v162, 16, v161
	v_mov_b32_e32 v21, 0
	s_mov_b32 s10, exec_lo
	v_and_b32_e32 v8, 0xff, v162
	s_delay_alu instid0(VALU_DEP_2) | instskip(NEXT) | instid1(VALU_DEP_2)
	v_dual_mov_b32 v18, v20 :: v_dual_mov_b32 v19, v21
	v_cmpx_ne_u16_e32 0, v8
	s_cbranch_execz .LBB253_1321
; %bb.1314:                             ;   in Loop: Header=BB253_1059 Depth=1
	v_bfrev_b32_e32 v18, 1
	v_mov_b32_e32 v19, 0
	s_mov_b32 s12, exec_lo
	v_cmpx_ne_u16_e32 0x80, v8
	s_cbranch_execz .LBB253_1320
; %bb.1315:                             ;   in Loop: Header=BB253_1059 Depth=1
	v_mov_b32_e32 v18, 0x7f800001
	v_bfe_u32 v163, v161, 16, 7
	v_mov_b32_e32 v19, 0
	s_mov_b32 s13, exec_lo
	s_delay_alu instid0(VALU_DEP_2)
	v_cmpx_ne_u32_e32 0x7f, v163
	s_cbranch_execz .LBB253_1319
; %bb.1316:                             ;   in Loop: Header=BB253_1059 Depth=1
	v_and_b32_e32 v8, 7, v162
	v_lshrrev_b32_e32 v18, 3, v163
	s_mov_b32 s15, exec_lo
	v_cmpx_gt_u32_e32 8, v163
; %bb.1317:                             ;   in Loop: Header=BB253_1059 Depth=1
	s_delay_alu instid0(VALU_DEP_3) | instskip(NEXT) | instid1(VALU_DEP_1)
	v_clz_i32_u32_e32 v18, v8
	v_min_u32_e32 v18, 32, v18
	s_delay_alu instid0(VALU_DEP_1) | instskip(SKIP_1) | instid1(VALU_DEP_2)
	v_subrev_nc_u32_e32 v19, 28, v18
	v_sub_nc_u32_e32 v18, 29, v18
	v_lshlrev_b64 v[163:164], v19, v[8:9]
	s_delay_alu instid0(VALU_DEP_1)
	v_and_b32_e32 v8, 7, v163
; %bb.1318:                             ;   in Loop: Header=BB253_1059 Depth=1
	s_or_b32 exec_lo, exec_lo, s15
	v_lshlrev_b32_e32 v19, 24, v162
	s_delay_alu instid0(VALU_DEP_2) | instskip(SKIP_1) | instid1(VALU_DEP_3)
	v_lshlrev_b32_e32 v8, 20, v8
	v_lshl_add_u32 v18, v18, 23, 0x3c000000
	v_and_b32_e32 v19, 0x80000000, v19
	s_delay_alu instid0(VALU_DEP_1) | instskip(NEXT) | instid1(VALU_DEP_1)
	v_or3_b32 v8, v8, v19, v18
	v_dual_mov_b32 v19, v9 :: v_dual_mov_b32 v18, v8
.LBB253_1319:                           ;   in Loop: Header=BB253_1059 Depth=1
	s_or_b32 exec_lo, exec_lo, s13
.LBB253_1320:                           ;   in Loop: Header=BB253_1059 Depth=1
	s_delay_alu instid0(SALU_CYCLE_1)
	s_or_b32 exec_lo, exec_lo, s12
.LBB253_1321:                           ;   in Loop: Header=BB253_1059 Depth=1
	s_delay_alu instid0(SALU_CYCLE_1) | instskip(NEXT) | instid1(SALU_CYCLE_1)
	s_or_b32 exec_lo, exec_lo, s10
	s_mov_b32 s12, exec_lo
	v_cmpx_lt_u32_e32 0xffffff, v161
	s_cbranch_execz .LBB253_1329
; %bb.1322:                             ;   in Loop: Header=BB253_1059 Depth=1
	v_lshrrev_b32_e32 v162, 24, v161
	v_dual_mov_b32 v21, s9 :: v_dual_mov_b32 v20, s8
	s_mov_b32 s13, exec_lo
	s_delay_alu instid0(VALU_DEP_2)
	v_cmpx_ne_u32_e32 0x80, v162
	s_cbranch_execz .LBB253_1328
; %bb.1323:                             ;   in Loop: Header=BB253_1059 Depth=1
	s_mov_b32 s10, s8
	v_bfe_u32 v161, v161, 24, 7
	v_dual_mov_b32 v21, s11 :: v_dual_mov_b32 v20, s10
	s_mov_b32 s10, exec_lo
	s_delay_alu instid0(VALU_DEP_2)
	v_cmpx_ne_u32_e32 0x7f, v161
	s_cbranch_execz .LBB253_1327
; %bb.1324:                             ;   in Loop: Header=BB253_1059 Depth=1
	v_and_b32_e32 v8, 7, v162
	v_lshrrev_b32_e32 v20, 3, v161
	s_mov_b32 s15, exec_lo
	v_cmpx_gt_u32_e32 8, v161
; %bb.1325:                             ;   in Loop: Header=BB253_1059 Depth=1
	s_delay_alu instid0(VALU_DEP_3) | instskip(NEXT) | instid1(VALU_DEP_1)
	v_clz_i32_u32_e32 v20, v8
	v_min_u32_e32 v20, 32, v20
	s_delay_alu instid0(VALU_DEP_1) | instskip(SKIP_1) | instid1(VALU_DEP_2)
	v_subrev_nc_u32_e32 v21, 28, v20
	v_sub_nc_u32_e32 v20, 29, v20
	v_lshlrev_b64 v[163:164], v21, v[8:9]
	s_delay_alu instid0(VALU_DEP_1)
	v_and_b32_e32 v8, 7, v163
; %bb.1326:                             ;   in Loop: Header=BB253_1059 Depth=1
	s_or_b32 exec_lo, exec_lo, s15
	v_lshlrev_b32_e32 v21, 24, v162
	s_delay_alu instid0(VALU_DEP_2) | instskip(SKIP_1) | instid1(VALU_DEP_3)
	v_lshlrev_b32_e32 v8, 20, v8
	v_lshl_add_u32 v20, v20, 23, 0x3c000000
	v_and_b32_e32 v21, 0x80000000, v21
	s_delay_alu instid0(VALU_DEP_1)
	v_or3_b32 v21, v8, v21, v20
	v_mov_b32_e32 v20, v9
.LBB253_1327:                           ;   in Loop: Header=BB253_1059 Depth=1
	s_or_b32 exec_lo, exec_lo, s10
.LBB253_1328:                           ;   in Loop: Header=BB253_1059 Depth=1
	s_delay_alu instid0(SALU_CYCLE_1)
	s_or_b32 exec_lo, exec_lo, s13
.LBB253_1329:                           ;   in Loop: Header=BB253_1059 Depth=1
	s_delay_alu instid0(SALU_CYCLE_1) | instskip(SKIP_4) | instid1(VALU_DEP_3)
	s_or_b32 exec_lo, exec_lo, s12
	v_or_b32_e32 v5, v17, v5
	v_or_b32_e32 v4, v16, v4
	;; [unrolled: 1-line block ×4, first 2 shown]
	v_dual_mul_f32 v164, v96, v5 :: v_dual_mul_f32 v163, v82, v4
	s_delay_alu instid0(VALU_DEP_3) | instskip(NEXT) | instid1(VALU_DEP_3)
	v_mul_f32_e32 v161, v96, v8
	v_mul_f32_e32 v162, v82, v16
	s_and_saveexec_b32 s10, vcc_lo
; %bb.1330:                             ;   in Loop: Header=BB253_1059 Depth=1
	v_cmp_lt_i32_e64 s0, v102, v98
	s_delay_alu instid0(VALU_DEP_1) | instskip(SKIP_1) | instid1(VALU_DEP_1)
	v_cndmask_b32_e64 v163, 0, v163, s0
	v_cmp_lt_i32_e64 s0, v112, v98
	v_cndmask_b32_e64 v164, 0, v164, s0
	v_cmp_lt_i32_e64 s0, v103, v98
	s_delay_alu instid0(VALU_DEP_1) | instskip(SKIP_1) | instid1(VALU_DEP_1)
	v_cndmask_b32_e64 v162, 0, v162, s0
	v_cmp_lt_i32_e64 s0, v86, v98
	v_cndmask_b32_e64 v161, 0, v161, s0
; %bb.1331:                             ;   in Loop: Header=BB253_1059 Depth=1
	s_or_b32 exec_lo, exec_lo, s10
	flat_load_b32 v165, v[14:15] offset:1024
	v_mov_b32_e32 v16, 0
	v_mov_b32_e32 v17, 0
	s_mov_b32 s10, exec_lo
	s_waitcnt vmcnt(0) lgkmcnt(0)
	v_and_b32_e32 v8, 0xff, v165
	s_delay_alu instid0(VALU_DEP_2) | instskip(NEXT) | instid1(VALU_DEP_2)
	v_dual_mov_b32 v4, v16 :: v_dual_mov_b32 v5, v17
	v_cmpx_ne_u16_e32 0, v8
	s_cbranch_execz .LBB253_1339
; %bb.1332:                             ;   in Loop: Header=BB253_1059 Depth=1
	v_bfrev_b32_e32 v4, 1
	v_mov_b32_e32 v5, 0
	s_mov_b32 s12, exec_lo
	v_cmpx_ne_u16_e32 0x80, v8
	s_cbranch_execz .LBB253_1338
; %bb.1333:                             ;   in Loop: Header=BB253_1059 Depth=1
	v_mov_b32_e32 v4, 0x7f800001
	v_dual_mov_b32 v5, 0 :: v_dual_and_b32 v18, 0x7f, v165
	s_mov_b32 s13, exec_lo
	s_delay_alu instid0(VALU_DEP_1)
	v_cmpx_ne_u32_e32 0x7f, v18
	s_cbranch_execz .LBB253_1337
; %bb.1334:                             ;   in Loop: Header=BB253_1059 Depth=1
	v_and_b32_e32 v8, 7, v165
	v_lshrrev_b32_e32 v4, 3, v18
	s_mov_b32 s15, exec_lo
	v_cmpx_gt_u32_e32 8, v18
; %bb.1335:                             ;   in Loop: Header=BB253_1059 Depth=1
	s_delay_alu instid0(VALU_DEP_3) | instskip(NEXT) | instid1(VALU_DEP_1)
	v_clz_i32_u32_e32 v4, v8
	v_min_u32_e32 v4, 32, v4
	s_delay_alu instid0(VALU_DEP_1) | instskip(SKIP_1) | instid1(VALU_DEP_2)
	v_subrev_nc_u32_e32 v5, 28, v4
	v_sub_nc_u32_e32 v4, 29, v4
	v_lshlrev_b64 v[18:19], v5, v[8:9]
	s_delay_alu instid0(VALU_DEP_1)
	v_and_b32_e32 v8, 7, v18
; %bb.1336:                             ;   in Loop: Header=BB253_1059 Depth=1
	s_or_b32 exec_lo, exec_lo, s15
	v_lshlrev_b32_e32 v5, 24, v165
	s_delay_alu instid0(VALU_DEP_2) | instskip(SKIP_1) | instid1(VALU_DEP_3)
	v_lshlrev_b32_e32 v8, 20, v8
	v_lshl_add_u32 v4, v4, 23, 0x3c000000
	v_and_b32_e32 v5, 0x80000000, v5
	s_delay_alu instid0(VALU_DEP_1) | instskip(NEXT) | instid1(VALU_DEP_1)
	v_or3_b32 v8, v8, v5, v4
	v_dual_mov_b32 v4, v8 :: v_dual_mov_b32 v5, v9
.LBB253_1337:                           ;   in Loop: Header=BB253_1059 Depth=1
	s_or_b32 exec_lo, exec_lo, s13
.LBB253_1338:                           ;   in Loop: Header=BB253_1059 Depth=1
	s_delay_alu instid0(SALU_CYCLE_1)
	s_or_b32 exec_lo, exec_lo, s12
.LBB253_1339:                           ;   in Loop: Header=BB253_1059 Depth=1
	s_delay_alu instid0(SALU_CYCLE_1) | instskip(SKIP_2) | instid1(VALU_DEP_1)
	s_or_b32 exec_lo, exec_lo, s10
	v_lshrrev_b16 v8, 8, v165
	s_mov_b32 s12, exec_lo
	v_cmpx_ne_u16_e32 0, v8
	s_cbranch_execz .LBB253_1347
; %bb.1340:                             ;   in Loop: Header=BB253_1059 Depth=1
	v_dual_mov_b32 v17, s9 :: v_dual_mov_b32 v16, s8
	s_mov_b32 s13, exec_lo
	v_cmpx_ne_u16_e32 0x80, v8
	s_cbranch_execz .LBB253_1346
; %bb.1341:                             ;   in Loop: Header=BB253_1059 Depth=1
	s_mov_b32 s10, s8
	v_dual_mov_b32 v17, s11 :: v_dual_and_b32 v8, 0xffff, v8
	v_mov_b32_e32 v16, s10
	s_mov_b32 s10, exec_lo
	s_delay_alu instid0(VALU_DEP_2) | instskip(NEXT) | instid1(VALU_DEP_1)
	v_and_b32_e32 v18, 0x7f, v8
	v_cmpx_ne_u32_e32 0x7f, v18
	s_cbranch_execz .LBB253_1345
; %bb.1342:                             ;   in Loop: Header=BB253_1059 Depth=1
	v_and_b32_e32 v8, 7, v8
	v_lshrrev_b32_e32 v16, 3, v18
	s_mov_b32 s15, exec_lo
	v_cmpx_gt_u32_e32 8, v18
; %bb.1343:                             ;   in Loop: Header=BB253_1059 Depth=1
	s_delay_alu instid0(VALU_DEP_3) | instskip(NEXT) | instid1(VALU_DEP_1)
	v_clz_i32_u32_e32 v16, v8
	v_min_u32_e32 v16, 32, v16
	s_delay_alu instid0(VALU_DEP_1) | instskip(SKIP_1) | instid1(VALU_DEP_2)
	v_subrev_nc_u32_e32 v17, 28, v16
	v_sub_nc_u32_e32 v16, 29, v16
	v_lshlrev_b64 v[17:18], v17, v[8:9]
	s_delay_alu instid0(VALU_DEP_1)
	v_and_b32_e32 v8, 7, v17
; %bb.1344:                             ;   in Loop: Header=BB253_1059 Depth=1
	s_or_b32 exec_lo, exec_lo, s15
	v_lshlrev_b32_e32 v17, 16, v165
	s_delay_alu instid0(VALU_DEP_2) | instskip(SKIP_1) | instid1(VALU_DEP_3)
	v_lshlrev_b32_e32 v8, 20, v8
	v_lshl_add_u32 v16, v16, 23, 0x3c000000
	v_and_b32_e32 v17, 0x80000000, v17
	s_delay_alu instid0(VALU_DEP_1)
	v_or3_b32 v17, v8, v17, v16
	v_mov_b32_e32 v16, v9
.LBB253_1345:                           ;   in Loop: Header=BB253_1059 Depth=1
	s_or_b32 exec_lo, exec_lo, s10
.LBB253_1346:                           ;   in Loop: Header=BB253_1059 Depth=1
	s_delay_alu instid0(SALU_CYCLE_1)
	s_or_b32 exec_lo, exec_lo, s13
.LBB253_1347:                           ;   in Loop: Header=BB253_1059 Depth=1
	s_delay_alu instid0(SALU_CYCLE_1) | instskip(SKIP_4) | instid1(VALU_DEP_2)
	s_or_b32 exec_lo, exec_lo, s12
	v_mov_b32_e32 v20, 0
	v_lshrrev_b32_e32 v166, 16, v165
	v_mov_b32_e32 v21, 0
	s_mov_b32 s10, exec_lo
	v_and_b32_e32 v8, 0xff, v166
	s_delay_alu instid0(VALU_DEP_2) | instskip(NEXT) | instid1(VALU_DEP_2)
	v_dual_mov_b32 v18, v20 :: v_dual_mov_b32 v19, v21
	v_cmpx_ne_u16_e32 0, v8
	s_cbranch_execz .LBB253_1355
; %bb.1348:                             ;   in Loop: Header=BB253_1059 Depth=1
	v_bfrev_b32_e32 v18, 1
	v_mov_b32_e32 v19, 0
	s_mov_b32 s12, exec_lo
	v_cmpx_ne_u16_e32 0x80, v8
	s_cbranch_execz .LBB253_1354
; %bb.1349:                             ;   in Loop: Header=BB253_1059 Depth=1
	v_mov_b32_e32 v18, 0x7f800001
	v_bfe_u32 v167, v165, 16, 7
	v_mov_b32_e32 v19, 0
	s_mov_b32 s13, exec_lo
	s_delay_alu instid0(VALU_DEP_2)
	v_cmpx_ne_u32_e32 0x7f, v167
	s_cbranch_execz .LBB253_1353
; %bb.1350:                             ;   in Loop: Header=BB253_1059 Depth=1
	v_and_b32_e32 v8, 7, v166
	v_lshrrev_b32_e32 v18, 3, v167
	s_mov_b32 s15, exec_lo
	v_cmpx_gt_u32_e32 8, v167
; %bb.1351:                             ;   in Loop: Header=BB253_1059 Depth=1
	s_delay_alu instid0(VALU_DEP_3) | instskip(NEXT) | instid1(VALU_DEP_1)
	v_clz_i32_u32_e32 v18, v8
	v_min_u32_e32 v18, 32, v18
	s_delay_alu instid0(VALU_DEP_1) | instskip(SKIP_1) | instid1(VALU_DEP_2)
	v_subrev_nc_u32_e32 v19, 28, v18
	v_sub_nc_u32_e32 v18, 29, v18
	v_lshlrev_b64 v[176:177], v19, v[8:9]
	s_delay_alu instid0(VALU_DEP_1)
	v_and_b32_e32 v8, 7, v176
; %bb.1352:                             ;   in Loop: Header=BB253_1059 Depth=1
	s_or_b32 exec_lo, exec_lo, s15
	v_lshlrev_b32_e32 v19, 24, v166
	s_delay_alu instid0(VALU_DEP_2) | instskip(SKIP_1) | instid1(VALU_DEP_3)
	v_lshlrev_b32_e32 v8, 20, v8
	v_lshl_add_u32 v18, v18, 23, 0x3c000000
	v_and_b32_e32 v19, 0x80000000, v19
	s_delay_alu instid0(VALU_DEP_1) | instskip(NEXT) | instid1(VALU_DEP_1)
	v_or3_b32 v8, v8, v19, v18
	v_dual_mov_b32 v19, v9 :: v_dual_mov_b32 v18, v8
.LBB253_1353:                           ;   in Loop: Header=BB253_1059 Depth=1
	s_or_b32 exec_lo, exec_lo, s13
.LBB253_1354:                           ;   in Loop: Header=BB253_1059 Depth=1
	s_delay_alu instid0(SALU_CYCLE_1)
	s_or_b32 exec_lo, exec_lo, s12
.LBB253_1355:                           ;   in Loop: Header=BB253_1059 Depth=1
	s_delay_alu instid0(SALU_CYCLE_1) | instskip(NEXT) | instid1(SALU_CYCLE_1)
	s_or_b32 exec_lo, exec_lo, s10
	s_mov_b32 s12, exec_lo
	v_cmpx_lt_u32_e32 0xffffff, v165
	s_cbranch_execz .LBB253_1363
; %bb.1356:                             ;   in Loop: Header=BB253_1059 Depth=1
	v_lshrrev_b32_e32 v166, 24, v165
	v_dual_mov_b32 v21, s9 :: v_dual_mov_b32 v20, s8
	s_mov_b32 s13, exec_lo
	s_delay_alu instid0(VALU_DEP_2)
	v_cmpx_ne_u32_e32 0x80, v166
	s_cbranch_execz .LBB253_1362
; %bb.1357:                             ;   in Loop: Header=BB253_1059 Depth=1
	s_mov_b32 s10, s8
	v_bfe_u32 v165, v165, 24, 7
	v_dual_mov_b32 v21, s11 :: v_dual_mov_b32 v20, s10
	s_mov_b32 s10, exec_lo
	s_delay_alu instid0(VALU_DEP_2)
	v_cmpx_ne_u32_e32 0x7f, v165
	s_cbranch_execz .LBB253_1361
; %bb.1358:                             ;   in Loop: Header=BB253_1059 Depth=1
	v_and_b32_e32 v8, 7, v166
	v_lshrrev_b32_e32 v20, 3, v165
	s_mov_b32 s15, exec_lo
	v_cmpx_gt_u32_e32 8, v165
; %bb.1359:                             ;   in Loop: Header=BB253_1059 Depth=1
	s_delay_alu instid0(VALU_DEP_3) | instskip(NEXT) | instid1(VALU_DEP_1)
	v_clz_i32_u32_e32 v20, v8
	v_min_u32_e32 v20, 32, v20
	s_delay_alu instid0(VALU_DEP_1) | instskip(SKIP_1) | instid1(VALU_DEP_2)
	v_subrev_nc_u32_e32 v21, 28, v20
	v_sub_nc_u32_e32 v20, 29, v20
	v_lshlrev_b64 v[176:177], v21, v[8:9]
	s_delay_alu instid0(VALU_DEP_1)
	v_and_b32_e32 v8, 7, v176
; %bb.1360:                             ;   in Loop: Header=BB253_1059 Depth=1
	s_or_b32 exec_lo, exec_lo, s15
	v_lshlrev_b32_e32 v21, 24, v166
	s_delay_alu instid0(VALU_DEP_2) | instskip(SKIP_1) | instid1(VALU_DEP_3)
	v_lshlrev_b32_e32 v8, 20, v8
	v_lshl_add_u32 v20, v20, 23, 0x3c000000
	v_and_b32_e32 v21, 0x80000000, v21
	s_delay_alu instid0(VALU_DEP_1)
	v_or3_b32 v21, v8, v21, v20
	v_mov_b32_e32 v20, v9
.LBB253_1361:                           ;   in Loop: Header=BB253_1059 Depth=1
	s_or_b32 exec_lo, exec_lo, s10
.LBB253_1362:                           ;   in Loop: Header=BB253_1059 Depth=1
	s_delay_alu instid0(SALU_CYCLE_1)
	s_or_b32 exec_lo, exec_lo, s13
.LBB253_1363:                           ;   in Loop: Header=BB253_1059 Depth=1
	s_delay_alu instid0(SALU_CYCLE_1) | instskip(SKIP_4) | instid1(VALU_DEP_3)
	s_or_b32 exec_lo, exec_lo, s12
	v_or_b32_e32 v5, v17, v5
	v_or_b32_e32 v4, v16, v4
	;; [unrolled: 1-line block ×4, first 2 shown]
	v_dual_mul_f32 v176, v96, v5 :: v_dual_mul_f32 v167, v82, v4
	s_delay_alu instid0(VALU_DEP_3) | instskip(NEXT) | instid1(VALU_DEP_3)
	v_mul_f32_e32 v165, v96, v8
	v_mul_f32_e32 v166, v82, v16
	s_and_saveexec_b32 s10, vcc_lo
; %bb.1364:                             ;   in Loop: Header=BB253_1059 Depth=1
	v_cmp_lt_i32_e64 s0, v102, v98
	s_delay_alu instid0(VALU_DEP_1) | instskip(SKIP_1) | instid1(VALU_DEP_1)
	v_cndmask_b32_e64 v167, 0, v167, s0
	v_cmp_lt_i32_e64 s0, v112, v98
	v_cndmask_b32_e64 v176, 0, v176, s0
	v_cmp_lt_i32_e64 s0, v103, v98
	s_delay_alu instid0(VALU_DEP_1) | instskip(SKIP_1) | instid1(VALU_DEP_1)
	v_cndmask_b32_e64 v166, 0, v166, s0
	v_cmp_lt_i32_e64 s0, v86, v98
	v_cndmask_b32_e64 v165, 0, v165, s0
; %bb.1365:                             ;   in Loop: Header=BB253_1059 Depth=1
	s_or_b32 exec_lo, exec_lo, s10
	flat_load_b32 v177, v[14:15] offset:1152
	v_mov_b32_e32 v16, 0
	v_mov_b32_e32 v17, 0
	s_mov_b32 s10, exec_lo
	s_waitcnt vmcnt(0) lgkmcnt(0)
	v_and_b32_e32 v8, 0xff, v177
	s_delay_alu instid0(VALU_DEP_2) | instskip(NEXT) | instid1(VALU_DEP_2)
	v_dual_mov_b32 v4, v16 :: v_dual_mov_b32 v5, v17
	v_cmpx_ne_u16_e32 0, v8
	s_cbranch_execz .LBB253_1373
; %bb.1366:                             ;   in Loop: Header=BB253_1059 Depth=1
	v_bfrev_b32_e32 v4, 1
	v_mov_b32_e32 v5, 0
	s_mov_b32 s12, exec_lo
	v_cmpx_ne_u16_e32 0x80, v8
	s_cbranch_execz .LBB253_1372
; %bb.1367:                             ;   in Loop: Header=BB253_1059 Depth=1
	v_mov_b32_e32 v4, 0x7f800001
	v_dual_mov_b32 v5, 0 :: v_dual_and_b32 v18, 0x7f, v177
	s_mov_b32 s13, exec_lo
	s_delay_alu instid0(VALU_DEP_1)
	v_cmpx_ne_u32_e32 0x7f, v18
	s_cbranch_execz .LBB253_1371
; %bb.1368:                             ;   in Loop: Header=BB253_1059 Depth=1
	v_and_b32_e32 v8, 7, v177
	v_lshrrev_b32_e32 v4, 3, v18
	s_mov_b32 s15, exec_lo
	v_cmpx_gt_u32_e32 8, v18
; %bb.1369:                             ;   in Loop: Header=BB253_1059 Depth=1
	s_delay_alu instid0(VALU_DEP_3) | instskip(NEXT) | instid1(VALU_DEP_1)
	v_clz_i32_u32_e32 v4, v8
	v_min_u32_e32 v4, 32, v4
	s_delay_alu instid0(VALU_DEP_1) | instskip(SKIP_1) | instid1(VALU_DEP_2)
	v_subrev_nc_u32_e32 v5, 28, v4
	v_sub_nc_u32_e32 v4, 29, v4
	v_lshlrev_b64 v[18:19], v5, v[8:9]
	s_delay_alu instid0(VALU_DEP_1)
	v_and_b32_e32 v8, 7, v18
; %bb.1370:                             ;   in Loop: Header=BB253_1059 Depth=1
	s_or_b32 exec_lo, exec_lo, s15
	v_lshlrev_b32_e32 v5, 24, v177
	s_delay_alu instid0(VALU_DEP_2) | instskip(SKIP_1) | instid1(VALU_DEP_3)
	v_lshlrev_b32_e32 v8, 20, v8
	v_lshl_add_u32 v4, v4, 23, 0x3c000000
	v_and_b32_e32 v5, 0x80000000, v5
	s_delay_alu instid0(VALU_DEP_1) | instskip(NEXT) | instid1(VALU_DEP_1)
	v_or3_b32 v8, v8, v5, v4
	v_dual_mov_b32 v4, v8 :: v_dual_mov_b32 v5, v9
.LBB253_1371:                           ;   in Loop: Header=BB253_1059 Depth=1
	s_or_b32 exec_lo, exec_lo, s13
.LBB253_1372:                           ;   in Loop: Header=BB253_1059 Depth=1
	s_delay_alu instid0(SALU_CYCLE_1)
	s_or_b32 exec_lo, exec_lo, s12
.LBB253_1373:                           ;   in Loop: Header=BB253_1059 Depth=1
	s_delay_alu instid0(SALU_CYCLE_1) | instskip(SKIP_2) | instid1(VALU_DEP_1)
	s_or_b32 exec_lo, exec_lo, s10
	v_lshrrev_b16 v8, 8, v177
	s_mov_b32 s12, exec_lo
	v_cmpx_ne_u16_e32 0, v8
	s_cbranch_execz .LBB253_1381
; %bb.1374:                             ;   in Loop: Header=BB253_1059 Depth=1
	v_dual_mov_b32 v17, s9 :: v_dual_mov_b32 v16, s8
	s_mov_b32 s13, exec_lo
	v_cmpx_ne_u16_e32 0x80, v8
	s_cbranch_execz .LBB253_1380
; %bb.1375:                             ;   in Loop: Header=BB253_1059 Depth=1
	s_mov_b32 s10, s8
	v_dual_mov_b32 v17, s11 :: v_dual_and_b32 v8, 0xffff, v8
	v_mov_b32_e32 v16, s10
	s_mov_b32 s10, exec_lo
	s_delay_alu instid0(VALU_DEP_2) | instskip(NEXT) | instid1(VALU_DEP_1)
	v_and_b32_e32 v18, 0x7f, v8
	v_cmpx_ne_u32_e32 0x7f, v18
	s_cbranch_execz .LBB253_1379
; %bb.1376:                             ;   in Loop: Header=BB253_1059 Depth=1
	v_and_b32_e32 v8, 7, v8
	v_lshrrev_b32_e32 v16, 3, v18
	s_mov_b32 s15, exec_lo
	v_cmpx_gt_u32_e32 8, v18
; %bb.1377:                             ;   in Loop: Header=BB253_1059 Depth=1
	s_delay_alu instid0(VALU_DEP_3) | instskip(NEXT) | instid1(VALU_DEP_1)
	v_clz_i32_u32_e32 v16, v8
	v_min_u32_e32 v16, 32, v16
	s_delay_alu instid0(VALU_DEP_1) | instskip(SKIP_1) | instid1(VALU_DEP_2)
	v_subrev_nc_u32_e32 v17, 28, v16
	v_sub_nc_u32_e32 v16, 29, v16
	v_lshlrev_b64 v[17:18], v17, v[8:9]
	s_delay_alu instid0(VALU_DEP_1)
	v_and_b32_e32 v8, 7, v17
; %bb.1378:                             ;   in Loop: Header=BB253_1059 Depth=1
	s_or_b32 exec_lo, exec_lo, s15
	v_lshlrev_b32_e32 v17, 16, v177
	s_delay_alu instid0(VALU_DEP_2) | instskip(SKIP_1) | instid1(VALU_DEP_3)
	v_lshlrev_b32_e32 v8, 20, v8
	v_lshl_add_u32 v16, v16, 23, 0x3c000000
	v_and_b32_e32 v17, 0x80000000, v17
	s_delay_alu instid0(VALU_DEP_1)
	v_or3_b32 v17, v8, v17, v16
	v_mov_b32_e32 v16, v9
.LBB253_1379:                           ;   in Loop: Header=BB253_1059 Depth=1
	s_or_b32 exec_lo, exec_lo, s10
.LBB253_1380:                           ;   in Loop: Header=BB253_1059 Depth=1
	s_delay_alu instid0(SALU_CYCLE_1)
	s_or_b32 exec_lo, exec_lo, s13
.LBB253_1381:                           ;   in Loop: Header=BB253_1059 Depth=1
	s_delay_alu instid0(SALU_CYCLE_1) | instskip(SKIP_4) | instid1(VALU_DEP_2)
	s_or_b32 exec_lo, exec_lo, s12
	v_mov_b32_e32 v20, 0
	v_lshrrev_b32_e32 v178, 16, v177
	v_mov_b32_e32 v21, 0
	s_mov_b32 s10, exec_lo
	v_and_b32_e32 v8, 0xff, v178
	s_delay_alu instid0(VALU_DEP_2) | instskip(NEXT) | instid1(VALU_DEP_2)
	v_dual_mov_b32 v18, v20 :: v_dual_mov_b32 v19, v21
	v_cmpx_ne_u16_e32 0, v8
	s_cbranch_execz .LBB253_1389
; %bb.1382:                             ;   in Loop: Header=BB253_1059 Depth=1
	v_bfrev_b32_e32 v18, 1
	v_mov_b32_e32 v19, 0
	s_mov_b32 s12, exec_lo
	v_cmpx_ne_u16_e32 0x80, v8
	s_cbranch_execz .LBB253_1388
; %bb.1383:                             ;   in Loop: Header=BB253_1059 Depth=1
	v_mov_b32_e32 v18, 0x7f800001
	v_bfe_u32 v179, v177, 16, 7
	v_mov_b32_e32 v19, 0
	s_mov_b32 s13, exec_lo
	s_delay_alu instid0(VALU_DEP_2)
	v_cmpx_ne_u32_e32 0x7f, v179
	s_cbranch_execz .LBB253_1387
; %bb.1384:                             ;   in Loop: Header=BB253_1059 Depth=1
	v_and_b32_e32 v8, 7, v178
	v_lshrrev_b32_e32 v18, 3, v179
	s_mov_b32 s15, exec_lo
	v_cmpx_gt_u32_e32 8, v179
; %bb.1385:                             ;   in Loop: Header=BB253_1059 Depth=1
	s_delay_alu instid0(VALU_DEP_3) | instskip(NEXT) | instid1(VALU_DEP_1)
	v_clz_i32_u32_e32 v18, v8
	v_min_u32_e32 v18, 32, v18
	s_delay_alu instid0(VALU_DEP_1) | instskip(SKIP_1) | instid1(VALU_DEP_2)
	v_subrev_nc_u32_e32 v19, 28, v18
	v_sub_nc_u32_e32 v18, 29, v18
	v_lshlrev_b64 v[179:180], v19, v[8:9]
	s_delay_alu instid0(VALU_DEP_1)
	v_and_b32_e32 v8, 7, v179
; %bb.1386:                             ;   in Loop: Header=BB253_1059 Depth=1
	s_or_b32 exec_lo, exec_lo, s15
	v_lshlrev_b32_e32 v19, 24, v178
	s_delay_alu instid0(VALU_DEP_2) | instskip(SKIP_1) | instid1(VALU_DEP_3)
	v_lshlrev_b32_e32 v8, 20, v8
	v_lshl_add_u32 v18, v18, 23, 0x3c000000
	v_and_b32_e32 v19, 0x80000000, v19
	s_delay_alu instid0(VALU_DEP_1) | instskip(NEXT) | instid1(VALU_DEP_1)
	v_or3_b32 v8, v8, v19, v18
	v_dual_mov_b32 v19, v9 :: v_dual_mov_b32 v18, v8
.LBB253_1387:                           ;   in Loop: Header=BB253_1059 Depth=1
	s_or_b32 exec_lo, exec_lo, s13
.LBB253_1388:                           ;   in Loop: Header=BB253_1059 Depth=1
	s_delay_alu instid0(SALU_CYCLE_1)
	s_or_b32 exec_lo, exec_lo, s12
.LBB253_1389:                           ;   in Loop: Header=BB253_1059 Depth=1
	s_delay_alu instid0(SALU_CYCLE_1) | instskip(NEXT) | instid1(SALU_CYCLE_1)
	s_or_b32 exec_lo, exec_lo, s10
	s_mov_b32 s12, exec_lo
	v_cmpx_lt_u32_e32 0xffffff, v177
	s_cbranch_execz .LBB253_1397
; %bb.1390:                             ;   in Loop: Header=BB253_1059 Depth=1
	v_lshrrev_b32_e32 v178, 24, v177
	v_dual_mov_b32 v21, s9 :: v_dual_mov_b32 v20, s8
	s_mov_b32 s13, exec_lo
	s_delay_alu instid0(VALU_DEP_2)
	v_cmpx_ne_u32_e32 0x80, v178
	s_cbranch_execz .LBB253_1396
; %bb.1391:                             ;   in Loop: Header=BB253_1059 Depth=1
	s_mov_b32 s10, s8
	v_bfe_u32 v177, v177, 24, 7
	v_dual_mov_b32 v21, s11 :: v_dual_mov_b32 v20, s10
	s_mov_b32 s10, exec_lo
	s_delay_alu instid0(VALU_DEP_2)
	v_cmpx_ne_u32_e32 0x7f, v177
	s_cbranch_execz .LBB253_1395
; %bb.1392:                             ;   in Loop: Header=BB253_1059 Depth=1
	v_and_b32_e32 v8, 7, v178
	v_lshrrev_b32_e32 v20, 3, v177
	s_mov_b32 s15, exec_lo
	v_cmpx_gt_u32_e32 8, v177
; %bb.1393:                             ;   in Loop: Header=BB253_1059 Depth=1
	s_delay_alu instid0(VALU_DEP_3) | instskip(NEXT) | instid1(VALU_DEP_1)
	v_clz_i32_u32_e32 v20, v8
	v_min_u32_e32 v20, 32, v20
	s_delay_alu instid0(VALU_DEP_1) | instskip(SKIP_1) | instid1(VALU_DEP_2)
	v_subrev_nc_u32_e32 v21, 28, v20
	v_sub_nc_u32_e32 v20, 29, v20
	v_lshlrev_b64 v[179:180], v21, v[8:9]
	s_delay_alu instid0(VALU_DEP_1)
	v_and_b32_e32 v8, 7, v179
; %bb.1394:                             ;   in Loop: Header=BB253_1059 Depth=1
	s_or_b32 exec_lo, exec_lo, s15
	v_lshlrev_b32_e32 v21, 24, v178
	s_delay_alu instid0(VALU_DEP_2) | instskip(SKIP_1) | instid1(VALU_DEP_3)
	v_lshlrev_b32_e32 v8, 20, v8
	v_lshl_add_u32 v20, v20, 23, 0x3c000000
	v_and_b32_e32 v21, 0x80000000, v21
	s_delay_alu instid0(VALU_DEP_1)
	v_or3_b32 v21, v8, v21, v20
	v_mov_b32_e32 v20, v9
.LBB253_1395:                           ;   in Loop: Header=BB253_1059 Depth=1
	s_or_b32 exec_lo, exec_lo, s10
.LBB253_1396:                           ;   in Loop: Header=BB253_1059 Depth=1
	s_delay_alu instid0(SALU_CYCLE_1)
	s_or_b32 exec_lo, exec_lo, s13
.LBB253_1397:                           ;   in Loop: Header=BB253_1059 Depth=1
	s_delay_alu instid0(SALU_CYCLE_1) | instskip(SKIP_4) | instid1(VALU_DEP_3)
	s_or_b32 exec_lo, exec_lo, s12
	v_or_b32_e32 v5, v17, v5
	v_or_b32_e32 v4, v16, v4
	v_or_b32_e32 v8, v21, v19
	v_or_b32_e32 v16, v20, v18
	v_dual_mul_f32 v180, v96, v5 :: v_dual_mul_f32 v179, v82, v4
	s_delay_alu instid0(VALU_DEP_3) | instskip(NEXT) | instid1(VALU_DEP_3)
	v_mul_f32_e32 v177, v96, v8
	v_mul_f32_e32 v178, v82, v16
	s_and_saveexec_b32 s10, vcc_lo
; %bb.1398:                             ;   in Loop: Header=BB253_1059 Depth=1
	v_cmp_lt_i32_e64 s0, v102, v98
	s_delay_alu instid0(VALU_DEP_1) | instskip(SKIP_1) | instid1(VALU_DEP_1)
	v_cndmask_b32_e64 v179, 0, v179, s0
	v_cmp_lt_i32_e64 s0, v112, v98
	v_cndmask_b32_e64 v180, 0, v180, s0
	v_cmp_lt_i32_e64 s0, v103, v98
	s_delay_alu instid0(VALU_DEP_1) | instskip(SKIP_1) | instid1(VALU_DEP_1)
	v_cndmask_b32_e64 v178, 0, v178, s0
	v_cmp_lt_i32_e64 s0, v86, v98
	v_cndmask_b32_e64 v177, 0, v177, s0
; %bb.1399:                             ;   in Loop: Header=BB253_1059 Depth=1
	s_or_b32 exec_lo, exec_lo, s10
	flat_load_b32 v181, v[14:15] offset:1280
	v_mov_b32_e32 v16, 0
	v_mov_b32_e32 v17, 0
	s_mov_b32 s10, exec_lo
	s_waitcnt vmcnt(0) lgkmcnt(0)
	v_and_b32_e32 v8, 0xff, v181
	s_delay_alu instid0(VALU_DEP_2) | instskip(NEXT) | instid1(VALU_DEP_2)
	v_dual_mov_b32 v4, v16 :: v_dual_mov_b32 v5, v17
	v_cmpx_ne_u16_e32 0, v8
	s_cbranch_execz .LBB253_1407
; %bb.1400:                             ;   in Loop: Header=BB253_1059 Depth=1
	v_bfrev_b32_e32 v4, 1
	v_mov_b32_e32 v5, 0
	s_mov_b32 s12, exec_lo
	v_cmpx_ne_u16_e32 0x80, v8
	s_cbranch_execz .LBB253_1406
; %bb.1401:                             ;   in Loop: Header=BB253_1059 Depth=1
	v_mov_b32_e32 v4, 0x7f800001
	v_dual_mov_b32 v5, 0 :: v_dual_and_b32 v18, 0x7f, v181
	s_mov_b32 s13, exec_lo
	s_delay_alu instid0(VALU_DEP_1)
	v_cmpx_ne_u32_e32 0x7f, v18
	s_cbranch_execz .LBB253_1405
; %bb.1402:                             ;   in Loop: Header=BB253_1059 Depth=1
	v_and_b32_e32 v8, 7, v181
	v_lshrrev_b32_e32 v4, 3, v18
	s_mov_b32 s15, exec_lo
	v_cmpx_gt_u32_e32 8, v18
; %bb.1403:                             ;   in Loop: Header=BB253_1059 Depth=1
	s_delay_alu instid0(VALU_DEP_3) | instskip(NEXT) | instid1(VALU_DEP_1)
	v_clz_i32_u32_e32 v4, v8
	v_min_u32_e32 v4, 32, v4
	s_delay_alu instid0(VALU_DEP_1) | instskip(SKIP_1) | instid1(VALU_DEP_2)
	v_subrev_nc_u32_e32 v5, 28, v4
	v_sub_nc_u32_e32 v4, 29, v4
	v_lshlrev_b64 v[18:19], v5, v[8:9]
	s_delay_alu instid0(VALU_DEP_1)
	v_and_b32_e32 v8, 7, v18
; %bb.1404:                             ;   in Loop: Header=BB253_1059 Depth=1
	s_or_b32 exec_lo, exec_lo, s15
	v_lshlrev_b32_e32 v5, 24, v181
	s_delay_alu instid0(VALU_DEP_2) | instskip(SKIP_1) | instid1(VALU_DEP_3)
	v_lshlrev_b32_e32 v8, 20, v8
	v_lshl_add_u32 v4, v4, 23, 0x3c000000
	v_and_b32_e32 v5, 0x80000000, v5
	s_delay_alu instid0(VALU_DEP_1) | instskip(NEXT) | instid1(VALU_DEP_1)
	v_or3_b32 v8, v8, v5, v4
	v_dual_mov_b32 v4, v8 :: v_dual_mov_b32 v5, v9
.LBB253_1405:                           ;   in Loop: Header=BB253_1059 Depth=1
	s_or_b32 exec_lo, exec_lo, s13
.LBB253_1406:                           ;   in Loop: Header=BB253_1059 Depth=1
	s_delay_alu instid0(SALU_CYCLE_1)
	s_or_b32 exec_lo, exec_lo, s12
.LBB253_1407:                           ;   in Loop: Header=BB253_1059 Depth=1
	s_delay_alu instid0(SALU_CYCLE_1) | instskip(SKIP_2) | instid1(VALU_DEP_1)
	s_or_b32 exec_lo, exec_lo, s10
	v_lshrrev_b16 v8, 8, v181
	s_mov_b32 s12, exec_lo
	v_cmpx_ne_u16_e32 0, v8
	s_cbranch_execz .LBB253_1415
; %bb.1408:                             ;   in Loop: Header=BB253_1059 Depth=1
	v_dual_mov_b32 v17, s9 :: v_dual_mov_b32 v16, s8
	s_mov_b32 s13, exec_lo
	v_cmpx_ne_u16_e32 0x80, v8
	s_cbranch_execz .LBB253_1414
; %bb.1409:                             ;   in Loop: Header=BB253_1059 Depth=1
	s_mov_b32 s10, s8
	v_dual_mov_b32 v17, s11 :: v_dual_and_b32 v8, 0xffff, v8
	v_mov_b32_e32 v16, s10
	s_mov_b32 s10, exec_lo
	s_delay_alu instid0(VALU_DEP_2) | instskip(NEXT) | instid1(VALU_DEP_1)
	v_and_b32_e32 v18, 0x7f, v8
	v_cmpx_ne_u32_e32 0x7f, v18
	s_cbranch_execz .LBB253_1413
; %bb.1410:                             ;   in Loop: Header=BB253_1059 Depth=1
	v_and_b32_e32 v8, 7, v8
	v_lshrrev_b32_e32 v16, 3, v18
	s_mov_b32 s15, exec_lo
	v_cmpx_gt_u32_e32 8, v18
; %bb.1411:                             ;   in Loop: Header=BB253_1059 Depth=1
	s_delay_alu instid0(VALU_DEP_3) | instskip(NEXT) | instid1(VALU_DEP_1)
	v_clz_i32_u32_e32 v16, v8
	v_min_u32_e32 v16, 32, v16
	s_delay_alu instid0(VALU_DEP_1) | instskip(SKIP_1) | instid1(VALU_DEP_2)
	v_subrev_nc_u32_e32 v17, 28, v16
	v_sub_nc_u32_e32 v16, 29, v16
	v_lshlrev_b64 v[17:18], v17, v[8:9]
	s_delay_alu instid0(VALU_DEP_1)
	v_and_b32_e32 v8, 7, v17
; %bb.1412:                             ;   in Loop: Header=BB253_1059 Depth=1
	s_or_b32 exec_lo, exec_lo, s15
	v_lshlrev_b32_e32 v17, 16, v181
	s_delay_alu instid0(VALU_DEP_2) | instskip(SKIP_1) | instid1(VALU_DEP_3)
	v_lshlrev_b32_e32 v8, 20, v8
	v_lshl_add_u32 v16, v16, 23, 0x3c000000
	v_and_b32_e32 v17, 0x80000000, v17
	s_delay_alu instid0(VALU_DEP_1)
	v_or3_b32 v17, v8, v17, v16
	v_mov_b32_e32 v16, v9
.LBB253_1413:                           ;   in Loop: Header=BB253_1059 Depth=1
	s_or_b32 exec_lo, exec_lo, s10
.LBB253_1414:                           ;   in Loop: Header=BB253_1059 Depth=1
	s_delay_alu instid0(SALU_CYCLE_1)
	s_or_b32 exec_lo, exec_lo, s13
.LBB253_1415:                           ;   in Loop: Header=BB253_1059 Depth=1
	s_delay_alu instid0(SALU_CYCLE_1) | instskip(SKIP_4) | instid1(VALU_DEP_2)
	s_or_b32 exec_lo, exec_lo, s12
	v_mov_b32_e32 v20, 0
	v_lshrrev_b32_e32 v182, 16, v181
	v_mov_b32_e32 v21, 0
	s_mov_b32 s10, exec_lo
	v_and_b32_e32 v8, 0xff, v182
	s_delay_alu instid0(VALU_DEP_2) | instskip(NEXT) | instid1(VALU_DEP_2)
	v_dual_mov_b32 v18, v20 :: v_dual_mov_b32 v19, v21
	v_cmpx_ne_u16_e32 0, v8
	s_cbranch_execz .LBB253_1423
; %bb.1416:                             ;   in Loop: Header=BB253_1059 Depth=1
	v_bfrev_b32_e32 v18, 1
	v_mov_b32_e32 v19, 0
	s_mov_b32 s12, exec_lo
	v_cmpx_ne_u16_e32 0x80, v8
	s_cbranch_execz .LBB253_1422
; %bb.1417:                             ;   in Loop: Header=BB253_1059 Depth=1
	v_mov_b32_e32 v18, 0x7f800001
	v_bfe_u32 v183, v181, 16, 7
	v_mov_b32_e32 v19, 0
	s_mov_b32 s13, exec_lo
	s_delay_alu instid0(VALU_DEP_2)
	v_cmpx_ne_u32_e32 0x7f, v183
	s_cbranch_execz .LBB253_1421
; %bb.1418:                             ;   in Loop: Header=BB253_1059 Depth=1
	v_and_b32_e32 v8, 7, v182
	v_lshrrev_b32_e32 v18, 3, v183
	s_mov_b32 s15, exec_lo
	v_cmpx_gt_u32_e32 8, v183
; %bb.1419:                             ;   in Loop: Header=BB253_1059 Depth=1
	s_delay_alu instid0(VALU_DEP_3) | instskip(NEXT) | instid1(VALU_DEP_1)
	v_clz_i32_u32_e32 v18, v8
	v_min_u32_e32 v18, 32, v18
	s_delay_alu instid0(VALU_DEP_1) | instskip(SKIP_1) | instid1(VALU_DEP_2)
	v_subrev_nc_u32_e32 v19, 28, v18
	v_sub_nc_u32_e32 v18, 29, v18
	v_lshlrev_b64 v[40:41], v19, v[8:9]
	s_delay_alu instid0(VALU_DEP_1)
	v_and_b32_e32 v8, 7, v40
; %bb.1420:                             ;   in Loop: Header=BB253_1059 Depth=1
	s_or_b32 exec_lo, exec_lo, s15
	v_lshlrev_b32_e32 v19, 24, v182
	s_delay_alu instid0(VALU_DEP_2) | instskip(SKIP_1) | instid1(VALU_DEP_3)
	v_lshlrev_b32_e32 v8, 20, v8
	v_lshl_add_u32 v18, v18, 23, 0x3c000000
	v_and_b32_e32 v19, 0x80000000, v19
	s_delay_alu instid0(VALU_DEP_1) | instskip(NEXT) | instid1(VALU_DEP_1)
	v_or3_b32 v8, v8, v19, v18
	v_dual_mov_b32 v19, v9 :: v_dual_mov_b32 v18, v8
.LBB253_1421:                           ;   in Loop: Header=BB253_1059 Depth=1
	s_or_b32 exec_lo, exec_lo, s13
.LBB253_1422:                           ;   in Loop: Header=BB253_1059 Depth=1
	s_delay_alu instid0(SALU_CYCLE_1)
	s_or_b32 exec_lo, exec_lo, s12
.LBB253_1423:                           ;   in Loop: Header=BB253_1059 Depth=1
	s_delay_alu instid0(SALU_CYCLE_1) | instskip(NEXT) | instid1(SALU_CYCLE_1)
	s_or_b32 exec_lo, exec_lo, s10
	s_mov_b32 s12, exec_lo
	v_cmpx_lt_u32_e32 0xffffff, v181
	s_cbranch_execz .LBB253_1431
; %bb.1424:                             ;   in Loop: Header=BB253_1059 Depth=1
	v_lshrrev_b32_e32 v182, 24, v181
	v_dual_mov_b32 v21, s9 :: v_dual_mov_b32 v20, s8
	s_mov_b32 s13, exec_lo
	s_delay_alu instid0(VALU_DEP_2)
	v_cmpx_ne_u32_e32 0x80, v182
	s_cbranch_execz .LBB253_1430
; %bb.1425:                             ;   in Loop: Header=BB253_1059 Depth=1
	s_mov_b32 s10, s8
	v_bfe_u32 v181, v181, 24, 7
	v_dual_mov_b32 v21, s11 :: v_dual_mov_b32 v20, s10
	s_mov_b32 s10, exec_lo
	s_delay_alu instid0(VALU_DEP_2)
	v_cmpx_ne_u32_e32 0x7f, v181
	s_cbranch_execz .LBB253_1429
; %bb.1426:                             ;   in Loop: Header=BB253_1059 Depth=1
	v_and_b32_e32 v8, 7, v182
	v_lshrrev_b32_e32 v20, 3, v181
	s_mov_b32 s15, exec_lo
	v_cmpx_gt_u32_e32 8, v181
; %bb.1427:                             ;   in Loop: Header=BB253_1059 Depth=1
	s_delay_alu instid0(VALU_DEP_3) | instskip(NEXT) | instid1(VALU_DEP_1)
	v_clz_i32_u32_e32 v20, v8
	v_min_u32_e32 v20, 32, v20
	s_delay_alu instid0(VALU_DEP_1) | instskip(SKIP_1) | instid1(VALU_DEP_2)
	v_subrev_nc_u32_e32 v21, 28, v20
	v_sub_nc_u32_e32 v20, 29, v20
	v_lshlrev_b64 v[40:41], v21, v[8:9]
	s_delay_alu instid0(VALU_DEP_1)
	v_and_b32_e32 v8, 7, v40
; %bb.1428:                             ;   in Loop: Header=BB253_1059 Depth=1
	s_or_b32 exec_lo, exec_lo, s15
	v_lshlrev_b32_e32 v21, 24, v182
	s_delay_alu instid0(VALU_DEP_2) | instskip(SKIP_1) | instid1(VALU_DEP_3)
	v_lshlrev_b32_e32 v8, 20, v8
	v_lshl_add_u32 v20, v20, 23, 0x3c000000
	v_and_b32_e32 v21, 0x80000000, v21
	s_delay_alu instid0(VALU_DEP_1)
	v_or3_b32 v21, v8, v21, v20
	v_mov_b32_e32 v20, v9
.LBB253_1429:                           ;   in Loop: Header=BB253_1059 Depth=1
	s_or_b32 exec_lo, exec_lo, s10
.LBB253_1430:                           ;   in Loop: Header=BB253_1059 Depth=1
	s_delay_alu instid0(SALU_CYCLE_1)
	s_or_b32 exec_lo, exec_lo, s13
.LBB253_1431:                           ;   in Loop: Header=BB253_1059 Depth=1
	s_delay_alu instid0(SALU_CYCLE_1) | instskip(SKIP_4) | instid1(VALU_DEP_3)
	s_or_b32 exec_lo, exec_lo, s12
	v_or_b32_e32 v5, v17, v5
	v_or_b32_e32 v4, v16, v4
	;; [unrolled: 1-line block ×4, first 2 shown]
	v_dual_mul_f32 v40, v96, v5 :: v_dual_mul_f32 v183, v82, v4
	s_delay_alu instid0(VALU_DEP_3) | instskip(NEXT) | instid1(VALU_DEP_3)
	v_mul_f32_e32 v181, v96, v8
	v_mul_f32_e32 v182, v82, v16
	s_and_saveexec_b32 s10, vcc_lo
; %bb.1432:                             ;   in Loop: Header=BB253_1059 Depth=1
	v_cmp_lt_i32_e64 s0, v102, v98
	s_delay_alu instid0(VALU_DEP_1) | instskip(SKIP_1) | instid1(VALU_DEP_1)
	v_cndmask_b32_e64 v183, 0, v183, s0
	v_cmp_lt_i32_e64 s0, v112, v98
	v_cndmask_b32_e64 v40, 0, v40, s0
	v_cmp_lt_i32_e64 s0, v103, v98
	s_delay_alu instid0(VALU_DEP_1) | instskip(SKIP_1) | instid1(VALU_DEP_1)
	v_cndmask_b32_e64 v182, 0, v182, s0
	v_cmp_lt_i32_e64 s0, v86, v98
	v_cndmask_b32_e64 v181, 0, v181, s0
; %bb.1433:                             ;   in Loop: Header=BB253_1059 Depth=1
	s_or_b32 exec_lo, exec_lo, s10
	flat_load_b32 v41, v[14:15] offset:1408
	v_mov_b32_e32 v16, 0
	v_mov_b32_e32 v17, 0
	s_mov_b32 s10, exec_lo
	s_waitcnt vmcnt(0) lgkmcnt(0)
	v_and_b32_e32 v8, 0xff, v41
	s_delay_alu instid0(VALU_DEP_2) | instskip(NEXT) | instid1(VALU_DEP_2)
	v_dual_mov_b32 v4, v16 :: v_dual_mov_b32 v5, v17
	v_cmpx_ne_u16_e32 0, v8
	s_cbranch_execz .LBB253_1441
; %bb.1434:                             ;   in Loop: Header=BB253_1059 Depth=1
	v_bfrev_b32_e32 v4, 1
	v_mov_b32_e32 v5, 0
	s_mov_b32 s12, exec_lo
	v_cmpx_ne_u16_e32 0x80, v8
	s_cbranch_execz .LBB253_1440
; %bb.1435:                             ;   in Loop: Header=BB253_1059 Depth=1
	v_mov_b32_e32 v4, 0x7f800001
	v_dual_mov_b32 v5, 0 :: v_dual_and_b32 v18, 0x7f, v41
	s_mov_b32 s13, exec_lo
	s_delay_alu instid0(VALU_DEP_1)
	v_cmpx_ne_u32_e32 0x7f, v18
	s_cbranch_execz .LBB253_1439
; %bb.1436:                             ;   in Loop: Header=BB253_1059 Depth=1
	v_and_b32_e32 v8, 7, v41
	v_lshrrev_b32_e32 v4, 3, v18
	s_mov_b32 s15, exec_lo
	v_cmpx_gt_u32_e32 8, v18
; %bb.1437:                             ;   in Loop: Header=BB253_1059 Depth=1
	s_delay_alu instid0(VALU_DEP_3) | instskip(NEXT) | instid1(VALU_DEP_1)
	v_clz_i32_u32_e32 v4, v8
	v_min_u32_e32 v4, 32, v4
	s_delay_alu instid0(VALU_DEP_1) | instskip(SKIP_1) | instid1(VALU_DEP_2)
	v_subrev_nc_u32_e32 v5, 28, v4
	v_sub_nc_u32_e32 v4, 29, v4
	v_lshlrev_b64 v[18:19], v5, v[8:9]
	s_delay_alu instid0(VALU_DEP_1)
	v_and_b32_e32 v8, 7, v18
; %bb.1438:                             ;   in Loop: Header=BB253_1059 Depth=1
	s_or_b32 exec_lo, exec_lo, s15
	v_lshlrev_b32_e32 v5, 24, v41
	s_delay_alu instid0(VALU_DEP_2) | instskip(SKIP_1) | instid1(VALU_DEP_3)
	v_lshlrev_b32_e32 v8, 20, v8
	v_lshl_add_u32 v4, v4, 23, 0x3c000000
	v_and_b32_e32 v5, 0x80000000, v5
	s_delay_alu instid0(VALU_DEP_1) | instskip(NEXT) | instid1(VALU_DEP_1)
	v_or3_b32 v8, v8, v5, v4
	v_dual_mov_b32 v4, v8 :: v_dual_mov_b32 v5, v9
.LBB253_1439:                           ;   in Loop: Header=BB253_1059 Depth=1
	s_or_b32 exec_lo, exec_lo, s13
.LBB253_1440:                           ;   in Loop: Header=BB253_1059 Depth=1
	s_delay_alu instid0(SALU_CYCLE_1)
	s_or_b32 exec_lo, exec_lo, s12
.LBB253_1441:                           ;   in Loop: Header=BB253_1059 Depth=1
	s_delay_alu instid0(SALU_CYCLE_1) | instskip(SKIP_2) | instid1(VALU_DEP_1)
	s_or_b32 exec_lo, exec_lo, s10
	v_lshrrev_b16 v8, 8, v41
	s_mov_b32 s12, exec_lo
	v_cmpx_ne_u16_e32 0, v8
	s_cbranch_execz .LBB253_1449
; %bb.1442:                             ;   in Loop: Header=BB253_1059 Depth=1
	v_dual_mov_b32 v17, s9 :: v_dual_mov_b32 v16, s8
	s_mov_b32 s13, exec_lo
	v_cmpx_ne_u16_e32 0x80, v8
	s_cbranch_execz .LBB253_1448
; %bb.1443:                             ;   in Loop: Header=BB253_1059 Depth=1
	s_mov_b32 s10, s8
	v_dual_mov_b32 v17, s11 :: v_dual_and_b32 v8, 0xffff, v8
	v_mov_b32_e32 v16, s10
	s_mov_b32 s10, exec_lo
	s_delay_alu instid0(VALU_DEP_2) | instskip(NEXT) | instid1(VALU_DEP_1)
	v_and_b32_e32 v18, 0x7f, v8
	v_cmpx_ne_u32_e32 0x7f, v18
	s_cbranch_execz .LBB253_1447
; %bb.1444:                             ;   in Loop: Header=BB253_1059 Depth=1
	v_and_b32_e32 v8, 7, v8
	v_lshrrev_b32_e32 v16, 3, v18
	s_mov_b32 s15, exec_lo
	v_cmpx_gt_u32_e32 8, v18
; %bb.1445:                             ;   in Loop: Header=BB253_1059 Depth=1
	s_delay_alu instid0(VALU_DEP_3) | instskip(NEXT) | instid1(VALU_DEP_1)
	v_clz_i32_u32_e32 v16, v8
	v_min_u32_e32 v16, 32, v16
	s_delay_alu instid0(VALU_DEP_1) | instskip(SKIP_1) | instid1(VALU_DEP_2)
	v_subrev_nc_u32_e32 v17, 28, v16
	v_sub_nc_u32_e32 v16, 29, v16
	v_lshlrev_b64 v[17:18], v17, v[8:9]
	s_delay_alu instid0(VALU_DEP_1)
	v_and_b32_e32 v8, 7, v17
; %bb.1446:                             ;   in Loop: Header=BB253_1059 Depth=1
	s_or_b32 exec_lo, exec_lo, s15
	v_lshlrev_b32_e32 v17, 16, v41
	s_delay_alu instid0(VALU_DEP_2) | instskip(SKIP_1) | instid1(VALU_DEP_3)
	v_lshlrev_b32_e32 v8, 20, v8
	v_lshl_add_u32 v16, v16, 23, 0x3c000000
	v_and_b32_e32 v17, 0x80000000, v17
	s_delay_alu instid0(VALU_DEP_1)
	v_or3_b32 v17, v8, v17, v16
	v_mov_b32_e32 v16, v9
.LBB253_1447:                           ;   in Loop: Header=BB253_1059 Depth=1
	s_or_b32 exec_lo, exec_lo, s10
.LBB253_1448:                           ;   in Loop: Header=BB253_1059 Depth=1
	s_delay_alu instid0(SALU_CYCLE_1)
	s_or_b32 exec_lo, exec_lo, s13
.LBB253_1449:                           ;   in Loop: Header=BB253_1059 Depth=1
	s_delay_alu instid0(SALU_CYCLE_1) | instskip(SKIP_4) | instid1(VALU_DEP_2)
	s_or_b32 exec_lo, exec_lo, s12
	v_mov_b32_e32 v20, 0
	v_lshrrev_b32_e32 v42, 16, v41
	v_mov_b32_e32 v21, 0
	s_mov_b32 s10, exec_lo
	v_and_b32_e32 v8, 0xff, v42
	s_delay_alu instid0(VALU_DEP_2) | instskip(NEXT) | instid1(VALU_DEP_2)
	v_dual_mov_b32 v18, v20 :: v_dual_mov_b32 v19, v21
	v_cmpx_ne_u16_e32 0, v8
	s_cbranch_execz .LBB253_1457
; %bb.1450:                             ;   in Loop: Header=BB253_1059 Depth=1
	v_bfrev_b32_e32 v18, 1
	v_mov_b32_e32 v19, 0
	s_mov_b32 s12, exec_lo
	v_cmpx_ne_u16_e32 0x80, v8
	s_cbranch_execz .LBB253_1456
; %bb.1451:                             ;   in Loop: Header=BB253_1059 Depth=1
	v_mov_b32_e32 v18, 0x7f800001
	v_bfe_u32 v43, v41, 16, 7
	v_mov_b32_e32 v19, 0
	s_mov_b32 s13, exec_lo
	s_delay_alu instid0(VALU_DEP_2)
	v_cmpx_ne_u32_e32 0x7f, v43
	s_cbranch_execz .LBB253_1455
; %bb.1452:                             ;   in Loop: Header=BB253_1059 Depth=1
	v_and_b32_e32 v8, 7, v42
	v_lshrrev_b32_e32 v18, 3, v43
	s_mov_b32 s15, exec_lo
	v_cmpx_gt_u32_e32 8, v43
; %bb.1453:                             ;   in Loop: Header=BB253_1059 Depth=1
	s_delay_alu instid0(VALU_DEP_3) | instskip(NEXT) | instid1(VALU_DEP_1)
	v_clz_i32_u32_e32 v18, v8
	v_min_u32_e32 v18, 32, v18
	s_delay_alu instid0(VALU_DEP_1) | instskip(SKIP_1) | instid1(VALU_DEP_2)
	v_subrev_nc_u32_e32 v19, 28, v18
	v_sub_nc_u32_e32 v18, 29, v18
	v_lshlrev_b64 v[43:44], v19, v[8:9]
	s_delay_alu instid0(VALU_DEP_1)
	v_and_b32_e32 v8, 7, v43
; %bb.1454:                             ;   in Loop: Header=BB253_1059 Depth=1
	s_or_b32 exec_lo, exec_lo, s15
	v_lshlrev_b32_e32 v19, 24, v42
	s_delay_alu instid0(VALU_DEP_2) | instskip(SKIP_1) | instid1(VALU_DEP_3)
	v_lshlrev_b32_e32 v8, 20, v8
	v_lshl_add_u32 v18, v18, 23, 0x3c000000
	v_and_b32_e32 v19, 0x80000000, v19
	s_delay_alu instid0(VALU_DEP_1) | instskip(NEXT) | instid1(VALU_DEP_1)
	v_or3_b32 v8, v8, v19, v18
	v_dual_mov_b32 v19, v9 :: v_dual_mov_b32 v18, v8
.LBB253_1455:                           ;   in Loop: Header=BB253_1059 Depth=1
	s_or_b32 exec_lo, exec_lo, s13
.LBB253_1456:                           ;   in Loop: Header=BB253_1059 Depth=1
	s_delay_alu instid0(SALU_CYCLE_1)
	s_or_b32 exec_lo, exec_lo, s12
.LBB253_1457:                           ;   in Loop: Header=BB253_1059 Depth=1
	s_delay_alu instid0(SALU_CYCLE_1) | instskip(NEXT) | instid1(SALU_CYCLE_1)
	s_or_b32 exec_lo, exec_lo, s10
	s_mov_b32 s12, exec_lo
	v_cmpx_lt_u32_e32 0xffffff, v41
	s_cbranch_execz .LBB253_1465
; %bb.1458:                             ;   in Loop: Header=BB253_1059 Depth=1
	v_lshrrev_b32_e32 v42, 24, v41
	v_dual_mov_b32 v21, s9 :: v_dual_mov_b32 v20, s8
	s_mov_b32 s13, exec_lo
	s_delay_alu instid0(VALU_DEP_2)
	v_cmpx_ne_u32_e32 0x80, v42
	s_cbranch_execz .LBB253_1464
; %bb.1459:                             ;   in Loop: Header=BB253_1059 Depth=1
	s_mov_b32 s10, s8
	v_bfe_u32 v41, v41, 24, 7
	v_dual_mov_b32 v21, s11 :: v_dual_mov_b32 v20, s10
	s_mov_b32 s10, exec_lo
	s_delay_alu instid0(VALU_DEP_2)
	v_cmpx_ne_u32_e32 0x7f, v41
	s_cbranch_execz .LBB253_1463
; %bb.1460:                             ;   in Loop: Header=BB253_1059 Depth=1
	v_and_b32_e32 v8, 7, v42
	v_lshrrev_b32_e32 v20, 3, v41
	s_mov_b32 s15, exec_lo
	v_cmpx_gt_u32_e32 8, v41
; %bb.1461:                             ;   in Loop: Header=BB253_1059 Depth=1
	s_delay_alu instid0(VALU_DEP_3) | instskip(NEXT) | instid1(VALU_DEP_1)
	v_clz_i32_u32_e32 v20, v8
	v_min_u32_e32 v20, 32, v20
	s_delay_alu instid0(VALU_DEP_1) | instskip(SKIP_1) | instid1(VALU_DEP_2)
	v_subrev_nc_u32_e32 v21, 28, v20
	v_sub_nc_u32_e32 v20, 29, v20
	v_lshlrev_b64 v[43:44], v21, v[8:9]
	s_delay_alu instid0(VALU_DEP_1)
	v_and_b32_e32 v8, 7, v43
; %bb.1462:                             ;   in Loop: Header=BB253_1059 Depth=1
	s_or_b32 exec_lo, exec_lo, s15
	v_lshlrev_b32_e32 v21, 24, v42
	s_delay_alu instid0(VALU_DEP_2) | instskip(SKIP_1) | instid1(VALU_DEP_3)
	v_lshlrev_b32_e32 v8, 20, v8
	v_lshl_add_u32 v20, v20, 23, 0x3c000000
	v_and_b32_e32 v21, 0x80000000, v21
	s_delay_alu instid0(VALU_DEP_1)
	v_or3_b32 v21, v8, v21, v20
	v_mov_b32_e32 v20, v9
.LBB253_1463:                           ;   in Loop: Header=BB253_1059 Depth=1
	s_or_b32 exec_lo, exec_lo, s10
.LBB253_1464:                           ;   in Loop: Header=BB253_1059 Depth=1
	s_delay_alu instid0(SALU_CYCLE_1)
	s_or_b32 exec_lo, exec_lo, s13
.LBB253_1465:                           ;   in Loop: Header=BB253_1059 Depth=1
	s_delay_alu instid0(SALU_CYCLE_1) | instskip(SKIP_4) | instid1(VALU_DEP_3)
	s_or_b32 exec_lo, exec_lo, s12
	v_or_b32_e32 v5, v17, v5
	v_or_b32_e32 v4, v16, v4
	;; [unrolled: 1-line block ×4, first 2 shown]
	v_dual_mul_f32 v44, v96, v5 :: v_dual_mul_f32 v43, v82, v4
	s_delay_alu instid0(VALU_DEP_3) | instskip(NEXT) | instid1(VALU_DEP_3)
	v_mul_f32_e32 v41, v96, v8
	v_mul_f32_e32 v42, v82, v16
	s_and_saveexec_b32 s10, vcc_lo
; %bb.1466:                             ;   in Loop: Header=BB253_1059 Depth=1
	v_cmp_lt_i32_e64 s0, v102, v98
	s_delay_alu instid0(VALU_DEP_1) | instskip(SKIP_1) | instid1(VALU_DEP_1)
	v_cndmask_b32_e64 v43, 0, v43, s0
	v_cmp_lt_i32_e64 s0, v112, v98
	v_cndmask_b32_e64 v44, 0, v44, s0
	v_cmp_lt_i32_e64 s0, v103, v98
	s_delay_alu instid0(VALU_DEP_1) | instskip(SKIP_1) | instid1(VALU_DEP_1)
	v_cndmask_b32_e64 v42, 0, v42, s0
	v_cmp_lt_i32_e64 s0, v86, v98
	v_cndmask_b32_e64 v41, 0, v41, s0
; %bb.1467:                             ;   in Loop: Header=BB253_1059 Depth=1
	s_or_b32 exec_lo, exec_lo, s10
	flat_load_b32 v45, v[14:15] offset:1536
	v_mov_b32_e32 v16, 0
	v_mov_b32_e32 v17, 0
	s_mov_b32 s10, exec_lo
	s_waitcnt vmcnt(0) lgkmcnt(0)
	v_and_b32_e32 v8, 0xff, v45
	s_delay_alu instid0(VALU_DEP_2) | instskip(NEXT) | instid1(VALU_DEP_2)
	v_dual_mov_b32 v4, v16 :: v_dual_mov_b32 v5, v17
	v_cmpx_ne_u16_e32 0, v8
	s_cbranch_execz .LBB253_1475
; %bb.1468:                             ;   in Loop: Header=BB253_1059 Depth=1
	v_bfrev_b32_e32 v4, 1
	v_mov_b32_e32 v5, 0
	s_mov_b32 s12, exec_lo
	v_cmpx_ne_u16_e32 0x80, v8
	s_cbranch_execz .LBB253_1474
; %bb.1469:                             ;   in Loop: Header=BB253_1059 Depth=1
	v_mov_b32_e32 v4, 0x7f800001
	v_dual_mov_b32 v5, 0 :: v_dual_and_b32 v18, 0x7f, v45
	s_mov_b32 s13, exec_lo
	s_delay_alu instid0(VALU_DEP_1)
	v_cmpx_ne_u32_e32 0x7f, v18
	s_cbranch_execz .LBB253_1473
; %bb.1470:                             ;   in Loop: Header=BB253_1059 Depth=1
	v_and_b32_e32 v8, 7, v45
	v_lshrrev_b32_e32 v4, 3, v18
	s_mov_b32 s15, exec_lo
	v_cmpx_gt_u32_e32 8, v18
; %bb.1471:                             ;   in Loop: Header=BB253_1059 Depth=1
	s_delay_alu instid0(VALU_DEP_3) | instskip(NEXT) | instid1(VALU_DEP_1)
	v_clz_i32_u32_e32 v4, v8
	v_min_u32_e32 v4, 32, v4
	s_delay_alu instid0(VALU_DEP_1) | instskip(SKIP_1) | instid1(VALU_DEP_2)
	v_subrev_nc_u32_e32 v5, 28, v4
	v_sub_nc_u32_e32 v4, 29, v4
	v_lshlrev_b64 v[18:19], v5, v[8:9]
	s_delay_alu instid0(VALU_DEP_1)
	v_and_b32_e32 v8, 7, v18
; %bb.1472:                             ;   in Loop: Header=BB253_1059 Depth=1
	s_or_b32 exec_lo, exec_lo, s15
	v_lshlrev_b32_e32 v5, 24, v45
	s_delay_alu instid0(VALU_DEP_2) | instskip(SKIP_1) | instid1(VALU_DEP_3)
	v_lshlrev_b32_e32 v8, 20, v8
	v_lshl_add_u32 v4, v4, 23, 0x3c000000
	v_and_b32_e32 v5, 0x80000000, v5
	s_delay_alu instid0(VALU_DEP_1) | instskip(NEXT) | instid1(VALU_DEP_1)
	v_or3_b32 v8, v8, v5, v4
	v_dual_mov_b32 v4, v8 :: v_dual_mov_b32 v5, v9
.LBB253_1473:                           ;   in Loop: Header=BB253_1059 Depth=1
	s_or_b32 exec_lo, exec_lo, s13
.LBB253_1474:                           ;   in Loop: Header=BB253_1059 Depth=1
	s_delay_alu instid0(SALU_CYCLE_1)
	s_or_b32 exec_lo, exec_lo, s12
.LBB253_1475:                           ;   in Loop: Header=BB253_1059 Depth=1
	s_delay_alu instid0(SALU_CYCLE_1) | instskip(SKIP_2) | instid1(VALU_DEP_1)
	s_or_b32 exec_lo, exec_lo, s10
	v_lshrrev_b16 v8, 8, v45
	s_mov_b32 s12, exec_lo
	v_cmpx_ne_u16_e32 0, v8
	s_cbranch_execz .LBB253_1483
; %bb.1476:                             ;   in Loop: Header=BB253_1059 Depth=1
	v_dual_mov_b32 v17, s9 :: v_dual_mov_b32 v16, s8
	s_mov_b32 s13, exec_lo
	v_cmpx_ne_u16_e32 0x80, v8
	s_cbranch_execz .LBB253_1482
; %bb.1477:                             ;   in Loop: Header=BB253_1059 Depth=1
	s_mov_b32 s10, s8
	v_dual_mov_b32 v17, s11 :: v_dual_and_b32 v8, 0xffff, v8
	v_mov_b32_e32 v16, s10
	s_mov_b32 s10, exec_lo
	s_delay_alu instid0(VALU_DEP_2) | instskip(NEXT) | instid1(VALU_DEP_1)
	v_and_b32_e32 v18, 0x7f, v8
	v_cmpx_ne_u32_e32 0x7f, v18
	s_cbranch_execz .LBB253_1481
; %bb.1478:                             ;   in Loop: Header=BB253_1059 Depth=1
	v_and_b32_e32 v8, 7, v8
	v_lshrrev_b32_e32 v16, 3, v18
	s_mov_b32 s15, exec_lo
	v_cmpx_gt_u32_e32 8, v18
; %bb.1479:                             ;   in Loop: Header=BB253_1059 Depth=1
	s_delay_alu instid0(VALU_DEP_3) | instskip(NEXT) | instid1(VALU_DEP_1)
	v_clz_i32_u32_e32 v16, v8
	v_min_u32_e32 v16, 32, v16
	s_delay_alu instid0(VALU_DEP_1) | instskip(SKIP_1) | instid1(VALU_DEP_2)
	v_subrev_nc_u32_e32 v17, 28, v16
	v_sub_nc_u32_e32 v16, 29, v16
	v_lshlrev_b64 v[17:18], v17, v[8:9]
	s_delay_alu instid0(VALU_DEP_1)
	v_and_b32_e32 v8, 7, v17
; %bb.1480:                             ;   in Loop: Header=BB253_1059 Depth=1
	s_or_b32 exec_lo, exec_lo, s15
	v_lshlrev_b32_e32 v17, 16, v45
	s_delay_alu instid0(VALU_DEP_2) | instskip(SKIP_1) | instid1(VALU_DEP_3)
	v_lshlrev_b32_e32 v8, 20, v8
	v_lshl_add_u32 v16, v16, 23, 0x3c000000
	v_and_b32_e32 v17, 0x80000000, v17
	s_delay_alu instid0(VALU_DEP_1)
	v_or3_b32 v17, v8, v17, v16
	v_mov_b32_e32 v16, v9
.LBB253_1481:                           ;   in Loop: Header=BB253_1059 Depth=1
	s_or_b32 exec_lo, exec_lo, s10
.LBB253_1482:                           ;   in Loop: Header=BB253_1059 Depth=1
	s_delay_alu instid0(SALU_CYCLE_1)
	s_or_b32 exec_lo, exec_lo, s13
.LBB253_1483:                           ;   in Loop: Header=BB253_1059 Depth=1
	s_delay_alu instid0(SALU_CYCLE_1) | instskip(SKIP_4) | instid1(VALU_DEP_2)
	s_or_b32 exec_lo, exec_lo, s12
	v_mov_b32_e32 v20, 0
	v_lshrrev_b32_e32 v46, 16, v45
	v_mov_b32_e32 v21, 0
	s_mov_b32 s10, exec_lo
	v_and_b32_e32 v8, 0xff, v46
	s_delay_alu instid0(VALU_DEP_2) | instskip(NEXT) | instid1(VALU_DEP_2)
	v_dual_mov_b32 v18, v20 :: v_dual_mov_b32 v19, v21
	v_cmpx_ne_u16_e32 0, v8
	s_cbranch_execz .LBB253_1491
; %bb.1484:                             ;   in Loop: Header=BB253_1059 Depth=1
	v_bfrev_b32_e32 v18, 1
	v_mov_b32_e32 v19, 0
	s_mov_b32 s12, exec_lo
	v_cmpx_ne_u16_e32 0x80, v8
	s_cbranch_execz .LBB253_1490
; %bb.1485:                             ;   in Loop: Header=BB253_1059 Depth=1
	v_mov_b32_e32 v18, 0x7f800001
	v_bfe_u32 v47, v45, 16, 7
	v_mov_b32_e32 v19, 0
	s_mov_b32 s13, exec_lo
	s_delay_alu instid0(VALU_DEP_2)
	v_cmpx_ne_u32_e32 0x7f, v47
	s_cbranch_execz .LBB253_1489
; %bb.1486:                             ;   in Loop: Header=BB253_1059 Depth=1
	v_and_b32_e32 v8, 7, v46
	v_lshrrev_b32_e32 v18, 3, v47
	s_mov_b32 s15, exec_lo
	v_cmpx_gt_u32_e32 8, v47
; %bb.1487:                             ;   in Loop: Header=BB253_1059 Depth=1
	s_delay_alu instid0(VALU_DEP_3) | instskip(NEXT) | instid1(VALU_DEP_1)
	v_clz_i32_u32_e32 v18, v8
	v_min_u32_e32 v18, 32, v18
	s_delay_alu instid0(VALU_DEP_1) | instskip(SKIP_1) | instid1(VALU_DEP_2)
	v_subrev_nc_u32_e32 v19, 28, v18
	v_sub_nc_u32_e32 v18, 29, v18
	v_lshlrev_b64 v[56:57], v19, v[8:9]
	s_delay_alu instid0(VALU_DEP_1)
	v_and_b32_e32 v8, 7, v56
; %bb.1488:                             ;   in Loop: Header=BB253_1059 Depth=1
	s_or_b32 exec_lo, exec_lo, s15
	v_lshlrev_b32_e32 v19, 24, v46
	s_delay_alu instid0(VALU_DEP_2) | instskip(SKIP_1) | instid1(VALU_DEP_3)
	v_lshlrev_b32_e32 v8, 20, v8
	v_lshl_add_u32 v18, v18, 23, 0x3c000000
	v_and_b32_e32 v19, 0x80000000, v19
	s_delay_alu instid0(VALU_DEP_1) | instskip(NEXT) | instid1(VALU_DEP_1)
	v_or3_b32 v8, v8, v19, v18
	v_dual_mov_b32 v19, v9 :: v_dual_mov_b32 v18, v8
.LBB253_1489:                           ;   in Loop: Header=BB253_1059 Depth=1
	s_or_b32 exec_lo, exec_lo, s13
.LBB253_1490:                           ;   in Loop: Header=BB253_1059 Depth=1
	s_delay_alu instid0(SALU_CYCLE_1)
	s_or_b32 exec_lo, exec_lo, s12
.LBB253_1491:                           ;   in Loop: Header=BB253_1059 Depth=1
	s_delay_alu instid0(SALU_CYCLE_1) | instskip(NEXT) | instid1(SALU_CYCLE_1)
	s_or_b32 exec_lo, exec_lo, s10
	s_mov_b32 s12, exec_lo
	v_cmpx_lt_u32_e32 0xffffff, v45
	s_cbranch_execz .LBB253_1499
; %bb.1492:                             ;   in Loop: Header=BB253_1059 Depth=1
	v_lshrrev_b32_e32 v46, 24, v45
	v_dual_mov_b32 v21, s9 :: v_dual_mov_b32 v20, s8
	s_mov_b32 s13, exec_lo
	s_delay_alu instid0(VALU_DEP_2)
	v_cmpx_ne_u32_e32 0x80, v46
	s_cbranch_execz .LBB253_1498
; %bb.1493:                             ;   in Loop: Header=BB253_1059 Depth=1
	s_mov_b32 s10, s8
	v_bfe_u32 v45, v45, 24, 7
	v_dual_mov_b32 v21, s11 :: v_dual_mov_b32 v20, s10
	s_mov_b32 s10, exec_lo
	s_delay_alu instid0(VALU_DEP_2)
	v_cmpx_ne_u32_e32 0x7f, v45
	s_cbranch_execz .LBB253_1497
; %bb.1494:                             ;   in Loop: Header=BB253_1059 Depth=1
	v_and_b32_e32 v8, 7, v46
	v_lshrrev_b32_e32 v20, 3, v45
	s_mov_b32 s15, exec_lo
	v_cmpx_gt_u32_e32 8, v45
; %bb.1495:                             ;   in Loop: Header=BB253_1059 Depth=1
	s_delay_alu instid0(VALU_DEP_3) | instskip(NEXT) | instid1(VALU_DEP_1)
	v_clz_i32_u32_e32 v20, v8
	v_min_u32_e32 v20, 32, v20
	s_delay_alu instid0(VALU_DEP_1) | instskip(SKIP_1) | instid1(VALU_DEP_2)
	v_subrev_nc_u32_e32 v21, 28, v20
	v_sub_nc_u32_e32 v20, 29, v20
	v_lshlrev_b64 v[56:57], v21, v[8:9]
	s_delay_alu instid0(VALU_DEP_1)
	v_and_b32_e32 v8, 7, v56
; %bb.1496:                             ;   in Loop: Header=BB253_1059 Depth=1
	s_or_b32 exec_lo, exec_lo, s15
	v_lshlrev_b32_e32 v21, 24, v46
	s_delay_alu instid0(VALU_DEP_2) | instskip(SKIP_1) | instid1(VALU_DEP_3)
	v_lshlrev_b32_e32 v8, 20, v8
	v_lshl_add_u32 v20, v20, 23, 0x3c000000
	v_and_b32_e32 v21, 0x80000000, v21
	s_delay_alu instid0(VALU_DEP_1)
	v_or3_b32 v21, v8, v21, v20
	v_mov_b32_e32 v20, v9
.LBB253_1497:                           ;   in Loop: Header=BB253_1059 Depth=1
	s_or_b32 exec_lo, exec_lo, s10
.LBB253_1498:                           ;   in Loop: Header=BB253_1059 Depth=1
	s_delay_alu instid0(SALU_CYCLE_1)
	s_or_b32 exec_lo, exec_lo, s13
.LBB253_1499:                           ;   in Loop: Header=BB253_1059 Depth=1
	s_delay_alu instid0(SALU_CYCLE_1) | instskip(SKIP_4) | instid1(VALU_DEP_3)
	s_or_b32 exec_lo, exec_lo, s12
	v_or_b32_e32 v5, v17, v5
	v_or_b32_e32 v4, v16, v4
	;; [unrolled: 1-line block ×4, first 2 shown]
	v_dual_mul_f32 v56, v96, v5 :: v_dual_mul_f32 v47, v82, v4
	s_delay_alu instid0(VALU_DEP_3) | instskip(NEXT) | instid1(VALU_DEP_3)
	v_mul_f32_e32 v45, v96, v8
	v_mul_f32_e32 v46, v82, v16
	s_and_saveexec_b32 s10, vcc_lo
; %bb.1500:                             ;   in Loop: Header=BB253_1059 Depth=1
	v_cmp_lt_i32_e64 s0, v102, v98
	s_delay_alu instid0(VALU_DEP_1) | instskip(SKIP_1) | instid1(VALU_DEP_1)
	v_cndmask_b32_e64 v47, 0, v47, s0
	v_cmp_lt_i32_e64 s0, v112, v98
	v_cndmask_b32_e64 v56, 0, v56, s0
	v_cmp_lt_i32_e64 s0, v103, v98
	s_delay_alu instid0(VALU_DEP_1) | instskip(SKIP_1) | instid1(VALU_DEP_1)
	v_cndmask_b32_e64 v46, 0, v46, s0
	v_cmp_lt_i32_e64 s0, v86, v98
	v_cndmask_b32_e64 v45, 0, v45, s0
; %bb.1501:                             ;   in Loop: Header=BB253_1059 Depth=1
	s_or_b32 exec_lo, exec_lo, s10
	flat_load_b32 v57, v[14:15] offset:1664
	v_mov_b32_e32 v16, 0
	v_mov_b32_e32 v17, 0
	s_mov_b32 s10, exec_lo
	s_waitcnt vmcnt(0) lgkmcnt(0)
	v_and_b32_e32 v8, 0xff, v57
	s_delay_alu instid0(VALU_DEP_2) | instskip(NEXT) | instid1(VALU_DEP_2)
	v_dual_mov_b32 v4, v16 :: v_dual_mov_b32 v5, v17
	v_cmpx_ne_u16_e32 0, v8
	s_cbranch_execz .LBB253_1509
; %bb.1502:                             ;   in Loop: Header=BB253_1059 Depth=1
	v_bfrev_b32_e32 v4, 1
	v_mov_b32_e32 v5, 0
	s_mov_b32 s12, exec_lo
	v_cmpx_ne_u16_e32 0x80, v8
	s_cbranch_execz .LBB253_1508
; %bb.1503:                             ;   in Loop: Header=BB253_1059 Depth=1
	v_mov_b32_e32 v4, 0x7f800001
	v_dual_mov_b32 v5, 0 :: v_dual_and_b32 v18, 0x7f, v57
	s_mov_b32 s13, exec_lo
	s_delay_alu instid0(VALU_DEP_1)
	v_cmpx_ne_u32_e32 0x7f, v18
	s_cbranch_execz .LBB253_1507
; %bb.1504:                             ;   in Loop: Header=BB253_1059 Depth=1
	v_and_b32_e32 v8, 7, v57
	v_lshrrev_b32_e32 v4, 3, v18
	s_mov_b32 s15, exec_lo
	v_cmpx_gt_u32_e32 8, v18
; %bb.1505:                             ;   in Loop: Header=BB253_1059 Depth=1
	s_delay_alu instid0(VALU_DEP_3) | instskip(NEXT) | instid1(VALU_DEP_1)
	v_clz_i32_u32_e32 v4, v8
	v_min_u32_e32 v4, 32, v4
	s_delay_alu instid0(VALU_DEP_1) | instskip(SKIP_1) | instid1(VALU_DEP_2)
	v_subrev_nc_u32_e32 v5, 28, v4
	v_sub_nc_u32_e32 v4, 29, v4
	v_lshlrev_b64 v[18:19], v5, v[8:9]
	s_delay_alu instid0(VALU_DEP_1)
	v_and_b32_e32 v8, 7, v18
; %bb.1506:                             ;   in Loop: Header=BB253_1059 Depth=1
	s_or_b32 exec_lo, exec_lo, s15
	v_lshlrev_b32_e32 v5, 24, v57
	s_delay_alu instid0(VALU_DEP_2) | instskip(SKIP_1) | instid1(VALU_DEP_3)
	v_lshlrev_b32_e32 v8, 20, v8
	v_lshl_add_u32 v4, v4, 23, 0x3c000000
	v_and_b32_e32 v5, 0x80000000, v5
	s_delay_alu instid0(VALU_DEP_1) | instskip(NEXT) | instid1(VALU_DEP_1)
	v_or3_b32 v8, v8, v5, v4
	v_dual_mov_b32 v4, v8 :: v_dual_mov_b32 v5, v9
.LBB253_1507:                           ;   in Loop: Header=BB253_1059 Depth=1
	s_or_b32 exec_lo, exec_lo, s13
.LBB253_1508:                           ;   in Loop: Header=BB253_1059 Depth=1
	s_delay_alu instid0(SALU_CYCLE_1)
	s_or_b32 exec_lo, exec_lo, s12
.LBB253_1509:                           ;   in Loop: Header=BB253_1059 Depth=1
	s_delay_alu instid0(SALU_CYCLE_1) | instskip(SKIP_2) | instid1(VALU_DEP_1)
	s_or_b32 exec_lo, exec_lo, s10
	v_lshrrev_b16 v8, 8, v57
	s_mov_b32 s12, exec_lo
	v_cmpx_ne_u16_e32 0, v8
	s_cbranch_execz .LBB253_1517
; %bb.1510:                             ;   in Loop: Header=BB253_1059 Depth=1
	v_dual_mov_b32 v17, s9 :: v_dual_mov_b32 v16, s8
	s_mov_b32 s13, exec_lo
	v_cmpx_ne_u16_e32 0x80, v8
	s_cbranch_execz .LBB253_1516
; %bb.1511:                             ;   in Loop: Header=BB253_1059 Depth=1
	s_mov_b32 s10, s8
	v_dual_mov_b32 v17, s11 :: v_dual_and_b32 v8, 0xffff, v8
	v_mov_b32_e32 v16, s10
	s_mov_b32 s10, exec_lo
	s_delay_alu instid0(VALU_DEP_2) | instskip(NEXT) | instid1(VALU_DEP_1)
	v_and_b32_e32 v18, 0x7f, v8
	v_cmpx_ne_u32_e32 0x7f, v18
	s_cbranch_execz .LBB253_1515
; %bb.1512:                             ;   in Loop: Header=BB253_1059 Depth=1
	v_and_b32_e32 v8, 7, v8
	v_lshrrev_b32_e32 v16, 3, v18
	s_mov_b32 s15, exec_lo
	v_cmpx_gt_u32_e32 8, v18
; %bb.1513:                             ;   in Loop: Header=BB253_1059 Depth=1
	s_delay_alu instid0(VALU_DEP_3) | instskip(NEXT) | instid1(VALU_DEP_1)
	v_clz_i32_u32_e32 v16, v8
	v_min_u32_e32 v16, 32, v16
	s_delay_alu instid0(VALU_DEP_1) | instskip(SKIP_1) | instid1(VALU_DEP_2)
	v_subrev_nc_u32_e32 v17, 28, v16
	v_sub_nc_u32_e32 v16, 29, v16
	v_lshlrev_b64 v[17:18], v17, v[8:9]
	s_delay_alu instid0(VALU_DEP_1)
	v_and_b32_e32 v8, 7, v17
; %bb.1514:                             ;   in Loop: Header=BB253_1059 Depth=1
	s_or_b32 exec_lo, exec_lo, s15
	v_lshlrev_b32_e32 v17, 16, v57
	s_delay_alu instid0(VALU_DEP_2) | instskip(SKIP_1) | instid1(VALU_DEP_3)
	v_lshlrev_b32_e32 v8, 20, v8
	v_lshl_add_u32 v16, v16, 23, 0x3c000000
	v_and_b32_e32 v17, 0x80000000, v17
	s_delay_alu instid0(VALU_DEP_1)
	v_or3_b32 v17, v8, v17, v16
	v_mov_b32_e32 v16, v9
.LBB253_1515:                           ;   in Loop: Header=BB253_1059 Depth=1
	s_or_b32 exec_lo, exec_lo, s10
.LBB253_1516:                           ;   in Loop: Header=BB253_1059 Depth=1
	s_delay_alu instid0(SALU_CYCLE_1)
	s_or_b32 exec_lo, exec_lo, s13
.LBB253_1517:                           ;   in Loop: Header=BB253_1059 Depth=1
	s_delay_alu instid0(SALU_CYCLE_1) | instskip(SKIP_4) | instid1(VALU_DEP_2)
	s_or_b32 exec_lo, exec_lo, s12
	v_mov_b32_e32 v20, 0
	v_lshrrev_b32_e32 v58, 16, v57
	v_mov_b32_e32 v21, 0
	s_mov_b32 s10, exec_lo
	v_and_b32_e32 v8, 0xff, v58
	s_delay_alu instid0(VALU_DEP_2) | instskip(NEXT) | instid1(VALU_DEP_2)
	v_dual_mov_b32 v18, v20 :: v_dual_mov_b32 v19, v21
	v_cmpx_ne_u16_e32 0, v8
	s_cbranch_execz .LBB253_1525
; %bb.1518:                             ;   in Loop: Header=BB253_1059 Depth=1
	v_bfrev_b32_e32 v18, 1
	v_mov_b32_e32 v19, 0
	s_mov_b32 s12, exec_lo
	v_cmpx_ne_u16_e32 0x80, v8
	s_cbranch_execz .LBB253_1524
; %bb.1519:                             ;   in Loop: Header=BB253_1059 Depth=1
	v_mov_b32_e32 v18, 0x7f800001
	v_bfe_u32 v59, v57, 16, 7
	v_mov_b32_e32 v19, 0
	s_mov_b32 s13, exec_lo
	s_delay_alu instid0(VALU_DEP_2)
	v_cmpx_ne_u32_e32 0x7f, v59
	s_cbranch_execz .LBB253_1523
; %bb.1520:                             ;   in Loop: Header=BB253_1059 Depth=1
	v_and_b32_e32 v8, 7, v58
	v_lshrrev_b32_e32 v18, 3, v59
	s_mov_b32 s15, exec_lo
	v_cmpx_gt_u32_e32 8, v59
; %bb.1521:                             ;   in Loop: Header=BB253_1059 Depth=1
	s_delay_alu instid0(VALU_DEP_3) | instskip(NEXT) | instid1(VALU_DEP_1)
	v_clz_i32_u32_e32 v18, v8
	v_min_u32_e32 v18, 32, v18
	s_delay_alu instid0(VALU_DEP_1) | instskip(SKIP_1) | instid1(VALU_DEP_2)
	v_subrev_nc_u32_e32 v19, 28, v18
	v_sub_nc_u32_e32 v18, 29, v18
	v_lshlrev_b64 v[59:60], v19, v[8:9]
	s_delay_alu instid0(VALU_DEP_1)
	v_and_b32_e32 v8, 7, v59
; %bb.1522:                             ;   in Loop: Header=BB253_1059 Depth=1
	s_or_b32 exec_lo, exec_lo, s15
	v_lshlrev_b32_e32 v19, 24, v58
	s_delay_alu instid0(VALU_DEP_2) | instskip(SKIP_1) | instid1(VALU_DEP_3)
	v_lshlrev_b32_e32 v8, 20, v8
	v_lshl_add_u32 v18, v18, 23, 0x3c000000
	v_and_b32_e32 v19, 0x80000000, v19
	s_delay_alu instid0(VALU_DEP_1) | instskip(NEXT) | instid1(VALU_DEP_1)
	v_or3_b32 v8, v8, v19, v18
	v_dual_mov_b32 v19, v9 :: v_dual_mov_b32 v18, v8
.LBB253_1523:                           ;   in Loop: Header=BB253_1059 Depth=1
	s_or_b32 exec_lo, exec_lo, s13
.LBB253_1524:                           ;   in Loop: Header=BB253_1059 Depth=1
	s_delay_alu instid0(SALU_CYCLE_1)
	s_or_b32 exec_lo, exec_lo, s12
.LBB253_1525:                           ;   in Loop: Header=BB253_1059 Depth=1
	s_delay_alu instid0(SALU_CYCLE_1) | instskip(NEXT) | instid1(SALU_CYCLE_1)
	s_or_b32 exec_lo, exec_lo, s10
	s_mov_b32 s12, exec_lo
	v_cmpx_lt_u32_e32 0xffffff, v57
	s_cbranch_execz .LBB253_1533
; %bb.1526:                             ;   in Loop: Header=BB253_1059 Depth=1
	v_lshrrev_b32_e32 v58, 24, v57
	v_dual_mov_b32 v21, s9 :: v_dual_mov_b32 v20, s8
	s_mov_b32 s13, exec_lo
	s_delay_alu instid0(VALU_DEP_2)
	v_cmpx_ne_u32_e32 0x80, v58
	s_cbranch_execz .LBB253_1532
; %bb.1527:                             ;   in Loop: Header=BB253_1059 Depth=1
	s_mov_b32 s10, s8
	v_bfe_u32 v57, v57, 24, 7
	v_dual_mov_b32 v21, s11 :: v_dual_mov_b32 v20, s10
	s_mov_b32 s10, exec_lo
	s_delay_alu instid0(VALU_DEP_2)
	v_cmpx_ne_u32_e32 0x7f, v57
	s_cbranch_execz .LBB253_1531
; %bb.1528:                             ;   in Loop: Header=BB253_1059 Depth=1
	v_and_b32_e32 v8, 7, v58
	v_lshrrev_b32_e32 v20, 3, v57
	s_mov_b32 s15, exec_lo
	v_cmpx_gt_u32_e32 8, v57
; %bb.1529:                             ;   in Loop: Header=BB253_1059 Depth=1
	s_delay_alu instid0(VALU_DEP_3) | instskip(NEXT) | instid1(VALU_DEP_1)
	v_clz_i32_u32_e32 v20, v8
	v_min_u32_e32 v20, 32, v20
	s_delay_alu instid0(VALU_DEP_1) | instskip(SKIP_1) | instid1(VALU_DEP_2)
	v_subrev_nc_u32_e32 v21, 28, v20
	v_sub_nc_u32_e32 v20, 29, v20
	v_lshlrev_b64 v[59:60], v21, v[8:9]
	s_delay_alu instid0(VALU_DEP_1)
	v_and_b32_e32 v8, 7, v59
; %bb.1530:                             ;   in Loop: Header=BB253_1059 Depth=1
	s_or_b32 exec_lo, exec_lo, s15
	v_lshlrev_b32_e32 v21, 24, v58
	s_delay_alu instid0(VALU_DEP_2) | instskip(SKIP_1) | instid1(VALU_DEP_3)
	v_lshlrev_b32_e32 v8, 20, v8
	v_lshl_add_u32 v20, v20, 23, 0x3c000000
	v_and_b32_e32 v21, 0x80000000, v21
	s_delay_alu instid0(VALU_DEP_1)
	v_or3_b32 v21, v8, v21, v20
	v_mov_b32_e32 v20, v9
.LBB253_1531:                           ;   in Loop: Header=BB253_1059 Depth=1
	s_or_b32 exec_lo, exec_lo, s10
.LBB253_1532:                           ;   in Loop: Header=BB253_1059 Depth=1
	s_delay_alu instid0(SALU_CYCLE_1)
	s_or_b32 exec_lo, exec_lo, s13
.LBB253_1533:                           ;   in Loop: Header=BB253_1059 Depth=1
	s_delay_alu instid0(SALU_CYCLE_1) | instskip(SKIP_4) | instid1(VALU_DEP_3)
	s_or_b32 exec_lo, exec_lo, s12
	v_or_b32_e32 v5, v17, v5
	v_or_b32_e32 v4, v16, v4
	;; [unrolled: 1-line block ×4, first 2 shown]
	v_dual_mul_f32 v60, v96, v5 :: v_dual_mul_f32 v59, v82, v4
	s_delay_alu instid0(VALU_DEP_3) | instskip(NEXT) | instid1(VALU_DEP_3)
	v_mul_f32_e32 v57, v96, v8
	v_mul_f32_e32 v58, v82, v16
	s_and_saveexec_b32 s10, vcc_lo
; %bb.1534:                             ;   in Loop: Header=BB253_1059 Depth=1
	v_cmp_lt_i32_e64 s0, v102, v98
	s_delay_alu instid0(VALU_DEP_1) | instskip(SKIP_1) | instid1(VALU_DEP_1)
	v_cndmask_b32_e64 v59, 0, v59, s0
	v_cmp_lt_i32_e64 s0, v112, v98
	v_cndmask_b32_e64 v60, 0, v60, s0
	v_cmp_lt_i32_e64 s0, v103, v98
	s_delay_alu instid0(VALU_DEP_1) | instskip(SKIP_1) | instid1(VALU_DEP_1)
	v_cndmask_b32_e64 v58, 0, v58, s0
	v_cmp_lt_i32_e64 s0, v86, v98
	v_cndmask_b32_e64 v57, 0, v57, s0
; %bb.1535:                             ;   in Loop: Header=BB253_1059 Depth=1
	s_or_b32 exec_lo, exec_lo, s10
	flat_load_b32 v61, v[14:15] offset:1792
	v_mov_b32_e32 v16, 0
	v_mov_b32_e32 v17, 0
	s_mov_b32 s10, exec_lo
	s_waitcnt vmcnt(0) lgkmcnt(0)
	v_and_b32_e32 v8, 0xff, v61
	s_delay_alu instid0(VALU_DEP_2) | instskip(NEXT) | instid1(VALU_DEP_2)
	v_dual_mov_b32 v4, v16 :: v_dual_mov_b32 v5, v17
	v_cmpx_ne_u16_e32 0, v8
	s_cbranch_execz .LBB253_1543
; %bb.1536:                             ;   in Loop: Header=BB253_1059 Depth=1
	v_bfrev_b32_e32 v4, 1
	v_mov_b32_e32 v5, 0
	s_mov_b32 s12, exec_lo
	v_cmpx_ne_u16_e32 0x80, v8
	s_cbranch_execz .LBB253_1542
; %bb.1537:                             ;   in Loop: Header=BB253_1059 Depth=1
	v_mov_b32_e32 v4, 0x7f800001
	v_dual_mov_b32 v5, 0 :: v_dual_and_b32 v18, 0x7f, v61
	s_mov_b32 s13, exec_lo
	s_delay_alu instid0(VALU_DEP_1)
	v_cmpx_ne_u32_e32 0x7f, v18
	s_cbranch_execz .LBB253_1541
; %bb.1538:                             ;   in Loop: Header=BB253_1059 Depth=1
	v_and_b32_e32 v8, 7, v61
	v_lshrrev_b32_e32 v4, 3, v18
	s_mov_b32 s15, exec_lo
	v_cmpx_gt_u32_e32 8, v18
; %bb.1539:                             ;   in Loop: Header=BB253_1059 Depth=1
	s_delay_alu instid0(VALU_DEP_3) | instskip(NEXT) | instid1(VALU_DEP_1)
	v_clz_i32_u32_e32 v4, v8
	v_min_u32_e32 v4, 32, v4
	s_delay_alu instid0(VALU_DEP_1) | instskip(SKIP_1) | instid1(VALU_DEP_2)
	v_subrev_nc_u32_e32 v5, 28, v4
	v_sub_nc_u32_e32 v4, 29, v4
	v_lshlrev_b64 v[18:19], v5, v[8:9]
	s_delay_alu instid0(VALU_DEP_1)
	v_and_b32_e32 v8, 7, v18
; %bb.1540:                             ;   in Loop: Header=BB253_1059 Depth=1
	s_or_b32 exec_lo, exec_lo, s15
	v_lshlrev_b32_e32 v5, 24, v61
	s_delay_alu instid0(VALU_DEP_2) | instskip(SKIP_1) | instid1(VALU_DEP_3)
	v_lshlrev_b32_e32 v8, 20, v8
	v_lshl_add_u32 v4, v4, 23, 0x3c000000
	v_and_b32_e32 v5, 0x80000000, v5
	s_delay_alu instid0(VALU_DEP_1) | instskip(NEXT) | instid1(VALU_DEP_1)
	v_or3_b32 v8, v8, v5, v4
	v_dual_mov_b32 v4, v8 :: v_dual_mov_b32 v5, v9
.LBB253_1541:                           ;   in Loop: Header=BB253_1059 Depth=1
	s_or_b32 exec_lo, exec_lo, s13
.LBB253_1542:                           ;   in Loop: Header=BB253_1059 Depth=1
	s_delay_alu instid0(SALU_CYCLE_1)
	s_or_b32 exec_lo, exec_lo, s12
.LBB253_1543:                           ;   in Loop: Header=BB253_1059 Depth=1
	s_delay_alu instid0(SALU_CYCLE_1) | instskip(SKIP_2) | instid1(VALU_DEP_1)
	s_or_b32 exec_lo, exec_lo, s10
	v_lshrrev_b16 v8, 8, v61
	s_mov_b32 s12, exec_lo
	v_cmpx_ne_u16_e32 0, v8
	s_cbranch_execz .LBB253_1551
; %bb.1544:                             ;   in Loop: Header=BB253_1059 Depth=1
	v_dual_mov_b32 v17, s9 :: v_dual_mov_b32 v16, s8
	s_mov_b32 s13, exec_lo
	v_cmpx_ne_u16_e32 0x80, v8
	s_cbranch_execz .LBB253_1550
; %bb.1545:                             ;   in Loop: Header=BB253_1059 Depth=1
	s_mov_b32 s10, s8
	v_dual_mov_b32 v17, s11 :: v_dual_and_b32 v8, 0xffff, v8
	v_mov_b32_e32 v16, s10
	s_mov_b32 s10, exec_lo
	s_delay_alu instid0(VALU_DEP_2) | instskip(NEXT) | instid1(VALU_DEP_1)
	v_and_b32_e32 v18, 0x7f, v8
	v_cmpx_ne_u32_e32 0x7f, v18
	s_cbranch_execz .LBB253_1549
; %bb.1546:                             ;   in Loop: Header=BB253_1059 Depth=1
	v_and_b32_e32 v8, 7, v8
	v_lshrrev_b32_e32 v16, 3, v18
	s_mov_b32 s15, exec_lo
	v_cmpx_gt_u32_e32 8, v18
; %bb.1547:                             ;   in Loop: Header=BB253_1059 Depth=1
	s_delay_alu instid0(VALU_DEP_3) | instskip(NEXT) | instid1(VALU_DEP_1)
	v_clz_i32_u32_e32 v16, v8
	v_min_u32_e32 v16, 32, v16
	s_delay_alu instid0(VALU_DEP_1) | instskip(SKIP_1) | instid1(VALU_DEP_2)
	v_subrev_nc_u32_e32 v17, 28, v16
	v_sub_nc_u32_e32 v16, 29, v16
	v_lshlrev_b64 v[17:18], v17, v[8:9]
	s_delay_alu instid0(VALU_DEP_1)
	v_and_b32_e32 v8, 7, v17
; %bb.1548:                             ;   in Loop: Header=BB253_1059 Depth=1
	s_or_b32 exec_lo, exec_lo, s15
	v_lshlrev_b32_e32 v17, 16, v61
	s_delay_alu instid0(VALU_DEP_2) | instskip(SKIP_1) | instid1(VALU_DEP_3)
	v_lshlrev_b32_e32 v8, 20, v8
	v_lshl_add_u32 v16, v16, 23, 0x3c000000
	v_and_b32_e32 v17, 0x80000000, v17
	s_delay_alu instid0(VALU_DEP_1)
	v_or3_b32 v17, v8, v17, v16
	v_mov_b32_e32 v16, v9
.LBB253_1549:                           ;   in Loop: Header=BB253_1059 Depth=1
	s_or_b32 exec_lo, exec_lo, s10
.LBB253_1550:                           ;   in Loop: Header=BB253_1059 Depth=1
	s_delay_alu instid0(SALU_CYCLE_1)
	s_or_b32 exec_lo, exec_lo, s13
.LBB253_1551:                           ;   in Loop: Header=BB253_1059 Depth=1
	s_delay_alu instid0(SALU_CYCLE_1) | instskip(SKIP_4) | instid1(VALU_DEP_2)
	s_or_b32 exec_lo, exec_lo, s12
	v_mov_b32_e32 v20, 0
	v_lshrrev_b32_e32 v62, 16, v61
	v_mov_b32_e32 v21, 0
	s_mov_b32 s10, exec_lo
	v_and_b32_e32 v8, 0xff, v62
	s_delay_alu instid0(VALU_DEP_2) | instskip(NEXT) | instid1(VALU_DEP_2)
	v_dual_mov_b32 v18, v20 :: v_dual_mov_b32 v19, v21
	v_cmpx_ne_u16_e32 0, v8
	s_cbranch_execz .LBB253_1559
; %bb.1552:                             ;   in Loop: Header=BB253_1059 Depth=1
	v_bfrev_b32_e32 v18, 1
	v_mov_b32_e32 v19, 0
	s_mov_b32 s12, exec_lo
	v_cmpx_ne_u16_e32 0x80, v8
	s_cbranch_execz .LBB253_1558
; %bb.1553:                             ;   in Loop: Header=BB253_1059 Depth=1
	v_mov_b32_e32 v18, 0x7f800001
	v_bfe_u32 v63, v61, 16, 7
	v_mov_b32_e32 v19, 0
	s_mov_b32 s13, exec_lo
	s_delay_alu instid0(VALU_DEP_2)
	v_cmpx_ne_u32_e32 0x7f, v63
	s_cbranch_execz .LBB253_1557
; %bb.1554:                             ;   in Loop: Header=BB253_1059 Depth=1
	v_and_b32_e32 v8, 7, v62
	v_lshrrev_b32_e32 v18, 3, v63
	s_mov_b32 s15, exec_lo
	v_cmpx_gt_u32_e32 8, v63
; %bb.1555:                             ;   in Loop: Header=BB253_1059 Depth=1
	s_delay_alu instid0(VALU_DEP_3) | instskip(NEXT) | instid1(VALU_DEP_1)
	v_clz_i32_u32_e32 v18, v8
	v_min_u32_e32 v18, 32, v18
	s_delay_alu instid0(VALU_DEP_1) | instskip(SKIP_1) | instid1(VALU_DEP_2)
	v_subrev_nc_u32_e32 v19, 28, v18
	v_sub_nc_u32_e32 v18, 29, v18
	v_lshlrev_b64 v[72:73], v19, v[8:9]
	s_delay_alu instid0(VALU_DEP_1)
	v_and_b32_e32 v8, 7, v72
; %bb.1556:                             ;   in Loop: Header=BB253_1059 Depth=1
	s_or_b32 exec_lo, exec_lo, s15
	v_lshlrev_b32_e32 v19, 24, v62
	s_delay_alu instid0(VALU_DEP_2) | instskip(SKIP_1) | instid1(VALU_DEP_3)
	v_lshlrev_b32_e32 v8, 20, v8
	v_lshl_add_u32 v18, v18, 23, 0x3c000000
	v_and_b32_e32 v19, 0x80000000, v19
	s_delay_alu instid0(VALU_DEP_1) | instskip(NEXT) | instid1(VALU_DEP_1)
	v_or3_b32 v8, v8, v19, v18
	v_dual_mov_b32 v19, v9 :: v_dual_mov_b32 v18, v8
.LBB253_1557:                           ;   in Loop: Header=BB253_1059 Depth=1
	s_or_b32 exec_lo, exec_lo, s13
.LBB253_1558:                           ;   in Loop: Header=BB253_1059 Depth=1
	s_delay_alu instid0(SALU_CYCLE_1)
	s_or_b32 exec_lo, exec_lo, s12
.LBB253_1559:                           ;   in Loop: Header=BB253_1059 Depth=1
	s_delay_alu instid0(SALU_CYCLE_1) | instskip(NEXT) | instid1(SALU_CYCLE_1)
	s_or_b32 exec_lo, exec_lo, s10
	s_mov_b32 s12, exec_lo
	v_cmpx_lt_u32_e32 0xffffff, v61
	s_cbranch_execz .LBB253_1567
; %bb.1560:                             ;   in Loop: Header=BB253_1059 Depth=1
	v_lshrrev_b32_e32 v62, 24, v61
	v_dual_mov_b32 v21, s9 :: v_dual_mov_b32 v20, s8
	s_mov_b32 s13, exec_lo
	s_delay_alu instid0(VALU_DEP_2)
	v_cmpx_ne_u32_e32 0x80, v62
	s_cbranch_execz .LBB253_1566
; %bb.1561:                             ;   in Loop: Header=BB253_1059 Depth=1
	s_mov_b32 s10, s8
	v_bfe_u32 v61, v61, 24, 7
	v_dual_mov_b32 v21, s11 :: v_dual_mov_b32 v20, s10
	s_mov_b32 s10, exec_lo
	s_delay_alu instid0(VALU_DEP_2)
	v_cmpx_ne_u32_e32 0x7f, v61
	s_cbranch_execz .LBB253_1565
; %bb.1562:                             ;   in Loop: Header=BB253_1059 Depth=1
	v_and_b32_e32 v8, 7, v62
	v_lshrrev_b32_e32 v20, 3, v61
	s_mov_b32 s15, exec_lo
	v_cmpx_gt_u32_e32 8, v61
; %bb.1563:                             ;   in Loop: Header=BB253_1059 Depth=1
	s_delay_alu instid0(VALU_DEP_3) | instskip(NEXT) | instid1(VALU_DEP_1)
	v_clz_i32_u32_e32 v20, v8
	v_min_u32_e32 v20, 32, v20
	s_delay_alu instid0(VALU_DEP_1) | instskip(SKIP_1) | instid1(VALU_DEP_2)
	v_subrev_nc_u32_e32 v21, 28, v20
	v_sub_nc_u32_e32 v20, 29, v20
	v_lshlrev_b64 v[72:73], v21, v[8:9]
	s_delay_alu instid0(VALU_DEP_1)
	v_and_b32_e32 v8, 7, v72
; %bb.1564:                             ;   in Loop: Header=BB253_1059 Depth=1
	s_or_b32 exec_lo, exec_lo, s15
	v_lshlrev_b32_e32 v21, 24, v62
	s_delay_alu instid0(VALU_DEP_2) | instskip(SKIP_1) | instid1(VALU_DEP_3)
	v_lshlrev_b32_e32 v8, 20, v8
	v_lshl_add_u32 v20, v20, 23, 0x3c000000
	v_and_b32_e32 v21, 0x80000000, v21
	s_delay_alu instid0(VALU_DEP_1)
	v_or3_b32 v21, v8, v21, v20
	v_mov_b32_e32 v20, v9
.LBB253_1565:                           ;   in Loop: Header=BB253_1059 Depth=1
	s_or_b32 exec_lo, exec_lo, s10
.LBB253_1566:                           ;   in Loop: Header=BB253_1059 Depth=1
	s_delay_alu instid0(SALU_CYCLE_1)
	s_or_b32 exec_lo, exec_lo, s13
.LBB253_1567:                           ;   in Loop: Header=BB253_1059 Depth=1
	s_delay_alu instid0(SALU_CYCLE_1) | instskip(SKIP_4) | instid1(VALU_DEP_3)
	s_or_b32 exec_lo, exec_lo, s12
	v_or_b32_e32 v5, v17, v5
	v_or_b32_e32 v4, v16, v4
	;; [unrolled: 1-line block ×4, first 2 shown]
	v_dual_mul_f32 v72, v96, v5 :: v_dual_mul_f32 v63, v82, v4
	s_delay_alu instid0(VALU_DEP_3) | instskip(NEXT) | instid1(VALU_DEP_3)
	v_mul_f32_e32 v61, v96, v8
	v_mul_f32_e32 v62, v82, v16
	s_and_saveexec_b32 s10, vcc_lo
; %bb.1568:                             ;   in Loop: Header=BB253_1059 Depth=1
	v_cmp_lt_i32_e64 s0, v102, v98
	s_delay_alu instid0(VALU_DEP_1) | instskip(SKIP_1) | instid1(VALU_DEP_1)
	v_cndmask_b32_e64 v63, 0, v63, s0
	v_cmp_lt_i32_e64 s0, v112, v98
	v_cndmask_b32_e64 v72, 0, v72, s0
	v_cmp_lt_i32_e64 s0, v103, v98
	s_delay_alu instid0(VALU_DEP_1) | instskip(SKIP_1) | instid1(VALU_DEP_1)
	v_cndmask_b32_e64 v62, 0, v62, s0
	v_cmp_lt_i32_e64 s0, v86, v98
	v_cndmask_b32_e64 v61, 0, v61, s0
; %bb.1569:                             ;   in Loop: Header=BB253_1059 Depth=1
	s_or_b32 exec_lo, exec_lo, s10
	flat_load_b32 v73, v[14:15] offset:1920
	v_mov_b32_e32 v16, 0
	v_mov_b32_e32 v17, 0
	s_mov_b32 s10, exec_lo
	s_waitcnt vmcnt(0) lgkmcnt(0)
	v_and_b32_e32 v8, 0xff, v73
	s_delay_alu instid0(VALU_DEP_2) | instskip(NEXT) | instid1(VALU_DEP_2)
	v_dual_mov_b32 v4, v16 :: v_dual_mov_b32 v5, v17
	v_cmpx_ne_u16_e32 0, v8
	s_cbranch_execz .LBB253_1577
; %bb.1570:                             ;   in Loop: Header=BB253_1059 Depth=1
	v_bfrev_b32_e32 v4, 1
	v_mov_b32_e32 v5, 0
	s_mov_b32 s12, exec_lo
	v_cmpx_ne_u16_e32 0x80, v8
	s_cbranch_execz .LBB253_1576
; %bb.1571:                             ;   in Loop: Header=BB253_1059 Depth=1
	v_mov_b32_e32 v4, 0x7f800001
	v_dual_mov_b32 v5, 0 :: v_dual_and_b32 v18, 0x7f, v73
	s_mov_b32 s13, exec_lo
	s_delay_alu instid0(VALU_DEP_1)
	v_cmpx_ne_u32_e32 0x7f, v18
	s_cbranch_execz .LBB253_1575
; %bb.1572:                             ;   in Loop: Header=BB253_1059 Depth=1
	v_and_b32_e32 v8, 7, v73
	v_lshrrev_b32_e32 v4, 3, v18
	s_mov_b32 s15, exec_lo
	v_cmpx_gt_u32_e32 8, v18
; %bb.1573:                             ;   in Loop: Header=BB253_1059 Depth=1
	s_delay_alu instid0(VALU_DEP_3) | instskip(NEXT) | instid1(VALU_DEP_1)
	v_clz_i32_u32_e32 v4, v8
	v_min_u32_e32 v4, 32, v4
	s_delay_alu instid0(VALU_DEP_1) | instskip(SKIP_1) | instid1(VALU_DEP_2)
	v_subrev_nc_u32_e32 v5, 28, v4
	v_sub_nc_u32_e32 v4, 29, v4
	v_lshlrev_b64 v[18:19], v5, v[8:9]
	s_delay_alu instid0(VALU_DEP_1)
	v_and_b32_e32 v8, 7, v18
; %bb.1574:                             ;   in Loop: Header=BB253_1059 Depth=1
	s_or_b32 exec_lo, exec_lo, s15
	v_lshlrev_b32_e32 v5, 24, v73
	s_delay_alu instid0(VALU_DEP_2) | instskip(SKIP_1) | instid1(VALU_DEP_3)
	v_lshlrev_b32_e32 v8, 20, v8
	v_lshl_add_u32 v4, v4, 23, 0x3c000000
	v_and_b32_e32 v5, 0x80000000, v5
	s_delay_alu instid0(VALU_DEP_1) | instskip(NEXT) | instid1(VALU_DEP_1)
	v_or3_b32 v8, v8, v5, v4
	v_dual_mov_b32 v4, v8 :: v_dual_mov_b32 v5, v9
.LBB253_1575:                           ;   in Loop: Header=BB253_1059 Depth=1
	s_or_b32 exec_lo, exec_lo, s13
.LBB253_1576:                           ;   in Loop: Header=BB253_1059 Depth=1
	s_delay_alu instid0(SALU_CYCLE_1)
	s_or_b32 exec_lo, exec_lo, s12
.LBB253_1577:                           ;   in Loop: Header=BB253_1059 Depth=1
	s_delay_alu instid0(SALU_CYCLE_1) | instskip(SKIP_2) | instid1(VALU_DEP_1)
	s_or_b32 exec_lo, exec_lo, s10
	v_lshrrev_b16 v8, 8, v73
	s_mov_b32 s12, exec_lo
	v_cmpx_ne_u16_e32 0, v8
	s_cbranch_execz .LBB253_1585
; %bb.1578:                             ;   in Loop: Header=BB253_1059 Depth=1
	v_dual_mov_b32 v17, s9 :: v_dual_mov_b32 v16, s8
	s_mov_b32 s13, exec_lo
	v_cmpx_ne_u16_e32 0x80, v8
	s_cbranch_execz .LBB253_1584
; %bb.1579:                             ;   in Loop: Header=BB253_1059 Depth=1
	s_mov_b32 s10, s8
	v_dual_mov_b32 v17, s11 :: v_dual_and_b32 v8, 0xffff, v8
	v_mov_b32_e32 v16, s10
	s_mov_b32 s10, exec_lo
	s_delay_alu instid0(VALU_DEP_2) | instskip(NEXT) | instid1(VALU_DEP_1)
	v_and_b32_e32 v18, 0x7f, v8
	v_cmpx_ne_u32_e32 0x7f, v18
	s_cbranch_execz .LBB253_1583
; %bb.1580:                             ;   in Loop: Header=BB253_1059 Depth=1
	v_and_b32_e32 v8, 7, v8
	v_lshrrev_b32_e32 v16, 3, v18
	s_mov_b32 s15, exec_lo
	v_cmpx_gt_u32_e32 8, v18
; %bb.1581:                             ;   in Loop: Header=BB253_1059 Depth=1
	s_delay_alu instid0(VALU_DEP_3) | instskip(NEXT) | instid1(VALU_DEP_1)
	v_clz_i32_u32_e32 v16, v8
	v_min_u32_e32 v16, 32, v16
	s_delay_alu instid0(VALU_DEP_1) | instskip(SKIP_1) | instid1(VALU_DEP_2)
	v_subrev_nc_u32_e32 v17, 28, v16
	v_sub_nc_u32_e32 v16, 29, v16
	v_lshlrev_b64 v[17:18], v17, v[8:9]
	s_delay_alu instid0(VALU_DEP_1)
	v_and_b32_e32 v8, 7, v17
; %bb.1582:                             ;   in Loop: Header=BB253_1059 Depth=1
	s_or_b32 exec_lo, exec_lo, s15
	v_lshlrev_b32_e32 v17, 16, v73
	s_delay_alu instid0(VALU_DEP_2) | instskip(SKIP_1) | instid1(VALU_DEP_3)
	v_lshlrev_b32_e32 v8, 20, v8
	v_lshl_add_u32 v16, v16, 23, 0x3c000000
	v_and_b32_e32 v17, 0x80000000, v17
	s_delay_alu instid0(VALU_DEP_1)
	v_or3_b32 v17, v8, v17, v16
	v_mov_b32_e32 v16, v9
.LBB253_1583:                           ;   in Loop: Header=BB253_1059 Depth=1
	s_or_b32 exec_lo, exec_lo, s10
.LBB253_1584:                           ;   in Loop: Header=BB253_1059 Depth=1
	s_delay_alu instid0(SALU_CYCLE_1)
	s_or_b32 exec_lo, exec_lo, s13
.LBB253_1585:                           ;   in Loop: Header=BB253_1059 Depth=1
	s_delay_alu instid0(SALU_CYCLE_1) | instskip(SKIP_4) | instid1(VALU_DEP_2)
	s_or_b32 exec_lo, exec_lo, s12
	v_mov_b32_e32 v20, 0
	v_lshrrev_b32_e32 v74, 16, v73
	v_mov_b32_e32 v21, 0
	s_mov_b32 s10, exec_lo
	v_and_b32_e32 v8, 0xff, v74
	s_delay_alu instid0(VALU_DEP_2) | instskip(NEXT) | instid1(VALU_DEP_2)
	v_dual_mov_b32 v18, v20 :: v_dual_mov_b32 v19, v21
	v_cmpx_ne_u16_e32 0, v8
	s_cbranch_execz .LBB253_1593
; %bb.1586:                             ;   in Loop: Header=BB253_1059 Depth=1
	v_bfrev_b32_e32 v18, 1
	v_mov_b32_e32 v19, 0
	s_mov_b32 s12, exec_lo
	v_cmpx_ne_u16_e32 0x80, v8
	s_cbranch_execz .LBB253_1592
; %bb.1587:                             ;   in Loop: Header=BB253_1059 Depth=1
	v_mov_b32_e32 v18, 0x7f800001
	v_bfe_u32 v75, v73, 16, 7
	v_mov_b32_e32 v19, 0
	s_mov_b32 s13, exec_lo
	s_delay_alu instid0(VALU_DEP_2)
	v_cmpx_ne_u32_e32 0x7f, v75
	s_cbranch_execz .LBB253_1591
; %bb.1588:                             ;   in Loop: Header=BB253_1059 Depth=1
	v_and_b32_e32 v8, 7, v74
	v_lshrrev_b32_e32 v18, 3, v75
	s_mov_b32 s15, exec_lo
	v_cmpx_gt_u32_e32 8, v75
; %bb.1589:                             ;   in Loop: Header=BB253_1059 Depth=1
	s_delay_alu instid0(VALU_DEP_3) | instskip(NEXT) | instid1(VALU_DEP_1)
	v_clz_i32_u32_e32 v18, v8
	v_min_u32_e32 v18, 32, v18
	s_delay_alu instid0(VALU_DEP_1) | instskip(SKIP_1) | instid1(VALU_DEP_2)
	v_subrev_nc_u32_e32 v19, 28, v18
	v_sub_nc_u32_e32 v18, 29, v18
	v_lshlrev_b64 v[75:76], v19, v[8:9]
	s_delay_alu instid0(VALU_DEP_1)
	v_and_b32_e32 v8, 7, v75
; %bb.1590:                             ;   in Loop: Header=BB253_1059 Depth=1
	s_or_b32 exec_lo, exec_lo, s15
	v_lshlrev_b32_e32 v19, 24, v74
	s_delay_alu instid0(VALU_DEP_2) | instskip(SKIP_1) | instid1(VALU_DEP_3)
	v_lshlrev_b32_e32 v8, 20, v8
	v_lshl_add_u32 v18, v18, 23, 0x3c000000
	v_and_b32_e32 v19, 0x80000000, v19
	s_delay_alu instid0(VALU_DEP_1) | instskip(NEXT) | instid1(VALU_DEP_1)
	v_or3_b32 v8, v8, v19, v18
	v_dual_mov_b32 v19, v9 :: v_dual_mov_b32 v18, v8
.LBB253_1591:                           ;   in Loop: Header=BB253_1059 Depth=1
	s_or_b32 exec_lo, exec_lo, s13
.LBB253_1592:                           ;   in Loop: Header=BB253_1059 Depth=1
	s_delay_alu instid0(SALU_CYCLE_1)
	s_or_b32 exec_lo, exec_lo, s12
.LBB253_1593:                           ;   in Loop: Header=BB253_1059 Depth=1
	s_delay_alu instid0(SALU_CYCLE_1) | instskip(NEXT) | instid1(SALU_CYCLE_1)
	s_or_b32 exec_lo, exec_lo, s10
	s_mov_b32 s12, exec_lo
	v_cmpx_lt_u32_e32 0xffffff, v73
	s_cbranch_execz .LBB253_1601
; %bb.1594:                             ;   in Loop: Header=BB253_1059 Depth=1
	v_lshrrev_b32_e32 v74, 24, v73
	v_dual_mov_b32 v21, s9 :: v_dual_mov_b32 v20, s8
	s_mov_b32 s13, exec_lo
	s_delay_alu instid0(VALU_DEP_2)
	v_cmpx_ne_u32_e32 0x80, v74
	s_cbranch_execz .LBB253_1600
; %bb.1595:                             ;   in Loop: Header=BB253_1059 Depth=1
	s_mov_b32 s10, s8
	v_bfe_u32 v73, v73, 24, 7
	v_dual_mov_b32 v21, s11 :: v_dual_mov_b32 v20, s10
	s_mov_b32 s10, exec_lo
	s_delay_alu instid0(VALU_DEP_2)
	v_cmpx_ne_u32_e32 0x7f, v73
	s_cbranch_execz .LBB253_1599
; %bb.1596:                             ;   in Loop: Header=BB253_1059 Depth=1
	v_and_b32_e32 v8, 7, v74
	v_lshrrev_b32_e32 v20, 3, v73
	s_mov_b32 s15, exec_lo
	v_cmpx_gt_u32_e32 8, v73
; %bb.1597:                             ;   in Loop: Header=BB253_1059 Depth=1
	s_delay_alu instid0(VALU_DEP_3) | instskip(NEXT) | instid1(VALU_DEP_1)
	v_clz_i32_u32_e32 v20, v8
	v_min_u32_e32 v20, 32, v20
	s_delay_alu instid0(VALU_DEP_1) | instskip(SKIP_1) | instid1(VALU_DEP_2)
	v_subrev_nc_u32_e32 v21, 28, v20
	v_sub_nc_u32_e32 v20, 29, v20
	v_lshlrev_b64 v[75:76], v21, v[8:9]
	s_delay_alu instid0(VALU_DEP_1)
	v_and_b32_e32 v8, 7, v75
; %bb.1598:                             ;   in Loop: Header=BB253_1059 Depth=1
	s_or_b32 exec_lo, exec_lo, s15
	v_lshlrev_b32_e32 v21, 24, v74
	s_delay_alu instid0(VALU_DEP_2) | instskip(SKIP_1) | instid1(VALU_DEP_3)
	v_lshlrev_b32_e32 v8, 20, v8
	v_lshl_add_u32 v20, v20, 23, 0x3c000000
	v_and_b32_e32 v21, 0x80000000, v21
	s_delay_alu instid0(VALU_DEP_1)
	v_or3_b32 v21, v8, v21, v20
	v_mov_b32_e32 v20, v9
.LBB253_1599:                           ;   in Loop: Header=BB253_1059 Depth=1
	s_or_b32 exec_lo, exec_lo, s10
.LBB253_1600:                           ;   in Loop: Header=BB253_1059 Depth=1
	s_delay_alu instid0(SALU_CYCLE_1)
	s_or_b32 exec_lo, exec_lo, s13
.LBB253_1601:                           ;   in Loop: Header=BB253_1059 Depth=1
	s_delay_alu instid0(SALU_CYCLE_1) | instskip(SKIP_4) | instid1(VALU_DEP_3)
	s_or_b32 exec_lo, exec_lo, s12
	v_or_b32_e32 v5, v17, v5
	v_or_b32_e32 v4, v16, v4
	;; [unrolled: 1-line block ×4, first 2 shown]
	v_dual_mul_f32 v76, v96, v5 :: v_dual_mul_f32 v75, v82, v4
	s_delay_alu instid0(VALU_DEP_3) | instskip(NEXT) | instid1(VALU_DEP_3)
	v_mul_f32_e32 v73, v96, v8
	v_mul_f32_e32 v74, v82, v16
	s_and_saveexec_b32 s10, vcc_lo
; %bb.1602:                             ;   in Loop: Header=BB253_1059 Depth=1
	v_cmp_lt_i32_e64 s0, v102, v98
	s_delay_alu instid0(VALU_DEP_1) | instskip(SKIP_1) | instid1(VALU_DEP_1)
	v_cndmask_b32_e64 v75, 0, v75, s0
	v_cmp_lt_i32_e64 s0, v112, v98
	v_cndmask_b32_e64 v76, 0, v76, s0
	v_cmp_lt_i32_e64 s0, v103, v98
	s_delay_alu instid0(VALU_DEP_1) | instskip(SKIP_1) | instid1(VALU_DEP_1)
	v_cndmask_b32_e64 v74, 0, v74, s0
	v_cmp_lt_i32_e64 s0, v86, v98
	v_cndmask_b32_e64 v73, 0, v73, s0
; %bb.1603:                             ;   in Loop: Header=BB253_1059 Depth=1
	s_or_b32 exec_lo, exec_lo, s10
	flat_load_b32 v77, v[14:15] offset:2048
	v_mov_b32_e32 v16, 0
	v_mov_b32_e32 v17, 0
	s_mov_b32 s10, exec_lo
	s_waitcnt vmcnt(0) lgkmcnt(0)
	v_and_b32_e32 v8, 0xff, v77
	s_delay_alu instid0(VALU_DEP_2) | instskip(NEXT) | instid1(VALU_DEP_2)
	v_dual_mov_b32 v4, v16 :: v_dual_mov_b32 v5, v17
	v_cmpx_ne_u16_e32 0, v8
	s_cbranch_execz .LBB253_1611
; %bb.1604:                             ;   in Loop: Header=BB253_1059 Depth=1
	v_bfrev_b32_e32 v4, 1
	v_mov_b32_e32 v5, 0
	s_mov_b32 s12, exec_lo
	v_cmpx_ne_u16_e32 0x80, v8
	s_cbranch_execz .LBB253_1610
; %bb.1605:                             ;   in Loop: Header=BB253_1059 Depth=1
	v_mov_b32_e32 v4, 0x7f800001
	v_dual_mov_b32 v5, 0 :: v_dual_and_b32 v18, 0x7f, v77
	s_mov_b32 s13, exec_lo
	s_delay_alu instid0(VALU_DEP_1)
	v_cmpx_ne_u32_e32 0x7f, v18
	s_cbranch_execz .LBB253_1609
; %bb.1606:                             ;   in Loop: Header=BB253_1059 Depth=1
	v_and_b32_e32 v8, 7, v77
	v_lshrrev_b32_e32 v4, 3, v18
	s_mov_b32 s15, exec_lo
	v_cmpx_gt_u32_e32 8, v18
; %bb.1607:                             ;   in Loop: Header=BB253_1059 Depth=1
	s_delay_alu instid0(VALU_DEP_3) | instskip(NEXT) | instid1(VALU_DEP_1)
	v_clz_i32_u32_e32 v4, v8
	v_min_u32_e32 v4, 32, v4
	s_delay_alu instid0(VALU_DEP_1) | instskip(SKIP_1) | instid1(VALU_DEP_2)
	v_subrev_nc_u32_e32 v5, 28, v4
	v_sub_nc_u32_e32 v4, 29, v4
	v_lshlrev_b64 v[18:19], v5, v[8:9]
	s_delay_alu instid0(VALU_DEP_1)
	v_and_b32_e32 v8, 7, v18
; %bb.1608:                             ;   in Loop: Header=BB253_1059 Depth=1
	s_or_b32 exec_lo, exec_lo, s15
	v_lshlrev_b32_e32 v5, 24, v77
	s_delay_alu instid0(VALU_DEP_2) | instskip(SKIP_1) | instid1(VALU_DEP_3)
	v_lshlrev_b32_e32 v8, 20, v8
	v_lshl_add_u32 v4, v4, 23, 0x3c000000
	v_and_b32_e32 v5, 0x80000000, v5
	s_delay_alu instid0(VALU_DEP_1) | instskip(NEXT) | instid1(VALU_DEP_1)
	v_or3_b32 v8, v8, v5, v4
	v_dual_mov_b32 v4, v8 :: v_dual_mov_b32 v5, v9
.LBB253_1609:                           ;   in Loop: Header=BB253_1059 Depth=1
	s_or_b32 exec_lo, exec_lo, s13
.LBB253_1610:                           ;   in Loop: Header=BB253_1059 Depth=1
	s_delay_alu instid0(SALU_CYCLE_1)
	s_or_b32 exec_lo, exec_lo, s12
.LBB253_1611:                           ;   in Loop: Header=BB253_1059 Depth=1
	s_delay_alu instid0(SALU_CYCLE_1) | instskip(SKIP_2) | instid1(VALU_DEP_1)
	s_or_b32 exec_lo, exec_lo, s10
	v_lshrrev_b16 v8, 8, v77
	s_mov_b32 s12, exec_lo
	v_cmpx_ne_u16_e32 0, v8
	s_cbranch_execz .LBB253_1619
; %bb.1612:                             ;   in Loop: Header=BB253_1059 Depth=1
	v_dual_mov_b32 v17, s9 :: v_dual_mov_b32 v16, s8
	s_mov_b32 s13, exec_lo
	v_cmpx_ne_u16_e32 0x80, v8
	s_cbranch_execz .LBB253_1618
; %bb.1613:                             ;   in Loop: Header=BB253_1059 Depth=1
	s_mov_b32 s10, s8
	v_dual_mov_b32 v17, s11 :: v_dual_and_b32 v8, 0xffff, v8
	v_mov_b32_e32 v16, s10
	s_mov_b32 s10, exec_lo
	s_delay_alu instid0(VALU_DEP_2) | instskip(NEXT) | instid1(VALU_DEP_1)
	v_and_b32_e32 v18, 0x7f, v8
	v_cmpx_ne_u32_e32 0x7f, v18
	s_cbranch_execz .LBB253_1617
; %bb.1614:                             ;   in Loop: Header=BB253_1059 Depth=1
	v_and_b32_e32 v8, 7, v8
	v_lshrrev_b32_e32 v16, 3, v18
	s_mov_b32 s15, exec_lo
	v_cmpx_gt_u32_e32 8, v18
; %bb.1615:                             ;   in Loop: Header=BB253_1059 Depth=1
	s_delay_alu instid0(VALU_DEP_3) | instskip(NEXT) | instid1(VALU_DEP_1)
	v_clz_i32_u32_e32 v16, v8
	v_min_u32_e32 v16, 32, v16
	s_delay_alu instid0(VALU_DEP_1) | instskip(SKIP_1) | instid1(VALU_DEP_2)
	v_subrev_nc_u32_e32 v17, 28, v16
	v_sub_nc_u32_e32 v16, 29, v16
	v_lshlrev_b64 v[17:18], v17, v[8:9]
	s_delay_alu instid0(VALU_DEP_1)
	v_and_b32_e32 v8, 7, v17
; %bb.1616:                             ;   in Loop: Header=BB253_1059 Depth=1
	s_or_b32 exec_lo, exec_lo, s15
	v_lshlrev_b32_e32 v17, 16, v77
	s_delay_alu instid0(VALU_DEP_2) | instskip(SKIP_1) | instid1(VALU_DEP_3)
	v_lshlrev_b32_e32 v8, 20, v8
	v_lshl_add_u32 v16, v16, 23, 0x3c000000
	v_and_b32_e32 v17, 0x80000000, v17
	s_delay_alu instid0(VALU_DEP_1)
	v_or3_b32 v17, v8, v17, v16
	v_mov_b32_e32 v16, v9
.LBB253_1617:                           ;   in Loop: Header=BB253_1059 Depth=1
	s_or_b32 exec_lo, exec_lo, s10
.LBB253_1618:                           ;   in Loop: Header=BB253_1059 Depth=1
	s_delay_alu instid0(SALU_CYCLE_1)
	s_or_b32 exec_lo, exec_lo, s13
.LBB253_1619:                           ;   in Loop: Header=BB253_1059 Depth=1
	s_delay_alu instid0(SALU_CYCLE_1) | instskip(SKIP_4) | instid1(VALU_DEP_2)
	s_or_b32 exec_lo, exec_lo, s12
	v_mov_b32_e32 v20, 0
	v_lshrrev_b32_e32 v78, 16, v77
	v_mov_b32_e32 v21, 0
	s_mov_b32 s10, exec_lo
	v_and_b32_e32 v8, 0xff, v78
	s_delay_alu instid0(VALU_DEP_2) | instskip(NEXT) | instid1(VALU_DEP_2)
	v_dual_mov_b32 v18, v20 :: v_dual_mov_b32 v19, v21
	v_cmpx_ne_u16_e32 0, v8
	s_cbranch_execz .LBB253_1627
; %bb.1620:                             ;   in Loop: Header=BB253_1059 Depth=1
	v_bfrev_b32_e32 v18, 1
	v_mov_b32_e32 v19, 0
	s_mov_b32 s12, exec_lo
	v_cmpx_ne_u16_e32 0x80, v8
	s_cbranch_execz .LBB253_1626
; %bb.1621:                             ;   in Loop: Header=BB253_1059 Depth=1
	v_mov_b32_e32 v18, 0x7f800001
	v_bfe_u32 v79, v77, 16, 7
	v_mov_b32_e32 v19, 0
	s_mov_b32 s13, exec_lo
	s_delay_alu instid0(VALU_DEP_2)
	v_cmpx_ne_u32_e32 0x7f, v79
	s_cbranch_execz .LBB253_1625
; %bb.1622:                             ;   in Loop: Header=BB253_1059 Depth=1
	v_and_b32_e32 v8, 7, v78
	v_lshrrev_b32_e32 v18, 3, v79
	s_mov_b32 s15, exec_lo
	v_cmpx_gt_u32_e32 8, v79
; %bb.1623:                             ;   in Loop: Header=BB253_1059 Depth=1
	s_delay_alu instid0(VALU_DEP_3) | instskip(NEXT) | instid1(VALU_DEP_1)
	v_clz_i32_u32_e32 v18, v8
	v_min_u32_e32 v18, 32, v18
	s_delay_alu instid0(VALU_DEP_1) | instskip(SKIP_1) | instid1(VALU_DEP_2)
	v_subrev_nc_u32_e32 v19, 28, v18
	v_sub_nc_u32_e32 v18, 29, v18
	v_lshlrev_b64 v[88:89], v19, v[8:9]
	s_delay_alu instid0(VALU_DEP_1)
	v_and_b32_e32 v8, 7, v88
; %bb.1624:                             ;   in Loop: Header=BB253_1059 Depth=1
	s_or_b32 exec_lo, exec_lo, s15
	v_lshlrev_b32_e32 v19, 24, v78
	s_delay_alu instid0(VALU_DEP_2) | instskip(SKIP_1) | instid1(VALU_DEP_3)
	v_lshlrev_b32_e32 v8, 20, v8
	v_lshl_add_u32 v18, v18, 23, 0x3c000000
	v_and_b32_e32 v19, 0x80000000, v19
	s_delay_alu instid0(VALU_DEP_1) | instskip(NEXT) | instid1(VALU_DEP_1)
	v_or3_b32 v8, v8, v19, v18
	v_dual_mov_b32 v19, v9 :: v_dual_mov_b32 v18, v8
.LBB253_1625:                           ;   in Loop: Header=BB253_1059 Depth=1
	s_or_b32 exec_lo, exec_lo, s13
.LBB253_1626:                           ;   in Loop: Header=BB253_1059 Depth=1
	s_delay_alu instid0(SALU_CYCLE_1)
	s_or_b32 exec_lo, exec_lo, s12
.LBB253_1627:                           ;   in Loop: Header=BB253_1059 Depth=1
	s_delay_alu instid0(SALU_CYCLE_1) | instskip(NEXT) | instid1(SALU_CYCLE_1)
	s_or_b32 exec_lo, exec_lo, s10
	s_mov_b32 s12, exec_lo
	v_cmpx_lt_u32_e32 0xffffff, v77
	s_cbranch_execz .LBB253_1635
; %bb.1628:                             ;   in Loop: Header=BB253_1059 Depth=1
	v_lshrrev_b32_e32 v78, 24, v77
	v_dual_mov_b32 v21, s9 :: v_dual_mov_b32 v20, s8
	s_mov_b32 s13, exec_lo
	s_delay_alu instid0(VALU_DEP_2)
	v_cmpx_ne_u32_e32 0x80, v78
	s_cbranch_execz .LBB253_1634
; %bb.1629:                             ;   in Loop: Header=BB253_1059 Depth=1
	s_mov_b32 s10, s8
	v_bfe_u32 v77, v77, 24, 7
	v_dual_mov_b32 v21, s11 :: v_dual_mov_b32 v20, s10
	s_mov_b32 s10, exec_lo
	s_delay_alu instid0(VALU_DEP_2)
	v_cmpx_ne_u32_e32 0x7f, v77
	s_cbranch_execz .LBB253_1633
; %bb.1630:                             ;   in Loop: Header=BB253_1059 Depth=1
	v_and_b32_e32 v8, 7, v78
	v_lshrrev_b32_e32 v20, 3, v77
	s_mov_b32 s15, exec_lo
	v_cmpx_gt_u32_e32 8, v77
; %bb.1631:                             ;   in Loop: Header=BB253_1059 Depth=1
	s_delay_alu instid0(VALU_DEP_3) | instskip(NEXT) | instid1(VALU_DEP_1)
	v_clz_i32_u32_e32 v20, v8
	v_min_u32_e32 v20, 32, v20
	s_delay_alu instid0(VALU_DEP_1) | instskip(SKIP_1) | instid1(VALU_DEP_2)
	v_subrev_nc_u32_e32 v21, 28, v20
	v_sub_nc_u32_e32 v20, 29, v20
	v_lshlrev_b64 v[88:89], v21, v[8:9]
	s_delay_alu instid0(VALU_DEP_1)
	v_and_b32_e32 v8, 7, v88
; %bb.1632:                             ;   in Loop: Header=BB253_1059 Depth=1
	s_or_b32 exec_lo, exec_lo, s15
	v_lshlrev_b32_e32 v21, 24, v78
	s_delay_alu instid0(VALU_DEP_2) | instskip(SKIP_1) | instid1(VALU_DEP_3)
	v_lshlrev_b32_e32 v8, 20, v8
	v_lshl_add_u32 v20, v20, 23, 0x3c000000
	v_and_b32_e32 v21, 0x80000000, v21
	s_delay_alu instid0(VALU_DEP_1)
	v_or3_b32 v21, v8, v21, v20
	v_mov_b32_e32 v20, v9
.LBB253_1633:                           ;   in Loop: Header=BB253_1059 Depth=1
	s_or_b32 exec_lo, exec_lo, s10
.LBB253_1634:                           ;   in Loop: Header=BB253_1059 Depth=1
	s_delay_alu instid0(SALU_CYCLE_1)
	s_or_b32 exec_lo, exec_lo, s13
.LBB253_1635:                           ;   in Loop: Header=BB253_1059 Depth=1
	s_delay_alu instid0(SALU_CYCLE_1) | instskip(SKIP_4) | instid1(VALU_DEP_3)
	s_or_b32 exec_lo, exec_lo, s12
	v_or_b32_e32 v5, v17, v5
	v_or_b32_e32 v4, v16, v4
	v_or_b32_e32 v8, v21, v19
	v_or_b32_e32 v16, v20, v18
	v_dual_mul_f32 v88, v96, v5 :: v_dual_mul_f32 v79, v82, v4
	s_delay_alu instid0(VALU_DEP_3) | instskip(NEXT) | instid1(VALU_DEP_3)
	v_mul_f32_e32 v77, v96, v8
	v_mul_f32_e32 v78, v82, v16
	s_and_saveexec_b32 s10, vcc_lo
; %bb.1636:                             ;   in Loop: Header=BB253_1059 Depth=1
	v_cmp_lt_i32_e64 s0, v102, v98
	s_delay_alu instid0(VALU_DEP_1) | instskip(SKIP_1) | instid1(VALU_DEP_1)
	v_cndmask_b32_e64 v79, 0, v79, s0
	v_cmp_lt_i32_e64 s0, v112, v98
	v_cndmask_b32_e64 v88, 0, v88, s0
	v_cmp_lt_i32_e64 s0, v103, v98
	s_delay_alu instid0(VALU_DEP_1) | instskip(SKIP_1) | instid1(VALU_DEP_1)
	v_cndmask_b32_e64 v78, 0, v78, s0
	v_cmp_lt_i32_e64 s0, v86, v98
	v_cndmask_b32_e64 v77, 0, v77, s0
; %bb.1637:                             ;   in Loop: Header=BB253_1059 Depth=1
	s_or_b32 exec_lo, exec_lo, s10
	flat_load_b32 v89, v[14:15] offset:2176
	v_mov_b32_e32 v16, 0
	v_mov_b32_e32 v17, 0
	s_mov_b32 s10, exec_lo
	s_waitcnt vmcnt(0) lgkmcnt(0)
	v_and_b32_e32 v8, 0xff, v89
	s_delay_alu instid0(VALU_DEP_2) | instskip(NEXT) | instid1(VALU_DEP_2)
	v_dual_mov_b32 v4, v16 :: v_dual_mov_b32 v5, v17
	v_cmpx_ne_u16_e32 0, v8
	s_cbranch_execz .LBB253_1645
; %bb.1638:                             ;   in Loop: Header=BB253_1059 Depth=1
	v_bfrev_b32_e32 v4, 1
	v_mov_b32_e32 v5, 0
	s_mov_b32 s12, exec_lo
	v_cmpx_ne_u16_e32 0x80, v8
	s_cbranch_execz .LBB253_1644
; %bb.1639:                             ;   in Loop: Header=BB253_1059 Depth=1
	v_mov_b32_e32 v4, 0x7f800001
	v_dual_mov_b32 v5, 0 :: v_dual_and_b32 v18, 0x7f, v89
	s_mov_b32 s13, exec_lo
	s_delay_alu instid0(VALU_DEP_1)
	v_cmpx_ne_u32_e32 0x7f, v18
	s_cbranch_execz .LBB253_1643
; %bb.1640:                             ;   in Loop: Header=BB253_1059 Depth=1
	v_and_b32_e32 v8, 7, v89
	v_lshrrev_b32_e32 v4, 3, v18
	s_mov_b32 s15, exec_lo
	v_cmpx_gt_u32_e32 8, v18
; %bb.1641:                             ;   in Loop: Header=BB253_1059 Depth=1
	s_delay_alu instid0(VALU_DEP_3) | instskip(NEXT) | instid1(VALU_DEP_1)
	v_clz_i32_u32_e32 v4, v8
	v_min_u32_e32 v4, 32, v4
	s_delay_alu instid0(VALU_DEP_1) | instskip(SKIP_1) | instid1(VALU_DEP_2)
	v_subrev_nc_u32_e32 v5, 28, v4
	v_sub_nc_u32_e32 v4, 29, v4
	v_lshlrev_b64 v[18:19], v5, v[8:9]
	s_delay_alu instid0(VALU_DEP_1)
	v_and_b32_e32 v8, 7, v18
; %bb.1642:                             ;   in Loop: Header=BB253_1059 Depth=1
	s_or_b32 exec_lo, exec_lo, s15
	v_lshlrev_b32_e32 v5, 24, v89
	s_delay_alu instid0(VALU_DEP_2) | instskip(SKIP_1) | instid1(VALU_DEP_3)
	v_lshlrev_b32_e32 v8, 20, v8
	v_lshl_add_u32 v4, v4, 23, 0x3c000000
	v_and_b32_e32 v5, 0x80000000, v5
	s_delay_alu instid0(VALU_DEP_1) | instskip(NEXT) | instid1(VALU_DEP_1)
	v_or3_b32 v8, v8, v5, v4
	v_dual_mov_b32 v4, v8 :: v_dual_mov_b32 v5, v9
.LBB253_1643:                           ;   in Loop: Header=BB253_1059 Depth=1
	s_or_b32 exec_lo, exec_lo, s13
.LBB253_1644:                           ;   in Loop: Header=BB253_1059 Depth=1
	s_delay_alu instid0(SALU_CYCLE_1)
	s_or_b32 exec_lo, exec_lo, s12
.LBB253_1645:                           ;   in Loop: Header=BB253_1059 Depth=1
	s_delay_alu instid0(SALU_CYCLE_1) | instskip(SKIP_2) | instid1(VALU_DEP_1)
	s_or_b32 exec_lo, exec_lo, s10
	v_lshrrev_b16 v8, 8, v89
	s_mov_b32 s12, exec_lo
	v_cmpx_ne_u16_e32 0, v8
	s_cbranch_execz .LBB253_1653
; %bb.1646:                             ;   in Loop: Header=BB253_1059 Depth=1
	v_dual_mov_b32 v17, s9 :: v_dual_mov_b32 v16, s8
	s_mov_b32 s13, exec_lo
	v_cmpx_ne_u16_e32 0x80, v8
	s_cbranch_execz .LBB253_1652
; %bb.1647:                             ;   in Loop: Header=BB253_1059 Depth=1
	s_mov_b32 s10, s8
	v_dual_mov_b32 v17, s11 :: v_dual_and_b32 v8, 0xffff, v8
	v_mov_b32_e32 v16, s10
	s_mov_b32 s10, exec_lo
	s_delay_alu instid0(VALU_DEP_2) | instskip(NEXT) | instid1(VALU_DEP_1)
	v_and_b32_e32 v18, 0x7f, v8
	v_cmpx_ne_u32_e32 0x7f, v18
	s_cbranch_execz .LBB253_1651
; %bb.1648:                             ;   in Loop: Header=BB253_1059 Depth=1
	v_and_b32_e32 v8, 7, v8
	v_lshrrev_b32_e32 v16, 3, v18
	s_mov_b32 s15, exec_lo
	v_cmpx_gt_u32_e32 8, v18
; %bb.1649:                             ;   in Loop: Header=BB253_1059 Depth=1
	s_delay_alu instid0(VALU_DEP_3) | instskip(NEXT) | instid1(VALU_DEP_1)
	v_clz_i32_u32_e32 v16, v8
	v_min_u32_e32 v16, 32, v16
	s_delay_alu instid0(VALU_DEP_1) | instskip(SKIP_1) | instid1(VALU_DEP_2)
	v_subrev_nc_u32_e32 v17, 28, v16
	v_sub_nc_u32_e32 v16, 29, v16
	v_lshlrev_b64 v[17:18], v17, v[8:9]
	s_delay_alu instid0(VALU_DEP_1)
	v_and_b32_e32 v8, 7, v17
; %bb.1650:                             ;   in Loop: Header=BB253_1059 Depth=1
	s_or_b32 exec_lo, exec_lo, s15
	v_lshlrev_b32_e32 v17, 16, v89
	s_delay_alu instid0(VALU_DEP_2) | instskip(SKIP_1) | instid1(VALU_DEP_3)
	v_lshlrev_b32_e32 v8, 20, v8
	v_lshl_add_u32 v16, v16, 23, 0x3c000000
	v_and_b32_e32 v17, 0x80000000, v17
	s_delay_alu instid0(VALU_DEP_1)
	v_or3_b32 v17, v8, v17, v16
	v_mov_b32_e32 v16, v9
.LBB253_1651:                           ;   in Loop: Header=BB253_1059 Depth=1
	s_or_b32 exec_lo, exec_lo, s10
.LBB253_1652:                           ;   in Loop: Header=BB253_1059 Depth=1
	s_delay_alu instid0(SALU_CYCLE_1)
	s_or_b32 exec_lo, exec_lo, s13
.LBB253_1653:                           ;   in Loop: Header=BB253_1059 Depth=1
	s_delay_alu instid0(SALU_CYCLE_1) | instskip(SKIP_4) | instid1(VALU_DEP_2)
	s_or_b32 exec_lo, exec_lo, s12
	v_mov_b32_e32 v20, 0
	v_lshrrev_b32_e32 v90, 16, v89
	v_mov_b32_e32 v21, 0
	s_mov_b32 s10, exec_lo
	v_and_b32_e32 v8, 0xff, v90
	s_delay_alu instid0(VALU_DEP_2) | instskip(NEXT) | instid1(VALU_DEP_2)
	v_dual_mov_b32 v18, v20 :: v_dual_mov_b32 v19, v21
	v_cmpx_ne_u16_e32 0, v8
	s_cbranch_execz .LBB253_1661
; %bb.1654:                             ;   in Loop: Header=BB253_1059 Depth=1
	v_bfrev_b32_e32 v18, 1
	v_mov_b32_e32 v19, 0
	s_mov_b32 s12, exec_lo
	v_cmpx_ne_u16_e32 0x80, v8
	s_cbranch_execz .LBB253_1660
; %bb.1655:                             ;   in Loop: Header=BB253_1059 Depth=1
	v_mov_b32_e32 v18, 0x7f800001
	v_bfe_u32 v91, v89, 16, 7
	v_mov_b32_e32 v19, 0
	s_mov_b32 s13, exec_lo
	s_delay_alu instid0(VALU_DEP_2)
	v_cmpx_ne_u32_e32 0x7f, v91
	s_cbranch_execz .LBB253_1659
; %bb.1656:                             ;   in Loop: Header=BB253_1059 Depth=1
	v_and_b32_e32 v8, 7, v90
	v_lshrrev_b32_e32 v18, 3, v91
	s_mov_b32 s15, exec_lo
	v_cmpx_gt_u32_e32 8, v91
; %bb.1657:                             ;   in Loop: Header=BB253_1059 Depth=1
	s_delay_alu instid0(VALU_DEP_3) | instskip(NEXT) | instid1(VALU_DEP_1)
	v_clz_i32_u32_e32 v18, v8
	v_min_u32_e32 v18, 32, v18
	s_delay_alu instid0(VALU_DEP_1) | instskip(SKIP_1) | instid1(VALU_DEP_2)
	v_subrev_nc_u32_e32 v19, 28, v18
	v_sub_nc_u32_e32 v18, 29, v18
	v_lshlrev_b64 v[91:92], v19, v[8:9]
	s_delay_alu instid0(VALU_DEP_1)
	v_and_b32_e32 v8, 7, v91
; %bb.1658:                             ;   in Loop: Header=BB253_1059 Depth=1
	s_or_b32 exec_lo, exec_lo, s15
	v_lshlrev_b32_e32 v19, 24, v90
	s_delay_alu instid0(VALU_DEP_2) | instskip(SKIP_1) | instid1(VALU_DEP_3)
	v_lshlrev_b32_e32 v8, 20, v8
	v_lshl_add_u32 v18, v18, 23, 0x3c000000
	v_and_b32_e32 v19, 0x80000000, v19
	s_delay_alu instid0(VALU_DEP_1) | instskip(NEXT) | instid1(VALU_DEP_1)
	v_or3_b32 v8, v8, v19, v18
	v_dual_mov_b32 v19, v9 :: v_dual_mov_b32 v18, v8
.LBB253_1659:                           ;   in Loop: Header=BB253_1059 Depth=1
	s_or_b32 exec_lo, exec_lo, s13
.LBB253_1660:                           ;   in Loop: Header=BB253_1059 Depth=1
	s_delay_alu instid0(SALU_CYCLE_1)
	s_or_b32 exec_lo, exec_lo, s12
.LBB253_1661:                           ;   in Loop: Header=BB253_1059 Depth=1
	s_delay_alu instid0(SALU_CYCLE_1) | instskip(NEXT) | instid1(SALU_CYCLE_1)
	s_or_b32 exec_lo, exec_lo, s10
	s_mov_b32 s12, exec_lo
	v_cmpx_lt_u32_e32 0xffffff, v89
	s_cbranch_execz .LBB253_1669
; %bb.1662:                             ;   in Loop: Header=BB253_1059 Depth=1
	v_lshrrev_b32_e32 v90, 24, v89
	v_dual_mov_b32 v21, s9 :: v_dual_mov_b32 v20, s8
	s_mov_b32 s13, exec_lo
	s_delay_alu instid0(VALU_DEP_2)
	v_cmpx_ne_u32_e32 0x80, v90
	s_cbranch_execz .LBB253_1668
; %bb.1663:                             ;   in Loop: Header=BB253_1059 Depth=1
	s_mov_b32 s10, s8
	v_bfe_u32 v89, v89, 24, 7
	v_dual_mov_b32 v21, s11 :: v_dual_mov_b32 v20, s10
	s_mov_b32 s10, exec_lo
	s_delay_alu instid0(VALU_DEP_2)
	v_cmpx_ne_u32_e32 0x7f, v89
	s_cbranch_execz .LBB253_1667
; %bb.1664:                             ;   in Loop: Header=BB253_1059 Depth=1
	v_and_b32_e32 v8, 7, v90
	v_lshrrev_b32_e32 v20, 3, v89
	s_mov_b32 s15, exec_lo
	v_cmpx_gt_u32_e32 8, v89
; %bb.1665:                             ;   in Loop: Header=BB253_1059 Depth=1
	s_delay_alu instid0(VALU_DEP_3) | instskip(NEXT) | instid1(VALU_DEP_1)
	v_clz_i32_u32_e32 v20, v8
	v_min_u32_e32 v20, 32, v20
	s_delay_alu instid0(VALU_DEP_1) | instskip(SKIP_1) | instid1(VALU_DEP_2)
	v_subrev_nc_u32_e32 v21, 28, v20
	v_sub_nc_u32_e32 v20, 29, v20
	v_lshlrev_b64 v[91:92], v21, v[8:9]
	s_delay_alu instid0(VALU_DEP_1)
	v_and_b32_e32 v8, 7, v91
; %bb.1666:                             ;   in Loop: Header=BB253_1059 Depth=1
	s_or_b32 exec_lo, exec_lo, s15
	v_lshlrev_b32_e32 v21, 24, v90
	s_delay_alu instid0(VALU_DEP_2) | instskip(SKIP_1) | instid1(VALU_DEP_3)
	v_lshlrev_b32_e32 v8, 20, v8
	v_lshl_add_u32 v20, v20, 23, 0x3c000000
	v_and_b32_e32 v21, 0x80000000, v21
	s_delay_alu instid0(VALU_DEP_1)
	v_or3_b32 v21, v8, v21, v20
	v_mov_b32_e32 v20, v9
.LBB253_1667:                           ;   in Loop: Header=BB253_1059 Depth=1
	s_or_b32 exec_lo, exec_lo, s10
.LBB253_1668:                           ;   in Loop: Header=BB253_1059 Depth=1
	s_delay_alu instid0(SALU_CYCLE_1)
	s_or_b32 exec_lo, exec_lo, s13
.LBB253_1669:                           ;   in Loop: Header=BB253_1059 Depth=1
	s_delay_alu instid0(SALU_CYCLE_1) | instskip(SKIP_4) | instid1(VALU_DEP_3)
	s_or_b32 exec_lo, exec_lo, s12
	v_or_b32_e32 v5, v17, v5
	v_or_b32_e32 v4, v16, v4
	;; [unrolled: 1-line block ×4, first 2 shown]
	v_dual_mul_f32 v92, v96, v5 :: v_dual_mul_f32 v91, v82, v4
	s_delay_alu instid0(VALU_DEP_3) | instskip(NEXT) | instid1(VALU_DEP_3)
	v_mul_f32_e32 v89, v96, v8
	v_mul_f32_e32 v90, v82, v16
	s_and_saveexec_b32 s10, vcc_lo
; %bb.1670:                             ;   in Loop: Header=BB253_1059 Depth=1
	v_cmp_lt_i32_e64 s0, v102, v98
	s_delay_alu instid0(VALU_DEP_1) | instskip(SKIP_1) | instid1(VALU_DEP_1)
	v_cndmask_b32_e64 v91, 0, v91, s0
	v_cmp_lt_i32_e64 s0, v112, v98
	v_cndmask_b32_e64 v92, 0, v92, s0
	v_cmp_lt_i32_e64 s0, v103, v98
	s_delay_alu instid0(VALU_DEP_1) | instskip(SKIP_1) | instid1(VALU_DEP_1)
	v_cndmask_b32_e64 v90, 0, v90, s0
	v_cmp_lt_i32_e64 s0, v86, v98
	v_cndmask_b32_e64 v89, 0, v89, s0
; %bb.1671:                             ;   in Loop: Header=BB253_1059 Depth=1
	s_or_b32 exec_lo, exec_lo, s10
	flat_load_b32 v93, v[14:15] offset:2304
	v_mov_b32_e32 v16, 0
	v_mov_b32_e32 v17, 0
	s_mov_b32 s10, exec_lo
	s_waitcnt vmcnt(0) lgkmcnt(0)
	v_and_b32_e32 v8, 0xff, v93
	s_delay_alu instid0(VALU_DEP_2) | instskip(NEXT) | instid1(VALU_DEP_2)
	v_dual_mov_b32 v4, v16 :: v_dual_mov_b32 v5, v17
	v_cmpx_ne_u16_e32 0, v8
	s_cbranch_execz .LBB253_1679
; %bb.1672:                             ;   in Loop: Header=BB253_1059 Depth=1
	v_bfrev_b32_e32 v4, 1
	v_mov_b32_e32 v5, 0
	s_mov_b32 s12, exec_lo
	v_cmpx_ne_u16_e32 0x80, v8
	s_cbranch_execz .LBB253_1678
; %bb.1673:                             ;   in Loop: Header=BB253_1059 Depth=1
	v_mov_b32_e32 v4, 0x7f800001
	v_dual_mov_b32 v5, 0 :: v_dual_and_b32 v18, 0x7f, v93
	s_mov_b32 s13, exec_lo
	s_delay_alu instid0(VALU_DEP_1)
	v_cmpx_ne_u32_e32 0x7f, v18
	s_cbranch_execz .LBB253_1677
; %bb.1674:                             ;   in Loop: Header=BB253_1059 Depth=1
	v_and_b32_e32 v8, 7, v93
	v_lshrrev_b32_e32 v4, 3, v18
	s_mov_b32 s15, exec_lo
	v_cmpx_gt_u32_e32 8, v18
; %bb.1675:                             ;   in Loop: Header=BB253_1059 Depth=1
	s_delay_alu instid0(VALU_DEP_3) | instskip(NEXT) | instid1(VALU_DEP_1)
	v_clz_i32_u32_e32 v4, v8
	v_min_u32_e32 v4, 32, v4
	s_delay_alu instid0(VALU_DEP_1) | instskip(SKIP_1) | instid1(VALU_DEP_2)
	v_subrev_nc_u32_e32 v5, 28, v4
	v_sub_nc_u32_e32 v4, 29, v4
	v_lshlrev_b64 v[18:19], v5, v[8:9]
	s_delay_alu instid0(VALU_DEP_1)
	v_and_b32_e32 v8, 7, v18
; %bb.1676:                             ;   in Loop: Header=BB253_1059 Depth=1
	s_or_b32 exec_lo, exec_lo, s15
	v_lshlrev_b32_e32 v5, 24, v93
	s_delay_alu instid0(VALU_DEP_2) | instskip(SKIP_1) | instid1(VALU_DEP_3)
	v_lshlrev_b32_e32 v8, 20, v8
	v_lshl_add_u32 v4, v4, 23, 0x3c000000
	v_and_b32_e32 v5, 0x80000000, v5
	s_delay_alu instid0(VALU_DEP_1) | instskip(NEXT) | instid1(VALU_DEP_1)
	v_or3_b32 v8, v8, v5, v4
	v_dual_mov_b32 v4, v8 :: v_dual_mov_b32 v5, v9
.LBB253_1677:                           ;   in Loop: Header=BB253_1059 Depth=1
	s_or_b32 exec_lo, exec_lo, s13
.LBB253_1678:                           ;   in Loop: Header=BB253_1059 Depth=1
	s_delay_alu instid0(SALU_CYCLE_1)
	s_or_b32 exec_lo, exec_lo, s12
.LBB253_1679:                           ;   in Loop: Header=BB253_1059 Depth=1
	s_delay_alu instid0(SALU_CYCLE_1) | instskip(SKIP_2) | instid1(VALU_DEP_1)
	s_or_b32 exec_lo, exec_lo, s10
	v_lshrrev_b16 v8, 8, v93
	s_mov_b32 s12, exec_lo
	v_cmpx_ne_u16_e32 0, v8
	s_cbranch_execz .LBB253_1687
; %bb.1680:                             ;   in Loop: Header=BB253_1059 Depth=1
	v_dual_mov_b32 v17, s9 :: v_dual_mov_b32 v16, s8
	s_mov_b32 s13, exec_lo
	v_cmpx_ne_u16_e32 0x80, v8
	s_cbranch_execz .LBB253_1686
; %bb.1681:                             ;   in Loop: Header=BB253_1059 Depth=1
	s_mov_b32 s10, s8
	v_dual_mov_b32 v17, s11 :: v_dual_and_b32 v8, 0xffff, v8
	v_mov_b32_e32 v16, s10
	s_mov_b32 s10, exec_lo
	s_delay_alu instid0(VALU_DEP_2) | instskip(NEXT) | instid1(VALU_DEP_1)
	v_and_b32_e32 v18, 0x7f, v8
	v_cmpx_ne_u32_e32 0x7f, v18
	s_cbranch_execz .LBB253_1685
; %bb.1682:                             ;   in Loop: Header=BB253_1059 Depth=1
	v_and_b32_e32 v8, 7, v8
	v_lshrrev_b32_e32 v16, 3, v18
	s_mov_b32 s15, exec_lo
	v_cmpx_gt_u32_e32 8, v18
; %bb.1683:                             ;   in Loop: Header=BB253_1059 Depth=1
	s_delay_alu instid0(VALU_DEP_3) | instskip(NEXT) | instid1(VALU_DEP_1)
	v_clz_i32_u32_e32 v16, v8
	v_min_u32_e32 v16, 32, v16
	s_delay_alu instid0(VALU_DEP_1) | instskip(SKIP_1) | instid1(VALU_DEP_2)
	v_subrev_nc_u32_e32 v17, 28, v16
	v_sub_nc_u32_e32 v16, 29, v16
	v_lshlrev_b64 v[17:18], v17, v[8:9]
	s_delay_alu instid0(VALU_DEP_1)
	v_and_b32_e32 v8, 7, v17
; %bb.1684:                             ;   in Loop: Header=BB253_1059 Depth=1
	s_or_b32 exec_lo, exec_lo, s15
	v_lshlrev_b32_e32 v17, 16, v93
	s_delay_alu instid0(VALU_DEP_2) | instskip(SKIP_1) | instid1(VALU_DEP_3)
	v_lshlrev_b32_e32 v8, 20, v8
	v_lshl_add_u32 v16, v16, 23, 0x3c000000
	v_and_b32_e32 v17, 0x80000000, v17
	s_delay_alu instid0(VALU_DEP_1)
	v_or3_b32 v17, v8, v17, v16
	v_mov_b32_e32 v16, v9
.LBB253_1685:                           ;   in Loop: Header=BB253_1059 Depth=1
	s_or_b32 exec_lo, exec_lo, s10
.LBB253_1686:                           ;   in Loop: Header=BB253_1059 Depth=1
	s_delay_alu instid0(SALU_CYCLE_1)
	s_or_b32 exec_lo, exec_lo, s13
.LBB253_1687:                           ;   in Loop: Header=BB253_1059 Depth=1
	s_delay_alu instid0(SALU_CYCLE_1) | instskip(SKIP_4) | instid1(VALU_DEP_2)
	s_or_b32 exec_lo, exec_lo, s12
	v_mov_b32_e32 v20, 0
	v_lshrrev_b32_e32 v94, 16, v93
	v_mov_b32_e32 v21, 0
	s_mov_b32 s10, exec_lo
	v_and_b32_e32 v8, 0xff, v94
	s_delay_alu instid0(VALU_DEP_2) | instskip(NEXT) | instid1(VALU_DEP_2)
	v_dual_mov_b32 v18, v20 :: v_dual_mov_b32 v19, v21
	v_cmpx_ne_u16_e32 0, v8
	s_cbranch_execz .LBB253_1695
; %bb.1688:                             ;   in Loop: Header=BB253_1059 Depth=1
	v_bfrev_b32_e32 v18, 1
	v_mov_b32_e32 v19, 0
	s_mov_b32 s12, exec_lo
	v_cmpx_ne_u16_e32 0x80, v8
	s_cbranch_execz .LBB253_1694
; %bb.1689:                             ;   in Loop: Header=BB253_1059 Depth=1
	v_mov_b32_e32 v18, 0x7f800001
	v_bfe_u32 v95, v93, 16, 7
	v_mov_b32_e32 v19, 0
	s_mov_b32 s13, exec_lo
	s_delay_alu instid0(VALU_DEP_2)
	v_cmpx_ne_u32_e32 0x7f, v95
	s_cbranch_execz .LBB253_1693
; %bb.1690:                             ;   in Loop: Header=BB253_1059 Depth=1
	v_and_b32_e32 v8, 7, v94
	v_lshrrev_b32_e32 v18, 3, v95
	s_mov_b32 s15, exec_lo
	v_cmpx_gt_u32_e32 8, v95
; %bb.1691:                             ;   in Loop: Header=BB253_1059 Depth=1
	s_delay_alu instid0(VALU_DEP_3) | instskip(NEXT) | instid1(VALU_DEP_1)
	v_clz_i32_u32_e32 v18, v8
	v_min_u32_e32 v18, 32, v18
	s_delay_alu instid0(VALU_DEP_1) | instskip(SKIP_1) | instid1(VALU_DEP_2)
	v_subrev_nc_u32_e32 v19, 28, v18
	v_sub_nc_u32_e32 v18, 29, v18
	v_lshlrev_b64 v[104:105], v19, v[8:9]
	s_delay_alu instid0(VALU_DEP_1)
	v_and_b32_e32 v8, 7, v104
; %bb.1692:                             ;   in Loop: Header=BB253_1059 Depth=1
	s_or_b32 exec_lo, exec_lo, s15
	v_lshlrev_b32_e32 v19, 24, v94
	s_delay_alu instid0(VALU_DEP_2) | instskip(SKIP_1) | instid1(VALU_DEP_3)
	v_lshlrev_b32_e32 v8, 20, v8
	v_lshl_add_u32 v18, v18, 23, 0x3c000000
	v_and_b32_e32 v19, 0x80000000, v19
	s_delay_alu instid0(VALU_DEP_1) | instskip(NEXT) | instid1(VALU_DEP_1)
	v_or3_b32 v8, v8, v19, v18
	v_dual_mov_b32 v19, v9 :: v_dual_mov_b32 v18, v8
.LBB253_1693:                           ;   in Loop: Header=BB253_1059 Depth=1
	s_or_b32 exec_lo, exec_lo, s13
.LBB253_1694:                           ;   in Loop: Header=BB253_1059 Depth=1
	s_delay_alu instid0(SALU_CYCLE_1)
	s_or_b32 exec_lo, exec_lo, s12
.LBB253_1695:                           ;   in Loop: Header=BB253_1059 Depth=1
	s_delay_alu instid0(SALU_CYCLE_1) | instskip(NEXT) | instid1(SALU_CYCLE_1)
	s_or_b32 exec_lo, exec_lo, s10
	s_mov_b32 s12, exec_lo
	v_cmpx_lt_u32_e32 0xffffff, v93
	s_cbranch_execz .LBB253_1703
; %bb.1696:                             ;   in Loop: Header=BB253_1059 Depth=1
	v_lshrrev_b32_e32 v94, 24, v93
	v_dual_mov_b32 v21, s9 :: v_dual_mov_b32 v20, s8
	s_mov_b32 s13, exec_lo
	s_delay_alu instid0(VALU_DEP_2)
	v_cmpx_ne_u32_e32 0x80, v94
	s_cbranch_execz .LBB253_1702
; %bb.1697:                             ;   in Loop: Header=BB253_1059 Depth=1
	s_mov_b32 s10, s8
	v_bfe_u32 v93, v93, 24, 7
	v_dual_mov_b32 v21, s11 :: v_dual_mov_b32 v20, s10
	s_mov_b32 s10, exec_lo
	s_delay_alu instid0(VALU_DEP_2)
	v_cmpx_ne_u32_e32 0x7f, v93
	s_cbranch_execz .LBB253_1701
; %bb.1698:                             ;   in Loop: Header=BB253_1059 Depth=1
	v_and_b32_e32 v8, 7, v94
	v_lshrrev_b32_e32 v20, 3, v93
	s_mov_b32 s15, exec_lo
	v_cmpx_gt_u32_e32 8, v93
; %bb.1699:                             ;   in Loop: Header=BB253_1059 Depth=1
	s_delay_alu instid0(VALU_DEP_3) | instskip(NEXT) | instid1(VALU_DEP_1)
	v_clz_i32_u32_e32 v20, v8
	v_min_u32_e32 v20, 32, v20
	s_delay_alu instid0(VALU_DEP_1) | instskip(SKIP_1) | instid1(VALU_DEP_2)
	v_subrev_nc_u32_e32 v21, 28, v20
	v_sub_nc_u32_e32 v20, 29, v20
	v_lshlrev_b64 v[104:105], v21, v[8:9]
	s_delay_alu instid0(VALU_DEP_1)
	v_and_b32_e32 v8, 7, v104
; %bb.1700:                             ;   in Loop: Header=BB253_1059 Depth=1
	s_or_b32 exec_lo, exec_lo, s15
	v_lshlrev_b32_e32 v21, 24, v94
	s_delay_alu instid0(VALU_DEP_2) | instskip(SKIP_1) | instid1(VALU_DEP_3)
	v_lshlrev_b32_e32 v8, 20, v8
	v_lshl_add_u32 v20, v20, 23, 0x3c000000
	v_and_b32_e32 v21, 0x80000000, v21
	s_delay_alu instid0(VALU_DEP_1)
	v_or3_b32 v21, v8, v21, v20
	v_mov_b32_e32 v20, v9
.LBB253_1701:                           ;   in Loop: Header=BB253_1059 Depth=1
	s_or_b32 exec_lo, exec_lo, s10
.LBB253_1702:                           ;   in Loop: Header=BB253_1059 Depth=1
	s_delay_alu instid0(SALU_CYCLE_1)
	s_or_b32 exec_lo, exec_lo, s13
.LBB253_1703:                           ;   in Loop: Header=BB253_1059 Depth=1
	s_delay_alu instid0(SALU_CYCLE_1) | instskip(SKIP_4) | instid1(VALU_DEP_3)
	s_or_b32 exec_lo, exec_lo, s12
	v_or_b32_e32 v5, v17, v5
	v_or_b32_e32 v4, v16, v4
	;; [unrolled: 1-line block ×4, first 2 shown]
	v_dual_mul_f32 v104, v96, v5 :: v_dual_mul_f32 v95, v82, v4
	s_delay_alu instid0(VALU_DEP_3) | instskip(NEXT) | instid1(VALU_DEP_3)
	v_mul_f32_e32 v93, v96, v8
	v_mul_f32_e32 v94, v82, v16
	s_and_saveexec_b32 s10, vcc_lo
; %bb.1704:                             ;   in Loop: Header=BB253_1059 Depth=1
	v_cmp_lt_i32_e64 s0, v102, v98
	s_delay_alu instid0(VALU_DEP_1) | instskip(SKIP_1) | instid1(VALU_DEP_1)
	v_cndmask_b32_e64 v95, 0, v95, s0
	v_cmp_lt_i32_e64 s0, v112, v98
	v_cndmask_b32_e64 v104, 0, v104, s0
	v_cmp_lt_i32_e64 s0, v103, v98
	s_delay_alu instid0(VALU_DEP_1) | instskip(SKIP_1) | instid1(VALU_DEP_1)
	v_cndmask_b32_e64 v94, 0, v94, s0
	v_cmp_lt_i32_e64 s0, v86, v98
	v_cndmask_b32_e64 v93, 0, v93, s0
; %bb.1705:                             ;   in Loop: Header=BB253_1059 Depth=1
	s_or_b32 exec_lo, exec_lo, s10
	flat_load_b32 v105, v[14:15] offset:2432
	v_mov_b32_e32 v16, 0
	v_mov_b32_e32 v17, 0
	s_mov_b32 s10, exec_lo
	s_waitcnt vmcnt(0) lgkmcnt(0)
	v_and_b32_e32 v8, 0xff, v105
	s_delay_alu instid0(VALU_DEP_2) | instskip(NEXT) | instid1(VALU_DEP_2)
	v_dual_mov_b32 v4, v16 :: v_dual_mov_b32 v5, v17
	v_cmpx_ne_u16_e32 0, v8
	s_cbranch_execz .LBB253_1713
; %bb.1706:                             ;   in Loop: Header=BB253_1059 Depth=1
	v_bfrev_b32_e32 v4, 1
	v_mov_b32_e32 v5, 0
	s_mov_b32 s12, exec_lo
	v_cmpx_ne_u16_e32 0x80, v8
	s_cbranch_execz .LBB253_1712
; %bb.1707:                             ;   in Loop: Header=BB253_1059 Depth=1
	v_mov_b32_e32 v4, 0x7f800001
	v_dual_mov_b32 v5, 0 :: v_dual_and_b32 v18, 0x7f, v105
	s_mov_b32 s13, exec_lo
	s_delay_alu instid0(VALU_DEP_1)
	v_cmpx_ne_u32_e32 0x7f, v18
	s_cbranch_execz .LBB253_1711
; %bb.1708:                             ;   in Loop: Header=BB253_1059 Depth=1
	v_and_b32_e32 v8, 7, v105
	v_lshrrev_b32_e32 v4, 3, v18
	s_mov_b32 s15, exec_lo
	v_cmpx_gt_u32_e32 8, v18
; %bb.1709:                             ;   in Loop: Header=BB253_1059 Depth=1
	s_delay_alu instid0(VALU_DEP_3) | instskip(NEXT) | instid1(VALU_DEP_1)
	v_clz_i32_u32_e32 v4, v8
	v_min_u32_e32 v4, 32, v4
	s_delay_alu instid0(VALU_DEP_1) | instskip(SKIP_1) | instid1(VALU_DEP_2)
	v_subrev_nc_u32_e32 v5, 28, v4
	v_sub_nc_u32_e32 v4, 29, v4
	v_lshlrev_b64 v[18:19], v5, v[8:9]
	s_delay_alu instid0(VALU_DEP_1)
	v_and_b32_e32 v8, 7, v18
; %bb.1710:                             ;   in Loop: Header=BB253_1059 Depth=1
	s_or_b32 exec_lo, exec_lo, s15
	v_lshlrev_b32_e32 v5, 24, v105
	s_delay_alu instid0(VALU_DEP_2) | instskip(SKIP_1) | instid1(VALU_DEP_3)
	v_lshlrev_b32_e32 v8, 20, v8
	v_lshl_add_u32 v4, v4, 23, 0x3c000000
	v_and_b32_e32 v5, 0x80000000, v5
	s_delay_alu instid0(VALU_DEP_1) | instskip(NEXT) | instid1(VALU_DEP_1)
	v_or3_b32 v8, v8, v5, v4
	v_dual_mov_b32 v4, v8 :: v_dual_mov_b32 v5, v9
.LBB253_1711:                           ;   in Loop: Header=BB253_1059 Depth=1
	s_or_b32 exec_lo, exec_lo, s13
.LBB253_1712:                           ;   in Loop: Header=BB253_1059 Depth=1
	s_delay_alu instid0(SALU_CYCLE_1)
	s_or_b32 exec_lo, exec_lo, s12
.LBB253_1713:                           ;   in Loop: Header=BB253_1059 Depth=1
	s_delay_alu instid0(SALU_CYCLE_1) | instskip(SKIP_2) | instid1(VALU_DEP_1)
	s_or_b32 exec_lo, exec_lo, s10
	v_lshrrev_b16 v8, 8, v105
	s_mov_b32 s12, exec_lo
	v_cmpx_ne_u16_e32 0, v8
	s_cbranch_execz .LBB253_1721
; %bb.1714:                             ;   in Loop: Header=BB253_1059 Depth=1
	v_dual_mov_b32 v17, s9 :: v_dual_mov_b32 v16, s8
	s_mov_b32 s13, exec_lo
	v_cmpx_ne_u16_e32 0x80, v8
	s_cbranch_execz .LBB253_1720
; %bb.1715:                             ;   in Loop: Header=BB253_1059 Depth=1
	s_mov_b32 s10, s8
	v_dual_mov_b32 v17, s11 :: v_dual_and_b32 v8, 0xffff, v8
	v_mov_b32_e32 v16, s10
	s_mov_b32 s10, exec_lo
	s_delay_alu instid0(VALU_DEP_2) | instskip(NEXT) | instid1(VALU_DEP_1)
	v_and_b32_e32 v18, 0x7f, v8
	v_cmpx_ne_u32_e32 0x7f, v18
	s_cbranch_execz .LBB253_1719
; %bb.1716:                             ;   in Loop: Header=BB253_1059 Depth=1
	v_and_b32_e32 v8, 7, v8
	v_lshrrev_b32_e32 v16, 3, v18
	s_mov_b32 s15, exec_lo
	v_cmpx_gt_u32_e32 8, v18
; %bb.1717:                             ;   in Loop: Header=BB253_1059 Depth=1
	s_delay_alu instid0(VALU_DEP_3) | instskip(NEXT) | instid1(VALU_DEP_1)
	v_clz_i32_u32_e32 v16, v8
	v_min_u32_e32 v16, 32, v16
	s_delay_alu instid0(VALU_DEP_1) | instskip(SKIP_1) | instid1(VALU_DEP_2)
	v_subrev_nc_u32_e32 v17, 28, v16
	v_sub_nc_u32_e32 v16, 29, v16
	v_lshlrev_b64 v[17:18], v17, v[8:9]
	s_delay_alu instid0(VALU_DEP_1)
	v_and_b32_e32 v8, 7, v17
; %bb.1718:                             ;   in Loop: Header=BB253_1059 Depth=1
	s_or_b32 exec_lo, exec_lo, s15
	v_lshlrev_b32_e32 v17, 16, v105
	s_delay_alu instid0(VALU_DEP_2) | instskip(SKIP_1) | instid1(VALU_DEP_3)
	v_lshlrev_b32_e32 v8, 20, v8
	v_lshl_add_u32 v16, v16, 23, 0x3c000000
	v_and_b32_e32 v17, 0x80000000, v17
	s_delay_alu instid0(VALU_DEP_1)
	v_or3_b32 v17, v8, v17, v16
	v_mov_b32_e32 v16, v9
.LBB253_1719:                           ;   in Loop: Header=BB253_1059 Depth=1
	s_or_b32 exec_lo, exec_lo, s10
.LBB253_1720:                           ;   in Loop: Header=BB253_1059 Depth=1
	s_delay_alu instid0(SALU_CYCLE_1)
	s_or_b32 exec_lo, exec_lo, s13
.LBB253_1721:                           ;   in Loop: Header=BB253_1059 Depth=1
	s_delay_alu instid0(SALU_CYCLE_1) | instskip(SKIP_4) | instid1(VALU_DEP_2)
	s_or_b32 exec_lo, exec_lo, s12
	v_mov_b32_e32 v20, 0
	v_lshrrev_b32_e32 v106, 16, v105
	v_mov_b32_e32 v21, 0
	s_mov_b32 s10, exec_lo
	v_and_b32_e32 v8, 0xff, v106
	s_delay_alu instid0(VALU_DEP_2) | instskip(NEXT) | instid1(VALU_DEP_2)
	v_dual_mov_b32 v18, v20 :: v_dual_mov_b32 v19, v21
	v_cmpx_ne_u16_e32 0, v8
	s_cbranch_execz .LBB253_1729
; %bb.1722:                             ;   in Loop: Header=BB253_1059 Depth=1
	v_bfrev_b32_e32 v18, 1
	v_mov_b32_e32 v19, 0
	s_mov_b32 s12, exec_lo
	v_cmpx_ne_u16_e32 0x80, v8
	s_cbranch_execz .LBB253_1728
; %bb.1723:                             ;   in Loop: Header=BB253_1059 Depth=1
	v_mov_b32_e32 v18, 0x7f800001
	v_bfe_u32 v107, v105, 16, 7
	v_mov_b32_e32 v19, 0
	s_mov_b32 s13, exec_lo
	s_delay_alu instid0(VALU_DEP_2)
	v_cmpx_ne_u32_e32 0x7f, v107
	s_cbranch_execz .LBB253_1727
; %bb.1724:                             ;   in Loop: Header=BB253_1059 Depth=1
	v_and_b32_e32 v8, 7, v106
	v_lshrrev_b32_e32 v18, 3, v107
	s_mov_b32 s15, exec_lo
	v_cmpx_gt_u32_e32 8, v107
; %bb.1725:                             ;   in Loop: Header=BB253_1059 Depth=1
	s_delay_alu instid0(VALU_DEP_3) | instskip(NEXT) | instid1(VALU_DEP_1)
	v_clz_i32_u32_e32 v18, v8
	v_min_u32_e32 v18, 32, v18
	s_delay_alu instid0(VALU_DEP_1) | instskip(SKIP_1) | instid1(VALU_DEP_2)
	v_subrev_nc_u32_e32 v19, 28, v18
	v_sub_nc_u32_e32 v18, 29, v18
	v_lshlrev_b64 v[107:108], v19, v[8:9]
	s_delay_alu instid0(VALU_DEP_1)
	v_and_b32_e32 v8, 7, v107
; %bb.1726:                             ;   in Loop: Header=BB253_1059 Depth=1
	s_or_b32 exec_lo, exec_lo, s15
	v_lshlrev_b32_e32 v19, 24, v106
	s_delay_alu instid0(VALU_DEP_2) | instskip(SKIP_1) | instid1(VALU_DEP_3)
	v_lshlrev_b32_e32 v8, 20, v8
	v_lshl_add_u32 v18, v18, 23, 0x3c000000
	v_and_b32_e32 v19, 0x80000000, v19
	s_delay_alu instid0(VALU_DEP_1) | instskip(NEXT) | instid1(VALU_DEP_1)
	v_or3_b32 v8, v8, v19, v18
	v_dual_mov_b32 v19, v9 :: v_dual_mov_b32 v18, v8
.LBB253_1727:                           ;   in Loop: Header=BB253_1059 Depth=1
	s_or_b32 exec_lo, exec_lo, s13
.LBB253_1728:                           ;   in Loop: Header=BB253_1059 Depth=1
	s_delay_alu instid0(SALU_CYCLE_1)
	s_or_b32 exec_lo, exec_lo, s12
.LBB253_1729:                           ;   in Loop: Header=BB253_1059 Depth=1
	s_delay_alu instid0(SALU_CYCLE_1) | instskip(NEXT) | instid1(SALU_CYCLE_1)
	s_or_b32 exec_lo, exec_lo, s10
	s_mov_b32 s12, exec_lo
	v_cmpx_lt_u32_e32 0xffffff, v105
	s_cbranch_execz .LBB253_1737
; %bb.1730:                             ;   in Loop: Header=BB253_1059 Depth=1
	v_lshrrev_b32_e32 v106, 24, v105
	v_dual_mov_b32 v21, s9 :: v_dual_mov_b32 v20, s8
	s_mov_b32 s13, exec_lo
	s_delay_alu instid0(VALU_DEP_2)
	v_cmpx_ne_u32_e32 0x80, v106
	s_cbranch_execz .LBB253_1736
; %bb.1731:                             ;   in Loop: Header=BB253_1059 Depth=1
	s_mov_b32 s10, s8
	v_bfe_u32 v105, v105, 24, 7
	v_dual_mov_b32 v21, s11 :: v_dual_mov_b32 v20, s10
	s_mov_b32 s10, exec_lo
	s_delay_alu instid0(VALU_DEP_2)
	v_cmpx_ne_u32_e32 0x7f, v105
	s_cbranch_execz .LBB253_1735
; %bb.1732:                             ;   in Loop: Header=BB253_1059 Depth=1
	v_and_b32_e32 v8, 7, v106
	v_lshrrev_b32_e32 v20, 3, v105
	s_mov_b32 s15, exec_lo
	v_cmpx_gt_u32_e32 8, v105
; %bb.1733:                             ;   in Loop: Header=BB253_1059 Depth=1
	s_delay_alu instid0(VALU_DEP_3) | instskip(NEXT) | instid1(VALU_DEP_1)
	v_clz_i32_u32_e32 v20, v8
	v_min_u32_e32 v20, 32, v20
	s_delay_alu instid0(VALU_DEP_1) | instskip(SKIP_1) | instid1(VALU_DEP_2)
	v_subrev_nc_u32_e32 v21, 28, v20
	v_sub_nc_u32_e32 v20, 29, v20
	v_lshlrev_b64 v[107:108], v21, v[8:9]
	s_delay_alu instid0(VALU_DEP_1)
	v_and_b32_e32 v8, 7, v107
; %bb.1734:                             ;   in Loop: Header=BB253_1059 Depth=1
	s_or_b32 exec_lo, exec_lo, s15
	v_lshlrev_b32_e32 v21, 24, v106
	s_delay_alu instid0(VALU_DEP_2) | instskip(SKIP_1) | instid1(VALU_DEP_3)
	v_lshlrev_b32_e32 v8, 20, v8
	v_lshl_add_u32 v20, v20, 23, 0x3c000000
	v_and_b32_e32 v21, 0x80000000, v21
	s_delay_alu instid0(VALU_DEP_1)
	v_or3_b32 v21, v8, v21, v20
	v_mov_b32_e32 v20, v9
.LBB253_1735:                           ;   in Loop: Header=BB253_1059 Depth=1
	s_or_b32 exec_lo, exec_lo, s10
.LBB253_1736:                           ;   in Loop: Header=BB253_1059 Depth=1
	s_delay_alu instid0(SALU_CYCLE_1)
	s_or_b32 exec_lo, exec_lo, s13
.LBB253_1737:                           ;   in Loop: Header=BB253_1059 Depth=1
	s_delay_alu instid0(SALU_CYCLE_1) | instskip(SKIP_4) | instid1(VALU_DEP_3)
	s_or_b32 exec_lo, exec_lo, s12
	v_or_b32_e32 v5, v17, v5
	v_or_b32_e32 v4, v16, v4
	;; [unrolled: 1-line block ×4, first 2 shown]
	v_dual_mul_f32 v108, v96, v5 :: v_dual_mul_f32 v107, v82, v4
	s_delay_alu instid0(VALU_DEP_3) | instskip(NEXT) | instid1(VALU_DEP_3)
	v_mul_f32_e32 v105, v96, v8
	v_mul_f32_e32 v106, v82, v16
	s_and_saveexec_b32 s10, vcc_lo
; %bb.1738:                             ;   in Loop: Header=BB253_1059 Depth=1
	v_cmp_lt_i32_e64 s0, v102, v98
	s_delay_alu instid0(VALU_DEP_1) | instskip(SKIP_1) | instid1(VALU_DEP_1)
	v_cndmask_b32_e64 v107, 0, v107, s0
	v_cmp_lt_i32_e64 s0, v112, v98
	v_cndmask_b32_e64 v108, 0, v108, s0
	v_cmp_lt_i32_e64 s0, v103, v98
	s_delay_alu instid0(VALU_DEP_1) | instskip(SKIP_1) | instid1(VALU_DEP_1)
	v_cndmask_b32_e64 v106, 0, v106, s0
	v_cmp_lt_i32_e64 s0, v86, v98
	v_cndmask_b32_e64 v105, 0, v105, s0
; %bb.1739:                             ;   in Loop: Header=BB253_1059 Depth=1
	s_or_b32 exec_lo, exec_lo, s10
	flat_load_b32 v109, v[14:15] offset:2560
	v_mov_b32_e32 v16, 0
	v_mov_b32_e32 v17, 0
	s_mov_b32 s10, exec_lo
	s_waitcnt vmcnt(0) lgkmcnt(0)
	v_and_b32_e32 v8, 0xff, v109
	s_delay_alu instid0(VALU_DEP_2) | instskip(NEXT) | instid1(VALU_DEP_2)
	v_dual_mov_b32 v4, v16 :: v_dual_mov_b32 v5, v17
	v_cmpx_ne_u16_e32 0, v8
	s_cbranch_execz .LBB253_1747
; %bb.1740:                             ;   in Loop: Header=BB253_1059 Depth=1
	v_bfrev_b32_e32 v4, 1
	v_mov_b32_e32 v5, 0
	s_mov_b32 s12, exec_lo
	v_cmpx_ne_u16_e32 0x80, v8
	s_cbranch_execz .LBB253_1746
; %bb.1741:                             ;   in Loop: Header=BB253_1059 Depth=1
	v_mov_b32_e32 v4, 0x7f800001
	v_dual_mov_b32 v5, 0 :: v_dual_and_b32 v18, 0x7f, v109
	s_mov_b32 s13, exec_lo
	s_delay_alu instid0(VALU_DEP_1)
	v_cmpx_ne_u32_e32 0x7f, v18
	s_cbranch_execz .LBB253_1745
; %bb.1742:                             ;   in Loop: Header=BB253_1059 Depth=1
	v_and_b32_e32 v8, 7, v109
	v_lshrrev_b32_e32 v4, 3, v18
	s_mov_b32 s15, exec_lo
	v_cmpx_gt_u32_e32 8, v18
; %bb.1743:                             ;   in Loop: Header=BB253_1059 Depth=1
	s_delay_alu instid0(VALU_DEP_3) | instskip(NEXT) | instid1(VALU_DEP_1)
	v_clz_i32_u32_e32 v4, v8
	v_min_u32_e32 v4, 32, v4
	s_delay_alu instid0(VALU_DEP_1) | instskip(SKIP_1) | instid1(VALU_DEP_2)
	v_subrev_nc_u32_e32 v5, 28, v4
	v_sub_nc_u32_e32 v4, 29, v4
	v_lshlrev_b64 v[18:19], v5, v[8:9]
	s_delay_alu instid0(VALU_DEP_1)
	v_and_b32_e32 v8, 7, v18
; %bb.1744:                             ;   in Loop: Header=BB253_1059 Depth=1
	s_or_b32 exec_lo, exec_lo, s15
	v_lshlrev_b32_e32 v5, 24, v109
	s_delay_alu instid0(VALU_DEP_2) | instskip(SKIP_1) | instid1(VALU_DEP_3)
	v_lshlrev_b32_e32 v8, 20, v8
	v_lshl_add_u32 v4, v4, 23, 0x3c000000
	v_and_b32_e32 v5, 0x80000000, v5
	s_delay_alu instid0(VALU_DEP_1) | instskip(NEXT) | instid1(VALU_DEP_1)
	v_or3_b32 v8, v8, v5, v4
	v_dual_mov_b32 v4, v8 :: v_dual_mov_b32 v5, v9
.LBB253_1745:                           ;   in Loop: Header=BB253_1059 Depth=1
	s_or_b32 exec_lo, exec_lo, s13
.LBB253_1746:                           ;   in Loop: Header=BB253_1059 Depth=1
	s_delay_alu instid0(SALU_CYCLE_1)
	s_or_b32 exec_lo, exec_lo, s12
.LBB253_1747:                           ;   in Loop: Header=BB253_1059 Depth=1
	s_delay_alu instid0(SALU_CYCLE_1) | instskip(SKIP_2) | instid1(VALU_DEP_1)
	s_or_b32 exec_lo, exec_lo, s10
	v_lshrrev_b16 v8, 8, v109
	s_mov_b32 s12, exec_lo
	v_cmpx_ne_u16_e32 0, v8
	s_cbranch_execz .LBB253_1755
; %bb.1748:                             ;   in Loop: Header=BB253_1059 Depth=1
	v_dual_mov_b32 v17, s9 :: v_dual_mov_b32 v16, s8
	s_mov_b32 s13, exec_lo
	v_cmpx_ne_u16_e32 0x80, v8
	s_cbranch_execz .LBB253_1754
; %bb.1749:                             ;   in Loop: Header=BB253_1059 Depth=1
	s_mov_b32 s10, s8
	v_dual_mov_b32 v17, s11 :: v_dual_and_b32 v8, 0xffff, v8
	v_mov_b32_e32 v16, s10
	s_mov_b32 s10, exec_lo
	s_delay_alu instid0(VALU_DEP_2) | instskip(NEXT) | instid1(VALU_DEP_1)
	v_and_b32_e32 v18, 0x7f, v8
	v_cmpx_ne_u32_e32 0x7f, v18
	s_cbranch_execz .LBB253_1753
; %bb.1750:                             ;   in Loop: Header=BB253_1059 Depth=1
	v_and_b32_e32 v8, 7, v8
	v_lshrrev_b32_e32 v16, 3, v18
	s_mov_b32 s15, exec_lo
	v_cmpx_gt_u32_e32 8, v18
; %bb.1751:                             ;   in Loop: Header=BB253_1059 Depth=1
	s_delay_alu instid0(VALU_DEP_3) | instskip(NEXT) | instid1(VALU_DEP_1)
	v_clz_i32_u32_e32 v16, v8
	v_min_u32_e32 v16, 32, v16
	s_delay_alu instid0(VALU_DEP_1) | instskip(SKIP_1) | instid1(VALU_DEP_2)
	v_subrev_nc_u32_e32 v17, 28, v16
	v_sub_nc_u32_e32 v16, 29, v16
	v_lshlrev_b64 v[17:18], v17, v[8:9]
	s_delay_alu instid0(VALU_DEP_1)
	v_and_b32_e32 v8, 7, v17
; %bb.1752:                             ;   in Loop: Header=BB253_1059 Depth=1
	s_or_b32 exec_lo, exec_lo, s15
	v_lshlrev_b32_e32 v17, 16, v109
	s_delay_alu instid0(VALU_DEP_2) | instskip(SKIP_1) | instid1(VALU_DEP_3)
	v_lshlrev_b32_e32 v8, 20, v8
	v_lshl_add_u32 v16, v16, 23, 0x3c000000
	v_and_b32_e32 v17, 0x80000000, v17
	s_delay_alu instid0(VALU_DEP_1)
	v_or3_b32 v17, v8, v17, v16
	v_mov_b32_e32 v16, v9
.LBB253_1753:                           ;   in Loop: Header=BB253_1059 Depth=1
	s_or_b32 exec_lo, exec_lo, s10
.LBB253_1754:                           ;   in Loop: Header=BB253_1059 Depth=1
	s_delay_alu instid0(SALU_CYCLE_1)
	s_or_b32 exec_lo, exec_lo, s13
.LBB253_1755:                           ;   in Loop: Header=BB253_1059 Depth=1
	s_delay_alu instid0(SALU_CYCLE_1) | instskip(SKIP_4) | instid1(VALU_DEP_2)
	s_or_b32 exec_lo, exec_lo, s12
	v_mov_b32_e32 v20, 0
	v_lshrrev_b32_e32 v110, 16, v109
	v_mov_b32_e32 v21, 0
	s_mov_b32 s10, exec_lo
	v_and_b32_e32 v8, 0xff, v110
	s_delay_alu instid0(VALU_DEP_2) | instskip(NEXT) | instid1(VALU_DEP_2)
	v_dual_mov_b32 v18, v20 :: v_dual_mov_b32 v19, v21
	v_cmpx_ne_u16_e32 0, v8
	s_cbranch_execz .LBB253_1763
; %bb.1756:                             ;   in Loop: Header=BB253_1059 Depth=1
	v_bfrev_b32_e32 v18, 1
	v_mov_b32_e32 v19, 0
	s_mov_b32 s12, exec_lo
	v_cmpx_ne_u16_e32 0x80, v8
	s_cbranch_execz .LBB253_1762
; %bb.1757:                             ;   in Loop: Header=BB253_1059 Depth=1
	v_mov_b32_e32 v18, 0x7f800001
	v_bfe_u32 v111, v109, 16, 7
	v_mov_b32_e32 v19, 0
	s_mov_b32 s13, exec_lo
	s_delay_alu instid0(VALU_DEP_2)
	v_cmpx_ne_u32_e32 0x7f, v111
	s_cbranch_execz .LBB253_1761
; %bb.1758:                             ;   in Loop: Header=BB253_1059 Depth=1
	v_and_b32_e32 v8, 7, v110
	v_lshrrev_b32_e32 v18, 3, v111
	s_mov_b32 s15, exec_lo
	v_cmpx_gt_u32_e32 8, v111
; %bb.1759:                             ;   in Loop: Header=BB253_1059 Depth=1
	s_delay_alu instid0(VALU_DEP_3) | instskip(NEXT) | instid1(VALU_DEP_1)
	v_clz_i32_u32_e32 v18, v8
	v_min_u32_e32 v18, 32, v18
	s_delay_alu instid0(VALU_DEP_1) | instskip(SKIP_1) | instid1(VALU_DEP_2)
	v_subrev_nc_u32_e32 v19, 28, v18
	v_sub_nc_u32_e32 v18, 29, v18
	v_lshlrev_b64 v[120:121], v19, v[8:9]
	s_delay_alu instid0(VALU_DEP_1)
	v_and_b32_e32 v8, 7, v120
; %bb.1760:                             ;   in Loop: Header=BB253_1059 Depth=1
	s_or_b32 exec_lo, exec_lo, s15
	v_lshlrev_b32_e32 v19, 24, v110
	s_delay_alu instid0(VALU_DEP_2) | instskip(SKIP_1) | instid1(VALU_DEP_3)
	v_lshlrev_b32_e32 v8, 20, v8
	v_lshl_add_u32 v18, v18, 23, 0x3c000000
	v_and_b32_e32 v19, 0x80000000, v19
	s_delay_alu instid0(VALU_DEP_1) | instskip(NEXT) | instid1(VALU_DEP_1)
	v_or3_b32 v8, v8, v19, v18
	v_dual_mov_b32 v19, v9 :: v_dual_mov_b32 v18, v8
.LBB253_1761:                           ;   in Loop: Header=BB253_1059 Depth=1
	s_or_b32 exec_lo, exec_lo, s13
.LBB253_1762:                           ;   in Loop: Header=BB253_1059 Depth=1
	s_delay_alu instid0(SALU_CYCLE_1)
	s_or_b32 exec_lo, exec_lo, s12
.LBB253_1763:                           ;   in Loop: Header=BB253_1059 Depth=1
	s_delay_alu instid0(SALU_CYCLE_1) | instskip(NEXT) | instid1(SALU_CYCLE_1)
	s_or_b32 exec_lo, exec_lo, s10
	s_mov_b32 s12, exec_lo
	v_cmpx_lt_u32_e32 0xffffff, v109
	s_cbranch_execz .LBB253_1771
; %bb.1764:                             ;   in Loop: Header=BB253_1059 Depth=1
	v_lshrrev_b32_e32 v110, 24, v109
	v_dual_mov_b32 v21, s9 :: v_dual_mov_b32 v20, s8
	s_mov_b32 s13, exec_lo
	s_delay_alu instid0(VALU_DEP_2)
	v_cmpx_ne_u32_e32 0x80, v110
	s_cbranch_execz .LBB253_1770
; %bb.1765:                             ;   in Loop: Header=BB253_1059 Depth=1
	s_mov_b32 s10, s8
	v_bfe_u32 v109, v109, 24, 7
	v_dual_mov_b32 v21, s11 :: v_dual_mov_b32 v20, s10
	s_mov_b32 s10, exec_lo
	s_delay_alu instid0(VALU_DEP_2)
	v_cmpx_ne_u32_e32 0x7f, v109
	s_cbranch_execz .LBB253_1769
; %bb.1766:                             ;   in Loop: Header=BB253_1059 Depth=1
	v_and_b32_e32 v8, 7, v110
	v_lshrrev_b32_e32 v20, 3, v109
	s_mov_b32 s15, exec_lo
	v_cmpx_gt_u32_e32 8, v109
; %bb.1767:                             ;   in Loop: Header=BB253_1059 Depth=1
	s_delay_alu instid0(VALU_DEP_3) | instskip(NEXT) | instid1(VALU_DEP_1)
	v_clz_i32_u32_e32 v20, v8
	v_min_u32_e32 v20, 32, v20
	s_delay_alu instid0(VALU_DEP_1) | instskip(SKIP_1) | instid1(VALU_DEP_2)
	v_subrev_nc_u32_e32 v21, 28, v20
	v_sub_nc_u32_e32 v20, 29, v20
	v_lshlrev_b64 v[120:121], v21, v[8:9]
	s_delay_alu instid0(VALU_DEP_1)
	v_and_b32_e32 v8, 7, v120
; %bb.1768:                             ;   in Loop: Header=BB253_1059 Depth=1
	s_or_b32 exec_lo, exec_lo, s15
	v_lshlrev_b32_e32 v21, 24, v110
	s_delay_alu instid0(VALU_DEP_2) | instskip(SKIP_1) | instid1(VALU_DEP_3)
	v_lshlrev_b32_e32 v8, 20, v8
	v_lshl_add_u32 v20, v20, 23, 0x3c000000
	v_and_b32_e32 v21, 0x80000000, v21
	s_delay_alu instid0(VALU_DEP_1)
	v_or3_b32 v21, v8, v21, v20
	v_mov_b32_e32 v20, v9
.LBB253_1769:                           ;   in Loop: Header=BB253_1059 Depth=1
	s_or_b32 exec_lo, exec_lo, s10
.LBB253_1770:                           ;   in Loop: Header=BB253_1059 Depth=1
	s_delay_alu instid0(SALU_CYCLE_1)
	s_or_b32 exec_lo, exec_lo, s13
.LBB253_1771:                           ;   in Loop: Header=BB253_1059 Depth=1
	s_delay_alu instid0(SALU_CYCLE_1) | instskip(SKIP_4) | instid1(VALU_DEP_3)
	s_or_b32 exec_lo, exec_lo, s12
	v_or_b32_e32 v5, v17, v5
	v_or_b32_e32 v4, v16, v4
	;; [unrolled: 1-line block ×4, first 2 shown]
	v_dual_mul_f32 v120, v96, v5 :: v_dual_mul_f32 v111, v82, v4
	s_delay_alu instid0(VALU_DEP_3) | instskip(NEXT) | instid1(VALU_DEP_3)
	v_mul_f32_e32 v109, v96, v8
	v_mul_f32_e32 v110, v82, v16
	s_and_saveexec_b32 s10, vcc_lo
; %bb.1772:                             ;   in Loop: Header=BB253_1059 Depth=1
	v_cmp_lt_i32_e64 s0, v102, v98
	s_delay_alu instid0(VALU_DEP_1) | instskip(SKIP_1) | instid1(VALU_DEP_1)
	v_cndmask_b32_e64 v111, 0, v111, s0
	v_cmp_lt_i32_e64 s0, v112, v98
	v_cndmask_b32_e64 v120, 0, v120, s0
	v_cmp_lt_i32_e64 s0, v103, v98
	s_delay_alu instid0(VALU_DEP_1) | instskip(SKIP_1) | instid1(VALU_DEP_1)
	v_cndmask_b32_e64 v110, 0, v110, s0
	v_cmp_lt_i32_e64 s0, v86, v98
	v_cndmask_b32_e64 v109, 0, v109, s0
; %bb.1773:                             ;   in Loop: Header=BB253_1059 Depth=1
	s_or_b32 exec_lo, exec_lo, s10
	flat_load_b32 v121, v[14:15] offset:2688
	v_mov_b32_e32 v16, 0
	v_mov_b32_e32 v17, 0
	s_mov_b32 s10, exec_lo
	s_waitcnt vmcnt(0) lgkmcnt(0)
	v_and_b32_e32 v8, 0xff, v121
	s_delay_alu instid0(VALU_DEP_2) | instskip(NEXT) | instid1(VALU_DEP_2)
	v_dual_mov_b32 v4, v16 :: v_dual_mov_b32 v5, v17
	v_cmpx_ne_u16_e32 0, v8
	s_cbranch_execz .LBB253_1781
; %bb.1774:                             ;   in Loop: Header=BB253_1059 Depth=1
	v_bfrev_b32_e32 v4, 1
	v_mov_b32_e32 v5, 0
	s_mov_b32 s12, exec_lo
	v_cmpx_ne_u16_e32 0x80, v8
	s_cbranch_execz .LBB253_1780
; %bb.1775:                             ;   in Loop: Header=BB253_1059 Depth=1
	v_mov_b32_e32 v4, 0x7f800001
	v_dual_mov_b32 v5, 0 :: v_dual_and_b32 v18, 0x7f, v121
	s_mov_b32 s13, exec_lo
	s_delay_alu instid0(VALU_DEP_1)
	v_cmpx_ne_u32_e32 0x7f, v18
	s_cbranch_execz .LBB253_1779
; %bb.1776:                             ;   in Loop: Header=BB253_1059 Depth=1
	v_and_b32_e32 v8, 7, v121
	v_lshrrev_b32_e32 v4, 3, v18
	s_mov_b32 s15, exec_lo
	v_cmpx_gt_u32_e32 8, v18
; %bb.1777:                             ;   in Loop: Header=BB253_1059 Depth=1
	s_delay_alu instid0(VALU_DEP_3) | instskip(NEXT) | instid1(VALU_DEP_1)
	v_clz_i32_u32_e32 v4, v8
	v_min_u32_e32 v4, 32, v4
	s_delay_alu instid0(VALU_DEP_1) | instskip(SKIP_1) | instid1(VALU_DEP_2)
	v_subrev_nc_u32_e32 v5, 28, v4
	v_sub_nc_u32_e32 v4, 29, v4
	v_lshlrev_b64 v[18:19], v5, v[8:9]
	s_delay_alu instid0(VALU_DEP_1)
	v_and_b32_e32 v8, 7, v18
; %bb.1778:                             ;   in Loop: Header=BB253_1059 Depth=1
	s_or_b32 exec_lo, exec_lo, s15
	v_lshlrev_b32_e32 v5, 24, v121
	s_delay_alu instid0(VALU_DEP_2) | instskip(SKIP_1) | instid1(VALU_DEP_3)
	v_lshlrev_b32_e32 v8, 20, v8
	v_lshl_add_u32 v4, v4, 23, 0x3c000000
	v_and_b32_e32 v5, 0x80000000, v5
	s_delay_alu instid0(VALU_DEP_1) | instskip(NEXT) | instid1(VALU_DEP_1)
	v_or3_b32 v8, v8, v5, v4
	v_dual_mov_b32 v4, v8 :: v_dual_mov_b32 v5, v9
.LBB253_1779:                           ;   in Loop: Header=BB253_1059 Depth=1
	s_or_b32 exec_lo, exec_lo, s13
.LBB253_1780:                           ;   in Loop: Header=BB253_1059 Depth=1
	s_delay_alu instid0(SALU_CYCLE_1)
	s_or_b32 exec_lo, exec_lo, s12
.LBB253_1781:                           ;   in Loop: Header=BB253_1059 Depth=1
	s_delay_alu instid0(SALU_CYCLE_1) | instskip(SKIP_2) | instid1(VALU_DEP_1)
	s_or_b32 exec_lo, exec_lo, s10
	v_lshrrev_b16 v8, 8, v121
	s_mov_b32 s12, exec_lo
	v_cmpx_ne_u16_e32 0, v8
	s_cbranch_execz .LBB253_1789
; %bb.1782:                             ;   in Loop: Header=BB253_1059 Depth=1
	v_dual_mov_b32 v17, s9 :: v_dual_mov_b32 v16, s8
	s_mov_b32 s13, exec_lo
	v_cmpx_ne_u16_e32 0x80, v8
	s_cbranch_execz .LBB253_1788
; %bb.1783:                             ;   in Loop: Header=BB253_1059 Depth=1
	s_mov_b32 s10, s8
	v_dual_mov_b32 v17, s11 :: v_dual_and_b32 v8, 0xffff, v8
	v_mov_b32_e32 v16, s10
	s_mov_b32 s10, exec_lo
	s_delay_alu instid0(VALU_DEP_2) | instskip(NEXT) | instid1(VALU_DEP_1)
	v_and_b32_e32 v18, 0x7f, v8
	v_cmpx_ne_u32_e32 0x7f, v18
	s_cbranch_execz .LBB253_1787
; %bb.1784:                             ;   in Loop: Header=BB253_1059 Depth=1
	v_and_b32_e32 v8, 7, v8
	v_lshrrev_b32_e32 v16, 3, v18
	s_mov_b32 s15, exec_lo
	v_cmpx_gt_u32_e32 8, v18
; %bb.1785:                             ;   in Loop: Header=BB253_1059 Depth=1
	s_delay_alu instid0(VALU_DEP_3) | instskip(NEXT) | instid1(VALU_DEP_1)
	v_clz_i32_u32_e32 v16, v8
	v_min_u32_e32 v16, 32, v16
	s_delay_alu instid0(VALU_DEP_1) | instskip(SKIP_1) | instid1(VALU_DEP_2)
	v_subrev_nc_u32_e32 v17, 28, v16
	v_sub_nc_u32_e32 v16, 29, v16
	v_lshlrev_b64 v[17:18], v17, v[8:9]
	s_delay_alu instid0(VALU_DEP_1)
	v_and_b32_e32 v8, 7, v17
; %bb.1786:                             ;   in Loop: Header=BB253_1059 Depth=1
	s_or_b32 exec_lo, exec_lo, s15
	v_lshlrev_b32_e32 v17, 16, v121
	s_delay_alu instid0(VALU_DEP_2) | instskip(SKIP_1) | instid1(VALU_DEP_3)
	v_lshlrev_b32_e32 v8, 20, v8
	v_lshl_add_u32 v16, v16, 23, 0x3c000000
	v_and_b32_e32 v17, 0x80000000, v17
	s_delay_alu instid0(VALU_DEP_1)
	v_or3_b32 v17, v8, v17, v16
	v_mov_b32_e32 v16, v9
.LBB253_1787:                           ;   in Loop: Header=BB253_1059 Depth=1
	s_or_b32 exec_lo, exec_lo, s10
.LBB253_1788:                           ;   in Loop: Header=BB253_1059 Depth=1
	s_delay_alu instid0(SALU_CYCLE_1)
	s_or_b32 exec_lo, exec_lo, s13
.LBB253_1789:                           ;   in Loop: Header=BB253_1059 Depth=1
	s_delay_alu instid0(SALU_CYCLE_1) | instskip(SKIP_4) | instid1(VALU_DEP_2)
	s_or_b32 exec_lo, exec_lo, s12
	v_mov_b32_e32 v20, 0
	v_lshrrev_b32_e32 v122, 16, v121
	v_mov_b32_e32 v21, 0
	s_mov_b32 s10, exec_lo
	v_and_b32_e32 v8, 0xff, v122
	s_delay_alu instid0(VALU_DEP_2) | instskip(NEXT) | instid1(VALU_DEP_2)
	v_dual_mov_b32 v18, v20 :: v_dual_mov_b32 v19, v21
	v_cmpx_ne_u16_e32 0, v8
	s_cbranch_execz .LBB253_1797
; %bb.1790:                             ;   in Loop: Header=BB253_1059 Depth=1
	v_bfrev_b32_e32 v18, 1
	v_mov_b32_e32 v19, 0
	s_mov_b32 s12, exec_lo
	v_cmpx_ne_u16_e32 0x80, v8
	s_cbranch_execz .LBB253_1796
; %bb.1791:                             ;   in Loop: Header=BB253_1059 Depth=1
	v_mov_b32_e32 v18, 0x7f800001
	v_bfe_u32 v123, v121, 16, 7
	v_mov_b32_e32 v19, 0
	s_mov_b32 s13, exec_lo
	s_delay_alu instid0(VALU_DEP_2)
	v_cmpx_ne_u32_e32 0x7f, v123
	s_cbranch_execz .LBB253_1795
; %bb.1792:                             ;   in Loop: Header=BB253_1059 Depth=1
	v_and_b32_e32 v8, 7, v122
	v_lshrrev_b32_e32 v18, 3, v123
	s_mov_b32 s15, exec_lo
	v_cmpx_gt_u32_e32 8, v123
; %bb.1793:                             ;   in Loop: Header=BB253_1059 Depth=1
	s_delay_alu instid0(VALU_DEP_3) | instskip(NEXT) | instid1(VALU_DEP_1)
	v_clz_i32_u32_e32 v18, v8
	v_min_u32_e32 v18, 32, v18
	s_delay_alu instid0(VALU_DEP_1) | instskip(SKIP_1) | instid1(VALU_DEP_2)
	v_subrev_nc_u32_e32 v19, 28, v18
	v_sub_nc_u32_e32 v18, 29, v18
	v_lshlrev_b64 v[123:124], v19, v[8:9]
	s_delay_alu instid0(VALU_DEP_1)
	v_and_b32_e32 v8, 7, v123
; %bb.1794:                             ;   in Loop: Header=BB253_1059 Depth=1
	s_or_b32 exec_lo, exec_lo, s15
	v_lshlrev_b32_e32 v19, 24, v122
	s_delay_alu instid0(VALU_DEP_2) | instskip(SKIP_1) | instid1(VALU_DEP_3)
	v_lshlrev_b32_e32 v8, 20, v8
	v_lshl_add_u32 v18, v18, 23, 0x3c000000
	v_and_b32_e32 v19, 0x80000000, v19
	s_delay_alu instid0(VALU_DEP_1) | instskip(NEXT) | instid1(VALU_DEP_1)
	v_or3_b32 v8, v8, v19, v18
	v_dual_mov_b32 v19, v9 :: v_dual_mov_b32 v18, v8
.LBB253_1795:                           ;   in Loop: Header=BB253_1059 Depth=1
	s_or_b32 exec_lo, exec_lo, s13
.LBB253_1796:                           ;   in Loop: Header=BB253_1059 Depth=1
	s_delay_alu instid0(SALU_CYCLE_1)
	s_or_b32 exec_lo, exec_lo, s12
.LBB253_1797:                           ;   in Loop: Header=BB253_1059 Depth=1
	s_delay_alu instid0(SALU_CYCLE_1) | instskip(NEXT) | instid1(SALU_CYCLE_1)
	s_or_b32 exec_lo, exec_lo, s10
	s_mov_b32 s12, exec_lo
	v_cmpx_lt_u32_e32 0xffffff, v121
	s_cbranch_execz .LBB253_1805
; %bb.1798:                             ;   in Loop: Header=BB253_1059 Depth=1
	v_lshrrev_b32_e32 v122, 24, v121
	v_dual_mov_b32 v21, s9 :: v_dual_mov_b32 v20, s8
	s_mov_b32 s13, exec_lo
	s_delay_alu instid0(VALU_DEP_2)
	v_cmpx_ne_u32_e32 0x80, v122
	s_cbranch_execz .LBB253_1804
; %bb.1799:                             ;   in Loop: Header=BB253_1059 Depth=1
	s_mov_b32 s10, s8
	v_bfe_u32 v121, v121, 24, 7
	v_dual_mov_b32 v21, s11 :: v_dual_mov_b32 v20, s10
	s_mov_b32 s10, exec_lo
	s_delay_alu instid0(VALU_DEP_2)
	v_cmpx_ne_u32_e32 0x7f, v121
	s_cbranch_execz .LBB253_1803
; %bb.1800:                             ;   in Loop: Header=BB253_1059 Depth=1
	v_and_b32_e32 v8, 7, v122
	v_lshrrev_b32_e32 v20, 3, v121
	s_mov_b32 s15, exec_lo
	v_cmpx_gt_u32_e32 8, v121
; %bb.1801:                             ;   in Loop: Header=BB253_1059 Depth=1
	s_delay_alu instid0(VALU_DEP_3) | instskip(NEXT) | instid1(VALU_DEP_1)
	v_clz_i32_u32_e32 v20, v8
	v_min_u32_e32 v20, 32, v20
	s_delay_alu instid0(VALU_DEP_1) | instskip(SKIP_1) | instid1(VALU_DEP_2)
	v_subrev_nc_u32_e32 v21, 28, v20
	v_sub_nc_u32_e32 v20, 29, v20
	v_lshlrev_b64 v[123:124], v21, v[8:9]
	s_delay_alu instid0(VALU_DEP_1)
	v_and_b32_e32 v8, 7, v123
; %bb.1802:                             ;   in Loop: Header=BB253_1059 Depth=1
	s_or_b32 exec_lo, exec_lo, s15
	v_lshlrev_b32_e32 v21, 24, v122
	s_delay_alu instid0(VALU_DEP_2) | instskip(SKIP_1) | instid1(VALU_DEP_3)
	v_lshlrev_b32_e32 v8, 20, v8
	v_lshl_add_u32 v20, v20, 23, 0x3c000000
	v_and_b32_e32 v21, 0x80000000, v21
	s_delay_alu instid0(VALU_DEP_1)
	v_or3_b32 v21, v8, v21, v20
	v_mov_b32_e32 v20, v9
.LBB253_1803:                           ;   in Loop: Header=BB253_1059 Depth=1
	s_or_b32 exec_lo, exec_lo, s10
.LBB253_1804:                           ;   in Loop: Header=BB253_1059 Depth=1
	s_delay_alu instid0(SALU_CYCLE_1)
	s_or_b32 exec_lo, exec_lo, s13
.LBB253_1805:                           ;   in Loop: Header=BB253_1059 Depth=1
	s_delay_alu instid0(SALU_CYCLE_1) | instskip(SKIP_4) | instid1(VALU_DEP_3)
	s_or_b32 exec_lo, exec_lo, s12
	v_or_b32_e32 v5, v17, v5
	v_or_b32_e32 v4, v16, v4
	;; [unrolled: 1-line block ×4, first 2 shown]
	v_dual_mul_f32 v124, v96, v5 :: v_dual_mul_f32 v123, v82, v4
	s_delay_alu instid0(VALU_DEP_3) | instskip(NEXT) | instid1(VALU_DEP_3)
	v_mul_f32_e32 v121, v96, v8
	v_mul_f32_e32 v122, v82, v16
	s_and_saveexec_b32 s10, vcc_lo
; %bb.1806:                             ;   in Loop: Header=BB253_1059 Depth=1
	v_cmp_lt_i32_e64 s0, v102, v98
	s_delay_alu instid0(VALU_DEP_1) | instskip(SKIP_1) | instid1(VALU_DEP_1)
	v_cndmask_b32_e64 v123, 0, v123, s0
	v_cmp_lt_i32_e64 s0, v112, v98
	v_cndmask_b32_e64 v124, 0, v124, s0
	v_cmp_lt_i32_e64 s0, v103, v98
	s_delay_alu instid0(VALU_DEP_1) | instskip(SKIP_1) | instid1(VALU_DEP_1)
	v_cndmask_b32_e64 v122, 0, v122, s0
	v_cmp_lt_i32_e64 s0, v86, v98
	v_cndmask_b32_e64 v121, 0, v121, s0
; %bb.1807:                             ;   in Loop: Header=BB253_1059 Depth=1
	s_or_b32 exec_lo, exec_lo, s10
	flat_load_b32 v125, v[14:15] offset:2816
	v_mov_b32_e32 v16, 0
	v_mov_b32_e32 v17, 0
	s_mov_b32 s10, exec_lo
	s_waitcnt vmcnt(0) lgkmcnt(0)
	v_and_b32_e32 v8, 0xff, v125
	s_delay_alu instid0(VALU_DEP_2) | instskip(NEXT) | instid1(VALU_DEP_2)
	v_dual_mov_b32 v4, v16 :: v_dual_mov_b32 v5, v17
	v_cmpx_ne_u16_e32 0, v8
	s_cbranch_execz .LBB253_1815
; %bb.1808:                             ;   in Loop: Header=BB253_1059 Depth=1
	v_bfrev_b32_e32 v4, 1
	v_mov_b32_e32 v5, 0
	s_mov_b32 s12, exec_lo
	v_cmpx_ne_u16_e32 0x80, v8
	s_cbranch_execz .LBB253_1814
; %bb.1809:                             ;   in Loop: Header=BB253_1059 Depth=1
	v_mov_b32_e32 v4, 0x7f800001
	v_dual_mov_b32 v5, 0 :: v_dual_and_b32 v18, 0x7f, v125
	s_mov_b32 s13, exec_lo
	s_delay_alu instid0(VALU_DEP_1)
	v_cmpx_ne_u32_e32 0x7f, v18
	s_cbranch_execz .LBB253_1813
; %bb.1810:                             ;   in Loop: Header=BB253_1059 Depth=1
	v_and_b32_e32 v8, 7, v125
	v_lshrrev_b32_e32 v4, 3, v18
	s_mov_b32 s15, exec_lo
	v_cmpx_gt_u32_e32 8, v18
; %bb.1811:                             ;   in Loop: Header=BB253_1059 Depth=1
	s_delay_alu instid0(VALU_DEP_3) | instskip(NEXT) | instid1(VALU_DEP_1)
	v_clz_i32_u32_e32 v4, v8
	v_min_u32_e32 v4, 32, v4
	s_delay_alu instid0(VALU_DEP_1) | instskip(SKIP_1) | instid1(VALU_DEP_2)
	v_subrev_nc_u32_e32 v5, 28, v4
	v_sub_nc_u32_e32 v4, 29, v4
	v_lshlrev_b64 v[18:19], v5, v[8:9]
	s_delay_alu instid0(VALU_DEP_1)
	v_and_b32_e32 v8, 7, v18
; %bb.1812:                             ;   in Loop: Header=BB253_1059 Depth=1
	s_or_b32 exec_lo, exec_lo, s15
	v_lshlrev_b32_e32 v5, 24, v125
	s_delay_alu instid0(VALU_DEP_2) | instskip(SKIP_1) | instid1(VALU_DEP_3)
	v_lshlrev_b32_e32 v8, 20, v8
	v_lshl_add_u32 v4, v4, 23, 0x3c000000
	v_and_b32_e32 v5, 0x80000000, v5
	s_delay_alu instid0(VALU_DEP_1) | instskip(NEXT) | instid1(VALU_DEP_1)
	v_or3_b32 v8, v8, v5, v4
	v_dual_mov_b32 v4, v8 :: v_dual_mov_b32 v5, v9
.LBB253_1813:                           ;   in Loop: Header=BB253_1059 Depth=1
	s_or_b32 exec_lo, exec_lo, s13
.LBB253_1814:                           ;   in Loop: Header=BB253_1059 Depth=1
	s_delay_alu instid0(SALU_CYCLE_1)
	s_or_b32 exec_lo, exec_lo, s12
.LBB253_1815:                           ;   in Loop: Header=BB253_1059 Depth=1
	s_delay_alu instid0(SALU_CYCLE_1) | instskip(SKIP_2) | instid1(VALU_DEP_1)
	s_or_b32 exec_lo, exec_lo, s10
	v_lshrrev_b16 v8, 8, v125
	s_mov_b32 s12, exec_lo
	v_cmpx_ne_u16_e32 0, v8
	s_cbranch_execz .LBB253_1823
; %bb.1816:                             ;   in Loop: Header=BB253_1059 Depth=1
	v_dual_mov_b32 v17, s9 :: v_dual_mov_b32 v16, s8
	s_mov_b32 s13, exec_lo
	v_cmpx_ne_u16_e32 0x80, v8
	s_cbranch_execz .LBB253_1822
; %bb.1817:                             ;   in Loop: Header=BB253_1059 Depth=1
	s_mov_b32 s10, s8
	v_dual_mov_b32 v17, s11 :: v_dual_and_b32 v8, 0xffff, v8
	v_mov_b32_e32 v16, s10
	s_mov_b32 s10, exec_lo
	s_delay_alu instid0(VALU_DEP_2) | instskip(NEXT) | instid1(VALU_DEP_1)
	v_and_b32_e32 v18, 0x7f, v8
	v_cmpx_ne_u32_e32 0x7f, v18
	s_cbranch_execz .LBB253_1821
; %bb.1818:                             ;   in Loop: Header=BB253_1059 Depth=1
	v_and_b32_e32 v8, 7, v8
	v_lshrrev_b32_e32 v16, 3, v18
	s_mov_b32 s15, exec_lo
	v_cmpx_gt_u32_e32 8, v18
; %bb.1819:                             ;   in Loop: Header=BB253_1059 Depth=1
	s_delay_alu instid0(VALU_DEP_3) | instskip(NEXT) | instid1(VALU_DEP_1)
	v_clz_i32_u32_e32 v16, v8
	v_min_u32_e32 v16, 32, v16
	s_delay_alu instid0(VALU_DEP_1) | instskip(SKIP_1) | instid1(VALU_DEP_2)
	v_subrev_nc_u32_e32 v17, 28, v16
	v_sub_nc_u32_e32 v16, 29, v16
	v_lshlrev_b64 v[17:18], v17, v[8:9]
	s_delay_alu instid0(VALU_DEP_1)
	v_and_b32_e32 v8, 7, v17
; %bb.1820:                             ;   in Loop: Header=BB253_1059 Depth=1
	s_or_b32 exec_lo, exec_lo, s15
	v_lshlrev_b32_e32 v17, 16, v125
	s_delay_alu instid0(VALU_DEP_2) | instskip(SKIP_1) | instid1(VALU_DEP_3)
	v_lshlrev_b32_e32 v8, 20, v8
	v_lshl_add_u32 v16, v16, 23, 0x3c000000
	v_and_b32_e32 v17, 0x80000000, v17
	s_delay_alu instid0(VALU_DEP_1)
	v_or3_b32 v17, v8, v17, v16
	v_mov_b32_e32 v16, v9
.LBB253_1821:                           ;   in Loop: Header=BB253_1059 Depth=1
	s_or_b32 exec_lo, exec_lo, s10
.LBB253_1822:                           ;   in Loop: Header=BB253_1059 Depth=1
	s_delay_alu instid0(SALU_CYCLE_1)
	s_or_b32 exec_lo, exec_lo, s13
.LBB253_1823:                           ;   in Loop: Header=BB253_1059 Depth=1
	s_delay_alu instid0(SALU_CYCLE_1) | instskip(SKIP_4) | instid1(VALU_DEP_2)
	s_or_b32 exec_lo, exec_lo, s12
	v_mov_b32_e32 v20, 0
	v_lshrrev_b32_e32 v126, 16, v125
	v_mov_b32_e32 v21, 0
	s_mov_b32 s10, exec_lo
	v_and_b32_e32 v8, 0xff, v126
	s_delay_alu instid0(VALU_DEP_2) | instskip(NEXT) | instid1(VALU_DEP_2)
	v_dual_mov_b32 v18, v20 :: v_dual_mov_b32 v19, v21
	v_cmpx_ne_u16_e32 0, v8
	s_cbranch_execz .LBB253_1831
; %bb.1824:                             ;   in Loop: Header=BB253_1059 Depth=1
	v_bfrev_b32_e32 v18, 1
	v_mov_b32_e32 v19, 0
	s_mov_b32 s12, exec_lo
	v_cmpx_ne_u16_e32 0x80, v8
	s_cbranch_execz .LBB253_1830
; %bb.1825:                             ;   in Loop: Header=BB253_1059 Depth=1
	v_mov_b32_e32 v18, 0x7f800001
	v_bfe_u32 v127, v125, 16, 7
	v_mov_b32_e32 v19, 0
	s_mov_b32 s13, exec_lo
	s_delay_alu instid0(VALU_DEP_2)
	v_cmpx_ne_u32_e32 0x7f, v127
	s_cbranch_execz .LBB253_1829
; %bb.1826:                             ;   in Loop: Header=BB253_1059 Depth=1
	v_and_b32_e32 v8, 7, v126
	v_lshrrev_b32_e32 v18, 3, v127
	s_mov_b32 s15, exec_lo
	v_cmpx_gt_u32_e32 8, v127
; %bb.1827:                             ;   in Loop: Header=BB253_1059 Depth=1
	s_delay_alu instid0(VALU_DEP_3) | instskip(NEXT) | instid1(VALU_DEP_1)
	v_clz_i32_u32_e32 v18, v8
	v_min_u32_e32 v18, 32, v18
	s_delay_alu instid0(VALU_DEP_1) | instskip(SKIP_1) | instid1(VALU_DEP_2)
	v_subrev_nc_u32_e32 v19, 28, v18
	v_sub_nc_u32_e32 v18, 29, v18
	v_lshlrev_b64 v[136:137], v19, v[8:9]
	s_delay_alu instid0(VALU_DEP_1)
	v_and_b32_e32 v8, 7, v136
; %bb.1828:                             ;   in Loop: Header=BB253_1059 Depth=1
	s_or_b32 exec_lo, exec_lo, s15
	v_lshlrev_b32_e32 v19, 24, v126
	s_delay_alu instid0(VALU_DEP_2) | instskip(SKIP_1) | instid1(VALU_DEP_3)
	v_lshlrev_b32_e32 v8, 20, v8
	v_lshl_add_u32 v18, v18, 23, 0x3c000000
	v_and_b32_e32 v19, 0x80000000, v19
	s_delay_alu instid0(VALU_DEP_1) | instskip(NEXT) | instid1(VALU_DEP_1)
	v_or3_b32 v8, v8, v19, v18
	v_dual_mov_b32 v19, v9 :: v_dual_mov_b32 v18, v8
.LBB253_1829:                           ;   in Loop: Header=BB253_1059 Depth=1
	s_or_b32 exec_lo, exec_lo, s13
.LBB253_1830:                           ;   in Loop: Header=BB253_1059 Depth=1
	s_delay_alu instid0(SALU_CYCLE_1)
	s_or_b32 exec_lo, exec_lo, s12
.LBB253_1831:                           ;   in Loop: Header=BB253_1059 Depth=1
	s_delay_alu instid0(SALU_CYCLE_1) | instskip(NEXT) | instid1(SALU_CYCLE_1)
	s_or_b32 exec_lo, exec_lo, s10
	s_mov_b32 s12, exec_lo
	v_cmpx_lt_u32_e32 0xffffff, v125
	s_cbranch_execz .LBB253_1839
; %bb.1832:                             ;   in Loop: Header=BB253_1059 Depth=1
	v_lshrrev_b32_e32 v126, 24, v125
	v_dual_mov_b32 v21, s9 :: v_dual_mov_b32 v20, s8
	s_mov_b32 s13, exec_lo
	s_delay_alu instid0(VALU_DEP_2)
	v_cmpx_ne_u32_e32 0x80, v126
	s_cbranch_execz .LBB253_1838
; %bb.1833:                             ;   in Loop: Header=BB253_1059 Depth=1
	s_mov_b32 s10, s8
	v_bfe_u32 v125, v125, 24, 7
	v_dual_mov_b32 v21, s11 :: v_dual_mov_b32 v20, s10
	s_mov_b32 s10, exec_lo
	s_delay_alu instid0(VALU_DEP_2)
	v_cmpx_ne_u32_e32 0x7f, v125
	s_cbranch_execz .LBB253_1837
; %bb.1834:                             ;   in Loop: Header=BB253_1059 Depth=1
	v_and_b32_e32 v8, 7, v126
	v_lshrrev_b32_e32 v20, 3, v125
	s_mov_b32 s15, exec_lo
	v_cmpx_gt_u32_e32 8, v125
; %bb.1835:                             ;   in Loop: Header=BB253_1059 Depth=1
	s_delay_alu instid0(VALU_DEP_3) | instskip(NEXT) | instid1(VALU_DEP_1)
	v_clz_i32_u32_e32 v20, v8
	v_min_u32_e32 v20, 32, v20
	s_delay_alu instid0(VALU_DEP_1) | instskip(SKIP_1) | instid1(VALU_DEP_2)
	v_subrev_nc_u32_e32 v21, 28, v20
	v_sub_nc_u32_e32 v20, 29, v20
	v_lshlrev_b64 v[136:137], v21, v[8:9]
	s_delay_alu instid0(VALU_DEP_1)
	v_and_b32_e32 v8, 7, v136
; %bb.1836:                             ;   in Loop: Header=BB253_1059 Depth=1
	s_or_b32 exec_lo, exec_lo, s15
	v_lshlrev_b32_e32 v21, 24, v126
	s_delay_alu instid0(VALU_DEP_2) | instskip(SKIP_1) | instid1(VALU_DEP_3)
	v_lshlrev_b32_e32 v8, 20, v8
	v_lshl_add_u32 v20, v20, 23, 0x3c000000
	v_and_b32_e32 v21, 0x80000000, v21
	s_delay_alu instid0(VALU_DEP_1)
	v_or3_b32 v21, v8, v21, v20
	v_mov_b32_e32 v20, v9
.LBB253_1837:                           ;   in Loop: Header=BB253_1059 Depth=1
	s_or_b32 exec_lo, exec_lo, s10
.LBB253_1838:                           ;   in Loop: Header=BB253_1059 Depth=1
	s_delay_alu instid0(SALU_CYCLE_1)
	s_or_b32 exec_lo, exec_lo, s13
.LBB253_1839:                           ;   in Loop: Header=BB253_1059 Depth=1
	s_delay_alu instid0(SALU_CYCLE_1) | instskip(SKIP_4) | instid1(VALU_DEP_3)
	s_or_b32 exec_lo, exec_lo, s12
	v_or_b32_e32 v5, v17, v5
	v_or_b32_e32 v4, v16, v4
	;; [unrolled: 1-line block ×4, first 2 shown]
	v_dual_mul_f32 v136, v96, v5 :: v_dual_mul_f32 v127, v82, v4
	s_delay_alu instid0(VALU_DEP_3) | instskip(NEXT) | instid1(VALU_DEP_3)
	v_mul_f32_e32 v125, v96, v8
	v_mul_f32_e32 v126, v82, v16
	s_and_saveexec_b32 s10, vcc_lo
; %bb.1840:                             ;   in Loop: Header=BB253_1059 Depth=1
	v_cmp_lt_i32_e64 s0, v102, v98
	s_delay_alu instid0(VALU_DEP_1) | instskip(SKIP_1) | instid1(VALU_DEP_1)
	v_cndmask_b32_e64 v127, 0, v127, s0
	v_cmp_lt_i32_e64 s0, v112, v98
	v_cndmask_b32_e64 v136, 0, v136, s0
	v_cmp_lt_i32_e64 s0, v103, v98
	s_delay_alu instid0(VALU_DEP_1) | instskip(SKIP_1) | instid1(VALU_DEP_1)
	v_cndmask_b32_e64 v126, 0, v126, s0
	v_cmp_lt_i32_e64 s0, v86, v98
	v_cndmask_b32_e64 v125, 0, v125, s0
; %bb.1841:                             ;   in Loop: Header=BB253_1059 Depth=1
	s_or_b32 exec_lo, exec_lo, s10
	flat_load_b32 v137, v[14:15] offset:2944
	v_mov_b32_e32 v16, 0
	v_mov_b32_e32 v17, 0
	s_mov_b32 s10, exec_lo
	s_waitcnt vmcnt(0) lgkmcnt(0)
	v_and_b32_e32 v8, 0xff, v137
	s_delay_alu instid0(VALU_DEP_2) | instskip(NEXT) | instid1(VALU_DEP_2)
	v_dual_mov_b32 v4, v16 :: v_dual_mov_b32 v5, v17
	v_cmpx_ne_u16_e32 0, v8
	s_cbranch_execz .LBB253_1849
; %bb.1842:                             ;   in Loop: Header=BB253_1059 Depth=1
	v_bfrev_b32_e32 v4, 1
	v_mov_b32_e32 v5, 0
	s_mov_b32 s12, exec_lo
	v_cmpx_ne_u16_e32 0x80, v8
	s_cbranch_execz .LBB253_1848
; %bb.1843:                             ;   in Loop: Header=BB253_1059 Depth=1
	v_mov_b32_e32 v4, 0x7f800001
	v_dual_mov_b32 v5, 0 :: v_dual_and_b32 v18, 0x7f, v137
	s_mov_b32 s13, exec_lo
	s_delay_alu instid0(VALU_DEP_1)
	v_cmpx_ne_u32_e32 0x7f, v18
	s_cbranch_execz .LBB253_1847
; %bb.1844:                             ;   in Loop: Header=BB253_1059 Depth=1
	v_and_b32_e32 v8, 7, v137
	v_lshrrev_b32_e32 v4, 3, v18
	s_mov_b32 s15, exec_lo
	v_cmpx_gt_u32_e32 8, v18
; %bb.1845:                             ;   in Loop: Header=BB253_1059 Depth=1
	s_delay_alu instid0(VALU_DEP_3) | instskip(NEXT) | instid1(VALU_DEP_1)
	v_clz_i32_u32_e32 v4, v8
	v_min_u32_e32 v4, 32, v4
	s_delay_alu instid0(VALU_DEP_1) | instskip(SKIP_1) | instid1(VALU_DEP_2)
	v_subrev_nc_u32_e32 v5, 28, v4
	v_sub_nc_u32_e32 v4, 29, v4
	v_lshlrev_b64 v[18:19], v5, v[8:9]
	s_delay_alu instid0(VALU_DEP_1)
	v_and_b32_e32 v8, 7, v18
; %bb.1846:                             ;   in Loop: Header=BB253_1059 Depth=1
	s_or_b32 exec_lo, exec_lo, s15
	v_lshlrev_b32_e32 v5, 24, v137
	s_delay_alu instid0(VALU_DEP_2) | instskip(SKIP_1) | instid1(VALU_DEP_3)
	v_lshlrev_b32_e32 v8, 20, v8
	v_lshl_add_u32 v4, v4, 23, 0x3c000000
	v_and_b32_e32 v5, 0x80000000, v5
	s_delay_alu instid0(VALU_DEP_1) | instskip(NEXT) | instid1(VALU_DEP_1)
	v_or3_b32 v8, v8, v5, v4
	v_dual_mov_b32 v4, v8 :: v_dual_mov_b32 v5, v9
.LBB253_1847:                           ;   in Loop: Header=BB253_1059 Depth=1
	s_or_b32 exec_lo, exec_lo, s13
.LBB253_1848:                           ;   in Loop: Header=BB253_1059 Depth=1
	s_delay_alu instid0(SALU_CYCLE_1)
	s_or_b32 exec_lo, exec_lo, s12
.LBB253_1849:                           ;   in Loop: Header=BB253_1059 Depth=1
	s_delay_alu instid0(SALU_CYCLE_1) | instskip(SKIP_2) | instid1(VALU_DEP_1)
	s_or_b32 exec_lo, exec_lo, s10
	v_lshrrev_b16 v8, 8, v137
	s_mov_b32 s12, exec_lo
	v_cmpx_ne_u16_e32 0, v8
	s_cbranch_execz .LBB253_1857
; %bb.1850:                             ;   in Loop: Header=BB253_1059 Depth=1
	v_dual_mov_b32 v17, s9 :: v_dual_mov_b32 v16, s8
	s_mov_b32 s13, exec_lo
	v_cmpx_ne_u16_e32 0x80, v8
	s_cbranch_execz .LBB253_1856
; %bb.1851:                             ;   in Loop: Header=BB253_1059 Depth=1
	s_mov_b32 s10, s8
	v_dual_mov_b32 v17, s11 :: v_dual_and_b32 v8, 0xffff, v8
	v_mov_b32_e32 v16, s10
	s_mov_b32 s10, exec_lo
	s_delay_alu instid0(VALU_DEP_2) | instskip(NEXT) | instid1(VALU_DEP_1)
	v_and_b32_e32 v18, 0x7f, v8
	v_cmpx_ne_u32_e32 0x7f, v18
	s_cbranch_execz .LBB253_1855
; %bb.1852:                             ;   in Loop: Header=BB253_1059 Depth=1
	v_and_b32_e32 v8, 7, v8
	v_lshrrev_b32_e32 v16, 3, v18
	s_mov_b32 s15, exec_lo
	v_cmpx_gt_u32_e32 8, v18
; %bb.1853:                             ;   in Loop: Header=BB253_1059 Depth=1
	s_delay_alu instid0(VALU_DEP_3) | instskip(NEXT) | instid1(VALU_DEP_1)
	v_clz_i32_u32_e32 v16, v8
	v_min_u32_e32 v16, 32, v16
	s_delay_alu instid0(VALU_DEP_1) | instskip(SKIP_1) | instid1(VALU_DEP_2)
	v_subrev_nc_u32_e32 v17, 28, v16
	v_sub_nc_u32_e32 v16, 29, v16
	v_lshlrev_b64 v[17:18], v17, v[8:9]
	s_delay_alu instid0(VALU_DEP_1)
	v_and_b32_e32 v8, 7, v17
; %bb.1854:                             ;   in Loop: Header=BB253_1059 Depth=1
	s_or_b32 exec_lo, exec_lo, s15
	v_lshlrev_b32_e32 v17, 16, v137
	s_delay_alu instid0(VALU_DEP_2) | instskip(SKIP_1) | instid1(VALU_DEP_3)
	v_lshlrev_b32_e32 v8, 20, v8
	v_lshl_add_u32 v16, v16, 23, 0x3c000000
	v_and_b32_e32 v17, 0x80000000, v17
	s_delay_alu instid0(VALU_DEP_1)
	v_or3_b32 v17, v8, v17, v16
	v_mov_b32_e32 v16, v9
.LBB253_1855:                           ;   in Loop: Header=BB253_1059 Depth=1
	s_or_b32 exec_lo, exec_lo, s10
.LBB253_1856:                           ;   in Loop: Header=BB253_1059 Depth=1
	s_delay_alu instid0(SALU_CYCLE_1)
	s_or_b32 exec_lo, exec_lo, s13
.LBB253_1857:                           ;   in Loop: Header=BB253_1059 Depth=1
	s_delay_alu instid0(SALU_CYCLE_1) | instskip(SKIP_4) | instid1(VALU_DEP_2)
	s_or_b32 exec_lo, exec_lo, s12
	v_mov_b32_e32 v20, 0
	v_lshrrev_b32_e32 v138, 16, v137
	v_mov_b32_e32 v21, 0
	s_mov_b32 s10, exec_lo
	v_and_b32_e32 v8, 0xff, v138
	s_delay_alu instid0(VALU_DEP_2) | instskip(NEXT) | instid1(VALU_DEP_2)
	v_dual_mov_b32 v18, v20 :: v_dual_mov_b32 v19, v21
	v_cmpx_ne_u16_e32 0, v8
	s_cbranch_execz .LBB253_1865
; %bb.1858:                             ;   in Loop: Header=BB253_1059 Depth=1
	v_bfrev_b32_e32 v18, 1
	v_mov_b32_e32 v19, 0
	s_mov_b32 s12, exec_lo
	v_cmpx_ne_u16_e32 0x80, v8
	s_cbranch_execz .LBB253_1864
; %bb.1859:                             ;   in Loop: Header=BB253_1059 Depth=1
	v_mov_b32_e32 v18, 0x7f800001
	v_bfe_u32 v139, v137, 16, 7
	v_mov_b32_e32 v19, 0
	s_mov_b32 s13, exec_lo
	s_delay_alu instid0(VALU_DEP_2)
	v_cmpx_ne_u32_e32 0x7f, v139
	s_cbranch_execz .LBB253_1863
; %bb.1860:                             ;   in Loop: Header=BB253_1059 Depth=1
	v_and_b32_e32 v8, 7, v138
	v_lshrrev_b32_e32 v18, 3, v139
	s_mov_b32 s15, exec_lo
	v_cmpx_gt_u32_e32 8, v139
; %bb.1861:                             ;   in Loop: Header=BB253_1059 Depth=1
	s_delay_alu instid0(VALU_DEP_3) | instskip(NEXT) | instid1(VALU_DEP_1)
	v_clz_i32_u32_e32 v18, v8
	v_min_u32_e32 v18, 32, v18
	s_delay_alu instid0(VALU_DEP_1) | instskip(SKIP_1) | instid1(VALU_DEP_2)
	v_subrev_nc_u32_e32 v19, 28, v18
	v_sub_nc_u32_e32 v18, 29, v18
	v_lshlrev_b64 v[139:140], v19, v[8:9]
	s_delay_alu instid0(VALU_DEP_1)
	v_and_b32_e32 v8, 7, v139
; %bb.1862:                             ;   in Loop: Header=BB253_1059 Depth=1
	s_or_b32 exec_lo, exec_lo, s15
	v_lshlrev_b32_e32 v19, 24, v138
	s_delay_alu instid0(VALU_DEP_2) | instskip(SKIP_1) | instid1(VALU_DEP_3)
	v_lshlrev_b32_e32 v8, 20, v8
	v_lshl_add_u32 v18, v18, 23, 0x3c000000
	v_and_b32_e32 v19, 0x80000000, v19
	s_delay_alu instid0(VALU_DEP_1) | instskip(NEXT) | instid1(VALU_DEP_1)
	v_or3_b32 v8, v8, v19, v18
	v_dual_mov_b32 v19, v9 :: v_dual_mov_b32 v18, v8
.LBB253_1863:                           ;   in Loop: Header=BB253_1059 Depth=1
	s_or_b32 exec_lo, exec_lo, s13
.LBB253_1864:                           ;   in Loop: Header=BB253_1059 Depth=1
	s_delay_alu instid0(SALU_CYCLE_1)
	s_or_b32 exec_lo, exec_lo, s12
.LBB253_1865:                           ;   in Loop: Header=BB253_1059 Depth=1
	s_delay_alu instid0(SALU_CYCLE_1) | instskip(NEXT) | instid1(SALU_CYCLE_1)
	s_or_b32 exec_lo, exec_lo, s10
	s_mov_b32 s12, exec_lo
	v_cmpx_lt_u32_e32 0xffffff, v137
	s_cbranch_execz .LBB253_1873
; %bb.1866:                             ;   in Loop: Header=BB253_1059 Depth=1
	v_lshrrev_b32_e32 v138, 24, v137
	v_dual_mov_b32 v21, s9 :: v_dual_mov_b32 v20, s8
	s_mov_b32 s13, exec_lo
	s_delay_alu instid0(VALU_DEP_2)
	v_cmpx_ne_u32_e32 0x80, v138
	s_cbranch_execz .LBB253_1872
; %bb.1867:                             ;   in Loop: Header=BB253_1059 Depth=1
	s_mov_b32 s10, s8
	v_bfe_u32 v137, v137, 24, 7
	v_dual_mov_b32 v21, s11 :: v_dual_mov_b32 v20, s10
	s_mov_b32 s10, exec_lo
	s_delay_alu instid0(VALU_DEP_2)
	v_cmpx_ne_u32_e32 0x7f, v137
	s_cbranch_execz .LBB253_1871
; %bb.1868:                             ;   in Loop: Header=BB253_1059 Depth=1
	v_and_b32_e32 v8, 7, v138
	v_lshrrev_b32_e32 v20, 3, v137
	s_mov_b32 s15, exec_lo
	v_cmpx_gt_u32_e32 8, v137
; %bb.1869:                             ;   in Loop: Header=BB253_1059 Depth=1
	s_delay_alu instid0(VALU_DEP_3) | instskip(NEXT) | instid1(VALU_DEP_1)
	v_clz_i32_u32_e32 v20, v8
	v_min_u32_e32 v20, 32, v20
	s_delay_alu instid0(VALU_DEP_1) | instskip(SKIP_1) | instid1(VALU_DEP_2)
	v_subrev_nc_u32_e32 v21, 28, v20
	v_sub_nc_u32_e32 v20, 29, v20
	v_lshlrev_b64 v[139:140], v21, v[8:9]
	s_delay_alu instid0(VALU_DEP_1)
	v_and_b32_e32 v8, 7, v139
; %bb.1870:                             ;   in Loop: Header=BB253_1059 Depth=1
	s_or_b32 exec_lo, exec_lo, s15
	v_lshlrev_b32_e32 v21, 24, v138
	s_delay_alu instid0(VALU_DEP_2) | instskip(SKIP_1) | instid1(VALU_DEP_3)
	v_lshlrev_b32_e32 v8, 20, v8
	v_lshl_add_u32 v20, v20, 23, 0x3c000000
	v_and_b32_e32 v21, 0x80000000, v21
	s_delay_alu instid0(VALU_DEP_1)
	v_or3_b32 v21, v8, v21, v20
	v_mov_b32_e32 v20, v9
.LBB253_1871:                           ;   in Loop: Header=BB253_1059 Depth=1
	s_or_b32 exec_lo, exec_lo, s10
.LBB253_1872:                           ;   in Loop: Header=BB253_1059 Depth=1
	s_delay_alu instid0(SALU_CYCLE_1)
	s_or_b32 exec_lo, exec_lo, s13
.LBB253_1873:                           ;   in Loop: Header=BB253_1059 Depth=1
	s_delay_alu instid0(SALU_CYCLE_1) | instskip(SKIP_4) | instid1(VALU_DEP_3)
	s_or_b32 exec_lo, exec_lo, s12
	v_or_b32_e32 v5, v17, v5
	v_or_b32_e32 v4, v16, v4
	;; [unrolled: 1-line block ×4, first 2 shown]
	v_dual_mul_f32 v140, v96, v5 :: v_dual_mul_f32 v139, v82, v4
	s_delay_alu instid0(VALU_DEP_3) | instskip(NEXT) | instid1(VALU_DEP_3)
	v_mul_f32_e32 v137, v96, v8
	v_mul_f32_e32 v138, v82, v16
	s_and_saveexec_b32 s10, vcc_lo
; %bb.1874:                             ;   in Loop: Header=BB253_1059 Depth=1
	v_cmp_lt_i32_e64 s0, v102, v98
	s_delay_alu instid0(VALU_DEP_1) | instskip(SKIP_1) | instid1(VALU_DEP_1)
	v_cndmask_b32_e64 v139, 0, v139, s0
	v_cmp_lt_i32_e64 s0, v112, v98
	v_cndmask_b32_e64 v140, 0, v140, s0
	v_cmp_lt_i32_e64 s0, v103, v98
	s_delay_alu instid0(VALU_DEP_1) | instskip(SKIP_1) | instid1(VALU_DEP_1)
	v_cndmask_b32_e64 v138, 0, v138, s0
	v_cmp_lt_i32_e64 s0, v86, v98
	v_cndmask_b32_e64 v137, 0, v137, s0
; %bb.1875:                             ;   in Loop: Header=BB253_1059 Depth=1
	s_or_b32 exec_lo, exec_lo, s10
	flat_load_b32 v141, v[14:15] offset:3072
	v_mov_b32_e32 v16, 0
	v_mov_b32_e32 v17, 0
	s_mov_b32 s10, exec_lo
	s_waitcnt vmcnt(0) lgkmcnt(0)
	v_and_b32_e32 v8, 0xff, v141
	s_delay_alu instid0(VALU_DEP_2) | instskip(NEXT) | instid1(VALU_DEP_2)
	v_dual_mov_b32 v4, v16 :: v_dual_mov_b32 v5, v17
	v_cmpx_ne_u16_e32 0, v8
	s_cbranch_execz .LBB253_1883
; %bb.1876:                             ;   in Loop: Header=BB253_1059 Depth=1
	v_bfrev_b32_e32 v4, 1
	v_mov_b32_e32 v5, 0
	s_mov_b32 s12, exec_lo
	v_cmpx_ne_u16_e32 0x80, v8
	s_cbranch_execz .LBB253_1882
; %bb.1877:                             ;   in Loop: Header=BB253_1059 Depth=1
	v_mov_b32_e32 v4, 0x7f800001
	v_dual_mov_b32 v5, 0 :: v_dual_and_b32 v18, 0x7f, v141
	s_mov_b32 s13, exec_lo
	s_delay_alu instid0(VALU_DEP_1)
	v_cmpx_ne_u32_e32 0x7f, v18
	s_cbranch_execz .LBB253_1881
; %bb.1878:                             ;   in Loop: Header=BB253_1059 Depth=1
	v_and_b32_e32 v8, 7, v141
	v_lshrrev_b32_e32 v4, 3, v18
	s_mov_b32 s15, exec_lo
	v_cmpx_gt_u32_e32 8, v18
; %bb.1879:                             ;   in Loop: Header=BB253_1059 Depth=1
	s_delay_alu instid0(VALU_DEP_3) | instskip(NEXT) | instid1(VALU_DEP_1)
	v_clz_i32_u32_e32 v4, v8
	v_min_u32_e32 v4, 32, v4
	s_delay_alu instid0(VALU_DEP_1) | instskip(SKIP_1) | instid1(VALU_DEP_2)
	v_subrev_nc_u32_e32 v5, 28, v4
	v_sub_nc_u32_e32 v4, 29, v4
	v_lshlrev_b64 v[18:19], v5, v[8:9]
	s_delay_alu instid0(VALU_DEP_1)
	v_and_b32_e32 v8, 7, v18
; %bb.1880:                             ;   in Loop: Header=BB253_1059 Depth=1
	s_or_b32 exec_lo, exec_lo, s15
	v_lshlrev_b32_e32 v5, 24, v141
	s_delay_alu instid0(VALU_DEP_2) | instskip(SKIP_1) | instid1(VALU_DEP_3)
	v_lshlrev_b32_e32 v8, 20, v8
	v_lshl_add_u32 v4, v4, 23, 0x3c000000
	v_and_b32_e32 v5, 0x80000000, v5
	s_delay_alu instid0(VALU_DEP_1) | instskip(NEXT) | instid1(VALU_DEP_1)
	v_or3_b32 v8, v8, v5, v4
	v_dual_mov_b32 v4, v8 :: v_dual_mov_b32 v5, v9
.LBB253_1881:                           ;   in Loop: Header=BB253_1059 Depth=1
	s_or_b32 exec_lo, exec_lo, s13
.LBB253_1882:                           ;   in Loop: Header=BB253_1059 Depth=1
	s_delay_alu instid0(SALU_CYCLE_1)
	s_or_b32 exec_lo, exec_lo, s12
.LBB253_1883:                           ;   in Loop: Header=BB253_1059 Depth=1
	s_delay_alu instid0(SALU_CYCLE_1) | instskip(SKIP_2) | instid1(VALU_DEP_1)
	s_or_b32 exec_lo, exec_lo, s10
	v_lshrrev_b16 v8, 8, v141
	s_mov_b32 s12, exec_lo
	v_cmpx_ne_u16_e32 0, v8
	s_cbranch_execz .LBB253_1891
; %bb.1884:                             ;   in Loop: Header=BB253_1059 Depth=1
	v_dual_mov_b32 v17, s9 :: v_dual_mov_b32 v16, s8
	s_mov_b32 s13, exec_lo
	v_cmpx_ne_u16_e32 0x80, v8
	s_cbranch_execz .LBB253_1890
; %bb.1885:                             ;   in Loop: Header=BB253_1059 Depth=1
	s_mov_b32 s10, s8
	v_dual_mov_b32 v17, s11 :: v_dual_and_b32 v8, 0xffff, v8
	v_mov_b32_e32 v16, s10
	s_mov_b32 s10, exec_lo
	s_delay_alu instid0(VALU_DEP_2) | instskip(NEXT) | instid1(VALU_DEP_1)
	v_and_b32_e32 v18, 0x7f, v8
	v_cmpx_ne_u32_e32 0x7f, v18
	s_cbranch_execz .LBB253_1889
; %bb.1886:                             ;   in Loop: Header=BB253_1059 Depth=1
	v_and_b32_e32 v8, 7, v8
	v_lshrrev_b32_e32 v16, 3, v18
	s_mov_b32 s15, exec_lo
	v_cmpx_gt_u32_e32 8, v18
; %bb.1887:                             ;   in Loop: Header=BB253_1059 Depth=1
	s_delay_alu instid0(VALU_DEP_3) | instskip(NEXT) | instid1(VALU_DEP_1)
	v_clz_i32_u32_e32 v16, v8
	v_min_u32_e32 v16, 32, v16
	s_delay_alu instid0(VALU_DEP_1) | instskip(SKIP_1) | instid1(VALU_DEP_2)
	v_subrev_nc_u32_e32 v17, 28, v16
	v_sub_nc_u32_e32 v16, 29, v16
	v_lshlrev_b64 v[17:18], v17, v[8:9]
	s_delay_alu instid0(VALU_DEP_1)
	v_and_b32_e32 v8, 7, v17
; %bb.1888:                             ;   in Loop: Header=BB253_1059 Depth=1
	s_or_b32 exec_lo, exec_lo, s15
	v_lshlrev_b32_e32 v17, 16, v141
	s_delay_alu instid0(VALU_DEP_2) | instskip(SKIP_1) | instid1(VALU_DEP_3)
	v_lshlrev_b32_e32 v8, 20, v8
	v_lshl_add_u32 v16, v16, 23, 0x3c000000
	v_and_b32_e32 v17, 0x80000000, v17
	s_delay_alu instid0(VALU_DEP_1)
	v_or3_b32 v17, v8, v17, v16
	v_mov_b32_e32 v16, v9
.LBB253_1889:                           ;   in Loop: Header=BB253_1059 Depth=1
	s_or_b32 exec_lo, exec_lo, s10
.LBB253_1890:                           ;   in Loop: Header=BB253_1059 Depth=1
	s_delay_alu instid0(SALU_CYCLE_1)
	s_or_b32 exec_lo, exec_lo, s13
.LBB253_1891:                           ;   in Loop: Header=BB253_1059 Depth=1
	s_delay_alu instid0(SALU_CYCLE_1) | instskip(SKIP_4) | instid1(VALU_DEP_2)
	s_or_b32 exec_lo, exec_lo, s12
	v_mov_b32_e32 v20, 0
	v_lshrrev_b32_e32 v142, 16, v141
	v_mov_b32_e32 v21, 0
	s_mov_b32 s10, exec_lo
	v_and_b32_e32 v8, 0xff, v142
	s_delay_alu instid0(VALU_DEP_2) | instskip(NEXT) | instid1(VALU_DEP_2)
	v_dual_mov_b32 v18, v20 :: v_dual_mov_b32 v19, v21
	v_cmpx_ne_u16_e32 0, v8
	s_cbranch_execz .LBB253_1899
; %bb.1892:                             ;   in Loop: Header=BB253_1059 Depth=1
	v_bfrev_b32_e32 v18, 1
	v_mov_b32_e32 v19, 0
	s_mov_b32 s12, exec_lo
	v_cmpx_ne_u16_e32 0x80, v8
	s_cbranch_execz .LBB253_1898
; %bb.1893:                             ;   in Loop: Header=BB253_1059 Depth=1
	v_mov_b32_e32 v18, 0x7f800001
	v_bfe_u32 v143, v141, 16, 7
	v_mov_b32_e32 v19, 0
	s_mov_b32 s13, exec_lo
	s_delay_alu instid0(VALU_DEP_2)
	v_cmpx_ne_u32_e32 0x7f, v143
	s_cbranch_execz .LBB253_1897
; %bb.1894:                             ;   in Loop: Header=BB253_1059 Depth=1
	v_and_b32_e32 v8, 7, v142
	v_lshrrev_b32_e32 v18, 3, v143
	s_mov_b32 s15, exec_lo
	v_cmpx_gt_u32_e32 8, v143
; %bb.1895:                             ;   in Loop: Header=BB253_1059 Depth=1
	s_delay_alu instid0(VALU_DEP_3) | instskip(NEXT) | instid1(VALU_DEP_1)
	v_clz_i32_u32_e32 v18, v8
	v_min_u32_e32 v18, 32, v18
	s_delay_alu instid0(VALU_DEP_1) | instskip(SKIP_1) | instid1(VALU_DEP_2)
	v_subrev_nc_u32_e32 v19, 28, v18
	v_sub_nc_u32_e32 v18, 29, v18
	v_lshlrev_b64 v[152:153], v19, v[8:9]
	s_delay_alu instid0(VALU_DEP_1)
	v_and_b32_e32 v8, 7, v152
; %bb.1896:                             ;   in Loop: Header=BB253_1059 Depth=1
	s_or_b32 exec_lo, exec_lo, s15
	v_lshlrev_b32_e32 v19, 24, v142
	s_delay_alu instid0(VALU_DEP_2) | instskip(SKIP_1) | instid1(VALU_DEP_3)
	v_lshlrev_b32_e32 v8, 20, v8
	v_lshl_add_u32 v18, v18, 23, 0x3c000000
	v_and_b32_e32 v19, 0x80000000, v19
	s_delay_alu instid0(VALU_DEP_1) | instskip(NEXT) | instid1(VALU_DEP_1)
	v_or3_b32 v8, v8, v19, v18
	v_dual_mov_b32 v19, v9 :: v_dual_mov_b32 v18, v8
.LBB253_1897:                           ;   in Loop: Header=BB253_1059 Depth=1
	s_or_b32 exec_lo, exec_lo, s13
.LBB253_1898:                           ;   in Loop: Header=BB253_1059 Depth=1
	s_delay_alu instid0(SALU_CYCLE_1)
	s_or_b32 exec_lo, exec_lo, s12
.LBB253_1899:                           ;   in Loop: Header=BB253_1059 Depth=1
	s_delay_alu instid0(SALU_CYCLE_1) | instskip(NEXT) | instid1(SALU_CYCLE_1)
	s_or_b32 exec_lo, exec_lo, s10
	s_mov_b32 s12, exec_lo
	v_cmpx_lt_u32_e32 0xffffff, v141
	s_cbranch_execz .LBB253_1907
; %bb.1900:                             ;   in Loop: Header=BB253_1059 Depth=1
	v_lshrrev_b32_e32 v142, 24, v141
	v_dual_mov_b32 v21, s9 :: v_dual_mov_b32 v20, s8
	s_mov_b32 s13, exec_lo
	s_delay_alu instid0(VALU_DEP_2)
	v_cmpx_ne_u32_e32 0x80, v142
	s_cbranch_execz .LBB253_1906
; %bb.1901:                             ;   in Loop: Header=BB253_1059 Depth=1
	s_mov_b32 s10, s8
	v_bfe_u32 v141, v141, 24, 7
	v_dual_mov_b32 v21, s11 :: v_dual_mov_b32 v20, s10
	s_mov_b32 s10, exec_lo
	s_delay_alu instid0(VALU_DEP_2)
	v_cmpx_ne_u32_e32 0x7f, v141
	s_cbranch_execz .LBB253_1905
; %bb.1902:                             ;   in Loop: Header=BB253_1059 Depth=1
	v_and_b32_e32 v8, 7, v142
	v_lshrrev_b32_e32 v20, 3, v141
	s_mov_b32 s15, exec_lo
	v_cmpx_gt_u32_e32 8, v141
; %bb.1903:                             ;   in Loop: Header=BB253_1059 Depth=1
	s_delay_alu instid0(VALU_DEP_3) | instskip(NEXT) | instid1(VALU_DEP_1)
	v_clz_i32_u32_e32 v20, v8
	v_min_u32_e32 v20, 32, v20
	s_delay_alu instid0(VALU_DEP_1) | instskip(SKIP_1) | instid1(VALU_DEP_2)
	v_subrev_nc_u32_e32 v21, 28, v20
	v_sub_nc_u32_e32 v20, 29, v20
	v_lshlrev_b64 v[152:153], v21, v[8:9]
	s_delay_alu instid0(VALU_DEP_1)
	v_and_b32_e32 v8, 7, v152
; %bb.1904:                             ;   in Loop: Header=BB253_1059 Depth=1
	s_or_b32 exec_lo, exec_lo, s15
	v_lshlrev_b32_e32 v21, 24, v142
	s_delay_alu instid0(VALU_DEP_2) | instskip(SKIP_1) | instid1(VALU_DEP_3)
	v_lshlrev_b32_e32 v8, 20, v8
	v_lshl_add_u32 v20, v20, 23, 0x3c000000
	v_and_b32_e32 v21, 0x80000000, v21
	s_delay_alu instid0(VALU_DEP_1)
	v_or3_b32 v21, v8, v21, v20
	v_mov_b32_e32 v20, v9
.LBB253_1905:                           ;   in Loop: Header=BB253_1059 Depth=1
	s_or_b32 exec_lo, exec_lo, s10
.LBB253_1906:                           ;   in Loop: Header=BB253_1059 Depth=1
	s_delay_alu instid0(SALU_CYCLE_1)
	s_or_b32 exec_lo, exec_lo, s13
.LBB253_1907:                           ;   in Loop: Header=BB253_1059 Depth=1
	s_delay_alu instid0(SALU_CYCLE_1) | instskip(SKIP_4) | instid1(VALU_DEP_3)
	s_or_b32 exec_lo, exec_lo, s12
	v_or_b32_e32 v5, v17, v5
	v_or_b32_e32 v4, v16, v4
	;; [unrolled: 1-line block ×4, first 2 shown]
	v_dual_mul_f32 v152, v96, v5 :: v_dual_mul_f32 v143, v82, v4
	s_delay_alu instid0(VALU_DEP_3) | instskip(NEXT) | instid1(VALU_DEP_3)
	v_mul_f32_e32 v141, v96, v8
	v_mul_f32_e32 v142, v82, v16
	s_and_saveexec_b32 s10, vcc_lo
; %bb.1908:                             ;   in Loop: Header=BB253_1059 Depth=1
	v_cmp_lt_i32_e64 s0, v102, v98
	s_delay_alu instid0(VALU_DEP_1) | instskip(SKIP_1) | instid1(VALU_DEP_1)
	v_cndmask_b32_e64 v143, 0, v143, s0
	v_cmp_lt_i32_e64 s0, v112, v98
	v_cndmask_b32_e64 v152, 0, v152, s0
	v_cmp_lt_i32_e64 s0, v103, v98
	s_delay_alu instid0(VALU_DEP_1) | instskip(SKIP_1) | instid1(VALU_DEP_1)
	v_cndmask_b32_e64 v142, 0, v142, s0
	v_cmp_lt_i32_e64 s0, v86, v98
	v_cndmask_b32_e64 v141, 0, v141, s0
; %bb.1909:                             ;   in Loop: Header=BB253_1059 Depth=1
	s_or_b32 exec_lo, exec_lo, s10
	flat_load_b32 v153, v[14:15] offset:3200
	v_mov_b32_e32 v16, 0
	v_mov_b32_e32 v17, 0
	s_mov_b32 s10, exec_lo
	s_waitcnt vmcnt(0) lgkmcnt(0)
	v_and_b32_e32 v8, 0xff, v153
	s_delay_alu instid0(VALU_DEP_2) | instskip(NEXT) | instid1(VALU_DEP_2)
	v_dual_mov_b32 v4, v16 :: v_dual_mov_b32 v5, v17
	v_cmpx_ne_u16_e32 0, v8
	s_cbranch_execz .LBB253_1917
; %bb.1910:                             ;   in Loop: Header=BB253_1059 Depth=1
	v_bfrev_b32_e32 v4, 1
	v_mov_b32_e32 v5, 0
	s_mov_b32 s12, exec_lo
	v_cmpx_ne_u16_e32 0x80, v8
	s_cbranch_execz .LBB253_1916
; %bb.1911:                             ;   in Loop: Header=BB253_1059 Depth=1
	v_mov_b32_e32 v4, 0x7f800001
	v_dual_mov_b32 v5, 0 :: v_dual_and_b32 v18, 0x7f, v153
	s_mov_b32 s13, exec_lo
	s_delay_alu instid0(VALU_DEP_1)
	v_cmpx_ne_u32_e32 0x7f, v18
	s_cbranch_execz .LBB253_1915
; %bb.1912:                             ;   in Loop: Header=BB253_1059 Depth=1
	v_and_b32_e32 v8, 7, v153
	v_lshrrev_b32_e32 v4, 3, v18
	s_mov_b32 s15, exec_lo
	v_cmpx_gt_u32_e32 8, v18
; %bb.1913:                             ;   in Loop: Header=BB253_1059 Depth=1
	s_delay_alu instid0(VALU_DEP_3) | instskip(NEXT) | instid1(VALU_DEP_1)
	v_clz_i32_u32_e32 v4, v8
	v_min_u32_e32 v4, 32, v4
	s_delay_alu instid0(VALU_DEP_1) | instskip(SKIP_1) | instid1(VALU_DEP_2)
	v_subrev_nc_u32_e32 v5, 28, v4
	v_sub_nc_u32_e32 v4, 29, v4
	v_lshlrev_b64 v[18:19], v5, v[8:9]
	s_delay_alu instid0(VALU_DEP_1)
	v_and_b32_e32 v8, 7, v18
; %bb.1914:                             ;   in Loop: Header=BB253_1059 Depth=1
	s_or_b32 exec_lo, exec_lo, s15
	v_lshlrev_b32_e32 v5, 24, v153
	s_delay_alu instid0(VALU_DEP_2) | instskip(SKIP_1) | instid1(VALU_DEP_3)
	v_lshlrev_b32_e32 v8, 20, v8
	v_lshl_add_u32 v4, v4, 23, 0x3c000000
	v_and_b32_e32 v5, 0x80000000, v5
	s_delay_alu instid0(VALU_DEP_1) | instskip(NEXT) | instid1(VALU_DEP_1)
	v_or3_b32 v8, v8, v5, v4
	v_dual_mov_b32 v4, v8 :: v_dual_mov_b32 v5, v9
.LBB253_1915:                           ;   in Loop: Header=BB253_1059 Depth=1
	s_or_b32 exec_lo, exec_lo, s13
.LBB253_1916:                           ;   in Loop: Header=BB253_1059 Depth=1
	s_delay_alu instid0(SALU_CYCLE_1)
	s_or_b32 exec_lo, exec_lo, s12
.LBB253_1917:                           ;   in Loop: Header=BB253_1059 Depth=1
	s_delay_alu instid0(SALU_CYCLE_1) | instskip(SKIP_2) | instid1(VALU_DEP_1)
	s_or_b32 exec_lo, exec_lo, s10
	v_lshrrev_b16 v8, 8, v153
	s_mov_b32 s12, exec_lo
	v_cmpx_ne_u16_e32 0, v8
	s_cbranch_execz .LBB253_1925
; %bb.1918:                             ;   in Loop: Header=BB253_1059 Depth=1
	v_dual_mov_b32 v17, s9 :: v_dual_mov_b32 v16, s8
	s_mov_b32 s13, exec_lo
	v_cmpx_ne_u16_e32 0x80, v8
	s_cbranch_execz .LBB253_1924
; %bb.1919:                             ;   in Loop: Header=BB253_1059 Depth=1
	s_mov_b32 s10, s8
	v_dual_mov_b32 v17, s11 :: v_dual_and_b32 v8, 0xffff, v8
	v_mov_b32_e32 v16, s10
	s_mov_b32 s10, exec_lo
	s_delay_alu instid0(VALU_DEP_2) | instskip(NEXT) | instid1(VALU_DEP_1)
	v_and_b32_e32 v18, 0x7f, v8
	v_cmpx_ne_u32_e32 0x7f, v18
	s_cbranch_execz .LBB253_1923
; %bb.1920:                             ;   in Loop: Header=BB253_1059 Depth=1
	v_and_b32_e32 v8, 7, v8
	v_lshrrev_b32_e32 v16, 3, v18
	s_mov_b32 s15, exec_lo
	v_cmpx_gt_u32_e32 8, v18
; %bb.1921:                             ;   in Loop: Header=BB253_1059 Depth=1
	s_delay_alu instid0(VALU_DEP_3) | instskip(NEXT) | instid1(VALU_DEP_1)
	v_clz_i32_u32_e32 v16, v8
	v_min_u32_e32 v16, 32, v16
	s_delay_alu instid0(VALU_DEP_1) | instskip(SKIP_1) | instid1(VALU_DEP_2)
	v_subrev_nc_u32_e32 v17, 28, v16
	v_sub_nc_u32_e32 v16, 29, v16
	v_lshlrev_b64 v[17:18], v17, v[8:9]
	s_delay_alu instid0(VALU_DEP_1)
	v_and_b32_e32 v8, 7, v17
; %bb.1922:                             ;   in Loop: Header=BB253_1059 Depth=1
	s_or_b32 exec_lo, exec_lo, s15
	v_lshlrev_b32_e32 v17, 16, v153
	s_delay_alu instid0(VALU_DEP_2) | instskip(SKIP_1) | instid1(VALU_DEP_3)
	v_lshlrev_b32_e32 v8, 20, v8
	v_lshl_add_u32 v16, v16, 23, 0x3c000000
	v_and_b32_e32 v17, 0x80000000, v17
	s_delay_alu instid0(VALU_DEP_1)
	v_or3_b32 v17, v8, v17, v16
	v_mov_b32_e32 v16, v9
.LBB253_1923:                           ;   in Loop: Header=BB253_1059 Depth=1
	s_or_b32 exec_lo, exec_lo, s10
.LBB253_1924:                           ;   in Loop: Header=BB253_1059 Depth=1
	s_delay_alu instid0(SALU_CYCLE_1)
	s_or_b32 exec_lo, exec_lo, s13
.LBB253_1925:                           ;   in Loop: Header=BB253_1059 Depth=1
	s_delay_alu instid0(SALU_CYCLE_1) | instskip(SKIP_4) | instid1(VALU_DEP_2)
	s_or_b32 exec_lo, exec_lo, s12
	v_mov_b32_e32 v20, 0
	v_lshrrev_b32_e32 v154, 16, v153
	v_mov_b32_e32 v21, 0
	s_mov_b32 s10, exec_lo
	v_and_b32_e32 v8, 0xff, v154
	s_delay_alu instid0(VALU_DEP_2) | instskip(NEXT) | instid1(VALU_DEP_2)
	v_dual_mov_b32 v18, v20 :: v_dual_mov_b32 v19, v21
	v_cmpx_ne_u16_e32 0, v8
	s_cbranch_execz .LBB253_1933
; %bb.1926:                             ;   in Loop: Header=BB253_1059 Depth=1
	v_bfrev_b32_e32 v18, 1
	v_mov_b32_e32 v19, 0
	s_mov_b32 s12, exec_lo
	v_cmpx_ne_u16_e32 0x80, v8
	s_cbranch_execz .LBB253_1932
; %bb.1927:                             ;   in Loop: Header=BB253_1059 Depth=1
	v_mov_b32_e32 v18, 0x7f800001
	v_bfe_u32 v155, v153, 16, 7
	v_mov_b32_e32 v19, 0
	s_mov_b32 s13, exec_lo
	s_delay_alu instid0(VALU_DEP_2)
	v_cmpx_ne_u32_e32 0x7f, v155
	s_cbranch_execz .LBB253_1931
; %bb.1928:                             ;   in Loop: Header=BB253_1059 Depth=1
	v_and_b32_e32 v8, 7, v154
	v_lshrrev_b32_e32 v18, 3, v155
	s_mov_b32 s15, exec_lo
	v_cmpx_gt_u32_e32 8, v155
; %bb.1929:                             ;   in Loop: Header=BB253_1059 Depth=1
	s_delay_alu instid0(VALU_DEP_3) | instskip(NEXT) | instid1(VALU_DEP_1)
	v_clz_i32_u32_e32 v18, v8
	v_min_u32_e32 v18, 32, v18
	s_delay_alu instid0(VALU_DEP_1) | instskip(SKIP_1) | instid1(VALU_DEP_2)
	v_subrev_nc_u32_e32 v19, 28, v18
	v_sub_nc_u32_e32 v18, 29, v18
	v_lshlrev_b64 v[155:156], v19, v[8:9]
	s_delay_alu instid0(VALU_DEP_1)
	v_and_b32_e32 v8, 7, v155
; %bb.1930:                             ;   in Loop: Header=BB253_1059 Depth=1
	s_or_b32 exec_lo, exec_lo, s15
	v_lshlrev_b32_e32 v19, 24, v154
	s_delay_alu instid0(VALU_DEP_2) | instskip(SKIP_1) | instid1(VALU_DEP_3)
	v_lshlrev_b32_e32 v8, 20, v8
	v_lshl_add_u32 v18, v18, 23, 0x3c000000
	v_and_b32_e32 v19, 0x80000000, v19
	s_delay_alu instid0(VALU_DEP_1) | instskip(NEXT) | instid1(VALU_DEP_1)
	v_or3_b32 v8, v8, v19, v18
	v_dual_mov_b32 v19, v9 :: v_dual_mov_b32 v18, v8
.LBB253_1931:                           ;   in Loop: Header=BB253_1059 Depth=1
	s_or_b32 exec_lo, exec_lo, s13
.LBB253_1932:                           ;   in Loop: Header=BB253_1059 Depth=1
	s_delay_alu instid0(SALU_CYCLE_1)
	s_or_b32 exec_lo, exec_lo, s12
.LBB253_1933:                           ;   in Loop: Header=BB253_1059 Depth=1
	s_delay_alu instid0(SALU_CYCLE_1) | instskip(NEXT) | instid1(SALU_CYCLE_1)
	s_or_b32 exec_lo, exec_lo, s10
	s_mov_b32 s12, exec_lo
	v_cmpx_lt_u32_e32 0xffffff, v153
	s_cbranch_execz .LBB253_1941
; %bb.1934:                             ;   in Loop: Header=BB253_1059 Depth=1
	v_lshrrev_b32_e32 v154, 24, v153
	v_dual_mov_b32 v21, s9 :: v_dual_mov_b32 v20, s8
	s_mov_b32 s13, exec_lo
	s_delay_alu instid0(VALU_DEP_2)
	v_cmpx_ne_u32_e32 0x80, v154
	s_cbranch_execz .LBB253_1940
; %bb.1935:                             ;   in Loop: Header=BB253_1059 Depth=1
	s_mov_b32 s10, s8
	v_bfe_u32 v153, v153, 24, 7
	v_dual_mov_b32 v21, s11 :: v_dual_mov_b32 v20, s10
	s_mov_b32 s10, exec_lo
	s_delay_alu instid0(VALU_DEP_2)
	v_cmpx_ne_u32_e32 0x7f, v153
	s_cbranch_execz .LBB253_1939
; %bb.1936:                             ;   in Loop: Header=BB253_1059 Depth=1
	v_and_b32_e32 v8, 7, v154
	v_lshrrev_b32_e32 v20, 3, v153
	s_mov_b32 s15, exec_lo
	v_cmpx_gt_u32_e32 8, v153
; %bb.1937:                             ;   in Loop: Header=BB253_1059 Depth=1
	s_delay_alu instid0(VALU_DEP_3) | instskip(NEXT) | instid1(VALU_DEP_1)
	v_clz_i32_u32_e32 v20, v8
	v_min_u32_e32 v20, 32, v20
	s_delay_alu instid0(VALU_DEP_1) | instskip(SKIP_1) | instid1(VALU_DEP_2)
	v_subrev_nc_u32_e32 v21, 28, v20
	v_sub_nc_u32_e32 v20, 29, v20
	v_lshlrev_b64 v[155:156], v21, v[8:9]
	s_delay_alu instid0(VALU_DEP_1)
	v_and_b32_e32 v8, 7, v155
; %bb.1938:                             ;   in Loop: Header=BB253_1059 Depth=1
	s_or_b32 exec_lo, exec_lo, s15
	v_lshlrev_b32_e32 v21, 24, v154
	s_delay_alu instid0(VALU_DEP_2) | instskip(SKIP_1) | instid1(VALU_DEP_3)
	v_lshlrev_b32_e32 v8, 20, v8
	v_lshl_add_u32 v20, v20, 23, 0x3c000000
	v_and_b32_e32 v21, 0x80000000, v21
	s_delay_alu instid0(VALU_DEP_1)
	v_or3_b32 v21, v8, v21, v20
	v_mov_b32_e32 v20, v9
.LBB253_1939:                           ;   in Loop: Header=BB253_1059 Depth=1
	s_or_b32 exec_lo, exec_lo, s10
.LBB253_1940:                           ;   in Loop: Header=BB253_1059 Depth=1
	s_delay_alu instid0(SALU_CYCLE_1)
	s_or_b32 exec_lo, exec_lo, s13
.LBB253_1941:                           ;   in Loop: Header=BB253_1059 Depth=1
	s_delay_alu instid0(SALU_CYCLE_1) | instskip(SKIP_4) | instid1(VALU_DEP_3)
	s_or_b32 exec_lo, exec_lo, s12
	v_or_b32_e32 v5, v17, v5
	v_or_b32_e32 v4, v16, v4
	;; [unrolled: 1-line block ×4, first 2 shown]
	v_dual_mul_f32 v156, v96, v5 :: v_dual_mul_f32 v155, v82, v4
	s_delay_alu instid0(VALU_DEP_3) | instskip(NEXT) | instid1(VALU_DEP_3)
	v_mul_f32_e32 v153, v96, v8
	v_mul_f32_e32 v154, v82, v16
	s_and_saveexec_b32 s10, vcc_lo
; %bb.1942:                             ;   in Loop: Header=BB253_1059 Depth=1
	v_cmp_lt_i32_e64 s0, v102, v98
	s_delay_alu instid0(VALU_DEP_1) | instskip(SKIP_1) | instid1(VALU_DEP_1)
	v_cndmask_b32_e64 v155, 0, v155, s0
	v_cmp_lt_i32_e64 s0, v112, v98
	v_cndmask_b32_e64 v156, 0, v156, s0
	v_cmp_lt_i32_e64 s0, v103, v98
	s_delay_alu instid0(VALU_DEP_1) | instskip(SKIP_1) | instid1(VALU_DEP_1)
	v_cndmask_b32_e64 v154, 0, v154, s0
	v_cmp_lt_i32_e64 s0, v86, v98
	v_cndmask_b32_e64 v153, 0, v153, s0
; %bb.1943:                             ;   in Loop: Header=BB253_1059 Depth=1
	s_or_b32 exec_lo, exec_lo, s10
	flat_load_b32 v157, v[14:15] offset:3328
	v_mov_b32_e32 v16, 0
	v_mov_b32_e32 v17, 0
	s_mov_b32 s10, exec_lo
	s_waitcnt vmcnt(0) lgkmcnt(0)
	v_and_b32_e32 v8, 0xff, v157
	s_delay_alu instid0(VALU_DEP_2) | instskip(NEXT) | instid1(VALU_DEP_2)
	v_dual_mov_b32 v4, v16 :: v_dual_mov_b32 v5, v17
	v_cmpx_ne_u16_e32 0, v8
	s_cbranch_execz .LBB253_1951
; %bb.1944:                             ;   in Loop: Header=BB253_1059 Depth=1
	v_bfrev_b32_e32 v4, 1
	v_mov_b32_e32 v5, 0
	s_mov_b32 s12, exec_lo
	v_cmpx_ne_u16_e32 0x80, v8
	s_cbranch_execz .LBB253_1950
; %bb.1945:                             ;   in Loop: Header=BB253_1059 Depth=1
	v_mov_b32_e32 v4, 0x7f800001
	v_dual_mov_b32 v5, 0 :: v_dual_and_b32 v18, 0x7f, v157
	s_mov_b32 s13, exec_lo
	s_delay_alu instid0(VALU_DEP_1)
	v_cmpx_ne_u32_e32 0x7f, v18
	s_cbranch_execz .LBB253_1949
; %bb.1946:                             ;   in Loop: Header=BB253_1059 Depth=1
	v_and_b32_e32 v8, 7, v157
	v_lshrrev_b32_e32 v4, 3, v18
	s_mov_b32 s15, exec_lo
	v_cmpx_gt_u32_e32 8, v18
; %bb.1947:                             ;   in Loop: Header=BB253_1059 Depth=1
	s_delay_alu instid0(VALU_DEP_3) | instskip(NEXT) | instid1(VALU_DEP_1)
	v_clz_i32_u32_e32 v4, v8
	v_min_u32_e32 v4, 32, v4
	s_delay_alu instid0(VALU_DEP_1) | instskip(SKIP_1) | instid1(VALU_DEP_2)
	v_subrev_nc_u32_e32 v5, 28, v4
	v_sub_nc_u32_e32 v4, 29, v4
	v_lshlrev_b64 v[18:19], v5, v[8:9]
	s_delay_alu instid0(VALU_DEP_1)
	v_and_b32_e32 v8, 7, v18
; %bb.1948:                             ;   in Loop: Header=BB253_1059 Depth=1
	s_or_b32 exec_lo, exec_lo, s15
	v_lshlrev_b32_e32 v5, 24, v157
	s_delay_alu instid0(VALU_DEP_2) | instskip(SKIP_1) | instid1(VALU_DEP_3)
	v_lshlrev_b32_e32 v8, 20, v8
	v_lshl_add_u32 v4, v4, 23, 0x3c000000
	v_and_b32_e32 v5, 0x80000000, v5
	s_delay_alu instid0(VALU_DEP_1) | instskip(NEXT) | instid1(VALU_DEP_1)
	v_or3_b32 v8, v8, v5, v4
	v_dual_mov_b32 v4, v8 :: v_dual_mov_b32 v5, v9
.LBB253_1949:                           ;   in Loop: Header=BB253_1059 Depth=1
	s_or_b32 exec_lo, exec_lo, s13
.LBB253_1950:                           ;   in Loop: Header=BB253_1059 Depth=1
	s_delay_alu instid0(SALU_CYCLE_1)
	s_or_b32 exec_lo, exec_lo, s12
.LBB253_1951:                           ;   in Loop: Header=BB253_1059 Depth=1
	s_delay_alu instid0(SALU_CYCLE_1) | instskip(SKIP_2) | instid1(VALU_DEP_1)
	s_or_b32 exec_lo, exec_lo, s10
	v_lshrrev_b16 v8, 8, v157
	s_mov_b32 s12, exec_lo
	v_cmpx_ne_u16_e32 0, v8
	s_cbranch_execz .LBB253_1959
; %bb.1952:                             ;   in Loop: Header=BB253_1059 Depth=1
	v_dual_mov_b32 v17, s9 :: v_dual_mov_b32 v16, s8
	s_mov_b32 s13, exec_lo
	v_cmpx_ne_u16_e32 0x80, v8
	s_cbranch_execz .LBB253_1958
; %bb.1953:                             ;   in Loop: Header=BB253_1059 Depth=1
	s_mov_b32 s10, s8
	v_dual_mov_b32 v17, s11 :: v_dual_and_b32 v8, 0xffff, v8
	v_mov_b32_e32 v16, s10
	s_mov_b32 s10, exec_lo
	s_delay_alu instid0(VALU_DEP_2) | instskip(NEXT) | instid1(VALU_DEP_1)
	v_and_b32_e32 v18, 0x7f, v8
	v_cmpx_ne_u32_e32 0x7f, v18
	s_cbranch_execz .LBB253_1957
; %bb.1954:                             ;   in Loop: Header=BB253_1059 Depth=1
	v_and_b32_e32 v8, 7, v8
	v_lshrrev_b32_e32 v16, 3, v18
	s_mov_b32 s15, exec_lo
	v_cmpx_gt_u32_e32 8, v18
; %bb.1955:                             ;   in Loop: Header=BB253_1059 Depth=1
	s_delay_alu instid0(VALU_DEP_3) | instskip(NEXT) | instid1(VALU_DEP_1)
	v_clz_i32_u32_e32 v16, v8
	v_min_u32_e32 v16, 32, v16
	s_delay_alu instid0(VALU_DEP_1) | instskip(SKIP_1) | instid1(VALU_DEP_2)
	v_subrev_nc_u32_e32 v17, 28, v16
	v_sub_nc_u32_e32 v16, 29, v16
	v_lshlrev_b64 v[17:18], v17, v[8:9]
	s_delay_alu instid0(VALU_DEP_1)
	v_and_b32_e32 v8, 7, v17
; %bb.1956:                             ;   in Loop: Header=BB253_1059 Depth=1
	s_or_b32 exec_lo, exec_lo, s15
	v_lshlrev_b32_e32 v17, 16, v157
	s_delay_alu instid0(VALU_DEP_2) | instskip(SKIP_1) | instid1(VALU_DEP_3)
	v_lshlrev_b32_e32 v8, 20, v8
	v_lshl_add_u32 v16, v16, 23, 0x3c000000
	v_and_b32_e32 v17, 0x80000000, v17
	s_delay_alu instid0(VALU_DEP_1)
	v_or3_b32 v17, v8, v17, v16
	v_mov_b32_e32 v16, v9
.LBB253_1957:                           ;   in Loop: Header=BB253_1059 Depth=1
	s_or_b32 exec_lo, exec_lo, s10
.LBB253_1958:                           ;   in Loop: Header=BB253_1059 Depth=1
	s_delay_alu instid0(SALU_CYCLE_1)
	s_or_b32 exec_lo, exec_lo, s13
.LBB253_1959:                           ;   in Loop: Header=BB253_1059 Depth=1
	s_delay_alu instid0(SALU_CYCLE_1) | instskip(SKIP_4) | instid1(VALU_DEP_2)
	s_or_b32 exec_lo, exec_lo, s12
	v_mov_b32_e32 v20, 0
	v_lshrrev_b32_e32 v158, 16, v157
	v_mov_b32_e32 v21, 0
	s_mov_b32 s10, exec_lo
	v_and_b32_e32 v8, 0xff, v158
	s_delay_alu instid0(VALU_DEP_2) | instskip(NEXT) | instid1(VALU_DEP_2)
	v_dual_mov_b32 v18, v20 :: v_dual_mov_b32 v19, v21
	v_cmpx_ne_u16_e32 0, v8
	s_cbranch_execz .LBB253_1967
; %bb.1960:                             ;   in Loop: Header=BB253_1059 Depth=1
	v_bfrev_b32_e32 v18, 1
	v_mov_b32_e32 v19, 0
	s_mov_b32 s12, exec_lo
	v_cmpx_ne_u16_e32 0x80, v8
	s_cbranch_execz .LBB253_1966
; %bb.1961:                             ;   in Loop: Header=BB253_1059 Depth=1
	v_mov_b32_e32 v18, 0x7f800001
	v_bfe_u32 v159, v157, 16, 7
	v_mov_b32_e32 v19, 0
	s_mov_b32 s13, exec_lo
	s_delay_alu instid0(VALU_DEP_2)
	v_cmpx_ne_u32_e32 0x7f, v159
	s_cbranch_execz .LBB253_1965
; %bb.1962:                             ;   in Loop: Header=BB253_1059 Depth=1
	v_and_b32_e32 v8, 7, v158
	v_lshrrev_b32_e32 v18, 3, v159
	s_mov_b32 s15, exec_lo
	v_cmpx_gt_u32_e32 8, v159
; %bb.1963:                             ;   in Loop: Header=BB253_1059 Depth=1
	s_delay_alu instid0(VALU_DEP_3) | instskip(NEXT) | instid1(VALU_DEP_1)
	v_clz_i32_u32_e32 v18, v8
	v_min_u32_e32 v18, 32, v18
	s_delay_alu instid0(VALU_DEP_1) | instskip(SKIP_1) | instid1(VALU_DEP_2)
	v_subrev_nc_u32_e32 v19, 28, v18
	v_sub_nc_u32_e32 v18, 29, v18
	v_lshlrev_b64 v[168:169], v19, v[8:9]
	s_delay_alu instid0(VALU_DEP_1)
	v_and_b32_e32 v8, 7, v168
; %bb.1964:                             ;   in Loop: Header=BB253_1059 Depth=1
	s_or_b32 exec_lo, exec_lo, s15
	v_lshlrev_b32_e32 v19, 24, v158
	s_delay_alu instid0(VALU_DEP_2) | instskip(SKIP_1) | instid1(VALU_DEP_3)
	v_lshlrev_b32_e32 v8, 20, v8
	v_lshl_add_u32 v18, v18, 23, 0x3c000000
	v_and_b32_e32 v19, 0x80000000, v19
	s_delay_alu instid0(VALU_DEP_1) | instskip(NEXT) | instid1(VALU_DEP_1)
	v_or3_b32 v8, v8, v19, v18
	v_dual_mov_b32 v19, v9 :: v_dual_mov_b32 v18, v8
.LBB253_1965:                           ;   in Loop: Header=BB253_1059 Depth=1
	s_or_b32 exec_lo, exec_lo, s13
.LBB253_1966:                           ;   in Loop: Header=BB253_1059 Depth=1
	s_delay_alu instid0(SALU_CYCLE_1)
	s_or_b32 exec_lo, exec_lo, s12
.LBB253_1967:                           ;   in Loop: Header=BB253_1059 Depth=1
	s_delay_alu instid0(SALU_CYCLE_1) | instskip(NEXT) | instid1(SALU_CYCLE_1)
	s_or_b32 exec_lo, exec_lo, s10
	s_mov_b32 s12, exec_lo
	v_cmpx_lt_u32_e32 0xffffff, v157
	s_cbranch_execz .LBB253_1975
; %bb.1968:                             ;   in Loop: Header=BB253_1059 Depth=1
	v_lshrrev_b32_e32 v158, 24, v157
	v_dual_mov_b32 v21, s9 :: v_dual_mov_b32 v20, s8
	s_mov_b32 s13, exec_lo
	s_delay_alu instid0(VALU_DEP_2)
	v_cmpx_ne_u32_e32 0x80, v158
	s_cbranch_execz .LBB253_1974
; %bb.1969:                             ;   in Loop: Header=BB253_1059 Depth=1
	s_mov_b32 s10, s8
	v_bfe_u32 v157, v157, 24, 7
	v_dual_mov_b32 v21, s11 :: v_dual_mov_b32 v20, s10
	s_mov_b32 s10, exec_lo
	s_delay_alu instid0(VALU_DEP_2)
	v_cmpx_ne_u32_e32 0x7f, v157
	s_cbranch_execz .LBB253_1973
; %bb.1970:                             ;   in Loop: Header=BB253_1059 Depth=1
	v_and_b32_e32 v8, 7, v158
	v_lshrrev_b32_e32 v20, 3, v157
	s_mov_b32 s15, exec_lo
	v_cmpx_gt_u32_e32 8, v157
; %bb.1971:                             ;   in Loop: Header=BB253_1059 Depth=1
	s_delay_alu instid0(VALU_DEP_3) | instskip(NEXT) | instid1(VALU_DEP_1)
	v_clz_i32_u32_e32 v20, v8
	v_min_u32_e32 v20, 32, v20
	s_delay_alu instid0(VALU_DEP_1) | instskip(SKIP_1) | instid1(VALU_DEP_2)
	v_subrev_nc_u32_e32 v21, 28, v20
	v_sub_nc_u32_e32 v20, 29, v20
	v_lshlrev_b64 v[168:169], v21, v[8:9]
	s_delay_alu instid0(VALU_DEP_1)
	v_and_b32_e32 v8, 7, v168
; %bb.1972:                             ;   in Loop: Header=BB253_1059 Depth=1
	s_or_b32 exec_lo, exec_lo, s15
	v_lshlrev_b32_e32 v21, 24, v158
	s_delay_alu instid0(VALU_DEP_2) | instskip(SKIP_1) | instid1(VALU_DEP_3)
	v_lshlrev_b32_e32 v8, 20, v8
	v_lshl_add_u32 v20, v20, 23, 0x3c000000
	v_and_b32_e32 v21, 0x80000000, v21
	s_delay_alu instid0(VALU_DEP_1)
	v_or3_b32 v21, v8, v21, v20
	v_mov_b32_e32 v20, v9
.LBB253_1973:                           ;   in Loop: Header=BB253_1059 Depth=1
	s_or_b32 exec_lo, exec_lo, s10
.LBB253_1974:                           ;   in Loop: Header=BB253_1059 Depth=1
	s_delay_alu instid0(SALU_CYCLE_1)
	s_or_b32 exec_lo, exec_lo, s13
.LBB253_1975:                           ;   in Loop: Header=BB253_1059 Depth=1
	s_delay_alu instid0(SALU_CYCLE_1) | instskip(SKIP_4) | instid1(VALU_DEP_3)
	s_or_b32 exec_lo, exec_lo, s12
	v_or_b32_e32 v5, v17, v5
	v_or_b32_e32 v4, v16, v4
	;; [unrolled: 1-line block ×4, first 2 shown]
	v_dual_mul_f32 v168, v96, v5 :: v_dual_mul_f32 v159, v82, v4
	s_delay_alu instid0(VALU_DEP_3) | instskip(NEXT) | instid1(VALU_DEP_3)
	v_mul_f32_e32 v157, v96, v8
	v_mul_f32_e32 v158, v82, v16
	s_and_saveexec_b32 s10, vcc_lo
; %bb.1976:                             ;   in Loop: Header=BB253_1059 Depth=1
	v_cmp_lt_i32_e64 s0, v102, v98
	s_delay_alu instid0(VALU_DEP_1) | instskip(SKIP_1) | instid1(VALU_DEP_1)
	v_cndmask_b32_e64 v159, 0, v159, s0
	v_cmp_lt_i32_e64 s0, v112, v98
	v_cndmask_b32_e64 v168, 0, v168, s0
	v_cmp_lt_i32_e64 s0, v103, v98
	s_delay_alu instid0(VALU_DEP_1) | instskip(SKIP_1) | instid1(VALU_DEP_1)
	v_cndmask_b32_e64 v158, 0, v158, s0
	v_cmp_lt_i32_e64 s0, v86, v98
	v_cndmask_b32_e64 v157, 0, v157, s0
; %bb.1977:                             ;   in Loop: Header=BB253_1059 Depth=1
	s_or_b32 exec_lo, exec_lo, s10
	flat_load_b32 v169, v[14:15] offset:3456
	v_mov_b32_e32 v16, 0
	v_mov_b32_e32 v17, 0
	s_mov_b32 s10, exec_lo
	s_waitcnt vmcnt(0) lgkmcnt(0)
	v_and_b32_e32 v8, 0xff, v169
	s_delay_alu instid0(VALU_DEP_2) | instskip(NEXT) | instid1(VALU_DEP_2)
	v_dual_mov_b32 v4, v16 :: v_dual_mov_b32 v5, v17
	v_cmpx_ne_u16_e32 0, v8
	s_cbranch_execz .LBB253_1985
; %bb.1978:                             ;   in Loop: Header=BB253_1059 Depth=1
	v_bfrev_b32_e32 v4, 1
	v_mov_b32_e32 v5, 0
	s_mov_b32 s12, exec_lo
	v_cmpx_ne_u16_e32 0x80, v8
	s_cbranch_execz .LBB253_1984
; %bb.1979:                             ;   in Loop: Header=BB253_1059 Depth=1
	v_mov_b32_e32 v4, 0x7f800001
	v_dual_mov_b32 v5, 0 :: v_dual_and_b32 v18, 0x7f, v169
	s_mov_b32 s13, exec_lo
	s_delay_alu instid0(VALU_DEP_1)
	v_cmpx_ne_u32_e32 0x7f, v18
	s_cbranch_execz .LBB253_1983
; %bb.1980:                             ;   in Loop: Header=BB253_1059 Depth=1
	v_and_b32_e32 v8, 7, v169
	v_lshrrev_b32_e32 v4, 3, v18
	s_mov_b32 s15, exec_lo
	v_cmpx_gt_u32_e32 8, v18
; %bb.1981:                             ;   in Loop: Header=BB253_1059 Depth=1
	s_delay_alu instid0(VALU_DEP_3) | instskip(NEXT) | instid1(VALU_DEP_1)
	v_clz_i32_u32_e32 v4, v8
	v_min_u32_e32 v4, 32, v4
	s_delay_alu instid0(VALU_DEP_1) | instskip(SKIP_1) | instid1(VALU_DEP_2)
	v_subrev_nc_u32_e32 v5, 28, v4
	v_sub_nc_u32_e32 v4, 29, v4
	v_lshlrev_b64 v[18:19], v5, v[8:9]
	s_delay_alu instid0(VALU_DEP_1)
	v_and_b32_e32 v8, 7, v18
; %bb.1982:                             ;   in Loop: Header=BB253_1059 Depth=1
	s_or_b32 exec_lo, exec_lo, s15
	v_lshlrev_b32_e32 v5, 24, v169
	s_delay_alu instid0(VALU_DEP_2) | instskip(SKIP_1) | instid1(VALU_DEP_3)
	v_lshlrev_b32_e32 v8, 20, v8
	v_lshl_add_u32 v4, v4, 23, 0x3c000000
	v_and_b32_e32 v5, 0x80000000, v5
	s_delay_alu instid0(VALU_DEP_1) | instskip(NEXT) | instid1(VALU_DEP_1)
	v_or3_b32 v8, v8, v5, v4
	v_dual_mov_b32 v4, v8 :: v_dual_mov_b32 v5, v9
.LBB253_1983:                           ;   in Loop: Header=BB253_1059 Depth=1
	s_or_b32 exec_lo, exec_lo, s13
.LBB253_1984:                           ;   in Loop: Header=BB253_1059 Depth=1
	s_delay_alu instid0(SALU_CYCLE_1)
	s_or_b32 exec_lo, exec_lo, s12
.LBB253_1985:                           ;   in Loop: Header=BB253_1059 Depth=1
	s_delay_alu instid0(SALU_CYCLE_1) | instskip(SKIP_2) | instid1(VALU_DEP_1)
	s_or_b32 exec_lo, exec_lo, s10
	v_lshrrev_b16 v8, 8, v169
	s_mov_b32 s12, exec_lo
	v_cmpx_ne_u16_e32 0, v8
	s_cbranch_execz .LBB253_1993
; %bb.1986:                             ;   in Loop: Header=BB253_1059 Depth=1
	v_dual_mov_b32 v17, s9 :: v_dual_mov_b32 v16, s8
	s_mov_b32 s13, exec_lo
	v_cmpx_ne_u16_e32 0x80, v8
	s_cbranch_execz .LBB253_1992
; %bb.1987:                             ;   in Loop: Header=BB253_1059 Depth=1
	s_mov_b32 s10, s8
	v_dual_mov_b32 v17, s11 :: v_dual_and_b32 v8, 0xffff, v8
	v_mov_b32_e32 v16, s10
	s_mov_b32 s10, exec_lo
	s_delay_alu instid0(VALU_DEP_2) | instskip(NEXT) | instid1(VALU_DEP_1)
	v_and_b32_e32 v18, 0x7f, v8
	v_cmpx_ne_u32_e32 0x7f, v18
	s_cbranch_execz .LBB253_1991
; %bb.1988:                             ;   in Loop: Header=BB253_1059 Depth=1
	v_and_b32_e32 v8, 7, v8
	v_lshrrev_b32_e32 v16, 3, v18
	s_mov_b32 s15, exec_lo
	v_cmpx_gt_u32_e32 8, v18
; %bb.1989:                             ;   in Loop: Header=BB253_1059 Depth=1
	s_delay_alu instid0(VALU_DEP_3) | instskip(NEXT) | instid1(VALU_DEP_1)
	v_clz_i32_u32_e32 v16, v8
	v_min_u32_e32 v16, 32, v16
	s_delay_alu instid0(VALU_DEP_1) | instskip(SKIP_1) | instid1(VALU_DEP_2)
	v_subrev_nc_u32_e32 v17, 28, v16
	v_sub_nc_u32_e32 v16, 29, v16
	v_lshlrev_b64 v[17:18], v17, v[8:9]
	s_delay_alu instid0(VALU_DEP_1)
	v_and_b32_e32 v8, 7, v17
; %bb.1990:                             ;   in Loop: Header=BB253_1059 Depth=1
	s_or_b32 exec_lo, exec_lo, s15
	v_lshlrev_b32_e32 v17, 16, v169
	s_delay_alu instid0(VALU_DEP_2) | instskip(SKIP_1) | instid1(VALU_DEP_3)
	v_lshlrev_b32_e32 v8, 20, v8
	v_lshl_add_u32 v16, v16, 23, 0x3c000000
	v_and_b32_e32 v17, 0x80000000, v17
	s_delay_alu instid0(VALU_DEP_1)
	v_or3_b32 v17, v8, v17, v16
	v_mov_b32_e32 v16, v9
.LBB253_1991:                           ;   in Loop: Header=BB253_1059 Depth=1
	s_or_b32 exec_lo, exec_lo, s10
.LBB253_1992:                           ;   in Loop: Header=BB253_1059 Depth=1
	s_delay_alu instid0(SALU_CYCLE_1)
	s_or_b32 exec_lo, exec_lo, s13
.LBB253_1993:                           ;   in Loop: Header=BB253_1059 Depth=1
	s_delay_alu instid0(SALU_CYCLE_1) | instskip(SKIP_4) | instid1(VALU_DEP_2)
	s_or_b32 exec_lo, exec_lo, s12
	v_mov_b32_e32 v20, 0
	v_lshrrev_b32_e32 v170, 16, v169
	v_mov_b32_e32 v21, 0
	s_mov_b32 s10, exec_lo
	v_and_b32_e32 v8, 0xff, v170
	s_delay_alu instid0(VALU_DEP_2) | instskip(NEXT) | instid1(VALU_DEP_2)
	v_dual_mov_b32 v18, v20 :: v_dual_mov_b32 v19, v21
	v_cmpx_ne_u16_e32 0, v8
	s_cbranch_execz .LBB253_2001
; %bb.1994:                             ;   in Loop: Header=BB253_1059 Depth=1
	v_bfrev_b32_e32 v18, 1
	v_mov_b32_e32 v19, 0
	s_mov_b32 s12, exec_lo
	v_cmpx_ne_u16_e32 0x80, v8
	s_cbranch_execz .LBB253_2000
; %bb.1995:                             ;   in Loop: Header=BB253_1059 Depth=1
	v_mov_b32_e32 v18, 0x7f800001
	v_bfe_u32 v171, v169, 16, 7
	v_mov_b32_e32 v19, 0
	s_mov_b32 s13, exec_lo
	s_delay_alu instid0(VALU_DEP_2)
	v_cmpx_ne_u32_e32 0x7f, v171
	s_cbranch_execz .LBB253_1999
; %bb.1996:                             ;   in Loop: Header=BB253_1059 Depth=1
	v_and_b32_e32 v8, 7, v170
	v_lshrrev_b32_e32 v18, 3, v171
	s_mov_b32 s15, exec_lo
	v_cmpx_gt_u32_e32 8, v171
; %bb.1997:                             ;   in Loop: Header=BB253_1059 Depth=1
	s_delay_alu instid0(VALU_DEP_3) | instskip(NEXT) | instid1(VALU_DEP_1)
	v_clz_i32_u32_e32 v18, v8
	v_min_u32_e32 v18, 32, v18
	s_delay_alu instid0(VALU_DEP_1) | instskip(SKIP_1) | instid1(VALU_DEP_2)
	v_subrev_nc_u32_e32 v19, 28, v18
	v_sub_nc_u32_e32 v18, 29, v18
	v_lshlrev_b64 v[171:172], v19, v[8:9]
	s_delay_alu instid0(VALU_DEP_1)
	v_and_b32_e32 v8, 7, v171
; %bb.1998:                             ;   in Loop: Header=BB253_1059 Depth=1
	s_or_b32 exec_lo, exec_lo, s15
	v_lshlrev_b32_e32 v19, 24, v170
	s_delay_alu instid0(VALU_DEP_2) | instskip(SKIP_1) | instid1(VALU_DEP_3)
	v_lshlrev_b32_e32 v8, 20, v8
	v_lshl_add_u32 v18, v18, 23, 0x3c000000
	v_and_b32_e32 v19, 0x80000000, v19
	s_delay_alu instid0(VALU_DEP_1) | instskip(NEXT) | instid1(VALU_DEP_1)
	v_or3_b32 v8, v8, v19, v18
	v_dual_mov_b32 v19, v9 :: v_dual_mov_b32 v18, v8
.LBB253_1999:                           ;   in Loop: Header=BB253_1059 Depth=1
	s_or_b32 exec_lo, exec_lo, s13
.LBB253_2000:                           ;   in Loop: Header=BB253_1059 Depth=1
	s_delay_alu instid0(SALU_CYCLE_1)
	s_or_b32 exec_lo, exec_lo, s12
.LBB253_2001:                           ;   in Loop: Header=BB253_1059 Depth=1
	s_delay_alu instid0(SALU_CYCLE_1) | instskip(NEXT) | instid1(SALU_CYCLE_1)
	s_or_b32 exec_lo, exec_lo, s10
	s_mov_b32 s12, exec_lo
	v_cmpx_lt_u32_e32 0xffffff, v169
	s_cbranch_execz .LBB253_2009
; %bb.2002:                             ;   in Loop: Header=BB253_1059 Depth=1
	v_lshrrev_b32_e32 v170, 24, v169
	v_dual_mov_b32 v21, s9 :: v_dual_mov_b32 v20, s8
	s_mov_b32 s13, exec_lo
	s_delay_alu instid0(VALU_DEP_2)
	v_cmpx_ne_u32_e32 0x80, v170
	s_cbranch_execz .LBB253_2008
; %bb.2003:                             ;   in Loop: Header=BB253_1059 Depth=1
	s_mov_b32 s10, s8
	v_bfe_u32 v169, v169, 24, 7
	v_dual_mov_b32 v21, s11 :: v_dual_mov_b32 v20, s10
	s_mov_b32 s10, exec_lo
	s_delay_alu instid0(VALU_DEP_2)
	v_cmpx_ne_u32_e32 0x7f, v169
	s_cbranch_execz .LBB253_2007
; %bb.2004:                             ;   in Loop: Header=BB253_1059 Depth=1
	v_and_b32_e32 v8, 7, v170
	v_lshrrev_b32_e32 v20, 3, v169
	s_mov_b32 s15, exec_lo
	v_cmpx_gt_u32_e32 8, v169
; %bb.2005:                             ;   in Loop: Header=BB253_1059 Depth=1
	s_delay_alu instid0(VALU_DEP_3) | instskip(NEXT) | instid1(VALU_DEP_1)
	v_clz_i32_u32_e32 v20, v8
	v_min_u32_e32 v20, 32, v20
	s_delay_alu instid0(VALU_DEP_1) | instskip(SKIP_1) | instid1(VALU_DEP_2)
	v_subrev_nc_u32_e32 v21, 28, v20
	v_sub_nc_u32_e32 v20, 29, v20
	v_lshlrev_b64 v[171:172], v21, v[8:9]
	s_delay_alu instid0(VALU_DEP_1)
	v_and_b32_e32 v8, 7, v171
; %bb.2006:                             ;   in Loop: Header=BB253_1059 Depth=1
	s_or_b32 exec_lo, exec_lo, s15
	v_lshlrev_b32_e32 v21, 24, v170
	s_delay_alu instid0(VALU_DEP_2) | instskip(SKIP_1) | instid1(VALU_DEP_3)
	v_lshlrev_b32_e32 v8, 20, v8
	v_lshl_add_u32 v20, v20, 23, 0x3c000000
	v_and_b32_e32 v21, 0x80000000, v21
	s_delay_alu instid0(VALU_DEP_1)
	v_or3_b32 v21, v8, v21, v20
	v_mov_b32_e32 v20, v9
.LBB253_2007:                           ;   in Loop: Header=BB253_1059 Depth=1
	s_or_b32 exec_lo, exec_lo, s10
.LBB253_2008:                           ;   in Loop: Header=BB253_1059 Depth=1
	s_delay_alu instid0(SALU_CYCLE_1)
	s_or_b32 exec_lo, exec_lo, s13
.LBB253_2009:                           ;   in Loop: Header=BB253_1059 Depth=1
	s_delay_alu instid0(SALU_CYCLE_1) | instskip(SKIP_4) | instid1(VALU_DEP_3)
	s_or_b32 exec_lo, exec_lo, s12
	v_or_b32_e32 v5, v17, v5
	v_or_b32_e32 v4, v16, v4
	;; [unrolled: 1-line block ×4, first 2 shown]
	v_dual_mul_f32 v172, v96, v5 :: v_dual_mul_f32 v171, v82, v4
	s_delay_alu instid0(VALU_DEP_3) | instskip(NEXT) | instid1(VALU_DEP_3)
	v_mul_f32_e32 v169, v96, v8
	v_mul_f32_e32 v170, v82, v16
	s_and_saveexec_b32 s10, vcc_lo
; %bb.2010:                             ;   in Loop: Header=BB253_1059 Depth=1
	v_cmp_lt_i32_e64 s0, v102, v98
	s_delay_alu instid0(VALU_DEP_1) | instskip(SKIP_1) | instid1(VALU_DEP_1)
	v_cndmask_b32_e64 v171, 0, v171, s0
	v_cmp_lt_i32_e64 s0, v112, v98
	v_cndmask_b32_e64 v172, 0, v172, s0
	v_cmp_lt_i32_e64 s0, v103, v98
	s_delay_alu instid0(VALU_DEP_1) | instskip(SKIP_1) | instid1(VALU_DEP_1)
	v_cndmask_b32_e64 v170, 0, v170, s0
	v_cmp_lt_i32_e64 s0, v86, v98
	v_cndmask_b32_e64 v169, 0, v169, s0
; %bb.2011:                             ;   in Loop: Header=BB253_1059 Depth=1
	s_or_b32 exec_lo, exec_lo, s10
	flat_load_b32 v173, v[14:15] offset:3584
	v_mov_b32_e32 v16, 0
	v_mov_b32_e32 v17, 0
	s_mov_b32 s10, exec_lo
	s_waitcnt vmcnt(0) lgkmcnt(0)
	v_and_b32_e32 v8, 0xff, v173
	s_delay_alu instid0(VALU_DEP_2) | instskip(NEXT) | instid1(VALU_DEP_2)
	v_dual_mov_b32 v4, v16 :: v_dual_mov_b32 v5, v17
	v_cmpx_ne_u16_e32 0, v8
	s_cbranch_execz .LBB253_2019
; %bb.2012:                             ;   in Loop: Header=BB253_1059 Depth=1
	v_bfrev_b32_e32 v4, 1
	v_mov_b32_e32 v5, 0
	s_mov_b32 s12, exec_lo
	v_cmpx_ne_u16_e32 0x80, v8
	s_cbranch_execz .LBB253_2018
; %bb.2013:                             ;   in Loop: Header=BB253_1059 Depth=1
	v_mov_b32_e32 v4, 0x7f800001
	v_dual_mov_b32 v5, 0 :: v_dual_and_b32 v18, 0x7f, v173
	s_mov_b32 s13, exec_lo
	s_delay_alu instid0(VALU_DEP_1)
	v_cmpx_ne_u32_e32 0x7f, v18
	s_cbranch_execz .LBB253_2017
; %bb.2014:                             ;   in Loop: Header=BB253_1059 Depth=1
	v_and_b32_e32 v8, 7, v173
	v_lshrrev_b32_e32 v4, 3, v18
	s_mov_b32 s15, exec_lo
	v_cmpx_gt_u32_e32 8, v18
; %bb.2015:                             ;   in Loop: Header=BB253_1059 Depth=1
	s_delay_alu instid0(VALU_DEP_3) | instskip(NEXT) | instid1(VALU_DEP_1)
	v_clz_i32_u32_e32 v4, v8
	v_min_u32_e32 v4, 32, v4
	s_delay_alu instid0(VALU_DEP_1) | instskip(SKIP_1) | instid1(VALU_DEP_2)
	v_subrev_nc_u32_e32 v5, 28, v4
	v_sub_nc_u32_e32 v4, 29, v4
	v_lshlrev_b64 v[18:19], v5, v[8:9]
	s_delay_alu instid0(VALU_DEP_1)
	v_and_b32_e32 v8, 7, v18
; %bb.2016:                             ;   in Loop: Header=BB253_1059 Depth=1
	s_or_b32 exec_lo, exec_lo, s15
	v_lshlrev_b32_e32 v5, 24, v173
	s_delay_alu instid0(VALU_DEP_2) | instskip(SKIP_1) | instid1(VALU_DEP_3)
	v_lshlrev_b32_e32 v8, 20, v8
	v_lshl_add_u32 v4, v4, 23, 0x3c000000
	v_and_b32_e32 v5, 0x80000000, v5
	s_delay_alu instid0(VALU_DEP_1) | instskip(NEXT) | instid1(VALU_DEP_1)
	v_or3_b32 v8, v8, v5, v4
	v_dual_mov_b32 v4, v8 :: v_dual_mov_b32 v5, v9
.LBB253_2017:                           ;   in Loop: Header=BB253_1059 Depth=1
	s_or_b32 exec_lo, exec_lo, s13
.LBB253_2018:                           ;   in Loop: Header=BB253_1059 Depth=1
	s_delay_alu instid0(SALU_CYCLE_1)
	s_or_b32 exec_lo, exec_lo, s12
.LBB253_2019:                           ;   in Loop: Header=BB253_1059 Depth=1
	s_delay_alu instid0(SALU_CYCLE_1) | instskip(SKIP_2) | instid1(VALU_DEP_1)
	s_or_b32 exec_lo, exec_lo, s10
	v_lshrrev_b16 v8, 8, v173
	s_mov_b32 s12, exec_lo
	v_cmpx_ne_u16_e32 0, v8
	s_cbranch_execz .LBB253_2027
; %bb.2020:                             ;   in Loop: Header=BB253_1059 Depth=1
	v_dual_mov_b32 v17, s9 :: v_dual_mov_b32 v16, s8
	s_mov_b32 s13, exec_lo
	v_cmpx_ne_u16_e32 0x80, v8
	s_cbranch_execz .LBB253_2026
; %bb.2021:                             ;   in Loop: Header=BB253_1059 Depth=1
	s_mov_b32 s10, s8
	v_dual_mov_b32 v17, s11 :: v_dual_and_b32 v8, 0xffff, v8
	v_mov_b32_e32 v16, s10
	s_mov_b32 s10, exec_lo
	s_delay_alu instid0(VALU_DEP_2) | instskip(NEXT) | instid1(VALU_DEP_1)
	v_and_b32_e32 v18, 0x7f, v8
	v_cmpx_ne_u32_e32 0x7f, v18
	s_cbranch_execz .LBB253_2025
; %bb.2022:                             ;   in Loop: Header=BB253_1059 Depth=1
	v_and_b32_e32 v8, 7, v8
	v_lshrrev_b32_e32 v16, 3, v18
	s_mov_b32 s15, exec_lo
	v_cmpx_gt_u32_e32 8, v18
; %bb.2023:                             ;   in Loop: Header=BB253_1059 Depth=1
	s_delay_alu instid0(VALU_DEP_3) | instskip(NEXT) | instid1(VALU_DEP_1)
	v_clz_i32_u32_e32 v16, v8
	v_min_u32_e32 v16, 32, v16
	s_delay_alu instid0(VALU_DEP_1) | instskip(SKIP_1) | instid1(VALU_DEP_2)
	v_subrev_nc_u32_e32 v17, 28, v16
	v_sub_nc_u32_e32 v16, 29, v16
	v_lshlrev_b64 v[17:18], v17, v[8:9]
	s_delay_alu instid0(VALU_DEP_1)
	v_and_b32_e32 v8, 7, v17
; %bb.2024:                             ;   in Loop: Header=BB253_1059 Depth=1
	s_or_b32 exec_lo, exec_lo, s15
	v_lshlrev_b32_e32 v17, 16, v173
	s_delay_alu instid0(VALU_DEP_2) | instskip(SKIP_1) | instid1(VALU_DEP_3)
	v_lshlrev_b32_e32 v8, 20, v8
	v_lshl_add_u32 v16, v16, 23, 0x3c000000
	v_and_b32_e32 v17, 0x80000000, v17
	s_delay_alu instid0(VALU_DEP_1)
	v_or3_b32 v17, v8, v17, v16
	v_mov_b32_e32 v16, v9
.LBB253_2025:                           ;   in Loop: Header=BB253_1059 Depth=1
	s_or_b32 exec_lo, exec_lo, s10
.LBB253_2026:                           ;   in Loop: Header=BB253_1059 Depth=1
	s_delay_alu instid0(SALU_CYCLE_1)
	s_or_b32 exec_lo, exec_lo, s13
.LBB253_2027:                           ;   in Loop: Header=BB253_1059 Depth=1
	s_delay_alu instid0(SALU_CYCLE_1) | instskip(SKIP_4) | instid1(VALU_DEP_2)
	s_or_b32 exec_lo, exec_lo, s12
	v_mov_b32_e32 v20, 0
	v_lshrrev_b32_e32 v174, 16, v173
	v_mov_b32_e32 v21, 0
	s_mov_b32 s10, exec_lo
	v_and_b32_e32 v8, 0xff, v174
	s_delay_alu instid0(VALU_DEP_2) | instskip(NEXT) | instid1(VALU_DEP_2)
	v_dual_mov_b32 v18, v20 :: v_dual_mov_b32 v19, v21
	v_cmpx_ne_u16_e32 0, v8
	s_cbranch_execz .LBB253_2035
; %bb.2028:                             ;   in Loop: Header=BB253_1059 Depth=1
	v_bfrev_b32_e32 v18, 1
	v_mov_b32_e32 v19, 0
	s_mov_b32 s12, exec_lo
	v_cmpx_ne_u16_e32 0x80, v8
	s_cbranch_execz .LBB253_2034
; %bb.2029:                             ;   in Loop: Header=BB253_1059 Depth=1
	v_mov_b32_e32 v18, 0x7f800001
	v_bfe_u32 v175, v173, 16, 7
	v_mov_b32_e32 v19, 0
	s_mov_b32 s13, exec_lo
	s_delay_alu instid0(VALU_DEP_2)
	v_cmpx_ne_u32_e32 0x7f, v175
	s_cbranch_execz .LBB253_2033
; %bb.2030:                             ;   in Loop: Header=BB253_1059 Depth=1
	v_and_b32_e32 v8, 7, v174
	v_lshrrev_b32_e32 v18, 3, v175
	s_mov_b32 s15, exec_lo
	v_cmpx_gt_u32_e32 8, v175
; %bb.2031:                             ;   in Loop: Header=BB253_1059 Depth=1
	s_delay_alu instid0(VALU_DEP_3) | instskip(NEXT) | instid1(VALU_DEP_1)
	v_clz_i32_u32_e32 v18, v8
	v_min_u32_e32 v18, 32, v18
	s_delay_alu instid0(VALU_DEP_1) | instskip(SKIP_1) | instid1(VALU_DEP_2)
	v_subrev_nc_u32_e32 v19, 28, v18
	v_sub_nc_u32_e32 v18, 29, v18
	v_lshlrev_b64 v[184:185], v19, v[8:9]
	s_delay_alu instid0(VALU_DEP_1)
	v_and_b32_e32 v8, 7, v184
; %bb.2032:                             ;   in Loop: Header=BB253_1059 Depth=1
	s_or_b32 exec_lo, exec_lo, s15
	v_lshlrev_b32_e32 v19, 24, v174
	s_delay_alu instid0(VALU_DEP_2) | instskip(SKIP_1) | instid1(VALU_DEP_3)
	v_lshlrev_b32_e32 v8, 20, v8
	v_lshl_add_u32 v18, v18, 23, 0x3c000000
	v_and_b32_e32 v19, 0x80000000, v19
	s_delay_alu instid0(VALU_DEP_1) | instskip(NEXT) | instid1(VALU_DEP_1)
	v_or3_b32 v8, v8, v19, v18
	v_dual_mov_b32 v19, v9 :: v_dual_mov_b32 v18, v8
.LBB253_2033:                           ;   in Loop: Header=BB253_1059 Depth=1
	s_or_b32 exec_lo, exec_lo, s13
.LBB253_2034:                           ;   in Loop: Header=BB253_1059 Depth=1
	s_delay_alu instid0(SALU_CYCLE_1)
	s_or_b32 exec_lo, exec_lo, s12
.LBB253_2035:                           ;   in Loop: Header=BB253_1059 Depth=1
	s_delay_alu instid0(SALU_CYCLE_1) | instskip(NEXT) | instid1(SALU_CYCLE_1)
	s_or_b32 exec_lo, exec_lo, s10
	s_mov_b32 s12, exec_lo
	v_cmpx_lt_u32_e32 0xffffff, v173
	s_cbranch_execz .LBB253_2043
; %bb.2036:                             ;   in Loop: Header=BB253_1059 Depth=1
	v_lshrrev_b32_e32 v174, 24, v173
	v_dual_mov_b32 v21, s9 :: v_dual_mov_b32 v20, s8
	s_mov_b32 s13, exec_lo
	s_delay_alu instid0(VALU_DEP_2)
	v_cmpx_ne_u32_e32 0x80, v174
	s_cbranch_execz .LBB253_2042
; %bb.2037:                             ;   in Loop: Header=BB253_1059 Depth=1
	s_mov_b32 s10, s8
	v_bfe_u32 v173, v173, 24, 7
	v_dual_mov_b32 v21, s11 :: v_dual_mov_b32 v20, s10
	s_mov_b32 s10, exec_lo
	s_delay_alu instid0(VALU_DEP_2)
	v_cmpx_ne_u32_e32 0x7f, v173
	s_cbranch_execz .LBB253_2041
; %bb.2038:                             ;   in Loop: Header=BB253_1059 Depth=1
	v_and_b32_e32 v8, 7, v174
	v_lshrrev_b32_e32 v20, 3, v173
	s_mov_b32 s15, exec_lo
	v_cmpx_gt_u32_e32 8, v173
; %bb.2039:                             ;   in Loop: Header=BB253_1059 Depth=1
	s_delay_alu instid0(VALU_DEP_3) | instskip(NEXT) | instid1(VALU_DEP_1)
	v_clz_i32_u32_e32 v20, v8
	v_min_u32_e32 v20, 32, v20
	s_delay_alu instid0(VALU_DEP_1) | instskip(SKIP_1) | instid1(VALU_DEP_2)
	v_subrev_nc_u32_e32 v21, 28, v20
	v_sub_nc_u32_e32 v20, 29, v20
	v_lshlrev_b64 v[184:185], v21, v[8:9]
	s_delay_alu instid0(VALU_DEP_1)
	v_and_b32_e32 v8, 7, v184
; %bb.2040:                             ;   in Loop: Header=BB253_1059 Depth=1
	s_or_b32 exec_lo, exec_lo, s15
	v_lshlrev_b32_e32 v21, 24, v174
	s_delay_alu instid0(VALU_DEP_2) | instskip(SKIP_1) | instid1(VALU_DEP_3)
	v_lshlrev_b32_e32 v8, 20, v8
	v_lshl_add_u32 v20, v20, 23, 0x3c000000
	v_and_b32_e32 v21, 0x80000000, v21
	s_delay_alu instid0(VALU_DEP_1)
	v_or3_b32 v21, v8, v21, v20
	v_mov_b32_e32 v20, v9
.LBB253_2041:                           ;   in Loop: Header=BB253_1059 Depth=1
	s_or_b32 exec_lo, exec_lo, s10
.LBB253_2042:                           ;   in Loop: Header=BB253_1059 Depth=1
	s_delay_alu instid0(SALU_CYCLE_1)
	s_or_b32 exec_lo, exec_lo, s13
.LBB253_2043:                           ;   in Loop: Header=BB253_1059 Depth=1
	s_delay_alu instid0(SALU_CYCLE_1) | instskip(SKIP_4) | instid1(VALU_DEP_3)
	s_or_b32 exec_lo, exec_lo, s12
	v_or_b32_e32 v5, v17, v5
	v_or_b32_e32 v4, v16, v4
	;; [unrolled: 1-line block ×4, first 2 shown]
	v_dual_mul_f32 v184, v96, v5 :: v_dual_mul_f32 v175, v82, v4
	s_delay_alu instid0(VALU_DEP_3) | instskip(NEXT) | instid1(VALU_DEP_3)
	v_mul_f32_e32 v173, v96, v8
	v_mul_f32_e32 v174, v82, v16
	s_and_saveexec_b32 s10, vcc_lo
; %bb.2044:                             ;   in Loop: Header=BB253_1059 Depth=1
	v_cmp_lt_i32_e64 s0, v102, v98
	s_delay_alu instid0(VALU_DEP_1) | instskip(SKIP_1) | instid1(VALU_DEP_1)
	v_cndmask_b32_e64 v175, 0, v175, s0
	v_cmp_lt_i32_e64 s0, v112, v98
	v_cndmask_b32_e64 v184, 0, v184, s0
	v_cmp_lt_i32_e64 s0, v103, v98
	s_delay_alu instid0(VALU_DEP_1) | instskip(SKIP_1) | instid1(VALU_DEP_1)
	v_cndmask_b32_e64 v174, 0, v174, s0
	v_cmp_lt_i32_e64 s0, v86, v98
	v_cndmask_b32_e64 v173, 0, v173, s0
; %bb.2045:                             ;   in Loop: Header=BB253_1059 Depth=1
	s_or_b32 exec_lo, exec_lo, s10
	flat_load_b32 v185, v[14:15] offset:3712
	v_mov_b32_e32 v16, 0
	v_mov_b32_e32 v17, 0
	s_mov_b32 s10, exec_lo
	s_waitcnt vmcnt(0) lgkmcnt(0)
	v_and_b32_e32 v8, 0xff, v185
	s_delay_alu instid0(VALU_DEP_2) | instskip(NEXT) | instid1(VALU_DEP_2)
	v_dual_mov_b32 v4, v16 :: v_dual_mov_b32 v5, v17
	v_cmpx_ne_u16_e32 0, v8
	s_cbranch_execz .LBB253_2053
; %bb.2046:                             ;   in Loop: Header=BB253_1059 Depth=1
	v_bfrev_b32_e32 v4, 1
	v_mov_b32_e32 v5, 0
	s_mov_b32 s12, exec_lo
	v_cmpx_ne_u16_e32 0x80, v8
	s_cbranch_execz .LBB253_2052
; %bb.2047:                             ;   in Loop: Header=BB253_1059 Depth=1
	v_mov_b32_e32 v4, 0x7f800001
	v_dual_mov_b32 v5, 0 :: v_dual_and_b32 v18, 0x7f, v185
	s_mov_b32 s13, exec_lo
	s_delay_alu instid0(VALU_DEP_1)
	v_cmpx_ne_u32_e32 0x7f, v18
	s_cbranch_execz .LBB253_2051
; %bb.2048:                             ;   in Loop: Header=BB253_1059 Depth=1
	v_and_b32_e32 v8, 7, v185
	v_lshrrev_b32_e32 v4, 3, v18
	s_mov_b32 s15, exec_lo
	v_cmpx_gt_u32_e32 8, v18
; %bb.2049:                             ;   in Loop: Header=BB253_1059 Depth=1
	s_delay_alu instid0(VALU_DEP_3) | instskip(NEXT) | instid1(VALU_DEP_1)
	v_clz_i32_u32_e32 v4, v8
	v_min_u32_e32 v4, 32, v4
	s_delay_alu instid0(VALU_DEP_1) | instskip(SKIP_1) | instid1(VALU_DEP_2)
	v_subrev_nc_u32_e32 v5, 28, v4
	v_sub_nc_u32_e32 v4, 29, v4
	v_lshlrev_b64 v[18:19], v5, v[8:9]
	s_delay_alu instid0(VALU_DEP_1)
	v_and_b32_e32 v8, 7, v18
; %bb.2050:                             ;   in Loop: Header=BB253_1059 Depth=1
	s_or_b32 exec_lo, exec_lo, s15
	v_lshlrev_b32_e32 v5, 24, v185
	s_delay_alu instid0(VALU_DEP_2) | instskip(SKIP_1) | instid1(VALU_DEP_3)
	v_lshlrev_b32_e32 v8, 20, v8
	v_lshl_add_u32 v4, v4, 23, 0x3c000000
	v_and_b32_e32 v5, 0x80000000, v5
	s_delay_alu instid0(VALU_DEP_1) | instskip(NEXT) | instid1(VALU_DEP_1)
	v_or3_b32 v8, v8, v5, v4
	v_dual_mov_b32 v4, v8 :: v_dual_mov_b32 v5, v9
.LBB253_2051:                           ;   in Loop: Header=BB253_1059 Depth=1
	s_or_b32 exec_lo, exec_lo, s13
.LBB253_2052:                           ;   in Loop: Header=BB253_1059 Depth=1
	s_delay_alu instid0(SALU_CYCLE_1)
	s_or_b32 exec_lo, exec_lo, s12
.LBB253_2053:                           ;   in Loop: Header=BB253_1059 Depth=1
	s_delay_alu instid0(SALU_CYCLE_1) | instskip(SKIP_2) | instid1(VALU_DEP_1)
	s_or_b32 exec_lo, exec_lo, s10
	v_lshrrev_b16 v8, 8, v185
	s_mov_b32 s12, exec_lo
	v_cmpx_ne_u16_e32 0, v8
	s_cbranch_execz .LBB253_2061
; %bb.2054:                             ;   in Loop: Header=BB253_1059 Depth=1
	v_dual_mov_b32 v17, s9 :: v_dual_mov_b32 v16, s8
	s_mov_b32 s13, exec_lo
	v_cmpx_ne_u16_e32 0x80, v8
	s_cbranch_execz .LBB253_2060
; %bb.2055:                             ;   in Loop: Header=BB253_1059 Depth=1
	s_mov_b32 s10, s8
	v_dual_mov_b32 v17, s11 :: v_dual_and_b32 v8, 0xffff, v8
	v_mov_b32_e32 v16, s10
	s_mov_b32 s10, exec_lo
	s_delay_alu instid0(VALU_DEP_2) | instskip(NEXT) | instid1(VALU_DEP_1)
	v_and_b32_e32 v18, 0x7f, v8
	v_cmpx_ne_u32_e32 0x7f, v18
	s_cbranch_execz .LBB253_2059
; %bb.2056:                             ;   in Loop: Header=BB253_1059 Depth=1
	v_and_b32_e32 v8, 7, v8
	v_lshrrev_b32_e32 v16, 3, v18
	s_mov_b32 s15, exec_lo
	v_cmpx_gt_u32_e32 8, v18
; %bb.2057:                             ;   in Loop: Header=BB253_1059 Depth=1
	s_delay_alu instid0(VALU_DEP_3) | instskip(NEXT) | instid1(VALU_DEP_1)
	v_clz_i32_u32_e32 v16, v8
	v_min_u32_e32 v16, 32, v16
	s_delay_alu instid0(VALU_DEP_1) | instskip(SKIP_1) | instid1(VALU_DEP_2)
	v_subrev_nc_u32_e32 v17, 28, v16
	v_sub_nc_u32_e32 v16, 29, v16
	v_lshlrev_b64 v[17:18], v17, v[8:9]
	s_delay_alu instid0(VALU_DEP_1)
	v_and_b32_e32 v8, 7, v17
; %bb.2058:                             ;   in Loop: Header=BB253_1059 Depth=1
	s_or_b32 exec_lo, exec_lo, s15
	v_lshlrev_b32_e32 v17, 16, v185
	s_delay_alu instid0(VALU_DEP_2) | instskip(SKIP_1) | instid1(VALU_DEP_3)
	v_lshlrev_b32_e32 v8, 20, v8
	v_lshl_add_u32 v16, v16, 23, 0x3c000000
	v_and_b32_e32 v17, 0x80000000, v17
	s_delay_alu instid0(VALU_DEP_1)
	v_or3_b32 v17, v8, v17, v16
	v_mov_b32_e32 v16, v9
.LBB253_2059:                           ;   in Loop: Header=BB253_1059 Depth=1
	s_or_b32 exec_lo, exec_lo, s10
.LBB253_2060:                           ;   in Loop: Header=BB253_1059 Depth=1
	s_delay_alu instid0(SALU_CYCLE_1)
	s_or_b32 exec_lo, exec_lo, s13
.LBB253_2061:                           ;   in Loop: Header=BB253_1059 Depth=1
	s_delay_alu instid0(SALU_CYCLE_1) | instskip(SKIP_4) | instid1(VALU_DEP_1)
	s_or_b32 exec_lo, exec_lo, s12
	v_mov_b32_e32 v18, 0
	v_lshrrev_b32_e32 v186, 16, v185
	v_mov_b32_e32 v19, 0
	s_mov_b32 s10, exec_lo
	v_dual_mov_b32 v21, v19 :: v_dual_and_b32 v8, 0xff, v186
	v_mov_b32_e32 v20, v18
	s_delay_alu instid0(VALU_DEP_2)
	v_cmpx_ne_u16_e32 0, v8
	s_cbranch_execz .LBB253_2069
; %bb.2062:                             ;   in Loop: Header=BB253_1059 Depth=1
	v_bfrev_b32_e32 v20, 1
	v_mov_b32_e32 v21, 0
	s_mov_b32 s12, exec_lo
	v_cmpx_ne_u16_e32 0x80, v8
	s_cbranch_execz .LBB253_2068
; %bb.2063:                             ;   in Loop: Header=BB253_1059 Depth=1
	v_mov_b32_e32 v20, 0x7f800001
	v_bfe_u32 v187, v185, 16, 7
	v_mov_b32_e32 v21, 0
	s_mov_b32 s13, exec_lo
	s_delay_alu instid0(VALU_DEP_2)
	v_cmpx_ne_u32_e32 0x7f, v187
	s_cbranch_execz .LBB253_2067
; %bb.2064:                             ;   in Loop: Header=BB253_1059 Depth=1
	v_and_b32_e32 v8, 7, v186
	v_lshrrev_b32_e32 v20, 3, v187
	s_mov_b32 s15, exec_lo
	v_cmpx_gt_u32_e32 8, v187
; %bb.2065:                             ;   in Loop: Header=BB253_1059 Depth=1
	s_delay_alu instid0(VALU_DEP_3) | instskip(NEXT) | instid1(VALU_DEP_1)
	v_clz_i32_u32_e32 v20, v8
	v_min_u32_e32 v20, 32, v20
	s_delay_alu instid0(VALU_DEP_1) | instskip(SKIP_1) | instid1(VALU_DEP_2)
	v_subrev_nc_u32_e32 v21, 28, v20
	v_sub_nc_u32_e32 v20, 29, v20
	v_lshlrev_b64 v[187:188], v21, v[8:9]
	s_delay_alu instid0(VALU_DEP_1)
	v_and_b32_e32 v8, 7, v187
; %bb.2066:                             ;   in Loop: Header=BB253_1059 Depth=1
	s_or_b32 exec_lo, exec_lo, s15
	v_lshlrev_b32_e32 v21, 24, v186
	s_delay_alu instid0(VALU_DEP_2) | instskip(SKIP_1) | instid1(VALU_DEP_3)
	v_lshlrev_b32_e32 v8, 20, v8
	v_lshl_add_u32 v20, v20, 23, 0x3c000000
	v_and_b32_e32 v21, 0x80000000, v21
	s_delay_alu instid0(VALU_DEP_1) | instskip(NEXT) | instid1(VALU_DEP_1)
	v_or3_b32 v8, v8, v21, v20
	v_dual_mov_b32 v21, v9 :: v_dual_mov_b32 v20, v8
.LBB253_2067:                           ;   in Loop: Header=BB253_1059 Depth=1
	s_or_b32 exec_lo, exec_lo, s13
.LBB253_2068:                           ;   in Loop: Header=BB253_1059 Depth=1
	s_delay_alu instid0(SALU_CYCLE_1)
	s_or_b32 exec_lo, exec_lo, s12
.LBB253_2069:                           ;   in Loop: Header=BB253_1059 Depth=1
	s_delay_alu instid0(SALU_CYCLE_1) | instskip(NEXT) | instid1(SALU_CYCLE_1)
	s_or_b32 exec_lo, exec_lo, s10
	s_mov_b32 s12, exec_lo
	v_cmpx_lt_u32_e32 0xffffff, v185
	s_cbranch_execz .LBB253_2077
; %bb.2070:                             ;   in Loop: Header=BB253_1059 Depth=1
	v_lshrrev_b32_e32 v186, 24, v185
	v_dual_mov_b32 v19, s9 :: v_dual_mov_b32 v18, s8
	s_mov_b32 s13, exec_lo
	s_delay_alu instid0(VALU_DEP_2)
	v_cmpx_ne_u32_e32 0x80, v186
	s_cbranch_execz .LBB253_2076
; %bb.2071:                             ;   in Loop: Header=BB253_1059 Depth=1
	s_mov_b32 s10, s8
	v_bfe_u32 v185, v185, 24, 7
	v_dual_mov_b32 v19, s11 :: v_dual_mov_b32 v18, s10
	s_mov_b32 s10, exec_lo
	s_delay_alu instid0(VALU_DEP_2)
	v_cmpx_ne_u32_e32 0x7f, v185
	s_cbranch_execz .LBB253_2075
; %bb.2072:                             ;   in Loop: Header=BB253_1059 Depth=1
	v_and_b32_e32 v8, 7, v186
	v_lshrrev_b32_e32 v18, 3, v185
	s_mov_b32 s15, exec_lo
	v_cmpx_gt_u32_e32 8, v185
; %bb.2073:                             ;   in Loop: Header=BB253_1059 Depth=1
	s_delay_alu instid0(VALU_DEP_3) | instskip(NEXT) | instid1(VALU_DEP_1)
	v_clz_i32_u32_e32 v18, v8
	v_min_u32_e32 v18, 32, v18
	s_delay_alu instid0(VALU_DEP_1) | instskip(SKIP_1) | instid1(VALU_DEP_2)
	v_subrev_nc_u32_e32 v19, 28, v18
	v_sub_nc_u32_e32 v18, 29, v18
	v_lshlrev_b64 v[187:188], v19, v[8:9]
	s_delay_alu instid0(VALU_DEP_1)
	v_and_b32_e32 v8, 7, v187
; %bb.2074:                             ;   in Loop: Header=BB253_1059 Depth=1
	s_or_b32 exec_lo, exec_lo, s15
	v_lshlrev_b32_e32 v19, 24, v186
	s_delay_alu instid0(VALU_DEP_2) | instskip(SKIP_1) | instid1(VALU_DEP_3)
	v_lshlrev_b32_e32 v8, 20, v8
	v_lshl_add_u32 v18, v18, 23, 0x3c000000
	v_and_b32_e32 v19, 0x80000000, v19
	s_delay_alu instid0(VALU_DEP_1)
	v_or3_b32 v19, v8, v19, v18
	v_mov_b32_e32 v18, v9
.LBB253_2075:                           ;   in Loop: Header=BB253_1059 Depth=1
	s_or_b32 exec_lo, exec_lo, s10
.LBB253_2076:                           ;   in Loop: Header=BB253_1059 Depth=1
	s_delay_alu instid0(SALU_CYCLE_1)
	s_or_b32 exec_lo, exec_lo, s13
.LBB253_2077:                           ;   in Loop: Header=BB253_1059 Depth=1
	s_delay_alu instid0(SALU_CYCLE_1) | instskip(SKIP_4) | instid1(VALU_DEP_3)
	s_or_b32 exec_lo, exec_lo, s12
	v_or_b32_e32 v5, v17, v5
	v_or_b32_e32 v4, v16, v4
	;; [unrolled: 1-line block ×4, first 2 shown]
	v_dual_mul_f32 v186, v96, v5 :: v_dual_mul_f32 v185, v82, v4
	s_delay_alu instid0(VALU_DEP_3) | instskip(NEXT) | instid1(VALU_DEP_3)
	v_mul_f32_e32 v20, v96, v8
	v_mul_f32_e32 v21, v82, v16
	s_and_saveexec_b32 s10, vcc_lo
; %bb.2078:                             ;   in Loop: Header=BB253_1059 Depth=1
	v_cmp_lt_i32_e64 s0, v102, v98
	s_delay_alu instid0(VALU_DEP_1) | instskip(SKIP_1) | instid1(VALU_DEP_1)
	v_cndmask_b32_e64 v185, 0, v185, s0
	v_cmp_lt_i32_e64 s0, v112, v98
	v_cndmask_b32_e64 v186, 0, v186, s0
	v_cmp_lt_i32_e64 s0, v103, v98
	s_delay_alu instid0(VALU_DEP_1) | instskip(SKIP_1) | instid1(VALU_DEP_1)
	v_cndmask_b32_e64 v21, 0, v21, s0
	v_cmp_lt_i32_e64 s0, v86, v98
	v_cndmask_b32_e64 v20, 0, v20, s0
; %bb.2079:                             ;   in Loop: Header=BB253_1059 Depth=1
	s_or_b32 exec_lo, exec_lo, s10
	flat_load_b32 v187, v[14:15] offset:3840
	v_mov_b32_e32 v14, 0
	v_mov_b32_e32 v15, 0
	s_mov_b32 s10, exec_lo
	s_waitcnt vmcnt(0) lgkmcnt(0)
	v_and_b32_e32 v8, 0xff, v187
	s_delay_alu instid0(VALU_DEP_2) | instskip(NEXT) | instid1(VALU_DEP_2)
	v_dual_mov_b32 v4, v14 :: v_dual_mov_b32 v5, v15
	v_cmpx_ne_u16_e32 0, v8
	s_cbranch_execz .LBB253_2087
; %bb.2080:                             ;   in Loop: Header=BB253_1059 Depth=1
	v_bfrev_b32_e32 v4, 1
	v_mov_b32_e32 v5, 0
	s_mov_b32 s12, exec_lo
	v_cmpx_ne_u16_e32 0x80, v8
	s_cbranch_execz .LBB253_2086
; %bb.2081:                             ;   in Loop: Header=BB253_1059 Depth=1
	v_mov_b32_e32 v4, 0x7f800001
	v_dual_mov_b32 v5, 0 :: v_dual_and_b32 v16, 0x7f, v187
	s_mov_b32 s13, exec_lo
	s_delay_alu instid0(VALU_DEP_1)
	v_cmpx_ne_u32_e32 0x7f, v16
	s_cbranch_execz .LBB253_2085
; %bb.2082:                             ;   in Loop: Header=BB253_1059 Depth=1
	v_and_b32_e32 v8, 7, v187
	v_lshrrev_b32_e32 v4, 3, v16
	s_mov_b32 s15, exec_lo
	v_cmpx_gt_u32_e32 8, v16
; %bb.2083:                             ;   in Loop: Header=BB253_1059 Depth=1
	s_delay_alu instid0(VALU_DEP_3) | instskip(NEXT) | instid1(VALU_DEP_1)
	v_clz_i32_u32_e32 v4, v8
	v_min_u32_e32 v4, 32, v4
	s_delay_alu instid0(VALU_DEP_1) | instskip(SKIP_1) | instid1(VALU_DEP_2)
	v_subrev_nc_u32_e32 v5, 28, v4
	v_sub_nc_u32_e32 v4, 29, v4
	v_lshlrev_b64 v[16:17], v5, v[8:9]
	s_delay_alu instid0(VALU_DEP_1)
	v_and_b32_e32 v8, 7, v16
; %bb.2084:                             ;   in Loop: Header=BB253_1059 Depth=1
	s_or_b32 exec_lo, exec_lo, s15
	v_lshlrev_b32_e32 v5, 24, v187
	s_delay_alu instid0(VALU_DEP_2) | instskip(SKIP_1) | instid1(VALU_DEP_3)
	v_lshlrev_b32_e32 v8, 20, v8
	v_lshl_add_u32 v4, v4, 23, 0x3c000000
	v_and_b32_e32 v5, 0x80000000, v5
	s_delay_alu instid0(VALU_DEP_1) | instskip(NEXT) | instid1(VALU_DEP_1)
	v_or3_b32 v8, v8, v5, v4
	v_dual_mov_b32 v4, v8 :: v_dual_mov_b32 v5, v9
.LBB253_2085:                           ;   in Loop: Header=BB253_1059 Depth=1
	s_or_b32 exec_lo, exec_lo, s13
.LBB253_2086:                           ;   in Loop: Header=BB253_1059 Depth=1
	s_delay_alu instid0(SALU_CYCLE_1)
	s_or_b32 exec_lo, exec_lo, s12
.LBB253_2087:                           ;   in Loop: Header=BB253_1059 Depth=1
	s_delay_alu instid0(SALU_CYCLE_1) | instskip(SKIP_2) | instid1(VALU_DEP_1)
	s_or_b32 exec_lo, exec_lo, s10
	v_lshrrev_b16 v8, 8, v187
	s_mov_b32 s12, exec_lo
	v_cmpx_ne_u16_e32 0, v8
	s_cbranch_execz .LBB253_2095
; %bb.2088:                             ;   in Loop: Header=BB253_1059 Depth=1
	v_dual_mov_b32 v15, s9 :: v_dual_mov_b32 v14, s8
	s_mov_b32 s13, exec_lo
	v_cmpx_ne_u16_e32 0x80, v8
	s_cbranch_execz .LBB253_2094
; %bb.2089:                             ;   in Loop: Header=BB253_1059 Depth=1
	s_mov_b32 s10, s8
	v_dual_mov_b32 v15, s11 :: v_dual_and_b32 v8, 0xffff, v8
	v_mov_b32_e32 v14, s10
	s_mov_b32 s10, exec_lo
	s_delay_alu instid0(VALU_DEP_2) | instskip(NEXT) | instid1(VALU_DEP_1)
	v_and_b32_e32 v16, 0x7f, v8
	v_cmpx_ne_u32_e32 0x7f, v16
	s_cbranch_execz .LBB253_2093
; %bb.2090:                             ;   in Loop: Header=BB253_1059 Depth=1
	v_and_b32_e32 v8, 7, v8
	v_lshrrev_b32_e32 v14, 3, v16
	s_mov_b32 s15, exec_lo
	v_cmpx_gt_u32_e32 8, v16
; %bb.2091:                             ;   in Loop: Header=BB253_1059 Depth=1
	s_delay_alu instid0(VALU_DEP_3) | instskip(NEXT) | instid1(VALU_DEP_1)
	v_clz_i32_u32_e32 v14, v8
	v_min_u32_e32 v14, 32, v14
	s_delay_alu instid0(VALU_DEP_1) | instskip(SKIP_1) | instid1(VALU_DEP_2)
	v_subrev_nc_u32_e32 v15, 28, v14
	v_sub_nc_u32_e32 v14, 29, v14
	v_lshlrev_b64 v[15:16], v15, v[8:9]
	s_delay_alu instid0(VALU_DEP_1)
	v_and_b32_e32 v8, 7, v15
; %bb.2092:                             ;   in Loop: Header=BB253_1059 Depth=1
	s_or_b32 exec_lo, exec_lo, s15
	v_lshlrev_b32_e32 v15, 16, v187
	s_delay_alu instid0(VALU_DEP_2) | instskip(SKIP_1) | instid1(VALU_DEP_3)
	v_lshlrev_b32_e32 v8, 20, v8
	v_lshl_add_u32 v14, v14, 23, 0x3c000000
	v_and_b32_e32 v15, 0x80000000, v15
	s_delay_alu instid0(VALU_DEP_1)
	v_or3_b32 v15, v8, v15, v14
	v_mov_b32_e32 v14, v9
.LBB253_2093:                           ;   in Loop: Header=BB253_1059 Depth=1
	s_or_b32 exec_lo, exec_lo, s10
.LBB253_2094:                           ;   in Loop: Header=BB253_1059 Depth=1
	s_delay_alu instid0(SALU_CYCLE_1)
	s_or_b32 exec_lo, exec_lo, s13
.LBB253_2095:                           ;   in Loop: Header=BB253_1059 Depth=1
	s_delay_alu instid0(SALU_CYCLE_1) | instskip(SKIP_4) | instid1(VALU_DEP_1)
	s_or_b32 exec_lo, exec_lo, s12
	v_mov_b32_e32 v16, 0
	v_lshrrev_b32_e32 v188, 16, v187
	v_mov_b32_e32 v17, 0
	s_mov_b32 s10, exec_lo
	v_dual_mov_b32 v19, v17 :: v_dual_and_b32 v8, 0xff, v188
	v_mov_b32_e32 v18, v16
	s_delay_alu instid0(VALU_DEP_2)
	v_cmpx_ne_u16_e32 0, v8
	s_cbranch_execz .LBB253_2103
; %bb.2096:                             ;   in Loop: Header=BB253_1059 Depth=1
	v_bfrev_b32_e32 v18, 1
	v_mov_b32_e32 v19, 0
	s_mov_b32 s12, exec_lo
	v_cmpx_ne_u16_e32 0x80, v8
	s_cbranch_execz .LBB253_2102
; %bb.2097:                             ;   in Loop: Header=BB253_1059 Depth=1
	v_mov_b32_e32 v18, 0x7f800001
	v_bfe_u32 v189, v187, 16, 7
	v_mov_b32_e32 v19, 0
	s_mov_b32 s13, exec_lo
	s_delay_alu instid0(VALU_DEP_2)
	v_cmpx_ne_u32_e32 0x7f, v189
	s_cbranch_execz .LBB253_2101
; %bb.2098:                             ;   in Loop: Header=BB253_1059 Depth=1
	v_and_b32_e32 v8, 7, v188
	v_lshrrev_b32_e32 v18, 3, v189
	s_mov_b32 s15, exec_lo
	v_cmpx_gt_u32_e32 8, v189
; %bb.2099:                             ;   in Loop: Header=BB253_1059 Depth=1
	s_delay_alu instid0(VALU_DEP_3) | instskip(NEXT) | instid1(VALU_DEP_1)
	v_clz_i32_u32_e32 v18, v8
	v_min_u32_e32 v18, 32, v18
	s_delay_alu instid0(VALU_DEP_1) | instskip(SKIP_1) | instid1(VALU_DEP_2)
	v_subrev_nc_u32_e32 v19, 28, v18
	v_sub_nc_u32_e32 v18, 29, v18
	v_lshlrev_b64 v[189:190], v19, v[8:9]
	s_delay_alu instid0(VALU_DEP_1)
	v_and_b32_e32 v8, 7, v189
; %bb.2100:                             ;   in Loop: Header=BB253_1059 Depth=1
	s_or_b32 exec_lo, exec_lo, s15
	v_lshlrev_b32_e32 v19, 24, v188
	s_delay_alu instid0(VALU_DEP_2) | instskip(SKIP_1) | instid1(VALU_DEP_3)
	v_lshlrev_b32_e32 v8, 20, v8
	v_lshl_add_u32 v18, v18, 23, 0x3c000000
	v_and_b32_e32 v19, 0x80000000, v19
	s_delay_alu instid0(VALU_DEP_1) | instskip(NEXT) | instid1(VALU_DEP_1)
	v_or3_b32 v8, v8, v19, v18
	v_dual_mov_b32 v19, v9 :: v_dual_mov_b32 v18, v8
.LBB253_2101:                           ;   in Loop: Header=BB253_1059 Depth=1
	s_or_b32 exec_lo, exec_lo, s13
.LBB253_2102:                           ;   in Loop: Header=BB253_1059 Depth=1
	s_delay_alu instid0(SALU_CYCLE_1)
	s_or_b32 exec_lo, exec_lo, s12
.LBB253_2103:                           ;   in Loop: Header=BB253_1059 Depth=1
	s_delay_alu instid0(SALU_CYCLE_1) | instskip(NEXT) | instid1(SALU_CYCLE_1)
	s_or_b32 exec_lo, exec_lo, s10
	s_mov_b32 s12, exec_lo
	v_cmpx_lt_u32_e32 0xffffff, v187
	s_cbranch_execz .LBB253_2111
; %bb.2104:                             ;   in Loop: Header=BB253_1059 Depth=1
	v_lshrrev_b32_e32 v188, 24, v187
	v_dual_mov_b32 v17, s9 :: v_dual_mov_b32 v16, s8
	s_mov_b32 s13, exec_lo
	s_delay_alu instid0(VALU_DEP_2)
	v_cmpx_ne_u32_e32 0x80, v188
	s_cbranch_execz .LBB253_2110
; %bb.2105:                             ;   in Loop: Header=BB253_1059 Depth=1
	s_mov_b32 s10, s8
	v_bfe_u32 v187, v187, 24, 7
	v_dual_mov_b32 v17, s11 :: v_dual_mov_b32 v16, s10
	s_mov_b32 s10, exec_lo
	s_delay_alu instid0(VALU_DEP_2)
	v_cmpx_ne_u32_e32 0x7f, v187
	s_cbranch_execz .LBB253_2109
; %bb.2106:                             ;   in Loop: Header=BB253_1059 Depth=1
	v_and_b32_e32 v8, 7, v188
	v_lshrrev_b32_e32 v16, 3, v187
	s_mov_b32 s15, exec_lo
	v_cmpx_gt_u32_e32 8, v187
; %bb.2107:                             ;   in Loop: Header=BB253_1059 Depth=1
	s_delay_alu instid0(VALU_DEP_3) | instskip(NEXT) | instid1(VALU_DEP_1)
	v_clz_i32_u32_e32 v16, v8
	v_min_u32_e32 v16, 32, v16
	s_delay_alu instid0(VALU_DEP_1) | instskip(SKIP_1) | instid1(VALU_DEP_2)
	v_subrev_nc_u32_e32 v17, 28, v16
	v_sub_nc_u32_e32 v16, 29, v16
	v_lshlrev_b64 v[189:190], v17, v[8:9]
	s_delay_alu instid0(VALU_DEP_1)
	v_and_b32_e32 v8, 7, v189
; %bb.2108:                             ;   in Loop: Header=BB253_1059 Depth=1
	s_or_b32 exec_lo, exec_lo, s15
	v_lshlrev_b32_e32 v17, 24, v188
	s_delay_alu instid0(VALU_DEP_2) | instskip(SKIP_1) | instid1(VALU_DEP_3)
	v_lshlrev_b32_e32 v8, 20, v8
	v_lshl_add_u32 v16, v16, 23, 0x3c000000
	v_and_b32_e32 v17, 0x80000000, v17
	s_delay_alu instid0(VALU_DEP_1)
	v_or3_b32 v17, v8, v17, v16
	v_mov_b32_e32 v16, v9
.LBB253_2109:                           ;   in Loop: Header=BB253_1059 Depth=1
	s_or_b32 exec_lo, exec_lo, s10
.LBB253_2110:                           ;   in Loop: Header=BB253_1059 Depth=1
	s_delay_alu instid0(SALU_CYCLE_1)
	s_or_b32 exec_lo, exec_lo, s13
.LBB253_2111:                           ;   in Loop: Header=BB253_1059 Depth=1
	s_delay_alu instid0(SALU_CYCLE_1) | instskip(SKIP_4) | instid1(VALU_DEP_3)
	s_or_b32 exec_lo, exec_lo, s12
	v_or_b32_e32 v5, v15, v5
	v_or_b32_e32 v4, v14, v4
	;; [unrolled: 1-line block ×4, first 2 shown]
	v_dual_mul_f32 v188, v96, v5 :: v_dual_mul_f32 v187, v82, v4
	s_delay_alu instid0(VALU_DEP_2)
	v_dual_mul_f32 v18, v96, v8 :: v_dual_mul_f32 v19, v82, v14
	s_and_saveexec_b32 s10, vcc_lo
; %bb.2112:                             ;   in Loop: Header=BB253_1059 Depth=1
	v_cmp_lt_i32_e64 s0, v102, v98
	s_delay_alu instid0(VALU_DEP_1) | instskip(SKIP_1) | instid1(VALU_DEP_1)
	v_cndmask_b32_e64 v187, 0, v187, s0
	v_cmp_lt_i32_e64 s0, v112, v98
	v_cndmask_b32_e64 v188, 0, v188, s0
	v_cmp_lt_i32_e64 s0, v103, v98
	s_delay_alu instid0(VALU_DEP_1) | instskip(SKIP_1) | instid1(VALU_DEP_1)
	v_cndmask_b32_e64 v19, 0, v19, s0
	v_cmp_lt_i32_e64 s0, v86, v98
	v_cndmask_b32_e64 v18, 0, v18, s0
; %bb.2113:                             ;   in Loop: Header=BB253_1059 Depth=1
	s_or_b32 exec_lo, exec_lo, s10
	v_add_co_u32 v4, s0, v12, v85
	s_delay_alu instid0(VALU_DEP_1)
	v_add_co_ci_u32_e64 v5, s0, 0, v13, s0
	s_mov_b32 s10, exec_lo
	flat_load_b32 v189, v[4:5]
	v_mov_b32_e32 v4, 0
	s_waitcnt vmcnt(0) lgkmcnt(0)
	v_dual_mov_b32 v5, 0 :: v_dual_and_b32 v8, 0xff, v189
	s_delay_alu instid0(VALU_DEP_1) | instskip(NEXT) | instid1(VALU_DEP_2)
	v_dual_mov_b32 v13, v5 :: v_dual_mov_b32 v12, v4
	v_cmpx_ne_u16_e32 0, v8
	s_cbranch_execz .LBB253_2121
; %bb.2114:                             ;   in Loop: Header=BB253_1059 Depth=1
	v_bfrev_b32_e32 v12, 1
	v_mov_b32_e32 v13, 0
	s_mov_b32 s12, exec_lo
	v_cmpx_ne_u16_e32 0x80, v8
	s_cbranch_execz .LBB253_2120
; %bb.2115:                             ;   in Loop: Header=BB253_1059 Depth=1
	v_mov_b32_e32 v12, 0x7f800001
	v_dual_mov_b32 v13, 0 :: v_dual_and_b32 v14, 0x7f, v189
	s_mov_b32 s13, exec_lo
	s_delay_alu instid0(VALU_DEP_1)
	v_cmpx_ne_u32_e32 0x7f, v14
	s_cbranch_execz .LBB253_2119
; %bb.2116:                             ;   in Loop: Header=BB253_1059 Depth=1
	v_and_b32_e32 v8, 7, v189
	v_lshrrev_b32_e32 v12, 3, v14
	s_mov_b32 s15, exec_lo
	v_cmpx_gt_u32_e32 8, v14
; %bb.2117:                             ;   in Loop: Header=BB253_1059 Depth=1
	s_delay_alu instid0(VALU_DEP_3) | instskip(NEXT) | instid1(VALU_DEP_1)
	v_clz_i32_u32_e32 v12, v8
	v_min_u32_e32 v12, 32, v12
	s_delay_alu instid0(VALU_DEP_1) | instskip(SKIP_1) | instid1(VALU_DEP_2)
	v_subrev_nc_u32_e32 v13, 28, v12
	v_sub_nc_u32_e32 v12, 29, v12
	v_lshlrev_b64 v[13:14], v13, v[8:9]
	s_delay_alu instid0(VALU_DEP_1)
	v_and_b32_e32 v8, 7, v13
; %bb.2118:                             ;   in Loop: Header=BB253_1059 Depth=1
	s_or_b32 exec_lo, exec_lo, s15
	v_lshlrev_b32_e32 v13, 24, v189
	s_delay_alu instid0(VALU_DEP_2) | instskip(SKIP_1) | instid1(VALU_DEP_3)
	v_lshlrev_b32_e32 v8, 20, v8
	v_lshl_add_u32 v12, v12, 23, 0x3c000000
	v_and_b32_e32 v13, 0x80000000, v13
	s_delay_alu instid0(VALU_DEP_1) | instskip(NEXT) | instid1(VALU_DEP_1)
	v_or3_b32 v8, v8, v13, v12
	v_dual_mov_b32 v13, v9 :: v_dual_mov_b32 v12, v8
.LBB253_2119:                           ;   in Loop: Header=BB253_1059 Depth=1
	s_or_b32 exec_lo, exec_lo, s13
.LBB253_2120:                           ;   in Loop: Header=BB253_1059 Depth=1
	s_delay_alu instid0(SALU_CYCLE_1)
	s_or_b32 exec_lo, exec_lo, s12
.LBB253_2121:                           ;   in Loop: Header=BB253_1059 Depth=1
	s_delay_alu instid0(SALU_CYCLE_1) | instskip(SKIP_2) | instid1(VALU_DEP_1)
	s_or_b32 exec_lo, exec_lo, s10
	v_lshrrev_b16 v8, 8, v189
	s_mov_b32 s12, exec_lo
	v_cmpx_ne_u16_e32 0, v8
	s_cbranch_execz .LBB253_2129
; %bb.2122:                             ;   in Loop: Header=BB253_1059 Depth=1
	v_dual_mov_b32 v4, s8 :: v_dual_mov_b32 v5, s9
	s_mov_b32 s13, exec_lo
	v_cmpx_ne_u16_e32 0x80, v8
	s_cbranch_execz .LBB253_2128
; %bb.2123:                             ;   in Loop: Header=BB253_1059 Depth=1
	s_mov_b32 s10, s8
	v_and_b32_e32 v8, 0xffff, v8
	v_dual_mov_b32 v4, s10 :: v_dual_mov_b32 v5, s11
	s_mov_b32 s10, exec_lo
	s_delay_alu instid0(VALU_DEP_2) | instskip(NEXT) | instid1(VALU_DEP_1)
	v_and_b32_e32 v14, 0x7f, v8
	v_cmpx_ne_u32_e32 0x7f, v14
	s_cbranch_execz .LBB253_2127
; %bb.2124:                             ;   in Loop: Header=BB253_1059 Depth=1
	v_and_b32_e32 v8, 7, v8
	v_lshrrev_b32_e32 v4, 3, v14
	s_mov_b32 s15, exec_lo
	v_cmpx_gt_u32_e32 8, v14
; %bb.2125:                             ;   in Loop: Header=BB253_1059 Depth=1
	s_delay_alu instid0(VALU_DEP_3) | instskip(NEXT) | instid1(VALU_DEP_1)
	v_clz_i32_u32_e32 v4, v8
	v_min_u32_e32 v4, 32, v4
	s_delay_alu instid0(VALU_DEP_1) | instskip(SKIP_1) | instid1(VALU_DEP_2)
	v_subrev_nc_u32_e32 v5, 28, v4
	v_sub_nc_u32_e32 v4, 29, v4
	v_lshlrev_b64 v[14:15], v5, v[8:9]
	s_delay_alu instid0(VALU_DEP_1)
	v_and_b32_e32 v8, 7, v14
; %bb.2126:                             ;   in Loop: Header=BB253_1059 Depth=1
	s_or_b32 exec_lo, exec_lo, s15
	v_lshlrev_b32_e32 v5, 16, v189
	s_delay_alu instid0(VALU_DEP_2) | instskip(SKIP_1) | instid1(VALU_DEP_3)
	v_lshlrev_b32_e32 v8, 20, v8
	v_lshl_add_u32 v4, v4, 23, 0x3c000000
	v_and_b32_e32 v5, 0x80000000, v5
	s_delay_alu instid0(VALU_DEP_1)
	v_or3_b32 v5, v8, v5, v4
	v_mov_b32_e32 v4, v9
.LBB253_2127:                           ;   in Loop: Header=BB253_1059 Depth=1
	s_or_b32 exec_lo, exec_lo, s10
.LBB253_2128:                           ;   in Loop: Header=BB253_1059 Depth=1
	s_delay_alu instid0(SALU_CYCLE_1)
	s_or_b32 exec_lo, exec_lo, s13
.LBB253_2129:                           ;   in Loop: Header=BB253_1059 Depth=1
	s_delay_alu instid0(SALU_CYCLE_1) | instskip(SKIP_4) | instid1(VALU_DEP_1)
	s_or_b32 exec_lo, exec_lo, s12
	v_mov_b32_e32 v14, 0
	v_lshrrev_b32_e32 v190, 16, v189
	v_mov_b32_e32 v15, 0
	s_mov_b32 s10, exec_lo
	v_dual_mov_b32 v17, v15 :: v_dual_and_b32 v8, 0xff, v190
	v_mov_b32_e32 v16, v14
	s_delay_alu instid0(VALU_DEP_2)
	v_cmpx_ne_u16_e32 0, v8
	s_cbranch_execz .LBB253_2137
; %bb.2130:                             ;   in Loop: Header=BB253_1059 Depth=1
	v_bfrev_b32_e32 v16, 1
	v_mov_b32_e32 v17, 0
	s_mov_b32 s12, exec_lo
	v_cmpx_ne_u16_e32 0x80, v8
	s_cbranch_execz .LBB253_2136
; %bb.2131:                             ;   in Loop: Header=BB253_1059 Depth=1
	v_mov_b32_e32 v16, 0x7f800001
	v_bfe_u32 v191, v189, 16, 7
	v_mov_b32_e32 v17, 0
	s_mov_b32 s13, exec_lo
	s_delay_alu instid0(VALU_DEP_2)
	v_cmpx_ne_u32_e32 0x7f, v191
	s_cbranch_execz .LBB253_2135
; %bb.2132:                             ;   in Loop: Header=BB253_1059 Depth=1
	v_and_b32_e32 v8, 7, v190
	v_lshrrev_b32_e32 v16, 3, v191
	s_mov_b32 s15, exec_lo
	v_cmpx_gt_u32_e32 8, v191
; %bb.2133:                             ;   in Loop: Header=BB253_1059 Depth=1
	s_delay_alu instid0(VALU_DEP_3) | instskip(NEXT) | instid1(VALU_DEP_1)
	v_clz_i32_u32_e32 v16, v8
	v_min_u32_e32 v16, 32, v16
	s_delay_alu instid0(VALU_DEP_1) | instskip(SKIP_1) | instid1(VALU_DEP_2)
	v_subrev_nc_u32_e32 v17, 28, v16
	v_sub_nc_u32_e32 v16, 29, v16
	v_lshlrev_b64 v[24:25], v17, v[8:9]
	s_delay_alu instid0(VALU_DEP_1)
	v_and_b32_e32 v8, 7, v24
; %bb.2134:                             ;   in Loop: Header=BB253_1059 Depth=1
	s_or_b32 exec_lo, exec_lo, s15
	v_lshlrev_b32_e32 v17, 24, v190
	s_delay_alu instid0(VALU_DEP_2) | instskip(SKIP_1) | instid1(VALU_DEP_3)
	v_lshlrev_b32_e32 v8, 20, v8
	v_lshl_add_u32 v16, v16, 23, 0x3c000000
	v_and_b32_e32 v17, 0x80000000, v17
	s_delay_alu instid0(VALU_DEP_1) | instskip(NEXT) | instid1(VALU_DEP_1)
	v_or3_b32 v8, v8, v17, v16
	v_dual_mov_b32 v17, v9 :: v_dual_mov_b32 v16, v8
.LBB253_2135:                           ;   in Loop: Header=BB253_1059 Depth=1
	s_or_b32 exec_lo, exec_lo, s13
.LBB253_2136:                           ;   in Loop: Header=BB253_1059 Depth=1
	s_delay_alu instid0(SALU_CYCLE_1)
	s_or_b32 exec_lo, exec_lo, s12
.LBB253_2137:                           ;   in Loop: Header=BB253_1059 Depth=1
	s_delay_alu instid0(SALU_CYCLE_1) | instskip(NEXT) | instid1(SALU_CYCLE_1)
	s_or_b32 exec_lo, exec_lo, s10
	s_mov_b32 s12, exec_lo
	v_cmpx_lt_u32_e32 0xffffff, v189
	s_cbranch_execz .LBB253_2145
; %bb.2138:                             ;   in Loop: Header=BB253_1059 Depth=1
	v_lshrrev_b32_e32 v190, 24, v189
	v_dual_mov_b32 v15, s9 :: v_dual_mov_b32 v14, s8
	s_mov_b32 s13, exec_lo
	s_delay_alu instid0(VALU_DEP_2)
	v_cmpx_ne_u32_e32 0x80, v190
	s_cbranch_execz .LBB253_2144
; %bb.2139:                             ;   in Loop: Header=BB253_1059 Depth=1
	s_mov_b32 s10, s8
	v_bfe_u32 v189, v189, 24, 7
	v_dual_mov_b32 v15, s11 :: v_dual_mov_b32 v14, s10
	s_mov_b32 s10, exec_lo
	s_delay_alu instid0(VALU_DEP_2)
	v_cmpx_ne_u32_e32 0x7f, v189
	s_cbranch_execz .LBB253_2143
; %bb.2140:                             ;   in Loop: Header=BB253_1059 Depth=1
	v_and_b32_e32 v8, 7, v190
	v_lshrrev_b32_e32 v14, 3, v189
	s_mov_b32 s15, exec_lo
	v_cmpx_gt_u32_e32 8, v189
; %bb.2141:                             ;   in Loop: Header=BB253_1059 Depth=1
	s_delay_alu instid0(VALU_DEP_3) | instskip(NEXT) | instid1(VALU_DEP_1)
	v_clz_i32_u32_e32 v14, v8
	v_min_u32_e32 v14, 32, v14
	s_delay_alu instid0(VALU_DEP_1) | instskip(SKIP_1) | instid1(VALU_DEP_2)
	v_subrev_nc_u32_e32 v15, 28, v14
	v_sub_nc_u32_e32 v14, 29, v14
	v_lshlrev_b64 v[24:25], v15, v[8:9]
	s_delay_alu instid0(VALU_DEP_1)
	v_and_b32_e32 v8, 7, v24
; %bb.2142:                             ;   in Loop: Header=BB253_1059 Depth=1
	s_or_b32 exec_lo, exec_lo, s15
	v_lshlrev_b32_e32 v15, 24, v190
	s_delay_alu instid0(VALU_DEP_2) | instskip(SKIP_1) | instid1(VALU_DEP_3)
	v_lshlrev_b32_e32 v8, 20, v8
	v_lshl_add_u32 v14, v14, 23, 0x3c000000
	v_and_b32_e32 v15, 0x80000000, v15
	s_delay_alu instid0(VALU_DEP_1)
	v_or3_b32 v15, v8, v15, v14
	v_mov_b32_e32 v14, v9
.LBB253_2143:                           ;   in Loop: Header=BB253_1059 Depth=1
	s_or_b32 exec_lo, exec_lo, s10
.LBB253_2144:                           ;   in Loop: Header=BB253_1059 Depth=1
	s_delay_alu instid0(SALU_CYCLE_1)
	s_or_b32 exec_lo, exec_lo, s13
.LBB253_2145:                           ;   in Loop: Header=BB253_1059 Depth=1
	s_delay_alu instid0(SALU_CYCLE_1) | instskip(SKIP_4) | instid1(VALU_DEP_4)
	s_or_b32 exec_lo, exec_lo, s12
	v_or_b32_e32 v5, v5, v13
	v_or_b32_e32 v4, v4, v12
	;; [unrolled: 1-line block ×4, first 2 shown]
	v_mul_f32_e32 v12, v96, v5
	s_delay_alu instid0(VALU_DEP_4) | instskip(NEXT) | instid1(VALU_DEP_3)
	v_mul_f32_e32 v8, v82, v4
	v_dual_mul_f32 v4, v96, v13 :: v_dual_mul_f32 v5, v82, v14
	s_and_saveexec_b32 s0, vcc_lo
	s_cbranch_execz .LBB253_1058
; %bb.2146:                             ;   in Loop: Header=BB253_1059 Depth=1
	v_cmp_lt_i32_e32 vcc_lo, v102, v98
	v_cndmask_b32_e32 v8, 0, v8, vcc_lo
	v_cmp_lt_i32_e32 vcc_lo, v112, v98
	v_cndmask_b32_e32 v12, 0, v12, vcc_lo
	;; [unrolled: 2-line block ×4, first 2 shown]
	s_branch .LBB253_1058
.LBB253_2147:
	s_or_b32 exec_lo, exec_lo, s5
	scratch_load_b32 v82, off, s32 offset:344 ; 4-byte Folded Reload
	v_dual_mov_b32 v0, s6 :: v_dual_mov_b32 v1, s7
.LBB253_2148:
	s_or_b32 exec_lo, exec_lo, s3
	s_delay_alu instid0(VALU_DEP_1)
	v_lshlrev_b64 v[0:1], 2, v[0:1]
	s_getpc_b64 s[6:7]
	s_add_u32 s6, s6, llvm.amdgcn.dynlds.offset.table@rel32@lo+4
	s_addc_u32 s7, s7, llvm.amdgcn.dynlds.offset.table@rel32@hi+12
	s_waitcnt vmcnt(0) lgkmcnt(0)
	s_waitcnt_vscnt null, 0x0
	s_barrier
	buffer_gl0_inv
	ds_bpermute_b32 v2, v23, v80
	v_add_co_u32 v0, vcc_lo, v0, s6
	v_add_co_ci_u32_e32 v1, vcc_lo, s7, v1, vcc_lo
	ds_bpermute_b32 v3, v23, v71
	ds_bpermute_b32 v4, v23, v69
	;; [unrolled: 1-line block ×3, first 2 shown]
	global_load_b32 v100, v[0:1], off
	ds_bpermute_b32 v0, v23, v70
	ds_bpermute_b32 v1, v23, v81
	;; [unrolled: 1-line block ×28, first 2 shown]
	scratch_load_b32 v99, off, s32 offset:1192 ; 4-byte Folded Reload
	s_waitcnt lgkmcnt(26)
	v_dual_add_f32 v1, v81, v1 :: v_dual_add_f32 v2, v80, v2
	v_dual_add_f32 v3, v71, v3 :: v_dual_add_f32 v4, v69, v4
	s_waitcnt lgkmcnt(25)
	v_dual_add_f32 v5, v68, v5 :: v_dual_add_f32 v6, v67, v6
	s_waitcnt lgkmcnt(23)
	;; [unrolled: 2-line block ×3, first 2 shown]
	v_dual_add_f32 v21, v36, v21 :: v_dual_add_f32 v24, v35, v24
	v_dual_add_f32 v9, v64, v9 :: v_dual_add_f32 v10, v55, v10
	;; [unrolled: 1-line block ×3, first 2 shown]
	s_waitcnt lgkmcnt(4)
	v_dual_add_f32 v31, v31, v86 :: v_dual_add_f32 v30, v30, v87
	v_dual_add_f32 v13, v52, v13 :: v_dual_add_f32 v14, v51, v14
	s_waitcnt lgkmcnt(0)
	v_dual_add_f32 v35, v83, v98 :: v_dual_add_f32 v36, v22, v23
	scratch_load_b32 v22, off, s32 offset:336 ; 4-byte Folded Reload
	v_dual_add_f32 v15, v50, v15 :: v_dual_add_f32 v16, v49, v16
	v_dual_add_f32 v17, v48, v17 :: v_dual_add_f32 v18, v39, v18
	;; [unrolled: 1-line block ×4, first 2 shown]
	v_add_f32_e32 v29, v29, v96
	v_lshrrev_b32_e32 v82, 2, v82
	s_mov_b32 s0, exec_lo
	s_waitcnt vmcnt(1)
	v_dual_add_f32 v0, v70, v0 :: v_dual_and_b32 v99, 0x3c3, v99
	s_waitcnt vmcnt(0)
	ds_bpermute_b32 v23, v22, v0
	v_add_f32_e32 v25, v34, v25
	ds_bpermute_b32 v86, v22, v30
	v_add_f32_e32 v34, v28, v97
	ds_bpermute_b32 v26, v22, v1
	ds_bpermute_b32 v27, v22, v2
	;; [unrolled: 1-line block ×16, first 2 shown]
	s_waitcnt lgkmcnt(17)
	v_add_f32_e32 v0, v0, v23
	ds_bpermute_b32 v80, v22, v25
	ds_bpermute_b32 v66, v22, v17
	;; [unrolled: 1-line block ×14, first 2 shown]
	s_waitcnt lgkmcnt(28)
	v_dual_add_f32 v1, v1, v26 :: v_dual_add_f32 v2, v2, v27
	s_waitcnt lgkmcnt(26)
	v_dual_add_f32 v3, v3, v28 :: v_dual_add_f32 v4, v4, v37
	;; [unrolled: 2-line block ×4, first 2 shown]
	scratch_load_b32 v25, off, s32 offset:1188 ; 4-byte Folded Reload
	v_dual_add_f32 v7, v7, v48 :: v_dual_add_f32 v8, v8, v49
	v_dual_add_f32 v9, v9, v50 :: v_dual_add_f32 v10, v10, v51
	;; [unrolled: 1-line block ×5, first 2 shown]
	s_waitcnt lgkmcnt(11)
	v_dual_add_f32 v17, v17, v66 :: v_dual_add_f32 v18, v18, v67
	s_waitcnt lgkmcnt(9)
	v_dual_add_f32 v19, v19, v68 :: v_dual_add_f32 v20, v20, v69
	s_waitcnt lgkmcnt(7)
	v_dual_add_f32 v21, v21, v70 :: v_dual_add_f32 v22, v24, v71
	s_waitcnt lgkmcnt(6)
	v_add_f32_e32 v24, v33, v81
	s_waitcnt lgkmcnt(4)
	v_dual_add_f32 v26, v32, v84 :: v_dual_add_f32 v27, v31, v85
	s_waitcnt lgkmcnt(2)
	v_dual_add_f32 v29, v29, v87 :: v_dual_add_f32 v30, v34, v96
	;; [unrolled: 2-line block ×3, first 2 shown]
	s_waitcnt vmcnt(0)
	v_lshl_add_u32 v33, v25, 10, v100
	v_cmpx_eq_u32_e32 64, v99
	s_cbranch_execz .LBB253_2150
; %bb.2149:
	v_lshlrev_b32_e32 v25, 2, v82
	s_delay_alu instid0(VALU_DEP_1)
	v_add3_u32 v25, v33, v25, 0xfffff800
	ds_store_2addr_b32 v25, v0, v1 offset1:8
	ds_store_2addr_b32 v25, v2, v3 offset0:16 offset1:24
	ds_store_2addr_b32 v25, v4, v5 offset0:32 offset1:40
	;; [unrolled: 1-line block ×15, first 2 shown]
.LBB253_2150:
	s_or_b32 exec_lo, exec_lo, s0
	s_clause 0x1
	scratch_load_b32 v25, off, s32 offset:328
	scratch_load_b32 v35, off, s32 offset:1192
	s_mov_b32 s3, exec_lo
	s_waitcnt vmcnt(0) lgkmcnt(0)
	s_barrier
	buffer_gl0_inv
	v_cmp_eq_u32_e32 vcc_lo, 0, v25
	v_cmpx_gt_u32_e32 64, v35
	s_cbranch_execz .LBB253_2185
; %bb.2151:
	s_and_saveexec_b32 s0, vcc_lo
	s_cbranch_execnz .LBB253_2225
; %bb.2152:
	s_or_b32 exec_lo, exec_lo, s0
	s_and_saveexec_b32 s0, vcc_lo
	s_cbranch_execnz .LBB253_2226
.LBB253_2153:
	s_or_b32 exec_lo, exec_lo, s0
	s_and_saveexec_b32 s0, vcc_lo
	s_cbranch_execnz .LBB253_2227
.LBB253_2154:
	s_or_b32 exec_lo, exec_lo, s0
	s_and_saveexec_b32 s0, vcc_lo
	s_cbranch_execnz .LBB253_2228
.LBB253_2155:
	s_or_b32 exec_lo, exec_lo, s0
	s_and_saveexec_b32 s0, vcc_lo
	s_cbranch_execnz .LBB253_2229
.LBB253_2156:
	s_or_b32 exec_lo, exec_lo, s0
	s_and_saveexec_b32 s0, vcc_lo
	s_cbranch_execnz .LBB253_2230
.LBB253_2157:
	s_or_b32 exec_lo, exec_lo, s0
	s_and_saveexec_b32 s0, vcc_lo
	s_cbranch_execnz .LBB253_2231
.LBB253_2158:
	s_or_b32 exec_lo, exec_lo, s0
	s_and_saveexec_b32 s0, vcc_lo
	s_cbranch_execnz .LBB253_2232
.LBB253_2159:
	s_or_b32 exec_lo, exec_lo, s0
	s_and_saveexec_b32 s0, vcc_lo
	s_cbranch_execnz .LBB253_2233
.LBB253_2160:
	s_or_b32 exec_lo, exec_lo, s0
	s_and_saveexec_b32 s0, vcc_lo
	s_cbranch_execnz .LBB253_2234
.LBB253_2161:
	s_or_b32 exec_lo, exec_lo, s0
	s_and_saveexec_b32 s0, vcc_lo
	s_cbranch_execnz .LBB253_2235
.LBB253_2162:
	s_or_b32 exec_lo, exec_lo, s0
	s_and_saveexec_b32 s0, vcc_lo
	s_cbranch_execnz .LBB253_2236
.LBB253_2163:
	s_or_b32 exec_lo, exec_lo, s0
	s_and_saveexec_b32 s0, vcc_lo
	s_cbranch_execnz .LBB253_2237
.LBB253_2164:
	s_or_b32 exec_lo, exec_lo, s0
	s_and_saveexec_b32 s0, vcc_lo
	s_cbranch_execnz .LBB253_2238
.LBB253_2165:
	s_or_b32 exec_lo, exec_lo, s0
	s_and_saveexec_b32 s0, vcc_lo
	s_cbranch_execnz .LBB253_2239
.LBB253_2166:
	s_or_b32 exec_lo, exec_lo, s0
	s_and_saveexec_b32 s0, vcc_lo
	s_cbranch_execnz .LBB253_2240
.LBB253_2167:
	s_or_b32 exec_lo, exec_lo, s0
	s_and_saveexec_b32 s0, vcc_lo
	s_cbranch_execnz .LBB253_2241
.LBB253_2168:
	s_or_b32 exec_lo, exec_lo, s0
	s_and_saveexec_b32 s0, vcc_lo
	s_cbranch_execnz .LBB253_2242
.LBB253_2169:
	s_or_b32 exec_lo, exec_lo, s0
	s_and_saveexec_b32 s0, vcc_lo
	s_cbranch_execnz .LBB253_2243
.LBB253_2170:
	s_or_b32 exec_lo, exec_lo, s0
	s_and_saveexec_b32 s0, vcc_lo
	s_cbranch_execnz .LBB253_2244
.LBB253_2171:
	s_or_b32 exec_lo, exec_lo, s0
	s_and_saveexec_b32 s0, vcc_lo
	s_cbranch_execnz .LBB253_2245
.LBB253_2172:
	s_or_b32 exec_lo, exec_lo, s0
	s_and_saveexec_b32 s0, vcc_lo
	s_cbranch_execnz .LBB253_2246
.LBB253_2173:
	s_or_b32 exec_lo, exec_lo, s0
	s_and_saveexec_b32 s0, vcc_lo
	s_cbranch_execnz .LBB253_2247
.LBB253_2174:
	s_or_b32 exec_lo, exec_lo, s0
	s_and_saveexec_b32 s0, vcc_lo
	s_cbranch_execnz .LBB253_2248
.LBB253_2175:
	s_or_b32 exec_lo, exec_lo, s0
	s_and_saveexec_b32 s0, vcc_lo
	s_cbranch_execnz .LBB253_2249
.LBB253_2176:
	s_or_b32 exec_lo, exec_lo, s0
	s_and_saveexec_b32 s0, vcc_lo
	s_cbranch_execnz .LBB253_2250
.LBB253_2177:
	s_or_b32 exec_lo, exec_lo, s0
	s_and_saveexec_b32 s0, vcc_lo
	s_cbranch_execnz .LBB253_2251
.LBB253_2178:
	s_or_b32 exec_lo, exec_lo, s0
	s_and_saveexec_b32 s0, vcc_lo
	s_cbranch_execnz .LBB253_2252
.LBB253_2179:
	s_or_b32 exec_lo, exec_lo, s0
	s_and_saveexec_b32 s0, vcc_lo
	s_cbranch_execnz .LBB253_2253
.LBB253_2180:
	s_or_b32 exec_lo, exec_lo, s0
	s_and_saveexec_b32 s0, vcc_lo
	s_cbranch_execnz .LBB253_2254
.LBB253_2181:
	s_or_b32 exec_lo, exec_lo, s0
	s_and_saveexec_b32 s0, vcc_lo
	s_cbranch_execnz .LBB253_2255
.LBB253_2182:
	s_or_b32 exec_lo, exec_lo, s0
	s_and_saveexec_b32 s0, vcc_lo
	s_cbranch_execz .LBB253_2184
.LBB253_2183:
	v_lshl_add_u32 v25, v82, 2, v33
	ds_load_b32 v25, v25 offset:992
	s_waitcnt lgkmcnt(0)
	v_add_f32_e32 v32, v25, v32
.LBB253_2184:
	s_or_b32 exec_lo, exec_lo, s0
.LBB253_2185:
	s_delay_alu instid0(SALU_CYCLE_1)
	s_or_b32 exec_lo, exec_lo, s3
	v_and_b32_e32 v25, 0x3e3, v35
	s_mov_b32 s3, exec_lo
	s_barrier
	buffer_gl0_inv
	v_cmpx_eq_u32_e32 32, v25
	s_cbranch_execz .LBB253_2187
; %bb.2186:
	v_lshl_add_u32 v34, v82, 2, v100
	ds_store_2addr_b32 v34, v0, v1 offset1:8
	ds_store_2addr_b32 v34, v2, v3 offset0:16 offset1:24
	ds_store_2addr_b32 v34, v4, v5 offset0:32 offset1:40
	;; [unrolled: 1-line block ×15, first 2 shown]
.LBB253_2187:
	s_or_b32 exec_lo, exec_lo, s3
	s_delay_alu instid0(SALU_CYCLE_1)
	s_mov_b32 s3, exec_lo
	s_waitcnt lgkmcnt(0)
	s_barrier
	buffer_gl0_inv
	v_cmpx_gt_u32_e32 32, v35
	s_cbranch_execz .LBB253_2222
; %bb.2188:
	v_lshl_add_u32 v33, v82, 2, v33
	s_and_saveexec_b32 s0, vcc_lo
	s_cbranch_execnz .LBB253_2256
; %bb.2189:
	s_or_b32 exec_lo, exec_lo, s0
	s_and_saveexec_b32 s0, vcc_lo
	s_cbranch_execnz .LBB253_2257
.LBB253_2190:
	s_or_b32 exec_lo, exec_lo, s0
	s_and_saveexec_b32 s0, vcc_lo
	s_cbranch_execnz .LBB253_2258
.LBB253_2191:
	s_or_b32 exec_lo, exec_lo, s0
	s_and_saveexec_b32 s0, vcc_lo
	s_cbranch_execnz .LBB253_2259
.LBB253_2192:
	s_or_b32 exec_lo, exec_lo, s0
	s_and_saveexec_b32 s0, vcc_lo
	s_cbranch_execnz .LBB253_2260
.LBB253_2193:
	s_or_b32 exec_lo, exec_lo, s0
	s_and_saveexec_b32 s0, vcc_lo
	s_cbranch_execnz .LBB253_2261
.LBB253_2194:
	s_or_b32 exec_lo, exec_lo, s0
	s_and_saveexec_b32 s0, vcc_lo
	s_cbranch_execnz .LBB253_2262
.LBB253_2195:
	s_or_b32 exec_lo, exec_lo, s0
	s_and_saveexec_b32 s0, vcc_lo
	s_cbranch_execnz .LBB253_2263
.LBB253_2196:
	s_or_b32 exec_lo, exec_lo, s0
	s_and_saveexec_b32 s0, vcc_lo
	s_cbranch_execnz .LBB253_2264
.LBB253_2197:
	s_or_b32 exec_lo, exec_lo, s0
	s_and_saveexec_b32 s0, vcc_lo
	s_cbranch_execnz .LBB253_2265
.LBB253_2198:
	s_or_b32 exec_lo, exec_lo, s0
	s_and_saveexec_b32 s0, vcc_lo
	s_cbranch_execnz .LBB253_2266
.LBB253_2199:
	s_or_b32 exec_lo, exec_lo, s0
	s_and_saveexec_b32 s0, vcc_lo
	s_cbranch_execnz .LBB253_2267
.LBB253_2200:
	s_or_b32 exec_lo, exec_lo, s0
	s_and_saveexec_b32 s0, vcc_lo
	s_cbranch_execnz .LBB253_2268
.LBB253_2201:
	s_or_b32 exec_lo, exec_lo, s0
	s_and_saveexec_b32 s0, vcc_lo
	s_cbranch_execnz .LBB253_2269
.LBB253_2202:
	s_or_b32 exec_lo, exec_lo, s0
	s_and_saveexec_b32 s0, vcc_lo
	s_cbranch_execnz .LBB253_2270
.LBB253_2203:
	s_or_b32 exec_lo, exec_lo, s0
	s_and_saveexec_b32 s0, vcc_lo
	s_cbranch_execnz .LBB253_2271
.LBB253_2204:
	s_or_b32 exec_lo, exec_lo, s0
	s_and_saveexec_b32 s0, vcc_lo
	s_cbranch_execnz .LBB253_2272
.LBB253_2205:
	s_or_b32 exec_lo, exec_lo, s0
	s_and_saveexec_b32 s0, vcc_lo
	s_cbranch_execnz .LBB253_2273
.LBB253_2206:
	s_or_b32 exec_lo, exec_lo, s0
	s_and_saveexec_b32 s0, vcc_lo
	s_cbranch_execnz .LBB253_2274
.LBB253_2207:
	s_or_b32 exec_lo, exec_lo, s0
	s_and_saveexec_b32 s0, vcc_lo
	s_cbranch_execnz .LBB253_2275
.LBB253_2208:
	s_or_b32 exec_lo, exec_lo, s0
	s_and_saveexec_b32 s0, vcc_lo
	s_cbranch_execnz .LBB253_2276
.LBB253_2209:
	s_or_b32 exec_lo, exec_lo, s0
	s_and_saveexec_b32 s0, vcc_lo
	s_cbranch_execnz .LBB253_2277
.LBB253_2210:
	s_or_b32 exec_lo, exec_lo, s0
	s_and_saveexec_b32 s0, vcc_lo
	s_cbranch_execnz .LBB253_2278
.LBB253_2211:
	s_or_b32 exec_lo, exec_lo, s0
	s_and_saveexec_b32 s0, vcc_lo
	s_cbranch_execnz .LBB253_2279
.LBB253_2212:
	s_or_b32 exec_lo, exec_lo, s0
	s_and_saveexec_b32 s0, vcc_lo
	s_cbranch_execnz .LBB253_2280
.LBB253_2213:
	s_or_b32 exec_lo, exec_lo, s0
	s_and_saveexec_b32 s0, vcc_lo
	s_cbranch_execnz .LBB253_2281
.LBB253_2214:
	s_or_b32 exec_lo, exec_lo, s0
	s_and_saveexec_b32 s0, vcc_lo
	s_cbranch_execnz .LBB253_2282
.LBB253_2215:
	s_or_b32 exec_lo, exec_lo, s0
	s_and_saveexec_b32 s0, vcc_lo
	s_cbranch_execnz .LBB253_2283
.LBB253_2216:
	s_or_b32 exec_lo, exec_lo, s0
	s_and_saveexec_b32 s0, vcc_lo
	s_cbranch_execnz .LBB253_2284
.LBB253_2217:
	s_or_b32 exec_lo, exec_lo, s0
	s_and_saveexec_b32 s0, vcc_lo
	s_cbranch_execnz .LBB253_2285
.LBB253_2218:
	s_or_b32 exec_lo, exec_lo, s0
	s_and_saveexec_b32 s0, vcc_lo
	s_cbranch_execnz .LBB253_2286
.LBB253_2219:
	s_or_b32 exec_lo, exec_lo, s0
	s_and_saveexec_b32 s0, vcc_lo
	s_cbranch_execz .LBB253_2221
.LBB253_2220:
	ds_load_b32 v33, v33 offset:992
	s_waitcnt lgkmcnt(0)
	v_add_f32_e32 v32, v33, v32
.LBB253_2221:
	s_or_b32 exec_lo, exec_lo, s0
.LBB253_2222:
	s_delay_alu instid0(SALU_CYCLE_1)
	s_or_b32 exec_lo, exec_lo, s3
	v_cmp_eq_u32_e32 vcc_lo, 0, v25
	s_barrier
	buffer_gl0_inv
	s_and_b32 exec_lo, exec_lo, vcc_lo
	s_cbranch_execz .LBB253_2224
; %bb.2223:
	s_clause 0x1
	scratch_load_b32 v25, off, s32 offset:1200
	scratch_load_b32 v33, off, s32 offset:1196
	s_lshl_b32 s0, s2, 8
	s_mul_i32 s2, s4, s1
	s_lshl_b32 s4, s14, 8
	s_ashr_i32 s3, s2, 31
	s_ashr_i32 s5, s4, 31
	;; [unrolled: 1-line block ×3, first 2 shown]
	s_lshl_b64 s[2:3], s[2:3], 2
	s_lshl_b64 s[4:5], s[4:5], 2
	;; [unrolled: 1-line block ×3, first 2 shown]
	s_add_u32 s2, s4, s2
	s_addc_u32 s3, s5, s3
	s_add_u32 s0, s2, s0
	s_addc_u32 s1, s3, s1
	s_waitcnt vmcnt(1)
	v_add_co_u32 v25, vcc_lo, s0, v25
	s_waitcnt vmcnt(0)
	v_add_co_ci_u32_e32 v34, vcc_lo, s1, v33, vcc_lo
	s_delay_alu instid0(VALU_DEP_2) | instskip(NEXT) | instid1(VALU_DEP_2)
	v_add_co_u32 v33, vcc_lo, v25, v35
	v_add_co_ci_u32_e32 v34, vcc_lo, 0, v34, vcc_lo
	s_clause 0x1f
	flat_store_b32 v[33:34], v0
	flat_store_b32 v[33:34], v1 offset:32
	flat_store_b32 v[33:34], v2 offset:64
	;; [unrolled: 1-line block ×31, first 2 shown]
.LBB253_2224:
	s_or_b32 exec_lo, exec_lo, s20
	s_clause 0x1f
	scratch_load_b32 v191, off, s32
	scratch_load_b32 v190, off, s32 offset:4
	scratch_load_b32 v189, off, s32 offset:8
	;; [unrolled: 1-line block ×31, first 2 shown]
	s_clause 0x1f
	scratch_load_b32 v127, off, s32 offset:128
	scratch_load_b32 v126, off, s32 offset:132
	;; [unrolled: 1-line block ×32, first 2 shown]
	s_clause 0xf
	scratch_load_b32 v63, off, s32 offset:256
	scratch_load_b32 v62, off, s32 offset:260
	scratch_load_b32 v61, off, s32 offset:264
	scratch_load_b32 v60, off, s32 offset:268
	scratch_load_b32 v59, off, s32 offset:272
	scratch_load_b32 v58, off, s32 offset:276
	scratch_load_b32 v57, off, s32 offset:280
	scratch_load_b32 v56, off, s32 offset:284
	scratch_load_b32 v47, off, s32 offset:288
	scratch_load_b32 v46, off, s32 offset:292
	scratch_load_b32 v45, off, s32 offset:296
	scratch_load_b32 v44, off, s32 offset:300
	scratch_load_b32 v43, off, s32 offset:304
	scratch_load_b32 v42, off, s32 offset:308
	scratch_load_b32 v41, off, s32 offset:312
	scratch_load_b32 v40, off, s32 offset:316
	s_waitcnt vmcnt(0) lgkmcnt(0)
	s_setpc_b64 s[30:31]
.LBB253_2225:
	v_lshl_add_u32 v25, v82, 2, v33
	ds_load_b32 v25, v25
	s_waitcnt lgkmcnt(0)
	v_add_f32_e32 v0, v25, v0
	s_or_b32 exec_lo, exec_lo, s0
	s_and_saveexec_b32 s0, vcc_lo
	s_cbranch_execz .LBB253_2153
.LBB253_2226:
	v_lshl_add_u32 v25, v82, 2, v33
	ds_load_b32 v25, v25 offset:32
	s_waitcnt lgkmcnt(0)
	v_add_f32_e32 v1, v25, v1
	s_or_b32 exec_lo, exec_lo, s0
	s_and_saveexec_b32 s0, vcc_lo
	s_cbranch_execz .LBB253_2154
.LBB253_2227:
	v_lshl_add_u32 v25, v82, 2, v33
	ds_load_b32 v25, v25 offset:64
	s_waitcnt lgkmcnt(0)
	v_add_f32_e32 v2, v25, v2
	s_or_b32 exec_lo, exec_lo, s0
	s_and_saveexec_b32 s0, vcc_lo
	s_cbranch_execz .LBB253_2155
.LBB253_2228:
	v_lshl_add_u32 v25, v82, 2, v33
	ds_load_b32 v25, v25 offset:96
	s_waitcnt lgkmcnt(0)
	v_add_f32_e32 v3, v25, v3
	s_or_b32 exec_lo, exec_lo, s0
	s_and_saveexec_b32 s0, vcc_lo
	s_cbranch_execz .LBB253_2156
.LBB253_2229:
	v_lshl_add_u32 v25, v82, 2, v33
	ds_load_b32 v25, v25 offset:128
	s_waitcnt lgkmcnt(0)
	v_add_f32_e32 v4, v25, v4
	s_or_b32 exec_lo, exec_lo, s0
	s_and_saveexec_b32 s0, vcc_lo
	s_cbranch_execz .LBB253_2157
.LBB253_2230:
	v_lshl_add_u32 v25, v82, 2, v33
	ds_load_b32 v25, v25 offset:160
	s_waitcnt lgkmcnt(0)
	v_add_f32_e32 v5, v25, v5
	s_or_b32 exec_lo, exec_lo, s0
	s_and_saveexec_b32 s0, vcc_lo
	s_cbranch_execz .LBB253_2158
.LBB253_2231:
	v_lshl_add_u32 v25, v82, 2, v33
	ds_load_b32 v25, v25 offset:192
	s_waitcnt lgkmcnt(0)
	v_add_f32_e32 v6, v25, v6
	s_or_b32 exec_lo, exec_lo, s0
	s_and_saveexec_b32 s0, vcc_lo
	s_cbranch_execz .LBB253_2159
.LBB253_2232:
	v_lshl_add_u32 v25, v82, 2, v33
	ds_load_b32 v25, v25 offset:224
	s_waitcnt lgkmcnt(0)
	v_add_f32_e32 v7, v25, v7
	s_or_b32 exec_lo, exec_lo, s0
	s_and_saveexec_b32 s0, vcc_lo
	s_cbranch_execz .LBB253_2160
.LBB253_2233:
	v_lshl_add_u32 v25, v82, 2, v33
	ds_load_b32 v25, v25 offset:256
	s_waitcnt lgkmcnt(0)
	v_add_f32_e32 v8, v25, v8
	s_or_b32 exec_lo, exec_lo, s0
	s_and_saveexec_b32 s0, vcc_lo
	s_cbranch_execz .LBB253_2161
.LBB253_2234:
	v_lshl_add_u32 v25, v82, 2, v33
	ds_load_b32 v25, v25 offset:288
	s_waitcnt lgkmcnt(0)
	v_add_f32_e32 v9, v25, v9
	s_or_b32 exec_lo, exec_lo, s0
	s_and_saveexec_b32 s0, vcc_lo
	s_cbranch_execz .LBB253_2162
.LBB253_2235:
	v_lshl_add_u32 v25, v82, 2, v33
	ds_load_b32 v25, v25 offset:320
	s_waitcnt lgkmcnt(0)
	v_add_f32_e32 v10, v25, v10
	s_or_b32 exec_lo, exec_lo, s0
	s_and_saveexec_b32 s0, vcc_lo
	s_cbranch_execz .LBB253_2163
.LBB253_2236:
	v_lshl_add_u32 v25, v82, 2, v33
	ds_load_b32 v25, v25 offset:352
	s_waitcnt lgkmcnt(0)
	v_add_f32_e32 v11, v25, v11
	s_or_b32 exec_lo, exec_lo, s0
	s_and_saveexec_b32 s0, vcc_lo
	s_cbranch_execz .LBB253_2164
.LBB253_2237:
	v_lshl_add_u32 v25, v82, 2, v33
	ds_load_b32 v25, v25 offset:384
	s_waitcnt lgkmcnt(0)
	v_add_f32_e32 v12, v25, v12
	s_or_b32 exec_lo, exec_lo, s0
	s_and_saveexec_b32 s0, vcc_lo
	s_cbranch_execz .LBB253_2165
.LBB253_2238:
	v_lshl_add_u32 v25, v82, 2, v33
	ds_load_b32 v25, v25 offset:416
	s_waitcnt lgkmcnt(0)
	v_add_f32_e32 v13, v25, v13
	s_or_b32 exec_lo, exec_lo, s0
	s_and_saveexec_b32 s0, vcc_lo
	s_cbranch_execz .LBB253_2166
.LBB253_2239:
	v_lshl_add_u32 v25, v82, 2, v33
	ds_load_b32 v25, v25 offset:448
	s_waitcnt lgkmcnt(0)
	v_add_f32_e32 v14, v25, v14
	s_or_b32 exec_lo, exec_lo, s0
	s_and_saveexec_b32 s0, vcc_lo
	s_cbranch_execz .LBB253_2167
.LBB253_2240:
	v_lshl_add_u32 v25, v82, 2, v33
	ds_load_b32 v25, v25 offset:480
	s_waitcnt lgkmcnt(0)
	v_add_f32_e32 v15, v25, v15
	s_or_b32 exec_lo, exec_lo, s0
	s_and_saveexec_b32 s0, vcc_lo
	s_cbranch_execz .LBB253_2168
.LBB253_2241:
	v_lshl_add_u32 v25, v82, 2, v33
	ds_load_b32 v25, v25 offset:512
	s_waitcnt lgkmcnt(0)
	v_add_f32_e32 v16, v25, v16
	s_or_b32 exec_lo, exec_lo, s0
	s_and_saveexec_b32 s0, vcc_lo
	s_cbranch_execz .LBB253_2169
.LBB253_2242:
	v_lshl_add_u32 v25, v82, 2, v33
	ds_load_b32 v25, v25 offset:544
	s_waitcnt lgkmcnt(0)
	v_add_f32_e32 v17, v25, v17
	s_or_b32 exec_lo, exec_lo, s0
	s_and_saveexec_b32 s0, vcc_lo
	s_cbranch_execz .LBB253_2170
.LBB253_2243:
	v_lshl_add_u32 v25, v82, 2, v33
	ds_load_b32 v25, v25 offset:576
	s_waitcnt lgkmcnt(0)
	v_add_f32_e32 v18, v25, v18
	s_or_b32 exec_lo, exec_lo, s0
	s_and_saveexec_b32 s0, vcc_lo
	s_cbranch_execz .LBB253_2171
.LBB253_2244:
	v_lshl_add_u32 v25, v82, 2, v33
	ds_load_b32 v25, v25 offset:608
	s_waitcnt lgkmcnt(0)
	v_add_f32_e32 v19, v25, v19
	s_or_b32 exec_lo, exec_lo, s0
	s_and_saveexec_b32 s0, vcc_lo
	s_cbranch_execz .LBB253_2172
.LBB253_2245:
	v_lshl_add_u32 v25, v82, 2, v33
	ds_load_b32 v25, v25 offset:640
	s_waitcnt lgkmcnt(0)
	v_add_f32_e32 v20, v25, v20
	s_or_b32 exec_lo, exec_lo, s0
	s_and_saveexec_b32 s0, vcc_lo
	s_cbranch_execz .LBB253_2173
.LBB253_2246:
	v_lshl_add_u32 v25, v82, 2, v33
	ds_load_b32 v25, v25 offset:672
	s_waitcnt lgkmcnt(0)
	v_add_f32_e32 v21, v25, v21
	s_or_b32 exec_lo, exec_lo, s0
	s_and_saveexec_b32 s0, vcc_lo
	s_cbranch_execz .LBB253_2174
.LBB253_2247:
	v_lshl_add_u32 v25, v82, 2, v33
	ds_load_b32 v25, v25 offset:704
	s_waitcnt lgkmcnt(0)
	v_add_f32_e32 v22, v25, v22
	s_or_b32 exec_lo, exec_lo, s0
	s_and_saveexec_b32 s0, vcc_lo
	s_cbranch_execz .LBB253_2175
.LBB253_2248:
	v_lshl_add_u32 v25, v82, 2, v33
	ds_load_b32 v25, v25 offset:736
	s_waitcnt lgkmcnt(0)
	v_add_f32_e32 v23, v25, v23
	s_or_b32 exec_lo, exec_lo, s0
	s_and_saveexec_b32 s0, vcc_lo
	s_cbranch_execz .LBB253_2176
.LBB253_2249:
	v_lshl_add_u32 v25, v82, 2, v33
	ds_load_b32 v25, v25 offset:768
	s_waitcnt lgkmcnt(0)
	v_add_f32_e32 v24, v25, v24
	s_or_b32 exec_lo, exec_lo, s0
	s_and_saveexec_b32 s0, vcc_lo
	s_cbranch_execz .LBB253_2177
.LBB253_2250:
	v_lshl_add_u32 v25, v82, 2, v33
	ds_load_b32 v25, v25 offset:800
	s_waitcnt lgkmcnt(0)
	v_add_f32_e32 v26, v25, v26
	s_or_b32 exec_lo, exec_lo, s0
	s_and_saveexec_b32 s0, vcc_lo
	s_cbranch_execz .LBB253_2178
.LBB253_2251:
	v_lshl_add_u32 v25, v82, 2, v33
	ds_load_b32 v25, v25 offset:832
	s_waitcnt lgkmcnt(0)
	v_add_f32_e32 v27, v25, v27
	s_or_b32 exec_lo, exec_lo, s0
	s_and_saveexec_b32 s0, vcc_lo
	s_cbranch_execz .LBB253_2179
.LBB253_2252:
	v_lshl_add_u32 v25, v82, 2, v33
	ds_load_b32 v25, v25 offset:864
	s_waitcnt lgkmcnt(0)
	v_add_f32_e32 v28, v25, v28
	s_or_b32 exec_lo, exec_lo, s0
	s_and_saveexec_b32 s0, vcc_lo
	s_cbranch_execz .LBB253_2180
.LBB253_2253:
	v_lshl_add_u32 v25, v82, 2, v33
	ds_load_b32 v25, v25 offset:896
	s_waitcnt lgkmcnt(0)
	v_add_f32_e32 v29, v25, v29
	s_or_b32 exec_lo, exec_lo, s0
	s_and_saveexec_b32 s0, vcc_lo
	s_cbranch_execz .LBB253_2181
.LBB253_2254:
	v_lshl_add_u32 v25, v82, 2, v33
	ds_load_b32 v25, v25 offset:928
	s_waitcnt lgkmcnt(0)
	v_add_f32_e32 v30, v25, v30
	s_or_b32 exec_lo, exec_lo, s0
	s_and_saveexec_b32 s0, vcc_lo
	s_cbranch_execz .LBB253_2182
.LBB253_2255:
	v_lshl_add_u32 v25, v82, 2, v33
	ds_load_b32 v25, v25 offset:960
	s_waitcnt lgkmcnt(0)
	v_add_f32_e32 v31, v25, v31
	s_or_b32 exec_lo, exec_lo, s0
	s_and_saveexec_b32 s0, vcc_lo
	s_cbranch_execnz .LBB253_2183
	s_branch .LBB253_2184
.LBB253_2256:
	ds_load_b32 v34, v33
	s_waitcnt lgkmcnt(0)
	v_add_f32_e32 v0, v34, v0
	s_or_b32 exec_lo, exec_lo, s0
	s_and_saveexec_b32 s0, vcc_lo
	s_cbranch_execz .LBB253_2190
.LBB253_2257:
	ds_load_b32 v34, v33 offset:32
	s_waitcnt lgkmcnt(0)
	v_add_f32_e32 v1, v34, v1
	s_or_b32 exec_lo, exec_lo, s0
	s_and_saveexec_b32 s0, vcc_lo
	s_cbranch_execz .LBB253_2191
.LBB253_2258:
	ds_load_b32 v34, v33 offset:64
	s_waitcnt lgkmcnt(0)
	v_add_f32_e32 v2, v34, v2
	s_or_b32 exec_lo, exec_lo, s0
	s_and_saveexec_b32 s0, vcc_lo
	s_cbranch_execz .LBB253_2192
.LBB253_2259:
	ds_load_b32 v34, v33 offset:96
	s_waitcnt lgkmcnt(0)
	v_add_f32_e32 v3, v34, v3
	s_or_b32 exec_lo, exec_lo, s0
	s_and_saveexec_b32 s0, vcc_lo
	s_cbranch_execz .LBB253_2193
.LBB253_2260:
	ds_load_b32 v34, v33 offset:128
	s_waitcnt lgkmcnt(0)
	v_add_f32_e32 v4, v34, v4
	s_or_b32 exec_lo, exec_lo, s0
	s_and_saveexec_b32 s0, vcc_lo
	s_cbranch_execz .LBB253_2194
.LBB253_2261:
	ds_load_b32 v34, v33 offset:160
	s_waitcnt lgkmcnt(0)
	v_add_f32_e32 v5, v34, v5
	s_or_b32 exec_lo, exec_lo, s0
	s_and_saveexec_b32 s0, vcc_lo
	s_cbranch_execz .LBB253_2195
.LBB253_2262:
	ds_load_b32 v34, v33 offset:192
	s_waitcnt lgkmcnt(0)
	v_add_f32_e32 v6, v34, v6
	s_or_b32 exec_lo, exec_lo, s0
	s_and_saveexec_b32 s0, vcc_lo
	s_cbranch_execz .LBB253_2196
.LBB253_2263:
	ds_load_b32 v34, v33 offset:224
	s_waitcnt lgkmcnt(0)
	v_add_f32_e32 v7, v34, v7
	s_or_b32 exec_lo, exec_lo, s0
	s_and_saveexec_b32 s0, vcc_lo
	s_cbranch_execz .LBB253_2197
.LBB253_2264:
	ds_load_b32 v34, v33 offset:256
	s_waitcnt lgkmcnt(0)
	v_add_f32_e32 v8, v34, v8
	s_or_b32 exec_lo, exec_lo, s0
	s_and_saveexec_b32 s0, vcc_lo
	s_cbranch_execz .LBB253_2198
.LBB253_2265:
	ds_load_b32 v34, v33 offset:288
	s_waitcnt lgkmcnt(0)
	v_add_f32_e32 v9, v34, v9
	s_or_b32 exec_lo, exec_lo, s0
	s_and_saveexec_b32 s0, vcc_lo
	s_cbranch_execz .LBB253_2199
.LBB253_2266:
	ds_load_b32 v34, v33 offset:320
	s_waitcnt lgkmcnt(0)
	v_add_f32_e32 v10, v34, v10
	s_or_b32 exec_lo, exec_lo, s0
	s_and_saveexec_b32 s0, vcc_lo
	s_cbranch_execz .LBB253_2200
.LBB253_2267:
	ds_load_b32 v34, v33 offset:352
	s_waitcnt lgkmcnt(0)
	v_add_f32_e32 v11, v34, v11
	s_or_b32 exec_lo, exec_lo, s0
	s_and_saveexec_b32 s0, vcc_lo
	s_cbranch_execz .LBB253_2201
.LBB253_2268:
	ds_load_b32 v34, v33 offset:384
	s_waitcnt lgkmcnt(0)
	v_add_f32_e32 v12, v34, v12
	s_or_b32 exec_lo, exec_lo, s0
	s_and_saveexec_b32 s0, vcc_lo
	s_cbranch_execz .LBB253_2202
.LBB253_2269:
	ds_load_b32 v34, v33 offset:416
	s_waitcnt lgkmcnt(0)
	v_add_f32_e32 v13, v34, v13
	s_or_b32 exec_lo, exec_lo, s0
	s_and_saveexec_b32 s0, vcc_lo
	s_cbranch_execz .LBB253_2203
.LBB253_2270:
	ds_load_b32 v34, v33 offset:448
	s_waitcnt lgkmcnt(0)
	v_add_f32_e32 v14, v34, v14
	s_or_b32 exec_lo, exec_lo, s0
	s_and_saveexec_b32 s0, vcc_lo
	s_cbranch_execz .LBB253_2204
.LBB253_2271:
	ds_load_b32 v34, v33 offset:480
	s_waitcnt lgkmcnt(0)
	v_add_f32_e32 v15, v34, v15
	s_or_b32 exec_lo, exec_lo, s0
	s_and_saveexec_b32 s0, vcc_lo
	s_cbranch_execz .LBB253_2205
.LBB253_2272:
	ds_load_b32 v34, v33 offset:512
	s_waitcnt lgkmcnt(0)
	v_add_f32_e32 v16, v34, v16
	s_or_b32 exec_lo, exec_lo, s0
	s_and_saveexec_b32 s0, vcc_lo
	s_cbranch_execz .LBB253_2206
.LBB253_2273:
	ds_load_b32 v34, v33 offset:544
	s_waitcnt lgkmcnt(0)
	v_add_f32_e32 v17, v34, v17
	s_or_b32 exec_lo, exec_lo, s0
	s_and_saveexec_b32 s0, vcc_lo
	s_cbranch_execz .LBB253_2207
.LBB253_2274:
	ds_load_b32 v34, v33 offset:576
	s_waitcnt lgkmcnt(0)
	v_add_f32_e32 v18, v34, v18
	s_or_b32 exec_lo, exec_lo, s0
	s_and_saveexec_b32 s0, vcc_lo
	s_cbranch_execz .LBB253_2208
.LBB253_2275:
	ds_load_b32 v34, v33 offset:608
	s_waitcnt lgkmcnt(0)
	v_add_f32_e32 v19, v34, v19
	s_or_b32 exec_lo, exec_lo, s0
	s_and_saveexec_b32 s0, vcc_lo
	s_cbranch_execz .LBB253_2209
.LBB253_2276:
	ds_load_b32 v34, v33 offset:640
	s_waitcnt lgkmcnt(0)
	v_add_f32_e32 v20, v34, v20
	s_or_b32 exec_lo, exec_lo, s0
	s_and_saveexec_b32 s0, vcc_lo
	s_cbranch_execz .LBB253_2210
.LBB253_2277:
	ds_load_b32 v34, v33 offset:672
	s_waitcnt lgkmcnt(0)
	v_add_f32_e32 v21, v34, v21
	s_or_b32 exec_lo, exec_lo, s0
	s_and_saveexec_b32 s0, vcc_lo
	s_cbranch_execz .LBB253_2211
.LBB253_2278:
	ds_load_b32 v34, v33 offset:704
	s_waitcnt lgkmcnt(0)
	v_add_f32_e32 v22, v34, v22
	s_or_b32 exec_lo, exec_lo, s0
	s_and_saveexec_b32 s0, vcc_lo
	s_cbranch_execz .LBB253_2212
.LBB253_2279:
	ds_load_b32 v34, v33 offset:736
	s_waitcnt lgkmcnt(0)
	v_add_f32_e32 v23, v34, v23
	s_or_b32 exec_lo, exec_lo, s0
	s_and_saveexec_b32 s0, vcc_lo
	s_cbranch_execz .LBB253_2213
.LBB253_2280:
	ds_load_b32 v34, v33 offset:768
	s_waitcnt lgkmcnt(0)
	v_add_f32_e32 v24, v34, v24
	s_or_b32 exec_lo, exec_lo, s0
	s_and_saveexec_b32 s0, vcc_lo
	s_cbranch_execz .LBB253_2214
.LBB253_2281:
	ds_load_b32 v34, v33 offset:800
	s_waitcnt lgkmcnt(0)
	v_add_f32_e32 v26, v34, v26
	s_or_b32 exec_lo, exec_lo, s0
	s_and_saveexec_b32 s0, vcc_lo
	s_cbranch_execz .LBB253_2215
.LBB253_2282:
	ds_load_b32 v34, v33 offset:832
	s_waitcnt lgkmcnt(0)
	v_add_f32_e32 v27, v34, v27
	s_or_b32 exec_lo, exec_lo, s0
	s_and_saveexec_b32 s0, vcc_lo
	s_cbranch_execz .LBB253_2216
.LBB253_2283:
	ds_load_b32 v34, v33 offset:864
	s_waitcnt lgkmcnt(0)
	v_add_f32_e32 v28, v34, v28
	s_or_b32 exec_lo, exec_lo, s0
	s_and_saveexec_b32 s0, vcc_lo
	s_cbranch_execz .LBB253_2217
.LBB253_2284:
	ds_load_b32 v34, v33 offset:896
	s_waitcnt lgkmcnt(0)
	v_add_f32_e32 v29, v34, v29
	s_or_b32 exec_lo, exec_lo, s0
	s_and_saveexec_b32 s0, vcc_lo
	s_cbranch_execz .LBB253_2218
.LBB253_2285:
	ds_load_b32 v34, v33 offset:928
	s_waitcnt lgkmcnt(0)
	v_add_f32_e32 v30, v34, v30
	s_or_b32 exec_lo, exec_lo, s0
	s_and_saveexec_b32 s0, vcc_lo
	s_cbranch_execz .LBB253_2219
.LBB253_2286:
	ds_load_b32 v34, v33 offset:960
	s_waitcnt lgkmcnt(0)
	v_add_f32_e32 v31, v34, v31
	s_or_b32 exec_lo, exec_lo, s0
	s_and_saveexec_b32 s0, vcc_lo
	s_cbranch_execnz .LBB253_2220
	s_branch .LBB253_2221
.Lfunc_end253:
	.size	_ZN4vllm22paged_attention_kernelIfhLi256ELi16ELi128ELNS_18Fp8KVCacheDataTypeE1ELb0ELi512EEEvPfS2_PT_PKS3_PKT0_S9_ifPKiSB_iPKfiiiSD_SD_iiiii, .Lfunc_end253-_ZN4vllm22paged_attention_kernelIfhLi256ELi16ELi128ELNS_18Fp8KVCacheDataTypeE1ELb0ELi512EEEvPfS2_PT_PKS3_PKT0_S9_ifPKiSB_iPKfiiiSD_SD_iiiii
                                        ; -- End function
	.section	.AMDGPU.csdata,"",@progbits
; Function info:
; codeLenInByte = 79392
; NumSgprs: 35
; NumVgprs: 192
; ScratchSize: 1276
; MemoryBound: 0
	.section	.text._ZN4vllm25paged_attention_v2_kernelIfhLi256ELi16ELi128ELNS_18Fp8KVCacheDataTypeE1ELb0ELi512EEEvPfS2_PT_PKS3_PKT0_S9_ifPKiSB_iPKfiiiSD_SD_iiiii,"axG",@progbits,_ZN4vllm25paged_attention_v2_kernelIfhLi256ELi16ELi128ELNS_18Fp8KVCacheDataTypeE1ELb0ELi512EEEvPfS2_PT_PKS3_PKT0_S9_ifPKiSB_iPKfiiiSD_SD_iiiii,comdat
	.protected	_ZN4vllm25paged_attention_v2_kernelIfhLi256ELi16ELi128ELNS_18Fp8KVCacheDataTypeE1ELb0ELi512EEEvPfS2_PT_PKS3_PKT0_S9_ifPKiSB_iPKfiiiSD_SD_iiiii ; -- Begin function _ZN4vllm25paged_attention_v2_kernelIfhLi256ELi16ELi128ELNS_18Fp8KVCacheDataTypeE1ELb0ELi512EEEvPfS2_PT_PKS3_PKT0_S9_ifPKiSB_iPKfiiiSD_SD_iiiii
	.globl	_ZN4vllm25paged_attention_v2_kernelIfhLi256ELi16ELi128ELNS_18Fp8KVCacheDataTypeE1ELb0ELi512EEEvPfS2_PT_PKS3_PKT0_S9_ifPKiSB_iPKfiiiSD_SD_iiiii
	.p2align	8
	.type	_ZN4vllm25paged_attention_v2_kernelIfhLi256ELi16ELi128ELNS_18Fp8KVCacheDataTypeE1ELb0ELi512EEEvPfS2_PT_PKS3_PKT0_S9_ifPKiSB_iPKfiiiSD_SD_iiiii,@function
_ZN4vllm25paged_attention_v2_kernelIfhLi256ELi16ELi128ELNS_18Fp8KVCacheDataTypeE1ELb0ELi512EEEvPfS2_PT_PKS3_PKT0_S9_ifPKiSB_iPKfiiiSD_SD_iiiii: ; @_ZN4vllm25paged_attention_v2_kernelIfhLi256ELi16ELi128ELNS_18Fp8KVCacheDataTypeE1ELb0ELi512EEEvPfS2_PT_PKS3_PKT0_S9_ifPKiSB_iPKfiiiSD_SD_iiiii
; %bb.0:
	s_clause 0x5
	s_load_b256 s[24:31], s[0:1], 0x0
	s_load_b256 s[16:23], s[0:1], 0x20
	s_load_b64 s[2:3], s[0:1], 0x40
	s_load_b64 s[4:5], s[0:1], 0x50
	s_load_b32 s6, s[0:1], 0x48
	s_load_b256 s[36:43], s[0:1], 0x58
	v_mov_b32_e32 v31, v0
	s_add_u32 s8, s0, 0x90
	s_mov_b32 s12, s13
	s_addc_u32 s9, s1, 0
	s_mov_b32 s13, s14
	s_mov_b32 s14, s15
	s_movk_i32 s15, 0x47
	s_mov_b32 s32, 0
	s_getpc_b64 s[0:1]
	s_add_u32 s0, s0, _ZN4vllm22paged_attention_kernelIfhLi256ELi16ELi128ELNS_18Fp8KVCacheDataTypeE1ELb0ELi512EEEvPfS2_PT_PKS3_PKT0_S9_ifPKiSB_iPKfiiiSD_SD_iiiii@rel32@lo+4
	s_addc_u32 s1, s1, _ZN4vllm22paged_attention_kernelIfhLi256ELi16ELi128ELNS_18Fp8KVCacheDataTypeE1ELb0ELi512EEEvPfS2_PT_PKS3_PKT0_S9_ifPKiSB_iPKfiiiSD_SD_iiiii@rel32@hi+12
	s_waitcnt lgkmcnt(0)
	v_dual_mov_b32 v0, s24 :: v_dual_mov_b32 v1, s25
	v_dual_mov_b32 v2, s26 :: v_dual_mov_b32 v3, s27
	;; [unrolled: 1-line block ×14, first 2 shown]
	s_swappc_b64 s[30:31], s[0:1]
	s_endpgm
	.section	.rodata,"a",@progbits
	.p2align	6, 0x0
	.amdhsa_kernel _ZN4vllm25paged_attention_v2_kernelIfhLi256ELi16ELi128ELNS_18Fp8KVCacheDataTypeE1ELb0ELi512EEEvPfS2_PT_PKS3_PKT0_S9_ifPKiSB_iPKfiiiSD_SD_iiiii
		.amdhsa_group_segment_fixed_size 1056
		.amdhsa_private_segment_fixed_size 1276
		.amdhsa_kernarg_size 400
		.amdhsa_user_sgpr_count 13
		.amdhsa_user_sgpr_dispatch_ptr 0
		.amdhsa_user_sgpr_queue_ptr 0
		.amdhsa_user_sgpr_kernarg_segment_ptr 1
		.amdhsa_user_sgpr_dispatch_id 0
		.amdhsa_user_sgpr_private_segment_size 0
		.amdhsa_wavefront_size32 1
		.amdhsa_uses_dynamic_stack 0
		.amdhsa_enable_private_segment 1
		.amdhsa_system_sgpr_workgroup_id_x 1
		.amdhsa_system_sgpr_workgroup_id_y 1
		.amdhsa_system_sgpr_workgroup_id_z 1
		.amdhsa_system_sgpr_workgroup_info 0
		.amdhsa_system_vgpr_workitem_id 0
		.amdhsa_next_free_vgpr 192
		.amdhsa_next_free_sgpr 44
		.amdhsa_reserve_vcc 1
		.amdhsa_float_round_mode_32 0
		.amdhsa_float_round_mode_16_64 0
		.amdhsa_float_denorm_mode_32 3
		.amdhsa_float_denorm_mode_16_64 3
		.amdhsa_dx10_clamp 1
		.amdhsa_ieee_mode 1
		.amdhsa_fp16_overflow 0
		.amdhsa_workgroup_processor_mode 1
		.amdhsa_memory_ordered 1
		.amdhsa_forward_progress 0
		.amdhsa_shared_vgpr_count 0
		.amdhsa_exception_fp_ieee_invalid_op 0
		.amdhsa_exception_fp_denorm_src 0
		.amdhsa_exception_fp_ieee_div_zero 0
		.amdhsa_exception_fp_ieee_overflow 0
		.amdhsa_exception_fp_ieee_underflow 0
		.amdhsa_exception_fp_ieee_inexact 0
		.amdhsa_exception_int_div_zero 0
	.end_amdhsa_kernel
	.section	.text._ZN4vllm25paged_attention_v2_kernelIfhLi256ELi16ELi128ELNS_18Fp8KVCacheDataTypeE1ELb0ELi512EEEvPfS2_PT_PKS3_PKT0_S9_ifPKiSB_iPKfiiiSD_SD_iiiii,"axG",@progbits,_ZN4vllm25paged_attention_v2_kernelIfhLi256ELi16ELi128ELNS_18Fp8KVCacheDataTypeE1ELb0ELi512EEEvPfS2_PT_PKS3_PKT0_S9_ifPKiSB_iPKfiiiSD_SD_iiiii,comdat
.Lfunc_end254:
	.size	_ZN4vllm25paged_attention_v2_kernelIfhLi256ELi16ELi128ELNS_18Fp8KVCacheDataTypeE1ELb0ELi512EEEvPfS2_PT_PKS3_PKT0_S9_ifPKiSB_iPKfiiiSD_SD_iiiii, .Lfunc_end254-_ZN4vllm25paged_attention_v2_kernelIfhLi256ELi16ELi128ELNS_18Fp8KVCacheDataTypeE1ELb0ELi512EEEvPfS2_PT_PKS3_PKT0_S9_ifPKiSB_iPKfiiiSD_SD_iiiii
                                        ; -- End function
	.section	.AMDGPU.csdata,"",@progbits
; Kernel info:
; codeLenInByte = 232
; NumSgprs: 46
; NumVgprs: 192
; ScratchSize: 1276
; MemoryBound: 0
; FloatMode: 240
; IeeeMode: 1
; LDSByteSize: 1056 bytes/workgroup (compile time only)
; SGPRBlocks: 5
; VGPRBlocks: 23
; NumSGPRsForWavesPerEU: 46
; NumVGPRsForWavesPerEU: 192
; Occupancy: 8
; WaveLimiterHint : 1
; COMPUTE_PGM_RSRC2:SCRATCH_EN: 1
; COMPUTE_PGM_RSRC2:USER_SGPR: 13
; COMPUTE_PGM_RSRC2:TRAP_HANDLER: 0
; COMPUTE_PGM_RSRC2:TGID_X_EN: 1
; COMPUTE_PGM_RSRC2:TGID_Y_EN: 1
; COMPUTE_PGM_RSRC2:TGID_Z_EN: 1
; COMPUTE_PGM_RSRC2:TIDIG_COMP_CNT: 0
	.section	.text._ZN4vllm25paged_attention_v2_kernelIfhLi32ELi32ELi128ELNS_18Fp8KVCacheDataTypeE1ELb1ELi512EEEvPfS2_PT_PKS3_PKT0_S9_ifPKiSB_iPKfiiiSD_SD_iiiii,"axG",@progbits,_ZN4vllm25paged_attention_v2_kernelIfhLi32ELi32ELi128ELNS_18Fp8KVCacheDataTypeE1ELb1ELi512EEEvPfS2_PT_PKS3_PKT0_S9_ifPKiSB_iPKfiiiSD_SD_iiiii,comdat
	.protected	_ZN4vllm25paged_attention_v2_kernelIfhLi32ELi32ELi128ELNS_18Fp8KVCacheDataTypeE1ELb1ELi512EEEvPfS2_PT_PKS3_PKT0_S9_ifPKiSB_iPKfiiiSD_SD_iiiii ; -- Begin function _ZN4vllm25paged_attention_v2_kernelIfhLi32ELi32ELi128ELNS_18Fp8KVCacheDataTypeE1ELb1ELi512EEEvPfS2_PT_PKS3_PKT0_S9_ifPKiSB_iPKfiiiSD_SD_iiiii
	.globl	_ZN4vllm25paged_attention_v2_kernelIfhLi32ELi32ELi128ELNS_18Fp8KVCacheDataTypeE1ELb1ELi512EEEvPfS2_PT_PKS3_PKT0_S9_ifPKiSB_iPKfiiiSD_SD_iiiii
	.p2align	8
	.type	_ZN4vllm25paged_attention_v2_kernelIfhLi32ELi32ELi128ELNS_18Fp8KVCacheDataTypeE1ELb1ELi512EEEvPfS2_PT_PKS3_PKT0_S9_ifPKiSB_iPKfiiiSD_SD_iiiii,@function
_ZN4vllm25paged_attention_v2_kernelIfhLi32ELi32ELi128ELNS_18Fp8KVCacheDataTypeE1ELb1ELi512EEEvPfS2_PT_PKS3_PKT0_S9_ifPKiSB_iPKfiiiSD_SD_iiiii: ; @_ZN4vllm25paged_attention_v2_kernelIfhLi32ELi32ELi128ELNS_18Fp8KVCacheDataTypeE1ELb1ELi512EEEvPfS2_PT_PKS3_PKT0_S9_ifPKiSB_iPKfiiiSD_SD_iiiii
; %bb.0:
	s_load_b64 s[2:3], s[0:1], 0x40
	s_mov_b32 s12, s15
	s_ashr_i32 s15, s14, 31
	s_delay_alu instid0(SALU_CYCLE_1)
	s_lshl_b64 s[4:5], s[14:15], 2
	s_waitcnt lgkmcnt(0)
	s_add_u32 s2, s2, s4
	s_addc_u32 s3, s3, s5
	s_lshl_b32 s42, s12, 9
	s_load_b32 s33, s[2:3], 0x0
	s_waitcnt lgkmcnt(0)
	s_cmp_ge_i32 s42, s33
	s_cbranch_scc1 .LBB255_596
; %bb.1:
	s_mov_b32 s28, s13
	s_clause 0x1
	s_load_b32 s13, s[0:1], 0x90
	s_load_b64 s[2:3], s[0:1], 0x30
	s_mov_b32 s45, 0
	s_waitcnt lgkmcnt(0)
	s_abs_i32 s7, s13
	s_abs_i32 s4, s2
	s_delay_alu instid0(SALU_CYCLE_1) | instskip(SKIP_1) | instid1(VALU_DEP_1)
	v_cvt_f32_u32_e32 v1, s4
	s_sub_i32 s6, 0, s4
	v_rcp_iflag_f32_e32 v1, v1
	s_waitcnt_depctr 0xfff
	v_mul_f32_e32 v1, 0x4f7ffffe, v1
	s_delay_alu instid0(VALU_DEP_1) | instskip(NEXT) | instid1(VALU_DEP_1)
	v_cvt_u32_f32_e32 v1, v1
	v_readfirstlane_b32 s5, v1
	s_delay_alu instid0(VALU_DEP_1) | instskip(NEXT) | instid1(SALU_CYCLE_1)
	s_mul_i32 s6, s6, s5
	s_mul_hi_u32 s6, s5, s6
	s_delay_alu instid0(SALU_CYCLE_1) | instskip(SKIP_4) | instid1(SALU_CYCLE_1)
	s_add_i32 s5, s5, s6
	s_xor_b32 s6, s13, s2
	s_mul_hi_u32 s5, s7, s5
	s_ashr_i32 s6, s6, 31
	s_mul_i32 s8, s5, s4
	s_sub_i32 s7, s7, s8
	s_add_i32 s8, s5, 1
	s_sub_i32 s9, s7, s4
	s_cmp_ge_u32 s7, s4
	s_cselect_b32 s5, s8, s5
	s_cselect_b32 s7, s9, s7
	s_add_i32 s8, s5, 1
	s_cmp_ge_u32 s7, s4
	s_cselect_b32 s4, s8, s5
	s_delay_alu instid0(SALU_CYCLE_1) | instskip(NEXT) | instid1(SALU_CYCLE_1)
	s_xor_b32 s4, s4, s6
	s_sub_i32 s16, s4, s6
	s_load_b64 s[4:5], s[0:1], 0x50
	s_abs_i32 s6, s16
	s_delay_alu instid0(SALU_CYCLE_1) | instskip(SKIP_1) | instid1(VALU_DEP_1)
	v_cvt_f32_u32_e32 v1, s6
	s_sub_i32 s7, 0, s6
	v_rcp_iflag_f32_e32 v1, v1
	s_waitcnt_depctr 0xfff
	v_mul_f32_e32 v1, 0x4f7ffffe, v1
	s_delay_alu instid0(VALU_DEP_1) | instskip(NEXT) | instid1(VALU_DEP_1)
	v_cvt_u32_f32_e32 v1, v1
	v_readfirstlane_b32 s8, v1
	s_delay_alu instid0(VALU_DEP_1) | instskip(NEXT) | instid1(SALU_CYCLE_1)
	s_mul_i32 s7, s7, s8
	s_mul_hi_u32 s9, s8, s7
	s_abs_i32 s7, s28
	s_add_i32 s8, s8, s9
	s_waitcnt lgkmcnt(0)
	s_cmp_eq_u64 s[4:5], 0
	s_mul_hi_u32 s15, s7, s8
	s_cbranch_scc1 .LBB255_3
; %bb.2:
	s_ashr_i32 s29, s28, 31
	s_delay_alu instid0(SALU_CYCLE_1) | instskip(NEXT) | instid1(SALU_CYCLE_1)
	s_lshl_b64 s[8:9], s[28:29], 2
	s_add_u32 s4, s4, s8
	s_addc_u32 s5, s5, s9
	s_load_b32 s45, s[4:5], 0x0
.LBB255_3:
	s_load_b128 s[8:11], s[0:1], 0x58
	s_ashr_i32 s4, s28, 31
	s_ashr_i32 s5, s16, 31
	s_lshl_b32 s24, s28, 5
	s_waitcnt lgkmcnt(0)
	s_mov_b32 s11, exec_lo
	v_cmpx_gt_u32_e32 8, v0
	s_cbranch_execz .LBB255_5
; %bb.4:
	s_load_b64 s[16:17], s[0:1], 0x18
	s_mul_i32 s18, s14, s8
	v_lshlrev_b32_e32 v5, 4, v0
	s_ashr_i32 s19, s18, 31
	s_delay_alu instid0(SALU_CYCLE_1) | instskip(SKIP_4) | instid1(SALU_CYCLE_1)
	s_lshl_b64 s[18:19], s[18:19], 2
	s_waitcnt lgkmcnt(0)
	s_add_u32 s8, s16, s18
	s_addc_u32 s18, s17, s19
	s_ashr_i32 s25, s24, 31
	s_lshl_b64 s[16:17], s[24:25], 2
	s_delay_alu instid0(SALU_CYCLE_1)
	s_add_u32 s16, s8, s16
	s_addc_u32 s17, s18, s17
	global_load_b128 v[1:4], v5, s[16:17]
	s_waitcnt vmcnt(0)
	ds_store_b128 v5, v[1:4]
.LBB255_5:
	s_or_b32 exec_lo, exec_lo, s11
	s_load_b128 s[16:19], s[0:1], 0x78
	s_mul_i32 s8, s15, s6
	s_xor_b32 s5, s4, s5
	s_sub_i32 s4, s7, s8
	s_add_i32 s7, s15, 1
	s_sub_i32 s8, s4, s6
	s_cmp_ge_u32 s4, s6
	s_waitcnt lgkmcnt(0)
	s_cselect_b32 s7, s7, s15
	s_cselect_b32 s4, s8, s4
	s_add_i32 s8, s7, 1
	s_cmp_ge_u32 s4, s6
	s_load_b32 s4, s[0:1], 0x88
	s_cselect_b32 s6, s8, s7
	s_waitcnt lgkmcnt(0)
	s_barrier
	s_xor_b32 s6, s6, s5
	buffer_gl0_inv
	s_sub_i32 s43, s6, s5
	s_mov_b32 s6, -1
                                        ; implicit-def: $sgpr40
	s_abs_i32 s25, s19
	s_delay_alu instid0(SALU_CYCLE_1) | instskip(SKIP_1) | instid1(VALU_DEP_1)
	v_cvt_f32_u32_e32 v1, s25
	s_sub_i32 s5, 0, s25
	v_rcp_iflag_f32_e32 v1, v1
	s_waitcnt_depctr 0xfff
	v_mul_f32_e32 v1, 0x4f7ffffe, v1
	s_delay_alu instid0(VALU_DEP_1) | instskip(NEXT) | instid1(VALU_DEP_1)
	v_cvt_u32_f32_e32 v1, v1
	v_readfirstlane_b32 s29, v1
	s_delay_alu instid0(VALU_DEP_1)
	s_mul_i32 s7, s5, s29
	s_add_i32 s5, s33, -1
	s_mul_hi_u32 s7, s29, s7
	s_abs_i32 s11, s5
	s_add_i32 s29, s29, s7
	s_cmp_lt_i32 s4, 0
	s_mul_hi_u32 s8, s11, s29
	s_cbranch_scc0 .LBB255_7
; %bb.6:
	s_mul_i32 s2, s16, s2
	s_mov_b32 s6, 0
	s_add_i32 s2, s43, s2
	s_delay_alu instid0(SALU_CYCLE_1) | instskip(NEXT) | instid1(SALU_CYCLE_1)
	s_mul_i32 s2, s2, s4
	s_sub_i32 s40, 1, s2
.LBB255_7:
	s_load_b64 s[30:31], s[0:1], 0x38
	s_ashr_i32 s2, s5, 31
	s_and_not1_b32 vcc_lo, exec_lo, s6
	s_ashr_i32 s19, s19, 31
	s_cbranch_vccnz .LBB255_9
; %bb.8:
	s_mul_i32 s5, s13, s16
	s_delay_alu instid0(SALU_CYCLE_1) | instskip(NEXT) | instid1(SALU_CYCLE_1)
	s_add_i32 s5, s5, s28
	s_mul_i32 s4, s5, s4
	s_delay_alu instid0(SALU_CYCLE_1)
	s_add_i32 s40, s4, 1
.LBB255_9:
	s_clause 0x5
	s_load_b32 s16, s[0:1], 0x48
	s_load_b64 s[36:37], s[0:1], 0x28
	s_load_b128 s[20:23], s[0:1], 0x0
	s_load_b64 s[26:27], s[0:1], 0x10
	s_load_b32 s15, s[0:1], 0x98
	s_load_b128 s[4:7], s[0:1], 0x68
	s_xor_b32 s38, s2, s19
	s_mul_i32 s2, s8, s25
	s_add_i32 s39, s8, 1
	s_sub_i32 s2, s11, s2
	v_lshrrev_b32_e32 v105, 5, v0
	s_sub_i32 s11, s2, s25
	v_dual_mov_b32 v109, 0xff7fffff :: v_dual_and_b32 v106, 31, v0
	s_mul_i32 s43, s43, s10
	s_delay_alu instid0(VALU_DEP_2) | instskip(NEXT) | instid1(VALU_DEP_2)
	v_lshl_add_u32 v107, v105, 5, s42
	v_lshlrev_b32_e32 v108, 2, v106
	s_waitcnt lgkmcnt(0)
	s_mul_i32 s34, s14, s16
	s_delay_alu instid0(SALU_CYCLE_1)
	s_ashr_i32 s35, s34, 31
	s_cmp_ge_u32 s2, s25
	s_cselect_b32 s8, s39, s8
	s_cselect_b32 s2, s11, s2
	s_add_i32 s11, s8, 1
	s_cmp_ge_u32 s2, s25
	s_cselect_b32 s2, s11, s8
	s_add_i32 s11, s33, 31
	s_lshl_b32 s8, s12, 4
	s_ashr_i32 s16, s11, 31
	v_add_nc_u32_e32 v33, s8, v105
	s_lshr_b32 s16, s16, 27
	s_delay_alu instid0(SALU_CYCLE_1)
	s_add_i32 s11, s11, s16
	s_add_i32 s16, s8, 16
	s_ashr_i32 s41, s11, 5
	s_xor_b32 s11, s2, s38
	s_min_i32 s16, s16, s41
	v_ashrrev_i32_e32 v34, 31, v33
	v_cmp_gt_i32_e64 s2, s16, v33
	s_sub_i32 s44, s11, s38
	s_delay_alu instid0(VALU_DEP_1)
	s_and_saveexec_b32 s46, s2
	s_cbranch_execz .LBB255_273
; %bb.10:
	s_load_b64 s[0:1], s[0:1], 0x20
	s_sub_i32 s47, s44, s17
	s_ashr_i32 s10, s43, 31
	v_dual_mov_b32 v36, 0 :: v_dual_lshlrev_b32 v35, 4, v106
	v_lshlrev_b64 v[39:40], 2, v[33:34]
	v_subrev_nc_u32_e32 v37, s33, v106
	v_lshl_or_b32 v38, v105, 7, v108
	v_cmp_neq_f32_e64 vcc_lo, s45, 0
	v_lshl_add_u32 v110, v105, 5, s42
	v_mov_b32_e32 v111, 0xff7fffff
	v_add_nc_u32_e32 v113, 1, v37
	v_mov_b32_e32 v109, 0xff7fffff
	v_add_nc_u32_e32 v114, 0xa0, v38
	s_mov_b32 s49, s9
	s_mov_b32 s39, 0x7f800001
	v_mov_b32_e32 v112, v33
	s_waitcnt lgkmcnt(0)
	s_add_u32 s11, s0, s43
	s_addc_u32 s10, s1, s10
	s_abs_i32 s48, s18
	v_add_co_u32 v37, s11, s11, v35
	v_cvt_f32_u32_e32 v1, s48
	s_sub_i32 s0, 0, s48
	v_add_co_ci_u32_e64 v38, null, s10, 0, s11
	s_mov_b32 s10, 0
	s_delay_alu instid0(VALU_DEP_2) | instskip(SKIP_4) | instid1(VALU_DEP_1)
	v_rcp_iflag_f32_e32 v1, v1
	s_brev_b32 s11, 1
	s_mov_b32 s50, s10
	s_waitcnt_depctr 0xfff
	v_mul_f32_e32 v1, 0x4f7ffffe, v1
	v_cvt_u32_f32_e32 v41, v1
	ds_load_b128 v[1:4], v36
	ds_load_b128 v[5:8], v36 offset:16
	ds_load_b128 v[9:12], v36 offset:32
	;; [unrolled: 1-line block ×7, first 2 shown]
	v_mul_lo_u32 v42, s0, v41
	s_lshl_b64 s[0:1], s[34:35], 2
	s_delay_alu instid0(SALU_CYCLE_1) | instskip(SKIP_2) | instid1(VALU_DEP_1)
	s_add_u32 s0, s30, s0
	s_addc_u32 s1, s31, s1
	v_add_co_u32 v39, s0, s0, v39
	v_add_co_ci_u32_e64 v40, s0, s1, v40, s0
	s_delay_alu instid0(VALU_DEP_3) | instskip(NEXT) | instid1(VALU_DEP_1)
	v_mul_hi_u32 v42, v41, v42
	v_add_nc_u32_e32 v115, v41, v42
	s_branch .LBB255_16
.LBB255_11:                             ;   in Loop: Header=BB255_16 Depth=1
	s_or_b32 exec_lo, exec_lo, s54
	v_lshlrev_b32_e32 v104, 24, v117
	s_delay_alu instid0(VALU_DEP_2) | instskip(SKIP_1) | instid1(VALU_DEP_3)
	v_lshlrev_b32_e32 v35, 20, v35
	v_lshl_add_u32 v103, v103, 23, 0x3c000000
	v_and_b32_e32 v104, 0x80000000, v104
	s_delay_alu instid0(VALU_DEP_1)
	v_or3_b32 v104, v35, v104, v103
	v_mov_b32_e32 v103, v36
.LBB255_12:                             ;   in Loop: Header=BB255_16 Depth=1
	s_or_b32 exec_lo, exec_lo, s38
.LBB255_13:                             ;   in Loop: Header=BB255_16 Depth=1
	s_delay_alu instid0(SALU_CYCLE_1)
	s_or_b32 exec_lo, exec_lo, s53
.LBB255_14:                             ;   in Loop: Header=BB255_16 Depth=1
	s_delay_alu instid0(SALU_CYCLE_1)
	s_or_b32 exec_lo, exec_lo, s52
	v_or_b32_e32 v59, v61, v59
	v_or_b32_e32 v63, v65, v63
	;; [unrolled: 1-line block ×5, first 2 shown]
	s_waitcnt lgkmcnt(0)
	v_mul_f32_e32 v59, s51, v59
	v_mul_f32_e32 v56, s51, v63
	v_dual_mul_f32 v50, s51, v50 :: v_dual_mul_f32 v49, s51, v49
	v_or_b32_e32 v55, v57, v55
	v_or_b32_e32 v42, v44, v42
	;; [unrolled: 1-line block ×6, first 2 shown]
	v_mul_f32_e32 v52, s51, v52
	v_or_b32_e32 v43, v48, v46
	v_or_b32_e32 v44, v47, v45
	v_dual_mul_f32 v45, s51, v55 :: v_dual_mul_f32 v42, s51, v42
	v_mul_f32_e32 v41, s51, v41
	v_dual_mul_f32 v46, v5, v49 :: v_dual_mul_f32 v47, v6, v50
	v_or_b32_e32 v76, v78, v76
	v_or_b32_e32 v75, v77, v75
	;; [unrolled: 1-line block ×5, first 2 shown]
	v_mul_f32_e32 v60, s51, v60
	v_or_b32_e32 v64, v66, v64
	v_mul_f32_e32 v62, s51, v67
	v_mul_f32_e32 v67, s51, v71
	v_dual_mul_f32 v43, s51, v43 :: v_dual_mul_f32 v44, s51, v44
	v_dual_mul_f32 v45, v7, v45 :: v_dual_add_nc_u32 v48, v113, v110
	v_dual_fmac_f32 v46, v1, v41 :: v_dual_fmac_f32 v47, v2, v42
	v_or_b32_e32 v41, v99, v53
	v_mul_f32_e32 v42, v8, v52
	v_mul_f32_e32 v76, s51, v76
	;; [unrolled: 1-line block ×3, first 2 shown]
	v_or_b32_e32 v69, v74, v72
	v_dual_mul_f32 v70, s51, v75 :: v_dual_mul_f32 v75, s51, v77
	v_mul_f32_e32 v77, s51, v79
	v_mul_f32_e32 v51, s51, v64
	v_or_b32_e32 v49, v100, v54
	v_dual_fmac_f32 v45, v3, v44 :: v_dual_fmac_f32 v46, v9, v59
	v_fmac_f32_e32 v47, v10, v60
	v_mul_f32_e32 v41, s51, v41
	s_delay_alu instid0(VALU_DEP_4) | instskip(NEXT) | instid1(VALU_DEP_4)
	v_mul_f32_e32 v44, s51, v49
	v_dual_fmac_f32 v42, v4, v43 :: v_dual_fmac_f32 v45, v11, v56
	v_or_b32_e32 v84, v86, v84
	v_or_b32_e32 v83, v85, v83
	v_dual_mul_f32 v61, s51, v69 :: v_dual_fmac_f32 v46, v13, v62
	s_delay_alu instid0(VALU_DEP_4) | instskip(SKIP_3) | instid1(VALU_DEP_4)
	v_dual_fmac_f32 v47, v14, v68 :: v_dual_fmac_f32 v42, v12, v51
	v_or_b32_e32 v35, v94, v92
	v_or_b32_e32 v91, v93, v91
	;; [unrolled: 1-line block ×3, first 2 shown]
	v_fmac_f32_e32 v47, v18, v76
	v_or_b32_e32 v87, v89, v87
	v_dual_mul_f32 v84, s51, v84 :: v_dual_mul_f32 v83, s51, v83
	v_dual_fmac_f32 v45, v15, v67 :: v_dual_fmac_f32 v46, v17, v70
	s_delay_alu instid0(VALU_DEP_2)
	v_dual_fmac_f32 v42, v16, v61 :: v_dual_fmac_f32 v47, v22, v84
	v_or_b32_e32 v92, v98, v96
	v_or_b32_e32 v93, v97, v95
	v_mul_f32_e32 v35, s51, v35
	v_mul_f32_e32 v91, s51, v91
	v_dual_mul_f32 v85, s51, v85 :: v_dual_mul_f32 v78, s51, v87
	v_dual_fmac_f32 v45, v19, v77 :: v_dual_fmac_f32 v46, v21, v83
	v_fmac_f32_e32 v42, v20, v75
	v_mul_f32_e32 v92, s51, v92
	s_delay_alu instid0(VALU_DEP_3) | instskip(SKIP_4) | instid1(VALU_DEP_4)
	v_dual_mul_f32 v86, s51, v93 :: v_dual_fmac_f32 v45, v23, v78
	v_or_b32_e32 v43, v104, v102
	v_or_b32_e32 v49, v103, v101
	v_fmac_f32_e32 v46, v25, v91
	v_dual_fmac_f32 v47, v26, v35 :: v_dual_fmac_f32 v42, v24, v85
	v_mul_f32_e32 v43, s51, v43
	s_delay_alu instid0(VALU_DEP_4) | instskip(NEXT) | instid1(VALU_DEP_4)
	v_mul_f32_e32 v35, s51, v49
	v_dual_fmac_f32 v45, v27, v86 :: v_dual_fmac_f32 v46, v29, v41
	s_delay_alu instid0(VALU_DEP_4) | instskip(SKIP_2) | instid1(VALU_DEP_4)
	v_fmac_f32_e32 v42, v28, v92
	v_fmac_f32_e32 v47, v30, v44
	v_cvt_f32_i32_e32 v41, v48
	v_fmac_f32_e32 v45, v31, v35
	s_delay_alu instid0(VALU_DEP_4) | instskip(NEXT) | instid1(VALU_DEP_4)
	v_fmac_f32_e32 v42, v32, v43
	v_add_f32_e32 v35, v46, v47
	s_delay_alu instid0(VALU_DEP_4) | instskip(NEXT) | instid1(VALU_DEP_2)
	v_mul_f32_e32 v41, s45, v41
	v_add_f32_e32 v35, v35, v45
	s_delay_alu instid0(VALU_DEP_2) | instskip(NEXT) | instid1(VALU_DEP_2)
	v_cndmask_b32_e32 v41, 0, v41, vcc_lo
	v_add_f32_e32 v35, v42, v35
	s_delay_alu instid0(VALU_DEP_1) | instskip(SKIP_1) | instid1(VALU_DEP_2)
	v_dual_fmac_f32 v41, s3, v35 :: v_dual_add_nc_u32 v42, v106, v110
	v_max_f32_e32 v35, v109, v109
	v_cmp_gt_i32_e64 s0, s33, v42
	s_delay_alu instid0(VALU_DEP_2) | instskip(NEXT) | instid1(VALU_DEP_2)
	v_max_f32_e32 v35, v35, v41
	v_cndmask_b32_e64 v41, 0, v41, s0
	s_delay_alu instid0(VALU_DEP_2)
	v_cndmask_b32_e64 v109, v109, v35, s0
	ds_store_b32 v114, v41
.LBB255_15:                             ;   in Loop: Header=BB255_16 Depth=1
	s_or_b32 exec_lo, exec_lo, s1
	v_add_nc_u32_e32 v112, 4, v112
	v_add_co_u32 v39, s1, v39, 16
	s_delay_alu instid0(VALU_DEP_1) | instskip(NEXT) | instid1(VALU_DEP_3)
	v_add_co_ci_u32_e64 v40, s1, 0, v40, s1
	v_cmp_le_i32_e64 s0, s16, v112
	v_add_nc_u32_e32 v110, 0x80, v110
	v_add_nc_u32_e32 v114, 0x200, v114
	s_delay_alu instid0(VALU_DEP_3) | instskip(NEXT) | instid1(SALU_CYCLE_1)
	s_or_b32 s50, s0, s50
	s_and_not1_b32 exec_lo, exec_lo, s50
	s_cbranch_execz .LBB255_272
.LBB255_16:                             ; =>This Inner Loop Header: Depth=1
	v_sub_nc_u32_e32 v35, 0, v110
	s_delay_alu instid0(VALU_DEP_1) | instskip(NEXT) | instid1(VALU_DEP_1)
	v_max_i32_e32 v35, v110, v35
	v_mul_hi_u32 v41, v35, s29
	s_delay_alu instid0(VALU_DEP_1) | instskip(NEXT) | instid1(VALU_DEP_1)
	v_mul_lo_u32 v42, v41, s25
	v_sub_nc_u32_e32 v35, v35, v42
	v_add_nc_u32_e32 v42, 1, v41
	s_delay_alu instid0(VALU_DEP_2) | instskip(SKIP_1) | instid1(VALU_DEP_1)
	v_subrev_nc_u32_e32 v43, s25, v35
	v_cmp_le_u32_e64 s0, s25, v35
	v_cndmask_b32_e64 v41, v41, v42, s0
	s_delay_alu instid0(VALU_DEP_3) | instskip(SKIP_1) | instid1(VALU_DEP_3)
	v_cndmask_b32_e64 v35, v35, v43, s0
	v_ashrrev_i32_e32 v42, 31, v110
	v_add_nc_u32_e32 v43, 1, v41
	s_delay_alu instid0(VALU_DEP_3) | instskip(NEXT) | instid1(VALU_DEP_3)
	v_cmp_le_u32_e64 s0, s25, v35
	v_xor_b32_e32 v42, s19, v42
	s_delay_alu instid0(VALU_DEP_2) | instskip(NEXT) | instid1(VALU_DEP_1)
	v_cndmask_b32_e64 v35, v41, v43, s0
	v_xor_b32_e32 v35, v35, v42
	s_delay_alu instid0(VALU_DEP_1) | instskip(NEXT) | instid1(VALU_DEP_1)
	v_sub_nc_u32_e32 v35, v35, v42
	v_add_nc_u32_e32 v41, s40, v35
	v_cmp_ge_i32_e64 s1, s47, v35
	s_delay_alu instid0(VALU_DEP_2) | instskip(NEXT) | instid1(VALU_DEP_1)
	v_sub_nc_u32_e32 v42, 0, v41
	v_max_i32_e32 v42, v41, v42
	v_ashrrev_i32_e32 v41, 31, v41
	s_delay_alu instid0(VALU_DEP_2) | instskip(NEXT) | instid1(VALU_DEP_1)
	v_mul_hi_u32 v43, v42, v115
	v_mul_lo_u32 v43, v43, s48
	s_delay_alu instid0(VALU_DEP_1) | instskip(NEXT) | instid1(VALU_DEP_1)
	v_sub_nc_u32_e32 v42, v42, v43
	v_subrev_nc_u32_e32 v43, s48, v42
	v_cmp_le_u32_e64 s0, s48, v42
	s_delay_alu instid0(VALU_DEP_1) | instskip(NEXT) | instid1(VALU_DEP_1)
	v_cndmask_b32_e64 v42, v42, v43, s0
	v_subrev_nc_u32_e32 v43, s48, v42
	v_cmp_le_u32_e64 s0, s48, v42
	s_delay_alu instid0(VALU_DEP_1) | instskip(NEXT) | instid1(VALU_DEP_1)
	v_cndmask_b32_e64 v42, v42, v43, s0
	v_xor_b32_e32 v42, v42, v41
	s_delay_alu instid0(VALU_DEP_1) | instskip(NEXT) | instid1(VALU_DEP_1)
	v_sub_nc_u32_e32 v41, v42, v41
	v_cmp_ne_u32_e64 s0, 0, v41
	s_delay_alu instid0(VALU_DEP_1) | instskip(NEXT) | instid1(SALU_CYCLE_1)
	s_and_b32 s0, s0, s1
	s_and_saveexec_b32 s1, s0
	s_delay_alu instid0(SALU_CYCLE_1)
	s_xor_b32 s0, exec_lo, s1
	s_cbranch_execz .LBB255_18
; %bb.17:                               ;   in Loop: Header=BB255_16 Depth=1
	ds_store_b32 v114, v111
.LBB255_18:                             ;   in Loop: Header=BB255_16 Depth=1
	s_and_not1_saveexec_b32 s1, s0
	s_cbranch_execz .LBB255_15
; %bb.19:                               ;   in Loop: Header=BB255_16 Depth=1
	global_load_b32 v35, v[39:40], off
	s_load_b32 s51, s[4:5], 0x0
	v_mov_b32_e32 v43, 0
	s_mov_b32 s38, exec_lo
	s_waitcnt vmcnt(0)
	v_mad_i64_i32 v[53:54], null, v35, s49, v[37:38]
	global_load_b32 v49, v[53:54], off
	s_waitcnt vmcnt(0)
	v_dual_mov_b32 v44, 0 :: v_dual_and_b32 v35, 0xff, v49
	s_delay_alu instid0(VALU_DEP_1) | instskip(NEXT) | instid1(VALU_DEP_2)
	v_dual_mov_b32 v41, v43 :: v_dual_mov_b32 v42, v44
	v_cmpx_ne_u16_e32 0, v35
	s_cbranch_execz .LBB255_27
; %bb.20:                               ;   in Loop: Header=BB255_16 Depth=1
	v_bfrev_b32_e32 v41, 1
	v_mov_b32_e32 v42, 0
	s_mov_b32 s52, exec_lo
	v_cmpx_ne_u16_e32 0x80, v35
	s_cbranch_execz .LBB255_26
; %bb.21:                               ;   in Loop: Header=BB255_16 Depth=1
	v_mov_b32_e32 v41, 0x7f800001
	v_dual_mov_b32 v42, 0 :: v_dual_and_b32 v45, 0x7f, v49
	s_mov_b32 s53, exec_lo
	s_delay_alu instid0(VALU_DEP_1)
	v_cmpx_ne_u32_e32 0x7f, v45
	s_cbranch_execz .LBB255_25
; %bb.22:                               ;   in Loop: Header=BB255_16 Depth=1
	v_and_b32_e32 v35, 7, v49
	v_lshrrev_b32_e32 v41, 3, v45
	s_mov_b32 s54, exec_lo
	v_cmpx_gt_u32_e32 8, v45
; %bb.23:                               ;   in Loop: Header=BB255_16 Depth=1
	s_delay_alu instid0(VALU_DEP_3) | instskip(NEXT) | instid1(VALU_DEP_1)
	v_clz_i32_u32_e32 v41, v35
	v_min_u32_e32 v41, 32, v41
	s_delay_alu instid0(VALU_DEP_1) | instskip(SKIP_1) | instid1(VALU_DEP_2)
	v_subrev_nc_u32_e32 v42, 28, v41
	v_sub_nc_u32_e32 v41, 29, v41
	v_lshlrev_b64 v[45:46], v42, v[35:36]
	s_delay_alu instid0(VALU_DEP_1)
	v_and_b32_e32 v35, 7, v45
; %bb.24:                               ;   in Loop: Header=BB255_16 Depth=1
	s_or_b32 exec_lo, exec_lo, s54
	v_lshlrev_b32_e32 v42, 24, v49
	s_delay_alu instid0(VALU_DEP_2) | instskip(SKIP_1) | instid1(VALU_DEP_3)
	v_lshlrev_b32_e32 v35, 20, v35
	v_lshl_add_u32 v41, v41, 23, 0x3c000000
	v_and_b32_e32 v42, 0x80000000, v42
	s_delay_alu instid0(VALU_DEP_1) | instskip(NEXT) | instid1(VALU_DEP_1)
	v_or3_b32 v35, v35, v42, v41
	v_dual_mov_b32 v42, v36 :: v_dual_mov_b32 v41, v35
.LBB255_25:                             ;   in Loop: Header=BB255_16 Depth=1
	s_or_b32 exec_lo, exec_lo, s53
.LBB255_26:                             ;   in Loop: Header=BB255_16 Depth=1
	s_delay_alu instid0(SALU_CYCLE_1)
	s_or_b32 exec_lo, exec_lo, s52
.LBB255_27:                             ;   in Loop: Header=BB255_16 Depth=1
	s_delay_alu instid0(SALU_CYCLE_1) | instskip(SKIP_2) | instid1(VALU_DEP_1)
	s_or_b32 exec_lo, exec_lo, s38
	v_lshrrev_b16 v35, 8, v49
	s_mov_b32 s52, exec_lo
	v_cmpx_ne_u16_e32 0, v35
	s_cbranch_execz .LBB255_35
; %bb.28:                               ;   in Loop: Header=BB255_16 Depth=1
	v_dual_mov_b32 v44, s11 :: v_dual_mov_b32 v43, s10
	s_mov_b32 s53, exec_lo
	v_cmpx_ne_u16_e32 0x80, v35
	s_cbranch_execz .LBB255_34
; %bb.29:                               ;   in Loop: Header=BB255_16 Depth=1
	s_mov_b32 s38, s10
	v_dual_mov_b32 v44, s39 :: v_dual_and_b32 v35, 0xffff, v35
	v_mov_b32_e32 v43, s38
	s_mov_b32 s38, exec_lo
	s_delay_alu instid0(VALU_DEP_2) | instskip(NEXT) | instid1(VALU_DEP_1)
	v_and_b32_e32 v45, 0x7f, v35
	v_cmpx_ne_u32_e32 0x7f, v45
	s_cbranch_execz .LBB255_33
; %bb.30:                               ;   in Loop: Header=BB255_16 Depth=1
	v_and_b32_e32 v35, 7, v35
	v_lshrrev_b32_e32 v43, 3, v45
	s_mov_b32 s54, exec_lo
	v_cmpx_gt_u32_e32 8, v45
; %bb.31:                               ;   in Loop: Header=BB255_16 Depth=1
	s_delay_alu instid0(VALU_DEP_3) | instskip(NEXT) | instid1(VALU_DEP_1)
	v_clz_i32_u32_e32 v43, v35
	v_min_u32_e32 v43, 32, v43
	s_delay_alu instid0(VALU_DEP_1) | instskip(SKIP_1) | instid1(VALU_DEP_2)
	v_subrev_nc_u32_e32 v44, 28, v43
	v_sub_nc_u32_e32 v43, 29, v43
	v_lshlrev_b64 v[44:45], v44, v[35:36]
	s_delay_alu instid0(VALU_DEP_1)
	v_and_b32_e32 v35, 7, v44
; %bb.32:                               ;   in Loop: Header=BB255_16 Depth=1
	s_or_b32 exec_lo, exec_lo, s54
	v_lshlrev_b32_e32 v44, 16, v49
	s_delay_alu instid0(VALU_DEP_2) | instskip(SKIP_1) | instid1(VALU_DEP_3)
	v_lshlrev_b32_e32 v35, 20, v35
	v_lshl_add_u32 v43, v43, 23, 0x3c000000
	v_and_b32_e32 v44, 0x80000000, v44
	s_delay_alu instid0(VALU_DEP_1)
	v_or3_b32 v44, v35, v44, v43
	v_mov_b32_e32 v43, v36
.LBB255_33:                             ;   in Loop: Header=BB255_16 Depth=1
	s_or_b32 exec_lo, exec_lo, s38
.LBB255_34:                             ;   in Loop: Header=BB255_16 Depth=1
	s_delay_alu instid0(SALU_CYCLE_1)
	s_or_b32 exec_lo, exec_lo, s53
.LBB255_35:                             ;   in Loop: Header=BB255_16 Depth=1
	s_delay_alu instid0(SALU_CYCLE_1) | instskip(SKIP_4) | instid1(VALU_DEP_2)
	s_or_b32 exec_lo, exec_lo, s52
	v_mov_b32_e32 v47, 0
	v_lshrrev_b32_e32 v50, 16, v49
	v_mov_b32_e32 v48, 0
	s_mov_b32 s38, exec_lo
	v_and_b32_e32 v35, 0xff, v50
	s_delay_alu instid0(VALU_DEP_2) | instskip(NEXT) | instid1(VALU_DEP_2)
	v_dual_mov_b32 v45, v47 :: v_dual_mov_b32 v46, v48
	v_cmpx_ne_u16_e32 0, v35
	s_cbranch_execz .LBB255_43
; %bb.36:                               ;   in Loop: Header=BB255_16 Depth=1
	v_bfrev_b32_e32 v45, 1
	v_mov_b32_e32 v46, 0
	s_mov_b32 s52, exec_lo
	v_cmpx_ne_u16_e32 0x80, v35
	s_cbranch_execz .LBB255_42
; %bb.37:                               ;   in Loop: Header=BB255_16 Depth=1
	v_mov_b32_e32 v45, 0x7f800001
	v_bfe_u32 v51, v49, 16, 7
	v_mov_b32_e32 v46, 0
	s_mov_b32 s53, exec_lo
	s_delay_alu instid0(VALU_DEP_2)
	v_cmpx_ne_u32_e32 0x7f, v51
	s_cbranch_execz .LBB255_41
; %bb.38:                               ;   in Loop: Header=BB255_16 Depth=1
	v_and_b32_e32 v35, 7, v50
	v_lshrrev_b32_e32 v45, 3, v51
	s_mov_b32 s54, exec_lo
	v_cmpx_gt_u32_e32 8, v51
; %bb.39:                               ;   in Loop: Header=BB255_16 Depth=1
	s_delay_alu instid0(VALU_DEP_3) | instskip(NEXT) | instid1(VALU_DEP_1)
	v_clz_i32_u32_e32 v45, v35
	v_min_u32_e32 v45, 32, v45
	s_delay_alu instid0(VALU_DEP_1) | instskip(SKIP_1) | instid1(VALU_DEP_2)
	v_subrev_nc_u32_e32 v46, 28, v45
	v_sub_nc_u32_e32 v45, 29, v45
	v_lshlrev_b64 v[51:52], v46, v[35:36]
	s_delay_alu instid0(VALU_DEP_1)
	v_and_b32_e32 v35, 7, v51
; %bb.40:                               ;   in Loop: Header=BB255_16 Depth=1
	s_or_b32 exec_lo, exec_lo, s54
	v_lshlrev_b32_e32 v46, 24, v50
	s_delay_alu instid0(VALU_DEP_2) | instskip(SKIP_1) | instid1(VALU_DEP_3)
	v_lshlrev_b32_e32 v35, 20, v35
	v_lshl_add_u32 v45, v45, 23, 0x3c000000
	v_and_b32_e32 v46, 0x80000000, v46
	s_delay_alu instid0(VALU_DEP_1) | instskip(NEXT) | instid1(VALU_DEP_1)
	v_or3_b32 v35, v35, v46, v45
	v_dual_mov_b32 v46, v36 :: v_dual_mov_b32 v45, v35
.LBB255_41:                             ;   in Loop: Header=BB255_16 Depth=1
	s_or_b32 exec_lo, exec_lo, s53
.LBB255_42:                             ;   in Loop: Header=BB255_16 Depth=1
	s_delay_alu instid0(SALU_CYCLE_1)
	s_or_b32 exec_lo, exec_lo, s52
.LBB255_43:                             ;   in Loop: Header=BB255_16 Depth=1
	s_delay_alu instid0(SALU_CYCLE_1) | instskip(NEXT) | instid1(SALU_CYCLE_1)
	s_or_b32 exec_lo, exec_lo, s38
	s_mov_b32 s52, exec_lo
	v_cmpx_lt_u32_e32 0xffffff, v49
	s_cbranch_execz .LBB255_51
; %bb.44:                               ;   in Loop: Header=BB255_16 Depth=1
	v_lshrrev_b32_e32 v50, 24, v49
	v_dual_mov_b32 v48, s11 :: v_dual_mov_b32 v47, s10
	s_mov_b32 s53, exec_lo
	s_delay_alu instid0(VALU_DEP_2)
	v_cmpx_ne_u32_e32 0x80, v50
	s_cbranch_execz .LBB255_50
; %bb.45:                               ;   in Loop: Header=BB255_16 Depth=1
	s_mov_b32 s38, s10
	v_bfe_u32 v49, v49, 24, 7
	v_dual_mov_b32 v48, s39 :: v_dual_mov_b32 v47, s38
	s_mov_b32 s38, exec_lo
	s_delay_alu instid0(VALU_DEP_2)
	v_cmpx_ne_u32_e32 0x7f, v49
	s_cbranch_execz .LBB255_49
; %bb.46:                               ;   in Loop: Header=BB255_16 Depth=1
	v_and_b32_e32 v35, 7, v50
	v_lshrrev_b32_e32 v47, 3, v49
	s_mov_b32 s54, exec_lo
	v_cmpx_gt_u32_e32 8, v49
; %bb.47:                               ;   in Loop: Header=BB255_16 Depth=1
	s_delay_alu instid0(VALU_DEP_3) | instskip(NEXT) | instid1(VALU_DEP_1)
	v_clz_i32_u32_e32 v47, v35
	v_min_u32_e32 v47, 32, v47
	s_delay_alu instid0(VALU_DEP_1) | instskip(SKIP_1) | instid1(VALU_DEP_2)
	v_subrev_nc_u32_e32 v48, 28, v47
	v_sub_nc_u32_e32 v47, 29, v47
	v_lshlrev_b64 v[48:49], v48, v[35:36]
	s_delay_alu instid0(VALU_DEP_1)
	v_and_b32_e32 v35, 7, v48
; %bb.48:                               ;   in Loop: Header=BB255_16 Depth=1
	s_or_b32 exec_lo, exec_lo, s54
	v_lshlrev_b32_e32 v48, 24, v50
	s_delay_alu instid0(VALU_DEP_2) | instskip(SKIP_1) | instid1(VALU_DEP_3)
	v_lshlrev_b32_e32 v35, 20, v35
	v_lshl_add_u32 v47, v47, 23, 0x3c000000
	v_and_b32_e32 v48, 0x80000000, v48
	s_delay_alu instid0(VALU_DEP_1)
	v_or3_b32 v48, v35, v48, v47
	v_mov_b32_e32 v47, v36
.LBB255_49:                             ;   in Loop: Header=BB255_16 Depth=1
	s_or_b32 exec_lo, exec_lo, s38
.LBB255_50:                             ;   in Loop: Header=BB255_16 Depth=1
	s_delay_alu instid0(SALU_CYCLE_1)
	s_or_b32 exec_lo, exec_lo, s53
.LBB255_51:                             ;   in Loop: Header=BB255_16 Depth=1
	s_delay_alu instid0(SALU_CYCLE_1)
	s_or_b32 exec_lo, exec_lo, s52
	global_load_b32 v59, v[53:54], off offset:4
	v_mov_b32_e32 v51, 0
	v_mov_b32_e32 v52, 0
	s_mov_b32 s38, exec_lo
	s_waitcnt vmcnt(0)
	v_and_b32_e32 v35, 0xff, v59
	s_delay_alu instid0(VALU_DEP_2) | instskip(NEXT) | instid1(VALU_DEP_2)
	v_dual_mov_b32 v49, v51 :: v_dual_mov_b32 v50, v52
	v_cmpx_ne_u16_e32 0, v35
	s_cbranch_execz .LBB255_59
; %bb.52:                               ;   in Loop: Header=BB255_16 Depth=1
	v_bfrev_b32_e32 v49, 1
	v_mov_b32_e32 v50, 0
	s_mov_b32 s52, exec_lo
	v_cmpx_ne_u16_e32 0x80, v35
	s_cbranch_execz .LBB255_58
; %bb.53:                               ;   in Loop: Header=BB255_16 Depth=1
	v_mov_b32_e32 v49, 0x7f800001
	v_dual_mov_b32 v50, 0 :: v_dual_and_b32 v55, 0x7f, v59
	s_mov_b32 s53, exec_lo
	s_delay_alu instid0(VALU_DEP_1)
	v_cmpx_ne_u32_e32 0x7f, v55
	s_cbranch_execz .LBB255_57
; %bb.54:                               ;   in Loop: Header=BB255_16 Depth=1
	v_and_b32_e32 v35, 7, v59
	v_lshrrev_b32_e32 v49, 3, v55
	s_mov_b32 s54, exec_lo
	v_cmpx_gt_u32_e32 8, v55
; %bb.55:                               ;   in Loop: Header=BB255_16 Depth=1
	s_delay_alu instid0(VALU_DEP_3) | instskip(NEXT) | instid1(VALU_DEP_1)
	v_clz_i32_u32_e32 v49, v35
	v_min_u32_e32 v49, 32, v49
	s_delay_alu instid0(VALU_DEP_1) | instskip(SKIP_1) | instid1(VALU_DEP_2)
	v_subrev_nc_u32_e32 v50, 28, v49
	v_sub_nc_u32_e32 v49, 29, v49
	v_lshlrev_b64 v[55:56], v50, v[35:36]
	s_delay_alu instid0(VALU_DEP_1)
	v_and_b32_e32 v35, 7, v55
; %bb.56:                               ;   in Loop: Header=BB255_16 Depth=1
	s_or_b32 exec_lo, exec_lo, s54
	v_lshlrev_b32_e32 v50, 24, v59
	s_delay_alu instid0(VALU_DEP_2) | instskip(SKIP_1) | instid1(VALU_DEP_3)
	v_lshlrev_b32_e32 v35, 20, v35
	v_lshl_add_u32 v49, v49, 23, 0x3c000000
	v_and_b32_e32 v50, 0x80000000, v50
	s_delay_alu instid0(VALU_DEP_1) | instskip(NEXT) | instid1(VALU_DEP_1)
	v_or3_b32 v35, v35, v50, v49
	v_dual_mov_b32 v50, v36 :: v_dual_mov_b32 v49, v35
.LBB255_57:                             ;   in Loop: Header=BB255_16 Depth=1
	s_or_b32 exec_lo, exec_lo, s53
.LBB255_58:                             ;   in Loop: Header=BB255_16 Depth=1
	s_delay_alu instid0(SALU_CYCLE_1)
	s_or_b32 exec_lo, exec_lo, s52
.LBB255_59:                             ;   in Loop: Header=BB255_16 Depth=1
	s_delay_alu instid0(SALU_CYCLE_1) | instskip(SKIP_2) | instid1(VALU_DEP_1)
	s_or_b32 exec_lo, exec_lo, s38
	v_lshrrev_b16 v35, 8, v59
	s_mov_b32 s52, exec_lo
	v_cmpx_ne_u16_e32 0, v35
	s_cbranch_execz .LBB255_67
; %bb.60:                               ;   in Loop: Header=BB255_16 Depth=1
	v_dual_mov_b32 v52, s11 :: v_dual_mov_b32 v51, s10
	s_mov_b32 s53, exec_lo
	v_cmpx_ne_u16_e32 0x80, v35
	s_cbranch_execz .LBB255_66
; %bb.61:                               ;   in Loop: Header=BB255_16 Depth=1
	s_mov_b32 s38, s10
	v_dual_mov_b32 v52, s39 :: v_dual_and_b32 v35, 0xffff, v35
	v_mov_b32_e32 v51, s38
	s_mov_b32 s38, exec_lo
	s_delay_alu instid0(VALU_DEP_2) | instskip(NEXT) | instid1(VALU_DEP_1)
	v_and_b32_e32 v55, 0x7f, v35
	v_cmpx_ne_u32_e32 0x7f, v55
	s_cbranch_execz .LBB255_65
; %bb.62:                               ;   in Loop: Header=BB255_16 Depth=1
	v_and_b32_e32 v35, 7, v35
	v_lshrrev_b32_e32 v51, 3, v55
	s_mov_b32 s54, exec_lo
	v_cmpx_gt_u32_e32 8, v55
; %bb.63:                               ;   in Loop: Header=BB255_16 Depth=1
	s_delay_alu instid0(VALU_DEP_3) | instskip(NEXT) | instid1(VALU_DEP_1)
	v_clz_i32_u32_e32 v51, v35
	v_min_u32_e32 v51, 32, v51
	s_delay_alu instid0(VALU_DEP_1) | instskip(SKIP_1) | instid1(VALU_DEP_2)
	v_subrev_nc_u32_e32 v52, 28, v51
	v_sub_nc_u32_e32 v51, 29, v51
	v_lshlrev_b64 v[55:56], v52, v[35:36]
	s_delay_alu instid0(VALU_DEP_1)
	v_and_b32_e32 v35, 7, v55
; %bb.64:                               ;   in Loop: Header=BB255_16 Depth=1
	s_or_b32 exec_lo, exec_lo, s54
	v_lshlrev_b32_e32 v52, 16, v59
	s_delay_alu instid0(VALU_DEP_2) | instskip(SKIP_1) | instid1(VALU_DEP_3)
	v_lshlrev_b32_e32 v35, 20, v35
	v_lshl_add_u32 v51, v51, 23, 0x3c000000
	v_and_b32_e32 v52, 0x80000000, v52
	s_delay_alu instid0(VALU_DEP_1)
	v_or3_b32 v52, v35, v52, v51
	v_mov_b32_e32 v51, v36
.LBB255_65:                             ;   in Loop: Header=BB255_16 Depth=1
	s_or_b32 exec_lo, exec_lo, s38
.LBB255_66:                             ;   in Loop: Header=BB255_16 Depth=1
	s_delay_alu instid0(SALU_CYCLE_1)
	s_or_b32 exec_lo, exec_lo, s53
.LBB255_67:                             ;   in Loop: Header=BB255_16 Depth=1
	s_delay_alu instid0(SALU_CYCLE_1) | instskip(SKIP_4) | instid1(VALU_DEP_2)
	s_or_b32 exec_lo, exec_lo, s52
	v_mov_b32_e32 v57, 0
	v_lshrrev_b32_e32 v60, 16, v59
	v_mov_b32_e32 v58, 0
	s_mov_b32 s38, exec_lo
	v_and_b32_e32 v35, 0xff, v60
	s_delay_alu instid0(VALU_DEP_2) | instskip(NEXT) | instid1(VALU_DEP_2)
	v_dual_mov_b32 v55, v57 :: v_dual_mov_b32 v56, v58
	v_cmpx_ne_u16_e32 0, v35
	s_cbranch_execz .LBB255_75
; %bb.68:                               ;   in Loop: Header=BB255_16 Depth=1
	v_bfrev_b32_e32 v55, 1
	v_mov_b32_e32 v56, 0
	s_mov_b32 s52, exec_lo
	v_cmpx_ne_u16_e32 0x80, v35
	s_cbranch_execz .LBB255_74
; %bb.69:                               ;   in Loop: Header=BB255_16 Depth=1
	v_mov_b32_e32 v55, 0x7f800001
	v_bfe_u32 v61, v59, 16, 7
	v_mov_b32_e32 v56, 0
	s_mov_b32 s53, exec_lo
	s_delay_alu instid0(VALU_DEP_2)
	v_cmpx_ne_u32_e32 0x7f, v61
	s_cbranch_execz .LBB255_73
; %bb.70:                               ;   in Loop: Header=BB255_16 Depth=1
	v_and_b32_e32 v35, 7, v60
	v_lshrrev_b32_e32 v55, 3, v61
	s_mov_b32 s54, exec_lo
	v_cmpx_gt_u32_e32 8, v61
; %bb.71:                               ;   in Loop: Header=BB255_16 Depth=1
	s_delay_alu instid0(VALU_DEP_3) | instskip(NEXT) | instid1(VALU_DEP_1)
	v_clz_i32_u32_e32 v55, v35
	v_min_u32_e32 v55, 32, v55
	s_delay_alu instid0(VALU_DEP_1) | instskip(SKIP_1) | instid1(VALU_DEP_2)
	v_subrev_nc_u32_e32 v56, 28, v55
	v_sub_nc_u32_e32 v55, 29, v55
	v_lshlrev_b64 v[61:62], v56, v[35:36]
	s_delay_alu instid0(VALU_DEP_1)
	v_and_b32_e32 v35, 7, v61
; %bb.72:                               ;   in Loop: Header=BB255_16 Depth=1
	s_or_b32 exec_lo, exec_lo, s54
	v_lshlrev_b32_e32 v56, 24, v60
	s_delay_alu instid0(VALU_DEP_2) | instskip(SKIP_1) | instid1(VALU_DEP_3)
	v_lshlrev_b32_e32 v35, 20, v35
	v_lshl_add_u32 v55, v55, 23, 0x3c000000
	v_and_b32_e32 v56, 0x80000000, v56
	s_delay_alu instid0(VALU_DEP_1) | instskip(NEXT) | instid1(VALU_DEP_1)
	v_or3_b32 v35, v35, v56, v55
	v_dual_mov_b32 v56, v36 :: v_dual_mov_b32 v55, v35
.LBB255_73:                             ;   in Loop: Header=BB255_16 Depth=1
	s_or_b32 exec_lo, exec_lo, s53
.LBB255_74:                             ;   in Loop: Header=BB255_16 Depth=1
	s_delay_alu instid0(SALU_CYCLE_1)
	s_or_b32 exec_lo, exec_lo, s52
.LBB255_75:                             ;   in Loop: Header=BB255_16 Depth=1
	s_delay_alu instid0(SALU_CYCLE_1) | instskip(NEXT) | instid1(SALU_CYCLE_1)
	s_or_b32 exec_lo, exec_lo, s38
	s_mov_b32 s52, exec_lo
	v_cmpx_lt_u32_e32 0xffffff, v59
	s_cbranch_execz .LBB255_83
; %bb.76:                               ;   in Loop: Header=BB255_16 Depth=1
	v_lshrrev_b32_e32 v60, 24, v59
	v_dual_mov_b32 v58, s11 :: v_dual_mov_b32 v57, s10
	s_mov_b32 s53, exec_lo
	s_delay_alu instid0(VALU_DEP_2)
	v_cmpx_ne_u32_e32 0x80, v60
	s_cbranch_execz .LBB255_82
; %bb.77:                               ;   in Loop: Header=BB255_16 Depth=1
	s_mov_b32 s38, s10
	v_bfe_u32 v59, v59, 24, 7
	v_dual_mov_b32 v58, s39 :: v_dual_mov_b32 v57, s38
	s_mov_b32 s38, exec_lo
	s_delay_alu instid0(VALU_DEP_2)
	v_cmpx_ne_u32_e32 0x7f, v59
	s_cbranch_execz .LBB255_81
; %bb.78:                               ;   in Loop: Header=BB255_16 Depth=1
	v_and_b32_e32 v35, 7, v60
	v_lshrrev_b32_e32 v57, 3, v59
	s_mov_b32 s54, exec_lo
	v_cmpx_gt_u32_e32 8, v59
; %bb.79:                               ;   in Loop: Header=BB255_16 Depth=1
	s_delay_alu instid0(VALU_DEP_3) | instskip(NEXT) | instid1(VALU_DEP_1)
	v_clz_i32_u32_e32 v57, v35
	v_min_u32_e32 v57, 32, v57
	s_delay_alu instid0(VALU_DEP_1) | instskip(SKIP_1) | instid1(VALU_DEP_2)
	v_subrev_nc_u32_e32 v58, 28, v57
	v_sub_nc_u32_e32 v57, 29, v57
	v_lshlrev_b64 v[58:59], v58, v[35:36]
	s_delay_alu instid0(VALU_DEP_1)
	v_and_b32_e32 v35, 7, v58
; %bb.80:                               ;   in Loop: Header=BB255_16 Depth=1
	s_or_b32 exec_lo, exec_lo, s54
	v_lshlrev_b32_e32 v58, 24, v60
	s_delay_alu instid0(VALU_DEP_2) | instskip(SKIP_1) | instid1(VALU_DEP_3)
	v_lshlrev_b32_e32 v35, 20, v35
	v_lshl_add_u32 v57, v57, 23, 0x3c000000
	v_and_b32_e32 v58, 0x80000000, v58
	s_delay_alu instid0(VALU_DEP_1)
	v_or3_b32 v58, v35, v58, v57
	v_mov_b32_e32 v57, v36
.LBB255_81:                             ;   in Loop: Header=BB255_16 Depth=1
	s_or_b32 exec_lo, exec_lo, s38
.LBB255_82:                             ;   in Loop: Header=BB255_16 Depth=1
	s_delay_alu instid0(SALU_CYCLE_1)
	s_or_b32 exec_lo, exec_lo, s53
.LBB255_83:                             ;   in Loop: Header=BB255_16 Depth=1
	s_delay_alu instid0(SALU_CYCLE_1)
	s_or_b32 exec_lo, exec_lo, s52
	global_load_b32 v67, v[53:54], off offset:8
	v_mov_b32_e32 v61, 0
	v_mov_b32_e32 v62, 0
	s_mov_b32 s38, exec_lo
	s_waitcnt vmcnt(0)
	v_and_b32_e32 v35, 0xff, v67
	s_delay_alu instid0(VALU_DEP_2) | instskip(NEXT) | instid1(VALU_DEP_2)
	v_dual_mov_b32 v59, v61 :: v_dual_mov_b32 v60, v62
	v_cmpx_ne_u16_e32 0, v35
	s_cbranch_execz .LBB255_91
; %bb.84:                               ;   in Loop: Header=BB255_16 Depth=1
	v_bfrev_b32_e32 v59, 1
	v_mov_b32_e32 v60, 0
	s_mov_b32 s52, exec_lo
	v_cmpx_ne_u16_e32 0x80, v35
	s_cbranch_execz .LBB255_90
; %bb.85:                               ;   in Loop: Header=BB255_16 Depth=1
	v_mov_b32_e32 v59, 0x7f800001
	v_dual_mov_b32 v60, 0 :: v_dual_and_b32 v63, 0x7f, v67
	s_mov_b32 s53, exec_lo
	s_delay_alu instid0(VALU_DEP_1)
	v_cmpx_ne_u32_e32 0x7f, v63
	s_cbranch_execz .LBB255_89
; %bb.86:                               ;   in Loop: Header=BB255_16 Depth=1
	v_and_b32_e32 v35, 7, v67
	v_lshrrev_b32_e32 v59, 3, v63
	s_mov_b32 s54, exec_lo
	v_cmpx_gt_u32_e32 8, v63
; %bb.87:                               ;   in Loop: Header=BB255_16 Depth=1
	s_delay_alu instid0(VALU_DEP_3) | instskip(NEXT) | instid1(VALU_DEP_1)
	v_clz_i32_u32_e32 v59, v35
	v_min_u32_e32 v59, 32, v59
	s_delay_alu instid0(VALU_DEP_1) | instskip(SKIP_1) | instid1(VALU_DEP_2)
	v_subrev_nc_u32_e32 v60, 28, v59
	v_sub_nc_u32_e32 v59, 29, v59
	v_lshlrev_b64 v[63:64], v60, v[35:36]
	s_delay_alu instid0(VALU_DEP_1)
	v_and_b32_e32 v35, 7, v63
; %bb.88:                               ;   in Loop: Header=BB255_16 Depth=1
	s_or_b32 exec_lo, exec_lo, s54
	v_lshlrev_b32_e32 v60, 24, v67
	s_delay_alu instid0(VALU_DEP_2) | instskip(SKIP_1) | instid1(VALU_DEP_3)
	v_lshlrev_b32_e32 v35, 20, v35
	v_lshl_add_u32 v59, v59, 23, 0x3c000000
	v_and_b32_e32 v60, 0x80000000, v60
	s_delay_alu instid0(VALU_DEP_1) | instskip(NEXT) | instid1(VALU_DEP_1)
	v_or3_b32 v35, v35, v60, v59
	v_dual_mov_b32 v60, v36 :: v_dual_mov_b32 v59, v35
.LBB255_89:                             ;   in Loop: Header=BB255_16 Depth=1
	s_or_b32 exec_lo, exec_lo, s53
.LBB255_90:                             ;   in Loop: Header=BB255_16 Depth=1
	s_delay_alu instid0(SALU_CYCLE_1)
	s_or_b32 exec_lo, exec_lo, s52
.LBB255_91:                             ;   in Loop: Header=BB255_16 Depth=1
	s_delay_alu instid0(SALU_CYCLE_1) | instskip(SKIP_2) | instid1(VALU_DEP_1)
	s_or_b32 exec_lo, exec_lo, s38
	v_lshrrev_b16 v35, 8, v67
	s_mov_b32 s52, exec_lo
	v_cmpx_ne_u16_e32 0, v35
	s_cbranch_execz .LBB255_99
; %bb.92:                               ;   in Loop: Header=BB255_16 Depth=1
	v_dual_mov_b32 v62, s11 :: v_dual_mov_b32 v61, s10
	s_mov_b32 s53, exec_lo
	v_cmpx_ne_u16_e32 0x80, v35
	s_cbranch_execz .LBB255_98
; %bb.93:                               ;   in Loop: Header=BB255_16 Depth=1
	s_mov_b32 s38, s10
	v_dual_mov_b32 v62, s39 :: v_dual_and_b32 v35, 0xffff, v35
	v_mov_b32_e32 v61, s38
	s_mov_b32 s38, exec_lo
	s_delay_alu instid0(VALU_DEP_2) | instskip(NEXT) | instid1(VALU_DEP_1)
	v_and_b32_e32 v63, 0x7f, v35
	v_cmpx_ne_u32_e32 0x7f, v63
	s_cbranch_execz .LBB255_97
; %bb.94:                               ;   in Loop: Header=BB255_16 Depth=1
	v_and_b32_e32 v35, 7, v35
	v_lshrrev_b32_e32 v61, 3, v63
	s_mov_b32 s54, exec_lo
	v_cmpx_gt_u32_e32 8, v63
; %bb.95:                               ;   in Loop: Header=BB255_16 Depth=1
	s_delay_alu instid0(VALU_DEP_3) | instskip(NEXT) | instid1(VALU_DEP_1)
	v_clz_i32_u32_e32 v61, v35
	v_min_u32_e32 v61, 32, v61
	s_delay_alu instid0(VALU_DEP_1) | instskip(SKIP_1) | instid1(VALU_DEP_2)
	v_subrev_nc_u32_e32 v62, 28, v61
	v_sub_nc_u32_e32 v61, 29, v61
	v_lshlrev_b64 v[62:63], v62, v[35:36]
	s_delay_alu instid0(VALU_DEP_1)
	v_and_b32_e32 v35, 7, v62
; %bb.96:                               ;   in Loop: Header=BB255_16 Depth=1
	s_or_b32 exec_lo, exec_lo, s54
	v_lshlrev_b32_e32 v62, 16, v67
	s_delay_alu instid0(VALU_DEP_2) | instskip(SKIP_1) | instid1(VALU_DEP_3)
	v_lshlrev_b32_e32 v35, 20, v35
	v_lshl_add_u32 v61, v61, 23, 0x3c000000
	v_and_b32_e32 v62, 0x80000000, v62
	s_delay_alu instid0(VALU_DEP_1)
	v_or3_b32 v62, v35, v62, v61
	v_mov_b32_e32 v61, v36
.LBB255_97:                             ;   in Loop: Header=BB255_16 Depth=1
	s_or_b32 exec_lo, exec_lo, s38
.LBB255_98:                             ;   in Loop: Header=BB255_16 Depth=1
	s_delay_alu instid0(SALU_CYCLE_1)
	s_or_b32 exec_lo, exec_lo, s53
.LBB255_99:                             ;   in Loop: Header=BB255_16 Depth=1
	s_delay_alu instid0(SALU_CYCLE_1) | instskip(SKIP_4) | instid1(VALU_DEP_2)
	s_or_b32 exec_lo, exec_lo, s52
	v_mov_b32_e32 v65, 0
	v_lshrrev_b32_e32 v68, 16, v67
	v_mov_b32_e32 v66, 0
	s_mov_b32 s38, exec_lo
	v_and_b32_e32 v35, 0xff, v68
	s_delay_alu instid0(VALU_DEP_2) | instskip(NEXT) | instid1(VALU_DEP_2)
	v_dual_mov_b32 v63, v65 :: v_dual_mov_b32 v64, v66
	v_cmpx_ne_u16_e32 0, v35
	s_cbranch_execz .LBB255_107
; %bb.100:                              ;   in Loop: Header=BB255_16 Depth=1
	v_bfrev_b32_e32 v63, 1
	v_mov_b32_e32 v64, 0
	s_mov_b32 s52, exec_lo
	v_cmpx_ne_u16_e32 0x80, v35
	s_cbranch_execz .LBB255_106
; %bb.101:                              ;   in Loop: Header=BB255_16 Depth=1
	v_mov_b32_e32 v63, 0x7f800001
	v_bfe_u32 v69, v67, 16, 7
	v_mov_b32_e32 v64, 0
	s_mov_b32 s53, exec_lo
	s_delay_alu instid0(VALU_DEP_2)
	v_cmpx_ne_u32_e32 0x7f, v69
	s_cbranch_execz .LBB255_105
; %bb.102:                              ;   in Loop: Header=BB255_16 Depth=1
	v_and_b32_e32 v35, 7, v68
	v_lshrrev_b32_e32 v63, 3, v69
	s_mov_b32 s54, exec_lo
	v_cmpx_gt_u32_e32 8, v69
; %bb.103:                              ;   in Loop: Header=BB255_16 Depth=1
	s_delay_alu instid0(VALU_DEP_3) | instskip(NEXT) | instid1(VALU_DEP_1)
	v_clz_i32_u32_e32 v63, v35
	v_min_u32_e32 v63, 32, v63
	s_delay_alu instid0(VALU_DEP_1) | instskip(SKIP_1) | instid1(VALU_DEP_2)
	v_subrev_nc_u32_e32 v64, 28, v63
	v_sub_nc_u32_e32 v63, 29, v63
	v_lshlrev_b64 v[69:70], v64, v[35:36]
	s_delay_alu instid0(VALU_DEP_1)
	v_and_b32_e32 v35, 7, v69
; %bb.104:                              ;   in Loop: Header=BB255_16 Depth=1
	s_or_b32 exec_lo, exec_lo, s54
	v_lshlrev_b32_e32 v64, 24, v68
	s_delay_alu instid0(VALU_DEP_2) | instskip(SKIP_1) | instid1(VALU_DEP_3)
	v_lshlrev_b32_e32 v35, 20, v35
	v_lshl_add_u32 v63, v63, 23, 0x3c000000
	v_and_b32_e32 v64, 0x80000000, v64
	s_delay_alu instid0(VALU_DEP_1) | instskip(NEXT) | instid1(VALU_DEP_1)
	v_or3_b32 v35, v35, v64, v63
	v_dual_mov_b32 v64, v36 :: v_dual_mov_b32 v63, v35
.LBB255_105:                            ;   in Loop: Header=BB255_16 Depth=1
	s_or_b32 exec_lo, exec_lo, s53
.LBB255_106:                            ;   in Loop: Header=BB255_16 Depth=1
	s_delay_alu instid0(SALU_CYCLE_1)
	s_or_b32 exec_lo, exec_lo, s52
.LBB255_107:                            ;   in Loop: Header=BB255_16 Depth=1
	s_delay_alu instid0(SALU_CYCLE_1) | instskip(NEXT) | instid1(SALU_CYCLE_1)
	s_or_b32 exec_lo, exec_lo, s38
	s_mov_b32 s52, exec_lo
	v_cmpx_lt_u32_e32 0xffffff, v67
	s_cbranch_execz .LBB255_115
; %bb.108:                              ;   in Loop: Header=BB255_16 Depth=1
	v_lshrrev_b32_e32 v68, 24, v67
	v_dual_mov_b32 v66, s11 :: v_dual_mov_b32 v65, s10
	s_mov_b32 s53, exec_lo
	s_delay_alu instid0(VALU_DEP_2)
	v_cmpx_ne_u32_e32 0x80, v68
	s_cbranch_execz .LBB255_114
; %bb.109:                              ;   in Loop: Header=BB255_16 Depth=1
	s_mov_b32 s38, s10
	v_bfe_u32 v67, v67, 24, 7
	v_dual_mov_b32 v66, s39 :: v_dual_mov_b32 v65, s38
	s_mov_b32 s38, exec_lo
	s_delay_alu instid0(VALU_DEP_2)
	v_cmpx_ne_u32_e32 0x7f, v67
	s_cbranch_execz .LBB255_113
; %bb.110:                              ;   in Loop: Header=BB255_16 Depth=1
	v_and_b32_e32 v35, 7, v68
	v_lshrrev_b32_e32 v65, 3, v67
	s_mov_b32 s54, exec_lo
	v_cmpx_gt_u32_e32 8, v67
; %bb.111:                              ;   in Loop: Header=BB255_16 Depth=1
	s_delay_alu instid0(VALU_DEP_3) | instskip(NEXT) | instid1(VALU_DEP_1)
	v_clz_i32_u32_e32 v65, v35
	v_min_u32_e32 v65, 32, v65
	s_delay_alu instid0(VALU_DEP_1) | instskip(SKIP_1) | instid1(VALU_DEP_2)
	v_subrev_nc_u32_e32 v66, 28, v65
	v_sub_nc_u32_e32 v65, 29, v65
	v_lshlrev_b64 v[66:67], v66, v[35:36]
	s_delay_alu instid0(VALU_DEP_1)
	v_and_b32_e32 v35, 7, v66
; %bb.112:                              ;   in Loop: Header=BB255_16 Depth=1
	s_or_b32 exec_lo, exec_lo, s54
	v_lshlrev_b32_e32 v66, 24, v68
	s_delay_alu instid0(VALU_DEP_2) | instskip(SKIP_1) | instid1(VALU_DEP_3)
	v_lshlrev_b32_e32 v35, 20, v35
	v_lshl_add_u32 v65, v65, 23, 0x3c000000
	v_and_b32_e32 v66, 0x80000000, v66
	s_delay_alu instid0(VALU_DEP_1)
	v_or3_b32 v66, v35, v66, v65
	v_mov_b32_e32 v65, v36
.LBB255_113:                            ;   in Loop: Header=BB255_16 Depth=1
	s_or_b32 exec_lo, exec_lo, s38
.LBB255_114:                            ;   in Loop: Header=BB255_16 Depth=1
	s_delay_alu instid0(SALU_CYCLE_1)
	s_or_b32 exec_lo, exec_lo, s53
.LBB255_115:                            ;   in Loop: Header=BB255_16 Depth=1
	s_delay_alu instid0(SALU_CYCLE_1)
	s_or_b32 exec_lo, exec_lo, s52
	global_load_b32 v75, v[53:54], off offset:12
	v_mov_b32_e32 v69, 0
	v_mov_b32_e32 v70, 0
	s_mov_b32 s38, exec_lo
	s_waitcnt vmcnt(0)
	v_and_b32_e32 v35, 0xff, v75
	s_delay_alu instid0(VALU_DEP_2) | instskip(NEXT) | instid1(VALU_DEP_2)
	v_dual_mov_b32 v67, v69 :: v_dual_mov_b32 v68, v70
	v_cmpx_ne_u16_e32 0, v35
	s_cbranch_execz .LBB255_123
; %bb.116:                              ;   in Loop: Header=BB255_16 Depth=1
	v_bfrev_b32_e32 v67, 1
	v_mov_b32_e32 v68, 0
	s_mov_b32 s52, exec_lo
	v_cmpx_ne_u16_e32 0x80, v35
	s_cbranch_execz .LBB255_122
; %bb.117:                              ;   in Loop: Header=BB255_16 Depth=1
	v_mov_b32_e32 v67, 0x7f800001
	v_dual_mov_b32 v68, 0 :: v_dual_and_b32 v71, 0x7f, v75
	s_mov_b32 s53, exec_lo
	s_delay_alu instid0(VALU_DEP_1)
	v_cmpx_ne_u32_e32 0x7f, v71
	s_cbranch_execz .LBB255_121
; %bb.118:                              ;   in Loop: Header=BB255_16 Depth=1
	v_and_b32_e32 v35, 7, v75
	v_lshrrev_b32_e32 v67, 3, v71
	s_mov_b32 s54, exec_lo
	v_cmpx_gt_u32_e32 8, v71
; %bb.119:                              ;   in Loop: Header=BB255_16 Depth=1
	s_delay_alu instid0(VALU_DEP_3) | instskip(NEXT) | instid1(VALU_DEP_1)
	v_clz_i32_u32_e32 v67, v35
	v_min_u32_e32 v67, 32, v67
	s_delay_alu instid0(VALU_DEP_1) | instskip(SKIP_1) | instid1(VALU_DEP_2)
	v_subrev_nc_u32_e32 v68, 28, v67
	v_sub_nc_u32_e32 v67, 29, v67
	v_lshlrev_b64 v[71:72], v68, v[35:36]
	s_delay_alu instid0(VALU_DEP_1)
	v_and_b32_e32 v35, 7, v71
; %bb.120:                              ;   in Loop: Header=BB255_16 Depth=1
	s_or_b32 exec_lo, exec_lo, s54
	v_lshlrev_b32_e32 v68, 24, v75
	s_delay_alu instid0(VALU_DEP_2) | instskip(SKIP_1) | instid1(VALU_DEP_3)
	v_lshlrev_b32_e32 v35, 20, v35
	v_lshl_add_u32 v67, v67, 23, 0x3c000000
	v_and_b32_e32 v68, 0x80000000, v68
	s_delay_alu instid0(VALU_DEP_1) | instskip(NEXT) | instid1(VALU_DEP_1)
	v_or3_b32 v35, v35, v68, v67
	v_dual_mov_b32 v68, v36 :: v_dual_mov_b32 v67, v35
.LBB255_121:                            ;   in Loop: Header=BB255_16 Depth=1
	s_or_b32 exec_lo, exec_lo, s53
.LBB255_122:                            ;   in Loop: Header=BB255_16 Depth=1
	s_delay_alu instid0(SALU_CYCLE_1)
	s_or_b32 exec_lo, exec_lo, s52
.LBB255_123:                            ;   in Loop: Header=BB255_16 Depth=1
	s_delay_alu instid0(SALU_CYCLE_1) | instskip(SKIP_2) | instid1(VALU_DEP_1)
	s_or_b32 exec_lo, exec_lo, s38
	v_lshrrev_b16 v35, 8, v75
	s_mov_b32 s52, exec_lo
	v_cmpx_ne_u16_e32 0, v35
	s_cbranch_execz .LBB255_131
; %bb.124:                              ;   in Loop: Header=BB255_16 Depth=1
	v_dual_mov_b32 v70, s11 :: v_dual_mov_b32 v69, s10
	s_mov_b32 s53, exec_lo
	v_cmpx_ne_u16_e32 0x80, v35
	s_cbranch_execz .LBB255_130
; %bb.125:                              ;   in Loop: Header=BB255_16 Depth=1
	s_mov_b32 s38, s10
	v_dual_mov_b32 v70, s39 :: v_dual_and_b32 v35, 0xffff, v35
	v_mov_b32_e32 v69, s38
	s_mov_b32 s38, exec_lo
	s_delay_alu instid0(VALU_DEP_2) | instskip(NEXT) | instid1(VALU_DEP_1)
	v_and_b32_e32 v71, 0x7f, v35
	v_cmpx_ne_u32_e32 0x7f, v71
	s_cbranch_execz .LBB255_129
; %bb.126:                              ;   in Loop: Header=BB255_16 Depth=1
	v_and_b32_e32 v35, 7, v35
	v_lshrrev_b32_e32 v69, 3, v71
	s_mov_b32 s54, exec_lo
	v_cmpx_gt_u32_e32 8, v71
; %bb.127:                              ;   in Loop: Header=BB255_16 Depth=1
	s_delay_alu instid0(VALU_DEP_3) | instskip(NEXT) | instid1(VALU_DEP_1)
	v_clz_i32_u32_e32 v69, v35
	v_min_u32_e32 v69, 32, v69
	s_delay_alu instid0(VALU_DEP_1) | instskip(SKIP_1) | instid1(VALU_DEP_2)
	v_subrev_nc_u32_e32 v70, 28, v69
	v_sub_nc_u32_e32 v69, 29, v69
	v_lshlrev_b64 v[70:71], v70, v[35:36]
	s_delay_alu instid0(VALU_DEP_1)
	v_and_b32_e32 v35, 7, v70
; %bb.128:                              ;   in Loop: Header=BB255_16 Depth=1
	s_or_b32 exec_lo, exec_lo, s54
	v_lshlrev_b32_e32 v70, 16, v75
	s_delay_alu instid0(VALU_DEP_2) | instskip(SKIP_1) | instid1(VALU_DEP_3)
	v_lshlrev_b32_e32 v35, 20, v35
	v_lshl_add_u32 v69, v69, 23, 0x3c000000
	v_and_b32_e32 v70, 0x80000000, v70
	s_delay_alu instid0(VALU_DEP_1)
	v_or3_b32 v70, v35, v70, v69
	v_mov_b32_e32 v69, v36
.LBB255_129:                            ;   in Loop: Header=BB255_16 Depth=1
	s_or_b32 exec_lo, exec_lo, s38
.LBB255_130:                            ;   in Loop: Header=BB255_16 Depth=1
	s_delay_alu instid0(SALU_CYCLE_1)
	s_or_b32 exec_lo, exec_lo, s53
.LBB255_131:                            ;   in Loop: Header=BB255_16 Depth=1
	s_delay_alu instid0(SALU_CYCLE_1) | instskip(SKIP_4) | instid1(VALU_DEP_2)
	s_or_b32 exec_lo, exec_lo, s52
	v_mov_b32_e32 v73, 0
	v_lshrrev_b32_e32 v76, 16, v75
	v_mov_b32_e32 v74, 0
	s_mov_b32 s38, exec_lo
	v_and_b32_e32 v35, 0xff, v76
	s_delay_alu instid0(VALU_DEP_2) | instskip(NEXT) | instid1(VALU_DEP_2)
	v_dual_mov_b32 v71, v73 :: v_dual_mov_b32 v72, v74
	v_cmpx_ne_u16_e32 0, v35
	s_cbranch_execz .LBB255_139
; %bb.132:                              ;   in Loop: Header=BB255_16 Depth=1
	v_bfrev_b32_e32 v71, 1
	v_mov_b32_e32 v72, 0
	s_mov_b32 s52, exec_lo
	v_cmpx_ne_u16_e32 0x80, v35
	s_cbranch_execz .LBB255_138
; %bb.133:                              ;   in Loop: Header=BB255_16 Depth=1
	v_mov_b32_e32 v71, 0x7f800001
	v_bfe_u32 v77, v75, 16, 7
	v_mov_b32_e32 v72, 0
	s_mov_b32 s53, exec_lo
	s_delay_alu instid0(VALU_DEP_2)
	v_cmpx_ne_u32_e32 0x7f, v77
	s_cbranch_execz .LBB255_137
; %bb.134:                              ;   in Loop: Header=BB255_16 Depth=1
	v_and_b32_e32 v35, 7, v76
	v_lshrrev_b32_e32 v71, 3, v77
	s_mov_b32 s54, exec_lo
	v_cmpx_gt_u32_e32 8, v77
; %bb.135:                              ;   in Loop: Header=BB255_16 Depth=1
	s_delay_alu instid0(VALU_DEP_3) | instskip(NEXT) | instid1(VALU_DEP_1)
	v_clz_i32_u32_e32 v71, v35
	v_min_u32_e32 v71, 32, v71
	s_delay_alu instid0(VALU_DEP_1) | instskip(SKIP_1) | instid1(VALU_DEP_2)
	v_subrev_nc_u32_e32 v72, 28, v71
	v_sub_nc_u32_e32 v71, 29, v71
	v_lshlrev_b64 v[77:78], v72, v[35:36]
	s_delay_alu instid0(VALU_DEP_1)
	v_and_b32_e32 v35, 7, v77
; %bb.136:                              ;   in Loop: Header=BB255_16 Depth=1
	s_or_b32 exec_lo, exec_lo, s54
	v_lshlrev_b32_e32 v72, 24, v76
	s_delay_alu instid0(VALU_DEP_2) | instskip(SKIP_1) | instid1(VALU_DEP_3)
	v_lshlrev_b32_e32 v35, 20, v35
	v_lshl_add_u32 v71, v71, 23, 0x3c000000
	v_and_b32_e32 v72, 0x80000000, v72
	s_delay_alu instid0(VALU_DEP_1) | instskip(NEXT) | instid1(VALU_DEP_1)
	v_or3_b32 v35, v35, v72, v71
	v_dual_mov_b32 v72, v36 :: v_dual_mov_b32 v71, v35
.LBB255_137:                            ;   in Loop: Header=BB255_16 Depth=1
	s_or_b32 exec_lo, exec_lo, s53
.LBB255_138:                            ;   in Loop: Header=BB255_16 Depth=1
	s_delay_alu instid0(SALU_CYCLE_1)
	s_or_b32 exec_lo, exec_lo, s52
.LBB255_139:                            ;   in Loop: Header=BB255_16 Depth=1
	s_delay_alu instid0(SALU_CYCLE_1) | instskip(NEXT) | instid1(SALU_CYCLE_1)
	s_or_b32 exec_lo, exec_lo, s38
	s_mov_b32 s52, exec_lo
	v_cmpx_lt_u32_e32 0xffffff, v75
	s_cbranch_execz .LBB255_147
; %bb.140:                              ;   in Loop: Header=BB255_16 Depth=1
	v_lshrrev_b32_e32 v76, 24, v75
	v_dual_mov_b32 v74, s11 :: v_dual_mov_b32 v73, s10
	s_mov_b32 s53, exec_lo
	s_delay_alu instid0(VALU_DEP_2)
	v_cmpx_ne_u32_e32 0x80, v76
	s_cbranch_execz .LBB255_146
; %bb.141:                              ;   in Loop: Header=BB255_16 Depth=1
	s_mov_b32 s38, s10
	v_bfe_u32 v75, v75, 24, 7
	v_dual_mov_b32 v74, s39 :: v_dual_mov_b32 v73, s38
	s_mov_b32 s38, exec_lo
	s_delay_alu instid0(VALU_DEP_2)
	v_cmpx_ne_u32_e32 0x7f, v75
	s_cbranch_execz .LBB255_145
; %bb.142:                              ;   in Loop: Header=BB255_16 Depth=1
	v_and_b32_e32 v35, 7, v76
	v_lshrrev_b32_e32 v73, 3, v75
	s_mov_b32 s54, exec_lo
	v_cmpx_gt_u32_e32 8, v75
; %bb.143:                              ;   in Loop: Header=BB255_16 Depth=1
	s_delay_alu instid0(VALU_DEP_3) | instskip(NEXT) | instid1(VALU_DEP_1)
	v_clz_i32_u32_e32 v73, v35
	v_min_u32_e32 v73, 32, v73
	s_delay_alu instid0(VALU_DEP_1) | instskip(SKIP_1) | instid1(VALU_DEP_2)
	v_subrev_nc_u32_e32 v74, 28, v73
	v_sub_nc_u32_e32 v73, 29, v73
	v_lshlrev_b64 v[74:75], v74, v[35:36]
	s_delay_alu instid0(VALU_DEP_1)
	v_and_b32_e32 v35, 7, v74
; %bb.144:                              ;   in Loop: Header=BB255_16 Depth=1
	s_or_b32 exec_lo, exec_lo, s54
	v_lshlrev_b32_e32 v74, 24, v76
	s_delay_alu instid0(VALU_DEP_2) | instskip(SKIP_1) | instid1(VALU_DEP_3)
	v_lshlrev_b32_e32 v35, 20, v35
	v_lshl_add_u32 v73, v73, 23, 0x3c000000
	v_and_b32_e32 v74, 0x80000000, v74
	s_delay_alu instid0(VALU_DEP_1)
	v_or3_b32 v74, v35, v74, v73
	v_mov_b32_e32 v73, v36
.LBB255_145:                            ;   in Loop: Header=BB255_16 Depth=1
	s_or_b32 exec_lo, exec_lo, s38
.LBB255_146:                            ;   in Loop: Header=BB255_16 Depth=1
	s_delay_alu instid0(SALU_CYCLE_1)
	s_or_b32 exec_lo, exec_lo, s53
.LBB255_147:                            ;   in Loop: Header=BB255_16 Depth=1
	s_delay_alu instid0(SALU_CYCLE_1)
	s_or_b32 exec_lo, exec_lo, s52
	global_load_b32 v83, v[53:54], off offset:512
	v_mov_b32_e32 v77, 0
	v_mov_b32_e32 v78, 0
	s_mov_b32 s38, exec_lo
	s_waitcnt vmcnt(0)
	v_and_b32_e32 v35, 0xff, v83
	s_delay_alu instid0(VALU_DEP_2) | instskip(NEXT) | instid1(VALU_DEP_2)
	v_dual_mov_b32 v75, v77 :: v_dual_mov_b32 v76, v78
	v_cmpx_ne_u16_e32 0, v35
	s_cbranch_execz .LBB255_155
; %bb.148:                              ;   in Loop: Header=BB255_16 Depth=1
	v_bfrev_b32_e32 v75, 1
	v_mov_b32_e32 v76, 0
	s_mov_b32 s52, exec_lo
	v_cmpx_ne_u16_e32 0x80, v35
	s_cbranch_execz .LBB255_154
; %bb.149:                              ;   in Loop: Header=BB255_16 Depth=1
	v_mov_b32_e32 v75, 0x7f800001
	v_dual_mov_b32 v76, 0 :: v_dual_and_b32 v79, 0x7f, v83
	s_mov_b32 s53, exec_lo
	s_delay_alu instid0(VALU_DEP_1)
	v_cmpx_ne_u32_e32 0x7f, v79
	s_cbranch_execz .LBB255_153
; %bb.150:                              ;   in Loop: Header=BB255_16 Depth=1
	v_and_b32_e32 v35, 7, v83
	v_lshrrev_b32_e32 v75, 3, v79
	s_mov_b32 s54, exec_lo
	v_cmpx_gt_u32_e32 8, v79
; %bb.151:                              ;   in Loop: Header=BB255_16 Depth=1
	s_delay_alu instid0(VALU_DEP_3) | instskip(NEXT) | instid1(VALU_DEP_1)
	v_clz_i32_u32_e32 v75, v35
	v_min_u32_e32 v75, 32, v75
	s_delay_alu instid0(VALU_DEP_1) | instskip(SKIP_1) | instid1(VALU_DEP_2)
	v_subrev_nc_u32_e32 v76, 28, v75
	v_sub_nc_u32_e32 v75, 29, v75
	v_lshlrev_b64 v[79:80], v76, v[35:36]
	s_delay_alu instid0(VALU_DEP_1)
	v_and_b32_e32 v35, 7, v79
; %bb.152:                              ;   in Loop: Header=BB255_16 Depth=1
	s_or_b32 exec_lo, exec_lo, s54
	v_lshlrev_b32_e32 v76, 24, v83
	s_delay_alu instid0(VALU_DEP_2) | instskip(SKIP_1) | instid1(VALU_DEP_3)
	v_lshlrev_b32_e32 v35, 20, v35
	v_lshl_add_u32 v75, v75, 23, 0x3c000000
	v_and_b32_e32 v76, 0x80000000, v76
	s_delay_alu instid0(VALU_DEP_1) | instskip(NEXT) | instid1(VALU_DEP_1)
	v_or3_b32 v35, v35, v76, v75
	v_dual_mov_b32 v76, v36 :: v_dual_mov_b32 v75, v35
.LBB255_153:                            ;   in Loop: Header=BB255_16 Depth=1
	s_or_b32 exec_lo, exec_lo, s53
.LBB255_154:                            ;   in Loop: Header=BB255_16 Depth=1
	s_delay_alu instid0(SALU_CYCLE_1)
	s_or_b32 exec_lo, exec_lo, s52
.LBB255_155:                            ;   in Loop: Header=BB255_16 Depth=1
	s_delay_alu instid0(SALU_CYCLE_1) | instskip(SKIP_2) | instid1(VALU_DEP_1)
	s_or_b32 exec_lo, exec_lo, s38
	v_lshrrev_b16 v35, 8, v83
	s_mov_b32 s52, exec_lo
	v_cmpx_ne_u16_e32 0, v35
	s_cbranch_execz .LBB255_163
; %bb.156:                              ;   in Loop: Header=BB255_16 Depth=1
	v_dual_mov_b32 v78, s11 :: v_dual_mov_b32 v77, s10
	s_mov_b32 s53, exec_lo
	v_cmpx_ne_u16_e32 0x80, v35
	s_cbranch_execz .LBB255_162
; %bb.157:                              ;   in Loop: Header=BB255_16 Depth=1
	s_mov_b32 s38, s10
	v_dual_mov_b32 v78, s39 :: v_dual_and_b32 v35, 0xffff, v35
	v_mov_b32_e32 v77, s38
	s_mov_b32 s38, exec_lo
	s_delay_alu instid0(VALU_DEP_2) | instskip(NEXT) | instid1(VALU_DEP_1)
	v_and_b32_e32 v79, 0x7f, v35
	v_cmpx_ne_u32_e32 0x7f, v79
	s_cbranch_execz .LBB255_161
; %bb.158:                              ;   in Loop: Header=BB255_16 Depth=1
	v_and_b32_e32 v35, 7, v35
	v_lshrrev_b32_e32 v77, 3, v79
	s_mov_b32 s54, exec_lo
	v_cmpx_gt_u32_e32 8, v79
; %bb.159:                              ;   in Loop: Header=BB255_16 Depth=1
	s_delay_alu instid0(VALU_DEP_3) | instskip(NEXT) | instid1(VALU_DEP_1)
	v_clz_i32_u32_e32 v77, v35
	v_min_u32_e32 v77, 32, v77
	s_delay_alu instid0(VALU_DEP_1) | instskip(SKIP_1) | instid1(VALU_DEP_2)
	v_subrev_nc_u32_e32 v78, 28, v77
	v_sub_nc_u32_e32 v77, 29, v77
	v_lshlrev_b64 v[78:79], v78, v[35:36]
	s_delay_alu instid0(VALU_DEP_1)
	v_and_b32_e32 v35, 7, v78
; %bb.160:                              ;   in Loop: Header=BB255_16 Depth=1
	s_or_b32 exec_lo, exec_lo, s54
	v_lshlrev_b32_e32 v78, 16, v83
	s_delay_alu instid0(VALU_DEP_2) | instskip(SKIP_1) | instid1(VALU_DEP_3)
	v_lshlrev_b32_e32 v35, 20, v35
	v_lshl_add_u32 v77, v77, 23, 0x3c000000
	v_and_b32_e32 v78, 0x80000000, v78
	s_delay_alu instid0(VALU_DEP_1)
	v_or3_b32 v78, v35, v78, v77
	v_mov_b32_e32 v77, v36
.LBB255_161:                            ;   in Loop: Header=BB255_16 Depth=1
	s_or_b32 exec_lo, exec_lo, s38
.LBB255_162:                            ;   in Loop: Header=BB255_16 Depth=1
	s_delay_alu instid0(SALU_CYCLE_1)
	s_or_b32 exec_lo, exec_lo, s53
.LBB255_163:                            ;   in Loop: Header=BB255_16 Depth=1
	s_delay_alu instid0(SALU_CYCLE_1) | instskip(SKIP_4) | instid1(VALU_DEP_2)
	s_or_b32 exec_lo, exec_lo, s52
	v_mov_b32_e32 v81, 0
	v_lshrrev_b32_e32 v84, 16, v83
	v_mov_b32_e32 v82, 0
	s_mov_b32 s38, exec_lo
	v_and_b32_e32 v35, 0xff, v84
	s_delay_alu instid0(VALU_DEP_2) | instskip(NEXT) | instid1(VALU_DEP_2)
	v_dual_mov_b32 v79, v81 :: v_dual_mov_b32 v80, v82
	v_cmpx_ne_u16_e32 0, v35
	s_cbranch_execz .LBB255_171
; %bb.164:                              ;   in Loop: Header=BB255_16 Depth=1
	v_bfrev_b32_e32 v79, 1
	v_mov_b32_e32 v80, 0
	s_mov_b32 s52, exec_lo
	v_cmpx_ne_u16_e32 0x80, v35
	s_cbranch_execz .LBB255_170
; %bb.165:                              ;   in Loop: Header=BB255_16 Depth=1
	v_mov_b32_e32 v79, 0x7f800001
	v_bfe_u32 v85, v83, 16, 7
	v_mov_b32_e32 v80, 0
	s_mov_b32 s53, exec_lo
	s_delay_alu instid0(VALU_DEP_2)
	v_cmpx_ne_u32_e32 0x7f, v85
	s_cbranch_execz .LBB255_169
; %bb.166:                              ;   in Loop: Header=BB255_16 Depth=1
	v_and_b32_e32 v35, 7, v84
	v_lshrrev_b32_e32 v79, 3, v85
	s_mov_b32 s54, exec_lo
	v_cmpx_gt_u32_e32 8, v85
; %bb.167:                              ;   in Loop: Header=BB255_16 Depth=1
	s_delay_alu instid0(VALU_DEP_3) | instskip(NEXT) | instid1(VALU_DEP_1)
	v_clz_i32_u32_e32 v79, v35
	v_min_u32_e32 v79, 32, v79
	s_delay_alu instid0(VALU_DEP_1) | instskip(SKIP_1) | instid1(VALU_DEP_2)
	v_subrev_nc_u32_e32 v80, 28, v79
	v_sub_nc_u32_e32 v79, 29, v79
	v_lshlrev_b64 v[85:86], v80, v[35:36]
	s_delay_alu instid0(VALU_DEP_1)
	v_and_b32_e32 v35, 7, v85
; %bb.168:                              ;   in Loop: Header=BB255_16 Depth=1
	s_or_b32 exec_lo, exec_lo, s54
	v_lshlrev_b32_e32 v80, 24, v84
	s_delay_alu instid0(VALU_DEP_2) | instskip(SKIP_1) | instid1(VALU_DEP_3)
	v_lshlrev_b32_e32 v35, 20, v35
	v_lshl_add_u32 v79, v79, 23, 0x3c000000
	v_and_b32_e32 v80, 0x80000000, v80
	s_delay_alu instid0(VALU_DEP_1) | instskip(NEXT) | instid1(VALU_DEP_1)
	v_or3_b32 v35, v35, v80, v79
	v_dual_mov_b32 v80, v36 :: v_dual_mov_b32 v79, v35
.LBB255_169:                            ;   in Loop: Header=BB255_16 Depth=1
	s_or_b32 exec_lo, exec_lo, s53
.LBB255_170:                            ;   in Loop: Header=BB255_16 Depth=1
	s_delay_alu instid0(SALU_CYCLE_1)
	s_or_b32 exec_lo, exec_lo, s52
.LBB255_171:                            ;   in Loop: Header=BB255_16 Depth=1
	s_delay_alu instid0(SALU_CYCLE_1) | instskip(NEXT) | instid1(SALU_CYCLE_1)
	s_or_b32 exec_lo, exec_lo, s38
	s_mov_b32 s52, exec_lo
	v_cmpx_lt_u32_e32 0xffffff, v83
	s_cbranch_execz .LBB255_179
; %bb.172:                              ;   in Loop: Header=BB255_16 Depth=1
	v_lshrrev_b32_e32 v84, 24, v83
	v_dual_mov_b32 v82, s11 :: v_dual_mov_b32 v81, s10
	s_mov_b32 s53, exec_lo
	s_delay_alu instid0(VALU_DEP_2)
	v_cmpx_ne_u32_e32 0x80, v84
	s_cbranch_execz .LBB255_178
; %bb.173:                              ;   in Loop: Header=BB255_16 Depth=1
	s_mov_b32 s38, s10
	v_bfe_u32 v83, v83, 24, 7
	v_dual_mov_b32 v82, s39 :: v_dual_mov_b32 v81, s38
	s_mov_b32 s38, exec_lo
	s_delay_alu instid0(VALU_DEP_2)
	v_cmpx_ne_u32_e32 0x7f, v83
	s_cbranch_execz .LBB255_177
; %bb.174:                              ;   in Loop: Header=BB255_16 Depth=1
	v_and_b32_e32 v35, 7, v84
	v_lshrrev_b32_e32 v81, 3, v83
	s_mov_b32 s54, exec_lo
	v_cmpx_gt_u32_e32 8, v83
; %bb.175:                              ;   in Loop: Header=BB255_16 Depth=1
	s_delay_alu instid0(VALU_DEP_3) | instskip(NEXT) | instid1(VALU_DEP_1)
	v_clz_i32_u32_e32 v81, v35
	v_min_u32_e32 v81, 32, v81
	s_delay_alu instid0(VALU_DEP_1) | instskip(SKIP_1) | instid1(VALU_DEP_2)
	v_subrev_nc_u32_e32 v82, 28, v81
	v_sub_nc_u32_e32 v81, 29, v81
	v_lshlrev_b64 v[82:83], v82, v[35:36]
	s_delay_alu instid0(VALU_DEP_1)
	v_and_b32_e32 v35, 7, v82
; %bb.176:                              ;   in Loop: Header=BB255_16 Depth=1
	s_or_b32 exec_lo, exec_lo, s54
	v_lshlrev_b32_e32 v82, 24, v84
	s_delay_alu instid0(VALU_DEP_2) | instskip(SKIP_1) | instid1(VALU_DEP_3)
	v_lshlrev_b32_e32 v35, 20, v35
	v_lshl_add_u32 v81, v81, 23, 0x3c000000
	v_and_b32_e32 v82, 0x80000000, v82
	s_delay_alu instid0(VALU_DEP_1)
	v_or3_b32 v82, v35, v82, v81
	v_mov_b32_e32 v81, v36
.LBB255_177:                            ;   in Loop: Header=BB255_16 Depth=1
	s_or_b32 exec_lo, exec_lo, s38
.LBB255_178:                            ;   in Loop: Header=BB255_16 Depth=1
	s_delay_alu instid0(SALU_CYCLE_1)
	s_or_b32 exec_lo, exec_lo, s53
.LBB255_179:                            ;   in Loop: Header=BB255_16 Depth=1
	s_delay_alu instid0(SALU_CYCLE_1)
	s_or_b32 exec_lo, exec_lo, s52
	global_load_b32 v91, v[53:54], off offset:516
	v_mov_b32_e32 v85, 0
	v_mov_b32_e32 v86, 0
	s_mov_b32 s38, exec_lo
	s_waitcnt vmcnt(0)
	v_and_b32_e32 v35, 0xff, v91
	s_delay_alu instid0(VALU_DEP_2) | instskip(NEXT) | instid1(VALU_DEP_2)
	v_dual_mov_b32 v83, v85 :: v_dual_mov_b32 v84, v86
	v_cmpx_ne_u16_e32 0, v35
	s_cbranch_execz .LBB255_187
; %bb.180:                              ;   in Loop: Header=BB255_16 Depth=1
	v_bfrev_b32_e32 v83, 1
	v_mov_b32_e32 v84, 0
	s_mov_b32 s52, exec_lo
	v_cmpx_ne_u16_e32 0x80, v35
	s_cbranch_execz .LBB255_186
; %bb.181:                              ;   in Loop: Header=BB255_16 Depth=1
	v_mov_b32_e32 v83, 0x7f800001
	v_dual_mov_b32 v84, 0 :: v_dual_and_b32 v87, 0x7f, v91
	s_mov_b32 s53, exec_lo
	s_delay_alu instid0(VALU_DEP_1)
	v_cmpx_ne_u32_e32 0x7f, v87
	s_cbranch_execz .LBB255_185
; %bb.182:                              ;   in Loop: Header=BB255_16 Depth=1
	v_and_b32_e32 v35, 7, v91
	v_lshrrev_b32_e32 v83, 3, v87
	s_mov_b32 s54, exec_lo
	v_cmpx_gt_u32_e32 8, v87
; %bb.183:                              ;   in Loop: Header=BB255_16 Depth=1
	s_delay_alu instid0(VALU_DEP_3) | instskip(NEXT) | instid1(VALU_DEP_1)
	v_clz_i32_u32_e32 v83, v35
	v_min_u32_e32 v83, 32, v83
	s_delay_alu instid0(VALU_DEP_1) | instskip(SKIP_1) | instid1(VALU_DEP_2)
	v_subrev_nc_u32_e32 v84, 28, v83
	v_sub_nc_u32_e32 v83, 29, v83
	v_lshlrev_b64 v[87:88], v84, v[35:36]
	s_delay_alu instid0(VALU_DEP_1)
	v_and_b32_e32 v35, 7, v87
; %bb.184:                              ;   in Loop: Header=BB255_16 Depth=1
	s_or_b32 exec_lo, exec_lo, s54
	v_lshlrev_b32_e32 v84, 24, v91
	s_delay_alu instid0(VALU_DEP_2) | instskip(SKIP_1) | instid1(VALU_DEP_3)
	v_lshlrev_b32_e32 v35, 20, v35
	v_lshl_add_u32 v83, v83, 23, 0x3c000000
	v_and_b32_e32 v84, 0x80000000, v84
	s_delay_alu instid0(VALU_DEP_1) | instskip(NEXT) | instid1(VALU_DEP_1)
	v_or3_b32 v35, v35, v84, v83
	v_dual_mov_b32 v84, v36 :: v_dual_mov_b32 v83, v35
.LBB255_185:                            ;   in Loop: Header=BB255_16 Depth=1
	s_or_b32 exec_lo, exec_lo, s53
.LBB255_186:                            ;   in Loop: Header=BB255_16 Depth=1
	s_delay_alu instid0(SALU_CYCLE_1)
	s_or_b32 exec_lo, exec_lo, s52
.LBB255_187:                            ;   in Loop: Header=BB255_16 Depth=1
	s_delay_alu instid0(SALU_CYCLE_1) | instskip(SKIP_2) | instid1(VALU_DEP_1)
	s_or_b32 exec_lo, exec_lo, s38
	v_lshrrev_b16 v35, 8, v91
	s_mov_b32 s52, exec_lo
	v_cmpx_ne_u16_e32 0, v35
	s_cbranch_execz .LBB255_195
; %bb.188:                              ;   in Loop: Header=BB255_16 Depth=1
	v_dual_mov_b32 v86, s11 :: v_dual_mov_b32 v85, s10
	s_mov_b32 s53, exec_lo
	v_cmpx_ne_u16_e32 0x80, v35
	s_cbranch_execz .LBB255_194
; %bb.189:                              ;   in Loop: Header=BB255_16 Depth=1
	s_mov_b32 s38, s10
	v_dual_mov_b32 v86, s39 :: v_dual_and_b32 v35, 0xffff, v35
	v_mov_b32_e32 v85, s38
	s_mov_b32 s38, exec_lo
	s_delay_alu instid0(VALU_DEP_2) | instskip(NEXT) | instid1(VALU_DEP_1)
	v_and_b32_e32 v87, 0x7f, v35
	v_cmpx_ne_u32_e32 0x7f, v87
	s_cbranch_execz .LBB255_193
; %bb.190:                              ;   in Loop: Header=BB255_16 Depth=1
	v_and_b32_e32 v35, 7, v35
	v_lshrrev_b32_e32 v85, 3, v87
	s_mov_b32 s54, exec_lo
	v_cmpx_gt_u32_e32 8, v87
; %bb.191:                              ;   in Loop: Header=BB255_16 Depth=1
	s_delay_alu instid0(VALU_DEP_3) | instskip(NEXT) | instid1(VALU_DEP_1)
	v_clz_i32_u32_e32 v85, v35
	v_min_u32_e32 v85, 32, v85
	s_delay_alu instid0(VALU_DEP_1) | instskip(SKIP_1) | instid1(VALU_DEP_2)
	v_subrev_nc_u32_e32 v86, 28, v85
	v_sub_nc_u32_e32 v85, 29, v85
	v_lshlrev_b64 v[86:87], v86, v[35:36]
	s_delay_alu instid0(VALU_DEP_1)
	v_and_b32_e32 v35, 7, v86
; %bb.192:                              ;   in Loop: Header=BB255_16 Depth=1
	s_or_b32 exec_lo, exec_lo, s54
	v_lshlrev_b32_e32 v86, 16, v91
	s_delay_alu instid0(VALU_DEP_2) | instskip(SKIP_1) | instid1(VALU_DEP_3)
	v_lshlrev_b32_e32 v35, 20, v35
	v_lshl_add_u32 v85, v85, 23, 0x3c000000
	v_and_b32_e32 v86, 0x80000000, v86
	s_delay_alu instid0(VALU_DEP_1)
	v_or3_b32 v86, v35, v86, v85
	v_mov_b32_e32 v85, v36
.LBB255_193:                            ;   in Loop: Header=BB255_16 Depth=1
	s_or_b32 exec_lo, exec_lo, s38
.LBB255_194:                            ;   in Loop: Header=BB255_16 Depth=1
	s_delay_alu instid0(SALU_CYCLE_1)
	s_or_b32 exec_lo, exec_lo, s53
.LBB255_195:                            ;   in Loop: Header=BB255_16 Depth=1
	s_delay_alu instid0(SALU_CYCLE_1) | instskip(SKIP_4) | instid1(VALU_DEP_2)
	s_or_b32 exec_lo, exec_lo, s52
	v_mov_b32_e32 v89, 0
	v_lshrrev_b32_e32 v92, 16, v91
	v_mov_b32_e32 v90, 0
	s_mov_b32 s38, exec_lo
	v_and_b32_e32 v35, 0xff, v92
	s_delay_alu instid0(VALU_DEP_2) | instskip(NEXT) | instid1(VALU_DEP_2)
	v_dual_mov_b32 v87, v89 :: v_dual_mov_b32 v88, v90
	v_cmpx_ne_u16_e32 0, v35
	s_cbranch_execz .LBB255_203
; %bb.196:                              ;   in Loop: Header=BB255_16 Depth=1
	v_bfrev_b32_e32 v87, 1
	v_mov_b32_e32 v88, 0
	s_mov_b32 s52, exec_lo
	v_cmpx_ne_u16_e32 0x80, v35
	s_cbranch_execz .LBB255_202
; %bb.197:                              ;   in Loop: Header=BB255_16 Depth=1
	v_mov_b32_e32 v87, 0x7f800001
	v_bfe_u32 v93, v91, 16, 7
	v_mov_b32_e32 v88, 0
	s_mov_b32 s53, exec_lo
	s_delay_alu instid0(VALU_DEP_2)
	v_cmpx_ne_u32_e32 0x7f, v93
	s_cbranch_execz .LBB255_201
; %bb.198:                              ;   in Loop: Header=BB255_16 Depth=1
	v_and_b32_e32 v35, 7, v92
	v_lshrrev_b32_e32 v87, 3, v93
	s_mov_b32 s54, exec_lo
	v_cmpx_gt_u32_e32 8, v93
; %bb.199:                              ;   in Loop: Header=BB255_16 Depth=1
	s_delay_alu instid0(VALU_DEP_3) | instskip(NEXT) | instid1(VALU_DEP_1)
	v_clz_i32_u32_e32 v87, v35
	v_min_u32_e32 v87, 32, v87
	s_delay_alu instid0(VALU_DEP_1) | instskip(SKIP_1) | instid1(VALU_DEP_2)
	v_subrev_nc_u32_e32 v88, 28, v87
	v_sub_nc_u32_e32 v87, 29, v87
	v_lshlrev_b64 v[93:94], v88, v[35:36]
	s_delay_alu instid0(VALU_DEP_1)
	v_and_b32_e32 v35, 7, v93
; %bb.200:                              ;   in Loop: Header=BB255_16 Depth=1
	s_or_b32 exec_lo, exec_lo, s54
	v_lshlrev_b32_e32 v88, 24, v92
	s_delay_alu instid0(VALU_DEP_2) | instskip(SKIP_1) | instid1(VALU_DEP_3)
	v_lshlrev_b32_e32 v35, 20, v35
	v_lshl_add_u32 v87, v87, 23, 0x3c000000
	v_and_b32_e32 v88, 0x80000000, v88
	s_delay_alu instid0(VALU_DEP_1) | instskip(NEXT) | instid1(VALU_DEP_1)
	v_or3_b32 v35, v35, v88, v87
	v_dual_mov_b32 v88, v36 :: v_dual_mov_b32 v87, v35
.LBB255_201:                            ;   in Loop: Header=BB255_16 Depth=1
	s_or_b32 exec_lo, exec_lo, s53
.LBB255_202:                            ;   in Loop: Header=BB255_16 Depth=1
	s_delay_alu instid0(SALU_CYCLE_1)
	s_or_b32 exec_lo, exec_lo, s52
.LBB255_203:                            ;   in Loop: Header=BB255_16 Depth=1
	s_delay_alu instid0(SALU_CYCLE_1) | instskip(NEXT) | instid1(SALU_CYCLE_1)
	s_or_b32 exec_lo, exec_lo, s38
	s_mov_b32 s52, exec_lo
	v_cmpx_lt_u32_e32 0xffffff, v91
	s_cbranch_execz .LBB255_211
; %bb.204:                              ;   in Loop: Header=BB255_16 Depth=1
	v_lshrrev_b32_e32 v92, 24, v91
	v_dual_mov_b32 v90, s11 :: v_dual_mov_b32 v89, s10
	s_mov_b32 s53, exec_lo
	s_delay_alu instid0(VALU_DEP_2)
	v_cmpx_ne_u32_e32 0x80, v92
	s_cbranch_execz .LBB255_210
; %bb.205:                              ;   in Loop: Header=BB255_16 Depth=1
	s_mov_b32 s38, s10
	v_bfe_u32 v91, v91, 24, 7
	v_dual_mov_b32 v90, s39 :: v_dual_mov_b32 v89, s38
	s_mov_b32 s38, exec_lo
	s_delay_alu instid0(VALU_DEP_2)
	v_cmpx_ne_u32_e32 0x7f, v91
	s_cbranch_execz .LBB255_209
; %bb.206:                              ;   in Loop: Header=BB255_16 Depth=1
	v_and_b32_e32 v35, 7, v92
	v_lshrrev_b32_e32 v89, 3, v91
	s_mov_b32 s54, exec_lo
	v_cmpx_gt_u32_e32 8, v91
; %bb.207:                              ;   in Loop: Header=BB255_16 Depth=1
	s_delay_alu instid0(VALU_DEP_3) | instskip(NEXT) | instid1(VALU_DEP_1)
	v_clz_i32_u32_e32 v89, v35
	v_min_u32_e32 v89, 32, v89
	s_delay_alu instid0(VALU_DEP_1) | instskip(SKIP_1) | instid1(VALU_DEP_2)
	v_subrev_nc_u32_e32 v90, 28, v89
	v_sub_nc_u32_e32 v89, 29, v89
	v_lshlrev_b64 v[90:91], v90, v[35:36]
	s_delay_alu instid0(VALU_DEP_1)
	v_and_b32_e32 v35, 7, v90
; %bb.208:                              ;   in Loop: Header=BB255_16 Depth=1
	s_or_b32 exec_lo, exec_lo, s54
	v_lshlrev_b32_e32 v90, 24, v92
	s_delay_alu instid0(VALU_DEP_2) | instskip(SKIP_1) | instid1(VALU_DEP_3)
	v_lshlrev_b32_e32 v35, 20, v35
	v_lshl_add_u32 v89, v89, 23, 0x3c000000
	v_and_b32_e32 v90, 0x80000000, v90
	s_delay_alu instid0(VALU_DEP_1)
	v_or3_b32 v90, v35, v90, v89
	v_mov_b32_e32 v89, v36
.LBB255_209:                            ;   in Loop: Header=BB255_16 Depth=1
	s_or_b32 exec_lo, exec_lo, s38
.LBB255_210:                            ;   in Loop: Header=BB255_16 Depth=1
	s_delay_alu instid0(SALU_CYCLE_1)
	s_or_b32 exec_lo, exec_lo, s53
.LBB255_211:                            ;   in Loop: Header=BB255_16 Depth=1
	s_delay_alu instid0(SALU_CYCLE_1)
	s_or_b32 exec_lo, exec_lo, s52
	global_load_b32 v99, v[53:54], off offset:520
	v_mov_b32_e32 v93, 0
	v_mov_b32_e32 v94, 0
	s_mov_b32 s38, exec_lo
	s_waitcnt vmcnt(0)
	v_and_b32_e32 v35, 0xff, v99
	s_delay_alu instid0(VALU_DEP_2) | instskip(NEXT) | instid1(VALU_DEP_2)
	v_dual_mov_b32 v91, v93 :: v_dual_mov_b32 v92, v94
	v_cmpx_ne_u16_e32 0, v35
	s_cbranch_execz .LBB255_219
; %bb.212:                              ;   in Loop: Header=BB255_16 Depth=1
	v_bfrev_b32_e32 v91, 1
	v_mov_b32_e32 v92, 0
	s_mov_b32 s52, exec_lo
	v_cmpx_ne_u16_e32 0x80, v35
	s_cbranch_execz .LBB255_218
; %bb.213:                              ;   in Loop: Header=BB255_16 Depth=1
	v_mov_b32_e32 v91, 0x7f800001
	v_dual_mov_b32 v92, 0 :: v_dual_and_b32 v95, 0x7f, v99
	s_mov_b32 s53, exec_lo
	s_delay_alu instid0(VALU_DEP_1)
	v_cmpx_ne_u32_e32 0x7f, v95
	s_cbranch_execz .LBB255_217
; %bb.214:                              ;   in Loop: Header=BB255_16 Depth=1
	v_and_b32_e32 v35, 7, v99
	v_lshrrev_b32_e32 v91, 3, v95
	s_mov_b32 s54, exec_lo
	v_cmpx_gt_u32_e32 8, v95
; %bb.215:                              ;   in Loop: Header=BB255_16 Depth=1
	s_delay_alu instid0(VALU_DEP_3) | instskip(NEXT) | instid1(VALU_DEP_1)
	v_clz_i32_u32_e32 v91, v35
	v_min_u32_e32 v91, 32, v91
	s_delay_alu instid0(VALU_DEP_1) | instskip(SKIP_1) | instid1(VALU_DEP_2)
	v_subrev_nc_u32_e32 v92, 28, v91
	v_sub_nc_u32_e32 v91, 29, v91
	v_lshlrev_b64 v[95:96], v92, v[35:36]
	s_delay_alu instid0(VALU_DEP_1)
	v_and_b32_e32 v35, 7, v95
; %bb.216:                              ;   in Loop: Header=BB255_16 Depth=1
	s_or_b32 exec_lo, exec_lo, s54
	v_lshlrev_b32_e32 v92, 24, v99
	s_delay_alu instid0(VALU_DEP_2) | instskip(SKIP_1) | instid1(VALU_DEP_3)
	v_lshlrev_b32_e32 v35, 20, v35
	v_lshl_add_u32 v91, v91, 23, 0x3c000000
	v_and_b32_e32 v92, 0x80000000, v92
	s_delay_alu instid0(VALU_DEP_1) | instskip(NEXT) | instid1(VALU_DEP_1)
	v_or3_b32 v35, v35, v92, v91
	v_dual_mov_b32 v92, v36 :: v_dual_mov_b32 v91, v35
.LBB255_217:                            ;   in Loop: Header=BB255_16 Depth=1
	s_or_b32 exec_lo, exec_lo, s53
.LBB255_218:                            ;   in Loop: Header=BB255_16 Depth=1
	s_delay_alu instid0(SALU_CYCLE_1)
	s_or_b32 exec_lo, exec_lo, s52
.LBB255_219:                            ;   in Loop: Header=BB255_16 Depth=1
	s_delay_alu instid0(SALU_CYCLE_1) | instskip(SKIP_2) | instid1(VALU_DEP_1)
	s_or_b32 exec_lo, exec_lo, s38
	v_lshrrev_b16 v35, 8, v99
	s_mov_b32 s52, exec_lo
	v_cmpx_ne_u16_e32 0, v35
	s_cbranch_execz .LBB255_227
; %bb.220:                              ;   in Loop: Header=BB255_16 Depth=1
	v_dual_mov_b32 v94, s11 :: v_dual_mov_b32 v93, s10
	s_mov_b32 s53, exec_lo
	v_cmpx_ne_u16_e32 0x80, v35
	s_cbranch_execz .LBB255_226
; %bb.221:                              ;   in Loop: Header=BB255_16 Depth=1
	s_mov_b32 s38, s10
	v_dual_mov_b32 v94, s39 :: v_dual_and_b32 v35, 0xffff, v35
	v_mov_b32_e32 v93, s38
	s_mov_b32 s38, exec_lo
	s_delay_alu instid0(VALU_DEP_2) | instskip(NEXT) | instid1(VALU_DEP_1)
	v_and_b32_e32 v95, 0x7f, v35
	v_cmpx_ne_u32_e32 0x7f, v95
	s_cbranch_execz .LBB255_225
; %bb.222:                              ;   in Loop: Header=BB255_16 Depth=1
	v_and_b32_e32 v35, 7, v35
	v_lshrrev_b32_e32 v93, 3, v95
	s_mov_b32 s54, exec_lo
	v_cmpx_gt_u32_e32 8, v95
; %bb.223:                              ;   in Loop: Header=BB255_16 Depth=1
	s_delay_alu instid0(VALU_DEP_3) | instskip(NEXT) | instid1(VALU_DEP_1)
	v_clz_i32_u32_e32 v93, v35
	v_min_u32_e32 v93, 32, v93
	s_delay_alu instid0(VALU_DEP_1) | instskip(SKIP_1) | instid1(VALU_DEP_2)
	v_subrev_nc_u32_e32 v94, 28, v93
	v_sub_nc_u32_e32 v93, 29, v93
	v_lshlrev_b64 v[94:95], v94, v[35:36]
	s_delay_alu instid0(VALU_DEP_1)
	v_and_b32_e32 v35, 7, v94
; %bb.224:                              ;   in Loop: Header=BB255_16 Depth=1
	s_or_b32 exec_lo, exec_lo, s54
	v_lshlrev_b32_e32 v94, 16, v99
	s_delay_alu instid0(VALU_DEP_2) | instskip(SKIP_1) | instid1(VALU_DEP_3)
	v_lshlrev_b32_e32 v35, 20, v35
	v_lshl_add_u32 v93, v93, 23, 0x3c000000
	v_and_b32_e32 v94, 0x80000000, v94
	s_delay_alu instid0(VALU_DEP_1)
	v_or3_b32 v94, v35, v94, v93
	v_mov_b32_e32 v93, v36
.LBB255_225:                            ;   in Loop: Header=BB255_16 Depth=1
	s_or_b32 exec_lo, exec_lo, s38
.LBB255_226:                            ;   in Loop: Header=BB255_16 Depth=1
	s_delay_alu instid0(SALU_CYCLE_1)
	s_or_b32 exec_lo, exec_lo, s53
.LBB255_227:                            ;   in Loop: Header=BB255_16 Depth=1
	s_delay_alu instid0(SALU_CYCLE_1) | instskip(SKIP_4) | instid1(VALU_DEP_2)
	s_or_b32 exec_lo, exec_lo, s52
	v_mov_b32_e32 v97, 0
	v_lshrrev_b32_e32 v100, 16, v99
	v_mov_b32_e32 v98, 0
	s_mov_b32 s38, exec_lo
	v_and_b32_e32 v35, 0xff, v100
	s_delay_alu instid0(VALU_DEP_2) | instskip(NEXT) | instid1(VALU_DEP_2)
	v_dual_mov_b32 v95, v97 :: v_dual_mov_b32 v96, v98
	v_cmpx_ne_u16_e32 0, v35
	s_cbranch_execz .LBB255_235
; %bb.228:                              ;   in Loop: Header=BB255_16 Depth=1
	v_bfrev_b32_e32 v95, 1
	v_mov_b32_e32 v96, 0
	s_mov_b32 s52, exec_lo
	v_cmpx_ne_u16_e32 0x80, v35
	s_cbranch_execz .LBB255_234
; %bb.229:                              ;   in Loop: Header=BB255_16 Depth=1
	v_mov_b32_e32 v95, 0x7f800001
	v_bfe_u32 v101, v99, 16, 7
	v_mov_b32_e32 v96, 0
	s_mov_b32 s53, exec_lo
	s_delay_alu instid0(VALU_DEP_2)
	v_cmpx_ne_u32_e32 0x7f, v101
	s_cbranch_execz .LBB255_233
; %bb.230:                              ;   in Loop: Header=BB255_16 Depth=1
	v_and_b32_e32 v35, 7, v100
	v_lshrrev_b32_e32 v95, 3, v101
	s_mov_b32 s54, exec_lo
	v_cmpx_gt_u32_e32 8, v101
; %bb.231:                              ;   in Loop: Header=BB255_16 Depth=1
	s_delay_alu instid0(VALU_DEP_3) | instskip(NEXT) | instid1(VALU_DEP_1)
	v_clz_i32_u32_e32 v95, v35
	v_min_u32_e32 v95, 32, v95
	s_delay_alu instid0(VALU_DEP_1) | instskip(SKIP_1) | instid1(VALU_DEP_2)
	v_subrev_nc_u32_e32 v96, 28, v95
	v_sub_nc_u32_e32 v95, 29, v95
	v_lshlrev_b64 v[101:102], v96, v[35:36]
	s_delay_alu instid0(VALU_DEP_1)
	v_and_b32_e32 v35, 7, v101
; %bb.232:                              ;   in Loop: Header=BB255_16 Depth=1
	s_or_b32 exec_lo, exec_lo, s54
	v_lshlrev_b32_e32 v96, 24, v100
	s_delay_alu instid0(VALU_DEP_2) | instskip(SKIP_1) | instid1(VALU_DEP_3)
	v_lshlrev_b32_e32 v35, 20, v35
	v_lshl_add_u32 v95, v95, 23, 0x3c000000
	v_and_b32_e32 v96, 0x80000000, v96
	s_delay_alu instid0(VALU_DEP_1) | instskip(NEXT) | instid1(VALU_DEP_1)
	v_or3_b32 v35, v35, v96, v95
	v_dual_mov_b32 v96, v36 :: v_dual_mov_b32 v95, v35
.LBB255_233:                            ;   in Loop: Header=BB255_16 Depth=1
	s_or_b32 exec_lo, exec_lo, s53
.LBB255_234:                            ;   in Loop: Header=BB255_16 Depth=1
	s_delay_alu instid0(SALU_CYCLE_1)
	s_or_b32 exec_lo, exec_lo, s52
.LBB255_235:                            ;   in Loop: Header=BB255_16 Depth=1
	s_delay_alu instid0(SALU_CYCLE_1) | instskip(NEXT) | instid1(SALU_CYCLE_1)
	s_or_b32 exec_lo, exec_lo, s38
	s_mov_b32 s52, exec_lo
	v_cmpx_lt_u32_e32 0xffffff, v99
	s_cbranch_execz .LBB255_243
; %bb.236:                              ;   in Loop: Header=BB255_16 Depth=1
	v_lshrrev_b32_e32 v100, 24, v99
	v_dual_mov_b32 v98, s11 :: v_dual_mov_b32 v97, s10
	s_mov_b32 s53, exec_lo
	s_delay_alu instid0(VALU_DEP_2)
	v_cmpx_ne_u32_e32 0x80, v100
	s_cbranch_execz .LBB255_242
; %bb.237:                              ;   in Loop: Header=BB255_16 Depth=1
	s_mov_b32 s38, s10
	v_bfe_u32 v99, v99, 24, 7
	v_dual_mov_b32 v98, s39 :: v_dual_mov_b32 v97, s38
	s_mov_b32 s38, exec_lo
	s_delay_alu instid0(VALU_DEP_2)
	v_cmpx_ne_u32_e32 0x7f, v99
	s_cbranch_execz .LBB255_241
; %bb.238:                              ;   in Loop: Header=BB255_16 Depth=1
	v_and_b32_e32 v35, 7, v100
	v_lshrrev_b32_e32 v97, 3, v99
	s_mov_b32 s54, exec_lo
	v_cmpx_gt_u32_e32 8, v99
; %bb.239:                              ;   in Loop: Header=BB255_16 Depth=1
	s_delay_alu instid0(VALU_DEP_3) | instskip(NEXT) | instid1(VALU_DEP_1)
	v_clz_i32_u32_e32 v97, v35
	v_min_u32_e32 v97, 32, v97
	s_delay_alu instid0(VALU_DEP_1) | instskip(SKIP_1) | instid1(VALU_DEP_2)
	v_subrev_nc_u32_e32 v98, 28, v97
	v_sub_nc_u32_e32 v97, 29, v97
	v_lshlrev_b64 v[98:99], v98, v[35:36]
	s_delay_alu instid0(VALU_DEP_1)
	v_and_b32_e32 v35, 7, v98
; %bb.240:                              ;   in Loop: Header=BB255_16 Depth=1
	s_or_b32 exec_lo, exec_lo, s54
	v_lshlrev_b32_e32 v98, 24, v100
	s_delay_alu instid0(VALU_DEP_2) | instskip(SKIP_1) | instid1(VALU_DEP_3)
	v_lshlrev_b32_e32 v35, 20, v35
	v_lshl_add_u32 v97, v97, 23, 0x3c000000
	v_and_b32_e32 v98, 0x80000000, v98
	s_delay_alu instid0(VALU_DEP_1)
	v_or3_b32 v98, v35, v98, v97
	v_mov_b32_e32 v97, v36
.LBB255_241:                            ;   in Loop: Header=BB255_16 Depth=1
	s_or_b32 exec_lo, exec_lo, s38
.LBB255_242:                            ;   in Loop: Header=BB255_16 Depth=1
	s_delay_alu instid0(SALU_CYCLE_1)
	s_or_b32 exec_lo, exec_lo, s53
.LBB255_243:                            ;   in Loop: Header=BB255_16 Depth=1
	s_delay_alu instid0(SALU_CYCLE_1)
	s_or_b32 exec_lo, exec_lo, s52
	global_load_b32 v116, v[53:54], off offset:524
	v_mov_b32_e32 v99, 0
	v_mov_b32_e32 v100, 0
	s_mov_b32 s38, exec_lo
	s_waitcnt vmcnt(0)
	v_and_b32_e32 v35, 0xff, v116
	s_delay_alu instid0(VALU_DEP_2) | instskip(NEXT) | instid1(VALU_DEP_2)
	v_dual_mov_b32 v53, v99 :: v_dual_mov_b32 v54, v100
	v_cmpx_ne_u16_e32 0, v35
	s_cbranch_execz .LBB255_251
; %bb.244:                              ;   in Loop: Header=BB255_16 Depth=1
	v_bfrev_b32_e32 v53, 1
	v_mov_b32_e32 v54, 0
	s_mov_b32 s52, exec_lo
	v_cmpx_ne_u16_e32 0x80, v35
	s_cbranch_execz .LBB255_250
; %bb.245:                              ;   in Loop: Header=BB255_16 Depth=1
	v_mov_b32_e32 v53, 0x7f800001
	v_dual_mov_b32 v54, 0 :: v_dual_and_b32 v101, 0x7f, v116
	s_mov_b32 s53, exec_lo
	s_delay_alu instid0(VALU_DEP_1)
	v_cmpx_ne_u32_e32 0x7f, v101
	s_cbranch_execz .LBB255_249
; %bb.246:                              ;   in Loop: Header=BB255_16 Depth=1
	v_and_b32_e32 v35, 7, v116
	v_lshrrev_b32_e32 v53, 3, v101
	s_mov_b32 s54, exec_lo
	v_cmpx_gt_u32_e32 8, v101
; %bb.247:                              ;   in Loop: Header=BB255_16 Depth=1
	s_delay_alu instid0(VALU_DEP_3) | instskip(NEXT) | instid1(VALU_DEP_1)
	v_clz_i32_u32_e32 v53, v35
	v_min_u32_e32 v53, 32, v53
	s_delay_alu instid0(VALU_DEP_1) | instskip(SKIP_1) | instid1(VALU_DEP_2)
	v_subrev_nc_u32_e32 v54, 28, v53
	v_sub_nc_u32_e32 v53, 29, v53
	v_lshlrev_b64 v[101:102], v54, v[35:36]
	s_delay_alu instid0(VALU_DEP_1)
	v_and_b32_e32 v35, 7, v101
; %bb.248:                              ;   in Loop: Header=BB255_16 Depth=1
	s_or_b32 exec_lo, exec_lo, s54
	v_lshlrev_b32_e32 v54, 24, v116
	s_delay_alu instid0(VALU_DEP_2) | instskip(SKIP_1) | instid1(VALU_DEP_3)
	v_lshlrev_b32_e32 v35, 20, v35
	v_lshl_add_u32 v53, v53, 23, 0x3c000000
	v_and_b32_e32 v54, 0x80000000, v54
	s_delay_alu instid0(VALU_DEP_1) | instskip(NEXT) | instid1(VALU_DEP_1)
	v_or3_b32 v35, v35, v54, v53
	v_dual_mov_b32 v54, v36 :: v_dual_mov_b32 v53, v35
.LBB255_249:                            ;   in Loop: Header=BB255_16 Depth=1
	s_or_b32 exec_lo, exec_lo, s53
.LBB255_250:                            ;   in Loop: Header=BB255_16 Depth=1
	s_delay_alu instid0(SALU_CYCLE_1)
	s_or_b32 exec_lo, exec_lo, s52
.LBB255_251:                            ;   in Loop: Header=BB255_16 Depth=1
	s_delay_alu instid0(SALU_CYCLE_1) | instskip(SKIP_2) | instid1(VALU_DEP_1)
	s_or_b32 exec_lo, exec_lo, s38
	v_lshrrev_b16 v35, 8, v116
	s_mov_b32 s52, exec_lo
	v_cmpx_ne_u16_e32 0, v35
	s_cbranch_execz .LBB255_259
; %bb.252:                              ;   in Loop: Header=BB255_16 Depth=1
	v_dual_mov_b32 v100, s11 :: v_dual_mov_b32 v99, s10
	s_mov_b32 s53, exec_lo
	v_cmpx_ne_u16_e32 0x80, v35
	s_cbranch_execz .LBB255_258
; %bb.253:                              ;   in Loop: Header=BB255_16 Depth=1
	s_mov_b32 s38, s10
	v_dual_mov_b32 v100, s39 :: v_dual_and_b32 v35, 0xffff, v35
	v_mov_b32_e32 v99, s38
	s_mov_b32 s38, exec_lo
	s_delay_alu instid0(VALU_DEP_2) | instskip(NEXT) | instid1(VALU_DEP_1)
	v_and_b32_e32 v101, 0x7f, v35
	v_cmpx_ne_u32_e32 0x7f, v101
	s_cbranch_execz .LBB255_257
; %bb.254:                              ;   in Loop: Header=BB255_16 Depth=1
	v_and_b32_e32 v35, 7, v35
	v_lshrrev_b32_e32 v99, 3, v101
	s_mov_b32 s54, exec_lo
	v_cmpx_gt_u32_e32 8, v101
; %bb.255:                              ;   in Loop: Header=BB255_16 Depth=1
	s_delay_alu instid0(VALU_DEP_3) | instskip(NEXT) | instid1(VALU_DEP_1)
	v_clz_i32_u32_e32 v99, v35
	v_min_u32_e32 v99, 32, v99
	s_delay_alu instid0(VALU_DEP_1) | instskip(SKIP_1) | instid1(VALU_DEP_2)
	v_subrev_nc_u32_e32 v100, 28, v99
	v_sub_nc_u32_e32 v99, 29, v99
	v_lshlrev_b64 v[100:101], v100, v[35:36]
	s_delay_alu instid0(VALU_DEP_1)
	v_and_b32_e32 v35, 7, v100
; %bb.256:                              ;   in Loop: Header=BB255_16 Depth=1
	s_or_b32 exec_lo, exec_lo, s54
	v_lshlrev_b32_e32 v100, 16, v116
	s_delay_alu instid0(VALU_DEP_2) | instskip(SKIP_1) | instid1(VALU_DEP_3)
	v_lshlrev_b32_e32 v35, 20, v35
	v_lshl_add_u32 v99, v99, 23, 0x3c000000
	v_and_b32_e32 v100, 0x80000000, v100
	s_delay_alu instid0(VALU_DEP_1)
	v_or3_b32 v100, v35, v100, v99
	v_mov_b32_e32 v99, v36
.LBB255_257:                            ;   in Loop: Header=BB255_16 Depth=1
	s_or_b32 exec_lo, exec_lo, s38
.LBB255_258:                            ;   in Loop: Header=BB255_16 Depth=1
	s_delay_alu instid0(SALU_CYCLE_1)
	s_or_b32 exec_lo, exec_lo, s53
.LBB255_259:                            ;   in Loop: Header=BB255_16 Depth=1
	s_delay_alu instid0(SALU_CYCLE_1) | instskip(SKIP_4) | instid1(VALU_DEP_2)
	s_or_b32 exec_lo, exec_lo, s52
	v_mov_b32_e32 v103, 0
	v_lshrrev_b32_e32 v117, 16, v116
	v_mov_b32_e32 v104, 0
	s_mov_b32 s38, exec_lo
	v_and_b32_e32 v35, 0xff, v117
	s_delay_alu instid0(VALU_DEP_2) | instskip(NEXT) | instid1(VALU_DEP_2)
	v_dual_mov_b32 v101, v103 :: v_dual_mov_b32 v102, v104
	v_cmpx_ne_u16_e32 0, v35
	s_cbranch_execz .LBB255_267
; %bb.260:                              ;   in Loop: Header=BB255_16 Depth=1
	v_bfrev_b32_e32 v101, 1
	v_mov_b32_e32 v102, 0
	s_mov_b32 s52, exec_lo
	v_cmpx_ne_u16_e32 0x80, v35
	s_cbranch_execz .LBB255_266
; %bb.261:                              ;   in Loop: Header=BB255_16 Depth=1
	v_mov_b32_e32 v101, 0x7f800001
	v_bfe_u32 v118, v116, 16, 7
	v_mov_b32_e32 v102, 0
	s_mov_b32 s53, exec_lo
	s_delay_alu instid0(VALU_DEP_2)
	v_cmpx_ne_u32_e32 0x7f, v118
	s_cbranch_execz .LBB255_265
; %bb.262:                              ;   in Loop: Header=BB255_16 Depth=1
	v_and_b32_e32 v35, 7, v117
	v_lshrrev_b32_e32 v101, 3, v118
	s_mov_b32 s54, exec_lo
	v_cmpx_gt_u32_e32 8, v118
; %bb.263:                              ;   in Loop: Header=BB255_16 Depth=1
	s_delay_alu instid0(VALU_DEP_3) | instskip(NEXT) | instid1(VALU_DEP_1)
	v_clz_i32_u32_e32 v101, v35
	v_min_u32_e32 v101, 32, v101
	s_delay_alu instid0(VALU_DEP_1) | instskip(SKIP_1) | instid1(VALU_DEP_2)
	v_subrev_nc_u32_e32 v102, 28, v101
	v_sub_nc_u32_e32 v101, 29, v101
	v_lshlrev_b64 v[118:119], v102, v[35:36]
	s_delay_alu instid0(VALU_DEP_1)
	v_and_b32_e32 v35, 7, v118
; %bb.264:                              ;   in Loop: Header=BB255_16 Depth=1
	s_or_b32 exec_lo, exec_lo, s54
	v_lshlrev_b32_e32 v102, 24, v117
	s_delay_alu instid0(VALU_DEP_2) | instskip(SKIP_1) | instid1(VALU_DEP_3)
	v_lshlrev_b32_e32 v35, 20, v35
	v_lshl_add_u32 v101, v101, 23, 0x3c000000
	v_and_b32_e32 v102, 0x80000000, v102
	s_delay_alu instid0(VALU_DEP_1) | instskip(NEXT) | instid1(VALU_DEP_1)
	v_or3_b32 v35, v35, v102, v101
	v_dual_mov_b32 v102, v36 :: v_dual_mov_b32 v101, v35
.LBB255_265:                            ;   in Loop: Header=BB255_16 Depth=1
	s_or_b32 exec_lo, exec_lo, s53
.LBB255_266:                            ;   in Loop: Header=BB255_16 Depth=1
	s_delay_alu instid0(SALU_CYCLE_1)
	s_or_b32 exec_lo, exec_lo, s52
.LBB255_267:                            ;   in Loop: Header=BB255_16 Depth=1
	s_delay_alu instid0(SALU_CYCLE_1) | instskip(NEXT) | instid1(SALU_CYCLE_1)
	s_or_b32 exec_lo, exec_lo, s38
	s_mov_b32 s52, exec_lo
	v_cmpx_lt_u32_e32 0xffffff, v116
	s_cbranch_execz .LBB255_14
; %bb.268:                              ;   in Loop: Header=BB255_16 Depth=1
	v_lshrrev_b32_e32 v117, 24, v116
	v_dual_mov_b32 v104, s11 :: v_dual_mov_b32 v103, s10
	s_mov_b32 s53, exec_lo
	s_delay_alu instid0(VALU_DEP_2)
	v_cmpx_ne_u32_e32 0x80, v117
	s_cbranch_execz .LBB255_13
; %bb.269:                              ;   in Loop: Header=BB255_16 Depth=1
	s_mov_b32 s38, s10
	v_bfe_u32 v116, v116, 24, 7
	v_dual_mov_b32 v104, s39 :: v_dual_mov_b32 v103, s38
	s_mov_b32 s38, exec_lo
	s_delay_alu instid0(VALU_DEP_2)
	v_cmpx_ne_u32_e32 0x7f, v116
	s_cbranch_execz .LBB255_12
; %bb.270:                              ;   in Loop: Header=BB255_16 Depth=1
	v_and_b32_e32 v35, 7, v117
	v_lshrrev_b32_e32 v103, 3, v116
	s_mov_b32 s54, exec_lo
	v_cmpx_gt_u32_e32 8, v116
	s_cbranch_execz .LBB255_11
; %bb.271:                              ;   in Loop: Header=BB255_16 Depth=1
	v_clz_i32_u32_e32 v103, v35
	s_delay_alu instid0(VALU_DEP_1) | instskip(NEXT) | instid1(VALU_DEP_1)
	v_min_u32_e32 v103, 32, v103
	v_subrev_nc_u32_e32 v104, 28, v103
	v_sub_nc_u32_e32 v103, 29, v103
	s_delay_alu instid0(VALU_DEP_2) | instskip(NEXT) | instid1(VALU_DEP_1)
	v_lshlrev_b64 v[118:119], v104, v[35:36]
	v_and_b32_e32 v35, 7, v118
	s_branch .LBB255_11
.LBB255_272:
	s_or_b32 exec_lo, exec_lo, s50
.LBB255_273:
	s_delay_alu instid0(SALU_CYCLE_1) | instskip(SKIP_4) | instid1(VALU_DEP_2)
	s_or_b32 exec_lo, exec_lo, s46
	s_waitcnt lgkmcnt(7)
	v_mbcnt_lo_u32_b32 v1, -1, 0
	s_waitcnt lgkmcnt(6)
	v_max_f32_e32 v5, v109, v109
	v_xor_b32_e32 v2, 16, v1
	v_xor_b32_e32 v4, 8, v1
	s_delay_alu instid0(VALU_DEP_2) | instskip(SKIP_1) | instid1(VALU_DEP_3)
	v_cmp_gt_i32_e32 vcc_lo, 32, v2
	v_cndmask_b32_e32 v2, v1, v2, vcc_lo
	v_cmp_gt_i32_e32 vcc_lo, 32, v4
	s_delay_alu instid0(VALU_DEP_2) | instskip(SKIP_4) | instid1(VALU_DEP_1)
	v_lshlrev_b32_e32 v2, 2, v2
	v_cndmask_b32_e32 v4, v1, v4, vcc_lo
	ds_bpermute_b32 v3, v2, v109
	s_waitcnt lgkmcnt(0)
	v_dual_max_f32 v6, v3, v3 :: v_dual_lshlrev_b32 v3, 2, v4
	v_max_f32_e32 v4, v5, v6
	v_xor_b32_e32 v6, 4, v1
	ds_bpermute_b32 v5, v3, v4
	v_cmp_gt_i32_e32 vcc_lo, 32, v6
	v_cndmask_b32_e32 v6, v1, v6, vcc_lo
	s_delay_alu instid0(VALU_DEP_1) | instskip(SKIP_1) | instid1(VALU_DEP_1)
	v_lshlrev_b32_e32 v23, 2, v6
	v_xor_b32_e32 v6, 2, v1
	v_cmp_gt_i32_e32 vcc_lo, 32, v6
	s_waitcnt lgkmcnt(0)
	v_max_f32_e32 v5, v5, v5
	v_cndmask_b32_e32 v6, v1, v6, vcc_lo
	s_delay_alu instid0(VALU_DEP_1) | instskip(SKIP_1) | instid1(VALU_DEP_1)
	v_lshlrev_b32_e32 v22, 2, v6
	v_xor_b32_e32 v6, 1, v1
	v_cmp_gt_i32_e32 vcc_lo, 32, v6
	v_cndmask_b32_e32 v6, v1, v6, vcc_lo
	v_max_f32_e32 v4, v4, v5
	v_cmp_eq_u32_e32 vcc_lo, 0, v106
	s_delay_alu instid0(VALU_DEP_3) | instskip(SKIP_3) | instid1(VALU_DEP_1)
	v_lshlrev_b32_e32 v21, 2, v6
	ds_bpermute_b32 v5, v23, v4
	s_waitcnt lgkmcnt(0)
	v_max_f32_e32 v5, v5, v5
	v_max_f32_e32 v4, v4, v5
	ds_bpermute_b32 v5, v22, v4
	s_waitcnt lgkmcnt(0)
	v_max_f32_e32 v5, v5, v5
	s_delay_alu instid0(VALU_DEP_1)
	v_max_f32_e32 v1, v4, v5
	v_lshlrev_b32_e32 v5, 2, v105
	ds_bpermute_b32 v4, v21, v1
	s_and_saveexec_b32 s0, vcc_lo
	s_cbranch_execz .LBB255_275
; %bb.274:
	s_waitcnt lgkmcnt(0)
	v_dual_max_f32 v4, v4, v4 :: v_dual_max_f32 v1, v1, v1
	s_delay_alu instid0(VALU_DEP_1)
	v_max_f32_e32 v1, v1, v4
	ds_store_b32 v5, v1 offset:128
.LBB255_275:
	s_or_b32 exec_lo, exec_lo, s0
	v_cmp_gt_u32_e64 s0, 4, v106
	v_mov_b32_e32 v1, 0xff7fffff
	s_waitcnt lgkmcnt(0)
	s_barrier
	buffer_gl0_inv
	s_and_saveexec_b32 s1, s0
	s_cbranch_execz .LBB255_277
; %bb.276:
	ds_load_b32 v1, v108 offset:128
.LBB255_277:
	s_or_b32 exec_lo, exec_lo, s1
	s_waitcnt lgkmcnt(0)
	ds_bpermute_b32 v4, v22, v1
	v_max_f32_e32 v1, v1, v1
	s_sub_i32 s1, s16, s8
	v_mov_b32_e32 v6, 0
	s_lshl_b32 s1, s1, 5
	s_delay_alu instid0(SALU_CYCLE_1) | instskip(NEXT) | instid1(SALU_CYCLE_1)
	s_add_i32 s1, s1, s42
	s_min_i32 s1, s1, s33
	s_delay_alu instid0(SALU_CYCLE_1) | instskip(NEXT) | instid1(SALU_CYCLE_1)
	s_sub_i32 s4, s1, s42
	v_cmp_gt_i32_e64 s1, s4, v0
	s_waitcnt lgkmcnt(0)
	v_max_f32_e32 v4, v4, v4
	s_delay_alu instid0(VALU_DEP_1) | instskip(SKIP_3) | instid1(VALU_DEP_1)
	v_max_f32_e32 v1, v1, v4
	ds_bpermute_b32 v4, v21, v1
	s_waitcnt lgkmcnt(0)
	v_max_f32_e32 v4, v4, v4
	v_max_f32_e32 v1, v1, v4
	v_lshl_add_u32 v4, v0, 2, 0xa0
	ds_bpermute_b32 v1, v6, v1
	s_and_saveexec_b32 s5, s1
	s_cbranch_execz .LBB255_281
; %bb.278:
	v_lshl_add_u32 v7, v0, 2, 0xa0
	v_mov_b32_e32 v6, 0
	v_mov_b32_e32 v8, v0
	s_mov_b32 s8, 0
	.p2align	6
.LBB255_279:                            ; =>This Inner Loop Header: Depth=1
	ds_load_b32 v9, v7
	v_add_nc_u32_e32 v8, 0x80, v8
	s_delay_alu instid0(VALU_DEP_1) | instskip(NEXT) | instid1(VALU_DEP_1)
	v_cmp_le_i32_e64 s3, s4, v8
	s_or_b32 s8, s3, s8
	s_waitcnt lgkmcnt(0)
	v_sub_f32_e32 v9, v9, v1
	s_delay_alu instid0(VALU_DEP_1) | instskip(NEXT) | instid1(VALU_DEP_1)
	v_mul_f32_e32 v9, 0x3fb8aa3b, v9
	v_exp_f32_e32 v9, v9
	ds_store_b32 v7, v9
	v_dual_add_f32 v6, v6, v9 :: v_dual_add_nc_u32 v7, 0x200, v7
	s_and_not1_b32 exec_lo, exec_lo, s8
	s_cbranch_execnz .LBB255_279
; %bb.280:
	s_or_b32 exec_lo, exec_lo, s8
.LBB255_281:
	s_delay_alu instid0(SALU_CYCLE_1)
	s_or_b32 exec_lo, exec_lo, s5
	ds_bpermute_b32 v2, v2, v6
	s_waitcnt lgkmcnt(0)
	v_add_f32_e32 v2, v6, v2
	ds_bpermute_b32 v3, v3, v2
	s_waitcnt lgkmcnt(0)
	v_add_f32_e32 v2, v2, v3
	;; [unrolled: 3-line block ×5, first 2 shown]
	s_and_saveexec_b32 s3, vcc_lo
	s_cbranch_execz .LBB255_283
; %bb.282:
	ds_store_b32 v5, v2 offset:144
.LBB255_283:
	s_or_b32 exec_lo, exec_lo, s3
	s_waitcnt lgkmcnt(0)
	s_barrier
	buffer_gl0_inv
	s_and_saveexec_b32 s3, s0
	s_cbranch_execz .LBB255_285
; %bb.284:
	ds_load_b32 v2, v108 offset:144
.LBB255_285:
	s_or_b32 exec_lo, exec_lo, s3
	s_waitcnt lgkmcnt(0)
	ds_bpermute_b32 v3, v22, v2
	s_waitcnt lgkmcnt(0)
	v_add_f32_e32 v2, v2, v3
	ds_bpermute_b32 v3, v21, v2
	s_waitcnt lgkmcnt(0)
	v_dual_add_f32 v2, v2, v3 :: v_dual_mov_b32 v3, 0
	ds_bpermute_b32 v2, v3, v2
	s_and_saveexec_b32 s0, s1
	s_cbranch_execz .LBB255_288
; %bb.286:
	s_waitcnt lgkmcnt(0)
	v_add_f32_e32 v3, 0x358637bd, v2
	s_mov_b32 s1, 0
	s_delay_alu instid0(VALU_DEP_1) | instskip(SKIP_1) | instid1(VALU_DEP_2)
	v_div_scale_f32 v5, null, v3, v3, 1.0
	v_div_scale_f32 v8, vcc_lo, 1.0, v3, 1.0
	v_rcp_f32_e32 v6, v5
	s_waitcnt_depctr 0xfff
	v_fma_f32 v7, -v5, v6, 1.0
	s_delay_alu instid0(VALU_DEP_1) | instskip(NEXT) | instid1(VALU_DEP_1)
	v_fmac_f32_e32 v6, v7, v6
	v_mul_f32_e32 v7, v8, v6
	s_delay_alu instid0(VALU_DEP_1) | instskip(NEXT) | instid1(VALU_DEP_1)
	v_fma_f32 v9, -v5, v7, v8
	v_fmac_f32_e32 v7, v9, v6
	s_delay_alu instid0(VALU_DEP_1) | instskip(NEXT) | instid1(VALU_DEP_1)
	v_fma_f32 v5, -v5, v7, v8
	v_div_fmas_f32 v5, v5, v6, v7
	s_delay_alu instid0(VALU_DEP_1)
	v_div_fixup_f32 v3, v5, v3, 1.0
	v_mov_b32_e32 v5, v0
.LBB255_287:                            ; =>This Inner Loop Header: Depth=1
	ds_load_b32 v6, v4
	s_waitcnt lgkmcnt(0)
	v_dual_mul_f32 v6, v3, v6 :: v_dual_add_nc_u32 v5, 0x80, v5
	s_delay_alu instid0(VALU_DEP_1) | instskip(SKIP_3) | instid1(SALU_CYCLE_1)
	v_cmp_le_i32_e32 vcc_lo, s4, v5
	ds_store_b32 v4, v6
	v_add_nc_u32_e32 v4, 0x200, v4
	s_or_b32 s1, vcc_lo, s1
	s_and_not1_b32 exec_lo, exec_lo, s1
	s_cbranch_execnz .LBB255_287
.LBB255_288:
	s_or_b32 exec_lo, exec_lo, s0
	s_mul_i32 s0, s15, s14
	s_waitcnt lgkmcnt(0)
	s_mul_i32 s4, s0, s13
	s_mov_b32 s0, exec_lo
	s_barrier
	buffer_gl0_inv
	v_cmpx_eq_u32_e32 0, v0
	s_cbranch_execz .LBB255_290
; %bb.289:
	s_ashr_i32 s5, s4, 31
	s_mul_i32 s38, s15, s28
	s_lshl_b64 s[10:11], s[4:5], 2
	v_mov_b32_e32 v3, 0
	s_add_u32 s1, s22, s10
	s_addc_u32 s3, s23, s11
	s_ashr_i32 s39, s38, 31
	s_delay_alu instid0(SALU_CYCLE_1) | instskip(NEXT) | instid1(SALU_CYCLE_1)
	s_lshl_b64 s[22:23], s[38:39], 2
	s_add_u32 s1, s1, s22
	s_addc_u32 s3, s3, s23
	s_ashr_i32 s13, s12, 31
	s_delay_alu instid0(SALU_CYCLE_1) | instskip(NEXT) | instid1(SALU_CYCLE_1)
	s_lshl_b64 s[38:39], s[12:13], 2
	s_add_u32 s46, s1, s38
	s_addc_u32 s47, s3, s39
	s_add_u32 s1, s20, s10
	s_addc_u32 s3, s21, s11
	;; [unrolled: 2-line block ×4, first 2 shown]
	s_clause 0x1
	global_store_b32 v3, v1, s[46:47]
	global_store_b32 v3, v2, s[10:11]
.LBB255_290:
	s_or_b32 exec_lo, exec_lo, s0
	v_dual_mov_b32 v32, 0 :: v_dual_mov_b32 v27, 0
	v_dual_mov_b32 v29, 0 :: v_dual_and_b32 v24, 7, v0
	v_dual_mov_b32 v26, 0 :: v_dual_mov_b32 v31, 0
	v_dual_mov_b32 v28, 0 :: v_dual_mov_b32 v25, 0
	v_mov_b32_e32 v30, 0
	s_mov_b32 s8, 0
	s_and_saveexec_b32 s1, s2
	s_cbranch_execz .LBB255_568
; %bb.291:
	s_sub_i32 s5, s44, s17
	s_ashr_i32 s0, s43, 31
	s_add_u32 s13, s36, s43
	s_addc_u32 s0, s37, s0
	s_abs_i32 s10, s18
	v_dual_mov_b32 v25, 0 :: v_dual_lshlrev_b32 v4, 2, v0
	v_cvt_f32_u32_e32 v1, s10
	s_sub_i32 s2, 0, s10
	v_dual_mov_b32 v6, 0 :: v_dual_lshlrev_b32 v5, 4, v24
	v_mov_b32_e32 v27, 0
	s_delay_alu instid0(VALU_DEP_3)
	v_rcp_iflag_f32_e32 v3, v1
	v_lshlrev_b64 v[1:2], 2, v[33:34]
	v_and_b32_e32 v34, 28, v4
	v_and_b32_e32 v4, 0x7c, v4
	s_add_i32 s41, s41, -1
	v_lshl_or_b32 v5, v105, 7, v5
	v_dual_mov_b32 v31, 0 :: v_dual_mov_b32 v28, 0
	v_dual_mov_b32 v30, 0 :: v_dual_mov_b32 v29, 0
	s_delay_alu instid0(TRANS32_DEP_1) | instskip(NEXT) | instid1(VALU_DEP_4)
	v_dual_mov_b32 v26, 0 :: v_dual_mul_f32 v3, 0x4f7ffffe, v3
	v_dual_mov_b32 v32, 0 :: v_dual_add_nc_u32 v35, 0xa0, v5
	s_mov_b32 s11, s9
	s_brev_b32 s9, 1
	s_delay_alu instid0(VALU_DEP_2) | instskip(NEXT) | instid1(VALU_DEP_1)
	v_cvt_u32_f32_e32 v3, v3
	v_mul_lo_u32 v7, s2, v3
	s_lshl_b64 s[2:3], s[34:35], 2
	s_delay_alu instid0(SALU_CYCLE_1) | instskip(SKIP_1) | instid1(VALU_DEP_1)
	s_add_u32 s2, s30, s2
	s_addc_u32 s3, s31, s3
	v_mul_hi_u32 v11, v3, v7
	v_add_co_u32 v7, vcc_lo, s2, v1
	v_add_co_u32 v9, s2, s13, v4
	v_add_co_ci_u32_e32 v8, vcc_lo, s3, v2, vcc_lo
	v_add_co_ci_u32_e64 v10, null, s0, 0, s2
	v_add_nc_u32_e32 v36, v3, v11
	s_mov_b32 s3, 0x7f800001
	s_mov_b32 s13, s8
	s_branch .LBB255_294
.LBB255_292:                            ;   in Loop: Header=BB255_294 Depth=1
	s_or_b32 exec_lo, exec_lo, s0
	v_mul_f32_e32 v15, v2, v64
	v_mul_f32_e32 v14, v2, v66
	;; [unrolled: 1-line block ×3, first 2 shown]
	s_delay_alu instid0(VALU_DEP_3) | instskip(NEXT) | instid1(VALU_DEP_3)
	v_dual_fmac_f32 v15, v1, v63 :: v_dual_mul_f32 v16, v2, v60
	v_fmac_f32_e32 v14, v1, v65
	s_delay_alu instid0(VALU_DEP_3) | instskip(NEXT) | instid1(VALU_DEP_3)
	v_dual_fmac_f32 v17, v1, v55 :: v_dual_mul_f32 v40, v2, v40
	v_dual_fmac_f32 v15, v3, v62 :: v_dual_fmac_f32 v16, v1, v59
	s_delay_alu instid0(VALU_DEP_3) | instskip(NEXT) | instid1(VALU_DEP_3)
	v_fmac_f32_e32 v14, v3, v20
	v_dual_mul_f32 v18, v2, v52 :: v_dual_fmac_f32 v17, v3, v54
	s_delay_alu instid0(VALU_DEP_3) | instskip(SKIP_1) | instid1(VALU_DEP_3)
	v_dual_fmac_f32 v15, v4, v61 :: v_dual_fmac_f32 v16, v3, v58
	v_fmac_f32_e32 v40, v1, v39
	v_dual_fmac_f32 v18, v1, v51 :: v_dual_fmac_f32 v17, v4, v53
	s_delay_alu instid0(VALU_DEP_3) | instskip(NEXT) | instid1(VALU_DEP_4)
	v_add_f32_e32 v26, v26, v15
	v_fmac_f32_e32 v16, v4, v57
	s_delay_alu instid0(VALU_DEP_4) | instskip(SKIP_2) | instid1(VALU_DEP_4)
	v_fmac_f32_e32 v40, v3, v38
	v_fmac_f32_e32 v14, v4, v19
	;; [unrolled: 1-line block ×3, first 2 shown]
	v_dual_add_f32 v28, v28, v17 :: v_dual_add_f32 v29, v29, v16
	s_delay_alu instid0(VALU_DEP_3) | instskip(SKIP_3) | instid1(VALU_DEP_4)
	v_dual_mul_f32 v20, v2, v48 :: v_dual_add_f32 v27, v27, v14
	v_fmac_f32_e32 v40, v4, v37
	v_mul_f32_e32 v2, v2, v13
	v_fmac_f32_e32 v18, v4, v49
	v_fmac_f32_e32 v20, v1, v47
	s_delay_alu instid0(VALU_DEP_4) | instskip(NEXT) | instid1(VALU_DEP_4)
	v_add_f32_e32 v25, v25, v40
	v_fmac_f32_e32 v2, v1, v12
	s_delay_alu instid0(VALU_DEP_4) | instskip(NEXT) | instid1(VALU_DEP_4)
	v_add_f32_e32 v30, v30, v18
	v_fmac_f32_e32 v20, v3, v46
	s_delay_alu instid0(VALU_DEP_3) | instskip(NEXT) | instid1(VALU_DEP_2)
	v_fmac_f32_e32 v2, v3, v11
	v_fmac_f32_e32 v20, v4, v45
	s_delay_alu instid0(VALU_DEP_1) | instskip(NEXT) | instid1(VALU_DEP_1)
	v_dual_fmac_f32 v2, v4, v5 :: v_dual_add_f32 v31, v31, v20
	v_add_f32_e32 v32, v32, v2
.LBB255_293:                            ;   in Loop: Header=BB255_294 Depth=1
	s_or_b32 exec_lo, exec_lo, s14
	v_add_nc_u32_e32 v33, 4, v33
	v_add_co_u32 v7, s0, v7, 16
	s_delay_alu instid0(VALU_DEP_1) | instskip(NEXT) | instid1(VALU_DEP_3)
	v_add_co_ci_u32_e64 v8, s0, 0, v8, s0
	v_cmp_le_i32_e32 vcc_lo, s16, v33
	v_add_nc_u32_e32 v107, 0x80, v107
	v_add_nc_u32_e32 v35, 0x200, v35
	s_or_b32 s13, vcc_lo, s13
	s_delay_alu instid0(SALU_CYCLE_1)
	s_and_not1_b32 exec_lo, exec_lo, s13
	s_cbranch_execz .LBB255_567
.LBB255_294:                            ; =>This Inner Loop Header: Depth=1
	v_sub_nc_u32_e32 v1, 0, v107
	s_delay_alu instid0(VALU_DEP_1) | instskip(NEXT) | instid1(VALU_DEP_1)
	v_max_i32_e32 v1, v107, v1
	v_mul_hi_u32 v2, v1, s29
	s_delay_alu instid0(VALU_DEP_1) | instskip(NEXT) | instid1(VALU_DEP_1)
	v_mul_lo_u32 v3, v2, s25
	v_sub_nc_u32_e32 v1, v1, v3
	v_add_nc_u32_e32 v3, 1, v2
	s_delay_alu instid0(VALU_DEP_2) | instskip(SKIP_1) | instid1(VALU_DEP_2)
	v_subrev_nc_u32_e32 v4, s25, v1
	v_cmp_le_u32_e32 vcc_lo, s25, v1
	v_dual_cndmask_b32 v2, v2, v3 :: v_dual_cndmask_b32 v1, v1, v4
	v_ashrrev_i32_e32 v3, 31, v107
	s_delay_alu instid0(VALU_DEP_2) | instskip(NEXT) | instid1(VALU_DEP_3)
	v_add_nc_u32_e32 v4, 1, v2
	v_cmp_le_u32_e32 vcc_lo, s25, v1
	s_delay_alu instid0(VALU_DEP_3) | instskip(NEXT) | instid1(VALU_DEP_3)
	v_xor_b32_e32 v3, s19, v3
	v_cndmask_b32_e32 v1, v2, v4, vcc_lo
	s_delay_alu instid0(VALU_DEP_1) | instskip(NEXT) | instid1(VALU_DEP_1)
	v_xor_b32_e32 v1, v1, v3
	v_sub_nc_u32_e32 v1, v1, v3
	s_delay_alu instid0(VALU_DEP_1) | instskip(SKIP_1) | instid1(VALU_DEP_2)
	v_add_nc_u32_e32 v2, s40, v1
	v_cmp_lt_i32_e64 s0, s5, v1
	v_sub_nc_u32_e32 v3, 0, v2
	s_delay_alu instid0(VALU_DEP_1) | instskip(NEXT) | instid1(VALU_DEP_1)
	v_max_i32_e32 v3, v2, v3
	v_mul_hi_u32 v4, v3, v36
	s_delay_alu instid0(VALU_DEP_1) | instskip(NEXT) | instid1(VALU_DEP_1)
	v_mul_lo_u32 v4, v4, s10
	v_sub_nc_u32_e32 v3, v3, v4
	s_delay_alu instid0(VALU_DEP_1) | instskip(SKIP_1) | instid1(VALU_DEP_2)
	v_subrev_nc_u32_e32 v4, s10, v3
	v_cmp_le_u32_e32 vcc_lo, s10, v3
	v_cndmask_b32_e32 v3, v3, v4, vcc_lo
	v_ashrrev_i32_e32 v2, 31, v2
	s_delay_alu instid0(VALU_DEP_2) | instskip(SKIP_1) | instid1(VALU_DEP_2)
	v_subrev_nc_u32_e32 v4, s10, v3
	v_cmp_le_u32_e32 vcc_lo, s10, v3
	v_cndmask_b32_e32 v3, v3, v4, vcc_lo
	s_delay_alu instid0(VALU_DEP_1) | instskip(NEXT) | instid1(VALU_DEP_1)
	v_xor_b32_e32 v3, v3, v2
	v_sub_nc_u32_e32 v2, v3, v2
	s_delay_alu instid0(VALU_DEP_1) | instskip(SKIP_1) | instid1(SALU_CYCLE_1)
	v_cmp_eq_u32_e32 vcc_lo, 0, v2
	s_or_b32 s0, vcc_lo, s0
	s_and_saveexec_b32 s14, s0
	s_cbranch_execz .LBB255_293
; %bb.295:                              ;   in Loop: Header=BB255_294 Depth=1
	global_load_b32 v1, v[7:8], off
	s_load_b32 s17, s[6:7], 0x0
	v_mov_b32_e32 v15, 0
	s_mov_b32 s0, exec_lo
	s_waitcnt vmcnt(0)
	v_mad_i64_i32 v[11:12], null, v1, s11, v[9:10]
	ds_load_b128 v[1:4], v35
	global_load_b32 v37, v[11:12], off
	s_waitcnt vmcnt(0)
	v_dual_mov_b32 v16, 0 :: v_dual_and_b32 v5, 0xff, v37
	s_delay_alu instid0(VALU_DEP_1) | instskip(NEXT) | instid1(VALU_DEP_2)
	v_dual_mov_b32 v13, v15 :: v_dual_mov_b32 v14, v16
	v_cmpx_ne_u16_e32 0, v5
	s_cbranch_execz .LBB255_303
; %bb.296:                              ;   in Loop: Header=BB255_294 Depth=1
	v_bfrev_b32_e32 v13, 1
	v_mov_b32_e32 v14, 0
	s_mov_b32 s2, exec_lo
	v_cmpx_ne_u16_e32 0x80, v5
	s_cbranch_execz .LBB255_302
; %bb.297:                              ;   in Loop: Header=BB255_294 Depth=1
	v_mov_b32_e32 v13, 0x7f800001
	v_dual_mov_b32 v14, 0 :: v_dual_and_b32 v17, 0x7f, v37
	s_mov_b32 s18, exec_lo
	s_delay_alu instid0(VALU_DEP_1)
	v_cmpx_ne_u32_e32 0x7f, v17
	s_cbranch_execz .LBB255_301
; %bb.298:                              ;   in Loop: Header=BB255_294 Depth=1
	v_and_b32_e32 v5, 7, v37
	v_lshrrev_b32_e32 v13, 3, v17
	s_mov_b32 s20, exec_lo
	v_cmpx_gt_u32_e32 8, v17
; %bb.299:                              ;   in Loop: Header=BB255_294 Depth=1
	s_delay_alu instid0(VALU_DEP_3) | instskip(NEXT) | instid1(VALU_DEP_1)
	v_clz_i32_u32_e32 v13, v5
	v_min_u32_e32 v13, 32, v13
	s_delay_alu instid0(VALU_DEP_1) | instskip(SKIP_1) | instid1(VALU_DEP_2)
	v_subrev_nc_u32_e32 v14, 28, v13
	v_sub_nc_u32_e32 v13, 29, v13
	v_lshlrev_b64 v[17:18], v14, v[5:6]
	s_delay_alu instid0(VALU_DEP_1)
	v_and_b32_e32 v5, 7, v17
; %bb.300:                              ;   in Loop: Header=BB255_294 Depth=1
	s_or_b32 exec_lo, exec_lo, s20
	v_lshlrev_b32_e32 v14, 24, v37
	s_delay_alu instid0(VALU_DEP_2) | instskip(SKIP_1) | instid1(VALU_DEP_3)
	v_lshlrev_b32_e32 v5, 20, v5
	v_lshl_add_u32 v13, v13, 23, 0x3c000000
	v_and_b32_e32 v14, 0x80000000, v14
	s_delay_alu instid0(VALU_DEP_1) | instskip(NEXT) | instid1(VALU_DEP_1)
	v_or3_b32 v5, v5, v14, v13
	v_dual_mov_b32 v14, v6 :: v_dual_mov_b32 v13, v5
.LBB255_301:                            ;   in Loop: Header=BB255_294 Depth=1
	s_or_b32 exec_lo, exec_lo, s18
.LBB255_302:                            ;   in Loop: Header=BB255_294 Depth=1
	s_delay_alu instid0(SALU_CYCLE_1)
	s_or_b32 exec_lo, exec_lo, s2
.LBB255_303:                            ;   in Loop: Header=BB255_294 Depth=1
	s_delay_alu instid0(SALU_CYCLE_1) | instskip(SKIP_2) | instid1(VALU_DEP_1)
	s_or_b32 exec_lo, exec_lo, s0
	v_lshrrev_b16 v5, 8, v37
	s_mov_b32 s0, exec_lo
	v_cmpx_ne_u16_e32 0, v5
	s_cbranch_execz .LBB255_311
; %bb.304:                              ;   in Loop: Header=BB255_294 Depth=1
	v_dual_mov_b32 v16, s9 :: v_dual_mov_b32 v15, s8
	s_mov_b32 s18, exec_lo
	v_cmpx_ne_u16_e32 0x80, v5
	s_cbranch_execz .LBB255_310
; %bb.305:                              ;   in Loop: Header=BB255_294 Depth=1
	s_mov_b32 s2, s8
	v_dual_mov_b32 v16, s3 :: v_dual_and_b32 v5, 0xffff, v5
	v_mov_b32_e32 v15, s2
	s_mov_b32 s2, exec_lo
	s_delay_alu instid0(VALU_DEP_2) | instskip(NEXT) | instid1(VALU_DEP_1)
	v_and_b32_e32 v17, 0x7f, v5
	v_cmpx_ne_u32_e32 0x7f, v17
	s_cbranch_execz .LBB255_309
; %bb.306:                              ;   in Loop: Header=BB255_294 Depth=1
	v_and_b32_e32 v5, 7, v5
	v_lshrrev_b32_e32 v15, 3, v17
	s_mov_b32 s20, exec_lo
	v_cmpx_gt_u32_e32 8, v17
; %bb.307:                              ;   in Loop: Header=BB255_294 Depth=1
	s_delay_alu instid0(VALU_DEP_3) | instskip(NEXT) | instid1(VALU_DEP_1)
	v_clz_i32_u32_e32 v15, v5
	v_min_u32_e32 v15, 32, v15
	s_delay_alu instid0(VALU_DEP_1) | instskip(SKIP_1) | instid1(VALU_DEP_2)
	v_subrev_nc_u32_e32 v16, 28, v15
	v_sub_nc_u32_e32 v15, 29, v15
	v_lshlrev_b64 v[16:17], v16, v[5:6]
	s_delay_alu instid0(VALU_DEP_1)
	v_and_b32_e32 v5, 7, v16
; %bb.308:                              ;   in Loop: Header=BB255_294 Depth=1
	s_or_b32 exec_lo, exec_lo, s20
	v_lshlrev_b32_e32 v16, 16, v37
	s_delay_alu instid0(VALU_DEP_2) | instskip(SKIP_1) | instid1(VALU_DEP_3)
	v_lshlrev_b32_e32 v5, 20, v5
	v_lshl_add_u32 v15, v15, 23, 0x3c000000
	v_and_b32_e32 v16, 0x80000000, v16
	s_delay_alu instid0(VALU_DEP_1)
	v_or3_b32 v16, v5, v16, v15
	v_mov_b32_e32 v15, v6
.LBB255_309:                            ;   in Loop: Header=BB255_294 Depth=1
	s_or_b32 exec_lo, exec_lo, s2
.LBB255_310:                            ;   in Loop: Header=BB255_294 Depth=1
	s_delay_alu instid0(SALU_CYCLE_1)
	s_or_b32 exec_lo, exec_lo, s18
.LBB255_311:                            ;   in Loop: Header=BB255_294 Depth=1
	s_delay_alu instid0(SALU_CYCLE_1) | instskip(SKIP_4) | instid1(VALU_DEP_2)
	s_or_b32 exec_lo, exec_lo, s0
	v_mov_b32_e32 v19, 0
	v_lshrrev_b32_e32 v38, 16, v37
	v_mov_b32_e32 v20, 0
	s_mov_b32 s0, exec_lo
	v_and_b32_e32 v5, 0xff, v38
	s_delay_alu instid0(VALU_DEP_2) | instskip(NEXT) | instid1(VALU_DEP_2)
	v_dual_mov_b32 v17, v19 :: v_dual_mov_b32 v18, v20
	v_cmpx_ne_u16_e32 0, v5
	s_cbranch_execz .LBB255_319
; %bb.312:                              ;   in Loop: Header=BB255_294 Depth=1
	v_bfrev_b32_e32 v17, 1
	v_mov_b32_e32 v18, 0
	s_mov_b32 s2, exec_lo
	v_cmpx_ne_u16_e32 0x80, v5
	s_cbranch_execz .LBB255_318
; %bb.313:                              ;   in Loop: Header=BB255_294 Depth=1
	v_mov_b32_e32 v17, 0x7f800001
	v_bfe_u32 v39, v37, 16, 7
	v_mov_b32_e32 v18, 0
	s_mov_b32 s18, exec_lo
	s_delay_alu instid0(VALU_DEP_2)
	v_cmpx_ne_u32_e32 0x7f, v39
	s_cbranch_execz .LBB255_317
; %bb.314:                              ;   in Loop: Header=BB255_294 Depth=1
	v_and_b32_e32 v5, 7, v38
	v_lshrrev_b32_e32 v17, 3, v39
	s_mov_b32 s20, exec_lo
	v_cmpx_gt_u32_e32 8, v39
; %bb.315:                              ;   in Loop: Header=BB255_294 Depth=1
	s_delay_alu instid0(VALU_DEP_3) | instskip(NEXT) | instid1(VALU_DEP_1)
	v_clz_i32_u32_e32 v17, v5
	v_min_u32_e32 v17, 32, v17
	s_delay_alu instid0(VALU_DEP_1) | instskip(SKIP_1) | instid1(VALU_DEP_2)
	v_subrev_nc_u32_e32 v18, 28, v17
	v_sub_nc_u32_e32 v17, 29, v17
	v_lshlrev_b64 v[39:40], v18, v[5:6]
	s_delay_alu instid0(VALU_DEP_1)
	v_and_b32_e32 v5, 7, v39
; %bb.316:                              ;   in Loop: Header=BB255_294 Depth=1
	s_or_b32 exec_lo, exec_lo, s20
	v_lshlrev_b32_e32 v18, 24, v38
	s_delay_alu instid0(VALU_DEP_2) | instskip(SKIP_1) | instid1(VALU_DEP_3)
	v_lshlrev_b32_e32 v5, 20, v5
	v_lshl_add_u32 v17, v17, 23, 0x3c000000
	v_and_b32_e32 v18, 0x80000000, v18
	s_delay_alu instid0(VALU_DEP_1) | instskip(NEXT) | instid1(VALU_DEP_1)
	v_or3_b32 v5, v5, v18, v17
	v_dual_mov_b32 v18, v6 :: v_dual_mov_b32 v17, v5
.LBB255_317:                            ;   in Loop: Header=BB255_294 Depth=1
	s_or_b32 exec_lo, exec_lo, s18
.LBB255_318:                            ;   in Loop: Header=BB255_294 Depth=1
	s_delay_alu instid0(SALU_CYCLE_1)
	s_or_b32 exec_lo, exec_lo, s2
.LBB255_319:                            ;   in Loop: Header=BB255_294 Depth=1
	s_delay_alu instid0(SALU_CYCLE_1) | instskip(NEXT) | instid1(SALU_CYCLE_1)
	s_or_b32 exec_lo, exec_lo, s0
	s_mov_b32 s0, exec_lo
	v_cmpx_lt_u32_e32 0xffffff, v37
	s_cbranch_execz .LBB255_327
; %bb.320:                              ;   in Loop: Header=BB255_294 Depth=1
	v_lshrrev_b32_e32 v38, 24, v37
	v_dual_mov_b32 v20, s9 :: v_dual_mov_b32 v19, s8
	s_mov_b32 s18, exec_lo
	s_delay_alu instid0(VALU_DEP_2)
	v_cmpx_ne_u32_e32 0x80, v38
	s_cbranch_execz .LBB255_326
; %bb.321:                              ;   in Loop: Header=BB255_294 Depth=1
	s_mov_b32 s2, s8
	v_bfe_u32 v37, v37, 24, 7
	v_dual_mov_b32 v20, s3 :: v_dual_mov_b32 v19, s2
	s_mov_b32 s2, exec_lo
	s_delay_alu instid0(VALU_DEP_2)
	v_cmpx_ne_u32_e32 0x7f, v37
	s_cbranch_execz .LBB255_325
; %bb.322:                              ;   in Loop: Header=BB255_294 Depth=1
	v_and_b32_e32 v5, 7, v38
	v_lshrrev_b32_e32 v19, 3, v37
	s_mov_b32 s20, exec_lo
	v_cmpx_gt_u32_e32 8, v37
; %bb.323:                              ;   in Loop: Header=BB255_294 Depth=1
	s_delay_alu instid0(VALU_DEP_3) | instskip(NEXT) | instid1(VALU_DEP_1)
	v_clz_i32_u32_e32 v19, v5
	v_min_u32_e32 v19, 32, v19
	s_delay_alu instid0(VALU_DEP_1) | instskip(SKIP_1) | instid1(VALU_DEP_2)
	v_subrev_nc_u32_e32 v20, 28, v19
	v_sub_nc_u32_e32 v19, 29, v19
	v_lshlrev_b64 v[39:40], v20, v[5:6]
	s_delay_alu instid0(VALU_DEP_1)
	v_and_b32_e32 v5, 7, v39
; %bb.324:                              ;   in Loop: Header=BB255_294 Depth=1
	s_or_b32 exec_lo, exec_lo, s20
	v_lshlrev_b32_e32 v20, 24, v38
	s_delay_alu instid0(VALU_DEP_2) | instskip(SKIP_1) | instid1(VALU_DEP_3)
	v_lshlrev_b32_e32 v5, 20, v5
	v_lshl_add_u32 v19, v19, 23, 0x3c000000
	v_and_b32_e32 v20, 0x80000000, v20
	s_delay_alu instid0(VALU_DEP_1)
	v_or3_b32 v20, v5, v20, v19
	v_mov_b32_e32 v19, v6
.LBB255_325:                            ;   in Loop: Header=BB255_294 Depth=1
	s_or_b32 exec_lo, exec_lo, s2
.LBB255_326:                            ;   in Loop: Header=BB255_294 Depth=1
	s_delay_alu instid0(SALU_CYCLE_1)
	s_or_b32 exec_lo, exec_lo, s18
.LBB255_327:                            ;   in Loop: Header=BB255_294 Depth=1
	s_delay_alu instid0(SALU_CYCLE_1)
	s_or_b32 exec_lo, exec_lo, s0
	v_or_b32_e32 v5, v16, v14
	v_add_nc_u32_e32 v41, v34, v107
	v_or_b32_e32 v13, v15, v13
	v_or_b32_e32 v14, v20, v18
	;; [unrolled: 1-line block ×3, first 2 shown]
	s_waitcnt lgkmcnt(0)
	v_mul_f32_e32 v40, s17, v5
	v_cmp_eq_u32_e32 vcc_lo, s41, v33
	v_mul_f32_e32 v39, s17, v13
	v_dual_mul_f32 v37, s17, v14 :: v_dual_add_nc_u32 v44, 1, v41
	v_dual_mul_f32 v38, s17, v15 :: v_dual_add_nc_u32 v43, 2, v41
	v_add_nc_u32_e32 v42, 3, v41
	s_and_saveexec_b32 s2, vcc_lo
; %bb.328:                              ;   in Loop: Header=BB255_294 Depth=1
	v_cmp_gt_i32_e64 s0, s33, v41
	s_delay_alu instid0(VALU_DEP_1) | instskip(SKIP_1) | instid1(VALU_DEP_1)
	v_cndmask_b32_e64 v39, 0, v39, s0
	v_cmp_gt_i32_e64 s0, s33, v44
	v_cndmask_b32_e64 v40, 0, v40, s0
	v_cmp_gt_i32_e64 s0, s33, v43
	s_delay_alu instid0(VALU_DEP_1) | instskip(SKIP_1) | instid1(VALU_DEP_1)
	v_cndmask_b32_e64 v38, 0, v38, s0
	v_cmp_gt_i32_e64 s0, s33, v42
	v_cndmask_b32_e64 v37, 0, v37, s0
; %bb.329:                              ;   in Loop: Header=BB255_294 Depth=1
	s_or_b32 exec_lo, exec_lo, s2
	global_load_b32 v45, v[11:12], off offset:128
	v_mov_b32_e32 v15, 0
	v_mov_b32_e32 v16, 0
	s_mov_b32 s2, exec_lo
	s_waitcnt vmcnt(0)
	v_and_b32_e32 v5, 0xff, v45
	s_delay_alu instid0(VALU_DEP_2) | instskip(NEXT) | instid1(VALU_DEP_2)
	v_dual_mov_b32 v13, v15 :: v_dual_mov_b32 v14, v16
	v_cmpx_ne_u16_e32 0, v5
	s_cbranch_execz .LBB255_337
; %bb.330:                              ;   in Loop: Header=BB255_294 Depth=1
	v_bfrev_b32_e32 v13, 1
	v_mov_b32_e32 v14, 0
	s_mov_b32 s18, exec_lo
	v_cmpx_ne_u16_e32 0x80, v5
	s_cbranch_execz .LBB255_336
; %bb.331:                              ;   in Loop: Header=BB255_294 Depth=1
	v_mov_b32_e32 v13, 0x7f800001
	v_dual_mov_b32 v14, 0 :: v_dual_and_b32 v17, 0x7f, v45
	s_mov_b32 s20, exec_lo
	s_delay_alu instid0(VALU_DEP_1)
	v_cmpx_ne_u32_e32 0x7f, v17
	s_cbranch_execz .LBB255_335
; %bb.332:                              ;   in Loop: Header=BB255_294 Depth=1
	v_and_b32_e32 v5, 7, v45
	v_lshrrev_b32_e32 v13, 3, v17
	s_mov_b32 s21, exec_lo
	v_cmpx_gt_u32_e32 8, v17
; %bb.333:                              ;   in Loop: Header=BB255_294 Depth=1
	s_delay_alu instid0(VALU_DEP_3) | instskip(NEXT) | instid1(VALU_DEP_1)
	v_clz_i32_u32_e32 v13, v5
	v_min_u32_e32 v13, 32, v13
	s_delay_alu instid0(VALU_DEP_1) | instskip(SKIP_1) | instid1(VALU_DEP_2)
	v_subrev_nc_u32_e32 v14, 28, v13
	v_sub_nc_u32_e32 v13, 29, v13
	v_lshlrev_b64 v[17:18], v14, v[5:6]
	s_delay_alu instid0(VALU_DEP_1)
	v_and_b32_e32 v5, 7, v17
; %bb.334:                              ;   in Loop: Header=BB255_294 Depth=1
	s_or_b32 exec_lo, exec_lo, s21
	v_lshlrev_b32_e32 v14, 24, v45
	s_delay_alu instid0(VALU_DEP_2) | instskip(SKIP_1) | instid1(VALU_DEP_3)
	v_lshlrev_b32_e32 v5, 20, v5
	v_lshl_add_u32 v13, v13, 23, 0x3c000000
	v_and_b32_e32 v14, 0x80000000, v14
	s_delay_alu instid0(VALU_DEP_1) | instskip(NEXT) | instid1(VALU_DEP_1)
	v_or3_b32 v5, v5, v14, v13
	v_dual_mov_b32 v14, v6 :: v_dual_mov_b32 v13, v5
.LBB255_335:                            ;   in Loop: Header=BB255_294 Depth=1
	s_or_b32 exec_lo, exec_lo, s20
.LBB255_336:                            ;   in Loop: Header=BB255_294 Depth=1
	s_delay_alu instid0(SALU_CYCLE_1)
	s_or_b32 exec_lo, exec_lo, s18
.LBB255_337:                            ;   in Loop: Header=BB255_294 Depth=1
	s_delay_alu instid0(SALU_CYCLE_1) | instskip(SKIP_2) | instid1(VALU_DEP_1)
	s_or_b32 exec_lo, exec_lo, s2
	v_lshrrev_b16 v5, 8, v45
	s_mov_b32 s18, exec_lo
	v_cmpx_ne_u16_e32 0, v5
	s_cbranch_execz .LBB255_345
; %bb.338:                              ;   in Loop: Header=BB255_294 Depth=1
	v_dual_mov_b32 v16, s9 :: v_dual_mov_b32 v15, s8
	s_mov_b32 s20, exec_lo
	v_cmpx_ne_u16_e32 0x80, v5
	s_cbranch_execz .LBB255_344
; %bb.339:                              ;   in Loop: Header=BB255_294 Depth=1
	s_mov_b32 s2, s8
	v_dual_mov_b32 v16, s3 :: v_dual_and_b32 v5, 0xffff, v5
	v_mov_b32_e32 v15, s2
	s_mov_b32 s2, exec_lo
	s_delay_alu instid0(VALU_DEP_2) | instskip(NEXT) | instid1(VALU_DEP_1)
	v_and_b32_e32 v17, 0x7f, v5
	v_cmpx_ne_u32_e32 0x7f, v17
	s_cbranch_execz .LBB255_343
; %bb.340:                              ;   in Loop: Header=BB255_294 Depth=1
	v_and_b32_e32 v5, 7, v5
	v_lshrrev_b32_e32 v15, 3, v17
	s_mov_b32 s21, exec_lo
	v_cmpx_gt_u32_e32 8, v17
; %bb.341:                              ;   in Loop: Header=BB255_294 Depth=1
	s_delay_alu instid0(VALU_DEP_3) | instskip(NEXT) | instid1(VALU_DEP_1)
	v_clz_i32_u32_e32 v15, v5
	v_min_u32_e32 v15, 32, v15
	s_delay_alu instid0(VALU_DEP_1) | instskip(SKIP_1) | instid1(VALU_DEP_2)
	v_subrev_nc_u32_e32 v16, 28, v15
	v_sub_nc_u32_e32 v15, 29, v15
	v_lshlrev_b64 v[16:17], v16, v[5:6]
	s_delay_alu instid0(VALU_DEP_1)
	v_and_b32_e32 v5, 7, v16
; %bb.342:                              ;   in Loop: Header=BB255_294 Depth=1
	s_or_b32 exec_lo, exec_lo, s21
	v_lshlrev_b32_e32 v16, 16, v45
	s_delay_alu instid0(VALU_DEP_2) | instskip(SKIP_1) | instid1(VALU_DEP_3)
	v_lshlrev_b32_e32 v5, 20, v5
	v_lshl_add_u32 v15, v15, 23, 0x3c000000
	v_and_b32_e32 v16, 0x80000000, v16
	s_delay_alu instid0(VALU_DEP_1)
	v_or3_b32 v16, v5, v16, v15
	v_mov_b32_e32 v15, v6
.LBB255_343:                            ;   in Loop: Header=BB255_294 Depth=1
	s_or_b32 exec_lo, exec_lo, s2
.LBB255_344:                            ;   in Loop: Header=BB255_294 Depth=1
	s_delay_alu instid0(SALU_CYCLE_1)
	s_or_b32 exec_lo, exec_lo, s20
.LBB255_345:                            ;   in Loop: Header=BB255_294 Depth=1
	s_delay_alu instid0(SALU_CYCLE_1) | instskip(SKIP_4) | instid1(VALU_DEP_2)
	s_or_b32 exec_lo, exec_lo, s18
	v_mov_b32_e32 v19, 0
	v_lshrrev_b32_e32 v46, 16, v45
	v_mov_b32_e32 v20, 0
	s_mov_b32 s2, exec_lo
	v_and_b32_e32 v5, 0xff, v46
	s_delay_alu instid0(VALU_DEP_2) | instskip(NEXT) | instid1(VALU_DEP_2)
	v_dual_mov_b32 v17, v19 :: v_dual_mov_b32 v18, v20
	v_cmpx_ne_u16_e32 0, v5
	s_cbranch_execz .LBB255_353
; %bb.346:                              ;   in Loop: Header=BB255_294 Depth=1
	v_bfrev_b32_e32 v17, 1
	v_mov_b32_e32 v18, 0
	s_mov_b32 s18, exec_lo
	v_cmpx_ne_u16_e32 0x80, v5
	s_cbranch_execz .LBB255_352
; %bb.347:                              ;   in Loop: Header=BB255_294 Depth=1
	v_mov_b32_e32 v17, 0x7f800001
	v_bfe_u32 v47, v45, 16, 7
	v_mov_b32_e32 v18, 0
	s_mov_b32 s20, exec_lo
	s_delay_alu instid0(VALU_DEP_2)
	v_cmpx_ne_u32_e32 0x7f, v47
	s_cbranch_execz .LBB255_351
; %bb.348:                              ;   in Loop: Header=BB255_294 Depth=1
	v_and_b32_e32 v5, 7, v46
	v_lshrrev_b32_e32 v17, 3, v47
	s_mov_b32 s21, exec_lo
	v_cmpx_gt_u32_e32 8, v47
; %bb.349:                              ;   in Loop: Header=BB255_294 Depth=1
	s_delay_alu instid0(VALU_DEP_3) | instskip(NEXT) | instid1(VALU_DEP_1)
	v_clz_i32_u32_e32 v17, v5
	v_min_u32_e32 v17, 32, v17
	s_delay_alu instid0(VALU_DEP_1) | instskip(SKIP_1) | instid1(VALU_DEP_2)
	v_subrev_nc_u32_e32 v18, 28, v17
	v_sub_nc_u32_e32 v17, 29, v17
	v_lshlrev_b64 v[47:48], v18, v[5:6]
	s_delay_alu instid0(VALU_DEP_1)
	v_and_b32_e32 v5, 7, v47
; %bb.350:                              ;   in Loop: Header=BB255_294 Depth=1
	s_or_b32 exec_lo, exec_lo, s21
	v_lshlrev_b32_e32 v18, 24, v46
	s_delay_alu instid0(VALU_DEP_2) | instskip(SKIP_1) | instid1(VALU_DEP_3)
	v_lshlrev_b32_e32 v5, 20, v5
	v_lshl_add_u32 v17, v17, 23, 0x3c000000
	v_and_b32_e32 v18, 0x80000000, v18
	s_delay_alu instid0(VALU_DEP_1) | instskip(NEXT) | instid1(VALU_DEP_1)
	v_or3_b32 v5, v5, v18, v17
	v_dual_mov_b32 v18, v6 :: v_dual_mov_b32 v17, v5
.LBB255_351:                            ;   in Loop: Header=BB255_294 Depth=1
	s_or_b32 exec_lo, exec_lo, s20
.LBB255_352:                            ;   in Loop: Header=BB255_294 Depth=1
	s_delay_alu instid0(SALU_CYCLE_1)
	s_or_b32 exec_lo, exec_lo, s18
.LBB255_353:                            ;   in Loop: Header=BB255_294 Depth=1
	s_delay_alu instid0(SALU_CYCLE_1) | instskip(NEXT) | instid1(SALU_CYCLE_1)
	s_or_b32 exec_lo, exec_lo, s2
	s_mov_b32 s18, exec_lo
	v_cmpx_lt_u32_e32 0xffffff, v45
	s_cbranch_execz .LBB255_361
; %bb.354:                              ;   in Loop: Header=BB255_294 Depth=1
	v_lshrrev_b32_e32 v46, 24, v45
	v_dual_mov_b32 v20, s9 :: v_dual_mov_b32 v19, s8
	s_mov_b32 s20, exec_lo
	s_delay_alu instid0(VALU_DEP_2)
	v_cmpx_ne_u32_e32 0x80, v46
	s_cbranch_execz .LBB255_360
; %bb.355:                              ;   in Loop: Header=BB255_294 Depth=1
	s_mov_b32 s2, s8
	v_bfe_u32 v45, v45, 24, 7
	v_dual_mov_b32 v20, s3 :: v_dual_mov_b32 v19, s2
	s_mov_b32 s2, exec_lo
	s_delay_alu instid0(VALU_DEP_2)
	v_cmpx_ne_u32_e32 0x7f, v45
	s_cbranch_execz .LBB255_359
; %bb.356:                              ;   in Loop: Header=BB255_294 Depth=1
	v_and_b32_e32 v5, 7, v46
	v_lshrrev_b32_e32 v19, 3, v45
	s_mov_b32 s21, exec_lo
	v_cmpx_gt_u32_e32 8, v45
; %bb.357:                              ;   in Loop: Header=BB255_294 Depth=1
	s_delay_alu instid0(VALU_DEP_3) | instskip(NEXT) | instid1(VALU_DEP_1)
	v_clz_i32_u32_e32 v19, v5
	v_min_u32_e32 v19, 32, v19
	s_delay_alu instid0(VALU_DEP_1) | instskip(SKIP_1) | instid1(VALU_DEP_2)
	v_subrev_nc_u32_e32 v20, 28, v19
	v_sub_nc_u32_e32 v19, 29, v19
	v_lshlrev_b64 v[47:48], v20, v[5:6]
	s_delay_alu instid0(VALU_DEP_1)
	v_and_b32_e32 v5, 7, v47
; %bb.358:                              ;   in Loop: Header=BB255_294 Depth=1
	s_or_b32 exec_lo, exec_lo, s21
	v_lshlrev_b32_e32 v20, 24, v46
	s_delay_alu instid0(VALU_DEP_2) | instskip(SKIP_1) | instid1(VALU_DEP_3)
	v_lshlrev_b32_e32 v5, 20, v5
	v_lshl_add_u32 v19, v19, 23, 0x3c000000
	v_and_b32_e32 v20, 0x80000000, v20
	s_delay_alu instid0(VALU_DEP_1)
	v_or3_b32 v20, v5, v20, v19
	v_mov_b32_e32 v19, v6
.LBB255_359:                            ;   in Loop: Header=BB255_294 Depth=1
	s_or_b32 exec_lo, exec_lo, s2
.LBB255_360:                            ;   in Loop: Header=BB255_294 Depth=1
	s_delay_alu instid0(SALU_CYCLE_1)
	s_or_b32 exec_lo, exec_lo, s20
.LBB255_361:                            ;   in Loop: Header=BB255_294 Depth=1
	s_delay_alu instid0(SALU_CYCLE_1)
	s_or_b32 exec_lo, exec_lo, s18
	v_or_b32_e32 v5, v16, v14
	v_or_b32_e32 v13, v15, v13
	;; [unrolled: 1-line block ×4, first 2 shown]
	s_mov_b32 s18, s17
	s_delay_alu instid0(VALU_DEP_2) | instid1(SALU_CYCLE_1)
	v_dual_mul_f32 v48, s18, v5 :: v_dual_mul_f32 v45, s18, v14
	s_delay_alu instid0(VALU_DEP_2)
	v_dual_mul_f32 v47, s17, v13 :: v_dual_mul_f32 v46, s17, v15
	s_and_saveexec_b32 s2, vcc_lo
; %bb.362:                              ;   in Loop: Header=BB255_294 Depth=1
	v_cmp_gt_i32_e64 s0, s33, v41
	s_delay_alu instid0(VALU_DEP_1) | instskip(SKIP_1) | instid1(VALU_DEP_1)
	v_cndmask_b32_e64 v47, 0, v47, s0
	v_cmp_gt_i32_e64 s0, s33, v44
	v_cndmask_b32_e64 v48, 0, v48, s0
	v_cmp_gt_i32_e64 s0, s33, v43
	s_delay_alu instid0(VALU_DEP_1) | instskip(SKIP_1) | instid1(VALU_DEP_1)
	v_cndmask_b32_e64 v46, 0, v46, s0
	v_cmp_gt_i32_e64 s0, s33, v42
	v_cndmask_b32_e64 v45, 0, v45, s0
; %bb.363:                              ;   in Loop: Header=BB255_294 Depth=1
	s_or_b32 exec_lo, exec_lo, s2
	global_load_b32 v49, v[11:12], off offset:256
	v_mov_b32_e32 v15, 0
	v_mov_b32_e32 v16, 0
	s_mov_b32 s2, exec_lo
	s_waitcnt vmcnt(0)
	v_and_b32_e32 v5, 0xff, v49
	s_delay_alu instid0(VALU_DEP_2) | instskip(NEXT) | instid1(VALU_DEP_2)
	v_dual_mov_b32 v13, v15 :: v_dual_mov_b32 v14, v16
	v_cmpx_ne_u16_e32 0, v5
	s_cbranch_execz .LBB255_371
; %bb.364:                              ;   in Loop: Header=BB255_294 Depth=1
	v_bfrev_b32_e32 v13, 1
	v_mov_b32_e32 v14, 0
	s_mov_b32 s20, exec_lo
	v_cmpx_ne_u16_e32 0x80, v5
	s_cbranch_execz .LBB255_370
; %bb.365:                              ;   in Loop: Header=BB255_294 Depth=1
	v_mov_b32_e32 v13, 0x7f800001
	v_dual_mov_b32 v14, 0 :: v_dual_and_b32 v17, 0x7f, v49
	s_mov_b32 s21, exec_lo
	s_delay_alu instid0(VALU_DEP_1)
	v_cmpx_ne_u32_e32 0x7f, v17
	s_cbranch_execz .LBB255_369
; %bb.366:                              ;   in Loop: Header=BB255_294 Depth=1
	v_and_b32_e32 v5, 7, v49
	v_lshrrev_b32_e32 v13, 3, v17
	s_mov_b32 s22, exec_lo
	v_cmpx_gt_u32_e32 8, v17
; %bb.367:                              ;   in Loop: Header=BB255_294 Depth=1
	s_delay_alu instid0(VALU_DEP_3) | instskip(NEXT) | instid1(VALU_DEP_1)
	v_clz_i32_u32_e32 v13, v5
	v_min_u32_e32 v13, 32, v13
	s_delay_alu instid0(VALU_DEP_1) | instskip(SKIP_1) | instid1(VALU_DEP_2)
	v_subrev_nc_u32_e32 v14, 28, v13
	v_sub_nc_u32_e32 v13, 29, v13
	v_lshlrev_b64 v[17:18], v14, v[5:6]
	s_delay_alu instid0(VALU_DEP_1)
	v_and_b32_e32 v5, 7, v17
; %bb.368:                              ;   in Loop: Header=BB255_294 Depth=1
	s_or_b32 exec_lo, exec_lo, s22
	v_lshlrev_b32_e32 v14, 24, v49
	s_delay_alu instid0(VALU_DEP_2) | instskip(SKIP_1) | instid1(VALU_DEP_3)
	v_lshlrev_b32_e32 v5, 20, v5
	v_lshl_add_u32 v13, v13, 23, 0x3c000000
	v_and_b32_e32 v14, 0x80000000, v14
	s_delay_alu instid0(VALU_DEP_1) | instskip(NEXT) | instid1(VALU_DEP_1)
	v_or3_b32 v5, v5, v14, v13
	v_dual_mov_b32 v14, v6 :: v_dual_mov_b32 v13, v5
.LBB255_369:                            ;   in Loop: Header=BB255_294 Depth=1
	s_or_b32 exec_lo, exec_lo, s21
.LBB255_370:                            ;   in Loop: Header=BB255_294 Depth=1
	s_delay_alu instid0(SALU_CYCLE_1)
	s_or_b32 exec_lo, exec_lo, s20
.LBB255_371:                            ;   in Loop: Header=BB255_294 Depth=1
	s_delay_alu instid0(SALU_CYCLE_1) | instskip(SKIP_2) | instid1(VALU_DEP_1)
	s_or_b32 exec_lo, exec_lo, s2
	v_lshrrev_b16 v5, 8, v49
	s_mov_b32 s20, exec_lo
	v_cmpx_ne_u16_e32 0, v5
	s_cbranch_execz .LBB255_379
; %bb.372:                              ;   in Loop: Header=BB255_294 Depth=1
	v_dual_mov_b32 v16, s9 :: v_dual_mov_b32 v15, s8
	s_mov_b32 s21, exec_lo
	v_cmpx_ne_u16_e32 0x80, v5
	s_cbranch_execz .LBB255_378
; %bb.373:                              ;   in Loop: Header=BB255_294 Depth=1
	s_mov_b32 s2, s8
	v_dual_mov_b32 v16, s3 :: v_dual_and_b32 v5, 0xffff, v5
	v_mov_b32_e32 v15, s2
	s_mov_b32 s2, exec_lo
	s_delay_alu instid0(VALU_DEP_2) | instskip(NEXT) | instid1(VALU_DEP_1)
	v_and_b32_e32 v17, 0x7f, v5
	v_cmpx_ne_u32_e32 0x7f, v17
	s_cbranch_execz .LBB255_377
; %bb.374:                              ;   in Loop: Header=BB255_294 Depth=1
	v_and_b32_e32 v5, 7, v5
	v_lshrrev_b32_e32 v15, 3, v17
	s_mov_b32 s22, exec_lo
	v_cmpx_gt_u32_e32 8, v17
; %bb.375:                              ;   in Loop: Header=BB255_294 Depth=1
	s_delay_alu instid0(VALU_DEP_3) | instskip(NEXT) | instid1(VALU_DEP_1)
	v_clz_i32_u32_e32 v15, v5
	v_min_u32_e32 v15, 32, v15
	s_delay_alu instid0(VALU_DEP_1) | instskip(SKIP_1) | instid1(VALU_DEP_2)
	v_subrev_nc_u32_e32 v16, 28, v15
	v_sub_nc_u32_e32 v15, 29, v15
	v_lshlrev_b64 v[16:17], v16, v[5:6]
	s_delay_alu instid0(VALU_DEP_1)
	v_and_b32_e32 v5, 7, v16
; %bb.376:                              ;   in Loop: Header=BB255_294 Depth=1
	s_or_b32 exec_lo, exec_lo, s22
	v_lshlrev_b32_e32 v16, 16, v49
	s_delay_alu instid0(VALU_DEP_2) | instskip(SKIP_1) | instid1(VALU_DEP_3)
	v_lshlrev_b32_e32 v5, 20, v5
	v_lshl_add_u32 v15, v15, 23, 0x3c000000
	v_and_b32_e32 v16, 0x80000000, v16
	s_delay_alu instid0(VALU_DEP_1)
	v_or3_b32 v16, v5, v16, v15
	v_mov_b32_e32 v15, v6
.LBB255_377:                            ;   in Loop: Header=BB255_294 Depth=1
	s_or_b32 exec_lo, exec_lo, s2
.LBB255_378:                            ;   in Loop: Header=BB255_294 Depth=1
	s_delay_alu instid0(SALU_CYCLE_1)
	s_or_b32 exec_lo, exec_lo, s21
.LBB255_379:                            ;   in Loop: Header=BB255_294 Depth=1
	s_delay_alu instid0(SALU_CYCLE_1) | instskip(SKIP_4) | instid1(VALU_DEP_2)
	s_or_b32 exec_lo, exec_lo, s20
	v_mov_b32_e32 v19, 0
	v_lshrrev_b32_e32 v50, 16, v49
	v_mov_b32_e32 v20, 0
	s_mov_b32 s2, exec_lo
	v_and_b32_e32 v5, 0xff, v50
	s_delay_alu instid0(VALU_DEP_2) | instskip(NEXT) | instid1(VALU_DEP_2)
	v_dual_mov_b32 v17, v19 :: v_dual_mov_b32 v18, v20
	v_cmpx_ne_u16_e32 0, v5
	s_cbranch_execz .LBB255_387
; %bb.380:                              ;   in Loop: Header=BB255_294 Depth=1
	v_bfrev_b32_e32 v17, 1
	v_mov_b32_e32 v18, 0
	s_mov_b32 s20, exec_lo
	v_cmpx_ne_u16_e32 0x80, v5
	s_cbranch_execz .LBB255_386
; %bb.381:                              ;   in Loop: Header=BB255_294 Depth=1
	v_mov_b32_e32 v17, 0x7f800001
	v_bfe_u32 v51, v49, 16, 7
	v_mov_b32_e32 v18, 0
	s_mov_b32 s21, exec_lo
	s_delay_alu instid0(VALU_DEP_2)
	v_cmpx_ne_u32_e32 0x7f, v51
	s_cbranch_execz .LBB255_385
; %bb.382:                              ;   in Loop: Header=BB255_294 Depth=1
	v_and_b32_e32 v5, 7, v50
	v_lshrrev_b32_e32 v17, 3, v51
	s_mov_b32 s22, exec_lo
	v_cmpx_gt_u32_e32 8, v51
; %bb.383:                              ;   in Loop: Header=BB255_294 Depth=1
	s_delay_alu instid0(VALU_DEP_3) | instskip(NEXT) | instid1(VALU_DEP_1)
	v_clz_i32_u32_e32 v17, v5
	v_min_u32_e32 v17, 32, v17
	s_delay_alu instid0(VALU_DEP_1) | instskip(SKIP_1) | instid1(VALU_DEP_2)
	v_subrev_nc_u32_e32 v18, 28, v17
	v_sub_nc_u32_e32 v17, 29, v17
	v_lshlrev_b64 v[51:52], v18, v[5:6]
	s_delay_alu instid0(VALU_DEP_1)
	v_and_b32_e32 v5, 7, v51
; %bb.384:                              ;   in Loop: Header=BB255_294 Depth=1
	s_or_b32 exec_lo, exec_lo, s22
	v_lshlrev_b32_e32 v18, 24, v50
	s_delay_alu instid0(VALU_DEP_2) | instskip(SKIP_1) | instid1(VALU_DEP_3)
	v_lshlrev_b32_e32 v5, 20, v5
	v_lshl_add_u32 v17, v17, 23, 0x3c000000
	v_and_b32_e32 v18, 0x80000000, v18
	s_delay_alu instid0(VALU_DEP_1) | instskip(NEXT) | instid1(VALU_DEP_1)
	v_or3_b32 v5, v5, v18, v17
	v_dual_mov_b32 v18, v6 :: v_dual_mov_b32 v17, v5
.LBB255_385:                            ;   in Loop: Header=BB255_294 Depth=1
	s_or_b32 exec_lo, exec_lo, s21
.LBB255_386:                            ;   in Loop: Header=BB255_294 Depth=1
	s_delay_alu instid0(SALU_CYCLE_1)
	s_or_b32 exec_lo, exec_lo, s20
.LBB255_387:                            ;   in Loop: Header=BB255_294 Depth=1
	s_delay_alu instid0(SALU_CYCLE_1) | instskip(NEXT) | instid1(SALU_CYCLE_1)
	s_or_b32 exec_lo, exec_lo, s2
	s_mov_b32 s20, exec_lo
	v_cmpx_lt_u32_e32 0xffffff, v49
	s_cbranch_execz .LBB255_395
; %bb.388:                              ;   in Loop: Header=BB255_294 Depth=1
	v_lshrrev_b32_e32 v50, 24, v49
	v_dual_mov_b32 v20, s9 :: v_dual_mov_b32 v19, s8
	s_mov_b32 s21, exec_lo
	s_delay_alu instid0(VALU_DEP_2)
	v_cmpx_ne_u32_e32 0x80, v50
	s_cbranch_execz .LBB255_394
; %bb.389:                              ;   in Loop: Header=BB255_294 Depth=1
	s_mov_b32 s2, s8
	v_bfe_u32 v49, v49, 24, 7
	v_dual_mov_b32 v20, s3 :: v_dual_mov_b32 v19, s2
	s_mov_b32 s2, exec_lo
	s_delay_alu instid0(VALU_DEP_2)
	v_cmpx_ne_u32_e32 0x7f, v49
	s_cbranch_execz .LBB255_393
; %bb.390:                              ;   in Loop: Header=BB255_294 Depth=1
	v_and_b32_e32 v5, 7, v50
	v_lshrrev_b32_e32 v19, 3, v49
	s_mov_b32 s22, exec_lo
	v_cmpx_gt_u32_e32 8, v49
; %bb.391:                              ;   in Loop: Header=BB255_294 Depth=1
	s_delay_alu instid0(VALU_DEP_3) | instskip(NEXT) | instid1(VALU_DEP_1)
	v_clz_i32_u32_e32 v19, v5
	v_min_u32_e32 v19, 32, v19
	s_delay_alu instid0(VALU_DEP_1) | instskip(SKIP_1) | instid1(VALU_DEP_2)
	v_subrev_nc_u32_e32 v20, 28, v19
	v_sub_nc_u32_e32 v19, 29, v19
	v_lshlrev_b64 v[51:52], v20, v[5:6]
	s_delay_alu instid0(VALU_DEP_1)
	v_and_b32_e32 v5, 7, v51
; %bb.392:                              ;   in Loop: Header=BB255_294 Depth=1
	s_or_b32 exec_lo, exec_lo, s22
	v_lshlrev_b32_e32 v20, 24, v50
	s_delay_alu instid0(VALU_DEP_2) | instskip(SKIP_1) | instid1(VALU_DEP_3)
	v_lshlrev_b32_e32 v5, 20, v5
	v_lshl_add_u32 v19, v19, 23, 0x3c000000
	v_and_b32_e32 v20, 0x80000000, v20
	s_delay_alu instid0(VALU_DEP_1)
	v_or3_b32 v20, v5, v20, v19
	v_mov_b32_e32 v19, v6
.LBB255_393:                            ;   in Loop: Header=BB255_294 Depth=1
	s_or_b32 exec_lo, exec_lo, s2
.LBB255_394:                            ;   in Loop: Header=BB255_294 Depth=1
	s_delay_alu instid0(SALU_CYCLE_1)
	s_or_b32 exec_lo, exec_lo, s21
.LBB255_395:                            ;   in Loop: Header=BB255_294 Depth=1
	s_delay_alu instid0(SALU_CYCLE_1) | instskip(SKIP_4) | instid1(VALU_DEP_4)
	s_or_b32 exec_lo, exec_lo, s20
	v_or_b32_e32 v5, v16, v14
	v_or_b32_e32 v13, v15, v13
	;; [unrolled: 1-line block ×4, first 2 shown]
	v_mul_f32_e32 v52, s18, v5
	s_delay_alu instid0(VALU_DEP_4) | instskip(NEXT) | instid1(VALU_DEP_3)
	v_mul_f32_e32 v51, s17, v13
	v_dual_mul_f32 v49, s18, v14 :: v_dual_mul_f32 v50, s17, v15
	s_and_saveexec_b32 s2, vcc_lo
; %bb.396:                              ;   in Loop: Header=BB255_294 Depth=1
	v_cmp_gt_i32_e64 s0, s33, v41
	s_delay_alu instid0(VALU_DEP_1) | instskip(SKIP_1) | instid1(VALU_DEP_1)
	v_cndmask_b32_e64 v51, 0, v51, s0
	v_cmp_gt_i32_e64 s0, s33, v44
	v_cndmask_b32_e64 v52, 0, v52, s0
	v_cmp_gt_i32_e64 s0, s33, v43
	s_delay_alu instid0(VALU_DEP_1) | instskip(SKIP_1) | instid1(VALU_DEP_1)
	v_cndmask_b32_e64 v50, 0, v50, s0
	v_cmp_gt_i32_e64 s0, s33, v42
	v_cndmask_b32_e64 v49, 0, v49, s0
; %bb.397:                              ;   in Loop: Header=BB255_294 Depth=1
	s_or_b32 exec_lo, exec_lo, s2
	global_load_b32 v53, v[11:12], off offset:384
	v_mov_b32_e32 v15, 0
	v_mov_b32_e32 v16, 0
	s_mov_b32 s2, exec_lo
	s_waitcnt vmcnt(0)
	v_and_b32_e32 v5, 0xff, v53
	s_delay_alu instid0(VALU_DEP_2) | instskip(NEXT) | instid1(VALU_DEP_2)
	v_dual_mov_b32 v13, v15 :: v_dual_mov_b32 v14, v16
	v_cmpx_ne_u16_e32 0, v5
	s_cbranch_execz .LBB255_405
; %bb.398:                              ;   in Loop: Header=BB255_294 Depth=1
	v_bfrev_b32_e32 v13, 1
	v_mov_b32_e32 v14, 0
	s_mov_b32 s20, exec_lo
	v_cmpx_ne_u16_e32 0x80, v5
	s_cbranch_execz .LBB255_404
; %bb.399:                              ;   in Loop: Header=BB255_294 Depth=1
	v_mov_b32_e32 v13, 0x7f800001
	v_dual_mov_b32 v14, 0 :: v_dual_and_b32 v17, 0x7f, v53
	s_mov_b32 s21, exec_lo
	s_delay_alu instid0(VALU_DEP_1)
	v_cmpx_ne_u32_e32 0x7f, v17
	s_cbranch_execz .LBB255_403
; %bb.400:                              ;   in Loop: Header=BB255_294 Depth=1
	v_and_b32_e32 v5, 7, v53
	v_lshrrev_b32_e32 v13, 3, v17
	s_mov_b32 s22, exec_lo
	v_cmpx_gt_u32_e32 8, v17
; %bb.401:                              ;   in Loop: Header=BB255_294 Depth=1
	s_delay_alu instid0(VALU_DEP_3) | instskip(NEXT) | instid1(VALU_DEP_1)
	v_clz_i32_u32_e32 v13, v5
	v_min_u32_e32 v13, 32, v13
	s_delay_alu instid0(VALU_DEP_1) | instskip(SKIP_1) | instid1(VALU_DEP_2)
	v_subrev_nc_u32_e32 v14, 28, v13
	v_sub_nc_u32_e32 v13, 29, v13
	v_lshlrev_b64 v[17:18], v14, v[5:6]
	s_delay_alu instid0(VALU_DEP_1)
	v_and_b32_e32 v5, 7, v17
; %bb.402:                              ;   in Loop: Header=BB255_294 Depth=1
	s_or_b32 exec_lo, exec_lo, s22
	v_lshlrev_b32_e32 v14, 24, v53
	s_delay_alu instid0(VALU_DEP_2) | instskip(SKIP_1) | instid1(VALU_DEP_3)
	v_lshlrev_b32_e32 v5, 20, v5
	v_lshl_add_u32 v13, v13, 23, 0x3c000000
	v_and_b32_e32 v14, 0x80000000, v14
	s_delay_alu instid0(VALU_DEP_1) | instskip(NEXT) | instid1(VALU_DEP_1)
	v_or3_b32 v5, v5, v14, v13
	v_dual_mov_b32 v14, v6 :: v_dual_mov_b32 v13, v5
.LBB255_403:                            ;   in Loop: Header=BB255_294 Depth=1
	s_or_b32 exec_lo, exec_lo, s21
.LBB255_404:                            ;   in Loop: Header=BB255_294 Depth=1
	s_delay_alu instid0(SALU_CYCLE_1)
	s_or_b32 exec_lo, exec_lo, s20
.LBB255_405:                            ;   in Loop: Header=BB255_294 Depth=1
	s_delay_alu instid0(SALU_CYCLE_1) | instskip(SKIP_2) | instid1(VALU_DEP_1)
	s_or_b32 exec_lo, exec_lo, s2
	v_lshrrev_b16 v5, 8, v53
	s_mov_b32 s20, exec_lo
	v_cmpx_ne_u16_e32 0, v5
	s_cbranch_execz .LBB255_413
; %bb.406:                              ;   in Loop: Header=BB255_294 Depth=1
	v_dual_mov_b32 v16, s9 :: v_dual_mov_b32 v15, s8
	s_mov_b32 s21, exec_lo
	v_cmpx_ne_u16_e32 0x80, v5
	s_cbranch_execz .LBB255_412
; %bb.407:                              ;   in Loop: Header=BB255_294 Depth=1
	s_mov_b32 s2, s8
	v_dual_mov_b32 v16, s3 :: v_dual_and_b32 v5, 0xffff, v5
	v_mov_b32_e32 v15, s2
	s_mov_b32 s2, exec_lo
	s_delay_alu instid0(VALU_DEP_2) | instskip(NEXT) | instid1(VALU_DEP_1)
	v_and_b32_e32 v17, 0x7f, v5
	v_cmpx_ne_u32_e32 0x7f, v17
	s_cbranch_execz .LBB255_411
; %bb.408:                              ;   in Loop: Header=BB255_294 Depth=1
	v_and_b32_e32 v5, 7, v5
	v_lshrrev_b32_e32 v15, 3, v17
	s_mov_b32 s22, exec_lo
	v_cmpx_gt_u32_e32 8, v17
; %bb.409:                              ;   in Loop: Header=BB255_294 Depth=1
	s_delay_alu instid0(VALU_DEP_3) | instskip(NEXT) | instid1(VALU_DEP_1)
	v_clz_i32_u32_e32 v15, v5
	v_min_u32_e32 v15, 32, v15
	s_delay_alu instid0(VALU_DEP_1) | instskip(SKIP_1) | instid1(VALU_DEP_2)
	v_subrev_nc_u32_e32 v16, 28, v15
	v_sub_nc_u32_e32 v15, 29, v15
	v_lshlrev_b64 v[16:17], v16, v[5:6]
	s_delay_alu instid0(VALU_DEP_1)
	v_and_b32_e32 v5, 7, v16
; %bb.410:                              ;   in Loop: Header=BB255_294 Depth=1
	s_or_b32 exec_lo, exec_lo, s22
	v_lshlrev_b32_e32 v16, 16, v53
	s_delay_alu instid0(VALU_DEP_2) | instskip(SKIP_1) | instid1(VALU_DEP_3)
	v_lshlrev_b32_e32 v5, 20, v5
	v_lshl_add_u32 v15, v15, 23, 0x3c000000
	v_and_b32_e32 v16, 0x80000000, v16
	s_delay_alu instid0(VALU_DEP_1)
	v_or3_b32 v16, v5, v16, v15
	v_mov_b32_e32 v15, v6
.LBB255_411:                            ;   in Loop: Header=BB255_294 Depth=1
	s_or_b32 exec_lo, exec_lo, s2
.LBB255_412:                            ;   in Loop: Header=BB255_294 Depth=1
	s_delay_alu instid0(SALU_CYCLE_1)
	s_or_b32 exec_lo, exec_lo, s21
.LBB255_413:                            ;   in Loop: Header=BB255_294 Depth=1
	s_delay_alu instid0(SALU_CYCLE_1) | instskip(SKIP_4) | instid1(VALU_DEP_2)
	s_or_b32 exec_lo, exec_lo, s20
	v_mov_b32_e32 v19, 0
	v_lshrrev_b32_e32 v54, 16, v53
	v_mov_b32_e32 v20, 0
	s_mov_b32 s2, exec_lo
	v_and_b32_e32 v5, 0xff, v54
	s_delay_alu instid0(VALU_DEP_2) | instskip(NEXT) | instid1(VALU_DEP_2)
	v_dual_mov_b32 v17, v19 :: v_dual_mov_b32 v18, v20
	v_cmpx_ne_u16_e32 0, v5
	s_cbranch_execz .LBB255_421
; %bb.414:                              ;   in Loop: Header=BB255_294 Depth=1
	v_bfrev_b32_e32 v17, 1
	v_mov_b32_e32 v18, 0
	s_mov_b32 s20, exec_lo
	v_cmpx_ne_u16_e32 0x80, v5
	s_cbranch_execz .LBB255_420
; %bb.415:                              ;   in Loop: Header=BB255_294 Depth=1
	v_mov_b32_e32 v17, 0x7f800001
	v_bfe_u32 v55, v53, 16, 7
	v_mov_b32_e32 v18, 0
	s_mov_b32 s21, exec_lo
	s_delay_alu instid0(VALU_DEP_2)
	v_cmpx_ne_u32_e32 0x7f, v55
	s_cbranch_execz .LBB255_419
; %bb.416:                              ;   in Loop: Header=BB255_294 Depth=1
	v_and_b32_e32 v5, 7, v54
	v_lshrrev_b32_e32 v17, 3, v55
	s_mov_b32 s22, exec_lo
	v_cmpx_gt_u32_e32 8, v55
; %bb.417:                              ;   in Loop: Header=BB255_294 Depth=1
	s_delay_alu instid0(VALU_DEP_3) | instskip(NEXT) | instid1(VALU_DEP_1)
	v_clz_i32_u32_e32 v17, v5
	v_min_u32_e32 v17, 32, v17
	s_delay_alu instid0(VALU_DEP_1) | instskip(SKIP_1) | instid1(VALU_DEP_2)
	v_subrev_nc_u32_e32 v18, 28, v17
	v_sub_nc_u32_e32 v17, 29, v17
	v_lshlrev_b64 v[55:56], v18, v[5:6]
	s_delay_alu instid0(VALU_DEP_1)
	v_and_b32_e32 v5, 7, v55
; %bb.418:                              ;   in Loop: Header=BB255_294 Depth=1
	s_or_b32 exec_lo, exec_lo, s22
	v_lshlrev_b32_e32 v18, 24, v54
	s_delay_alu instid0(VALU_DEP_2) | instskip(SKIP_1) | instid1(VALU_DEP_3)
	v_lshlrev_b32_e32 v5, 20, v5
	v_lshl_add_u32 v17, v17, 23, 0x3c000000
	v_and_b32_e32 v18, 0x80000000, v18
	s_delay_alu instid0(VALU_DEP_1) | instskip(NEXT) | instid1(VALU_DEP_1)
	v_or3_b32 v5, v5, v18, v17
	v_dual_mov_b32 v18, v6 :: v_dual_mov_b32 v17, v5
.LBB255_419:                            ;   in Loop: Header=BB255_294 Depth=1
	s_or_b32 exec_lo, exec_lo, s21
.LBB255_420:                            ;   in Loop: Header=BB255_294 Depth=1
	s_delay_alu instid0(SALU_CYCLE_1)
	s_or_b32 exec_lo, exec_lo, s20
.LBB255_421:                            ;   in Loop: Header=BB255_294 Depth=1
	s_delay_alu instid0(SALU_CYCLE_1) | instskip(NEXT) | instid1(SALU_CYCLE_1)
	s_or_b32 exec_lo, exec_lo, s2
	s_mov_b32 s20, exec_lo
	v_cmpx_lt_u32_e32 0xffffff, v53
	s_cbranch_execz .LBB255_429
; %bb.422:                              ;   in Loop: Header=BB255_294 Depth=1
	v_lshrrev_b32_e32 v54, 24, v53
	v_dual_mov_b32 v20, s9 :: v_dual_mov_b32 v19, s8
	s_mov_b32 s21, exec_lo
	s_delay_alu instid0(VALU_DEP_2)
	v_cmpx_ne_u32_e32 0x80, v54
	s_cbranch_execz .LBB255_428
; %bb.423:                              ;   in Loop: Header=BB255_294 Depth=1
	s_mov_b32 s2, s8
	v_bfe_u32 v53, v53, 24, 7
	v_dual_mov_b32 v20, s3 :: v_dual_mov_b32 v19, s2
	s_mov_b32 s2, exec_lo
	s_delay_alu instid0(VALU_DEP_2)
	v_cmpx_ne_u32_e32 0x7f, v53
	s_cbranch_execz .LBB255_427
; %bb.424:                              ;   in Loop: Header=BB255_294 Depth=1
	v_and_b32_e32 v5, 7, v54
	v_lshrrev_b32_e32 v19, 3, v53
	s_mov_b32 s22, exec_lo
	v_cmpx_gt_u32_e32 8, v53
; %bb.425:                              ;   in Loop: Header=BB255_294 Depth=1
	s_delay_alu instid0(VALU_DEP_3) | instskip(NEXT) | instid1(VALU_DEP_1)
	v_clz_i32_u32_e32 v19, v5
	v_min_u32_e32 v19, 32, v19
	s_delay_alu instid0(VALU_DEP_1) | instskip(SKIP_1) | instid1(VALU_DEP_2)
	v_subrev_nc_u32_e32 v20, 28, v19
	v_sub_nc_u32_e32 v19, 29, v19
	v_lshlrev_b64 v[55:56], v20, v[5:6]
	s_delay_alu instid0(VALU_DEP_1)
	v_and_b32_e32 v5, 7, v55
; %bb.426:                              ;   in Loop: Header=BB255_294 Depth=1
	s_or_b32 exec_lo, exec_lo, s22
	v_lshlrev_b32_e32 v20, 24, v54
	s_delay_alu instid0(VALU_DEP_2) | instskip(SKIP_1) | instid1(VALU_DEP_3)
	v_lshlrev_b32_e32 v5, 20, v5
	v_lshl_add_u32 v19, v19, 23, 0x3c000000
	v_and_b32_e32 v20, 0x80000000, v20
	s_delay_alu instid0(VALU_DEP_1)
	v_or3_b32 v20, v5, v20, v19
	v_mov_b32_e32 v19, v6
.LBB255_427:                            ;   in Loop: Header=BB255_294 Depth=1
	s_or_b32 exec_lo, exec_lo, s2
.LBB255_428:                            ;   in Loop: Header=BB255_294 Depth=1
	s_delay_alu instid0(SALU_CYCLE_1)
	s_or_b32 exec_lo, exec_lo, s21
.LBB255_429:                            ;   in Loop: Header=BB255_294 Depth=1
	s_delay_alu instid0(SALU_CYCLE_1) | instskip(SKIP_4) | instid1(VALU_DEP_4)
	s_or_b32 exec_lo, exec_lo, s20
	v_or_b32_e32 v5, v16, v14
	v_or_b32_e32 v13, v15, v13
	;; [unrolled: 1-line block ×4, first 2 shown]
	v_mul_f32_e32 v56, s18, v5
	s_delay_alu instid0(VALU_DEP_4) | instskip(NEXT) | instid1(VALU_DEP_3)
	v_mul_f32_e32 v55, s17, v13
	v_dual_mul_f32 v53, s18, v14 :: v_dual_mul_f32 v54, s17, v15
	s_and_saveexec_b32 s2, vcc_lo
; %bb.430:                              ;   in Loop: Header=BB255_294 Depth=1
	v_cmp_gt_i32_e64 s0, s33, v41
	s_delay_alu instid0(VALU_DEP_1) | instskip(SKIP_1) | instid1(VALU_DEP_1)
	v_cndmask_b32_e64 v55, 0, v55, s0
	v_cmp_gt_i32_e64 s0, s33, v44
	v_cndmask_b32_e64 v56, 0, v56, s0
	v_cmp_gt_i32_e64 s0, s33, v43
	s_delay_alu instid0(VALU_DEP_1) | instskip(SKIP_1) | instid1(VALU_DEP_1)
	v_cndmask_b32_e64 v54, 0, v54, s0
	v_cmp_gt_i32_e64 s0, s33, v42
	v_cndmask_b32_e64 v53, 0, v53, s0
; %bb.431:                              ;   in Loop: Header=BB255_294 Depth=1
	s_or_b32 exec_lo, exec_lo, s2
	global_load_b32 v57, v[11:12], off offset:512
	v_mov_b32_e32 v15, 0
	v_mov_b32_e32 v16, 0
	s_mov_b32 s2, exec_lo
	s_waitcnt vmcnt(0)
	v_and_b32_e32 v5, 0xff, v57
	s_delay_alu instid0(VALU_DEP_2) | instskip(NEXT) | instid1(VALU_DEP_2)
	v_dual_mov_b32 v13, v15 :: v_dual_mov_b32 v14, v16
	v_cmpx_ne_u16_e32 0, v5
	s_cbranch_execz .LBB255_439
; %bb.432:                              ;   in Loop: Header=BB255_294 Depth=1
	v_bfrev_b32_e32 v13, 1
	v_mov_b32_e32 v14, 0
	s_mov_b32 s20, exec_lo
	v_cmpx_ne_u16_e32 0x80, v5
	s_cbranch_execz .LBB255_438
; %bb.433:                              ;   in Loop: Header=BB255_294 Depth=1
	v_mov_b32_e32 v13, 0x7f800001
	v_dual_mov_b32 v14, 0 :: v_dual_and_b32 v17, 0x7f, v57
	s_mov_b32 s21, exec_lo
	s_delay_alu instid0(VALU_DEP_1)
	v_cmpx_ne_u32_e32 0x7f, v17
	s_cbranch_execz .LBB255_437
; %bb.434:                              ;   in Loop: Header=BB255_294 Depth=1
	v_and_b32_e32 v5, 7, v57
	v_lshrrev_b32_e32 v13, 3, v17
	s_mov_b32 s22, exec_lo
	v_cmpx_gt_u32_e32 8, v17
; %bb.435:                              ;   in Loop: Header=BB255_294 Depth=1
	s_delay_alu instid0(VALU_DEP_3) | instskip(NEXT) | instid1(VALU_DEP_1)
	v_clz_i32_u32_e32 v13, v5
	v_min_u32_e32 v13, 32, v13
	s_delay_alu instid0(VALU_DEP_1) | instskip(SKIP_1) | instid1(VALU_DEP_2)
	v_subrev_nc_u32_e32 v14, 28, v13
	v_sub_nc_u32_e32 v13, 29, v13
	v_lshlrev_b64 v[17:18], v14, v[5:6]
	s_delay_alu instid0(VALU_DEP_1)
	v_and_b32_e32 v5, 7, v17
; %bb.436:                              ;   in Loop: Header=BB255_294 Depth=1
	s_or_b32 exec_lo, exec_lo, s22
	v_lshlrev_b32_e32 v14, 24, v57
	s_delay_alu instid0(VALU_DEP_2) | instskip(SKIP_1) | instid1(VALU_DEP_3)
	v_lshlrev_b32_e32 v5, 20, v5
	v_lshl_add_u32 v13, v13, 23, 0x3c000000
	v_and_b32_e32 v14, 0x80000000, v14
	s_delay_alu instid0(VALU_DEP_1) | instskip(NEXT) | instid1(VALU_DEP_1)
	v_or3_b32 v5, v5, v14, v13
	v_dual_mov_b32 v14, v6 :: v_dual_mov_b32 v13, v5
.LBB255_437:                            ;   in Loop: Header=BB255_294 Depth=1
	s_or_b32 exec_lo, exec_lo, s21
.LBB255_438:                            ;   in Loop: Header=BB255_294 Depth=1
	s_delay_alu instid0(SALU_CYCLE_1)
	s_or_b32 exec_lo, exec_lo, s20
.LBB255_439:                            ;   in Loop: Header=BB255_294 Depth=1
	s_delay_alu instid0(SALU_CYCLE_1) | instskip(SKIP_2) | instid1(VALU_DEP_1)
	s_or_b32 exec_lo, exec_lo, s2
	v_lshrrev_b16 v5, 8, v57
	s_mov_b32 s20, exec_lo
	v_cmpx_ne_u16_e32 0, v5
	s_cbranch_execz .LBB255_447
; %bb.440:                              ;   in Loop: Header=BB255_294 Depth=1
	v_dual_mov_b32 v16, s9 :: v_dual_mov_b32 v15, s8
	s_mov_b32 s21, exec_lo
	v_cmpx_ne_u16_e32 0x80, v5
	s_cbranch_execz .LBB255_446
; %bb.441:                              ;   in Loop: Header=BB255_294 Depth=1
	s_mov_b32 s2, s8
	v_dual_mov_b32 v16, s3 :: v_dual_and_b32 v5, 0xffff, v5
	v_mov_b32_e32 v15, s2
	s_mov_b32 s2, exec_lo
	s_delay_alu instid0(VALU_DEP_2) | instskip(NEXT) | instid1(VALU_DEP_1)
	v_and_b32_e32 v17, 0x7f, v5
	v_cmpx_ne_u32_e32 0x7f, v17
	s_cbranch_execz .LBB255_445
; %bb.442:                              ;   in Loop: Header=BB255_294 Depth=1
	v_and_b32_e32 v5, 7, v5
	v_lshrrev_b32_e32 v15, 3, v17
	s_mov_b32 s22, exec_lo
	v_cmpx_gt_u32_e32 8, v17
; %bb.443:                              ;   in Loop: Header=BB255_294 Depth=1
	s_delay_alu instid0(VALU_DEP_3) | instskip(NEXT) | instid1(VALU_DEP_1)
	v_clz_i32_u32_e32 v15, v5
	v_min_u32_e32 v15, 32, v15
	s_delay_alu instid0(VALU_DEP_1) | instskip(SKIP_1) | instid1(VALU_DEP_2)
	v_subrev_nc_u32_e32 v16, 28, v15
	v_sub_nc_u32_e32 v15, 29, v15
	v_lshlrev_b64 v[16:17], v16, v[5:6]
	s_delay_alu instid0(VALU_DEP_1)
	v_and_b32_e32 v5, 7, v16
; %bb.444:                              ;   in Loop: Header=BB255_294 Depth=1
	s_or_b32 exec_lo, exec_lo, s22
	v_lshlrev_b32_e32 v16, 16, v57
	s_delay_alu instid0(VALU_DEP_2) | instskip(SKIP_1) | instid1(VALU_DEP_3)
	v_lshlrev_b32_e32 v5, 20, v5
	v_lshl_add_u32 v15, v15, 23, 0x3c000000
	v_and_b32_e32 v16, 0x80000000, v16
	s_delay_alu instid0(VALU_DEP_1)
	v_or3_b32 v16, v5, v16, v15
	v_mov_b32_e32 v15, v6
.LBB255_445:                            ;   in Loop: Header=BB255_294 Depth=1
	s_or_b32 exec_lo, exec_lo, s2
.LBB255_446:                            ;   in Loop: Header=BB255_294 Depth=1
	s_delay_alu instid0(SALU_CYCLE_1)
	s_or_b32 exec_lo, exec_lo, s21
.LBB255_447:                            ;   in Loop: Header=BB255_294 Depth=1
	s_delay_alu instid0(SALU_CYCLE_1) | instskip(SKIP_4) | instid1(VALU_DEP_2)
	s_or_b32 exec_lo, exec_lo, s20
	v_mov_b32_e32 v19, 0
	v_lshrrev_b32_e32 v58, 16, v57
	v_mov_b32_e32 v20, 0
	s_mov_b32 s2, exec_lo
	v_and_b32_e32 v5, 0xff, v58
	s_delay_alu instid0(VALU_DEP_2) | instskip(NEXT) | instid1(VALU_DEP_2)
	v_dual_mov_b32 v17, v19 :: v_dual_mov_b32 v18, v20
	v_cmpx_ne_u16_e32 0, v5
	s_cbranch_execz .LBB255_455
; %bb.448:                              ;   in Loop: Header=BB255_294 Depth=1
	v_bfrev_b32_e32 v17, 1
	v_mov_b32_e32 v18, 0
	s_mov_b32 s20, exec_lo
	v_cmpx_ne_u16_e32 0x80, v5
	s_cbranch_execz .LBB255_454
; %bb.449:                              ;   in Loop: Header=BB255_294 Depth=1
	v_mov_b32_e32 v17, 0x7f800001
	v_bfe_u32 v59, v57, 16, 7
	v_mov_b32_e32 v18, 0
	s_mov_b32 s21, exec_lo
	s_delay_alu instid0(VALU_DEP_2)
	v_cmpx_ne_u32_e32 0x7f, v59
	s_cbranch_execz .LBB255_453
; %bb.450:                              ;   in Loop: Header=BB255_294 Depth=1
	v_and_b32_e32 v5, 7, v58
	v_lshrrev_b32_e32 v17, 3, v59
	s_mov_b32 s22, exec_lo
	v_cmpx_gt_u32_e32 8, v59
; %bb.451:                              ;   in Loop: Header=BB255_294 Depth=1
	s_delay_alu instid0(VALU_DEP_3) | instskip(NEXT) | instid1(VALU_DEP_1)
	v_clz_i32_u32_e32 v17, v5
	v_min_u32_e32 v17, 32, v17
	s_delay_alu instid0(VALU_DEP_1) | instskip(SKIP_1) | instid1(VALU_DEP_2)
	v_subrev_nc_u32_e32 v18, 28, v17
	v_sub_nc_u32_e32 v17, 29, v17
	v_lshlrev_b64 v[59:60], v18, v[5:6]
	s_delay_alu instid0(VALU_DEP_1)
	v_and_b32_e32 v5, 7, v59
; %bb.452:                              ;   in Loop: Header=BB255_294 Depth=1
	s_or_b32 exec_lo, exec_lo, s22
	v_lshlrev_b32_e32 v18, 24, v58
	s_delay_alu instid0(VALU_DEP_2) | instskip(SKIP_1) | instid1(VALU_DEP_3)
	v_lshlrev_b32_e32 v5, 20, v5
	v_lshl_add_u32 v17, v17, 23, 0x3c000000
	v_and_b32_e32 v18, 0x80000000, v18
	s_delay_alu instid0(VALU_DEP_1) | instskip(NEXT) | instid1(VALU_DEP_1)
	v_or3_b32 v5, v5, v18, v17
	v_dual_mov_b32 v18, v6 :: v_dual_mov_b32 v17, v5
.LBB255_453:                            ;   in Loop: Header=BB255_294 Depth=1
	s_or_b32 exec_lo, exec_lo, s21
.LBB255_454:                            ;   in Loop: Header=BB255_294 Depth=1
	s_delay_alu instid0(SALU_CYCLE_1)
	s_or_b32 exec_lo, exec_lo, s20
.LBB255_455:                            ;   in Loop: Header=BB255_294 Depth=1
	s_delay_alu instid0(SALU_CYCLE_1) | instskip(NEXT) | instid1(SALU_CYCLE_1)
	s_or_b32 exec_lo, exec_lo, s2
	s_mov_b32 s20, exec_lo
	v_cmpx_lt_u32_e32 0xffffff, v57
	s_cbranch_execz .LBB255_463
; %bb.456:                              ;   in Loop: Header=BB255_294 Depth=1
	v_lshrrev_b32_e32 v58, 24, v57
	v_dual_mov_b32 v20, s9 :: v_dual_mov_b32 v19, s8
	s_mov_b32 s21, exec_lo
	s_delay_alu instid0(VALU_DEP_2)
	v_cmpx_ne_u32_e32 0x80, v58
	s_cbranch_execz .LBB255_462
; %bb.457:                              ;   in Loop: Header=BB255_294 Depth=1
	s_mov_b32 s2, s8
	v_bfe_u32 v57, v57, 24, 7
	v_dual_mov_b32 v20, s3 :: v_dual_mov_b32 v19, s2
	s_mov_b32 s2, exec_lo
	s_delay_alu instid0(VALU_DEP_2)
	v_cmpx_ne_u32_e32 0x7f, v57
	s_cbranch_execz .LBB255_461
; %bb.458:                              ;   in Loop: Header=BB255_294 Depth=1
	v_and_b32_e32 v5, 7, v58
	v_lshrrev_b32_e32 v19, 3, v57
	s_mov_b32 s22, exec_lo
	v_cmpx_gt_u32_e32 8, v57
; %bb.459:                              ;   in Loop: Header=BB255_294 Depth=1
	s_delay_alu instid0(VALU_DEP_3) | instskip(NEXT) | instid1(VALU_DEP_1)
	v_clz_i32_u32_e32 v19, v5
	v_min_u32_e32 v19, 32, v19
	s_delay_alu instid0(VALU_DEP_1) | instskip(SKIP_1) | instid1(VALU_DEP_2)
	v_subrev_nc_u32_e32 v20, 28, v19
	v_sub_nc_u32_e32 v19, 29, v19
	v_lshlrev_b64 v[59:60], v20, v[5:6]
	s_delay_alu instid0(VALU_DEP_1)
	v_and_b32_e32 v5, 7, v59
; %bb.460:                              ;   in Loop: Header=BB255_294 Depth=1
	s_or_b32 exec_lo, exec_lo, s22
	v_lshlrev_b32_e32 v20, 24, v58
	s_delay_alu instid0(VALU_DEP_2) | instskip(SKIP_1) | instid1(VALU_DEP_3)
	v_lshlrev_b32_e32 v5, 20, v5
	v_lshl_add_u32 v19, v19, 23, 0x3c000000
	v_and_b32_e32 v20, 0x80000000, v20
	s_delay_alu instid0(VALU_DEP_1)
	v_or3_b32 v20, v5, v20, v19
	v_mov_b32_e32 v19, v6
.LBB255_461:                            ;   in Loop: Header=BB255_294 Depth=1
	s_or_b32 exec_lo, exec_lo, s2
.LBB255_462:                            ;   in Loop: Header=BB255_294 Depth=1
	s_delay_alu instid0(SALU_CYCLE_1)
	s_or_b32 exec_lo, exec_lo, s21
.LBB255_463:                            ;   in Loop: Header=BB255_294 Depth=1
	s_delay_alu instid0(SALU_CYCLE_1) | instskip(SKIP_4) | instid1(VALU_DEP_4)
	s_or_b32 exec_lo, exec_lo, s20
	v_or_b32_e32 v5, v16, v14
	v_or_b32_e32 v13, v15, v13
	;; [unrolled: 1-line block ×4, first 2 shown]
	v_mul_f32_e32 v60, s18, v5
	s_delay_alu instid0(VALU_DEP_4) | instskip(NEXT) | instid1(VALU_DEP_3)
	v_mul_f32_e32 v59, s17, v13
	v_dual_mul_f32 v57, s18, v14 :: v_dual_mul_f32 v58, s17, v15
	s_and_saveexec_b32 s2, vcc_lo
; %bb.464:                              ;   in Loop: Header=BB255_294 Depth=1
	v_cmp_gt_i32_e64 s0, s33, v41
	s_delay_alu instid0(VALU_DEP_1) | instskip(SKIP_1) | instid1(VALU_DEP_1)
	v_cndmask_b32_e64 v59, 0, v59, s0
	v_cmp_gt_i32_e64 s0, s33, v44
	v_cndmask_b32_e64 v60, 0, v60, s0
	v_cmp_gt_i32_e64 s0, s33, v43
	s_delay_alu instid0(VALU_DEP_1) | instskip(SKIP_1) | instid1(VALU_DEP_1)
	v_cndmask_b32_e64 v58, 0, v58, s0
	v_cmp_gt_i32_e64 s0, s33, v42
	v_cndmask_b32_e64 v57, 0, v57, s0
; %bb.465:                              ;   in Loop: Header=BB255_294 Depth=1
	s_or_b32 exec_lo, exec_lo, s2
	global_load_b32 v61, v[11:12], off offset:640
	v_mov_b32_e32 v15, 0
	v_mov_b32_e32 v16, 0
	s_mov_b32 s2, exec_lo
	s_waitcnt vmcnt(0)
	v_and_b32_e32 v5, 0xff, v61
	s_delay_alu instid0(VALU_DEP_2) | instskip(NEXT) | instid1(VALU_DEP_2)
	v_dual_mov_b32 v13, v15 :: v_dual_mov_b32 v14, v16
	v_cmpx_ne_u16_e32 0, v5
	s_cbranch_execz .LBB255_473
; %bb.466:                              ;   in Loop: Header=BB255_294 Depth=1
	v_bfrev_b32_e32 v13, 1
	v_mov_b32_e32 v14, 0
	s_mov_b32 s20, exec_lo
	v_cmpx_ne_u16_e32 0x80, v5
	s_cbranch_execz .LBB255_472
; %bb.467:                              ;   in Loop: Header=BB255_294 Depth=1
	v_mov_b32_e32 v13, 0x7f800001
	v_dual_mov_b32 v14, 0 :: v_dual_and_b32 v17, 0x7f, v61
	s_mov_b32 s21, exec_lo
	s_delay_alu instid0(VALU_DEP_1)
	v_cmpx_ne_u32_e32 0x7f, v17
	s_cbranch_execz .LBB255_471
; %bb.468:                              ;   in Loop: Header=BB255_294 Depth=1
	v_and_b32_e32 v5, 7, v61
	v_lshrrev_b32_e32 v13, 3, v17
	s_mov_b32 s22, exec_lo
	v_cmpx_gt_u32_e32 8, v17
; %bb.469:                              ;   in Loop: Header=BB255_294 Depth=1
	s_delay_alu instid0(VALU_DEP_3) | instskip(NEXT) | instid1(VALU_DEP_1)
	v_clz_i32_u32_e32 v13, v5
	v_min_u32_e32 v13, 32, v13
	s_delay_alu instid0(VALU_DEP_1) | instskip(SKIP_1) | instid1(VALU_DEP_2)
	v_subrev_nc_u32_e32 v14, 28, v13
	v_sub_nc_u32_e32 v13, 29, v13
	v_lshlrev_b64 v[17:18], v14, v[5:6]
	s_delay_alu instid0(VALU_DEP_1)
	v_and_b32_e32 v5, 7, v17
; %bb.470:                              ;   in Loop: Header=BB255_294 Depth=1
	s_or_b32 exec_lo, exec_lo, s22
	v_lshlrev_b32_e32 v14, 24, v61
	s_delay_alu instid0(VALU_DEP_2) | instskip(SKIP_1) | instid1(VALU_DEP_3)
	v_lshlrev_b32_e32 v5, 20, v5
	v_lshl_add_u32 v13, v13, 23, 0x3c000000
	v_and_b32_e32 v14, 0x80000000, v14
	s_delay_alu instid0(VALU_DEP_1) | instskip(NEXT) | instid1(VALU_DEP_1)
	v_or3_b32 v5, v5, v14, v13
	v_dual_mov_b32 v14, v6 :: v_dual_mov_b32 v13, v5
.LBB255_471:                            ;   in Loop: Header=BB255_294 Depth=1
	s_or_b32 exec_lo, exec_lo, s21
.LBB255_472:                            ;   in Loop: Header=BB255_294 Depth=1
	s_delay_alu instid0(SALU_CYCLE_1)
	s_or_b32 exec_lo, exec_lo, s20
.LBB255_473:                            ;   in Loop: Header=BB255_294 Depth=1
	s_delay_alu instid0(SALU_CYCLE_1) | instskip(SKIP_2) | instid1(VALU_DEP_1)
	s_or_b32 exec_lo, exec_lo, s2
	v_lshrrev_b16 v5, 8, v61
	s_mov_b32 s20, exec_lo
	v_cmpx_ne_u16_e32 0, v5
	s_cbranch_execz .LBB255_481
; %bb.474:                              ;   in Loop: Header=BB255_294 Depth=1
	v_dual_mov_b32 v16, s9 :: v_dual_mov_b32 v15, s8
	s_mov_b32 s21, exec_lo
	v_cmpx_ne_u16_e32 0x80, v5
	s_cbranch_execz .LBB255_480
; %bb.475:                              ;   in Loop: Header=BB255_294 Depth=1
	s_mov_b32 s2, s8
	v_dual_mov_b32 v16, s3 :: v_dual_and_b32 v5, 0xffff, v5
	v_mov_b32_e32 v15, s2
	s_mov_b32 s2, exec_lo
	s_delay_alu instid0(VALU_DEP_2) | instskip(NEXT) | instid1(VALU_DEP_1)
	v_and_b32_e32 v17, 0x7f, v5
	v_cmpx_ne_u32_e32 0x7f, v17
	s_cbranch_execz .LBB255_479
; %bb.476:                              ;   in Loop: Header=BB255_294 Depth=1
	v_and_b32_e32 v5, 7, v5
	v_lshrrev_b32_e32 v15, 3, v17
	s_mov_b32 s22, exec_lo
	v_cmpx_gt_u32_e32 8, v17
; %bb.477:                              ;   in Loop: Header=BB255_294 Depth=1
	s_delay_alu instid0(VALU_DEP_3) | instskip(NEXT) | instid1(VALU_DEP_1)
	v_clz_i32_u32_e32 v15, v5
	v_min_u32_e32 v15, 32, v15
	s_delay_alu instid0(VALU_DEP_1) | instskip(SKIP_1) | instid1(VALU_DEP_2)
	v_subrev_nc_u32_e32 v16, 28, v15
	v_sub_nc_u32_e32 v15, 29, v15
	v_lshlrev_b64 v[16:17], v16, v[5:6]
	s_delay_alu instid0(VALU_DEP_1)
	v_and_b32_e32 v5, 7, v16
; %bb.478:                              ;   in Loop: Header=BB255_294 Depth=1
	s_or_b32 exec_lo, exec_lo, s22
	v_lshlrev_b32_e32 v16, 16, v61
	s_delay_alu instid0(VALU_DEP_2) | instskip(SKIP_1) | instid1(VALU_DEP_3)
	v_lshlrev_b32_e32 v5, 20, v5
	v_lshl_add_u32 v15, v15, 23, 0x3c000000
	v_and_b32_e32 v16, 0x80000000, v16
	s_delay_alu instid0(VALU_DEP_1)
	v_or3_b32 v16, v5, v16, v15
	v_mov_b32_e32 v15, v6
.LBB255_479:                            ;   in Loop: Header=BB255_294 Depth=1
	s_or_b32 exec_lo, exec_lo, s2
.LBB255_480:                            ;   in Loop: Header=BB255_294 Depth=1
	s_delay_alu instid0(SALU_CYCLE_1)
	s_or_b32 exec_lo, exec_lo, s21
.LBB255_481:                            ;   in Loop: Header=BB255_294 Depth=1
	s_delay_alu instid0(SALU_CYCLE_1) | instskip(SKIP_4) | instid1(VALU_DEP_2)
	s_or_b32 exec_lo, exec_lo, s20
	v_mov_b32_e32 v19, 0
	v_lshrrev_b32_e32 v62, 16, v61
	v_mov_b32_e32 v20, 0
	s_mov_b32 s2, exec_lo
	v_and_b32_e32 v5, 0xff, v62
	s_delay_alu instid0(VALU_DEP_2) | instskip(NEXT) | instid1(VALU_DEP_2)
	v_dual_mov_b32 v17, v19 :: v_dual_mov_b32 v18, v20
	v_cmpx_ne_u16_e32 0, v5
	s_cbranch_execz .LBB255_489
; %bb.482:                              ;   in Loop: Header=BB255_294 Depth=1
	v_bfrev_b32_e32 v17, 1
	v_mov_b32_e32 v18, 0
	s_mov_b32 s20, exec_lo
	v_cmpx_ne_u16_e32 0x80, v5
	s_cbranch_execz .LBB255_488
; %bb.483:                              ;   in Loop: Header=BB255_294 Depth=1
	v_mov_b32_e32 v17, 0x7f800001
	v_bfe_u32 v63, v61, 16, 7
	v_mov_b32_e32 v18, 0
	s_mov_b32 s21, exec_lo
	s_delay_alu instid0(VALU_DEP_2)
	v_cmpx_ne_u32_e32 0x7f, v63
	s_cbranch_execz .LBB255_487
; %bb.484:                              ;   in Loop: Header=BB255_294 Depth=1
	v_and_b32_e32 v5, 7, v62
	v_lshrrev_b32_e32 v17, 3, v63
	s_mov_b32 s22, exec_lo
	v_cmpx_gt_u32_e32 8, v63
; %bb.485:                              ;   in Loop: Header=BB255_294 Depth=1
	s_delay_alu instid0(VALU_DEP_3) | instskip(NEXT) | instid1(VALU_DEP_1)
	v_clz_i32_u32_e32 v17, v5
	v_min_u32_e32 v17, 32, v17
	s_delay_alu instid0(VALU_DEP_1) | instskip(SKIP_1) | instid1(VALU_DEP_2)
	v_subrev_nc_u32_e32 v18, 28, v17
	v_sub_nc_u32_e32 v17, 29, v17
	v_lshlrev_b64 v[63:64], v18, v[5:6]
	s_delay_alu instid0(VALU_DEP_1)
	v_and_b32_e32 v5, 7, v63
; %bb.486:                              ;   in Loop: Header=BB255_294 Depth=1
	s_or_b32 exec_lo, exec_lo, s22
	v_lshlrev_b32_e32 v18, 24, v62
	s_delay_alu instid0(VALU_DEP_2) | instskip(SKIP_1) | instid1(VALU_DEP_3)
	v_lshlrev_b32_e32 v5, 20, v5
	v_lshl_add_u32 v17, v17, 23, 0x3c000000
	v_and_b32_e32 v18, 0x80000000, v18
	s_delay_alu instid0(VALU_DEP_1) | instskip(NEXT) | instid1(VALU_DEP_1)
	v_or3_b32 v5, v5, v18, v17
	v_dual_mov_b32 v18, v6 :: v_dual_mov_b32 v17, v5
.LBB255_487:                            ;   in Loop: Header=BB255_294 Depth=1
	s_or_b32 exec_lo, exec_lo, s21
.LBB255_488:                            ;   in Loop: Header=BB255_294 Depth=1
	s_delay_alu instid0(SALU_CYCLE_1)
	s_or_b32 exec_lo, exec_lo, s20
.LBB255_489:                            ;   in Loop: Header=BB255_294 Depth=1
	s_delay_alu instid0(SALU_CYCLE_1) | instskip(NEXT) | instid1(SALU_CYCLE_1)
	s_or_b32 exec_lo, exec_lo, s2
	s_mov_b32 s20, exec_lo
	v_cmpx_lt_u32_e32 0xffffff, v61
	s_cbranch_execz .LBB255_497
; %bb.490:                              ;   in Loop: Header=BB255_294 Depth=1
	v_lshrrev_b32_e32 v62, 24, v61
	v_dual_mov_b32 v20, s9 :: v_dual_mov_b32 v19, s8
	s_mov_b32 s21, exec_lo
	s_delay_alu instid0(VALU_DEP_2)
	v_cmpx_ne_u32_e32 0x80, v62
	s_cbranch_execz .LBB255_496
; %bb.491:                              ;   in Loop: Header=BB255_294 Depth=1
	s_mov_b32 s2, s8
	v_bfe_u32 v61, v61, 24, 7
	v_dual_mov_b32 v20, s3 :: v_dual_mov_b32 v19, s2
	s_mov_b32 s2, exec_lo
	s_delay_alu instid0(VALU_DEP_2)
	v_cmpx_ne_u32_e32 0x7f, v61
	s_cbranch_execz .LBB255_495
; %bb.492:                              ;   in Loop: Header=BB255_294 Depth=1
	v_and_b32_e32 v5, 7, v62
	v_lshrrev_b32_e32 v19, 3, v61
	s_mov_b32 s22, exec_lo
	v_cmpx_gt_u32_e32 8, v61
; %bb.493:                              ;   in Loop: Header=BB255_294 Depth=1
	s_delay_alu instid0(VALU_DEP_3) | instskip(NEXT) | instid1(VALU_DEP_1)
	v_clz_i32_u32_e32 v19, v5
	v_min_u32_e32 v19, 32, v19
	s_delay_alu instid0(VALU_DEP_1) | instskip(SKIP_1) | instid1(VALU_DEP_2)
	v_subrev_nc_u32_e32 v20, 28, v19
	v_sub_nc_u32_e32 v19, 29, v19
	v_lshlrev_b64 v[63:64], v20, v[5:6]
	s_delay_alu instid0(VALU_DEP_1)
	v_and_b32_e32 v5, 7, v63
; %bb.494:                              ;   in Loop: Header=BB255_294 Depth=1
	s_or_b32 exec_lo, exec_lo, s22
	v_lshlrev_b32_e32 v20, 24, v62
	s_delay_alu instid0(VALU_DEP_2) | instskip(SKIP_1) | instid1(VALU_DEP_3)
	v_lshlrev_b32_e32 v5, 20, v5
	v_lshl_add_u32 v19, v19, 23, 0x3c000000
	v_and_b32_e32 v20, 0x80000000, v20
	s_delay_alu instid0(VALU_DEP_1)
	v_or3_b32 v20, v5, v20, v19
	v_mov_b32_e32 v19, v6
.LBB255_495:                            ;   in Loop: Header=BB255_294 Depth=1
	s_or_b32 exec_lo, exec_lo, s2
.LBB255_496:                            ;   in Loop: Header=BB255_294 Depth=1
	s_delay_alu instid0(SALU_CYCLE_1)
	s_or_b32 exec_lo, exec_lo, s21
.LBB255_497:                            ;   in Loop: Header=BB255_294 Depth=1
	s_delay_alu instid0(SALU_CYCLE_1) | instskip(SKIP_4) | instid1(VALU_DEP_4)
	s_or_b32 exec_lo, exec_lo, s20
	v_or_b32_e32 v5, v16, v14
	v_or_b32_e32 v13, v15, v13
	;; [unrolled: 1-line block ×4, first 2 shown]
	v_mul_f32_e32 v64, s18, v5
	s_delay_alu instid0(VALU_DEP_4) | instskip(NEXT) | instid1(VALU_DEP_3)
	v_mul_f32_e32 v63, s17, v13
	v_dual_mul_f32 v61, s18, v14 :: v_dual_mul_f32 v62, s17, v15
	s_and_saveexec_b32 s2, vcc_lo
; %bb.498:                              ;   in Loop: Header=BB255_294 Depth=1
	v_cmp_gt_i32_e64 s0, s33, v41
	s_delay_alu instid0(VALU_DEP_1) | instskip(SKIP_1) | instid1(VALU_DEP_1)
	v_cndmask_b32_e64 v63, 0, v63, s0
	v_cmp_gt_i32_e64 s0, s33, v44
	v_cndmask_b32_e64 v64, 0, v64, s0
	v_cmp_gt_i32_e64 s0, s33, v43
	s_delay_alu instid0(VALU_DEP_1) | instskip(SKIP_1) | instid1(VALU_DEP_1)
	v_cndmask_b32_e64 v62, 0, v62, s0
	v_cmp_gt_i32_e64 s0, s33, v42
	v_cndmask_b32_e64 v61, 0, v61, s0
; %bb.499:                              ;   in Loop: Header=BB255_294 Depth=1
	s_or_b32 exec_lo, exec_lo, s2
	global_load_b32 v65, v[11:12], off offset:768
	v_mov_b32_e32 v15, 0
	v_mov_b32_e32 v16, 0
	s_mov_b32 s2, exec_lo
	s_waitcnt vmcnt(0)
	v_and_b32_e32 v5, 0xff, v65
	s_delay_alu instid0(VALU_DEP_2) | instskip(NEXT) | instid1(VALU_DEP_2)
	v_dual_mov_b32 v13, v15 :: v_dual_mov_b32 v14, v16
	v_cmpx_ne_u16_e32 0, v5
	s_cbranch_execz .LBB255_507
; %bb.500:                              ;   in Loop: Header=BB255_294 Depth=1
	v_bfrev_b32_e32 v13, 1
	v_mov_b32_e32 v14, 0
	s_mov_b32 s20, exec_lo
	v_cmpx_ne_u16_e32 0x80, v5
	s_cbranch_execz .LBB255_506
; %bb.501:                              ;   in Loop: Header=BB255_294 Depth=1
	v_mov_b32_e32 v13, 0x7f800001
	v_dual_mov_b32 v14, 0 :: v_dual_and_b32 v17, 0x7f, v65
	s_mov_b32 s21, exec_lo
	s_delay_alu instid0(VALU_DEP_1)
	v_cmpx_ne_u32_e32 0x7f, v17
	s_cbranch_execz .LBB255_505
; %bb.502:                              ;   in Loop: Header=BB255_294 Depth=1
	v_and_b32_e32 v5, 7, v65
	v_lshrrev_b32_e32 v13, 3, v17
	s_mov_b32 s22, exec_lo
	v_cmpx_gt_u32_e32 8, v17
; %bb.503:                              ;   in Loop: Header=BB255_294 Depth=1
	s_delay_alu instid0(VALU_DEP_3) | instskip(NEXT) | instid1(VALU_DEP_1)
	v_clz_i32_u32_e32 v13, v5
	v_min_u32_e32 v13, 32, v13
	s_delay_alu instid0(VALU_DEP_1) | instskip(SKIP_1) | instid1(VALU_DEP_2)
	v_subrev_nc_u32_e32 v14, 28, v13
	v_sub_nc_u32_e32 v13, 29, v13
	v_lshlrev_b64 v[17:18], v14, v[5:6]
	s_delay_alu instid0(VALU_DEP_1)
	v_and_b32_e32 v5, 7, v17
; %bb.504:                              ;   in Loop: Header=BB255_294 Depth=1
	s_or_b32 exec_lo, exec_lo, s22
	v_lshlrev_b32_e32 v14, 24, v65
	s_delay_alu instid0(VALU_DEP_2) | instskip(SKIP_1) | instid1(VALU_DEP_3)
	v_lshlrev_b32_e32 v5, 20, v5
	v_lshl_add_u32 v13, v13, 23, 0x3c000000
	v_and_b32_e32 v14, 0x80000000, v14
	s_delay_alu instid0(VALU_DEP_1) | instskip(NEXT) | instid1(VALU_DEP_1)
	v_or3_b32 v5, v5, v14, v13
	v_dual_mov_b32 v14, v6 :: v_dual_mov_b32 v13, v5
.LBB255_505:                            ;   in Loop: Header=BB255_294 Depth=1
	s_or_b32 exec_lo, exec_lo, s21
.LBB255_506:                            ;   in Loop: Header=BB255_294 Depth=1
	s_delay_alu instid0(SALU_CYCLE_1)
	s_or_b32 exec_lo, exec_lo, s20
.LBB255_507:                            ;   in Loop: Header=BB255_294 Depth=1
	s_delay_alu instid0(SALU_CYCLE_1) | instskip(SKIP_2) | instid1(VALU_DEP_1)
	s_or_b32 exec_lo, exec_lo, s2
	v_lshrrev_b16 v5, 8, v65
	s_mov_b32 s20, exec_lo
	v_cmpx_ne_u16_e32 0, v5
	s_cbranch_execz .LBB255_515
; %bb.508:                              ;   in Loop: Header=BB255_294 Depth=1
	v_dual_mov_b32 v16, s9 :: v_dual_mov_b32 v15, s8
	s_mov_b32 s21, exec_lo
	v_cmpx_ne_u16_e32 0x80, v5
	s_cbranch_execz .LBB255_514
; %bb.509:                              ;   in Loop: Header=BB255_294 Depth=1
	s_mov_b32 s2, s8
	v_dual_mov_b32 v16, s3 :: v_dual_and_b32 v5, 0xffff, v5
	v_mov_b32_e32 v15, s2
	s_mov_b32 s2, exec_lo
	s_delay_alu instid0(VALU_DEP_2) | instskip(NEXT) | instid1(VALU_DEP_1)
	v_and_b32_e32 v17, 0x7f, v5
	v_cmpx_ne_u32_e32 0x7f, v17
	s_cbranch_execz .LBB255_513
; %bb.510:                              ;   in Loop: Header=BB255_294 Depth=1
	v_and_b32_e32 v5, 7, v5
	v_lshrrev_b32_e32 v15, 3, v17
	s_mov_b32 s22, exec_lo
	v_cmpx_gt_u32_e32 8, v17
; %bb.511:                              ;   in Loop: Header=BB255_294 Depth=1
	s_delay_alu instid0(VALU_DEP_3) | instskip(NEXT) | instid1(VALU_DEP_1)
	v_clz_i32_u32_e32 v15, v5
	v_min_u32_e32 v15, 32, v15
	s_delay_alu instid0(VALU_DEP_1) | instskip(SKIP_1) | instid1(VALU_DEP_2)
	v_subrev_nc_u32_e32 v16, 28, v15
	v_sub_nc_u32_e32 v15, 29, v15
	v_lshlrev_b64 v[16:17], v16, v[5:6]
	s_delay_alu instid0(VALU_DEP_1)
	v_and_b32_e32 v5, 7, v16
; %bb.512:                              ;   in Loop: Header=BB255_294 Depth=1
	s_or_b32 exec_lo, exec_lo, s22
	v_lshlrev_b32_e32 v16, 16, v65
	s_delay_alu instid0(VALU_DEP_2) | instskip(SKIP_1) | instid1(VALU_DEP_3)
	v_lshlrev_b32_e32 v5, 20, v5
	v_lshl_add_u32 v15, v15, 23, 0x3c000000
	v_and_b32_e32 v16, 0x80000000, v16
	s_delay_alu instid0(VALU_DEP_1)
	v_or3_b32 v16, v5, v16, v15
	v_mov_b32_e32 v15, v6
.LBB255_513:                            ;   in Loop: Header=BB255_294 Depth=1
	s_or_b32 exec_lo, exec_lo, s2
.LBB255_514:                            ;   in Loop: Header=BB255_294 Depth=1
	s_delay_alu instid0(SALU_CYCLE_1)
	s_or_b32 exec_lo, exec_lo, s21
.LBB255_515:                            ;   in Loop: Header=BB255_294 Depth=1
	s_delay_alu instid0(SALU_CYCLE_1) | instskip(SKIP_4) | instid1(VALU_DEP_2)
	s_or_b32 exec_lo, exec_lo, s20
	v_mov_b32_e32 v19, 0
	v_lshrrev_b32_e32 v66, 16, v65
	v_mov_b32_e32 v20, 0
	s_mov_b32 s2, exec_lo
	v_and_b32_e32 v5, 0xff, v66
	s_delay_alu instid0(VALU_DEP_2) | instskip(NEXT) | instid1(VALU_DEP_2)
	v_dual_mov_b32 v17, v19 :: v_dual_mov_b32 v18, v20
	v_cmpx_ne_u16_e32 0, v5
	s_cbranch_execz .LBB255_523
; %bb.516:                              ;   in Loop: Header=BB255_294 Depth=1
	v_bfrev_b32_e32 v17, 1
	v_mov_b32_e32 v18, 0
	s_mov_b32 s20, exec_lo
	v_cmpx_ne_u16_e32 0x80, v5
	s_cbranch_execz .LBB255_522
; %bb.517:                              ;   in Loop: Header=BB255_294 Depth=1
	v_mov_b32_e32 v17, 0x7f800001
	v_bfe_u32 v67, v65, 16, 7
	v_mov_b32_e32 v18, 0
	s_mov_b32 s21, exec_lo
	s_delay_alu instid0(VALU_DEP_2)
	v_cmpx_ne_u32_e32 0x7f, v67
	s_cbranch_execz .LBB255_521
; %bb.518:                              ;   in Loop: Header=BB255_294 Depth=1
	v_and_b32_e32 v5, 7, v66
	v_lshrrev_b32_e32 v17, 3, v67
	s_mov_b32 s22, exec_lo
	v_cmpx_gt_u32_e32 8, v67
; %bb.519:                              ;   in Loop: Header=BB255_294 Depth=1
	s_delay_alu instid0(VALU_DEP_3) | instskip(NEXT) | instid1(VALU_DEP_1)
	v_clz_i32_u32_e32 v17, v5
	v_min_u32_e32 v17, 32, v17
	s_delay_alu instid0(VALU_DEP_1) | instskip(SKIP_1) | instid1(VALU_DEP_2)
	v_subrev_nc_u32_e32 v18, 28, v17
	v_sub_nc_u32_e32 v17, 29, v17
	v_lshlrev_b64 v[67:68], v18, v[5:6]
	s_delay_alu instid0(VALU_DEP_1)
	v_and_b32_e32 v5, 7, v67
; %bb.520:                              ;   in Loop: Header=BB255_294 Depth=1
	s_or_b32 exec_lo, exec_lo, s22
	v_lshlrev_b32_e32 v18, 24, v66
	s_delay_alu instid0(VALU_DEP_2) | instskip(SKIP_1) | instid1(VALU_DEP_3)
	v_lshlrev_b32_e32 v5, 20, v5
	v_lshl_add_u32 v17, v17, 23, 0x3c000000
	v_and_b32_e32 v18, 0x80000000, v18
	s_delay_alu instid0(VALU_DEP_1) | instskip(NEXT) | instid1(VALU_DEP_1)
	v_or3_b32 v5, v5, v18, v17
	v_dual_mov_b32 v18, v6 :: v_dual_mov_b32 v17, v5
.LBB255_521:                            ;   in Loop: Header=BB255_294 Depth=1
	s_or_b32 exec_lo, exec_lo, s21
.LBB255_522:                            ;   in Loop: Header=BB255_294 Depth=1
	s_delay_alu instid0(SALU_CYCLE_1)
	s_or_b32 exec_lo, exec_lo, s20
.LBB255_523:                            ;   in Loop: Header=BB255_294 Depth=1
	s_delay_alu instid0(SALU_CYCLE_1) | instskip(NEXT) | instid1(SALU_CYCLE_1)
	s_or_b32 exec_lo, exec_lo, s2
	s_mov_b32 s20, exec_lo
	v_cmpx_lt_u32_e32 0xffffff, v65
	s_cbranch_execz .LBB255_531
; %bb.524:                              ;   in Loop: Header=BB255_294 Depth=1
	v_lshrrev_b32_e32 v66, 24, v65
	v_dual_mov_b32 v20, s9 :: v_dual_mov_b32 v19, s8
	s_mov_b32 s21, exec_lo
	s_delay_alu instid0(VALU_DEP_2)
	v_cmpx_ne_u32_e32 0x80, v66
	s_cbranch_execz .LBB255_530
; %bb.525:                              ;   in Loop: Header=BB255_294 Depth=1
	s_mov_b32 s2, s8
	v_bfe_u32 v65, v65, 24, 7
	v_dual_mov_b32 v20, s3 :: v_dual_mov_b32 v19, s2
	s_mov_b32 s2, exec_lo
	s_delay_alu instid0(VALU_DEP_2)
	v_cmpx_ne_u32_e32 0x7f, v65
	s_cbranch_execz .LBB255_529
; %bb.526:                              ;   in Loop: Header=BB255_294 Depth=1
	v_and_b32_e32 v5, 7, v66
	v_lshrrev_b32_e32 v19, 3, v65
	s_mov_b32 s22, exec_lo
	v_cmpx_gt_u32_e32 8, v65
; %bb.527:                              ;   in Loop: Header=BB255_294 Depth=1
	s_delay_alu instid0(VALU_DEP_3) | instskip(NEXT) | instid1(VALU_DEP_1)
	v_clz_i32_u32_e32 v19, v5
	v_min_u32_e32 v19, 32, v19
	s_delay_alu instid0(VALU_DEP_1) | instskip(SKIP_1) | instid1(VALU_DEP_2)
	v_subrev_nc_u32_e32 v20, 28, v19
	v_sub_nc_u32_e32 v19, 29, v19
	v_lshlrev_b64 v[67:68], v20, v[5:6]
	s_delay_alu instid0(VALU_DEP_1)
	v_and_b32_e32 v5, 7, v67
; %bb.528:                              ;   in Loop: Header=BB255_294 Depth=1
	s_or_b32 exec_lo, exec_lo, s22
	v_lshlrev_b32_e32 v20, 24, v66
	s_delay_alu instid0(VALU_DEP_2) | instskip(SKIP_1) | instid1(VALU_DEP_3)
	v_lshlrev_b32_e32 v5, 20, v5
	v_lshl_add_u32 v19, v19, 23, 0x3c000000
	v_and_b32_e32 v20, 0x80000000, v20
	s_delay_alu instid0(VALU_DEP_1)
	v_or3_b32 v20, v5, v20, v19
	v_mov_b32_e32 v19, v6
.LBB255_529:                            ;   in Loop: Header=BB255_294 Depth=1
	s_or_b32 exec_lo, exec_lo, s2
.LBB255_530:                            ;   in Loop: Header=BB255_294 Depth=1
	s_delay_alu instid0(SALU_CYCLE_1)
	s_or_b32 exec_lo, exec_lo, s21
.LBB255_531:                            ;   in Loop: Header=BB255_294 Depth=1
	s_delay_alu instid0(SALU_CYCLE_1) | instskip(SKIP_4) | instid1(VALU_DEP_4)
	s_or_b32 exec_lo, exec_lo, s20
	v_or_b32_e32 v5, v16, v14
	v_or_b32_e32 v13, v15, v13
	;; [unrolled: 1-line block ×4, first 2 shown]
	v_mul_f32_e32 v66, s18, v5
	s_delay_alu instid0(VALU_DEP_4) | instskip(NEXT) | instid1(VALU_DEP_3)
	v_mul_f32_e32 v65, s17, v13
	v_dual_mul_f32 v19, s18, v14 :: v_dual_mul_f32 v20, s17, v15
	s_and_saveexec_b32 s2, vcc_lo
; %bb.532:                              ;   in Loop: Header=BB255_294 Depth=1
	v_cmp_gt_i32_e64 s0, s33, v41
	s_delay_alu instid0(VALU_DEP_1) | instskip(SKIP_1) | instid1(VALU_DEP_1)
	v_cndmask_b32_e64 v65, 0, v65, s0
	v_cmp_gt_i32_e64 s0, s33, v44
	v_cndmask_b32_e64 v66, 0, v66, s0
	v_cmp_gt_i32_e64 s0, s33, v43
	s_delay_alu instid0(VALU_DEP_1) | instskip(SKIP_1) | instid1(VALU_DEP_1)
	v_cndmask_b32_e64 v20, 0, v20, s0
	v_cmp_gt_i32_e64 s0, s33, v42
	v_cndmask_b32_e64 v19, 0, v19, s0
; %bb.533:                              ;   in Loop: Header=BB255_294 Depth=1
	s_or_b32 exec_lo, exec_lo, s2
	global_load_b32 v67, v[11:12], off offset:896
	v_mov_b32_e32 v13, 0
	v_mov_b32_e32 v14, 0
	s_mov_b32 s2, exec_lo
	s_waitcnt vmcnt(0)
	v_and_b32_e32 v5, 0xff, v67
	s_delay_alu instid0(VALU_DEP_2) | instskip(NEXT) | instid1(VALU_DEP_2)
	v_dual_mov_b32 v11, v13 :: v_dual_mov_b32 v12, v14
	v_cmpx_ne_u16_e32 0, v5
	s_cbranch_execz .LBB255_541
; %bb.534:                              ;   in Loop: Header=BB255_294 Depth=1
	v_bfrev_b32_e32 v11, 1
	v_mov_b32_e32 v12, 0
	s_mov_b32 s20, exec_lo
	v_cmpx_ne_u16_e32 0x80, v5
	s_cbranch_execz .LBB255_540
; %bb.535:                              ;   in Loop: Header=BB255_294 Depth=1
	v_mov_b32_e32 v11, 0x7f800001
	v_dual_mov_b32 v12, 0 :: v_dual_and_b32 v15, 0x7f, v67
	s_mov_b32 s21, exec_lo
	s_delay_alu instid0(VALU_DEP_1)
	v_cmpx_ne_u32_e32 0x7f, v15
	s_cbranch_execz .LBB255_539
; %bb.536:                              ;   in Loop: Header=BB255_294 Depth=1
	v_and_b32_e32 v5, 7, v67
	v_lshrrev_b32_e32 v11, 3, v15
	s_mov_b32 s22, exec_lo
	v_cmpx_gt_u32_e32 8, v15
; %bb.537:                              ;   in Loop: Header=BB255_294 Depth=1
	s_delay_alu instid0(VALU_DEP_3) | instskip(NEXT) | instid1(VALU_DEP_1)
	v_clz_i32_u32_e32 v11, v5
	v_min_u32_e32 v11, 32, v11
	s_delay_alu instid0(VALU_DEP_1) | instskip(SKIP_1) | instid1(VALU_DEP_2)
	v_subrev_nc_u32_e32 v12, 28, v11
	v_sub_nc_u32_e32 v11, 29, v11
	v_lshlrev_b64 v[15:16], v12, v[5:6]
	s_delay_alu instid0(VALU_DEP_1)
	v_and_b32_e32 v5, 7, v15
; %bb.538:                              ;   in Loop: Header=BB255_294 Depth=1
	s_or_b32 exec_lo, exec_lo, s22
	v_lshlrev_b32_e32 v12, 24, v67
	s_delay_alu instid0(VALU_DEP_2) | instskip(SKIP_1) | instid1(VALU_DEP_3)
	v_lshlrev_b32_e32 v5, 20, v5
	v_lshl_add_u32 v11, v11, 23, 0x3c000000
	v_and_b32_e32 v12, 0x80000000, v12
	s_delay_alu instid0(VALU_DEP_1) | instskip(NEXT) | instid1(VALU_DEP_1)
	v_or3_b32 v5, v5, v12, v11
	v_dual_mov_b32 v12, v6 :: v_dual_mov_b32 v11, v5
.LBB255_539:                            ;   in Loop: Header=BB255_294 Depth=1
	s_or_b32 exec_lo, exec_lo, s21
.LBB255_540:                            ;   in Loop: Header=BB255_294 Depth=1
	s_delay_alu instid0(SALU_CYCLE_1)
	s_or_b32 exec_lo, exec_lo, s20
.LBB255_541:                            ;   in Loop: Header=BB255_294 Depth=1
	s_delay_alu instid0(SALU_CYCLE_1) | instskip(SKIP_2) | instid1(VALU_DEP_1)
	s_or_b32 exec_lo, exec_lo, s2
	v_lshrrev_b16 v5, 8, v67
	s_mov_b32 s20, exec_lo
	v_cmpx_ne_u16_e32 0, v5
	s_cbranch_execz .LBB255_549
; %bb.542:                              ;   in Loop: Header=BB255_294 Depth=1
	v_dual_mov_b32 v14, s9 :: v_dual_mov_b32 v13, s8
	s_mov_b32 s21, exec_lo
	v_cmpx_ne_u16_e32 0x80, v5
	s_cbranch_execz .LBB255_548
; %bb.543:                              ;   in Loop: Header=BB255_294 Depth=1
	s_mov_b32 s2, s8
	v_dual_mov_b32 v14, s3 :: v_dual_and_b32 v5, 0xffff, v5
	v_mov_b32_e32 v13, s2
	s_mov_b32 s2, exec_lo
	s_delay_alu instid0(VALU_DEP_2) | instskip(NEXT) | instid1(VALU_DEP_1)
	v_and_b32_e32 v15, 0x7f, v5
	v_cmpx_ne_u32_e32 0x7f, v15
	s_cbranch_execz .LBB255_547
; %bb.544:                              ;   in Loop: Header=BB255_294 Depth=1
	v_and_b32_e32 v5, 7, v5
	v_lshrrev_b32_e32 v13, 3, v15
	s_mov_b32 s22, exec_lo
	v_cmpx_gt_u32_e32 8, v15
; %bb.545:                              ;   in Loop: Header=BB255_294 Depth=1
	s_delay_alu instid0(VALU_DEP_3) | instskip(NEXT) | instid1(VALU_DEP_1)
	v_clz_i32_u32_e32 v13, v5
	v_min_u32_e32 v13, 32, v13
	s_delay_alu instid0(VALU_DEP_1) | instskip(SKIP_1) | instid1(VALU_DEP_2)
	v_subrev_nc_u32_e32 v14, 28, v13
	v_sub_nc_u32_e32 v13, 29, v13
	v_lshlrev_b64 v[14:15], v14, v[5:6]
	s_delay_alu instid0(VALU_DEP_1)
	v_and_b32_e32 v5, 7, v14
; %bb.546:                              ;   in Loop: Header=BB255_294 Depth=1
	s_or_b32 exec_lo, exec_lo, s22
	v_lshlrev_b32_e32 v14, 16, v67
	s_delay_alu instid0(VALU_DEP_2) | instskip(SKIP_1) | instid1(VALU_DEP_3)
	v_lshlrev_b32_e32 v5, 20, v5
	v_lshl_add_u32 v13, v13, 23, 0x3c000000
	v_and_b32_e32 v14, 0x80000000, v14
	s_delay_alu instid0(VALU_DEP_1)
	v_or3_b32 v14, v5, v14, v13
	v_mov_b32_e32 v13, v6
.LBB255_547:                            ;   in Loop: Header=BB255_294 Depth=1
	s_or_b32 exec_lo, exec_lo, s2
.LBB255_548:                            ;   in Loop: Header=BB255_294 Depth=1
	s_delay_alu instid0(SALU_CYCLE_1)
	s_or_b32 exec_lo, exec_lo, s21
.LBB255_549:                            ;   in Loop: Header=BB255_294 Depth=1
	s_delay_alu instid0(SALU_CYCLE_1) | instskip(SKIP_4) | instid1(VALU_DEP_2)
	s_or_b32 exec_lo, exec_lo, s20
	v_mov_b32_e32 v17, 0
	v_lshrrev_b32_e32 v68, 16, v67
	v_mov_b32_e32 v18, 0
	s_mov_b32 s2, exec_lo
	v_and_b32_e32 v5, 0xff, v68
	s_delay_alu instid0(VALU_DEP_2) | instskip(NEXT) | instid1(VALU_DEP_2)
	v_dual_mov_b32 v15, v17 :: v_dual_mov_b32 v16, v18
	v_cmpx_ne_u16_e32 0, v5
	s_cbranch_execz .LBB255_557
; %bb.550:                              ;   in Loop: Header=BB255_294 Depth=1
	v_bfrev_b32_e32 v15, 1
	v_mov_b32_e32 v16, 0
	s_mov_b32 s20, exec_lo
	v_cmpx_ne_u16_e32 0x80, v5
	s_cbranch_execz .LBB255_556
; %bb.551:                              ;   in Loop: Header=BB255_294 Depth=1
	v_mov_b32_e32 v15, 0x7f800001
	v_bfe_u32 v69, v67, 16, 7
	v_mov_b32_e32 v16, 0
	s_mov_b32 s21, exec_lo
	s_delay_alu instid0(VALU_DEP_2)
	v_cmpx_ne_u32_e32 0x7f, v69
	s_cbranch_execz .LBB255_555
; %bb.552:                              ;   in Loop: Header=BB255_294 Depth=1
	v_and_b32_e32 v5, 7, v68
	v_lshrrev_b32_e32 v15, 3, v69
	s_mov_b32 s22, exec_lo
	v_cmpx_gt_u32_e32 8, v69
; %bb.553:                              ;   in Loop: Header=BB255_294 Depth=1
	s_delay_alu instid0(VALU_DEP_3) | instskip(NEXT) | instid1(VALU_DEP_1)
	v_clz_i32_u32_e32 v15, v5
	v_min_u32_e32 v15, 32, v15
	s_delay_alu instid0(VALU_DEP_1) | instskip(SKIP_1) | instid1(VALU_DEP_2)
	v_subrev_nc_u32_e32 v16, 28, v15
	v_sub_nc_u32_e32 v15, 29, v15
	v_lshlrev_b64 v[69:70], v16, v[5:6]
	s_delay_alu instid0(VALU_DEP_1)
	v_and_b32_e32 v5, 7, v69
; %bb.554:                              ;   in Loop: Header=BB255_294 Depth=1
	s_or_b32 exec_lo, exec_lo, s22
	v_lshlrev_b32_e32 v16, 24, v68
	s_delay_alu instid0(VALU_DEP_2) | instskip(SKIP_1) | instid1(VALU_DEP_3)
	v_lshlrev_b32_e32 v5, 20, v5
	v_lshl_add_u32 v15, v15, 23, 0x3c000000
	v_and_b32_e32 v16, 0x80000000, v16
	s_delay_alu instid0(VALU_DEP_1) | instskip(NEXT) | instid1(VALU_DEP_1)
	v_or3_b32 v5, v5, v16, v15
	v_dual_mov_b32 v16, v6 :: v_dual_mov_b32 v15, v5
.LBB255_555:                            ;   in Loop: Header=BB255_294 Depth=1
	s_or_b32 exec_lo, exec_lo, s21
.LBB255_556:                            ;   in Loop: Header=BB255_294 Depth=1
	s_delay_alu instid0(SALU_CYCLE_1)
	s_or_b32 exec_lo, exec_lo, s20
.LBB255_557:                            ;   in Loop: Header=BB255_294 Depth=1
	s_delay_alu instid0(SALU_CYCLE_1) | instskip(NEXT) | instid1(SALU_CYCLE_1)
	s_or_b32 exec_lo, exec_lo, s2
	s_mov_b32 s20, exec_lo
	v_cmpx_lt_u32_e32 0xffffff, v67
	s_cbranch_execz .LBB255_565
; %bb.558:                              ;   in Loop: Header=BB255_294 Depth=1
	v_lshrrev_b32_e32 v68, 24, v67
	v_dual_mov_b32 v18, s9 :: v_dual_mov_b32 v17, s8
	s_mov_b32 s21, exec_lo
	s_delay_alu instid0(VALU_DEP_2)
	v_cmpx_ne_u32_e32 0x80, v68
	s_cbranch_execz .LBB255_564
; %bb.559:                              ;   in Loop: Header=BB255_294 Depth=1
	s_mov_b32 s2, s8
	v_bfe_u32 v67, v67, 24, 7
	v_dual_mov_b32 v18, s3 :: v_dual_mov_b32 v17, s2
	s_mov_b32 s2, exec_lo
	s_delay_alu instid0(VALU_DEP_2)
	v_cmpx_ne_u32_e32 0x7f, v67
	s_cbranch_execz .LBB255_563
; %bb.560:                              ;   in Loop: Header=BB255_294 Depth=1
	v_and_b32_e32 v5, 7, v68
	v_lshrrev_b32_e32 v17, 3, v67
	s_mov_b32 s22, exec_lo
	v_cmpx_gt_u32_e32 8, v67
; %bb.561:                              ;   in Loop: Header=BB255_294 Depth=1
	s_delay_alu instid0(VALU_DEP_3) | instskip(NEXT) | instid1(VALU_DEP_1)
	v_clz_i32_u32_e32 v17, v5
	v_min_u32_e32 v17, 32, v17
	s_delay_alu instid0(VALU_DEP_1) | instskip(SKIP_1) | instid1(VALU_DEP_2)
	v_subrev_nc_u32_e32 v18, 28, v17
	v_sub_nc_u32_e32 v17, 29, v17
	v_lshlrev_b64 v[69:70], v18, v[5:6]
	s_delay_alu instid0(VALU_DEP_1)
	v_and_b32_e32 v5, 7, v69
; %bb.562:                              ;   in Loop: Header=BB255_294 Depth=1
	s_or_b32 exec_lo, exec_lo, s22
	v_lshlrev_b32_e32 v18, 24, v68
	s_delay_alu instid0(VALU_DEP_2) | instskip(SKIP_1) | instid1(VALU_DEP_3)
	v_lshlrev_b32_e32 v5, 20, v5
	v_lshl_add_u32 v17, v17, 23, 0x3c000000
	v_and_b32_e32 v18, 0x80000000, v18
	s_delay_alu instid0(VALU_DEP_1)
	v_or3_b32 v18, v5, v18, v17
	v_mov_b32_e32 v17, v6
.LBB255_563:                            ;   in Loop: Header=BB255_294 Depth=1
	s_or_b32 exec_lo, exec_lo, s2
.LBB255_564:                            ;   in Loop: Header=BB255_294 Depth=1
	s_delay_alu instid0(SALU_CYCLE_1)
	s_or_b32 exec_lo, exec_lo, s21
.LBB255_565:                            ;   in Loop: Header=BB255_294 Depth=1
	s_delay_alu instid0(SALU_CYCLE_1) | instskip(SKIP_4) | instid1(VALU_DEP_3)
	s_or_b32 exec_lo, exec_lo, s20
	v_or_b32_e32 v5, v14, v12
	v_or_b32_e32 v11, v13, v11
	;; [unrolled: 1-line block ×4, first 2 shown]
	v_dual_mul_f32 v13, s18, v5 :: v_dual_mul_f32 v12, s17, v11
	s_delay_alu instid0(VALU_DEP_3) | instskip(NEXT) | instid1(VALU_DEP_3)
	v_mul_f32_e32 v5, s18, v14
	v_mul_f32_e32 v11, s17, v15
	s_and_saveexec_b32 s0, vcc_lo
	s_cbranch_execz .LBB255_292
; %bb.566:                              ;   in Loop: Header=BB255_294 Depth=1
	v_cmp_gt_i32_e32 vcc_lo, s33, v41
	v_cndmask_b32_e32 v12, 0, v12, vcc_lo
	v_cmp_gt_i32_e32 vcc_lo, s33, v44
	v_cndmask_b32_e32 v13, 0, v13, vcc_lo
	;; [unrolled: 2-line block ×4, first 2 shown]
	s_branch .LBB255_292
.LBB255_567:
	s_or_b32 exec_lo, exec_lo, s13
.LBB255_568:
	s_delay_alu instid0(SALU_CYCLE_1)
	s_or_b32 exec_lo, exec_lo, s1
	ds_bpermute_b32 v1, v23, v25
	ds_bpermute_b32 v2, v23, v31
	;; [unrolled: 1-line block ×8, first 2 shown]
	s_mov_b32 s0, exec_lo
	s_waitcnt lgkmcnt(0)
	s_waitcnt_vscnt null, 0x0
	s_barrier
	buffer_gl0_inv
	v_dual_add_f32 v1, v25, v1 :: v_dual_add_f32 v2, v31, v2
	v_dual_add_f32 v3, v30, v3 :: v_dual_add_f32 v4, v28, v4
	;; [unrolled: 1-line block ×4, first 2 shown]
	ds_bpermute_b32 v9, v22, v1
	ds_bpermute_b32 v10, v22, v2
	;; [unrolled: 1-line block ×8, first 2 shown]
	s_waitcnt lgkmcnt(6)
	v_dual_add_f32 v1, v1, v9 :: v_dual_add_f32 v2, v2, v10
	s_waitcnt lgkmcnt(4)
	v_dual_add_f32 v3, v3, v11 :: v_dual_add_f32 v4, v4, v12
	s_waitcnt lgkmcnt(2)
	v_dual_add_f32 v10, v5, v13 :: v_dual_add_f32 v11, v6, v14
	s_waitcnt lgkmcnt(0)
	v_dual_add_f32 v12, v7, v15 :: v_dual_add_f32 v13, v8, v16
	ds_bpermute_b32 v5, v21, v1
	ds_bpermute_b32 v6, v21, v2
	;; [unrolled: 1-line block ×8, first 2 shown]
	v_lshrrev_b32_e32 v9, 3, v106
	v_and_b32_e32 v20, 0x3c7, v0
	s_waitcnt lgkmcnt(6)
	v_dual_add_f32 v8, v1, v5 :: v_dual_add_f32 v7, v2, v6
	s_waitcnt lgkmcnt(4)
	v_dual_add_f32 v6, v3, v14 :: v_dual_add_f32 v5, v4, v15
	;; [unrolled: 2-line block ×4, first 2 shown]
	v_cmpx_eq_u32_e32 64, v20
	s_cbranch_execz .LBB255_570
; %bb.569:
	v_lshl_add_u32 v10, v105, 7, 0xa0
	v_lshlrev_b32_e32 v11, 2, v9
	s_delay_alu instid0(VALU_DEP_1)
	v_add3_u32 v10, v10, v11, 0xffffff00
	ds_store_2addr_b32 v10, v8, v7 offset1:4
	ds_store_2addr_b32 v10, v6, v5 offset0:8 offset1:12
	ds_store_2addr_b32 v10, v4, v3 offset0:16 offset1:20
	;; [unrolled: 1-line block ×3, first 2 shown]
.LBB255_570:
	s_or_b32 exec_lo, exec_lo, s0
	v_and_b32_e32 v10, 0x3e0, v0
	v_cmp_eq_u32_e32 vcc_lo, 0, v24
	s_mov_b32 s1, exec_lo
	s_waitcnt lgkmcnt(0)
	s_barrier
	v_lshl_add_u32 v10, v10, 2, 0xa0
	buffer_gl0_inv
	v_cmpx_gt_u32_e32 64, v0
	s_cbranch_execz .LBB255_581
; %bb.571:
	s_and_saveexec_b32 s0, vcc_lo
	s_cbranch_execnz .LBB255_597
; %bb.572:
	s_or_b32 exec_lo, exec_lo, s0
	s_and_saveexec_b32 s0, vcc_lo
	s_cbranch_execnz .LBB255_598
.LBB255_573:
	s_or_b32 exec_lo, exec_lo, s0
	s_and_saveexec_b32 s0, vcc_lo
	s_cbranch_execnz .LBB255_599
.LBB255_574:
	s_or_b32 exec_lo, exec_lo, s0
	s_and_saveexec_b32 s0, vcc_lo
	s_cbranch_execnz .LBB255_600
.LBB255_575:
	s_or_b32 exec_lo, exec_lo, s0
	s_and_saveexec_b32 s0, vcc_lo
	s_cbranch_execnz .LBB255_601
.LBB255_576:
	s_or_b32 exec_lo, exec_lo, s0
	s_and_saveexec_b32 s0, vcc_lo
	s_cbranch_execnz .LBB255_602
.LBB255_577:
	s_or_b32 exec_lo, exec_lo, s0
	s_and_saveexec_b32 s0, vcc_lo
	s_cbranch_execnz .LBB255_603
.LBB255_578:
	s_or_b32 exec_lo, exec_lo, s0
	s_and_saveexec_b32 s0, vcc_lo
	s_cbranch_execz .LBB255_580
.LBB255_579:
	v_lshl_add_u32 v11, v9, 2, v10
	ds_load_b32 v11, v11 offset:112
	s_waitcnt lgkmcnt(0)
	v_add_f32_e32 v1, v1, v11
.LBB255_580:
	s_or_b32 exec_lo, exec_lo, s0
.LBB255_581:
	s_delay_alu instid0(SALU_CYCLE_1)
	s_or_b32 exec_lo, exec_lo, s1
	v_and_b32_e32 v11, 0x3e7, v0
	s_mov_b32 s1, exec_lo
	s_barrier
	buffer_gl0_inv
	v_cmpx_eq_u32_e32 32, v11
	s_cbranch_execz .LBB255_583
; %bb.582:
	v_lshl_add_u32 v12, v9, 2, 0xa0
	ds_store_2addr_b32 v12, v8, v7 offset1:4
	ds_store_2addr_b32 v12, v6, v5 offset0:8 offset1:12
	ds_store_2addr_b32 v12, v4, v3 offset0:16 offset1:20
	;; [unrolled: 1-line block ×3, first 2 shown]
.LBB255_583:
	s_or_b32 exec_lo, exec_lo, s1
	s_delay_alu instid0(SALU_CYCLE_1)
	s_mov_b32 s1, exec_lo
	s_waitcnt lgkmcnt(0)
	s_barrier
	buffer_gl0_inv
	v_cmpx_gt_u32_e32 32, v0
	s_cbranch_execz .LBB255_594
; %bb.584:
	v_lshl_add_u32 v9, v9, 2, v10
	s_and_saveexec_b32 s0, vcc_lo
	s_cbranch_execnz .LBB255_604
; %bb.585:
	s_or_b32 exec_lo, exec_lo, s0
	s_and_saveexec_b32 s0, vcc_lo
	s_cbranch_execnz .LBB255_605
.LBB255_586:
	s_or_b32 exec_lo, exec_lo, s0
	s_and_saveexec_b32 s0, vcc_lo
	s_cbranch_execnz .LBB255_606
.LBB255_587:
	s_or_b32 exec_lo, exec_lo, s0
	s_and_saveexec_b32 s0, vcc_lo
	s_cbranch_execnz .LBB255_607
.LBB255_588:
	s_or_b32 exec_lo, exec_lo, s0
	s_and_saveexec_b32 s0, vcc_lo
	s_cbranch_execnz .LBB255_608
.LBB255_589:
	s_or_b32 exec_lo, exec_lo, s0
	s_and_saveexec_b32 s0, vcc_lo
	s_cbranch_execnz .LBB255_609
.LBB255_590:
	s_or_b32 exec_lo, exec_lo, s0
	s_and_saveexec_b32 s0, vcc_lo
	s_cbranch_execnz .LBB255_610
.LBB255_591:
	s_or_b32 exec_lo, exec_lo, s0
	s_and_saveexec_b32 s0, vcc_lo
	s_cbranch_execz .LBB255_593
.LBB255_592:
	ds_load_b32 v9, v9 offset:112
	s_waitcnt lgkmcnt(0)
	v_add_f32_e32 v1, v1, v9
.LBB255_593:
	s_or_b32 exec_lo, exec_lo, s0
.LBB255_594:
	s_delay_alu instid0(SALU_CYCLE_1)
	s_or_b32 exec_lo, exec_lo, s1
	s_barrier
	buffer_gl0_inv
	s_mov_b32 s0, exec_lo
	v_cmpx_eq_u32_e32 0, v11
	s_cbranch_execz .LBB255_596
; %bb.595:
	s_lshl_b32 s0, s4, 5
	s_mul_i32 s2, s15, s24
	s_ashr_i32 s1, s0, 31
	v_lshrrev_b32_e32 v0, 1, v0
	s_lshl_b64 s[0:1], s[0:1], 2
	s_delay_alu instid0(SALU_CYCLE_1) | instskip(SKIP_2) | instid1(SALU_CYCLE_1)
	s_add_u32 s4, s26, s0
	s_addc_u32 s5, s27, s1
	s_ashr_i32 s3, s2, 31
	s_lshl_b64 s[0:1], s[2:3], 2
	s_delay_alu instid0(SALU_CYCLE_1) | instskip(SKIP_2) | instid1(SALU_CYCLE_1)
	s_add_u32 s2, s4, s0
	s_addc_u32 s3, s5, s1
	s_lshl_b32 s0, s12, 5
	s_ashr_i32 s1, s0, 31
	s_delay_alu instid0(SALU_CYCLE_1) | instskip(NEXT) | instid1(SALU_CYCLE_1)
	s_lshl_b64 s[0:1], s[0:1], 2
	s_add_u32 s0, s2, s0
	s_addc_u32 s1, s3, s1
	s_clause 0x7
	global_store_b32 v0, v8, s[0:1]
	global_store_b32 v0, v7, s[0:1] offset:16
	global_store_b32 v0, v6, s[0:1] offset:32
	;; [unrolled: 1-line block ×7, first 2 shown]
.LBB255_596:
	s_nop 0
	s_sendmsg sendmsg(MSG_DEALLOC_VGPRS)
	s_endpgm
.LBB255_597:
	v_lshl_add_u32 v11, v9, 2, v10
	ds_load_b32 v11, v11
	s_waitcnt lgkmcnt(0)
	v_add_f32_e32 v8, v8, v11
	s_or_b32 exec_lo, exec_lo, s0
	s_and_saveexec_b32 s0, vcc_lo
	s_cbranch_execz .LBB255_573
.LBB255_598:
	v_lshl_add_u32 v11, v9, 2, v10
	ds_load_b32 v11, v11 offset:16
	s_waitcnt lgkmcnt(0)
	v_add_f32_e32 v7, v7, v11
	s_or_b32 exec_lo, exec_lo, s0
	s_and_saveexec_b32 s0, vcc_lo
	s_cbranch_execz .LBB255_574
.LBB255_599:
	v_lshl_add_u32 v11, v9, 2, v10
	ds_load_b32 v11, v11 offset:32
	s_waitcnt lgkmcnt(0)
	v_add_f32_e32 v6, v6, v11
	s_or_b32 exec_lo, exec_lo, s0
	s_and_saveexec_b32 s0, vcc_lo
	s_cbranch_execz .LBB255_575
.LBB255_600:
	v_lshl_add_u32 v11, v9, 2, v10
	ds_load_b32 v11, v11 offset:48
	s_waitcnt lgkmcnt(0)
	v_add_f32_e32 v5, v5, v11
	s_or_b32 exec_lo, exec_lo, s0
	s_and_saveexec_b32 s0, vcc_lo
	s_cbranch_execz .LBB255_576
.LBB255_601:
	v_lshl_add_u32 v11, v9, 2, v10
	ds_load_b32 v11, v11 offset:64
	s_waitcnt lgkmcnt(0)
	v_add_f32_e32 v4, v4, v11
	s_or_b32 exec_lo, exec_lo, s0
	s_and_saveexec_b32 s0, vcc_lo
	s_cbranch_execz .LBB255_577
.LBB255_602:
	v_lshl_add_u32 v11, v9, 2, v10
	ds_load_b32 v11, v11 offset:80
	s_waitcnt lgkmcnt(0)
	v_add_f32_e32 v3, v3, v11
	s_or_b32 exec_lo, exec_lo, s0
	s_and_saveexec_b32 s0, vcc_lo
	s_cbranch_execz .LBB255_578
.LBB255_603:
	v_lshl_add_u32 v11, v9, 2, v10
	ds_load_b32 v11, v11 offset:96
	s_waitcnt lgkmcnt(0)
	v_add_f32_e32 v2, v2, v11
	s_or_b32 exec_lo, exec_lo, s0
	s_and_saveexec_b32 s0, vcc_lo
	s_cbranch_execnz .LBB255_579
	s_branch .LBB255_580
.LBB255_604:
	ds_load_b32 v10, v9
	s_waitcnt lgkmcnt(0)
	v_add_f32_e32 v8, v8, v10
	s_or_b32 exec_lo, exec_lo, s0
	s_and_saveexec_b32 s0, vcc_lo
	s_cbranch_execz .LBB255_586
.LBB255_605:
	ds_load_b32 v10, v9 offset:16
	s_waitcnt lgkmcnt(0)
	v_add_f32_e32 v7, v7, v10
	s_or_b32 exec_lo, exec_lo, s0
	s_and_saveexec_b32 s0, vcc_lo
	s_cbranch_execz .LBB255_587
.LBB255_606:
	ds_load_b32 v10, v9 offset:32
	s_waitcnt lgkmcnt(0)
	v_add_f32_e32 v6, v6, v10
	s_or_b32 exec_lo, exec_lo, s0
	s_and_saveexec_b32 s0, vcc_lo
	s_cbranch_execz .LBB255_588
.LBB255_607:
	ds_load_b32 v10, v9 offset:48
	s_waitcnt lgkmcnt(0)
	v_add_f32_e32 v5, v5, v10
	s_or_b32 exec_lo, exec_lo, s0
	s_and_saveexec_b32 s0, vcc_lo
	s_cbranch_execz .LBB255_589
.LBB255_608:
	ds_load_b32 v10, v9 offset:64
	s_waitcnt lgkmcnt(0)
	v_add_f32_e32 v4, v4, v10
	s_or_b32 exec_lo, exec_lo, s0
	s_and_saveexec_b32 s0, vcc_lo
	s_cbranch_execz .LBB255_590
.LBB255_609:
	ds_load_b32 v10, v9 offset:80
	s_waitcnt lgkmcnt(0)
	v_add_f32_e32 v3, v3, v10
	s_or_b32 exec_lo, exec_lo, s0
	s_and_saveexec_b32 s0, vcc_lo
	s_cbranch_execz .LBB255_591
.LBB255_610:
	ds_load_b32 v10, v9 offset:96
	s_waitcnt lgkmcnt(0)
	v_add_f32_e32 v2, v2, v10
	s_or_b32 exec_lo, exec_lo, s0
	s_and_saveexec_b32 s0, vcc_lo
	s_cbranch_execnz .LBB255_592
	s_branch .LBB255_593
	.section	.rodata,"a",@progbits
	.p2align	6, 0x0
	.amdhsa_kernel _ZN4vllm25paged_attention_v2_kernelIfhLi32ELi32ELi128ELNS_18Fp8KVCacheDataTypeE1ELb1ELi512EEEvPfS2_PT_PKS3_PKT0_S9_ifPKiSB_iPKfiiiSD_SD_iiiii
		.amdhsa_group_segment_fixed_size 160
		.amdhsa_private_segment_fixed_size 0
		.amdhsa_kernarg_size 400
		.amdhsa_user_sgpr_count 13
		.amdhsa_user_sgpr_dispatch_ptr 0
		.amdhsa_user_sgpr_queue_ptr 0
		.amdhsa_user_sgpr_kernarg_segment_ptr 1
		.amdhsa_user_sgpr_dispatch_id 0
		.amdhsa_user_sgpr_private_segment_size 0
		.amdhsa_wavefront_size32 1
		.amdhsa_uses_dynamic_stack 0
		.amdhsa_enable_private_segment 0
		.amdhsa_system_sgpr_workgroup_id_x 1
		.amdhsa_system_sgpr_workgroup_id_y 1
		.amdhsa_system_sgpr_workgroup_id_z 1
		.amdhsa_system_sgpr_workgroup_info 0
		.amdhsa_system_vgpr_workitem_id 0
		.amdhsa_next_free_vgpr 120
		.amdhsa_next_free_sgpr 55
		.amdhsa_reserve_vcc 1
		.amdhsa_float_round_mode_32 0
		.amdhsa_float_round_mode_16_64 0
		.amdhsa_float_denorm_mode_32 3
		.amdhsa_float_denorm_mode_16_64 3
		.amdhsa_dx10_clamp 1
		.amdhsa_ieee_mode 1
		.amdhsa_fp16_overflow 0
		.amdhsa_workgroup_processor_mode 1
		.amdhsa_memory_ordered 1
		.amdhsa_forward_progress 0
		.amdhsa_shared_vgpr_count 0
		.amdhsa_exception_fp_ieee_invalid_op 0
		.amdhsa_exception_fp_denorm_src 0
		.amdhsa_exception_fp_ieee_div_zero 0
		.amdhsa_exception_fp_ieee_overflow 0
		.amdhsa_exception_fp_ieee_underflow 0
		.amdhsa_exception_fp_ieee_inexact 0
		.amdhsa_exception_int_div_zero 0
	.end_amdhsa_kernel
	.section	.text._ZN4vllm25paged_attention_v2_kernelIfhLi32ELi32ELi128ELNS_18Fp8KVCacheDataTypeE1ELb1ELi512EEEvPfS2_PT_PKS3_PKT0_S9_ifPKiSB_iPKfiiiSD_SD_iiiii,"axG",@progbits,_ZN4vllm25paged_attention_v2_kernelIfhLi32ELi32ELi128ELNS_18Fp8KVCacheDataTypeE1ELb1ELi512EEEvPfS2_PT_PKS3_PKT0_S9_ifPKiSB_iPKfiiiSD_SD_iiiii,comdat
.Lfunc_end255:
	.size	_ZN4vllm25paged_attention_v2_kernelIfhLi32ELi32ELi128ELNS_18Fp8KVCacheDataTypeE1ELb1ELi512EEEvPfS2_PT_PKS3_PKT0_S9_ifPKiSB_iPKfiiiSD_SD_iiiii, .Lfunc_end255-_ZN4vllm25paged_attention_v2_kernelIfhLi32ELi32ELi128ELNS_18Fp8KVCacheDataTypeE1ELb1ELi512EEEvPfS2_PT_PKS3_PKT0_S9_ifPKiSB_iPKfiiiSD_SD_iiiii
                                        ; -- End function
	.section	.AMDGPU.csdata,"",@progbits
; Kernel info:
; codeLenInByte = 21220
; NumSgprs: 57
; NumVgprs: 120
; ScratchSize: 0
; MemoryBound: 0
; FloatMode: 240
; IeeeMode: 1
; LDSByteSize: 160 bytes/workgroup (compile time only)
; SGPRBlocks: 7
; VGPRBlocks: 14
; NumSGPRsForWavesPerEU: 57
; NumVGPRsForWavesPerEU: 120
; Occupancy: 12
; WaveLimiterHint : 1
; COMPUTE_PGM_RSRC2:SCRATCH_EN: 0
; COMPUTE_PGM_RSRC2:USER_SGPR: 13
; COMPUTE_PGM_RSRC2:TRAP_HANDLER: 0
; COMPUTE_PGM_RSRC2:TGID_X_EN: 1
; COMPUTE_PGM_RSRC2:TGID_Y_EN: 1
; COMPUTE_PGM_RSRC2:TGID_Z_EN: 1
; COMPUTE_PGM_RSRC2:TIDIG_COMP_CNT: 0
	.text
	.p2align	2                               ; -- Begin function _ZN4vllm22paged_attention_kernelIfhLi64ELi32ELi128ELNS_18Fp8KVCacheDataTypeE1ELb1ELi512EEEvPfS2_PT_PKS3_PKT0_S9_ifPKiSB_iPKfiiiSD_SD_iiiii
	.type	_ZN4vllm22paged_attention_kernelIfhLi64ELi32ELi128ELNS_18Fp8KVCacheDataTypeE1ELb1ELi512EEEvPfS2_PT_PKS3_PKT0_S9_ifPKiSB_iPKfiiiSD_SD_iiiii,@function
_ZN4vllm22paged_attention_kernelIfhLi64ELi32ELi128ELNS_18Fp8KVCacheDataTypeE1ELb1ELi512EEEvPfS2_PT_PKS3_PKT0_S9_ifPKiSB_iPKfiiiSD_SD_iiiii: ; @_ZN4vllm22paged_attention_kernelIfhLi64ELi32ELi128ELNS_18Fp8KVCacheDataTypeE1ELb1ELi512EEEvPfS2_PT_PKS3_PKT0_S9_ifPKiSB_iPKfiiiSD_SD_iiiii
; %bb.0:
	s_waitcnt vmcnt(0) expcnt(0) lgkmcnt(0)
	s_clause 0x1f
	scratch_store_b32 off, v40, s32 offset:324
	; meta instruction
	scratch_store_b32 off, v41, s32 offset:320
	; meta instruction
	;; [unrolled: 2-line block ×31, first 2 shown]
	scratch_store_b32 off, v95, s32 offset:200
	s_clause 0x1f
	scratch_store_b32 off, v104, s32 offset:196
	; meta instruction
	scratch_store_b32 off, v105, s32 offset:192
	; meta instruction
	;; [unrolled: 2-line block ×31, first 2 shown]
	scratch_store_b32 off, v159, s32 offset:72
	s_clause 0xf
	scratch_store_b32 off, v168, s32 offset:68
	; meta instruction
	scratch_store_b32 off, v169, s32 offset:64
	; meta instruction
	;; [unrolled: 2-line block ×15, first 2 shown]
	scratch_store_b32 off, v191, s32 offset:8
	s_mov_b32 s10, s13
	s_ashr_i32 s11, s13, 31
	s_clause 0x3
	scratch_store_b64 off, v[26:27], s32 offset:372
	scratch_store_b64 off, v[24:25], s32 offset:380
	scratch_store_b32 off, v22, s32 offset:356
	scratch_store_b32 off, v13, s32 offset:388
	s_lshl_b64 s[0:1], s[10:11], 2
	v_dual_mov_b32 v25, v1 :: v_dual_mov_b32 v26, v0
	v_add_co_u32 v0, vcc_lo, v16, s0
	v_add_co_ci_u32_e32 v1, vcc_lo, s1, v17, vcc_lo
	v_dual_mov_b32 v27, v3 :: v_dual_mov_b32 v32, v2
	flat_load_b32 v38, v[0:1]
	s_clause 0x1
	scratch_load_b32 v2, off, s32 offset:4
	scratch_load_b32 v3, off, s32
	v_dual_mov_b32 v24, v11 :: v_dual_mov_b32 v37, v5
	v_dual_mov_b32 v64, v10 :: v_dual_mov_b32 v53, v4
	s_mov_b32 s6, s15
	s_lshl_b32 s15, s14, 9
	s_mov_b32 s18, exec_lo
	s_waitcnt vmcnt(2) lgkmcnt(0)
	v_cmpx_lt_i32_e64 s15, v38
	s_cbranch_execz .LBB256_1140
; %bb.1:
	v_sub_nc_u32_e32 v0, 0, v12
	s_clause 0x1
	s_load_b32 s0, s[8:9], 0x10
	s_load_b32 s1, s[8:9], 0x0
	s_delay_alu instid0(VALU_DEP_1) | instskip(NEXT) | instid1(VALU_DEP_1)
	v_max_i32_e32 v0, v12, v0
	v_cvt_f32_u32_e32 v1, v0
	v_sub_nc_u32_e32 v4, 0, v0
	s_delay_alu instid0(VALU_DEP_2) | instskip(SKIP_2) | instid1(SALU_CYCLE_1)
	v_rcp_iflag_f32_e32 v1, v1
	s_waitcnt lgkmcnt(0)
	s_lshr_b32 s0, s0, 16
	s_cmp_lg_u32 s0, 0
	s_cselect_b32 s0, -1, 0
	s_waitcnt_depctr 0xfff
	v_mul_f32_e32 v1, 0x4f7ffffe, v1
	s_cmp_lg_u32 s0, 0
	s_addc_u32 s11, s1, 0
	s_mov_b32 s1, exec_lo
	s_delay_alu instid0(VALU_DEP_1) | instskip(SKIP_1) | instid1(VALU_DEP_1)
	v_cvt_u32_f32_e32 v1, v1
	s_abs_i32 s0, s11
	v_mul_lo_u32 v4, v4, v1
	s_delay_alu instid0(VALU_DEP_1) | instskip(NEXT) | instid1(VALU_DEP_1)
	v_mul_hi_u32 v4, v1, v4
	v_add_nc_u32_e32 v1, v1, v4
	s_delay_alu instid0(VALU_DEP_1) | instskip(NEXT) | instid1(VALU_DEP_1)
	v_mul_hi_u32 v1, s0, v1
	v_mul_lo_u32 v4, v1, v0
	v_add_nc_u32_e32 v5, 1, v1
	s_delay_alu instid0(VALU_DEP_2) | instskip(SKIP_1) | instid1(VALU_DEP_1)
	v_sub_nc_u32_e32 v4, s0, v4
	s_abs_i32 s0, s12
	v_sub_nc_u32_e32 v10, v4, v0
	v_cmp_ge_u32_e32 vcc_lo, v4, v0
	s_delay_alu instid0(VALU_DEP_2) | instskip(SKIP_1) | instid1(VALU_DEP_2)
	v_dual_cndmask_b32 v1, v1, v5 :: v_dual_cndmask_b32 v4, v4, v10
	v_xor_b32_e32 v5, s11, v12
	v_add_nc_u32_e32 v10, 1, v1
	s_delay_alu instid0(VALU_DEP_3) | instskip(NEXT) | instid1(VALU_DEP_3)
	v_cmp_ge_u32_e32 vcc_lo, v4, v0
	v_ashrrev_i32_e32 v5, 31, v5
	s_delay_alu instid0(VALU_DEP_3) | instskip(NEXT) | instid1(VALU_DEP_1)
	v_cndmask_b32_e32 v0, v1, v10, vcc_lo
	v_xor_b32_e32 v0, v0, v5
	s_delay_alu instid0(VALU_DEP_1) | instskip(NEXT) | instid1(VALU_DEP_1)
	v_sub_nc_u32_e32 v5, v0, v5
	v_sub_nc_u32_e32 v0, 0, v5
	s_delay_alu instid0(VALU_DEP_1) | instskip(NEXT) | instid1(VALU_DEP_1)
	v_max_i32_e32 v4, v5, v0
	v_cvt_f32_u32_e32 v0, v4
	v_sub_nc_u32_e32 v1, 0, v4
	s_delay_alu instid0(VALU_DEP_2) | instskip(SKIP_2) | instid1(VALU_DEP_1)
	v_rcp_iflag_f32_e32 v0, v0
	s_waitcnt_depctr 0xfff
	v_mul_f32_e32 v0, 0x4f7ffffe, v0
	v_cvt_u32_f32_e32 v0, v0
	s_delay_alu instid0(VALU_DEP_1) | instskip(NEXT) | instid1(VALU_DEP_1)
	v_mul_lo_u32 v1, v1, v0
	v_mul_hi_u32 v1, v0, v1
	s_delay_alu instid0(VALU_DEP_1) | instskip(NEXT) | instid1(VALU_DEP_1)
	v_add_nc_u32_e32 v10, v0, v1
	v_mad_u64_u32 v[0:1], null, s0, v10, 0
	v_mov_b32_e32 v0, 0
	scratch_store_b32 off, v0, s32 offset:392 ; 4-byte Folded Spill
	v_cmpx_ne_u64_e32 0, v[19:20]
	s_cbranch_execz .LBB256_3
; %bb.2:
	s_ashr_i32 s13, s12, 31
	s_delay_alu instid0(SALU_CYCLE_1) | instskip(NEXT) | instid1(SALU_CYCLE_1)
	s_lshl_b64 s[2:3], s[12:13], 2
	v_add_co_u32 v10, vcc_lo, v19, s2
	v_add_co_ci_u32_e32 v11, vcc_lo, s3, v20, vcc_lo
	flat_load_b32 v0, v[10:11]
	s_waitcnt vmcnt(0) lgkmcnt(0)
	scratch_store_b32 off, v0, s32 offset:392 ; 4-byte Folded Spill
.LBB256_3:
	s_or_b32 exec_lo, exec_lo, s1
	v_and_b32_e32 v54, 0x3ff, v31
	v_ashrrev_i32_e32 v0, 31, v5
	s_ashr_i32 s1, s12, 31
	s_lshl_b32 s4, s12, 6
	s_mov_b32 s2, exec_lo
	v_cmpx_gt_u32_e32 16, v54
	s_cbranch_execz .LBB256_5
; %bb.4:
	v_mul_lo_u32 v10, s10, v21
	s_ashr_i32 s5, s4, 31
	v_lshlrev_b32_e32 v17, 4, v54
	s_lshl_b64 s[16:17], s[4:5], 2
	s_delay_alu instid0(VALU_DEP_2) | instskip(NEXT) | instid1(VALU_DEP_1)
	v_ashrrev_i32_e32 v11, 31, v10
	v_lshlrev_b64 v[10:11], 2, v[10:11]
	s_delay_alu instid0(VALU_DEP_1) | instskip(NEXT) | instid1(VALU_DEP_2)
	v_add_co_u32 v5, vcc_lo, v6, v10
	v_add_co_ci_u32_e32 v6, vcc_lo, v7, v11, vcc_lo
	s_delay_alu instid0(VALU_DEP_2) | instskip(NEXT) | instid1(VALU_DEP_2)
	v_add_co_u32 v5, vcc_lo, v5, s16
	v_add_co_ci_u32_e32 v6, vcc_lo, s17, v6, vcc_lo
	s_delay_alu instid0(VALU_DEP_2) | instskip(NEXT) | instid1(VALU_DEP_2)
	v_add_co_u32 v5, vcc_lo, v5, v17
	v_add_co_ci_u32_e32 v6, vcc_lo, 0, v6, vcc_lo
	flat_load_b128 v[19:22], v[5:6]
	s_waitcnt vmcnt(0) lgkmcnt(0)
	ds_store_b128 v17, v[19:22]
.LBB256_5:
	s_or_b32 exec_lo, exec_lo, s2
	s_waitcnt vmcnt(0)
	v_sub_nc_u32_e32 v5, 0, v3
	v_mul_lo_u32 v6, v1, v4
	v_xor_b32_e32 v16, s1, v0
	s_delay_alu instid0(VALU_DEP_3) | instskip(NEXT) | instid1(VALU_DEP_3)
	v_max_i32_e32 v10, v3, v5
	v_sub_nc_u32_e32 v6, s0, v6
	s_delay_alu instid0(VALU_DEP_2) | instskip(SKIP_1) | instid1(VALU_DEP_2)
	v_cvt_f32_u32_e32 v5, v10
	s_mov_b32 s0, exec_lo
	v_sub_nc_u32_e32 v11, v6, v4
	s_delay_alu instid0(VALU_DEP_2) | instskip(SKIP_3) | instid1(VALU_DEP_1)
	v_rcp_iflag_f32_e32 v5, v5
	v_cmp_ge_u32_e32 vcc_lo, v6, v4
	s_waitcnt_depctr 0xfff
	v_dual_cndmask_b32 v6, v6, v11 :: v_dual_mul_f32 v5, 0x4f7ffffe, v5
	v_cvt_u32_f32_e32 v7, v5
	v_sub_nc_u32_e32 v5, 0, v10
	s_delay_alu instid0(VALU_DEP_1) | instskip(SKIP_1) | instid1(VALU_DEP_2)
	v_mul_lo_u32 v13, v5, v7
	v_add_nc_u32_e32 v5, -1, v38
	v_mul_hi_u32 v11, v7, v13
	s_delay_alu instid0(VALU_DEP_2) | instskip(NEXT) | instid1(VALU_DEP_2)
	v_sub_nc_u32_e32 v13, 0, v5
	v_add_nc_u32_e32 v7, v7, v11
	scratch_store_b32 off, v10, s32 offset:328 ; 4-byte Folded Spill
	v_add_nc_u32_e32 v10, 1, v1
	scratch_store_b32 off, v7, s32 offset:348 ; 4-byte Folded Spill
	s_waitcnt lgkmcnt(0)
	s_waitcnt_vscnt null, 0x0
	v_cndmask_b32_e32 v1, v1, v10, vcc_lo
	v_cmp_ge_u32_e32 vcc_lo, v6, v4
	v_max_i32_e32 v4, v5, v13
	s_barrier
	buffer_gl0_inv
	v_add_nc_u32_e32 v10, 1, v1
	s_delay_alu instid0(VALU_DEP_1) | instskip(NEXT) | instid1(VALU_DEP_1)
	v_cndmask_b32_e32 v0, v1, v10, vcc_lo
	v_xor_b32_e32 v6, v0, v16
	v_mad_u64_u32 v[0:1], null, v4, v7, 0
	s_delay_alu instid0(VALU_DEP_2)
	v_sub_nc_u32_e32 v0, v6, v16
                                        ; implicit-def: $vgpr6
	scratch_store_b64 off, v[6:7], s32 offset:332 ; 8-byte Folded Spill
	v_cmpx_gt_i32_e32 0, v2
	s_xor_b32 s0, exec_lo, s0
	s_cbranch_execz .LBB256_7
; %bb.6:
	v_mad_u64_u32 v[6:7], null, v28, v12, v[0:1]
                                        ; implicit-def: $vgpr28
	s_delay_alu instid0(VALU_DEP_1) | instskip(NEXT) | instid1(VALU_DEP_1)
	v_mul_lo_u32 v2, v6, v2
	v_sub_nc_u32_e32 v2, 1, v2
	scratch_store_b64 off, v[2:3], s32 offset:332 ; 8-byte Folded Spill
                                        ; implicit-def: $vgpr2
.LBB256_7:
	s_or_saveexec_b32 s0, s0
	v_ashrrev_i32_e32 v5, 31, v5
	v_ashrrev_i32_e32 v3, 31, v3
	scratch_store_b32 off, v3, s32 offset:340 ; 4-byte Folded Spill
	s_xor_b32 exec_lo, exec_lo, s0
	s_cbranch_execz .LBB256_9
; %bb.8:
	v_mad_u64_u32 v[6:7], null, s11, v28, s[12:13]
	s_delay_alu instid0(VALU_DEP_1)
	v_mad_u64_u32 v[10:11], null, v6, v2, 1
	scratch_store_b64 off, v[10:11], s32 offset:332 ; 8-byte Folded Spill
.LBB256_9:
	s_or_b32 exec_lo, exec_lo, s0
	scratch_load_b32 v11, off, s32 offset:328 ; 4-byte Folded Reload
	s_clause 0x1
	s_load_b32 s19, s[8:9], 0x14
	s_load_b32 s5, s[8:9], 0x8
	scratch_load_b32 v7, off, s32 offset:340 ; 4-byte Folded Reload
	v_add_nc_u32_e32 v3, 31, v38
	v_dual_mov_b32 v19, 0xff7fffff :: v_dual_add_nc_u32 v6, 1, v1
	v_lshrrev_b32_e32 v55, 5, v54
	s_lshl_b32 s13, s14, 4
	v_mul_lo_u32 v13, v0, v23
	s_add_i32 s0, s13, 16
	v_sub_nc_u32_e32 v17, 0, v30
	v_lshl_add_u32 v23, v55, 5, s15
	v_add_nc_u32_e32 v144, s13, v55
	s_delay_alu instid0(VALU_DEP_1)
	v_ashrrev_i32_e32 v145, 31, v144
	s_waitcnt vmcnt(1)
	v_mul_lo_u32 v2, v1, v11
	s_waitcnt vmcnt(0)
	v_xor_b32_e32 v5, v5, v7
	v_ashrrev_i32_e32 v7, 31, v3
	s_delay_alu instid0(VALU_DEP_3) | instskip(SKIP_2) | instid1(VALU_DEP_3)
	v_sub_nc_u32_e32 v4, v4, v2
	v_mul_lo_u32 v2, s10, v18
	v_ashrrev_i32_e32 v18, 31, v13
	v_sub_nc_u32_e32 v10, v4, v11
	v_cmp_ge_u32_e32 vcc_lo, v4, v11
	v_cndmask_b32_e32 v1, v1, v6, vcc_lo
	s_delay_alu instid0(VALU_DEP_3) | instskip(SKIP_1) | instid1(VALU_DEP_3)
	v_cndmask_b32_e32 v4, v4, v10, vcc_lo
	v_lshrrev_b32_e32 v6, 27, v7
	v_add_nc_u32_e32 v7, 1, v1
	s_delay_alu instid0(VALU_DEP_3) | instskip(SKIP_1) | instid1(VALU_DEP_4)
	v_cmp_ge_u32_e32 vcc_lo, v4, v11
	v_and_b32_e32 v10, 31, v54
	v_add_nc_u32_e32 v3, v3, v6
	s_delay_alu instid0(VALU_DEP_4) | instskip(NEXT) | instid1(VALU_DEP_2)
	v_cndmask_b32_e32 v1, v1, v7, vcc_lo
	v_ashrrev_i32_e32 v16, 5, v3
	v_ashrrev_i32_e32 v3, 31, v2
	s_delay_alu instid0(VALU_DEP_3) | instskip(NEXT) | instid1(VALU_DEP_3)
	v_xor_b32_e32 v0, v1, v5
	v_min_i32_e32 v1, s0, v16
	s_delay_alu instid0(VALU_DEP_3) | instskip(NEXT) | instid1(VALU_DEP_3)
	v_lshlrev_b64 v[11:12], 2, v[2:3]
	v_sub_nc_u32_e32 v0, v0, v5
	scratch_store_b32 off, v1, s32 offset:344 ; 4-byte Folded Spill
	v_cmp_lt_i32_e64 s0, v144, v1
	v_sub_nc_u32_e32 v0, v0, v29
	s_clause 0x1
	scratch_store_b32 off, v0, s32 offset:352
	scratch_store_b32 off, v10, s32 offset:368
	v_lshlrev_b32_e32 v10, 2, v10
	s_and_saveexec_b32 s20, s0
	s_cbranch_execz .LBB256_529
; %bb.10:
	s_clause 0xb
	scratch_store_b32 off, v16, s32 offset:552
	scratch_store_b32 off, v32, s32 offset:536
	;; [unrolled: 1-line block ×12, first 2 shown]
	s_clause 0x1
	scratch_load_b32 v6, off, s32 offset:368
	scratch_load_b32 v1, off, s32 offset:392
	v_add_co_u32 v2, vcc_lo, v8, v13
	v_max_i32_e32 v30, v30, v17
	scratch_store_b32 off, v18, s32 offset:560 ; 4-byte Folded Spill
	v_add_co_ci_u32_e32 v3, vcc_lo, v9, v18, vcc_lo
	s_ashr_i32 s7, s6, 31
	v_cvt_f32_u32_e32 v0, v30
	s_getpc_b64 s[2:3]
	s_add_u32 s2, s2, llvm.amdgcn.dynlds.offset.table@rel32@lo+4
	s_addc_u32 s3, s3, llvm.amdgcn.dynlds.offset.table@rel32@hi+12
	s_lshl_b64 s[8:9], s[6:7], 2
	v_mov_b32_e32 v20, v144
	s_add_u32 s8, s8, s2
	v_rcp_iflag_f32_e32 v5, v0
	s_addc_u32 s9, s9, s3
	s_mov_b32 s16, 0
	s_brev_b32 s17, 1
	s_mov_b32 s3, 0x7f800001
	s_mov_b32 s21, s16
	v_mov_b32_e32 v29, 0
	ds_load_b128 v[16:19], v29
	s_waitcnt lgkmcnt(0)
	scratch_store_b128 off, v[16:19], s32 offset:404 ; 16-byte Folded Spill
	ds_load_b128 v[16:19], v29 offset:16
	scratch_store_b32 off, v13, s32 offset:548 ; 4-byte Folded Spill
	s_waitcnt lgkmcnt(0)
	scratch_store_b128 off, v[16:19], s32 offset:420 ; 16-byte Folded Spill
	ds_load_b128 v[16:19], v29 offset:32
	s_waitcnt lgkmcnt(0)
	scratch_store_b128 off, v[16:19], s32 offset:436 ; 16-byte Folded Spill
	ds_load_b128 v[16:19], v29 offset:48
	;; [unrolled: 3-line block ×3, first 2 shown]
	s_waitcnt lgkmcnt(0)
	scratch_store_b128 off, v[16:19], s32 offset:468 ; 16-byte Folded Spill
	s_waitcnt vmcnt(1)
	v_dual_mov_b32 v19, 0xff7fffff :: v_dual_lshlrev_b32 v4, 4, v6
	s_waitcnt vmcnt(0)
	v_cmp_neq_f32_e32 vcc_lo, 0, v1
	v_lshlrev_b64 v[0:1], 2, v[144:145]
	s_delay_alu instid0(VALU_DEP_3) | instskip(NEXT) | instid1(VALU_DEP_1)
	v_add_co_u32 v2, s1, v2, v4
	v_add_co_ci_u32_e64 v3, s1, 0, v3, s1
	v_mov_b32_e32 v4, v55
	s_delay_alu instid0(VALU_DEP_4)
	v_add_co_u32 v0, s1, v11, v0
	scratch_store_b64 off, v[2:3], s32 offset:396 ; 8-byte Folded Spill
	v_mul_f32_e32 v3, 0x4f7ffffe, v5
	v_sub_nc_u32_e32 v2, 0, v30
	v_add_co_ci_u32_e64 v1, s1, v12, v1, s1
	v_add_co_u32 v150, s1, v14, v0
	s_delay_alu instid0(VALU_DEP_4) | instskip(SKIP_1) | instid1(VALU_DEP_4)
	v_cvt_u32_f32_e32 v3, v3
	v_mov_b32_e32 v0, v10
	v_add_co_ci_u32_e64 v151, s1, v15, v1, s1
	v_lshl_add_u32 v10, v4, 5, s15
	s_delay_alu instid0(VALU_DEP_4) | instskip(NEXT) | instid1(VALU_DEP_4)
	v_mul_lo_u32 v2, v2, v3
	v_lshl_or_b32 v13, v4, 7, v0
	ds_load_b128 v[52:55], v29 offset:80
	ds_load_b128 v[64:67], v29 offset:96
	;; [unrolled: 1-line block ×11, first 2 shown]
	s_load_b32 s7, s[8:9], 0x0
	scratch_store_b32 off, v15, s32 offset:504 ; 4-byte Folded Spill
	v_mul_hi_u32 v2, v3, v2
	s_delay_alu instid0(VALU_DEP_1)
	v_add_nc_u32_e32 v2, v3, v2
	scratch_store_b32 off, v2, s32 offset:360 ; 4-byte Folded Spill
	v_sub_nc_u32_e32 v2, v6, v38
	s_clause 0x3
	scratch_store_b64 off, v[11:12], s32 offset:540
	scratch_store_b32 off, v14, s32 offset:508
	scratch_store_b32 off, v4, s32 offset:500
	;; [unrolled: 1-line block ×3, first 2 shown]
	v_add_nc_u32_e32 v0, 1, v2
	scratch_store_b32 off, v0, s32 offset:484 ; 4-byte Folded Spill
	s_branch .LBB256_16
.LBB256_11:                             ;   in Loop: Header=BB256_16 Depth=1
	s_or_b32 exec_lo, exec_lo, s25
	v_lshlrev_b32_e32 v19, 24, v47
	s_delay_alu instid0(VALU_DEP_2) | instskip(SKIP_1) | instid1(VALU_DEP_3)
	v_lshlrev_b32_e32 v24, 20, v28
	v_lshl_add_u32 v18, v18, 23, 0x3c000000
	v_and_b32_e32 v19, 0x80000000, v19
	s_delay_alu instid0(VALU_DEP_1)
	v_or3_b32 v19, v24, v19, v18
	v_mov_b32_e32 v18, v29
.LBB256_12:                             ;   in Loop: Header=BB256_16 Depth=1
	s_or_b32 exec_lo, exec_lo, s2
.LBB256_13:                             ;   in Loop: Header=BB256_16 Depth=1
	s_delay_alu instid0(SALU_CYCLE_1)
	s_or_b32 exec_lo, exec_lo, s24
.LBB256_14:                             ;   in Loop: Header=BB256_16 Depth=1
	s_delay_alu instid0(SALU_CYCLE_1)
	s_or_b32 exec_lo, exec_lo, s23
	v_or_b32_e32 v177, v179, v177
	v_or_b32_e32 v176, v178, v176
	;; [unrolled: 1-line block ×4, first 2 shown]
	scratch_load_b128 v[180:183], off, s32 offset:420 ; 16-byte Folded Reload
	v_or_b32_e32 v161, v163, v161
	v_or_b32_e32 v160, v162, v160
	;; [unrolled: 1-line block ×4, first 2 shown]
	scratch_load_b128 v[164:167], off, s32 offset:404 ; 16-byte Folded Reload
	v_or_b32_e32 v6, v39, v6
	v_or_b32_e32 v18, v18, v31
	v_mul_f32_e32 v39, v25, v161
	v_mul_f32_e32 v161, v25, v163
	;; [unrolled: 1-line block ×3, first 2 shown]
	v_or_b32_e32 v19, v19, v32
	v_mul_f32_e32 v32, v25, v160
	v_mul_f32_e32 v160, v25, v162
	v_or_b32_e32 v2, v0, v2
	v_or_b32_e32 v0, v15, v27
	;; [unrolled: 1-line block ×6, first 2 shown]
	v_mul_f32_e32 v0, v25, v0
	v_mul_f32_e32 v51, v25, v51
	v_or_b32_e32 v58, v60, v58
	v_or_b32_e32 v59, v61, v59
	;; [unrolled: 1-line block ×13, first 2 shown]
	v_mul_f32_e32 v37, v25, v37
	v_or_b32_e32 v47, v104, v94
	v_or_b32_e32 v90, v105, v95
	;; [unrolled: 1-line block ×3, first 2 shown]
	v_mul_f32_e32 v15, v25, v15
	v_or_b32_e32 v124, v124, v122
	v_or_b32_e32 v123, v125, v123
	v_mul_f32_e32 v2, v25, v2
	v_or_b32_e32 v3, v1, v3
	v_or_b32_e32 v1, v14, v26
	;; [unrolled: 1-line block ×6, first 2 shown]
	v_mul_f32_e32 v1, v25, v1
	v_or_b32_e32 v14, v4, v148
	v_or_b32_e32 v148, v141, v139
	v_or_b32_e32 v122, v137, v127
	v_or_b32_e32 v138, v142, v152
	v_or_b32_e32 v16, v8, v16
	v_or_b32_e32 v8, v34, v36
	v_or_b32_e32 v36, v154, v156
	v_or_b32_e32 v17, v9, v17
	v_or_b32_e32 v9, v33, v35
	v_or_b32_e32 v35, v155, v157
	v_or_b32_e32 v11, v11, v21
	v_or_b32_e32 v21, v191, v147
	v_or_b32_e32 v147, v143, v153
	v_or_b32_e32 v4, v12, v22
	v_or_b32_e32 v22, v190, v146
	v_or_b32_e32 v146, v158, v168
	v_or_b32_e32 v28, v170, v172
	v_or_b32_e32 v27, v171, v173
	v_or_b32_e32 v34, v159, v169
	v_or_b32_e32 v12, v187, v189
	v_or_b32_e32 v33, v174, v184
	v_or_b32_e32 v26, v175, v185
	v_mul_f32_e32 v5, v25, v5
	s_load_b32 s2, s[8:9], 0x0
	v_mul_f32_e32 v12, v25, v12
	v_or_b32_e32 v7, v40, v7
	v_mul_f32_e32 v50, v25, v50
	s_waitcnt vmcnt(1)
	v_dual_mul_f32 v24, v25, v24 :: v_dual_mul_f32 v31, v180, v31
	s_waitcnt vmcnt(0)
	s_delay_alu instid0(VALU_DEP_1) | instskip(NEXT) | instid1(VALU_DEP_1)
	v_dual_fmac_f32 v31, v164, v32 :: v_dual_mul_f32 v32, v25, v177
	v_mul_f32_e32 v32, v181, v32
	s_delay_alu instid0(VALU_DEP_1)
	v_fmac_f32_e32 v32, v165, v39
	v_mul_f32_e32 v39, v25, v179
	scratch_load_b128 v[162:165], off, s32 offset:452 ; 16-byte Folded Reload
	v_mul_f32_e32 v39, v182, v39
	scratch_load_b128 v[179:182], off, s32 offset:436 ; 16-byte Folded Reload
	v_dual_fmac_f32 v39, v166, v160 :: v_dual_mul_f32 v160, v25, v41
	s_waitcnt vmcnt(0)
	s_delay_alu instid0(VALU_DEP_1) | instskip(NEXT) | instid1(VALU_DEP_1)
	v_dual_fmac_f32 v31, v179, v160 :: v_dual_mul_f32 v160, v25, v42
	v_fmac_f32_e32 v32, v180, v160
	v_mul_f32_e32 v160, v25, v178
	scratch_load_b128 v[176:179], off, s32 offset:468 ; 16-byte Folded Reload
	v_mul_f32_e32 v160, v183, v160
	s_delay_alu instid0(VALU_DEP_1) | instskip(NEXT) | instid1(VALU_DEP_1)
	v_dual_fmac_f32 v160, v167, v161 :: v_dual_mul_f32 v161, v25, v43
	v_fmac_f32_e32 v39, v181, v161
	v_mul_f32_e32 v161, v25, v58
	s_delay_alu instid0(VALU_DEP_1) | instskip(SKIP_1) | instid1(VALU_DEP_1)
	v_fmac_f32_e32 v31, v162, v161
	v_mul_f32_e32 v161, v25, v59
	v_dual_fmac_f32 v32, v163, v161 :: v_dual_mul_f32 v161, v25, v44
	s_delay_alu instid0(VALU_DEP_1) | instskip(NEXT) | instid1(VALU_DEP_1)
	v_dual_fmac_f32 v160, v182, v161 :: v_dual_mul_f32 v161, v25, v62
	v_fmac_f32_e32 v39, v164, v161
	v_mul_f32_e32 v161, v25, v74
	s_waitcnt vmcnt(0)
	s_delay_alu instid0(VALU_DEP_1) | instskip(SKIP_1) | instid1(VALU_DEP_1)
	v_fmac_f32_e32 v31, v176, v161
	v_mul_f32_e32 v161, v25, v75
	v_dual_fmac_f32 v31, v52, v51 :: v_dual_fmac_f32 v32, v177, v161
	v_mul_f32_e32 v161, v25, v63
	s_delay_alu instid0(VALU_DEP_2) | instskip(NEXT) | instid1(VALU_DEP_2)
	v_dual_fmac_f32 v31, v64, v37 :: v_dual_fmac_f32 v32, v53, v50
	v_fmac_f32_e32 v160, v165, v161
	v_mul_f32_e32 v161, v25, v60
	v_mul_f32_e32 v50, v25, v61
	s_delay_alu instid0(VALU_DEP_4) | instskip(NEXT) | instid1(VALU_DEP_3)
	v_fmac_f32_e32 v32, v65, v24
	v_dual_mul_f32 v24, v25, v90 :: v_dual_fmac_f32 v39, v178, v161
	s_delay_alu instid0(VALU_DEP_3) | instskip(SKIP_1) | instid1(VALU_DEP_1)
	v_fmac_f32_e32 v160, v179, v50
	v_mul_f32_e32 v50, v25, v47
	v_dual_fmac_f32 v160, v55, v24 :: v_dual_fmac_f32 v39, v54, v50
	v_mul_f32_e32 v24, v25, v48
	s_delay_alu instid0(VALU_DEP_1) | instskip(SKIP_1) | instid1(VALU_DEP_1)
	v_fmac_f32_e32 v39, v66, v24
	v_mul_f32_e32 v24, v25, v124
	v_dual_fmac_f32 v31, v68, v24 :: v_dual_mul_f32 v24, v25, v123
	s_delay_alu instid0(VALU_DEP_1) | instskip(SKIP_1) | instid1(VALU_DEP_1)
	v_fmac_f32_e32 v32, v69, v24
	v_mul_f32_e32 v24, v25, v49
	v_fmac_f32_e32 v160, v67, v24
	v_mul_f32_e32 v24, v25, v125
	s_delay_alu instid0(VALU_DEP_1) | instskip(NEXT) | instid1(VALU_DEP_1)
	v_dual_fmac_f32 v39, v70, v24 :: v_dual_mul_f32 v24, v25, v149
	v_fmac_f32_e32 v31, v80, v24
	v_mul_f32_e32 v24, v25, v148
	s_delay_alu instid0(VALU_DEP_1) | instskip(SKIP_1) | instid1(VALU_DEP_1)
	v_fmac_f32_e32 v32, v81, v24
	v_mul_f32_e32 v24, v25, v122
	v_fmac_f32_e32 v160, v71, v24
	v_mul_f32_e32 v24, v25, v138
	s_delay_alu instid0(VALU_DEP_1) | instskip(SKIP_1) | instid1(VALU_DEP_1)
	v_fmac_f32_e32 v39, v82, v24
	v_mul_f32_e32 v24, v25, v36
	v_dual_fmac_f32 v31, v84, v24 :: v_dual_mul_f32 v24, v25, v35
	s_delay_alu instid0(VALU_DEP_1) | instskip(SKIP_1) | instid1(VALU_DEP_1)
	v_fmac_f32_e32 v32, v85, v24
	v_mul_f32_e32 v24, v25, v147
	v_fmac_f32_e32 v160, v83, v24
	v_mul_f32_e32 v24, v25, v146
	s_delay_alu instid0(VALU_DEP_1) | instskip(SKIP_1) | instid1(VALU_DEP_1)
	v_fmac_f32_e32 v39, v86, v24
	v_mul_f32_e32 v24, v25, v28
	v_dual_fmac_f32 v31, v96, v24 :: v_dual_mul_f32 v24, v25, v27
	s_delay_alu instid0(VALU_DEP_1) | instskip(NEXT) | instid1(VALU_DEP_2)
	v_fmac_f32_e32 v32, v97, v24
	v_dual_mul_f32 v24, v25, v34 :: v_dual_fmac_f32 v31, v100, v15
	s_delay_alu instid0(VALU_DEP_2) | instskip(NEXT) | instid1(VALU_DEP_2)
	v_fmac_f32_e32 v32, v101, v12
	v_fmac_f32_e32 v160, v87, v24
	v_mul_f32_e32 v24, v25, v33
	v_mul_f32_e32 v12, v25, v26
	s_delay_alu instid0(VALU_DEP_4) | instskip(SKIP_1) | instid1(VALU_DEP_4)
	v_fmac_f32_e32 v32, v113, v5
	v_mul_f32_e32 v5, v25, v21
	v_fmac_f32_e32 v39, v98, v24
	s_delay_alu instid0(VALU_DEP_4) | instskip(SKIP_1) | instid1(VALU_DEP_1)
	v_fmac_f32_e32 v160, v99, v12
	v_mul_f32_e32 v12, v25, v22
	v_dual_fmac_f32 v160, v103, v5 :: v_dual_fmac_f32 v39, v102, v12
	v_mul_f32_e32 v12, v25, v14
	v_mul_f32_e32 v5, v25, v11
	s_delay_alu instid0(VALU_DEP_2) | instskip(NEXT) | instid1(VALU_DEP_2)
	v_fmac_f32_e32 v31, v112, v12
	v_fmac_f32_e32 v39, v114, v5
	s_delay_alu instid0(VALU_DEP_2) | instskip(NEXT) | instid1(VALU_DEP_2)
	v_dual_fmac_f32 v31, v116, v2 :: v_dual_mul_f32 v2, v25, v3
	v_fmac_f32_e32 v39, v118, v1
	v_mul_f32_e32 v1, v25, v16
	s_delay_alu instid0(VALU_DEP_3) | instskip(NEXT) | instid1(VALU_DEP_2)
	v_fmac_f32_e32 v32, v117, v2
	v_dual_mul_f32 v2, v25, v4 :: v_dual_fmac_f32 v31, v128, v1
	s_delay_alu instid0(VALU_DEP_1) | instskip(SKIP_1) | instid1(VALU_DEP_2)
	v_dual_mul_f32 v1, v25, v17 :: v_dual_fmac_f32 v160, v115, v2
	v_mul_f32_e32 v2, v25, v19
	v_fmac_f32_e32 v32, v129, v1
	v_mul_f32_e32 v1, v25, v18
	scratch_load_b32 v19, off, s32 offset:364 ; 4-byte Folded Reload
	v_fmac_f32_e32 v160, v119, v0
	v_mul_f32_e32 v0, v25, v9
	s_delay_alu instid0(VALU_DEP_1) | instskip(NEXT) | instid1(VALU_DEP_1)
	v_dual_fmac_f32 v39, v130, v0 :: v_dual_mul_f32 v0, v25, v6
	v_fmac_f32_e32 v39, v134, v1
	s_delay_alu instid0(VALU_DEP_2) | instskip(SKIP_3) | instid1(VALU_DEP_1)
	v_dual_fmac_f32 v31, v132, v0 :: v_dual_mul_f32 v0, v25, v7
	scratch_load_b32 v1, off, s32 offset:484 ; 4-byte Folded Reload
	v_fmac_f32_e32 v32, v133, v0
	v_mul_f32_e32 v0, v25, v8
	v_fmac_f32_e32 v160, v131, v0
	s_delay_alu instid0(VALU_DEP_3) | instskip(NEXT) | instid1(VALU_DEP_2)
	v_add_f32_e32 v0, v31, v32
	v_fmac_f32_e32 v160, v135, v2
	scratch_load_b32 v2, off, s32 offset:392 ; 4-byte Folded Reload
	v_add_f32_e32 v0, v39, v0
	s_waitcnt vmcnt(1)
	s_delay_alu instid0(VALU_DEP_1) | instskip(NEXT) | instid1(VALU_DEP_1)
	v_dual_add_f32 v0, v160, v0 :: v_dual_add_nc_u32 v1, v1, v10
	v_cvt_f32_i32_e32 v1, v1
	s_waitcnt vmcnt(0)
	s_delay_alu instid0(VALU_DEP_1) | instskip(SKIP_3) | instid1(VALU_DEP_1)
	v_mul_f32_e32 v1, v2, v1
	scratch_load_b32 v2, off, s32 offset:388 ; 4-byte Folded Reload
	v_cndmask_b32_e32 v1, 0, v1, vcc_lo
	s_waitcnt vmcnt(0)
	v_fmac_f32_e32 v1, v0, v2
	scratch_load_b32 v0, off, s32 offset:368 ; 4-byte Folded Reload
	s_waitcnt vmcnt(0)
	v_add_nc_u32_e32 v0, v0, v10
	s_delay_alu instid0(VALU_DEP_1) | instskip(SKIP_2) | instid1(VALU_DEP_2)
	v_cmp_lt_i32_e64 s1, v0, v38
	s_waitcnt lgkmcnt(0)
	v_add_nc_u32_e32 v0, s2, v13
	v_cndmask_b32_e64 v2, 0, v1, s1
	ds_store_b32 v0, v2
	v_max_f32_e32 v0, v19, v19
	s_delay_alu instid0(VALU_DEP_1) | instskip(NEXT) | instid1(VALU_DEP_1)
	v_max_f32_e32 v0, v0, v1
	v_cndmask_b32_e64 v19, v19, v0, s1
.LBB256_15:                             ;   in Loop: Header=BB256_16 Depth=1
	s_or_b32 exec_lo, exec_lo, s22
	scratch_load_b32 v0, off, s32 offset:344 ; 4-byte Folded Reload
	v_add_nc_u32_e32 v20, 4, v20
	v_add_co_u32 v150, s2, v150, 16
	s_delay_alu instid0(VALU_DEP_1) | instskip(SKIP_4) | instid1(VALU_DEP_1)
	v_add_co_ci_u32_e64 v151, s2, 0, v151, s2
	v_add_nc_u32_e32 v10, 0x80, v10
	v_add_nc_u32_e32 v13, 0x200, v13
	s_waitcnt vmcnt(0)
	v_cmp_ge_i32_e64 s1, v20, v0
	s_or_b32 s21, s1, s21
	s_delay_alu instid0(SALU_CYCLE_1)
	s_and_not1_b32 exec_lo, exec_lo, s21
	s_cbranch_execz .LBB256_528
.LBB256_16:                             ; =>This Inner Loop Header: Depth=1
	s_clause 0x2
	scratch_load_b32 v1, off, s32 offset:348
	scratch_load_b32 v5, off, s32 offset:340
	;; [unrolled: 1-line block ×3, first 2 shown]
	v_sub_nc_u32_e32 v0, 0, v10
	s_delay_alu instid0(VALU_DEP_1) | instskip(SKIP_1) | instid1(VALU_DEP_1)
	v_max_i32_e32 v0, v10, v0
	s_waitcnt vmcnt(2)
	v_mul_hi_u32 v1, v0, v1
	s_waitcnt vmcnt(0)
	s_delay_alu instid0(VALU_DEP_1) | instskip(NEXT) | instid1(VALU_DEP_1)
	v_mul_lo_u32 v2, v1, v4
	v_sub_nc_u32_e32 v0, v0, v2
	v_add_nc_u32_e32 v2, 1, v1
	s_delay_alu instid0(VALU_DEP_2) | instskip(SKIP_1) | instid1(VALU_DEP_1)
	v_sub_nc_u32_e32 v3, v0, v4
	v_cmp_ge_u32_e64 s1, v0, v4
	v_cndmask_b32_e64 v1, v1, v2, s1
	s_delay_alu instid0(VALU_DEP_3) | instskip(SKIP_1) | instid1(VALU_DEP_3)
	v_cndmask_b32_e64 v0, v0, v3, s1
	v_ashrrev_i32_e32 v2, 31, v10
	v_add_nc_u32_e32 v3, 1, v1
	s_delay_alu instid0(VALU_DEP_3) | instskip(NEXT) | instid1(VALU_DEP_3)
	v_cmp_ge_u32_e64 s1, v0, v4
	v_xor_b32_e32 v2, v2, v5
	s_delay_alu instid0(VALU_DEP_2) | instskip(SKIP_2) | instid1(VALU_DEP_1)
	v_cndmask_b32_e64 v0, v1, v3, s1
	scratch_load_b32 v3, off, s32 offset:360 ; 4-byte Folded Reload
	v_xor_b32_e32 v0, v0, v2
	v_sub_nc_u32_e32 v0, v0, v2
	scratch_load_b64 v[1:2], off, s32 offset:332 ; 8-byte Folded Reload
	s_waitcnt vmcnt(0)
	v_add_nc_u32_e32 v1, v0, v1
	s_delay_alu instid0(VALU_DEP_1) | instskip(NEXT) | instid1(VALU_DEP_1)
	v_sub_nc_u32_e32 v2, 0, v1
	v_max_i32_e32 v2, v1, v2
	v_ashrrev_i32_e32 v1, 31, v1
	s_delay_alu instid0(VALU_DEP_2) | instskip(NEXT) | instid1(VALU_DEP_1)
	v_mul_hi_u32 v3, v2, v3
	v_mul_lo_u32 v3, v3, v30
	s_delay_alu instid0(VALU_DEP_1) | instskip(NEXT) | instid1(VALU_DEP_1)
	v_sub_nc_u32_e32 v2, v2, v3
	v_sub_nc_u32_e32 v3, v2, v30
	v_cmp_ge_u32_e64 s1, v2, v30
	s_delay_alu instid0(VALU_DEP_1) | instskip(NEXT) | instid1(VALU_DEP_1)
	v_cndmask_b32_e64 v2, v2, v3, s1
	v_sub_nc_u32_e32 v3, v2, v30
	v_cmp_ge_u32_e64 s1, v2, v30
	s_delay_alu instid0(VALU_DEP_1) | instskip(NEXT) | instid1(VALU_DEP_1)
	v_cndmask_b32_e64 v2, v2, v3, s1
	v_xor_b32_e32 v2, v2, v1
	s_delay_alu instid0(VALU_DEP_1) | instskip(NEXT) | instid1(VALU_DEP_1)
	v_sub_nc_u32_e32 v1, v2, v1
	v_cmp_ne_u32_e64 s1, 0, v1
	scratch_load_b32 v1, off, s32 offset:352 ; 4-byte Folded Reload
	s_waitcnt vmcnt(0)
	v_cmp_le_i32_e64 s2, v0, v1
	s_delay_alu instid0(VALU_DEP_1) | instskip(NEXT) | instid1(SALU_CYCLE_1)
	s_and_b32 s1, s1, s2
	s_and_saveexec_b32 s2, s1
	s_delay_alu instid0(SALU_CYCLE_1)
	s_xor_b32 s1, exec_lo, s2
	s_cbranch_execz .LBB256_18
; %bb.17:                               ;   in Loop: Header=BB256_16 Depth=1
	s_waitcnt lgkmcnt(0)
	v_dual_mov_b32 v1, 0xff7fffff :: v_dual_add_nc_u32 v0, s7, v13
	ds_store_b32 v0, v1
.LBB256_18:                             ;   in Loop: Header=BB256_16 Depth=1
	s_and_not1_saveexec_b32 s22, s1
	s_cbranch_execz .LBB256_15
; %bb.19:                               ;   in Loop: Header=BB256_16 Depth=1
	scratch_store_b32 off, v19, s32 offset:364 ; 4-byte Folded Spill
	flat_load_b32 v0, v[150:151]
	s_clause 0x1
	scratch_load_b32 v1, off, s32 offset:356
	scratch_load_b64 v[2:3], off, s32 offset:396
	s_mov_b32 s2, exec_lo
	s_waitcnt vmcnt(0) lgkmcnt(0)
	v_mad_i64_i32 v[39:40], null, v0, v1, v[2:3]
	flat_load_b32 v0, v[39:40]
	scratch_load_b64 v[1:2], off, s32 offset:380 ; 8-byte Folded Reload
	v_mov_b32_e32 v162, 0
	v_mov_b32_e32 v163, 0
	s_delay_alu instid0(VALU_DEP_1) | instskip(SKIP_4) | instid1(VALU_DEP_1)
	v_dual_mov_b32 v160, v162 :: v_dual_mov_b32 v161, v163
	s_waitcnt vmcnt(0)
	flat_load_b32 v25, v[1:2]
	s_waitcnt lgkmcnt(1)
	v_and_b32_e32 v1, 0xff, v0
	v_cmpx_ne_u16_e32 0, v1
	s_cbranch_execz .LBB256_27
; %bb.20:                               ;   in Loop: Header=BB256_16 Depth=1
	v_bfrev_b32_e32 v160, 1
	v_mov_b32_e32 v161, 0
	s_mov_b32 s23, exec_lo
	v_cmpx_ne_u16_e32 0x80, v1
	s_cbranch_execz .LBB256_26
; %bb.21:                               ;   in Loop: Header=BB256_16 Depth=1
	v_mov_b32_e32 v160, 0x7f800001
	v_dual_mov_b32 v161, 0 :: v_dual_and_b32 v2, 0x7f, v0
	s_mov_b32 s24, exec_lo
	s_delay_alu instid0(VALU_DEP_1)
	v_cmpx_ne_u32_e32 0x7f, v2
	s_cbranch_execz .LBB256_25
; %bb.22:                               ;   in Loop: Header=BB256_16 Depth=1
	v_and_b32_e32 v28, 7, v0
	v_lshrrev_b32_e32 v1, 3, v2
	s_mov_b32 s25, exec_lo
	v_cmpx_gt_u32_e32 8, v2
; %bb.23:                               ;   in Loop: Header=BB256_16 Depth=1
	s_delay_alu instid0(VALU_DEP_3) | instskip(NEXT) | instid1(VALU_DEP_1)
	v_clz_i32_u32_e32 v1, v28
	v_min_u32_e32 v1, 32, v1
	s_delay_alu instid0(VALU_DEP_1) | instskip(SKIP_1) | instid1(VALU_DEP_2)
	v_subrev_nc_u32_e32 v2, 28, v1
	v_sub_nc_u32_e32 v1, 29, v1
	v_lshlrev_b64 v[2:3], v2, v[28:29]
	s_delay_alu instid0(VALU_DEP_1)
	v_and_b32_e32 v28, 7, v2
; %bb.24:                               ;   in Loop: Header=BB256_16 Depth=1
	s_or_b32 exec_lo, exec_lo, s25
	v_lshlrev_b32_e32 v2, 24, v0
	s_delay_alu instid0(VALU_DEP_2) | instskip(SKIP_1) | instid1(VALU_DEP_3)
	v_lshlrev_b32_e32 v3, 20, v28
	v_lshl_add_u32 v1, v1, 23, 0x3c000000
	v_and_b32_e32 v2, 0x80000000, v2
	s_delay_alu instid0(VALU_DEP_1) | instskip(NEXT) | instid1(VALU_DEP_1)
	v_or3_b32 v28, v3, v2, v1
	v_dual_mov_b32 v161, v29 :: v_dual_mov_b32 v160, v28
.LBB256_25:                             ;   in Loop: Header=BB256_16 Depth=1
	s_or_b32 exec_lo, exec_lo, s24
.LBB256_26:                             ;   in Loop: Header=BB256_16 Depth=1
	s_delay_alu instid0(SALU_CYCLE_1)
	s_or_b32 exec_lo, exec_lo, s23
.LBB256_27:                             ;   in Loop: Header=BB256_16 Depth=1
	s_delay_alu instid0(SALU_CYCLE_1) | instskip(SKIP_2) | instid1(VALU_DEP_1)
	s_or_b32 exec_lo, exec_lo, s2
	v_lshrrev_b16 v1, 8, v0
	s_mov_b32 s23, exec_lo
	v_cmpx_ne_u16_e32 0, v1
	s_cbranch_execz .LBB256_35
; %bb.28:                               ;   in Loop: Header=BB256_16 Depth=1
	v_dual_mov_b32 v163, s17 :: v_dual_mov_b32 v162, s16
	s_mov_b32 s24, exec_lo
	v_cmpx_ne_u16_e32 0x80, v1
	s_cbranch_execz .LBB256_34
; %bb.29:                               ;   in Loop: Header=BB256_16 Depth=1
	s_mov_b32 s2, s16
	v_and_b32_e32 v1, 0xffff, v1
	v_dual_mov_b32 v163, s3 :: v_dual_mov_b32 v162, s2
	s_mov_b32 s2, exec_lo
	s_delay_alu instid0(VALU_DEP_2) | instskip(NEXT) | instid1(VALU_DEP_1)
	v_and_b32_e32 v2, 0x7f, v1
	v_cmpx_ne_u32_e32 0x7f, v2
	s_cbranch_execz .LBB256_33
; %bb.30:                               ;   in Loop: Header=BB256_16 Depth=1
	v_and_b32_e32 v28, 7, v1
	v_lshrrev_b32_e32 v1, 3, v2
	s_mov_b32 s25, exec_lo
	v_cmpx_gt_u32_e32 8, v2
; %bb.31:                               ;   in Loop: Header=BB256_16 Depth=1
	s_delay_alu instid0(VALU_DEP_3) | instskip(NEXT) | instid1(VALU_DEP_1)
	v_clz_i32_u32_e32 v1, v28
	v_min_u32_e32 v1, 32, v1
	s_delay_alu instid0(VALU_DEP_1) | instskip(SKIP_1) | instid1(VALU_DEP_2)
	v_subrev_nc_u32_e32 v2, 28, v1
	v_sub_nc_u32_e32 v1, 29, v1
	v_lshlrev_b64 v[2:3], v2, v[28:29]
	s_delay_alu instid0(VALU_DEP_1)
	v_and_b32_e32 v28, 7, v2
; %bb.32:                               ;   in Loop: Header=BB256_16 Depth=1
	s_or_b32 exec_lo, exec_lo, s25
	v_lshlrev_b32_e32 v2, 16, v0
	s_delay_alu instid0(VALU_DEP_2) | instskip(SKIP_1) | instid1(VALU_DEP_3)
	v_dual_mov_b32 v162, v29 :: v_dual_lshlrev_b32 v3, 20, v28
	v_lshl_add_u32 v1, v1, 23, 0x3c000000
	v_and_b32_e32 v2, 0x80000000, v2
	s_delay_alu instid0(VALU_DEP_1)
	v_or3_b32 v163, v3, v2, v1
.LBB256_33:                             ;   in Loop: Header=BB256_16 Depth=1
	s_or_b32 exec_lo, exec_lo, s2
.LBB256_34:                             ;   in Loop: Header=BB256_16 Depth=1
	s_delay_alu instid0(SALU_CYCLE_1)
	s_or_b32 exec_lo, exec_lo, s24
.LBB256_35:                             ;   in Loop: Header=BB256_16 Depth=1
	s_delay_alu instid0(SALU_CYCLE_1) | instskip(SKIP_4) | instid1(VALU_DEP_2)
	s_or_b32 exec_lo, exec_lo, s23
	v_mov_b32_e32 v166, 0
	v_lshrrev_b32_e32 v1, 16, v0
	v_mov_b32_e32 v167, 0
	s_mov_b32 s2, exec_lo
	v_and_b32_e32 v2, 0xff, v1
	s_delay_alu instid0(VALU_DEP_2) | instskip(NEXT) | instid1(VALU_DEP_2)
	v_dual_mov_b32 v164, v166 :: v_dual_mov_b32 v165, v167
	v_cmpx_ne_u16_e32 0, v2
	s_cbranch_execz .LBB256_43
; %bb.36:                               ;   in Loop: Header=BB256_16 Depth=1
	v_bfrev_b32_e32 v164, 1
	v_mov_b32_e32 v165, 0
	s_mov_b32 s23, exec_lo
	v_cmpx_ne_u16_e32 0x80, v2
	s_cbranch_execz .LBB256_42
; %bb.37:                               ;   in Loop: Header=BB256_16 Depth=1
	v_mov_b32_e32 v164, 0x7f800001
	v_bfe_u32 v3, v0, 16, 7
	v_mov_b32_e32 v165, 0
	s_mov_b32 s24, exec_lo
	s_delay_alu instid0(VALU_DEP_2)
	v_cmpx_ne_u32_e32 0x7f, v3
	s_cbranch_execz .LBB256_41
; %bb.38:                               ;   in Loop: Header=BB256_16 Depth=1
	v_and_b32_e32 v28, 7, v1
	v_lshrrev_b32_e32 v2, 3, v3
	s_mov_b32 s25, exec_lo
	v_cmpx_gt_u32_e32 8, v3
; %bb.39:                               ;   in Loop: Header=BB256_16 Depth=1
	s_delay_alu instid0(VALU_DEP_3) | instskip(NEXT) | instid1(VALU_DEP_1)
	v_clz_i32_u32_e32 v2, v28
	v_min_u32_e32 v2, 32, v2
	s_delay_alu instid0(VALU_DEP_1) | instskip(SKIP_1) | instid1(VALU_DEP_2)
	v_subrev_nc_u32_e32 v3, 28, v2
	v_sub_nc_u32_e32 v2, 29, v2
	v_lshlrev_b64 v[3:4], v3, v[28:29]
	s_delay_alu instid0(VALU_DEP_1)
	v_and_b32_e32 v28, 7, v3
; %bb.40:                               ;   in Loop: Header=BB256_16 Depth=1
	s_or_b32 exec_lo, exec_lo, s25
	v_lshlrev_b32_e32 v1, 24, v1
	s_delay_alu instid0(VALU_DEP_2) | instskip(SKIP_1) | instid1(VALU_DEP_3)
	v_lshlrev_b32_e32 v3, 20, v28
	v_lshl_add_u32 v2, v2, 23, 0x3c000000
	v_and_b32_e32 v1, 0x80000000, v1
	s_delay_alu instid0(VALU_DEP_1) | instskip(NEXT) | instid1(VALU_DEP_1)
	v_or3_b32 v28, v3, v1, v2
	v_dual_mov_b32 v165, v29 :: v_dual_mov_b32 v164, v28
.LBB256_41:                             ;   in Loop: Header=BB256_16 Depth=1
	s_or_b32 exec_lo, exec_lo, s24
.LBB256_42:                             ;   in Loop: Header=BB256_16 Depth=1
	s_delay_alu instid0(SALU_CYCLE_1)
	s_or_b32 exec_lo, exec_lo, s23
.LBB256_43:                             ;   in Loop: Header=BB256_16 Depth=1
	s_delay_alu instid0(SALU_CYCLE_1) | instskip(NEXT) | instid1(SALU_CYCLE_1)
	s_or_b32 exec_lo, exec_lo, s2
	s_mov_b32 s23, exec_lo
	v_cmpx_lt_u32_e32 0xffffff, v0
	s_cbranch_execz .LBB256_51
; %bb.44:                               ;   in Loop: Header=BB256_16 Depth=1
	v_lshrrev_b32_e32 v1, 24, v0
	v_dual_mov_b32 v167, s17 :: v_dual_mov_b32 v166, s16
	s_mov_b32 s24, exec_lo
	s_delay_alu instid0(VALU_DEP_2)
	v_cmpx_ne_u32_e32 0x80, v1
	s_cbranch_execz .LBB256_50
; %bb.45:                               ;   in Loop: Header=BB256_16 Depth=1
	s_mov_b32 s2, s16
	v_bfe_u32 v2, v0, 24, 7
	v_dual_mov_b32 v167, s3 :: v_dual_mov_b32 v166, s2
	s_mov_b32 s2, exec_lo
	s_delay_alu instid0(VALU_DEP_2)
	v_cmpx_ne_u32_e32 0x7f, v2
	s_cbranch_execz .LBB256_49
; %bb.46:                               ;   in Loop: Header=BB256_16 Depth=1
	v_and_b32_e32 v28, 7, v1
	v_lshrrev_b32_e32 v0, 3, v2
	s_mov_b32 s25, exec_lo
	v_cmpx_gt_u32_e32 8, v2
; %bb.47:                               ;   in Loop: Header=BB256_16 Depth=1
	s_delay_alu instid0(VALU_DEP_3) | instskip(NEXT) | instid1(VALU_DEP_1)
	v_clz_i32_u32_e32 v0, v28
	v_min_u32_e32 v0, 32, v0
	s_delay_alu instid0(VALU_DEP_1) | instskip(SKIP_1) | instid1(VALU_DEP_2)
	v_subrev_nc_u32_e32 v2, 28, v0
	v_sub_nc_u32_e32 v0, 29, v0
	v_lshlrev_b64 v[2:3], v2, v[28:29]
	s_delay_alu instid0(VALU_DEP_1)
	v_and_b32_e32 v28, 7, v2
; %bb.48:                               ;   in Loop: Header=BB256_16 Depth=1
	s_or_b32 exec_lo, exec_lo, s25
	v_dual_mov_b32 v166, v29 :: v_dual_lshlrev_b32 v1, 24, v1
	s_delay_alu instid0(VALU_DEP_2) | instskip(SKIP_1) | instid1(VALU_DEP_3)
	v_lshlrev_b32_e32 v2, 20, v28
	v_lshl_add_u32 v0, v0, 23, 0x3c000000
	v_and_b32_e32 v1, 0x80000000, v1
	s_delay_alu instid0(VALU_DEP_1)
	v_or3_b32 v167, v2, v1, v0
.LBB256_49:                             ;   in Loop: Header=BB256_16 Depth=1
	s_or_b32 exec_lo, exec_lo, s2
.LBB256_50:                             ;   in Loop: Header=BB256_16 Depth=1
	s_delay_alu instid0(SALU_CYCLE_1)
	s_or_b32 exec_lo, exec_lo, s24
.LBB256_51:                             ;   in Loop: Header=BB256_16 Depth=1
	s_delay_alu instid0(SALU_CYCLE_1) | instskip(SKIP_3) | instid1(VALU_DEP_2)
	s_or_b32 exec_lo, exec_lo, s23
	flat_load_b32 v0, v[39:40] offset:4
	v_mov_b32_e32 v178, 0
	v_mov_b32_e32 v179, 0
	;; [unrolled: 1-line block ×3, first 2 shown]
	s_mov_b32 s2, exec_lo
	s_delay_alu instid0(VALU_DEP_2) | instskip(SKIP_2) | instid1(VALU_DEP_1)
	v_mov_b32_e32 v177, v179
	s_waitcnt vmcnt(0) lgkmcnt(0)
	v_and_b32_e32 v1, 0xff, v0
	v_cmpx_ne_u16_e32 0, v1
	s_cbranch_execz .LBB256_59
; %bb.52:                               ;   in Loop: Header=BB256_16 Depth=1
	v_bfrev_b32_e32 v176, 1
	v_mov_b32_e32 v177, 0
	s_mov_b32 s23, exec_lo
	v_cmpx_ne_u16_e32 0x80, v1
	s_cbranch_execz .LBB256_58
; %bb.53:                               ;   in Loop: Header=BB256_16 Depth=1
	v_mov_b32_e32 v176, 0x7f800001
	v_dual_mov_b32 v177, 0 :: v_dual_and_b32 v2, 0x7f, v0
	s_mov_b32 s24, exec_lo
	s_delay_alu instid0(VALU_DEP_1)
	v_cmpx_ne_u32_e32 0x7f, v2
	s_cbranch_execz .LBB256_57
; %bb.54:                               ;   in Loop: Header=BB256_16 Depth=1
	v_and_b32_e32 v28, 7, v0
	v_lshrrev_b32_e32 v1, 3, v2
	s_mov_b32 s25, exec_lo
	v_cmpx_gt_u32_e32 8, v2
; %bb.55:                               ;   in Loop: Header=BB256_16 Depth=1
	s_delay_alu instid0(VALU_DEP_3) | instskip(NEXT) | instid1(VALU_DEP_1)
	v_clz_i32_u32_e32 v1, v28
	v_min_u32_e32 v1, 32, v1
	s_delay_alu instid0(VALU_DEP_1) | instskip(SKIP_1) | instid1(VALU_DEP_2)
	v_subrev_nc_u32_e32 v2, 28, v1
	v_sub_nc_u32_e32 v1, 29, v1
	v_lshlrev_b64 v[2:3], v2, v[28:29]
	s_delay_alu instid0(VALU_DEP_1)
	v_and_b32_e32 v28, 7, v2
; %bb.56:                               ;   in Loop: Header=BB256_16 Depth=1
	s_or_b32 exec_lo, exec_lo, s25
	v_lshlrev_b32_e32 v2, 24, v0
	s_delay_alu instid0(VALU_DEP_2) | instskip(SKIP_1) | instid1(VALU_DEP_3)
	v_lshlrev_b32_e32 v3, 20, v28
	v_lshl_add_u32 v1, v1, 23, 0x3c000000
	v_and_b32_e32 v2, 0x80000000, v2
	s_delay_alu instid0(VALU_DEP_1) | instskip(NEXT) | instid1(VALU_DEP_1)
	v_or3_b32 v28, v3, v2, v1
	v_dual_mov_b32 v177, v29 :: v_dual_mov_b32 v176, v28
.LBB256_57:                             ;   in Loop: Header=BB256_16 Depth=1
	s_or_b32 exec_lo, exec_lo, s24
.LBB256_58:                             ;   in Loop: Header=BB256_16 Depth=1
	s_delay_alu instid0(SALU_CYCLE_1)
	s_or_b32 exec_lo, exec_lo, s23
.LBB256_59:                             ;   in Loop: Header=BB256_16 Depth=1
	s_delay_alu instid0(SALU_CYCLE_1) | instskip(SKIP_2) | instid1(VALU_DEP_1)
	s_or_b32 exec_lo, exec_lo, s2
	v_lshrrev_b16 v1, 8, v0
	s_mov_b32 s23, exec_lo
	v_cmpx_ne_u16_e32 0, v1
	s_cbranch_execz .LBB256_67
; %bb.60:                               ;   in Loop: Header=BB256_16 Depth=1
	v_dual_mov_b32 v179, s17 :: v_dual_mov_b32 v178, s16
	s_mov_b32 s24, exec_lo
	v_cmpx_ne_u16_e32 0x80, v1
	s_cbranch_execz .LBB256_66
; %bb.61:                               ;   in Loop: Header=BB256_16 Depth=1
	s_mov_b32 s2, s16
	v_and_b32_e32 v1, 0xffff, v1
	v_dual_mov_b32 v179, s3 :: v_dual_mov_b32 v178, s2
	s_mov_b32 s2, exec_lo
	s_delay_alu instid0(VALU_DEP_2) | instskip(NEXT) | instid1(VALU_DEP_1)
	v_and_b32_e32 v2, 0x7f, v1
	v_cmpx_ne_u32_e32 0x7f, v2
	s_cbranch_execz .LBB256_65
; %bb.62:                               ;   in Loop: Header=BB256_16 Depth=1
	v_and_b32_e32 v28, 7, v1
	v_lshrrev_b32_e32 v1, 3, v2
	s_mov_b32 s25, exec_lo
	v_cmpx_gt_u32_e32 8, v2
; %bb.63:                               ;   in Loop: Header=BB256_16 Depth=1
	s_delay_alu instid0(VALU_DEP_3) | instskip(NEXT) | instid1(VALU_DEP_1)
	v_clz_i32_u32_e32 v1, v28
	v_min_u32_e32 v1, 32, v1
	s_delay_alu instid0(VALU_DEP_1) | instskip(SKIP_1) | instid1(VALU_DEP_2)
	v_subrev_nc_u32_e32 v2, 28, v1
	v_sub_nc_u32_e32 v1, 29, v1
	v_lshlrev_b64 v[2:3], v2, v[28:29]
	s_delay_alu instid0(VALU_DEP_1)
	v_and_b32_e32 v28, 7, v2
; %bb.64:                               ;   in Loop: Header=BB256_16 Depth=1
	s_or_b32 exec_lo, exec_lo, s25
	v_lshlrev_b32_e32 v2, 16, v0
	s_delay_alu instid0(VALU_DEP_2) | instskip(SKIP_1) | instid1(VALU_DEP_3)
	v_dual_mov_b32 v178, v29 :: v_dual_lshlrev_b32 v3, 20, v28
	v_lshl_add_u32 v1, v1, 23, 0x3c000000
	v_and_b32_e32 v2, 0x80000000, v2
	s_delay_alu instid0(VALU_DEP_1)
	v_or3_b32 v179, v3, v2, v1
.LBB256_65:                             ;   in Loop: Header=BB256_16 Depth=1
	s_or_b32 exec_lo, exec_lo, s2
.LBB256_66:                             ;   in Loop: Header=BB256_16 Depth=1
	s_delay_alu instid0(SALU_CYCLE_1)
	s_or_b32 exec_lo, exec_lo, s24
.LBB256_67:                             ;   in Loop: Header=BB256_16 Depth=1
	s_delay_alu instid0(SALU_CYCLE_1) | instskip(SKIP_4) | instid1(VALU_DEP_2)
	s_or_b32 exec_lo, exec_lo, s23
	v_mov_b32_e32 v182, 0
	v_lshrrev_b32_e32 v1, 16, v0
	v_mov_b32_e32 v183, 0
	s_mov_b32 s2, exec_lo
	v_and_b32_e32 v2, 0xff, v1
	s_delay_alu instid0(VALU_DEP_2) | instskip(NEXT) | instid1(VALU_DEP_2)
	v_dual_mov_b32 v180, v182 :: v_dual_mov_b32 v181, v183
	v_cmpx_ne_u16_e32 0, v2
	s_cbranch_execz .LBB256_75
; %bb.68:                               ;   in Loop: Header=BB256_16 Depth=1
	v_bfrev_b32_e32 v180, 1
	v_mov_b32_e32 v181, 0
	s_mov_b32 s23, exec_lo
	v_cmpx_ne_u16_e32 0x80, v2
	s_cbranch_execz .LBB256_74
; %bb.69:                               ;   in Loop: Header=BB256_16 Depth=1
	v_mov_b32_e32 v180, 0x7f800001
	v_bfe_u32 v3, v0, 16, 7
	v_mov_b32_e32 v181, 0
	s_mov_b32 s24, exec_lo
	s_delay_alu instid0(VALU_DEP_2)
	v_cmpx_ne_u32_e32 0x7f, v3
	s_cbranch_execz .LBB256_73
; %bb.70:                               ;   in Loop: Header=BB256_16 Depth=1
	v_and_b32_e32 v28, 7, v1
	v_lshrrev_b32_e32 v2, 3, v3
	s_mov_b32 s25, exec_lo
	v_cmpx_gt_u32_e32 8, v3
; %bb.71:                               ;   in Loop: Header=BB256_16 Depth=1
	s_delay_alu instid0(VALU_DEP_3) | instskip(NEXT) | instid1(VALU_DEP_1)
	v_clz_i32_u32_e32 v2, v28
	v_min_u32_e32 v2, 32, v2
	s_delay_alu instid0(VALU_DEP_1) | instskip(SKIP_1) | instid1(VALU_DEP_2)
	v_subrev_nc_u32_e32 v3, 28, v2
	v_sub_nc_u32_e32 v2, 29, v2
	v_lshlrev_b64 v[3:4], v3, v[28:29]
	s_delay_alu instid0(VALU_DEP_1)
	v_and_b32_e32 v28, 7, v3
; %bb.72:                               ;   in Loop: Header=BB256_16 Depth=1
	s_or_b32 exec_lo, exec_lo, s25
	v_lshlrev_b32_e32 v1, 24, v1
	s_delay_alu instid0(VALU_DEP_2) | instskip(SKIP_1) | instid1(VALU_DEP_3)
	v_lshlrev_b32_e32 v3, 20, v28
	v_lshl_add_u32 v2, v2, 23, 0x3c000000
	v_and_b32_e32 v1, 0x80000000, v1
	s_delay_alu instid0(VALU_DEP_1) | instskip(NEXT) | instid1(VALU_DEP_1)
	v_or3_b32 v28, v3, v1, v2
	v_dual_mov_b32 v181, v29 :: v_dual_mov_b32 v180, v28
.LBB256_73:                             ;   in Loop: Header=BB256_16 Depth=1
	s_or_b32 exec_lo, exec_lo, s24
.LBB256_74:                             ;   in Loop: Header=BB256_16 Depth=1
	s_delay_alu instid0(SALU_CYCLE_1)
	s_or_b32 exec_lo, exec_lo, s23
.LBB256_75:                             ;   in Loop: Header=BB256_16 Depth=1
	s_delay_alu instid0(SALU_CYCLE_1) | instskip(NEXT) | instid1(SALU_CYCLE_1)
	s_or_b32 exec_lo, exec_lo, s2
	s_mov_b32 s23, exec_lo
	v_cmpx_lt_u32_e32 0xffffff, v0
	s_cbranch_execz .LBB256_83
; %bb.76:                               ;   in Loop: Header=BB256_16 Depth=1
	v_lshrrev_b32_e32 v1, 24, v0
	v_dual_mov_b32 v183, s17 :: v_dual_mov_b32 v182, s16
	s_mov_b32 s24, exec_lo
	s_delay_alu instid0(VALU_DEP_2)
	v_cmpx_ne_u32_e32 0x80, v1
	s_cbranch_execz .LBB256_82
; %bb.77:                               ;   in Loop: Header=BB256_16 Depth=1
	s_mov_b32 s2, s16
	v_bfe_u32 v2, v0, 24, 7
	v_dual_mov_b32 v183, s3 :: v_dual_mov_b32 v182, s2
	s_mov_b32 s2, exec_lo
	s_delay_alu instid0(VALU_DEP_2)
	v_cmpx_ne_u32_e32 0x7f, v2
	s_cbranch_execz .LBB256_81
; %bb.78:                               ;   in Loop: Header=BB256_16 Depth=1
	v_and_b32_e32 v28, 7, v1
	v_lshrrev_b32_e32 v0, 3, v2
	s_mov_b32 s25, exec_lo
	v_cmpx_gt_u32_e32 8, v2
; %bb.79:                               ;   in Loop: Header=BB256_16 Depth=1
	s_delay_alu instid0(VALU_DEP_3) | instskip(NEXT) | instid1(VALU_DEP_1)
	v_clz_i32_u32_e32 v0, v28
	v_min_u32_e32 v0, 32, v0
	s_delay_alu instid0(VALU_DEP_1) | instskip(SKIP_1) | instid1(VALU_DEP_2)
	v_subrev_nc_u32_e32 v2, 28, v0
	v_sub_nc_u32_e32 v0, 29, v0
	v_lshlrev_b64 v[2:3], v2, v[28:29]
	s_delay_alu instid0(VALU_DEP_1)
	v_and_b32_e32 v28, 7, v2
; %bb.80:                               ;   in Loop: Header=BB256_16 Depth=1
	s_or_b32 exec_lo, exec_lo, s25
	v_dual_mov_b32 v182, v29 :: v_dual_lshlrev_b32 v1, 24, v1
	s_delay_alu instid0(VALU_DEP_2) | instskip(SKIP_1) | instid1(VALU_DEP_3)
	v_lshlrev_b32_e32 v2, 20, v28
	v_lshl_add_u32 v0, v0, 23, 0x3c000000
	v_and_b32_e32 v1, 0x80000000, v1
	s_delay_alu instid0(VALU_DEP_1)
	v_or3_b32 v183, v2, v1, v0
.LBB256_81:                             ;   in Loop: Header=BB256_16 Depth=1
	s_or_b32 exec_lo, exec_lo, s2
.LBB256_82:                             ;   in Loop: Header=BB256_16 Depth=1
	s_delay_alu instid0(SALU_CYCLE_1)
	s_or_b32 exec_lo, exec_lo, s24
.LBB256_83:                             ;   in Loop: Header=BB256_16 Depth=1
	s_delay_alu instid0(SALU_CYCLE_1)
	s_or_b32 exec_lo, exec_lo, s23
	flat_load_b32 v0, v[39:40] offset:8
	v_mov_b32_e32 v43, 0
	v_mov_b32_e32 v44, 0
	s_mov_b32 s2, exec_lo
	s_waitcnt vmcnt(0) lgkmcnt(0)
	v_and_b32_e32 v1, 0xff, v0
	s_delay_alu instid0(VALU_DEP_2) | instskip(NEXT) | instid1(VALU_DEP_2)
	v_dual_mov_b32 v41, v43 :: v_dual_mov_b32 v42, v44
	v_cmpx_ne_u16_e32 0, v1
	s_cbranch_execz .LBB256_91
; %bb.84:                               ;   in Loop: Header=BB256_16 Depth=1
	v_bfrev_b32_e32 v41, 1
	v_mov_b32_e32 v42, 0
	s_mov_b32 s23, exec_lo
	v_cmpx_ne_u16_e32 0x80, v1
	s_cbranch_execz .LBB256_90
; %bb.85:                               ;   in Loop: Header=BB256_16 Depth=1
	v_mov_b32_e32 v41, 0x7f800001
	v_and_b32_e32 v2, 0x7f, v0
	v_mov_b32_e32 v42, 0
	s_mov_b32 s24, exec_lo
	s_delay_alu instid0(VALU_DEP_2)
	v_cmpx_ne_u32_e32 0x7f, v2
	s_cbranch_execz .LBB256_89
; %bb.86:                               ;   in Loop: Header=BB256_16 Depth=1
	v_and_b32_e32 v28, 7, v0
	v_lshrrev_b32_e32 v1, 3, v2
	s_mov_b32 s25, exec_lo
	v_cmpx_gt_u32_e32 8, v2
; %bb.87:                               ;   in Loop: Header=BB256_16 Depth=1
	s_delay_alu instid0(VALU_DEP_3) | instskip(NEXT) | instid1(VALU_DEP_1)
	v_clz_i32_u32_e32 v1, v28
	v_min_u32_e32 v1, 32, v1
	s_delay_alu instid0(VALU_DEP_1) | instskip(SKIP_1) | instid1(VALU_DEP_2)
	v_subrev_nc_u32_e32 v2, 28, v1
	v_sub_nc_u32_e32 v1, 29, v1
	v_lshlrev_b64 v[2:3], v2, v[28:29]
	s_delay_alu instid0(VALU_DEP_1)
	v_and_b32_e32 v28, 7, v2
; %bb.88:                               ;   in Loop: Header=BB256_16 Depth=1
	s_or_b32 exec_lo, exec_lo, s25
	v_lshlrev_b32_e32 v2, 24, v0
	s_delay_alu instid0(VALU_DEP_2) | instskip(SKIP_1) | instid1(VALU_DEP_3)
	v_lshlrev_b32_e32 v3, 20, v28
	v_lshl_add_u32 v1, v1, 23, 0x3c000000
	v_and_b32_e32 v2, 0x80000000, v2
	s_delay_alu instid0(VALU_DEP_1) | instskip(NEXT) | instid1(VALU_DEP_1)
	v_or3_b32 v28, v3, v2, v1
	v_dual_mov_b32 v42, v29 :: v_dual_mov_b32 v41, v28
.LBB256_89:                             ;   in Loop: Header=BB256_16 Depth=1
	s_or_b32 exec_lo, exec_lo, s24
.LBB256_90:                             ;   in Loop: Header=BB256_16 Depth=1
	s_delay_alu instid0(SALU_CYCLE_1)
	s_or_b32 exec_lo, exec_lo, s23
.LBB256_91:                             ;   in Loop: Header=BB256_16 Depth=1
	s_delay_alu instid0(SALU_CYCLE_1) | instskip(SKIP_2) | instid1(VALU_DEP_1)
	s_or_b32 exec_lo, exec_lo, s2
	v_lshrrev_b16 v1, 8, v0
	s_mov_b32 s23, exec_lo
	v_cmpx_ne_u16_e32 0, v1
	s_cbranch_execz .LBB256_99
; %bb.92:                               ;   in Loop: Header=BB256_16 Depth=1
	v_dual_mov_b32 v44, s17 :: v_dual_mov_b32 v43, s16
	s_mov_b32 s24, exec_lo
	v_cmpx_ne_u16_e32 0x80, v1
	s_cbranch_execz .LBB256_98
; %bb.93:                               ;   in Loop: Header=BB256_16 Depth=1
	s_mov_b32 s2, s16
	v_dual_mov_b32 v44, s3 :: v_dual_and_b32 v1, 0xffff, v1
	v_mov_b32_e32 v43, s2
	s_mov_b32 s2, exec_lo
	s_delay_alu instid0(VALU_DEP_2) | instskip(NEXT) | instid1(VALU_DEP_1)
	v_and_b32_e32 v2, 0x7f, v1
	v_cmpx_ne_u32_e32 0x7f, v2
	s_cbranch_execz .LBB256_97
; %bb.94:                               ;   in Loop: Header=BB256_16 Depth=1
	v_and_b32_e32 v28, 7, v1
	v_lshrrev_b32_e32 v1, 3, v2
	s_mov_b32 s25, exec_lo
	v_cmpx_gt_u32_e32 8, v2
; %bb.95:                               ;   in Loop: Header=BB256_16 Depth=1
	s_delay_alu instid0(VALU_DEP_3) | instskip(NEXT) | instid1(VALU_DEP_1)
	v_clz_i32_u32_e32 v1, v28
	v_min_u32_e32 v1, 32, v1
	s_delay_alu instid0(VALU_DEP_1) | instskip(SKIP_1) | instid1(VALU_DEP_2)
	v_subrev_nc_u32_e32 v2, 28, v1
	v_sub_nc_u32_e32 v1, 29, v1
	v_lshlrev_b64 v[2:3], v2, v[28:29]
	s_delay_alu instid0(VALU_DEP_1)
	v_and_b32_e32 v28, 7, v2
; %bb.96:                               ;   in Loop: Header=BB256_16 Depth=1
	s_or_b32 exec_lo, exec_lo, s25
	v_dual_mov_b32 v43, v29 :: v_dual_lshlrev_b32 v2, 16, v0
	s_delay_alu instid0(VALU_DEP_2) | instskip(SKIP_1) | instid1(VALU_DEP_3)
	v_lshlrev_b32_e32 v3, 20, v28
	v_lshl_add_u32 v1, v1, 23, 0x3c000000
	v_and_b32_e32 v2, 0x80000000, v2
	s_delay_alu instid0(VALU_DEP_1)
	v_or3_b32 v44, v3, v2, v1
.LBB256_97:                             ;   in Loop: Header=BB256_16 Depth=1
	s_or_b32 exec_lo, exec_lo, s2
.LBB256_98:                             ;   in Loop: Header=BB256_16 Depth=1
	s_delay_alu instid0(SALU_CYCLE_1)
	s_or_b32 exec_lo, exec_lo, s24
.LBB256_99:                             ;   in Loop: Header=BB256_16 Depth=1
	s_delay_alu instid0(SALU_CYCLE_1) | instskip(SKIP_4) | instid1(VALU_DEP_2)
	s_or_b32 exec_lo, exec_lo, s23
	v_mov_b32_e32 v56, 0
	v_lshrrev_b32_e32 v1, 16, v0
	v_mov_b32_e32 v57, 0
	s_mov_b32 s2, exec_lo
	v_dual_mov_b32 v45, v56 :: v_dual_and_b32 v2, 0xff, v1
	s_delay_alu instid0(VALU_DEP_2) | instskip(NEXT) | instid1(VALU_DEP_2)
	v_mov_b32_e32 v46, v57
	v_cmpx_ne_u16_e32 0, v2
	s_cbranch_execz .LBB256_107
; %bb.100:                              ;   in Loop: Header=BB256_16 Depth=1
	v_bfrev_b32_e32 v45, 1
	v_mov_b32_e32 v46, 0
	s_mov_b32 s23, exec_lo
	v_cmpx_ne_u16_e32 0x80, v2
	s_cbranch_execz .LBB256_106
; %bb.101:                              ;   in Loop: Header=BB256_16 Depth=1
	v_mov_b32_e32 v45, 0x7f800001
	v_bfe_u32 v3, v0, 16, 7
	v_mov_b32_e32 v46, 0
	s_mov_b32 s24, exec_lo
	s_delay_alu instid0(VALU_DEP_2)
	v_cmpx_ne_u32_e32 0x7f, v3
	s_cbranch_execz .LBB256_105
; %bb.102:                              ;   in Loop: Header=BB256_16 Depth=1
	v_and_b32_e32 v28, 7, v1
	v_lshrrev_b32_e32 v2, 3, v3
	s_mov_b32 s25, exec_lo
	v_cmpx_gt_u32_e32 8, v3
; %bb.103:                              ;   in Loop: Header=BB256_16 Depth=1
	s_delay_alu instid0(VALU_DEP_3) | instskip(NEXT) | instid1(VALU_DEP_1)
	v_clz_i32_u32_e32 v2, v28
	v_min_u32_e32 v2, 32, v2
	s_delay_alu instid0(VALU_DEP_1) | instskip(SKIP_1) | instid1(VALU_DEP_2)
	v_subrev_nc_u32_e32 v3, 28, v2
	v_sub_nc_u32_e32 v2, 29, v2
	v_lshlrev_b64 v[3:4], v3, v[28:29]
	s_delay_alu instid0(VALU_DEP_1)
	v_and_b32_e32 v28, 7, v3
; %bb.104:                              ;   in Loop: Header=BB256_16 Depth=1
	s_or_b32 exec_lo, exec_lo, s25
	v_lshlrev_b32_e32 v1, 24, v1
	s_delay_alu instid0(VALU_DEP_2) | instskip(SKIP_1) | instid1(VALU_DEP_3)
	v_lshlrev_b32_e32 v3, 20, v28
	v_lshl_add_u32 v2, v2, 23, 0x3c000000
	v_and_b32_e32 v1, 0x80000000, v1
	s_delay_alu instid0(VALU_DEP_1) | instskip(NEXT) | instid1(VALU_DEP_1)
	v_or3_b32 v28, v3, v1, v2
	v_dual_mov_b32 v46, v29 :: v_dual_mov_b32 v45, v28
.LBB256_105:                            ;   in Loop: Header=BB256_16 Depth=1
	s_or_b32 exec_lo, exec_lo, s24
.LBB256_106:                            ;   in Loop: Header=BB256_16 Depth=1
	s_delay_alu instid0(SALU_CYCLE_1)
	s_or_b32 exec_lo, exec_lo, s23
.LBB256_107:                            ;   in Loop: Header=BB256_16 Depth=1
	s_delay_alu instid0(SALU_CYCLE_1) | instskip(NEXT) | instid1(SALU_CYCLE_1)
	s_or_b32 exec_lo, exec_lo, s2
	s_mov_b32 s23, exec_lo
	v_cmpx_lt_u32_e32 0xffffff, v0
	s_cbranch_execz .LBB256_115
; %bb.108:                              ;   in Loop: Header=BB256_16 Depth=1
	v_lshrrev_b32_e32 v1, 24, v0
	v_dual_mov_b32 v57, s17 :: v_dual_mov_b32 v56, s16
	s_mov_b32 s24, exec_lo
	s_delay_alu instid0(VALU_DEP_2)
	v_cmpx_ne_u32_e32 0x80, v1
	s_cbranch_execz .LBB256_114
; %bb.109:                              ;   in Loop: Header=BB256_16 Depth=1
	s_mov_b32 s2, s16
	v_bfe_u32 v2, v0, 24, 7
	v_dual_mov_b32 v57, s3 :: v_dual_mov_b32 v56, s2
	s_mov_b32 s2, exec_lo
	s_delay_alu instid0(VALU_DEP_2)
	v_cmpx_ne_u32_e32 0x7f, v2
	s_cbranch_execz .LBB256_113
; %bb.110:                              ;   in Loop: Header=BB256_16 Depth=1
	v_and_b32_e32 v28, 7, v1
	v_lshrrev_b32_e32 v0, 3, v2
	s_mov_b32 s25, exec_lo
	v_cmpx_gt_u32_e32 8, v2
; %bb.111:                              ;   in Loop: Header=BB256_16 Depth=1
	s_delay_alu instid0(VALU_DEP_3) | instskip(NEXT) | instid1(VALU_DEP_1)
	v_clz_i32_u32_e32 v0, v28
	v_min_u32_e32 v0, 32, v0
	s_delay_alu instid0(VALU_DEP_1) | instskip(SKIP_1) | instid1(VALU_DEP_2)
	v_subrev_nc_u32_e32 v2, 28, v0
	v_sub_nc_u32_e32 v0, 29, v0
	v_lshlrev_b64 v[2:3], v2, v[28:29]
	s_delay_alu instid0(VALU_DEP_1)
	v_and_b32_e32 v28, 7, v2
; %bb.112:                              ;   in Loop: Header=BB256_16 Depth=1
	s_or_b32 exec_lo, exec_lo, s25
	v_dual_mov_b32 v56, v29 :: v_dual_lshlrev_b32 v1, 24, v1
	s_delay_alu instid0(VALU_DEP_2) | instskip(SKIP_1) | instid1(VALU_DEP_3)
	v_lshlrev_b32_e32 v2, 20, v28
	v_lshl_add_u32 v0, v0, 23, 0x3c000000
	v_and_b32_e32 v1, 0x80000000, v1
	s_delay_alu instid0(VALU_DEP_1)
	v_or3_b32 v57, v2, v1, v0
.LBB256_113:                            ;   in Loop: Header=BB256_16 Depth=1
	s_or_b32 exec_lo, exec_lo, s2
.LBB256_114:                            ;   in Loop: Header=BB256_16 Depth=1
	s_delay_alu instid0(SALU_CYCLE_1)
	s_or_b32 exec_lo, exec_lo, s24
.LBB256_115:                            ;   in Loop: Header=BB256_16 Depth=1
	s_delay_alu instid0(SALU_CYCLE_1) | instskip(SKIP_3) | instid1(VALU_DEP_2)
	s_or_b32 exec_lo, exec_lo, s23
	flat_load_b32 v0, v[39:40] offset:12
	v_mov_b32_e32 v60, 0
	v_mov_b32_e32 v61, 0
	;; [unrolled: 1-line block ×3, first 2 shown]
	s_mov_b32 s2, exec_lo
	s_delay_alu instid0(VALU_DEP_2) | instskip(SKIP_2) | instid1(VALU_DEP_1)
	v_mov_b32_e32 v59, v61
	s_waitcnt vmcnt(0) lgkmcnt(0)
	v_and_b32_e32 v1, 0xff, v0
	v_cmpx_ne_u16_e32 0, v1
	s_cbranch_execz .LBB256_123
; %bb.116:                              ;   in Loop: Header=BB256_16 Depth=1
	v_bfrev_b32_e32 v58, 1
	v_mov_b32_e32 v59, 0
	s_mov_b32 s23, exec_lo
	v_cmpx_ne_u16_e32 0x80, v1
	s_cbranch_execz .LBB256_122
; %bb.117:                              ;   in Loop: Header=BB256_16 Depth=1
	v_mov_b32_e32 v58, 0x7f800001
	v_dual_mov_b32 v59, 0 :: v_dual_and_b32 v2, 0x7f, v0
	s_mov_b32 s24, exec_lo
	s_delay_alu instid0(VALU_DEP_1)
	v_cmpx_ne_u32_e32 0x7f, v2
	s_cbranch_execz .LBB256_121
; %bb.118:                              ;   in Loop: Header=BB256_16 Depth=1
	v_and_b32_e32 v28, 7, v0
	v_lshrrev_b32_e32 v1, 3, v2
	s_mov_b32 s25, exec_lo
	v_cmpx_gt_u32_e32 8, v2
; %bb.119:                              ;   in Loop: Header=BB256_16 Depth=1
	s_delay_alu instid0(VALU_DEP_3) | instskip(NEXT) | instid1(VALU_DEP_1)
	v_clz_i32_u32_e32 v1, v28
	v_min_u32_e32 v1, 32, v1
	s_delay_alu instid0(VALU_DEP_1) | instskip(SKIP_1) | instid1(VALU_DEP_2)
	v_subrev_nc_u32_e32 v2, 28, v1
	v_sub_nc_u32_e32 v1, 29, v1
	v_lshlrev_b64 v[2:3], v2, v[28:29]
	s_delay_alu instid0(VALU_DEP_1)
	v_and_b32_e32 v28, 7, v2
; %bb.120:                              ;   in Loop: Header=BB256_16 Depth=1
	s_or_b32 exec_lo, exec_lo, s25
	v_lshlrev_b32_e32 v2, 24, v0
	s_delay_alu instid0(VALU_DEP_2) | instskip(SKIP_1) | instid1(VALU_DEP_3)
	v_lshlrev_b32_e32 v3, 20, v28
	v_lshl_add_u32 v1, v1, 23, 0x3c000000
	v_and_b32_e32 v2, 0x80000000, v2
	s_delay_alu instid0(VALU_DEP_1) | instskip(NEXT) | instid1(VALU_DEP_1)
	v_or3_b32 v28, v3, v2, v1
	v_dual_mov_b32 v59, v29 :: v_dual_mov_b32 v58, v28
.LBB256_121:                            ;   in Loop: Header=BB256_16 Depth=1
	s_or_b32 exec_lo, exec_lo, s24
.LBB256_122:                            ;   in Loop: Header=BB256_16 Depth=1
	s_delay_alu instid0(SALU_CYCLE_1)
	s_or_b32 exec_lo, exec_lo, s23
.LBB256_123:                            ;   in Loop: Header=BB256_16 Depth=1
	s_delay_alu instid0(SALU_CYCLE_1) | instskip(SKIP_2) | instid1(VALU_DEP_1)
	s_or_b32 exec_lo, exec_lo, s2
	v_lshrrev_b16 v1, 8, v0
	s_mov_b32 s23, exec_lo
	v_cmpx_ne_u16_e32 0, v1
	s_cbranch_execz .LBB256_131
; %bb.124:                              ;   in Loop: Header=BB256_16 Depth=1
	v_dual_mov_b32 v61, s17 :: v_dual_mov_b32 v60, s16
	s_mov_b32 s24, exec_lo
	v_cmpx_ne_u16_e32 0x80, v1
	s_cbranch_execz .LBB256_130
; %bb.125:                              ;   in Loop: Header=BB256_16 Depth=1
	s_mov_b32 s2, s16
	v_and_b32_e32 v1, 0xffff, v1
	v_dual_mov_b32 v61, s3 :: v_dual_mov_b32 v60, s2
	s_mov_b32 s2, exec_lo
	s_delay_alu instid0(VALU_DEP_2) | instskip(NEXT) | instid1(VALU_DEP_1)
	v_and_b32_e32 v2, 0x7f, v1
	v_cmpx_ne_u32_e32 0x7f, v2
	s_cbranch_execz .LBB256_129
; %bb.126:                              ;   in Loop: Header=BB256_16 Depth=1
	v_and_b32_e32 v28, 7, v1
	v_lshrrev_b32_e32 v1, 3, v2
	s_mov_b32 s25, exec_lo
	v_cmpx_gt_u32_e32 8, v2
; %bb.127:                              ;   in Loop: Header=BB256_16 Depth=1
	s_delay_alu instid0(VALU_DEP_3) | instskip(NEXT) | instid1(VALU_DEP_1)
	v_clz_i32_u32_e32 v1, v28
	v_min_u32_e32 v1, 32, v1
	s_delay_alu instid0(VALU_DEP_1) | instskip(SKIP_1) | instid1(VALU_DEP_2)
	v_subrev_nc_u32_e32 v2, 28, v1
	v_sub_nc_u32_e32 v1, 29, v1
	v_lshlrev_b64 v[2:3], v2, v[28:29]
	s_delay_alu instid0(VALU_DEP_1)
	v_and_b32_e32 v28, 7, v2
; %bb.128:                              ;   in Loop: Header=BB256_16 Depth=1
	s_or_b32 exec_lo, exec_lo, s25
	v_lshlrev_b32_e32 v2, 16, v0
	s_delay_alu instid0(VALU_DEP_2) | instskip(SKIP_1) | instid1(VALU_DEP_3)
	v_dual_mov_b32 v60, v29 :: v_dual_lshlrev_b32 v3, 20, v28
	v_lshl_add_u32 v1, v1, 23, 0x3c000000
	v_and_b32_e32 v2, 0x80000000, v2
	s_delay_alu instid0(VALU_DEP_1)
	v_or3_b32 v61, v3, v2, v1
.LBB256_129:                            ;   in Loop: Header=BB256_16 Depth=1
	s_or_b32 exec_lo, exec_lo, s2
.LBB256_130:                            ;   in Loop: Header=BB256_16 Depth=1
	s_delay_alu instid0(SALU_CYCLE_1)
	s_or_b32 exec_lo, exec_lo, s24
.LBB256_131:                            ;   in Loop: Header=BB256_16 Depth=1
	s_delay_alu instid0(SALU_CYCLE_1) | instskip(SKIP_4) | instid1(VALU_DEP_2)
	s_or_b32 exec_lo, exec_lo, s23
	v_mov_b32_e32 v72, 0
	v_lshrrev_b32_e32 v1, 16, v0
	v_mov_b32_e32 v73, 0
	s_mov_b32 s2, exec_lo
	v_and_b32_e32 v2, 0xff, v1
	s_delay_alu instid0(VALU_DEP_2) | instskip(NEXT) | instid1(VALU_DEP_2)
	v_dual_mov_b32 v62, v72 :: v_dual_mov_b32 v63, v73
	v_cmpx_ne_u16_e32 0, v2
	s_cbranch_execz .LBB256_139
; %bb.132:                              ;   in Loop: Header=BB256_16 Depth=1
	v_bfrev_b32_e32 v62, 1
	v_mov_b32_e32 v63, 0
	s_mov_b32 s23, exec_lo
	v_cmpx_ne_u16_e32 0x80, v2
	s_cbranch_execz .LBB256_138
; %bb.133:                              ;   in Loop: Header=BB256_16 Depth=1
	v_mov_b32_e32 v62, 0x7f800001
	v_bfe_u32 v3, v0, 16, 7
	v_mov_b32_e32 v63, 0
	s_mov_b32 s24, exec_lo
	s_delay_alu instid0(VALU_DEP_2)
	v_cmpx_ne_u32_e32 0x7f, v3
	s_cbranch_execz .LBB256_137
; %bb.134:                              ;   in Loop: Header=BB256_16 Depth=1
	v_and_b32_e32 v28, 7, v1
	v_lshrrev_b32_e32 v2, 3, v3
	s_mov_b32 s25, exec_lo
	v_cmpx_gt_u32_e32 8, v3
; %bb.135:                              ;   in Loop: Header=BB256_16 Depth=1
	s_delay_alu instid0(VALU_DEP_3) | instskip(NEXT) | instid1(VALU_DEP_1)
	v_clz_i32_u32_e32 v2, v28
	v_min_u32_e32 v2, 32, v2
	s_delay_alu instid0(VALU_DEP_1) | instskip(SKIP_1) | instid1(VALU_DEP_2)
	v_subrev_nc_u32_e32 v3, 28, v2
	v_sub_nc_u32_e32 v2, 29, v2
	v_lshlrev_b64 v[3:4], v3, v[28:29]
	s_delay_alu instid0(VALU_DEP_1)
	v_and_b32_e32 v28, 7, v3
; %bb.136:                              ;   in Loop: Header=BB256_16 Depth=1
	s_or_b32 exec_lo, exec_lo, s25
	v_lshlrev_b32_e32 v1, 24, v1
	s_delay_alu instid0(VALU_DEP_2) | instskip(SKIP_1) | instid1(VALU_DEP_3)
	v_lshlrev_b32_e32 v3, 20, v28
	v_lshl_add_u32 v2, v2, 23, 0x3c000000
	v_and_b32_e32 v1, 0x80000000, v1
	s_delay_alu instid0(VALU_DEP_1) | instskip(NEXT) | instid1(VALU_DEP_1)
	v_or3_b32 v28, v3, v1, v2
	v_dual_mov_b32 v63, v29 :: v_dual_mov_b32 v62, v28
.LBB256_137:                            ;   in Loop: Header=BB256_16 Depth=1
	s_or_b32 exec_lo, exec_lo, s24
.LBB256_138:                            ;   in Loop: Header=BB256_16 Depth=1
	s_delay_alu instid0(SALU_CYCLE_1)
	s_or_b32 exec_lo, exec_lo, s23
.LBB256_139:                            ;   in Loop: Header=BB256_16 Depth=1
	s_delay_alu instid0(SALU_CYCLE_1) | instskip(NEXT) | instid1(SALU_CYCLE_1)
	s_or_b32 exec_lo, exec_lo, s2
	s_mov_b32 s23, exec_lo
	v_cmpx_lt_u32_e32 0xffffff, v0
	s_cbranch_execz .LBB256_147
; %bb.140:                              ;   in Loop: Header=BB256_16 Depth=1
	v_lshrrev_b32_e32 v1, 24, v0
	v_dual_mov_b32 v73, s17 :: v_dual_mov_b32 v72, s16
	s_mov_b32 s24, exec_lo
	s_delay_alu instid0(VALU_DEP_2)
	v_cmpx_ne_u32_e32 0x80, v1
	s_cbranch_execz .LBB256_146
; %bb.141:                              ;   in Loop: Header=BB256_16 Depth=1
	s_mov_b32 s2, s16
	v_bfe_u32 v2, v0, 24, 7
	v_dual_mov_b32 v73, s3 :: v_dual_mov_b32 v72, s2
	s_mov_b32 s2, exec_lo
	s_delay_alu instid0(VALU_DEP_2)
	v_cmpx_ne_u32_e32 0x7f, v2
	s_cbranch_execz .LBB256_145
; %bb.142:                              ;   in Loop: Header=BB256_16 Depth=1
	v_and_b32_e32 v28, 7, v1
	v_lshrrev_b32_e32 v0, 3, v2
	s_mov_b32 s25, exec_lo
	v_cmpx_gt_u32_e32 8, v2
; %bb.143:                              ;   in Loop: Header=BB256_16 Depth=1
	s_delay_alu instid0(VALU_DEP_3) | instskip(NEXT) | instid1(VALU_DEP_1)
	v_clz_i32_u32_e32 v0, v28
	v_min_u32_e32 v0, 32, v0
	s_delay_alu instid0(VALU_DEP_1) | instskip(SKIP_1) | instid1(VALU_DEP_2)
	v_subrev_nc_u32_e32 v2, 28, v0
	v_sub_nc_u32_e32 v0, 29, v0
	v_lshlrev_b64 v[2:3], v2, v[28:29]
	s_delay_alu instid0(VALU_DEP_1)
	v_and_b32_e32 v28, 7, v2
; %bb.144:                              ;   in Loop: Header=BB256_16 Depth=1
	s_or_b32 exec_lo, exec_lo, s25
	v_dual_mov_b32 v72, v29 :: v_dual_lshlrev_b32 v1, 24, v1
	s_delay_alu instid0(VALU_DEP_2) | instskip(SKIP_1) | instid1(VALU_DEP_3)
	v_lshlrev_b32_e32 v2, 20, v28
	v_lshl_add_u32 v0, v0, 23, 0x3c000000
	v_and_b32_e32 v1, 0x80000000, v1
	s_delay_alu instid0(VALU_DEP_1)
	v_or3_b32 v73, v2, v1, v0
.LBB256_145:                            ;   in Loop: Header=BB256_16 Depth=1
	s_or_b32 exec_lo, exec_lo, s2
.LBB256_146:                            ;   in Loop: Header=BB256_16 Depth=1
	s_delay_alu instid0(SALU_CYCLE_1)
	s_or_b32 exec_lo, exec_lo, s24
.LBB256_147:                            ;   in Loop: Header=BB256_16 Depth=1
	s_delay_alu instid0(SALU_CYCLE_1) | instskip(SKIP_3) | instid1(VALU_DEP_2)
	s_or_b32 exec_lo, exec_lo, s23
	flat_load_b32 v0, v[39:40] offset:512
	v_mov_b32_e32 v76, 0
	v_mov_b32_e32 v77, 0
	;; [unrolled: 1-line block ×3, first 2 shown]
	s_mov_b32 s2, exec_lo
	s_delay_alu instid0(VALU_DEP_2) | instskip(SKIP_2) | instid1(VALU_DEP_1)
	v_mov_b32_e32 v75, v77
	s_waitcnt vmcnt(0) lgkmcnt(0)
	v_and_b32_e32 v1, 0xff, v0
	v_cmpx_ne_u16_e32 0, v1
	s_cbranch_execz .LBB256_155
; %bb.148:                              ;   in Loop: Header=BB256_16 Depth=1
	v_bfrev_b32_e32 v74, 1
	v_mov_b32_e32 v75, 0
	s_mov_b32 s23, exec_lo
	v_cmpx_ne_u16_e32 0x80, v1
	s_cbranch_execz .LBB256_154
; %bb.149:                              ;   in Loop: Header=BB256_16 Depth=1
	v_mov_b32_e32 v74, 0x7f800001
	v_dual_mov_b32 v75, 0 :: v_dual_and_b32 v2, 0x7f, v0
	s_mov_b32 s24, exec_lo
	s_delay_alu instid0(VALU_DEP_1)
	v_cmpx_ne_u32_e32 0x7f, v2
	s_cbranch_execz .LBB256_153
; %bb.150:                              ;   in Loop: Header=BB256_16 Depth=1
	v_and_b32_e32 v28, 7, v0
	v_lshrrev_b32_e32 v1, 3, v2
	s_mov_b32 s25, exec_lo
	v_cmpx_gt_u32_e32 8, v2
; %bb.151:                              ;   in Loop: Header=BB256_16 Depth=1
	s_delay_alu instid0(VALU_DEP_3) | instskip(NEXT) | instid1(VALU_DEP_1)
	v_clz_i32_u32_e32 v1, v28
	v_min_u32_e32 v1, 32, v1
	s_delay_alu instid0(VALU_DEP_1) | instskip(SKIP_1) | instid1(VALU_DEP_2)
	v_subrev_nc_u32_e32 v2, 28, v1
	v_sub_nc_u32_e32 v1, 29, v1
	v_lshlrev_b64 v[2:3], v2, v[28:29]
	s_delay_alu instid0(VALU_DEP_1)
	v_and_b32_e32 v28, 7, v2
; %bb.152:                              ;   in Loop: Header=BB256_16 Depth=1
	s_or_b32 exec_lo, exec_lo, s25
	v_lshlrev_b32_e32 v2, 24, v0
	s_delay_alu instid0(VALU_DEP_2) | instskip(SKIP_1) | instid1(VALU_DEP_3)
	v_lshlrev_b32_e32 v3, 20, v28
	v_lshl_add_u32 v1, v1, 23, 0x3c000000
	v_and_b32_e32 v2, 0x80000000, v2
	s_delay_alu instid0(VALU_DEP_1) | instskip(NEXT) | instid1(VALU_DEP_1)
	v_or3_b32 v28, v3, v2, v1
	v_dual_mov_b32 v75, v29 :: v_dual_mov_b32 v74, v28
.LBB256_153:                            ;   in Loop: Header=BB256_16 Depth=1
	s_or_b32 exec_lo, exec_lo, s24
.LBB256_154:                            ;   in Loop: Header=BB256_16 Depth=1
	s_delay_alu instid0(SALU_CYCLE_1)
	s_or_b32 exec_lo, exec_lo, s23
.LBB256_155:                            ;   in Loop: Header=BB256_16 Depth=1
	s_delay_alu instid0(SALU_CYCLE_1) | instskip(SKIP_2) | instid1(VALU_DEP_1)
	s_or_b32 exec_lo, exec_lo, s2
	v_lshrrev_b16 v1, 8, v0
	s_mov_b32 s23, exec_lo
	v_cmpx_ne_u16_e32 0, v1
	s_cbranch_execz .LBB256_163
; %bb.156:                              ;   in Loop: Header=BB256_16 Depth=1
	v_dual_mov_b32 v77, s17 :: v_dual_mov_b32 v76, s16
	s_mov_b32 s24, exec_lo
	v_cmpx_ne_u16_e32 0x80, v1
	s_cbranch_execz .LBB256_162
; %bb.157:                              ;   in Loop: Header=BB256_16 Depth=1
	s_mov_b32 s2, s16
	v_and_b32_e32 v1, 0xffff, v1
	v_dual_mov_b32 v77, s3 :: v_dual_mov_b32 v76, s2
	s_mov_b32 s2, exec_lo
	s_delay_alu instid0(VALU_DEP_2) | instskip(NEXT) | instid1(VALU_DEP_1)
	v_and_b32_e32 v2, 0x7f, v1
	v_cmpx_ne_u32_e32 0x7f, v2
	s_cbranch_execz .LBB256_161
; %bb.158:                              ;   in Loop: Header=BB256_16 Depth=1
	v_and_b32_e32 v28, 7, v1
	v_lshrrev_b32_e32 v1, 3, v2
	s_mov_b32 s25, exec_lo
	v_cmpx_gt_u32_e32 8, v2
; %bb.159:                              ;   in Loop: Header=BB256_16 Depth=1
	s_delay_alu instid0(VALU_DEP_3) | instskip(NEXT) | instid1(VALU_DEP_1)
	v_clz_i32_u32_e32 v1, v28
	v_min_u32_e32 v1, 32, v1
	s_delay_alu instid0(VALU_DEP_1) | instskip(SKIP_1) | instid1(VALU_DEP_2)
	v_subrev_nc_u32_e32 v2, 28, v1
	v_sub_nc_u32_e32 v1, 29, v1
	v_lshlrev_b64 v[2:3], v2, v[28:29]
	s_delay_alu instid0(VALU_DEP_1)
	v_and_b32_e32 v28, 7, v2
; %bb.160:                              ;   in Loop: Header=BB256_16 Depth=1
	s_or_b32 exec_lo, exec_lo, s25
	v_lshlrev_b32_e32 v2, 16, v0
	s_delay_alu instid0(VALU_DEP_2) | instskip(SKIP_1) | instid1(VALU_DEP_3)
	v_dual_mov_b32 v76, v29 :: v_dual_lshlrev_b32 v3, 20, v28
	v_lshl_add_u32 v1, v1, 23, 0x3c000000
	v_and_b32_e32 v2, 0x80000000, v2
	s_delay_alu instid0(VALU_DEP_1)
	v_or3_b32 v77, v3, v2, v1
.LBB256_161:                            ;   in Loop: Header=BB256_16 Depth=1
	s_or_b32 exec_lo, exec_lo, s2
.LBB256_162:                            ;   in Loop: Header=BB256_16 Depth=1
	s_delay_alu instid0(SALU_CYCLE_1)
	s_or_b32 exec_lo, exec_lo, s24
.LBB256_163:                            ;   in Loop: Header=BB256_16 Depth=1
	s_delay_alu instid0(SALU_CYCLE_1) | instskip(SKIP_4) | instid1(VALU_DEP_2)
	s_or_b32 exec_lo, exec_lo, s23
	v_mov_b32_e32 v88, 0
	v_lshrrev_b32_e32 v1, 16, v0
	v_mov_b32_e32 v89, 0
	s_mov_b32 s2, exec_lo
	v_and_b32_e32 v2, 0xff, v1
	s_delay_alu instid0(VALU_DEP_2) | instskip(NEXT) | instid1(VALU_DEP_2)
	v_dual_mov_b32 v78, v88 :: v_dual_mov_b32 v79, v89
	v_cmpx_ne_u16_e32 0, v2
	s_cbranch_execz .LBB256_171
; %bb.164:                              ;   in Loop: Header=BB256_16 Depth=1
	v_bfrev_b32_e32 v78, 1
	v_mov_b32_e32 v79, 0
	s_mov_b32 s23, exec_lo
	v_cmpx_ne_u16_e32 0x80, v2
	s_cbranch_execz .LBB256_170
; %bb.165:                              ;   in Loop: Header=BB256_16 Depth=1
	v_mov_b32_e32 v78, 0x7f800001
	v_bfe_u32 v3, v0, 16, 7
	v_mov_b32_e32 v79, 0
	s_mov_b32 s24, exec_lo
	s_delay_alu instid0(VALU_DEP_2)
	v_cmpx_ne_u32_e32 0x7f, v3
	s_cbranch_execz .LBB256_169
; %bb.166:                              ;   in Loop: Header=BB256_16 Depth=1
	v_and_b32_e32 v28, 7, v1
	v_lshrrev_b32_e32 v2, 3, v3
	s_mov_b32 s25, exec_lo
	v_cmpx_gt_u32_e32 8, v3
; %bb.167:                              ;   in Loop: Header=BB256_16 Depth=1
	s_delay_alu instid0(VALU_DEP_3) | instskip(NEXT) | instid1(VALU_DEP_1)
	v_clz_i32_u32_e32 v2, v28
	v_min_u32_e32 v2, 32, v2
	s_delay_alu instid0(VALU_DEP_1) | instskip(SKIP_1) | instid1(VALU_DEP_2)
	v_subrev_nc_u32_e32 v3, 28, v2
	v_sub_nc_u32_e32 v2, 29, v2
	v_lshlrev_b64 v[3:4], v3, v[28:29]
	s_delay_alu instid0(VALU_DEP_1)
	v_and_b32_e32 v28, 7, v3
; %bb.168:                              ;   in Loop: Header=BB256_16 Depth=1
	s_or_b32 exec_lo, exec_lo, s25
	v_lshlrev_b32_e32 v1, 24, v1
	s_delay_alu instid0(VALU_DEP_2) | instskip(SKIP_1) | instid1(VALU_DEP_3)
	v_lshlrev_b32_e32 v3, 20, v28
	v_lshl_add_u32 v2, v2, 23, 0x3c000000
	v_and_b32_e32 v1, 0x80000000, v1
	s_delay_alu instid0(VALU_DEP_1) | instskip(NEXT) | instid1(VALU_DEP_1)
	v_or3_b32 v28, v3, v1, v2
	v_dual_mov_b32 v79, v29 :: v_dual_mov_b32 v78, v28
.LBB256_169:                            ;   in Loop: Header=BB256_16 Depth=1
	s_or_b32 exec_lo, exec_lo, s24
.LBB256_170:                            ;   in Loop: Header=BB256_16 Depth=1
	s_delay_alu instid0(SALU_CYCLE_1)
	s_or_b32 exec_lo, exec_lo, s23
.LBB256_171:                            ;   in Loop: Header=BB256_16 Depth=1
	s_delay_alu instid0(SALU_CYCLE_1) | instskip(NEXT) | instid1(SALU_CYCLE_1)
	s_or_b32 exec_lo, exec_lo, s2
	s_mov_b32 s23, exec_lo
	v_cmpx_lt_u32_e32 0xffffff, v0
	s_cbranch_execz .LBB256_179
; %bb.172:                              ;   in Loop: Header=BB256_16 Depth=1
	v_lshrrev_b32_e32 v1, 24, v0
	v_dual_mov_b32 v89, s17 :: v_dual_mov_b32 v88, s16
	s_mov_b32 s24, exec_lo
	s_delay_alu instid0(VALU_DEP_2)
	v_cmpx_ne_u32_e32 0x80, v1
	s_cbranch_execz .LBB256_178
; %bb.173:                              ;   in Loop: Header=BB256_16 Depth=1
	s_mov_b32 s2, s16
	v_bfe_u32 v2, v0, 24, 7
	v_dual_mov_b32 v89, s3 :: v_dual_mov_b32 v88, s2
	s_mov_b32 s2, exec_lo
	s_delay_alu instid0(VALU_DEP_2)
	v_cmpx_ne_u32_e32 0x7f, v2
	s_cbranch_execz .LBB256_177
; %bb.174:                              ;   in Loop: Header=BB256_16 Depth=1
	v_and_b32_e32 v28, 7, v1
	v_lshrrev_b32_e32 v0, 3, v2
	s_mov_b32 s25, exec_lo
	v_cmpx_gt_u32_e32 8, v2
; %bb.175:                              ;   in Loop: Header=BB256_16 Depth=1
	s_delay_alu instid0(VALU_DEP_3) | instskip(NEXT) | instid1(VALU_DEP_1)
	v_clz_i32_u32_e32 v0, v28
	v_min_u32_e32 v0, 32, v0
	s_delay_alu instid0(VALU_DEP_1) | instskip(SKIP_1) | instid1(VALU_DEP_2)
	v_subrev_nc_u32_e32 v2, 28, v0
	v_sub_nc_u32_e32 v0, 29, v0
	v_lshlrev_b64 v[2:3], v2, v[28:29]
	s_delay_alu instid0(VALU_DEP_1)
	v_and_b32_e32 v28, 7, v2
; %bb.176:                              ;   in Loop: Header=BB256_16 Depth=1
	s_or_b32 exec_lo, exec_lo, s25
	v_dual_mov_b32 v88, v29 :: v_dual_lshlrev_b32 v1, 24, v1
	s_delay_alu instid0(VALU_DEP_2) | instskip(SKIP_1) | instid1(VALU_DEP_3)
	v_lshlrev_b32_e32 v2, 20, v28
	v_lshl_add_u32 v0, v0, 23, 0x3c000000
	v_and_b32_e32 v1, 0x80000000, v1
	s_delay_alu instid0(VALU_DEP_1)
	v_or3_b32 v89, v2, v1, v0
.LBB256_177:                            ;   in Loop: Header=BB256_16 Depth=1
	s_or_b32 exec_lo, exec_lo, s2
.LBB256_178:                            ;   in Loop: Header=BB256_16 Depth=1
	s_delay_alu instid0(SALU_CYCLE_1)
	s_or_b32 exec_lo, exec_lo, s24
.LBB256_179:                            ;   in Loop: Header=BB256_16 Depth=1
	s_delay_alu instid0(SALU_CYCLE_1) | instskip(SKIP_3) | instid1(VALU_DEP_2)
	s_or_b32 exec_lo, exec_lo, s23
	flat_load_b32 v0, v[39:40] offset:516
	v_mov_b32_e32 v92, 0
	v_mov_b32_e32 v93, 0
	;; [unrolled: 1-line block ×3, first 2 shown]
	s_mov_b32 s2, exec_lo
	s_delay_alu instid0(VALU_DEP_2) | instskip(SKIP_2) | instid1(VALU_DEP_1)
	v_mov_b32_e32 v91, v93
	s_waitcnt vmcnt(0) lgkmcnt(0)
	v_and_b32_e32 v1, 0xff, v0
	v_cmpx_ne_u16_e32 0, v1
	s_cbranch_execz .LBB256_187
; %bb.180:                              ;   in Loop: Header=BB256_16 Depth=1
	v_bfrev_b32_e32 v90, 1
	v_mov_b32_e32 v91, 0
	s_mov_b32 s23, exec_lo
	v_cmpx_ne_u16_e32 0x80, v1
	s_cbranch_execz .LBB256_186
; %bb.181:                              ;   in Loop: Header=BB256_16 Depth=1
	v_mov_b32_e32 v90, 0x7f800001
	v_dual_mov_b32 v91, 0 :: v_dual_and_b32 v2, 0x7f, v0
	s_mov_b32 s24, exec_lo
	s_delay_alu instid0(VALU_DEP_1)
	v_cmpx_ne_u32_e32 0x7f, v2
	s_cbranch_execz .LBB256_185
; %bb.182:                              ;   in Loop: Header=BB256_16 Depth=1
	v_and_b32_e32 v28, 7, v0
	v_lshrrev_b32_e32 v1, 3, v2
	s_mov_b32 s25, exec_lo
	v_cmpx_gt_u32_e32 8, v2
; %bb.183:                              ;   in Loop: Header=BB256_16 Depth=1
	s_delay_alu instid0(VALU_DEP_3) | instskip(NEXT) | instid1(VALU_DEP_1)
	v_clz_i32_u32_e32 v1, v28
	v_min_u32_e32 v1, 32, v1
	s_delay_alu instid0(VALU_DEP_1) | instskip(SKIP_1) | instid1(VALU_DEP_2)
	v_subrev_nc_u32_e32 v2, 28, v1
	v_sub_nc_u32_e32 v1, 29, v1
	v_lshlrev_b64 v[2:3], v2, v[28:29]
	s_delay_alu instid0(VALU_DEP_1)
	v_and_b32_e32 v28, 7, v2
; %bb.184:                              ;   in Loop: Header=BB256_16 Depth=1
	s_or_b32 exec_lo, exec_lo, s25
	v_lshlrev_b32_e32 v2, 24, v0
	s_delay_alu instid0(VALU_DEP_2) | instskip(SKIP_1) | instid1(VALU_DEP_3)
	v_lshlrev_b32_e32 v3, 20, v28
	v_lshl_add_u32 v1, v1, 23, 0x3c000000
	v_and_b32_e32 v2, 0x80000000, v2
	s_delay_alu instid0(VALU_DEP_1) | instskip(NEXT) | instid1(VALU_DEP_1)
	v_or3_b32 v28, v3, v2, v1
	v_dual_mov_b32 v91, v29 :: v_dual_mov_b32 v90, v28
.LBB256_185:                            ;   in Loop: Header=BB256_16 Depth=1
	s_or_b32 exec_lo, exec_lo, s24
.LBB256_186:                            ;   in Loop: Header=BB256_16 Depth=1
	s_delay_alu instid0(SALU_CYCLE_1)
	s_or_b32 exec_lo, exec_lo, s23
.LBB256_187:                            ;   in Loop: Header=BB256_16 Depth=1
	s_delay_alu instid0(SALU_CYCLE_1) | instskip(SKIP_2) | instid1(VALU_DEP_1)
	s_or_b32 exec_lo, exec_lo, s2
	v_lshrrev_b16 v1, 8, v0
	s_mov_b32 s23, exec_lo
	v_cmpx_ne_u16_e32 0, v1
	s_cbranch_execz .LBB256_195
; %bb.188:                              ;   in Loop: Header=BB256_16 Depth=1
	v_dual_mov_b32 v93, s17 :: v_dual_mov_b32 v92, s16
	s_mov_b32 s24, exec_lo
	v_cmpx_ne_u16_e32 0x80, v1
	s_cbranch_execz .LBB256_194
; %bb.189:                              ;   in Loop: Header=BB256_16 Depth=1
	s_mov_b32 s2, s16
	v_and_b32_e32 v1, 0xffff, v1
	v_dual_mov_b32 v93, s3 :: v_dual_mov_b32 v92, s2
	s_mov_b32 s2, exec_lo
	s_delay_alu instid0(VALU_DEP_2) | instskip(NEXT) | instid1(VALU_DEP_1)
	v_and_b32_e32 v2, 0x7f, v1
	v_cmpx_ne_u32_e32 0x7f, v2
	s_cbranch_execz .LBB256_193
; %bb.190:                              ;   in Loop: Header=BB256_16 Depth=1
	v_and_b32_e32 v28, 7, v1
	v_lshrrev_b32_e32 v1, 3, v2
	s_mov_b32 s25, exec_lo
	v_cmpx_gt_u32_e32 8, v2
; %bb.191:                              ;   in Loop: Header=BB256_16 Depth=1
	s_delay_alu instid0(VALU_DEP_3) | instskip(NEXT) | instid1(VALU_DEP_1)
	v_clz_i32_u32_e32 v1, v28
	v_min_u32_e32 v1, 32, v1
	s_delay_alu instid0(VALU_DEP_1) | instskip(SKIP_1) | instid1(VALU_DEP_2)
	v_subrev_nc_u32_e32 v2, 28, v1
	v_sub_nc_u32_e32 v1, 29, v1
	v_lshlrev_b64 v[2:3], v2, v[28:29]
	s_delay_alu instid0(VALU_DEP_1)
	v_and_b32_e32 v28, 7, v2
; %bb.192:                              ;   in Loop: Header=BB256_16 Depth=1
	s_or_b32 exec_lo, exec_lo, s25
	v_lshlrev_b32_e32 v2, 16, v0
	s_delay_alu instid0(VALU_DEP_2) | instskip(SKIP_1) | instid1(VALU_DEP_3)
	v_dual_mov_b32 v92, v29 :: v_dual_lshlrev_b32 v3, 20, v28
	v_lshl_add_u32 v1, v1, 23, 0x3c000000
	v_and_b32_e32 v2, 0x80000000, v2
	s_delay_alu instid0(VALU_DEP_1)
	v_or3_b32 v93, v3, v2, v1
.LBB256_193:                            ;   in Loop: Header=BB256_16 Depth=1
	s_or_b32 exec_lo, exec_lo, s2
.LBB256_194:                            ;   in Loop: Header=BB256_16 Depth=1
	s_delay_alu instid0(SALU_CYCLE_1)
	s_or_b32 exec_lo, exec_lo, s24
.LBB256_195:                            ;   in Loop: Header=BB256_16 Depth=1
	s_delay_alu instid0(SALU_CYCLE_1) | instskip(SKIP_4) | instid1(VALU_DEP_2)
	s_or_b32 exec_lo, exec_lo, s23
	v_mov_b32_e32 v104, 0
	v_lshrrev_b32_e32 v1, 16, v0
	v_mov_b32_e32 v105, 0
	s_mov_b32 s2, exec_lo
	v_and_b32_e32 v2, 0xff, v1
	s_delay_alu instid0(VALU_DEP_2) | instskip(NEXT) | instid1(VALU_DEP_2)
	v_dual_mov_b32 v94, v104 :: v_dual_mov_b32 v95, v105
	v_cmpx_ne_u16_e32 0, v2
	s_cbranch_execz .LBB256_203
; %bb.196:                              ;   in Loop: Header=BB256_16 Depth=1
	v_bfrev_b32_e32 v94, 1
	v_mov_b32_e32 v95, 0
	s_mov_b32 s23, exec_lo
	v_cmpx_ne_u16_e32 0x80, v2
	s_cbranch_execz .LBB256_202
; %bb.197:                              ;   in Loop: Header=BB256_16 Depth=1
	v_mov_b32_e32 v94, 0x7f800001
	v_bfe_u32 v3, v0, 16, 7
	v_mov_b32_e32 v95, 0
	s_mov_b32 s24, exec_lo
	s_delay_alu instid0(VALU_DEP_2)
	v_cmpx_ne_u32_e32 0x7f, v3
	s_cbranch_execz .LBB256_201
; %bb.198:                              ;   in Loop: Header=BB256_16 Depth=1
	v_and_b32_e32 v28, 7, v1
	v_lshrrev_b32_e32 v2, 3, v3
	s_mov_b32 s25, exec_lo
	v_cmpx_gt_u32_e32 8, v3
; %bb.199:                              ;   in Loop: Header=BB256_16 Depth=1
	s_delay_alu instid0(VALU_DEP_3) | instskip(NEXT) | instid1(VALU_DEP_1)
	v_clz_i32_u32_e32 v2, v28
	v_min_u32_e32 v2, 32, v2
	s_delay_alu instid0(VALU_DEP_1) | instskip(SKIP_1) | instid1(VALU_DEP_2)
	v_subrev_nc_u32_e32 v3, 28, v2
	v_sub_nc_u32_e32 v2, 29, v2
	v_lshlrev_b64 v[3:4], v3, v[28:29]
	s_delay_alu instid0(VALU_DEP_1)
	v_and_b32_e32 v28, 7, v3
; %bb.200:                              ;   in Loop: Header=BB256_16 Depth=1
	s_or_b32 exec_lo, exec_lo, s25
	v_lshlrev_b32_e32 v1, 24, v1
	s_delay_alu instid0(VALU_DEP_2) | instskip(SKIP_1) | instid1(VALU_DEP_3)
	v_lshlrev_b32_e32 v3, 20, v28
	v_lshl_add_u32 v2, v2, 23, 0x3c000000
	v_and_b32_e32 v1, 0x80000000, v1
	s_delay_alu instid0(VALU_DEP_1) | instskip(NEXT) | instid1(VALU_DEP_1)
	v_or3_b32 v28, v3, v1, v2
	v_dual_mov_b32 v95, v29 :: v_dual_mov_b32 v94, v28
.LBB256_201:                            ;   in Loop: Header=BB256_16 Depth=1
	s_or_b32 exec_lo, exec_lo, s24
.LBB256_202:                            ;   in Loop: Header=BB256_16 Depth=1
	s_delay_alu instid0(SALU_CYCLE_1)
	s_or_b32 exec_lo, exec_lo, s23
.LBB256_203:                            ;   in Loop: Header=BB256_16 Depth=1
	s_delay_alu instid0(SALU_CYCLE_1) | instskip(NEXT) | instid1(SALU_CYCLE_1)
	s_or_b32 exec_lo, exec_lo, s2
	s_mov_b32 s23, exec_lo
	v_cmpx_lt_u32_e32 0xffffff, v0
	s_cbranch_execz .LBB256_211
; %bb.204:                              ;   in Loop: Header=BB256_16 Depth=1
	v_lshrrev_b32_e32 v1, 24, v0
	v_dual_mov_b32 v105, s17 :: v_dual_mov_b32 v104, s16
	s_mov_b32 s24, exec_lo
	s_delay_alu instid0(VALU_DEP_2)
	v_cmpx_ne_u32_e32 0x80, v1
	s_cbranch_execz .LBB256_210
; %bb.205:                              ;   in Loop: Header=BB256_16 Depth=1
	s_mov_b32 s2, s16
	v_bfe_u32 v2, v0, 24, 7
	v_dual_mov_b32 v105, s3 :: v_dual_mov_b32 v104, s2
	s_mov_b32 s2, exec_lo
	s_delay_alu instid0(VALU_DEP_2)
	v_cmpx_ne_u32_e32 0x7f, v2
	s_cbranch_execz .LBB256_209
; %bb.206:                              ;   in Loop: Header=BB256_16 Depth=1
	v_and_b32_e32 v28, 7, v1
	v_lshrrev_b32_e32 v0, 3, v2
	s_mov_b32 s25, exec_lo
	v_cmpx_gt_u32_e32 8, v2
; %bb.207:                              ;   in Loop: Header=BB256_16 Depth=1
	s_delay_alu instid0(VALU_DEP_3) | instskip(NEXT) | instid1(VALU_DEP_1)
	v_clz_i32_u32_e32 v0, v28
	v_min_u32_e32 v0, 32, v0
	s_delay_alu instid0(VALU_DEP_1) | instskip(SKIP_1) | instid1(VALU_DEP_2)
	v_subrev_nc_u32_e32 v2, 28, v0
	v_sub_nc_u32_e32 v0, 29, v0
	v_lshlrev_b64 v[2:3], v2, v[28:29]
	s_delay_alu instid0(VALU_DEP_1)
	v_and_b32_e32 v28, 7, v2
; %bb.208:                              ;   in Loop: Header=BB256_16 Depth=1
	s_or_b32 exec_lo, exec_lo, s25
	v_dual_mov_b32 v104, v29 :: v_dual_lshlrev_b32 v1, 24, v1
	s_delay_alu instid0(VALU_DEP_2) | instskip(SKIP_1) | instid1(VALU_DEP_3)
	v_lshlrev_b32_e32 v2, 20, v28
	v_lshl_add_u32 v0, v0, 23, 0x3c000000
	v_and_b32_e32 v1, 0x80000000, v1
	s_delay_alu instid0(VALU_DEP_1)
	v_or3_b32 v105, v2, v1, v0
.LBB256_209:                            ;   in Loop: Header=BB256_16 Depth=1
	s_or_b32 exec_lo, exec_lo, s2
.LBB256_210:                            ;   in Loop: Header=BB256_16 Depth=1
	s_delay_alu instid0(SALU_CYCLE_1)
	s_or_b32 exec_lo, exec_lo, s24
.LBB256_211:                            ;   in Loop: Header=BB256_16 Depth=1
	s_delay_alu instid0(SALU_CYCLE_1) | instskip(SKIP_3) | instid1(VALU_DEP_2)
	s_or_b32 exec_lo, exec_lo, s23
	flat_load_b32 v0, v[39:40] offset:520
	v_mov_b32_e32 v108, 0
	v_mov_b32_e32 v109, 0
	;; [unrolled: 1-line block ×3, first 2 shown]
	s_mov_b32 s2, exec_lo
	s_delay_alu instid0(VALU_DEP_2) | instskip(SKIP_2) | instid1(VALU_DEP_1)
	v_mov_b32_e32 v107, v109
	s_waitcnt vmcnt(0) lgkmcnt(0)
	v_and_b32_e32 v1, 0xff, v0
	v_cmpx_ne_u16_e32 0, v1
	s_cbranch_execz .LBB256_219
; %bb.212:                              ;   in Loop: Header=BB256_16 Depth=1
	v_bfrev_b32_e32 v106, 1
	v_mov_b32_e32 v107, 0
	s_mov_b32 s23, exec_lo
	v_cmpx_ne_u16_e32 0x80, v1
	s_cbranch_execz .LBB256_218
; %bb.213:                              ;   in Loop: Header=BB256_16 Depth=1
	v_mov_b32_e32 v106, 0x7f800001
	v_dual_mov_b32 v107, 0 :: v_dual_and_b32 v2, 0x7f, v0
	s_mov_b32 s24, exec_lo
	s_delay_alu instid0(VALU_DEP_1)
	v_cmpx_ne_u32_e32 0x7f, v2
	s_cbranch_execz .LBB256_217
; %bb.214:                              ;   in Loop: Header=BB256_16 Depth=1
	v_and_b32_e32 v28, 7, v0
	v_lshrrev_b32_e32 v1, 3, v2
	s_mov_b32 s25, exec_lo
	v_cmpx_gt_u32_e32 8, v2
; %bb.215:                              ;   in Loop: Header=BB256_16 Depth=1
	s_delay_alu instid0(VALU_DEP_3) | instskip(NEXT) | instid1(VALU_DEP_1)
	v_clz_i32_u32_e32 v1, v28
	v_min_u32_e32 v1, 32, v1
	s_delay_alu instid0(VALU_DEP_1) | instskip(SKIP_1) | instid1(VALU_DEP_2)
	v_subrev_nc_u32_e32 v2, 28, v1
	v_sub_nc_u32_e32 v1, 29, v1
	v_lshlrev_b64 v[2:3], v2, v[28:29]
	s_delay_alu instid0(VALU_DEP_1)
	v_and_b32_e32 v28, 7, v2
; %bb.216:                              ;   in Loop: Header=BB256_16 Depth=1
	s_or_b32 exec_lo, exec_lo, s25
	v_lshlrev_b32_e32 v2, 24, v0
	s_delay_alu instid0(VALU_DEP_2) | instskip(SKIP_1) | instid1(VALU_DEP_3)
	v_lshlrev_b32_e32 v3, 20, v28
	v_lshl_add_u32 v1, v1, 23, 0x3c000000
	v_and_b32_e32 v2, 0x80000000, v2
	s_delay_alu instid0(VALU_DEP_1) | instskip(NEXT) | instid1(VALU_DEP_1)
	v_or3_b32 v28, v3, v2, v1
	v_dual_mov_b32 v107, v29 :: v_dual_mov_b32 v106, v28
.LBB256_217:                            ;   in Loop: Header=BB256_16 Depth=1
	s_or_b32 exec_lo, exec_lo, s24
.LBB256_218:                            ;   in Loop: Header=BB256_16 Depth=1
	s_delay_alu instid0(SALU_CYCLE_1)
	s_or_b32 exec_lo, exec_lo, s23
.LBB256_219:                            ;   in Loop: Header=BB256_16 Depth=1
	s_delay_alu instid0(SALU_CYCLE_1) | instskip(SKIP_2) | instid1(VALU_DEP_1)
	s_or_b32 exec_lo, exec_lo, s2
	v_lshrrev_b16 v1, 8, v0
	s_mov_b32 s23, exec_lo
	v_cmpx_ne_u16_e32 0, v1
	s_cbranch_execz .LBB256_227
; %bb.220:                              ;   in Loop: Header=BB256_16 Depth=1
	v_dual_mov_b32 v109, s17 :: v_dual_mov_b32 v108, s16
	s_mov_b32 s24, exec_lo
	v_cmpx_ne_u16_e32 0x80, v1
	s_cbranch_execz .LBB256_226
; %bb.221:                              ;   in Loop: Header=BB256_16 Depth=1
	s_mov_b32 s2, s16
	v_and_b32_e32 v1, 0xffff, v1
	v_dual_mov_b32 v109, s3 :: v_dual_mov_b32 v108, s2
	s_mov_b32 s2, exec_lo
	s_delay_alu instid0(VALU_DEP_2) | instskip(NEXT) | instid1(VALU_DEP_1)
	v_and_b32_e32 v2, 0x7f, v1
	v_cmpx_ne_u32_e32 0x7f, v2
	s_cbranch_execz .LBB256_225
; %bb.222:                              ;   in Loop: Header=BB256_16 Depth=1
	v_and_b32_e32 v28, 7, v1
	v_lshrrev_b32_e32 v1, 3, v2
	s_mov_b32 s25, exec_lo
	v_cmpx_gt_u32_e32 8, v2
; %bb.223:                              ;   in Loop: Header=BB256_16 Depth=1
	s_delay_alu instid0(VALU_DEP_3) | instskip(NEXT) | instid1(VALU_DEP_1)
	v_clz_i32_u32_e32 v1, v28
	v_min_u32_e32 v1, 32, v1
	s_delay_alu instid0(VALU_DEP_1) | instskip(SKIP_1) | instid1(VALU_DEP_2)
	v_subrev_nc_u32_e32 v2, 28, v1
	v_sub_nc_u32_e32 v1, 29, v1
	v_lshlrev_b64 v[2:3], v2, v[28:29]
	s_delay_alu instid0(VALU_DEP_1)
	v_and_b32_e32 v28, 7, v2
; %bb.224:                              ;   in Loop: Header=BB256_16 Depth=1
	s_or_b32 exec_lo, exec_lo, s25
	v_lshlrev_b32_e32 v2, 16, v0
	s_delay_alu instid0(VALU_DEP_2) | instskip(SKIP_1) | instid1(VALU_DEP_3)
	v_dual_mov_b32 v108, v29 :: v_dual_lshlrev_b32 v3, 20, v28
	v_lshl_add_u32 v1, v1, 23, 0x3c000000
	v_and_b32_e32 v2, 0x80000000, v2
	s_delay_alu instid0(VALU_DEP_1)
	v_or3_b32 v109, v3, v2, v1
.LBB256_225:                            ;   in Loop: Header=BB256_16 Depth=1
	s_or_b32 exec_lo, exec_lo, s2
.LBB256_226:                            ;   in Loop: Header=BB256_16 Depth=1
	s_delay_alu instid0(SALU_CYCLE_1)
	s_or_b32 exec_lo, exec_lo, s24
.LBB256_227:                            ;   in Loop: Header=BB256_16 Depth=1
	s_delay_alu instid0(SALU_CYCLE_1) | instskip(SKIP_4) | instid1(VALU_DEP_2)
	s_or_b32 exec_lo, exec_lo, s23
	v_mov_b32_e32 v120, 0
	v_lshrrev_b32_e32 v1, 16, v0
	v_mov_b32_e32 v121, 0
	s_mov_b32 s2, exec_lo
	v_and_b32_e32 v2, 0xff, v1
	s_delay_alu instid0(VALU_DEP_2) | instskip(NEXT) | instid1(VALU_DEP_2)
	v_dual_mov_b32 v110, v120 :: v_dual_mov_b32 v111, v121
	v_cmpx_ne_u16_e32 0, v2
	s_cbranch_execz .LBB256_235
; %bb.228:                              ;   in Loop: Header=BB256_16 Depth=1
	v_bfrev_b32_e32 v110, 1
	v_mov_b32_e32 v111, 0
	s_mov_b32 s23, exec_lo
	v_cmpx_ne_u16_e32 0x80, v2
	s_cbranch_execz .LBB256_234
; %bb.229:                              ;   in Loop: Header=BB256_16 Depth=1
	v_mov_b32_e32 v110, 0x7f800001
	v_bfe_u32 v3, v0, 16, 7
	v_mov_b32_e32 v111, 0
	s_mov_b32 s24, exec_lo
	s_delay_alu instid0(VALU_DEP_2)
	v_cmpx_ne_u32_e32 0x7f, v3
	s_cbranch_execz .LBB256_233
; %bb.230:                              ;   in Loop: Header=BB256_16 Depth=1
	v_and_b32_e32 v28, 7, v1
	v_lshrrev_b32_e32 v2, 3, v3
	s_mov_b32 s25, exec_lo
	v_cmpx_gt_u32_e32 8, v3
; %bb.231:                              ;   in Loop: Header=BB256_16 Depth=1
	s_delay_alu instid0(VALU_DEP_3) | instskip(NEXT) | instid1(VALU_DEP_1)
	v_clz_i32_u32_e32 v2, v28
	v_min_u32_e32 v2, 32, v2
	s_delay_alu instid0(VALU_DEP_1) | instskip(SKIP_1) | instid1(VALU_DEP_2)
	v_subrev_nc_u32_e32 v3, 28, v2
	v_sub_nc_u32_e32 v2, 29, v2
	v_lshlrev_b64 v[3:4], v3, v[28:29]
	s_delay_alu instid0(VALU_DEP_1)
	v_and_b32_e32 v28, 7, v3
; %bb.232:                              ;   in Loop: Header=BB256_16 Depth=1
	s_or_b32 exec_lo, exec_lo, s25
	v_lshlrev_b32_e32 v1, 24, v1
	s_delay_alu instid0(VALU_DEP_2) | instskip(SKIP_1) | instid1(VALU_DEP_3)
	v_lshlrev_b32_e32 v3, 20, v28
	v_lshl_add_u32 v2, v2, 23, 0x3c000000
	v_and_b32_e32 v1, 0x80000000, v1
	s_delay_alu instid0(VALU_DEP_1) | instskip(NEXT) | instid1(VALU_DEP_1)
	v_or3_b32 v28, v3, v1, v2
	v_dual_mov_b32 v111, v29 :: v_dual_mov_b32 v110, v28
.LBB256_233:                            ;   in Loop: Header=BB256_16 Depth=1
	s_or_b32 exec_lo, exec_lo, s24
.LBB256_234:                            ;   in Loop: Header=BB256_16 Depth=1
	s_delay_alu instid0(SALU_CYCLE_1)
	s_or_b32 exec_lo, exec_lo, s23
.LBB256_235:                            ;   in Loop: Header=BB256_16 Depth=1
	s_delay_alu instid0(SALU_CYCLE_1) | instskip(NEXT) | instid1(SALU_CYCLE_1)
	s_or_b32 exec_lo, exec_lo, s2
	s_mov_b32 s23, exec_lo
	v_cmpx_lt_u32_e32 0xffffff, v0
	s_cbranch_execz .LBB256_243
; %bb.236:                              ;   in Loop: Header=BB256_16 Depth=1
	v_lshrrev_b32_e32 v1, 24, v0
	v_dual_mov_b32 v121, s17 :: v_dual_mov_b32 v120, s16
	s_mov_b32 s24, exec_lo
	s_delay_alu instid0(VALU_DEP_2)
	v_cmpx_ne_u32_e32 0x80, v1
	s_cbranch_execz .LBB256_242
; %bb.237:                              ;   in Loop: Header=BB256_16 Depth=1
	s_mov_b32 s2, s16
	v_bfe_u32 v2, v0, 24, 7
	v_dual_mov_b32 v121, s3 :: v_dual_mov_b32 v120, s2
	s_mov_b32 s2, exec_lo
	s_delay_alu instid0(VALU_DEP_2)
	v_cmpx_ne_u32_e32 0x7f, v2
	s_cbranch_execz .LBB256_241
; %bb.238:                              ;   in Loop: Header=BB256_16 Depth=1
	v_and_b32_e32 v28, 7, v1
	v_lshrrev_b32_e32 v0, 3, v2
	s_mov_b32 s25, exec_lo
	v_cmpx_gt_u32_e32 8, v2
; %bb.239:                              ;   in Loop: Header=BB256_16 Depth=1
	s_delay_alu instid0(VALU_DEP_3) | instskip(NEXT) | instid1(VALU_DEP_1)
	v_clz_i32_u32_e32 v0, v28
	v_min_u32_e32 v0, 32, v0
	s_delay_alu instid0(VALU_DEP_1) | instskip(SKIP_1) | instid1(VALU_DEP_2)
	v_subrev_nc_u32_e32 v2, 28, v0
	v_sub_nc_u32_e32 v0, 29, v0
	v_lshlrev_b64 v[2:3], v2, v[28:29]
	s_delay_alu instid0(VALU_DEP_1)
	v_and_b32_e32 v28, 7, v2
; %bb.240:                              ;   in Loop: Header=BB256_16 Depth=1
	s_or_b32 exec_lo, exec_lo, s25
	v_dual_mov_b32 v120, v29 :: v_dual_lshlrev_b32 v1, 24, v1
	s_delay_alu instid0(VALU_DEP_2) | instskip(SKIP_1) | instid1(VALU_DEP_3)
	v_lshlrev_b32_e32 v2, 20, v28
	v_lshl_add_u32 v0, v0, 23, 0x3c000000
	v_and_b32_e32 v1, 0x80000000, v1
	s_delay_alu instid0(VALU_DEP_1)
	v_or3_b32 v121, v2, v1, v0
.LBB256_241:                            ;   in Loop: Header=BB256_16 Depth=1
	s_or_b32 exec_lo, exec_lo, s2
.LBB256_242:                            ;   in Loop: Header=BB256_16 Depth=1
	s_delay_alu instid0(SALU_CYCLE_1)
	s_or_b32 exec_lo, exec_lo, s24
.LBB256_243:                            ;   in Loop: Header=BB256_16 Depth=1
	s_delay_alu instid0(SALU_CYCLE_1) | instskip(SKIP_3) | instid1(VALU_DEP_2)
	s_or_b32 exec_lo, exec_lo, s23
	flat_load_b32 v0, v[39:40] offset:524
	v_mov_b32_e32 v124, 0
	v_mov_b32_e32 v125, 0
	;; [unrolled: 1-line block ×3, first 2 shown]
	s_mov_b32 s2, exec_lo
	s_delay_alu instid0(VALU_DEP_2) | instskip(SKIP_2) | instid1(VALU_DEP_1)
	v_mov_b32_e32 v123, v125
	s_waitcnt vmcnt(0) lgkmcnt(0)
	v_and_b32_e32 v1, 0xff, v0
	v_cmpx_ne_u16_e32 0, v1
	s_cbranch_execz .LBB256_251
; %bb.244:                              ;   in Loop: Header=BB256_16 Depth=1
	v_bfrev_b32_e32 v122, 1
	v_mov_b32_e32 v123, 0
	s_mov_b32 s23, exec_lo
	v_cmpx_ne_u16_e32 0x80, v1
	s_cbranch_execz .LBB256_250
; %bb.245:                              ;   in Loop: Header=BB256_16 Depth=1
	v_mov_b32_e32 v122, 0x7f800001
	v_dual_mov_b32 v123, 0 :: v_dual_and_b32 v2, 0x7f, v0
	s_mov_b32 s24, exec_lo
	s_delay_alu instid0(VALU_DEP_1)
	v_cmpx_ne_u32_e32 0x7f, v2
	s_cbranch_execz .LBB256_249
; %bb.246:                              ;   in Loop: Header=BB256_16 Depth=1
	v_and_b32_e32 v28, 7, v0
	v_lshrrev_b32_e32 v1, 3, v2
	s_mov_b32 s25, exec_lo
	v_cmpx_gt_u32_e32 8, v2
; %bb.247:                              ;   in Loop: Header=BB256_16 Depth=1
	s_delay_alu instid0(VALU_DEP_3) | instskip(NEXT) | instid1(VALU_DEP_1)
	v_clz_i32_u32_e32 v1, v28
	v_min_u32_e32 v1, 32, v1
	s_delay_alu instid0(VALU_DEP_1) | instskip(SKIP_1) | instid1(VALU_DEP_2)
	v_subrev_nc_u32_e32 v2, 28, v1
	v_sub_nc_u32_e32 v1, 29, v1
	v_lshlrev_b64 v[2:3], v2, v[28:29]
	s_delay_alu instid0(VALU_DEP_1)
	v_and_b32_e32 v28, 7, v2
; %bb.248:                              ;   in Loop: Header=BB256_16 Depth=1
	s_or_b32 exec_lo, exec_lo, s25
	v_lshlrev_b32_e32 v2, 24, v0
	s_delay_alu instid0(VALU_DEP_2) | instskip(SKIP_1) | instid1(VALU_DEP_3)
	v_lshlrev_b32_e32 v3, 20, v28
	v_lshl_add_u32 v1, v1, 23, 0x3c000000
	v_and_b32_e32 v2, 0x80000000, v2
	s_delay_alu instid0(VALU_DEP_1) | instskip(NEXT) | instid1(VALU_DEP_1)
	v_or3_b32 v28, v3, v2, v1
	v_dual_mov_b32 v123, v29 :: v_dual_mov_b32 v122, v28
.LBB256_249:                            ;   in Loop: Header=BB256_16 Depth=1
	s_or_b32 exec_lo, exec_lo, s24
.LBB256_250:                            ;   in Loop: Header=BB256_16 Depth=1
	s_delay_alu instid0(SALU_CYCLE_1)
	s_or_b32 exec_lo, exec_lo, s23
.LBB256_251:                            ;   in Loop: Header=BB256_16 Depth=1
	s_delay_alu instid0(SALU_CYCLE_1) | instskip(SKIP_2) | instid1(VALU_DEP_1)
	s_or_b32 exec_lo, exec_lo, s2
	v_lshrrev_b16 v1, 8, v0
	s_mov_b32 s23, exec_lo
	v_cmpx_ne_u16_e32 0, v1
	s_cbranch_execz .LBB256_259
; %bb.252:                              ;   in Loop: Header=BB256_16 Depth=1
	v_dual_mov_b32 v125, s17 :: v_dual_mov_b32 v124, s16
	s_mov_b32 s24, exec_lo
	v_cmpx_ne_u16_e32 0x80, v1
	s_cbranch_execz .LBB256_258
; %bb.253:                              ;   in Loop: Header=BB256_16 Depth=1
	s_mov_b32 s2, s16
	v_and_b32_e32 v1, 0xffff, v1
	v_dual_mov_b32 v125, s3 :: v_dual_mov_b32 v124, s2
	s_mov_b32 s2, exec_lo
	s_delay_alu instid0(VALU_DEP_2) | instskip(NEXT) | instid1(VALU_DEP_1)
	v_and_b32_e32 v2, 0x7f, v1
	v_cmpx_ne_u32_e32 0x7f, v2
	s_cbranch_execz .LBB256_257
; %bb.254:                              ;   in Loop: Header=BB256_16 Depth=1
	v_and_b32_e32 v28, 7, v1
	v_lshrrev_b32_e32 v1, 3, v2
	s_mov_b32 s25, exec_lo
	v_cmpx_gt_u32_e32 8, v2
; %bb.255:                              ;   in Loop: Header=BB256_16 Depth=1
	s_delay_alu instid0(VALU_DEP_3) | instskip(NEXT) | instid1(VALU_DEP_1)
	v_clz_i32_u32_e32 v1, v28
	v_min_u32_e32 v1, 32, v1
	s_delay_alu instid0(VALU_DEP_1) | instskip(SKIP_1) | instid1(VALU_DEP_2)
	v_subrev_nc_u32_e32 v2, 28, v1
	v_sub_nc_u32_e32 v1, 29, v1
	v_lshlrev_b64 v[2:3], v2, v[28:29]
	s_delay_alu instid0(VALU_DEP_1)
	v_and_b32_e32 v28, 7, v2
; %bb.256:                              ;   in Loop: Header=BB256_16 Depth=1
	s_or_b32 exec_lo, exec_lo, s25
	v_lshlrev_b32_e32 v2, 16, v0
	s_delay_alu instid0(VALU_DEP_2) | instskip(SKIP_1) | instid1(VALU_DEP_3)
	v_dual_mov_b32 v124, v29 :: v_dual_lshlrev_b32 v3, 20, v28
	v_lshl_add_u32 v1, v1, 23, 0x3c000000
	v_and_b32_e32 v2, 0x80000000, v2
	s_delay_alu instid0(VALU_DEP_1)
	v_or3_b32 v125, v3, v2, v1
.LBB256_257:                            ;   in Loop: Header=BB256_16 Depth=1
	s_or_b32 exec_lo, exec_lo, s2
.LBB256_258:                            ;   in Loop: Header=BB256_16 Depth=1
	s_delay_alu instid0(SALU_CYCLE_1)
	s_or_b32 exec_lo, exec_lo, s24
.LBB256_259:                            ;   in Loop: Header=BB256_16 Depth=1
	s_delay_alu instid0(SALU_CYCLE_1) | instskip(SKIP_4) | instid1(VALU_DEP_2)
	s_or_b32 exec_lo, exec_lo, s23
	v_mov_b32_e32 v136, 0
	v_lshrrev_b32_e32 v1, 16, v0
	v_mov_b32_e32 v137, 0
	s_mov_b32 s2, exec_lo
	v_and_b32_e32 v2, 0xff, v1
	s_delay_alu instid0(VALU_DEP_2) | instskip(NEXT) | instid1(VALU_DEP_2)
	v_dual_mov_b32 v126, v136 :: v_dual_mov_b32 v127, v137
	v_cmpx_ne_u16_e32 0, v2
	s_cbranch_execz .LBB256_267
; %bb.260:                              ;   in Loop: Header=BB256_16 Depth=1
	v_bfrev_b32_e32 v126, 1
	v_mov_b32_e32 v127, 0
	s_mov_b32 s23, exec_lo
	v_cmpx_ne_u16_e32 0x80, v2
	s_cbranch_execz .LBB256_266
; %bb.261:                              ;   in Loop: Header=BB256_16 Depth=1
	v_mov_b32_e32 v126, 0x7f800001
	v_bfe_u32 v3, v0, 16, 7
	v_mov_b32_e32 v127, 0
	s_mov_b32 s24, exec_lo
	s_delay_alu instid0(VALU_DEP_2)
	v_cmpx_ne_u32_e32 0x7f, v3
	s_cbranch_execz .LBB256_265
; %bb.262:                              ;   in Loop: Header=BB256_16 Depth=1
	v_and_b32_e32 v28, 7, v1
	v_lshrrev_b32_e32 v2, 3, v3
	s_mov_b32 s25, exec_lo
	v_cmpx_gt_u32_e32 8, v3
; %bb.263:                              ;   in Loop: Header=BB256_16 Depth=1
	s_delay_alu instid0(VALU_DEP_3) | instskip(NEXT) | instid1(VALU_DEP_1)
	v_clz_i32_u32_e32 v2, v28
	v_min_u32_e32 v2, 32, v2
	s_delay_alu instid0(VALU_DEP_1) | instskip(SKIP_1) | instid1(VALU_DEP_2)
	v_subrev_nc_u32_e32 v3, 28, v2
	v_sub_nc_u32_e32 v2, 29, v2
	v_lshlrev_b64 v[3:4], v3, v[28:29]
	s_delay_alu instid0(VALU_DEP_1)
	v_and_b32_e32 v28, 7, v3
; %bb.264:                              ;   in Loop: Header=BB256_16 Depth=1
	s_or_b32 exec_lo, exec_lo, s25
	v_lshlrev_b32_e32 v1, 24, v1
	s_delay_alu instid0(VALU_DEP_2) | instskip(SKIP_1) | instid1(VALU_DEP_3)
	v_lshlrev_b32_e32 v3, 20, v28
	v_lshl_add_u32 v2, v2, 23, 0x3c000000
	v_and_b32_e32 v1, 0x80000000, v1
	s_delay_alu instid0(VALU_DEP_1) | instskip(NEXT) | instid1(VALU_DEP_1)
	v_or3_b32 v28, v3, v1, v2
	v_dual_mov_b32 v127, v29 :: v_dual_mov_b32 v126, v28
.LBB256_265:                            ;   in Loop: Header=BB256_16 Depth=1
	s_or_b32 exec_lo, exec_lo, s24
.LBB256_266:                            ;   in Loop: Header=BB256_16 Depth=1
	s_delay_alu instid0(SALU_CYCLE_1)
	s_or_b32 exec_lo, exec_lo, s23
.LBB256_267:                            ;   in Loop: Header=BB256_16 Depth=1
	s_delay_alu instid0(SALU_CYCLE_1) | instskip(NEXT) | instid1(SALU_CYCLE_1)
	s_or_b32 exec_lo, exec_lo, s2
	s_mov_b32 s23, exec_lo
	v_cmpx_lt_u32_e32 0xffffff, v0
	s_cbranch_execz .LBB256_275
; %bb.268:                              ;   in Loop: Header=BB256_16 Depth=1
	v_lshrrev_b32_e32 v1, 24, v0
	v_dual_mov_b32 v137, s17 :: v_dual_mov_b32 v136, s16
	s_mov_b32 s24, exec_lo
	s_delay_alu instid0(VALU_DEP_2)
	v_cmpx_ne_u32_e32 0x80, v1
	s_cbranch_execz .LBB256_274
; %bb.269:                              ;   in Loop: Header=BB256_16 Depth=1
	s_mov_b32 s2, s16
	v_bfe_u32 v2, v0, 24, 7
	v_dual_mov_b32 v137, s3 :: v_dual_mov_b32 v136, s2
	s_mov_b32 s2, exec_lo
	s_delay_alu instid0(VALU_DEP_2)
	v_cmpx_ne_u32_e32 0x7f, v2
	s_cbranch_execz .LBB256_273
; %bb.270:                              ;   in Loop: Header=BB256_16 Depth=1
	v_and_b32_e32 v28, 7, v1
	v_lshrrev_b32_e32 v0, 3, v2
	s_mov_b32 s25, exec_lo
	v_cmpx_gt_u32_e32 8, v2
; %bb.271:                              ;   in Loop: Header=BB256_16 Depth=1
	s_delay_alu instid0(VALU_DEP_3) | instskip(NEXT) | instid1(VALU_DEP_1)
	v_clz_i32_u32_e32 v0, v28
	v_min_u32_e32 v0, 32, v0
	s_delay_alu instid0(VALU_DEP_1) | instskip(SKIP_1) | instid1(VALU_DEP_2)
	v_subrev_nc_u32_e32 v2, 28, v0
	v_sub_nc_u32_e32 v0, 29, v0
	v_lshlrev_b64 v[2:3], v2, v[28:29]
	s_delay_alu instid0(VALU_DEP_1)
	v_and_b32_e32 v28, 7, v2
; %bb.272:                              ;   in Loop: Header=BB256_16 Depth=1
	s_or_b32 exec_lo, exec_lo, s25
	v_dual_mov_b32 v136, v29 :: v_dual_lshlrev_b32 v1, 24, v1
	s_delay_alu instid0(VALU_DEP_2) | instskip(SKIP_1) | instid1(VALU_DEP_3)
	v_lshlrev_b32_e32 v2, 20, v28
	v_lshl_add_u32 v0, v0, 23, 0x3c000000
	v_and_b32_e32 v1, 0x80000000, v1
	s_delay_alu instid0(VALU_DEP_1)
	v_or3_b32 v137, v2, v1, v0
.LBB256_273:                            ;   in Loop: Header=BB256_16 Depth=1
	s_or_b32 exec_lo, exec_lo, s2
.LBB256_274:                            ;   in Loop: Header=BB256_16 Depth=1
	s_delay_alu instid0(SALU_CYCLE_1)
	s_or_b32 exec_lo, exec_lo, s24
.LBB256_275:                            ;   in Loop: Header=BB256_16 Depth=1
	s_delay_alu instid0(SALU_CYCLE_1) | instskip(SKIP_3) | instid1(VALU_DEP_2)
	s_or_b32 exec_lo, exec_lo, s23
	flat_load_b32 v0, v[39:40] offset:1024
	v_mov_b32_e32 v140, 0
	v_mov_b32_e32 v141, 0
	;; [unrolled: 1-line block ×3, first 2 shown]
	s_mov_b32 s2, exec_lo
	s_delay_alu instid0(VALU_DEP_2) | instskip(SKIP_2) | instid1(VALU_DEP_1)
	v_mov_b32_e32 v139, v141
	s_waitcnt vmcnt(0) lgkmcnt(0)
	v_and_b32_e32 v1, 0xff, v0
	v_cmpx_ne_u16_e32 0, v1
	s_cbranch_execz .LBB256_283
; %bb.276:                              ;   in Loop: Header=BB256_16 Depth=1
	v_bfrev_b32_e32 v138, 1
	v_mov_b32_e32 v139, 0
	s_mov_b32 s23, exec_lo
	v_cmpx_ne_u16_e32 0x80, v1
	s_cbranch_execz .LBB256_282
; %bb.277:                              ;   in Loop: Header=BB256_16 Depth=1
	v_mov_b32_e32 v138, 0x7f800001
	v_dual_mov_b32 v139, 0 :: v_dual_and_b32 v2, 0x7f, v0
	s_mov_b32 s24, exec_lo
	s_delay_alu instid0(VALU_DEP_1)
	v_cmpx_ne_u32_e32 0x7f, v2
	s_cbranch_execz .LBB256_281
; %bb.278:                              ;   in Loop: Header=BB256_16 Depth=1
	v_and_b32_e32 v28, 7, v0
	v_lshrrev_b32_e32 v1, 3, v2
	s_mov_b32 s25, exec_lo
	v_cmpx_gt_u32_e32 8, v2
; %bb.279:                              ;   in Loop: Header=BB256_16 Depth=1
	s_delay_alu instid0(VALU_DEP_3) | instskip(NEXT) | instid1(VALU_DEP_1)
	v_clz_i32_u32_e32 v1, v28
	v_min_u32_e32 v1, 32, v1
	s_delay_alu instid0(VALU_DEP_1) | instskip(SKIP_1) | instid1(VALU_DEP_2)
	v_subrev_nc_u32_e32 v2, 28, v1
	v_sub_nc_u32_e32 v1, 29, v1
	v_lshlrev_b64 v[2:3], v2, v[28:29]
	s_delay_alu instid0(VALU_DEP_1)
	v_and_b32_e32 v28, 7, v2
; %bb.280:                              ;   in Loop: Header=BB256_16 Depth=1
	s_or_b32 exec_lo, exec_lo, s25
	v_lshlrev_b32_e32 v2, 24, v0
	s_delay_alu instid0(VALU_DEP_2) | instskip(SKIP_1) | instid1(VALU_DEP_3)
	v_lshlrev_b32_e32 v3, 20, v28
	v_lshl_add_u32 v1, v1, 23, 0x3c000000
	v_and_b32_e32 v2, 0x80000000, v2
	s_delay_alu instid0(VALU_DEP_1) | instskip(NEXT) | instid1(VALU_DEP_1)
	v_or3_b32 v28, v3, v2, v1
	v_dual_mov_b32 v139, v29 :: v_dual_mov_b32 v138, v28
.LBB256_281:                            ;   in Loop: Header=BB256_16 Depth=1
	s_or_b32 exec_lo, exec_lo, s24
.LBB256_282:                            ;   in Loop: Header=BB256_16 Depth=1
	s_delay_alu instid0(SALU_CYCLE_1)
	s_or_b32 exec_lo, exec_lo, s23
.LBB256_283:                            ;   in Loop: Header=BB256_16 Depth=1
	s_delay_alu instid0(SALU_CYCLE_1) | instskip(SKIP_2) | instid1(VALU_DEP_1)
	s_or_b32 exec_lo, exec_lo, s2
	v_lshrrev_b16 v1, 8, v0
	s_mov_b32 s23, exec_lo
	v_cmpx_ne_u16_e32 0, v1
	s_cbranch_execz .LBB256_291
; %bb.284:                              ;   in Loop: Header=BB256_16 Depth=1
	v_dual_mov_b32 v141, s17 :: v_dual_mov_b32 v140, s16
	s_mov_b32 s24, exec_lo
	v_cmpx_ne_u16_e32 0x80, v1
	s_cbranch_execz .LBB256_290
; %bb.285:                              ;   in Loop: Header=BB256_16 Depth=1
	s_mov_b32 s2, s16
	v_and_b32_e32 v1, 0xffff, v1
	v_dual_mov_b32 v141, s3 :: v_dual_mov_b32 v140, s2
	s_mov_b32 s2, exec_lo
	s_delay_alu instid0(VALU_DEP_2) | instskip(NEXT) | instid1(VALU_DEP_1)
	v_and_b32_e32 v2, 0x7f, v1
	v_cmpx_ne_u32_e32 0x7f, v2
	s_cbranch_execz .LBB256_289
; %bb.286:                              ;   in Loop: Header=BB256_16 Depth=1
	v_and_b32_e32 v28, 7, v1
	v_lshrrev_b32_e32 v1, 3, v2
	s_mov_b32 s25, exec_lo
	v_cmpx_gt_u32_e32 8, v2
; %bb.287:                              ;   in Loop: Header=BB256_16 Depth=1
	s_delay_alu instid0(VALU_DEP_3) | instskip(NEXT) | instid1(VALU_DEP_1)
	v_clz_i32_u32_e32 v1, v28
	v_min_u32_e32 v1, 32, v1
	s_delay_alu instid0(VALU_DEP_1) | instskip(SKIP_1) | instid1(VALU_DEP_2)
	v_subrev_nc_u32_e32 v2, 28, v1
	v_sub_nc_u32_e32 v1, 29, v1
	v_lshlrev_b64 v[2:3], v2, v[28:29]
	s_delay_alu instid0(VALU_DEP_1)
	v_and_b32_e32 v28, 7, v2
; %bb.288:                              ;   in Loop: Header=BB256_16 Depth=1
	s_or_b32 exec_lo, exec_lo, s25
	v_lshlrev_b32_e32 v2, 16, v0
	s_delay_alu instid0(VALU_DEP_2) | instskip(SKIP_1) | instid1(VALU_DEP_3)
	v_dual_mov_b32 v140, v29 :: v_dual_lshlrev_b32 v3, 20, v28
	v_lshl_add_u32 v1, v1, 23, 0x3c000000
	v_and_b32_e32 v2, 0x80000000, v2
	s_delay_alu instid0(VALU_DEP_1)
	v_or3_b32 v141, v3, v2, v1
.LBB256_289:                            ;   in Loop: Header=BB256_16 Depth=1
	s_or_b32 exec_lo, exec_lo, s2
.LBB256_290:                            ;   in Loop: Header=BB256_16 Depth=1
	s_delay_alu instid0(SALU_CYCLE_1)
	s_or_b32 exec_lo, exec_lo, s24
.LBB256_291:                            ;   in Loop: Header=BB256_16 Depth=1
	s_delay_alu instid0(SALU_CYCLE_1) | instskip(SKIP_4) | instid1(VALU_DEP_1)
	s_or_b32 exec_lo, exec_lo, s23
	v_mov_b32_e32 v142, 0
	v_lshrrev_b32_e32 v1, 16, v0
	v_mov_b32_e32 v143, 0
	s_mov_b32 s2, exec_lo
	v_dual_mov_b32 v153, v143 :: v_dual_and_b32 v2, 0xff, v1
	v_mov_b32_e32 v152, v142
	s_delay_alu instid0(VALU_DEP_2)
	v_cmpx_ne_u16_e32 0, v2
	s_cbranch_execz .LBB256_299
; %bb.292:                              ;   in Loop: Header=BB256_16 Depth=1
	v_bfrev_b32_e32 v152, 1
	v_mov_b32_e32 v153, 0
	s_mov_b32 s23, exec_lo
	v_cmpx_ne_u16_e32 0x80, v2
	s_cbranch_execz .LBB256_298
; %bb.293:                              ;   in Loop: Header=BB256_16 Depth=1
	v_mov_b32_e32 v152, 0x7f800001
	v_bfe_u32 v3, v0, 16, 7
	v_mov_b32_e32 v153, 0
	s_mov_b32 s24, exec_lo
	s_delay_alu instid0(VALU_DEP_2)
	v_cmpx_ne_u32_e32 0x7f, v3
	s_cbranch_execz .LBB256_297
; %bb.294:                              ;   in Loop: Header=BB256_16 Depth=1
	v_and_b32_e32 v28, 7, v1
	v_lshrrev_b32_e32 v2, 3, v3
	s_mov_b32 s25, exec_lo
	v_cmpx_gt_u32_e32 8, v3
; %bb.295:                              ;   in Loop: Header=BB256_16 Depth=1
	s_delay_alu instid0(VALU_DEP_3) | instskip(NEXT) | instid1(VALU_DEP_1)
	v_clz_i32_u32_e32 v2, v28
	v_min_u32_e32 v2, 32, v2
	s_delay_alu instid0(VALU_DEP_1) | instskip(SKIP_1) | instid1(VALU_DEP_2)
	v_subrev_nc_u32_e32 v3, 28, v2
	v_sub_nc_u32_e32 v2, 29, v2
	v_lshlrev_b64 v[3:4], v3, v[28:29]
	s_delay_alu instid0(VALU_DEP_1)
	v_and_b32_e32 v28, 7, v3
; %bb.296:                              ;   in Loop: Header=BB256_16 Depth=1
	s_or_b32 exec_lo, exec_lo, s25
	v_lshlrev_b32_e32 v1, 24, v1
	s_delay_alu instid0(VALU_DEP_2) | instskip(SKIP_1) | instid1(VALU_DEP_3)
	v_lshlrev_b32_e32 v3, 20, v28
	v_lshl_add_u32 v2, v2, 23, 0x3c000000
	v_and_b32_e32 v1, 0x80000000, v1
	s_delay_alu instid0(VALU_DEP_1) | instskip(NEXT) | instid1(VALU_DEP_1)
	v_or3_b32 v28, v3, v1, v2
	v_dual_mov_b32 v153, v29 :: v_dual_mov_b32 v152, v28
.LBB256_297:                            ;   in Loop: Header=BB256_16 Depth=1
	s_or_b32 exec_lo, exec_lo, s24
.LBB256_298:                            ;   in Loop: Header=BB256_16 Depth=1
	s_delay_alu instid0(SALU_CYCLE_1)
	s_or_b32 exec_lo, exec_lo, s23
.LBB256_299:                            ;   in Loop: Header=BB256_16 Depth=1
	s_delay_alu instid0(SALU_CYCLE_1) | instskip(NEXT) | instid1(SALU_CYCLE_1)
	s_or_b32 exec_lo, exec_lo, s2
	s_mov_b32 s23, exec_lo
	v_cmpx_lt_u32_e32 0xffffff, v0
	s_cbranch_execz .LBB256_307
; %bb.300:                              ;   in Loop: Header=BB256_16 Depth=1
	v_lshrrev_b32_e32 v1, 24, v0
	v_dual_mov_b32 v143, s17 :: v_dual_mov_b32 v142, s16
	s_mov_b32 s24, exec_lo
	s_delay_alu instid0(VALU_DEP_2)
	v_cmpx_ne_u32_e32 0x80, v1
	s_cbranch_execz .LBB256_306
; %bb.301:                              ;   in Loop: Header=BB256_16 Depth=1
	s_mov_b32 s2, s16
	v_bfe_u32 v2, v0, 24, 7
	v_dual_mov_b32 v143, s3 :: v_dual_mov_b32 v142, s2
	s_mov_b32 s2, exec_lo
	s_delay_alu instid0(VALU_DEP_2)
	v_cmpx_ne_u32_e32 0x7f, v2
	s_cbranch_execz .LBB256_305
; %bb.302:                              ;   in Loop: Header=BB256_16 Depth=1
	v_and_b32_e32 v28, 7, v1
	v_lshrrev_b32_e32 v0, 3, v2
	s_mov_b32 s25, exec_lo
	v_cmpx_gt_u32_e32 8, v2
; %bb.303:                              ;   in Loop: Header=BB256_16 Depth=1
	s_delay_alu instid0(VALU_DEP_3) | instskip(NEXT) | instid1(VALU_DEP_1)
	v_clz_i32_u32_e32 v0, v28
	v_min_u32_e32 v0, 32, v0
	s_delay_alu instid0(VALU_DEP_1) | instskip(SKIP_1) | instid1(VALU_DEP_2)
	v_subrev_nc_u32_e32 v2, 28, v0
	v_sub_nc_u32_e32 v0, 29, v0
	v_lshlrev_b64 v[2:3], v2, v[28:29]
	s_delay_alu instid0(VALU_DEP_1)
	v_and_b32_e32 v28, 7, v2
; %bb.304:                              ;   in Loop: Header=BB256_16 Depth=1
	s_or_b32 exec_lo, exec_lo, s25
	v_dual_mov_b32 v142, v29 :: v_dual_lshlrev_b32 v1, 24, v1
	s_delay_alu instid0(VALU_DEP_2) | instskip(SKIP_1) | instid1(VALU_DEP_3)
	v_lshlrev_b32_e32 v2, 20, v28
	v_lshl_add_u32 v0, v0, 23, 0x3c000000
	v_and_b32_e32 v1, 0x80000000, v1
	s_delay_alu instid0(VALU_DEP_1)
	v_or3_b32 v143, v2, v1, v0
.LBB256_305:                            ;   in Loop: Header=BB256_16 Depth=1
	s_or_b32 exec_lo, exec_lo, s2
.LBB256_306:                            ;   in Loop: Header=BB256_16 Depth=1
	s_delay_alu instid0(SALU_CYCLE_1)
	s_or_b32 exec_lo, exec_lo, s24
.LBB256_307:                            ;   in Loop: Header=BB256_16 Depth=1
	s_delay_alu instid0(SALU_CYCLE_1) | instskip(SKIP_4) | instid1(VALU_DEP_1)
	s_or_b32 exec_lo, exec_lo, s23
	flat_load_b32 v0, v[39:40] offset:1028
	v_mov_b32_e32 v154, 0
	v_mov_b32_e32 v155, 0
	s_mov_b32 s2, exec_lo
	v_dual_mov_b32 v157, v155 :: v_dual_mov_b32 v156, v154
	s_waitcnt vmcnt(0) lgkmcnt(0)
	v_and_b32_e32 v1, 0xff, v0
	s_delay_alu instid0(VALU_DEP_1)
	v_cmpx_ne_u16_e32 0, v1
	s_cbranch_execz .LBB256_315
; %bb.308:                              ;   in Loop: Header=BB256_16 Depth=1
	v_bfrev_b32_e32 v156, 1
	v_mov_b32_e32 v157, 0
	s_mov_b32 s23, exec_lo
	v_cmpx_ne_u16_e32 0x80, v1
	s_cbranch_execz .LBB256_314
; %bb.309:                              ;   in Loop: Header=BB256_16 Depth=1
	v_mov_b32_e32 v156, 0x7f800001
	v_dual_mov_b32 v157, 0 :: v_dual_and_b32 v2, 0x7f, v0
	s_mov_b32 s24, exec_lo
	s_delay_alu instid0(VALU_DEP_1)
	v_cmpx_ne_u32_e32 0x7f, v2
	s_cbranch_execz .LBB256_313
; %bb.310:                              ;   in Loop: Header=BB256_16 Depth=1
	v_and_b32_e32 v28, 7, v0
	v_lshrrev_b32_e32 v1, 3, v2
	s_mov_b32 s25, exec_lo
	v_cmpx_gt_u32_e32 8, v2
; %bb.311:                              ;   in Loop: Header=BB256_16 Depth=1
	s_delay_alu instid0(VALU_DEP_3) | instskip(NEXT) | instid1(VALU_DEP_1)
	v_clz_i32_u32_e32 v1, v28
	v_min_u32_e32 v1, 32, v1
	s_delay_alu instid0(VALU_DEP_1) | instskip(SKIP_1) | instid1(VALU_DEP_2)
	v_subrev_nc_u32_e32 v2, 28, v1
	v_sub_nc_u32_e32 v1, 29, v1
	v_lshlrev_b64 v[2:3], v2, v[28:29]
	s_delay_alu instid0(VALU_DEP_1)
	v_and_b32_e32 v28, 7, v2
; %bb.312:                              ;   in Loop: Header=BB256_16 Depth=1
	s_or_b32 exec_lo, exec_lo, s25
	v_lshlrev_b32_e32 v2, 24, v0
	s_delay_alu instid0(VALU_DEP_2) | instskip(SKIP_1) | instid1(VALU_DEP_3)
	v_lshlrev_b32_e32 v3, 20, v28
	v_lshl_add_u32 v1, v1, 23, 0x3c000000
	v_and_b32_e32 v2, 0x80000000, v2
	s_delay_alu instid0(VALU_DEP_1) | instskip(NEXT) | instid1(VALU_DEP_1)
	v_or3_b32 v28, v3, v2, v1
	v_dual_mov_b32 v157, v29 :: v_dual_mov_b32 v156, v28
.LBB256_313:                            ;   in Loop: Header=BB256_16 Depth=1
	s_or_b32 exec_lo, exec_lo, s24
.LBB256_314:                            ;   in Loop: Header=BB256_16 Depth=1
	s_delay_alu instid0(SALU_CYCLE_1)
	s_or_b32 exec_lo, exec_lo, s23
.LBB256_315:                            ;   in Loop: Header=BB256_16 Depth=1
	s_delay_alu instid0(SALU_CYCLE_1) | instskip(SKIP_2) | instid1(VALU_DEP_1)
	s_or_b32 exec_lo, exec_lo, s2
	v_lshrrev_b16 v1, 8, v0
	s_mov_b32 s23, exec_lo
	v_cmpx_ne_u16_e32 0, v1
	s_cbranch_execz .LBB256_323
; %bb.316:                              ;   in Loop: Header=BB256_16 Depth=1
	v_dual_mov_b32 v155, s17 :: v_dual_mov_b32 v154, s16
	s_mov_b32 s24, exec_lo
	v_cmpx_ne_u16_e32 0x80, v1
	s_cbranch_execz .LBB256_322
; %bb.317:                              ;   in Loop: Header=BB256_16 Depth=1
	s_mov_b32 s2, s16
	v_and_b32_e32 v1, 0xffff, v1
	v_dual_mov_b32 v155, s3 :: v_dual_mov_b32 v154, s2
	s_mov_b32 s2, exec_lo
	s_delay_alu instid0(VALU_DEP_2) | instskip(NEXT) | instid1(VALU_DEP_1)
	v_and_b32_e32 v2, 0x7f, v1
	v_cmpx_ne_u32_e32 0x7f, v2
	s_cbranch_execz .LBB256_321
; %bb.318:                              ;   in Loop: Header=BB256_16 Depth=1
	v_and_b32_e32 v28, 7, v1
	v_lshrrev_b32_e32 v1, 3, v2
	s_mov_b32 s25, exec_lo
	v_cmpx_gt_u32_e32 8, v2
; %bb.319:                              ;   in Loop: Header=BB256_16 Depth=1
	s_delay_alu instid0(VALU_DEP_3) | instskip(NEXT) | instid1(VALU_DEP_1)
	v_clz_i32_u32_e32 v1, v28
	v_min_u32_e32 v1, 32, v1
	s_delay_alu instid0(VALU_DEP_1) | instskip(SKIP_1) | instid1(VALU_DEP_2)
	v_subrev_nc_u32_e32 v2, 28, v1
	v_sub_nc_u32_e32 v1, 29, v1
	v_lshlrev_b64 v[2:3], v2, v[28:29]
	s_delay_alu instid0(VALU_DEP_1)
	v_and_b32_e32 v28, 7, v2
; %bb.320:                              ;   in Loop: Header=BB256_16 Depth=1
	s_or_b32 exec_lo, exec_lo, s25
	v_lshlrev_b32_e32 v2, 16, v0
	s_delay_alu instid0(VALU_DEP_2) | instskip(SKIP_1) | instid1(VALU_DEP_3)
	v_dual_mov_b32 v154, v29 :: v_dual_lshlrev_b32 v3, 20, v28
	v_lshl_add_u32 v1, v1, 23, 0x3c000000
	v_and_b32_e32 v2, 0x80000000, v2
	s_delay_alu instid0(VALU_DEP_1)
	v_or3_b32 v155, v3, v2, v1
.LBB256_321:                            ;   in Loop: Header=BB256_16 Depth=1
	s_or_b32 exec_lo, exec_lo, s2
.LBB256_322:                            ;   in Loop: Header=BB256_16 Depth=1
	s_delay_alu instid0(SALU_CYCLE_1)
	s_or_b32 exec_lo, exec_lo, s24
.LBB256_323:                            ;   in Loop: Header=BB256_16 Depth=1
	s_delay_alu instid0(SALU_CYCLE_1) | instskip(SKIP_4) | instid1(VALU_DEP_1)
	s_or_b32 exec_lo, exec_lo, s23
	v_mov_b32_e32 v158, 0
	v_lshrrev_b32_e32 v1, 16, v0
	v_mov_b32_e32 v159, 0
	s_mov_b32 s2, exec_lo
	v_dual_mov_b32 v169, v159 :: v_dual_and_b32 v2, 0xff, v1
	v_mov_b32_e32 v168, v158
	s_delay_alu instid0(VALU_DEP_2)
	v_cmpx_ne_u16_e32 0, v2
	s_cbranch_execz .LBB256_331
; %bb.324:                              ;   in Loop: Header=BB256_16 Depth=1
	v_bfrev_b32_e32 v168, 1
	v_mov_b32_e32 v169, 0
	s_mov_b32 s23, exec_lo
	v_cmpx_ne_u16_e32 0x80, v2
	s_cbranch_execz .LBB256_330
; %bb.325:                              ;   in Loop: Header=BB256_16 Depth=1
	v_mov_b32_e32 v168, 0x7f800001
	v_bfe_u32 v3, v0, 16, 7
	v_mov_b32_e32 v169, 0
	s_mov_b32 s24, exec_lo
	s_delay_alu instid0(VALU_DEP_2)
	v_cmpx_ne_u32_e32 0x7f, v3
	s_cbranch_execz .LBB256_329
; %bb.326:                              ;   in Loop: Header=BB256_16 Depth=1
	v_and_b32_e32 v28, 7, v1
	v_lshrrev_b32_e32 v2, 3, v3
	s_mov_b32 s25, exec_lo
	v_cmpx_gt_u32_e32 8, v3
; %bb.327:                              ;   in Loop: Header=BB256_16 Depth=1
	s_delay_alu instid0(VALU_DEP_3) | instskip(NEXT) | instid1(VALU_DEP_1)
	v_clz_i32_u32_e32 v2, v28
	v_min_u32_e32 v2, 32, v2
	s_delay_alu instid0(VALU_DEP_1) | instskip(SKIP_1) | instid1(VALU_DEP_2)
	v_subrev_nc_u32_e32 v3, 28, v2
	v_sub_nc_u32_e32 v2, 29, v2
	v_lshlrev_b64 v[3:4], v3, v[28:29]
	s_delay_alu instid0(VALU_DEP_1)
	v_and_b32_e32 v28, 7, v3
; %bb.328:                              ;   in Loop: Header=BB256_16 Depth=1
	s_or_b32 exec_lo, exec_lo, s25
	v_lshlrev_b32_e32 v1, 24, v1
	s_delay_alu instid0(VALU_DEP_2) | instskip(SKIP_1) | instid1(VALU_DEP_3)
	v_lshlrev_b32_e32 v3, 20, v28
	v_lshl_add_u32 v2, v2, 23, 0x3c000000
	v_and_b32_e32 v1, 0x80000000, v1
	s_delay_alu instid0(VALU_DEP_1) | instskip(NEXT) | instid1(VALU_DEP_1)
	v_or3_b32 v28, v3, v1, v2
	v_dual_mov_b32 v169, v29 :: v_dual_mov_b32 v168, v28
.LBB256_329:                            ;   in Loop: Header=BB256_16 Depth=1
	s_or_b32 exec_lo, exec_lo, s24
.LBB256_330:                            ;   in Loop: Header=BB256_16 Depth=1
	s_delay_alu instid0(SALU_CYCLE_1)
	s_or_b32 exec_lo, exec_lo, s23
.LBB256_331:                            ;   in Loop: Header=BB256_16 Depth=1
	s_delay_alu instid0(SALU_CYCLE_1) | instskip(NEXT) | instid1(SALU_CYCLE_1)
	s_or_b32 exec_lo, exec_lo, s2
	s_mov_b32 s23, exec_lo
	v_cmpx_lt_u32_e32 0xffffff, v0
	s_cbranch_execz .LBB256_339
; %bb.332:                              ;   in Loop: Header=BB256_16 Depth=1
	v_lshrrev_b32_e32 v1, 24, v0
	v_dual_mov_b32 v159, s17 :: v_dual_mov_b32 v158, s16
	s_mov_b32 s24, exec_lo
	s_delay_alu instid0(VALU_DEP_2)
	v_cmpx_ne_u32_e32 0x80, v1
	s_cbranch_execz .LBB256_338
; %bb.333:                              ;   in Loop: Header=BB256_16 Depth=1
	s_mov_b32 s2, s16
	v_bfe_u32 v2, v0, 24, 7
	v_dual_mov_b32 v159, s3 :: v_dual_mov_b32 v158, s2
	s_mov_b32 s2, exec_lo
	s_delay_alu instid0(VALU_DEP_2)
	v_cmpx_ne_u32_e32 0x7f, v2
	s_cbranch_execz .LBB256_337
; %bb.334:                              ;   in Loop: Header=BB256_16 Depth=1
	v_and_b32_e32 v28, 7, v1
	v_lshrrev_b32_e32 v0, 3, v2
	s_mov_b32 s25, exec_lo
	v_cmpx_gt_u32_e32 8, v2
; %bb.335:                              ;   in Loop: Header=BB256_16 Depth=1
	s_delay_alu instid0(VALU_DEP_3) | instskip(NEXT) | instid1(VALU_DEP_1)
	v_clz_i32_u32_e32 v0, v28
	v_min_u32_e32 v0, 32, v0
	s_delay_alu instid0(VALU_DEP_1) | instskip(SKIP_1) | instid1(VALU_DEP_2)
	v_subrev_nc_u32_e32 v2, 28, v0
	v_sub_nc_u32_e32 v0, 29, v0
	v_lshlrev_b64 v[2:3], v2, v[28:29]
	s_delay_alu instid0(VALU_DEP_1)
	v_and_b32_e32 v28, 7, v2
; %bb.336:                              ;   in Loop: Header=BB256_16 Depth=1
	s_or_b32 exec_lo, exec_lo, s25
	v_dual_mov_b32 v158, v29 :: v_dual_lshlrev_b32 v1, 24, v1
	s_delay_alu instid0(VALU_DEP_2) | instskip(SKIP_1) | instid1(VALU_DEP_3)
	v_lshlrev_b32_e32 v2, 20, v28
	v_lshl_add_u32 v0, v0, 23, 0x3c000000
	v_and_b32_e32 v1, 0x80000000, v1
	s_delay_alu instid0(VALU_DEP_1)
	v_or3_b32 v159, v2, v1, v0
.LBB256_337:                            ;   in Loop: Header=BB256_16 Depth=1
	s_or_b32 exec_lo, exec_lo, s2
.LBB256_338:                            ;   in Loop: Header=BB256_16 Depth=1
	s_delay_alu instid0(SALU_CYCLE_1)
	s_or_b32 exec_lo, exec_lo, s24
.LBB256_339:                            ;   in Loop: Header=BB256_16 Depth=1
	s_delay_alu instid0(SALU_CYCLE_1) | instskip(SKIP_4) | instid1(VALU_DEP_1)
	s_or_b32 exec_lo, exec_lo, s23
	flat_load_b32 v0, v[39:40] offset:1032
	v_mov_b32_e32 v170, 0
	v_mov_b32_e32 v171, 0
	s_mov_b32 s2, exec_lo
	v_dual_mov_b32 v173, v171 :: v_dual_mov_b32 v172, v170
	s_waitcnt vmcnt(0) lgkmcnt(0)
	v_and_b32_e32 v1, 0xff, v0
	s_delay_alu instid0(VALU_DEP_1)
	v_cmpx_ne_u16_e32 0, v1
	s_cbranch_execz .LBB256_347
; %bb.340:                              ;   in Loop: Header=BB256_16 Depth=1
	v_bfrev_b32_e32 v172, 1
	v_mov_b32_e32 v173, 0
	s_mov_b32 s23, exec_lo
	v_cmpx_ne_u16_e32 0x80, v1
	s_cbranch_execz .LBB256_346
; %bb.341:                              ;   in Loop: Header=BB256_16 Depth=1
	v_mov_b32_e32 v172, 0x7f800001
	v_dual_mov_b32 v173, 0 :: v_dual_and_b32 v2, 0x7f, v0
	s_mov_b32 s24, exec_lo
	s_delay_alu instid0(VALU_DEP_1)
	v_cmpx_ne_u32_e32 0x7f, v2
	s_cbranch_execz .LBB256_345
; %bb.342:                              ;   in Loop: Header=BB256_16 Depth=1
	v_and_b32_e32 v28, 7, v0
	v_lshrrev_b32_e32 v1, 3, v2
	s_mov_b32 s25, exec_lo
	v_cmpx_gt_u32_e32 8, v2
; %bb.343:                              ;   in Loop: Header=BB256_16 Depth=1
	s_delay_alu instid0(VALU_DEP_3) | instskip(NEXT) | instid1(VALU_DEP_1)
	v_clz_i32_u32_e32 v1, v28
	v_min_u32_e32 v1, 32, v1
	s_delay_alu instid0(VALU_DEP_1) | instskip(SKIP_1) | instid1(VALU_DEP_2)
	v_subrev_nc_u32_e32 v2, 28, v1
	v_sub_nc_u32_e32 v1, 29, v1
	v_lshlrev_b64 v[2:3], v2, v[28:29]
	s_delay_alu instid0(VALU_DEP_1)
	v_and_b32_e32 v28, 7, v2
; %bb.344:                              ;   in Loop: Header=BB256_16 Depth=1
	s_or_b32 exec_lo, exec_lo, s25
	v_lshlrev_b32_e32 v2, 24, v0
	s_delay_alu instid0(VALU_DEP_2) | instskip(SKIP_1) | instid1(VALU_DEP_3)
	v_lshlrev_b32_e32 v3, 20, v28
	v_lshl_add_u32 v1, v1, 23, 0x3c000000
	v_and_b32_e32 v2, 0x80000000, v2
	s_delay_alu instid0(VALU_DEP_1) | instskip(NEXT) | instid1(VALU_DEP_1)
	v_or3_b32 v28, v3, v2, v1
	v_dual_mov_b32 v173, v29 :: v_dual_mov_b32 v172, v28
.LBB256_345:                            ;   in Loop: Header=BB256_16 Depth=1
	s_or_b32 exec_lo, exec_lo, s24
.LBB256_346:                            ;   in Loop: Header=BB256_16 Depth=1
	s_delay_alu instid0(SALU_CYCLE_1)
	s_or_b32 exec_lo, exec_lo, s23
.LBB256_347:                            ;   in Loop: Header=BB256_16 Depth=1
	s_delay_alu instid0(SALU_CYCLE_1) | instskip(SKIP_2) | instid1(VALU_DEP_1)
	s_or_b32 exec_lo, exec_lo, s2
	v_lshrrev_b16 v1, 8, v0
	s_mov_b32 s23, exec_lo
	v_cmpx_ne_u16_e32 0, v1
	s_cbranch_execz .LBB256_355
; %bb.348:                              ;   in Loop: Header=BB256_16 Depth=1
	v_dual_mov_b32 v171, s17 :: v_dual_mov_b32 v170, s16
	s_mov_b32 s24, exec_lo
	v_cmpx_ne_u16_e32 0x80, v1
	s_cbranch_execz .LBB256_354
; %bb.349:                              ;   in Loop: Header=BB256_16 Depth=1
	s_mov_b32 s2, s16
	v_and_b32_e32 v1, 0xffff, v1
	v_dual_mov_b32 v171, s3 :: v_dual_mov_b32 v170, s2
	s_mov_b32 s2, exec_lo
	s_delay_alu instid0(VALU_DEP_2) | instskip(NEXT) | instid1(VALU_DEP_1)
	v_and_b32_e32 v2, 0x7f, v1
	v_cmpx_ne_u32_e32 0x7f, v2
	s_cbranch_execz .LBB256_353
; %bb.350:                              ;   in Loop: Header=BB256_16 Depth=1
	v_and_b32_e32 v28, 7, v1
	v_lshrrev_b32_e32 v1, 3, v2
	s_mov_b32 s25, exec_lo
	v_cmpx_gt_u32_e32 8, v2
; %bb.351:                              ;   in Loop: Header=BB256_16 Depth=1
	s_delay_alu instid0(VALU_DEP_3) | instskip(NEXT) | instid1(VALU_DEP_1)
	v_clz_i32_u32_e32 v1, v28
	v_min_u32_e32 v1, 32, v1
	s_delay_alu instid0(VALU_DEP_1) | instskip(SKIP_1) | instid1(VALU_DEP_2)
	v_subrev_nc_u32_e32 v2, 28, v1
	v_sub_nc_u32_e32 v1, 29, v1
	v_lshlrev_b64 v[2:3], v2, v[28:29]
	s_delay_alu instid0(VALU_DEP_1)
	v_and_b32_e32 v28, 7, v2
; %bb.352:                              ;   in Loop: Header=BB256_16 Depth=1
	s_or_b32 exec_lo, exec_lo, s25
	v_lshlrev_b32_e32 v2, 16, v0
	s_delay_alu instid0(VALU_DEP_2) | instskip(SKIP_1) | instid1(VALU_DEP_3)
	v_dual_mov_b32 v170, v29 :: v_dual_lshlrev_b32 v3, 20, v28
	v_lshl_add_u32 v1, v1, 23, 0x3c000000
	v_and_b32_e32 v2, 0x80000000, v2
	s_delay_alu instid0(VALU_DEP_1)
	v_or3_b32 v171, v3, v2, v1
.LBB256_353:                            ;   in Loop: Header=BB256_16 Depth=1
	s_or_b32 exec_lo, exec_lo, s2
.LBB256_354:                            ;   in Loop: Header=BB256_16 Depth=1
	s_delay_alu instid0(SALU_CYCLE_1)
	s_or_b32 exec_lo, exec_lo, s24
.LBB256_355:                            ;   in Loop: Header=BB256_16 Depth=1
	s_delay_alu instid0(SALU_CYCLE_1) | instskip(SKIP_4) | instid1(VALU_DEP_1)
	s_or_b32 exec_lo, exec_lo, s23
	v_mov_b32_e32 v174, 0
	v_lshrrev_b32_e32 v1, 16, v0
	v_mov_b32_e32 v175, 0
	s_mov_b32 s2, exec_lo
	v_dual_mov_b32 v185, v175 :: v_dual_and_b32 v2, 0xff, v1
	v_mov_b32_e32 v184, v174
	s_delay_alu instid0(VALU_DEP_2)
	v_cmpx_ne_u16_e32 0, v2
	s_cbranch_execz .LBB256_363
; %bb.356:                              ;   in Loop: Header=BB256_16 Depth=1
	v_bfrev_b32_e32 v184, 1
	v_mov_b32_e32 v185, 0
	s_mov_b32 s23, exec_lo
	v_cmpx_ne_u16_e32 0x80, v2
	s_cbranch_execz .LBB256_362
; %bb.357:                              ;   in Loop: Header=BB256_16 Depth=1
	v_mov_b32_e32 v184, 0x7f800001
	v_bfe_u32 v3, v0, 16, 7
	v_mov_b32_e32 v185, 0
	s_mov_b32 s24, exec_lo
	s_delay_alu instid0(VALU_DEP_2)
	v_cmpx_ne_u32_e32 0x7f, v3
	s_cbranch_execz .LBB256_361
; %bb.358:                              ;   in Loop: Header=BB256_16 Depth=1
	v_and_b32_e32 v28, 7, v1
	v_lshrrev_b32_e32 v2, 3, v3
	s_mov_b32 s25, exec_lo
	v_cmpx_gt_u32_e32 8, v3
; %bb.359:                              ;   in Loop: Header=BB256_16 Depth=1
	s_delay_alu instid0(VALU_DEP_3) | instskip(NEXT) | instid1(VALU_DEP_1)
	v_clz_i32_u32_e32 v2, v28
	v_min_u32_e32 v2, 32, v2
	s_delay_alu instid0(VALU_DEP_1) | instskip(SKIP_1) | instid1(VALU_DEP_2)
	v_subrev_nc_u32_e32 v3, 28, v2
	v_sub_nc_u32_e32 v2, 29, v2
	v_lshlrev_b64 v[3:4], v3, v[28:29]
	s_delay_alu instid0(VALU_DEP_1)
	v_and_b32_e32 v28, 7, v3
; %bb.360:                              ;   in Loop: Header=BB256_16 Depth=1
	s_or_b32 exec_lo, exec_lo, s25
	v_lshlrev_b32_e32 v1, 24, v1
	s_delay_alu instid0(VALU_DEP_2) | instskip(SKIP_1) | instid1(VALU_DEP_3)
	v_lshlrev_b32_e32 v3, 20, v28
	v_lshl_add_u32 v2, v2, 23, 0x3c000000
	v_and_b32_e32 v1, 0x80000000, v1
	s_delay_alu instid0(VALU_DEP_1) | instskip(NEXT) | instid1(VALU_DEP_1)
	v_or3_b32 v28, v3, v1, v2
	v_dual_mov_b32 v185, v29 :: v_dual_mov_b32 v184, v28
.LBB256_361:                            ;   in Loop: Header=BB256_16 Depth=1
	s_or_b32 exec_lo, exec_lo, s24
.LBB256_362:                            ;   in Loop: Header=BB256_16 Depth=1
	s_delay_alu instid0(SALU_CYCLE_1)
	s_or_b32 exec_lo, exec_lo, s23
.LBB256_363:                            ;   in Loop: Header=BB256_16 Depth=1
	s_delay_alu instid0(SALU_CYCLE_1) | instskip(NEXT) | instid1(SALU_CYCLE_1)
	s_or_b32 exec_lo, exec_lo, s2
	s_mov_b32 s23, exec_lo
	v_cmpx_lt_u32_e32 0xffffff, v0
	s_cbranch_execz .LBB256_371
; %bb.364:                              ;   in Loop: Header=BB256_16 Depth=1
	v_lshrrev_b32_e32 v1, 24, v0
	v_dual_mov_b32 v175, s17 :: v_dual_mov_b32 v174, s16
	s_mov_b32 s24, exec_lo
	s_delay_alu instid0(VALU_DEP_2)
	v_cmpx_ne_u32_e32 0x80, v1
	s_cbranch_execz .LBB256_370
; %bb.365:                              ;   in Loop: Header=BB256_16 Depth=1
	s_mov_b32 s2, s16
	v_bfe_u32 v2, v0, 24, 7
	v_dual_mov_b32 v175, s3 :: v_dual_mov_b32 v174, s2
	s_mov_b32 s2, exec_lo
	s_delay_alu instid0(VALU_DEP_2)
	v_cmpx_ne_u32_e32 0x7f, v2
	s_cbranch_execz .LBB256_369
; %bb.366:                              ;   in Loop: Header=BB256_16 Depth=1
	v_and_b32_e32 v28, 7, v1
	v_lshrrev_b32_e32 v0, 3, v2
	s_mov_b32 s25, exec_lo
	v_cmpx_gt_u32_e32 8, v2
; %bb.367:                              ;   in Loop: Header=BB256_16 Depth=1
	s_delay_alu instid0(VALU_DEP_3) | instskip(NEXT) | instid1(VALU_DEP_1)
	v_clz_i32_u32_e32 v0, v28
	v_min_u32_e32 v0, 32, v0
	s_delay_alu instid0(VALU_DEP_1) | instskip(SKIP_1) | instid1(VALU_DEP_2)
	v_subrev_nc_u32_e32 v2, 28, v0
	v_sub_nc_u32_e32 v0, 29, v0
	v_lshlrev_b64 v[2:3], v2, v[28:29]
	s_delay_alu instid0(VALU_DEP_1)
	v_and_b32_e32 v28, 7, v2
; %bb.368:                              ;   in Loop: Header=BB256_16 Depth=1
	s_or_b32 exec_lo, exec_lo, s25
	v_dual_mov_b32 v174, v29 :: v_dual_lshlrev_b32 v1, 24, v1
	s_delay_alu instid0(VALU_DEP_2) | instskip(SKIP_1) | instid1(VALU_DEP_3)
	v_lshlrev_b32_e32 v2, 20, v28
	v_lshl_add_u32 v0, v0, 23, 0x3c000000
	v_and_b32_e32 v1, 0x80000000, v1
	s_delay_alu instid0(VALU_DEP_1)
	v_or3_b32 v175, v2, v1, v0
.LBB256_369:                            ;   in Loop: Header=BB256_16 Depth=1
	s_or_b32 exec_lo, exec_lo, s2
.LBB256_370:                            ;   in Loop: Header=BB256_16 Depth=1
	s_delay_alu instid0(SALU_CYCLE_1)
	s_or_b32 exec_lo, exec_lo, s24
.LBB256_371:                            ;   in Loop: Header=BB256_16 Depth=1
	s_delay_alu instid0(SALU_CYCLE_1) | instskip(SKIP_4) | instid1(VALU_DEP_1)
	s_or_b32 exec_lo, exec_lo, s23
	flat_load_b32 v0, v[39:40] offset:1036
	v_mov_b32_e32 v186, 0
	v_mov_b32_e32 v187, 0
	s_mov_b32 s2, exec_lo
	v_dual_mov_b32 v189, v187 :: v_dual_mov_b32 v188, v186
	s_waitcnt vmcnt(0) lgkmcnt(0)
	v_and_b32_e32 v1, 0xff, v0
	s_delay_alu instid0(VALU_DEP_1)
	v_cmpx_ne_u16_e32 0, v1
	s_cbranch_execz .LBB256_379
; %bb.372:                              ;   in Loop: Header=BB256_16 Depth=1
	v_bfrev_b32_e32 v188, 1
	v_mov_b32_e32 v189, 0
	s_mov_b32 s23, exec_lo
	v_cmpx_ne_u16_e32 0x80, v1
	s_cbranch_execz .LBB256_378
; %bb.373:                              ;   in Loop: Header=BB256_16 Depth=1
	v_mov_b32_e32 v188, 0x7f800001
	v_dual_mov_b32 v189, 0 :: v_dual_and_b32 v2, 0x7f, v0
	s_mov_b32 s24, exec_lo
	s_delay_alu instid0(VALU_DEP_1)
	v_cmpx_ne_u32_e32 0x7f, v2
	s_cbranch_execz .LBB256_377
; %bb.374:                              ;   in Loop: Header=BB256_16 Depth=1
	v_and_b32_e32 v28, 7, v0
	v_lshrrev_b32_e32 v1, 3, v2
	s_mov_b32 s25, exec_lo
	v_cmpx_gt_u32_e32 8, v2
; %bb.375:                              ;   in Loop: Header=BB256_16 Depth=1
	s_delay_alu instid0(VALU_DEP_3) | instskip(NEXT) | instid1(VALU_DEP_1)
	v_clz_i32_u32_e32 v1, v28
	v_min_u32_e32 v1, 32, v1
	s_delay_alu instid0(VALU_DEP_1) | instskip(SKIP_1) | instid1(VALU_DEP_2)
	v_subrev_nc_u32_e32 v2, 28, v1
	v_sub_nc_u32_e32 v1, 29, v1
	v_lshlrev_b64 v[2:3], v2, v[28:29]
	s_delay_alu instid0(VALU_DEP_1)
	v_and_b32_e32 v28, 7, v2
; %bb.376:                              ;   in Loop: Header=BB256_16 Depth=1
	s_or_b32 exec_lo, exec_lo, s25
	v_lshlrev_b32_e32 v2, 24, v0
	s_delay_alu instid0(VALU_DEP_2) | instskip(SKIP_1) | instid1(VALU_DEP_3)
	v_lshlrev_b32_e32 v3, 20, v28
	v_lshl_add_u32 v1, v1, 23, 0x3c000000
	v_and_b32_e32 v2, 0x80000000, v2
	s_delay_alu instid0(VALU_DEP_1) | instskip(NEXT) | instid1(VALU_DEP_1)
	v_or3_b32 v28, v3, v2, v1
	v_dual_mov_b32 v189, v29 :: v_dual_mov_b32 v188, v28
.LBB256_377:                            ;   in Loop: Header=BB256_16 Depth=1
	s_or_b32 exec_lo, exec_lo, s24
.LBB256_378:                            ;   in Loop: Header=BB256_16 Depth=1
	s_delay_alu instid0(SALU_CYCLE_1)
	s_or_b32 exec_lo, exec_lo, s23
.LBB256_379:                            ;   in Loop: Header=BB256_16 Depth=1
	s_delay_alu instid0(SALU_CYCLE_1) | instskip(SKIP_2) | instid1(VALU_DEP_1)
	s_or_b32 exec_lo, exec_lo, s2
	v_lshrrev_b16 v1, 8, v0
	s_mov_b32 s23, exec_lo
	v_cmpx_ne_u16_e32 0, v1
	s_cbranch_execz .LBB256_387
; %bb.380:                              ;   in Loop: Header=BB256_16 Depth=1
	v_dual_mov_b32 v187, s17 :: v_dual_mov_b32 v186, s16
	s_mov_b32 s24, exec_lo
	v_cmpx_ne_u16_e32 0x80, v1
	s_cbranch_execz .LBB256_386
; %bb.381:                              ;   in Loop: Header=BB256_16 Depth=1
	s_mov_b32 s2, s16
	v_and_b32_e32 v1, 0xffff, v1
	v_dual_mov_b32 v187, s3 :: v_dual_mov_b32 v186, s2
	s_mov_b32 s2, exec_lo
	s_delay_alu instid0(VALU_DEP_2) | instskip(NEXT) | instid1(VALU_DEP_1)
	v_and_b32_e32 v2, 0x7f, v1
	v_cmpx_ne_u32_e32 0x7f, v2
	s_cbranch_execz .LBB256_385
; %bb.382:                              ;   in Loop: Header=BB256_16 Depth=1
	v_and_b32_e32 v28, 7, v1
	v_lshrrev_b32_e32 v1, 3, v2
	s_mov_b32 s25, exec_lo
	v_cmpx_gt_u32_e32 8, v2
; %bb.383:                              ;   in Loop: Header=BB256_16 Depth=1
	s_delay_alu instid0(VALU_DEP_3) | instskip(NEXT) | instid1(VALU_DEP_1)
	v_clz_i32_u32_e32 v1, v28
	v_min_u32_e32 v1, 32, v1
	s_delay_alu instid0(VALU_DEP_1) | instskip(SKIP_1) | instid1(VALU_DEP_2)
	v_subrev_nc_u32_e32 v2, 28, v1
	v_sub_nc_u32_e32 v1, 29, v1
	v_lshlrev_b64 v[2:3], v2, v[28:29]
	s_delay_alu instid0(VALU_DEP_1)
	v_and_b32_e32 v28, 7, v2
; %bb.384:                              ;   in Loop: Header=BB256_16 Depth=1
	s_or_b32 exec_lo, exec_lo, s25
	v_lshlrev_b32_e32 v2, 16, v0
	s_delay_alu instid0(VALU_DEP_2) | instskip(SKIP_1) | instid1(VALU_DEP_3)
	v_dual_mov_b32 v186, v29 :: v_dual_lshlrev_b32 v3, 20, v28
	v_lshl_add_u32 v1, v1, 23, 0x3c000000
	v_and_b32_e32 v2, 0x80000000, v2
	s_delay_alu instid0(VALU_DEP_1)
	v_or3_b32 v187, v3, v2, v1
.LBB256_385:                            ;   in Loop: Header=BB256_16 Depth=1
	s_or_b32 exec_lo, exec_lo, s2
.LBB256_386:                            ;   in Loop: Header=BB256_16 Depth=1
	s_delay_alu instid0(SALU_CYCLE_1)
	s_or_b32 exec_lo, exec_lo, s24
.LBB256_387:                            ;   in Loop: Header=BB256_16 Depth=1
	s_delay_alu instid0(SALU_CYCLE_1) | instskip(SKIP_4) | instid1(VALU_DEP_2)
	s_or_b32 exec_lo, exec_lo, s23
	v_mov_b32_e32 v190, 0
	v_lshrrev_b32_e32 v1, 16, v0
	v_mov_b32_e32 v191, 0
	s_mov_b32 s2, exec_lo
	v_and_b32_e32 v2, 0xff, v1
	s_delay_alu instid0(VALU_DEP_2) | instskip(NEXT) | instid1(VALU_DEP_2)
	v_dual_mov_b32 v146, v190 :: v_dual_mov_b32 v147, v191
	v_cmpx_ne_u16_e32 0, v2
	s_cbranch_execz .LBB256_395
; %bb.388:                              ;   in Loop: Header=BB256_16 Depth=1
	v_bfrev_b32_e32 v146, 1
	v_mov_b32_e32 v147, 0
	s_mov_b32 s23, exec_lo
	v_cmpx_ne_u16_e32 0x80, v2
	s_cbranch_execz .LBB256_394
; %bb.389:                              ;   in Loop: Header=BB256_16 Depth=1
	v_mov_b32_e32 v146, 0x7f800001
	v_bfe_u32 v3, v0, 16, 7
	v_mov_b32_e32 v147, 0
	s_mov_b32 s24, exec_lo
	s_delay_alu instid0(VALU_DEP_2)
	v_cmpx_ne_u32_e32 0x7f, v3
	s_cbranch_execz .LBB256_393
; %bb.390:                              ;   in Loop: Header=BB256_16 Depth=1
	v_and_b32_e32 v28, 7, v1
	v_lshrrev_b32_e32 v2, 3, v3
	s_mov_b32 s25, exec_lo
	v_cmpx_gt_u32_e32 8, v3
; %bb.391:                              ;   in Loop: Header=BB256_16 Depth=1
	s_delay_alu instid0(VALU_DEP_3) | instskip(NEXT) | instid1(VALU_DEP_1)
	v_clz_i32_u32_e32 v2, v28
	v_min_u32_e32 v2, 32, v2
	s_delay_alu instid0(VALU_DEP_1) | instskip(SKIP_1) | instid1(VALU_DEP_2)
	v_subrev_nc_u32_e32 v3, 28, v2
	v_sub_nc_u32_e32 v2, 29, v2
	v_lshlrev_b64 v[3:4], v3, v[28:29]
	s_delay_alu instid0(VALU_DEP_1)
	v_and_b32_e32 v28, 7, v3
; %bb.392:                              ;   in Loop: Header=BB256_16 Depth=1
	s_or_b32 exec_lo, exec_lo, s25
	v_lshlrev_b32_e32 v1, 24, v1
	s_delay_alu instid0(VALU_DEP_2) | instskip(SKIP_1) | instid1(VALU_DEP_3)
	v_lshlrev_b32_e32 v3, 20, v28
	v_lshl_add_u32 v2, v2, 23, 0x3c000000
	v_and_b32_e32 v1, 0x80000000, v1
	s_delay_alu instid0(VALU_DEP_1) | instskip(NEXT) | instid1(VALU_DEP_1)
	v_or3_b32 v28, v3, v1, v2
	v_dual_mov_b32 v147, v29 :: v_dual_mov_b32 v146, v28
.LBB256_393:                            ;   in Loop: Header=BB256_16 Depth=1
	s_or_b32 exec_lo, exec_lo, s24
.LBB256_394:                            ;   in Loop: Header=BB256_16 Depth=1
	s_delay_alu instid0(SALU_CYCLE_1)
	s_or_b32 exec_lo, exec_lo, s23
.LBB256_395:                            ;   in Loop: Header=BB256_16 Depth=1
	s_delay_alu instid0(SALU_CYCLE_1) | instskip(NEXT) | instid1(SALU_CYCLE_1)
	s_or_b32 exec_lo, exec_lo, s2
	s_mov_b32 s23, exec_lo
	v_cmpx_lt_u32_e32 0xffffff, v0
	s_cbranch_execz .LBB256_403
; %bb.396:                              ;   in Loop: Header=BB256_16 Depth=1
	v_lshrrev_b32_e32 v1, 24, v0
	v_dual_mov_b32 v191, s17 :: v_dual_mov_b32 v190, s16
	s_mov_b32 s24, exec_lo
	s_delay_alu instid0(VALU_DEP_2)
	v_cmpx_ne_u32_e32 0x80, v1
	s_cbranch_execz .LBB256_402
; %bb.397:                              ;   in Loop: Header=BB256_16 Depth=1
	s_mov_b32 s2, s16
	v_bfe_u32 v2, v0, 24, 7
	v_dual_mov_b32 v191, s3 :: v_dual_mov_b32 v190, s2
	s_mov_b32 s2, exec_lo
	s_delay_alu instid0(VALU_DEP_2)
	v_cmpx_ne_u32_e32 0x7f, v2
	s_cbranch_execz .LBB256_401
; %bb.398:                              ;   in Loop: Header=BB256_16 Depth=1
	v_and_b32_e32 v28, 7, v1
	v_lshrrev_b32_e32 v0, 3, v2
	s_mov_b32 s25, exec_lo
	v_cmpx_gt_u32_e32 8, v2
; %bb.399:                              ;   in Loop: Header=BB256_16 Depth=1
	s_delay_alu instid0(VALU_DEP_3) | instskip(NEXT) | instid1(VALU_DEP_1)
	v_clz_i32_u32_e32 v0, v28
	v_min_u32_e32 v0, 32, v0
	s_delay_alu instid0(VALU_DEP_1) | instskip(SKIP_1) | instid1(VALU_DEP_2)
	v_subrev_nc_u32_e32 v2, 28, v0
	v_sub_nc_u32_e32 v0, 29, v0
	v_lshlrev_b64 v[2:3], v2, v[28:29]
	s_delay_alu instid0(VALU_DEP_1)
	v_and_b32_e32 v28, 7, v2
; %bb.400:                              ;   in Loop: Header=BB256_16 Depth=1
	s_or_b32 exec_lo, exec_lo, s25
	v_dual_mov_b32 v190, v29 :: v_dual_lshlrev_b32 v1, 24, v1
	s_delay_alu instid0(VALU_DEP_2) | instskip(SKIP_1) | instid1(VALU_DEP_3)
	v_lshlrev_b32_e32 v2, 20, v28
	v_lshl_add_u32 v0, v0, 23, 0x3c000000
	v_and_b32_e32 v1, 0x80000000, v1
	s_delay_alu instid0(VALU_DEP_1)
	v_or3_b32 v191, v2, v1, v0
.LBB256_401:                            ;   in Loop: Header=BB256_16 Depth=1
	s_or_b32 exec_lo, exec_lo, s2
.LBB256_402:                            ;   in Loop: Header=BB256_16 Depth=1
	s_delay_alu instid0(SALU_CYCLE_1)
	s_or_b32 exec_lo, exec_lo, s24
.LBB256_403:                            ;   in Loop: Header=BB256_16 Depth=1
	s_delay_alu instid0(SALU_CYCLE_1) | instskip(SKIP_4) | instid1(VALU_DEP_1)
	s_or_b32 exec_lo, exec_lo, s23
	flat_load_b32 v0, v[39:40] offset:1536
	v_mov_b32_e32 v4, 0
	v_mov_b32_e32 v5, 0
	s_mov_b32 s2, exec_lo
	v_dual_mov_b32 v149, v5 :: v_dual_mov_b32 v148, v4
	s_waitcnt vmcnt(0) lgkmcnt(0)
	v_and_b32_e32 v1, 0xff, v0
	s_delay_alu instid0(VALU_DEP_1)
	v_cmpx_ne_u16_e32 0, v1
	s_cbranch_execz .LBB256_411
; %bb.404:                              ;   in Loop: Header=BB256_16 Depth=1
	v_bfrev_b32_e32 v148, 1
	v_mov_b32_e32 v149, 0
	s_mov_b32 s23, exec_lo
	v_cmpx_ne_u16_e32 0x80, v1
	s_cbranch_execz .LBB256_410
; %bb.405:                              ;   in Loop: Header=BB256_16 Depth=1
	v_mov_b32_e32 v148, 0x7f800001
	v_dual_mov_b32 v149, 0 :: v_dual_and_b32 v2, 0x7f, v0
	s_mov_b32 s24, exec_lo
	s_delay_alu instid0(VALU_DEP_1)
	v_cmpx_ne_u32_e32 0x7f, v2
	s_cbranch_execz .LBB256_409
; %bb.406:                              ;   in Loop: Header=BB256_16 Depth=1
	v_and_b32_e32 v28, 7, v0
	v_lshrrev_b32_e32 v1, 3, v2
	s_mov_b32 s25, exec_lo
	v_cmpx_gt_u32_e32 8, v2
; %bb.407:                              ;   in Loop: Header=BB256_16 Depth=1
	s_delay_alu instid0(VALU_DEP_3) | instskip(NEXT) | instid1(VALU_DEP_1)
	v_clz_i32_u32_e32 v1, v28
	v_min_u32_e32 v1, 32, v1
	s_delay_alu instid0(VALU_DEP_1) | instskip(SKIP_1) | instid1(VALU_DEP_2)
	v_subrev_nc_u32_e32 v2, 28, v1
	v_sub_nc_u32_e32 v1, 29, v1
	v_lshlrev_b64 v[2:3], v2, v[28:29]
	s_delay_alu instid0(VALU_DEP_1)
	v_and_b32_e32 v28, 7, v2
; %bb.408:                              ;   in Loop: Header=BB256_16 Depth=1
	s_or_b32 exec_lo, exec_lo, s25
	v_lshlrev_b32_e32 v2, 24, v0
	s_delay_alu instid0(VALU_DEP_2) | instskip(SKIP_1) | instid1(VALU_DEP_3)
	v_lshlrev_b32_e32 v3, 20, v28
	v_lshl_add_u32 v1, v1, 23, 0x3c000000
	v_and_b32_e32 v2, 0x80000000, v2
	s_delay_alu instid0(VALU_DEP_1) | instskip(NEXT) | instid1(VALU_DEP_1)
	v_or3_b32 v28, v3, v2, v1
	v_dual_mov_b32 v149, v29 :: v_dual_mov_b32 v148, v28
.LBB256_409:                            ;   in Loop: Header=BB256_16 Depth=1
	s_or_b32 exec_lo, exec_lo, s24
.LBB256_410:                            ;   in Loop: Header=BB256_16 Depth=1
	s_delay_alu instid0(SALU_CYCLE_1)
	s_or_b32 exec_lo, exec_lo, s23
.LBB256_411:                            ;   in Loop: Header=BB256_16 Depth=1
	s_delay_alu instid0(SALU_CYCLE_1) | instskip(SKIP_2) | instid1(VALU_DEP_1)
	s_or_b32 exec_lo, exec_lo, s2
	v_lshrrev_b16 v1, 8, v0
	s_mov_b32 s23, exec_lo
	v_cmpx_ne_u16_e32 0, v1
	s_cbranch_execz .LBB256_419
; %bb.412:                              ;   in Loop: Header=BB256_16 Depth=1
	v_dual_mov_b32 v4, s16 :: v_dual_mov_b32 v5, s17
	s_mov_b32 s24, exec_lo
	v_cmpx_ne_u16_e32 0x80, v1
	s_cbranch_execz .LBB256_418
; %bb.413:                              ;   in Loop: Header=BB256_16 Depth=1
	s_mov_b32 s2, s16
	v_and_b32_e32 v1, 0xffff, v1
	v_dual_mov_b32 v5, s3 :: v_dual_mov_b32 v4, s2
	s_mov_b32 s2, exec_lo
	s_delay_alu instid0(VALU_DEP_2) | instskip(NEXT) | instid1(VALU_DEP_1)
	v_and_b32_e32 v2, 0x7f, v1
	v_cmpx_ne_u32_e32 0x7f, v2
	s_cbranch_execz .LBB256_417
; %bb.414:                              ;   in Loop: Header=BB256_16 Depth=1
	v_and_b32_e32 v28, 7, v1
	v_lshrrev_b32_e32 v1, 3, v2
	s_mov_b32 s25, exec_lo
	v_cmpx_gt_u32_e32 8, v2
; %bb.415:                              ;   in Loop: Header=BB256_16 Depth=1
	s_delay_alu instid0(VALU_DEP_3) | instskip(NEXT) | instid1(VALU_DEP_1)
	v_clz_i32_u32_e32 v1, v28
	v_min_u32_e32 v1, 32, v1
	s_delay_alu instid0(VALU_DEP_1) | instskip(SKIP_1) | instid1(VALU_DEP_2)
	v_subrev_nc_u32_e32 v2, 28, v1
	v_sub_nc_u32_e32 v1, 29, v1
	v_lshlrev_b64 v[2:3], v2, v[28:29]
	s_delay_alu instid0(VALU_DEP_1)
	v_and_b32_e32 v28, 7, v2
; %bb.416:                              ;   in Loop: Header=BB256_16 Depth=1
	s_or_b32 exec_lo, exec_lo, s25
	v_lshlrev_b32_e32 v2, 16, v0
	s_delay_alu instid0(VALU_DEP_2) | instskip(SKIP_1) | instid1(VALU_DEP_3)
	v_dual_mov_b32 v4, v29 :: v_dual_lshlrev_b32 v3, 20, v28
	v_lshl_add_u32 v1, v1, 23, 0x3c000000
	v_and_b32_e32 v2, 0x80000000, v2
	s_delay_alu instid0(VALU_DEP_1)
	v_or3_b32 v5, v3, v2, v1
.LBB256_417:                            ;   in Loop: Header=BB256_16 Depth=1
	s_or_b32 exec_lo, exec_lo, s2
.LBB256_418:                            ;   in Loop: Header=BB256_16 Depth=1
	s_delay_alu instid0(SALU_CYCLE_1)
	s_or_b32 exec_lo, exec_lo, s24
.LBB256_419:                            ;   in Loop: Header=BB256_16 Depth=1
	s_delay_alu instid0(SALU_CYCLE_1) | instskip(SKIP_4) | instid1(VALU_DEP_3)
	s_or_b32 exec_lo, exec_lo, s23
	v_lshrrev_b32_e32 v1, 16, v0
	v_mov_b32_e32 v11, 0
	v_mov_b32_e32 v12, 0
	s_mov_b32 s2, exec_lo
	v_and_b32_e32 v2, 0xff, v1
	s_delay_alu instid0(VALU_DEP_2) | instskip(NEXT) | instid1(VALU_DEP_2)
	v_dual_mov_b32 v22, v12 :: v_dual_mov_b32 v21, v11
	v_cmpx_ne_u16_e32 0, v2
	s_cbranch_execz .LBB256_427
; %bb.420:                              ;   in Loop: Header=BB256_16 Depth=1
	v_bfrev_b32_e32 v21, 1
	v_mov_b32_e32 v22, 0
	s_mov_b32 s23, exec_lo
	v_cmpx_ne_u16_e32 0x80, v2
	s_cbranch_execz .LBB256_426
; %bb.421:                              ;   in Loop: Header=BB256_16 Depth=1
	v_mov_b32_e32 v21, 0x7f800001
	v_bfe_u32 v3, v0, 16, 7
	v_mov_b32_e32 v22, 0
	s_mov_b32 s24, exec_lo
	s_delay_alu instid0(VALU_DEP_2)
	v_cmpx_ne_u32_e32 0x7f, v3
	s_cbranch_execz .LBB256_425
; %bb.422:                              ;   in Loop: Header=BB256_16 Depth=1
	v_and_b32_e32 v28, 7, v1
	v_lshrrev_b32_e32 v2, 3, v3
	s_mov_b32 s25, exec_lo
	v_cmpx_gt_u32_e32 8, v3
; %bb.423:                              ;   in Loop: Header=BB256_16 Depth=1
	s_delay_alu instid0(VALU_DEP_3) | instskip(NEXT) | instid1(VALU_DEP_1)
	v_clz_i32_u32_e32 v2, v28
	v_min_u32_e32 v2, 32, v2
	s_delay_alu instid0(VALU_DEP_1) | instskip(SKIP_1) | instid1(VALU_DEP_2)
	v_subrev_nc_u32_e32 v3, 28, v2
	v_sub_nc_u32_e32 v2, 29, v2
	v_lshlrev_b64 v[6:7], v3, v[28:29]
	s_delay_alu instid0(VALU_DEP_1)
	v_and_b32_e32 v28, 7, v6
; %bb.424:                              ;   in Loop: Header=BB256_16 Depth=1
	s_or_b32 exec_lo, exec_lo, s25
	v_lshlrev_b32_e32 v1, 24, v1
	s_delay_alu instid0(VALU_DEP_2) | instskip(SKIP_1) | instid1(VALU_DEP_3)
	v_lshlrev_b32_e32 v3, 20, v28
	v_lshl_add_u32 v2, v2, 23, 0x3c000000
	v_and_b32_e32 v1, 0x80000000, v1
	s_delay_alu instid0(VALU_DEP_1) | instskip(NEXT) | instid1(VALU_DEP_1)
	v_or3_b32 v28, v3, v1, v2
	v_dual_mov_b32 v21, v28 :: v_dual_mov_b32 v22, v29
.LBB256_425:                            ;   in Loop: Header=BB256_16 Depth=1
	s_or_b32 exec_lo, exec_lo, s24
.LBB256_426:                            ;   in Loop: Header=BB256_16 Depth=1
	s_delay_alu instid0(SALU_CYCLE_1)
	s_or_b32 exec_lo, exec_lo, s23
.LBB256_427:                            ;   in Loop: Header=BB256_16 Depth=1
	s_delay_alu instid0(SALU_CYCLE_1) | instskip(NEXT) | instid1(SALU_CYCLE_1)
	s_or_b32 exec_lo, exec_lo, s2
	s_mov_b32 s23, exec_lo
	v_cmpx_lt_u32_e32 0xffffff, v0
	s_cbranch_execz .LBB256_435
; %bb.428:                              ;   in Loop: Header=BB256_16 Depth=1
	v_lshrrev_b32_e32 v1, 24, v0
	v_dual_mov_b32 v11, s16 :: v_dual_mov_b32 v12, s17
	s_mov_b32 s24, exec_lo
	s_delay_alu instid0(VALU_DEP_2)
	v_cmpx_ne_u32_e32 0x80, v1
	s_cbranch_execz .LBB256_434
; %bb.429:                              ;   in Loop: Header=BB256_16 Depth=1
	s_mov_b32 s2, s16
	v_bfe_u32 v2, v0, 24, 7
	v_dual_mov_b32 v12, s3 :: v_dual_mov_b32 v11, s2
	s_mov_b32 s2, exec_lo
	s_delay_alu instid0(VALU_DEP_2)
	v_cmpx_ne_u32_e32 0x7f, v2
	s_cbranch_execz .LBB256_433
; %bb.430:                              ;   in Loop: Header=BB256_16 Depth=1
	v_and_b32_e32 v28, 7, v1
	v_lshrrev_b32_e32 v0, 3, v2
	s_mov_b32 s25, exec_lo
	v_cmpx_gt_u32_e32 8, v2
; %bb.431:                              ;   in Loop: Header=BB256_16 Depth=1
	s_delay_alu instid0(VALU_DEP_3) | instskip(NEXT) | instid1(VALU_DEP_1)
	v_clz_i32_u32_e32 v0, v28
	v_min_u32_e32 v0, 32, v0
	s_delay_alu instid0(VALU_DEP_1) | instskip(SKIP_1) | instid1(VALU_DEP_2)
	v_subrev_nc_u32_e32 v2, 28, v0
	v_sub_nc_u32_e32 v0, 29, v0
	v_lshlrev_b64 v[2:3], v2, v[28:29]
	s_delay_alu instid0(VALU_DEP_1)
	v_and_b32_e32 v28, 7, v2
; %bb.432:                              ;   in Loop: Header=BB256_16 Depth=1
	s_or_b32 exec_lo, exec_lo, s25
	v_lshlrev_b32_e32 v1, 24, v1
	s_delay_alu instid0(VALU_DEP_2) | instskip(SKIP_1) | instid1(VALU_DEP_3)
	v_dual_mov_b32 v11, v29 :: v_dual_lshlrev_b32 v2, 20, v28
	v_lshl_add_u32 v0, v0, 23, 0x3c000000
	v_and_b32_e32 v1, 0x80000000, v1
	s_delay_alu instid0(VALU_DEP_1)
	v_or3_b32 v12, v2, v1, v0
.LBB256_433:                            ;   in Loop: Header=BB256_16 Depth=1
	s_or_b32 exec_lo, exec_lo, s2
.LBB256_434:                            ;   in Loop: Header=BB256_16 Depth=1
	s_delay_alu instid0(SALU_CYCLE_1)
	s_or_b32 exec_lo, exec_lo, s24
.LBB256_435:                            ;   in Loop: Header=BB256_16 Depth=1
	s_delay_alu instid0(SALU_CYCLE_1) | instskip(SKIP_4) | instid1(VALU_DEP_1)
	s_or_b32 exec_lo, exec_lo, s23
	flat_load_b32 v6, v[39:40] offset:1540
	v_mov_b32_e32 v0, 0
	v_mov_b32_e32 v1, 0
	s_mov_b32 s2, exec_lo
	v_dual_mov_b32 v3, v1 :: v_dual_mov_b32 v2, v0
	s_waitcnt vmcnt(0) lgkmcnt(0)
	v_and_b32_e32 v7, 0xff, v6
	s_delay_alu instid0(VALU_DEP_1)
	v_cmpx_ne_u16_e32 0, v7
	s_cbranch_execz .LBB256_443
; %bb.436:                              ;   in Loop: Header=BB256_16 Depth=1
	v_bfrev_b32_e32 v2, 1
	v_mov_b32_e32 v3, 0
	s_mov_b32 s23, exec_lo
	v_cmpx_ne_u16_e32 0x80, v7
	s_cbranch_execz .LBB256_442
; %bb.437:                              ;   in Loop: Header=BB256_16 Depth=1
	v_mov_b32_e32 v2, 0x7f800001
	v_and_b32_e32 v7, 0x7f, v6
	v_mov_b32_e32 v3, 0
	s_mov_b32 s24, exec_lo
	s_delay_alu instid0(VALU_DEP_2)
	v_cmpx_ne_u32_e32 0x7f, v7
	s_cbranch_execz .LBB256_441
; %bb.438:                              ;   in Loop: Header=BB256_16 Depth=1
	v_and_b32_e32 v28, 7, v6
	v_lshrrev_b32_e32 v2, 3, v7
	s_mov_b32 s25, exec_lo
	v_cmpx_gt_u32_e32 8, v7
; %bb.439:                              ;   in Loop: Header=BB256_16 Depth=1
	s_delay_alu instid0(VALU_DEP_3) | instskip(NEXT) | instid1(VALU_DEP_1)
	v_clz_i32_u32_e32 v2, v28
	v_min_u32_e32 v2, 32, v2
	s_delay_alu instid0(VALU_DEP_1) | instskip(SKIP_1) | instid1(VALU_DEP_2)
	v_subrev_nc_u32_e32 v3, 28, v2
	v_sub_nc_u32_e32 v2, 29, v2
	v_lshlrev_b64 v[7:8], v3, v[28:29]
	s_delay_alu instid0(VALU_DEP_1)
	v_and_b32_e32 v28, 7, v7
; %bb.440:                              ;   in Loop: Header=BB256_16 Depth=1
	s_or_b32 exec_lo, exec_lo, s25
	v_lshlrev_b32_e32 v3, 24, v6
	s_delay_alu instid0(VALU_DEP_2) | instskip(SKIP_1) | instid1(VALU_DEP_3)
	v_lshlrev_b32_e32 v7, 20, v28
	v_lshl_add_u32 v2, v2, 23, 0x3c000000
	v_and_b32_e32 v3, 0x80000000, v3
	s_delay_alu instid0(VALU_DEP_1) | instskip(NEXT) | instid1(VALU_DEP_1)
	v_or3_b32 v28, v7, v3, v2
	v_dual_mov_b32 v2, v28 :: v_dual_mov_b32 v3, v29
.LBB256_441:                            ;   in Loop: Header=BB256_16 Depth=1
	s_or_b32 exec_lo, exec_lo, s24
.LBB256_442:                            ;   in Loop: Header=BB256_16 Depth=1
	s_delay_alu instid0(SALU_CYCLE_1)
	s_or_b32 exec_lo, exec_lo, s23
.LBB256_443:                            ;   in Loop: Header=BB256_16 Depth=1
	s_delay_alu instid0(SALU_CYCLE_1) | instskip(SKIP_2) | instid1(VALU_DEP_1)
	s_or_b32 exec_lo, exec_lo, s2
	v_lshrrev_b16 v7, 8, v6
	s_mov_b32 s23, exec_lo
	v_cmpx_ne_u16_e32 0, v7
	s_cbranch_execz .LBB256_451
; %bb.444:                              ;   in Loop: Header=BB256_16 Depth=1
	v_dual_mov_b32 v0, s16 :: v_dual_mov_b32 v1, s17
	s_mov_b32 s24, exec_lo
	v_cmpx_ne_u16_e32 0x80, v7
	s_cbranch_execz .LBB256_450
; %bb.445:                              ;   in Loop: Header=BB256_16 Depth=1
	s_mov_b32 s2, s16
	v_and_b32_e32 v8, 0xffff, v7
	v_dual_mov_b32 v0, s2 :: v_dual_mov_b32 v1, s3
	s_mov_b32 s2, exec_lo
	s_delay_alu instid0(VALU_DEP_2) | instskip(NEXT) | instid1(VALU_DEP_1)
	v_and_b32_e32 v7, 0x7f, v8
	v_cmpx_ne_u32_e32 0x7f, v7
	s_cbranch_execz .LBB256_449
; %bb.446:                              ;   in Loop: Header=BB256_16 Depth=1
	v_and_b32_e32 v28, 7, v8
	v_lshrrev_b32_e32 v0, 3, v7
	s_mov_b32 s25, exec_lo
	v_cmpx_gt_u32_e32 8, v7
; %bb.447:                              ;   in Loop: Header=BB256_16 Depth=1
	s_delay_alu instid0(VALU_DEP_3) | instskip(NEXT) | instid1(VALU_DEP_1)
	v_clz_i32_u32_e32 v0, v28
	v_min_u32_e32 v0, 32, v0
	s_delay_alu instid0(VALU_DEP_1) | instskip(SKIP_1) | instid1(VALU_DEP_2)
	v_subrev_nc_u32_e32 v1, 28, v0
	v_sub_nc_u32_e32 v0, 29, v0
	v_lshlrev_b64 v[7:8], v1, v[28:29]
	s_delay_alu instid0(VALU_DEP_1)
	v_and_b32_e32 v28, 7, v7
; %bb.448:                              ;   in Loop: Header=BB256_16 Depth=1
	s_or_b32 exec_lo, exec_lo, s25
	v_lshlrev_b32_e32 v1, 16, v6
	s_delay_alu instid0(VALU_DEP_2) | instskip(SKIP_1) | instid1(VALU_DEP_3)
	v_lshlrev_b32_e32 v7, 20, v28
	v_lshl_add_u32 v0, v0, 23, 0x3c000000
	v_and_b32_e32 v1, 0x80000000, v1
	s_delay_alu instid0(VALU_DEP_1)
	v_or3_b32 v1, v7, v1, v0
	v_mov_b32_e32 v0, v29
.LBB256_449:                            ;   in Loop: Header=BB256_16 Depth=1
	s_or_b32 exec_lo, exec_lo, s2
.LBB256_450:                            ;   in Loop: Header=BB256_16 Depth=1
	s_delay_alu instid0(SALU_CYCLE_1)
	s_or_b32 exec_lo, exec_lo, s24
.LBB256_451:                            ;   in Loop: Header=BB256_16 Depth=1
	s_delay_alu instid0(SALU_CYCLE_1) | instskip(SKIP_4) | instid1(VALU_DEP_1)
	s_or_b32 exec_lo, exec_lo, s23
	v_mov_b32_e32 v14, 0
	v_lshrrev_b32_e32 v7, 16, v6
	v_mov_b32_e32 v15, 0
	s_mov_b32 s2, exec_lo
	v_dual_mov_b32 v27, v15 :: v_dual_and_b32 v8, 0xff, v7
	v_mov_b32_e32 v26, v14
	s_delay_alu instid0(VALU_DEP_2)
	v_cmpx_ne_u16_e32 0, v8
	s_cbranch_execz .LBB256_459
; %bb.452:                              ;   in Loop: Header=BB256_16 Depth=1
	v_bfrev_b32_e32 v26, 1
	v_mov_b32_e32 v27, 0
	s_mov_b32 s23, exec_lo
	v_cmpx_ne_u16_e32 0x80, v8
	s_cbranch_execz .LBB256_458
; %bb.453:                              ;   in Loop: Header=BB256_16 Depth=1
	v_mov_b32_e32 v26, 0x7f800001
	v_bfe_u32 v9, v6, 16, 7
	v_mov_b32_e32 v27, 0
	s_mov_b32 s24, exec_lo
	s_delay_alu instid0(VALU_DEP_2)
	v_cmpx_ne_u32_e32 0x7f, v9
	s_cbranch_execz .LBB256_457
; %bb.454:                              ;   in Loop: Header=BB256_16 Depth=1
	v_and_b32_e32 v28, 7, v7
	v_lshrrev_b32_e32 v8, 3, v9
	s_mov_b32 s25, exec_lo
	v_cmpx_gt_u32_e32 8, v9
; %bb.455:                              ;   in Loop: Header=BB256_16 Depth=1
	s_delay_alu instid0(VALU_DEP_3) | instskip(NEXT) | instid1(VALU_DEP_1)
	v_clz_i32_u32_e32 v8, v28
	v_min_u32_e32 v8, 32, v8
	s_delay_alu instid0(VALU_DEP_1) | instskip(SKIP_1) | instid1(VALU_DEP_2)
	v_subrev_nc_u32_e32 v9, 28, v8
	v_sub_nc_u32_e32 v8, 29, v8
	v_lshlrev_b64 v[16:17], v9, v[28:29]
	s_delay_alu instid0(VALU_DEP_1)
	v_and_b32_e32 v28, 7, v16
; %bb.456:                              ;   in Loop: Header=BB256_16 Depth=1
	s_or_b32 exec_lo, exec_lo, s25
	v_lshlrev_b32_e32 v7, 24, v7
	s_delay_alu instid0(VALU_DEP_2) | instskip(SKIP_1) | instid1(VALU_DEP_3)
	v_lshlrev_b32_e32 v9, 20, v28
	v_lshl_add_u32 v8, v8, 23, 0x3c000000
	v_and_b32_e32 v7, 0x80000000, v7
	s_delay_alu instid0(VALU_DEP_1) | instskip(NEXT) | instid1(VALU_DEP_1)
	v_or3_b32 v28, v9, v7, v8
	v_dual_mov_b32 v26, v28 :: v_dual_mov_b32 v27, v29
.LBB256_457:                            ;   in Loop: Header=BB256_16 Depth=1
	s_or_b32 exec_lo, exec_lo, s24
.LBB256_458:                            ;   in Loop: Header=BB256_16 Depth=1
	s_delay_alu instid0(SALU_CYCLE_1)
	s_or_b32 exec_lo, exec_lo, s23
.LBB256_459:                            ;   in Loop: Header=BB256_16 Depth=1
	s_delay_alu instid0(SALU_CYCLE_1) | instskip(NEXT) | instid1(SALU_CYCLE_1)
	s_or_b32 exec_lo, exec_lo, s2
	s_mov_b32 s23, exec_lo
	v_cmpx_lt_u32_e32 0xffffff, v6
	s_cbranch_execz .LBB256_467
; %bb.460:                              ;   in Loop: Header=BB256_16 Depth=1
	v_lshrrev_b32_e32 v7, 24, v6
	v_dual_mov_b32 v14, s16 :: v_dual_mov_b32 v15, s17
	s_mov_b32 s24, exec_lo
	s_delay_alu instid0(VALU_DEP_2)
	v_cmpx_ne_u32_e32 0x80, v7
	s_cbranch_execz .LBB256_466
; %bb.461:                              ;   in Loop: Header=BB256_16 Depth=1
	s_mov_b32 s2, s16
	v_bfe_u32 v8, v6, 24, 7
	v_dual_mov_b32 v15, s3 :: v_dual_mov_b32 v14, s2
	s_mov_b32 s2, exec_lo
	s_delay_alu instid0(VALU_DEP_2)
	v_cmpx_ne_u32_e32 0x7f, v8
	s_cbranch_execz .LBB256_465
; %bb.462:                              ;   in Loop: Header=BB256_16 Depth=1
	v_and_b32_e32 v28, 7, v7
	v_lshrrev_b32_e32 v6, 3, v8
	s_mov_b32 s25, exec_lo
	v_cmpx_gt_u32_e32 8, v8
; %bb.463:                              ;   in Loop: Header=BB256_16 Depth=1
	s_delay_alu instid0(VALU_DEP_3) | instskip(NEXT) | instid1(VALU_DEP_1)
	v_clz_i32_u32_e32 v6, v28
	v_min_u32_e32 v6, 32, v6
	s_delay_alu instid0(VALU_DEP_1) | instskip(SKIP_1) | instid1(VALU_DEP_2)
	v_subrev_nc_u32_e32 v8, 28, v6
	v_sub_nc_u32_e32 v6, 29, v6
	v_lshlrev_b64 v[8:9], v8, v[28:29]
	s_delay_alu instid0(VALU_DEP_1)
	v_and_b32_e32 v28, 7, v8
; %bb.464:                              ;   in Loop: Header=BB256_16 Depth=1
	s_or_b32 exec_lo, exec_lo, s25
	v_dual_mov_b32 v14, v29 :: v_dual_lshlrev_b32 v7, 24, v7
	s_delay_alu instid0(VALU_DEP_2) | instskip(SKIP_1) | instid1(VALU_DEP_3)
	v_lshlrev_b32_e32 v8, 20, v28
	v_lshl_add_u32 v6, v6, 23, 0x3c000000
	v_and_b32_e32 v7, 0x80000000, v7
	s_delay_alu instid0(VALU_DEP_1)
	v_or3_b32 v15, v8, v7, v6
.LBB256_465:                            ;   in Loop: Header=BB256_16 Depth=1
	s_or_b32 exec_lo, exec_lo, s2
.LBB256_466:                            ;   in Loop: Header=BB256_16 Depth=1
	s_delay_alu instid0(SALU_CYCLE_1)
	s_or_b32 exec_lo, exec_lo, s24
.LBB256_467:                            ;   in Loop: Header=BB256_16 Depth=1
	s_delay_alu instid0(SALU_CYCLE_1) | instskip(SKIP_4) | instid1(VALU_DEP_1)
	s_or_b32 exec_lo, exec_lo, s23
	flat_load_b32 v6, v[39:40] offset:1544
	v_mov_b32_e32 v8, 0
	v_mov_b32_e32 v9, 0
	s_mov_b32 s2, exec_lo
	v_dual_mov_b32 v17, v9 :: v_dual_mov_b32 v16, v8
	s_waitcnt vmcnt(0) lgkmcnt(0)
	v_and_b32_e32 v7, 0xff, v6
	s_delay_alu instid0(VALU_DEP_1)
	v_cmpx_ne_u16_e32 0, v7
	s_cbranch_execz .LBB256_475
; %bb.468:                              ;   in Loop: Header=BB256_16 Depth=1
	v_bfrev_b32_e32 v16, 1
	v_mov_b32_e32 v17, 0
	s_mov_b32 s23, exec_lo
	v_cmpx_ne_u16_e32 0x80, v7
	s_cbranch_execz .LBB256_474
; %bb.469:                              ;   in Loop: Header=BB256_16 Depth=1
	v_mov_b32_e32 v16, 0x7f800001
	v_dual_mov_b32 v17, 0 :: v_dual_and_b32 v18, 0x7f, v6
	s_mov_b32 s24, exec_lo
	s_delay_alu instid0(VALU_DEP_1)
	v_cmpx_ne_u32_e32 0x7f, v18
	s_cbranch_execz .LBB256_473
; %bb.470:                              ;   in Loop: Header=BB256_16 Depth=1
	v_and_b32_e32 v28, 7, v6
	v_lshrrev_b32_e32 v7, 3, v18
	s_mov_b32 s25, exec_lo
	v_cmpx_gt_u32_e32 8, v18
; %bb.471:                              ;   in Loop: Header=BB256_16 Depth=1
	s_delay_alu instid0(VALU_DEP_3) | instskip(NEXT) | instid1(VALU_DEP_1)
	v_clz_i32_u32_e32 v7, v28
	v_min_u32_e32 v7, 32, v7
	s_delay_alu instid0(VALU_DEP_1) | instskip(SKIP_1) | instid1(VALU_DEP_2)
	v_subrev_nc_u32_e32 v16, 28, v7
	v_sub_nc_u32_e32 v7, 29, v7
	v_lshlrev_b64 v[16:17], v16, v[28:29]
	s_delay_alu instid0(VALU_DEP_1)
	v_and_b32_e32 v28, 7, v16
; %bb.472:                              ;   in Loop: Header=BB256_16 Depth=1
	s_or_b32 exec_lo, exec_lo, s25
	v_lshlrev_b32_e32 v16, 24, v6
	s_delay_alu instid0(VALU_DEP_2) | instskip(SKIP_1) | instid1(VALU_DEP_3)
	v_lshlrev_b32_e32 v17, 20, v28
	v_lshl_add_u32 v7, v7, 23, 0x3c000000
	v_and_b32_e32 v16, 0x80000000, v16
	s_delay_alu instid0(VALU_DEP_1) | instskip(NEXT) | instid1(VALU_DEP_1)
	v_or3_b32 v28, v17, v16, v7
	v_dual_mov_b32 v16, v28 :: v_dual_mov_b32 v17, v29
.LBB256_473:                            ;   in Loop: Header=BB256_16 Depth=1
	s_or_b32 exec_lo, exec_lo, s24
.LBB256_474:                            ;   in Loop: Header=BB256_16 Depth=1
	s_delay_alu instid0(SALU_CYCLE_1)
	s_or_b32 exec_lo, exec_lo, s23
.LBB256_475:                            ;   in Loop: Header=BB256_16 Depth=1
	s_delay_alu instid0(SALU_CYCLE_1) | instskip(SKIP_2) | instid1(VALU_DEP_1)
	s_or_b32 exec_lo, exec_lo, s2
	v_lshrrev_b16 v7, 8, v6
	s_mov_b32 s23, exec_lo
	v_cmpx_ne_u16_e32 0, v7
	s_cbranch_execz .LBB256_483
; %bb.476:                              ;   in Loop: Header=BB256_16 Depth=1
	v_dual_mov_b32 v8, s16 :: v_dual_mov_b32 v9, s17
	s_mov_b32 s24, exec_lo
	v_cmpx_ne_u16_e32 0x80, v7
	s_cbranch_execz .LBB256_482
; %bb.477:                              ;   in Loop: Header=BB256_16 Depth=1
	s_mov_b32 s2, s16
	v_and_b32_e32 v7, 0xffff, v7
	v_dual_mov_b32 v9, s3 :: v_dual_mov_b32 v8, s2
	s_mov_b32 s2, exec_lo
	s_delay_alu instid0(VALU_DEP_2) | instskip(NEXT) | instid1(VALU_DEP_1)
	v_and_b32_e32 v18, 0x7f, v7
	v_cmpx_ne_u32_e32 0x7f, v18
	s_cbranch_execz .LBB256_481
; %bb.478:                              ;   in Loop: Header=BB256_16 Depth=1
	v_and_b32_e32 v28, 7, v7
	v_lshrrev_b32_e32 v7, 3, v18
	s_mov_b32 s25, exec_lo
	v_cmpx_gt_u32_e32 8, v18
; %bb.479:                              ;   in Loop: Header=BB256_16 Depth=1
	s_delay_alu instid0(VALU_DEP_3) | instskip(NEXT) | instid1(VALU_DEP_1)
	v_clz_i32_u32_e32 v7, v28
	v_min_u32_e32 v7, 32, v7
	s_delay_alu instid0(VALU_DEP_1) | instskip(SKIP_1) | instid1(VALU_DEP_2)
	v_subrev_nc_u32_e32 v8, 28, v7
	v_sub_nc_u32_e32 v7, 29, v7
	v_lshlrev_b64 v[8:9], v8, v[28:29]
	s_delay_alu instid0(VALU_DEP_1)
	v_and_b32_e32 v28, 7, v8
; %bb.480:                              ;   in Loop: Header=BB256_16 Depth=1
	s_or_b32 exec_lo, exec_lo, s25
	v_lshlrev_b32_e32 v8, 16, v6
	s_delay_alu instid0(VALU_DEP_2) | instskip(SKIP_1) | instid1(VALU_DEP_3)
	v_lshlrev_b32_e32 v9, 20, v28
	v_lshl_add_u32 v7, v7, 23, 0x3c000000
	v_and_b32_e32 v8, 0x80000000, v8
	s_delay_alu instid0(VALU_DEP_1)
	v_or3_b32 v9, v9, v8, v7
	v_mov_b32_e32 v8, v29
.LBB256_481:                            ;   in Loop: Header=BB256_16 Depth=1
	s_or_b32 exec_lo, exec_lo, s2
.LBB256_482:                            ;   in Loop: Header=BB256_16 Depth=1
	s_delay_alu instid0(SALU_CYCLE_1)
	s_or_b32 exec_lo, exec_lo, s24
.LBB256_483:                            ;   in Loop: Header=BB256_16 Depth=1
	s_delay_alu instid0(SALU_CYCLE_1) | instskip(SKIP_4) | instid1(VALU_DEP_3)
	s_or_b32 exec_lo, exec_lo, s23
	v_lshrrev_b32_e32 v7, 16, v6
	v_mov_b32_e32 v33, 0
	v_mov_b32_e32 v34, 0
	s_mov_b32 s2, exec_lo
	v_and_b32_e32 v18, 0xff, v7
	s_delay_alu instid0(VALU_DEP_2) | instskip(NEXT) | instid1(VALU_DEP_2)
	v_dual_mov_b32 v36, v34 :: v_dual_mov_b32 v35, v33
	v_cmpx_ne_u16_e32 0, v18
	s_cbranch_execz .LBB256_491
; %bb.484:                              ;   in Loop: Header=BB256_16 Depth=1
	v_bfrev_b32_e32 v35, 1
	v_mov_b32_e32 v36, 0
	s_mov_b32 s23, exec_lo
	v_cmpx_ne_u16_e32 0x80, v18
	s_cbranch_execz .LBB256_490
; %bb.485:                              ;   in Loop: Header=BB256_16 Depth=1
	v_mov_b32_e32 v35, 0x7f800001
	v_bfe_u32 v19, v6, 16, 7
	v_mov_b32_e32 v36, 0
	s_mov_b32 s24, exec_lo
	s_delay_alu instid0(VALU_DEP_2)
	v_cmpx_ne_u32_e32 0x7f, v19
	s_cbranch_execz .LBB256_489
; %bb.486:                              ;   in Loop: Header=BB256_16 Depth=1
	v_and_b32_e32 v28, 7, v7
	v_lshrrev_b32_e32 v18, 3, v19
	s_mov_b32 s25, exec_lo
	v_cmpx_gt_u32_e32 8, v19
; %bb.487:                              ;   in Loop: Header=BB256_16 Depth=1
	s_delay_alu instid0(VALU_DEP_3) | instskip(NEXT) | instid1(VALU_DEP_1)
	v_clz_i32_u32_e32 v18, v28
	v_min_u32_e32 v18, 32, v18
	s_delay_alu instid0(VALU_DEP_1) | instskip(SKIP_1) | instid1(VALU_DEP_2)
	v_subrev_nc_u32_e32 v19, 28, v18
	v_sub_nc_u32_e32 v18, 29, v18
	v_lshlrev_b64 v[31:32], v19, v[28:29]
	s_delay_alu instid0(VALU_DEP_1)
	v_and_b32_e32 v28, 7, v31
; %bb.488:                              ;   in Loop: Header=BB256_16 Depth=1
	s_or_b32 exec_lo, exec_lo, s25
	v_lshlrev_b32_e32 v7, 24, v7
	s_delay_alu instid0(VALU_DEP_2) | instskip(SKIP_1) | instid1(VALU_DEP_3)
	v_lshlrev_b32_e32 v19, 20, v28
	v_lshl_add_u32 v18, v18, 23, 0x3c000000
	v_and_b32_e32 v7, 0x80000000, v7
	s_delay_alu instid0(VALU_DEP_1) | instskip(NEXT) | instid1(VALU_DEP_1)
	v_or3_b32 v28, v19, v7, v18
	v_dual_mov_b32 v36, v29 :: v_dual_mov_b32 v35, v28
.LBB256_489:                            ;   in Loop: Header=BB256_16 Depth=1
	s_or_b32 exec_lo, exec_lo, s24
.LBB256_490:                            ;   in Loop: Header=BB256_16 Depth=1
	s_delay_alu instid0(SALU_CYCLE_1)
	s_or_b32 exec_lo, exec_lo, s23
.LBB256_491:                            ;   in Loop: Header=BB256_16 Depth=1
	s_delay_alu instid0(SALU_CYCLE_1) | instskip(NEXT) | instid1(SALU_CYCLE_1)
	s_or_b32 exec_lo, exec_lo, s2
	s_mov_b32 s23, exec_lo
	v_cmpx_lt_u32_e32 0xffffff, v6
	s_cbranch_execz .LBB256_499
; %bb.492:                              ;   in Loop: Header=BB256_16 Depth=1
	v_lshrrev_b32_e32 v7, 24, v6
	v_dual_mov_b32 v34, s17 :: v_dual_mov_b32 v33, s16
	s_mov_b32 s24, exec_lo
	s_delay_alu instid0(VALU_DEP_2)
	v_cmpx_ne_u32_e32 0x80, v7
	s_cbranch_execz .LBB256_498
; %bb.493:                              ;   in Loop: Header=BB256_16 Depth=1
	s_mov_b32 s2, s16
	v_bfe_u32 v18, v6, 24, 7
	v_dual_mov_b32 v34, s3 :: v_dual_mov_b32 v33, s2
	s_mov_b32 s2, exec_lo
	s_delay_alu instid0(VALU_DEP_2)
	v_cmpx_ne_u32_e32 0x7f, v18
	s_cbranch_execz .LBB256_497
; %bb.494:                              ;   in Loop: Header=BB256_16 Depth=1
	v_and_b32_e32 v28, 7, v7
	v_lshrrev_b32_e32 v6, 3, v18
	s_mov_b32 s25, exec_lo
	v_cmpx_gt_u32_e32 8, v18
; %bb.495:                              ;   in Loop: Header=BB256_16 Depth=1
	s_delay_alu instid0(VALU_DEP_3) | instskip(NEXT) | instid1(VALU_DEP_1)
	v_clz_i32_u32_e32 v6, v28
	v_min_u32_e32 v6, 32, v6
	s_delay_alu instid0(VALU_DEP_1) | instskip(SKIP_1) | instid1(VALU_DEP_2)
	v_subrev_nc_u32_e32 v18, 28, v6
	v_sub_nc_u32_e32 v6, 29, v6
	v_lshlrev_b64 v[18:19], v18, v[28:29]
	s_delay_alu instid0(VALU_DEP_1)
	v_and_b32_e32 v28, 7, v18
; %bb.496:                              ;   in Loop: Header=BB256_16 Depth=1
	s_or_b32 exec_lo, exec_lo, s25
	v_lshlrev_b32_e32 v7, 24, v7
	s_delay_alu instid0(VALU_DEP_2) | instskip(SKIP_1) | instid1(VALU_DEP_3)
	v_dual_mov_b32 v33, v29 :: v_dual_lshlrev_b32 v18, 20, v28
	v_lshl_add_u32 v6, v6, 23, 0x3c000000
	v_and_b32_e32 v7, 0x80000000, v7
	s_delay_alu instid0(VALU_DEP_1)
	v_or3_b32 v34, v18, v7, v6
.LBB256_497:                            ;   in Loop: Header=BB256_16 Depth=1
	s_or_b32 exec_lo, exec_lo, s2
.LBB256_498:                            ;   in Loop: Header=BB256_16 Depth=1
	s_delay_alu instid0(SALU_CYCLE_1)
	s_or_b32 exec_lo, exec_lo, s24
.LBB256_499:                            ;   in Loop: Header=BB256_16 Depth=1
	s_delay_alu instid0(SALU_CYCLE_1) | instskip(SKIP_3) | instid1(VALU_DEP_2)
	s_or_b32 exec_lo, exec_lo, s23
	flat_load_b32 v24, v[39:40] offset:1548
	v_mov_b32_e32 v39, 0
	v_mov_b32_e32 v40, 0
	;; [unrolled: 1-line block ×3, first 2 shown]
	s_mov_b32 s2, exec_lo
	s_waitcnt vmcnt(0) lgkmcnt(0)
	s_delay_alu instid0(VALU_DEP_2) | instskip(NEXT) | instid1(VALU_DEP_1)
	v_dual_mov_b32 v7, v40 :: v_dual_and_b32 v18, 0xff, v24
	v_cmpx_ne_u16_e32 0, v18
	s_cbranch_execz .LBB256_507
; %bb.500:                              ;   in Loop: Header=BB256_16 Depth=1
	v_bfrev_b32_e32 v6, 1
	v_mov_b32_e32 v7, 0
	s_mov_b32 s23, exec_lo
	v_cmpx_ne_u16_e32 0x80, v18
	s_cbranch_execz .LBB256_506
; %bb.501:                              ;   in Loop: Header=BB256_16 Depth=1
	v_mov_b32_e32 v6, 0x7f800001
	v_dual_mov_b32 v7, 0 :: v_dual_and_b32 v18, 0x7f, v24
	s_mov_b32 s24, exec_lo
	s_delay_alu instid0(VALU_DEP_1)
	v_cmpx_ne_u32_e32 0x7f, v18
	s_cbranch_execz .LBB256_505
; %bb.502:                              ;   in Loop: Header=BB256_16 Depth=1
	v_and_b32_e32 v28, 7, v24
	v_lshrrev_b32_e32 v6, 3, v18
	s_mov_b32 s25, exec_lo
	v_cmpx_gt_u32_e32 8, v18
; %bb.503:                              ;   in Loop: Header=BB256_16 Depth=1
	s_delay_alu instid0(VALU_DEP_3) | instskip(NEXT) | instid1(VALU_DEP_1)
	v_clz_i32_u32_e32 v6, v28
	v_min_u32_e32 v6, 32, v6
	s_delay_alu instid0(VALU_DEP_1) | instskip(SKIP_1) | instid1(VALU_DEP_2)
	v_subrev_nc_u32_e32 v7, 28, v6
	v_sub_nc_u32_e32 v6, 29, v6
	v_lshlrev_b64 v[18:19], v7, v[28:29]
	s_delay_alu instid0(VALU_DEP_1)
	v_and_b32_e32 v28, 7, v18
; %bb.504:                              ;   in Loop: Header=BB256_16 Depth=1
	s_or_b32 exec_lo, exec_lo, s25
	v_lshlrev_b32_e32 v7, 24, v24
	s_delay_alu instid0(VALU_DEP_2) | instskip(SKIP_1) | instid1(VALU_DEP_3)
	v_lshlrev_b32_e32 v18, 20, v28
	v_lshl_add_u32 v6, v6, 23, 0x3c000000
	v_and_b32_e32 v7, 0x80000000, v7
	s_delay_alu instid0(VALU_DEP_1) | instskip(NEXT) | instid1(VALU_DEP_1)
	v_or3_b32 v28, v18, v7, v6
	v_dual_mov_b32 v6, v28 :: v_dual_mov_b32 v7, v29
.LBB256_505:                            ;   in Loop: Header=BB256_16 Depth=1
	s_or_b32 exec_lo, exec_lo, s24
.LBB256_506:                            ;   in Loop: Header=BB256_16 Depth=1
	s_delay_alu instid0(SALU_CYCLE_1)
	s_or_b32 exec_lo, exec_lo, s23
.LBB256_507:                            ;   in Loop: Header=BB256_16 Depth=1
	s_delay_alu instid0(SALU_CYCLE_1) | instskip(SKIP_2) | instid1(VALU_DEP_1)
	s_or_b32 exec_lo, exec_lo, s2
	v_lshrrev_b16 v18, 8, v24
	s_mov_b32 s23, exec_lo
	v_cmpx_ne_u16_e32 0, v18
	s_cbranch_execz .LBB256_515
; %bb.508:                              ;   in Loop: Header=BB256_16 Depth=1
	v_dual_mov_b32 v40, s17 :: v_dual_mov_b32 v39, s16
	s_mov_b32 s24, exec_lo
	v_cmpx_ne_u16_e32 0x80, v18
	s_cbranch_execz .LBB256_514
; %bb.509:                              ;   in Loop: Header=BB256_16 Depth=1
	s_mov_b32 s2, s16
	v_and_b32_e32 v18, 0xffff, v18
	v_dual_mov_b32 v40, s3 :: v_dual_mov_b32 v39, s2
	s_mov_b32 s2, exec_lo
	s_delay_alu instid0(VALU_DEP_2) | instskip(NEXT) | instid1(VALU_DEP_1)
	v_and_b32_e32 v19, 0x7f, v18
	v_cmpx_ne_u32_e32 0x7f, v19
	s_cbranch_execz .LBB256_513
; %bb.510:                              ;   in Loop: Header=BB256_16 Depth=1
	v_and_b32_e32 v28, 7, v18
	v_lshrrev_b32_e32 v18, 3, v19
	s_mov_b32 s25, exec_lo
	v_cmpx_gt_u32_e32 8, v19
; %bb.511:                              ;   in Loop: Header=BB256_16 Depth=1
	s_delay_alu instid0(VALU_DEP_3) | instskip(NEXT) | instid1(VALU_DEP_1)
	v_clz_i32_u32_e32 v18, v28
	v_min_u32_e32 v18, 32, v18
	s_delay_alu instid0(VALU_DEP_1) | instskip(SKIP_1) | instid1(VALU_DEP_2)
	v_subrev_nc_u32_e32 v19, 28, v18
	v_sub_nc_u32_e32 v18, 29, v18
	v_lshlrev_b64 v[31:32], v19, v[28:29]
	s_delay_alu instid0(VALU_DEP_1)
	v_and_b32_e32 v28, 7, v31
; %bb.512:                              ;   in Loop: Header=BB256_16 Depth=1
	s_or_b32 exec_lo, exec_lo, s25
	v_lshlrev_b32_e32 v19, 16, v24
	s_delay_alu instid0(VALU_DEP_2) | instskip(SKIP_1) | instid1(VALU_DEP_3)
	v_dual_mov_b32 v39, v29 :: v_dual_lshlrev_b32 v28, 20, v28
	v_lshl_add_u32 v18, v18, 23, 0x3c000000
	v_and_b32_e32 v19, 0x80000000, v19
	s_delay_alu instid0(VALU_DEP_1)
	v_or3_b32 v40, v28, v19, v18
.LBB256_513:                            ;   in Loop: Header=BB256_16 Depth=1
	s_or_b32 exec_lo, exec_lo, s2
.LBB256_514:                            ;   in Loop: Header=BB256_16 Depth=1
	s_delay_alu instid0(SALU_CYCLE_1)
	s_or_b32 exec_lo, exec_lo, s24
.LBB256_515:                            ;   in Loop: Header=BB256_16 Depth=1
	s_delay_alu instid0(SALU_CYCLE_1) | instskip(SKIP_4) | instid1(VALU_DEP_2)
	s_or_b32 exec_lo, exec_lo, s23
	v_mov_b32_e32 v18, 0
	v_lshrrev_b32_e32 v47, 16, v24
	v_mov_b32_e32 v19, 0
	s_mov_b32 s2, exec_lo
	v_and_b32_e32 v28, 0xff, v47
	s_delay_alu instid0(VALU_DEP_2) | instskip(NEXT) | instid1(VALU_DEP_2)
	v_dual_mov_b32 v32, v19 :: v_dual_mov_b32 v31, v18
	v_cmpx_ne_u16_e32 0, v28
	s_cbranch_execz .LBB256_523
; %bb.516:                              ;   in Loop: Header=BB256_16 Depth=1
	v_bfrev_b32_e32 v31, 1
	v_mov_b32_e32 v32, 0
	s_mov_b32 s23, exec_lo
	v_cmpx_ne_u16_e32 0x80, v28
	s_cbranch_execz .LBB256_522
; %bb.517:                              ;   in Loop: Header=BB256_16 Depth=1
	v_mov_b32_e32 v31, 0x7f800001
	v_bfe_u32 v37, v24, 16, 7
	v_mov_b32_e32 v32, 0
	s_mov_b32 s24, exec_lo
	s_delay_alu instid0(VALU_DEP_2)
	v_cmpx_ne_u32_e32 0x7f, v37
	s_cbranch_execz .LBB256_521
; %bb.518:                              ;   in Loop: Header=BB256_16 Depth=1
	v_and_b32_e32 v28, 7, v47
	v_lshrrev_b32_e32 v31, 3, v37
	s_mov_b32 s25, exec_lo
	v_cmpx_gt_u32_e32 8, v37
; %bb.519:                              ;   in Loop: Header=BB256_16 Depth=1
	s_delay_alu instid0(VALU_DEP_3) | instskip(NEXT) | instid1(VALU_DEP_1)
	v_clz_i32_u32_e32 v31, v28
	v_min_u32_e32 v31, 32, v31
	s_delay_alu instid0(VALU_DEP_1) | instskip(SKIP_1) | instid1(VALU_DEP_2)
	v_subrev_nc_u32_e32 v32, 28, v31
	v_sub_nc_u32_e32 v31, 29, v31
	v_lshlrev_b64 v[48:49], v32, v[28:29]
	s_delay_alu instid0(VALU_DEP_1)
	v_and_b32_e32 v28, 7, v48
; %bb.520:                              ;   in Loop: Header=BB256_16 Depth=1
	s_or_b32 exec_lo, exec_lo, s25
	v_lshlrev_b32_e32 v32, 24, v47
	s_delay_alu instid0(VALU_DEP_2) | instskip(SKIP_1) | instid1(VALU_DEP_3)
	v_lshlrev_b32_e32 v28, 20, v28
	v_lshl_add_u32 v31, v31, 23, 0x3c000000
	v_and_b32_e32 v32, 0x80000000, v32
	s_delay_alu instid0(VALU_DEP_1) | instskip(NEXT) | instid1(VALU_DEP_1)
	v_or3_b32 v28, v28, v32, v31
	v_dual_mov_b32 v32, v29 :: v_dual_mov_b32 v31, v28
.LBB256_521:                            ;   in Loop: Header=BB256_16 Depth=1
	s_or_b32 exec_lo, exec_lo, s24
.LBB256_522:                            ;   in Loop: Header=BB256_16 Depth=1
	s_delay_alu instid0(SALU_CYCLE_1)
	s_or_b32 exec_lo, exec_lo, s23
.LBB256_523:                            ;   in Loop: Header=BB256_16 Depth=1
	s_delay_alu instid0(SALU_CYCLE_1) | instskip(NEXT) | instid1(SALU_CYCLE_1)
	s_or_b32 exec_lo, exec_lo, s2
	s_mov_b32 s23, exec_lo
	v_cmpx_lt_u32_e32 0xffffff, v24
	s_cbranch_execz .LBB256_14
; %bb.524:                              ;   in Loop: Header=BB256_16 Depth=1
	v_lshrrev_b32_e32 v47, 24, v24
	v_dual_mov_b32 v19, s17 :: v_dual_mov_b32 v18, s16
	s_mov_b32 s24, exec_lo
	s_delay_alu instid0(VALU_DEP_2)
	v_cmpx_ne_u32_e32 0x80, v47
	s_cbranch_execz .LBB256_13
; %bb.525:                              ;   in Loop: Header=BB256_16 Depth=1
	s_mov_b32 s2, s16
	v_bfe_u32 v24, v24, 24, 7
	v_dual_mov_b32 v19, s3 :: v_dual_mov_b32 v18, s2
	s_mov_b32 s2, exec_lo
	s_delay_alu instid0(VALU_DEP_2)
	v_cmpx_ne_u32_e32 0x7f, v24
	s_cbranch_execz .LBB256_12
; %bb.526:                              ;   in Loop: Header=BB256_16 Depth=1
	v_and_b32_e32 v28, 7, v47
	v_lshrrev_b32_e32 v18, 3, v24
	s_mov_b32 s25, exec_lo
	v_cmpx_gt_u32_e32 8, v24
	s_cbranch_execz .LBB256_11
; %bb.527:                              ;   in Loop: Header=BB256_16 Depth=1
	v_clz_i32_u32_e32 v18, v28
	s_delay_alu instid0(VALU_DEP_1) | instskip(NEXT) | instid1(VALU_DEP_1)
	v_min_u32_e32 v18, 32, v18
	v_subrev_nc_u32_e32 v19, 28, v18
	v_sub_nc_u32_e32 v18, 29, v18
	s_delay_alu instid0(VALU_DEP_2) | instskip(NEXT) | instid1(VALU_DEP_1)
	v_lshlrev_b64 v[48:49], v19, v[28:29]
	v_and_b32_e32 v28, 7, v48
	s_branch .LBB256_11
.LBB256_528:
	s_or_b32 exec_lo, exec_lo, s21
	scratch_load_b32 v37, off, s32 offset:488 ; 4-byte Folded Reload
	s_waitcnt lgkmcnt(0)
	s_clause 0x11
	scratch_load_b32 v53, off, s32 offset:492
	scratch_load_b32 v54, off, s32 offset:496
	scratch_load_b32 v55, off, s32 offset:500
	scratch_load_b32 v15, off, s32 offset:504
	scratch_load_b32 v14, off, s32 offset:508
	scratch_load_b32 v30, off, s32 offset:512
	scratch_load_b32 v24, off, s32 offset:516
	scratch_load_b32 v64, off, s32 offset:520
	scratch_load_b32 v25, off, s32 offset:524
	scratch_load_b32 v26, off, s32 offset:528
	scratch_load_b32 v27, off, s32 offset:532
	scratch_load_b32 v32, off, s32 offset:536
	scratch_load_b64 v[11:12], off, s32 offset:540
	scratch_load_b32 v13, off, s32 offset:548
	scratch_load_b32 v16, off, s32 offset:552
	;; [unrolled: 1-line block ×5, first 2 shown]
.LBB256_529:
	s_or_b32 exec_lo, exec_lo, s20
	v_mbcnt_lo_u32_b32 v0, -1, 0
	s_waitcnt lgkmcnt(0)
	s_lshr_b32 s8, s19, 16
	v_max_f32_e32 v4, v19, v19
	s_delay_alu instid0(VALU_DEP_2) | instskip(SKIP_2) | instid1(VALU_DEP_3)
	v_xor_b32_e32 v1, 16, v0
	v_xor_b32_e32 v3, 8, v0
	;; [unrolled: 1-line block ×3, first 2 shown]
	v_cmp_gt_i32_e32 vcc_lo, 32, v1
	v_cndmask_b32_e32 v1, v0, v1, vcc_lo
	s_delay_alu instid0(VALU_DEP_4) | instskip(NEXT) | instid1(VALU_DEP_2)
	v_cmp_gt_i32_e32 vcc_lo, 32, v3
	v_dual_cndmask_b32 v3, v0, v3 :: v_dual_lshlrev_b32 v2, 2, v1
	v_cmp_gt_i32_e32 vcc_lo, 32, v5
	ds_bpermute_b32 v1, v2, v19
	v_lshlrev_b32_e32 v3, 2, v3
	v_cndmask_b32_e32 v5, v0, v5, vcc_lo
	s_waitcnt lgkmcnt(0)
	v_max_f32_e32 v1, v1, v1
	s_delay_alu instid0(VALU_DEP_1)
	v_max_f32_e32 v1, v4, v1
	ds_bpermute_b32 v4, v3, v1
	s_waitcnt lgkmcnt(0)
	v_max_f32_e32 v4, v4, v4
	v_lshlrev_b32_e32 v20, 2, v5
	v_xor_b32_e32 v5, 2, v0
	s_delay_alu instid0(VALU_DEP_3) | instskip(NEXT) | instid1(VALU_DEP_2)
	v_max_f32_e32 v1, v1, v4
	v_cmp_gt_i32_e32 vcc_lo, 32, v5
	ds_bpermute_b32 v4, v20, v1
	v_cndmask_b32_e32 v5, v0, v5, vcc_lo
	s_waitcnt lgkmcnt(0)
	v_max_f32_e32 v4, v4, v4
	s_delay_alu instid0(VALU_DEP_2) | instskip(SKIP_1) | instid1(VALU_DEP_3)
	v_lshlrev_b32_e32 v22, 2, v5
	v_xor_b32_e32 v5, 1, v0
	v_max_f32_e32 v1, v1, v4
	s_delay_alu instid0(VALU_DEP_2) | instskip(SKIP_3) | instid1(VALU_DEP_1)
	v_cmp_gt_i32_e32 vcc_lo, 32, v5
	ds_bpermute_b32 v4, v22, v1
	v_cndmask_b32_e32 v5, v0, v5, vcc_lo
	s_waitcnt lgkmcnt(0)
	v_dual_max_f32 v4, v4, v4 :: v_dual_lshlrev_b32 v21, 2, v5
	s_delay_alu instid0(VALU_DEP_1)
	v_max_f32_e32 v0, v1, v4
	scratch_load_b32 v4, off, s32 offset:368 ; 4-byte Folded Reload
	ds_bpermute_b32 v1, v21, v0
	s_waitcnt vmcnt(0)
	v_cmp_eq_u32_e32 vcc_lo, 0, v4
	v_lshlrev_b32_e32 v4, 2, v55
	s_and_saveexec_b32 s1, vcc_lo
	s_cbranch_execz .LBB256_531
; %bb.530:
	s_waitcnt lgkmcnt(0)
	v_dual_max_f32 v1, v1, v1 :: v_dual_max_f32 v0, v0, v0
	s_delay_alu instid0(VALU_DEP_1)
	v_max_f32_e32 v0, v0, v1
	ds_store_b32 v4, v0 offset:256
.LBB256_531:
	s_or_b32 exec_lo, exec_lo, s1
	scratch_load_b32 v0, off, s32 offset:368 ; 4-byte Folded Reload
	s_waitcnt vmcnt(0) lgkmcnt(0)
	s_waitcnt_vscnt null, 0x0
	s_barrier
	buffer_gl0_inv
	v_cmp_gt_u32_e64 s1, 4, v0
	v_mov_b32_e32 v0, 0xff7fffff
	s_delay_alu instid0(VALU_DEP_2)
	s_and_saveexec_b32 s2, s1
	s_cbranch_execz .LBB256_533
; %bb.532:
	ds_load_b32 v0, v10 offset:256
.LBB256_533:
	s_or_b32 exec_lo, exec_lo, s2
	scratch_load_b32 v5, off, s32 offset:344 ; 4-byte Folded Reload
	s_waitcnt lgkmcnt(0)
	ds_bpermute_b32 v1, v22, v0
	s_waitcnt lgkmcnt(0)
	v_dual_max_f32 v0, v0, v0 :: v_dual_max_f32 v1, v1, v1
	s_delay_alu instid0(VALU_DEP_1)
	v_max_f32_e32 v0, v0, v1
	s_waitcnt vmcnt(0)
	v_subrev_nc_u32_e32 v6, s13, v5
	v_mov_b32_e32 v5, 0
	ds_bpermute_b32 v1, v21, v0
	s_waitcnt lgkmcnt(0)
	v_max_f32_e32 v1, v1, v1
	s_delay_alu instid0(VALU_DEP_1) | instskip(SKIP_3) | instid1(VALU_DEP_1)
	v_max_f32_e32 v0, v0, v1
	v_lshl_add_u32 v1, v6, 5, s15
	ds_bpermute_b32 v0, v5, v0
	v_min_i32_e32 v1, v1, v38
	v_subrev_nc_u32_e32 v1, s15, v1
	s_delay_alu instid0(VALU_DEP_1) | instskip(NEXT) | instid1(VALU_DEP_1)
	v_cmp_lt_i32_e64 s2, v54, v1
	s_and_saveexec_b32 s9, s2
	s_cbranch_execz .LBB256_537
; %bb.534:
	s_getpc_b64 s[16:17]
	s_add_u32 s16, s16, llvm.amdgcn.dynlds.offset.table@rel32@lo+4
	s_addc_u32 s17, s17, llvm.amdgcn.dynlds.offset.table@rel32@hi+12
	s_ashr_i32 s7, s6, 31
	v_mov_b32_e32 v5, 0
	s_lshl_b64 s[20:21], s[6:7], 2
	v_mov_b32_e32 v7, v54
	s_add_u32 s16, s20, s16
	s_addc_u32 s17, s21, s17
	s_mov_b32 s7, 0
	s_load_b32 s3, s[16:17], 0x0
	s_waitcnt lgkmcnt(0)
	v_lshl_add_u32 v6, v54, 2, s3
	.p2align	6
.LBB256_535:                            ; =>This Inner Loop Header: Depth=1
	ds_load_b32 v8, v6
	v_add_nc_u32_e32 v7, 0x80, v7
	s_delay_alu instid0(VALU_DEP_1) | instskip(NEXT) | instid1(VALU_DEP_1)
	v_cmp_ge_i32_e64 s3, v7, v1
	s_or_b32 s7, s3, s7
	s_waitcnt lgkmcnt(0)
	v_sub_f32_e32 v8, v8, v0
	s_delay_alu instid0(VALU_DEP_1) | instskip(NEXT) | instid1(VALU_DEP_1)
	v_mul_f32_e32 v8, 0x3fb8aa3b, v8
	v_exp_f32_e32 v8, v8
	ds_store_b32 v6, v8
	v_dual_add_f32 v5, v5, v8 :: v_dual_add_nc_u32 v6, 0x200, v6
	s_and_not1_b32 exec_lo, exec_lo, s7
	s_cbranch_execnz .LBB256_535
; %bb.536:
	s_or_b32 exec_lo, exec_lo, s7
.LBB256_537:
	s_delay_alu instid0(SALU_CYCLE_1)
	s_or_b32 exec_lo, exec_lo, s9
	ds_bpermute_b32 v2, v2, v5
	s_waitcnt lgkmcnt(0)
	v_add_f32_e32 v2, v5, v2
	ds_bpermute_b32 v3, v3, v2
	s_waitcnt lgkmcnt(0)
	v_add_f32_e32 v2, v2, v3
	;; [unrolled: 3-line block ×5, first 2 shown]
	s_and_saveexec_b32 s3, vcc_lo
	s_cbranch_execz .LBB256_539
; %bb.538:
	ds_store_b32 v4, v2 offset:272
.LBB256_539:
	s_or_b32 exec_lo, exec_lo, s3
	s_waitcnt lgkmcnt(0)
	s_barrier
	buffer_gl0_inv
	s_and_saveexec_b32 s3, s1
	s_cbranch_execz .LBB256_541
; %bb.540:
	ds_load_b32 v2, v10 offset:272
.LBB256_541:
	s_or_b32 exec_lo, exec_lo, s3
	s_waitcnt lgkmcnt(0)
	ds_bpermute_b32 v3, v22, v2
	s_waitcnt lgkmcnt(0)
	v_add_f32_e32 v2, v2, v3
	ds_bpermute_b32 v3, v21, v2
	s_waitcnt lgkmcnt(0)
	v_dual_add_f32 v2, v2, v3 :: v_dual_mov_b32 v3, 0
	ds_bpermute_b32 v2, v3, v2
	s_and_saveexec_b32 s1, s2
	s_cbranch_execz .LBB256_544
; %bb.542:
	s_waitcnt lgkmcnt(0)
	v_add_f32_e32 v4, 0x358637bd, v2
	s_getpc_b64 s[2:3]
	s_add_u32 s2, s2, llvm.amdgcn.dynlds.offset.table@rel32@lo+4
	s_addc_u32 s3, s3, llvm.amdgcn.dynlds.offset.table@rel32@hi+12
	s_ashr_i32 s7, s6, 31
	s_delay_alu instid0(SALU_CYCLE_1) | instskip(SKIP_4) | instid1(VALU_DEP_1)
	s_lshl_b64 s[16:17], s[6:7], 2
	v_div_scale_f32 v3, null, v4, v4, 1.0
	s_add_u32 s2, s16, s2
	s_addc_u32 s3, s17, s3
	s_load_b32 s2, s[2:3], 0x0
	v_rcp_f32_e32 v5, v3
	s_waitcnt_depctr 0xfff
	v_fma_f32 v6, -v3, v5, 1.0
	s_delay_alu instid0(VALU_DEP_1) | instskip(SKIP_1) | instid1(VALU_DEP_1)
	v_fmac_f32_e32 v5, v6, v5
	v_div_scale_f32 v7, vcc_lo, 1.0, v4, 1.0
	v_mul_f32_e32 v6, v7, v5
	s_delay_alu instid0(VALU_DEP_1) | instskip(NEXT) | instid1(VALU_DEP_1)
	v_fma_f32 v8, -v3, v6, v7
	v_fmac_f32_e32 v6, v8, v5
	s_delay_alu instid0(VALU_DEP_1) | instskip(NEXT) | instid1(VALU_DEP_1)
	v_fma_f32 v3, -v3, v6, v7
	v_div_fmas_f32 v5, v3, v5, v6
	s_waitcnt lgkmcnt(0)
	v_lshl_add_u32 v3, v54, 2, s2
	s_mov_b32 s2, 0
	s_delay_alu instid0(VALU_DEP_2)
	v_div_fixup_f32 v4, v5, v4, 1.0
	v_mov_b32_e32 v5, v54
.LBB256_543:                            ; =>This Inner Loop Header: Depth=1
	ds_load_b32 v6, v3
	s_waitcnt lgkmcnt(0)
	v_dual_mul_f32 v6, v4, v6 :: v_dual_add_nc_u32 v5, 0x80, v5
	s_delay_alu instid0(VALU_DEP_1) | instskip(SKIP_3) | instid1(SALU_CYCLE_1)
	v_cmp_ge_i32_e32 vcc_lo, v5, v1
	ds_store_b32 v3, v6
	v_add_nc_u32_e32 v3, 0x200, v3
	s_or_b32 s2, vcc_lo, s2
	s_and_not1_b32 exec_lo, exec_lo, s2
	s_cbranch_execnz .LBB256_543
.LBB256_544:
	s_or_b32 exec_lo, exec_lo, s1
	v_cmp_ne_u16_e64 s1, s8, 0
	s_waitcnt lgkmcnt(0)
	s_barrier
	buffer_gl0_inv
	s_cmp_lg_u32 s1, 0
	s_addc_u32 s1, s5, 0
	s_mov_b32 s5, exec_lo
	s_mul_i32 s2, s1, s10
	s_delay_alu instid0(SALU_CYCLE_1)
	s_mul_i32 s2, s2, s11
	v_cmpx_eq_u32_e32 0, v54
	s_cbranch_execz .LBB256_546
; %bb.545:
	s_mul_i32 s8, s1, s12
	s_ashr_i32 s15, s14, 31
	s_ashr_i32 s9, s8, 31
	;; [unrolled: 1-line block ×3, first 2 shown]
	s_lshl_b64 s[8:9], s[8:9], 2
	s_lshl_b64 s[10:11], s[14:15], 2
	;; [unrolled: 1-line block ×3, first 2 shown]
	s_add_u32 s3, s10, s8
	s_addc_u32 s7, s11, s9
	s_add_u32 s3, s3, s12
	s_addc_u32 s7, s7, s13
	v_add_co_u32 v3, vcc_lo, s3, v32
	v_add_co_ci_u32_e32 v4, vcc_lo, s7, v27, vcc_lo
	v_add_co_u32 v5, vcc_lo, s3, v26
	v_add_co_ci_u32_e32 v6, vcc_lo, s7, v25, vcc_lo
	flat_store_b32 v[3:4], v0
	flat_store_b32 v[5:6], v2
.LBB256_546:
	s_or_b32 exec_lo, exec_lo, s5
	s_ashr_i32 s7, s6, 31
	s_getpc_b64 s[8:9]
	s_add_u32 s8, s8, llvm.amdgcn.dynlds.offset.table@rel32@lo+4
	s_addc_u32 s9, s9, llvm.amdgcn.dynlds.offset.table@rel32@hi+12
	s_lshl_b64 s[6:7], s[6:7], 2
	v_dual_mov_b32 v51, 0 :: v_dual_mov_b32 v52, 0
	v_dual_mov_b32 v50, 0 :: v_dual_and_b32 v25, 7, v54
	v_dual_mov_b32 v49, 0 :: v_dual_mov_b32 v48, 0
	v_dual_mov_b32 v39, 0 :: v_dual_mov_b32 v36, 0
	;; [unrolled: 1-line block ×6, first 2 shown]
	v_mov_b32_e32 v27, 0
	s_add_u32 s6, s6, s8
	s_addc_u32 s7, s7, s9
	s_mov_b32 s8, 0
	s_and_saveexec_b32 s3, s0
	s_cbranch_execz .LBB256_1096
; %bb.547:
	v_dual_mov_b32 v45, v53 :: v_dual_mov_b32 v46, v54
	v_max_i32_e32 v53, v30, v17
	s_load_b32 s0, s[6:7], 0x0
	v_dual_mov_b32 v27, 0 :: v_dual_lshlrev_b32 v2, 2, v54
	v_add_co_u32 v3, vcc_lo, v64, v13
	s_delay_alu instid0(VALU_DEP_3) | instskip(SKIP_3) | instid1(VALU_DEP_4)
	v_cvt_f32_u32_e32 v0, v53
	v_sub_nc_u32_e32 v8, 0, v53
	v_add_co_ci_u32_e32 v4, vcc_lo, v24, v18, vcc_lo
	v_dual_mov_b32 v31, 0 :: v_dual_lshlrev_b32 v6, 4, v25
	v_rcp_iflag_f32_e32 v5, v0
	v_mov_b32_e32 v26, 0
	v_lshlrev_b64 v[0:1], 2, v[144:145]
	v_dual_mov_b32 v49, 0 :: v_dual_and_b32 v30, 28, v2
	v_dual_mov_b32 v51, 0 :: v_dual_and_b32 v2, 0x7c, v2
	v_lshl_or_b32 v6, v55, 7, v6
	s_delay_alu instid0(VALU_DEP_4) | instskip(NEXT) | instid1(TRANS32_DEP_1)
	v_add_co_u32 v0, vcc_lo, v11, v0
	v_mul_f32_e32 v5, 0x4f7ffffe, v5
	v_add_co_ci_u32_e32 v1, vcc_lo, v12, v1, vcc_lo
	v_dual_mov_b32 v44, v37 :: v_dual_mov_b32 v7, 0
	s_delay_alu instid0(VALU_DEP_3) | instskip(SKIP_2) | instid1(VALU_DEP_3)
	v_cvt_u32_f32_e32 v5, v5
	v_dual_mov_b32 v29, 0 :: v_dual_add_nc_u32 v54, -1, v16
	v_dual_mov_b32 v28, 0 :: v_dual_mov_b32 v33, 0
	v_mul_lo_u32 v8, v8, v5
	v_dual_mov_b32 v32, 0 :: v_dual_mov_b32 v35, 0
	v_dual_mov_b32 v34, 0 :: v_dual_mov_b32 v39, 0
	;; [unrolled: 1-line block ×3, first 2 shown]
	s_waitcnt lgkmcnt(0)
	v_dual_mov_b32 v48, 0 :: v_dual_add_nc_u32 v55, s0, v6
	v_mul_hi_u32 v12, v5, v8
	v_add_co_u32 v8, vcc_lo, v3, v2
	v_add_co_ci_u32_e32 v9, vcc_lo, 0, v4, vcc_lo
	v_add_co_u32 v10, vcc_lo, v14, v0
	v_add_co_ci_u32_e32 v11, vcc_lo, v15, v1, vcc_lo
	v_add_nc_u32_e32 v64, v5, v12
	v_mov_b32_e32 v50, 0
	v_mov_b32_e32 v52, 0
	s_brev_b32 s9, 1
	s_mov_b32 s11, 0x7f800001
	s_mov_b32 s5, s8
	s_branch .LBB256_550
.LBB256_548:                            ;   in Loop: Header=BB256_550 Depth=1
	s_or_b32 exec_lo, exec_lo, s0
	v_mul_f32_e32 v14, v1, v182
	v_mul_f32_e32 v13, v1, v40
	;; [unrolled: 1-line block ×3, first 2 shown]
	s_delay_alu instid0(VALU_DEP_3) | instskip(NEXT) | instid1(VALU_DEP_3)
	v_dual_mul_f32 v15, v1, v178 :: v_dual_fmac_f32 v14, v0, v181
	v_fmac_f32_e32 v13, v0, v183
	s_delay_alu instid0(VALU_DEP_3) | instskip(NEXT) | instid1(VALU_DEP_3)
	v_fmac_f32_e32 v16, v0, v165
	v_dual_mul_f32 v24, v1, v150 :: v_dual_fmac_f32 v15, v0, v177
	s_delay_alu instid0(VALU_DEP_4) | instskip(NEXT) | instid1(VALU_DEP_4)
	v_fmac_f32_e32 v14, v2, v180
	v_fmac_f32_e32 v13, v2, v19
	s_delay_alu instid0(VALU_DEP_3) | instskip(SKIP_1) | instid1(VALU_DEP_4)
	v_dual_mul_f32 v17, v1, v162 :: v_dual_fmac_f32 v24, v0, v149
	v_fmac_f32_e32 v16, v2, v164
	v_dual_fmac_f32 v15, v2, v176 :: v_dual_fmac_f32 v14, v3, v179
	s_delay_alu instid0(VALU_DEP_3) | instskip(SKIP_1) | instid1(VALU_DEP_4)
	v_fmac_f32_e32 v17, v0, v161
	v_fmac_f32_e32 v13, v3, v18
	;; [unrolled: 1-line block ×3, first 2 shown]
	s_delay_alu instid0(VALU_DEP_4) | instskip(NEXT) | instid1(VALU_DEP_4)
	v_dual_fmac_f32 v24, v2, v148 :: v_dual_fmac_f32 v15, v3, v167
	v_dual_add_f32 v28, v28, v14 :: v_dual_fmac_f32 v17, v2, v160
	s_delay_alu instid0(VALU_DEP_3) | instskip(SKIP_2) | instid1(VALU_DEP_4)
	v_dual_add_f32 v31, v31, v16 :: v_dual_mul_f32 v16, v1, v117
	v_mul_f32_e32 v14, v1, v133
	v_add_f32_e32 v27, v27, v13
	v_fmac_f32_e32 v17, v3, v151
	v_dual_fmac_f32 v24, v3, v147 :: v_dual_mul_f32 v13, v1, v146
	v_add_f32_e32 v29, v29, v15
	v_dual_mul_f32 v15, v1, v129 :: v_dual_fmac_f32 v14, v0, v132
	s_delay_alu instid0(VALU_DEP_4) | instskip(SKIP_1) | instid1(VALU_DEP_3)
	v_add_f32_e32 v32, v32, v17
	v_dual_mul_f32 v17, v1, v113 :: v_dual_fmac_f32 v16, v0, v116
	v_dual_add_f32 v33, v33, v24 :: v_dual_fmac_f32 v14, v2, v131
	v_fmac_f32_e32 v13, v0, v145
	s_delay_alu instid0(VALU_DEP_3) | instskip(NEXT) | instid1(VALU_DEP_3)
	v_dual_fmac_f32 v15, v0, v128 :: v_dual_fmac_f32 v16, v2, v115
	v_dual_fmac_f32 v17, v0, v112 :: v_dual_fmac_f32 v14, v3, v130
	s_delay_alu instid0(VALU_DEP_2) | instskip(NEXT) | instid1(VALU_DEP_2)
	v_dual_fmac_f32 v15, v2, v119 :: v_dual_fmac_f32 v16, v3, v114
	v_fmac_f32_e32 v17, v2, v103
	s_delay_alu instid0(VALU_DEP_2) | instskip(NEXT) | instid1(VALU_DEP_4)
	v_dual_add_f32 v39, v39, v16 :: v_dual_mul_f32 v16, v1, v69
	v_dual_add_f32 v35, v35, v14 :: v_dual_mul_f32 v14, v1, v97
	s_delay_alu instid0(VALU_DEP_3) | instskip(NEXT) | instid1(VALU_DEP_3)
	v_fmac_f32_e32 v17, v3, v102
	v_dual_fmac_f32 v15, v3, v118 :: v_dual_fmac_f32 v16, v0, v68
	s_delay_alu instid0(VALU_DEP_3) | instskip(NEXT) | instid1(VALU_DEP_3)
	v_dual_fmac_f32 v14, v0, v96 :: v_dual_fmac_f32 v13, v2, v135
	v_add_f32_e32 v48, v48, v17
	s_delay_alu instid0(VALU_DEP_3) | instskip(NEXT) | instid1(VALU_DEP_4)
	v_add_f32_e32 v36, v36, v15
	v_fmac_f32_e32 v16, v2, v67
	s_delay_alu instid0(VALU_DEP_4) | instskip(NEXT) | instid1(VALU_DEP_2)
	v_dual_fmac_f32 v14, v2, v87 :: v_dual_fmac_f32 v13, v3, v134
	v_dual_mul_f32 v15, v1, v85 :: v_dual_fmac_f32 v16, v3, v66
	s_delay_alu instid0(VALU_DEP_2) | instskip(NEXT) | instid1(VALU_DEP_3)
	v_fmac_f32_e32 v14, v3, v86
	v_add_f32_e32 v34, v34, v13
	v_mul_f32_e32 v13, v1, v101
	v_mul_f32_e32 v1, v1, v12
	s_delay_alu instid0(VALU_DEP_4) | instskip(NEXT) | instid1(VALU_DEP_3)
	v_dual_add_f32 v51, v51, v16 :: v_dual_add_f32 v50, v50, v14
	v_fmac_f32_e32 v13, v0, v100
	s_delay_alu instid0(VALU_DEP_3) | instskip(NEXT) | instid1(VALU_DEP_2)
	v_fmac_f32_e32 v1, v0, v6
	v_fmac_f32_e32 v13, v2, v99
	s_delay_alu instid0(VALU_DEP_2) | instskip(NEXT) | instid1(VALU_DEP_2)
	v_fmac_f32_e32 v1, v2, v5
	v_fmac_f32_e32 v13, v3, v98
	s_delay_alu instid0(VALU_DEP_2) | instskip(SKIP_1) | instid1(VALU_DEP_3)
	v_fmac_f32_e32 v1, v3, v4
	v_fmac_f32_e32 v15, v0, v84
	v_add_f32_e32 v49, v49, v13
	s_delay_alu instid0(VALU_DEP_3) | instskip(NEXT) | instid1(VALU_DEP_3)
	v_add_f32_e32 v26, v26, v1
	v_fmac_f32_e32 v15, v2, v83
	s_delay_alu instid0(VALU_DEP_1) | instskip(NEXT) | instid1(VALU_DEP_1)
	v_fmac_f32_e32 v15, v3, v82
	v_add_f32_e32 v52, v52, v15
.LBB256_549:                            ;   in Loop: Header=BB256_550 Depth=1
	s_or_b32 exec_lo, exec_lo, s12
	scratch_load_b32 v0, off, s32 offset:344 ; 4-byte Folded Reload
	v_add_nc_u32_e32 v144, 4, v144
	v_add_co_u32 v10, s0, v10, 16
	s_delay_alu instid0(VALU_DEP_1)
	v_add_co_ci_u32_e64 v11, s0, 0, v11, s0
	v_add_nc_u32_e32 v23, 0x80, v23
	v_add_nc_u32_e32 v55, 0x200, v55
	s_waitcnt vmcnt(0)
	v_cmp_ge_i32_e32 vcc_lo, v144, v0
	s_or_b32 s5, vcc_lo, s5
	s_delay_alu instid0(SALU_CYCLE_1)
	s_and_not1_b32 exec_lo, exec_lo, s5
	s_cbranch_execz .LBB256_1095
.LBB256_550:                            ; =>This Inner Loop Header: Depth=1
	s_clause 0x2
	scratch_load_b32 v1, off, s32 offset:348
	scratch_load_b32 v5, off, s32 offset:340
	;; [unrolled: 1-line block ×3, first 2 shown]
	v_sub_nc_u32_e32 v0, 0, v23
	s_delay_alu instid0(VALU_DEP_1) | instskip(SKIP_1) | instid1(VALU_DEP_1)
	v_max_i32_e32 v0, v23, v0
	s_waitcnt vmcnt(2)
	v_mul_hi_u32 v1, v0, v1
	s_waitcnt vmcnt(0)
	s_delay_alu instid0(VALU_DEP_1) | instskip(NEXT) | instid1(VALU_DEP_1)
	v_mul_lo_u32 v2, v1, v4
	v_sub_nc_u32_e32 v0, v0, v2
	v_add_nc_u32_e32 v2, 1, v1
	s_delay_alu instid0(VALU_DEP_2) | instskip(SKIP_1) | instid1(VALU_DEP_2)
	v_sub_nc_u32_e32 v3, v0, v4
	v_cmp_ge_u32_e32 vcc_lo, v0, v4
	v_dual_cndmask_b32 v1, v1, v2 :: v_dual_cndmask_b32 v0, v0, v3
	v_ashrrev_i32_e32 v2, 31, v23
	s_delay_alu instid0(VALU_DEP_2) | instskip(NEXT) | instid1(VALU_DEP_3)
	v_add_nc_u32_e32 v3, 1, v1
	v_cmp_ge_u32_e32 vcc_lo, v0, v4
	s_delay_alu instid0(VALU_DEP_3) | instskip(NEXT) | instid1(VALU_DEP_3)
	v_xor_b32_e32 v2, v2, v5
	v_cndmask_b32_e32 v0, v1, v3, vcc_lo
	s_delay_alu instid0(VALU_DEP_1) | instskip(NEXT) | instid1(VALU_DEP_1)
	v_xor_b32_e32 v0, v0, v2
	v_sub_nc_u32_e32 v0, v0, v2
	scratch_load_b64 v[1:2], off, s32 offset:332 ; 8-byte Folded Reload
	s_waitcnt vmcnt(0)
	v_add_nc_u32_e32 v1, v0, v1
	s_delay_alu instid0(VALU_DEP_1) | instskip(NEXT) | instid1(VALU_DEP_1)
	v_sub_nc_u32_e32 v2, 0, v1
	v_max_i32_e32 v2, v1, v2
	s_delay_alu instid0(VALU_DEP_1) | instskip(NEXT) | instid1(VALU_DEP_1)
	v_mul_hi_u32 v3, v2, v64
	v_mul_lo_u32 v3, v3, v53
	s_delay_alu instid0(VALU_DEP_1) | instskip(NEXT) | instid1(VALU_DEP_1)
	v_sub_nc_u32_e32 v2, v2, v3
	v_sub_nc_u32_e32 v3, v2, v53
	v_cmp_ge_u32_e32 vcc_lo, v2, v53
	s_delay_alu instid0(VALU_DEP_2) | instskip(SKIP_1) | instid1(VALU_DEP_2)
	v_cndmask_b32_e32 v2, v2, v3, vcc_lo
	v_ashrrev_i32_e32 v1, 31, v1
	v_sub_nc_u32_e32 v3, v2, v53
	v_cmp_ge_u32_e32 vcc_lo, v2, v53
	s_delay_alu instid0(VALU_DEP_2) | instskip(NEXT) | instid1(VALU_DEP_1)
	v_cndmask_b32_e32 v2, v2, v3, vcc_lo
	v_xor_b32_e32 v2, v2, v1
	s_delay_alu instid0(VALU_DEP_1) | instskip(NEXT) | instid1(VALU_DEP_1)
	v_sub_nc_u32_e32 v1, v2, v1
	v_cmp_eq_u32_e32 vcc_lo, 0, v1
	scratch_load_b32 v1, off, s32 offset:352 ; 4-byte Folded Reload
	s_waitcnt vmcnt(0)
	v_cmp_gt_i32_e64 s0, v0, v1
	s_delay_alu instid0(VALU_DEP_1) | instskip(NEXT) | instid1(SALU_CYCLE_1)
	s_or_b32 s0, vcc_lo, s0
	s_and_saveexec_b32 s12, s0
	s_cbranch_execz .LBB256_549
; %bb.551:                              ;   in Loop: Header=BB256_550 Depth=1
	flat_load_b32 v0, v[10:11]
	scratch_load_b32 v1, off, s32 offset:356 ; 4-byte Folded Reload
	v_mov_b32_e32 v14, 0
	s_mov_b32 s0, exec_lo
	s_waitcnt vmcnt(0) lgkmcnt(0)
	v_mad_i64_i32 v[12:13], null, v0, v1, v[8:9]
	flat_load_b32 v24, v[12:13]
	scratch_load_b64 v[0:1], off, s32 offset:372 ; 8-byte Folded Reload
	s_waitcnt vmcnt(1) lgkmcnt(0)
	v_dual_mov_b32 v15, 0 :: v_dual_and_b32 v6, 0xff, v24
	s_waitcnt vmcnt(0)
	flat_load_b32 v65, v[0:1]
	ds_load_b128 v[0:3], v55
	v_dual_mov_b32 v4, v14 :: v_dual_mov_b32 v5, v15
	v_cmpx_ne_u16_e32 0, v6
	s_cbranch_execz .LBB256_559
; %bb.552:                              ;   in Loop: Header=BB256_550 Depth=1
	v_bfrev_b32_e32 v4, 1
	v_mov_b32_e32 v5, 0
	s_mov_b32 s10, exec_lo
	v_cmpx_ne_u16_e32 0x80, v6
	s_cbranch_execz .LBB256_558
; %bb.553:                              ;   in Loop: Header=BB256_550 Depth=1
	v_mov_b32_e32 v4, 0x7f800001
	v_dual_mov_b32 v5, 0 :: v_dual_and_b32 v16, 0x7f, v24
	s_mov_b32 s13, exec_lo
	s_delay_alu instid0(VALU_DEP_1)
	v_cmpx_ne_u32_e32 0x7f, v16
	s_cbranch_execz .LBB256_557
; %bb.554:                              ;   in Loop: Header=BB256_550 Depth=1
	v_and_b32_e32 v6, 7, v24
	v_lshrrev_b32_e32 v4, 3, v16
	s_mov_b32 s15, exec_lo
	v_cmpx_gt_u32_e32 8, v16
; %bb.555:                              ;   in Loop: Header=BB256_550 Depth=1
	s_delay_alu instid0(VALU_DEP_3) | instskip(NEXT) | instid1(VALU_DEP_1)
	v_clz_i32_u32_e32 v4, v6
	v_min_u32_e32 v4, 32, v4
	s_delay_alu instid0(VALU_DEP_1) | instskip(SKIP_1) | instid1(VALU_DEP_2)
	v_subrev_nc_u32_e32 v5, 28, v4
	v_sub_nc_u32_e32 v4, 29, v4
	v_lshlrev_b64 v[5:6], v5, v[6:7]
	s_delay_alu instid0(VALU_DEP_1)
	v_and_b32_e32 v6, 7, v5
; %bb.556:                              ;   in Loop: Header=BB256_550 Depth=1
	s_or_b32 exec_lo, exec_lo, s15
	v_lshlrev_b32_e32 v5, 24, v24
	s_delay_alu instid0(VALU_DEP_2) | instskip(SKIP_1) | instid1(VALU_DEP_3)
	v_lshlrev_b32_e32 v6, 20, v6
	v_lshl_add_u32 v4, v4, 23, 0x3c000000
	v_and_b32_e32 v5, 0x80000000, v5
	s_delay_alu instid0(VALU_DEP_1) | instskip(NEXT) | instid1(VALU_DEP_1)
	v_or3_b32 v6, v6, v5, v4
	v_dual_mov_b32 v4, v6 :: v_dual_mov_b32 v5, v7
.LBB256_557:                            ;   in Loop: Header=BB256_550 Depth=1
	s_or_b32 exec_lo, exec_lo, s13
.LBB256_558:                            ;   in Loop: Header=BB256_550 Depth=1
	s_delay_alu instid0(SALU_CYCLE_1)
	s_or_b32 exec_lo, exec_lo, s10
.LBB256_559:                            ;   in Loop: Header=BB256_550 Depth=1
	s_delay_alu instid0(SALU_CYCLE_1) | instskip(SKIP_2) | instid1(VALU_DEP_1)
	s_or_b32 exec_lo, exec_lo, s0
	v_lshrrev_b16 v6, 8, v24
	s_mov_b32 s0, exec_lo
	v_cmpx_ne_u16_e32 0, v6
	s_cbranch_execz .LBB256_567
; %bb.560:                              ;   in Loop: Header=BB256_550 Depth=1
	v_dual_mov_b32 v15, s9 :: v_dual_mov_b32 v14, s8
	s_mov_b32 s13, exec_lo
	v_cmpx_ne_u16_e32 0x80, v6
	s_cbranch_execz .LBB256_566
; %bb.561:                              ;   in Loop: Header=BB256_550 Depth=1
	s_mov_b32 s10, s8
	v_dual_mov_b32 v15, s11 :: v_dual_and_b32 v6, 0xffff, v6
	v_mov_b32_e32 v14, s10
	s_mov_b32 s10, exec_lo
	s_delay_alu instid0(VALU_DEP_2) | instskip(NEXT) | instid1(VALU_DEP_1)
	v_and_b32_e32 v16, 0x7f, v6
	v_cmpx_ne_u32_e32 0x7f, v16
	s_cbranch_execz .LBB256_565
; %bb.562:                              ;   in Loop: Header=BB256_550 Depth=1
	v_and_b32_e32 v6, 7, v6
	v_lshrrev_b32_e32 v14, 3, v16
	s_mov_b32 s15, exec_lo
	v_cmpx_gt_u32_e32 8, v16
; %bb.563:                              ;   in Loop: Header=BB256_550 Depth=1
	s_delay_alu instid0(VALU_DEP_3) | instskip(NEXT) | instid1(VALU_DEP_1)
	v_clz_i32_u32_e32 v14, v6
	v_min_u32_e32 v14, 32, v14
	s_delay_alu instid0(VALU_DEP_1) | instskip(SKIP_1) | instid1(VALU_DEP_2)
	v_subrev_nc_u32_e32 v15, 28, v14
	v_sub_nc_u32_e32 v14, 29, v14
	v_lshlrev_b64 v[15:16], v15, v[6:7]
	s_delay_alu instid0(VALU_DEP_1)
	v_and_b32_e32 v6, 7, v15
; %bb.564:                              ;   in Loop: Header=BB256_550 Depth=1
	s_or_b32 exec_lo, exec_lo, s15
	v_lshlrev_b32_e32 v15, 16, v24
	s_delay_alu instid0(VALU_DEP_2) | instskip(SKIP_1) | instid1(VALU_DEP_3)
	v_lshlrev_b32_e32 v6, 20, v6
	v_lshl_add_u32 v14, v14, 23, 0x3c000000
	v_and_b32_e32 v15, 0x80000000, v15
	s_delay_alu instid0(VALU_DEP_1)
	v_or3_b32 v15, v6, v15, v14
	v_mov_b32_e32 v14, v7
.LBB256_565:                            ;   in Loop: Header=BB256_550 Depth=1
	s_or_b32 exec_lo, exec_lo, s10
.LBB256_566:                            ;   in Loop: Header=BB256_550 Depth=1
	s_delay_alu instid0(SALU_CYCLE_1)
	s_or_b32 exec_lo, exec_lo, s13
.LBB256_567:                            ;   in Loop: Header=BB256_550 Depth=1
	s_delay_alu instid0(SALU_CYCLE_1) | instskip(SKIP_4) | instid1(VALU_DEP_2)
	s_or_b32 exec_lo, exec_lo, s0
	v_mov_b32_e32 v18, 0
	v_lshrrev_b32_e32 v66, 16, v24
	v_mov_b32_e32 v19, 0
	s_mov_b32 s0, exec_lo
	v_and_b32_e32 v6, 0xff, v66
	s_delay_alu instid0(VALU_DEP_2) | instskip(NEXT) | instid1(VALU_DEP_2)
	v_dual_mov_b32 v16, v18 :: v_dual_mov_b32 v17, v19
	v_cmpx_ne_u16_e32 0, v6
	s_cbranch_execz .LBB256_575
; %bb.568:                              ;   in Loop: Header=BB256_550 Depth=1
	v_bfrev_b32_e32 v16, 1
	v_mov_b32_e32 v17, 0
	s_mov_b32 s10, exec_lo
	v_cmpx_ne_u16_e32 0x80, v6
	s_cbranch_execz .LBB256_574
; %bb.569:                              ;   in Loop: Header=BB256_550 Depth=1
	v_mov_b32_e32 v16, 0x7f800001
	v_bfe_u32 v37, v24, 16, 7
	v_mov_b32_e32 v17, 0
	s_mov_b32 s13, exec_lo
	s_delay_alu instid0(VALU_DEP_2)
	v_cmpx_ne_u32_e32 0x7f, v37
	s_cbranch_execz .LBB256_573
; %bb.570:                              ;   in Loop: Header=BB256_550 Depth=1
	v_and_b32_e32 v6, 7, v66
	v_lshrrev_b32_e32 v16, 3, v37
	s_mov_b32 s15, exec_lo
	v_cmpx_gt_u32_e32 8, v37
; %bb.571:                              ;   in Loop: Header=BB256_550 Depth=1
	s_delay_alu instid0(VALU_DEP_3) | instskip(NEXT) | instid1(VALU_DEP_1)
	v_clz_i32_u32_e32 v16, v6
	v_min_u32_e32 v16, 32, v16
	s_delay_alu instid0(VALU_DEP_1) | instskip(SKIP_1) | instid1(VALU_DEP_2)
	v_subrev_nc_u32_e32 v17, 28, v16
	v_sub_nc_u32_e32 v16, 29, v16
	v_lshlrev_b64 v[67:68], v17, v[6:7]
	s_delay_alu instid0(VALU_DEP_1)
	v_and_b32_e32 v6, 7, v67
; %bb.572:                              ;   in Loop: Header=BB256_550 Depth=1
	s_or_b32 exec_lo, exec_lo, s15
	v_lshlrev_b32_e32 v17, 24, v66
	s_delay_alu instid0(VALU_DEP_2) | instskip(SKIP_1) | instid1(VALU_DEP_3)
	v_lshlrev_b32_e32 v6, 20, v6
	v_lshl_add_u32 v16, v16, 23, 0x3c000000
	v_and_b32_e32 v17, 0x80000000, v17
	s_delay_alu instid0(VALU_DEP_1) | instskip(NEXT) | instid1(VALU_DEP_1)
	v_or3_b32 v6, v6, v17, v16
	v_dual_mov_b32 v17, v7 :: v_dual_mov_b32 v16, v6
.LBB256_573:                            ;   in Loop: Header=BB256_550 Depth=1
	s_or_b32 exec_lo, exec_lo, s13
.LBB256_574:                            ;   in Loop: Header=BB256_550 Depth=1
	s_delay_alu instid0(SALU_CYCLE_1)
	s_or_b32 exec_lo, exec_lo, s10
.LBB256_575:                            ;   in Loop: Header=BB256_550 Depth=1
	s_delay_alu instid0(SALU_CYCLE_1) | instskip(NEXT) | instid1(SALU_CYCLE_1)
	s_or_b32 exec_lo, exec_lo, s0
	s_mov_b32 s0, exec_lo
	v_cmpx_lt_u32_e32 0xffffff, v24
	s_cbranch_execz .LBB256_583
; %bb.576:                              ;   in Loop: Header=BB256_550 Depth=1
	v_lshrrev_b32_e32 v66, 24, v24
	v_dual_mov_b32 v19, s9 :: v_dual_mov_b32 v18, s8
	s_mov_b32 s13, exec_lo
	s_delay_alu instid0(VALU_DEP_2)
	v_cmpx_ne_u32_e32 0x80, v66
	s_cbranch_execz .LBB256_582
; %bb.577:                              ;   in Loop: Header=BB256_550 Depth=1
	s_mov_b32 s10, s8
	v_bfe_u32 v24, v24, 24, 7
	v_dual_mov_b32 v19, s11 :: v_dual_mov_b32 v18, s10
	s_mov_b32 s10, exec_lo
	s_delay_alu instid0(VALU_DEP_2)
	v_cmpx_ne_u32_e32 0x7f, v24
	s_cbranch_execz .LBB256_581
; %bb.578:                              ;   in Loop: Header=BB256_550 Depth=1
	v_and_b32_e32 v6, 7, v66
	v_lshrrev_b32_e32 v18, 3, v24
	s_mov_b32 s15, exec_lo
	v_cmpx_gt_u32_e32 8, v24
; %bb.579:                              ;   in Loop: Header=BB256_550 Depth=1
	s_delay_alu instid0(VALU_DEP_3) | instskip(NEXT) | instid1(VALU_DEP_1)
	v_clz_i32_u32_e32 v18, v6
	v_min_u32_e32 v18, 32, v18
	s_delay_alu instid0(VALU_DEP_1) | instskip(SKIP_1) | instid1(VALU_DEP_2)
	v_subrev_nc_u32_e32 v19, 28, v18
	v_sub_nc_u32_e32 v18, 29, v18
	v_lshlrev_b64 v[67:68], v19, v[6:7]
	s_delay_alu instid0(VALU_DEP_1)
	v_and_b32_e32 v6, 7, v67
; %bb.580:                              ;   in Loop: Header=BB256_550 Depth=1
	s_or_b32 exec_lo, exec_lo, s15
	v_lshlrev_b32_e32 v19, 24, v66
	s_delay_alu instid0(VALU_DEP_2) | instskip(SKIP_1) | instid1(VALU_DEP_3)
	v_lshlrev_b32_e32 v6, 20, v6
	v_lshl_add_u32 v18, v18, 23, 0x3c000000
	v_and_b32_e32 v19, 0x80000000, v19
	s_delay_alu instid0(VALU_DEP_1)
	v_or3_b32 v19, v6, v19, v18
	v_mov_b32_e32 v18, v7
.LBB256_581:                            ;   in Loop: Header=BB256_550 Depth=1
	s_or_b32 exec_lo, exec_lo, s10
.LBB256_582:                            ;   in Loop: Header=BB256_550 Depth=1
	s_delay_alu instid0(SALU_CYCLE_1)
	s_or_b32 exec_lo, exec_lo, s13
.LBB256_583:                            ;   in Loop: Header=BB256_550 Depth=1
	s_delay_alu instid0(SALU_CYCLE_1)
	s_or_b32 exec_lo, exec_lo, s0
	v_or_b32_e32 v5, v15, v5
	v_add_nc_u32_e32 v70, v30, v23
	v_or_b32_e32 v4, v14, v4
	v_or_b32_e32 v6, v19, v17
	;; [unrolled: 1-line block ×3, first 2 shown]
	s_waitcnt vmcnt(0) lgkmcnt(1)
	v_mul_f32_e32 v69, v65, v5
	v_cmp_eq_u32_e32 vcc_lo, v54, v144
	v_dual_mul_f32 v68, v65, v4 :: v_dual_add_nc_u32 v81, 1, v70
	v_mul_f32_e32 v66, v65, v6
	v_mul_f32_e32 v67, v65, v14
	v_add_nc_u32_e32 v80, 2, v70
	v_add_nc_u32_e32 v71, 3, v70
	s_and_saveexec_b32 s10, vcc_lo
; %bb.584:                              ;   in Loop: Header=BB256_550 Depth=1
	v_cmp_lt_i32_e64 s0, v70, v38
	s_delay_alu instid0(VALU_DEP_1) | instskip(SKIP_1) | instid1(VALU_DEP_1)
	v_cndmask_b32_e64 v68, 0, v68, s0
	v_cmp_lt_i32_e64 s0, v81, v38
	v_cndmask_b32_e64 v69, 0, v69, s0
	v_cmp_lt_i32_e64 s0, v80, v38
	s_delay_alu instid0(VALU_DEP_1) | instskip(SKIP_1) | instid1(VALU_DEP_1)
	v_cndmask_b32_e64 v67, 0, v67, s0
	v_cmp_lt_i32_e64 s0, v71, v38
	v_cndmask_b32_e64 v66, 0, v66, s0
; %bb.585:                              ;   in Loop: Header=BB256_550 Depth=1
	s_or_b32 exec_lo, exec_lo, s10
	flat_load_b32 v24, v[12:13] offset:128
	v_mov_b32_e32 v14, 0
	v_mov_b32_e32 v15, 0
	s_mov_b32 s10, exec_lo
	s_waitcnt vmcnt(0) lgkmcnt(0)
	v_and_b32_e32 v6, 0xff, v24
	s_delay_alu instid0(VALU_DEP_2) | instskip(NEXT) | instid1(VALU_DEP_2)
	v_dual_mov_b32 v4, v14 :: v_dual_mov_b32 v5, v15
	v_cmpx_ne_u16_e32 0, v6
	s_cbranch_execz .LBB256_593
; %bb.586:                              ;   in Loop: Header=BB256_550 Depth=1
	v_bfrev_b32_e32 v4, 1
	v_mov_b32_e32 v5, 0
	s_mov_b32 s13, exec_lo
	v_cmpx_ne_u16_e32 0x80, v6
	s_cbranch_execz .LBB256_592
; %bb.587:                              ;   in Loop: Header=BB256_550 Depth=1
	v_mov_b32_e32 v4, 0x7f800001
	v_dual_mov_b32 v5, 0 :: v_dual_and_b32 v16, 0x7f, v24
	s_mov_b32 s15, exec_lo
	s_delay_alu instid0(VALU_DEP_1)
	v_cmpx_ne_u32_e32 0x7f, v16
	s_cbranch_execz .LBB256_591
; %bb.588:                              ;   in Loop: Header=BB256_550 Depth=1
	v_and_b32_e32 v6, 7, v24
	v_lshrrev_b32_e32 v4, 3, v16
	s_mov_b32 s16, exec_lo
	v_cmpx_gt_u32_e32 8, v16
; %bb.589:                              ;   in Loop: Header=BB256_550 Depth=1
	s_delay_alu instid0(VALU_DEP_3) | instskip(NEXT) | instid1(VALU_DEP_1)
	v_clz_i32_u32_e32 v4, v6
	v_min_u32_e32 v4, 32, v4
	s_delay_alu instid0(VALU_DEP_1) | instskip(SKIP_1) | instid1(VALU_DEP_2)
	v_subrev_nc_u32_e32 v5, 28, v4
	v_sub_nc_u32_e32 v4, 29, v4
	v_lshlrev_b64 v[5:6], v5, v[6:7]
	s_delay_alu instid0(VALU_DEP_1)
	v_and_b32_e32 v6, 7, v5
; %bb.590:                              ;   in Loop: Header=BB256_550 Depth=1
	s_or_b32 exec_lo, exec_lo, s16
	v_lshlrev_b32_e32 v5, 24, v24
	s_delay_alu instid0(VALU_DEP_2) | instskip(SKIP_1) | instid1(VALU_DEP_3)
	v_lshlrev_b32_e32 v6, 20, v6
	v_lshl_add_u32 v4, v4, 23, 0x3c000000
	v_and_b32_e32 v5, 0x80000000, v5
	s_delay_alu instid0(VALU_DEP_1) | instskip(NEXT) | instid1(VALU_DEP_1)
	v_or3_b32 v6, v6, v5, v4
	v_dual_mov_b32 v4, v6 :: v_dual_mov_b32 v5, v7
.LBB256_591:                            ;   in Loop: Header=BB256_550 Depth=1
	s_or_b32 exec_lo, exec_lo, s15
.LBB256_592:                            ;   in Loop: Header=BB256_550 Depth=1
	s_delay_alu instid0(SALU_CYCLE_1)
	s_or_b32 exec_lo, exec_lo, s13
.LBB256_593:                            ;   in Loop: Header=BB256_550 Depth=1
	s_delay_alu instid0(SALU_CYCLE_1) | instskip(SKIP_2) | instid1(VALU_DEP_1)
	s_or_b32 exec_lo, exec_lo, s10
	v_lshrrev_b16 v6, 8, v24
	s_mov_b32 s13, exec_lo
	v_cmpx_ne_u16_e32 0, v6
	s_cbranch_execz .LBB256_601
; %bb.594:                              ;   in Loop: Header=BB256_550 Depth=1
	v_dual_mov_b32 v15, s9 :: v_dual_mov_b32 v14, s8
	s_mov_b32 s15, exec_lo
	v_cmpx_ne_u16_e32 0x80, v6
	s_cbranch_execz .LBB256_600
; %bb.595:                              ;   in Loop: Header=BB256_550 Depth=1
	s_mov_b32 s10, s8
	v_dual_mov_b32 v15, s11 :: v_dual_and_b32 v6, 0xffff, v6
	v_mov_b32_e32 v14, s10
	s_mov_b32 s10, exec_lo
	s_delay_alu instid0(VALU_DEP_2) | instskip(NEXT) | instid1(VALU_DEP_1)
	v_and_b32_e32 v16, 0x7f, v6
	v_cmpx_ne_u32_e32 0x7f, v16
	s_cbranch_execz .LBB256_599
; %bb.596:                              ;   in Loop: Header=BB256_550 Depth=1
	v_and_b32_e32 v6, 7, v6
	v_lshrrev_b32_e32 v14, 3, v16
	s_mov_b32 s16, exec_lo
	v_cmpx_gt_u32_e32 8, v16
; %bb.597:                              ;   in Loop: Header=BB256_550 Depth=1
	s_delay_alu instid0(VALU_DEP_3) | instskip(NEXT) | instid1(VALU_DEP_1)
	v_clz_i32_u32_e32 v14, v6
	v_min_u32_e32 v14, 32, v14
	s_delay_alu instid0(VALU_DEP_1) | instskip(SKIP_1) | instid1(VALU_DEP_2)
	v_subrev_nc_u32_e32 v15, 28, v14
	v_sub_nc_u32_e32 v14, 29, v14
	v_lshlrev_b64 v[15:16], v15, v[6:7]
	s_delay_alu instid0(VALU_DEP_1)
	v_and_b32_e32 v6, 7, v15
; %bb.598:                              ;   in Loop: Header=BB256_550 Depth=1
	s_or_b32 exec_lo, exec_lo, s16
	v_lshlrev_b32_e32 v15, 16, v24
	s_delay_alu instid0(VALU_DEP_2) | instskip(SKIP_1) | instid1(VALU_DEP_3)
	v_lshlrev_b32_e32 v6, 20, v6
	v_lshl_add_u32 v14, v14, 23, 0x3c000000
	v_and_b32_e32 v15, 0x80000000, v15
	s_delay_alu instid0(VALU_DEP_1)
	v_or3_b32 v15, v6, v15, v14
	v_mov_b32_e32 v14, v7
.LBB256_599:                            ;   in Loop: Header=BB256_550 Depth=1
	s_or_b32 exec_lo, exec_lo, s10
.LBB256_600:                            ;   in Loop: Header=BB256_550 Depth=1
	s_delay_alu instid0(SALU_CYCLE_1)
	s_or_b32 exec_lo, exec_lo, s15
.LBB256_601:                            ;   in Loop: Header=BB256_550 Depth=1
	s_delay_alu instid0(SALU_CYCLE_1) | instskip(SKIP_4) | instid1(VALU_DEP_2)
	s_or_b32 exec_lo, exec_lo, s13
	v_mov_b32_e32 v18, 0
	v_lshrrev_b32_e32 v82, 16, v24
	v_mov_b32_e32 v19, 0
	s_mov_b32 s10, exec_lo
	v_and_b32_e32 v6, 0xff, v82
	s_delay_alu instid0(VALU_DEP_2) | instskip(NEXT) | instid1(VALU_DEP_2)
	v_dual_mov_b32 v16, v18 :: v_dual_mov_b32 v17, v19
	v_cmpx_ne_u16_e32 0, v6
	s_cbranch_execz .LBB256_609
; %bb.602:                              ;   in Loop: Header=BB256_550 Depth=1
	v_bfrev_b32_e32 v16, 1
	v_mov_b32_e32 v17, 0
	s_mov_b32 s13, exec_lo
	v_cmpx_ne_u16_e32 0x80, v6
	s_cbranch_execz .LBB256_608
; %bb.603:                              ;   in Loop: Header=BB256_550 Depth=1
	v_mov_b32_e32 v16, 0x7f800001
	v_bfe_u32 v37, v24, 16, 7
	v_mov_b32_e32 v17, 0
	s_mov_b32 s15, exec_lo
	s_delay_alu instid0(VALU_DEP_2)
	v_cmpx_ne_u32_e32 0x7f, v37
	s_cbranch_execz .LBB256_607
; %bb.604:                              ;   in Loop: Header=BB256_550 Depth=1
	v_and_b32_e32 v6, 7, v82
	v_lshrrev_b32_e32 v16, 3, v37
	s_mov_b32 s16, exec_lo
	v_cmpx_gt_u32_e32 8, v37
; %bb.605:                              ;   in Loop: Header=BB256_550 Depth=1
	s_delay_alu instid0(VALU_DEP_3) | instskip(NEXT) | instid1(VALU_DEP_1)
	v_clz_i32_u32_e32 v16, v6
	v_min_u32_e32 v16, 32, v16
	s_delay_alu instid0(VALU_DEP_1) | instskip(SKIP_1) | instid1(VALU_DEP_2)
	v_subrev_nc_u32_e32 v17, 28, v16
	v_sub_nc_u32_e32 v16, 29, v16
	v_lshlrev_b64 v[83:84], v17, v[6:7]
	s_delay_alu instid0(VALU_DEP_1)
	v_and_b32_e32 v6, 7, v83
; %bb.606:                              ;   in Loop: Header=BB256_550 Depth=1
	s_or_b32 exec_lo, exec_lo, s16
	v_lshlrev_b32_e32 v17, 24, v82
	s_delay_alu instid0(VALU_DEP_2) | instskip(SKIP_1) | instid1(VALU_DEP_3)
	v_lshlrev_b32_e32 v6, 20, v6
	v_lshl_add_u32 v16, v16, 23, 0x3c000000
	v_and_b32_e32 v17, 0x80000000, v17
	s_delay_alu instid0(VALU_DEP_1) | instskip(NEXT) | instid1(VALU_DEP_1)
	v_or3_b32 v6, v6, v17, v16
	v_dual_mov_b32 v17, v7 :: v_dual_mov_b32 v16, v6
.LBB256_607:                            ;   in Loop: Header=BB256_550 Depth=1
	s_or_b32 exec_lo, exec_lo, s15
.LBB256_608:                            ;   in Loop: Header=BB256_550 Depth=1
	s_delay_alu instid0(SALU_CYCLE_1)
	s_or_b32 exec_lo, exec_lo, s13
.LBB256_609:                            ;   in Loop: Header=BB256_550 Depth=1
	s_delay_alu instid0(SALU_CYCLE_1) | instskip(NEXT) | instid1(SALU_CYCLE_1)
	s_or_b32 exec_lo, exec_lo, s10
	s_mov_b32 s13, exec_lo
	v_cmpx_lt_u32_e32 0xffffff, v24
	s_cbranch_execz .LBB256_617
; %bb.610:                              ;   in Loop: Header=BB256_550 Depth=1
	v_lshrrev_b32_e32 v82, 24, v24
	v_dual_mov_b32 v19, s9 :: v_dual_mov_b32 v18, s8
	s_mov_b32 s15, exec_lo
	s_delay_alu instid0(VALU_DEP_2)
	v_cmpx_ne_u32_e32 0x80, v82
	s_cbranch_execz .LBB256_616
; %bb.611:                              ;   in Loop: Header=BB256_550 Depth=1
	s_mov_b32 s10, s8
	v_bfe_u32 v24, v24, 24, 7
	v_dual_mov_b32 v19, s11 :: v_dual_mov_b32 v18, s10
	s_mov_b32 s10, exec_lo
	s_delay_alu instid0(VALU_DEP_2)
	v_cmpx_ne_u32_e32 0x7f, v24
	s_cbranch_execz .LBB256_615
; %bb.612:                              ;   in Loop: Header=BB256_550 Depth=1
	v_and_b32_e32 v6, 7, v82
	v_lshrrev_b32_e32 v18, 3, v24
	s_mov_b32 s16, exec_lo
	v_cmpx_gt_u32_e32 8, v24
; %bb.613:                              ;   in Loop: Header=BB256_550 Depth=1
	s_delay_alu instid0(VALU_DEP_3) | instskip(NEXT) | instid1(VALU_DEP_1)
	v_clz_i32_u32_e32 v18, v6
	v_min_u32_e32 v18, 32, v18
	s_delay_alu instid0(VALU_DEP_1) | instskip(SKIP_1) | instid1(VALU_DEP_2)
	v_subrev_nc_u32_e32 v19, 28, v18
	v_sub_nc_u32_e32 v18, 29, v18
	v_lshlrev_b64 v[83:84], v19, v[6:7]
	s_delay_alu instid0(VALU_DEP_1)
	v_and_b32_e32 v6, 7, v83
; %bb.614:                              ;   in Loop: Header=BB256_550 Depth=1
	s_or_b32 exec_lo, exec_lo, s16
	v_lshlrev_b32_e32 v19, 24, v82
	s_delay_alu instid0(VALU_DEP_2) | instskip(SKIP_1) | instid1(VALU_DEP_3)
	v_lshlrev_b32_e32 v6, 20, v6
	v_lshl_add_u32 v18, v18, 23, 0x3c000000
	v_and_b32_e32 v19, 0x80000000, v19
	s_delay_alu instid0(VALU_DEP_1)
	v_or3_b32 v19, v6, v19, v18
	v_mov_b32_e32 v18, v7
.LBB256_615:                            ;   in Loop: Header=BB256_550 Depth=1
	s_or_b32 exec_lo, exec_lo, s10
.LBB256_616:                            ;   in Loop: Header=BB256_550 Depth=1
	s_delay_alu instid0(SALU_CYCLE_1)
	s_or_b32 exec_lo, exec_lo, s15
.LBB256_617:                            ;   in Loop: Header=BB256_550 Depth=1
	s_delay_alu instid0(SALU_CYCLE_1) | instskip(SKIP_4) | instid1(VALU_DEP_4)
	s_or_b32 exec_lo, exec_lo, s13
	v_or_b32_e32 v5, v15, v5
	v_or_b32_e32 v4, v14, v4
	;; [unrolled: 1-line block ×4, first 2 shown]
	v_mul_f32_e32 v85, v65, v5
	s_delay_alu instid0(VALU_DEP_4) | instskip(NEXT) | instid1(VALU_DEP_4)
	v_mul_f32_e32 v84, v65, v4
	v_mul_f32_e32 v82, v65, v6
	s_delay_alu instid0(VALU_DEP_4)
	v_mul_f32_e32 v83, v65, v14
	s_and_saveexec_b32 s10, vcc_lo
; %bb.618:                              ;   in Loop: Header=BB256_550 Depth=1
	v_cmp_lt_i32_e64 s0, v70, v38
	s_delay_alu instid0(VALU_DEP_1) | instskip(SKIP_1) | instid1(VALU_DEP_1)
	v_cndmask_b32_e64 v84, 0, v84, s0
	v_cmp_lt_i32_e64 s0, v81, v38
	v_cndmask_b32_e64 v85, 0, v85, s0
	v_cmp_lt_i32_e64 s0, v80, v38
	s_delay_alu instid0(VALU_DEP_1) | instskip(SKIP_1) | instid1(VALU_DEP_1)
	v_cndmask_b32_e64 v83, 0, v83, s0
	v_cmp_lt_i32_e64 s0, v71, v38
	v_cndmask_b32_e64 v82, 0, v82, s0
; %bb.619:                              ;   in Loop: Header=BB256_550 Depth=1
	s_or_b32 exec_lo, exec_lo, s10
	flat_load_b32 v24, v[12:13] offset:256
	v_mov_b32_e32 v14, 0
	v_mov_b32_e32 v15, 0
	s_mov_b32 s10, exec_lo
	s_waitcnt vmcnt(0) lgkmcnt(0)
	v_and_b32_e32 v6, 0xff, v24
	s_delay_alu instid0(VALU_DEP_2) | instskip(NEXT) | instid1(VALU_DEP_2)
	v_dual_mov_b32 v4, v14 :: v_dual_mov_b32 v5, v15
	v_cmpx_ne_u16_e32 0, v6
	s_cbranch_execz .LBB256_627
; %bb.620:                              ;   in Loop: Header=BB256_550 Depth=1
	v_bfrev_b32_e32 v4, 1
	v_mov_b32_e32 v5, 0
	s_mov_b32 s13, exec_lo
	v_cmpx_ne_u16_e32 0x80, v6
	s_cbranch_execz .LBB256_626
; %bb.621:                              ;   in Loop: Header=BB256_550 Depth=1
	v_mov_b32_e32 v4, 0x7f800001
	v_dual_mov_b32 v5, 0 :: v_dual_and_b32 v16, 0x7f, v24
	s_mov_b32 s15, exec_lo
	s_delay_alu instid0(VALU_DEP_1)
	v_cmpx_ne_u32_e32 0x7f, v16
	s_cbranch_execz .LBB256_625
; %bb.622:                              ;   in Loop: Header=BB256_550 Depth=1
	v_and_b32_e32 v6, 7, v24
	v_lshrrev_b32_e32 v4, 3, v16
	s_mov_b32 s16, exec_lo
	v_cmpx_gt_u32_e32 8, v16
; %bb.623:                              ;   in Loop: Header=BB256_550 Depth=1
	s_delay_alu instid0(VALU_DEP_3) | instskip(NEXT) | instid1(VALU_DEP_1)
	v_clz_i32_u32_e32 v4, v6
	v_min_u32_e32 v4, 32, v4
	s_delay_alu instid0(VALU_DEP_1) | instskip(SKIP_1) | instid1(VALU_DEP_2)
	v_subrev_nc_u32_e32 v5, 28, v4
	v_sub_nc_u32_e32 v4, 29, v4
	v_lshlrev_b64 v[5:6], v5, v[6:7]
	s_delay_alu instid0(VALU_DEP_1)
	v_and_b32_e32 v6, 7, v5
; %bb.624:                              ;   in Loop: Header=BB256_550 Depth=1
	s_or_b32 exec_lo, exec_lo, s16
	v_lshlrev_b32_e32 v5, 24, v24
	s_delay_alu instid0(VALU_DEP_2) | instskip(SKIP_1) | instid1(VALU_DEP_3)
	v_lshlrev_b32_e32 v6, 20, v6
	v_lshl_add_u32 v4, v4, 23, 0x3c000000
	v_and_b32_e32 v5, 0x80000000, v5
	s_delay_alu instid0(VALU_DEP_1) | instskip(NEXT) | instid1(VALU_DEP_1)
	v_or3_b32 v6, v6, v5, v4
	v_dual_mov_b32 v4, v6 :: v_dual_mov_b32 v5, v7
.LBB256_625:                            ;   in Loop: Header=BB256_550 Depth=1
	s_or_b32 exec_lo, exec_lo, s15
.LBB256_626:                            ;   in Loop: Header=BB256_550 Depth=1
	s_delay_alu instid0(SALU_CYCLE_1)
	s_or_b32 exec_lo, exec_lo, s13
.LBB256_627:                            ;   in Loop: Header=BB256_550 Depth=1
	s_delay_alu instid0(SALU_CYCLE_1) | instskip(SKIP_2) | instid1(VALU_DEP_1)
	s_or_b32 exec_lo, exec_lo, s10
	v_lshrrev_b16 v6, 8, v24
	s_mov_b32 s13, exec_lo
	v_cmpx_ne_u16_e32 0, v6
	s_cbranch_execz .LBB256_635
; %bb.628:                              ;   in Loop: Header=BB256_550 Depth=1
	v_dual_mov_b32 v15, s9 :: v_dual_mov_b32 v14, s8
	s_mov_b32 s15, exec_lo
	v_cmpx_ne_u16_e32 0x80, v6
	s_cbranch_execz .LBB256_634
; %bb.629:                              ;   in Loop: Header=BB256_550 Depth=1
	s_mov_b32 s10, s8
	v_dual_mov_b32 v15, s11 :: v_dual_and_b32 v6, 0xffff, v6
	v_mov_b32_e32 v14, s10
	s_mov_b32 s10, exec_lo
	s_delay_alu instid0(VALU_DEP_2) | instskip(NEXT) | instid1(VALU_DEP_1)
	v_and_b32_e32 v16, 0x7f, v6
	v_cmpx_ne_u32_e32 0x7f, v16
	s_cbranch_execz .LBB256_633
; %bb.630:                              ;   in Loop: Header=BB256_550 Depth=1
	v_and_b32_e32 v6, 7, v6
	v_lshrrev_b32_e32 v14, 3, v16
	s_mov_b32 s16, exec_lo
	v_cmpx_gt_u32_e32 8, v16
; %bb.631:                              ;   in Loop: Header=BB256_550 Depth=1
	s_delay_alu instid0(VALU_DEP_3) | instskip(NEXT) | instid1(VALU_DEP_1)
	v_clz_i32_u32_e32 v14, v6
	v_min_u32_e32 v14, 32, v14
	s_delay_alu instid0(VALU_DEP_1) | instskip(SKIP_1) | instid1(VALU_DEP_2)
	v_subrev_nc_u32_e32 v15, 28, v14
	v_sub_nc_u32_e32 v14, 29, v14
	v_lshlrev_b64 v[15:16], v15, v[6:7]
	s_delay_alu instid0(VALU_DEP_1)
	v_and_b32_e32 v6, 7, v15
; %bb.632:                              ;   in Loop: Header=BB256_550 Depth=1
	s_or_b32 exec_lo, exec_lo, s16
	v_lshlrev_b32_e32 v15, 16, v24
	s_delay_alu instid0(VALU_DEP_2) | instskip(SKIP_1) | instid1(VALU_DEP_3)
	v_lshlrev_b32_e32 v6, 20, v6
	v_lshl_add_u32 v14, v14, 23, 0x3c000000
	v_and_b32_e32 v15, 0x80000000, v15
	s_delay_alu instid0(VALU_DEP_1)
	v_or3_b32 v15, v6, v15, v14
	v_mov_b32_e32 v14, v7
.LBB256_633:                            ;   in Loop: Header=BB256_550 Depth=1
	s_or_b32 exec_lo, exec_lo, s10
.LBB256_634:                            ;   in Loop: Header=BB256_550 Depth=1
	s_delay_alu instid0(SALU_CYCLE_1)
	s_or_b32 exec_lo, exec_lo, s15
.LBB256_635:                            ;   in Loop: Header=BB256_550 Depth=1
	s_delay_alu instid0(SALU_CYCLE_1) | instskip(SKIP_4) | instid1(VALU_DEP_2)
	s_or_b32 exec_lo, exec_lo, s13
	v_mov_b32_e32 v18, 0
	v_lshrrev_b32_e32 v86, 16, v24
	v_mov_b32_e32 v19, 0
	s_mov_b32 s10, exec_lo
	v_and_b32_e32 v6, 0xff, v86
	s_delay_alu instid0(VALU_DEP_2) | instskip(NEXT) | instid1(VALU_DEP_2)
	v_dual_mov_b32 v16, v18 :: v_dual_mov_b32 v17, v19
	v_cmpx_ne_u16_e32 0, v6
	s_cbranch_execz .LBB256_643
; %bb.636:                              ;   in Loop: Header=BB256_550 Depth=1
	v_bfrev_b32_e32 v16, 1
	v_mov_b32_e32 v17, 0
	s_mov_b32 s13, exec_lo
	v_cmpx_ne_u16_e32 0x80, v6
	s_cbranch_execz .LBB256_642
; %bb.637:                              ;   in Loop: Header=BB256_550 Depth=1
	v_mov_b32_e32 v16, 0x7f800001
	v_bfe_u32 v37, v24, 16, 7
	v_mov_b32_e32 v17, 0
	s_mov_b32 s15, exec_lo
	s_delay_alu instid0(VALU_DEP_2)
	v_cmpx_ne_u32_e32 0x7f, v37
	s_cbranch_execz .LBB256_641
; %bb.638:                              ;   in Loop: Header=BB256_550 Depth=1
	v_and_b32_e32 v6, 7, v86
	v_lshrrev_b32_e32 v16, 3, v37
	s_mov_b32 s16, exec_lo
	v_cmpx_gt_u32_e32 8, v37
; %bb.639:                              ;   in Loop: Header=BB256_550 Depth=1
	s_delay_alu instid0(VALU_DEP_3) | instskip(NEXT) | instid1(VALU_DEP_1)
	v_clz_i32_u32_e32 v16, v6
	v_min_u32_e32 v16, 32, v16
	s_delay_alu instid0(VALU_DEP_1) | instskip(SKIP_1) | instid1(VALU_DEP_2)
	v_subrev_nc_u32_e32 v17, 28, v16
	v_sub_nc_u32_e32 v16, 29, v16
	v_lshlrev_b64 v[96:97], v17, v[6:7]
	s_delay_alu instid0(VALU_DEP_1)
	v_and_b32_e32 v6, 7, v96
; %bb.640:                              ;   in Loop: Header=BB256_550 Depth=1
	s_or_b32 exec_lo, exec_lo, s16
	v_lshlrev_b32_e32 v17, 24, v86
	s_delay_alu instid0(VALU_DEP_2) | instskip(SKIP_1) | instid1(VALU_DEP_3)
	v_lshlrev_b32_e32 v6, 20, v6
	v_lshl_add_u32 v16, v16, 23, 0x3c000000
	v_and_b32_e32 v17, 0x80000000, v17
	s_delay_alu instid0(VALU_DEP_1) | instskip(NEXT) | instid1(VALU_DEP_1)
	v_or3_b32 v6, v6, v17, v16
	v_dual_mov_b32 v17, v7 :: v_dual_mov_b32 v16, v6
.LBB256_641:                            ;   in Loop: Header=BB256_550 Depth=1
	s_or_b32 exec_lo, exec_lo, s15
.LBB256_642:                            ;   in Loop: Header=BB256_550 Depth=1
	s_delay_alu instid0(SALU_CYCLE_1)
	s_or_b32 exec_lo, exec_lo, s13
.LBB256_643:                            ;   in Loop: Header=BB256_550 Depth=1
	s_delay_alu instid0(SALU_CYCLE_1) | instskip(NEXT) | instid1(SALU_CYCLE_1)
	s_or_b32 exec_lo, exec_lo, s10
	s_mov_b32 s13, exec_lo
	v_cmpx_lt_u32_e32 0xffffff, v24
	s_cbranch_execz .LBB256_651
; %bb.644:                              ;   in Loop: Header=BB256_550 Depth=1
	v_lshrrev_b32_e32 v86, 24, v24
	v_dual_mov_b32 v19, s9 :: v_dual_mov_b32 v18, s8
	s_mov_b32 s15, exec_lo
	s_delay_alu instid0(VALU_DEP_2)
	v_cmpx_ne_u32_e32 0x80, v86
	s_cbranch_execz .LBB256_650
; %bb.645:                              ;   in Loop: Header=BB256_550 Depth=1
	s_mov_b32 s10, s8
	v_bfe_u32 v24, v24, 24, 7
	v_dual_mov_b32 v19, s11 :: v_dual_mov_b32 v18, s10
	s_mov_b32 s10, exec_lo
	s_delay_alu instid0(VALU_DEP_2)
	v_cmpx_ne_u32_e32 0x7f, v24
	s_cbranch_execz .LBB256_649
; %bb.646:                              ;   in Loop: Header=BB256_550 Depth=1
	v_and_b32_e32 v6, 7, v86
	v_lshrrev_b32_e32 v18, 3, v24
	s_mov_b32 s16, exec_lo
	v_cmpx_gt_u32_e32 8, v24
; %bb.647:                              ;   in Loop: Header=BB256_550 Depth=1
	s_delay_alu instid0(VALU_DEP_3) | instskip(NEXT) | instid1(VALU_DEP_1)
	v_clz_i32_u32_e32 v18, v6
	v_min_u32_e32 v18, 32, v18
	s_delay_alu instid0(VALU_DEP_1) | instskip(SKIP_1) | instid1(VALU_DEP_2)
	v_subrev_nc_u32_e32 v19, 28, v18
	v_sub_nc_u32_e32 v18, 29, v18
	v_lshlrev_b64 v[96:97], v19, v[6:7]
	s_delay_alu instid0(VALU_DEP_1)
	v_and_b32_e32 v6, 7, v96
; %bb.648:                              ;   in Loop: Header=BB256_550 Depth=1
	s_or_b32 exec_lo, exec_lo, s16
	v_lshlrev_b32_e32 v19, 24, v86
	s_delay_alu instid0(VALU_DEP_2) | instskip(SKIP_1) | instid1(VALU_DEP_3)
	v_lshlrev_b32_e32 v6, 20, v6
	v_lshl_add_u32 v18, v18, 23, 0x3c000000
	v_and_b32_e32 v19, 0x80000000, v19
	s_delay_alu instid0(VALU_DEP_1)
	v_or3_b32 v19, v6, v19, v18
	v_mov_b32_e32 v18, v7
.LBB256_649:                            ;   in Loop: Header=BB256_550 Depth=1
	s_or_b32 exec_lo, exec_lo, s10
.LBB256_650:                            ;   in Loop: Header=BB256_550 Depth=1
	s_delay_alu instid0(SALU_CYCLE_1)
	s_or_b32 exec_lo, exec_lo, s15
.LBB256_651:                            ;   in Loop: Header=BB256_550 Depth=1
	s_delay_alu instid0(SALU_CYCLE_1) | instskip(SKIP_4) | instid1(VALU_DEP_4)
	s_or_b32 exec_lo, exec_lo, s13
	v_or_b32_e32 v5, v15, v5
	v_or_b32_e32 v4, v14, v4
	;; [unrolled: 1-line block ×4, first 2 shown]
	v_mul_f32_e32 v97, v65, v5
	s_delay_alu instid0(VALU_DEP_4) | instskip(NEXT) | instid1(VALU_DEP_4)
	v_mul_f32_e32 v96, v65, v4
	v_mul_f32_e32 v86, v65, v6
	s_delay_alu instid0(VALU_DEP_4)
	v_mul_f32_e32 v87, v65, v14
	s_and_saveexec_b32 s10, vcc_lo
; %bb.652:                              ;   in Loop: Header=BB256_550 Depth=1
	v_cmp_lt_i32_e64 s0, v70, v38
	s_delay_alu instid0(VALU_DEP_1) | instskip(SKIP_1) | instid1(VALU_DEP_1)
	v_cndmask_b32_e64 v96, 0, v96, s0
	v_cmp_lt_i32_e64 s0, v81, v38
	v_cndmask_b32_e64 v97, 0, v97, s0
	v_cmp_lt_i32_e64 s0, v80, v38
	s_delay_alu instid0(VALU_DEP_1) | instskip(SKIP_1) | instid1(VALU_DEP_1)
	v_cndmask_b32_e64 v87, 0, v87, s0
	v_cmp_lt_i32_e64 s0, v71, v38
	v_cndmask_b32_e64 v86, 0, v86, s0
; %bb.653:                              ;   in Loop: Header=BB256_550 Depth=1
	s_or_b32 exec_lo, exec_lo, s10
	flat_load_b32 v24, v[12:13] offset:384
	v_mov_b32_e32 v14, 0
	v_mov_b32_e32 v15, 0
	s_mov_b32 s10, exec_lo
	s_waitcnt vmcnt(0) lgkmcnt(0)
	v_and_b32_e32 v6, 0xff, v24
	s_delay_alu instid0(VALU_DEP_2) | instskip(NEXT) | instid1(VALU_DEP_2)
	v_dual_mov_b32 v4, v14 :: v_dual_mov_b32 v5, v15
	v_cmpx_ne_u16_e32 0, v6
	s_cbranch_execz .LBB256_661
; %bb.654:                              ;   in Loop: Header=BB256_550 Depth=1
	v_bfrev_b32_e32 v4, 1
	v_mov_b32_e32 v5, 0
	s_mov_b32 s13, exec_lo
	v_cmpx_ne_u16_e32 0x80, v6
	s_cbranch_execz .LBB256_660
; %bb.655:                              ;   in Loop: Header=BB256_550 Depth=1
	v_mov_b32_e32 v4, 0x7f800001
	v_dual_mov_b32 v5, 0 :: v_dual_and_b32 v16, 0x7f, v24
	s_mov_b32 s15, exec_lo
	s_delay_alu instid0(VALU_DEP_1)
	v_cmpx_ne_u32_e32 0x7f, v16
	s_cbranch_execz .LBB256_659
; %bb.656:                              ;   in Loop: Header=BB256_550 Depth=1
	v_and_b32_e32 v6, 7, v24
	v_lshrrev_b32_e32 v4, 3, v16
	s_mov_b32 s16, exec_lo
	v_cmpx_gt_u32_e32 8, v16
; %bb.657:                              ;   in Loop: Header=BB256_550 Depth=1
	s_delay_alu instid0(VALU_DEP_3) | instskip(NEXT) | instid1(VALU_DEP_1)
	v_clz_i32_u32_e32 v4, v6
	v_min_u32_e32 v4, 32, v4
	s_delay_alu instid0(VALU_DEP_1) | instskip(SKIP_1) | instid1(VALU_DEP_2)
	v_subrev_nc_u32_e32 v5, 28, v4
	v_sub_nc_u32_e32 v4, 29, v4
	v_lshlrev_b64 v[5:6], v5, v[6:7]
	s_delay_alu instid0(VALU_DEP_1)
	v_and_b32_e32 v6, 7, v5
; %bb.658:                              ;   in Loop: Header=BB256_550 Depth=1
	s_or_b32 exec_lo, exec_lo, s16
	v_lshlrev_b32_e32 v5, 24, v24
	s_delay_alu instid0(VALU_DEP_2) | instskip(SKIP_1) | instid1(VALU_DEP_3)
	v_lshlrev_b32_e32 v6, 20, v6
	v_lshl_add_u32 v4, v4, 23, 0x3c000000
	v_and_b32_e32 v5, 0x80000000, v5
	s_delay_alu instid0(VALU_DEP_1) | instskip(NEXT) | instid1(VALU_DEP_1)
	v_or3_b32 v6, v6, v5, v4
	v_dual_mov_b32 v4, v6 :: v_dual_mov_b32 v5, v7
.LBB256_659:                            ;   in Loop: Header=BB256_550 Depth=1
	s_or_b32 exec_lo, exec_lo, s15
.LBB256_660:                            ;   in Loop: Header=BB256_550 Depth=1
	s_delay_alu instid0(SALU_CYCLE_1)
	s_or_b32 exec_lo, exec_lo, s13
.LBB256_661:                            ;   in Loop: Header=BB256_550 Depth=1
	s_delay_alu instid0(SALU_CYCLE_1) | instskip(SKIP_2) | instid1(VALU_DEP_1)
	s_or_b32 exec_lo, exec_lo, s10
	v_lshrrev_b16 v6, 8, v24
	s_mov_b32 s13, exec_lo
	v_cmpx_ne_u16_e32 0, v6
	s_cbranch_execz .LBB256_669
; %bb.662:                              ;   in Loop: Header=BB256_550 Depth=1
	v_dual_mov_b32 v15, s9 :: v_dual_mov_b32 v14, s8
	s_mov_b32 s15, exec_lo
	v_cmpx_ne_u16_e32 0x80, v6
	s_cbranch_execz .LBB256_668
; %bb.663:                              ;   in Loop: Header=BB256_550 Depth=1
	s_mov_b32 s10, s8
	v_dual_mov_b32 v15, s11 :: v_dual_and_b32 v6, 0xffff, v6
	v_mov_b32_e32 v14, s10
	s_mov_b32 s10, exec_lo
	s_delay_alu instid0(VALU_DEP_2) | instskip(NEXT) | instid1(VALU_DEP_1)
	v_and_b32_e32 v16, 0x7f, v6
	v_cmpx_ne_u32_e32 0x7f, v16
	s_cbranch_execz .LBB256_667
; %bb.664:                              ;   in Loop: Header=BB256_550 Depth=1
	v_and_b32_e32 v6, 7, v6
	v_lshrrev_b32_e32 v14, 3, v16
	s_mov_b32 s16, exec_lo
	v_cmpx_gt_u32_e32 8, v16
; %bb.665:                              ;   in Loop: Header=BB256_550 Depth=1
	s_delay_alu instid0(VALU_DEP_3) | instskip(NEXT) | instid1(VALU_DEP_1)
	v_clz_i32_u32_e32 v14, v6
	v_min_u32_e32 v14, 32, v14
	s_delay_alu instid0(VALU_DEP_1) | instskip(SKIP_1) | instid1(VALU_DEP_2)
	v_subrev_nc_u32_e32 v15, 28, v14
	v_sub_nc_u32_e32 v14, 29, v14
	v_lshlrev_b64 v[15:16], v15, v[6:7]
	s_delay_alu instid0(VALU_DEP_1)
	v_and_b32_e32 v6, 7, v15
; %bb.666:                              ;   in Loop: Header=BB256_550 Depth=1
	s_or_b32 exec_lo, exec_lo, s16
	v_lshlrev_b32_e32 v15, 16, v24
	s_delay_alu instid0(VALU_DEP_2) | instskip(SKIP_1) | instid1(VALU_DEP_3)
	v_lshlrev_b32_e32 v6, 20, v6
	v_lshl_add_u32 v14, v14, 23, 0x3c000000
	v_and_b32_e32 v15, 0x80000000, v15
	s_delay_alu instid0(VALU_DEP_1)
	v_or3_b32 v15, v6, v15, v14
	v_mov_b32_e32 v14, v7
.LBB256_667:                            ;   in Loop: Header=BB256_550 Depth=1
	s_or_b32 exec_lo, exec_lo, s10
.LBB256_668:                            ;   in Loop: Header=BB256_550 Depth=1
	s_delay_alu instid0(SALU_CYCLE_1)
	s_or_b32 exec_lo, exec_lo, s15
.LBB256_669:                            ;   in Loop: Header=BB256_550 Depth=1
	s_delay_alu instid0(SALU_CYCLE_1) | instskip(SKIP_4) | instid1(VALU_DEP_2)
	s_or_b32 exec_lo, exec_lo, s13
	v_mov_b32_e32 v18, 0
	v_lshrrev_b32_e32 v98, 16, v24
	v_mov_b32_e32 v19, 0
	s_mov_b32 s10, exec_lo
	v_and_b32_e32 v6, 0xff, v98
	s_delay_alu instid0(VALU_DEP_2) | instskip(NEXT) | instid1(VALU_DEP_2)
	v_dual_mov_b32 v16, v18 :: v_dual_mov_b32 v17, v19
	v_cmpx_ne_u16_e32 0, v6
	s_cbranch_execz .LBB256_677
; %bb.670:                              ;   in Loop: Header=BB256_550 Depth=1
	v_bfrev_b32_e32 v16, 1
	v_mov_b32_e32 v17, 0
	s_mov_b32 s13, exec_lo
	v_cmpx_ne_u16_e32 0x80, v6
	s_cbranch_execz .LBB256_676
; %bb.671:                              ;   in Loop: Header=BB256_550 Depth=1
	v_mov_b32_e32 v16, 0x7f800001
	v_bfe_u32 v37, v24, 16, 7
	v_mov_b32_e32 v17, 0
	s_mov_b32 s15, exec_lo
	s_delay_alu instid0(VALU_DEP_2)
	v_cmpx_ne_u32_e32 0x7f, v37
	s_cbranch_execz .LBB256_675
; %bb.672:                              ;   in Loop: Header=BB256_550 Depth=1
	v_and_b32_e32 v6, 7, v98
	v_lshrrev_b32_e32 v16, 3, v37
	s_mov_b32 s16, exec_lo
	v_cmpx_gt_u32_e32 8, v37
; %bb.673:                              ;   in Loop: Header=BB256_550 Depth=1
	s_delay_alu instid0(VALU_DEP_3) | instskip(NEXT) | instid1(VALU_DEP_1)
	v_clz_i32_u32_e32 v16, v6
	v_min_u32_e32 v16, 32, v16
	s_delay_alu instid0(VALU_DEP_1) | instskip(SKIP_1) | instid1(VALU_DEP_2)
	v_subrev_nc_u32_e32 v17, 28, v16
	v_sub_nc_u32_e32 v16, 29, v16
	v_lshlrev_b64 v[99:100], v17, v[6:7]
	s_delay_alu instid0(VALU_DEP_1)
	v_and_b32_e32 v6, 7, v99
; %bb.674:                              ;   in Loop: Header=BB256_550 Depth=1
	s_or_b32 exec_lo, exec_lo, s16
	v_lshlrev_b32_e32 v17, 24, v98
	s_delay_alu instid0(VALU_DEP_2) | instskip(SKIP_1) | instid1(VALU_DEP_3)
	v_lshlrev_b32_e32 v6, 20, v6
	v_lshl_add_u32 v16, v16, 23, 0x3c000000
	v_and_b32_e32 v17, 0x80000000, v17
	s_delay_alu instid0(VALU_DEP_1) | instskip(NEXT) | instid1(VALU_DEP_1)
	v_or3_b32 v6, v6, v17, v16
	v_dual_mov_b32 v17, v7 :: v_dual_mov_b32 v16, v6
.LBB256_675:                            ;   in Loop: Header=BB256_550 Depth=1
	s_or_b32 exec_lo, exec_lo, s15
.LBB256_676:                            ;   in Loop: Header=BB256_550 Depth=1
	s_delay_alu instid0(SALU_CYCLE_1)
	s_or_b32 exec_lo, exec_lo, s13
.LBB256_677:                            ;   in Loop: Header=BB256_550 Depth=1
	s_delay_alu instid0(SALU_CYCLE_1) | instskip(NEXT) | instid1(SALU_CYCLE_1)
	s_or_b32 exec_lo, exec_lo, s10
	s_mov_b32 s13, exec_lo
	v_cmpx_lt_u32_e32 0xffffff, v24
	s_cbranch_execz .LBB256_685
; %bb.678:                              ;   in Loop: Header=BB256_550 Depth=1
	v_lshrrev_b32_e32 v98, 24, v24
	v_dual_mov_b32 v19, s9 :: v_dual_mov_b32 v18, s8
	s_mov_b32 s15, exec_lo
	s_delay_alu instid0(VALU_DEP_2)
	v_cmpx_ne_u32_e32 0x80, v98
	s_cbranch_execz .LBB256_684
; %bb.679:                              ;   in Loop: Header=BB256_550 Depth=1
	s_mov_b32 s10, s8
	v_bfe_u32 v24, v24, 24, 7
	v_dual_mov_b32 v19, s11 :: v_dual_mov_b32 v18, s10
	s_mov_b32 s10, exec_lo
	s_delay_alu instid0(VALU_DEP_2)
	v_cmpx_ne_u32_e32 0x7f, v24
	s_cbranch_execz .LBB256_683
; %bb.680:                              ;   in Loop: Header=BB256_550 Depth=1
	v_and_b32_e32 v6, 7, v98
	v_lshrrev_b32_e32 v18, 3, v24
	s_mov_b32 s16, exec_lo
	v_cmpx_gt_u32_e32 8, v24
; %bb.681:                              ;   in Loop: Header=BB256_550 Depth=1
	s_delay_alu instid0(VALU_DEP_3) | instskip(NEXT) | instid1(VALU_DEP_1)
	v_clz_i32_u32_e32 v18, v6
	v_min_u32_e32 v18, 32, v18
	s_delay_alu instid0(VALU_DEP_1) | instskip(SKIP_1) | instid1(VALU_DEP_2)
	v_subrev_nc_u32_e32 v19, 28, v18
	v_sub_nc_u32_e32 v18, 29, v18
	v_lshlrev_b64 v[99:100], v19, v[6:7]
	s_delay_alu instid0(VALU_DEP_1)
	v_and_b32_e32 v6, 7, v99
; %bb.682:                              ;   in Loop: Header=BB256_550 Depth=1
	s_or_b32 exec_lo, exec_lo, s16
	v_lshlrev_b32_e32 v19, 24, v98
	s_delay_alu instid0(VALU_DEP_2) | instskip(SKIP_1) | instid1(VALU_DEP_3)
	v_lshlrev_b32_e32 v6, 20, v6
	v_lshl_add_u32 v18, v18, 23, 0x3c000000
	v_and_b32_e32 v19, 0x80000000, v19
	s_delay_alu instid0(VALU_DEP_1)
	v_or3_b32 v19, v6, v19, v18
	v_mov_b32_e32 v18, v7
.LBB256_683:                            ;   in Loop: Header=BB256_550 Depth=1
	s_or_b32 exec_lo, exec_lo, s10
.LBB256_684:                            ;   in Loop: Header=BB256_550 Depth=1
	s_delay_alu instid0(SALU_CYCLE_1)
	s_or_b32 exec_lo, exec_lo, s15
.LBB256_685:                            ;   in Loop: Header=BB256_550 Depth=1
	s_delay_alu instid0(SALU_CYCLE_1) | instskip(SKIP_4) | instid1(VALU_DEP_4)
	s_or_b32 exec_lo, exec_lo, s13
	v_or_b32_e32 v5, v15, v5
	v_or_b32_e32 v4, v14, v4
	;; [unrolled: 1-line block ×4, first 2 shown]
	v_mul_f32_e32 v101, v65, v5
	s_delay_alu instid0(VALU_DEP_4) | instskip(NEXT) | instid1(VALU_DEP_4)
	v_mul_f32_e32 v100, v65, v4
	v_mul_f32_e32 v98, v65, v6
	s_delay_alu instid0(VALU_DEP_4)
	v_mul_f32_e32 v99, v65, v14
	s_and_saveexec_b32 s10, vcc_lo
; %bb.686:                              ;   in Loop: Header=BB256_550 Depth=1
	v_cmp_lt_i32_e64 s0, v70, v38
	s_delay_alu instid0(VALU_DEP_1) | instskip(SKIP_1) | instid1(VALU_DEP_1)
	v_cndmask_b32_e64 v100, 0, v100, s0
	v_cmp_lt_i32_e64 s0, v81, v38
	v_cndmask_b32_e64 v101, 0, v101, s0
	v_cmp_lt_i32_e64 s0, v80, v38
	s_delay_alu instid0(VALU_DEP_1) | instskip(SKIP_1) | instid1(VALU_DEP_1)
	v_cndmask_b32_e64 v99, 0, v99, s0
	v_cmp_lt_i32_e64 s0, v71, v38
	v_cndmask_b32_e64 v98, 0, v98, s0
; %bb.687:                              ;   in Loop: Header=BB256_550 Depth=1
	s_or_b32 exec_lo, exec_lo, s10
	flat_load_b32 v24, v[12:13] offset:512
	v_mov_b32_e32 v14, 0
	v_mov_b32_e32 v15, 0
	s_mov_b32 s10, exec_lo
	s_waitcnt vmcnt(0) lgkmcnt(0)
	v_and_b32_e32 v6, 0xff, v24
	s_delay_alu instid0(VALU_DEP_2) | instskip(NEXT) | instid1(VALU_DEP_2)
	v_dual_mov_b32 v4, v14 :: v_dual_mov_b32 v5, v15
	v_cmpx_ne_u16_e32 0, v6
	s_cbranch_execz .LBB256_695
; %bb.688:                              ;   in Loop: Header=BB256_550 Depth=1
	v_bfrev_b32_e32 v4, 1
	v_mov_b32_e32 v5, 0
	s_mov_b32 s13, exec_lo
	v_cmpx_ne_u16_e32 0x80, v6
	s_cbranch_execz .LBB256_694
; %bb.689:                              ;   in Loop: Header=BB256_550 Depth=1
	v_mov_b32_e32 v4, 0x7f800001
	v_dual_mov_b32 v5, 0 :: v_dual_and_b32 v16, 0x7f, v24
	s_mov_b32 s15, exec_lo
	s_delay_alu instid0(VALU_DEP_1)
	v_cmpx_ne_u32_e32 0x7f, v16
	s_cbranch_execz .LBB256_693
; %bb.690:                              ;   in Loop: Header=BB256_550 Depth=1
	v_and_b32_e32 v6, 7, v24
	v_lshrrev_b32_e32 v4, 3, v16
	s_mov_b32 s16, exec_lo
	v_cmpx_gt_u32_e32 8, v16
; %bb.691:                              ;   in Loop: Header=BB256_550 Depth=1
	s_delay_alu instid0(VALU_DEP_3) | instskip(NEXT) | instid1(VALU_DEP_1)
	v_clz_i32_u32_e32 v4, v6
	v_min_u32_e32 v4, 32, v4
	s_delay_alu instid0(VALU_DEP_1) | instskip(SKIP_1) | instid1(VALU_DEP_2)
	v_subrev_nc_u32_e32 v5, 28, v4
	v_sub_nc_u32_e32 v4, 29, v4
	v_lshlrev_b64 v[5:6], v5, v[6:7]
	s_delay_alu instid0(VALU_DEP_1)
	v_and_b32_e32 v6, 7, v5
; %bb.692:                              ;   in Loop: Header=BB256_550 Depth=1
	s_or_b32 exec_lo, exec_lo, s16
	v_lshlrev_b32_e32 v5, 24, v24
	s_delay_alu instid0(VALU_DEP_2) | instskip(SKIP_1) | instid1(VALU_DEP_3)
	v_lshlrev_b32_e32 v6, 20, v6
	v_lshl_add_u32 v4, v4, 23, 0x3c000000
	v_and_b32_e32 v5, 0x80000000, v5
	s_delay_alu instid0(VALU_DEP_1) | instskip(NEXT) | instid1(VALU_DEP_1)
	v_or3_b32 v6, v6, v5, v4
	v_dual_mov_b32 v4, v6 :: v_dual_mov_b32 v5, v7
.LBB256_693:                            ;   in Loop: Header=BB256_550 Depth=1
	s_or_b32 exec_lo, exec_lo, s15
.LBB256_694:                            ;   in Loop: Header=BB256_550 Depth=1
	s_delay_alu instid0(SALU_CYCLE_1)
	s_or_b32 exec_lo, exec_lo, s13
.LBB256_695:                            ;   in Loop: Header=BB256_550 Depth=1
	s_delay_alu instid0(SALU_CYCLE_1) | instskip(SKIP_2) | instid1(VALU_DEP_1)
	s_or_b32 exec_lo, exec_lo, s10
	v_lshrrev_b16 v6, 8, v24
	s_mov_b32 s13, exec_lo
	v_cmpx_ne_u16_e32 0, v6
	s_cbranch_execz .LBB256_703
; %bb.696:                              ;   in Loop: Header=BB256_550 Depth=1
	v_dual_mov_b32 v15, s9 :: v_dual_mov_b32 v14, s8
	s_mov_b32 s15, exec_lo
	v_cmpx_ne_u16_e32 0x80, v6
	s_cbranch_execz .LBB256_702
; %bb.697:                              ;   in Loop: Header=BB256_550 Depth=1
	s_mov_b32 s10, s8
	v_dual_mov_b32 v15, s11 :: v_dual_and_b32 v6, 0xffff, v6
	v_mov_b32_e32 v14, s10
	s_mov_b32 s10, exec_lo
	s_delay_alu instid0(VALU_DEP_2) | instskip(NEXT) | instid1(VALU_DEP_1)
	v_and_b32_e32 v16, 0x7f, v6
	v_cmpx_ne_u32_e32 0x7f, v16
	s_cbranch_execz .LBB256_701
; %bb.698:                              ;   in Loop: Header=BB256_550 Depth=1
	v_and_b32_e32 v6, 7, v6
	v_lshrrev_b32_e32 v14, 3, v16
	s_mov_b32 s16, exec_lo
	v_cmpx_gt_u32_e32 8, v16
; %bb.699:                              ;   in Loop: Header=BB256_550 Depth=1
	s_delay_alu instid0(VALU_DEP_3) | instskip(NEXT) | instid1(VALU_DEP_1)
	v_clz_i32_u32_e32 v14, v6
	v_min_u32_e32 v14, 32, v14
	s_delay_alu instid0(VALU_DEP_1) | instskip(SKIP_1) | instid1(VALU_DEP_2)
	v_subrev_nc_u32_e32 v15, 28, v14
	v_sub_nc_u32_e32 v14, 29, v14
	v_lshlrev_b64 v[15:16], v15, v[6:7]
	s_delay_alu instid0(VALU_DEP_1)
	v_and_b32_e32 v6, 7, v15
; %bb.700:                              ;   in Loop: Header=BB256_550 Depth=1
	s_or_b32 exec_lo, exec_lo, s16
	v_lshlrev_b32_e32 v15, 16, v24
	s_delay_alu instid0(VALU_DEP_2) | instskip(SKIP_1) | instid1(VALU_DEP_3)
	v_lshlrev_b32_e32 v6, 20, v6
	v_lshl_add_u32 v14, v14, 23, 0x3c000000
	v_and_b32_e32 v15, 0x80000000, v15
	s_delay_alu instid0(VALU_DEP_1)
	v_or3_b32 v15, v6, v15, v14
	v_mov_b32_e32 v14, v7
.LBB256_701:                            ;   in Loop: Header=BB256_550 Depth=1
	s_or_b32 exec_lo, exec_lo, s10
.LBB256_702:                            ;   in Loop: Header=BB256_550 Depth=1
	s_delay_alu instid0(SALU_CYCLE_1)
	s_or_b32 exec_lo, exec_lo, s15
.LBB256_703:                            ;   in Loop: Header=BB256_550 Depth=1
	s_delay_alu instid0(SALU_CYCLE_1) | instskip(SKIP_4) | instid1(VALU_DEP_2)
	s_or_b32 exec_lo, exec_lo, s13
	v_mov_b32_e32 v18, 0
	v_lshrrev_b32_e32 v102, 16, v24
	v_mov_b32_e32 v19, 0
	s_mov_b32 s10, exec_lo
	v_and_b32_e32 v6, 0xff, v102
	s_delay_alu instid0(VALU_DEP_2) | instskip(NEXT) | instid1(VALU_DEP_2)
	v_dual_mov_b32 v16, v18 :: v_dual_mov_b32 v17, v19
	v_cmpx_ne_u16_e32 0, v6
	s_cbranch_execz .LBB256_711
; %bb.704:                              ;   in Loop: Header=BB256_550 Depth=1
	v_bfrev_b32_e32 v16, 1
	v_mov_b32_e32 v17, 0
	s_mov_b32 s13, exec_lo
	v_cmpx_ne_u16_e32 0x80, v6
	s_cbranch_execz .LBB256_710
; %bb.705:                              ;   in Loop: Header=BB256_550 Depth=1
	v_mov_b32_e32 v16, 0x7f800001
	v_bfe_u32 v37, v24, 16, 7
	v_mov_b32_e32 v17, 0
	s_mov_b32 s15, exec_lo
	s_delay_alu instid0(VALU_DEP_2)
	v_cmpx_ne_u32_e32 0x7f, v37
	s_cbranch_execz .LBB256_709
; %bb.706:                              ;   in Loop: Header=BB256_550 Depth=1
	v_and_b32_e32 v6, 7, v102
	v_lshrrev_b32_e32 v16, 3, v37
	s_mov_b32 s16, exec_lo
	v_cmpx_gt_u32_e32 8, v37
; %bb.707:                              ;   in Loop: Header=BB256_550 Depth=1
	s_delay_alu instid0(VALU_DEP_3) | instskip(NEXT) | instid1(VALU_DEP_1)
	v_clz_i32_u32_e32 v16, v6
	v_min_u32_e32 v16, 32, v16
	s_delay_alu instid0(VALU_DEP_1) | instskip(SKIP_1) | instid1(VALU_DEP_2)
	v_subrev_nc_u32_e32 v17, 28, v16
	v_sub_nc_u32_e32 v16, 29, v16
	v_lshlrev_b64 v[112:113], v17, v[6:7]
	s_delay_alu instid0(VALU_DEP_1)
	v_and_b32_e32 v6, 7, v112
; %bb.708:                              ;   in Loop: Header=BB256_550 Depth=1
	s_or_b32 exec_lo, exec_lo, s16
	v_lshlrev_b32_e32 v17, 24, v102
	s_delay_alu instid0(VALU_DEP_2) | instskip(SKIP_1) | instid1(VALU_DEP_3)
	v_lshlrev_b32_e32 v6, 20, v6
	v_lshl_add_u32 v16, v16, 23, 0x3c000000
	v_and_b32_e32 v17, 0x80000000, v17
	s_delay_alu instid0(VALU_DEP_1) | instskip(NEXT) | instid1(VALU_DEP_1)
	v_or3_b32 v6, v6, v17, v16
	v_dual_mov_b32 v17, v7 :: v_dual_mov_b32 v16, v6
.LBB256_709:                            ;   in Loop: Header=BB256_550 Depth=1
	s_or_b32 exec_lo, exec_lo, s15
.LBB256_710:                            ;   in Loop: Header=BB256_550 Depth=1
	s_delay_alu instid0(SALU_CYCLE_1)
	s_or_b32 exec_lo, exec_lo, s13
.LBB256_711:                            ;   in Loop: Header=BB256_550 Depth=1
	s_delay_alu instid0(SALU_CYCLE_1) | instskip(NEXT) | instid1(SALU_CYCLE_1)
	s_or_b32 exec_lo, exec_lo, s10
	s_mov_b32 s13, exec_lo
	v_cmpx_lt_u32_e32 0xffffff, v24
	s_cbranch_execz .LBB256_719
; %bb.712:                              ;   in Loop: Header=BB256_550 Depth=1
	v_lshrrev_b32_e32 v102, 24, v24
	v_dual_mov_b32 v19, s9 :: v_dual_mov_b32 v18, s8
	s_mov_b32 s15, exec_lo
	s_delay_alu instid0(VALU_DEP_2)
	v_cmpx_ne_u32_e32 0x80, v102
	s_cbranch_execz .LBB256_718
; %bb.713:                              ;   in Loop: Header=BB256_550 Depth=1
	s_mov_b32 s10, s8
	v_bfe_u32 v24, v24, 24, 7
	v_dual_mov_b32 v19, s11 :: v_dual_mov_b32 v18, s10
	s_mov_b32 s10, exec_lo
	s_delay_alu instid0(VALU_DEP_2)
	v_cmpx_ne_u32_e32 0x7f, v24
	s_cbranch_execz .LBB256_717
; %bb.714:                              ;   in Loop: Header=BB256_550 Depth=1
	v_and_b32_e32 v6, 7, v102
	v_lshrrev_b32_e32 v18, 3, v24
	s_mov_b32 s16, exec_lo
	v_cmpx_gt_u32_e32 8, v24
; %bb.715:                              ;   in Loop: Header=BB256_550 Depth=1
	s_delay_alu instid0(VALU_DEP_3) | instskip(NEXT) | instid1(VALU_DEP_1)
	v_clz_i32_u32_e32 v18, v6
	v_min_u32_e32 v18, 32, v18
	s_delay_alu instid0(VALU_DEP_1) | instskip(SKIP_1) | instid1(VALU_DEP_2)
	v_subrev_nc_u32_e32 v19, 28, v18
	v_sub_nc_u32_e32 v18, 29, v18
	v_lshlrev_b64 v[112:113], v19, v[6:7]
	s_delay_alu instid0(VALU_DEP_1)
	v_and_b32_e32 v6, 7, v112
; %bb.716:                              ;   in Loop: Header=BB256_550 Depth=1
	s_or_b32 exec_lo, exec_lo, s16
	v_lshlrev_b32_e32 v19, 24, v102
	s_delay_alu instid0(VALU_DEP_2) | instskip(SKIP_1) | instid1(VALU_DEP_3)
	v_lshlrev_b32_e32 v6, 20, v6
	v_lshl_add_u32 v18, v18, 23, 0x3c000000
	v_and_b32_e32 v19, 0x80000000, v19
	s_delay_alu instid0(VALU_DEP_1)
	v_or3_b32 v19, v6, v19, v18
	v_mov_b32_e32 v18, v7
.LBB256_717:                            ;   in Loop: Header=BB256_550 Depth=1
	s_or_b32 exec_lo, exec_lo, s10
.LBB256_718:                            ;   in Loop: Header=BB256_550 Depth=1
	s_delay_alu instid0(SALU_CYCLE_1)
	s_or_b32 exec_lo, exec_lo, s15
.LBB256_719:                            ;   in Loop: Header=BB256_550 Depth=1
	s_delay_alu instid0(SALU_CYCLE_1) | instskip(SKIP_4) | instid1(VALU_DEP_4)
	s_or_b32 exec_lo, exec_lo, s13
	v_or_b32_e32 v5, v15, v5
	v_or_b32_e32 v4, v14, v4
	;; [unrolled: 1-line block ×4, first 2 shown]
	v_mul_f32_e32 v113, v65, v5
	s_delay_alu instid0(VALU_DEP_4) | instskip(NEXT) | instid1(VALU_DEP_4)
	v_mul_f32_e32 v112, v65, v4
	v_mul_f32_e32 v102, v65, v6
	s_delay_alu instid0(VALU_DEP_4)
	v_mul_f32_e32 v103, v65, v14
	s_and_saveexec_b32 s10, vcc_lo
; %bb.720:                              ;   in Loop: Header=BB256_550 Depth=1
	v_cmp_lt_i32_e64 s0, v70, v38
	s_delay_alu instid0(VALU_DEP_1) | instskip(SKIP_1) | instid1(VALU_DEP_1)
	v_cndmask_b32_e64 v112, 0, v112, s0
	v_cmp_lt_i32_e64 s0, v81, v38
	v_cndmask_b32_e64 v113, 0, v113, s0
	v_cmp_lt_i32_e64 s0, v80, v38
	s_delay_alu instid0(VALU_DEP_1) | instskip(SKIP_1) | instid1(VALU_DEP_1)
	v_cndmask_b32_e64 v103, 0, v103, s0
	v_cmp_lt_i32_e64 s0, v71, v38
	v_cndmask_b32_e64 v102, 0, v102, s0
; %bb.721:                              ;   in Loop: Header=BB256_550 Depth=1
	s_or_b32 exec_lo, exec_lo, s10
	flat_load_b32 v24, v[12:13] offset:640
	v_mov_b32_e32 v14, 0
	v_mov_b32_e32 v15, 0
	s_mov_b32 s10, exec_lo
	s_waitcnt vmcnt(0) lgkmcnt(0)
	v_and_b32_e32 v6, 0xff, v24
	s_delay_alu instid0(VALU_DEP_2) | instskip(NEXT) | instid1(VALU_DEP_2)
	v_dual_mov_b32 v4, v14 :: v_dual_mov_b32 v5, v15
	v_cmpx_ne_u16_e32 0, v6
	s_cbranch_execz .LBB256_729
; %bb.722:                              ;   in Loop: Header=BB256_550 Depth=1
	v_bfrev_b32_e32 v4, 1
	v_mov_b32_e32 v5, 0
	s_mov_b32 s13, exec_lo
	v_cmpx_ne_u16_e32 0x80, v6
	s_cbranch_execz .LBB256_728
; %bb.723:                              ;   in Loop: Header=BB256_550 Depth=1
	v_mov_b32_e32 v4, 0x7f800001
	v_dual_mov_b32 v5, 0 :: v_dual_and_b32 v16, 0x7f, v24
	s_mov_b32 s15, exec_lo
	s_delay_alu instid0(VALU_DEP_1)
	v_cmpx_ne_u32_e32 0x7f, v16
	s_cbranch_execz .LBB256_727
; %bb.724:                              ;   in Loop: Header=BB256_550 Depth=1
	v_and_b32_e32 v6, 7, v24
	v_lshrrev_b32_e32 v4, 3, v16
	s_mov_b32 s16, exec_lo
	v_cmpx_gt_u32_e32 8, v16
; %bb.725:                              ;   in Loop: Header=BB256_550 Depth=1
	s_delay_alu instid0(VALU_DEP_3) | instskip(NEXT) | instid1(VALU_DEP_1)
	v_clz_i32_u32_e32 v4, v6
	v_min_u32_e32 v4, 32, v4
	s_delay_alu instid0(VALU_DEP_1) | instskip(SKIP_1) | instid1(VALU_DEP_2)
	v_subrev_nc_u32_e32 v5, 28, v4
	v_sub_nc_u32_e32 v4, 29, v4
	v_lshlrev_b64 v[5:6], v5, v[6:7]
	s_delay_alu instid0(VALU_DEP_1)
	v_and_b32_e32 v6, 7, v5
; %bb.726:                              ;   in Loop: Header=BB256_550 Depth=1
	s_or_b32 exec_lo, exec_lo, s16
	v_lshlrev_b32_e32 v5, 24, v24
	s_delay_alu instid0(VALU_DEP_2) | instskip(SKIP_1) | instid1(VALU_DEP_3)
	v_lshlrev_b32_e32 v6, 20, v6
	v_lshl_add_u32 v4, v4, 23, 0x3c000000
	v_and_b32_e32 v5, 0x80000000, v5
	s_delay_alu instid0(VALU_DEP_1) | instskip(NEXT) | instid1(VALU_DEP_1)
	v_or3_b32 v6, v6, v5, v4
	v_dual_mov_b32 v4, v6 :: v_dual_mov_b32 v5, v7
.LBB256_727:                            ;   in Loop: Header=BB256_550 Depth=1
	s_or_b32 exec_lo, exec_lo, s15
.LBB256_728:                            ;   in Loop: Header=BB256_550 Depth=1
	s_delay_alu instid0(SALU_CYCLE_1)
	s_or_b32 exec_lo, exec_lo, s13
.LBB256_729:                            ;   in Loop: Header=BB256_550 Depth=1
	s_delay_alu instid0(SALU_CYCLE_1) | instskip(SKIP_2) | instid1(VALU_DEP_1)
	s_or_b32 exec_lo, exec_lo, s10
	v_lshrrev_b16 v6, 8, v24
	s_mov_b32 s13, exec_lo
	v_cmpx_ne_u16_e32 0, v6
	s_cbranch_execz .LBB256_737
; %bb.730:                              ;   in Loop: Header=BB256_550 Depth=1
	v_dual_mov_b32 v15, s9 :: v_dual_mov_b32 v14, s8
	s_mov_b32 s15, exec_lo
	v_cmpx_ne_u16_e32 0x80, v6
	s_cbranch_execz .LBB256_736
; %bb.731:                              ;   in Loop: Header=BB256_550 Depth=1
	s_mov_b32 s10, s8
	v_dual_mov_b32 v15, s11 :: v_dual_and_b32 v6, 0xffff, v6
	v_mov_b32_e32 v14, s10
	s_mov_b32 s10, exec_lo
	s_delay_alu instid0(VALU_DEP_2) | instskip(NEXT) | instid1(VALU_DEP_1)
	v_and_b32_e32 v16, 0x7f, v6
	v_cmpx_ne_u32_e32 0x7f, v16
	s_cbranch_execz .LBB256_735
; %bb.732:                              ;   in Loop: Header=BB256_550 Depth=1
	v_and_b32_e32 v6, 7, v6
	v_lshrrev_b32_e32 v14, 3, v16
	s_mov_b32 s16, exec_lo
	v_cmpx_gt_u32_e32 8, v16
; %bb.733:                              ;   in Loop: Header=BB256_550 Depth=1
	s_delay_alu instid0(VALU_DEP_3) | instskip(NEXT) | instid1(VALU_DEP_1)
	v_clz_i32_u32_e32 v14, v6
	v_min_u32_e32 v14, 32, v14
	s_delay_alu instid0(VALU_DEP_1) | instskip(SKIP_1) | instid1(VALU_DEP_2)
	v_subrev_nc_u32_e32 v15, 28, v14
	v_sub_nc_u32_e32 v14, 29, v14
	v_lshlrev_b64 v[15:16], v15, v[6:7]
	s_delay_alu instid0(VALU_DEP_1)
	v_and_b32_e32 v6, 7, v15
; %bb.734:                              ;   in Loop: Header=BB256_550 Depth=1
	s_or_b32 exec_lo, exec_lo, s16
	v_lshlrev_b32_e32 v15, 16, v24
	s_delay_alu instid0(VALU_DEP_2) | instskip(SKIP_1) | instid1(VALU_DEP_3)
	v_lshlrev_b32_e32 v6, 20, v6
	v_lshl_add_u32 v14, v14, 23, 0x3c000000
	v_and_b32_e32 v15, 0x80000000, v15
	s_delay_alu instid0(VALU_DEP_1)
	v_or3_b32 v15, v6, v15, v14
	v_mov_b32_e32 v14, v7
.LBB256_735:                            ;   in Loop: Header=BB256_550 Depth=1
	s_or_b32 exec_lo, exec_lo, s10
.LBB256_736:                            ;   in Loop: Header=BB256_550 Depth=1
	s_delay_alu instid0(SALU_CYCLE_1)
	s_or_b32 exec_lo, exec_lo, s15
.LBB256_737:                            ;   in Loop: Header=BB256_550 Depth=1
	s_delay_alu instid0(SALU_CYCLE_1) | instskip(SKIP_4) | instid1(VALU_DEP_2)
	s_or_b32 exec_lo, exec_lo, s13
	v_mov_b32_e32 v18, 0
	v_lshrrev_b32_e32 v114, 16, v24
	v_mov_b32_e32 v19, 0
	s_mov_b32 s10, exec_lo
	v_and_b32_e32 v6, 0xff, v114
	s_delay_alu instid0(VALU_DEP_2) | instskip(NEXT) | instid1(VALU_DEP_2)
	v_dual_mov_b32 v16, v18 :: v_dual_mov_b32 v17, v19
	v_cmpx_ne_u16_e32 0, v6
	s_cbranch_execz .LBB256_745
; %bb.738:                              ;   in Loop: Header=BB256_550 Depth=1
	v_bfrev_b32_e32 v16, 1
	v_mov_b32_e32 v17, 0
	s_mov_b32 s13, exec_lo
	v_cmpx_ne_u16_e32 0x80, v6
	s_cbranch_execz .LBB256_744
; %bb.739:                              ;   in Loop: Header=BB256_550 Depth=1
	v_mov_b32_e32 v16, 0x7f800001
	v_bfe_u32 v37, v24, 16, 7
	v_mov_b32_e32 v17, 0
	s_mov_b32 s15, exec_lo
	s_delay_alu instid0(VALU_DEP_2)
	v_cmpx_ne_u32_e32 0x7f, v37
	s_cbranch_execz .LBB256_743
; %bb.740:                              ;   in Loop: Header=BB256_550 Depth=1
	v_and_b32_e32 v6, 7, v114
	v_lshrrev_b32_e32 v16, 3, v37
	s_mov_b32 s16, exec_lo
	v_cmpx_gt_u32_e32 8, v37
; %bb.741:                              ;   in Loop: Header=BB256_550 Depth=1
	s_delay_alu instid0(VALU_DEP_3) | instskip(NEXT) | instid1(VALU_DEP_1)
	v_clz_i32_u32_e32 v16, v6
	v_min_u32_e32 v16, 32, v16
	s_delay_alu instid0(VALU_DEP_1) | instskip(SKIP_1) | instid1(VALU_DEP_2)
	v_subrev_nc_u32_e32 v17, 28, v16
	v_sub_nc_u32_e32 v16, 29, v16
	v_lshlrev_b64 v[115:116], v17, v[6:7]
	s_delay_alu instid0(VALU_DEP_1)
	v_and_b32_e32 v6, 7, v115
; %bb.742:                              ;   in Loop: Header=BB256_550 Depth=1
	s_or_b32 exec_lo, exec_lo, s16
	v_lshlrev_b32_e32 v17, 24, v114
	s_delay_alu instid0(VALU_DEP_2) | instskip(SKIP_1) | instid1(VALU_DEP_3)
	v_lshlrev_b32_e32 v6, 20, v6
	v_lshl_add_u32 v16, v16, 23, 0x3c000000
	v_and_b32_e32 v17, 0x80000000, v17
	s_delay_alu instid0(VALU_DEP_1) | instskip(NEXT) | instid1(VALU_DEP_1)
	v_or3_b32 v6, v6, v17, v16
	v_dual_mov_b32 v17, v7 :: v_dual_mov_b32 v16, v6
.LBB256_743:                            ;   in Loop: Header=BB256_550 Depth=1
	s_or_b32 exec_lo, exec_lo, s15
.LBB256_744:                            ;   in Loop: Header=BB256_550 Depth=1
	s_delay_alu instid0(SALU_CYCLE_1)
	s_or_b32 exec_lo, exec_lo, s13
.LBB256_745:                            ;   in Loop: Header=BB256_550 Depth=1
	s_delay_alu instid0(SALU_CYCLE_1) | instskip(NEXT) | instid1(SALU_CYCLE_1)
	s_or_b32 exec_lo, exec_lo, s10
	s_mov_b32 s13, exec_lo
	v_cmpx_lt_u32_e32 0xffffff, v24
	s_cbranch_execz .LBB256_753
; %bb.746:                              ;   in Loop: Header=BB256_550 Depth=1
	v_lshrrev_b32_e32 v114, 24, v24
	v_dual_mov_b32 v19, s9 :: v_dual_mov_b32 v18, s8
	s_mov_b32 s15, exec_lo
	s_delay_alu instid0(VALU_DEP_2)
	v_cmpx_ne_u32_e32 0x80, v114
	s_cbranch_execz .LBB256_752
; %bb.747:                              ;   in Loop: Header=BB256_550 Depth=1
	s_mov_b32 s10, s8
	v_bfe_u32 v24, v24, 24, 7
	v_dual_mov_b32 v19, s11 :: v_dual_mov_b32 v18, s10
	s_mov_b32 s10, exec_lo
	s_delay_alu instid0(VALU_DEP_2)
	v_cmpx_ne_u32_e32 0x7f, v24
	s_cbranch_execz .LBB256_751
; %bb.748:                              ;   in Loop: Header=BB256_550 Depth=1
	v_and_b32_e32 v6, 7, v114
	v_lshrrev_b32_e32 v18, 3, v24
	s_mov_b32 s16, exec_lo
	v_cmpx_gt_u32_e32 8, v24
; %bb.749:                              ;   in Loop: Header=BB256_550 Depth=1
	s_delay_alu instid0(VALU_DEP_3) | instskip(NEXT) | instid1(VALU_DEP_1)
	v_clz_i32_u32_e32 v18, v6
	v_min_u32_e32 v18, 32, v18
	s_delay_alu instid0(VALU_DEP_1) | instskip(SKIP_1) | instid1(VALU_DEP_2)
	v_subrev_nc_u32_e32 v19, 28, v18
	v_sub_nc_u32_e32 v18, 29, v18
	v_lshlrev_b64 v[115:116], v19, v[6:7]
	s_delay_alu instid0(VALU_DEP_1)
	v_and_b32_e32 v6, 7, v115
; %bb.750:                              ;   in Loop: Header=BB256_550 Depth=1
	s_or_b32 exec_lo, exec_lo, s16
	v_lshlrev_b32_e32 v19, 24, v114
	s_delay_alu instid0(VALU_DEP_2) | instskip(SKIP_1) | instid1(VALU_DEP_3)
	v_lshlrev_b32_e32 v6, 20, v6
	v_lshl_add_u32 v18, v18, 23, 0x3c000000
	v_and_b32_e32 v19, 0x80000000, v19
	s_delay_alu instid0(VALU_DEP_1)
	v_or3_b32 v19, v6, v19, v18
	v_mov_b32_e32 v18, v7
.LBB256_751:                            ;   in Loop: Header=BB256_550 Depth=1
	s_or_b32 exec_lo, exec_lo, s10
.LBB256_752:                            ;   in Loop: Header=BB256_550 Depth=1
	s_delay_alu instid0(SALU_CYCLE_1)
	s_or_b32 exec_lo, exec_lo, s15
.LBB256_753:                            ;   in Loop: Header=BB256_550 Depth=1
	s_delay_alu instid0(SALU_CYCLE_1) | instskip(SKIP_4) | instid1(VALU_DEP_4)
	s_or_b32 exec_lo, exec_lo, s13
	v_or_b32_e32 v5, v15, v5
	v_or_b32_e32 v4, v14, v4
	;; [unrolled: 1-line block ×4, first 2 shown]
	v_mul_f32_e32 v117, v65, v5
	s_delay_alu instid0(VALU_DEP_4) | instskip(NEXT) | instid1(VALU_DEP_4)
	v_mul_f32_e32 v116, v65, v4
	v_mul_f32_e32 v114, v65, v6
	s_delay_alu instid0(VALU_DEP_4)
	v_mul_f32_e32 v115, v65, v14
	s_and_saveexec_b32 s10, vcc_lo
; %bb.754:                              ;   in Loop: Header=BB256_550 Depth=1
	v_cmp_lt_i32_e64 s0, v70, v38
	s_delay_alu instid0(VALU_DEP_1) | instskip(SKIP_1) | instid1(VALU_DEP_1)
	v_cndmask_b32_e64 v116, 0, v116, s0
	v_cmp_lt_i32_e64 s0, v81, v38
	v_cndmask_b32_e64 v117, 0, v117, s0
	v_cmp_lt_i32_e64 s0, v80, v38
	s_delay_alu instid0(VALU_DEP_1) | instskip(SKIP_1) | instid1(VALU_DEP_1)
	v_cndmask_b32_e64 v115, 0, v115, s0
	v_cmp_lt_i32_e64 s0, v71, v38
	v_cndmask_b32_e64 v114, 0, v114, s0
; %bb.755:                              ;   in Loop: Header=BB256_550 Depth=1
	s_or_b32 exec_lo, exec_lo, s10
	flat_load_b32 v24, v[12:13] offset:768
	v_mov_b32_e32 v14, 0
	v_mov_b32_e32 v15, 0
	s_mov_b32 s10, exec_lo
	s_waitcnt vmcnt(0) lgkmcnt(0)
	v_and_b32_e32 v6, 0xff, v24
	s_delay_alu instid0(VALU_DEP_2) | instskip(NEXT) | instid1(VALU_DEP_2)
	v_dual_mov_b32 v4, v14 :: v_dual_mov_b32 v5, v15
	v_cmpx_ne_u16_e32 0, v6
	s_cbranch_execz .LBB256_763
; %bb.756:                              ;   in Loop: Header=BB256_550 Depth=1
	v_bfrev_b32_e32 v4, 1
	v_mov_b32_e32 v5, 0
	s_mov_b32 s13, exec_lo
	v_cmpx_ne_u16_e32 0x80, v6
	s_cbranch_execz .LBB256_762
; %bb.757:                              ;   in Loop: Header=BB256_550 Depth=1
	v_mov_b32_e32 v4, 0x7f800001
	v_dual_mov_b32 v5, 0 :: v_dual_and_b32 v16, 0x7f, v24
	s_mov_b32 s15, exec_lo
	s_delay_alu instid0(VALU_DEP_1)
	v_cmpx_ne_u32_e32 0x7f, v16
	s_cbranch_execz .LBB256_761
; %bb.758:                              ;   in Loop: Header=BB256_550 Depth=1
	v_and_b32_e32 v6, 7, v24
	v_lshrrev_b32_e32 v4, 3, v16
	s_mov_b32 s16, exec_lo
	v_cmpx_gt_u32_e32 8, v16
; %bb.759:                              ;   in Loop: Header=BB256_550 Depth=1
	s_delay_alu instid0(VALU_DEP_3) | instskip(NEXT) | instid1(VALU_DEP_1)
	v_clz_i32_u32_e32 v4, v6
	v_min_u32_e32 v4, 32, v4
	s_delay_alu instid0(VALU_DEP_1) | instskip(SKIP_1) | instid1(VALU_DEP_2)
	v_subrev_nc_u32_e32 v5, 28, v4
	v_sub_nc_u32_e32 v4, 29, v4
	v_lshlrev_b64 v[5:6], v5, v[6:7]
	s_delay_alu instid0(VALU_DEP_1)
	v_and_b32_e32 v6, 7, v5
; %bb.760:                              ;   in Loop: Header=BB256_550 Depth=1
	s_or_b32 exec_lo, exec_lo, s16
	v_lshlrev_b32_e32 v5, 24, v24
	s_delay_alu instid0(VALU_DEP_2) | instskip(SKIP_1) | instid1(VALU_DEP_3)
	v_lshlrev_b32_e32 v6, 20, v6
	v_lshl_add_u32 v4, v4, 23, 0x3c000000
	v_and_b32_e32 v5, 0x80000000, v5
	s_delay_alu instid0(VALU_DEP_1) | instskip(NEXT) | instid1(VALU_DEP_1)
	v_or3_b32 v6, v6, v5, v4
	v_dual_mov_b32 v4, v6 :: v_dual_mov_b32 v5, v7
.LBB256_761:                            ;   in Loop: Header=BB256_550 Depth=1
	s_or_b32 exec_lo, exec_lo, s15
.LBB256_762:                            ;   in Loop: Header=BB256_550 Depth=1
	s_delay_alu instid0(SALU_CYCLE_1)
	s_or_b32 exec_lo, exec_lo, s13
.LBB256_763:                            ;   in Loop: Header=BB256_550 Depth=1
	s_delay_alu instid0(SALU_CYCLE_1) | instskip(SKIP_2) | instid1(VALU_DEP_1)
	s_or_b32 exec_lo, exec_lo, s10
	v_lshrrev_b16 v6, 8, v24
	s_mov_b32 s13, exec_lo
	v_cmpx_ne_u16_e32 0, v6
	s_cbranch_execz .LBB256_771
; %bb.764:                              ;   in Loop: Header=BB256_550 Depth=1
	v_dual_mov_b32 v15, s9 :: v_dual_mov_b32 v14, s8
	s_mov_b32 s15, exec_lo
	v_cmpx_ne_u16_e32 0x80, v6
	s_cbranch_execz .LBB256_770
; %bb.765:                              ;   in Loop: Header=BB256_550 Depth=1
	s_mov_b32 s10, s8
	v_dual_mov_b32 v15, s11 :: v_dual_and_b32 v6, 0xffff, v6
	v_mov_b32_e32 v14, s10
	s_mov_b32 s10, exec_lo
	s_delay_alu instid0(VALU_DEP_2) | instskip(NEXT) | instid1(VALU_DEP_1)
	v_and_b32_e32 v16, 0x7f, v6
	v_cmpx_ne_u32_e32 0x7f, v16
	s_cbranch_execz .LBB256_769
; %bb.766:                              ;   in Loop: Header=BB256_550 Depth=1
	v_and_b32_e32 v6, 7, v6
	v_lshrrev_b32_e32 v14, 3, v16
	s_mov_b32 s16, exec_lo
	v_cmpx_gt_u32_e32 8, v16
; %bb.767:                              ;   in Loop: Header=BB256_550 Depth=1
	s_delay_alu instid0(VALU_DEP_3) | instskip(NEXT) | instid1(VALU_DEP_1)
	v_clz_i32_u32_e32 v14, v6
	v_min_u32_e32 v14, 32, v14
	s_delay_alu instid0(VALU_DEP_1) | instskip(SKIP_1) | instid1(VALU_DEP_2)
	v_subrev_nc_u32_e32 v15, 28, v14
	v_sub_nc_u32_e32 v14, 29, v14
	v_lshlrev_b64 v[15:16], v15, v[6:7]
	s_delay_alu instid0(VALU_DEP_1)
	v_and_b32_e32 v6, 7, v15
; %bb.768:                              ;   in Loop: Header=BB256_550 Depth=1
	s_or_b32 exec_lo, exec_lo, s16
	v_lshlrev_b32_e32 v15, 16, v24
	s_delay_alu instid0(VALU_DEP_2) | instskip(SKIP_1) | instid1(VALU_DEP_3)
	v_lshlrev_b32_e32 v6, 20, v6
	v_lshl_add_u32 v14, v14, 23, 0x3c000000
	v_and_b32_e32 v15, 0x80000000, v15
	s_delay_alu instid0(VALU_DEP_1)
	v_or3_b32 v15, v6, v15, v14
	v_mov_b32_e32 v14, v7
.LBB256_769:                            ;   in Loop: Header=BB256_550 Depth=1
	s_or_b32 exec_lo, exec_lo, s10
.LBB256_770:                            ;   in Loop: Header=BB256_550 Depth=1
	s_delay_alu instid0(SALU_CYCLE_1)
	s_or_b32 exec_lo, exec_lo, s15
.LBB256_771:                            ;   in Loop: Header=BB256_550 Depth=1
	s_delay_alu instid0(SALU_CYCLE_1) | instskip(SKIP_4) | instid1(VALU_DEP_2)
	s_or_b32 exec_lo, exec_lo, s13
	v_mov_b32_e32 v18, 0
	v_lshrrev_b32_e32 v118, 16, v24
	v_mov_b32_e32 v19, 0
	s_mov_b32 s10, exec_lo
	v_and_b32_e32 v6, 0xff, v118
	s_delay_alu instid0(VALU_DEP_2) | instskip(NEXT) | instid1(VALU_DEP_2)
	v_dual_mov_b32 v16, v18 :: v_dual_mov_b32 v17, v19
	v_cmpx_ne_u16_e32 0, v6
	s_cbranch_execz .LBB256_779
; %bb.772:                              ;   in Loop: Header=BB256_550 Depth=1
	v_bfrev_b32_e32 v16, 1
	v_mov_b32_e32 v17, 0
	s_mov_b32 s13, exec_lo
	v_cmpx_ne_u16_e32 0x80, v6
	s_cbranch_execz .LBB256_778
; %bb.773:                              ;   in Loop: Header=BB256_550 Depth=1
	v_mov_b32_e32 v16, 0x7f800001
	v_bfe_u32 v37, v24, 16, 7
	v_mov_b32_e32 v17, 0
	s_mov_b32 s15, exec_lo
	s_delay_alu instid0(VALU_DEP_2)
	v_cmpx_ne_u32_e32 0x7f, v37
	s_cbranch_execz .LBB256_777
; %bb.774:                              ;   in Loop: Header=BB256_550 Depth=1
	v_and_b32_e32 v6, 7, v118
	v_lshrrev_b32_e32 v16, 3, v37
	s_mov_b32 s16, exec_lo
	v_cmpx_gt_u32_e32 8, v37
; %bb.775:                              ;   in Loop: Header=BB256_550 Depth=1
	s_delay_alu instid0(VALU_DEP_3) | instskip(NEXT) | instid1(VALU_DEP_1)
	v_clz_i32_u32_e32 v16, v6
	v_min_u32_e32 v16, 32, v16
	s_delay_alu instid0(VALU_DEP_1) | instskip(SKIP_1) | instid1(VALU_DEP_2)
	v_subrev_nc_u32_e32 v17, 28, v16
	v_sub_nc_u32_e32 v16, 29, v16
	v_lshlrev_b64 v[128:129], v17, v[6:7]
	s_delay_alu instid0(VALU_DEP_1)
	v_and_b32_e32 v6, 7, v128
; %bb.776:                              ;   in Loop: Header=BB256_550 Depth=1
	s_or_b32 exec_lo, exec_lo, s16
	v_lshlrev_b32_e32 v17, 24, v118
	s_delay_alu instid0(VALU_DEP_2) | instskip(SKIP_1) | instid1(VALU_DEP_3)
	v_lshlrev_b32_e32 v6, 20, v6
	v_lshl_add_u32 v16, v16, 23, 0x3c000000
	v_and_b32_e32 v17, 0x80000000, v17
	s_delay_alu instid0(VALU_DEP_1) | instskip(NEXT) | instid1(VALU_DEP_1)
	v_or3_b32 v6, v6, v17, v16
	v_dual_mov_b32 v17, v7 :: v_dual_mov_b32 v16, v6
.LBB256_777:                            ;   in Loop: Header=BB256_550 Depth=1
	s_or_b32 exec_lo, exec_lo, s15
.LBB256_778:                            ;   in Loop: Header=BB256_550 Depth=1
	s_delay_alu instid0(SALU_CYCLE_1)
	s_or_b32 exec_lo, exec_lo, s13
.LBB256_779:                            ;   in Loop: Header=BB256_550 Depth=1
	s_delay_alu instid0(SALU_CYCLE_1) | instskip(NEXT) | instid1(SALU_CYCLE_1)
	s_or_b32 exec_lo, exec_lo, s10
	s_mov_b32 s13, exec_lo
	v_cmpx_lt_u32_e32 0xffffff, v24
	s_cbranch_execz .LBB256_787
; %bb.780:                              ;   in Loop: Header=BB256_550 Depth=1
	v_lshrrev_b32_e32 v118, 24, v24
	v_dual_mov_b32 v19, s9 :: v_dual_mov_b32 v18, s8
	s_mov_b32 s15, exec_lo
	s_delay_alu instid0(VALU_DEP_2)
	v_cmpx_ne_u32_e32 0x80, v118
	s_cbranch_execz .LBB256_786
; %bb.781:                              ;   in Loop: Header=BB256_550 Depth=1
	s_mov_b32 s10, s8
	v_bfe_u32 v24, v24, 24, 7
	v_dual_mov_b32 v19, s11 :: v_dual_mov_b32 v18, s10
	s_mov_b32 s10, exec_lo
	s_delay_alu instid0(VALU_DEP_2)
	v_cmpx_ne_u32_e32 0x7f, v24
	s_cbranch_execz .LBB256_785
; %bb.782:                              ;   in Loop: Header=BB256_550 Depth=1
	v_and_b32_e32 v6, 7, v118
	v_lshrrev_b32_e32 v18, 3, v24
	s_mov_b32 s16, exec_lo
	v_cmpx_gt_u32_e32 8, v24
; %bb.783:                              ;   in Loop: Header=BB256_550 Depth=1
	s_delay_alu instid0(VALU_DEP_3) | instskip(NEXT) | instid1(VALU_DEP_1)
	v_clz_i32_u32_e32 v18, v6
	v_min_u32_e32 v18, 32, v18
	s_delay_alu instid0(VALU_DEP_1) | instskip(SKIP_1) | instid1(VALU_DEP_2)
	v_subrev_nc_u32_e32 v19, 28, v18
	v_sub_nc_u32_e32 v18, 29, v18
	v_lshlrev_b64 v[128:129], v19, v[6:7]
	s_delay_alu instid0(VALU_DEP_1)
	v_and_b32_e32 v6, 7, v128
; %bb.784:                              ;   in Loop: Header=BB256_550 Depth=1
	s_or_b32 exec_lo, exec_lo, s16
	v_lshlrev_b32_e32 v19, 24, v118
	s_delay_alu instid0(VALU_DEP_2) | instskip(SKIP_1) | instid1(VALU_DEP_3)
	v_lshlrev_b32_e32 v6, 20, v6
	v_lshl_add_u32 v18, v18, 23, 0x3c000000
	v_and_b32_e32 v19, 0x80000000, v19
	s_delay_alu instid0(VALU_DEP_1)
	v_or3_b32 v19, v6, v19, v18
	v_mov_b32_e32 v18, v7
.LBB256_785:                            ;   in Loop: Header=BB256_550 Depth=1
	s_or_b32 exec_lo, exec_lo, s10
.LBB256_786:                            ;   in Loop: Header=BB256_550 Depth=1
	s_delay_alu instid0(SALU_CYCLE_1)
	s_or_b32 exec_lo, exec_lo, s15
.LBB256_787:                            ;   in Loop: Header=BB256_550 Depth=1
	s_delay_alu instid0(SALU_CYCLE_1) | instskip(SKIP_4) | instid1(VALU_DEP_4)
	s_or_b32 exec_lo, exec_lo, s13
	v_or_b32_e32 v5, v15, v5
	v_or_b32_e32 v4, v14, v4
	;; [unrolled: 1-line block ×4, first 2 shown]
	v_mul_f32_e32 v129, v65, v5
	s_delay_alu instid0(VALU_DEP_4) | instskip(NEXT) | instid1(VALU_DEP_4)
	v_mul_f32_e32 v128, v65, v4
	v_mul_f32_e32 v118, v65, v6
	s_delay_alu instid0(VALU_DEP_4)
	v_mul_f32_e32 v119, v65, v14
	s_and_saveexec_b32 s10, vcc_lo
; %bb.788:                              ;   in Loop: Header=BB256_550 Depth=1
	v_cmp_lt_i32_e64 s0, v70, v38
	s_delay_alu instid0(VALU_DEP_1) | instskip(SKIP_1) | instid1(VALU_DEP_1)
	v_cndmask_b32_e64 v128, 0, v128, s0
	v_cmp_lt_i32_e64 s0, v81, v38
	v_cndmask_b32_e64 v129, 0, v129, s0
	v_cmp_lt_i32_e64 s0, v80, v38
	s_delay_alu instid0(VALU_DEP_1) | instskip(SKIP_1) | instid1(VALU_DEP_1)
	v_cndmask_b32_e64 v119, 0, v119, s0
	v_cmp_lt_i32_e64 s0, v71, v38
	v_cndmask_b32_e64 v118, 0, v118, s0
; %bb.789:                              ;   in Loop: Header=BB256_550 Depth=1
	s_or_b32 exec_lo, exec_lo, s10
	flat_load_b32 v24, v[12:13] offset:896
	v_mov_b32_e32 v14, 0
	v_mov_b32_e32 v15, 0
	s_mov_b32 s10, exec_lo
	s_waitcnt vmcnt(0) lgkmcnt(0)
	v_and_b32_e32 v6, 0xff, v24
	s_delay_alu instid0(VALU_DEP_2) | instskip(NEXT) | instid1(VALU_DEP_2)
	v_dual_mov_b32 v4, v14 :: v_dual_mov_b32 v5, v15
	v_cmpx_ne_u16_e32 0, v6
	s_cbranch_execz .LBB256_797
; %bb.790:                              ;   in Loop: Header=BB256_550 Depth=1
	v_bfrev_b32_e32 v4, 1
	v_mov_b32_e32 v5, 0
	s_mov_b32 s13, exec_lo
	v_cmpx_ne_u16_e32 0x80, v6
	s_cbranch_execz .LBB256_796
; %bb.791:                              ;   in Loop: Header=BB256_550 Depth=1
	v_mov_b32_e32 v4, 0x7f800001
	v_dual_mov_b32 v5, 0 :: v_dual_and_b32 v16, 0x7f, v24
	s_mov_b32 s15, exec_lo
	s_delay_alu instid0(VALU_DEP_1)
	v_cmpx_ne_u32_e32 0x7f, v16
	s_cbranch_execz .LBB256_795
; %bb.792:                              ;   in Loop: Header=BB256_550 Depth=1
	v_and_b32_e32 v6, 7, v24
	v_lshrrev_b32_e32 v4, 3, v16
	s_mov_b32 s16, exec_lo
	v_cmpx_gt_u32_e32 8, v16
; %bb.793:                              ;   in Loop: Header=BB256_550 Depth=1
	s_delay_alu instid0(VALU_DEP_3) | instskip(NEXT) | instid1(VALU_DEP_1)
	v_clz_i32_u32_e32 v4, v6
	v_min_u32_e32 v4, 32, v4
	s_delay_alu instid0(VALU_DEP_1) | instskip(SKIP_1) | instid1(VALU_DEP_2)
	v_subrev_nc_u32_e32 v5, 28, v4
	v_sub_nc_u32_e32 v4, 29, v4
	v_lshlrev_b64 v[5:6], v5, v[6:7]
	s_delay_alu instid0(VALU_DEP_1)
	v_and_b32_e32 v6, 7, v5
; %bb.794:                              ;   in Loop: Header=BB256_550 Depth=1
	s_or_b32 exec_lo, exec_lo, s16
	v_lshlrev_b32_e32 v5, 24, v24
	s_delay_alu instid0(VALU_DEP_2) | instskip(SKIP_1) | instid1(VALU_DEP_3)
	v_lshlrev_b32_e32 v6, 20, v6
	v_lshl_add_u32 v4, v4, 23, 0x3c000000
	v_and_b32_e32 v5, 0x80000000, v5
	s_delay_alu instid0(VALU_DEP_1) | instskip(NEXT) | instid1(VALU_DEP_1)
	v_or3_b32 v6, v6, v5, v4
	v_dual_mov_b32 v4, v6 :: v_dual_mov_b32 v5, v7
.LBB256_795:                            ;   in Loop: Header=BB256_550 Depth=1
	s_or_b32 exec_lo, exec_lo, s15
.LBB256_796:                            ;   in Loop: Header=BB256_550 Depth=1
	s_delay_alu instid0(SALU_CYCLE_1)
	s_or_b32 exec_lo, exec_lo, s13
.LBB256_797:                            ;   in Loop: Header=BB256_550 Depth=1
	s_delay_alu instid0(SALU_CYCLE_1) | instskip(SKIP_2) | instid1(VALU_DEP_1)
	s_or_b32 exec_lo, exec_lo, s10
	v_lshrrev_b16 v6, 8, v24
	s_mov_b32 s13, exec_lo
	v_cmpx_ne_u16_e32 0, v6
	s_cbranch_execz .LBB256_805
; %bb.798:                              ;   in Loop: Header=BB256_550 Depth=1
	v_dual_mov_b32 v15, s9 :: v_dual_mov_b32 v14, s8
	s_mov_b32 s15, exec_lo
	v_cmpx_ne_u16_e32 0x80, v6
	s_cbranch_execz .LBB256_804
; %bb.799:                              ;   in Loop: Header=BB256_550 Depth=1
	s_mov_b32 s10, s8
	v_dual_mov_b32 v15, s11 :: v_dual_and_b32 v6, 0xffff, v6
	v_mov_b32_e32 v14, s10
	s_mov_b32 s10, exec_lo
	s_delay_alu instid0(VALU_DEP_2) | instskip(NEXT) | instid1(VALU_DEP_1)
	v_and_b32_e32 v16, 0x7f, v6
	v_cmpx_ne_u32_e32 0x7f, v16
	s_cbranch_execz .LBB256_803
; %bb.800:                              ;   in Loop: Header=BB256_550 Depth=1
	v_and_b32_e32 v6, 7, v6
	v_lshrrev_b32_e32 v14, 3, v16
	s_mov_b32 s16, exec_lo
	v_cmpx_gt_u32_e32 8, v16
; %bb.801:                              ;   in Loop: Header=BB256_550 Depth=1
	s_delay_alu instid0(VALU_DEP_3) | instskip(NEXT) | instid1(VALU_DEP_1)
	v_clz_i32_u32_e32 v14, v6
	v_min_u32_e32 v14, 32, v14
	s_delay_alu instid0(VALU_DEP_1) | instskip(SKIP_1) | instid1(VALU_DEP_2)
	v_subrev_nc_u32_e32 v15, 28, v14
	v_sub_nc_u32_e32 v14, 29, v14
	v_lshlrev_b64 v[15:16], v15, v[6:7]
	s_delay_alu instid0(VALU_DEP_1)
	v_and_b32_e32 v6, 7, v15
; %bb.802:                              ;   in Loop: Header=BB256_550 Depth=1
	s_or_b32 exec_lo, exec_lo, s16
	v_lshlrev_b32_e32 v15, 16, v24
	s_delay_alu instid0(VALU_DEP_2) | instskip(SKIP_1) | instid1(VALU_DEP_3)
	v_lshlrev_b32_e32 v6, 20, v6
	v_lshl_add_u32 v14, v14, 23, 0x3c000000
	v_and_b32_e32 v15, 0x80000000, v15
	s_delay_alu instid0(VALU_DEP_1)
	v_or3_b32 v15, v6, v15, v14
	v_mov_b32_e32 v14, v7
.LBB256_803:                            ;   in Loop: Header=BB256_550 Depth=1
	s_or_b32 exec_lo, exec_lo, s10
.LBB256_804:                            ;   in Loop: Header=BB256_550 Depth=1
	s_delay_alu instid0(SALU_CYCLE_1)
	s_or_b32 exec_lo, exec_lo, s15
.LBB256_805:                            ;   in Loop: Header=BB256_550 Depth=1
	s_delay_alu instid0(SALU_CYCLE_1) | instskip(SKIP_4) | instid1(VALU_DEP_2)
	s_or_b32 exec_lo, exec_lo, s13
	v_mov_b32_e32 v18, 0
	v_lshrrev_b32_e32 v130, 16, v24
	v_mov_b32_e32 v19, 0
	s_mov_b32 s10, exec_lo
	v_and_b32_e32 v6, 0xff, v130
	s_delay_alu instid0(VALU_DEP_2) | instskip(NEXT) | instid1(VALU_DEP_2)
	v_dual_mov_b32 v16, v18 :: v_dual_mov_b32 v17, v19
	v_cmpx_ne_u16_e32 0, v6
	s_cbranch_execz .LBB256_813
; %bb.806:                              ;   in Loop: Header=BB256_550 Depth=1
	v_bfrev_b32_e32 v16, 1
	v_mov_b32_e32 v17, 0
	s_mov_b32 s13, exec_lo
	v_cmpx_ne_u16_e32 0x80, v6
	s_cbranch_execz .LBB256_812
; %bb.807:                              ;   in Loop: Header=BB256_550 Depth=1
	v_mov_b32_e32 v16, 0x7f800001
	v_bfe_u32 v37, v24, 16, 7
	v_mov_b32_e32 v17, 0
	s_mov_b32 s15, exec_lo
	s_delay_alu instid0(VALU_DEP_2)
	v_cmpx_ne_u32_e32 0x7f, v37
	s_cbranch_execz .LBB256_811
; %bb.808:                              ;   in Loop: Header=BB256_550 Depth=1
	v_and_b32_e32 v6, 7, v130
	v_lshrrev_b32_e32 v16, 3, v37
	s_mov_b32 s16, exec_lo
	v_cmpx_gt_u32_e32 8, v37
; %bb.809:                              ;   in Loop: Header=BB256_550 Depth=1
	s_delay_alu instid0(VALU_DEP_3) | instskip(NEXT) | instid1(VALU_DEP_1)
	v_clz_i32_u32_e32 v16, v6
	v_min_u32_e32 v16, 32, v16
	s_delay_alu instid0(VALU_DEP_1) | instskip(SKIP_1) | instid1(VALU_DEP_2)
	v_subrev_nc_u32_e32 v17, 28, v16
	v_sub_nc_u32_e32 v16, 29, v16
	v_lshlrev_b64 v[131:132], v17, v[6:7]
	s_delay_alu instid0(VALU_DEP_1)
	v_and_b32_e32 v6, 7, v131
; %bb.810:                              ;   in Loop: Header=BB256_550 Depth=1
	s_or_b32 exec_lo, exec_lo, s16
	v_lshlrev_b32_e32 v17, 24, v130
	s_delay_alu instid0(VALU_DEP_2) | instskip(SKIP_1) | instid1(VALU_DEP_3)
	v_lshlrev_b32_e32 v6, 20, v6
	v_lshl_add_u32 v16, v16, 23, 0x3c000000
	v_and_b32_e32 v17, 0x80000000, v17
	s_delay_alu instid0(VALU_DEP_1) | instskip(NEXT) | instid1(VALU_DEP_1)
	v_or3_b32 v6, v6, v17, v16
	v_dual_mov_b32 v17, v7 :: v_dual_mov_b32 v16, v6
.LBB256_811:                            ;   in Loop: Header=BB256_550 Depth=1
	s_or_b32 exec_lo, exec_lo, s15
.LBB256_812:                            ;   in Loop: Header=BB256_550 Depth=1
	s_delay_alu instid0(SALU_CYCLE_1)
	s_or_b32 exec_lo, exec_lo, s13
.LBB256_813:                            ;   in Loop: Header=BB256_550 Depth=1
	s_delay_alu instid0(SALU_CYCLE_1) | instskip(NEXT) | instid1(SALU_CYCLE_1)
	s_or_b32 exec_lo, exec_lo, s10
	s_mov_b32 s13, exec_lo
	v_cmpx_lt_u32_e32 0xffffff, v24
	s_cbranch_execz .LBB256_821
; %bb.814:                              ;   in Loop: Header=BB256_550 Depth=1
	v_lshrrev_b32_e32 v130, 24, v24
	v_dual_mov_b32 v19, s9 :: v_dual_mov_b32 v18, s8
	s_mov_b32 s15, exec_lo
	s_delay_alu instid0(VALU_DEP_2)
	v_cmpx_ne_u32_e32 0x80, v130
	s_cbranch_execz .LBB256_820
; %bb.815:                              ;   in Loop: Header=BB256_550 Depth=1
	s_mov_b32 s10, s8
	v_bfe_u32 v24, v24, 24, 7
	v_dual_mov_b32 v19, s11 :: v_dual_mov_b32 v18, s10
	s_mov_b32 s10, exec_lo
	s_delay_alu instid0(VALU_DEP_2)
	v_cmpx_ne_u32_e32 0x7f, v24
	s_cbranch_execz .LBB256_819
; %bb.816:                              ;   in Loop: Header=BB256_550 Depth=1
	v_and_b32_e32 v6, 7, v130
	v_lshrrev_b32_e32 v18, 3, v24
	s_mov_b32 s16, exec_lo
	v_cmpx_gt_u32_e32 8, v24
; %bb.817:                              ;   in Loop: Header=BB256_550 Depth=1
	s_delay_alu instid0(VALU_DEP_3) | instskip(NEXT) | instid1(VALU_DEP_1)
	v_clz_i32_u32_e32 v18, v6
	v_min_u32_e32 v18, 32, v18
	s_delay_alu instid0(VALU_DEP_1) | instskip(SKIP_1) | instid1(VALU_DEP_2)
	v_subrev_nc_u32_e32 v19, 28, v18
	v_sub_nc_u32_e32 v18, 29, v18
	v_lshlrev_b64 v[131:132], v19, v[6:7]
	s_delay_alu instid0(VALU_DEP_1)
	v_and_b32_e32 v6, 7, v131
; %bb.818:                              ;   in Loop: Header=BB256_550 Depth=1
	s_or_b32 exec_lo, exec_lo, s16
	v_lshlrev_b32_e32 v19, 24, v130
	s_delay_alu instid0(VALU_DEP_2) | instskip(SKIP_1) | instid1(VALU_DEP_3)
	v_lshlrev_b32_e32 v6, 20, v6
	v_lshl_add_u32 v18, v18, 23, 0x3c000000
	v_and_b32_e32 v19, 0x80000000, v19
	s_delay_alu instid0(VALU_DEP_1)
	v_or3_b32 v19, v6, v19, v18
	v_mov_b32_e32 v18, v7
.LBB256_819:                            ;   in Loop: Header=BB256_550 Depth=1
	s_or_b32 exec_lo, exec_lo, s10
.LBB256_820:                            ;   in Loop: Header=BB256_550 Depth=1
	s_delay_alu instid0(SALU_CYCLE_1)
	s_or_b32 exec_lo, exec_lo, s15
.LBB256_821:                            ;   in Loop: Header=BB256_550 Depth=1
	s_delay_alu instid0(SALU_CYCLE_1) | instskip(SKIP_4) | instid1(VALU_DEP_4)
	s_or_b32 exec_lo, exec_lo, s13
	v_or_b32_e32 v5, v15, v5
	v_or_b32_e32 v4, v14, v4
	;; [unrolled: 1-line block ×4, first 2 shown]
	v_mul_f32_e32 v133, v65, v5
	s_delay_alu instid0(VALU_DEP_4) | instskip(NEXT) | instid1(VALU_DEP_4)
	v_mul_f32_e32 v132, v65, v4
	v_mul_f32_e32 v130, v65, v6
	s_delay_alu instid0(VALU_DEP_4)
	v_mul_f32_e32 v131, v65, v14
	s_and_saveexec_b32 s10, vcc_lo
; %bb.822:                              ;   in Loop: Header=BB256_550 Depth=1
	v_cmp_lt_i32_e64 s0, v70, v38
	s_delay_alu instid0(VALU_DEP_1) | instskip(SKIP_1) | instid1(VALU_DEP_1)
	v_cndmask_b32_e64 v132, 0, v132, s0
	v_cmp_lt_i32_e64 s0, v81, v38
	v_cndmask_b32_e64 v133, 0, v133, s0
	v_cmp_lt_i32_e64 s0, v80, v38
	s_delay_alu instid0(VALU_DEP_1) | instskip(SKIP_1) | instid1(VALU_DEP_1)
	v_cndmask_b32_e64 v131, 0, v131, s0
	v_cmp_lt_i32_e64 s0, v71, v38
	v_cndmask_b32_e64 v130, 0, v130, s0
; %bb.823:                              ;   in Loop: Header=BB256_550 Depth=1
	s_or_b32 exec_lo, exec_lo, s10
	flat_load_b32 v24, v[12:13] offset:1024
	v_mov_b32_e32 v14, 0
	v_mov_b32_e32 v15, 0
	s_mov_b32 s10, exec_lo
	s_waitcnt vmcnt(0) lgkmcnt(0)
	v_and_b32_e32 v6, 0xff, v24
	s_delay_alu instid0(VALU_DEP_2) | instskip(NEXT) | instid1(VALU_DEP_2)
	v_dual_mov_b32 v4, v14 :: v_dual_mov_b32 v5, v15
	v_cmpx_ne_u16_e32 0, v6
	s_cbranch_execz .LBB256_831
; %bb.824:                              ;   in Loop: Header=BB256_550 Depth=1
	v_bfrev_b32_e32 v4, 1
	v_mov_b32_e32 v5, 0
	s_mov_b32 s13, exec_lo
	v_cmpx_ne_u16_e32 0x80, v6
	s_cbranch_execz .LBB256_830
; %bb.825:                              ;   in Loop: Header=BB256_550 Depth=1
	v_mov_b32_e32 v4, 0x7f800001
	v_dual_mov_b32 v5, 0 :: v_dual_and_b32 v16, 0x7f, v24
	s_mov_b32 s15, exec_lo
	s_delay_alu instid0(VALU_DEP_1)
	v_cmpx_ne_u32_e32 0x7f, v16
	s_cbranch_execz .LBB256_829
; %bb.826:                              ;   in Loop: Header=BB256_550 Depth=1
	v_and_b32_e32 v6, 7, v24
	v_lshrrev_b32_e32 v4, 3, v16
	s_mov_b32 s16, exec_lo
	v_cmpx_gt_u32_e32 8, v16
; %bb.827:                              ;   in Loop: Header=BB256_550 Depth=1
	s_delay_alu instid0(VALU_DEP_3) | instskip(NEXT) | instid1(VALU_DEP_1)
	v_clz_i32_u32_e32 v4, v6
	v_min_u32_e32 v4, 32, v4
	s_delay_alu instid0(VALU_DEP_1) | instskip(SKIP_1) | instid1(VALU_DEP_2)
	v_subrev_nc_u32_e32 v5, 28, v4
	v_sub_nc_u32_e32 v4, 29, v4
	v_lshlrev_b64 v[5:6], v5, v[6:7]
	s_delay_alu instid0(VALU_DEP_1)
	v_and_b32_e32 v6, 7, v5
; %bb.828:                              ;   in Loop: Header=BB256_550 Depth=1
	s_or_b32 exec_lo, exec_lo, s16
	v_lshlrev_b32_e32 v5, 24, v24
	s_delay_alu instid0(VALU_DEP_2) | instskip(SKIP_1) | instid1(VALU_DEP_3)
	v_lshlrev_b32_e32 v6, 20, v6
	v_lshl_add_u32 v4, v4, 23, 0x3c000000
	v_and_b32_e32 v5, 0x80000000, v5
	s_delay_alu instid0(VALU_DEP_1) | instskip(NEXT) | instid1(VALU_DEP_1)
	v_or3_b32 v6, v6, v5, v4
	v_dual_mov_b32 v4, v6 :: v_dual_mov_b32 v5, v7
.LBB256_829:                            ;   in Loop: Header=BB256_550 Depth=1
	s_or_b32 exec_lo, exec_lo, s15
.LBB256_830:                            ;   in Loop: Header=BB256_550 Depth=1
	s_delay_alu instid0(SALU_CYCLE_1)
	s_or_b32 exec_lo, exec_lo, s13
.LBB256_831:                            ;   in Loop: Header=BB256_550 Depth=1
	s_delay_alu instid0(SALU_CYCLE_1) | instskip(SKIP_2) | instid1(VALU_DEP_1)
	s_or_b32 exec_lo, exec_lo, s10
	v_lshrrev_b16 v6, 8, v24
	s_mov_b32 s13, exec_lo
	v_cmpx_ne_u16_e32 0, v6
	s_cbranch_execz .LBB256_839
; %bb.832:                              ;   in Loop: Header=BB256_550 Depth=1
	v_dual_mov_b32 v15, s9 :: v_dual_mov_b32 v14, s8
	s_mov_b32 s15, exec_lo
	v_cmpx_ne_u16_e32 0x80, v6
	s_cbranch_execz .LBB256_838
; %bb.833:                              ;   in Loop: Header=BB256_550 Depth=1
	s_mov_b32 s10, s8
	v_dual_mov_b32 v15, s11 :: v_dual_and_b32 v6, 0xffff, v6
	v_mov_b32_e32 v14, s10
	s_mov_b32 s10, exec_lo
	s_delay_alu instid0(VALU_DEP_2) | instskip(NEXT) | instid1(VALU_DEP_1)
	v_and_b32_e32 v16, 0x7f, v6
	v_cmpx_ne_u32_e32 0x7f, v16
	s_cbranch_execz .LBB256_837
; %bb.834:                              ;   in Loop: Header=BB256_550 Depth=1
	v_and_b32_e32 v6, 7, v6
	v_lshrrev_b32_e32 v14, 3, v16
	s_mov_b32 s16, exec_lo
	v_cmpx_gt_u32_e32 8, v16
; %bb.835:                              ;   in Loop: Header=BB256_550 Depth=1
	s_delay_alu instid0(VALU_DEP_3) | instskip(NEXT) | instid1(VALU_DEP_1)
	v_clz_i32_u32_e32 v14, v6
	v_min_u32_e32 v14, 32, v14
	s_delay_alu instid0(VALU_DEP_1) | instskip(SKIP_1) | instid1(VALU_DEP_2)
	v_subrev_nc_u32_e32 v15, 28, v14
	v_sub_nc_u32_e32 v14, 29, v14
	v_lshlrev_b64 v[15:16], v15, v[6:7]
	s_delay_alu instid0(VALU_DEP_1)
	v_and_b32_e32 v6, 7, v15
; %bb.836:                              ;   in Loop: Header=BB256_550 Depth=1
	s_or_b32 exec_lo, exec_lo, s16
	v_lshlrev_b32_e32 v15, 16, v24
	s_delay_alu instid0(VALU_DEP_2) | instskip(SKIP_1) | instid1(VALU_DEP_3)
	v_lshlrev_b32_e32 v6, 20, v6
	v_lshl_add_u32 v14, v14, 23, 0x3c000000
	v_and_b32_e32 v15, 0x80000000, v15
	s_delay_alu instid0(VALU_DEP_1)
	v_or3_b32 v15, v6, v15, v14
	v_mov_b32_e32 v14, v7
.LBB256_837:                            ;   in Loop: Header=BB256_550 Depth=1
	s_or_b32 exec_lo, exec_lo, s10
.LBB256_838:                            ;   in Loop: Header=BB256_550 Depth=1
	s_delay_alu instid0(SALU_CYCLE_1)
	s_or_b32 exec_lo, exec_lo, s15
.LBB256_839:                            ;   in Loop: Header=BB256_550 Depth=1
	s_delay_alu instid0(SALU_CYCLE_1) | instskip(SKIP_4) | instid1(VALU_DEP_2)
	s_or_b32 exec_lo, exec_lo, s13
	v_mov_b32_e32 v18, 0
	v_lshrrev_b32_e32 v134, 16, v24
	v_mov_b32_e32 v19, 0
	s_mov_b32 s10, exec_lo
	v_and_b32_e32 v6, 0xff, v134
	s_delay_alu instid0(VALU_DEP_2) | instskip(NEXT) | instid1(VALU_DEP_2)
	v_dual_mov_b32 v16, v18 :: v_dual_mov_b32 v17, v19
	v_cmpx_ne_u16_e32 0, v6
	s_cbranch_execz .LBB256_847
; %bb.840:                              ;   in Loop: Header=BB256_550 Depth=1
	v_bfrev_b32_e32 v16, 1
	v_mov_b32_e32 v17, 0
	s_mov_b32 s13, exec_lo
	v_cmpx_ne_u16_e32 0x80, v6
	s_cbranch_execz .LBB256_846
; %bb.841:                              ;   in Loop: Header=BB256_550 Depth=1
	v_mov_b32_e32 v16, 0x7f800001
	v_bfe_u32 v37, v24, 16, 7
	v_mov_b32_e32 v17, 0
	s_mov_b32 s15, exec_lo
	s_delay_alu instid0(VALU_DEP_2)
	v_cmpx_ne_u32_e32 0x7f, v37
	s_cbranch_execz .LBB256_845
; %bb.842:                              ;   in Loop: Header=BB256_550 Depth=1
	v_and_b32_e32 v6, 7, v134
	v_lshrrev_b32_e32 v16, 3, v37
	s_mov_b32 s16, exec_lo
	v_cmpx_gt_u32_e32 8, v37
; %bb.843:                              ;   in Loop: Header=BB256_550 Depth=1
	s_delay_alu instid0(VALU_DEP_3) | instskip(NEXT) | instid1(VALU_DEP_1)
	v_clz_i32_u32_e32 v16, v6
	v_min_u32_e32 v16, 32, v16
	s_delay_alu instid0(VALU_DEP_1) | instskip(SKIP_1) | instid1(VALU_DEP_2)
	v_subrev_nc_u32_e32 v17, 28, v16
	v_sub_nc_u32_e32 v16, 29, v16
	v_lshlrev_b64 v[145:146], v17, v[6:7]
	s_delay_alu instid0(VALU_DEP_1)
	v_and_b32_e32 v6, 7, v145
; %bb.844:                              ;   in Loop: Header=BB256_550 Depth=1
	s_or_b32 exec_lo, exec_lo, s16
	v_lshlrev_b32_e32 v17, 24, v134
	s_delay_alu instid0(VALU_DEP_2) | instskip(SKIP_1) | instid1(VALU_DEP_3)
	v_lshlrev_b32_e32 v6, 20, v6
	v_lshl_add_u32 v16, v16, 23, 0x3c000000
	v_and_b32_e32 v17, 0x80000000, v17
	s_delay_alu instid0(VALU_DEP_1) | instskip(NEXT) | instid1(VALU_DEP_1)
	v_or3_b32 v6, v6, v17, v16
	v_dual_mov_b32 v17, v7 :: v_dual_mov_b32 v16, v6
.LBB256_845:                            ;   in Loop: Header=BB256_550 Depth=1
	s_or_b32 exec_lo, exec_lo, s15
.LBB256_846:                            ;   in Loop: Header=BB256_550 Depth=1
	s_delay_alu instid0(SALU_CYCLE_1)
	s_or_b32 exec_lo, exec_lo, s13
.LBB256_847:                            ;   in Loop: Header=BB256_550 Depth=1
	s_delay_alu instid0(SALU_CYCLE_1) | instskip(NEXT) | instid1(SALU_CYCLE_1)
	s_or_b32 exec_lo, exec_lo, s10
	s_mov_b32 s13, exec_lo
	v_cmpx_lt_u32_e32 0xffffff, v24
	s_cbranch_execz .LBB256_855
; %bb.848:                              ;   in Loop: Header=BB256_550 Depth=1
	v_lshrrev_b32_e32 v134, 24, v24
	v_dual_mov_b32 v19, s9 :: v_dual_mov_b32 v18, s8
	s_mov_b32 s15, exec_lo
	s_delay_alu instid0(VALU_DEP_2)
	v_cmpx_ne_u32_e32 0x80, v134
	s_cbranch_execz .LBB256_854
; %bb.849:                              ;   in Loop: Header=BB256_550 Depth=1
	s_mov_b32 s10, s8
	v_bfe_u32 v24, v24, 24, 7
	v_dual_mov_b32 v19, s11 :: v_dual_mov_b32 v18, s10
	s_mov_b32 s10, exec_lo
	s_delay_alu instid0(VALU_DEP_2)
	v_cmpx_ne_u32_e32 0x7f, v24
	s_cbranch_execz .LBB256_853
; %bb.850:                              ;   in Loop: Header=BB256_550 Depth=1
	v_and_b32_e32 v6, 7, v134
	v_lshrrev_b32_e32 v18, 3, v24
	s_mov_b32 s16, exec_lo
	v_cmpx_gt_u32_e32 8, v24
; %bb.851:                              ;   in Loop: Header=BB256_550 Depth=1
	s_delay_alu instid0(VALU_DEP_3) | instskip(NEXT) | instid1(VALU_DEP_1)
	v_clz_i32_u32_e32 v18, v6
	v_min_u32_e32 v18, 32, v18
	s_delay_alu instid0(VALU_DEP_1) | instskip(SKIP_1) | instid1(VALU_DEP_2)
	v_subrev_nc_u32_e32 v19, 28, v18
	v_sub_nc_u32_e32 v18, 29, v18
	v_lshlrev_b64 v[145:146], v19, v[6:7]
	s_delay_alu instid0(VALU_DEP_1)
	v_and_b32_e32 v6, 7, v145
; %bb.852:                              ;   in Loop: Header=BB256_550 Depth=1
	s_or_b32 exec_lo, exec_lo, s16
	v_lshlrev_b32_e32 v19, 24, v134
	s_delay_alu instid0(VALU_DEP_2) | instskip(SKIP_1) | instid1(VALU_DEP_3)
	v_lshlrev_b32_e32 v6, 20, v6
	v_lshl_add_u32 v18, v18, 23, 0x3c000000
	v_and_b32_e32 v19, 0x80000000, v19
	s_delay_alu instid0(VALU_DEP_1)
	v_or3_b32 v19, v6, v19, v18
	v_mov_b32_e32 v18, v7
.LBB256_853:                            ;   in Loop: Header=BB256_550 Depth=1
	s_or_b32 exec_lo, exec_lo, s10
.LBB256_854:                            ;   in Loop: Header=BB256_550 Depth=1
	s_delay_alu instid0(SALU_CYCLE_1)
	s_or_b32 exec_lo, exec_lo, s15
.LBB256_855:                            ;   in Loop: Header=BB256_550 Depth=1
	s_delay_alu instid0(SALU_CYCLE_1) | instskip(SKIP_4) | instid1(VALU_DEP_4)
	s_or_b32 exec_lo, exec_lo, s13
	v_or_b32_e32 v5, v15, v5
	v_or_b32_e32 v4, v14, v4
	;; [unrolled: 1-line block ×4, first 2 shown]
	v_mul_f32_e32 v146, v65, v5
	s_delay_alu instid0(VALU_DEP_4) | instskip(NEXT) | instid1(VALU_DEP_4)
	v_mul_f32_e32 v145, v65, v4
	v_mul_f32_e32 v134, v65, v6
	s_delay_alu instid0(VALU_DEP_4)
	v_mul_f32_e32 v135, v65, v14
	s_and_saveexec_b32 s10, vcc_lo
; %bb.856:                              ;   in Loop: Header=BB256_550 Depth=1
	v_cmp_lt_i32_e64 s0, v70, v38
	s_delay_alu instid0(VALU_DEP_1) | instskip(SKIP_1) | instid1(VALU_DEP_1)
	v_cndmask_b32_e64 v145, 0, v145, s0
	v_cmp_lt_i32_e64 s0, v81, v38
	v_cndmask_b32_e64 v146, 0, v146, s0
	v_cmp_lt_i32_e64 s0, v80, v38
	s_delay_alu instid0(VALU_DEP_1) | instskip(SKIP_1) | instid1(VALU_DEP_1)
	v_cndmask_b32_e64 v135, 0, v135, s0
	v_cmp_lt_i32_e64 s0, v71, v38
	v_cndmask_b32_e64 v134, 0, v134, s0
; %bb.857:                              ;   in Loop: Header=BB256_550 Depth=1
	s_or_b32 exec_lo, exec_lo, s10
	flat_load_b32 v24, v[12:13] offset:1152
	v_mov_b32_e32 v14, 0
	v_mov_b32_e32 v15, 0
	s_mov_b32 s10, exec_lo
	s_waitcnt vmcnt(0) lgkmcnt(0)
	v_and_b32_e32 v6, 0xff, v24
	s_delay_alu instid0(VALU_DEP_2) | instskip(NEXT) | instid1(VALU_DEP_2)
	v_dual_mov_b32 v4, v14 :: v_dual_mov_b32 v5, v15
	v_cmpx_ne_u16_e32 0, v6
	s_cbranch_execz .LBB256_865
; %bb.858:                              ;   in Loop: Header=BB256_550 Depth=1
	v_bfrev_b32_e32 v4, 1
	v_mov_b32_e32 v5, 0
	s_mov_b32 s13, exec_lo
	v_cmpx_ne_u16_e32 0x80, v6
	s_cbranch_execz .LBB256_864
; %bb.859:                              ;   in Loop: Header=BB256_550 Depth=1
	v_mov_b32_e32 v4, 0x7f800001
	v_dual_mov_b32 v5, 0 :: v_dual_and_b32 v16, 0x7f, v24
	s_mov_b32 s15, exec_lo
	s_delay_alu instid0(VALU_DEP_1)
	v_cmpx_ne_u32_e32 0x7f, v16
	s_cbranch_execz .LBB256_863
; %bb.860:                              ;   in Loop: Header=BB256_550 Depth=1
	v_and_b32_e32 v6, 7, v24
	v_lshrrev_b32_e32 v4, 3, v16
	s_mov_b32 s16, exec_lo
	v_cmpx_gt_u32_e32 8, v16
; %bb.861:                              ;   in Loop: Header=BB256_550 Depth=1
	s_delay_alu instid0(VALU_DEP_3) | instskip(NEXT) | instid1(VALU_DEP_1)
	v_clz_i32_u32_e32 v4, v6
	v_min_u32_e32 v4, 32, v4
	s_delay_alu instid0(VALU_DEP_1) | instskip(SKIP_1) | instid1(VALU_DEP_2)
	v_subrev_nc_u32_e32 v5, 28, v4
	v_sub_nc_u32_e32 v4, 29, v4
	v_lshlrev_b64 v[5:6], v5, v[6:7]
	s_delay_alu instid0(VALU_DEP_1)
	v_and_b32_e32 v6, 7, v5
; %bb.862:                              ;   in Loop: Header=BB256_550 Depth=1
	s_or_b32 exec_lo, exec_lo, s16
	v_lshlrev_b32_e32 v5, 24, v24
	s_delay_alu instid0(VALU_DEP_2) | instskip(SKIP_1) | instid1(VALU_DEP_3)
	v_lshlrev_b32_e32 v6, 20, v6
	v_lshl_add_u32 v4, v4, 23, 0x3c000000
	v_and_b32_e32 v5, 0x80000000, v5
	s_delay_alu instid0(VALU_DEP_1) | instskip(NEXT) | instid1(VALU_DEP_1)
	v_or3_b32 v6, v6, v5, v4
	v_dual_mov_b32 v4, v6 :: v_dual_mov_b32 v5, v7
.LBB256_863:                            ;   in Loop: Header=BB256_550 Depth=1
	s_or_b32 exec_lo, exec_lo, s15
.LBB256_864:                            ;   in Loop: Header=BB256_550 Depth=1
	s_delay_alu instid0(SALU_CYCLE_1)
	s_or_b32 exec_lo, exec_lo, s13
.LBB256_865:                            ;   in Loop: Header=BB256_550 Depth=1
	s_delay_alu instid0(SALU_CYCLE_1) | instskip(SKIP_2) | instid1(VALU_DEP_1)
	s_or_b32 exec_lo, exec_lo, s10
	v_lshrrev_b16 v6, 8, v24
	s_mov_b32 s13, exec_lo
	v_cmpx_ne_u16_e32 0, v6
	s_cbranch_execz .LBB256_873
; %bb.866:                              ;   in Loop: Header=BB256_550 Depth=1
	v_dual_mov_b32 v15, s9 :: v_dual_mov_b32 v14, s8
	s_mov_b32 s15, exec_lo
	v_cmpx_ne_u16_e32 0x80, v6
	s_cbranch_execz .LBB256_872
; %bb.867:                              ;   in Loop: Header=BB256_550 Depth=1
	s_mov_b32 s10, s8
	v_dual_mov_b32 v15, s11 :: v_dual_and_b32 v6, 0xffff, v6
	v_mov_b32_e32 v14, s10
	s_mov_b32 s10, exec_lo
	s_delay_alu instid0(VALU_DEP_2) | instskip(NEXT) | instid1(VALU_DEP_1)
	v_and_b32_e32 v16, 0x7f, v6
	v_cmpx_ne_u32_e32 0x7f, v16
	s_cbranch_execz .LBB256_871
; %bb.868:                              ;   in Loop: Header=BB256_550 Depth=1
	v_and_b32_e32 v6, 7, v6
	v_lshrrev_b32_e32 v14, 3, v16
	s_mov_b32 s16, exec_lo
	v_cmpx_gt_u32_e32 8, v16
; %bb.869:                              ;   in Loop: Header=BB256_550 Depth=1
	s_delay_alu instid0(VALU_DEP_3) | instskip(NEXT) | instid1(VALU_DEP_1)
	v_clz_i32_u32_e32 v14, v6
	v_min_u32_e32 v14, 32, v14
	s_delay_alu instid0(VALU_DEP_1) | instskip(SKIP_1) | instid1(VALU_DEP_2)
	v_subrev_nc_u32_e32 v15, 28, v14
	v_sub_nc_u32_e32 v14, 29, v14
	v_lshlrev_b64 v[15:16], v15, v[6:7]
	s_delay_alu instid0(VALU_DEP_1)
	v_and_b32_e32 v6, 7, v15
; %bb.870:                              ;   in Loop: Header=BB256_550 Depth=1
	s_or_b32 exec_lo, exec_lo, s16
	v_lshlrev_b32_e32 v15, 16, v24
	s_delay_alu instid0(VALU_DEP_2) | instskip(SKIP_1) | instid1(VALU_DEP_3)
	v_lshlrev_b32_e32 v6, 20, v6
	v_lshl_add_u32 v14, v14, 23, 0x3c000000
	v_and_b32_e32 v15, 0x80000000, v15
	s_delay_alu instid0(VALU_DEP_1)
	v_or3_b32 v15, v6, v15, v14
	v_mov_b32_e32 v14, v7
.LBB256_871:                            ;   in Loop: Header=BB256_550 Depth=1
	s_or_b32 exec_lo, exec_lo, s10
.LBB256_872:                            ;   in Loop: Header=BB256_550 Depth=1
	s_delay_alu instid0(SALU_CYCLE_1)
	s_or_b32 exec_lo, exec_lo, s15
.LBB256_873:                            ;   in Loop: Header=BB256_550 Depth=1
	s_delay_alu instid0(SALU_CYCLE_1) | instskip(SKIP_4) | instid1(VALU_DEP_2)
	s_or_b32 exec_lo, exec_lo, s13
	v_mov_b32_e32 v18, 0
	v_lshrrev_b32_e32 v147, 16, v24
	v_mov_b32_e32 v19, 0
	s_mov_b32 s10, exec_lo
	v_and_b32_e32 v6, 0xff, v147
	s_delay_alu instid0(VALU_DEP_2) | instskip(NEXT) | instid1(VALU_DEP_2)
	v_dual_mov_b32 v16, v18 :: v_dual_mov_b32 v17, v19
	v_cmpx_ne_u16_e32 0, v6
	s_cbranch_execz .LBB256_881
; %bb.874:                              ;   in Loop: Header=BB256_550 Depth=1
	v_bfrev_b32_e32 v16, 1
	v_mov_b32_e32 v17, 0
	s_mov_b32 s13, exec_lo
	v_cmpx_ne_u16_e32 0x80, v6
	s_cbranch_execz .LBB256_880
; %bb.875:                              ;   in Loop: Header=BB256_550 Depth=1
	v_mov_b32_e32 v16, 0x7f800001
	v_bfe_u32 v37, v24, 16, 7
	v_mov_b32_e32 v17, 0
	s_mov_b32 s15, exec_lo
	s_delay_alu instid0(VALU_DEP_2)
	v_cmpx_ne_u32_e32 0x7f, v37
	s_cbranch_execz .LBB256_879
; %bb.876:                              ;   in Loop: Header=BB256_550 Depth=1
	v_and_b32_e32 v6, 7, v147
	v_lshrrev_b32_e32 v16, 3, v37
	s_mov_b32 s16, exec_lo
	v_cmpx_gt_u32_e32 8, v37
; %bb.877:                              ;   in Loop: Header=BB256_550 Depth=1
	s_delay_alu instid0(VALU_DEP_3) | instskip(NEXT) | instid1(VALU_DEP_1)
	v_clz_i32_u32_e32 v16, v6
	v_min_u32_e32 v16, 32, v16
	s_delay_alu instid0(VALU_DEP_1) | instskip(SKIP_1) | instid1(VALU_DEP_2)
	v_subrev_nc_u32_e32 v17, 28, v16
	v_sub_nc_u32_e32 v16, 29, v16
	v_lshlrev_b64 v[148:149], v17, v[6:7]
	s_delay_alu instid0(VALU_DEP_1)
	v_and_b32_e32 v6, 7, v148
; %bb.878:                              ;   in Loop: Header=BB256_550 Depth=1
	s_or_b32 exec_lo, exec_lo, s16
	v_lshlrev_b32_e32 v17, 24, v147
	s_delay_alu instid0(VALU_DEP_2) | instskip(SKIP_1) | instid1(VALU_DEP_3)
	v_lshlrev_b32_e32 v6, 20, v6
	v_lshl_add_u32 v16, v16, 23, 0x3c000000
	v_and_b32_e32 v17, 0x80000000, v17
	s_delay_alu instid0(VALU_DEP_1) | instskip(NEXT) | instid1(VALU_DEP_1)
	v_or3_b32 v6, v6, v17, v16
	v_dual_mov_b32 v17, v7 :: v_dual_mov_b32 v16, v6
.LBB256_879:                            ;   in Loop: Header=BB256_550 Depth=1
	s_or_b32 exec_lo, exec_lo, s15
.LBB256_880:                            ;   in Loop: Header=BB256_550 Depth=1
	s_delay_alu instid0(SALU_CYCLE_1)
	s_or_b32 exec_lo, exec_lo, s13
.LBB256_881:                            ;   in Loop: Header=BB256_550 Depth=1
	s_delay_alu instid0(SALU_CYCLE_1) | instskip(NEXT) | instid1(SALU_CYCLE_1)
	s_or_b32 exec_lo, exec_lo, s10
	s_mov_b32 s13, exec_lo
	v_cmpx_lt_u32_e32 0xffffff, v24
	s_cbranch_execz .LBB256_889
; %bb.882:                              ;   in Loop: Header=BB256_550 Depth=1
	v_lshrrev_b32_e32 v147, 24, v24
	v_dual_mov_b32 v19, s9 :: v_dual_mov_b32 v18, s8
	s_mov_b32 s15, exec_lo
	s_delay_alu instid0(VALU_DEP_2)
	v_cmpx_ne_u32_e32 0x80, v147
	s_cbranch_execz .LBB256_888
; %bb.883:                              ;   in Loop: Header=BB256_550 Depth=1
	s_mov_b32 s10, s8
	v_bfe_u32 v24, v24, 24, 7
	v_dual_mov_b32 v19, s11 :: v_dual_mov_b32 v18, s10
	s_mov_b32 s10, exec_lo
	s_delay_alu instid0(VALU_DEP_2)
	v_cmpx_ne_u32_e32 0x7f, v24
	s_cbranch_execz .LBB256_887
; %bb.884:                              ;   in Loop: Header=BB256_550 Depth=1
	v_and_b32_e32 v6, 7, v147
	v_lshrrev_b32_e32 v18, 3, v24
	s_mov_b32 s16, exec_lo
	v_cmpx_gt_u32_e32 8, v24
; %bb.885:                              ;   in Loop: Header=BB256_550 Depth=1
	s_delay_alu instid0(VALU_DEP_3) | instskip(NEXT) | instid1(VALU_DEP_1)
	v_clz_i32_u32_e32 v18, v6
	v_min_u32_e32 v18, 32, v18
	s_delay_alu instid0(VALU_DEP_1) | instskip(SKIP_1) | instid1(VALU_DEP_2)
	v_subrev_nc_u32_e32 v19, 28, v18
	v_sub_nc_u32_e32 v18, 29, v18
	v_lshlrev_b64 v[148:149], v19, v[6:7]
	s_delay_alu instid0(VALU_DEP_1)
	v_and_b32_e32 v6, 7, v148
; %bb.886:                              ;   in Loop: Header=BB256_550 Depth=1
	s_or_b32 exec_lo, exec_lo, s16
	v_lshlrev_b32_e32 v19, 24, v147
	s_delay_alu instid0(VALU_DEP_2) | instskip(SKIP_1) | instid1(VALU_DEP_3)
	v_lshlrev_b32_e32 v6, 20, v6
	v_lshl_add_u32 v18, v18, 23, 0x3c000000
	v_and_b32_e32 v19, 0x80000000, v19
	s_delay_alu instid0(VALU_DEP_1)
	v_or3_b32 v19, v6, v19, v18
	v_mov_b32_e32 v18, v7
.LBB256_887:                            ;   in Loop: Header=BB256_550 Depth=1
	s_or_b32 exec_lo, exec_lo, s10
.LBB256_888:                            ;   in Loop: Header=BB256_550 Depth=1
	s_delay_alu instid0(SALU_CYCLE_1)
	s_or_b32 exec_lo, exec_lo, s15
.LBB256_889:                            ;   in Loop: Header=BB256_550 Depth=1
	s_delay_alu instid0(SALU_CYCLE_1) | instskip(SKIP_4) | instid1(VALU_DEP_4)
	s_or_b32 exec_lo, exec_lo, s13
	v_or_b32_e32 v5, v15, v5
	v_or_b32_e32 v4, v14, v4
	;; [unrolled: 1-line block ×4, first 2 shown]
	v_mul_f32_e32 v150, v65, v5
	s_delay_alu instid0(VALU_DEP_4) | instskip(NEXT) | instid1(VALU_DEP_4)
	v_mul_f32_e32 v149, v65, v4
	v_mul_f32_e32 v147, v65, v6
	s_delay_alu instid0(VALU_DEP_4)
	v_mul_f32_e32 v148, v65, v14
	s_and_saveexec_b32 s10, vcc_lo
; %bb.890:                              ;   in Loop: Header=BB256_550 Depth=1
	v_cmp_lt_i32_e64 s0, v70, v38
	s_delay_alu instid0(VALU_DEP_1) | instskip(SKIP_1) | instid1(VALU_DEP_1)
	v_cndmask_b32_e64 v149, 0, v149, s0
	v_cmp_lt_i32_e64 s0, v81, v38
	v_cndmask_b32_e64 v150, 0, v150, s0
	v_cmp_lt_i32_e64 s0, v80, v38
	s_delay_alu instid0(VALU_DEP_1) | instskip(SKIP_1) | instid1(VALU_DEP_1)
	v_cndmask_b32_e64 v148, 0, v148, s0
	v_cmp_lt_i32_e64 s0, v71, v38
	v_cndmask_b32_e64 v147, 0, v147, s0
; %bb.891:                              ;   in Loop: Header=BB256_550 Depth=1
	s_or_b32 exec_lo, exec_lo, s10
	flat_load_b32 v24, v[12:13] offset:1280
	v_mov_b32_e32 v14, 0
	v_mov_b32_e32 v15, 0
	s_mov_b32 s10, exec_lo
	s_waitcnt vmcnt(0) lgkmcnt(0)
	v_and_b32_e32 v6, 0xff, v24
	s_delay_alu instid0(VALU_DEP_2) | instskip(NEXT) | instid1(VALU_DEP_2)
	v_dual_mov_b32 v4, v14 :: v_dual_mov_b32 v5, v15
	v_cmpx_ne_u16_e32 0, v6
	s_cbranch_execz .LBB256_899
; %bb.892:                              ;   in Loop: Header=BB256_550 Depth=1
	v_bfrev_b32_e32 v4, 1
	v_mov_b32_e32 v5, 0
	s_mov_b32 s13, exec_lo
	v_cmpx_ne_u16_e32 0x80, v6
	s_cbranch_execz .LBB256_898
; %bb.893:                              ;   in Loop: Header=BB256_550 Depth=1
	v_mov_b32_e32 v4, 0x7f800001
	v_dual_mov_b32 v5, 0 :: v_dual_and_b32 v16, 0x7f, v24
	s_mov_b32 s15, exec_lo
	s_delay_alu instid0(VALU_DEP_1)
	v_cmpx_ne_u32_e32 0x7f, v16
	s_cbranch_execz .LBB256_897
; %bb.894:                              ;   in Loop: Header=BB256_550 Depth=1
	v_and_b32_e32 v6, 7, v24
	v_lshrrev_b32_e32 v4, 3, v16
	s_mov_b32 s16, exec_lo
	v_cmpx_gt_u32_e32 8, v16
; %bb.895:                              ;   in Loop: Header=BB256_550 Depth=1
	s_delay_alu instid0(VALU_DEP_3) | instskip(NEXT) | instid1(VALU_DEP_1)
	v_clz_i32_u32_e32 v4, v6
	v_min_u32_e32 v4, 32, v4
	s_delay_alu instid0(VALU_DEP_1) | instskip(SKIP_1) | instid1(VALU_DEP_2)
	v_subrev_nc_u32_e32 v5, 28, v4
	v_sub_nc_u32_e32 v4, 29, v4
	v_lshlrev_b64 v[5:6], v5, v[6:7]
	s_delay_alu instid0(VALU_DEP_1)
	v_and_b32_e32 v6, 7, v5
; %bb.896:                              ;   in Loop: Header=BB256_550 Depth=1
	s_or_b32 exec_lo, exec_lo, s16
	v_lshlrev_b32_e32 v5, 24, v24
	s_delay_alu instid0(VALU_DEP_2) | instskip(SKIP_1) | instid1(VALU_DEP_3)
	v_lshlrev_b32_e32 v6, 20, v6
	v_lshl_add_u32 v4, v4, 23, 0x3c000000
	v_and_b32_e32 v5, 0x80000000, v5
	s_delay_alu instid0(VALU_DEP_1) | instskip(NEXT) | instid1(VALU_DEP_1)
	v_or3_b32 v6, v6, v5, v4
	v_dual_mov_b32 v4, v6 :: v_dual_mov_b32 v5, v7
.LBB256_897:                            ;   in Loop: Header=BB256_550 Depth=1
	s_or_b32 exec_lo, exec_lo, s15
.LBB256_898:                            ;   in Loop: Header=BB256_550 Depth=1
	s_delay_alu instid0(SALU_CYCLE_1)
	s_or_b32 exec_lo, exec_lo, s13
.LBB256_899:                            ;   in Loop: Header=BB256_550 Depth=1
	s_delay_alu instid0(SALU_CYCLE_1) | instskip(SKIP_2) | instid1(VALU_DEP_1)
	s_or_b32 exec_lo, exec_lo, s10
	v_lshrrev_b16 v6, 8, v24
	s_mov_b32 s13, exec_lo
	v_cmpx_ne_u16_e32 0, v6
	s_cbranch_execz .LBB256_907
; %bb.900:                              ;   in Loop: Header=BB256_550 Depth=1
	v_dual_mov_b32 v15, s9 :: v_dual_mov_b32 v14, s8
	s_mov_b32 s15, exec_lo
	v_cmpx_ne_u16_e32 0x80, v6
	s_cbranch_execz .LBB256_906
; %bb.901:                              ;   in Loop: Header=BB256_550 Depth=1
	s_mov_b32 s10, s8
	v_dual_mov_b32 v15, s11 :: v_dual_and_b32 v6, 0xffff, v6
	v_mov_b32_e32 v14, s10
	s_mov_b32 s10, exec_lo
	s_delay_alu instid0(VALU_DEP_2) | instskip(NEXT) | instid1(VALU_DEP_1)
	v_and_b32_e32 v16, 0x7f, v6
	v_cmpx_ne_u32_e32 0x7f, v16
	s_cbranch_execz .LBB256_905
; %bb.902:                              ;   in Loop: Header=BB256_550 Depth=1
	v_and_b32_e32 v6, 7, v6
	v_lshrrev_b32_e32 v14, 3, v16
	s_mov_b32 s16, exec_lo
	v_cmpx_gt_u32_e32 8, v16
; %bb.903:                              ;   in Loop: Header=BB256_550 Depth=1
	s_delay_alu instid0(VALU_DEP_3) | instskip(NEXT) | instid1(VALU_DEP_1)
	v_clz_i32_u32_e32 v14, v6
	v_min_u32_e32 v14, 32, v14
	s_delay_alu instid0(VALU_DEP_1) | instskip(SKIP_1) | instid1(VALU_DEP_2)
	v_subrev_nc_u32_e32 v15, 28, v14
	v_sub_nc_u32_e32 v14, 29, v14
	v_lshlrev_b64 v[15:16], v15, v[6:7]
	s_delay_alu instid0(VALU_DEP_1)
	v_and_b32_e32 v6, 7, v15
; %bb.904:                              ;   in Loop: Header=BB256_550 Depth=1
	s_or_b32 exec_lo, exec_lo, s16
	v_lshlrev_b32_e32 v15, 16, v24
	s_delay_alu instid0(VALU_DEP_2) | instskip(SKIP_1) | instid1(VALU_DEP_3)
	v_lshlrev_b32_e32 v6, 20, v6
	v_lshl_add_u32 v14, v14, 23, 0x3c000000
	v_and_b32_e32 v15, 0x80000000, v15
	s_delay_alu instid0(VALU_DEP_1)
	v_or3_b32 v15, v6, v15, v14
	v_mov_b32_e32 v14, v7
.LBB256_905:                            ;   in Loop: Header=BB256_550 Depth=1
	s_or_b32 exec_lo, exec_lo, s10
.LBB256_906:                            ;   in Loop: Header=BB256_550 Depth=1
	s_delay_alu instid0(SALU_CYCLE_1)
	s_or_b32 exec_lo, exec_lo, s15
.LBB256_907:                            ;   in Loop: Header=BB256_550 Depth=1
	s_delay_alu instid0(SALU_CYCLE_1) | instskip(SKIP_4) | instid1(VALU_DEP_2)
	s_or_b32 exec_lo, exec_lo, s13
	v_mov_b32_e32 v18, 0
	v_lshrrev_b32_e32 v151, 16, v24
	v_mov_b32_e32 v19, 0
	s_mov_b32 s10, exec_lo
	v_and_b32_e32 v6, 0xff, v151
	s_delay_alu instid0(VALU_DEP_2) | instskip(NEXT) | instid1(VALU_DEP_2)
	v_dual_mov_b32 v16, v18 :: v_dual_mov_b32 v17, v19
	v_cmpx_ne_u16_e32 0, v6
	s_cbranch_execz .LBB256_915
; %bb.908:                              ;   in Loop: Header=BB256_550 Depth=1
	v_bfrev_b32_e32 v16, 1
	v_mov_b32_e32 v17, 0
	s_mov_b32 s13, exec_lo
	v_cmpx_ne_u16_e32 0x80, v6
	s_cbranch_execz .LBB256_914
; %bb.909:                              ;   in Loop: Header=BB256_550 Depth=1
	v_mov_b32_e32 v16, 0x7f800001
	v_bfe_u32 v37, v24, 16, 7
	v_mov_b32_e32 v17, 0
	s_mov_b32 s15, exec_lo
	s_delay_alu instid0(VALU_DEP_2)
	v_cmpx_ne_u32_e32 0x7f, v37
	s_cbranch_execz .LBB256_913
; %bb.910:                              ;   in Loop: Header=BB256_550 Depth=1
	v_and_b32_e32 v6, 7, v151
	v_lshrrev_b32_e32 v16, 3, v37
	s_mov_b32 s16, exec_lo
	v_cmpx_gt_u32_e32 8, v37
; %bb.911:                              ;   in Loop: Header=BB256_550 Depth=1
	s_delay_alu instid0(VALU_DEP_3) | instskip(NEXT) | instid1(VALU_DEP_1)
	v_clz_i32_u32_e32 v16, v6
	v_min_u32_e32 v16, 32, v16
	s_delay_alu instid0(VALU_DEP_1) | instskip(SKIP_1) | instid1(VALU_DEP_2)
	v_subrev_nc_u32_e32 v17, 28, v16
	v_sub_nc_u32_e32 v16, 29, v16
	v_lshlrev_b64 v[160:161], v17, v[6:7]
	s_delay_alu instid0(VALU_DEP_1)
	v_and_b32_e32 v6, 7, v160
; %bb.912:                              ;   in Loop: Header=BB256_550 Depth=1
	s_or_b32 exec_lo, exec_lo, s16
	v_lshlrev_b32_e32 v17, 24, v151
	s_delay_alu instid0(VALU_DEP_2) | instskip(SKIP_1) | instid1(VALU_DEP_3)
	v_lshlrev_b32_e32 v6, 20, v6
	v_lshl_add_u32 v16, v16, 23, 0x3c000000
	v_and_b32_e32 v17, 0x80000000, v17
	s_delay_alu instid0(VALU_DEP_1) | instskip(NEXT) | instid1(VALU_DEP_1)
	v_or3_b32 v6, v6, v17, v16
	v_dual_mov_b32 v17, v7 :: v_dual_mov_b32 v16, v6
.LBB256_913:                            ;   in Loop: Header=BB256_550 Depth=1
	s_or_b32 exec_lo, exec_lo, s15
.LBB256_914:                            ;   in Loop: Header=BB256_550 Depth=1
	s_delay_alu instid0(SALU_CYCLE_1)
	s_or_b32 exec_lo, exec_lo, s13
.LBB256_915:                            ;   in Loop: Header=BB256_550 Depth=1
	s_delay_alu instid0(SALU_CYCLE_1) | instskip(NEXT) | instid1(SALU_CYCLE_1)
	s_or_b32 exec_lo, exec_lo, s10
	s_mov_b32 s13, exec_lo
	v_cmpx_lt_u32_e32 0xffffff, v24
	s_cbranch_execz .LBB256_923
; %bb.916:                              ;   in Loop: Header=BB256_550 Depth=1
	v_lshrrev_b32_e32 v151, 24, v24
	v_dual_mov_b32 v19, s9 :: v_dual_mov_b32 v18, s8
	s_mov_b32 s15, exec_lo
	s_delay_alu instid0(VALU_DEP_2)
	v_cmpx_ne_u32_e32 0x80, v151
	s_cbranch_execz .LBB256_922
; %bb.917:                              ;   in Loop: Header=BB256_550 Depth=1
	s_mov_b32 s10, s8
	v_bfe_u32 v24, v24, 24, 7
	v_dual_mov_b32 v19, s11 :: v_dual_mov_b32 v18, s10
	s_mov_b32 s10, exec_lo
	s_delay_alu instid0(VALU_DEP_2)
	v_cmpx_ne_u32_e32 0x7f, v24
	s_cbranch_execz .LBB256_921
; %bb.918:                              ;   in Loop: Header=BB256_550 Depth=1
	v_and_b32_e32 v6, 7, v151
	v_lshrrev_b32_e32 v18, 3, v24
	s_mov_b32 s16, exec_lo
	v_cmpx_gt_u32_e32 8, v24
; %bb.919:                              ;   in Loop: Header=BB256_550 Depth=1
	s_delay_alu instid0(VALU_DEP_3) | instskip(NEXT) | instid1(VALU_DEP_1)
	v_clz_i32_u32_e32 v18, v6
	v_min_u32_e32 v18, 32, v18
	s_delay_alu instid0(VALU_DEP_1) | instskip(SKIP_1) | instid1(VALU_DEP_2)
	v_subrev_nc_u32_e32 v19, 28, v18
	v_sub_nc_u32_e32 v18, 29, v18
	v_lshlrev_b64 v[160:161], v19, v[6:7]
	s_delay_alu instid0(VALU_DEP_1)
	v_and_b32_e32 v6, 7, v160
; %bb.920:                              ;   in Loop: Header=BB256_550 Depth=1
	s_or_b32 exec_lo, exec_lo, s16
	v_lshlrev_b32_e32 v19, 24, v151
	s_delay_alu instid0(VALU_DEP_2) | instskip(SKIP_1) | instid1(VALU_DEP_3)
	v_lshlrev_b32_e32 v6, 20, v6
	v_lshl_add_u32 v18, v18, 23, 0x3c000000
	v_and_b32_e32 v19, 0x80000000, v19
	s_delay_alu instid0(VALU_DEP_1)
	v_or3_b32 v19, v6, v19, v18
	v_mov_b32_e32 v18, v7
.LBB256_921:                            ;   in Loop: Header=BB256_550 Depth=1
	s_or_b32 exec_lo, exec_lo, s10
.LBB256_922:                            ;   in Loop: Header=BB256_550 Depth=1
	s_delay_alu instid0(SALU_CYCLE_1)
	s_or_b32 exec_lo, exec_lo, s15
.LBB256_923:                            ;   in Loop: Header=BB256_550 Depth=1
	s_delay_alu instid0(SALU_CYCLE_1) | instskip(SKIP_4) | instid1(VALU_DEP_4)
	s_or_b32 exec_lo, exec_lo, s13
	v_or_b32_e32 v5, v15, v5
	v_or_b32_e32 v4, v14, v4
	;; [unrolled: 1-line block ×4, first 2 shown]
	v_mul_f32_e32 v162, v65, v5
	s_delay_alu instid0(VALU_DEP_4) | instskip(NEXT) | instid1(VALU_DEP_4)
	v_mul_f32_e32 v161, v65, v4
	v_mul_f32_e32 v151, v65, v6
	s_delay_alu instid0(VALU_DEP_4)
	v_mul_f32_e32 v160, v65, v14
	s_and_saveexec_b32 s10, vcc_lo
; %bb.924:                              ;   in Loop: Header=BB256_550 Depth=1
	v_cmp_lt_i32_e64 s0, v70, v38
	s_delay_alu instid0(VALU_DEP_1) | instskip(SKIP_1) | instid1(VALU_DEP_1)
	v_cndmask_b32_e64 v161, 0, v161, s0
	v_cmp_lt_i32_e64 s0, v81, v38
	v_cndmask_b32_e64 v162, 0, v162, s0
	v_cmp_lt_i32_e64 s0, v80, v38
	s_delay_alu instid0(VALU_DEP_1) | instskip(SKIP_1) | instid1(VALU_DEP_1)
	v_cndmask_b32_e64 v160, 0, v160, s0
	v_cmp_lt_i32_e64 s0, v71, v38
	v_cndmask_b32_e64 v151, 0, v151, s0
; %bb.925:                              ;   in Loop: Header=BB256_550 Depth=1
	s_or_b32 exec_lo, exec_lo, s10
	flat_load_b32 v24, v[12:13] offset:1408
	v_mov_b32_e32 v14, 0
	v_mov_b32_e32 v15, 0
	s_mov_b32 s10, exec_lo
	s_waitcnt vmcnt(0) lgkmcnt(0)
	v_and_b32_e32 v6, 0xff, v24
	s_delay_alu instid0(VALU_DEP_2) | instskip(NEXT) | instid1(VALU_DEP_2)
	v_dual_mov_b32 v4, v14 :: v_dual_mov_b32 v5, v15
	v_cmpx_ne_u16_e32 0, v6
	s_cbranch_execz .LBB256_933
; %bb.926:                              ;   in Loop: Header=BB256_550 Depth=1
	v_bfrev_b32_e32 v4, 1
	v_mov_b32_e32 v5, 0
	s_mov_b32 s13, exec_lo
	v_cmpx_ne_u16_e32 0x80, v6
	s_cbranch_execz .LBB256_932
; %bb.927:                              ;   in Loop: Header=BB256_550 Depth=1
	v_mov_b32_e32 v4, 0x7f800001
	v_dual_mov_b32 v5, 0 :: v_dual_and_b32 v16, 0x7f, v24
	s_mov_b32 s15, exec_lo
	s_delay_alu instid0(VALU_DEP_1)
	v_cmpx_ne_u32_e32 0x7f, v16
	s_cbranch_execz .LBB256_931
; %bb.928:                              ;   in Loop: Header=BB256_550 Depth=1
	v_and_b32_e32 v6, 7, v24
	v_lshrrev_b32_e32 v4, 3, v16
	s_mov_b32 s16, exec_lo
	v_cmpx_gt_u32_e32 8, v16
; %bb.929:                              ;   in Loop: Header=BB256_550 Depth=1
	s_delay_alu instid0(VALU_DEP_3) | instskip(NEXT) | instid1(VALU_DEP_1)
	v_clz_i32_u32_e32 v4, v6
	v_min_u32_e32 v4, 32, v4
	s_delay_alu instid0(VALU_DEP_1) | instskip(SKIP_1) | instid1(VALU_DEP_2)
	v_subrev_nc_u32_e32 v5, 28, v4
	v_sub_nc_u32_e32 v4, 29, v4
	v_lshlrev_b64 v[5:6], v5, v[6:7]
	s_delay_alu instid0(VALU_DEP_1)
	v_and_b32_e32 v6, 7, v5
; %bb.930:                              ;   in Loop: Header=BB256_550 Depth=1
	s_or_b32 exec_lo, exec_lo, s16
	v_lshlrev_b32_e32 v5, 24, v24
	s_delay_alu instid0(VALU_DEP_2) | instskip(SKIP_1) | instid1(VALU_DEP_3)
	v_lshlrev_b32_e32 v6, 20, v6
	v_lshl_add_u32 v4, v4, 23, 0x3c000000
	v_and_b32_e32 v5, 0x80000000, v5
	s_delay_alu instid0(VALU_DEP_1) | instskip(NEXT) | instid1(VALU_DEP_1)
	v_or3_b32 v6, v6, v5, v4
	v_dual_mov_b32 v4, v6 :: v_dual_mov_b32 v5, v7
.LBB256_931:                            ;   in Loop: Header=BB256_550 Depth=1
	s_or_b32 exec_lo, exec_lo, s15
.LBB256_932:                            ;   in Loop: Header=BB256_550 Depth=1
	s_delay_alu instid0(SALU_CYCLE_1)
	s_or_b32 exec_lo, exec_lo, s13
.LBB256_933:                            ;   in Loop: Header=BB256_550 Depth=1
	s_delay_alu instid0(SALU_CYCLE_1) | instskip(SKIP_2) | instid1(VALU_DEP_1)
	s_or_b32 exec_lo, exec_lo, s10
	v_lshrrev_b16 v6, 8, v24
	s_mov_b32 s13, exec_lo
	v_cmpx_ne_u16_e32 0, v6
	s_cbranch_execz .LBB256_941
; %bb.934:                              ;   in Loop: Header=BB256_550 Depth=1
	v_dual_mov_b32 v15, s9 :: v_dual_mov_b32 v14, s8
	s_mov_b32 s15, exec_lo
	v_cmpx_ne_u16_e32 0x80, v6
	s_cbranch_execz .LBB256_940
; %bb.935:                              ;   in Loop: Header=BB256_550 Depth=1
	s_mov_b32 s10, s8
	v_dual_mov_b32 v15, s11 :: v_dual_and_b32 v6, 0xffff, v6
	v_mov_b32_e32 v14, s10
	s_mov_b32 s10, exec_lo
	s_delay_alu instid0(VALU_DEP_2) | instskip(NEXT) | instid1(VALU_DEP_1)
	v_and_b32_e32 v16, 0x7f, v6
	v_cmpx_ne_u32_e32 0x7f, v16
	s_cbranch_execz .LBB256_939
; %bb.936:                              ;   in Loop: Header=BB256_550 Depth=1
	v_and_b32_e32 v6, 7, v6
	v_lshrrev_b32_e32 v14, 3, v16
	s_mov_b32 s16, exec_lo
	v_cmpx_gt_u32_e32 8, v16
; %bb.937:                              ;   in Loop: Header=BB256_550 Depth=1
	s_delay_alu instid0(VALU_DEP_3) | instskip(NEXT) | instid1(VALU_DEP_1)
	v_clz_i32_u32_e32 v14, v6
	v_min_u32_e32 v14, 32, v14
	s_delay_alu instid0(VALU_DEP_1) | instskip(SKIP_1) | instid1(VALU_DEP_2)
	v_subrev_nc_u32_e32 v15, 28, v14
	v_sub_nc_u32_e32 v14, 29, v14
	v_lshlrev_b64 v[15:16], v15, v[6:7]
	s_delay_alu instid0(VALU_DEP_1)
	v_and_b32_e32 v6, 7, v15
; %bb.938:                              ;   in Loop: Header=BB256_550 Depth=1
	s_or_b32 exec_lo, exec_lo, s16
	v_lshlrev_b32_e32 v15, 16, v24
	s_delay_alu instid0(VALU_DEP_2) | instskip(SKIP_1) | instid1(VALU_DEP_3)
	v_lshlrev_b32_e32 v6, 20, v6
	v_lshl_add_u32 v14, v14, 23, 0x3c000000
	v_and_b32_e32 v15, 0x80000000, v15
	s_delay_alu instid0(VALU_DEP_1)
	v_or3_b32 v15, v6, v15, v14
	v_mov_b32_e32 v14, v7
.LBB256_939:                            ;   in Loop: Header=BB256_550 Depth=1
	s_or_b32 exec_lo, exec_lo, s10
.LBB256_940:                            ;   in Loop: Header=BB256_550 Depth=1
	s_delay_alu instid0(SALU_CYCLE_1)
	s_or_b32 exec_lo, exec_lo, s15
.LBB256_941:                            ;   in Loop: Header=BB256_550 Depth=1
	s_delay_alu instid0(SALU_CYCLE_1) | instskip(SKIP_4) | instid1(VALU_DEP_2)
	s_or_b32 exec_lo, exec_lo, s13
	v_mov_b32_e32 v18, 0
	v_lshrrev_b32_e32 v163, 16, v24
	v_mov_b32_e32 v19, 0
	s_mov_b32 s10, exec_lo
	v_and_b32_e32 v6, 0xff, v163
	s_delay_alu instid0(VALU_DEP_2) | instskip(NEXT) | instid1(VALU_DEP_2)
	v_dual_mov_b32 v16, v18 :: v_dual_mov_b32 v17, v19
	v_cmpx_ne_u16_e32 0, v6
	s_cbranch_execz .LBB256_949
; %bb.942:                              ;   in Loop: Header=BB256_550 Depth=1
	v_bfrev_b32_e32 v16, 1
	v_mov_b32_e32 v17, 0
	s_mov_b32 s13, exec_lo
	v_cmpx_ne_u16_e32 0x80, v6
	s_cbranch_execz .LBB256_948
; %bb.943:                              ;   in Loop: Header=BB256_550 Depth=1
	v_mov_b32_e32 v16, 0x7f800001
	v_bfe_u32 v37, v24, 16, 7
	v_mov_b32_e32 v17, 0
	s_mov_b32 s15, exec_lo
	s_delay_alu instid0(VALU_DEP_2)
	v_cmpx_ne_u32_e32 0x7f, v37
	s_cbranch_execz .LBB256_947
; %bb.944:                              ;   in Loop: Header=BB256_550 Depth=1
	v_and_b32_e32 v6, 7, v163
	v_lshrrev_b32_e32 v16, 3, v37
	s_mov_b32 s16, exec_lo
	v_cmpx_gt_u32_e32 8, v37
; %bb.945:                              ;   in Loop: Header=BB256_550 Depth=1
	s_delay_alu instid0(VALU_DEP_3) | instskip(NEXT) | instid1(VALU_DEP_1)
	v_clz_i32_u32_e32 v16, v6
	v_min_u32_e32 v16, 32, v16
	s_delay_alu instid0(VALU_DEP_1) | instskip(SKIP_1) | instid1(VALU_DEP_2)
	v_subrev_nc_u32_e32 v17, 28, v16
	v_sub_nc_u32_e32 v16, 29, v16
	v_lshlrev_b64 v[164:165], v17, v[6:7]
	s_delay_alu instid0(VALU_DEP_1)
	v_and_b32_e32 v6, 7, v164
; %bb.946:                              ;   in Loop: Header=BB256_550 Depth=1
	s_or_b32 exec_lo, exec_lo, s16
	v_lshlrev_b32_e32 v17, 24, v163
	s_delay_alu instid0(VALU_DEP_2) | instskip(SKIP_1) | instid1(VALU_DEP_3)
	v_lshlrev_b32_e32 v6, 20, v6
	v_lshl_add_u32 v16, v16, 23, 0x3c000000
	v_and_b32_e32 v17, 0x80000000, v17
	s_delay_alu instid0(VALU_DEP_1) | instskip(NEXT) | instid1(VALU_DEP_1)
	v_or3_b32 v6, v6, v17, v16
	v_dual_mov_b32 v17, v7 :: v_dual_mov_b32 v16, v6
.LBB256_947:                            ;   in Loop: Header=BB256_550 Depth=1
	s_or_b32 exec_lo, exec_lo, s15
.LBB256_948:                            ;   in Loop: Header=BB256_550 Depth=1
	s_delay_alu instid0(SALU_CYCLE_1)
	s_or_b32 exec_lo, exec_lo, s13
.LBB256_949:                            ;   in Loop: Header=BB256_550 Depth=1
	s_delay_alu instid0(SALU_CYCLE_1) | instskip(NEXT) | instid1(SALU_CYCLE_1)
	s_or_b32 exec_lo, exec_lo, s10
	s_mov_b32 s13, exec_lo
	v_cmpx_lt_u32_e32 0xffffff, v24
	s_cbranch_execz .LBB256_957
; %bb.950:                              ;   in Loop: Header=BB256_550 Depth=1
	v_lshrrev_b32_e32 v163, 24, v24
	v_dual_mov_b32 v19, s9 :: v_dual_mov_b32 v18, s8
	s_mov_b32 s15, exec_lo
	s_delay_alu instid0(VALU_DEP_2)
	v_cmpx_ne_u32_e32 0x80, v163
	s_cbranch_execz .LBB256_956
; %bb.951:                              ;   in Loop: Header=BB256_550 Depth=1
	s_mov_b32 s10, s8
	v_bfe_u32 v24, v24, 24, 7
	v_dual_mov_b32 v19, s11 :: v_dual_mov_b32 v18, s10
	s_mov_b32 s10, exec_lo
	s_delay_alu instid0(VALU_DEP_2)
	v_cmpx_ne_u32_e32 0x7f, v24
	s_cbranch_execz .LBB256_955
; %bb.952:                              ;   in Loop: Header=BB256_550 Depth=1
	v_and_b32_e32 v6, 7, v163
	v_lshrrev_b32_e32 v18, 3, v24
	s_mov_b32 s16, exec_lo
	v_cmpx_gt_u32_e32 8, v24
; %bb.953:                              ;   in Loop: Header=BB256_550 Depth=1
	s_delay_alu instid0(VALU_DEP_3) | instskip(NEXT) | instid1(VALU_DEP_1)
	v_clz_i32_u32_e32 v18, v6
	v_min_u32_e32 v18, 32, v18
	s_delay_alu instid0(VALU_DEP_1) | instskip(SKIP_1) | instid1(VALU_DEP_2)
	v_subrev_nc_u32_e32 v19, 28, v18
	v_sub_nc_u32_e32 v18, 29, v18
	v_lshlrev_b64 v[164:165], v19, v[6:7]
	s_delay_alu instid0(VALU_DEP_1)
	v_and_b32_e32 v6, 7, v164
; %bb.954:                              ;   in Loop: Header=BB256_550 Depth=1
	s_or_b32 exec_lo, exec_lo, s16
	v_lshlrev_b32_e32 v19, 24, v163
	s_delay_alu instid0(VALU_DEP_2) | instskip(SKIP_1) | instid1(VALU_DEP_3)
	v_lshlrev_b32_e32 v6, 20, v6
	v_lshl_add_u32 v18, v18, 23, 0x3c000000
	v_and_b32_e32 v19, 0x80000000, v19
	s_delay_alu instid0(VALU_DEP_1)
	v_or3_b32 v19, v6, v19, v18
	v_mov_b32_e32 v18, v7
.LBB256_955:                            ;   in Loop: Header=BB256_550 Depth=1
	s_or_b32 exec_lo, exec_lo, s10
.LBB256_956:                            ;   in Loop: Header=BB256_550 Depth=1
	s_delay_alu instid0(SALU_CYCLE_1)
	s_or_b32 exec_lo, exec_lo, s15
.LBB256_957:                            ;   in Loop: Header=BB256_550 Depth=1
	s_delay_alu instid0(SALU_CYCLE_1) | instskip(SKIP_4) | instid1(VALU_DEP_4)
	s_or_b32 exec_lo, exec_lo, s13
	v_or_b32_e32 v5, v15, v5
	v_or_b32_e32 v4, v14, v4
	;; [unrolled: 1-line block ×4, first 2 shown]
	v_mul_f32_e32 v166, v65, v5
	s_delay_alu instid0(VALU_DEP_4) | instskip(NEXT) | instid1(VALU_DEP_4)
	v_mul_f32_e32 v165, v65, v4
	v_mul_f32_e32 v163, v65, v6
	s_delay_alu instid0(VALU_DEP_4)
	v_mul_f32_e32 v164, v65, v14
	s_and_saveexec_b32 s10, vcc_lo
; %bb.958:                              ;   in Loop: Header=BB256_550 Depth=1
	v_cmp_lt_i32_e64 s0, v70, v38
	s_delay_alu instid0(VALU_DEP_1) | instskip(SKIP_1) | instid1(VALU_DEP_1)
	v_cndmask_b32_e64 v165, 0, v165, s0
	v_cmp_lt_i32_e64 s0, v81, v38
	v_cndmask_b32_e64 v166, 0, v166, s0
	v_cmp_lt_i32_e64 s0, v80, v38
	s_delay_alu instid0(VALU_DEP_1) | instskip(SKIP_1) | instid1(VALU_DEP_1)
	v_cndmask_b32_e64 v164, 0, v164, s0
	v_cmp_lt_i32_e64 s0, v71, v38
	v_cndmask_b32_e64 v163, 0, v163, s0
; %bb.959:                              ;   in Loop: Header=BB256_550 Depth=1
	s_or_b32 exec_lo, exec_lo, s10
	flat_load_b32 v24, v[12:13] offset:1536
	v_mov_b32_e32 v14, 0
	v_mov_b32_e32 v15, 0
	s_mov_b32 s10, exec_lo
	s_waitcnt vmcnt(0) lgkmcnt(0)
	v_and_b32_e32 v6, 0xff, v24
	s_delay_alu instid0(VALU_DEP_2) | instskip(NEXT) | instid1(VALU_DEP_2)
	v_dual_mov_b32 v4, v14 :: v_dual_mov_b32 v5, v15
	v_cmpx_ne_u16_e32 0, v6
	s_cbranch_execz .LBB256_967
; %bb.960:                              ;   in Loop: Header=BB256_550 Depth=1
	v_bfrev_b32_e32 v4, 1
	v_mov_b32_e32 v5, 0
	s_mov_b32 s13, exec_lo
	v_cmpx_ne_u16_e32 0x80, v6
	s_cbranch_execz .LBB256_966
; %bb.961:                              ;   in Loop: Header=BB256_550 Depth=1
	v_mov_b32_e32 v4, 0x7f800001
	v_dual_mov_b32 v5, 0 :: v_dual_and_b32 v16, 0x7f, v24
	s_mov_b32 s15, exec_lo
	s_delay_alu instid0(VALU_DEP_1)
	v_cmpx_ne_u32_e32 0x7f, v16
	s_cbranch_execz .LBB256_965
; %bb.962:                              ;   in Loop: Header=BB256_550 Depth=1
	v_and_b32_e32 v6, 7, v24
	v_lshrrev_b32_e32 v4, 3, v16
	s_mov_b32 s16, exec_lo
	v_cmpx_gt_u32_e32 8, v16
; %bb.963:                              ;   in Loop: Header=BB256_550 Depth=1
	s_delay_alu instid0(VALU_DEP_3) | instskip(NEXT) | instid1(VALU_DEP_1)
	v_clz_i32_u32_e32 v4, v6
	v_min_u32_e32 v4, 32, v4
	s_delay_alu instid0(VALU_DEP_1) | instskip(SKIP_1) | instid1(VALU_DEP_2)
	v_subrev_nc_u32_e32 v5, 28, v4
	v_sub_nc_u32_e32 v4, 29, v4
	v_lshlrev_b64 v[5:6], v5, v[6:7]
	s_delay_alu instid0(VALU_DEP_1)
	v_and_b32_e32 v6, 7, v5
; %bb.964:                              ;   in Loop: Header=BB256_550 Depth=1
	s_or_b32 exec_lo, exec_lo, s16
	v_lshlrev_b32_e32 v5, 24, v24
	s_delay_alu instid0(VALU_DEP_2) | instskip(SKIP_1) | instid1(VALU_DEP_3)
	v_lshlrev_b32_e32 v6, 20, v6
	v_lshl_add_u32 v4, v4, 23, 0x3c000000
	v_and_b32_e32 v5, 0x80000000, v5
	s_delay_alu instid0(VALU_DEP_1) | instskip(NEXT) | instid1(VALU_DEP_1)
	v_or3_b32 v6, v6, v5, v4
	v_dual_mov_b32 v4, v6 :: v_dual_mov_b32 v5, v7
.LBB256_965:                            ;   in Loop: Header=BB256_550 Depth=1
	s_or_b32 exec_lo, exec_lo, s15
.LBB256_966:                            ;   in Loop: Header=BB256_550 Depth=1
	s_delay_alu instid0(SALU_CYCLE_1)
	s_or_b32 exec_lo, exec_lo, s13
.LBB256_967:                            ;   in Loop: Header=BB256_550 Depth=1
	s_delay_alu instid0(SALU_CYCLE_1) | instskip(SKIP_2) | instid1(VALU_DEP_1)
	s_or_b32 exec_lo, exec_lo, s10
	v_lshrrev_b16 v6, 8, v24
	s_mov_b32 s13, exec_lo
	v_cmpx_ne_u16_e32 0, v6
	s_cbranch_execz .LBB256_975
; %bb.968:                              ;   in Loop: Header=BB256_550 Depth=1
	v_dual_mov_b32 v15, s9 :: v_dual_mov_b32 v14, s8
	s_mov_b32 s15, exec_lo
	v_cmpx_ne_u16_e32 0x80, v6
	s_cbranch_execz .LBB256_974
; %bb.969:                              ;   in Loop: Header=BB256_550 Depth=1
	s_mov_b32 s10, s8
	v_dual_mov_b32 v15, s11 :: v_dual_and_b32 v6, 0xffff, v6
	v_mov_b32_e32 v14, s10
	s_mov_b32 s10, exec_lo
	s_delay_alu instid0(VALU_DEP_2) | instskip(NEXT) | instid1(VALU_DEP_1)
	v_and_b32_e32 v16, 0x7f, v6
	v_cmpx_ne_u32_e32 0x7f, v16
	s_cbranch_execz .LBB256_973
; %bb.970:                              ;   in Loop: Header=BB256_550 Depth=1
	v_and_b32_e32 v6, 7, v6
	v_lshrrev_b32_e32 v14, 3, v16
	s_mov_b32 s16, exec_lo
	v_cmpx_gt_u32_e32 8, v16
; %bb.971:                              ;   in Loop: Header=BB256_550 Depth=1
	s_delay_alu instid0(VALU_DEP_3) | instskip(NEXT) | instid1(VALU_DEP_1)
	v_clz_i32_u32_e32 v14, v6
	v_min_u32_e32 v14, 32, v14
	s_delay_alu instid0(VALU_DEP_1) | instskip(SKIP_1) | instid1(VALU_DEP_2)
	v_subrev_nc_u32_e32 v15, 28, v14
	v_sub_nc_u32_e32 v14, 29, v14
	v_lshlrev_b64 v[15:16], v15, v[6:7]
	s_delay_alu instid0(VALU_DEP_1)
	v_and_b32_e32 v6, 7, v15
; %bb.972:                              ;   in Loop: Header=BB256_550 Depth=1
	s_or_b32 exec_lo, exec_lo, s16
	v_lshlrev_b32_e32 v15, 16, v24
	s_delay_alu instid0(VALU_DEP_2) | instskip(SKIP_1) | instid1(VALU_DEP_3)
	v_lshlrev_b32_e32 v6, 20, v6
	v_lshl_add_u32 v14, v14, 23, 0x3c000000
	v_and_b32_e32 v15, 0x80000000, v15
	s_delay_alu instid0(VALU_DEP_1)
	v_or3_b32 v15, v6, v15, v14
	v_mov_b32_e32 v14, v7
.LBB256_973:                            ;   in Loop: Header=BB256_550 Depth=1
	s_or_b32 exec_lo, exec_lo, s10
.LBB256_974:                            ;   in Loop: Header=BB256_550 Depth=1
	s_delay_alu instid0(SALU_CYCLE_1)
	s_or_b32 exec_lo, exec_lo, s15
.LBB256_975:                            ;   in Loop: Header=BB256_550 Depth=1
	s_delay_alu instid0(SALU_CYCLE_1) | instskip(SKIP_4) | instid1(VALU_DEP_2)
	s_or_b32 exec_lo, exec_lo, s13
	v_mov_b32_e32 v18, 0
	v_lshrrev_b32_e32 v167, 16, v24
	v_mov_b32_e32 v19, 0
	s_mov_b32 s10, exec_lo
	v_and_b32_e32 v6, 0xff, v167
	s_delay_alu instid0(VALU_DEP_2) | instskip(NEXT) | instid1(VALU_DEP_2)
	v_dual_mov_b32 v16, v18 :: v_dual_mov_b32 v17, v19
	v_cmpx_ne_u16_e32 0, v6
	s_cbranch_execz .LBB256_983
; %bb.976:                              ;   in Loop: Header=BB256_550 Depth=1
	v_bfrev_b32_e32 v16, 1
	v_mov_b32_e32 v17, 0
	s_mov_b32 s13, exec_lo
	v_cmpx_ne_u16_e32 0x80, v6
	s_cbranch_execz .LBB256_982
; %bb.977:                              ;   in Loop: Header=BB256_550 Depth=1
	v_mov_b32_e32 v16, 0x7f800001
	v_bfe_u32 v37, v24, 16, 7
	v_mov_b32_e32 v17, 0
	s_mov_b32 s15, exec_lo
	s_delay_alu instid0(VALU_DEP_2)
	v_cmpx_ne_u32_e32 0x7f, v37
	s_cbranch_execz .LBB256_981
; %bb.978:                              ;   in Loop: Header=BB256_550 Depth=1
	v_and_b32_e32 v6, 7, v167
	v_lshrrev_b32_e32 v16, 3, v37
	s_mov_b32 s16, exec_lo
	v_cmpx_gt_u32_e32 8, v37
; %bb.979:                              ;   in Loop: Header=BB256_550 Depth=1
	s_delay_alu instid0(VALU_DEP_3) | instskip(NEXT) | instid1(VALU_DEP_1)
	v_clz_i32_u32_e32 v16, v6
	v_min_u32_e32 v16, 32, v16
	s_delay_alu instid0(VALU_DEP_1) | instskip(SKIP_1) | instid1(VALU_DEP_2)
	v_subrev_nc_u32_e32 v17, 28, v16
	v_sub_nc_u32_e32 v16, 29, v16
	v_lshlrev_b64 v[176:177], v17, v[6:7]
	s_delay_alu instid0(VALU_DEP_1)
	v_and_b32_e32 v6, 7, v176
; %bb.980:                              ;   in Loop: Header=BB256_550 Depth=1
	s_or_b32 exec_lo, exec_lo, s16
	v_lshlrev_b32_e32 v17, 24, v167
	s_delay_alu instid0(VALU_DEP_2) | instskip(SKIP_1) | instid1(VALU_DEP_3)
	v_lshlrev_b32_e32 v6, 20, v6
	v_lshl_add_u32 v16, v16, 23, 0x3c000000
	v_and_b32_e32 v17, 0x80000000, v17
	s_delay_alu instid0(VALU_DEP_1) | instskip(NEXT) | instid1(VALU_DEP_1)
	v_or3_b32 v6, v6, v17, v16
	v_dual_mov_b32 v17, v7 :: v_dual_mov_b32 v16, v6
.LBB256_981:                            ;   in Loop: Header=BB256_550 Depth=1
	s_or_b32 exec_lo, exec_lo, s15
.LBB256_982:                            ;   in Loop: Header=BB256_550 Depth=1
	s_delay_alu instid0(SALU_CYCLE_1)
	s_or_b32 exec_lo, exec_lo, s13
.LBB256_983:                            ;   in Loop: Header=BB256_550 Depth=1
	s_delay_alu instid0(SALU_CYCLE_1) | instskip(NEXT) | instid1(SALU_CYCLE_1)
	s_or_b32 exec_lo, exec_lo, s10
	s_mov_b32 s13, exec_lo
	v_cmpx_lt_u32_e32 0xffffff, v24
	s_cbranch_execz .LBB256_991
; %bb.984:                              ;   in Loop: Header=BB256_550 Depth=1
	v_lshrrev_b32_e32 v167, 24, v24
	v_dual_mov_b32 v19, s9 :: v_dual_mov_b32 v18, s8
	s_mov_b32 s15, exec_lo
	s_delay_alu instid0(VALU_DEP_2)
	v_cmpx_ne_u32_e32 0x80, v167
	s_cbranch_execz .LBB256_990
; %bb.985:                              ;   in Loop: Header=BB256_550 Depth=1
	s_mov_b32 s10, s8
	v_bfe_u32 v24, v24, 24, 7
	v_dual_mov_b32 v19, s11 :: v_dual_mov_b32 v18, s10
	s_mov_b32 s10, exec_lo
	s_delay_alu instid0(VALU_DEP_2)
	v_cmpx_ne_u32_e32 0x7f, v24
	s_cbranch_execz .LBB256_989
; %bb.986:                              ;   in Loop: Header=BB256_550 Depth=1
	v_and_b32_e32 v6, 7, v167
	v_lshrrev_b32_e32 v18, 3, v24
	s_mov_b32 s16, exec_lo
	v_cmpx_gt_u32_e32 8, v24
; %bb.987:                              ;   in Loop: Header=BB256_550 Depth=1
	s_delay_alu instid0(VALU_DEP_3) | instskip(NEXT) | instid1(VALU_DEP_1)
	v_clz_i32_u32_e32 v18, v6
	v_min_u32_e32 v18, 32, v18
	s_delay_alu instid0(VALU_DEP_1) | instskip(SKIP_1) | instid1(VALU_DEP_2)
	v_subrev_nc_u32_e32 v19, 28, v18
	v_sub_nc_u32_e32 v18, 29, v18
	v_lshlrev_b64 v[176:177], v19, v[6:7]
	s_delay_alu instid0(VALU_DEP_1)
	v_and_b32_e32 v6, 7, v176
; %bb.988:                              ;   in Loop: Header=BB256_550 Depth=1
	s_or_b32 exec_lo, exec_lo, s16
	v_lshlrev_b32_e32 v19, 24, v167
	s_delay_alu instid0(VALU_DEP_2) | instskip(SKIP_1) | instid1(VALU_DEP_3)
	v_lshlrev_b32_e32 v6, 20, v6
	v_lshl_add_u32 v18, v18, 23, 0x3c000000
	v_and_b32_e32 v19, 0x80000000, v19
	s_delay_alu instid0(VALU_DEP_1)
	v_or3_b32 v19, v6, v19, v18
	v_mov_b32_e32 v18, v7
.LBB256_989:                            ;   in Loop: Header=BB256_550 Depth=1
	s_or_b32 exec_lo, exec_lo, s10
.LBB256_990:                            ;   in Loop: Header=BB256_550 Depth=1
	s_delay_alu instid0(SALU_CYCLE_1)
	s_or_b32 exec_lo, exec_lo, s15
.LBB256_991:                            ;   in Loop: Header=BB256_550 Depth=1
	s_delay_alu instid0(SALU_CYCLE_1) | instskip(SKIP_4) | instid1(VALU_DEP_4)
	s_or_b32 exec_lo, exec_lo, s13
	v_or_b32_e32 v5, v15, v5
	v_or_b32_e32 v4, v14, v4
	;; [unrolled: 1-line block ×4, first 2 shown]
	v_mul_f32_e32 v178, v65, v5
	s_delay_alu instid0(VALU_DEP_4) | instskip(NEXT) | instid1(VALU_DEP_4)
	v_mul_f32_e32 v177, v65, v4
	v_mul_f32_e32 v167, v65, v6
	s_delay_alu instid0(VALU_DEP_4)
	v_mul_f32_e32 v176, v65, v14
	s_and_saveexec_b32 s10, vcc_lo
; %bb.992:                              ;   in Loop: Header=BB256_550 Depth=1
	v_cmp_lt_i32_e64 s0, v70, v38
	s_delay_alu instid0(VALU_DEP_1) | instskip(SKIP_1) | instid1(VALU_DEP_1)
	v_cndmask_b32_e64 v177, 0, v177, s0
	v_cmp_lt_i32_e64 s0, v81, v38
	v_cndmask_b32_e64 v178, 0, v178, s0
	v_cmp_lt_i32_e64 s0, v80, v38
	s_delay_alu instid0(VALU_DEP_1) | instskip(SKIP_1) | instid1(VALU_DEP_1)
	v_cndmask_b32_e64 v176, 0, v176, s0
	v_cmp_lt_i32_e64 s0, v71, v38
	v_cndmask_b32_e64 v167, 0, v167, s0
; %bb.993:                              ;   in Loop: Header=BB256_550 Depth=1
	s_or_b32 exec_lo, exec_lo, s10
	flat_load_b32 v24, v[12:13] offset:1664
	v_mov_b32_e32 v14, 0
	v_mov_b32_e32 v15, 0
	s_mov_b32 s10, exec_lo
	s_waitcnt vmcnt(0) lgkmcnt(0)
	v_and_b32_e32 v6, 0xff, v24
	s_delay_alu instid0(VALU_DEP_2) | instskip(NEXT) | instid1(VALU_DEP_2)
	v_dual_mov_b32 v4, v14 :: v_dual_mov_b32 v5, v15
	v_cmpx_ne_u16_e32 0, v6
	s_cbranch_execz .LBB256_1001
; %bb.994:                              ;   in Loop: Header=BB256_550 Depth=1
	v_bfrev_b32_e32 v4, 1
	v_mov_b32_e32 v5, 0
	s_mov_b32 s13, exec_lo
	v_cmpx_ne_u16_e32 0x80, v6
	s_cbranch_execz .LBB256_1000
; %bb.995:                              ;   in Loop: Header=BB256_550 Depth=1
	v_mov_b32_e32 v4, 0x7f800001
	v_dual_mov_b32 v5, 0 :: v_dual_and_b32 v16, 0x7f, v24
	s_mov_b32 s15, exec_lo
	s_delay_alu instid0(VALU_DEP_1)
	v_cmpx_ne_u32_e32 0x7f, v16
	s_cbranch_execz .LBB256_999
; %bb.996:                              ;   in Loop: Header=BB256_550 Depth=1
	v_and_b32_e32 v6, 7, v24
	v_lshrrev_b32_e32 v4, 3, v16
	s_mov_b32 s16, exec_lo
	v_cmpx_gt_u32_e32 8, v16
; %bb.997:                              ;   in Loop: Header=BB256_550 Depth=1
	s_delay_alu instid0(VALU_DEP_3) | instskip(NEXT) | instid1(VALU_DEP_1)
	v_clz_i32_u32_e32 v4, v6
	v_min_u32_e32 v4, 32, v4
	s_delay_alu instid0(VALU_DEP_1) | instskip(SKIP_1) | instid1(VALU_DEP_2)
	v_subrev_nc_u32_e32 v5, 28, v4
	v_sub_nc_u32_e32 v4, 29, v4
	v_lshlrev_b64 v[5:6], v5, v[6:7]
	s_delay_alu instid0(VALU_DEP_1)
	v_and_b32_e32 v6, 7, v5
; %bb.998:                              ;   in Loop: Header=BB256_550 Depth=1
	s_or_b32 exec_lo, exec_lo, s16
	v_lshlrev_b32_e32 v5, 24, v24
	s_delay_alu instid0(VALU_DEP_2) | instskip(SKIP_1) | instid1(VALU_DEP_3)
	v_lshlrev_b32_e32 v6, 20, v6
	v_lshl_add_u32 v4, v4, 23, 0x3c000000
	v_and_b32_e32 v5, 0x80000000, v5
	s_delay_alu instid0(VALU_DEP_1) | instskip(NEXT) | instid1(VALU_DEP_1)
	v_or3_b32 v6, v6, v5, v4
	v_dual_mov_b32 v4, v6 :: v_dual_mov_b32 v5, v7
.LBB256_999:                            ;   in Loop: Header=BB256_550 Depth=1
	s_or_b32 exec_lo, exec_lo, s15
.LBB256_1000:                           ;   in Loop: Header=BB256_550 Depth=1
	s_delay_alu instid0(SALU_CYCLE_1)
	s_or_b32 exec_lo, exec_lo, s13
.LBB256_1001:                           ;   in Loop: Header=BB256_550 Depth=1
	s_delay_alu instid0(SALU_CYCLE_1) | instskip(SKIP_2) | instid1(VALU_DEP_1)
	s_or_b32 exec_lo, exec_lo, s10
	v_lshrrev_b16 v6, 8, v24
	s_mov_b32 s13, exec_lo
	v_cmpx_ne_u16_e32 0, v6
	s_cbranch_execz .LBB256_1009
; %bb.1002:                             ;   in Loop: Header=BB256_550 Depth=1
	v_dual_mov_b32 v15, s9 :: v_dual_mov_b32 v14, s8
	s_mov_b32 s15, exec_lo
	v_cmpx_ne_u16_e32 0x80, v6
	s_cbranch_execz .LBB256_1008
; %bb.1003:                             ;   in Loop: Header=BB256_550 Depth=1
	s_mov_b32 s10, s8
	v_dual_mov_b32 v15, s11 :: v_dual_and_b32 v6, 0xffff, v6
	v_mov_b32_e32 v14, s10
	s_mov_b32 s10, exec_lo
	s_delay_alu instid0(VALU_DEP_2) | instskip(NEXT) | instid1(VALU_DEP_1)
	v_and_b32_e32 v16, 0x7f, v6
	v_cmpx_ne_u32_e32 0x7f, v16
	s_cbranch_execz .LBB256_1007
; %bb.1004:                             ;   in Loop: Header=BB256_550 Depth=1
	v_and_b32_e32 v6, 7, v6
	v_lshrrev_b32_e32 v14, 3, v16
	s_mov_b32 s16, exec_lo
	v_cmpx_gt_u32_e32 8, v16
; %bb.1005:                             ;   in Loop: Header=BB256_550 Depth=1
	s_delay_alu instid0(VALU_DEP_3) | instskip(NEXT) | instid1(VALU_DEP_1)
	v_clz_i32_u32_e32 v14, v6
	v_min_u32_e32 v14, 32, v14
	s_delay_alu instid0(VALU_DEP_1) | instskip(SKIP_1) | instid1(VALU_DEP_2)
	v_subrev_nc_u32_e32 v15, 28, v14
	v_sub_nc_u32_e32 v14, 29, v14
	v_lshlrev_b64 v[15:16], v15, v[6:7]
	s_delay_alu instid0(VALU_DEP_1)
	v_and_b32_e32 v6, 7, v15
; %bb.1006:                             ;   in Loop: Header=BB256_550 Depth=1
	s_or_b32 exec_lo, exec_lo, s16
	v_lshlrev_b32_e32 v15, 16, v24
	s_delay_alu instid0(VALU_DEP_2) | instskip(SKIP_1) | instid1(VALU_DEP_3)
	v_lshlrev_b32_e32 v6, 20, v6
	v_lshl_add_u32 v14, v14, 23, 0x3c000000
	v_and_b32_e32 v15, 0x80000000, v15
	s_delay_alu instid0(VALU_DEP_1)
	v_or3_b32 v15, v6, v15, v14
	v_mov_b32_e32 v14, v7
.LBB256_1007:                           ;   in Loop: Header=BB256_550 Depth=1
	s_or_b32 exec_lo, exec_lo, s10
.LBB256_1008:                           ;   in Loop: Header=BB256_550 Depth=1
	s_delay_alu instid0(SALU_CYCLE_1)
	s_or_b32 exec_lo, exec_lo, s15
.LBB256_1009:                           ;   in Loop: Header=BB256_550 Depth=1
	s_delay_alu instid0(SALU_CYCLE_1) | instskip(SKIP_4) | instid1(VALU_DEP_2)
	s_or_b32 exec_lo, exec_lo, s13
	v_mov_b32_e32 v18, 0
	v_lshrrev_b32_e32 v179, 16, v24
	v_mov_b32_e32 v19, 0
	s_mov_b32 s10, exec_lo
	v_and_b32_e32 v6, 0xff, v179
	s_delay_alu instid0(VALU_DEP_2) | instskip(NEXT) | instid1(VALU_DEP_2)
	v_dual_mov_b32 v16, v18 :: v_dual_mov_b32 v17, v19
	v_cmpx_ne_u16_e32 0, v6
	s_cbranch_execz .LBB256_1017
; %bb.1010:                             ;   in Loop: Header=BB256_550 Depth=1
	v_bfrev_b32_e32 v16, 1
	v_mov_b32_e32 v17, 0
	s_mov_b32 s13, exec_lo
	v_cmpx_ne_u16_e32 0x80, v6
	s_cbranch_execz .LBB256_1016
; %bb.1011:                             ;   in Loop: Header=BB256_550 Depth=1
	v_mov_b32_e32 v16, 0x7f800001
	v_bfe_u32 v37, v24, 16, 7
	v_mov_b32_e32 v17, 0
	s_mov_b32 s15, exec_lo
	s_delay_alu instid0(VALU_DEP_2)
	v_cmpx_ne_u32_e32 0x7f, v37
	s_cbranch_execz .LBB256_1015
; %bb.1012:                             ;   in Loop: Header=BB256_550 Depth=1
	v_and_b32_e32 v6, 7, v179
	v_lshrrev_b32_e32 v16, 3, v37
	s_mov_b32 s16, exec_lo
	v_cmpx_gt_u32_e32 8, v37
; %bb.1013:                             ;   in Loop: Header=BB256_550 Depth=1
	s_delay_alu instid0(VALU_DEP_3) | instskip(NEXT) | instid1(VALU_DEP_1)
	v_clz_i32_u32_e32 v16, v6
	v_min_u32_e32 v16, 32, v16
	s_delay_alu instid0(VALU_DEP_1) | instskip(SKIP_1) | instid1(VALU_DEP_2)
	v_subrev_nc_u32_e32 v17, 28, v16
	v_sub_nc_u32_e32 v16, 29, v16
	v_lshlrev_b64 v[180:181], v17, v[6:7]
	s_delay_alu instid0(VALU_DEP_1)
	v_and_b32_e32 v6, 7, v180
; %bb.1014:                             ;   in Loop: Header=BB256_550 Depth=1
	s_or_b32 exec_lo, exec_lo, s16
	v_lshlrev_b32_e32 v17, 24, v179
	s_delay_alu instid0(VALU_DEP_2) | instskip(SKIP_1) | instid1(VALU_DEP_3)
	v_lshlrev_b32_e32 v6, 20, v6
	v_lshl_add_u32 v16, v16, 23, 0x3c000000
	v_and_b32_e32 v17, 0x80000000, v17
	s_delay_alu instid0(VALU_DEP_1) | instskip(NEXT) | instid1(VALU_DEP_1)
	v_or3_b32 v6, v6, v17, v16
	v_dual_mov_b32 v17, v7 :: v_dual_mov_b32 v16, v6
.LBB256_1015:                           ;   in Loop: Header=BB256_550 Depth=1
	s_or_b32 exec_lo, exec_lo, s15
.LBB256_1016:                           ;   in Loop: Header=BB256_550 Depth=1
	s_delay_alu instid0(SALU_CYCLE_1)
	s_or_b32 exec_lo, exec_lo, s13
.LBB256_1017:                           ;   in Loop: Header=BB256_550 Depth=1
	s_delay_alu instid0(SALU_CYCLE_1) | instskip(NEXT) | instid1(SALU_CYCLE_1)
	s_or_b32 exec_lo, exec_lo, s10
	s_mov_b32 s13, exec_lo
	v_cmpx_lt_u32_e32 0xffffff, v24
	s_cbranch_execz .LBB256_1025
; %bb.1018:                             ;   in Loop: Header=BB256_550 Depth=1
	v_lshrrev_b32_e32 v179, 24, v24
	v_dual_mov_b32 v19, s9 :: v_dual_mov_b32 v18, s8
	s_mov_b32 s15, exec_lo
	s_delay_alu instid0(VALU_DEP_2)
	v_cmpx_ne_u32_e32 0x80, v179
	s_cbranch_execz .LBB256_1024
; %bb.1019:                             ;   in Loop: Header=BB256_550 Depth=1
	s_mov_b32 s10, s8
	v_bfe_u32 v24, v24, 24, 7
	v_dual_mov_b32 v19, s11 :: v_dual_mov_b32 v18, s10
	s_mov_b32 s10, exec_lo
	s_delay_alu instid0(VALU_DEP_2)
	v_cmpx_ne_u32_e32 0x7f, v24
	s_cbranch_execz .LBB256_1023
; %bb.1020:                             ;   in Loop: Header=BB256_550 Depth=1
	v_and_b32_e32 v6, 7, v179
	v_lshrrev_b32_e32 v18, 3, v24
	s_mov_b32 s16, exec_lo
	v_cmpx_gt_u32_e32 8, v24
; %bb.1021:                             ;   in Loop: Header=BB256_550 Depth=1
	s_delay_alu instid0(VALU_DEP_3) | instskip(NEXT) | instid1(VALU_DEP_1)
	v_clz_i32_u32_e32 v18, v6
	v_min_u32_e32 v18, 32, v18
	s_delay_alu instid0(VALU_DEP_1) | instskip(SKIP_1) | instid1(VALU_DEP_2)
	v_subrev_nc_u32_e32 v19, 28, v18
	v_sub_nc_u32_e32 v18, 29, v18
	v_lshlrev_b64 v[180:181], v19, v[6:7]
	s_delay_alu instid0(VALU_DEP_1)
	v_and_b32_e32 v6, 7, v180
; %bb.1022:                             ;   in Loop: Header=BB256_550 Depth=1
	s_or_b32 exec_lo, exec_lo, s16
	v_lshlrev_b32_e32 v19, 24, v179
	s_delay_alu instid0(VALU_DEP_2) | instskip(SKIP_1) | instid1(VALU_DEP_3)
	v_lshlrev_b32_e32 v6, 20, v6
	v_lshl_add_u32 v18, v18, 23, 0x3c000000
	v_and_b32_e32 v19, 0x80000000, v19
	s_delay_alu instid0(VALU_DEP_1)
	v_or3_b32 v19, v6, v19, v18
	v_mov_b32_e32 v18, v7
.LBB256_1023:                           ;   in Loop: Header=BB256_550 Depth=1
	s_or_b32 exec_lo, exec_lo, s10
.LBB256_1024:                           ;   in Loop: Header=BB256_550 Depth=1
	s_delay_alu instid0(SALU_CYCLE_1)
	s_or_b32 exec_lo, exec_lo, s15
.LBB256_1025:                           ;   in Loop: Header=BB256_550 Depth=1
	s_delay_alu instid0(SALU_CYCLE_1) | instskip(SKIP_4) | instid1(VALU_DEP_4)
	s_or_b32 exec_lo, exec_lo, s13
	v_or_b32_e32 v5, v15, v5
	v_or_b32_e32 v4, v14, v4
	;; [unrolled: 1-line block ×4, first 2 shown]
	v_mul_f32_e32 v182, v65, v5
	s_delay_alu instid0(VALU_DEP_4) | instskip(NEXT) | instid1(VALU_DEP_4)
	v_mul_f32_e32 v181, v65, v4
	v_mul_f32_e32 v179, v65, v6
	s_delay_alu instid0(VALU_DEP_4)
	v_mul_f32_e32 v180, v65, v14
	s_and_saveexec_b32 s10, vcc_lo
; %bb.1026:                             ;   in Loop: Header=BB256_550 Depth=1
	v_cmp_lt_i32_e64 s0, v70, v38
	s_delay_alu instid0(VALU_DEP_1) | instskip(SKIP_1) | instid1(VALU_DEP_1)
	v_cndmask_b32_e64 v181, 0, v181, s0
	v_cmp_lt_i32_e64 s0, v81, v38
	v_cndmask_b32_e64 v182, 0, v182, s0
	v_cmp_lt_i32_e64 s0, v80, v38
	s_delay_alu instid0(VALU_DEP_1) | instskip(SKIP_1) | instid1(VALU_DEP_1)
	v_cndmask_b32_e64 v180, 0, v180, s0
	v_cmp_lt_i32_e64 s0, v71, v38
	v_cndmask_b32_e64 v179, 0, v179, s0
; %bb.1027:                             ;   in Loop: Header=BB256_550 Depth=1
	s_or_b32 exec_lo, exec_lo, s10
	flat_load_b32 v24, v[12:13] offset:1792
	v_mov_b32_e32 v14, 0
	v_mov_b32_e32 v15, 0
	s_mov_b32 s10, exec_lo
	s_waitcnt vmcnt(0) lgkmcnt(0)
	v_and_b32_e32 v6, 0xff, v24
	s_delay_alu instid0(VALU_DEP_2) | instskip(NEXT) | instid1(VALU_DEP_2)
	v_dual_mov_b32 v4, v14 :: v_dual_mov_b32 v5, v15
	v_cmpx_ne_u16_e32 0, v6
	s_cbranch_execz .LBB256_1035
; %bb.1028:                             ;   in Loop: Header=BB256_550 Depth=1
	v_bfrev_b32_e32 v4, 1
	v_mov_b32_e32 v5, 0
	s_mov_b32 s13, exec_lo
	v_cmpx_ne_u16_e32 0x80, v6
	s_cbranch_execz .LBB256_1034
; %bb.1029:                             ;   in Loop: Header=BB256_550 Depth=1
	v_mov_b32_e32 v4, 0x7f800001
	v_dual_mov_b32 v5, 0 :: v_dual_and_b32 v16, 0x7f, v24
	s_mov_b32 s15, exec_lo
	s_delay_alu instid0(VALU_DEP_1)
	v_cmpx_ne_u32_e32 0x7f, v16
	s_cbranch_execz .LBB256_1033
; %bb.1030:                             ;   in Loop: Header=BB256_550 Depth=1
	v_and_b32_e32 v6, 7, v24
	v_lshrrev_b32_e32 v4, 3, v16
	s_mov_b32 s16, exec_lo
	v_cmpx_gt_u32_e32 8, v16
; %bb.1031:                             ;   in Loop: Header=BB256_550 Depth=1
	s_delay_alu instid0(VALU_DEP_3) | instskip(NEXT) | instid1(VALU_DEP_1)
	v_clz_i32_u32_e32 v4, v6
	v_min_u32_e32 v4, 32, v4
	s_delay_alu instid0(VALU_DEP_1) | instskip(SKIP_1) | instid1(VALU_DEP_2)
	v_subrev_nc_u32_e32 v5, 28, v4
	v_sub_nc_u32_e32 v4, 29, v4
	v_lshlrev_b64 v[5:6], v5, v[6:7]
	s_delay_alu instid0(VALU_DEP_1)
	v_and_b32_e32 v6, 7, v5
; %bb.1032:                             ;   in Loop: Header=BB256_550 Depth=1
	s_or_b32 exec_lo, exec_lo, s16
	v_lshlrev_b32_e32 v5, 24, v24
	s_delay_alu instid0(VALU_DEP_2) | instskip(SKIP_1) | instid1(VALU_DEP_3)
	v_lshlrev_b32_e32 v6, 20, v6
	v_lshl_add_u32 v4, v4, 23, 0x3c000000
	v_and_b32_e32 v5, 0x80000000, v5
	s_delay_alu instid0(VALU_DEP_1) | instskip(NEXT) | instid1(VALU_DEP_1)
	v_or3_b32 v6, v6, v5, v4
	v_dual_mov_b32 v4, v6 :: v_dual_mov_b32 v5, v7
.LBB256_1033:                           ;   in Loop: Header=BB256_550 Depth=1
	s_or_b32 exec_lo, exec_lo, s15
.LBB256_1034:                           ;   in Loop: Header=BB256_550 Depth=1
	s_delay_alu instid0(SALU_CYCLE_1)
	s_or_b32 exec_lo, exec_lo, s13
.LBB256_1035:                           ;   in Loop: Header=BB256_550 Depth=1
	s_delay_alu instid0(SALU_CYCLE_1) | instskip(SKIP_2) | instid1(VALU_DEP_1)
	s_or_b32 exec_lo, exec_lo, s10
	v_lshrrev_b16 v6, 8, v24
	s_mov_b32 s13, exec_lo
	v_cmpx_ne_u16_e32 0, v6
	s_cbranch_execz .LBB256_1043
; %bb.1036:                             ;   in Loop: Header=BB256_550 Depth=1
	v_dual_mov_b32 v15, s9 :: v_dual_mov_b32 v14, s8
	s_mov_b32 s15, exec_lo
	v_cmpx_ne_u16_e32 0x80, v6
	s_cbranch_execz .LBB256_1042
; %bb.1037:                             ;   in Loop: Header=BB256_550 Depth=1
	s_mov_b32 s10, s8
	v_dual_mov_b32 v15, s11 :: v_dual_and_b32 v6, 0xffff, v6
	v_mov_b32_e32 v14, s10
	s_mov_b32 s10, exec_lo
	s_delay_alu instid0(VALU_DEP_2) | instskip(NEXT) | instid1(VALU_DEP_1)
	v_and_b32_e32 v16, 0x7f, v6
	v_cmpx_ne_u32_e32 0x7f, v16
	s_cbranch_execz .LBB256_1041
; %bb.1038:                             ;   in Loop: Header=BB256_550 Depth=1
	v_and_b32_e32 v6, 7, v6
	v_lshrrev_b32_e32 v14, 3, v16
	s_mov_b32 s16, exec_lo
	v_cmpx_gt_u32_e32 8, v16
; %bb.1039:                             ;   in Loop: Header=BB256_550 Depth=1
	s_delay_alu instid0(VALU_DEP_3) | instskip(NEXT) | instid1(VALU_DEP_1)
	v_clz_i32_u32_e32 v14, v6
	v_min_u32_e32 v14, 32, v14
	s_delay_alu instid0(VALU_DEP_1) | instskip(SKIP_1) | instid1(VALU_DEP_2)
	v_subrev_nc_u32_e32 v15, 28, v14
	v_sub_nc_u32_e32 v14, 29, v14
	v_lshlrev_b64 v[15:16], v15, v[6:7]
	s_delay_alu instid0(VALU_DEP_1)
	v_and_b32_e32 v6, 7, v15
; %bb.1040:                             ;   in Loop: Header=BB256_550 Depth=1
	s_or_b32 exec_lo, exec_lo, s16
	v_lshlrev_b32_e32 v15, 16, v24
	s_delay_alu instid0(VALU_DEP_2) | instskip(SKIP_1) | instid1(VALU_DEP_3)
	v_lshlrev_b32_e32 v6, 20, v6
	v_lshl_add_u32 v14, v14, 23, 0x3c000000
	v_and_b32_e32 v15, 0x80000000, v15
	s_delay_alu instid0(VALU_DEP_1)
	v_or3_b32 v15, v6, v15, v14
	v_mov_b32_e32 v14, v7
.LBB256_1041:                           ;   in Loop: Header=BB256_550 Depth=1
	s_or_b32 exec_lo, exec_lo, s10
.LBB256_1042:                           ;   in Loop: Header=BB256_550 Depth=1
	s_delay_alu instid0(SALU_CYCLE_1)
	s_or_b32 exec_lo, exec_lo, s15
.LBB256_1043:                           ;   in Loop: Header=BB256_550 Depth=1
	s_delay_alu instid0(SALU_CYCLE_1) | instskip(SKIP_4) | instid1(VALU_DEP_2)
	s_or_b32 exec_lo, exec_lo, s13
	v_mov_b32_e32 v18, 0
	v_lshrrev_b32_e32 v183, 16, v24
	v_mov_b32_e32 v19, 0
	s_mov_b32 s10, exec_lo
	v_and_b32_e32 v6, 0xff, v183
	s_delay_alu instid0(VALU_DEP_2) | instskip(NEXT) | instid1(VALU_DEP_2)
	v_dual_mov_b32 v16, v18 :: v_dual_mov_b32 v17, v19
	v_cmpx_ne_u16_e32 0, v6
	s_cbranch_execz .LBB256_1051
; %bb.1044:                             ;   in Loop: Header=BB256_550 Depth=1
	v_bfrev_b32_e32 v16, 1
	v_mov_b32_e32 v17, 0
	s_mov_b32 s13, exec_lo
	v_cmpx_ne_u16_e32 0x80, v6
	s_cbranch_execz .LBB256_1050
; %bb.1045:                             ;   in Loop: Header=BB256_550 Depth=1
	v_mov_b32_e32 v16, 0x7f800001
	v_bfe_u32 v37, v24, 16, 7
	v_mov_b32_e32 v17, 0
	s_mov_b32 s15, exec_lo
	s_delay_alu instid0(VALU_DEP_2)
	v_cmpx_ne_u32_e32 0x7f, v37
	s_cbranch_execz .LBB256_1049
; %bb.1046:                             ;   in Loop: Header=BB256_550 Depth=1
	v_and_b32_e32 v6, 7, v183
	v_lshrrev_b32_e32 v16, 3, v37
	s_mov_b32 s16, exec_lo
	v_cmpx_gt_u32_e32 8, v37
; %bb.1047:                             ;   in Loop: Header=BB256_550 Depth=1
	s_delay_alu instid0(VALU_DEP_3) | instskip(NEXT) | instid1(VALU_DEP_1)
	v_clz_i32_u32_e32 v16, v6
	v_min_u32_e32 v16, 32, v16
	s_delay_alu instid0(VALU_DEP_1) | instskip(SKIP_1) | instid1(VALU_DEP_2)
	v_subrev_nc_u32_e32 v17, 28, v16
	v_sub_nc_u32_e32 v16, 29, v16
	v_lshlrev_b64 v[40:41], v17, v[6:7]
	s_delay_alu instid0(VALU_DEP_1)
	v_and_b32_e32 v6, 7, v40
; %bb.1048:                             ;   in Loop: Header=BB256_550 Depth=1
	s_or_b32 exec_lo, exec_lo, s16
	v_lshlrev_b32_e32 v17, 24, v183
	s_delay_alu instid0(VALU_DEP_2) | instskip(SKIP_1) | instid1(VALU_DEP_3)
	v_lshlrev_b32_e32 v6, 20, v6
	v_lshl_add_u32 v16, v16, 23, 0x3c000000
	v_and_b32_e32 v17, 0x80000000, v17
	s_delay_alu instid0(VALU_DEP_1) | instskip(NEXT) | instid1(VALU_DEP_1)
	v_or3_b32 v6, v6, v17, v16
	v_dual_mov_b32 v17, v7 :: v_dual_mov_b32 v16, v6
.LBB256_1049:                           ;   in Loop: Header=BB256_550 Depth=1
	s_or_b32 exec_lo, exec_lo, s15
.LBB256_1050:                           ;   in Loop: Header=BB256_550 Depth=1
	s_delay_alu instid0(SALU_CYCLE_1)
	s_or_b32 exec_lo, exec_lo, s13
.LBB256_1051:                           ;   in Loop: Header=BB256_550 Depth=1
	s_delay_alu instid0(SALU_CYCLE_1) | instskip(NEXT) | instid1(SALU_CYCLE_1)
	s_or_b32 exec_lo, exec_lo, s10
	s_mov_b32 s13, exec_lo
	v_cmpx_lt_u32_e32 0xffffff, v24
	s_cbranch_execz .LBB256_1059
; %bb.1052:                             ;   in Loop: Header=BB256_550 Depth=1
	v_lshrrev_b32_e32 v183, 24, v24
	v_dual_mov_b32 v19, s9 :: v_dual_mov_b32 v18, s8
	s_mov_b32 s15, exec_lo
	s_delay_alu instid0(VALU_DEP_2)
	v_cmpx_ne_u32_e32 0x80, v183
	s_cbranch_execz .LBB256_1058
; %bb.1053:                             ;   in Loop: Header=BB256_550 Depth=1
	s_mov_b32 s10, s8
	v_bfe_u32 v24, v24, 24, 7
	v_dual_mov_b32 v19, s11 :: v_dual_mov_b32 v18, s10
	s_mov_b32 s10, exec_lo
	s_delay_alu instid0(VALU_DEP_2)
	v_cmpx_ne_u32_e32 0x7f, v24
	s_cbranch_execz .LBB256_1057
; %bb.1054:                             ;   in Loop: Header=BB256_550 Depth=1
	v_and_b32_e32 v6, 7, v183
	v_lshrrev_b32_e32 v18, 3, v24
	s_mov_b32 s16, exec_lo
	v_cmpx_gt_u32_e32 8, v24
; %bb.1055:                             ;   in Loop: Header=BB256_550 Depth=1
	s_delay_alu instid0(VALU_DEP_3) | instskip(NEXT) | instid1(VALU_DEP_1)
	v_clz_i32_u32_e32 v18, v6
	v_min_u32_e32 v18, 32, v18
	s_delay_alu instid0(VALU_DEP_1) | instskip(SKIP_1) | instid1(VALU_DEP_2)
	v_subrev_nc_u32_e32 v19, 28, v18
	v_sub_nc_u32_e32 v18, 29, v18
	v_lshlrev_b64 v[40:41], v19, v[6:7]
	s_delay_alu instid0(VALU_DEP_1)
	v_and_b32_e32 v6, 7, v40
; %bb.1056:                             ;   in Loop: Header=BB256_550 Depth=1
	s_or_b32 exec_lo, exec_lo, s16
	v_lshlrev_b32_e32 v19, 24, v183
	s_delay_alu instid0(VALU_DEP_2) | instskip(SKIP_1) | instid1(VALU_DEP_3)
	v_lshlrev_b32_e32 v6, 20, v6
	v_lshl_add_u32 v18, v18, 23, 0x3c000000
	v_and_b32_e32 v19, 0x80000000, v19
	s_delay_alu instid0(VALU_DEP_1)
	v_or3_b32 v19, v6, v19, v18
	v_mov_b32_e32 v18, v7
.LBB256_1057:                           ;   in Loop: Header=BB256_550 Depth=1
	s_or_b32 exec_lo, exec_lo, s10
.LBB256_1058:                           ;   in Loop: Header=BB256_550 Depth=1
	s_delay_alu instid0(SALU_CYCLE_1)
	s_or_b32 exec_lo, exec_lo, s15
.LBB256_1059:                           ;   in Loop: Header=BB256_550 Depth=1
	s_delay_alu instid0(SALU_CYCLE_1) | instskip(SKIP_4) | instid1(VALU_DEP_4)
	s_or_b32 exec_lo, exec_lo, s13
	v_or_b32_e32 v5, v15, v5
	v_or_b32_e32 v4, v14, v4
	;; [unrolled: 1-line block ×4, first 2 shown]
	v_mul_f32_e32 v40, v65, v5
	s_delay_alu instid0(VALU_DEP_4) | instskip(NEXT) | instid1(VALU_DEP_4)
	v_mul_f32_e32 v183, v65, v4
	v_mul_f32_e32 v18, v65, v6
	s_delay_alu instid0(VALU_DEP_4)
	v_mul_f32_e32 v19, v65, v14
	s_and_saveexec_b32 s10, vcc_lo
; %bb.1060:                             ;   in Loop: Header=BB256_550 Depth=1
	v_cmp_lt_i32_e64 s0, v70, v38
	s_delay_alu instid0(VALU_DEP_1) | instskip(SKIP_1) | instid1(VALU_DEP_1)
	v_cndmask_b32_e64 v183, 0, v183, s0
	v_cmp_lt_i32_e64 s0, v81, v38
	v_cndmask_b32_e64 v40, 0, v40, s0
	v_cmp_lt_i32_e64 s0, v80, v38
	s_delay_alu instid0(VALU_DEP_1) | instskip(SKIP_1) | instid1(VALU_DEP_1)
	v_cndmask_b32_e64 v19, 0, v19, s0
	v_cmp_lt_i32_e64 s0, v71, v38
	v_cndmask_b32_e64 v18, 0, v18, s0
; %bb.1061:                             ;   in Loop: Header=BB256_550 Depth=1
	s_or_b32 exec_lo, exec_lo, s10
	flat_load_b32 v24, v[12:13] offset:1920
	v_mov_b32_e32 v12, 0
	v_mov_b32_e32 v13, 0
	s_mov_b32 s10, exec_lo
	s_waitcnt vmcnt(0) lgkmcnt(0)
	v_and_b32_e32 v6, 0xff, v24
	s_delay_alu instid0(VALU_DEP_2) | instskip(NEXT) | instid1(VALU_DEP_2)
	v_dual_mov_b32 v4, v12 :: v_dual_mov_b32 v5, v13
	v_cmpx_ne_u16_e32 0, v6
	s_cbranch_execz .LBB256_1069
; %bb.1062:                             ;   in Loop: Header=BB256_550 Depth=1
	v_bfrev_b32_e32 v4, 1
	v_mov_b32_e32 v5, 0
	s_mov_b32 s13, exec_lo
	v_cmpx_ne_u16_e32 0x80, v6
	s_cbranch_execz .LBB256_1068
; %bb.1063:                             ;   in Loop: Header=BB256_550 Depth=1
	v_mov_b32_e32 v4, 0x7f800001
	v_dual_mov_b32 v5, 0 :: v_dual_and_b32 v14, 0x7f, v24
	s_mov_b32 s15, exec_lo
	s_delay_alu instid0(VALU_DEP_1)
	v_cmpx_ne_u32_e32 0x7f, v14
	s_cbranch_execz .LBB256_1067
; %bb.1064:                             ;   in Loop: Header=BB256_550 Depth=1
	v_and_b32_e32 v6, 7, v24
	v_lshrrev_b32_e32 v4, 3, v14
	s_mov_b32 s16, exec_lo
	v_cmpx_gt_u32_e32 8, v14
; %bb.1065:                             ;   in Loop: Header=BB256_550 Depth=1
	s_delay_alu instid0(VALU_DEP_3) | instskip(NEXT) | instid1(VALU_DEP_1)
	v_clz_i32_u32_e32 v4, v6
	v_min_u32_e32 v4, 32, v4
	s_delay_alu instid0(VALU_DEP_1) | instskip(SKIP_1) | instid1(VALU_DEP_2)
	v_subrev_nc_u32_e32 v5, 28, v4
	v_sub_nc_u32_e32 v4, 29, v4
	v_lshlrev_b64 v[5:6], v5, v[6:7]
	s_delay_alu instid0(VALU_DEP_1)
	v_and_b32_e32 v6, 7, v5
; %bb.1066:                             ;   in Loop: Header=BB256_550 Depth=1
	s_or_b32 exec_lo, exec_lo, s16
	v_lshlrev_b32_e32 v5, 24, v24
	s_delay_alu instid0(VALU_DEP_2) | instskip(SKIP_1) | instid1(VALU_DEP_3)
	v_lshlrev_b32_e32 v6, 20, v6
	v_lshl_add_u32 v4, v4, 23, 0x3c000000
	v_and_b32_e32 v5, 0x80000000, v5
	s_delay_alu instid0(VALU_DEP_1) | instskip(NEXT) | instid1(VALU_DEP_1)
	v_or3_b32 v6, v6, v5, v4
	v_dual_mov_b32 v4, v6 :: v_dual_mov_b32 v5, v7
.LBB256_1067:                           ;   in Loop: Header=BB256_550 Depth=1
	s_or_b32 exec_lo, exec_lo, s15
.LBB256_1068:                           ;   in Loop: Header=BB256_550 Depth=1
	s_delay_alu instid0(SALU_CYCLE_1)
	s_or_b32 exec_lo, exec_lo, s13
.LBB256_1069:                           ;   in Loop: Header=BB256_550 Depth=1
	s_delay_alu instid0(SALU_CYCLE_1) | instskip(SKIP_2) | instid1(VALU_DEP_1)
	s_or_b32 exec_lo, exec_lo, s10
	v_lshrrev_b16 v6, 8, v24
	s_mov_b32 s13, exec_lo
	v_cmpx_ne_u16_e32 0, v6
	s_cbranch_execz .LBB256_1077
; %bb.1070:                             ;   in Loop: Header=BB256_550 Depth=1
	v_dual_mov_b32 v13, s9 :: v_dual_mov_b32 v12, s8
	s_mov_b32 s15, exec_lo
	v_cmpx_ne_u16_e32 0x80, v6
	s_cbranch_execz .LBB256_1076
; %bb.1071:                             ;   in Loop: Header=BB256_550 Depth=1
	s_mov_b32 s10, s8
	v_dual_mov_b32 v13, s11 :: v_dual_and_b32 v6, 0xffff, v6
	v_mov_b32_e32 v12, s10
	s_mov_b32 s10, exec_lo
	s_delay_alu instid0(VALU_DEP_2) | instskip(NEXT) | instid1(VALU_DEP_1)
	v_and_b32_e32 v14, 0x7f, v6
	v_cmpx_ne_u32_e32 0x7f, v14
	s_cbranch_execz .LBB256_1075
; %bb.1072:                             ;   in Loop: Header=BB256_550 Depth=1
	v_and_b32_e32 v6, 7, v6
	v_lshrrev_b32_e32 v12, 3, v14
	s_mov_b32 s16, exec_lo
	v_cmpx_gt_u32_e32 8, v14
; %bb.1073:                             ;   in Loop: Header=BB256_550 Depth=1
	s_delay_alu instid0(VALU_DEP_3) | instskip(NEXT) | instid1(VALU_DEP_1)
	v_clz_i32_u32_e32 v12, v6
	v_min_u32_e32 v12, 32, v12
	s_delay_alu instid0(VALU_DEP_1) | instskip(SKIP_1) | instid1(VALU_DEP_2)
	v_subrev_nc_u32_e32 v13, 28, v12
	v_sub_nc_u32_e32 v12, 29, v12
	v_lshlrev_b64 v[13:14], v13, v[6:7]
	s_delay_alu instid0(VALU_DEP_1)
	v_and_b32_e32 v6, 7, v13
; %bb.1074:                             ;   in Loop: Header=BB256_550 Depth=1
	s_or_b32 exec_lo, exec_lo, s16
	v_lshlrev_b32_e32 v13, 16, v24
	s_delay_alu instid0(VALU_DEP_2) | instskip(SKIP_1) | instid1(VALU_DEP_3)
	v_lshlrev_b32_e32 v6, 20, v6
	v_lshl_add_u32 v12, v12, 23, 0x3c000000
	v_and_b32_e32 v13, 0x80000000, v13
	s_delay_alu instid0(VALU_DEP_1)
	v_or3_b32 v13, v6, v13, v12
	v_mov_b32_e32 v12, v7
.LBB256_1075:                           ;   in Loop: Header=BB256_550 Depth=1
	s_or_b32 exec_lo, exec_lo, s10
.LBB256_1076:                           ;   in Loop: Header=BB256_550 Depth=1
	s_delay_alu instid0(SALU_CYCLE_1)
	s_or_b32 exec_lo, exec_lo, s15
.LBB256_1077:                           ;   in Loop: Header=BB256_550 Depth=1
	s_delay_alu instid0(SALU_CYCLE_1) | instskip(SKIP_4) | instid1(VALU_DEP_2)
	s_or_b32 exec_lo, exec_lo, s13
	v_mov_b32_e32 v16, 0
	v_lshrrev_b32_e32 v41, 16, v24
	v_mov_b32_e32 v17, 0
	s_mov_b32 s10, exec_lo
	v_and_b32_e32 v6, 0xff, v41
	s_delay_alu instid0(VALU_DEP_2) | instskip(NEXT) | instid1(VALU_DEP_2)
	v_dual_mov_b32 v14, v16 :: v_dual_mov_b32 v15, v17
	v_cmpx_ne_u16_e32 0, v6
	s_cbranch_execz .LBB256_1085
; %bb.1078:                             ;   in Loop: Header=BB256_550 Depth=1
	v_bfrev_b32_e32 v14, 1
	v_mov_b32_e32 v15, 0
	s_mov_b32 s13, exec_lo
	v_cmpx_ne_u16_e32 0x80, v6
	s_cbranch_execz .LBB256_1084
; %bb.1079:                             ;   in Loop: Header=BB256_550 Depth=1
	v_mov_b32_e32 v14, 0x7f800001
	v_bfe_u32 v37, v24, 16, 7
	v_mov_b32_e32 v15, 0
	s_mov_b32 s15, exec_lo
	s_delay_alu instid0(VALU_DEP_2)
	v_cmpx_ne_u32_e32 0x7f, v37
	s_cbranch_execz .LBB256_1083
; %bb.1080:                             ;   in Loop: Header=BB256_550 Depth=1
	v_and_b32_e32 v6, 7, v41
	v_lshrrev_b32_e32 v14, 3, v37
	s_mov_b32 s16, exec_lo
	v_cmpx_gt_u32_e32 8, v37
; %bb.1081:                             ;   in Loop: Header=BB256_550 Depth=1
	s_delay_alu instid0(VALU_DEP_3) | instskip(NEXT) | instid1(VALU_DEP_1)
	v_clz_i32_u32_e32 v14, v6
	v_min_u32_e32 v14, 32, v14
	s_delay_alu instid0(VALU_DEP_1) | instskip(SKIP_1) | instid1(VALU_DEP_2)
	v_subrev_nc_u32_e32 v15, 28, v14
	v_sub_nc_u32_e32 v14, 29, v14
	v_lshlrev_b64 v[42:43], v15, v[6:7]
	s_delay_alu instid0(VALU_DEP_1)
	v_and_b32_e32 v6, 7, v42
; %bb.1082:                             ;   in Loop: Header=BB256_550 Depth=1
	s_or_b32 exec_lo, exec_lo, s16
	v_lshlrev_b32_e32 v15, 24, v41
	s_delay_alu instid0(VALU_DEP_2) | instskip(SKIP_1) | instid1(VALU_DEP_3)
	v_lshlrev_b32_e32 v6, 20, v6
	v_lshl_add_u32 v14, v14, 23, 0x3c000000
	v_and_b32_e32 v15, 0x80000000, v15
	s_delay_alu instid0(VALU_DEP_1) | instskip(NEXT) | instid1(VALU_DEP_1)
	v_or3_b32 v6, v6, v15, v14
	v_dual_mov_b32 v15, v7 :: v_dual_mov_b32 v14, v6
.LBB256_1083:                           ;   in Loop: Header=BB256_550 Depth=1
	s_or_b32 exec_lo, exec_lo, s15
.LBB256_1084:                           ;   in Loop: Header=BB256_550 Depth=1
	s_delay_alu instid0(SALU_CYCLE_1)
	s_or_b32 exec_lo, exec_lo, s13
.LBB256_1085:                           ;   in Loop: Header=BB256_550 Depth=1
	s_delay_alu instid0(SALU_CYCLE_1) | instskip(NEXT) | instid1(SALU_CYCLE_1)
	s_or_b32 exec_lo, exec_lo, s10
	s_mov_b32 s13, exec_lo
	v_cmpx_lt_u32_e32 0xffffff, v24
	s_cbranch_execz .LBB256_1093
; %bb.1086:                             ;   in Loop: Header=BB256_550 Depth=1
	v_lshrrev_b32_e32 v41, 24, v24
	v_dual_mov_b32 v17, s9 :: v_dual_mov_b32 v16, s8
	s_mov_b32 s15, exec_lo
	s_delay_alu instid0(VALU_DEP_2)
	v_cmpx_ne_u32_e32 0x80, v41
	s_cbranch_execz .LBB256_1092
; %bb.1087:                             ;   in Loop: Header=BB256_550 Depth=1
	s_mov_b32 s10, s8
	v_bfe_u32 v24, v24, 24, 7
	v_dual_mov_b32 v17, s11 :: v_dual_mov_b32 v16, s10
	s_mov_b32 s10, exec_lo
	s_delay_alu instid0(VALU_DEP_2)
	v_cmpx_ne_u32_e32 0x7f, v24
	s_cbranch_execz .LBB256_1091
; %bb.1088:                             ;   in Loop: Header=BB256_550 Depth=1
	v_and_b32_e32 v6, 7, v41
	v_lshrrev_b32_e32 v16, 3, v24
	s_mov_b32 s16, exec_lo
	v_cmpx_gt_u32_e32 8, v24
; %bb.1089:                             ;   in Loop: Header=BB256_550 Depth=1
	s_delay_alu instid0(VALU_DEP_3) | instskip(NEXT) | instid1(VALU_DEP_1)
	v_clz_i32_u32_e32 v16, v6
	v_min_u32_e32 v16, 32, v16
	s_delay_alu instid0(VALU_DEP_1) | instskip(SKIP_1) | instid1(VALU_DEP_2)
	v_subrev_nc_u32_e32 v17, 28, v16
	v_sub_nc_u32_e32 v16, 29, v16
	v_lshlrev_b64 v[42:43], v17, v[6:7]
	s_delay_alu instid0(VALU_DEP_1)
	v_and_b32_e32 v6, 7, v42
; %bb.1090:                             ;   in Loop: Header=BB256_550 Depth=1
	s_or_b32 exec_lo, exec_lo, s16
	v_lshlrev_b32_e32 v17, 24, v41
	s_delay_alu instid0(VALU_DEP_2) | instskip(SKIP_1) | instid1(VALU_DEP_3)
	v_lshlrev_b32_e32 v6, 20, v6
	v_lshl_add_u32 v16, v16, 23, 0x3c000000
	v_and_b32_e32 v17, 0x80000000, v17
	s_delay_alu instid0(VALU_DEP_1)
	v_or3_b32 v17, v6, v17, v16
	v_mov_b32_e32 v16, v7
.LBB256_1091:                           ;   in Loop: Header=BB256_550 Depth=1
	s_or_b32 exec_lo, exec_lo, s10
.LBB256_1092:                           ;   in Loop: Header=BB256_550 Depth=1
	s_delay_alu instid0(SALU_CYCLE_1)
	s_or_b32 exec_lo, exec_lo, s15
.LBB256_1093:                           ;   in Loop: Header=BB256_550 Depth=1
	s_delay_alu instid0(SALU_CYCLE_1) | instskip(SKIP_4) | instid1(VALU_DEP_4)
	s_or_b32 exec_lo, exec_lo, s13
	v_or_b32_e32 v5, v13, v5
	v_or_b32_e32 v4, v12, v4
	;; [unrolled: 1-line block ×4, first 2 shown]
	v_mul_f32_e32 v12, v65, v5
	s_delay_alu instid0(VALU_DEP_4) | instskip(NEXT) | instid1(VALU_DEP_4)
	v_mul_f32_e32 v6, v65, v4
	v_mul_f32_e32 v4, v65, v13
	s_delay_alu instid0(VALU_DEP_4)
	v_mul_f32_e32 v5, v65, v14
	s_and_saveexec_b32 s0, vcc_lo
	s_cbranch_execz .LBB256_548
; %bb.1094:                             ;   in Loop: Header=BB256_550 Depth=1
	v_cmp_lt_i32_e32 vcc_lo, v70, v38
	v_cndmask_b32_e32 v6, 0, v6, vcc_lo
	v_cmp_lt_i32_e32 vcc_lo, v81, v38
	v_cndmask_b32_e32 v12, 0, v12, vcc_lo
	;; [unrolled: 2-line block ×4, first 2 shown]
	s_branch .LBB256_548
.LBB256_1095:
	s_or_b32 exec_lo, exec_lo, s5
	v_dual_mov_b32 v37, v44 :: v_dual_mov_b32 v54, v46
	v_mov_b32_e32 v53, v45
	v_mov_b32_e32 v55, v47
.LBB256_1096:
	s_or_b32 exec_lo, exec_lo, s3
	ds_bpermute_b32 v0, v20, v51
	ds_bpermute_b32 v1, v20, v52
	;; [unrolled: 1-line block ×16, first 2 shown]
	s_waitcnt lgkmcnt(0)
	s_waitcnt_vscnt null, 0x0
	s_barrier
	buffer_gl0_inv
	s_load_b32 s3, s[6:7], 0x0
	v_dual_add_f32 v0, v51, v0 :: v_dual_add_f32 v1, v52, v1
	v_dual_add_f32 v2, v50, v2 :: v_dual_add_f32 v3, v49, v3
	;; [unrolled: 1-line block ×3, first 2 shown]
	ds_bpermute_b32 v16, v22, v0
	ds_bpermute_b32 v17, v22, v1
	;; [unrolled: 1-line block ×5, first 2 shown]
	v_dual_add_f32 v6, v36, v6 :: v_dual_add_f32 v7, v35, v7
	v_dual_add_f32 v8, v34, v8 :: v_dual_add_f32 v9, v33, v9
	;; [unrolled: 1-line block ×5, first 2 shown]
	ds_bpermute_b32 v23, v22, v5
	ds_bpermute_b32 v24, v22, v6
	;; [unrolled: 1-line block ×5, first 2 shown]
	s_waitcnt lgkmcnt(0)
	v_dual_add_f32 v0, v0, v16 :: v_dual_add_f32 v1, v1, v17
	ds_bpermute_b32 v29, v22, v10
	ds_bpermute_b32 v30, v22, v11
	v_dual_add_f32 v2, v2, v18 :: v_dual_add_f32 v3, v3, v19
	ds_bpermute_b32 v16, v21, v0
	v_add_f32_e32 v4, v4, v20
	ds_bpermute_b32 v17, v22, v12
	ds_bpermute_b32 v18, v22, v13
	;; [unrolled: 1-line block ×6, first 2 shown]
	s_mov_b32 s0, exec_lo
	v_dual_add_f32 v5, v5, v23 :: v_dual_add_f32 v6, v6, v24
	v_dual_add_f32 v7, v7, v26 :: v_dual_add_f32 v8, v8, v27
	v_add_f32_e32 v9, v9, v28
	ds_bpermute_b32 v23, v21, v2
	ds_bpermute_b32 v32, v21, v4
	s_waitcnt lgkmcnt(9)
	v_dual_add_f32 v10, v10, v29 :: v_dual_add_f32 v11, v11, v30
	ds_bpermute_b32 v33, v21, v5
	ds_bpermute_b32 v24, v21, v6
	s_waitcnt lgkmcnt(10)
	v_add_f32_e32 v0, v0, v16
	scratch_load_b32 v16, off, s32 offset:368 ; 4-byte Folded Reload
	s_waitcnt lgkmcnt(8)
	v_dual_add_f32 v12, v12, v17 :: v_dual_add_f32 v13, v13, v18
	s_waitcnt lgkmcnt(6)
	v_dual_add_f32 v14, v14, v19 :: v_dual_add_f32 v15, v15, v20
	ds_bpermute_b32 v26, v21, v7
	ds_bpermute_b32 v27, v21, v8
	;; [unrolled: 1-line block ×9, first 2 shown]
	s_waitcnt lgkmcnt(12)
	v_dual_add_f32 v1, v1, v22 :: v_dual_add_f32 v2, v2, v23
	s_waitcnt lgkmcnt(11)
	v_dual_add_f32 v3, v3, v31 :: v_dual_add_f32 v4, v4, v32
	;; [unrolled: 2-line block ×6, first 2 shown]
	s_waitcnt lgkmcnt(2)
	v_dual_add_f32 v13, v13, v19 :: v_dual_and_b32 v18, 0x3c7, v54
	s_waitcnt lgkmcnt(0)
	v_dual_add_f32 v15, v15, v21 :: v_dual_add_f32 v14, v14, v20
	v_lshl_add_u32 v17, v55, 8, s3
	s_waitcnt vmcnt(0)
	v_lshrrev_b32_e32 v16, 3, v16
	v_cmpx_eq_u32_e32 64, v18
	s_cbranch_execz .LBB256_1098
; %bb.1097:
	s_delay_alu instid0(VALU_DEP_2) | instskip(NEXT) | instid1(VALU_DEP_1)
	v_lshlrev_b32_e32 v18, 2, v16
	v_add3_u32 v18, v17, v18, 0xfffffe00
	ds_store_2addr_b32 v18, v0, v1 offset1:4
	ds_store_2addr_b32 v18, v2, v3 offset0:8 offset1:12
	ds_store_2addr_b32 v18, v4, v5 offset0:16 offset1:20
	;; [unrolled: 1-line block ×7, first 2 shown]
.LBB256_1098:
	s_or_b32 exec_lo, exec_lo, s0
	v_cmp_eq_u32_e32 vcc_lo, 0, v25
	s_mov_b32 s5, exec_lo
	s_waitcnt lgkmcnt(0)
	s_barrier
	buffer_gl0_inv
	v_cmpx_gt_u32_e32 64, v54
	s_cbranch_execz .LBB256_1117
; %bb.1099:
	s_and_saveexec_b32 s0, vcc_lo
	s_cbranch_execnz .LBB256_1141
; %bb.1100:
	s_or_b32 exec_lo, exec_lo, s0
	s_and_saveexec_b32 s0, vcc_lo
	s_cbranch_execnz .LBB256_1142
.LBB256_1101:
	s_or_b32 exec_lo, exec_lo, s0
	s_and_saveexec_b32 s0, vcc_lo
	s_cbranch_execnz .LBB256_1143
.LBB256_1102:
	s_or_b32 exec_lo, exec_lo, s0
	s_and_saveexec_b32 s0, vcc_lo
	s_cbranch_execnz .LBB256_1144
.LBB256_1103:
	s_or_b32 exec_lo, exec_lo, s0
	s_and_saveexec_b32 s0, vcc_lo
	s_cbranch_execnz .LBB256_1145
.LBB256_1104:
	s_or_b32 exec_lo, exec_lo, s0
	s_and_saveexec_b32 s0, vcc_lo
	s_cbranch_execnz .LBB256_1146
.LBB256_1105:
	s_or_b32 exec_lo, exec_lo, s0
	s_and_saveexec_b32 s0, vcc_lo
	s_cbranch_execnz .LBB256_1147
.LBB256_1106:
	s_or_b32 exec_lo, exec_lo, s0
	s_and_saveexec_b32 s0, vcc_lo
	s_cbranch_execnz .LBB256_1148
.LBB256_1107:
	s_or_b32 exec_lo, exec_lo, s0
	s_and_saveexec_b32 s0, vcc_lo
	s_cbranch_execnz .LBB256_1149
.LBB256_1108:
	s_or_b32 exec_lo, exec_lo, s0
	s_and_saveexec_b32 s0, vcc_lo
	s_cbranch_execnz .LBB256_1150
.LBB256_1109:
	s_or_b32 exec_lo, exec_lo, s0
	s_and_saveexec_b32 s0, vcc_lo
	s_cbranch_execnz .LBB256_1151
.LBB256_1110:
	s_or_b32 exec_lo, exec_lo, s0
	s_and_saveexec_b32 s0, vcc_lo
	s_cbranch_execnz .LBB256_1152
.LBB256_1111:
	s_or_b32 exec_lo, exec_lo, s0
	s_and_saveexec_b32 s0, vcc_lo
	s_cbranch_execnz .LBB256_1153
.LBB256_1112:
	s_or_b32 exec_lo, exec_lo, s0
	s_and_saveexec_b32 s0, vcc_lo
	s_cbranch_execnz .LBB256_1154
.LBB256_1113:
	s_or_b32 exec_lo, exec_lo, s0
	s_and_saveexec_b32 s0, vcc_lo
	s_cbranch_execnz .LBB256_1155
.LBB256_1114:
	s_or_b32 exec_lo, exec_lo, s0
	s_and_saveexec_b32 s0, vcc_lo
	s_cbranch_execz .LBB256_1116
.LBB256_1115:
	v_lshl_add_u32 v18, v16, 2, v17
	ds_load_b32 v18, v18 offset:240
	s_waitcnt lgkmcnt(0)
	v_add_f32_e32 v15, v18, v15
.LBB256_1116:
	s_or_b32 exec_lo, exec_lo, s0
.LBB256_1117:
	s_delay_alu instid0(SALU_CYCLE_1)
	s_or_b32 exec_lo, exec_lo, s5
	v_and_b32_e32 v18, 0x3e7, v54
	s_mov_b32 s5, exec_lo
	s_barrier
	buffer_gl0_inv
	v_cmpx_eq_u32_e32 32, v18
	s_cbranch_execz .LBB256_1119
; %bb.1118:
	v_lshl_add_u32 v19, v16, 2, s3
	ds_store_2addr_b32 v19, v0, v1 offset1:4
	ds_store_2addr_b32 v19, v2, v3 offset0:8 offset1:12
	ds_store_2addr_b32 v19, v4, v5 offset0:16 offset1:20
	;; [unrolled: 1-line block ×7, first 2 shown]
.LBB256_1119:
	s_or_b32 exec_lo, exec_lo, s5
	s_delay_alu instid0(SALU_CYCLE_1)
	s_mov_b32 s3, exec_lo
	s_waitcnt lgkmcnt(0)
	s_barrier
	buffer_gl0_inv
	v_cmpx_gt_u32_e32 32, v54
	s_cbranch_execz .LBB256_1138
; %bb.1120:
	v_lshl_add_u32 v16, v16, 2, v17
	s_and_saveexec_b32 s0, vcc_lo
	s_cbranch_execnz .LBB256_1156
; %bb.1121:
	s_or_b32 exec_lo, exec_lo, s0
	s_and_saveexec_b32 s0, vcc_lo
	s_cbranch_execnz .LBB256_1157
.LBB256_1122:
	s_or_b32 exec_lo, exec_lo, s0
	s_and_saveexec_b32 s0, vcc_lo
	s_cbranch_execnz .LBB256_1158
.LBB256_1123:
	s_or_b32 exec_lo, exec_lo, s0
	s_and_saveexec_b32 s0, vcc_lo
	s_cbranch_execnz .LBB256_1159
.LBB256_1124:
	s_or_b32 exec_lo, exec_lo, s0
	s_and_saveexec_b32 s0, vcc_lo
	s_cbranch_execnz .LBB256_1160
.LBB256_1125:
	s_or_b32 exec_lo, exec_lo, s0
	s_and_saveexec_b32 s0, vcc_lo
	s_cbranch_execnz .LBB256_1161
.LBB256_1126:
	s_or_b32 exec_lo, exec_lo, s0
	s_and_saveexec_b32 s0, vcc_lo
	s_cbranch_execnz .LBB256_1162
.LBB256_1127:
	s_or_b32 exec_lo, exec_lo, s0
	s_and_saveexec_b32 s0, vcc_lo
	s_cbranch_execnz .LBB256_1163
.LBB256_1128:
	s_or_b32 exec_lo, exec_lo, s0
	s_and_saveexec_b32 s0, vcc_lo
	s_cbranch_execnz .LBB256_1164
.LBB256_1129:
	s_or_b32 exec_lo, exec_lo, s0
	s_and_saveexec_b32 s0, vcc_lo
	s_cbranch_execnz .LBB256_1165
.LBB256_1130:
	s_or_b32 exec_lo, exec_lo, s0
	s_and_saveexec_b32 s0, vcc_lo
	s_cbranch_execnz .LBB256_1166
.LBB256_1131:
	s_or_b32 exec_lo, exec_lo, s0
	s_and_saveexec_b32 s0, vcc_lo
	s_cbranch_execnz .LBB256_1167
.LBB256_1132:
	s_or_b32 exec_lo, exec_lo, s0
	s_and_saveexec_b32 s0, vcc_lo
	s_cbranch_execnz .LBB256_1168
.LBB256_1133:
	s_or_b32 exec_lo, exec_lo, s0
	s_and_saveexec_b32 s0, vcc_lo
	s_cbranch_execnz .LBB256_1169
.LBB256_1134:
	s_or_b32 exec_lo, exec_lo, s0
	s_and_saveexec_b32 s0, vcc_lo
	s_cbranch_execnz .LBB256_1170
.LBB256_1135:
	s_or_b32 exec_lo, exec_lo, s0
	s_and_saveexec_b32 s0, vcc_lo
	s_cbranch_execz .LBB256_1137
.LBB256_1136:
	ds_load_b32 v16, v16 offset:240
	s_waitcnt lgkmcnt(0)
	v_add_f32_e32 v15, v16, v15
.LBB256_1137:
	s_or_b32 exec_lo, exec_lo, s0
.LBB256_1138:
	s_delay_alu instid0(SALU_CYCLE_1)
	s_or_b32 exec_lo, exec_lo, s3
	v_cmp_eq_u32_e32 vcc_lo, 0, v18
	s_barrier
	buffer_gl0_inv
	s_and_b32 exec_lo, exec_lo, vcc_lo
	s_cbranch_execz .LBB256_1140
; %bb.1139:
	s_lshl_b32 s0, s2, 6
	s_mul_i32 s2, s4, s1
	s_lshl_b32 s4, s14, 6
	s_ashr_i32 s3, s2, 31
	s_ashr_i32 s5, s4, 31
	;; [unrolled: 1-line block ×3, first 2 shown]
	s_lshl_b64 s[2:3], s[2:3], 2
	s_lshl_b64 s[4:5], s[4:5], 2
	;; [unrolled: 1-line block ×3, first 2 shown]
	s_add_u32 s2, s4, s2
	s_addc_u32 s3, s5, s3
	s_add_u32 s0, s2, s0
	s_addc_u32 s1, s3, s1
	v_lshrrev_b32_e32 v16, 1, v54
	v_add_co_u32 v17, vcc_lo, s0, v53
	v_add_co_ci_u32_e32 v18, vcc_lo, s1, v37, vcc_lo
	s_delay_alu instid0(VALU_DEP_2) | instskip(NEXT) | instid1(VALU_DEP_2)
	v_add_co_u32 v16, vcc_lo, v17, v16
	v_add_co_ci_u32_e32 v17, vcc_lo, 0, v18, vcc_lo
	s_clause 0xf
	flat_store_b32 v[16:17], v0
	flat_store_b32 v[16:17], v1 offset:16
	flat_store_b32 v[16:17], v2 offset:32
	;; [unrolled: 1-line block ×15, first 2 shown]
.LBB256_1140:
	s_or_b32 exec_lo, exec_lo, s18
	s_clause 0x1f
	scratch_load_b32 v191, off, s32 offset:8
	scratch_load_b32 v190, off, s32 offset:12
	;; [unrolled: 1-line block ×32, first 2 shown]
	s_clause 0x1f
	scratch_load_b32 v127, off, s32 offset:136
	scratch_load_b32 v126, off, s32 offset:140
	;; [unrolled: 1-line block ×32, first 2 shown]
	s_clause 0xf
	scratch_load_b32 v63, off, s32 offset:264
	scratch_load_b32 v62, off, s32 offset:268
	;; [unrolled: 1-line block ×16, first 2 shown]
	s_waitcnt vmcnt(0) lgkmcnt(0)
	s_setpc_b64 s[30:31]
.LBB256_1141:
	v_lshl_add_u32 v18, v16, 2, v17
	ds_load_b32 v18, v18
	s_waitcnt lgkmcnt(0)
	v_add_f32_e32 v0, v18, v0
	s_or_b32 exec_lo, exec_lo, s0
	s_and_saveexec_b32 s0, vcc_lo
	s_cbranch_execz .LBB256_1101
.LBB256_1142:
	v_lshl_add_u32 v18, v16, 2, v17
	ds_load_b32 v18, v18 offset:16
	s_waitcnt lgkmcnt(0)
	v_add_f32_e32 v1, v18, v1
	s_or_b32 exec_lo, exec_lo, s0
	s_and_saveexec_b32 s0, vcc_lo
	s_cbranch_execz .LBB256_1102
.LBB256_1143:
	v_lshl_add_u32 v18, v16, 2, v17
	ds_load_b32 v18, v18 offset:32
	s_waitcnt lgkmcnt(0)
	v_add_f32_e32 v2, v18, v2
	s_or_b32 exec_lo, exec_lo, s0
	s_and_saveexec_b32 s0, vcc_lo
	s_cbranch_execz .LBB256_1103
.LBB256_1144:
	v_lshl_add_u32 v18, v16, 2, v17
	ds_load_b32 v18, v18 offset:48
	s_waitcnt lgkmcnt(0)
	v_add_f32_e32 v3, v18, v3
	s_or_b32 exec_lo, exec_lo, s0
	s_and_saveexec_b32 s0, vcc_lo
	s_cbranch_execz .LBB256_1104
.LBB256_1145:
	v_lshl_add_u32 v18, v16, 2, v17
	ds_load_b32 v18, v18 offset:64
	s_waitcnt lgkmcnt(0)
	v_add_f32_e32 v4, v18, v4
	s_or_b32 exec_lo, exec_lo, s0
	s_and_saveexec_b32 s0, vcc_lo
	s_cbranch_execz .LBB256_1105
.LBB256_1146:
	v_lshl_add_u32 v18, v16, 2, v17
	ds_load_b32 v18, v18 offset:80
	s_waitcnt lgkmcnt(0)
	v_add_f32_e32 v5, v18, v5
	s_or_b32 exec_lo, exec_lo, s0
	s_and_saveexec_b32 s0, vcc_lo
	s_cbranch_execz .LBB256_1106
.LBB256_1147:
	v_lshl_add_u32 v18, v16, 2, v17
	ds_load_b32 v18, v18 offset:96
	s_waitcnt lgkmcnt(0)
	v_add_f32_e32 v6, v18, v6
	s_or_b32 exec_lo, exec_lo, s0
	s_and_saveexec_b32 s0, vcc_lo
	s_cbranch_execz .LBB256_1107
.LBB256_1148:
	v_lshl_add_u32 v18, v16, 2, v17
	ds_load_b32 v18, v18 offset:112
	s_waitcnt lgkmcnt(0)
	v_add_f32_e32 v7, v18, v7
	s_or_b32 exec_lo, exec_lo, s0
	s_and_saveexec_b32 s0, vcc_lo
	s_cbranch_execz .LBB256_1108
.LBB256_1149:
	v_lshl_add_u32 v18, v16, 2, v17
	ds_load_b32 v18, v18 offset:128
	s_waitcnt lgkmcnt(0)
	v_add_f32_e32 v8, v18, v8
	s_or_b32 exec_lo, exec_lo, s0
	s_and_saveexec_b32 s0, vcc_lo
	s_cbranch_execz .LBB256_1109
.LBB256_1150:
	v_lshl_add_u32 v18, v16, 2, v17
	ds_load_b32 v18, v18 offset:144
	s_waitcnt lgkmcnt(0)
	v_add_f32_e32 v9, v18, v9
	s_or_b32 exec_lo, exec_lo, s0
	s_and_saveexec_b32 s0, vcc_lo
	s_cbranch_execz .LBB256_1110
.LBB256_1151:
	v_lshl_add_u32 v18, v16, 2, v17
	ds_load_b32 v18, v18 offset:160
	s_waitcnt lgkmcnt(0)
	v_add_f32_e32 v10, v18, v10
	s_or_b32 exec_lo, exec_lo, s0
	s_and_saveexec_b32 s0, vcc_lo
	s_cbranch_execz .LBB256_1111
.LBB256_1152:
	v_lshl_add_u32 v18, v16, 2, v17
	ds_load_b32 v18, v18 offset:176
	s_waitcnt lgkmcnt(0)
	v_add_f32_e32 v11, v18, v11
	s_or_b32 exec_lo, exec_lo, s0
	s_and_saveexec_b32 s0, vcc_lo
	s_cbranch_execz .LBB256_1112
.LBB256_1153:
	v_lshl_add_u32 v18, v16, 2, v17
	ds_load_b32 v18, v18 offset:192
	s_waitcnt lgkmcnt(0)
	v_add_f32_e32 v12, v18, v12
	s_or_b32 exec_lo, exec_lo, s0
	s_and_saveexec_b32 s0, vcc_lo
	s_cbranch_execz .LBB256_1113
.LBB256_1154:
	v_lshl_add_u32 v18, v16, 2, v17
	ds_load_b32 v18, v18 offset:208
	s_waitcnt lgkmcnt(0)
	v_add_f32_e32 v13, v18, v13
	s_or_b32 exec_lo, exec_lo, s0
	s_and_saveexec_b32 s0, vcc_lo
	s_cbranch_execz .LBB256_1114
.LBB256_1155:
	v_lshl_add_u32 v18, v16, 2, v17
	ds_load_b32 v18, v18 offset:224
	s_waitcnt lgkmcnt(0)
	v_add_f32_e32 v14, v18, v14
	s_or_b32 exec_lo, exec_lo, s0
	s_and_saveexec_b32 s0, vcc_lo
	s_cbranch_execnz .LBB256_1115
	s_branch .LBB256_1116
.LBB256_1156:
	ds_load_b32 v17, v16
	s_waitcnt lgkmcnt(0)
	v_add_f32_e32 v0, v17, v0
	s_or_b32 exec_lo, exec_lo, s0
	s_and_saveexec_b32 s0, vcc_lo
	s_cbranch_execz .LBB256_1122
.LBB256_1157:
	ds_load_b32 v17, v16 offset:16
	s_waitcnt lgkmcnt(0)
	v_add_f32_e32 v1, v17, v1
	s_or_b32 exec_lo, exec_lo, s0
	s_and_saveexec_b32 s0, vcc_lo
	s_cbranch_execz .LBB256_1123
.LBB256_1158:
	ds_load_b32 v17, v16 offset:32
	s_waitcnt lgkmcnt(0)
	v_add_f32_e32 v2, v17, v2
	s_or_b32 exec_lo, exec_lo, s0
	s_and_saveexec_b32 s0, vcc_lo
	s_cbranch_execz .LBB256_1124
.LBB256_1159:
	ds_load_b32 v17, v16 offset:48
	s_waitcnt lgkmcnt(0)
	v_add_f32_e32 v3, v17, v3
	s_or_b32 exec_lo, exec_lo, s0
	s_and_saveexec_b32 s0, vcc_lo
	s_cbranch_execz .LBB256_1125
.LBB256_1160:
	ds_load_b32 v17, v16 offset:64
	s_waitcnt lgkmcnt(0)
	v_add_f32_e32 v4, v17, v4
	s_or_b32 exec_lo, exec_lo, s0
	s_and_saveexec_b32 s0, vcc_lo
	s_cbranch_execz .LBB256_1126
.LBB256_1161:
	ds_load_b32 v17, v16 offset:80
	s_waitcnt lgkmcnt(0)
	v_add_f32_e32 v5, v17, v5
	s_or_b32 exec_lo, exec_lo, s0
	s_and_saveexec_b32 s0, vcc_lo
	s_cbranch_execz .LBB256_1127
.LBB256_1162:
	ds_load_b32 v17, v16 offset:96
	s_waitcnt lgkmcnt(0)
	v_add_f32_e32 v6, v17, v6
	s_or_b32 exec_lo, exec_lo, s0
	s_and_saveexec_b32 s0, vcc_lo
	s_cbranch_execz .LBB256_1128
.LBB256_1163:
	ds_load_b32 v17, v16 offset:112
	s_waitcnt lgkmcnt(0)
	v_add_f32_e32 v7, v17, v7
	s_or_b32 exec_lo, exec_lo, s0
	s_and_saveexec_b32 s0, vcc_lo
	s_cbranch_execz .LBB256_1129
.LBB256_1164:
	ds_load_b32 v17, v16 offset:128
	s_waitcnt lgkmcnt(0)
	v_add_f32_e32 v8, v17, v8
	s_or_b32 exec_lo, exec_lo, s0
	s_and_saveexec_b32 s0, vcc_lo
	s_cbranch_execz .LBB256_1130
.LBB256_1165:
	ds_load_b32 v17, v16 offset:144
	s_waitcnt lgkmcnt(0)
	v_add_f32_e32 v9, v17, v9
	s_or_b32 exec_lo, exec_lo, s0
	s_and_saveexec_b32 s0, vcc_lo
	s_cbranch_execz .LBB256_1131
.LBB256_1166:
	ds_load_b32 v17, v16 offset:160
	s_waitcnt lgkmcnt(0)
	v_add_f32_e32 v10, v17, v10
	s_or_b32 exec_lo, exec_lo, s0
	s_and_saveexec_b32 s0, vcc_lo
	s_cbranch_execz .LBB256_1132
.LBB256_1167:
	ds_load_b32 v17, v16 offset:176
	s_waitcnt lgkmcnt(0)
	v_add_f32_e32 v11, v17, v11
	s_or_b32 exec_lo, exec_lo, s0
	s_and_saveexec_b32 s0, vcc_lo
	s_cbranch_execz .LBB256_1133
.LBB256_1168:
	ds_load_b32 v17, v16 offset:192
	s_waitcnt lgkmcnt(0)
	v_add_f32_e32 v12, v17, v12
	s_or_b32 exec_lo, exec_lo, s0
	s_and_saveexec_b32 s0, vcc_lo
	s_cbranch_execz .LBB256_1134
.LBB256_1169:
	ds_load_b32 v17, v16 offset:208
	s_waitcnt lgkmcnt(0)
	v_add_f32_e32 v13, v17, v13
	s_or_b32 exec_lo, exec_lo, s0
	s_and_saveexec_b32 s0, vcc_lo
	s_cbranch_execz .LBB256_1135
.LBB256_1170:
	ds_load_b32 v17, v16 offset:224
	s_waitcnt lgkmcnt(0)
	v_add_f32_e32 v14, v17, v14
	s_or_b32 exec_lo, exec_lo, s0
	s_and_saveexec_b32 s0, vcc_lo
	s_cbranch_execnz .LBB256_1136
	s_branch .LBB256_1137
.Lfunc_end256:
	.size	_ZN4vllm22paged_attention_kernelIfhLi64ELi32ELi128ELNS_18Fp8KVCacheDataTypeE1ELb1ELi512EEEvPfS2_PT_PKS3_PKT0_S9_ifPKiSB_iPKfiiiSD_SD_iiiii, .Lfunc_end256-_ZN4vllm22paged_attention_kernelIfhLi64ELi32ELi128ELNS_18Fp8KVCacheDataTypeE1ELb1ELi512EEEvPfS2_PT_PKS3_PKT0_S9_ifPKiSB_iPKfiiiSD_SD_iiiii
                                        ; -- End function
	.section	.AMDGPU.csdata,"",@progbits
; Function info:
; codeLenInByte = 41532
; NumSgprs: 35
; NumVgprs: 192
; ScratchSize: 572
; MemoryBound: 0
	.section	.text._ZN4vllm25paged_attention_v2_kernelIfhLi64ELi32ELi128ELNS_18Fp8KVCacheDataTypeE1ELb1ELi512EEEvPfS2_PT_PKS3_PKT0_S9_ifPKiSB_iPKfiiiSD_SD_iiiii,"axG",@progbits,_ZN4vllm25paged_attention_v2_kernelIfhLi64ELi32ELi128ELNS_18Fp8KVCacheDataTypeE1ELb1ELi512EEEvPfS2_PT_PKS3_PKT0_S9_ifPKiSB_iPKfiiiSD_SD_iiiii,comdat
	.protected	_ZN4vllm25paged_attention_v2_kernelIfhLi64ELi32ELi128ELNS_18Fp8KVCacheDataTypeE1ELb1ELi512EEEvPfS2_PT_PKS3_PKT0_S9_ifPKiSB_iPKfiiiSD_SD_iiiii ; -- Begin function _ZN4vllm25paged_attention_v2_kernelIfhLi64ELi32ELi128ELNS_18Fp8KVCacheDataTypeE1ELb1ELi512EEEvPfS2_PT_PKS3_PKT0_S9_ifPKiSB_iPKfiiiSD_SD_iiiii
	.globl	_ZN4vllm25paged_attention_v2_kernelIfhLi64ELi32ELi128ELNS_18Fp8KVCacheDataTypeE1ELb1ELi512EEEvPfS2_PT_PKS3_PKT0_S9_ifPKiSB_iPKfiiiSD_SD_iiiii
	.p2align	8
	.type	_ZN4vllm25paged_attention_v2_kernelIfhLi64ELi32ELi128ELNS_18Fp8KVCacheDataTypeE1ELb1ELi512EEEvPfS2_PT_PKS3_PKT0_S9_ifPKiSB_iPKfiiiSD_SD_iiiii,@function
_ZN4vllm25paged_attention_v2_kernelIfhLi64ELi32ELi128ELNS_18Fp8KVCacheDataTypeE1ELb1ELi512EEEvPfS2_PT_PKS3_PKT0_S9_ifPKiSB_iPKfiiiSD_SD_iiiii: ; @_ZN4vllm25paged_attention_v2_kernelIfhLi64ELi32ELi128ELNS_18Fp8KVCacheDataTypeE1ELb1ELi512EEEvPfS2_PT_PKS3_PKT0_S9_ifPKiSB_iPKfiiiSD_SD_iiiii
; %bb.0:
	s_mov_b32 s12, s13
	s_clause 0x7
	s_load_b128 s[4:7], s[0:1], 0x78
	s_load_b32 s8, s[0:1], 0x88
	s_load_b256 s[24:31], s[0:1], 0x0
	s_load_b256 s[36:43], s[0:1], 0x20
	s_load_b64 s[2:3], s[0:1], 0x40
	s_load_b64 s[10:11], s[0:1], 0x50
	s_load_b32 s13, s[0:1], 0x48
	s_load_b256 s[16:23], s[0:1], 0x58
	s_mov_b32 s32, 0
	v_mov_b32_e32 v31, v0
	s_waitcnt lgkmcnt(0)
	v_dual_mov_b32 v1, s7 :: v_dual_mov_b32 v2, s8
	v_dual_mov_b32 v0, s24 :: v_dual_mov_b32 v3, s27
	;; [unrolled: 1-line block ×3, first 2 shown]
	v_mov_b32_e32 v6, s30
	scratch_store_b64 off, v[1:2], s32
	v_dual_mov_b32 v1, s25 :: v_dual_mov_b32 v2, s26
	v_dual_mov_b32 v7, s31 :: v_dual_mov_b32 v8, s36
	;; [unrolled: 1-line block ×13, first 2 shown]
	s_add_u32 s8, s0, 0x90
	s_addc_u32 s9, s1, 0
	s_mov_b32 s13, s14
	s_mov_b32 s14, s15
	s_movk_i32 s15, 0x4e
	s_getpc_b64 s[0:1]
	s_add_u32 s0, s0, _ZN4vllm22paged_attention_kernelIfhLi64ELi32ELi128ELNS_18Fp8KVCacheDataTypeE1ELb1ELi512EEEvPfS2_PT_PKS3_PKT0_S9_ifPKiSB_iPKfiiiSD_SD_iiiii@rel32@lo+4
	s_addc_u32 s1, s1, _ZN4vllm22paged_attention_kernelIfhLi64ELi32ELi128ELNS_18Fp8KVCacheDataTypeE1ELb1ELi512EEEvPfS2_PT_PKS3_PKT0_S9_ifPKiSB_iPKfiiiSD_SD_iiiii@rel32@hi+12
	s_delay_alu instid0(SALU_CYCLE_1)
	s_swappc_b64 s[30:31], s[0:1]
	s_endpgm
	.section	.rodata,"a",@progbits
	.p2align	6, 0x0
	.amdhsa_kernel _ZN4vllm25paged_attention_v2_kernelIfhLi64ELi32ELi128ELNS_18Fp8KVCacheDataTypeE1ELb1ELi512EEEvPfS2_PT_PKS3_PKT0_S9_ifPKiSB_iPKfiiiSD_SD_iiiii
		.amdhsa_group_segment_fixed_size 288
		.amdhsa_private_segment_fixed_size 572
		.amdhsa_kernarg_size 400
		.amdhsa_user_sgpr_count 13
		.amdhsa_user_sgpr_dispatch_ptr 0
		.amdhsa_user_sgpr_queue_ptr 0
		.amdhsa_user_sgpr_kernarg_segment_ptr 1
		.amdhsa_user_sgpr_dispatch_id 0
		.amdhsa_user_sgpr_private_segment_size 0
		.amdhsa_wavefront_size32 1
		.amdhsa_uses_dynamic_stack 0
		.amdhsa_enable_private_segment 1
		.amdhsa_system_sgpr_workgroup_id_x 1
		.amdhsa_system_sgpr_workgroup_id_y 1
		.amdhsa_system_sgpr_workgroup_id_z 1
		.amdhsa_system_sgpr_workgroup_info 0
		.amdhsa_system_vgpr_workitem_id 0
		.amdhsa_next_free_vgpr 192
		.amdhsa_next_free_sgpr 44
		.amdhsa_reserve_vcc 1
		.amdhsa_float_round_mode_32 0
		.amdhsa_float_round_mode_16_64 0
		.amdhsa_float_denorm_mode_32 3
		.amdhsa_float_denorm_mode_16_64 3
		.amdhsa_dx10_clamp 1
		.amdhsa_ieee_mode 1
		.amdhsa_fp16_overflow 0
		.amdhsa_workgroup_processor_mode 1
		.amdhsa_memory_ordered 1
		.amdhsa_forward_progress 0
		.amdhsa_shared_vgpr_count 0
		.amdhsa_exception_fp_ieee_invalid_op 0
		.amdhsa_exception_fp_denorm_src 0
		.amdhsa_exception_fp_ieee_div_zero 0
		.amdhsa_exception_fp_ieee_overflow 0
		.amdhsa_exception_fp_ieee_underflow 0
		.amdhsa_exception_fp_ieee_inexact 0
		.amdhsa_exception_int_div_zero 0
	.end_amdhsa_kernel
	.section	.text._ZN4vllm25paged_attention_v2_kernelIfhLi64ELi32ELi128ELNS_18Fp8KVCacheDataTypeE1ELb1ELi512EEEvPfS2_PT_PKS3_PKT0_S9_ifPKiSB_iPKfiiiSD_SD_iiiii,"axG",@progbits,_ZN4vllm25paged_attention_v2_kernelIfhLi64ELi32ELi128ELNS_18Fp8KVCacheDataTypeE1ELb1ELi512EEEvPfS2_PT_PKS3_PKT0_S9_ifPKiSB_iPKfiiiSD_SD_iiiii,comdat
.Lfunc_end257:
	.size	_ZN4vllm25paged_attention_v2_kernelIfhLi64ELi32ELi128ELNS_18Fp8KVCacheDataTypeE1ELb1ELi512EEEvPfS2_PT_PKS3_PKT0_S9_ifPKiSB_iPKfiiiSD_SD_iiiii, .Lfunc_end257-_ZN4vllm25paged_attention_v2_kernelIfhLi64ELi32ELi128ELNS_18Fp8KVCacheDataTypeE1ELb1ELi512EEEvPfS2_PT_PKS3_PKT0_S9_ifPKiSB_iPKfiiiSD_SD_iiiii
                                        ; -- End function
	.section	.AMDGPU.csdata,"",@progbits
; Kernel info:
; codeLenInByte = 280
; NumSgprs: 46
; NumVgprs: 192
; ScratchSize: 572
; MemoryBound: 0
; FloatMode: 240
; IeeeMode: 1
; LDSByteSize: 288 bytes/workgroup (compile time only)
; SGPRBlocks: 5
; VGPRBlocks: 23
; NumSGPRsForWavesPerEU: 46
; NumVGPRsForWavesPerEU: 192
; Occupancy: 8
; WaveLimiterHint : 1
; COMPUTE_PGM_RSRC2:SCRATCH_EN: 1
; COMPUTE_PGM_RSRC2:USER_SGPR: 13
; COMPUTE_PGM_RSRC2:TRAP_HANDLER: 0
; COMPUTE_PGM_RSRC2:TGID_X_EN: 1
; COMPUTE_PGM_RSRC2:TGID_Y_EN: 1
; COMPUTE_PGM_RSRC2:TGID_Z_EN: 1
; COMPUTE_PGM_RSRC2:TIDIG_COMP_CNT: 0
	.text
	.p2align	2                               ; -- Begin function _ZN4vllm22paged_attention_kernelIfhLi80ELi32ELi128ELNS_18Fp8KVCacheDataTypeE1ELb1ELi512EEEvPfS2_PT_PKS3_PKT0_S9_ifPKiSB_iPKfiiiSD_SD_iiiii
	.type	_ZN4vllm22paged_attention_kernelIfhLi80ELi32ELi128ELNS_18Fp8KVCacheDataTypeE1ELb1ELi512EEEvPfS2_PT_PKS3_PKT0_S9_ifPKiSB_iPKfiiiSD_SD_iiiii,@function
_ZN4vllm22paged_attention_kernelIfhLi80ELi32ELi128ELNS_18Fp8KVCacheDataTypeE1ELb1ELi512EEEvPfS2_PT_PKS3_PKT0_S9_ifPKiSB_iPKfiiiSD_SD_iiiii: ; @_ZN4vllm22paged_attention_kernelIfhLi80ELi32ELi128ELNS_18Fp8KVCacheDataTypeE1ELb1ELi512EEEvPfS2_PT_PKS3_PKT0_S9_ifPKiSB_iPKfiiiSD_SD_iiiii
; %bb.0:
	s_waitcnt vmcnt(0) expcnt(0) lgkmcnt(0)
	s_clause 0x1f
	scratch_store_b32 off, v40, s32 offset:324
	; meta instruction
	scratch_store_b32 off, v41, s32 offset:320
	; meta instruction
	;; [unrolled: 2-line block ×31, first 2 shown]
	scratch_store_b32 off, v95, s32 offset:200
	s_clause 0x1f
	scratch_store_b32 off, v104, s32 offset:196
	; meta instruction
	scratch_store_b32 off, v105, s32 offset:192
	; meta instruction
	;; [unrolled: 2-line block ×31, first 2 shown]
	scratch_store_b32 off, v159, s32 offset:72
	s_clause 0xf
	scratch_store_b32 off, v168, s32 offset:68
	; meta instruction
	scratch_store_b32 off, v169, s32 offset:64
	; meta instruction
	;; [unrolled: 2-line block ×15, first 2 shown]
	scratch_store_b32 off, v191, s32 offset:8
	s_mov_b32 s10, s13
	s_ashr_i32 s11, s13, 31
	s_clause 0x3
	scratch_store_b64 off, v[26:27], s32 offset:364
	scratch_store_b64 off, v[24:25], s32 offset:372
	scratch_store_b32 off, v22, s32 offset:356
	scratch_store_b32 off, v13, s32 offset:380
	s_lshl_b64 s[0:1], s[10:11], 2
	v_dual_mov_b32 v25, v1 :: v_dual_mov_b32 v26, v0
	v_add_co_u32 v0, vcc_lo, v16, s0
	v_add_co_ci_u32_e32 v1, vcc_lo, s1, v17, vcc_lo
	s_clause 0x1
	scratch_store_b32 off, v5, s32 offset:676
	scratch_store_b32 off, v4, s32 offset:680
	v_dual_mov_b32 v27, v3 :: v_dual_mov_b32 v32, v2
	flat_load_b32 v135, v[0:1]
	s_clause 0x1
	scratch_load_b32 v2, off, s32 offset:4
	scratch_load_b32 v3, off, s32
	v_dual_mov_b32 v24, v11 :: v_dual_mov_b32 v55, v10
	s_mov_b32 s6, s15
	s_lshl_b32 s15, s14, 9
	s_mov_b32 s18, exec_lo
	s_waitcnt vmcnt(2) lgkmcnt(0)
	v_cmpx_lt_i32_e64 s15, v135
	s_cbranch_execz .LBB258_1412
; %bb.1:
	v_sub_nc_u32_e32 v0, 0, v12
	s_clause 0x1
	s_load_b32 s0, s[8:9], 0x10
	s_load_b32 s1, s[8:9], 0x0
	s_delay_alu instid0(VALU_DEP_1) | instskip(NEXT) | instid1(VALU_DEP_1)
	v_max_i32_e32 v0, v12, v0
	v_cvt_f32_u32_e32 v1, v0
	v_sub_nc_u32_e32 v4, 0, v0
	s_delay_alu instid0(VALU_DEP_2) | instskip(SKIP_2) | instid1(SALU_CYCLE_1)
	v_rcp_iflag_f32_e32 v1, v1
	s_waitcnt lgkmcnt(0)
	s_lshr_b32 s0, s0, 16
	s_cmp_lg_u32 s0, 0
	s_cselect_b32 s0, -1, 0
	s_waitcnt_depctr 0xfff
	v_mul_f32_e32 v1, 0x4f7ffffe, v1
	s_cmp_lg_u32 s0, 0
	s_addc_u32 s11, s1, 0
	s_mov_b32 s1, exec_lo
	s_delay_alu instid0(VALU_DEP_1) | instskip(SKIP_1) | instid1(VALU_DEP_1)
	v_cvt_u32_f32_e32 v1, v1
	s_abs_i32 s0, s11
	v_mul_lo_u32 v4, v4, v1
	s_delay_alu instid0(VALU_DEP_1) | instskip(NEXT) | instid1(VALU_DEP_1)
	v_mul_hi_u32 v4, v1, v4
	v_add_nc_u32_e32 v1, v1, v4
	s_delay_alu instid0(VALU_DEP_1) | instskip(NEXT) | instid1(VALU_DEP_1)
	v_mul_hi_u32 v1, s0, v1
	v_mul_lo_u32 v4, v1, v0
	v_add_nc_u32_e32 v5, 1, v1
	s_delay_alu instid0(VALU_DEP_2) | instskip(SKIP_1) | instid1(VALU_DEP_1)
	v_sub_nc_u32_e32 v4, s0, v4
	s_abs_i32 s0, s12
	v_sub_nc_u32_e32 v10, v4, v0
	v_cmp_ge_u32_e32 vcc_lo, v4, v0
	s_delay_alu instid0(VALU_DEP_2) | instskip(SKIP_1) | instid1(VALU_DEP_2)
	v_dual_cndmask_b32 v1, v1, v5 :: v_dual_cndmask_b32 v4, v4, v10
	v_xor_b32_e32 v5, s11, v12
	v_add_nc_u32_e32 v10, 1, v1
	s_delay_alu instid0(VALU_DEP_3) | instskip(NEXT) | instid1(VALU_DEP_3)
	v_cmp_ge_u32_e32 vcc_lo, v4, v0
	v_ashrrev_i32_e32 v5, 31, v5
	s_delay_alu instid0(VALU_DEP_3) | instskip(NEXT) | instid1(VALU_DEP_1)
	v_cndmask_b32_e32 v0, v1, v10, vcc_lo
	v_xor_b32_e32 v0, v0, v5
	s_delay_alu instid0(VALU_DEP_1) | instskip(NEXT) | instid1(VALU_DEP_1)
	v_sub_nc_u32_e32 v5, v0, v5
	v_sub_nc_u32_e32 v0, 0, v5
	s_delay_alu instid0(VALU_DEP_1) | instskip(NEXT) | instid1(VALU_DEP_1)
	v_max_i32_e32 v4, v5, v0
	v_cvt_f32_u32_e32 v0, v4
	v_sub_nc_u32_e32 v1, 0, v4
	s_delay_alu instid0(VALU_DEP_2) | instskip(SKIP_2) | instid1(VALU_DEP_1)
	v_rcp_iflag_f32_e32 v0, v0
	s_waitcnt_depctr 0xfff
	v_mul_f32_e32 v0, 0x4f7ffffe, v0
	v_cvt_u32_f32_e32 v0, v0
	s_delay_alu instid0(VALU_DEP_1) | instskip(NEXT) | instid1(VALU_DEP_1)
	v_mul_lo_u32 v1, v1, v0
	v_mul_hi_u32 v1, v0, v1
	s_delay_alu instid0(VALU_DEP_1) | instskip(NEXT) | instid1(VALU_DEP_1)
	v_add_nc_u32_e32 v10, v0, v1
	v_mad_u64_u32 v[0:1], null, s0, v10, 0
	v_mov_b32_e32 v0, 0
	scratch_store_b32 off, v0, s32 offset:384 ; 4-byte Folded Spill
	v_cmpx_ne_u64_e32 0, v[19:20]
	s_cbranch_execz .LBB258_3
; %bb.2:
	s_ashr_i32 s13, s12, 31
	s_delay_alu instid0(SALU_CYCLE_1) | instskip(NEXT) | instid1(SALU_CYCLE_1)
	s_lshl_b64 s[2:3], s[12:13], 2
	v_add_co_u32 v10, vcc_lo, v19, s2
	v_add_co_ci_u32_e32 v11, vcc_lo, s3, v20, vcc_lo
	flat_load_b32 v0, v[10:11]
	s_waitcnt vmcnt(0) lgkmcnt(0)
	scratch_store_b32 off, v0, s32 offset:384 ; 4-byte Folded Spill
.LBB258_3:
	s_or_b32 exec_lo, exec_lo, s1
	v_and_b32_e32 v146, 0x3ff, v31
	v_ashrrev_i32_e32 v0, 31, v5
	s_ashr_i32 s1, s12, 31
	s_mul_i32 s4, s12, 0x50
	s_mov_b32 s2, exec_lo
	v_cmpx_gt_u32_e32 20, v146
	s_cbranch_execz .LBB258_5
; %bb.4:
	v_mul_lo_u32 v10, s10, v21
	s_ashr_i32 s5, s4, 31
	v_lshlrev_b32_e32 v17, 4, v146
	s_lshl_b64 s[16:17], s[4:5], 2
	s_delay_alu instid0(VALU_DEP_2) | instskip(NEXT) | instid1(VALU_DEP_1)
	v_ashrrev_i32_e32 v11, 31, v10
	v_lshlrev_b64 v[10:11], 2, v[10:11]
	s_delay_alu instid0(VALU_DEP_1) | instskip(NEXT) | instid1(VALU_DEP_2)
	v_add_co_u32 v5, vcc_lo, v6, v10
	v_add_co_ci_u32_e32 v6, vcc_lo, v7, v11, vcc_lo
	s_delay_alu instid0(VALU_DEP_2) | instskip(NEXT) | instid1(VALU_DEP_2)
	v_add_co_u32 v5, vcc_lo, v5, s16
	v_add_co_ci_u32_e32 v6, vcc_lo, s17, v6, vcc_lo
	s_delay_alu instid0(VALU_DEP_2) | instskip(NEXT) | instid1(VALU_DEP_2)
	v_add_co_u32 v5, vcc_lo, v5, v17
	v_add_co_ci_u32_e32 v6, vcc_lo, 0, v6, vcc_lo
	flat_load_b128 v[19:22], v[5:6]
	s_waitcnt vmcnt(0) lgkmcnt(0)
	ds_store_b128 v17, v[19:22]
.LBB258_5:
	s_or_b32 exec_lo, exec_lo, s2
	s_waitcnt vmcnt(0)
	v_sub_nc_u32_e32 v5, 0, v3
	v_mul_lo_u32 v6, v1, v4
	v_xor_b32_e32 v16, s1, v0
	s_delay_alu instid0(VALU_DEP_3) | instskip(NEXT) | instid1(VALU_DEP_3)
	v_max_i32_e32 v10, v3, v5
	v_sub_nc_u32_e32 v6, s0, v6
	s_delay_alu instid0(VALU_DEP_2) | instskip(SKIP_1) | instid1(VALU_DEP_2)
	v_cvt_f32_u32_e32 v5, v10
	s_mov_b32 s0, exec_lo
	v_sub_nc_u32_e32 v11, v6, v4
	s_delay_alu instid0(VALU_DEP_2) | instskip(SKIP_3) | instid1(VALU_DEP_1)
	v_rcp_iflag_f32_e32 v5, v5
	v_cmp_ge_u32_e32 vcc_lo, v6, v4
	s_waitcnt_depctr 0xfff
	v_dual_cndmask_b32 v6, v6, v11 :: v_dual_mul_f32 v5, 0x4f7ffffe, v5
	v_cvt_u32_f32_e32 v7, v5
	v_sub_nc_u32_e32 v5, 0, v10
	s_delay_alu instid0(VALU_DEP_1) | instskip(NEXT) | instid1(VALU_DEP_1)
	v_mul_lo_u32 v13, v5, v7
	v_mul_hi_u32 v11, v7, v13
	s_delay_alu instid0(VALU_DEP_1)
	v_add_nc_u32_e32 v7, v7, v11
	scratch_store_b32 off, v10, s32 offset:328 ; 4-byte Folded Spill
	v_add_nc_u32_e32 v10, 1, v1
	scratch_store_b32 off, v7, s32 offset:348 ; 4-byte Folded Spill
	s_waitcnt lgkmcnt(0)
	s_waitcnt_vscnt null, 0x0
	v_cndmask_b32_e32 v1, v1, v10, vcc_lo
	v_cmp_ge_u32_e32 vcc_lo, v6, v4
	s_barrier
	buffer_gl0_inv
	v_add_nc_u32_e32 v10, 1, v1
	s_delay_alu instid0(VALU_DEP_1) | instskip(NEXT) | instid1(VALU_DEP_1)
	v_dual_cndmask_b32 v0, v1, v10 :: v_dual_add_nc_u32 v5, -1, v135
	v_sub_nc_u32_e32 v13, 0, v5
	s_delay_alu instid0(VALU_DEP_2) | instskip(NEXT) | instid1(VALU_DEP_2)
	v_xor_b32_e32 v6, v0, v16
	v_max_i32_e32 v4, v5, v13
	s_delay_alu instid0(VALU_DEP_1) | instskip(NEXT) | instid1(VALU_DEP_3)
	v_mad_u64_u32 v[0:1], null, v4, v7, 0
	v_sub_nc_u32_e32 v0, v6, v16
                                        ; implicit-def: $vgpr6
	scratch_store_b64 off, v[6:7], s32 offset:332 ; 8-byte Folded Spill
	v_cmpx_gt_i32_e32 0, v2
	s_xor_b32 s0, exec_lo, s0
	s_cbranch_execz .LBB258_7
; %bb.6:
	v_mad_u64_u32 v[6:7], null, v28, v12, v[0:1]
                                        ; implicit-def: $vgpr28
	s_delay_alu instid0(VALU_DEP_1) | instskip(NEXT) | instid1(VALU_DEP_1)
	v_mul_lo_u32 v2, v6, v2
	v_sub_nc_u32_e32 v2, 1, v2
	scratch_store_b64 off, v[2:3], s32 offset:332 ; 8-byte Folded Spill
                                        ; implicit-def: $vgpr2
.LBB258_7:
	s_or_saveexec_b32 s0, s0
	v_ashrrev_i32_e32 v5, 31, v5
	v_ashrrev_i32_e32 v3, 31, v3
	scratch_store_b32 off, v3, s32 offset:340 ; 4-byte Folded Spill
	s_xor_b32 exec_lo, exec_lo, s0
	s_cbranch_execz .LBB258_9
; %bb.8:
	v_mad_u64_u32 v[6:7], null, s11, v28, s[12:13]
	s_delay_alu instid0(VALU_DEP_1)
	v_mad_u64_u32 v[10:11], null, v6, v2, 1
	scratch_store_b64 off, v[10:11], s32 offset:332 ; 8-byte Folded Spill
.LBB258_9:
	s_or_b32 exec_lo, exec_lo, s0
	scratch_load_b32 v12, off, s32 offset:328 ; 4-byte Folded Reload
	s_clause 0x1
	s_load_b32 s19, s[8:9], 0x14
	s_load_b32 s5, s[8:9], 0x8
	scratch_load_b32 v7, off, s32 offset:340 ; 4-byte Folded Reload
	v_dual_mov_b32 v19, 0xff7fffff :: v_dual_add_nc_u32 v6, 1, v1
	s_lshl_b32 s13, s14, 4
	v_lshrrev_b32_e32 v11, 5, v146
	v_mul_lo_u32 v13, v0, v23
	s_add_i32 s0, s13, 16
	v_sub_nc_u32_e32 v16, 0, v30
	s_delay_alu instid0(VALU_DEP_3) | instskip(SKIP_1) | instid1(VALU_DEP_4)
	v_lshl_add_u32 v23, v11, 5, s15
	v_add_nc_u32_e32 v176, s13, v11
	v_ashrrev_i32_e32 v17, 31, v13
	s_delay_alu instid0(VALU_DEP_2) | instskip(SKIP_4) | instid1(VALU_DEP_2)
	v_ashrrev_i32_e32 v177, 31, v176
	s_waitcnt vmcnt(1)
	v_mul_lo_u32 v2, v1, v12
	s_waitcnt vmcnt(0)
	v_xor_b32_e32 v5, v5, v7
	v_sub_nc_u32_e32 v4, v4, v2
	v_mul_lo_u32 v2, s10, v18
	s_delay_alu instid0(VALU_DEP_2) | instskip(SKIP_1) | instid1(VALU_DEP_2)
	v_sub_nc_u32_e32 v10, v4, v12
	v_cmp_ge_u32_e32 vcc_lo, v4, v12
	v_dual_cndmask_b32 v4, v4, v10 :: v_dual_add_nc_u32 v3, 31, v135
	s_delay_alu instid0(VALU_DEP_1) | instskip(SKIP_1) | instid1(VALU_DEP_3)
	v_ashrrev_i32_e32 v7, 31, v3
	v_cndmask_b32_e32 v1, v1, v6, vcc_lo
	v_cmp_ge_u32_e32 vcc_lo, v4, v12
	s_delay_alu instid0(VALU_DEP_3) | instskip(NEXT) | instid1(VALU_DEP_3)
	v_lshrrev_b32_e32 v6, 27, v7
	v_add_nc_u32_e32 v7, 1, v1
	v_and_b32_e32 v10, 31, v146
	s_delay_alu instid0(VALU_DEP_3) | instskip(NEXT) | instid1(VALU_DEP_3)
	v_add_nc_u32_e32 v3, v3, v6
	v_cndmask_b32_e32 v1, v1, v7, vcc_lo
	s_delay_alu instid0(VALU_DEP_2) | instskip(NEXT) | instid1(VALU_DEP_2)
	v_ashrrev_i32_e32 v18, 5, v3
	v_xor_b32_e32 v0, v1, v5
	v_ashrrev_i32_e32 v3, 31, v2
	s_delay_alu instid0(VALU_DEP_3) | instskip(NEXT) | instid1(VALU_DEP_3)
	v_min_i32_e32 v1, s0, v18
	v_sub_nc_u32_e32 v0, v0, v5
	scratch_store_b32 off, v11, s32 offset:672 ; 4-byte Folded Spill
	v_lshlrev_b64 v[11:12], 2, v[2:3]
	scratch_store_b32 off, v1, s32 offset:344 ; 4-byte Folded Spill
	v_sub_nc_u32_e32 v0, v0, v29
	v_cmp_lt_i32_e64 s0, v176, v1
	s_clause 0x1
	scratch_store_b32 off, v0, s32 offset:352
	scratch_store_b32 off, v10, s32 offset:360
	v_lshlrev_b32_e32 v10, 2, v10
	s_and_saveexec_b32 s20, s0
	s_cbranch_execz .LBB258_657
; %bb.10:
	s_clause 0x9
	scratch_store_b32 off, v18, s32 offset:728
	scratch_store_b32 off, v32, s32 offset:712
	;; [unrolled: 1-line block ×10, first 2 shown]
	s_clause 0x1
	scratch_load_b32 v6, off, s32 offset:360
	scratch_load_b32 v1, off, s32 offset:384
	v_add_co_u32 v2, vcc_lo, v8, v13
	v_max_i32_e32 v30, v30, v16
	scratch_store_b32 off, v17, s32 offset:736 ; 4-byte Folded Spill
	v_add_co_ci_u32_e32 v3, vcc_lo, v9, v17, vcc_lo
	s_ashr_i32 s7, s6, 31
	v_cvt_f32_u32_e32 v0, v30
	s_getpc_b64 s[2:3]
	s_add_u32 s2, s2, llvm.amdgcn.dynlds.offset.table@rel32@lo+4
	s_addc_u32 s3, s3, llvm.amdgcn.dynlds.offset.table@rel32@hi+12
	s_lshl_b64 s[8:9], s[6:7], 2
	s_mov_b32 s16, 0
	s_add_u32 s8, s8, s2
	v_rcp_iflag_f32_e32 v5, v0
	s_addc_u32 s9, s9, s3
	s_brev_b32 s17, 1
	s_mov_b32 s3, 0x7f800001
	s_mov_b32 s21, s16
	v_dual_mov_b32 v29, 0 :: v_dual_mov_b32 v20, v176
	ds_load_b128 v[16:19], v29
	ds_load_b128 v[148:151], v29 offset:272
	s_waitcnt lgkmcnt(0)
	scratch_store_b128 off, v[16:19], s32 offset:388 ; 16-byte Folded Spill
	ds_load_b128 v[16:19], v29 offset:16
	scratch_store_b32 off, v13, s32 offset:724 ; 4-byte Folded Spill
	s_waitcnt lgkmcnt(0)
	scratch_store_b128 off, v[16:19], s32 offset:404 ; 16-byte Folded Spill
	ds_load_b128 v[16:19], v29 offset:32
	s_waitcnt lgkmcnt(0)
	scratch_store_b128 off, v[16:19], s32 offset:420 ; 16-byte Folded Spill
	ds_load_b128 v[16:19], v29 offset:48
	;; [unrolled: 3-line block ×13, first 2 shown]
	s_waitcnt vmcnt(1)
	v_lshlrev_b32_e32 v4, 4, v6
	s_waitcnt vmcnt(0)
	v_cmp_neq_f32_e32 vcc_lo, 0, v1
	v_lshlrev_b64 v[0:1], 2, v[176:177]
	s_delay_alu instid0(VALU_DEP_3) | instskip(NEXT) | instid1(VALU_DEP_1)
	v_add_co_u32 v2, s1, v2, v4
	v_add_co_ci_u32_e64 v3, s1, 0, v3, s1
	s_delay_alu instid0(VALU_DEP_3) | instskip(NEXT) | instid1(VALU_DEP_1)
	v_add_co_u32 v0, s1, v11, v0
	v_add_co_ci_u32_e64 v1, s1, v12, v1, s1
	scratch_store_b64 off, v[2:3], s32 offset:532 ; 8-byte Folded Spill
	v_add_co_u32 v182, s1, v14, v0
	v_mul_f32_e32 v3, 0x4f7ffffe, v5
	v_sub_nc_u32_e32 v2, 0, v30
	v_add_co_ci_u32_e64 v183, s1, v15, v1, s1
	v_mov_b32_e32 v1, v10
	s_delay_alu instid0(VALU_DEP_4) | instskip(SKIP_4) | instid1(VALU_DEP_1)
	v_cvt_u32_f32_e32 v3, v3
	s_waitcnt lgkmcnt(0)
	scratch_store_b128 off, v[16:19], s32 offset:620 ; 16-byte Folded Spill
	ds_load_b128 v[16:19], v29 offset:240
	v_mul_lo_u32 v2, v2, v3
	v_mul_hi_u32 v2, v3, v2
	s_delay_alu instid0(VALU_DEP_1)
	v_add_nc_u32_e32 v147, v3, v2
	v_sub_nc_u32_e32 v2, v6, v135
	s_waitcnt lgkmcnt(0)
	scratch_store_b128 off, v[16:19], s32 offset:636 ; 16-byte Folded Spill
	ds_load_b128 v[16:19], v29 offset:256
	s_waitcnt lgkmcnt(0)
	scratch_store_b128 off, v[16:19], s32 offset:652 ; 16-byte Folded Spill
	v_mov_b32_e32 v19, 0xff7fffff
	ds_load_b128 v[160:163], v29 offset:288
	ds_load_b128 v[164:167], v29 offset:304
	scratch_load_b32 v0, off, s32 offset:672 ; 4-byte Folded Reload
	s_load_b32 s7, s[8:9], 0x0
	scratch_store_b32 off, v1, s32 offset:740 ; 4-byte Folded Spill
	s_waitcnt vmcnt(0)
	v_lshl_add_u32 v10, v0, 5, s15
	v_lshl_or_b32 v13, v0, 7, v1
	v_add_nc_u32_e32 v0, 1, v2
	s_clause 0x3
	scratch_store_b64 off, v[11:12], s32 offset:716
	scratch_store_b32 off, v14, s32 offset:684
	scratch_store_b32 off, v15, s32 offset:748
	;; [unrolled: 1-line block ×3, first 2 shown]
	s_branch .LBB258_16
.LBB258_11:                             ;   in Loop: Header=BB258_16 Depth=1
	s_or_b32 exec_lo, exec_lo, s25
	v_lshlrev_b32_e32 v114, 24, v47
	s_delay_alu instid0(VALU_DEP_2) | instskip(SKIP_1) | instid1(VALU_DEP_3)
	v_lshlrev_b32_e32 v28, 20, v28
	v_lshl_add_u32 v24, v24, 23, 0x3c000000
	v_and_b32_e32 v114, 0x80000000, v114
	s_delay_alu instid0(VALU_DEP_1)
	v_or3_b32 v115, v28, v114, v24
	v_mov_b32_e32 v114, v29
.LBB258_12:                             ;   in Loop: Header=BB258_16 Depth=1
	s_or_b32 exec_lo, exec_lo, s2
.LBB258_13:                             ;   in Loop: Header=BB258_16 Depth=1
	s_delay_alu instid0(SALU_CYCLE_1)
	s_or_b32 exec_lo, exec_lo, s24
.LBB258_14:                             ;   in Loop: Header=BB258_16 Depth=1
	s_delay_alu instid0(SALU_CYCLE_1)
	s_or_b32 exec_lo, exec_lo, s23
	v_or_b32_e32 v134, v42, v40
	v_or_b32_e32 v39, v41, v39
	;; [unrolled: 1-line block ×3, first 2 shown]
	scratch_load_b128 v[40:43], off, s32 offset:404 ; 16-byte Folded Reload
	v_or_b32_e32 v7, v7, v9
	v_or_b32_e32 v9, v6, v8
	;; [unrolled: 1-line block ×11, first 2 shown]
	scratch_load_b128 v[178:181], off, s32 offset:388 ; 16-byte Folded Reload
	v_or_b32_e32 v145, v46, v44
	scratch_load_b128 v[44:47], off, s32 offset:420 ; 16-byte Folded Reload
	v_or_b32_e32 v28, v131, v133
	v_or_b32_e32 v81, v81, v83
	;; [unrolled: 1-line block ×8, first 2 shown]
	v_mul_f32_e32 v14, v25, v14
	v_mul_f32_e32 v87, v25, v87
	;; [unrolled: 1-line block ×4, first 2 shown]
	v_or_b32_e32 v128, v118, v128
	v_or_b32_e32 v118, v130, v132
	;; [unrolled: 1-line block ×3, first 2 shown]
	v_mul_f32_e32 v39, v25, v39
	v_or_b32_e32 v99, v97, v99
	v_or_b32_e32 v97, v100, v102
	;; [unrolled: 1-line block ×7, first 2 shown]
	v_mul_f32_e32 v102, v25, v102
	v_or_b32_e32 v22, v170, v172
	v_or_b32_e32 v132, v63, v61
	;; [unrolled: 1-line block ×3, first 2 shown]
	v_mul_f32_e32 v101, v25, v101
	v_or_b32_e32 v6, v17, v19
	v_mul_f32_e32 v22, v25, v22
	v_or_b32_e32 v17, v186, v188
	v_or_b32_e32 v19, v171, v173
	;; [unrolled: 1-line block ×5, first 2 shown]
	v_mul_f32_e32 v17, v25, v17
	v_mul_f32_e32 v19, v25, v19
	v_or_b32_e32 v119, v119, v129
	v_mul_f32_e32 v24, v25, v24
	v_or_b32_e32 v129, v89, v79
	v_or_b32_e32 v85, v108, v106
	;; [unrolled: 1-line block ×7, first 2 shown]
	v_mul_f32_e32 v5, v25, v5
	v_or_b32_e32 v69, v124, v122
	v_or_b32_e32 v84, v120, v110
	v_mul_f32_e32 v3, v25, v3
	v_or_b32_e32 v49, v49, v51
	v_or_b32_e32 v51, v48, v50
	;; [unrolled: 1-line block ×8, first 2 shown]
	v_mul_f32_e32 v1, v25, v1
	v_or_b32_e32 v32, v32, v34
	v_or_b32_e32 v34, v31, v33
	;; [unrolled: 1-line block ×13, first 2 shown]
	s_load_b32 s2, s[8:9], 0x0
	v_or_b32_e32 v26, v159, v169
	v_or_b32_e32 v11, v11, v21
	;; [unrolled: 1-line block ×5, first 2 shown]
	v_mul_f32_e32 v0, v25, v0
	v_or_b32_e32 v112, v72, v112
	v_mul_f32_e32 v15, v25, v15
	v_or_b32_e32 v113, v73, v113
	s_waitcnt vmcnt(2)
	v_mul_f32_e32 v116, v40, v116
	s_waitcnt vmcnt(1)
	s_delay_alu instid0(VALU_DEP_1) | instskip(SKIP_1) | instid1(VALU_DEP_1)
	v_dual_fmac_f32 v116, v178, v39 :: v_dual_mul_f32 v39, v25, v130
	s_waitcnt vmcnt(0)
	v_dual_fmac_f32 v116, v44, v102 :: v_dual_mul_f32 v39, v41, v39
	v_mul_f32_e32 v102, v25, v145
	s_delay_alu instid0(VALU_DEP_2) | instskip(SKIP_2) | instid1(VALU_DEP_3)
	v_fmac_f32_e32 v39, v179, v117
	v_mul_f32_e32 v117, v25, v133
	v_mul_f32_e32 v130, v25, v144
	v_fmac_f32_e32 v39, v45, v101
	s_delay_alu instid0(VALU_DEP_3) | instskip(SKIP_1) | instid1(VALU_DEP_2)
	v_mul_f32_e32 v117, v42, v117
	v_mul_f32_e32 v101, v25, v132
	v_fmac_f32_e32 v117, v180, v130
	scratch_load_b128 v[130:133], off, s32 offset:436 ; 16-byte Folded Reload
	v_dual_mul_f32 v101, v43, v101 :: v_dual_mul_f32 v86, v25, v86
	s_delay_alu instid0(VALU_DEP_1) | instskip(SKIP_1) | instid1(VALU_DEP_2)
	v_fmac_f32_e32 v101, v181, v102
	s_waitcnt vmcnt(0)
	v_dual_mul_f32 v102, v25, v103 :: v_dual_fmac_f32 v39, v131, v86
	s_delay_alu instid0(VALU_DEP_1) | instskip(NEXT) | instid1(VALU_DEP_1)
	v_dual_fmac_f32 v117, v46, v102 :: v_dual_mul_f32 v86, v25, v129
	v_dual_fmac_f32 v116, v130, v87 :: v_dual_fmac_f32 v117, v132, v24
	scratch_load_b128 v[129:132], off, s32 offset:452 ; 16-byte Folded Reload
	v_dual_fmac_f32 v101, v47, v86 :: v_dual_mul_f32 v24, v25, v85
	s_waitcnt vmcnt(0)
	s_delay_alu instid0(VALU_DEP_1) | instskip(SKIP_1) | instid1(VALU_DEP_1)
	v_fmac_f32_e32 v116, v129, v24
	v_mul_f32_e32 v24, v25, v71
	v_fmac_f32_e32 v39, v130, v24
	v_mul_f32_e32 v24, v25, v100
	s_delay_alu instid0(VALU_DEP_1) | instskip(SKIP_4) | instid1(VALU_DEP_1)
	v_fmac_f32_e32 v101, v133, v24
	v_mul_f32_e32 v24, v25, v84
	scratch_load_b128 v[84:87], off, s32 offset:468 ; 16-byte Folded Reload
	v_dual_fmac_f32 v117, v131, v24 :: v_dual_mul_f32 v24, v25, v69
	s_waitcnt vmcnt(0)
	v_fmac_f32_e32 v116, v84, v24
	v_mul_f32_e32 v24, v25, v55
	s_delay_alu instid0(VALU_DEP_1) | instskip(SKIP_1) | instid1(VALU_DEP_1)
	v_fmac_f32_e32 v39, v85, v24
	v_mul_f32_e32 v24, v25, v70
	v_fmac_f32_e32 v101, v132, v24
	v_mul_f32_e32 v24, v25, v68
	scratch_load_b128 v[68:71], off, s32 offset:484 ; 16-byte Folded Reload
	v_dual_fmac_f32 v117, v86, v24 :: v_dual_mul_f32 v24, v25, v53
	s_waitcnt vmcnt(0)
	s_delay_alu instid0(VALU_DEP_1) | instskip(SKIP_1) | instid1(VALU_DEP_1)
	v_fmac_f32_e32 v116, v68, v24
	v_mul_f32_e32 v24, v25, v38
	v_fmac_f32_e32 v39, v69, v24
	v_mul_f32_e32 v24, v25, v54
	s_delay_alu instid0(VALU_DEP_1)
	v_fmac_f32_e32 v101, v87, v24
	v_mul_f32_e32 v24, v25, v52
	scratch_load_b128 v[52:55], off, s32 offset:500 ; 16-byte Folded Reload
	v_fmac_f32_e32 v117, v70, v24
	v_mul_f32_e32 v24, v25, v36
	s_waitcnt vmcnt(0)
	s_delay_alu instid0(VALU_DEP_1) | instskip(SKIP_1) | instid1(VALU_DEP_1)
	v_fmac_f32_e32 v116, v52, v24
	v_mul_f32_e32 v24, v25, v27
	v_fmac_f32_e32 v39, v53, v24
	v_mul_f32_e32 v24, v25, v37
	s_delay_alu instid0(VALU_DEP_1)
	v_dual_fmac_f32 v101, v71, v24 :: v_dual_mul_f32 v24, v25, v35
	scratch_load_b128 v[35:38], off, s32 offset:516 ; 16-byte Folded Reload
	v_fmac_f32_e32 v117, v54, v24
	s_waitcnt vmcnt(0)
	v_fmac_f32_e32 v39, v36, v19
	v_mul_f32_e32 v19, v25, v26
	v_fmac_f32_e32 v116, v35, v22
	s_delay_alu instid0(VALU_DEP_2) | instskip(SKIP_2) | instid1(VALU_DEP_1)
	v_fmac_f32_e32 v101, v55, v19
	scratch_load_b128 v[52:55], off, s32 offset:540 ; 16-byte Folded Reload
	v_mul_f32_e32 v19, v25, v21
	v_fmac_f32_e32 v117, v37, v19
	v_mov_b32_e32 v19, v146
	s_waitcnt vmcnt(0)
	v_fmac_f32_e32 v39, v53, v15
	v_dual_mul_f32 v15, v25, v18 :: v_dual_fmac_f32 v116, v52, v17
	s_delay_alu instid0(VALU_DEP_1) | instskip(SKIP_1) | instid1(VALU_DEP_1)
	v_fmac_f32_e32 v101, v38, v15
	v_mul_f32_e32 v15, v25, v16
	v_fmac_f32_e32 v117, v54, v15
	scratch_load_b128 v[15:18], off, s32 offset:556 ; 16-byte Folded Reload
	s_waitcnt vmcnt(0)
	v_fmac_f32_e32 v39, v16, v5
	v_dual_mul_f32 v5, v25, v12 :: v_dual_fmac_f32 v116, v15, v14
	s_delay_alu instid0(VALU_DEP_1) | instskip(SKIP_1) | instid1(VALU_DEP_1)
	v_fmac_f32_e32 v101, v55, v5
	v_mul_f32_e32 v5, v25, v11
	v_fmac_f32_e32 v117, v17, v5
	scratch_load_b128 v[14:17], off, s32 offset:572 ; 16-byte Folded Reload
	s_waitcnt vmcnt(0)
	v_fmac_f32_e32 v39, v15, v1
	v_dual_mul_f32 v1, v25, v4 :: v_dual_fmac_f32 v116, v14, v3
	s_delay_alu instid0(VALU_DEP_1)
	v_fmac_f32_e32 v101, v18, v1
	v_mul_f32_e32 v1, v25, v2
	scratch_load_b128 v[2:5], off, s32 offset:588 ; 16-byte Folded Reload
	v_fmac_f32_e32 v101, v17, v0
	v_fmac_f32_e32 v117, v16, v1
	v_mul_f32_e32 v1, v25, v9
	v_mul_f32_e32 v0, v25, v8
	s_waitcnt vmcnt(0)
	s_delay_alu instid0(VALU_DEP_2) | instskip(NEXT) | instid1(VALU_DEP_2)
	v_dual_fmac_f32 v116, v2, v1 :: v_dual_mul_f32 v1, v25, v7
	v_dual_fmac_f32 v117, v4, v0 :: v_dual_mul_f32 v0, v25, v34
	s_delay_alu instid0(VALU_DEP_2) | instskip(SKIP_4) | instid1(VALU_DEP_1)
	v_fmac_f32_e32 v39, v3, v1
	scratch_load_b128 v[1:4], off, s32 offset:604 ; 16-byte Folded Reload
	s_waitcnt vmcnt(0)
	v_fmac_f32_e32 v116, v1, v0
	v_mul_f32_e32 v0, v25, v32
	v_dual_fmac_f32 v39, v2, v0 :: v_dual_mul_f32 v0, v25, v6
	s_delay_alu instid0(VALU_DEP_1) | instskip(SKIP_2) | instid1(VALU_DEP_1)
	v_fmac_f32_e32 v101, v5, v0
	scratch_load_b128 v[5:8], off, s32 offset:620 ; 16-byte Folded Reload
	v_mul_f32_e32 v0, v25, v33
	v_dual_fmac_f32 v117, v3, v0 :: v_dual_mul_f32 v0, v25, v51
	s_waitcnt vmcnt(0)
	s_delay_alu instid0(VALU_DEP_1) | instskip(SKIP_1) | instid1(VALU_DEP_1)
	v_fmac_f32_e32 v116, v5, v0
	v_mul_f32_e32 v0, v25, v49
	v_dual_fmac_f32 v39, v6, v0 :: v_dual_mul_f32 v0, v25, v31
	s_delay_alu instid0(VALU_DEP_1) | instskip(SKIP_3) | instid1(VALU_DEP_1)
	v_dual_fmac_f32 v101, v4, v0 :: v_dual_mul_f32 v0, v25, v50
	scratch_load_b128 v[1:4], off, s32 offset:636 ; 16-byte Folded Reload
	v_dual_fmac_f32 v117, v7, v0 :: v_dual_mul_f32 v0, v25, v67
	s_waitcnt vmcnt(0)
	v_fmac_f32_e32 v116, v1, v0
	v_mul_f32_e32 v0, v25, v65
	v_mul_f32_e32 v1, v25, v114
	s_delay_alu instid0(VALU_DEP_2) | instskip(SKIP_1) | instid1(VALU_DEP_1)
	v_fmac_f32_e32 v39, v2, v0
	v_mul_f32_e32 v0, v25, v48
	v_fmac_f32_e32 v101, v8, v0
	scratch_load_b128 v[5:8], off, s32 offset:652 ; 16-byte Folded Reload
	v_mul_f32_e32 v0, v25, v66
	s_delay_alu instid0(VALU_DEP_1) | instskip(SKIP_1) | instid1(VALU_DEP_1)
	v_dual_fmac_f32 v117, v3, v0 :: v_dual_mul_f32 v0, v25, v83
	s_waitcnt vmcnt(0)
	v_fmac_f32_e32 v116, v5, v0
	v_mul_f32_e32 v0, v25, v81
	s_delay_alu instid0(VALU_DEP_1) | instskip(SKIP_1) | instid1(VALU_DEP_1)
	v_fmac_f32_e32 v39, v6, v0
	v_mul_f32_e32 v0, v25, v64
	v_dual_fmac_f32 v101, v4, v0 :: v_dual_mul_f32 v0, v25, v82
	s_delay_alu instid0(VALU_DEP_1) | instskip(NEXT) | instid1(VALU_DEP_1)
	v_dual_fmac_f32 v117, v7, v0 :: v_dual_mul_f32 v0, v25, v98
	v_fmac_f32_e32 v116, v148, v0
	v_mul_f32_e32 v0, v25, v99
	s_delay_alu instid0(VALU_DEP_1) | instskip(SKIP_1) | instid1(VALU_DEP_1)
	v_fmac_f32_e32 v39, v149, v0
	v_mul_f32_e32 v0, v25, v80
	v_dual_fmac_f32 v101, v8, v0 :: v_dual_mul_f32 v0, v25, v97
	s_delay_alu instid0(VALU_DEP_1) | instskip(SKIP_1) | instid1(VALU_DEP_1)
	v_fmac_f32_e32 v117, v150, v0
	v_mul_f32_e32 v0, v25, v128
	v_fmac_f32_e32 v116, v160, v0
	v_mul_f32_e32 v0, v25, v119
	s_delay_alu instid0(VALU_DEP_1) | instskip(SKIP_1) | instid1(VALU_DEP_1)
	v_fmac_f32_e32 v39, v161, v0
	v_mul_f32_e32 v0, v25, v96
	v_dual_fmac_f32 v101, v151, v0 :: v_dual_mul_f32 v0, v25, v118
	s_delay_alu instid0(VALU_DEP_1) | instskip(SKIP_1) | instid1(VALU_DEP_1)
	v_fmac_f32_e32 v117, v162, v0
	v_mul_f32_e32 v0, v25, v112
	v_fmac_f32_e32 v116, v164, v0
	v_mul_f32_e32 v0, v25, v113
	s_delay_alu instid0(VALU_DEP_4) | instskip(SKIP_3) | instid1(VALU_DEP_1)
	v_fmac_f32_e32 v117, v166, v1
	scratch_load_b32 v1, off, s32 offset:668 ; 4-byte Folded Reload
	v_fmac_f32_e32 v39, v165, v0
	v_mul_f32_e32 v0, v25, v28
	v_dual_mul_f32 v2, v25, v115 :: v_dual_fmac_f32 v101, v163, v0
	s_delay_alu instid0(VALU_DEP_1) | instskip(SKIP_2) | instid1(VALU_DEP_1)
	v_dual_add_f32 v0, v116, v39 :: v_dual_fmac_f32 v101, v167, v2
	scratch_load_b32 v2, off, s32 offset:384 ; 4-byte Folded Reload
	v_add_f32_e32 v0, v117, v0
	v_add_f32_e32 v0, v101, v0
	s_waitcnt vmcnt(1)
	v_add_nc_u32_e32 v1, v1, v10
	s_delay_alu instid0(VALU_DEP_1) | instskip(SKIP_1) | instid1(VALU_DEP_1)
	v_cvt_f32_i32_e32 v1, v1
	s_waitcnt vmcnt(0)
	v_mul_f32_e32 v1, v2, v1
	scratch_load_b32 v2, off, s32 offset:380 ; 4-byte Folded Reload
	v_cndmask_b32_e32 v1, 0, v1, vcc_lo
	s_waitcnt vmcnt(0)
	s_delay_alu instid0(VALU_DEP_1) | instskip(SKIP_3) | instid1(VALU_DEP_1)
	v_fmac_f32_e32 v1, v0, v2
	scratch_load_b32 v0, off, s32 offset:360 ; 4-byte Folded Reload
	s_waitcnt vmcnt(0)
	v_add_nc_u32_e32 v0, v0, v10
	v_cmp_lt_i32_e64 s1, v0, v135
	s_waitcnt lgkmcnt(0)
	v_add_nc_u32_e32 v0, s2, v13
	s_delay_alu instid0(VALU_DEP_2) | instskip(SKIP_2) | instid1(VALU_DEP_1)
	v_cndmask_b32_e64 v2, 0, v1, s1
	ds_store_b32 v0, v2
	v_max_f32_e32 v0, v19, v19
	v_max_f32_e32 v0, v0, v1
	s_delay_alu instid0(VALU_DEP_1)
	v_cndmask_b32_e64 v19, v19, v0, s1
.LBB258_15:                             ;   in Loop: Header=BB258_16 Depth=1
	s_or_b32 exec_lo, exec_lo, s22
	scratch_load_b32 v0, off, s32 offset:344 ; 4-byte Folded Reload
	v_add_nc_u32_e32 v20, 4, v20
	v_add_co_u32 v182, s2, v182, 16
	s_delay_alu instid0(VALU_DEP_1) | instskip(SKIP_4) | instid1(VALU_DEP_1)
	v_add_co_ci_u32_e64 v183, s2, 0, v183, s2
	v_add_nc_u32_e32 v10, 0x80, v10
	v_add_nc_u32_e32 v13, 0x200, v13
	s_waitcnt vmcnt(0)
	v_cmp_ge_i32_e64 s1, v20, v0
	s_or_b32 s21, s1, s21
	s_delay_alu instid0(SALU_CYCLE_1)
	s_and_not1_b32 exec_lo, exec_lo, s21
	s_cbranch_execz .LBB258_656
.LBB258_16:                             ; =>This Inner Loop Header: Depth=1
	s_clause 0x2
	scratch_load_b32 v1, off, s32 offset:348
	scratch_load_b32 v5, off, s32 offset:340
	;; [unrolled: 1-line block ×3, first 2 shown]
	v_sub_nc_u32_e32 v0, 0, v10
	s_delay_alu instid0(VALU_DEP_1) | instskip(SKIP_1) | instid1(VALU_DEP_1)
	v_max_i32_e32 v0, v10, v0
	s_waitcnt vmcnt(2)
	v_mul_hi_u32 v1, v0, v1
	s_waitcnt vmcnt(0)
	s_delay_alu instid0(VALU_DEP_1) | instskip(NEXT) | instid1(VALU_DEP_1)
	v_mul_lo_u32 v2, v1, v4
	v_sub_nc_u32_e32 v0, v0, v2
	v_add_nc_u32_e32 v2, 1, v1
	s_delay_alu instid0(VALU_DEP_2) | instskip(SKIP_1) | instid1(VALU_DEP_1)
	v_sub_nc_u32_e32 v3, v0, v4
	v_cmp_ge_u32_e64 s1, v0, v4
	v_cndmask_b32_e64 v1, v1, v2, s1
	s_delay_alu instid0(VALU_DEP_3) | instskip(SKIP_1) | instid1(VALU_DEP_3)
	v_cndmask_b32_e64 v0, v0, v3, s1
	v_ashrrev_i32_e32 v2, 31, v10
	v_add_nc_u32_e32 v3, 1, v1
	s_delay_alu instid0(VALU_DEP_3) | instskip(NEXT) | instid1(VALU_DEP_3)
	v_cmp_ge_u32_e64 s1, v0, v4
	v_xor_b32_e32 v2, v2, v5
	s_delay_alu instid0(VALU_DEP_2) | instskip(NEXT) | instid1(VALU_DEP_1)
	v_cndmask_b32_e64 v0, v1, v3, s1
	v_xor_b32_e32 v0, v0, v2
	s_delay_alu instid0(VALU_DEP_1) | instskip(SKIP_3) | instid1(VALU_DEP_1)
	v_sub_nc_u32_e32 v0, v0, v2
	scratch_load_b64 v[1:2], off, s32 offset:332 ; 8-byte Folded Reload
	s_waitcnt vmcnt(0)
	v_add_nc_u32_e32 v1, v0, v1
	v_sub_nc_u32_e32 v2, 0, v1
	s_delay_alu instid0(VALU_DEP_1) | instskip(SKIP_1) | instid1(VALU_DEP_2)
	v_max_i32_e32 v2, v1, v2
	v_ashrrev_i32_e32 v1, 31, v1
	v_mul_hi_u32 v3, v2, v147
	s_delay_alu instid0(VALU_DEP_1) | instskip(NEXT) | instid1(VALU_DEP_1)
	v_mul_lo_u32 v3, v3, v30
	v_sub_nc_u32_e32 v2, v2, v3
	s_delay_alu instid0(VALU_DEP_1) | instskip(SKIP_1) | instid1(VALU_DEP_1)
	v_sub_nc_u32_e32 v3, v2, v30
	v_cmp_ge_u32_e64 s1, v2, v30
	v_cndmask_b32_e64 v2, v2, v3, s1
	s_delay_alu instid0(VALU_DEP_1) | instskip(SKIP_1) | instid1(VALU_DEP_1)
	v_sub_nc_u32_e32 v3, v2, v30
	v_cmp_ge_u32_e64 s1, v2, v30
	v_cndmask_b32_e64 v2, v2, v3, s1
	s_delay_alu instid0(VALU_DEP_1) | instskip(NEXT) | instid1(VALU_DEP_1)
	v_xor_b32_e32 v2, v2, v1
	v_sub_nc_u32_e32 v1, v2, v1
	s_delay_alu instid0(VALU_DEP_1) | instskip(SKIP_3) | instid1(VALU_DEP_1)
	v_cmp_ne_u32_e64 s1, 0, v1
	scratch_load_b32 v1, off, s32 offset:352 ; 4-byte Folded Reload
	s_waitcnt vmcnt(0)
	v_cmp_le_i32_e64 s2, v0, v1
	s_and_b32 s1, s1, s2
	s_delay_alu instid0(SALU_CYCLE_1) | instskip(NEXT) | instid1(SALU_CYCLE_1)
	s_and_saveexec_b32 s2, s1
	s_xor_b32 s1, exec_lo, s2
	s_cbranch_execz .LBB258_18
; %bb.17:                               ;   in Loop: Header=BB258_16 Depth=1
	s_waitcnt lgkmcnt(0)
	v_dual_mov_b32 v1, 0xff7fffff :: v_dual_add_nc_u32 v0, s7, v13
	ds_store_b32 v0, v1
.LBB258_18:                             ;   in Loop: Header=BB258_16 Depth=1
	s_and_not1_saveexec_b32 s22, s1
	s_cbranch_execz .LBB258_15
; %bb.19:                               ;   in Loop: Header=BB258_16 Depth=1
	flat_load_b32 v0, v[182:183]
	s_clause 0x1
	scratch_load_b32 v1, off, s32 offset:356
	scratch_load_b64 v[2:3], off, s32 offset:532
	v_dual_mov_b32 v146, v19 :: v_dual_mov_b32 v41, 0
	s_mov_b32 s2, exec_lo
	s_waitcnt vmcnt(0) lgkmcnt(0)
	v_mad_i64_i32 v[72:73], null, v0, v1, v[2:3]
	flat_load_b32 v0, v[72:73]
	scratch_load_b64 v[1:2], off, s32 offset:372 ; 8-byte Folded Reload
	v_mov_b32_e32 v42, 0
	s_waitcnt vmcnt(0)
	flat_load_b32 v25, v[1:2]
	s_waitcnt lgkmcnt(1)
	v_and_b32_e32 v1, 0xff, v0
	v_dual_mov_b32 v39, v41 :: v_dual_mov_b32 v40, v42
	s_delay_alu instid0(VALU_DEP_2)
	v_cmpx_ne_u16_e32 0, v1
	s_cbranch_execz .LBB258_27
; %bb.20:                               ;   in Loop: Header=BB258_16 Depth=1
	v_bfrev_b32_e32 v39, 1
	v_mov_b32_e32 v40, 0
	s_mov_b32 s23, exec_lo
	v_cmpx_ne_u16_e32 0x80, v1
	s_cbranch_execz .LBB258_26
; %bb.21:                               ;   in Loop: Header=BB258_16 Depth=1
	v_mov_b32_e32 v39, 0x7f800001
	v_and_b32_e32 v2, 0x7f, v0
	v_mov_b32_e32 v40, 0
	s_mov_b32 s24, exec_lo
	s_delay_alu instid0(VALU_DEP_2)
	v_cmpx_ne_u32_e32 0x7f, v2
	s_cbranch_execz .LBB258_25
; %bb.22:                               ;   in Loop: Header=BB258_16 Depth=1
	v_and_b32_e32 v28, 7, v0
	v_lshrrev_b32_e32 v1, 3, v2
	s_mov_b32 s25, exec_lo
	v_cmpx_gt_u32_e32 8, v2
; %bb.23:                               ;   in Loop: Header=BB258_16 Depth=1
	s_delay_alu instid0(VALU_DEP_3) | instskip(NEXT) | instid1(VALU_DEP_1)
	v_clz_i32_u32_e32 v1, v28
	v_min_u32_e32 v1, 32, v1
	s_delay_alu instid0(VALU_DEP_1) | instskip(SKIP_1) | instid1(VALU_DEP_2)
	v_subrev_nc_u32_e32 v2, 28, v1
	v_sub_nc_u32_e32 v1, 29, v1
	v_lshlrev_b64 v[2:3], v2, v[28:29]
	s_delay_alu instid0(VALU_DEP_1)
	v_and_b32_e32 v28, 7, v2
; %bb.24:                               ;   in Loop: Header=BB258_16 Depth=1
	s_or_b32 exec_lo, exec_lo, s25
	v_lshlrev_b32_e32 v2, 24, v0
	s_delay_alu instid0(VALU_DEP_2) | instskip(SKIP_1) | instid1(VALU_DEP_3)
	v_lshlrev_b32_e32 v3, 20, v28
	v_lshl_add_u32 v1, v1, 23, 0x3c000000
	v_and_b32_e32 v2, 0x80000000, v2
	s_delay_alu instid0(VALU_DEP_1) | instskip(NEXT) | instid1(VALU_DEP_1)
	v_or3_b32 v28, v3, v2, v1
	v_dual_mov_b32 v40, v29 :: v_dual_mov_b32 v39, v28
.LBB258_25:                             ;   in Loop: Header=BB258_16 Depth=1
	s_or_b32 exec_lo, exec_lo, s24
.LBB258_26:                             ;   in Loop: Header=BB258_16 Depth=1
	s_delay_alu instid0(SALU_CYCLE_1)
	s_or_b32 exec_lo, exec_lo, s23
.LBB258_27:                             ;   in Loop: Header=BB258_16 Depth=1
	s_delay_alu instid0(SALU_CYCLE_1) | instskip(SKIP_2) | instid1(VALU_DEP_1)
	s_or_b32 exec_lo, exec_lo, s2
	v_lshrrev_b16 v1, 8, v0
	s_mov_b32 s23, exec_lo
	v_cmpx_ne_u16_e32 0, v1
	s_cbranch_execz .LBB258_35
; %bb.28:                               ;   in Loop: Header=BB258_16 Depth=1
	v_dual_mov_b32 v42, s17 :: v_dual_mov_b32 v41, s16
	s_mov_b32 s24, exec_lo
	v_cmpx_ne_u16_e32 0x80, v1
	s_cbranch_execz .LBB258_34
; %bb.29:                               ;   in Loop: Header=BB258_16 Depth=1
	s_mov_b32 s2, s16
	v_dual_mov_b32 v42, s3 :: v_dual_and_b32 v1, 0xffff, v1
	v_mov_b32_e32 v41, s2
	s_mov_b32 s2, exec_lo
	s_delay_alu instid0(VALU_DEP_2) | instskip(NEXT) | instid1(VALU_DEP_1)
	v_and_b32_e32 v2, 0x7f, v1
	v_cmpx_ne_u32_e32 0x7f, v2
	s_cbranch_execz .LBB258_33
; %bb.30:                               ;   in Loop: Header=BB258_16 Depth=1
	v_and_b32_e32 v28, 7, v1
	v_lshrrev_b32_e32 v1, 3, v2
	s_mov_b32 s25, exec_lo
	v_cmpx_gt_u32_e32 8, v2
; %bb.31:                               ;   in Loop: Header=BB258_16 Depth=1
	s_delay_alu instid0(VALU_DEP_3) | instskip(NEXT) | instid1(VALU_DEP_1)
	v_clz_i32_u32_e32 v1, v28
	v_min_u32_e32 v1, 32, v1
	s_delay_alu instid0(VALU_DEP_1) | instskip(SKIP_1) | instid1(VALU_DEP_2)
	v_subrev_nc_u32_e32 v2, 28, v1
	v_sub_nc_u32_e32 v1, 29, v1
	v_lshlrev_b64 v[2:3], v2, v[28:29]
	s_delay_alu instid0(VALU_DEP_1)
	v_and_b32_e32 v28, 7, v2
; %bb.32:                               ;   in Loop: Header=BB258_16 Depth=1
	s_or_b32 exec_lo, exec_lo, s25
	v_dual_mov_b32 v41, v29 :: v_dual_lshlrev_b32 v2, 16, v0
	s_delay_alu instid0(VALU_DEP_2) | instskip(SKIP_1) | instid1(VALU_DEP_3)
	v_lshlrev_b32_e32 v3, 20, v28
	v_lshl_add_u32 v1, v1, 23, 0x3c000000
	v_and_b32_e32 v2, 0x80000000, v2
	s_delay_alu instid0(VALU_DEP_1)
	v_or3_b32 v42, v3, v2, v1
.LBB258_33:                             ;   in Loop: Header=BB258_16 Depth=1
	s_or_b32 exec_lo, exec_lo, s2
.LBB258_34:                             ;   in Loop: Header=BB258_16 Depth=1
	s_delay_alu instid0(SALU_CYCLE_1)
	s_or_b32 exec_lo, exec_lo, s24
.LBB258_35:                             ;   in Loop: Header=BB258_16 Depth=1
	s_delay_alu instid0(SALU_CYCLE_1) | instskip(SKIP_3) | instid1(VALU_DEP_2)
	s_or_b32 exec_lo, exec_lo, s23
	v_lshrrev_b32_e32 v1, 16, v0
	v_mov_b32_e32 v45, 0
	v_mov_b32_e32 v46, 0
	;; [unrolled: 1-line block ×3, first 2 shown]
	s_mov_b32 s2, exec_lo
	v_and_b32_e32 v2, 0xff, v1
	s_delay_alu instid0(VALU_DEP_3) | instskip(NEXT) | instid1(VALU_DEP_2)
	v_mov_b32_e32 v44, v46
	v_cmpx_ne_u16_e32 0, v2
	s_cbranch_execz .LBB258_43
; %bb.36:                               ;   in Loop: Header=BB258_16 Depth=1
	v_bfrev_b32_e32 v43, 1
	v_mov_b32_e32 v44, 0
	s_mov_b32 s23, exec_lo
	v_cmpx_ne_u16_e32 0x80, v2
	s_cbranch_execz .LBB258_42
; %bb.37:                               ;   in Loop: Header=BB258_16 Depth=1
	v_mov_b32_e32 v43, 0x7f800001
	v_bfe_u32 v3, v0, 16, 7
	v_mov_b32_e32 v44, 0
	s_mov_b32 s24, exec_lo
	s_delay_alu instid0(VALU_DEP_2)
	v_cmpx_ne_u32_e32 0x7f, v3
	s_cbranch_execz .LBB258_41
; %bb.38:                               ;   in Loop: Header=BB258_16 Depth=1
	v_and_b32_e32 v28, 7, v1
	v_lshrrev_b32_e32 v2, 3, v3
	s_mov_b32 s25, exec_lo
	v_cmpx_gt_u32_e32 8, v3
; %bb.39:                               ;   in Loop: Header=BB258_16 Depth=1
	s_delay_alu instid0(VALU_DEP_3) | instskip(NEXT) | instid1(VALU_DEP_1)
	v_clz_i32_u32_e32 v2, v28
	v_min_u32_e32 v2, 32, v2
	s_delay_alu instid0(VALU_DEP_1) | instskip(SKIP_1) | instid1(VALU_DEP_2)
	v_subrev_nc_u32_e32 v3, 28, v2
	v_sub_nc_u32_e32 v2, 29, v2
	v_lshlrev_b64 v[3:4], v3, v[28:29]
	s_delay_alu instid0(VALU_DEP_1)
	v_and_b32_e32 v28, 7, v3
; %bb.40:                               ;   in Loop: Header=BB258_16 Depth=1
	s_or_b32 exec_lo, exec_lo, s25
	v_lshlrev_b32_e32 v1, 24, v1
	s_delay_alu instid0(VALU_DEP_2) | instskip(SKIP_1) | instid1(VALU_DEP_3)
	v_lshlrev_b32_e32 v3, 20, v28
	v_lshl_add_u32 v2, v2, 23, 0x3c000000
	v_and_b32_e32 v1, 0x80000000, v1
	s_delay_alu instid0(VALU_DEP_1) | instskip(NEXT) | instid1(VALU_DEP_1)
	v_or3_b32 v28, v3, v1, v2
	v_dual_mov_b32 v44, v29 :: v_dual_mov_b32 v43, v28
.LBB258_41:                             ;   in Loop: Header=BB258_16 Depth=1
	s_or_b32 exec_lo, exec_lo, s24
.LBB258_42:                             ;   in Loop: Header=BB258_16 Depth=1
	s_delay_alu instid0(SALU_CYCLE_1)
	s_or_b32 exec_lo, exec_lo, s23
.LBB258_43:                             ;   in Loop: Header=BB258_16 Depth=1
	s_delay_alu instid0(SALU_CYCLE_1) | instskip(NEXT) | instid1(SALU_CYCLE_1)
	s_or_b32 exec_lo, exec_lo, s2
	s_mov_b32 s23, exec_lo
	v_cmpx_lt_u32_e32 0xffffff, v0
	s_cbranch_execz .LBB258_51
; %bb.44:                               ;   in Loop: Header=BB258_16 Depth=1
	v_lshrrev_b32_e32 v1, 24, v0
	v_dual_mov_b32 v46, s17 :: v_dual_mov_b32 v45, s16
	s_mov_b32 s24, exec_lo
	s_delay_alu instid0(VALU_DEP_2)
	v_cmpx_ne_u32_e32 0x80, v1
	s_cbranch_execz .LBB258_50
; %bb.45:                               ;   in Loop: Header=BB258_16 Depth=1
	s_mov_b32 s2, s16
	v_bfe_u32 v2, v0, 24, 7
	v_dual_mov_b32 v46, s3 :: v_dual_mov_b32 v45, s2
	s_mov_b32 s2, exec_lo
	s_delay_alu instid0(VALU_DEP_2)
	v_cmpx_ne_u32_e32 0x7f, v2
	s_cbranch_execz .LBB258_49
; %bb.46:                               ;   in Loop: Header=BB258_16 Depth=1
	v_and_b32_e32 v28, 7, v1
	v_lshrrev_b32_e32 v0, 3, v2
	s_mov_b32 s25, exec_lo
	v_cmpx_gt_u32_e32 8, v2
; %bb.47:                               ;   in Loop: Header=BB258_16 Depth=1
	s_delay_alu instid0(VALU_DEP_3) | instskip(NEXT) | instid1(VALU_DEP_1)
	v_clz_i32_u32_e32 v0, v28
	v_min_u32_e32 v0, 32, v0
	s_delay_alu instid0(VALU_DEP_1) | instskip(SKIP_1) | instid1(VALU_DEP_2)
	v_subrev_nc_u32_e32 v2, 28, v0
	v_sub_nc_u32_e32 v0, 29, v0
	v_lshlrev_b64 v[2:3], v2, v[28:29]
	s_delay_alu instid0(VALU_DEP_1)
	v_and_b32_e32 v28, 7, v2
; %bb.48:                               ;   in Loop: Header=BB258_16 Depth=1
	s_or_b32 exec_lo, exec_lo, s25
	v_lshlrev_b32_e32 v1, 24, v1
	s_delay_alu instid0(VALU_DEP_2) | instskip(SKIP_1) | instid1(VALU_DEP_3)
	v_dual_mov_b32 v45, v29 :: v_dual_lshlrev_b32 v2, 20, v28
	v_lshl_add_u32 v0, v0, 23, 0x3c000000
	v_and_b32_e32 v1, 0x80000000, v1
	s_delay_alu instid0(VALU_DEP_1)
	v_or3_b32 v46, v2, v1, v0
.LBB258_49:                             ;   in Loop: Header=BB258_16 Depth=1
	s_or_b32 exec_lo, exec_lo, s2
.LBB258_50:                             ;   in Loop: Header=BB258_16 Depth=1
	s_delay_alu instid0(SALU_CYCLE_1)
	s_or_b32 exec_lo, exec_lo, s24
.LBB258_51:                             ;   in Loop: Header=BB258_16 Depth=1
	s_delay_alu instid0(SALU_CYCLE_1) | instskip(SKIP_3) | instid1(VALU_DEP_2)
	s_or_b32 exec_lo, exec_lo, s23
	flat_load_b32 v0, v[72:73] offset:4
	v_mov_b32_e32 v58, 0
	v_mov_b32_e32 v59, 0
	;; [unrolled: 1-line block ×3, first 2 shown]
	s_mov_b32 s2, exec_lo
	s_delay_alu instid0(VALU_DEP_2) | instskip(SKIP_2) | instid1(VALU_DEP_1)
	v_mov_b32_e32 v57, v59
	s_waitcnt vmcnt(0) lgkmcnt(0)
	v_and_b32_e32 v1, 0xff, v0
	v_cmpx_ne_u16_e32 0, v1
	s_cbranch_execz .LBB258_59
; %bb.52:                               ;   in Loop: Header=BB258_16 Depth=1
	v_bfrev_b32_e32 v56, 1
	v_mov_b32_e32 v57, 0
	s_mov_b32 s23, exec_lo
	v_cmpx_ne_u16_e32 0x80, v1
	s_cbranch_execz .LBB258_58
; %bb.53:                               ;   in Loop: Header=BB258_16 Depth=1
	v_mov_b32_e32 v56, 0x7f800001
	v_dual_mov_b32 v57, 0 :: v_dual_and_b32 v2, 0x7f, v0
	s_mov_b32 s24, exec_lo
	s_delay_alu instid0(VALU_DEP_1)
	v_cmpx_ne_u32_e32 0x7f, v2
	s_cbranch_execz .LBB258_57
; %bb.54:                               ;   in Loop: Header=BB258_16 Depth=1
	v_and_b32_e32 v28, 7, v0
	v_lshrrev_b32_e32 v1, 3, v2
	s_mov_b32 s25, exec_lo
	v_cmpx_gt_u32_e32 8, v2
; %bb.55:                               ;   in Loop: Header=BB258_16 Depth=1
	s_delay_alu instid0(VALU_DEP_3) | instskip(NEXT) | instid1(VALU_DEP_1)
	v_clz_i32_u32_e32 v1, v28
	v_min_u32_e32 v1, 32, v1
	s_delay_alu instid0(VALU_DEP_1) | instskip(SKIP_1) | instid1(VALU_DEP_2)
	v_subrev_nc_u32_e32 v2, 28, v1
	v_sub_nc_u32_e32 v1, 29, v1
	v_lshlrev_b64 v[2:3], v2, v[28:29]
	s_delay_alu instid0(VALU_DEP_1)
	v_and_b32_e32 v28, 7, v2
; %bb.56:                               ;   in Loop: Header=BB258_16 Depth=1
	s_or_b32 exec_lo, exec_lo, s25
	v_lshlrev_b32_e32 v2, 24, v0
	s_delay_alu instid0(VALU_DEP_2) | instskip(SKIP_1) | instid1(VALU_DEP_3)
	v_lshlrev_b32_e32 v3, 20, v28
	v_lshl_add_u32 v1, v1, 23, 0x3c000000
	v_and_b32_e32 v2, 0x80000000, v2
	s_delay_alu instid0(VALU_DEP_1) | instskip(NEXT) | instid1(VALU_DEP_1)
	v_or3_b32 v28, v3, v2, v1
	v_dual_mov_b32 v57, v29 :: v_dual_mov_b32 v56, v28
.LBB258_57:                             ;   in Loop: Header=BB258_16 Depth=1
	s_or_b32 exec_lo, exec_lo, s24
.LBB258_58:                             ;   in Loop: Header=BB258_16 Depth=1
	s_delay_alu instid0(SALU_CYCLE_1)
	s_or_b32 exec_lo, exec_lo, s23
.LBB258_59:                             ;   in Loop: Header=BB258_16 Depth=1
	s_delay_alu instid0(SALU_CYCLE_1) | instskip(SKIP_2) | instid1(VALU_DEP_1)
	s_or_b32 exec_lo, exec_lo, s2
	v_lshrrev_b16 v1, 8, v0
	s_mov_b32 s23, exec_lo
	v_cmpx_ne_u16_e32 0, v1
	s_cbranch_execz .LBB258_67
; %bb.60:                               ;   in Loop: Header=BB258_16 Depth=1
	v_dual_mov_b32 v59, s17 :: v_dual_mov_b32 v58, s16
	s_mov_b32 s24, exec_lo
	v_cmpx_ne_u16_e32 0x80, v1
	s_cbranch_execz .LBB258_66
; %bb.61:                               ;   in Loop: Header=BB258_16 Depth=1
	s_mov_b32 s2, s16
	v_and_b32_e32 v1, 0xffff, v1
	v_dual_mov_b32 v59, s3 :: v_dual_mov_b32 v58, s2
	s_mov_b32 s2, exec_lo
	s_delay_alu instid0(VALU_DEP_2) | instskip(NEXT) | instid1(VALU_DEP_1)
	v_and_b32_e32 v2, 0x7f, v1
	v_cmpx_ne_u32_e32 0x7f, v2
	s_cbranch_execz .LBB258_65
; %bb.62:                               ;   in Loop: Header=BB258_16 Depth=1
	v_and_b32_e32 v28, 7, v1
	v_lshrrev_b32_e32 v1, 3, v2
	s_mov_b32 s25, exec_lo
	v_cmpx_gt_u32_e32 8, v2
; %bb.63:                               ;   in Loop: Header=BB258_16 Depth=1
	s_delay_alu instid0(VALU_DEP_3) | instskip(NEXT) | instid1(VALU_DEP_1)
	v_clz_i32_u32_e32 v1, v28
	v_min_u32_e32 v1, 32, v1
	s_delay_alu instid0(VALU_DEP_1) | instskip(SKIP_1) | instid1(VALU_DEP_2)
	v_subrev_nc_u32_e32 v2, 28, v1
	v_sub_nc_u32_e32 v1, 29, v1
	v_lshlrev_b64 v[2:3], v2, v[28:29]
	s_delay_alu instid0(VALU_DEP_1)
	v_and_b32_e32 v28, 7, v2
; %bb.64:                               ;   in Loop: Header=BB258_16 Depth=1
	s_or_b32 exec_lo, exec_lo, s25
	v_lshlrev_b32_e32 v2, 16, v0
	s_delay_alu instid0(VALU_DEP_2) | instskip(SKIP_1) | instid1(VALU_DEP_3)
	v_dual_mov_b32 v58, v29 :: v_dual_lshlrev_b32 v3, 20, v28
	v_lshl_add_u32 v1, v1, 23, 0x3c000000
	v_and_b32_e32 v2, 0x80000000, v2
	s_delay_alu instid0(VALU_DEP_1)
	v_or3_b32 v59, v3, v2, v1
.LBB258_65:                             ;   in Loop: Header=BB258_16 Depth=1
	s_or_b32 exec_lo, exec_lo, s2
.LBB258_66:                             ;   in Loop: Header=BB258_16 Depth=1
	s_delay_alu instid0(SALU_CYCLE_1)
	s_or_b32 exec_lo, exec_lo, s24
.LBB258_67:                             ;   in Loop: Header=BB258_16 Depth=1
	s_delay_alu instid0(SALU_CYCLE_1) | instskip(SKIP_4) | instid1(VALU_DEP_2)
	s_or_b32 exec_lo, exec_lo, s23
	v_mov_b32_e32 v62, 0
	v_lshrrev_b32_e32 v1, 16, v0
	v_mov_b32_e32 v63, 0
	s_mov_b32 s2, exec_lo
	v_and_b32_e32 v2, 0xff, v1
	s_delay_alu instid0(VALU_DEP_2) | instskip(NEXT) | instid1(VALU_DEP_2)
	v_dual_mov_b32 v60, v62 :: v_dual_mov_b32 v61, v63
	v_cmpx_ne_u16_e32 0, v2
	s_cbranch_execz .LBB258_75
; %bb.68:                               ;   in Loop: Header=BB258_16 Depth=1
	v_bfrev_b32_e32 v60, 1
	v_mov_b32_e32 v61, 0
	s_mov_b32 s23, exec_lo
	v_cmpx_ne_u16_e32 0x80, v2
	s_cbranch_execz .LBB258_74
; %bb.69:                               ;   in Loop: Header=BB258_16 Depth=1
	v_mov_b32_e32 v60, 0x7f800001
	v_bfe_u32 v3, v0, 16, 7
	v_mov_b32_e32 v61, 0
	s_mov_b32 s24, exec_lo
	s_delay_alu instid0(VALU_DEP_2)
	v_cmpx_ne_u32_e32 0x7f, v3
	s_cbranch_execz .LBB258_73
; %bb.70:                               ;   in Loop: Header=BB258_16 Depth=1
	v_and_b32_e32 v28, 7, v1
	v_lshrrev_b32_e32 v2, 3, v3
	s_mov_b32 s25, exec_lo
	v_cmpx_gt_u32_e32 8, v3
; %bb.71:                               ;   in Loop: Header=BB258_16 Depth=1
	s_delay_alu instid0(VALU_DEP_3) | instskip(NEXT) | instid1(VALU_DEP_1)
	v_clz_i32_u32_e32 v2, v28
	v_min_u32_e32 v2, 32, v2
	s_delay_alu instid0(VALU_DEP_1) | instskip(SKIP_1) | instid1(VALU_DEP_2)
	v_subrev_nc_u32_e32 v3, 28, v2
	v_sub_nc_u32_e32 v2, 29, v2
	v_lshlrev_b64 v[3:4], v3, v[28:29]
	s_delay_alu instid0(VALU_DEP_1)
	v_and_b32_e32 v28, 7, v3
; %bb.72:                               ;   in Loop: Header=BB258_16 Depth=1
	s_or_b32 exec_lo, exec_lo, s25
	v_lshlrev_b32_e32 v1, 24, v1
	s_delay_alu instid0(VALU_DEP_2) | instskip(SKIP_1) | instid1(VALU_DEP_3)
	v_lshlrev_b32_e32 v3, 20, v28
	v_lshl_add_u32 v2, v2, 23, 0x3c000000
	v_and_b32_e32 v1, 0x80000000, v1
	s_delay_alu instid0(VALU_DEP_1) | instskip(NEXT) | instid1(VALU_DEP_1)
	v_or3_b32 v28, v3, v1, v2
	v_dual_mov_b32 v61, v29 :: v_dual_mov_b32 v60, v28
.LBB258_73:                             ;   in Loop: Header=BB258_16 Depth=1
	s_or_b32 exec_lo, exec_lo, s24
.LBB258_74:                             ;   in Loop: Header=BB258_16 Depth=1
	s_delay_alu instid0(SALU_CYCLE_1)
	s_or_b32 exec_lo, exec_lo, s23
.LBB258_75:                             ;   in Loop: Header=BB258_16 Depth=1
	s_delay_alu instid0(SALU_CYCLE_1) | instskip(NEXT) | instid1(SALU_CYCLE_1)
	s_or_b32 exec_lo, exec_lo, s2
	s_mov_b32 s23, exec_lo
	v_cmpx_lt_u32_e32 0xffffff, v0
	s_cbranch_execz .LBB258_83
; %bb.76:                               ;   in Loop: Header=BB258_16 Depth=1
	v_lshrrev_b32_e32 v1, 24, v0
	v_dual_mov_b32 v63, s17 :: v_dual_mov_b32 v62, s16
	s_mov_b32 s24, exec_lo
	s_delay_alu instid0(VALU_DEP_2)
	v_cmpx_ne_u32_e32 0x80, v1
	s_cbranch_execz .LBB258_82
; %bb.77:                               ;   in Loop: Header=BB258_16 Depth=1
	s_mov_b32 s2, s16
	v_bfe_u32 v2, v0, 24, 7
	v_dual_mov_b32 v63, s3 :: v_dual_mov_b32 v62, s2
	s_mov_b32 s2, exec_lo
	s_delay_alu instid0(VALU_DEP_2)
	v_cmpx_ne_u32_e32 0x7f, v2
	s_cbranch_execz .LBB258_81
; %bb.78:                               ;   in Loop: Header=BB258_16 Depth=1
	v_and_b32_e32 v28, 7, v1
	v_lshrrev_b32_e32 v0, 3, v2
	s_mov_b32 s25, exec_lo
	v_cmpx_gt_u32_e32 8, v2
; %bb.79:                               ;   in Loop: Header=BB258_16 Depth=1
	s_delay_alu instid0(VALU_DEP_3) | instskip(NEXT) | instid1(VALU_DEP_1)
	v_clz_i32_u32_e32 v0, v28
	v_min_u32_e32 v0, 32, v0
	s_delay_alu instid0(VALU_DEP_1) | instskip(SKIP_1) | instid1(VALU_DEP_2)
	v_subrev_nc_u32_e32 v2, 28, v0
	v_sub_nc_u32_e32 v0, 29, v0
	v_lshlrev_b64 v[2:3], v2, v[28:29]
	s_delay_alu instid0(VALU_DEP_1)
	v_and_b32_e32 v28, 7, v2
; %bb.80:                               ;   in Loop: Header=BB258_16 Depth=1
	s_or_b32 exec_lo, exec_lo, s25
	v_dual_mov_b32 v62, v29 :: v_dual_lshlrev_b32 v1, 24, v1
	s_delay_alu instid0(VALU_DEP_2) | instskip(SKIP_1) | instid1(VALU_DEP_3)
	v_lshlrev_b32_e32 v2, 20, v28
	v_lshl_add_u32 v0, v0, 23, 0x3c000000
	v_and_b32_e32 v1, 0x80000000, v1
	s_delay_alu instid0(VALU_DEP_1)
	v_or3_b32 v63, v2, v1, v0
.LBB258_81:                             ;   in Loop: Header=BB258_16 Depth=1
	s_or_b32 exec_lo, exec_lo, s2
.LBB258_82:                             ;   in Loop: Header=BB258_16 Depth=1
	s_delay_alu instid0(SALU_CYCLE_1)
	s_or_b32 exec_lo, exec_lo, s24
.LBB258_83:                             ;   in Loop: Header=BB258_16 Depth=1
	s_delay_alu instid0(SALU_CYCLE_1) | instskip(SKIP_3) | instid1(VALU_DEP_2)
	s_or_b32 exec_lo, exec_lo, s23
	flat_load_b32 v0, v[72:73] offset:8
	v_mov_b32_e32 v76, 0
	v_mov_b32_e32 v77, 0
	;; [unrolled: 1-line block ×3, first 2 shown]
	s_mov_b32 s2, exec_lo
	s_delay_alu instid0(VALU_DEP_2) | instskip(SKIP_2) | instid1(VALU_DEP_1)
	v_mov_b32_e32 v75, v77
	s_waitcnt vmcnt(0) lgkmcnt(0)
	v_and_b32_e32 v1, 0xff, v0
	v_cmpx_ne_u16_e32 0, v1
	s_cbranch_execz .LBB258_91
; %bb.84:                               ;   in Loop: Header=BB258_16 Depth=1
	v_bfrev_b32_e32 v74, 1
	v_mov_b32_e32 v75, 0
	s_mov_b32 s23, exec_lo
	v_cmpx_ne_u16_e32 0x80, v1
	s_cbranch_execz .LBB258_90
; %bb.85:                               ;   in Loop: Header=BB258_16 Depth=1
	v_mov_b32_e32 v74, 0x7f800001
	v_dual_mov_b32 v75, 0 :: v_dual_and_b32 v2, 0x7f, v0
	s_mov_b32 s24, exec_lo
	s_delay_alu instid0(VALU_DEP_1)
	v_cmpx_ne_u32_e32 0x7f, v2
	s_cbranch_execz .LBB258_89
; %bb.86:                               ;   in Loop: Header=BB258_16 Depth=1
	v_and_b32_e32 v28, 7, v0
	v_lshrrev_b32_e32 v1, 3, v2
	s_mov_b32 s25, exec_lo
	v_cmpx_gt_u32_e32 8, v2
; %bb.87:                               ;   in Loop: Header=BB258_16 Depth=1
	s_delay_alu instid0(VALU_DEP_3) | instskip(NEXT) | instid1(VALU_DEP_1)
	v_clz_i32_u32_e32 v1, v28
	v_min_u32_e32 v1, 32, v1
	s_delay_alu instid0(VALU_DEP_1) | instskip(SKIP_1) | instid1(VALU_DEP_2)
	v_subrev_nc_u32_e32 v2, 28, v1
	v_sub_nc_u32_e32 v1, 29, v1
	v_lshlrev_b64 v[2:3], v2, v[28:29]
	s_delay_alu instid0(VALU_DEP_1)
	v_and_b32_e32 v28, 7, v2
; %bb.88:                               ;   in Loop: Header=BB258_16 Depth=1
	s_or_b32 exec_lo, exec_lo, s25
	v_lshlrev_b32_e32 v2, 24, v0
	s_delay_alu instid0(VALU_DEP_2) | instskip(SKIP_1) | instid1(VALU_DEP_3)
	v_lshlrev_b32_e32 v3, 20, v28
	v_lshl_add_u32 v1, v1, 23, 0x3c000000
	v_and_b32_e32 v2, 0x80000000, v2
	s_delay_alu instid0(VALU_DEP_1) | instskip(NEXT) | instid1(VALU_DEP_1)
	v_or3_b32 v28, v3, v2, v1
	v_dual_mov_b32 v75, v29 :: v_dual_mov_b32 v74, v28
.LBB258_89:                             ;   in Loop: Header=BB258_16 Depth=1
	s_or_b32 exec_lo, exec_lo, s24
.LBB258_90:                             ;   in Loop: Header=BB258_16 Depth=1
	s_delay_alu instid0(SALU_CYCLE_1)
	s_or_b32 exec_lo, exec_lo, s23
.LBB258_91:                             ;   in Loop: Header=BB258_16 Depth=1
	s_delay_alu instid0(SALU_CYCLE_1) | instskip(SKIP_2) | instid1(VALU_DEP_1)
	s_or_b32 exec_lo, exec_lo, s2
	v_lshrrev_b16 v1, 8, v0
	s_mov_b32 s23, exec_lo
	v_cmpx_ne_u16_e32 0, v1
	s_cbranch_execz .LBB258_99
; %bb.92:                               ;   in Loop: Header=BB258_16 Depth=1
	v_dual_mov_b32 v77, s17 :: v_dual_mov_b32 v76, s16
	s_mov_b32 s24, exec_lo
	v_cmpx_ne_u16_e32 0x80, v1
	s_cbranch_execz .LBB258_98
; %bb.93:                               ;   in Loop: Header=BB258_16 Depth=1
	s_mov_b32 s2, s16
	v_and_b32_e32 v1, 0xffff, v1
	v_dual_mov_b32 v77, s3 :: v_dual_mov_b32 v76, s2
	s_mov_b32 s2, exec_lo
	s_delay_alu instid0(VALU_DEP_2) | instskip(NEXT) | instid1(VALU_DEP_1)
	v_and_b32_e32 v2, 0x7f, v1
	v_cmpx_ne_u32_e32 0x7f, v2
	s_cbranch_execz .LBB258_97
; %bb.94:                               ;   in Loop: Header=BB258_16 Depth=1
	v_and_b32_e32 v28, 7, v1
	v_lshrrev_b32_e32 v1, 3, v2
	s_mov_b32 s25, exec_lo
	v_cmpx_gt_u32_e32 8, v2
; %bb.95:                               ;   in Loop: Header=BB258_16 Depth=1
	s_delay_alu instid0(VALU_DEP_3) | instskip(NEXT) | instid1(VALU_DEP_1)
	v_clz_i32_u32_e32 v1, v28
	v_min_u32_e32 v1, 32, v1
	s_delay_alu instid0(VALU_DEP_1) | instskip(SKIP_1) | instid1(VALU_DEP_2)
	v_subrev_nc_u32_e32 v2, 28, v1
	v_sub_nc_u32_e32 v1, 29, v1
	v_lshlrev_b64 v[2:3], v2, v[28:29]
	s_delay_alu instid0(VALU_DEP_1)
	v_and_b32_e32 v28, 7, v2
; %bb.96:                               ;   in Loop: Header=BB258_16 Depth=1
	s_or_b32 exec_lo, exec_lo, s25
	v_lshlrev_b32_e32 v2, 16, v0
	s_delay_alu instid0(VALU_DEP_2) | instskip(SKIP_1) | instid1(VALU_DEP_3)
	v_dual_mov_b32 v76, v29 :: v_dual_lshlrev_b32 v3, 20, v28
	v_lshl_add_u32 v1, v1, 23, 0x3c000000
	v_and_b32_e32 v2, 0x80000000, v2
	s_delay_alu instid0(VALU_DEP_1)
	v_or3_b32 v77, v3, v2, v1
.LBB258_97:                             ;   in Loop: Header=BB258_16 Depth=1
	s_or_b32 exec_lo, exec_lo, s2
.LBB258_98:                             ;   in Loop: Header=BB258_16 Depth=1
	s_delay_alu instid0(SALU_CYCLE_1)
	s_or_b32 exec_lo, exec_lo, s24
.LBB258_99:                             ;   in Loop: Header=BB258_16 Depth=1
	s_delay_alu instid0(SALU_CYCLE_1) | instskip(SKIP_4) | instid1(VALU_DEP_2)
	s_or_b32 exec_lo, exec_lo, s23
	v_mov_b32_e32 v88, 0
	v_lshrrev_b32_e32 v1, 16, v0
	v_mov_b32_e32 v89, 0
	s_mov_b32 s2, exec_lo
	v_and_b32_e32 v2, 0xff, v1
	s_delay_alu instid0(VALU_DEP_2) | instskip(NEXT) | instid1(VALU_DEP_2)
	v_dual_mov_b32 v78, v88 :: v_dual_mov_b32 v79, v89
	v_cmpx_ne_u16_e32 0, v2
	s_cbranch_execz .LBB258_107
; %bb.100:                              ;   in Loop: Header=BB258_16 Depth=1
	v_bfrev_b32_e32 v78, 1
	v_mov_b32_e32 v79, 0
	s_mov_b32 s23, exec_lo
	v_cmpx_ne_u16_e32 0x80, v2
	s_cbranch_execz .LBB258_106
; %bb.101:                              ;   in Loop: Header=BB258_16 Depth=1
	v_mov_b32_e32 v78, 0x7f800001
	v_bfe_u32 v3, v0, 16, 7
	v_mov_b32_e32 v79, 0
	s_mov_b32 s24, exec_lo
	s_delay_alu instid0(VALU_DEP_2)
	v_cmpx_ne_u32_e32 0x7f, v3
	s_cbranch_execz .LBB258_105
; %bb.102:                              ;   in Loop: Header=BB258_16 Depth=1
	v_and_b32_e32 v28, 7, v1
	v_lshrrev_b32_e32 v2, 3, v3
	s_mov_b32 s25, exec_lo
	v_cmpx_gt_u32_e32 8, v3
; %bb.103:                              ;   in Loop: Header=BB258_16 Depth=1
	s_delay_alu instid0(VALU_DEP_3) | instskip(NEXT) | instid1(VALU_DEP_1)
	v_clz_i32_u32_e32 v2, v28
	v_min_u32_e32 v2, 32, v2
	s_delay_alu instid0(VALU_DEP_1) | instskip(SKIP_1) | instid1(VALU_DEP_2)
	v_subrev_nc_u32_e32 v3, 28, v2
	v_sub_nc_u32_e32 v2, 29, v2
	v_lshlrev_b64 v[3:4], v3, v[28:29]
	s_delay_alu instid0(VALU_DEP_1)
	v_and_b32_e32 v28, 7, v3
; %bb.104:                              ;   in Loop: Header=BB258_16 Depth=1
	s_or_b32 exec_lo, exec_lo, s25
	v_lshlrev_b32_e32 v1, 24, v1
	s_delay_alu instid0(VALU_DEP_2) | instskip(SKIP_1) | instid1(VALU_DEP_3)
	v_lshlrev_b32_e32 v3, 20, v28
	v_lshl_add_u32 v2, v2, 23, 0x3c000000
	v_and_b32_e32 v1, 0x80000000, v1
	s_delay_alu instid0(VALU_DEP_1) | instskip(NEXT) | instid1(VALU_DEP_1)
	v_or3_b32 v28, v3, v1, v2
	v_dual_mov_b32 v79, v29 :: v_dual_mov_b32 v78, v28
.LBB258_105:                            ;   in Loop: Header=BB258_16 Depth=1
	s_or_b32 exec_lo, exec_lo, s24
.LBB258_106:                            ;   in Loop: Header=BB258_16 Depth=1
	s_delay_alu instid0(SALU_CYCLE_1)
	s_or_b32 exec_lo, exec_lo, s23
.LBB258_107:                            ;   in Loop: Header=BB258_16 Depth=1
	s_delay_alu instid0(SALU_CYCLE_1) | instskip(NEXT) | instid1(SALU_CYCLE_1)
	s_or_b32 exec_lo, exec_lo, s2
	s_mov_b32 s23, exec_lo
	v_cmpx_lt_u32_e32 0xffffff, v0
	s_cbranch_execz .LBB258_115
; %bb.108:                              ;   in Loop: Header=BB258_16 Depth=1
	v_lshrrev_b32_e32 v1, 24, v0
	v_dual_mov_b32 v89, s17 :: v_dual_mov_b32 v88, s16
	s_mov_b32 s24, exec_lo
	s_delay_alu instid0(VALU_DEP_2)
	v_cmpx_ne_u32_e32 0x80, v1
	s_cbranch_execz .LBB258_114
; %bb.109:                              ;   in Loop: Header=BB258_16 Depth=1
	s_mov_b32 s2, s16
	v_bfe_u32 v2, v0, 24, 7
	v_dual_mov_b32 v89, s3 :: v_dual_mov_b32 v88, s2
	s_mov_b32 s2, exec_lo
	s_delay_alu instid0(VALU_DEP_2)
	v_cmpx_ne_u32_e32 0x7f, v2
	s_cbranch_execz .LBB258_113
; %bb.110:                              ;   in Loop: Header=BB258_16 Depth=1
	v_and_b32_e32 v28, 7, v1
	v_lshrrev_b32_e32 v0, 3, v2
	s_mov_b32 s25, exec_lo
	v_cmpx_gt_u32_e32 8, v2
; %bb.111:                              ;   in Loop: Header=BB258_16 Depth=1
	s_delay_alu instid0(VALU_DEP_3) | instskip(NEXT) | instid1(VALU_DEP_1)
	v_clz_i32_u32_e32 v0, v28
	v_min_u32_e32 v0, 32, v0
	s_delay_alu instid0(VALU_DEP_1) | instskip(SKIP_1) | instid1(VALU_DEP_2)
	v_subrev_nc_u32_e32 v2, 28, v0
	v_sub_nc_u32_e32 v0, 29, v0
	v_lshlrev_b64 v[2:3], v2, v[28:29]
	s_delay_alu instid0(VALU_DEP_1)
	v_and_b32_e32 v28, 7, v2
; %bb.112:                              ;   in Loop: Header=BB258_16 Depth=1
	s_or_b32 exec_lo, exec_lo, s25
	v_dual_mov_b32 v88, v29 :: v_dual_lshlrev_b32 v1, 24, v1
	s_delay_alu instid0(VALU_DEP_2) | instskip(SKIP_1) | instid1(VALU_DEP_3)
	v_lshlrev_b32_e32 v2, 20, v28
	v_lshl_add_u32 v0, v0, 23, 0x3c000000
	v_and_b32_e32 v1, 0x80000000, v1
	s_delay_alu instid0(VALU_DEP_1)
	v_or3_b32 v89, v2, v1, v0
.LBB258_113:                            ;   in Loop: Header=BB258_16 Depth=1
	s_or_b32 exec_lo, exec_lo, s2
.LBB258_114:                            ;   in Loop: Header=BB258_16 Depth=1
	s_delay_alu instid0(SALU_CYCLE_1)
	s_or_b32 exec_lo, exec_lo, s24
.LBB258_115:                            ;   in Loop: Header=BB258_16 Depth=1
	s_delay_alu instid0(SALU_CYCLE_1) | instskip(SKIP_3) | instid1(VALU_DEP_2)
	s_or_b32 exec_lo, exec_lo, s23
	flat_load_b32 v0, v[72:73] offset:12
	v_mov_b32_e32 v92, 0
	v_mov_b32_e32 v93, 0
	;; [unrolled: 1-line block ×3, first 2 shown]
	s_mov_b32 s2, exec_lo
	s_delay_alu instid0(VALU_DEP_2) | instskip(SKIP_2) | instid1(VALU_DEP_1)
	v_mov_b32_e32 v91, v93
	s_waitcnt vmcnt(0) lgkmcnt(0)
	v_and_b32_e32 v1, 0xff, v0
	v_cmpx_ne_u16_e32 0, v1
	s_cbranch_execz .LBB258_123
; %bb.116:                              ;   in Loop: Header=BB258_16 Depth=1
	v_bfrev_b32_e32 v90, 1
	v_mov_b32_e32 v91, 0
	s_mov_b32 s23, exec_lo
	v_cmpx_ne_u16_e32 0x80, v1
	s_cbranch_execz .LBB258_122
; %bb.117:                              ;   in Loop: Header=BB258_16 Depth=1
	v_mov_b32_e32 v90, 0x7f800001
	v_dual_mov_b32 v91, 0 :: v_dual_and_b32 v2, 0x7f, v0
	s_mov_b32 s24, exec_lo
	s_delay_alu instid0(VALU_DEP_1)
	v_cmpx_ne_u32_e32 0x7f, v2
	s_cbranch_execz .LBB258_121
; %bb.118:                              ;   in Loop: Header=BB258_16 Depth=1
	v_and_b32_e32 v28, 7, v0
	v_lshrrev_b32_e32 v1, 3, v2
	s_mov_b32 s25, exec_lo
	v_cmpx_gt_u32_e32 8, v2
; %bb.119:                              ;   in Loop: Header=BB258_16 Depth=1
	s_delay_alu instid0(VALU_DEP_3) | instskip(NEXT) | instid1(VALU_DEP_1)
	v_clz_i32_u32_e32 v1, v28
	v_min_u32_e32 v1, 32, v1
	s_delay_alu instid0(VALU_DEP_1) | instskip(SKIP_1) | instid1(VALU_DEP_2)
	v_subrev_nc_u32_e32 v2, 28, v1
	v_sub_nc_u32_e32 v1, 29, v1
	v_lshlrev_b64 v[2:3], v2, v[28:29]
	s_delay_alu instid0(VALU_DEP_1)
	v_and_b32_e32 v28, 7, v2
; %bb.120:                              ;   in Loop: Header=BB258_16 Depth=1
	s_or_b32 exec_lo, exec_lo, s25
	v_lshlrev_b32_e32 v2, 24, v0
	s_delay_alu instid0(VALU_DEP_2) | instskip(SKIP_1) | instid1(VALU_DEP_3)
	v_lshlrev_b32_e32 v3, 20, v28
	v_lshl_add_u32 v1, v1, 23, 0x3c000000
	v_and_b32_e32 v2, 0x80000000, v2
	s_delay_alu instid0(VALU_DEP_1) | instskip(NEXT) | instid1(VALU_DEP_1)
	v_or3_b32 v28, v3, v2, v1
	v_dual_mov_b32 v91, v29 :: v_dual_mov_b32 v90, v28
.LBB258_121:                            ;   in Loop: Header=BB258_16 Depth=1
	s_or_b32 exec_lo, exec_lo, s24
.LBB258_122:                            ;   in Loop: Header=BB258_16 Depth=1
	s_delay_alu instid0(SALU_CYCLE_1)
	s_or_b32 exec_lo, exec_lo, s23
.LBB258_123:                            ;   in Loop: Header=BB258_16 Depth=1
	s_delay_alu instid0(SALU_CYCLE_1) | instskip(SKIP_2) | instid1(VALU_DEP_1)
	s_or_b32 exec_lo, exec_lo, s2
	v_lshrrev_b16 v1, 8, v0
	s_mov_b32 s23, exec_lo
	v_cmpx_ne_u16_e32 0, v1
	s_cbranch_execz .LBB258_131
; %bb.124:                              ;   in Loop: Header=BB258_16 Depth=1
	v_dual_mov_b32 v93, s17 :: v_dual_mov_b32 v92, s16
	s_mov_b32 s24, exec_lo
	v_cmpx_ne_u16_e32 0x80, v1
	s_cbranch_execz .LBB258_130
; %bb.125:                              ;   in Loop: Header=BB258_16 Depth=1
	s_mov_b32 s2, s16
	v_and_b32_e32 v1, 0xffff, v1
	v_dual_mov_b32 v93, s3 :: v_dual_mov_b32 v92, s2
	s_mov_b32 s2, exec_lo
	s_delay_alu instid0(VALU_DEP_2) | instskip(NEXT) | instid1(VALU_DEP_1)
	v_and_b32_e32 v2, 0x7f, v1
	v_cmpx_ne_u32_e32 0x7f, v2
	s_cbranch_execz .LBB258_129
; %bb.126:                              ;   in Loop: Header=BB258_16 Depth=1
	v_and_b32_e32 v28, 7, v1
	v_lshrrev_b32_e32 v1, 3, v2
	s_mov_b32 s25, exec_lo
	v_cmpx_gt_u32_e32 8, v2
; %bb.127:                              ;   in Loop: Header=BB258_16 Depth=1
	s_delay_alu instid0(VALU_DEP_3) | instskip(NEXT) | instid1(VALU_DEP_1)
	v_clz_i32_u32_e32 v1, v28
	v_min_u32_e32 v1, 32, v1
	s_delay_alu instid0(VALU_DEP_1) | instskip(SKIP_1) | instid1(VALU_DEP_2)
	v_subrev_nc_u32_e32 v2, 28, v1
	v_sub_nc_u32_e32 v1, 29, v1
	v_lshlrev_b64 v[2:3], v2, v[28:29]
	s_delay_alu instid0(VALU_DEP_1)
	v_and_b32_e32 v28, 7, v2
; %bb.128:                              ;   in Loop: Header=BB258_16 Depth=1
	s_or_b32 exec_lo, exec_lo, s25
	v_lshlrev_b32_e32 v2, 16, v0
	s_delay_alu instid0(VALU_DEP_2) | instskip(SKIP_1) | instid1(VALU_DEP_3)
	v_dual_mov_b32 v92, v29 :: v_dual_lshlrev_b32 v3, 20, v28
	v_lshl_add_u32 v1, v1, 23, 0x3c000000
	v_and_b32_e32 v2, 0x80000000, v2
	s_delay_alu instid0(VALU_DEP_1)
	v_or3_b32 v93, v3, v2, v1
.LBB258_129:                            ;   in Loop: Header=BB258_16 Depth=1
	s_or_b32 exec_lo, exec_lo, s2
.LBB258_130:                            ;   in Loop: Header=BB258_16 Depth=1
	s_delay_alu instid0(SALU_CYCLE_1)
	s_or_b32 exec_lo, exec_lo, s24
.LBB258_131:                            ;   in Loop: Header=BB258_16 Depth=1
	s_delay_alu instid0(SALU_CYCLE_1) | instskip(SKIP_4) | instid1(VALU_DEP_2)
	s_or_b32 exec_lo, exec_lo, s23
	v_mov_b32_e32 v104, 0
	v_lshrrev_b32_e32 v1, 16, v0
	v_mov_b32_e32 v105, 0
	s_mov_b32 s2, exec_lo
	v_and_b32_e32 v2, 0xff, v1
	s_delay_alu instid0(VALU_DEP_2) | instskip(NEXT) | instid1(VALU_DEP_2)
	v_dual_mov_b32 v94, v104 :: v_dual_mov_b32 v95, v105
	v_cmpx_ne_u16_e32 0, v2
	s_cbranch_execz .LBB258_139
; %bb.132:                              ;   in Loop: Header=BB258_16 Depth=1
	v_bfrev_b32_e32 v94, 1
	v_mov_b32_e32 v95, 0
	s_mov_b32 s23, exec_lo
	v_cmpx_ne_u16_e32 0x80, v2
	s_cbranch_execz .LBB258_138
; %bb.133:                              ;   in Loop: Header=BB258_16 Depth=1
	v_mov_b32_e32 v94, 0x7f800001
	v_bfe_u32 v3, v0, 16, 7
	v_mov_b32_e32 v95, 0
	s_mov_b32 s24, exec_lo
	s_delay_alu instid0(VALU_DEP_2)
	v_cmpx_ne_u32_e32 0x7f, v3
	s_cbranch_execz .LBB258_137
; %bb.134:                              ;   in Loop: Header=BB258_16 Depth=1
	v_and_b32_e32 v28, 7, v1
	v_lshrrev_b32_e32 v2, 3, v3
	s_mov_b32 s25, exec_lo
	v_cmpx_gt_u32_e32 8, v3
; %bb.135:                              ;   in Loop: Header=BB258_16 Depth=1
	s_delay_alu instid0(VALU_DEP_3) | instskip(NEXT) | instid1(VALU_DEP_1)
	v_clz_i32_u32_e32 v2, v28
	v_min_u32_e32 v2, 32, v2
	s_delay_alu instid0(VALU_DEP_1) | instskip(SKIP_1) | instid1(VALU_DEP_2)
	v_subrev_nc_u32_e32 v3, 28, v2
	v_sub_nc_u32_e32 v2, 29, v2
	v_lshlrev_b64 v[3:4], v3, v[28:29]
	s_delay_alu instid0(VALU_DEP_1)
	v_and_b32_e32 v28, 7, v3
; %bb.136:                              ;   in Loop: Header=BB258_16 Depth=1
	s_or_b32 exec_lo, exec_lo, s25
	v_lshlrev_b32_e32 v1, 24, v1
	s_delay_alu instid0(VALU_DEP_2) | instskip(SKIP_1) | instid1(VALU_DEP_3)
	v_lshlrev_b32_e32 v3, 20, v28
	v_lshl_add_u32 v2, v2, 23, 0x3c000000
	v_and_b32_e32 v1, 0x80000000, v1
	s_delay_alu instid0(VALU_DEP_1) | instskip(NEXT) | instid1(VALU_DEP_1)
	v_or3_b32 v28, v3, v1, v2
	v_dual_mov_b32 v95, v29 :: v_dual_mov_b32 v94, v28
.LBB258_137:                            ;   in Loop: Header=BB258_16 Depth=1
	s_or_b32 exec_lo, exec_lo, s24
.LBB258_138:                            ;   in Loop: Header=BB258_16 Depth=1
	s_delay_alu instid0(SALU_CYCLE_1)
	s_or_b32 exec_lo, exec_lo, s23
.LBB258_139:                            ;   in Loop: Header=BB258_16 Depth=1
	s_delay_alu instid0(SALU_CYCLE_1) | instskip(NEXT) | instid1(SALU_CYCLE_1)
	s_or_b32 exec_lo, exec_lo, s2
	s_mov_b32 s23, exec_lo
	v_cmpx_lt_u32_e32 0xffffff, v0
	s_cbranch_execz .LBB258_147
; %bb.140:                              ;   in Loop: Header=BB258_16 Depth=1
	v_lshrrev_b32_e32 v1, 24, v0
	v_dual_mov_b32 v105, s17 :: v_dual_mov_b32 v104, s16
	s_mov_b32 s24, exec_lo
	s_delay_alu instid0(VALU_DEP_2)
	v_cmpx_ne_u32_e32 0x80, v1
	s_cbranch_execz .LBB258_146
; %bb.141:                              ;   in Loop: Header=BB258_16 Depth=1
	s_mov_b32 s2, s16
	v_bfe_u32 v2, v0, 24, 7
	v_dual_mov_b32 v105, s3 :: v_dual_mov_b32 v104, s2
	s_mov_b32 s2, exec_lo
	s_delay_alu instid0(VALU_DEP_2)
	v_cmpx_ne_u32_e32 0x7f, v2
	s_cbranch_execz .LBB258_145
; %bb.142:                              ;   in Loop: Header=BB258_16 Depth=1
	v_and_b32_e32 v28, 7, v1
	v_lshrrev_b32_e32 v0, 3, v2
	s_mov_b32 s25, exec_lo
	v_cmpx_gt_u32_e32 8, v2
; %bb.143:                              ;   in Loop: Header=BB258_16 Depth=1
	s_delay_alu instid0(VALU_DEP_3) | instskip(NEXT) | instid1(VALU_DEP_1)
	v_clz_i32_u32_e32 v0, v28
	v_min_u32_e32 v0, 32, v0
	s_delay_alu instid0(VALU_DEP_1) | instskip(SKIP_1) | instid1(VALU_DEP_2)
	v_subrev_nc_u32_e32 v2, 28, v0
	v_sub_nc_u32_e32 v0, 29, v0
	v_lshlrev_b64 v[2:3], v2, v[28:29]
	s_delay_alu instid0(VALU_DEP_1)
	v_and_b32_e32 v28, 7, v2
; %bb.144:                              ;   in Loop: Header=BB258_16 Depth=1
	s_or_b32 exec_lo, exec_lo, s25
	v_dual_mov_b32 v104, v29 :: v_dual_lshlrev_b32 v1, 24, v1
	s_delay_alu instid0(VALU_DEP_2) | instskip(SKIP_1) | instid1(VALU_DEP_3)
	v_lshlrev_b32_e32 v2, 20, v28
	v_lshl_add_u32 v0, v0, 23, 0x3c000000
	v_and_b32_e32 v1, 0x80000000, v1
	s_delay_alu instid0(VALU_DEP_1)
	v_or3_b32 v105, v2, v1, v0
.LBB258_145:                            ;   in Loop: Header=BB258_16 Depth=1
	s_or_b32 exec_lo, exec_lo, s2
.LBB258_146:                            ;   in Loop: Header=BB258_16 Depth=1
	s_delay_alu instid0(SALU_CYCLE_1)
	s_or_b32 exec_lo, exec_lo, s24
.LBB258_147:                            ;   in Loop: Header=BB258_16 Depth=1
	s_delay_alu instid0(SALU_CYCLE_1) | instskip(SKIP_3) | instid1(VALU_DEP_2)
	s_or_b32 exec_lo, exec_lo, s23
	flat_load_b32 v0, v[72:73] offset:512
	v_mov_b32_e32 v108, 0
	v_mov_b32_e32 v109, 0
	;; [unrolled: 1-line block ×3, first 2 shown]
	s_mov_b32 s2, exec_lo
	s_delay_alu instid0(VALU_DEP_2) | instskip(SKIP_2) | instid1(VALU_DEP_1)
	v_mov_b32_e32 v107, v109
	s_waitcnt vmcnt(0) lgkmcnt(0)
	v_and_b32_e32 v1, 0xff, v0
	v_cmpx_ne_u16_e32 0, v1
	s_cbranch_execz .LBB258_155
; %bb.148:                              ;   in Loop: Header=BB258_16 Depth=1
	v_bfrev_b32_e32 v106, 1
	v_mov_b32_e32 v107, 0
	s_mov_b32 s23, exec_lo
	v_cmpx_ne_u16_e32 0x80, v1
	s_cbranch_execz .LBB258_154
; %bb.149:                              ;   in Loop: Header=BB258_16 Depth=1
	v_mov_b32_e32 v106, 0x7f800001
	v_dual_mov_b32 v107, 0 :: v_dual_and_b32 v2, 0x7f, v0
	s_mov_b32 s24, exec_lo
	s_delay_alu instid0(VALU_DEP_1)
	v_cmpx_ne_u32_e32 0x7f, v2
	s_cbranch_execz .LBB258_153
; %bb.150:                              ;   in Loop: Header=BB258_16 Depth=1
	v_and_b32_e32 v28, 7, v0
	v_lshrrev_b32_e32 v1, 3, v2
	s_mov_b32 s25, exec_lo
	v_cmpx_gt_u32_e32 8, v2
; %bb.151:                              ;   in Loop: Header=BB258_16 Depth=1
	s_delay_alu instid0(VALU_DEP_3) | instskip(NEXT) | instid1(VALU_DEP_1)
	v_clz_i32_u32_e32 v1, v28
	v_min_u32_e32 v1, 32, v1
	s_delay_alu instid0(VALU_DEP_1) | instskip(SKIP_1) | instid1(VALU_DEP_2)
	v_subrev_nc_u32_e32 v2, 28, v1
	v_sub_nc_u32_e32 v1, 29, v1
	v_lshlrev_b64 v[2:3], v2, v[28:29]
	s_delay_alu instid0(VALU_DEP_1)
	v_and_b32_e32 v28, 7, v2
; %bb.152:                              ;   in Loop: Header=BB258_16 Depth=1
	s_or_b32 exec_lo, exec_lo, s25
	v_lshlrev_b32_e32 v2, 24, v0
	s_delay_alu instid0(VALU_DEP_2) | instskip(SKIP_1) | instid1(VALU_DEP_3)
	v_lshlrev_b32_e32 v3, 20, v28
	v_lshl_add_u32 v1, v1, 23, 0x3c000000
	v_and_b32_e32 v2, 0x80000000, v2
	s_delay_alu instid0(VALU_DEP_1) | instskip(NEXT) | instid1(VALU_DEP_1)
	v_or3_b32 v28, v3, v2, v1
	v_dual_mov_b32 v107, v29 :: v_dual_mov_b32 v106, v28
.LBB258_153:                            ;   in Loop: Header=BB258_16 Depth=1
	s_or_b32 exec_lo, exec_lo, s24
.LBB258_154:                            ;   in Loop: Header=BB258_16 Depth=1
	s_delay_alu instid0(SALU_CYCLE_1)
	s_or_b32 exec_lo, exec_lo, s23
.LBB258_155:                            ;   in Loop: Header=BB258_16 Depth=1
	s_delay_alu instid0(SALU_CYCLE_1) | instskip(SKIP_2) | instid1(VALU_DEP_1)
	s_or_b32 exec_lo, exec_lo, s2
	v_lshrrev_b16 v1, 8, v0
	s_mov_b32 s23, exec_lo
	v_cmpx_ne_u16_e32 0, v1
	s_cbranch_execz .LBB258_163
; %bb.156:                              ;   in Loop: Header=BB258_16 Depth=1
	v_dual_mov_b32 v109, s17 :: v_dual_mov_b32 v108, s16
	s_mov_b32 s24, exec_lo
	v_cmpx_ne_u16_e32 0x80, v1
	s_cbranch_execz .LBB258_162
; %bb.157:                              ;   in Loop: Header=BB258_16 Depth=1
	s_mov_b32 s2, s16
	v_and_b32_e32 v1, 0xffff, v1
	v_dual_mov_b32 v109, s3 :: v_dual_mov_b32 v108, s2
	s_mov_b32 s2, exec_lo
	s_delay_alu instid0(VALU_DEP_2) | instskip(NEXT) | instid1(VALU_DEP_1)
	v_and_b32_e32 v2, 0x7f, v1
	v_cmpx_ne_u32_e32 0x7f, v2
	s_cbranch_execz .LBB258_161
; %bb.158:                              ;   in Loop: Header=BB258_16 Depth=1
	v_and_b32_e32 v28, 7, v1
	v_lshrrev_b32_e32 v1, 3, v2
	s_mov_b32 s25, exec_lo
	v_cmpx_gt_u32_e32 8, v2
; %bb.159:                              ;   in Loop: Header=BB258_16 Depth=1
	s_delay_alu instid0(VALU_DEP_3) | instskip(NEXT) | instid1(VALU_DEP_1)
	v_clz_i32_u32_e32 v1, v28
	v_min_u32_e32 v1, 32, v1
	s_delay_alu instid0(VALU_DEP_1) | instskip(SKIP_1) | instid1(VALU_DEP_2)
	v_subrev_nc_u32_e32 v2, 28, v1
	v_sub_nc_u32_e32 v1, 29, v1
	v_lshlrev_b64 v[2:3], v2, v[28:29]
	s_delay_alu instid0(VALU_DEP_1)
	v_and_b32_e32 v28, 7, v2
; %bb.160:                              ;   in Loop: Header=BB258_16 Depth=1
	s_or_b32 exec_lo, exec_lo, s25
	v_lshlrev_b32_e32 v2, 16, v0
	s_delay_alu instid0(VALU_DEP_2) | instskip(SKIP_1) | instid1(VALU_DEP_3)
	v_dual_mov_b32 v108, v29 :: v_dual_lshlrev_b32 v3, 20, v28
	v_lshl_add_u32 v1, v1, 23, 0x3c000000
	v_and_b32_e32 v2, 0x80000000, v2
	s_delay_alu instid0(VALU_DEP_1)
	v_or3_b32 v109, v3, v2, v1
.LBB258_161:                            ;   in Loop: Header=BB258_16 Depth=1
	s_or_b32 exec_lo, exec_lo, s2
.LBB258_162:                            ;   in Loop: Header=BB258_16 Depth=1
	s_delay_alu instid0(SALU_CYCLE_1)
	s_or_b32 exec_lo, exec_lo, s24
.LBB258_163:                            ;   in Loop: Header=BB258_16 Depth=1
	s_delay_alu instid0(SALU_CYCLE_1) | instskip(SKIP_4) | instid1(VALU_DEP_2)
	s_or_b32 exec_lo, exec_lo, s23
	v_mov_b32_e32 v120, 0
	v_lshrrev_b32_e32 v1, 16, v0
	v_mov_b32_e32 v121, 0
	s_mov_b32 s2, exec_lo
	v_and_b32_e32 v2, 0xff, v1
	s_delay_alu instid0(VALU_DEP_2) | instskip(NEXT) | instid1(VALU_DEP_2)
	v_dual_mov_b32 v110, v120 :: v_dual_mov_b32 v111, v121
	v_cmpx_ne_u16_e32 0, v2
	s_cbranch_execz .LBB258_171
; %bb.164:                              ;   in Loop: Header=BB258_16 Depth=1
	v_bfrev_b32_e32 v110, 1
	v_mov_b32_e32 v111, 0
	s_mov_b32 s23, exec_lo
	v_cmpx_ne_u16_e32 0x80, v2
	s_cbranch_execz .LBB258_170
; %bb.165:                              ;   in Loop: Header=BB258_16 Depth=1
	v_mov_b32_e32 v110, 0x7f800001
	v_bfe_u32 v3, v0, 16, 7
	v_mov_b32_e32 v111, 0
	s_mov_b32 s24, exec_lo
	s_delay_alu instid0(VALU_DEP_2)
	v_cmpx_ne_u32_e32 0x7f, v3
	s_cbranch_execz .LBB258_169
; %bb.166:                              ;   in Loop: Header=BB258_16 Depth=1
	v_and_b32_e32 v28, 7, v1
	v_lshrrev_b32_e32 v2, 3, v3
	s_mov_b32 s25, exec_lo
	v_cmpx_gt_u32_e32 8, v3
; %bb.167:                              ;   in Loop: Header=BB258_16 Depth=1
	s_delay_alu instid0(VALU_DEP_3) | instskip(NEXT) | instid1(VALU_DEP_1)
	v_clz_i32_u32_e32 v2, v28
	v_min_u32_e32 v2, 32, v2
	s_delay_alu instid0(VALU_DEP_1) | instskip(SKIP_1) | instid1(VALU_DEP_2)
	v_subrev_nc_u32_e32 v3, 28, v2
	v_sub_nc_u32_e32 v2, 29, v2
	v_lshlrev_b64 v[3:4], v3, v[28:29]
	s_delay_alu instid0(VALU_DEP_1)
	v_and_b32_e32 v28, 7, v3
; %bb.168:                              ;   in Loop: Header=BB258_16 Depth=1
	s_or_b32 exec_lo, exec_lo, s25
	v_lshlrev_b32_e32 v1, 24, v1
	s_delay_alu instid0(VALU_DEP_2) | instskip(SKIP_1) | instid1(VALU_DEP_3)
	v_lshlrev_b32_e32 v3, 20, v28
	v_lshl_add_u32 v2, v2, 23, 0x3c000000
	v_and_b32_e32 v1, 0x80000000, v1
	s_delay_alu instid0(VALU_DEP_1) | instskip(NEXT) | instid1(VALU_DEP_1)
	v_or3_b32 v28, v3, v1, v2
	v_dual_mov_b32 v111, v29 :: v_dual_mov_b32 v110, v28
.LBB258_169:                            ;   in Loop: Header=BB258_16 Depth=1
	s_or_b32 exec_lo, exec_lo, s24
.LBB258_170:                            ;   in Loop: Header=BB258_16 Depth=1
	s_delay_alu instid0(SALU_CYCLE_1)
	s_or_b32 exec_lo, exec_lo, s23
.LBB258_171:                            ;   in Loop: Header=BB258_16 Depth=1
	s_delay_alu instid0(SALU_CYCLE_1) | instskip(NEXT) | instid1(SALU_CYCLE_1)
	s_or_b32 exec_lo, exec_lo, s2
	s_mov_b32 s23, exec_lo
	v_cmpx_lt_u32_e32 0xffffff, v0
	s_cbranch_execz .LBB258_179
; %bb.172:                              ;   in Loop: Header=BB258_16 Depth=1
	v_lshrrev_b32_e32 v1, 24, v0
	v_dual_mov_b32 v121, s17 :: v_dual_mov_b32 v120, s16
	s_mov_b32 s24, exec_lo
	s_delay_alu instid0(VALU_DEP_2)
	v_cmpx_ne_u32_e32 0x80, v1
	s_cbranch_execz .LBB258_178
; %bb.173:                              ;   in Loop: Header=BB258_16 Depth=1
	s_mov_b32 s2, s16
	v_bfe_u32 v2, v0, 24, 7
	v_dual_mov_b32 v121, s3 :: v_dual_mov_b32 v120, s2
	s_mov_b32 s2, exec_lo
	s_delay_alu instid0(VALU_DEP_2)
	v_cmpx_ne_u32_e32 0x7f, v2
	s_cbranch_execz .LBB258_177
; %bb.174:                              ;   in Loop: Header=BB258_16 Depth=1
	v_and_b32_e32 v28, 7, v1
	v_lshrrev_b32_e32 v0, 3, v2
	s_mov_b32 s25, exec_lo
	v_cmpx_gt_u32_e32 8, v2
; %bb.175:                              ;   in Loop: Header=BB258_16 Depth=1
	s_delay_alu instid0(VALU_DEP_3) | instskip(NEXT) | instid1(VALU_DEP_1)
	v_clz_i32_u32_e32 v0, v28
	v_min_u32_e32 v0, 32, v0
	s_delay_alu instid0(VALU_DEP_1) | instskip(SKIP_1) | instid1(VALU_DEP_2)
	v_subrev_nc_u32_e32 v2, 28, v0
	v_sub_nc_u32_e32 v0, 29, v0
	v_lshlrev_b64 v[2:3], v2, v[28:29]
	s_delay_alu instid0(VALU_DEP_1)
	v_and_b32_e32 v28, 7, v2
; %bb.176:                              ;   in Loop: Header=BB258_16 Depth=1
	s_or_b32 exec_lo, exec_lo, s25
	v_dual_mov_b32 v120, v29 :: v_dual_lshlrev_b32 v1, 24, v1
	s_delay_alu instid0(VALU_DEP_2) | instskip(SKIP_1) | instid1(VALU_DEP_3)
	v_lshlrev_b32_e32 v2, 20, v28
	v_lshl_add_u32 v0, v0, 23, 0x3c000000
	v_and_b32_e32 v1, 0x80000000, v1
	s_delay_alu instid0(VALU_DEP_1)
	v_or3_b32 v121, v2, v1, v0
.LBB258_177:                            ;   in Loop: Header=BB258_16 Depth=1
	s_or_b32 exec_lo, exec_lo, s2
.LBB258_178:                            ;   in Loop: Header=BB258_16 Depth=1
	s_delay_alu instid0(SALU_CYCLE_1)
	s_or_b32 exec_lo, exec_lo, s24
.LBB258_179:                            ;   in Loop: Header=BB258_16 Depth=1
	s_delay_alu instid0(SALU_CYCLE_1) | instskip(SKIP_3) | instid1(VALU_DEP_2)
	s_or_b32 exec_lo, exec_lo, s23
	flat_load_b32 v0, v[72:73] offset:516
	v_mov_b32_e32 v124, 0
	v_mov_b32_e32 v125, 0
	;; [unrolled: 1-line block ×3, first 2 shown]
	s_mov_b32 s2, exec_lo
	s_delay_alu instid0(VALU_DEP_2) | instskip(SKIP_2) | instid1(VALU_DEP_1)
	v_mov_b32_e32 v123, v125
	s_waitcnt vmcnt(0) lgkmcnt(0)
	v_and_b32_e32 v1, 0xff, v0
	v_cmpx_ne_u16_e32 0, v1
	s_cbranch_execz .LBB258_187
; %bb.180:                              ;   in Loop: Header=BB258_16 Depth=1
	v_bfrev_b32_e32 v122, 1
	v_mov_b32_e32 v123, 0
	s_mov_b32 s23, exec_lo
	v_cmpx_ne_u16_e32 0x80, v1
	s_cbranch_execz .LBB258_186
; %bb.181:                              ;   in Loop: Header=BB258_16 Depth=1
	v_mov_b32_e32 v122, 0x7f800001
	v_dual_mov_b32 v123, 0 :: v_dual_and_b32 v2, 0x7f, v0
	s_mov_b32 s24, exec_lo
	s_delay_alu instid0(VALU_DEP_1)
	v_cmpx_ne_u32_e32 0x7f, v2
	s_cbranch_execz .LBB258_185
; %bb.182:                              ;   in Loop: Header=BB258_16 Depth=1
	v_and_b32_e32 v28, 7, v0
	v_lshrrev_b32_e32 v1, 3, v2
	s_mov_b32 s25, exec_lo
	v_cmpx_gt_u32_e32 8, v2
; %bb.183:                              ;   in Loop: Header=BB258_16 Depth=1
	s_delay_alu instid0(VALU_DEP_3) | instskip(NEXT) | instid1(VALU_DEP_1)
	v_clz_i32_u32_e32 v1, v28
	v_min_u32_e32 v1, 32, v1
	s_delay_alu instid0(VALU_DEP_1) | instskip(SKIP_1) | instid1(VALU_DEP_2)
	v_subrev_nc_u32_e32 v2, 28, v1
	v_sub_nc_u32_e32 v1, 29, v1
	v_lshlrev_b64 v[2:3], v2, v[28:29]
	s_delay_alu instid0(VALU_DEP_1)
	v_and_b32_e32 v28, 7, v2
; %bb.184:                              ;   in Loop: Header=BB258_16 Depth=1
	s_or_b32 exec_lo, exec_lo, s25
	v_lshlrev_b32_e32 v2, 24, v0
	s_delay_alu instid0(VALU_DEP_2) | instskip(SKIP_1) | instid1(VALU_DEP_3)
	v_lshlrev_b32_e32 v3, 20, v28
	v_lshl_add_u32 v1, v1, 23, 0x3c000000
	v_and_b32_e32 v2, 0x80000000, v2
	s_delay_alu instid0(VALU_DEP_1) | instskip(NEXT) | instid1(VALU_DEP_1)
	v_or3_b32 v28, v3, v2, v1
	v_dual_mov_b32 v123, v29 :: v_dual_mov_b32 v122, v28
.LBB258_185:                            ;   in Loop: Header=BB258_16 Depth=1
	s_or_b32 exec_lo, exec_lo, s24
.LBB258_186:                            ;   in Loop: Header=BB258_16 Depth=1
	s_delay_alu instid0(SALU_CYCLE_1)
	s_or_b32 exec_lo, exec_lo, s23
.LBB258_187:                            ;   in Loop: Header=BB258_16 Depth=1
	s_delay_alu instid0(SALU_CYCLE_1) | instskip(SKIP_2) | instid1(VALU_DEP_1)
	s_or_b32 exec_lo, exec_lo, s2
	v_lshrrev_b16 v1, 8, v0
	s_mov_b32 s23, exec_lo
	v_cmpx_ne_u16_e32 0, v1
	s_cbranch_execz .LBB258_195
; %bb.188:                              ;   in Loop: Header=BB258_16 Depth=1
	v_dual_mov_b32 v125, s17 :: v_dual_mov_b32 v124, s16
	s_mov_b32 s24, exec_lo
	v_cmpx_ne_u16_e32 0x80, v1
	s_cbranch_execz .LBB258_194
; %bb.189:                              ;   in Loop: Header=BB258_16 Depth=1
	s_mov_b32 s2, s16
	v_and_b32_e32 v1, 0xffff, v1
	v_dual_mov_b32 v125, s3 :: v_dual_mov_b32 v124, s2
	s_mov_b32 s2, exec_lo
	s_delay_alu instid0(VALU_DEP_2) | instskip(NEXT) | instid1(VALU_DEP_1)
	v_and_b32_e32 v2, 0x7f, v1
	v_cmpx_ne_u32_e32 0x7f, v2
	s_cbranch_execz .LBB258_193
; %bb.190:                              ;   in Loop: Header=BB258_16 Depth=1
	v_and_b32_e32 v28, 7, v1
	v_lshrrev_b32_e32 v1, 3, v2
	s_mov_b32 s25, exec_lo
	v_cmpx_gt_u32_e32 8, v2
; %bb.191:                              ;   in Loop: Header=BB258_16 Depth=1
	s_delay_alu instid0(VALU_DEP_3) | instskip(NEXT) | instid1(VALU_DEP_1)
	v_clz_i32_u32_e32 v1, v28
	v_min_u32_e32 v1, 32, v1
	s_delay_alu instid0(VALU_DEP_1) | instskip(SKIP_1) | instid1(VALU_DEP_2)
	v_subrev_nc_u32_e32 v2, 28, v1
	v_sub_nc_u32_e32 v1, 29, v1
	v_lshlrev_b64 v[2:3], v2, v[28:29]
	s_delay_alu instid0(VALU_DEP_1)
	v_and_b32_e32 v28, 7, v2
; %bb.192:                              ;   in Loop: Header=BB258_16 Depth=1
	s_or_b32 exec_lo, exec_lo, s25
	v_lshlrev_b32_e32 v2, 16, v0
	s_delay_alu instid0(VALU_DEP_2) | instskip(SKIP_1) | instid1(VALU_DEP_3)
	v_dual_mov_b32 v124, v29 :: v_dual_lshlrev_b32 v3, 20, v28
	v_lshl_add_u32 v1, v1, 23, 0x3c000000
	v_and_b32_e32 v2, 0x80000000, v2
	s_delay_alu instid0(VALU_DEP_1)
	v_or3_b32 v125, v3, v2, v1
.LBB258_193:                            ;   in Loop: Header=BB258_16 Depth=1
	s_or_b32 exec_lo, exec_lo, s2
.LBB258_194:                            ;   in Loop: Header=BB258_16 Depth=1
	s_delay_alu instid0(SALU_CYCLE_1)
	s_or_b32 exec_lo, exec_lo, s24
.LBB258_195:                            ;   in Loop: Header=BB258_16 Depth=1
	s_delay_alu instid0(SALU_CYCLE_1) | instskip(SKIP_4) | instid1(VALU_DEP_2)
	s_or_b32 exec_lo, exec_lo, s23
	v_mov_b32_e32 v136, 0
	v_lshrrev_b32_e32 v1, 16, v0
	v_mov_b32_e32 v137, 0
	s_mov_b32 s2, exec_lo
	v_and_b32_e32 v2, 0xff, v1
	s_delay_alu instid0(VALU_DEP_2) | instskip(NEXT) | instid1(VALU_DEP_2)
	v_dual_mov_b32 v126, v136 :: v_dual_mov_b32 v127, v137
	v_cmpx_ne_u16_e32 0, v2
	s_cbranch_execz .LBB258_203
; %bb.196:                              ;   in Loop: Header=BB258_16 Depth=1
	v_bfrev_b32_e32 v126, 1
	v_mov_b32_e32 v127, 0
	s_mov_b32 s23, exec_lo
	v_cmpx_ne_u16_e32 0x80, v2
	s_cbranch_execz .LBB258_202
; %bb.197:                              ;   in Loop: Header=BB258_16 Depth=1
	v_mov_b32_e32 v126, 0x7f800001
	v_bfe_u32 v3, v0, 16, 7
	v_mov_b32_e32 v127, 0
	s_mov_b32 s24, exec_lo
	s_delay_alu instid0(VALU_DEP_2)
	v_cmpx_ne_u32_e32 0x7f, v3
	s_cbranch_execz .LBB258_201
; %bb.198:                              ;   in Loop: Header=BB258_16 Depth=1
	v_and_b32_e32 v28, 7, v1
	v_lshrrev_b32_e32 v2, 3, v3
	s_mov_b32 s25, exec_lo
	v_cmpx_gt_u32_e32 8, v3
; %bb.199:                              ;   in Loop: Header=BB258_16 Depth=1
	s_delay_alu instid0(VALU_DEP_3) | instskip(NEXT) | instid1(VALU_DEP_1)
	v_clz_i32_u32_e32 v2, v28
	v_min_u32_e32 v2, 32, v2
	s_delay_alu instid0(VALU_DEP_1) | instskip(SKIP_1) | instid1(VALU_DEP_2)
	v_subrev_nc_u32_e32 v3, 28, v2
	v_sub_nc_u32_e32 v2, 29, v2
	v_lshlrev_b64 v[3:4], v3, v[28:29]
	s_delay_alu instid0(VALU_DEP_1)
	v_and_b32_e32 v28, 7, v3
; %bb.200:                              ;   in Loop: Header=BB258_16 Depth=1
	s_or_b32 exec_lo, exec_lo, s25
	v_lshlrev_b32_e32 v1, 24, v1
	s_delay_alu instid0(VALU_DEP_2) | instskip(SKIP_1) | instid1(VALU_DEP_3)
	v_lshlrev_b32_e32 v3, 20, v28
	v_lshl_add_u32 v2, v2, 23, 0x3c000000
	v_and_b32_e32 v1, 0x80000000, v1
	s_delay_alu instid0(VALU_DEP_1) | instskip(NEXT) | instid1(VALU_DEP_1)
	v_or3_b32 v28, v3, v1, v2
	v_dual_mov_b32 v127, v29 :: v_dual_mov_b32 v126, v28
.LBB258_201:                            ;   in Loop: Header=BB258_16 Depth=1
	s_or_b32 exec_lo, exec_lo, s24
.LBB258_202:                            ;   in Loop: Header=BB258_16 Depth=1
	s_delay_alu instid0(SALU_CYCLE_1)
	s_or_b32 exec_lo, exec_lo, s23
.LBB258_203:                            ;   in Loop: Header=BB258_16 Depth=1
	s_delay_alu instid0(SALU_CYCLE_1) | instskip(NEXT) | instid1(SALU_CYCLE_1)
	s_or_b32 exec_lo, exec_lo, s2
	s_mov_b32 s23, exec_lo
	v_cmpx_lt_u32_e32 0xffffff, v0
	s_cbranch_execz .LBB258_211
; %bb.204:                              ;   in Loop: Header=BB258_16 Depth=1
	v_lshrrev_b32_e32 v1, 24, v0
	v_dual_mov_b32 v137, s17 :: v_dual_mov_b32 v136, s16
	s_mov_b32 s24, exec_lo
	s_delay_alu instid0(VALU_DEP_2)
	v_cmpx_ne_u32_e32 0x80, v1
	s_cbranch_execz .LBB258_210
; %bb.205:                              ;   in Loop: Header=BB258_16 Depth=1
	s_mov_b32 s2, s16
	v_bfe_u32 v2, v0, 24, 7
	v_dual_mov_b32 v137, s3 :: v_dual_mov_b32 v136, s2
	s_mov_b32 s2, exec_lo
	s_delay_alu instid0(VALU_DEP_2)
	v_cmpx_ne_u32_e32 0x7f, v2
	s_cbranch_execz .LBB258_209
; %bb.206:                              ;   in Loop: Header=BB258_16 Depth=1
	v_and_b32_e32 v28, 7, v1
	v_lshrrev_b32_e32 v0, 3, v2
	s_mov_b32 s25, exec_lo
	v_cmpx_gt_u32_e32 8, v2
; %bb.207:                              ;   in Loop: Header=BB258_16 Depth=1
	s_delay_alu instid0(VALU_DEP_3) | instskip(NEXT) | instid1(VALU_DEP_1)
	v_clz_i32_u32_e32 v0, v28
	v_min_u32_e32 v0, 32, v0
	s_delay_alu instid0(VALU_DEP_1) | instskip(SKIP_1) | instid1(VALU_DEP_2)
	v_subrev_nc_u32_e32 v2, 28, v0
	v_sub_nc_u32_e32 v0, 29, v0
	v_lshlrev_b64 v[2:3], v2, v[28:29]
	s_delay_alu instid0(VALU_DEP_1)
	v_and_b32_e32 v28, 7, v2
; %bb.208:                              ;   in Loop: Header=BB258_16 Depth=1
	s_or_b32 exec_lo, exec_lo, s25
	v_dual_mov_b32 v136, v29 :: v_dual_lshlrev_b32 v1, 24, v1
	s_delay_alu instid0(VALU_DEP_2) | instskip(SKIP_1) | instid1(VALU_DEP_3)
	v_lshlrev_b32_e32 v2, 20, v28
	v_lshl_add_u32 v0, v0, 23, 0x3c000000
	v_and_b32_e32 v1, 0x80000000, v1
	s_delay_alu instid0(VALU_DEP_1)
	v_or3_b32 v137, v2, v1, v0
.LBB258_209:                            ;   in Loop: Header=BB258_16 Depth=1
	s_or_b32 exec_lo, exec_lo, s2
.LBB258_210:                            ;   in Loop: Header=BB258_16 Depth=1
	s_delay_alu instid0(SALU_CYCLE_1)
	s_or_b32 exec_lo, exec_lo, s24
.LBB258_211:                            ;   in Loop: Header=BB258_16 Depth=1
	s_delay_alu instid0(SALU_CYCLE_1) | instskip(SKIP_3) | instid1(VALU_DEP_2)
	s_or_b32 exec_lo, exec_lo, s23
	flat_load_b32 v0, v[72:73] offset:520
	v_mov_b32_e32 v140, 0
	v_mov_b32_e32 v141, 0
	;; [unrolled: 1-line block ×3, first 2 shown]
	s_mov_b32 s2, exec_lo
	s_delay_alu instid0(VALU_DEP_2) | instskip(SKIP_2) | instid1(VALU_DEP_1)
	v_mov_b32_e32 v139, v141
	s_waitcnt vmcnt(0) lgkmcnt(0)
	v_and_b32_e32 v1, 0xff, v0
	v_cmpx_ne_u16_e32 0, v1
	s_cbranch_execz .LBB258_219
; %bb.212:                              ;   in Loop: Header=BB258_16 Depth=1
	v_bfrev_b32_e32 v138, 1
	v_mov_b32_e32 v139, 0
	s_mov_b32 s23, exec_lo
	v_cmpx_ne_u16_e32 0x80, v1
	s_cbranch_execz .LBB258_218
; %bb.213:                              ;   in Loop: Header=BB258_16 Depth=1
	v_mov_b32_e32 v138, 0x7f800001
	v_dual_mov_b32 v139, 0 :: v_dual_and_b32 v2, 0x7f, v0
	s_mov_b32 s24, exec_lo
	s_delay_alu instid0(VALU_DEP_1)
	v_cmpx_ne_u32_e32 0x7f, v2
	s_cbranch_execz .LBB258_217
; %bb.214:                              ;   in Loop: Header=BB258_16 Depth=1
	v_and_b32_e32 v28, 7, v0
	v_lshrrev_b32_e32 v1, 3, v2
	s_mov_b32 s25, exec_lo
	v_cmpx_gt_u32_e32 8, v2
; %bb.215:                              ;   in Loop: Header=BB258_16 Depth=1
	s_delay_alu instid0(VALU_DEP_3) | instskip(NEXT) | instid1(VALU_DEP_1)
	v_clz_i32_u32_e32 v1, v28
	v_min_u32_e32 v1, 32, v1
	s_delay_alu instid0(VALU_DEP_1) | instskip(SKIP_1) | instid1(VALU_DEP_2)
	v_subrev_nc_u32_e32 v2, 28, v1
	v_sub_nc_u32_e32 v1, 29, v1
	v_lshlrev_b64 v[2:3], v2, v[28:29]
	s_delay_alu instid0(VALU_DEP_1)
	v_and_b32_e32 v28, 7, v2
; %bb.216:                              ;   in Loop: Header=BB258_16 Depth=1
	s_or_b32 exec_lo, exec_lo, s25
	v_lshlrev_b32_e32 v2, 24, v0
	s_delay_alu instid0(VALU_DEP_2) | instskip(SKIP_1) | instid1(VALU_DEP_3)
	v_lshlrev_b32_e32 v3, 20, v28
	v_lshl_add_u32 v1, v1, 23, 0x3c000000
	v_and_b32_e32 v2, 0x80000000, v2
	s_delay_alu instid0(VALU_DEP_1) | instskip(NEXT) | instid1(VALU_DEP_1)
	v_or3_b32 v28, v3, v2, v1
	v_dual_mov_b32 v139, v29 :: v_dual_mov_b32 v138, v28
.LBB258_217:                            ;   in Loop: Header=BB258_16 Depth=1
	s_or_b32 exec_lo, exec_lo, s24
.LBB258_218:                            ;   in Loop: Header=BB258_16 Depth=1
	s_delay_alu instid0(SALU_CYCLE_1)
	s_or_b32 exec_lo, exec_lo, s23
.LBB258_219:                            ;   in Loop: Header=BB258_16 Depth=1
	s_delay_alu instid0(SALU_CYCLE_1) | instskip(SKIP_2) | instid1(VALU_DEP_1)
	s_or_b32 exec_lo, exec_lo, s2
	v_lshrrev_b16 v1, 8, v0
	s_mov_b32 s23, exec_lo
	v_cmpx_ne_u16_e32 0, v1
	s_cbranch_execz .LBB258_227
; %bb.220:                              ;   in Loop: Header=BB258_16 Depth=1
	v_dual_mov_b32 v141, s17 :: v_dual_mov_b32 v140, s16
	s_mov_b32 s24, exec_lo
	v_cmpx_ne_u16_e32 0x80, v1
	s_cbranch_execz .LBB258_226
; %bb.221:                              ;   in Loop: Header=BB258_16 Depth=1
	s_mov_b32 s2, s16
	v_and_b32_e32 v1, 0xffff, v1
	v_dual_mov_b32 v141, s3 :: v_dual_mov_b32 v140, s2
	s_mov_b32 s2, exec_lo
	s_delay_alu instid0(VALU_DEP_2) | instskip(NEXT) | instid1(VALU_DEP_1)
	v_and_b32_e32 v2, 0x7f, v1
	v_cmpx_ne_u32_e32 0x7f, v2
	s_cbranch_execz .LBB258_225
; %bb.222:                              ;   in Loop: Header=BB258_16 Depth=1
	v_and_b32_e32 v28, 7, v1
	v_lshrrev_b32_e32 v1, 3, v2
	s_mov_b32 s25, exec_lo
	v_cmpx_gt_u32_e32 8, v2
; %bb.223:                              ;   in Loop: Header=BB258_16 Depth=1
	s_delay_alu instid0(VALU_DEP_3) | instskip(NEXT) | instid1(VALU_DEP_1)
	v_clz_i32_u32_e32 v1, v28
	v_min_u32_e32 v1, 32, v1
	s_delay_alu instid0(VALU_DEP_1) | instskip(SKIP_1) | instid1(VALU_DEP_2)
	v_subrev_nc_u32_e32 v2, 28, v1
	v_sub_nc_u32_e32 v1, 29, v1
	v_lshlrev_b64 v[2:3], v2, v[28:29]
	s_delay_alu instid0(VALU_DEP_1)
	v_and_b32_e32 v28, 7, v2
; %bb.224:                              ;   in Loop: Header=BB258_16 Depth=1
	s_or_b32 exec_lo, exec_lo, s25
	v_lshlrev_b32_e32 v2, 16, v0
	s_delay_alu instid0(VALU_DEP_2) | instskip(SKIP_1) | instid1(VALU_DEP_3)
	v_dual_mov_b32 v140, v29 :: v_dual_lshlrev_b32 v3, 20, v28
	v_lshl_add_u32 v1, v1, 23, 0x3c000000
	v_and_b32_e32 v2, 0x80000000, v2
	s_delay_alu instid0(VALU_DEP_1)
	v_or3_b32 v141, v3, v2, v1
.LBB258_225:                            ;   in Loop: Header=BB258_16 Depth=1
	s_or_b32 exec_lo, exec_lo, s2
.LBB258_226:                            ;   in Loop: Header=BB258_16 Depth=1
	s_delay_alu instid0(SALU_CYCLE_1)
	s_or_b32 exec_lo, exec_lo, s24
.LBB258_227:                            ;   in Loop: Header=BB258_16 Depth=1
	s_delay_alu instid0(SALU_CYCLE_1) | instskip(SKIP_4) | instid1(VALU_DEP_1)
	s_or_b32 exec_lo, exec_lo, s23
	v_mov_b32_e32 v142, 0
	v_lshrrev_b32_e32 v1, 16, v0
	v_mov_b32_e32 v143, 0
	s_mov_b32 s2, exec_lo
	v_dual_mov_b32 v153, v143 :: v_dual_and_b32 v2, 0xff, v1
	v_mov_b32_e32 v152, v142
	s_delay_alu instid0(VALU_DEP_2)
	v_cmpx_ne_u16_e32 0, v2
	s_cbranch_execz .LBB258_235
; %bb.228:                              ;   in Loop: Header=BB258_16 Depth=1
	v_bfrev_b32_e32 v152, 1
	v_mov_b32_e32 v153, 0
	s_mov_b32 s23, exec_lo
	v_cmpx_ne_u16_e32 0x80, v2
	s_cbranch_execz .LBB258_234
; %bb.229:                              ;   in Loop: Header=BB258_16 Depth=1
	v_mov_b32_e32 v152, 0x7f800001
	v_bfe_u32 v3, v0, 16, 7
	v_mov_b32_e32 v153, 0
	s_mov_b32 s24, exec_lo
	s_delay_alu instid0(VALU_DEP_2)
	v_cmpx_ne_u32_e32 0x7f, v3
	s_cbranch_execz .LBB258_233
; %bb.230:                              ;   in Loop: Header=BB258_16 Depth=1
	v_and_b32_e32 v28, 7, v1
	v_lshrrev_b32_e32 v2, 3, v3
	s_mov_b32 s25, exec_lo
	v_cmpx_gt_u32_e32 8, v3
; %bb.231:                              ;   in Loop: Header=BB258_16 Depth=1
	s_delay_alu instid0(VALU_DEP_3) | instskip(NEXT) | instid1(VALU_DEP_1)
	v_clz_i32_u32_e32 v2, v28
	v_min_u32_e32 v2, 32, v2
	s_delay_alu instid0(VALU_DEP_1) | instskip(SKIP_1) | instid1(VALU_DEP_2)
	v_subrev_nc_u32_e32 v3, 28, v2
	v_sub_nc_u32_e32 v2, 29, v2
	v_lshlrev_b64 v[3:4], v3, v[28:29]
	s_delay_alu instid0(VALU_DEP_1)
	v_and_b32_e32 v28, 7, v3
; %bb.232:                              ;   in Loop: Header=BB258_16 Depth=1
	s_or_b32 exec_lo, exec_lo, s25
	v_lshlrev_b32_e32 v1, 24, v1
	s_delay_alu instid0(VALU_DEP_2) | instskip(SKIP_1) | instid1(VALU_DEP_3)
	v_lshlrev_b32_e32 v3, 20, v28
	v_lshl_add_u32 v2, v2, 23, 0x3c000000
	v_and_b32_e32 v1, 0x80000000, v1
	s_delay_alu instid0(VALU_DEP_1) | instskip(NEXT) | instid1(VALU_DEP_1)
	v_or3_b32 v28, v3, v1, v2
	v_dual_mov_b32 v153, v29 :: v_dual_mov_b32 v152, v28
.LBB258_233:                            ;   in Loop: Header=BB258_16 Depth=1
	s_or_b32 exec_lo, exec_lo, s24
.LBB258_234:                            ;   in Loop: Header=BB258_16 Depth=1
	s_delay_alu instid0(SALU_CYCLE_1)
	s_or_b32 exec_lo, exec_lo, s23
.LBB258_235:                            ;   in Loop: Header=BB258_16 Depth=1
	s_delay_alu instid0(SALU_CYCLE_1) | instskip(NEXT) | instid1(SALU_CYCLE_1)
	s_or_b32 exec_lo, exec_lo, s2
	s_mov_b32 s23, exec_lo
	v_cmpx_lt_u32_e32 0xffffff, v0
	s_cbranch_execz .LBB258_243
; %bb.236:                              ;   in Loop: Header=BB258_16 Depth=1
	v_lshrrev_b32_e32 v1, 24, v0
	v_dual_mov_b32 v143, s17 :: v_dual_mov_b32 v142, s16
	s_mov_b32 s24, exec_lo
	s_delay_alu instid0(VALU_DEP_2)
	v_cmpx_ne_u32_e32 0x80, v1
	s_cbranch_execz .LBB258_242
; %bb.237:                              ;   in Loop: Header=BB258_16 Depth=1
	s_mov_b32 s2, s16
	v_bfe_u32 v2, v0, 24, 7
	v_dual_mov_b32 v143, s3 :: v_dual_mov_b32 v142, s2
	s_mov_b32 s2, exec_lo
	s_delay_alu instid0(VALU_DEP_2)
	v_cmpx_ne_u32_e32 0x7f, v2
	s_cbranch_execz .LBB258_241
; %bb.238:                              ;   in Loop: Header=BB258_16 Depth=1
	v_and_b32_e32 v28, 7, v1
	v_lshrrev_b32_e32 v0, 3, v2
	s_mov_b32 s25, exec_lo
	v_cmpx_gt_u32_e32 8, v2
; %bb.239:                              ;   in Loop: Header=BB258_16 Depth=1
	s_delay_alu instid0(VALU_DEP_3) | instskip(NEXT) | instid1(VALU_DEP_1)
	v_clz_i32_u32_e32 v0, v28
	v_min_u32_e32 v0, 32, v0
	s_delay_alu instid0(VALU_DEP_1) | instskip(SKIP_1) | instid1(VALU_DEP_2)
	v_subrev_nc_u32_e32 v2, 28, v0
	v_sub_nc_u32_e32 v0, 29, v0
	v_lshlrev_b64 v[2:3], v2, v[28:29]
	s_delay_alu instid0(VALU_DEP_1)
	v_and_b32_e32 v28, 7, v2
; %bb.240:                              ;   in Loop: Header=BB258_16 Depth=1
	s_or_b32 exec_lo, exec_lo, s25
	v_dual_mov_b32 v142, v29 :: v_dual_lshlrev_b32 v1, 24, v1
	s_delay_alu instid0(VALU_DEP_2) | instskip(SKIP_1) | instid1(VALU_DEP_3)
	v_lshlrev_b32_e32 v2, 20, v28
	v_lshl_add_u32 v0, v0, 23, 0x3c000000
	v_and_b32_e32 v1, 0x80000000, v1
	s_delay_alu instid0(VALU_DEP_1)
	v_or3_b32 v143, v2, v1, v0
.LBB258_241:                            ;   in Loop: Header=BB258_16 Depth=1
	s_or_b32 exec_lo, exec_lo, s2
.LBB258_242:                            ;   in Loop: Header=BB258_16 Depth=1
	s_delay_alu instid0(SALU_CYCLE_1)
	s_or_b32 exec_lo, exec_lo, s24
.LBB258_243:                            ;   in Loop: Header=BB258_16 Depth=1
	s_delay_alu instid0(SALU_CYCLE_1) | instskip(SKIP_4) | instid1(VALU_DEP_1)
	s_or_b32 exec_lo, exec_lo, s23
	flat_load_b32 v0, v[72:73] offset:524
	v_mov_b32_e32 v154, 0
	v_mov_b32_e32 v155, 0
	s_mov_b32 s2, exec_lo
	v_dual_mov_b32 v157, v155 :: v_dual_mov_b32 v156, v154
	s_waitcnt vmcnt(0) lgkmcnt(0)
	v_and_b32_e32 v1, 0xff, v0
	s_delay_alu instid0(VALU_DEP_1)
	v_cmpx_ne_u16_e32 0, v1
	s_cbranch_execz .LBB258_251
; %bb.244:                              ;   in Loop: Header=BB258_16 Depth=1
	v_bfrev_b32_e32 v156, 1
	v_mov_b32_e32 v157, 0
	s_mov_b32 s23, exec_lo
	v_cmpx_ne_u16_e32 0x80, v1
	s_cbranch_execz .LBB258_250
; %bb.245:                              ;   in Loop: Header=BB258_16 Depth=1
	v_mov_b32_e32 v156, 0x7f800001
	v_dual_mov_b32 v157, 0 :: v_dual_and_b32 v2, 0x7f, v0
	s_mov_b32 s24, exec_lo
	s_delay_alu instid0(VALU_DEP_1)
	v_cmpx_ne_u32_e32 0x7f, v2
	s_cbranch_execz .LBB258_249
; %bb.246:                              ;   in Loop: Header=BB258_16 Depth=1
	v_and_b32_e32 v28, 7, v0
	v_lshrrev_b32_e32 v1, 3, v2
	s_mov_b32 s25, exec_lo
	v_cmpx_gt_u32_e32 8, v2
; %bb.247:                              ;   in Loop: Header=BB258_16 Depth=1
	s_delay_alu instid0(VALU_DEP_3) | instskip(NEXT) | instid1(VALU_DEP_1)
	v_clz_i32_u32_e32 v1, v28
	v_min_u32_e32 v1, 32, v1
	s_delay_alu instid0(VALU_DEP_1) | instskip(SKIP_1) | instid1(VALU_DEP_2)
	v_subrev_nc_u32_e32 v2, 28, v1
	v_sub_nc_u32_e32 v1, 29, v1
	v_lshlrev_b64 v[2:3], v2, v[28:29]
	s_delay_alu instid0(VALU_DEP_1)
	v_and_b32_e32 v28, 7, v2
; %bb.248:                              ;   in Loop: Header=BB258_16 Depth=1
	s_or_b32 exec_lo, exec_lo, s25
	v_lshlrev_b32_e32 v2, 24, v0
	s_delay_alu instid0(VALU_DEP_2) | instskip(SKIP_1) | instid1(VALU_DEP_3)
	v_lshlrev_b32_e32 v3, 20, v28
	v_lshl_add_u32 v1, v1, 23, 0x3c000000
	v_and_b32_e32 v2, 0x80000000, v2
	s_delay_alu instid0(VALU_DEP_1) | instskip(NEXT) | instid1(VALU_DEP_1)
	v_or3_b32 v28, v3, v2, v1
	v_dual_mov_b32 v157, v29 :: v_dual_mov_b32 v156, v28
.LBB258_249:                            ;   in Loop: Header=BB258_16 Depth=1
	s_or_b32 exec_lo, exec_lo, s24
.LBB258_250:                            ;   in Loop: Header=BB258_16 Depth=1
	s_delay_alu instid0(SALU_CYCLE_1)
	s_or_b32 exec_lo, exec_lo, s23
.LBB258_251:                            ;   in Loop: Header=BB258_16 Depth=1
	s_delay_alu instid0(SALU_CYCLE_1) | instskip(SKIP_2) | instid1(VALU_DEP_1)
	s_or_b32 exec_lo, exec_lo, s2
	v_lshrrev_b16 v1, 8, v0
	s_mov_b32 s23, exec_lo
	v_cmpx_ne_u16_e32 0, v1
	s_cbranch_execz .LBB258_259
; %bb.252:                              ;   in Loop: Header=BB258_16 Depth=1
	v_dual_mov_b32 v155, s17 :: v_dual_mov_b32 v154, s16
	s_mov_b32 s24, exec_lo
	v_cmpx_ne_u16_e32 0x80, v1
	s_cbranch_execz .LBB258_258
; %bb.253:                              ;   in Loop: Header=BB258_16 Depth=1
	s_mov_b32 s2, s16
	v_and_b32_e32 v1, 0xffff, v1
	v_dual_mov_b32 v155, s3 :: v_dual_mov_b32 v154, s2
	s_mov_b32 s2, exec_lo
	s_delay_alu instid0(VALU_DEP_2) | instskip(NEXT) | instid1(VALU_DEP_1)
	v_and_b32_e32 v2, 0x7f, v1
	v_cmpx_ne_u32_e32 0x7f, v2
	s_cbranch_execz .LBB258_257
; %bb.254:                              ;   in Loop: Header=BB258_16 Depth=1
	v_and_b32_e32 v28, 7, v1
	v_lshrrev_b32_e32 v1, 3, v2
	s_mov_b32 s25, exec_lo
	v_cmpx_gt_u32_e32 8, v2
; %bb.255:                              ;   in Loop: Header=BB258_16 Depth=1
	s_delay_alu instid0(VALU_DEP_3) | instskip(NEXT) | instid1(VALU_DEP_1)
	v_clz_i32_u32_e32 v1, v28
	v_min_u32_e32 v1, 32, v1
	s_delay_alu instid0(VALU_DEP_1) | instskip(SKIP_1) | instid1(VALU_DEP_2)
	v_subrev_nc_u32_e32 v2, 28, v1
	v_sub_nc_u32_e32 v1, 29, v1
	v_lshlrev_b64 v[2:3], v2, v[28:29]
	s_delay_alu instid0(VALU_DEP_1)
	v_and_b32_e32 v28, 7, v2
; %bb.256:                              ;   in Loop: Header=BB258_16 Depth=1
	s_or_b32 exec_lo, exec_lo, s25
	v_lshlrev_b32_e32 v2, 16, v0
	s_delay_alu instid0(VALU_DEP_2) | instskip(SKIP_1) | instid1(VALU_DEP_3)
	v_dual_mov_b32 v154, v29 :: v_dual_lshlrev_b32 v3, 20, v28
	v_lshl_add_u32 v1, v1, 23, 0x3c000000
	v_and_b32_e32 v2, 0x80000000, v2
	s_delay_alu instid0(VALU_DEP_1)
	v_or3_b32 v155, v3, v2, v1
.LBB258_257:                            ;   in Loop: Header=BB258_16 Depth=1
	s_or_b32 exec_lo, exec_lo, s2
.LBB258_258:                            ;   in Loop: Header=BB258_16 Depth=1
	s_delay_alu instid0(SALU_CYCLE_1)
	s_or_b32 exec_lo, exec_lo, s24
.LBB258_259:                            ;   in Loop: Header=BB258_16 Depth=1
	s_delay_alu instid0(SALU_CYCLE_1) | instskip(SKIP_4) | instid1(VALU_DEP_1)
	s_or_b32 exec_lo, exec_lo, s23
	v_mov_b32_e32 v158, 0
	v_lshrrev_b32_e32 v1, 16, v0
	v_mov_b32_e32 v159, 0
	s_mov_b32 s2, exec_lo
	v_dual_mov_b32 v169, v159 :: v_dual_and_b32 v2, 0xff, v1
	v_mov_b32_e32 v168, v158
	s_delay_alu instid0(VALU_DEP_2)
	v_cmpx_ne_u16_e32 0, v2
	s_cbranch_execz .LBB258_267
; %bb.260:                              ;   in Loop: Header=BB258_16 Depth=1
	v_bfrev_b32_e32 v168, 1
	v_mov_b32_e32 v169, 0
	s_mov_b32 s23, exec_lo
	v_cmpx_ne_u16_e32 0x80, v2
	s_cbranch_execz .LBB258_266
; %bb.261:                              ;   in Loop: Header=BB258_16 Depth=1
	v_mov_b32_e32 v168, 0x7f800001
	v_bfe_u32 v3, v0, 16, 7
	v_mov_b32_e32 v169, 0
	s_mov_b32 s24, exec_lo
	s_delay_alu instid0(VALU_DEP_2)
	v_cmpx_ne_u32_e32 0x7f, v3
	s_cbranch_execz .LBB258_265
; %bb.262:                              ;   in Loop: Header=BB258_16 Depth=1
	v_and_b32_e32 v28, 7, v1
	v_lshrrev_b32_e32 v2, 3, v3
	s_mov_b32 s25, exec_lo
	v_cmpx_gt_u32_e32 8, v3
; %bb.263:                              ;   in Loop: Header=BB258_16 Depth=1
	s_delay_alu instid0(VALU_DEP_3) | instskip(NEXT) | instid1(VALU_DEP_1)
	v_clz_i32_u32_e32 v2, v28
	v_min_u32_e32 v2, 32, v2
	s_delay_alu instid0(VALU_DEP_1) | instskip(SKIP_1) | instid1(VALU_DEP_2)
	v_subrev_nc_u32_e32 v3, 28, v2
	v_sub_nc_u32_e32 v2, 29, v2
	v_lshlrev_b64 v[3:4], v3, v[28:29]
	s_delay_alu instid0(VALU_DEP_1)
	v_and_b32_e32 v28, 7, v3
; %bb.264:                              ;   in Loop: Header=BB258_16 Depth=1
	s_or_b32 exec_lo, exec_lo, s25
	v_lshlrev_b32_e32 v1, 24, v1
	s_delay_alu instid0(VALU_DEP_2) | instskip(SKIP_1) | instid1(VALU_DEP_3)
	v_lshlrev_b32_e32 v3, 20, v28
	v_lshl_add_u32 v2, v2, 23, 0x3c000000
	v_and_b32_e32 v1, 0x80000000, v1
	s_delay_alu instid0(VALU_DEP_1) | instskip(NEXT) | instid1(VALU_DEP_1)
	v_or3_b32 v28, v3, v1, v2
	v_dual_mov_b32 v169, v29 :: v_dual_mov_b32 v168, v28
.LBB258_265:                            ;   in Loop: Header=BB258_16 Depth=1
	s_or_b32 exec_lo, exec_lo, s24
.LBB258_266:                            ;   in Loop: Header=BB258_16 Depth=1
	s_delay_alu instid0(SALU_CYCLE_1)
	s_or_b32 exec_lo, exec_lo, s23
.LBB258_267:                            ;   in Loop: Header=BB258_16 Depth=1
	s_delay_alu instid0(SALU_CYCLE_1) | instskip(NEXT) | instid1(SALU_CYCLE_1)
	s_or_b32 exec_lo, exec_lo, s2
	s_mov_b32 s23, exec_lo
	v_cmpx_lt_u32_e32 0xffffff, v0
	s_cbranch_execz .LBB258_275
; %bb.268:                              ;   in Loop: Header=BB258_16 Depth=1
	v_lshrrev_b32_e32 v1, 24, v0
	v_dual_mov_b32 v159, s17 :: v_dual_mov_b32 v158, s16
	s_mov_b32 s24, exec_lo
	s_delay_alu instid0(VALU_DEP_2)
	v_cmpx_ne_u32_e32 0x80, v1
	s_cbranch_execz .LBB258_274
; %bb.269:                              ;   in Loop: Header=BB258_16 Depth=1
	s_mov_b32 s2, s16
	v_bfe_u32 v2, v0, 24, 7
	v_dual_mov_b32 v159, s3 :: v_dual_mov_b32 v158, s2
	s_mov_b32 s2, exec_lo
	s_delay_alu instid0(VALU_DEP_2)
	v_cmpx_ne_u32_e32 0x7f, v2
	s_cbranch_execz .LBB258_273
; %bb.270:                              ;   in Loop: Header=BB258_16 Depth=1
	v_and_b32_e32 v28, 7, v1
	v_lshrrev_b32_e32 v0, 3, v2
	s_mov_b32 s25, exec_lo
	v_cmpx_gt_u32_e32 8, v2
; %bb.271:                              ;   in Loop: Header=BB258_16 Depth=1
	s_delay_alu instid0(VALU_DEP_3) | instskip(NEXT) | instid1(VALU_DEP_1)
	v_clz_i32_u32_e32 v0, v28
	v_min_u32_e32 v0, 32, v0
	s_delay_alu instid0(VALU_DEP_1) | instskip(SKIP_1) | instid1(VALU_DEP_2)
	v_subrev_nc_u32_e32 v2, 28, v0
	v_sub_nc_u32_e32 v0, 29, v0
	v_lshlrev_b64 v[2:3], v2, v[28:29]
	s_delay_alu instid0(VALU_DEP_1)
	v_and_b32_e32 v28, 7, v2
; %bb.272:                              ;   in Loop: Header=BB258_16 Depth=1
	s_or_b32 exec_lo, exec_lo, s25
	v_dual_mov_b32 v158, v29 :: v_dual_lshlrev_b32 v1, 24, v1
	s_delay_alu instid0(VALU_DEP_2) | instskip(SKIP_1) | instid1(VALU_DEP_3)
	v_lshlrev_b32_e32 v2, 20, v28
	v_lshl_add_u32 v0, v0, 23, 0x3c000000
	v_and_b32_e32 v1, 0x80000000, v1
	s_delay_alu instid0(VALU_DEP_1)
	v_or3_b32 v159, v2, v1, v0
.LBB258_273:                            ;   in Loop: Header=BB258_16 Depth=1
	s_or_b32 exec_lo, exec_lo, s2
.LBB258_274:                            ;   in Loop: Header=BB258_16 Depth=1
	s_delay_alu instid0(SALU_CYCLE_1)
	s_or_b32 exec_lo, exec_lo, s24
.LBB258_275:                            ;   in Loop: Header=BB258_16 Depth=1
	s_delay_alu instid0(SALU_CYCLE_1) | instskip(SKIP_4) | instid1(VALU_DEP_1)
	s_or_b32 exec_lo, exec_lo, s23
	flat_load_b32 v0, v[72:73] offset:1024
	v_mov_b32_e32 v170, 0
	v_mov_b32_e32 v171, 0
	s_mov_b32 s2, exec_lo
	v_dual_mov_b32 v173, v171 :: v_dual_mov_b32 v172, v170
	s_waitcnt vmcnt(0) lgkmcnt(0)
	v_and_b32_e32 v1, 0xff, v0
	s_delay_alu instid0(VALU_DEP_1)
	v_cmpx_ne_u16_e32 0, v1
	s_cbranch_execz .LBB258_283
; %bb.276:                              ;   in Loop: Header=BB258_16 Depth=1
	v_bfrev_b32_e32 v172, 1
	v_mov_b32_e32 v173, 0
	s_mov_b32 s23, exec_lo
	v_cmpx_ne_u16_e32 0x80, v1
	s_cbranch_execz .LBB258_282
; %bb.277:                              ;   in Loop: Header=BB258_16 Depth=1
	v_mov_b32_e32 v172, 0x7f800001
	v_dual_mov_b32 v173, 0 :: v_dual_and_b32 v2, 0x7f, v0
	s_mov_b32 s24, exec_lo
	s_delay_alu instid0(VALU_DEP_1)
	v_cmpx_ne_u32_e32 0x7f, v2
	s_cbranch_execz .LBB258_281
; %bb.278:                              ;   in Loop: Header=BB258_16 Depth=1
	v_and_b32_e32 v28, 7, v0
	v_lshrrev_b32_e32 v1, 3, v2
	s_mov_b32 s25, exec_lo
	v_cmpx_gt_u32_e32 8, v2
; %bb.279:                              ;   in Loop: Header=BB258_16 Depth=1
	s_delay_alu instid0(VALU_DEP_3) | instskip(NEXT) | instid1(VALU_DEP_1)
	v_clz_i32_u32_e32 v1, v28
	v_min_u32_e32 v1, 32, v1
	s_delay_alu instid0(VALU_DEP_1) | instskip(SKIP_1) | instid1(VALU_DEP_2)
	v_subrev_nc_u32_e32 v2, 28, v1
	v_sub_nc_u32_e32 v1, 29, v1
	v_lshlrev_b64 v[2:3], v2, v[28:29]
	s_delay_alu instid0(VALU_DEP_1)
	v_and_b32_e32 v28, 7, v2
; %bb.280:                              ;   in Loop: Header=BB258_16 Depth=1
	s_or_b32 exec_lo, exec_lo, s25
	v_lshlrev_b32_e32 v2, 24, v0
	s_delay_alu instid0(VALU_DEP_2) | instskip(SKIP_1) | instid1(VALU_DEP_3)
	v_lshlrev_b32_e32 v3, 20, v28
	v_lshl_add_u32 v1, v1, 23, 0x3c000000
	v_and_b32_e32 v2, 0x80000000, v2
	s_delay_alu instid0(VALU_DEP_1) | instskip(NEXT) | instid1(VALU_DEP_1)
	v_or3_b32 v28, v3, v2, v1
	v_dual_mov_b32 v173, v29 :: v_dual_mov_b32 v172, v28
.LBB258_281:                            ;   in Loop: Header=BB258_16 Depth=1
	s_or_b32 exec_lo, exec_lo, s24
.LBB258_282:                            ;   in Loop: Header=BB258_16 Depth=1
	s_delay_alu instid0(SALU_CYCLE_1)
	s_or_b32 exec_lo, exec_lo, s23
.LBB258_283:                            ;   in Loop: Header=BB258_16 Depth=1
	s_delay_alu instid0(SALU_CYCLE_1) | instskip(SKIP_2) | instid1(VALU_DEP_1)
	s_or_b32 exec_lo, exec_lo, s2
	v_lshrrev_b16 v1, 8, v0
	s_mov_b32 s23, exec_lo
	v_cmpx_ne_u16_e32 0, v1
	s_cbranch_execz .LBB258_291
; %bb.284:                              ;   in Loop: Header=BB258_16 Depth=1
	v_dual_mov_b32 v171, s17 :: v_dual_mov_b32 v170, s16
	s_mov_b32 s24, exec_lo
	v_cmpx_ne_u16_e32 0x80, v1
	s_cbranch_execz .LBB258_290
; %bb.285:                              ;   in Loop: Header=BB258_16 Depth=1
	s_mov_b32 s2, s16
	v_and_b32_e32 v1, 0xffff, v1
	v_dual_mov_b32 v171, s3 :: v_dual_mov_b32 v170, s2
	s_mov_b32 s2, exec_lo
	s_delay_alu instid0(VALU_DEP_2) | instskip(NEXT) | instid1(VALU_DEP_1)
	v_and_b32_e32 v2, 0x7f, v1
	v_cmpx_ne_u32_e32 0x7f, v2
	s_cbranch_execz .LBB258_289
; %bb.286:                              ;   in Loop: Header=BB258_16 Depth=1
	v_and_b32_e32 v28, 7, v1
	v_lshrrev_b32_e32 v1, 3, v2
	s_mov_b32 s25, exec_lo
	v_cmpx_gt_u32_e32 8, v2
; %bb.287:                              ;   in Loop: Header=BB258_16 Depth=1
	s_delay_alu instid0(VALU_DEP_3) | instskip(NEXT) | instid1(VALU_DEP_1)
	v_clz_i32_u32_e32 v1, v28
	v_min_u32_e32 v1, 32, v1
	s_delay_alu instid0(VALU_DEP_1) | instskip(SKIP_1) | instid1(VALU_DEP_2)
	v_subrev_nc_u32_e32 v2, 28, v1
	v_sub_nc_u32_e32 v1, 29, v1
	v_lshlrev_b64 v[2:3], v2, v[28:29]
	s_delay_alu instid0(VALU_DEP_1)
	v_and_b32_e32 v28, 7, v2
; %bb.288:                              ;   in Loop: Header=BB258_16 Depth=1
	s_or_b32 exec_lo, exec_lo, s25
	v_lshlrev_b32_e32 v2, 16, v0
	s_delay_alu instid0(VALU_DEP_2) | instskip(SKIP_1) | instid1(VALU_DEP_3)
	v_dual_mov_b32 v170, v29 :: v_dual_lshlrev_b32 v3, 20, v28
	v_lshl_add_u32 v1, v1, 23, 0x3c000000
	v_and_b32_e32 v2, 0x80000000, v2
	s_delay_alu instid0(VALU_DEP_1)
	v_or3_b32 v171, v3, v2, v1
.LBB258_289:                            ;   in Loop: Header=BB258_16 Depth=1
	s_or_b32 exec_lo, exec_lo, s2
.LBB258_290:                            ;   in Loop: Header=BB258_16 Depth=1
	s_delay_alu instid0(SALU_CYCLE_1)
	s_or_b32 exec_lo, exec_lo, s24
.LBB258_291:                            ;   in Loop: Header=BB258_16 Depth=1
	s_delay_alu instid0(SALU_CYCLE_1) | instskip(SKIP_4) | instid1(VALU_DEP_1)
	s_or_b32 exec_lo, exec_lo, s23
	v_mov_b32_e32 v174, 0
	v_lshrrev_b32_e32 v1, 16, v0
	v_mov_b32_e32 v175, 0
	s_mov_b32 s2, exec_lo
	v_dual_mov_b32 v185, v175 :: v_dual_and_b32 v2, 0xff, v1
	v_mov_b32_e32 v184, v174
	s_delay_alu instid0(VALU_DEP_2)
	v_cmpx_ne_u16_e32 0, v2
	s_cbranch_execz .LBB258_299
; %bb.292:                              ;   in Loop: Header=BB258_16 Depth=1
	v_bfrev_b32_e32 v184, 1
	v_mov_b32_e32 v185, 0
	s_mov_b32 s23, exec_lo
	v_cmpx_ne_u16_e32 0x80, v2
	s_cbranch_execz .LBB258_298
; %bb.293:                              ;   in Loop: Header=BB258_16 Depth=1
	v_mov_b32_e32 v184, 0x7f800001
	v_bfe_u32 v3, v0, 16, 7
	v_mov_b32_e32 v185, 0
	s_mov_b32 s24, exec_lo
	s_delay_alu instid0(VALU_DEP_2)
	v_cmpx_ne_u32_e32 0x7f, v3
	s_cbranch_execz .LBB258_297
; %bb.294:                              ;   in Loop: Header=BB258_16 Depth=1
	v_and_b32_e32 v28, 7, v1
	v_lshrrev_b32_e32 v2, 3, v3
	s_mov_b32 s25, exec_lo
	v_cmpx_gt_u32_e32 8, v3
; %bb.295:                              ;   in Loop: Header=BB258_16 Depth=1
	s_delay_alu instid0(VALU_DEP_3) | instskip(NEXT) | instid1(VALU_DEP_1)
	v_clz_i32_u32_e32 v2, v28
	v_min_u32_e32 v2, 32, v2
	s_delay_alu instid0(VALU_DEP_1) | instskip(SKIP_1) | instid1(VALU_DEP_2)
	v_subrev_nc_u32_e32 v3, 28, v2
	v_sub_nc_u32_e32 v2, 29, v2
	v_lshlrev_b64 v[3:4], v3, v[28:29]
	s_delay_alu instid0(VALU_DEP_1)
	v_and_b32_e32 v28, 7, v3
; %bb.296:                              ;   in Loop: Header=BB258_16 Depth=1
	s_or_b32 exec_lo, exec_lo, s25
	v_lshlrev_b32_e32 v1, 24, v1
	s_delay_alu instid0(VALU_DEP_2) | instskip(SKIP_1) | instid1(VALU_DEP_3)
	v_lshlrev_b32_e32 v3, 20, v28
	v_lshl_add_u32 v2, v2, 23, 0x3c000000
	v_and_b32_e32 v1, 0x80000000, v1
	s_delay_alu instid0(VALU_DEP_1) | instskip(NEXT) | instid1(VALU_DEP_1)
	v_or3_b32 v28, v3, v1, v2
	v_dual_mov_b32 v185, v29 :: v_dual_mov_b32 v184, v28
.LBB258_297:                            ;   in Loop: Header=BB258_16 Depth=1
	s_or_b32 exec_lo, exec_lo, s24
.LBB258_298:                            ;   in Loop: Header=BB258_16 Depth=1
	s_delay_alu instid0(SALU_CYCLE_1)
	s_or_b32 exec_lo, exec_lo, s23
.LBB258_299:                            ;   in Loop: Header=BB258_16 Depth=1
	s_delay_alu instid0(SALU_CYCLE_1) | instskip(NEXT) | instid1(SALU_CYCLE_1)
	s_or_b32 exec_lo, exec_lo, s2
	s_mov_b32 s23, exec_lo
	v_cmpx_lt_u32_e32 0xffffff, v0
	s_cbranch_execz .LBB258_307
; %bb.300:                              ;   in Loop: Header=BB258_16 Depth=1
	v_lshrrev_b32_e32 v1, 24, v0
	v_dual_mov_b32 v175, s17 :: v_dual_mov_b32 v174, s16
	s_mov_b32 s24, exec_lo
	s_delay_alu instid0(VALU_DEP_2)
	v_cmpx_ne_u32_e32 0x80, v1
	s_cbranch_execz .LBB258_306
; %bb.301:                              ;   in Loop: Header=BB258_16 Depth=1
	s_mov_b32 s2, s16
	v_bfe_u32 v2, v0, 24, 7
	v_dual_mov_b32 v175, s3 :: v_dual_mov_b32 v174, s2
	s_mov_b32 s2, exec_lo
	s_delay_alu instid0(VALU_DEP_2)
	v_cmpx_ne_u32_e32 0x7f, v2
	s_cbranch_execz .LBB258_305
; %bb.302:                              ;   in Loop: Header=BB258_16 Depth=1
	v_and_b32_e32 v28, 7, v1
	v_lshrrev_b32_e32 v0, 3, v2
	s_mov_b32 s25, exec_lo
	v_cmpx_gt_u32_e32 8, v2
; %bb.303:                              ;   in Loop: Header=BB258_16 Depth=1
	s_delay_alu instid0(VALU_DEP_3) | instskip(NEXT) | instid1(VALU_DEP_1)
	v_clz_i32_u32_e32 v0, v28
	v_min_u32_e32 v0, 32, v0
	s_delay_alu instid0(VALU_DEP_1) | instskip(SKIP_1) | instid1(VALU_DEP_2)
	v_subrev_nc_u32_e32 v2, 28, v0
	v_sub_nc_u32_e32 v0, 29, v0
	v_lshlrev_b64 v[2:3], v2, v[28:29]
	s_delay_alu instid0(VALU_DEP_1)
	v_and_b32_e32 v28, 7, v2
; %bb.304:                              ;   in Loop: Header=BB258_16 Depth=1
	s_or_b32 exec_lo, exec_lo, s25
	v_dual_mov_b32 v174, v29 :: v_dual_lshlrev_b32 v1, 24, v1
	s_delay_alu instid0(VALU_DEP_2) | instskip(SKIP_1) | instid1(VALU_DEP_3)
	v_lshlrev_b32_e32 v2, 20, v28
	v_lshl_add_u32 v0, v0, 23, 0x3c000000
	v_and_b32_e32 v1, 0x80000000, v1
	s_delay_alu instid0(VALU_DEP_1)
	v_or3_b32 v175, v2, v1, v0
.LBB258_305:                            ;   in Loop: Header=BB258_16 Depth=1
	s_or_b32 exec_lo, exec_lo, s2
.LBB258_306:                            ;   in Loop: Header=BB258_16 Depth=1
	s_delay_alu instid0(SALU_CYCLE_1)
	s_or_b32 exec_lo, exec_lo, s24
.LBB258_307:                            ;   in Loop: Header=BB258_16 Depth=1
	s_delay_alu instid0(SALU_CYCLE_1) | instskip(SKIP_4) | instid1(VALU_DEP_1)
	s_or_b32 exec_lo, exec_lo, s23
	flat_load_b32 v0, v[72:73] offset:1028
	v_mov_b32_e32 v186, 0
	v_mov_b32_e32 v187, 0
	s_mov_b32 s2, exec_lo
	v_dual_mov_b32 v189, v187 :: v_dual_mov_b32 v188, v186
	s_waitcnt vmcnt(0) lgkmcnt(0)
	v_and_b32_e32 v1, 0xff, v0
	s_delay_alu instid0(VALU_DEP_1)
	v_cmpx_ne_u16_e32 0, v1
	s_cbranch_execz .LBB258_315
; %bb.308:                              ;   in Loop: Header=BB258_16 Depth=1
	v_bfrev_b32_e32 v188, 1
	v_mov_b32_e32 v189, 0
	s_mov_b32 s23, exec_lo
	v_cmpx_ne_u16_e32 0x80, v1
	s_cbranch_execz .LBB258_314
; %bb.309:                              ;   in Loop: Header=BB258_16 Depth=1
	v_mov_b32_e32 v188, 0x7f800001
	v_dual_mov_b32 v189, 0 :: v_dual_and_b32 v2, 0x7f, v0
	s_mov_b32 s24, exec_lo
	s_delay_alu instid0(VALU_DEP_1)
	v_cmpx_ne_u32_e32 0x7f, v2
	s_cbranch_execz .LBB258_313
; %bb.310:                              ;   in Loop: Header=BB258_16 Depth=1
	v_and_b32_e32 v28, 7, v0
	v_lshrrev_b32_e32 v1, 3, v2
	s_mov_b32 s25, exec_lo
	v_cmpx_gt_u32_e32 8, v2
; %bb.311:                              ;   in Loop: Header=BB258_16 Depth=1
	s_delay_alu instid0(VALU_DEP_3) | instskip(NEXT) | instid1(VALU_DEP_1)
	v_clz_i32_u32_e32 v1, v28
	v_min_u32_e32 v1, 32, v1
	s_delay_alu instid0(VALU_DEP_1) | instskip(SKIP_1) | instid1(VALU_DEP_2)
	v_subrev_nc_u32_e32 v2, 28, v1
	v_sub_nc_u32_e32 v1, 29, v1
	v_lshlrev_b64 v[2:3], v2, v[28:29]
	s_delay_alu instid0(VALU_DEP_1)
	v_and_b32_e32 v28, 7, v2
; %bb.312:                              ;   in Loop: Header=BB258_16 Depth=1
	s_or_b32 exec_lo, exec_lo, s25
	v_lshlrev_b32_e32 v2, 24, v0
	s_delay_alu instid0(VALU_DEP_2) | instskip(SKIP_1) | instid1(VALU_DEP_3)
	v_lshlrev_b32_e32 v3, 20, v28
	v_lshl_add_u32 v1, v1, 23, 0x3c000000
	v_and_b32_e32 v2, 0x80000000, v2
	s_delay_alu instid0(VALU_DEP_1) | instskip(NEXT) | instid1(VALU_DEP_1)
	v_or3_b32 v28, v3, v2, v1
	v_dual_mov_b32 v189, v29 :: v_dual_mov_b32 v188, v28
.LBB258_313:                            ;   in Loop: Header=BB258_16 Depth=1
	s_or_b32 exec_lo, exec_lo, s24
.LBB258_314:                            ;   in Loop: Header=BB258_16 Depth=1
	s_delay_alu instid0(SALU_CYCLE_1)
	s_or_b32 exec_lo, exec_lo, s23
.LBB258_315:                            ;   in Loop: Header=BB258_16 Depth=1
	s_delay_alu instid0(SALU_CYCLE_1) | instskip(SKIP_2) | instid1(VALU_DEP_1)
	s_or_b32 exec_lo, exec_lo, s2
	v_lshrrev_b16 v1, 8, v0
	s_mov_b32 s23, exec_lo
	v_cmpx_ne_u16_e32 0, v1
	s_cbranch_execz .LBB258_323
; %bb.316:                              ;   in Loop: Header=BB258_16 Depth=1
	v_dual_mov_b32 v187, s17 :: v_dual_mov_b32 v186, s16
	s_mov_b32 s24, exec_lo
	v_cmpx_ne_u16_e32 0x80, v1
	s_cbranch_execz .LBB258_322
; %bb.317:                              ;   in Loop: Header=BB258_16 Depth=1
	s_mov_b32 s2, s16
	v_and_b32_e32 v1, 0xffff, v1
	v_dual_mov_b32 v187, s3 :: v_dual_mov_b32 v186, s2
	s_mov_b32 s2, exec_lo
	s_delay_alu instid0(VALU_DEP_2) | instskip(NEXT) | instid1(VALU_DEP_1)
	v_and_b32_e32 v2, 0x7f, v1
	v_cmpx_ne_u32_e32 0x7f, v2
	s_cbranch_execz .LBB258_321
; %bb.318:                              ;   in Loop: Header=BB258_16 Depth=1
	v_and_b32_e32 v28, 7, v1
	v_lshrrev_b32_e32 v1, 3, v2
	s_mov_b32 s25, exec_lo
	v_cmpx_gt_u32_e32 8, v2
; %bb.319:                              ;   in Loop: Header=BB258_16 Depth=1
	s_delay_alu instid0(VALU_DEP_3) | instskip(NEXT) | instid1(VALU_DEP_1)
	v_clz_i32_u32_e32 v1, v28
	v_min_u32_e32 v1, 32, v1
	s_delay_alu instid0(VALU_DEP_1) | instskip(SKIP_1) | instid1(VALU_DEP_2)
	v_subrev_nc_u32_e32 v2, 28, v1
	v_sub_nc_u32_e32 v1, 29, v1
	v_lshlrev_b64 v[2:3], v2, v[28:29]
	s_delay_alu instid0(VALU_DEP_1)
	v_and_b32_e32 v28, 7, v2
; %bb.320:                              ;   in Loop: Header=BB258_16 Depth=1
	s_or_b32 exec_lo, exec_lo, s25
	v_lshlrev_b32_e32 v2, 16, v0
	s_delay_alu instid0(VALU_DEP_2) | instskip(SKIP_1) | instid1(VALU_DEP_3)
	v_dual_mov_b32 v186, v29 :: v_dual_lshlrev_b32 v3, 20, v28
	v_lshl_add_u32 v1, v1, 23, 0x3c000000
	v_and_b32_e32 v2, 0x80000000, v2
	s_delay_alu instid0(VALU_DEP_1)
	v_or3_b32 v187, v3, v2, v1
.LBB258_321:                            ;   in Loop: Header=BB258_16 Depth=1
	s_or_b32 exec_lo, exec_lo, s2
.LBB258_322:                            ;   in Loop: Header=BB258_16 Depth=1
	s_delay_alu instid0(SALU_CYCLE_1)
	s_or_b32 exec_lo, exec_lo, s24
.LBB258_323:                            ;   in Loop: Header=BB258_16 Depth=1
	s_delay_alu instid0(SALU_CYCLE_1) | instskip(SKIP_4) | instid1(VALU_DEP_2)
	s_or_b32 exec_lo, exec_lo, s23
	v_mov_b32_e32 v190, 0
	v_lshrrev_b32_e32 v1, 16, v0
	v_mov_b32_e32 v191, 0
	s_mov_b32 s2, exec_lo
	v_and_b32_e32 v2, 0xff, v1
	s_delay_alu instid0(VALU_DEP_2) | instskip(NEXT) | instid1(VALU_DEP_2)
	v_dual_mov_b32 v178, v190 :: v_dual_mov_b32 v179, v191
	v_cmpx_ne_u16_e32 0, v2
	s_cbranch_execz .LBB258_331
; %bb.324:                              ;   in Loop: Header=BB258_16 Depth=1
	v_bfrev_b32_e32 v178, 1
	v_mov_b32_e32 v179, 0
	s_mov_b32 s23, exec_lo
	v_cmpx_ne_u16_e32 0x80, v2
	s_cbranch_execz .LBB258_330
; %bb.325:                              ;   in Loop: Header=BB258_16 Depth=1
	v_mov_b32_e32 v178, 0x7f800001
	v_bfe_u32 v3, v0, 16, 7
	v_mov_b32_e32 v179, 0
	s_mov_b32 s24, exec_lo
	s_delay_alu instid0(VALU_DEP_2)
	v_cmpx_ne_u32_e32 0x7f, v3
	s_cbranch_execz .LBB258_329
; %bb.326:                              ;   in Loop: Header=BB258_16 Depth=1
	v_and_b32_e32 v28, 7, v1
	v_lshrrev_b32_e32 v2, 3, v3
	s_mov_b32 s25, exec_lo
	v_cmpx_gt_u32_e32 8, v3
; %bb.327:                              ;   in Loop: Header=BB258_16 Depth=1
	s_delay_alu instid0(VALU_DEP_3) | instskip(NEXT) | instid1(VALU_DEP_1)
	v_clz_i32_u32_e32 v2, v28
	v_min_u32_e32 v2, 32, v2
	s_delay_alu instid0(VALU_DEP_1) | instskip(SKIP_1) | instid1(VALU_DEP_2)
	v_subrev_nc_u32_e32 v3, 28, v2
	v_sub_nc_u32_e32 v2, 29, v2
	v_lshlrev_b64 v[3:4], v3, v[28:29]
	s_delay_alu instid0(VALU_DEP_1)
	v_and_b32_e32 v28, 7, v3
; %bb.328:                              ;   in Loop: Header=BB258_16 Depth=1
	s_or_b32 exec_lo, exec_lo, s25
	v_lshlrev_b32_e32 v1, 24, v1
	s_delay_alu instid0(VALU_DEP_2) | instskip(SKIP_1) | instid1(VALU_DEP_3)
	v_lshlrev_b32_e32 v3, 20, v28
	v_lshl_add_u32 v2, v2, 23, 0x3c000000
	v_and_b32_e32 v1, 0x80000000, v1
	s_delay_alu instid0(VALU_DEP_1) | instskip(NEXT) | instid1(VALU_DEP_1)
	v_or3_b32 v28, v3, v1, v2
	v_dual_mov_b32 v179, v29 :: v_dual_mov_b32 v178, v28
.LBB258_329:                            ;   in Loop: Header=BB258_16 Depth=1
	s_or_b32 exec_lo, exec_lo, s24
.LBB258_330:                            ;   in Loop: Header=BB258_16 Depth=1
	s_delay_alu instid0(SALU_CYCLE_1)
	s_or_b32 exec_lo, exec_lo, s23
.LBB258_331:                            ;   in Loop: Header=BB258_16 Depth=1
	s_delay_alu instid0(SALU_CYCLE_1) | instskip(NEXT) | instid1(SALU_CYCLE_1)
	s_or_b32 exec_lo, exec_lo, s2
	s_mov_b32 s23, exec_lo
	v_cmpx_lt_u32_e32 0xffffff, v0
	s_cbranch_execz .LBB258_339
; %bb.332:                              ;   in Loop: Header=BB258_16 Depth=1
	v_lshrrev_b32_e32 v1, 24, v0
	v_dual_mov_b32 v191, s17 :: v_dual_mov_b32 v190, s16
	s_mov_b32 s24, exec_lo
	s_delay_alu instid0(VALU_DEP_2)
	v_cmpx_ne_u32_e32 0x80, v1
	s_cbranch_execz .LBB258_338
; %bb.333:                              ;   in Loop: Header=BB258_16 Depth=1
	s_mov_b32 s2, s16
	v_bfe_u32 v2, v0, 24, 7
	v_dual_mov_b32 v191, s3 :: v_dual_mov_b32 v190, s2
	s_mov_b32 s2, exec_lo
	s_delay_alu instid0(VALU_DEP_2)
	v_cmpx_ne_u32_e32 0x7f, v2
	s_cbranch_execz .LBB258_337
; %bb.334:                              ;   in Loop: Header=BB258_16 Depth=1
	v_and_b32_e32 v28, 7, v1
	v_lshrrev_b32_e32 v0, 3, v2
	s_mov_b32 s25, exec_lo
	v_cmpx_gt_u32_e32 8, v2
; %bb.335:                              ;   in Loop: Header=BB258_16 Depth=1
	s_delay_alu instid0(VALU_DEP_3) | instskip(NEXT) | instid1(VALU_DEP_1)
	v_clz_i32_u32_e32 v0, v28
	v_min_u32_e32 v0, 32, v0
	s_delay_alu instid0(VALU_DEP_1) | instskip(SKIP_1) | instid1(VALU_DEP_2)
	v_subrev_nc_u32_e32 v2, 28, v0
	v_sub_nc_u32_e32 v0, 29, v0
	v_lshlrev_b64 v[2:3], v2, v[28:29]
	s_delay_alu instid0(VALU_DEP_1)
	v_and_b32_e32 v28, 7, v2
; %bb.336:                              ;   in Loop: Header=BB258_16 Depth=1
	s_or_b32 exec_lo, exec_lo, s25
	v_dual_mov_b32 v190, v29 :: v_dual_lshlrev_b32 v1, 24, v1
	s_delay_alu instid0(VALU_DEP_2) | instskip(SKIP_1) | instid1(VALU_DEP_3)
	v_lshlrev_b32_e32 v2, 20, v28
	v_lshl_add_u32 v0, v0, 23, 0x3c000000
	v_and_b32_e32 v1, 0x80000000, v1
	s_delay_alu instid0(VALU_DEP_1)
	v_or3_b32 v191, v2, v1, v0
.LBB258_337:                            ;   in Loop: Header=BB258_16 Depth=1
	s_or_b32 exec_lo, exec_lo, s2
.LBB258_338:                            ;   in Loop: Header=BB258_16 Depth=1
	s_delay_alu instid0(SALU_CYCLE_1)
	s_or_b32 exec_lo, exec_lo, s24
.LBB258_339:                            ;   in Loop: Header=BB258_16 Depth=1
	s_delay_alu instid0(SALU_CYCLE_1) | instskip(SKIP_4) | instid1(VALU_DEP_1)
	s_or_b32 exec_lo, exec_lo, s23
	flat_load_b32 v0, v[72:73] offset:1032
	v_mov_b32_e32 v4, 0
	v_mov_b32_e32 v5, 0
	s_mov_b32 s2, exec_lo
	v_dual_mov_b32 v181, v5 :: v_dual_mov_b32 v180, v4
	s_waitcnt vmcnt(0) lgkmcnt(0)
	v_and_b32_e32 v1, 0xff, v0
	s_delay_alu instid0(VALU_DEP_1)
	v_cmpx_ne_u16_e32 0, v1
	s_cbranch_execz .LBB258_347
; %bb.340:                              ;   in Loop: Header=BB258_16 Depth=1
	v_bfrev_b32_e32 v180, 1
	v_mov_b32_e32 v181, 0
	s_mov_b32 s23, exec_lo
	v_cmpx_ne_u16_e32 0x80, v1
	s_cbranch_execz .LBB258_346
; %bb.341:                              ;   in Loop: Header=BB258_16 Depth=1
	v_mov_b32_e32 v180, 0x7f800001
	v_dual_mov_b32 v181, 0 :: v_dual_and_b32 v2, 0x7f, v0
	s_mov_b32 s24, exec_lo
	s_delay_alu instid0(VALU_DEP_1)
	v_cmpx_ne_u32_e32 0x7f, v2
	s_cbranch_execz .LBB258_345
; %bb.342:                              ;   in Loop: Header=BB258_16 Depth=1
	v_and_b32_e32 v28, 7, v0
	v_lshrrev_b32_e32 v1, 3, v2
	s_mov_b32 s25, exec_lo
	v_cmpx_gt_u32_e32 8, v2
; %bb.343:                              ;   in Loop: Header=BB258_16 Depth=1
	s_delay_alu instid0(VALU_DEP_3) | instskip(NEXT) | instid1(VALU_DEP_1)
	v_clz_i32_u32_e32 v1, v28
	v_min_u32_e32 v1, 32, v1
	s_delay_alu instid0(VALU_DEP_1) | instskip(SKIP_1) | instid1(VALU_DEP_2)
	v_subrev_nc_u32_e32 v2, 28, v1
	v_sub_nc_u32_e32 v1, 29, v1
	v_lshlrev_b64 v[2:3], v2, v[28:29]
	s_delay_alu instid0(VALU_DEP_1)
	v_and_b32_e32 v28, 7, v2
; %bb.344:                              ;   in Loop: Header=BB258_16 Depth=1
	s_or_b32 exec_lo, exec_lo, s25
	v_lshlrev_b32_e32 v2, 24, v0
	s_delay_alu instid0(VALU_DEP_2) | instskip(SKIP_1) | instid1(VALU_DEP_3)
	v_lshlrev_b32_e32 v3, 20, v28
	v_lshl_add_u32 v1, v1, 23, 0x3c000000
	v_and_b32_e32 v2, 0x80000000, v2
	s_delay_alu instid0(VALU_DEP_1) | instskip(NEXT) | instid1(VALU_DEP_1)
	v_or3_b32 v28, v3, v2, v1
	v_dual_mov_b32 v181, v29 :: v_dual_mov_b32 v180, v28
.LBB258_345:                            ;   in Loop: Header=BB258_16 Depth=1
	s_or_b32 exec_lo, exec_lo, s24
.LBB258_346:                            ;   in Loop: Header=BB258_16 Depth=1
	s_delay_alu instid0(SALU_CYCLE_1)
	s_or_b32 exec_lo, exec_lo, s23
.LBB258_347:                            ;   in Loop: Header=BB258_16 Depth=1
	s_delay_alu instid0(SALU_CYCLE_1) | instskip(SKIP_2) | instid1(VALU_DEP_1)
	s_or_b32 exec_lo, exec_lo, s2
	v_lshrrev_b16 v1, 8, v0
	s_mov_b32 s23, exec_lo
	v_cmpx_ne_u16_e32 0, v1
	s_cbranch_execz .LBB258_355
; %bb.348:                              ;   in Loop: Header=BB258_16 Depth=1
	v_dual_mov_b32 v4, s16 :: v_dual_mov_b32 v5, s17
	s_mov_b32 s24, exec_lo
	v_cmpx_ne_u16_e32 0x80, v1
	s_cbranch_execz .LBB258_354
; %bb.349:                              ;   in Loop: Header=BB258_16 Depth=1
	s_mov_b32 s2, s16
	v_and_b32_e32 v1, 0xffff, v1
	v_dual_mov_b32 v5, s3 :: v_dual_mov_b32 v4, s2
	s_mov_b32 s2, exec_lo
	s_delay_alu instid0(VALU_DEP_2) | instskip(NEXT) | instid1(VALU_DEP_1)
	v_and_b32_e32 v2, 0x7f, v1
	v_cmpx_ne_u32_e32 0x7f, v2
	s_cbranch_execz .LBB258_353
; %bb.350:                              ;   in Loop: Header=BB258_16 Depth=1
	v_and_b32_e32 v28, 7, v1
	v_lshrrev_b32_e32 v1, 3, v2
	s_mov_b32 s25, exec_lo
	v_cmpx_gt_u32_e32 8, v2
; %bb.351:                              ;   in Loop: Header=BB258_16 Depth=1
	s_delay_alu instid0(VALU_DEP_3) | instskip(NEXT) | instid1(VALU_DEP_1)
	v_clz_i32_u32_e32 v1, v28
	v_min_u32_e32 v1, 32, v1
	s_delay_alu instid0(VALU_DEP_1) | instskip(SKIP_1) | instid1(VALU_DEP_2)
	v_subrev_nc_u32_e32 v2, 28, v1
	v_sub_nc_u32_e32 v1, 29, v1
	v_lshlrev_b64 v[2:3], v2, v[28:29]
	s_delay_alu instid0(VALU_DEP_1)
	v_and_b32_e32 v28, 7, v2
; %bb.352:                              ;   in Loop: Header=BB258_16 Depth=1
	s_or_b32 exec_lo, exec_lo, s25
	v_lshlrev_b32_e32 v2, 16, v0
	s_delay_alu instid0(VALU_DEP_2) | instskip(SKIP_1) | instid1(VALU_DEP_3)
	v_dual_mov_b32 v4, v29 :: v_dual_lshlrev_b32 v3, 20, v28
	v_lshl_add_u32 v1, v1, 23, 0x3c000000
	v_and_b32_e32 v2, 0x80000000, v2
	s_delay_alu instid0(VALU_DEP_1)
	v_or3_b32 v5, v3, v2, v1
.LBB258_353:                            ;   in Loop: Header=BB258_16 Depth=1
	s_or_b32 exec_lo, exec_lo, s2
.LBB258_354:                            ;   in Loop: Header=BB258_16 Depth=1
	s_delay_alu instid0(SALU_CYCLE_1)
	s_or_b32 exec_lo, exec_lo, s24
.LBB258_355:                            ;   in Loop: Header=BB258_16 Depth=1
	s_delay_alu instid0(SALU_CYCLE_1) | instskip(SKIP_4) | instid1(VALU_DEP_3)
	s_or_b32 exec_lo, exec_lo, s23
	v_lshrrev_b32_e32 v1, 16, v0
	v_mov_b32_e32 v11, 0
	v_mov_b32_e32 v12, 0
	s_mov_b32 s2, exec_lo
	v_and_b32_e32 v2, 0xff, v1
	s_delay_alu instid0(VALU_DEP_2) | instskip(NEXT) | instid1(VALU_DEP_2)
	v_dual_mov_b32 v22, v12 :: v_dual_mov_b32 v21, v11
	v_cmpx_ne_u16_e32 0, v2
	s_cbranch_execz .LBB258_363
; %bb.356:                              ;   in Loop: Header=BB258_16 Depth=1
	v_bfrev_b32_e32 v21, 1
	v_mov_b32_e32 v22, 0
	s_mov_b32 s23, exec_lo
	v_cmpx_ne_u16_e32 0x80, v2
	s_cbranch_execz .LBB258_362
; %bb.357:                              ;   in Loop: Header=BB258_16 Depth=1
	v_mov_b32_e32 v21, 0x7f800001
	v_bfe_u32 v3, v0, 16, 7
	v_mov_b32_e32 v22, 0
	s_mov_b32 s24, exec_lo
	s_delay_alu instid0(VALU_DEP_2)
	v_cmpx_ne_u32_e32 0x7f, v3
	s_cbranch_execz .LBB258_361
; %bb.358:                              ;   in Loop: Header=BB258_16 Depth=1
	v_and_b32_e32 v28, 7, v1
	v_lshrrev_b32_e32 v2, 3, v3
	s_mov_b32 s25, exec_lo
	v_cmpx_gt_u32_e32 8, v3
; %bb.359:                              ;   in Loop: Header=BB258_16 Depth=1
	s_delay_alu instid0(VALU_DEP_3) | instskip(NEXT) | instid1(VALU_DEP_1)
	v_clz_i32_u32_e32 v2, v28
	v_min_u32_e32 v2, 32, v2
	s_delay_alu instid0(VALU_DEP_1) | instskip(SKIP_1) | instid1(VALU_DEP_2)
	v_subrev_nc_u32_e32 v3, 28, v2
	v_sub_nc_u32_e32 v2, 29, v2
	v_lshlrev_b64 v[6:7], v3, v[28:29]
	s_delay_alu instid0(VALU_DEP_1)
	v_and_b32_e32 v28, 7, v6
; %bb.360:                              ;   in Loop: Header=BB258_16 Depth=1
	s_or_b32 exec_lo, exec_lo, s25
	v_lshlrev_b32_e32 v1, 24, v1
	s_delay_alu instid0(VALU_DEP_2) | instskip(SKIP_1) | instid1(VALU_DEP_3)
	v_lshlrev_b32_e32 v3, 20, v28
	v_lshl_add_u32 v2, v2, 23, 0x3c000000
	v_and_b32_e32 v1, 0x80000000, v1
	s_delay_alu instid0(VALU_DEP_1) | instskip(NEXT) | instid1(VALU_DEP_1)
	v_or3_b32 v28, v3, v1, v2
	v_dual_mov_b32 v21, v28 :: v_dual_mov_b32 v22, v29
.LBB258_361:                            ;   in Loop: Header=BB258_16 Depth=1
	s_or_b32 exec_lo, exec_lo, s24
.LBB258_362:                            ;   in Loop: Header=BB258_16 Depth=1
	s_delay_alu instid0(SALU_CYCLE_1)
	s_or_b32 exec_lo, exec_lo, s23
.LBB258_363:                            ;   in Loop: Header=BB258_16 Depth=1
	s_delay_alu instid0(SALU_CYCLE_1) | instskip(NEXT) | instid1(SALU_CYCLE_1)
	s_or_b32 exec_lo, exec_lo, s2
	s_mov_b32 s23, exec_lo
	v_cmpx_lt_u32_e32 0xffffff, v0
	s_cbranch_execz .LBB258_371
; %bb.364:                              ;   in Loop: Header=BB258_16 Depth=1
	v_lshrrev_b32_e32 v1, 24, v0
	v_dual_mov_b32 v11, s16 :: v_dual_mov_b32 v12, s17
	s_mov_b32 s24, exec_lo
	s_delay_alu instid0(VALU_DEP_2)
	v_cmpx_ne_u32_e32 0x80, v1
	s_cbranch_execz .LBB258_370
; %bb.365:                              ;   in Loop: Header=BB258_16 Depth=1
	s_mov_b32 s2, s16
	v_bfe_u32 v2, v0, 24, 7
	v_dual_mov_b32 v12, s3 :: v_dual_mov_b32 v11, s2
	s_mov_b32 s2, exec_lo
	s_delay_alu instid0(VALU_DEP_2)
	v_cmpx_ne_u32_e32 0x7f, v2
	s_cbranch_execz .LBB258_369
; %bb.366:                              ;   in Loop: Header=BB258_16 Depth=1
	v_and_b32_e32 v28, 7, v1
	v_lshrrev_b32_e32 v0, 3, v2
	s_mov_b32 s25, exec_lo
	v_cmpx_gt_u32_e32 8, v2
; %bb.367:                              ;   in Loop: Header=BB258_16 Depth=1
	s_delay_alu instid0(VALU_DEP_3) | instskip(NEXT) | instid1(VALU_DEP_1)
	v_clz_i32_u32_e32 v0, v28
	v_min_u32_e32 v0, 32, v0
	s_delay_alu instid0(VALU_DEP_1) | instskip(SKIP_1) | instid1(VALU_DEP_2)
	v_subrev_nc_u32_e32 v2, 28, v0
	v_sub_nc_u32_e32 v0, 29, v0
	v_lshlrev_b64 v[2:3], v2, v[28:29]
	s_delay_alu instid0(VALU_DEP_1)
	v_and_b32_e32 v28, 7, v2
; %bb.368:                              ;   in Loop: Header=BB258_16 Depth=1
	s_or_b32 exec_lo, exec_lo, s25
	v_lshlrev_b32_e32 v1, 24, v1
	s_delay_alu instid0(VALU_DEP_2) | instskip(SKIP_1) | instid1(VALU_DEP_3)
	v_dual_mov_b32 v11, v29 :: v_dual_lshlrev_b32 v2, 20, v28
	v_lshl_add_u32 v0, v0, 23, 0x3c000000
	v_and_b32_e32 v1, 0x80000000, v1
	s_delay_alu instid0(VALU_DEP_1)
	v_or3_b32 v12, v2, v1, v0
.LBB258_369:                            ;   in Loop: Header=BB258_16 Depth=1
	s_or_b32 exec_lo, exec_lo, s2
.LBB258_370:                            ;   in Loop: Header=BB258_16 Depth=1
	s_delay_alu instid0(SALU_CYCLE_1)
	s_or_b32 exec_lo, exec_lo, s24
.LBB258_371:                            ;   in Loop: Header=BB258_16 Depth=1
	s_delay_alu instid0(SALU_CYCLE_1) | instskip(SKIP_4) | instid1(VALU_DEP_1)
	s_or_b32 exec_lo, exec_lo, s23
	flat_load_b32 v6, v[72:73] offset:1036
	v_mov_b32_e32 v0, 0
	v_mov_b32_e32 v1, 0
	s_mov_b32 s2, exec_lo
	v_dual_mov_b32 v3, v1 :: v_dual_mov_b32 v2, v0
	s_waitcnt vmcnt(0) lgkmcnt(0)
	v_and_b32_e32 v7, 0xff, v6
	s_delay_alu instid0(VALU_DEP_1)
	v_cmpx_ne_u16_e32 0, v7
	s_cbranch_execz .LBB258_379
; %bb.372:                              ;   in Loop: Header=BB258_16 Depth=1
	v_bfrev_b32_e32 v2, 1
	v_mov_b32_e32 v3, 0
	s_mov_b32 s23, exec_lo
	v_cmpx_ne_u16_e32 0x80, v7
	s_cbranch_execz .LBB258_378
; %bb.373:                              ;   in Loop: Header=BB258_16 Depth=1
	v_mov_b32_e32 v2, 0x7f800001
	v_and_b32_e32 v7, 0x7f, v6
	v_mov_b32_e32 v3, 0
	s_mov_b32 s24, exec_lo
	s_delay_alu instid0(VALU_DEP_2)
	v_cmpx_ne_u32_e32 0x7f, v7
	s_cbranch_execz .LBB258_377
; %bb.374:                              ;   in Loop: Header=BB258_16 Depth=1
	v_and_b32_e32 v28, 7, v6
	v_lshrrev_b32_e32 v2, 3, v7
	s_mov_b32 s25, exec_lo
	v_cmpx_gt_u32_e32 8, v7
; %bb.375:                              ;   in Loop: Header=BB258_16 Depth=1
	s_delay_alu instid0(VALU_DEP_3) | instskip(NEXT) | instid1(VALU_DEP_1)
	v_clz_i32_u32_e32 v2, v28
	v_min_u32_e32 v2, 32, v2
	s_delay_alu instid0(VALU_DEP_1) | instskip(SKIP_1) | instid1(VALU_DEP_2)
	v_subrev_nc_u32_e32 v3, 28, v2
	v_sub_nc_u32_e32 v2, 29, v2
	v_lshlrev_b64 v[7:8], v3, v[28:29]
	s_delay_alu instid0(VALU_DEP_1)
	v_and_b32_e32 v28, 7, v7
; %bb.376:                              ;   in Loop: Header=BB258_16 Depth=1
	s_or_b32 exec_lo, exec_lo, s25
	v_lshlrev_b32_e32 v3, 24, v6
	s_delay_alu instid0(VALU_DEP_2) | instskip(SKIP_1) | instid1(VALU_DEP_3)
	v_lshlrev_b32_e32 v7, 20, v28
	v_lshl_add_u32 v2, v2, 23, 0x3c000000
	v_and_b32_e32 v3, 0x80000000, v3
	s_delay_alu instid0(VALU_DEP_1) | instskip(NEXT) | instid1(VALU_DEP_1)
	v_or3_b32 v28, v7, v3, v2
	v_dual_mov_b32 v2, v28 :: v_dual_mov_b32 v3, v29
.LBB258_377:                            ;   in Loop: Header=BB258_16 Depth=1
	s_or_b32 exec_lo, exec_lo, s24
.LBB258_378:                            ;   in Loop: Header=BB258_16 Depth=1
	s_delay_alu instid0(SALU_CYCLE_1)
	s_or_b32 exec_lo, exec_lo, s23
.LBB258_379:                            ;   in Loop: Header=BB258_16 Depth=1
	s_delay_alu instid0(SALU_CYCLE_1) | instskip(SKIP_2) | instid1(VALU_DEP_1)
	s_or_b32 exec_lo, exec_lo, s2
	v_lshrrev_b16 v7, 8, v6
	s_mov_b32 s23, exec_lo
	v_cmpx_ne_u16_e32 0, v7
	s_cbranch_execz .LBB258_387
; %bb.380:                              ;   in Loop: Header=BB258_16 Depth=1
	v_dual_mov_b32 v0, s16 :: v_dual_mov_b32 v1, s17
	s_mov_b32 s24, exec_lo
	v_cmpx_ne_u16_e32 0x80, v7
	s_cbranch_execz .LBB258_386
; %bb.381:                              ;   in Loop: Header=BB258_16 Depth=1
	s_mov_b32 s2, s16
	v_and_b32_e32 v8, 0xffff, v7
	v_dual_mov_b32 v0, s2 :: v_dual_mov_b32 v1, s3
	s_mov_b32 s2, exec_lo
	s_delay_alu instid0(VALU_DEP_2) | instskip(NEXT) | instid1(VALU_DEP_1)
	v_and_b32_e32 v7, 0x7f, v8
	v_cmpx_ne_u32_e32 0x7f, v7
	s_cbranch_execz .LBB258_385
; %bb.382:                              ;   in Loop: Header=BB258_16 Depth=1
	v_and_b32_e32 v28, 7, v8
	v_lshrrev_b32_e32 v0, 3, v7
	s_mov_b32 s25, exec_lo
	v_cmpx_gt_u32_e32 8, v7
; %bb.383:                              ;   in Loop: Header=BB258_16 Depth=1
	s_delay_alu instid0(VALU_DEP_3) | instskip(NEXT) | instid1(VALU_DEP_1)
	v_clz_i32_u32_e32 v0, v28
	v_min_u32_e32 v0, 32, v0
	s_delay_alu instid0(VALU_DEP_1) | instskip(SKIP_1) | instid1(VALU_DEP_2)
	v_subrev_nc_u32_e32 v1, 28, v0
	v_sub_nc_u32_e32 v0, 29, v0
	v_lshlrev_b64 v[7:8], v1, v[28:29]
	s_delay_alu instid0(VALU_DEP_1)
	v_and_b32_e32 v28, 7, v7
; %bb.384:                              ;   in Loop: Header=BB258_16 Depth=1
	s_or_b32 exec_lo, exec_lo, s25
	v_lshlrev_b32_e32 v1, 16, v6
	s_delay_alu instid0(VALU_DEP_2) | instskip(SKIP_1) | instid1(VALU_DEP_3)
	v_lshlrev_b32_e32 v7, 20, v28
	v_lshl_add_u32 v0, v0, 23, 0x3c000000
	v_and_b32_e32 v1, 0x80000000, v1
	s_delay_alu instid0(VALU_DEP_1)
	v_or3_b32 v1, v7, v1, v0
	v_mov_b32_e32 v0, v29
.LBB258_385:                            ;   in Loop: Header=BB258_16 Depth=1
	s_or_b32 exec_lo, exec_lo, s2
.LBB258_386:                            ;   in Loop: Header=BB258_16 Depth=1
	s_delay_alu instid0(SALU_CYCLE_1)
	s_or_b32 exec_lo, exec_lo, s24
.LBB258_387:                            ;   in Loop: Header=BB258_16 Depth=1
	s_delay_alu instid0(SALU_CYCLE_1) | instskip(SKIP_4) | instid1(VALU_DEP_1)
	s_or_b32 exec_lo, exec_lo, s23
	v_mov_b32_e32 v14, 0
	v_lshrrev_b32_e32 v7, 16, v6
	v_mov_b32_e32 v15, 0
	s_mov_b32 s2, exec_lo
	v_dual_mov_b32 v27, v15 :: v_dual_and_b32 v8, 0xff, v7
	v_mov_b32_e32 v26, v14
	s_delay_alu instid0(VALU_DEP_2)
	v_cmpx_ne_u16_e32 0, v8
	s_cbranch_execz .LBB258_395
; %bb.388:                              ;   in Loop: Header=BB258_16 Depth=1
	v_bfrev_b32_e32 v26, 1
	v_mov_b32_e32 v27, 0
	s_mov_b32 s23, exec_lo
	v_cmpx_ne_u16_e32 0x80, v8
	s_cbranch_execz .LBB258_394
; %bb.389:                              ;   in Loop: Header=BB258_16 Depth=1
	v_mov_b32_e32 v26, 0x7f800001
	v_bfe_u32 v9, v6, 16, 7
	v_mov_b32_e32 v27, 0
	s_mov_b32 s24, exec_lo
	s_delay_alu instid0(VALU_DEP_2)
	v_cmpx_ne_u32_e32 0x7f, v9
	s_cbranch_execz .LBB258_393
; %bb.390:                              ;   in Loop: Header=BB258_16 Depth=1
	v_and_b32_e32 v28, 7, v7
	v_lshrrev_b32_e32 v8, 3, v9
	s_mov_b32 s25, exec_lo
	v_cmpx_gt_u32_e32 8, v9
; %bb.391:                              ;   in Loop: Header=BB258_16 Depth=1
	s_delay_alu instid0(VALU_DEP_3) | instskip(NEXT) | instid1(VALU_DEP_1)
	v_clz_i32_u32_e32 v8, v28
	v_min_u32_e32 v8, 32, v8
	s_delay_alu instid0(VALU_DEP_1) | instskip(SKIP_1) | instid1(VALU_DEP_2)
	v_subrev_nc_u32_e32 v9, 28, v8
	v_sub_nc_u32_e32 v8, 29, v8
	v_lshlrev_b64 v[16:17], v9, v[28:29]
	s_delay_alu instid0(VALU_DEP_1)
	v_and_b32_e32 v28, 7, v16
; %bb.392:                              ;   in Loop: Header=BB258_16 Depth=1
	s_or_b32 exec_lo, exec_lo, s25
	v_lshlrev_b32_e32 v7, 24, v7
	s_delay_alu instid0(VALU_DEP_2) | instskip(SKIP_1) | instid1(VALU_DEP_3)
	v_lshlrev_b32_e32 v9, 20, v28
	v_lshl_add_u32 v8, v8, 23, 0x3c000000
	v_and_b32_e32 v7, 0x80000000, v7
	s_delay_alu instid0(VALU_DEP_1) | instskip(NEXT) | instid1(VALU_DEP_1)
	v_or3_b32 v28, v9, v7, v8
	v_dual_mov_b32 v26, v28 :: v_dual_mov_b32 v27, v29
.LBB258_393:                            ;   in Loop: Header=BB258_16 Depth=1
	s_or_b32 exec_lo, exec_lo, s24
.LBB258_394:                            ;   in Loop: Header=BB258_16 Depth=1
	s_delay_alu instid0(SALU_CYCLE_1)
	s_or_b32 exec_lo, exec_lo, s23
.LBB258_395:                            ;   in Loop: Header=BB258_16 Depth=1
	s_delay_alu instid0(SALU_CYCLE_1) | instskip(NEXT) | instid1(SALU_CYCLE_1)
	s_or_b32 exec_lo, exec_lo, s2
	s_mov_b32 s23, exec_lo
	v_cmpx_lt_u32_e32 0xffffff, v6
	s_cbranch_execz .LBB258_403
; %bb.396:                              ;   in Loop: Header=BB258_16 Depth=1
	v_lshrrev_b32_e32 v7, 24, v6
	v_dual_mov_b32 v14, s16 :: v_dual_mov_b32 v15, s17
	s_mov_b32 s24, exec_lo
	s_delay_alu instid0(VALU_DEP_2)
	v_cmpx_ne_u32_e32 0x80, v7
	s_cbranch_execz .LBB258_402
; %bb.397:                              ;   in Loop: Header=BB258_16 Depth=1
	s_mov_b32 s2, s16
	v_bfe_u32 v8, v6, 24, 7
	v_dual_mov_b32 v15, s3 :: v_dual_mov_b32 v14, s2
	s_mov_b32 s2, exec_lo
	s_delay_alu instid0(VALU_DEP_2)
	v_cmpx_ne_u32_e32 0x7f, v8
	s_cbranch_execz .LBB258_401
; %bb.398:                              ;   in Loop: Header=BB258_16 Depth=1
	v_and_b32_e32 v28, 7, v7
	v_lshrrev_b32_e32 v6, 3, v8
	s_mov_b32 s25, exec_lo
	v_cmpx_gt_u32_e32 8, v8
; %bb.399:                              ;   in Loop: Header=BB258_16 Depth=1
	s_delay_alu instid0(VALU_DEP_3) | instskip(NEXT) | instid1(VALU_DEP_1)
	v_clz_i32_u32_e32 v6, v28
	v_min_u32_e32 v6, 32, v6
	s_delay_alu instid0(VALU_DEP_1) | instskip(SKIP_1) | instid1(VALU_DEP_2)
	v_subrev_nc_u32_e32 v8, 28, v6
	v_sub_nc_u32_e32 v6, 29, v6
	v_lshlrev_b64 v[8:9], v8, v[28:29]
	s_delay_alu instid0(VALU_DEP_1)
	v_and_b32_e32 v28, 7, v8
; %bb.400:                              ;   in Loop: Header=BB258_16 Depth=1
	s_or_b32 exec_lo, exec_lo, s25
	v_dual_mov_b32 v14, v29 :: v_dual_lshlrev_b32 v7, 24, v7
	s_delay_alu instid0(VALU_DEP_2) | instskip(SKIP_1) | instid1(VALU_DEP_3)
	v_lshlrev_b32_e32 v8, 20, v28
	v_lshl_add_u32 v6, v6, 23, 0x3c000000
	v_and_b32_e32 v7, 0x80000000, v7
	s_delay_alu instid0(VALU_DEP_1)
	v_or3_b32 v15, v8, v7, v6
.LBB258_401:                            ;   in Loop: Header=BB258_16 Depth=1
	s_or_b32 exec_lo, exec_lo, s2
.LBB258_402:                            ;   in Loop: Header=BB258_16 Depth=1
	s_delay_alu instid0(SALU_CYCLE_1)
	s_or_b32 exec_lo, exec_lo, s24
.LBB258_403:                            ;   in Loop: Header=BB258_16 Depth=1
	s_delay_alu instid0(SALU_CYCLE_1)
	s_or_b32 exec_lo, exec_lo, s23
	flat_load_b32 v31, v[72:73] offset:1536
	v_mov_b32_e32 v6, 0
	v_mov_b32_e32 v7, 0
	s_mov_b32 s2, exec_lo
	s_waitcnt vmcnt(0) lgkmcnt(0)
	s_delay_alu instid0(VALU_DEP_1) | instskip(SKIP_1) | instid1(VALU_DEP_2)
	v_dual_mov_b32 v9, v7 :: v_dual_and_b32 v16, 0xff, v31
	v_mov_b32_e32 v8, v6
	v_cmpx_ne_u16_e32 0, v16
	s_cbranch_execz .LBB258_411
; %bb.404:                              ;   in Loop: Header=BB258_16 Depth=1
	v_bfrev_b32_e32 v8, 1
	v_mov_b32_e32 v9, 0
	s_mov_b32 s23, exec_lo
	v_cmpx_ne_u16_e32 0x80, v16
	s_cbranch_execz .LBB258_410
; %bb.405:                              ;   in Loop: Header=BB258_16 Depth=1
	v_mov_b32_e32 v8, 0x7f800001
	v_dual_mov_b32 v9, 0 :: v_dual_and_b32 v16, 0x7f, v31
	s_mov_b32 s24, exec_lo
	s_delay_alu instid0(VALU_DEP_1)
	v_cmpx_ne_u32_e32 0x7f, v16
	s_cbranch_execz .LBB258_409
; %bb.406:                              ;   in Loop: Header=BB258_16 Depth=1
	v_and_b32_e32 v28, 7, v31
	v_lshrrev_b32_e32 v8, 3, v16
	s_mov_b32 s25, exec_lo
	v_cmpx_gt_u32_e32 8, v16
; %bb.407:                              ;   in Loop: Header=BB258_16 Depth=1
	s_delay_alu instid0(VALU_DEP_3) | instskip(NEXT) | instid1(VALU_DEP_1)
	v_clz_i32_u32_e32 v8, v28
	v_min_u32_e32 v8, 32, v8
	s_delay_alu instid0(VALU_DEP_1) | instskip(SKIP_1) | instid1(VALU_DEP_2)
	v_subrev_nc_u32_e32 v9, 28, v8
	v_sub_nc_u32_e32 v8, 29, v8
	v_lshlrev_b64 v[16:17], v9, v[28:29]
	s_delay_alu instid0(VALU_DEP_1)
	v_and_b32_e32 v28, 7, v16
; %bb.408:                              ;   in Loop: Header=BB258_16 Depth=1
	s_or_b32 exec_lo, exec_lo, s25
	v_lshlrev_b32_e32 v9, 24, v31
	s_delay_alu instid0(VALU_DEP_2) | instskip(SKIP_1) | instid1(VALU_DEP_3)
	v_lshlrev_b32_e32 v16, 20, v28
	v_lshl_add_u32 v8, v8, 23, 0x3c000000
	v_and_b32_e32 v9, 0x80000000, v9
	s_delay_alu instid0(VALU_DEP_1) | instskip(NEXT) | instid1(VALU_DEP_1)
	v_or3_b32 v28, v16, v9, v8
	v_dual_mov_b32 v8, v28 :: v_dual_mov_b32 v9, v29
.LBB258_409:                            ;   in Loop: Header=BB258_16 Depth=1
	s_or_b32 exec_lo, exec_lo, s24
.LBB258_410:                            ;   in Loop: Header=BB258_16 Depth=1
	s_delay_alu instid0(SALU_CYCLE_1)
	s_or_b32 exec_lo, exec_lo, s23
.LBB258_411:                            ;   in Loop: Header=BB258_16 Depth=1
	s_delay_alu instid0(SALU_CYCLE_1) | instskip(SKIP_2) | instid1(VALU_DEP_1)
	s_or_b32 exec_lo, exec_lo, s2
	v_lshrrev_b16 v16, 8, v31
	s_mov_b32 s23, exec_lo
	v_cmpx_ne_u16_e32 0, v16
	s_cbranch_execz .LBB258_419
; %bb.412:                              ;   in Loop: Header=BB258_16 Depth=1
	v_dual_mov_b32 v6, s16 :: v_dual_mov_b32 v7, s17
	s_mov_b32 s24, exec_lo
	v_cmpx_ne_u16_e32 0x80, v16
	s_cbranch_execz .LBB258_418
; %bb.413:                              ;   in Loop: Header=BB258_16 Depth=1
	s_mov_b32 s2, s16
	v_and_b32_e32 v17, 0xffff, v16
	v_dual_mov_b32 v7, s3 :: v_dual_mov_b32 v6, s2
	s_mov_b32 s2, exec_lo
	s_delay_alu instid0(VALU_DEP_2) | instskip(NEXT) | instid1(VALU_DEP_1)
	v_and_b32_e32 v16, 0x7f, v17
	v_cmpx_ne_u32_e32 0x7f, v16
	s_cbranch_execz .LBB258_417
; %bb.414:                              ;   in Loop: Header=BB258_16 Depth=1
	v_and_b32_e32 v28, 7, v17
	v_lshrrev_b32_e32 v6, 3, v16
	s_mov_b32 s25, exec_lo
	v_cmpx_gt_u32_e32 8, v16
; %bb.415:                              ;   in Loop: Header=BB258_16 Depth=1
	s_delay_alu instid0(VALU_DEP_3) | instskip(NEXT) | instid1(VALU_DEP_1)
	v_clz_i32_u32_e32 v6, v28
	v_min_u32_e32 v6, 32, v6
	s_delay_alu instid0(VALU_DEP_1) | instskip(SKIP_1) | instid1(VALU_DEP_2)
	v_subrev_nc_u32_e32 v7, 28, v6
	v_sub_nc_u32_e32 v6, 29, v6
	v_lshlrev_b64 v[16:17], v7, v[28:29]
	s_delay_alu instid0(VALU_DEP_1)
	v_and_b32_e32 v28, 7, v16
; %bb.416:                              ;   in Loop: Header=BB258_16 Depth=1
	s_or_b32 exec_lo, exec_lo, s25
	v_lshlrev_b32_e32 v7, 16, v31
	s_delay_alu instid0(VALU_DEP_2) | instskip(SKIP_1) | instid1(VALU_DEP_3)
	v_lshlrev_b32_e32 v16, 20, v28
	v_lshl_add_u32 v6, v6, 23, 0x3c000000
	v_and_b32_e32 v7, 0x80000000, v7
	s_delay_alu instid0(VALU_DEP_1)
	v_or3_b32 v7, v16, v7, v6
	v_mov_b32_e32 v6, v29
.LBB258_417:                            ;   in Loop: Header=BB258_16 Depth=1
	s_or_b32 exec_lo, exec_lo, s2
.LBB258_418:                            ;   in Loop: Header=BB258_16 Depth=1
	s_delay_alu instid0(SALU_CYCLE_1)
	s_or_b32 exec_lo, exec_lo, s24
.LBB258_419:                            ;   in Loop: Header=BB258_16 Depth=1
	s_delay_alu instid0(SALU_CYCLE_1) | instskip(SKIP_4) | instid1(VALU_DEP_1)
	s_or_b32 exec_lo, exec_lo, s23
	v_mov_b32_e32 v16, 0
	v_lshrrev_b32_e32 v24, 16, v31
	v_mov_b32_e32 v17, 0
	s_mov_b32 s2, exec_lo
	v_dual_mov_b32 v19, v17 :: v_dual_and_b32 v28, 0xff, v24
	v_mov_b32_e32 v18, v16
	s_delay_alu instid0(VALU_DEP_2)
	v_cmpx_ne_u16_e32 0, v28
	s_cbranch_execz .LBB258_427
; %bb.420:                              ;   in Loop: Header=BB258_16 Depth=1
	v_bfrev_b32_e32 v18, 1
	v_mov_b32_e32 v19, 0
	s_mov_b32 s23, exec_lo
	v_cmpx_ne_u16_e32 0x80, v28
	s_cbranch_execz .LBB258_426
; %bb.421:                              ;   in Loop: Header=BB258_16 Depth=1
	v_mov_b32_e32 v18, 0x7f800001
	v_bfe_u32 v32, v31, 16, 7
	v_mov_b32_e32 v19, 0
	s_mov_b32 s24, exec_lo
	s_delay_alu instid0(VALU_DEP_2)
	v_cmpx_ne_u32_e32 0x7f, v32
	s_cbranch_execz .LBB258_425
; %bb.422:                              ;   in Loop: Header=BB258_16 Depth=1
	v_and_b32_e32 v28, 7, v24
	v_lshrrev_b32_e32 v18, 3, v32
	s_mov_b32 s25, exec_lo
	v_cmpx_gt_u32_e32 8, v32
; %bb.423:                              ;   in Loop: Header=BB258_16 Depth=1
	s_delay_alu instid0(VALU_DEP_3) | instskip(NEXT) | instid1(VALU_DEP_1)
	v_clz_i32_u32_e32 v18, v28
	v_min_u32_e32 v18, 32, v18
	s_delay_alu instid0(VALU_DEP_1) | instskip(SKIP_1) | instid1(VALU_DEP_2)
	v_subrev_nc_u32_e32 v19, 28, v18
	v_sub_nc_u32_e32 v18, 29, v18
	v_lshlrev_b64 v[32:33], v19, v[28:29]
	s_delay_alu instid0(VALU_DEP_1)
	v_and_b32_e32 v28, 7, v32
; %bb.424:                              ;   in Loop: Header=BB258_16 Depth=1
	s_or_b32 exec_lo, exec_lo, s25
	v_lshlrev_b32_e32 v19, 24, v24
	s_delay_alu instid0(VALU_DEP_2) | instskip(SKIP_1) | instid1(VALU_DEP_3)
	v_lshlrev_b32_e32 v24, 20, v28
	v_lshl_add_u32 v18, v18, 23, 0x3c000000
	v_and_b32_e32 v19, 0x80000000, v19
	s_delay_alu instid0(VALU_DEP_1) | instskip(NEXT) | instid1(VALU_DEP_1)
	v_or3_b32 v28, v24, v19, v18
	v_dual_mov_b32 v18, v28 :: v_dual_mov_b32 v19, v29
.LBB258_425:                            ;   in Loop: Header=BB258_16 Depth=1
	s_or_b32 exec_lo, exec_lo, s24
.LBB258_426:                            ;   in Loop: Header=BB258_16 Depth=1
	s_delay_alu instid0(SALU_CYCLE_1)
	s_or_b32 exec_lo, exec_lo, s23
.LBB258_427:                            ;   in Loop: Header=BB258_16 Depth=1
	s_delay_alu instid0(SALU_CYCLE_1) | instskip(NEXT) | instid1(SALU_CYCLE_1)
	s_or_b32 exec_lo, exec_lo, s2
	s_mov_b32 s23, exec_lo
	v_cmpx_lt_u32_e32 0xffffff, v31
	s_cbranch_execz .LBB258_435
; %bb.428:                              ;   in Loop: Header=BB258_16 Depth=1
	v_lshrrev_b32_e32 v24, 24, v31
	v_dual_mov_b32 v16, s16 :: v_dual_mov_b32 v17, s17
	s_mov_b32 s24, exec_lo
	s_delay_alu instid0(VALU_DEP_2)
	v_cmpx_ne_u32_e32 0x80, v24
	s_cbranch_execz .LBB258_434
; %bb.429:                              ;   in Loop: Header=BB258_16 Depth=1
	s_mov_b32 s2, s16
	v_bfe_u32 v31, v31, 24, 7
	v_dual_mov_b32 v17, s3 :: v_dual_mov_b32 v16, s2
	s_mov_b32 s2, exec_lo
	s_delay_alu instid0(VALU_DEP_2)
	v_cmpx_ne_u32_e32 0x7f, v31
	s_cbranch_execz .LBB258_433
; %bb.430:                              ;   in Loop: Header=BB258_16 Depth=1
	v_and_b32_e32 v28, 7, v24
	v_lshrrev_b32_e32 v16, 3, v31
	s_mov_b32 s25, exec_lo
	v_cmpx_gt_u32_e32 8, v31
; %bb.431:                              ;   in Loop: Header=BB258_16 Depth=1
	s_delay_alu instid0(VALU_DEP_3) | instskip(NEXT) | instid1(VALU_DEP_1)
	v_clz_i32_u32_e32 v16, v28
	v_min_u32_e32 v16, 32, v16
	s_delay_alu instid0(VALU_DEP_1) | instskip(SKIP_1) | instid1(VALU_DEP_2)
	v_subrev_nc_u32_e32 v17, 28, v16
	v_sub_nc_u32_e32 v16, 29, v16
	v_lshlrev_b64 v[31:32], v17, v[28:29]
	s_delay_alu instid0(VALU_DEP_1)
	v_and_b32_e32 v28, 7, v31
; %bb.432:                              ;   in Loop: Header=BB258_16 Depth=1
	s_or_b32 exec_lo, exec_lo, s25
	v_lshlrev_b32_e32 v17, 24, v24
	s_delay_alu instid0(VALU_DEP_2) | instskip(SKIP_1) | instid1(VALU_DEP_3)
	v_lshlrev_b32_e32 v24, 20, v28
	v_lshl_add_u32 v16, v16, 23, 0x3c000000
	v_and_b32_e32 v17, 0x80000000, v17
	s_delay_alu instid0(VALU_DEP_1)
	v_or3_b32 v17, v24, v17, v16
	v_mov_b32_e32 v16, v29
.LBB258_433:                            ;   in Loop: Header=BB258_16 Depth=1
	s_or_b32 exec_lo, exec_lo, s2
.LBB258_434:                            ;   in Loop: Header=BB258_16 Depth=1
	s_delay_alu instid0(SALU_CYCLE_1)
	s_or_b32 exec_lo, exec_lo, s24
.LBB258_435:                            ;   in Loop: Header=BB258_16 Depth=1
	s_delay_alu instid0(SALU_CYCLE_1) | instskip(SKIP_4) | instid1(VALU_DEP_1)
	s_or_b32 exec_lo, exec_lo, s23
	flat_load_b32 v48, v[72:73] offset:1540
	v_mov_b32_e32 v31, 0
	v_mov_b32_e32 v32, 0
	s_mov_b32 s2, exec_lo
	v_dual_mov_b32 v34, v32 :: v_dual_mov_b32 v33, v31
	s_waitcnt vmcnt(0) lgkmcnt(0)
	v_and_b32_e32 v24, 0xff, v48
	s_delay_alu instid0(VALU_DEP_1)
	v_cmpx_ne_u16_e32 0, v24
	s_cbranch_execz .LBB258_443
; %bb.436:                              ;   in Loop: Header=BB258_16 Depth=1
	v_bfrev_b32_e32 v33, 1
	v_mov_b32_e32 v34, 0
	s_mov_b32 s23, exec_lo
	v_cmpx_ne_u16_e32 0x80, v24
	s_cbranch_execz .LBB258_442
; %bb.437:                              ;   in Loop: Header=BB258_16 Depth=1
	v_mov_b32_e32 v33, 0x7f800001
	v_dual_mov_b32 v34, 0 :: v_dual_and_b32 v35, 0x7f, v48
	s_mov_b32 s24, exec_lo
	s_delay_alu instid0(VALU_DEP_1)
	v_cmpx_ne_u32_e32 0x7f, v35
	s_cbranch_execz .LBB258_441
; %bb.438:                              ;   in Loop: Header=BB258_16 Depth=1
	v_and_b32_e32 v28, 7, v48
	v_lshrrev_b32_e32 v24, 3, v35
	s_mov_b32 s25, exec_lo
	v_cmpx_gt_u32_e32 8, v35
; %bb.439:                              ;   in Loop: Header=BB258_16 Depth=1
	s_delay_alu instid0(VALU_DEP_3) | instskip(NEXT) | instid1(VALU_DEP_1)
	v_clz_i32_u32_e32 v24, v28
	v_min_u32_e32 v24, 32, v24
	s_delay_alu instid0(VALU_DEP_1) | instskip(SKIP_1) | instid1(VALU_DEP_2)
	v_subrev_nc_u32_e32 v33, 28, v24
	v_sub_nc_u32_e32 v24, 29, v24
	v_lshlrev_b64 v[33:34], v33, v[28:29]
	s_delay_alu instid0(VALU_DEP_1)
	v_and_b32_e32 v28, 7, v33
; %bb.440:                              ;   in Loop: Header=BB258_16 Depth=1
	s_or_b32 exec_lo, exec_lo, s25
	v_lshlrev_b32_e32 v33, 24, v48
	s_delay_alu instid0(VALU_DEP_2) | instskip(SKIP_1) | instid1(VALU_DEP_3)
	v_lshlrev_b32_e32 v28, 20, v28
	v_lshl_add_u32 v24, v24, 23, 0x3c000000
	v_and_b32_e32 v33, 0x80000000, v33
	s_delay_alu instid0(VALU_DEP_1) | instskip(NEXT) | instid1(VALU_DEP_1)
	v_or3_b32 v28, v28, v33, v24
	v_dual_mov_b32 v34, v29 :: v_dual_mov_b32 v33, v28
.LBB258_441:                            ;   in Loop: Header=BB258_16 Depth=1
	s_or_b32 exec_lo, exec_lo, s24
.LBB258_442:                            ;   in Loop: Header=BB258_16 Depth=1
	s_delay_alu instid0(SALU_CYCLE_1)
	s_or_b32 exec_lo, exec_lo, s23
.LBB258_443:                            ;   in Loop: Header=BB258_16 Depth=1
	s_delay_alu instid0(SALU_CYCLE_1) | instskip(SKIP_2) | instid1(VALU_DEP_1)
	s_or_b32 exec_lo, exec_lo, s2
	v_lshrrev_b16 v24, 8, v48
	s_mov_b32 s23, exec_lo
	v_cmpx_ne_u16_e32 0, v24
	s_cbranch_execz .LBB258_451
; %bb.444:                              ;   in Loop: Header=BB258_16 Depth=1
	v_dual_mov_b32 v32, s17 :: v_dual_mov_b32 v31, s16
	s_mov_b32 s24, exec_lo
	v_cmpx_ne_u16_e32 0x80, v24
	s_cbranch_execz .LBB258_450
; %bb.445:                              ;   in Loop: Header=BB258_16 Depth=1
	s_mov_b32 s2, s16
	v_and_b32_e32 v24, 0xffff, v24
	v_dual_mov_b32 v32, s3 :: v_dual_mov_b32 v31, s2
	s_mov_b32 s2, exec_lo
	s_delay_alu instid0(VALU_DEP_2) | instskip(NEXT) | instid1(VALU_DEP_1)
	v_and_b32_e32 v35, 0x7f, v24
	v_cmpx_ne_u32_e32 0x7f, v35
	s_cbranch_execz .LBB258_449
; %bb.446:                              ;   in Loop: Header=BB258_16 Depth=1
	v_and_b32_e32 v28, 7, v24
	v_lshrrev_b32_e32 v24, 3, v35
	s_mov_b32 s25, exec_lo
	v_cmpx_gt_u32_e32 8, v35
; %bb.447:                              ;   in Loop: Header=BB258_16 Depth=1
	s_delay_alu instid0(VALU_DEP_3) | instskip(NEXT) | instid1(VALU_DEP_1)
	v_clz_i32_u32_e32 v24, v28
	v_min_u32_e32 v24, 32, v24
	s_delay_alu instid0(VALU_DEP_1) | instskip(SKIP_1) | instid1(VALU_DEP_2)
	v_subrev_nc_u32_e32 v31, 28, v24
	v_sub_nc_u32_e32 v24, 29, v24
	v_lshlrev_b64 v[31:32], v31, v[28:29]
	s_delay_alu instid0(VALU_DEP_1)
	v_and_b32_e32 v28, 7, v31
; %bb.448:                              ;   in Loop: Header=BB258_16 Depth=1
	s_or_b32 exec_lo, exec_lo, s25
	v_lshlrev_b32_e32 v31, 16, v48
	s_delay_alu instid0(VALU_DEP_2) | instskip(SKIP_1) | instid1(VALU_DEP_3)
	v_lshlrev_b32_e32 v28, 20, v28
	v_lshl_add_u32 v24, v24, 23, 0x3c000000
	v_and_b32_e32 v31, 0x80000000, v31
	s_delay_alu instid0(VALU_DEP_1)
	v_or3_b32 v32, v28, v31, v24
	v_mov_b32_e32 v31, v29
.LBB258_449:                            ;   in Loop: Header=BB258_16 Depth=1
	s_or_b32 exec_lo, exec_lo, s2
.LBB258_450:                            ;   in Loop: Header=BB258_16 Depth=1
	s_delay_alu instid0(SALU_CYCLE_1)
	s_or_b32 exec_lo, exec_lo, s24
.LBB258_451:                            ;   in Loop: Header=BB258_16 Depth=1
	s_delay_alu instid0(SALU_CYCLE_1) | instskip(SKIP_4) | instid1(VALU_DEP_3)
	s_or_b32 exec_lo, exec_lo, s23
	v_lshrrev_b32_e32 v24, 16, v48
	v_mov_b32_e32 v35, 0
	v_mov_b32_e32 v36, 0
	s_mov_b32 s2, exec_lo
	v_and_b32_e32 v28, 0xff, v24
	s_delay_alu instid0(VALU_DEP_2) | instskip(NEXT) | instid1(VALU_DEP_2)
	v_dual_mov_b32 v38, v36 :: v_dual_mov_b32 v37, v35
	v_cmpx_ne_u16_e32 0, v28
	s_cbranch_execz .LBB258_459
; %bb.452:                              ;   in Loop: Header=BB258_16 Depth=1
	v_bfrev_b32_e32 v37, 1
	v_mov_b32_e32 v38, 0
	s_mov_b32 s23, exec_lo
	v_cmpx_ne_u16_e32 0x80, v28
	s_cbranch_execz .LBB258_458
; %bb.453:                              ;   in Loop: Header=BB258_16 Depth=1
	v_mov_b32_e32 v37, 0x7f800001
	v_bfe_u32 v49, v48, 16, 7
	v_mov_b32_e32 v38, 0
	s_mov_b32 s24, exec_lo
	s_delay_alu instid0(VALU_DEP_2)
	v_cmpx_ne_u32_e32 0x7f, v49
	s_cbranch_execz .LBB258_457
; %bb.454:                              ;   in Loop: Header=BB258_16 Depth=1
	v_and_b32_e32 v28, 7, v24
	v_lshrrev_b32_e32 v37, 3, v49
	s_mov_b32 s25, exec_lo
	v_cmpx_gt_u32_e32 8, v49
; %bb.455:                              ;   in Loop: Header=BB258_16 Depth=1
	s_delay_alu instid0(VALU_DEP_3) | instskip(NEXT) | instid1(VALU_DEP_1)
	v_clz_i32_u32_e32 v37, v28
	v_min_u32_e32 v37, 32, v37
	s_delay_alu instid0(VALU_DEP_1) | instskip(SKIP_1) | instid1(VALU_DEP_2)
	v_subrev_nc_u32_e32 v38, 28, v37
	v_sub_nc_u32_e32 v37, 29, v37
	v_lshlrev_b64 v[49:50], v38, v[28:29]
	s_delay_alu instid0(VALU_DEP_1)
	v_and_b32_e32 v28, 7, v49
; %bb.456:                              ;   in Loop: Header=BB258_16 Depth=1
	s_or_b32 exec_lo, exec_lo, s25
	v_lshlrev_b32_e32 v24, 24, v24
	s_delay_alu instid0(VALU_DEP_2) | instskip(SKIP_1) | instid1(VALU_DEP_3)
	v_lshlrev_b32_e32 v28, 20, v28
	v_lshl_add_u32 v37, v37, 23, 0x3c000000
	v_and_b32_e32 v24, 0x80000000, v24
	s_delay_alu instid0(VALU_DEP_1) | instskip(NEXT) | instid1(VALU_DEP_1)
	v_or3_b32 v28, v28, v24, v37
	v_dual_mov_b32 v38, v29 :: v_dual_mov_b32 v37, v28
.LBB258_457:                            ;   in Loop: Header=BB258_16 Depth=1
	s_or_b32 exec_lo, exec_lo, s24
.LBB258_458:                            ;   in Loop: Header=BB258_16 Depth=1
	s_delay_alu instid0(SALU_CYCLE_1)
	s_or_b32 exec_lo, exec_lo, s23
.LBB258_459:                            ;   in Loop: Header=BB258_16 Depth=1
	s_delay_alu instid0(SALU_CYCLE_1) | instskip(NEXT) | instid1(SALU_CYCLE_1)
	s_or_b32 exec_lo, exec_lo, s2
	s_mov_b32 s23, exec_lo
	v_cmpx_lt_u32_e32 0xffffff, v48
	s_cbranch_execz .LBB258_467
; %bb.460:                              ;   in Loop: Header=BB258_16 Depth=1
	v_lshrrev_b32_e32 v24, 24, v48
	v_dual_mov_b32 v36, s17 :: v_dual_mov_b32 v35, s16
	s_mov_b32 s24, exec_lo
	s_delay_alu instid0(VALU_DEP_2)
	v_cmpx_ne_u32_e32 0x80, v24
	s_cbranch_execz .LBB258_466
; %bb.461:                              ;   in Loop: Header=BB258_16 Depth=1
	s_mov_b32 s2, s16
	v_bfe_u32 v48, v48, 24, 7
	v_dual_mov_b32 v36, s3 :: v_dual_mov_b32 v35, s2
	s_mov_b32 s2, exec_lo
	s_delay_alu instid0(VALU_DEP_2)
	v_cmpx_ne_u32_e32 0x7f, v48
	s_cbranch_execz .LBB258_465
; %bb.462:                              ;   in Loop: Header=BB258_16 Depth=1
	v_and_b32_e32 v28, 7, v24
	v_lshrrev_b32_e32 v35, 3, v48
	s_mov_b32 s25, exec_lo
	v_cmpx_gt_u32_e32 8, v48
; %bb.463:                              ;   in Loop: Header=BB258_16 Depth=1
	s_delay_alu instid0(VALU_DEP_3) | instskip(NEXT) | instid1(VALU_DEP_1)
	v_clz_i32_u32_e32 v35, v28
	v_min_u32_e32 v35, 32, v35
	s_delay_alu instid0(VALU_DEP_1) | instskip(SKIP_1) | instid1(VALU_DEP_2)
	v_subrev_nc_u32_e32 v36, 28, v35
	v_sub_nc_u32_e32 v35, 29, v35
	v_lshlrev_b64 v[48:49], v36, v[28:29]
	s_delay_alu instid0(VALU_DEP_1)
	v_and_b32_e32 v28, 7, v48
; %bb.464:                              ;   in Loop: Header=BB258_16 Depth=1
	s_or_b32 exec_lo, exec_lo, s25
	v_lshlrev_b32_e32 v24, 24, v24
	s_delay_alu instid0(VALU_DEP_2) | instskip(SKIP_1) | instid1(VALU_DEP_3)
	v_lshlrev_b32_e32 v28, 20, v28
	v_lshl_add_u32 v35, v35, 23, 0x3c000000
	v_and_b32_e32 v24, 0x80000000, v24
	s_delay_alu instid0(VALU_DEP_1)
	v_or3_b32 v36, v28, v24, v35
	v_mov_b32_e32 v35, v29
.LBB258_465:                            ;   in Loop: Header=BB258_16 Depth=1
	s_or_b32 exec_lo, exec_lo, s2
.LBB258_466:                            ;   in Loop: Header=BB258_16 Depth=1
	s_delay_alu instid0(SALU_CYCLE_1)
	s_or_b32 exec_lo, exec_lo, s24
.LBB258_467:                            ;   in Loop: Header=BB258_16 Depth=1
	s_delay_alu instid0(SALU_CYCLE_1)
	s_or_b32 exec_lo, exec_lo, s23
	flat_load_b32 v64, v[72:73] offset:1544
	v_mov_b32_e32 v48, 0
	v_mov_b32_e32 v49, 0
	s_mov_b32 s2, exec_lo
	s_waitcnt vmcnt(0) lgkmcnt(0)
	s_delay_alu instid0(VALU_DEP_1) | instskip(SKIP_1) | instid1(VALU_DEP_2)
	v_dual_mov_b32 v51, v49 :: v_dual_and_b32 v24, 0xff, v64
	v_mov_b32_e32 v50, v48
	v_cmpx_ne_u16_e32 0, v24
	s_cbranch_execz .LBB258_475
; %bb.468:                              ;   in Loop: Header=BB258_16 Depth=1
	v_bfrev_b32_e32 v50, 1
	v_mov_b32_e32 v51, 0
	s_mov_b32 s23, exec_lo
	v_cmpx_ne_u16_e32 0x80, v24
	s_cbranch_execz .LBB258_474
; %bb.469:                              ;   in Loop: Header=BB258_16 Depth=1
	v_mov_b32_e32 v50, 0x7f800001
	v_dual_mov_b32 v51, 0 :: v_dual_and_b32 v52, 0x7f, v64
	s_mov_b32 s24, exec_lo
	s_delay_alu instid0(VALU_DEP_1)
	v_cmpx_ne_u32_e32 0x7f, v52
	s_cbranch_execz .LBB258_473
; %bb.470:                              ;   in Loop: Header=BB258_16 Depth=1
	v_and_b32_e32 v28, 7, v64
	v_lshrrev_b32_e32 v24, 3, v52
	s_mov_b32 s25, exec_lo
	v_cmpx_gt_u32_e32 8, v52
; %bb.471:                              ;   in Loop: Header=BB258_16 Depth=1
	s_delay_alu instid0(VALU_DEP_3) | instskip(NEXT) | instid1(VALU_DEP_1)
	v_clz_i32_u32_e32 v24, v28
	v_min_u32_e32 v24, 32, v24
	s_delay_alu instid0(VALU_DEP_1) | instskip(SKIP_1) | instid1(VALU_DEP_2)
	v_subrev_nc_u32_e32 v50, 28, v24
	v_sub_nc_u32_e32 v24, 29, v24
	v_lshlrev_b64 v[50:51], v50, v[28:29]
	s_delay_alu instid0(VALU_DEP_1)
	v_and_b32_e32 v28, 7, v50
; %bb.472:                              ;   in Loop: Header=BB258_16 Depth=1
	s_or_b32 exec_lo, exec_lo, s25
	v_lshlrev_b32_e32 v50, 24, v64
	s_delay_alu instid0(VALU_DEP_2) | instskip(SKIP_1) | instid1(VALU_DEP_3)
	v_lshlrev_b32_e32 v28, 20, v28
	v_lshl_add_u32 v24, v24, 23, 0x3c000000
	v_and_b32_e32 v50, 0x80000000, v50
	s_delay_alu instid0(VALU_DEP_1) | instskip(NEXT) | instid1(VALU_DEP_1)
	v_or3_b32 v28, v28, v50, v24
	v_dual_mov_b32 v51, v29 :: v_dual_mov_b32 v50, v28
.LBB258_473:                            ;   in Loop: Header=BB258_16 Depth=1
	s_or_b32 exec_lo, exec_lo, s24
.LBB258_474:                            ;   in Loop: Header=BB258_16 Depth=1
	s_delay_alu instid0(SALU_CYCLE_1)
	s_or_b32 exec_lo, exec_lo, s23
.LBB258_475:                            ;   in Loop: Header=BB258_16 Depth=1
	s_delay_alu instid0(SALU_CYCLE_1) | instskip(SKIP_2) | instid1(VALU_DEP_1)
	s_or_b32 exec_lo, exec_lo, s2
	v_lshrrev_b16 v24, 8, v64
	s_mov_b32 s23, exec_lo
	v_cmpx_ne_u16_e32 0, v24
	s_cbranch_execz .LBB258_483
; %bb.476:                              ;   in Loop: Header=BB258_16 Depth=1
	v_dual_mov_b32 v49, s17 :: v_dual_mov_b32 v48, s16
	s_mov_b32 s24, exec_lo
	v_cmpx_ne_u16_e32 0x80, v24
	s_cbranch_execz .LBB258_482
; %bb.477:                              ;   in Loop: Header=BB258_16 Depth=1
	s_mov_b32 s2, s16
	v_dual_mov_b32 v49, s3 :: v_dual_and_b32 v24, 0xffff, v24
	v_mov_b32_e32 v48, s2
	s_mov_b32 s2, exec_lo
	s_delay_alu instid0(VALU_DEP_2) | instskip(NEXT) | instid1(VALU_DEP_1)
	v_and_b32_e32 v52, 0x7f, v24
	v_cmpx_ne_u32_e32 0x7f, v52
	s_cbranch_execz .LBB258_481
; %bb.478:                              ;   in Loop: Header=BB258_16 Depth=1
	v_and_b32_e32 v28, 7, v24
	v_lshrrev_b32_e32 v24, 3, v52
	s_mov_b32 s25, exec_lo
	v_cmpx_gt_u32_e32 8, v52
; %bb.479:                              ;   in Loop: Header=BB258_16 Depth=1
	s_delay_alu instid0(VALU_DEP_3) | instskip(NEXT) | instid1(VALU_DEP_1)
	v_clz_i32_u32_e32 v24, v28
	v_min_u32_e32 v24, 32, v24
	s_delay_alu instid0(VALU_DEP_1) | instskip(SKIP_1) | instid1(VALU_DEP_2)
	v_subrev_nc_u32_e32 v48, 28, v24
	v_sub_nc_u32_e32 v24, 29, v24
	v_lshlrev_b64 v[48:49], v48, v[28:29]
	s_delay_alu instid0(VALU_DEP_1)
	v_and_b32_e32 v28, 7, v48
; %bb.480:                              ;   in Loop: Header=BB258_16 Depth=1
	s_or_b32 exec_lo, exec_lo, s25
	v_lshlrev_b32_e32 v48, 16, v64
	s_delay_alu instid0(VALU_DEP_2) | instskip(SKIP_1) | instid1(VALU_DEP_3)
	v_lshlrev_b32_e32 v28, 20, v28
	v_lshl_add_u32 v24, v24, 23, 0x3c000000
	v_and_b32_e32 v48, 0x80000000, v48
	s_delay_alu instid0(VALU_DEP_1)
	v_or3_b32 v49, v28, v48, v24
	v_mov_b32_e32 v48, v29
.LBB258_481:                            ;   in Loop: Header=BB258_16 Depth=1
	s_or_b32 exec_lo, exec_lo, s2
.LBB258_482:                            ;   in Loop: Header=BB258_16 Depth=1
	s_delay_alu instid0(SALU_CYCLE_1)
	s_or_b32 exec_lo, exec_lo, s24
.LBB258_483:                            ;   in Loop: Header=BB258_16 Depth=1
	s_delay_alu instid0(SALU_CYCLE_1) | instskip(SKIP_4) | instid1(VALU_DEP_1)
	s_or_b32 exec_lo, exec_lo, s23
	v_mov_b32_e32 v52, 0
	v_lshrrev_b32_e32 v24, 16, v64
	v_mov_b32_e32 v53, 0
	s_mov_b32 s2, exec_lo
	v_dual_mov_b32 v55, v53 :: v_dual_and_b32 v28, 0xff, v24
	v_mov_b32_e32 v54, v52
	s_delay_alu instid0(VALU_DEP_2)
	v_cmpx_ne_u16_e32 0, v28
	s_cbranch_execz .LBB258_491
; %bb.484:                              ;   in Loop: Header=BB258_16 Depth=1
	v_bfrev_b32_e32 v54, 1
	v_mov_b32_e32 v55, 0
	s_mov_b32 s23, exec_lo
	v_cmpx_ne_u16_e32 0x80, v28
	s_cbranch_execz .LBB258_490
; %bb.485:                              ;   in Loop: Header=BB258_16 Depth=1
	v_mov_b32_e32 v54, 0x7f800001
	v_bfe_u32 v65, v64, 16, 7
	v_mov_b32_e32 v55, 0
	s_mov_b32 s24, exec_lo
	s_delay_alu instid0(VALU_DEP_2)
	v_cmpx_ne_u32_e32 0x7f, v65
	s_cbranch_execz .LBB258_489
; %bb.486:                              ;   in Loop: Header=BB258_16 Depth=1
	v_and_b32_e32 v28, 7, v24
	v_lshrrev_b32_e32 v54, 3, v65
	s_mov_b32 s25, exec_lo
	v_cmpx_gt_u32_e32 8, v65
; %bb.487:                              ;   in Loop: Header=BB258_16 Depth=1
	s_delay_alu instid0(VALU_DEP_3) | instskip(NEXT) | instid1(VALU_DEP_1)
	v_clz_i32_u32_e32 v54, v28
	v_min_u32_e32 v54, 32, v54
	s_delay_alu instid0(VALU_DEP_1) | instskip(SKIP_1) | instid1(VALU_DEP_2)
	v_subrev_nc_u32_e32 v55, 28, v54
	v_sub_nc_u32_e32 v54, 29, v54
	v_lshlrev_b64 v[65:66], v55, v[28:29]
	s_delay_alu instid0(VALU_DEP_1)
	v_and_b32_e32 v28, 7, v65
; %bb.488:                              ;   in Loop: Header=BB258_16 Depth=1
	s_or_b32 exec_lo, exec_lo, s25
	v_lshlrev_b32_e32 v24, 24, v24
	s_delay_alu instid0(VALU_DEP_2) | instskip(SKIP_1) | instid1(VALU_DEP_3)
	v_lshlrev_b32_e32 v28, 20, v28
	v_lshl_add_u32 v54, v54, 23, 0x3c000000
	v_and_b32_e32 v24, 0x80000000, v24
	s_delay_alu instid0(VALU_DEP_1) | instskip(NEXT) | instid1(VALU_DEP_1)
	v_or3_b32 v28, v28, v24, v54
	v_dual_mov_b32 v55, v29 :: v_dual_mov_b32 v54, v28
.LBB258_489:                            ;   in Loop: Header=BB258_16 Depth=1
	s_or_b32 exec_lo, exec_lo, s24
.LBB258_490:                            ;   in Loop: Header=BB258_16 Depth=1
	s_delay_alu instid0(SALU_CYCLE_1)
	s_or_b32 exec_lo, exec_lo, s23
.LBB258_491:                            ;   in Loop: Header=BB258_16 Depth=1
	s_delay_alu instid0(SALU_CYCLE_1) | instskip(NEXT) | instid1(SALU_CYCLE_1)
	s_or_b32 exec_lo, exec_lo, s2
	s_mov_b32 s23, exec_lo
	v_cmpx_lt_u32_e32 0xffffff, v64
	s_cbranch_execz .LBB258_499
; %bb.492:                              ;   in Loop: Header=BB258_16 Depth=1
	v_lshrrev_b32_e32 v24, 24, v64
	v_dual_mov_b32 v53, s17 :: v_dual_mov_b32 v52, s16
	s_mov_b32 s24, exec_lo
	s_delay_alu instid0(VALU_DEP_2)
	v_cmpx_ne_u32_e32 0x80, v24
	s_cbranch_execz .LBB258_498
; %bb.493:                              ;   in Loop: Header=BB258_16 Depth=1
	s_mov_b32 s2, s16
	v_bfe_u32 v64, v64, 24, 7
	v_dual_mov_b32 v53, s3 :: v_dual_mov_b32 v52, s2
	s_mov_b32 s2, exec_lo
	s_delay_alu instid0(VALU_DEP_2)
	v_cmpx_ne_u32_e32 0x7f, v64
	s_cbranch_execz .LBB258_497
; %bb.494:                              ;   in Loop: Header=BB258_16 Depth=1
	v_and_b32_e32 v28, 7, v24
	v_lshrrev_b32_e32 v52, 3, v64
	s_mov_b32 s25, exec_lo
	v_cmpx_gt_u32_e32 8, v64
; %bb.495:                              ;   in Loop: Header=BB258_16 Depth=1
	s_delay_alu instid0(VALU_DEP_3) | instskip(NEXT) | instid1(VALU_DEP_1)
	v_clz_i32_u32_e32 v52, v28
	v_min_u32_e32 v52, 32, v52
	s_delay_alu instid0(VALU_DEP_1) | instskip(SKIP_1) | instid1(VALU_DEP_2)
	v_subrev_nc_u32_e32 v53, 28, v52
	v_sub_nc_u32_e32 v52, 29, v52
	v_lshlrev_b64 v[64:65], v53, v[28:29]
	s_delay_alu instid0(VALU_DEP_1)
	v_and_b32_e32 v28, 7, v64
; %bb.496:                              ;   in Loop: Header=BB258_16 Depth=1
	s_or_b32 exec_lo, exec_lo, s25
	v_lshlrev_b32_e32 v24, 24, v24
	s_delay_alu instid0(VALU_DEP_2) | instskip(SKIP_1) | instid1(VALU_DEP_3)
	v_lshlrev_b32_e32 v28, 20, v28
	v_lshl_add_u32 v52, v52, 23, 0x3c000000
	v_and_b32_e32 v24, 0x80000000, v24
	s_delay_alu instid0(VALU_DEP_1)
	v_or3_b32 v53, v28, v24, v52
	v_mov_b32_e32 v52, v29
.LBB258_497:                            ;   in Loop: Header=BB258_16 Depth=1
	s_or_b32 exec_lo, exec_lo, s2
.LBB258_498:                            ;   in Loop: Header=BB258_16 Depth=1
	s_delay_alu instid0(SALU_CYCLE_1)
	s_or_b32 exec_lo, exec_lo, s24
.LBB258_499:                            ;   in Loop: Header=BB258_16 Depth=1
	s_delay_alu instid0(SALU_CYCLE_1)
	s_or_b32 exec_lo, exec_lo, s23
	flat_load_b32 v80, v[72:73] offset:1548
	v_mov_b32_e32 v64, 0
	v_mov_b32_e32 v65, 0
	s_mov_b32 s2, exec_lo
	s_waitcnt vmcnt(0) lgkmcnt(0)
	s_delay_alu instid0(VALU_DEP_1) | instskip(SKIP_1) | instid1(VALU_DEP_2)
	v_dual_mov_b32 v67, v65 :: v_dual_and_b32 v24, 0xff, v80
	v_mov_b32_e32 v66, v64
	v_cmpx_ne_u16_e32 0, v24
	s_cbranch_execz .LBB258_507
; %bb.500:                              ;   in Loop: Header=BB258_16 Depth=1
	v_bfrev_b32_e32 v66, 1
	v_mov_b32_e32 v67, 0
	s_mov_b32 s23, exec_lo
	v_cmpx_ne_u16_e32 0x80, v24
	s_cbranch_execz .LBB258_506
; %bb.501:                              ;   in Loop: Header=BB258_16 Depth=1
	v_mov_b32_e32 v66, 0x7f800001
	v_dual_mov_b32 v67, 0 :: v_dual_and_b32 v68, 0x7f, v80
	s_mov_b32 s24, exec_lo
	s_delay_alu instid0(VALU_DEP_1)
	v_cmpx_ne_u32_e32 0x7f, v68
	s_cbranch_execz .LBB258_505
; %bb.502:                              ;   in Loop: Header=BB258_16 Depth=1
	v_and_b32_e32 v28, 7, v80
	v_lshrrev_b32_e32 v24, 3, v68
	s_mov_b32 s25, exec_lo
	v_cmpx_gt_u32_e32 8, v68
; %bb.503:                              ;   in Loop: Header=BB258_16 Depth=1
	s_delay_alu instid0(VALU_DEP_3) | instskip(NEXT) | instid1(VALU_DEP_1)
	v_clz_i32_u32_e32 v24, v28
	v_min_u32_e32 v24, 32, v24
	s_delay_alu instid0(VALU_DEP_1) | instskip(SKIP_1) | instid1(VALU_DEP_2)
	v_subrev_nc_u32_e32 v66, 28, v24
	v_sub_nc_u32_e32 v24, 29, v24
	v_lshlrev_b64 v[66:67], v66, v[28:29]
	s_delay_alu instid0(VALU_DEP_1)
	v_and_b32_e32 v28, 7, v66
; %bb.504:                              ;   in Loop: Header=BB258_16 Depth=1
	s_or_b32 exec_lo, exec_lo, s25
	v_lshlrev_b32_e32 v66, 24, v80
	s_delay_alu instid0(VALU_DEP_2) | instskip(SKIP_1) | instid1(VALU_DEP_3)
	v_lshlrev_b32_e32 v28, 20, v28
	v_lshl_add_u32 v24, v24, 23, 0x3c000000
	v_and_b32_e32 v66, 0x80000000, v66
	s_delay_alu instid0(VALU_DEP_1) | instskip(NEXT) | instid1(VALU_DEP_1)
	v_or3_b32 v28, v28, v66, v24
	v_dual_mov_b32 v67, v29 :: v_dual_mov_b32 v66, v28
.LBB258_505:                            ;   in Loop: Header=BB258_16 Depth=1
	s_or_b32 exec_lo, exec_lo, s24
.LBB258_506:                            ;   in Loop: Header=BB258_16 Depth=1
	s_delay_alu instid0(SALU_CYCLE_1)
	s_or_b32 exec_lo, exec_lo, s23
.LBB258_507:                            ;   in Loop: Header=BB258_16 Depth=1
	s_delay_alu instid0(SALU_CYCLE_1) | instskip(SKIP_2) | instid1(VALU_DEP_1)
	s_or_b32 exec_lo, exec_lo, s2
	v_lshrrev_b16 v24, 8, v80
	s_mov_b32 s23, exec_lo
	v_cmpx_ne_u16_e32 0, v24
	s_cbranch_execz .LBB258_515
; %bb.508:                              ;   in Loop: Header=BB258_16 Depth=1
	v_dual_mov_b32 v65, s17 :: v_dual_mov_b32 v64, s16
	s_mov_b32 s24, exec_lo
	v_cmpx_ne_u16_e32 0x80, v24
	s_cbranch_execz .LBB258_514
; %bb.509:                              ;   in Loop: Header=BB258_16 Depth=1
	s_mov_b32 s2, s16
	v_dual_mov_b32 v65, s3 :: v_dual_and_b32 v24, 0xffff, v24
	v_mov_b32_e32 v64, s2
	s_mov_b32 s2, exec_lo
	s_delay_alu instid0(VALU_DEP_2) | instskip(NEXT) | instid1(VALU_DEP_1)
	v_and_b32_e32 v68, 0x7f, v24
	v_cmpx_ne_u32_e32 0x7f, v68
	s_cbranch_execz .LBB258_513
; %bb.510:                              ;   in Loop: Header=BB258_16 Depth=1
	v_and_b32_e32 v28, 7, v24
	v_lshrrev_b32_e32 v24, 3, v68
	s_mov_b32 s25, exec_lo
	v_cmpx_gt_u32_e32 8, v68
; %bb.511:                              ;   in Loop: Header=BB258_16 Depth=1
	s_delay_alu instid0(VALU_DEP_3) | instskip(NEXT) | instid1(VALU_DEP_1)
	v_clz_i32_u32_e32 v24, v28
	v_min_u32_e32 v24, 32, v24
	s_delay_alu instid0(VALU_DEP_1) | instskip(SKIP_1) | instid1(VALU_DEP_2)
	v_subrev_nc_u32_e32 v64, 28, v24
	v_sub_nc_u32_e32 v24, 29, v24
	v_lshlrev_b64 v[64:65], v64, v[28:29]
	s_delay_alu instid0(VALU_DEP_1)
	v_and_b32_e32 v28, 7, v64
; %bb.512:                              ;   in Loop: Header=BB258_16 Depth=1
	s_or_b32 exec_lo, exec_lo, s25
	v_lshlrev_b32_e32 v64, 16, v80
	s_delay_alu instid0(VALU_DEP_2) | instskip(SKIP_1) | instid1(VALU_DEP_3)
	v_lshlrev_b32_e32 v28, 20, v28
	v_lshl_add_u32 v24, v24, 23, 0x3c000000
	v_and_b32_e32 v64, 0x80000000, v64
	s_delay_alu instid0(VALU_DEP_1)
	v_or3_b32 v65, v28, v64, v24
	v_mov_b32_e32 v64, v29
.LBB258_513:                            ;   in Loop: Header=BB258_16 Depth=1
	s_or_b32 exec_lo, exec_lo, s2
.LBB258_514:                            ;   in Loop: Header=BB258_16 Depth=1
	s_delay_alu instid0(SALU_CYCLE_1)
	s_or_b32 exec_lo, exec_lo, s24
.LBB258_515:                            ;   in Loop: Header=BB258_16 Depth=1
	s_delay_alu instid0(SALU_CYCLE_1) | instskip(SKIP_4) | instid1(VALU_DEP_1)
	s_or_b32 exec_lo, exec_lo, s23
	v_mov_b32_e32 v68, 0
	v_lshrrev_b32_e32 v24, 16, v80
	v_mov_b32_e32 v69, 0
	s_mov_b32 s2, exec_lo
	v_dual_mov_b32 v71, v69 :: v_dual_and_b32 v28, 0xff, v24
	v_mov_b32_e32 v70, v68
	s_delay_alu instid0(VALU_DEP_2)
	v_cmpx_ne_u16_e32 0, v28
	s_cbranch_execz .LBB258_523
; %bb.516:                              ;   in Loop: Header=BB258_16 Depth=1
	v_bfrev_b32_e32 v70, 1
	v_mov_b32_e32 v71, 0
	s_mov_b32 s23, exec_lo
	v_cmpx_ne_u16_e32 0x80, v28
	s_cbranch_execz .LBB258_522
; %bb.517:                              ;   in Loop: Header=BB258_16 Depth=1
	v_mov_b32_e32 v70, 0x7f800001
	v_bfe_u32 v81, v80, 16, 7
	v_mov_b32_e32 v71, 0
	s_mov_b32 s24, exec_lo
	s_delay_alu instid0(VALU_DEP_2)
	v_cmpx_ne_u32_e32 0x7f, v81
	s_cbranch_execz .LBB258_521
; %bb.518:                              ;   in Loop: Header=BB258_16 Depth=1
	v_and_b32_e32 v28, 7, v24
	v_lshrrev_b32_e32 v70, 3, v81
	s_mov_b32 s25, exec_lo
	v_cmpx_gt_u32_e32 8, v81
; %bb.519:                              ;   in Loop: Header=BB258_16 Depth=1
	s_delay_alu instid0(VALU_DEP_3) | instskip(NEXT) | instid1(VALU_DEP_1)
	v_clz_i32_u32_e32 v70, v28
	v_min_u32_e32 v70, 32, v70
	s_delay_alu instid0(VALU_DEP_1) | instskip(SKIP_1) | instid1(VALU_DEP_2)
	v_subrev_nc_u32_e32 v71, 28, v70
	v_sub_nc_u32_e32 v70, 29, v70
	v_lshlrev_b64 v[81:82], v71, v[28:29]
	s_delay_alu instid0(VALU_DEP_1)
	v_and_b32_e32 v28, 7, v81
; %bb.520:                              ;   in Loop: Header=BB258_16 Depth=1
	s_or_b32 exec_lo, exec_lo, s25
	v_lshlrev_b32_e32 v24, 24, v24
	s_delay_alu instid0(VALU_DEP_2) | instskip(SKIP_1) | instid1(VALU_DEP_3)
	v_lshlrev_b32_e32 v28, 20, v28
	v_lshl_add_u32 v70, v70, 23, 0x3c000000
	v_and_b32_e32 v24, 0x80000000, v24
	s_delay_alu instid0(VALU_DEP_1) | instskip(NEXT) | instid1(VALU_DEP_1)
	v_or3_b32 v28, v28, v24, v70
	v_dual_mov_b32 v71, v29 :: v_dual_mov_b32 v70, v28
.LBB258_521:                            ;   in Loop: Header=BB258_16 Depth=1
	s_or_b32 exec_lo, exec_lo, s24
.LBB258_522:                            ;   in Loop: Header=BB258_16 Depth=1
	s_delay_alu instid0(SALU_CYCLE_1)
	s_or_b32 exec_lo, exec_lo, s23
.LBB258_523:                            ;   in Loop: Header=BB258_16 Depth=1
	s_delay_alu instid0(SALU_CYCLE_1) | instskip(NEXT) | instid1(SALU_CYCLE_1)
	s_or_b32 exec_lo, exec_lo, s2
	s_mov_b32 s23, exec_lo
	v_cmpx_lt_u32_e32 0xffffff, v80
	s_cbranch_execz .LBB258_531
; %bb.524:                              ;   in Loop: Header=BB258_16 Depth=1
	v_lshrrev_b32_e32 v24, 24, v80
	v_dual_mov_b32 v69, s17 :: v_dual_mov_b32 v68, s16
	s_mov_b32 s24, exec_lo
	s_delay_alu instid0(VALU_DEP_2)
	v_cmpx_ne_u32_e32 0x80, v24
	s_cbranch_execz .LBB258_530
; %bb.525:                              ;   in Loop: Header=BB258_16 Depth=1
	s_mov_b32 s2, s16
	v_bfe_u32 v80, v80, 24, 7
	v_dual_mov_b32 v69, s3 :: v_dual_mov_b32 v68, s2
	s_mov_b32 s2, exec_lo
	s_delay_alu instid0(VALU_DEP_2)
	v_cmpx_ne_u32_e32 0x7f, v80
	s_cbranch_execz .LBB258_529
; %bb.526:                              ;   in Loop: Header=BB258_16 Depth=1
	v_and_b32_e32 v28, 7, v24
	v_lshrrev_b32_e32 v68, 3, v80
	s_mov_b32 s25, exec_lo
	v_cmpx_gt_u32_e32 8, v80
; %bb.527:                              ;   in Loop: Header=BB258_16 Depth=1
	s_delay_alu instid0(VALU_DEP_3) | instskip(NEXT) | instid1(VALU_DEP_1)
	v_clz_i32_u32_e32 v68, v28
	v_min_u32_e32 v68, 32, v68
	s_delay_alu instid0(VALU_DEP_1) | instskip(SKIP_1) | instid1(VALU_DEP_2)
	v_subrev_nc_u32_e32 v69, 28, v68
	v_sub_nc_u32_e32 v68, 29, v68
	v_lshlrev_b64 v[80:81], v69, v[28:29]
	s_delay_alu instid0(VALU_DEP_1)
	v_and_b32_e32 v28, 7, v80
; %bb.528:                              ;   in Loop: Header=BB258_16 Depth=1
	s_or_b32 exec_lo, exec_lo, s25
	v_lshlrev_b32_e32 v24, 24, v24
	s_delay_alu instid0(VALU_DEP_2) | instskip(SKIP_1) | instid1(VALU_DEP_3)
	v_lshlrev_b32_e32 v28, 20, v28
	v_lshl_add_u32 v68, v68, 23, 0x3c000000
	v_and_b32_e32 v24, 0x80000000, v24
	s_delay_alu instid0(VALU_DEP_1)
	v_or3_b32 v69, v28, v24, v68
	v_mov_b32_e32 v68, v29
.LBB258_529:                            ;   in Loop: Header=BB258_16 Depth=1
	s_or_b32 exec_lo, exec_lo, s2
.LBB258_530:                            ;   in Loop: Header=BB258_16 Depth=1
	s_delay_alu instid0(SALU_CYCLE_1)
	s_or_b32 exec_lo, exec_lo, s24
.LBB258_531:                            ;   in Loop: Header=BB258_16 Depth=1
	s_delay_alu instid0(SALU_CYCLE_1)
	s_or_b32 exec_lo, exec_lo, s23
	flat_load_b32 v96, v[72:73] offset:2048
	v_mov_b32_e32 v80, 0
	v_mov_b32_e32 v81, 0
	s_mov_b32 s2, exec_lo
	s_waitcnt vmcnt(0) lgkmcnt(0)
	s_delay_alu instid0(VALU_DEP_1) | instskip(SKIP_1) | instid1(VALU_DEP_2)
	v_dual_mov_b32 v83, v81 :: v_dual_and_b32 v24, 0xff, v96
	v_mov_b32_e32 v82, v80
	v_cmpx_ne_u16_e32 0, v24
	s_cbranch_execz .LBB258_539
; %bb.532:                              ;   in Loop: Header=BB258_16 Depth=1
	v_bfrev_b32_e32 v82, 1
	v_mov_b32_e32 v83, 0
	s_mov_b32 s23, exec_lo
	v_cmpx_ne_u16_e32 0x80, v24
	s_cbranch_execz .LBB258_538
; %bb.533:                              ;   in Loop: Header=BB258_16 Depth=1
	v_mov_b32_e32 v82, 0x7f800001
	v_dual_mov_b32 v83, 0 :: v_dual_and_b32 v84, 0x7f, v96
	s_mov_b32 s24, exec_lo
	s_delay_alu instid0(VALU_DEP_1)
	v_cmpx_ne_u32_e32 0x7f, v84
	s_cbranch_execz .LBB258_537
; %bb.534:                              ;   in Loop: Header=BB258_16 Depth=1
	v_and_b32_e32 v28, 7, v96
	v_lshrrev_b32_e32 v24, 3, v84
	s_mov_b32 s25, exec_lo
	v_cmpx_gt_u32_e32 8, v84
; %bb.535:                              ;   in Loop: Header=BB258_16 Depth=1
	s_delay_alu instid0(VALU_DEP_3) | instskip(NEXT) | instid1(VALU_DEP_1)
	v_clz_i32_u32_e32 v24, v28
	v_min_u32_e32 v24, 32, v24
	s_delay_alu instid0(VALU_DEP_1) | instskip(SKIP_1) | instid1(VALU_DEP_2)
	v_subrev_nc_u32_e32 v82, 28, v24
	v_sub_nc_u32_e32 v24, 29, v24
	v_lshlrev_b64 v[82:83], v82, v[28:29]
	s_delay_alu instid0(VALU_DEP_1)
	v_and_b32_e32 v28, 7, v82
; %bb.536:                              ;   in Loop: Header=BB258_16 Depth=1
	s_or_b32 exec_lo, exec_lo, s25
	v_lshlrev_b32_e32 v82, 24, v96
	s_delay_alu instid0(VALU_DEP_2) | instskip(SKIP_1) | instid1(VALU_DEP_3)
	v_lshlrev_b32_e32 v28, 20, v28
	v_lshl_add_u32 v24, v24, 23, 0x3c000000
	v_and_b32_e32 v82, 0x80000000, v82
	s_delay_alu instid0(VALU_DEP_1) | instskip(NEXT) | instid1(VALU_DEP_1)
	v_or3_b32 v28, v28, v82, v24
	v_dual_mov_b32 v83, v29 :: v_dual_mov_b32 v82, v28
.LBB258_537:                            ;   in Loop: Header=BB258_16 Depth=1
	s_or_b32 exec_lo, exec_lo, s24
.LBB258_538:                            ;   in Loop: Header=BB258_16 Depth=1
	s_delay_alu instid0(SALU_CYCLE_1)
	s_or_b32 exec_lo, exec_lo, s23
.LBB258_539:                            ;   in Loop: Header=BB258_16 Depth=1
	s_delay_alu instid0(SALU_CYCLE_1) | instskip(SKIP_2) | instid1(VALU_DEP_1)
	s_or_b32 exec_lo, exec_lo, s2
	v_lshrrev_b16 v24, 8, v96
	s_mov_b32 s23, exec_lo
	v_cmpx_ne_u16_e32 0, v24
	s_cbranch_execz .LBB258_547
; %bb.540:                              ;   in Loop: Header=BB258_16 Depth=1
	v_dual_mov_b32 v81, s17 :: v_dual_mov_b32 v80, s16
	s_mov_b32 s24, exec_lo
	v_cmpx_ne_u16_e32 0x80, v24
	s_cbranch_execz .LBB258_546
; %bb.541:                              ;   in Loop: Header=BB258_16 Depth=1
	s_mov_b32 s2, s16
	v_dual_mov_b32 v81, s3 :: v_dual_and_b32 v24, 0xffff, v24
	v_mov_b32_e32 v80, s2
	s_mov_b32 s2, exec_lo
	s_delay_alu instid0(VALU_DEP_2) | instskip(NEXT) | instid1(VALU_DEP_1)
	v_and_b32_e32 v84, 0x7f, v24
	v_cmpx_ne_u32_e32 0x7f, v84
	s_cbranch_execz .LBB258_545
; %bb.542:                              ;   in Loop: Header=BB258_16 Depth=1
	v_and_b32_e32 v28, 7, v24
	v_lshrrev_b32_e32 v24, 3, v84
	s_mov_b32 s25, exec_lo
	v_cmpx_gt_u32_e32 8, v84
; %bb.543:                              ;   in Loop: Header=BB258_16 Depth=1
	s_delay_alu instid0(VALU_DEP_3) | instskip(NEXT) | instid1(VALU_DEP_1)
	v_clz_i32_u32_e32 v24, v28
	v_min_u32_e32 v24, 32, v24
	s_delay_alu instid0(VALU_DEP_1) | instskip(SKIP_1) | instid1(VALU_DEP_2)
	v_subrev_nc_u32_e32 v80, 28, v24
	v_sub_nc_u32_e32 v24, 29, v24
	v_lshlrev_b64 v[80:81], v80, v[28:29]
	s_delay_alu instid0(VALU_DEP_1)
	v_and_b32_e32 v28, 7, v80
; %bb.544:                              ;   in Loop: Header=BB258_16 Depth=1
	s_or_b32 exec_lo, exec_lo, s25
	v_lshlrev_b32_e32 v80, 16, v96
	s_delay_alu instid0(VALU_DEP_2) | instskip(SKIP_1) | instid1(VALU_DEP_3)
	v_lshlrev_b32_e32 v28, 20, v28
	v_lshl_add_u32 v24, v24, 23, 0x3c000000
	v_and_b32_e32 v80, 0x80000000, v80
	s_delay_alu instid0(VALU_DEP_1)
	v_or3_b32 v81, v28, v80, v24
	v_mov_b32_e32 v80, v29
.LBB258_545:                            ;   in Loop: Header=BB258_16 Depth=1
	s_or_b32 exec_lo, exec_lo, s2
.LBB258_546:                            ;   in Loop: Header=BB258_16 Depth=1
	s_delay_alu instid0(SALU_CYCLE_1)
	s_or_b32 exec_lo, exec_lo, s24
.LBB258_547:                            ;   in Loop: Header=BB258_16 Depth=1
	s_delay_alu instid0(SALU_CYCLE_1) | instskip(SKIP_4) | instid1(VALU_DEP_1)
	s_or_b32 exec_lo, exec_lo, s23
	v_mov_b32_e32 v84, 0
	v_lshrrev_b32_e32 v24, 16, v96
	v_mov_b32_e32 v85, 0
	s_mov_b32 s2, exec_lo
	v_dual_mov_b32 v87, v85 :: v_dual_and_b32 v28, 0xff, v24
	v_mov_b32_e32 v86, v84
	s_delay_alu instid0(VALU_DEP_2)
	v_cmpx_ne_u16_e32 0, v28
	s_cbranch_execz .LBB258_555
; %bb.548:                              ;   in Loop: Header=BB258_16 Depth=1
	v_bfrev_b32_e32 v86, 1
	v_mov_b32_e32 v87, 0
	s_mov_b32 s23, exec_lo
	v_cmpx_ne_u16_e32 0x80, v28
	s_cbranch_execz .LBB258_554
; %bb.549:                              ;   in Loop: Header=BB258_16 Depth=1
	v_mov_b32_e32 v86, 0x7f800001
	v_bfe_u32 v97, v96, 16, 7
	v_mov_b32_e32 v87, 0
	s_mov_b32 s24, exec_lo
	s_delay_alu instid0(VALU_DEP_2)
	v_cmpx_ne_u32_e32 0x7f, v97
	s_cbranch_execz .LBB258_553
; %bb.550:                              ;   in Loop: Header=BB258_16 Depth=1
	v_and_b32_e32 v28, 7, v24
	v_lshrrev_b32_e32 v86, 3, v97
	s_mov_b32 s25, exec_lo
	v_cmpx_gt_u32_e32 8, v97
; %bb.551:                              ;   in Loop: Header=BB258_16 Depth=1
	s_delay_alu instid0(VALU_DEP_3) | instskip(NEXT) | instid1(VALU_DEP_1)
	v_clz_i32_u32_e32 v86, v28
	v_min_u32_e32 v86, 32, v86
	s_delay_alu instid0(VALU_DEP_1) | instskip(SKIP_1) | instid1(VALU_DEP_2)
	v_subrev_nc_u32_e32 v87, 28, v86
	v_sub_nc_u32_e32 v86, 29, v86
	v_lshlrev_b64 v[97:98], v87, v[28:29]
	s_delay_alu instid0(VALU_DEP_1)
	v_and_b32_e32 v28, 7, v97
; %bb.552:                              ;   in Loop: Header=BB258_16 Depth=1
	s_or_b32 exec_lo, exec_lo, s25
	v_lshlrev_b32_e32 v24, 24, v24
	s_delay_alu instid0(VALU_DEP_2) | instskip(SKIP_1) | instid1(VALU_DEP_3)
	v_lshlrev_b32_e32 v28, 20, v28
	v_lshl_add_u32 v86, v86, 23, 0x3c000000
	v_and_b32_e32 v24, 0x80000000, v24
	s_delay_alu instid0(VALU_DEP_1) | instskip(NEXT) | instid1(VALU_DEP_1)
	v_or3_b32 v28, v28, v24, v86
	v_dual_mov_b32 v87, v29 :: v_dual_mov_b32 v86, v28
.LBB258_553:                            ;   in Loop: Header=BB258_16 Depth=1
	s_or_b32 exec_lo, exec_lo, s24
.LBB258_554:                            ;   in Loop: Header=BB258_16 Depth=1
	s_delay_alu instid0(SALU_CYCLE_1)
	s_or_b32 exec_lo, exec_lo, s23
.LBB258_555:                            ;   in Loop: Header=BB258_16 Depth=1
	s_delay_alu instid0(SALU_CYCLE_1) | instskip(NEXT) | instid1(SALU_CYCLE_1)
	s_or_b32 exec_lo, exec_lo, s2
	s_mov_b32 s23, exec_lo
	v_cmpx_lt_u32_e32 0xffffff, v96
	s_cbranch_execz .LBB258_563
; %bb.556:                              ;   in Loop: Header=BB258_16 Depth=1
	v_lshrrev_b32_e32 v24, 24, v96
	v_dual_mov_b32 v85, s17 :: v_dual_mov_b32 v84, s16
	s_mov_b32 s24, exec_lo
	s_delay_alu instid0(VALU_DEP_2)
	v_cmpx_ne_u32_e32 0x80, v24
	s_cbranch_execz .LBB258_562
; %bb.557:                              ;   in Loop: Header=BB258_16 Depth=1
	s_mov_b32 s2, s16
	v_bfe_u32 v96, v96, 24, 7
	v_dual_mov_b32 v85, s3 :: v_dual_mov_b32 v84, s2
	s_mov_b32 s2, exec_lo
	s_delay_alu instid0(VALU_DEP_2)
	v_cmpx_ne_u32_e32 0x7f, v96
	s_cbranch_execz .LBB258_561
; %bb.558:                              ;   in Loop: Header=BB258_16 Depth=1
	v_and_b32_e32 v28, 7, v24
	v_lshrrev_b32_e32 v84, 3, v96
	s_mov_b32 s25, exec_lo
	v_cmpx_gt_u32_e32 8, v96
; %bb.559:                              ;   in Loop: Header=BB258_16 Depth=1
	s_delay_alu instid0(VALU_DEP_3) | instskip(NEXT) | instid1(VALU_DEP_1)
	v_clz_i32_u32_e32 v84, v28
	v_min_u32_e32 v84, 32, v84
	s_delay_alu instid0(VALU_DEP_1) | instskip(SKIP_1) | instid1(VALU_DEP_2)
	v_subrev_nc_u32_e32 v85, 28, v84
	v_sub_nc_u32_e32 v84, 29, v84
	v_lshlrev_b64 v[96:97], v85, v[28:29]
	s_delay_alu instid0(VALU_DEP_1)
	v_and_b32_e32 v28, 7, v96
; %bb.560:                              ;   in Loop: Header=BB258_16 Depth=1
	s_or_b32 exec_lo, exec_lo, s25
	v_lshlrev_b32_e32 v24, 24, v24
	s_delay_alu instid0(VALU_DEP_2) | instskip(SKIP_1) | instid1(VALU_DEP_3)
	v_lshlrev_b32_e32 v28, 20, v28
	v_lshl_add_u32 v84, v84, 23, 0x3c000000
	v_and_b32_e32 v24, 0x80000000, v24
	s_delay_alu instid0(VALU_DEP_1)
	v_or3_b32 v85, v28, v24, v84
	v_mov_b32_e32 v84, v29
.LBB258_561:                            ;   in Loop: Header=BB258_16 Depth=1
	s_or_b32 exec_lo, exec_lo, s2
.LBB258_562:                            ;   in Loop: Header=BB258_16 Depth=1
	s_delay_alu instid0(SALU_CYCLE_1)
	s_or_b32 exec_lo, exec_lo, s24
.LBB258_563:                            ;   in Loop: Header=BB258_16 Depth=1
	s_delay_alu instid0(SALU_CYCLE_1)
	s_or_b32 exec_lo, exec_lo, s23
	flat_load_b32 v112, v[72:73] offset:2052
	v_mov_b32_e32 v96, 0
	v_mov_b32_e32 v97, 0
	s_mov_b32 s2, exec_lo
	s_waitcnt vmcnt(0) lgkmcnt(0)
	s_delay_alu instid0(VALU_DEP_1) | instskip(SKIP_1) | instid1(VALU_DEP_2)
	v_dual_mov_b32 v99, v97 :: v_dual_and_b32 v24, 0xff, v112
	v_mov_b32_e32 v98, v96
	v_cmpx_ne_u16_e32 0, v24
	s_cbranch_execz .LBB258_571
; %bb.564:                              ;   in Loop: Header=BB258_16 Depth=1
	v_bfrev_b32_e32 v98, 1
	v_mov_b32_e32 v99, 0
	s_mov_b32 s23, exec_lo
	v_cmpx_ne_u16_e32 0x80, v24
	s_cbranch_execz .LBB258_570
; %bb.565:                              ;   in Loop: Header=BB258_16 Depth=1
	v_mov_b32_e32 v98, 0x7f800001
	v_dual_mov_b32 v99, 0 :: v_dual_and_b32 v100, 0x7f, v112
	s_mov_b32 s24, exec_lo
	s_delay_alu instid0(VALU_DEP_1)
	v_cmpx_ne_u32_e32 0x7f, v100
	s_cbranch_execz .LBB258_569
; %bb.566:                              ;   in Loop: Header=BB258_16 Depth=1
	v_and_b32_e32 v28, 7, v112
	v_lshrrev_b32_e32 v24, 3, v100
	s_mov_b32 s25, exec_lo
	v_cmpx_gt_u32_e32 8, v100
; %bb.567:                              ;   in Loop: Header=BB258_16 Depth=1
	s_delay_alu instid0(VALU_DEP_3) | instskip(NEXT) | instid1(VALU_DEP_1)
	v_clz_i32_u32_e32 v24, v28
	v_min_u32_e32 v24, 32, v24
	s_delay_alu instid0(VALU_DEP_1) | instskip(SKIP_1) | instid1(VALU_DEP_2)
	v_subrev_nc_u32_e32 v98, 28, v24
	v_sub_nc_u32_e32 v24, 29, v24
	v_lshlrev_b64 v[98:99], v98, v[28:29]
	s_delay_alu instid0(VALU_DEP_1)
	v_and_b32_e32 v28, 7, v98
; %bb.568:                              ;   in Loop: Header=BB258_16 Depth=1
	s_or_b32 exec_lo, exec_lo, s25
	v_lshlrev_b32_e32 v98, 24, v112
	s_delay_alu instid0(VALU_DEP_2) | instskip(SKIP_1) | instid1(VALU_DEP_3)
	v_lshlrev_b32_e32 v28, 20, v28
	v_lshl_add_u32 v24, v24, 23, 0x3c000000
	v_and_b32_e32 v98, 0x80000000, v98
	s_delay_alu instid0(VALU_DEP_1) | instskip(NEXT) | instid1(VALU_DEP_1)
	v_or3_b32 v28, v28, v98, v24
	v_dual_mov_b32 v99, v29 :: v_dual_mov_b32 v98, v28
.LBB258_569:                            ;   in Loop: Header=BB258_16 Depth=1
	s_or_b32 exec_lo, exec_lo, s24
.LBB258_570:                            ;   in Loop: Header=BB258_16 Depth=1
	s_delay_alu instid0(SALU_CYCLE_1)
	s_or_b32 exec_lo, exec_lo, s23
.LBB258_571:                            ;   in Loop: Header=BB258_16 Depth=1
	s_delay_alu instid0(SALU_CYCLE_1) | instskip(SKIP_2) | instid1(VALU_DEP_1)
	s_or_b32 exec_lo, exec_lo, s2
	v_lshrrev_b16 v24, 8, v112
	s_mov_b32 s23, exec_lo
	v_cmpx_ne_u16_e32 0, v24
	s_cbranch_execz .LBB258_579
; %bb.572:                              ;   in Loop: Header=BB258_16 Depth=1
	v_dual_mov_b32 v97, s17 :: v_dual_mov_b32 v96, s16
	s_mov_b32 s24, exec_lo
	v_cmpx_ne_u16_e32 0x80, v24
	s_cbranch_execz .LBB258_578
; %bb.573:                              ;   in Loop: Header=BB258_16 Depth=1
	s_mov_b32 s2, s16
	v_dual_mov_b32 v97, s3 :: v_dual_and_b32 v24, 0xffff, v24
	v_mov_b32_e32 v96, s2
	s_mov_b32 s2, exec_lo
	s_delay_alu instid0(VALU_DEP_2) | instskip(NEXT) | instid1(VALU_DEP_1)
	v_and_b32_e32 v100, 0x7f, v24
	v_cmpx_ne_u32_e32 0x7f, v100
	s_cbranch_execz .LBB258_577
; %bb.574:                              ;   in Loop: Header=BB258_16 Depth=1
	v_and_b32_e32 v28, 7, v24
	v_lshrrev_b32_e32 v24, 3, v100
	s_mov_b32 s25, exec_lo
	v_cmpx_gt_u32_e32 8, v100
; %bb.575:                              ;   in Loop: Header=BB258_16 Depth=1
	s_delay_alu instid0(VALU_DEP_3) | instskip(NEXT) | instid1(VALU_DEP_1)
	v_clz_i32_u32_e32 v24, v28
	v_min_u32_e32 v24, 32, v24
	s_delay_alu instid0(VALU_DEP_1) | instskip(SKIP_1) | instid1(VALU_DEP_2)
	v_subrev_nc_u32_e32 v96, 28, v24
	v_sub_nc_u32_e32 v24, 29, v24
	v_lshlrev_b64 v[96:97], v96, v[28:29]
	s_delay_alu instid0(VALU_DEP_1)
	v_and_b32_e32 v28, 7, v96
; %bb.576:                              ;   in Loop: Header=BB258_16 Depth=1
	s_or_b32 exec_lo, exec_lo, s25
	v_lshlrev_b32_e32 v96, 16, v112
	s_delay_alu instid0(VALU_DEP_2) | instskip(SKIP_1) | instid1(VALU_DEP_3)
	v_lshlrev_b32_e32 v28, 20, v28
	v_lshl_add_u32 v24, v24, 23, 0x3c000000
	v_and_b32_e32 v96, 0x80000000, v96
	s_delay_alu instid0(VALU_DEP_1)
	v_or3_b32 v97, v28, v96, v24
	v_mov_b32_e32 v96, v29
.LBB258_577:                            ;   in Loop: Header=BB258_16 Depth=1
	s_or_b32 exec_lo, exec_lo, s2
.LBB258_578:                            ;   in Loop: Header=BB258_16 Depth=1
	s_delay_alu instid0(SALU_CYCLE_1)
	s_or_b32 exec_lo, exec_lo, s24
.LBB258_579:                            ;   in Loop: Header=BB258_16 Depth=1
	s_delay_alu instid0(SALU_CYCLE_1) | instskip(SKIP_4) | instid1(VALU_DEP_1)
	s_or_b32 exec_lo, exec_lo, s23
	v_mov_b32_e32 v100, 0
	v_lshrrev_b32_e32 v24, 16, v112
	v_mov_b32_e32 v101, 0
	s_mov_b32 s2, exec_lo
	v_dual_mov_b32 v103, v101 :: v_dual_and_b32 v28, 0xff, v24
	v_mov_b32_e32 v102, v100
	s_delay_alu instid0(VALU_DEP_2)
	v_cmpx_ne_u16_e32 0, v28
	s_cbranch_execz .LBB258_587
; %bb.580:                              ;   in Loop: Header=BB258_16 Depth=1
	v_bfrev_b32_e32 v102, 1
	v_mov_b32_e32 v103, 0
	s_mov_b32 s23, exec_lo
	v_cmpx_ne_u16_e32 0x80, v28
	s_cbranch_execz .LBB258_586
; %bb.581:                              ;   in Loop: Header=BB258_16 Depth=1
	v_mov_b32_e32 v102, 0x7f800001
	v_bfe_u32 v113, v112, 16, 7
	v_mov_b32_e32 v103, 0
	s_mov_b32 s24, exec_lo
	s_delay_alu instid0(VALU_DEP_2)
	v_cmpx_ne_u32_e32 0x7f, v113
	s_cbranch_execz .LBB258_585
; %bb.582:                              ;   in Loop: Header=BB258_16 Depth=1
	v_and_b32_e32 v28, 7, v24
	v_lshrrev_b32_e32 v102, 3, v113
	s_mov_b32 s25, exec_lo
	v_cmpx_gt_u32_e32 8, v113
; %bb.583:                              ;   in Loop: Header=BB258_16 Depth=1
	s_delay_alu instid0(VALU_DEP_3) | instskip(NEXT) | instid1(VALU_DEP_1)
	v_clz_i32_u32_e32 v102, v28
	v_min_u32_e32 v102, 32, v102
	s_delay_alu instid0(VALU_DEP_1) | instskip(SKIP_1) | instid1(VALU_DEP_2)
	v_subrev_nc_u32_e32 v103, 28, v102
	v_sub_nc_u32_e32 v102, 29, v102
	v_lshlrev_b64 v[113:114], v103, v[28:29]
	s_delay_alu instid0(VALU_DEP_1)
	v_and_b32_e32 v28, 7, v113
; %bb.584:                              ;   in Loop: Header=BB258_16 Depth=1
	s_or_b32 exec_lo, exec_lo, s25
	v_lshlrev_b32_e32 v24, 24, v24
	s_delay_alu instid0(VALU_DEP_2) | instskip(SKIP_1) | instid1(VALU_DEP_3)
	v_lshlrev_b32_e32 v28, 20, v28
	v_lshl_add_u32 v102, v102, 23, 0x3c000000
	v_and_b32_e32 v24, 0x80000000, v24
	s_delay_alu instid0(VALU_DEP_1) | instskip(NEXT) | instid1(VALU_DEP_1)
	v_or3_b32 v28, v28, v24, v102
	v_dual_mov_b32 v103, v29 :: v_dual_mov_b32 v102, v28
.LBB258_585:                            ;   in Loop: Header=BB258_16 Depth=1
	s_or_b32 exec_lo, exec_lo, s24
.LBB258_586:                            ;   in Loop: Header=BB258_16 Depth=1
	s_delay_alu instid0(SALU_CYCLE_1)
	s_or_b32 exec_lo, exec_lo, s23
.LBB258_587:                            ;   in Loop: Header=BB258_16 Depth=1
	s_delay_alu instid0(SALU_CYCLE_1) | instskip(NEXT) | instid1(SALU_CYCLE_1)
	s_or_b32 exec_lo, exec_lo, s2
	s_mov_b32 s23, exec_lo
	v_cmpx_lt_u32_e32 0xffffff, v112
	s_cbranch_execz .LBB258_595
; %bb.588:                              ;   in Loop: Header=BB258_16 Depth=1
	v_lshrrev_b32_e32 v24, 24, v112
	v_dual_mov_b32 v101, s17 :: v_dual_mov_b32 v100, s16
	s_mov_b32 s24, exec_lo
	s_delay_alu instid0(VALU_DEP_2)
	v_cmpx_ne_u32_e32 0x80, v24
	s_cbranch_execz .LBB258_594
; %bb.589:                              ;   in Loop: Header=BB258_16 Depth=1
	s_mov_b32 s2, s16
	v_bfe_u32 v112, v112, 24, 7
	v_dual_mov_b32 v101, s3 :: v_dual_mov_b32 v100, s2
	s_mov_b32 s2, exec_lo
	s_delay_alu instid0(VALU_DEP_2)
	v_cmpx_ne_u32_e32 0x7f, v112
	s_cbranch_execz .LBB258_593
; %bb.590:                              ;   in Loop: Header=BB258_16 Depth=1
	v_and_b32_e32 v28, 7, v24
	v_lshrrev_b32_e32 v100, 3, v112
	s_mov_b32 s25, exec_lo
	v_cmpx_gt_u32_e32 8, v112
; %bb.591:                              ;   in Loop: Header=BB258_16 Depth=1
	s_delay_alu instid0(VALU_DEP_3) | instskip(NEXT) | instid1(VALU_DEP_1)
	v_clz_i32_u32_e32 v100, v28
	v_min_u32_e32 v100, 32, v100
	s_delay_alu instid0(VALU_DEP_1) | instskip(SKIP_1) | instid1(VALU_DEP_2)
	v_subrev_nc_u32_e32 v101, 28, v100
	v_sub_nc_u32_e32 v100, 29, v100
	v_lshlrev_b64 v[112:113], v101, v[28:29]
	s_delay_alu instid0(VALU_DEP_1)
	v_and_b32_e32 v28, 7, v112
; %bb.592:                              ;   in Loop: Header=BB258_16 Depth=1
	s_or_b32 exec_lo, exec_lo, s25
	v_lshlrev_b32_e32 v24, 24, v24
	s_delay_alu instid0(VALU_DEP_2) | instskip(SKIP_1) | instid1(VALU_DEP_3)
	v_lshlrev_b32_e32 v28, 20, v28
	v_lshl_add_u32 v100, v100, 23, 0x3c000000
	v_and_b32_e32 v24, 0x80000000, v24
	s_delay_alu instid0(VALU_DEP_1)
	v_or3_b32 v101, v28, v24, v100
	v_mov_b32_e32 v100, v29
.LBB258_593:                            ;   in Loop: Header=BB258_16 Depth=1
	s_or_b32 exec_lo, exec_lo, s2
.LBB258_594:                            ;   in Loop: Header=BB258_16 Depth=1
	s_delay_alu instid0(SALU_CYCLE_1)
	s_or_b32 exec_lo, exec_lo, s24
.LBB258_595:                            ;   in Loop: Header=BB258_16 Depth=1
	s_delay_alu instid0(SALU_CYCLE_1)
	s_or_b32 exec_lo, exec_lo, s23
	flat_load_b32 v112, v[72:73] offset:2056
	v_mov_b32_e32 v118, 0
	v_mov_b32_e32 v119, 0
	s_mov_b32 s2, exec_lo
	s_waitcnt vmcnt(0) lgkmcnt(0)
	s_delay_alu instid0(VALU_DEP_1) | instskip(SKIP_1) | instid1(VALU_DEP_2)
	v_dual_mov_b32 v129, v119 :: v_dual_and_b32 v24, 0xff, v112
	v_mov_b32_e32 v128, v118
	v_cmpx_ne_u16_e32 0, v24
	s_cbranch_execz .LBB258_603
; %bb.596:                              ;   in Loop: Header=BB258_16 Depth=1
	v_bfrev_b32_e32 v128, 1
	v_mov_b32_e32 v129, 0
	s_mov_b32 s23, exec_lo
	v_cmpx_ne_u16_e32 0x80, v24
	s_cbranch_execz .LBB258_602
; %bb.597:                              ;   in Loop: Header=BB258_16 Depth=1
	v_mov_b32_e32 v128, 0x7f800001
	v_and_b32_e32 v113, 0x7f, v112
	v_mov_b32_e32 v129, 0
	s_mov_b32 s24, exec_lo
	s_delay_alu instid0(VALU_DEP_2)
	v_cmpx_ne_u32_e32 0x7f, v113
	s_cbranch_execz .LBB258_601
; %bb.598:                              ;   in Loop: Header=BB258_16 Depth=1
	v_and_b32_e32 v28, 7, v112
	v_lshrrev_b32_e32 v24, 3, v113
	s_mov_b32 s25, exec_lo
	v_cmpx_gt_u32_e32 8, v113
; %bb.599:                              ;   in Loop: Header=BB258_16 Depth=1
	s_delay_alu instid0(VALU_DEP_3) | instskip(NEXT) | instid1(VALU_DEP_1)
	v_clz_i32_u32_e32 v24, v28
	v_min_u32_e32 v24, 32, v24
	s_delay_alu instid0(VALU_DEP_1) | instskip(SKIP_1) | instid1(VALU_DEP_2)
	v_subrev_nc_u32_e32 v113, 28, v24
	v_sub_nc_u32_e32 v24, 29, v24
	v_lshlrev_b64 v[113:114], v113, v[28:29]
	s_delay_alu instid0(VALU_DEP_1)
	v_and_b32_e32 v28, 7, v113
; %bb.600:                              ;   in Loop: Header=BB258_16 Depth=1
	s_or_b32 exec_lo, exec_lo, s25
	v_lshlrev_b32_e32 v113, 24, v112
	s_delay_alu instid0(VALU_DEP_2) | instskip(SKIP_1) | instid1(VALU_DEP_3)
	v_lshlrev_b32_e32 v28, 20, v28
	v_lshl_add_u32 v24, v24, 23, 0x3c000000
	v_and_b32_e32 v113, 0x80000000, v113
	s_delay_alu instid0(VALU_DEP_1) | instskip(NEXT) | instid1(VALU_DEP_1)
	v_or3_b32 v28, v28, v113, v24
	v_dual_mov_b32 v129, v29 :: v_dual_mov_b32 v128, v28
.LBB258_601:                            ;   in Loop: Header=BB258_16 Depth=1
	s_or_b32 exec_lo, exec_lo, s24
.LBB258_602:                            ;   in Loop: Header=BB258_16 Depth=1
	s_delay_alu instid0(SALU_CYCLE_1)
	s_or_b32 exec_lo, exec_lo, s23
.LBB258_603:                            ;   in Loop: Header=BB258_16 Depth=1
	s_delay_alu instid0(SALU_CYCLE_1) | instskip(SKIP_2) | instid1(VALU_DEP_1)
	s_or_b32 exec_lo, exec_lo, s2
	v_lshrrev_b16 v24, 8, v112
	s_mov_b32 s23, exec_lo
	v_cmpx_ne_u16_e32 0, v24
	s_cbranch_execz .LBB258_611
; %bb.604:                              ;   in Loop: Header=BB258_16 Depth=1
	v_dual_mov_b32 v119, s17 :: v_dual_mov_b32 v118, s16
	s_mov_b32 s24, exec_lo
	v_cmpx_ne_u16_e32 0x80, v24
	s_cbranch_execz .LBB258_610
; %bb.605:                              ;   in Loop: Header=BB258_16 Depth=1
	s_mov_b32 s2, s16
	v_dual_mov_b32 v119, s3 :: v_dual_and_b32 v24, 0xffff, v24
	v_mov_b32_e32 v118, s2
	s_mov_b32 s2, exec_lo
	s_delay_alu instid0(VALU_DEP_2) | instskip(NEXT) | instid1(VALU_DEP_1)
	v_and_b32_e32 v113, 0x7f, v24
	v_cmpx_ne_u32_e32 0x7f, v113
	s_cbranch_execz .LBB258_609
; %bb.606:                              ;   in Loop: Header=BB258_16 Depth=1
	v_and_b32_e32 v28, 7, v24
	v_lshrrev_b32_e32 v24, 3, v113
	s_mov_b32 s25, exec_lo
	v_cmpx_gt_u32_e32 8, v113
; %bb.607:                              ;   in Loop: Header=BB258_16 Depth=1
	s_delay_alu instid0(VALU_DEP_3) | instskip(NEXT) | instid1(VALU_DEP_1)
	v_clz_i32_u32_e32 v24, v28
	v_min_u32_e32 v24, 32, v24
	s_delay_alu instid0(VALU_DEP_1) | instskip(SKIP_1) | instid1(VALU_DEP_2)
	v_subrev_nc_u32_e32 v113, 28, v24
	v_sub_nc_u32_e32 v24, 29, v24
	v_lshlrev_b64 v[113:114], v113, v[28:29]
	s_delay_alu instid0(VALU_DEP_1)
	v_and_b32_e32 v28, 7, v113
; %bb.608:                              ;   in Loop: Header=BB258_16 Depth=1
	s_or_b32 exec_lo, exec_lo, s25
	v_dual_mov_b32 v118, v29 :: v_dual_lshlrev_b32 v113, 16, v112
	s_delay_alu instid0(VALU_DEP_2) | instskip(SKIP_1) | instid1(VALU_DEP_3)
	v_lshlrev_b32_e32 v28, 20, v28
	v_lshl_add_u32 v24, v24, 23, 0x3c000000
	v_and_b32_e32 v113, 0x80000000, v113
	s_delay_alu instid0(VALU_DEP_1)
	v_or3_b32 v119, v28, v113, v24
.LBB258_609:                            ;   in Loop: Header=BB258_16 Depth=1
	s_or_b32 exec_lo, exec_lo, s2
.LBB258_610:                            ;   in Loop: Header=BB258_16 Depth=1
	s_delay_alu instid0(SALU_CYCLE_1)
	s_or_b32 exec_lo, exec_lo, s24
.LBB258_611:                            ;   in Loop: Header=BB258_16 Depth=1
	s_delay_alu instid0(SALU_CYCLE_1) | instskip(SKIP_4) | instid1(VALU_DEP_1)
	s_or_b32 exec_lo, exec_lo, s23
	v_mov_b32_e32 v130, 0
	v_lshrrev_b32_e32 v24, 16, v112
	v_mov_b32_e32 v131, 0
	s_mov_b32 s2, exec_lo
	v_dual_mov_b32 v133, v131 :: v_dual_and_b32 v28, 0xff, v24
	v_mov_b32_e32 v132, v130
	s_delay_alu instid0(VALU_DEP_2)
	v_cmpx_ne_u16_e32 0, v28
	s_cbranch_execz .LBB258_619
; %bb.612:                              ;   in Loop: Header=BB258_16 Depth=1
	v_bfrev_b32_e32 v132, 1
	v_mov_b32_e32 v133, 0
	s_mov_b32 s23, exec_lo
	v_cmpx_ne_u16_e32 0x80, v28
	s_cbranch_execz .LBB258_618
; %bb.613:                              ;   in Loop: Header=BB258_16 Depth=1
	v_mov_b32_e32 v132, 0x7f800001
	v_bfe_u32 v114, v112, 16, 7
	v_mov_b32_e32 v133, 0
	s_mov_b32 s24, exec_lo
	s_delay_alu instid0(VALU_DEP_2)
	v_cmpx_ne_u32_e32 0x7f, v114
	s_cbranch_execz .LBB258_617
; %bb.614:                              ;   in Loop: Header=BB258_16 Depth=1
	v_and_b32_e32 v28, 7, v24
	v_lshrrev_b32_e32 v113, 3, v114
	s_mov_b32 s25, exec_lo
	v_cmpx_gt_u32_e32 8, v114
; %bb.615:                              ;   in Loop: Header=BB258_16 Depth=1
	s_delay_alu instid0(VALU_DEP_3) | instskip(NEXT) | instid1(VALU_DEP_1)
	v_clz_i32_u32_e32 v113, v28
	v_min_u32_e32 v113, 32, v113
	s_delay_alu instid0(VALU_DEP_1) | instskip(SKIP_1) | instid1(VALU_DEP_2)
	v_subrev_nc_u32_e32 v114, 28, v113
	v_sub_nc_u32_e32 v113, 29, v113
	v_lshlrev_b64 v[114:115], v114, v[28:29]
	s_delay_alu instid0(VALU_DEP_1)
	v_and_b32_e32 v28, 7, v114
; %bb.616:                              ;   in Loop: Header=BB258_16 Depth=1
	s_or_b32 exec_lo, exec_lo, s25
	v_lshlrev_b32_e32 v24, 24, v24
	s_delay_alu instid0(VALU_DEP_2) | instskip(SKIP_1) | instid1(VALU_DEP_3)
	v_lshlrev_b32_e32 v28, 20, v28
	v_lshl_add_u32 v113, v113, 23, 0x3c000000
	v_and_b32_e32 v24, 0x80000000, v24
	s_delay_alu instid0(VALU_DEP_1) | instskip(NEXT) | instid1(VALU_DEP_1)
	v_or3_b32 v28, v28, v24, v113
	v_dual_mov_b32 v133, v29 :: v_dual_mov_b32 v132, v28
.LBB258_617:                            ;   in Loop: Header=BB258_16 Depth=1
	s_or_b32 exec_lo, exec_lo, s24
.LBB258_618:                            ;   in Loop: Header=BB258_16 Depth=1
	s_delay_alu instid0(SALU_CYCLE_1)
	s_or_b32 exec_lo, exec_lo, s23
.LBB258_619:                            ;   in Loop: Header=BB258_16 Depth=1
	s_delay_alu instid0(SALU_CYCLE_1) | instskip(NEXT) | instid1(SALU_CYCLE_1)
	s_or_b32 exec_lo, exec_lo, s2
	s_mov_b32 s23, exec_lo
	v_cmpx_lt_u32_e32 0xffffff, v112
	s_cbranch_execz .LBB258_627
; %bb.620:                              ;   in Loop: Header=BB258_16 Depth=1
	v_lshrrev_b32_e32 v24, 24, v112
	v_dual_mov_b32 v131, s17 :: v_dual_mov_b32 v130, s16
	s_mov_b32 s24, exec_lo
	s_delay_alu instid0(VALU_DEP_2)
	v_cmpx_ne_u32_e32 0x80, v24
	s_cbranch_execz .LBB258_626
; %bb.621:                              ;   in Loop: Header=BB258_16 Depth=1
	s_mov_b32 s2, s16
	v_bfe_u32 v113, v112, 24, 7
	v_dual_mov_b32 v131, s3 :: v_dual_mov_b32 v130, s2
	s_mov_b32 s2, exec_lo
	s_delay_alu instid0(VALU_DEP_2)
	v_cmpx_ne_u32_e32 0x7f, v113
	s_cbranch_execz .LBB258_625
; %bb.622:                              ;   in Loop: Header=BB258_16 Depth=1
	v_and_b32_e32 v28, 7, v24
	v_lshrrev_b32_e32 v112, 3, v113
	s_mov_b32 s25, exec_lo
	v_cmpx_gt_u32_e32 8, v113
; %bb.623:                              ;   in Loop: Header=BB258_16 Depth=1
	s_delay_alu instid0(VALU_DEP_3) | instskip(NEXT) | instid1(VALU_DEP_1)
	v_clz_i32_u32_e32 v112, v28
	v_min_u32_e32 v112, 32, v112
	s_delay_alu instid0(VALU_DEP_1) | instskip(SKIP_1) | instid1(VALU_DEP_2)
	v_subrev_nc_u32_e32 v113, 28, v112
	v_sub_nc_u32_e32 v112, 29, v112
	v_lshlrev_b64 v[113:114], v113, v[28:29]
	s_delay_alu instid0(VALU_DEP_1)
	v_and_b32_e32 v28, 7, v113
; %bb.624:                              ;   in Loop: Header=BB258_16 Depth=1
	s_or_b32 exec_lo, exec_lo, s25
	v_lshlrev_b32_e32 v24, 24, v24
	s_delay_alu instid0(VALU_DEP_2) | instskip(SKIP_2) | instid1(VALU_DEP_4)
	v_lshlrev_b32_e32 v28, 20, v28
	v_lshl_add_u32 v112, v112, 23, 0x3c000000
	v_mov_b32_e32 v130, v29
	v_and_b32_e32 v24, 0x80000000, v24
	s_delay_alu instid0(VALU_DEP_1)
	v_or3_b32 v131, v28, v24, v112
.LBB258_625:                            ;   in Loop: Header=BB258_16 Depth=1
	s_or_b32 exec_lo, exec_lo, s2
.LBB258_626:                            ;   in Loop: Header=BB258_16 Depth=1
	s_delay_alu instid0(SALU_CYCLE_1)
	s_or_b32 exec_lo, exec_lo, s24
.LBB258_627:                            ;   in Loop: Header=BB258_16 Depth=1
	s_delay_alu instid0(SALU_CYCLE_1)
	s_or_b32 exec_lo, exec_lo, s23
	flat_load_b32 v24, v[72:73] offset:2060
	v_mov_b32_e32 v72, 0
	v_mov_b32_e32 v73, 0
	s_mov_b32 s2, exec_lo
	s_waitcnt vmcnt(0) lgkmcnt(0)
	s_delay_alu instid0(VALU_DEP_1) | instskip(SKIP_1) | instid1(VALU_DEP_2)
	v_dual_mov_b32 v113, v73 :: v_dual_and_b32 v28, 0xff, v24
	v_mov_b32_e32 v112, v72
	v_cmpx_ne_u16_e32 0, v28
	s_cbranch_execz .LBB258_635
; %bb.628:                              ;   in Loop: Header=BB258_16 Depth=1
	v_bfrev_b32_e32 v112, 1
	v_mov_b32_e32 v113, 0
	s_mov_b32 s23, exec_lo
	v_cmpx_ne_u16_e32 0x80, v28
	s_cbranch_execz .LBB258_634
; %bb.629:                              ;   in Loop: Header=BB258_16 Depth=1
	v_mov_b32_e32 v112, 0x7f800001
	v_dual_mov_b32 v113, 0 :: v_dual_and_b32 v114, 0x7f, v24
	s_mov_b32 s24, exec_lo
	s_delay_alu instid0(VALU_DEP_1)
	v_cmpx_ne_u32_e32 0x7f, v114
	s_cbranch_execz .LBB258_633
; %bb.630:                              ;   in Loop: Header=BB258_16 Depth=1
	v_and_b32_e32 v28, 7, v24
	v_lshrrev_b32_e32 v112, 3, v114
	s_mov_b32 s25, exec_lo
	v_cmpx_gt_u32_e32 8, v114
; %bb.631:                              ;   in Loop: Header=BB258_16 Depth=1
	s_delay_alu instid0(VALU_DEP_3) | instskip(NEXT) | instid1(VALU_DEP_1)
	v_clz_i32_u32_e32 v112, v28
	v_min_u32_e32 v112, 32, v112
	s_delay_alu instid0(VALU_DEP_1) | instskip(SKIP_1) | instid1(VALU_DEP_2)
	v_subrev_nc_u32_e32 v113, 28, v112
	v_sub_nc_u32_e32 v112, 29, v112
	v_lshlrev_b64 v[113:114], v113, v[28:29]
	s_delay_alu instid0(VALU_DEP_1)
	v_and_b32_e32 v28, 7, v113
; %bb.632:                              ;   in Loop: Header=BB258_16 Depth=1
	s_or_b32 exec_lo, exec_lo, s25
	v_lshlrev_b32_e32 v113, 24, v24
	s_delay_alu instid0(VALU_DEP_2) | instskip(SKIP_1) | instid1(VALU_DEP_3)
	v_lshlrev_b32_e32 v28, 20, v28
	v_lshl_add_u32 v112, v112, 23, 0x3c000000
	v_and_b32_e32 v113, 0x80000000, v113
	s_delay_alu instid0(VALU_DEP_1) | instskip(NEXT) | instid1(VALU_DEP_1)
	v_or3_b32 v28, v28, v113, v112
	v_dual_mov_b32 v113, v29 :: v_dual_mov_b32 v112, v28
.LBB258_633:                            ;   in Loop: Header=BB258_16 Depth=1
	s_or_b32 exec_lo, exec_lo, s24
.LBB258_634:                            ;   in Loop: Header=BB258_16 Depth=1
	s_delay_alu instid0(SALU_CYCLE_1)
	s_or_b32 exec_lo, exec_lo, s23
.LBB258_635:                            ;   in Loop: Header=BB258_16 Depth=1
	s_delay_alu instid0(SALU_CYCLE_1) | instskip(SKIP_2) | instid1(VALU_DEP_1)
	s_or_b32 exec_lo, exec_lo, s2
	v_lshrrev_b16 v28, 8, v24
	s_mov_b32 s23, exec_lo
	v_cmpx_ne_u16_e32 0, v28
	s_cbranch_execz .LBB258_643
; %bb.636:                              ;   in Loop: Header=BB258_16 Depth=1
	v_dual_mov_b32 v73, s17 :: v_dual_mov_b32 v72, s16
	s_mov_b32 s24, exec_lo
	v_cmpx_ne_u16_e32 0x80, v28
	s_cbranch_execz .LBB258_642
; %bb.637:                              ;   in Loop: Header=BB258_16 Depth=1
	s_mov_b32 s2, s16
	v_dual_mov_b32 v73, s3 :: v_dual_and_b32 v28, 0xffff, v28
	v_mov_b32_e32 v72, s2
	s_mov_b32 s2, exec_lo
	s_delay_alu instid0(VALU_DEP_2) | instskip(NEXT) | instid1(VALU_DEP_1)
	v_and_b32_e32 v115, 0x7f, v28
	v_cmpx_ne_u32_e32 0x7f, v115
	s_cbranch_execz .LBB258_641
; %bb.638:                              ;   in Loop: Header=BB258_16 Depth=1
	v_and_b32_e32 v28, 7, v28
	v_lshrrev_b32_e32 v114, 3, v115
	s_mov_b32 s25, exec_lo
	v_cmpx_gt_u32_e32 8, v115
; %bb.639:                              ;   in Loop: Header=BB258_16 Depth=1
	s_delay_alu instid0(VALU_DEP_3) | instskip(NEXT) | instid1(VALU_DEP_1)
	v_clz_i32_u32_e32 v114, v28
	v_min_u32_e32 v114, 32, v114
	s_delay_alu instid0(VALU_DEP_1) | instskip(SKIP_1) | instid1(VALU_DEP_2)
	v_subrev_nc_u32_e32 v115, 28, v114
	v_sub_nc_u32_e32 v114, 29, v114
	v_lshlrev_b64 v[115:116], v115, v[28:29]
	s_delay_alu instid0(VALU_DEP_1)
	v_and_b32_e32 v28, 7, v115
; %bb.640:                              ;   in Loop: Header=BB258_16 Depth=1
	s_or_b32 exec_lo, exec_lo, s25
	v_dual_mov_b32 v72, v29 :: v_dual_lshlrev_b32 v115, 16, v24
	s_delay_alu instid0(VALU_DEP_2) | instskip(SKIP_1) | instid1(VALU_DEP_3)
	v_lshlrev_b32_e32 v28, 20, v28
	v_lshl_add_u32 v114, v114, 23, 0x3c000000
	v_and_b32_e32 v115, 0x80000000, v115
	s_delay_alu instid0(VALU_DEP_1)
	v_or3_b32 v73, v28, v115, v114
.LBB258_641:                            ;   in Loop: Header=BB258_16 Depth=1
	s_or_b32 exec_lo, exec_lo, s2
.LBB258_642:                            ;   in Loop: Header=BB258_16 Depth=1
	s_delay_alu instid0(SALU_CYCLE_1)
	s_or_b32 exec_lo, exec_lo, s24
.LBB258_643:                            ;   in Loop: Header=BB258_16 Depth=1
	s_delay_alu instid0(SALU_CYCLE_1) | instskip(SKIP_4) | instid1(VALU_DEP_1)
	s_or_b32 exec_lo, exec_lo, s23
	v_mov_b32_e32 v114, 0
	v_lshrrev_b32_e32 v47, 16, v24
	v_mov_b32_e32 v115, 0
	s_mov_b32 s2, exec_lo
	v_dual_mov_b32 v117, v115 :: v_dual_and_b32 v28, 0xff, v47
	v_mov_b32_e32 v116, v114
	s_delay_alu instid0(VALU_DEP_2)
	v_cmpx_ne_u16_e32 0, v28
	s_cbranch_execz .LBB258_651
; %bb.644:                              ;   in Loop: Header=BB258_16 Depth=1
	v_bfrev_b32_e32 v116, 1
	v_mov_b32_e32 v117, 0
	s_mov_b32 s23, exec_lo
	v_cmpx_ne_u16_e32 0x80, v28
	s_cbranch_execz .LBB258_650
; %bb.645:                              ;   in Loop: Header=BB258_16 Depth=1
	v_mov_b32_e32 v116, 0x7f800001
	v_bfe_u32 v134, v24, 16, 7
	v_mov_b32_e32 v117, 0
	s_mov_b32 s24, exec_lo
	s_delay_alu instid0(VALU_DEP_2)
	v_cmpx_ne_u32_e32 0x7f, v134
	s_cbranch_execz .LBB258_649
; %bb.646:                              ;   in Loop: Header=BB258_16 Depth=1
	v_and_b32_e32 v28, 7, v47
	v_lshrrev_b32_e32 v116, 3, v134
	s_mov_b32 s25, exec_lo
	v_cmpx_gt_u32_e32 8, v134
; %bb.647:                              ;   in Loop: Header=BB258_16 Depth=1
	s_delay_alu instid0(VALU_DEP_3) | instskip(NEXT) | instid1(VALU_DEP_1)
	v_clz_i32_u32_e32 v116, v28
	v_min_u32_e32 v116, 32, v116
	s_delay_alu instid0(VALU_DEP_1) | instskip(SKIP_1) | instid1(VALU_DEP_2)
	v_subrev_nc_u32_e32 v117, 28, v116
	v_sub_nc_u32_e32 v116, 29, v116
	v_lshlrev_b64 v[144:145], v117, v[28:29]
	s_delay_alu instid0(VALU_DEP_1)
	v_and_b32_e32 v28, 7, v144
; %bb.648:                              ;   in Loop: Header=BB258_16 Depth=1
	s_or_b32 exec_lo, exec_lo, s25
	v_lshlrev_b32_e32 v117, 24, v47
	s_delay_alu instid0(VALU_DEP_2) | instskip(SKIP_1) | instid1(VALU_DEP_3)
	v_lshlrev_b32_e32 v28, 20, v28
	v_lshl_add_u32 v116, v116, 23, 0x3c000000
	v_and_b32_e32 v117, 0x80000000, v117
	s_delay_alu instid0(VALU_DEP_1) | instskip(NEXT) | instid1(VALU_DEP_1)
	v_or3_b32 v28, v28, v117, v116
	v_dual_mov_b32 v117, v29 :: v_dual_mov_b32 v116, v28
.LBB258_649:                            ;   in Loop: Header=BB258_16 Depth=1
	s_or_b32 exec_lo, exec_lo, s24
.LBB258_650:                            ;   in Loop: Header=BB258_16 Depth=1
	s_delay_alu instid0(SALU_CYCLE_1)
	s_or_b32 exec_lo, exec_lo, s23
.LBB258_651:                            ;   in Loop: Header=BB258_16 Depth=1
	s_delay_alu instid0(SALU_CYCLE_1) | instskip(NEXT) | instid1(SALU_CYCLE_1)
	s_or_b32 exec_lo, exec_lo, s2
	s_mov_b32 s23, exec_lo
	v_cmpx_lt_u32_e32 0xffffff, v24
	s_cbranch_execz .LBB258_14
; %bb.652:                              ;   in Loop: Header=BB258_16 Depth=1
	v_lshrrev_b32_e32 v47, 24, v24
	v_dual_mov_b32 v115, s17 :: v_dual_mov_b32 v114, s16
	s_mov_b32 s24, exec_lo
	s_delay_alu instid0(VALU_DEP_2)
	v_cmpx_ne_u32_e32 0x80, v47
	s_cbranch_execz .LBB258_13
; %bb.653:                              ;   in Loop: Header=BB258_16 Depth=1
	s_mov_b32 s2, s16
	v_bfe_u32 v134, v24, 24, 7
	v_dual_mov_b32 v115, s3 :: v_dual_mov_b32 v114, s2
	s_mov_b32 s2, exec_lo
	s_delay_alu instid0(VALU_DEP_2)
	v_cmpx_ne_u32_e32 0x7f, v134
	s_cbranch_execz .LBB258_12
; %bb.654:                              ;   in Loop: Header=BB258_16 Depth=1
	v_and_b32_e32 v28, 7, v47
	v_lshrrev_b32_e32 v24, 3, v134
	s_mov_b32 s25, exec_lo
	v_cmpx_gt_u32_e32 8, v134
	s_cbranch_execz .LBB258_11
; %bb.655:                              ;   in Loop: Header=BB258_16 Depth=1
	v_clz_i32_u32_e32 v24, v28
	s_delay_alu instid0(VALU_DEP_1) | instskip(NEXT) | instid1(VALU_DEP_1)
	v_min_u32_e32 v24, 32, v24
	v_subrev_nc_u32_e32 v114, 28, v24
	v_sub_nc_u32_e32 v24, 29, v24
	s_delay_alu instid0(VALU_DEP_2) | instskip(NEXT) | instid1(VALU_DEP_1)
	v_lshlrev_b64 v[114:115], v114, v[28:29]
	v_and_b32_e32 v28, 7, v114
	s_branch .LBB258_11
.LBB258_656:
	s_or_b32 exec_lo, exec_lo, s21
	s_clause 0xf
	scratch_load_b32 v146, off, s32 offset:744
	scratch_load_b32 v14, off, s32 offset:684
	;; [unrolled: 1-line block ×9, first 2 shown]
	scratch_load_b64 v[11:12], off, s32 offset:716
	scratch_load_b32 v13, off, s32 offset:724
	scratch_load_b32 v18, off, s32 offset:728
	;; [unrolled: 1-line block ×6, first 2 shown]
.LBB258_657:
	s_or_b32 exec_lo, exec_lo, s20
	v_mbcnt_lo_u32_b32 v0, -1, 0
	s_waitcnt lgkmcnt(0)
	s_lshr_b32 s8, s19, 16
	v_max_f32_e32 v4, v19, v19
	s_delay_alu instid0(VALU_DEP_2) | instskip(SKIP_2) | instid1(VALU_DEP_3)
	v_xor_b32_e32 v1, 16, v0
	v_xor_b32_e32 v3, 8, v0
	;; [unrolled: 1-line block ×3, first 2 shown]
	v_cmp_gt_i32_e32 vcc_lo, 32, v1
	v_cndmask_b32_e32 v1, v0, v1, vcc_lo
	s_delay_alu instid0(VALU_DEP_4) | instskip(NEXT) | instid1(VALU_DEP_2)
	v_cmp_gt_i32_e32 vcc_lo, 32, v3
	v_dual_cndmask_b32 v3, v0, v3 :: v_dual_lshlrev_b32 v2, 2, v1
	v_cmp_gt_i32_e32 vcc_lo, 32, v5
	ds_bpermute_b32 v1, v2, v19
	v_lshlrev_b32_e32 v3, 2, v3
	v_cndmask_b32_e32 v5, v0, v5, vcc_lo
	s_waitcnt lgkmcnt(0)
	v_max_f32_e32 v1, v1, v1
	s_delay_alu instid0(VALU_DEP_1)
	v_max_f32_e32 v1, v4, v1
	ds_bpermute_b32 v4, v3, v1
	s_waitcnt lgkmcnt(0)
	v_max_f32_e32 v4, v4, v4
	v_lshlrev_b32_e32 v20, 2, v5
	v_xor_b32_e32 v5, 2, v0
	s_delay_alu instid0(VALU_DEP_3) | instskip(NEXT) | instid1(VALU_DEP_2)
	v_max_f32_e32 v1, v1, v4
	v_cmp_gt_i32_e32 vcc_lo, 32, v5
	ds_bpermute_b32 v4, v20, v1
	v_cndmask_b32_e32 v5, v0, v5, vcc_lo
	s_waitcnt lgkmcnt(0)
	v_max_f32_e32 v4, v4, v4
	s_delay_alu instid0(VALU_DEP_2) | instskip(SKIP_1) | instid1(VALU_DEP_3)
	v_lshlrev_b32_e32 v22, 2, v5
	v_xor_b32_e32 v5, 1, v0
	v_max_f32_e32 v1, v1, v4
	s_delay_alu instid0(VALU_DEP_2) | instskip(SKIP_3) | instid1(VALU_DEP_1)
	v_cmp_gt_i32_e32 vcc_lo, 32, v5
	ds_bpermute_b32 v4, v22, v1
	v_cndmask_b32_e32 v5, v0, v5, vcc_lo
	s_waitcnt lgkmcnt(0)
	v_dual_max_f32 v4, v4, v4 :: v_dual_lshlrev_b32 v21, 2, v5
	s_delay_alu instid0(VALU_DEP_1)
	v_max_f32_e32 v0, v1, v4
	scratch_load_b32 v4, off, s32 offset:360 ; 4-byte Folded Reload
	ds_bpermute_b32 v1, v21, v0
	s_waitcnt vmcnt(0)
	v_cmp_eq_u32_e32 vcc_lo, 0, v4
	scratch_load_b32 v4, off, s32 offset:672 ; 4-byte Folded Reload
	s_waitcnt vmcnt(0)
	v_lshlrev_b32_e32 v4, 2, v4
	s_and_saveexec_b32 s1, vcc_lo
	s_cbranch_execz .LBB258_659
; %bb.658:
	s_waitcnt lgkmcnt(0)
	v_dual_max_f32 v1, v1, v1 :: v_dual_max_f32 v0, v0, v0
	s_delay_alu instid0(VALU_DEP_1)
	v_max_f32_e32 v0, v0, v1
	ds_store_b32 v4, v0 offset:320
.LBB258_659:
	s_or_b32 exec_lo, exec_lo, s1
	scratch_load_b32 v0, off, s32 offset:360 ; 4-byte Folded Reload
	s_waitcnt vmcnt(0) lgkmcnt(0)
	s_waitcnt_vscnt null, 0x0
	s_barrier
	buffer_gl0_inv
	v_cmp_gt_u32_e64 s1, 4, v0
	v_mov_b32_e32 v0, 0xff7fffff
	s_delay_alu instid0(VALU_DEP_2)
	s_and_saveexec_b32 s2, s1
	s_cbranch_execz .LBB258_661
; %bb.660:
	ds_load_b32 v0, v10 offset:320
.LBB258_661:
	s_or_b32 exec_lo, exec_lo, s2
	scratch_load_b32 v5, off, s32 offset:344 ; 4-byte Folded Reload
	s_waitcnt lgkmcnt(0)
	ds_bpermute_b32 v1, v22, v0
	s_waitcnt lgkmcnt(0)
	v_dual_max_f32 v0, v0, v0 :: v_dual_max_f32 v1, v1, v1
	s_delay_alu instid0(VALU_DEP_1)
	v_max_f32_e32 v0, v0, v1
	s_waitcnt vmcnt(0)
	v_subrev_nc_u32_e32 v6, s13, v5
	v_mov_b32_e32 v5, 0
	ds_bpermute_b32 v1, v21, v0
	s_waitcnt lgkmcnt(0)
	v_max_f32_e32 v1, v1, v1
	s_delay_alu instid0(VALU_DEP_1) | instskip(SKIP_3) | instid1(VALU_DEP_1)
	v_max_f32_e32 v0, v0, v1
	v_lshl_add_u32 v1, v6, 5, s15
	ds_bpermute_b32 v0, v5, v0
	v_min_i32_e32 v1, v1, v135
	v_subrev_nc_u32_e32 v1, s15, v1
	s_delay_alu instid0(VALU_DEP_1) | instskip(NEXT) | instid1(VALU_DEP_1)
	v_cmp_lt_i32_e64 s2, v146, v1
	s_and_saveexec_b32 s9, s2
	s_cbranch_execz .LBB258_665
; %bb.662:
	s_getpc_b64 s[16:17]
	s_add_u32 s16, s16, llvm.amdgcn.dynlds.offset.table@rel32@lo+4
	s_addc_u32 s17, s17, llvm.amdgcn.dynlds.offset.table@rel32@hi+12
	s_ashr_i32 s7, s6, 31
	v_mov_b32_e32 v5, 0
	s_lshl_b64 s[20:21], s[6:7], 2
	v_mov_b32_e32 v7, v146
	s_add_u32 s16, s20, s16
	s_addc_u32 s17, s21, s17
	s_mov_b32 s7, 0
	s_load_b32 s3, s[16:17], 0x0
	s_waitcnt lgkmcnt(0)
	v_lshl_add_u32 v6, v146, 2, s3
	.p2align	6
.LBB258_663:                            ; =>This Inner Loop Header: Depth=1
	ds_load_b32 v8, v6
	v_add_nc_u32_e32 v7, 0x80, v7
	s_delay_alu instid0(VALU_DEP_1) | instskip(NEXT) | instid1(VALU_DEP_1)
	v_cmp_ge_i32_e64 s3, v7, v1
	s_or_b32 s7, s3, s7
	s_waitcnt lgkmcnt(0)
	v_sub_f32_e32 v8, v8, v0
	s_delay_alu instid0(VALU_DEP_1) | instskip(NEXT) | instid1(VALU_DEP_1)
	v_mul_f32_e32 v8, 0x3fb8aa3b, v8
	v_exp_f32_e32 v8, v8
	ds_store_b32 v6, v8
	v_dual_add_f32 v5, v5, v8 :: v_dual_add_nc_u32 v6, 0x200, v6
	s_and_not1_b32 exec_lo, exec_lo, s7
	s_cbranch_execnz .LBB258_663
; %bb.664:
	s_or_b32 exec_lo, exec_lo, s7
.LBB258_665:
	s_delay_alu instid0(SALU_CYCLE_1)
	s_or_b32 exec_lo, exec_lo, s9
	ds_bpermute_b32 v2, v2, v5
	s_waitcnt lgkmcnt(0)
	v_add_f32_e32 v2, v5, v2
	ds_bpermute_b32 v3, v3, v2
	s_waitcnt lgkmcnt(0)
	v_add_f32_e32 v2, v2, v3
	;; [unrolled: 3-line block ×5, first 2 shown]
	s_and_saveexec_b32 s3, vcc_lo
	s_cbranch_execz .LBB258_667
; %bb.666:
	ds_store_b32 v4, v2 offset:336
.LBB258_667:
	s_or_b32 exec_lo, exec_lo, s3
	s_waitcnt lgkmcnt(0)
	s_barrier
	buffer_gl0_inv
	s_and_saveexec_b32 s3, s1
	s_cbranch_execz .LBB258_669
; %bb.668:
	ds_load_b32 v2, v10 offset:336
.LBB258_669:
	s_or_b32 exec_lo, exec_lo, s3
	s_waitcnt lgkmcnt(0)
	ds_bpermute_b32 v3, v22, v2
	s_waitcnt lgkmcnt(0)
	v_add_f32_e32 v2, v2, v3
	ds_bpermute_b32 v3, v21, v2
	s_waitcnt lgkmcnt(0)
	v_dual_add_f32 v2, v2, v3 :: v_dual_mov_b32 v3, 0
	ds_bpermute_b32 v2, v3, v2
	s_and_saveexec_b32 s1, s2
	s_cbranch_execz .LBB258_672
; %bb.670:
	s_waitcnt lgkmcnt(0)
	v_add_f32_e32 v4, 0x358637bd, v2
	s_getpc_b64 s[2:3]
	s_add_u32 s2, s2, llvm.amdgcn.dynlds.offset.table@rel32@lo+4
	s_addc_u32 s3, s3, llvm.amdgcn.dynlds.offset.table@rel32@hi+12
	s_ashr_i32 s7, s6, 31
	s_delay_alu instid0(SALU_CYCLE_1) | instskip(SKIP_4) | instid1(VALU_DEP_1)
	s_lshl_b64 s[16:17], s[6:7], 2
	v_div_scale_f32 v3, null, v4, v4, 1.0
	s_add_u32 s2, s16, s2
	s_addc_u32 s3, s17, s3
	s_load_b32 s2, s[2:3], 0x0
	v_rcp_f32_e32 v5, v3
	s_waitcnt_depctr 0xfff
	v_fma_f32 v6, -v3, v5, 1.0
	s_delay_alu instid0(VALU_DEP_1) | instskip(SKIP_1) | instid1(VALU_DEP_1)
	v_fmac_f32_e32 v5, v6, v5
	v_div_scale_f32 v7, vcc_lo, 1.0, v4, 1.0
	v_mul_f32_e32 v6, v7, v5
	s_delay_alu instid0(VALU_DEP_1) | instskip(NEXT) | instid1(VALU_DEP_1)
	v_fma_f32 v8, -v3, v6, v7
	v_fmac_f32_e32 v6, v8, v5
	s_delay_alu instid0(VALU_DEP_1) | instskip(NEXT) | instid1(VALU_DEP_1)
	v_fma_f32 v3, -v3, v6, v7
	v_div_fmas_f32 v5, v3, v5, v6
	s_waitcnt lgkmcnt(0)
	v_lshl_add_u32 v3, v146, 2, s2
	s_mov_b32 s2, 0
	s_delay_alu instid0(VALU_DEP_2)
	v_div_fixup_f32 v4, v5, v4, 1.0
	v_mov_b32_e32 v5, v146
.LBB258_671:                            ; =>This Inner Loop Header: Depth=1
	ds_load_b32 v6, v3
	s_waitcnt lgkmcnt(0)
	v_dual_mul_f32 v6, v4, v6 :: v_dual_add_nc_u32 v5, 0x80, v5
	s_delay_alu instid0(VALU_DEP_1) | instskip(SKIP_3) | instid1(SALU_CYCLE_1)
	v_cmp_ge_i32_e32 vcc_lo, v5, v1
	ds_store_b32 v3, v6
	v_add_nc_u32_e32 v3, 0x200, v3
	s_or_b32 s2, vcc_lo, s2
	s_and_not1_b32 exec_lo, exec_lo, s2
	s_cbranch_execnz .LBB258_671
.LBB258_672:
	s_or_b32 exec_lo, exec_lo, s1
	v_cmp_ne_u16_e64 s1, s8, 0
	s_waitcnt lgkmcnt(0)
	s_barrier
	buffer_gl0_inv
	s_cmp_lg_u32 s1, 0
	s_addc_u32 s1, s5, 0
	s_mov_b32 s5, exec_lo
	s_mul_i32 s2, s1, s10
	s_delay_alu instid0(SALU_CYCLE_1)
	s_mul_i32 s2, s2, s11
	v_cmpx_eq_u32_e32 0, v146
	s_cbranch_execz .LBB258_674
; %bb.673:
	s_mul_i32 s8, s1, s12
	s_ashr_i32 s15, s14, 31
	s_ashr_i32 s9, s8, 31
	;; [unrolled: 1-line block ×3, first 2 shown]
	s_lshl_b64 s[8:9], s[8:9], 2
	s_lshl_b64 s[10:11], s[14:15], 2
	;; [unrolled: 1-line block ×3, first 2 shown]
	s_add_u32 s3, s10, s8
	s_addc_u32 s7, s11, s9
	s_add_u32 s3, s3, s12
	s_addc_u32 s7, s7, s13
	v_add_co_u32 v3, vcc_lo, s3, v32
	v_add_co_ci_u32_e32 v4, vcc_lo, s7, v27, vcc_lo
	v_add_co_u32 v5, vcc_lo, s3, v26
	v_add_co_ci_u32_e32 v6, vcc_lo, s7, v25, vcc_lo
	flat_store_b32 v[3:4], v0
	flat_store_b32 v[5:6], v2
.LBB258_674:
	s_or_b32 exec_lo, exec_lo, s5
	s_ashr_i32 s7, s6, 31
	s_getpc_b64 s[8:9]
	s_add_u32 s8, s8, llvm.amdgcn.dynlds.offset.table@rel32@lo+4
	s_addc_u32 s9, s9, llvm.amdgcn.dynlds.offset.table@rel32@hi+12
	s_lshl_b64 s[6:7], s[6:7], 2
	v_dual_mov_b32 v53, 0 :: v_dual_mov_b32 v88, v146
	v_dual_mov_b32 v54, 0 :: v_dual_and_b32 v25, 7, v146
	v_dual_mov_b32 v52, 0 :: v_dual_mov_b32 v51, 0
	v_dual_mov_b32 v50, 0 :: v_dual_mov_b32 v49, 0
	;; [unrolled: 1-line block ×9, first 2 shown]
	s_add_u32 s6, s6, s8
	s_addc_u32 s7, s7, s9
	s_mov_b32 s8, 0
	s_and_saveexec_b32 s3, s0
	s_cbranch_execz .LBB258_1360
; %bb.675:
	scratch_load_b32 v9, off, s32 offset:672 ; 4-byte Folded Reload
	v_max_i32_e32 v30, v30, v16
	s_load_b32 s0, s[6:7], 0x0
	v_dual_mov_b32 v7, 0 :: v_dual_lshlrev_b32 v2, 2, v88
	v_add_co_u32 v3, vcc_lo, v55, v13
	s_delay_alu instid0(VALU_DEP_3) | instskip(SKIP_3) | instid1(VALU_DEP_4)
	v_cvt_f32_u32_e32 v0, v30
	v_sub_nc_u32_e32 v8, 0, v30
	v_add_co_ci_u32_e32 v4, vcc_lo, v24, v17, vcc_lo
	v_dual_mov_b32 v27, 0 :: v_dual_lshlrev_b32 v6, 4, v25
	v_rcp_iflag_f32_e32 v5, v0
	v_lshlrev_b64 v[0:1], 2, v[176:177]
	v_dual_mov_b32 v37, 0 :: v_dual_and_b32 v64, 28, v2
	v_dual_mov_b32 v39, 0 :: v_dual_and_b32 v2, 0x7c, v2
	v_dual_mov_b32 v26, 0 :: v_dual_add_nc_u32 v55, -1, v18
	v_mov_b32_e32 v34, 0
	v_add_co_u32 v0, vcc_lo, v11, v0
	s_delay_alu instid0(TRANS32_DEP_1) | instskip(SKIP_2) | instid1(VALU_DEP_3)
	v_mul_f32_e32 v5, 0x4f7ffffe, v5
	v_add_co_ci_u32_e32 v1, vcc_lo, v12, v1, vcc_lo
	v_dual_mov_b32 v28, 0 :: v_dual_mov_b32 v29, 0
	v_cvt_u32_f32_e32 v5, v5
	v_dual_mov_b32 v31, 0 :: v_dual_mov_b32 v32, 0
	v_dual_mov_b32 v33, 0 :: v_dual_mov_b32 v36, 0
	s_delay_alu instid0(VALU_DEP_3)
	v_mul_lo_u32 v8, v8, v5
	v_dual_mov_b32 v35, 0 :: v_dual_mov_b32 v38, 0
	v_dual_mov_b32 v50, 0 :: v_dual_mov_b32 v51, 0
	;; [unrolled: 1-line block ×3, first 2 shown]
	v_mov_b32_e32 v54, 0
	v_mul_hi_u32 v12, v5, v8
	v_add_co_u32 v8, vcc_lo, v3, v2
	s_brev_b32 s9, 1
	v_mov_b32_e32 v49, 0
	s_mov_b32 s11, 0x7f800001
	s_mov_b32 s5, s8
	v_mov_b32_e32 v48, 0
	s_delay_alu instid0(VALU_DEP_4)
	v_add_nc_u32_e32 v66, v5, v12
	s_waitcnt vmcnt(0)
	v_lshl_or_b32 v6, v9, 7, v6
	v_add_co_ci_u32_e32 v9, vcc_lo, 0, v4, vcc_lo
	v_add_co_u32 v10, vcc_lo, v14, v0
	v_add_co_ci_u32_e32 v11, vcc_lo, v15, v1, vcc_lo
	s_waitcnt lgkmcnt(0)
	v_add_nc_u32_e32 v65, s0, v6
	s_branch .LBB258_678
.LBB258_676:                            ;   in Loop: Header=BB258_678 Depth=1
	s_or_b32 exec_lo, exec_lo, s0
	v_mul_f32_e32 v14, v1, v74
	v_mul_f32_e32 v16, v1, v58
	;; [unrolled: 1-line block ×3, first 2 shown]
	s_delay_alu instid0(VALU_DEP_3) | instskip(NEXT) | instid1(VALU_DEP_3)
	v_dual_mul_f32 v15, v1, v62 :: v_dual_fmac_f32 v14, v0, v73
	v_dual_fmac_f32 v16, v0, v57 :: v_dual_mul_f32 v17, v1, v46
	s_delay_alu instid0(VALU_DEP_3) | instskip(NEXT) | instid1(VALU_DEP_3)
	v_fmac_f32_e32 v13, v0, v75
	v_dual_fmac_f32 v15, v0, v61 :: v_dual_fmac_f32 v14, v2, v72
	s_delay_alu instid0(VALU_DEP_3) | instskip(NEXT) | instid1(VALU_DEP_2)
	v_dual_fmac_f32 v16, v2, v56 :: v_dual_fmac_f32 v17, v0, v45
	v_dual_fmac_f32 v15, v2, v60 :: v_dual_fmac_f32 v14, v3, v63
	s_delay_alu instid0(VALU_DEP_4) | instskip(NEXT) | instid1(VALU_DEP_3)
	v_fmac_f32_e32 v13, v2, v19
	v_dual_fmac_f32 v17, v2, v44 :: v_dual_fmac_f32 v16, v3, v47
	s_delay_alu instid0(VALU_DEP_3) | instskip(NEXT) | instid1(VALU_DEP_2)
	v_dual_fmac_f32 v15, v3, v59 :: v_dual_add_f32 v28, v28, v14
	v_dual_mul_f32 v14, v1, v182 :: v_dual_fmac_f32 v17, v3, v43
	s_delay_alu instid0(VALU_DEP_3) | instskip(SKIP_1) | instid1(VALU_DEP_3)
	v_dual_add_f32 v31, v31, v16 :: v_dual_mul_f32 v16, v1, v165
	v_fmac_f32_e32 v13, v3, v18
	v_dual_add_f32 v29, v29, v15 :: v_dual_fmac_f32 v14, v0, v181
	s_delay_alu instid0(VALU_DEP_4) | instskip(NEXT) | instid1(VALU_DEP_3)
	v_add_f32_e32 v32, v32, v17
	v_dual_fmac_f32 v16, v0, v164 :: v_dual_add_f32 v27, v27, v13
	s_delay_alu instid0(VALU_DEP_3) | instskip(NEXT) | instid1(VALU_DEP_2)
	v_dual_mul_f32 v13, v1, v42 :: v_dual_fmac_f32 v14, v2, v180
	v_dual_mul_f32 v15, v1, v178 :: v_dual_fmac_f32 v16, v2, v163
	s_delay_alu instid0(VALU_DEP_2) | instskip(NEXT) | instid1(VALU_DEP_2)
	v_dual_mul_f32 v17, v1, v161 :: v_dual_fmac_f32 v14, v3, v179
	v_dual_fmac_f32 v13, v0, v41 :: v_dual_fmac_f32 v16, v3, v162
	s_delay_alu instid0(VALU_DEP_2) | instskip(NEXT) | instid1(VALU_DEP_3)
	v_fmac_f32_e32 v17, v0, v160
	v_dual_fmac_f32 v15, v0, v177 :: v_dual_add_f32 v34, v34, v14
	v_mul_f32_e32 v14, v1, v145
	s_delay_alu instid0(VALU_DEP_4) | instskip(SKIP_2) | instid1(VALU_DEP_4)
	v_add_f32_e32 v36, v36, v16
	v_dual_mul_f32 v16, v1, v119 :: v_dual_fmac_f32 v13, v2, v40
	v_fmac_f32_e32 v17, v2, v151
	v_dual_fmac_f32 v15, v2, v167 :: v_dual_fmac_f32 v14, v0, v144
	s_delay_alu instid0(VALU_DEP_3) | instskip(NEXT) | instid1(VALU_DEP_2)
	v_dual_fmac_f32 v16, v0, v118 :: v_dual_fmac_f32 v13, v3, v183
	v_dual_fmac_f32 v15, v3, v166 :: v_dual_fmac_f32 v14, v2, v133
	s_delay_alu instid0(VALU_DEP_2) | instskip(NEXT) | instid1(VALU_DEP_3)
	v_fmac_f32_e32 v16, v2, v117
	v_add_f32_e32 v33, v33, v13
	s_delay_alu instid0(VALU_DEP_3) | instskip(NEXT) | instid1(VALU_DEP_3)
	v_dual_mul_f32 v13, v1, v149 :: v_dual_fmac_f32 v14, v3, v132
	v_fmac_f32_e32 v16, v3, v116
	s_delay_alu instid0(VALU_DEP_2) | instskip(NEXT) | instid1(VALU_DEP_3)
	v_fmac_f32_e32 v13, v0, v148
	v_dual_add_f32 v39, v39, v14 :: v_dual_mul_f32 v14, v1, v99
	s_delay_alu instid0(VALU_DEP_3) | instskip(NEXT) | instid1(VALU_DEP_3)
	v_add_f32_e32 v49, v49, v16
	v_fmac_f32_e32 v13, v2, v147
	v_mul_f32_e32 v16, v1, v71
	s_delay_alu instid0(VALU_DEP_4) | instskip(NEXT) | instid1(VALU_DEP_3)
	v_fmac_f32_e32 v14, v0, v98
	v_fmac_f32_e32 v13, v3, v146
	;; [unrolled: 1-line block ×3, first 2 shown]
	s_delay_alu instid0(VALU_DEP_4) | instskip(NEXT) | instid1(VALU_DEP_4)
	v_fmac_f32_e32 v16, v0, v70
	v_fmac_f32_e32 v14, v2, v97
	s_delay_alu instid0(VALU_DEP_4) | instskip(NEXT) | instid1(VALU_DEP_4)
	v_add_f32_e32 v38, v38, v13
	v_add_f32_e32 v37, v37, v17
	s_delay_alu instid0(VALU_DEP_4) | instskip(NEXT) | instid1(VALU_DEP_4)
	v_dual_mul_f32 v17, v1, v115 :: v_dual_fmac_f32 v16, v2, v69
	v_dual_mul_f32 v13, v1, v103 :: v_dual_fmac_f32 v14, v3, v96
	s_delay_alu instid0(VALU_DEP_2) | instskip(NEXT) | instid1(VALU_DEP_2)
	v_dual_fmac_f32 v17, v0, v114 :: v_dual_fmac_f32 v16, v3, v68
	v_fmac_f32_e32 v13, v0, v102
	s_delay_alu instid0(VALU_DEP_2) | instskip(NEXT) | instid1(VALU_DEP_3)
	v_dual_add_f32 v52, v52, v14 :: v_dual_fmac_f32 v17, v2, v113
	v_add_f32_e32 v53, v53, v16
	s_delay_alu instid0(VALU_DEP_3) | instskip(NEXT) | instid1(VALU_DEP_3)
	v_fmac_f32_e32 v13, v2, v101
	v_fmac_f32_e32 v17, v3, v112
	v_add_f32_e32 v35, v35, v15
	v_mul_f32_e32 v15, v1, v131
	s_delay_alu instid0(VALU_DEP_4) | instskip(NEXT) | instid1(VALU_DEP_2)
	v_fmac_f32_e32 v13, v3, v100
	v_fmac_f32_e32 v15, v0, v130
	s_delay_alu instid0(VALU_DEP_2) | instskip(NEXT) | instid1(VALU_DEP_2)
	v_add_f32_e32 v51, v51, v13
	v_fmac_f32_e32 v15, v2, v129
	s_delay_alu instid0(VALU_DEP_1) | instskip(NEXT) | instid1(VALU_DEP_1)
	v_fmac_f32_e32 v15, v3, v128
	v_add_f32_e32 v48, v48, v15
	v_mul_f32_e32 v15, v1, v87
	v_mul_f32_e32 v1, v1, v12
	s_delay_alu instid0(VALU_DEP_2) | instskip(NEXT) | instid1(VALU_DEP_2)
	v_fmac_f32_e32 v15, v0, v86
	v_fmac_f32_e32 v1, v0, v6
	s_delay_alu instid0(VALU_DEP_2) | instskip(NEXT) | instid1(VALU_DEP_2)
	v_fmac_f32_e32 v15, v2, v85
	v_fmac_f32_e32 v1, v2, v5
	s_delay_alu instid0(VALU_DEP_2) | instskip(NEXT) | instid1(VALU_DEP_1)
	v_fmac_f32_e32 v15, v3, v84
	v_dual_fmac_f32 v1, v3, v4 :: v_dual_add_f32 v54, v54, v15
	s_delay_alu instid0(VALU_DEP_1)
	v_add_f32_e32 v26, v26, v1
	v_add_f32_e32 v50, v50, v17
.LBB258_677:                            ;   in Loop: Header=BB258_678 Depth=1
	s_or_b32 exec_lo, exec_lo, s12
	scratch_load_b32 v0, off, s32 offset:344 ; 4-byte Folded Reload
	v_add_nc_u32_e32 v176, 4, v176
	v_add_co_u32 v10, s0, v10, 16
	s_delay_alu instid0(VALU_DEP_1)
	v_add_co_ci_u32_e64 v11, s0, 0, v11, s0
	v_add_nc_u32_e32 v23, 0x80, v23
	v_add_nc_u32_e32 v65, 0x200, v65
	s_waitcnt vmcnt(0)
	v_cmp_ge_i32_e32 vcc_lo, v176, v0
	s_or_b32 s5, vcc_lo, s5
	s_delay_alu instid0(SALU_CYCLE_1)
	s_and_not1_b32 exec_lo, exec_lo, s5
	s_cbranch_execz .LBB258_1359
.LBB258_678:                            ; =>This Inner Loop Header: Depth=1
	s_clause 0x2
	scratch_load_b32 v1, off, s32 offset:348
	scratch_load_b32 v5, off, s32 offset:340
	;; [unrolled: 1-line block ×3, first 2 shown]
	v_sub_nc_u32_e32 v0, 0, v23
	s_delay_alu instid0(VALU_DEP_1) | instskip(SKIP_1) | instid1(VALU_DEP_1)
	v_max_i32_e32 v0, v23, v0
	s_waitcnt vmcnt(2)
	v_mul_hi_u32 v1, v0, v1
	s_waitcnt vmcnt(0)
	s_delay_alu instid0(VALU_DEP_1) | instskip(NEXT) | instid1(VALU_DEP_1)
	v_mul_lo_u32 v2, v1, v4
	v_sub_nc_u32_e32 v0, v0, v2
	v_add_nc_u32_e32 v2, 1, v1
	s_delay_alu instid0(VALU_DEP_2) | instskip(SKIP_1) | instid1(VALU_DEP_2)
	v_sub_nc_u32_e32 v3, v0, v4
	v_cmp_ge_u32_e32 vcc_lo, v0, v4
	v_dual_cndmask_b32 v1, v1, v2 :: v_dual_cndmask_b32 v0, v0, v3
	v_ashrrev_i32_e32 v2, 31, v23
	s_delay_alu instid0(VALU_DEP_2) | instskip(NEXT) | instid1(VALU_DEP_3)
	v_add_nc_u32_e32 v3, 1, v1
	v_cmp_ge_u32_e32 vcc_lo, v0, v4
	s_delay_alu instid0(VALU_DEP_3) | instskip(NEXT) | instid1(VALU_DEP_3)
	v_xor_b32_e32 v2, v2, v5
	v_cndmask_b32_e32 v0, v1, v3, vcc_lo
	s_delay_alu instid0(VALU_DEP_1) | instskip(NEXT) | instid1(VALU_DEP_1)
	v_xor_b32_e32 v0, v0, v2
	v_sub_nc_u32_e32 v0, v0, v2
	scratch_load_b64 v[1:2], off, s32 offset:332 ; 8-byte Folded Reload
	s_waitcnt vmcnt(0)
	v_add_nc_u32_e32 v1, v0, v1
	s_delay_alu instid0(VALU_DEP_1) | instskip(NEXT) | instid1(VALU_DEP_1)
	v_sub_nc_u32_e32 v2, 0, v1
	v_max_i32_e32 v2, v1, v2
	s_delay_alu instid0(VALU_DEP_1) | instskip(NEXT) | instid1(VALU_DEP_1)
	v_mul_hi_u32 v3, v2, v66
	v_mul_lo_u32 v3, v3, v30
	s_delay_alu instid0(VALU_DEP_1) | instskip(NEXT) | instid1(VALU_DEP_1)
	v_sub_nc_u32_e32 v2, v2, v3
	v_sub_nc_u32_e32 v3, v2, v30
	v_cmp_ge_u32_e32 vcc_lo, v2, v30
	s_delay_alu instid0(VALU_DEP_2) | instskip(SKIP_1) | instid1(VALU_DEP_2)
	v_cndmask_b32_e32 v2, v2, v3, vcc_lo
	v_ashrrev_i32_e32 v1, 31, v1
	v_sub_nc_u32_e32 v3, v2, v30
	v_cmp_ge_u32_e32 vcc_lo, v2, v30
	s_delay_alu instid0(VALU_DEP_2) | instskip(NEXT) | instid1(VALU_DEP_1)
	v_cndmask_b32_e32 v2, v2, v3, vcc_lo
	v_xor_b32_e32 v2, v2, v1
	s_delay_alu instid0(VALU_DEP_1) | instskip(NEXT) | instid1(VALU_DEP_1)
	v_sub_nc_u32_e32 v1, v2, v1
	v_cmp_eq_u32_e32 vcc_lo, 0, v1
	scratch_load_b32 v1, off, s32 offset:352 ; 4-byte Folded Reload
	s_waitcnt vmcnt(0)
	v_cmp_gt_i32_e64 s0, v0, v1
	s_delay_alu instid0(VALU_DEP_1) | instskip(NEXT) | instid1(SALU_CYCLE_1)
	s_or_b32 s0, vcc_lo, s0
	s_and_saveexec_b32 s12, s0
	s_cbranch_execz .LBB258_677
; %bb.679:                              ;   in Loop: Header=BB258_678 Depth=1
	flat_load_b32 v0, v[10:11]
	scratch_load_b32 v1, off, s32 offset:356 ; 4-byte Folded Reload
	v_mov_b32_e32 v14, 0
	s_mov_b32 s0, exec_lo
	s_waitcnt vmcnt(0) lgkmcnt(0)
	v_mad_i64_i32 v[12:13], null, v0, v1, v[8:9]
	flat_load_b32 v24, v[12:13]
	scratch_load_b64 v[0:1], off, s32 offset:364 ; 8-byte Folded Reload
	s_waitcnt vmcnt(1) lgkmcnt(0)
	v_dual_mov_b32 v15, 0 :: v_dual_and_b32 v6, 0xff, v24
	s_waitcnt vmcnt(0)
	flat_load_b32 v67, v[0:1]
	ds_load_b128 v[0:3], v65
	v_dual_mov_b32 v4, v14 :: v_dual_mov_b32 v5, v15
	v_cmpx_ne_u16_e32 0, v6
	s_cbranch_execz .LBB258_687
; %bb.680:                              ;   in Loop: Header=BB258_678 Depth=1
	v_bfrev_b32_e32 v4, 1
	v_mov_b32_e32 v5, 0
	s_mov_b32 s10, exec_lo
	v_cmpx_ne_u16_e32 0x80, v6
	s_cbranch_execz .LBB258_686
; %bb.681:                              ;   in Loop: Header=BB258_678 Depth=1
	v_mov_b32_e32 v4, 0x7f800001
	v_dual_mov_b32 v5, 0 :: v_dual_and_b32 v16, 0x7f, v24
	s_mov_b32 s13, exec_lo
	s_delay_alu instid0(VALU_DEP_1)
	v_cmpx_ne_u32_e32 0x7f, v16
	s_cbranch_execz .LBB258_685
; %bb.682:                              ;   in Loop: Header=BB258_678 Depth=1
	v_and_b32_e32 v6, 7, v24
	v_lshrrev_b32_e32 v4, 3, v16
	s_mov_b32 s15, exec_lo
	v_cmpx_gt_u32_e32 8, v16
; %bb.683:                              ;   in Loop: Header=BB258_678 Depth=1
	s_delay_alu instid0(VALU_DEP_3) | instskip(NEXT) | instid1(VALU_DEP_1)
	v_clz_i32_u32_e32 v4, v6
	v_min_u32_e32 v4, 32, v4
	s_delay_alu instid0(VALU_DEP_1) | instskip(SKIP_1) | instid1(VALU_DEP_2)
	v_subrev_nc_u32_e32 v5, 28, v4
	v_sub_nc_u32_e32 v4, 29, v4
	v_lshlrev_b64 v[5:6], v5, v[6:7]
	s_delay_alu instid0(VALU_DEP_1)
	v_and_b32_e32 v6, 7, v5
; %bb.684:                              ;   in Loop: Header=BB258_678 Depth=1
	s_or_b32 exec_lo, exec_lo, s15
	v_lshlrev_b32_e32 v5, 24, v24
	s_delay_alu instid0(VALU_DEP_2) | instskip(SKIP_1) | instid1(VALU_DEP_3)
	v_lshlrev_b32_e32 v6, 20, v6
	v_lshl_add_u32 v4, v4, 23, 0x3c000000
	v_and_b32_e32 v5, 0x80000000, v5
	s_delay_alu instid0(VALU_DEP_1) | instskip(NEXT) | instid1(VALU_DEP_1)
	v_or3_b32 v6, v6, v5, v4
	v_dual_mov_b32 v4, v6 :: v_dual_mov_b32 v5, v7
.LBB258_685:                            ;   in Loop: Header=BB258_678 Depth=1
	s_or_b32 exec_lo, exec_lo, s13
.LBB258_686:                            ;   in Loop: Header=BB258_678 Depth=1
	s_delay_alu instid0(SALU_CYCLE_1)
	s_or_b32 exec_lo, exec_lo, s10
.LBB258_687:                            ;   in Loop: Header=BB258_678 Depth=1
	s_delay_alu instid0(SALU_CYCLE_1) | instskip(SKIP_2) | instid1(VALU_DEP_1)
	s_or_b32 exec_lo, exec_lo, s0
	v_lshrrev_b16 v6, 8, v24
	s_mov_b32 s0, exec_lo
	v_cmpx_ne_u16_e32 0, v6
	s_cbranch_execz .LBB258_695
; %bb.688:                              ;   in Loop: Header=BB258_678 Depth=1
	v_dual_mov_b32 v15, s9 :: v_dual_mov_b32 v14, s8
	s_mov_b32 s13, exec_lo
	v_cmpx_ne_u16_e32 0x80, v6
	s_cbranch_execz .LBB258_694
; %bb.689:                              ;   in Loop: Header=BB258_678 Depth=1
	s_mov_b32 s10, s8
	v_dual_mov_b32 v15, s11 :: v_dual_and_b32 v6, 0xffff, v6
	v_mov_b32_e32 v14, s10
	s_mov_b32 s10, exec_lo
	s_delay_alu instid0(VALU_DEP_2) | instskip(NEXT) | instid1(VALU_DEP_1)
	v_and_b32_e32 v16, 0x7f, v6
	v_cmpx_ne_u32_e32 0x7f, v16
	s_cbranch_execz .LBB258_693
; %bb.690:                              ;   in Loop: Header=BB258_678 Depth=1
	v_and_b32_e32 v6, 7, v6
	v_lshrrev_b32_e32 v14, 3, v16
	s_mov_b32 s15, exec_lo
	v_cmpx_gt_u32_e32 8, v16
; %bb.691:                              ;   in Loop: Header=BB258_678 Depth=1
	s_delay_alu instid0(VALU_DEP_3) | instskip(NEXT) | instid1(VALU_DEP_1)
	v_clz_i32_u32_e32 v14, v6
	v_min_u32_e32 v14, 32, v14
	s_delay_alu instid0(VALU_DEP_1) | instskip(SKIP_1) | instid1(VALU_DEP_2)
	v_subrev_nc_u32_e32 v15, 28, v14
	v_sub_nc_u32_e32 v14, 29, v14
	v_lshlrev_b64 v[15:16], v15, v[6:7]
	s_delay_alu instid0(VALU_DEP_1)
	v_and_b32_e32 v6, 7, v15
; %bb.692:                              ;   in Loop: Header=BB258_678 Depth=1
	s_or_b32 exec_lo, exec_lo, s15
	v_lshlrev_b32_e32 v15, 16, v24
	s_delay_alu instid0(VALU_DEP_2) | instskip(SKIP_1) | instid1(VALU_DEP_3)
	v_lshlrev_b32_e32 v6, 20, v6
	v_lshl_add_u32 v14, v14, 23, 0x3c000000
	v_and_b32_e32 v15, 0x80000000, v15
	s_delay_alu instid0(VALU_DEP_1)
	v_or3_b32 v15, v6, v15, v14
	v_mov_b32_e32 v14, v7
.LBB258_693:                            ;   in Loop: Header=BB258_678 Depth=1
	s_or_b32 exec_lo, exec_lo, s10
.LBB258_694:                            ;   in Loop: Header=BB258_678 Depth=1
	s_delay_alu instid0(SALU_CYCLE_1)
	s_or_b32 exec_lo, exec_lo, s13
.LBB258_695:                            ;   in Loop: Header=BB258_678 Depth=1
	s_delay_alu instid0(SALU_CYCLE_1) | instskip(SKIP_4) | instid1(VALU_DEP_2)
	s_or_b32 exec_lo, exec_lo, s0
	v_mov_b32_e32 v18, 0
	v_lshrrev_b32_e32 v68, 16, v24
	v_mov_b32_e32 v19, 0
	s_mov_b32 s0, exec_lo
	v_and_b32_e32 v6, 0xff, v68
	s_delay_alu instid0(VALU_DEP_2) | instskip(NEXT) | instid1(VALU_DEP_2)
	v_dual_mov_b32 v16, v18 :: v_dual_mov_b32 v17, v19
	v_cmpx_ne_u16_e32 0, v6
	s_cbranch_execz .LBB258_703
; %bb.696:                              ;   in Loop: Header=BB258_678 Depth=1
	v_bfrev_b32_e32 v16, 1
	v_mov_b32_e32 v17, 0
	s_mov_b32 s10, exec_lo
	v_cmpx_ne_u16_e32 0x80, v6
	s_cbranch_execz .LBB258_702
; %bb.697:                              ;   in Loop: Header=BB258_678 Depth=1
	v_mov_b32_e32 v16, 0x7f800001
	v_bfe_u32 v69, v24, 16, 7
	v_mov_b32_e32 v17, 0
	s_mov_b32 s13, exec_lo
	s_delay_alu instid0(VALU_DEP_2)
	v_cmpx_ne_u32_e32 0x7f, v69
	s_cbranch_execz .LBB258_701
; %bb.698:                              ;   in Loop: Header=BB258_678 Depth=1
	v_and_b32_e32 v6, 7, v68
	v_lshrrev_b32_e32 v16, 3, v69
	s_mov_b32 s15, exec_lo
	v_cmpx_gt_u32_e32 8, v69
; %bb.699:                              ;   in Loop: Header=BB258_678 Depth=1
	s_delay_alu instid0(VALU_DEP_3) | instskip(NEXT) | instid1(VALU_DEP_1)
	v_clz_i32_u32_e32 v16, v6
	v_min_u32_e32 v16, 32, v16
	s_delay_alu instid0(VALU_DEP_1) | instskip(SKIP_1) | instid1(VALU_DEP_2)
	v_subrev_nc_u32_e32 v17, 28, v16
	v_sub_nc_u32_e32 v16, 29, v16
	v_lshlrev_b64 v[69:70], v17, v[6:7]
	s_delay_alu instid0(VALU_DEP_1)
	v_and_b32_e32 v6, 7, v69
; %bb.700:                              ;   in Loop: Header=BB258_678 Depth=1
	s_or_b32 exec_lo, exec_lo, s15
	v_lshlrev_b32_e32 v17, 24, v68
	s_delay_alu instid0(VALU_DEP_2) | instskip(SKIP_1) | instid1(VALU_DEP_3)
	v_lshlrev_b32_e32 v6, 20, v6
	v_lshl_add_u32 v16, v16, 23, 0x3c000000
	v_and_b32_e32 v17, 0x80000000, v17
	s_delay_alu instid0(VALU_DEP_1) | instskip(NEXT) | instid1(VALU_DEP_1)
	v_or3_b32 v6, v6, v17, v16
	v_dual_mov_b32 v17, v7 :: v_dual_mov_b32 v16, v6
.LBB258_701:                            ;   in Loop: Header=BB258_678 Depth=1
	s_or_b32 exec_lo, exec_lo, s13
.LBB258_702:                            ;   in Loop: Header=BB258_678 Depth=1
	s_delay_alu instid0(SALU_CYCLE_1)
	s_or_b32 exec_lo, exec_lo, s10
.LBB258_703:                            ;   in Loop: Header=BB258_678 Depth=1
	s_delay_alu instid0(SALU_CYCLE_1) | instskip(NEXT) | instid1(SALU_CYCLE_1)
	s_or_b32 exec_lo, exec_lo, s0
	s_mov_b32 s0, exec_lo
	v_cmpx_lt_u32_e32 0xffffff, v24
	s_cbranch_execz .LBB258_711
; %bb.704:                              ;   in Loop: Header=BB258_678 Depth=1
	v_lshrrev_b32_e32 v68, 24, v24
	v_dual_mov_b32 v19, s9 :: v_dual_mov_b32 v18, s8
	s_mov_b32 s13, exec_lo
	s_delay_alu instid0(VALU_DEP_2)
	v_cmpx_ne_u32_e32 0x80, v68
	s_cbranch_execz .LBB258_710
; %bb.705:                              ;   in Loop: Header=BB258_678 Depth=1
	s_mov_b32 s10, s8
	v_bfe_u32 v24, v24, 24, 7
	v_dual_mov_b32 v19, s11 :: v_dual_mov_b32 v18, s10
	s_mov_b32 s10, exec_lo
	s_delay_alu instid0(VALU_DEP_2)
	v_cmpx_ne_u32_e32 0x7f, v24
	s_cbranch_execz .LBB258_709
; %bb.706:                              ;   in Loop: Header=BB258_678 Depth=1
	v_and_b32_e32 v6, 7, v68
	v_lshrrev_b32_e32 v18, 3, v24
	s_mov_b32 s15, exec_lo
	v_cmpx_gt_u32_e32 8, v24
; %bb.707:                              ;   in Loop: Header=BB258_678 Depth=1
	s_delay_alu instid0(VALU_DEP_3) | instskip(NEXT) | instid1(VALU_DEP_1)
	v_clz_i32_u32_e32 v18, v6
	v_min_u32_e32 v18, 32, v18
	s_delay_alu instid0(VALU_DEP_1) | instskip(SKIP_1) | instid1(VALU_DEP_2)
	v_subrev_nc_u32_e32 v19, 28, v18
	v_sub_nc_u32_e32 v18, 29, v18
	v_lshlrev_b64 v[69:70], v19, v[6:7]
	s_delay_alu instid0(VALU_DEP_1)
	v_and_b32_e32 v6, 7, v69
; %bb.708:                              ;   in Loop: Header=BB258_678 Depth=1
	s_or_b32 exec_lo, exec_lo, s15
	v_lshlrev_b32_e32 v19, 24, v68
	s_delay_alu instid0(VALU_DEP_2) | instskip(SKIP_1) | instid1(VALU_DEP_3)
	v_lshlrev_b32_e32 v6, 20, v6
	v_lshl_add_u32 v18, v18, 23, 0x3c000000
	v_and_b32_e32 v19, 0x80000000, v19
	s_delay_alu instid0(VALU_DEP_1)
	v_or3_b32 v19, v6, v19, v18
	v_mov_b32_e32 v18, v7
.LBB258_709:                            ;   in Loop: Header=BB258_678 Depth=1
	s_or_b32 exec_lo, exec_lo, s10
.LBB258_710:                            ;   in Loop: Header=BB258_678 Depth=1
	s_delay_alu instid0(SALU_CYCLE_1)
	s_or_b32 exec_lo, exec_lo, s13
.LBB258_711:                            ;   in Loop: Header=BB258_678 Depth=1
	s_delay_alu instid0(SALU_CYCLE_1)
	s_or_b32 exec_lo, exec_lo, s0
	v_or_b32_e32 v5, v15, v5
	v_add_nc_u32_e32 v80, v64, v23
	v_or_b32_e32 v4, v14, v4
	v_or_b32_e32 v6, v19, v17
	;; [unrolled: 1-line block ×3, first 2 shown]
	s_waitcnt vmcnt(0) lgkmcnt(1)
	v_mul_f32_e32 v71, v67, v5
	v_cmp_eq_u32_e32 vcc_lo, v55, v176
	v_mul_f32_e32 v70, v67, v4
	v_dual_mul_f32 v68, v67, v6 :: v_dual_add_nc_u32 v83, 1, v80
	v_dual_mul_f32 v69, v67, v14 :: v_dual_add_nc_u32 v82, 2, v80
	v_add_nc_u32_e32 v81, 3, v80
	s_and_saveexec_b32 s10, vcc_lo
; %bb.712:                              ;   in Loop: Header=BB258_678 Depth=1
	v_cmp_lt_i32_e64 s0, v80, v135
	s_delay_alu instid0(VALU_DEP_1) | instskip(SKIP_1) | instid1(VALU_DEP_1)
	v_cndmask_b32_e64 v70, 0, v70, s0
	v_cmp_lt_i32_e64 s0, v83, v135
	v_cndmask_b32_e64 v71, 0, v71, s0
	v_cmp_lt_i32_e64 s0, v82, v135
	s_delay_alu instid0(VALU_DEP_1) | instskip(SKIP_1) | instid1(VALU_DEP_1)
	v_cndmask_b32_e64 v69, 0, v69, s0
	v_cmp_lt_i32_e64 s0, v81, v135
	v_cndmask_b32_e64 v68, 0, v68, s0
; %bb.713:                              ;   in Loop: Header=BB258_678 Depth=1
	s_or_b32 exec_lo, exec_lo, s10
	flat_load_b32 v24, v[12:13] offset:128
	v_mov_b32_e32 v14, 0
	v_mov_b32_e32 v15, 0
	s_mov_b32 s10, exec_lo
	s_waitcnt vmcnt(0) lgkmcnt(0)
	v_and_b32_e32 v6, 0xff, v24
	s_delay_alu instid0(VALU_DEP_2) | instskip(NEXT) | instid1(VALU_DEP_2)
	v_dual_mov_b32 v4, v14 :: v_dual_mov_b32 v5, v15
	v_cmpx_ne_u16_e32 0, v6
	s_cbranch_execz .LBB258_721
; %bb.714:                              ;   in Loop: Header=BB258_678 Depth=1
	v_bfrev_b32_e32 v4, 1
	v_mov_b32_e32 v5, 0
	s_mov_b32 s13, exec_lo
	v_cmpx_ne_u16_e32 0x80, v6
	s_cbranch_execz .LBB258_720
; %bb.715:                              ;   in Loop: Header=BB258_678 Depth=1
	v_mov_b32_e32 v4, 0x7f800001
	v_dual_mov_b32 v5, 0 :: v_dual_and_b32 v16, 0x7f, v24
	s_mov_b32 s15, exec_lo
	s_delay_alu instid0(VALU_DEP_1)
	v_cmpx_ne_u32_e32 0x7f, v16
	s_cbranch_execz .LBB258_719
; %bb.716:                              ;   in Loop: Header=BB258_678 Depth=1
	v_and_b32_e32 v6, 7, v24
	v_lshrrev_b32_e32 v4, 3, v16
	s_mov_b32 s16, exec_lo
	v_cmpx_gt_u32_e32 8, v16
; %bb.717:                              ;   in Loop: Header=BB258_678 Depth=1
	s_delay_alu instid0(VALU_DEP_3) | instskip(NEXT) | instid1(VALU_DEP_1)
	v_clz_i32_u32_e32 v4, v6
	v_min_u32_e32 v4, 32, v4
	s_delay_alu instid0(VALU_DEP_1) | instskip(SKIP_1) | instid1(VALU_DEP_2)
	v_subrev_nc_u32_e32 v5, 28, v4
	v_sub_nc_u32_e32 v4, 29, v4
	v_lshlrev_b64 v[5:6], v5, v[6:7]
	s_delay_alu instid0(VALU_DEP_1)
	v_and_b32_e32 v6, 7, v5
; %bb.718:                              ;   in Loop: Header=BB258_678 Depth=1
	s_or_b32 exec_lo, exec_lo, s16
	v_lshlrev_b32_e32 v5, 24, v24
	s_delay_alu instid0(VALU_DEP_2) | instskip(SKIP_1) | instid1(VALU_DEP_3)
	v_lshlrev_b32_e32 v6, 20, v6
	v_lshl_add_u32 v4, v4, 23, 0x3c000000
	v_and_b32_e32 v5, 0x80000000, v5
	s_delay_alu instid0(VALU_DEP_1) | instskip(NEXT) | instid1(VALU_DEP_1)
	v_or3_b32 v6, v6, v5, v4
	v_dual_mov_b32 v4, v6 :: v_dual_mov_b32 v5, v7
.LBB258_719:                            ;   in Loop: Header=BB258_678 Depth=1
	s_or_b32 exec_lo, exec_lo, s15
.LBB258_720:                            ;   in Loop: Header=BB258_678 Depth=1
	s_delay_alu instid0(SALU_CYCLE_1)
	s_or_b32 exec_lo, exec_lo, s13
.LBB258_721:                            ;   in Loop: Header=BB258_678 Depth=1
	s_delay_alu instid0(SALU_CYCLE_1) | instskip(SKIP_2) | instid1(VALU_DEP_1)
	s_or_b32 exec_lo, exec_lo, s10
	v_lshrrev_b16 v6, 8, v24
	s_mov_b32 s13, exec_lo
	v_cmpx_ne_u16_e32 0, v6
	s_cbranch_execz .LBB258_729
; %bb.722:                              ;   in Loop: Header=BB258_678 Depth=1
	v_dual_mov_b32 v15, s9 :: v_dual_mov_b32 v14, s8
	s_mov_b32 s15, exec_lo
	v_cmpx_ne_u16_e32 0x80, v6
	s_cbranch_execz .LBB258_728
; %bb.723:                              ;   in Loop: Header=BB258_678 Depth=1
	s_mov_b32 s10, s8
	v_dual_mov_b32 v15, s11 :: v_dual_and_b32 v6, 0xffff, v6
	v_mov_b32_e32 v14, s10
	s_mov_b32 s10, exec_lo
	s_delay_alu instid0(VALU_DEP_2) | instskip(NEXT) | instid1(VALU_DEP_1)
	v_and_b32_e32 v16, 0x7f, v6
	v_cmpx_ne_u32_e32 0x7f, v16
	s_cbranch_execz .LBB258_727
; %bb.724:                              ;   in Loop: Header=BB258_678 Depth=1
	v_and_b32_e32 v6, 7, v6
	v_lshrrev_b32_e32 v14, 3, v16
	s_mov_b32 s16, exec_lo
	v_cmpx_gt_u32_e32 8, v16
; %bb.725:                              ;   in Loop: Header=BB258_678 Depth=1
	s_delay_alu instid0(VALU_DEP_3) | instskip(NEXT) | instid1(VALU_DEP_1)
	v_clz_i32_u32_e32 v14, v6
	v_min_u32_e32 v14, 32, v14
	s_delay_alu instid0(VALU_DEP_1) | instskip(SKIP_1) | instid1(VALU_DEP_2)
	v_subrev_nc_u32_e32 v15, 28, v14
	v_sub_nc_u32_e32 v14, 29, v14
	v_lshlrev_b64 v[15:16], v15, v[6:7]
	s_delay_alu instid0(VALU_DEP_1)
	v_and_b32_e32 v6, 7, v15
; %bb.726:                              ;   in Loop: Header=BB258_678 Depth=1
	s_or_b32 exec_lo, exec_lo, s16
	v_lshlrev_b32_e32 v15, 16, v24
	s_delay_alu instid0(VALU_DEP_2) | instskip(SKIP_1) | instid1(VALU_DEP_3)
	v_lshlrev_b32_e32 v6, 20, v6
	v_lshl_add_u32 v14, v14, 23, 0x3c000000
	v_and_b32_e32 v15, 0x80000000, v15
	s_delay_alu instid0(VALU_DEP_1)
	v_or3_b32 v15, v6, v15, v14
	v_mov_b32_e32 v14, v7
.LBB258_727:                            ;   in Loop: Header=BB258_678 Depth=1
	s_or_b32 exec_lo, exec_lo, s10
.LBB258_728:                            ;   in Loop: Header=BB258_678 Depth=1
	s_delay_alu instid0(SALU_CYCLE_1)
	s_or_b32 exec_lo, exec_lo, s15
.LBB258_729:                            ;   in Loop: Header=BB258_678 Depth=1
	s_delay_alu instid0(SALU_CYCLE_1) | instskip(SKIP_4) | instid1(VALU_DEP_2)
	s_or_b32 exec_lo, exec_lo, s13
	v_mov_b32_e32 v18, 0
	v_lshrrev_b32_e32 v84, 16, v24
	v_mov_b32_e32 v19, 0
	s_mov_b32 s10, exec_lo
	v_and_b32_e32 v6, 0xff, v84
	s_delay_alu instid0(VALU_DEP_2) | instskip(NEXT) | instid1(VALU_DEP_2)
	v_dual_mov_b32 v16, v18 :: v_dual_mov_b32 v17, v19
	v_cmpx_ne_u16_e32 0, v6
	s_cbranch_execz .LBB258_737
; %bb.730:                              ;   in Loop: Header=BB258_678 Depth=1
	v_bfrev_b32_e32 v16, 1
	v_mov_b32_e32 v17, 0
	s_mov_b32 s13, exec_lo
	v_cmpx_ne_u16_e32 0x80, v6
	s_cbranch_execz .LBB258_736
; %bb.731:                              ;   in Loop: Header=BB258_678 Depth=1
	v_mov_b32_e32 v16, 0x7f800001
	v_bfe_u32 v85, v24, 16, 7
	v_mov_b32_e32 v17, 0
	s_mov_b32 s15, exec_lo
	s_delay_alu instid0(VALU_DEP_2)
	v_cmpx_ne_u32_e32 0x7f, v85
	s_cbranch_execz .LBB258_735
; %bb.732:                              ;   in Loop: Header=BB258_678 Depth=1
	v_and_b32_e32 v6, 7, v84
	v_lshrrev_b32_e32 v16, 3, v85
	s_mov_b32 s16, exec_lo
	v_cmpx_gt_u32_e32 8, v85
; %bb.733:                              ;   in Loop: Header=BB258_678 Depth=1
	s_delay_alu instid0(VALU_DEP_3) | instskip(NEXT) | instid1(VALU_DEP_1)
	v_clz_i32_u32_e32 v16, v6
	v_min_u32_e32 v16, 32, v16
	s_delay_alu instid0(VALU_DEP_1) | instskip(SKIP_1) | instid1(VALU_DEP_2)
	v_subrev_nc_u32_e32 v17, 28, v16
	v_sub_nc_u32_e32 v16, 29, v16
	v_lshlrev_b64 v[85:86], v17, v[6:7]
	s_delay_alu instid0(VALU_DEP_1)
	v_and_b32_e32 v6, 7, v85
; %bb.734:                              ;   in Loop: Header=BB258_678 Depth=1
	s_or_b32 exec_lo, exec_lo, s16
	v_lshlrev_b32_e32 v17, 24, v84
	s_delay_alu instid0(VALU_DEP_2) | instskip(SKIP_1) | instid1(VALU_DEP_3)
	v_lshlrev_b32_e32 v6, 20, v6
	v_lshl_add_u32 v16, v16, 23, 0x3c000000
	v_and_b32_e32 v17, 0x80000000, v17
	s_delay_alu instid0(VALU_DEP_1) | instskip(NEXT) | instid1(VALU_DEP_1)
	v_or3_b32 v6, v6, v17, v16
	v_dual_mov_b32 v17, v7 :: v_dual_mov_b32 v16, v6
.LBB258_735:                            ;   in Loop: Header=BB258_678 Depth=1
	s_or_b32 exec_lo, exec_lo, s15
.LBB258_736:                            ;   in Loop: Header=BB258_678 Depth=1
	s_delay_alu instid0(SALU_CYCLE_1)
	s_or_b32 exec_lo, exec_lo, s13
.LBB258_737:                            ;   in Loop: Header=BB258_678 Depth=1
	s_delay_alu instid0(SALU_CYCLE_1) | instskip(NEXT) | instid1(SALU_CYCLE_1)
	s_or_b32 exec_lo, exec_lo, s10
	s_mov_b32 s13, exec_lo
	v_cmpx_lt_u32_e32 0xffffff, v24
	s_cbranch_execz .LBB258_745
; %bb.738:                              ;   in Loop: Header=BB258_678 Depth=1
	v_lshrrev_b32_e32 v84, 24, v24
	v_dual_mov_b32 v19, s9 :: v_dual_mov_b32 v18, s8
	s_mov_b32 s15, exec_lo
	s_delay_alu instid0(VALU_DEP_2)
	v_cmpx_ne_u32_e32 0x80, v84
	s_cbranch_execz .LBB258_744
; %bb.739:                              ;   in Loop: Header=BB258_678 Depth=1
	s_mov_b32 s10, s8
	v_bfe_u32 v24, v24, 24, 7
	v_dual_mov_b32 v19, s11 :: v_dual_mov_b32 v18, s10
	s_mov_b32 s10, exec_lo
	s_delay_alu instid0(VALU_DEP_2)
	v_cmpx_ne_u32_e32 0x7f, v24
	s_cbranch_execz .LBB258_743
; %bb.740:                              ;   in Loop: Header=BB258_678 Depth=1
	v_and_b32_e32 v6, 7, v84
	v_lshrrev_b32_e32 v18, 3, v24
	s_mov_b32 s16, exec_lo
	v_cmpx_gt_u32_e32 8, v24
; %bb.741:                              ;   in Loop: Header=BB258_678 Depth=1
	s_delay_alu instid0(VALU_DEP_3) | instskip(NEXT) | instid1(VALU_DEP_1)
	v_clz_i32_u32_e32 v18, v6
	v_min_u32_e32 v18, 32, v18
	s_delay_alu instid0(VALU_DEP_1) | instskip(SKIP_1) | instid1(VALU_DEP_2)
	v_subrev_nc_u32_e32 v19, 28, v18
	v_sub_nc_u32_e32 v18, 29, v18
	v_lshlrev_b64 v[85:86], v19, v[6:7]
	s_delay_alu instid0(VALU_DEP_1)
	v_and_b32_e32 v6, 7, v85
; %bb.742:                              ;   in Loop: Header=BB258_678 Depth=1
	s_or_b32 exec_lo, exec_lo, s16
	v_lshlrev_b32_e32 v19, 24, v84
	s_delay_alu instid0(VALU_DEP_2) | instskip(SKIP_1) | instid1(VALU_DEP_3)
	v_lshlrev_b32_e32 v6, 20, v6
	v_lshl_add_u32 v18, v18, 23, 0x3c000000
	v_and_b32_e32 v19, 0x80000000, v19
	s_delay_alu instid0(VALU_DEP_1)
	v_or3_b32 v19, v6, v19, v18
	v_mov_b32_e32 v18, v7
.LBB258_743:                            ;   in Loop: Header=BB258_678 Depth=1
	s_or_b32 exec_lo, exec_lo, s10
.LBB258_744:                            ;   in Loop: Header=BB258_678 Depth=1
	s_delay_alu instid0(SALU_CYCLE_1)
	s_or_b32 exec_lo, exec_lo, s15
.LBB258_745:                            ;   in Loop: Header=BB258_678 Depth=1
	s_delay_alu instid0(SALU_CYCLE_1) | instskip(SKIP_4) | instid1(VALU_DEP_4)
	s_or_b32 exec_lo, exec_lo, s13
	v_or_b32_e32 v5, v15, v5
	v_or_b32_e32 v4, v14, v4
	;; [unrolled: 1-line block ×4, first 2 shown]
	v_mul_f32_e32 v87, v67, v5
	s_delay_alu instid0(VALU_DEP_4) | instskip(NEXT) | instid1(VALU_DEP_4)
	v_mul_f32_e32 v86, v67, v4
	v_mul_f32_e32 v84, v67, v6
	s_delay_alu instid0(VALU_DEP_4)
	v_mul_f32_e32 v85, v67, v14
	s_and_saveexec_b32 s10, vcc_lo
; %bb.746:                              ;   in Loop: Header=BB258_678 Depth=1
	v_cmp_lt_i32_e64 s0, v80, v135
	s_delay_alu instid0(VALU_DEP_1) | instskip(SKIP_1) | instid1(VALU_DEP_1)
	v_cndmask_b32_e64 v86, 0, v86, s0
	v_cmp_lt_i32_e64 s0, v83, v135
	v_cndmask_b32_e64 v87, 0, v87, s0
	v_cmp_lt_i32_e64 s0, v82, v135
	s_delay_alu instid0(VALU_DEP_1) | instskip(SKIP_1) | instid1(VALU_DEP_1)
	v_cndmask_b32_e64 v85, 0, v85, s0
	v_cmp_lt_i32_e64 s0, v81, v135
	v_cndmask_b32_e64 v84, 0, v84, s0
; %bb.747:                              ;   in Loop: Header=BB258_678 Depth=1
	s_or_b32 exec_lo, exec_lo, s10
	flat_load_b32 v24, v[12:13] offset:256
	v_mov_b32_e32 v14, 0
	v_mov_b32_e32 v15, 0
	s_mov_b32 s10, exec_lo
	s_waitcnt vmcnt(0) lgkmcnt(0)
	v_and_b32_e32 v6, 0xff, v24
	s_delay_alu instid0(VALU_DEP_2) | instskip(NEXT) | instid1(VALU_DEP_2)
	v_dual_mov_b32 v4, v14 :: v_dual_mov_b32 v5, v15
	v_cmpx_ne_u16_e32 0, v6
	s_cbranch_execz .LBB258_755
; %bb.748:                              ;   in Loop: Header=BB258_678 Depth=1
	v_bfrev_b32_e32 v4, 1
	v_mov_b32_e32 v5, 0
	s_mov_b32 s13, exec_lo
	v_cmpx_ne_u16_e32 0x80, v6
	s_cbranch_execz .LBB258_754
; %bb.749:                              ;   in Loop: Header=BB258_678 Depth=1
	v_mov_b32_e32 v4, 0x7f800001
	v_dual_mov_b32 v5, 0 :: v_dual_and_b32 v16, 0x7f, v24
	s_mov_b32 s15, exec_lo
	s_delay_alu instid0(VALU_DEP_1)
	v_cmpx_ne_u32_e32 0x7f, v16
	s_cbranch_execz .LBB258_753
; %bb.750:                              ;   in Loop: Header=BB258_678 Depth=1
	v_and_b32_e32 v6, 7, v24
	v_lshrrev_b32_e32 v4, 3, v16
	s_mov_b32 s16, exec_lo
	v_cmpx_gt_u32_e32 8, v16
; %bb.751:                              ;   in Loop: Header=BB258_678 Depth=1
	s_delay_alu instid0(VALU_DEP_3) | instskip(NEXT) | instid1(VALU_DEP_1)
	v_clz_i32_u32_e32 v4, v6
	v_min_u32_e32 v4, 32, v4
	s_delay_alu instid0(VALU_DEP_1) | instskip(SKIP_1) | instid1(VALU_DEP_2)
	v_subrev_nc_u32_e32 v5, 28, v4
	v_sub_nc_u32_e32 v4, 29, v4
	v_lshlrev_b64 v[5:6], v5, v[6:7]
	s_delay_alu instid0(VALU_DEP_1)
	v_and_b32_e32 v6, 7, v5
; %bb.752:                              ;   in Loop: Header=BB258_678 Depth=1
	s_or_b32 exec_lo, exec_lo, s16
	v_lshlrev_b32_e32 v5, 24, v24
	s_delay_alu instid0(VALU_DEP_2) | instskip(SKIP_1) | instid1(VALU_DEP_3)
	v_lshlrev_b32_e32 v6, 20, v6
	v_lshl_add_u32 v4, v4, 23, 0x3c000000
	v_and_b32_e32 v5, 0x80000000, v5
	s_delay_alu instid0(VALU_DEP_1) | instskip(NEXT) | instid1(VALU_DEP_1)
	v_or3_b32 v6, v6, v5, v4
	v_dual_mov_b32 v4, v6 :: v_dual_mov_b32 v5, v7
.LBB258_753:                            ;   in Loop: Header=BB258_678 Depth=1
	s_or_b32 exec_lo, exec_lo, s15
.LBB258_754:                            ;   in Loop: Header=BB258_678 Depth=1
	s_delay_alu instid0(SALU_CYCLE_1)
	s_or_b32 exec_lo, exec_lo, s13
.LBB258_755:                            ;   in Loop: Header=BB258_678 Depth=1
	s_delay_alu instid0(SALU_CYCLE_1) | instskip(SKIP_2) | instid1(VALU_DEP_1)
	s_or_b32 exec_lo, exec_lo, s10
	v_lshrrev_b16 v6, 8, v24
	s_mov_b32 s13, exec_lo
	v_cmpx_ne_u16_e32 0, v6
	s_cbranch_execz .LBB258_763
; %bb.756:                              ;   in Loop: Header=BB258_678 Depth=1
	v_dual_mov_b32 v15, s9 :: v_dual_mov_b32 v14, s8
	s_mov_b32 s15, exec_lo
	v_cmpx_ne_u16_e32 0x80, v6
	s_cbranch_execz .LBB258_762
; %bb.757:                              ;   in Loop: Header=BB258_678 Depth=1
	s_mov_b32 s10, s8
	v_dual_mov_b32 v15, s11 :: v_dual_and_b32 v6, 0xffff, v6
	v_mov_b32_e32 v14, s10
	s_mov_b32 s10, exec_lo
	s_delay_alu instid0(VALU_DEP_2) | instskip(NEXT) | instid1(VALU_DEP_1)
	v_and_b32_e32 v16, 0x7f, v6
	v_cmpx_ne_u32_e32 0x7f, v16
	s_cbranch_execz .LBB258_761
; %bb.758:                              ;   in Loop: Header=BB258_678 Depth=1
	v_and_b32_e32 v6, 7, v6
	v_lshrrev_b32_e32 v14, 3, v16
	s_mov_b32 s16, exec_lo
	v_cmpx_gt_u32_e32 8, v16
; %bb.759:                              ;   in Loop: Header=BB258_678 Depth=1
	s_delay_alu instid0(VALU_DEP_3) | instskip(NEXT) | instid1(VALU_DEP_1)
	v_clz_i32_u32_e32 v14, v6
	v_min_u32_e32 v14, 32, v14
	s_delay_alu instid0(VALU_DEP_1) | instskip(SKIP_1) | instid1(VALU_DEP_2)
	v_subrev_nc_u32_e32 v15, 28, v14
	v_sub_nc_u32_e32 v14, 29, v14
	v_lshlrev_b64 v[15:16], v15, v[6:7]
	s_delay_alu instid0(VALU_DEP_1)
	v_and_b32_e32 v6, 7, v15
; %bb.760:                              ;   in Loop: Header=BB258_678 Depth=1
	s_or_b32 exec_lo, exec_lo, s16
	v_lshlrev_b32_e32 v15, 16, v24
	s_delay_alu instid0(VALU_DEP_2) | instskip(SKIP_1) | instid1(VALU_DEP_3)
	v_lshlrev_b32_e32 v6, 20, v6
	v_lshl_add_u32 v14, v14, 23, 0x3c000000
	v_and_b32_e32 v15, 0x80000000, v15
	s_delay_alu instid0(VALU_DEP_1)
	v_or3_b32 v15, v6, v15, v14
	v_mov_b32_e32 v14, v7
.LBB258_761:                            ;   in Loop: Header=BB258_678 Depth=1
	s_or_b32 exec_lo, exec_lo, s10
.LBB258_762:                            ;   in Loop: Header=BB258_678 Depth=1
	s_delay_alu instid0(SALU_CYCLE_1)
	s_or_b32 exec_lo, exec_lo, s15
.LBB258_763:                            ;   in Loop: Header=BB258_678 Depth=1
	s_delay_alu instid0(SALU_CYCLE_1) | instskip(SKIP_4) | instid1(VALU_DEP_2)
	s_or_b32 exec_lo, exec_lo, s13
	v_mov_b32_e32 v18, 0
	v_lshrrev_b32_e32 v96, 16, v24
	v_mov_b32_e32 v19, 0
	s_mov_b32 s10, exec_lo
	v_and_b32_e32 v6, 0xff, v96
	s_delay_alu instid0(VALU_DEP_2) | instskip(NEXT) | instid1(VALU_DEP_2)
	v_dual_mov_b32 v16, v18 :: v_dual_mov_b32 v17, v19
	v_cmpx_ne_u16_e32 0, v6
	s_cbranch_execz .LBB258_771
; %bb.764:                              ;   in Loop: Header=BB258_678 Depth=1
	v_bfrev_b32_e32 v16, 1
	v_mov_b32_e32 v17, 0
	s_mov_b32 s13, exec_lo
	v_cmpx_ne_u16_e32 0x80, v6
	s_cbranch_execz .LBB258_770
; %bb.765:                              ;   in Loop: Header=BB258_678 Depth=1
	v_mov_b32_e32 v16, 0x7f800001
	v_bfe_u32 v97, v24, 16, 7
	v_mov_b32_e32 v17, 0
	s_mov_b32 s15, exec_lo
	s_delay_alu instid0(VALU_DEP_2)
	v_cmpx_ne_u32_e32 0x7f, v97
	s_cbranch_execz .LBB258_769
; %bb.766:                              ;   in Loop: Header=BB258_678 Depth=1
	v_and_b32_e32 v6, 7, v96
	v_lshrrev_b32_e32 v16, 3, v97
	s_mov_b32 s16, exec_lo
	v_cmpx_gt_u32_e32 8, v97
; %bb.767:                              ;   in Loop: Header=BB258_678 Depth=1
	s_delay_alu instid0(VALU_DEP_3) | instskip(NEXT) | instid1(VALU_DEP_1)
	v_clz_i32_u32_e32 v16, v6
	v_min_u32_e32 v16, 32, v16
	s_delay_alu instid0(VALU_DEP_1) | instskip(SKIP_1) | instid1(VALU_DEP_2)
	v_subrev_nc_u32_e32 v17, 28, v16
	v_sub_nc_u32_e32 v16, 29, v16
	v_lshlrev_b64 v[97:98], v17, v[6:7]
	s_delay_alu instid0(VALU_DEP_1)
	v_and_b32_e32 v6, 7, v97
; %bb.768:                              ;   in Loop: Header=BB258_678 Depth=1
	s_or_b32 exec_lo, exec_lo, s16
	v_lshlrev_b32_e32 v17, 24, v96
	s_delay_alu instid0(VALU_DEP_2) | instskip(SKIP_1) | instid1(VALU_DEP_3)
	v_lshlrev_b32_e32 v6, 20, v6
	v_lshl_add_u32 v16, v16, 23, 0x3c000000
	v_and_b32_e32 v17, 0x80000000, v17
	s_delay_alu instid0(VALU_DEP_1) | instskip(NEXT) | instid1(VALU_DEP_1)
	v_or3_b32 v6, v6, v17, v16
	v_dual_mov_b32 v17, v7 :: v_dual_mov_b32 v16, v6
.LBB258_769:                            ;   in Loop: Header=BB258_678 Depth=1
	s_or_b32 exec_lo, exec_lo, s15
.LBB258_770:                            ;   in Loop: Header=BB258_678 Depth=1
	s_delay_alu instid0(SALU_CYCLE_1)
	s_or_b32 exec_lo, exec_lo, s13
.LBB258_771:                            ;   in Loop: Header=BB258_678 Depth=1
	s_delay_alu instid0(SALU_CYCLE_1) | instskip(NEXT) | instid1(SALU_CYCLE_1)
	s_or_b32 exec_lo, exec_lo, s10
	s_mov_b32 s13, exec_lo
	v_cmpx_lt_u32_e32 0xffffff, v24
	s_cbranch_execz .LBB258_779
; %bb.772:                              ;   in Loop: Header=BB258_678 Depth=1
	v_lshrrev_b32_e32 v96, 24, v24
	v_dual_mov_b32 v19, s9 :: v_dual_mov_b32 v18, s8
	s_mov_b32 s15, exec_lo
	s_delay_alu instid0(VALU_DEP_2)
	v_cmpx_ne_u32_e32 0x80, v96
	s_cbranch_execz .LBB258_778
; %bb.773:                              ;   in Loop: Header=BB258_678 Depth=1
	s_mov_b32 s10, s8
	v_bfe_u32 v24, v24, 24, 7
	v_dual_mov_b32 v19, s11 :: v_dual_mov_b32 v18, s10
	s_mov_b32 s10, exec_lo
	s_delay_alu instid0(VALU_DEP_2)
	v_cmpx_ne_u32_e32 0x7f, v24
	s_cbranch_execz .LBB258_777
; %bb.774:                              ;   in Loop: Header=BB258_678 Depth=1
	v_and_b32_e32 v6, 7, v96
	v_lshrrev_b32_e32 v18, 3, v24
	s_mov_b32 s16, exec_lo
	v_cmpx_gt_u32_e32 8, v24
; %bb.775:                              ;   in Loop: Header=BB258_678 Depth=1
	s_delay_alu instid0(VALU_DEP_3) | instskip(NEXT) | instid1(VALU_DEP_1)
	v_clz_i32_u32_e32 v18, v6
	v_min_u32_e32 v18, 32, v18
	s_delay_alu instid0(VALU_DEP_1) | instskip(SKIP_1) | instid1(VALU_DEP_2)
	v_subrev_nc_u32_e32 v19, 28, v18
	v_sub_nc_u32_e32 v18, 29, v18
	v_lshlrev_b64 v[97:98], v19, v[6:7]
	s_delay_alu instid0(VALU_DEP_1)
	v_and_b32_e32 v6, 7, v97
; %bb.776:                              ;   in Loop: Header=BB258_678 Depth=1
	s_or_b32 exec_lo, exec_lo, s16
	v_lshlrev_b32_e32 v19, 24, v96
	s_delay_alu instid0(VALU_DEP_2) | instskip(SKIP_1) | instid1(VALU_DEP_3)
	v_lshlrev_b32_e32 v6, 20, v6
	v_lshl_add_u32 v18, v18, 23, 0x3c000000
	v_and_b32_e32 v19, 0x80000000, v19
	s_delay_alu instid0(VALU_DEP_1)
	v_or3_b32 v19, v6, v19, v18
	v_mov_b32_e32 v18, v7
.LBB258_777:                            ;   in Loop: Header=BB258_678 Depth=1
	s_or_b32 exec_lo, exec_lo, s10
.LBB258_778:                            ;   in Loop: Header=BB258_678 Depth=1
	s_delay_alu instid0(SALU_CYCLE_1)
	s_or_b32 exec_lo, exec_lo, s15
.LBB258_779:                            ;   in Loop: Header=BB258_678 Depth=1
	s_delay_alu instid0(SALU_CYCLE_1) | instskip(SKIP_4) | instid1(VALU_DEP_4)
	s_or_b32 exec_lo, exec_lo, s13
	v_or_b32_e32 v5, v15, v5
	v_or_b32_e32 v4, v14, v4
	;; [unrolled: 1-line block ×4, first 2 shown]
	v_mul_f32_e32 v99, v67, v5
	s_delay_alu instid0(VALU_DEP_4) | instskip(NEXT) | instid1(VALU_DEP_4)
	v_mul_f32_e32 v98, v67, v4
	v_mul_f32_e32 v96, v67, v6
	s_delay_alu instid0(VALU_DEP_4)
	v_mul_f32_e32 v97, v67, v14
	s_and_saveexec_b32 s10, vcc_lo
; %bb.780:                              ;   in Loop: Header=BB258_678 Depth=1
	v_cmp_lt_i32_e64 s0, v80, v135
	s_delay_alu instid0(VALU_DEP_1) | instskip(SKIP_1) | instid1(VALU_DEP_1)
	v_cndmask_b32_e64 v98, 0, v98, s0
	v_cmp_lt_i32_e64 s0, v83, v135
	v_cndmask_b32_e64 v99, 0, v99, s0
	v_cmp_lt_i32_e64 s0, v82, v135
	s_delay_alu instid0(VALU_DEP_1) | instskip(SKIP_1) | instid1(VALU_DEP_1)
	v_cndmask_b32_e64 v97, 0, v97, s0
	v_cmp_lt_i32_e64 s0, v81, v135
	v_cndmask_b32_e64 v96, 0, v96, s0
; %bb.781:                              ;   in Loop: Header=BB258_678 Depth=1
	s_or_b32 exec_lo, exec_lo, s10
	flat_load_b32 v24, v[12:13] offset:384
	v_mov_b32_e32 v14, 0
	v_mov_b32_e32 v15, 0
	s_mov_b32 s10, exec_lo
	s_waitcnt vmcnt(0) lgkmcnt(0)
	v_and_b32_e32 v6, 0xff, v24
	s_delay_alu instid0(VALU_DEP_2) | instskip(NEXT) | instid1(VALU_DEP_2)
	v_dual_mov_b32 v4, v14 :: v_dual_mov_b32 v5, v15
	v_cmpx_ne_u16_e32 0, v6
	s_cbranch_execz .LBB258_789
; %bb.782:                              ;   in Loop: Header=BB258_678 Depth=1
	v_bfrev_b32_e32 v4, 1
	v_mov_b32_e32 v5, 0
	s_mov_b32 s13, exec_lo
	v_cmpx_ne_u16_e32 0x80, v6
	s_cbranch_execz .LBB258_788
; %bb.783:                              ;   in Loop: Header=BB258_678 Depth=1
	v_mov_b32_e32 v4, 0x7f800001
	v_dual_mov_b32 v5, 0 :: v_dual_and_b32 v16, 0x7f, v24
	s_mov_b32 s15, exec_lo
	s_delay_alu instid0(VALU_DEP_1)
	v_cmpx_ne_u32_e32 0x7f, v16
	s_cbranch_execz .LBB258_787
; %bb.784:                              ;   in Loop: Header=BB258_678 Depth=1
	v_and_b32_e32 v6, 7, v24
	v_lshrrev_b32_e32 v4, 3, v16
	s_mov_b32 s16, exec_lo
	v_cmpx_gt_u32_e32 8, v16
; %bb.785:                              ;   in Loop: Header=BB258_678 Depth=1
	s_delay_alu instid0(VALU_DEP_3) | instskip(NEXT) | instid1(VALU_DEP_1)
	v_clz_i32_u32_e32 v4, v6
	v_min_u32_e32 v4, 32, v4
	s_delay_alu instid0(VALU_DEP_1) | instskip(SKIP_1) | instid1(VALU_DEP_2)
	v_subrev_nc_u32_e32 v5, 28, v4
	v_sub_nc_u32_e32 v4, 29, v4
	v_lshlrev_b64 v[5:6], v5, v[6:7]
	s_delay_alu instid0(VALU_DEP_1)
	v_and_b32_e32 v6, 7, v5
; %bb.786:                              ;   in Loop: Header=BB258_678 Depth=1
	s_or_b32 exec_lo, exec_lo, s16
	v_lshlrev_b32_e32 v5, 24, v24
	s_delay_alu instid0(VALU_DEP_2) | instskip(SKIP_1) | instid1(VALU_DEP_3)
	v_lshlrev_b32_e32 v6, 20, v6
	v_lshl_add_u32 v4, v4, 23, 0x3c000000
	v_and_b32_e32 v5, 0x80000000, v5
	s_delay_alu instid0(VALU_DEP_1) | instskip(NEXT) | instid1(VALU_DEP_1)
	v_or3_b32 v6, v6, v5, v4
	v_dual_mov_b32 v4, v6 :: v_dual_mov_b32 v5, v7
.LBB258_787:                            ;   in Loop: Header=BB258_678 Depth=1
	s_or_b32 exec_lo, exec_lo, s15
.LBB258_788:                            ;   in Loop: Header=BB258_678 Depth=1
	s_delay_alu instid0(SALU_CYCLE_1)
	s_or_b32 exec_lo, exec_lo, s13
.LBB258_789:                            ;   in Loop: Header=BB258_678 Depth=1
	s_delay_alu instid0(SALU_CYCLE_1) | instskip(SKIP_2) | instid1(VALU_DEP_1)
	s_or_b32 exec_lo, exec_lo, s10
	v_lshrrev_b16 v6, 8, v24
	s_mov_b32 s13, exec_lo
	v_cmpx_ne_u16_e32 0, v6
	s_cbranch_execz .LBB258_797
; %bb.790:                              ;   in Loop: Header=BB258_678 Depth=1
	v_dual_mov_b32 v15, s9 :: v_dual_mov_b32 v14, s8
	s_mov_b32 s15, exec_lo
	v_cmpx_ne_u16_e32 0x80, v6
	s_cbranch_execz .LBB258_796
; %bb.791:                              ;   in Loop: Header=BB258_678 Depth=1
	s_mov_b32 s10, s8
	v_dual_mov_b32 v15, s11 :: v_dual_and_b32 v6, 0xffff, v6
	v_mov_b32_e32 v14, s10
	s_mov_b32 s10, exec_lo
	s_delay_alu instid0(VALU_DEP_2) | instskip(NEXT) | instid1(VALU_DEP_1)
	v_and_b32_e32 v16, 0x7f, v6
	v_cmpx_ne_u32_e32 0x7f, v16
	s_cbranch_execz .LBB258_795
; %bb.792:                              ;   in Loop: Header=BB258_678 Depth=1
	v_and_b32_e32 v6, 7, v6
	v_lshrrev_b32_e32 v14, 3, v16
	s_mov_b32 s16, exec_lo
	v_cmpx_gt_u32_e32 8, v16
; %bb.793:                              ;   in Loop: Header=BB258_678 Depth=1
	s_delay_alu instid0(VALU_DEP_3) | instskip(NEXT) | instid1(VALU_DEP_1)
	v_clz_i32_u32_e32 v14, v6
	v_min_u32_e32 v14, 32, v14
	s_delay_alu instid0(VALU_DEP_1) | instskip(SKIP_1) | instid1(VALU_DEP_2)
	v_subrev_nc_u32_e32 v15, 28, v14
	v_sub_nc_u32_e32 v14, 29, v14
	v_lshlrev_b64 v[15:16], v15, v[6:7]
	s_delay_alu instid0(VALU_DEP_1)
	v_and_b32_e32 v6, 7, v15
; %bb.794:                              ;   in Loop: Header=BB258_678 Depth=1
	s_or_b32 exec_lo, exec_lo, s16
	v_lshlrev_b32_e32 v15, 16, v24
	s_delay_alu instid0(VALU_DEP_2) | instskip(SKIP_1) | instid1(VALU_DEP_3)
	v_lshlrev_b32_e32 v6, 20, v6
	v_lshl_add_u32 v14, v14, 23, 0x3c000000
	v_and_b32_e32 v15, 0x80000000, v15
	s_delay_alu instid0(VALU_DEP_1)
	v_or3_b32 v15, v6, v15, v14
	v_mov_b32_e32 v14, v7
.LBB258_795:                            ;   in Loop: Header=BB258_678 Depth=1
	s_or_b32 exec_lo, exec_lo, s10
.LBB258_796:                            ;   in Loop: Header=BB258_678 Depth=1
	s_delay_alu instid0(SALU_CYCLE_1)
	s_or_b32 exec_lo, exec_lo, s15
.LBB258_797:                            ;   in Loop: Header=BB258_678 Depth=1
	s_delay_alu instid0(SALU_CYCLE_1) | instskip(SKIP_4) | instid1(VALU_DEP_2)
	s_or_b32 exec_lo, exec_lo, s13
	v_mov_b32_e32 v18, 0
	v_lshrrev_b32_e32 v100, 16, v24
	v_mov_b32_e32 v19, 0
	s_mov_b32 s10, exec_lo
	v_and_b32_e32 v6, 0xff, v100
	s_delay_alu instid0(VALU_DEP_2) | instskip(NEXT) | instid1(VALU_DEP_2)
	v_dual_mov_b32 v16, v18 :: v_dual_mov_b32 v17, v19
	v_cmpx_ne_u16_e32 0, v6
	s_cbranch_execz .LBB258_805
; %bb.798:                              ;   in Loop: Header=BB258_678 Depth=1
	v_bfrev_b32_e32 v16, 1
	v_mov_b32_e32 v17, 0
	s_mov_b32 s13, exec_lo
	v_cmpx_ne_u16_e32 0x80, v6
	s_cbranch_execz .LBB258_804
; %bb.799:                              ;   in Loop: Header=BB258_678 Depth=1
	v_mov_b32_e32 v16, 0x7f800001
	v_bfe_u32 v101, v24, 16, 7
	v_mov_b32_e32 v17, 0
	s_mov_b32 s15, exec_lo
	s_delay_alu instid0(VALU_DEP_2)
	v_cmpx_ne_u32_e32 0x7f, v101
	s_cbranch_execz .LBB258_803
; %bb.800:                              ;   in Loop: Header=BB258_678 Depth=1
	v_and_b32_e32 v6, 7, v100
	v_lshrrev_b32_e32 v16, 3, v101
	s_mov_b32 s16, exec_lo
	v_cmpx_gt_u32_e32 8, v101
; %bb.801:                              ;   in Loop: Header=BB258_678 Depth=1
	s_delay_alu instid0(VALU_DEP_3) | instskip(NEXT) | instid1(VALU_DEP_1)
	v_clz_i32_u32_e32 v16, v6
	v_min_u32_e32 v16, 32, v16
	s_delay_alu instid0(VALU_DEP_1) | instskip(SKIP_1) | instid1(VALU_DEP_2)
	v_subrev_nc_u32_e32 v17, 28, v16
	v_sub_nc_u32_e32 v16, 29, v16
	v_lshlrev_b64 v[101:102], v17, v[6:7]
	s_delay_alu instid0(VALU_DEP_1)
	v_and_b32_e32 v6, 7, v101
; %bb.802:                              ;   in Loop: Header=BB258_678 Depth=1
	s_or_b32 exec_lo, exec_lo, s16
	v_lshlrev_b32_e32 v17, 24, v100
	s_delay_alu instid0(VALU_DEP_2) | instskip(SKIP_1) | instid1(VALU_DEP_3)
	v_lshlrev_b32_e32 v6, 20, v6
	v_lshl_add_u32 v16, v16, 23, 0x3c000000
	v_and_b32_e32 v17, 0x80000000, v17
	s_delay_alu instid0(VALU_DEP_1) | instskip(NEXT) | instid1(VALU_DEP_1)
	v_or3_b32 v6, v6, v17, v16
	v_dual_mov_b32 v17, v7 :: v_dual_mov_b32 v16, v6
.LBB258_803:                            ;   in Loop: Header=BB258_678 Depth=1
	s_or_b32 exec_lo, exec_lo, s15
.LBB258_804:                            ;   in Loop: Header=BB258_678 Depth=1
	s_delay_alu instid0(SALU_CYCLE_1)
	s_or_b32 exec_lo, exec_lo, s13
.LBB258_805:                            ;   in Loop: Header=BB258_678 Depth=1
	s_delay_alu instid0(SALU_CYCLE_1) | instskip(NEXT) | instid1(SALU_CYCLE_1)
	s_or_b32 exec_lo, exec_lo, s10
	s_mov_b32 s13, exec_lo
	v_cmpx_lt_u32_e32 0xffffff, v24
	s_cbranch_execz .LBB258_813
; %bb.806:                              ;   in Loop: Header=BB258_678 Depth=1
	v_lshrrev_b32_e32 v100, 24, v24
	v_dual_mov_b32 v19, s9 :: v_dual_mov_b32 v18, s8
	s_mov_b32 s15, exec_lo
	s_delay_alu instid0(VALU_DEP_2)
	v_cmpx_ne_u32_e32 0x80, v100
	s_cbranch_execz .LBB258_812
; %bb.807:                              ;   in Loop: Header=BB258_678 Depth=1
	s_mov_b32 s10, s8
	v_bfe_u32 v24, v24, 24, 7
	v_dual_mov_b32 v19, s11 :: v_dual_mov_b32 v18, s10
	s_mov_b32 s10, exec_lo
	s_delay_alu instid0(VALU_DEP_2)
	v_cmpx_ne_u32_e32 0x7f, v24
	s_cbranch_execz .LBB258_811
; %bb.808:                              ;   in Loop: Header=BB258_678 Depth=1
	v_and_b32_e32 v6, 7, v100
	v_lshrrev_b32_e32 v18, 3, v24
	s_mov_b32 s16, exec_lo
	v_cmpx_gt_u32_e32 8, v24
; %bb.809:                              ;   in Loop: Header=BB258_678 Depth=1
	s_delay_alu instid0(VALU_DEP_3) | instskip(NEXT) | instid1(VALU_DEP_1)
	v_clz_i32_u32_e32 v18, v6
	v_min_u32_e32 v18, 32, v18
	s_delay_alu instid0(VALU_DEP_1) | instskip(SKIP_1) | instid1(VALU_DEP_2)
	v_subrev_nc_u32_e32 v19, 28, v18
	v_sub_nc_u32_e32 v18, 29, v18
	v_lshlrev_b64 v[101:102], v19, v[6:7]
	s_delay_alu instid0(VALU_DEP_1)
	v_and_b32_e32 v6, 7, v101
; %bb.810:                              ;   in Loop: Header=BB258_678 Depth=1
	s_or_b32 exec_lo, exec_lo, s16
	v_lshlrev_b32_e32 v19, 24, v100
	s_delay_alu instid0(VALU_DEP_2) | instskip(SKIP_1) | instid1(VALU_DEP_3)
	v_lshlrev_b32_e32 v6, 20, v6
	v_lshl_add_u32 v18, v18, 23, 0x3c000000
	v_and_b32_e32 v19, 0x80000000, v19
	s_delay_alu instid0(VALU_DEP_1)
	v_or3_b32 v19, v6, v19, v18
	v_mov_b32_e32 v18, v7
.LBB258_811:                            ;   in Loop: Header=BB258_678 Depth=1
	s_or_b32 exec_lo, exec_lo, s10
.LBB258_812:                            ;   in Loop: Header=BB258_678 Depth=1
	s_delay_alu instid0(SALU_CYCLE_1)
	s_or_b32 exec_lo, exec_lo, s15
.LBB258_813:                            ;   in Loop: Header=BB258_678 Depth=1
	s_delay_alu instid0(SALU_CYCLE_1) | instskip(SKIP_4) | instid1(VALU_DEP_4)
	s_or_b32 exec_lo, exec_lo, s13
	v_or_b32_e32 v5, v15, v5
	v_or_b32_e32 v4, v14, v4
	;; [unrolled: 1-line block ×4, first 2 shown]
	v_mul_f32_e32 v103, v67, v5
	s_delay_alu instid0(VALU_DEP_4) | instskip(NEXT) | instid1(VALU_DEP_4)
	v_mul_f32_e32 v102, v67, v4
	v_mul_f32_e32 v100, v67, v6
	s_delay_alu instid0(VALU_DEP_4)
	v_mul_f32_e32 v101, v67, v14
	s_and_saveexec_b32 s10, vcc_lo
; %bb.814:                              ;   in Loop: Header=BB258_678 Depth=1
	v_cmp_lt_i32_e64 s0, v80, v135
	s_delay_alu instid0(VALU_DEP_1) | instskip(SKIP_1) | instid1(VALU_DEP_1)
	v_cndmask_b32_e64 v102, 0, v102, s0
	v_cmp_lt_i32_e64 s0, v83, v135
	v_cndmask_b32_e64 v103, 0, v103, s0
	v_cmp_lt_i32_e64 s0, v82, v135
	s_delay_alu instid0(VALU_DEP_1) | instskip(SKIP_1) | instid1(VALU_DEP_1)
	v_cndmask_b32_e64 v101, 0, v101, s0
	v_cmp_lt_i32_e64 s0, v81, v135
	v_cndmask_b32_e64 v100, 0, v100, s0
; %bb.815:                              ;   in Loop: Header=BB258_678 Depth=1
	s_or_b32 exec_lo, exec_lo, s10
	flat_load_b32 v24, v[12:13] offset:512
	v_mov_b32_e32 v14, 0
	v_mov_b32_e32 v15, 0
	s_mov_b32 s10, exec_lo
	s_waitcnt vmcnt(0) lgkmcnt(0)
	v_and_b32_e32 v6, 0xff, v24
	s_delay_alu instid0(VALU_DEP_2) | instskip(NEXT) | instid1(VALU_DEP_2)
	v_dual_mov_b32 v4, v14 :: v_dual_mov_b32 v5, v15
	v_cmpx_ne_u16_e32 0, v6
	s_cbranch_execz .LBB258_823
; %bb.816:                              ;   in Loop: Header=BB258_678 Depth=1
	v_bfrev_b32_e32 v4, 1
	v_mov_b32_e32 v5, 0
	s_mov_b32 s13, exec_lo
	v_cmpx_ne_u16_e32 0x80, v6
	s_cbranch_execz .LBB258_822
; %bb.817:                              ;   in Loop: Header=BB258_678 Depth=1
	v_mov_b32_e32 v4, 0x7f800001
	v_dual_mov_b32 v5, 0 :: v_dual_and_b32 v16, 0x7f, v24
	s_mov_b32 s15, exec_lo
	s_delay_alu instid0(VALU_DEP_1)
	v_cmpx_ne_u32_e32 0x7f, v16
	s_cbranch_execz .LBB258_821
; %bb.818:                              ;   in Loop: Header=BB258_678 Depth=1
	v_and_b32_e32 v6, 7, v24
	v_lshrrev_b32_e32 v4, 3, v16
	s_mov_b32 s16, exec_lo
	v_cmpx_gt_u32_e32 8, v16
; %bb.819:                              ;   in Loop: Header=BB258_678 Depth=1
	s_delay_alu instid0(VALU_DEP_3) | instskip(NEXT) | instid1(VALU_DEP_1)
	v_clz_i32_u32_e32 v4, v6
	v_min_u32_e32 v4, 32, v4
	s_delay_alu instid0(VALU_DEP_1) | instskip(SKIP_1) | instid1(VALU_DEP_2)
	v_subrev_nc_u32_e32 v5, 28, v4
	v_sub_nc_u32_e32 v4, 29, v4
	v_lshlrev_b64 v[5:6], v5, v[6:7]
	s_delay_alu instid0(VALU_DEP_1)
	v_and_b32_e32 v6, 7, v5
; %bb.820:                              ;   in Loop: Header=BB258_678 Depth=1
	s_or_b32 exec_lo, exec_lo, s16
	v_lshlrev_b32_e32 v5, 24, v24
	s_delay_alu instid0(VALU_DEP_2) | instskip(SKIP_1) | instid1(VALU_DEP_3)
	v_lshlrev_b32_e32 v6, 20, v6
	v_lshl_add_u32 v4, v4, 23, 0x3c000000
	v_and_b32_e32 v5, 0x80000000, v5
	s_delay_alu instid0(VALU_DEP_1) | instskip(NEXT) | instid1(VALU_DEP_1)
	v_or3_b32 v6, v6, v5, v4
	v_dual_mov_b32 v4, v6 :: v_dual_mov_b32 v5, v7
.LBB258_821:                            ;   in Loop: Header=BB258_678 Depth=1
	s_or_b32 exec_lo, exec_lo, s15
.LBB258_822:                            ;   in Loop: Header=BB258_678 Depth=1
	s_delay_alu instid0(SALU_CYCLE_1)
	s_or_b32 exec_lo, exec_lo, s13
.LBB258_823:                            ;   in Loop: Header=BB258_678 Depth=1
	s_delay_alu instid0(SALU_CYCLE_1) | instskip(SKIP_2) | instid1(VALU_DEP_1)
	s_or_b32 exec_lo, exec_lo, s10
	v_lshrrev_b16 v6, 8, v24
	s_mov_b32 s13, exec_lo
	v_cmpx_ne_u16_e32 0, v6
	s_cbranch_execz .LBB258_831
; %bb.824:                              ;   in Loop: Header=BB258_678 Depth=1
	v_dual_mov_b32 v15, s9 :: v_dual_mov_b32 v14, s8
	s_mov_b32 s15, exec_lo
	v_cmpx_ne_u16_e32 0x80, v6
	s_cbranch_execz .LBB258_830
; %bb.825:                              ;   in Loop: Header=BB258_678 Depth=1
	s_mov_b32 s10, s8
	v_dual_mov_b32 v15, s11 :: v_dual_and_b32 v6, 0xffff, v6
	v_mov_b32_e32 v14, s10
	s_mov_b32 s10, exec_lo
	s_delay_alu instid0(VALU_DEP_2) | instskip(NEXT) | instid1(VALU_DEP_1)
	v_and_b32_e32 v16, 0x7f, v6
	v_cmpx_ne_u32_e32 0x7f, v16
	s_cbranch_execz .LBB258_829
; %bb.826:                              ;   in Loop: Header=BB258_678 Depth=1
	v_and_b32_e32 v6, 7, v6
	v_lshrrev_b32_e32 v14, 3, v16
	s_mov_b32 s16, exec_lo
	v_cmpx_gt_u32_e32 8, v16
; %bb.827:                              ;   in Loop: Header=BB258_678 Depth=1
	s_delay_alu instid0(VALU_DEP_3) | instskip(NEXT) | instid1(VALU_DEP_1)
	v_clz_i32_u32_e32 v14, v6
	v_min_u32_e32 v14, 32, v14
	s_delay_alu instid0(VALU_DEP_1) | instskip(SKIP_1) | instid1(VALU_DEP_2)
	v_subrev_nc_u32_e32 v15, 28, v14
	v_sub_nc_u32_e32 v14, 29, v14
	v_lshlrev_b64 v[15:16], v15, v[6:7]
	s_delay_alu instid0(VALU_DEP_1)
	v_and_b32_e32 v6, 7, v15
; %bb.828:                              ;   in Loop: Header=BB258_678 Depth=1
	s_or_b32 exec_lo, exec_lo, s16
	v_lshlrev_b32_e32 v15, 16, v24
	s_delay_alu instid0(VALU_DEP_2) | instskip(SKIP_1) | instid1(VALU_DEP_3)
	v_lshlrev_b32_e32 v6, 20, v6
	v_lshl_add_u32 v14, v14, 23, 0x3c000000
	v_and_b32_e32 v15, 0x80000000, v15
	s_delay_alu instid0(VALU_DEP_1)
	v_or3_b32 v15, v6, v15, v14
	v_mov_b32_e32 v14, v7
.LBB258_829:                            ;   in Loop: Header=BB258_678 Depth=1
	s_or_b32 exec_lo, exec_lo, s10
.LBB258_830:                            ;   in Loop: Header=BB258_678 Depth=1
	s_delay_alu instid0(SALU_CYCLE_1)
	s_or_b32 exec_lo, exec_lo, s15
.LBB258_831:                            ;   in Loop: Header=BB258_678 Depth=1
	s_delay_alu instid0(SALU_CYCLE_1) | instskip(SKIP_4) | instid1(VALU_DEP_2)
	s_or_b32 exec_lo, exec_lo, s13
	v_mov_b32_e32 v18, 0
	v_lshrrev_b32_e32 v112, 16, v24
	v_mov_b32_e32 v19, 0
	s_mov_b32 s10, exec_lo
	v_and_b32_e32 v6, 0xff, v112
	s_delay_alu instid0(VALU_DEP_2) | instskip(NEXT) | instid1(VALU_DEP_2)
	v_dual_mov_b32 v16, v18 :: v_dual_mov_b32 v17, v19
	v_cmpx_ne_u16_e32 0, v6
	s_cbranch_execz .LBB258_839
; %bb.832:                              ;   in Loop: Header=BB258_678 Depth=1
	v_bfrev_b32_e32 v16, 1
	v_mov_b32_e32 v17, 0
	s_mov_b32 s13, exec_lo
	v_cmpx_ne_u16_e32 0x80, v6
	s_cbranch_execz .LBB258_838
; %bb.833:                              ;   in Loop: Header=BB258_678 Depth=1
	v_mov_b32_e32 v16, 0x7f800001
	v_bfe_u32 v113, v24, 16, 7
	v_mov_b32_e32 v17, 0
	s_mov_b32 s15, exec_lo
	s_delay_alu instid0(VALU_DEP_2)
	v_cmpx_ne_u32_e32 0x7f, v113
	s_cbranch_execz .LBB258_837
; %bb.834:                              ;   in Loop: Header=BB258_678 Depth=1
	v_and_b32_e32 v6, 7, v112
	v_lshrrev_b32_e32 v16, 3, v113
	s_mov_b32 s16, exec_lo
	v_cmpx_gt_u32_e32 8, v113
; %bb.835:                              ;   in Loop: Header=BB258_678 Depth=1
	s_delay_alu instid0(VALU_DEP_3) | instskip(NEXT) | instid1(VALU_DEP_1)
	v_clz_i32_u32_e32 v16, v6
	v_min_u32_e32 v16, 32, v16
	s_delay_alu instid0(VALU_DEP_1) | instskip(SKIP_1) | instid1(VALU_DEP_2)
	v_subrev_nc_u32_e32 v17, 28, v16
	v_sub_nc_u32_e32 v16, 29, v16
	v_lshlrev_b64 v[113:114], v17, v[6:7]
	s_delay_alu instid0(VALU_DEP_1)
	v_and_b32_e32 v6, 7, v113
; %bb.836:                              ;   in Loop: Header=BB258_678 Depth=1
	s_or_b32 exec_lo, exec_lo, s16
	v_lshlrev_b32_e32 v17, 24, v112
	s_delay_alu instid0(VALU_DEP_2) | instskip(SKIP_1) | instid1(VALU_DEP_3)
	v_lshlrev_b32_e32 v6, 20, v6
	v_lshl_add_u32 v16, v16, 23, 0x3c000000
	v_and_b32_e32 v17, 0x80000000, v17
	s_delay_alu instid0(VALU_DEP_1) | instskip(NEXT) | instid1(VALU_DEP_1)
	v_or3_b32 v6, v6, v17, v16
	v_dual_mov_b32 v17, v7 :: v_dual_mov_b32 v16, v6
.LBB258_837:                            ;   in Loop: Header=BB258_678 Depth=1
	s_or_b32 exec_lo, exec_lo, s15
.LBB258_838:                            ;   in Loop: Header=BB258_678 Depth=1
	s_delay_alu instid0(SALU_CYCLE_1)
	s_or_b32 exec_lo, exec_lo, s13
.LBB258_839:                            ;   in Loop: Header=BB258_678 Depth=1
	s_delay_alu instid0(SALU_CYCLE_1) | instskip(NEXT) | instid1(SALU_CYCLE_1)
	s_or_b32 exec_lo, exec_lo, s10
	s_mov_b32 s13, exec_lo
	v_cmpx_lt_u32_e32 0xffffff, v24
	s_cbranch_execz .LBB258_847
; %bb.840:                              ;   in Loop: Header=BB258_678 Depth=1
	v_lshrrev_b32_e32 v112, 24, v24
	v_dual_mov_b32 v19, s9 :: v_dual_mov_b32 v18, s8
	s_mov_b32 s15, exec_lo
	s_delay_alu instid0(VALU_DEP_2)
	v_cmpx_ne_u32_e32 0x80, v112
	s_cbranch_execz .LBB258_846
; %bb.841:                              ;   in Loop: Header=BB258_678 Depth=1
	s_mov_b32 s10, s8
	v_bfe_u32 v24, v24, 24, 7
	v_dual_mov_b32 v19, s11 :: v_dual_mov_b32 v18, s10
	s_mov_b32 s10, exec_lo
	s_delay_alu instid0(VALU_DEP_2)
	v_cmpx_ne_u32_e32 0x7f, v24
	s_cbranch_execz .LBB258_845
; %bb.842:                              ;   in Loop: Header=BB258_678 Depth=1
	v_and_b32_e32 v6, 7, v112
	v_lshrrev_b32_e32 v18, 3, v24
	s_mov_b32 s16, exec_lo
	v_cmpx_gt_u32_e32 8, v24
; %bb.843:                              ;   in Loop: Header=BB258_678 Depth=1
	s_delay_alu instid0(VALU_DEP_3) | instskip(NEXT) | instid1(VALU_DEP_1)
	v_clz_i32_u32_e32 v18, v6
	v_min_u32_e32 v18, 32, v18
	s_delay_alu instid0(VALU_DEP_1) | instskip(SKIP_1) | instid1(VALU_DEP_2)
	v_subrev_nc_u32_e32 v19, 28, v18
	v_sub_nc_u32_e32 v18, 29, v18
	v_lshlrev_b64 v[113:114], v19, v[6:7]
	s_delay_alu instid0(VALU_DEP_1)
	v_and_b32_e32 v6, 7, v113
; %bb.844:                              ;   in Loop: Header=BB258_678 Depth=1
	s_or_b32 exec_lo, exec_lo, s16
	v_lshlrev_b32_e32 v19, 24, v112
	s_delay_alu instid0(VALU_DEP_2) | instskip(SKIP_1) | instid1(VALU_DEP_3)
	v_lshlrev_b32_e32 v6, 20, v6
	v_lshl_add_u32 v18, v18, 23, 0x3c000000
	v_and_b32_e32 v19, 0x80000000, v19
	s_delay_alu instid0(VALU_DEP_1)
	v_or3_b32 v19, v6, v19, v18
	v_mov_b32_e32 v18, v7
.LBB258_845:                            ;   in Loop: Header=BB258_678 Depth=1
	s_or_b32 exec_lo, exec_lo, s10
.LBB258_846:                            ;   in Loop: Header=BB258_678 Depth=1
	s_delay_alu instid0(SALU_CYCLE_1)
	s_or_b32 exec_lo, exec_lo, s15
.LBB258_847:                            ;   in Loop: Header=BB258_678 Depth=1
	s_delay_alu instid0(SALU_CYCLE_1) | instskip(SKIP_4) | instid1(VALU_DEP_4)
	s_or_b32 exec_lo, exec_lo, s13
	v_or_b32_e32 v5, v15, v5
	v_or_b32_e32 v4, v14, v4
	;; [unrolled: 1-line block ×4, first 2 shown]
	v_mul_f32_e32 v115, v67, v5
	s_delay_alu instid0(VALU_DEP_4) | instskip(NEXT) | instid1(VALU_DEP_4)
	v_mul_f32_e32 v114, v67, v4
	v_mul_f32_e32 v112, v67, v6
	s_delay_alu instid0(VALU_DEP_4)
	v_mul_f32_e32 v113, v67, v14
	s_and_saveexec_b32 s10, vcc_lo
; %bb.848:                              ;   in Loop: Header=BB258_678 Depth=1
	v_cmp_lt_i32_e64 s0, v80, v135
	s_delay_alu instid0(VALU_DEP_1) | instskip(SKIP_1) | instid1(VALU_DEP_1)
	v_cndmask_b32_e64 v114, 0, v114, s0
	v_cmp_lt_i32_e64 s0, v83, v135
	v_cndmask_b32_e64 v115, 0, v115, s0
	v_cmp_lt_i32_e64 s0, v82, v135
	s_delay_alu instid0(VALU_DEP_1) | instskip(SKIP_1) | instid1(VALU_DEP_1)
	v_cndmask_b32_e64 v113, 0, v113, s0
	v_cmp_lt_i32_e64 s0, v81, v135
	v_cndmask_b32_e64 v112, 0, v112, s0
; %bb.849:                              ;   in Loop: Header=BB258_678 Depth=1
	s_or_b32 exec_lo, exec_lo, s10
	flat_load_b32 v24, v[12:13] offset:640
	v_mov_b32_e32 v14, 0
	v_mov_b32_e32 v15, 0
	s_mov_b32 s10, exec_lo
	s_waitcnt vmcnt(0) lgkmcnt(0)
	v_and_b32_e32 v6, 0xff, v24
	s_delay_alu instid0(VALU_DEP_2) | instskip(NEXT) | instid1(VALU_DEP_2)
	v_dual_mov_b32 v4, v14 :: v_dual_mov_b32 v5, v15
	v_cmpx_ne_u16_e32 0, v6
	s_cbranch_execz .LBB258_857
; %bb.850:                              ;   in Loop: Header=BB258_678 Depth=1
	v_bfrev_b32_e32 v4, 1
	v_mov_b32_e32 v5, 0
	s_mov_b32 s13, exec_lo
	v_cmpx_ne_u16_e32 0x80, v6
	s_cbranch_execz .LBB258_856
; %bb.851:                              ;   in Loop: Header=BB258_678 Depth=1
	v_mov_b32_e32 v4, 0x7f800001
	v_dual_mov_b32 v5, 0 :: v_dual_and_b32 v16, 0x7f, v24
	s_mov_b32 s15, exec_lo
	s_delay_alu instid0(VALU_DEP_1)
	v_cmpx_ne_u32_e32 0x7f, v16
	s_cbranch_execz .LBB258_855
; %bb.852:                              ;   in Loop: Header=BB258_678 Depth=1
	v_and_b32_e32 v6, 7, v24
	v_lshrrev_b32_e32 v4, 3, v16
	s_mov_b32 s16, exec_lo
	v_cmpx_gt_u32_e32 8, v16
; %bb.853:                              ;   in Loop: Header=BB258_678 Depth=1
	s_delay_alu instid0(VALU_DEP_3) | instskip(NEXT) | instid1(VALU_DEP_1)
	v_clz_i32_u32_e32 v4, v6
	v_min_u32_e32 v4, 32, v4
	s_delay_alu instid0(VALU_DEP_1) | instskip(SKIP_1) | instid1(VALU_DEP_2)
	v_subrev_nc_u32_e32 v5, 28, v4
	v_sub_nc_u32_e32 v4, 29, v4
	v_lshlrev_b64 v[5:6], v5, v[6:7]
	s_delay_alu instid0(VALU_DEP_1)
	v_and_b32_e32 v6, 7, v5
; %bb.854:                              ;   in Loop: Header=BB258_678 Depth=1
	s_or_b32 exec_lo, exec_lo, s16
	v_lshlrev_b32_e32 v5, 24, v24
	s_delay_alu instid0(VALU_DEP_2) | instskip(SKIP_1) | instid1(VALU_DEP_3)
	v_lshlrev_b32_e32 v6, 20, v6
	v_lshl_add_u32 v4, v4, 23, 0x3c000000
	v_and_b32_e32 v5, 0x80000000, v5
	s_delay_alu instid0(VALU_DEP_1) | instskip(NEXT) | instid1(VALU_DEP_1)
	v_or3_b32 v6, v6, v5, v4
	v_dual_mov_b32 v4, v6 :: v_dual_mov_b32 v5, v7
.LBB258_855:                            ;   in Loop: Header=BB258_678 Depth=1
	s_or_b32 exec_lo, exec_lo, s15
.LBB258_856:                            ;   in Loop: Header=BB258_678 Depth=1
	s_delay_alu instid0(SALU_CYCLE_1)
	s_or_b32 exec_lo, exec_lo, s13
.LBB258_857:                            ;   in Loop: Header=BB258_678 Depth=1
	s_delay_alu instid0(SALU_CYCLE_1) | instskip(SKIP_2) | instid1(VALU_DEP_1)
	s_or_b32 exec_lo, exec_lo, s10
	v_lshrrev_b16 v6, 8, v24
	s_mov_b32 s13, exec_lo
	v_cmpx_ne_u16_e32 0, v6
	s_cbranch_execz .LBB258_865
; %bb.858:                              ;   in Loop: Header=BB258_678 Depth=1
	v_dual_mov_b32 v15, s9 :: v_dual_mov_b32 v14, s8
	s_mov_b32 s15, exec_lo
	v_cmpx_ne_u16_e32 0x80, v6
	s_cbranch_execz .LBB258_864
; %bb.859:                              ;   in Loop: Header=BB258_678 Depth=1
	s_mov_b32 s10, s8
	v_dual_mov_b32 v15, s11 :: v_dual_and_b32 v6, 0xffff, v6
	v_mov_b32_e32 v14, s10
	s_mov_b32 s10, exec_lo
	s_delay_alu instid0(VALU_DEP_2) | instskip(NEXT) | instid1(VALU_DEP_1)
	v_and_b32_e32 v16, 0x7f, v6
	v_cmpx_ne_u32_e32 0x7f, v16
	s_cbranch_execz .LBB258_863
; %bb.860:                              ;   in Loop: Header=BB258_678 Depth=1
	v_and_b32_e32 v6, 7, v6
	v_lshrrev_b32_e32 v14, 3, v16
	s_mov_b32 s16, exec_lo
	v_cmpx_gt_u32_e32 8, v16
; %bb.861:                              ;   in Loop: Header=BB258_678 Depth=1
	s_delay_alu instid0(VALU_DEP_3) | instskip(NEXT) | instid1(VALU_DEP_1)
	v_clz_i32_u32_e32 v14, v6
	v_min_u32_e32 v14, 32, v14
	s_delay_alu instid0(VALU_DEP_1) | instskip(SKIP_1) | instid1(VALU_DEP_2)
	v_subrev_nc_u32_e32 v15, 28, v14
	v_sub_nc_u32_e32 v14, 29, v14
	v_lshlrev_b64 v[15:16], v15, v[6:7]
	s_delay_alu instid0(VALU_DEP_1)
	v_and_b32_e32 v6, 7, v15
; %bb.862:                              ;   in Loop: Header=BB258_678 Depth=1
	s_or_b32 exec_lo, exec_lo, s16
	v_lshlrev_b32_e32 v15, 16, v24
	s_delay_alu instid0(VALU_DEP_2) | instskip(SKIP_1) | instid1(VALU_DEP_3)
	v_lshlrev_b32_e32 v6, 20, v6
	v_lshl_add_u32 v14, v14, 23, 0x3c000000
	v_and_b32_e32 v15, 0x80000000, v15
	s_delay_alu instid0(VALU_DEP_1)
	v_or3_b32 v15, v6, v15, v14
	v_mov_b32_e32 v14, v7
.LBB258_863:                            ;   in Loop: Header=BB258_678 Depth=1
	s_or_b32 exec_lo, exec_lo, s10
.LBB258_864:                            ;   in Loop: Header=BB258_678 Depth=1
	s_delay_alu instid0(SALU_CYCLE_1)
	s_or_b32 exec_lo, exec_lo, s15
.LBB258_865:                            ;   in Loop: Header=BB258_678 Depth=1
	s_delay_alu instid0(SALU_CYCLE_1) | instskip(SKIP_4) | instid1(VALU_DEP_2)
	s_or_b32 exec_lo, exec_lo, s13
	v_mov_b32_e32 v18, 0
	v_lshrrev_b32_e32 v116, 16, v24
	v_mov_b32_e32 v19, 0
	s_mov_b32 s10, exec_lo
	v_and_b32_e32 v6, 0xff, v116
	s_delay_alu instid0(VALU_DEP_2) | instskip(NEXT) | instid1(VALU_DEP_2)
	v_dual_mov_b32 v16, v18 :: v_dual_mov_b32 v17, v19
	v_cmpx_ne_u16_e32 0, v6
	s_cbranch_execz .LBB258_873
; %bb.866:                              ;   in Loop: Header=BB258_678 Depth=1
	v_bfrev_b32_e32 v16, 1
	v_mov_b32_e32 v17, 0
	s_mov_b32 s13, exec_lo
	v_cmpx_ne_u16_e32 0x80, v6
	s_cbranch_execz .LBB258_872
; %bb.867:                              ;   in Loop: Header=BB258_678 Depth=1
	v_mov_b32_e32 v16, 0x7f800001
	v_bfe_u32 v117, v24, 16, 7
	v_mov_b32_e32 v17, 0
	s_mov_b32 s15, exec_lo
	s_delay_alu instid0(VALU_DEP_2)
	v_cmpx_ne_u32_e32 0x7f, v117
	s_cbranch_execz .LBB258_871
; %bb.868:                              ;   in Loop: Header=BB258_678 Depth=1
	v_and_b32_e32 v6, 7, v116
	v_lshrrev_b32_e32 v16, 3, v117
	s_mov_b32 s16, exec_lo
	v_cmpx_gt_u32_e32 8, v117
; %bb.869:                              ;   in Loop: Header=BB258_678 Depth=1
	s_delay_alu instid0(VALU_DEP_3) | instskip(NEXT) | instid1(VALU_DEP_1)
	v_clz_i32_u32_e32 v16, v6
	v_min_u32_e32 v16, 32, v16
	s_delay_alu instid0(VALU_DEP_1) | instskip(SKIP_1) | instid1(VALU_DEP_2)
	v_subrev_nc_u32_e32 v17, 28, v16
	v_sub_nc_u32_e32 v16, 29, v16
	v_lshlrev_b64 v[117:118], v17, v[6:7]
	s_delay_alu instid0(VALU_DEP_1)
	v_and_b32_e32 v6, 7, v117
; %bb.870:                              ;   in Loop: Header=BB258_678 Depth=1
	s_or_b32 exec_lo, exec_lo, s16
	v_lshlrev_b32_e32 v17, 24, v116
	s_delay_alu instid0(VALU_DEP_2) | instskip(SKIP_1) | instid1(VALU_DEP_3)
	v_lshlrev_b32_e32 v6, 20, v6
	v_lshl_add_u32 v16, v16, 23, 0x3c000000
	v_and_b32_e32 v17, 0x80000000, v17
	s_delay_alu instid0(VALU_DEP_1) | instskip(NEXT) | instid1(VALU_DEP_1)
	v_or3_b32 v6, v6, v17, v16
	v_dual_mov_b32 v17, v7 :: v_dual_mov_b32 v16, v6
.LBB258_871:                            ;   in Loop: Header=BB258_678 Depth=1
	s_or_b32 exec_lo, exec_lo, s15
.LBB258_872:                            ;   in Loop: Header=BB258_678 Depth=1
	s_delay_alu instid0(SALU_CYCLE_1)
	s_or_b32 exec_lo, exec_lo, s13
.LBB258_873:                            ;   in Loop: Header=BB258_678 Depth=1
	s_delay_alu instid0(SALU_CYCLE_1) | instskip(NEXT) | instid1(SALU_CYCLE_1)
	s_or_b32 exec_lo, exec_lo, s10
	s_mov_b32 s13, exec_lo
	v_cmpx_lt_u32_e32 0xffffff, v24
	s_cbranch_execz .LBB258_881
; %bb.874:                              ;   in Loop: Header=BB258_678 Depth=1
	v_lshrrev_b32_e32 v116, 24, v24
	v_dual_mov_b32 v19, s9 :: v_dual_mov_b32 v18, s8
	s_mov_b32 s15, exec_lo
	s_delay_alu instid0(VALU_DEP_2)
	v_cmpx_ne_u32_e32 0x80, v116
	s_cbranch_execz .LBB258_880
; %bb.875:                              ;   in Loop: Header=BB258_678 Depth=1
	s_mov_b32 s10, s8
	v_bfe_u32 v24, v24, 24, 7
	v_dual_mov_b32 v19, s11 :: v_dual_mov_b32 v18, s10
	s_mov_b32 s10, exec_lo
	s_delay_alu instid0(VALU_DEP_2)
	v_cmpx_ne_u32_e32 0x7f, v24
	s_cbranch_execz .LBB258_879
; %bb.876:                              ;   in Loop: Header=BB258_678 Depth=1
	v_and_b32_e32 v6, 7, v116
	v_lshrrev_b32_e32 v18, 3, v24
	s_mov_b32 s16, exec_lo
	v_cmpx_gt_u32_e32 8, v24
; %bb.877:                              ;   in Loop: Header=BB258_678 Depth=1
	s_delay_alu instid0(VALU_DEP_3) | instskip(NEXT) | instid1(VALU_DEP_1)
	v_clz_i32_u32_e32 v18, v6
	v_min_u32_e32 v18, 32, v18
	s_delay_alu instid0(VALU_DEP_1) | instskip(SKIP_1) | instid1(VALU_DEP_2)
	v_subrev_nc_u32_e32 v19, 28, v18
	v_sub_nc_u32_e32 v18, 29, v18
	v_lshlrev_b64 v[117:118], v19, v[6:7]
	s_delay_alu instid0(VALU_DEP_1)
	v_and_b32_e32 v6, 7, v117
; %bb.878:                              ;   in Loop: Header=BB258_678 Depth=1
	s_or_b32 exec_lo, exec_lo, s16
	v_lshlrev_b32_e32 v19, 24, v116
	s_delay_alu instid0(VALU_DEP_2) | instskip(SKIP_1) | instid1(VALU_DEP_3)
	v_lshlrev_b32_e32 v6, 20, v6
	v_lshl_add_u32 v18, v18, 23, 0x3c000000
	v_and_b32_e32 v19, 0x80000000, v19
	s_delay_alu instid0(VALU_DEP_1)
	v_or3_b32 v19, v6, v19, v18
	v_mov_b32_e32 v18, v7
.LBB258_879:                            ;   in Loop: Header=BB258_678 Depth=1
	s_or_b32 exec_lo, exec_lo, s10
.LBB258_880:                            ;   in Loop: Header=BB258_678 Depth=1
	s_delay_alu instid0(SALU_CYCLE_1)
	s_or_b32 exec_lo, exec_lo, s15
.LBB258_881:                            ;   in Loop: Header=BB258_678 Depth=1
	s_delay_alu instid0(SALU_CYCLE_1) | instskip(SKIP_4) | instid1(VALU_DEP_4)
	s_or_b32 exec_lo, exec_lo, s13
	v_or_b32_e32 v5, v15, v5
	v_or_b32_e32 v4, v14, v4
	;; [unrolled: 1-line block ×4, first 2 shown]
	v_mul_f32_e32 v119, v67, v5
	s_delay_alu instid0(VALU_DEP_4) | instskip(NEXT) | instid1(VALU_DEP_4)
	v_mul_f32_e32 v118, v67, v4
	v_mul_f32_e32 v116, v67, v6
	s_delay_alu instid0(VALU_DEP_4)
	v_mul_f32_e32 v117, v67, v14
	s_and_saveexec_b32 s10, vcc_lo
; %bb.882:                              ;   in Loop: Header=BB258_678 Depth=1
	v_cmp_lt_i32_e64 s0, v80, v135
	s_delay_alu instid0(VALU_DEP_1) | instskip(SKIP_1) | instid1(VALU_DEP_1)
	v_cndmask_b32_e64 v118, 0, v118, s0
	v_cmp_lt_i32_e64 s0, v83, v135
	v_cndmask_b32_e64 v119, 0, v119, s0
	v_cmp_lt_i32_e64 s0, v82, v135
	s_delay_alu instid0(VALU_DEP_1) | instskip(SKIP_1) | instid1(VALU_DEP_1)
	v_cndmask_b32_e64 v117, 0, v117, s0
	v_cmp_lt_i32_e64 s0, v81, v135
	v_cndmask_b32_e64 v116, 0, v116, s0
; %bb.883:                              ;   in Loop: Header=BB258_678 Depth=1
	s_or_b32 exec_lo, exec_lo, s10
	flat_load_b32 v24, v[12:13] offset:768
	v_mov_b32_e32 v14, 0
	v_mov_b32_e32 v15, 0
	s_mov_b32 s10, exec_lo
	s_waitcnt vmcnt(0) lgkmcnt(0)
	v_and_b32_e32 v6, 0xff, v24
	s_delay_alu instid0(VALU_DEP_2) | instskip(NEXT) | instid1(VALU_DEP_2)
	v_dual_mov_b32 v4, v14 :: v_dual_mov_b32 v5, v15
	v_cmpx_ne_u16_e32 0, v6
	s_cbranch_execz .LBB258_891
; %bb.884:                              ;   in Loop: Header=BB258_678 Depth=1
	v_bfrev_b32_e32 v4, 1
	v_mov_b32_e32 v5, 0
	s_mov_b32 s13, exec_lo
	v_cmpx_ne_u16_e32 0x80, v6
	s_cbranch_execz .LBB258_890
; %bb.885:                              ;   in Loop: Header=BB258_678 Depth=1
	v_mov_b32_e32 v4, 0x7f800001
	v_dual_mov_b32 v5, 0 :: v_dual_and_b32 v16, 0x7f, v24
	s_mov_b32 s15, exec_lo
	s_delay_alu instid0(VALU_DEP_1)
	v_cmpx_ne_u32_e32 0x7f, v16
	s_cbranch_execz .LBB258_889
; %bb.886:                              ;   in Loop: Header=BB258_678 Depth=1
	v_and_b32_e32 v6, 7, v24
	v_lshrrev_b32_e32 v4, 3, v16
	s_mov_b32 s16, exec_lo
	v_cmpx_gt_u32_e32 8, v16
; %bb.887:                              ;   in Loop: Header=BB258_678 Depth=1
	s_delay_alu instid0(VALU_DEP_3) | instskip(NEXT) | instid1(VALU_DEP_1)
	v_clz_i32_u32_e32 v4, v6
	v_min_u32_e32 v4, 32, v4
	s_delay_alu instid0(VALU_DEP_1) | instskip(SKIP_1) | instid1(VALU_DEP_2)
	v_subrev_nc_u32_e32 v5, 28, v4
	v_sub_nc_u32_e32 v4, 29, v4
	v_lshlrev_b64 v[5:6], v5, v[6:7]
	s_delay_alu instid0(VALU_DEP_1)
	v_and_b32_e32 v6, 7, v5
; %bb.888:                              ;   in Loop: Header=BB258_678 Depth=1
	s_or_b32 exec_lo, exec_lo, s16
	v_lshlrev_b32_e32 v5, 24, v24
	s_delay_alu instid0(VALU_DEP_2) | instskip(SKIP_1) | instid1(VALU_DEP_3)
	v_lshlrev_b32_e32 v6, 20, v6
	v_lshl_add_u32 v4, v4, 23, 0x3c000000
	v_and_b32_e32 v5, 0x80000000, v5
	s_delay_alu instid0(VALU_DEP_1) | instskip(NEXT) | instid1(VALU_DEP_1)
	v_or3_b32 v6, v6, v5, v4
	v_dual_mov_b32 v4, v6 :: v_dual_mov_b32 v5, v7
.LBB258_889:                            ;   in Loop: Header=BB258_678 Depth=1
	s_or_b32 exec_lo, exec_lo, s15
.LBB258_890:                            ;   in Loop: Header=BB258_678 Depth=1
	s_delay_alu instid0(SALU_CYCLE_1)
	s_or_b32 exec_lo, exec_lo, s13
.LBB258_891:                            ;   in Loop: Header=BB258_678 Depth=1
	s_delay_alu instid0(SALU_CYCLE_1) | instskip(SKIP_2) | instid1(VALU_DEP_1)
	s_or_b32 exec_lo, exec_lo, s10
	v_lshrrev_b16 v6, 8, v24
	s_mov_b32 s13, exec_lo
	v_cmpx_ne_u16_e32 0, v6
	s_cbranch_execz .LBB258_899
; %bb.892:                              ;   in Loop: Header=BB258_678 Depth=1
	v_dual_mov_b32 v15, s9 :: v_dual_mov_b32 v14, s8
	s_mov_b32 s15, exec_lo
	v_cmpx_ne_u16_e32 0x80, v6
	s_cbranch_execz .LBB258_898
; %bb.893:                              ;   in Loop: Header=BB258_678 Depth=1
	s_mov_b32 s10, s8
	v_dual_mov_b32 v15, s11 :: v_dual_and_b32 v6, 0xffff, v6
	v_mov_b32_e32 v14, s10
	s_mov_b32 s10, exec_lo
	s_delay_alu instid0(VALU_DEP_2) | instskip(NEXT) | instid1(VALU_DEP_1)
	v_and_b32_e32 v16, 0x7f, v6
	v_cmpx_ne_u32_e32 0x7f, v16
	s_cbranch_execz .LBB258_897
; %bb.894:                              ;   in Loop: Header=BB258_678 Depth=1
	v_and_b32_e32 v6, 7, v6
	v_lshrrev_b32_e32 v14, 3, v16
	s_mov_b32 s16, exec_lo
	v_cmpx_gt_u32_e32 8, v16
; %bb.895:                              ;   in Loop: Header=BB258_678 Depth=1
	s_delay_alu instid0(VALU_DEP_3) | instskip(NEXT) | instid1(VALU_DEP_1)
	v_clz_i32_u32_e32 v14, v6
	v_min_u32_e32 v14, 32, v14
	s_delay_alu instid0(VALU_DEP_1) | instskip(SKIP_1) | instid1(VALU_DEP_2)
	v_subrev_nc_u32_e32 v15, 28, v14
	v_sub_nc_u32_e32 v14, 29, v14
	v_lshlrev_b64 v[15:16], v15, v[6:7]
	s_delay_alu instid0(VALU_DEP_1)
	v_and_b32_e32 v6, 7, v15
; %bb.896:                              ;   in Loop: Header=BB258_678 Depth=1
	s_or_b32 exec_lo, exec_lo, s16
	v_lshlrev_b32_e32 v15, 16, v24
	s_delay_alu instid0(VALU_DEP_2) | instskip(SKIP_1) | instid1(VALU_DEP_3)
	v_lshlrev_b32_e32 v6, 20, v6
	v_lshl_add_u32 v14, v14, 23, 0x3c000000
	v_and_b32_e32 v15, 0x80000000, v15
	s_delay_alu instid0(VALU_DEP_1)
	v_or3_b32 v15, v6, v15, v14
	v_mov_b32_e32 v14, v7
.LBB258_897:                            ;   in Loop: Header=BB258_678 Depth=1
	s_or_b32 exec_lo, exec_lo, s10
.LBB258_898:                            ;   in Loop: Header=BB258_678 Depth=1
	s_delay_alu instid0(SALU_CYCLE_1)
	s_or_b32 exec_lo, exec_lo, s15
.LBB258_899:                            ;   in Loop: Header=BB258_678 Depth=1
	s_delay_alu instid0(SALU_CYCLE_1) | instskip(SKIP_4) | instid1(VALU_DEP_2)
	s_or_b32 exec_lo, exec_lo, s13
	v_mov_b32_e32 v18, 0
	v_lshrrev_b32_e32 v128, 16, v24
	v_mov_b32_e32 v19, 0
	s_mov_b32 s10, exec_lo
	v_and_b32_e32 v6, 0xff, v128
	s_delay_alu instid0(VALU_DEP_2) | instskip(NEXT) | instid1(VALU_DEP_2)
	v_dual_mov_b32 v16, v18 :: v_dual_mov_b32 v17, v19
	v_cmpx_ne_u16_e32 0, v6
	s_cbranch_execz .LBB258_907
; %bb.900:                              ;   in Loop: Header=BB258_678 Depth=1
	v_bfrev_b32_e32 v16, 1
	v_mov_b32_e32 v17, 0
	s_mov_b32 s13, exec_lo
	v_cmpx_ne_u16_e32 0x80, v6
	s_cbranch_execz .LBB258_906
; %bb.901:                              ;   in Loop: Header=BB258_678 Depth=1
	v_mov_b32_e32 v16, 0x7f800001
	v_bfe_u32 v129, v24, 16, 7
	v_mov_b32_e32 v17, 0
	s_mov_b32 s15, exec_lo
	s_delay_alu instid0(VALU_DEP_2)
	v_cmpx_ne_u32_e32 0x7f, v129
	s_cbranch_execz .LBB258_905
; %bb.902:                              ;   in Loop: Header=BB258_678 Depth=1
	v_and_b32_e32 v6, 7, v128
	v_lshrrev_b32_e32 v16, 3, v129
	s_mov_b32 s16, exec_lo
	v_cmpx_gt_u32_e32 8, v129
; %bb.903:                              ;   in Loop: Header=BB258_678 Depth=1
	s_delay_alu instid0(VALU_DEP_3) | instskip(NEXT) | instid1(VALU_DEP_1)
	v_clz_i32_u32_e32 v16, v6
	v_min_u32_e32 v16, 32, v16
	s_delay_alu instid0(VALU_DEP_1) | instskip(SKIP_1) | instid1(VALU_DEP_2)
	v_subrev_nc_u32_e32 v17, 28, v16
	v_sub_nc_u32_e32 v16, 29, v16
	v_lshlrev_b64 v[129:130], v17, v[6:7]
	s_delay_alu instid0(VALU_DEP_1)
	v_and_b32_e32 v6, 7, v129
; %bb.904:                              ;   in Loop: Header=BB258_678 Depth=1
	s_or_b32 exec_lo, exec_lo, s16
	v_lshlrev_b32_e32 v17, 24, v128
	s_delay_alu instid0(VALU_DEP_2) | instskip(SKIP_1) | instid1(VALU_DEP_3)
	v_lshlrev_b32_e32 v6, 20, v6
	v_lshl_add_u32 v16, v16, 23, 0x3c000000
	v_and_b32_e32 v17, 0x80000000, v17
	s_delay_alu instid0(VALU_DEP_1) | instskip(NEXT) | instid1(VALU_DEP_1)
	v_or3_b32 v6, v6, v17, v16
	v_dual_mov_b32 v17, v7 :: v_dual_mov_b32 v16, v6
.LBB258_905:                            ;   in Loop: Header=BB258_678 Depth=1
	s_or_b32 exec_lo, exec_lo, s15
.LBB258_906:                            ;   in Loop: Header=BB258_678 Depth=1
	s_delay_alu instid0(SALU_CYCLE_1)
	s_or_b32 exec_lo, exec_lo, s13
.LBB258_907:                            ;   in Loop: Header=BB258_678 Depth=1
	s_delay_alu instid0(SALU_CYCLE_1) | instskip(NEXT) | instid1(SALU_CYCLE_1)
	s_or_b32 exec_lo, exec_lo, s10
	s_mov_b32 s13, exec_lo
	v_cmpx_lt_u32_e32 0xffffff, v24
	s_cbranch_execz .LBB258_915
; %bb.908:                              ;   in Loop: Header=BB258_678 Depth=1
	v_lshrrev_b32_e32 v128, 24, v24
	v_dual_mov_b32 v19, s9 :: v_dual_mov_b32 v18, s8
	s_mov_b32 s15, exec_lo
	s_delay_alu instid0(VALU_DEP_2)
	v_cmpx_ne_u32_e32 0x80, v128
	s_cbranch_execz .LBB258_914
; %bb.909:                              ;   in Loop: Header=BB258_678 Depth=1
	s_mov_b32 s10, s8
	v_bfe_u32 v24, v24, 24, 7
	v_dual_mov_b32 v19, s11 :: v_dual_mov_b32 v18, s10
	s_mov_b32 s10, exec_lo
	s_delay_alu instid0(VALU_DEP_2)
	v_cmpx_ne_u32_e32 0x7f, v24
	s_cbranch_execz .LBB258_913
; %bb.910:                              ;   in Loop: Header=BB258_678 Depth=1
	v_and_b32_e32 v6, 7, v128
	v_lshrrev_b32_e32 v18, 3, v24
	s_mov_b32 s16, exec_lo
	v_cmpx_gt_u32_e32 8, v24
; %bb.911:                              ;   in Loop: Header=BB258_678 Depth=1
	s_delay_alu instid0(VALU_DEP_3) | instskip(NEXT) | instid1(VALU_DEP_1)
	v_clz_i32_u32_e32 v18, v6
	v_min_u32_e32 v18, 32, v18
	s_delay_alu instid0(VALU_DEP_1) | instskip(SKIP_1) | instid1(VALU_DEP_2)
	v_subrev_nc_u32_e32 v19, 28, v18
	v_sub_nc_u32_e32 v18, 29, v18
	v_lshlrev_b64 v[129:130], v19, v[6:7]
	s_delay_alu instid0(VALU_DEP_1)
	v_and_b32_e32 v6, 7, v129
; %bb.912:                              ;   in Loop: Header=BB258_678 Depth=1
	s_or_b32 exec_lo, exec_lo, s16
	v_lshlrev_b32_e32 v19, 24, v128
	s_delay_alu instid0(VALU_DEP_2) | instskip(SKIP_1) | instid1(VALU_DEP_3)
	v_lshlrev_b32_e32 v6, 20, v6
	v_lshl_add_u32 v18, v18, 23, 0x3c000000
	v_and_b32_e32 v19, 0x80000000, v19
	s_delay_alu instid0(VALU_DEP_1)
	v_or3_b32 v19, v6, v19, v18
	v_mov_b32_e32 v18, v7
.LBB258_913:                            ;   in Loop: Header=BB258_678 Depth=1
	s_or_b32 exec_lo, exec_lo, s10
.LBB258_914:                            ;   in Loop: Header=BB258_678 Depth=1
	s_delay_alu instid0(SALU_CYCLE_1)
	s_or_b32 exec_lo, exec_lo, s15
.LBB258_915:                            ;   in Loop: Header=BB258_678 Depth=1
	s_delay_alu instid0(SALU_CYCLE_1) | instskip(SKIP_4) | instid1(VALU_DEP_4)
	s_or_b32 exec_lo, exec_lo, s13
	v_or_b32_e32 v5, v15, v5
	v_or_b32_e32 v4, v14, v4
	v_or_b32_e32 v6, v19, v17
	v_or_b32_e32 v14, v18, v16
	v_mul_f32_e32 v131, v67, v5
	s_delay_alu instid0(VALU_DEP_4) | instskip(NEXT) | instid1(VALU_DEP_4)
	v_mul_f32_e32 v130, v67, v4
	v_mul_f32_e32 v128, v67, v6
	s_delay_alu instid0(VALU_DEP_4)
	v_mul_f32_e32 v129, v67, v14
	s_and_saveexec_b32 s10, vcc_lo
; %bb.916:                              ;   in Loop: Header=BB258_678 Depth=1
	v_cmp_lt_i32_e64 s0, v80, v135
	s_delay_alu instid0(VALU_DEP_1) | instskip(SKIP_1) | instid1(VALU_DEP_1)
	v_cndmask_b32_e64 v130, 0, v130, s0
	v_cmp_lt_i32_e64 s0, v83, v135
	v_cndmask_b32_e64 v131, 0, v131, s0
	v_cmp_lt_i32_e64 s0, v82, v135
	s_delay_alu instid0(VALU_DEP_1) | instskip(SKIP_1) | instid1(VALU_DEP_1)
	v_cndmask_b32_e64 v129, 0, v129, s0
	v_cmp_lt_i32_e64 s0, v81, v135
	v_cndmask_b32_e64 v128, 0, v128, s0
; %bb.917:                              ;   in Loop: Header=BB258_678 Depth=1
	s_or_b32 exec_lo, exec_lo, s10
	flat_load_b32 v24, v[12:13] offset:896
	v_mov_b32_e32 v14, 0
	v_mov_b32_e32 v15, 0
	s_mov_b32 s10, exec_lo
	s_waitcnt vmcnt(0) lgkmcnt(0)
	v_and_b32_e32 v6, 0xff, v24
	s_delay_alu instid0(VALU_DEP_2) | instskip(NEXT) | instid1(VALU_DEP_2)
	v_dual_mov_b32 v4, v14 :: v_dual_mov_b32 v5, v15
	v_cmpx_ne_u16_e32 0, v6
	s_cbranch_execz .LBB258_925
; %bb.918:                              ;   in Loop: Header=BB258_678 Depth=1
	v_bfrev_b32_e32 v4, 1
	v_mov_b32_e32 v5, 0
	s_mov_b32 s13, exec_lo
	v_cmpx_ne_u16_e32 0x80, v6
	s_cbranch_execz .LBB258_924
; %bb.919:                              ;   in Loop: Header=BB258_678 Depth=1
	v_mov_b32_e32 v4, 0x7f800001
	v_dual_mov_b32 v5, 0 :: v_dual_and_b32 v16, 0x7f, v24
	s_mov_b32 s15, exec_lo
	s_delay_alu instid0(VALU_DEP_1)
	v_cmpx_ne_u32_e32 0x7f, v16
	s_cbranch_execz .LBB258_923
; %bb.920:                              ;   in Loop: Header=BB258_678 Depth=1
	v_and_b32_e32 v6, 7, v24
	v_lshrrev_b32_e32 v4, 3, v16
	s_mov_b32 s16, exec_lo
	v_cmpx_gt_u32_e32 8, v16
; %bb.921:                              ;   in Loop: Header=BB258_678 Depth=1
	s_delay_alu instid0(VALU_DEP_3) | instskip(NEXT) | instid1(VALU_DEP_1)
	v_clz_i32_u32_e32 v4, v6
	v_min_u32_e32 v4, 32, v4
	s_delay_alu instid0(VALU_DEP_1) | instskip(SKIP_1) | instid1(VALU_DEP_2)
	v_subrev_nc_u32_e32 v5, 28, v4
	v_sub_nc_u32_e32 v4, 29, v4
	v_lshlrev_b64 v[5:6], v5, v[6:7]
	s_delay_alu instid0(VALU_DEP_1)
	v_and_b32_e32 v6, 7, v5
; %bb.922:                              ;   in Loop: Header=BB258_678 Depth=1
	s_or_b32 exec_lo, exec_lo, s16
	v_lshlrev_b32_e32 v5, 24, v24
	s_delay_alu instid0(VALU_DEP_2) | instskip(SKIP_1) | instid1(VALU_DEP_3)
	v_lshlrev_b32_e32 v6, 20, v6
	v_lshl_add_u32 v4, v4, 23, 0x3c000000
	v_and_b32_e32 v5, 0x80000000, v5
	s_delay_alu instid0(VALU_DEP_1) | instskip(NEXT) | instid1(VALU_DEP_1)
	v_or3_b32 v6, v6, v5, v4
	v_dual_mov_b32 v4, v6 :: v_dual_mov_b32 v5, v7
.LBB258_923:                            ;   in Loop: Header=BB258_678 Depth=1
	s_or_b32 exec_lo, exec_lo, s15
.LBB258_924:                            ;   in Loop: Header=BB258_678 Depth=1
	s_delay_alu instid0(SALU_CYCLE_1)
	s_or_b32 exec_lo, exec_lo, s13
.LBB258_925:                            ;   in Loop: Header=BB258_678 Depth=1
	s_delay_alu instid0(SALU_CYCLE_1) | instskip(SKIP_2) | instid1(VALU_DEP_1)
	s_or_b32 exec_lo, exec_lo, s10
	v_lshrrev_b16 v6, 8, v24
	s_mov_b32 s13, exec_lo
	v_cmpx_ne_u16_e32 0, v6
	s_cbranch_execz .LBB258_933
; %bb.926:                              ;   in Loop: Header=BB258_678 Depth=1
	v_dual_mov_b32 v15, s9 :: v_dual_mov_b32 v14, s8
	s_mov_b32 s15, exec_lo
	v_cmpx_ne_u16_e32 0x80, v6
	s_cbranch_execz .LBB258_932
; %bb.927:                              ;   in Loop: Header=BB258_678 Depth=1
	s_mov_b32 s10, s8
	v_dual_mov_b32 v15, s11 :: v_dual_and_b32 v6, 0xffff, v6
	v_mov_b32_e32 v14, s10
	s_mov_b32 s10, exec_lo
	s_delay_alu instid0(VALU_DEP_2) | instskip(NEXT) | instid1(VALU_DEP_1)
	v_and_b32_e32 v16, 0x7f, v6
	v_cmpx_ne_u32_e32 0x7f, v16
	s_cbranch_execz .LBB258_931
; %bb.928:                              ;   in Loop: Header=BB258_678 Depth=1
	v_and_b32_e32 v6, 7, v6
	v_lshrrev_b32_e32 v14, 3, v16
	s_mov_b32 s16, exec_lo
	v_cmpx_gt_u32_e32 8, v16
; %bb.929:                              ;   in Loop: Header=BB258_678 Depth=1
	s_delay_alu instid0(VALU_DEP_3) | instskip(NEXT) | instid1(VALU_DEP_1)
	v_clz_i32_u32_e32 v14, v6
	v_min_u32_e32 v14, 32, v14
	s_delay_alu instid0(VALU_DEP_1) | instskip(SKIP_1) | instid1(VALU_DEP_2)
	v_subrev_nc_u32_e32 v15, 28, v14
	v_sub_nc_u32_e32 v14, 29, v14
	v_lshlrev_b64 v[15:16], v15, v[6:7]
	s_delay_alu instid0(VALU_DEP_1)
	v_and_b32_e32 v6, 7, v15
; %bb.930:                              ;   in Loop: Header=BB258_678 Depth=1
	s_or_b32 exec_lo, exec_lo, s16
	v_lshlrev_b32_e32 v15, 16, v24
	s_delay_alu instid0(VALU_DEP_2) | instskip(SKIP_1) | instid1(VALU_DEP_3)
	v_lshlrev_b32_e32 v6, 20, v6
	v_lshl_add_u32 v14, v14, 23, 0x3c000000
	v_and_b32_e32 v15, 0x80000000, v15
	s_delay_alu instid0(VALU_DEP_1)
	v_or3_b32 v15, v6, v15, v14
	v_mov_b32_e32 v14, v7
.LBB258_931:                            ;   in Loop: Header=BB258_678 Depth=1
	s_or_b32 exec_lo, exec_lo, s10
.LBB258_932:                            ;   in Loop: Header=BB258_678 Depth=1
	s_delay_alu instid0(SALU_CYCLE_1)
	s_or_b32 exec_lo, exec_lo, s15
.LBB258_933:                            ;   in Loop: Header=BB258_678 Depth=1
	s_delay_alu instid0(SALU_CYCLE_1) | instskip(SKIP_4) | instid1(VALU_DEP_2)
	s_or_b32 exec_lo, exec_lo, s13
	v_mov_b32_e32 v18, 0
	v_lshrrev_b32_e32 v132, 16, v24
	v_mov_b32_e32 v19, 0
	s_mov_b32 s10, exec_lo
	v_and_b32_e32 v6, 0xff, v132
	s_delay_alu instid0(VALU_DEP_2) | instskip(NEXT) | instid1(VALU_DEP_2)
	v_dual_mov_b32 v16, v18 :: v_dual_mov_b32 v17, v19
	v_cmpx_ne_u16_e32 0, v6
	s_cbranch_execz .LBB258_941
; %bb.934:                              ;   in Loop: Header=BB258_678 Depth=1
	v_bfrev_b32_e32 v16, 1
	v_mov_b32_e32 v17, 0
	s_mov_b32 s13, exec_lo
	v_cmpx_ne_u16_e32 0x80, v6
	s_cbranch_execz .LBB258_940
; %bb.935:                              ;   in Loop: Header=BB258_678 Depth=1
	v_mov_b32_e32 v16, 0x7f800001
	v_bfe_u32 v133, v24, 16, 7
	v_mov_b32_e32 v17, 0
	s_mov_b32 s15, exec_lo
	s_delay_alu instid0(VALU_DEP_2)
	v_cmpx_ne_u32_e32 0x7f, v133
	s_cbranch_execz .LBB258_939
; %bb.936:                              ;   in Loop: Header=BB258_678 Depth=1
	v_and_b32_e32 v6, 7, v132
	v_lshrrev_b32_e32 v16, 3, v133
	s_mov_b32 s16, exec_lo
	v_cmpx_gt_u32_e32 8, v133
; %bb.937:                              ;   in Loop: Header=BB258_678 Depth=1
	s_delay_alu instid0(VALU_DEP_3) | instskip(NEXT) | instid1(VALU_DEP_1)
	v_clz_i32_u32_e32 v16, v6
	v_min_u32_e32 v16, 32, v16
	s_delay_alu instid0(VALU_DEP_1) | instskip(SKIP_1) | instid1(VALU_DEP_2)
	v_subrev_nc_u32_e32 v17, 28, v16
	v_sub_nc_u32_e32 v16, 29, v16
	v_lshlrev_b64 v[133:134], v17, v[6:7]
	s_delay_alu instid0(VALU_DEP_1)
	v_and_b32_e32 v6, 7, v133
; %bb.938:                              ;   in Loop: Header=BB258_678 Depth=1
	s_or_b32 exec_lo, exec_lo, s16
	v_lshlrev_b32_e32 v17, 24, v132
	s_delay_alu instid0(VALU_DEP_2) | instskip(SKIP_1) | instid1(VALU_DEP_3)
	v_lshlrev_b32_e32 v6, 20, v6
	v_lshl_add_u32 v16, v16, 23, 0x3c000000
	v_and_b32_e32 v17, 0x80000000, v17
	s_delay_alu instid0(VALU_DEP_1) | instskip(NEXT) | instid1(VALU_DEP_1)
	v_or3_b32 v6, v6, v17, v16
	v_dual_mov_b32 v17, v7 :: v_dual_mov_b32 v16, v6
.LBB258_939:                            ;   in Loop: Header=BB258_678 Depth=1
	s_or_b32 exec_lo, exec_lo, s15
.LBB258_940:                            ;   in Loop: Header=BB258_678 Depth=1
	s_delay_alu instid0(SALU_CYCLE_1)
	s_or_b32 exec_lo, exec_lo, s13
.LBB258_941:                            ;   in Loop: Header=BB258_678 Depth=1
	s_delay_alu instid0(SALU_CYCLE_1) | instskip(NEXT) | instid1(SALU_CYCLE_1)
	s_or_b32 exec_lo, exec_lo, s10
	s_mov_b32 s13, exec_lo
	v_cmpx_lt_u32_e32 0xffffff, v24
	s_cbranch_execz .LBB258_949
; %bb.942:                              ;   in Loop: Header=BB258_678 Depth=1
	v_lshrrev_b32_e32 v132, 24, v24
	v_dual_mov_b32 v19, s9 :: v_dual_mov_b32 v18, s8
	s_mov_b32 s15, exec_lo
	s_delay_alu instid0(VALU_DEP_2)
	v_cmpx_ne_u32_e32 0x80, v132
	s_cbranch_execz .LBB258_948
; %bb.943:                              ;   in Loop: Header=BB258_678 Depth=1
	s_mov_b32 s10, s8
	v_bfe_u32 v24, v24, 24, 7
	v_dual_mov_b32 v19, s11 :: v_dual_mov_b32 v18, s10
	s_mov_b32 s10, exec_lo
	s_delay_alu instid0(VALU_DEP_2)
	v_cmpx_ne_u32_e32 0x7f, v24
	s_cbranch_execz .LBB258_947
; %bb.944:                              ;   in Loop: Header=BB258_678 Depth=1
	v_and_b32_e32 v6, 7, v132
	v_lshrrev_b32_e32 v18, 3, v24
	s_mov_b32 s16, exec_lo
	v_cmpx_gt_u32_e32 8, v24
; %bb.945:                              ;   in Loop: Header=BB258_678 Depth=1
	s_delay_alu instid0(VALU_DEP_3) | instskip(NEXT) | instid1(VALU_DEP_1)
	v_clz_i32_u32_e32 v18, v6
	v_min_u32_e32 v18, 32, v18
	s_delay_alu instid0(VALU_DEP_1) | instskip(SKIP_1) | instid1(VALU_DEP_2)
	v_subrev_nc_u32_e32 v19, 28, v18
	v_sub_nc_u32_e32 v18, 29, v18
	v_lshlrev_b64 v[133:134], v19, v[6:7]
	s_delay_alu instid0(VALU_DEP_1)
	v_and_b32_e32 v6, 7, v133
; %bb.946:                              ;   in Loop: Header=BB258_678 Depth=1
	s_or_b32 exec_lo, exec_lo, s16
	v_lshlrev_b32_e32 v19, 24, v132
	s_delay_alu instid0(VALU_DEP_2) | instskip(SKIP_1) | instid1(VALU_DEP_3)
	v_lshlrev_b32_e32 v6, 20, v6
	v_lshl_add_u32 v18, v18, 23, 0x3c000000
	v_and_b32_e32 v19, 0x80000000, v19
	s_delay_alu instid0(VALU_DEP_1)
	v_or3_b32 v19, v6, v19, v18
	v_mov_b32_e32 v18, v7
.LBB258_947:                            ;   in Loop: Header=BB258_678 Depth=1
	s_or_b32 exec_lo, exec_lo, s10
.LBB258_948:                            ;   in Loop: Header=BB258_678 Depth=1
	s_delay_alu instid0(SALU_CYCLE_1)
	s_or_b32 exec_lo, exec_lo, s15
.LBB258_949:                            ;   in Loop: Header=BB258_678 Depth=1
	s_delay_alu instid0(SALU_CYCLE_1) | instskip(SKIP_4) | instid1(VALU_DEP_4)
	s_or_b32 exec_lo, exec_lo, s13
	v_or_b32_e32 v5, v15, v5
	v_or_b32_e32 v4, v14, v4
	;; [unrolled: 1-line block ×4, first 2 shown]
	v_mul_f32_e32 v145, v67, v5
	s_delay_alu instid0(VALU_DEP_4) | instskip(NEXT) | instid1(VALU_DEP_4)
	v_mul_f32_e32 v144, v67, v4
	v_mul_f32_e32 v132, v67, v6
	s_delay_alu instid0(VALU_DEP_4)
	v_mul_f32_e32 v133, v67, v14
	s_and_saveexec_b32 s10, vcc_lo
; %bb.950:                              ;   in Loop: Header=BB258_678 Depth=1
	v_cmp_lt_i32_e64 s0, v80, v135
	s_delay_alu instid0(VALU_DEP_1) | instskip(SKIP_1) | instid1(VALU_DEP_1)
	v_cndmask_b32_e64 v144, 0, v144, s0
	v_cmp_lt_i32_e64 s0, v83, v135
	v_cndmask_b32_e64 v145, 0, v145, s0
	v_cmp_lt_i32_e64 s0, v82, v135
	s_delay_alu instid0(VALU_DEP_1) | instskip(SKIP_1) | instid1(VALU_DEP_1)
	v_cndmask_b32_e64 v133, 0, v133, s0
	v_cmp_lt_i32_e64 s0, v81, v135
	v_cndmask_b32_e64 v132, 0, v132, s0
; %bb.951:                              ;   in Loop: Header=BB258_678 Depth=1
	s_or_b32 exec_lo, exec_lo, s10
	flat_load_b32 v24, v[12:13] offset:1024
	v_mov_b32_e32 v14, 0
	v_mov_b32_e32 v15, 0
	s_mov_b32 s10, exec_lo
	s_waitcnt vmcnt(0) lgkmcnt(0)
	v_and_b32_e32 v6, 0xff, v24
	s_delay_alu instid0(VALU_DEP_2) | instskip(NEXT) | instid1(VALU_DEP_2)
	v_dual_mov_b32 v4, v14 :: v_dual_mov_b32 v5, v15
	v_cmpx_ne_u16_e32 0, v6
	s_cbranch_execz .LBB258_959
; %bb.952:                              ;   in Loop: Header=BB258_678 Depth=1
	v_bfrev_b32_e32 v4, 1
	v_mov_b32_e32 v5, 0
	s_mov_b32 s13, exec_lo
	v_cmpx_ne_u16_e32 0x80, v6
	s_cbranch_execz .LBB258_958
; %bb.953:                              ;   in Loop: Header=BB258_678 Depth=1
	v_mov_b32_e32 v4, 0x7f800001
	v_dual_mov_b32 v5, 0 :: v_dual_and_b32 v16, 0x7f, v24
	s_mov_b32 s15, exec_lo
	s_delay_alu instid0(VALU_DEP_1)
	v_cmpx_ne_u32_e32 0x7f, v16
	s_cbranch_execz .LBB258_957
; %bb.954:                              ;   in Loop: Header=BB258_678 Depth=1
	v_and_b32_e32 v6, 7, v24
	v_lshrrev_b32_e32 v4, 3, v16
	s_mov_b32 s16, exec_lo
	v_cmpx_gt_u32_e32 8, v16
; %bb.955:                              ;   in Loop: Header=BB258_678 Depth=1
	s_delay_alu instid0(VALU_DEP_3) | instskip(NEXT) | instid1(VALU_DEP_1)
	v_clz_i32_u32_e32 v4, v6
	v_min_u32_e32 v4, 32, v4
	s_delay_alu instid0(VALU_DEP_1) | instskip(SKIP_1) | instid1(VALU_DEP_2)
	v_subrev_nc_u32_e32 v5, 28, v4
	v_sub_nc_u32_e32 v4, 29, v4
	v_lshlrev_b64 v[5:6], v5, v[6:7]
	s_delay_alu instid0(VALU_DEP_1)
	v_and_b32_e32 v6, 7, v5
; %bb.956:                              ;   in Loop: Header=BB258_678 Depth=1
	s_or_b32 exec_lo, exec_lo, s16
	v_lshlrev_b32_e32 v5, 24, v24
	s_delay_alu instid0(VALU_DEP_2) | instskip(SKIP_1) | instid1(VALU_DEP_3)
	v_lshlrev_b32_e32 v6, 20, v6
	v_lshl_add_u32 v4, v4, 23, 0x3c000000
	v_and_b32_e32 v5, 0x80000000, v5
	s_delay_alu instid0(VALU_DEP_1) | instskip(NEXT) | instid1(VALU_DEP_1)
	v_or3_b32 v6, v6, v5, v4
	v_dual_mov_b32 v4, v6 :: v_dual_mov_b32 v5, v7
.LBB258_957:                            ;   in Loop: Header=BB258_678 Depth=1
	s_or_b32 exec_lo, exec_lo, s15
.LBB258_958:                            ;   in Loop: Header=BB258_678 Depth=1
	s_delay_alu instid0(SALU_CYCLE_1)
	s_or_b32 exec_lo, exec_lo, s13
.LBB258_959:                            ;   in Loop: Header=BB258_678 Depth=1
	s_delay_alu instid0(SALU_CYCLE_1) | instskip(SKIP_2) | instid1(VALU_DEP_1)
	s_or_b32 exec_lo, exec_lo, s10
	v_lshrrev_b16 v6, 8, v24
	s_mov_b32 s13, exec_lo
	v_cmpx_ne_u16_e32 0, v6
	s_cbranch_execz .LBB258_967
; %bb.960:                              ;   in Loop: Header=BB258_678 Depth=1
	v_dual_mov_b32 v15, s9 :: v_dual_mov_b32 v14, s8
	s_mov_b32 s15, exec_lo
	v_cmpx_ne_u16_e32 0x80, v6
	s_cbranch_execz .LBB258_966
; %bb.961:                              ;   in Loop: Header=BB258_678 Depth=1
	s_mov_b32 s10, s8
	v_dual_mov_b32 v15, s11 :: v_dual_and_b32 v6, 0xffff, v6
	v_mov_b32_e32 v14, s10
	s_mov_b32 s10, exec_lo
	s_delay_alu instid0(VALU_DEP_2) | instskip(NEXT) | instid1(VALU_DEP_1)
	v_and_b32_e32 v16, 0x7f, v6
	v_cmpx_ne_u32_e32 0x7f, v16
	s_cbranch_execz .LBB258_965
; %bb.962:                              ;   in Loop: Header=BB258_678 Depth=1
	v_and_b32_e32 v6, 7, v6
	v_lshrrev_b32_e32 v14, 3, v16
	s_mov_b32 s16, exec_lo
	v_cmpx_gt_u32_e32 8, v16
; %bb.963:                              ;   in Loop: Header=BB258_678 Depth=1
	s_delay_alu instid0(VALU_DEP_3) | instskip(NEXT) | instid1(VALU_DEP_1)
	v_clz_i32_u32_e32 v14, v6
	v_min_u32_e32 v14, 32, v14
	s_delay_alu instid0(VALU_DEP_1) | instskip(SKIP_1) | instid1(VALU_DEP_2)
	v_subrev_nc_u32_e32 v15, 28, v14
	v_sub_nc_u32_e32 v14, 29, v14
	v_lshlrev_b64 v[15:16], v15, v[6:7]
	s_delay_alu instid0(VALU_DEP_1)
	v_and_b32_e32 v6, 7, v15
; %bb.964:                              ;   in Loop: Header=BB258_678 Depth=1
	s_or_b32 exec_lo, exec_lo, s16
	v_lshlrev_b32_e32 v15, 16, v24
	s_delay_alu instid0(VALU_DEP_2) | instskip(SKIP_1) | instid1(VALU_DEP_3)
	v_lshlrev_b32_e32 v6, 20, v6
	v_lshl_add_u32 v14, v14, 23, 0x3c000000
	v_and_b32_e32 v15, 0x80000000, v15
	s_delay_alu instid0(VALU_DEP_1)
	v_or3_b32 v15, v6, v15, v14
	v_mov_b32_e32 v14, v7
.LBB258_965:                            ;   in Loop: Header=BB258_678 Depth=1
	s_or_b32 exec_lo, exec_lo, s10
.LBB258_966:                            ;   in Loop: Header=BB258_678 Depth=1
	s_delay_alu instid0(SALU_CYCLE_1)
	s_or_b32 exec_lo, exec_lo, s15
.LBB258_967:                            ;   in Loop: Header=BB258_678 Depth=1
	s_delay_alu instid0(SALU_CYCLE_1) | instskip(SKIP_4) | instid1(VALU_DEP_2)
	s_or_b32 exec_lo, exec_lo, s13
	v_mov_b32_e32 v18, 0
	v_lshrrev_b32_e32 v146, 16, v24
	v_mov_b32_e32 v19, 0
	s_mov_b32 s10, exec_lo
	v_and_b32_e32 v6, 0xff, v146
	s_delay_alu instid0(VALU_DEP_2) | instskip(NEXT) | instid1(VALU_DEP_2)
	v_dual_mov_b32 v16, v18 :: v_dual_mov_b32 v17, v19
	v_cmpx_ne_u16_e32 0, v6
	s_cbranch_execz .LBB258_975
; %bb.968:                              ;   in Loop: Header=BB258_678 Depth=1
	v_bfrev_b32_e32 v16, 1
	v_mov_b32_e32 v17, 0
	s_mov_b32 s13, exec_lo
	v_cmpx_ne_u16_e32 0x80, v6
	s_cbranch_execz .LBB258_974
; %bb.969:                              ;   in Loop: Header=BB258_678 Depth=1
	v_mov_b32_e32 v16, 0x7f800001
	v_bfe_u32 v134, v24, 16, 7
	v_mov_b32_e32 v17, 0
	s_mov_b32 s15, exec_lo
	s_delay_alu instid0(VALU_DEP_2)
	v_cmpx_ne_u32_e32 0x7f, v134
	s_cbranch_execz .LBB258_973
; %bb.970:                              ;   in Loop: Header=BB258_678 Depth=1
	v_and_b32_e32 v6, 7, v146
	v_lshrrev_b32_e32 v16, 3, v134
	s_mov_b32 s16, exec_lo
	v_cmpx_gt_u32_e32 8, v134
; %bb.971:                              ;   in Loop: Header=BB258_678 Depth=1
	s_delay_alu instid0(VALU_DEP_3) | instskip(NEXT) | instid1(VALU_DEP_1)
	v_clz_i32_u32_e32 v16, v6
	v_min_u32_e32 v16, 32, v16
	s_delay_alu instid0(VALU_DEP_1) | instskip(SKIP_1) | instid1(VALU_DEP_2)
	v_subrev_nc_u32_e32 v17, 28, v16
	v_sub_nc_u32_e32 v16, 29, v16
	v_lshlrev_b64 v[147:148], v17, v[6:7]
	s_delay_alu instid0(VALU_DEP_1)
	v_and_b32_e32 v6, 7, v147
; %bb.972:                              ;   in Loop: Header=BB258_678 Depth=1
	s_or_b32 exec_lo, exec_lo, s16
	v_lshlrev_b32_e32 v17, 24, v146
	s_delay_alu instid0(VALU_DEP_2) | instskip(SKIP_1) | instid1(VALU_DEP_3)
	v_lshlrev_b32_e32 v6, 20, v6
	v_lshl_add_u32 v16, v16, 23, 0x3c000000
	v_and_b32_e32 v17, 0x80000000, v17
	s_delay_alu instid0(VALU_DEP_1) | instskip(NEXT) | instid1(VALU_DEP_1)
	v_or3_b32 v6, v6, v17, v16
	v_dual_mov_b32 v17, v7 :: v_dual_mov_b32 v16, v6
.LBB258_973:                            ;   in Loop: Header=BB258_678 Depth=1
	s_or_b32 exec_lo, exec_lo, s15
.LBB258_974:                            ;   in Loop: Header=BB258_678 Depth=1
	s_delay_alu instid0(SALU_CYCLE_1)
	s_or_b32 exec_lo, exec_lo, s13
.LBB258_975:                            ;   in Loop: Header=BB258_678 Depth=1
	s_delay_alu instid0(SALU_CYCLE_1) | instskip(NEXT) | instid1(SALU_CYCLE_1)
	s_or_b32 exec_lo, exec_lo, s10
	s_mov_b32 s13, exec_lo
	v_cmpx_lt_u32_e32 0xffffff, v24
	s_cbranch_execz .LBB258_983
; %bb.976:                              ;   in Loop: Header=BB258_678 Depth=1
	v_lshrrev_b32_e32 v146, 24, v24
	v_dual_mov_b32 v19, s9 :: v_dual_mov_b32 v18, s8
	s_mov_b32 s15, exec_lo
	s_delay_alu instid0(VALU_DEP_2)
	v_cmpx_ne_u32_e32 0x80, v146
	s_cbranch_execz .LBB258_982
; %bb.977:                              ;   in Loop: Header=BB258_678 Depth=1
	s_mov_b32 s10, s8
	v_bfe_u32 v24, v24, 24, 7
	v_dual_mov_b32 v19, s11 :: v_dual_mov_b32 v18, s10
	s_mov_b32 s10, exec_lo
	s_delay_alu instid0(VALU_DEP_2)
	v_cmpx_ne_u32_e32 0x7f, v24
	s_cbranch_execz .LBB258_981
; %bb.978:                              ;   in Loop: Header=BB258_678 Depth=1
	v_and_b32_e32 v6, 7, v146
	v_lshrrev_b32_e32 v18, 3, v24
	s_mov_b32 s16, exec_lo
	v_cmpx_gt_u32_e32 8, v24
; %bb.979:                              ;   in Loop: Header=BB258_678 Depth=1
	s_delay_alu instid0(VALU_DEP_3) | instskip(NEXT) | instid1(VALU_DEP_1)
	v_clz_i32_u32_e32 v18, v6
	v_min_u32_e32 v18, 32, v18
	s_delay_alu instid0(VALU_DEP_1) | instskip(SKIP_1) | instid1(VALU_DEP_2)
	v_subrev_nc_u32_e32 v19, 28, v18
	v_sub_nc_u32_e32 v18, 29, v18
	v_lshlrev_b64 v[147:148], v19, v[6:7]
	s_delay_alu instid0(VALU_DEP_1)
	v_and_b32_e32 v6, 7, v147
; %bb.980:                              ;   in Loop: Header=BB258_678 Depth=1
	s_or_b32 exec_lo, exec_lo, s16
	v_lshlrev_b32_e32 v19, 24, v146
	s_delay_alu instid0(VALU_DEP_2) | instskip(SKIP_1) | instid1(VALU_DEP_3)
	v_lshlrev_b32_e32 v6, 20, v6
	v_lshl_add_u32 v18, v18, 23, 0x3c000000
	v_and_b32_e32 v19, 0x80000000, v19
	s_delay_alu instid0(VALU_DEP_1)
	v_or3_b32 v19, v6, v19, v18
	v_mov_b32_e32 v18, v7
.LBB258_981:                            ;   in Loop: Header=BB258_678 Depth=1
	s_or_b32 exec_lo, exec_lo, s10
.LBB258_982:                            ;   in Loop: Header=BB258_678 Depth=1
	s_delay_alu instid0(SALU_CYCLE_1)
	s_or_b32 exec_lo, exec_lo, s15
.LBB258_983:                            ;   in Loop: Header=BB258_678 Depth=1
	s_delay_alu instid0(SALU_CYCLE_1) | instskip(SKIP_4) | instid1(VALU_DEP_4)
	s_or_b32 exec_lo, exec_lo, s13
	v_or_b32_e32 v5, v15, v5
	v_or_b32_e32 v4, v14, v4
	;; [unrolled: 1-line block ×4, first 2 shown]
	v_mul_f32_e32 v149, v67, v5
	s_delay_alu instid0(VALU_DEP_4) | instskip(NEXT) | instid1(VALU_DEP_4)
	v_mul_f32_e32 v148, v67, v4
	v_mul_f32_e32 v146, v67, v6
	s_delay_alu instid0(VALU_DEP_4)
	v_mul_f32_e32 v147, v67, v14
	s_and_saveexec_b32 s10, vcc_lo
; %bb.984:                              ;   in Loop: Header=BB258_678 Depth=1
	v_cmp_lt_i32_e64 s0, v80, v135
	s_delay_alu instid0(VALU_DEP_1) | instskip(SKIP_1) | instid1(VALU_DEP_1)
	v_cndmask_b32_e64 v148, 0, v148, s0
	v_cmp_lt_i32_e64 s0, v83, v135
	v_cndmask_b32_e64 v149, 0, v149, s0
	v_cmp_lt_i32_e64 s0, v82, v135
	s_delay_alu instid0(VALU_DEP_1) | instskip(SKIP_1) | instid1(VALU_DEP_1)
	v_cndmask_b32_e64 v147, 0, v147, s0
	v_cmp_lt_i32_e64 s0, v81, v135
	v_cndmask_b32_e64 v146, 0, v146, s0
; %bb.985:                              ;   in Loop: Header=BB258_678 Depth=1
	s_or_b32 exec_lo, exec_lo, s10
	flat_load_b32 v24, v[12:13] offset:1152
	v_mov_b32_e32 v14, 0
	v_mov_b32_e32 v15, 0
	s_mov_b32 s10, exec_lo
	s_waitcnt vmcnt(0) lgkmcnt(0)
	v_and_b32_e32 v6, 0xff, v24
	s_delay_alu instid0(VALU_DEP_2) | instskip(NEXT) | instid1(VALU_DEP_2)
	v_dual_mov_b32 v4, v14 :: v_dual_mov_b32 v5, v15
	v_cmpx_ne_u16_e32 0, v6
	s_cbranch_execz .LBB258_993
; %bb.986:                              ;   in Loop: Header=BB258_678 Depth=1
	v_bfrev_b32_e32 v4, 1
	v_mov_b32_e32 v5, 0
	s_mov_b32 s13, exec_lo
	v_cmpx_ne_u16_e32 0x80, v6
	s_cbranch_execz .LBB258_992
; %bb.987:                              ;   in Loop: Header=BB258_678 Depth=1
	v_mov_b32_e32 v4, 0x7f800001
	v_dual_mov_b32 v5, 0 :: v_dual_and_b32 v16, 0x7f, v24
	s_mov_b32 s15, exec_lo
	s_delay_alu instid0(VALU_DEP_1)
	v_cmpx_ne_u32_e32 0x7f, v16
	s_cbranch_execz .LBB258_991
; %bb.988:                              ;   in Loop: Header=BB258_678 Depth=1
	v_and_b32_e32 v6, 7, v24
	v_lshrrev_b32_e32 v4, 3, v16
	s_mov_b32 s16, exec_lo
	v_cmpx_gt_u32_e32 8, v16
; %bb.989:                              ;   in Loop: Header=BB258_678 Depth=1
	s_delay_alu instid0(VALU_DEP_3) | instskip(NEXT) | instid1(VALU_DEP_1)
	v_clz_i32_u32_e32 v4, v6
	v_min_u32_e32 v4, 32, v4
	s_delay_alu instid0(VALU_DEP_1) | instskip(SKIP_1) | instid1(VALU_DEP_2)
	v_subrev_nc_u32_e32 v5, 28, v4
	v_sub_nc_u32_e32 v4, 29, v4
	v_lshlrev_b64 v[5:6], v5, v[6:7]
	s_delay_alu instid0(VALU_DEP_1)
	v_and_b32_e32 v6, 7, v5
; %bb.990:                              ;   in Loop: Header=BB258_678 Depth=1
	s_or_b32 exec_lo, exec_lo, s16
	v_lshlrev_b32_e32 v5, 24, v24
	s_delay_alu instid0(VALU_DEP_2) | instskip(SKIP_1) | instid1(VALU_DEP_3)
	v_lshlrev_b32_e32 v6, 20, v6
	v_lshl_add_u32 v4, v4, 23, 0x3c000000
	v_and_b32_e32 v5, 0x80000000, v5
	s_delay_alu instid0(VALU_DEP_1) | instskip(NEXT) | instid1(VALU_DEP_1)
	v_or3_b32 v6, v6, v5, v4
	v_dual_mov_b32 v4, v6 :: v_dual_mov_b32 v5, v7
.LBB258_991:                            ;   in Loop: Header=BB258_678 Depth=1
	s_or_b32 exec_lo, exec_lo, s15
.LBB258_992:                            ;   in Loop: Header=BB258_678 Depth=1
	s_delay_alu instid0(SALU_CYCLE_1)
	s_or_b32 exec_lo, exec_lo, s13
.LBB258_993:                            ;   in Loop: Header=BB258_678 Depth=1
	s_delay_alu instid0(SALU_CYCLE_1) | instskip(SKIP_2) | instid1(VALU_DEP_1)
	s_or_b32 exec_lo, exec_lo, s10
	v_lshrrev_b16 v6, 8, v24
	s_mov_b32 s13, exec_lo
	v_cmpx_ne_u16_e32 0, v6
	s_cbranch_execz .LBB258_1001
; %bb.994:                              ;   in Loop: Header=BB258_678 Depth=1
	v_dual_mov_b32 v15, s9 :: v_dual_mov_b32 v14, s8
	s_mov_b32 s15, exec_lo
	v_cmpx_ne_u16_e32 0x80, v6
	s_cbranch_execz .LBB258_1000
; %bb.995:                              ;   in Loop: Header=BB258_678 Depth=1
	s_mov_b32 s10, s8
	v_dual_mov_b32 v15, s11 :: v_dual_and_b32 v6, 0xffff, v6
	v_mov_b32_e32 v14, s10
	s_mov_b32 s10, exec_lo
	s_delay_alu instid0(VALU_DEP_2) | instskip(NEXT) | instid1(VALU_DEP_1)
	v_and_b32_e32 v16, 0x7f, v6
	v_cmpx_ne_u32_e32 0x7f, v16
	s_cbranch_execz .LBB258_999
; %bb.996:                              ;   in Loop: Header=BB258_678 Depth=1
	v_and_b32_e32 v6, 7, v6
	v_lshrrev_b32_e32 v14, 3, v16
	s_mov_b32 s16, exec_lo
	v_cmpx_gt_u32_e32 8, v16
; %bb.997:                              ;   in Loop: Header=BB258_678 Depth=1
	s_delay_alu instid0(VALU_DEP_3) | instskip(NEXT) | instid1(VALU_DEP_1)
	v_clz_i32_u32_e32 v14, v6
	v_min_u32_e32 v14, 32, v14
	s_delay_alu instid0(VALU_DEP_1) | instskip(SKIP_1) | instid1(VALU_DEP_2)
	v_subrev_nc_u32_e32 v15, 28, v14
	v_sub_nc_u32_e32 v14, 29, v14
	v_lshlrev_b64 v[15:16], v15, v[6:7]
	s_delay_alu instid0(VALU_DEP_1)
	v_and_b32_e32 v6, 7, v15
; %bb.998:                              ;   in Loop: Header=BB258_678 Depth=1
	s_or_b32 exec_lo, exec_lo, s16
	v_lshlrev_b32_e32 v15, 16, v24
	s_delay_alu instid0(VALU_DEP_2) | instskip(SKIP_1) | instid1(VALU_DEP_3)
	v_lshlrev_b32_e32 v6, 20, v6
	v_lshl_add_u32 v14, v14, 23, 0x3c000000
	v_and_b32_e32 v15, 0x80000000, v15
	s_delay_alu instid0(VALU_DEP_1)
	v_or3_b32 v15, v6, v15, v14
	v_mov_b32_e32 v14, v7
.LBB258_999:                            ;   in Loop: Header=BB258_678 Depth=1
	s_or_b32 exec_lo, exec_lo, s10
.LBB258_1000:                           ;   in Loop: Header=BB258_678 Depth=1
	s_delay_alu instid0(SALU_CYCLE_1)
	s_or_b32 exec_lo, exec_lo, s15
.LBB258_1001:                           ;   in Loop: Header=BB258_678 Depth=1
	s_delay_alu instid0(SALU_CYCLE_1) | instskip(SKIP_4) | instid1(VALU_DEP_2)
	s_or_b32 exec_lo, exec_lo, s13
	v_mov_b32_e32 v18, 0
	v_lshrrev_b32_e32 v150, 16, v24
	v_mov_b32_e32 v19, 0
	s_mov_b32 s10, exec_lo
	v_and_b32_e32 v6, 0xff, v150
	s_delay_alu instid0(VALU_DEP_2) | instskip(NEXT) | instid1(VALU_DEP_2)
	v_dual_mov_b32 v16, v18 :: v_dual_mov_b32 v17, v19
	v_cmpx_ne_u16_e32 0, v6
	s_cbranch_execz .LBB258_1009
; %bb.1002:                             ;   in Loop: Header=BB258_678 Depth=1
	v_bfrev_b32_e32 v16, 1
	v_mov_b32_e32 v17, 0
	s_mov_b32 s13, exec_lo
	v_cmpx_ne_u16_e32 0x80, v6
	s_cbranch_execz .LBB258_1008
; %bb.1003:                             ;   in Loop: Header=BB258_678 Depth=1
	v_mov_b32_e32 v16, 0x7f800001
	v_bfe_u32 v134, v24, 16, 7
	v_mov_b32_e32 v17, 0
	s_mov_b32 s15, exec_lo
	s_delay_alu instid0(VALU_DEP_2)
	v_cmpx_ne_u32_e32 0x7f, v134
	s_cbranch_execz .LBB258_1007
; %bb.1004:                             ;   in Loop: Header=BB258_678 Depth=1
	v_and_b32_e32 v6, 7, v150
	v_lshrrev_b32_e32 v16, 3, v134
	s_mov_b32 s16, exec_lo
	v_cmpx_gt_u32_e32 8, v134
; %bb.1005:                             ;   in Loop: Header=BB258_678 Depth=1
	s_delay_alu instid0(VALU_DEP_3) | instskip(NEXT) | instid1(VALU_DEP_1)
	v_clz_i32_u32_e32 v16, v6
	v_min_u32_e32 v16, 32, v16
	s_delay_alu instid0(VALU_DEP_1) | instskip(SKIP_1) | instid1(VALU_DEP_2)
	v_subrev_nc_u32_e32 v17, 28, v16
	v_sub_nc_u32_e32 v16, 29, v16
	v_lshlrev_b64 v[160:161], v17, v[6:7]
	s_delay_alu instid0(VALU_DEP_1)
	v_and_b32_e32 v6, 7, v160
; %bb.1006:                             ;   in Loop: Header=BB258_678 Depth=1
	s_or_b32 exec_lo, exec_lo, s16
	v_lshlrev_b32_e32 v17, 24, v150
	s_delay_alu instid0(VALU_DEP_2) | instskip(SKIP_1) | instid1(VALU_DEP_3)
	v_lshlrev_b32_e32 v6, 20, v6
	v_lshl_add_u32 v16, v16, 23, 0x3c000000
	v_and_b32_e32 v17, 0x80000000, v17
	s_delay_alu instid0(VALU_DEP_1) | instskip(NEXT) | instid1(VALU_DEP_1)
	v_or3_b32 v6, v6, v17, v16
	v_dual_mov_b32 v17, v7 :: v_dual_mov_b32 v16, v6
.LBB258_1007:                           ;   in Loop: Header=BB258_678 Depth=1
	s_or_b32 exec_lo, exec_lo, s15
.LBB258_1008:                           ;   in Loop: Header=BB258_678 Depth=1
	s_delay_alu instid0(SALU_CYCLE_1)
	s_or_b32 exec_lo, exec_lo, s13
.LBB258_1009:                           ;   in Loop: Header=BB258_678 Depth=1
	s_delay_alu instid0(SALU_CYCLE_1) | instskip(NEXT) | instid1(SALU_CYCLE_1)
	s_or_b32 exec_lo, exec_lo, s10
	s_mov_b32 s13, exec_lo
	v_cmpx_lt_u32_e32 0xffffff, v24
	s_cbranch_execz .LBB258_1017
; %bb.1010:                             ;   in Loop: Header=BB258_678 Depth=1
	v_lshrrev_b32_e32 v150, 24, v24
	v_dual_mov_b32 v19, s9 :: v_dual_mov_b32 v18, s8
	s_mov_b32 s15, exec_lo
	s_delay_alu instid0(VALU_DEP_2)
	v_cmpx_ne_u32_e32 0x80, v150
	s_cbranch_execz .LBB258_1016
; %bb.1011:                             ;   in Loop: Header=BB258_678 Depth=1
	s_mov_b32 s10, s8
	v_bfe_u32 v24, v24, 24, 7
	v_dual_mov_b32 v19, s11 :: v_dual_mov_b32 v18, s10
	s_mov_b32 s10, exec_lo
	s_delay_alu instid0(VALU_DEP_2)
	v_cmpx_ne_u32_e32 0x7f, v24
	s_cbranch_execz .LBB258_1015
; %bb.1012:                             ;   in Loop: Header=BB258_678 Depth=1
	v_and_b32_e32 v6, 7, v150
	v_lshrrev_b32_e32 v18, 3, v24
	s_mov_b32 s16, exec_lo
	v_cmpx_gt_u32_e32 8, v24
; %bb.1013:                             ;   in Loop: Header=BB258_678 Depth=1
	s_delay_alu instid0(VALU_DEP_3) | instskip(NEXT) | instid1(VALU_DEP_1)
	v_clz_i32_u32_e32 v18, v6
	v_min_u32_e32 v18, 32, v18
	s_delay_alu instid0(VALU_DEP_1) | instskip(SKIP_1) | instid1(VALU_DEP_2)
	v_subrev_nc_u32_e32 v19, 28, v18
	v_sub_nc_u32_e32 v18, 29, v18
	v_lshlrev_b64 v[160:161], v19, v[6:7]
	s_delay_alu instid0(VALU_DEP_1)
	v_and_b32_e32 v6, 7, v160
; %bb.1014:                             ;   in Loop: Header=BB258_678 Depth=1
	s_or_b32 exec_lo, exec_lo, s16
	v_lshlrev_b32_e32 v19, 24, v150
	s_delay_alu instid0(VALU_DEP_2) | instskip(SKIP_1) | instid1(VALU_DEP_3)
	v_lshlrev_b32_e32 v6, 20, v6
	v_lshl_add_u32 v18, v18, 23, 0x3c000000
	v_and_b32_e32 v19, 0x80000000, v19
	s_delay_alu instid0(VALU_DEP_1)
	v_or3_b32 v19, v6, v19, v18
	v_mov_b32_e32 v18, v7
.LBB258_1015:                           ;   in Loop: Header=BB258_678 Depth=1
	s_or_b32 exec_lo, exec_lo, s10
.LBB258_1016:                           ;   in Loop: Header=BB258_678 Depth=1
	s_delay_alu instid0(SALU_CYCLE_1)
	s_or_b32 exec_lo, exec_lo, s15
.LBB258_1017:                           ;   in Loop: Header=BB258_678 Depth=1
	s_delay_alu instid0(SALU_CYCLE_1) | instskip(SKIP_4) | instid1(VALU_DEP_4)
	s_or_b32 exec_lo, exec_lo, s13
	v_or_b32_e32 v5, v15, v5
	v_or_b32_e32 v4, v14, v4
	v_or_b32_e32 v6, v19, v17
	v_or_b32_e32 v14, v18, v16
	v_mul_f32_e32 v161, v67, v5
	s_delay_alu instid0(VALU_DEP_4) | instskip(NEXT) | instid1(VALU_DEP_4)
	v_mul_f32_e32 v160, v67, v4
	v_mul_f32_e32 v150, v67, v6
	s_delay_alu instid0(VALU_DEP_4)
	v_mul_f32_e32 v151, v67, v14
	s_and_saveexec_b32 s10, vcc_lo
; %bb.1018:                             ;   in Loop: Header=BB258_678 Depth=1
	v_cmp_lt_i32_e64 s0, v80, v135
	s_delay_alu instid0(VALU_DEP_1) | instskip(SKIP_1) | instid1(VALU_DEP_1)
	v_cndmask_b32_e64 v160, 0, v160, s0
	v_cmp_lt_i32_e64 s0, v83, v135
	v_cndmask_b32_e64 v161, 0, v161, s0
	v_cmp_lt_i32_e64 s0, v82, v135
	s_delay_alu instid0(VALU_DEP_1) | instskip(SKIP_1) | instid1(VALU_DEP_1)
	v_cndmask_b32_e64 v151, 0, v151, s0
	v_cmp_lt_i32_e64 s0, v81, v135
	v_cndmask_b32_e64 v150, 0, v150, s0
; %bb.1019:                             ;   in Loop: Header=BB258_678 Depth=1
	s_or_b32 exec_lo, exec_lo, s10
	flat_load_b32 v24, v[12:13] offset:1280
	v_mov_b32_e32 v14, 0
	v_mov_b32_e32 v15, 0
	s_mov_b32 s10, exec_lo
	s_waitcnt vmcnt(0) lgkmcnt(0)
	v_and_b32_e32 v6, 0xff, v24
	s_delay_alu instid0(VALU_DEP_2) | instskip(NEXT) | instid1(VALU_DEP_2)
	v_dual_mov_b32 v4, v14 :: v_dual_mov_b32 v5, v15
	v_cmpx_ne_u16_e32 0, v6
	s_cbranch_execz .LBB258_1027
; %bb.1020:                             ;   in Loop: Header=BB258_678 Depth=1
	v_bfrev_b32_e32 v4, 1
	v_mov_b32_e32 v5, 0
	s_mov_b32 s13, exec_lo
	v_cmpx_ne_u16_e32 0x80, v6
	s_cbranch_execz .LBB258_1026
; %bb.1021:                             ;   in Loop: Header=BB258_678 Depth=1
	v_mov_b32_e32 v4, 0x7f800001
	v_dual_mov_b32 v5, 0 :: v_dual_and_b32 v16, 0x7f, v24
	s_mov_b32 s15, exec_lo
	s_delay_alu instid0(VALU_DEP_1)
	v_cmpx_ne_u32_e32 0x7f, v16
	s_cbranch_execz .LBB258_1025
; %bb.1022:                             ;   in Loop: Header=BB258_678 Depth=1
	v_and_b32_e32 v6, 7, v24
	v_lshrrev_b32_e32 v4, 3, v16
	s_mov_b32 s16, exec_lo
	v_cmpx_gt_u32_e32 8, v16
; %bb.1023:                             ;   in Loop: Header=BB258_678 Depth=1
	s_delay_alu instid0(VALU_DEP_3) | instskip(NEXT) | instid1(VALU_DEP_1)
	v_clz_i32_u32_e32 v4, v6
	v_min_u32_e32 v4, 32, v4
	s_delay_alu instid0(VALU_DEP_1) | instskip(SKIP_1) | instid1(VALU_DEP_2)
	v_subrev_nc_u32_e32 v5, 28, v4
	v_sub_nc_u32_e32 v4, 29, v4
	v_lshlrev_b64 v[5:6], v5, v[6:7]
	s_delay_alu instid0(VALU_DEP_1)
	v_and_b32_e32 v6, 7, v5
; %bb.1024:                             ;   in Loop: Header=BB258_678 Depth=1
	s_or_b32 exec_lo, exec_lo, s16
	v_lshlrev_b32_e32 v5, 24, v24
	s_delay_alu instid0(VALU_DEP_2) | instskip(SKIP_1) | instid1(VALU_DEP_3)
	v_lshlrev_b32_e32 v6, 20, v6
	v_lshl_add_u32 v4, v4, 23, 0x3c000000
	v_and_b32_e32 v5, 0x80000000, v5
	s_delay_alu instid0(VALU_DEP_1) | instskip(NEXT) | instid1(VALU_DEP_1)
	v_or3_b32 v6, v6, v5, v4
	v_dual_mov_b32 v4, v6 :: v_dual_mov_b32 v5, v7
.LBB258_1025:                           ;   in Loop: Header=BB258_678 Depth=1
	s_or_b32 exec_lo, exec_lo, s15
.LBB258_1026:                           ;   in Loop: Header=BB258_678 Depth=1
	s_delay_alu instid0(SALU_CYCLE_1)
	s_or_b32 exec_lo, exec_lo, s13
.LBB258_1027:                           ;   in Loop: Header=BB258_678 Depth=1
	s_delay_alu instid0(SALU_CYCLE_1) | instskip(SKIP_2) | instid1(VALU_DEP_1)
	s_or_b32 exec_lo, exec_lo, s10
	v_lshrrev_b16 v6, 8, v24
	s_mov_b32 s13, exec_lo
	v_cmpx_ne_u16_e32 0, v6
	s_cbranch_execz .LBB258_1035
; %bb.1028:                             ;   in Loop: Header=BB258_678 Depth=1
	v_dual_mov_b32 v15, s9 :: v_dual_mov_b32 v14, s8
	s_mov_b32 s15, exec_lo
	v_cmpx_ne_u16_e32 0x80, v6
	s_cbranch_execz .LBB258_1034
; %bb.1029:                             ;   in Loop: Header=BB258_678 Depth=1
	s_mov_b32 s10, s8
	v_dual_mov_b32 v15, s11 :: v_dual_and_b32 v6, 0xffff, v6
	v_mov_b32_e32 v14, s10
	s_mov_b32 s10, exec_lo
	s_delay_alu instid0(VALU_DEP_2) | instskip(NEXT) | instid1(VALU_DEP_1)
	v_and_b32_e32 v16, 0x7f, v6
	v_cmpx_ne_u32_e32 0x7f, v16
	s_cbranch_execz .LBB258_1033
; %bb.1030:                             ;   in Loop: Header=BB258_678 Depth=1
	v_and_b32_e32 v6, 7, v6
	v_lshrrev_b32_e32 v14, 3, v16
	s_mov_b32 s16, exec_lo
	v_cmpx_gt_u32_e32 8, v16
; %bb.1031:                             ;   in Loop: Header=BB258_678 Depth=1
	s_delay_alu instid0(VALU_DEP_3) | instskip(NEXT) | instid1(VALU_DEP_1)
	v_clz_i32_u32_e32 v14, v6
	v_min_u32_e32 v14, 32, v14
	s_delay_alu instid0(VALU_DEP_1) | instskip(SKIP_1) | instid1(VALU_DEP_2)
	v_subrev_nc_u32_e32 v15, 28, v14
	v_sub_nc_u32_e32 v14, 29, v14
	v_lshlrev_b64 v[15:16], v15, v[6:7]
	s_delay_alu instid0(VALU_DEP_1)
	v_and_b32_e32 v6, 7, v15
; %bb.1032:                             ;   in Loop: Header=BB258_678 Depth=1
	s_or_b32 exec_lo, exec_lo, s16
	v_lshlrev_b32_e32 v15, 16, v24
	s_delay_alu instid0(VALU_DEP_2) | instskip(SKIP_1) | instid1(VALU_DEP_3)
	v_lshlrev_b32_e32 v6, 20, v6
	v_lshl_add_u32 v14, v14, 23, 0x3c000000
	v_and_b32_e32 v15, 0x80000000, v15
	s_delay_alu instid0(VALU_DEP_1)
	v_or3_b32 v15, v6, v15, v14
	v_mov_b32_e32 v14, v7
.LBB258_1033:                           ;   in Loop: Header=BB258_678 Depth=1
	s_or_b32 exec_lo, exec_lo, s10
.LBB258_1034:                           ;   in Loop: Header=BB258_678 Depth=1
	s_delay_alu instid0(SALU_CYCLE_1)
	s_or_b32 exec_lo, exec_lo, s15
.LBB258_1035:                           ;   in Loop: Header=BB258_678 Depth=1
	s_delay_alu instid0(SALU_CYCLE_1) | instskip(SKIP_4) | instid1(VALU_DEP_2)
	s_or_b32 exec_lo, exec_lo, s13
	v_mov_b32_e32 v18, 0
	v_lshrrev_b32_e32 v162, 16, v24
	v_mov_b32_e32 v19, 0
	s_mov_b32 s10, exec_lo
	v_and_b32_e32 v6, 0xff, v162
	s_delay_alu instid0(VALU_DEP_2) | instskip(NEXT) | instid1(VALU_DEP_2)
	v_dual_mov_b32 v16, v18 :: v_dual_mov_b32 v17, v19
	v_cmpx_ne_u16_e32 0, v6
	s_cbranch_execz .LBB258_1043
; %bb.1036:                             ;   in Loop: Header=BB258_678 Depth=1
	v_bfrev_b32_e32 v16, 1
	v_mov_b32_e32 v17, 0
	s_mov_b32 s13, exec_lo
	v_cmpx_ne_u16_e32 0x80, v6
	s_cbranch_execz .LBB258_1042
; %bb.1037:                             ;   in Loop: Header=BB258_678 Depth=1
	v_mov_b32_e32 v16, 0x7f800001
	v_bfe_u32 v134, v24, 16, 7
	v_mov_b32_e32 v17, 0
	s_mov_b32 s15, exec_lo
	s_delay_alu instid0(VALU_DEP_2)
	v_cmpx_ne_u32_e32 0x7f, v134
	s_cbranch_execz .LBB258_1041
; %bb.1038:                             ;   in Loop: Header=BB258_678 Depth=1
	v_and_b32_e32 v6, 7, v162
	v_lshrrev_b32_e32 v16, 3, v134
	s_mov_b32 s16, exec_lo
	v_cmpx_gt_u32_e32 8, v134
; %bb.1039:                             ;   in Loop: Header=BB258_678 Depth=1
	s_delay_alu instid0(VALU_DEP_3) | instskip(NEXT) | instid1(VALU_DEP_1)
	v_clz_i32_u32_e32 v16, v6
	v_min_u32_e32 v16, 32, v16
	s_delay_alu instid0(VALU_DEP_1) | instskip(SKIP_1) | instid1(VALU_DEP_2)
	v_subrev_nc_u32_e32 v17, 28, v16
	v_sub_nc_u32_e32 v16, 29, v16
	v_lshlrev_b64 v[163:164], v17, v[6:7]
	s_delay_alu instid0(VALU_DEP_1)
	v_and_b32_e32 v6, 7, v163
; %bb.1040:                             ;   in Loop: Header=BB258_678 Depth=1
	s_or_b32 exec_lo, exec_lo, s16
	v_lshlrev_b32_e32 v17, 24, v162
	s_delay_alu instid0(VALU_DEP_2) | instskip(SKIP_1) | instid1(VALU_DEP_3)
	v_lshlrev_b32_e32 v6, 20, v6
	v_lshl_add_u32 v16, v16, 23, 0x3c000000
	v_and_b32_e32 v17, 0x80000000, v17
	s_delay_alu instid0(VALU_DEP_1) | instskip(NEXT) | instid1(VALU_DEP_1)
	v_or3_b32 v6, v6, v17, v16
	v_dual_mov_b32 v17, v7 :: v_dual_mov_b32 v16, v6
.LBB258_1041:                           ;   in Loop: Header=BB258_678 Depth=1
	s_or_b32 exec_lo, exec_lo, s15
.LBB258_1042:                           ;   in Loop: Header=BB258_678 Depth=1
	s_delay_alu instid0(SALU_CYCLE_1)
	s_or_b32 exec_lo, exec_lo, s13
.LBB258_1043:                           ;   in Loop: Header=BB258_678 Depth=1
	s_delay_alu instid0(SALU_CYCLE_1) | instskip(NEXT) | instid1(SALU_CYCLE_1)
	s_or_b32 exec_lo, exec_lo, s10
	s_mov_b32 s13, exec_lo
	v_cmpx_lt_u32_e32 0xffffff, v24
	s_cbranch_execz .LBB258_1051
; %bb.1044:                             ;   in Loop: Header=BB258_678 Depth=1
	v_lshrrev_b32_e32 v162, 24, v24
	v_dual_mov_b32 v19, s9 :: v_dual_mov_b32 v18, s8
	s_mov_b32 s15, exec_lo
	s_delay_alu instid0(VALU_DEP_2)
	v_cmpx_ne_u32_e32 0x80, v162
	s_cbranch_execz .LBB258_1050
; %bb.1045:                             ;   in Loop: Header=BB258_678 Depth=1
	s_mov_b32 s10, s8
	v_bfe_u32 v24, v24, 24, 7
	v_dual_mov_b32 v19, s11 :: v_dual_mov_b32 v18, s10
	s_mov_b32 s10, exec_lo
	s_delay_alu instid0(VALU_DEP_2)
	v_cmpx_ne_u32_e32 0x7f, v24
	s_cbranch_execz .LBB258_1049
; %bb.1046:                             ;   in Loop: Header=BB258_678 Depth=1
	v_and_b32_e32 v6, 7, v162
	v_lshrrev_b32_e32 v18, 3, v24
	s_mov_b32 s16, exec_lo
	v_cmpx_gt_u32_e32 8, v24
; %bb.1047:                             ;   in Loop: Header=BB258_678 Depth=1
	s_delay_alu instid0(VALU_DEP_3) | instskip(NEXT) | instid1(VALU_DEP_1)
	v_clz_i32_u32_e32 v18, v6
	v_min_u32_e32 v18, 32, v18
	s_delay_alu instid0(VALU_DEP_1) | instskip(SKIP_1) | instid1(VALU_DEP_2)
	v_subrev_nc_u32_e32 v19, 28, v18
	v_sub_nc_u32_e32 v18, 29, v18
	v_lshlrev_b64 v[163:164], v19, v[6:7]
	s_delay_alu instid0(VALU_DEP_1)
	v_and_b32_e32 v6, 7, v163
; %bb.1048:                             ;   in Loop: Header=BB258_678 Depth=1
	s_or_b32 exec_lo, exec_lo, s16
	v_lshlrev_b32_e32 v19, 24, v162
	s_delay_alu instid0(VALU_DEP_2) | instskip(SKIP_1) | instid1(VALU_DEP_3)
	v_lshlrev_b32_e32 v6, 20, v6
	v_lshl_add_u32 v18, v18, 23, 0x3c000000
	v_and_b32_e32 v19, 0x80000000, v19
	s_delay_alu instid0(VALU_DEP_1)
	v_or3_b32 v19, v6, v19, v18
	v_mov_b32_e32 v18, v7
.LBB258_1049:                           ;   in Loop: Header=BB258_678 Depth=1
	s_or_b32 exec_lo, exec_lo, s10
.LBB258_1050:                           ;   in Loop: Header=BB258_678 Depth=1
	s_delay_alu instid0(SALU_CYCLE_1)
	s_or_b32 exec_lo, exec_lo, s15
.LBB258_1051:                           ;   in Loop: Header=BB258_678 Depth=1
	s_delay_alu instid0(SALU_CYCLE_1) | instskip(SKIP_4) | instid1(VALU_DEP_4)
	s_or_b32 exec_lo, exec_lo, s13
	v_or_b32_e32 v5, v15, v5
	v_or_b32_e32 v4, v14, v4
	;; [unrolled: 1-line block ×4, first 2 shown]
	v_mul_f32_e32 v165, v67, v5
	s_delay_alu instid0(VALU_DEP_4) | instskip(NEXT) | instid1(VALU_DEP_4)
	v_mul_f32_e32 v164, v67, v4
	v_mul_f32_e32 v162, v67, v6
	s_delay_alu instid0(VALU_DEP_4)
	v_mul_f32_e32 v163, v67, v14
	s_and_saveexec_b32 s10, vcc_lo
; %bb.1052:                             ;   in Loop: Header=BB258_678 Depth=1
	v_cmp_lt_i32_e64 s0, v80, v135
	s_delay_alu instid0(VALU_DEP_1) | instskip(SKIP_1) | instid1(VALU_DEP_1)
	v_cndmask_b32_e64 v164, 0, v164, s0
	v_cmp_lt_i32_e64 s0, v83, v135
	v_cndmask_b32_e64 v165, 0, v165, s0
	v_cmp_lt_i32_e64 s0, v82, v135
	s_delay_alu instid0(VALU_DEP_1) | instskip(SKIP_1) | instid1(VALU_DEP_1)
	v_cndmask_b32_e64 v163, 0, v163, s0
	v_cmp_lt_i32_e64 s0, v81, v135
	v_cndmask_b32_e64 v162, 0, v162, s0
; %bb.1053:                             ;   in Loop: Header=BB258_678 Depth=1
	s_or_b32 exec_lo, exec_lo, s10
	flat_load_b32 v24, v[12:13] offset:1408
	v_mov_b32_e32 v14, 0
	v_mov_b32_e32 v15, 0
	s_mov_b32 s10, exec_lo
	s_waitcnt vmcnt(0) lgkmcnt(0)
	v_and_b32_e32 v6, 0xff, v24
	s_delay_alu instid0(VALU_DEP_2) | instskip(NEXT) | instid1(VALU_DEP_2)
	v_dual_mov_b32 v4, v14 :: v_dual_mov_b32 v5, v15
	v_cmpx_ne_u16_e32 0, v6
	s_cbranch_execz .LBB258_1061
; %bb.1054:                             ;   in Loop: Header=BB258_678 Depth=1
	v_bfrev_b32_e32 v4, 1
	v_mov_b32_e32 v5, 0
	s_mov_b32 s13, exec_lo
	v_cmpx_ne_u16_e32 0x80, v6
	s_cbranch_execz .LBB258_1060
; %bb.1055:                             ;   in Loop: Header=BB258_678 Depth=1
	v_mov_b32_e32 v4, 0x7f800001
	v_dual_mov_b32 v5, 0 :: v_dual_and_b32 v16, 0x7f, v24
	s_mov_b32 s15, exec_lo
	s_delay_alu instid0(VALU_DEP_1)
	v_cmpx_ne_u32_e32 0x7f, v16
	s_cbranch_execz .LBB258_1059
; %bb.1056:                             ;   in Loop: Header=BB258_678 Depth=1
	v_and_b32_e32 v6, 7, v24
	v_lshrrev_b32_e32 v4, 3, v16
	s_mov_b32 s16, exec_lo
	v_cmpx_gt_u32_e32 8, v16
; %bb.1057:                             ;   in Loop: Header=BB258_678 Depth=1
	s_delay_alu instid0(VALU_DEP_3) | instskip(NEXT) | instid1(VALU_DEP_1)
	v_clz_i32_u32_e32 v4, v6
	v_min_u32_e32 v4, 32, v4
	s_delay_alu instid0(VALU_DEP_1) | instskip(SKIP_1) | instid1(VALU_DEP_2)
	v_subrev_nc_u32_e32 v5, 28, v4
	v_sub_nc_u32_e32 v4, 29, v4
	v_lshlrev_b64 v[5:6], v5, v[6:7]
	s_delay_alu instid0(VALU_DEP_1)
	v_and_b32_e32 v6, 7, v5
; %bb.1058:                             ;   in Loop: Header=BB258_678 Depth=1
	s_or_b32 exec_lo, exec_lo, s16
	v_lshlrev_b32_e32 v5, 24, v24
	s_delay_alu instid0(VALU_DEP_2) | instskip(SKIP_1) | instid1(VALU_DEP_3)
	v_lshlrev_b32_e32 v6, 20, v6
	v_lshl_add_u32 v4, v4, 23, 0x3c000000
	v_and_b32_e32 v5, 0x80000000, v5
	s_delay_alu instid0(VALU_DEP_1) | instskip(NEXT) | instid1(VALU_DEP_1)
	v_or3_b32 v6, v6, v5, v4
	v_dual_mov_b32 v4, v6 :: v_dual_mov_b32 v5, v7
.LBB258_1059:                           ;   in Loop: Header=BB258_678 Depth=1
	s_or_b32 exec_lo, exec_lo, s15
.LBB258_1060:                           ;   in Loop: Header=BB258_678 Depth=1
	s_delay_alu instid0(SALU_CYCLE_1)
	s_or_b32 exec_lo, exec_lo, s13
.LBB258_1061:                           ;   in Loop: Header=BB258_678 Depth=1
	s_delay_alu instid0(SALU_CYCLE_1) | instskip(SKIP_2) | instid1(VALU_DEP_1)
	s_or_b32 exec_lo, exec_lo, s10
	v_lshrrev_b16 v6, 8, v24
	s_mov_b32 s13, exec_lo
	v_cmpx_ne_u16_e32 0, v6
	s_cbranch_execz .LBB258_1069
; %bb.1062:                             ;   in Loop: Header=BB258_678 Depth=1
	v_dual_mov_b32 v15, s9 :: v_dual_mov_b32 v14, s8
	s_mov_b32 s15, exec_lo
	v_cmpx_ne_u16_e32 0x80, v6
	s_cbranch_execz .LBB258_1068
; %bb.1063:                             ;   in Loop: Header=BB258_678 Depth=1
	s_mov_b32 s10, s8
	v_dual_mov_b32 v15, s11 :: v_dual_and_b32 v6, 0xffff, v6
	v_mov_b32_e32 v14, s10
	s_mov_b32 s10, exec_lo
	s_delay_alu instid0(VALU_DEP_2) | instskip(NEXT) | instid1(VALU_DEP_1)
	v_and_b32_e32 v16, 0x7f, v6
	v_cmpx_ne_u32_e32 0x7f, v16
	s_cbranch_execz .LBB258_1067
; %bb.1064:                             ;   in Loop: Header=BB258_678 Depth=1
	v_and_b32_e32 v6, 7, v6
	v_lshrrev_b32_e32 v14, 3, v16
	s_mov_b32 s16, exec_lo
	v_cmpx_gt_u32_e32 8, v16
; %bb.1065:                             ;   in Loop: Header=BB258_678 Depth=1
	s_delay_alu instid0(VALU_DEP_3) | instskip(NEXT) | instid1(VALU_DEP_1)
	v_clz_i32_u32_e32 v14, v6
	v_min_u32_e32 v14, 32, v14
	s_delay_alu instid0(VALU_DEP_1) | instskip(SKIP_1) | instid1(VALU_DEP_2)
	v_subrev_nc_u32_e32 v15, 28, v14
	v_sub_nc_u32_e32 v14, 29, v14
	v_lshlrev_b64 v[15:16], v15, v[6:7]
	s_delay_alu instid0(VALU_DEP_1)
	v_and_b32_e32 v6, 7, v15
; %bb.1066:                             ;   in Loop: Header=BB258_678 Depth=1
	s_or_b32 exec_lo, exec_lo, s16
	v_lshlrev_b32_e32 v15, 16, v24
	s_delay_alu instid0(VALU_DEP_2) | instskip(SKIP_1) | instid1(VALU_DEP_3)
	v_lshlrev_b32_e32 v6, 20, v6
	v_lshl_add_u32 v14, v14, 23, 0x3c000000
	v_and_b32_e32 v15, 0x80000000, v15
	s_delay_alu instid0(VALU_DEP_1)
	v_or3_b32 v15, v6, v15, v14
	v_mov_b32_e32 v14, v7
.LBB258_1067:                           ;   in Loop: Header=BB258_678 Depth=1
	s_or_b32 exec_lo, exec_lo, s10
.LBB258_1068:                           ;   in Loop: Header=BB258_678 Depth=1
	s_delay_alu instid0(SALU_CYCLE_1)
	s_or_b32 exec_lo, exec_lo, s15
.LBB258_1069:                           ;   in Loop: Header=BB258_678 Depth=1
	s_delay_alu instid0(SALU_CYCLE_1) | instskip(SKIP_4) | instid1(VALU_DEP_2)
	s_or_b32 exec_lo, exec_lo, s13
	v_mov_b32_e32 v18, 0
	v_lshrrev_b32_e32 v166, 16, v24
	v_mov_b32_e32 v19, 0
	s_mov_b32 s10, exec_lo
	v_and_b32_e32 v6, 0xff, v166
	s_delay_alu instid0(VALU_DEP_2) | instskip(NEXT) | instid1(VALU_DEP_2)
	v_dual_mov_b32 v16, v18 :: v_dual_mov_b32 v17, v19
	v_cmpx_ne_u16_e32 0, v6
	s_cbranch_execz .LBB258_1077
; %bb.1070:                             ;   in Loop: Header=BB258_678 Depth=1
	v_bfrev_b32_e32 v16, 1
	v_mov_b32_e32 v17, 0
	s_mov_b32 s13, exec_lo
	v_cmpx_ne_u16_e32 0x80, v6
	s_cbranch_execz .LBB258_1076
; %bb.1071:                             ;   in Loop: Header=BB258_678 Depth=1
	v_mov_b32_e32 v16, 0x7f800001
	v_bfe_u32 v134, v24, 16, 7
	v_mov_b32_e32 v17, 0
	s_mov_b32 s15, exec_lo
	s_delay_alu instid0(VALU_DEP_2)
	v_cmpx_ne_u32_e32 0x7f, v134
	s_cbranch_execz .LBB258_1075
; %bb.1072:                             ;   in Loop: Header=BB258_678 Depth=1
	v_and_b32_e32 v6, 7, v166
	v_lshrrev_b32_e32 v16, 3, v134
	s_mov_b32 s16, exec_lo
	v_cmpx_gt_u32_e32 8, v134
; %bb.1073:                             ;   in Loop: Header=BB258_678 Depth=1
	s_delay_alu instid0(VALU_DEP_3) | instskip(NEXT) | instid1(VALU_DEP_1)
	v_clz_i32_u32_e32 v16, v6
	v_min_u32_e32 v16, 32, v16
	s_delay_alu instid0(VALU_DEP_1) | instskip(SKIP_1) | instid1(VALU_DEP_2)
	v_subrev_nc_u32_e32 v17, 28, v16
	v_sub_nc_u32_e32 v16, 29, v16
	v_lshlrev_b64 v[177:178], v17, v[6:7]
	s_delay_alu instid0(VALU_DEP_1)
	v_and_b32_e32 v6, 7, v177
; %bb.1074:                             ;   in Loop: Header=BB258_678 Depth=1
	s_or_b32 exec_lo, exec_lo, s16
	v_lshlrev_b32_e32 v17, 24, v166
	s_delay_alu instid0(VALU_DEP_2) | instskip(SKIP_1) | instid1(VALU_DEP_3)
	v_lshlrev_b32_e32 v6, 20, v6
	v_lshl_add_u32 v16, v16, 23, 0x3c000000
	v_and_b32_e32 v17, 0x80000000, v17
	s_delay_alu instid0(VALU_DEP_1) | instskip(NEXT) | instid1(VALU_DEP_1)
	v_or3_b32 v6, v6, v17, v16
	v_dual_mov_b32 v17, v7 :: v_dual_mov_b32 v16, v6
.LBB258_1075:                           ;   in Loop: Header=BB258_678 Depth=1
	s_or_b32 exec_lo, exec_lo, s15
.LBB258_1076:                           ;   in Loop: Header=BB258_678 Depth=1
	s_delay_alu instid0(SALU_CYCLE_1)
	s_or_b32 exec_lo, exec_lo, s13
.LBB258_1077:                           ;   in Loop: Header=BB258_678 Depth=1
	s_delay_alu instid0(SALU_CYCLE_1) | instskip(NEXT) | instid1(SALU_CYCLE_1)
	s_or_b32 exec_lo, exec_lo, s10
	s_mov_b32 s13, exec_lo
	v_cmpx_lt_u32_e32 0xffffff, v24
	s_cbranch_execz .LBB258_1085
; %bb.1078:                             ;   in Loop: Header=BB258_678 Depth=1
	v_lshrrev_b32_e32 v166, 24, v24
	v_dual_mov_b32 v19, s9 :: v_dual_mov_b32 v18, s8
	s_mov_b32 s15, exec_lo
	s_delay_alu instid0(VALU_DEP_2)
	v_cmpx_ne_u32_e32 0x80, v166
	s_cbranch_execz .LBB258_1084
; %bb.1079:                             ;   in Loop: Header=BB258_678 Depth=1
	s_mov_b32 s10, s8
	v_bfe_u32 v24, v24, 24, 7
	v_dual_mov_b32 v19, s11 :: v_dual_mov_b32 v18, s10
	s_mov_b32 s10, exec_lo
	s_delay_alu instid0(VALU_DEP_2)
	v_cmpx_ne_u32_e32 0x7f, v24
	s_cbranch_execz .LBB258_1083
; %bb.1080:                             ;   in Loop: Header=BB258_678 Depth=1
	v_and_b32_e32 v6, 7, v166
	v_lshrrev_b32_e32 v18, 3, v24
	s_mov_b32 s16, exec_lo
	v_cmpx_gt_u32_e32 8, v24
; %bb.1081:                             ;   in Loop: Header=BB258_678 Depth=1
	s_delay_alu instid0(VALU_DEP_3) | instskip(NEXT) | instid1(VALU_DEP_1)
	v_clz_i32_u32_e32 v18, v6
	v_min_u32_e32 v18, 32, v18
	s_delay_alu instid0(VALU_DEP_1) | instskip(SKIP_1) | instid1(VALU_DEP_2)
	v_subrev_nc_u32_e32 v19, 28, v18
	v_sub_nc_u32_e32 v18, 29, v18
	v_lshlrev_b64 v[177:178], v19, v[6:7]
	s_delay_alu instid0(VALU_DEP_1)
	v_and_b32_e32 v6, 7, v177
; %bb.1082:                             ;   in Loop: Header=BB258_678 Depth=1
	s_or_b32 exec_lo, exec_lo, s16
	v_lshlrev_b32_e32 v19, 24, v166
	s_delay_alu instid0(VALU_DEP_2) | instskip(SKIP_1) | instid1(VALU_DEP_3)
	v_lshlrev_b32_e32 v6, 20, v6
	v_lshl_add_u32 v18, v18, 23, 0x3c000000
	v_and_b32_e32 v19, 0x80000000, v19
	s_delay_alu instid0(VALU_DEP_1)
	v_or3_b32 v19, v6, v19, v18
	v_mov_b32_e32 v18, v7
.LBB258_1083:                           ;   in Loop: Header=BB258_678 Depth=1
	s_or_b32 exec_lo, exec_lo, s10
.LBB258_1084:                           ;   in Loop: Header=BB258_678 Depth=1
	s_delay_alu instid0(SALU_CYCLE_1)
	s_or_b32 exec_lo, exec_lo, s15
.LBB258_1085:                           ;   in Loop: Header=BB258_678 Depth=1
	s_delay_alu instid0(SALU_CYCLE_1) | instskip(SKIP_4) | instid1(VALU_DEP_4)
	s_or_b32 exec_lo, exec_lo, s13
	v_or_b32_e32 v5, v15, v5
	v_or_b32_e32 v4, v14, v4
	;; [unrolled: 1-line block ×4, first 2 shown]
	v_mul_f32_e32 v178, v67, v5
	s_delay_alu instid0(VALU_DEP_4) | instskip(NEXT) | instid1(VALU_DEP_4)
	v_mul_f32_e32 v177, v67, v4
	v_mul_f32_e32 v166, v67, v6
	s_delay_alu instid0(VALU_DEP_4)
	v_mul_f32_e32 v167, v67, v14
	s_and_saveexec_b32 s10, vcc_lo
; %bb.1086:                             ;   in Loop: Header=BB258_678 Depth=1
	v_cmp_lt_i32_e64 s0, v80, v135
	s_delay_alu instid0(VALU_DEP_1) | instskip(SKIP_1) | instid1(VALU_DEP_1)
	v_cndmask_b32_e64 v177, 0, v177, s0
	v_cmp_lt_i32_e64 s0, v83, v135
	v_cndmask_b32_e64 v178, 0, v178, s0
	v_cmp_lt_i32_e64 s0, v82, v135
	s_delay_alu instid0(VALU_DEP_1) | instskip(SKIP_1) | instid1(VALU_DEP_1)
	v_cndmask_b32_e64 v167, 0, v167, s0
	v_cmp_lt_i32_e64 s0, v81, v135
	v_cndmask_b32_e64 v166, 0, v166, s0
; %bb.1087:                             ;   in Loop: Header=BB258_678 Depth=1
	s_or_b32 exec_lo, exec_lo, s10
	flat_load_b32 v24, v[12:13] offset:1536
	v_mov_b32_e32 v14, 0
	v_mov_b32_e32 v15, 0
	s_mov_b32 s10, exec_lo
	s_waitcnt vmcnt(0) lgkmcnt(0)
	v_and_b32_e32 v6, 0xff, v24
	s_delay_alu instid0(VALU_DEP_2) | instskip(NEXT) | instid1(VALU_DEP_2)
	v_dual_mov_b32 v4, v14 :: v_dual_mov_b32 v5, v15
	v_cmpx_ne_u16_e32 0, v6
	s_cbranch_execz .LBB258_1095
; %bb.1088:                             ;   in Loop: Header=BB258_678 Depth=1
	v_bfrev_b32_e32 v4, 1
	v_mov_b32_e32 v5, 0
	s_mov_b32 s13, exec_lo
	v_cmpx_ne_u16_e32 0x80, v6
	s_cbranch_execz .LBB258_1094
; %bb.1089:                             ;   in Loop: Header=BB258_678 Depth=1
	v_mov_b32_e32 v4, 0x7f800001
	v_dual_mov_b32 v5, 0 :: v_dual_and_b32 v16, 0x7f, v24
	s_mov_b32 s15, exec_lo
	s_delay_alu instid0(VALU_DEP_1)
	v_cmpx_ne_u32_e32 0x7f, v16
	s_cbranch_execz .LBB258_1093
; %bb.1090:                             ;   in Loop: Header=BB258_678 Depth=1
	v_and_b32_e32 v6, 7, v24
	v_lshrrev_b32_e32 v4, 3, v16
	s_mov_b32 s16, exec_lo
	v_cmpx_gt_u32_e32 8, v16
; %bb.1091:                             ;   in Loop: Header=BB258_678 Depth=1
	s_delay_alu instid0(VALU_DEP_3) | instskip(NEXT) | instid1(VALU_DEP_1)
	v_clz_i32_u32_e32 v4, v6
	v_min_u32_e32 v4, 32, v4
	s_delay_alu instid0(VALU_DEP_1) | instskip(SKIP_1) | instid1(VALU_DEP_2)
	v_subrev_nc_u32_e32 v5, 28, v4
	v_sub_nc_u32_e32 v4, 29, v4
	v_lshlrev_b64 v[5:6], v5, v[6:7]
	s_delay_alu instid0(VALU_DEP_1)
	v_and_b32_e32 v6, 7, v5
; %bb.1092:                             ;   in Loop: Header=BB258_678 Depth=1
	s_or_b32 exec_lo, exec_lo, s16
	v_lshlrev_b32_e32 v5, 24, v24
	s_delay_alu instid0(VALU_DEP_2) | instskip(SKIP_1) | instid1(VALU_DEP_3)
	v_lshlrev_b32_e32 v6, 20, v6
	v_lshl_add_u32 v4, v4, 23, 0x3c000000
	v_and_b32_e32 v5, 0x80000000, v5
	s_delay_alu instid0(VALU_DEP_1) | instskip(NEXT) | instid1(VALU_DEP_1)
	v_or3_b32 v6, v6, v5, v4
	v_dual_mov_b32 v4, v6 :: v_dual_mov_b32 v5, v7
.LBB258_1093:                           ;   in Loop: Header=BB258_678 Depth=1
	s_or_b32 exec_lo, exec_lo, s15
.LBB258_1094:                           ;   in Loop: Header=BB258_678 Depth=1
	s_delay_alu instid0(SALU_CYCLE_1)
	s_or_b32 exec_lo, exec_lo, s13
.LBB258_1095:                           ;   in Loop: Header=BB258_678 Depth=1
	s_delay_alu instid0(SALU_CYCLE_1) | instskip(SKIP_2) | instid1(VALU_DEP_1)
	s_or_b32 exec_lo, exec_lo, s10
	v_lshrrev_b16 v6, 8, v24
	s_mov_b32 s13, exec_lo
	v_cmpx_ne_u16_e32 0, v6
	s_cbranch_execz .LBB258_1103
; %bb.1096:                             ;   in Loop: Header=BB258_678 Depth=1
	v_dual_mov_b32 v15, s9 :: v_dual_mov_b32 v14, s8
	s_mov_b32 s15, exec_lo
	v_cmpx_ne_u16_e32 0x80, v6
	s_cbranch_execz .LBB258_1102
; %bb.1097:                             ;   in Loop: Header=BB258_678 Depth=1
	s_mov_b32 s10, s8
	v_dual_mov_b32 v15, s11 :: v_dual_and_b32 v6, 0xffff, v6
	v_mov_b32_e32 v14, s10
	s_mov_b32 s10, exec_lo
	s_delay_alu instid0(VALU_DEP_2) | instskip(NEXT) | instid1(VALU_DEP_1)
	v_and_b32_e32 v16, 0x7f, v6
	v_cmpx_ne_u32_e32 0x7f, v16
	s_cbranch_execz .LBB258_1101
; %bb.1098:                             ;   in Loop: Header=BB258_678 Depth=1
	v_and_b32_e32 v6, 7, v6
	v_lshrrev_b32_e32 v14, 3, v16
	s_mov_b32 s16, exec_lo
	v_cmpx_gt_u32_e32 8, v16
; %bb.1099:                             ;   in Loop: Header=BB258_678 Depth=1
	s_delay_alu instid0(VALU_DEP_3) | instskip(NEXT) | instid1(VALU_DEP_1)
	v_clz_i32_u32_e32 v14, v6
	v_min_u32_e32 v14, 32, v14
	s_delay_alu instid0(VALU_DEP_1) | instskip(SKIP_1) | instid1(VALU_DEP_2)
	v_subrev_nc_u32_e32 v15, 28, v14
	v_sub_nc_u32_e32 v14, 29, v14
	v_lshlrev_b64 v[15:16], v15, v[6:7]
	s_delay_alu instid0(VALU_DEP_1)
	v_and_b32_e32 v6, 7, v15
; %bb.1100:                             ;   in Loop: Header=BB258_678 Depth=1
	s_or_b32 exec_lo, exec_lo, s16
	v_lshlrev_b32_e32 v15, 16, v24
	s_delay_alu instid0(VALU_DEP_2) | instskip(SKIP_1) | instid1(VALU_DEP_3)
	v_lshlrev_b32_e32 v6, 20, v6
	v_lshl_add_u32 v14, v14, 23, 0x3c000000
	v_and_b32_e32 v15, 0x80000000, v15
	s_delay_alu instid0(VALU_DEP_1)
	v_or3_b32 v15, v6, v15, v14
	v_mov_b32_e32 v14, v7
.LBB258_1101:                           ;   in Loop: Header=BB258_678 Depth=1
	s_or_b32 exec_lo, exec_lo, s10
.LBB258_1102:                           ;   in Loop: Header=BB258_678 Depth=1
	s_delay_alu instid0(SALU_CYCLE_1)
	s_or_b32 exec_lo, exec_lo, s15
.LBB258_1103:                           ;   in Loop: Header=BB258_678 Depth=1
	s_delay_alu instid0(SALU_CYCLE_1) | instskip(SKIP_4) | instid1(VALU_DEP_2)
	s_or_b32 exec_lo, exec_lo, s13
	v_mov_b32_e32 v18, 0
	v_lshrrev_b32_e32 v179, 16, v24
	v_mov_b32_e32 v19, 0
	s_mov_b32 s10, exec_lo
	v_and_b32_e32 v6, 0xff, v179
	s_delay_alu instid0(VALU_DEP_2) | instskip(NEXT) | instid1(VALU_DEP_2)
	v_dual_mov_b32 v16, v18 :: v_dual_mov_b32 v17, v19
	v_cmpx_ne_u16_e32 0, v6
	s_cbranch_execz .LBB258_1111
; %bb.1104:                             ;   in Loop: Header=BB258_678 Depth=1
	v_bfrev_b32_e32 v16, 1
	v_mov_b32_e32 v17, 0
	s_mov_b32 s13, exec_lo
	v_cmpx_ne_u16_e32 0x80, v6
	s_cbranch_execz .LBB258_1110
; %bb.1105:                             ;   in Loop: Header=BB258_678 Depth=1
	v_mov_b32_e32 v16, 0x7f800001
	v_bfe_u32 v134, v24, 16, 7
	v_mov_b32_e32 v17, 0
	s_mov_b32 s15, exec_lo
	s_delay_alu instid0(VALU_DEP_2)
	v_cmpx_ne_u32_e32 0x7f, v134
	s_cbranch_execz .LBB258_1109
; %bb.1106:                             ;   in Loop: Header=BB258_678 Depth=1
	v_and_b32_e32 v6, 7, v179
	v_lshrrev_b32_e32 v16, 3, v134
	s_mov_b32 s16, exec_lo
	v_cmpx_gt_u32_e32 8, v134
; %bb.1107:                             ;   in Loop: Header=BB258_678 Depth=1
	s_delay_alu instid0(VALU_DEP_3) | instskip(NEXT) | instid1(VALU_DEP_1)
	v_clz_i32_u32_e32 v16, v6
	v_min_u32_e32 v16, 32, v16
	s_delay_alu instid0(VALU_DEP_1) | instskip(SKIP_1) | instid1(VALU_DEP_2)
	v_subrev_nc_u32_e32 v17, 28, v16
	v_sub_nc_u32_e32 v16, 29, v16
	v_lshlrev_b64 v[180:181], v17, v[6:7]
	s_delay_alu instid0(VALU_DEP_1)
	v_and_b32_e32 v6, 7, v180
; %bb.1108:                             ;   in Loop: Header=BB258_678 Depth=1
	s_or_b32 exec_lo, exec_lo, s16
	v_lshlrev_b32_e32 v17, 24, v179
	s_delay_alu instid0(VALU_DEP_2) | instskip(SKIP_1) | instid1(VALU_DEP_3)
	v_lshlrev_b32_e32 v6, 20, v6
	v_lshl_add_u32 v16, v16, 23, 0x3c000000
	v_and_b32_e32 v17, 0x80000000, v17
	s_delay_alu instid0(VALU_DEP_1) | instskip(NEXT) | instid1(VALU_DEP_1)
	v_or3_b32 v6, v6, v17, v16
	v_dual_mov_b32 v17, v7 :: v_dual_mov_b32 v16, v6
.LBB258_1109:                           ;   in Loop: Header=BB258_678 Depth=1
	s_or_b32 exec_lo, exec_lo, s15
.LBB258_1110:                           ;   in Loop: Header=BB258_678 Depth=1
	s_delay_alu instid0(SALU_CYCLE_1)
	s_or_b32 exec_lo, exec_lo, s13
.LBB258_1111:                           ;   in Loop: Header=BB258_678 Depth=1
	s_delay_alu instid0(SALU_CYCLE_1) | instskip(NEXT) | instid1(SALU_CYCLE_1)
	s_or_b32 exec_lo, exec_lo, s10
	s_mov_b32 s13, exec_lo
	v_cmpx_lt_u32_e32 0xffffff, v24
	s_cbranch_execz .LBB258_1119
; %bb.1112:                             ;   in Loop: Header=BB258_678 Depth=1
	v_lshrrev_b32_e32 v179, 24, v24
	v_dual_mov_b32 v19, s9 :: v_dual_mov_b32 v18, s8
	s_mov_b32 s15, exec_lo
	s_delay_alu instid0(VALU_DEP_2)
	v_cmpx_ne_u32_e32 0x80, v179
	s_cbranch_execz .LBB258_1118
; %bb.1113:                             ;   in Loop: Header=BB258_678 Depth=1
	s_mov_b32 s10, s8
	v_bfe_u32 v24, v24, 24, 7
	v_dual_mov_b32 v19, s11 :: v_dual_mov_b32 v18, s10
	s_mov_b32 s10, exec_lo
	s_delay_alu instid0(VALU_DEP_2)
	v_cmpx_ne_u32_e32 0x7f, v24
	s_cbranch_execz .LBB258_1117
; %bb.1114:                             ;   in Loop: Header=BB258_678 Depth=1
	v_and_b32_e32 v6, 7, v179
	v_lshrrev_b32_e32 v18, 3, v24
	s_mov_b32 s16, exec_lo
	v_cmpx_gt_u32_e32 8, v24
; %bb.1115:                             ;   in Loop: Header=BB258_678 Depth=1
	s_delay_alu instid0(VALU_DEP_3) | instskip(NEXT) | instid1(VALU_DEP_1)
	v_clz_i32_u32_e32 v18, v6
	v_min_u32_e32 v18, 32, v18
	s_delay_alu instid0(VALU_DEP_1) | instskip(SKIP_1) | instid1(VALU_DEP_2)
	v_subrev_nc_u32_e32 v19, 28, v18
	v_sub_nc_u32_e32 v18, 29, v18
	v_lshlrev_b64 v[180:181], v19, v[6:7]
	s_delay_alu instid0(VALU_DEP_1)
	v_and_b32_e32 v6, 7, v180
; %bb.1116:                             ;   in Loop: Header=BB258_678 Depth=1
	s_or_b32 exec_lo, exec_lo, s16
	v_lshlrev_b32_e32 v19, 24, v179
	s_delay_alu instid0(VALU_DEP_2) | instskip(SKIP_1) | instid1(VALU_DEP_3)
	v_lshlrev_b32_e32 v6, 20, v6
	v_lshl_add_u32 v18, v18, 23, 0x3c000000
	v_and_b32_e32 v19, 0x80000000, v19
	s_delay_alu instid0(VALU_DEP_1)
	v_or3_b32 v19, v6, v19, v18
	v_mov_b32_e32 v18, v7
.LBB258_1117:                           ;   in Loop: Header=BB258_678 Depth=1
	s_or_b32 exec_lo, exec_lo, s10
.LBB258_1118:                           ;   in Loop: Header=BB258_678 Depth=1
	s_delay_alu instid0(SALU_CYCLE_1)
	s_or_b32 exec_lo, exec_lo, s15
.LBB258_1119:                           ;   in Loop: Header=BB258_678 Depth=1
	s_delay_alu instid0(SALU_CYCLE_1) | instskip(SKIP_4) | instid1(VALU_DEP_4)
	s_or_b32 exec_lo, exec_lo, s13
	v_or_b32_e32 v5, v15, v5
	v_or_b32_e32 v4, v14, v4
	;; [unrolled: 1-line block ×4, first 2 shown]
	v_mul_f32_e32 v182, v67, v5
	s_delay_alu instid0(VALU_DEP_4) | instskip(NEXT) | instid1(VALU_DEP_4)
	v_mul_f32_e32 v181, v67, v4
	v_mul_f32_e32 v179, v67, v6
	s_delay_alu instid0(VALU_DEP_4)
	v_mul_f32_e32 v180, v67, v14
	s_and_saveexec_b32 s10, vcc_lo
; %bb.1120:                             ;   in Loop: Header=BB258_678 Depth=1
	v_cmp_lt_i32_e64 s0, v80, v135
	s_delay_alu instid0(VALU_DEP_1) | instskip(SKIP_1) | instid1(VALU_DEP_1)
	v_cndmask_b32_e64 v181, 0, v181, s0
	v_cmp_lt_i32_e64 s0, v83, v135
	v_cndmask_b32_e64 v182, 0, v182, s0
	v_cmp_lt_i32_e64 s0, v82, v135
	s_delay_alu instid0(VALU_DEP_1) | instskip(SKIP_1) | instid1(VALU_DEP_1)
	v_cndmask_b32_e64 v180, 0, v180, s0
	v_cmp_lt_i32_e64 s0, v81, v135
	v_cndmask_b32_e64 v179, 0, v179, s0
; %bb.1121:                             ;   in Loop: Header=BB258_678 Depth=1
	s_or_b32 exec_lo, exec_lo, s10
	flat_load_b32 v24, v[12:13] offset:1664
	v_mov_b32_e32 v14, 0
	v_mov_b32_e32 v15, 0
	s_mov_b32 s10, exec_lo
	s_waitcnt vmcnt(0) lgkmcnt(0)
	v_and_b32_e32 v6, 0xff, v24
	s_delay_alu instid0(VALU_DEP_2) | instskip(NEXT) | instid1(VALU_DEP_2)
	v_dual_mov_b32 v4, v14 :: v_dual_mov_b32 v5, v15
	v_cmpx_ne_u16_e32 0, v6
	s_cbranch_execz .LBB258_1129
; %bb.1122:                             ;   in Loop: Header=BB258_678 Depth=1
	v_bfrev_b32_e32 v4, 1
	v_mov_b32_e32 v5, 0
	s_mov_b32 s13, exec_lo
	v_cmpx_ne_u16_e32 0x80, v6
	s_cbranch_execz .LBB258_1128
; %bb.1123:                             ;   in Loop: Header=BB258_678 Depth=1
	v_mov_b32_e32 v4, 0x7f800001
	v_dual_mov_b32 v5, 0 :: v_dual_and_b32 v16, 0x7f, v24
	s_mov_b32 s15, exec_lo
	s_delay_alu instid0(VALU_DEP_1)
	v_cmpx_ne_u32_e32 0x7f, v16
	s_cbranch_execz .LBB258_1127
; %bb.1124:                             ;   in Loop: Header=BB258_678 Depth=1
	v_and_b32_e32 v6, 7, v24
	v_lshrrev_b32_e32 v4, 3, v16
	s_mov_b32 s16, exec_lo
	v_cmpx_gt_u32_e32 8, v16
; %bb.1125:                             ;   in Loop: Header=BB258_678 Depth=1
	s_delay_alu instid0(VALU_DEP_3) | instskip(NEXT) | instid1(VALU_DEP_1)
	v_clz_i32_u32_e32 v4, v6
	v_min_u32_e32 v4, 32, v4
	s_delay_alu instid0(VALU_DEP_1) | instskip(SKIP_1) | instid1(VALU_DEP_2)
	v_subrev_nc_u32_e32 v5, 28, v4
	v_sub_nc_u32_e32 v4, 29, v4
	v_lshlrev_b64 v[5:6], v5, v[6:7]
	s_delay_alu instid0(VALU_DEP_1)
	v_and_b32_e32 v6, 7, v5
; %bb.1126:                             ;   in Loop: Header=BB258_678 Depth=1
	s_or_b32 exec_lo, exec_lo, s16
	v_lshlrev_b32_e32 v5, 24, v24
	s_delay_alu instid0(VALU_DEP_2) | instskip(SKIP_1) | instid1(VALU_DEP_3)
	v_lshlrev_b32_e32 v6, 20, v6
	v_lshl_add_u32 v4, v4, 23, 0x3c000000
	v_and_b32_e32 v5, 0x80000000, v5
	s_delay_alu instid0(VALU_DEP_1) | instskip(NEXT) | instid1(VALU_DEP_1)
	v_or3_b32 v6, v6, v5, v4
	v_dual_mov_b32 v4, v6 :: v_dual_mov_b32 v5, v7
.LBB258_1127:                           ;   in Loop: Header=BB258_678 Depth=1
	s_or_b32 exec_lo, exec_lo, s15
.LBB258_1128:                           ;   in Loop: Header=BB258_678 Depth=1
	s_delay_alu instid0(SALU_CYCLE_1)
	s_or_b32 exec_lo, exec_lo, s13
.LBB258_1129:                           ;   in Loop: Header=BB258_678 Depth=1
	s_delay_alu instid0(SALU_CYCLE_1) | instskip(SKIP_2) | instid1(VALU_DEP_1)
	s_or_b32 exec_lo, exec_lo, s10
	v_lshrrev_b16 v6, 8, v24
	s_mov_b32 s13, exec_lo
	v_cmpx_ne_u16_e32 0, v6
	s_cbranch_execz .LBB258_1137
; %bb.1130:                             ;   in Loop: Header=BB258_678 Depth=1
	v_dual_mov_b32 v15, s9 :: v_dual_mov_b32 v14, s8
	s_mov_b32 s15, exec_lo
	v_cmpx_ne_u16_e32 0x80, v6
	s_cbranch_execz .LBB258_1136
; %bb.1131:                             ;   in Loop: Header=BB258_678 Depth=1
	s_mov_b32 s10, s8
	v_dual_mov_b32 v15, s11 :: v_dual_and_b32 v6, 0xffff, v6
	v_mov_b32_e32 v14, s10
	s_mov_b32 s10, exec_lo
	s_delay_alu instid0(VALU_DEP_2) | instskip(NEXT) | instid1(VALU_DEP_1)
	v_and_b32_e32 v16, 0x7f, v6
	v_cmpx_ne_u32_e32 0x7f, v16
	s_cbranch_execz .LBB258_1135
; %bb.1132:                             ;   in Loop: Header=BB258_678 Depth=1
	v_and_b32_e32 v6, 7, v6
	v_lshrrev_b32_e32 v14, 3, v16
	s_mov_b32 s16, exec_lo
	v_cmpx_gt_u32_e32 8, v16
; %bb.1133:                             ;   in Loop: Header=BB258_678 Depth=1
	s_delay_alu instid0(VALU_DEP_3) | instskip(NEXT) | instid1(VALU_DEP_1)
	v_clz_i32_u32_e32 v14, v6
	v_min_u32_e32 v14, 32, v14
	s_delay_alu instid0(VALU_DEP_1) | instskip(SKIP_1) | instid1(VALU_DEP_2)
	v_subrev_nc_u32_e32 v15, 28, v14
	v_sub_nc_u32_e32 v14, 29, v14
	v_lshlrev_b64 v[15:16], v15, v[6:7]
	s_delay_alu instid0(VALU_DEP_1)
	v_and_b32_e32 v6, 7, v15
; %bb.1134:                             ;   in Loop: Header=BB258_678 Depth=1
	s_or_b32 exec_lo, exec_lo, s16
	v_lshlrev_b32_e32 v15, 16, v24
	s_delay_alu instid0(VALU_DEP_2) | instskip(SKIP_1) | instid1(VALU_DEP_3)
	v_lshlrev_b32_e32 v6, 20, v6
	v_lshl_add_u32 v14, v14, 23, 0x3c000000
	v_and_b32_e32 v15, 0x80000000, v15
	s_delay_alu instid0(VALU_DEP_1)
	v_or3_b32 v15, v6, v15, v14
	v_mov_b32_e32 v14, v7
.LBB258_1135:                           ;   in Loop: Header=BB258_678 Depth=1
	s_or_b32 exec_lo, exec_lo, s10
.LBB258_1136:                           ;   in Loop: Header=BB258_678 Depth=1
	s_delay_alu instid0(SALU_CYCLE_1)
	s_or_b32 exec_lo, exec_lo, s15
.LBB258_1137:                           ;   in Loop: Header=BB258_678 Depth=1
	s_delay_alu instid0(SALU_CYCLE_1) | instskip(SKIP_4) | instid1(VALU_DEP_2)
	s_or_b32 exec_lo, exec_lo, s13
	v_mov_b32_e32 v18, 0
	v_lshrrev_b32_e32 v183, 16, v24
	v_mov_b32_e32 v19, 0
	s_mov_b32 s10, exec_lo
	v_and_b32_e32 v6, 0xff, v183
	s_delay_alu instid0(VALU_DEP_2) | instskip(NEXT) | instid1(VALU_DEP_2)
	v_dual_mov_b32 v16, v18 :: v_dual_mov_b32 v17, v19
	v_cmpx_ne_u16_e32 0, v6
	s_cbranch_execz .LBB258_1145
; %bb.1138:                             ;   in Loop: Header=BB258_678 Depth=1
	v_bfrev_b32_e32 v16, 1
	v_mov_b32_e32 v17, 0
	s_mov_b32 s13, exec_lo
	v_cmpx_ne_u16_e32 0x80, v6
	s_cbranch_execz .LBB258_1144
; %bb.1139:                             ;   in Loop: Header=BB258_678 Depth=1
	v_mov_b32_e32 v16, 0x7f800001
	v_bfe_u32 v134, v24, 16, 7
	v_mov_b32_e32 v17, 0
	s_mov_b32 s15, exec_lo
	s_delay_alu instid0(VALU_DEP_2)
	v_cmpx_ne_u32_e32 0x7f, v134
	s_cbranch_execz .LBB258_1143
; %bb.1140:                             ;   in Loop: Header=BB258_678 Depth=1
	v_and_b32_e32 v6, 7, v183
	v_lshrrev_b32_e32 v16, 3, v134
	s_mov_b32 s16, exec_lo
	v_cmpx_gt_u32_e32 8, v134
; %bb.1141:                             ;   in Loop: Header=BB258_678 Depth=1
	s_delay_alu instid0(VALU_DEP_3) | instskip(NEXT) | instid1(VALU_DEP_1)
	v_clz_i32_u32_e32 v16, v6
	v_min_u32_e32 v16, 32, v16
	s_delay_alu instid0(VALU_DEP_1) | instskip(SKIP_1) | instid1(VALU_DEP_2)
	v_subrev_nc_u32_e32 v17, 28, v16
	v_sub_nc_u32_e32 v16, 29, v16
	v_lshlrev_b64 v[40:41], v17, v[6:7]
	s_delay_alu instid0(VALU_DEP_1)
	v_and_b32_e32 v6, 7, v40
; %bb.1142:                             ;   in Loop: Header=BB258_678 Depth=1
	s_or_b32 exec_lo, exec_lo, s16
	v_lshlrev_b32_e32 v17, 24, v183
	s_delay_alu instid0(VALU_DEP_2) | instskip(SKIP_1) | instid1(VALU_DEP_3)
	v_lshlrev_b32_e32 v6, 20, v6
	v_lshl_add_u32 v16, v16, 23, 0x3c000000
	v_and_b32_e32 v17, 0x80000000, v17
	s_delay_alu instid0(VALU_DEP_1) | instskip(NEXT) | instid1(VALU_DEP_1)
	v_or3_b32 v6, v6, v17, v16
	v_dual_mov_b32 v17, v7 :: v_dual_mov_b32 v16, v6
.LBB258_1143:                           ;   in Loop: Header=BB258_678 Depth=1
	s_or_b32 exec_lo, exec_lo, s15
.LBB258_1144:                           ;   in Loop: Header=BB258_678 Depth=1
	s_delay_alu instid0(SALU_CYCLE_1)
	s_or_b32 exec_lo, exec_lo, s13
.LBB258_1145:                           ;   in Loop: Header=BB258_678 Depth=1
	s_delay_alu instid0(SALU_CYCLE_1) | instskip(NEXT) | instid1(SALU_CYCLE_1)
	s_or_b32 exec_lo, exec_lo, s10
	s_mov_b32 s13, exec_lo
	v_cmpx_lt_u32_e32 0xffffff, v24
	s_cbranch_execz .LBB258_1153
; %bb.1146:                             ;   in Loop: Header=BB258_678 Depth=1
	v_lshrrev_b32_e32 v183, 24, v24
	v_dual_mov_b32 v19, s9 :: v_dual_mov_b32 v18, s8
	s_mov_b32 s15, exec_lo
	s_delay_alu instid0(VALU_DEP_2)
	v_cmpx_ne_u32_e32 0x80, v183
	s_cbranch_execz .LBB258_1152
; %bb.1147:                             ;   in Loop: Header=BB258_678 Depth=1
	s_mov_b32 s10, s8
	v_bfe_u32 v24, v24, 24, 7
	v_dual_mov_b32 v19, s11 :: v_dual_mov_b32 v18, s10
	s_mov_b32 s10, exec_lo
	s_delay_alu instid0(VALU_DEP_2)
	v_cmpx_ne_u32_e32 0x7f, v24
	s_cbranch_execz .LBB258_1151
; %bb.1148:                             ;   in Loop: Header=BB258_678 Depth=1
	v_and_b32_e32 v6, 7, v183
	v_lshrrev_b32_e32 v18, 3, v24
	s_mov_b32 s16, exec_lo
	v_cmpx_gt_u32_e32 8, v24
; %bb.1149:                             ;   in Loop: Header=BB258_678 Depth=1
	s_delay_alu instid0(VALU_DEP_3) | instskip(NEXT) | instid1(VALU_DEP_1)
	v_clz_i32_u32_e32 v18, v6
	v_min_u32_e32 v18, 32, v18
	s_delay_alu instid0(VALU_DEP_1) | instskip(SKIP_1) | instid1(VALU_DEP_2)
	v_subrev_nc_u32_e32 v19, 28, v18
	v_sub_nc_u32_e32 v18, 29, v18
	v_lshlrev_b64 v[40:41], v19, v[6:7]
	s_delay_alu instid0(VALU_DEP_1)
	v_and_b32_e32 v6, 7, v40
; %bb.1150:                             ;   in Loop: Header=BB258_678 Depth=1
	s_or_b32 exec_lo, exec_lo, s16
	v_lshlrev_b32_e32 v19, 24, v183
	s_delay_alu instid0(VALU_DEP_2) | instskip(SKIP_1) | instid1(VALU_DEP_3)
	v_lshlrev_b32_e32 v6, 20, v6
	v_lshl_add_u32 v18, v18, 23, 0x3c000000
	v_and_b32_e32 v19, 0x80000000, v19
	s_delay_alu instid0(VALU_DEP_1)
	v_or3_b32 v19, v6, v19, v18
	v_mov_b32_e32 v18, v7
.LBB258_1151:                           ;   in Loop: Header=BB258_678 Depth=1
	s_or_b32 exec_lo, exec_lo, s10
.LBB258_1152:                           ;   in Loop: Header=BB258_678 Depth=1
	s_delay_alu instid0(SALU_CYCLE_1)
	s_or_b32 exec_lo, exec_lo, s15
.LBB258_1153:                           ;   in Loop: Header=BB258_678 Depth=1
	s_delay_alu instid0(SALU_CYCLE_1) | instskip(SKIP_4) | instid1(VALU_DEP_4)
	s_or_b32 exec_lo, exec_lo, s13
	v_or_b32_e32 v5, v15, v5
	v_or_b32_e32 v4, v14, v4
	;; [unrolled: 1-line block ×4, first 2 shown]
	v_mul_f32_e32 v42, v67, v5
	s_delay_alu instid0(VALU_DEP_4) | instskip(NEXT) | instid1(VALU_DEP_4)
	v_mul_f32_e32 v41, v67, v4
	v_mul_f32_e32 v183, v67, v6
	s_delay_alu instid0(VALU_DEP_4)
	v_mul_f32_e32 v40, v67, v14
	s_and_saveexec_b32 s10, vcc_lo
; %bb.1154:                             ;   in Loop: Header=BB258_678 Depth=1
	v_cmp_lt_i32_e64 s0, v80, v135
	s_delay_alu instid0(VALU_DEP_1) | instskip(SKIP_1) | instid1(VALU_DEP_1)
	v_cndmask_b32_e64 v41, 0, v41, s0
	v_cmp_lt_i32_e64 s0, v83, v135
	v_cndmask_b32_e64 v42, 0, v42, s0
	v_cmp_lt_i32_e64 s0, v82, v135
	s_delay_alu instid0(VALU_DEP_1) | instskip(SKIP_1) | instid1(VALU_DEP_1)
	v_cndmask_b32_e64 v40, 0, v40, s0
	v_cmp_lt_i32_e64 s0, v81, v135
	v_cndmask_b32_e64 v183, 0, v183, s0
; %bb.1155:                             ;   in Loop: Header=BB258_678 Depth=1
	s_or_b32 exec_lo, exec_lo, s10
	flat_load_b32 v24, v[12:13] offset:1792
	v_mov_b32_e32 v14, 0
	v_mov_b32_e32 v15, 0
	s_mov_b32 s10, exec_lo
	s_waitcnt vmcnt(0) lgkmcnt(0)
	v_and_b32_e32 v6, 0xff, v24
	s_delay_alu instid0(VALU_DEP_2) | instskip(NEXT) | instid1(VALU_DEP_2)
	v_dual_mov_b32 v4, v14 :: v_dual_mov_b32 v5, v15
	v_cmpx_ne_u16_e32 0, v6
	s_cbranch_execz .LBB258_1163
; %bb.1156:                             ;   in Loop: Header=BB258_678 Depth=1
	v_bfrev_b32_e32 v4, 1
	v_mov_b32_e32 v5, 0
	s_mov_b32 s13, exec_lo
	v_cmpx_ne_u16_e32 0x80, v6
	s_cbranch_execz .LBB258_1162
; %bb.1157:                             ;   in Loop: Header=BB258_678 Depth=1
	v_mov_b32_e32 v4, 0x7f800001
	v_dual_mov_b32 v5, 0 :: v_dual_and_b32 v16, 0x7f, v24
	s_mov_b32 s15, exec_lo
	s_delay_alu instid0(VALU_DEP_1)
	v_cmpx_ne_u32_e32 0x7f, v16
	s_cbranch_execz .LBB258_1161
; %bb.1158:                             ;   in Loop: Header=BB258_678 Depth=1
	v_and_b32_e32 v6, 7, v24
	v_lshrrev_b32_e32 v4, 3, v16
	s_mov_b32 s16, exec_lo
	v_cmpx_gt_u32_e32 8, v16
; %bb.1159:                             ;   in Loop: Header=BB258_678 Depth=1
	s_delay_alu instid0(VALU_DEP_3) | instskip(NEXT) | instid1(VALU_DEP_1)
	v_clz_i32_u32_e32 v4, v6
	v_min_u32_e32 v4, 32, v4
	s_delay_alu instid0(VALU_DEP_1) | instskip(SKIP_1) | instid1(VALU_DEP_2)
	v_subrev_nc_u32_e32 v5, 28, v4
	v_sub_nc_u32_e32 v4, 29, v4
	v_lshlrev_b64 v[5:6], v5, v[6:7]
	s_delay_alu instid0(VALU_DEP_1)
	v_and_b32_e32 v6, 7, v5
; %bb.1160:                             ;   in Loop: Header=BB258_678 Depth=1
	s_or_b32 exec_lo, exec_lo, s16
	v_lshlrev_b32_e32 v5, 24, v24
	s_delay_alu instid0(VALU_DEP_2) | instskip(SKIP_1) | instid1(VALU_DEP_3)
	v_lshlrev_b32_e32 v6, 20, v6
	v_lshl_add_u32 v4, v4, 23, 0x3c000000
	v_and_b32_e32 v5, 0x80000000, v5
	s_delay_alu instid0(VALU_DEP_1) | instskip(NEXT) | instid1(VALU_DEP_1)
	v_or3_b32 v6, v6, v5, v4
	v_dual_mov_b32 v4, v6 :: v_dual_mov_b32 v5, v7
.LBB258_1161:                           ;   in Loop: Header=BB258_678 Depth=1
	s_or_b32 exec_lo, exec_lo, s15
.LBB258_1162:                           ;   in Loop: Header=BB258_678 Depth=1
	s_delay_alu instid0(SALU_CYCLE_1)
	s_or_b32 exec_lo, exec_lo, s13
.LBB258_1163:                           ;   in Loop: Header=BB258_678 Depth=1
	s_delay_alu instid0(SALU_CYCLE_1) | instskip(SKIP_2) | instid1(VALU_DEP_1)
	s_or_b32 exec_lo, exec_lo, s10
	v_lshrrev_b16 v6, 8, v24
	s_mov_b32 s13, exec_lo
	v_cmpx_ne_u16_e32 0, v6
	s_cbranch_execz .LBB258_1171
; %bb.1164:                             ;   in Loop: Header=BB258_678 Depth=1
	v_dual_mov_b32 v15, s9 :: v_dual_mov_b32 v14, s8
	s_mov_b32 s15, exec_lo
	v_cmpx_ne_u16_e32 0x80, v6
	s_cbranch_execz .LBB258_1170
; %bb.1165:                             ;   in Loop: Header=BB258_678 Depth=1
	s_mov_b32 s10, s8
	v_dual_mov_b32 v15, s11 :: v_dual_and_b32 v6, 0xffff, v6
	v_mov_b32_e32 v14, s10
	s_mov_b32 s10, exec_lo
	s_delay_alu instid0(VALU_DEP_2) | instskip(NEXT) | instid1(VALU_DEP_1)
	v_and_b32_e32 v16, 0x7f, v6
	v_cmpx_ne_u32_e32 0x7f, v16
	s_cbranch_execz .LBB258_1169
; %bb.1166:                             ;   in Loop: Header=BB258_678 Depth=1
	v_and_b32_e32 v6, 7, v6
	v_lshrrev_b32_e32 v14, 3, v16
	s_mov_b32 s16, exec_lo
	v_cmpx_gt_u32_e32 8, v16
; %bb.1167:                             ;   in Loop: Header=BB258_678 Depth=1
	s_delay_alu instid0(VALU_DEP_3) | instskip(NEXT) | instid1(VALU_DEP_1)
	v_clz_i32_u32_e32 v14, v6
	v_min_u32_e32 v14, 32, v14
	s_delay_alu instid0(VALU_DEP_1) | instskip(SKIP_1) | instid1(VALU_DEP_2)
	v_subrev_nc_u32_e32 v15, 28, v14
	v_sub_nc_u32_e32 v14, 29, v14
	v_lshlrev_b64 v[15:16], v15, v[6:7]
	s_delay_alu instid0(VALU_DEP_1)
	v_and_b32_e32 v6, 7, v15
; %bb.1168:                             ;   in Loop: Header=BB258_678 Depth=1
	s_or_b32 exec_lo, exec_lo, s16
	v_lshlrev_b32_e32 v15, 16, v24
	s_delay_alu instid0(VALU_DEP_2) | instskip(SKIP_1) | instid1(VALU_DEP_3)
	v_lshlrev_b32_e32 v6, 20, v6
	v_lshl_add_u32 v14, v14, 23, 0x3c000000
	v_and_b32_e32 v15, 0x80000000, v15
	s_delay_alu instid0(VALU_DEP_1)
	v_or3_b32 v15, v6, v15, v14
	v_mov_b32_e32 v14, v7
.LBB258_1169:                           ;   in Loop: Header=BB258_678 Depth=1
	s_or_b32 exec_lo, exec_lo, s10
.LBB258_1170:                           ;   in Loop: Header=BB258_678 Depth=1
	s_delay_alu instid0(SALU_CYCLE_1)
	s_or_b32 exec_lo, exec_lo, s15
.LBB258_1171:                           ;   in Loop: Header=BB258_678 Depth=1
	s_delay_alu instid0(SALU_CYCLE_1) | instskip(SKIP_4) | instid1(VALU_DEP_2)
	s_or_b32 exec_lo, exec_lo, s13
	v_mov_b32_e32 v18, 0
	v_lshrrev_b32_e32 v43, 16, v24
	v_mov_b32_e32 v19, 0
	s_mov_b32 s10, exec_lo
	v_and_b32_e32 v6, 0xff, v43
	s_delay_alu instid0(VALU_DEP_2) | instskip(NEXT) | instid1(VALU_DEP_2)
	v_dual_mov_b32 v16, v18 :: v_dual_mov_b32 v17, v19
	v_cmpx_ne_u16_e32 0, v6
	s_cbranch_execz .LBB258_1179
; %bb.1172:                             ;   in Loop: Header=BB258_678 Depth=1
	v_bfrev_b32_e32 v16, 1
	v_mov_b32_e32 v17, 0
	s_mov_b32 s13, exec_lo
	v_cmpx_ne_u16_e32 0x80, v6
	s_cbranch_execz .LBB258_1178
; %bb.1173:                             ;   in Loop: Header=BB258_678 Depth=1
	v_mov_b32_e32 v16, 0x7f800001
	v_bfe_u32 v134, v24, 16, 7
	v_mov_b32_e32 v17, 0
	s_mov_b32 s15, exec_lo
	s_delay_alu instid0(VALU_DEP_2)
	v_cmpx_ne_u32_e32 0x7f, v134
	s_cbranch_execz .LBB258_1177
; %bb.1174:                             ;   in Loop: Header=BB258_678 Depth=1
	v_and_b32_e32 v6, 7, v43
	v_lshrrev_b32_e32 v16, 3, v134
	s_mov_b32 s16, exec_lo
	v_cmpx_gt_u32_e32 8, v134
; %bb.1175:                             ;   in Loop: Header=BB258_678 Depth=1
	s_delay_alu instid0(VALU_DEP_3) | instskip(NEXT) | instid1(VALU_DEP_1)
	v_clz_i32_u32_e32 v16, v6
	v_min_u32_e32 v16, 32, v16
	s_delay_alu instid0(VALU_DEP_1) | instskip(SKIP_1) | instid1(VALU_DEP_2)
	v_subrev_nc_u32_e32 v17, 28, v16
	v_sub_nc_u32_e32 v16, 29, v16
	v_lshlrev_b64 v[44:45], v17, v[6:7]
	s_delay_alu instid0(VALU_DEP_1)
	v_and_b32_e32 v6, 7, v44
; %bb.1176:                             ;   in Loop: Header=BB258_678 Depth=1
	s_or_b32 exec_lo, exec_lo, s16
	v_lshlrev_b32_e32 v17, 24, v43
	s_delay_alu instid0(VALU_DEP_2) | instskip(SKIP_1) | instid1(VALU_DEP_3)
	v_lshlrev_b32_e32 v6, 20, v6
	v_lshl_add_u32 v16, v16, 23, 0x3c000000
	v_and_b32_e32 v17, 0x80000000, v17
	s_delay_alu instid0(VALU_DEP_1) | instskip(NEXT) | instid1(VALU_DEP_1)
	v_or3_b32 v6, v6, v17, v16
	v_dual_mov_b32 v17, v7 :: v_dual_mov_b32 v16, v6
.LBB258_1177:                           ;   in Loop: Header=BB258_678 Depth=1
	s_or_b32 exec_lo, exec_lo, s15
.LBB258_1178:                           ;   in Loop: Header=BB258_678 Depth=1
	s_delay_alu instid0(SALU_CYCLE_1)
	s_or_b32 exec_lo, exec_lo, s13
.LBB258_1179:                           ;   in Loop: Header=BB258_678 Depth=1
	s_delay_alu instid0(SALU_CYCLE_1) | instskip(NEXT) | instid1(SALU_CYCLE_1)
	s_or_b32 exec_lo, exec_lo, s10
	s_mov_b32 s13, exec_lo
	v_cmpx_lt_u32_e32 0xffffff, v24
	s_cbranch_execz .LBB258_1187
; %bb.1180:                             ;   in Loop: Header=BB258_678 Depth=1
	v_lshrrev_b32_e32 v43, 24, v24
	v_dual_mov_b32 v19, s9 :: v_dual_mov_b32 v18, s8
	s_mov_b32 s15, exec_lo
	s_delay_alu instid0(VALU_DEP_2)
	v_cmpx_ne_u32_e32 0x80, v43
	s_cbranch_execz .LBB258_1186
; %bb.1181:                             ;   in Loop: Header=BB258_678 Depth=1
	s_mov_b32 s10, s8
	v_bfe_u32 v24, v24, 24, 7
	v_dual_mov_b32 v19, s11 :: v_dual_mov_b32 v18, s10
	s_mov_b32 s10, exec_lo
	s_delay_alu instid0(VALU_DEP_2)
	v_cmpx_ne_u32_e32 0x7f, v24
	s_cbranch_execz .LBB258_1185
; %bb.1182:                             ;   in Loop: Header=BB258_678 Depth=1
	v_and_b32_e32 v6, 7, v43
	v_lshrrev_b32_e32 v18, 3, v24
	s_mov_b32 s16, exec_lo
	v_cmpx_gt_u32_e32 8, v24
; %bb.1183:                             ;   in Loop: Header=BB258_678 Depth=1
	s_delay_alu instid0(VALU_DEP_3) | instskip(NEXT) | instid1(VALU_DEP_1)
	v_clz_i32_u32_e32 v18, v6
	v_min_u32_e32 v18, 32, v18
	s_delay_alu instid0(VALU_DEP_1) | instskip(SKIP_1) | instid1(VALU_DEP_2)
	v_subrev_nc_u32_e32 v19, 28, v18
	v_sub_nc_u32_e32 v18, 29, v18
	v_lshlrev_b64 v[44:45], v19, v[6:7]
	s_delay_alu instid0(VALU_DEP_1)
	v_and_b32_e32 v6, 7, v44
; %bb.1184:                             ;   in Loop: Header=BB258_678 Depth=1
	s_or_b32 exec_lo, exec_lo, s16
	v_lshlrev_b32_e32 v19, 24, v43
	s_delay_alu instid0(VALU_DEP_2) | instskip(SKIP_1) | instid1(VALU_DEP_3)
	v_lshlrev_b32_e32 v6, 20, v6
	v_lshl_add_u32 v18, v18, 23, 0x3c000000
	v_and_b32_e32 v19, 0x80000000, v19
	s_delay_alu instid0(VALU_DEP_1)
	v_or3_b32 v19, v6, v19, v18
	v_mov_b32_e32 v18, v7
.LBB258_1185:                           ;   in Loop: Header=BB258_678 Depth=1
	s_or_b32 exec_lo, exec_lo, s10
.LBB258_1186:                           ;   in Loop: Header=BB258_678 Depth=1
	s_delay_alu instid0(SALU_CYCLE_1)
	s_or_b32 exec_lo, exec_lo, s15
.LBB258_1187:                           ;   in Loop: Header=BB258_678 Depth=1
	s_delay_alu instid0(SALU_CYCLE_1) | instskip(SKIP_4) | instid1(VALU_DEP_4)
	s_or_b32 exec_lo, exec_lo, s13
	v_or_b32_e32 v5, v15, v5
	v_or_b32_e32 v4, v14, v4
	;; [unrolled: 1-line block ×4, first 2 shown]
	v_mul_f32_e32 v46, v67, v5
	s_delay_alu instid0(VALU_DEP_4) | instskip(NEXT) | instid1(VALU_DEP_4)
	v_mul_f32_e32 v45, v67, v4
	v_mul_f32_e32 v43, v67, v6
	s_delay_alu instid0(VALU_DEP_4)
	v_mul_f32_e32 v44, v67, v14
	s_and_saveexec_b32 s10, vcc_lo
; %bb.1188:                             ;   in Loop: Header=BB258_678 Depth=1
	v_cmp_lt_i32_e64 s0, v80, v135
	s_delay_alu instid0(VALU_DEP_1) | instskip(SKIP_1) | instid1(VALU_DEP_1)
	v_cndmask_b32_e64 v45, 0, v45, s0
	v_cmp_lt_i32_e64 s0, v83, v135
	v_cndmask_b32_e64 v46, 0, v46, s0
	v_cmp_lt_i32_e64 s0, v82, v135
	s_delay_alu instid0(VALU_DEP_1) | instskip(SKIP_1) | instid1(VALU_DEP_1)
	v_cndmask_b32_e64 v44, 0, v44, s0
	v_cmp_lt_i32_e64 s0, v81, v135
	v_cndmask_b32_e64 v43, 0, v43, s0
; %bb.1189:                             ;   in Loop: Header=BB258_678 Depth=1
	s_or_b32 exec_lo, exec_lo, s10
	flat_load_b32 v24, v[12:13] offset:1920
	v_mov_b32_e32 v14, 0
	v_mov_b32_e32 v15, 0
	s_mov_b32 s10, exec_lo
	s_waitcnt vmcnt(0) lgkmcnt(0)
	v_and_b32_e32 v6, 0xff, v24
	s_delay_alu instid0(VALU_DEP_2) | instskip(NEXT) | instid1(VALU_DEP_2)
	v_dual_mov_b32 v4, v14 :: v_dual_mov_b32 v5, v15
	v_cmpx_ne_u16_e32 0, v6
	s_cbranch_execz .LBB258_1197
; %bb.1190:                             ;   in Loop: Header=BB258_678 Depth=1
	v_bfrev_b32_e32 v4, 1
	v_mov_b32_e32 v5, 0
	s_mov_b32 s13, exec_lo
	v_cmpx_ne_u16_e32 0x80, v6
	s_cbranch_execz .LBB258_1196
; %bb.1191:                             ;   in Loop: Header=BB258_678 Depth=1
	v_mov_b32_e32 v4, 0x7f800001
	v_dual_mov_b32 v5, 0 :: v_dual_and_b32 v16, 0x7f, v24
	s_mov_b32 s15, exec_lo
	s_delay_alu instid0(VALU_DEP_1)
	v_cmpx_ne_u32_e32 0x7f, v16
	s_cbranch_execz .LBB258_1195
; %bb.1192:                             ;   in Loop: Header=BB258_678 Depth=1
	v_and_b32_e32 v6, 7, v24
	v_lshrrev_b32_e32 v4, 3, v16
	s_mov_b32 s16, exec_lo
	v_cmpx_gt_u32_e32 8, v16
; %bb.1193:                             ;   in Loop: Header=BB258_678 Depth=1
	s_delay_alu instid0(VALU_DEP_3) | instskip(NEXT) | instid1(VALU_DEP_1)
	v_clz_i32_u32_e32 v4, v6
	v_min_u32_e32 v4, 32, v4
	s_delay_alu instid0(VALU_DEP_1) | instskip(SKIP_1) | instid1(VALU_DEP_2)
	v_subrev_nc_u32_e32 v5, 28, v4
	v_sub_nc_u32_e32 v4, 29, v4
	v_lshlrev_b64 v[5:6], v5, v[6:7]
	s_delay_alu instid0(VALU_DEP_1)
	v_and_b32_e32 v6, 7, v5
; %bb.1194:                             ;   in Loop: Header=BB258_678 Depth=1
	s_or_b32 exec_lo, exec_lo, s16
	v_lshlrev_b32_e32 v5, 24, v24
	s_delay_alu instid0(VALU_DEP_2) | instskip(SKIP_1) | instid1(VALU_DEP_3)
	v_lshlrev_b32_e32 v6, 20, v6
	v_lshl_add_u32 v4, v4, 23, 0x3c000000
	v_and_b32_e32 v5, 0x80000000, v5
	s_delay_alu instid0(VALU_DEP_1) | instskip(NEXT) | instid1(VALU_DEP_1)
	v_or3_b32 v6, v6, v5, v4
	v_dual_mov_b32 v4, v6 :: v_dual_mov_b32 v5, v7
.LBB258_1195:                           ;   in Loop: Header=BB258_678 Depth=1
	s_or_b32 exec_lo, exec_lo, s15
.LBB258_1196:                           ;   in Loop: Header=BB258_678 Depth=1
	s_delay_alu instid0(SALU_CYCLE_1)
	s_or_b32 exec_lo, exec_lo, s13
.LBB258_1197:                           ;   in Loop: Header=BB258_678 Depth=1
	s_delay_alu instid0(SALU_CYCLE_1) | instskip(SKIP_2) | instid1(VALU_DEP_1)
	s_or_b32 exec_lo, exec_lo, s10
	v_lshrrev_b16 v6, 8, v24
	s_mov_b32 s13, exec_lo
	v_cmpx_ne_u16_e32 0, v6
	s_cbranch_execz .LBB258_1205
; %bb.1198:                             ;   in Loop: Header=BB258_678 Depth=1
	v_dual_mov_b32 v15, s9 :: v_dual_mov_b32 v14, s8
	s_mov_b32 s15, exec_lo
	v_cmpx_ne_u16_e32 0x80, v6
	s_cbranch_execz .LBB258_1204
; %bb.1199:                             ;   in Loop: Header=BB258_678 Depth=1
	s_mov_b32 s10, s8
	v_dual_mov_b32 v15, s11 :: v_dual_and_b32 v6, 0xffff, v6
	v_mov_b32_e32 v14, s10
	s_mov_b32 s10, exec_lo
	s_delay_alu instid0(VALU_DEP_2) | instskip(NEXT) | instid1(VALU_DEP_1)
	v_and_b32_e32 v16, 0x7f, v6
	v_cmpx_ne_u32_e32 0x7f, v16
	s_cbranch_execz .LBB258_1203
; %bb.1200:                             ;   in Loop: Header=BB258_678 Depth=1
	v_and_b32_e32 v6, 7, v6
	v_lshrrev_b32_e32 v14, 3, v16
	s_mov_b32 s16, exec_lo
	v_cmpx_gt_u32_e32 8, v16
; %bb.1201:                             ;   in Loop: Header=BB258_678 Depth=1
	s_delay_alu instid0(VALU_DEP_3) | instskip(NEXT) | instid1(VALU_DEP_1)
	v_clz_i32_u32_e32 v14, v6
	v_min_u32_e32 v14, 32, v14
	s_delay_alu instid0(VALU_DEP_1) | instskip(SKIP_1) | instid1(VALU_DEP_2)
	v_subrev_nc_u32_e32 v15, 28, v14
	v_sub_nc_u32_e32 v14, 29, v14
	v_lshlrev_b64 v[15:16], v15, v[6:7]
	s_delay_alu instid0(VALU_DEP_1)
	v_and_b32_e32 v6, 7, v15
; %bb.1202:                             ;   in Loop: Header=BB258_678 Depth=1
	s_or_b32 exec_lo, exec_lo, s16
	v_lshlrev_b32_e32 v15, 16, v24
	s_delay_alu instid0(VALU_DEP_2) | instskip(SKIP_1) | instid1(VALU_DEP_3)
	v_lshlrev_b32_e32 v6, 20, v6
	v_lshl_add_u32 v14, v14, 23, 0x3c000000
	v_and_b32_e32 v15, 0x80000000, v15
	s_delay_alu instid0(VALU_DEP_1)
	v_or3_b32 v15, v6, v15, v14
	v_mov_b32_e32 v14, v7
.LBB258_1203:                           ;   in Loop: Header=BB258_678 Depth=1
	s_or_b32 exec_lo, exec_lo, s10
.LBB258_1204:                           ;   in Loop: Header=BB258_678 Depth=1
	s_delay_alu instid0(SALU_CYCLE_1)
	s_or_b32 exec_lo, exec_lo, s15
.LBB258_1205:                           ;   in Loop: Header=BB258_678 Depth=1
	s_delay_alu instid0(SALU_CYCLE_1) | instskip(SKIP_4) | instid1(VALU_DEP_2)
	s_or_b32 exec_lo, exec_lo, s13
	v_mov_b32_e32 v18, 0
	v_lshrrev_b32_e32 v47, 16, v24
	v_mov_b32_e32 v19, 0
	s_mov_b32 s10, exec_lo
	v_and_b32_e32 v6, 0xff, v47
	s_delay_alu instid0(VALU_DEP_2) | instskip(NEXT) | instid1(VALU_DEP_2)
	v_dual_mov_b32 v16, v18 :: v_dual_mov_b32 v17, v19
	v_cmpx_ne_u16_e32 0, v6
	s_cbranch_execz .LBB258_1213
; %bb.1206:                             ;   in Loop: Header=BB258_678 Depth=1
	v_bfrev_b32_e32 v16, 1
	v_mov_b32_e32 v17, 0
	s_mov_b32 s13, exec_lo
	v_cmpx_ne_u16_e32 0x80, v6
	s_cbranch_execz .LBB258_1212
; %bb.1207:                             ;   in Loop: Header=BB258_678 Depth=1
	v_mov_b32_e32 v16, 0x7f800001
	v_bfe_u32 v134, v24, 16, 7
	v_mov_b32_e32 v17, 0
	s_mov_b32 s15, exec_lo
	s_delay_alu instid0(VALU_DEP_2)
	v_cmpx_ne_u32_e32 0x7f, v134
	s_cbranch_execz .LBB258_1211
; %bb.1208:                             ;   in Loop: Header=BB258_678 Depth=1
	v_and_b32_e32 v6, 7, v47
	v_lshrrev_b32_e32 v16, 3, v134
	s_mov_b32 s16, exec_lo
	v_cmpx_gt_u32_e32 8, v134
; %bb.1209:                             ;   in Loop: Header=BB258_678 Depth=1
	s_delay_alu instid0(VALU_DEP_3) | instskip(NEXT) | instid1(VALU_DEP_1)
	v_clz_i32_u32_e32 v16, v6
	v_min_u32_e32 v16, 32, v16
	s_delay_alu instid0(VALU_DEP_1) | instskip(SKIP_1) | instid1(VALU_DEP_2)
	v_subrev_nc_u32_e32 v17, 28, v16
	v_sub_nc_u32_e32 v16, 29, v16
	v_lshlrev_b64 v[56:57], v17, v[6:7]
	s_delay_alu instid0(VALU_DEP_1)
	v_and_b32_e32 v6, 7, v56
; %bb.1210:                             ;   in Loop: Header=BB258_678 Depth=1
	s_or_b32 exec_lo, exec_lo, s16
	v_lshlrev_b32_e32 v17, 24, v47
	s_delay_alu instid0(VALU_DEP_2) | instskip(SKIP_1) | instid1(VALU_DEP_3)
	v_lshlrev_b32_e32 v6, 20, v6
	v_lshl_add_u32 v16, v16, 23, 0x3c000000
	v_and_b32_e32 v17, 0x80000000, v17
	s_delay_alu instid0(VALU_DEP_1) | instskip(NEXT) | instid1(VALU_DEP_1)
	v_or3_b32 v6, v6, v17, v16
	v_dual_mov_b32 v17, v7 :: v_dual_mov_b32 v16, v6
.LBB258_1211:                           ;   in Loop: Header=BB258_678 Depth=1
	s_or_b32 exec_lo, exec_lo, s15
.LBB258_1212:                           ;   in Loop: Header=BB258_678 Depth=1
	s_delay_alu instid0(SALU_CYCLE_1)
	s_or_b32 exec_lo, exec_lo, s13
.LBB258_1213:                           ;   in Loop: Header=BB258_678 Depth=1
	s_delay_alu instid0(SALU_CYCLE_1) | instskip(NEXT) | instid1(SALU_CYCLE_1)
	s_or_b32 exec_lo, exec_lo, s10
	s_mov_b32 s13, exec_lo
	v_cmpx_lt_u32_e32 0xffffff, v24
	s_cbranch_execz .LBB258_1221
; %bb.1214:                             ;   in Loop: Header=BB258_678 Depth=1
	v_lshrrev_b32_e32 v47, 24, v24
	v_dual_mov_b32 v19, s9 :: v_dual_mov_b32 v18, s8
	s_mov_b32 s15, exec_lo
	s_delay_alu instid0(VALU_DEP_2)
	v_cmpx_ne_u32_e32 0x80, v47
	s_cbranch_execz .LBB258_1220
; %bb.1215:                             ;   in Loop: Header=BB258_678 Depth=1
	s_mov_b32 s10, s8
	v_bfe_u32 v24, v24, 24, 7
	v_dual_mov_b32 v19, s11 :: v_dual_mov_b32 v18, s10
	s_mov_b32 s10, exec_lo
	s_delay_alu instid0(VALU_DEP_2)
	v_cmpx_ne_u32_e32 0x7f, v24
	s_cbranch_execz .LBB258_1219
; %bb.1216:                             ;   in Loop: Header=BB258_678 Depth=1
	v_and_b32_e32 v6, 7, v47
	v_lshrrev_b32_e32 v18, 3, v24
	s_mov_b32 s16, exec_lo
	v_cmpx_gt_u32_e32 8, v24
; %bb.1217:                             ;   in Loop: Header=BB258_678 Depth=1
	s_delay_alu instid0(VALU_DEP_3) | instskip(NEXT) | instid1(VALU_DEP_1)
	v_clz_i32_u32_e32 v18, v6
	v_min_u32_e32 v18, 32, v18
	s_delay_alu instid0(VALU_DEP_1) | instskip(SKIP_1) | instid1(VALU_DEP_2)
	v_subrev_nc_u32_e32 v19, 28, v18
	v_sub_nc_u32_e32 v18, 29, v18
	v_lshlrev_b64 v[56:57], v19, v[6:7]
	s_delay_alu instid0(VALU_DEP_1)
	v_and_b32_e32 v6, 7, v56
; %bb.1218:                             ;   in Loop: Header=BB258_678 Depth=1
	s_or_b32 exec_lo, exec_lo, s16
	v_lshlrev_b32_e32 v19, 24, v47
	s_delay_alu instid0(VALU_DEP_2) | instskip(SKIP_1) | instid1(VALU_DEP_3)
	v_lshlrev_b32_e32 v6, 20, v6
	v_lshl_add_u32 v18, v18, 23, 0x3c000000
	v_and_b32_e32 v19, 0x80000000, v19
	s_delay_alu instid0(VALU_DEP_1)
	v_or3_b32 v19, v6, v19, v18
	v_mov_b32_e32 v18, v7
.LBB258_1219:                           ;   in Loop: Header=BB258_678 Depth=1
	s_or_b32 exec_lo, exec_lo, s10
.LBB258_1220:                           ;   in Loop: Header=BB258_678 Depth=1
	s_delay_alu instid0(SALU_CYCLE_1)
	s_or_b32 exec_lo, exec_lo, s15
.LBB258_1221:                           ;   in Loop: Header=BB258_678 Depth=1
	s_delay_alu instid0(SALU_CYCLE_1) | instskip(SKIP_4) | instid1(VALU_DEP_4)
	s_or_b32 exec_lo, exec_lo, s13
	v_or_b32_e32 v5, v15, v5
	v_or_b32_e32 v4, v14, v4
	v_or_b32_e32 v6, v19, v17
	v_or_b32_e32 v14, v18, v16
	v_mul_f32_e32 v58, v67, v5
	s_delay_alu instid0(VALU_DEP_4) | instskip(NEXT) | instid1(VALU_DEP_4)
	v_mul_f32_e32 v57, v67, v4
	v_mul_f32_e32 v47, v67, v6
	s_delay_alu instid0(VALU_DEP_4)
	v_mul_f32_e32 v56, v67, v14
	s_and_saveexec_b32 s10, vcc_lo
; %bb.1222:                             ;   in Loop: Header=BB258_678 Depth=1
	v_cmp_lt_i32_e64 s0, v80, v135
	s_delay_alu instid0(VALU_DEP_1) | instskip(SKIP_1) | instid1(VALU_DEP_1)
	v_cndmask_b32_e64 v57, 0, v57, s0
	v_cmp_lt_i32_e64 s0, v83, v135
	v_cndmask_b32_e64 v58, 0, v58, s0
	v_cmp_lt_i32_e64 s0, v82, v135
	s_delay_alu instid0(VALU_DEP_1) | instskip(SKIP_1) | instid1(VALU_DEP_1)
	v_cndmask_b32_e64 v56, 0, v56, s0
	v_cmp_lt_i32_e64 s0, v81, v135
	v_cndmask_b32_e64 v47, 0, v47, s0
; %bb.1223:                             ;   in Loop: Header=BB258_678 Depth=1
	s_or_b32 exec_lo, exec_lo, s10
	flat_load_b32 v24, v[12:13] offset:2048
	v_mov_b32_e32 v14, 0
	v_mov_b32_e32 v15, 0
	s_mov_b32 s10, exec_lo
	s_waitcnt vmcnt(0) lgkmcnt(0)
	v_and_b32_e32 v6, 0xff, v24
	s_delay_alu instid0(VALU_DEP_2) | instskip(NEXT) | instid1(VALU_DEP_2)
	v_dual_mov_b32 v4, v14 :: v_dual_mov_b32 v5, v15
	v_cmpx_ne_u16_e32 0, v6
	s_cbranch_execz .LBB258_1231
; %bb.1224:                             ;   in Loop: Header=BB258_678 Depth=1
	v_bfrev_b32_e32 v4, 1
	v_mov_b32_e32 v5, 0
	s_mov_b32 s13, exec_lo
	v_cmpx_ne_u16_e32 0x80, v6
	s_cbranch_execz .LBB258_1230
; %bb.1225:                             ;   in Loop: Header=BB258_678 Depth=1
	v_mov_b32_e32 v4, 0x7f800001
	v_dual_mov_b32 v5, 0 :: v_dual_and_b32 v16, 0x7f, v24
	s_mov_b32 s15, exec_lo
	s_delay_alu instid0(VALU_DEP_1)
	v_cmpx_ne_u32_e32 0x7f, v16
	s_cbranch_execz .LBB258_1229
; %bb.1226:                             ;   in Loop: Header=BB258_678 Depth=1
	v_and_b32_e32 v6, 7, v24
	v_lshrrev_b32_e32 v4, 3, v16
	s_mov_b32 s16, exec_lo
	v_cmpx_gt_u32_e32 8, v16
; %bb.1227:                             ;   in Loop: Header=BB258_678 Depth=1
	s_delay_alu instid0(VALU_DEP_3) | instskip(NEXT) | instid1(VALU_DEP_1)
	v_clz_i32_u32_e32 v4, v6
	v_min_u32_e32 v4, 32, v4
	s_delay_alu instid0(VALU_DEP_1) | instskip(SKIP_1) | instid1(VALU_DEP_2)
	v_subrev_nc_u32_e32 v5, 28, v4
	v_sub_nc_u32_e32 v4, 29, v4
	v_lshlrev_b64 v[5:6], v5, v[6:7]
	s_delay_alu instid0(VALU_DEP_1)
	v_and_b32_e32 v6, 7, v5
; %bb.1228:                             ;   in Loop: Header=BB258_678 Depth=1
	s_or_b32 exec_lo, exec_lo, s16
	v_lshlrev_b32_e32 v5, 24, v24
	s_delay_alu instid0(VALU_DEP_2) | instskip(SKIP_1) | instid1(VALU_DEP_3)
	v_lshlrev_b32_e32 v6, 20, v6
	v_lshl_add_u32 v4, v4, 23, 0x3c000000
	v_and_b32_e32 v5, 0x80000000, v5
	s_delay_alu instid0(VALU_DEP_1) | instskip(NEXT) | instid1(VALU_DEP_1)
	v_or3_b32 v6, v6, v5, v4
	v_dual_mov_b32 v4, v6 :: v_dual_mov_b32 v5, v7
.LBB258_1229:                           ;   in Loop: Header=BB258_678 Depth=1
	s_or_b32 exec_lo, exec_lo, s15
.LBB258_1230:                           ;   in Loop: Header=BB258_678 Depth=1
	s_delay_alu instid0(SALU_CYCLE_1)
	s_or_b32 exec_lo, exec_lo, s13
.LBB258_1231:                           ;   in Loop: Header=BB258_678 Depth=1
	s_delay_alu instid0(SALU_CYCLE_1) | instskip(SKIP_2) | instid1(VALU_DEP_1)
	s_or_b32 exec_lo, exec_lo, s10
	v_lshrrev_b16 v6, 8, v24
	s_mov_b32 s13, exec_lo
	v_cmpx_ne_u16_e32 0, v6
	s_cbranch_execz .LBB258_1239
; %bb.1232:                             ;   in Loop: Header=BB258_678 Depth=1
	v_dual_mov_b32 v15, s9 :: v_dual_mov_b32 v14, s8
	s_mov_b32 s15, exec_lo
	v_cmpx_ne_u16_e32 0x80, v6
	s_cbranch_execz .LBB258_1238
; %bb.1233:                             ;   in Loop: Header=BB258_678 Depth=1
	s_mov_b32 s10, s8
	v_dual_mov_b32 v15, s11 :: v_dual_and_b32 v6, 0xffff, v6
	v_mov_b32_e32 v14, s10
	s_mov_b32 s10, exec_lo
	s_delay_alu instid0(VALU_DEP_2) | instskip(NEXT) | instid1(VALU_DEP_1)
	v_and_b32_e32 v16, 0x7f, v6
	v_cmpx_ne_u32_e32 0x7f, v16
	s_cbranch_execz .LBB258_1237
; %bb.1234:                             ;   in Loop: Header=BB258_678 Depth=1
	v_and_b32_e32 v6, 7, v6
	v_lshrrev_b32_e32 v14, 3, v16
	s_mov_b32 s16, exec_lo
	v_cmpx_gt_u32_e32 8, v16
; %bb.1235:                             ;   in Loop: Header=BB258_678 Depth=1
	s_delay_alu instid0(VALU_DEP_3) | instskip(NEXT) | instid1(VALU_DEP_1)
	v_clz_i32_u32_e32 v14, v6
	v_min_u32_e32 v14, 32, v14
	s_delay_alu instid0(VALU_DEP_1) | instskip(SKIP_1) | instid1(VALU_DEP_2)
	v_subrev_nc_u32_e32 v15, 28, v14
	v_sub_nc_u32_e32 v14, 29, v14
	v_lshlrev_b64 v[15:16], v15, v[6:7]
	s_delay_alu instid0(VALU_DEP_1)
	v_and_b32_e32 v6, 7, v15
; %bb.1236:                             ;   in Loop: Header=BB258_678 Depth=1
	s_or_b32 exec_lo, exec_lo, s16
	v_lshlrev_b32_e32 v15, 16, v24
	s_delay_alu instid0(VALU_DEP_2) | instskip(SKIP_1) | instid1(VALU_DEP_3)
	v_lshlrev_b32_e32 v6, 20, v6
	v_lshl_add_u32 v14, v14, 23, 0x3c000000
	v_and_b32_e32 v15, 0x80000000, v15
	s_delay_alu instid0(VALU_DEP_1)
	v_or3_b32 v15, v6, v15, v14
	v_mov_b32_e32 v14, v7
.LBB258_1237:                           ;   in Loop: Header=BB258_678 Depth=1
	s_or_b32 exec_lo, exec_lo, s10
.LBB258_1238:                           ;   in Loop: Header=BB258_678 Depth=1
	s_delay_alu instid0(SALU_CYCLE_1)
	s_or_b32 exec_lo, exec_lo, s15
.LBB258_1239:                           ;   in Loop: Header=BB258_678 Depth=1
	s_delay_alu instid0(SALU_CYCLE_1) | instskip(SKIP_4) | instid1(VALU_DEP_2)
	s_or_b32 exec_lo, exec_lo, s13
	v_mov_b32_e32 v18, 0
	v_lshrrev_b32_e32 v59, 16, v24
	v_mov_b32_e32 v19, 0
	s_mov_b32 s10, exec_lo
	v_and_b32_e32 v6, 0xff, v59
	s_delay_alu instid0(VALU_DEP_2) | instskip(NEXT) | instid1(VALU_DEP_2)
	v_dual_mov_b32 v16, v18 :: v_dual_mov_b32 v17, v19
	v_cmpx_ne_u16_e32 0, v6
	s_cbranch_execz .LBB258_1247
; %bb.1240:                             ;   in Loop: Header=BB258_678 Depth=1
	v_bfrev_b32_e32 v16, 1
	v_mov_b32_e32 v17, 0
	s_mov_b32 s13, exec_lo
	v_cmpx_ne_u16_e32 0x80, v6
	s_cbranch_execz .LBB258_1246
; %bb.1241:                             ;   in Loop: Header=BB258_678 Depth=1
	v_mov_b32_e32 v16, 0x7f800001
	v_bfe_u32 v134, v24, 16, 7
	v_mov_b32_e32 v17, 0
	s_mov_b32 s15, exec_lo
	s_delay_alu instid0(VALU_DEP_2)
	v_cmpx_ne_u32_e32 0x7f, v134
	s_cbranch_execz .LBB258_1245
; %bb.1242:                             ;   in Loop: Header=BB258_678 Depth=1
	v_and_b32_e32 v6, 7, v59
	v_lshrrev_b32_e32 v16, 3, v134
	s_mov_b32 s16, exec_lo
	v_cmpx_gt_u32_e32 8, v134
; %bb.1243:                             ;   in Loop: Header=BB258_678 Depth=1
	s_delay_alu instid0(VALU_DEP_3) | instskip(NEXT) | instid1(VALU_DEP_1)
	v_clz_i32_u32_e32 v16, v6
	v_min_u32_e32 v16, 32, v16
	s_delay_alu instid0(VALU_DEP_1) | instskip(SKIP_1) | instid1(VALU_DEP_2)
	v_subrev_nc_u32_e32 v17, 28, v16
	v_sub_nc_u32_e32 v16, 29, v16
	v_lshlrev_b64 v[60:61], v17, v[6:7]
	s_delay_alu instid0(VALU_DEP_1)
	v_and_b32_e32 v6, 7, v60
; %bb.1244:                             ;   in Loop: Header=BB258_678 Depth=1
	s_or_b32 exec_lo, exec_lo, s16
	v_lshlrev_b32_e32 v17, 24, v59
	s_delay_alu instid0(VALU_DEP_2) | instskip(SKIP_1) | instid1(VALU_DEP_3)
	v_lshlrev_b32_e32 v6, 20, v6
	v_lshl_add_u32 v16, v16, 23, 0x3c000000
	v_and_b32_e32 v17, 0x80000000, v17
	s_delay_alu instid0(VALU_DEP_1) | instskip(NEXT) | instid1(VALU_DEP_1)
	v_or3_b32 v6, v6, v17, v16
	v_dual_mov_b32 v17, v7 :: v_dual_mov_b32 v16, v6
.LBB258_1245:                           ;   in Loop: Header=BB258_678 Depth=1
	s_or_b32 exec_lo, exec_lo, s15
.LBB258_1246:                           ;   in Loop: Header=BB258_678 Depth=1
	s_delay_alu instid0(SALU_CYCLE_1)
	s_or_b32 exec_lo, exec_lo, s13
.LBB258_1247:                           ;   in Loop: Header=BB258_678 Depth=1
	s_delay_alu instid0(SALU_CYCLE_1) | instskip(NEXT) | instid1(SALU_CYCLE_1)
	s_or_b32 exec_lo, exec_lo, s10
	s_mov_b32 s13, exec_lo
	v_cmpx_lt_u32_e32 0xffffff, v24
	s_cbranch_execz .LBB258_1255
; %bb.1248:                             ;   in Loop: Header=BB258_678 Depth=1
	v_lshrrev_b32_e32 v59, 24, v24
	v_dual_mov_b32 v19, s9 :: v_dual_mov_b32 v18, s8
	s_mov_b32 s15, exec_lo
	s_delay_alu instid0(VALU_DEP_2)
	v_cmpx_ne_u32_e32 0x80, v59
	s_cbranch_execz .LBB258_1254
; %bb.1249:                             ;   in Loop: Header=BB258_678 Depth=1
	s_mov_b32 s10, s8
	v_bfe_u32 v24, v24, 24, 7
	v_dual_mov_b32 v19, s11 :: v_dual_mov_b32 v18, s10
	s_mov_b32 s10, exec_lo
	s_delay_alu instid0(VALU_DEP_2)
	v_cmpx_ne_u32_e32 0x7f, v24
	s_cbranch_execz .LBB258_1253
; %bb.1250:                             ;   in Loop: Header=BB258_678 Depth=1
	v_and_b32_e32 v6, 7, v59
	v_lshrrev_b32_e32 v18, 3, v24
	s_mov_b32 s16, exec_lo
	v_cmpx_gt_u32_e32 8, v24
; %bb.1251:                             ;   in Loop: Header=BB258_678 Depth=1
	s_delay_alu instid0(VALU_DEP_3) | instskip(NEXT) | instid1(VALU_DEP_1)
	v_clz_i32_u32_e32 v18, v6
	v_min_u32_e32 v18, 32, v18
	s_delay_alu instid0(VALU_DEP_1) | instskip(SKIP_1) | instid1(VALU_DEP_2)
	v_subrev_nc_u32_e32 v19, 28, v18
	v_sub_nc_u32_e32 v18, 29, v18
	v_lshlrev_b64 v[60:61], v19, v[6:7]
	s_delay_alu instid0(VALU_DEP_1)
	v_and_b32_e32 v6, 7, v60
; %bb.1252:                             ;   in Loop: Header=BB258_678 Depth=1
	s_or_b32 exec_lo, exec_lo, s16
	v_lshlrev_b32_e32 v19, 24, v59
	s_delay_alu instid0(VALU_DEP_2) | instskip(SKIP_1) | instid1(VALU_DEP_3)
	v_lshlrev_b32_e32 v6, 20, v6
	v_lshl_add_u32 v18, v18, 23, 0x3c000000
	v_and_b32_e32 v19, 0x80000000, v19
	s_delay_alu instid0(VALU_DEP_1)
	v_or3_b32 v19, v6, v19, v18
	v_mov_b32_e32 v18, v7
.LBB258_1253:                           ;   in Loop: Header=BB258_678 Depth=1
	s_or_b32 exec_lo, exec_lo, s10
.LBB258_1254:                           ;   in Loop: Header=BB258_678 Depth=1
	s_delay_alu instid0(SALU_CYCLE_1)
	s_or_b32 exec_lo, exec_lo, s15
.LBB258_1255:                           ;   in Loop: Header=BB258_678 Depth=1
	s_delay_alu instid0(SALU_CYCLE_1) | instskip(SKIP_4) | instid1(VALU_DEP_4)
	s_or_b32 exec_lo, exec_lo, s13
	v_or_b32_e32 v5, v15, v5
	v_or_b32_e32 v4, v14, v4
	;; [unrolled: 1-line block ×4, first 2 shown]
	v_mul_f32_e32 v62, v67, v5
	s_delay_alu instid0(VALU_DEP_4) | instskip(NEXT) | instid1(VALU_DEP_4)
	v_mul_f32_e32 v61, v67, v4
	v_mul_f32_e32 v59, v67, v6
	s_delay_alu instid0(VALU_DEP_4)
	v_mul_f32_e32 v60, v67, v14
	s_and_saveexec_b32 s10, vcc_lo
; %bb.1256:                             ;   in Loop: Header=BB258_678 Depth=1
	v_cmp_lt_i32_e64 s0, v80, v135
	s_delay_alu instid0(VALU_DEP_1) | instskip(SKIP_1) | instid1(VALU_DEP_1)
	v_cndmask_b32_e64 v61, 0, v61, s0
	v_cmp_lt_i32_e64 s0, v83, v135
	v_cndmask_b32_e64 v62, 0, v62, s0
	v_cmp_lt_i32_e64 s0, v82, v135
	s_delay_alu instid0(VALU_DEP_1) | instskip(SKIP_1) | instid1(VALU_DEP_1)
	v_cndmask_b32_e64 v60, 0, v60, s0
	v_cmp_lt_i32_e64 s0, v81, v135
	v_cndmask_b32_e64 v59, 0, v59, s0
; %bb.1257:                             ;   in Loop: Header=BB258_678 Depth=1
	s_or_b32 exec_lo, exec_lo, s10
	flat_load_b32 v24, v[12:13] offset:2176
	v_mov_b32_e32 v14, 0
	v_mov_b32_e32 v15, 0
	s_mov_b32 s10, exec_lo
	s_waitcnt vmcnt(0) lgkmcnt(0)
	v_and_b32_e32 v6, 0xff, v24
	s_delay_alu instid0(VALU_DEP_2) | instskip(NEXT) | instid1(VALU_DEP_2)
	v_dual_mov_b32 v4, v14 :: v_dual_mov_b32 v5, v15
	v_cmpx_ne_u16_e32 0, v6
	s_cbranch_execz .LBB258_1265
; %bb.1258:                             ;   in Loop: Header=BB258_678 Depth=1
	v_bfrev_b32_e32 v4, 1
	v_mov_b32_e32 v5, 0
	s_mov_b32 s13, exec_lo
	v_cmpx_ne_u16_e32 0x80, v6
	s_cbranch_execz .LBB258_1264
; %bb.1259:                             ;   in Loop: Header=BB258_678 Depth=1
	v_mov_b32_e32 v4, 0x7f800001
	v_dual_mov_b32 v5, 0 :: v_dual_and_b32 v16, 0x7f, v24
	s_mov_b32 s15, exec_lo
	s_delay_alu instid0(VALU_DEP_1)
	v_cmpx_ne_u32_e32 0x7f, v16
	s_cbranch_execz .LBB258_1263
; %bb.1260:                             ;   in Loop: Header=BB258_678 Depth=1
	v_and_b32_e32 v6, 7, v24
	v_lshrrev_b32_e32 v4, 3, v16
	s_mov_b32 s16, exec_lo
	v_cmpx_gt_u32_e32 8, v16
; %bb.1261:                             ;   in Loop: Header=BB258_678 Depth=1
	s_delay_alu instid0(VALU_DEP_3) | instskip(NEXT) | instid1(VALU_DEP_1)
	v_clz_i32_u32_e32 v4, v6
	v_min_u32_e32 v4, 32, v4
	s_delay_alu instid0(VALU_DEP_1) | instskip(SKIP_1) | instid1(VALU_DEP_2)
	v_subrev_nc_u32_e32 v5, 28, v4
	v_sub_nc_u32_e32 v4, 29, v4
	v_lshlrev_b64 v[5:6], v5, v[6:7]
	s_delay_alu instid0(VALU_DEP_1)
	v_and_b32_e32 v6, 7, v5
; %bb.1262:                             ;   in Loop: Header=BB258_678 Depth=1
	s_or_b32 exec_lo, exec_lo, s16
	v_lshlrev_b32_e32 v5, 24, v24
	s_delay_alu instid0(VALU_DEP_2) | instskip(SKIP_1) | instid1(VALU_DEP_3)
	v_lshlrev_b32_e32 v6, 20, v6
	v_lshl_add_u32 v4, v4, 23, 0x3c000000
	v_and_b32_e32 v5, 0x80000000, v5
	s_delay_alu instid0(VALU_DEP_1) | instskip(NEXT) | instid1(VALU_DEP_1)
	v_or3_b32 v6, v6, v5, v4
	v_dual_mov_b32 v4, v6 :: v_dual_mov_b32 v5, v7
.LBB258_1263:                           ;   in Loop: Header=BB258_678 Depth=1
	s_or_b32 exec_lo, exec_lo, s15
.LBB258_1264:                           ;   in Loop: Header=BB258_678 Depth=1
	s_delay_alu instid0(SALU_CYCLE_1)
	s_or_b32 exec_lo, exec_lo, s13
.LBB258_1265:                           ;   in Loop: Header=BB258_678 Depth=1
	s_delay_alu instid0(SALU_CYCLE_1) | instskip(SKIP_2) | instid1(VALU_DEP_1)
	s_or_b32 exec_lo, exec_lo, s10
	v_lshrrev_b16 v6, 8, v24
	s_mov_b32 s13, exec_lo
	v_cmpx_ne_u16_e32 0, v6
	s_cbranch_execz .LBB258_1273
; %bb.1266:                             ;   in Loop: Header=BB258_678 Depth=1
	v_dual_mov_b32 v15, s9 :: v_dual_mov_b32 v14, s8
	s_mov_b32 s15, exec_lo
	v_cmpx_ne_u16_e32 0x80, v6
	s_cbranch_execz .LBB258_1272
; %bb.1267:                             ;   in Loop: Header=BB258_678 Depth=1
	s_mov_b32 s10, s8
	v_dual_mov_b32 v15, s11 :: v_dual_and_b32 v6, 0xffff, v6
	v_mov_b32_e32 v14, s10
	s_mov_b32 s10, exec_lo
	s_delay_alu instid0(VALU_DEP_2) | instskip(NEXT) | instid1(VALU_DEP_1)
	v_and_b32_e32 v16, 0x7f, v6
	v_cmpx_ne_u32_e32 0x7f, v16
	s_cbranch_execz .LBB258_1271
; %bb.1268:                             ;   in Loop: Header=BB258_678 Depth=1
	v_and_b32_e32 v6, 7, v6
	v_lshrrev_b32_e32 v14, 3, v16
	s_mov_b32 s16, exec_lo
	v_cmpx_gt_u32_e32 8, v16
; %bb.1269:                             ;   in Loop: Header=BB258_678 Depth=1
	s_delay_alu instid0(VALU_DEP_3) | instskip(NEXT) | instid1(VALU_DEP_1)
	v_clz_i32_u32_e32 v14, v6
	v_min_u32_e32 v14, 32, v14
	s_delay_alu instid0(VALU_DEP_1) | instskip(SKIP_1) | instid1(VALU_DEP_2)
	v_subrev_nc_u32_e32 v15, 28, v14
	v_sub_nc_u32_e32 v14, 29, v14
	v_lshlrev_b64 v[15:16], v15, v[6:7]
	s_delay_alu instid0(VALU_DEP_1)
	v_and_b32_e32 v6, 7, v15
; %bb.1270:                             ;   in Loop: Header=BB258_678 Depth=1
	s_or_b32 exec_lo, exec_lo, s16
	v_lshlrev_b32_e32 v15, 16, v24
	s_delay_alu instid0(VALU_DEP_2) | instskip(SKIP_1) | instid1(VALU_DEP_3)
	v_lshlrev_b32_e32 v6, 20, v6
	v_lshl_add_u32 v14, v14, 23, 0x3c000000
	v_and_b32_e32 v15, 0x80000000, v15
	s_delay_alu instid0(VALU_DEP_1)
	v_or3_b32 v15, v6, v15, v14
	v_mov_b32_e32 v14, v7
.LBB258_1271:                           ;   in Loop: Header=BB258_678 Depth=1
	s_or_b32 exec_lo, exec_lo, s10
.LBB258_1272:                           ;   in Loop: Header=BB258_678 Depth=1
	s_delay_alu instid0(SALU_CYCLE_1)
	s_or_b32 exec_lo, exec_lo, s15
.LBB258_1273:                           ;   in Loop: Header=BB258_678 Depth=1
	s_delay_alu instid0(SALU_CYCLE_1) | instskip(SKIP_4) | instid1(VALU_DEP_2)
	s_or_b32 exec_lo, exec_lo, s13
	v_mov_b32_e32 v18, 0
	v_lshrrev_b32_e32 v63, 16, v24
	v_mov_b32_e32 v19, 0
	s_mov_b32 s10, exec_lo
	v_and_b32_e32 v6, 0xff, v63
	s_delay_alu instid0(VALU_DEP_2) | instskip(NEXT) | instid1(VALU_DEP_2)
	v_dual_mov_b32 v16, v18 :: v_dual_mov_b32 v17, v19
	v_cmpx_ne_u16_e32 0, v6
	s_cbranch_execz .LBB258_1281
; %bb.1274:                             ;   in Loop: Header=BB258_678 Depth=1
	v_bfrev_b32_e32 v16, 1
	v_mov_b32_e32 v17, 0
	s_mov_b32 s13, exec_lo
	v_cmpx_ne_u16_e32 0x80, v6
	s_cbranch_execz .LBB258_1280
; %bb.1275:                             ;   in Loop: Header=BB258_678 Depth=1
	v_mov_b32_e32 v16, 0x7f800001
	v_bfe_u32 v134, v24, 16, 7
	v_mov_b32_e32 v17, 0
	s_mov_b32 s15, exec_lo
	s_delay_alu instid0(VALU_DEP_2)
	v_cmpx_ne_u32_e32 0x7f, v134
	s_cbranch_execz .LBB258_1279
; %bb.1276:                             ;   in Loop: Header=BB258_678 Depth=1
	v_and_b32_e32 v6, 7, v63
	v_lshrrev_b32_e32 v16, 3, v134
	s_mov_b32 s16, exec_lo
	v_cmpx_gt_u32_e32 8, v134
; %bb.1277:                             ;   in Loop: Header=BB258_678 Depth=1
	s_delay_alu instid0(VALU_DEP_3) | instskip(NEXT) | instid1(VALU_DEP_1)
	v_clz_i32_u32_e32 v16, v6
	v_min_u32_e32 v16, 32, v16
	s_delay_alu instid0(VALU_DEP_1) | instskip(SKIP_1) | instid1(VALU_DEP_2)
	v_subrev_nc_u32_e32 v17, 28, v16
	v_sub_nc_u32_e32 v16, 29, v16
	v_lshlrev_b64 v[72:73], v17, v[6:7]
	s_delay_alu instid0(VALU_DEP_1)
	v_and_b32_e32 v6, 7, v72
; %bb.1278:                             ;   in Loop: Header=BB258_678 Depth=1
	s_or_b32 exec_lo, exec_lo, s16
	v_lshlrev_b32_e32 v17, 24, v63
	s_delay_alu instid0(VALU_DEP_2) | instskip(SKIP_1) | instid1(VALU_DEP_3)
	v_lshlrev_b32_e32 v6, 20, v6
	v_lshl_add_u32 v16, v16, 23, 0x3c000000
	v_and_b32_e32 v17, 0x80000000, v17
	s_delay_alu instid0(VALU_DEP_1) | instskip(NEXT) | instid1(VALU_DEP_1)
	v_or3_b32 v6, v6, v17, v16
	v_dual_mov_b32 v17, v7 :: v_dual_mov_b32 v16, v6
.LBB258_1279:                           ;   in Loop: Header=BB258_678 Depth=1
	s_or_b32 exec_lo, exec_lo, s15
.LBB258_1280:                           ;   in Loop: Header=BB258_678 Depth=1
	s_delay_alu instid0(SALU_CYCLE_1)
	s_or_b32 exec_lo, exec_lo, s13
.LBB258_1281:                           ;   in Loop: Header=BB258_678 Depth=1
	s_delay_alu instid0(SALU_CYCLE_1) | instskip(NEXT) | instid1(SALU_CYCLE_1)
	s_or_b32 exec_lo, exec_lo, s10
	s_mov_b32 s13, exec_lo
	v_cmpx_lt_u32_e32 0xffffff, v24
	s_cbranch_execz .LBB258_1289
; %bb.1282:                             ;   in Loop: Header=BB258_678 Depth=1
	v_lshrrev_b32_e32 v63, 24, v24
	v_dual_mov_b32 v19, s9 :: v_dual_mov_b32 v18, s8
	s_mov_b32 s15, exec_lo
	s_delay_alu instid0(VALU_DEP_2)
	v_cmpx_ne_u32_e32 0x80, v63
	s_cbranch_execz .LBB258_1288
; %bb.1283:                             ;   in Loop: Header=BB258_678 Depth=1
	s_mov_b32 s10, s8
	v_bfe_u32 v24, v24, 24, 7
	v_dual_mov_b32 v19, s11 :: v_dual_mov_b32 v18, s10
	s_mov_b32 s10, exec_lo
	s_delay_alu instid0(VALU_DEP_2)
	v_cmpx_ne_u32_e32 0x7f, v24
	s_cbranch_execz .LBB258_1287
; %bb.1284:                             ;   in Loop: Header=BB258_678 Depth=1
	v_and_b32_e32 v6, 7, v63
	v_lshrrev_b32_e32 v18, 3, v24
	s_mov_b32 s16, exec_lo
	v_cmpx_gt_u32_e32 8, v24
; %bb.1285:                             ;   in Loop: Header=BB258_678 Depth=1
	s_delay_alu instid0(VALU_DEP_3) | instskip(NEXT) | instid1(VALU_DEP_1)
	v_clz_i32_u32_e32 v18, v6
	v_min_u32_e32 v18, 32, v18
	s_delay_alu instid0(VALU_DEP_1) | instskip(SKIP_1) | instid1(VALU_DEP_2)
	v_subrev_nc_u32_e32 v19, 28, v18
	v_sub_nc_u32_e32 v18, 29, v18
	v_lshlrev_b64 v[72:73], v19, v[6:7]
	s_delay_alu instid0(VALU_DEP_1)
	v_and_b32_e32 v6, 7, v72
; %bb.1286:                             ;   in Loop: Header=BB258_678 Depth=1
	s_or_b32 exec_lo, exec_lo, s16
	v_lshlrev_b32_e32 v19, 24, v63
	s_delay_alu instid0(VALU_DEP_2) | instskip(SKIP_1) | instid1(VALU_DEP_3)
	v_lshlrev_b32_e32 v6, 20, v6
	v_lshl_add_u32 v18, v18, 23, 0x3c000000
	v_and_b32_e32 v19, 0x80000000, v19
	s_delay_alu instid0(VALU_DEP_1)
	v_or3_b32 v19, v6, v19, v18
	v_mov_b32_e32 v18, v7
.LBB258_1287:                           ;   in Loop: Header=BB258_678 Depth=1
	s_or_b32 exec_lo, exec_lo, s10
.LBB258_1288:                           ;   in Loop: Header=BB258_678 Depth=1
	s_delay_alu instid0(SALU_CYCLE_1)
	s_or_b32 exec_lo, exec_lo, s15
.LBB258_1289:                           ;   in Loop: Header=BB258_678 Depth=1
	s_delay_alu instid0(SALU_CYCLE_1) | instskip(SKIP_4) | instid1(VALU_DEP_4)
	s_or_b32 exec_lo, exec_lo, s13
	v_or_b32_e32 v5, v15, v5
	v_or_b32_e32 v4, v14, v4
	;; [unrolled: 1-line block ×4, first 2 shown]
	v_mul_f32_e32 v74, v67, v5
	s_delay_alu instid0(VALU_DEP_4) | instskip(NEXT) | instid1(VALU_DEP_4)
	v_mul_f32_e32 v73, v67, v4
	v_mul_f32_e32 v63, v67, v6
	s_delay_alu instid0(VALU_DEP_4)
	v_mul_f32_e32 v72, v67, v14
	s_and_saveexec_b32 s10, vcc_lo
; %bb.1290:                             ;   in Loop: Header=BB258_678 Depth=1
	v_cmp_lt_i32_e64 s0, v80, v135
	s_delay_alu instid0(VALU_DEP_1) | instskip(SKIP_1) | instid1(VALU_DEP_1)
	v_cndmask_b32_e64 v73, 0, v73, s0
	v_cmp_lt_i32_e64 s0, v83, v135
	v_cndmask_b32_e64 v74, 0, v74, s0
	v_cmp_lt_i32_e64 s0, v82, v135
	s_delay_alu instid0(VALU_DEP_1) | instskip(SKIP_1) | instid1(VALU_DEP_1)
	v_cndmask_b32_e64 v72, 0, v72, s0
	v_cmp_lt_i32_e64 s0, v81, v135
	v_cndmask_b32_e64 v63, 0, v63, s0
; %bb.1291:                             ;   in Loop: Header=BB258_678 Depth=1
	s_or_b32 exec_lo, exec_lo, s10
	flat_load_b32 v24, v[12:13] offset:2304
	v_mov_b32_e32 v14, 0
	v_mov_b32_e32 v15, 0
	s_mov_b32 s10, exec_lo
	s_waitcnt vmcnt(0) lgkmcnt(0)
	v_and_b32_e32 v6, 0xff, v24
	s_delay_alu instid0(VALU_DEP_2) | instskip(NEXT) | instid1(VALU_DEP_2)
	v_dual_mov_b32 v4, v14 :: v_dual_mov_b32 v5, v15
	v_cmpx_ne_u16_e32 0, v6
	s_cbranch_execz .LBB258_1299
; %bb.1292:                             ;   in Loop: Header=BB258_678 Depth=1
	v_bfrev_b32_e32 v4, 1
	v_mov_b32_e32 v5, 0
	s_mov_b32 s13, exec_lo
	v_cmpx_ne_u16_e32 0x80, v6
	s_cbranch_execz .LBB258_1298
; %bb.1293:                             ;   in Loop: Header=BB258_678 Depth=1
	v_mov_b32_e32 v4, 0x7f800001
	v_dual_mov_b32 v5, 0 :: v_dual_and_b32 v16, 0x7f, v24
	s_mov_b32 s15, exec_lo
	s_delay_alu instid0(VALU_DEP_1)
	v_cmpx_ne_u32_e32 0x7f, v16
	s_cbranch_execz .LBB258_1297
; %bb.1294:                             ;   in Loop: Header=BB258_678 Depth=1
	v_and_b32_e32 v6, 7, v24
	v_lshrrev_b32_e32 v4, 3, v16
	s_mov_b32 s16, exec_lo
	v_cmpx_gt_u32_e32 8, v16
; %bb.1295:                             ;   in Loop: Header=BB258_678 Depth=1
	s_delay_alu instid0(VALU_DEP_3) | instskip(NEXT) | instid1(VALU_DEP_1)
	v_clz_i32_u32_e32 v4, v6
	v_min_u32_e32 v4, 32, v4
	s_delay_alu instid0(VALU_DEP_1) | instskip(SKIP_1) | instid1(VALU_DEP_2)
	v_subrev_nc_u32_e32 v5, 28, v4
	v_sub_nc_u32_e32 v4, 29, v4
	v_lshlrev_b64 v[5:6], v5, v[6:7]
	s_delay_alu instid0(VALU_DEP_1)
	v_and_b32_e32 v6, 7, v5
; %bb.1296:                             ;   in Loop: Header=BB258_678 Depth=1
	s_or_b32 exec_lo, exec_lo, s16
	v_lshlrev_b32_e32 v5, 24, v24
	s_delay_alu instid0(VALU_DEP_2) | instskip(SKIP_1) | instid1(VALU_DEP_3)
	v_lshlrev_b32_e32 v6, 20, v6
	v_lshl_add_u32 v4, v4, 23, 0x3c000000
	v_and_b32_e32 v5, 0x80000000, v5
	s_delay_alu instid0(VALU_DEP_1) | instskip(NEXT) | instid1(VALU_DEP_1)
	v_or3_b32 v6, v6, v5, v4
	v_dual_mov_b32 v4, v6 :: v_dual_mov_b32 v5, v7
.LBB258_1297:                           ;   in Loop: Header=BB258_678 Depth=1
	s_or_b32 exec_lo, exec_lo, s15
.LBB258_1298:                           ;   in Loop: Header=BB258_678 Depth=1
	s_delay_alu instid0(SALU_CYCLE_1)
	s_or_b32 exec_lo, exec_lo, s13
.LBB258_1299:                           ;   in Loop: Header=BB258_678 Depth=1
	s_delay_alu instid0(SALU_CYCLE_1) | instskip(SKIP_2) | instid1(VALU_DEP_1)
	s_or_b32 exec_lo, exec_lo, s10
	v_lshrrev_b16 v6, 8, v24
	s_mov_b32 s13, exec_lo
	v_cmpx_ne_u16_e32 0, v6
	s_cbranch_execz .LBB258_1307
; %bb.1300:                             ;   in Loop: Header=BB258_678 Depth=1
	v_dual_mov_b32 v15, s9 :: v_dual_mov_b32 v14, s8
	s_mov_b32 s15, exec_lo
	v_cmpx_ne_u16_e32 0x80, v6
	s_cbranch_execz .LBB258_1306
; %bb.1301:                             ;   in Loop: Header=BB258_678 Depth=1
	s_mov_b32 s10, s8
	v_dual_mov_b32 v15, s11 :: v_dual_and_b32 v6, 0xffff, v6
	v_mov_b32_e32 v14, s10
	s_mov_b32 s10, exec_lo
	s_delay_alu instid0(VALU_DEP_2) | instskip(NEXT) | instid1(VALU_DEP_1)
	v_and_b32_e32 v16, 0x7f, v6
	v_cmpx_ne_u32_e32 0x7f, v16
	s_cbranch_execz .LBB258_1305
; %bb.1302:                             ;   in Loop: Header=BB258_678 Depth=1
	v_and_b32_e32 v6, 7, v6
	v_lshrrev_b32_e32 v14, 3, v16
	s_mov_b32 s16, exec_lo
	v_cmpx_gt_u32_e32 8, v16
; %bb.1303:                             ;   in Loop: Header=BB258_678 Depth=1
	s_delay_alu instid0(VALU_DEP_3) | instskip(NEXT) | instid1(VALU_DEP_1)
	v_clz_i32_u32_e32 v14, v6
	v_min_u32_e32 v14, 32, v14
	s_delay_alu instid0(VALU_DEP_1) | instskip(SKIP_1) | instid1(VALU_DEP_2)
	v_subrev_nc_u32_e32 v15, 28, v14
	v_sub_nc_u32_e32 v14, 29, v14
	v_lshlrev_b64 v[15:16], v15, v[6:7]
	s_delay_alu instid0(VALU_DEP_1)
	v_and_b32_e32 v6, 7, v15
; %bb.1304:                             ;   in Loop: Header=BB258_678 Depth=1
	s_or_b32 exec_lo, exec_lo, s16
	v_lshlrev_b32_e32 v15, 16, v24
	s_delay_alu instid0(VALU_DEP_2) | instskip(SKIP_1) | instid1(VALU_DEP_3)
	v_lshlrev_b32_e32 v6, 20, v6
	v_lshl_add_u32 v14, v14, 23, 0x3c000000
	v_and_b32_e32 v15, 0x80000000, v15
	s_delay_alu instid0(VALU_DEP_1)
	v_or3_b32 v15, v6, v15, v14
	v_mov_b32_e32 v14, v7
.LBB258_1305:                           ;   in Loop: Header=BB258_678 Depth=1
	s_or_b32 exec_lo, exec_lo, s10
.LBB258_1306:                           ;   in Loop: Header=BB258_678 Depth=1
	s_delay_alu instid0(SALU_CYCLE_1)
	s_or_b32 exec_lo, exec_lo, s15
.LBB258_1307:                           ;   in Loop: Header=BB258_678 Depth=1
	s_delay_alu instid0(SALU_CYCLE_1) | instskip(SKIP_4) | instid1(VALU_DEP_2)
	s_or_b32 exec_lo, exec_lo, s13
	v_mov_b32_e32 v18, 0
	v_lshrrev_b32_e32 v75, 16, v24
	v_mov_b32_e32 v19, 0
	s_mov_b32 s10, exec_lo
	v_and_b32_e32 v6, 0xff, v75
	s_delay_alu instid0(VALU_DEP_2) | instskip(NEXT) | instid1(VALU_DEP_2)
	v_dual_mov_b32 v16, v18 :: v_dual_mov_b32 v17, v19
	v_cmpx_ne_u16_e32 0, v6
	s_cbranch_execz .LBB258_1315
; %bb.1308:                             ;   in Loop: Header=BB258_678 Depth=1
	v_bfrev_b32_e32 v16, 1
	v_mov_b32_e32 v17, 0
	s_mov_b32 s13, exec_lo
	v_cmpx_ne_u16_e32 0x80, v6
	s_cbranch_execz .LBB258_1314
; %bb.1309:                             ;   in Loop: Header=BB258_678 Depth=1
	v_mov_b32_e32 v16, 0x7f800001
	v_bfe_u32 v134, v24, 16, 7
	v_mov_b32_e32 v17, 0
	s_mov_b32 s15, exec_lo
	s_delay_alu instid0(VALU_DEP_2)
	v_cmpx_ne_u32_e32 0x7f, v134
	s_cbranch_execz .LBB258_1313
; %bb.1310:                             ;   in Loop: Header=BB258_678 Depth=1
	v_and_b32_e32 v6, 7, v75
	v_lshrrev_b32_e32 v16, 3, v134
	s_mov_b32 s16, exec_lo
	v_cmpx_gt_u32_e32 8, v134
; %bb.1311:                             ;   in Loop: Header=BB258_678 Depth=1
	s_delay_alu instid0(VALU_DEP_3) | instskip(NEXT) | instid1(VALU_DEP_1)
	v_clz_i32_u32_e32 v16, v6
	v_min_u32_e32 v16, 32, v16
	s_delay_alu instid0(VALU_DEP_1) | instskip(SKIP_1) | instid1(VALU_DEP_2)
	v_subrev_nc_u32_e32 v17, 28, v16
	v_sub_nc_u32_e32 v16, 29, v16
	v_lshlrev_b64 v[76:77], v17, v[6:7]
	s_delay_alu instid0(VALU_DEP_1)
	v_and_b32_e32 v6, 7, v76
; %bb.1312:                             ;   in Loop: Header=BB258_678 Depth=1
	s_or_b32 exec_lo, exec_lo, s16
	v_lshlrev_b32_e32 v17, 24, v75
	s_delay_alu instid0(VALU_DEP_2) | instskip(SKIP_1) | instid1(VALU_DEP_3)
	v_lshlrev_b32_e32 v6, 20, v6
	v_lshl_add_u32 v16, v16, 23, 0x3c000000
	v_and_b32_e32 v17, 0x80000000, v17
	s_delay_alu instid0(VALU_DEP_1) | instskip(NEXT) | instid1(VALU_DEP_1)
	v_or3_b32 v6, v6, v17, v16
	v_dual_mov_b32 v17, v7 :: v_dual_mov_b32 v16, v6
.LBB258_1313:                           ;   in Loop: Header=BB258_678 Depth=1
	s_or_b32 exec_lo, exec_lo, s15
.LBB258_1314:                           ;   in Loop: Header=BB258_678 Depth=1
	s_delay_alu instid0(SALU_CYCLE_1)
	s_or_b32 exec_lo, exec_lo, s13
.LBB258_1315:                           ;   in Loop: Header=BB258_678 Depth=1
	s_delay_alu instid0(SALU_CYCLE_1) | instskip(NEXT) | instid1(SALU_CYCLE_1)
	s_or_b32 exec_lo, exec_lo, s10
	s_mov_b32 s13, exec_lo
	v_cmpx_lt_u32_e32 0xffffff, v24
	s_cbranch_execz .LBB258_1323
; %bb.1316:                             ;   in Loop: Header=BB258_678 Depth=1
	v_lshrrev_b32_e32 v75, 24, v24
	v_dual_mov_b32 v19, s9 :: v_dual_mov_b32 v18, s8
	s_mov_b32 s15, exec_lo
	s_delay_alu instid0(VALU_DEP_2)
	v_cmpx_ne_u32_e32 0x80, v75
	s_cbranch_execz .LBB258_1322
; %bb.1317:                             ;   in Loop: Header=BB258_678 Depth=1
	s_mov_b32 s10, s8
	v_bfe_u32 v24, v24, 24, 7
	v_dual_mov_b32 v19, s11 :: v_dual_mov_b32 v18, s10
	s_mov_b32 s10, exec_lo
	s_delay_alu instid0(VALU_DEP_2)
	v_cmpx_ne_u32_e32 0x7f, v24
	s_cbranch_execz .LBB258_1321
; %bb.1318:                             ;   in Loop: Header=BB258_678 Depth=1
	v_and_b32_e32 v6, 7, v75
	v_lshrrev_b32_e32 v18, 3, v24
	s_mov_b32 s16, exec_lo
	v_cmpx_gt_u32_e32 8, v24
; %bb.1319:                             ;   in Loop: Header=BB258_678 Depth=1
	s_delay_alu instid0(VALU_DEP_3) | instskip(NEXT) | instid1(VALU_DEP_1)
	v_clz_i32_u32_e32 v18, v6
	v_min_u32_e32 v18, 32, v18
	s_delay_alu instid0(VALU_DEP_1) | instskip(SKIP_1) | instid1(VALU_DEP_2)
	v_subrev_nc_u32_e32 v19, 28, v18
	v_sub_nc_u32_e32 v18, 29, v18
	v_lshlrev_b64 v[76:77], v19, v[6:7]
	s_delay_alu instid0(VALU_DEP_1)
	v_and_b32_e32 v6, 7, v76
; %bb.1320:                             ;   in Loop: Header=BB258_678 Depth=1
	s_or_b32 exec_lo, exec_lo, s16
	v_lshlrev_b32_e32 v19, 24, v75
	s_delay_alu instid0(VALU_DEP_2) | instskip(SKIP_1) | instid1(VALU_DEP_3)
	v_lshlrev_b32_e32 v6, 20, v6
	v_lshl_add_u32 v18, v18, 23, 0x3c000000
	v_and_b32_e32 v19, 0x80000000, v19
	s_delay_alu instid0(VALU_DEP_1)
	v_or3_b32 v19, v6, v19, v18
	v_mov_b32_e32 v18, v7
.LBB258_1321:                           ;   in Loop: Header=BB258_678 Depth=1
	s_or_b32 exec_lo, exec_lo, s10
.LBB258_1322:                           ;   in Loop: Header=BB258_678 Depth=1
	s_delay_alu instid0(SALU_CYCLE_1)
	s_or_b32 exec_lo, exec_lo, s15
.LBB258_1323:                           ;   in Loop: Header=BB258_678 Depth=1
	s_delay_alu instid0(SALU_CYCLE_1) | instskip(SKIP_4) | instid1(VALU_DEP_4)
	s_or_b32 exec_lo, exec_lo, s13
	v_or_b32_e32 v5, v15, v5
	v_or_b32_e32 v4, v14, v4
	;; [unrolled: 1-line block ×4, first 2 shown]
	v_mul_f32_e32 v76, v67, v5
	s_delay_alu instid0(VALU_DEP_4) | instskip(NEXT) | instid1(VALU_DEP_4)
	v_mul_f32_e32 v75, v67, v4
	v_mul_f32_e32 v18, v67, v6
	s_delay_alu instid0(VALU_DEP_4)
	v_mul_f32_e32 v19, v67, v14
	s_and_saveexec_b32 s10, vcc_lo
; %bb.1324:                             ;   in Loop: Header=BB258_678 Depth=1
	v_cmp_lt_i32_e64 s0, v80, v135
	s_delay_alu instid0(VALU_DEP_1) | instskip(SKIP_1) | instid1(VALU_DEP_1)
	v_cndmask_b32_e64 v75, 0, v75, s0
	v_cmp_lt_i32_e64 s0, v83, v135
	v_cndmask_b32_e64 v76, 0, v76, s0
	v_cmp_lt_i32_e64 s0, v82, v135
	s_delay_alu instid0(VALU_DEP_1) | instskip(SKIP_1) | instid1(VALU_DEP_1)
	v_cndmask_b32_e64 v19, 0, v19, s0
	v_cmp_lt_i32_e64 s0, v81, v135
	v_cndmask_b32_e64 v18, 0, v18, s0
; %bb.1325:                             ;   in Loop: Header=BB258_678 Depth=1
	s_or_b32 exec_lo, exec_lo, s10
	flat_load_b32 v24, v[12:13] offset:2432
	v_mov_b32_e32 v12, 0
	v_mov_b32_e32 v13, 0
	s_mov_b32 s10, exec_lo
	s_waitcnt vmcnt(0) lgkmcnt(0)
	v_and_b32_e32 v6, 0xff, v24
	s_delay_alu instid0(VALU_DEP_2) | instskip(NEXT) | instid1(VALU_DEP_2)
	v_dual_mov_b32 v4, v12 :: v_dual_mov_b32 v5, v13
	v_cmpx_ne_u16_e32 0, v6
	s_cbranch_execz .LBB258_1333
; %bb.1326:                             ;   in Loop: Header=BB258_678 Depth=1
	v_bfrev_b32_e32 v4, 1
	v_mov_b32_e32 v5, 0
	s_mov_b32 s13, exec_lo
	v_cmpx_ne_u16_e32 0x80, v6
	s_cbranch_execz .LBB258_1332
; %bb.1327:                             ;   in Loop: Header=BB258_678 Depth=1
	v_mov_b32_e32 v4, 0x7f800001
	v_dual_mov_b32 v5, 0 :: v_dual_and_b32 v14, 0x7f, v24
	s_mov_b32 s15, exec_lo
	s_delay_alu instid0(VALU_DEP_1)
	v_cmpx_ne_u32_e32 0x7f, v14
	s_cbranch_execz .LBB258_1331
; %bb.1328:                             ;   in Loop: Header=BB258_678 Depth=1
	v_and_b32_e32 v6, 7, v24
	v_lshrrev_b32_e32 v4, 3, v14
	s_mov_b32 s16, exec_lo
	v_cmpx_gt_u32_e32 8, v14
; %bb.1329:                             ;   in Loop: Header=BB258_678 Depth=1
	s_delay_alu instid0(VALU_DEP_3) | instskip(NEXT) | instid1(VALU_DEP_1)
	v_clz_i32_u32_e32 v4, v6
	v_min_u32_e32 v4, 32, v4
	s_delay_alu instid0(VALU_DEP_1) | instskip(SKIP_1) | instid1(VALU_DEP_2)
	v_subrev_nc_u32_e32 v5, 28, v4
	v_sub_nc_u32_e32 v4, 29, v4
	v_lshlrev_b64 v[5:6], v5, v[6:7]
	s_delay_alu instid0(VALU_DEP_1)
	v_and_b32_e32 v6, 7, v5
; %bb.1330:                             ;   in Loop: Header=BB258_678 Depth=1
	s_or_b32 exec_lo, exec_lo, s16
	v_lshlrev_b32_e32 v5, 24, v24
	s_delay_alu instid0(VALU_DEP_2) | instskip(SKIP_1) | instid1(VALU_DEP_3)
	v_lshlrev_b32_e32 v6, 20, v6
	v_lshl_add_u32 v4, v4, 23, 0x3c000000
	v_and_b32_e32 v5, 0x80000000, v5
	s_delay_alu instid0(VALU_DEP_1) | instskip(NEXT) | instid1(VALU_DEP_1)
	v_or3_b32 v6, v6, v5, v4
	v_dual_mov_b32 v4, v6 :: v_dual_mov_b32 v5, v7
.LBB258_1331:                           ;   in Loop: Header=BB258_678 Depth=1
	s_or_b32 exec_lo, exec_lo, s15
.LBB258_1332:                           ;   in Loop: Header=BB258_678 Depth=1
	s_delay_alu instid0(SALU_CYCLE_1)
	s_or_b32 exec_lo, exec_lo, s13
.LBB258_1333:                           ;   in Loop: Header=BB258_678 Depth=1
	s_delay_alu instid0(SALU_CYCLE_1) | instskip(SKIP_2) | instid1(VALU_DEP_1)
	s_or_b32 exec_lo, exec_lo, s10
	v_lshrrev_b16 v6, 8, v24
	s_mov_b32 s13, exec_lo
	v_cmpx_ne_u16_e32 0, v6
	s_cbranch_execz .LBB258_1341
; %bb.1334:                             ;   in Loop: Header=BB258_678 Depth=1
	v_dual_mov_b32 v13, s9 :: v_dual_mov_b32 v12, s8
	s_mov_b32 s15, exec_lo
	v_cmpx_ne_u16_e32 0x80, v6
	s_cbranch_execz .LBB258_1340
; %bb.1335:                             ;   in Loop: Header=BB258_678 Depth=1
	s_mov_b32 s10, s8
	v_dual_mov_b32 v13, s11 :: v_dual_and_b32 v6, 0xffff, v6
	v_mov_b32_e32 v12, s10
	s_mov_b32 s10, exec_lo
	s_delay_alu instid0(VALU_DEP_2) | instskip(NEXT) | instid1(VALU_DEP_1)
	v_and_b32_e32 v14, 0x7f, v6
	v_cmpx_ne_u32_e32 0x7f, v14
	s_cbranch_execz .LBB258_1339
; %bb.1336:                             ;   in Loop: Header=BB258_678 Depth=1
	v_and_b32_e32 v6, 7, v6
	v_lshrrev_b32_e32 v12, 3, v14
	s_mov_b32 s16, exec_lo
	v_cmpx_gt_u32_e32 8, v14
; %bb.1337:                             ;   in Loop: Header=BB258_678 Depth=1
	s_delay_alu instid0(VALU_DEP_3) | instskip(NEXT) | instid1(VALU_DEP_1)
	v_clz_i32_u32_e32 v12, v6
	v_min_u32_e32 v12, 32, v12
	s_delay_alu instid0(VALU_DEP_1) | instskip(SKIP_1) | instid1(VALU_DEP_2)
	v_subrev_nc_u32_e32 v13, 28, v12
	v_sub_nc_u32_e32 v12, 29, v12
	v_lshlrev_b64 v[13:14], v13, v[6:7]
	s_delay_alu instid0(VALU_DEP_1)
	v_and_b32_e32 v6, 7, v13
; %bb.1338:                             ;   in Loop: Header=BB258_678 Depth=1
	s_or_b32 exec_lo, exec_lo, s16
	v_lshlrev_b32_e32 v13, 16, v24
	s_delay_alu instid0(VALU_DEP_2) | instskip(SKIP_1) | instid1(VALU_DEP_3)
	v_lshlrev_b32_e32 v6, 20, v6
	v_lshl_add_u32 v12, v12, 23, 0x3c000000
	v_and_b32_e32 v13, 0x80000000, v13
	s_delay_alu instid0(VALU_DEP_1)
	v_or3_b32 v13, v6, v13, v12
	v_mov_b32_e32 v12, v7
.LBB258_1339:                           ;   in Loop: Header=BB258_678 Depth=1
	s_or_b32 exec_lo, exec_lo, s10
.LBB258_1340:                           ;   in Loop: Header=BB258_678 Depth=1
	s_delay_alu instid0(SALU_CYCLE_1)
	s_or_b32 exec_lo, exec_lo, s15
.LBB258_1341:                           ;   in Loop: Header=BB258_678 Depth=1
	s_delay_alu instid0(SALU_CYCLE_1) | instskip(SKIP_4) | instid1(VALU_DEP_2)
	s_or_b32 exec_lo, exec_lo, s13
	v_mov_b32_e32 v16, 0
	v_lshrrev_b32_e32 v77, 16, v24
	v_mov_b32_e32 v17, 0
	s_mov_b32 s10, exec_lo
	v_and_b32_e32 v6, 0xff, v77
	s_delay_alu instid0(VALU_DEP_2) | instskip(NEXT) | instid1(VALU_DEP_2)
	v_dual_mov_b32 v14, v16 :: v_dual_mov_b32 v15, v17
	v_cmpx_ne_u16_e32 0, v6
	s_cbranch_execz .LBB258_1349
; %bb.1342:                             ;   in Loop: Header=BB258_678 Depth=1
	v_bfrev_b32_e32 v14, 1
	v_mov_b32_e32 v15, 0
	s_mov_b32 s13, exec_lo
	v_cmpx_ne_u16_e32 0x80, v6
	s_cbranch_execz .LBB258_1348
; %bb.1343:                             ;   in Loop: Header=BB258_678 Depth=1
	v_mov_b32_e32 v14, 0x7f800001
	v_bfe_u32 v134, v24, 16, 7
	v_mov_b32_e32 v15, 0
	s_mov_b32 s15, exec_lo
	s_delay_alu instid0(VALU_DEP_2)
	v_cmpx_ne_u32_e32 0x7f, v134
	s_cbranch_execz .LBB258_1347
; %bb.1344:                             ;   in Loop: Header=BB258_678 Depth=1
	v_and_b32_e32 v6, 7, v77
	v_lshrrev_b32_e32 v14, 3, v134
	s_mov_b32 s16, exec_lo
	v_cmpx_gt_u32_e32 8, v134
; %bb.1345:                             ;   in Loop: Header=BB258_678 Depth=1
	s_delay_alu instid0(VALU_DEP_3) | instskip(NEXT) | instid1(VALU_DEP_1)
	v_clz_i32_u32_e32 v14, v6
	v_min_u32_e32 v14, 32, v14
	s_delay_alu instid0(VALU_DEP_1) | instskip(SKIP_1) | instid1(VALU_DEP_2)
	v_subrev_nc_u32_e32 v15, 28, v14
	v_sub_nc_u32_e32 v14, 29, v14
	v_lshlrev_b64 v[78:79], v15, v[6:7]
	s_delay_alu instid0(VALU_DEP_1)
	v_and_b32_e32 v6, 7, v78
; %bb.1346:                             ;   in Loop: Header=BB258_678 Depth=1
	s_or_b32 exec_lo, exec_lo, s16
	v_lshlrev_b32_e32 v15, 24, v77
	s_delay_alu instid0(VALU_DEP_2) | instskip(SKIP_1) | instid1(VALU_DEP_3)
	v_lshlrev_b32_e32 v6, 20, v6
	v_lshl_add_u32 v14, v14, 23, 0x3c000000
	v_and_b32_e32 v15, 0x80000000, v15
	s_delay_alu instid0(VALU_DEP_1) | instskip(NEXT) | instid1(VALU_DEP_1)
	v_or3_b32 v6, v6, v15, v14
	v_dual_mov_b32 v15, v7 :: v_dual_mov_b32 v14, v6
.LBB258_1347:                           ;   in Loop: Header=BB258_678 Depth=1
	s_or_b32 exec_lo, exec_lo, s15
.LBB258_1348:                           ;   in Loop: Header=BB258_678 Depth=1
	s_delay_alu instid0(SALU_CYCLE_1)
	s_or_b32 exec_lo, exec_lo, s13
.LBB258_1349:                           ;   in Loop: Header=BB258_678 Depth=1
	s_delay_alu instid0(SALU_CYCLE_1) | instskip(NEXT) | instid1(SALU_CYCLE_1)
	s_or_b32 exec_lo, exec_lo, s10
	s_mov_b32 s13, exec_lo
	v_cmpx_lt_u32_e32 0xffffff, v24
	s_cbranch_execz .LBB258_1357
; %bb.1350:                             ;   in Loop: Header=BB258_678 Depth=1
	v_lshrrev_b32_e32 v77, 24, v24
	v_dual_mov_b32 v17, s9 :: v_dual_mov_b32 v16, s8
	s_mov_b32 s15, exec_lo
	s_delay_alu instid0(VALU_DEP_2)
	v_cmpx_ne_u32_e32 0x80, v77
	s_cbranch_execz .LBB258_1356
; %bb.1351:                             ;   in Loop: Header=BB258_678 Depth=1
	s_mov_b32 s10, s8
	v_bfe_u32 v24, v24, 24, 7
	v_dual_mov_b32 v17, s11 :: v_dual_mov_b32 v16, s10
	s_mov_b32 s10, exec_lo
	s_delay_alu instid0(VALU_DEP_2)
	v_cmpx_ne_u32_e32 0x7f, v24
	s_cbranch_execz .LBB258_1355
; %bb.1352:                             ;   in Loop: Header=BB258_678 Depth=1
	v_and_b32_e32 v6, 7, v77
	v_lshrrev_b32_e32 v16, 3, v24
	s_mov_b32 s16, exec_lo
	v_cmpx_gt_u32_e32 8, v24
; %bb.1353:                             ;   in Loop: Header=BB258_678 Depth=1
	s_delay_alu instid0(VALU_DEP_3) | instskip(NEXT) | instid1(VALU_DEP_1)
	v_clz_i32_u32_e32 v16, v6
	v_min_u32_e32 v16, 32, v16
	s_delay_alu instid0(VALU_DEP_1) | instskip(SKIP_1) | instid1(VALU_DEP_2)
	v_subrev_nc_u32_e32 v17, 28, v16
	v_sub_nc_u32_e32 v16, 29, v16
	v_lshlrev_b64 v[78:79], v17, v[6:7]
	s_delay_alu instid0(VALU_DEP_1)
	v_and_b32_e32 v6, 7, v78
; %bb.1354:                             ;   in Loop: Header=BB258_678 Depth=1
	s_or_b32 exec_lo, exec_lo, s16
	v_lshlrev_b32_e32 v17, 24, v77
	s_delay_alu instid0(VALU_DEP_2) | instskip(SKIP_1) | instid1(VALU_DEP_3)
	v_lshlrev_b32_e32 v6, 20, v6
	v_lshl_add_u32 v16, v16, 23, 0x3c000000
	v_and_b32_e32 v17, 0x80000000, v17
	s_delay_alu instid0(VALU_DEP_1)
	v_or3_b32 v17, v6, v17, v16
	v_mov_b32_e32 v16, v7
.LBB258_1355:                           ;   in Loop: Header=BB258_678 Depth=1
	s_or_b32 exec_lo, exec_lo, s10
.LBB258_1356:                           ;   in Loop: Header=BB258_678 Depth=1
	s_delay_alu instid0(SALU_CYCLE_1)
	s_or_b32 exec_lo, exec_lo, s15
.LBB258_1357:                           ;   in Loop: Header=BB258_678 Depth=1
	s_delay_alu instid0(SALU_CYCLE_1) | instskip(SKIP_4) | instid1(VALU_DEP_4)
	s_or_b32 exec_lo, exec_lo, s13
	v_or_b32_e32 v5, v13, v5
	v_or_b32_e32 v4, v12, v4
	;; [unrolled: 1-line block ×4, first 2 shown]
	v_mul_f32_e32 v12, v67, v5
	s_delay_alu instid0(VALU_DEP_4) | instskip(NEXT) | instid1(VALU_DEP_4)
	v_mul_f32_e32 v6, v67, v4
	v_mul_f32_e32 v4, v67, v13
	s_delay_alu instid0(VALU_DEP_4)
	v_mul_f32_e32 v5, v67, v14
	s_and_saveexec_b32 s0, vcc_lo
	s_cbranch_execz .LBB258_676
; %bb.1358:                             ;   in Loop: Header=BB258_678 Depth=1
	v_cmp_lt_i32_e32 vcc_lo, v80, v135
	v_cndmask_b32_e32 v6, 0, v6, vcc_lo
	v_cmp_lt_i32_e32 vcc_lo, v83, v135
	v_cndmask_b32_e32 v12, 0, v12, vcc_lo
	;; [unrolled: 2-line block ×4, first 2 shown]
	s_branch .LBB258_676
.LBB258_1359:
	s_or_b32 exec_lo, exec_lo, s5
.LBB258_1360:
	s_delay_alu instid0(SALU_CYCLE_1)
	s_or_b32 exec_lo, exec_lo, s3
	ds_bpermute_b32 v0, v20, v53
	ds_bpermute_b32 v1, v20, v54
	;; [unrolled: 1-line block ×20, first 2 shown]
	s_waitcnt lgkmcnt(18)
	v_dual_add_f32 v0, v53, v0 :: v_dual_add_f32 v1, v54, v1
	s_waitcnt lgkmcnt(16)
	v_dual_add_f32 v2, v52, v2 :: v_dual_add_f32 v3, v51, v3
	;; [unrolled: 2-line block ×3, first 2 shown]
	ds_bpermute_b32 v20, v22, v0
	ds_bpermute_b32 v23, v22, v1
	;; [unrolled: 1-line block ×3, first 2 shown]
	s_waitcnt lgkmcnt(15)
	v_dual_add_f32 v6, v48, v6 :: v_dual_add_f32 v7, v39, v7
	s_waitcnt lgkmcnt(11)
	v_dual_add_f32 v10, v36, v10 :: v_dual_add_f32 v11, v35, v11
	s_waitcnt lgkmcnt(10)
	v_add_f32_e32 v12, v34, v12
	ds_bpermute_b32 v35, v22, v5
	s_waitcnt lgkmcnt(9)
	v_add_f32_e32 v14, v32, v14
	v_dual_add_f32 v8, v38, v8 :: v_dual_add_f32 v9, v37, v9
	s_waitcnt lgkmcnt(6)
	v_dual_add_f32 v16, v29, v16 :: v_dual_add_f32 v17, v28, v17
	s_waitcnt lgkmcnt(4)
	v_dual_add_f32 v18, v27, v18 :: v_dual_add_f32 v19, v26, v19
	ds_bpermute_b32 v30, v22, v3
	ds_bpermute_b32 v34, v22, v4
	;; [unrolled: 1-line block ×3, first 2 shown]
	s_waitcnt lgkmcnt(6)
	v_dual_add_f32 v13, v33, v13 :: v_dual_add_f32 v0, v0, v20
	s_waitcnt lgkmcnt(4)
	v_dual_add_f32 v1, v1, v23 :: v_dual_add_f32 v2, v2, v24
	v_add_f32_e32 v15, v31, v15
	ds_bpermute_b32 v37, v22, v7
	ds_bpermute_b32 v20, v21, v0
	ds_bpermute_b32 v23, v21, v1
	ds_bpermute_b32 v24, v21, v2
	s_waitcnt lgkmcnt(7)
	v_add_f32_e32 v5, v5, v35
	ds_bpermute_b32 v33, v22, v14
	ds_bpermute_b32 v38, v22, v8
	ds_bpermute_b32 v39, v22, v9
	ds_bpermute_b32 v28, v22, v10
	ds_bpermute_b32 v29, v22, v11
	ds_bpermute_b32 v31, v22, v12
	ds_bpermute_b32 v32, v22, v13
	ds_bpermute_b32 v26, v22, v18
	ds_bpermute_b32 v27, v21, v5
	s_waitcnt lgkmcnt(13)
	v_dual_add_f32 v3, v3, v30 :: v_dual_add_f32 v6, v6, v36
	v_add_f32_e32 v4, v4, v34
	s_waitcnt lgkmcnt(0)
	s_waitcnt_vscnt null, 0x0
	s_barrier
	ds_bpermute_b32 v30, v21, v3
	v_dual_add_f32 v7, v7, v37 :: v_dual_add_f32 v0, v0, v20
	v_add_f32_e32 v1, v1, v23
	ds_bpermute_b32 v20, v22, v15
	v_add_f32_e32 v2, v2, v24
	ds_bpermute_b32 v23, v22, v16
	ds_bpermute_b32 v24, v22, v17
	;; [unrolled: 1-line block ×3, first 2 shown]
	v_add_f32_e32 v14, v14, v33
	v_dual_add_f32 v8, v8, v38 :: v_dual_add_f32 v9, v9, v39
	v_dual_add_f32 v10, v10, v28 :: v_dual_add_f32 v11, v11, v29
	;; [unrolled: 1-line block ×4, first 2 shown]
	ds_bpermute_b32 v34, v21, v4
	ds_bpermute_b32 v35, v21, v6
	;; [unrolled: 1-line block ×6, first 2 shown]
	s_waitcnt lgkmcnt(9)
	v_add_f32_e32 v15, v15, v20
	ds_bpermute_b32 v33, v21, v14
	s_waitcnt lgkmcnt(8)
	v_dual_add_f32 v16, v16, v23 :: v_dual_add_f32 v17, v17, v24
	s_waitcnt lgkmcnt(7)
	v_add_f32_e32 v19, v19, v22
	ds_bpermute_b32 v20, v21, v15
	ds_bpermute_b32 v28, v21, v10
	;; [unrolled: 1-line block ×8, first 2 shown]
	s_waitcnt lgkmcnt(0)
	buffer_gl0_inv
	s_load_b32 s0, s[6:7], 0x0
	v_dual_add_f32 v3, v3, v30 :: v_dual_add_f32 v6, v6, v35
	v_dual_add_f32 v4, v4, v34 :: v_dual_add_f32 v7, v7, v36
	;; [unrolled: 1-line block ×3, first 2 shown]
	v_add_f32_e32 v14, v14, v33
	v_add_f32_e32 v11, v11, v29
	;; [unrolled: 1-line block ×3, first 2 shown]
	scratch_load_b32 v20, off, s32 offset:360 ; 4-byte Folded Reload
	v_add_f32_e32 v10, v10, v28
	v_dual_add_f32 v12, v12, v31 :: v_dual_add_f32 v13, v13, v32
	v_dual_add_f32 v16, v16, v22 :: v_dual_add_f32 v17, v17, v23
	v_dual_add_f32 v19, v19, v21 :: v_dual_and_b32 v22, 0x3c7, v88
	scratch_load_b32 v21, off, s32 offset:672 ; 4-byte Folded Reload
	v_add_f32_e32 v18, v18, v24
	v_cmp_eq_u32_e32 vcc_lo, 64, v22
	s_waitcnt vmcnt(1)
	v_lshrrev_b32_e32 v20, 3, v20
	s_delay_alu instid0(VALU_DEP_1)
	v_lshlrev_b32_e32 v22, 2, v20
	s_waitcnt vmcnt(0) lgkmcnt(0)
	v_mad_u32_u24 v21, 0x140, v21, s0
	s_and_saveexec_b32 s0, vcc_lo
	s_cbranch_execz .LBB258_1362
; %bb.1361:
	s_delay_alu instid0(VALU_DEP_1)
	v_add3_u32 v23, v21, v22, 0xfffffd80
	ds_store_2addr_b32 v23, v0, v1 offset1:4
	ds_store_2addr_b32 v23, v2, v3 offset0:8 offset1:12
	ds_store_2addr_b32 v23, v4, v5 offset0:16 offset1:20
	;; [unrolled: 1-line block ×9, first 2 shown]
.LBB258_1362:
	s_or_b32 exec_lo, exec_lo, s0
	v_cmp_eq_u32_e32 vcc_lo, 0, v25
	s_mov_b32 s3, exec_lo
	s_waitcnt lgkmcnt(0)
	s_barrier
	buffer_gl0_inv
	v_cmpx_gt_u32_e32 64, v88
	s_cbranch_execz .LBB258_1385
; %bb.1363:
	s_and_saveexec_b32 s0, vcc_lo
	s_cbranch_execnz .LBB258_1413
; %bb.1364:
	s_or_b32 exec_lo, exec_lo, s0
	s_and_saveexec_b32 s0, vcc_lo
	s_cbranch_execnz .LBB258_1414
.LBB258_1365:
	s_or_b32 exec_lo, exec_lo, s0
	s_and_saveexec_b32 s0, vcc_lo
	s_cbranch_execnz .LBB258_1415
.LBB258_1366:
	s_or_b32 exec_lo, exec_lo, s0
	s_and_saveexec_b32 s0, vcc_lo
	s_cbranch_execnz .LBB258_1416
.LBB258_1367:
	s_or_b32 exec_lo, exec_lo, s0
	s_and_saveexec_b32 s0, vcc_lo
	s_cbranch_execnz .LBB258_1417
.LBB258_1368:
	s_or_b32 exec_lo, exec_lo, s0
	s_and_saveexec_b32 s0, vcc_lo
	s_cbranch_execnz .LBB258_1418
.LBB258_1369:
	s_or_b32 exec_lo, exec_lo, s0
	s_and_saveexec_b32 s0, vcc_lo
	s_cbranch_execnz .LBB258_1419
.LBB258_1370:
	s_or_b32 exec_lo, exec_lo, s0
	s_and_saveexec_b32 s0, vcc_lo
	s_cbranch_execnz .LBB258_1420
.LBB258_1371:
	s_or_b32 exec_lo, exec_lo, s0
	s_and_saveexec_b32 s0, vcc_lo
	s_cbranch_execnz .LBB258_1421
.LBB258_1372:
	s_or_b32 exec_lo, exec_lo, s0
	s_and_saveexec_b32 s0, vcc_lo
	s_cbranch_execnz .LBB258_1422
.LBB258_1373:
	s_or_b32 exec_lo, exec_lo, s0
	s_and_saveexec_b32 s0, vcc_lo
	s_cbranch_execnz .LBB258_1423
.LBB258_1374:
	s_or_b32 exec_lo, exec_lo, s0
	s_and_saveexec_b32 s0, vcc_lo
	s_cbranch_execnz .LBB258_1424
.LBB258_1375:
	s_or_b32 exec_lo, exec_lo, s0
	s_and_saveexec_b32 s0, vcc_lo
	s_cbranch_execnz .LBB258_1425
.LBB258_1376:
	s_or_b32 exec_lo, exec_lo, s0
	s_and_saveexec_b32 s0, vcc_lo
	s_cbranch_execnz .LBB258_1426
.LBB258_1377:
	s_or_b32 exec_lo, exec_lo, s0
	s_and_saveexec_b32 s0, vcc_lo
	s_cbranch_execnz .LBB258_1427
.LBB258_1378:
	s_or_b32 exec_lo, exec_lo, s0
	s_and_saveexec_b32 s0, vcc_lo
	s_cbranch_execnz .LBB258_1428
.LBB258_1379:
	s_or_b32 exec_lo, exec_lo, s0
	s_and_saveexec_b32 s0, vcc_lo
	s_cbranch_execnz .LBB258_1429
.LBB258_1380:
	s_or_b32 exec_lo, exec_lo, s0
	s_and_saveexec_b32 s0, vcc_lo
	s_cbranch_execnz .LBB258_1430
.LBB258_1381:
	s_or_b32 exec_lo, exec_lo, s0
	s_and_saveexec_b32 s0, vcc_lo
	s_cbranch_execnz .LBB258_1431
.LBB258_1382:
	s_or_b32 exec_lo, exec_lo, s0
	s_and_saveexec_b32 s0, vcc_lo
	s_cbranch_execz .LBB258_1384
.LBB258_1383:
	v_lshl_add_u32 v23, v20, 2, v21
	ds_load_b32 v23, v23 offset:304
	s_waitcnt lgkmcnt(0)
	v_add_f32_e32 v19, v23, v19
.LBB258_1384:
	s_or_b32 exec_lo, exec_lo, s0
.LBB258_1385:
	s_delay_alu instid0(SALU_CYCLE_1)
	s_or_b32 exec_lo, exec_lo, s3
	v_and_b32_e32 v23, 0x3e7, v88
	s_mov_b32 s3, exec_lo
	s_barrier
	buffer_gl0_inv
	v_cmpx_eq_u32_e32 32, v23
	s_cbranch_execz .LBB258_1387
; %bb.1386:
	v_add3_u32 v22, v21, v22, 0xfffffec0
	ds_store_2addr_b32 v22, v0, v1 offset1:4
	ds_store_2addr_b32 v22, v2, v3 offset0:8 offset1:12
	ds_store_2addr_b32 v22, v4, v5 offset0:16 offset1:20
	;; [unrolled: 1-line block ×9, first 2 shown]
.LBB258_1387:
	s_or_b32 exec_lo, exec_lo, s3
	s_delay_alu instid0(SALU_CYCLE_1)
	s_mov_b32 s3, exec_lo
	s_waitcnt lgkmcnt(0)
	s_barrier
	buffer_gl0_inv
	v_cmpx_gt_u32_e32 32, v88
	s_cbranch_execz .LBB258_1410
; %bb.1388:
	v_lshl_add_u32 v20, v20, 2, v21
	s_and_saveexec_b32 s0, vcc_lo
	s_cbranch_execnz .LBB258_1432
; %bb.1389:
	s_or_b32 exec_lo, exec_lo, s0
	s_and_saveexec_b32 s0, vcc_lo
	s_cbranch_execnz .LBB258_1433
.LBB258_1390:
	s_or_b32 exec_lo, exec_lo, s0
	s_and_saveexec_b32 s0, vcc_lo
	s_cbranch_execnz .LBB258_1434
.LBB258_1391:
	s_or_b32 exec_lo, exec_lo, s0
	s_and_saveexec_b32 s0, vcc_lo
	s_cbranch_execnz .LBB258_1435
.LBB258_1392:
	s_or_b32 exec_lo, exec_lo, s0
	s_and_saveexec_b32 s0, vcc_lo
	s_cbranch_execnz .LBB258_1436
.LBB258_1393:
	s_or_b32 exec_lo, exec_lo, s0
	s_and_saveexec_b32 s0, vcc_lo
	s_cbranch_execnz .LBB258_1437
.LBB258_1394:
	s_or_b32 exec_lo, exec_lo, s0
	s_and_saveexec_b32 s0, vcc_lo
	s_cbranch_execnz .LBB258_1438
.LBB258_1395:
	s_or_b32 exec_lo, exec_lo, s0
	s_and_saveexec_b32 s0, vcc_lo
	s_cbranch_execnz .LBB258_1439
.LBB258_1396:
	s_or_b32 exec_lo, exec_lo, s0
	s_and_saveexec_b32 s0, vcc_lo
	s_cbranch_execnz .LBB258_1440
.LBB258_1397:
	s_or_b32 exec_lo, exec_lo, s0
	s_and_saveexec_b32 s0, vcc_lo
	s_cbranch_execnz .LBB258_1441
.LBB258_1398:
	s_or_b32 exec_lo, exec_lo, s0
	s_and_saveexec_b32 s0, vcc_lo
	s_cbranch_execnz .LBB258_1442
.LBB258_1399:
	s_or_b32 exec_lo, exec_lo, s0
	s_and_saveexec_b32 s0, vcc_lo
	s_cbranch_execnz .LBB258_1443
.LBB258_1400:
	s_or_b32 exec_lo, exec_lo, s0
	s_and_saveexec_b32 s0, vcc_lo
	s_cbranch_execnz .LBB258_1444
.LBB258_1401:
	s_or_b32 exec_lo, exec_lo, s0
	s_and_saveexec_b32 s0, vcc_lo
	s_cbranch_execnz .LBB258_1445
.LBB258_1402:
	s_or_b32 exec_lo, exec_lo, s0
	s_and_saveexec_b32 s0, vcc_lo
	s_cbranch_execnz .LBB258_1446
.LBB258_1403:
	s_or_b32 exec_lo, exec_lo, s0
	s_and_saveexec_b32 s0, vcc_lo
	s_cbranch_execnz .LBB258_1447
.LBB258_1404:
	s_or_b32 exec_lo, exec_lo, s0
	s_and_saveexec_b32 s0, vcc_lo
	s_cbranch_execnz .LBB258_1448
.LBB258_1405:
	s_or_b32 exec_lo, exec_lo, s0
	s_and_saveexec_b32 s0, vcc_lo
	s_cbranch_execnz .LBB258_1449
.LBB258_1406:
	s_or_b32 exec_lo, exec_lo, s0
	s_and_saveexec_b32 s0, vcc_lo
	s_cbranch_execnz .LBB258_1450
.LBB258_1407:
	s_or_b32 exec_lo, exec_lo, s0
	s_and_saveexec_b32 s0, vcc_lo
	s_cbranch_execz .LBB258_1409
.LBB258_1408:
	ds_load_b32 v20, v20 offset:304
	s_waitcnt lgkmcnt(0)
	v_add_f32_e32 v19, v20, v19
.LBB258_1409:
	s_or_b32 exec_lo, exec_lo, s0
.LBB258_1410:
	s_delay_alu instid0(SALU_CYCLE_1)
	s_or_b32 exec_lo, exec_lo, s3
	v_cmp_eq_u32_e32 vcc_lo, 0, v23
	s_barrier
	buffer_gl0_inv
	s_and_b32 exec_lo, exec_lo, vcc_lo
	s_cbranch_execz .LBB258_1412
; %bb.1411:
	s_clause 0x1
	scratch_load_b32 v21, off, s32 offset:680
	scratch_load_b32 v22, off, s32 offset:676
	s_mul_i32 s0, s2, 0x50
	s_mul_i32 s2, s4, s1
	;; [unrolled: 1-line block ×3, first 2 shown]
	s_ashr_i32 s3, s2, 31
	s_ashr_i32 s5, s4, 31
	;; [unrolled: 1-line block ×3, first 2 shown]
	s_lshl_b64 s[2:3], s[2:3], 2
	s_lshl_b64 s[4:5], s[4:5], 2
	;; [unrolled: 1-line block ×3, first 2 shown]
	s_add_u32 s2, s4, s2
	s_addc_u32 s3, s5, s3
	s_add_u32 s0, s2, s0
	s_addc_u32 s1, s3, s1
	v_lshrrev_b32_e32 v20, 1, v88
	s_waitcnt vmcnt(1)
	v_add_co_u32 v21, vcc_lo, s0, v21
	s_waitcnt vmcnt(0)
	v_add_co_ci_u32_e32 v22, vcc_lo, s1, v22, vcc_lo
	s_delay_alu instid0(VALU_DEP_2) | instskip(NEXT) | instid1(VALU_DEP_2)
	v_add_co_u32 v20, vcc_lo, v21, v20
	v_add_co_ci_u32_e32 v21, vcc_lo, 0, v22, vcc_lo
	s_clause 0x13
	flat_store_b32 v[20:21], v0
	flat_store_b32 v[20:21], v1 offset:16
	flat_store_b32 v[20:21], v2 offset:32
	;; [unrolled: 1-line block ×19, first 2 shown]
.LBB258_1412:
	s_or_b32 exec_lo, exec_lo, s18
	s_clause 0x1f
	scratch_load_b32 v191, off, s32 offset:8
	scratch_load_b32 v190, off, s32 offset:12
	;; [unrolled: 1-line block ×32, first 2 shown]
	s_clause 0x1f
	scratch_load_b32 v127, off, s32 offset:136
	scratch_load_b32 v126, off, s32 offset:140
	;; [unrolled: 1-line block ×32, first 2 shown]
	s_clause 0xf
	scratch_load_b32 v63, off, s32 offset:264
	scratch_load_b32 v62, off, s32 offset:268
	;; [unrolled: 1-line block ×16, first 2 shown]
	s_waitcnt vmcnt(0) lgkmcnt(0)
	s_setpc_b64 s[30:31]
.LBB258_1413:
	v_lshl_add_u32 v23, v20, 2, v21
	ds_load_b32 v23, v23
	s_waitcnt lgkmcnt(0)
	v_add_f32_e32 v0, v23, v0
	s_or_b32 exec_lo, exec_lo, s0
	s_and_saveexec_b32 s0, vcc_lo
	s_cbranch_execz .LBB258_1365
.LBB258_1414:
	v_lshl_add_u32 v23, v20, 2, v21
	ds_load_b32 v23, v23 offset:16
	s_waitcnt lgkmcnt(0)
	v_add_f32_e32 v1, v23, v1
	s_or_b32 exec_lo, exec_lo, s0
	s_and_saveexec_b32 s0, vcc_lo
	s_cbranch_execz .LBB258_1366
.LBB258_1415:
	v_lshl_add_u32 v23, v20, 2, v21
	ds_load_b32 v23, v23 offset:32
	s_waitcnt lgkmcnt(0)
	v_add_f32_e32 v2, v23, v2
	s_or_b32 exec_lo, exec_lo, s0
	s_and_saveexec_b32 s0, vcc_lo
	s_cbranch_execz .LBB258_1367
.LBB258_1416:
	v_lshl_add_u32 v23, v20, 2, v21
	ds_load_b32 v23, v23 offset:48
	s_waitcnt lgkmcnt(0)
	v_add_f32_e32 v3, v23, v3
	s_or_b32 exec_lo, exec_lo, s0
	s_and_saveexec_b32 s0, vcc_lo
	s_cbranch_execz .LBB258_1368
.LBB258_1417:
	v_lshl_add_u32 v23, v20, 2, v21
	ds_load_b32 v23, v23 offset:64
	s_waitcnt lgkmcnt(0)
	v_add_f32_e32 v4, v23, v4
	s_or_b32 exec_lo, exec_lo, s0
	s_and_saveexec_b32 s0, vcc_lo
	s_cbranch_execz .LBB258_1369
.LBB258_1418:
	v_lshl_add_u32 v23, v20, 2, v21
	ds_load_b32 v23, v23 offset:80
	s_waitcnt lgkmcnt(0)
	v_add_f32_e32 v5, v23, v5
	s_or_b32 exec_lo, exec_lo, s0
	s_and_saveexec_b32 s0, vcc_lo
	s_cbranch_execz .LBB258_1370
.LBB258_1419:
	v_lshl_add_u32 v23, v20, 2, v21
	ds_load_b32 v23, v23 offset:96
	s_waitcnt lgkmcnt(0)
	v_add_f32_e32 v6, v23, v6
	s_or_b32 exec_lo, exec_lo, s0
	s_and_saveexec_b32 s0, vcc_lo
	s_cbranch_execz .LBB258_1371
.LBB258_1420:
	v_lshl_add_u32 v23, v20, 2, v21
	ds_load_b32 v23, v23 offset:112
	s_waitcnt lgkmcnt(0)
	v_add_f32_e32 v7, v23, v7
	s_or_b32 exec_lo, exec_lo, s0
	s_and_saveexec_b32 s0, vcc_lo
	s_cbranch_execz .LBB258_1372
.LBB258_1421:
	v_lshl_add_u32 v23, v20, 2, v21
	ds_load_b32 v23, v23 offset:128
	s_waitcnt lgkmcnt(0)
	v_add_f32_e32 v8, v23, v8
	s_or_b32 exec_lo, exec_lo, s0
	s_and_saveexec_b32 s0, vcc_lo
	s_cbranch_execz .LBB258_1373
.LBB258_1422:
	v_lshl_add_u32 v23, v20, 2, v21
	ds_load_b32 v23, v23 offset:144
	s_waitcnt lgkmcnt(0)
	v_add_f32_e32 v9, v23, v9
	s_or_b32 exec_lo, exec_lo, s0
	s_and_saveexec_b32 s0, vcc_lo
	s_cbranch_execz .LBB258_1374
.LBB258_1423:
	v_lshl_add_u32 v23, v20, 2, v21
	ds_load_b32 v23, v23 offset:160
	s_waitcnt lgkmcnt(0)
	v_add_f32_e32 v10, v23, v10
	s_or_b32 exec_lo, exec_lo, s0
	s_and_saveexec_b32 s0, vcc_lo
	s_cbranch_execz .LBB258_1375
.LBB258_1424:
	v_lshl_add_u32 v23, v20, 2, v21
	ds_load_b32 v23, v23 offset:176
	s_waitcnt lgkmcnt(0)
	v_add_f32_e32 v11, v23, v11
	s_or_b32 exec_lo, exec_lo, s0
	s_and_saveexec_b32 s0, vcc_lo
	s_cbranch_execz .LBB258_1376
.LBB258_1425:
	v_lshl_add_u32 v23, v20, 2, v21
	ds_load_b32 v23, v23 offset:192
	s_waitcnt lgkmcnt(0)
	v_add_f32_e32 v12, v23, v12
	s_or_b32 exec_lo, exec_lo, s0
	s_and_saveexec_b32 s0, vcc_lo
	s_cbranch_execz .LBB258_1377
.LBB258_1426:
	v_lshl_add_u32 v23, v20, 2, v21
	ds_load_b32 v23, v23 offset:208
	s_waitcnt lgkmcnt(0)
	v_add_f32_e32 v13, v23, v13
	s_or_b32 exec_lo, exec_lo, s0
	s_and_saveexec_b32 s0, vcc_lo
	s_cbranch_execz .LBB258_1378
.LBB258_1427:
	v_lshl_add_u32 v23, v20, 2, v21
	ds_load_b32 v23, v23 offset:224
	s_waitcnt lgkmcnt(0)
	v_add_f32_e32 v14, v23, v14
	s_or_b32 exec_lo, exec_lo, s0
	s_and_saveexec_b32 s0, vcc_lo
	s_cbranch_execz .LBB258_1379
.LBB258_1428:
	v_lshl_add_u32 v23, v20, 2, v21
	ds_load_b32 v23, v23 offset:240
	s_waitcnt lgkmcnt(0)
	v_add_f32_e32 v15, v23, v15
	s_or_b32 exec_lo, exec_lo, s0
	s_and_saveexec_b32 s0, vcc_lo
	s_cbranch_execz .LBB258_1380
.LBB258_1429:
	v_lshl_add_u32 v23, v20, 2, v21
	ds_load_b32 v23, v23 offset:256
	s_waitcnt lgkmcnt(0)
	v_add_f32_e32 v16, v23, v16
	s_or_b32 exec_lo, exec_lo, s0
	s_and_saveexec_b32 s0, vcc_lo
	s_cbranch_execz .LBB258_1381
.LBB258_1430:
	v_lshl_add_u32 v23, v20, 2, v21
	ds_load_b32 v23, v23 offset:272
	s_waitcnt lgkmcnt(0)
	v_add_f32_e32 v17, v23, v17
	s_or_b32 exec_lo, exec_lo, s0
	s_and_saveexec_b32 s0, vcc_lo
	s_cbranch_execz .LBB258_1382
.LBB258_1431:
	v_lshl_add_u32 v23, v20, 2, v21
	ds_load_b32 v23, v23 offset:288
	s_waitcnt lgkmcnt(0)
	v_add_f32_e32 v18, v23, v18
	s_or_b32 exec_lo, exec_lo, s0
	s_and_saveexec_b32 s0, vcc_lo
	s_cbranch_execnz .LBB258_1383
	s_branch .LBB258_1384
.LBB258_1432:
	ds_load_b32 v21, v20
	s_waitcnt lgkmcnt(0)
	v_add_f32_e32 v0, v21, v0
	s_or_b32 exec_lo, exec_lo, s0
	s_and_saveexec_b32 s0, vcc_lo
	s_cbranch_execz .LBB258_1390
.LBB258_1433:
	ds_load_b32 v21, v20 offset:16
	s_waitcnt lgkmcnt(0)
	v_add_f32_e32 v1, v21, v1
	s_or_b32 exec_lo, exec_lo, s0
	s_and_saveexec_b32 s0, vcc_lo
	s_cbranch_execz .LBB258_1391
.LBB258_1434:
	ds_load_b32 v21, v20 offset:32
	s_waitcnt lgkmcnt(0)
	v_add_f32_e32 v2, v21, v2
	s_or_b32 exec_lo, exec_lo, s0
	s_and_saveexec_b32 s0, vcc_lo
	s_cbranch_execz .LBB258_1392
.LBB258_1435:
	ds_load_b32 v21, v20 offset:48
	s_waitcnt lgkmcnt(0)
	v_add_f32_e32 v3, v21, v3
	s_or_b32 exec_lo, exec_lo, s0
	s_and_saveexec_b32 s0, vcc_lo
	s_cbranch_execz .LBB258_1393
.LBB258_1436:
	ds_load_b32 v21, v20 offset:64
	s_waitcnt lgkmcnt(0)
	v_add_f32_e32 v4, v21, v4
	s_or_b32 exec_lo, exec_lo, s0
	s_and_saveexec_b32 s0, vcc_lo
	s_cbranch_execz .LBB258_1394
.LBB258_1437:
	ds_load_b32 v21, v20 offset:80
	s_waitcnt lgkmcnt(0)
	v_add_f32_e32 v5, v21, v5
	s_or_b32 exec_lo, exec_lo, s0
	s_and_saveexec_b32 s0, vcc_lo
	s_cbranch_execz .LBB258_1395
.LBB258_1438:
	ds_load_b32 v21, v20 offset:96
	s_waitcnt lgkmcnt(0)
	v_add_f32_e32 v6, v21, v6
	s_or_b32 exec_lo, exec_lo, s0
	s_and_saveexec_b32 s0, vcc_lo
	s_cbranch_execz .LBB258_1396
.LBB258_1439:
	ds_load_b32 v21, v20 offset:112
	s_waitcnt lgkmcnt(0)
	v_add_f32_e32 v7, v21, v7
	s_or_b32 exec_lo, exec_lo, s0
	s_and_saveexec_b32 s0, vcc_lo
	s_cbranch_execz .LBB258_1397
.LBB258_1440:
	ds_load_b32 v21, v20 offset:128
	s_waitcnt lgkmcnt(0)
	v_add_f32_e32 v8, v21, v8
	s_or_b32 exec_lo, exec_lo, s0
	s_and_saveexec_b32 s0, vcc_lo
	s_cbranch_execz .LBB258_1398
.LBB258_1441:
	ds_load_b32 v21, v20 offset:144
	s_waitcnt lgkmcnt(0)
	v_add_f32_e32 v9, v21, v9
	s_or_b32 exec_lo, exec_lo, s0
	s_and_saveexec_b32 s0, vcc_lo
	s_cbranch_execz .LBB258_1399
.LBB258_1442:
	ds_load_b32 v21, v20 offset:160
	s_waitcnt lgkmcnt(0)
	v_add_f32_e32 v10, v21, v10
	s_or_b32 exec_lo, exec_lo, s0
	s_and_saveexec_b32 s0, vcc_lo
	s_cbranch_execz .LBB258_1400
.LBB258_1443:
	ds_load_b32 v21, v20 offset:176
	s_waitcnt lgkmcnt(0)
	v_add_f32_e32 v11, v21, v11
	s_or_b32 exec_lo, exec_lo, s0
	s_and_saveexec_b32 s0, vcc_lo
	s_cbranch_execz .LBB258_1401
.LBB258_1444:
	ds_load_b32 v21, v20 offset:192
	s_waitcnt lgkmcnt(0)
	v_add_f32_e32 v12, v21, v12
	s_or_b32 exec_lo, exec_lo, s0
	s_and_saveexec_b32 s0, vcc_lo
	s_cbranch_execz .LBB258_1402
.LBB258_1445:
	ds_load_b32 v21, v20 offset:208
	s_waitcnt lgkmcnt(0)
	v_add_f32_e32 v13, v21, v13
	s_or_b32 exec_lo, exec_lo, s0
	s_and_saveexec_b32 s0, vcc_lo
	s_cbranch_execz .LBB258_1403
.LBB258_1446:
	ds_load_b32 v21, v20 offset:224
	s_waitcnt lgkmcnt(0)
	v_add_f32_e32 v14, v21, v14
	s_or_b32 exec_lo, exec_lo, s0
	s_and_saveexec_b32 s0, vcc_lo
	s_cbranch_execz .LBB258_1404
.LBB258_1447:
	ds_load_b32 v21, v20 offset:240
	s_waitcnt lgkmcnt(0)
	v_add_f32_e32 v15, v21, v15
	s_or_b32 exec_lo, exec_lo, s0
	s_and_saveexec_b32 s0, vcc_lo
	s_cbranch_execz .LBB258_1405
.LBB258_1448:
	ds_load_b32 v21, v20 offset:256
	s_waitcnt lgkmcnt(0)
	v_add_f32_e32 v16, v21, v16
	s_or_b32 exec_lo, exec_lo, s0
	s_and_saveexec_b32 s0, vcc_lo
	s_cbranch_execz .LBB258_1406
.LBB258_1449:
	ds_load_b32 v21, v20 offset:272
	s_waitcnt lgkmcnt(0)
	v_add_f32_e32 v17, v21, v17
	s_or_b32 exec_lo, exec_lo, s0
	s_and_saveexec_b32 s0, vcc_lo
	s_cbranch_execz .LBB258_1407
.LBB258_1450:
	ds_load_b32 v21, v20 offset:288
	s_waitcnt lgkmcnt(0)
	v_add_f32_e32 v18, v21, v18
	s_or_b32 exec_lo, exec_lo, s0
	s_and_saveexec_b32 s0, vcc_lo
	s_cbranch_execnz .LBB258_1408
	s_branch .LBB258_1409
.Lfunc_end258:
	.size	_ZN4vllm22paged_attention_kernelIfhLi80ELi32ELi128ELNS_18Fp8KVCacheDataTypeE1ELb1ELi512EEEvPfS2_PT_PKS3_PKT0_S9_ifPKiSB_iPKfiiiSD_SD_iiiii, .Lfunc_end258-_ZN4vllm22paged_attention_kernelIfhLi80ELi32ELi128ELNS_18Fp8KVCacheDataTypeE1ELb1ELi512EEEvPfS2_PT_PKS3_PKT0_S9_ifPKiSB_iPKfiiiSD_SD_iiiii
                                        ; -- End function
	.section	.AMDGPU.csdata,"",@progbits
; Function info:
; codeLenInByte = 50676
; NumSgprs: 35
; NumVgprs: 192
; ScratchSize: 756
; MemoryBound: 0
	.section	.text._ZN4vllm25paged_attention_v2_kernelIfhLi80ELi32ELi128ELNS_18Fp8KVCacheDataTypeE1ELb1ELi512EEEvPfS2_PT_PKS3_PKT0_S9_ifPKiSB_iPKfiiiSD_SD_iiiii,"axG",@progbits,_ZN4vllm25paged_attention_v2_kernelIfhLi80ELi32ELi128ELNS_18Fp8KVCacheDataTypeE1ELb1ELi512EEEvPfS2_PT_PKS3_PKT0_S9_ifPKiSB_iPKfiiiSD_SD_iiiii,comdat
	.protected	_ZN4vllm25paged_attention_v2_kernelIfhLi80ELi32ELi128ELNS_18Fp8KVCacheDataTypeE1ELb1ELi512EEEvPfS2_PT_PKS3_PKT0_S9_ifPKiSB_iPKfiiiSD_SD_iiiii ; -- Begin function _ZN4vllm25paged_attention_v2_kernelIfhLi80ELi32ELi128ELNS_18Fp8KVCacheDataTypeE1ELb1ELi512EEEvPfS2_PT_PKS3_PKT0_S9_ifPKiSB_iPKfiiiSD_SD_iiiii
	.globl	_ZN4vllm25paged_attention_v2_kernelIfhLi80ELi32ELi128ELNS_18Fp8KVCacheDataTypeE1ELb1ELi512EEEvPfS2_PT_PKS3_PKT0_S9_ifPKiSB_iPKfiiiSD_SD_iiiii
	.p2align	8
	.type	_ZN4vllm25paged_attention_v2_kernelIfhLi80ELi32ELi128ELNS_18Fp8KVCacheDataTypeE1ELb1ELi512EEEvPfS2_PT_PKS3_PKT0_S9_ifPKiSB_iPKfiiiSD_SD_iiiii,@function
_ZN4vllm25paged_attention_v2_kernelIfhLi80ELi32ELi128ELNS_18Fp8KVCacheDataTypeE1ELb1ELi512EEEvPfS2_PT_PKS3_PKT0_S9_ifPKiSB_iPKfiiiSD_SD_iiiii: ; @_ZN4vllm25paged_attention_v2_kernelIfhLi80ELi32ELi128ELNS_18Fp8KVCacheDataTypeE1ELb1ELi512EEEvPfS2_PT_PKS3_PKT0_S9_ifPKiSB_iPKfiiiSD_SD_iiiii
; %bb.0:
	s_mov_b32 s12, s13
	s_clause 0x7
	s_load_b128 s[4:7], s[0:1], 0x78
	s_load_b32 s8, s[0:1], 0x88
	s_load_b256 s[24:31], s[0:1], 0x0
	s_load_b256 s[36:43], s[0:1], 0x20
	s_load_b64 s[2:3], s[0:1], 0x40
	s_load_b64 s[10:11], s[0:1], 0x50
	s_load_b32 s13, s[0:1], 0x48
	s_load_b256 s[16:23], s[0:1], 0x58
	s_mov_b32 s32, 0
	v_mov_b32_e32 v31, v0
	s_waitcnt lgkmcnt(0)
	v_dual_mov_b32 v1, s7 :: v_dual_mov_b32 v2, s8
	v_dual_mov_b32 v0, s24 :: v_dual_mov_b32 v3, s27
	;; [unrolled: 1-line block ×3, first 2 shown]
	v_mov_b32_e32 v6, s30
	scratch_store_b64 off, v[1:2], s32
	v_dual_mov_b32 v1, s25 :: v_dual_mov_b32 v2, s26
	v_dual_mov_b32 v7, s31 :: v_dual_mov_b32 v8, s36
	;; [unrolled: 1-line block ×13, first 2 shown]
	s_add_u32 s8, s0, 0x90
	s_addc_u32 s9, s1, 0
	s_mov_b32 s13, s14
	s_mov_b32 s14, s15
	s_movk_i32 s15, 0x50
	s_getpc_b64 s[0:1]
	s_add_u32 s0, s0, _ZN4vllm22paged_attention_kernelIfhLi80ELi32ELi128ELNS_18Fp8KVCacheDataTypeE1ELb1ELi512EEEvPfS2_PT_PKS3_PKT0_S9_ifPKiSB_iPKfiiiSD_SD_iiiii@rel32@lo+4
	s_addc_u32 s1, s1, _ZN4vllm22paged_attention_kernelIfhLi80ELi32ELi128ELNS_18Fp8KVCacheDataTypeE1ELb1ELi512EEEvPfS2_PT_PKS3_PKT0_S9_ifPKiSB_iPKfiiiSD_SD_iiiii@rel32@hi+12
	s_delay_alu instid0(SALU_CYCLE_1)
	s_swappc_b64 s[30:31], s[0:1]
	s_endpgm
	.section	.rodata,"a",@progbits
	.p2align	6, 0x0
	.amdhsa_kernel _ZN4vllm25paged_attention_v2_kernelIfhLi80ELi32ELi128ELNS_18Fp8KVCacheDataTypeE1ELb1ELi512EEEvPfS2_PT_PKS3_PKT0_S9_ifPKiSB_iPKfiiiSD_SD_iiiii
		.amdhsa_group_segment_fixed_size 352
		.amdhsa_private_segment_fixed_size 756
		.amdhsa_kernarg_size 400
		.amdhsa_user_sgpr_count 13
		.amdhsa_user_sgpr_dispatch_ptr 0
		.amdhsa_user_sgpr_queue_ptr 0
		.amdhsa_user_sgpr_kernarg_segment_ptr 1
		.amdhsa_user_sgpr_dispatch_id 0
		.amdhsa_user_sgpr_private_segment_size 0
		.amdhsa_wavefront_size32 1
		.amdhsa_uses_dynamic_stack 0
		.amdhsa_enable_private_segment 1
		.amdhsa_system_sgpr_workgroup_id_x 1
		.amdhsa_system_sgpr_workgroup_id_y 1
		.amdhsa_system_sgpr_workgroup_id_z 1
		.amdhsa_system_sgpr_workgroup_info 0
		.amdhsa_system_vgpr_workitem_id 0
		.amdhsa_next_free_vgpr 192
		.amdhsa_next_free_sgpr 44
		.amdhsa_reserve_vcc 1
		.amdhsa_float_round_mode_32 0
		.amdhsa_float_round_mode_16_64 0
		.amdhsa_float_denorm_mode_32 3
		.amdhsa_float_denorm_mode_16_64 3
		.amdhsa_dx10_clamp 1
		.amdhsa_ieee_mode 1
		.amdhsa_fp16_overflow 0
		.amdhsa_workgroup_processor_mode 1
		.amdhsa_memory_ordered 1
		.amdhsa_forward_progress 0
		.amdhsa_shared_vgpr_count 0
		.amdhsa_exception_fp_ieee_invalid_op 0
		.amdhsa_exception_fp_denorm_src 0
		.amdhsa_exception_fp_ieee_div_zero 0
		.amdhsa_exception_fp_ieee_overflow 0
		.amdhsa_exception_fp_ieee_underflow 0
		.amdhsa_exception_fp_ieee_inexact 0
		.amdhsa_exception_int_div_zero 0
	.end_amdhsa_kernel
	.section	.text._ZN4vllm25paged_attention_v2_kernelIfhLi80ELi32ELi128ELNS_18Fp8KVCacheDataTypeE1ELb1ELi512EEEvPfS2_PT_PKS3_PKT0_S9_ifPKiSB_iPKfiiiSD_SD_iiiii,"axG",@progbits,_ZN4vllm25paged_attention_v2_kernelIfhLi80ELi32ELi128ELNS_18Fp8KVCacheDataTypeE1ELb1ELi512EEEvPfS2_PT_PKS3_PKT0_S9_ifPKiSB_iPKfiiiSD_SD_iiiii,comdat
.Lfunc_end259:
	.size	_ZN4vllm25paged_attention_v2_kernelIfhLi80ELi32ELi128ELNS_18Fp8KVCacheDataTypeE1ELb1ELi512EEEvPfS2_PT_PKS3_PKT0_S9_ifPKiSB_iPKfiiiSD_SD_iiiii, .Lfunc_end259-_ZN4vllm25paged_attention_v2_kernelIfhLi80ELi32ELi128ELNS_18Fp8KVCacheDataTypeE1ELb1ELi512EEEvPfS2_PT_PKS3_PKT0_S9_ifPKiSB_iPKfiiiSD_SD_iiiii
                                        ; -- End function
	.section	.AMDGPU.csdata,"",@progbits
; Kernel info:
; codeLenInByte = 280
; NumSgprs: 46
; NumVgprs: 192
; ScratchSize: 756
; MemoryBound: 0
; FloatMode: 240
; IeeeMode: 1
; LDSByteSize: 352 bytes/workgroup (compile time only)
; SGPRBlocks: 5
; VGPRBlocks: 23
; NumSGPRsForWavesPerEU: 46
; NumVGPRsForWavesPerEU: 192
; Occupancy: 8
; WaveLimiterHint : 1
; COMPUTE_PGM_RSRC2:SCRATCH_EN: 1
; COMPUTE_PGM_RSRC2:USER_SGPR: 13
; COMPUTE_PGM_RSRC2:TRAP_HANDLER: 0
; COMPUTE_PGM_RSRC2:TGID_X_EN: 1
; COMPUTE_PGM_RSRC2:TGID_Y_EN: 1
; COMPUTE_PGM_RSRC2:TGID_Z_EN: 1
; COMPUTE_PGM_RSRC2:TIDIG_COMP_CNT: 0
	.text
	.p2align	2                               ; -- Begin function _ZN4vllm22paged_attention_kernelIfhLi96ELi32ELi128ELNS_18Fp8KVCacheDataTypeE1ELb1ELi512EEEvPfS2_PT_PKS3_PKT0_S9_ifPKiSB_iPKfiiiSD_SD_iiiii
	.type	_ZN4vllm22paged_attention_kernelIfhLi96ELi32ELi128ELNS_18Fp8KVCacheDataTypeE1ELb1ELi512EEEvPfS2_PT_PKS3_PKT0_S9_ifPKiSB_iPKfiiiSD_SD_iiiii,@function
_ZN4vllm22paged_attention_kernelIfhLi96ELi32ELi128ELNS_18Fp8KVCacheDataTypeE1ELb1ELi512EEEvPfS2_PT_PKS3_PKT0_S9_ifPKiSB_iPKfiiiSD_SD_iiiii: ; @_ZN4vllm22paged_attention_kernelIfhLi96ELi32ELi128ELNS_18Fp8KVCacheDataTypeE1ELb1ELi512EEEvPfS2_PT_PKS3_PKT0_S9_ifPKiSB_iPKfiiiSD_SD_iiiii
; %bb.0:
	s_waitcnt vmcnt(0) expcnt(0) lgkmcnt(0)
	s_clause 0x1f
	scratch_store_b32 off, v40, s32 offset:324
	; meta instruction
	scratch_store_b32 off, v41, s32 offset:320
	; meta instruction
	;; [unrolled: 2-line block ×31, first 2 shown]
	scratch_store_b32 off, v95, s32 offset:200
	s_clause 0x1f
	scratch_store_b32 off, v104, s32 offset:196
	; meta instruction
	scratch_store_b32 off, v105, s32 offset:192
	; meta instruction
	;; [unrolled: 2-line block ×31, first 2 shown]
	scratch_store_b32 off, v159, s32 offset:72
	s_clause 0xf
	scratch_store_b32 off, v168, s32 offset:68
	; meta instruction
	scratch_store_b32 off, v169, s32 offset:64
	; meta instruction
	;; [unrolled: 2-line block ×15, first 2 shown]
	scratch_store_b32 off, v191, s32 offset:8
	s_mov_b32 s10, s13
	s_ashr_i32 s11, s13, 31
	s_clause 0x2
	scratch_store_b64 off, v[26:27], s32 offset:444
	scratch_store_b64 off, v[24:25], s32 offset:452
	scratch_store_b32 off, v22, s32 offset:428
	s_lshl_b64 s[0:1], s[10:11], 2
	v_mov_b32_e32 v26, v0
	v_add_co_u32 v0, vcc_lo, v16, s0
	v_dual_mov_b32 v27, v3 :: v_dual_mov_b32 v24, v1
	v_add_co_ci_u32_e32 v1, vcc_lo, s1, v17, vcc_lo
	scratch_store_b32 off, v4, s32 offset:868 ; 4-byte Folded Spill
	v_dual_mov_b32 v127, v5 :: v_dual_mov_b32 v32, v2
	flat_load_b32 v25, v[0:1]
	s_clause 0x1
	scratch_load_b32 v2, off, s32 offset:4
	scratch_load_b32 v3, off, s32
	v_dual_mov_b32 v68, v11 :: v_dual_mov_b32 v69, v10
	s_mov_b32 s6, s15
	s_lshl_b32 s15, s14, 9
	s_mov_b32 s18, exec_lo
	s_waitcnt vmcnt(2) lgkmcnt(0)
	v_cmpx_lt_i32_e64 s15, v25
	s_cbranch_execz .LBB260_1684
; %bb.1:
	v_sub_nc_u32_e32 v0, 0, v12
	s_clause 0x1
	s_load_b32 s0, s[8:9], 0x10
	s_load_b32 s1, s[8:9], 0x0
	s_delay_alu instid0(VALU_DEP_1) | instskip(NEXT) | instid1(VALU_DEP_1)
	v_max_i32_e32 v0, v12, v0
	v_cvt_f32_u32_e32 v1, v0
	v_sub_nc_u32_e32 v4, 0, v0
	s_delay_alu instid0(VALU_DEP_2) | instskip(SKIP_2) | instid1(SALU_CYCLE_1)
	v_rcp_iflag_f32_e32 v1, v1
	s_waitcnt lgkmcnt(0)
	s_lshr_b32 s0, s0, 16
	s_cmp_lg_u32 s0, 0
	s_cselect_b32 s0, -1, 0
	s_waitcnt_depctr 0xfff
	v_mul_f32_e32 v1, 0x4f7ffffe, v1
	s_cmp_lg_u32 s0, 0
	s_addc_u32 s11, s1, 0
	s_mov_b32 s1, exec_lo
	s_delay_alu instid0(VALU_DEP_1) | instskip(SKIP_1) | instid1(VALU_DEP_1)
	v_cvt_u32_f32_e32 v1, v1
	s_abs_i32 s0, s11
	v_mul_lo_u32 v4, v4, v1
	s_delay_alu instid0(VALU_DEP_1) | instskip(NEXT) | instid1(VALU_DEP_1)
	v_mul_hi_u32 v4, v1, v4
	v_add_nc_u32_e32 v1, v1, v4
	s_delay_alu instid0(VALU_DEP_1) | instskip(NEXT) | instid1(VALU_DEP_1)
	v_mul_hi_u32 v1, s0, v1
	v_mul_lo_u32 v4, v1, v0
	v_add_nc_u32_e32 v5, 1, v1
	s_delay_alu instid0(VALU_DEP_2) | instskip(SKIP_1) | instid1(VALU_DEP_1)
	v_sub_nc_u32_e32 v4, s0, v4
	s_abs_i32 s0, s12
	v_sub_nc_u32_e32 v10, v4, v0
	v_cmp_ge_u32_e32 vcc_lo, v4, v0
	s_delay_alu instid0(VALU_DEP_2) | instskip(SKIP_1) | instid1(VALU_DEP_2)
	v_dual_cndmask_b32 v1, v1, v5 :: v_dual_cndmask_b32 v4, v4, v10
	v_xor_b32_e32 v5, s11, v12
	v_add_nc_u32_e32 v10, 1, v1
	s_delay_alu instid0(VALU_DEP_3) | instskip(NEXT) | instid1(VALU_DEP_3)
	v_cmp_ge_u32_e32 vcc_lo, v4, v0
	v_ashrrev_i32_e32 v5, 31, v5
	s_delay_alu instid0(VALU_DEP_3) | instskip(NEXT) | instid1(VALU_DEP_1)
	v_cndmask_b32_e32 v0, v1, v10, vcc_lo
	v_xor_b32_e32 v0, v0, v5
	s_delay_alu instid0(VALU_DEP_1) | instskip(NEXT) | instid1(VALU_DEP_1)
	v_sub_nc_u32_e32 v5, v0, v5
	v_sub_nc_u32_e32 v0, 0, v5
	s_delay_alu instid0(VALU_DEP_1) | instskip(NEXT) | instid1(VALU_DEP_1)
	v_max_i32_e32 v4, v5, v0
	v_cvt_f32_u32_e32 v0, v4
	v_sub_nc_u32_e32 v1, 0, v4
	s_delay_alu instid0(VALU_DEP_2) | instskip(SKIP_2) | instid1(VALU_DEP_1)
	v_rcp_iflag_f32_e32 v0, v0
	s_waitcnt_depctr 0xfff
	v_mul_f32_e32 v0, 0x4f7ffffe, v0
	v_cvt_u32_f32_e32 v0, v0
	s_delay_alu instid0(VALU_DEP_1) | instskip(NEXT) | instid1(VALU_DEP_1)
	v_mul_lo_u32 v1, v1, v0
	v_mul_hi_u32 v1, v0, v1
	s_delay_alu instid0(VALU_DEP_1) | instskip(NEXT) | instid1(VALU_DEP_1)
	v_add_nc_u32_e32 v10, v0, v1
	v_mad_u64_u32 v[0:1], null, s0, v10, 0
	v_mov_b32_e32 v0, 0
	scratch_store_b32 off, v0, s32 offset:460 ; 4-byte Folded Spill
	v_cmpx_ne_u64_e32 0, v[19:20]
	s_cbranch_execz .LBB260_3
; %bb.2:
	s_ashr_i32 s13, s12, 31
	s_delay_alu instid0(SALU_CYCLE_1) | instskip(NEXT) | instid1(SALU_CYCLE_1)
	s_lshl_b64 s[2:3], s[12:13], 2
	v_add_co_u32 v10, vcc_lo, v19, s2
	v_add_co_ci_u32_e32 v11, vcc_lo, s3, v20, vcc_lo
	flat_load_b32 v0, v[10:11]
	s_waitcnt vmcnt(0) lgkmcnt(0)
	scratch_store_b32 off, v0, s32 offset:460 ; 4-byte Folded Spill
.LBB260_3:
	s_or_b32 exec_lo, exec_lo, s1
	v_and_b32_e32 v126, 0x3ff, v31
	v_ashrrev_i32_e32 v0, 31, v5
	s_ashr_i32 s1, s12, 31
	s_mul_i32 s4, s12, 0x60
	s_mov_b32 s2, exec_lo
	v_cmpx_gt_u32_e32 24, v126
	s_cbranch_execz .LBB260_5
; %bb.4:
	v_mul_lo_u32 v10, s10, v21
	s_ashr_i32 s5, s4, 31
	v_lshlrev_b32_e32 v17, 4, v126
	s_lshl_b64 s[16:17], s[4:5], 2
	s_delay_alu instid0(VALU_DEP_2) | instskip(NEXT) | instid1(VALU_DEP_1)
	v_ashrrev_i32_e32 v11, 31, v10
	v_lshlrev_b64 v[10:11], 2, v[10:11]
	s_delay_alu instid0(VALU_DEP_1) | instskip(NEXT) | instid1(VALU_DEP_2)
	v_add_co_u32 v5, vcc_lo, v6, v10
	v_add_co_ci_u32_e32 v6, vcc_lo, v7, v11, vcc_lo
	s_delay_alu instid0(VALU_DEP_2) | instskip(NEXT) | instid1(VALU_DEP_2)
	v_add_co_u32 v5, vcc_lo, v5, s16
	v_add_co_ci_u32_e32 v6, vcc_lo, s17, v6, vcc_lo
	s_delay_alu instid0(VALU_DEP_2) | instskip(NEXT) | instid1(VALU_DEP_2)
	v_add_co_u32 v5, vcc_lo, v5, v17
	v_add_co_ci_u32_e32 v6, vcc_lo, 0, v6, vcc_lo
	flat_load_b128 v[19:22], v[5:6]
	s_waitcnt vmcnt(0) lgkmcnt(0)
	ds_store_b128 v17, v[19:22]
.LBB260_5:
	s_or_b32 exec_lo, exec_lo, s2
	s_waitcnt vmcnt(0)
	v_sub_nc_u32_e32 v5, 0, v3
	v_mul_lo_u32 v6, v1, v4
	s_delay_alu instid0(VALU_DEP_2) | instskip(NEXT) | instid1(VALU_DEP_2)
	v_max_i32_e32 v10, v3, v5
	v_sub_nc_u32_e32 v6, s0, v6
	s_delay_alu instid0(VALU_DEP_2) | instskip(SKIP_1) | instid1(VALU_DEP_2)
	v_cvt_f32_u32_e32 v5, v10
	s_mov_b32 s0, exec_lo
	v_sub_nc_u32_e32 v11, v6, v4
	s_delay_alu instid0(VALU_DEP_2) | instskip(SKIP_3) | instid1(VALU_DEP_1)
	v_rcp_iflag_f32_e32 v5, v5
	v_cmp_ge_u32_e32 vcc_lo, v6, v4
	s_waitcnt_depctr 0xfff
	v_dual_cndmask_b32 v6, v6, v11 :: v_dual_mul_f32 v5, 0x4f7ffffe, v5
	v_cvt_u32_f32_e32 v7, v5
	v_sub_nc_u32_e32 v5, 0, v10
	s_delay_alu instid0(VALU_DEP_1) | instskip(NEXT) | instid1(VALU_DEP_1)
	v_mul_lo_u32 v16, v5, v7
	v_mul_hi_u32 v11, v7, v16
	v_xor_b32_e32 v16, s1, v0
	s_delay_alu instid0(VALU_DEP_2)
	v_add_nc_u32_e32 v7, v7, v11
	scratch_store_b32 off, v10, s32 offset:328 ; 4-byte Folded Spill
	v_add_nc_u32_e32 v10, 1, v1
	scratch_store_b32 off, v7, s32 offset:348 ; 4-byte Folded Spill
	s_waitcnt lgkmcnt(0)
	s_waitcnt_vscnt null, 0x0
	v_cndmask_b32_e32 v1, v1, v10, vcc_lo
	v_cmp_ge_u32_e32 vcc_lo, v6, v4
	s_barrier
	buffer_gl0_inv
	v_add_nc_u32_e32 v10, 1, v1
	s_delay_alu instid0(VALU_DEP_1) | instskip(NEXT) | instid1(VALU_DEP_1)
	v_dual_cndmask_b32 v0, v1, v10 :: v_dual_add_nc_u32 v5, -1, v25
	v_sub_nc_u32_e32 v17, 0, v5
	s_delay_alu instid0(VALU_DEP_2) | instskip(NEXT) | instid1(VALU_DEP_2)
	v_xor_b32_e32 v6, v0, v16
	v_max_i32_e32 v4, v5, v17
	s_delay_alu instid0(VALU_DEP_1) | instskip(NEXT) | instid1(VALU_DEP_3)
	v_mad_u64_u32 v[0:1], null, v4, v7, 0
	v_sub_nc_u32_e32 v0, v6, v16
                                        ; implicit-def: $vgpr6
	scratch_store_b64 off, v[6:7], s32 offset:332 ; 8-byte Folded Spill
	v_cmpx_gt_i32_e32 0, v2
	s_xor_b32 s0, exec_lo, s0
	s_cbranch_execz .LBB260_7
; %bb.6:
	v_mad_u64_u32 v[6:7], null, v28, v12, v[0:1]
                                        ; implicit-def: $vgpr28
	s_delay_alu instid0(VALU_DEP_1) | instskip(NEXT) | instid1(VALU_DEP_1)
	v_mul_lo_u32 v2, v6, v2
	v_sub_nc_u32_e32 v2, 1, v2
	scratch_store_b64 off, v[2:3], s32 offset:332 ; 8-byte Folded Spill
                                        ; implicit-def: $vgpr2
.LBB260_7:
	s_or_saveexec_b32 s0, s0
	v_ashrrev_i32_e32 v5, 31, v5
	v_ashrrev_i32_e32 v3, 31, v3
	scratch_store_b32 off, v3, s32 offset:340 ; 4-byte Folded Spill
	s_xor_b32 exec_lo, exec_lo, s0
	s_cbranch_execz .LBB260_9
; %bb.8:
	v_mad_u64_u32 v[6:7], null, s11, v28, s[12:13]
	s_delay_alu instid0(VALU_DEP_1)
	v_mad_u64_u32 v[10:11], null, v6, v2, 1
	scratch_store_b64 off, v[10:11], s32 offset:332 ; 8-byte Folded Spill
.LBB260_9:
	s_or_b32 exec_lo, exec_lo, s0
	scratch_load_b32 v12, off, s32 offset:328 ; 4-byte Folded Reload
	s_clause 0x1
	s_load_b32 s19, s[8:9], 0x14
	s_load_b32 s5, s[8:9], 0x8
	scratch_load_b32 v7, off, s32 offset:340 ; 4-byte Folded Reload
	v_dual_mov_b32 v139, 0xff7fffff :: v_dual_add_nc_u32 v6, 1, v1
	s_lshl_b32 s13, s14, 4
	v_lshrrev_b32_e32 v11, 5, v126
	v_mul_lo_u32 v19, v0, v23
	s_add_i32 s0, s13, 16
	v_sub_nc_u32_e32 v17, 0, v30
	s_delay_alu instid0(VALU_DEP_3) | instskip(SKIP_1) | instid1(VALU_DEP_1)
	v_lshl_add_u32 v138, v11, 5, s15
	v_add_nc_u32_e32 v56, s13, v11
	v_ashrrev_i32_e32 v57, 31, v56
	s_waitcnt vmcnt(1)
	v_mul_lo_u32 v2, v1, v12
	s_waitcnt vmcnt(0)
	v_xor_b32_e32 v5, v5, v7
	s_delay_alu instid0(VALU_DEP_2) | instskip(SKIP_2) | instid1(VALU_DEP_3)
	v_sub_nc_u32_e32 v4, v4, v2
	v_mul_lo_u32 v2, s10, v18
	v_ashrrev_i32_e32 v18, 31, v19
	v_sub_nc_u32_e32 v10, v4, v12
	v_cmp_ge_u32_e32 vcc_lo, v4, v12
	s_delay_alu instid0(VALU_DEP_2) | instskip(NEXT) | instid1(VALU_DEP_1)
	v_dual_cndmask_b32 v4, v4, v10 :: v_dual_add_nc_u32 v3, 31, v25
	v_ashrrev_i32_e32 v7, 31, v3
	v_cndmask_b32_e32 v1, v1, v6, vcc_lo
	s_delay_alu instid0(VALU_DEP_3) | instskip(NEXT) | instid1(VALU_DEP_3)
	v_cmp_ge_u32_e32 vcc_lo, v4, v12
	v_lshrrev_b32_e32 v6, 27, v7
	s_delay_alu instid0(VALU_DEP_3) | instskip(SKIP_1) | instid1(VALU_DEP_3)
	v_add_nc_u32_e32 v7, 1, v1
	v_and_b32_e32 v10, 31, v126
	v_add_nc_u32_e32 v3, v3, v6
	s_delay_alu instid0(VALU_DEP_3) | instskip(NEXT) | instid1(VALU_DEP_2)
	v_cndmask_b32_e32 v1, v1, v7, vcc_lo
	v_ashrrev_i32_e32 v16, 5, v3
	s_delay_alu instid0(VALU_DEP_2) | instskip(SKIP_1) | instid1(VALU_DEP_3)
	v_xor_b32_e32 v0, v1, v5
	v_ashrrev_i32_e32 v3, 31, v2
	v_min_i32_e32 v1, s0, v16
	s_delay_alu instid0(VALU_DEP_3)
	v_sub_nc_u32_e32 v0, v0, v5
	scratch_store_b32 off, v11, s32 offset:860 ; 4-byte Folded Spill
	v_lshlrev_b64 v[11:12], 2, v[2:3]
	scratch_store_b32 off, v1, s32 offset:344 ; 4-byte Folded Spill
	v_sub_nc_u32_e32 v0, v0, v29
	v_cmp_lt_i32_e64 s0, v56, v1
	s_clause 0x1
	scratch_store_b32 off, v0, s32 offset:352
	scratch_store_b32 off, v10, s32 offset:440
	v_lshlrev_b32_e32 v10, 2, v10
	s_and_saveexec_b32 s20, s0
	s_cbranch_execz .LBB260_785
; %bb.10:
	s_clause 0x8
	scratch_store_b32 off, v16, s32 offset:920
	scratch_store_b32 off, v32, s32 offset:904
	;; [unrolled: 1-line block ×9, first 2 shown]
	scratch_load_b32 v1, off, s32 offset:460 ; 4-byte Folded Reload
	v_max_i32_e32 v7, v30, v17
	v_dual_mov_b32 v29, 0 :: v_dual_and_b32 v6, 31, v126
	v_add_co_u32 v2, vcc_lo, v8, v19
	s_delay_alu instid0(VALU_DEP_3)
	v_cvt_f32_u32_e32 v0, v7
	v_add_co_ci_u32_e32 v3, vcc_lo, v9, v18, vcc_lo
	s_clause 0x1
	scratch_store_b32 off, v19, s32 offset:916
	scratch_store_b32 off, v18, s32 offset:928
	v_rcp_iflag_f32_e32 v5, v0
	v_lshlrev_b32_e32 v4, 4, v6
	s_ashr_i32 s7, s6, 31
	s_getpc_b64 s[2:3]
	s_add_u32 s2, s2, llvm.amdgcn.dynlds.offset.table@rel32@lo+4
	s_addc_u32 s3, s3, llvm.amdgcn.dynlds.offset.table@rel32@hi+12
	s_lshl_b64 s[8:9], s[6:7], 2
	s_mov_b32 s16, 0
	v_add_co_u32 v2, s1, v2, v4
	s_delay_alu instid0(VALU_DEP_1)
	v_add_co_ci_u32_e64 v3, s1, 0, v3, s1
	s_clause 0x1
	scratch_store_b64 off, v[2:3], s32 offset:464
	scratch_store_b32 off, v7, s32 offset:432
	v_mul_f32_e32 v3, 0x4f7ffffe, v5
	v_sub_nc_u32_e32 v2, 0, v7
	ds_load_b128 v[16:19], v29
	s_add_u32 s8, s8, s2
	s_addc_u32 s9, s9, s3
	v_cvt_u32_f32_e32 v3, v3
	s_load_b32 s7, s[8:9], 0x0
	s_brev_b32 s17, 1
	s_mov_b32 s3, 0x7f800001
	s_mov_b32 s21, s16
	v_mul_lo_u32 v2, v2, v3
	v_mov_b32_e32 v139, 0xff7fffff
	scratch_store_b32 off, v15, s32 offset:876 ; 4-byte Folded Spill
	v_mov_b32_e32 v47, v56
	s_clause 0x2
	scratch_store_b32 off, v14, s32 offset:880
	scratch_store_b64 off, v[11:12], s32 offset:908
	scratch_store_b32 off, v10, s32 offset:932
	v_mul_hi_u32 v2, v3, v2
	s_delay_alu instid0(VALU_DEP_1)
	v_add_nc_u32_e32 v2, v3, v2
	scratch_store_b32 off, v2, s32 offset:436 ; 4-byte Folded Spill
	ds_load_b128 v[2:5], v29 offset:320
	s_waitcnt lgkmcnt(0)
	scratch_store_b128 off, v[16:19], s32 offset:472 ; 16-byte Folded Spill
	ds_load_b128 v[16:19], v29 offset:16
	scratch_store_b128 off, v[2:5], s32 offset:792 ; 16-byte Folded Spill
	ds_load_b128 v[2:5], v29 offset:336
	s_waitcnt lgkmcnt(1)
	scratch_store_b128 off, v[16:19], s32 offset:488 ; 16-byte Folded Spill
	ds_load_b128 v[16:19], v29 offset:32
	s_waitcnt lgkmcnt(1)
	;; [unrolled: 3-line block ×6, first 2 shown]
	scratch_store_b128 off, v[2:5], s32 offset:840 ; 16-byte Folded Spill
	v_sub_nc_u32_e32 v2, v6, v25
	s_waitcnt vmcnt(0)
	v_cmp_neq_f32_e32 vcc_lo, 0, v1
	v_lshlrev_b64 v[0:1], 2, v[56:57]
	s_delay_alu instid0(VALU_DEP_1) | instskip(NEXT) | instid1(VALU_DEP_1)
	v_add_co_u32 v0, s1, v11, v0
	v_add_co_ci_u32_e64 v1, s1, v12, v1, s1
	s_delay_alu instid0(VALU_DEP_2) | instskip(SKIP_1) | instid1(VALU_DEP_3)
	v_add_co_u32 v62, s1, v14, v0
	v_lshrrev_b32_e32 v0, 5, v126
	v_add_co_ci_u32_e64 v63, s1, v15, v1, s1
	s_delay_alu instid0(VALU_DEP_2)
	v_lshl_add_u32 v20, v0, 5, s15
	v_lshl_or_b32 v30, v0, 7, v10
	v_add_nc_u32_e32 v0, 1, v2
	s_waitcnt lgkmcnt(0)
	scratch_store_b128 off, v[16:19], s32 offset:536 ; 16-byte Folded Spill
	ds_load_b128 v[16:19], v29 offset:80
	scratch_store_b32 off, v0, s32 offset:856 ; 4-byte Folded Spill
	s_waitcnt lgkmcnt(0)
	scratch_store_b128 off, v[16:19], s32 offset:552 ; 16-byte Folded Spill
	ds_load_b128 v[16:19], v29 offset:96
	s_waitcnt lgkmcnt(0)
	scratch_store_b128 off, v[16:19], s32 offset:568 ; 16-byte Folded Spill
	ds_load_b128 v[16:19], v29 offset:112
	;; [unrolled: 3-line block ×14, first 2 shown]
	s_waitcnt lgkmcnt(0)
	s_clause 0x2
	scratch_store_b128 off, v[16:19], s32 offset:776
	scratch_store_b32 off, v127, s32 offset:872
	scratch_store_b32 off, v126, s32 offset:864
	s_branch .LBB260_16
.LBB260_11:                             ;   in Loop: Header=BB260_16 Depth=1
	s_or_b32 exec_lo, exec_lo, s25
	v_lshlrev_b32_e32 v10, 24, v10
	v_lshlrev_b32_e32 v24, 20, v28
	v_lshl_add_u32 v23, v23, 23, 0x3c000000
	s_delay_alu instid0(VALU_DEP_3) | instskip(NEXT) | instid1(VALU_DEP_1)
	v_and_b32_e32 v10, 0x80000000, v10
	v_or3_b32 v24, v24, v10, v23
	v_mov_b32_e32 v23, v29
.LBB260_12:                             ;   in Loop: Header=BB260_16 Depth=1
	s_or_b32 exec_lo, exec_lo, s2
.LBB260_13:                             ;   in Loop: Header=BB260_16 Depth=1
	s_delay_alu instid0(SALU_CYCLE_1)
	s_or_b32 exec_lo, exec_lo, s24
.LBB260_14:                             ;   in Loop: Header=BB260_16 Depth=1
	s_delay_alu instid0(SALU_CYCLE_1)
	s_or_b32 exec_lo, exec_lo, s23
	v_or_b32_e32 v65, v65, v67
	v_or_b32_e32 v67, v64, v66
	;; [unrolled: 1-line block ×4, first 2 shown]
	scratch_load_b64 v[68:69], off, s32 offset:404 ; 8-byte Folded Reload
	v_or_b32_e32 v81, v81, v83
	v_or_b32_e32 v83, v80, v82
	;; [unrolled: 1-line block ×4, first 2 shown]
	scratch_load_b64 v[84:85], off, s32 offset:388 ; 8-byte Folded Reload
	v_or_b32_e32 v49, v49, v51
	v_or_b32_e32 v51, v48, v50
	;; [unrolled: 1-line block ×12, first 2 shown]
	scratch_load_b64 v[37:38], off, s32 offset:420 ; 8-byte Folded Reload
	v_or_b32_e32 v97, v97, v99
	v_or_b32_e32 v99, v96, v98
	;; [unrolled: 1-line block ×8, first 2 shown]
	scratch_load_b64 v[116:117], off, s32 offset:356 ; 8-byte Folded Reload
	v_or_b32_e32 v145, v145, v147
	v_or_b32_e32 v147, v144, v146
	;; [unrolled: 1-line block ×4, first 2 shown]
	scratch_load_b128 v[148:151], off, s32 offset:488 ; 16-byte Folded Reload
	v_or_b32_e32 v1, v1, v3
	v_or_b32_e32 v3, v0, v2
	;; [unrolled: 1-line block ×8, first 2 shown]
	v_mul_f32_e32 v27, v122, v27
	v_or_b32_e32 v6, v17, v19
	v_or_b32_e32 v19, v171, v173
	v_mul_f32_e32 v5, v122, v5
	v_or_b32_e32 v2, v14, v26
	v_or_b32_e32 v14, v4, v60
	;; [unrolled: 1-line block ×3, first 2 shown]
	v_mul_f32_e32 v19, v122, v19
	v_or_b32_e32 v22, v170, v172
	v_or_b32_e32 v36, v154, v156
	v_mul_f32_e32 v1, v122, v1
	v_or_b32_e32 v15, v187, v189
	v_mul_f32_e32 v0, v122, v0
	v_mul_f32_e32 v22, v122, v22
	;; [unrolled: 1-line block ×3, first 2 shown]
	v_or_b32_e32 v17, v186, v188
	v_mul_f32_e32 v15, v122, v15
	v_or_b32_e32 v53, v142, v152
	v_mul_f32_e32 v14, v122, v14
	;; [unrolled: 2-line block ×3, first 2 shown]
	v_or_b32_e32 v26, v159, v169
	v_or_b32_e32 v11, v11, v21
	;; [unrolled: 1-line block ×7, first 2 shown]
	s_load_b32 s2, s[8:9], 0x0
	v_or_b32_e32 v161, v161, v163
	v_or_b32_e32 v163, v160, v162
	;; [unrolled: 1-line block ×17, first 2 shown]
	s_clause 0x2
	scratch_load_b128 v[132:135], off, s32 offset:472
	scratch_load_b64 v[100:101], off, s32 offset:380
	scratch_load_b64 v[118:119], off, s32 offset:364
	s_waitcnt vmcnt(7)
	v_or_b32_e32 v54, v125, v69
	scratch_load_b64 v[69:70], off, s32 offset:412 ; 8-byte Folded Reload
	v_or_b32_e32 v68, v124, v68
	s_waitcnt vmcnt(7)
	v_or_b32_e32 v84, v108, v84
	v_mul_f32_e32 v54, v122, v54
	s_delay_alu instid0(VALU_DEP_3) | instskip(NEXT) | instid1(VALU_DEP_3)
	v_mul_f32_e32 v68, v122, v68
	v_mul_f32_e32 v84, v122, v84
	s_waitcnt vmcnt(5)
	v_or_b32_e32 v103, v75, v117
	v_or_b32_e32 v117, v74, v116
	s_waitcnt vmcnt(2)
	v_or_b32_e32 v100, v104, v100
	s_waitcnt vmcnt(1)
	v_or_b32_e32 v116, v78, v118
	v_or_b32_e32 v118, v93, v44
	s_delay_alu instid0(VALU_DEP_3)
	v_mul_f32_e32 v100, v122, v100
	s_waitcnt vmcnt(0)
	v_or_b32_e32 v55, v137, v70
	v_or_b32_e32 v70, v109, v85
	scratch_load_b64 v[85:86], off, s32 offset:396 ; 8-byte Folded Reload
	v_or_b32_e32 v52, v140, v37
	v_or_b32_e32 v38, v141, v38
	;; [unrolled: 1-line block ×4, first 2 shown]
	s_delay_alu instid0(VALU_DEP_4)
	v_mul_f32_e32 v52, v122, v52
	v_mul_f32_e32 v70, v122, v70
	v_mul_f32_e32 v38, v122, v38
	s_waitcnt vmcnt(0)
	v_or_b32_e32 v71, v121, v86
	scratch_load_b64 v[86:87], off, s32 offset:372 ; 8-byte Folded Reload
	v_or_b32_e32 v85, v120, v85
	s_waitcnt vmcnt(0)
	v_or_b32_e32 v102, v90, v86
	v_or_b32_e32 v86, v105, v101
	v_or_b32_e32 v87, v91, v87
	v_or_b32_e32 v101, v79, v119
	v_or_b32_e32 v119, v92, v43
	s_delay_alu instid0(VALU_DEP_4) | instskip(NEXT) | instid1(VALU_DEP_4)
	v_mul_f32_e32 v86, v122, v86
	v_mul_f32_e32 v87, v122, v87
	s_delay_alu instid0(VALU_DEP_2) | instskip(SKIP_1) | instid1(VALU_DEP_2)
	v_dual_mul_f32 v101, v122, v101 :: v_dual_mul_f32 v86, v151, v86
	v_mul_f32_e32 v23, v122, v102
	v_dual_mul_f32 v87, v149, v87 :: v_dual_fmac_f32 v86, v135, v101
	s_delay_alu instid0(VALU_DEP_2) | instskip(NEXT) | instid1(VALU_DEP_1)
	v_dual_mul_f32 v102, v122, v117 :: v_dual_mul_f32 v23, v148, v23
	v_dual_fmac_f32 v23, v132, v102 :: v_dual_mul_f32 v102, v122, v103
	s_delay_alu instid0(VALU_DEP_1) | instskip(SKIP_1) | instid1(VALU_DEP_1)
	v_dual_fmac_f32 v87, v133, v102 :: v_dual_mul_f32 v102, v122, v116
	v_mul_f32_e32 v100, v150, v100
	v_fmac_f32_e32 v100, v134, v102
	scratch_load_b128 v[132:135], off, s32 offset:504 ; 16-byte Folded Reload
	s_waitcnt vmcnt(0)
	v_fmac_f32_e32 v23, v132, v84
	v_dual_fmac_f32 v87, v133, v70 :: v_dual_mul_f32 v70, v122, v85
	s_delay_alu instid0(VALU_DEP_1) | instskip(SKIP_1) | instid1(VALU_DEP_1)
	v_fmac_f32_e32 v100, v134, v70
	v_mul_f32_e32 v70, v122, v71
	v_fmac_f32_e32 v86, v135, v70
	scratch_load_b128 v[132:135], off, s32 offset:520 ; 16-byte Folded Reload
	s_waitcnt vmcnt(0)
	v_fmac_f32_e32 v23, v132, v68
	v_dual_fmac_f32 v87, v133, v54 :: v_dual_mul_f32 v54, v122, v69
	scratch_load_b128 v[68:71], off, s32 offset:536 ; 16-byte Folded Reload
	v_fmac_f32_e32 v100, v134, v54
	v_mul_f32_e32 v54, v122, v55
	s_waitcnt vmcnt(0)
	s_delay_alu instid0(VALU_DEP_1)
	v_dual_fmac_f32 v86, v135, v54 :: v_dual_fmac_f32 v23, v68, v52
	v_dual_fmac_f32 v87, v69, v38 :: v_dual_mul_f32 v38, v122, v53
	scratch_load_b128 v[52:55], off, s32 offset:552 ; 16-byte Folded Reload
	s_waitcnt vmcnt(0)
	v_dual_fmac_f32 v100, v70, v38 :: v_dual_fmac_f32 v87, v53, v27
	v_mul_f32_e32 v27, v122, v37
	s_delay_alu instid0(VALU_DEP_1)
	v_dual_fmac_f32 v23, v52, v36 :: v_dual_fmac_f32 v86, v71, v27
	v_mul_f32_e32 v27, v122, v35
	scratch_load_b128 v[35:38], off, s32 offset:568 ; 16-byte Folded Reload
	v_fmac_f32_e32 v100, v54, v27
	s_waitcnt vmcnt(0)
	v_fmac_f32_e32 v87, v36, v19
	v_mul_f32_e32 v19, v122, v26
	v_fmac_f32_e32 v23, v35, v22
	s_delay_alu instid0(VALU_DEP_2)
	v_dual_fmac_f32 v86, v55, v19 :: v_dual_mul_f32 v19, v122, v21
	scratch_load_b128 v[52:55], off, s32 offset:584 ; 16-byte Folded Reload
	v_fmac_f32_e32 v100, v37, v19
	s_waitcnt vmcnt(0)
	v_fmac_f32_e32 v87, v53, v15
	v_mul_f32_e32 v15, v122, v18
	s_delay_alu instid0(VALU_DEP_1) | instskip(SKIP_1) | instid1(VALU_DEP_1)
	v_dual_fmac_f32 v23, v52, v17 :: v_dual_fmac_f32 v86, v38, v15
	v_mul_f32_e32 v15, v122, v16
	v_fmac_f32_e32 v100, v54, v15
	scratch_load_b128 v[15:18], off, s32 offset:600 ; 16-byte Folded Reload
	s_waitcnt vmcnt(0)
	v_fmac_f32_e32 v87, v16, v5
	v_mul_f32_e32 v5, v122, v12
	v_fmac_f32_e32 v23, v15, v14
	s_delay_alu instid0(VALU_DEP_2) | instskip(NEXT) | instid1(VALU_DEP_1)
	v_dual_fmac_f32 v86, v55, v5 :: v_dual_mul_f32 v5, v122, v11
	v_fmac_f32_e32 v100, v17, v5
	scratch_load_b128 v[14:17], off, s32 offset:616 ; 16-byte Folded Reload
	s_waitcnt vmcnt(0)
	v_fmac_f32_e32 v87, v15, v1
	v_mul_f32_e32 v1, v122, v4
	s_delay_alu instid0(VALU_DEP_1) | instskip(NEXT) | instid1(VALU_DEP_1)
	v_fmac_f32_e32 v86, v18, v1
	v_dual_mul_f32 v1, v122, v2 :: v_dual_fmac_f32 v86, v17, v0
	s_delay_alu instid0(VALU_DEP_1) | instskip(SKIP_2) | instid1(VALU_DEP_3)
	v_dual_mul_f32 v3, v122, v3 :: v_dual_fmac_f32 v100, v16, v1
	v_mul_f32_e32 v1, v122, v9
	v_mul_f32_e32 v0, v122, v8
	v_fmac_f32_e32 v23, v14, v3
	scratch_load_b128 v[2:5], off, s32 offset:632 ; 16-byte Folded Reload
	s_waitcnt vmcnt(0)
	v_fmac_f32_e32 v23, v2, v1
	v_dual_mul_f32 v1, v122, v7 :: v_dual_fmac_f32 v100, v4, v0
	s_delay_alu instid0(VALU_DEP_1) | instskip(SKIP_4) | instid1(VALU_DEP_1)
	v_dual_mul_f32 v0, v122, v34 :: v_dual_fmac_f32 v87, v3, v1
	scratch_load_b128 v[1:4], off, s32 offset:648 ; 16-byte Folded Reload
	s_waitcnt vmcnt(0)
	v_fmac_f32_e32 v23, v1, v0
	v_mul_f32_e32 v0, v122, v32
	v_fmac_f32_e32 v87, v2, v0
	v_mul_f32_e32 v0, v122, v6
	s_delay_alu instid0(VALU_DEP_1) | instskip(SKIP_2) | instid1(VALU_DEP_1)
	v_fmac_f32_e32 v86, v5, v0
	scratch_load_b128 v[5:8], off, s32 offset:664 ; 16-byte Folded Reload
	v_mul_f32_e32 v0, v122, v33
	v_fmac_f32_e32 v100, v3, v0
	v_mul_f32_e32 v0, v122, v51
	s_waitcnt vmcnt(0)
	s_delay_alu instid0(VALU_DEP_1) | instskip(NEXT) | instid1(VALU_DEP_1)
	v_dual_fmac_f32 v23, v5, v0 :: v_dual_mul_f32 v0, v122, v49
	v_fmac_f32_e32 v87, v6, v0
	v_mul_f32_e32 v0, v122, v31
	s_delay_alu instid0(VALU_DEP_1) | instskip(SKIP_2) | instid1(VALU_DEP_1)
	v_fmac_f32_e32 v86, v4, v0
	scratch_load_b128 v[1:4], off, s32 offset:680 ; 16-byte Folded Reload
	v_mul_f32_e32 v0, v122, v50
	v_fmac_f32_e32 v100, v7, v0
	v_mul_f32_e32 v0, v122, v67
	s_waitcnt vmcnt(0)
	s_delay_alu instid0(VALU_DEP_1) | instskip(NEXT) | instid1(VALU_DEP_1)
	v_dual_fmac_f32 v23, v1, v0 :: v_dual_mul_f32 v0, v122, v65
	;; [unrolled: 11-line block ×11, first 2 shown]
	v_fmac_f32_e32 v87, v6, v0
	v_mul_f32_e32 v0, v122, v39
	s_delay_alu instid0(VALU_DEP_1) | instskip(SKIP_2) | instid1(VALU_DEP_1)
	v_fmac_f32_e32 v86, v4, v0
	scratch_load_b128 v[1:4], off, s32 offset:840 ; 16-byte Folded Reload
	v_mul_f32_e32 v0, v122, v88
	v_fmac_f32_e32 v100, v7, v0
	v_mul_f32_e32 v0, v122, v119
	s_waitcnt vmcnt(0)
	s_delay_alu instid0(VALU_DEP_1) | instskip(SKIP_1) | instid1(VALU_DEP_2)
	v_dual_fmac_f32 v23, v1, v0 :: v_dual_mul_f32 v0, v122, v118
	v_mul_f32_e32 v1, v122, v10
	v_fmac_f32_e32 v87, v2, v0
	v_mul_f32_e32 v0, v122, v28
	s_delay_alu instid0(VALU_DEP_3) | instskip(SKIP_4) | instid1(VALU_DEP_2)
	v_fmac_f32_e32 v100, v3, v1
	scratch_load_b32 v1, off, s32 offset:856 ; 4-byte Folded Reload
	v_mul_f32_e32 v2, v122, v24
	v_fmac_f32_e32 v86, v8, v0
	v_add_f32_e32 v0, v23, v87
	v_fmac_f32_e32 v86, v4, v2
	scratch_load_b32 v2, off, s32 offset:460 ; 4-byte Folded Reload
	v_add_f32_e32 v0, v100, v0
	s_delay_alu instid0(VALU_DEP_1) | instskip(SKIP_2) | instid1(VALU_DEP_1)
	v_add_f32_e32 v0, v86, v0
	s_waitcnt vmcnt(1)
	v_add_nc_u32_e32 v1, v1, v20
	v_cvt_f32_i32_e32 v1, v1
	s_waitcnt vmcnt(0)
	s_delay_alu instid0(VALU_DEP_1) | instskip(NEXT) | instid1(VALU_DEP_1)
	v_mul_f32_e32 v1, v2, v1
	v_cndmask_b32_e32 v1, 0, v1, vcc_lo
	s_delay_alu instid0(VALU_DEP_1) | instskip(SKIP_3) | instid1(VALU_DEP_1)
	v_fmac_f32_e32 v1, v0, v13
	scratch_load_b32 v0, off, s32 offset:440 ; 4-byte Folded Reload
	s_waitcnt vmcnt(0)
	v_add_nc_u32_e32 v0, v0, v20
	v_cmp_lt_i32_e64 s1, v0, v25
	s_waitcnt lgkmcnt(0)
	v_add_nc_u32_e32 v0, s2, v30
	s_delay_alu instid0(VALU_DEP_2) | instskip(SKIP_2) | instid1(VALU_DEP_1)
	v_cndmask_b32_e64 v2, 0, v1, s1
	ds_store_b32 v0, v2
	v_max_f32_e32 v0, v139, v139
	v_max_f32_e32 v0, v0, v1
	s_delay_alu instid0(VALU_DEP_1)
	v_cndmask_b32_e64 v139, v139, v0, s1
.LBB260_15:                             ;   in Loop: Header=BB260_16 Depth=1
	s_or_b32 exec_lo, exec_lo, s22
	scratch_load_b32 v0, off, s32 offset:344 ; 4-byte Folded Reload
	v_add_nc_u32_e32 v47, 4, v47
	v_add_co_u32 v62, s2, v62, 16
	s_delay_alu instid0(VALU_DEP_1) | instskip(SKIP_4) | instid1(VALU_DEP_1)
	v_add_co_ci_u32_e64 v63, s2, 0, v63, s2
	v_add_nc_u32_e32 v20, 0x80, v20
	v_add_nc_u32_e32 v30, 0x200, v30
	s_waitcnt vmcnt(0)
	v_cmp_ge_i32_e64 s1, v47, v0
	s_or_b32 s21, s1, s21
	s_delay_alu instid0(SALU_CYCLE_1)
	s_and_not1_b32 exec_lo, exec_lo, s21
	s_cbranch_execz .LBB260_784
.LBB260_16:                             ; =>This Inner Loop Header: Depth=1
	s_clause 0x2
	scratch_load_b32 v1, off, s32 offset:348
	scratch_load_b32 v5, off, s32 offset:340
	;; [unrolled: 1-line block ×3, first 2 shown]
	v_sub_nc_u32_e32 v0, 0, v20
	s_delay_alu instid0(VALU_DEP_1) | instskip(SKIP_1) | instid1(VALU_DEP_1)
	v_max_i32_e32 v0, v20, v0
	s_waitcnt vmcnt(2)
	v_mul_hi_u32 v1, v0, v1
	s_waitcnt vmcnt(0)
	s_delay_alu instid0(VALU_DEP_1) | instskip(NEXT) | instid1(VALU_DEP_1)
	v_mul_lo_u32 v2, v1, v4
	v_sub_nc_u32_e32 v0, v0, v2
	v_add_nc_u32_e32 v2, 1, v1
	s_delay_alu instid0(VALU_DEP_2) | instskip(SKIP_1) | instid1(VALU_DEP_1)
	v_sub_nc_u32_e32 v3, v0, v4
	v_cmp_ge_u32_e64 s1, v0, v4
	v_cndmask_b32_e64 v1, v1, v2, s1
	s_delay_alu instid0(VALU_DEP_3) | instskip(SKIP_1) | instid1(VALU_DEP_3)
	v_cndmask_b32_e64 v0, v0, v3, s1
	v_ashrrev_i32_e32 v2, 31, v20
	v_add_nc_u32_e32 v3, 1, v1
	s_delay_alu instid0(VALU_DEP_3) | instskip(NEXT) | instid1(VALU_DEP_3)
	v_cmp_ge_u32_e64 s1, v0, v4
	v_xor_b32_e32 v2, v2, v5
	scratch_load_b32 v4, off, s32 offset:432 ; 4-byte Folded Reload
	v_cndmask_b32_e64 v0, v1, v3, s1
	scratch_load_b32 v3, off, s32 offset:436 ; 4-byte Folded Reload
	v_xor_b32_e32 v0, v0, v2
	s_delay_alu instid0(VALU_DEP_1) | instskip(SKIP_3) | instid1(VALU_DEP_1)
	v_sub_nc_u32_e32 v0, v0, v2
	scratch_load_b64 v[1:2], off, s32 offset:332 ; 8-byte Folded Reload
	s_waitcnt vmcnt(0)
	v_add_nc_u32_e32 v1, v0, v1
	v_sub_nc_u32_e32 v2, 0, v1
	s_delay_alu instid0(VALU_DEP_1) | instskip(SKIP_1) | instid1(VALU_DEP_2)
	v_max_i32_e32 v2, v1, v2
	v_ashrrev_i32_e32 v1, 31, v1
	v_mul_hi_u32 v3, v2, v3
	s_delay_alu instid0(VALU_DEP_1) | instskip(NEXT) | instid1(VALU_DEP_1)
	v_mul_lo_u32 v3, v3, v4
	v_sub_nc_u32_e32 v2, v2, v3
	s_delay_alu instid0(VALU_DEP_1) | instskip(SKIP_1) | instid1(VALU_DEP_1)
	v_sub_nc_u32_e32 v3, v2, v4
	v_cmp_ge_u32_e64 s1, v2, v4
	v_cndmask_b32_e64 v2, v2, v3, s1
	s_delay_alu instid0(VALU_DEP_1) | instskip(SKIP_1) | instid1(VALU_DEP_1)
	v_sub_nc_u32_e32 v3, v2, v4
	v_cmp_ge_u32_e64 s1, v2, v4
	v_cndmask_b32_e64 v2, v2, v3, s1
	s_delay_alu instid0(VALU_DEP_1) | instskip(NEXT) | instid1(VALU_DEP_1)
	v_xor_b32_e32 v2, v2, v1
	v_sub_nc_u32_e32 v1, v2, v1
	s_delay_alu instid0(VALU_DEP_1) | instskip(SKIP_3) | instid1(VALU_DEP_1)
	v_cmp_ne_u32_e64 s1, 0, v1
	scratch_load_b32 v1, off, s32 offset:352 ; 4-byte Folded Reload
	s_waitcnt vmcnt(0)
	v_cmp_le_i32_e64 s2, v0, v1
	s_and_b32 s1, s1, s2
	s_delay_alu instid0(SALU_CYCLE_1) | instskip(NEXT) | instid1(SALU_CYCLE_1)
	s_and_saveexec_b32 s2, s1
	s_xor_b32 s1, exec_lo, s2
	s_cbranch_execz .LBB260_18
; %bb.17:                               ;   in Loop: Header=BB260_16 Depth=1
	v_dual_mov_b32 v1, 0xff7fffff :: v_dual_add_nc_u32 v0, s7, v30
	ds_store_b32 v0, v1
.LBB260_18:                             ;   in Loop: Header=BB260_16 Depth=1
	s_and_not1_saveexec_b32 s22, s1
	s_cbranch_execz .LBB260_15
; %bb.19:                               ;   in Loop: Header=BB260_16 Depth=1
	flat_load_b32 v0, v[62:63]
	s_clause 0x1
	scratch_load_b32 v1, off, s32 offset:428
	scratch_load_b64 v[2:3], off, s32 offset:464
	s_mov_b32 s2, exec_lo
	s_waitcnt vmcnt(0) lgkmcnt(0)
	v_mad_i64_i32 v[92:93], null, v0, v1, v[2:3]
	flat_load_b32 v0, v[92:93]
	scratch_load_b64 v[1:2], off, s32 offset:452 ; 8-byte Folded Reload
	v_mov_b32_e32 v74, 0
	v_mov_b32_e32 v75, 0
	scratch_store_b64 off, v[74:75], s32 offset:356 ; 8-byte Folded Spill
	s_waitcnt vmcnt(0)
	flat_load_b32 v122, v[1:2]
	s_waitcnt lgkmcnt(1)
	v_and_b32_e32 v1, 0xff, v0
	s_delay_alu instid0(VALU_DEP_1)
	v_cmpx_ne_u16_e32 0, v1
	s_cbranch_execz .LBB260_27
; %bb.20:                               ;   in Loop: Header=BB260_16 Depth=1
	v_bfrev_b32_e32 v2, 1
	v_mov_b32_e32 v3, 0
	s_mov_b32 s23, exec_lo
	scratch_store_b64 off, v[2:3], s32 offset:356 ; 8-byte Folded Spill
	v_cmpx_ne_u16_e32 0x80, v1
	s_cbranch_execz .LBB260_26
; %bb.21:                               ;   in Loop: Header=BB260_16 Depth=1
	v_mov_b32_e32 v3, 0x7f800001
	v_and_b32_e32 v2, 0x7f, v0
	v_mov_b32_e32 v4, 0
	s_mov_b32 s24, exec_lo
	scratch_store_b64 off, v[3:4], s32 offset:356 ; 8-byte Folded Spill
	v_cmpx_ne_u32_e32 0x7f, v2
	s_cbranch_execz .LBB260_25
; %bb.22:                               ;   in Loop: Header=BB260_16 Depth=1
	v_and_b32_e32 v28, 7, v0
	v_lshrrev_b32_e32 v1, 3, v2
	s_mov_b32 s25, exec_lo
	v_cmpx_gt_u32_e32 8, v2
; %bb.23:                               ;   in Loop: Header=BB260_16 Depth=1
	s_delay_alu instid0(VALU_DEP_3) | instskip(NEXT) | instid1(VALU_DEP_1)
	v_clz_i32_u32_e32 v1, v28
	v_min_u32_e32 v1, 32, v1
	s_delay_alu instid0(VALU_DEP_1) | instskip(SKIP_1) | instid1(VALU_DEP_2)
	v_subrev_nc_u32_e32 v2, 28, v1
	v_sub_nc_u32_e32 v1, 29, v1
	v_lshlrev_b64 v[2:3], v2, v[28:29]
	s_delay_alu instid0(VALU_DEP_1)
	v_and_b32_e32 v28, 7, v2
; %bb.24:                               ;   in Loop: Header=BB260_16 Depth=1
	s_or_b32 exec_lo, exec_lo, s25
	v_lshlrev_b32_e32 v2, 24, v0
	s_delay_alu instid0(VALU_DEP_2) | instskip(SKIP_1) | instid1(VALU_DEP_3)
	v_lshlrev_b32_e32 v3, 20, v28
	v_lshl_add_u32 v1, v1, 23, 0x3c000000
	v_and_b32_e32 v2, 0x80000000, v2
	s_delay_alu instid0(VALU_DEP_1)
	v_or3_b32 v28, v3, v2, v1
	scratch_store_b64 off, v[28:29], s32 offset:356 ; 8-byte Folded Spill
.LBB260_25:                             ;   in Loop: Header=BB260_16 Depth=1
	s_or_b32 exec_lo, exec_lo, s24
.LBB260_26:                             ;   in Loop: Header=BB260_16 Depth=1
	s_delay_alu instid0(SALU_CYCLE_1)
	s_or_b32 exec_lo, exec_lo, s23
.LBB260_27:                             ;   in Loop: Header=BB260_16 Depth=1
	s_delay_alu instid0(SALU_CYCLE_1) | instskip(SKIP_2) | instid1(VALU_DEP_1)
	s_or_b32 exec_lo, exec_lo, s2
	v_lshrrev_b16 v1, 8, v0
	s_mov_b32 s23, exec_lo
	v_cmpx_ne_u16_e32 0, v1
	s_cbranch_execz .LBB260_35
; %bb.28:                               ;   in Loop: Header=BB260_16 Depth=1
	v_dual_mov_b32 v75, s17 :: v_dual_mov_b32 v74, s16
	s_mov_b32 s24, exec_lo
	v_cmpx_ne_u16_e32 0x80, v1
	s_cbranch_execz .LBB260_34
; %bb.29:                               ;   in Loop: Header=BB260_16 Depth=1
	s_mov_b32 s2, s16
	v_and_b32_e32 v1, 0xffff, v1
	v_dual_mov_b32 v75, s3 :: v_dual_mov_b32 v74, s2
	s_mov_b32 s2, exec_lo
	s_delay_alu instid0(VALU_DEP_2) | instskip(NEXT) | instid1(VALU_DEP_1)
	v_and_b32_e32 v2, 0x7f, v1
	v_cmpx_ne_u32_e32 0x7f, v2
	s_cbranch_execz .LBB260_33
; %bb.30:                               ;   in Loop: Header=BB260_16 Depth=1
	v_and_b32_e32 v28, 7, v1
	v_lshrrev_b32_e32 v1, 3, v2
	s_mov_b32 s25, exec_lo
	v_cmpx_gt_u32_e32 8, v2
; %bb.31:                               ;   in Loop: Header=BB260_16 Depth=1
	s_delay_alu instid0(VALU_DEP_3) | instskip(NEXT) | instid1(VALU_DEP_1)
	v_clz_i32_u32_e32 v1, v28
	v_min_u32_e32 v1, 32, v1
	s_delay_alu instid0(VALU_DEP_1) | instskip(SKIP_1) | instid1(VALU_DEP_2)
	v_subrev_nc_u32_e32 v2, 28, v1
	v_sub_nc_u32_e32 v1, 29, v1
	v_lshlrev_b64 v[2:3], v2, v[28:29]
	s_delay_alu instid0(VALU_DEP_1)
	v_and_b32_e32 v28, 7, v2
; %bb.32:                               ;   in Loop: Header=BB260_16 Depth=1
	s_or_b32 exec_lo, exec_lo, s25
	v_lshlrev_b32_e32 v2, 16, v0
	s_delay_alu instid0(VALU_DEP_2) | instskip(SKIP_1) | instid1(VALU_DEP_3)
	v_dual_mov_b32 v74, v29 :: v_dual_lshlrev_b32 v3, 20, v28
	v_lshl_add_u32 v1, v1, 23, 0x3c000000
	v_and_b32_e32 v2, 0x80000000, v2
	s_delay_alu instid0(VALU_DEP_1)
	v_or3_b32 v75, v3, v2, v1
.LBB260_33:                             ;   in Loop: Header=BB260_16 Depth=1
	s_or_b32 exec_lo, exec_lo, s2
.LBB260_34:                             ;   in Loop: Header=BB260_16 Depth=1
	s_delay_alu instid0(SALU_CYCLE_1)
	s_or_b32 exec_lo, exec_lo, s24
.LBB260_35:                             ;   in Loop: Header=BB260_16 Depth=1
	s_delay_alu instid0(SALU_CYCLE_1) | instskip(SKIP_4) | instid1(VALU_DEP_3)
	s_or_b32 exec_lo, exec_lo, s23
	v_lshrrev_b32_e32 v1, 16, v0
	v_mov_b32_e32 v78, 0
	v_mov_b32_e32 v79, 0
	s_mov_b32 s2, exec_lo
	v_and_b32_e32 v2, 0xff, v1
	scratch_store_b64 off, v[78:79], s32 offset:364 ; 8-byte Folded Spill
	v_cmpx_ne_u16_e32 0, v2
	s_cbranch_execz .LBB260_43
; %bb.36:                               ;   in Loop: Header=BB260_16 Depth=1
	v_bfrev_b32_e32 v3, 1
	v_mov_b32_e32 v4, 0
	s_mov_b32 s23, exec_lo
	scratch_store_b64 off, v[3:4], s32 offset:364 ; 8-byte Folded Spill
	v_cmpx_ne_u16_e32 0x80, v2
	s_cbranch_execz .LBB260_42
; %bb.37:                               ;   in Loop: Header=BB260_16 Depth=1
	v_mov_b32_e32 v4, 0x7f800001
	v_bfe_u32 v3, v0, 16, 7
	v_mov_b32_e32 v5, 0
	s_mov_b32 s24, exec_lo
	scratch_store_b64 off, v[4:5], s32 offset:364 ; 8-byte Folded Spill
	v_cmpx_ne_u32_e32 0x7f, v3
	s_cbranch_execz .LBB260_41
; %bb.38:                               ;   in Loop: Header=BB260_16 Depth=1
	v_and_b32_e32 v28, 7, v1
	v_lshrrev_b32_e32 v2, 3, v3
	s_mov_b32 s25, exec_lo
	v_cmpx_gt_u32_e32 8, v3
; %bb.39:                               ;   in Loop: Header=BB260_16 Depth=1
	s_delay_alu instid0(VALU_DEP_3) | instskip(NEXT) | instid1(VALU_DEP_1)
	v_clz_i32_u32_e32 v2, v28
	v_min_u32_e32 v2, 32, v2
	s_delay_alu instid0(VALU_DEP_1) | instskip(SKIP_1) | instid1(VALU_DEP_2)
	v_subrev_nc_u32_e32 v3, 28, v2
	v_sub_nc_u32_e32 v2, 29, v2
	v_lshlrev_b64 v[3:4], v3, v[28:29]
	s_delay_alu instid0(VALU_DEP_1)
	v_and_b32_e32 v28, 7, v3
; %bb.40:                               ;   in Loop: Header=BB260_16 Depth=1
	s_or_b32 exec_lo, exec_lo, s25
	v_lshlrev_b32_e32 v1, 24, v1
	s_delay_alu instid0(VALU_DEP_2) | instskip(SKIP_1) | instid1(VALU_DEP_3)
	v_lshlrev_b32_e32 v3, 20, v28
	v_lshl_add_u32 v2, v2, 23, 0x3c000000
	v_and_b32_e32 v1, 0x80000000, v1
	s_delay_alu instid0(VALU_DEP_1)
	v_or3_b32 v28, v3, v1, v2
	scratch_store_b64 off, v[28:29], s32 offset:364 ; 8-byte Folded Spill
.LBB260_41:                             ;   in Loop: Header=BB260_16 Depth=1
	s_or_b32 exec_lo, exec_lo, s24
.LBB260_42:                             ;   in Loop: Header=BB260_16 Depth=1
	s_delay_alu instid0(SALU_CYCLE_1)
	s_or_b32 exec_lo, exec_lo, s23
.LBB260_43:                             ;   in Loop: Header=BB260_16 Depth=1
	s_delay_alu instid0(SALU_CYCLE_1) | instskip(NEXT) | instid1(SALU_CYCLE_1)
	s_or_b32 exec_lo, exec_lo, s2
	s_mov_b32 s23, exec_lo
	v_cmpx_lt_u32_e32 0xffffff, v0
	s_cbranch_execz .LBB260_51
; %bb.44:                               ;   in Loop: Header=BB260_16 Depth=1
	v_lshrrev_b32_e32 v1, 24, v0
	v_dual_mov_b32 v79, s17 :: v_dual_mov_b32 v78, s16
	s_mov_b32 s24, exec_lo
	s_delay_alu instid0(VALU_DEP_2)
	v_cmpx_ne_u32_e32 0x80, v1
	s_cbranch_execz .LBB260_50
; %bb.45:                               ;   in Loop: Header=BB260_16 Depth=1
	s_mov_b32 s2, s16
	v_bfe_u32 v2, v0, 24, 7
	v_dual_mov_b32 v79, s3 :: v_dual_mov_b32 v78, s2
	s_mov_b32 s2, exec_lo
	s_delay_alu instid0(VALU_DEP_2)
	v_cmpx_ne_u32_e32 0x7f, v2
	s_cbranch_execz .LBB260_49
; %bb.46:                               ;   in Loop: Header=BB260_16 Depth=1
	v_and_b32_e32 v28, 7, v1
	v_lshrrev_b32_e32 v0, 3, v2
	s_mov_b32 s25, exec_lo
	v_cmpx_gt_u32_e32 8, v2
; %bb.47:                               ;   in Loop: Header=BB260_16 Depth=1
	s_delay_alu instid0(VALU_DEP_3) | instskip(NEXT) | instid1(VALU_DEP_1)
	v_clz_i32_u32_e32 v0, v28
	v_min_u32_e32 v0, 32, v0
	s_delay_alu instid0(VALU_DEP_1) | instskip(SKIP_1) | instid1(VALU_DEP_2)
	v_subrev_nc_u32_e32 v2, 28, v0
	v_sub_nc_u32_e32 v0, 29, v0
	v_lshlrev_b64 v[2:3], v2, v[28:29]
	s_delay_alu instid0(VALU_DEP_1)
	v_and_b32_e32 v28, 7, v2
; %bb.48:                               ;   in Loop: Header=BB260_16 Depth=1
	s_or_b32 exec_lo, exec_lo, s25
	v_dual_mov_b32 v78, v29 :: v_dual_lshlrev_b32 v1, 24, v1
	s_delay_alu instid0(VALU_DEP_2) | instskip(SKIP_1) | instid1(VALU_DEP_3)
	v_lshlrev_b32_e32 v2, 20, v28
	v_lshl_add_u32 v0, v0, 23, 0x3c000000
	v_and_b32_e32 v1, 0x80000000, v1
	s_delay_alu instid0(VALU_DEP_1)
	v_or3_b32 v79, v2, v1, v0
.LBB260_49:                             ;   in Loop: Header=BB260_16 Depth=1
	s_or_b32 exec_lo, exec_lo, s2
.LBB260_50:                             ;   in Loop: Header=BB260_16 Depth=1
	s_delay_alu instid0(SALU_CYCLE_1)
	s_or_b32 exec_lo, exec_lo, s24
.LBB260_51:                             ;   in Loop: Header=BB260_16 Depth=1
	s_delay_alu instid0(SALU_CYCLE_1)
	s_or_b32 exec_lo, exec_lo, s23
	flat_load_b32 v0, v[92:93] offset:4
	v_mov_b32_e32 v90, 0
	v_mov_b32_e32 v91, 0
	s_mov_b32 s2, exec_lo
	scratch_store_b64 off, v[90:91], s32 offset:372 ; 8-byte Folded Spill
	s_waitcnt vmcnt(0) lgkmcnt(0)
	v_and_b32_e32 v1, 0xff, v0
	s_delay_alu instid0(VALU_DEP_1)
	v_cmpx_ne_u16_e32 0, v1
	s_cbranch_execz .LBB260_59
; %bb.52:                               ;   in Loop: Header=BB260_16 Depth=1
	v_bfrev_b32_e32 v2, 1
	v_mov_b32_e32 v3, 0
	s_mov_b32 s23, exec_lo
	scratch_store_b64 off, v[2:3], s32 offset:372 ; 8-byte Folded Spill
	v_cmpx_ne_u16_e32 0x80, v1
	s_cbranch_execz .LBB260_58
; %bb.53:                               ;   in Loop: Header=BB260_16 Depth=1
	v_mov_b32_e32 v3, 0x7f800001
	v_and_b32_e32 v2, 0x7f, v0
	v_mov_b32_e32 v4, 0
	s_mov_b32 s24, exec_lo
	scratch_store_b64 off, v[3:4], s32 offset:372 ; 8-byte Folded Spill
	v_cmpx_ne_u32_e32 0x7f, v2
	s_cbranch_execz .LBB260_57
; %bb.54:                               ;   in Loop: Header=BB260_16 Depth=1
	v_and_b32_e32 v28, 7, v0
	v_lshrrev_b32_e32 v1, 3, v2
	s_mov_b32 s25, exec_lo
	v_cmpx_gt_u32_e32 8, v2
; %bb.55:                               ;   in Loop: Header=BB260_16 Depth=1
	s_delay_alu instid0(VALU_DEP_3) | instskip(NEXT) | instid1(VALU_DEP_1)
	v_clz_i32_u32_e32 v1, v28
	v_min_u32_e32 v1, 32, v1
	s_delay_alu instid0(VALU_DEP_1) | instskip(SKIP_1) | instid1(VALU_DEP_2)
	v_subrev_nc_u32_e32 v2, 28, v1
	v_sub_nc_u32_e32 v1, 29, v1
	v_lshlrev_b64 v[2:3], v2, v[28:29]
	s_delay_alu instid0(VALU_DEP_1)
	v_and_b32_e32 v28, 7, v2
; %bb.56:                               ;   in Loop: Header=BB260_16 Depth=1
	s_or_b32 exec_lo, exec_lo, s25
	v_lshlrev_b32_e32 v2, 24, v0
	s_delay_alu instid0(VALU_DEP_2) | instskip(SKIP_1) | instid1(VALU_DEP_3)
	v_lshlrev_b32_e32 v3, 20, v28
	v_lshl_add_u32 v1, v1, 23, 0x3c000000
	v_and_b32_e32 v2, 0x80000000, v2
	s_delay_alu instid0(VALU_DEP_1)
	v_or3_b32 v28, v3, v2, v1
	scratch_store_b64 off, v[28:29], s32 offset:372 ; 8-byte Folded Spill
.LBB260_57:                             ;   in Loop: Header=BB260_16 Depth=1
	s_or_b32 exec_lo, exec_lo, s24
.LBB260_58:                             ;   in Loop: Header=BB260_16 Depth=1
	s_delay_alu instid0(SALU_CYCLE_1)
	s_or_b32 exec_lo, exec_lo, s23
.LBB260_59:                             ;   in Loop: Header=BB260_16 Depth=1
	s_delay_alu instid0(SALU_CYCLE_1) | instskip(SKIP_2) | instid1(VALU_DEP_1)
	s_or_b32 exec_lo, exec_lo, s2
	v_lshrrev_b16 v1, 8, v0
	s_mov_b32 s23, exec_lo
	v_cmpx_ne_u16_e32 0, v1
	s_cbranch_execz .LBB260_67
; %bb.60:                               ;   in Loop: Header=BB260_16 Depth=1
	v_dual_mov_b32 v91, s17 :: v_dual_mov_b32 v90, s16
	s_mov_b32 s24, exec_lo
	v_cmpx_ne_u16_e32 0x80, v1
	s_cbranch_execz .LBB260_66
; %bb.61:                               ;   in Loop: Header=BB260_16 Depth=1
	s_mov_b32 s2, s16
	v_and_b32_e32 v1, 0xffff, v1
	v_dual_mov_b32 v91, s3 :: v_dual_mov_b32 v90, s2
	s_mov_b32 s2, exec_lo
	s_delay_alu instid0(VALU_DEP_2) | instskip(NEXT) | instid1(VALU_DEP_1)
	v_and_b32_e32 v2, 0x7f, v1
	v_cmpx_ne_u32_e32 0x7f, v2
	s_cbranch_execz .LBB260_65
; %bb.62:                               ;   in Loop: Header=BB260_16 Depth=1
	v_and_b32_e32 v28, 7, v1
	v_lshrrev_b32_e32 v1, 3, v2
	s_mov_b32 s25, exec_lo
	v_cmpx_gt_u32_e32 8, v2
; %bb.63:                               ;   in Loop: Header=BB260_16 Depth=1
	s_delay_alu instid0(VALU_DEP_3) | instskip(NEXT) | instid1(VALU_DEP_1)
	v_clz_i32_u32_e32 v1, v28
	v_min_u32_e32 v1, 32, v1
	s_delay_alu instid0(VALU_DEP_1) | instskip(SKIP_1) | instid1(VALU_DEP_2)
	v_subrev_nc_u32_e32 v2, 28, v1
	v_sub_nc_u32_e32 v1, 29, v1
	v_lshlrev_b64 v[2:3], v2, v[28:29]
	s_delay_alu instid0(VALU_DEP_1)
	v_and_b32_e32 v28, 7, v2
; %bb.64:                               ;   in Loop: Header=BB260_16 Depth=1
	s_or_b32 exec_lo, exec_lo, s25
	v_lshlrev_b32_e32 v2, 16, v0
	s_delay_alu instid0(VALU_DEP_2) | instskip(SKIP_1) | instid1(VALU_DEP_3)
	v_dual_mov_b32 v90, v29 :: v_dual_lshlrev_b32 v3, 20, v28
	v_lshl_add_u32 v1, v1, 23, 0x3c000000
	v_and_b32_e32 v2, 0x80000000, v2
	s_delay_alu instid0(VALU_DEP_1)
	v_or3_b32 v91, v3, v2, v1
.LBB260_65:                             ;   in Loop: Header=BB260_16 Depth=1
	s_or_b32 exec_lo, exec_lo, s2
.LBB260_66:                             ;   in Loop: Header=BB260_16 Depth=1
	s_delay_alu instid0(SALU_CYCLE_1)
	s_or_b32 exec_lo, exec_lo, s24
.LBB260_67:                             ;   in Loop: Header=BB260_16 Depth=1
	s_delay_alu instid0(SALU_CYCLE_1) | instskip(SKIP_4) | instid1(VALU_DEP_3)
	s_or_b32 exec_lo, exec_lo, s23
	v_lshrrev_b32_e32 v1, 16, v0
	v_mov_b32_e32 v104, 0
	v_mov_b32_e32 v105, 0
	s_mov_b32 s2, exec_lo
	v_and_b32_e32 v2, 0xff, v1
	scratch_store_b64 off, v[104:105], s32 offset:380 ; 8-byte Folded Spill
	v_cmpx_ne_u16_e32 0, v2
	s_cbranch_execz .LBB260_75
; %bb.68:                               ;   in Loop: Header=BB260_16 Depth=1
	v_bfrev_b32_e32 v3, 1
	v_mov_b32_e32 v4, 0
	s_mov_b32 s23, exec_lo
	scratch_store_b64 off, v[3:4], s32 offset:380 ; 8-byte Folded Spill
	v_cmpx_ne_u16_e32 0x80, v2
	s_cbranch_execz .LBB260_74
; %bb.69:                               ;   in Loop: Header=BB260_16 Depth=1
	v_mov_b32_e32 v4, 0x7f800001
	v_bfe_u32 v3, v0, 16, 7
	v_mov_b32_e32 v5, 0
	s_mov_b32 s24, exec_lo
	scratch_store_b64 off, v[4:5], s32 offset:380 ; 8-byte Folded Spill
	v_cmpx_ne_u32_e32 0x7f, v3
	s_cbranch_execz .LBB260_73
; %bb.70:                               ;   in Loop: Header=BB260_16 Depth=1
	v_and_b32_e32 v28, 7, v1
	v_lshrrev_b32_e32 v2, 3, v3
	s_mov_b32 s25, exec_lo
	v_cmpx_gt_u32_e32 8, v3
; %bb.71:                               ;   in Loop: Header=BB260_16 Depth=1
	s_delay_alu instid0(VALU_DEP_3) | instskip(NEXT) | instid1(VALU_DEP_1)
	v_clz_i32_u32_e32 v2, v28
	v_min_u32_e32 v2, 32, v2
	s_delay_alu instid0(VALU_DEP_1) | instskip(SKIP_1) | instid1(VALU_DEP_2)
	v_subrev_nc_u32_e32 v3, 28, v2
	v_sub_nc_u32_e32 v2, 29, v2
	v_lshlrev_b64 v[3:4], v3, v[28:29]
	s_delay_alu instid0(VALU_DEP_1)
	v_and_b32_e32 v28, 7, v3
; %bb.72:                               ;   in Loop: Header=BB260_16 Depth=1
	s_or_b32 exec_lo, exec_lo, s25
	v_lshlrev_b32_e32 v1, 24, v1
	s_delay_alu instid0(VALU_DEP_2) | instskip(SKIP_1) | instid1(VALU_DEP_3)
	v_lshlrev_b32_e32 v3, 20, v28
	v_lshl_add_u32 v2, v2, 23, 0x3c000000
	v_and_b32_e32 v1, 0x80000000, v1
	s_delay_alu instid0(VALU_DEP_1)
	v_or3_b32 v28, v3, v1, v2
	scratch_store_b64 off, v[28:29], s32 offset:380 ; 8-byte Folded Spill
.LBB260_73:                             ;   in Loop: Header=BB260_16 Depth=1
	s_or_b32 exec_lo, exec_lo, s24
.LBB260_74:                             ;   in Loop: Header=BB260_16 Depth=1
	s_delay_alu instid0(SALU_CYCLE_1)
	s_or_b32 exec_lo, exec_lo, s23
.LBB260_75:                             ;   in Loop: Header=BB260_16 Depth=1
	s_delay_alu instid0(SALU_CYCLE_1) | instskip(NEXT) | instid1(SALU_CYCLE_1)
	s_or_b32 exec_lo, exec_lo, s2
	s_mov_b32 s23, exec_lo
	v_cmpx_lt_u32_e32 0xffffff, v0
	s_cbranch_execz .LBB260_83
; %bb.76:                               ;   in Loop: Header=BB260_16 Depth=1
	v_lshrrev_b32_e32 v1, 24, v0
	v_dual_mov_b32 v105, s17 :: v_dual_mov_b32 v104, s16
	s_mov_b32 s24, exec_lo
	s_delay_alu instid0(VALU_DEP_2)
	v_cmpx_ne_u32_e32 0x80, v1
	s_cbranch_execz .LBB260_82
; %bb.77:                               ;   in Loop: Header=BB260_16 Depth=1
	s_mov_b32 s2, s16
	v_bfe_u32 v2, v0, 24, 7
	v_dual_mov_b32 v105, s3 :: v_dual_mov_b32 v104, s2
	s_mov_b32 s2, exec_lo
	s_delay_alu instid0(VALU_DEP_2)
	v_cmpx_ne_u32_e32 0x7f, v2
	s_cbranch_execz .LBB260_81
; %bb.78:                               ;   in Loop: Header=BB260_16 Depth=1
	v_and_b32_e32 v28, 7, v1
	v_lshrrev_b32_e32 v0, 3, v2
	s_mov_b32 s25, exec_lo
	v_cmpx_gt_u32_e32 8, v2
; %bb.79:                               ;   in Loop: Header=BB260_16 Depth=1
	s_delay_alu instid0(VALU_DEP_3) | instskip(NEXT) | instid1(VALU_DEP_1)
	v_clz_i32_u32_e32 v0, v28
	v_min_u32_e32 v0, 32, v0
	s_delay_alu instid0(VALU_DEP_1) | instskip(SKIP_1) | instid1(VALU_DEP_2)
	v_subrev_nc_u32_e32 v2, 28, v0
	v_sub_nc_u32_e32 v0, 29, v0
	v_lshlrev_b64 v[2:3], v2, v[28:29]
	s_delay_alu instid0(VALU_DEP_1)
	v_and_b32_e32 v28, 7, v2
; %bb.80:                               ;   in Loop: Header=BB260_16 Depth=1
	s_or_b32 exec_lo, exec_lo, s25
	v_dual_mov_b32 v104, v29 :: v_dual_lshlrev_b32 v1, 24, v1
	s_delay_alu instid0(VALU_DEP_2) | instskip(SKIP_1) | instid1(VALU_DEP_3)
	v_lshlrev_b32_e32 v2, 20, v28
	v_lshl_add_u32 v0, v0, 23, 0x3c000000
	v_and_b32_e32 v1, 0x80000000, v1
	s_delay_alu instid0(VALU_DEP_1)
	v_or3_b32 v105, v2, v1, v0
.LBB260_81:                             ;   in Loop: Header=BB260_16 Depth=1
	s_or_b32 exec_lo, exec_lo, s2
.LBB260_82:                             ;   in Loop: Header=BB260_16 Depth=1
	s_delay_alu instid0(SALU_CYCLE_1)
	s_or_b32 exec_lo, exec_lo, s24
.LBB260_83:                             ;   in Loop: Header=BB260_16 Depth=1
	s_delay_alu instid0(SALU_CYCLE_1)
	s_or_b32 exec_lo, exec_lo, s23
	flat_load_b32 v0, v[92:93] offset:8
	v_mov_b32_e32 v108, 0
	v_mov_b32_e32 v109, 0
	s_mov_b32 s2, exec_lo
	scratch_store_b64 off, v[108:109], s32 offset:388 ; 8-byte Folded Spill
	s_waitcnt vmcnt(0) lgkmcnt(0)
	v_and_b32_e32 v1, 0xff, v0
	s_delay_alu instid0(VALU_DEP_1)
	v_cmpx_ne_u16_e32 0, v1
	s_cbranch_execz .LBB260_91
; %bb.84:                               ;   in Loop: Header=BB260_16 Depth=1
	v_bfrev_b32_e32 v2, 1
	v_mov_b32_e32 v3, 0
	s_mov_b32 s23, exec_lo
	scratch_store_b64 off, v[2:3], s32 offset:388 ; 8-byte Folded Spill
	v_cmpx_ne_u16_e32 0x80, v1
	s_cbranch_execz .LBB260_90
; %bb.85:                               ;   in Loop: Header=BB260_16 Depth=1
	v_mov_b32_e32 v3, 0x7f800001
	v_and_b32_e32 v2, 0x7f, v0
	v_mov_b32_e32 v4, 0
	s_mov_b32 s24, exec_lo
	scratch_store_b64 off, v[3:4], s32 offset:388 ; 8-byte Folded Spill
	v_cmpx_ne_u32_e32 0x7f, v2
	s_cbranch_execz .LBB260_89
; %bb.86:                               ;   in Loop: Header=BB260_16 Depth=1
	v_and_b32_e32 v28, 7, v0
	v_lshrrev_b32_e32 v1, 3, v2
	s_mov_b32 s25, exec_lo
	v_cmpx_gt_u32_e32 8, v2
; %bb.87:                               ;   in Loop: Header=BB260_16 Depth=1
	s_delay_alu instid0(VALU_DEP_3) | instskip(NEXT) | instid1(VALU_DEP_1)
	v_clz_i32_u32_e32 v1, v28
	v_min_u32_e32 v1, 32, v1
	s_delay_alu instid0(VALU_DEP_1) | instskip(SKIP_1) | instid1(VALU_DEP_2)
	v_subrev_nc_u32_e32 v2, 28, v1
	v_sub_nc_u32_e32 v1, 29, v1
	v_lshlrev_b64 v[2:3], v2, v[28:29]
	s_delay_alu instid0(VALU_DEP_1)
	v_and_b32_e32 v28, 7, v2
; %bb.88:                               ;   in Loop: Header=BB260_16 Depth=1
	s_or_b32 exec_lo, exec_lo, s25
	v_lshlrev_b32_e32 v2, 24, v0
	s_delay_alu instid0(VALU_DEP_2) | instskip(SKIP_1) | instid1(VALU_DEP_3)
	v_lshlrev_b32_e32 v3, 20, v28
	v_lshl_add_u32 v1, v1, 23, 0x3c000000
	v_and_b32_e32 v2, 0x80000000, v2
	s_delay_alu instid0(VALU_DEP_1)
	v_or3_b32 v28, v3, v2, v1
	scratch_store_b64 off, v[28:29], s32 offset:388 ; 8-byte Folded Spill
.LBB260_89:                             ;   in Loop: Header=BB260_16 Depth=1
	s_or_b32 exec_lo, exec_lo, s24
.LBB260_90:                             ;   in Loop: Header=BB260_16 Depth=1
	s_delay_alu instid0(SALU_CYCLE_1)
	s_or_b32 exec_lo, exec_lo, s23
.LBB260_91:                             ;   in Loop: Header=BB260_16 Depth=1
	s_delay_alu instid0(SALU_CYCLE_1) | instskip(SKIP_2) | instid1(VALU_DEP_1)
	s_or_b32 exec_lo, exec_lo, s2
	v_lshrrev_b16 v1, 8, v0
	s_mov_b32 s23, exec_lo
	v_cmpx_ne_u16_e32 0, v1
	s_cbranch_execz .LBB260_99
; %bb.92:                               ;   in Loop: Header=BB260_16 Depth=1
	v_dual_mov_b32 v109, s17 :: v_dual_mov_b32 v108, s16
	s_mov_b32 s24, exec_lo
	v_cmpx_ne_u16_e32 0x80, v1
	s_cbranch_execz .LBB260_98
; %bb.93:                               ;   in Loop: Header=BB260_16 Depth=1
	s_mov_b32 s2, s16
	v_and_b32_e32 v1, 0xffff, v1
	v_dual_mov_b32 v109, s3 :: v_dual_mov_b32 v108, s2
	s_mov_b32 s2, exec_lo
	s_delay_alu instid0(VALU_DEP_2) | instskip(NEXT) | instid1(VALU_DEP_1)
	v_and_b32_e32 v2, 0x7f, v1
	v_cmpx_ne_u32_e32 0x7f, v2
	s_cbranch_execz .LBB260_97
; %bb.94:                               ;   in Loop: Header=BB260_16 Depth=1
	v_and_b32_e32 v28, 7, v1
	v_lshrrev_b32_e32 v1, 3, v2
	s_mov_b32 s25, exec_lo
	v_cmpx_gt_u32_e32 8, v2
; %bb.95:                               ;   in Loop: Header=BB260_16 Depth=1
	s_delay_alu instid0(VALU_DEP_3) | instskip(NEXT) | instid1(VALU_DEP_1)
	v_clz_i32_u32_e32 v1, v28
	v_min_u32_e32 v1, 32, v1
	s_delay_alu instid0(VALU_DEP_1) | instskip(SKIP_1) | instid1(VALU_DEP_2)
	v_subrev_nc_u32_e32 v2, 28, v1
	v_sub_nc_u32_e32 v1, 29, v1
	v_lshlrev_b64 v[2:3], v2, v[28:29]
	s_delay_alu instid0(VALU_DEP_1)
	v_and_b32_e32 v28, 7, v2
; %bb.96:                               ;   in Loop: Header=BB260_16 Depth=1
	s_or_b32 exec_lo, exec_lo, s25
	v_lshlrev_b32_e32 v2, 16, v0
	s_delay_alu instid0(VALU_DEP_2) | instskip(SKIP_1) | instid1(VALU_DEP_3)
	v_dual_mov_b32 v108, v29 :: v_dual_lshlrev_b32 v3, 20, v28
	v_lshl_add_u32 v1, v1, 23, 0x3c000000
	v_and_b32_e32 v2, 0x80000000, v2
	s_delay_alu instid0(VALU_DEP_1)
	v_or3_b32 v109, v3, v2, v1
.LBB260_97:                             ;   in Loop: Header=BB260_16 Depth=1
	s_or_b32 exec_lo, exec_lo, s2
.LBB260_98:                             ;   in Loop: Header=BB260_16 Depth=1
	s_delay_alu instid0(SALU_CYCLE_1)
	s_or_b32 exec_lo, exec_lo, s24
.LBB260_99:                             ;   in Loop: Header=BB260_16 Depth=1
	s_delay_alu instid0(SALU_CYCLE_1) | instskip(SKIP_4) | instid1(VALU_DEP_3)
	s_or_b32 exec_lo, exec_lo, s23
	v_lshrrev_b32_e32 v1, 16, v0
	v_mov_b32_e32 v120, 0
	v_mov_b32_e32 v121, 0
	s_mov_b32 s2, exec_lo
	v_and_b32_e32 v2, 0xff, v1
	scratch_store_b64 off, v[120:121], s32 offset:396 ; 8-byte Folded Spill
	v_cmpx_ne_u16_e32 0, v2
	s_cbranch_execz .LBB260_107
; %bb.100:                              ;   in Loop: Header=BB260_16 Depth=1
	v_bfrev_b32_e32 v3, 1
	v_mov_b32_e32 v4, 0
	s_mov_b32 s23, exec_lo
	scratch_store_b64 off, v[3:4], s32 offset:396 ; 8-byte Folded Spill
	v_cmpx_ne_u16_e32 0x80, v2
	s_cbranch_execz .LBB260_106
; %bb.101:                              ;   in Loop: Header=BB260_16 Depth=1
	v_mov_b32_e32 v4, 0x7f800001
	v_bfe_u32 v3, v0, 16, 7
	v_mov_b32_e32 v5, 0
	s_mov_b32 s24, exec_lo
	scratch_store_b64 off, v[4:5], s32 offset:396 ; 8-byte Folded Spill
	v_cmpx_ne_u32_e32 0x7f, v3
	s_cbranch_execz .LBB260_105
; %bb.102:                              ;   in Loop: Header=BB260_16 Depth=1
	v_and_b32_e32 v28, 7, v1
	v_lshrrev_b32_e32 v2, 3, v3
	s_mov_b32 s25, exec_lo
	v_cmpx_gt_u32_e32 8, v3
; %bb.103:                              ;   in Loop: Header=BB260_16 Depth=1
	s_delay_alu instid0(VALU_DEP_3) | instskip(NEXT) | instid1(VALU_DEP_1)
	v_clz_i32_u32_e32 v2, v28
	v_min_u32_e32 v2, 32, v2
	s_delay_alu instid0(VALU_DEP_1) | instskip(SKIP_1) | instid1(VALU_DEP_2)
	v_subrev_nc_u32_e32 v3, 28, v2
	v_sub_nc_u32_e32 v2, 29, v2
	v_lshlrev_b64 v[3:4], v3, v[28:29]
	s_delay_alu instid0(VALU_DEP_1)
	v_and_b32_e32 v28, 7, v3
; %bb.104:                              ;   in Loop: Header=BB260_16 Depth=1
	s_or_b32 exec_lo, exec_lo, s25
	v_lshlrev_b32_e32 v1, 24, v1
	s_delay_alu instid0(VALU_DEP_2) | instskip(SKIP_1) | instid1(VALU_DEP_3)
	v_lshlrev_b32_e32 v3, 20, v28
	v_lshl_add_u32 v2, v2, 23, 0x3c000000
	v_and_b32_e32 v1, 0x80000000, v1
	s_delay_alu instid0(VALU_DEP_1)
	v_or3_b32 v28, v3, v1, v2
	scratch_store_b64 off, v[28:29], s32 offset:396 ; 8-byte Folded Spill
.LBB260_105:                            ;   in Loop: Header=BB260_16 Depth=1
	s_or_b32 exec_lo, exec_lo, s24
.LBB260_106:                            ;   in Loop: Header=BB260_16 Depth=1
	s_delay_alu instid0(SALU_CYCLE_1)
	s_or_b32 exec_lo, exec_lo, s23
.LBB260_107:                            ;   in Loop: Header=BB260_16 Depth=1
	s_delay_alu instid0(SALU_CYCLE_1) | instskip(NEXT) | instid1(SALU_CYCLE_1)
	s_or_b32 exec_lo, exec_lo, s2
	s_mov_b32 s23, exec_lo
	v_cmpx_lt_u32_e32 0xffffff, v0
	s_cbranch_execz .LBB260_115
; %bb.108:                              ;   in Loop: Header=BB260_16 Depth=1
	v_lshrrev_b32_e32 v1, 24, v0
	v_dual_mov_b32 v121, s17 :: v_dual_mov_b32 v120, s16
	s_mov_b32 s24, exec_lo
	s_delay_alu instid0(VALU_DEP_2)
	v_cmpx_ne_u32_e32 0x80, v1
	s_cbranch_execz .LBB260_114
; %bb.109:                              ;   in Loop: Header=BB260_16 Depth=1
	s_mov_b32 s2, s16
	v_bfe_u32 v2, v0, 24, 7
	v_dual_mov_b32 v121, s3 :: v_dual_mov_b32 v120, s2
	s_mov_b32 s2, exec_lo
	s_delay_alu instid0(VALU_DEP_2)
	v_cmpx_ne_u32_e32 0x7f, v2
	s_cbranch_execz .LBB260_113
; %bb.110:                              ;   in Loop: Header=BB260_16 Depth=1
	v_and_b32_e32 v28, 7, v1
	v_lshrrev_b32_e32 v0, 3, v2
	s_mov_b32 s25, exec_lo
	v_cmpx_gt_u32_e32 8, v2
; %bb.111:                              ;   in Loop: Header=BB260_16 Depth=1
	s_delay_alu instid0(VALU_DEP_3) | instskip(NEXT) | instid1(VALU_DEP_1)
	v_clz_i32_u32_e32 v0, v28
	v_min_u32_e32 v0, 32, v0
	s_delay_alu instid0(VALU_DEP_1) | instskip(SKIP_1) | instid1(VALU_DEP_2)
	v_subrev_nc_u32_e32 v2, 28, v0
	v_sub_nc_u32_e32 v0, 29, v0
	v_lshlrev_b64 v[2:3], v2, v[28:29]
	s_delay_alu instid0(VALU_DEP_1)
	v_and_b32_e32 v28, 7, v2
; %bb.112:                              ;   in Loop: Header=BB260_16 Depth=1
	s_or_b32 exec_lo, exec_lo, s25
	v_dual_mov_b32 v120, v29 :: v_dual_lshlrev_b32 v1, 24, v1
	s_delay_alu instid0(VALU_DEP_2) | instskip(SKIP_1) | instid1(VALU_DEP_3)
	v_lshlrev_b32_e32 v2, 20, v28
	v_lshl_add_u32 v0, v0, 23, 0x3c000000
	v_and_b32_e32 v1, 0x80000000, v1
	s_delay_alu instid0(VALU_DEP_1)
	v_or3_b32 v121, v2, v1, v0
.LBB260_113:                            ;   in Loop: Header=BB260_16 Depth=1
	s_or_b32 exec_lo, exec_lo, s2
.LBB260_114:                            ;   in Loop: Header=BB260_16 Depth=1
	s_delay_alu instid0(SALU_CYCLE_1)
	s_or_b32 exec_lo, exec_lo, s24
.LBB260_115:                            ;   in Loop: Header=BB260_16 Depth=1
	s_delay_alu instid0(SALU_CYCLE_1)
	s_or_b32 exec_lo, exec_lo, s23
	flat_load_b32 v0, v[92:93] offset:12
	v_mov_b32_e32 v124, 0
	v_mov_b32_e32 v125, 0
	s_mov_b32 s2, exec_lo
	scratch_store_b64 off, v[124:125], s32 offset:404 ; 8-byte Folded Spill
	s_waitcnt vmcnt(0) lgkmcnt(0)
	v_and_b32_e32 v1, 0xff, v0
	s_delay_alu instid0(VALU_DEP_1)
	v_cmpx_ne_u16_e32 0, v1
	s_cbranch_execz .LBB260_123
; %bb.116:                              ;   in Loop: Header=BB260_16 Depth=1
	v_bfrev_b32_e32 v2, 1
	v_mov_b32_e32 v3, 0
	s_mov_b32 s23, exec_lo
	scratch_store_b64 off, v[2:3], s32 offset:404 ; 8-byte Folded Spill
	v_cmpx_ne_u16_e32 0x80, v1
	s_cbranch_execz .LBB260_122
; %bb.117:                              ;   in Loop: Header=BB260_16 Depth=1
	v_mov_b32_e32 v3, 0x7f800001
	v_and_b32_e32 v2, 0x7f, v0
	v_mov_b32_e32 v4, 0
	s_mov_b32 s24, exec_lo
	scratch_store_b64 off, v[3:4], s32 offset:404 ; 8-byte Folded Spill
	v_cmpx_ne_u32_e32 0x7f, v2
	s_cbranch_execz .LBB260_121
; %bb.118:                              ;   in Loop: Header=BB260_16 Depth=1
	v_and_b32_e32 v28, 7, v0
	v_lshrrev_b32_e32 v1, 3, v2
	s_mov_b32 s25, exec_lo
	v_cmpx_gt_u32_e32 8, v2
; %bb.119:                              ;   in Loop: Header=BB260_16 Depth=1
	s_delay_alu instid0(VALU_DEP_3) | instskip(NEXT) | instid1(VALU_DEP_1)
	v_clz_i32_u32_e32 v1, v28
	v_min_u32_e32 v1, 32, v1
	s_delay_alu instid0(VALU_DEP_1) | instskip(SKIP_1) | instid1(VALU_DEP_2)
	v_subrev_nc_u32_e32 v2, 28, v1
	v_sub_nc_u32_e32 v1, 29, v1
	v_lshlrev_b64 v[2:3], v2, v[28:29]
	s_delay_alu instid0(VALU_DEP_1)
	v_and_b32_e32 v28, 7, v2
; %bb.120:                              ;   in Loop: Header=BB260_16 Depth=1
	s_or_b32 exec_lo, exec_lo, s25
	v_lshlrev_b32_e32 v2, 24, v0
	s_delay_alu instid0(VALU_DEP_2) | instskip(SKIP_1) | instid1(VALU_DEP_3)
	v_lshlrev_b32_e32 v3, 20, v28
	v_lshl_add_u32 v1, v1, 23, 0x3c000000
	v_and_b32_e32 v2, 0x80000000, v2
	s_delay_alu instid0(VALU_DEP_1)
	v_or3_b32 v28, v3, v2, v1
	scratch_store_b64 off, v[28:29], s32 offset:404 ; 8-byte Folded Spill
.LBB260_121:                            ;   in Loop: Header=BB260_16 Depth=1
	s_or_b32 exec_lo, exec_lo, s24
.LBB260_122:                            ;   in Loop: Header=BB260_16 Depth=1
	s_delay_alu instid0(SALU_CYCLE_1)
	s_or_b32 exec_lo, exec_lo, s23
.LBB260_123:                            ;   in Loop: Header=BB260_16 Depth=1
	s_delay_alu instid0(SALU_CYCLE_1) | instskip(SKIP_2) | instid1(VALU_DEP_1)
	s_or_b32 exec_lo, exec_lo, s2
	v_lshrrev_b16 v1, 8, v0
	s_mov_b32 s23, exec_lo
	v_cmpx_ne_u16_e32 0, v1
	s_cbranch_execz .LBB260_131
; %bb.124:                              ;   in Loop: Header=BB260_16 Depth=1
	v_dual_mov_b32 v125, s17 :: v_dual_mov_b32 v124, s16
	s_mov_b32 s24, exec_lo
	v_cmpx_ne_u16_e32 0x80, v1
	s_cbranch_execz .LBB260_130
; %bb.125:                              ;   in Loop: Header=BB260_16 Depth=1
	s_mov_b32 s2, s16
	v_and_b32_e32 v1, 0xffff, v1
	v_dual_mov_b32 v125, s3 :: v_dual_mov_b32 v124, s2
	s_mov_b32 s2, exec_lo
	s_delay_alu instid0(VALU_DEP_2) | instskip(NEXT) | instid1(VALU_DEP_1)
	v_and_b32_e32 v2, 0x7f, v1
	v_cmpx_ne_u32_e32 0x7f, v2
	s_cbranch_execz .LBB260_129
; %bb.126:                              ;   in Loop: Header=BB260_16 Depth=1
	v_and_b32_e32 v28, 7, v1
	v_lshrrev_b32_e32 v1, 3, v2
	s_mov_b32 s25, exec_lo
	v_cmpx_gt_u32_e32 8, v2
; %bb.127:                              ;   in Loop: Header=BB260_16 Depth=1
	s_delay_alu instid0(VALU_DEP_3) | instskip(NEXT) | instid1(VALU_DEP_1)
	v_clz_i32_u32_e32 v1, v28
	v_min_u32_e32 v1, 32, v1
	s_delay_alu instid0(VALU_DEP_1) | instskip(SKIP_1) | instid1(VALU_DEP_2)
	v_subrev_nc_u32_e32 v2, 28, v1
	v_sub_nc_u32_e32 v1, 29, v1
	v_lshlrev_b64 v[2:3], v2, v[28:29]
	s_delay_alu instid0(VALU_DEP_1)
	v_and_b32_e32 v28, 7, v2
; %bb.128:                              ;   in Loop: Header=BB260_16 Depth=1
	s_or_b32 exec_lo, exec_lo, s25
	v_lshlrev_b32_e32 v2, 16, v0
	s_delay_alu instid0(VALU_DEP_2) | instskip(SKIP_1) | instid1(VALU_DEP_3)
	v_dual_mov_b32 v124, v29 :: v_dual_lshlrev_b32 v3, 20, v28
	v_lshl_add_u32 v1, v1, 23, 0x3c000000
	v_and_b32_e32 v2, 0x80000000, v2
	s_delay_alu instid0(VALU_DEP_1)
	v_or3_b32 v125, v3, v2, v1
.LBB260_129:                            ;   in Loop: Header=BB260_16 Depth=1
	s_or_b32 exec_lo, exec_lo, s2
.LBB260_130:                            ;   in Loop: Header=BB260_16 Depth=1
	s_delay_alu instid0(SALU_CYCLE_1)
	s_or_b32 exec_lo, exec_lo, s24
.LBB260_131:                            ;   in Loop: Header=BB260_16 Depth=1
	s_delay_alu instid0(SALU_CYCLE_1) | instskip(SKIP_4) | instid1(VALU_DEP_3)
	s_or_b32 exec_lo, exec_lo, s23
	v_lshrrev_b32_e32 v1, 16, v0
	v_mov_b32_e32 v136, 0
	v_mov_b32_e32 v137, 0
	s_mov_b32 s2, exec_lo
	v_and_b32_e32 v2, 0xff, v1
	scratch_store_b64 off, v[136:137], s32 offset:412 ; 8-byte Folded Spill
	v_cmpx_ne_u16_e32 0, v2
	s_cbranch_execz .LBB260_139
; %bb.132:                              ;   in Loop: Header=BB260_16 Depth=1
	v_bfrev_b32_e32 v3, 1
	v_mov_b32_e32 v4, 0
	s_mov_b32 s23, exec_lo
	scratch_store_b64 off, v[3:4], s32 offset:412 ; 8-byte Folded Spill
	v_cmpx_ne_u16_e32 0x80, v2
	s_cbranch_execz .LBB260_138
; %bb.133:                              ;   in Loop: Header=BB260_16 Depth=1
	v_mov_b32_e32 v4, 0x7f800001
	v_bfe_u32 v3, v0, 16, 7
	v_mov_b32_e32 v5, 0
	s_mov_b32 s24, exec_lo
	scratch_store_b64 off, v[4:5], s32 offset:412 ; 8-byte Folded Spill
	v_cmpx_ne_u32_e32 0x7f, v3
	s_cbranch_execz .LBB260_137
; %bb.134:                              ;   in Loop: Header=BB260_16 Depth=1
	v_and_b32_e32 v28, 7, v1
	v_lshrrev_b32_e32 v2, 3, v3
	s_mov_b32 s25, exec_lo
	v_cmpx_gt_u32_e32 8, v3
; %bb.135:                              ;   in Loop: Header=BB260_16 Depth=1
	s_delay_alu instid0(VALU_DEP_3) | instskip(NEXT) | instid1(VALU_DEP_1)
	v_clz_i32_u32_e32 v2, v28
	v_min_u32_e32 v2, 32, v2
	s_delay_alu instid0(VALU_DEP_1) | instskip(SKIP_1) | instid1(VALU_DEP_2)
	v_subrev_nc_u32_e32 v3, 28, v2
	v_sub_nc_u32_e32 v2, 29, v2
	v_lshlrev_b64 v[3:4], v3, v[28:29]
	s_delay_alu instid0(VALU_DEP_1)
	v_and_b32_e32 v28, 7, v3
; %bb.136:                              ;   in Loop: Header=BB260_16 Depth=1
	s_or_b32 exec_lo, exec_lo, s25
	v_lshlrev_b32_e32 v1, 24, v1
	s_delay_alu instid0(VALU_DEP_2) | instskip(SKIP_1) | instid1(VALU_DEP_3)
	v_lshlrev_b32_e32 v3, 20, v28
	v_lshl_add_u32 v2, v2, 23, 0x3c000000
	v_and_b32_e32 v1, 0x80000000, v1
	s_delay_alu instid0(VALU_DEP_1)
	v_or3_b32 v28, v3, v1, v2
	scratch_store_b64 off, v[28:29], s32 offset:412 ; 8-byte Folded Spill
.LBB260_137:                            ;   in Loop: Header=BB260_16 Depth=1
	s_or_b32 exec_lo, exec_lo, s24
.LBB260_138:                            ;   in Loop: Header=BB260_16 Depth=1
	s_delay_alu instid0(SALU_CYCLE_1)
	s_or_b32 exec_lo, exec_lo, s23
.LBB260_139:                            ;   in Loop: Header=BB260_16 Depth=1
	s_delay_alu instid0(SALU_CYCLE_1) | instskip(NEXT) | instid1(SALU_CYCLE_1)
	s_or_b32 exec_lo, exec_lo, s2
	s_mov_b32 s23, exec_lo
	v_cmpx_lt_u32_e32 0xffffff, v0
	s_cbranch_execz .LBB260_147
; %bb.140:                              ;   in Loop: Header=BB260_16 Depth=1
	v_lshrrev_b32_e32 v1, 24, v0
	v_dual_mov_b32 v137, s17 :: v_dual_mov_b32 v136, s16
	s_mov_b32 s24, exec_lo
	s_delay_alu instid0(VALU_DEP_2)
	v_cmpx_ne_u32_e32 0x80, v1
	s_cbranch_execz .LBB260_146
; %bb.141:                              ;   in Loop: Header=BB260_16 Depth=1
	s_mov_b32 s2, s16
	v_bfe_u32 v2, v0, 24, 7
	v_dual_mov_b32 v137, s3 :: v_dual_mov_b32 v136, s2
	s_mov_b32 s2, exec_lo
	s_delay_alu instid0(VALU_DEP_2)
	v_cmpx_ne_u32_e32 0x7f, v2
	s_cbranch_execz .LBB260_145
; %bb.142:                              ;   in Loop: Header=BB260_16 Depth=1
	v_and_b32_e32 v28, 7, v1
	v_lshrrev_b32_e32 v0, 3, v2
	s_mov_b32 s25, exec_lo
	v_cmpx_gt_u32_e32 8, v2
; %bb.143:                              ;   in Loop: Header=BB260_16 Depth=1
	s_delay_alu instid0(VALU_DEP_3) | instskip(NEXT) | instid1(VALU_DEP_1)
	v_clz_i32_u32_e32 v0, v28
	v_min_u32_e32 v0, 32, v0
	s_delay_alu instid0(VALU_DEP_1) | instskip(SKIP_1) | instid1(VALU_DEP_2)
	v_subrev_nc_u32_e32 v2, 28, v0
	v_sub_nc_u32_e32 v0, 29, v0
	v_lshlrev_b64 v[2:3], v2, v[28:29]
	s_delay_alu instid0(VALU_DEP_1)
	v_and_b32_e32 v28, 7, v2
; %bb.144:                              ;   in Loop: Header=BB260_16 Depth=1
	s_or_b32 exec_lo, exec_lo, s25
	v_dual_mov_b32 v136, v29 :: v_dual_lshlrev_b32 v1, 24, v1
	s_delay_alu instid0(VALU_DEP_2) | instskip(SKIP_1) | instid1(VALU_DEP_3)
	v_lshlrev_b32_e32 v2, 20, v28
	v_lshl_add_u32 v0, v0, 23, 0x3c000000
	v_and_b32_e32 v1, 0x80000000, v1
	s_delay_alu instid0(VALU_DEP_1)
	v_or3_b32 v137, v2, v1, v0
.LBB260_145:                            ;   in Loop: Header=BB260_16 Depth=1
	s_or_b32 exec_lo, exec_lo, s2
.LBB260_146:                            ;   in Loop: Header=BB260_16 Depth=1
	s_delay_alu instid0(SALU_CYCLE_1)
	s_or_b32 exec_lo, exec_lo, s24
.LBB260_147:                            ;   in Loop: Header=BB260_16 Depth=1
	s_delay_alu instid0(SALU_CYCLE_1)
	s_or_b32 exec_lo, exec_lo, s23
	flat_load_b32 v0, v[92:93] offset:512
	v_mov_b32_e32 v140, 0
	v_mov_b32_e32 v141, 0
	s_mov_b32 s2, exec_lo
	scratch_store_b64 off, v[140:141], s32 offset:420 ; 8-byte Folded Spill
	s_waitcnt vmcnt(0) lgkmcnt(0)
	v_and_b32_e32 v1, 0xff, v0
	s_delay_alu instid0(VALU_DEP_1)
	v_cmpx_ne_u16_e32 0, v1
	s_cbranch_execz .LBB260_155
; %bb.148:                              ;   in Loop: Header=BB260_16 Depth=1
	v_bfrev_b32_e32 v2, 1
	v_mov_b32_e32 v3, 0
	s_mov_b32 s23, exec_lo
	scratch_store_b64 off, v[2:3], s32 offset:420 ; 8-byte Folded Spill
	v_cmpx_ne_u16_e32 0x80, v1
	s_cbranch_execz .LBB260_154
; %bb.149:                              ;   in Loop: Header=BB260_16 Depth=1
	v_mov_b32_e32 v3, 0x7f800001
	v_and_b32_e32 v2, 0x7f, v0
	v_mov_b32_e32 v4, 0
	s_mov_b32 s24, exec_lo
	scratch_store_b64 off, v[3:4], s32 offset:420 ; 8-byte Folded Spill
	v_cmpx_ne_u32_e32 0x7f, v2
	s_cbranch_execz .LBB260_153
; %bb.150:                              ;   in Loop: Header=BB260_16 Depth=1
	v_and_b32_e32 v28, 7, v0
	v_lshrrev_b32_e32 v1, 3, v2
	s_mov_b32 s25, exec_lo
	v_cmpx_gt_u32_e32 8, v2
; %bb.151:                              ;   in Loop: Header=BB260_16 Depth=1
	s_delay_alu instid0(VALU_DEP_3) | instskip(NEXT) | instid1(VALU_DEP_1)
	v_clz_i32_u32_e32 v1, v28
	v_min_u32_e32 v1, 32, v1
	s_delay_alu instid0(VALU_DEP_1) | instskip(SKIP_1) | instid1(VALU_DEP_2)
	v_subrev_nc_u32_e32 v2, 28, v1
	v_sub_nc_u32_e32 v1, 29, v1
	v_lshlrev_b64 v[2:3], v2, v[28:29]
	s_delay_alu instid0(VALU_DEP_1)
	v_and_b32_e32 v28, 7, v2
; %bb.152:                              ;   in Loop: Header=BB260_16 Depth=1
	s_or_b32 exec_lo, exec_lo, s25
	v_lshlrev_b32_e32 v2, 24, v0
	s_delay_alu instid0(VALU_DEP_2) | instskip(SKIP_1) | instid1(VALU_DEP_3)
	v_lshlrev_b32_e32 v3, 20, v28
	v_lshl_add_u32 v1, v1, 23, 0x3c000000
	v_and_b32_e32 v2, 0x80000000, v2
	s_delay_alu instid0(VALU_DEP_1)
	v_or3_b32 v28, v3, v2, v1
	scratch_store_b64 off, v[28:29], s32 offset:420 ; 8-byte Folded Spill
.LBB260_153:                            ;   in Loop: Header=BB260_16 Depth=1
	s_or_b32 exec_lo, exec_lo, s24
.LBB260_154:                            ;   in Loop: Header=BB260_16 Depth=1
	s_delay_alu instid0(SALU_CYCLE_1)
	s_or_b32 exec_lo, exec_lo, s23
.LBB260_155:                            ;   in Loop: Header=BB260_16 Depth=1
	s_delay_alu instid0(SALU_CYCLE_1) | instskip(SKIP_2) | instid1(VALU_DEP_1)
	s_or_b32 exec_lo, exec_lo, s2
	v_lshrrev_b16 v1, 8, v0
	s_mov_b32 s23, exec_lo
	v_cmpx_ne_u16_e32 0, v1
	s_cbranch_execz .LBB260_163
; %bb.156:                              ;   in Loop: Header=BB260_16 Depth=1
	v_dual_mov_b32 v141, s17 :: v_dual_mov_b32 v140, s16
	s_mov_b32 s24, exec_lo
	v_cmpx_ne_u16_e32 0x80, v1
	s_cbranch_execz .LBB260_162
; %bb.157:                              ;   in Loop: Header=BB260_16 Depth=1
	s_mov_b32 s2, s16
	v_and_b32_e32 v1, 0xffff, v1
	v_dual_mov_b32 v141, s3 :: v_dual_mov_b32 v140, s2
	s_mov_b32 s2, exec_lo
	s_delay_alu instid0(VALU_DEP_2) | instskip(NEXT) | instid1(VALU_DEP_1)
	v_and_b32_e32 v2, 0x7f, v1
	v_cmpx_ne_u32_e32 0x7f, v2
	s_cbranch_execz .LBB260_161
; %bb.158:                              ;   in Loop: Header=BB260_16 Depth=1
	v_and_b32_e32 v28, 7, v1
	v_lshrrev_b32_e32 v1, 3, v2
	s_mov_b32 s25, exec_lo
	v_cmpx_gt_u32_e32 8, v2
; %bb.159:                              ;   in Loop: Header=BB260_16 Depth=1
	s_delay_alu instid0(VALU_DEP_3) | instskip(NEXT) | instid1(VALU_DEP_1)
	v_clz_i32_u32_e32 v1, v28
	v_min_u32_e32 v1, 32, v1
	s_delay_alu instid0(VALU_DEP_1) | instskip(SKIP_1) | instid1(VALU_DEP_2)
	v_subrev_nc_u32_e32 v2, 28, v1
	v_sub_nc_u32_e32 v1, 29, v1
	v_lshlrev_b64 v[2:3], v2, v[28:29]
	s_delay_alu instid0(VALU_DEP_1)
	v_and_b32_e32 v28, 7, v2
; %bb.160:                              ;   in Loop: Header=BB260_16 Depth=1
	s_or_b32 exec_lo, exec_lo, s25
	v_lshlrev_b32_e32 v2, 16, v0
	s_delay_alu instid0(VALU_DEP_2) | instskip(SKIP_1) | instid1(VALU_DEP_3)
	v_dual_mov_b32 v140, v29 :: v_dual_lshlrev_b32 v3, 20, v28
	v_lshl_add_u32 v1, v1, 23, 0x3c000000
	v_and_b32_e32 v2, 0x80000000, v2
	s_delay_alu instid0(VALU_DEP_1)
	v_or3_b32 v141, v3, v2, v1
.LBB260_161:                            ;   in Loop: Header=BB260_16 Depth=1
	s_or_b32 exec_lo, exec_lo, s2
.LBB260_162:                            ;   in Loop: Header=BB260_16 Depth=1
	s_delay_alu instid0(SALU_CYCLE_1)
	s_or_b32 exec_lo, exec_lo, s24
.LBB260_163:                            ;   in Loop: Header=BB260_16 Depth=1
	s_delay_alu instid0(SALU_CYCLE_1) | instskip(SKIP_4) | instid1(VALU_DEP_1)
	s_or_b32 exec_lo, exec_lo, s23
	v_mov_b32_e32 v142, 0
	v_lshrrev_b32_e32 v1, 16, v0
	v_mov_b32_e32 v143, 0
	s_mov_b32 s2, exec_lo
	v_dual_mov_b32 v153, v143 :: v_dual_and_b32 v2, 0xff, v1
	v_mov_b32_e32 v152, v142
	s_delay_alu instid0(VALU_DEP_2)
	v_cmpx_ne_u16_e32 0, v2
	s_cbranch_execz .LBB260_171
; %bb.164:                              ;   in Loop: Header=BB260_16 Depth=1
	v_bfrev_b32_e32 v152, 1
	v_mov_b32_e32 v153, 0
	s_mov_b32 s23, exec_lo
	v_cmpx_ne_u16_e32 0x80, v2
	s_cbranch_execz .LBB260_170
; %bb.165:                              ;   in Loop: Header=BB260_16 Depth=1
	v_mov_b32_e32 v152, 0x7f800001
	v_bfe_u32 v3, v0, 16, 7
	v_mov_b32_e32 v153, 0
	s_mov_b32 s24, exec_lo
	s_delay_alu instid0(VALU_DEP_2)
	v_cmpx_ne_u32_e32 0x7f, v3
	s_cbranch_execz .LBB260_169
; %bb.166:                              ;   in Loop: Header=BB260_16 Depth=1
	v_and_b32_e32 v28, 7, v1
	v_lshrrev_b32_e32 v2, 3, v3
	s_mov_b32 s25, exec_lo
	v_cmpx_gt_u32_e32 8, v3
; %bb.167:                              ;   in Loop: Header=BB260_16 Depth=1
	s_delay_alu instid0(VALU_DEP_3) | instskip(NEXT) | instid1(VALU_DEP_1)
	v_clz_i32_u32_e32 v2, v28
	v_min_u32_e32 v2, 32, v2
	s_delay_alu instid0(VALU_DEP_1) | instskip(SKIP_1) | instid1(VALU_DEP_2)
	v_subrev_nc_u32_e32 v3, 28, v2
	v_sub_nc_u32_e32 v2, 29, v2
	v_lshlrev_b64 v[3:4], v3, v[28:29]
	s_delay_alu instid0(VALU_DEP_1)
	v_and_b32_e32 v28, 7, v3
; %bb.168:                              ;   in Loop: Header=BB260_16 Depth=1
	s_or_b32 exec_lo, exec_lo, s25
	v_lshlrev_b32_e32 v1, 24, v1
	s_delay_alu instid0(VALU_DEP_2) | instskip(SKIP_1) | instid1(VALU_DEP_3)
	v_lshlrev_b32_e32 v3, 20, v28
	v_lshl_add_u32 v2, v2, 23, 0x3c000000
	v_and_b32_e32 v1, 0x80000000, v1
	s_delay_alu instid0(VALU_DEP_1) | instskip(NEXT) | instid1(VALU_DEP_1)
	v_or3_b32 v28, v3, v1, v2
	v_dual_mov_b32 v153, v29 :: v_dual_mov_b32 v152, v28
.LBB260_169:                            ;   in Loop: Header=BB260_16 Depth=1
	s_or_b32 exec_lo, exec_lo, s24
.LBB260_170:                            ;   in Loop: Header=BB260_16 Depth=1
	s_delay_alu instid0(SALU_CYCLE_1)
	s_or_b32 exec_lo, exec_lo, s23
.LBB260_171:                            ;   in Loop: Header=BB260_16 Depth=1
	s_delay_alu instid0(SALU_CYCLE_1) | instskip(NEXT) | instid1(SALU_CYCLE_1)
	s_or_b32 exec_lo, exec_lo, s2
	s_mov_b32 s23, exec_lo
	v_cmpx_lt_u32_e32 0xffffff, v0
	s_cbranch_execz .LBB260_179
; %bb.172:                              ;   in Loop: Header=BB260_16 Depth=1
	v_lshrrev_b32_e32 v1, 24, v0
	v_dual_mov_b32 v143, s17 :: v_dual_mov_b32 v142, s16
	s_mov_b32 s24, exec_lo
	s_delay_alu instid0(VALU_DEP_2)
	v_cmpx_ne_u32_e32 0x80, v1
	s_cbranch_execz .LBB260_178
; %bb.173:                              ;   in Loop: Header=BB260_16 Depth=1
	s_mov_b32 s2, s16
	v_bfe_u32 v2, v0, 24, 7
	v_dual_mov_b32 v143, s3 :: v_dual_mov_b32 v142, s2
	s_mov_b32 s2, exec_lo
	s_delay_alu instid0(VALU_DEP_2)
	v_cmpx_ne_u32_e32 0x7f, v2
	s_cbranch_execz .LBB260_177
; %bb.174:                              ;   in Loop: Header=BB260_16 Depth=1
	v_and_b32_e32 v28, 7, v1
	v_lshrrev_b32_e32 v0, 3, v2
	s_mov_b32 s25, exec_lo
	v_cmpx_gt_u32_e32 8, v2
; %bb.175:                              ;   in Loop: Header=BB260_16 Depth=1
	s_delay_alu instid0(VALU_DEP_3) | instskip(NEXT) | instid1(VALU_DEP_1)
	v_clz_i32_u32_e32 v0, v28
	v_min_u32_e32 v0, 32, v0
	s_delay_alu instid0(VALU_DEP_1) | instskip(SKIP_1) | instid1(VALU_DEP_2)
	v_subrev_nc_u32_e32 v2, 28, v0
	v_sub_nc_u32_e32 v0, 29, v0
	v_lshlrev_b64 v[2:3], v2, v[28:29]
	s_delay_alu instid0(VALU_DEP_1)
	v_and_b32_e32 v28, 7, v2
; %bb.176:                              ;   in Loop: Header=BB260_16 Depth=1
	s_or_b32 exec_lo, exec_lo, s25
	v_dual_mov_b32 v142, v29 :: v_dual_lshlrev_b32 v1, 24, v1
	s_delay_alu instid0(VALU_DEP_2) | instskip(SKIP_1) | instid1(VALU_DEP_3)
	v_lshlrev_b32_e32 v2, 20, v28
	v_lshl_add_u32 v0, v0, 23, 0x3c000000
	v_and_b32_e32 v1, 0x80000000, v1
	s_delay_alu instid0(VALU_DEP_1)
	v_or3_b32 v143, v2, v1, v0
.LBB260_177:                            ;   in Loop: Header=BB260_16 Depth=1
	s_or_b32 exec_lo, exec_lo, s2
.LBB260_178:                            ;   in Loop: Header=BB260_16 Depth=1
	s_delay_alu instid0(SALU_CYCLE_1)
	s_or_b32 exec_lo, exec_lo, s24
.LBB260_179:                            ;   in Loop: Header=BB260_16 Depth=1
	s_delay_alu instid0(SALU_CYCLE_1) | instskip(SKIP_4) | instid1(VALU_DEP_1)
	s_or_b32 exec_lo, exec_lo, s23
	flat_load_b32 v0, v[92:93] offset:516
	v_mov_b32_e32 v154, 0
	v_mov_b32_e32 v155, 0
	s_mov_b32 s2, exec_lo
	v_dual_mov_b32 v157, v155 :: v_dual_mov_b32 v156, v154
	s_waitcnt vmcnt(0) lgkmcnt(0)
	v_and_b32_e32 v1, 0xff, v0
	s_delay_alu instid0(VALU_DEP_1)
	v_cmpx_ne_u16_e32 0, v1
	s_cbranch_execz .LBB260_187
; %bb.180:                              ;   in Loop: Header=BB260_16 Depth=1
	v_bfrev_b32_e32 v156, 1
	v_mov_b32_e32 v157, 0
	s_mov_b32 s23, exec_lo
	v_cmpx_ne_u16_e32 0x80, v1
	s_cbranch_execz .LBB260_186
; %bb.181:                              ;   in Loop: Header=BB260_16 Depth=1
	v_mov_b32_e32 v156, 0x7f800001
	v_dual_mov_b32 v157, 0 :: v_dual_and_b32 v2, 0x7f, v0
	s_mov_b32 s24, exec_lo
	s_delay_alu instid0(VALU_DEP_1)
	v_cmpx_ne_u32_e32 0x7f, v2
	s_cbranch_execz .LBB260_185
; %bb.182:                              ;   in Loop: Header=BB260_16 Depth=1
	v_and_b32_e32 v28, 7, v0
	v_lshrrev_b32_e32 v1, 3, v2
	s_mov_b32 s25, exec_lo
	v_cmpx_gt_u32_e32 8, v2
; %bb.183:                              ;   in Loop: Header=BB260_16 Depth=1
	s_delay_alu instid0(VALU_DEP_3) | instskip(NEXT) | instid1(VALU_DEP_1)
	v_clz_i32_u32_e32 v1, v28
	v_min_u32_e32 v1, 32, v1
	s_delay_alu instid0(VALU_DEP_1) | instskip(SKIP_1) | instid1(VALU_DEP_2)
	v_subrev_nc_u32_e32 v2, 28, v1
	v_sub_nc_u32_e32 v1, 29, v1
	v_lshlrev_b64 v[2:3], v2, v[28:29]
	s_delay_alu instid0(VALU_DEP_1)
	v_and_b32_e32 v28, 7, v2
; %bb.184:                              ;   in Loop: Header=BB260_16 Depth=1
	s_or_b32 exec_lo, exec_lo, s25
	v_lshlrev_b32_e32 v2, 24, v0
	s_delay_alu instid0(VALU_DEP_2) | instskip(SKIP_1) | instid1(VALU_DEP_3)
	v_lshlrev_b32_e32 v3, 20, v28
	v_lshl_add_u32 v1, v1, 23, 0x3c000000
	v_and_b32_e32 v2, 0x80000000, v2
	s_delay_alu instid0(VALU_DEP_1) | instskip(NEXT) | instid1(VALU_DEP_1)
	v_or3_b32 v28, v3, v2, v1
	v_dual_mov_b32 v157, v29 :: v_dual_mov_b32 v156, v28
.LBB260_185:                            ;   in Loop: Header=BB260_16 Depth=1
	s_or_b32 exec_lo, exec_lo, s24
.LBB260_186:                            ;   in Loop: Header=BB260_16 Depth=1
	s_delay_alu instid0(SALU_CYCLE_1)
	s_or_b32 exec_lo, exec_lo, s23
.LBB260_187:                            ;   in Loop: Header=BB260_16 Depth=1
	s_delay_alu instid0(SALU_CYCLE_1) | instskip(SKIP_2) | instid1(VALU_DEP_1)
	s_or_b32 exec_lo, exec_lo, s2
	v_lshrrev_b16 v1, 8, v0
	s_mov_b32 s23, exec_lo
	v_cmpx_ne_u16_e32 0, v1
	s_cbranch_execz .LBB260_195
; %bb.188:                              ;   in Loop: Header=BB260_16 Depth=1
	v_dual_mov_b32 v155, s17 :: v_dual_mov_b32 v154, s16
	s_mov_b32 s24, exec_lo
	v_cmpx_ne_u16_e32 0x80, v1
	s_cbranch_execz .LBB260_194
; %bb.189:                              ;   in Loop: Header=BB260_16 Depth=1
	s_mov_b32 s2, s16
	v_and_b32_e32 v1, 0xffff, v1
	v_dual_mov_b32 v155, s3 :: v_dual_mov_b32 v154, s2
	s_mov_b32 s2, exec_lo
	s_delay_alu instid0(VALU_DEP_2) | instskip(NEXT) | instid1(VALU_DEP_1)
	v_and_b32_e32 v2, 0x7f, v1
	v_cmpx_ne_u32_e32 0x7f, v2
	s_cbranch_execz .LBB260_193
; %bb.190:                              ;   in Loop: Header=BB260_16 Depth=1
	v_and_b32_e32 v28, 7, v1
	v_lshrrev_b32_e32 v1, 3, v2
	s_mov_b32 s25, exec_lo
	v_cmpx_gt_u32_e32 8, v2
; %bb.191:                              ;   in Loop: Header=BB260_16 Depth=1
	s_delay_alu instid0(VALU_DEP_3) | instskip(NEXT) | instid1(VALU_DEP_1)
	v_clz_i32_u32_e32 v1, v28
	v_min_u32_e32 v1, 32, v1
	s_delay_alu instid0(VALU_DEP_1) | instskip(SKIP_1) | instid1(VALU_DEP_2)
	v_subrev_nc_u32_e32 v2, 28, v1
	v_sub_nc_u32_e32 v1, 29, v1
	v_lshlrev_b64 v[2:3], v2, v[28:29]
	s_delay_alu instid0(VALU_DEP_1)
	v_and_b32_e32 v28, 7, v2
; %bb.192:                              ;   in Loop: Header=BB260_16 Depth=1
	s_or_b32 exec_lo, exec_lo, s25
	v_lshlrev_b32_e32 v2, 16, v0
	s_delay_alu instid0(VALU_DEP_2) | instskip(SKIP_1) | instid1(VALU_DEP_3)
	v_dual_mov_b32 v154, v29 :: v_dual_lshlrev_b32 v3, 20, v28
	v_lshl_add_u32 v1, v1, 23, 0x3c000000
	v_and_b32_e32 v2, 0x80000000, v2
	s_delay_alu instid0(VALU_DEP_1)
	v_or3_b32 v155, v3, v2, v1
.LBB260_193:                            ;   in Loop: Header=BB260_16 Depth=1
	s_or_b32 exec_lo, exec_lo, s2
.LBB260_194:                            ;   in Loop: Header=BB260_16 Depth=1
	s_delay_alu instid0(SALU_CYCLE_1)
	s_or_b32 exec_lo, exec_lo, s24
.LBB260_195:                            ;   in Loop: Header=BB260_16 Depth=1
	s_delay_alu instid0(SALU_CYCLE_1) | instskip(SKIP_4) | instid1(VALU_DEP_1)
	s_or_b32 exec_lo, exec_lo, s23
	v_mov_b32_e32 v158, 0
	v_lshrrev_b32_e32 v1, 16, v0
	v_mov_b32_e32 v159, 0
	s_mov_b32 s2, exec_lo
	v_dual_mov_b32 v169, v159 :: v_dual_and_b32 v2, 0xff, v1
	v_mov_b32_e32 v168, v158
	s_delay_alu instid0(VALU_DEP_2)
	v_cmpx_ne_u16_e32 0, v2
	s_cbranch_execz .LBB260_203
; %bb.196:                              ;   in Loop: Header=BB260_16 Depth=1
	v_bfrev_b32_e32 v168, 1
	v_mov_b32_e32 v169, 0
	s_mov_b32 s23, exec_lo
	v_cmpx_ne_u16_e32 0x80, v2
	s_cbranch_execz .LBB260_202
; %bb.197:                              ;   in Loop: Header=BB260_16 Depth=1
	v_mov_b32_e32 v168, 0x7f800001
	v_bfe_u32 v3, v0, 16, 7
	v_mov_b32_e32 v169, 0
	s_mov_b32 s24, exec_lo
	s_delay_alu instid0(VALU_DEP_2)
	v_cmpx_ne_u32_e32 0x7f, v3
	s_cbranch_execz .LBB260_201
; %bb.198:                              ;   in Loop: Header=BB260_16 Depth=1
	v_and_b32_e32 v28, 7, v1
	v_lshrrev_b32_e32 v2, 3, v3
	s_mov_b32 s25, exec_lo
	v_cmpx_gt_u32_e32 8, v3
; %bb.199:                              ;   in Loop: Header=BB260_16 Depth=1
	s_delay_alu instid0(VALU_DEP_3) | instskip(NEXT) | instid1(VALU_DEP_1)
	v_clz_i32_u32_e32 v2, v28
	v_min_u32_e32 v2, 32, v2
	s_delay_alu instid0(VALU_DEP_1) | instskip(SKIP_1) | instid1(VALU_DEP_2)
	v_subrev_nc_u32_e32 v3, 28, v2
	v_sub_nc_u32_e32 v2, 29, v2
	v_lshlrev_b64 v[3:4], v3, v[28:29]
	s_delay_alu instid0(VALU_DEP_1)
	v_and_b32_e32 v28, 7, v3
; %bb.200:                              ;   in Loop: Header=BB260_16 Depth=1
	s_or_b32 exec_lo, exec_lo, s25
	v_lshlrev_b32_e32 v1, 24, v1
	s_delay_alu instid0(VALU_DEP_2) | instskip(SKIP_1) | instid1(VALU_DEP_3)
	v_lshlrev_b32_e32 v3, 20, v28
	v_lshl_add_u32 v2, v2, 23, 0x3c000000
	v_and_b32_e32 v1, 0x80000000, v1
	s_delay_alu instid0(VALU_DEP_1) | instskip(NEXT) | instid1(VALU_DEP_1)
	v_or3_b32 v28, v3, v1, v2
	v_dual_mov_b32 v169, v29 :: v_dual_mov_b32 v168, v28
.LBB260_201:                            ;   in Loop: Header=BB260_16 Depth=1
	s_or_b32 exec_lo, exec_lo, s24
.LBB260_202:                            ;   in Loop: Header=BB260_16 Depth=1
	s_delay_alu instid0(SALU_CYCLE_1)
	s_or_b32 exec_lo, exec_lo, s23
.LBB260_203:                            ;   in Loop: Header=BB260_16 Depth=1
	s_delay_alu instid0(SALU_CYCLE_1) | instskip(NEXT) | instid1(SALU_CYCLE_1)
	s_or_b32 exec_lo, exec_lo, s2
	s_mov_b32 s23, exec_lo
	v_cmpx_lt_u32_e32 0xffffff, v0
	s_cbranch_execz .LBB260_211
; %bb.204:                              ;   in Loop: Header=BB260_16 Depth=1
	v_lshrrev_b32_e32 v1, 24, v0
	v_dual_mov_b32 v159, s17 :: v_dual_mov_b32 v158, s16
	s_mov_b32 s24, exec_lo
	s_delay_alu instid0(VALU_DEP_2)
	v_cmpx_ne_u32_e32 0x80, v1
	s_cbranch_execz .LBB260_210
; %bb.205:                              ;   in Loop: Header=BB260_16 Depth=1
	s_mov_b32 s2, s16
	v_bfe_u32 v2, v0, 24, 7
	v_dual_mov_b32 v159, s3 :: v_dual_mov_b32 v158, s2
	s_mov_b32 s2, exec_lo
	s_delay_alu instid0(VALU_DEP_2)
	v_cmpx_ne_u32_e32 0x7f, v2
	s_cbranch_execz .LBB260_209
; %bb.206:                              ;   in Loop: Header=BB260_16 Depth=1
	v_and_b32_e32 v28, 7, v1
	v_lshrrev_b32_e32 v0, 3, v2
	s_mov_b32 s25, exec_lo
	v_cmpx_gt_u32_e32 8, v2
; %bb.207:                              ;   in Loop: Header=BB260_16 Depth=1
	s_delay_alu instid0(VALU_DEP_3) | instskip(NEXT) | instid1(VALU_DEP_1)
	v_clz_i32_u32_e32 v0, v28
	v_min_u32_e32 v0, 32, v0
	s_delay_alu instid0(VALU_DEP_1) | instskip(SKIP_1) | instid1(VALU_DEP_2)
	v_subrev_nc_u32_e32 v2, 28, v0
	v_sub_nc_u32_e32 v0, 29, v0
	v_lshlrev_b64 v[2:3], v2, v[28:29]
	s_delay_alu instid0(VALU_DEP_1)
	v_and_b32_e32 v28, 7, v2
; %bb.208:                              ;   in Loop: Header=BB260_16 Depth=1
	s_or_b32 exec_lo, exec_lo, s25
	v_dual_mov_b32 v158, v29 :: v_dual_lshlrev_b32 v1, 24, v1
	s_delay_alu instid0(VALU_DEP_2) | instskip(SKIP_1) | instid1(VALU_DEP_3)
	v_lshlrev_b32_e32 v2, 20, v28
	v_lshl_add_u32 v0, v0, 23, 0x3c000000
	v_and_b32_e32 v1, 0x80000000, v1
	s_delay_alu instid0(VALU_DEP_1)
	v_or3_b32 v159, v2, v1, v0
.LBB260_209:                            ;   in Loop: Header=BB260_16 Depth=1
	s_or_b32 exec_lo, exec_lo, s2
.LBB260_210:                            ;   in Loop: Header=BB260_16 Depth=1
	s_delay_alu instid0(SALU_CYCLE_1)
	s_or_b32 exec_lo, exec_lo, s24
.LBB260_211:                            ;   in Loop: Header=BB260_16 Depth=1
	s_delay_alu instid0(SALU_CYCLE_1) | instskip(SKIP_4) | instid1(VALU_DEP_1)
	s_or_b32 exec_lo, exec_lo, s23
	flat_load_b32 v0, v[92:93] offset:520
	v_mov_b32_e32 v170, 0
	v_mov_b32_e32 v171, 0
	s_mov_b32 s2, exec_lo
	v_dual_mov_b32 v173, v171 :: v_dual_mov_b32 v172, v170
	s_waitcnt vmcnt(0) lgkmcnt(0)
	v_and_b32_e32 v1, 0xff, v0
	s_delay_alu instid0(VALU_DEP_1)
	v_cmpx_ne_u16_e32 0, v1
	s_cbranch_execz .LBB260_219
; %bb.212:                              ;   in Loop: Header=BB260_16 Depth=1
	v_bfrev_b32_e32 v172, 1
	v_mov_b32_e32 v173, 0
	s_mov_b32 s23, exec_lo
	v_cmpx_ne_u16_e32 0x80, v1
	s_cbranch_execz .LBB260_218
; %bb.213:                              ;   in Loop: Header=BB260_16 Depth=1
	v_mov_b32_e32 v172, 0x7f800001
	v_dual_mov_b32 v173, 0 :: v_dual_and_b32 v2, 0x7f, v0
	s_mov_b32 s24, exec_lo
	s_delay_alu instid0(VALU_DEP_1)
	v_cmpx_ne_u32_e32 0x7f, v2
	s_cbranch_execz .LBB260_217
; %bb.214:                              ;   in Loop: Header=BB260_16 Depth=1
	v_and_b32_e32 v28, 7, v0
	v_lshrrev_b32_e32 v1, 3, v2
	s_mov_b32 s25, exec_lo
	v_cmpx_gt_u32_e32 8, v2
; %bb.215:                              ;   in Loop: Header=BB260_16 Depth=1
	s_delay_alu instid0(VALU_DEP_3) | instskip(NEXT) | instid1(VALU_DEP_1)
	v_clz_i32_u32_e32 v1, v28
	v_min_u32_e32 v1, 32, v1
	s_delay_alu instid0(VALU_DEP_1) | instskip(SKIP_1) | instid1(VALU_DEP_2)
	v_subrev_nc_u32_e32 v2, 28, v1
	v_sub_nc_u32_e32 v1, 29, v1
	v_lshlrev_b64 v[2:3], v2, v[28:29]
	s_delay_alu instid0(VALU_DEP_1)
	v_and_b32_e32 v28, 7, v2
; %bb.216:                              ;   in Loop: Header=BB260_16 Depth=1
	s_or_b32 exec_lo, exec_lo, s25
	v_lshlrev_b32_e32 v2, 24, v0
	s_delay_alu instid0(VALU_DEP_2) | instskip(SKIP_1) | instid1(VALU_DEP_3)
	v_lshlrev_b32_e32 v3, 20, v28
	v_lshl_add_u32 v1, v1, 23, 0x3c000000
	v_and_b32_e32 v2, 0x80000000, v2
	s_delay_alu instid0(VALU_DEP_1) | instskip(NEXT) | instid1(VALU_DEP_1)
	v_or3_b32 v28, v3, v2, v1
	v_dual_mov_b32 v173, v29 :: v_dual_mov_b32 v172, v28
.LBB260_217:                            ;   in Loop: Header=BB260_16 Depth=1
	s_or_b32 exec_lo, exec_lo, s24
.LBB260_218:                            ;   in Loop: Header=BB260_16 Depth=1
	s_delay_alu instid0(SALU_CYCLE_1)
	s_or_b32 exec_lo, exec_lo, s23
.LBB260_219:                            ;   in Loop: Header=BB260_16 Depth=1
	s_delay_alu instid0(SALU_CYCLE_1) | instskip(SKIP_2) | instid1(VALU_DEP_1)
	s_or_b32 exec_lo, exec_lo, s2
	v_lshrrev_b16 v1, 8, v0
	s_mov_b32 s23, exec_lo
	v_cmpx_ne_u16_e32 0, v1
	s_cbranch_execz .LBB260_227
; %bb.220:                              ;   in Loop: Header=BB260_16 Depth=1
	v_dual_mov_b32 v171, s17 :: v_dual_mov_b32 v170, s16
	s_mov_b32 s24, exec_lo
	v_cmpx_ne_u16_e32 0x80, v1
	s_cbranch_execz .LBB260_226
; %bb.221:                              ;   in Loop: Header=BB260_16 Depth=1
	s_mov_b32 s2, s16
	v_and_b32_e32 v1, 0xffff, v1
	v_dual_mov_b32 v171, s3 :: v_dual_mov_b32 v170, s2
	s_mov_b32 s2, exec_lo
	s_delay_alu instid0(VALU_DEP_2) | instskip(NEXT) | instid1(VALU_DEP_1)
	v_and_b32_e32 v2, 0x7f, v1
	v_cmpx_ne_u32_e32 0x7f, v2
	s_cbranch_execz .LBB260_225
; %bb.222:                              ;   in Loop: Header=BB260_16 Depth=1
	v_and_b32_e32 v28, 7, v1
	v_lshrrev_b32_e32 v1, 3, v2
	s_mov_b32 s25, exec_lo
	v_cmpx_gt_u32_e32 8, v2
; %bb.223:                              ;   in Loop: Header=BB260_16 Depth=1
	s_delay_alu instid0(VALU_DEP_3) | instskip(NEXT) | instid1(VALU_DEP_1)
	v_clz_i32_u32_e32 v1, v28
	v_min_u32_e32 v1, 32, v1
	s_delay_alu instid0(VALU_DEP_1) | instskip(SKIP_1) | instid1(VALU_DEP_2)
	v_subrev_nc_u32_e32 v2, 28, v1
	v_sub_nc_u32_e32 v1, 29, v1
	v_lshlrev_b64 v[2:3], v2, v[28:29]
	s_delay_alu instid0(VALU_DEP_1)
	v_and_b32_e32 v28, 7, v2
; %bb.224:                              ;   in Loop: Header=BB260_16 Depth=1
	s_or_b32 exec_lo, exec_lo, s25
	v_lshlrev_b32_e32 v2, 16, v0
	s_delay_alu instid0(VALU_DEP_2) | instskip(SKIP_1) | instid1(VALU_DEP_3)
	v_dual_mov_b32 v170, v29 :: v_dual_lshlrev_b32 v3, 20, v28
	v_lshl_add_u32 v1, v1, 23, 0x3c000000
	v_and_b32_e32 v2, 0x80000000, v2
	s_delay_alu instid0(VALU_DEP_1)
	v_or3_b32 v171, v3, v2, v1
.LBB260_225:                            ;   in Loop: Header=BB260_16 Depth=1
	s_or_b32 exec_lo, exec_lo, s2
.LBB260_226:                            ;   in Loop: Header=BB260_16 Depth=1
	s_delay_alu instid0(SALU_CYCLE_1)
	s_or_b32 exec_lo, exec_lo, s24
.LBB260_227:                            ;   in Loop: Header=BB260_16 Depth=1
	s_delay_alu instid0(SALU_CYCLE_1) | instskip(SKIP_4) | instid1(VALU_DEP_1)
	s_or_b32 exec_lo, exec_lo, s23
	v_mov_b32_e32 v174, 0
	v_lshrrev_b32_e32 v1, 16, v0
	v_mov_b32_e32 v175, 0
	s_mov_b32 s2, exec_lo
	v_dual_mov_b32 v185, v175 :: v_dual_and_b32 v2, 0xff, v1
	v_mov_b32_e32 v184, v174
	s_delay_alu instid0(VALU_DEP_2)
	v_cmpx_ne_u16_e32 0, v2
	s_cbranch_execz .LBB260_235
; %bb.228:                              ;   in Loop: Header=BB260_16 Depth=1
	v_bfrev_b32_e32 v184, 1
	v_mov_b32_e32 v185, 0
	s_mov_b32 s23, exec_lo
	v_cmpx_ne_u16_e32 0x80, v2
	s_cbranch_execz .LBB260_234
; %bb.229:                              ;   in Loop: Header=BB260_16 Depth=1
	v_mov_b32_e32 v184, 0x7f800001
	v_bfe_u32 v3, v0, 16, 7
	v_mov_b32_e32 v185, 0
	s_mov_b32 s24, exec_lo
	s_delay_alu instid0(VALU_DEP_2)
	v_cmpx_ne_u32_e32 0x7f, v3
	s_cbranch_execz .LBB260_233
; %bb.230:                              ;   in Loop: Header=BB260_16 Depth=1
	v_and_b32_e32 v28, 7, v1
	v_lshrrev_b32_e32 v2, 3, v3
	s_mov_b32 s25, exec_lo
	v_cmpx_gt_u32_e32 8, v3
; %bb.231:                              ;   in Loop: Header=BB260_16 Depth=1
	s_delay_alu instid0(VALU_DEP_3) | instskip(NEXT) | instid1(VALU_DEP_1)
	v_clz_i32_u32_e32 v2, v28
	v_min_u32_e32 v2, 32, v2
	s_delay_alu instid0(VALU_DEP_1) | instskip(SKIP_1) | instid1(VALU_DEP_2)
	v_subrev_nc_u32_e32 v3, 28, v2
	v_sub_nc_u32_e32 v2, 29, v2
	v_lshlrev_b64 v[3:4], v3, v[28:29]
	s_delay_alu instid0(VALU_DEP_1)
	v_and_b32_e32 v28, 7, v3
; %bb.232:                              ;   in Loop: Header=BB260_16 Depth=1
	s_or_b32 exec_lo, exec_lo, s25
	v_lshlrev_b32_e32 v1, 24, v1
	s_delay_alu instid0(VALU_DEP_2) | instskip(SKIP_1) | instid1(VALU_DEP_3)
	v_lshlrev_b32_e32 v3, 20, v28
	v_lshl_add_u32 v2, v2, 23, 0x3c000000
	v_and_b32_e32 v1, 0x80000000, v1
	s_delay_alu instid0(VALU_DEP_1) | instskip(NEXT) | instid1(VALU_DEP_1)
	v_or3_b32 v28, v3, v1, v2
	v_dual_mov_b32 v185, v29 :: v_dual_mov_b32 v184, v28
.LBB260_233:                            ;   in Loop: Header=BB260_16 Depth=1
	s_or_b32 exec_lo, exec_lo, s24
.LBB260_234:                            ;   in Loop: Header=BB260_16 Depth=1
	s_delay_alu instid0(SALU_CYCLE_1)
	s_or_b32 exec_lo, exec_lo, s23
.LBB260_235:                            ;   in Loop: Header=BB260_16 Depth=1
	s_delay_alu instid0(SALU_CYCLE_1) | instskip(NEXT) | instid1(SALU_CYCLE_1)
	s_or_b32 exec_lo, exec_lo, s2
	s_mov_b32 s23, exec_lo
	v_cmpx_lt_u32_e32 0xffffff, v0
	s_cbranch_execz .LBB260_243
; %bb.236:                              ;   in Loop: Header=BB260_16 Depth=1
	v_lshrrev_b32_e32 v1, 24, v0
	v_dual_mov_b32 v175, s17 :: v_dual_mov_b32 v174, s16
	s_mov_b32 s24, exec_lo
	s_delay_alu instid0(VALU_DEP_2)
	v_cmpx_ne_u32_e32 0x80, v1
	s_cbranch_execz .LBB260_242
; %bb.237:                              ;   in Loop: Header=BB260_16 Depth=1
	s_mov_b32 s2, s16
	v_bfe_u32 v2, v0, 24, 7
	v_dual_mov_b32 v175, s3 :: v_dual_mov_b32 v174, s2
	s_mov_b32 s2, exec_lo
	s_delay_alu instid0(VALU_DEP_2)
	v_cmpx_ne_u32_e32 0x7f, v2
	s_cbranch_execz .LBB260_241
; %bb.238:                              ;   in Loop: Header=BB260_16 Depth=1
	v_and_b32_e32 v28, 7, v1
	v_lshrrev_b32_e32 v0, 3, v2
	s_mov_b32 s25, exec_lo
	v_cmpx_gt_u32_e32 8, v2
; %bb.239:                              ;   in Loop: Header=BB260_16 Depth=1
	s_delay_alu instid0(VALU_DEP_3) | instskip(NEXT) | instid1(VALU_DEP_1)
	v_clz_i32_u32_e32 v0, v28
	v_min_u32_e32 v0, 32, v0
	s_delay_alu instid0(VALU_DEP_1) | instskip(SKIP_1) | instid1(VALU_DEP_2)
	v_subrev_nc_u32_e32 v2, 28, v0
	v_sub_nc_u32_e32 v0, 29, v0
	v_lshlrev_b64 v[2:3], v2, v[28:29]
	s_delay_alu instid0(VALU_DEP_1)
	v_and_b32_e32 v28, 7, v2
; %bb.240:                              ;   in Loop: Header=BB260_16 Depth=1
	s_or_b32 exec_lo, exec_lo, s25
	v_dual_mov_b32 v174, v29 :: v_dual_lshlrev_b32 v1, 24, v1
	s_delay_alu instid0(VALU_DEP_2) | instskip(SKIP_1) | instid1(VALU_DEP_3)
	v_lshlrev_b32_e32 v2, 20, v28
	v_lshl_add_u32 v0, v0, 23, 0x3c000000
	v_and_b32_e32 v1, 0x80000000, v1
	s_delay_alu instid0(VALU_DEP_1)
	v_or3_b32 v175, v2, v1, v0
.LBB260_241:                            ;   in Loop: Header=BB260_16 Depth=1
	s_or_b32 exec_lo, exec_lo, s2
.LBB260_242:                            ;   in Loop: Header=BB260_16 Depth=1
	s_delay_alu instid0(SALU_CYCLE_1)
	s_or_b32 exec_lo, exec_lo, s24
.LBB260_243:                            ;   in Loop: Header=BB260_16 Depth=1
	s_delay_alu instid0(SALU_CYCLE_1) | instskip(SKIP_4) | instid1(VALU_DEP_1)
	s_or_b32 exec_lo, exec_lo, s23
	flat_load_b32 v0, v[92:93] offset:524
	v_mov_b32_e32 v186, 0
	v_mov_b32_e32 v187, 0
	s_mov_b32 s2, exec_lo
	v_dual_mov_b32 v189, v187 :: v_dual_mov_b32 v188, v186
	s_waitcnt vmcnt(0) lgkmcnt(0)
	v_and_b32_e32 v1, 0xff, v0
	s_delay_alu instid0(VALU_DEP_1)
	v_cmpx_ne_u16_e32 0, v1
	s_cbranch_execz .LBB260_251
; %bb.244:                              ;   in Loop: Header=BB260_16 Depth=1
	v_bfrev_b32_e32 v188, 1
	v_mov_b32_e32 v189, 0
	s_mov_b32 s23, exec_lo
	v_cmpx_ne_u16_e32 0x80, v1
	s_cbranch_execz .LBB260_250
; %bb.245:                              ;   in Loop: Header=BB260_16 Depth=1
	v_mov_b32_e32 v188, 0x7f800001
	v_dual_mov_b32 v189, 0 :: v_dual_and_b32 v2, 0x7f, v0
	s_mov_b32 s24, exec_lo
	s_delay_alu instid0(VALU_DEP_1)
	v_cmpx_ne_u32_e32 0x7f, v2
	s_cbranch_execz .LBB260_249
; %bb.246:                              ;   in Loop: Header=BB260_16 Depth=1
	v_and_b32_e32 v28, 7, v0
	v_lshrrev_b32_e32 v1, 3, v2
	s_mov_b32 s25, exec_lo
	v_cmpx_gt_u32_e32 8, v2
; %bb.247:                              ;   in Loop: Header=BB260_16 Depth=1
	s_delay_alu instid0(VALU_DEP_3) | instskip(NEXT) | instid1(VALU_DEP_1)
	v_clz_i32_u32_e32 v1, v28
	v_min_u32_e32 v1, 32, v1
	s_delay_alu instid0(VALU_DEP_1) | instskip(SKIP_1) | instid1(VALU_DEP_2)
	v_subrev_nc_u32_e32 v2, 28, v1
	v_sub_nc_u32_e32 v1, 29, v1
	v_lshlrev_b64 v[2:3], v2, v[28:29]
	s_delay_alu instid0(VALU_DEP_1)
	v_and_b32_e32 v28, 7, v2
; %bb.248:                              ;   in Loop: Header=BB260_16 Depth=1
	s_or_b32 exec_lo, exec_lo, s25
	v_lshlrev_b32_e32 v2, 24, v0
	s_delay_alu instid0(VALU_DEP_2) | instskip(SKIP_1) | instid1(VALU_DEP_3)
	v_lshlrev_b32_e32 v3, 20, v28
	v_lshl_add_u32 v1, v1, 23, 0x3c000000
	v_and_b32_e32 v2, 0x80000000, v2
	s_delay_alu instid0(VALU_DEP_1) | instskip(NEXT) | instid1(VALU_DEP_1)
	v_or3_b32 v28, v3, v2, v1
	v_dual_mov_b32 v189, v29 :: v_dual_mov_b32 v188, v28
.LBB260_249:                            ;   in Loop: Header=BB260_16 Depth=1
	s_or_b32 exec_lo, exec_lo, s24
.LBB260_250:                            ;   in Loop: Header=BB260_16 Depth=1
	s_delay_alu instid0(SALU_CYCLE_1)
	s_or_b32 exec_lo, exec_lo, s23
.LBB260_251:                            ;   in Loop: Header=BB260_16 Depth=1
	s_delay_alu instid0(SALU_CYCLE_1) | instskip(SKIP_2) | instid1(VALU_DEP_1)
	s_or_b32 exec_lo, exec_lo, s2
	v_lshrrev_b16 v1, 8, v0
	s_mov_b32 s23, exec_lo
	v_cmpx_ne_u16_e32 0, v1
	s_cbranch_execz .LBB260_259
; %bb.252:                              ;   in Loop: Header=BB260_16 Depth=1
	v_dual_mov_b32 v187, s17 :: v_dual_mov_b32 v186, s16
	s_mov_b32 s24, exec_lo
	v_cmpx_ne_u16_e32 0x80, v1
	s_cbranch_execz .LBB260_258
; %bb.253:                              ;   in Loop: Header=BB260_16 Depth=1
	s_mov_b32 s2, s16
	v_and_b32_e32 v1, 0xffff, v1
	v_dual_mov_b32 v187, s3 :: v_dual_mov_b32 v186, s2
	s_mov_b32 s2, exec_lo
	s_delay_alu instid0(VALU_DEP_2) | instskip(NEXT) | instid1(VALU_DEP_1)
	v_and_b32_e32 v2, 0x7f, v1
	v_cmpx_ne_u32_e32 0x7f, v2
	s_cbranch_execz .LBB260_257
; %bb.254:                              ;   in Loop: Header=BB260_16 Depth=1
	v_and_b32_e32 v28, 7, v1
	v_lshrrev_b32_e32 v1, 3, v2
	s_mov_b32 s25, exec_lo
	v_cmpx_gt_u32_e32 8, v2
; %bb.255:                              ;   in Loop: Header=BB260_16 Depth=1
	s_delay_alu instid0(VALU_DEP_3) | instskip(NEXT) | instid1(VALU_DEP_1)
	v_clz_i32_u32_e32 v1, v28
	v_min_u32_e32 v1, 32, v1
	s_delay_alu instid0(VALU_DEP_1) | instskip(SKIP_1) | instid1(VALU_DEP_2)
	v_subrev_nc_u32_e32 v2, 28, v1
	v_sub_nc_u32_e32 v1, 29, v1
	v_lshlrev_b64 v[2:3], v2, v[28:29]
	s_delay_alu instid0(VALU_DEP_1)
	v_and_b32_e32 v28, 7, v2
; %bb.256:                              ;   in Loop: Header=BB260_16 Depth=1
	s_or_b32 exec_lo, exec_lo, s25
	v_lshlrev_b32_e32 v2, 16, v0
	s_delay_alu instid0(VALU_DEP_2) | instskip(SKIP_1) | instid1(VALU_DEP_3)
	v_dual_mov_b32 v186, v29 :: v_dual_lshlrev_b32 v3, 20, v28
	v_lshl_add_u32 v1, v1, 23, 0x3c000000
	v_and_b32_e32 v2, 0x80000000, v2
	s_delay_alu instid0(VALU_DEP_1)
	v_or3_b32 v187, v3, v2, v1
.LBB260_257:                            ;   in Loop: Header=BB260_16 Depth=1
	s_or_b32 exec_lo, exec_lo, s2
.LBB260_258:                            ;   in Loop: Header=BB260_16 Depth=1
	s_delay_alu instid0(SALU_CYCLE_1)
	s_or_b32 exec_lo, exec_lo, s24
.LBB260_259:                            ;   in Loop: Header=BB260_16 Depth=1
	s_delay_alu instid0(SALU_CYCLE_1) | instskip(SKIP_4) | instid1(VALU_DEP_2)
	s_or_b32 exec_lo, exec_lo, s23
	v_mov_b32_e32 v190, 0
	v_lshrrev_b32_e32 v1, 16, v0
	v_mov_b32_e32 v191, 0
	s_mov_b32 s2, exec_lo
	v_and_b32_e32 v2, 0xff, v1
	s_delay_alu instid0(VALU_DEP_2) | instskip(NEXT) | instid1(VALU_DEP_2)
	v_dual_mov_b32 v58, v190 :: v_dual_mov_b32 v59, v191
	v_cmpx_ne_u16_e32 0, v2
	s_cbranch_execz .LBB260_267
; %bb.260:                              ;   in Loop: Header=BB260_16 Depth=1
	v_bfrev_b32_e32 v58, 1
	v_mov_b32_e32 v59, 0
	s_mov_b32 s23, exec_lo
	v_cmpx_ne_u16_e32 0x80, v2
	s_cbranch_execz .LBB260_266
; %bb.261:                              ;   in Loop: Header=BB260_16 Depth=1
	v_mov_b32_e32 v58, 0x7f800001
	v_bfe_u32 v3, v0, 16, 7
	v_mov_b32_e32 v59, 0
	s_mov_b32 s24, exec_lo
	s_delay_alu instid0(VALU_DEP_2)
	v_cmpx_ne_u32_e32 0x7f, v3
	s_cbranch_execz .LBB260_265
; %bb.262:                              ;   in Loop: Header=BB260_16 Depth=1
	v_and_b32_e32 v28, 7, v1
	v_lshrrev_b32_e32 v2, 3, v3
	s_mov_b32 s25, exec_lo
	v_cmpx_gt_u32_e32 8, v3
; %bb.263:                              ;   in Loop: Header=BB260_16 Depth=1
	s_delay_alu instid0(VALU_DEP_3) | instskip(NEXT) | instid1(VALU_DEP_1)
	v_clz_i32_u32_e32 v2, v28
	v_min_u32_e32 v2, 32, v2
	s_delay_alu instid0(VALU_DEP_1) | instskip(SKIP_1) | instid1(VALU_DEP_2)
	v_subrev_nc_u32_e32 v3, 28, v2
	v_sub_nc_u32_e32 v2, 29, v2
	v_lshlrev_b64 v[3:4], v3, v[28:29]
	s_delay_alu instid0(VALU_DEP_1)
	v_and_b32_e32 v28, 7, v3
; %bb.264:                              ;   in Loop: Header=BB260_16 Depth=1
	s_or_b32 exec_lo, exec_lo, s25
	v_lshlrev_b32_e32 v1, 24, v1
	s_delay_alu instid0(VALU_DEP_2) | instskip(SKIP_1) | instid1(VALU_DEP_3)
	v_lshlrev_b32_e32 v3, 20, v28
	v_lshl_add_u32 v2, v2, 23, 0x3c000000
	v_and_b32_e32 v1, 0x80000000, v1
	s_delay_alu instid0(VALU_DEP_1) | instskip(NEXT) | instid1(VALU_DEP_1)
	v_or3_b32 v28, v3, v1, v2
	v_dual_mov_b32 v59, v29 :: v_dual_mov_b32 v58, v28
.LBB260_265:                            ;   in Loop: Header=BB260_16 Depth=1
	s_or_b32 exec_lo, exec_lo, s24
.LBB260_266:                            ;   in Loop: Header=BB260_16 Depth=1
	s_delay_alu instid0(SALU_CYCLE_1)
	s_or_b32 exec_lo, exec_lo, s23
.LBB260_267:                            ;   in Loop: Header=BB260_16 Depth=1
	s_delay_alu instid0(SALU_CYCLE_1) | instskip(NEXT) | instid1(SALU_CYCLE_1)
	s_or_b32 exec_lo, exec_lo, s2
	s_mov_b32 s23, exec_lo
	v_cmpx_lt_u32_e32 0xffffff, v0
	s_cbranch_execz .LBB260_275
; %bb.268:                              ;   in Loop: Header=BB260_16 Depth=1
	v_lshrrev_b32_e32 v1, 24, v0
	v_dual_mov_b32 v191, s17 :: v_dual_mov_b32 v190, s16
	s_mov_b32 s24, exec_lo
	s_delay_alu instid0(VALU_DEP_2)
	v_cmpx_ne_u32_e32 0x80, v1
	s_cbranch_execz .LBB260_274
; %bb.269:                              ;   in Loop: Header=BB260_16 Depth=1
	s_mov_b32 s2, s16
	v_bfe_u32 v2, v0, 24, 7
	v_dual_mov_b32 v191, s3 :: v_dual_mov_b32 v190, s2
	s_mov_b32 s2, exec_lo
	s_delay_alu instid0(VALU_DEP_2)
	v_cmpx_ne_u32_e32 0x7f, v2
	s_cbranch_execz .LBB260_273
; %bb.270:                              ;   in Loop: Header=BB260_16 Depth=1
	v_and_b32_e32 v28, 7, v1
	v_lshrrev_b32_e32 v0, 3, v2
	s_mov_b32 s25, exec_lo
	v_cmpx_gt_u32_e32 8, v2
; %bb.271:                              ;   in Loop: Header=BB260_16 Depth=1
	s_delay_alu instid0(VALU_DEP_3) | instskip(NEXT) | instid1(VALU_DEP_1)
	v_clz_i32_u32_e32 v0, v28
	v_min_u32_e32 v0, 32, v0
	s_delay_alu instid0(VALU_DEP_1) | instskip(SKIP_1) | instid1(VALU_DEP_2)
	v_subrev_nc_u32_e32 v2, 28, v0
	v_sub_nc_u32_e32 v0, 29, v0
	v_lshlrev_b64 v[2:3], v2, v[28:29]
	s_delay_alu instid0(VALU_DEP_1)
	v_and_b32_e32 v28, 7, v2
; %bb.272:                              ;   in Loop: Header=BB260_16 Depth=1
	s_or_b32 exec_lo, exec_lo, s25
	v_dual_mov_b32 v190, v29 :: v_dual_lshlrev_b32 v1, 24, v1
	s_delay_alu instid0(VALU_DEP_2) | instskip(SKIP_1) | instid1(VALU_DEP_3)
	v_lshlrev_b32_e32 v2, 20, v28
	v_lshl_add_u32 v0, v0, 23, 0x3c000000
	v_and_b32_e32 v1, 0x80000000, v1
	s_delay_alu instid0(VALU_DEP_1)
	v_or3_b32 v191, v2, v1, v0
.LBB260_273:                            ;   in Loop: Header=BB260_16 Depth=1
	s_or_b32 exec_lo, exec_lo, s2
.LBB260_274:                            ;   in Loop: Header=BB260_16 Depth=1
	s_delay_alu instid0(SALU_CYCLE_1)
	s_or_b32 exec_lo, exec_lo, s24
.LBB260_275:                            ;   in Loop: Header=BB260_16 Depth=1
	s_delay_alu instid0(SALU_CYCLE_1) | instskip(SKIP_4) | instid1(VALU_DEP_1)
	s_or_b32 exec_lo, exec_lo, s23
	flat_load_b32 v0, v[92:93] offset:1024
	v_mov_b32_e32 v4, 0
	v_mov_b32_e32 v5, 0
	s_mov_b32 s2, exec_lo
	v_dual_mov_b32 v61, v5 :: v_dual_mov_b32 v60, v4
	s_waitcnt vmcnt(0) lgkmcnt(0)
	v_and_b32_e32 v1, 0xff, v0
	s_delay_alu instid0(VALU_DEP_1)
	v_cmpx_ne_u16_e32 0, v1
	s_cbranch_execz .LBB260_283
; %bb.276:                              ;   in Loop: Header=BB260_16 Depth=1
	v_bfrev_b32_e32 v60, 1
	v_mov_b32_e32 v61, 0
	s_mov_b32 s23, exec_lo
	v_cmpx_ne_u16_e32 0x80, v1
	s_cbranch_execz .LBB260_282
; %bb.277:                              ;   in Loop: Header=BB260_16 Depth=1
	v_mov_b32_e32 v60, 0x7f800001
	v_dual_mov_b32 v61, 0 :: v_dual_and_b32 v2, 0x7f, v0
	s_mov_b32 s24, exec_lo
	s_delay_alu instid0(VALU_DEP_1)
	v_cmpx_ne_u32_e32 0x7f, v2
	s_cbranch_execz .LBB260_281
; %bb.278:                              ;   in Loop: Header=BB260_16 Depth=1
	v_and_b32_e32 v28, 7, v0
	v_lshrrev_b32_e32 v1, 3, v2
	s_mov_b32 s25, exec_lo
	v_cmpx_gt_u32_e32 8, v2
; %bb.279:                              ;   in Loop: Header=BB260_16 Depth=1
	s_delay_alu instid0(VALU_DEP_3) | instskip(NEXT) | instid1(VALU_DEP_1)
	v_clz_i32_u32_e32 v1, v28
	v_min_u32_e32 v1, 32, v1
	s_delay_alu instid0(VALU_DEP_1) | instskip(SKIP_1) | instid1(VALU_DEP_2)
	v_subrev_nc_u32_e32 v2, 28, v1
	v_sub_nc_u32_e32 v1, 29, v1
	v_lshlrev_b64 v[2:3], v2, v[28:29]
	s_delay_alu instid0(VALU_DEP_1)
	v_and_b32_e32 v28, 7, v2
; %bb.280:                              ;   in Loop: Header=BB260_16 Depth=1
	s_or_b32 exec_lo, exec_lo, s25
	v_lshlrev_b32_e32 v2, 24, v0
	s_delay_alu instid0(VALU_DEP_2) | instskip(SKIP_1) | instid1(VALU_DEP_3)
	v_lshlrev_b32_e32 v3, 20, v28
	v_lshl_add_u32 v1, v1, 23, 0x3c000000
	v_and_b32_e32 v2, 0x80000000, v2
	s_delay_alu instid0(VALU_DEP_1) | instskip(NEXT) | instid1(VALU_DEP_1)
	v_or3_b32 v28, v3, v2, v1
	v_dual_mov_b32 v61, v29 :: v_dual_mov_b32 v60, v28
.LBB260_281:                            ;   in Loop: Header=BB260_16 Depth=1
	s_or_b32 exec_lo, exec_lo, s24
.LBB260_282:                            ;   in Loop: Header=BB260_16 Depth=1
	s_delay_alu instid0(SALU_CYCLE_1)
	s_or_b32 exec_lo, exec_lo, s23
.LBB260_283:                            ;   in Loop: Header=BB260_16 Depth=1
	s_delay_alu instid0(SALU_CYCLE_1) | instskip(SKIP_2) | instid1(VALU_DEP_1)
	s_or_b32 exec_lo, exec_lo, s2
	v_lshrrev_b16 v1, 8, v0
	s_mov_b32 s23, exec_lo
	v_cmpx_ne_u16_e32 0, v1
	s_cbranch_execz .LBB260_291
; %bb.284:                              ;   in Loop: Header=BB260_16 Depth=1
	v_dual_mov_b32 v4, s16 :: v_dual_mov_b32 v5, s17
	s_mov_b32 s24, exec_lo
	v_cmpx_ne_u16_e32 0x80, v1
	s_cbranch_execz .LBB260_290
; %bb.285:                              ;   in Loop: Header=BB260_16 Depth=1
	s_mov_b32 s2, s16
	v_and_b32_e32 v1, 0xffff, v1
	v_dual_mov_b32 v5, s3 :: v_dual_mov_b32 v4, s2
	s_mov_b32 s2, exec_lo
	s_delay_alu instid0(VALU_DEP_2) | instskip(NEXT) | instid1(VALU_DEP_1)
	v_and_b32_e32 v2, 0x7f, v1
	v_cmpx_ne_u32_e32 0x7f, v2
	s_cbranch_execz .LBB260_289
; %bb.286:                              ;   in Loop: Header=BB260_16 Depth=1
	v_and_b32_e32 v28, 7, v1
	v_lshrrev_b32_e32 v1, 3, v2
	s_mov_b32 s25, exec_lo
	v_cmpx_gt_u32_e32 8, v2
; %bb.287:                              ;   in Loop: Header=BB260_16 Depth=1
	s_delay_alu instid0(VALU_DEP_3) | instskip(NEXT) | instid1(VALU_DEP_1)
	v_clz_i32_u32_e32 v1, v28
	v_min_u32_e32 v1, 32, v1
	s_delay_alu instid0(VALU_DEP_1) | instskip(SKIP_1) | instid1(VALU_DEP_2)
	v_subrev_nc_u32_e32 v2, 28, v1
	v_sub_nc_u32_e32 v1, 29, v1
	v_lshlrev_b64 v[2:3], v2, v[28:29]
	s_delay_alu instid0(VALU_DEP_1)
	v_and_b32_e32 v28, 7, v2
; %bb.288:                              ;   in Loop: Header=BB260_16 Depth=1
	s_or_b32 exec_lo, exec_lo, s25
	v_lshlrev_b32_e32 v2, 16, v0
	s_delay_alu instid0(VALU_DEP_2) | instskip(SKIP_1) | instid1(VALU_DEP_3)
	v_dual_mov_b32 v4, v29 :: v_dual_lshlrev_b32 v3, 20, v28
	v_lshl_add_u32 v1, v1, 23, 0x3c000000
	v_and_b32_e32 v2, 0x80000000, v2
	s_delay_alu instid0(VALU_DEP_1)
	v_or3_b32 v5, v3, v2, v1
.LBB260_289:                            ;   in Loop: Header=BB260_16 Depth=1
	s_or_b32 exec_lo, exec_lo, s2
.LBB260_290:                            ;   in Loop: Header=BB260_16 Depth=1
	s_delay_alu instid0(SALU_CYCLE_1)
	s_or_b32 exec_lo, exec_lo, s24
.LBB260_291:                            ;   in Loop: Header=BB260_16 Depth=1
	s_delay_alu instid0(SALU_CYCLE_1) | instskip(SKIP_4) | instid1(VALU_DEP_3)
	s_or_b32 exec_lo, exec_lo, s23
	v_lshrrev_b32_e32 v1, 16, v0
	v_mov_b32_e32 v11, 0
	v_mov_b32_e32 v12, 0
	s_mov_b32 s2, exec_lo
	v_and_b32_e32 v2, 0xff, v1
	s_delay_alu instid0(VALU_DEP_2) | instskip(NEXT) | instid1(VALU_DEP_2)
	v_dual_mov_b32 v22, v12 :: v_dual_mov_b32 v21, v11
	v_cmpx_ne_u16_e32 0, v2
	s_cbranch_execz .LBB260_299
; %bb.292:                              ;   in Loop: Header=BB260_16 Depth=1
	v_bfrev_b32_e32 v21, 1
	v_mov_b32_e32 v22, 0
	s_mov_b32 s23, exec_lo
	v_cmpx_ne_u16_e32 0x80, v2
	s_cbranch_execz .LBB260_298
; %bb.293:                              ;   in Loop: Header=BB260_16 Depth=1
	v_mov_b32_e32 v21, 0x7f800001
	v_bfe_u32 v3, v0, 16, 7
	v_mov_b32_e32 v22, 0
	s_mov_b32 s24, exec_lo
	s_delay_alu instid0(VALU_DEP_2)
	v_cmpx_ne_u32_e32 0x7f, v3
	s_cbranch_execz .LBB260_297
; %bb.294:                              ;   in Loop: Header=BB260_16 Depth=1
	v_and_b32_e32 v28, 7, v1
	v_lshrrev_b32_e32 v2, 3, v3
	s_mov_b32 s25, exec_lo
	v_cmpx_gt_u32_e32 8, v3
; %bb.295:                              ;   in Loop: Header=BB260_16 Depth=1
	s_delay_alu instid0(VALU_DEP_3) | instskip(NEXT) | instid1(VALU_DEP_1)
	v_clz_i32_u32_e32 v2, v28
	v_min_u32_e32 v2, 32, v2
	s_delay_alu instid0(VALU_DEP_1) | instskip(SKIP_1) | instid1(VALU_DEP_2)
	v_subrev_nc_u32_e32 v3, 28, v2
	v_sub_nc_u32_e32 v2, 29, v2
	v_lshlrev_b64 v[6:7], v3, v[28:29]
	s_delay_alu instid0(VALU_DEP_1)
	v_and_b32_e32 v28, 7, v6
; %bb.296:                              ;   in Loop: Header=BB260_16 Depth=1
	s_or_b32 exec_lo, exec_lo, s25
	v_lshlrev_b32_e32 v1, 24, v1
	s_delay_alu instid0(VALU_DEP_2) | instskip(SKIP_1) | instid1(VALU_DEP_3)
	v_lshlrev_b32_e32 v3, 20, v28
	v_lshl_add_u32 v2, v2, 23, 0x3c000000
	v_and_b32_e32 v1, 0x80000000, v1
	s_delay_alu instid0(VALU_DEP_1) | instskip(NEXT) | instid1(VALU_DEP_1)
	v_or3_b32 v28, v3, v1, v2
	v_dual_mov_b32 v21, v28 :: v_dual_mov_b32 v22, v29
.LBB260_297:                            ;   in Loop: Header=BB260_16 Depth=1
	s_or_b32 exec_lo, exec_lo, s24
.LBB260_298:                            ;   in Loop: Header=BB260_16 Depth=1
	s_delay_alu instid0(SALU_CYCLE_1)
	s_or_b32 exec_lo, exec_lo, s23
.LBB260_299:                            ;   in Loop: Header=BB260_16 Depth=1
	s_delay_alu instid0(SALU_CYCLE_1) | instskip(NEXT) | instid1(SALU_CYCLE_1)
	s_or_b32 exec_lo, exec_lo, s2
	s_mov_b32 s23, exec_lo
	v_cmpx_lt_u32_e32 0xffffff, v0
	s_cbranch_execz .LBB260_307
; %bb.300:                              ;   in Loop: Header=BB260_16 Depth=1
	v_lshrrev_b32_e32 v1, 24, v0
	v_dual_mov_b32 v11, s16 :: v_dual_mov_b32 v12, s17
	s_mov_b32 s24, exec_lo
	s_delay_alu instid0(VALU_DEP_2)
	v_cmpx_ne_u32_e32 0x80, v1
	s_cbranch_execz .LBB260_306
; %bb.301:                              ;   in Loop: Header=BB260_16 Depth=1
	s_mov_b32 s2, s16
	v_bfe_u32 v2, v0, 24, 7
	v_dual_mov_b32 v12, s3 :: v_dual_mov_b32 v11, s2
	s_mov_b32 s2, exec_lo
	s_delay_alu instid0(VALU_DEP_2)
	v_cmpx_ne_u32_e32 0x7f, v2
	s_cbranch_execz .LBB260_305
; %bb.302:                              ;   in Loop: Header=BB260_16 Depth=1
	v_and_b32_e32 v28, 7, v1
	v_lshrrev_b32_e32 v0, 3, v2
	s_mov_b32 s25, exec_lo
	v_cmpx_gt_u32_e32 8, v2
; %bb.303:                              ;   in Loop: Header=BB260_16 Depth=1
	s_delay_alu instid0(VALU_DEP_3) | instskip(NEXT) | instid1(VALU_DEP_1)
	v_clz_i32_u32_e32 v0, v28
	v_min_u32_e32 v0, 32, v0
	s_delay_alu instid0(VALU_DEP_1) | instskip(SKIP_1) | instid1(VALU_DEP_2)
	v_subrev_nc_u32_e32 v2, 28, v0
	v_sub_nc_u32_e32 v0, 29, v0
	v_lshlrev_b64 v[2:3], v2, v[28:29]
	s_delay_alu instid0(VALU_DEP_1)
	v_and_b32_e32 v28, 7, v2
; %bb.304:                              ;   in Loop: Header=BB260_16 Depth=1
	s_or_b32 exec_lo, exec_lo, s25
	v_lshlrev_b32_e32 v1, 24, v1
	s_delay_alu instid0(VALU_DEP_2) | instskip(SKIP_1) | instid1(VALU_DEP_3)
	v_dual_mov_b32 v11, v29 :: v_dual_lshlrev_b32 v2, 20, v28
	v_lshl_add_u32 v0, v0, 23, 0x3c000000
	v_and_b32_e32 v1, 0x80000000, v1
	s_delay_alu instid0(VALU_DEP_1)
	v_or3_b32 v12, v2, v1, v0
.LBB260_305:                            ;   in Loop: Header=BB260_16 Depth=1
	s_or_b32 exec_lo, exec_lo, s2
.LBB260_306:                            ;   in Loop: Header=BB260_16 Depth=1
	s_delay_alu instid0(SALU_CYCLE_1)
	s_or_b32 exec_lo, exec_lo, s24
.LBB260_307:                            ;   in Loop: Header=BB260_16 Depth=1
	s_delay_alu instid0(SALU_CYCLE_1) | instskip(SKIP_4) | instid1(VALU_DEP_1)
	s_or_b32 exec_lo, exec_lo, s23
	flat_load_b32 v6, v[92:93] offset:1028
	v_mov_b32_e32 v0, 0
	v_mov_b32_e32 v1, 0
	s_mov_b32 s2, exec_lo
	v_dual_mov_b32 v3, v1 :: v_dual_mov_b32 v2, v0
	s_waitcnt vmcnt(0) lgkmcnt(0)
	v_and_b32_e32 v7, 0xff, v6
	s_delay_alu instid0(VALU_DEP_1)
	v_cmpx_ne_u16_e32 0, v7
	s_cbranch_execz .LBB260_315
; %bb.308:                              ;   in Loop: Header=BB260_16 Depth=1
	v_bfrev_b32_e32 v2, 1
	v_mov_b32_e32 v3, 0
	s_mov_b32 s23, exec_lo
	v_cmpx_ne_u16_e32 0x80, v7
	s_cbranch_execz .LBB260_314
; %bb.309:                              ;   in Loop: Header=BB260_16 Depth=1
	v_mov_b32_e32 v2, 0x7f800001
	v_and_b32_e32 v7, 0x7f, v6
	v_mov_b32_e32 v3, 0
	s_mov_b32 s24, exec_lo
	s_delay_alu instid0(VALU_DEP_2)
	v_cmpx_ne_u32_e32 0x7f, v7
	s_cbranch_execz .LBB260_313
; %bb.310:                              ;   in Loop: Header=BB260_16 Depth=1
	v_and_b32_e32 v28, 7, v6
	v_lshrrev_b32_e32 v2, 3, v7
	s_mov_b32 s25, exec_lo
	v_cmpx_gt_u32_e32 8, v7
; %bb.311:                              ;   in Loop: Header=BB260_16 Depth=1
	s_delay_alu instid0(VALU_DEP_3) | instskip(NEXT) | instid1(VALU_DEP_1)
	v_clz_i32_u32_e32 v2, v28
	v_min_u32_e32 v2, 32, v2
	s_delay_alu instid0(VALU_DEP_1) | instskip(SKIP_1) | instid1(VALU_DEP_2)
	v_subrev_nc_u32_e32 v3, 28, v2
	v_sub_nc_u32_e32 v2, 29, v2
	v_lshlrev_b64 v[7:8], v3, v[28:29]
	s_delay_alu instid0(VALU_DEP_1)
	v_and_b32_e32 v28, 7, v7
; %bb.312:                              ;   in Loop: Header=BB260_16 Depth=1
	s_or_b32 exec_lo, exec_lo, s25
	v_lshlrev_b32_e32 v3, 24, v6
	s_delay_alu instid0(VALU_DEP_2) | instskip(SKIP_1) | instid1(VALU_DEP_3)
	v_lshlrev_b32_e32 v7, 20, v28
	v_lshl_add_u32 v2, v2, 23, 0x3c000000
	v_and_b32_e32 v3, 0x80000000, v3
	s_delay_alu instid0(VALU_DEP_1) | instskip(NEXT) | instid1(VALU_DEP_1)
	v_or3_b32 v28, v7, v3, v2
	v_dual_mov_b32 v2, v28 :: v_dual_mov_b32 v3, v29
.LBB260_313:                            ;   in Loop: Header=BB260_16 Depth=1
	s_or_b32 exec_lo, exec_lo, s24
.LBB260_314:                            ;   in Loop: Header=BB260_16 Depth=1
	s_delay_alu instid0(SALU_CYCLE_1)
	s_or_b32 exec_lo, exec_lo, s23
.LBB260_315:                            ;   in Loop: Header=BB260_16 Depth=1
	s_delay_alu instid0(SALU_CYCLE_1) | instskip(SKIP_2) | instid1(VALU_DEP_1)
	s_or_b32 exec_lo, exec_lo, s2
	v_lshrrev_b16 v7, 8, v6
	s_mov_b32 s23, exec_lo
	v_cmpx_ne_u16_e32 0, v7
	s_cbranch_execz .LBB260_323
; %bb.316:                              ;   in Loop: Header=BB260_16 Depth=1
	v_dual_mov_b32 v0, s16 :: v_dual_mov_b32 v1, s17
	s_mov_b32 s24, exec_lo
	v_cmpx_ne_u16_e32 0x80, v7
	s_cbranch_execz .LBB260_322
; %bb.317:                              ;   in Loop: Header=BB260_16 Depth=1
	s_mov_b32 s2, s16
	v_and_b32_e32 v8, 0xffff, v7
	v_dual_mov_b32 v0, s2 :: v_dual_mov_b32 v1, s3
	s_mov_b32 s2, exec_lo
	s_delay_alu instid0(VALU_DEP_2) | instskip(NEXT) | instid1(VALU_DEP_1)
	v_and_b32_e32 v7, 0x7f, v8
	v_cmpx_ne_u32_e32 0x7f, v7
	s_cbranch_execz .LBB260_321
; %bb.318:                              ;   in Loop: Header=BB260_16 Depth=1
	v_and_b32_e32 v28, 7, v8
	v_lshrrev_b32_e32 v0, 3, v7
	s_mov_b32 s25, exec_lo
	v_cmpx_gt_u32_e32 8, v7
; %bb.319:                              ;   in Loop: Header=BB260_16 Depth=1
	s_delay_alu instid0(VALU_DEP_3) | instskip(NEXT) | instid1(VALU_DEP_1)
	v_clz_i32_u32_e32 v0, v28
	v_min_u32_e32 v0, 32, v0
	s_delay_alu instid0(VALU_DEP_1) | instskip(SKIP_1) | instid1(VALU_DEP_2)
	v_subrev_nc_u32_e32 v1, 28, v0
	v_sub_nc_u32_e32 v0, 29, v0
	v_lshlrev_b64 v[7:8], v1, v[28:29]
	s_delay_alu instid0(VALU_DEP_1)
	v_and_b32_e32 v28, 7, v7
; %bb.320:                              ;   in Loop: Header=BB260_16 Depth=1
	s_or_b32 exec_lo, exec_lo, s25
	v_lshlrev_b32_e32 v1, 16, v6
	s_delay_alu instid0(VALU_DEP_2) | instskip(SKIP_1) | instid1(VALU_DEP_3)
	v_lshlrev_b32_e32 v7, 20, v28
	v_lshl_add_u32 v0, v0, 23, 0x3c000000
	v_and_b32_e32 v1, 0x80000000, v1
	s_delay_alu instid0(VALU_DEP_1)
	v_or3_b32 v1, v7, v1, v0
	v_mov_b32_e32 v0, v29
.LBB260_321:                            ;   in Loop: Header=BB260_16 Depth=1
	s_or_b32 exec_lo, exec_lo, s2
.LBB260_322:                            ;   in Loop: Header=BB260_16 Depth=1
	s_delay_alu instid0(SALU_CYCLE_1)
	s_or_b32 exec_lo, exec_lo, s24
.LBB260_323:                            ;   in Loop: Header=BB260_16 Depth=1
	s_delay_alu instid0(SALU_CYCLE_1) | instskip(SKIP_4) | instid1(VALU_DEP_1)
	s_or_b32 exec_lo, exec_lo, s23
	v_mov_b32_e32 v14, 0
	v_lshrrev_b32_e32 v7, 16, v6
	v_mov_b32_e32 v15, 0
	s_mov_b32 s2, exec_lo
	v_dual_mov_b32 v27, v15 :: v_dual_and_b32 v8, 0xff, v7
	v_mov_b32_e32 v26, v14
	s_delay_alu instid0(VALU_DEP_2)
	v_cmpx_ne_u16_e32 0, v8
	s_cbranch_execz .LBB260_331
; %bb.324:                              ;   in Loop: Header=BB260_16 Depth=1
	v_bfrev_b32_e32 v26, 1
	v_mov_b32_e32 v27, 0
	s_mov_b32 s23, exec_lo
	v_cmpx_ne_u16_e32 0x80, v8
	s_cbranch_execz .LBB260_330
; %bb.325:                              ;   in Loop: Header=BB260_16 Depth=1
	v_mov_b32_e32 v26, 0x7f800001
	v_bfe_u32 v9, v6, 16, 7
	v_mov_b32_e32 v27, 0
	s_mov_b32 s24, exec_lo
	s_delay_alu instid0(VALU_DEP_2)
	v_cmpx_ne_u32_e32 0x7f, v9
	s_cbranch_execz .LBB260_329
; %bb.326:                              ;   in Loop: Header=BB260_16 Depth=1
	v_and_b32_e32 v28, 7, v7
	v_lshrrev_b32_e32 v8, 3, v9
	s_mov_b32 s25, exec_lo
	v_cmpx_gt_u32_e32 8, v9
; %bb.327:                              ;   in Loop: Header=BB260_16 Depth=1
	s_delay_alu instid0(VALU_DEP_3) | instskip(NEXT) | instid1(VALU_DEP_1)
	v_clz_i32_u32_e32 v8, v28
	v_min_u32_e32 v8, 32, v8
	s_delay_alu instid0(VALU_DEP_1) | instskip(SKIP_1) | instid1(VALU_DEP_2)
	v_subrev_nc_u32_e32 v9, 28, v8
	v_sub_nc_u32_e32 v8, 29, v8
	v_lshlrev_b64 v[9:10], v9, v[28:29]
	s_delay_alu instid0(VALU_DEP_1)
	v_and_b32_e32 v28, 7, v9
; %bb.328:                              ;   in Loop: Header=BB260_16 Depth=1
	s_or_b32 exec_lo, exec_lo, s25
	v_lshlrev_b32_e32 v7, 24, v7
	s_delay_alu instid0(VALU_DEP_2) | instskip(SKIP_1) | instid1(VALU_DEP_3)
	v_lshlrev_b32_e32 v9, 20, v28
	v_lshl_add_u32 v8, v8, 23, 0x3c000000
	v_and_b32_e32 v7, 0x80000000, v7
	s_delay_alu instid0(VALU_DEP_1) | instskip(NEXT) | instid1(VALU_DEP_1)
	v_or3_b32 v28, v9, v7, v8
	v_dual_mov_b32 v26, v28 :: v_dual_mov_b32 v27, v29
.LBB260_329:                            ;   in Loop: Header=BB260_16 Depth=1
	s_or_b32 exec_lo, exec_lo, s24
.LBB260_330:                            ;   in Loop: Header=BB260_16 Depth=1
	s_delay_alu instid0(SALU_CYCLE_1)
	s_or_b32 exec_lo, exec_lo, s23
.LBB260_331:                            ;   in Loop: Header=BB260_16 Depth=1
	s_delay_alu instid0(SALU_CYCLE_1) | instskip(NEXT) | instid1(SALU_CYCLE_1)
	s_or_b32 exec_lo, exec_lo, s2
	s_mov_b32 s23, exec_lo
	v_cmpx_lt_u32_e32 0xffffff, v6
	s_cbranch_execz .LBB260_339
; %bb.332:                              ;   in Loop: Header=BB260_16 Depth=1
	v_lshrrev_b32_e32 v7, 24, v6
	v_dual_mov_b32 v14, s16 :: v_dual_mov_b32 v15, s17
	s_mov_b32 s24, exec_lo
	s_delay_alu instid0(VALU_DEP_2)
	v_cmpx_ne_u32_e32 0x80, v7
	s_cbranch_execz .LBB260_338
; %bb.333:                              ;   in Loop: Header=BB260_16 Depth=1
	s_mov_b32 s2, s16
	v_bfe_u32 v8, v6, 24, 7
	v_dual_mov_b32 v15, s3 :: v_dual_mov_b32 v14, s2
	s_mov_b32 s2, exec_lo
	s_delay_alu instid0(VALU_DEP_2)
	v_cmpx_ne_u32_e32 0x7f, v8
	s_cbranch_execz .LBB260_337
; %bb.334:                              ;   in Loop: Header=BB260_16 Depth=1
	v_and_b32_e32 v28, 7, v7
	v_lshrrev_b32_e32 v6, 3, v8
	s_mov_b32 s25, exec_lo
	v_cmpx_gt_u32_e32 8, v8
; %bb.335:                              ;   in Loop: Header=BB260_16 Depth=1
	s_delay_alu instid0(VALU_DEP_3) | instskip(NEXT) | instid1(VALU_DEP_1)
	v_clz_i32_u32_e32 v6, v28
	v_min_u32_e32 v6, 32, v6
	s_delay_alu instid0(VALU_DEP_1) | instskip(SKIP_1) | instid1(VALU_DEP_2)
	v_subrev_nc_u32_e32 v8, 28, v6
	v_sub_nc_u32_e32 v6, 29, v6
	v_lshlrev_b64 v[8:9], v8, v[28:29]
	s_delay_alu instid0(VALU_DEP_1)
	v_and_b32_e32 v28, 7, v8
; %bb.336:                              ;   in Loop: Header=BB260_16 Depth=1
	s_or_b32 exec_lo, exec_lo, s25
	v_dual_mov_b32 v14, v29 :: v_dual_lshlrev_b32 v7, 24, v7
	s_delay_alu instid0(VALU_DEP_2) | instskip(SKIP_1) | instid1(VALU_DEP_3)
	v_lshlrev_b32_e32 v8, 20, v28
	v_lshl_add_u32 v6, v6, 23, 0x3c000000
	v_and_b32_e32 v7, 0x80000000, v7
	s_delay_alu instid0(VALU_DEP_1)
	v_or3_b32 v15, v8, v7, v6
.LBB260_337:                            ;   in Loop: Header=BB260_16 Depth=1
	s_or_b32 exec_lo, exec_lo, s2
.LBB260_338:                            ;   in Loop: Header=BB260_16 Depth=1
	s_delay_alu instid0(SALU_CYCLE_1)
	s_or_b32 exec_lo, exec_lo, s24
.LBB260_339:                            ;   in Loop: Header=BB260_16 Depth=1
	s_delay_alu instid0(SALU_CYCLE_1)
	s_or_b32 exec_lo, exec_lo, s23
	flat_load_b32 v23, v[92:93] offset:1032
	v_mov_b32_e32 v6, 0
	v_mov_b32_e32 v7, 0
	s_mov_b32 s2, exec_lo
	s_waitcnt vmcnt(0) lgkmcnt(0)
	s_delay_alu instid0(VALU_DEP_1) | instskip(SKIP_1) | instid1(VALU_DEP_2)
	v_dual_mov_b32 v9, v7 :: v_dual_and_b32 v10, 0xff, v23
	v_mov_b32_e32 v8, v6
	v_cmpx_ne_u16_e32 0, v10
	s_cbranch_execz .LBB260_347
; %bb.340:                              ;   in Loop: Header=BB260_16 Depth=1
	v_bfrev_b32_e32 v8, 1
	v_mov_b32_e32 v9, 0
	s_mov_b32 s23, exec_lo
	v_cmpx_ne_u16_e32 0x80, v10
	s_cbranch_execz .LBB260_346
; %bb.341:                              ;   in Loop: Header=BB260_16 Depth=1
	v_mov_b32_e32 v8, 0x7f800001
	v_dual_mov_b32 v9, 0 :: v_dual_and_b32 v10, 0x7f, v23
	s_mov_b32 s24, exec_lo
	s_delay_alu instid0(VALU_DEP_1)
	v_cmpx_ne_u32_e32 0x7f, v10
	s_cbranch_execz .LBB260_345
; %bb.342:                              ;   in Loop: Header=BB260_16 Depth=1
	v_and_b32_e32 v28, 7, v23
	v_lshrrev_b32_e32 v8, 3, v10
	s_mov_b32 s25, exec_lo
	v_cmpx_gt_u32_e32 8, v10
; %bb.343:                              ;   in Loop: Header=BB260_16 Depth=1
	s_delay_alu instid0(VALU_DEP_3) | instskip(NEXT) | instid1(VALU_DEP_1)
	v_clz_i32_u32_e32 v8, v28
	v_min_u32_e32 v8, 32, v8
	s_delay_alu instid0(VALU_DEP_1) | instskip(SKIP_1) | instid1(VALU_DEP_2)
	v_subrev_nc_u32_e32 v9, 28, v8
	v_sub_nc_u32_e32 v8, 29, v8
	v_lshlrev_b64 v[9:10], v9, v[28:29]
	s_delay_alu instid0(VALU_DEP_1)
	v_and_b32_e32 v28, 7, v9
; %bb.344:                              ;   in Loop: Header=BB260_16 Depth=1
	s_or_b32 exec_lo, exec_lo, s25
	v_lshlrev_b32_e32 v9, 24, v23
	s_delay_alu instid0(VALU_DEP_2) | instskip(SKIP_1) | instid1(VALU_DEP_3)
	v_lshlrev_b32_e32 v10, 20, v28
	v_lshl_add_u32 v8, v8, 23, 0x3c000000
	v_and_b32_e32 v9, 0x80000000, v9
	s_delay_alu instid0(VALU_DEP_1) | instskip(NEXT) | instid1(VALU_DEP_1)
	v_or3_b32 v28, v10, v9, v8
	v_dual_mov_b32 v8, v28 :: v_dual_mov_b32 v9, v29
.LBB260_345:                            ;   in Loop: Header=BB260_16 Depth=1
	s_or_b32 exec_lo, exec_lo, s24
.LBB260_346:                            ;   in Loop: Header=BB260_16 Depth=1
	s_delay_alu instid0(SALU_CYCLE_1)
	s_or_b32 exec_lo, exec_lo, s23
.LBB260_347:                            ;   in Loop: Header=BB260_16 Depth=1
	s_delay_alu instid0(SALU_CYCLE_1) | instskip(SKIP_2) | instid1(VALU_DEP_1)
	s_or_b32 exec_lo, exec_lo, s2
	v_lshrrev_b16 v10, 8, v23
	s_mov_b32 s23, exec_lo
	v_cmpx_ne_u16_e32 0, v10
	s_cbranch_execz .LBB260_355
; %bb.348:                              ;   in Loop: Header=BB260_16 Depth=1
	v_dual_mov_b32 v6, s16 :: v_dual_mov_b32 v7, s17
	s_mov_b32 s24, exec_lo
	v_cmpx_ne_u16_e32 0x80, v10
	s_cbranch_execz .LBB260_354
; %bb.349:                              ;   in Loop: Header=BB260_16 Depth=1
	s_mov_b32 s2, s16
	v_dual_mov_b32 v7, s3 :: v_dual_and_b32 v16, 0xffff, v10
	v_mov_b32_e32 v6, s2
	s_mov_b32 s2, exec_lo
	s_delay_alu instid0(VALU_DEP_2) | instskip(NEXT) | instid1(VALU_DEP_1)
	v_and_b32_e32 v10, 0x7f, v16
	v_cmpx_ne_u32_e32 0x7f, v10
	s_cbranch_execz .LBB260_353
; %bb.350:                              ;   in Loop: Header=BB260_16 Depth=1
	v_and_b32_e32 v28, 7, v16
	v_lshrrev_b32_e32 v6, 3, v10
	s_mov_b32 s25, exec_lo
	v_cmpx_gt_u32_e32 8, v10
; %bb.351:                              ;   in Loop: Header=BB260_16 Depth=1
	s_delay_alu instid0(VALU_DEP_3) | instskip(NEXT) | instid1(VALU_DEP_1)
	v_clz_i32_u32_e32 v6, v28
	v_min_u32_e32 v6, 32, v6
	s_delay_alu instid0(VALU_DEP_1) | instskip(SKIP_1) | instid1(VALU_DEP_2)
	v_subrev_nc_u32_e32 v7, 28, v6
	v_sub_nc_u32_e32 v6, 29, v6
	v_lshlrev_b64 v[16:17], v7, v[28:29]
	s_delay_alu instid0(VALU_DEP_1)
	v_and_b32_e32 v28, 7, v16
; %bb.352:                              ;   in Loop: Header=BB260_16 Depth=1
	s_or_b32 exec_lo, exec_lo, s25
	v_lshlrev_b32_e32 v7, 16, v23
	s_delay_alu instid0(VALU_DEP_2) | instskip(SKIP_1) | instid1(VALU_DEP_3)
	v_lshlrev_b32_e32 v10, 20, v28
	v_lshl_add_u32 v6, v6, 23, 0x3c000000
	v_and_b32_e32 v7, 0x80000000, v7
	s_delay_alu instid0(VALU_DEP_1)
	v_or3_b32 v7, v10, v7, v6
	v_mov_b32_e32 v6, v29
.LBB260_353:                            ;   in Loop: Header=BB260_16 Depth=1
	s_or_b32 exec_lo, exec_lo, s2
.LBB260_354:                            ;   in Loop: Header=BB260_16 Depth=1
	s_delay_alu instid0(SALU_CYCLE_1)
	s_or_b32 exec_lo, exec_lo, s24
.LBB260_355:                            ;   in Loop: Header=BB260_16 Depth=1
	s_delay_alu instid0(SALU_CYCLE_1) | instskip(SKIP_4) | instid1(VALU_DEP_1)
	s_or_b32 exec_lo, exec_lo, s23
	v_mov_b32_e32 v16, 0
	v_lshrrev_b32_e32 v24, 16, v23
	v_mov_b32_e32 v17, 0
	s_mov_b32 s2, exec_lo
	v_dual_mov_b32 v19, v17 :: v_dual_and_b32 v10, 0xff, v24
	v_mov_b32_e32 v18, v16
	s_delay_alu instid0(VALU_DEP_2)
	v_cmpx_ne_u16_e32 0, v10
	s_cbranch_execz .LBB260_363
; %bb.356:                              ;   in Loop: Header=BB260_16 Depth=1
	v_bfrev_b32_e32 v18, 1
	v_mov_b32_e32 v19, 0
	s_mov_b32 s23, exec_lo
	v_cmpx_ne_u16_e32 0x80, v10
	s_cbranch_execz .LBB260_362
; %bb.357:                              ;   in Loop: Header=BB260_16 Depth=1
	v_mov_b32_e32 v18, 0x7f800001
	v_bfe_u32 v31, v23, 16, 7
	v_mov_b32_e32 v19, 0
	s_mov_b32 s24, exec_lo
	s_delay_alu instid0(VALU_DEP_2)
	v_cmpx_ne_u32_e32 0x7f, v31
	s_cbranch_execz .LBB260_361
; %bb.358:                              ;   in Loop: Header=BB260_16 Depth=1
	v_and_b32_e32 v28, 7, v24
	v_lshrrev_b32_e32 v10, 3, v31
	s_mov_b32 s25, exec_lo
	v_cmpx_gt_u32_e32 8, v31
; %bb.359:                              ;   in Loop: Header=BB260_16 Depth=1
	s_delay_alu instid0(VALU_DEP_3) | instskip(NEXT) | instid1(VALU_DEP_1)
	v_clz_i32_u32_e32 v10, v28
	v_min_u32_e32 v10, 32, v10
	s_delay_alu instid0(VALU_DEP_1) | instskip(SKIP_1) | instid1(VALU_DEP_2)
	v_subrev_nc_u32_e32 v18, 28, v10
	v_sub_nc_u32_e32 v10, 29, v10
	v_lshlrev_b64 v[18:19], v18, v[28:29]
	s_delay_alu instid0(VALU_DEP_1)
	v_and_b32_e32 v28, 7, v18
; %bb.360:                              ;   in Loop: Header=BB260_16 Depth=1
	s_or_b32 exec_lo, exec_lo, s25
	v_lshlrev_b32_e32 v18, 24, v24
	s_delay_alu instid0(VALU_DEP_2) | instskip(SKIP_1) | instid1(VALU_DEP_3)
	v_lshlrev_b32_e32 v19, 20, v28
	v_lshl_add_u32 v10, v10, 23, 0x3c000000
	v_and_b32_e32 v18, 0x80000000, v18
	s_delay_alu instid0(VALU_DEP_1) | instskip(NEXT) | instid1(VALU_DEP_1)
	v_or3_b32 v28, v19, v18, v10
	v_dual_mov_b32 v18, v28 :: v_dual_mov_b32 v19, v29
.LBB260_361:                            ;   in Loop: Header=BB260_16 Depth=1
	s_or_b32 exec_lo, exec_lo, s24
.LBB260_362:                            ;   in Loop: Header=BB260_16 Depth=1
	s_delay_alu instid0(SALU_CYCLE_1)
	s_or_b32 exec_lo, exec_lo, s23
.LBB260_363:                            ;   in Loop: Header=BB260_16 Depth=1
	s_delay_alu instid0(SALU_CYCLE_1) | instskip(NEXT) | instid1(SALU_CYCLE_1)
	s_or_b32 exec_lo, exec_lo, s2
	s_mov_b32 s23, exec_lo
	v_cmpx_lt_u32_e32 0xffffff, v23
	s_cbranch_execz .LBB260_371
; %bb.364:                              ;   in Loop: Header=BB260_16 Depth=1
	v_lshrrev_b32_e32 v10, 24, v23
	v_dual_mov_b32 v16, s16 :: v_dual_mov_b32 v17, s17
	s_mov_b32 s24, exec_lo
	s_delay_alu instid0(VALU_DEP_2)
	v_cmpx_ne_u32_e32 0x80, v10
	s_cbranch_execz .LBB260_370
; %bb.365:                              ;   in Loop: Header=BB260_16 Depth=1
	s_mov_b32 s2, s16
	v_bfe_u32 v23, v23, 24, 7
	v_dual_mov_b32 v17, s3 :: v_dual_mov_b32 v16, s2
	s_mov_b32 s2, exec_lo
	s_delay_alu instid0(VALU_DEP_2)
	v_cmpx_ne_u32_e32 0x7f, v23
	s_cbranch_execz .LBB260_369
; %bb.366:                              ;   in Loop: Header=BB260_16 Depth=1
	v_and_b32_e32 v28, 7, v10
	v_lshrrev_b32_e32 v16, 3, v23
	s_mov_b32 s25, exec_lo
	v_cmpx_gt_u32_e32 8, v23
; %bb.367:                              ;   in Loop: Header=BB260_16 Depth=1
	s_delay_alu instid0(VALU_DEP_3) | instskip(NEXT) | instid1(VALU_DEP_1)
	v_clz_i32_u32_e32 v16, v28
	v_min_u32_e32 v16, 32, v16
	s_delay_alu instid0(VALU_DEP_1) | instskip(SKIP_1) | instid1(VALU_DEP_2)
	v_subrev_nc_u32_e32 v17, 28, v16
	v_sub_nc_u32_e32 v16, 29, v16
	v_lshlrev_b64 v[23:24], v17, v[28:29]
	s_delay_alu instid0(VALU_DEP_1)
	v_and_b32_e32 v28, 7, v23
; %bb.368:                              ;   in Loop: Header=BB260_16 Depth=1
	s_or_b32 exec_lo, exec_lo, s25
	v_lshlrev_b32_e32 v10, 24, v10
	s_delay_alu instid0(VALU_DEP_2) | instskip(SKIP_1) | instid1(VALU_DEP_3)
	v_lshlrev_b32_e32 v17, 20, v28
	v_lshl_add_u32 v16, v16, 23, 0x3c000000
	v_and_b32_e32 v10, 0x80000000, v10
	s_delay_alu instid0(VALU_DEP_1)
	v_or3_b32 v17, v17, v10, v16
	v_mov_b32_e32 v16, v29
.LBB260_369:                            ;   in Loop: Header=BB260_16 Depth=1
	s_or_b32 exec_lo, exec_lo, s2
.LBB260_370:                            ;   in Loop: Header=BB260_16 Depth=1
	s_delay_alu instid0(SALU_CYCLE_1)
	s_or_b32 exec_lo, exec_lo, s24
.LBB260_371:                            ;   in Loop: Header=BB260_16 Depth=1
	s_delay_alu instid0(SALU_CYCLE_1) | instskip(SKIP_4) | instid1(VALU_DEP_1)
	s_or_b32 exec_lo, exec_lo, s23
	flat_load_b32 v23, v[92:93] offset:1036
	v_mov_b32_e32 v31, 0
	v_mov_b32_e32 v32, 0
	s_mov_b32 s2, exec_lo
	v_dual_mov_b32 v34, v32 :: v_dual_mov_b32 v33, v31
	s_waitcnt vmcnt(0) lgkmcnt(0)
	v_and_b32_e32 v10, 0xff, v23
	s_delay_alu instid0(VALU_DEP_1)
	v_cmpx_ne_u16_e32 0, v10
	s_cbranch_execz .LBB260_379
; %bb.372:                              ;   in Loop: Header=BB260_16 Depth=1
	v_bfrev_b32_e32 v33, 1
	v_mov_b32_e32 v34, 0
	s_mov_b32 s23, exec_lo
	v_cmpx_ne_u16_e32 0x80, v10
	s_cbranch_execz .LBB260_378
; %bb.373:                              ;   in Loop: Header=BB260_16 Depth=1
	v_mov_b32_e32 v33, 0x7f800001
	v_and_b32_e32 v24, 0x7f, v23
	v_mov_b32_e32 v34, 0
	s_mov_b32 s24, exec_lo
	s_delay_alu instid0(VALU_DEP_2)
	v_cmpx_ne_u32_e32 0x7f, v24
	s_cbranch_execz .LBB260_377
; %bb.374:                              ;   in Loop: Header=BB260_16 Depth=1
	v_and_b32_e32 v28, 7, v23
	v_lshrrev_b32_e32 v10, 3, v24
	s_mov_b32 s25, exec_lo
	v_cmpx_gt_u32_e32 8, v24
; %bb.375:                              ;   in Loop: Header=BB260_16 Depth=1
	s_delay_alu instid0(VALU_DEP_3) | instskip(NEXT) | instid1(VALU_DEP_1)
	v_clz_i32_u32_e32 v10, v28
	v_min_u32_e32 v10, 32, v10
	s_delay_alu instid0(VALU_DEP_1) | instskip(SKIP_1) | instid1(VALU_DEP_2)
	v_subrev_nc_u32_e32 v24, 28, v10
	v_sub_nc_u32_e32 v10, 29, v10
	v_lshlrev_b64 v[33:34], v24, v[28:29]
	s_delay_alu instid0(VALU_DEP_1)
	v_and_b32_e32 v28, 7, v33
; %bb.376:                              ;   in Loop: Header=BB260_16 Depth=1
	s_or_b32 exec_lo, exec_lo, s25
	v_lshlrev_b32_e32 v24, 24, v23
	s_delay_alu instid0(VALU_DEP_2) | instskip(SKIP_1) | instid1(VALU_DEP_3)
	v_lshlrev_b32_e32 v28, 20, v28
	v_lshl_add_u32 v10, v10, 23, 0x3c000000
	v_and_b32_e32 v24, 0x80000000, v24
	s_delay_alu instid0(VALU_DEP_1) | instskip(NEXT) | instid1(VALU_DEP_1)
	v_or3_b32 v28, v28, v24, v10
	v_dual_mov_b32 v34, v29 :: v_dual_mov_b32 v33, v28
.LBB260_377:                            ;   in Loop: Header=BB260_16 Depth=1
	s_or_b32 exec_lo, exec_lo, s24
.LBB260_378:                            ;   in Loop: Header=BB260_16 Depth=1
	s_delay_alu instid0(SALU_CYCLE_1)
	s_or_b32 exec_lo, exec_lo, s23
.LBB260_379:                            ;   in Loop: Header=BB260_16 Depth=1
	s_delay_alu instid0(SALU_CYCLE_1) | instskip(SKIP_2) | instid1(VALU_DEP_1)
	s_or_b32 exec_lo, exec_lo, s2
	v_lshrrev_b16 v10, 8, v23
	s_mov_b32 s23, exec_lo
	v_cmpx_ne_u16_e32 0, v10
	s_cbranch_execz .LBB260_387
; %bb.380:                              ;   in Loop: Header=BB260_16 Depth=1
	v_dual_mov_b32 v32, s17 :: v_dual_mov_b32 v31, s16
	s_mov_b32 s24, exec_lo
	v_cmpx_ne_u16_e32 0x80, v10
	s_cbranch_execz .LBB260_386
; %bb.381:                              ;   in Loop: Header=BB260_16 Depth=1
	s_mov_b32 s2, s16
	v_and_b32_e32 v10, 0xffff, v10
	v_dual_mov_b32 v32, s3 :: v_dual_mov_b32 v31, s2
	s_mov_b32 s2, exec_lo
	s_delay_alu instid0(VALU_DEP_2) | instskip(NEXT) | instid1(VALU_DEP_1)
	v_and_b32_e32 v24, 0x7f, v10
	v_cmpx_ne_u32_e32 0x7f, v24
	s_cbranch_execz .LBB260_385
; %bb.382:                              ;   in Loop: Header=BB260_16 Depth=1
	v_and_b32_e32 v28, 7, v10
	v_lshrrev_b32_e32 v10, 3, v24
	s_mov_b32 s25, exec_lo
	v_cmpx_gt_u32_e32 8, v24
; %bb.383:                              ;   in Loop: Header=BB260_16 Depth=1
	s_delay_alu instid0(VALU_DEP_3) | instskip(NEXT) | instid1(VALU_DEP_1)
	v_clz_i32_u32_e32 v10, v28
	v_min_u32_e32 v10, 32, v10
	s_delay_alu instid0(VALU_DEP_1) | instskip(SKIP_1) | instid1(VALU_DEP_2)
	v_subrev_nc_u32_e32 v24, 28, v10
	v_sub_nc_u32_e32 v10, 29, v10
	v_lshlrev_b64 v[31:32], v24, v[28:29]
	s_delay_alu instid0(VALU_DEP_1)
	v_and_b32_e32 v28, 7, v31
; %bb.384:                              ;   in Loop: Header=BB260_16 Depth=1
	s_or_b32 exec_lo, exec_lo, s25
	v_dual_mov_b32 v31, v29 :: v_dual_lshlrev_b32 v24, 16, v23
	s_delay_alu instid0(VALU_DEP_2) | instskip(SKIP_1) | instid1(VALU_DEP_3)
	v_lshlrev_b32_e32 v28, 20, v28
	v_lshl_add_u32 v10, v10, 23, 0x3c000000
	v_and_b32_e32 v24, 0x80000000, v24
	s_delay_alu instid0(VALU_DEP_1)
	v_or3_b32 v32, v28, v24, v10
.LBB260_385:                            ;   in Loop: Header=BB260_16 Depth=1
	s_or_b32 exec_lo, exec_lo, s2
.LBB260_386:                            ;   in Loop: Header=BB260_16 Depth=1
	s_delay_alu instid0(SALU_CYCLE_1)
	s_or_b32 exec_lo, exec_lo, s24
.LBB260_387:                            ;   in Loop: Header=BB260_16 Depth=1
	s_delay_alu instid0(SALU_CYCLE_1) | instskip(SKIP_4) | instid1(VALU_DEP_3)
	s_or_b32 exec_lo, exec_lo, s23
	v_lshrrev_b32_e32 v24, 16, v23
	v_mov_b32_e32 v35, 0
	v_mov_b32_e32 v36, 0
	s_mov_b32 s2, exec_lo
	v_and_b32_e32 v10, 0xff, v24
	s_delay_alu instid0(VALU_DEP_2) | instskip(NEXT) | instid1(VALU_DEP_2)
	v_dual_mov_b32 v38, v36 :: v_dual_mov_b32 v37, v35
	v_cmpx_ne_u16_e32 0, v10
	s_cbranch_execz .LBB260_395
; %bb.388:                              ;   in Loop: Header=BB260_16 Depth=1
	v_bfrev_b32_e32 v37, 1
	v_mov_b32_e32 v38, 0
	s_mov_b32 s23, exec_lo
	v_cmpx_ne_u16_e32 0x80, v10
	s_cbranch_execz .LBB260_394
; %bb.389:                              ;   in Loop: Header=BB260_16 Depth=1
	v_mov_b32_e32 v37, 0x7f800001
	v_bfe_u32 v39, v23, 16, 7
	v_mov_b32_e32 v38, 0
	s_mov_b32 s24, exec_lo
	s_delay_alu instid0(VALU_DEP_2)
	v_cmpx_ne_u32_e32 0x7f, v39
	s_cbranch_execz .LBB260_393
; %bb.390:                              ;   in Loop: Header=BB260_16 Depth=1
	v_and_b32_e32 v28, 7, v24
	v_lshrrev_b32_e32 v10, 3, v39
	s_mov_b32 s25, exec_lo
	v_cmpx_gt_u32_e32 8, v39
; %bb.391:                              ;   in Loop: Header=BB260_16 Depth=1
	s_delay_alu instid0(VALU_DEP_3) | instskip(NEXT) | instid1(VALU_DEP_1)
	v_clz_i32_u32_e32 v10, v28
	v_min_u32_e32 v10, 32, v10
	s_delay_alu instid0(VALU_DEP_1) | instskip(SKIP_1) | instid1(VALU_DEP_2)
	v_subrev_nc_u32_e32 v37, 28, v10
	v_sub_nc_u32_e32 v10, 29, v10
	v_lshlrev_b64 v[37:38], v37, v[28:29]
	s_delay_alu instid0(VALU_DEP_1)
	v_and_b32_e32 v28, 7, v37
; %bb.392:                              ;   in Loop: Header=BB260_16 Depth=1
	s_or_b32 exec_lo, exec_lo, s25
	v_lshlrev_b32_e32 v24, 24, v24
	s_delay_alu instid0(VALU_DEP_2) | instskip(SKIP_1) | instid1(VALU_DEP_3)
	v_lshlrev_b32_e32 v28, 20, v28
	v_lshl_add_u32 v10, v10, 23, 0x3c000000
	v_and_b32_e32 v24, 0x80000000, v24
	s_delay_alu instid0(VALU_DEP_1) | instskip(NEXT) | instid1(VALU_DEP_1)
	v_or3_b32 v28, v28, v24, v10
	v_dual_mov_b32 v38, v29 :: v_dual_mov_b32 v37, v28
.LBB260_393:                            ;   in Loop: Header=BB260_16 Depth=1
	s_or_b32 exec_lo, exec_lo, s24
.LBB260_394:                            ;   in Loop: Header=BB260_16 Depth=1
	s_delay_alu instid0(SALU_CYCLE_1)
	s_or_b32 exec_lo, exec_lo, s23
.LBB260_395:                            ;   in Loop: Header=BB260_16 Depth=1
	s_delay_alu instid0(SALU_CYCLE_1) | instskip(NEXT) | instid1(SALU_CYCLE_1)
	s_or_b32 exec_lo, exec_lo, s2
	s_mov_b32 s23, exec_lo
	v_cmpx_lt_u32_e32 0xffffff, v23
	s_cbranch_execz .LBB260_403
; %bb.396:                              ;   in Loop: Header=BB260_16 Depth=1
	v_lshrrev_b32_e32 v10, 24, v23
	v_dual_mov_b32 v36, s17 :: v_dual_mov_b32 v35, s16
	s_mov_b32 s24, exec_lo
	s_delay_alu instid0(VALU_DEP_2)
	v_cmpx_ne_u32_e32 0x80, v10
	s_cbranch_execz .LBB260_402
; %bb.397:                              ;   in Loop: Header=BB260_16 Depth=1
	s_mov_b32 s2, s16
	v_bfe_u32 v24, v23, 24, 7
	v_dual_mov_b32 v36, s3 :: v_dual_mov_b32 v35, s2
	s_mov_b32 s2, exec_lo
	s_delay_alu instid0(VALU_DEP_2)
	v_cmpx_ne_u32_e32 0x7f, v24
	s_cbranch_execz .LBB260_401
; %bb.398:                              ;   in Loop: Header=BB260_16 Depth=1
	v_and_b32_e32 v28, 7, v10
	v_lshrrev_b32_e32 v23, 3, v24
	s_mov_b32 s25, exec_lo
	v_cmpx_gt_u32_e32 8, v24
; %bb.399:                              ;   in Loop: Header=BB260_16 Depth=1
	s_delay_alu instid0(VALU_DEP_3) | instskip(NEXT) | instid1(VALU_DEP_1)
	v_clz_i32_u32_e32 v23, v28
	v_min_u32_e32 v23, 32, v23
	s_delay_alu instid0(VALU_DEP_1) | instskip(SKIP_1) | instid1(VALU_DEP_2)
	v_subrev_nc_u32_e32 v24, 28, v23
	v_sub_nc_u32_e32 v23, 29, v23
	v_lshlrev_b64 v[35:36], v24, v[28:29]
	s_delay_alu instid0(VALU_DEP_1)
	v_and_b32_e32 v28, 7, v35
; %bb.400:                              ;   in Loop: Header=BB260_16 Depth=1
	s_or_b32 exec_lo, exec_lo, s25
	v_dual_mov_b32 v35, v29 :: v_dual_lshlrev_b32 v10, 24, v10
	s_delay_alu instid0(VALU_DEP_2) | instskip(SKIP_1) | instid1(VALU_DEP_3)
	v_lshlrev_b32_e32 v24, 20, v28
	v_lshl_add_u32 v23, v23, 23, 0x3c000000
	v_and_b32_e32 v10, 0x80000000, v10
	s_delay_alu instid0(VALU_DEP_1)
	v_or3_b32 v36, v24, v10, v23
.LBB260_401:                            ;   in Loop: Header=BB260_16 Depth=1
	s_or_b32 exec_lo, exec_lo, s2
.LBB260_402:                            ;   in Loop: Header=BB260_16 Depth=1
	s_delay_alu instid0(SALU_CYCLE_1)
	s_or_b32 exec_lo, exec_lo, s24
.LBB260_403:                            ;   in Loop: Header=BB260_16 Depth=1
	s_delay_alu instid0(SALU_CYCLE_1)
	s_or_b32 exec_lo, exec_lo, s23
	flat_load_b32 v23, v[92:93] offset:1536
	v_mov_b32_e32 v48, 0
	v_mov_b32_e32 v49, 0
	s_mov_b32 s2, exec_lo
	s_waitcnt vmcnt(0) lgkmcnt(0)
	s_delay_alu instid0(VALU_DEP_1) | instskip(SKIP_1) | instid1(VALU_DEP_2)
	v_dual_mov_b32 v51, v49 :: v_dual_and_b32 v10, 0xff, v23
	v_mov_b32_e32 v50, v48
	v_cmpx_ne_u16_e32 0, v10
	s_cbranch_execz .LBB260_411
; %bb.404:                              ;   in Loop: Header=BB260_16 Depth=1
	v_bfrev_b32_e32 v50, 1
	v_mov_b32_e32 v51, 0
	s_mov_b32 s23, exec_lo
	v_cmpx_ne_u16_e32 0x80, v10
	s_cbranch_execz .LBB260_410
; %bb.405:                              ;   in Loop: Header=BB260_16 Depth=1
	v_mov_b32_e32 v50, 0x7f800001
	v_dual_mov_b32 v51, 0 :: v_dual_and_b32 v24, 0x7f, v23
	s_mov_b32 s24, exec_lo
	s_delay_alu instid0(VALU_DEP_1)
	v_cmpx_ne_u32_e32 0x7f, v24
	s_cbranch_execz .LBB260_409
; %bb.406:                              ;   in Loop: Header=BB260_16 Depth=1
	v_and_b32_e32 v28, 7, v23
	v_lshrrev_b32_e32 v10, 3, v24
	s_mov_b32 s25, exec_lo
	v_cmpx_gt_u32_e32 8, v24
; %bb.407:                              ;   in Loop: Header=BB260_16 Depth=1
	s_delay_alu instid0(VALU_DEP_3) | instskip(NEXT) | instid1(VALU_DEP_1)
	v_clz_i32_u32_e32 v10, v28
	v_min_u32_e32 v10, 32, v10
	s_delay_alu instid0(VALU_DEP_1) | instskip(SKIP_1) | instid1(VALU_DEP_2)
	v_subrev_nc_u32_e32 v24, 28, v10
	v_sub_nc_u32_e32 v10, 29, v10
	v_lshlrev_b64 v[50:51], v24, v[28:29]
	s_delay_alu instid0(VALU_DEP_1)
	v_and_b32_e32 v28, 7, v50
; %bb.408:                              ;   in Loop: Header=BB260_16 Depth=1
	s_or_b32 exec_lo, exec_lo, s25
	v_lshlrev_b32_e32 v24, 24, v23
	s_delay_alu instid0(VALU_DEP_2) | instskip(SKIP_1) | instid1(VALU_DEP_3)
	v_lshlrev_b32_e32 v28, 20, v28
	v_lshl_add_u32 v10, v10, 23, 0x3c000000
	v_and_b32_e32 v24, 0x80000000, v24
	s_delay_alu instid0(VALU_DEP_1) | instskip(NEXT) | instid1(VALU_DEP_1)
	v_or3_b32 v28, v28, v24, v10
	v_dual_mov_b32 v51, v29 :: v_dual_mov_b32 v50, v28
.LBB260_409:                            ;   in Loop: Header=BB260_16 Depth=1
	s_or_b32 exec_lo, exec_lo, s24
.LBB260_410:                            ;   in Loop: Header=BB260_16 Depth=1
	s_delay_alu instid0(SALU_CYCLE_1)
	s_or_b32 exec_lo, exec_lo, s23
.LBB260_411:                            ;   in Loop: Header=BB260_16 Depth=1
	s_delay_alu instid0(SALU_CYCLE_1) | instskip(SKIP_2) | instid1(VALU_DEP_1)
	s_or_b32 exec_lo, exec_lo, s2
	v_lshrrev_b16 v10, 8, v23
	s_mov_b32 s23, exec_lo
	v_cmpx_ne_u16_e32 0, v10
	s_cbranch_execz .LBB260_419
; %bb.412:                              ;   in Loop: Header=BB260_16 Depth=1
	v_dual_mov_b32 v49, s17 :: v_dual_mov_b32 v48, s16
	s_mov_b32 s24, exec_lo
	v_cmpx_ne_u16_e32 0x80, v10
	s_cbranch_execz .LBB260_418
; %bb.413:                              ;   in Loop: Header=BB260_16 Depth=1
	s_mov_b32 s2, s16
	v_dual_mov_b32 v49, s3 :: v_dual_and_b32 v10, 0xffff, v10
	v_mov_b32_e32 v48, s2
	s_mov_b32 s2, exec_lo
	s_delay_alu instid0(VALU_DEP_2) | instskip(NEXT) | instid1(VALU_DEP_1)
	v_and_b32_e32 v24, 0x7f, v10
	v_cmpx_ne_u32_e32 0x7f, v24
	s_cbranch_execz .LBB260_417
; %bb.414:                              ;   in Loop: Header=BB260_16 Depth=1
	v_and_b32_e32 v28, 7, v10
	v_lshrrev_b32_e32 v10, 3, v24
	s_mov_b32 s25, exec_lo
	v_cmpx_gt_u32_e32 8, v24
; %bb.415:                              ;   in Loop: Header=BB260_16 Depth=1
	s_delay_alu instid0(VALU_DEP_3) | instskip(NEXT) | instid1(VALU_DEP_1)
	v_clz_i32_u32_e32 v10, v28
	v_min_u32_e32 v10, 32, v10
	s_delay_alu instid0(VALU_DEP_1) | instskip(SKIP_1) | instid1(VALU_DEP_2)
	v_subrev_nc_u32_e32 v24, 28, v10
	v_sub_nc_u32_e32 v10, 29, v10
	v_lshlrev_b64 v[48:49], v24, v[28:29]
	s_delay_alu instid0(VALU_DEP_1)
	v_and_b32_e32 v28, 7, v48
; %bb.416:                              ;   in Loop: Header=BB260_16 Depth=1
	s_or_b32 exec_lo, exec_lo, s25
	v_lshlrev_b32_e32 v24, 16, v23
	s_delay_alu instid0(VALU_DEP_2) | instskip(SKIP_2) | instid1(VALU_DEP_4)
	v_lshlrev_b32_e32 v28, 20, v28
	v_lshl_add_u32 v10, v10, 23, 0x3c000000
	v_mov_b32_e32 v48, v29
	v_and_b32_e32 v24, 0x80000000, v24
	s_delay_alu instid0(VALU_DEP_1)
	v_or3_b32 v49, v28, v24, v10
.LBB260_417:                            ;   in Loop: Header=BB260_16 Depth=1
	s_or_b32 exec_lo, exec_lo, s2
.LBB260_418:                            ;   in Loop: Header=BB260_16 Depth=1
	s_delay_alu instid0(SALU_CYCLE_1)
	s_or_b32 exec_lo, exec_lo, s24
.LBB260_419:                            ;   in Loop: Header=BB260_16 Depth=1
	s_delay_alu instid0(SALU_CYCLE_1) | instskip(SKIP_4) | instid1(VALU_DEP_1)
	s_or_b32 exec_lo, exec_lo, s23
	v_mov_b32_e32 v52, 0
	v_lshrrev_b32_e32 v24, 16, v23
	v_mov_b32_e32 v53, 0
	s_mov_b32 s2, exec_lo
	v_dual_mov_b32 v55, v53 :: v_dual_and_b32 v10, 0xff, v24
	v_mov_b32_e32 v54, v52
	s_delay_alu instid0(VALU_DEP_2)
	v_cmpx_ne_u16_e32 0, v10
	s_cbranch_execz .LBB260_427
; %bb.420:                              ;   in Loop: Header=BB260_16 Depth=1
	v_bfrev_b32_e32 v54, 1
	v_mov_b32_e32 v55, 0
	s_mov_b32 s23, exec_lo
	v_cmpx_ne_u16_e32 0x80, v10
	s_cbranch_execz .LBB260_426
; %bb.421:                              ;   in Loop: Header=BB260_16 Depth=1
	v_mov_b32_e32 v54, 0x7f800001
	v_bfe_u32 v39, v23, 16, 7
	v_mov_b32_e32 v55, 0
	s_mov_b32 s24, exec_lo
	s_delay_alu instid0(VALU_DEP_2)
	v_cmpx_ne_u32_e32 0x7f, v39
	s_cbranch_execz .LBB260_425
; %bb.422:                              ;   in Loop: Header=BB260_16 Depth=1
	v_and_b32_e32 v28, 7, v24
	v_lshrrev_b32_e32 v10, 3, v39
	s_mov_b32 s25, exec_lo
	v_cmpx_gt_u32_e32 8, v39
; %bb.423:                              ;   in Loop: Header=BB260_16 Depth=1
	s_delay_alu instid0(VALU_DEP_3) | instskip(NEXT) | instid1(VALU_DEP_1)
	v_clz_i32_u32_e32 v10, v28
	v_min_u32_e32 v10, 32, v10
	s_delay_alu instid0(VALU_DEP_1) | instskip(SKIP_1) | instid1(VALU_DEP_2)
	v_subrev_nc_u32_e32 v39, 28, v10
	v_sub_nc_u32_e32 v10, 29, v10
	v_lshlrev_b64 v[54:55], v39, v[28:29]
	s_delay_alu instid0(VALU_DEP_1)
	v_and_b32_e32 v28, 7, v54
; %bb.424:                              ;   in Loop: Header=BB260_16 Depth=1
	s_or_b32 exec_lo, exec_lo, s25
	v_lshlrev_b32_e32 v24, 24, v24
	s_delay_alu instid0(VALU_DEP_2) | instskip(SKIP_1) | instid1(VALU_DEP_3)
	v_lshlrev_b32_e32 v28, 20, v28
	v_lshl_add_u32 v10, v10, 23, 0x3c000000
	v_and_b32_e32 v24, 0x80000000, v24
	s_delay_alu instid0(VALU_DEP_1) | instskip(NEXT) | instid1(VALU_DEP_1)
	v_or3_b32 v28, v28, v24, v10
	v_dual_mov_b32 v55, v29 :: v_dual_mov_b32 v54, v28
.LBB260_425:                            ;   in Loop: Header=BB260_16 Depth=1
	s_or_b32 exec_lo, exec_lo, s24
.LBB260_426:                            ;   in Loop: Header=BB260_16 Depth=1
	s_delay_alu instid0(SALU_CYCLE_1)
	s_or_b32 exec_lo, exec_lo, s23
.LBB260_427:                            ;   in Loop: Header=BB260_16 Depth=1
	s_delay_alu instid0(SALU_CYCLE_1) | instskip(NEXT) | instid1(SALU_CYCLE_1)
	s_or_b32 exec_lo, exec_lo, s2
	s_mov_b32 s23, exec_lo
	v_cmpx_lt_u32_e32 0xffffff, v23
	s_cbranch_execz .LBB260_435
; %bb.428:                              ;   in Loop: Header=BB260_16 Depth=1
	v_lshrrev_b32_e32 v10, 24, v23
	v_dual_mov_b32 v53, s17 :: v_dual_mov_b32 v52, s16
	s_mov_b32 s24, exec_lo
	s_delay_alu instid0(VALU_DEP_2)
	v_cmpx_ne_u32_e32 0x80, v10
	s_cbranch_execz .LBB260_434
; %bb.429:                              ;   in Loop: Header=BB260_16 Depth=1
	s_mov_b32 s2, s16
	v_bfe_u32 v24, v23, 24, 7
	v_dual_mov_b32 v53, s3 :: v_dual_mov_b32 v52, s2
	s_mov_b32 s2, exec_lo
	s_delay_alu instid0(VALU_DEP_2)
	v_cmpx_ne_u32_e32 0x7f, v24
	s_cbranch_execz .LBB260_433
; %bb.430:                              ;   in Loop: Header=BB260_16 Depth=1
	v_and_b32_e32 v28, 7, v10
	v_lshrrev_b32_e32 v23, 3, v24
	s_mov_b32 s25, exec_lo
	v_cmpx_gt_u32_e32 8, v24
; %bb.431:                              ;   in Loop: Header=BB260_16 Depth=1
	s_delay_alu instid0(VALU_DEP_3) | instskip(NEXT) | instid1(VALU_DEP_1)
	v_clz_i32_u32_e32 v23, v28
	v_min_u32_e32 v23, 32, v23
	s_delay_alu instid0(VALU_DEP_1) | instskip(SKIP_1) | instid1(VALU_DEP_2)
	v_subrev_nc_u32_e32 v24, 28, v23
	v_sub_nc_u32_e32 v23, 29, v23
	v_lshlrev_b64 v[52:53], v24, v[28:29]
	s_delay_alu instid0(VALU_DEP_1)
	v_and_b32_e32 v28, 7, v52
; %bb.432:                              ;   in Loop: Header=BB260_16 Depth=1
	s_or_b32 exec_lo, exec_lo, s25
	v_lshlrev_b32_e32 v10, 24, v10
	s_delay_alu instid0(VALU_DEP_2) | instskip(SKIP_2) | instid1(VALU_DEP_4)
	v_lshlrev_b32_e32 v24, 20, v28
	v_lshl_add_u32 v23, v23, 23, 0x3c000000
	v_mov_b32_e32 v52, v29
	v_and_b32_e32 v10, 0x80000000, v10
	s_delay_alu instid0(VALU_DEP_1)
	v_or3_b32 v53, v24, v10, v23
.LBB260_433:                            ;   in Loop: Header=BB260_16 Depth=1
	s_or_b32 exec_lo, exec_lo, s2
.LBB260_434:                            ;   in Loop: Header=BB260_16 Depth=1
	s_delay_alu instid0(SALU_CYCLE_1)
	s_or_b32 exec_lo, exec_lo, s24
.LBB260_435:                            ;   in Loop: Header=BB260_16 Depth=1
	s_delay_alu instid0(SALU_CYCLE_1)
	s_or_b32 exec_lo, exec_lo, s23
	flat_load_b32 v23, v[92:93] offset:1540
	v_mov_b32_e32 v64, 0
	v_mov_b32_e32 v65, 0
	s_mov_b32 s2, exec_lo
	s_waitcnt vmcnt(0) lgkmcnt(0)
	s_delay_alu instid0(VALU_DEP_1) | instskip(SKIP_1) | instid1(VALU_DEP_2)
	v_dual_mov_b32 v67, v65 :: v_dual_and_b32 v10, 0xff, v23
	v_mov_b32_e32 v66, v64
	v_cmpx_ne_u16_e32 0, v10
	s_cbranch_execz .LBB260_443
; %bb.436:                              ;   in Loop: Header=BB260_16 Depth=1
	v_bfrev_b32_e32 v66, 1
	v_mov_b32_e32 v67, 0
	s_mov_b32 s23, exec_lo
	v_cmpx_ne_u16_e32 0x80, v10
	s_cbranch_execz .LBB260_442
; %bb.437:                              ;   in Loop: Header=BB260_16 Depth=1
	v_mov_b32_e32 v66, 0x7f800001
	v_dual_mov_b32 v67, 0 :: v_dual_and_b32 v24, 0x7f, v23
	s_mov_b32 s24, exec_lo
	s_delay_alu instid0(VALU_DEP_1)
	v_cmpx_ne_u32_e32 0x7f, v24
	s_cbranch_execz .LBB260_441
; %bb.438:                              ;   in Loop: Header=BB260_16 Depth=1
	v_and_b32_e32 v28, 7, v23
	v_lshrrev_b32_e32 v10, 3, v24
	s_mov_b32 s25, exec_lo
	v_cmpx_gt_u32_e32 8, v24
; %bb.439:                              ;   in Loop: Header=BB260_16 Depth=1
	s_delay_alu instid0(VALU_DEP_3) | instskip(NEXT) | instid1(VALU_DEP_1)
	v_clz_i32_u32_e32 v10, v28
	v_min_u32_e32 v10, 32, v10
	s_delay_alu instid0(VALU_DEP_1) | instskip(SKIP_1) | instid1(VALU_DEP_2)
	v_subrev_nc_u32_e32 v24, 28, v10
	v_sub_nc_u32_e32 v10, 29, v10
	v_lshlrev_b64 v[66:67], v24, v[28:29]
	s_delay_alu instid0(VALU_DEP_1)
	v_and_b32_e32 v28, 7, v66
; %bb.440:                              ;   in Loop: Header=BB260_16 Depth=1
	s_or_b32 exec_lo, exec_lo, s25
	v_lshlrev_b32_e32 v24, 24, v23
	s_delay_alu instid0(VALU_DEP_2) | instskip(SKIP_1) | instid1(VALU_DEP_3)
	v_lshlrev_b32_e32 v28, 20, v28
	v_lshl_add_u32 v10, v10, 23, 0x3c000000
	v_and_b32_e32 v24, 0x80000000, v24
	s_delay_alu instid0(VALU_DEP_1) | instskip(NEXT) | instid1(VALU_DEP_1)
	v_or3_b32 v28, v28, v24, v10
	v_dual_mov_b32 v67, v29 :: v_dual_mov_b32 v66, v28
.LBB260_441:                            ;   in Loop: Header=BB260_16 Depth=1
	s_or_b32 exec_lo, exec_lo, s24
.LBB260_442:                            ;   in Loop: Header=BB260_16 Depth=1
	s_delay_alu instid0(SALU_CYCLE_1)
	s_or_b32 exec_lo, exec_lo, s23
.LBB260_443:                            ;   in Loop: Header=BB260_16 Depth=1
	s_delay_alu instid0(SALU_CYCLE_1) | instskip(SKIP_2) | instid1(VALU_DEP_1)
	s_or_b32 exec_lo, exec_lo, s2
	v_lshrrev_b16 v10, 8, v23
	s_mov_b32 s23, exec_lo
	v_cmpx_ne_u16_e32 0, v10
	s_cbranch_execz .LBB260_451
; %bb.444:                              ;   in Loop: Header=BB260_16 Depth=1
	v_dual_mov_b32 v65, s17 :: v_dual_mov_b32 v64, s16
	s_mov_b32 s24, exec_lo
	v_cmpx_ne_u16_e32 0x80, v10
	s_cbranch_execz .LBB260_450
; %bb.445:                              ;   in Loop: Header=BB260_16 Depth=1
	s_mov_b32 s2, s16
	v_dual_mov_b32 v65, s3 :: v_dual_and_b32 v10, 0xffff, v10
	v_mov_b32_e32 v64, s2
	s_mov_b32 s2, exec_lo
	s_delay_alu instid0(VALU_DEP_2) | instskip(NEXT) | instid1(VALU_DEP_1)
	v_and_b32_e32 v24, 0x7f, v10
	v_cmpx_ne_u32_e32 0x7f, v24
	s_cbranch_execz .LBB260_449
; %bb.446:                              ;   in Loop: Header=BB260_16 Depth=1
	v_and_b32_e32 v28, 7, v10
	v_lshrrev_b32_e32 v10, 3, v24
	s_mov_b32 s25, exec_lo
	v_cmpx_gt_u32_e32 8, v24
; %bb.447:                              ;   in Loop: Header=BB260_16 Depth=1
	s_delay_alu instid0(VALU_DEP_3) | instskip(NEXT) | instid1(VALU_DEP_1)
	v_clz_i32_u32_e32 v10, v28
	v_min_u32_e32 v10, 32, v10
	s_delay_alu instid0(VALU_DEP_1) | instskip(SKIP_1) | instid1(VALU_DEP_2)
	v_subrev_nc_u32_e32 v24, 28, v10
	v_sub_nc_u32_e32 v10, 29, v10
	v_lshlrev_b64 v[64:65], v24, v[28:29]
	s_delay_alu instid0(VALU_DEP_1)
	v_and_b32_e32 v28, 7, v64
; %bb.448:                              ;   in Loop: Header=BB260_16 Depth=1
	s_or_b32 exec_lo, exec_lo, s25
	v_lshlrev_b32_e32 v24, 16, v23
	s_delay_alu instid0(VALU_DEP_2) | instskip(SKIP_2) | instid1(VALU_DEP_4)
	v_lshlrev_b32_e32 v28, 20, v28
	v_lshl_add_u32 v10, v10, 23, 0x3c000000
	v_mov_b32_e32 v64, v29
	v_and_b32_e32 v24, 0x80000000, v24
	s_delay_alu instid0(VALU_DEP_1)
	v_or3_b32 v65, v28, v24, v10
.LBB260_449:                            ;   in Loop: Header=BB260_16 Depth=1
	s_or_b32 exec_lo, exec_lo, s2
.LBB260_450:                            ;   in Loop: Header=BB260_16 Depth=1
	s_delay_alu instid0(SALU_CYCLE_1)
	s_or_b32 exec_lo, exec_lo, s24
.LBB260_451:                            ;   in Loop: Header=BB260_16 Depth=1
	s_delay_alu instid0(SALU_CYCLE_1) | instskip(SKIP_4) | instid1(VALU_DEP_1)
	s_or_b32 exec_lo, exec_lo, s23
	v_mov_b32_e32 v68, 0
	v_lshrrev_b32_e32 v24, 16, v23
	v_mov_b32_e32 v69, 0
	s_mov_b32 s2, exec_lo
	v_dual_mov_b32 v71, v69 :: v_dual_and_b32 v10, 0xff, v24
	v_mov_b32_e32 v70, v68
	s_delay_alu instid0(VALU_DEP_2)
	v_cmpx_ne_u16_e32 0, v10
	s_cbranch_execz .LBB260_459
; %bb.452:                              ;   in Loop: Header=BB260_16 Depth=1
	v_bfrev_b32_e32 v70, 1
	v_mov_b32_e32 v71, 0
	s_mov_b32 s23, exec_lo
	v_cmpx_ne_u16_e32 0x80, v10
	s_cbranch_execz .LBB260_458
; %bb.453:                              ;   in Loop: Header=BB260_16 Depth=1
	v_mov_b32_e32 v70, 0x7f800001
	v_bfe_u32 v39, v23, 16, 7
	v_mov_b32_e32 v71, 0
	s_mov_b32 s24, exec_lo
	s_delay_alu instid0(VALU_DEP_2)
	v_cmpx_ne_u32_e32 0x7f, v39
	s_cbranch_execz .LBB260_457
; %bb.454:                              ;   in Loop: Header=BB260_16 Depth=1
	v_and_b32_e32 v28, 7, v24
	v_lshrrev_b32_e32 v10, 3, v39
	s_mov_b32 s25, exec_lo
	v_cmpx_gt_u32_e32 8, v39
; %bb.455:                              ;   in Loop: Header=BB260_16 Depth=1
	s_delay_alu instid0(VALU_DEP_3) | instskip(NEXT) | instid1(VALU_DEP_1)
	v_clz_i32_u32_e32 v10, v28
	v_min_u32_e32 v10, 32, v10
	s_delay_alu instid0(VALU_DEP_1) | instskip(SKIP_1) | instid1(VALU_DEP_2)
	v_subrev_nc_u32_e32 v39, 28, v10
	v_sub_nc_u32_e32 v10, 29, v10
	v_lshlrev_b64 v[70:71], v39, v[28:29]
	s_delay_alu instid0(VALU_DEP_1)
	v_and_b32_e32 v28, 7, v70
; %bb.456:                              ;   in Loop: Header=BB260_16 Depth=1
	s_or_b32 exec_lo, exec_lo, s25
	v_lshlrev_b32_e32 v24, 24, v24
	s_delay_alu instid0(VALU_DEP_2) | instskip(SKIP_1) | instid1(VALU_DEP_3)
	v_lshlrev_b32_e32 v28, 20, v28
	v_lshl_add_u32 v10, v10, 23, 0x3c000000
	v_and_b32_e32 v24, 0x80000000, v24
	s_delay_alu instid0(VALU_DEP_1) | instskip(NEXT) | instid1(VALU_DEP_1)
	v_or3_b32 v28, v28, v24, v10
	v_dual_mov_b32 v71, v29 :: v_dual_mov_b32 v70, v28
.LBB260_457:                            ;   in Loop: Header=BB260_16 Depth=1
	s_or_b32 exec_lo, exec_lo, s24
.LBB260_458:                            ;   in Loop: Header=BB260_16 Depth=1
	s_delay_alu instid0(SALU_CYCLE_1)
	s_or_b32 exec_lo, exec_lo, s23
.LBB260_459:                            ;   in Loop: Header=BB260_16 Depth=1
	s_delay_alu instid0(SALU_CYCLE_1) | instskip(NEXT) | instid1(SALU_CYCLE_1)
	s_or_b32 exec_lo, exec_lo, s2
	s_mov_b32 s23, exec_lo
	v_cmpx_lt_u32_e32 0xffffff, v23
	s_cbranch_execz .LBB260_467
; %bb.460:                              ;   in Loop: Header=BB260_16 Depth=1
	v_lshrrev_b32_e32 v10, 24, v23
	v_dual_mov_b32 v69, s17 :: v_dual_mov_b32 v68, s16
	s_mov_b32 s24, exec_lo
	s_delay_alu instid0(VALU_DEP_2)
	v_cmpx_ne_u32_e32 0x80, v10
	s_cbranch_execz .LBB260_466
; %bb.461:                              ;   in Loop: Header=BB260_16 Depth=1
	s_mov_b32 s2, s16
	v_bfe_u32 v24, v23, 24, 7
	v_dual_mov_b32 v69, s3 :: v_dual_mov_b32 v68, s2
	s_mov_b32 s2, exec_lo
	s_delay_alu instid0(VALU_DEP_2)
	v_cmpx_ne_u32_e32 0x7f, v24
	s_cbranch_execz .LBB260_465
; %bb.462:                              ;   in Loop: Header=BB260_16 Depth=1
	v_and_b32_e32 v28, 7, v10
	v_lshrrev_b32_e32 v23, 3, v24
	s_mov_b32 s25, exec_lo
	v_cmpx_gt_u32_e32 8, v24
; %bb.463:                              ;   in Loop: Header=BB260_16 Depth=1
	s_delay_alu instid0(VALU_DEP_3) | instskip(NEXT) | instid1(VALU_DEP_1)
	v_clz_i32_u32_e32 v23, v28
	v_min_u32_e32 v23, 32, v23
	s_delay_alu instid0(VALU_DEP_1) | instskip(SKIP_1) | instid1(VALU_DEP_2)
	v_subrev_nc_u32_e32 v24, 28, v23
	v_sub_nc_u32_e32 v23, 29, v23
	v_lshlrev_b64 v[68:69], v24, v[28:29]
	s_delay_alu instid0(VALU_DEP_1)
	v_and_b32_e32 v28, 7, v68
; %bb.464:                              ;   in Loop: Header=BB260_16 Depth=1
	s_or_b32 exec_lo, exec_lo, s25
	v_lshlrev_b32_e32 v10, 24, v10
	s_delay_alu instid0(VALU_DEP_2) | instskip(SKIP_2) | instid1(VALU_DEP_4)
	v_lshlrev_b32_e32 v24, 20, v28
	v_lshl_add_u32 v23, v23, 23, 0x3c000000
	v_mov_b32_e32 v68, v29
	v_and_b32_e32 v10, 0x80000000, v10
	s_delay_alu instid0(VALU_DEP_1)
	v_or3_b32 v69, v24, v10, v23
.LBB260_465:                            ;   in Loop: Header=BB260_16 Depth=1
	s_or_b32 exec_lo, exec_lo, s2
.LBB260_466:                            ;   in Loop: Header=BB260_16 Depth=1
	s_delay_alu instid0(SALU_CYCLE_1)
	s_or_b32 exec_lo, exec_lo, s24
.LBB260_467:                            ;   in Loop: Header=BB260_16 Depth=1
	s_delay_alu instid0(SALU_CYCLE_1)
	s_or_b32 exec_lo, exec_lo, s23
	flat_load_b32 v23, v[92:93] offset:1544
	v_mov_b32_e32 v80, 0
	v_mov_b32_e32 v81, 0
	s_mov_b32 s2, exec_lo
	s_waitcnt vmcnt(0) lgkmcnt(0)
	s_delay_alu instid0(VALU_DEP_1) | instskip(SKIP_1) | instid1(VALU_DEP_2)
	v_dual_mov_b32 v83, v81 :: v_dual_and_b32 v10, 0xff, v23
	v_mov_b32_e32 v82, v80
	v_cmpx_ne_u16_e32 0, v10
	s_cbranch_execz .LBB260_475
; %bb.468:                              ;   in Loop: Header=BB260_16 Depth=1
	v_bfrev_b32_e32 v82, 1
	v_mov_b32_e32 v83, 0
	s_mov_b32 s23, exec_lo
	v_cmpx_ne_u16_e32 0x80, v10
	s_cbranch_execz .LBB260_474
; %bb.469:                              ;   in Loop: Header=BB260_16 Depth=1
	v_mov_b32_e32 v82, 0x7f800001
	v_dual_mov_b32 v83, 0 :: v_dual_and_b32 v24, 0x7f, v23
	s_mov_b32 s24, exec_lo
	s_delay_alu instid0(VALU_DEP_1)
	v_cmpx_ne_u32_e32 0x7f, v24
	s_cbranch_execz .LBB260_473
; %bb.470:                              ;   in Loop: Header=BB260_16 Depth=1
	v_and_b32_e32 v28, 7, v23
	v_lshrrev_b32_e32 v10, 3, v24
	s_mov_b32 s25, exec_lo
	v_cmpx_gt_u32_e32 8, v24
; %bb.471:                              ;   in Loop: Header=BB260_16 Depth=1
	s_delay_alu instid0(VALU_DEP_3) | instskip(NEXT) | instid1(VALU_DEP_1)
	v_clz_i32_u32_e32 v10, v28
	v_min_u32_e32 v10, 32, v10
	s_delay_alu instid0(VALU_DEP_1) | instskip(SKIP_1) | instid1(VALU_DEP_2)
	v_subrev_nc_u32_e32 v24, 28, v10
	v_sub_nc_u32_e32 v10, 29, v10
	v_lshlrev_b64 v[82:83], v24, v[28:29]
	s_delay_alu instid0(VALU_DEP_1)
	v_and_b32_e32 v28, 7, v82
; %bb.472:                              ;   in Loop: Header=BB260_16 Depth=1
	s_or_b32 exec_lo, exec_lo, s25
	v_lshlrev_b32_e32 v24, 24, v23
	s_delay_alu instid0(VALU_DEP_2) | instskip(SKIP_1) | instid1(VALU_DEP_3)
	v_lshlrev_b32_e32 v28, 20, v28
	v_lshl_add_u32 v10, v10, 23, 0x3c000000
	v_and_b32_e32 v24, 0x80000000, v24
	s_delay_alu instid0(VALU_DEP_1) | instskip(NEXT) | instid1(VALU_DEP_1)
	v_or3_b32 v28, v28, v24, v10
	v_dual_mov_b32 v83, v29 :: v_dual_mov_b32 v82, v28
.LBB260_473:                            ;   in Loop: Header=BB260_16 Depth=1
	s_or_b32 exec_lo, exec_lo, s24
.LBB260_474:                            ;   in Loop: Header=BB260_16 Depth=1
	s_delay_alu instid0(SALU_CYCLE_1)
	s_or_b32 exec_lo, exec_lo, s23
.LBB260_475:                            ;   in Loop: Header=BB260_16 Depth=1
	s_delay_alu instid0(SALU_CYCLE_1) | instskip(SKIP_2) | instid1(VALU_DEP_1)
	s_or_b32 exec_lo, exec_lo, s2
	v_lshrrev_b16 v10, 8, v23
	s_mov_b32 s23, exec_lo
	v_cmpx_ne_u16_e32 0, v10
	s_cbranch_execz .LBB260_483
; %bb.476:                              ;   in Loop: Header=BB260_16 Depth=1
	v_dual_mov_b32 v81, s17 :: v_dual_mov_b32 v80, s16
	s_mov_b32 s24, exec_lo
	v_cmpx_ne_u16_e32 0x80, v10
	s_cbranch_execz .LBB260_482
; %bb.477:                              ;   in Loop: Header=BB260_16 Depth=1
	s_mov_b32 s2, s16
	v_dual_mov_b32 v81, s3 :: v_dual_and_b32 v10, 0xffff, v10
	v_mov_b32_e32 v80, s2
	s_mov_b32 s2, exec_lo
	s_delay_alu instid0(VALU_DEP_2) | instskip(NEXT) | instid1(VALU_DEP_1)
	v_and_b32_e32 v24, 0x7f, v10
	v_cmpx_ne_u32_e32 0x7f, v24
	s_cbranch_execz .LBB260_481
; %bb.478:                              ;   in Loop: Header=BB260_16 Depth=1
	v_and_b32_e32 v28, 7, v10
	v_lshrrev_b32_e32 v10, 3, v24
	s_mov_b32 s25, exec_lo
	v_cmpx_gt_u32_e32 8, v24
; %bb.479:                              ;   in Loop: Header=BB260_16 Depth=1
	s_delay_alu instid0(VALU_DEP_3) | instskip(NEXT) | instid1(VALU_DEP_1)
	v_clz_i32_u32_e32 v10, v28
	v_min_u32_e32 v10, 32, v10
	s_delay_alu instid0(VALU_DEP_1) | instskip(SKIP_1) | instid1(VALU_DEP_2)
	v_subrev_nc_u32_e32 v24, 28, v10
	v_sub_nc_u32_e32 v10, 29, v10
	v_lshlrev_b64 v[80:81], v24, v[28:29]
	s_delay_alu instid0(VALU_DEP_1)
	v_and_b32_e32 v28, 7, v80
; %bb.480:                              ;   in Loop: Header=BB260_16 Depth=1
	s_or_b32 exec_lo, exec_lo, s25
	v_lshlrev_b32_e32 v24, 16, v23
	s_delay_alu instid0(VALU_DEP_2) | instskip(SKIP_2) | instid1(VALU_DEP_4)
	v_lshlrev_b32_e32 v28, 20, v28
	v_lshl_add_u32 v10, v10, 23, 0x3c000000
	v_mov_b32_e32 v80, v29
	v_and_b32_e32 v24, 0x80000000, v24
	s_delay_alu instid0(VALU_DEP_1)
	v_or3_b32 v81, v28, v24, v10
.LBB260_481:                            ;   in Loop: Header=BB260_16 Depth=1
	s_or_b32 exec_lo, exec_lo, s2
.LBB260_482:                            ;   in Loop: Header=BB260_16 Depth=1
	s_delay_alu instid0(SALU_CYCLE_1)
	s_or_b32 exec_lo, exec_lo, s24
.LBB260_483:                            ;   in Loop: Header=BB260_16 Depth=1
	s_delay_alu instid0(SALU_CYCLE_1) | instskip(SKIP_4) | instid1(VALU_DEP_1)
	s_or_b32 exec_lo, exec_lo, s23
	v_mov_b32_e32 v84, 0
	v_lshrrev_b32_e32 v24, 16, v23
	v_mov_b32_e32 v85, 0
	s_mov_b32 s2, exec_lo
	v_dual_mov_b32 v87, v85 :: v_dual_and_b32 v10, 0xff, v24
	v_mov_b32_e32 v86, v84
	s_delay_alu instid0(VALU_DEP_2)
	v_cmpx_ne_u16_e32 0, v10
	s_cbranch_execz .LBB260_491
; %bb.484:                              ;   in Loop: Header=BB260_16 Depth=1
	v_bfrev_b32_e32 v86, 1
	v_mov_b32_e32 v87, 0
	s_mov_b32 s23, exec_lo
	v_cmpx_ne_u16_e32 0x80, v10
	s_cbranch_execz .LBB260_490
; %bb.485:                              ;   in Loop: Header=BB260_16 Depth=1
	v_mov_b32_e32 v86, 0x7f800001
	v_bfe_u32 v39, v23, 16, 7
	v_mov_b32_e32 v87, 0
	s_mov_b32 s24, exec_lo
	s_delay_alu instid0(VALU_DEP_2)
	v_cmpx_ne_u32_e32 0x7f, v39
	s_cbranch_execz .LBB260_489
; %bb.486:                              ;   in Loop: Header=BB260_16 Depth=1
	v_and_b32_e32 v28, 7, v24
	v_lshrrev_b32_e32 v10, 3, v39
	s_mov_b32 s25, exec_lo
	v_cmpx_gt_u32_e32 8, v39
; %bb.487:                              ;   in Loop: Header=BB260_16 Depth=1
	s_delay_alu instid0(VALU_DEP_3) | instskip(NEXT) | instid1(VALU_DEP_1)
	v_clz_i32_u32_e32 v10, v28
	v_min_u32_e32 v10, 32, v10
	s_delay_alu instid0(VALU_DEP_1) | instskip(SKIP_1) | instid1(VALU_DEP_2)
	v_subrev_nc_u32_e32 v39, 28, v10
	v_sub_nc_u32_e32 v10, 29, v10
	v_lshlrev_b64 v[86:87], v39, v[28:29]
	s_delay_alu instid0(VALU_DEP_1)
	v_and_b32_e32 v28, 7, v86
; %bb.488:                              ;   in Loop: Header=BB260_16 Depth=1
	s_or_b32 exec_lo, exec_lo, s25
	v_lshlrev_b32_e32 v24, 24, v24
	s_delay_alu instid0(VALU_DEP_2) | instskip(SKIP_1) | instid1(VALU_DEP_3)
	v_lshlrev_b32_e32 v28, 20, v28
	v_lshl_add_u32 v10, v10, 23, 0x3c000000
	v_and_b32_e32 v24, 0x80000000, v24
	s_delay_alu instid0(VALU_DEP_1) | instskip(NEXT) | instid1(VALU_DEP_1)
	v_or3_b32 v28, v28, v24, v10
	v_dual_mov_b32 v87, v29 :: v_dual_mov_b32 v86, v28
.LBB260_489:                            ;   in Loop: Header=BB260_16 Depth=1
	s_or_b32 exec_lo, exec_lo, s24
.LBB260_490:                            ;   in Loop: Header=BB260_16 Depth=1
	s_delay_alu instid0(SALU_CYCLE_1)
	s_or_b32 exec_lo, exec_lo, s23
.LBB260_491:                            ;   in Loop: Header=BB260_16 Depth=1
	s_delay_alu instid0(SALU_CYCLE_1) | instskip(NEXT) | instid1(SALU_CYCLE_1)
	s_or_b32 exec_lo, exec_lo, s2
	s_mov_b32 s23, exec_lo
	v_cmpx_lt_u32_e32 0xffffff, v23
	s_cbranch_execz .LBB260_499
; %bb.492:                              ;   in Loop: Header=BB260_16 Depth=1
	v_lshrrev_b32_e32 v10, 24, v23
	v_dual_mov_b32 v85, s17 :: v_dual_mov_b32 v84, s16
	s_mov_b32 s24, exec_lo
	s_delay_alu instid0(VALU_DEP_2)
	v_cmpx_ne_u32_e32 0x80, v10
	s_cbranch_execz .LBB260_498
; %bb.493:                              ;   in Loop: Header=BB260_16 Depth=1
	s_mov_b32 s2, s16
	v_bfe_u32 v24, v23, 24, 7
	v_dual_mov_b32 v85, s3 :: v_dual_mov_b32 v84, s2
	s_mov_b32 s2, exec_lo
	s_delay_alu instid0(VALU_DEP_2)
	v_cmpx_ne_u32_e32 0x7f, v24
	s_cbranch_execz .LBB260_497
; %bb.494:                              ;   in Loop: Header=BB260_16 Depth=1
	v_and_b32_e32 v28, 7, v10
	v_lshrrev_b32_e32 v23, 3, v24
	s_mov_b32 s25, exec_lo
	v_cmpx_gt_u32_e32 8, v24
; %bb.495:                              ;   in Loop: Header=BB260_16 Depth=1
	s_delay_alu instid0(VALU_DEP_3) | instskip(NEXT) | instid1(VALU_DEP_1)
	v_clz_i32_u32_e32 v23, v28
	v_min_u32_e32 v23, 32, v23
	s_delay_alu instid0(VALU_DEP_1) | instskip(SKIP_1) | instid1(VALU_DEP_2)
	v_subrev_nc_u32_e32 v24, 28, v23
	v_sub_nc_u32_e32 v23, 29, v23
	v_lshlrev_b64 v[84:85], v24, v[28:29]
	s_delay_alu instid0(VALU_DEP_1)
	v_and_b32_e32 v28, 7, v84
; %bb.496:                              ;   in Loop: Header=BB260_16 Depth=1
	s_or_b32 exec_lo, exec_lo, s25
	v_lshlrev_b32_e32 v10, 24, v10
	s_delay_alu instid0(VALU_DEP_2) | instskip(SKIP_2) | instid1(VALU_DEP_4)
	v_lshlrev_b32_e32 v24, 20, v28
	v_lshl_add_u32 v23, v23, 23, 0x3c000000
	v_mov_b32_e32 v84, v29
	v_and_b32_e32 v10, 0x80000000, v10
	s_delay_alu instid0(VALU_DEP_1)
	v_or3_b32 v85, v24, v10, v23
.LBB260_497:                            ;   in Loop: Header=BB260_16 Depth=1
	s_or_b32 exec_lo, exec_lo, s2
.LBB260_498:                            ;   in Loop: Header=BB260_16 Depth=1
	s_delay_alu instid0(SALU_CYCLE_1)
	s_or_b32 exec_lo, exec_lo, s24
.LBB260_499:                            ;   in Loop: Header=BB260_16 Depth=1
	s_delay_alu instid0(SALU_CYCLE_1)
	s_or_b32 exec_lo, exec_lo, s23
	flat_load_b32 v23, v[92:93] offset:1548
	v_mov_b32_e32 v96, 0
	v_mov_b32_e32 v97, 0
	s_mov_b32 s2, exec_lo
	s_waitcnt vmcnt(0) lgkmcnt(0)
	s_delay_alu instid0(VALU_DEP_1) | instskip(SKIP_1) | instid1(VALU_DEP_2)
	v_dual_mov_b32 v99, v97 :: v_dual_and_b32 v10, 0xff, v23
	v_mov_b32_e32 v98, v96
	v_cmpx_ne_u16_e32 0, v10
	s_cbranch_execz .LBB260_507
; %bb.500:                              ;   in Loop: Header=BB260_16 Depth=1
	v_bfrev_b32_e32 v98, 1
	v_mov_b32_e32 v99, 0
	s_mov_b32 s23, exec_lo
	v_cmpx_ne_u16_e32 0x80, v10
	s_cbranch_execz .LBB260_506
; %bb.501:                              ;   in Loop: Header=BB260_16 Depth=1
	v_mov_b32_e32 v98, 0x7f800001
	v_dual_mov_b32 v99, 0 :: v_dual_and_b32 v24, 0x7f, v23
	s_mov_b32 s24, exec_lo
	s_delay_alu instid0(VALU_DEP_1)
	v_cmpx_ne_u32_e32 0x7f, v24
	s_cbranch_execz .LBB260_505
; %bb.502:                              ;   in Loop: Header=BB260_16 Depth=1
	v_and_b32_e32 v28, 7, v23
	v_lshrrev_b32_e32 v10, 3, v24
	s_mov_b32 s25, exec_lo
	v_cmpx_gt_u32_e32 8, v24
; %bb.503:                              ;   in Loop: Header=BB260_16 Depth=1
	s_delay_alu instid0(VALU_DEP_3) | instskip(NEXT) | instid1(VALU_DEP_1)
	v_clz_i32_u32_e32 v10, v28
	v_min_u32_e32 v10, 32, v10
	s_delay_alu instid0(VALU_DEP_1) | instskip(SKIP_1) | instid1(VALU_DEP_2)
	v_subrev_nc_u32_e32 v24, 28, v10
	v_sub_nc_u32_e32 v10, 29, v10
	v_lshlrev_b64 v[98:99], v24, v[28:29]
	s_delay_alu instid0(VALU_DEP_1)
	v_and_b32_e32 v28, 7, v98
; %bb.504:                              ;   in Loop: Header=BB260_16 Depth=1
	s_or_b32 exec_lo, exec_lo, s25
	v_lshlrev_b32_e32 v24, 24, v23
	s_delay_alu instid0(VALU_DEP_2) | instskip(SKIP_1) | instid1(VALU_DEP_3)
	v_lshlrev_b32_e32 v28, 20, v28
	v_lshl_add_u32 v10, v10, 23, 0x3c000000
	v_and_b32_e32 v24, 0x80000000, v24
	s_delay_alu instid0(VALU_DEP_1) | instskip(NEXT) | instid1(VALU_DEP_1)
	v_or3_b32 v28, v28, v24, v10
	v_dual_mov_b32 v99, v29 :: v_dual_mov_b32 v98, v28
.LBB260_505:                            ;   in Loop: Header=BB260_16 Depth=1
	s_or_b32 exec_lo, exec_lo, s24
.LBB260_506:                            ;   in Loop: Header=BB260_16 Depth=1
	s_delay_alu instid0(SALU_CYCLE_1)
	s_or_b32 exec_lo, exec_lo, s23
.LBB260_507:                            ;   in Loop: Header=BB260_16 Depth=1
	s_delay_alu instid0(SALU_CYCLE_1) | instskip(SKIP_2) | instid1(VALU_DEP_1)
	s_or_b32 exec_lo, exec_lo, s2
	v_lshrrev_b16 v10, 8, v23
	s_mov_b32 s23, exec_lo
	v_cmpx_ne_u16_e32 0, v10
	s_cbranch_execz .LBB260_515
; %bb.508:                              ;   in Loop: Header=BB260_16 Depth=1
	v_dual_mov_b32 v97, s17 :: v_dual_mov_b32 v96, s16
	s_mov_b32 s24, exec_lo
	v_cmpx_ne_u16_e32 0x80, v10
	s_cbranch_execz .LBB260_514
; %bb.509:                              ;   in Loop: Header=BB260_16 Depth=1
	s_mov_b32 s2, s16
	v_dual_mov_b32 v97, s3 :: v_dual_and_b32 v10, 0xffff, v10
	v_mov_b32_e32 v96, s2
	s_mov_b32 s2, exec_lo
	s_delay_alu instid0(VALU_DEP_2) | instskip(NEXT) | instid1(VALU_DEP_1)
	v_and_b32_e32 v24, 0x7f, v10
	v_cmpx_ne_u32_e32 0x7f, v24
	s_cbranch_execz .LBB260_513
; %bb.510:                              ;   in Loop: Header=BB260_16 Depth=1
	v_and_b32_e32 v28, 7, v10
	v_lshrrev_b32_e32 v10, 3, v24
	s_mov_b32 s25, exec_lo
	v_cmpx_gt_u32_e32 8, v24
; %bb.511:                              ;   in Loop: Header=BB260_16 Depth=1
	s_delay_alu instid0(VALU_DEP_3) | instskip(NEXT) | instid1(VALU_DEP_1)
	v_clz_i32_u32_e32 v10, v28
	v_min_u32_e32 v10, 32, v10
	s_delay_alu instid0(VALU_DEP_1) | instskip(SKIP_1) | instid1(VALU_DEP_2)
	v_subrev_nc_u32_e32 v24, 28, v10
	v_sub_nc_u32_e32 v10, 29, v10
	v_lshlrev_b64 v[96:97], v24, v[28:29]
	s_delay_alu instid0(VALU_DEP_1)
	v_and_b32_e32 v28, 7, v96
; %bb.512:                              ;   in Loop: Header=BB260_16 Depth=1
	s_or_b32 exec_lo, exec_lo, s25
	v_lshlrev_b32_e32 v24, 16, v23
	s_delay_alu instid0(VALU_DEP_2) | instskip(SKIP_2) | instid1(VALU_DEP_4)
	v_lshlrev_b32_e32 v28, 20, v28
	v_lshl_add_u32 v10, v10, 23, 0x3c000000
	v_mov_b32_e32 v96, v29
	v_and_b32_e32 v24, 0x80000000, v24
	s_delay_alu instid0(VALU_DEP_1)
	v_or3_b32 v97, v28, v24, v10
.LBB260_513:                            ;   in Loop: Header=BB260_16 Depth=1
	s_or_b32 exec_lo, exec_lo, s2
.LBB260_514:                            ;   in Loop: Header=BB260_16 Depth=1
	s_delay_alu instid0(SALU_CYCLE_1)
	s_or_b32 exec_lo, exec_lo, s24
.LBB260_515:                            ;   in Loop: Header=BB260_16 Depth=1
	s_delay_alu instid0(SALU_CYCLE_1) | instskip(SKIP_4) | instid1(VALU_DEP_1)
	s_or_b32 exec_lo, exec_lo, s23
	v_mov_b32_e32 v100, 0
	v_lshrrev_b32_e32 v24, 16, v23
	v_mov_b32_e32 v101, 0
	s_mov_b32 s2, exec_lo
	v_dual_mov_b32 v103, v101 :: v_dual_and_b32 v10, 0xff, v24
	v_mov_b32_e32 v102, v100
	s_delay_alu instid0(VALU_DEP_2)
	v_cmpx_ne_u16_e32 0, v10
	s_cbranch_execz .LBB260_523
; %bb.516:                              ;   in Loop: Header=BB260_16 Depth=1
	v_bfrev_b32_e32 v102, 1
	v_mov_b32_e32 v103, 0
	s_mov_b32 s23, exec_lo
	v_cmpx_ne_u16_e32 0x80, v10
	s_cbranch_execz .LBB260_522
; %bb.517:                              ;   in Loop: Header=BB260_16 Depth=1
	v_mov_b32_e32 v102, 0x7f800001
	v_bfe_u32 v39, v23, 16, 7
	v_mov_b32_e32 v103, 0
	s_mov_b32 s24, exec_lo
	s_delay_alu instid0(VALU_DEP_2)
	v_cmpx_ne_u32_e32 0x7f, v39
	s_cbranch_execz .LBB260_521
; %bb.518:                              ;   in Loop: Header=BB260_16 Depth=1
	v_and_b32_e32 v28, 7, v24
	v_lshrrev_b32_e32 v10, 3, v39
	s_mov_b32 s25, exec_lo
	v_cmpx_gt_u32_e32 8, v39
; %bb.519:                              ;   in Loop: Header=BB260_16 Depth=1
	s_delay_alu instid0(VALU_DEP_3) | instskip(NEXT) | instid1(VALU_DEP_1)
	v_clz_i32_u32_e32 v10, v28
	v_min_u32_e32 v10, 32, v10
	s_delay_alu instid0(VALU_DEP_1) | instskip(SKIP_1) | instid1(VALU_DEP_2)
	v_subrev_nc_u32_e32 v39, 28, v10
	v_sub_nc_u32_e32 v10, 29, v10
	v_lshlrev_b64 v[102:103], v39, v[28:29]
	s_delay_alu instid0(VALU_DEP_1)
	v_and_b32_e32 v28, 7, v102
; %bb.520:                              ;   in Loop: Header=BB260_16 Depth=1
	s_or_b32 exec_lo, exec_lo, s25
	v_lshlrev_b32_e32 v24, 24, v24
	s_delay_alu instid0(VALU_DEP_2) | instskip(SKIP_1) | instid1(VALU_DEP_3)
	v_lshlrev_b32_e32 v28, 20, v28
	v_lshl_add_u32 v10, v10, 23, 0x3c000000
	v_and_b32_e32 v24, 0x80000000, v24
	s_delay_alu instid0(VALU_DEP_1) | instskip(NEXT) | instid1(VALU_DEP_1)
	v_or3_b32 v28, v28, v24, v10
	v_dual_mov_b32 v103, v29 :: v_dual_mov_b32 v102, v28
.LBB260_521:                            ;   in Loop: Header=BB260_16 Depth=1
	s_or_b32 exec_lo, exec_lo, s24
.LBB260_522:                            ;   in Loop: Header=BB260_16 Depth=1
	s_delay_alu instid0(SALU_CYCLE_1)
	s_or_b32 exec_lo, exec_lo, s23
.LBB260_523:                            ;   in Loop: Header=BB260_16 Depth=1
	s_delay_alu instid0(SALU_CYCLE_1) | instskip(NEXT) | instid1(SALU_CYCLE_1)
	s_or_b32 exec_lo, exec_lo, s2
	s_mov_b32 s23, exec_lo
	v_cmpx_lt_u32_e32 0xffffff, v23
	s_cbranch_execz .LBB260_531
; %bb.524:                              ;   in Loop: Header=BB260_16 Depth=1
	v_lshrrev_b32_e32 v10, 24, v23
	v_dual_mov_b32 v101, s17 :: v_dual_mov_b32 v100, s16
	s_mov_b32 s24, exec_lo
	s_delay_alu instid0(VALU_DEP_2)
	v_cmpx_ne_u32_e32 0x80, v10
	s_cbranch_execz .LBB260_530
; %bb.525:                              ;   in Loop: Header=BB260_16 Depth=1
	s_mov_b32 s2, s16
	v_bfe_u32 v24, v23, 24, 7
	v_dual_mov_b32 v101, s3 :: v_dual_mov_b32 v100, s2
	s_mov_b32 s2, exec_lo
	s_delay_alu instid0(VALU_DEP_2)
	v_cmpx_ne_u32_e32 0x7f, v24
	s_cbranch_execz .LBB260_529
; %bb.526:                              ;   in Loop: Header=BB260_16 Depth=1
	v_and_b32_e32 v28, 7, v10
	v_lshrrev_b32_e32 v23, 3, v24
	s_mov_b32 s25, exec_lo
	v_cmpx_gt_u32_e32 8, v24
; %bb.527:                              ;   in Loop: Header=BB260_16 Depth=1
	s_delay_alu instid0(VALU_DEP_3) | instskip(NEXT) | instid1(VALU_DEP_1)
	v_clz_i32_u32_e32 v23, v28
	v_min_u32_e32 v23, 32, v23
	s_delay_alu instid0(VALU_DEP_1) | instskip(SKIP_1) | instid1(VALU_DEP_2)
	v_subrev_nc_u32_e32 v24, 28, v23
	v_sub_nc_u32_e32 v23, 29, v23
	v_lshlrev_b64 v[100:101], v24, v[28:29]
	s_delay_alu instid0(VALU_DEP_1)
	v_and_b32_e32 v28, 7, v100
; %bb.528:                              ;   in Loop: Header=BB260_16 Depth=1
	s_or_b32 exec_lo, exec_lo, s25
	v_lshlrev_b32_e32 v10, 24, v10
	s_delay_alu instid0(VALU_DEP_2) | instskip(SKIP_2) | instid1(VALU_DEP_4)
	v_lshlrev_b32_e32 v24, 20, v28
	v_lshl_add_u32 v23, v23, 23, 0x3c000000
	v_mov_b32_e32 v100, v29
	v_and_b32_e32 v10, 0x80000000, v10
	s_delay_alu instid0(VALU_DEP_1)
	v_or3_b32 v101, v24, v10, v23
.LBB260_529:                            ;   in Loop: Header=BB260_16 Depth=1
	s_or_b32 exec_lo, exec_lo, s2
.LBB260_530:                            ;   in Loop: Header=BB260_16 Depth=1
	s_delay_alu instid0(SALU_CYCLE_1)
	s_or_b32 exec_lo, exec_lo, s24
.LBB260_531:                            ;   in Loop: Header=BB260_16 Depth=1
	s_delay_alu instid0(SALU_CYCLE_1)
	s_or_b32 exec_lo, exec_lo, s23
	flat_load_b32 v23, v[92:93] offset:2048
	v_mov_b32_e32 v112, 0
	v_mov_b32_e32 v113, 0
	s_mov_b32 s2, exec_lo
	s_waitcnt vmcnt(0) lgkmcnt(0)
	s_delay_alu instid0(VALU_DEP_1) | instskip(SKIP_1) | instid1(VALU_DEP_2)
	v_dual_mov_b32 v115, v113 :: v_dual_and_b32 v10, 0xff, v23
	v_mov_b32_e32 v114, v112
	v_cmpx_ne_u16_e32 0, v10
	s_cbranch_execz .LBB260_539
; %bb.532:                              ;   in Loop: Header=BB260_16 Depth=1
	v_bfrev_b32_e32 v114, 1
	v_mov_b32_e32 v115, 0
	s_mov_b32 s23, exec_lo
	v_cmpx_ne_u16_e32 0x80, v10
	s_cbranch_execz .LBB260_538
; %bb.533:                              ;   in Loop: Header=BB260_16 Depth=1
	v_mov_b32_e32 v114, 0x7f800001
	v_dual_mov_b32 v115, 0 :: v_dual_and_b32 v24, 0x7f, v23
	s_mov_b32 s24, exec_lo
	s_delay_alu instid0(VALU_DEP_1)
	v_cmpx_ne_u32_e32 0x7f, v24
	s_cbranch_execz .LBB260_537
; %bb.534:                              ;   in Loop: Header=BB260_16 Depth=1
	v_and_b32_e32 v28, 7, v23
	v_lshrrev_b32_e32 v10, 3, v24
	s_mov_b32 s25, exec_lo
	v_cmpx_gt_u32_e32 8, v24
; %bb.535:                              ;   in Loop: Header=BB260_16 Depth=1
	s_delay_alu instid0(VALU_DEP_3) | instskip(NEXT) | instid1(VALU_DEP_1)
	v_clz_i32_u32_e32 v10, v28
	v_min_u32_e32 v10, 32, v10
	s_delay_alu instid0(VALU_DEP_1) | instskip(SKIP_1) | instid1(VALU_DEP_2)
	v_subrev_nc_u32_e32 v24, 28, v10
	v_sub_nc_u32_e32 v10, 29, v10
	v_lshlrev_b64 v[114:115], v24, v[28:29]
	s_delay_alu instid0(VALU_DEP_1)
	v_and_b32_e32 v28, 7, v114
; %bb.536:                              ;   in Loop: Header=BB260_16 Depth=1
	s_or_b32 exec_lo, exec_lo, s25
	v_lshlrev_b32_e32 v24, 24, v23
	s_delay_alu instid0(VALU_DEP_2) | instskip(SKIP_1) | instid1(VALU_DEP_3)
	v_lshlrev_b32_e32 v28, 20, v28
	v_lshl_add_u32 v10, v10, 23, 0x3c000000
	v_and_b32_e32 v24, 0x80000000, v24
	s_delay_alu instid0(VALU_DEP_1) | instskip(NEXT) | instid1(VALU_DEP_1)
	v_or3_b32 v28, v28, v24, v10
	v_dual_mov_b32 v115, v29 :: v_dual_mov_b32 v114, v28
.LBB260_537:                            ;   in Loop: Header=BB260_16 Depth=1
	s_or_b32 exec_lo, exec_lo, s24
.LBB260_538:                            ;   in Loop: Header=BB260_16 Depth=1
	s_delay_alu instid0(SALU_CYCLE_1)
	s_or_b32 exec_lo, exec_lo, s23
.LBB260_539:                            ;   in Loop: Header=BB260_16 Depth=1
	s_delay_alu instid0(SALU_CYCLE_1) | instskip(SKIP_2) | instid1(VALU_DEP_1)
	s_or_b32 exec_lo, exec_lo, s2
	v_lshrrev_b16 v10, 8, v23
	s_mov_b32 s23, exec_lo
	v_cmpx_ne_u16_e32 0, v10
	s_cbranch_execz .LBB260_547
; %bb.540:                              ;   in Loop: Header=BB260_16 Depth=1
	v_dual_mov_b32 v113, s17 :: v_dual_mov_b32 v112, s16
	s_mov_b32 s24, exec_lo
	v_cmpx_ne_u16_e32 0x80, v10
	s_cbranch_execz .LBB260_546
; %bb.541:                              ;   in Loop: Header=BB260_16 Depth=1
	s_mov_b32 s2, s16
	v_dual_mov_b32 v113, s3 :: v_dual_and_b32 v10, 0xffff, v10
	v_mov_b32_e32 v112, s2
	s_mov_b32 s2, exec_lo
	s_delay_alu instid0(VALU_DEP_2) | instskip(NEXT) | instid1(VALU_DEP_1)
	v_and_b32_e32 v24, 0x7f, v10
	v_cmpx_ne_u32_e32 0x7f, v24
	s_cbranch_execz .LBB260_545
; %bb.542:                              ;   in Loop: Header=BB260_16 Depth=1
	v_and_b32_e32 v28, 7, v10
	v_lshrrev_b32_e32 v10, 3, v24
	s_mov_b32 s25, exec_lo
	v_cmpx_gt_u32_e32 8, v24
; %bb.543:                              ;   in Loop: Header=BB260_16 Depth=1
	s_delay_alu instid0(VALU_DEP_3) | instskip(NEXT) | instid1(VALU_DEP_1)
	v_clz_i32_u32_e32 v10, v28
	v_min_u32_e32 v10, 32, v10
	s_delay_alu instid0(VALU_DEP_1) | instskip(SKIP_1) | instid1(VALU_DEP_2)
	v_subrev_nc_u32_e32 v24, 28, v10
	v_sub_nc_u32_e32 v10, 29, v10
	v_lshlrev_b64 v[112:113], v24, v[28:29]
	s_delay_alu instid0(VALU_DEP_1)
	v_and_b32_e32 v28, 7, v112
; %bb.544:                              ;   in Loop: Header=BB260_16 Depth=1
	s_or_b32 exec_lo, exec_lo, s25
	v_lshlrev_b32_e32 v24, 16, v23
	s_delay_alu instid0(VALU_DEP_2) | instskip(SKIP_2) | instid1(VALU_DEP_4)
	v_lshlrev_b32_e32 v28, 20, v28
	v_lshl_add_u32 v10, v10, 23, 0x3c000000
	v_mov_b32_e32 v112, v29
	v_and_b32_e32 v24, 0x80000000, v24
	s_delay_alu instid0(VALU_DEP_1)
	v_or3_b32 v113, v28, v24, v10
.LBB260_545:                            ;   in Loop: Header=BB260_16 Depth=1
	s_or_b32 exec_lo, exec_lo, s2
.LBB260_546:                            ;   in Loop: Header=BB260_16 Depth=1
	s_delay_alu instid0(SALU_CYCLE_1)
	s_or_b32 exec_lo, exec_lo, s24
.LBB260_547:                            ;   in Loop: Header=BB260_16 Depth=1
	s_delay_alu instid0(SALU_CYCLE_1) | instskip(SKIP_4) | instid1(VALU_DEP_1)
	s_or_b32 exec_lo, exec_lo, s23
	v_mov_b32_e32 v116, 0
	v_lshrrev_b32_e32 v24, 16, v23
	v_mov_b32_e32 v117, 0
	s_mov_b32 s2, exec_lo
	v_dual_mov_b32 v119, v117 :: v_dual_and_b32 v10, 0xff, v24
	v_mov_b32_e32 v118, v116
	s_delay_alu instid0(VALU_DEP_2)
	v_cmpx_ne_u16_e32 0, v10
	s_cbranch_execz .LBB260_555
; %bb.548:                              ;   in Loop: Header=BB260_16 Depth=1
	v_bfrev_b32_e32 v118, 1
	v_mov_b32_e32 v119, 0
	s_mov_b32 s23, exec_lo
	v_cmpx_ne_u16_e32 0x80, v10
	s_cbranch_execz .LBB260_554
; %bb.549:                              ;   in Loop: Header=BB260_16 Depth=1
	v_mov_b32_e32 v118, 0x7f800001
	v_bfe_u32 v39, v23, 16, 7
	v_mov_b32_e32 v119, 0
	s_mov_b32 s24, exec_lo
	s_delay_alu instid0(VALU_DEP_2)
	v_cmpx_ne_u32_e32 0x7f, v39
	s_cbranch_execz .LBB260_553
; %bb.550:                              ;   in Loop: Header=BB260_16 Depth=1
	v_and_b32_e32 v28, 7, v24
	v_lshrrev_b32_e32 v10, 3, v39
	s_mov_b32 s25, exec_lo
	v_cmpx_gt_u32_e32 8, v39
; %bb.551:                              ;   in Loop: Header=BB260_16 Depth=1
	s_delay_alu instid0(VALU_DEP_3) | instskip(NEXT) | instid1(VALU_DEP_1)
	v_clz_i32_u32_e32 v10, v28
	v_min_u32_e32 v10, 32, v10
	s_delay_alu instid0(VALU_DEP_1) | instskip(SKIP_1) | instid1(VALU_DEP_2)
	v_subrev_nc_u32_e32 v39, 28, v10
	v_sub_nc_u32_e32 v10, 29, v10
	v_lshlrev_b64 v[118:119], v39, v[28:29]
	s_delay_alu instid0(VALU_DEP_1)
	v_and_b32_e32 v28, 7, v118
; %bb.552:                              ;   in Loop: Header=BB260_16 Depth=1
	s_or_b32 exec_lo, exec_lo, s25
	v_lshlrev_b32_e32 v24, 24, v24
	s_delay_alu instid0(VALU_DEP_2) | instskip(SKIP_1) | instid1(VALU_DEP_3)
	v_lshlrev_b32_e32 v28, 20, v28
	v_lshl_add_u32 v10, v10, 23, 0x3c000000
	v_and_b32_e32 v24, 0x80000000, v24
	s_delay_alu instid0(VALU_DEP_1) | instskip(NEXT) | instid1(VALU_DEP_1)
	v_or3_b32 v28, v28, v24, v10
	v_dual_mov_b32 v119, v29 :: v_dual_mov_b32 v118, v28
.LBB260_553:                            ;   in Loop: Header=BB260_16 Depth=1
	s_or_b32 exec_lo, exec_lo, s24
.LBB260_554:                            ;   in Loop: Header=BB260_16 Depth=1
	s_delay_alu instid0(SALU_CYCLE_1)
	s_or_b32 exec_lo, exec_lo, s23
.LBB260_555:                            ;   in Loop: Header=BB260_16 Depth=1
	s_delay_alu instid0(SALU_CYCLE_1) | instskip(NEXT) | instid1(SALU_CYCLE_1)
	s_or_b32 exec_lo, exec_lo, s2
	s_mov_b32 s23, exec_lo
	v_cmpx_lt_u32_e32 0xffffff, v23
	s_cbranch_execz .LBB260_563
; %bb.556:                              ;   in Loop: Header=BB260_16 Depth=1
	v_lshrrev_b32_e32 v10, 24, v23
	v_dual_mov_b32 v117, s17 :: v_dual_mov_b32 v116, s16
	s_mov_b32 s24, exec_lo
	s_delay_alu instid0(VALU_DEP_2)
	v_cmpx_ne_u32_e32 0x80, v10
	s_cbranch_execz .LBB260_562
; %bb.557:                              ;   in Loop: Header=BB260_16 Depth=1
	s_mov_b32 s2, s16
	v_bfe_u32 v24, v23, 24, 7
	v_dual_mov_b32 v117, s3 :: v_dual_mov_b32 v116, s2
	s_mov_b32 s2, exec_lo
	s_delay_alu instid0(VALU_DEP_2)
	v_cmpx_ne_u32_e32 0x7f, v24
	s_cbranch_execz .LBB260_561
; %bb.558:                              ;   in Loop: Header=BB260_16 Depth=1
	v_and_b32_e32 v28, 7, v10
	v_lshrrev_b32_e32 v23, 3, v24
	s_mov_b32 s25, exec_lo
	v_cmpx_gt_u32_e32 8, v24
; %bb.559:                              ;   in Loop: Header=BB260_16 Depth=1
	s_delay_alu instid0(VALU_DEP_3) | instskip(NEXT) | instid1(VALU_DEP_1)
	v_clz_i32_u32_e32 v23, v28
	v_min_u32_e32 v23, 32, v23
	s_delay_alu instid0(VALU_DEP_1) | instskip(SKIP_1) | instid1(VALU_DEP_2)
	v_subrev_nc_u32_e32 v24, 28, v23
	v_sub_nc_u32_e32 v23, 29, v23
	v_lshlrev_b64 v[116:117], v24, v[28:29]
	s_delay_alu instid0(VALU_DEP_1)
	v_and_b32_e32 v28, 7, v116
; %bb.560:                              ;   in Loop: Header=BB260_16 Depth=1
	s_or_b32 exec_lo, exec_lo, s25
	v_lshlrev_b32_e32 v10, 24, v10
	s_delay_alu instid0(VALU_DEP_2) | instskip(SKIP_2) | instid1(VALU_DEP_4)
	v_lshlrev_b32_e32 v24, 20, v28
	v_lshl_add_u32 v23, v23, 23, 0x3c000000
	v_mov_b32_e32 v116, v29
	v_and_b32_e32 v10, 0x80000000, v10
	s_delay_alu instid0(VALU_DEP_1)
	v_or3_b32 v117, v24, v10, v23
.LBB260_561:                            ;   in Loop: Header=BB260_16 Depth=1
	s_or_b32 exec_lo, exec_lo, s2
.LBB260_562:                            ;   in Loop: Header=BB260_16 Depth=1
	s_delay_alu instid0(SALU_CYCLE_1)
	s_or_b32 exec_lo, exec_lo, s24
.LBB260_563:                            ;   in Loop: Header=BB260_16 Depth=1
	s_delay_alu instid0(SALU_CYCLE_1)
	s_or_b32 exec_lo, exec_lo, s23
	flat_load_b32 v23, v[92:93] offset:2052
	v_mov_b32_e32 v128, 0
	v_mov_b32_e32 v129, 0
	s_mov_b32 s2, exec_lo
	s_waitcnt vmcnt(0) lgkmcnt(0)
	s_delay_alu instid0(VALU_DEP_1) | instskip(SKIP_1) | instid1(VALU_DEP_2)
	v_dual_mov_b32 v131, v129 :: v_dual_and_b32 v10, 0xff, v23
	v_mov_b32_e32 v130, v128
	v_cmpx_ne_u16_e32 0, v10
	s_cbranch_execz .LBB260_571
; %bb.564:                              ;   in Loop: Header=BB260_16 Depth=1
	v_bfrev_b32_e32 v130, 1
	v_mov_b32_e32 v131, 0
	s_mov_b32 s23, exec_lo
	v_cmpx_ne_u16_e32 0x80, v10
	s_cbranch_execz .LBB260_570
; %bb.565:                              ;   in Loop: Header=BB260_16 Depth=1
	v_mov_b32_e32 v130, 0x7f800001
	v_dual_mov_b32 v131, 0 :: v_dual_and_b32 v24, 0x7f, v23
	s_mov_b32 s24, exec_lo
	s_delay_alu instid0(VALU_DEP_1)
	v_cmpx_ne_u32_e32 0x7f, v24
	s_cbranch_execz .LBB260_569
; %bb.566:                              ;   in Loop: Header=BB260_16 Depth=1
	v_and_b32_e32 v28, 7, v23
	v_lshrrev_b32_e32 v10, 3, v24
	s_mov_b32 s25, exec_lo
	v_cmpx_gt_u32_e32 8, v24
; %bb.567:                              ;   in Loop: Header=BB260_16 Depth=1
	s_delay_alu instid0(VALU_DEP_3) | instskip(NEXT) | instid1(VALU_DEP_1)
	v_clz_i32_u32_e32 v10, v28
	v_min_u32_e32 v10, 32, v10
	s_delay_alu instid0(VALU_DEP_1) | instskip(SKIP_1) | instid1(VALU_DEP_2)
	v_subrev_nc_u32_e32 v24, 28, v10
	v_sub_nc_u32_e32 v10, 29, v10
	v_lshlrev_b64 v[130:131], v24, v[28:29]
	s_delay_alu instid0(VALU_DEP_1)
	v_and_b32_e32 v28, 7, v130
; %bb.568:                              ;   in Loop: Header=BB260_16 Depth=1
	s_or_b32 exec_lo, exec_lo, s25
	v_lshlrev_b32_e32 v24, 24, v23
	s_delay_alu instid0(VALU_DEP_2) | instskip(SKIP_1) | instid1(VALU_DEP_3)
	v_lshlrev_b32_e32 v28, 20, v28
	v_lshl_add_u32 v10, v10, 23, 0x3c000000
	v_and_b32_e32 v24, 0x80000000, v24
	s_delay_alu instid0(VALU_DEP_1) | instskip(NEXT) | instid1(VALU_DEP_1)
	v_or3_b32 v28, v28, v24, v10
	v_dual_mov_b32 v131, v29 :: v_dual_mov_b32 v130, v28
.LBB260_569:                            ;   in Loop: Header=BB260_16 Depth=1
	s_or_b32 exec_lo, exec_lo, s24
.LBB260_570:                            ;   in Loop: Header=BB260_16 Depth=1
	s_delay_alu instid0(SALU_CYCLE_1)
	s_or_b32 exec_lo, exec_lo, s23
.LBB260_571:                            ;   in Loop: Header=BB260_16 Depth=1
	s_delay_alu instid0(SALU_CYCLE_1) | instskip(SKIP_2) | instid1(VALU_DEP_1)
	s_or_b32 exec_lo, exec_lo, s2
	v_lshrrev_b16 v10, 8, v23
	s_mov_b32 s23, exec_lo
	v_cmpx_ne_u16_e32 0, v10
	s_cbranch_execz .LBB260_579
; %bb.572:                              ;   in Loop: Header=BB260_16 Depth=1
	v_dual_mov_b32 v129, s17 :: v_dual_mov_b32 v128, s16
	s_mov_b32 s24, exec_lo
	v_cmpx_ne_u16_e32 0x80, v10
	s_cbranch_execz .LBB260_578
; %bb.573:                              ;   in Loop: Header=BB260_16 Depth=1
	s_mov_b32 s2, s16
	v_dual_mov_b32 v129, s3 :: v_dual_and_b32 v10, 0xffff, v10
	v_mov_b32_e32 v128, s2
	s_mov_b32 s2, exec_lo
	s_delay_alu instid0(VALU_DEP_2) | instskip(NEXT) | instid1(VALU_DEP_1)
	v_and_b32_e32 v24, 0x7f, v10
	v_cmpx_ne_u32_e32 0x7f, v24
	s_cbranch_execz .LBB260_577
; %bb.574:                              ;   in Loop: Header=BB260_16 Depth=1
	v_and_b32_e32 v28, 7, v10
	v_lshrrev_b32_e32 v10, 3, v24
	s_mov_b32 s25, exec_lo
	v_cmpx_gt_u32_e32 8, v24
; %bb.575:                              ;   in Loop: Header=BB260_16 Depth=1
	s_delay_alu instid0(VALU_DEP_3) | instskip(NEXT) | instid1(VALU_DEP_1)
	v_clz_i32_u32_e32 v10, v28
	v_min_u32_e32 v10, 32, v10
	s_delay_alu instid0(VALU_DEP_1) | instskip(SKIP_1) | instid1(VALU_DEP_2)
	v_subrev_nc_u32_e32 v24, 28, v10
	v_sub_nc_u32_e32 v10, 29, v10
	v_lshlrev_b64 v[128:129], v24, v[28:29]
	s_delay_alu instid0(VALU_DEP_1)
	v_and_b32_e32 v28, 7, v128
; %bb.576:                              ;   in Loop: Header=BB260_16 Depth=1
	s_or_b32 exec_lo, exec_lo, s25
	v_lshlrev_b32_e32 v24, 16, v23
	s_delay_alu instid0(VALU_DEP_2) | instskip(SKIP_2) | instid1(VALU_DEP_4)
	v_lshlrev_b32_e32 v28, 20, v28
	v_lshl_add_u32 v10, v10, 23, 0x3c000000
	v_mov_b32_e32 v128, v29
	v_and_b32_e32 v24, 0x80000000, v24
	s_delay_alu instid0(VALU_DEP_1)
	v_or3_b32 v129, v28, v24, v10
.LBB260_577:                            ;   in Loop: Header=BB260_16 Depth=1
	s_or_b32 exec_lo, exec_lo, s2
.LBB260_578:                            ;   in Loop: Header=BB260_16 Depth=1
	s_delay_alu instid0(SALU_CYCLE_1)
	s_or_b32 exec_lo, exec_lo, s24
.LBB260_579:                            ;   in Loop: Header=BB260_16 Depth=1
	s_delay_alu instid0(SALU_CYCLE_1) | instskip(SKIP_4) | instid1(VALU_DEP_1)
	s_or_b32 exec_lo, exec_lo, s23
	v_mov_b32_e32 v132, 0
	v_lshrrev_b32_e32 v24, 16, v23
	v_mov_b32_e32 v133, 0
	s_mov_b32 s2, exec_lo
	v_dual_mov_b32 v135, v133 :: v_dual_and_b32 v10, 0xff, v24
	v_mov_b32_e32 v134, v132
	s_delay_alu instid0(VALU_DEP_2)
	v_cmpx_ne_u16_e32 0, v10
	s_cbranch_execz .LBB260_587
; %bb.580:                              ;   in Loop: Header=BB260_16 Depth=1
	v_bfrev_b32_e32 v134, 1
	v_mov_b32_e32 v135, 0
	s_mov_b32 s23, exec_lo
	v_cmpx_ne_u16_e32 0x80, v10
	s_cbranch_execz .LBB260_586
; %bb.581:                              ;   in Loop: Header=BB260_16 Depth=1
	v_mov_b32_e32 v134, 0x7f800001
	v_bfe_u32 v39, v23, 16, 7
	v_mov_b32_e32 v135, 0
	s_mov_b32 s24, exec_lo
	s_delay_alu instid0(VALU_DEP_2)
	v_cmpx_ne_u32_e32 0x7f, v39
	s_cbranch_execz .LBB260_585
; %bb.582:                              ;   in Loop: Header=BB260_16 Depth=1
	v_and_b32_e32 v28, 7, v24
	v_lshrrev_b32_e32 v10, 3, v39
	s_mov_b32 s25, exec_lo
	v_cmpx_gt_u32_e32 8, v39
; %bb.583:                              ;   in Loop: Header=BB260_16 Depth=1
	s_delay_alu instid0(VALU_DEP_3) | instskip(NEXT) | instid1(VALU_DEP_1)
	v_clz_i32_u32_e32 v10, v28
	v_min_u32_e32 v10, 32, v10
	s_delay_alu instid0(VALU_DEP_1) | instskip(SKIP_1) | instid1(VALU_DEP_2)
	v_subrev_nc_u32_e32 v39, 28, v10
	v_sub_nc_u32_e32 v10, 29, v10
	v_lshlrev_b64 v[134:135], v39, v[28:29]
	s_delay_alu instid0(VALU_DEP_1)
	v_and_b32_e32 v28, 7, v134
; %bb.584:                              ;   in Loop: Header=BB260_16 Depth=1
	s_or_b32 exec_lo, exec_lo, s25
	v_lshlrev_b32_e32 v24, 24, v24
	s_delay_alu instid0(VALU_DEP_2) | instskip(SKIP_1) | instid1(VALU_DEP_3)
	v_lshlrev_b32_e32 v28, 20, v28
	v_lshl_add_u32 v10, v10, 23, 0x3c000000
	v_and_b32_e32 v24, 0x80000000, v24
	s_delay_alu instid0(VALU_DEP_1) | instskip(NEXT) | instid1(VALU_DEP_1)
	v_or3_b32 v28, v28, v24, v10
	v_dual_mov_b32 v135, v29 :: v_dual_mov_b32 v134, v28
.LBB260_585:                            ;   in Loop: Header=BB260_16 Depth=1
	s_or_b32 exec_lo, exec_lo, s24
.LBB260_586:                            ;   in Loop: Header=BB260_16 Depth=1
	s_delay_alu instid0(SALU_CYCLE_1)
	s_or_b32 exec_lo, exec_lo, s23
.LBB260_587:                            ;   in Loop: Header=BB260_16 Depth=1
	s_delay_alu instid0(SALU_CYCLE_1) | instskip(NEXT) | instid1(SALU_CYCLE_1)
	s_or_b32 exec_lo, exec_lo, s2
	s_mov_b32 s23, exec_lo
	v_cmpx_lt_u32_e32 0xffffff, v23
	s_cbranch_execz .LBB260_595
; %bb.588:                              ;   in Loop: Header=BB260_16 Depth=1
	v_lshrrev_b32_e32 v10, 24, v23
	v_dual_mov_b32 v133, s17 :: v_dual_mov_b32 v132, s16
	s_mov_b32 s24, exec_lo
	s_delay_alu instid0(VALU_DEP_2)
	v_cmpx_ne_u32_e32 0x80, v10
	s_cbranch_execz .LBB260_594
; %bb.589:                              ;   in Loop: Header=BB260_16 Depth=1
	s_mov_b32 s2, s16
	v_bfe_u32 v24, v23, 24, 7
	v_dual_mov_b32 v133, s3 :: v_dual_mov_b32 v132, s2
	s_mov_b32 s2, exec_lo
	s_delay_alu instid0(VALU_DEP_2)
	v_cmpx_ne_u32_e32 0x7f, v24
	s_cbranch_execz .LBB260_593
; %bb.590:                              ;   in Loop: Header=BB260_16 Depth=1
	v_and_b32_e32 v28, 7, v10
	v_lshrrev_b32_e32 v23, 3, v24
	s_mov_b32 s25, exec_lo
	v_cmpx_gt_u32_e32 8, v24
; %bb.591:                              ;   in Loop: Header=BB260_16 Depth=1
	s_delay_alu instid0(VALU_DEP_3) | instskip(NEXT) | instid1(VALU_DEP_1)
	v_clz_i32_u32_e32 v23, v28
	v_min_u32_e32 v23, 32, v23
	s_delay_alu instid0(VALU_DEP_1) | instskip(SKIP_1) | instid1(VALU_DEP_2)
	v_subrev_nc_u32_e32 v24, 28, v23
	v_sub_nc_u32_e32 v23, 29, v23
	v_lshlrev_b64 v[132:133], v24, v[28:29]
	s_delay_alu instid0(VALU_DEP_1)
	v_and_b32_e32 v28, 7, v132
; %bb.592:                              ;   in Loop: Header=BB260_16 Depth=1
	s_or_b32 exec_lo, exec_lo, s25
	v_lshlrev_b32_e32 v10, 24, v10
	s_delay_alu instid0(VALU_DEP_2) | instskip(SKIP_2) | instid1(VALU_DEP_4)
	v_lshlrev_b32_e32 v24, 20, v28
	v_lshl_add_u32 v23, v23, 23, 0x3c000000
	v_mov_b32_e32 v132, v29
	v_and_b32_e32 v10, 0x80000000, v10
	s_delay_alu instid0(VALU_DEP_1)
	v_or3_b32 v133, v24, v10, v23
.LBB260_593:                            ;   in Loop: Header=BB260_16 Depth=1
	s_or_b32 exec_lo, exec_lo, s2
.LBB260_594:                            ;   in Loop: Header=BB260_16 Depth=1
	s_delay_alu instid0(SALU_CYCLE_1)
	s_or_b32 exec_lo, exec_lo, s24
.LBB260_595:                            ;   in Loop: Header=BB260_16 Depth=1
	s_delay_alu instid0(SALU_CYCLE_1)
	s_or_b32 exec_lo, exec_lo, s23
	flat_load_b32 v23, v[92:93] offset:2056
	v_mov_b32_e32 v144, 0
	v_mov_b32_e32 v145, 0
	s_mov_b32 s2, exec_lo
	s_waitcnt vmcnt(0) lgkmcnt(0)
	s_delay_alu instid0(VALU_DEP_1) | instskip(SKIP_1) | instid1(VALU_DEP_2)
	v_dual_mov_b32 v147, v145 :: v_dual_and_b32 v10, 0xff, v23
	v_mov_b32_e32 v146, v144
	v_cmpx_ne_u16_e32 0, v10
	s_cbranch_execz .LBB260_603
; %bb.596:                              ;   in Loop: Header=BB260_16 Depth=1
	v_bfrev_b32_e32 v146, 1
	v_mov_b32_e32 v147, 0
	s_mov_b32 s23, exec_lo
	v_cmpx_ne_u16_e32 0x80, v10
	s_cbranch_execz .LBB260_602
; %bb.597:                              ;   in Loop: Header=BB260_16 Depth=1
	v_mov_b32_e32 v146, 0x7f800001
	v_dual_mov_b32 v147, 0 :: v_dual_and_b32 v24, 0x7f, v23
	s_mov_b32 s24, exec_lo
	s_delay_alu instid0(VALU_DEP_1)
	v_cmpx_ne_u32_e32 0x7f, v24
	s_cbranch_execz .LBB260_601
; %bb.598:                              ;   in Loop: Header=BB260_16 Depth=1
	v_and_b32_e32 v28, 7, v23
	v_lshrrev_b32_e32 v10, 3, v24
	s_mov_b32 s25, exec_lo
	v_cmpx_gt_u32_e32 8, v24
; %bb.599:                              ;   in Loop: Header=BB260_16 Depth=1
	s_delay_alu instid0(VALU_DEP_3) | instskip(NEXT) | instid1(VALU_DEP_1)
	v_clz_i32_u32_e32 v10, v28
	v_min_u32_e32 v10, 32, v10
	s_delay_alu instid0(VALU_DEP_1) | instskip(SKIP_1) | instid1(VALU_DEP_2)
	v_subrev_nc_u32_e32 v24, 28, v10
	v_sub_nc_u32_e32 v10, 29, v10
	v_lshlrev_b64 v[146:147], v24, v[28:29]
	s_delay_alu instid0(VALU_DEP_1)
	v_and_b32_e32 v28, 7, v146
; %bb.600:                              ;   in Loop: Header=BB260_16 Depth=1
	s_or_b32 exec_lo, exec_lo, s25
	v_lshlrev_b32_e32 v24, 24, v23
	s_delay_alu instid0(VALU_DEP_2) | instskip(SKIP_1) | instid1(VALU_DEP_3)
	v_lshlrev_b32_e32 v28, 20, v28
	v_lshl_add_u32 v10, v10, 23, 0x3c000000
	v_and_b32_e32 v24, 0x80000000, v24
	s_delay_alu instid0(VALU_DEP_1) | instskip(NEXT) | instid1(VALU_DEP_1)
	v_or3_b32 v28, v28, v24, v10
	v_dual_mov_b32 v147, v29 :: v_dual_mov_b32 v146, v28
.LBB260_601:                            ;   in Loop: Header=BB260_16 Depth=1
	s_or_b32 exec_lo, exec_lo, s24
.LBB260_602:                            ;   in Loop: Header=BB260_16 Depth=1
	s_delay_alu instid0(SALU_CYCLE_1)
	s_or_b32 exec_lo, exec_lo, s23
.LBB260_603:                            ;   in Loop: Header=BB260_16 Depth=1
	s_delay_alu instid0(SALU_CYCLE_1) | instskip(SKIP_2) | instid1(VALU_DEP_1)
	s_or_b32 exec_lo, exec_lo, s2
	v_lshrrev_b16 v10, 8, v23
	s_mov_b32 s23, exec_lo
	v_cmpx_ne_u16_e32 0, v10
	s_cbranch_execz .LBB260_611
; %bb.604:                              ;   in Loop: Header=BB260_16 Depth=1
	v_dual_mov_b32 v145, s17 :: v_dual_mov_b32 v144, s16
	s_mov_b32 s24, exec_lo
	v_cmpx_ne_u16_e32 0x80, v10
	s_cbranch_execz .LBB260_610
; %bb.605:                              ;   in Loop: Header=BB260_16 Depth=1
	s_mov_b32 s2, s16
	v_dual_mov_b32 v145, s3 :: v_dual_and_b32 v10, 0xffff, v10
	v_mov_b32_e32 v144, s2
	s_mov_b32 s2, exec_lo
	s_delay_alu instid0(VALU_DEP_2) | instskip(NEXT) | instid1(VALU_DEP_1)
	v_and_b32_e32 v24, 0x7f, v10
	v_cmpx_ne_u32_e32 0x7f, v24
	s_cbranch_execz .LBB260_609
; %bb.606:                              ;   in Loop: Header=BB260_16 Depth=1
	v_and_b32_e32 v28, 7, v10
	v_lshrrev_b32_e32 v10, 3, v24
	s_mov_b32 s25, exec_lo
	v_cmpx_gt_u32_e32 8, v24
; %bb.607:                              ;   in Loop: Header=BB260_16 Depth=1
	s_delay_alu instid0(VALU_DEP_3) | instskip(NEXT) | instid1(VALU_DEP_1)
	v_clz_i32_u32_e32 v10, v28
	v_min_u32_e32 v10, 32, v10
	s_delay_alu instid0(VALU_DEP_1) | instskip(SKIP_1) | instid1(VALU_DEP_2)
	v_subrev_nc_u32_e32 v24, 28, v10
	v_sub_nc_u32_e32 v10, 29, v10
	v_lshlrev_b64 v[144:145], v24, v[28:29]
	s_delay_alu instid0(VALU_DEP_1)
	v_and_b32_e32 v28, 7, v144
; %bb.608:                              ;   in Loop: Header=BB260_16 Depth=1
	s_or_b32 exec_lo, exec_lo, s25
	v_lshlrev_b32_e32 v24, 16, v23
	s_delay_alu instid0(VALU_DEP_2) | instskip(SKIP_2) | instid1(VALU_DEP_4)
	v_lshlrev_b32_e32 v28, 20, v28
	v_lshl_add_u32 v10, v10, 23, 0x3c000000
	v_mov_b32_e32 v144, v29
	v_and_b32_e32 v24, 0x80000000, v24
	s_delay_alu instid0(VALU_DEP_1)
	v_or3_b32 v145, v28, v24, v10
.LBB260_609:                            ;   in Loop: Header=BB260_16 Depth=1
	s_or_b32 exec_lo, exec_lo, s2
.LBB260_610:                            ;   in Loop: Header=BB260_16 Depth=1
	s_delay_alu instid0(SALU_CYCLE_1)
	s_or_b32 exec_lo, exec_lo, s24
.LBB260_611:                            ;   in Loop: Header=BB260_16 Depth=1
	s_delay_alu instid0(SALU_CYCLE_1) | instskip(SKIP_4) | instid1(VALU_DEP_1)
	s_or_b32 exec_lo, exec_lo, s23
	v_mov_b32_e32 v148, 0
	v_lshrrev_b32_e32 v24, 16, v23
	v_mov_b32_e32 v149, 0
	s_mov_b32 s2, exec_lo
	v_dual_mov_b32 v151, v149 :: v_dual_and_b32 v10, 0xff, v24
	v_mov_b32_e32 v150, v148
	s_delay_alu instid0(VALU_DEP_2)
	v_cmpx_ne_u16_e32 0, v10
	s_cbranch_execz .LBB260_619
; %bb.612:                              ;   in Loop: Header=BB260_16 Depth=1
	v_bfrev_b32_e32 v150, 1
	v_mov_b32_e32 v151, 0
	s_mov_b32 s23, exec_lo
	v_cmpx_ne_u16_e32 0x80, v10
	s_cbranch_execz .LBB260_618
; %bb.613:                              ;   in Loop: Header=BB260_16 Depth=1
	v_mov_b32_e32 v150, 0x7f800001
	v_bfe_u32 v39, v23, 16, 7
	v_mov_b32_e32 v151, 0
	s_mov_b32 s24, exec_lo
	s_delay_alu instid0(VALU_DEP_2)
	v_cmpx_ne_u32_e32 0x7f, v39
	s_cbranch_execz .LBB260_617
; %bb.614:                              ;   in Loop: Header=BB260_16 Depth=1
	v_and_b32_e32 v28, 7, v24
	v_lshrrev_b32_e32 v10, 3, v39
	s_mov_b32 s25, exec_lo
	v_cmpx_gt_u32_e32 8, v39
; %bb.615:                              ;   in Loop: Header=BB260_16 Depth=1
	s_delay_alu instid0(VALU_DEP_3) | instskip(NEXT) | instid1(VALU_DEP_1)
	v_clz_i32_u32_e32 v10, v28
	v_min_u32_e32 v10, 32, v10
	s_delay_alu instid0(VALU_DEP_1) | instskip(SKIP_1) | instid1(VALU_DEP_2)
	v_subrev_nc_u32_e32 v39, 28, v10
	v_sub_nc_u32_e32 v10, 29, v10
	v_lshlrev_b64 v[150:151], v39, v[28:29]
	s_delay_alu instid0(VALU_DEP_1)
	v_and_b32_e32 v28, 7, v150
; %bb.616:                              ;   in Loop: Header=BB260_16 Depth=1
	s_or_b32 exec_lo, exec_lo, s25
	v_lshlrev_b32_e32 v24, 24, v24
	s_delay_alu instid0(VALU_DEP_2) | instskip(SKIP_1) | instid1(VALU_DEP_3)
	v_lshlrev_b32_e32 v28, 20, v28
	v_lshl_add_u32 v10, v10, 23, 0x3c000000
	v_and_b32_e32 v24, 0x80000000, v24
	s_delay_alu instid0(VALU_DEP_1) | instskip(NEXT) | instid1(VALU_DEP_1)
	v_or3_b32 v28, v28, v24, v10
	v_dual_mov_b32 v151, v29 :: v_dual_mov_b32 v150, v28
.LBB260_617:                            ;   in Loop: Header=BB260_16 Depth=1
	s_or_b32 exec_lo, exec_lo, s24
.LBB260_618:                            ;   in Loop: Header=BB260_16 Depth=1
	s_delay_alu instid0(SALU_CYCLE_1)
	s_or_b32 exec_lo, exec_lo, s23
.LBB260_619:                            ;   in Loop: Header=BB260_16 Depth=1
	s_delay_alu instid0(SALU_CYCLE_1) | instskip(NEXT) | instid1(SALU_CYCLE_1)
	s_or_b32 exec_lo, exec_lo, s2
	s_mov_b32 s23, exec_lo
	v_cmpx_lt_u32_e32 0xffffff, v23
	s_cbranch_execz .LBB260_627
; %bb.620:                              ;   in Loop: Header=BB260_16 Depth=1
	v_lshrrev_b32_e32 v10, 24, v23
	v_dual_mov_b32 v149, s17 :: v_dual_mov_b32 v148, s16
	s_mov_b32 s24, exec_lo
	s_delay_alu instid0(VALU_DEP_2)
	v_cmpx_ne_u32_e32 0x80, v10
	s_cbranch_execz .LBB260_626
; %bb.621:                              ;   in Loop: Header=BB260_16 Depth=1
	s_mov_b32 s2, s16
	v_bfe_u32 v24, v23, 24, 7
	v_dual_mov_b32 v149, s3 :: v_dual_mov_b32 v148, s2
	s_mov_b32 s2, exec_lo
	s_delay_alu instid0(VALU_DEP_2)
	v_cmpx_ne_u32_e32 0x7f, v24
	s_cbranch_execz .LBB260_625
; %bb.622:                              ;   in Loop: Header=BB260_16 Depth=1
	v_and_b32_e32 v28, 7, v10
	v_lshrrev_b32_e32 v23, 3, v24
	s_mov_b32 s25, exec_lo
	v_cmpx_gt_u32_e32 8, v24
; %bb.623:                              ;   in Loop: Header=BB260_16 Depth=1
	s_delay_alu instid0(VALU_DEP_3) | instskip(NEXT) | instid1(VALU_DEP_1)
	v_clz_i32_u32_e32 v23, v28
	v_min_u32_e32 v23, 32, v23
	s_delay_alu instid0(VALU_DEP_1) | instskip(SKIP_1) | instid1(VALU_DEP_2)
	v_subrev_nc_u32_e32 v24, 28, v23
	v_sub_nc_u32_e32 v23, 29, v23
	v_lshlrev_b64 v[148:149], v24, v[28:29]
	s_delay_alu instid0(VALU_DEP_1)
	v_and_b32_e32 v28, 7, v148
; %bb.624:                              ;   in Loop: Header=BB260_16 Depth=1
	s_or_b32 exec_lo, exec_lo, s25
	v_lshlrev_b32_e32 v10, 24, v10
	s_delay_alu instid0(VALU_DEP_2) | instskip(SKIP_2) | instid1(VALU_DEP_4)
	v_lshlrev_b32_e32 v24, 20, v28
	v_lshl_add_u32 v23, v23, 23, 0x3c000000
	v_mov_b32_e32 v148, v29
	v_and_b32_e32 v10, 0x80000000, v10
	s_delay_alu instid0(VALU_DEP_1)
	v_or3_b32 v149, v24, v10, v23
.LBB260_625:                            ;   in Loop: Header=BB260_16 Depth=1
	s_or_b32 exec_lo, exec_lo, s2
.LBB260_626:                            ;   in Loop: Header=BB260_16 Depth=1
	s_delay_alu instid0(SALU_CYCLE_1)
	s_or_b32 exec_lo, exec_lo, s24
.LBB260_627:                            ;   in Loop: Header=BB260_16 Depth=1
	s_delay_alu instid0(SALU_CYCLE_1)
	s_or_b32 exec_lo, exec_lo, s23
	flat_load_b32 v23, v[92:93] offset:2060
	v_mov_b32_e32 v160, 0
	v_mov_b32_e32 v161, 0
	s_mov_b32 s2, exec_lo
	s_waitcnt vmcnt(0) lgkmcnt(0)
	s_delay_alu instid0(VALU_DEP_1) | instskip(SKIP_1) | instid1(VALU_DEP_2)
	v_dual_mov_b32 v163, v161 :: v_dual_and_b32 v10, 0xff, v23
	v_mov_b32_e32 v162, v160
	v_cmpx_ne_u16_e32 0, v10
	s_cbranch_execz .LBB260_635
; %bb.628:                              ;   in Loop: Header=BB260_16 Depth=1
	v_bfrev_b32_e32 v162, 1
	v_mov_b32_e32 v163, 0
	s_mov_b32 s23, exec_lo
	v_cmpx_ne_u16_e32 0x80, v10
	s_cbranch_execz .LBB260_634
; %bb.629:                              ;   in Loop: Header=BB260_16 Depth=1
	v_mov_b32_e32 v162, 0x7f800001
	v_dual_mov_b32 v163, 0 :: v_dual_and_b32 v24, 0x7f, v23
	s_mov_b32 s24, exec_lo
	s_delay_alu instid0(VALU_DEP_1)
	v_cmpx_ne_u32_e32 0x7f, v24
	s_cbranch_execz .LBB260_633
; %bb.630:                              ;   in Loop: Header=BB260_16 Depth=1
	v_and_b32_e32 v28, 7, v23
	v_lshrrev_b32_e32 v10, 3, v24
	s_mov_b32 s25, exec_lo
	v_cmpx_gt_u32_e32 8, v24
; %bb.631:                              ;   in Loop: Header=BB260_16 Depth=1
	s_delay_alu instid0(VALU_DEP_3) | instskip(NEXT) | instid1(VALU_DEP_1)
	v_clz_i32_u32_e32 v10, v28
	v_min_u32_e32 v10, 32, v10
	s_delay_alu instid0(VALU_DEP_1) | instskip(SKIP_1) | instid1(VALU_DEP_2)
	v_subrev_nc_u32_e32 v24, 28, v10
	v_sub_nc_u32_e32 v10, 29, v10
	v_lshlrev_b64 v[162:163], v24, v[28:29]
	s_delay_alu instid0(VALU_DEP_1)
	v_and_b32_e32 v28, 7, v162
; %bb.632:                              ;   in Loop: Header=BB260_16 Depth=1
	s_or_b32 exec_lo, exec_lo, s25
	v_lshlrev_b32_e32 v24, 24, v23
	s_delay_alu instid0(VALU_DEP_2) | instskip(SKIP_1) | instid1(VALU_DEP_3)
	v_lshlrev_b32_e32 v28, 20, v28
	v_lshl_add_u32 v10, v10, 23, 0x3c000000
	v_and_b32_e32 v24, 0x80000000, v24
	s_delay_alu instid0(VALU_DEP_1) | instskip(NEXT) | instid1(VALU_DEP_1)
	v_or3_b32 v28, v28, v24, v10
	v_dual_mov_b32 v163, v29 :: v_dual_mov_b32 v162, v28
.LBB260_633:                            ;   in Loop: Header=BB260_16 Depth=1
	s_or_b32 exec_lo, exec_lo, s24
.LBB260_634:                            ;   in Loop: Header=BB260_16 Depth=1
	s_delay_alu instid0(SALU_CYCLE_1)
	s_or_b32 exec_lo, exec_lo, s23
.LBB260_635:                            ;   in Loop: Header=BB260_16 Depth=1
	s_delay_alu instid0(SALU_CYCLE_1) | instskip(SKIP_2) | instid1(VALU_DEP_1)
	s_or_b32 exec_lo, exec_lo, s2
	v_lshrrev_b16 v10, 8, v23
	s_mov_b32 s23, exec_lo
	v_cmpx_ne_u16_e32 0, v10
	s_cbranch_execz .LBB260_643
; %bb.636:                              ;   in Loop: Header=BB260_16 Depth=1
	v_dual_mov_b32 v161, s17 :: v_dual_mov_b32 v160, s16
	s_mov_b32 s24, exec_lo
	v_cmpx_ne_u16_e32 0x80, v10
	s_cbranch_execz .LBB260_642
; %bb.637:                              ;   in Loop: Header=BB260_16 Depth=1
	s_mov_b32 s2, s16
	v_dual_mov_b32 v161, s3 :: v_dual_and_b32 v10, 0xffff, v10
	v_mov_b32_e32 v160, s2
	s_mov_b32 s2, exec_lo
	s_delay_alu instid0(VALU_DEP_2) | instskip(NEXT) | instid1(VALU_DEP_1)
	v_and_b32_e32 v24, 0x7f, v10
	v_cmpx_ne_u32_e32 0x7f, v24
	s_cbranch_execz .LBB260_641
; %bb.638:                              ;   in Loop: Header=BB260_16 Depth=1
	v_and_b32_e32 v28, 7, v10
	v_lshrrev_b32_e32 v10, 3, v24
	s_mov_b32 s25, exec_lo
	v_cmpx_gt_u32_e32 8, v24
; %bb.639:                              ;   in Loop: Header=BB260_16 Depth=1
	s_delay_alu instid0(VALU_DEP_3) | instskip(NEXT) | instid1(VALU_DEP_1)
	v_clz_i32_u32_e32 v10, v28
	v_min_u32_e32 v10, 32, v10
	s_delay_alu instid0(VALU_DEP_1) | instskip(SKIP_1) | instid1(VALU_DEP_2)
	v_subrev_nc_u32_e32 v24, 28, v10
	v_sub_nc_u32_e32 v10, 29, v10
	v_lshlrev_b64 v[160:161], v24, v[28:29]
	s_delay_alu instid0(VALU_DEP_1)
	v_and_b32_e32 v28, 7, v160
; %bb.640:                              ;   in Loop: Header=BB260_16 Depth=1
	s_or_b32 exec_lo, exec_lo, s25
	v_lshlrev_b32_e32 v24, 16, v23
	s_delay_alu instid0(VALU_DEP_2) | instskip(SKIP_2) | instid1(VALU_DEP_4)
	v_lshlrev_b32_e32 v28, 20, v28
	v_lshl_add_u32 v10, v10, 23, 0x3c000000
	v_mov_b32_e32 v160, v29
	v_and_b32_e32 v24, 0x80000000, v24
	s_delay_alu instid0(VALU_DEP_1)
	v_or3_b32 v161, v28, v24, v10
.LBB260_641:                            ;   in Loop: Header=BB260_16 Depth=1
	s_or_b32 exec_lo, exec_lo, s2
.LBB260_642:                            ;   in Loop: Header=BB260_16 Depth=1
	s_delay_alu instid0(SALU_CYCLE_1)
	s_or_b32 exec_lo, exec_lo, s24
.LBB260_643:                            ;   in Loop: Header=BB260_16 Depth=1
	s_delay_alu instid0(SALU_CYCLE_1) | instskip(SKIP_4) | instid1(VALU_DEP_1)
	s_or_b32 exec_lo, exec_lo, s23
	v_mov_b32_e32 v164, 0
	v_lshrrev_b32_e32 v24, 16, v23
	v_mov_b32_e32 v165, 0
	s_mov_b32 s2, exec_lo
	v_dual_mov_b32 v167, v165 :: v_dual_and_b32 v10, 0xff, v24
	v_mov_b32_e32 v166, v164
	s_delay_alu instid0(VALU_DEP_2)
	v_cmpx_ne_u16_e32 0, v10
	s_cbranch_execz .LBB260_651
; %bb.644:                              ;   in Loop: Header=BB260_16 Depth=1
	v_bfrev_b32_e32 v166, 1
	v_mov_b32_e32 v167, 0
	s_mov_b32 s23, exec_lo
	v_cmpx_ne_u16_e32 0x80, v10
	s_cbranch_execz .LBB260_650
; %bb.645:                              ;   in Loop: Header=BB260_16 Depth=1
	v_mov_b32_e32 v166, 0x7f800001
	v_bfe_u32 v39, v23, 16, 7
	v_mov_b32_e32 v167, 0
	s_mov_b32 s24, exec_lo
	s_delay_alu instid0(VALU_DEP_2)
	v_cmpx_ne_u32_e32 0x7f, v39
	s_cbranch_execz .LBB260_649
; %bb.646:                              ;   in Loop: Header=BB260_16 Depth=1
	v_and_b32_e32 v28, 7, v24
	v_lshrrev_b32_e32 v10, 3, v39
	s_mov_b32 s25, exec_lo
	v_cmpx_gt_u32_e32 8, v39
; %bb.647:                              ;   in Loop: Header=BB260_16 Depth=1
	s_delay_alu instid0(VALU_DEP_3) | instskip(NEXT) | instid1(VALU_DEP_1)
	v_clz_i32_u32_e32 v10, v28
	v_min_u32_e32 v10, 32, v10
	s_delay_alu instid0(VALU_DEP_1) | instskip(SKIP_1) | instid1(VALU_DEP_2)
	v_subrev_nc_u32_e32 v39, 28, v10
	v_sub_nc_u32_e32 v10, 29, v10
	v_lshlrev_b64 v[166:167], v39, v[28:29]
	s_delay_alu instid0(VALU_DEP_1)
	v_and_b32_e32 v28, 7, v166
; %bb.648:                              ;   in Loop: Header=BB260_16 Depth=1
	s_or_b32 exec_lo, exec_lo, s25
	v_lshlrev_b32_e32 v24, 24, v24
	s_delay_alu instid0(VALU_DEP_2) | instskip(SKIP_1) | instid1(VALU_DEP_3)
	v_lshlrev_b32_e32 v28, 20, v28
	v_lshl_add_u32 v10, v10, 23, 0x3c000000
	v_and_b32_e32 v24, 0x80000000, v24
	s_delay_alu instid0(VALU_DEP_1) | instskip(NEXT) | instid1(VALU_DEP_1)
	v_or3_b32 v28, v28, v24, v10
	v_dual_mov_b32 v167, v29 :: v_dual_mov_b32 v166, v28
.LBB260_649:                            ;   in Loop: Header=BB260_16 Depth=1
	s_or_b32 exec_lo, exec_lo, s24
.LBB260_650:                            ;   in Loop: Header=BB260_16 Depth=1
	s_delay_alu instid0(SALU_CYCLE_1)
	s_or_b32 exec_lo, exec_lo, s23
.LBB260_651:                            ;   in Loop: Header=BB260_16 Depth=1
	s_delay_alu instid0(SALU_CYCLE_1) | instskip(NEXT) | instid1(SALU_CYCLE_1)
	s_or_b32 exec_lo, exec_lo, s2
	s_mov_b32 s23, exec_lo
	v_cmpx_lt_u32_e32 0xffffff, v23
	s_cbranch_execz .LBB260_659
; %bb.652:                              ;   in Loop: Header=BB260_16 Depth=1
	v_lshrrev_b32_e32 v10, 24, v23
	v_dual_mov_b32 v165, s17 :: v_dual_mov_b32 v164, s16
	s_mov_b32 s24, exec_lo
	s_delay_alu instid0(VALU_DEP_2)
	v_cmpx_ne_u32_e32 0x80, v10
	s_cbranch_execz .LBB260_658
; %bb.653:                              ;   in Loop: Header=BB260_16 Depth=1
	s_mov_b32 s2, s16
	v_bfe_u32 v24, v23, 24, 7
	v_dual_mov_b32 v165, s3 :: v_dual_mov_b32 v164, s2
	s_mov_b32 s2, exec_lo
	s_delay_alu instid0(VALU_DEP_2)
	v_cmpx_ne_u32_e32 0x7f, v24
	s_cbranch_execz .LBB260_657
; %bb.654:                              ;   in Loop: Header=BB260_16 Depth=1
	v_and_b32_e32 v28, 7, v10
	v_lshrrev_b32_e32 v23, 3, v24
	s_mov_b32 s25, exec_lo
	v_cmpx_gt_u32_e32 8, v24
; %bb.655:                              ;   in Loop: Header=BB260_16 Depth=1
	s_delay_alu instid0(VALU_DEP_3) | instskip(NEXT) | instid1(VALU_DEP_1)
	v_clz_i32_u32_e32 v23, v28
	v_min_u32_e32 v23, 32, v23
	s_delay_alu instid0(VALU_DEP_1) | instskip(SKIP_1) | instid1(VALU_DEP_2)
	v_subrev_nc_u32_e32 v24, 28, v23
	v_sub_nc_u32_e32 v23, 29, v23
	v_lshlrev_b64 v[164:165], v24, v[28:29]
	s_delay_alu instid0(VALU_DEP_1)
	v_and_b32_e32 v28, 7, v164
; %bb.656:                              ;   in Loop: Header=BB260_16 Depth=1
	s_or_b32 exec_lo, exec_lo, s25
	v_lshlrev_b32_e32 v10, 24, v10
	s_delay_alu instid0(VALU_DEP_2) | instskip(SKIP_2) | instid1(VALU_DEP_4)
	v_lshlrev_b32_e32 v24, 20, v28
	v_lshl_add_u32 v23, v23, 23, 0x3c000000
	v_mov_b32_e32 v164, v29
	v_and_b32_e32 v10, 0x80000000, v10
	s_delay_alu instid0(VALU_DEP_1)
	v_or3_b32 v165, v24, v10, v23
.LBB260_657:                            ;   in Loop: Header=BB260_16 Depth=1
	s_or_b32 exec_lo, exec_lo, s2
.LBB260_658:                            ;   in Loop: Header=BB260_16 Depth=1
	s_delay_alu instid0(SALU_CYCLE_1)
	s_or_b32 exec_lo, exec_lo, s24
.LBB260_659:                            ;   in Loop: Header=BB260_16 Depth=1
	s_delay_alu instid0(SALU_CYCLE_1)
	s_or_b32 exec_lo, exec_lo, s23
	flat_load_b32 v23, v[92:93] offset:2560
	v_mov_b32_e32 v176, 0
	v_mov_b32_e32 v177, 0
	s_mov_b32 s2, exec_lo
	s_waitcnt vmcnt(0) lgkmcnt(0)
	s_delay_alu instid0(VALU_DEP_1) | instskip(SKIP_1) | instid1(VALU_DEP_2)
	v_dual_mov_b32 v179, v177 :: v_dual_and_b32 v10, 0xff, v23
	v_mov_b32_e32 v178, v176
	v_cmpx_ne_u16_e32 0, v10
	s_cbranch_execz .LBB260_667
; %bb.660:                              ;   in Loop: Header=BB260_16 Depth=1
	v_bfrev_b32_e32 v178, 1
	v_mov_b32_e32 v179, 0
	s_mov_b32 s23, exec_lo
	v_cmpx_ne_u16_e32 0x80, v10
	s_cbranch_execz .LBB260_666
; %bb.661:                              ;   in Loop: Header=BB260_16 Depth=1
	v_mov_b32_e32 v178, 0x7f800001
	v_dual_mov_b32 v179, 0 :: v_dual_and_b32 v24, 0x7f, v23
	s_mov_b32 s24, exec_lo
	s_delay_alu instid0(VALU_DEP_1)
	v_cmpx_ne_u32_e32 0x7f, v24
	s_cbranch_execz .LBB260_665
; %bb.662:                              ;   in Loop: Header=BB260_16 Depth=1
	v_and_b32_e32 v28, 7, v23
	v_lshrrev_b32_e32 v10, 3, v24
	s_mov_b32 s25, exec_lo
	v_cmpx_gt_u32_e32 8, v24
; %bb.663:                              ;   in Loop: Header=BB260_16 Depth=1
	s_delay_alu instid0(VALU_DEP_3) | instskip(NEXT) | instid1(VALU_DEP_1)
	v_clz_i32_u32_e32 v10, v28
	v_min_u32_e32 v10, 32, v10
	s_delay_alu instid0(VALU_DEP_1) | instskip(SKIP_1) | instid1(VALU_DEP_2)
	v_subrev_nc_u32_e32 v24, 28, v10
	v_sub_nc_u32_e32 v10, 29, v10
	v_lshlrev_b64 v[178:179], v24, v[28:29]
	s_delay_alu instid0(VALU_DEP_1)
	v_and_b32_e32 v28, 7, v178
; %bb.664:                              ;   in Loop: Header=BB260_16 Depth=1
	s_or_b32 exec_lo, exec_lo, s25
	v_lshlrev_b32_e32 v24, 24, v23
	s_delay_alu instid0(VALU_DEP_2) | instskip(SKIP_1) | instid1(VALU_DEP_3)
	v_lshlrev_b32_e32 v28, 20, v28
	v_lshl_add_u32 v10, v10, 23, 0x3c000000
	v_and_b32_e32 v24, 0x80000000, v24
	s_delay_alu instid0(VALU_DEP_1) | instskip(NEXT) | instid1(VALU_DEP_1)
	v_or3_b32 v28, v28, v24, v10
	v_dual_mov_b32 v179, v29 :: v_dual_mov_b32 v178, v28
.LBB260_665:                            ;   in Loop: Header=BB260_16 Depth=1
	s_or_b32 exec_lo, exec_lo, s24
.LBB260_666:                            ;   in Loop: Header=BB260_16 Depth=1
	s_delay_alu instid0(SALU_CYCLE_1)
	s_or_b32 exec_lo, exec_lo, s23
.LBB260_667:                            ;   in Loop: Header=BB260_16 Depth=1
	s_delay_alu instid0(SALU_CYCLE_1) | instskip(SKIP_2) | instid1(VALU_DEP_1)
	s_or_b32 exec_lo, exec_lo, s2
	v_lshrrev_b16 v10, 8, v23
	s_mov_b32 s23, exec_lo
	v_cmpx_ne_u16_e32 0, v10
	s_cbranch_execz .LBB260_675
; %bb.668:                              ;   in Loop: Header=BB260_16 Depth=1
	v_dual_mov_b32 v177, s17 :: v_dual_mov_b32 v176, s16
	s_mov_b32 s24, exec_lo
	v_cmpx_ne_u16_e32 0x80, v10
	s_cbranch_execz .LBB260_674
; %bb.669:                              ;   in Loop: Header=BB260_16 Depth=1
	s_mov_b32 s2, s16
	v_dual_mov_b32 v177, s3 :: v_dual_and_b32 v10, 0xffff, v10
	v_mov_b32_e32 v176, s2
	s_mov_b32 s2, exec_lo
	s_delay_alu instid0(VALU_DEP_2) | instskip(NEXT) | instid1(VALU_DEP_1)
	v_and_b32_e32 v24, 0x7f, v10
	v_cmpx_ne_u32_e32 0x7f, v24
	s_cbranch_execz .LBB260_673
; %bb.670:                              ;   in Loop: Header=BB260_16 Depth=1
	v_and_b32_e32 v28, 7, v10
	v_lshrrev_b32_e32 v10, 3, v24
	s_mov_b32 s25, exec_lo
	v_cmpx_gt_u32_e32 8, v24
; %bb.671:                              ;   in Loop: Header=BB260_16 Depth=1
	s_delay_alu instid0(VALU_DEP_3) | instskip(NEXT) | instid1(VALU_DEP_1)
	v_clz_i32_u32_e32 v10, v28
	v_min_u32_e32 v10, 32, v10
	s_delay_alu instid0(VALU_DEP_1) | instskip(SKIP_1) | instid1(VALU_DEP_2)
	v_subrev_nc_u32_e32 v24, 28, v10
	v_sub_nc_u32_e32 v10, 29, v10
	v_lshlrev_b64 v[176:177], v24, v[28:29]
	s_delay_alu instid0(VALU_DEP_1)
	v_and_b32_e32 v28, 7, v176
; %bb.672:                              ;   in Loop: Header=BB260_16 Depth=1
	s_or_b32 exec_lo, exec_lo, s25
	v_lshlrev_b32_e32 v24, 16, v23
	s_delay_alu instid0(VALU_DEP_2) | instskip(SKIP_2) | instid1(VALU_DEP_4)
	v_lshlrev_b32_e32 v28, 20, v28
	v_lshl_add_u32 v10, v10, 23, 0x3c000000
	v_mov_b32_e32 v176, v29
	v_and_b32_e32 v24, 0x80000000, v24
	s_delay_alu instid0(VALU_DEP_1)
	v_or3_b32 v177, v28, v24, v10
.LBB260_673:                            ;   in Loop: Header=BB260_16 Depth=1
	s_or_b32 exec_lo, exec_lo, s2
.LBB260_674:                            ;   in Loop: Header=BB260_16 Depth=1
	s_delay_alu instid0(SALU_CYCLE_1)
	s_or_b32 exec_lo, exec_lo, s24
.LBB260_675:                            ;   in Loop: Header=BB260_16 Depth=1
	s_delay_alu instid0(SALU_CYCLE_1) | instskip(SKIP_4) | instid1(VALU_DEP_1)
	s_or_b32 exec_lo, exec_lo, s23
	v_mov_b32_e32 v180, 0
	v_lshrrev_b32_e32 v24, 16, v23
	v_mov_b32_e32 v181, 0
	s_mov_b32 s2, exec_lo
	v_dual_mov_b32 v183, v181 :: v_dual_and_b32 v10, 0xff, v24
	v_mov_b32_e32 v182, v180
	s_delay_alu instid0(VALU_DEP_2)
	v_cmpx_ne_u16_e32 0, v10
	s_cbranch_execz .LBB260_683
; %bb.676:                              ;   in Loop: Header=BB260_16 Depth=1
	v_bfrev_b32_e32 v182, 1
	v_mov_b32_e32 v183, 0
	s_mov_b32 s23, exec_lo
	v_cmpx_ne_u16_e32 0x80, v10
	s_cbranch_execz .LBB260_682
; %bb.677:                              ;   in Loop: Header=BB260_16 Depth=1
	v_mov_b32_e32 v182, 0x7f800001
	v_bfe_u32 v39, v23, 16, 7
	v_mov_b32_e32 v183, 0
	s_mov_b32 s24, exec_lo
	s_delay_alu instid0(VALU_DEP_2)
	v_cmpx_ne_u32_e32 0x7f, v39
	s_cbranch_execz .LBB260_681
; %bb.678:                              ;   in Loop: Header=BB260_16 Depth=1
	v_and_b32_e32 v28, 7, v24
	v_lshrrev_b32_e32 v10, 3, v39
	s_mov_b32 s25, exec_lo
	v_cmpx_gt_u32_e32 8, v39
; %bb.679:                              ;   in Loop: Header=BB260_16 Depth=1
	s_delay_alu instid0(VALU_DEP_3) | instskip(NEXT) | instid1(VALU_DEP_1)
	v_clz_i32_u32_e32 v10, v28
	v_min_u32_e32 v10, 32, v10
	s_delay_alu instid0(VALU_DEP_1) | instskip(SKIP_1) | instid1(VALU_DEP_2)
	v_subrev_nc_u32_e32 v39, 28, v10
	v_sub_nc_u32_e32 v10, 29, v10
	v_lshlrev_b64 v[182:183], v39, v[28:29]
	s_delay_alu instid0(VALU_DEP_1)
	v_and_b32_e32 v28, 7, v182
; %bb.680:                              ;   in Loop: Header=BB260_16 Depth=1
	s_or_b32 exec_lo, exec_lo, s25
	v_lshlrev_b32_e32 v24, 24, v24
	s_delay_alu instid0(VALU_DEP_2) | instskip(SKIP_1) | instid1(VALU_DEP_3)
	v_lshlrev_b32_e32 v28, 20, v28
	v_lshl_add_u32 v10, v10, 23, 0x3c000000
	v_and_b32_e32 v24, 0x80000000, v24
	s_delay_alu instid0(VALU_DEP_1) | instskip(NEXT) | instid1(VALU_DEP_1)
	v_or3_b32 v28, v28, v24, v10
	v_dual_mov_b32 v183, v29 :: v_dual_mov_b32 v182, v28
.LBB260_681:                            ;   in Loop: Header=BB260_16 Depth=1
	s_or_b32 exec_lo, exec_lo, s24
.LBB260_682:                            ;   in Loop: Header=BB260_16 Depth=1
	s_delay_alu instid0(SALU_CYCLE_1)
	s_or_b32 exec_lo, exec_lo, s23
.LBB260_683:                            ;   in Loop: Header=BB260_16 Depth=1
	s_delay_alu instid0(SALU_CYCLE_1) | instskip(NEXT) | instid1(SALU_CYCLE_1)
	s_or_b32 exec_lo, exec_lo, s2
	s_mov_b32 s23, exec_lo
	v_cmpx_lt_u32_e32 0xffffff, v23
	s_cbranch_execz .LBB260_691
; %bb.684:                              ;   in Loop: Header=BB260_16 Depth=1
	v_lshrrev_b32_e32 v10, 24, v23
	v_dual_mov_b32 v181, s17 :: v_dual_mov_b32 v180, s16
	s_mov_b32 s24, exec_lo
	s_delay_alu instid0(VALU_DEP_2)
	v_cmpx_ne_u32_e32 0x80, v10
	s_cbranch_execz .LBB260_690
; %bb.685:                              ;   in Loop: Header=BB260_16 Depth=1
	s_mov_b32 s2, s16
	v_bfe_u32 v24, v23, 24, 7
	v_dual_mov_b32 v181, s3 :: v_dual_mov_b32 v180, s2
	s_mov_b32 s2, exec_lo
	s_delay_alu instid0(VALU_DEP_2)
	v_cmpx_ne_u32_e32 0x7f, v24
	s_cbranch_execz .LBB260_689
; %bb.686:                              ;   in Loop: Header=BB260_16 Depth=1
	v_and_b32_e32 v28, 7, v10
	v_lshrrev_b32_e32 v23, 3, v24
	s_mov_b32 s25, exec_lo
	v_cmpx_gt_u32_e32 8, v24
; %bb.687:                              ;   in Loop: Header=BB260_16 Depth=1
	s_delay_alu instid0(VALU_DEP_3) | instskip(NEXT) | instid1(VALU_DEP_1)
	v_clz_i32_u32_e32 v23, v28
	v_min_u32_e32 v23, 32, v23
	s_delay_alu instid0(VALU_DEP_1) | instskip(SKIP_1) | instid1(VALU_DEP_2)
	v_subrev_nc_u32_e32 v24, 28, v23
	v_sub_nc_u32_e32 v23, 29, v23
	v_lshlrev_b64 v[180:181], v24, v[28:29]
	s_delay_alu instid0(VALU_DEP_1)
	v_and_b32_e32 v28, 7, v180
; %bb.688:                              ;   in Loop: Header=BB260_16 Depth=1
	s_or_b32 exec_lo, exec_lo, s25
	v_lshlrev_b32_e32 v10, 24, v10
	s_delay_alu instid0(VALU_DEP_2) | instskip(SKIP_2) | instid1(VALU_DEP_4)
	v_lshlrev_b32_e32 v24, 20, v28
	v_lshl_add_u32 v23, v23, 23, 0x3c000000
	v_mov_b32_e32 v180, v29
	v_and_b32_e32 v10, 0x80000000, v10
	s_delay_alu instid0(VALU_DEP_1)
	v_or3_b32 v181, v24, v10, v23
.LBB260_689:                            ;   in Loop: Header=BB260_16 Depth=1
	s_or_b32 exec_lo, exec_lo, s2
.LBB260_690:                            ;   in Loop: Header=BB260_16 Depth=1
	s_delay_alu instid0(SALU_CYCLE_1)
	s_or_b32 exec_lo, exec_lo, s24
.LBB260_691:                            ;   in Loop: Header=BB260_16 Depth=1
	s_delay_alu instid0(SALU_CYCLE_1) | instskip(SKIP_4) | instid1(VALU_DEP_1)
	s_or_b32 exec_lo, exec_lo, s23
	flat_load_b32 v23, v[92:93] offset:2564
	v_mov_b32_e32 v39, 0
	v_mov_b32_e32 v40, 0
	s_mov_b32 s2, exec_lo
	v_dual_mov_b32 v42, v40 :: v_dual_mov_b32 v41, v39
	s_waitcnt vmcnt(0) lgkmcnt(0)
	v_and_b32_e32 v10, 0xff, v23
	s_delay_alu instid0(VALU_DEP_1)
	v_cmpx_ne_u16_e32 0, v10
	s_cbranch_execz .LBB260_699
; %bb.692:                              ;   in Loop: Header=BB260_16 Depth=1
	v_bfrev_b32_e32 v41, 1
	v_mov_b32_e32 v42, 0
	s_mov_b32 s23, exec_lo
	v_cmpx_ne_u16_e32 0x80, v10
	s_cbranch_execz .LBB260_698
; %bb.693:                              ;   in Loop: Header=BB260_16 Depth=1
	v_mov_b32_e32 v41, 0x7f800001
	v_and_b32_e32 v24, 0x7f, v23
	v_mov_b32_e32 v42, 0
	s_mov_b32 s24, exec_lo
	s_delay_alu instid0(VALU_DEP_2)
	v_cmpx_ne_u32_e32 0x7f, v24
	s_cbranch_execz .LBB260_697
; %bb.694:                              ;   in Loop: Header=BB260_16 Depth=1
	v_and_b32_e32 v28, 7, v23
	v_lshrrev_b32_e32 v10, 3, v24
	s_mov_b32 s25, exec_lo
	v_cmpx_gt_u32_e32 8, v24
; %bb.695:                              ;   in Loop: Header=BB260_16 Depth=1
	s_delay_alu instid0(VALU_DEP_3) | instskip(NEXT) | instid1(VALU_DEP_1)
	v_clz_i32_u32_e32 v10, v28
	v_min_u32_e32 v10, 32, v10
	s_delay_alu instid0(VALU_DEP_1) | instskip(SKIP_1) | instid1(VALU_DEP_2)
	v_subrev_nc_u32_e32 v24, 28, v10
	v_sub_nc_u32_e32 v10, 29, v10
	v_lshlrev_b64 v[41:42], v24, v[28:29]
	s_delay_alu instid0(VALU_DEP_1)
	v_and_b32_e32 v28, 7, v41
; %bb.696:                              ;   in Loop: Header=BB260_16 Depth=1
	s_or_b32 exec_lo, exec_lo, s25
	v_lshlrev_b32_e32 v24, 24, v23
	s_delay_alu instid0(VALU_DEP_2) | instskip(SKIP_1) | instid1(VALU_DEP_3)
	v_lshlrev_b32_e32 v28, 20, v28
	v_lshl_add_u32 v10, v10, 23, 0x3c000000
	v_and_b32_e32 v24, 0x80000000, v24
	s_delay_alu instid0(VALU_DEP_1) | instskip(NEXT) | instid1(VALU_DEP_1)
	v_or3_b32 v28, v28, v24, v10
	v_dual_mov_b32 v42, v29 :: v_dual_mov_b32 v41, v28
.LBB260_697:                            ;   in Loop: Header=BB260_16 Depth=1
	s_or_b32 exec_lo, exec_lo, s24
.LBB260_698:                            ;   in Loop: Header=BB260_16 Depth=1
	s_delay_alu instid0(SALU_CYCLE_1)
	s_or_b32 exec_lo, exec_lo, s23
.LBB260_699:                            ;   in Loop: Header=BB260_16 Depth=1
	s_delay_alu instid0(SALU_CYCLE_1) | instskip(SKIP_2) | instid1(VALU_DEP_1)
	s_or_b32 exec_lo, exec_lo, s2
	v_lshrrev_b16 v10, 8, v23
	s_mov_b32 s23, exec_lo
	v_cmpx_ne_u16_e32 0, v10
	s_cbranch_execz .LBB260_707
; %bb.700:                              ;   in Loop: Header=BB260_16 Depth=1
	v_dual_mov_b32 v40, s17 :: v_dual_mov_b32 v39, s16
	s_mov_b32 s24, exec_lo
	v_cmpx_ne_u16_e32 0x80, v10
	s_cbranch_execz .LBB260_706
; %bb.701:                              ;   in Loop: Header=BB260_16 Depth=1
	s_mov_b32 s2, s16
	v_and_b32_e32 v10, 0xffff, v10
	v_dual_mov_b32 v40, s3 :: v_dual_mov_b32 v39, s2
	s_mov_b32 s2, exec_lo
	s_delay_alu instid0(VALU_DEP_2) | instskip(NEXT) | instid1(VALU_DEP_1)
	v_and_b32_e32 v24, 0x7f, v10
	v_cmpx_ne_u32_e32 0x7f, v24
	s_cbranch_execz .LBB260_705
; %bb.702:                              ;   in Loop: Header=BB260_16 Depth=1
	v_and_b32_e32 v28, 7, v10
	v_lshrrev_b32_e32 v10, 3, v24
	s_mov_b32 s25, exec_lo
	v_cmpx_gt_u32_e32 8, v24
; %bb.703:                              ;   in Loop: Header=BB260_16 Depth=1
	s_delay_alu instid0(VALU_DEP_3) | instskip(NEXT) | instid1(VALU_DEP_1)
	v_clz_i32_u32_e32 v10, v28
	v_min_u32_e32 v10, 32, v10
	s_delay_alu instid0(VALU_DEP_1) | instskip(SKIP_1) | instid1(VALU_DEP_2)
	v_subrev_nc_u32_e32 v24, 28, v10
	v_sub_nc_u32_e32 v10, 29, v10
	v_lshlrev_b64 v[39:40], v24, v[28:29]
	s_delay_alu instid0(VALU_DEP_1)
	v_and_b32_e32 v28, 7, v39
; %bb.704:                              ;   in Loop: Header=BB260_16 Depth=1
	s_or_b32 exec_lo, exec_lo, s25
	v_dual_mov_b32 v39, v29 :: v_dual_lshlrev_b32 v24, 16, v23
	s_delay_alu instid0(VALU_DEP_2) | instskip(SKIP_1) | instid1(VALU_DEP_3)
	v_lshlrev_b32_e32 v28, 20, v28
	v_lshl_add_u32 v10, v10, 23, 0x3c000000
	v_and_b32_e32 v24, 0x80000000, v24
	s_delay_alu instid0(VALU_DEP_1)
	v_or3_b32 v40, v28, v24, v10
.LBB260_705:                            ;   in Loop: Header=BB260_16 Depth=1
	s_or_b32 exec_lo, exec_lo, s2
.LBB260_706:                            ;   in Loop: Header=BB260_16 Depth=1
	s_delay_alu instid0(SALU_CYCLE_1)
	s_or_b32 exec_lo, exec_lo, s24
.LBB260_707:                            ;   in Loop: Header=BB260_16 Depth=1
	s_delay_alu instid0(SALU_CYCLE_1) | instskip(SKIP_4) | instid1(VALU_DEP_1)
	s_or_b32 exec_lo, exec_lo, s23
	v_lshrrev_b32_e32 v24, 16, v23
	v_mov_b32_e32 v45, 0
	v_mov_b32_e32 v46, 0
	s_mov_b32 s2, exec_lo
	v_dual_mov_b32 v73, v46 :: v_dual_and_b32 v10, 0xff, v24
	s_delay_alu instid0(VALU_DEP_3) | instskip(NEXT) | instid1(VALU_DEP_2)
	v_mov_b32_e32 v72, v45
	v_cmpx_ne_u16_e32 0, v10
	s_cbranch_execz .LBB260_715
; %bb.708:                              ;   in Loop: Header=BB260_16 Depth=1
	v_bfrev_b32_e32 v72, 1
	v_mov_b32_e32 v73, 0
	s_mov_b32 s23, exec_lo
	v_cmpx_ne_u16_e32 0x80, v10
	s_cbranch_execz .LBB260_714
; %bb.709:                              ;   in Loop: Header=BB260_16 Depth=1
	v_mov_b32_e32 v72, 0x7f800001
	v_bfe_u32 v43, v23, 16, 7
	v_mov_b32_e32 v73, 0
	s_mov_b32 s24, exec_lo
	s_delay_alu instid0(VALU_DEP_2)
	v_cmpx_ne_u32_e32 0x7f, v43
	s_cbranch_execz .LBB260_713
; %bb.710:                              ;   in Loop: Header=BB260_16 Depth=1
	v_and_b32_e32 v28, 7, v24
	v_lshrrev_b32_e32 v10, 3, v43
	s_mov_b32 s25, exec_lo
	v_cmpx_gt_u32_e32 8, v43
; %bb.711:                              ;   in Loop: Header=BB260_16 Depth=1
	s_delay_alu instid0(VALU_DEP_3) | instskip(NEXT) | instid1(VALU_DEP_1)
	v_clz_i32_u32_e32 v10, v28
	v_min_u32_e32 v10, 32, v10
	s_delay_alu instid0(VALU_DEP_1) | instskip(SKIP_1) | instid1(VALU_DEP_2)
	v_subrev_nc_u32_e32 v43, 28, v10
	v_sub_nc_u32_e32 v10, 29, v10
	v_lshlrev_b64 v[43:44], v43, v[28:29]
	s_delay_alu instid0(VALU_DEP_1)
	v_and_b32_e32 v28, 7, v43
; %bb.712:                              ;   in Loop: Header=BB260_16 Depth=1
	s_or_b32 exec_lo, exec_lo, s25
	v_lshlrev_b32_e32 v24, 24, v24
	s_delay_alu instid0(VALU_DEP_2) | instskip(SKIP_1) | instid1(VALU_DEP_3)
	v_lshlrev_b32_e32 v28, 20, v28
	v_lshl_add_u32 v10, v10, 23, 0x3c000000
	v_and_b32_e32 v24, 0x80000000, v24
	s_delay_alu instid0(VALU_DEP_1) | instskip(NEXT) | instid1(VALU_DEP_1)
	v_or3_b32 v28, v28, v24, v10
	v_dual_mov_b32 v73, v29 :: v_dual_mov_b32 v72, v28
.LBB260_713:                            ;   in Loop: Header=BB260_16 Depth=1
	s_or_b32 exec_lo, exec_lo, s24
.LBB260_714:                            ;   in Loop: Header=BB260_16 Depth=1
	s_delay_alu instid0(SALU_CYCLE_1)
	s_or_b32 exec_lo, exec_lo, s23
.LBB260_715:                            ;   in Loop: Header=BB260_16 Depth=1
	s_delay_alu instid0(SALU_CYCLE_1) | instskip(NEXT) | instid1(SALU_CYCLE_1)
	s_or_b32 exec_lo, exec_lo, s2
	s_mov_b32 s23, exec_lo
	v_cmpx_lt_u32_e32 0xffffff, v23
	s_cbranch_execz .LBB260_723
; %bb.716:                              ;   in Loop: Header=BB260_16 Depth=1
	v_lshrrev_b32_e32 v10, 24, v23
	v_dual_mov_b32 v46, s17 :: v_dual_mov_b32 v45, s16
	s_mov_b32 s24, exec_lo
	s_delay_alu instid0(VALU_DEP_2)
	v_cmpx_ne_u32_e32 0x80, v10
	s_cbranch_execz .LBB260_722
; %bb.717:                              ;   in Loop: Header=BB260_16 Depth=1
	s_mov_b32 s2, s16
	v_bfe_u32 v24, v23, 24, 7
	v_dual_mov_b32 v46, s3 :: v_dual_mov_b32 v45, s2
	s_mov_b32 s2, exec_lo
	s_delay_alu instid0(VALU_DEP_2)
	v_cmpx_ne_u32_e32 0x7f, v24
	s_cbranch_execz .LBB260_721
; %bb.718:                              ;   in Loop: Header=BB260_16 Depth=1
	v_and_b32_e32 v28, 7, v10
	v_lshrrev_b32_e32 v23, 3, v24
	s_mov_b32 s25, exec_lo
	v_cmpx_gt_u32_e32 8, v24
; %bb.719:                              ;   in Loop: Header=BB260_16 Depth=1
	s_delay_alu instid0(VALU_DEP_3) | instskip(NEXT) | instid1(VALU_DEP_1)
	v_clz_i32_u32_e32 v23, v28
	v_min_u32_e32 v23, 32, v23
	s_delay_alu instid0(VALU_DEP_1) | instskip(SKIP_1) | instid1(VALU_DEP_2)
	v_subrev_nc_u32_e32 v24, 28, v23
	v_sub_nc_u32_e32 v23, 29, v23
	v_lshlrev_b64 v[43:44], v24, v[28:29]
	s_delay_alu instid0(VALU_DEP_1)
	v_and_b32_e32 v28, 7, v43
; %bb.720:                              ;   in Loop: Header=BB260_16 Depth=1
	s_or_b32 exec_lo, exec_lo, s25
	v_dual_mov_b32 v45, v29 :: v_dual_lshlrev_b32 v10, 24, v10
	s_delay_alu instid0(VALU_DEP_2) | instskip(SKIP_1) | instid1(VALU_DEP_3)
	v_lshlrev_b32_e32 v24, 20, v28
	v_lshl_add_u32 v23, v23, 23, 0x3c000000
	v_and_b32_e32 v10, 0x80000000, v10
	s_delay_alu instid0(VALU_DEP_1)
	v_or3_b32 v46, v24, v10, v23
.LBB260_721:                            ;   in Loop: Header=BB260_16 Depth=1
	s_or_b32 exec_lo, exec_lo, s2
.LBB260_722:                            ;   in Loop: Header=BB260_16 Depth=1
	s_delay_alu instid0(SALU_CYCLE_1)
	s_or_b32 exec_lo, exec_lo, s24
.LBB260_723:                            ;   in Loop: Header=BB260_16 Depth=1
	s_delay_alu instid0(SALU_CYCLE_1)
	s_or_b32 exec_lo, exec_lo, s23
	flat_load_b32 v23, v[92:93] offset:2568
	v_mov_b32_e32 v88, 0
	v_mov_b32_e32 v89, 0
	s_mov_b32 s2, exec_lo
	s_waitcnt vmcnt(0) lgkmcnt(0)
	s_delay_alu instid0(VALU_DEP_1) | instskip(SKIP_1) | instid1(VALU_DEP_2)
	v_dual_mov_b32 v95, v89 :: v_dual_and_b32 v10, 0xff, v23
	v_mov_b32_e32 v94, v88
	v_cmpx_ne_u16_e32 0, v10
	s_cbranch_execz .LBB260_731
; %bb.724:                              ;   in Loop: Header=BB260_16 Depth=1
	v_bfrev_b32_e32 v94, 1
	v_mov_b32_e32 v95, 0
	s_mov_b32 s23, exec_lo
	v_cmpx_ne_u16_e32 0x80, v10
	s_cbranch_execz .LBB260_730
; %bb.725:                              ;   in Loop: Header=BB260_16 Depth=1
	v_mov_b32_e32 v94, 0x7f800001
	v_dual_mov_b32 v95, 0 :: v_dual_and_b32 v24, 0x7f, v23
	s_mov_b32 s24, exec_lo
	s_delay_alu instid0(VALU_DEP_1)
	v_cmpx_ne_u32_e32 0x7f, v24
	s_cbranch_execz .LBB260_729
; %bb.726:                              ;   in Loop: Header=BB260_16 Depth=1
	v_and_b32_e32 v28, 7, v23
	v_lshrrev_b32_e32 v10, 3, v24
	s_mov_b32 s25, exec_lo
	v_cmpx_gt_u32_e32 8, v24
; %bb.727:                              ;   in Loop: Header=BB260_16 Depth=1
	s_delay_alu instid0(VALU_DEP_3) | instskip(NEXT) | instid1(VALU_DEP_1)
	v_clz_i32_u32_e32 v10, v28
	v_min_u32_e32 v10, 32, v10
	s_delay_alu instid0(VALU_DEP_1) | instskip(SKIP_1) | instid1(VALU_DEP_2)
	v_subrev_nc_u32_e32 v24, 28, v10
	v_sub_nc_u32_e32 v10, 29, v10
	v_lshlrev_b64 v[43:44], v24, v[28:29]
	s_delay_alu instid0(VALU_DEP_1)
	v_and_b32_e32 v28, 7, v43
; %bb.728:                              ;   in Loop: Header=BB260_16 Depth=1
	s_or_b32 exec_lo, exec_lo, s25
	v_lshlrev_b32_e32 v24, 24, v23
	s_delay_alu instid0(VALU_DEP_2) | instskip(SKIP_1) | instid1(VALU_DEP_3)
	v_lshlrev_b32_e32 v28, 20, v28
	v_lshl_add_u32 v10, v10, 23, 0x3c000000
	v_and_b32_e32 v24, 0x80000000, v24
	s_delay_alu instid0(VALU_DEP_1) | instskip(NEXT) | instid1(VALU_DEP_1)
	v_or3_b32 v28, v28, v24, v10
	v_dual_mov_b32 v95, v29 :: v_dual_mov_b32 v94, v28
.LBB260_729:                            ;   in Loop: Header=BB260_16 Depth=1
	s_or_b32 exec_lo, exec_lo, s24
.LBB260_730:                            ;   in Loop: Header=BB260_16 Depth=1
	s_delay_alu instid0(SALU_CYCLE_1)
	s_or_b32 exec_lo, exec_lo, s23
.LBB260_731:                            ;   in Loop: Header=BB260_16 Depth=1
	s_delay_alu instid0(SALU_CYCLE_1) | instskip(SKIP_2) | instid1(VALU_DEP_1)
	s_or_b32 exec_lo, exec_lo, s2
	v_lshrrev_b16 v10, 8, v23
	s_mov_b32 s23, exec_lo
	v_cmpx_ne_u16_e32 0, v10
	s_cbranch_execz .LBB260_739
; %bb.732:                              ;   in Loop: Header=BB260_16 Depth=1
	v_dual_mov_b32 v89, s17 :: v_dual_mov_b32 v88, s16
	s_mov_b32 s24, exec_lo
	v_cmpx_ne_u16_e32 0x80, v10
	s_cbranch_execz .LBB260_738
; %bb.733:                              ;   in Loop: Header=BB260_16 Depth=1
	s_mov_b32 s2, s16
	v_dual_mov_b32 v89, s3 :: v_dual_and_b32 v10, 0xffff, v10
	v_mov_b32_e32 v88, s2
	s_mov_b32 s2, exec_lo
	s_delay_alu instid0(VALU_DEP_2) | instskip(NEXT) | instid1(VALU_DEP_1)
	v_and_b32_e32 v24, 0x7f, v10
	v_cmpx_ne_u32_e32 0x7f, v24
	s_cbranch_execz .LBB260_737
; %bb.734:                              ;   in Loop: Header=BB260_16 Depth=1
	v_and_b32_e32 v28, 7, v10
	v_lshrrev_b32_e32 v10, 3, v24
	s_mov_b32 s25, exec_lo
	v_cmpx_gt_u32_e32 8, v24
; %bb.735:                              ;   in Loop: Header=BB260_16 Depth=1
	s_delay_alu instid0(VALU_DEP_3) | instskip(NEXT) | instid1(VALU_DEP_1)
	v_clz_i32_u32_e32 v10, v28
	v_min_u32_e32 v10, 32, v10
	s_delay_alu instid0(VALU_DEP_1) | instskip(SKIP_1) | instid1(VALU_DEP_2)
	v_subrev_nc_u32_e32 v24, 28, v10
	v_sub_nc_u32_e32 v10, 29, v10
	v_lshlrev_b64 v[43:44], v24, v[28:29]
	s_delay_alu instid0(VALU_DEP_1)
	v_and_b32_e32 v28, 7, v43
; %bb.736:                              ;   in Loop: Header=BB260_16 Depth=1
	s_or_b32 exec_lo, exec_lo, s25
	v_lshlrev_b32_e32 v24, 16, v23
	s_delay_alu instid0(VALU_DEP_2) | instskip(SKIP_2) | instid1(VALU_DEP_4)
	v_lshlrev_b32_e32 v28, 20, v28
	v_lshl_add_u32 v10, v10, 23, 0x3c000000
	v_mov_b32_e32 v88, v29
	v_and_b32_e32 v24, 0x80000000, v24
	s_delay_alu instid0(VALU_DEP_1)
	v_or3_b32 v89, v28, v24, v10
.LBB260_737:                            ;   in Loop: Header=BB260_16 Depth=1
	s_or_b32 exec_lo, exec_lo, s2
.LBB260_738:                            ;   in Loop: Header=BB260_16 Depth=1
	s_delay_alu instid0(SALU_CYCLE_1)
	s_or_b32 exec_lo, exec_lo, s24
.LBB260_739:                            ;   in Loop: Header=BB260_16 Depth=1
	s_delay_alu instid0(SALU_CYCLE_1) | instskip(SKIP_4) | instid1(VALU_DEP_1)
	s_or_b32 exec_lo, exec_lo, s23
	v_mov_b32_e32 v106, 0
	v_lshrrev_b32_e32 v24, 16, v23
	v_mov_b32_e32 v107, 0
	s_mov_b32 s2, exec_lo
	v_dual_mov_b32 v111, v107 :: v_dual_and_b32 v10, 0xff, v24
	v_mov_b32_e32 v110, v106
	s_delay_alu instid0(VALU_DEP_2)
	v_cmpx_ne_u16_e32 0, v10
	s_cbranch_execz .LBB260_747
; %bb.740:                              ;   in Loop: Header=BB260_16 Depth=1
	v_bfrev_b32_e32 v110, 1
	v_mov_b32_e32 v111, 0
	s_mov_b32 s23, exec_lo
	v_cmpx_ne_u16_e32 0x80, v10
	s_cbranch_execz .LBB260_746
; %bb.741:                              ;   in Loop: Header=BB260_16 Depth=1
	v_mov_b32_e32 v110, 0x7f800001
	v_bfe_u32 v43, v23, 16, 7
	v_mov_b32_e32 v111, 0
	s_mov_b32 s24, exec_lo
	s_delay_alu instid0(VALU_DEP_2)
	v_cmpx_ne_u32_e32 0x7f, v43
	s_cbranch_execz .LBB260_745
; %bb.742:                              ;   in Loop: Header=BB260_16 Depth=1
	v_and_b32_e32 v28, 7, v24
	v_lshrrev_b32_e32 v10, 3, v43
	s_mov_b32 s25, exec_lo
	v_cmpx_gt_u32_e32 8, v43
; %bb.743:                              ;   in Loop: Header=BB260_16 Depth=1
	s_delay_alu instid0(VALU_DEP_3) | instskip(NEXT) | instid1(VALU_DEP_1)
	v_clz_i32_u32_e32 v10, v28
	v_min_u32_e32 v10, 32, v10
	s_delay_alu instid0(VALU_DEP_1) | instskip(SKIP_1) | instid1(VALU_DEP_2)
	v_subrev_nc_u32_e32 v43, 28, v10
	v_sub_nc_u32_e32 v10, 29, v10
	v_lshlrev_b64 v[43:44], v43, v[28:29]
	s_delay_alu instid0(VALU_DEP_1)
	v_and_b32_e32 v28, 7, v43
; %bb.744:                              ;   in Loop: Header=BB260_16 Depth=1
	s_or_b32 exec_lo, exec_lo, s25
	v_lshlrev_b32_e32 v24, 24, v24
	s_delay_alu instid0(VALU_DEP_2) | instskip(SKIP_1) | instid1(VALU_DEP_3)
	v_lshlrev_b32_e32 v28, 20, v28
	v_lshl_add_u32 v10, v10, 23, 0x3c000000
	v_and_b32_e32 v24, 0x80000000, v24
	s_delay_alu instid0(VALU_DEP_1) | instskip(NEXT) | instid1(VALU_DEP_1)
	v_or3_b32 v28, v28, v24, v10
	v_dual_mov_b32 v111, v29 :: v_dual_mov_b32 v110, v28
.LBB260_745:                            ;   in Loop: Header=BB260_16 Depth=1
	s_or_b32 exec_lo, exec_lo, s24
.LBB260_746:                            ;   in Loop: Header=BB260_16 Depth=1
	s_delay_alu instid0(SALU_CYCLE_1)
	s_or_b32 exec_lo, exec_lo, s23
.LBB260_747:                            ;   in Loop: Header=BB260_16 Depth=1
	s_delay_alu instid0(SALU_CYCLE_1) | instskip(NEXT) | instid1(SALU_CYCLE_1)
	s_or_b32 exec_lo, exec_lo, s2
	s_mov_b32 s23, exec_lo
	v_cmpx_lt_u32_e32 0xffffff, v23
	s_cbranch_execz .LBB260_755
; %bb.748:                              ;   in Loop: Header=BB260_16 Depth=1
	v_lshrrev_b32_e32 v10, 24, v23
	v_dual_mov_b32 v107, s17 :: v_dual_mov_b32 v106, s16
	s_mov_b32 s24, exec_lo
	s_delay_alu instid0(VALU_DEP_2)
	v_cmpx_ne_u32_e32 0x80, v10
	s_cbranch_execz .LBB260_754
; %bb.749:                              ;   in Loop: Header=BB260_16 Depth=1
	s_mov_b32 s2, s16
	v_bfe_u32 v24, v23, 24, 7
	v_dual_mov_b32 v107, s3 :: v_dual_mov_b32 v106, s2
	s_mov_b32 s2, exec_lo
	s_delay_alu instid0(VALU_DEP_2)
	v_cmpx_ne_u32_e32 0x7f, v24
	s_cbranch_execz .LBB260_753
; %bb.750:                              ;   in Loop: Header=BB260_16 Depth=1
	v_and_b32_e32 v28, 7, v10
	v_lshrrev_b32_e32 v23, 3, v24
	s_mov_b32 s25, exec_lo
	v_cmpx_gt_u32_e32 8, v24
; %bb.751:                              ;   in Loop: Header=BB260_16 Depth=1
	s_delay_alu instid0(VALU_DEP_3) | instskip(NEXT) | instid1(VALU_DEP_1)
	v_clz_i32_u32_e32 v23, v28
	v_min_u32_e32 v23, 32, v23
	s_delay_alu instid0(VALU_DEP_1) | instskip(SKIP_1) | instid1(VALU_DEP_2)
	v_subrev_nc_u32_e32 v24, 28, v23
	v_sub_nc_u32_e32 v23, 29, v23
	v_lshlrev_b64 v[43:44], v24, v[28:29]
	s_delay_alu instid0(VALU_DEP_1)
	v_and_b32_e32 v28, 7, v43
; %bb.752:                              ;   in Loop: Header=BB260_16 Depth=1
	s_or_b32 exec_lo, exec_lo, s25
	v_lshlrev_b32_e32 v10, 24, v10
	s_delay_alu instid0(VALU_DEP_2) | instskip(SKIP_2) | instid1(VALU_DEP_4)
	v_lshlrev_b32_e32 v24, 20, v28
	v_lshl_add_u32 v23, v23, 23, 0x3c000000
	v_mov_b32_e32 v106, v29
	v_and_b32_e32 v10, 0x80000000, v10
	s_delay_alu instid0(VALU_DEP_1)
	v_or3_b32 v107, v24, v10, v23
.LBB260_753:                            ;   in Loop: Header=BB260_16 Depth=1
	s_or_b32 exec_lo, exec_lo, s2
.LBB260_754:                            ;   in Loop: Header=BB260_16 Depth=1
	s_delay_alu instid0(SALU_CYCLE_1)
	s_or_b32 exec_lo, exec_lo, s24
.LBB260_755:                            ;   in Loop: Header=BB260_16 Depth=1
	s_delay_alu instid0(SALU_CYCLE_1)
	s_or_b32 exec_lo, exec_lo, s23
	flat_load_b32 v123, v[92:93] offset:2572
	v_mov_b32_e32 v92, 0
	v_mov_b32_e32 v93, 0
	s_mov_b32 s2, exec_lo
	s_waitcnt vmcnt(0) lgkmcnt(0)
	s_delay_alu instid0(VALU_DEP_2) | instskip(NEXT) | instid1(VALU_DEP_2)
	v_dual_mov_b32 v43, v92 :: v_dual_and_b32 v10, 0xff, v123
	v_mov_b32_e32 v44, v93
	s_delay_alu instid0(VALU_DEP_2)
	v_cmpx_ne_u16_e32 0, v10
	s_cbranch_execz .LBB260_763
; %bb.756:                              ;   in Loop: Header=BB260_16 Depth=1
	v_bfrev_b32_e32 v43, 1
	v_mov_b32_e32 v44, 0
	s_mov_b32 s23, exec_lo
	v_cmpx_ne_u16_e32 0x80, v10
	s_cbranch_execz .LBB260_762
; %bb.757:                              ;   in Loop: Header=BB260_16 Depth=1
	v_mov_b32_e32 v43, 0x7f800001
	v_dual_mov_b32 v44, 0 :: v_dual_and_b32 v23, 0x7f, v123
	s_mov_b32 s24, exec_lo
	s_delay_alu instid0(VALU_DEP_1)
	v_cmpx_ne_u32_e32 0x7f, v23
	s_cbranch_execz .LBB260_761
; %bb.758:                              ;   in Loop: Header=BB260_16 Depth=1
	v_and_b32_e32 v28, 7, v123
	v_lshrrev_b32_e32 v10, 3, v23
	s_mov_b32 s25, exec_lo
	v_cmpx_gt_u32_e32 8, v23
; %bb.759:                              ;   in Loop: Header=BB260_16 Depth=1
	s_delay_alu instid0(VALU_DEP_3) | instskip(NEXT) | instid1(VALU_DEP_1)
	v_clz_i32_u32_e32 v10, v28
	v_min_u32_e32 v10, 32, v10
	s_delay_alu instid0(VALU_DEP_1) | instskip(SKIP_1) | instid1(VALU_DEP_2)
	v_subrev_nc_u32_e32 v23, 28, v10
	v_sub_nc_u32_e32 v10, 29, v10
	v_lshlrev_b64 v[23:24], v23, v[28:29]
	s_delay_alu instid0(VALU_DEP_1)
	v_and_b32_e32 v28, 7, v23
; %bb.760:                              ;   in Loop: Header=BB260_16 Depth=1
	s_or_b32 exec_lo, exec_lo, s25
	v_lshlrev_b32_e32 v23, 24, v123
	s_delay_alu instid0(VALU_DEP_2) | instskip(SKIP_1) | instid1(VALU_DEP_3)
	v_lshlrev_b32_e32 v24, 20, v28
	v_lshl_add_u32 v10, v10, 23, 0x3c000000
	v_and_b32_e32 v23, 0x80000000, v23
	s_delay_alu instid0(VALU_DEP_1) | instskip(NEXT) | instid1(VALU_DEP_1)
	v_or3_b32 v28, v24, v23, v10
	v_dual_mov_b32 v44, v29 :: v_dual_mov_b32 v43, v28
.LBB260_761:                            ;   in Loop: Header=BB260_16 Depth=1
	s_or_b32 exec_lo, exec_lo, s24
.LBB260_762:                            ;   in Loop: Header=BB260_16 Depth=1
	s_delay_alu instid0(SALU_CYCLE_1)
	s_or_b32 exec_lo, exec_lo, s23
.LBB260_763:                            ;   in Loop: Header=BB260_16 Depth=1
	s_delay_alu instid0(SALU_CYCLE_1) | instskip(SKIP_2) | instid1(VALU_DEP_1)
	s_or_b32 exec_lo, exec_lo, s2
	v_lshrrev_b16 v10, 8, v123
	s_mov_b32 s23, exec_lo
	v_cmpx_ne_u16_e32 0, v10
	s_cbranch_execz .LBB260_771
; %bb.764:                              ;   in Loop: Header=BB260_16 Depth=1
	v_dual_mov_b32 v93, s17 :: v_dual_mov_b32 v92, s16
	s_mov_b32 s24, exec_lo
	v_cmpx_ne_u16_e32 0x80, v10
	s_cbranch_execz .LBB260_770
; %bb.765:                              ;   in Loop: Header=BB260_16 Depth=1
	s_mov_b32 s2, s16
	v_dual_mov_b32 v93, s3 :: v_dual_and_b32 v10, 0xffff, v10
	v_mov_b32_e32 v92, s2
	s_mov_b32 s2, exec_lo
	s_delay_alu instid0(VALU_DEP_2) | instskip(NEXT) | instid1(VALU_DEP_1)
	v_and_b32_e32 v23, 0x7f, v10
	v_cmpx_ne_u32_e32 0x7f, v23
	s_cbranch_execz .LBB260_769
; %bb.766:                              ;   in Loop: Header=BB260_16 Depth=1
	v_and_b32_e32 v28, 7, v10
	v_lshrrev_b32_e32 v10, 3, v23
	s_mov_b32 s25, exec_lo
	v_cmpx_gt_u32_e32 8, v23
; %bb.767:                              ;   in Loop: Header=BB260_16 Depth=1
	s_delay_alu instid0(VALU_DEP_3) | instskip(NEXT) | instid1(VALU_DEP_1)
	v_clz_i32_u32_e32 v10, v28
	v_min_u32_e32 v10, 32, v10
	s_delay_alu instid0(VALU_DEP_1) | instskip(SKIP_1) | instid1(VALU_DEP_2)
	v_subrev_nc_u32_e32 v23, 28, v10
	v_sub_nc_u32_e32 v10, 29, v10
	v_lshlrev_b64 v[23:24], v23, v[28:29]
	s_delay_alu instid0(VALU_DEP_1)
	v_and_b32_e32 v28, 7, v23
; %bb.768:                              ;   in Loop: Header=BB260_16 Depth=1
	s_or_b32 exec_lo, exec_lo, s25
	v_dual_mov_b32 v92, v29 :: v_dual_lshlrev_b32 v23, 16, v123
	s_delay_alu instid0(VALU_DEP_2) | instskip(SKIP_1) | instid1(VALU_DEP_3)
	v_lshlrev_b32_e32 v24, 20, v28
	v_lshl_add_u32 v10, v10, 23, 0x3c000000
	v_and_b32_e32 v23, 0x80000000, v23
	s_delay_alu instid0(VALU_DEP_1)
	v_or3_b32 v93, v24, v23, v10
.LBB260_769:                            ;   in Loop: Header=BB260_16 Depth=1
	s_or_b32 exec_lo, exec_lo, s2
.LBB260_770:                            ;   in Loop: Header=BB260_16 Depth=1
	s_delay_alu instid0(SALU_CYCLE_1)
	s_or_b32 exec_lo, exec_lo, s24
.LBB260_771:                            ;   in Loop: Header=BB260_16 Depth=1
	s_delay_alu instid0(SALU_CYCLE_1) | instskip(SKIP_4) | instid1(VALU_DEP_1)
	s_or_b32 exec_lo, exec_lo, s23
	v_lshrrev_b32_e32 v10, 16, v123
	v_mov_b32_e32 v23, 0
	v_mov_b32_e32 v24, 0
	s_mov_b32 s2, exec_lo
	v_dual_mov_b32 v77, v24 :: v_dual_and_b32 v28, 0xff, v10
	s_delay_alu instid0(VALU_DEP_3) | instskip(NEXT) | instid1(VALU_DEP_2)
	v_mov_b32_e32 v76, v23
	v_cmpx_ne_u16_e32 0, v28
	s_cbranch_execz .LBB260_779
; %bb.772:                              ;   in Loop: Header=BB260_16 Depth=1
	v_bfrev_b32_e32 v76, 1
	v_mov_b32_e32 v77, 0
	s_mov_b32 s23, exec_lo
	v_cmpx_ne_u16_e32 0x80, v28
	s_cbranch_execz .LBB260_778
; %bb.773:                              ;   in Loop: Header=BB260_16 Depth=1
	v_mov_b32_e32 v76, 0x7f800001
	v_bfe_u32 v126, v123, 16, 7
	v_mov_b32_e32 v77, 0
	s_mov_b32 s24, exec_lo
	s_delay_alu instid0(VALU_DEP_2)
	v_cmpx_ne_u32_e32 0x7f, v126
	s_cbranch_execz .LBB260_777
; %bb.774:                              ;   in Loop: Header=BB260_16 Depth=1
	v_and_b32_e32 v28, 7, v10
	v_lshrrev_b32_e32 v76, 3, v126
	s_mov_b32 s25, exec_lo
	v_cmpx_gt_u32_e32 8, v126
	s_cbranch_execz .LBB260_776
; %bb.775:                              ;   in Loop: Header=BB260_16 Depth=1
	v_clz_i32_u32_e32 v76, v28
	s_delay_alu instid0(VALU_DEP_1) | instskip(NEXT) | instid1(VALU_DEP_1)
	v_min_u32_e32 v76, 32, v76
	v_subrev_nc_u32_e32 v77, 28, v76
	v_sub_nc_u32_e32 v76, 29, v76
	s_delay_alu instid0(VALU_DEP_2)
	v_lshlrev_b64 v[126:127], v77, v[28:29]
	scratch_load_b32 v127, off, s32 offset:872 ; 4-byte Folded Reload
	v_and_b32_e32 v28, 7, v126
.LBB260_776:                            ;   in Loop: Header=BB260_16 Depth=1
	s_or_b32 exec_lo, exec_lo, s25
	v_lshlrev_b32_e32 v10, 24, v10
	s_delay_alu instid0(VALU_DEP_2) | instskip(SKIP_1) | instid1(VALU_DEP_3)
	v_lshlrev_b32_e32 v28, 20, v28
	v_lshl_add_u32 v76, v76, 23, 0x3c000000
	v_and_b32_e32 v10, 0x80000000, v10
	s_delay_alu instid0(VALU_DEP_1) | instskip(NEXT) | instid1(VALU_DEP_1)
	v_or3_b32 v28, v28, v10, v76
	v_dual_mov_b32 v77, v29 :: v_dual_mov_b32 v76, v28
.LBB260_777:                            ;   in Loop: Header=BB260_16 Depth=1
	s_or_b32 exec_lo, exec_lo, s24
	scratch_load_b32 v126, off, s32 offset:864 ; 4-byte Folded Reload
.LBB260_778:                            ;   in Loop: Header=BB260_16 Depth=1
	s_or_b32 exec_lo, exec_lo, s23
.LBB260_779:                            ;   in Loop: Header=BB260_16 Depth=1
	s_delay_alu instid0(SALU_CYCLE_1) | instskip(NEXT) | instid1(SALU_CYCLE_1)
	s_or_b32 exec_lo, exec_lo, s2
	s_mov_b32 s23, exec_lo
	v_cmpx_lt_u32_e32 0xffffff, v123
	s_cbranch_execz .LBB260_14
; %bb.780:                              ;   in Loop: Header=BB260_16 Depth=1
	v_lshrrev_b32_e32 v10, 24, v123
	v_dual_mov_b32 v24, s17 :: v_dual_mov_b32 v23, s16
	s_mov_b32 s24, exec_lo
	s_delay_alu instid0(VALU_DEP_2)
	v_cmpx_ne_u32_e32 0x80, v10
	s_cbranch_execz .LBB260_13
; %bb.781:                              ;   in Loop: Header=BB260_16 Depth=1
	s_mov_b32 s2, s16
	v_bfe_u32 v123, v123, 24, 7
	v_dual_mov_b32 v24, s3 :: v_dual_mov_b32 v23, s2
	s_mov_b32 s2, exec_lo
	s_delay_alu instid0(VALU_DEP_2)
	v_cmpx_ne_u32_e32 0x7f, v123
	s_cbranch_execz .LBB260_12
; %bb.782:                              ;   in Loop: Header=BB260_16 Depth=1
	v_and_b32_e32 v28, 7, v10
	v_lshrrev_b32_e32 v23, 3, v123
	s_mov_b32 s25, exec_lo
	v_cmpx_gt_u32_e32 8, v123
	s_cbranch_execz .LBB260_11
; %bb.783:                              ;   in Loop: Header=BB260_16 Depth=1
	v_clz_i32_u32_e32 v23, v28
	s_delay_alu instid0(VALU_DEP_1) | instskip(NEXT) | instid1(VALU_DEP_1)
	v_min_u32_e32 v23, 32, v23
	v_subrev_nc_u32_e32 v24, 28, v23
	v_sub_nc_u32_e32 v23, 29, v23
	s_waitcnt vmcnt(0)
	s_delay_alu instid0(VALU_DEP_2)
	v_lshlrev_b64 v[126:127], v24, v[28:29]
	scratch_load_b32 v127, off, s32 offset:872 ; 4-byte Folded Reload
	v_and_b32_e32 v28, 7, v126
	scratch_load_b32 v126, off, s32 offset:864 ; 4-byte Folded Reload
	s_branch .LBB260_11
.LBB260_784:
	s_or_b32 exec_lo, exec_lo, s21
	s_clause 0xe
	scratch_load_b32 v15, off, s32 offset:876
	scratch_load_b32 v14, off, s32 offset:880
	;; [unrolled: 1-line block ×9, first 2 shown]
	scratch_load_b64 v[11:12], off, s32 offset:908
	scratch_load_b32 v19, off, s32 offset:916
	scratch_load_b32 v16, off, s32 offset:920
	;; [unrolled: 1-line block ×5, first 2 shown]
.LBB260_785:
	s_or_b32 exec_lo, exec_lo, s20
	v_mbcnt_lo_u32_b32 v0, -1, 0
	s_waitcnt lgkmcnt(0)
	s_lshr_b32 s8, s19, 16
	v_max_f32_e32 v4, v139, v139
	s_delay_alu instid0(VALU_DEP_2) | instskip(SKIP_2) | instid1(VALU_DEP_3)
	v_xor_b32_e32 v1, 16, v0
	v_xor_b32_e32 v3, 8, v0
	;; [unrolled: 1-line block ×3, first 2 shown]
	v_cmp_gt_i32_e32 vcc_lo, 32, v1
	v_cndmask_b32_e32 v1, v0, v1, vcc_lo
	s_delay_alu instid0(VALU_DEP_4) | instskip(NEXT) | instid1(VALU_DEP_2)
	v_cmp_gt_i32_e32 vcc_lo, 32, v3
	v_dual_cndmask_b32 v3, v0, v3 :: v_dual_lshlrev_b32 v2, 2, v1
	v_cmp_gt_i32_e32 vcc_lo, 32, v5
	ds_bpermute_b32 v1, v2, v139
	v_lshlrev_b32_e32 v3, 2, v3
	v_cndmask_b32_e32 v5, v0, v5, vcc_lo
	s_delay_alu instid0(VALU_DEP_1) | instskip(SKIP_1) | instid1(VALU_DEP_1)
	v_lshlrev_b32_e32 v23, 2, v5
	v_xor_b32_e32 v5, 2, v0
	v_cmp_gt_i32_e32 vcc_lo, 32, v5
	v_cndmask_b32_e32 v5, v0, v5, vcc_lo
	s_waitcnt lgkmcnt(0)
	v_max_f32_e32 v1, v1, v1
	s_delay_alu instid0(VALU_DEP_2) | instskip(SKIP_1) | instid1(VALU_DEP_3)
	v_lshlrev_b32_e32 v22, 2, v5
	v_xor_b32_e32 v5, 1, v0
	v_max_f32_e32 v1, v4, v1
	s_delay_alu instid0(VALU_DEP_2) | instskip(SKIP_3) | instid1(VALU_DEP_1)
	v_cmp_gt_i32_e32 vcc_lo, 32, v5
	ds_bpermute_b32 v4, v3, v1
	v_cndmask_b32_e32 v5, v0, v5, vcc_lo
	s_waitcnt lgkmcnt(0)
	v_dual_max_f32 v4, v4, v4 :: v_dual_lshlrev_b32 v21, 2, v5
	s_delay_alu instid0(VALU_DEP_1) | instskip(SKIP_3) | instid1(VALU_DEP_1)
	v_max_f32_e32 v1, v1, v4
	ds_bpermute_b32 v4, v23, v1
	s_waitcnt lgkmcnt(0)
	v_max_f32_e32 v4, v4, v4
	v_max_f32_e32 v1, v1, v4
	ds_bpermute_b32 v4, v22, v1
	s_waitcnt lgkmcnt(0)
	v_max_f32_e32 v4, v4, v4
	s_delay_alu instid0(VALU_DEP_1)
	v_max_f32_e32 v0, v1, v4
	scratch_load_b32 v4, off, s32 offset:440 ; 4-byte Folded Reload
	ds_bpermute_b32 v1, v21, v0
	s_waitcnt vmcnt(0)
	v_cmp_eq_u32_e32 vcc_lo, 0, v4
	scratch_load_b32 v4, off, s32 offset:860 ; 4-byte Folded Reload
	s_waitcnt vmcnt(0)
	v_lshlrev_b32_e32 v4, 2, v4
	s_and_saveexec_b32 s1, vcc_lo
	s_cbranch_execz .LBB260_787
; %bb.786:
	s_waitcnt lgkmcnt(0)
	v_dual_max_f32 v1, v1, v1 :: v_dual_max_f32 v0, v0, v0
	s_delay_alu instid0(VALU_DEP_1)
	v_max_f32_e32 v0, v0, v1
	ds_store_b32 v4, v0 offset:384
.LBB260_787:
	s_or_b32 exec_lo, exec_lo, s1
	scratch_load_b32 v0, off, s32 offset:440 ; 4-byte Folded Reload
	s_waitcnt vmcnt(0) lgkmcnt(0)
	s_waitcnt_vscnt null, 0x0
	s_barrier
	buffer_gl0_inv
	v_cmp_gt_u32_e64 s1, 4, v0
	v_mov_b32_e32 v0, 0xff7fffff
	s_delay_alu instid0(VALU_DEP_2)
	s_and_saveexec_b32 s2, s1
	s_cbranch_execz .LBB260_789
; %bb.788:
	ds_load_b32 v0, v10 offset:384
.LBB260_789:
	s_or_b32 exec_lo, exec_lo, s2
	scratch_load_b32 v5, off, s32 offset:344 ; 4-byte Folded Reload
	s_waitcnt lgkmcnt(0)
	ds_bpermute_b32 v1, v22, v0
	s_waitcnt lgkmcnt(0)
	v_dual_max_f32 v0, v0, v0 :: v_dual_max_f32 v1, v1, v1
	s_delay_alu instid0(VALU_DEP_1)
	v_max_f32_e32 v0, v0, v1
	s_waitcnt vmcnt(0)
	v_subrev_nc_u32_e32 v6, s13, v5
	v_mov_b32_e32 v5, 0
	ds_bpermute_b32 v1, v21, v0
	s_waitcnt lgkmcnt(0)
	v_max_f32_e32 v1, v1, v1
	s_delay_alu instid0(VALU_DEP_1) | instskip(SKIP_3) | instid1(VALU_DEP_1)
	v_max_f32_e32 v0, v0, v1
	v_lshl_add_u32 v1, v6, 5, s15
	ds_bpermute_b32 v0, v5, v0
	v_min_i32_e32 v1, v1, v25
	v_subrev_nc_u32_e32 v1, s15, v1
	s_delay_alu instid0(VALU_DEP_1) | instskip(NEXT) | instid1(VALU_DEP_1)
	v_cmp_lt_i32_e64 s2, v126, v1
	s_and_saveexec_b32 s9, s2
	s_cbranch_execz .LBB260_793
; %bb.790:
	s_getpc_b64 s[16:17]
	s_add_u32 s16, s16, llvm.amdgcn.dynlds.offset.table@rel32@lo+4
	s_addc_u32 s17, s17, llvm.amdgcn.dynlds.offset.table@rel32@hi+12
	s_ashr_i32 s7, s6, 31
	v_mov_b32_e32 v5, 0
	s_lshl_b64 s[20:21], s[6:7], 2
	v_mov_b32_e32 v7, v126
	s_add_u32 s16, s20, s16
	s_addc_u32 s17, s21, s17
	s_mov_b32 s7, 0
	s_load_b32 s3, s[16:17], 0x0
	s_waitcnt lgkmcnt(0)
	v_lshl_add_u32 v6, v126, 2, s3
	.p2align	6
.LBB260_791:                            ; =>This Inner Loop Header: Depth=1
	ds_load_b32 v8, v6
	v_add_nc_u32_e32 v7, 0x80, v7
	s_delay_alu instid0(VALU_DEP_1) | instskip(NEXT) | instid1(VALU_DEP_1)
	v_cmp_ge_i32_e64 s3, v7, v1
	s_or_b32 s7, s3, s7
	s_waitcnt lgkmcnt(0)
	v_sub_f32_e32 v8, v8, v0
	s_delay_alu instid0(VALU_DEP_1) | instskip(NEXT) | instid1(VALU_DEP_1)
	v_mul_f32_e32 v8, 0x3fb8aa3b, v8
	v_exp_f32_e32 v8, v8
	ds_store_b32 v6, v8
	v_dual_add_f32 v5, v5, v8 :: v_dual_add_nc_u32 v6, 0x200, v6
	s_and_not1_b32 exec_lo, exec_lo, s7
	s_cbranch_execnz .LBB260_791
; %bb.792:
	s_or_b32 exec_lo, exec_lo, s7
.LBB260_793:
	s_delay_alu instid0(SALU_CYCLE_1)
	s_or_b32 exec_lo, exec_lo, s9
	ds_bpermute_b32 v2, v2, v5
	s_waitcnt lgkmcnt(0)
	v_add_f32_e32 v2, v5, v2
	ds_bpermute_b32 v3, v3, v2
	s_waitcnt lgkmcnt(0)
	v_add_f32_e32 v2, v2, v3
	;; [unrolled: 3-line block ×5, first 2 shown]
	s_and_saveexec_b32 s3, vcc_lo
	s_cbranch_execz .LBB260_795
; %bb.794:
	ds_store_b32 v4, v2 offset:400
.LBB260_795:
	s_or_b32 exec_lo, exec_lo, s3
	s_waitcnt lgkmcnt(0)
	s_barrier
	buffer_gl0_inv
	s_and_saveexec_b32 s3, s1
	s_cbranch_execz .LBB260_797
; %bb.796:
	ds_load_b32 v2, v10 offset:400
.LBB260_797:
	s_or_b32 exec_lo, exec_lo, s3
	s_waitcnt lgkmcnt(0)
	ds_bpermute_b32 v3, v22, v2
	s_waitcnt lgkmcnt(0)
	v_add_f32_e32 v2, v2, v3
	ds_bpermute_b32 v3, v21, v2
	s_waitcnt lgkmcnt(0)
	v_dual_add_f32 v2, v2, v3 :: v_dual_mov_b32 v3, 0
	ds_bpermute_b32 v2, v3, v2
	s_and_saveexec_b32 s1, s2
	s_cbranch_execz .LBB260_800
; %bb.798:
	s_waitcnt lgkmcnt(0)
	v_add_f32_e32 v4, 0x358637bd, v2
	s_getpc_b64 s[2:3]
	s_add_u32 s2, s2, llvm.amdgcn.dynlds.offset.table@rel32@lo+4
	s_addc_u32 s3, s3, llvm.amdgcn.dynlds.offset.table@rel32@hi+12
	s_ashr_i32 s7, s6, 31
	s_delay_alu instid0(SALU_CYCLE_1) | instskip(SKIP_4) | instid1(VALU_DEP_1)
	s_lshl_b64 s[16:17], s[6:7], 2
	v_div_scale_f32 v3, null, v4, v4, 1.0
	s_add_u32 s2, s16, s2
	s_addc_u32 s3, s17, s3
	s_load_b32 s2, s[2:3], 0x0
	v_rcp_f32_e32 v5, v3
	s_waitcnt_depctr 0xfff
	v_fma_f32 v6, -v3, v5, 1.0
	s_delay_alu instid0(VALU_DEP_1) | instskip(SKIP_1) | instid1(VALU_DEP_1)
	v_fmac_f32_e32 v5, v6, v5
	v_div_scale_f32 v7, vcc_lo, 1.0, v4, 1.0
	v_mul_f32_e32 v6, v7, v5
	s_delay_alu instid0(VALU_DEP_1) | instskip(NEXT) | instid1(VALU_DEP_1)
	v_fma_f32 v8, -v3, v6, v7
	v_fmac_f32_e32 v6, v8, v5
	s_delay_alu instid0(VALU_DEP_1) | instskip(NEXT) | instid1(VALU_DEP_1)
	v_fma_f32 v3, -v3, v6, v7
	v_div_fmas_f32 v5, v3, v5, v6
	s_waitcnt lgkmcnt(0)
	v_lshl_add_u32 v3, v126, 2, s2
	s_mov_b32 s2, 0
	s_delay_alu instid0(VALU_DEP_2)
	v_div_fixup_f32 v4, v5, v4, 1.0
	v_mov_b32_e32 v5, v126
.LBB260_799:                            ; =>This Inner Loop Header: Depth=1
	ds_load_b32 v6, v3
	s_waitcnt lgkmcnt(0)
	v_dual_mul_f32 v6, v4, v6 :: v_dual_add_nc_u32 v5, 0x80, v5
	s_delay_alu instid0(VALU_DEP_1) | instskip(SKIP_3) | instid1(SALU_CYCLE_1)
	v_cmp_ge_i32_e32 vcc_lo, v5, v1
	ds_store_b32 v3, v6
	v_add_nc_u32_e32 v3, 0x200, v3
	s_or_b32 s2, vcc_lo, s2
	s_and_not1_b32 exec_lo, exec_lo, s2
	s_cbranch_execnz .LBB260_799
.LBB260_800:
	s_or_b32 exec_lo, exec_lo, s1
	v_cmp_ne_u16_e64 s1, s8, 0
	s_waitcnt lgkmcnt(0)
	s_barrier
	buffer_gl0_inv
	s_cmp_lg_u32 s1, 0
	s_addc_u32 s1, s5, 0
	s_mov_b32 s5, exec_lo
	s_mul_i32 s2, s1, s10
	s_delay_alu instid0(SALU_CYCLE_1)
	s_mul_i32 s2, s2, s11
	v_cmpx_eq_u32_e32 0, v126
	s_cbranch_execz .LBB260_802
; %bb.801:
	s_mul_i32 s8, s1, s12
	s_ashr_i32 s15, s14, 31
	s_ashr_i32 s9, s8, 31
	s_ashr_i32 s3, s2, 31
	s_lshl_b64 s[8:9], s[8:9], 2
	s_lshl_b64 s[10:11], s[14:15], 2
	;; [unrolled: 1-line block ×3, first 2 shown]
	s_add_u32 s3, s10, s8
	s_addc_u32 s7, s11, s9
	s_add_u32 s3, s3, s12
	s_addc_u32 s7, s7, s13
	v_add_co_u32 v3, vcc_lo, s3, v32
	v_add_co_ci_u32_e32 v4, vcc_lo, s7, v27, vcc_lo
	v_add_co_u32 v5, vcc_lo, s3, v26
	v_add_co_ci_u32_e32 v6, vcc_lo, s7, v24, vcc_lo
	flat_store_b32 v[3:4], v0
	flat_store_b32 v[5:6], v2
.LBB260_802:
	s_or_b32 exec_lo, exec_lo, s5
	s_ashr_i32 s7, s6, 31
	s_getpc_b64 s[8:9]
	s_add_u32 s8, s8, llvm.amdgcn.dynlds.offset.table@rel32@lo+4
	s_addc_u32 s9, s9, llvm.amdgcn.dynlds.offset.table@rel32@hi+12
	s_lshl_b64 s[6:7], s[6:7], 2
	v_dual_mov_b32 v65, 0 :: v_dual_and_b32 v24, 7, v126
	v_dual_mov_b32 v66, 0 :: v_dual_mov_b32 v55, 0
	v_dual_mov_b32 v64, 0 :: v_dual_mov_b32 v53, 0
	v_dual_mov_b32 v54, 0 :: v_dual_mov_b32 v51, 0
	v_dual_mov_b32 v52, 0 :: v_dual_mov_b32 v49, 0
	v_dual_mov_b32 v50, 0 :: v_dual_mov_b32 v39, 0
	v_dual_mov_b32 v48, 0 :: v_dual_mov_b32 v37, 0
	v_dual_mov_b32 v38, 0 :: v_dual_mov_b32 v35, 0
	v_dual_mov_b32 v36, 0 :: v_dual_mov_b32 v33, 0
	v_dual_mov_b32 v34, 0 :: v_dual_mov_b32 v31, 0
	v_dual_mov_b32 v32, 0 :: v_dual_mov_b32 v29, 0
	v_dual_mov_b32 v28, 0 :: v_dual_mov_b32 v27, 0
	v_mov_b32_e32 v26, 0
	s_add_u32 s6, s6, s8
	s_addc_u32 s7, s7, s9
	s_mov_b32 s8, 0
	s_and_saveexec_b32 s3, s0
	s_cbranch_execz .LBB260_1624
; %bb.803:
	scratch_load_b32 v9, off, s32 offset:860 ; 4-byte Folded Reload
	v_max_i32_e32 v67, v30, v17
	s_load_b32 s0, s[6:7], 0x0
	v_dual_mov_b32 v7, 0 :: v_dual_lshlrev_b32 v2, 2, v126
	v_add_co_u32 v3, vcc_lo, v69, v19
	s_delay_alu instid0(VALU_DEP_3) | instskip(SKIP_3) | instid1(VALU_DEP_4)
	v_cvt_f32_u32_e32 v0, v67
	v_sub_nc_u32_e32 v8, 0, v67
	v_add_co_ci_u32_e32 v4, vcc_lo, v68, v18, vcc_lo
	v_dual_mov_b32 v29, 0 :: v_dual_lshlrev_b32 v6, 4, v24
	v_rcp_iflag_f32_e32 v5, v0
	v_mov_b32_e32 v28, 0
	v_lshlrev_b64 v[0:1], 2, v[56:57]
	v_dual_mov_b32 v38, 0 :: v_dual_and_b32 v69, 28, v2
	v_dual_mov_b32 v39, 0 :: v_dual_and_b32 v2, 0x7c, v2
	v_dual_mov_b32 v27, 0 :: v_dual_add_nc_u32 v68, -1, v16
	s_delay_alu instid0(VALU_DEP_4) | instskip(NEXT) | instid1(TRANS32_DEP_1)
	v_add_co_u32 v0, vcc_lo, v11, v0
	v_mul_f32_e32 v5, 0x4f7ffffe, v5
	v_add_co_ci_u32_e32 v1, vcc_lo, v12, v1, vcc_lo
	v_dual_mov_b32 v26, 0 :: v_dual_mov_b32 v31, 0
	s_delay_alu instid0(VALU_DEP_3) | instskip(SKIP_2) | instid1(VALU_DEP_3)
	v_cvt_u32_f32_e32 v5, v5
	v_dual_mov_b32 v32, 0 :: v_dual_mov_b32 v33, 0
	v_dual_mov_b32 v34, 0 :: v_dual_mov_b32 v35, 0
	v_mul_lo_u32 v8, v8, v5
	v_dual_mov_b32 v36, 0 :: v_dual_mov_b32 v37, 0
	v_dual_mov_b32 v50, 0 :: v_dual_mov_b32 v51, 0
	;; [unrolled: 1-line block ×4, first 2 shown]
	v_mul_hi_u32 v12, v5, v8
	v_add_co_u32 v8, vcc_lo, v3, v2
	v_mov_b32_e32 v48, 0
	v_dual_mov_b32 v64, 0 :: v_dual_mov_b32 v65, 0
	v_mov_b32_e32 v66, 0
	s_brev_b32 s9, 1
	v_add_nc_u32_e32 v71, v5, v12
	s_mov_b32 s11, 0x7f800001
	s_mov_b32 s5, s8
	v_mov_b32_e32 v49, 0
	s_waitcnt vmcnt(0)
	v_lshl_or_b32 v6, v9, 7, v6
	v_add_co_ci_u32_e32 v9, vcc_lo, 0, v4, vcc_lo
	v_add_co_u32 v10, vcc_lo, v14, v0
	v_add_co_ci_u32_e32 v11, vcc_lo, v15, v1, vcc_lo
	s_waitcnt lgkmcnt(0)
	v_add_nc_u32_e32 v70, s0, v6
	s_branch .LBB260_806
.LBB260_804:                            ;   in Loop: Header=BB260_806 Depth=1
	s_or_b32 exec_lo, exec_lo, s0
	v_mul_f32_e32 v16, v1, v92
	v_mul_f32_e32 v15, v1, v104
	v_mul_f32_e32 v14, v1, v108
	v_mul_f32_e32 v13, v1, v110
	s_delay_alu instid0(VALU_DEP_4) | instskip(NEXT) | instid1(VALU_DEP_4)
	v_dual_mul_f32 v17, v1, v88 :: v_dual_fmac_f32 v16, v0, v91
	v_fmac_f32_e32 v15, v0, v95
	s_delay_alu instid0(VALU_DEP_4) | instskip(NEXT) | instid1(VALU_DEP_3)
	v_fmac_f32_e32 v14, v0, v107
	v_dual_fmac_f32 v13, v0, v109 :: v_dual_fmac_f32 v16, v2, v90
	s_delay_alu instid0(VALU_DEP_1) | instskip(NEXT) | instid1(VALU_DEP_1)
	v_dual_fmac_f32 v15, v2, v94 :: v_dual_fmac_f32 v16, v3, v89
	v_dual_fmac_f32 v14, v2, v106 :: v_dual_fmac_f32 v15, v3, v93
	s_delay_alu instid0(VALU_DEP_1) | instskip(NEXT) | instid1(VALU_DEP_2)
	v_dual_fmac_f32 v13, v2, v19 :: v_dual_fmac_f32 v14, v3, v105
	v_add_f32_e32 v29, v29, v15
	s_delay_alu instid0(VALU_DEP_2) | instskip(NEXT) | instid1(VALU_DEP_3)
	v_fmac_f32_e32 v13, v3, v18
	v_add_f32_e32 v28, v28, v14
	s_delay_alu instid0(VALU_DEP_2) | instskip(SKIP_1) | instid1(VALU_DEP_2)
	v_dual_mul_f32 v14, v1, v72 :: v_dual_add_f32 v27, v27, v13
	v_dual_add_f32 v31, v31, v16 :: v_dual_mul_f32 v16, v1, v47
	v_dual_mul_f32 v13, v1, v76 :: v_dual_fmac_f32 v14, v0, v63
	s_delay_alu instid0(VALU_DEP_2) | instskip(NEXT) | instid1(VALU_DEP_2)
	v_dual_mul_f32 v15, v1, v60 :: v_dual_fmac_f32 v16, v0, v46
	v_dual_fmac_f32 v17, v0, v79 :: v_dual_fmac_f32 v14, v2, v62
	s_delay_alu instid0(VALU_DEP_2) | instskip(NEXT) | instid1(VALU_DEP_2)
	v_dual_fmac_f32 v13, v0, v75 :: v_dual_fmac_f32 v16, v2, v45
	v_dual_fmac_f32 v15, v0, v59 :: v_dual_fmac_f32 v14, v3, v61
	s_delay_alu instid0(VALU_DEP_2) | instskip(NEXT) | instid1(VALU_DEP_2)
	v_dual_fmac_f32 v16, v3, v44 :: v_dual_fmac_f32 v17, v2, v78
	v_fmac_f32_e32 v15, v2, v58
	s_delay_alu instid0(VALU_DEP_3) | instskip(SKIP_1) | instid1(VALU_DEP_4)
	v_add_f32_e32 v34, v34, v14
	v_mul_f32_e32 v14, v1, v183
	v_dual_add_f32 v36, v36, v16 :: v_dual_fmac_f32 v17, v3, v77
	v_fmac_f32_e32 v13, v2, v74
	s_delay_alu instid0(VALU_DEP_3) | instskip(SKIP_1) | instid1(VALU_DEP_4)
	v_dual_fmac_f32 v15, v3, v57 :: v_dual_fmac_f32 v14, v0, v182
	v_mul_f32_e32 v16, v1, v167
	v_add_f32_e32 v32, v32, v17
	s_delay_alu instid0(VALU_DEP_4) | instskip(NEXT) | instid1(VALU_DEP_4)
	v_fmac_f32_e32 v13, v3, v73
	v_dual_add_f32 v35, v35, v15 :: v_dual_fmac_f32 v14, v2, v181
	s_delay_alu instid0(VALU_DEP_4) | instskip(NEXT) | instid1(VALU_DEP_3)
	v_dual_fmac_f32 v16, v0, v166 :: v_dual_mul_f32 v15, v1, v179
	v_add_f32_e32 v33, v33, v13
	s_delay_alu instid0(VALU_DEP_3) | instskip(NEXT) | instid1(VALU_DEP_3)
	v_dual_mul_f32 v13, v1, v43 :: v_dual_fmac_f32 v14, v3, v180
	v_dual_fmac_f32 v16, v2, v165 :: v_dual_mul_f32 v17, v1, v163
	s_delay_alu instid0(VALU_DEP_4) | instskip(NEXT) | instid1(VALU_DEP_3)
	v_fmac_f32_e32 v15, v0, v178
	v_fmac_f32_e32 v13, v0, v42
	s_delay_alu instid0(VALU_DEP_4) | instskip(NEXT) | instid1(VALU_DEP_4)
	v_add_f32_e32 v38, v38, v14
	v_fmac_f32_e32 v16, v3, v164
	s_delay_alu instid0(VALU_DEP_3) | instskip(NEXT) | instid1(VALU_DEP_2)
	v_dual_mul_f32 v14, v1, v147 :: v_dual_fmac_f32 v13, v2, v41
	v_add_f32_e32 v48, v48, v16
	v_dual_mul_f32 v16, v1, v131 :: v_dual_fmac_f32 v15, v2, v177
	s_delay_alu instid0(VALU_DEP_3) | instskip(SKIP_1) | instid1(VALU_DEP_3)
	v_fmac_f32_e32 v14, v0, v146
	v_fmac_f32_e32 v17, v0, v162
	v_dual_fmac_f32 v16, v0, v130 :: v_dual_fmac_f32 v13, v3, v40
	s_delay_alu instid0(VALU_DEP_3) | instskip(NEXT) | instid1(VALU_DEP_3)
	v_fmac_f32_e32 v14, v2, v145
	v_fmac_f32_e32 v17, v2, v161
	s_delay_alu instid0(VALU_DEP_3) | instskip(NEXT) | instid1(VALU_DEP_3)
	v_fmac_f32_e32 v16, v2, v129
	v_dual_add_f32 v37, v37, v13 :: v_dual_fmac_f32 v14, v3, v144
	s_delay_alu instid0(VALU_DEP_2) | instskip(NEXT) | instid1(VALU_DEP_2)
	v_dual_mul_f32 v13, v1, v151 :: v_dual_fmac_f32 v16, v3, v128
	v_add_f32_e32 v51, v51, v14
	s_delay_alu instid0(VALU_DEP_2) | instskip(NEXT) | instid1(VALU_DEP_3)
	v_dual_fmac_f32 v13, v0, v150 :: v_dual_mul_f32 v14, v1, v103
	v_add_f32_e32 v53, v53, v16
	s_delay_alu instid0(VALU_DEP_2) | instskip(NEXT) | instid1(VALU_DEP_3)
	v_dual_mul_f32 v16, v1, v83 :: v_dual_fmac_f32 v13, v2, v149
	v_fmac_f32_e32 v14, v0, v102
	s_delay_alu instid0(VALU_DEP_2) | instskip(NEXT) | instid1(VALU_DEP_2)
	v_dual_fmac_f32 v16, v0, v82 :: v_dual_fmac_f32 v13, v3, v148
	v_dual_fmac_f32 v15, v3, v176 :: v_dual_fmac_f32 v14, v2, v101
	s_delay_alu instid0(VALU_DEP_2) | instskip(NEXT) | instid1(VALU_DEP_2)
	v_fmac_f32_e32 v16, v2, v81
	v_dual_add_f32 v50, v50, v13 :: v_dual_add_f32 v39, v39, v15
	v_mul_f32_e32 v15, v1, v135
	s_delay_alu instid0(VALU_DEP_4) | instskip(NEXT) | instid1(VALU_DEP_2)
	v_dual_mul_f32 v13, v1, v115 :: v_dual_fmac_f32 v14, v3, v100
	v_dual_fmac_f32 v16, v3, v80 :: v_dual_fmac_f32 v15, v0, v134
	s_delay_alu instid0(VALU_DEP_2) | instskip(NEXT) | instid1(VALU_DEP_2)
	v_fmac_f32_e32 v13, v0, v114
	v_dual_add_f32 v64, v64, v14 :: v_dual_add_f32 v65, v65, v16
	s_delay_alu instid0(VALU_DEP_3) | instskip(NEXT) | instid1(VALU_DEP_3)
	v_fmac_f32_e32 v15, v2, v133
	v_fmac_f32_e32 v13, v2, v113
	s_delay_alu instid0(VALU_DEP_2) | instskip(SKIP_1) | instid1(VALU_DEP_2)
	v_fmac_f32_e32 v15, v3, v132
	v_fmac_f32_e32 v17, v3, v160
	v_dual_fmac_f32 v13, v3, v112 :: v_dual_add_f32 v52, v52, v15
	s_delay_alu instid0(VALU_DEP_2) | instskip(SKIP_4) | instid1(VALU_DEP_4)
	v_add_f32_e32 v49, v49, v17
	v_mul_f32_e32 v17, v1, v119
	v_mul_f32_e32 v15, v1, v99
	;; [unrolled: 1-line block ×3, first 2 shown]
	v_add_f32_e32 v55, v55, v13
	v_fmac_f32_e32 v17, v0, v118
	s_delay_alu instid0(VALU_DEP_4) | instskip(NEXT) | instid1(VALU_DEP_4)
	v_fmac_f32_e32 v15, v0, v98
	v_fmac_f32_e32 v1, v0, v6
	s_delay_alu instid0(VALU_DEP_3) | instskip(NEXT) | instid1(VALU_DEP_3)
	v_fmac_f32_e32 v17, v2, v117
	v_fmac_f32_e32 v15, v2, v97
	s_delay_alu instid0(VALU_DEP_3) | instskip(NEXT) | instid1(VALU_DEP_2)
	v_fmac_f32_e32 v1, v2, v5
	v_fmac_f32_e32 v15, v3, v96
	s_delay_alu instid0(VALU_DEP_4) | instskip(NEXT) | instid1(VALU_DEP_2)
	v_fmac_f32_e32 v17, v3, v116
	v_dual_fmac_f32 v1, v3, v4 :: v_dual_add_f32 v66, v66, v15
	s_delay_alu instid0(VALU_DEP_2) | instskip(NEXT) | instid1(VALU_DEP_2)
	v_add_f32_e32 v54, v54, v17
	v_add_f32_e32 v26, v26, v1
.LBB260_805:                            ;   in Loop: Header=BB260_806 Depth=1
	s_or_b32 exec_lo, exec_lo, s12
	scratch_load_b32 v0, off, s32 offset:344 ; 4-byte Folded Reload
	v_add_nc_u32_e32 v56, 4, v56
	v_add_co_u32 v10, s0, v10, 16
	s_delay_alu instid0(VALU_DEP_1)
	v_add_co_ci_u32_e64 v11, s0, 0, v11, s0
	v_add_nc_u32_e32 v138, 0x80, v138
	v_add_nc_u32_e32 v70, 0x200, v70
	s_waitcnt vmcnt(0)
	v_cmp_ge_i32_e32 vcc_lo, v56, v0
	s_or_b32 s5, vcc_lo, s5
	s_delay_alu instid0(SALU_CYCLE_1)
	s_and_not1_b32 exec_lo, exec_lo, s5
	s_cbranch_execz .LBB260_1623
.LBB260_806:                            ; =>This Inner Loop Header: Depth=1
	s_clause 0x2
	scratch_load_b32 v1, off, s32 offset:348
	scratch_load_b32 v5, off, s32 offset:340
	;; [unrolled: 1-line block ×3, first 2 shown]
	v_sub_nc_u32_e32 v0, 0, v138
	s_delay_alu instid0(VALU_DEP_1) | instskip(SKIP_1) | instid1(VALU_DEP_1)
	v_max_i32_e32 v0, v138, v0
	s_waitcnt vmcnt(2)
	v_mul_hi_u32 v1, v0, v1
	s_waitcnt vmcnt(0)
	s_delay_alu instid0(VALU_DEP_1) | instskip(NEXT) | instid1(VALU_DEP_1)
	v_mul_lo_u32 v2, v1, v4
	v_sub_nc_u32_e32 v0, v0, v2
	v_add_nc_u32_e32 v2, 1, v1
	s_delay_alu instid0(VALU_DEP_2) | instskip(SKIP_1) | instid1(VALU_DEP_2)
	v_sub_nc_u32_e32 v3, v0, v4
	v_cmp_ge_u32_e32 vcc_lo, v0, v4
	v_dual_cndmask_b32 v1, v1, v2 :: v_dual_cndmask_b32 v0, v0, v3
	v_ashrrev_i32_e32 v2, 31, v138
	s_delay_alu instid0(VALU_DEP_2) | instskip(NEXT) | instid1(VALU_DEP_3)
	v_add_nc_u32_e32 v3, 1, v1
	v_cmp_ge_u32_e32 vcc_lo, v0, v4
	s_delay_alu instid0(VALU_DEP_3) | instskip(NEXT) | instid1(VALU_DEP_3)
	v_xor_b32_e32 v2, v2, v5
	v_cndmask_b32_e32 v0, v1, v3, vcc_lo
	s_delay_alu instid0(VALU_DEP_1) | instskip(NEXT) | instid1(VALU_DEP_1)
	v_xor_b32_e32 v0, v0, v2
	v_sub_nc_u32_e32 v0, v0, v2
	scratch_load_b64 v[1:2], off, s32 offset:332 ; 8-byte Folded Reload
	s_waitcnt vmcnt(0)
	v_add_nc_u32_e32 v1, v0, v1
	s_delay_alu instid0(VALU_DEP_1) | instskip(NEXT) | instid1(VALU_DEP_1)
	v_sub_nc_u32_e32 v2, 0, v1
	v_max_i32_e32 v2, v1, v2
	s_delay_alu instid0(VALU_DEP_1) | instskip(NEXT) | instid1(VALU_DEP_1)
	v_mul_hi_u32 v3, v2, v71
	v_mul_lo_u32 v3, v3, v67
	s_delay_alu instid0(VALU_DEP_1) | instskip(NEXT) | instid1(VALU_DEP_1)
	v_sub_nc_u32_e32 v2, v2, v3
	v_sub_nc_u32_e32 v3, v2, v67
	v_cmp_ge_u32_e32 vcc_lo, v2, v67
	s_delay_alu instid0(VALU_DEP_2) | instskip(SKIP_1) | instid1(VALU_DEP_2)
	v_cndmask_b32_e32 v2, v2, v3, vcc_lo
	v_ashrrev_i32_e32 v1, 31, v1
	v_sub_nc_u32_e32 v3, v2, v67
	v_cmp_ge_u32_e32 vcc_lo, v2, v67
	s_delay_alu instid0(VALU_DEP_2) | instskip(NEXT) | instid1(VALU_DEP_1)
	v_cndmask_b32_e32 v2, v2, v3, vcc_lo
	v_xor_b32_e32 v2, v2, v1
	s_delay_alu instid0(VALU_DEP_1) | instskip(NEXT) | instid1(VALU_DEP_1)
	v_sub_nc_u32_e32 v1, v2, v1
	v_cmp_eq_u32_e32 vcc_lo, 0, v1
	scratch_load_b32 v1, off, s32 offset:352 ; 4-byte Folded Reload
	s_waitcnt vmcnt(0)
	v_cmp_gt_i32_e64 s0, v0, v1
	s_delay_alu instid0(VALU_DEP_1) | instskip(NEXT) | instid1(SALU_CYCLE_1)
	s_or_b32 s0, vcc_lo, s0
	s_and_saveexec_b32 s12, s0
	s_cbranch_execz .LBB260_805
; %bb.807:                              ;   in Loop: Header=BB260_806 Depth=1
	flat_load_b32 v0, v[10:11]
	scratch_load_b32 v1, off, s32 offset:428 ; 4-byte Folded Reload
	v_mov_b32_e32 v14, 0
	s_mov_b32 s0, exec_lo
	s_waitcnt vmcnt(0) lgkmcnt(0)
	v_mad_i64_i32 v[12:13], null, v0, v1, v[8:9]
	flat_load_b32 v80, v[12:13]
	scratch_load_b64 v[0:1], off, s32 offset:444 ; 8-byte Folded Reload
	s_waitcnt vmcnt(1) lgkmcnt(0)
	v_dual_mov_b32 v15, 0 :: v_dual_and_b32 v6, 0xff, v80
	s_waitcnt vmcnt(0)
	flat_load_b32 v20, v[0:1]
	ds_load_b128 v[0:3], v70
	v_dual_mov_b32 v4, v14 :: v_dual_mov_b32 v5, v15
	v_cmpx_ne_u16_e32 0, v6
	s_cbranch_execz .LBB260_815
; %bb.808:                              ;   in Loop: Header=BB260_806 Depth=1
	v_bfrev_b32_e32 v4, 1
	v_mov_b32_e32 v5, 0
	s_mov_b32 s10, exec_lo
	v_cmpx_ne_u16_e32 0x80, v6
	s_cbranch_execz .LBB260_814
; %bb.809:                              ;   in Loop: Header=BB260_806 Depth=1
	v_mov_b32_e32 v4, 0x7f800001
	v_dual_mov_b32 v5, 0 :: v_dual_and_b32 v16, 0x7f, v80
	s_mov_b32 s13, exec_lo
	s_delay_alu instid0(VALU_DEP_1)
	v_cmpx_ne_u32_e32 0x7f, v16
	s_cbranch_execz .LBB260_813
; %bb.810:                              ;   in Loop: Header=BB260_806 Depth=1
	v_and_b32_e32 v6, 7, v80
	v_lshrrev_b32_e32 v4, 3, v16
	s_mov_b32 s15, exec_lo
	v_cmpx_gt_u32_e32 8, v16
; %bb.811:                              ;   in Loop: Header=BB260_806 Depth=1
	s_delay_alu instid0(VALU_DEP_3) | instskip(NEXT) | instid1(VALU_DEP_1)
	v_clz_i32_u32_e32 v4, v6
	v_min_u32_e32 v4, 32, v4
	s_delay_alu instid0(VALU_DEP_1) | instskip(SKIP_1) | instid1(VALU_DEP_2)
	v_subrev_nc_u32_e32 v5, 28, v4
	v_sub_nc_u32_e32 v4, 29, v4
	v_lshlrev_b64 v[5:6], v5, v[6:7]
	s_delay_alu instid0(VALU_DEP_1)
	v_and_b32_e32 v6, 7, v5
; %bb.812:                              ;   in Loop: Header=BB260_806 Depth=1
	s_or_b32 exec_lo, exec_lo, s15
	v_lshlrev_b32_e32 v5, 24, v80
	s_delay_alu instid0(VALU_DEP_2) | instskip(SKIP_1) | instid1(VALU_DEP_3)
	v_lshlrev_b32_e32 v6, 20, v6
	v_lshl_add_u32 v4, v4, 23, 0x3c000000
	v_and_b32_e32 v5, 0x80000000, v5
	s_delay_alu instid0(VALU_DEP_1) | instskip(NEXT) | instid1(VALU_DEP_1)
	v_or3_b32 v6, v6, v5, v4
	v_dual_mov_b32 v4, v6 :: v_dual_mov_b32 v5, v7
.LBB260_813:                            ;   in Loop: Header=BB260_806 Depth=1
	s_or_b32 exec_lo, exec_lo, s13
.LBB260_814:                            ;   in Loop: Header=BB260_806 Depth=1
	s_delay_alu instid0(SALU_CYCLE_1)
	s_or_b32 exec_lo, exec_lo, s10
.LBB260_815:                            ;   in Loop: Header=BB260_806 Depth=1
	s_delay_alu instid0(SALU_CYCLE_1) | instskip(SKIP_2) | instid1(VALU_DEP_1)
	s_or_b32 exec_lo, exec_lo, s0
	v_lshrrev_b16 v6, 8, v80
	s_mov_b32 s0, exec_lo
	v_cmpx_ne_u16_e32 0, v6
	s_cbranch_execz .LBB260_823
; %bb.816:                              ;   in Loop: Header=BB260_806 Depth=1
	v_dual_mov_b32 v15, s9 :: v_dual_mov_b32 v14, s8
	s_mov_b32 s13, exec_lo
	v_cmpx_ne_u16_e32 0x80, v6
	s_cbranch_execz .LBB260_822
; %bb.817:                              ;   in Loop: Header=BB260_806 Depth=1
	s_mov_b32 s10, s8
	v_dual_mov_b32 v15, s11 :: v_dual_and_b32 v6, 0xffff, v6
	v_mov_b32_e32 v14, s10
	s_mov_b32 s10, exec_lo
	s_delay_alu instid0(VALU_DEP_2) | instskip(NEXT) | instid1(VALU_DEP_1)
	v_and_b32_e32 v16, 0x7f, v6
	v_cmpx_ne_u32_e32 0x7f, v16
	s_cbranch_execz .LBB260_821
; %bb.818:                              ;   in Loop: Header=BB260_806 Depth=1
	v_and_b32_e32 v6, 7, v6
	v_lshrrev_b32_e32 v14, 3, v16
	s_mov_b32 s15, exec_lo
	v_cmpx_gt_u32_e32 8, v16
; %bb.819:                              ;   in Loop: Header=BB260_806 Depth=1
	s_delay_alu instid0(VALU_DEP_3) | instskip(NEXT) | instid1(VALU_DEP_1)
	v_clz_i32_u32_e32 v14, v6
	v_min_u32_e32 v14, 32, v14
	s_delay_alu instid0(VALU_DEP_1) | instskip(SKIP_1) | instid1(VALU_DEP_2)
	v_subrev_nc_u32_e32 v15, 28, v14
	v_sub_nc_u32_e32 v14, 29, v14
	v_lshlrev_b64 v[15:16], v15, v[6:7]
	s_delay_alu instid0(VALU_DEP_1)
	v_and_b32_e32 v6, 7, v15
; %bb.820:                              ;   in Loop: Header=BB260_806 Depth=1
	s_or_b32 exec_lo, exec_lo, s15
	v_lshlrev_b32_e32 v15, 16, v80
	s_delay_alu instid0(VALU_DEP_2) | instskip(SKIP_1) | instid1(VALU_DEP_3)
	v_lshlrev_b32_e32 v6, 20, v6
	v_lshl_add_u32 v14, v14, 23, 0x3c000000
	v_and_b32_e32 v15, 0x80000000, v15
	s_delay_alu instid0(VALU_DEP_1)
	v_or3_b32 v15, v6, v15, v14
	v_mov_b32_e32 v14, v7
.LBB260_821:                            ;   in Loop: Header=BB260_806 Depth=1
	s_or_b32 exec_lo, exec_lo, s10
.LBB260_822:                            ;   in Loop: Header=BB260_806 Depth=1
	s_delay_alu instid0(SALU_CYCLE_1)
	s_or_b32 exec_lo, exec_lo, s13
.LBB260_823:                            ;   in Loop: Header=BB260_806 Depth=1
	s_delay_alu instid0(SALU_CYCLE_1) | instskip(SKIP_4) | instid1(VALU_DEP_2)
	s_or_b32 exec_lo, exec_lo, s0
	v_mov_b32_e32 v18, 0
	v_lshrrev_b32_e32 v81, 16, v80
	v_mov_b32_e32 v19, 0
	s_mov_b32 s0, exec_lo
	v_and_b32_e32 v6, 0xff, v81
	s_delay_alu instid0(VALU_DEP_2) | instskip(NEXT) | instid1(VALU_DEP_2)
	v_dual_mov_b32 v16, v18 :: v_dual_mov_b32 v17, v19
	v_cmpx_ne_u16_e32 0, v6
	s_cbranch_execz .LBB260_831
; %bb.824:                              ;   in Loop: Header=BB260_806 Depth=1
	v_bfrev_b32_e32 v16, 1
	v_mov_b32_e32 v17, 0
	s_mov_b32 s10, exec_lo
	v_cmpx_ne_u16_e32 0x80, v6
	s_cbranch_execz .LBB260_830
; %bb.825:                              ;   in Loop: Header=BB260_806 Depth=1
	v_mov_b32_e32 v16, 0x7f800001
	v_bfe_u32 v82, v80, 16, 7
	v_mov_b32_e32 v17, 0
	s_mov_b32 s13, exec_lo
	s_delay_alu instid0(VALU_DEP_2)
	v_cmpx_ne_u32_e32 0x7f, v82
	s_cbranch_execz .LBB260_829
; %bb.826:                              ;   in Loop: Header=BB260_806 Depth=1
	v_and_b32_e32 v6, 7, v81
	v_lshrrev_b32_e32 v16, 3, v82
	s_mov_b32 s15, exec_lo
	v_cmpx_gt_u32_e32 8, v82
; %bb.827:                              ;   in Loop: Header=BB260_806 Depth=1
	s_delay_alu instid0(VALU_DEP_3) | instskip(NEXT) | instid1(VALU_DEP_1)
	v_clz_i32_u32_e32 v16, v6
	v_min_u32_e32 v16, 32, v16
	s_delay_alu instid0(VALU_DEP_1) | instskip(SKIP_1) | instid1(VALU_DEP_2)
	v_subrev_nc_u32_e32 v17, 28, v16
	v_sub_nc_u32_e32 v16, 29, v16
	v_lshlrev_b64 v[82:83], v17, v[6:7]
	s_delay_alu instid0(VALU_DEP_1)
	v_and_b32_e32 v6, 7, v82
; %bb.828:                              ;   in Loop: Header=BB260_806 Depth=1
	s_or_b32 exec_lo, exec_lo, s15
	v_lshlrev_b32_e32 v17, 24, v81
	s_delay_alu instid0(VALU_DEP_2) | instskip(SKIP_1) | instid1(VALU_DEP_3)
	v_lshlrev_b32_e32 v6, 20, v6
	v_lshl_add_u32 v16, v16, 23, 0x3c000000
	v_and_b32_e32 v17, 0x80000000, v17
	s_delay_alu instid0(VALU_DEP_1) | instskip(NEXT) | instid1(VALU_DEP_1)
	v_or3_b32 v6, v6, v17, v16
	v_dual_mov_b32 v17, v7 :: v_dual_mov_b32 v16, v6
.LBB260_829:                            ;   in Loop: Header=BB260_806 Depth=1
	s_or_b32 exec_lo, exec_lo, s13
.LBB260_830:                            ;   in Loop: Header=BB260_806 Depth=1
	s_delay_alu instid0(SALU_CYCLE_1)
	s_or_b32 exec_lo, exec_lo, s10
.LBB260_831:                            ;   in Loop: Header=BB260_806 Depth=1
	s_delay_alu instid0(SALU_CYCLE_1) | instskip(NEXT) | instid1(SALU_CYCLE_1)
	s_or_b32 exec_lo, exec_lo, s0
	s_mov_b32 s0, exec_lo
	v_cmpx_lt_u32_e32 0xffffff, v80
	s_cbranch_execz .LBB260_839
; %bb.832:                              ;   in Loop: Header=BB260_806 Depth=1
	v_lshrrev_b32_e32 v81, 24, v80
	v_dual_mov_b32 v19, s9 :: v_dual_mov_b32 v18, s8
	s_mov_b32 s13, exec_lo
	s_delay_alu instid0(VALU_DEP_2)
	v_cmpx_ne_u32_e32 0x80, v81
	s_cbranch_execz .LBB260_838
; %bb.833:                              ;   in Loop: Header=BB260_806 Depth=1
	s_mov_b32 s10, s8
	v_bfe_u32 v80, v80, 24, 7
	v_dual_mov_b32 v19, s11 :: v_dual_mov_b32 v18, s10
	s_mov_b32 s10, exec_lo
	s_delay_alu instid0(VALU_DEP_2)
	v_cmpx_ne_u32_e32 0x7f, v80
	s_cbranch_execz .LBB260_837
; %bb.834:                              ;   in Loop: Header=BB260_806 Depth=1
	v_and_b32_e32 v6, 7, v81
	v_lshrrev_b32_e32 v18, 3, v80
	s_mov_b32 s15, exec_lo
	v_cmpx_gt_u32_e32 8, v80
; %bb.835:                              ;   in Loop: Header=BB260_806 Depth=1
	s_delay_alu instid0(VALU_DEP_3) | instskip(NEXT) | instid1(VALU_DEP_1)
	v_clz_i32_u32_e32 v18, v6
	v_min_u32_e32 v18, 32, v18
	s_delay_alu instid0(VALU_DEP_1) | instskip(SKIP_1) | instid1(VALU_DEP_2)
	v_subrev_nc_u32_e32 v19, 28, v18
	v_sub_nc_u32_e32 v18, 29, v18
	v_lshlrev_b64 v[82:83], v19, v[6:7]
	s_delay_alu instid0(VALU_DEP_1)
	v_and_b32_e32 v6, 7, v82
; %bb.836:                              ;   in Loop: Header=BB260_806 Depth=1
	s_or_b32 exec_lo, exec_lo, s15
	v_lshlrev_b32_e32 v19, 24, v81
	s_delay_alu instid0(VALU_DEP_2) | instskip(SKIP_1) | instid1(VALU_DEP_3)
	v_lshlrev_b32_e32 v6, 20, v6
	v_lshl_add_u32 v18, v18, 23, 0x3c000000
	v_and_b32_e32 v19, 0x80000000, v19
	s_delay_alu instid0(VALU_DEP_1)
	v_or3_b32 v19, v6, v19, v18
	v_mov_b32_e32 v18, v7
.LBB260_837:                            ;   in Loop: Header=BB260_806 Depth=1
	s_or_b32 exec_lo, exec_lo, s10
.LBB260_838:                            ;   in Loop: Header=BB260_806 Depth=1
	s_delay_alu instid0(SALU_CYCLE_1)
	s_or_b32 exec_lo, exec_lo, s13
.LBB260_839:                            ;   in Loop: Header=BB260_806 Depth=1
	s_delay_alu instid0(SALU_CYCLE_1)
	s_or_b32 exec_lo, exec_lo, s0
	v_or_b32_e32 v5, v15, v5
	v_add_nc_u32_e32 v84, v69, v138
	v_or_b32_e32 v4, v14, v4
	v_or_b32_e32 v6, v19, v17
	v_or_b32_e32 v14, v18, v16
	s_waitcnt vmcnt(0) lgkmcnt(1)
	v_mul_f32_e32 v83, v20, v5
	v_cmp_eq_u32_e32 vcc_lo, v68, v56
	v_mul_f32_e32 v82, v20, v4
	v_dual_mul_f32 v80, v20, v6 :: v_dual_add_nc_u32 v87, 1, v84
	v_dual_mul_f32 v81, v20, v14 :: v_dual_add_nc_u32 v86, 2, v84
	v_add_nc_u32_e32 v85, 3, v84
	s_and_saveexec_b32 s10, vcc_lo
; %bb.840:                              ;   in Loop: Header=BB260_806 Depth=1
	v_cmp_lt_i32_e64 s0, v84, v25
	s_delay_alu instid0(VALU_DEP_1) | instskip(SKIP_1) | instid1(VALU_DEP_1)
	v_cndmask_b32_e64 v82, 0, v82, s0
	v_cmp_lt_i32_e64 s0, v87, v25
	v_cndmask_b32_e64 v83, 0, v83, s0
	v_cmp_lt_i32_e64 s0, v86, v25
	s_delay_alu instid0(VALU_DEP_1) | instskip(SKIP_1) | instid1(VALU_DEP_1)
	v_cndmask_b32_e64 v81, 0, v81, s0
	v_cmp_lt_i32_e64 s0, v85, v25
	v_cndmask_b32_e64 v80, 0, v80, s0
; %bb.841:                              ;   in Loop: Header=BB260_806 Depth=1
	s_or_b32 exec_lo, exec_lo, s10
	flat_load_b32 v96, v[12:13] offset:128
	v_mov_b32_e32 v14, 0
	v_mov_b32_e32 v15, 0
	s_mov_b32 s10, exec_lo
	s_waitcnt vmcnt(0) lgkmcnt(0)
	v_and_b32_e32 v6, 0xff, v96
	s_delay_alu instid0(VALU_DEP_2) | instskip(NEXT) | instid1(VALU_DEP_2)
	v_dual_mov_b32 v4, v14 :: v_dual_mov_b32 v5, v15
	v_cmpx_ne_u16_e32 0, v6
	s_cbranch_execz .LBB260_849
; %bb.842:                              ;   in Loop: Header=BB260_806 Depth=1
	v_bfrev_b32_e32 v4, 1
	v_mov_b32_e32 v5, 0
	s_mov_b32 s13, exec_lo
	v_cmpx_ne_u16_e32 0x80, v6
	s_cbranch_execz .LBB260_848
; %bb.843:                              ;   in Loop: Header=BB260_806 Depth=1
	v_mov_b32_e32 v4, 0x7f800001
	v_dual_mov_b32 v5, 0 :: v_dual_and_b32 v16, 0x7f, v96
	s_mov_b32 s15, exec_lo
	s_delay_alu instid0(VALU_DEP_1)
	v_cmpx_ne_u32_e32 0x7f, v16
	s_cbranch_execz .LBB260_847
; %bb.844:                              ;   in Loop: Header=BB260_806 Depth=1
	v_and_b32_e32 v6, 7, v96
	v_lshrrev_b32_e32 v4, 3, v16
	s_mov_b32 s16, exec_lo
	v_cmpx_gt_u32_e32 8, v16
; %bb.845:                              ;   in Loop: Header=BB260_806 Depth=1
	s_delay_alu instid0(VALU_DEP_3) | instskip(NEXT) | instid1(VALU_DEP_1)
	v_clz_i32_u32_e32 v4, v6
	v_min_u32_e32 v4, 32, v4
	s_delay_alu instid0(VALU_DEP_1) | instskip(SKIP_1) | instid1(VALU_DEP_2)
	v_subrev_nc_u32_e32 v5, 28, v4
	v_sub_nc_u32_e32 v4, 29, v4
	v_lshlrev_b64 v[5:6], v5, v[6:7]
	s_delay_alu instid0(VALU_DEP_1)
	v_and_b32_e32 v6, 7, v5
; %bb.846:                              ;   in Loop: Header=BB260_806 Depth=1
	s_or_b32 exec_lo, exec_lo, s16
	v_lshlrev_b32_e32 v5, 24, v96
	s_delay_alu instid0(VALU_DEP_2) | instskip(SKIP_1) | instid1(VALU_DEP_3)
	v_lshlrev_b32_e32 v6, 20, v6
	v_lshl_add_u32 v4, v4, 23, 0x3c000000
	v_and_b32_e32 v5, 0x80000000, v5
	s_delay_alu instid0(VALU_DEP_1) | instskip(NEXT) | instid1(VALU_DEP_1)
	v_or3_b32 v6, v6, v5, v4
	v_dual_mov_b32 v4, v6 :: v_dual_mov_b32 v5, v7
.LBB260_847:                            ;   in Loop: Header=BB260_806 Depth=1
	s_or_b32 exec_lo, exec_lo, s15
.LBB260_848:                            ;   in Loop: Header=BB260_806 Depth=1
	s_delay_alu instid0(SALU_CYCLE_1)
	s_or_b32 exec_lo, exec_lo, s13
.LBB260_849:                            ;   in Loop: Header=BB260_806 Depth=1
	s_delay_alu instid0(SALU_CYCLE_1) | instskip(SKIP_2) | instid1(VALU_DEP_1)
	s_or_b32 exec_lo, exec_lo, s10
	v_lshrrev_b16 v6, 8, v96
	s_mov_b32 s13, exec_lo
	v_cmpx_ne_u16_e32 0, v6
	s_cbranch_execz .LBB260_857
; %bb.850:                              ;   in Loop: Header=BB260_806 Depth=1
	v_dual_mov_b32 v15, s9 :: v_dual_mov_b32 v14, s8
	s_mov_b32 s15, exec_lo
	v_cmpx_ne_u16_e32 0x80, v6
	s_cbranch_execz .LBB260_856
; %bb.851:                              ;   in Loop: Header=BB260_806 Depth=1
	s_mov_b32 s10, s8
	v_dual_mov_b32 v15, s11 :: v_dual_and_b32 v6, 0xffff, v6
	v_mov_b32_e32 v14, s10
	s_mov_b32 s10, exec_lo
	s_delay_alu instid0(VALU_DEP_2) | instskip(NEXT) | instid1(VALU_DEP_1)
	v_and_b32_e32 v16, 0x7f, v6
	v_cmpx_ne_u32_e32 0x7f, v16
	s_cbranch_execz .LBB260_855
; %bb.852:                              ;   in Loop: Header=BB260_806 Depth=1
	v_and_b32_e32 v6, 7, v6
	v_lshrrev_b32_e32 v14, 3, v16
	s_mov_b32 s16, exec_lo
	v_cmpx_gt_u32_e32 8, v16
; %bb.853:                              ;   in Loop: Header=BB260_806 Depth=1
	s_delay_alu instid0(VALU_DEP_3) | instskip(NEXT) | instid1(VALU_DEP_1)
	v_clz_i32_u32_e32 v14, v6
	v_min_u32_e32 v14, 32, v14
	s_delay_alu instid0(VALU_DEP_1) | instskip(SKIP_1) | instid1(VALU_DEP_2)
	v_subrev_nc_u32_e32 v15, 28, v14
	v_sub_nc_u32_e32 v14, 29, v14
	v_lshlrev_b64 v[15:16], v15, v[6:7]
	s_delay_alu instid0(VALU_DEP_1)
	v_and_b32_e32 v6, 7, v15
; %bb.854:                              ;   in Loop: Header=BB260_806 Depth=1
	s_or_b32 exec_lo, exec_lo, s16
	v_lshlrev_b32_e32 v15, 16, v96
	s_delay_alu instid0(VALU_DEP_2) | instskip(SKIP_1) | instid1(VALU_DEP_3)
	v_lshlrev_b32_e32 v6, 20, v6
	v_lshl_add_u32 v14, v14, 23, 0x3c000000
	v_and_b32_e32 v15, 0x80000000, v15
	s_delay_alu instid0(VALU_DEP_1)
	v_or3_b32 v15, v6, v15, v14
	v_mov_b32_e32 v14, v7
.LBB260_855:                            ;   in Loop: Header=BB260_806 Depth=1
	s_or_b32 exec_lo, exec_lo, s10
.LBB260_856:                            ;   in Loop: Header=BB260_806 Depth=1
	s_delay_alu instid0(SALU_CYCLE_1)
	s_or_b32 exec_lo, exec_lo, s15
.LBB260_857:                            ;   in Loop: Header=BB260_806 Depth=1
	s_delay_alu instid0(SALU_CYCLE_1) | instskip(SKIP_4) | instid1(VALU_DEP_2)
	s_or_b32 exec_lo, exec_lo, s13
	v_mov_b32_e32 v18, 0
	v_lshrrev_b32_e32 v97, 16, v96
	v_mov_b32_e32 v19, 0
	s_mov_b32 s10, exec_lo
	v_and_b32_e32 v6, 0xff, v97
	s_delay_alu instid0(VALU_DEP_2) | instskip(NEXT) | instid1(VALU_DEP_2)
	v_dual_mov_b32 v16, v18 :: v_dual_mov_b32 v17, v19
	v_cmpx_ne_u16_e32 0, v6
	s_cbranch_execz .LBB260_865
; %bb.858:                              ;   in Loop: Header=BB260_806 Depth=1
	v_bfrev_b32_e32 v16, 1
	v_mov_b32_e32 v17, 0
	s_mov_b32 s13, exec_lo
	v_cmpx_ne_u16_e32 0x80, v6
	s_cbranch_execz .LBB260_864
; %bb.859:                              ;   in Loop: Header=BB260_806 Depth=1
	v_mov_b32_e32 v16, 0x7f800001
	v_bfe_u32 v98, v96, 16, 7
	v_mov_b32_e32 v17, 0
	s_mov_b32 s15, exec_lo
	s_delay_alu instid0(VALU_DEP_2)
	v_cmpx_ne_u32_e32 0x7f, v98
	s_cbranch_execz .LBB260_863
; %bb.860:                              ;   in Loop: Header=BB260_806 Depth=1
	v_and_b32_e32 v6, 7, v97
	v_lshrrev_b32_e32 v16, 3, v98
	s_mov_b32 s16, exec_lo
	v_cmpx_gt_u32_e32 8, v98
; %bb.861:                              ;   in Loop: Header=BB260_806 Depth=1
	s_delay_alu instid0(VALU_DEP_3) | instskip(NEXT) | instid1(VALU_DEP_1)
	v_clz_i32_u32_e32 v16, v6
	v_min_u32_e32 v16, 32, v16
	s_delay_alu instid0(VALU_DEP_1) | instskip(SKIP_1) | instid1(VALU_DEP_2)
	v_subrev_nc_u32_e32 v17, 28, v16
	v_sub_nc_u32_e32 v16, 29, v16
	v_lshlrev_b64 v[98:99], v17, v[6:7]
	s_delay_alu instid0(VALU_DEP_1)
	v_and_b32_e32 v6, 7, v98
; %bb.862:                              ;   in Loop: Header=BB260_806 Depth=1
	s_or_b32 exec_lo, exec_lo, s16
	v_lshlrev_b32_e32 v17, 24, v97
	s_delay_alu instid0(VALU_DEP_2) | instskip(SKIP_1) | instid1(VALU_DEP_3)
	v_lshlrev_b32_e32 v6, 20, v6
	v_lshl_add_u32 v16, v16, 23, 0x3c000000
	v_and_b32_e32 v17, 0x80000000, v17
	s_delay_alu instid0(VALU_DEP_1) | instskip(NEXT) | instid1(VALU_DEP_1)
	v_or3_b32 v6, v6, v17, v16
	v_dual_mov_b32 v17, v7 :: v_dual_mov_b32 v16, v6
.LBB260_863:                            ;   in Loop: Header=BB260_806 Depth=1
	s_or_b32 exec_lo, exec_lo, s15
.LBB260_864:                            ;   in Loop: Header=BB260_806 Depth=1
	s_delay_alu instid0(SALU_CYCLE_1)
	s_or_b32 exec_lo, exec_lo, s13
.LBB260_865:                            ;   in Loop: Header=BB260_806 Depth=1
	s_delay_alu instid0(SALU_CYCLE_1) | instskip(NEXT) | instid1(SALU_CYCLE_1)
	s_or_b32 exec_lo, exec_lo, s10
	s_mov_b32 s13, exec_lo
	v_cmpx_lt_u32_e32 0xffffff, v96
	s_cbranch_execz .LBB260_873
; %bb.866:                              ;   in Loop: Header=BB260_806 Depth=1
	v_lshrrev_b32_e32 v97, 24, v96
	v_dual_mov_b32 v19, s9 :: v_dual_mov_b32 v18, s8
	s_mov_b32 s15, exec_lo
	s_delay_alu instid0(VALU_DEP_2)
	v_cmpx_ne_u32_e32 0x80, v97
	s_cbranch_execz .LBB260_872
; %bb.867:                              ;   in Loop: Header=BB260_806 Depth=1
	s_mov_b32 s10, s8
	v_bfe_u32 v96, v96, 24, 7
	v_dual_mov_b32 v19, s11 :: v_dual_mov_b32 v18, s10
	s_mov_b32 s10, exec_lo
	s_delay_alu instid0(VALU_DEP_2)
	v_cmpx_ne_u32_e32 0x7f, v96
	s_cbranch_execz .LBB260_871
; %bb.868:                              ;   in Loop: Header=BB260_806 Depth=1
	v_and_b32_e32 v6, 7, v97
	v_lshrrev_b32_e32 v18, 3, v96
	s_mov_b32 s16, exec_lo
	v_cmpx_gt_u32_e32 8, v96
; %bb.869:                              ;   in Loop: Header=BB260_806 Depth=1
	s_delay_alu instid0(VALU_DEP_3) | instskip(NEXT) | instid1(VALU_DEP_1)
	v_clz_i32_u32_e32 v18, v6
	v_min_u32_e32 v18, 32, v18
	s_delay_alu instid0(VALU_DEP_1) | instskip(SKIP_1) | instid1(VALU_DEP_2)
	v_subrev_nc_u32_e32 v19, 28, v18
	v_sub_nc_u32_e32 v18, 29, v18
	v_lshlrev_b64 v[98:99], v19, v[6:7]
	s_delay_alu instid0(VALU_DEP_1)
	v_and_b32_e32 v6, 7, v98
; %bb.870:                              ;   in Loop: Header=BB260_806 Depth=1
	s_or_b32 exec_lo, exec_lo, s16
	v_lshlrev_b32_e32 v19, 24, v97
	s_delay_alu instid0(VALU_DEP_2) | instskip(SKIP_1) | instid1(VALU_DEP_3)
	v_lshlrev_b32_e32 v6, 20, v6
	v_lshl_add_u32 v18, v18, 23, 0x3c000000
	v_and_b32_e32 v19, 0x80000000, v19
	s_delay_alu instid0(VALU_DEP_1)
	v_or3_b32 v19, v6, v19, v18
	v_mov_b32_e32 v18, v7
.LBB260_871:                            ;   in Loop: Header=BB260_806 Depth=1
	s_or_b32 exec_lo, exec_lo, s10
.LBB260_872:                            ;   in Loop: Header=BB260_806 Depth=1
	s_delay_alu instid0(SALU_CYCLE_1)
	s_or_b32 exec_lo, exec_lo, s15
.LBB260_873:                            ;   in Loop: Header=BB260_806 Depth=1
	s_delay_alu instid0(SALU_CYCLE_1) | instskip(SKIP_4) | instid1(VALU_DEP_4)
	s_or_b32 exec_lo, exec_lo, s13
	v_or_b32_e32 v5, v15, v5
	v_or_b32_e32 v4, v14, v4
	;; [unrolled: 1-line block ×4, first 2 shown]
	v_mul_f32_e32 v99, v20, v5
	s_delay_alu instid0(VALU_DEP_4) | instskip(NEXT) | instid1(VALU_DEP_4)
	v_mul_f32_e32 v98, v20, v4
	v_mul_f32_e32 v96, v20, v6
	s_delay_alu instid0(VALU_DEP_4)
	v_mul_f32_e32 v97, v20, v14
	s_and_saveexec_b32 s10, vcc_lo
; %bb.874:                              ;   in Loop: Header=BB260_806 Depth=1
	v_cmp_lt_i32_e64 s0, v84, v25
	s_delay_alu instid0(VALU_DEP_1) | instskip(SKIP_1) | instid1(VALU_DEP_1)
	v_cndmask_b32_e64 v98, 0, v98, s0
	v_cmp_lt_i32_e64 s0, v87, v25
	v_cndmask_b32_e64 v99, 0, v99, s0
	v_cmp_lt_i32_e64 s0, v86, v25
	s_delay_alu instid0(VALU_DEP_1) | instskip(SKIP_1) | instid1(VALU_DEP_1)
	v_cndmask_b32_e64 v97, 0, v97, s0
	v_cmp_lt_i32_e64 s0, v85, v25
	v_cndmask_b32_e64 v96, 0, v96, s0
; %bb.875:                              ;   in Loop: Header=BB260_806 Depth=1
	s_or_b32 exec_lo, exec_lo, s10
	flat_load_b32 v100, v[12:13] offset:256
	v_mov_b32_e32 v14, 0
	v_mov_b32_e32 v15, 0
	s_mov_b32 s10, exec_lo
	s_waitcnt vmcnt(0) lgkmcnt(0)
	v_and_b32_e32 v6, 0xff, v100
	s_delay_alu instid0(VALU_DEP_2) | instskip(NEXT) | instid1(VALU_DEP_2)
	v_dual_mov_b32 v4, v14 :: v_dual_mov_b32 v5, v15
	v_cmpx_ne_u16_e32 0, v6
	s_cbranch_execz .LBB260_883
; %bb.876:                              ;   in Loop: Header=BB260_806 Depth=1
	v_bfrev_b32_e32 v4, 1
	v_mov_b32_e32 v5, 0
	s_mov_b32 s13, exec_lo
	v_cmpx_ne_u16_e32 0x80, v6
	s_cbranch_execz .LBB260_882
; %bb.877:                              ;   in Loop: Header=BB260_806 Depth=1
	v_mov_b32_e32 v4, 0x7f800001
	v_dual_mov_b32 v5, 0 :: v_dual_and_b32 v16, 0x7f, v100
	s_mov_b32 s15, exec_lo
	s_delay_alu instid0(VALU_DEP_1)
	v_cmpx_ne_u32_e32 0x7f, v16
	s_cbranch_execz .LBB260_881
; %bb.878:                              ;   in Loop: Header=BB260_806 Depth=1
	v_and_b32_e32 v6, 7, v100
	v_lshrrev_b32_e32 v4, 3, v16
	s_mov_b32 s16, exec_lo
	v_cmpx_gt_u32_e32 8, v16
; %bb.879:                              ;   in Loop: Header=BB260_806 Depth=1
	s_delay_alu instid0(VALU_DEP_3) | instskip(NEXT) | instid1(VALU_DEP_1)
	v_clz_i32_u32_e32 v4, v6
	v_min_u32_e32 v4, 32, v4
	s_delay_alu instid0(VALU_DEP_1) | instskip(SKIP_1) | instid1(VALU_DEP_2)
	v_subrev_nc_u32_e32 v5, 28, v4
	v_sub_nc_u32_e32 v4, 29, v4
	v_lshlrev_b64 v[5:6], v5, v[6:7]
	s_delay_alu instid0(VALU_DEP_1)
	v_and_b32_e32 v6, 7, v5
; %bb.880:                              ;   in Loop: Header=BB260_806 Depth=1
	s_or_b32 exec_lo, exec_lo, s16
	v_lshlrev_b32_e32 v5, 24, v100
	s_delay_alu instid0(VALU_DEP_2) | instskip(SKIP_1) | instid1(VALU_DEP_3)
	v_lshlrev_b32_e32 v6, 20, v6
	v_lshl_add_u32 v4, v4, 23, 0x3c000000
	v_and_b32_e32 v5, 0x80000000, v5
	s_delay_alu instid0(VALU_DEP_1) | instskip(NEXT) | instid1(VALU_DEP_1)
	v_or3_b32 v6, v6, v5, v4
	v_dual_mov_b32 v4, v6 :: v_dual_mov_b32 v5, v7
.LBB260_881:                            ;   in Loop: Header=BB260_806 Depth=1
	s_or_b32 exec_lo, exec_lo, s15
.LBB260_882:                            ;   in Loop: Header=BB260_806 Depth=1
	s_delay_alu instid0(SALU_CYCLE_1)
	s_or_b32 exec_lo, exec_lo, s13
.LBB260_883:                            ;   in Loop: Header=BB260_806 Depth=1
	s_delay_alu instid0(SALU_CYCLE_1) | instskip(SKIP_2) | instid1(VALU_DEP_1)
	s_or_b32 exec_lo, exec_lo, s10
	v_lshrrev_b16 v6, 8, v100
	s_mov_b32 s13, exec_lo
	v_cmpx_ne_u16_e32 0, v6
	s_cbranch_execz .LBB260_891
; %bb.884:                              ;   in Loop: Header=BB260_806 Depth=1
	v_dual_mov_b32 v15, s9 :: v_dual_mov_b32 v14, s8
	s_mov_b32 s15, exec_lo
	v_cmpx_ne_u16_e32 0x80, v6
	s_cbranch_execz .LBB260_890
; %bb.885:                              ;   in Loop: Header=BB260_806 Depth=1
	s_mov_b32 s10, s8
	v_dual_mov_b32 v15, s11 :: v_dual_and_b32 v6, 0xffff, v6
	v_mov_b32_e32 v14, s10
	s_mov_b32 s10, exec_lo
	s_delay_alu instid0(VALU_DEP_2) | instskip(NEXT) | instid1(VALU_DEP_1)
	v_and_b32_e32 v16, 0x7f, v6
	v_cmpx_ne_u32_e32 0x7f, v16
	s_cbranch_execz .LBB260_889
; %bb.886:                              ;   in Loop: Header=BB260_806 Depth=1
	v_and_b32_e32 v6, 7, v6
	v_lshrrev_b32_e32 v14, 3, v16
	s_mov_b32 s16, exec_lo
	v_cmpx_gt_u32_e32 8, v16
; %bb.887:                              ;   in Loop: Header=BB260_806 Depth=1
	s_delay_alu instid0(VALU_DEP_3) | instskip(NEXT) | instid1(VALU_DEP_1)
	v_clz_i32_u32_e32 v14, v6
	v_min_u32_e32 v14, 32, v14
	s_delay_alu instid0(VALU_DEP_1) | instskip(SKIP_1) | instid1(VALU_DEP_2)
	v_subrev_nc_u32_e32 v15, 28, v14
	v_sub_nc_u32_e32 v14, 29, v14
	v_lshlrev_b64 v[15:16], v15, v[6:7]
	s_delay_alu instid0(VALU_DEP_1)
	v_and_b32_e32 v6, 7, v15
; %bb.888:                              ;   in Loop: Header=BB260_806 Depth=1
	s_or_b32 exec_lo, exec_lo, s16
	v_lshlrev_b32_e32 v15, 16, v100
	s_delay_alu instid0(VALU_DEP_2) | instskip(SKIP_1) | instid1(VALU_DEP_3)
	v_lshlrev_b32_e32 v6, 20, v6
	v_lshl_add_u32 v14, v14, 23, 0x3c000000
	v_and_b32_e32 v15, 0x80000000, v15
	s_delay_alu instid0(VALU_DEP_1)
	v_or3_b32 v15, v6, v15, v14
	v_mov_b32_e32 v14, v7
.LBB260_889:                            ;   in Loop: Header=BB260_806 Depth=1
	s_or_b32 exec_lo, exec_lo, s10
.LBB260_890:                            ;   in Loop: Header=BB260_806 Depth=1
	s_delay_alu instid0(SALU_CYCLE_1)
	s_or_b32 exec_lo, exec_lo, s15
.LBB260_891:                            ;   in Loop: Header=BB260_806 Depth=1
	s_delay_alu instid0(SALU_CYCLE_1) | instskip(SKIP_4) | instid1(VALU_DEP_2)
	s_or_b32 exec_lo, exec_lo, s13
	v_mov_b32_e32 v18, 0
	v_lshrrev_b32_e32 v101, 16, v100
	v_mov_b32_e32 v19, 0
	s_mov_b32 s10, exec_lo
	v_and_b32_e32 v6, 0xff, v101
	s_delay_alu instid0(VALU_DEP_2) | instskip(NEXT) | instid1(VALU_DEP_2)
	v_dual_mov_b32 v16, v18 :: v_dual_mov_b32 v17, v19
	v_cmpx_ne_u16_e32 0, v6
	s_cbranch_execz .LBB260_899
; %bb.892:                              ;   in Loop: Header=BB260_806 Depth=1
	v_bfrev_b32_e32 v16, 1
	v_mov_b32_e32 v17, 0
	s_mov_b32 s13, exec_lo
	v_cmpx_ne_u16_e32 0x80, v6
	s_cbranch_execz .LBB260_898
; %bb.893:                              ;   in Loop: Header=BB260_806 Depth=1
	v_mov_b32_e32 v16, 0x7f800001
	v_bfe_u32 v102, v100, 16, 7
	v_mov_b32_e32 v17, 0
	s_mov_b32 s15, exec_lo
	s_delay_alu instid0(VALU_DEP_2)
	v_cmpx_ne_u32_e32 0x7f, v102
	s_cbranch_execz .LBB260_897
; %bb.894:                              ;   in Loop: Header=BB260_806 Depth=1
	v_and_b32_e32 v6, 7, v101
	v_lshrrev_b32_e32 v16, 3, v102
	s_mov_b32 s16, exec_lo
	v_cmpx_gt_u32_e32 8, v102
; %bb.895:                              ;   in Loop: Header=BB260_806 Depth=1
	s_delay_alu instid0(VALU_DEP_3) | instskip(NEXT) | instid1(VALU_DEP_1)
	v_clz_i32_u32_e32 v16, v6
	v_min_u32_e32 v16, 32, v16
	s_delay_alu instid0(VALU_DEP_1) | instskip(SKIP_1) | instid1(VALU_DEP_2)
	v_subrev_nc_u32_e32 v17, 28, v16
	v_sub_nc_u32_e32 v16, 29, v16
	v_lshlrev_b64 v[102:103], v17, v[6:7]
	s_delay_alu instid0(VALU_DEP_1)
	v_and_b32_e32 v6, 7, v102
; %bb.896:                              ;   in Loop: Header=BB260_806 Depth=1
	s_or_b32 exec_lo, exec_lo, s16
	v_lshlrev_b32_e32 v17, 24, v101
	s_delay_alu instid0(VALU_DEP_2) | instskip(SKIP_1) | instid1(VALU_DEP_3)
	v_lshlrev_b32_e32 v6, 20, v6
	v_lshl_add_u32 v16, v16, 23, 0x3c000000
	v_and_b32_e32 v17, 0x80000000, v17
	s_delay_alu instid0(VALU_DEP_1) | instskip(NEXT) | instid1(VALU_DEP_1)
	v_or3_b32 v6, v6, v17, v16
	v_dual_mov_b32 v17, v7 :: v_dual_mov_b32 v16, v6
.LBB260_897:                            ;   in Loop: Header=BB260_806 Depth=1
	s_or_b32 exec_lo, exec_lo, s15
.LBB260_898:                            ;   in Loop: Header=BB260_806 Depth=1
	s_delay_alu instid0(SALU_CYCLE_1)
	s_or_b32 exec_lo, exec_lo, s13
.LBB260_899:                            ;   in Loop: Header=BB260_806 Depth=1
	s_delay_alu instid0(SALU_CYCLE_1) | instskip(NEXT) | instid1(SALU_CYCLE_1)
	s_or_b32 exec_lo, exec_lo, s10
	s_mov_b32 s13, exec_lo
	v_cmpx_lt_u32_e32 0xffffff, v100
	s_cbranch_execz .LBB260_907
; %bb.900:                              ;   in Loop: Header=BB260_806 Depth=1
	v_lshrrev_b32_e32 v101, 24, v100
	v_dual_mov_b32 v19, s9 :: v_dual_mov_b32 v18, s8
	s_mov_b32 s15, exec_lo
	s_delay_alu instid0(VALU_DEP_2)
	v_cmpx_ne_u32_e32 0x80, v101
	s_cbranch_execz .LBB260_906
; %bb.901:                              ;   in Loop: Header=BB260_806 Depth=1
	s_mov_b32 s10, s8
	v_bfe_u32 v100, v100, 24, 7
	v_dual_mov_b32 v19, s11 :: v_dual_mov_b32 v18, s10
	s_mov_b32 s10, exec_lo
	s_delay_alu instid0(VALU_DEP_2)
	v_cmpx_ne_u32_e32 0x7f, v100
	s_cbranch_execz .LBB260_905
; %bb.902:                              ;   in Loop: Header=BB260_806 Depth=1
	v_and_b32_e32 v6, 7, v101
	v_lshrrev_b32_e32 v18, 3, v100
	s_mov_b32 s16, exec_lo
	v_cmpx_gt_u32_e32 8, v100
; %bb.903:                              ;   in Loop: Header=BB260_806 Depth=1
	s_delay_alu instid0(VALU_DEP_3) | instskip(NEXT) | instid1(VALU_DEP_1)
	v_clz_i32_u32_e32 v18, v6
	v_min_u32_e32 v18, 32, v18
	s_delay_alu instid0(VALU_DEP_1) | instskip(SKIP_1) | instid1(VALU_DEP_2)
	v_subrev_nc_u32_e32 v19, 28, v18
	v_sub_nc_u32_e32 v18, 29, v18
	v_lshlrev_b64 v[102:103], v19, v[6:7]
	s_delay_alu instid0(VALU_DEP_1)
	v_and_b32_e32 v6, 7, v102
; %bb.904:                              ;   in Loop: Header=BB260_806 Depth=1
	s_or_b32 exec_lo, exec_lo, s16
	v_lshlrev_b32_e32 v19, 24, v101
	s_delay_alu instid0(VALU_DEP_2) | instskip(SKIP_1) | instid1(VALU_DEP_3)
	v_lshlrev_b32_e32 v6, 20, v6
	v_lshl_add_u32 v18, v18, 23, 0x3c000000
	v_and_b32_e32 v19, 0x80000000, v19
	s_delay_alu instid0(VALU_DEP_1)
	v_or3_b32 v19, v6, v19, v18
	v_mov_b32_e32 v18, v7
.LBB260_905:                            ;   in Loop: Header=BB260_806 Depth=1
	s_or_b32 exec_lo, exec_lo, s10
.LBB260_906:                            ;   in Loop: Header=BB260_806 Depth=1
	s_delay_alu instid0(SALU_CYCLE_1)
	s_or_b32 exec_lo, exec_lo, s15
.LBB260_907:                            ;   in Loop: Header=BB260_806 Depth=1
	s_delay_alu instid0(SALU_CYCLE_1) | instskip(SKIP_4) | instid1(VALU_DEP_4)
	s_or_b32 exec_lo, exec_lo, s13
	v_or_b32_e32 v5, v15, v5
	v_or_b32_e32 v4, v14, v4
	;; [unrolled: 1-line block ×4, first 2 shown]
	v_mul_f32_e32 v103, v20, v5
	s_delay_alu instid0(VALU_DEP_4) | instskip(NEXT) | instid1(VALU_DEP_4)
	v_mul_f32_e32 v102, v20, v4
	v_mul_f32_e32 v100, v20, v6
	s_delay_alu instid0(VALU_DEP_4)
	v_mul_f32_e32 v101, v20, v14
	s_and_saveexec_b32 s10, vcc_lo
; %bb.908:                              ;   in Loop: Header=BB260_806 Depth=1
	v_cmp_lt_i32_e64 s0, v84, v25
	s_delay_alu instid0(VALU_DEP_1) | instskip(SKIP_1) | instid1(VALU_DEP_1)
	v_cndmask_b32_e64 v102, 0, v102, s0
	v_cmp_lt_i32_e64 s0, v87, v25
	v_cndmask_b32_e64 v103, 0, v103, s0
	v_cmp_lt_i32_e64 s0, v86, v25
	s_delay_alu instid0(VALU_DEP_1) | instskip(SKIP_1) | instid1(VALU_DEP_1)
	v_cndmask_b32_e64 v101, 0, v101, s0
	v_cmp_lt_i32_e64 s0, v85, v25
	v_cndmask_b32_e64 v100, 0, v100, s0
; %bb.909:                              ;   in Loop: Header=BB260_806 Depth=1
	s_or_b32 exec_lo, exec_lo, s10
	flat_load_b32 v112, v[12:13] offset:384
	v_mov_b32_e32 v14, 0
	v_mov_b32_e32 v15, 0
	s_mov_b32 s10, exec_lo
	s_waitcnt vmcnt(0) lgkmcnt(0)
	v_and_b32_e32 v6, 0xff, v112
	s_delay_alu instid0(VALU_DEP_2) | instskip(NEXT) | instid1(VALU_DEP_2)
	v_dual_mov_b32 v4, v14 :: v_dual_mov_b32 v5, v15
	v_cmpx_ne_u16_e32 0, v6
	s_cbranch_execz .LBB260_917
; %bb.910:                              ;   in Loop: Header=BB260_806 Depth=1
	v_bfrev_b32_e32 v4, 1
	v_mov_b32_e32 v5, 0
	s_mov_b32 s13, exec_lo
	v_cmpx_ne_u16_e32 0x80, v6
	s_cbranch_execz .LBB260_916
; %bb.911:                              ;   in Loop: Header=BB260_806 Depth=1
	v_mov_b32_e32 v4, 0x7f800001
	v_dual_mov_b32 v5, 0 :: v_dual_and_b32 v16, 0x7f, v112
	s_mov_b32 s15, exec_lo
	s_delay_alu instid0(VALU_DEP_1)
	v_cmpx_ne_u32_e32 0x7f, v16
	s_cbranch_execz .LBB260_915
; %bb.912:                              ;   in Loop: Header=BB260_806 Depth=1
	v_and_b32_e32 v6, 7, v112
	v_lshrrev_b32_e32 v4, 3, v16
	s_mov_b32 s16, exec_lo
	v_cmpx_gt_u32_e32 8, v16
; %bb.913:                              ;   in Loop: Header=BB260_806 Depth=1
	s_delay_alu instid0(VALU_DEP_3) | instskip(NEXT) | instid1(VALU_DEP_1)
	v_clz_i32_u32_e32 v4, v6
	v_min_u32_e32 v4, 32, v4
	s_delay_alu instid0(VALU_DEP_1) | instskip(SKIP_1) | instid1(VALU_DEP_2)
	v_subrev_nc_u32_e32 v5, 28, v4
	v_sub_nc_u32_e32 v4, 29, v4
	v_lshlrev_b64 v[5:6], v5, v[6:7]
	s_delay_alu instid0(VALU_DEP_1)
	v_and_b32_e32 v6, 7, v5
; %bb.914:                              ;   in Loop: Header=BB260_806 Depth=1
	s_or_b32 exec_lo, exec_lo, s16
	v_lshlrev_b32_e32 v5, 24, v112
	s_delay_alu instid0(VALU_DEP_2) | instskip(SKIP_1) | instid1(VALU_DEP_3)
	v_lshlrev_b32_e32 v6, 20, v6
	v_lshl_add_u32 v4, v4, 23, 0x3c000000
	v_and_b32_e32 v5, 0x80000000, v5
	s_delay_alu instid0(VALU_DEP_1) | instskip(NEXT) | instid1(VALU_DEP_1)
	v_or3_b32 v6, v6, v5, v4
	v_dual_mov_b32 v4, v6 :: v_dual_mov_b32 v5, v7
.LBB260_915:                            ;   in Loop: Header=BB260_806 Depth=1
	s_or_b32 exec_lo, exec_lo, s15
.LBB260_916:                            ;   in Loop: Header=BB260_806 Depth=1
	s_delay_alu instid0(SALU_CYCLE_1)
	s_or_b32 exec_lo, exec_lo, s13
.LBB260_917:                            ;   in Loop: Header=BB260_806 Depth=1
	s_delay_alu instid0(SALU_CYCLE_1) | instskip(SKIP_2) | instid1(VALU_DEP_1)
	s_or_b32 exec_lo, exec_lo, s10
	v_lshrrev_b16 v6, 8, v112
	s_mov_b32 s13, exec_lo
	v_cmpx_ne_u16_e32 0, v6
	s_cbranch_execz .LBB260_925
; %bb.918:                              ;   in Loop: Header=BB260_806 Depth=1
	v_dual_mov_b32 v15, s9 :: v_dual_mov_b32 v14, s8
	s_mov_b32 s15, exec_lo
	v_cmpx_ne_u16_e32 0x80, v6
	s_cbranch_execz .LBB260_924
; %bb.919:                              ;   in Loop: Header=BB260_806 Depth=1
	s_mov_b32 s10, s8
	v_dual_mov_b32 v15, s11 :: v_dual_and_b32 v6, 0xffff, v6
	v_mov_b32_e32 v14, s10
	s_mov_b32 s10, exec_lo
	s_delay_alu instid0(VALU_DEP_2) | instskip(NEXT) | instid1(VALU_DEP_1)
	v_and_b32_e32 v16, 0x7f, v6
	v_cmpx_ne_u32_e32 0x7f, v16
	s_cbranch_execz .LBB260_923
; %bb.920:                              ;   in Loop: Header=BB260_806 Depth=1
	v_and_b32_e32 v6, 7, v6
	v_lshrrev_b32_e32 v14, 3, v16
	s_mov_b32 s16, exec_lo
	v_cmpx_gt_u32_e32 8, v16
; %bb.921:                              ;   in Loop: Header=BB260_806 Depth=1
	s_delay_alu instid0(VALU_DEP_3) | instskip(NEXT) | instid1(VALU_DEP_1)
	v_clz_i32_u32_e32 v14, v6
	v_min_u32_e32 v14, 32, v14
	s_delay_alu instid0(VALU_DEP_1) | instskip(SKIP_1) | instid1(VALU_DEP_2)
	v_subrev_nc_u32_e32 v15, 28, v14
	v_sub_nc_u32_e32 v14, 29, v14
	v_lshlrev_b64 v[15:16], v15, v[6:7]
	s_delay_alu instid0(VALU_DEP_1)
	v_and_b32_e32 v6, 7, v15
; %bb.922:                              ;   in Loop: Header=BB260_806 Depth=1
	s_or_b32 exec_lo, exec_lo, s16
	v_lshlrev_b32_e32 v15, 16, v112
	s_delay_alu instid0(VALU_DEP_2) | instskip(SKIP_1) | instid1(VALU_DEP_3)
	v_lshlrev_b32_e32 v6, 20, v6
	v_lshl_add_u32 v14, v14, 23, 0x3c000000
	v_and_b32_e32 v15, 0x80000000, v15
	s_delay_alu instid0(VALU_DEP_1)
	v_or3_b32 v15, v6, v15, v14
	v_mov_b32_e32 v14, v7
.LBB260_923:                            ;   in Loop: Header=BB260_806 Depth=1
	s_or_b32 exec_lo, exec_lo, s10
.LBB260_924:                            ;   in Loop: Header=BB260_806 Depth=1
	s_delay_alu instid0(SALU_CYCLE_1)
	s_or_b32 exec_lo, exec_lo, s15
.LBB260_925:                            ;   in Loop: Header=BB260_806 Depth=1
	s_delay_alu instid0(SALU_CYCLE_1) | instskip(SKIP_4) | instid1(VALU_DEP_2)
	s_or_b32 exec_lo, exec_lo, s13
	v_mov_b32_e32 v18, 0
	v_lshrrev_b32_e32 v113, 16, v112
	v_mov_b32_e32 v19, 0
	s_mov_b32 s10, exec_lo
	v_and_b32_e32 v6, 0xff, v113
	s_delay_alu instid0(VALU_DEP_2) | instskip(NEXT) | instid1(VALU_DEP_2)
	v_dual_mov_b32 v16, v18 :: v_dual_mov_b32 v17, v19
	v_cmpx_ne_u16_e32 0, v6
	s_cbranch_execz .LBB260_933
; %bb.926:                              ;   in Loop: Header=BB260_806 Depth=1
	v_bfrev_b32_e32 v16, 1
	v_mov_b32_e32 v17, 0
	s_mov_b32 s13, exec_lo
	v_cmpx_ne_u16_e32 0x80, v6
	s_cbranch_execz .LBB260_932
; %bb.927:                              ;   in Loop: Header=BB260_806 Depth=1
	v_mov_b32_e32 v16, 0x7f800001
	v_bfe_u32 v114, v112, 16, 7
	v_mov_b32_e32 v17, 0
	s_mov_b32 s15, exec_lo
	s_delay_alu instid0(VALU_DEP_2)
	v_cmpx_ne_u32_e32 0x7f, v114
	s_cbranch_execz .LBB260_931
; %bb.928:                              ;   in Loop: Header=BB260_806 Depth=1
	v_and_b32_e32 v6, 7, v113
	v_lshrrev_b32_e32 v16, 3, v114
	s_mov_b32 s16, exec_lo
	v_cmpx_gt_u32_e32 8, v114
; %bb.929:                              ;   in Loop: Header=BB260_806 Depth=1
	s_delay_alu instid0(VALU_DEP_3) | instskip(NEXT) | instid1(VALU_DEP_1)
	v_clz_i32_u32_e32 v16, v6
	v_min_u32_e32 v16, 32, v16
	s_delay_alu instid0(VALU_DEP_1) | instskip(SKIP_1) | instid1(VALU_DEP_2)
	v_subrev_nc_u32_e32 v17, 28, v16
	v_sub_nc_u32_e32 v16, 29, v16
	v_lshlrev_b64 v[114:115], v17, v[6:7]
	s_delay_alu instid0(VALU_DEP_1)
	v_and_b32_e32 v6, 7, v114
; %bb.930:                              ;   in Loop: Header=BB260_806 Depth=1
	s_or_b32 exec_lo, exec_lo, s16
	v_lshlrev_b32_e32 v17, 24, v113
	s_delay_alu instid0(VALU_DEP_2) | instskip(SKIP_1) | instid1(VALU_DEP_3)
	v_lshlrev_b32_e32 v6, 20, v6
	v_lshl_add_u32 v16, v16, 23, 0x3c000000
	v_and_b32_e32 v17, 0x80000000, v17
	s_delay_alu instid0(VALU_DEP_1) | instskip(NEXT) | instid1(VALU_DEP_1)
	v_or3_b32 v6, v6, v17, v16
	v_dual_mov_b32 v17, v7 :: v_dual_mov_b32 v16, v6
.LBB260_931:                            ;   in Loop: Header=BB260_806 Depth=1
	s_or_b32 exec_lo, exec_lo, s15
.LBB260_932:                            ;   in Loop: Header=BB260_806 Depth=1
	s_delay_alu instid0(SALU_CYCLE_1)
	s_or_b32 exec_lo, exec_lo, s13
.LBB260_933:                            ;   in Loop: Header=BB260_806 Depth=1
	s_delay_alu instid0(SALU_CYCLE_1) | instskip(NEXT) | instid1(SALU_CYCLE_1)
	s_or_b32 exec_lo, exec_lo, s10
	s_mov_b32 s13, exec_lo
	v_cmpx_lt_u32_e32 0xffffff, v112
	s_cbranch_execz .LBB260_941
; %bb.934:                              ;   in Loop: Header=BB260_806 Depth=1
	v_lshrrev_b32_e32 v113, 24, v112
	v_dual_mov_b32 v19, s9 :: v_dual_mov_b32 v18, s8
	s_mov_b32 s15, exec_lo
	s_delay_alu instid0(VALU_DEP_2)
	v_cmpx_ne_u32_e32 0x80, v113
	s_cbranch_execz .LBB260_940
; %bb.935:                              ;   in Loop: Header=BB260_806 Depth=1
	s_mov_b32 s10, s8
	v_bfe_u32 v112, v112, 24, 7
	v_dual_mov_b32 v19, s11 :: v_dual_mov_b32 v18, s10
	s_mov_b32 s10, exec_lo
	s_delay_alu instid0(VALU_DEP_2)
	v_cmpx_ne_u32_e32 0x7f, v112
	s_cbranch_execz .LBB260_939
; %bb.936:                              ;   in Loop: Header=BB260_806 Depth=1
	v_and_b32_e32 v6, 7, v113
	v_lshrrev_b32_e32 v18, 3, v112
	s_mov_b32 s16, exec_lo
	v_cmpx_gt_u32_e32 8, v112
; %bb.937:                              ;   in Loop: Header=BB260_806 Depth=1
	s_delay_alu instid0(VALU_DEP_3) | instskip(NEXT) | instid1(VALU_DEP_1)
	v_clz_i32_u32_e32 v18, v6
	v_min_u32_e32 v18, 32, v18
	s_delay_alu instid0(VALU_DEP_1) | instskip(SKIP_1) | instid1(VALU_DEP_2)
	v_subrev_nc_u32_e32 v19, 28, v18
	v_sub_nc_u32_e32 v18, 29, v18
	v_lshlrev_b64 v[114:115], v19, v[6:7]
	s_delay_alu instid0(VALU_DEP_1)
	v_and_b32_e32 v6, 7, v114
; %bb.938:                              ;   in Loop: Header=BB260_806 Depth=1
	s_or_b32 exec_lo, exec_lo, s16
	v_lshlrev_b32_e32 v19, 24, v113
	s_delay_alu instid0(VALU_DEP_2) | instskip(SKIP_1) | instid1(VALU_DEP_3)
	v_lshlrev_b32_e32 v6, 20, v6
	v_lshl_add_u32 v18, v18, 23, 0x3c000000
	v_and_b32_e32 v19, 0x80000000, v19
	s_delay_alu instid0(VALU_DEP_1)
	v_or3_b32 v19, v6, v19, v18
	v_mov_b32_e32 v18, v7
.LBB260_939:                            ;   in Loop: Header=BB260_806 Depth=1
	s_or_b32 exec_lo, exec_lo, s10
.LBB260_940:                            ;   in Loop: Header=BB260_806 Depth=1
	s_delay_alu instid0(SALU_CYCLE_1)
	s_or_b32 exec_lo, exec_lo, s15
.LBB260_941:                            ;   in Loop: Header=BB260_806 Depth=1
	s_delay_alu instid0(SALU_CYCLE_1) | instskip(SKIP_4) | instid1(VALU_DEP_4)
	s_or_b32 exec_lo, exec_lo, s13
	v_or_b32_e32 v5, v15, v5
	v_or_b32_e32 v4, v14, v4
	;; [unrolled: 1-line block ×4, first 2 shown]
	v_mul_f32_e32 v115, v20, v5
	s_delay_alu instid0(VALU_DEP_4) | instskip(NEXT) | instid1(VALU_DEP_4)
	v_mul_f32_e32 v114, v20, v4
	v_mul_f32_e32 v112, v20, v6
	s_delay_alu instid0(VALU_DEP_4)
	v_mul_f32_e32 v113, v20, v14
	s_and_saveexec_b32 s10, vcc_lo
; %bb.942:                              ;   in Loop: Header=BB260_806 Depth=1
	v_cmp_lt_i32_e64 s0, v84, v25
	s_delay_alu instid0(VALU_DEP_1) | instskip(SKIP_1) | instid1(VALU_DEP_1)
	v_cndmask_b32_e64 v114, 0, v114, s0
	v_cmp_lt_i32_e64 s0, v87, v25
	v_cndmask_b32_e64 v115, 0, v115, s0
	v_cmp_lt_i32_e64 s0, v86, v25
	s_delay_alu instid0(VALU_DEP_1) | instskip(SKIP_1) | instid1(VALU_DEP_1)
	v_cndmask_b32_e64 v113, 0, v113, s0
	v_cmp_lt_i32_e64 s0, v85, v25
	v_cndmask_b32_e64 v112, 0, v112, s0
; %bb.943:                              ;   in Loop: Header=BB260_806 Depth=1
	s_or_b32 exec_lo, exec_lo, s10
	flat_load_b32 v116, v[12:13] offset:512
	v_mov_b32_e32 v14, 0
	v_mov_b32_e32 v15, 0
	s_mov_b32 s10, exec_lo
	s_waitcnt vmcnt(0) lgkmcnt(0)
	v_and_b32_e32 v6, 0xff, v116
	s_delay_alu instid0(VALU_DEP_2) | instskip(NEXT) | instid1(VALU_DEP_2)
	v_dual_mov_b32 v4, v14 :: v_dual_mov_b32 v5, v15
	v_cmpx_ne_u16_e32 0, v6
	s_cbranch_execz .LBB260_951
; %bb.944:                              ;   in Loop: Header=BB260_806 Depth=1
	v_bfrev_b32_e32 v4, 1
	v_mov_b32_e32 v5, 0
	s_mov_b32 s13, exec_lo
	v_cmpx_ne_u16_e32 0x80, v6
	s_cbranch_execz .LBB260_950
; %bb.945:                              ;   in Loop: Header=BB260_806 Depth=1
	v_mov_b32_e32 v4, 0x7f800001
	v_dual_mov_b32 v5, 0 :: v_dual_and_b32 v16, 0x7f, v116
	s_mov_b32 s15, exec_lo
	s_delay_alu instid0(VALU_DEP_1)
	v_cmpx_ne_u32_e32 0x7f, v16
	s_cbranch_execz .LBB260_949
; %bb.946:                              ;   in Loop: Header=BB260_806 Depth=1
	v_and_b32_e32 v6, 7, v116
	v_lshrrev_b32_e32 v4, 3, v16
	s_mov_b32 s16, exec_lo
	v_cmpx_gt_u32_e32 8, v16
; %bb.947:                              ;   in Loop: Header=BB260_806 Depth=1
	s_delay_alu instid0(VALU_DEP_3) | instskip(NEXT) | instid1(VALU_DEP_1)
	v_clz_i32_u32_e32 v4, v6
	v_min_u32_e32 v4, 32, v4
	s_delay_alu instid0(VALU_DEP_1) | instskip(SKIP_1) | instid1(VALU_DEP_2)
	v_subrev_nc_u32_e32 v5, 28, v4
	v_sub_nc_u32_e32 v4, 29, v4
	v_lshlrev_b64 v[5:6], v5, v[6:7]
	s_delay_alu instid0(VALU_DEP_1)
	v_and_b32_e32 v6, 7, v5
; %bb.948:                              ;   in Loop: Header=BB260_806 Depth=1
	s_or_b32 exec_lo, exec_lo, s16
	v_lshlrev_b32_e32 v5, 24, v116
	s_delay_alu instid0(VALU_DEP_2) | instskip(SKIP_1) | instid1(VALU_DEP_3)
	v_lshlrev_b32_e32 v6, 20, v6
	v_lshl_add_u32 v4, v4, 23, 0x3c000000
	v_and_b32_e32 v5, 0x80000000, v5
	s_delay_alu instid0(VALU_DEP_1) | instskip(NEXT) | instid1(VALU_DEP_1)
	v_or3_b32 v6, v6, v5, v4
	v_dual_mov_b32 v4, v6 :: v_dual_mov_b32 v5, v7
.LBB260_949:                            ;   in Loop: Header=BB260_806 Depth=1
	s_or_b32 exec_lo, exec_lo, s15
.LBB260_950:                            ;   in Loop: Header=BB260_806 Depth=1
	s_delay_alu instid0(SALU_CYCLE_1)
	s_or_b32 exec_lo, exec_lo, s13
.LBB260_951:                            ;   in Loop: Header=BB260_806 Depth=1
	s_delay_alu instid0(SALU_CYCLE_1) | instskip(SKIP_2) | instid1(VALU_DEP_1)
	s_or_b32 exec_lo, exec_lo, s10
	v_lshrrev_b16 v6, 8, v116
	s_mov_b32 s13, exec_lo
	v_cmpx_ne_u16_e32 0, v6
	s_cbranch_execz .LBB260_959
; %bb.952:                              ;   in Loop: Header=BB260_806 Depth=1
	v_dual_mov_b32 v15, s9 :: v_dual_mov_b32 v14, s8
	s_mov_b32 s15, exec_lo
	v_cmpx_ne_u16_e32 0x80, v6
	s_cbranch_execz .LBB260_958
; %bb.953:                              ;   in Loop: Header=BB260_806 Depth=1
	s_mov_b32 s10, s8
	v_dual_mov_b32 v15, s11 :: v_dual_and_b32 v6, 0xffff, v6
	v_mov_b32_e32 v14, s10
	s_mov_b32 s10, exec_lo
	s_delay_alu instid0(VALU_DEP_2) | instskip(NEXT) | instid1(VALU_DEP_1)
	v_and_b32_e32 v16, 0x7f, v6
	v_cmpx_ne_u32_e32 0x7f, v16
	s_cbranch_execz .LBB260_957
; %bb.954:                              ;   in Loop: Header=BB260_806 Depth=1
	v_and_b32_e32 v6, 7, v6
	v_lshrrev_b32_e32 v14, 3, v16
	s_mov_b32 s16, exec_lo
	v_cmpx_gt_u32_e32 8, v16
; %bb.955:                              ;   in Loop: Header=BB260_806 Depth=1
	s_delay_alu instid0(VALU_DEP_3) | instskip(NEXT) | instid1(VALU_DEP_1)
	v_clz_i32_u32_e32 v14, v6
	v_min_u32_e32 v14, 32, v14
	s_delay_alu instid0(VALU_DEP_1) | instskip(SKIP_1) | instid1(VALU_DEP_2)
	v_subrev_nc_u32_e32 v15, 28, v14
	v_sub_nc_u32_e32 v14, 29, v14
	v_lshlrev_b64 v[15:16], v15, v[6:7]
	s_delay_alu instid0(VALU_DEP_1)
	v_and_b32_e32 v6, 7, v15
; %bb.956:                              ;   in Loop: Header=BB260_806 Depth=1
	s_or_b32 exec_lo, exec_lo, s16
	v_lshlrev_b32_e32 v15, 16, v116
	s_delay_alu instid0(VALU_DEP_2) | instskip(SKIP_1) | instid1(VALU_DEP_3)
	v_lshlrev_b32_e32 v6, 20, v6
	v_lshl_add_u32 v14, v14, 23, 0x3c000000
	v_and_b32_e32 v15, 0x80000000, v15
	s_delay_alu instid0(VALU_DEP_1)
	v_or3_b32 v15, v6, v15, v14
	v_mov_b32_e32 v14, v7
.LBB260_957:                            ;   in Loop: Header=BB260_806 Depth=1
	s_or_b32 exec_lo, exec_lo, s10
.LBB260_958:                            ;   in Loop: Header=BB260_806 Depth=1
	s_delay_alu instid0(SALU_CYCLE_1)
	s_or_b32 exec_lo, exec_lo, s15
.LBB260_959:                            ;   in Loop: Header=BB260_806 Depth=1
	s_delay_alu instid0(SALU_CYCLE_1) | instskip(SKIP_4) | instid1(VALU_DEP_2)
	s_or_b32 exec_lo, exec_lo, s13
	v_mov_b32_e32 v18, 0
	v_lshrrev_b32_e32 v117, 16, v116
	v_mov_b32_e32 v19, 0
	s_mov_b32 s10, exec_lo
	v_and_b32_e32 v6, 0xff, v117
	s_delay_alu instid0(VALU_DEP_2) | instskip(NEXT) | instid1(VALU_DEP_2)
	v_dual_mov_b32 v16, v18 :: v_dual_mov_b32 v17, v19
	v_cmpx_ne_u16_e32 0, v6
	s_cbranch_execz .LBB260_967
; %bb.960:                              ;   in Loop: Header=BB260_806 Depth=1
	v_bfrev_b32_e32 v16, 1
	v_mov_b32_e32 v17, 0
	s_mov_b32 s13, exec_lo
	v_cmpx_ne_u16_e32 0x80, v6
	s_cbranch_execz .LBB260_966
; %bb.961:                              ;   in Loop: Header=BB260_806 Depth=1
	v_mov_b32_e32 v16, 0x7f800001
	v_bfe_u32 v118, v116, 16, 7
	v_mov_b32_e32 v17, 0
	s_mov_b32 s15, exec_lo
	s_delay_alu instid0(VALU_DEP_2)
	v_cmpx_ne_u32_e32 0x7f, v118
	s_cbranch_execz .LBB260_965
; %bb.962:                              ;   in Loop: Header=BB260_806 Depth=1
	v_and_b32_e32 v6, 7, v117
	v_lshrrev_b32_e32 v16, 3, v118
	s_mov_b32 s16, exec_lo
	v_cmpx_gt_u32_e32 8, v118
; %bb.963:                              ;   in Loop: Header=BB260_806 Depth=1
	s_delay_alu instid0(VALU_DEP_3) | instskip(NEXT) | instid1(VALU_DEP_1)
	v_clz_i32_u32_e32 v16, v6
	v_min_u32_e32 v16, 32, v16
	s_delay_alu instid0(VALU_DEP_1) | instskip(SKIP_1) | instid1(VALU_DEP_2)
	v_subrev_nc_u32_e32 v17, 28, v16
	v_sub_nc_u32_e32 v16, 29, v16
	v_lshlrev_b64 v[118:119], v17, v[6:7]
	s_delay_alu instid0(VALU_DEP_1)
	v_and_b32_e32 v6, 7, v118
; %bb.964:                              ;   in Loop: Header=BB260_806 Depth=1
	s_or_b32 exec_lo, exec_lo, s16
	v_lshlrev_b32_e32 v17, 24, v117
	s_delay_alu instid0(VALU_DEP_2) | instskip(SKIP_1) | instid1(VALU_DEP_3)
	v_lshlrev_b32_e32 v6, 20, v6
	v_lshl_add_u32 v16, v16, 23, 0x3c000000
	v_and_b32_e32 v17, 0x80000000, v17
	s_delay_alu instid0(VALU_DEP_1) | instskip(NEXT) | instid1(VALU_DEP_1)
	v_or3_b32 v6, v6, v17, v16
	v_dual_mov_b32 v17, v7 :: v_dual_mov_b32 v16, v6
.LBB260_965:                            ;   in Loop: Header=BB260_806 Depth=1
	s_or_b32 exec_lo, exec_lo, s15
.LBB260_966:                            ;   in Loop: Header=BB260_806 Depth=1
	s_delay_alu instid0(SALU_CYCLE_1)
	s_or_b32 exec_lo, exec_lo, s13
.LBB260_967:                            ;   in Loop: Header=BB260_806 Depth=1
	s_delay_alu instid0(SALU_CYCLE_1) | instskip(NEXT) | instid1(SALU_CYCLE_1)
	s_or_b32 exec_lo, exec_lo, s10
	s_mov_b32 s13, exec_lo
	v_cmpx_lt_u32_e32 0xffffff, v116
	s_cbranch_execz .LBB260_975
; %bb.968:                              ;   in Loop: Header=BB260_806 Depth=1
	v_lshrrev_b32_e32 v117, 24, v116
	v_dual_mov_b32 v19, s9 :: v_dual_mov_b32 v18, s8
	s_mov_b32 s15, exec_lo
	s_delay_alu instid0(VALU_DEP_2)
	v_cmpx_ne_u32_e32 0x80, v117
	s_cbranch_execz .LBB260_974
; %bb.969:                              ;   in Loop: Header=BB260_806 Depth=1
	s_mov_b32 s10, s8
	v_bfe_u32 v116, v116, 24, 7
	v_dual_mov_b32 v19, s11 :: v_dual_mov_b32 v18, s10
	s_mov_b32 s10, exec_lo
	s_delay_alu instid0(VALU_DEP_2)
	v_cmpx_ne_u32_e32 0x7f, v116
	s_cbranch_execz .LBB260_973
; %bb.970:                              ;   in Loop: Header=BB260_806 Depth=1
	v_and_b32_e32 v6, 7, v117
	v_lshrrev_b32_e32 v18, 3, v116
	s_mov_b32 s16, exec_lo
	v_cmpx_gt_u32_e32 8, v116
; %bb.971:                              ;   in Loop: Header=BB260_806 Depth=1
	s_delay_alu instid0(VALU_DEP_3) | instskip(NEXT) | instid1(VALU_DEP_1)
	v_clz_i32_u32_e32 v18, v6
	v_min_u32_e32 v18, 32, v18
	s_delay_alu instid0(VALU_DEP_1) | instskip(SKIP_1) | instid1(VALU_DEP_2)
	v_subrev_nc_u32_e32 v19, 28, v18
	v_sub_nc_u32_e32 v18, 29, v18
	v_lshlrev_b64 v[118:119], v19, v[6:7]
	s_delay_alu instid0(VALU_DEP_1)
	v_and_b32_e32 v6, 7, v118
; %bb.972:                              ;   in Loop: Header=BB260_806 Depth=1
	s_or_b32 exec_lo, exec_lo, s16
	v_lshlrev_b32_e32 v19, 24, v117
	s_delay_alu instid0(VALU_DEP_2) | instskip(SKIP_1) | instid1(VALU_DEP_3)
	v_lshlrev_b32_e32 v6, 20, v6
	v_lshl_add_u32 v18, v18, 23, 0x3c000000
	v_and_b32_e32 v19, 0x80000000, v19
	s_delay_alu instid0(VALU_DEP_1)
	v_or3_b32 v19, v6, v19, v18
	v_mov_b32_e32 v18, v7
.LBB260_973:                            ;   in Loop: Header=BB260_806 Depth=1
	s_or_b32 exec_lo, exec_lo, s10
.LBB260_974:                            ;   in Loop: Header=BB260_806 Depth=1
	s_delay_alu instid0(SALU_CYCLE_1)
	s_or_b32 exec_lo, exec_lo, s15
.LBB260_975:                            ;   in Loop: Header=BB260_806 Depth=1
	s_delay_alu instid0(SALU_CYCLE_1) | instskip(SKIP_4) | instid1(VALU_DEP_4)
	s_or_b32 exec_lo, exec_lo, s13
	v_or_b32_e32 v5, v15, v5
	v_or_b32_e32 v4, v14, v4
	;; [unrolled: 1-line block ×4, first 2 shown]
	v_mul_f32_e32 v119, v20, v5
	s_delay_alu instid0(VALU_DEP_4) | instskip(NEXT) | instid1(VALU_DEP_4)
	v_mul_f32_e32 v118, v20, v4
	v_mul_f32_e32 v116, v20, v6
	s_delay_alu instid0(VALU_DEP_4)
	v_mul_f32_e32 v117, v20, v14
	s_and_saveexec_b32 s10, vcc_lo
; %bb.976:                              ;   in Loop: Header=BB260_806 Depth=1
	v_cmp_lt_i32_e64 s0, v84, v25
	s_delay_alu instid0(VALU_DEP_1) | instskip(SKIP_1) | instid1(VALU_DEP_1)
	v_cndmask_b32_e64 v118, 0, v118, s0
	v_cmp_lt_i32_e64 s0, v87, v25
	v_cndmask_b32_e64 v119, 0, v119, s0
	v_cmp_lt_i32_e64 s0, v86, v25
	s_delay_alu instid0(VALU_DEP_1) | instskip(SKIP_1) | instid1(VALU_DEP_1)
	v_cndmask_b32_e64 v117, 0, v117, s0
	v_cmp_lt_i32_e64 s0, v85, v25
	v_cndmask_b32_e64 v116, 0, v116, s0
; %bb.977:                              ;   in Loop: Header=BB260_806 Depth=1
	s_or_b32 exec_lo, exec_lo, s10
	flat_load_b32 v128, v[12:13] offset:640
	v_mov_b32_e32 v14, 0
	v_mov_b32_e32 v15, 0
	s_mov_b32 s10, exec_lo
	s_waitcnt vmcnt(0) lgkmcnt(0)
	v_and_b32_e32 v6, 0xff, v128
	s_delay_alu instid0(VALU_DEP_2) | instskip(NEXT) | instid1(VALU_DEP_2)
	v_dual_mov_b32 v4, v14 :: v_dual_mov_b32 v5, v15
	v_cmpx_ne_u16_e32 0, v6
	s_cbranch_execz .LBB260_985
; %bb.978:                              ;   in Loop: Header=BB260_806 Depth=1
	v_bfrev_b32_e32 v4, 1
	v_mov_b32_e32 v5, 0
	s_mov_b32 s13, exec_lo
	v_cmpx_ne_u16_e32 0x80, v6
	s_cbranch_execz .LBB260_984
; %bb.979:                              ;   in Loop: Header=BB260_806 Depth=1
	v_mov_b32_e32 v4, 0x7f800001
	v_dual_mov_b32 v5, 0 :: v_dual_and_b32 v16, 0x7f, v128
	s_mov_b32 s15, exec_lo
	s_delay_alu instid0(VALU_DEP_1)
	v_cmpx_ne_u32_e32 0x7f, v16
	s_cbranch_execz .LBB260_983
; %bb.980:                              ;   in Loop: Header=BB260_806 Depth=1
	v_and_b32_e32 v6, 7, v128
	v_lshrrev_b32_e32 v4, 3, v16
	s_mov_b32 s16, exec_lo
	v_cmpx_gt_u32_e32 8, v16
; %bb.981:                              ;   in Loop: Header=BB260_806 Depth=1
	s_delay_alu instid0(VALU_DEP_3) | instskip(NEXT) | instid1(VALU_DEP_1)
	v_clz_i32_u32_e32 v4, v6
	v_min_u32_e32 v4, 32, v4
	s_delay_alu instid0(VALU_DEP_1) | instskip(SKIP_1) | instid1(VALU_DEP_2)
	v_subrev_nc_u32_e32 v5, 28, v4
	v_sub_nc_u32_e32 v4, 29, v4
	v_lshlrev_b64 v[5:6], v5, v[6:7]
	s_delay_alu instid0(VALU_DEP_1)
	v_and_b32_e32 v6, 7, v5
; %bb.982:                              ;   in Loop: Header=BB260_806 Depth=1
	s_or_b32 exec_lo, exec_lo, s16
	v_lshlrev_b32_e32 v5, 24, v128
	s_delay_alu instid0(VALU_DEP_2) | instskip(SKIP_1) | instid1(VALU_DEP_3)
	v_lshlrev_b32_e32 v6, 20, v6
	v_lshl_add_u32 v4, v4, 23, 0x3c000000
	v_and_b32_e32 v5, 0x80000000, v5
	s_delay_alu instid0(VALU_DEP_1) | instskip(NEXT) | instid1(VALU_DEP_1)
	v_or3_b32 v6, v6, v5, v4
	v_dual_mov_b32 v4, v6 :: v_dual_mov_b32 v5, v7
.LBB260_983:                            ;   in Loop: Header=BB260_806 Depth=1
	s_or_b32 exec_lo, exec_lo, s15
.LBB260_984:                            ;   in Loop: Header=BB260_806 Depth=1
	s_delay_alu instid0(SALU_CYCLE_1)
	s_or_b32 exec_lo, exec_lo, s13
.LBB260_985:                            ;   in Loop: Header=BB260_806 Depth=1
	s_delay_alu instid0(SALU_CYCLE_1) | instskip(SKIP_2) | instid1(VALU_DEP_1)
	s_or_b32 exec_lo, exec_lo, s10
	v_lshrrev_b16 v6, 8, v128
	s_mov_b32 s13, exec_lo
	v_cmpx_ne_u16_e32 0, v6
	s_cbranch_execz .LBB260_993
; %bb.986:                              ;   in Loop: Header=BB260_806 Depth=1
	v_dual_mov_b32 v15, s9 :: v_dual_mov_b32 v14, s8
	s_mov_b32 s15, exec_lo
	v_cmpx_ne_u16_e32 0x80, v6
	s_cbranch_execz .LBB260_992
; %bb.987:                              ;   in Loop: Header=BB260_806 Depth=1
	s_mov_b32 s10, s8
	v_dual_mov_b32 v15, s11 :: v_dual_and_b32 v6, 0xffff, v6
	v_mov_b32_e32 v14, s10
	s_mov_b32 s10, exec_lo
	s_delay_alu instid0(VALU_DEP_2) | instskip(NEXT) | instid1(VALU_DEP_1)
	v_and_b32_e32 v16, 0x7f, v6
	v_cmpx_ne_u32_e32 0x7f, v16
	s_cbranch_execz .LBB260_991
; %bb.988:                              ;   in Loop: Header=BB260_806 Depth=1
	v_and_b32_e32 v6, 7, v6
	v_lshrrev_b32_e32 v14, 3, v16
	s_mov_b32 s16, exec_lo
	v_cmpx_gt_u32_e32 8, v16
; %bb.989:                              ;   in Loop: Header=BB260_806 Depth=1
	s_delay_alu instid0(VALU_DEP_3) | instskip(NEXT) | instid1(VALU_DEP_1)
	v_clz_i32_u32_e32 v14, v6
	v_min_u32_e32 v14, 32, v14
	s_delay_alu instid0(VALU_DEP_1) | instskip(SKIP_1) | instid1(VALU_DEP_2)
	v_subrev_nc_u32_e32 v15, 28, v14
	v_sub_nc_u32_e32 v14, 29, v14
	v_lshlrev_b64 v[15:16], v15, v[6:7]
	s_delay_alu instid0(VALU_DEP_1)
	v_and_b32_e32 v6, 7, v15
; %bb.990:                              ;   in Loop: Header=BB260_806 Depth=1
	s_or_b32 exec_lo, exec_lo, s16
	v_lshlrev_b32_e32 v15, 16, v128
	s_delay_alu instid0(VALU_DEP_2) | instskip(SKIP_1) | instid1(VALU_DEP_3)
	v_lshlrev_b32_e32 v6, 20, v6
	v_lshl_add_u32 v14, v14, 23, 0x3c000000
	v_and_b32_e32 v15, 0x80000000, v15
	s_delay_alu instid0(VALU_DEP_1)
	v_or3_b32 v15, v6, v15, v14
	v_mov_b32_e32 v14, v7
.LBB260_991:                            ;   in Loop: Header=BB260_806 Depth=1
	s_or_b32 exec_lo, exec_lo, s10
.LBB260_992:                            ;   in Loop: Header=BB260_806 Depth=1
	s_delay_alu instid0(SALU_CYCLE_1)
	s_or_b32 exec_lo, exec_lo, s15
.LBB260_993:                            ;   in Loop: Header=BB260_806 Depth=1
	s_delay_alu instid0(SALU_CYCLE_1) | instskip(SKIP_4) | instid1(VALU_DEP_2)
	s_or_b32 exec_lo, exec_lo, s13
	v_mov_b32_e32 v18, 0
	v_lshrrev_b32_e32 v129, 16, v128
	v_mov_b32_e32 v19, 0
	s_mov_b32 s10, exec_lo
	v_and_b32_e32 v6, 0xff, v129
	s_delay_alu instid0(VALU_DEP_2) | instskip(NEXT) | instid1(VALU_DEP_2)
	v_dual_mov_b32 v16, v18 :: v_dual_mov_b32 v17, v19
	v_cmpx_ne_u16_e32 0, v6
	s_cbranch_execz .LBB260_1001
; %bb.994:                              ;   in Loop: Header=BB260_806 Depth=1
	v_bfrev_b32_e32 v16, 1
	v_mov_b32_e32 v17, 0
	s_mov_b32 s13, exec_lo
	v_cmpx_ne_u16_e32 0x80, v6
	s_cbranch_execz .LBB260_1000
; %bb.995:                              ;   in Loop: Header=BB260_806 Depth=1
	v_mov_b32_e32 v16, 0x7f800001
	v_bfe_u32 v130, v128, 16, 7
	v_mov_b32_e32 v17, 0
	s_mov_b32 s15, exec_lo
	s_delay_alu instid0(VALU_DEP_2)
	v_cmpx_ne_u32_e32 0x7f, v130
	s_cbranch_execz .LBB260_999
; %bb.996:                              ;   in Loop: Header=BB260_806 Depth=1
	v_and_b32_e32 v6, 7, v129
	v_lshrrev_b32_e32 v16, 3, v130
	s_mov_b32 s16, exec_lo
	v_cmpx_gt_u32_e32 8, v130
; %bb.997:                              ;   in Loop: Header=BB260_806 Depth=1
	s_delay_alu instid0(VALU_DEP_3) | instskip(NEXT) | instid1(VALU_DEP_1)
	v_clz_i32_u32_e32 v16, v6
	v_min_u32_e32 v16, 32, v16
	s_delay_alu instid0(VALU_DEP_1) | instskip(SKIP_1) | instid1(VALU_DEP_2)
	v_subrev_nc_u32_e32 v17, 28, v16
	v_sub_nc_u32_e32 v16, 29, v16
	v_lshlrev_b64 v[130:131], v17, v[6:7]
	s_delay_alu instid0(VALU_DEP_1)
	v_and_b32_e32 v6, 7, v130
; %bb.998:                              ;   in Loop: Header=BB260_806 Depth=1
	s_or_b32 exec_lo, exec_lo, s16
	v_lshlrev_b32_e32 v17, 24, v129
	s_delay_alu instid0(VALU_DEP_2) | instskip(SKIP_1) | instid1(VALU_DEP_3)
	v_lshlrev_b32_e32 v6, 20, v6
	v_lshl_add_u32 v16, v16, 23, 0x3c000000
	v_and_b32_e32 v17, 0x80000000, v17
	s_delay_alu instid0(VALU_DEP_1) | instskip(NEXT) | instid1(VALU_DEP_1)
	v_or3_b32 v6, v6, v17, v16
	v_dual_mov_b32 v17, v7 :: v_dual_mov_b32 v16, v6
.LBB260_999:                            ;   in Loop: Header=BB260_806 Depth=1
	s_or_b32 exec_lo, exec_lo, s15
.LBB260_1000:                           ;   in Loop: Header=BB260_806 Depth=1
	s_delay_alu instid0(SALU_CYCLE_1)
	s_or_b32 exec_lo, exec_lo, s13
.LBB260_1001:                           ;   in Loop: Header=BB260_806 Depth=1
	s_delay_alu instid0(SALU_CYCLE_1) | instskip(NEXT) | instid1(SALU_CYCLE_1)
	s_or_b32 exec_lo, exec_lo, s10
	s_mov_b32 s13, exec_lo
	v_cmpx_lt_u32_e32 0xffffff, v128
	s_cbranch_execz .LBB260_1009
; %bb.1002:                             ;   in Loop: Header=BB260_806 Depth=1
	v_lshrrev_b32_e32 v129, 24, v128
	v_dual_mov_b32 v19, s9 :: v_dual_mov_b32 v18, s8
	s_mov_b32 s15, exec_lo
	s_delay_alu instid0(VALU_DEP_2)
	v_cmpx_ne_u32_e32 0x80, v129
	s_cbranch_execz .LBB260_1008
; %bb.1003:                             ;   in Loop: Header=BB260_806 Depth=1
	s_mov_b32 s10, s8
	v_bfe_u32 v128, v128, 24, 7
	v_dual_mov_b32 v19, s11 :: v_dual_mov_b32 v18, s10
	s_mov_b32 s10, exec_lo
	s_delay_alu instid0(VALU_DEP_2)
	v_cmpx_ne_u32_e32 0x7f, v128
	s_cbranch_execz .LBB260_1007
; %bb.1004:                             ;   in Loop: Header=BB260_806 Depth=1
	v_and_b32_e32 v6, 7, v129
	v_lshrrev_b32_e32 v18, 3, v128
	s_mov_b32 s16, exec_lo
	v_cmpx_gt_u32_e32 8, v128
; %bb.1005:                             ;   in Loop: Header=BB260_806 Depth=1
	s_delay_alu instid0(VALU_DEP_3) | instskip(NEXT) | instid1(VALU_DEP_1)
	v_clz_i32_u32_e32 v18, v6
	v_min_u32_e32 v18, 32, v18
	s_delay_alu instid0(VALU_DEP_1) | instskip(SKIP_1) | instid1(VALU_DEP_2)
	v_subrev_nc_u32_e32 v19, 28, v18
	v_sub_nc_u32_e32 v18, 29, v18
	v_lshlrev_b64 v[130:131], v19, v[6:7]
	s_delay_alu instid0(VALU_DEP_1)
	v_and_b32_e32 v6, 7, v130
; %bb.1006:                             ;   in Loop: Header=BB260_806 Depth=1
	s_or_b32 exec_lo, exec_lo, s16
	v_lshlrev_b32_e32 v19, 24, v129
	s_delay_alu instid0(VALU_DEP_2) | instskip(SKIP_1) | instid1(VALU_DEP_3)
	v_lshlrev_b32_e32 v6, 20, v6
	v_lshl_add_u32 v18, v18, 23, 0x3c000000
	v_and_b32_e32 v19, 0x80000000, v19
	s_delay_alu instid0(VALU_DEP_1)
	v_or3_b32 v19, v6, v19, v18
	v_mov_b32_e32 v18, v7
.LBB260_1007:                           ;   in Loop: Header=BB260_806 Depth=1
	s_or_b32 exec_lo, exec_lo, s10
.LBB260_1008:                           ;   in Loop: Header=BB260_806 Depth=1
	s_delay_alu instid0(SALU_CYCLE_1)
	s_or_b32 exec_lo, exec_lo, s15
.LBB260_1009:                           ;   in Loop: Header=BB260_806 Depth=1
	s_delay_alu instid0(SALU_CYCLE_1) | instskip(SKIP_4) | instid1(VALU_DEP_4)
	s_or_b32 exec_lo, exec_lo, s13
	v_or_b32_e32 v5, v15, v5
	v_or_b32_e32 v4, v14, v4
	;; [unrolled: 1-line block ×4, first 2 shown]
	v_mul_f32_e32 v131, v20, v5
	s_delay_alu instid0(VALU_DEP_4) | instskip(NEXT) | instid1(VALU_DEP_4)
	v_mul_f32_e32 v130, v20, v4
	v_mul_f32_e32 v128, v20, v6
	s_delay_alu instid0(VALU_DEP_4)
	v_mul_f32_e32 v129, v20, v14
	s_and_saveexec_b32 s10, vcc_lo
; %bb.1010:                             ;   in Loop: Header=BB260_806 Depth=1
	v_cmp_lt_i32_e64 s0, v84, v25
	s_delay_alu instid0(VALU_DEP_1) | instskip(SKIP_1) | instid1(VALU_DEP_1)
	v_cndmask_b32_e64 v130, 0, v130, s0
	v_cmp_lt_i32_e64 s0, v87, v25
	v_cndmask_b32_e64 v131, 0, v131, s0
	v_cmp_lt_i32_e64 s0, v86, v25
	s_delay_alu instid0(VALU_DEP_1) | instskip(SKIP_1) | instid1(VALU_DEP_1)
	v_cndmask_b32_e64 v129, 0, v129, s0
	v_cmp_lt_i32_e64 s0, v85, v25
	v_cndmask_b32_e64 v128, 0, v128, s0
; %bb.1011:                             ;   in Loop: Header=BB260_806 Depth=1
	s_or_b32 exec_lo, exec_lo, s10
	flat_load_b32 v132, v[12:13] offset:768
	v_mov_b32_e32 v14, 0
	v_mov_b32_e32 v15, 0
	s_mov_b32 s10, exec_lo
	s_waitcnt vmcnt(0) lgkmcnt(0)
	v_and_b32_e32 v6, 0xff, v132
	s_delay_alu instid0(VALU_DEP_2) | instskip(NEXT) | instid1(VALU_DEP_2)
	v_dual_mov_b32 v4, v14 :: v_dual_mov_b32 v5, v15
	v_cmpx_ne_u16_e32 0, v6
	s_cbranch_execz .LBB260_1019
; %bb.1012:                             ;   in Loop: Header=BB260_806 Depth=1
	v_bfrev_b32_e32 v4, 1
	v_mov_b32_e32 v5, 0
	s_mov_b32 s13, exec_lo
	v_cmpx_ne_u16_e32 0x80, v6
	s_cbranch_execz .LBB260_1018
; %bb.1013:                             ;   in Loop: Header=BB260_806 Depth=1
	v_mov_b32_e32 v4, 0x7f800001
	v_dual_mov_b32 v5, 0 :: v_dual_and_b32 v16, 0x7f, v132
	s_mov_b32 s15, exec_lo
	s_delay_alu instid0(VALU_DEP_1)
	v_cmpx_ne_u32_e32 0x7f, v16
	s_cbranch_execz .LBB260_1017
; %bb.1014:                             ;   in Loop: Header=BB260_806 Depth=1
	v_and_b32_e32 v6, 7, v132
	v_lshrrev_b32_e32 v4, 3, v16
	s_mov_b32 s16, exec_lo
	v_cmpx_gt_u32_e32 8, v16
; %bb.1015:                             ;   in Loop: Header=BB260_806 Depth=1
	s_delay_alu instid0(VALU_DEP_3) | instskip(NEXT) | instid1(VALU_DEP_1)
	v_clz_i32_u32_e32 v4, v6
	v_min_u32_e32 v4, 32, v4
	s_delay_alu instid0(VALU_DEP_1) | instskip(SKIP_1) | instid1(VALU_DEP_2)
	v_subrev_nc_u32_e32 v5, 28, v4
	v_sub_nc_u32_e32 v4, 29, v4
	v_lshlrev_b64 v[5:6], v5, v[6:7]
	s_delay_alu instid0(VALU_DEP_1)
	v_and_b32_e32 v6, 7, v5
; %bb.1016:                             ;   in Loop: Header=BB260_806 Depth=1
	s_or_b32 exec_lo, exec_lo, s16
	v_lshlrev_b32_e32 v5, 24, v132
	s_delay_alu instid0(VALU_DEP_2) | instskip(SKIP_1) | instid1(VALU_DEP_3)
	v_lshlrev_b32_e32 v6, 20, v6
	v_lshl_add_u32 v4, v4, 23, 0x3c000000
	v_and_b32_e32 v5, 0x80000000, v5
	s_delay_alu instid0(VALU_DEP_1) | instskip(NEXT) | instid1(VALU_DEP_1)
	v_or3_b32 v6, v6, v5, v4
	v_dual_mov_b32 v4, v6 :: v_dual_mov_b32 v5, v7
.LBB260_1017:                           ;   in Loop: Header=BB260_806 Depth=1
	s_or_b32 exec_lo, exec_lo, s15
.LBB260_1018:                           ;   in Loop: Header=BB260_806 Depth=1
	s_delay_alu instid0(SALU_CYCLE_1)
	s_or_b32 exec_lo, exec_lo, s13
.LBB260_1019:                           ;   in Loop: Header=BB260_806 Depth=1
	s_delay_alu instid0(SALU_CYCLE_1) | instskip(SKIP_2) | instid1(VALU_DEP_1)
	s_or_b32 exec_lo, exec_lo, s10
	v_lshrrev_b16 v6, 8, v132
	s_mov_b32 s13, exec_lo
	v_cmpx_ne_u16_e32 0, v6
	s_cbranch_execz .LBB260_1027
; %bb.1020:                             ;   in Loop: Header=BB260_806 Depth=1
	v_dual_mov_b32 v15, s9 :: v_dual_mov_b32 v14, s8
	s_mov_b32 s15, exec_lo
	v_cmpx_ne_u16_e32 0x80, v6
	s_cbranch_execz .LBB260_1026
; %bb.1021:                             ;   in Loop: Header=BB260_806 Depth=1
	s_mov_b32 s10, s8
	v_dual_mov_b32 v15, s11 :: v_dual_and_b32 v6, 0xffff, v6
	v_mov_b32_e32 v14, s10
	s_mov_b32 s10, exec_lo
	s_delay_alu instid0(VALU_DEP_2) | instskip(NEXT) | instid1(VALU_DEP_1)
	v_and_b32_e32 v16, 0x7f, v6
	v_cmpx_ne_u32_e32 0x7f, v16
	s_cbranch_execz .LBB260_1025
; %bb.1022:                             ;   in Loop: Header=BB260_806 Depth=1
	v_and_b32_e32 v6, 7, v6
	v_lshrrev_b32_e32 v14, 3, v16
	s_mov_b32 s16, exec_lo
	v_cmpx_gt_u32_e32 8, v16
; %bb.1023:                             ;   in Loop: Header=BB260_806 Depth=1
	s_delay_alu instid0(VALU_DEP_3) | instskip(NEXT) | instid1(VALU_DEP_1)
	v_clz_i32_u32_e32 v14, v6
	v_min_u32_e32 v14, 32, v14
	s_delay_alu instid0(VALU_DEP_1) | instskip(SKIP_1) | instid1(VALU_DEP_2)
	v_subrev_nc_u32_e32 v15, 28, v14
	v_sub_nc_u32_e32 v14, 29, v14
	v_lshlrev_b64 v[15:16], v15, v[6:7]
	s_delay_alu instid0(VALU_DEP_1)
	v_and_b32_e32 v6, 7, v15
; %bb.1024:                             ;   in Loop: Header=BB260_806 Depth=1
	s_or_b32 exec_lo, exec_lo, s16
	v_lshlrev_b32_e32 v15, 16, v132
	s_delay_alu instid0(VALU_DEP_2) | instskip(SKIP_1) | instid1(VALU_DEP_3)
	v_lshlrev_b32_e32 v6, 20, v6
	v_lshl_add_u32 v14, v14, 23, 0x3c000000
	v_and_b32_e32 v15, 0x80000000, v15
	s_delay_alu instid0(VALU_DEP_1)
	v_or3_b32 v15, v6, v15, v14
	v_mov_b32_e32 v14, v7
.LBB260_1025:                           ;   in Loop: Header=BB260_806 Depth=1
	s_or_b32 exec_lo, exec_lo, s10
.LBB260_1026:                           ;   in Loop: Header=BB260_806 Depth=1
	s_delay_alu instid0(SALU_CYCLE_1)
	s_or_b32 exec_lo, exec_lo, s15
.LBB260_1027:                           ;   in Loop: Header=BB260_806 Depth=1
	s_delay_alu instid0(SALU_CYCLE_1) | instskip(SKIP_4) | instid1(VALU_DEP_2)
	s_or_b32 exec_lo, exec_lo, s13
	v_mov_b32_e32 v18, 0
	v_lshrrev_b32_e32 v133, 16, v132
	v_mov_b32_e32 v19, 0
	s_mov_b32 s10, exec_lo
	v_and_b32_e32 v6, 0xff, v133
	s_delay_alu instid0(VALU_DEP_2) | instskip(NEXT) | instid1(VALU_DEP_2)
	v_dual_mov_b32 v16, v18 :: v_dual_mov_b32 v17, v19
	v_cmpx_ne_u16_e32 0, v6
	s_cbranch_execz .LBB260_1035
; %bb.1028:                             ;   in Loop: Header=BB260_806 Depth=1
	v_bfrev_b32_e32 v16, 1
	v_mov_b32_e32 v17, 0
	s_mov_b32 s13, exec_lo
	v_cmpx_ne_u16_e32 0x80, v6
	s_cbranch_execz .LBB260_1034
; %bb.1029:                             ;   in Loop: Header=BB260_806 Depth=1
	v_mov_b32_e32 v16, 0x7f800001
	v_bfe_u32 v134, v132, 16, 7
	v_mov_b32_e32 v17, 0
	s_mov_b32 s15, exec_lo
	s_delay_alu instid0(VALU_DEP_2)
	v_cmpx_ne_u32_e32 0x7f, v134
	s_cbranch_execz .LBB260_1033
; %bb.1030:                             ;   in Loop: Header=BB260_806 Depth=1
	v_and_b32_e32 v6, 7, v133
	v_lshrrev_b32_e32 v16, 3, v134
	s_mov_b32 s16, exec_lo
	v_cmpx_gt_u32_e32 8, v134
; %bb.1031:                             ;   in Loop: Header=BB260_806 Depth=1
	s_delay_alu instid0(VALU_DEP_3) | instskip(NEXT) | instid1(VALU_DEP_1)
	v_clz_i32_u32_e32 v16, v6
	v_min_u32_e32 v16, 32, v16
	s_delay_alu instid0(VALU_DEP_1) | instskip(SKIP_1) | instid1(VALU_DEP_2)
	v_subrev_nc_u32_e32 v17, 28, v16
	v_sub_nc_u32_e32 v16, 29, v16
	v_lshlrev_b64 v[134:135], v17, v[6:7]
	s_delay_alu instid0(VALU_DEP_1)
	v_and_b32_e32 v6, 7, v134
; %bb.1032:                             ;   in Loop: Header=BB260_806 Depth=1
	s_or_b32 exec_lo, exec_lo, s16
	v_lshlrev_b32_e32 v17, 24, v133
	s_delay_alu instid0(VALU_DEP_2) | instskip(SKIP_1) | instid1(VALU_DEP_3)
	v_lshlrev_b32_e32 v6, 20, v6
	v_lshl_add_u32 v16, v16, 23, 0x3c000000
	v_and_b32_e32 v17, 0x80000000, v17
	s_delay_alu instid0(VALU_DEP_1) | instskip(NEXT) | instid1(VALU_DEP_1)
	v_or3_b32 v6, v6, v17, v16
	v_dual_mov_b32 v17, v7 :: v_dual_mov_b32 v16, v6
.LBB260_1033:                           ;   in Loop: Header=BB260_806 Depth=1
	s_or_b32 exec_lo, exec_lo, s15
.LBB260_1034:                           ;   in Loop: Header=BB260_806 Depth=1
	s_delay_alu instid0(SALU_CYCLE_1)
	s_or_b32 exec_lo, exec_lo, s13
.LBB260_1035:                           ;   in Loop: Header=BB260_806 Depth=1
	s_delay_alu instid0(SALU_CYCLE_1) | instskip(NEXT) | instid1(SALU_CYCLE_1)
	s_or_b32 exec_lo, exec_lo, s10
	s_mov_b32 s13, exec_lo
	v_cmpx_lt_u32_e32 0xffffff, v132
	s_cbranch_execz .LBB260_1043
; %bb.1036:                             ;   in Loop: Header=BB260_806 Depth=1
	v_lshrrev_b32_e32 v133, 24, v132
	v_dual_mov_b32 v19, s9 :: v_dual_mov_b32 v18, s8
	s_mov_b32 s15, exec_lo
	s_delay_alu instid0(VALU_DEP_2)
	v_cmpx_ne_u32_e32 0x80, v133
	s_cbranch_execz .LBB260_1042
; %bb.1037:                             ;   in Loop: Header=BB260_806 Depth=1
	s_mov_b32 s10, s8
	v_bfe_u32 v132, v132, 24, 7
	v_dual_mov_b32 v19, s11 :: v_dual_mov_b32 v18, s10
	s_mov_b32 s10, exec_lo
	s_delay_alu instid0(VALU_DEP_2)
	v_cmpx_ne_u32_e32 0x7f, v132
	s_cbranch_execz .LBB260_1041
; %bb.1038:                             ;   in Loop: Header=BB260_806 Depth=1
	v_and_b32_e32 v6, 7, v133
	v_lshrrev_b32_e32 v18, 3, v132
	s_mov_b32 s16, exec_lo
	v_cmpx_gt_u32_e32 8, v132
; %bb.1039:                             ;   in Loop: Header=BB260_806 Depth=1
	s_delay_alu instid0(VALU_DEP_3) | instskip(NEXT) | instid1(VALU_DEP_1)
	v_clz_i32_u32_e32 v18, v6
	v_min_u32_e32 v18, 32, v18
	s_delay_alu instid0(VALU_DEP_1) | instskip(SKIP_1) | instid1(VALU_DEP_2)
	v_subrev_nc_u32_e32 v19, 28, v18
	v_sub_nc_u32_e32 v18, 29, v18
	v_lshlrev_b64 v[134:135], v19, v[6:7]
	s_delay_alu instid0(VALU_DEP_1)
	v_and_b32_e32 v6, 7, v134
; %bb.1040:                             ;   in Loop: Header=BB260_806 Depth=1
	s_or_b32 exec_lo, exec_lo, s16
	v_lshlrev_b32_e32 v19, 24, v133
	s_delay_alu instid0(VALU_DEP_2) | instskip(SKIP_1) | instid1(VALU_DEP_3)
	v_lshlrev_b32_e32 v6, 20, v6
	v_lshl_add_u32 v18, v18, 23, 0x3c000000
	v_and_b32_e32 v19, 0x80000000, v19
	s_delay_alu instid0(VALU_DEP_1)
	v_or3_b32 v19, v6, v19, v18
	v_mov_b32_e32 v18, v7
.LBB260_1041:                           ;   in Loop: Header=BB260_806 Depth=1
	s_or_b32 exec_lo, exec_lo, s10
.LBB260_1042:                           ;   in Loop: Header=BB260_806 Depth=1
	s_delay_alu instid0(SALU_CYCLE_1)
	s_or_b32 exec_lo, exec_lo, s15
.LBB260_1043:                           ;   in Loop: Header=BB260_806 Depth=1
	s_delay_alu instid0(SALU_CYCLE_1) | instskip(SKIP_4) | instid1(VALU_DEP_4)
	s_or_b32 exec_lo, exec_lo, s13
	v_or_b32_e32 v5, v15, v5
	v_or_b32_e32 v4, v14, v4
	;; [unrolled: 1-line block ×4, first 2 shown]
	v_mul_f32_e32 v135, v20, v5
	s_delay_alu instid0(VALU_DEP_4) | instskip(NEXT) | instid1(VALU_DEP_4)
	v_mul_f32_e32 v134, v20, v4
	v_mul_f32_e32 v132, v20, v6
	s_delay_alu instid0(VALU_DEP_4)
	v_mul_f32_e32 v133, v20, v14
	s_and_saveexec_b32 s10, vcc_lo
; %bb.1044:                             ;   in Loop: Header=BB260_806 Depth=1
	v_cmp_lt_i32_e64 s0, v84, v25
	s_delay_alu instid0(VALU_DEP_1) | instskip(SKIP_1) | instid1(VALU_DEP_1)
	v_cndmask_b32_e64 v134, 0, v134, s0
	v_cmp_lt_i32_e64 s0, v87, v25
	v_cndmask_b32_e64 v135, 0, v135, s0
	v_cmp_lt_i32_e64 s0, v86, v25
	s_delay_alu instid0(VALU_DEP_1) | instskip(SKIP_1) | instid1(VALU_DEP_1)
	v_cndmask_b32_e64 v133, 0, v133, s0
	v_cmp_lt_i32_e64 s0, v85, v25
	v_cndmask_b32_e64 v132, 0, v132, s0
; %bb.1045:                             ;   in Loop: Header=BB260_806 Depth=1
	s_or_b32 exec_lo, exec_lo, s10
	flat_load_b32 v144, v[12:13] offset:896
	v_mov_b32_e32 v14, 0
	v_mov_b32_e32 v15, 0
	s_mov_b32 s10, exec_lo
	s_waitcnt vmcnt(0) lgkmcnt(0)
	v_and_b32_e32 v6, 0xff, v144
	s_delay_alu instid0(VALU_DEP_2) | instskip(NEXT) | instid1(VALU_DEP_2)
	v_dual_mov_b32 v4, v14 :: v_dual_mov_b32 v5, v15
	v_cmpx_ne_u16_e32 0, v6
	s_cbranch_execz .LBB260_1053
; %bb.1046:                             ;   in Loop: Header=BB260_806 Depth=1
	v_bfrev_b32_e32 v4, 1
	v_mov_b32_e32 v5, 0
	s_mov_b32 s13, exec_lo
	v_cmpx_ne_u16_e32 0x80, v6
	s_cbranch_execz .LBB260_1052
; %bb.1047:                             ;   in Loop: Header=BB260_806 Depth=1
	v_mov_b32_e32 v4, 0x7f800001
	v_dual_mov_b32 v5, 0 :: v_dual_and_b32 v16, 0x7f, v144
	s_mov_b32 s15, exec_lo
	s_delay_alu instid0(VALU_DEP_1)
	v_cmpx_ne_u32_e32 0x7f, v16
	s_cbranch_execz .LBB260_1051
; %bb.1048:                             ;   in Loop: Header=BB260_806 Depth=1
	v_and_b32_e32 v6, 7, v144
	v_lshrrev_b32_e32 v4, 3, v16
	s_mov_b32 s16, exec_lo
	v_cmpx_gt_u32_e32 8, v16
; %bb.1049:                             ;   in Loop: Header=BB260_806 Depth=1
	s_delay_alu instid0(VALU_DEP_3) | instskip(NEXT) | instid1(VALU_DEP_1)
	v_clz_i32_u32_e32 v4, v6
	v_min_u32_e32 v4, 32, v4
	s_delay_alu instid0(VALU_DEP_1) | instskip(SKIP_1) | instid1(VALU_DEP_2)
	v_subrev_nc_u32_e32 v5, 28, v4
	v_sub_nc_u32_e32 v4, 29, v4
	v_lshlrev_b64 v[5:6], v5, v[6:7]
	s_delay_alu instid0(VALU_DEP_1)
	v_and_b32_e32 v6, 7, v5
; %bb.1050:                             ;   in Loop: Header=BB260_806 Depth=1
	s_or_b32 exec_lo, exec_lo, s16
	v_lshlrev_b32_e32 v5, 24, v144
	s_delay_alu instid0(VALU_DEP_2) | instskip(SKIP_1) | instid1(VALU_DEP_3)
	v_lshlrev_b32_e32 v6, 20, v6
	v_lshl_add_u32 v4, v4, 23, 0x3c000000
	v_and_b32_e32 v5, 0x80000000, v5
	s_delay_alu instid0(VALU_DEP_1) | instskip(NEXT) | instid1(VALU_DEP_1)
	v_or3_b32 v6, v6, v5, v4
	v_dual_mov_b32 v4, v6 :: v_dual_mov_b32 v5, v7
.LBB260_1051:                           ;   in Loop: Header=BB260_806 Depth=1
	s_or_b32 exec_lo, exec_lo, s15
.LBB260_1052:                           ;   in Loop: Header=BB260_806 Depth=1
	s_delay_alu instid0(SALU_CYCLE_1)
	s_or_b32 exec_lo, exec_lo, s13
.LBB260_1053:                           ;   in Loop: Header=BB260_806 Depth=1
	s_delay_alu instid0(SALU_CYCLE_1) | instskip(SKIP_2) | instid1(VALU_DEP_1)
	s_or_b32 exec_lo, exec_lo, s10
	v_lshrrev_b16 v6, 8, v144
	s_mov_b32 s13, exec_lo
	v_cmpx_ne_u16_e32 0, v6
	s_cbranch_execz .LBB260_1061
; %bb.1054:                             ;   in Loop: Header=BB260_806 Depth=1
	v_dual_mov_b32 v15, s9 :: v_dual_mov_b32 v14, s8
	s_mov_b32 s15, exec_lo
	v_cmpx_ne_u16_e32 0x80, v6
	s_cbranch_execz .LBB260_1060
; %bb.1055:                             ;   in Loop: Header=BB260_806 Depth=1
	s_mov_b32 s10, s8
	v_dual_mov_b32 v15, s11 :: v_dual_and_b32 v6, 0xffff, v6
	v_mov_b32_e32 v14, s10
	s_mov_b32 s10, exec_lo
	s_delay_alu instid0(VALU_DEP_2) | instskip(NEXT) | instid1(VALU_DEP_1)
	v_and_b32_e32 v16, 0x7f, v6
	v_cmpx_ne_u32_e32 0x7f, v16
	s_cbranch_execz .LBB260_1059
; %bb.1056:                             ;   in Loop: Header=BB260_806 Depth=1
	v_and_b32_e32 v6, 7, v6
	v_lshrrev_b32_e32 v14, 3, v16
	s_mov_b32 s16, exec_lo
	v_cmpx_gt_u32_e32 8, v16
; %bb.1057:                             ;   in Loop: Header=BB260_806 Depth=1
	s_delay_alu instid0(VALU_DEP_3) | instskip(NEXT) | instid1(VALU_DEP_1)
	v_clz_i32_u32_e32 v14, v6
	v_min_u32_e32 v14, 32, v14
	s_delay_alu instid0(VALU_DEP_1) | instskip(SKIP_1) | instid1(VALU_DEP_2)
	v_subrev_nc_u32_e32 v15, 28, v14
	v_sub_nc_u32_e32 v14, 29, v14
	v_lshlrev_b64 v[15:16], v15, v[6:7]
	s_delay_alu instid0(VALU_DEP_1)
	v_and_b32_e32 v6, 7, v15
; %bb.1058:                             ;   in Loop: Header=BB260_806 Depth=1
	s_or_b32 exec_lo, exec_lo, s16
	v_lshlrev_b32_e32 v15, 16, v144
	s_delay_alu instid0(VALU_DEP_2) | instskip(SKIP_1) | instid1(VALU_DEP_3)
	v_lshlrev_b32_e32 v6, 20, v6
	v_lshl_add_u32 v14, v14, 23, 0x3c000000
	v_and_b32_e32 v15, 0x80000000, v15
	s_delay_alu instid0(VALU_DEP_1)
	v_or3_b32 v15, v6, v15, v14
	v_mov_b32_e32 v14, v7
.LBB260_1059:                           ;   in Loop: Header=BB260_806 Depth=1
	s_or_b32 exec_lo, exec_lo, s10
.LBB260_1060:                           ;   in Loop: Header=BB260_806 Depth=1
	s_delay_alu instid0(SALU_CYCLE_1)
	s_or_b32 exec_lo, exec_lo, s15
.LBB260_1061:                           ;   in Loop: Header=BB260_806 Depth=1
	s_delay_alu instid0(SALU_CYCLE_1) | instskip(SKIP_4) | instid1(VALU_DEP_2)
	s_or_b32 exec_lo, exec_lo, s13
	v_mov_b32_e32 v18, 0
	v_lshrrev_b32_e32 v145, 16, v144
	v_mov_b32_e32 v19, 0
	s_mov_b32 s10, exec_lo
	v_and_b32_e32 v6, 0xff, v145
	s_delay_alu instid0(VALU_DEP_2) | instskip(NEXT) | instid1(VALU_DEP_2)
	v_dual_mov_b32 v16, v18 :: v_dual_mov_b32 v17, v19
	v_cmpx_ne_u16_e32 0, v6
	s_cbranch_execz .LBB260_1069
; %bb.1062:                             ;   in Loop: Header=BB260_806 Depth=1
	v_bfrev_b32_e32 v16, 1
	v_mov_b32_e32 v17, 0
	s_mov_b32 s13, exec_lo
	v_cmpx_ne_u16_e32 0x80, v6
	s_cbranch_execz .LBB260_1068
; %bb.1063:                             ;   in Loop: Header=BB260_806 Depth=1
	v_mov_b32_e32 v16, 0x7f800001
	v_bfe_u32 v146, v144, 16, 7
	v_mov_b32_e32 v17, 0
	s_mov_b32 s15, exec_lo
	s_delay_alu instid0(VALU_DEP_2)
	v_cmpx_ne_u32_e32 0x7f, v146
	s_cbranch_execz .LBB260_1067
; %bb.1064:                             ;   in Loop: Header=BB260_806 Depth=1
	v_and_b32_e32 v6, 7, v145
	v_lshrrev_b32_e32 v16, 3, v146
	s_mov_b32 s16, exec_lo
	v_cmpx_gt_u32_e32 8, v146
; %bb.1065:                             ;   in Loop: Header=BB260_806 Depth=1
	s_delay_alu instid0(VALU_DEP_3) | instskip(NEXT) | instid1(VALU_DEP_1)
	v_clz_i32_u32_e32 v16, v6
	v_min_u32_e32 v16, 32, v16
	s_delay_alu instid0(VALU_DEP_1) | instskip(SKIP_1) | instid1(VALU_DEP_2)
	v_subrev_nc_u32_e32 v17, 28, v16
	v_sub_nc_u32_e32 v16, 29, v16
	v_lshlrev_b64 v[146:147], v17, v[6:7]
	s_delay_alu instid0(VALU_DEP_1)
	v_and_b32_e32 v6, 7, v146
; %bb.1066:                             ;   in Loop: Header=BB260_806 Depth=1
	s_or_b32 exec_lo, exec_lo, s16
	v_lshlrev_b32_e32 v17, 24, v145
	s_delay_alu instid0(VALU_DEP_2) | instskip(SKIP_1) | instid1(VALU_DEP_3)
	v_lshlrev_b32_e32 v6, 20, v6
	v_lshl_add_u32 v16, v16, 23, 0x3c000000
	v_and_b32_e32 v17, 0x80000000, v17
	s_delay_alu instid0(VALU_DEP_1) | instskip(NEXT) | instid1(VALU_DEP_1)
	v_or3_b32 v6, v6, v17, v16
	v_dual_mov_b32 v17, v7 :: v_dual_mov_b32 v16, v6
.LBB260_1067:                           ;   in Loop: Header=BB260_806 Depth=1
	s_or_b32 exec_lo, exec_lo, s15
.LBB260_1068:                           ;   in Loop: Header=BB260_806 Depth=1
	s_delay_alu instid0(SALU_CYCLE_1)
	s_or_b32 exec_lo, exec_lo, s13
.LBB260_1069:                           ;   in Loop: Header=BB260_806 Depth=1
	s_delay_alu instid0(SALU_CYCLE_1) | instskip(NEXT) | instid1(SALU_CYCLE_1)
	s_or_b32 exec_lo, exec_lo, s10
	s_mov_b32 s13, exec_lo
	v_cmpx_lt_u32_e32 0xffffff, v144
	s_cbranch_execz .LBB260_1077
; %bb.1070:                             ;   in Loop: Header=BB260_806 Depth=1
	v_lshrrev_b32_e32 v145, 24, v144
	v_dual_mov_b32 v19, s9 :: v_dual_mov_b32 v18, s8
	s_mov_b32 s15, exec_lo
	s_delay_alu instid0(VALU_DEP_2)
	v_cmpx_ne_u32_e32 0x80, v145
	s_cbranch_execz .LBB260_1076
; %bb.1071:                             ;   in Loop: Header=BB260_806 Depth=1
	s_mov_b32 s10, s8
	v_bfe_u32 v144, v144, 24, 7
	v_dual_mov_b32 v19, s11 :: v_dual_mov_b32 v18, s10
	s_mov_b32 s10, exec_lo
	s_delay_alu instid0(VALU_DEP_2)
	v_cmpx_ne_u32_e32 0x7f, v144
	s_cbranch_execz .LBB260_1075
; %bb.1072:                             ;   in Loop: Header=BB260_806 Depth=1
	v_and_b32_e32 v6, 7, v145
	v_lshrrev_b32_e32 v18, 3, v144
	s_mov_b32 s16, exec_lo
	v_cmpx_gt_u32_e32 8, v144
; %bb.1073:                             ;   in Loop: Header=BB260_806 Depth=1
	s_delay_alu instid0(VALU_DEP_3) | instskip(NEXT) | instid1(VALU_DEP_1)
	v_clz_i32_u32_e32 v18, v6
	v_min_u32_e32 v18, 32, v18
	s_delay_alu instid0(VALU_DEP_1) | instskip(SKIP_1) | instid1(VALU_DEP_2)
	v_subrev_nc_u32_e32 v19, 28, v18
	v_sub_nc_u32_e32 v18, 29, v18
	v_lshlrev_b64 v[146:147], v19, v[6:7]
	s_delay_alu instid0(VALU_DEP_1)
	v_and_b32_e32 v6, 7, v146
; %bb.1074:                             ;   in Loop: Header=BB260_806 Depth=1
	s_or_b32 exec_lo, exec_lo, s16
	v_lshlrev_b32_e32 v19, 24, v145
	s_delay_alu instid0(VALU_DEP_2) | instskip(SKIP_1) | instid1(VALU_DEP_3)
	v_lshlrev_b32_e32 v6, 20, v6
	v_lshl_add_u32 v18, v18, 23, 0x3c000000
	v_and_b32_e32 v19, 0x80000000, v19
	s_delay_alu instid0(VALU_DEP_1)
	v_or3_b32 v19, v6, v19, v18
	v_mov_b32_e32 v18, v7
.LBB260_1075:                           ;   in Loop: Header=BB260_806 Depth=1
	s_or_b32 exec_lo, exec_lo, s10
.LBB260_1076:                           ;   in Loop: Header=BB260_806 Depth=1
	s_delay_alu instid0(SALU_CYCLE_1)
	s_or_b32 exec_lo, exec_lo, s15
.LBB260_1077:                           ;   in Loop: Header=BB260_806 Depth=1
	s_delay_alu instid0(SALU_CYCLE_1) | instskip(SKIP_4) | instid1(VALU_DEP_4)
	s_or_b32 exec_lo, exec_lo, s13
	v_or_b32_e32 v5, v15, v5
	v_or_b32_e32 v4, v14, v4
	;; [unrolled: 1-line block ×4, first 2 shown]
	v_mul_f32_e32 v147, v20, v5
	s_delay_alu instid0(VALU_DEP_4) | instskip(NEXT) | instid1(VALU_DEP_4)
	v_mul_f32_e32 v146, v20, v4
	v_mul_f32_e32 v144, v20, v6
	s_delay_alu instid0(VALU_DEP_4)
	v_mul_f32_e32 v145, v20, v14
	s_and_saveexec_b32 s10, vcc_lo
; %bb.1078:                             ;   in Loop: Header=BB260_806 Depth=1
	v_cmp_lt_i32_e64 s0, v84, v25
	s_delay_alu instid0(VALU_DEP_1) | instskip(SKIP_1) | instid1(VALU_DEP_1)
	v_cndmask_b32_e64 v146, 0, v146, s0
	v_cmp_lt_i32_e64 s0, v87, v25
	v_cndmask_b32_e64 v147, 0, v147, s0
	v_cmp_lt_i32_e64 s0, v86, v25
	s_delay_alu instid0(VALU_DEP_1) | instskip(SKIP_1) | instid1(VALU_DEP_1)
	v_cndmask_b32_e64 v145, 0, v145, s0
	v_cmp_lt_i32_e64 s0, v85, v25
	v_cndmask_b32_e64 v144, 0, v144, s0
; %bb.1079:                             ;   in Loop: Header=BB260_806 Depth=1
	s_or_b32 exec_lo, exec_lo, s10
	flat_load_b32 v148, v[12:13] offset:1024
	v_mov_b32_e32 v14, 0
	v_mov_b32_e32 v15, 0
	s_mov_b32 s10, exec_lo
	s_waitcnt vmcnt(0) lgkmcnt(0)
	v_and_b32_e32 v6, 0xff, v148
	s_delay_alu instid0(VALU_DEP_2) | instskip(NEXT) | instid1(VALU_DEP_2)
	v_dual_mov_b32 v4, v14 :: v_dual_mov_b32 v5, v15
	v_cmpx_ne_u16_e32 0, v6
	s_cbranch_execz .LBB260_1087
; %bb.1080:                             ;   in Loop: Header=BB260_806 Depth=1
	v_bfrev_b32_e32 v4, 1
	v_mov_b32_e32 v5, 0
	s_mov_b32 s13, exec_lo
	v_cmpx_ne_u16_e32 0x80, v6
	s_cbranch_execz .LBB260_1086
; %bb.1081:                             ;   in Loop: Header=BB260_806 Depth=1
	v_mov_b32_e32 v4, 0x7f800001
	v_dual_mov_b32 v5, 0 :: v_dual_and_b32 v16, 0x7f, v148
	s_mov_b32 s15, exec_lo
	s_delay_alu instid0(VALU_DEP_1)
	v_cmpx_ne_u32_e32 0x7f, v16
	s_cbranch_execz .LBB260_1085
; %bb.1082:                             ;   in Loop: Header=BB260_806 Depth=1
	v_and_b32_e32 v6, 7, v148
	v_lshrrev_b32_e32 v4, 3, v16
	s_mov_b32 s16, exec_lo
	v_cmpx_gt_u32_e32 8, v16
; %bb.1083:                             ;   in Loop: Header=BB260_806 Depth=1
	s_delay_alu instid0(VALU_DEP_3) | instskip(NEXT) | instid1(VALU_DEP_1)
	v_clz_i32_u32_e32 v4, v6
	v_min_u32_e32 v4, 32, v4
	s_delay_alu instid0(VALU_DEP_1) | instskip(SKIP_1) | instid1(VALU_DEP_2)
	v_subrev_nc_u32_e32 v5, 28, v4
	v_sub_nc_u32_e32 v4, 29, v4
	v_lshlrev_b64 v[5:6], v5, v[6:7]
	s_delay_alu instid0(VALU_DEP_1)
	v_and_b32_e32 v6, 7, v5
; %bb.1084:                             ;   in Loop: Header=BB260_806 Depth=1
	s_or_b32 exec_lo, exec_lo, s16
	v_lshlrev_b32_e32 v5, 24, v148
	s_delay_alu instid0(VALU_DEP_2) | instskip(SKIP_1) | instid1(VALU_DEP_3)
	v_lshlrev_b32_e32 v6, 20, v6
	v_lshl_add_u32 v4, v4, 23, 0x3c000000
	v_and_b32_e32 v5, 0x80000000, v5
	s_delay_alu instid0(VALU_DEP_1) | instskip(NEXT) | instid1(VALU_DEP_1)
	v_or3_b32 v6, v6, v5, v4
	v_dual_mov_b32 v4, v6 :: v_dual_mov_b32 v5, v7
.LBB260_1085:                           ;   in Loop: Header=BB260_806 Depth=1
	s_or_b32 exec_lo, exec_lo, s15
.LBB260_1086:                           ;   in Loop: Header=BB260_806 Depth=1
	s_delay_alu instid0(SALU_CYCLE_1)
	s_or_b32 exec_lo, exec_lo, s13
.LBB260_1087:                           ;   in Loop: Header=BB260_806 Depth=1
	s_delay_alu instid0(SALU_CYCLE_1) | instskip(SKIP_2) | instid1(VALU_DEP_1)
	s_or_b32 exec_lo, exec_lo, s10
	v_lshrrev_b16 v6, 8, v148
	s_mov_b32 s13, exec_lo
	v_cmpx_ne_u16_e32 0, v6
	s_cbranch_execz .LBB260_1095
; %bb.1088:                             ;   in Loop: Header=BB260_806 Depth=1
	v_dual_mov_b32 v15, s9 :: v_dual_mov_b32 v14, s8
	s_mov_b32 s15, exec_lo
	v_cmpx_ne_u16_e32 0x80, v6
	s_cbranch_execz .LBB260_1094
; %bb.1089:                             ;   in Loop: Header=BB260_806 Depth=1
	s_mov_b32 s10, s8
	v_dual_mov_b32 v15, s11 :: v_dual_and_b32 v6, 0xffff, v6
	v_mov_b32_e32 v14, s10
	s_mov_b32 s10, exec_lo
	s_delay_alu instid0(VALU_DEP_2) | instskip(NEXT) | instid1(VALU_DEP_1)
	v_and_b32_e32 v16, 0x7f, v6
	v_cmpx_ne_u32_e32 0x7f, v16
	s_cbranch_execz .LBB260_1093
; %bb.1090:                             ;   in Loop: Header=BB260_806 Depth=1
	v_and_b32_e32 v6, 7, v6
	v_lshrrev_b32_e32 v14, 3, v16
	s_mov_b32 s16, exec_lo
	v_cmpx_gt_u32_e32 8, v16
; %bb.1091:                             ;   in Loop: Header=BB260_806 Depth=1
	s_delay_alu instid0(VALU_DEP_3) | instskip(NEXT) | instid1(VALU_DEP_1)
	v_clz_i32_u32_e32 v14, v6
	v_min_u32_e32 v14, 32, v14
	s_delay_alu instid0(VALU_DEP_1) | instskip(SKIP_1) | instid1(VALU_DEP_2)
	v_subrev_nc_u32_e32 v15, 28, v14
	v_sub_nc_u32_e32 v14, 29, v14
	v_lshlrev_b64 v[15:16], v15, v[6:7]
	s_delay_alu instid0(VALU_DEP_1)
	v_and_b32_e32 v6, 7, v15
; %bb.1092:                             ;   in Loop: Header=BB260_806 Depth=1
	s_or_b32 exec_lo, exec_lo, s16
	v_lshlrev_b32_e32 v15, 16, v148
	s_delay_alu instid0(VALU_DEP_2) | instskip(SKIP_1) | instid1(VALU_DEP_3)
	v_lshlrev_b32_e32 v6, 20, v6
	v_lshl_add_u32 v14, v14, 23, 0x3c000000
	v_and_b32_e32 v15, 0x80000000, v15
	s_delay_alu instid0(VALU_DEP_1)
	v_or3_b32 v15, v6, v15, v14
	v_mov_b32_e32 v14, v7
.LBB260_1093:                           ;   in Loop: Header=BB260_806 Depth=1
	s_or_b32 exec_lo, exec_lo, s10
.LBB260_1094:                           ;   in Loop: Header=BB260_806 Depth=1
	s_delay_alu instid0(SALU_CYCLE_1)
	s_or_b32 exec_lo, exec_lo, s15
.LBB260_1095:                           ;   in Loop: Header=BB260_806 Depth=1
	s_delay_alu instid0(SALU_CYCLE_1) | instskip(SKIP_4) | instid1(VALU_DEP_2)
	s_or_b32 exec_lo, exec_lo, s13
	v_mov_b32_e32 v18, 0
	v_lshrrev_b32_e32 v149, 16, v148
	v_mov_b32_e32 v19, 0
	s_mov_b32 s10, exec_lo
	v_and_b32_e32 v6, 0xff, v149
	s_delay_alu instid0(VALU_DEP_2) | instskip(NEXT) | instid1(VALU_DEP_2)
	v_dual_mov_b32 v16, v18 :: v_dual_mov_b32 v17, v19
	v_cmpx_ne_u16_e32 0, v6
	s_cbranch_execz .LBB260_1103
; %bb.1096:                             ;   in Loop: Header=BB260_806 Depth=1
	v_bfrev_b32_e32 v16, 1
	v_mov_b32_e32 v17, 0
	s_mov_b32 s13, exec_lo
	v_cmpx_ne_u16_e32 0x80, v6
	s_cbranch_execz .LBB260_1102
; %bb.1097:                             ;   in Loop: Header=BB260_806 Depth=1
	v_mov_b32_e32 v16, 0x7f800001
	v_bfe_u32 v150, v148, 16, 7
	v_mov_b32_e32 v17, 0
	s_mov_b32 s15, exec_lo
	s_delay_alu instid0(VALU_DEP_2)
	v_cmpx_ne_u32_e32 0x7f, v150
	s_cbranch_execz .LBB260_1101
; %bb.1098:                             ;   in Loop: Header=BB260_806 Depth=1
	v_and_b32_e32 v6, 7, v149
	v_lshrrev_b32_e32 v16, 3, v150
	s_mov_b32 s16, exec_lo
	v_cmpx_gt_u32_e32 8, v150
; %bb.1099:                             ;   in Loop: Header=BB260_806 Depth=1
	s_delay_alu instid0(VALU_DEP_3) | instskip(NEXT) | instid1(VALU_DEP_1)
	v_clz_i32_u32_e32 v16, v6
	v_min_u32_e32 v16, 32, v16
	s_delay_alu instid0(VALU_DEP_1) | instskip(SKIP_1) | instid1(VALU_DEP_2)
	v_subrev_nc_u32_e32 v17, 28, v16
	v_sub_nc_u32_e32 v16, 29, v16
	v_lshlrev_b64 v[150:151], v17, v[6:7]
	s_delay_alu instid0(VALU_DEP_1)
	v_and_b32_e32 v6, 7, v150
; %bb.1100:                             ;   in Loop: Header=BB260_806 Depth=1
	s_or_b32 exec_lo, exec_lo, s16
	v_lshlrev_b32_e32 v17, 24, v149
	s_delay_alu instid0(VALU_DEP_2) | instskip(SKIP_1) | instid1(VALU_DEP_3)
	v_lshlrev_b32_e32 v6, 20, v6
	v_lshl_add_u32 v16, v16, 23, 0x3c000000
	v_and_b32_e32 v17, 0x80000000, v17
	s_delay_alu instid0(VALU_DEP_1) | instskip(NEXT) | instid1(VALU_DEP_1)
	v_or3_b32 v6, v6, v17, v16
	v_dual_mov_b32 v17, v7 :: v_dual_mov_b32 v16, v6
.LBB260_1101:                           ;   in Loop: Header=BB260_806 Depth=1
	s_or_b32 exec_lo, exec_lo, s15
.LBB260_1102:                           ;   in Loop: Header=BB260_806 Depth=1
	s_delay_alu instid0(SALU_CYCLE_1)
	s_or_b32 exec_lo, exec_lo, s13
.LBB260_1103:                           ;   in Loop: Header=BB260_806 Depth=1
	s_delay_alu instid0(SALU_CYCLE_1) | instskip(NEXT) | instid1(SALU_CYCLE_1)
	s_or_b32 exec_lo, exec_lo, s10
	s_mov_b32 s13, exec_lo
	v_cmpx_lt_u32_e32 0xffffff, v148
	s_cbranch_execz .LBB260_1111
; %bb.1104:                             ;   in Loop: Header=BB260_806 Depth=1
	v_lshrrev_b32_e32 v149, 24, v148
	v_dual_mov_b32 v19, s9 :: v_dual_mov_b32 v18, s8
	s_mov_b32 s15, exec_lo
	s_delay_alu instid0(VALU_DEP_2)
	v_cmpx_ne_u32_e32 0x80, v149
	s_cbranch_execz .LBB260_1110
; %bb.1105:                             ;   in Loop: Header=BB260_806 Depth=1
	s_mov_b32 s10, s8
	v_bfe_u32 v148, v148, 24, 7
	v_dual_mov_b32 v19, s11 :: v_dual_mov_b32 v18, s10
	s_mov_b32 s10, exec_lo
	s_delay_alu instid0(VALU_DEP_2)
	v_cmpx_ne_u32_e32 0x7f, v148
	s_cbranch_execz .LBB260_1109
; %bb.1106:                             ;   in Loop: Header=BB260_806 Depth=1
	v_and_b32_e32 v6, 7, v149
	v_lshrrev_b32_e32 v18, 3, v148
	s_mov_b32 s16, exec_lo
	v_cmpx_gt_u32_e32 8, v148
; %bb.1107:                             ;   in Loop: Header=BB260_806 Depth=1
	s_delay_alu instid0(VALU_DEP_3) | instskip(NEXT) | instid1(VALU_DEP_1)
	v_clz_i32_u32_e32 v18, v6
	v_min_u32_e32 v18, 32, v18
	s_delay_alu instid0(VALU_DEP_1) | instskip(SKIP_1) | instid1(VALU_DEP_2)
	v_subrev_nc_u32_e32 v19, 28, v18
	v_sub_nc_u32_e32 v18, 29, v18
	v_lshlrev_b64 v[150:151], v19, v[6:7]
	s_delay_alu instid0(VALU_DEP_1)
	v_and_b32_e32 v6, 7, v150
; %bb.1108:                             ;   in Loop: Header=BB260_806 Depth=1
	s_or_b32 exec_lo, exec_lo, s16
	v_lshlrev_b32_e32 v19, 24, v149
	s_delay_alu instid0(VALU_DEP_2) | instskip(SKIP_1) | instid1(VALU_DEP_3)
	v_lshlrev_b32_e32 v6, 20, v6
	v_lshl_add_u32 v18, v18, 23, 0x3c000000
	v_and_b32_e32 v19, 0x80000000, v19
	s_delay_alu instid0(VALU_DEP_1)
	v_or3_b32 v19, v6, v19, v18
	v_mov_b32_e32 v18, v7
.LBB260_1109:                           ;   in Loop: Header=BB260_806 Depth=1
	s_or_b32 exec_lo, exec_lo, s10
.LBB260_1110:                           ;   in Loop: Header=BB260_806 Depth=1
	s_delay_alu instid0(SALU_CYCLE_1)
	s_or_b32 exec_lo, exec_lo, s15
.LBB260_1111:                           ;   in Loop: Header=BB260_806 Depth=1
	s_delay_alu instid0(SALU_CYCLE_1) | instskip(SKIP_4) | instid1(VALU_DEP_4)
	s_or_b32 exec_lo, exec_lo, s13
	v_or_b32_e32 v5, v15, v5
	v_or_b32_e32 v4, v14, v4
	v_or_b32_e32 v6, v19, v17
	v_or_b32_e32 v14, v18, v16
	v_mul_f32_e32 v151, v20, v5
	s_delay_alu instid0(VALU_DEP_4) | instskip(NEXT) | instid1(VALU_DEP_4)
	v_mul_f32_e32 v150, v20, v4
	v_mul_f32_e32 v148, v20, v6
	s_delay_alu instid0(VALU_DEP_4)
	v_mul_f32_e32 v149, v20, v14
	s_and_saveexec_b32 s10, vcc_lo
; %bb.1112:                             ;   in Loop: Header=BB260_806 Depth=1
	v_cmp_lt_i32_e64 s0, v84, v25
	s_delay_alu instid0(VALU_DEP_1) | instskip(SKIP_1) | instid1(VALU_DEP_1)
	v_cndmask_b32_e64 v150, 0, v150, s0
	v_cmp_lt_i32_e64 s0, v87, v25
	v_cndmask_b32_e64 v151, 0, v151, s0
	v_cmp_lt_i32_e64 s0, v86, v25
	s_delay_alu instid0(VALU_DEP_1) | instskip(SKIP_1) | instid1(VALU_DEP_1)
	v_cndmask_b32_e64 v149, 0, v149, s0
	v_cmp_lt_i32_e64 s0, v85, v25
	v_cndmask_b32_e64 v148, 0, v148, s0
; %bb.1113:                             ;   in Loop: Header=BB260_806 Depth=1
	s_or_b32 exec_lo, exec_lo, s10
	flat_load_b32 v160, v[12:13] offset:1152
	v_mov_b32_e32 v14, 0
	v_mov_b32_e32 v15, 0
	s_mov_b32 s10, exec_lo
	s_waitcnt vmcnt(0) lgkmcnt(0)
	v_and_b32_e32 v6, 0xff, v160
	s_delay_alu instid0(VALU_DEP_2) | instskip(NEXT) | instid1(VALU_DEP_2)
	v_dual_mov_b32 v4, v14 :: v_dual_mov_b32 v5, v15
	v_cmpx_ne_u16_e32 0, v6
	s_cbranch_execz .LBB260_1121
; %bb.1114:                             ;   in Loop: Header=BB260_806 Depth=1
	v_bfrev_b32_e32 v4, 1
	v_mov_b32_e32 v5, 0
	s_mov_b32 s13, exec_lo
	v_cmpx_ne_u16_e32 0x80, v6
	s_cbranch_execz .LBB260_1120
; %bb.1115:                             ;   in Loop: Header=BB260_806 Depth=1
	v_mov_b32_e32 v4, 0x7f800001
	v_dual_mov_b32 v5, 0 :: v_dual_and_b32 v16, 0x7f, v160
	s_mov_b32 s15, exec_lo
	s_delay_alu instid0(VALU_DEP_1)
	v_cmpx_ne_u32_e32 0x7f, v16
	s_cbranch_execz .LBB260_1119
; %bb.1116:                             ;   in Loop: Header=BB260_806 Depth=1
	v_and_b32_e32 v6, 7, v160
	v_lshrrev_b32_e32 v4, 3, v16
	s_mov_b32 s16, exec_lo
	v_cmpx_gt_u32_e32 8, v16
; %bb.1117:                             ;   in Loop: Header=BB260_806 Depth=1
	s_delay_alu instid0(VALU_DEP_3) | instskip(NEXT) | instid1(VALU_DEP_1)
	v_clz_i32_u32_e32 v4, v6
	v_min_u32_e32 v4, 32, v4
	s_delay_alu instid0(VALU_DEP_1) | instskip(SKIP_1) | instid1(VALU_DEP_2)
	v_subrev_nc_u32_e32 v5, 28, v4
	v_sub_nc_u32_e32 v4, 29, v4
	v_lshlrev_b64 v[5:6], v5, v[6:7]
	s_delay_alu instid0(VALU_DEP_1)
	v_and_b32_e32 v6, 7, v5
; %bb.1118:                             ;   in Loop: Header=BB260_806 Depth=1
	s_or_b32 exec_lo, exec_lo, s16
	v_lshlrev_b32_e32 v5, 24, v160
	s_delay_alu instid0(VALU_DEP_2) | instskip(SKIP_1) | instid1(VALU_DEP_3)
	v_lshlrev_b32_e32 v6, 20, v6
	v_lshl_add_u32 v4, v4, 23, 0x3c000000
	v_and_b32_e32 v5, 0x80000000, v5
	s_delay_alu instid0(VALU_DEP_1) | instskip(NEXT) | instid1(VALU_DEP_1)
	v_or3_b32 v6, v6, v5, v4
	v_dual_mov_b32 v4, v6 :: v_dual_mov_b32 v5, v7
.LBB260_1119:                           ;   in Loop: Header=BB260_806 Depth=1
	s_or_b32 exec_lo, exec_lo, s15
.LBB260_1120:                           ;   in Loop: Header=BB260_806 Depth=1
	s_delay_alu instid0(SALU_CYCLE_1)
	s_or_b32 exec_lo, exec_lo, s13
.LBB260_1121:                           ;   in Loop: Header=BB260_806 Depth=1
	s_delay_alu instid0(SALU_CYCLE_1) | instskip(SKIP_2) | instid1(VALU_DEP_1)
	s_or_b32 exec_lo, exec_lo, s10
	v_lshrrev_b16 v6, 8, v160
	s_mov_b32 s13, exec_lo
	v_cmpx_ne_u16_e32 0, v6
	s_cbranch_execz .LBB260_1129
; %bb.1122:                             ;   in Loop: Header=BB260_806 Depth=1
	v_dual_mov_b32 v15, s9 :: v_dual_mov_b32 v14, s8
	s_mov_b32 s15, exec_lo
	v_cmpx_ne_u16_e32 0x80, v6
	s_cbranch_execz .LBB260_1128
; %bb.1123:                             ;   in Loop: Header=BB260_806 Depth=1
	s_mov_b32 s10, s8
	v_dual_mov_b32 v15, s11 :: v_dual_and_b32 v6, 0xffff, v6
	v_mov_b32_e32 v14, s10
	s_mov_b32 s10, exec_lo
	s_delay_alu instid0(VALU_DEP_2) | instskip(NEXT) | instid1(VALU_DEP_1)
	v_and_b32_e32 v16, 0x7f, v6
	v_cmpx_ne_u32_e32 0x7f, v16
	s_cbranch_execz .LBB260_1127
; %bb.1124:                             ;   in Loop: Header=BB260_806 Depth=1
	v_and_b32_e32 v6, 7, v6
	v_lshrrev_b32_e32 v14, 3, v16
	s_mov_b32 s16, exec_lo
	v_cmpx_gt_u32_e32 8, v16
; %bb.1125:                             ;   in Loop: Header=BB260_806 Depth=1
	s_delay_alu instid0(VALU_DEP_3) | instskip(NEXT) | instid1(VALU_DEP_1)
	v_clz_i32_u32_e32 v14, v6
	v_min_u32_e32 v14, 32, v14
	s_delay_alu instid0(VALU_DEP_1) | instskip(SKIP_1) | instid1(VALU_DEP_2)
	v_subrev_nc_u32_e32 v15, 28, v14
	v_sub_nc_u32_e32 v14, 29, v14
	v_lshlrev_b64 v[15:16], v15, v[6:7]
	s_delay_alu instid0(VALU_DEP_1)
	v_and_b32_e32 v6, 7, v15
; %bb.1126:                             ;   in Loop: Header=BB260_806 Depth=1
	s_or_b32 exec_lo, exec_lo, s16
	v_lshlrev_b32_e32 v15, 16, v160
	s_delay_alu instid0(VALU_DEP_2) | instskip(SKIP_1) | instid1(VALU_DEP_3)
	v_lshlrev_b32_e32 v6, 20, v6
	v_lshl_add_u32 v14, v14, 23, 0x3c000000
	v_and_b32_e32 v15, 0x80000000, v15
	s_delay_alu instid0(VALU_DEP_1)
	v_or3_b32 v15, v6, v15, v14
	v_mov_b32_e32 v14, v7
.LBB260_1127:                           ;   in Loop: Header=BB260_806 Depth=1
	s_or_b32 exec_lo, exec_lo, s10
.LBB260_1128:                           ;   in Loop: Header=BB260_806 Depth=1
	s_delay_alu instid0(SALU_CYCLE_1)
	s_or_b32 exec_lo, exec_lo, s15
.LBB260_1129:                           ;   in Loop: Header=BB260_806 Depth=1
	s_delay_alu instid0(SALU_CYCLE_1) | instskip(SKIP_4) | instid1(VALU_DEP_2)
	s_or_b32 exec_lo, exec_lo, s13
	v_mov_b32_e32 v18, 0
	v_lshrrev_b32_e32 v161, 16, v160
	v_mov_b32_e32 v19, 0
	s_mov_b32 s10, exec_lo
	v_and_b32_e32 v6, 0xff, v161
	s_delay_alu instid0(VALU_DEP_2) | instskip(NEXT) | instid1(VALU_DEP_2)
	v_dual_mov_b32 v16, v18 :: v_dual_mov_b32 v17, v19
	v_cmpx_ne_u16_e32 0, v6
	s_cbranch_execz .LBB260_1137
; %bb.1130:                             ;   in Loop: Header=BB260_806 Depth=1
	v_bfrev_b32_e32 v16, 1
	v_mov_b32_e32 v17, 0
	s_mov_b32 s13, exec_lo
	v_cmpx_ne_u16_e32 0x80, v6
	s_cbranch_execz .LBB260_1136
; %bb.1131:                             ;   in Loop: Header=BB260_806 Depth=1
	v_mov_b32_e32 v16, 0x7f800001
	v_bfe_u32 v162, v160, 16, 7
	v_mov_b32_e32 v17, 0
	s_mov_b32 s15, exec_lo
	s_delay_alu instid0(VALU_DEP_2)
	v_cmpx_ne_u32_e32 0x7f, v162
	s_cbranch_execz .LBB260_1135
; %bb.1132:                             ;   in Loop: Header=BB260_806 Depth=1
	v_and_b32_e32 v6, 7, v161
	v_lshrrev_b32_e32 v16, 3, v162
	s_mov_b32 s16, exec_lo
	v_cmpx_gt_u32_e32 8, v162
; %bb.1133:                             ;   in Loop: Header=BB260_806 Depth=1
	s_delay_alu instid0(VALU_DEP_3) | instskip(NEXT) | instid1(VALU_DEP_1)
	v_clz_i32_u32_e32 v16, v6
	v_min_u32_e32 v16, 32, v16
	s_delay_alu instid0(VALU_DEP_1) | instskip(SKIP_1) | instid1(VALU_DEP_2)
	v_subrev_nc_u32_e32 v17, 28, v16
	v_sub_nc_u32_e32 v16, 29, v16
	v_lshlrev_b64 v[162:163], v17, v[6:7]
	s_delay_alu instid0(VALU_DEP_1)
	v_and_b32_e32 v6, 7, v162
; %bb.1134:                             ;   in Loop: Header=BB260_806 Depth=1
	s_or_b32 exec_lo, exec_lo, s16
	v_lshlrev_b32_e32 v17, 24, v161
	s_delay_alu instid0(VALU_DEP_2) | instskip(SKIP_1) | instid1(VALU_DEP_3)
	v_lshlrev_b32_e32 v6, 20, v6
	v_lshl_add_u32 v16, v16, 23, 0x3c000000
	v_and_b32_e32 v17, 0x80000000, v17
	s_delay_alu instid0(VALU_DEP_1) | instskip(NEXT) | instid1(VALU_DEP_1)
	v_or3_b32 v6, v6, v17, v16
	v_dual_mov_b32 v17, v7 :: v_dual_mov_b32 v16, v6
.LBB260_1135:                           ;   in Loop: Header=BB260_806 Depth=1
	s_or_b32 exec_lo, exec_lo, s15
.LBB260_1136:                           ;   in Loop: Header=BB260_806 Depth=1
	s_delay_alu instid0(SALU_CYCLE_1)
	s_or_b32 exec_lo, exec_lo, s13
.LBB260_1137:                           ;   in Loop: Header=BB260_806 Depth=1
	s_delay_alu instid0(SALU_CYCLE_1) | instskip(NEXT) | instid1(SALU_CYCLE_1)
	s_or_b32 exec_lo, exec_lo, s10
	s_mov_b32 s13, exec_lo
	v_cmpx_lt_u32_e32 0xffffff, v160
	s_cbranch_execz .LBB260_1145
; %bb.1138:                             ;   in Loop: Header=BB260_806 Depth=1
	v_lshrrev_b32_e32 v161, 24, v160
	v_dual_mov_b32 v19, s9 :: v_dual_mov_b32 v18, s8
	s_mov_b32 s15, exec_lo
	s_delay_alu instid0(VALU_DEP_2)
	v_cmpx_ne_u32_e32 0x80, v161
	s_cbranch_execz .LBB260_1144
; %bb.1139:                             ;   in Loop: Header=BB260_806 Depth=1
	s_mov_b32 s10, s8
	v_bfe_u32 v160, v160, 24, 7
	v_dual_mov_b32 v19, s11 :: v_dual_mov_b32 v18, s10
	s_mov_b32 s10, exec_lo
	s_delay_alu instid0(VALU_DEP_2)
	v_cmpx_ne_u32_e32 0x7f, v160
	s_cbranch_execz .LBB260_1143
; %bb.1140:                             ;   in Loop: Header=BB260_806 Depth=1
	v_and_b32_e32 v6, 7, v161
	v_lshrrev_b32_e32 v18, 3, v160
	s_mov_b32 s16, exec_lo
	v_cmpx_gt_u32_e32 8, v160
; %bb.1141:                             ;   in Loop: Header=BB260_806 Depth=1
	s_delay_alu instid0(VALU_DEP_3) | instskip(NEXT) | instid1(VALU_DEP_1)
	v_clz_i32_u32_e32 v18, v6
	v_min_u32_e32 v18, 32, v18
	s_delay_alu instid0(VALU_DEP_1) | instskip(SKIP_1) | instid1(VALU_DEP_2)
	v_subrev_nc_u32_e32 v19, 28, v18
	v_sub_nc_u32_e32 v18, 29, v18
	v_lshlrev_b64 v[162:163], v19, v[6:7]
	s_delay_alu instid0(VALU_DEP_1)
	v_and_b32_e32 v6, 7, v162
; %bb.1142:                             ;   in Loop: Header=BB260_806 Depth=1
	s_or_b32 exec_lo, exec_lo, s16
	v_lshlrev_b32_e32 v19, 24, v161
	s_delay_alu instid0(VALU_DEP_2) | instskip(SKIP_1) | instid1(VALU_DEP_3)
	v_lshlrev_b32_e32 v6, 20, v6
	v_lshl_add_u32 v18, v18, 23, 0x3c000000
	v_and_b32_e32 v19, 0x80000000, v19
	s_delay_alu instid0(VALU_DEP_1)
	v_or3_b32 v19, v6, v19, v18
	v_mov_b32_e32 v18, v7
.LBB260_1143:                           ;   in Loop: Header=BB260_806 Depth=1
	s_or_b32 exec_lo, exec_lo, s10
.LBB260_1144:                           ;   in Loop: Header=BB260_806 Depth=1
	s_delay_alu instid0(SALU_CYCLE_1)
	s_or_b32 exec_lo, exec_lo, s15
.LBB260_1145:                           ;   in Loop: Header=BB260_806 Depth=1
	s_delay_alu instid0(SALU_CYCLE_1) | instskip(SKIP_4) | instid1(VALU_DEP_4)
	s_or_b32 exec_lo, exec_lo, s13
	v_or_b32_e32 v5, v15, v5
	v_or_b32_e32 v4, v14, v4
	;; [unrolled: 1-line block ×4, first 2 shown]
	v_mul_f32_e32 v163, v20, v5
	s_delay_alu instid0(VALU_DEP_4) | instskip(NEXT) | instid1(VALU_DEP_4)
	v_mul_f32_e32 v162, v20, v4
	v_mul_f32_e32 v160, v20, v6
	s_delay_alu instid0(VALU_DEP_4)
	v_mul_f32_e32 v161, v20, v14
	s_and_saveexec_b32 s10, vcc_lo
; %bb.1146:                             ;   in Loop: Header=BB260_806 Depth=1
	v_cmp_lt_i32_e64 s0, v84, v25
	s_delay_alu instid0(VALU_DEP_1) | instskip(SKIP_1) | instid1(VALU_DEP_1)
	v_cndmask_b32_e64 v162, 0, v162, s0
	v_cmp_lt_i32_e64 s0, v87, v25
	v_cndmask_b32_e64 v163, 0, v163, s0
	v_cmp_lt_i32_e64 s0, v86, v25
	s_delay_alu instid0(VALU_DEP_1) | instskip(SKIP_1) | instid1(VALU_DEP_1)
	v_cndmask_b32_e64 v161, 0, v161, s0
	v_cmp_lt_i32_e64 s0, v85, v25
	v_cndmask_b32_e64 v160, 0, v160, s0
; %bb.1147:                             ;   in Loop: Header=BB260_806 Depth=1
	s_or_b32 exec_lo, exec_lo, s10
	flat_load_b32 v164, v[12:13] offset:1280
	v_mov_b32_e32 v14, 0
	v_mov_b32_e32 v15, 0
	s_mov_b32 s10, exec_lo
	s_waitcnt vmcnt(0) lgkmcnt(0)
	v_and_b32_e32 v6, 0xff, v164
	s_delay_alu instid0(VALU_DEP_2) | instskip(NEXT) | instid1(VALU_DEP_2)
	v_dual_mov_b32 v4, v14 :: v_dual_mov_b32 v5, v15
	v_cmpx_ne_u16_e32 0, v6
	s_cbranch_execz .LBB260_1155
; %bb.1148:                             ;   in Loop: Header=BB260_806 Depth=1
	v_bfrev_b32_e32 v4, 1
	v_mov_b32_e32 v5, 0
	s_mov_b32 s13, exec_lo
	v_cmpx_ne_u16_e32 0x80, v6
	s_cbranch_execz .LBB260_1154
; %bb.1149:                             ;   in Loop: Header=BB260_806 Depth=1
	v_mov_b32_e32 v4, 0x7f800001
	v_dual_mov_b32 v5, 0 :: v_dual_and_b32 v16, 0x7f, v164
	s_mov_b32 s15, exec_lo
	s_delay_alu instid0(VALU_DEP_1)
	v_cmpx_ne_u32_e32 0x7f, v16
	s_cbranch_execz .LBB260_1153
; %bb.1150:                             ;   in Loop: Header=BB260_806 Depth=1
	v_and_b32_e32 v6, 7, v164
	v_lshrrev_b32_e32 v4, 3, v16
	s_mov_b32 s16, exec_lo
	v_cmpx_gt_u32_e32 8, v16
; %bb.1151:                             ;   in Loop: Header=BB260_806 Depth=1
	s_delay_alu instid0(VALU_DEP_3) | instskip(NEXT) | instid1(VALU_DEP_1)
	v_clz_i32_u32_e32 v4, v6
	v_min_u32_e32 v4, 32, v4
	s_delay_alu instid0(VALU_DEP_1) | instskip(SKIP_1) | instid1(VALU_DEP_2)
	v_subrev_nc_u32_e32 v5, 28, v4
	v_sub_nc_u32_e32 v4, 29, v4
	v_lshlrev_b64 v[5:6], v5, v[6:7]
	s_delay_alu instid0(VALU_DEP_1)
	v_and_b32_e32 v6, 7, v5
; %bb.1152:                             ;   in Loop: Header=BB260_806 Depth=1
	s_or_b32 exec_lo, exec_lo, s16
	v_lshlrev_b32_e32 v5, 24, v164
	s_delay_alu instid0(VALU_DEP_2) | instskip(SKIP_1) | instid1(VALU_DEP_3)
	v_lshlrev_b32_e32 v6, 20, v6
	v_lshl_add_u32 v4, v4, 23, 0x3c000000
	v_and_b32_e32 v5, 0x80000000, v5
	s_delay_alu instid0(VALU_DEP_1) | instskip(NEXT) | instid1(VALU_DEP_1)
	v_or3_b32 v6, v6, v5, v4
	v_dual_mov_b32 v4, v6 :: v_dual_mov_b32 v5, v7
.LBB260_1153:                           ;   in Loop: Header=BB260_806 Depth=1
	s_or_b32 exec_lo, exec_lo, s15
.LBB260_1154:                           ;   in Loop: Header=BB260_806 Depth=1
	s_delay_alu instid0(SALU_CYCLE_1)
	s_or_b32 exec_lo, exec_lo, s13
.LBB260_1155:                           ;   in Loop: Header=BB260_806 Depth=1
	s_delay_alu instid0(SALU_CYCLE_1) | instskip(SKIP_2) | instid1(VALU_DEP_1)
	s_or_b32 exec_lo, exec_lo, s10
	v_lshrrev_b16 v6, 8, v164
	s_mov_b32 s13, exec_lo
	v_cmpx_ne_u16_e32 0, v6
	s_cbranch_execz .LBB260_1163
; %bb.1156:                             ;   in Loop: Header=BB260_806 Depth=1
	v_dual_mov_b32 v15, s9 :: v_dual_mov_b32 v14, s8
	s_mov_b32 s15, exec_lo
	v_cmpx_ne_u16_e32 0x80, v6
	s_cbranch_execz .LBB260_1162
; %bb.1157:                             ;   in Loop: Header=BB260_806 Depth=1
	s_mov_b32 s10, s8
	v_dual_mov_b32 v15, s11 :: v_dual_and_b32 v6, 0xffff, v6
	v_mov_b32_e32 v14, s10
	s_mov_b32 s10, exec_lo
	s_delay_alu instid0(VALU_DEP_2) | instskip(NEXT) | instid1(VALU_DEP_1)
	v_and_b32_e32 v16, 0x7f, v6
	v_cmpx_ne_u32_e32 0x7f, v16
	s_cbranch_execz .LBB260_1161
; %bb.1158:                             ;   in Loop: Header=BB260_806 Depth=1
	v_and_b32_e32 v6, 7, v6
	v_lshrrev_b32_e32 v14, 3, v16
	s_mov_b32 s16, exec_lo
	v_cmpx_gt_u32_e32 8, v16
; %bb.1159:                             ;   in Loop: Header=BB260_806 Depth=1
	s_delay_alu instid0(VALU_DEP_3) | instskip(NEXT) | instid1(VALU_DEP_1)
	v_clz_i32_u32_e32 v14, v6
	v_min_u32_e32 v14, 32, v14
	s_delay_alu instid0(VALU_DEP_1) | instskip(SKIP_1) | instid1(VALU_DEP_2)
	v_subrev_nc_u32_e32 v15, 28, v14
	v_sub_nc_u32_e32 v14, 29, v14
	v_lshlrev_b64 v[15:16], v15, v[6:7]
	s_delay_alu instid0(VALU_DEP_1)
	v_and_b32_e32 v6, 7, v15
; %bb.1160:                             ;   in Loop: Header=BB260_806 Depth=1
	s_or_b32 exec_lo, exec_lo, s16
	v_lshlrev_b32_e32 v15, 16, v164
	s_delay_alu instid0(VALU_DEP_2) | instskip(SKIP_1) | instid1(VALU_DEP_3)
	v_lshlrev_b32_e32 v6, 20, v6
	v_lshl_add_u32 v14, v14, 23, 0x3c000000
	v_and_b32_e32 v15, 0x80000000, v15
	s_delay_alu instid0(VALU_DEP_1)
	v_or3_b32 v15, v6, v15, v14
	v_mov_b32_e32 v14, v7
.LBB260_1161:                           ;   in Loop: Header=BB260_806 Depth=1
	s_or_b32 exec_lo, exec_lo, s10
.LBB260_1162:                           ;   in Loop: Header=BB260_806 Depth=1
	s_delay_alu instid0(SALU_CYCLE_1)
	s_or_b32 exec_lo, exec_lo, s15
.LBB260_1163:                           ;   in Loop: Header=BB260_806 Depth=1
	s_delay_alu instid0(SALU_CYCLE_1) | instskip(SKIP_4) | instid1(VALU_DEP_2)
	s_or_b32 exec_lo, exec_lo, s13
	v_mov_b32_e32 v18, 0
	v_lshrrev_b32_e32 v165, 16, v164
	v_mov_b32_e32 v19, 0
	s_mov_b32 s10, exec_lo
	v_and_b32_e32 v6, 0xff, v165
	s_delay_alu instid0(VALU_DEP_2) | instskip(NEXT) | instid1(VALU_DEP_2)
	v_dual_mov_b32 v16, v18 :: v_dual_mov_b32 v17, v19
	v_cmpx_ne_u16_e32 0, v6
	s_cbranch_execz .LBB260_1171
; %bb.1164:                             ;   in Loop: Header=BB260_806 Depth=1
	v_bfrev_b32_e32 v16, 1
	v_mov_b32_e32 v17, 0
	s_mov_b32 s13, exec_lo
	v_cmpx_ne_u16_e32 0x80, v6
	s_cbranch_execz .LBB260_1170
; %bb.1165:                             ;   in Loop: Header=BB260_806 Depth=1
	v_mov_b32_e32 v16, 0x7f800001
	v_bfe_u32 v166, v164, 16, 7
	v_mov_b32_e32 v17, 0
	s_mov_b32 s15, exec_lo
	s_delay_alu instid0(VALU_DEP_2)
	v_cmpx_ne_u32_e32 0x7f, v166
	s_cbranch_execz .LBB260_1169
; %bb.1166:                             ;   in Loop: Header=BB260_806 Depth=1
	v_and_b32_e32 v6, 7, v165
	v_lshrrev_b32_e32 v16, 3, v166
	s_mov_b32 s16, exec_lo
	v_cmpx_gt_u32_e32 8, v166
; %bb.1167:                             ;   in Loop: Header=BB260_806 Depth=1
	s_delay_alu instid0(VALU_DEP_3) | instskip(NEXT) | instid1(VALU_DEP_1)
	v_clz_i32_u32_e32 v16, v6
	v_min_u32_e32 v16, 32, v16
	s_delay_alu instid0(VALU_DEP_1) | instskip(SKIP_1) | instid1(VALU_DEP_2)
	v_subrev_nc_u32_e32 v17, 28, v16
	v_sub_nc_u32_e32 v16, 29, v16
	v_lshlrev_b64 v[166:167], v17, v[6:7]
	s_delay_alu instid0(VALU_DEP_1)
	v_and_b32_e32 v6, 7, v166
; %bb.1168:                             ;   in Loop: Header=BB260_806 Depth=1
	s_or_b32 exec_lo, exec_lo, s16
	v_lshlrev_b32_e32 v17, 24, v165
	s_delay_alu instid0(VALU_DEP_2) | instskip(SKIP_1) | instid1(VALU_DEP_3)
	v_lshlrev_b32_e32 v6, 20, v6
	v_lshl_add_u32 v16, v16, 23, 0x3c000000
	v_and_b32_e32 v17, 0x80000000, v17
	s_delay_alu instid0(VALU_DEP_1) | instskip(NEXT) | instid1(VALU_DEP_1)
	v_or3_b32 v6, v6, v17, v16
	v_dual_mov_b32 v17, v7 :: v_dual_mov_b32 v16, v6
.LBB260_1169:                           ;   in Loop: Header=BB260_806 Depth=1
	s_or_b32 exec_lo, exec_lo, s15
.LBB260_1170:                           ;   in Loop: Header=BB260_806 Depth=1
	s_delay_alu instid0(SALU_CYCLE_1)
	s_or_b32 exec_lo, exec_lo, s13
.LBB260_1171:                           ;   in Loop: Header=BB260_806 Depth=1
	s_delay_alu instid0(SALU_CYCLE_1) | instskip(NEXT) | instid1(SALU_CYCLE_1)
	s_or_b32 exec_lo, exec_lo, s10
	s_mov_b32 s13, exec_lo
	v_cmpx_lt_u32_e32 0xffffff, v164
	s_cbranch_execz .LBB260_1179
; %bb.1172:                             ;   in Loop: Header=BB260_806 Depth=1
	v_lshrrev_b32_e32 v165, 24, v164
	v_dual_mov_b32 v19, s9 :: v_dual_mov_b32 v18, s8
	s_mov_b32 s15, exec_lo
	s_delay_alu instid0(VALU_DEP_2)
	v_cmpx_ne_u32_e32 0x80, v165
	s_cbranch_execz .LBB260_1178
; %bb.1173:                             ;   in Loop: Header=BB260_806 Depth=1
	s_mov_b32 s10, s8
	v_bfe_u32 v164, v164, 24, 7
	v_dual_mov_b32 v19, s11 :: v_dual_mov_b32 v18, s10
	s_mov_b32 s10, exec_lo
	s_delay_alu instid0(VALU_DEP_2)
	v_cmpx_ne_u32_e32 0x7f, v164
	s_cbranch_execz .LBB260_1177
; %bb.1174:                             ;   in Loop: Header=BB260_806 Depth=1
	v_and_b32_e32 v6, 7, v165
	v_lshrrev_b32_e32 v18, 3, v164
	s_mov_b32 s16, exec_lo
	v_cmpx_gt_u32_e32 8, v164
; %bb.1175:                             ;   in Loop: Header=BB260_806 Depth=1
	s_delay_alu instid0(VALU_DEP_3) | instskip(NEXT) | instid1(VALU_DEP_1)
	v_clz_i32_u32_e32 v18, v6
	v_min_u32_e32 v18, 32, v18
	s_delay_alu instid0(VALU_DEP_1) | instskip(SKIP_1) | instid1(VALU_DEP_2)
	v_subrev_nc_u32_e32 v19, 28, v18
	v_sub_nc_u32_e32 v18, 29, v18
	v_lshlrev_b64 v[166:167], v19, v[6:7]
	s_delay_alu instid0(VALU_DEP_1)
	v_and_b32_e32 v6, 7, v166
; %bb.1176:                             ;   in Loop: Header=BB260_806 Depth=1
	s_or_b32 exec_lo, exec_lo, s16
	v_lshlrev_b32_e32 v19, 24, v165
	s_delay_alu instid0(VALU_DEP_2) | instskip(SKIP_1) | instid1(VALU_DEP_3)
	v_lshlrev_b32_e32 v6, 20, v6
	v_lshl_add_u32 v18, v18, 23, 0x3c000000
	v_and_b32_e32 v19, 0x80000000, v19
	s_delay_alu instid0(VALU_DEP_1)
	v_or3_b32 v19, v6, v19, v18
	v_mov_b32_e32 v18, v7
.LBB260_1177:                           ;   in Loop: Header=BB260_806 Depth=1
	s_or_b32 exec_lo, exec_lo, s10
.LBB260_1178:                           ;   in Loop: Header=BB260_806 Depth=1
	s_delay_alu instid0(SALU_CYCLE_1)
	s_or_b32 exec_lo, exec_lo, s15
.LBB260_1179:                           ;   in Loop: Header=BB260_806 Depth=1
	s_delay_alu instid0(SALU_CYCLE_1) | instskip(SKIP_4) | instid1(VALU_DEP_4)
	s_or_b32 exec_lo, exec_lo, s13
	v_or_b32_e32 v5, v15, v5
	v_or_b32_e32 v4, v14, v4
	;; [unrolled: 1-line block ×4, first 2 shown]
	v_mul_f32_e32 v167, v20, v5
	s_delay_alu instid0(VALU_DEP_4) | instskip(NEXT) | instid1(VALU_DEP_4)
	v_mul_f32_e32 v166, v20, v4
	v_mul_f32_e32 v164, v20, v6
	s_delay_alu instid0(VALU_DEP_4)
	v_mul_f32_e32 v165, v20, v14
	s_and_saveexec_b32 s10, vcc_lo
; %bb.1180:                             ;   in Loop: Header=BB260_806 Depth=1
	v_cmp_lt_i32_e64 s0, v84, v25
	s_delay_alu instid0(VALU_DEP_1) | instskip(SKIP_1) | instid1(VALU_DEP_1)
	v_cndmask_b32_e64 v166, 0, v166, s0
	v_cmp_lt_i32_e64 s0, v87, v25
	v_cndmask_b32_e64 v167, 0, v167, s0
	v_cmp_lt_i32_e64 s0, v86, v25
	s_delay_alu instid0(VALU_DEP_1) | instskip(SKIP_1) | instid1(VALU_DEP_1)
	v_cndmask_b32_e64 v165, 0, v165, s0
	v_cmp_lt_i32_e64 s0, v85, v25
	v_cndmask_b32_e64 v164, 0, v164, s0
; %bb.1181:                             ;   in Loop: Header=BB260_806 Depth=1
	s_or_b32 exec_lo, exec_lo, s10
	flat_load_b32 v176, v[12:13] offset:1408
	v_mov_b32_e32 v14, 0
	v_mov_b32_e32 v15, 0
	s_mov_b32 s10, exec_lo
	s_waitcnt vmcnt(0) lgkmcnt(0)
	v_and_b32_e32 v6, 0xff, v176
	s_delay_alu instid0(VALU_DEP_2) | instskip(NEXT) | instid1(VALU_DEP_2)
	v_dual_mov_b32 v4, v14 :: v_dual_mov_b32 v5, v15
	v_cmpx_ne_u16_e32 0, v6
	s_cbranch_execz .LBB260_1189
; %bb.1182:                             ;   in Loop: Header=BB260_806 Depth=1
	v_bfrev_b32_e32 v4, 1
	v_mov_b32_e32 v5, 0
	s_mov_b32 s13, exec_lo
	v_cmpx_ne_u16_e32 0x80, v6
	s_cbranch_execz .LBB260_1188
; %bb.1183:                             ;   in Loop: Header=BB260_806 Depth=1
	v_mov_b32_e32 v4, 0x7f800001
	v_dual_mov_b32 v5, 0 :: v_dual_and_b32 v16, 0x7f, v176
	s_mov_b32 s15, exec_lo
	s_delay_alu instid0(VALU_DEP_1)
	v_cmpx_ne_u32_e32 0x7f, v16
	s_cbranch_execz .LBB260_1187
; %bb.1184:                             ;   in Loop: Header=BB260_806 Depth=1
	v_and_b32_e32 v6, 7, v176
	v_lshrrev_b32_e32 v4, 3, v16
	s_mov_b32 s16, exec_lo
	v_cmpx_gt_u32_e32 8, v16
; %bb.1185:                             ;   in Loop: Header=BB260_806 Depth=1
	s_delay_alu instid0(VALU_DEP_3) | instskip(NEXT) | instid1(VALU_DEP_1)
	v_clz_i32_u32_e32 v4, v6
	v_min_u32_e32 v4, 32, v4
	s_delay_alu instid0(VALU_DEP_1) | instskip(SKIP_1) | instid1(VALU_DEP_2)
	v_subrev_nc_u32_e32 v5, 28, v4
	v_sub_nc_u32_e32 v4, 29, v4
	v_lshlrev_b64 v[5:6], v5, v[6:7]
	s_delay_alu instid0(VALU_DEP_1)
	v_and_b32_e32 v6, 7, v5
; %bb.1186:                             ;   in Loop: Header=BB260_806 Depth=1
	s_or_b32 exec_lo, exec_lo, s16
	v_lshlrev_b32_e32 v5, 24, v176
	s_delay_alu instid0(VALU_DEP_2) | instskip(SKIP_1) | instid1(VALU_DEP_3)
	v_lshlrev_b32_e32 v6, 20, v6
	v_lshl_add_u32 v4, v4, 23, 0x3c000000
	v_and_b32_e32 v5, 0x80000000, v5
	s_delay_alu instid0(VALU_DEP_1) | instskip(NEXT) | instid1(VALU_DEP_1)
	v_or3_b32 v6, v6, v5, v4
	v_dual_mov_b32 v4, v6 :: v_dual_mov_b32 v5, v7
.LBB260_1187:                           ;   in Loop: Header=BB260_806 Depth=1
	s_or_b32 exec_lo, exec_lo, s15
.LBB260_1188:                           ;   in Loop: Header=BB260_806 Depth=1
	s_delay_alu instid0(SALU_CYCLE_1)
	s_or_b32 exec_lo, exec_lo, s13
.LBB260_1189:                           ;   in Loop: Header=BB260_806 Depth=1
	s_delay_alu instid0(SALU_CYCLE_1) | instskip(SKIP_2) | instid1(VALU_DEP_1)
	s_or_b32 exec_lo, exec_lo, s10
	v_lshrrev_b16 v6, 8, v176
	s_mov_b32 s13, exec_lo
	v_cmpx_ne_u16_e32 0, v6
	s_cbranch_execz .LBB260_1197
; %bb.1190:                             ;   in Loop: Header=BB260_806 Depth=1
	v_dual_mov_b32 v15, s9 :: v_dual_mov_b32 v14, s8
	s_mov_b32 s15, exec_lo
	v_cmpx_ne_u16_e32 0x80, v6
	s_cbranch_execz .LBB260_1196
; %bb.1191:                             ;   in Loop: Header=BB260_806 Depth=1
	s_mov_b32 s10, s8
	v_dual_mov_b32 v15, s11 :: v_dual_and_b32 v6, 0xffff, v6
	v_mov_b32_e32 v14, s10
	s_mov_b32 s10, exec_lo
	s_delay_alu instid0(VALU_DEP_2) | instskip(NEXT) | instid1(VALU_DEP_1)
	v_and_b32_e32 v16, 0x7f, v6
	v_cmpx_ne_u32_e32 0x7f, v16
	s_cbranch_execz .LBB260_1195
; %bb.1192:                             ;   in Loop: Header=BB260_806 Depth=1
	v_and_b32_e32 v6, 7, v6
	v_lshrrev_b32_e32 v14, 3, v16
	s_mov_b32 s16, exec_lo
	v_cmpx_gt_u32_e32 8, v16
; %bb.1193:                             ;   in Loop: Header=BB260_806 Depth=1
	s_delay_alu instid0(VALU_DEP_3) | instskip(NEXT) | instid1(VALU_DEP_1)
	v_clz_i32_u32_e32 v14, v6
	v_min_u32_e32 v14, 32, v14
	s_delay_alu instid0(VALU_DEP_1) | instskip(SKIP_1) | instid1(VALU_DEP_2)
	v_subrev_nc_u32_e32 v15, 28, v14
	v_sub_nc_u32_e32 v14, 29, v14
	v_lshlrev_b64 v[15:16], v15, v[6:7]
	s_delay_alu instid0(VALU_DEP_1)
	v_and_b32_e32 v6, 7, v15
; %bb.1194:                             ;   in Loop: Header=BB260_806 Depth=1
	s_or_b32 exec_lo, exec_lo, s16
	v_lshlrev_b32_e32 v15, 16, v176
	s_delay_alu instid0(VALU_DEP_2) | instskip(SKIP_1) | instid1(VALU_DEP_3)
	v_lshlrev_b32_e32 v6, 20, v6
	v_lshl_add_u32 v14, v14, 23, 0x3c000000
	v_and_b32_e32 v15, 0x80000000, v15
	s_delay_alu instid0(VALU_DEP_1)
	v_or3_b32 v15, v6, v15, v14
	v_mov_b32_e32 v14, v7
.LBB260_1195:                           ;   in Loop: Header=BB260_806 Depth=1
	s_or_b32 exec_lo, exec_lo, s10
.LBB260_1196:                           ;   in Loop: Header=BB260_806 Depth=1
	s_delay_alu instid0(SALU_CYCLE_1)
	s_or_b32 exec_lo, exec_lo, s15
.LBB260_1197:                           ;   in Loop: Header=BB260_806 Depth=1
	s_delay_alu instid0(SALU_CYCLE_1) | instskip(SKIP_4) | instid1(VALU_DEP_2)
	s_or_b32 exec_lo, exec_lo, s13
	v_mov_b32_e32 v18, 0
	v_lshrrev_b32_e32 v177, 16, v176
	v_mov_b32_e32 v19, 0
	s_mov_b32 s10, exec_lo
	v_and_b32_e32 v6, 0xff, v177
	s_delay_alu instid0(VALU_DEP_2) | instskip(NEXT) | instid1(VALU_DEP_2)
	v_dual_mov_b32 v16, v18 :: v_dual_mov_b32 v17, v19
	v_cmpx_ne_u16_e32 0, v6
	s_cbranch_execz .LBB260_1205
; %bb.1198:                             ;   in Loop: Header=BB260_806 Depth=1
	v_bfrev_b32_e32 v16, 1
	v_mov_b32_e32 v17, 0
	s_mov_b32 s13, exec_lo
	v_cmpx_ne_u16_e32 0x80, v6
	s_cbranch_execz .LBB260_1204
; %bb.1199:                             ;   in Loop: Header=BB260_806 Depth=1
	v_mov_b32_e32 v16, 0x7f800001
	v_bfe_u32 v178, v176, 16, 7
	v_mov_b32_e32 v17, 0
	s_mov_b32 s15, exec_lo
	s_delay_alu instid0(VALU_DEP_2)
	v_cmpx_ne_u32_e32 0x7f, v178
	s_cbranch_execz .LBB260_1203
; %bb.1200:                             ;   in Loop: Header=BB260_806 Depth=1
	v_and_b32_e32 v6, 7, v177
	v_lshrrev_b32_e32 v16, 3, v178
	s_mov_b32 s16, exec_lo
	v_cmpx_gt_u32_e32 8, v178
; %bb.1201:                             ;   in Loop: Header=BB260_806 Depth=1
	s_delay_alu instid0(VALU_DEP_3) | instskip(NEXT) | instid1(VALU_DEP_1)
	v_clz_i32_u32_e32 v16, v6
	v_min_u32_e32 v16, 32, v16
	s_delay_alu instid0(VALU_DEP_1) | instskip(SKIP_1) | instid1(VALU_DEP_2)
	v_subrev_nc_u32_e32 v17, 28, v16
	v_sub_nc_u32_e32 v16, 29, v16
	v_lshlrev_b64 v[178:179], v17, v[6:7]
	s_delay_alu instid0(VALU_DEP_1)
	v_and_b32_e32 v6, 7, v178
; %bb.1202:                             ;   in Loop: Header=BB260_806 Depth=1
	s_or_b32 exec_lo, exec_lo, s16
	v_lshlrev_b32_e32 v17, 24, v177
	s_delay_alu instid0(VALU_DEP_2) | instskip(SKIP_1) | instid1(VALU_DEP_3)
	v_lshlrev_b32_e32 v6, 20, v6
	v_lshl_add_u32 v16, v16, 23, 0x3c000000
	v_and_b32_e32 v17, 0x80000000, v17
	s_delay_alu instid0(VALU_DEP_1) | instskip(NEXT) | instid1(VALU_DEP_1)
	v_or3_b32 v6, v6, v17, v16
	v_dual_mov_b32 v17, v7 :: v_dual_mov_b32 v16, v6
.LBB260_1203:                           ;   in Loop: Header=BB260_806 Depth=1
	s_or_b32 exec_lo, exec_lo, s15
.LBB260_1204:                           ;   in Loop: Header=BB260_806 Depth=1
	s_delay_alu instid0(SALU_CYCLE_1)
	s_or_b32 exec_lo, exec_lo, s13
.LBB260_1205:                           ;   in Loop: Header=BB260_806 Depth=1
	s_delay_alu instid0(SALU_CYCLE_1) | instskip(NEXT) | instid1(SALU_CYCLE_1)
	s_or_b32 exec_lo, exec_lo, s10
	s_mov_b32 s13, exec_lo
	v_cmpx_lt_u32_e32 0xffffff, v176
	s_cbranch_execz .LBB260_1213
; %bb.1206:                             ;   in Loop: Header=BB260_806 Depth=1
	v_lshrrev_b32_e32 v177, 24, v176
	v_dual_mov_b32 v19, s9 :: v_dual_mov_b32 v18, s8
	s_mov_b32 s15, exec_lo
	s_delay_alu instid0(VALU_DEP_2)
	v_cmpx_ne_u32_e32 0x80, v177
	s_cbranch_execz .LBB260_1212
; %bb.1207:                             ;   in Loop: Header=BB260_806 Depth=1
	s_mov_b32 s10, s8
	v_bfe_u32 v176, v176, 24, 7
	v_dual_mov_b32 v19, s11 :: v_dual_mov_b32 v18, s10
	s_mov_b32 s10, exec_lo
	s_delay_alu instid0(VALU_DEP_2)
	v_cmpx_ne_u32_e32 0x7f, v176
	s_cbranch_execz .LBB260_1211
; %bb.1208:                             ;   in Loop: Header=BB260_806 Depth=1
	v_and_b32_e32 v6, 7, v177
	v_lshrrev_b32_e32 v18, 3, v176
	s_mov_b32 s16, exec_lo
	v_cmpx_gt_u32_e32 8, v176
; %bb.1209:                             ;   in Loop: Header=BB260_806 Depth=1
	s_delay_alu instid0(VALU_DEP_3) | instskip(NEXT) | instid1(VALU_DEP_1)
	v_clz_i32_u32_e32 v18, v6
	v_min_u32_e32 v18, 32, v18
	s_delay_alu instid0(VALU_DEP_1) | instskip(SKIP_1) | instid1(VALU_DEP_2)
	v_subrev_nc_u32_e32 v19, 28, v18
	v_sub_nc_u32_e32 v18, 29, v18
	v_lshlrev_b64 v[178:179], v19, v[6:7]
	s_delay_alu instid0(VALU_DEP_1)
	v_and_b32_e32 v6, 7, v178
; %bb.1210:                             ;   in Loop: Header=BB260_806 Depth=1
	s_or_b32 exec_lo, exec_lo, s16
	v_lshlrev_b32_e32 v19, 24, v177
	s_delay_alu instid0(VALU_DEP_2) | instskip(SKIP_1) | instid1(VALU_DEP_3)
	v_lshlrev_b32_e32 v6, 20, v6
	v_lshl_add_u32 v18, v18, 23, 0x3c000000
	v_and_b32_e32 v19, 0x80000000, v19
	s_delay_alu instid0(VALU_DEP_1)
	v_or3_b32 v19, v6, v19, v18
	v_mov_b32_e32 v18, v7
.LBB260_1211:                           ;   in Loop: Header=BB260_806 Depth=1
	s_or_b32 exec_lo, exec_lo, s10
.LBB260_1212:                           ;   in Loop: Header=BB260_806 Depth=1
	s_delay_alu instid0(SALU_CYCLE_1)
	s_or_b32 exec_lo, exec_lo, s15
.LBB260_1213:                           ;   in Loop: Header=BB260_806 Depth=1
	s_delay_alu instid0(SALU_CYCLE_1) | instskip(SKIP_4) | instid1(VALU_DEP_4)
	s_or_b32 exec_lo, exec_lo, s13
	v_or_b32_e32 v5, v15, v5
	v_or_b32_e32 v4, v14, v4
	;; [unrolled: 1-line block ×4, first 2 shown]
	v_mul_f32_e32 v179, v20, v5
	s_delay_alu instid0(VALU_DEP_4) | instskip(NEXT) | instid1(VALU_DEP_4)
	v_mul_f32_e32 v178, v20, v4
	v_mul_f32_e32 v176, v20, v6
	s_delay_alu instid0(VALU_DEP_4)
	v_mul_f32_e32 v177, v20, v14
	s_and_saveexec_b32 s10, vcc_lo
; %bb.1214:                             ;   in Loop: Header=BB260_806 Depth=1
	v_cmp_lt_i32_e64 s0, v84, v25
	s_delay_alu instid0(VALU_DEP_1) | instskip(SKIP_1) | instid1(VALU_DEP_1)
	v_cndmask_b32_e64 v178, 0, v178, s0
	v_cmp_lt_i32_e64 s0, v87, v25
	v_cndmask_b32_e64 v179, 0, v179, s0
	v_cmp_lt_i32_e64 s0, v86, v25
	s_delay_alu instid0(VALU_DEP_1) | instskip(SKIP_1) | instid1(VALU_DEP_1)
	v_cndmask_b32_e64 v177, 0, v177, s0
	v_cmp_lt_i32_e64 s0, v85, v25
	v_cndmask_b32_e64 v176, 0, v176, s0
; %bb.1215:                             ;   in Loop: Header=BB260_806 Depth=1
	s_or_b32 exec_lo, exec_lo, s10
	flat_load_b32 v180, v[12:13] offset:1536
	v_mov_b32_e32 v14, 0
	v_mov_b32_e32 v15, 0
	s_mov_b32 s10, exec_lo
	s_waitcnt vmcnt(0) lgkmcnt(0)
	v_and_b32_e32 v6, 0xff, v180
	s_delay_alu instid0(VALU_DEP_2) | instskip(NEXT) | instid1(VALU_DEP_2)
	v_dual_mov_b32 v4, v14 :: v_dual_mov_b32 v5, v15
	v_cmpx_ne_u16_e32 0, v6
	s_cbranch_execz .LBB260_1223
; %bb.1216:                             ;   in Loop: Header=BB260_806 Depth=1
	v_bfrev_b32_e32 v4, 1
	v_mov_b32_e32 v5, 0
	s_mov_b32 s13, exec_lo
	v_cmpx_ne_u16_e32 0x80, v6
	s_cbranch_execz .LBB260_1222
; %bb.1217:                             ;   in Loop: Header=BB260_806 Depth=1
	v_mov_b32_e32 v4, 0x7f800001
	v_dual_mov_b32 v5, 0 :: v_dual_and_b32 v16, 0x7f, v180
	s_mov_b32 s15, exec_lo
	s_delay_alu instid0(VALU_DEP_1)
	v_cmpx_ne_u32_e32 0x7f, v16
	s_cbranch_execz .LBB260_1221
; %bb.1218:                             ;   in Loop: Header=BB260_806 Depth=1
	v_and_b32_e32 v6, 7, v180
	v_lshrrev_b32_e32 v4, 3, v16
	s_mov_b32 s16, exec_lo
	v_cmpx_gt_u32_e32 8, v16
; %bb.1219:                             ;   in Loop: Header=BB260_806 Depth=1
	s_delay_alu instid0(VALU_DEP_3) | instskip(NEXT) | instid1(VALU_DEP_1)
	v_clz_i32_u32_e32 v4, v6
	v_min_u32_e32 v4, 32, v4
	s_delay_alu instid0(VALU_DEP_1) | instskip(SKIP_1) | instid1(VALU_DEP_2)
	v_subrev_nc_u32_e32 v5, 28, v4
	v_sub_nc_u32_e32 v4, 29, v4
	v_lshlrev_b64 v[5:6], v5, v[6:7]
	s_delay_alu instid0(VALU_DEP_1)
	v_and_b32_e32 v6, 7, v5
; %bb.1220:                             ;   in Loop: Header=BB260_806 Depth=1
	s_or_b32 exec_lo, exec_lo, s16
	v_lshlrev_b32_e32 v5, 24, v180
	s_delay_alu instid0(VALU_DEP_2) | instskip(SKIP_1) | instid1(VALU_DEP_3)
	v_lshlrev_b32_e32 v6, 20, v6
	v_lshl_add_u32 v4, v4, 23, 0x3c000000
	v_and_b32_e32 v5, 0x80000000, v5
	s_delay_alu instid0(VALU_DEP_1) | instskip(NEXT) | instid1(VALU_DEP_1)
	v_or3_b32 v6, v6, v5, v4
	v_dual_mov_b32 v4, v6 :: v_dual_mov_b32 v5, v7
.LBB260_1221:                           ;   in Loop: Header=BB260_806 Depth=1
	s_or_b32 exec_lo, exec_lo, s15
.LBB260_1222:                           ;   in Loop: Header=BB260_806 Depth=1
	s_delay_alu instid0(SALU_CYCLE_1)
	s_or_b32 exec_lo, exec_lo, s13
.LBB260_1223:                           ;   in Loop: Header=BB260_806 Depth=1
	s_delay_alu instid0(SALU_CYCLE_1) | instskip(SKIP_2) | instid1(VALU_DEP_1)
	s_or_b32 exec_lo, exec_lo, s10
	v_lshrrev_b16 v6, 8, v180
	s_mov_b32 s13, exec_lo
	v_cmpx_ne_u16_e32 0, v6
	s_cbranch_execz .LBB260_1231
; %bb.1224:                             ;   in Loop: Header=BB260_806 Depth=1
	v_dual_mov_b32 v15, s9 :: v_dual_mov_b32 v14, s8
	s_mov_b32 s15, exec_lo
	v_cmpx_ne_u16_e32 0x80, v6
	s_cbranch_execz .LBB260_1230
; %bb.1225:                             ;   in Loop: Header=BB260_806 Depth=1
	s_mov_b32 s10, s8
	v_dual_mov_b32 v15, s11 :: v_dual_and_b32 v6, 0xffff, v6
	v_mov_b32_e32 v14, s10
	s_mov_b32 s10, exec_lo
	s_delay_alu instid0(VALU_DEP_2) | instskip(NEXT) | instid1(VALU_DEP_1)
	v_and_b32_e32 v16, 0x7f, v6
	v_cmpx_ne_u32_e32 0x7f, v16
	s_cbranch_execz .LBB260_1229
; %bb.1226:                             ;   in Loop: Header=BB260_806 Depth=1
	v_and_b32_e32 v6, 7, v6
	v_lshrrev_b32_e32 v14, 3, v16
	s_mov_b32 s16, exec_lo
	v_cmpx_gt_u32_e32 8, v16
; %bb.1227:                             ;   in Loop: Header=BB260_806 Depth=1
	s_delay_alu instid0(VALU_DEP_3) | instskip(NEXT) | instid1(VALU_DEP_1)
	v_clz_i32_u32_e32 v14, v6
	v_min_u32_e32 v14, 32, v14
	s_delay_alu instid0(VALU_DEP_1) | instskip(SKIP_1) | instid1(VALU_DEP_2)
	v_subrev_nc_u32_e32 v15, 28, v14
	v_sub_nc_u32_e32 v14, 29, v14
	v_lshlrev_b64 v[15:16], v15, v[6:7]
	s_delay_alu instid0(VALU_DEP_1)
	v_and_b32_e32 v6, 7, v15
; %bb.1228:                             ;   in Loop: Header=BB260_806 Depth=1
	s_or_b32 exec_lo, exec_lo, s16
	v_lshlrev_b32_e32 v15, 16, v180
	s_delay_alu instid0(VALU_DEP_2) | instskip(SKIP_1) | instid1(VALU_DEP_3)
	v_lshlrev_b32_e32 v6, 20, v6
	v_lshl_add_u32 v14, v14, 23, 0x3c000000
	v_and_b32_e32 v15, 0x80000000, v15
	s_delay_alu instid0(VALU_DEP_1)
	v_or3_b32 v15, v6, v15, v14
	v_mov_b32_e32 v14, v7
.LBB260_1229:                           ;   in Loop: Header=BB260_806 Depth=1
	s_or_b32 exec_lo, exec_lo, s10
.LBB260_1230:                           ;   in Loop: Header=BB260_806 Depth=1
	s_delay_alu instid0(SALU_CYCLE_1)
	s_or_b32 exec_lo, exec_lo, s15
.LBB260_1231:                           ;   in Loop: Header=BB260_806 Depth=1
	s_delay_alu instid0(SALU_CYCLE_1) | instskip(SKIP_4) | instid1(VALU_DEP_2)
	s_or_b32 exec_lo, exec_lo, s13
	v_mov_b32_e32 v18, 0
	v_lshrrev_b32_e32 v181, 16, v180
	v_mov_b32_e32 v19, 0
	s_mov_b32 s10, exec_lo
	v_and_b32_e32 v6, 0xff, v181
	s_delay_alu instid0(VALU_DEP_2) | instskip(NEXT) | instid1(VALU_DEP_2)
	v_dual_mov_b32 v16, v18 :: v_dual_mov_b32 v17, v19
	v_cmpx_ne_u16_e32 0, v6
	s_cbranch_execz .LBB260_1239
; %bb.1232:                             ;   in Loop: Header=BB260_806 Depth=1
	v_bfrev_b32_e32 v16, 1
	v_mov_b32_e32 v17, 0
	s_mov_b32 s13, exec_lo
	v_cmpx_ne_u16_e32 0x80, v6
	s_cbranch_execz .LBB260_1238
; %bb.1233:                             ;   in Loop: Header=BB260_806 Depth=1
	v_mov_b32_e32 v16, 0x7f800001
	v_bfe_u32 v182, v180, 16, 7
	v_mov_b32_e32 v17, 0
	s_mov_b32 s15, exec_lo
	s_delay_alu instid0(VALU_DEP_2)
	v_cmpx_ne_u32_e32 0x7f, v182
	s_cbranch_execz .LBB260_1237
; %bb.1234:                             ;   in Loop: Header=BB260_806 Depth=1
	v_and_b32_e32 v6, 7, v181
	v_lshrrev_b32_e32 v16, 3, v182
	s_mov_b32 s16, exec_lo
	v_cmpx_gt_u32_e32 8, v182
; %bb.1235:                             ;   in Loop: Header=BB260_806 Depth=1
	s_delay_alu instid0(VALU_DEP_3) | instskip(NEXT) | instid1(VALU_DEP_1)
	v_clz_i32_u32_e32 v16, v6
	v_min_u32_e32 v16, 32, v16
	s_delay_alu instid0(VALU_DEP_1) | instskip(SKIP_1) | instid1(VALU_DEP_2)
	v_subrev_nc_u32_e32 v17, 28, v16
	v_sub_nc_u32_e32 v16, 29, v16
	v_lshlrev_b64 v[182:183], v17, v[6:7]
	s_delay_alu instid0(VALU_DEP_1)
	v_and_b32_e32 v6, 7, v182
; %bb.1236:                             ;   in Loop: Header=BB260_806 Depth=1
	s_or_b32 exec_lo, exec_lo, s16
	v_lshlrev_b32_e32 v17, 24, v181
	s_delay_alu instid0(VALU_DEP_2) | instskip(SKIP_1) | instid1(VALU_DEP_3)
	v_lshlrev_b32_e32 v6, 20, v6
	v_lshl_add_u32 v16, v16, 23, 0x3c000000
	v_and_b32_e32 v17, 0x80000000, v17
	s_delay_alu instid0(VALU_DEP_1) | instskip(NEXT) | instid1(VALU_DEP_1)
	v_or3_b32 v6, v6, v17, v16
	v_dual_mov_b32 v17, v7 :: v_dual_mov_b32 v16, v6
.LBB260_1237:                           ;   in Loop: Header=BB260_806 Depth=1
	s_or_b32 exec_lo, exec_lo, s15
.LBB260_1238:                           ;   in Loop: Header=BB260_806 Depth=1
	s_delay_alu instid0(SALU_CYCLE_1)
	s_or_b32 exec_lo, exec_lo, s13
.LBB260_1239:                           ;   in Loop: Header=BB260_806 Depth=1
	s_delay_alu instid0(SALU_CYCLE_1) | instskip(NEXT) | instid1(SALU_CYCLE_1)
	s_or_b32 exec_lo, exec_lo, s10
	s_mov_b32 s13, exec_lo
	v_cmpx_lt_u32_e32 0xffffff, v180
	s_cbranch_execz .LBB260_1247
; %bb.1240:                             ;   in Loop: Header=BB260_806 Depth=1
	v_lshrrev_b32_e32 v181, 24, v180
	v_dual_mov_b32 v19, s9 :: v_dual_mov_b32 v18, s8
	s_mov_b32 s15, exec_lo
	s_delay_alu instid0(VALU_DEP_2)
	v_cmpx_ne_u32_e32 0x80, v181
	s_cbranch_execz .LBB260_1246
; %bb.1241:                             ;   in Loop: Header=BB260_806 Depth=1
	s_mov_b32 s10, s8
	v_bfe_u32 v180, v180, 24, 7
	v_dual_mov_b32 v19, s11 :: v_dual_mov_b32 v18, s10
	s_mov_b32 s10, exec_lo
	s_delay_alu instid0(VALU_DEP_2)
	v_cmpx_ne_u32_e32 0x7f, v180
	s_cbranch_execz .LBB260_1245
; %bb.1242:                             ;   in Loop: Header=BB260_806 Depth=1
	v_and_b32_e32 v6, 7, v181
	v_lshrrev_b32_e32 v18, 3, v180
	s_mov_b32 s16, exec_lo
	v_cmpx_gt_u32_e32 8, v180
; %bb.1243:                             ;   in Loop: Header=BB260_806 Depth=1
	s_delay_alu instid0(VALU_DEP_3) | instskip(NEXT) | instid1(VALU_DEP_1)
	v_clz_i32_u32_e32 v18, v6
	v_min_u32_e32 v18, 32, v18
	s_delay_alu instid0(VALU_DEP_1) | instskip(SKIP_1) | instid1(VALU_DEP_2)
	v_subrev_nc_u32_e32 v19, 28, v18
	v_sub_nc_u32_e32 v18, 29, v18
	v_lshlrev_b64 v[182:183], v19, v[6:7]
	s_delay_alu instid0(VALU_DEP_1)
	v_and_b32_e32 v6, 7, v182
; %bb.1244:                             ;   in Loop: Header=BB260_806 Depth=1
	s_or_b32 exec_lo, exec_lo, s16
	v_lshlrev_b32_e32 v19, 24, v181
	s_delay_alu instid0(VALU_DEP_2) | instskip(SKIP_1) | instid1(VALU_DEP_3)
	v_lshlrev_b32_e32 v6, 20, v6
	v_lshl_add_u32 v18, v18, 23, 0x3c000000
	v_and_b32_e32 v19, 0x80000000, v19
	s_delay_alu instid0(VALU_DEP_1)
	v_or3_b32 v19, v6, v19, v18
	v_mov_b32_e32 v18, v7
.LBB260_1245:                           ;   in Loop: Header=BB260_806 Depth=1
	s_or_b32 exec_lo, exec_lo, s10
.LBB260_1246:                           ;   in Loop: Header=BB260_806 Depth=1
	s_delay_alu instid0(SALU_CYCLE_1)
	s_or_b32 exec_lo, exec_lo, s15
.LBB260_1247:                           ;   in Loop: Header=BB260_806 Depth=1
	s_delay_alu instid0(SALU_CYCLE_1) | instskip(SKIP_4) | instid1(VALU_DEP_4)
	s_or_b32 exec_lo, exec_lo, s13
	v_or_b32_e32 v5, v15, v5
	v_or_b32_e32 v4, v14, v4
	;; [unrolled: 1-line block ×4, first 2 shown]
	v_mul_f32_e32 v183, v20, v5
	s_delay_alu instid0(VALU_DEP_4) | instskip(NEXT) | instid1(VALU_DEP_4)
	v_mul_f32_e32 v182, v20, v4
	v_mul_f32_e32 v180, v20, v6
	s_delay_alu instid0(VALU_DEP_4)
	v_mul_f32_e32 v181, v20, v14
	s_and_saveexec_b32 s10, vcc_lo
; %bb.1248:                             ;   in Loop: Header=BB260_806 Depth=1
	v_cmp_lt_i32_e64 s0, v84, v25
	s_delay_alu instid0(VALU_DEP_1) | instskip(SKIP_1) | instid1(VALU_DEP_1)
	v_cndmask_b32_e64 v182, 0, v182, s0
	v_cmp_lt_i32_e64 s0, v87, v25
	v_cndmask_b32_e64 v183, 0, v183, s0
	v_cmp_lt_i32_e64 s0, v86, v25
	s_delay_alu instid0(VALU_DEP_1) | instskip(SKIP_1) | instid1(VALU_DEP_1)
	v_cndmask_b32_e64 v181, 0, v181, s0
	v_cmp_lt_i32_e64 s0, v85, v25
	v_cndmask_b32_e64 v180, 0, v180, s0
; %bb.1249:                             ;   in Loop: Header=BB260_806 Depth=1
	s_or_b32 exec_lo, exec_lo, s10
	flat_load_b32 v40, v[12:13] offset:1664
	v_mov_b32_e32 v14, 0
	v_mov_b32_e32 v15, 0
	s_mov_b32 s10, exec_lo
	s_waitcnt vmcnt(0) lgkmcnt(0)
	v_and_b32_e32 v6, 0xff, v40
	s_delay_alu instid0(VALU_DEP_2) | instskip(NEXT) | instid1(VALU_DEP_2)
	v_dual_mov_b32 v4, v14 :: v_dual_mov_b32 v5, v15
	v_cmpx_ne_u16_e32 0, v6
	s_cbranch_execz .LBB260_1257
; %bb.1250:                             ;   in Loop: Header=BB260_806 Depth=1
	v_bfrev_b32_e32 v4, 1
	v_mov_b32_e32 v5, 0
	s_mov_b32 s13, exec_lo
	v_cmpx_ne_u16_e32 0x80, v6
	s_cbranch_execz .LBB260_1256
; %bb.1251:                             ;   in Loop: Header=BB260_806 Depth=1
	v_mov_b32_e32 v4, 0x7f800001
	v_dual_mov_b32 v5, 0 :: v_dual_and_b32 v16, 0x7f, v40
	s_mov_b32 s15, exec_lo
	s_delay_alu instid0(VALU_DEP_1)
	v_cmpx_ne_u32_e32 0x7f, v16
	s_cbranch_execz .LBB260_1255
; %bb.1252:                             ;   in Loop: Header=BB260_806 Depth=1
	v_and_b32_e32 v6, 7, v40
	v_lshrrev_b32_e32 v4, 3, v16
	s_mov_b32 s16, exec_lo
	v_cmpx_gt_u32_e32 8, v16
; %bb.1253:                             ;   in Loop: Header=BB260_806 Depth=1
	s_delay_alu instid0(VALU_DEP_3) | instskip(NEXT) | instid1(VALU_DEP_1)
	v_clz_i32_u32_e32 v4, v6
	v_min_u32_e32 v4, 32, v4
	s_delay_alu instid0(VALU_DEP_1) | instskip(SKIP_1) | instid1(VALU_DEP_2)
	v_subrev_nc_u32_e32 v5, 28, v4
	v_sub_nc_u32_e32 v4, 29, v4
	v_lshlrev_b64 v[5:6], v5, v[6:7]
	s_delay_alu instid0(VALU_DEP_1)
	v_and_b32_e32 v6, 7, v5
; %bb.1254:                             ;   in Loop: Header=BB260_806 Depth=1
	s_or_b32 exec_lo, exec_lo, s16
	v_lshlrev_b32_e32 v5, 24, v40
	s_delay_alu instid0(VALU_DEP_2) | instskip(SKIP_1) | instid1(VALU_DEP_3)
	v_lshlrev_b32_e32 v6, 20, v6
	v_lshl_add_u32 v4, v4, 23, 0x3c000000
	v_and_b32_e32 v5, 0x80000000, v5
	s_delay_alu instid0(VALU_DEP_1) | instskip(NEXT) | instid1(VALU_DEP_1)
	v_or3_b32 v6, v6, v5, v4
	v_dual_mov_b32 v4, v6 :: v_dual_mov_b32 v5, v7
.LBB260_1255:                           ;   in Loop: Header=BB260_806 Depth=1
	s_or_b32 exec_lo, exec_lo, s15
.LBB260_1256:                           ;   in Loop: Header=BB260_806 Depth=1
	s_delay_alu instid0(SALU_CYCLE_1)
	s_or_b32 exec_lo, exec_lo, s13
.LBB260_1257:                           ;   in Loop: Header=BB260_806 Depth=1
	s_delay_alu instid0(SALU_CYCLE_1) | instskip(SKIP_2) | instid1(VALU_DEP_1)
	s_or_b32 exec_lo, exec_lo, s10
	v_lshrrev_b16 v6, 8, v40
	s_mov_b32 s13, exec_lo
	v_cmpx_ne_u16_e32 0, v6
	s_cbranch_execz .LBB260_1265
; %bb.1258:                             ;   in Loop: Header=BB260_806 Depth=1
	v_dual_mov_b32 v15, s9 :: v_dual_mov_b32 v14, s8
	s_mov_b32 s15, exec_lo
	v_cmpx_ne_u16_e32 0x80, v6
	s_cbranch_execz .LBB260_1264
; %bb.1259:                             ;   in Loop: Header=BB260_806 Depth=1
	s_mov_b32 s10, s8
	v_dual_mov_b32 v15, s11 :: v_dual_and_b32 v6, 0xffff, v6
	v_mov_b32_e32 v14, s10
	s_mov_b32 s10, exec_lo
	s_delay_alu instid0(VALU_DEP_2) | instskip(NEXT) | instid1(VALU_DEP_1)
	v_and_b32_e32 v16, 0x7f, v6
	v_cmpx_ne_u32_e32 0x7f, v16
	s_cbranch_execz .LBB260_1263
; %bb.1260:                             ;   in Loop: Header=BB260_806 Depth=1
	v_and_b32_e32 v6, 7, v6
	v_lshrrev_b32_e32 v14, 3, v16
	s_mov_b32 s16, exec_lo
	v_cmpx_gt_u32_e32 8, v16
; %bb.1261:                             ;   in Loop: Header=BB260_806 Depth=1
	s_delay_alu instid0(VALU_DEP_3) | instskip(NEXT) | instid1(VALU_DEP_1)
	v_clz_i32_u32_e32 v14, v6
	v_min_u32_e32 v14, 32, v14
	s_delay_alu instid0(VALU_DEP_1) | instskip(SKIP_1) | instid1(VALU_DEP_2)
	v_subrev_nc_u32_e32 v15, 28, v14
	v_sub_nc_u32_e32 v14, 29, v14
	v_lshlrev_b64 v[15:16], v15, v[6:7]
	s_delay_alu instid0(VALU_DEP_1)
	v_and_b32_e32 v6, 7, v15
; %bb.1262:                             ;   in Loop: Header=BB260_806 Depth=1
	s_or_b32 exec_lo, exec_lo, s16
	v_lshlrev_b32_e32 v15, 16, v40
	s_delay_alu instid0(VALU_DEP_2) | instskip(SKIP_1) | instid1(VALU_DEP_3)
	v_lshlrev_b32_e32 v6, 20, v6
	v_lshl_add_u32 v14, v14, 23, 0x3c000000
	v_and_b32_e32 v15, 0x80000000, v15
	s_delay_alu instid0(VALU_DEP_1)
	v_or3_b32 v15, v6, v15, v14
	v_mov_b32_e32 v14, v7
.LBB260_1263:                           ;   in Loop: Header=BB260_806 Depth=1
	s_or_b32 exec_lo, exec_lo, s10
.LBB260_1264:                           ;   in Loop: Header=BB260_806 Depth=1
	s_delay_alu instid0(SALU_CYCLE_1)
	s_or_b32 exec_lo, exec_lo, s15
.LBB260_1265:                           ;   in Loop: Header=BB260_806 Depth=1
	s_delay_alu instid0(SALU_CYCLE_1) | instskip(SKIP_4) | instid1(VALU_DEP_2)
	s_or_b32 exec_lo, exec_lo, s13
	v_mov_b32_e32 v18, 0
	v_lshrrev_b32_e32 v41, 16, v40
	v_mov_b32_e32 v19, 0
	s_mov_b32 s10, exec_lo
	v_and_b32_e32 v6, 0xff, v41
	s_delay_alu instid0(VALU_DEP_2) | instskip(NEXT) | instid1(VALU_DEP_2)
	v_dual_mov_b32 v16, v18 :: v_dual_mov_b32 v17, v19
	v_cmpx_ne_u16_e32 0, v6
	s_cbranch_execz .LBB260_1273
; %bb.1266:                             ;   in Loop: Header=BB260_806 Depth=1
	v_bfrev_b32_e32 v16, 1
	v_mov_b32_e32 v17, 0
	s_mov_b32 s13, exec_lo
	v_cmpx_ne_u16_e32 0x80, v6
	s_cbranch_execz .LBB260_1272
; %bb.1267:                             ;   in Loop: Header=BB260_806 Depth=1
	v_mov_b32_e32 v16, 0x7f800001
	v_bfe_u32 v42, v40, 16, 7
	v_mov_b32_e32 v17, 0
	s_mov_b32 s15, exec_lo
	s_delay_alu instid0(VALU_DEP_2)
	v_cmpx_ne_u32_e32 0x7f, v42
	s_cbranch_execz .LBB260_1271
; %bb.1268:                             ;   in Loop: Header=BB260_806 Depth=1
	v_and_b32_e32 v6, 7, v41
	v_lshrrev_b32_e32 v16, 3, v42
	s_mov_b32 s16, exec_lo
	v_cmpx_gt_u32_e32 8, v42
; %bb.1269:                             ;   in Loop: Header=BB260_806 Depth=1
	s_delay_alu instid0(VALU_DEP_3) | instskip(NEXT) | instid1(VALU_DEP_1)
	v_clz_i32_u32_e32 v16, v6
	v_min_u32_e32 v16, 32, v16
	s_delay_alu instid0(VALU_DEP_1) | instskip(SKIP_1) | instid1(VALU_DEP_2)
	v_subrev_nc_u32_e32 v17, 28, v16
	v_sub_nc_u32_e32 v16, 29, v16
	v_lshlrev_b64 v[42:43], v17, v[6:7]
	s_delay_alu instid0(VALU_DEP_1)
	v_and_b32_e32 v6, 7, v42
; %bb.1270:                             ;   in Loop: Header=BB260_806 Depth=1
	s_or_b32 exec_lo, exec_lo, s16
	v_lshlrev_b32_e32 v17, 24, v41
	s_delay_alu instid0(VALU_DEP_2) | instskip(SKIP_1) | instid1(VALU_DEP_3)
	v_lshlrev_b32_e32 v6, 20, v6
	v_lshl_add_u32 v16, v16, 23, 0x3c000000
	v_and_b32_e32 v17, 0x80000000, v17
	s_delay_alu instid0(VALU_DEP_1) | instskip(NEXT) | instid1(VALU_DEP_1)
	v_or3_b32 v6, v6, v17, v16
	v_dual_mov_b32 v17, v7 :: v_dual_mov_b32 v16, v6
.LBB260_1271:                           ;   in Loop: Header=BB260_806 Depth=1
	s_or_b32 exec_lo, exec_lo, s15
.LBB260_1272:                           ;   in Loop: Header=BB260_806 Depth=1
	s_delay_alu instid0(SALU_CYCLE_1)
	s_or_b32 exec_lo, exec_lo, s13
.LBB260_1273:                           ;   in Loop: Header=BB260_806 Depth=1
	s_delay_alu instid0(SALU_CYCLE_1) | instskip(NEXT) | instid1(SALU_CYCLE_1)
	s_or_b32 exec_lo, exec_lo, s10
	s_mov_b32 s13, exec_lo
	v_cmpx_lt_u32_e32 0xffffff, v40
	s_cbranch_execz .LBB260_1281
; %bb.1274:                             ;   in Loop: Header=BB260_806 Depth=1
	v_lshrrev_b32_e32 v41, 24, v40
	v_dual_mov_b32 v19, s9 :: v_dual_mov_b32 v18, s8
	s_mov_b32 s15, exec_lo
	s_delay_alu instid0(VALU_DEP_2)
	v_cmpx_ne_u32_e32 0x80, v41
	s_cbranch_execz .LBB260_1280
; %bb.1275:                             ;   in Loop: Header=BB260_806 Depth=1
	s_mov_b32 s10, s8
	v_bfe_u32 v40, v40, 24, 7
	v_dual_mov_b32 v19, s11 :: v_dual_mov_b32 v18, s10
	s_mov_b32 s10, exec_lo
	s_delay_alu instid0(VALU_DEP_2)
	v_cmpx_ne_u32_e32 0x7f, v40
	s_cbranch_execz .LBB260_1279
; %bb.1276:                             ;   in Loop: Header=BB260_806 Depth=1
	v_and_b32_e32 v6, 7, v41
	v_lshrrev_b32_e32 v18, 3, v40
	s_mov_b32 s16, exec_lo
	v_cmpx_gt_u32_e32 8, v40
; %bb.1277:                             ;   in Loop: Header=BB260_806 Depth=1
	s_delay_alu instid0(VALU_DEP_3) | instskip(NEXT) | instid1(VALU_DEP_1)
	v_clz_i32_u32_e32 v18, v6
	v_min_u32_e32 v18, 32, v18
	s_delay_alu instid0(VALU_DEP_1) | instskip(SKIP_1) | instid1(VALU_DEP_2)
	v_subrev_nc_u32_e32 v19, 28, v18
	v_sub_nc_u32_e32 v18, 29, v18
	v_lshlrev_b64 v[42:43], v19, v[6:7]
	s_delay_alu instid0(VALU_DEP_1)
	v_and_b32_e32 v6, 7, v42
; %bb.1278:                             ;   in Loop: Header=BB260_806 Depth=1
	s_or_b32 exec_lo, exec_lo, s16
	v_lshlrev_b32_e32 v19, 24, v41
	s_delay_alu instid0(VALU_DEP_2) | instskip(SKIP_1) | instid1(VALU_DEP_3)
	v_lshlrev_b32_e32 v6, 20, v6
	v_lshl_add_u32 v18, v18, 23, 0x3c000000
	v_and_b32_e32 v19, 0x80000000, v19
	s_delay_alu instid0(VALU_DEP_1)
	v_or3_b32 v19, v6, v19, v18
	v_mov_b32_e32 v18, v7
.LBB260_1279:                           ;   in Loop: Header=BB260_806 Depth=1
	s_or_b32 exec_lo, exec_lo, s10
.LBB260_1280:                           ;   in Loop: Header=BB260_806 Depth=1
	s_delay_alu instid0(SALU_CYCLE_1)
	s_or_b32 exec_lo, exec_lo, s15
.LBB260_1281:                           ;   in Loop: Header=BB260_806 Depth=1
	s_delay_alu instid0(SALU_CYCLE_1) | instskip(SKIP_4) | instid1(VALU_DEP_4)
	s_or_b32 exec_lo, exec_lo, s13
	v_or_b32_e32 v5, v15, v5
	v_or_b32_e32 v4, v14, v4
	;; [unrolled: 1-line block ×4, first 2 shown]
	v_mul_f32_e32 v43, v20, v5
	s_delay_alu instid0(VALU_DEP_4) | instskip(NEXT) | instid1(VALU_DEP_4)
	v_mul_f32_e32 v42, v20, v4
	v_mul_f32_e32 v40, v20, v6
	s_delay_alu instid0(VALU_DEP_4)
	v_mul_f32_e32 v41, v20, v14
	s_and_saveexec_b32 s10, vcc_lo
; %bb.1282:                             ;   in Loop: Header=BB260_806 Depth=1
	v_cmp_lt_i32_e64 s0, v84, v25
	s_delay_alu instid0(VALU_DEP_1) | instskip(SKIP_1) | instid1(VALU_DEP_1)
	v_cndmask_b32_e64 v42, 0, v42, s0
	v_cmp_lt_i32_e64 s0, v87, v25
	v_cndmask_b32_e64 v43, 0, v43, s0
	v_cmp_lt_i32_e64 s0, v86, v25
	s_delay_alu instid0(VALU_DEP_1) | instskip(SKIP_1) | instid1(VALU_DEP_1)
	v_cndmask_b32_e64 v41, 0, v41, s0
	v_cmp_lt_i32_e64 s0, v85, v25
	v_cndmask_b32_e64 v40, 0, v40, s0
; %bb.1283:                             ;   in Loop: Header=BB260_806 Depth=1
	s_or_b32 exec_lo, exec_lo, s10
	flat_load_b32 v44, v[12:13] offset:1792
	v_mov_b32_e32 v14, 0
	v_mov_b32_e32 v15, 0
	s_mov_b32 s10, exec_lo
	s_waitcnt vmcnt(0) lgkmcnt(0)
	v_and_b32_e32 v6, 0xff, v44
	s_delay_alu instid0(VALU_DEP_2) | instskip(NEXT) | instid1(VALU_DEP_2)
	v_dual_mov_b32 v4, v14 :: v_dual_mov_b32 v5, v15
	v_cmpx_ne_u16_e32 0, v6
	s_cbranch_execz .LBB260_1291
; %bb.1284:                             ;   in Loop: Header=BB260_806 Depth=1
	v_bfrev_b32_e32 v4, 1
	v_mov_b32_e32 v5, 0
	s_mov_b32 s13, exec_lo
	v_cmpx_ne_u16_e32 0x80, v6
	s_cbranch_execz .LBB260_1290
; %bb.1285:                             ;   in Loop: Header=BB260_806 Depth=1
	v_mov_b32_e32 v4, 0x7f800001
	v_dual_mov_b32 v5, 0 :: v_dual_and_b32 v16, 0x7f, v44
	s_mov_b32 s15, exec_lo
	s_delay_alu instid0(VALU_DEP_1)
	v_cmpx_ne_u32_e32 0x7f, v16
	s_cbranch_execz .LBB260_1289
; %bb.1286:                             ;   in Loop: Header=BB260_806 Depth=1
	v_and_b32_e32 v6, 7, v44
	v_lshrrev_b32_e32 v4, 3, v16
	s_mov_b32 s16, exec_lo
	v_cmpx_gt_u32_e32 8, v16
; %bb.1287:                             ;   in Loop: Header=BB260_806 Depth=1
	s_delay_alu instid0(VALU_DEP_3) | instskip(NEXT) | instid1(VALU_DEP_1)
	v_clz_i32_u32_e32 v4, v6
	v_min_u32_e32 v4, 32, v4
	s_delay_alu instid0(VALU_DEP_1) | instskip(SKIP_1) | instid1(VALU_DEP_2)
	v_subrev_nc_u32_e32 v5, 28, v4
	v_sub_nc_u32_e32 v4, 29, v4
	v_lshlrev_b64 v[5:6], v5, v[6:7]
	s_delay_alu instid0(VALU_DEP_1)
	v_and_b32_e32 v6, 7, v5
; %bb.1288:                             ;   in Loop: Header=BB260_806 Depth=1
	s_or_b32 exec_lo, exec_lo, s16
	v_lshlrev_b32_e32 v5, 24, v44
	s_delay_alu instid0(VALU_DEP_2) | instskip(SKIP_1) | instid1(VALU_DEP_3)
	v_lshlrev_b32_e32 v6, 20, v6
	v_lshl_add_u32 v4, v4, 23, 0x3c000000
	v_and_b32_e32 v5, 0x80000000, v5
	s_delay_alu instid0(VALU_DEP_1) | instskip(NEXT) | instid1(VALU_DEP_1)
	v_or3_b32 v6, v6, v5, v4
	v_dual_mov_b32 v4, v6 :: v_dual_mov_b32 v5, v7
.LBB260_1289:                           ;   in Loop: Header=BB260_806 Depth=1
	s_or_b32 exec_lo, exec_lo, s15
.LBB260_1290:                           ;   in Loop: Header=BB260_806 Depth=1
	s_delay_alu instid0(SALU_CYCLE_1)
	s_or_b32 exec_lo, exec_lo, s13
.LBB260_1291:                           ;   in Loop: Header=BB260_806 Depth=1
	s_delay_alu instid0(SALU_CYCLE_1) | instskip(SKIP_2) | instid1(VALU_DEP_1)
	s_or_b32 exec_lo, exec_lo, s10
	v_lshrrev_b16 v6, 8, v44
	s_mov_b32 s13, exec_lo
	v_cmpx_ne_u16_e32 0, v6
	s_cbranch_execz .LBB260_1299
; %bb.1292:                             ;   in Loop: Header=BB260_806 Depth=1
	v_dual_mov_b32 v15, s9 :: v_dual_mov_b32 v14, s8
	s_mov_b32 s15, exec_lo
	v_cmpx_ne_u16_e32 0x80, v6
	s_cbranch_execz .LBB260_1298
; %bb.1293:                             ;   in Loop: Header=BB260_806 Depth=1
	s_mov_b32 s10, s8
	v_dual_mov_b32 v15, s11 :: v_dual_and_b32 v6, 0xffff, v6
	v_mov_b32_e32 v14, s10
	s_mov_b32 s10, exec_lo
	s_delay_alu instid0(VALU_DEP_2) | instskip(NEXT) | instid1(VALU_DEP_1)
	v_and_b32_e32 v16, 0x7f, v6
	v_cmpx_ne_u32_e32 0x7f, v16
	s_cbranch_execz .LBB260_1297
; %bb.1294:                             ;   in Loop: Header=BB260_806 Depth=1
	v_and_b32_e32 v6, 7, v6
	v_lshrrev_b32_e32 v14, 3, v16
	s_mov_b32 s16, exec_lo
	v_cmpx_gt_u32_e32 8, v16
; %bb.1295:                             ;   in Loop: Header=BB260_806 Depth=1
	s_delay_alu instid0(VALU_DEP_3) | instskip(NEXT) | instid1(VALU_DEP_1)
	v_clz_i32_u32_e32 v14, v6
	v_min_u32_e32 v14, 32, v14
	s_delay_alu instid0(VALU_DEP_1) | instskip(SKIP_1) | instid1(VALU_DEP_2)
	v_subrev_nc_u32_e32 v15, 28, v14
	v_sub_nc_u32_e32 v14, 29, v14
	v_lshlrev_b64 v[15:16], v15, v[6:7]
	s_delay_alu instid0(VALU_DEP_1)
	v_and_b32_e32 v6, 7, v15
; %bb.1296:                             ;   in Loop: Header=BB260_806 Depth=1
	s_or_b32 exec_lo, exec_lo, s16
	v_lshlrev_b32_e32 v15, 16, v44
	s_delay_alu instid0(VALU_DEP_2) | instskip(SKIP_1) | instid1(VALU_DEP_3)
	v_lshlrev_b32_e32 v6, 20, v6
	v_lshl_add_u32 v14, v14, 23, 0x3c000000
	v_and_b32_e32 v15, 0x80000000, v15
	s_delay_alu instid0(VALU_DEP_1)
	v_or3_b32 v15, v6, v15, v14
	v_mov_b32_e32 v14, v7
.LBB260_1297:                           ;   in Loop: Header=BB260_806 Depth=1
	s_or_b32 exec_lo, exec_lo, s10
.LBB260_1298:                           ;   in Loop: Header=BB260_806 Depth=1
	s_delay_alu instid0(SALU_CYCLE_1)
	s_or_b32 exec_lo, exec_lo, s15
.LBB260_1299:                           ;   in Loop: Header=BB260_806 Depth=1
	s_delay_alu instid0(SALU_CYCLE_1) | instskip(SKIP_4) | instid1(VALU_DEP_2)
	s_or_b32 exec_lo, exec_lo, s13
	v_mov_b32_e32 v18, 0
	v_lshrrev_b32_e32 v45, 16, v44
	v_mov_b32_e32 v19, 0
	s_mov_b32 s10, exec_lo
	v_and_b32_e32 v6, 0xff, v45
	s_delay_alu instid0(VALU_DEP_2) | instskip(NEXT) | instid1(VALU_DEP_2)
	v_dual_mov_b32 v16, v18 :: v_dual_mov_b32 v17, v19
	v_cmpx_ne_u16_e32 0, v6
	s_cbranch_execz .LBB260_1307
; %bb.1300:                             ;   in Loop: Header=BB260_806 Depth=1
	v_bfrev_b32_e32 v16, 1
	v_mov_b32_e32 v17, 0
	s_mov_b32 s13, exec_lo
	v_cmpx_ne_u16_e32 0x80, v6
	s_cbranch_execz .LBB260_1306
; %bb.1301:                             ;   in Loop: Header=BB260_806 Depth=1
	v_mov_b32_e32 v16, 0x7f800001
	v_bfe_u32 v46, v44, 16, 7
	v_mov_b32_e32 v17, 0
	s_mov_b32 s15, exec_lo
	s_delay_alu instid0(VALU_DEP_2)
	v_cmpx_ne_u32_e32 0x7f, v46
	s_cbranch_execz .LBB260_1305
; %bb.1302:                             ;   in Loop: Header=BB260_806 Depth=1
	v_and_b32_e32 v6, 7, v45
	v_lshrrev_b32_e32 v16, 3, v46
	s_mov_b32 s16, exec_lo
	v_cmpx_gt_u32_e32 8, v46
; %bb.1303:                             ;   in Loop: Header=BB260_806 Depth=1
	s_delay_alu instid0(VALU_DEP_3) | instskip(NEXT) | instid1(VALU_DEP_1)
	v_clz_i32_u32_e32 v16, v6
	v_min_u32_e32 v16, 32, v16
	s_delay_alu instid0(VALU_DEP_1) | instskip(SKIP_1) | instid1(VALU_DEP_2)
	v_subrev_nc_u32_e32 v17, 28, v16
	v_sub_nc_u32_e32 v16, 29, v16
	v_lshlrev_b64 v[46:47], v17, v[6:7]
	s_delay_alu instid0(VALU_DEP_1)
	v_and_b32_e32 v6, 7, v46
; %bb.1304:                             ;   in Loop: Header=BB260_806 Depth=1
	s_or_b32 exec_lo, exec_lo, s16
	v_lshlrev_b32_e32 v17, 24, v45
	s_delay_alu instid0(VALU_DEP_2) | instskip(SKIP_1) | instid1(VALU_DEP_3)
	v_lshlrev_b32_e32 v6, 20, v6
	v_lshl_add_u32 v16, v16, 23, 0x3c000000
	v_and_b32_e32 v17, 0x80000000, v17
	s_delay_alu instid0(VALU_DEP_1) | instskip(NEXT) | instid1(VALU_DEP_1)
	v_or3_b32 v6, v6, v17, v16
	v_dual_mov_b32 v17, v7 :: v_dual_mov_b32 v16, v6
.LBB260_1305:                           ;   in Loop: Header=BB260_806 Depth=1
	s_or_b32 exec_lo, exec_lo, s15
.LBB260_1306:                           ;   in Loop: Header=BB260_806 Depth=1
	s_delay_alu instid0(SALU_CYCLE_1)
	s_or_b32 exec_lo, exec_lo, s13
.LBB260_1307:                           ;   in Loop: Header=BB260_806 Depth=1
	s_delay_alu instid0(SALU_CYCLE_1) | instskip(NEXT) | instid1(SALU_CYCLE_1)
	s_or_b32 exec_lo, exec_lo, s10
	s_mov_b32 s13, exec_lo
	v_cmpx_lt_u32_e32 0xffffff, v44
	s_cbranch_execz .LBB260_1315
; %bb.1308:                             ;   in Loop: Header=BB260_806 Depth=1
	v_lshrrev_b32_e32 v45, 24, v44
	v_dual_mov_b32 v19, s9 :: v_dual_mov_b32 v18, s8
	s_mov_b32 s15, exec_lo
	s_delay_alu instid0(VALU_DEP_2)
	v_cmpx_ne_u32_e32 0x80, v45
	s_cbranch_execz .LBB260_1314
; %bb.1309:                             ;   in Loop: Header=BB260_806 Depth=1
	s_mov_b32 s10, s8
	v_bfe_u32 v44, v44, 24, 7
	v_dual_mov_b32 v19, s11 :: v_dual_mov_b32 v18, s10
	s_mov_b32 s10, exec_lo
	s_delay_alu instid0(VALU_DEP_2)
	v_cmpx_ne_u32_e32 0x7f, v44
	s_cbranch_execz .LBB260_1313
; %bb.1310:                             ;   in Loop: Header=BB260_806 Depth=1
	v_and_b32_e32 v6, 7, v45
	v_lshrrev_b32_e32 v18, 3, v44
	s_mov_b32 s16, exec_lo
	v_cmpx_gt_u32_e32 8, v44
; %bb.1311:                             ;   in Loop: Header=BB260_806 Depth=1
	s_delay_alu instid0(VALU_DEP_3) | instskip(NEXT) | instid1(VALU_DEP_1)
	v_clz_i32_u32_e32 v18, v6
	v_min_u32_e32 v18, 32, v18
	s_delay_alu instid0(VALU_DEP_1) | instskip(SKIP_1) | instid1(VALU_DEP_2)
	v_subrev_nc_u32_e32 v19, 28, v18
	v_sub_nc_u32_e32 v18, 29, v18
	v_lshlrev_b64 v[46:47], v19, v[6:7]
	s_delay_alu instid0(VALU_DEP_1)
	v_and_b32_e32 v6, 7, v46
; %bb.1312:                             ;   in Loop: Header=BB260_806 Depth=1
	s_or_b32 exec_lo, exec_lo, s16
	v_lshlrev_b32_e32 v19, 24, v45
	s_delay_alu instid0(VALU_DEP_2) | instskip(SKIP_1) | instid1(VALU_DEP_3)
	v_lshlrev_b32_e32 v6, 20, v6
	v_lshl_add_u32 v18, v18, 23, 0x3c000000
	v_and_b32_e32 v19, 0x80000000, v19
	s_delay_alu instid0(VALU_DEP_1)
	v_or3_b32 v19, v6, v19, v18
	v_mov_b32_e32 v18, v7
.LBB260_1313:                           ;   in Loop: Header=BB260_806 Depth=1
	s_or_b32 exec_lo, exec_lo, s10
.LBB260_1314:                           ;   in Loop: Header=BB260_806 Depth=1
	s_delay_alu instid0(SALU_CYCLE_1)
	s_or_b32 exec_lo, exec_lo, s15
.LBB260_1315:                           ;   in Loop: Header=BB260_806 Depth=1
	s_delay_alu instid0(SALU_CYCLE_1) | instskip(SKIP_4) | instid1(VALU_DEP_4)
	s_or_b32 exec_lo, exec_lo, s13
	v_or_b32_e32 v5, v15, v5
	v_or_b32_e32 v4, v14, v4
	;; [unrolled: 1-line block ×4, first 2 shown]
	v_mul_f32_e32 v47, v20, v5
	s_delay_alu instid0(VALU_DEP_4) | instskip(NEXT) | instid1(VALU_DEP_4)
	v_mul_f32_e32 v46, v20, v4
	v_mul_f32_e32 v44, v20, v6
	s_delay_alu instid0(VALU_DEP_4)
	v_mul_f32_e32 v45, v20, v14
	s_and_saveexec_b32 s10, vcc_lo
; %bb.1316:                             ;   in Loop: Header=BB260_806 Depth=1
	v_cmp_lt_i32_e64 s0, v84, v25
	s_delay_alu instid0(VALU_DEP_1) | instskip(SKIP_1) | instid1(VALU_DEP_1)
	v_cndmask_b32_e64 v46, 0, v46, s0
	v_cmp_lt_i32_e64 s0, v87, v25
	v_cndmask_b32_e64 v47, 0, v47, s0
	v_cmp_lt_i32_e64 s0, v86, v25
	s_delay_alu instid0(VALU_DEP_1) | instskip(SKIP_1) | instid1(VALU_DEP_1)
	v_cndmask_b32_e64 v45, 0, v45, s0
	v_cmp_lt_i32_e64 s0, v85, v25
	v_cndmask_b32_e64 v44, 0, v44, s0
; %bb.1317:                             ;   in Loop: Header=BB260_806 Depth=1
	s_or_b32 exec_lo, exec_lo, s10
	flat_load_b32 v57, v[12:13] offset:1920
	v_mov_b32_e32 v14, 0
	v_mov_b32_e32 v15, 0
	s_mov_b32 s10, exec_lo
	s_waitcnt vmcnt(0) lgkmcnt(0)
	v_and_b32_e32 v6, 0xff, v57
	s_delay_alu instid0(VALU_DEP_2) | instskip(NEXT) | instid1(VALU_DEP_2)
	v_dual_mov_b32 v4, v14 :: v_dual_mov_b32 v5, v15
	v_cmpx_ne_u16_e32 0, v6
	s_cbranch_execz .LBB260_1325
; %bb.1318:                             ;   in Loop: Header=BB260_806 Depth=1
	v_bfrev_b32_e32 v4, 1
	v_mov_b32_e32 v5, 0
	s_mov_b32 s13, exec_lo
	v_cmpx_ne_u16_e32 0x80, v6
	s_cbranch_execz .LBB260_1324
; %bb.1319:                             ;   in Loop: Header=BB260_806 Depth=1
	v_mov_b32_e32 v4, 0x7f800001
	v_dual_mov_b32 v5, 0 :: v_dual_and_b32 v16, 0x7f, v57
	s_mov_b32 s15, exec_lo
	s_delay_alu instid0(VALU_DEP_1)
	v_cmpx_ne_u32_e32 0x7f, v16
	s_cbranch_execz .LBB260_1323
; %bb.1320:                             ;   in Loop: Header=BB260_806 Depth=1
	v_and_b32_e32 v6, 7, v57
	v_lshrrev_b32_e32 v4, 3, v16
	s_mov_b32 s16, exec_lo
	v_cmpx_gt_u32_e32 8, v16
; %bb.1321:                             ;   in Loop: Header=BB260_806 Depth=1
	s_delay_alu instid0(VALU_DEP_3) | instskip(NEXT) | instid1(VALU_DEP_1)
	v_clz_i32_u32_e32 v4, v6
	v_min_u32_e32 v4, 32, v4
	s_delay_alu instid0(VALU_DEP_1) | instskip(SKIP_1) | instid1(VALU_DEP_2)
	v_subrev_nc_u32_e32 v5, 28, v4
	v_sub_nc_u32_e32 v4, 29, v4
	v_lshlrev_b64 v[5:6], v5, v[6:7]
	s_delay_alu instid0(VALU_DEP_1)
	v_and_b32_e32 v6, 7, v5
; %bb.1322:                             ;   in Loop: Header=BB260_806 Depth=1
	s_or_b32 exec_lo, exec_lo, s16
	v_lshlrev_b32_e32 v5, 24, v57
	s_delay_alu instid0(VALU_DEP_2) | instskip(SKIP_1) | instid1(VALU_DEP_3)
	v_lshlrev_b32_e32 v6, 20, v6
	v_lshl_add_u32 v4, v4, 23, 0x3c000000
	v_and_b32_e32 v5, 0x80000000, v5
	s_delay_alu instid0(VALU_DEP_1) | instskip(NEXT) | instid1(VALU_DEP_1)
	v_or3_b32 v6, v6, v5, v4
	v_dual_mov_b32 v4, v6 :: v_dual_mov_b32 v5, v7
.LBB260_1323:                           ;   in Loop: Header=BB260_806 Depth=1
	s_or_b32 exec_lo, exec_lo, s15
.LBB260_1324:                           ;   in Loop: Header=BB260_806 Depth=1
	s_delay_alu instid0(SALU_CYCLE_1)
	s_or_b32 exec_lo, exec_lo, s13
.LBB260_1325:                           ;   in Loop: Header=BB260_806 Depth=1
	s_delay_alu instid0(SALU_CYCLE_1) | instskip(SKIP_2) | instid1(VALU_DEP_1)
	s_or_b32 exec_lo, exec_lo, s10
	v_lshrrev_b16 v6, 8, v57
	s_mov_b32 s13, exec_lo
	v_cmpx_ne_u16_e32 0, v6
	s_cbranch_execz .LBB260_1333
; %bb.1326:                             ;   in Loop: Header=BB260_806 Depth=1
	v_dual_mov_b32 v15, s9 :: v_dual_mov_b32 v14, s8
	s_mov_b32 s15, exec_lo
	v_cmpx_ne_u16_e32 0x80, v6
	s_cbranch_execz .LBB260_1332
; %bb.1327:                             ;   in Loop: Header=BB260_806 Depth=1
	s_mov_b32 s10, s8
	v_dual_mov_b32 v15, s11 :: v_dual_and_b32 v6, 0xffff, v6
	v_mov_b32_e32 v14, s10
	s_mov_b32 s10, exec_lo
	s_delay_alu instid0(VALU_DEP_2) | instskip(NEXT) | instid1(VALU_DEP_1)
	v_and_b32_e32 v16, 0x7f, v6
	v_cmpx_ne_u32_e32 0x7f, v16
	s_cbranch_execz .LBB260_1331
; %bb.1328:                             ;   in Loop: Header=BB260_806 Depth=1
	v_and_b32_e32 v6, 7, v6
	v_lshrrev_b32_e32 v14, 3, v16
	s_mov_b32 s16, exec_lo
	v_cmpx_gt_u32_e32 8, v16
; %bb.1329:                             ;   in Loop: Header=BB260_806 Depth=1
	s_delay_alu instid0(VALU_DEP_3) | instskip(NEXT) | instid1(VALU_DEP_1)
	v_clz_i32_u32_e32 v14, v6
	v_min_u32_e32 v14, 32, v14
	s_delay_alu instid0(VALU_DEP_1) | instskip(SKIP_1) | instid1(VALU_DEP_2)
	v_subrev_nc_u32_e32 v15, 28, v14
	v_sub_nc_u32_e32 v14, 29, v14
	v_lshlrev_b64 v[15:16], v15, v[6:7]
	s_delay_alu instid0(VALU_DEP_1)
	v_and_b32_e32 v6, 7, v15
; %bb.1330:                             ;   in Loop: Header=BB260_806 Depth=1
	s_or_b32 exec_lo, exec_lo, s16
	v_lshlrev_b32_e32 v15, 16, v57
	s_delay_alu instid0(VALU_DEP_2) | instskip(SKIP_1) | instid1(VALU_DEP_3)
	v_lshlrev_b32_e32 v6, 20, v6
	v_lshl_add_u32 v14, v14, 23, 0x3c000000
	v_and_b32_e32 v15, 0x80000000, v15
	s_delay_alu instid0(VALU_DEP_1)
	v_or3_b32 v15, v6, v15, v14
	v_mov_b32_e32 v14, v7
.LBB260_1331:                           ;   in Loop: Header=BB260_806 Depth=1
	s_or_b32 exec_lo, exec_lo, s10
.LBB260_1332:                           ;   in Loop: Header=BB260_806 Depth=1
	s_delay_alu instid0(SALU_CYCLE_1)
	s_or_b32 exec_lo, exec_lo, s15
.LBB260_1333:                           ;   in Loop: Header=BB260_806 Depth=1
	s_delay_alu instid0(SALU_CYCLE_1) | instskip(SKIP_4) | instid1(VALU_DEP_2)
	s_or_b32 exec_lo, exec_lo, s13
	v_mov_b32_e32 v18, 0
	v_lshrrev_b32_e32 v58, 16, v57
	v_mov_b32_e32 v19, 0
	s_mov_b32 s10, exec_lo
	v_and_b32_e32 v6, 0xff, v58
	s_delay_alu instid0(VALU_DEP_2) | instskip(NEXT) | instid1(VALU_DEP_2)
	v_dual_mov_b32 v16, v18 :: v_dual_mov_b32 v17, v19
	v_cmpx_ne_u16_e32 0, v6
	s_cbranch_execz .LBB260_1341
; %bb.1334:                             ;   in Loop: Header=BB260_806 Depth=1
	v_bfrev_b32_e32 v16, 1
	v_mov_b32_e32 v17, 0
	s_mov_b32 s13, exec_lo
	v_cmpx_ne_u16_e32 0x80, v6
	s_cbranch_execz .LBB260_1340
; %bb.1335:                             ;   in Loop: Header=BB260_806 Depth=1
	v_mov_b32_e32 v16, 0x7f800001
	v_bfe_u32 v59, v57, 16, 7
	v_mov_b32_e32 v17, 0
	s_mov_b32 s15, exec_lo
	s_delay_alu instid0(VALU_DEP_2)
	v_cmpx_ne_u32_e32 0x7f, v59
	s_cbranch_execz .LBB260_1339
; %bb.1336:                             ;   in Loop: Header=BB260_806 Depth=1
	v_and_b32_e32 v6, 7, v58
	v_lshrrev_b32_e32 v16, 3, v59
	s_mov_b32 s16, exec_lo
	v_cmpx_gt_u32_e32 8, v59
; %bb.1337:                             ;   in Loop: Header=BB260_806 Depth=1
	s_delay_alu instid0(VALU_DEP_3) | instskip(NEXT) | instid1(VALU_DEP_1)
	v_clz_i32_u32_e32 v16, v6
	v_min_u32_e32 v16, 32, v16
	s_delay_alu instid0(VALU_DEP_1) | instskip(SKIP_1) | instid1(VALU_DEP_2)
	v_subrev_nc_u32_e32 v17, 28, v16
	v_sub_nc_u32_e32 v16, 29, v16
	v_lshlrev_b64 v[59:60], v17, v[6:7]
	s_delay_alu instid0(VALU_DEP_1)
	v_and_b32_e32 v6, 7, v59
; %bb.1338:                             ;   in Loop: Header=BB260_806 Depth=1
	s_or_b32 exec_lo, exec_lo, s16
	v_lshlrev_b32_e32 v17, 24, v58
	s_delay_alu instid0(VALU_DEP_2) | instskip(SKIP_1) | instid1(VALU_DEP_3)
	v_lshlrev_b32_e32 v6, 20, v6
	v_lshl_add_u32 v16, v16, 23, 0x3c000000
	v_and_b32_e32 v17, 0x80000000, v17
	s_delay_alu instid0(VALU_DEP_1) | instskip(NEXT) | instid1(VALU_DEP_1)
	v_or3_b32 v6, v6, v17, v16
	v_dual_mov_b32 v17, v7 :: v_dual_mov_b32 v16, v6
.LBB260_1339:                           ;   in Loop: Header=BB260_806 Depth=1
	s_or_b32 exec_lo, exec_lo, s15
.LBB260_1340:                           ;   in Loop: Header=BB260_806 Depth=1
	s_delay_alu instid0(SALU_CYCLE_1)
	s_or_b32 exec_lo, exec_lo, s13
.LBB260_1341:                           ;   in Loop: Header=BB260_806 Depth=1
	s_delay_alu instid0(SALU_CYCLE_1) | instskip(NEXT) | instid1(SALU_CYCLE_1)
	s_or_b32 exec_lo, exec_lo, s10
	s_mov_b32 s13, exec_lo
	v_cmpx_lt_u32_e32 0xffffff, v57
	s_cbranch_execz .LBB260_1349
; %bb.1342:                             ;   in Loop: Header=BB260_806 Depth=1
	v_lshrrev_b32_e32 v58, 24, v57
	v_dual_mov_b32 v19, s9 :: v_dual_mov_b32 v18, s8
	s_mov_b32 s15, exec_lo
	s_delay_alu instid0(VALU_DEP_2)
	v_cmpx_ne_u32_e32 0x80, v58
	s_cbranch_execz .LBB260_1348
; %bb.1343:                             ;   in Loop: Header=BB260_806 Depth=1
	s_mov_b32 s10, s8
	v_bfe_u32 v57, v57, 24, 7
	v_dual_mov_b32 v19, s11 :: v_dual_mov_b32 v18, s10
	s_mov_b32 s10, exec_lo
	s_delay_alu instid0(VALU_DEP_2)
	v_cmpx_ne_u32_e32 0x7f, v57
	s_cbranch_execz .LBB260_1347
; %bb.1344:                             ;   in Loop: Header=BB260_806 Depth=1
	v_and_b32_e32 v6, 7, v58
	v_lshrrev_b32_e32 v18, 3, v57
	s_mov_b32 s16, exec_lo
	v_cmpx_gt_u32_e32 8, v57
; %bb.1345:                             ;   in Loop: Header=BB260_806 Depth=1
	s_delay_alu instid0(VALU_DEP_3) | instskip(NEXT) | instid1(VALU_DEP_1)
	v_clz_i32_u32_e32 v18, v6
	v_min_u32_e32 v18, 32, v18
	s_delay_alu instid0(VALU_DEP_1) | instskip(SKIP_1) | instid1(VALU_DEP_2)
	v_subrev_nc_u32_e32 v19, 28, v18
	v_sub_nc_u32_e32 v18, 29, v18
	v_lshlrev_b64 v[59:60], v19, v[6:7]
	s_delay_alu instid0(VALU_DEP_1)
	v_and_b32_e32 v6, 7, v59
; %bb.1346:                             ;   in Loop: Header=BB260_806 Depth=1
	s_or_b32 exec_lo, exec_lo, s16
	v_lshlrev_b32_e32 v19, 24, v58
	s_delay_alu instid0(VALU_DEP_2) | instskip(SKIP_1) | instid1(VALU_DEP_3)
	v_lshlrev_b32_e32 v6, 20, v6
	v_lshl_add_u32 v18, v18, 23, 0x3c000000
	v_and_b32_e32 v19, 0x80000000, v19
	s_delay_alu instid0(VALU_DEP_1)
	v_or3_b32 v19, v6, v19, v18
	v_mov_b32_e32 v18, v7
.LBB260_1347:                           ;   in Loop: Header=BB260_806 Depth=1
	s_or_b32 exec_lo, exec_lo, s10
.LBB260_1348:                           ;   in Loop: Header=BB260_806 Depth=1
	s_delay_alu instid0(SALU_CYCLE_1)
	s_or_b32 exec_lo, exec_lo, s15
.LBB260_1349:                           ;   in Loop: Header=BB260_806 Depth=1
	s_delay_alu instid0(SALU_CYCLE_1) | instskip(SKIP_4) | instid1(VALU_DEP_4)
	s_or_b32 exec_lo, exec_lo, s13
	v_or_b32_e32 v5, v15, v5
	v_or_b32_e32 v4, v14, v4
	;; [unrolled: 1-line block ×4, first 2 shown]
	v_mul_f32_e32 v60, v20, v5
	s_delay_alu instid0(VALU_DEP_4) | instskip(NEXT) | instid1(VALU_DEP_4)
	v_mul_f32_e32 v59, v20, v4
	v_mul_f32_e32 v57, v20, v6
	s_delay_alu instid0(VALU_DEP_4)
	v_mul_f32_e32 v58, v20, v14
	s_and_saveexec_b32 s10, vcc_lo
; %bb.1350:                             ;   in Loop: Header=BB260_806 Depth=1
	v_cmp_lt_i32_e64 s0, v84, v25
	s_delay_alu instid0(VALU_DEP_1) | instskip(SKIP_1) | instid1(VALU_DEP_1)
	v_cndmask_b32_e64 v59, 0, v59, s0
	v_cmp_lt_i32_e64 s0, v87, v25
	v_cndmask_b32_e64 v60, 0, v60, s0
	v_cmp_lt_i32_e64 s0, v86, v25
	s_delay_alu instid0(VALU_DEP_1) | instskip(SKIP_1) | instid1(VALU_DEP_1)
	v_cndmask_b32_e64 v58, 0, v58, s0
	v_cmp_lt_i32_e64 s0, v85, v25
	v_cndmask_b32_e64 v57, 0, v57, s0
; %bb.1351:                             ;   in Loop: Header=BB260_806 Depth=1
	s_or_b32 exec_lo, exec_lo, s10
	flat_load_b32 v61, v[12:13] offset:2048
	v_mov_b32_e32 v14, 0
	v_mov_b32_e32 v15, 0
	s_mov_b32 s10, exec_lo
	s_waitcnt vmcnt(0) lgkmcnt(0)
	v_and_b32_e32 v6, 0xff, v61
	s_delay_alu instid0(VALU_DEP_2) | instskip(NEXT) | instid1(VALU_DEP_2)
	v_dual_mov_b32 v4, v14 :: v_dual_mov_b32 v5, v15
	v_cmpx_ne_u16_e32 0, v6
	s_cbranch_execz .LBB260_1359
; %bb.1352:                             ;   in Loop: Header=BB260_806 Depth=1
	v_bfrev_b32_e32 v4, 1
	v_mov_b32_e32 v5, 0
	s_mov_b32 s13, exec_lo
	v_cmpx_ne_u16_e32 0x80, v6
	s_cbranch_execz .LBB260_1358
; %bb.1353:                             ;   in Loop: Header=BB260_806 Depth=1
	v_mov_b32_e32 v4, 0x7f800001
	v_dual_mov_b32 v5, 0 :: v_dual_and_b32 v16, 0x7f, v61
	s_mov_b32 s15, exec_lo
	s_delay_alu instid0(VALU_DEP_1)
	v_cmpx_ne_u32_e32 0x7f, v16
	s_cbranch_execz .LBB260_1357
; %bb.1354:                             ;   in Loop: Header=BB260_806 Depth=1
	v_and_b32_e32 v6, 7, v61
	v_lshrrev_b32_e32 v4, 3, v16
	s_mov_b32 s16, exec_lo
	v_cmpx_gt_u32_e32 8, v16
; %bb.1355:                             ;   in Loop: Header=BB260_806 Depth=1
	s_delay_alu instid0(VALU_DEP_3) | instskip(NEXT) | instid1(VALU_DEP_1)
	v_clz_i32_u32_e32 v4, v6
	v_min_u32_e32 v4, 32, v4
	s_delay_alu instid0(VALU_DEP_1) | instskip(SKIP_1) | instid1(VALU_DEP_2)
	v_subrev_nc_u32_e32 v5, 28, v4
	v_sub_nc_u32_e32 v4, 29, v4
	v_lshlrev_b64 v[5:6], v5, v[6:7]
	s_delay_alu instid0(VALU_DEP_1)
	v_and_b32_e32 v6, 7, v5
; %bb.1356:                             ;   in Loop: Header=BB260_806 Depth=1
	s_or_b32 exec_lo, exec_lo, s16
	v_lshlrev_b32_e32 v5, 24, v61
	s_delay_alu instid0(VALU_DEP_2) | instskip(SKIP_1) | instid1(VALU_DEP_3)
	v_lshlrev_b32_e32 v6, 20, v6
	v_lshl_add_u32 v4, v4, 23, 0x3c000000
	v_and_b32_e32 v5, 0x80000000, v5
	s_delay_alu instid0(VALU_DEP_1) | instskip(NEXT) | instid1(VALU_DEP_1)
	v_or3_b32 v6, v6, v5, v4
	v_dual_mov_b32 v4, v6 :: v_dual_mov_b32 v5, v7
.LBB260_1357:                           ;   in Loop: Header=BB260_806 Depth=1
	s_or_b32 exec_lo, exec_lo, s15
.LBB260_1358:                           ;   in Loop: Header=BB260_806 Depth=1
	s_delay_alu instid0(SALU_CYCLE_1)
	s_or_b32 exec_lo, exec_lo, s13
.LBB260_1359:                           ;   in Loop: Header=BB260_806 Depth=1
	s_delay_alu instid0(SALU_CYCLE_1) | instskip(SKIP_2) | instid1(VALU_DEP_1)
	s_or_b32 exec_lo, exec_lo, s10
	v_lshrrev_b16 v6, 8, v61
	s_mov_b32 s13, exec_lo
	v_cmpx_ne_u16_e32 0, v6
	s_cbranch_execz .LBB260_1367
; %bb.1360:                             ;   in Loop: Header=BB260_806 Depth=1
	v_dual_mov_b32 v15, s9 :: v_dual_mov_b32 v14, s8
	s_mov_b32 s15, exec_lo
	v_cmpx_ne_u16_e32 0x80, v6
	s_cbranch_execz .LBB260_1366
; %bb.1361:                             ;   in Loop: Header=BB260_806 Depth=1
	s_mov_b32 s10, s8
	v_dual_mov_b32 v15, s11 :: v_dual_and_b32 v6, 0xffff, v6
	v_mov_b32_e32 v14, s10
	s_mov_b32 s10, exec_lo
	s_delay_alu instid0(VALU_DEP_2) | instskip(NEXT) | instid1(VALU_DEP_1)
	v_and_b32_e32 v16, 0x7f, v6
	v_cmpx_ne_u32_e32 0x7f, v16
	s_cbranch_execz .LBB260_1365
; %bb.1362:                             ;   in Loop: Header=BB260_806 Depth=1
	v_and_b32_e32 v6, 7, v6
	v_lshrrev_b32_e32 v14, 3, v16
	s_mov_b32 s16, exec_lo
	v_cmpx_gt_u32_e32 8, v16
; %bb.1363:                             ;   in Loop: Header=BB260_806 Depth=1
	s_delay_alu instid0(VALU_DEP_3) | instskip(NEXT) | instid1(VALU_DEP_1)
	v_clz_i32_u32_e32 v14, v6
	v_min_u32_e32 v14, 32, v14
	s_delay_alu instid0(VALU_DEP_1) | instskip(SKIP_1) | instid1(VALU_DEP_2)
	v_subrev_nc_u32_e32 v15, 28, v14
	v_sub_nc_u32_e32 v14, 29, v14
	v_lshlrev_b64 v[15:16], v15, v[6:7]
	s_delay_alu instid0(VALU_DEP_1)
	v_and_b32_e32 v6, 7, v15
; %bb.1364:                             ;   in Loop: Header=BB260_806 Depth=1
	s_or_b32 exec_lo, exec_lo, s16
	v_lshlrev_b32_e32 v15, 16, v61
	s_delay_alu instid0(VALU_DEP_2) | instskip(SKIP_1) | instid1(VALU_DEP_3)
	v_lshlrev_b32_e32 v6, 20, v6
	v_lshl_add_u32 v14, v14, 23, 0x3c000000
	v_and_b32_e32 v15, 0x80000000, v15
	s_delay_alu instid0(VALU_DEP_1)
	v_or3_b32 v15, v6, v15, v14
	v_mov_b32_e32 v14, v7
.LBB260_1365:                           ;   in Loop: Header=BB260_806 Depth=1
	s_or_b32 exec_lo, exec_lo, s10
.LBB260_1366:                           ;   in Loop: Header=BB260_806 Depth=1
	s_delay_alu instid0(SALU_CYCLE_1)
	s_or_b32 exec_lo, exec_lo, s15
.LBB260_1367:                           ;   in Loop: Header=BB260_806 Depth=1
	s_delay_alu instid0(SALU_CYCLE_1) | instskip(SKIP_4) | instid1(VALU_DEP_2)
	s_or_b32 exec_lo, exec_lo, s13
	v_mov_b32_e32 v18, 0
	v_lshrrev_b32_e32 v62, 16, v61
	v_mov_b32_e32 v19, 0
	s_mov_b32 s10, exec_lo
	v_and_b32_e32 v6, 0xff, v62
	s_delay_alu instid0(VALU_DEP_2) | instskip(NEXT) | instid1(VALU_DEP_2)
	v_dual_mov_b32 v16, v18 :: v_dual_mov_b32 v17, v19
	v_cmpx_ne_u16_e32 0, v6
	s_cbranch_execz .LBB260_1375
; %bb.1368:                             ;   in Loop: Header=BB260_806 Depth=1
	v_bfrev_b32_e32 v16, 1
	v_mov_b32_e32 v17, 0
	s_mov_b32 s13, exec_lo
	v_cmpx_ne_u16_e32 0x80, v6
	s_cbranch_execz .LBB260_1374
; %bb.1369:                             ;   in Loop: Header=BB260_806 Depth=1
	v_mov_b32_e32 v16, 0x7f800001
	v_bfe_u32 v63, v61, 16, 7
	v_mov_b32_e32 v17, 0
	s_mov_b32 s15, exec_lo
	s_delay_alu instid0(VALU_DEP_2)
	v_cmpx_ne_u32_e32 0x7f, v63
	s_cbranch_execz .LBB260_1373
; %bb.1370:                             ;   in Loop: Header=BB260_806 Depth=1
	v_and_b32_e32 v6, 7, v62
	v_lshrrev_b32_e32 v16, 3, v63
	s_mov_b32 s16, exec_lo
	v_cmpx_gt_u32_e32 8, v63
; %bb.1371:                             ;   in Loop: Header=BB260_806 Depth=1
	s_delay_alu instid0(VALU_DEP_3) | instskip(NEXT) | instid1(VALU_DEP_1)
	v_clz_i32_u32_e32 v16, v6
	v_min_u32_e32 v16, 32, v16
	s_delay_alu instid0(VALU_DEP_1) | instskip(SKIP_1) | instid1(VALU_DEP_2)
	v_subrev_nc_u32_e32 v17, 28, v16
	v_sub_nc_u32_e32 v16, 29, v16
	v_lshlrev_b64 v[72:73], v17, v[6:7]
	s_delay_alu instid0(VALU_DEP_1)
	v_and_b32_e32 v6, 7, v72
; %bb.1372:                             ;   in Loop: Header=BB260_806 Depth=1
	s_or_b32 exec_lo, exec_lo, s16
	v_lshlrev_b32_e32 v17, 24, v62
	s_delay_alu instid0(VALU_DEP_2) | instskip(SKIP_1) | instid1(VALU_DEP_3)
	v_lshlrev_b32_e32 v6, 20, v6
	v_lshl_add_u32 v16, v16, 23, 0x3c000000
	v_and_b32_e32 v17, 0x80000000, v17
	s_delay_alu instid0(VALU_DEP_1) | instskip(NEXT) | instid1(VALU_DEP_1)
	v_or3_b32 v6, v6, v17, v16
	v_dual_mov_b32 v17, v7 :: v_dual_mov_b32 v16, v6
.LBB260_1373:                           ;   in Loop: Header=BB260_806 Depth=1
	s_or_b32 exec_lo, exec_lo, s15
.LBB260_1374:                           ;   in Loop: Header=BB260_806 Depth=1
	s_delay_alu instid0(SALU_CYCLE_1)
	s_or_b32 exec_lo, exec_lo, s13
.LBB260_1375:                           ;   in Loop: Header=BB260_806 Depth=1
	s_delay_alu instid0(SALU_CYCLE_1) | instskip(NEXT) | instid1(SALU_CYCLE_1)
	s_or_b32 exec_lo, exec_lo, s10
	s_mov_b32 s13, exec_lo
	v_cmpx_lt_u32_e32 0xffffff, v61
	s_cbranch_execz .LBB260_1383
; %bb.1376:                             ;   in Loop: Header=BB260_806 Depth=1
	v_lshrrev_b32_e32 v62, 24, v61
	v_dual_mov_b32 v19, s9 :: v_dual_mov_b32 v18, s8
	s_mov_b32 s15, exec_lo
	s_delay_alu instid0(VALU_DEP_2)
	v_cmpx_ne_u32_e32 0x80, v62
	s_cbranch_execz .LBB260_1382
; %bb.1377:                             ;   in Loop: Header=BB260_806 Depth=1
	s_mov_b32 s10, s8
	v_bfe_u32 v61, v61, 24, 7
	v_dual_mov_b32 v19, s11 :: v_dual_mov_b32 v18, s10
	s_mov_b32 s10, exec_lo
	s_delay_alu instid0(VALU_DEP_2)
	v_cmpx_ne_u32_e32 0x7f, v61
	s_cbranch_execz .LBB260_1381
; %bb.1378:                             ;   in Loop: Header=BB260_806 Depth=1
	v_and_b32_e32 v6, 7, v62
	v_lshrrev_b32_e32 v18, 3, v61
	s_mov_b32 s16, exec_lo
	v_cmpx_gt_u32_e32 8, v61
; %bb.1379:                             ;   in Loop: Header=BB260_806 Depth=1
	s_delay_alu instid0(VALU_DEP_3) | instskip(NEXT) | instid1(VALU_DEP_1)
	v_clz_i32_u32_e32 v18, v6
	v_min_u32_e32 v18, 32, v18
	s_delay_alu instid0(VALU_DEP_1) | instskip(SKIP_1) | instid1(VALU_DEP_2)
	v_subrev_nc_u32_e32 v19, 28, v18
	v_sub_nc_u32_e32 v18, 29, v18
	v_lshlrev_b64 v[72:73], v19, v[6:7]
	s_delay_alu instid0(VALU_DEP_1)
	v_and_b32_e32 v6, 7, v72
; %bb.1380:                             ;   in Loop: Header=BB260_806 Depth=1
	s_or_b32 exec_lo, exec_lo, s16
	v_lshlrev_b32_e32 v19, 24, v62
	s_delay_alu instid0(VALU_DEP_2) | instskip(SKIP_1) | instid1(VALU_DEP_3)
	v_lshlrev_b32_e32 v6, 20, v6
	v_lshl_add_u32 v18, v18, 23, 0x3c000000
	v_and_b32_e32 v19, 0x80000000, v19
	s_delay_alu instid0(VALU_DEP_1)
	v_or3_b32 v19, v6, v19, v18
	v_mov_b32_e32 v18, v7
.LBB260_1381:                           ;   in Loop: Header=BB260_806 Depth=1
	s_or_b32 exec_lo, exec_lo, s10
.LBB260_1382:                           ;   in Loop: Header=BB260_806 Depth=1
	s_delay_alu instid0(SALU_CYCLE_1)
	s_or_b32 exec_lo, exec_lo, s15
.LBB260_1383:                           ;   in Loop: Header=BB260_806 Depth=1
	s_delay_alu instid0(SALU_CYCLE_1) | instskip(SKIP_4) | instid1(VALU_DEP_4)
	s_or_b32 exec_lo, exec_lo, s13
	v_or_b32_e32 v5, v15, v5
	v_or_b32_e32 v4, v14, v4
	;; [unrolled: 1-line block ×4, first 2 shown]
	v_mul_f32_e32 v72, v20, v5
	s_delay_alu instid0(VALU_DEP_4) | instskip(NEXT) | instid1(VALU_DEP_4)
	v_mul_f32_e32 v63, v20, v4
	v_mul_f32_e32 v61, v20, v6
	s_delay_alu instid0(VALU_DEP_4)
	v_mul_f32_e32 v62, v20, v14
	s_and_saveexec_b32 s10, vcc_lo
; %bb.1384:                             ;   in Loop: Header=BB260_806 Depth=1
	v_cmp_lt_i32_e64 s0, v84, v25
	s_delay_alu instid0(VALU_DEP_1) | instskip(SKIP_1) | instid1(VALU_DEP_1)
	v_cndmask_b32_e64 v63, 0, v63, s0
	v_cmp_lt_i32_e64 s0, v87, v25
	v_cndmask_b32_e64 v72, 0, v72, s0
	v_cmp_lt_i32_e64 s0, v86, v25
	s_delay_alu instid0(VALU_DEP_1) | instskip(SKIP_1) | instid1(VALU_DEP_1)
	v_cndmask_b32_e64 v62, 0, v62, s0
	v_cmp_lt_i32_e64 s0, v85, v25
	v_cndmask_b32_e64 v61, 0, v61, s0
; %bb.1385:                             ;   in Loop: Header=BB260_806 Depth=1
	s_or_b32 exec_lo, exec_lo, s10
	flat_load_b32 v73, v[12:13] offset:2176
	v_mov_b32_e32 v14, 0
	v_mov_b32_e32 v15, 0
	s_mov_b32 s10, exec_lo
	s_waitcnt vmcnt(0) lgkmcnt(0)
	v_and_b32_e32 v6, 0xff, v73
	s_delay_alu instid0(VALU_DEP_2) | instskip(NEXT) | instid1(VALU_DEP_2)
	v_dual_mov_b32 v4, v14 :: v_dual_mov_b32 v5, v15
	v_cmpx_ne_u16_e32 0, v6
	s_cbranch_execz .LBB260_1393
; %bb.1386:                             ;   in Loop: Header=BB260_806 Depth=1
	v_bfrev_b32_e32 v4, 1
	v_mov_b32_e32 v5, 0
	s_mov_b32 s13, exec_lo
	v_cmpx_ne_u16_e32 0x80, v6
	s_cbranch_execz .LBB260_1392
; %bb.1387:                             ;   in Loop: Header=BB260_806 Depth=1
	v_mov_b32_e32 v4, 0x7f800001
	v_dual_mov_b32 v5, 0 :: v_dual_and_b32 v16, 0x7f, v73
	s_mov_b32 s15, exec_lo
	s_delay_alu instid0(VALU_DEP_1)
	v_cmpx_ne_u32_e32 0x7f, v16
	s_cbranch_execz .LBB260_1391
; %bb.1388:                             ;   in Loop: Header=BB260_806 Depth=1
	v_and_b32_e32 v6, 7, v73
	v_lshrrev_b32_e32 v4, 3, v16
	s_mov_b32 s16, exec_lo
	v_cmpx_gt_u32_e32 8, v16
; %bb.1389:                             ;   in Loop: Header=BB260_806 Depth=1
	s_delay_alu instid0(VALU_DEP_3) | instskip(NEXT) | instid1(VALU_DEP_1)
	v_clz_i32_u32_e32 v4, v6
	v_min_u32_e32 v4, 32, v4
	s_delay_alu instid0(VALU_DEP_1) | instskip(SKIP_1) | instid1(VALU_DEP_2)
	v_subrev_nc_u32_e32 v5, 28, v4
	v_sub_nc_u32_e32 v4, 29, v4
	v_lshlrev_b64 v[5:6], v5, v[6:7]
	s_delay_alu instid0(VALU_DEP_1)
	v_and_b32_e32 v6, 7, v5
; %bb.1390:                             ;   in Loop: Header=BB260_806 Depth=1
	s_or_b32 exec_lo, exec_lo, s16
	v_lshlrev_b32_e32 v5, 24, v73
	s_delay_alu instid0(VALU_DEP_2) | instskip(SKIP_1) | instid1(VALU_DEP_3)
	v_lshlrev_b32_e32 v6, 20, v6
	v_lshl_add_u32 v4, v4, 23, 0x3c000000
	v_and_b32_e32 v5, 0x80000000, v5
	s_delay_alu instid0(VALU_DEP_1) | instskip(NEXT) | instid1(VALU_DEP_1)
	v_or3_b32 v6, v6, v5, v4
	v_dual_mov_b32 v4, v6 :: v_dual_mov_b32 v5, v7
.LBB260_1391:                           ;   in Loop: Header=BB260_806 Depth=1
	s_or_b32 exec_lo, exec_lo, s15
.LBB260_1392:                           ;   in Loop: Header=BB260_806 Depth=1
	s_delay_alu instid0(SALU_CYCLE_1)
	s_or_b32 exec_lo, exec_lo, s13
.LBB260_1393:                           ;   in Loop: Header=BB260_806 Depth=1
	s_delay_alu instid0(SALU_CYCLE_1) | instskip(SKIP_2) | instid1(VALU_DEP_1)
	s_or_b32 exec_lo, exec_lo, s10
	v_lshrrev_b16 v6, 8, v73
	s_mov_b32 s13, exec_lo
	v_cmpx_ne_u16_e32 0, v6
	s_cbranch_execz .LBB260_1401
; %bb.1394:                             ;   in Loop: Header=BB260_806 Depth=1
	v_dual_mov_b32 v15, s9 :: v_dual_mov_b32 v14, s8
	s_mov_b32 s15, exec_lo
	v_cmpx_ne_u16_e32 0x80, v6
	s_cbranch_execz .LBB260_1400
; %bb.1395:                             ;   in Loop: Header=BB260_806 Depth=1
	s_mov_b32 s10, s8
	v_dual_mov_b32 v15, s11 :: v_dual_and_b32 v6, 0xffff, v6
	v_mov_b32_e32 v14, s10
	s_mov_b32 s10, exec_lo
	s_delay_alu instid0(VALU_DEP_2) | instskip(NEXT) | instid1(VALU_DEP_1)
	v_and_b32_e32 v16, 0x7f, v6
	v_cmpx_ne_u32_e32 0x7f, v16
	s_cbranch_execz .LBB260_1399
; %bb.1396:                             ;   in Loop: Header=BB260_806 Depth=1
	v_and_b32_e32 v6, 7, v6
	v_lshrrev_b32_e32 v14, 3, v16
	s_mov_b32 s16, exec_lo
	v_cmpx_gt_u32_e32 8, v16
; %bb.1397:                             ;   in Loop: Header=BB260_806 Depth=1
	s_delay_alu instid0(VALU_DEP_3) | instskip(NEXT) | instid1(VALU_DEP_1)
	v_clz_i32_u32_e32 v14, v6
	v_min_u32_e32 v14, 32, v14
	s_delay_alu instid0(VALU_DEP_1) | instskip(SKIP_1) | instid1(VALU_DEP_2)
	v_subrev_nc_u32_e32 v15, 28, v14
	v_sub_nc_u32_e32 v14, 29, v14
	v_lshlrev_b64 v[15:16], v15, v[6:7]
	s_delay_alu instid0(VALU_DEP_1)
	v_and_b32_e32 v6, 7, v15
; %bb.1398:                             ;   in Loop: Header=BB260_806 Depth=1
	s_or_b32 exec_lo, exec_lo, s16
	v_lshlrev_b32_e32 v15, 16, v73
	s_delay_alu instid0(VALU_DEP_2) | instskip(SKIP_1) | instid1(VALU_DEP_3)
	v_lshlrev_b32_e32 v6, 20, v6
	v_lshl_add_u32 v14, v14, 23, 0x3c000000
	v_and_b32_e32 v15, 0x80000000, v15
	s_delay_alu instid0(VALU_DEP_1)
	v_or3_b32 v15, v6, v15, v14
	v_mov_b32_e32 v14, v7
.LBB260_1399:                           ;   in Loop: Header=BB260_806 Depth=1
	s_or_b32 exec_lo, exec_lo, s10
.LBB260_1400:                           ;   in Loop: Header=BB260_806 Depth=1
	s_delay_alu instid0(SALU_CYCLE_1)
	s_or_b32 exec_lo, exec_lo, s15
.LBB260_1401:                           ;   in Loop: Header=BB260_806 Depth=1
	s_delay_alu instid0(SALU_CYCLE_1) | instskip(SKIP_4) | instid1(VALU_DEP_2)
	s_or_b32 exec_lo, exec_lo, s13
	v_mov_b32_e32 v18, 0
	v_lshrrev_b32_e32 v74, 16, v73
	v_mov_b32_e32 v19, 0
	s_mov_b32 s10, exec_lo
	v_and_b32_e32 v6, 0xff, v74
	s_delay_alu instid0(VALU_DEP_2) | instskip(NEXT) | instid1(VALU_DEP_2)
	v_dual_mov_b32 v16, v18 :: v_dual_mov_b32 v17, v19
	v_cmpx_ne_u16_e32 0, v6
	s_cbranch_execz .LBB260_1409
; %bb.1402:                             ;   in Loop: Header=BB260_806 Depth=1
	v_bfrev_b32_e32 v16, 1
	v_mov_b32_e32 v17, 0
	s_mov_b32 s13, exec_lo
	v_cmpx_ne_u16_e32 0x80, v6
	s_cbranch_execz .LBB260_1408
; %bb.1403:                             ;   in Loop: Header=BB260_806 Depth=1
	v_mov_b32_e32 v16, 0x7f800001
	v_bfe_u32 v75, v73, 16, 7
	v_mov_b32_e32 v17, 0
	s_mov_b32 s15, exec_lo
	s_delay_alu instid0(VALU_DEP_2)
	v_cmpx_ne_u32_e32 0x7f, v75
	s_cbranch_execz .LBB260_1407
; %bb.1404:                             ;   in Loop: Header=BB260_806 Depth=1
	v_and_b32_e32 v6, 7, v74
	v_lshrrev_b32_e32 v16, 3, v75
	s_mov_b32 s16, exec_lo
	v_cmpx_gt_u32_e32 8, v75
; %bb.1405:                             ;   in Loop: Header=BB260_806 Depth=1
	s_delay_alu instid0(VALU_DEP_3) | instskip(NEXT) | instid1(VALU_DEP_1)
	v_clz_i32_u32_e32 v16, v6
	v_min_u32_e32 v16, 32, v16
	s_delay_alu instid0(VALU_DEP_1) | instskip(SKIP_1) | instid1(VALU_DEP_2)
	v_subrev_nc_u32_e32 v17, 28, v16
	v_sub_nc_u32_e32 v16, 29, v16
	v_lshlrev_b64 v[75:76], v17, v[6:7]
	s_delay_alu instid0(VALU_DEP_1)
	v_and_b32_e32 v6, 7, v75
; %bb.1406:                             ;   in Loop: Header=BB260_806 Depth=1
	s_or_b32 exec_lo, exec_lo, s16
	v_lshlrev_b32_e32 v17, 24, v74
	s_delay_alu instid0(VALU_DEP_2) | instskip(SKIP_1) | instid1(VALU_DEP_3)
	v_lshlrev_b32_e32 v6, 20, v6
	v_lshl_add_u32 v16, v16, 23, 0x3c000000
	v_and_b32_e32 v17, 0x80000000, v17
	s_delay_alu instid0(VALU_DEP_1) | instskip(NEXT) | instid1(VALU_DEP_1)
	v_or3_b32 v6, v6, v17, v16
	v_dual_mov_b32 v17, v7 :: v_dual_mov_b32 v16, v6
.LBB260_1407:                           ;   in Loop: Header=BB260_806 Depth=1
	s_or_b32 exec_lo, exec_lo, s15
.LBB260_1408:                           ;   in Loop: Header=BB260_806 Depth=1
	s_delay_alu instid0(SALU_CYCLE_1)
	s_or_b32 exec_lo, exec_lo, s13
.LBB260_1409:                           ;   in Loop: Header=BB260_806 Depth=1
	s_delay_alu instid0(SALU_CYCLE_1) | instskip(NEXT) | instid1(SALU_CYCLE_1)
	s_or_b32 exec_lo, exec_lo, s10
	s_mov_b32 s13, exec_lo
	v_cmpx_lt_u32_e32 0xffffff, v73
	s_cbranch_execz .LBB260_1417
; %bb.1410:                             ;   in Loop: Header=BB260_806 Depth=1
	v_lshrrev_b32_e32 v74, 24, v73
	v_dual_mov_b32 v19, s9 :: v_dual_mov_b32 v18, s8
	s_mov_b32 s15, exec_lo
	s_delay_alu instid0(VALU_DEP_2)
	v_cmpx_ne_u32_e32 0x80, v74
	s_cbranch_execz .LBB260_1416
; %bb.1411:                             ;   in Loop: Header=BB260_806 Depth=1
	s_mov_b32 s10, s8
	v_bfe_u32 v73, v73, 24, 7
	v_dual_mov_b32 v19, s11 :: v_dual_mov_b32 v18, s10
	s_mov_b32 s10, exec_lo
	s_delay_alu instid0(VALU_DEP_2)
	v_cmpx_ne_u32_e32 0x7f, v73
	s_cbranch_execz .LBB260_1415
; %bb.1412:                             ;   in Loop: Header=BB260_806 Depth=1
	v_and_b32_e32 v6, 7, v74
	v_lshrrev_b32_e32 v18, 3, v73
	s_mov_b32 s16, exec_lo
	v_cmpx_gt_u32_e32 8, v73
; %bb.1413:                             ;   in Loop: Header=BB260_806 Depth=1
	s_delay_alu instid0(VALU_DEP_3) | instskip(NEXT) | instid1(VALU_DEP_1)
	v_clz_i32_u32_e32 v18, v6
	v_min_u32_e32 v18, 32, v18
	s_delay_alu instid0(VALU_DEP_1) | instskip(SKIP_1) | instid1(VALU_DEP_2)
	v_subrev_nc_u32_e32 v19, 28, v18
	v_sub_nc_u32_e32 v18, 29, v18
	v_lshlrev_b64 v[75:76], v19, v[6:7]
	s_delay_alu instid0(VALU_DEP_1)
	v_and_b32_e32 v6, 7, v75
; %bb.1414:                             ;   in Loop: Header=BB260_806 Depth=1
	s_or_b32 exec_lo, exec_lo, s16
	v_lshlrev_b32_e32 v19, 24, v74
	s_delay_alu instid0(VALU_DEP_2) | instskip(SKIP_1) | instid1(VALU_DEP_3)
	v_lshlrev_b32_e32 v6, 20, v6
	v_lshl_add_u32 v18, v18, 23, 0x3c000000
	v_and_b32_e32 v19, 0x80000000, v19
	s_delay_alu instid0(VALU_DEP_1)
	v_or3_b32 v19, v6, v19, v18
	v_mov_b32_e32 v18, v7
.LBB260_1415:                           ;   in Loop: Header=BB260_806 Depth=1
	s_or_b32 exec_lo, exec_lo, s10
.LBB260_1416:                           ;   in Loop: Header=BB260_806 Depth=1
	s_delay_alu instid0(SALU_CYCLE_1)
	s_or_b32 exec_lo, exec_lo, s15
.LBB260_1417:                           ;   in Loop: Header=BB260_806 Depth=1
	s_delay_alu instid0(SALU_CYCLE_1) | instskip(SKIP_4) | instid1(VALU_DEP_4)
	s_or_b32 exec_lo, exec_lo, s13
	v_or_b32_e32 v5, v15, v5
	v_or_b32_e32 v4, v14, v4
	;; [unrolled: 1-line block ×4, first 2 shown]
	v_mul_f32_e32 v76, v20, v5
	s_delay_alu instid0(VALU_DEP_4) | instskip(NEXT) | instid1(VALU_DEP_4)
	v_mul_f32_e32 v75, v20, v4
	v_mul_f32_e32 v73, v20, v6
	s_delay_alu instid0(VALU_DEP_4)
	v_mul_f32_e32 v74, v20, v14
	s_and_saveexec_b32 s10, vcc_lo
; %bb.1418:                             ;   in Loop: Header=BB260_806 Depth=1
	v_cmp_lt_i32_e64 s0, v84, v25
	s_delay_alu instid0(VALU_DEP_1) | instskip(SKIP_1) | instid1(VALU_DEP_1)
	v_cndmask_b32_e64 v75, 0, v75, s0
	v_cmp_lt_i32_e64 s0, v87, v25
	v_cndmask_b32_e64 v76, 0, v76, s0
	v_cmp_lt_i32_e64 s0, v86, v25
	s_delay_alu instid0(VALU_DEP_1) | instskip(SKIP_1) | instid1(VALU_DEP_1)
	v_cndmask_b32_e64 v74, 0, v74, s0
	v_cmp_lt_i32_e64 s0, v85, v25
	v_cndmask_b32_e64 v73, 0, v73, s0
; %bb.1419:                             ;   in Loop: Header=BB260_806 Depth=1
	s_or_b32 exec_lo, exec_lo, s10
	flat_load_b32 v77, v[12:13] offset:2304
	v_mov_b32_e32 v14, 0
	v_mov_b32_e32 v15, 0
	s_mov_b32 s10, exec_lo
	s_waitcnt vmcnt(0) lgkmcnt(0)
	v_and_b32_e32 v6, 0xff, v77
	s_delay_alu instid0(VALU_DEP_2) | instskip(NEXT) | instid1(VALU_DEP_2)
	v_dual_mov_b32 v4, v14 :: v_dual_mov_b32 v5, v15
	v_cmpx_ne_u16_e32 0, v6
	s_cbranch_execz .LBB260_1427
; %bb.1420:                             ;   in Loop: Header=BB260_806 Depth=1
	v_bfrev_b32_e32 v4, 1
	v_mov_b32_e32 v5, 0
	s_mov_b32 s13, exec_lo
	v_cmpx_ne_u16_e32 0x80, v6
	s_cbranch_execz .LBB260_1426
; %bb.1421:                             ;   in Loop: Header=BB260_806 Depth=1
	v_mov_b32_e32 v4, 0x7f800001
	v_dual_mov_b32 v5, 0 :: v_dual_and_b32 v16, 0x7f, v77
	s_mov_b32 s15, exec_lo
	s_delay_alu instid0(VALU_DEP_1)
	v_cmpx_ne_u32_e32 0x7f, v16
	s_cbranch_execz .LBB260_1425
; %bb.1422:                             ;   in Loop: Header=BB260_806 Depth=1
	v_and_b32_e32 v6, 7, v77
	v_lshrrev_b32_e32 v4, 3, v16
	s_mov_b32 s16, exec_lo
	v_cmpx_gt_u32_e32 8, v16
; %bb.1423:                             ;   in Loop: Header=BB260_806 Depth=1
	s_delay_alu instid0(VALU_DEP_3) | instskip(NEXT) | instid1(VALU_DEP_1)
	v_clz_i32_u32_e32 v4, v6
	v_min_u32_e32 v4, 32, v4
	s_delay_alu instid0(VALU_DEP_1) | instskip(SKIP_1) | instid1(VALU_DEP_2)
	v_subrev_nc_u32_e32 v5, 28, v4
	v_sub_nc_u32_e32 v4, 29, v4
	v_lshlrev_b64 v[5:6], v5, v[6:7]
	s_delay_alu instid0(VALU_DEP_1)
	v_and_b32_e32 v6, 7, v5
; %bb.1424:                             ;   in Loop: Header=BB260_806 Depth=1
	s_or_b32 exec_lo, exec_lo, s16
	v_lshlrev_b32_e32 v5, 24, v77
	s_delay_alu instid0(VALU_DEP_2) | instskip(SKIP_1) | instid1(VALU_DEP_3)
	v_lshlrev_b32_e32 v6, 20, v6
	v_lshl_add_u32 v4, v4, 23, 0x3c000000
	v_and_b32_e32 v5, 0x80000000, v5
	s_delay_alu instid0(VALU_DEP_1) | instskip(NEXT) | instid1(VALU_DEP_1)
	v_or3_b32 v6, v6, v5, v4
	v_dual_mov_b32 v4, v6 :: v_dual_mov_b32 v5, v7
.LBB260_1425:                           ;   in Loop: Header=BB260_806 Depth=1
	s_or_b32 exec_lo, exec_lo, s15
.LBB260_1426:                           ;   in Loop: Header=BB260_806 Depth=1
	s_delay_alu instid0(SALU_CYCLE_1)
	s_or_b32 exec_lo, exec_lo, s13
.LBB260_1427:                           ;   in Loop: Header=BB260_806 Depth=1
	s_delay_alu instid0(SALU_CYCLE_1) | instskip(SKIP_2) | instid1(VALU_DEP_1)
	s_or_b32 exec_lo, exec_lo, s10
	v_lshrrev_b16 v6, 8, v77
	s_mov_b32 s13, exec_lo
	v_cmpx_ne_u16_e32 0, v6
	s_cbranch_execz .LBB260_1435
; %bb.1428:                             ;   in Loop: Header=BB260_806 Depth=1
	v_dual_mov_b32 v15, s9 :: v_dual_mov_b32 v14, s8
	s_mov_b32 s15, exec_lo
	v_cmpx_ne_u16_e32 0x80, v6
	s_cbranch_execz .LBB260_1434
; %bb.1429:                             ;   in Loop: Header=BB260_806 Depth=1
	s_mov_b32 s10, s8
	v_dual_mov_b32 v15, s11 :: v_dual_and_b32 v6, 0xffff, v6
	v_mov_b32_e32 v14, s10
	s_mov_b32 s10, exec_lo
	s_delay_alu instid0(VALU_DEP_2) | instskip(NEXT) | instid1(VALU_DEP_1)
	v_and_b32_e32 v16, 0x7f, v6
	v_cmpx_ne_u32_e32 0x7f, v16
	s_cbranch_execz .LBB260_1433
; %bb.1430:                             ;   in Loop: Header=BB260_806 Depth=1
	v_and_b32_e32 v6, 7, v6
	v_lshrrev_b32_e32 v14, 3, v16
	s_mov_b32 s16, exec_lo
	v_cmpx_gt_u32_e32 8, v16
; %bb.1431:                             ;   in Loop: Header=BB260_806 Depth=1
	s_delay_alu instid0(VALU_DEP_3) | instskip(NEXT) | instid1(VALU_DEP_1)
	v_clz_i32_u32_e32 v14, v6
	v_min_u32_e32 v14, 32, v14
	s_delay_alu instid0(VALU_DEP_1) | instskip(SKIP_1) | instid1(VALU_DEP_2)
	v_subrev_nc_u32_e32 v15, 28, v14
	v_sub_nc_u32_e32 v14, 29, v14
	v_lshlrev_b64 v[15:16], v15, v[6:7]
	s_delay_alu instid0(VALU_DEP_1)
	v_and_b32_e32 v6, 7, v15
; %bb.1432:                             ;   in Loop: Header=BB260_806 Depth=1
	s_or_b32 exec_lo, exec_lo, s16
	v_lshlrev_b32_e32 v15, 16, v77
	s_delay_alu instid0(VALU_DEP_2) | instskip(SKIP_1) | instid1(VALU_DEP_3)
	v_lshlrev_b32_e32 v6, 20, v6
	v_lshl_add_u32 v14, v14, 23, 0x3c000000
	v_and_b32_e32 v15, 0x80000000, v15
	s_delay_alu instid0(VALU_DEP_1)
	v_or3_b32 v15, v6, v15, v14
	v_mov_b32_e32 v14, v7
.LBB260_1433:                           ;   in Loop: Header=BB260_806 Depth=1
	s_or_b32 exec_lo, exec_lo, s10
.LBB260_1434:                           ;   in Loop: Header=BB260_806 Depth=1
	s_delay_alu instid0(SALU_CYCLE_1)
	s_or_b32 exec_lo, exec_lo, s15
.LBB260_1435:                           ;   in Loop: Header=BB260_806 Depth=1
	s_delay_alu instid0(SALU_CYCLE_1) | instskip(SKIP_4) | instid1(VALU_DEP_2)
	s_or_b32 exec_lo, exec_lo, s13
	v_mov_b32_e32 v18, 0
	v_lshrrev_b32_e32 v78, 16, v77
	v_mov_b32_e32 v19, 0
	s_mov_b32 s10, exec_lo
	v_and_b32_e32 v6, 0xff, v78
	s_delay_alu instid0(VALU_DEP_2) | instskip(NEXT) | instid1(VALU_DEP_2)
	v_dual_mov_b32 v16, v18 :: v_dual_mov_b32 v17, v19
	v_cmpx_ne_u16_e32 0, v6
	s_cbranch_execz .LBB260_1443
; %bb.1436:                             ;   in Loop: Header=BB260_806 Depth=1
	v_bfrev_b32_e32 v16, 1
	v_mov_b32_e32 v17, 0
	s_mov_b32 s13, exec_lo
	v_cmpx_ne_u16_e32 0x80, v6
	s_cbranch_execz .LBB260_1442
; %bb.1437:                             ;   in Loop: Header=BB260_806 Depth=1
	v_mov_b32_e32 v16, 0x7f800001
	v_bfe_u32 v79, v77, 16, 7
	v_mov_b32_e32 v17, 0
	s_mov_b32 s15, exec_lo
	s_delay_alu instid0(VALU_DEP_2)
	v_cmpx_ne_u32_e32 0x7f, v79
	s_cbranch_execz .LBB260_1441
; %bb.1438:                             ;   in Loop: Header=BB260_806 Depth=1
	v_and_b32_e32 v6, 7, v78
	v_lshrrev_b32_e32 v16, 3, v79
	s_mov_b32 s16, exec_lo
	v_cmpx_gt_u32_e32 8, v79
; %bb.1439:                             ;   in Loop: Header=BB260_806 Depth=1
	s_delay_alu instid0(VALU_DEP_3) | instskip(NEXT) | instid1(VALU_DEP_1)
	v_clz_i32_u32_e32 v16, v6
	v_min_u32_e32 v16, 32, v16
	s_delay_alu instid0(VALU_DEP_1) | instskip(SKIP_1) | instid1(VALU_DEP_2)
	v_subrev_nc_u32_e32 v17, 28, v16
	v_sub_nc_u32_e32 v16, 29, v16
	v_lshlrev_b64 v[88:89], v17, v[6:7]
	s_delay_alu instid0(VALU_DEP_1)
	v_and_b32_e32 v6, 7, v88
; %bb.1440:                             ;   in Loop: Header=BB260_806 Depth=1
	s_or_b32 exec_lo, exec_lo, s16
	v_lshlrev_b32_e32 v17, 24, v78
	s_delay_alu instid0(VALU_DEP_2) | instskip(SKIP_1) | instid1(VALU_DEP_3)
	v_lshlrev_b32_e32 v6, 20, v6
	v_lshl_add_u32 v16, v16, 23, 0x3c000000
	v_and_b32_e32 v17, 0x80000000, v17
	s_delay_alu instid0(VALU_DEP_1) | instskip(NEXT) | instid1(VALU_DEP_1)
	v_or3_b32 v6, v6, v17, v16
	v_dual_mov_b32 v17, v7 :: v_dual_mov_b32 v16, v6
.LBB260_1441:                           ;   in Loop: Header=BB260_806 Depth=1
	s_or_b32 exec_lo, exec_lo, s15
.LBB260_1442:                           ;   in Loop: Header=BB260_806 Depth=1
	s_delay_alu instid0(SALU_CYCLE_1)
	s_or_b32 exec_lo, exec_lo, s13
.LBB260_1443:                           ;   in Loop: Header=BB260_806 Depth=1
	s_delay_alu instid0(SALU_CYCLE_1) | instskip(NEXT) | instid1(SALU_CYCLE_1)
	s_or_b32 exec_lo, exec_lo, s10
	s_mov_b32 s13, exec_lo
	v_cmpx_lt_u32_e32 0xffffff, v77
	s_cbranch_execz .LBB260_1451
; %bb.1444:                             ;   in Loop: Header=BB260_806 Depth=1
	v_lshrrev_b32_e32 v78, 24, v77
	v_dual_mov_b32 v19, s9 :: v_dual_mov_b32 v18, s8
	s_mov_b32 s15, exec_lo
	s_delay_alu instid0(VALU_DEP_2)
	v_cmpx_ne_u32_e32 0x80, v78
	s_cbranch_execz .LBB260_1450
; %bb.1445:                             ;   in Loop: Header=BB260_806 Depth=1
	s_mov_b32 s10, s8
	v_bfe_u32 v77, v77, 24, 7
	v_dual_mov_b32 v19, s11 :: v_dual_mov_b32 v18, s10
	s_mov_b32 s10, exec_lo
	s_delay_alu instid0(VALU_DEP_2)
	v_cmpx_ne_u32_e32 0x7f, v77
	s_cbranch_execz .LBB260_1449
; %bb.1446:                             ;   in Loop: Header=BB260_806 Depth=1
	v_and_b32_e32 v6, 7, v78
	v_lshrrev_b32_e32 v18, 3, v77
	s_mov_b32 s16, exec_lo
	v_cmpx_gt_u32_e32 8, v77
; %bb.1447:                             ;   in Loop: Header=BB260_806 Depth=1
	s_delay_alu instid0(VALU_DEP_3) | instskip(NEXT) | instid1(VALU_DEP_1)
	v_clz_i32_u32_e32 v18, v6
	v_min_u32_e32 v18, 32, v18
	s_delay_alu instid0(VALU_DEP_1) | instskip(SKIP_1) | instid1(VALU_DEP_2)
	v_subrev_nc_u32_e32 v19, 28, v18
	v_sub_nc_u32_e32 v18, 29, v18
	v_lshlrev_b64 v[88:89], v19, v[6:7]
	s_delay_alu instid0(VALU_DEP_1)
	v_and_b32_e32 v6, 7, v88
; %bb.1448:                             ;   in Loop: Header=BB260_806 Depth=1
	s_or_b32 exec_lo, exec_lo, s16
	v_lshlrev_b32_e32 v19, 24, v78
	s_delay_alu instid0(VALU_DEP_2) | instskip(SKIP_1) | instid1(VALU_DEP_3)
	v_lshlrev_b32_e32 v6, 20, v6
	v_lshl_add_u32 v18, v18, 23, 0x3c000000
	v_and_b32_e32 v19, 0x80000000, v19
	s_delay_alu instid0(VALU_DEP_1)
	v_or3_b32 v19, v6, v19, v18
	v_mov_b32_e32 v18, v7
.LBB260_1449:                           ;   in Loop: Header=BB260_806 Depth=1
	s_or_b32 exec_lo, exec_lo, s10
.LBB260_1450:                           ;   in Loop: Header=BB260_806 Depth=1
	s_delay_alu instid0(SALU_CYCLE_1)
	s_or_b32 exec_lo, exec_lo, s15
.LBB260_1451:                           ;   in Loop: Header=BB260_806 Depth=1
	s_delay_alu instid0(SALU_CYCLE_1) | instskip(SKIP_4) | instid1(VALU_DEP_4)
	s_or_b32 exec_lo, exec_lo, s13
	v_or_b32_e32 v5, v15, v5
	v_or_b32_e32 v4, v14, v4
	v_or_b32_e32 v6, v19, v17
	v_or_b32_e32 v14, v18, v16
	v_mul_f32_e32 v88, v20, v5
	s_delay_alu instid0(VALU_DEP_4) | instskip(NEXT) | instid1(VALU_DEP_4)
	v_mul_f32_e32 v79, v20, v4
	v_mul_f32_e32 v77, v20, v6
	s_delay_alu instid0(VALU_DEP_4)
	v_mul_f32_e32 v78, v20, v14
	s_and_saveexec_b32 s10, vcc_lo
; %bb.1452:                             ;   in Loop: Header=BB260_806 Depth=1
	v_cmp_lt_i32_e64 s0, v84, v25
	s_delay_alu instid0(VALU_DEP_1) | instskip(SKIP_1) | instid1(VALU_DEP_1)
	v_cndmask_b32_e64 v79, 0, v79, s0
	v_cmp_lt_i32_e64 s0, v87, v25
	v_cndmask_b32_e64 v88, 0, v88, s0
	v_cmp_lt_i32_e64 s0, v86, v25
	s_delay_alu instid0(VALU_DEP_1) | instskip(SKIP_1) | instid1(VALU_DEP_1)
	v_cndmask_b32_e64 v78, 0, v78, s0
	v_cmp_lt_i32_e64 s0, v85, v25
	v_cndmask_b32_e64 v77, 0, v77, s0
; %bb.1453:                             ;   in Loop: Header=BB260_806 Depth=1
	s_or_b32 exec_lo, exec_lo, s10
	flat_load_b32 v89, v[12:13] offset:2432
	v_mov_b32_e32 v14, 0
	v_mov_b32_e32 v15, 0
	s_mov_b32 s10, exec_lo
	s_waitcnt vmcnt(0) lgkmcnt(0)
	v_and_b32_e32 v6, 0xff, v89
	s_delay_alu instid0(VALU_DEP_2) | instskip(NEXT) | instid1(VALU_DEP_2)
	v_dual_mov_b32 v4, v14 :: v_dual_mov_b32 v5, v15
	v_cmpx_ne_u16_e32 0, v6
	s_cbranch_execz .LBB260_1461
; %bb.1454:                             ;   in Loop: Header=BB260_806 Depth=1
	v_bfrev_b32_e32 v4, 1
	v_mov_b32_e32 v5, 0
	s_mov_b32 s13, exec_lo
	v_cmpx_ne_u16_e32 0x80, v6
	s_cbranch_execz .LBB260_1460
; %bb.1455:                             ;   in Loop: Header=BB260_806 Depth=1
	v_mov_b32_e32 v4, 0x7f800001
	v_dual_mov_b32 v5, 0 :: v_dual_and_b32 v16, 0x7f, v89
	s_mov_b32 s15, exec_lo
	s_delay_alu instid0(VALU_DEP_1)
	v_cmpx_ne_u32_e32 0x7f, v16
	s_cbranch_execz .LBB260_1459
; %bb.1456:                             ;   in Loop: Header=BB260_806 Depth=1
	v_and_b32_e32 v6, 7, v89
	v_lshrrev_b32_e32 v4, 3, v16
	s_mov_b32 s16, exec_lo
	v_cmpx_gt_u32_e32 8, v16
; %bb.1457:                             ;   in Loop: Header=BB260_806 Depth=1
	s_delay_alu instid0(VALU_DEP_3) | instskip(NEXT) | instid1(VALU_DEP_1)
	v_clz_i32_u32_e32 v4, v6
	v_min_u32_e32 v4, 32, v4
	s_delay_alu instid0(VALU_DEP_1) | instskip(SKIP_1) | instid1(VALU_DEP_2)
	v_subrev_nc_u32_e32 v5, 28, v4
	v_sub_nc_u32_e32 v4, 29, v4
	v_lshlrev_b64 v[5:6], v5, v[6:7]
	s_delay_alu instid0(VALU_DEP_1)
	v_and_b32_e32 v6, 7, v5
; %bb.1458:                             ;   in Loop: Header=BB260_806 Depth=1
	s_or_b32 exec_lo, exec_lo, s16
	v_lshlrev_b32_e32 v5, 24, v89
	s_delay_alu instid0(VALU_DEP_2) | instskip(SKIP_1) | instid1(VALU_DEP_3)
	v_lshlrev_b32_e32 v6, 20, v6
	v_lshl_add_u32 v4, v4, 23, 0x3c000000
	v_and_b32_e32 v5, 0x80000000, v5
	s_delay_alu instid0(VALU_DEP_1) | instskip(NEXT) | instid1(VALU_DEP_1)
	v_or3_b32 v6, v6, v5, v4
	v_dual_mov_b32 v4, v6 :: v_dual_mov_b32 v5, v7
.LBB260_1459:                           ;   in Loop: Header=BB260_806 Depth=1
	s_or_b32 exec_lo, exec_lo, s15
.LBB260_1460:                           ;   in Loop: Header=BB260_806 Depth=1
	s_delay_alu instid0(SALU_CYCLE_1)
	s_or_b32 exec_lo, exec_lo, s13
.LBB260_1461:                           ;   in Loop: Header=BB260_806 Depth=1
	s_delay_alu instid0(SALU_CYCLE_1) | instskip(SKIP_2) | instid1(VALU_DEP_1)
	s_or_b32 exec_lo, exec_lo, s10
	v_lshrrev_b16 v6, 8, v89
	s_mov_b32 s13, exec_lo
	v_cmpx_ne_u16_e32 0, v6
	s_cbranch_execz .LBB260_1469
; %bb.1462:                             ;   in Loop: Header=BB260_806 Depth=1
	v_dual_mov_b32 v15, s9 :: v_dual_mov_b32 v14, s8
	s_mov_b32 s15, exec_lo
	v_cmpx_ne_u16_e32 0x80, v6
	s_cbranch_execz .LBB260_1468
; %bb.1463:                             ;   in Loop: Header=BB260_806 Depth=1
	s_mov_b32 s10, s8
	v_dual_mov_b32 v15, s11 :: v_dual_and_b32 v6, 0xffff, v6
	v_mov_b32_e32 v14, s10
	s_mov_b32 s10, exec_lo
	s_delay_alu instid0(VALU_DEP_2) | instskip(NEXT) | instid1(VALU_DEP_1)
	v_and_b32_e32 v16, 0x7f, v6
	v_cmpx_ne_u32_e32 0x7f, v16
	s_cbranch_execz .LBB260_1467
; %bb.1464:                             ;   in Loop: Header=BB260_806 Depth=1
	v_and_b32_e32 v6, 7, v6
	v_lshrrev_b32_e32 v14, 3, v16
	s_mov_b32 s16, exec_lo
	v_cmpx_gt_u32_e32 8, v16
; %bb.1465:                             ;   in Loop: Header=BB260_806 Depth=1
	s_delay_alu instid0(VALU_DEP_3) | instskip(NEXT) | instid1(VALU_DEP_1)
	v_clz_i32_u32_e32 v14, v6
	v_min_u32_e32 v14, 32, v14
	s_delay_alu instid0(VALU_DEP_1) | instskip(SKIP_1) | instid1(VALU_DEP_2)
	v_subrev_nc_u32_e32 v15, 28, v14
	v_sub_nc_u32_e32 v14, 29, v14
	v_lshlrev_b64 v[15:16], v15, v[6:7]
	s_delay_alu instid0(VALU_DEP_1)
	v_and_b32_e32 v6, 7, v15
; %bb.1466:                             ;   in Loop: Header=BB260_806 Depth=1
	s_or_b32 exec_lo, exec_lo, s16
	v_lshlrev_b32_e32 v15, 16, v89
	s_delay_alu instid0(VALU_DEP_2) | instskip(SKIP_1) | instid1(VALU_DEP_3)
	v_lshlrev_b32_e32 v6, 20, v6
	v_lshl_add_u32 v14, v14, 23, 0x3c000000
	v_and_b32_e32 v15, 0x80000000, v15
	s_delay_alu instid0(VALU_DEP_1)
	v_or3_b32 v15, v6, v15, v14
	v_mov_b32_e32 v14, v7
.LBB260_1467:                           ;   in Loop: Header=BB260_806 Depth=1
	s_or_b32 exec_lo, exec_lo, s10
.LBB260_1468:                           ;   in Loop: Header=BB260_806 Depth=1
	s_delay_alu instid0(SALU_CYCLE_1)
	s_or_b32 exec_lo, exec_lo, s15
.LBB260_1469:                           ;   in Loop: Header=BB260_806 Depth=1
	s_delay_alu instid0(SALU_CYCLE_1) | instskip(SKIP_4) | instid1(VALU_DEP_2)
	s_or_b32 exec_lo, exec_lo, s13
	v_mov_b32_e32 v18, 0
	v_lshrrev_b32_e32 v90, 16, v89
	v_mov_b32_e32 v19, 0
	s_mov_b32 s10, exec_lo
	v_and_b32_e32 v6, 0xff, v90
	s_delay_alu instid0(VALU_DEP_2) | instskip(NEXT) | instid1(VALU_DEP_2)
	v_dual_mov_b32 v16, v18 :: v_dual_mov_b32 v17, v19
	v_cmpx_ne_u16_e32 0, v6
	s_cbranch_execz .LBB260_1477
; %bb.1470:                             ;   in Loop: Header=BB260_806 Depth=1
	v_bfrev_b32_e32 v16, 1
	v_mov_b32_e32 v17, 0
	s_mov_b32 s13, exec_lo
	v_cmpx_ne_u16_e32 0x80, v6
	s_cbranch_execz .LBB260_1476
; %bb.1471:                             ;   in Loop: Header=BB260_806 Depth=1
	v_mov_b32_e32 v16, 0x7f800001
	v_bfe_u32 v91, v89, 16, 7
	v_mov_b32_e32 v17, 0
	s_mov_b32 s15, exec_lo
	s_delay_alu instid0(VALU_DEP_2)
	v_cmpx_ne_u32_e32 0x7f, v91
	s_cbranch_execz .LBB260_1475
; %bb.1472:                             ;   in Loop: Header=BB260_806 Depth=1
	v_and_b32_e32 v6, 7, v90
	v_lshrrev_b32_e32 v16, 3, v91
	s_mov_b32 s16, exec_lo
	v_cmpx_gt_u32_e32 8, v91
; %bb.1473:                             ;   in Loop: Header=BB260_806 Depth=1
	s_delay_alu instid0(VALU_DEP_3) | instskip(NEXT) | instid1(VALU_DEP_1)
	v_clz_i32_u32_e32 v16, v6
	v_min_u32_e32 v16, 32, v16
	s_delay_alu instid0(VALU_DEP_1) | instskip(SKIP_1) | instid1(VALU_DEP_2)
	v_subrev_nc_u32_e32 v17, 28, v16
	v_sub_nc_u32_e32 v16, 29, v16
	v_lshlrev_b64 v[91:92], v17, v[6:7]
	s_delay_alu instid0(VALU_DEP_1)
	v_and_b32_e32 v6, 7, v91
; %bb.1474:                             ;   in Loop: Header=BB260_806 Depth=1
	s_or_b32 exec_lo, exec_lo, s16
	v_lshlrev_b32_e32 v17, 24, v90
	s_delay_alu instid0(VALU_DEP_2) | instskip(SKIP_1) | instid1(VALU_DEP_3)
	v_lshlrev_b32_e32 v6, 20, v6
	v_lshl_add_u32 v16, v16, 23, 0x3c000000
	v_and_b32_e32 v17, 0x80000000, v17
	s_delay_alu instid0(VALU_DEP_1) | instskip(NEXT) | instid1(VALU_DEP_1)
	v_or3_b32 v6, v6, v17, v16
	v_dual_mov_b32 v17, v7 :: v_dual_mov_b32 v16, v6
.LBB260_1475:                           ;   in Loop: Header=BB260_806 Depth=1
	s_or_b32 exec_lo, exec_lo, s15
.LBB260_1476:                           ;   in Loop: Header=BB260_806 Depth=1
	s_delay_alu instid0(SALU_CYCLE_1)
	s_or_b32 exec_lo, exec_lo, s13
.LBB260_1477:                           ;   in Loop: Header=BB260_806 Depth=1
	s_delay_alu instid0(SALU_CYCLE_1) | instskip(NEXT) | instid1(SALU_CYCLE_1)
	s_or_b32 exec_lo, exec_lo, s10
	s_mov_b32 s13, exec_lo
	v_cmpx_lt_u32_e32 0xffffff, v89
	s_cbranch_execz .LBB260_1485
; %bb.1478:                             ;   in Loop: Header=BB260_806 Depth=1
	v_lshrrev_b32_e32 v90, 24, v89
	v_dual_mov_b32 v19, s9 :: v_dual_mov_b32 v18, s8
	s_mov_b32 s15, exec_lo
	s_delay_alu instid0(VALU_DEP_2)
	v_cmpx_ne_u32_e32 0x80, v90
	s_cbranch_execz .LBB260_1484
; %bb.1479:                             ;   in Loop: Header=BB260_806 Depth=1
	s_mov_b32 s10, s8
	v_bfe_u32 v89, v89, 24, 7
	v_dual_mov_b32 v19, s11 :: v_dual_mov_b32 v18, s10
	s_mov_b32 s10, exec_lo
	s_delay_alu instid0(VALU_DEP_2)
	v_cmpx_ne_u32_e32 0x7f, v89
	s_cbranch_execz .LBB260_1483
; %bb.1480:                             ;   in Loop: Header=BB260_806 Depth=1
	v_and_b32_e32 v6, 7, v90
	v_lshrrev_b32_e32 v18, 3, v89
	s_mov_b32 s16, exec_lo
	v_cmpx_gt_u32_e32 8, v89
; %bb.1481:                             ;   in Loop: Header=BB260_806 Depth=1
	s_delay_alu instid0(VALU_DEP_3) | instskip(NEXT) | instid1(VALU_DEP_1)
	v_clz_i32_u32_e32 v18, v6
	v_min_u32_e32 v18, 32, v18
	s_delay_alu instid0(VALU_DEP_1) | instskip(SKIP_1) | instid1(VALU_DEP_2)
	v_subrev_nc_u32_e32 v19, 28, v18
	v_sub_nc_u32_e32 v18, 29, v18
	v_lshlrev_b64 v[91:92], v19, v[6:7]
	s_delay_alu instid0(VALU_DEP_1)
	v_and_b32_e32 v6, 7, v91
; %bb.1482:                             ;   in Loop: Header=BB260_806 Depth=1
	s_or_b32 exec_lo, exec_lo, s16
	v_lshlrev_b32_e32 v19, 24, v90
	s_delay_alu instid0(VALU_DEP_2) | instskip(SKIP_1) | instid1(VALU_DEP_3)
	v_lshlrev_b32_e32 v6, 20, v6
	v_lshl_add_u32 v18, v18, 23, 0x3c000000
	v_and_b32_e32 v19, 0x80000000, v19
	s_delay_alu instid0(VALU_DEP_1)
	v_or3_b32 v19, v6, v19, v18
	v_mov_b32_e32 v18, v7
.LBB260_1483:                           ;   in Loop: Header=BB260_806 Depth=1
	s_or_b32 exec_lo, exec_lo, s10
.LBB260_1484:                           ;   in Loop: Header=BB260_806 Depth=1
	s_delay_alu instid0(SALU_CYCLE_1)
	s_or_b32 exec_lo, exec_lo, s15
.LBB260_1485:                           ;   in Loop: Header=BB260_806 Depth=1
	s_delay_alu instid0(SALU_CYCLE_1) | instskip(SKIP_4) | instid1(VALU_DEP_4)
	s_or_b32 exec_lo, exec_lo, s13
	v_or_b32_e32 v5, v15, v5
	v_or_b32_e32 v4, v14, v4
	;; [unrolled: 1-line block ×4, first 2 shown]
	v_mul_f32_e32 v92, v20, v5
	s_delay_alu instid0(VALU_DEP_4) | instskip(NEXT) | instid1(VALU_DEP_4)
	v_mul_f32_e32 v91, v20, v4
	v_mul_f32_e32 v89, v20, v6
	s_delay_alu instid0(VALU_DEP_4)
	v_mul_f32_e32 v90, v20, v14
	s_and_saveexec_b32 s10, vcc_lo
; %bb.1486:                             ;   in Loop: Header=BB260_806 Depth=1
	v_cmp_lt_i32_e64 s0, v84, v25
	s_delay_alu instid0(VALU_DEP_1) | instskip(SKIP_1) | instid1(VALU_DEP_1)
	v_cndmask_b32_e64 v91, 0, v91, s0
	v_cmp_lt_i32_e64 s0, v87, v25
	v_cndmask_b32_e64 v92, 0, v92, s0
	v_cmp_lt_i32_e64 s0, v86, v25
	s_delay_alu instid0(VALU_DEP_1) | instskip(SKIP_1) | instid1(VALU_DEP_1)
	v_cndmask_b32_e64 v90, 0, v90, s0
	v_cmp_lt_i32_e64 s0, v85, v25
	v_cndmask_b32_e64 v89, 0, v89, s0
; %bb.1487:                             ;   in Loop: Header=BB260_806 Depth=1
	s_or_b32 exec_lo, exec_lo, s10
	flat_load_b32 v93, v[12:13] offset:2560
	v_mov_b32_e32 v14, 0
	v_mov_b32_e32 v15, 0
	s_mov_b32 s10, exec_lo
	s_waitcnt vmcnt(0) lgkmcnt(0)
	v_and_b32_e32 v6, 0xff, v93
	s_delay_alu instid0(VALU_DEP_2) | instskip(NEXT) | instid1(VALU_DEP_2)
	v_dual_mov_b32 v4, v14 :: v_dual_mov_b32 v5, v15
	v_cmpx_ne_u16_e32 0, v6
	s_cbranch_execz .LBB260_1495
; %bb.1488:                             ;   in Loop: Header=BB260_806 Depth=1
	v_bfrev_b32_e32 v4, 1
	v_mov_b32_e32 v5, 0
	s_mov_b32 s13, exec_lo
	v_cmpx_ne_u16_e32 0x80, v6
	s_cbranch_execz .LBB260_1494
; %bb.1489:                             ;   in Loop: Header=BB260_806 Depth=1
	v_mov_b32_e32 v4, 0x7f800001
	v_dual_mov_b32 v5, 0 :: v_dual_and_b32 v16, 0x7f, v93
	s_mov_b32 s15, exec_lo
	s_delay_alu instid0(VALU_DEP_1)
	v_cmpx_ne_u32_e32 0x7f, v16
	s_cbranch_execz .LBB260_1493
; %bb.1490:                             ;   in Loop: Header=BB260_806 Depth=1
	v_and_b32_e32 v6, 7, v93
	v_lshrrev_b32_e32 v4, 3, v16
	s_mov_b32 s16, exec_lo
	v_cmpx_gt_u32_e32 8, v16
; %bb.1491:                             ;   in Loop: Header=BB260_806 Depth=1
	s_delay_alu instid0(VALU_DEP_3) | instskip(NEXT) | instid1(VALU_DEP_1)
	v_clz_i32_u32_e32 v4, v6
	v_min_u32_e32 v4, 32, v4
	s_delay_alu instid0(VALU_DEP_1) | instskip(SKIP_1) | instid1(VALU_DEP_2)
	v_subrev_nc_u32_e32 v5, 28, v4
	v_sub_nc_u32_e32 v4, 29, v4
	v_lshlrev_b64 v[5:6], v5, v[6:7]
	s_delay_alu instid0(VALU_DEP_1)
	v_and_b32_e32 v6, 7, v5
; %bb.1492:                             ;   in Loop: Header=BB260_806 Depth=1
	s_or_b32 exec_lo, exec_lo, s16
	v_lshlrev_b32_e32 v5, 24, v93
	s_delay_alu instid0(VALU_DEP_2) | instskip(SKIP_1) | instid1(VALU_DEP_3)
	v_lshlrev_b32_e32 v6, 20, v6
	v_lshl_add_u32 v4, v4, 23, 0x3c000000
	v_and_b32_e32 v5, 0x80000000, v5
	s_delay_alu instid0(VALU_DEP_1) | instskip(NEXT) | instid1(VALU_DEP_1)
	v_or3_b32 v6, v6, v5, v4
	v_dual_mov_b32 v4, v6 :: v_dual_mov_b32 v5, v7
.LBB260_1493:                           ;   in Loop: Header=BB260_806 Depth=1
	s_or_b32 exec_lo, exec_lo, s15
.LBB260_1494:                           ;   in Loop: Header=BB260_806 Depth=1
	s_delay_alu instid0(SALU_CYCLE_1)
	s_or_b32 exec_lo, exec_lo, s13
.LBB260_1495:                           ;   in Loop: Header=BB260_806 Depth=1
	s_delay_alu instid0(SALU_CYCLE_1) | instskip(SKIP_2) | instid1(VALU_DEP_1)
	s_or_b32 exec_lo, exec_lo, s10
	v_lshrrev_b16 v6, 8, v93
	s_mov_b32 s13, exec_lo
	v_cmpx_ne_u16_e32 0, v6
	s_cbranch_execz .LBB260_1503
; %bb.1496:                             ;   in Loop: Header=BB260_806 Depth=1
	v_dual_mov_b32 v15, s9 :: v_dual_mov_b32 v14, s8
	s_mov_b32 s15, exec_lo
	v_cmpx_ne_u16_e32 0x80, v6
	s_cbranch_execz .LBB260_1502
; %bb.1497:                             ;   in Loop: Header=BB260_806 Depth=1
	s_mov_b32 s10, s8
	v_dual_mov_b32 v15, s11 :: v_dual_and_b32 v6, 0xffff, v6
	v_mov_b32_e32 v14, s10
	s_mov_b32 s10, exec_lo
	s_delay_alu instid0(VALU_DEP_2) | instskip(NEXT) | instid1(VALU_DEP_1)
	v_and_b32_e32 v16, 0x7f, v6
	v_cmpx_ne_u32_e32 0x7f, v16
	s_cbranch_execz .LBB260_1501
; %bb.1498:                             ;   in Loop: Header=BB260_806 Depth=1
	v_and_b32_e32 v6, 7, v6
	v_lshrrev_b32_e32 v14, 3, v16
	s_mov_b32 s16, exec_lo
	v_cmpx_gt_u32_e32 8, v16
; %bb.1499:                             ;   in Loop: Header=BB260_806 Depth=1
	s_delay_alu instid0(VALU_DEP_3) | instskip(NEXT) | instid1(VALU_DEP_1)
	v_clz_i32_u32_e32 v14, v6
	v_min_u32_e32 v14, 32, v14
	s_delay_alu instid0(VALU_DEP_1) | instskip(SKIP_1) | instid1(VALU_DEP_2)
	v_subrev_nc_u32_e32 v15, 28, v14
	v_sub_nc_u32_e32 v14, 29, v14
	v_lshlrev_b64 v[15:16], v15, v[6:7]
	s_delay_alu instid0(VALU_DEP_1)
	v_and_b32_e32 v6, 7, v15
; %bb.1500:                             ;   in Loop: Header=BB260_806 Depth=1
	s_or_b32 exec_lo, exec_lo, s16
	v_lshlrev_b32_e32 v15, 16, v93
	s_delay_alu instid0(VALU_DEP_2) | instskip(SKIP_1) | instid1(VALU_DEP_3)
	v_lshlrev_b32_e32 v6, 20, v6
	v_lshl_add_u32 v14, v14, 23, 0x3c000000
	v_and_b32_e32 v15, 0x80000000, v15
	s_delay_alu instid0(VALU_DEP_1)
	v_or3_b32 v15, v6, v15, v14
	v_mov_b32_e32 v14, v7
.LBB260_1501:                           ;   in Loop: Header=BB260_806 Depth=1
	s_or_b32 exec_lo, exec_lo, s10
.LBB260_1502:                           ;   in Loop: Header=BB260_806 Depth=1
	s_delay_alu instid0(SALU_CYCLE_1)
	s_or_b32 exec_lo, exec_lo, s15
.LBB260_1503:                           ;   in Loop: Header=BB260_806 Depth=1
	s_delay_alu instid0(SALU_CYCLE_1) | instskip(SKIP_4) | instid1(VALU_DEP_2)
	s_or_b32 exec_lo, exec_lo, s13
	v_mov_b32_e32 v18, 0
	v_lshrrev_b32_e32 v94, 16, v93
	v_mov_b32_e32 v19, 0
	s_mov_b32 s10, exec_lo
	v_and_b32_e32 v6, 0xff, v94
	s_delay_alu instid0(VALU_DEP_2) | instskip(NEXT) | instid1(VALU_DEP_2)
	v_dual_mov_b32 v16, v18 :: v_dual_mov_b32 v17, v19
	v_cmpx_ne_u16_e32 0, v6
	s_cbranch_execz .LBB260_1511
; %bb.1504:                             ;   in Loop: Header=BB260_806 Depth=1
	v_bfrev_b32_e32 v16, 1
	v_mov_b32_e32 v17, 0
	s_mov_b32 s13, exec_lo
	v_cmpx_ne_u16_e32 0x80, v6
	s_cbranch_execz .LBB260_1510
; %bb.1505:                             ;   in Loop: Header=BB260_806 Depth=1
	v_mov_b32_e32 v16, 0x7f800001
	v_bfe_u32 v95, v93, 16, 7
	v_mov_b32_e32 v17, 0
	s_mov_b32 s15, exec_lo
	s_delay_alu instid0(VALU_DEP_2)
	v_cmpx_ne_u32_e32 0x7f, v95
	s_cbranch_execz .LBB260_1509
; %bb.1506:                             ;   in Loop: Header=BB260_806 Depth=1
	v_and_b32_e32 v6, 7, v94
	v_lshrrev_b32_e32 v16, 3, v95
	s_mov_b32 s16, exec_lo
	v_cmpx_gt_u32_e32 8, v95
; %bb.1507:                             ;   in Loop: Header=BB260_806 Depth=1
	s_delay_alu instid0(VALU_DEP_3) | instskip(NEXT) | instid1(VALU_DEP_1)
	v_clz_i32_u32_e32 v16, v6
	v_min_u32_e32 v16, 32, v16
	s_delay_alu instid0(VALU_DEP_1) | instskip(SKIP_1) | instid1(VALU_DEP_2)
	v_subrev_nc_u32_e32 v17, 28, v16
	v_sub_nc_u32_e32 v16, 29, v16
	v_lshlrev_b64 v[104:105], v17, v[6:7]
	s_delay_alu instid0(VALU_DEP_1)
	v_and_b32_e32 v6, 7, v104
; %bb.1508:                             ;   in Loop: Header=BB260_806 Depth=1
	s_or_b32 exec_lo, exec_lo, s16
	v_lshlrev_b32_e32 v17, 24, v94
	s_delay_alu instid0(VALU_DEP_2) | instskip(SKIP_1) | instid1(VALU_DEP_3)
	v_lshlrev_b32_e32 v6, 20, v6
	v_lshl_add_u32 v16, v16, 23, 0x3c000000
	v_and_b32_e32 v17, 0x80000000, v17
	s_delay_alu instid0(VALU_DEP_1) | instskip(NEXT) | instid1(VALU_DEP_1)
	v_or3_b32 v6, v6, v17, v16
	v_dual_mov_b32 v17, v7 :: v_dual_mov_b32 v16, v6
.LBB260_1509:                           ;   in Loop: Header=BB260_806 Depth=1
	s_or_b32 exec_lo, exec_lo, s15
.LBB260_1510:                           ;   in Loop: Header=BB260_806 Depth=1
	s_delay_alu instid0(SALU_CYCLE_1)
	s_or_b32 exec_lo, exec_lo, s13
.LBB260_1511:                           ;   in Loop: Header=BB260_806 Depth=1
	s_delay_alu instid0(SALU_CYCLE_1) | instskip(NEXT) | instid1(SALU_CYCLE_1)
	s_or_b32 exec_lo, exec_lo, s10
	s_mov_b32 s13, exec_lo
	v_cmpx_lt_u32_e32 0xffffff, v93
	s_cbranch_execz .LBB260_1519
; %bb.1512:                             ;   in Loop: Header=BB260_806 Depth=1
	v_lshrrev_b32_e32 v94, 24, v93
	v_dual_mov_b32 v19, s9 :: v_dual_mov_b32 v18, s8
	s_mov_b32 s15, exec_lo
	s_delay_alu instid0(VALU_DEP_2)
	v_cmpx_ne_u32_e32 0x80, v94
	s_cbranch_execz .LBB260_1518
; %bb.1513:                             ;   in Loop: Header=BB260_806 Depth=1
	s_mov_b32 s10, s8
	v_bfe_u32 v93, v93, 24, 7
	v_dual_mov_b32 v19, s11 :: v_dual_mov_b32 v18, s10
	s_mov_b32 s10, exec_lo
	s_delay_alu instid0(VALU_DEP_2)
	v_cmpx_ne_u32_e32 0x7f, v93
	s_cbranch_execz .LBB260_1517
; %bb.1514:                             ;   in Loop: Header=BB260_806 Depth=1
	v_and_b32_e32 v6, 7, v94
	v_lshrrev_b32_e32 v18, 3, v93
	s_mov_b32 s16, exec_lo
	v_cmpx_gt_u32_e32 8, v93
; %bb.1515:                             ;   in Loop: Header=BB260_806 Depth=1
	s_delay_alu instid0(VALU_DEP_3) | instskip(NEXT) | instid1(VALU_DEP_1)
	v_clz_i32_u32_e32 v18, v6
	v_min_u32_e32 v18, 32, v18
	s_delay_alu instid0(VALU_DEP_1) | instskip(SKIP_1) | instid1(VALU_DEP_2)
	v_subrev_nc_u32_e32 v19, 28, v18
	v_sub_nc_u32_e32 v18, 29, v18
	v_lshlrev_b64 v[104:105], v19, v[6:7]
	s_delay_alu instid0(VALU_DEP_1)
	v_and_b32_e32 v6, 7, v104
; %bb.1516:                             ;   in Loop: Header=BB260_806 Depth=1
	s_or_b32 exec_lo, exec_lo, s16
	v_lshlrev_b32_e32 v19, 24, v94
	s_delay_alu instid0(VALU_DEP_2) | instskip(SKIP_1) | instid1(VALU_DEP_3)
	v_lshlrev_b32_e32 v6, 20, v6
	v_lshl_add_u32 v18, v18, 23, 0x3c000000
	v_and_b32_e32 v19, 0x80000000, v19
	s_delay_alu instid0(VALU_DEP_1)
	v_or3_b32 v19, v6, v19, v18
	v_mov_b32_e32 v18, v7
.LBB260_1517:                           ;   in Loop: Header=BB260_806 Depth=1
	s_or_b32 exec_lo, exec_lo, s10
.LBB260_1518:                           ;   in Loop: Header=BB260_806 Depth=1
	s_delay_alu instid0(SALU_CYCLE_1)
	s_or_b32 exec_lo, exec_lo, s15
.LBB260_1519:                           ;   in Loop: Header=BB260_806 Depth=1
	s_delay_alu instid0(SALU_CYCLE_1) | instskip(SKIP_4) | instid1(VALU_DEP_4)
	s_or_b32 exec_lo, exec_lo, s13
	v_or_b32_e32 v5, v15, v5
	v_or_b32_e32 v4, v14, v4
	;; [unrolled: 1-line block ×4, first 2 shown]
	v_mul_f32_e32 v104, v20, v5
	s_delay_alu instid0(VALU_DEP_4) | instskip(NEXT) | instid1(VALU_DEP_4)
	v_mul_f32_e32 v95, v20, v4
	v_mul_f32_e32 v93, v20, v6
	s_delay_alu instid0(VALU_DEP_4)
	v_mul_f32_e32 v94, v20, v14
	s_and_saveexec_b32 s10, vcc_lo
; %bb.1520:                             ;   in Loop: Header=BB260_806 Depth=1
	v_cmp_lt_i32_e64 s0, v84, v25
	s_delay_alu instid0(VALU_DEP_1) | instskip(SKIP_1) | instid1(VALU_DEP_1)
	v_cndmask_b32_e64 v95, 0, v95, s0
	v_cmp_lt_i32_e64 s0, v87, v25
	v_cndmask_b32_e64 v104, 0, v104, s0
	v_cmp_lt_i32_e64 s0, v86, v25
	s_delay_alu instid0(VALU_DEP_1) | instskip(SKIP_1) | instid1(VALU_DEP_1)
	v_cndmask_b32_e64 v94, 0, v94, s0
	v_cmp_lt_i32_e64 s0, v85, v25
	v_cndmask_b32_e64 v93, 0, v93, s0
; %bb.1521:                             ;   in Loop: Header=BB260_806 Depth=1
	s_or_b32 exec_lo, exec_lo, s10
	flat_load_b32 v105, v[12:13] offset:2688
	v_mov_b32_e32 v14, 0
	v_mov_b32_e32 v15, 0
	s_mov_b32 s10, exec_lo
	s_waitcnt vmcnt(0) lgkmcnt(0)
	v_and_b32_e32 v6, 0xff, v105
	s_delay_alu instid0(VALU_DEP_2) | instskip(NEXT) | instid1(VALU_DEP_2)
	v_dual_mov_b32 v4, v14 :: v_dual_mov_b32 v5, v15
	v_cmpx_ne_u16_e32 0, v6
	s_cbranch_execz .LBB260_1529
; %bb.1522:                             ;   in Loop: Header=BB260_806 Depth=1
	v_bfrev_b32_e32 v4, 1
	v_mov_b32_e32 v5, 0
	s_mov_b32 s13, exec_lo
	v_cmpx_ne_u16_e32 0x80, v6
	s_cbranch_execz .LBB260_1528
; %bb.1523:                             ;   in Loop: Header=BB260_806 Depth=1
	v_mov_b32_e32 v4, 0x7f800001
	v_dual_mov_b32 v5, 0 :: v_dual_and_b32 v16, 0x7f, v105
	s_mov_b32 s15, exec_lo
	s_delay_alu instid0(VALU_DEP_1)
	v_cmpx_ne_u32_e32 0x7f, v16
	s_cbranch_execz .LBB260_1527
; %bb.1524:                             ;   in Loop: Header=BB260_806 Depth=1
	v_and_b32_e32 v6, 7, v105
	v_lshrrev_b32_e32 v4, 3, v16
	s_mov_b32 s16, exec_lo
	v_cmpx_gt_u32_e32 8, v16
; %bb.1525:                             ;   in Loop: Header=BB260_806 Depth=1
	s_delay_alu instid0(VALU_DEP_3) | instskip(NEXT) | instid1(VALU_DEP_1)
	v_clz_i32_u32_e32 v4, v6
	v_min_u32_e32 v4, 32, v4
	s_delay_alu instid0(VALU_DEP_1) | instskip(SKIP_1) | instid1(VALU_DEP_2)
	v_subrev_nc_u32_e32 v5, 28, v4
	v_sub_nc_u32_e32 v4, 29, v4
	v_lshlrev_b64 v[5:6], v5, v[6:7]
	s_delay_alu instid0(VALU_DEP_1)
	v_and_b32_e32 v6, 7, v5
; %bb.1526:                             ;   in Loop: Header=BB260_806 Depth=1
	s_or_b32 exec_lo, exec_lo, s16
	v_lshlrev_b32_e32 v5, 24, v105
	s_delay_alu instid0(VALU_DEP_2) | instskip(SKIP_1) | instid1(VALU_DEP_3)
	v_lshlrev_b32_e32 v6, 20, v6
	v_lshl_add_u32 v4, v4, 23, 0x3c000000
	v_and_b32_e32 v5, 0x80000000, v5
	s_delay_alu instid0(VALU_DEP_1) | instskip(NEXT) | instid1(VALU_DEP_1)
	v_or3_b32 v6, v6, v5, v4
	v_dual_mov_b32 v4, v6 :: v_dual_mov_b32 v5, v7
.LBB260_1527:                           ;   in Loop: Header=BB260_806 Depth=1
	s_or_b32 exec_lo, exec_lo, s15
.LBB260_1528:                           ;   in Loop: Header=BB260_806 Depth=1
	s_delay_alu instid0(SALU_CYCLE_1)
	s_or_b32 exec_lo, exec_lo, s13
.LBB260_1529:                           ;   in Loop: Header=BB260_806 Depth=1
	s_delay_alu instid0(SALU_CYCLE_1) | instskip(SKIP_2) | instid1(VALU_DEP_1)
	s_or_b32 exec_lo, exec_lo, s10
	v_lshrrev_b16 v6, 8, v105
	s_mov_b32 s13, exec_lo
	v_cmpx_ne_u16_e32 0, v6
	s_cbranch_execz .LBB260_1537
; %bb.1530:                             ;   in Loop: Header=BB260_806 Depth=1
	v_dual_mov_b32 v15, s9 :: v_dual_mov_b32 v14, s8
	s_mov_b32 s15, exec_lo
	v_cmpx_ne_u16_e32 0x80, v6
	s_cbranch_execz .LBB260_1536
; %bb.1531:                             ;   in Loop: Header=BB260_806 Depth=1
	s_mov_b32 s10, s8
	v_dual_mov_b32 v15, s11 :: v_dual_and_b32 v6, 0xffff, v6
	v_mov_b32_e32 v14, s10
	s_mov_b32 s10, exec_lo
	s_delay_alu instid0(VALU_DEP_2) | instskip(NEXT) | instid1(VALU_DEP_1)
	v_and_b32_e32 v16, 0x7f, v6
	v_cmpx_ne_u32_e32 0x7f, v16
	s_cbranch_execz .LBB260_1535
; %bb.1532:                             ;   in Loop: Header=BB260_806 Depth=1
	v_and_b32_e32 v6, 7, v6
	v_lshrrev_b32_e32 v14, 3, v16
	s_mov_b32 s16, exec_lo
	v_cmpx_gt_u32_e32 8, v16
; %bb.1533:                             ;   in Loop: Header=BB260_806 Depth=1
	s_delay_alu instid0(VALU_DEP_3) | instskip(NEXT) | instid1(VALU_DEP_1)
	v_clz_i32_u32_e32 v14, v6
	v_min_u32_e32 v14, 32, v14
	s_delay_alu instid0(VALU_DEP_1) | instskip(SKIP_1) | instid1(VALU_DEP_2)
	v_subrev_nc_u32_e32 v15, 28, v14
	v_sub_nc_u32_e32 v14, 29, v14
	v_lshlrev_b64 v[15:16], v15, v[6:7]
	s_delay_alu instid0(VALU_DEP_1)
	v_and_b32_e32 v6, 7, v15
; %bb.1534:                             ;   in Loop: Header=BB260_806 Depth=1
	s_or_b32 exec_lo, exec_lo, s16
	v_lshlrev_b32_e32 v15, 16, v105
	s_delay_alu instid0(VALU_DEP_2) | instskip(SKIP_1) | instid1(VALU_DEP_3)
	v_lshlrev_b32_e32 v6, 20, v6
	v_lshl_add_u32 v14, v14, 23, 0x3c000000
	v_and_b32_e32 v15, 0x80000000, v15
	s_delay_alu instid0(VALU_DEP_1)
	v_or3_b32 v15, v6, v15, v14
	v_mov_b32_e32 v14, v7
.LBB260_1535:                           ;   in Loop: Header=BB260_806 Depth=1
	s_or_b32 exec_lo, exec_lo, s10
.LBB260_1536:                           ;   in Loop: Header=BB260_806 Depth=1
	s_delay_alu instid0(SALU_CYCLE_1)
	s_or_b32 exec_lo, exec_lo, s15
.LBB260_1537:                           ;   in Loop: Header=BB260_806 Depth=1
	s_delay_alu instid0(SALU_CYCLE_1) | instskip(SKIP_4) | instid1(VALU_DEP_2)
	s_or_b32 exec_lo, exec_lo, s13
	v_mov_b32_e32 v18, 0
	v_lshrrev_b32_e32 v106, 16, v105
	v_mov_b32_e32 v19, 0
	s_mov_b32 s10, exec_lo
	v_and_b32_e32 v6, 0xff, v106
	s_delay_alu instid0(VALU_DEP_2) | instskip(NEXT) | instid1(VALU_DEP_2)
	v_dual_mov_b32 v16, v18 :: v_dual_mov_b32 v17, v19
	v_cmpx_ne_u16_e32 0, v6
	s_cbranch_execz .LBB260_1545
; %bb.1538:                             ;   in Loop: Header=BB260_806 Depth=1
	v_bfrev_b32_e32 v16, 1
	v_mov_b32_e32 v17, 0
	s_mov_b32 s13, exec_lo
	v_cmpx_ne_u16_e32 0x80, v6
	s_cbranch_execz .LBB260_1544
; %bb.1539:                             ;   in Loop: Header=BB260_806 Depth=1
	v_mov_b32_e32 v16, 0x7f800001
	v_bfe_u32 v107, v105, 16, 7
	v_mov_b32_e32 v17, 0
	s_mov_b32 s15, exec_lo
	s_delay_alu instid0(VALU_DEP_2)
	v_cmpx_ne_u32_e32 0x7f, v107
	s_cbranch_execz .LBB260_1543
; %bb.1540:                             ;   in Loop: Header=BB260_806 Depth=1
	v_and_b32_e32 v6, 7, v106
	v_lshrrev_b32_e32 v16, 3, v107
	s_mov_b32 s16, exec_lo
	v_cmpx_gt_u32_e32 8, v107
; %bb.1541:                             ;   in Loop: Header=BB260_806 Depth=1
	s_delay_alu instid0(VALU_DEP_3) | instskip(NEXT) | instid1(VALU_DEP_1)
	v_clz_i32_u32_e32 v16, v6
	v_min_u32_e32 v16, 32, v16
	s_delay_alu instid0(VALU_DEP_1) | instskip(SKIP_1) | instid1(VALU_DEP_2)
	v_subrev_nc_u32_e32 v17, 28, v16
	v_sub_nc_u32_e32 v16, 29, v16
	v_lshlrev_b64 v[107:108], v17, v[6:7]
	s_delay_alu instid0(VALU_DEP_1)
	v_and_b32_e32 v6, 7, v107
; %bb.1542:                             ;   in Loop: Header=BB260_806 Depth=1
	s_or_b32 exec_lo, exec_lo, s16
	v_lshlrev_b32_e32 v17, 24, v106
	s_delay_alu instid0(VALU_DEP_2) | instskip(SKIP_1) | instid1(VALU_DEP_3)
	v_lshlrev_b32_e32 v6, 20, v6
	v_lshl_add_u32 v16, v16, 23, 0x3c000000
	v_and_b32_e32 v17, 0x80000000, v17
	s_delay_alu instid0(VALU_DEP_1) | instskip(NEXT) | instid1(VALU_DEP_1)
	v_or3_b32 v6, v6, v17, v16
	v_dual_mov_b32 v17, v7 :: v_dual_mov_b32 v16, v6
.LBB260_1543:                           ;   in Loop: Header=BB260_806 Depth=1
	s_or_b32 exec_lo, exec_lo, s15
.LBB260_1544:                           ;   in Loop: Header=BB260_806 Depth=1
	s_delay_alu instid0(SALU_CYCLE_1)
	s_or_b32 exec_lo, exec_lo, s13
.LBB260_1545:                           ;   in Loop: Header=BB260_806 Depth=1
	s_delay_alu instid0(SALU_CYCLE_1) | instskip(NEXT) | instid1(SALU_CYCLE_1)
	s_or_b32 exec_lo, exec_lo, s10
	s_mov_b32 s13, exec_lo
	v_cmpx_lt_u32_e32 0xffffff, v105
	s_cbranch_execz .LBB260_1553
; %bb.1546:                             ;   in Loop: Header=BB260_806 Depth=1
	v_lshrrev_b32_e32 v106, 24, v105
	v_dual_mov_b32 v19, s9 :: v_dual_mov_b32 v18, s8
	s_mov_b32 s15, exec_lo
	s_delay_alu instid0(VALU_DEP_2)
	v_cmpx_ne_u32_e32 0x80, v106
	s_cbranch_execz .LBB260_1552
; %bb.1547:                             ;   in Loop: Header=BB260_806 Depth=1
	s_mov_b32 s10, s8
	v_bfe_u32 v105, v105, 24, 7
	v_dual_mov_b32 v19, s11 :: v_dual_mov_b32 v18, s10
	s_mov_b32 s10, exec_lo
	s_delay_alu instid0(VALU_DEP_2)
	v_cmpx_ne_u32_e32 0x7f, v105
	s_cbranch_execz .LBB260_1551
; %bb.1548:                             ;   in Loop: Header=BB260_806 Depth=1
	v_and_b32_e32 v6, 7, v106
	v_lshrrev_b32_e32 v18, 3, v105
	s_mov_b32 s16, exec_lo
	v_cmpx_gt_u32_e32 8, v105
; %bb.1549:                             ;   in Loop: Header=BB260_806 Depth=1
	s_delay_alu instid0(VALU_DEP_3) | instskip(NEXT) | instid1(VALU_DEP_1)
	v_clz_i32_u32_e32 v18, v6
	v_min_u32_e32 v18, 32, v18
	s_delay_alu instid0(VALU_DEP_1) | instskip(SKIP_1) | instid1(VALU_DEP_2)
	v_subrev_nc_u32_e32 v19, 28, v18
	v_sub_nc_u32_e32 v18, 29, v18
	v_lshlrev_b64 v[107:108], v19, v[6:7]
	s_delay_alu instid0(VALU_DEP_1)
	v_and_b32_e32 v6, 7, v107
; %bb.1550:                             ;   in Loop: Header=BB260_806 Depth=1
	s_or_b32 exec_lo, exec_lo, s16
	v_lshlrev_b32_e32 v19, 24, v106
	s_delay_alu instid0(VALU_DEP_2) | instskip(SKIP_1) | instid1(VALU_DEP_3)
	v_lshlrev_b32_e32 v6, 20, v6
	v_lshl_add_u32 v18, v18, 23, 0x3c000000
	v_and_b32_e32 v19, 0x80000000, v19
	s_delay_alu instid0(VALU_DEP_1)
	v_or3_b32 v19, v6, v19, v18
	v_mov_b32_e32 v18, v7
.LBB260_1551:                           ;   in Loop: Header=BB260_806 Depth=1
	s_or_b32 exec_lo, exec_lo, s10
.LBB260_1552:                           ;   in Loop: Header=BB260_806 Depth=1
	s_delay_alu instid0(SALU_CYCLE_1)
	s_or_b32 exec_lo, exec_lo, s15
.LBB260_1553:                           ;   in Loop: Header=BB260_806 Depth=1
	s_delay_alu instid0(SALU_CYCLE_1) | instskip(SKIP_4) | instid1(VALU_DEP_4)
	s_or_b32 exec_lo, exec_lo, s13
	v_or_b32_e32 v5, v15, v5
	v_or_b32_e32 v4, v14, v4
	;; [unrolled: 1-line block ×4, first 2 shown]
	v_mul_f32_e32 v108, v20, v5
	s_delay_alu instid0(VALU_DEP_4) | instskip(NEXT) | instid1(VALU_DEP_4)
	v_mul_f32_e32 v107, v20, v4
	v_mul_f32_e32 v105, v20, v6
	s_delay_alu instid0(VALU_DEP_4)
	v_mul_f32_e32 v106, v20, v14
	s_and_saveexec_b32 s10, vcc_lo
; %bb.1554:                             ;   in Loop: Header=BB260_806 Depth=1
	v_cmp_lt_i32_e64 s0, v84, v25
	s_delay_alu instid0(VALU_DEP_1) | instskip(SKIP_1) | instid1(VALU_DEP_1)
	v_cndmask_b32_e64 v107, 0, v107, s0
	v_cmp_lt_i32_e64 s0, v87, v25
	v_cndmask_b32_e64 v108, 0, v108, s0
	v_cmp_lt_i32_e64 s0, v86, v25
	s_delay_alu instid0(VALU_DEP_1) | instskip(SKIP_1) | instid1(VALU_DEP_1)
	v_cndmask_b32_e64 v106, 0, v106, s0
	v_cmp_lt_i32_e64 s0, v85, v25
	v_cndmask_b32_e64 v105, 0, v105, s0
; %bb.1555:                             ;   in Loop: Header=BB260_806 Depth=1
	s_or_b32 exec_lo, exec_lo, s10
	flat_load_b32 v109, v[12:13] offset:2816
	v_mov_b32_e32 v14, 0
	v_mov_b32_e32 v15, 0
	s_mov_b32 s10, exec_lo
	s_waitcnt vmcnt(0) lgkmcnt(0)
	v_and_b32_e32 v6, 0xff, v109
	s_delay_alu instid0(VALU_DEP_2) | instskip(NEXT) | instid1(VALU_DEP_2)
	v_dual_mov_b32 v4, v14 :: v_dual_mov_b32 v5, v15
	v_cmpx_ne_u16_e32 0, v6
	s_cbranch_execz .LBB260_1563
; %bb.1556:                             ;   in Loop: Header=BB260_806 Depth=1
	v_bfrev_b32_e32 v4, 1
	v_mov_b32_e32 v5, 0
	s_mov_b32 s13, exec_lo
	v_cmpx_ne_u16_e32 0x80, v6
	s_cbranch_execz .LBB260_1562
; %bb.1557:                             ;   in Loop: Header=BB260_806 Depth=1
	v_mov_b32_e32 v4, 0x7f800001
	v_dual_mov_b32 v5, 0 :: v_dual_and_b32 v16, 0x7f, v109
	s_mov_b32 s15, exec_lo
	s_delay_alu instid0(VALU_DEP_1)
	v_cmpx_ne_u32_e32 0x7f, v16
	s_cbranch_execz .LBB260_1561
; %bb.1558:                             ;   in Loop: Header=BB260_806 Depth=1
	v_and_b32_e32 v6, 7, v109
	v_lshrrev_b32_e32 v4, 3, v16
	s_mov_b32 s16, exec_lo
	v_cmpx_gt_u32_e32 8, v16
; %bb.1559:                             ;   in Loop: Header=BB260_806 Depth=1
	s_delay_alu instid0(VALU_DEP_3) | instskip(NEXT) | instid1(VALU_DEP_1)
	v_clz_i32_u32_e32 v4, v6
	v_min_u32_e32 v4, 32, v4
	s_delay_alu instid0(VALU_DEP_1) | instskip(SKIP_1) | instid1(VALU_DEP_2)
	v_subrev_nc_u32_e32 v5, 28, v4
	v_sub_nc_u32_e32 v4, 29, v4
	v_lshlrev_b64 v[5:6], v5, v[6:7]
	s_delay_alu instid0(VALU_DEP_1)
	v_and_b32_e32 v6, 7, v5
; %bb.1560:                             ;   in Loop: Header=BB260_806 Depth=1
	s_or_b32 exec_lo, exec_lo, s16
	v_lshlrev_b32_e32 v5, 24, v109
	s_delay_alu instid0(VALU_DEP_2) | instskip(SKIP_1) | instid1(VALU_DEP_3)
	v_lshlrev_b32_e32 v6, 20, v6
	v_lshl_add_u32 v4, v4, 23, 0x3c000000
	v_and_b32_e32 v5, 0x80000000, v5
	s_delay_alu instid0(VALU_DEP_1) | instskip(NEXT) | instid1(VALU_DEP_1)
	v_or3_b32 v6, v6, v5, v4
	v_dual_mov_b32 v4, v6 :: v_dual_mov_b32 v5, v7
.LBB260_1561:                           ;   in Loop: Header=BB260_806 Depth=1
	s_or_b32 exec_lo, exec_lo, s15
.LBB260_1562:                           ;   in Loop: Header=BB260_806 Depth=1
	s_delay_alu instid0(SALU_CYCLE_1)
	s_or_b32 exec_lo, exec_lo, s13
.LBB260_1563:                           ;   in Loop: Header=BB260_806 Depth=1
	s_delay_alu instid0(SALU_CYCLE_1) | instskip(SKIP_2) | instid1(VALU_DEP_1)
	s_or_b32 exec_lo, exec_lo, s10
	v_lshrrev_b16 v6, 8, v109
	s_mov_b32 s13, exec_lo
	v_cmpx_ne_u16_e32 0, v6
	s_cbranch_execz .LBB260_1571
; %bb.1564:                             ;   in Loop: Header=BB260_806 Depth=1
	v_dual_mov_b32 v15, s9 :: v_dual_mov_b32 v14, s8
	s_mov_b32 s15, exec_lo
	v_cmpx_ne_u16_e32 0x80, v6
	s_cbranch_execz .LBB260_1570
; %bb.1565:                             ;   in Loop: Header=BB260_806 Depth=1
	s_mov_b32 s10, s8
	v_dual_mov_b32 v15, s11 :: v_dual_and_b32 v6, 0xffff, v6
	v_mov_b32_e32 v14, s10
	s_mov_b32 s10, exec_lo
	s_delay_alu instid0(VALU_DEP_2) | instskip(NEXT) | instid1(VALU_DEP_1)
	v_and_b32_e32 v16, 0x7f, v6
	v_cmpx_ne_u32_e32 0x7f, v16
	s_cbranch_execz .LBB260_1569
; %bb.1566:                             ;   in Loop: Header=BB260_806 Depth=1
	v_and_b32_e32 v6, 7, v6
	v_lshrrev_b32_e32 v14, 3, v16
	s_mov_b32 s16, exec_lo
	v_cmpx_gt_u32_e32 8, v16
; %bb.1567:                             ;   in Loop: Header=BB260_806 Depth=1
	s_delay_alu instid0(VALU_DEP_3) | instskip(NEXT) | instid1(VALU_DEP_1)
	v_clz_i32_u32_e32 v14, v6
	v_min_u32_e32 v14, 32, v14
	s_delay_alu instid0(VALU_DEP_1) | instskip(SKIP_1) | instid1(VALU_DEP_2)
	v_subrev_nc_u32_e32 v15, 28, v14
	v_sub_nc_u32_e32 v14, 29, v14
	v_lshlrev_b64 v[15:16], v15, v[6:7]
	s_delay_alu instid0(VALU_DEP_1)
	v_and_b32_e32 v6, 7, v15
; %bb.1568:                             ;   in Loop: Header=BB260_806 Depth=1
	s_or_b32 exec_lo, exec_lo, s16
	v_lshlrev_b32_e32 v15, 16, v109
	s_delay_alu instid0(VALU_DEP_2) | instskip(SKIP_1) | instid1(VALU_DEP_3)
	v_lshlrev_b32_e32 v6, 20, v6
	v_lshl_add_u32 v14, v14, 23, 0x3c000000
	v_and_b32_e32 v15, 0x80000000, v15
	s_delay_alu instid0(VALU_DEP_1)
	v_or3_b32 v15, v6, v15, v14
	v_mov_b32_e32 v14, v7
.LBB260_1569:                           ;   in Loop: Header=BB260_806 Depth=1
	s_or_b32 exec_lo, exec_lo, s10
.LBB260_1570:                           ;   in Loop: Header=BB260_806 Depth=1
	s_delay_alu instid0(SALU_CYCLE_1)
	s_or_b32 exec_lo, exec_lo, s15
.LBB260_1571:                           ;   in Loop: Header=BB260_806 Depth=1
	s_delay_alu instid0(SALU_CYCLE_1) | instskip(SKIP_4) | instid1(VALU_DEP_2)
	s_or_b32 exec_lo, exec_lo, s13
	v_mov_b32_e32 v18, 0
	v_lshrrev_b32_e32 v110, 16, v109
	v_mov_b32_e32 v19, 0
	s_mov_b32 s10, exec_lo
	v_and_b32_e32 v6, 0xff, v110
	s_delay_alu instid0(VALU_DEP_2) | instskip(NEXT) | instid1(VALU_DEP_2)
	v_dual_mov_b32 v16, v18 :: v_dual_mov_b32 v17, v19
	v_cmpx_ne_u16_e32 0, v6
	s_cbranch_execz .LBB260_1579
; %bb.1572:                             ;   in Loop: Header=BB260_806 Depth=1
	v_bfrev_b32_e32 v16, 1
	v_mov_b32_e32 v17, 0
	s_mov_b32 s13, exec_lo
	v_cmpx_ne_u16_e32 0x80, v6
	s_cbranch_execz .LBB260_1578
; %bb.1573:                             ;   in Loop: Header=BB260_806 Depth=1
	v_mov_b32_e32 v16, 0x7f800001
	v_bfe_u32 v111, v109, 16, 7
	v_mov_b32_e32 v17, 0
	s_mov_b32 s15, exec_lo
	s_delay_alu instid0(VALU_DEP_2)
	v_cmpx_ne_u32_e32 0x7f, v111
	s_cbranch_execz .LBB260_1577
; %bb.1574:                             ;   in Loop: Header=BB260_806 Depth=1
	v_and_b32_e32 v6, 7, v110
	v_lshrrev_b32_e32 v16, 3, v111
	s_mov_b32 s16, exec_lo
	v_cmpx_gt_u32_e32 8, v111
; %bb.1575:                             ;   in Loop: Header=BB260_806 Depth=1
	s_delay_alu instid0(VALU_DEP_3) | instskip(NEXT) | instid1(VALU_DEP_1)
	v_clz_i32_u32_e32 v16, v6
	v_min_u32_e32 v16, 32, v16
	s_delay_alu instid0(VALU_DEP_1) | instskip(SKIP_1) | instid1(VALU_DEP_2)
	v_subrev_nc_u32_e32 v17, 28, v16
	v_sub_nc_u32_e32 v16, 29, v16
	v_lshlrev_b64 v[120:121], v17, v[6:7]
	s_delay_alu instid0(VALU_DEP_1)
	v_and_b32_e32 v6, 7, v120
; %bb.1576:                             ;   in Loop: Header=BB260_806 Depth=1
	s_or_b32 exec_lo, exec_lo, s16
	v_lshlrev_b32_e32 v17, 24, v110
	s_delay_alu instid0(VALU_DEP_2) | instskip(SKIP_1) | instid1(VALU_DEP_3)
	v_lshlrev_b32_e32 v6, 20, v6
	v_lshl_add_u32 v16, v16, 23, 0x3c000000
	v_and_b32_e32 v17, 0x80000000, v17
	s_delay_alu instid0(VALU_DEP_1) | instskip(NEXT) | instid1(VALU_DEP_1)
	v_or3_b32 v6, v6, v17, v16
	v_dual_mov_b32 v17, v7 :: v_dual_mov_b32 v16, v6
.LBB260_1577:                           ;   in Loop: Header=BB260_806 Depth=1
	s_or_b32 exec_lo, exec_lo, s15
.LBB260_1578:                           ;   in Loop: Header=BB260_806 Depth=1
	s_delay_alu instid0(SALU_CYCLE_1)
	s_or_b32 exec_lo, exec_lo, s13
.LBB260_1579:                           ;   in Loop: Header=BB260_806 Depth=1
	s_delay_alu instid0(SALU_CYCLE_1) | instskip(NEXT) | instid1(SALU_CYCLE_1)
	s_or_b32 exec_lo, exec_lo, s10
	s_mov_b32 s13, exec_lo
	v_cmpx_lt_u32_e32 0xffffff, v109
	s_cbranch_execz .LBB260_1587
; %bb.1580:                             ;   in Loop: Header=BB260_806 Depth=1
	v_lshrrev_b32_e32 v110, 24, v109
	v_dual_mov_b32 v19, s9 :: v_dual_mov_b32 v18, s8
	s_mov_b32 s15, exec_lo
	s_delay_alu instid0(VALU_DEP_2)
	v_cmpx_ne_u32_e32 0x80, v110
	s_cbranch_execz .LBB260_1586
; %bb.1581:                             ;   in Loop: Header=BB260_806 Depth=1
	s_mov_b32 s10, s8
	v_bfe_u32 v109, v109, 24, 7
	v_dual_mov_b32 v19, s11 :: v_dual_mov_b32 v18, s10
	s_mov_b32 s10, exec_lo
	s_delay_alu instid0(VALU_DEP_2)
	v_cmpx_ne_u32_e32 0x7f, v109
	s_cbranch_execz .LBB260_1585
; %bb.1582:                             ;   in Loop: Header=BB260_806 Depth=1
	v_and_b32_e32 v6, 7, v110
	v_lshrrev_b32_e32 v18, 3, v109
	s_mov_b32 s16, exec_lo
	v_cmpx_gt_u32_e32 8, v109
; %bb.1583:                             ;   in Loop: Header=BB260_806 Depth=1
	s_delay_alu instid0(VALU_DEP_3) | instskip(NEXT) | instid1(VALU_DEP_1)
	v_clz_i32_u32_e32 v18, v6
	v_min_u32_e32 v18, 32, v18
	s_delay_alu instid0(VALU_DEP_1) | instskip(SKIP_1) | instid1(VALU_DEP_2)
	v_subrev_nc_u32_e32 v19, 28, v18
	v_sub_nc_u32_e32 v18, 29, v18
	v_lshlrev_b64 v[120:121], v19, v[6:7]
	s_delay_alu instid0(VALU_DEP_1)
	v_and_b32_e32 v6, 7, v120
; %bb.1584:                             ;   in Loop: Header=BB260_806 Depth=1
	s_or_b32 exec_lo, exec_lo, s16
	v_lshlrev_b32_e32 v19, 24, v110
	s_delay_alu instid0(VALU_DEP_2) | instskip(SKIP_1) | instid1(VALU_DEP_3)
	v_lshlrev_b32_e32 v6, 20, v6
	v_lshl_add_u32 v18, v18, 23, 0x3c000000
	v_and_b32_e32 v19, 0x80000000, v19
	s_delay_alu instid0(VALU_DEP_1)
	v_or3_b32 v19, v6, v19, v18
	v_mov_b32_e32 v18, v7
.LBB260_1585:                           ;   in Loop: Header=BB260_806 Depth=1
	s_or_b32 exec_lo, exec_lo, s10
.LBB260_1586:                           ;   in Loop: Header=BB260_806 Depth=1
	s_delay_alu instid0(SALU_CYCLE_1)
	s_or_b32 exec_lo, exec_lo, s15
.LBB260_1587:                           ;   in Loop: Header=BB260_806 Depth=1
	s_delay_alu instid0(SALU_CYCLE_1) | instskip(SKIP_4) | instid1(VALU_DEP_4)
	s_or_b32 exec_lo, exec_lo, s13
	v_or_b32_e32 v5, v15, v5
	v_or_b32_e32 v4, v14, v4
	;; [unrolled: 1-line block ×4, first 2 shown]
	v_mul_f32_e32 v110, v20, v5
	s_delay_alu instid0(VALU_DEP_4) | instskip(NEXT) | instid1(VALU_DEP_4)
	v_mul_f32_e32 v109, v20, v4
	v_mul_f32_e32 v18, v20, v6
	s_delay_alu instid0(VALU_DEP_4)
	v_mul_f32_e32 v19, v20, v14
	s_and_saveexec_b32 s10, vcc_lo
; %bb.1588:                             ;   in Loop: Header=BB260_806 Depth=1
	v_cmp_lt_i32_e64 s0, v84, v25
	s_delay_alu instid0(VALU_DEP_1) | instskip(SKIP_1) | instid1(VALU_DEP_1)
	v_cndmask_b32_e64 v109, 0, v109, s0
	v_cmp_lt_i32_e64 s0, v87, v25
	v_cndmask_b32_e64 v110, 0, v110, s0
	v_cmp_lt_i32_e64 s0, v86, v25
	s_delay_alu instid0(VALU_DEP_1) | instskip(SKIP_1) | instid1(VALU_DEP_1)
	v_cndmask_b32_e64 v19, 0, v19, s0
	v_cmp_lt_i32_e64 s0, v85, v25
	v_cndmask_b32_e64 v18, 0, v18, s0
; %bb.1589:                             ;   in Loop: Header=BB260_806 Depth=1
	s_or_b32 exec_lo, exec_lo, s10
	flat_load_b32 v111, v[12:13] offset:2944
	v_mov_b32_e32 v12, 0
	v_mov_b32_e32 v13, 0
	s_mov_b32 s10, exec_lo
	s_waitcnt vmcnt(0) lgkmcnt(0)
	v_and_b32_e32 v6, 0xff, v111
	s_delay_alu instid0(VALU_DEP_2) | instskip(NEXT) | instid1(VALU_DEP_2)
	v_dual_mov_b32 v4, v12 :: v_dual_mov_b32 v5, v13
	v_cmpx_ne_u16_e32 0, v6
	s_cbranch_execz .LBB260_1597
; %bb.1590:                             ;   in Loop: Header=BB260_806 Depth=1
	v_bfrev_b32_e32 v4, 1
	v_mov_b32_e32 v5, 0
	s_mov_b32 s13, exec_lo
	v_cmpx_ne_u16_e32 0x80, v6
	s_cbranch_execz .LBB260_1596
; %bb.1591:                             ;   in Loop: Header=BB260_806 Depth=1
	v_mov_b32_e32 v4, 0x7f800001
	v_dual_mov_b32 v5, 0 :: v_dual_and_b32 v14, 0x7f, v111
	s_mov_b32 s15, exec_lo
	s_delay_alu instid0(VALU_DEP_1)
	v_cmpx_ne_u32_e32 0x7f, v14
	s_cbranch_execz .LBB260_1595
; %bb.1592:                             ;   in Loop: Header=BB260_806 Depth=1
	v_and_b32_e32 v6, 7, v111
	v_lshrrev_b32_e32 v4, 3, v14
	s_mov_b32 s16, exec_lo
	v_cmpx_gt_u32_e32 8, v14
; %bb.1593:                             ;   in Loop: Header=BB260_806 Depth=1
	s_delay_alu instid0(VALU_DEP_3) | instskip(NEXT) | instid1(VALU_DEP_1)
	v_clz_i32_u32_e32 v4, v6
	v_min_u32_e32 v4, 32, v4
	s_delay_alu instid0(VALU_DEP_1) | instskip(SKIP_1) | instid1(VALU_DEP_2)
	v_subrev_nc_u32_e32 v5, 28, v4
	v_sub_nc_u32_e32 v4, 29, v4
	v_lshlrev_b64 v[5:6], v5, v[6:7]
	s_delay_alu instid0(VALU_DEP_1)
	v_and_b32_e32 v6, 7, v5
; %bb.1594:                             ;   in Loop: Header=BB260_806 Depth=1
	s_or_b32 exec_lo, exec_lo, s16
	v_lshlrev_b32_e32 v5, 24, v111
	s_delay_alu instid0(VALU_DEP_2) | instskip(SKIP_1) | instid1(VALU_DEP_3)
	v_lshlrev_b32_e32 v6, 20, v6
	v_lshl_add_u32 v4, v4, 23, 0x3c000000
	v_and_b32_e32 v5, 0x80000000, v5
	s_delay_alu instid0(VALU_DEP_1) | instskip(NEXT) | instid1(VALU_DEP_1)
	v_or3_b32 v6, v6, v5, v4
	v_dual_mov_b32 v4, v6 :: v_dual_mov_b32 v5, v7
.LBB260_1595:                           ;   in Loop: Header=BB260_806 Depth=1
	s_or_b32 exec_lo, exec_lo, s15
.LBB260_1596:                           ;   in Loop: Header=BB260_806 Depth=1
	s_delay_alu instid0(SALU_CYCLE_1)
	s_or_b32 exec_lo, exec_lo, s13
.LBB260_1597:                           ;   in Loop: Header=BB260_806 Depth=1
	s_delay_alu instid0(SALU_CYCLE_1) | instskip(SKIP_2) | instid1(VALU_DEP_1)
	s_or_b32 exec_lo, exec_lo, s10
	v_lshrrev_b16 v6, 8, v111
	s_mov_b32 s13, exec_lo
	v_cmpx_ne_u16_e32 0, v6
	s_cbranch_execz .LBB260_1605
; %bb.1598:                             ;   in Loop: Header=BB260_806 Depth=1
	v_dual_mov_b32 v13, s9 :: v_dual_mov_b32 v12, s8
	s_mov_b32 s15, exec_lo
	v_cmpx_ne_u16_e32 0x80, v6
	s_cbranch_execz .LBB260_1604
; %bb.1599:                             ;   in Loop: Header=BB260_806 Depth=1
	s_mov_b32 s10, s8
	v_dual_mov_b32 v13, s11 :: v_dual_and_b32 v6, 0xffff, v6
	v_mov_b32_e32 v12, s10
	s_mov_b32 s10, exec_lo
	s_delay_alu instid0(VALU_DEP_2) | instskip(NEXT) | instid1(VALU_DEP_1)
	v_and_b32_e32 v14, 0x7f, v6
	v_cmpx_ne_u32_e32 0x7f, v14
	s_cbranch_execz .LBB260_1603
; %bb.1600:                             ;   in Loop: Header=BB260_806 Depth=1
	v_and_b32_e32 v6, 7, v6
	v_lshrrev_b32_e32 v12, 3, v14
	s_mov_b32 s16, exec_lo
	v_cmpx_gt_u32_e32 8, v14
; %bb.1601:                             ;   in Loop: Header=BB260_806 Depth=1
	s_delay_alu instid0(VALU_DEP_3) | instskip(NEXT) | instid1(VALU_DEP_1)
	v_clz_i32_u32_e32 v12, v6
	v_min_u32_e32 v12, 32, v12
	s_delay_alu instid0(VALU_DEP_1) | instskip(SKIP_1) | instid1(VALU_DEP_2)
	v_subrev_nc_u32_e32 v13, 28, v12
	v_sub_nc_u32_e32 v12, 29, v12
	v_lshlrev_b64 v[13:14], v13, v[6:7]
	s_delay_alu instid0(VALU_DEP_1)
	v_and_b32_e32 v6, 7, v13
; %bb.1602:                             ;   in Loop: Header=BB260_806 Depth=1
	s_or_b32 exec_lo, exec_lo, s16
	v_lshlrev_b32_e32 v13, 16, v111
	s_delay_alu instid0(VALU_DEP_2) | instskip(SKIP_1) | instid1(VALU_DEP_3)
	v_lshlrev_b32_e32 v6, 20, v6
	v_lshl_add_u32 v12, v12, 23, 0x3c000000
	v_and_b32_e32 v13, 0x80000000, v13
	s_delay_alu instid0(VALU_DEP_1)
	v_or3_b32 v13, v6, v13, v12
	v_mov_b32_e32 v12, v7
.LBB260_1603:                           ;   in Loop: Header=BB260_806 Depth=1
	s_or_b32 exec_lo, exec_lo, s10
.LBB260_1604:                           ;   in Loop: Header=BB260_806 Depth=1
	s_delay_alu instid0(SALU_CYCLE_1)
	s_or_b32 exec_lo, exec_lo, s15
.LBB260_1605:                           ;   in Loop: Header=BB260_806 Depth=1
	s_delay_alu instid0(SALU_CYCLE_1) | instskip(SKIP_4) | instid1(VALU_DEP_2)
	s_or_b32 exec_lo, exec_lo, s13
	v_mov_b32_e32 v16, 0
	v_lshrrev_b32_e32 v120, 16, v111
	v_mov_b32_e32 v17, 0
	s_mov_b32 s10, exec_lo
	v_and_b32_e32 v6, 0xff, v120
	s_delay_alu instid0(VALU_DEP_2) | instskip(NEXT) | instid1(VALU_DEP_2)
	v_dual_mov_b32 v14, v16 :: v_dual_mov_b32 v15, v17
	v_cmpx_ne_u16_e32 0, v6
	s_cbranch_execz .LBB260_1613
; %bb.1606:                             ;   in Loop: Header=BB260_806 Depth=1
	v_bfrev_b32_e32 v14, 1
	v_mov_b32_e32 v15, 0
	s_mov_b32 s13, exec_lo
	v_cmpx_ne_u16_e32 0x80, v6
	s_cbranch_execz .LBB260_1612
; %bb.1607:                             ;   in Loop: Header=BB260_806 Depth=1
	v_mov_b32_e32 v14, 0x7f800001
	v_bfe_u32 v121, v111, 16, 7
	v_mov_b32_e32 v15, 0
	s_mov_b32 s15, exec_lo
	s_delay_alu instid0(VALU_DEP_2)
	v_cmpx_ne_u32_e32 0x7f, v121
	s_cbranch_execz .LBB260_1611
; %bb.1608:                             ;   in Loop: Header=BB260_806 Depth=1
	v_and_b32_e32 v6, 7, v120
	v_lshrrev_b32_e32 v14, 3, v121
	s_mov_b32 s16, exec_lo
	v_cmpx_gt_u32_e32 8, v121
; %bb.1609:                             ;   in Loop: Header=BB260_806 Depth=1
	s_delay_alu instid0(VALU_DEP_3) | instskip(NEXT) | instid1(VALU_DEP_1)
	v_clz_i32_u32_e32 v14, v6
	v_min_u32_e32 v14, 32, v14
	s_delay_alu instid0(VALU_DEP_1) | instskip(SKIP_1) | instid1(VALU_DEP_2)
	v_subrev_nc_u32_e32 v15, 28, v14
	v_sub_nc_u32_e32 v14, 29, v14
	v_lshlrev_b64 v[121:122], v15, v[6:7]
	s_delay_alu instid0(VALU_DEP_1)
	v_and_b32_e32 v6, 7, v121
; %bb.1610:                             ;   in Loop: Header=BB260_806 Depth=1
	s_or_b32 exec_lo, exec_lo, s16
	v_lshlrev_b32_e32 v15, 24, v120
	s_delay_alu instid0(VALU_DEP_2) | instskip(SKIP_1) | instid1(VALU_DEP_3)
	v_lshlrev_b32_e32 v6, 20, v6
	v_lshl_add_u32 v14, v14, 23, 0x3c000000
	v_and_b32_e32 v15, 0x80000000, v15
	s_delay_alu instid0(VALU_DEP_1) | instskip(NEXT) | instid1(VALU_DEP_1)
	v_or3_b32 v6, v6, v15, v14
	v_dual_mov_b32 v15, v7 :: v_dual_mov_b32 v14, v6
.LBB260_1611:                           ;   in Loop: Header=BB260_806 Depth=1
	s_or_b32 exec_lo, exec_lo, s15
.LBB260_1612:                           ;   in Loop: Header=BB260_806 Depth=1
	s_delay_alu instid0(SALU_CYCLE_1)
	s_or_b32 exec_lo, exec_lo, s13
.LBB260_1613:                           ;   in Loop: Header=BB260_806 Depth=1
	s_delay_alu instid0(SALU_CYCLE_1) | instskip(NEXT) | instid1(SALU_CYCLE_1)
	s_or_b32 exec_lo, exec_lo, s10
	s_mov_b32 s13, exec_lo
	v_cmpx_lt_u32_e32 0xffffff, v111
	s_cbranch_execz .LBB260_1621
; %bb.1614:                             ;   in Loop: Header=BB260_806 Depth=1
	v_lshrrev_b32_e32 v120, 24, v111
	v_dual_mov_b32 v17, s9 :: v_dual_mov_b32 v16, s8
	s_mov_b32 s15, exec_lo
	s_delay_alu instid0(VALU_DEP_2)
	v_cmpx_ne_u32_e32 0x80, v120
	s_cbranch_execz .LBB260_1620
; %bb.1615:                             ;   in Loop: Header=BB260_806 Depth=1
	s_mov_b32 s10, s8
	v_bfe_u32 v111, v111, 24, 7
	v_dual_mov_b32 v17, s11 :: v_dual_mov_b32 v16, s10
	s_mov_b32 s10, exec_lo
	s_delay_alu instid0(VALU_DEP_2)
	v_cmpx_ne_u32_e32 0x7f, v111
	s_cbranch_execz .LBB260_1619
; %bb.1616:                             ;   in Loop: Header=BB260_806 Depth=1
	v_and_b32_e32 v6, 7, v120
	v_lshrrev_b32_e32 v16, 3, v111
	s_mov_b32 s16, exec_lo
	v_cmpx_gt_u32_e32 8, v111
; %bb.1617:                             ;   in Loop: Header=BB260_806 Depth=1
	s_delay_alu instid0(VALU_DEP_3) | instskip(NEXT) | instid1(VALU_DEP_1)
	v_clz_i32_u32_e32 v16, v6
	v_min_u32_e32 v16, 32, v16
	s_delay_alu instid0(VALU_DEP_1) | instskip(SKIP_1) | instid1(VALU_DEP_2)
	v_subrev_nc_u32_e32 v17, 28, v16
	v_sub_nc_u32_e32 v16, 29, v16
	v_lshlrev_b64 v[121:122], v17, v[6:7]
	s_delay_alu instid0(VALU_DEP_1)
	v_and_b32_e32 v6, 7, v121
; %bb.1618:                             ;   in Loop: Header=BB260_806 Depth=1
	s_or_b32 exec_lo, exec_lo, s16
	v_lshlrev_b32_e32 v17, 24, v120
	s_delay_alu instid0(VALU_DEP_2) | instskip(SKIP_1) | instid1(VALU_DEP_3)
	v_lshlrev_b32_e32 v6, 20, v6
	v_lshl_add_u32 v16, v16, 23, 0x3c000000
	v_and_b32_e32 v17, 0x80000000, v17
	s_delay_alu instid0(VALU_DEP_1)
	v_or3_b32 v17, v6, v17, v16
	v_mov_b32_e32 v16, v7
.LBB260_1619:                           ;   in Loop: Header=BB260_806 Depth=1
	s_or_b32 exec_lo, exec_lo, s10
.LBB260_1620:                           ;   in Loop: Header=BB260_806 Depth=1
	s_delay_alu instid0(SALU_CYCLE_1)
	s_or_b32 exec_lo, exec_lo, s15
.LBB260_1621:                           ;   in Loop: Header=BB260_806 Depth=1
	s_delay_alu instid0(SALU_CYCLE_1) | instskip(SKIP_4) | instid1(VALU_DEP_4)
	s_or_b32 exec_lo, exec_lo, s13
	v_or_b32_e32 v5, v13, v5
	v_or_b32_e32 v4, v12, v4
	;; [unrolled: 1-line block ×4, first 2 shown]
	v_mul_f32_e32 v12, v20, v5
	s_delay_alu instid0(VALU_DEP_4) | instskip(NEXT) | instid1(VALU_DEP_4)
	v_mul_f32_e32 v6, v20, v4
	v_mul_f32_e32 v4, v20, v13
	s_delay_alu instid0(VALU_DEP_4)
	v_mul_f32_e32 v5, v20, v14
	s_and_saveexec_b32 s0, vcc_lo
	s_cbranch_execz .LBB260_804
; %bb.1622:                             ;   in Loop: Header=BB260_806 Depth=1
	v_cmp_lt_i32_e32 vcc_lo, v84, v25
	v_cndmask_b32_e32 v6, 0, v6, vcc_lo
	v_cmp_lt_i32_e32 vcc_lo, v87, v25
	v_cndmask_b32_e32 v12, 0, v12, vcc_lo
	;; [unrolled: 2-line block ×4, first 2 shown]
	s_branch .LBB260_804
.LBB260_1623:
	s_or_b32 exec_lo, exec_lo, s5
.LBB260_1624:
	s_delay_alu instid0(SALU_CYCLE_1)
	s_or_b32 exec_lo, exec_lo, s3
	ds_bpermute_b32 v0, v23, v65
	ds_bpermute_b32 v1, v23, v66
	;; [unrolled: 1-line block ×16, first 2 shown]
	s_waitcnt lgkmcnt(0)
	s_waitcnt_vscnt null, 0x0
	s_barrier
	buffer_gl0_inv
	s_load_b32 s0, s[6:7], 0x0
	v_dual_add_f32 v0, v65, v0 :: v_dual_add_f32 v1, v66, v1
	v_dual_add_f32 v2, v64, v2 :: v_dual_add_f32 v3, v55, v3
	;; [unrolled: 1-line block ×4, first 2 shown]
	ds_bpermute_b32 v11, v22, v1
	ds_bpermute_b32 v10, v22, v0
	;; [unrolled: 1-line block ×8, first 2 shown]
	v_add_f32_e32 v8, v50, v8
	v_dual_add_f32 v18, v39, v18 :: v_dual_add_f32 v19, v38, v19
	v_add_f32_e32 v20, v37, v20
	ds_bpermute_b32 v50, v23, v34
	ds_bpermute_b32 v52, v23, v32
	;; [unrolled: 1-line block ×4, first 2 shown]
	v_add_f32_e32 v17, v48, v17
	v_add_f32_e32 v9, v49, v9
	ds_bpermute_b32 v48, v22, v19
	s_waitcnt lgkmcnt(0)
	v_add_f32_e32 v1, v1, v11
	ds_bpermute_b32 v54, v22, v8
	v_dual_add_f32 v0, v0, v10 :: v_dual_add_f32 v3, v3, v13
	v_dual_add_f32 v2, v2, v12 :: v_dual_add_f32 v5, v5, v15
	v_add_f32_e32 v4, v4, v14
	v_add_f32_e32 v6, v6, v16
	ds_bpermute_b32 v11, v21, v1
	ds_bpermute_b32 v10, v21, v0
	;; [unrolled: 1-line block ×8, first 2 shown]
	v_add_f32_e32 v7, v7, v53
	ds_bpermute_b32 v49, v22, v20
	ds_bpermute_b32 v37, v22, v9
	s_waitcnt lgkmcnt(10)
	v_add_f32_e32 v8, v8, v54
	ds_bpermute_b32 v53, v21, v7
	s_waitcnt lgkmcnt(10)
	v_add_f32_e32 v1, v1, v11
	ds_bpermute_b32 v11, v23, v31
	s_waitcnt lgkmcnt(8)
	v_dual_add_f32 v0, v0, v10 :: v_dual_add_f32 v3, v3, v13
	s_waitcnt lgkmcnt(6)
	v_dual_add_f32 v2, v2, v12 :: v_dual_add_f32 v5, v5, v15
	v_add_f32_e32 v4, v4, v14
	s_waitcnt lgkmcnt(5)
	v_add_f32_e32 v6, v6, v16
	ds_bpermute_b32 v12, v23, v29
	ds_bpermute_b32 v13, v23, v28
	;; [unrolled: 1-line block ×4, first 2 shown]
	s_waitcnt lgkmcnt(8)
	v_dual_add_f32 v16, v17, v38 :: v_dual_add_f32 v17, v18, v39
	s_waitcnt lgkmcnt(7)
	v_dual_add_f32 v18, v19, v48 :: v_dual_add_f32 v19, v20, v49
	v_dual_add_f32 v20, v36, v25 :: v_dual_add_f32 v23, v35, v30
	;; [unrolled: 1-line block ×3, first 2 shown]
	v_add_f32_e32 v30, v33, v51
	s_waitcnt lgkmcnt(4)
	v_add_f32_e32 v11, v31, v11
	ds_bpermute_b32 v33, v22, v20
	ds_bpermute_b32 v35, v22, v25
	v_add_f32_e32 v9, v9, v37
	ds_bpermute_b32 v34, v22, v23
	ds_bpermute_b32 v37, v22, v32
	;; [unrolled: 1-line block ×3, first 2 shown]
	s_waitcnt lgkmcnt(7)
	v_dual_add_f32 v12, v29, v12 :: v_dual_add_f32 v13, v28, v13
	s_waitcnt lgkmcnt(5)
	v_dual_add_f32 v14, v27, v14 :: v_dual_add_f32 v15, v26, v15
	ds_bpermute_b32 v26, v22, v11
	ds_bpermute_b32 v36, v22, v30
	;; [unrolled: 1-line block ×9, first 2 shown]
	v_add_f32_e32 v7, v7, v53
	s_waitcnt lgkmcnt(12)
	v_dual_add_f32 v20, v20, v33 :: v_dual_add_f32 v25, v25, v35
	ds_bpermute_b32 v29, v22, v14
	s_waitcnt lgkmcnt(12)
	v_add_f32_e32 v23, v23, v34
	ds_bpermute_b32 v22, v22, v15
	ds_bpermute_b32 v33, v21, v20
	s_waitcnt lgkmcnt(12)
	v_add_f32_e32 v8, v8, v10
	v_add_f32_e32 v32, v32, v37
	ds_bpermute_b32 v35, v21, v25
	ds_bpermute_b32 v34, v21, v23
	s_waitcnt lgkmcnt(13)
	v_add_f32_e32 v26, v11, v26
	s_waitcnt lgkmcnt(11)
	v_dual_add_f32 v30, v30, v36 :: v_dual_add_f32 v27, v12, v27
	s_waitcnt lgkmcnt(10)
	v_add_f32_e32 v28, v13, v28
	s_waitcnt lgkmcnt(9)
	v_add_f32_e32 v11, v17, v39
	;; [unrolled: 2-line block ×4, first 2 shown]
	ds_bpermute_b32 v37, v21, v32
	ds_bpermute_b32 v51, v21, v27
	;; [unrolled: 1-line block ×4, first 2 shown]
	s_waitcnt lgkmcnt(8)
	v_dual_add_f32 v10, v16, v38 :: v_dual_add_f32 v29, v14, v29
	v_add_f32_e32 v12, v18, v48
	s_waitcnt lgkmcnt(7)
	v_add_f32_e32 v50, v15, v22
	ds_bpermute_b32 v22, v21, v26
	s_waitcnt lgkmcnt(7)
	v_add_f32_e32 v14, v20, v33
	ds_bpermute_b32 v54, v21, v29
	;; [unrolled: 3-line block ×3, first 2 shown]
	s_waitcnt lgkmcnt(6)
	v_dual_add_f32 v15, v23, v34 :: v_dual_add_f32 v18, v32, v37
	s_waitcnt lgkmcnt(4)
	v_add_f32_e32 v17, v30, v36
	s_waitcnt lgkmcnt(3)
	v_add_f32_e32 v21, v28, v52
	;; [unrolled: 2-line block ×3, first 2 shown]
	s_clause 0x1
	scratch_load_b32 v22, off, s32 offset:440
	scratch_load_b32 v26, off, s32 offset:860
	s_waitcnt lgkmcnt(0)
	v_add_f32_e32 v23, v50, v55
	s_waitcnt vmcnt(1)
	v_lshrrev_b32_e32 v25, 3, v22
	v_dual_add_f32 v20, v27, v51 :: v_dual_and_b32 v27, 0x3c7, v126
	v_add_f32_e32 v22, v29, v54
	s_waitcnt vmcnt(0)
	v_mad_u32_u24 v26, 0x180, v26, s0
	s_delay_alu instid0(VALU_DEP_3)
	v_cmp_eq_u32_e32 vcc_lo, 64, v27
	v_lshlrev_b32_e32 v27, 2, v25
	s_and_saveexec_b32 s0, vcc_lo
	s_cbranch_execz .LBB260_1626
; %bb.1625:
	s_delay_alu instid0(VALU_DEP_1)
	v_add3_u32 v28, v26, v27, 0xfffffd00
	ds_store_2addr_b32 v28, v0, v1 offset1:4
	ds_store_2addr_b32 v28, v2, v3 offset0:8 offset1:12
	ds_store_2addr_b32 v28, v4, v5 offset0:16 offset1:20
	;; [unrolled: 1-line block ×11, first 2 shown]
.LBB260_1626:
	s_or_b32 exec_lo, exec_lo, s0
	v_cmp_eq_u32_e32 vcc_lo, 0, v24
	s_mov_b32 s3, exec_lo
	s_waitcnt lgkmcnt(0)
	s_barrier
	buffer_gl0_inv
	v_cmpx_gt_u32_e32 64, v126
	s_cbranch_execz .LBB260_1653
; %bb.1627:
	s_and_saveexec_b32 s0, vcc_lo
	s_cbranch_execnz .LBB260_1685
; %bb.1628:
	s_or_b32 exec_lo, exec_lo, s0
	s_and_saveexec_b32 s0, vcc_lo
	s_cbranch_execnz .LBB260_1686
.LBB260_1629:
	s_or_b32 exec_lo, exec_lo, s0
	s_and_saveexec_b32 s0, vcc_lo
	s_cbranch_execnz .LBB260_1687
.LBB260_1630:
	s_or_b32 exec_lo, exec_lo, s0
	s_and_saveexec_b32 s0, vcc_lo
	s_cbranch_execnz .LBB260_1688
.LBB260_1631:
	s_or_b32 exec_lo, exec_lo, s0
	s_and_saveexec_b32 s0, vcc_lo
	s_cbranch_execnz .LBB260_1689
.LBB260_1632:
	s_or_b32 exec_lo, exec_lo, s0
	s_and_saveexec_b32 s0, vcc_lo
	s_cbranch_execnz .LBB260_1690
.LBB260_1633:
	s_or_b32 exec_lo, exec_lo, s0
	s_and_saveexec_b32 s0, vcc_lo
	s_cbranch_execnz .LBB260_1691
.LBB260_1634:
	s_or_b32 exec_lo, exec_lo, s0
	s_and_saveexec_b32 s0, vcc_lo
	s_cbranch_execnz .LBB260_1692
.LBB260_1635:
	s_or_b32 exec_lo, exec_lo, s0
	s_and_saveexec_b32 s0, vcc_lo
	s_cbranch_execnz .LBB260_1693
.LBB260_1636:
	s_or_b32 exec_lo, exec_lo, s0
	s_and_saveexec_b32 s0, vcc_lo
	s_cbranch_execnz .LBB260_1694
.LBB260_1637:
	s_or_b32 exec_lo, exec_lo, s0
	s_and_saveexec_b32 s0, vcc_lo
	s_cbranch_execnz .LBB260_1695
.LBB260_1638:
	s_or_b32 exec_lo, exec_lo, s0
	s_and_saveexec_b32 s0, vcc_lo
	s_cbranch_execnz .LBB260_1696
.LBB260_1639:
	s_or_b32 exec_lo, exec_lo, s0
	s_and_saveexec_b32 s0, vcc_lo
	s_cbranch_execnz .LBB260_1697
.LBB260_1640:
	s_or_b32 exec_lo, exec_lo, s0
	s_and_saveexec_b32 s0, vcc_lo
	s_cbranch_execnz .LBB260_1698
.LBB260_1641:
	s_or_b32 exec_lo, exec_lo, s0
	s_and_saveexec_b32 s0, vcc_lo
	s_cbranch_execnz .LBB260_1699
.LBB260_1642:
	s_or_b32 exec_lo, exec_lo, s0
	s_and_saveexec_b32 s0, vcc_lo
	s_cbranch_execnz .LBB260_1700
.LBB260_1643:
	s_or_b32 exec_lo, exec_lo, s0
	s_and_saveexec_b32 s0, vcc_lo
	s_cbranch_execnz .LBB260_1701
.LBB260_1644:
	s_or_b32 exec_lo, exec_lo, s0
	s_and_saveexec_b32 s0, vcc_lo
	s_cbranch_execnz .LBB260_1702
.LBB260_1645:
	s_or_b32 exec_lo, exec_lo, s0
	s_and_saveexec_b32 s0, vcc_lo
	s_cbranch_execnz .LBB260_1703
.LBB260_1646:
	s_or_b32 exec_lo, exec_lo, s0
	s_and_saveexec_b32 s0, vcc_lo
	s_cbranch_execnz .LBB260_1704
.LBB260_1647:
	s_or_b32 exec_lo, exec_lo, s0
	s_and_saveexec_b32 s0, vcc_lo
	s_cbranch_execnz .LBB260_1705
.LBB260_1648:
	s_or_b32 exec_lo, exec_lo, s0
	s_and_saveexec_b32 s0, vcc_lo
	s_cbranch_execnz .LBB260_1706
.LBB260_1649:
	s_or_b32 exec_lo, exec_lo, s0
	s_and_saveexec_b32 s0, vcc_lo
	s_cbranch_execnz .LBB260_1707
.LBB260_1650:
	s_or_b32 exec_lo, exec_lo, s0
	s_and_saveexec_b32 s0, vcc_lo
	s_cbranch_execz .LBB260_1652
.LBB260_1651:
	v_lshl_add_u32 v24, v25, 2, v26
	ds_load_b32 v24, v24 offset:368
	s_waitcnt lgkmcnt(0)
	v_add_f32_e32 v23, v24, v23
.LBB260_1652:
	s_or_b32 exec_lo, exec_lo, s0
.LBB260_1653:
	s_delay_alu instid0(SALU_CYCLE_1)
	s_or_b32 exec_lo, exec_lo, s3
	v_and_b32_e32 v24, 0x3e7, v126
	s_mov_b32 s3, exec_lo
	s_barrier
	buffer_gl0_inv
	v_cmpx_eq_u32_e32 32, v24
	s_cbranch_execz .LBB260_1655
; %bb.1654:
	v_add3_u32 v27, v26, v27, 0xfffffe80
	ds_store_2addr_b32 v27, v0, v1 offset1:4
	ds_store_2addr_b32 v27, v2, v3 offset0:8 offset1:12
	ds_store_2addr_b32 v27, v4, v5 offset0:16 offset1:20
	;; [unrolled: 1-line block ×11, first 2 shown]
.LBB260_1655:
	s_or_b32 exec_lo, exec_lo, s3
	s_delay_alu instid0(SALU_CYCLE_1)
	s_mov_b32 s3, exec_lo
	s_waitcnt lgkmcnt(0)
	s_barrier
	buffer_gl0_inv
	v_cmpx_gt_u32_e32 32, v126
	s_cbranch_execz .LBB260_1682
; %bb.1656:
	v_lshl_add_u32 v25, v25, 2, v26
	s_and_saveexec_b32 s0, vcc_lo
	s_cbranch_execnz .LBB260_1708
; %bb.1657:
	s_or_b32 exec_lo, exec_lo, s0
	s_and_saveexec_b32 s0, vcc_lo
	s_cbranch_execnz .LBB260_1709
.LBB260_1658:
	s_or_b32 exec_lo, exec_lo, s0
	s_and_saveexec_b32 s0, vcc_lo
	s_cbranch_execnz .LBB260_1710
.LBB260_1659:
	s_or_b32 exec_lo, exec_lo, s0
	s_and_saveexec_b32 s0, vcc_lo
	s_cbranch_execnz .LBB260_1711
.LBB260_1660:
	s_or_b32 exec_lo, exec_lo, s0
	s_and_saveexec_b32 s0, vcc_lo
	s_cbranch_execnz .LBB260_1712
.LBB260_1661:
	s_or_b32 exec_lo, exec_lo, s0
	s_and_saveexec_b32 s0, vcc_lo
	s_cbranch_execnz .LBB260_1713
.LBB260_1662:
	s_or_b32 exec_lo, exec_lo, s0
	s_and_saveexec_b32 s0, vcc_lo
	s_cbranch_execnz .LBB260_1714
.LBB260_1663:
	s_or_b32 exec_lo, exec_lo, s0
	s_and_saveexec_b32 s0, vcc_lo
	s_cbranch_execnz .LBB260_1715
.LBB260_1664:
	s_or_b32 exec_lo, exec_lo, s0
	s_and_saveexec_b32 s0, vcc_lo
	s_cbranch_execnz .LBB260_1716
.LBB260_1665:
	s_or_b32 exec_lo, exec_lo, s0
	s_and_saveexec_b32 s0, vcc_lo
	s_cbranch_execnz .LBB260_1717
.LBB260_1666:
	s_or_b32 exec_lo, exec_lo, s0
	s_and_saveexec_b32 s0, vcc_lo
	s_cbranch_execnz .LBB260_1718
.LBB260_1667:
	s_or_b32 exec_lo, exec_lo, s0
	s_and_saveexec_b32 s0, vcc_lo
	s_cbranch_execnz .LBB260_1719
.LBB260_1668:
	s_or_b32 exec_lo, exec_lo, s0
	s_and_saveexec_b32 s0, vcc_lo
	s_cbranch_execnz .LBB260_1720
.LBB260_1669:
	s_or_b32 exec_lo, exec_lo, s0
	s_and_saveexec_b32 s0, vcc_lo
	s_cbranch_execnz .LBB260_1721
.LBB260_1670:
	s_or_b32 exec_lo, exec_lo, s0
	s_and_saveexec_b32 s0, vcc_lo
	s_cbranch_execnz .LBB260_1722
.LBB260_1671:
	s_or_b32 exec_lo, exec_lo, s0
	s_and_saveexec_b32 s0, vcc_lo
	s_cbranch_execnz .LBB260_1723
.LBB260_1672:
	s_or_b32 exec_lo, exec_lo, s0
	s_and_saveexec_b32 s0, vcc_lo
	s_cbranch_execnz .LBB260_1724
.LBB260_1673:
	s_or_b32 exec_lo, exec_lo, s0
	s_and_saveexec_b32 s0, vcc_lo
	s_cbranch_execnz .LBB260_1725
.LBB260_1674:
	s_or_b32 exec_lo, exec_lo, s0
	s_and_saveexec_b32 s0, vcc_lo
	s_cbranch_execnz .LBB260_1726
.LBB260_1675:
	s_or_b32 exec_lo, exec_lo, s0
	s_and_saveexec_b32 s0, vcc_lo
	s_cbranch_execnz .LBB260_1727
.LBB260_1676:
	s_or_b32 exec_lo, exec_lo, s0
	s_and_saveexec_b32 s0, vcc_lo
	s_cbranch_execnz .LBB260_1728
.LBB260_1677:
	s_or_b32 exec_lo, exec_lo, s0
	s_and_saveexec_b32 s0, vcc_lo
	s_cbranch_execnz .LBB260_1729
.LBB260_1678:
	s_or_b32 exec_lo, exec_lo, s0
	s_and_saveexec_b32 s0, vcc_lo
	s_cbranch_execnz .LBB260_1730
.LBB260_1679:
	s_or_b32 exec_lo, exec_lo, s0
	s_and_saveexec_b32 s0, vcc_lo
	s_cbranch_execz .LBB260_1681
.LBB260_1680:
	ds_load_b32 v25, v25 offset:368
	s_waitcnt lgkmcnt(0)
	v_add_f32_e32 v23, v25, v23
.LBB260_1681:
	s_or_b32 exec_lo, exec_lo, s0
.LBB260_1682:
	s_delay_alu instid0(SALU_CYCLE_1)
	s_or_b32 exec_lo, exec_lo, s3
	v_cmp_eq_u32_e32 vcc_lo, 0, v24
	s_barrier
	buffer_gl0_inv
	s_and_b32 exec_lo, exec_lo, vcc_lo
	s_cbranch_execz .LBB260_1684
; %bb.1683:
	scratch_load_b32 v25, off, s32 offset:868 ; 4-byte Folded Reload
	s_mul_i32 s0, s2, 0x60
	s_mul_i32 s2, s4, s1
	;; [unrolled: 1-line block ×3, first 2 shown]
	s_ashr_i32 s3, s2, 31
	s_ashr_i32 s5, s4, 31
	;; [unrolled: 1-line block ×3, first 2 shown]
	s_lshl_b64 s[2:3], s[2:3], 2
	s_lshl_b64 s[4:5], s[4:5], 2
	;; [unrolled: 1-line block ×3, first 2 shown]
	s_add_u32 s2, s4, s2
	s_addc_u32 s3, s5, s3
	s_add_u32 s0, s2, s0
	s_addc_u32 s1, s3, s1
	v_lshrrev_b32_e32 v24, 1, v126
	s_waitcnt vmcnt(0)
	v_add_co_u32 v25, vcc_lo, s0, v25
	v_add_co_ci_u32_e32 v26, vcc_lo, s1, v127, vcc_lo
	s_delay_alu instid0(VALU_DEP_2) | instskip(NEXT) | instid1(VALU_DEP_2)
	v_add_co_u32 v24, vcc_lo, v25, v24
	v_add_co_ci_u32_e32 v25, vcc_lo, 0, v26, vcc_lo
	s_clause 0x17
	flat_store_b32 v[24:25], v0
	flat_store_b32 v[24:25], v1 offset:16
	flat_store_b32 v[24:25], v2 offset:32
	;; [unrolled: 1-line block ×23, first 2 shown]
.LBB260_1684:
	s_or_b32 exec_lo, exec_lo, s18
	s_clause 0x1f
	scratch_load_b32 v191, off, s32 offset:8
	scratch_load_b32 v190, off, s32 offset:12
	;; [unrolled: 1-line block ×32, first 2 shown]
	s_clause 0x1f
	scratch_load_b32 v127, off, s32 offset:136
	scratch_load_b32 v126, off, s32 offset:140
	scratch_load_b32 v125, off, s32 offset:144
	scratch_load_b32 v124, off, s32 offset:148
	scratch_load_b32 v123, off, s32 offset:152
	scratch_load_b32 v122, off, s32 offset:156
	scratch_load_b32 v121, off, s32 offset:160
	scratch_load_b32 v120, off, s32 offset:164
	scratch_load_b32 v111, off, s32 offset:168
	scratch_load_b32 v110, off, s32 offset:172
	scratch_load_b32 v109, off, s32 offset:176
	scratch_load_b32 v108, off, s32 offset:180
	scratch_load_b32 v107, off, s32 offset:184
	scratch_load_b32 v106, off, s32 offset:188
	scratch_load_b32 v105, off, s32 offset:192
	scratch_load_b32 v104, off, s32 offset:196
	scratch_load_b32 v95, off, s32 offset:200
	scratch_load_b32 v94, off, s32 offset:204
	scratch_load_b32 v93, off, s32 offset:208
	scratch_load_b32 v92, off, s32 offset:212
	scratch_load_b32 v91, off, s32 offset:216
	scratch_load_b32 v90, off, s32 offset:220
	scratch_load_b32 v89, off, s32 offset:224
	scratch_load_b32 v88, off, s32 offset:228
	scratch_load_b32 v79, off, s32 offset:232
	scratch_load_b32 v78, off, s32 offset:236
	scratch_load_b32 v77, off, s32 offset:240
	scratch_load_b32 v76, off, s32 offset:244
	scratch_load_b32 v75, off, s32 offset:248
	scratch_load_b32 v74, off, s32 offset:252
	scratch_load_b32 v73, off, s32 offset:256
	scratch_load_b32 v72, off, s32 offset:260
	s_clause 0xf
	scratch_load_b32 v63, off, s32 offset:264
	scratch_load_b32 v62, off, s32 offset:268
	;; [unrolled: 1-line block ×16, first 2 shown]
	s_waitcnt vmcnt(0) lgkmcnt(0)
	s_setpc_b64 s[30:31]
.LBB260_1685:
	v_lshl_add_u32 v24, v25, 2, v26
	ds_load_b32 v24, v24
	s_waitcnt lgkmcnt(0)
	v_add_f32_e32 v0, v24, v0
	s_or_b32 exec_lo, exec_lo, s0
	s_and_saveexec_b32 s0, vcc_lo
	s_cbranch_execz .LBB260_1629
.LBB260_1686:
	v_lshl_add_u32 v24, v25, 2, v26
	ds_load_b32 v24, v24 offset:16
	s_waitcnt lgkmcnt(0)
	v_add_f32_e32 v1, v24, v1
	s_or_b32 exec_lo, exec_lo, s0
	s_and_saveexec_b32 s0, vcc_lo
	s_cbranch_execz .LBB260_1630
.LBB260_1687:
	v_lshl_add_u32 v24, v25, 2, v26
	ds_load_b32 v24, v24 offset:32
	s_waitcnt lgkmcnt(0)
	v_add_f32_e32 v2, v24, v2
	s_or_b32 exec_lo, exec_lo, s0
	s_and_saveexec_b32 s0, vcc_lo
	s_cbranch_execz .LBB260_1631
.LBB260_1688:
	v_lshl_add_u32 v24, v25, 2, v26
	ds_load_b32 v24, v24 offset:48
	s_waitcnt lgkmcnt(0)
	v_add_f32_e32 v3, v24, v3
	s_or_b32 exec_lo, exec_lo, s0
	s_and_saveexec_b32 s0, vcc_lo
	s_cbranch_execz .LBB260_1632
.LBB260_1689:
	v_lshl_add_u32 v24, v25, 2, v26
	ds_load_b32 v24, v24 offset:64
	s_waitcnt lgkmcnt(0)
	v_add_f32_e32 v4, v24, v4
	s_or_b32 exec_lo, exec_lo, s0
	s_and_saveexec_b32 s0, vcc_lo
	s_cbranch_execz .LBB260_1633
.LBB260_1690:
	v_lshl_add_u32 v24, v25, 2, v26
	ds_load_b32 v24, v24 offset:80
	s_waitcnt lgkmcnt(0)
	v_add_f32_e32 v5, v24, v5
	s_or_b32 exec_lo, exec_lo, s0
	s_and_saveexec_b32 s0, vcc_lo
	s_cbranch_execz .LBB260_1634
.LBB260_1691:
	v_lshl_add_u32 v24, v25, 2, v26
	ds_load_b32 v24, v24 offset:96
	s_waitcnt lgkmcnt(0)
	v_add_f32_e32 v6, v24, v6
	s_or_b32 exec_lo, exec_lo, s0
	s_and_saveexec_b32 s0, vcc_lo
	s_cbranch_execz .LBB260_1635
.LBB260_1692:
	v_lshl_add_u32 v24, v25, 2, v26
	ds_load_b32 v24, v24 offset:112
	s_waitcnt lgkmcnt(0)
	v_add_f32_e32 v7, v24, v7
	s_or_b32 exec_lo, exec_lo, s0
	s_and_saveexec_b32 s0, vcc_lo
	s_cbranch_execz .LBB260_1636
.LBB260_1693:
	v_lshl_add_u32 v24, v25, 2, v26
	ds_load_b32 v24, v24 offset:128
	s_waitcnt lgkmcnt(0)
	v_add_f32_e32 v8, v24, v8
	s_or_b32 exec_lo, exec_lo, s0
	s_and_saveexec_b32 s0, vcc_lo
	s_cbranch_execz .LBB260_1637
.LBB260_1694:
	v_lshl_add_u32 v24, v25, 2, v26
	ds_load_b32 v24, v24 offset:144
	s_waitcnt lgkmcnt(0)
	v_add_f32_e32 v9, v24, v9
	s_or_b32 exec_lo, exec_lo, s0
	s_and_saveexec_b32 s0, vcc_lo
	s_cbranch_execz .LBB260_1638
.LBB260_1695:
	v_lshl_add_u32 v24, v25, 2, v26
	ds_load_b32 v24, v24 offset:160
	s_waitcnt lgkmcnt(0)
	v_add_f32_e32 v10, v24, v10
	s_or_b32 exec_lo, exec_lo, s0
	s_and_saveexec_b32 s0, vcc_lo
	s_cbranch_execz .LBB260_1639
.LBB260_1696:
	v_lshl_add_u32 v24, v25, 2, v26
	ds_load_b32 v24, v24 offset:176
	s_waitcnt lgkmcnt(0)
	v_add_f32_e32 v11, v24, v11
	s_or_b32 exec_lo, exec_lo, s0
	s_and_saveexec_b32 s0, vcc_lo
	s_cbranch_execz .LBB260_1640
.LBB260_1697:
	v_lshl_add_u32 v24, v25, 2, v26
	ds_load_b32 v24, v24 offset:192
	s_waitcnt lgkmcnt(0)
	v_add_f32_e32 v12, v24, v12
	s_or_b32 exec_lo, exec_lo, s0
	s_and_saveexec_b32 s0, vcc_lo
	s_cbranch_execz .LBB260_1641
.LBB260_1698:
	v_lshl_add_u32 v24, v25, 2, v26
	ds_load_b32 v24, v24 offset:208
	s_waitcnt lgkmcnt(0)
	v_add_f32_e32 v13, v24, v13
	s_or_b32 exec_lo, exec_lo, s0
	s_and_saveexec_b32 s0, vcc_lo
	s_cbranch_execz .LBB260_1642
.LBB260_1699:
	v_lshl_add_u32 v24, v25, 2, v26
	ds_load_b32 v24, v24 offset:224
	s_waitcnt lgkmcnt(0)
	v_add_f32_e32 v14, v24, v14
	s_or_b32 exec_lo, exec_lo, s0
	s_and_saveexec_b32 s0, vcc_lo
	s_cbranch_execz .LBB260_1643
.LBB260_1700:
	v_lshl_add_u32 v24, v25, 2, v26
	ds_load_b32 v24, v24 offset:240
	s_waitcnt lgkmcnt(0)
	v_add_f32_e32 v15, v24, v15
	s_or_b32 exec_lo, exec_lo, s0
	s_and_saveexec_b32 s0, vcc_lo
	s_cbranch_execz .LBB260_1644
.LBB260_1701:
	v_lshl_add_u32 v24, v25, 2, v26
	ds_load_b32 v24, v24 offset:256
	s_waitcnt lgkmcnt(0)
	v_add_f32_e32 v16, v24, v16
	s_or_b32 exec_lo, exec_lo, s0
	s_and_saveexec_b32 s0, vcc_lo
	s_cbranch_execz .LBB260_1645
.LBB260_1702:
	v_lshl_add_u32 v24, v25, 2, v26
	ds_load_b32 v24, v24 offset:272
	s_waitcnt lgkmcnt(0)
	v_add_f32_e32 v17, v24, v17
	s_or_b32 exec_lo, exec_lo, s0
	s_and_saveexec_b32 s0, vcc_lo
	s_cbranch_execz .LBB260_1646
.LBB260_1703:
	v_lshl_add_u32 v24, v25, 2, v26
	ds_load_b32 v24, v24 offset:288
	s_waitcnt lgkmcnt(0)
	v_add_f32_e32 v18, v24, v18
	s_or_b32 exec_lo, exec_lo, s0
	s_and_saveexec_b32 s0, vcc_lo
	s_cbranch_execz .LBB260_1647
.LBB260_1704:
	v_lshl_add_u32 v24, v25, 2, v26
	ds_load_b32 v24, v24 offset:304
	s_waitcnt lgkmcnt(0)
	v_add_f32_e32 v19, v24, v19
	s_or_b32 exec_lo, exec_lo, s0
	s_and_saveexec_b32 s0, vcc_lo
	s_cbranch_execz .LBB260_1648
.LBB260_1705:
	v_lshl_add_u32 v24, v25, 2, v26
	ds_load_b32 v24, v24 offset:320
	s_waitcnt lgkmcnt(0)
	v_add_f32_e32 v20, v24, v20
	s_or_b32 exec_lo, exec_lo, s0
	s_and_saveexec_b32 s0, vcc_lo
	s_cbranch_execz .LBB260_1649
.LBB260_1706:
	v_lshl_add_u32 v24, v25, 2, v26
	ds_load_b32 v24, v24 offset:336
	s_waitcnt lgkmcnt(0)
	v_add_f32_e32 v21, v24, v21
	s_or_b32 exec_lo, exec_lo, s0
	s_and_saveexec_b32 s0, vcc_lo
	s_cbranch_execz .LBB260_1650
.LBB260_1707:
	v_lshl_add_u32 v24, v25, 2, v26
	ds_load_b32 v24, v24 offset:352
	s_waitcnt lgkmcnt(0)
	v_add_f32_e32 v22, v24, v22
	s_or_b32 exec_lo, exec_lo, s0
	s_and_saveexec_b32 s0, vcc_lo
	s_cbranch_execnz .LBB260_1651
	s_branch .LBB260_1652
.LBB260_1708:
	ds_load_b32 v26, v25
	s_waitcnt lgkmcnt(0)
	v_add_f32_e32 v0, v26, v0
	s_or_b32 exec_lo, exec_lo, s0
	s_and_saveexec_b32 s0, vcc_lo
	s_cbranch_execz .LBB260_1658
.LBB260_1709:
	ds_load_b32 v26, v25 offset:16
	s_waitcnt lgkmcnt(0)
	v_add_f32_e32 v1, v26, v1
	s_or_b32 exec_lo, exec_lo, s0
	s_and_saveexec_b32 s0, vcc_lo
	s_cbranch_execz .LBB260_1659
.LBB260_1710:
	ds_load_b32 v26, v25 offset:32
	s_waitcnt lgkmcnt(0)
	v_add_f32_e32 v2, v26, v2
	s_or_b32 exec_lo, exec_lo, s0
	s_and_saveexec_b32 s0, vcc_lo
	s_cbranch_execz .LBB260_1660
.LBB260_1711:
	ds_load_b32 v26, v25 offset:48
	s_waitcnt lgkmcnt(0)
	v_add_f32_e32 v3, v26, v3
	s_or_b32 exec_lo, exec_lo, s0
	s_and_saveexec_b32 s0, vcc_lo
	s_cbranch_execz .LBB260_1661
.LBB260_1712:
	ds_load_b32 v26, v25 offset:64
	s_waitcnt lgkmcnt(0)
	v_add_f32_e32 v4, v26, v4
	s_or_b32 exec_lo, exec_lo, s0
	s_and_saveexec_b32 s0, vcc_lo
	s_cbranch_execz .LBB260_1662
.LBB260_1713:
	ds_load_b32 v26, v25 offset:80
	s_waitcnt lgkmcnt(0)
	v_add_f32_e32 v5, v26, v5
	s_or_b32 exec_lo, exec_lo, s0
	s_and_saveexec_b32 s0, vcc_lo
	s_cbranch_execz .LBB260_1663
.LBB260_1714:
	ds_load_b32 v26, v25 offset:96
	s_waitcnt lgkmcnt(0)
	v_add_f32_e32 v6, v26, v6
	s_or_b32 exec_lo, exec_lo, s0
	s_and_saveexec_b32 s0, vcc_lo
	s_cbranch_execz .LBB260_1664
.LBB260_1715:
	ds_load_b32 v26, v25 offset:112
	s_waitcnt lgkmcnt(0)
	v_add_f32_e32 v7, v26, v7
	s_or_b32 exec_lo, exec_lo, s0
	s_and_saveexec_b32 s0, vcc_lo
	s_cbranch_execz .LBB260_1665
.LBB260_1716:
	ds_load_b32 v26, v25 offset:128
	s_waitcnt lgkmcnt(0)
	v_add_f32_e32 v8, v26, v8
	s_or_b32 exec_lo, exec_lo, s0
	s_and_saveexec_b32 s0, vcc_lo
	s_cbranch_execz .LBB260_1666
.LBB260_1717:
	ds_load_b32 v26, v25 offset:144
	s_waitcnt lgkmcnt(0)
	v_add_f32_e32 v9, v26, v9
	s_or_b32 exec_lo, exec_lo, s0
	s_and_saveexec_b32 s0, vcc_lo
	s_cbranch_execz .LBB260_1667
.LBB260_1718:
	ds_load_b32 v26, v25 offset:160
	s_waitcnt lgkmcnt(0)
	v_add_f32_e32 v10, v26, v10
	s_or_b32 exec_lo, exec_lo, s0
	s_and_saveexec_b32 s0, vcc_lo
	s_cbranch_execz .LBB260_1668
.LBB260_1719:
	ds_load_b32 v26, v25 offset:176
	s_waitcnt lgkmcnt(0)
	v_add_f32_e32 v11, v26, v11
	s_or_b32 exec_lo, exec_lo, s0
	s_and_saveexec_b32 s0, vcc_lo
	s_cbranch_execz .LBB260_1669
.LBB260_1720:
	ds_load_b32 v26, v25 offset:192
	s_waitcnt lgkmcnt(0)
	v_add_f32_e32 v12, v26, v12
	s_or_b32 exec_lo, exec_lo, s0
	s_and_saveexec_b32 s0, vcc_lo
	s_cbranch_execz .LBB260_1670
.LBB260_1721:
	ds_load_b32 v26, v25 offset:208
	s_waitcnt lgkmcnt(0)
	v_add_f32_e32 v13, v26, v13
	s_or_b32 exec_lo, exec_lo, s0
	s_and_saveexec_b32 s0, vcc_lo
	s_cbranch_execz .LBB260_1671
.LBB260_1722:
	ds_load_b32 v26, v25 offset:224
	s_waitcnt lgkmcnt(0)
	v_add_f32_e32 v14, v26, v14
	s_or_b32 exec_lo, exec_lo, s0
	s_and_saveexec_b32 s0, vcc_lo
	s_cbranch_execz .LBB260_1672
.LBB260_1723:
	ds_load_b32 v26, v25 offset:240
	s_waitcnt lgkmcnt(0)
	v_add_f32_e32 v15, v26, v15
	s_or_b32 exec_lo, exec_lo, s0
	s_and_saveexec_b32 s0, vcc_lo
	s_cbranch_execz .LBB260_1673
.LBB260_1724:
	ds_load_b32 v26, v25 offset:256
	s_waitcnt lgkmcnt(0)
	v_add_f32_e32 v16, v26, v16
	s_or_b32 exec_lo, exec_lo, s0
	s_and_saveexec_b32 s0, vcc_lo
	s_cbranch_execz .LBB260_1674
.LBB260_1725:
	ds_load_b32 v26, v25 offset:272
	s_waitcnt lgkmcnt(0)
	v_add_f32_e32 v17, v26, v17
	s_or_b32 exec_lo, exec_lo, s0
	s_and_saveexec_b32 s0, vcc_lo
	s_cbranch_execz .LBB260_1675
.LBB260_1726:
	ds_load_b32 v26, v25 offset:288
	s_waitcnt lgkmcnt(0)
	v_add_f32_e32 v18, v26, v18
	s_or_b32 exec_lo, exec_lo, s0
	s_and_saveexec_b32 s0, vcc_lo
	s_cbranch_execz .LBB260_1676
.LBB260_1727:
	ds_load_b32 v26, v25 offset:304
	s_waitcnt lgkmcnt(0)
	v_add_f32_e32 v19, v26, v19
	s_or_b32 exec_lo, exec_lo, s0
	s_and_saveexec_b32 s0, vcc_lo
	s_cbranch_execz .LBB260_1677
.LBB260_1728:
	ds_load_b32 v26, v25 offset:320
	s_waitcnt lgkmcnt(0)
	v_add_f32_e32 v20, v26, v20
	s_or_b32 exec_lo, exec_lo, s0
	s_and_saveexec_b32 s0, vcc_lo
	s_cbranch_execz .LBB260_1678
.LBB260_1729:
	ds_load_b32 v26, v25 offset:336
	s_waitcnt lgkmcnt(0)
	v_add_f32_e32 v21, v26, v21
	s_or_b32 exec_lo, exec_lo, s0
	s_and_saveexec_b32 s0, vcc_lo
	s_cbranch_execz .LBB260_1679
.LBB260_1730:
	ds_load_b32 v26, v25 offset:352
	s_waitcnt lgkmcnt(0)
	v_add_f32_e32 v22, v26, v22
	s_or_b32 exec_lo, exec_lo, s0
	s_and_saveexec_b32 s0, vcc_lo
	s_cbranch_execnz .LBB260_1680
	s_branch .LBB260_1681
.Lfunc_end260:
	.size	_ZN4vllm22paged_attention_kernelIfhLi96ELi32ELi128ELNS_18Fp8KVCacheDataTypeE1ELb1ELi512EEEvPfS2_PT_PKS3_PKT0_S9_ifPKiSB_iPKfiiiSD_SD_iiiii, .Lfunc_end260-_ZN4vllm22paged_attention_kernelIfhLi96ELi32ELi128ELNS_18Fp8KVCacheDataTypeE1ELb1ELi512EEEvPfS2_PT_PKS3_PKT0_S9_ifPKiSB_iPKfiiiSD_SD_iiiii
                                        ; -- End function
	.section	.AMDGPU.csdata,"",@progbits
; Function info:
; codeLenInByte = 59908
; NumSgprs: 35
; NumVgprs: 192
; ScratchSize: 944
; MemoryBound: 0
	.section	.text._ZN4vllm25paged_attention_v2_kernelIfhLi96ELi32ELi128ELNS_18Fp8KVCacheDataTypeE1ELb1ELi512EEEvPfS2_PT_PKS3_PKT0_S9_ifPKiSB_iPKfiiiSD_SD_iiiii,"axG",@progbits,_ZN4vllm25paged_attention_v2_kernelIfhLi96ELi32ELi128ELNS_18Fp8KVCacheDataTypeE1ELb1ELi512EEEvPfS2_PT_PKS3_PKT0_S9_ifPKiSB_iPKfiiiSD_SD_iiiii,comdat
	.protected	_ZN4vllm25paged_attention_v2_kernelIfhLi96ELi32ELi128ELNS_18Fp8KVCacheDataTypeE1ELb1ELi512EEEvPfS2_PT_PKS3_PKT0_S9_ifPKiSB_iPKfiiiSD_SD_iiiii ; -- Begin function _ZN4vllm25paged_attention_v2_kernelIfhLi96ELi32ELi128ELNS_18Fp8KVCacheDataTypeE1ELb1ELi512EEEvPfS2_PT_PKS3_PKT0_S9_ifPKiSB_iPKfiiiSD_SD_iiiii
	.globl	_ZN4vllm25paged_attention_v2_kernelIfhLi96ELi32ELi128ELNS_18Fp8KVCacheDataTypeE1ELb1ELi512EEEvPfS2_PT_PKS3_PKT0_S9_ifPKiSB_iPKfiiiSD_SD_iiiii
	.p2align	8
	.type	_ZN4vllm25paged_attention_v2_kernelIfhLi96ELi32ELi128ELNS_18Fp8KVCacheDataTypeE1ELb1ELi512EEEvPfS2_PT_PKS3_PKT0_S9_ifPKiSB_iPKfiiiSD_SD_iiiii,@function
_ZN4vllm25paged_attention_v2_kernelIfhLi96ELi32ELi128ELNS_18Fp8KVCacheDataTypeE1ELb1ELi512EEEvPfS2_PT_PKS3_PKT0_S9_ifPKiSB_iPKfiiiSD_SD_iiiii: ; @_ZN4vllm25paged_attention_v2_kernelIfhLi96ELi32ELi128ELNS_18Fp8KVCacheDataTypeE1ELb1ELi512EEEvPfS2_PT_PKS3_PKT0_S9_ifPKiSB_iPKfiiiSD_SD_iiiii
; %bb.0:
	s_mov_b32 s12, s13
	s_clause 0x7
	s_load_b128 s[4:7], s[0:1], 0x78
	s_load_b32 s8, s[0:1], 0x88
	s_load_b256 s[24:31], s[0:1], 0x0
	s_load_b256 s[36:43], s[0:1], 0x20
	s_load_b64 s[2:3], s[0:1], 0x40
	s_load_b64 s[10:11], s[0:1], 0x50
	s_load_b32 s13, s[0:1], 0x48
	s_load_b256 s[16:23], s[0:1], 0x58
	s_mov_b32 s32, 0
	v_mov_b32_e32 v31, v0
	s_waitcnt lgkmcnt(0)
	v_dual_mov_b32 v1, s7 :: v_dual_mov_b32 v2, s8
	v_dual_mov_b32 v0, s24 :: v_dual_mov_b32 v3, s27
	;; [unrolled: 1-line block ×3, first 2 shown]
	v_mov_b32_e32 v6, s30
	scratch_store_b64 off, v[1:2], s32
	v_dual_mov_b32 v1, s25 :: v_dual_mov_b32 v2, s26
	v_dual_mov_b32 v7, s31 :: v_dual_mov_b32 v8, s36
	;; [unrolled: 1-line block ×13, first 2 shown]
	s_add_u32 s8, s0, 0x90
	s_addc_u32 s9, s1, 0
	s_mov_b32 s13, s14
	s_mov_b32 s14, s15
	s_movk_i32 s15, 0x52
	s_getpc_b64 s[0:1]
	s_add_u32 s0, s0, _ZN4vllm22paged_attention_kernelIfhLi96ELi32ELi128ELNS_18Fp8KVCacheDataTypeE1ELb1ELi512EEEvPfS2_PT_PKS3_PKT0_S9_ifPKiSB_iPKfiiiSD_SD_iiiii@rel32@lo+4
	s_addc_u32 s1, s1, _ZN4vllm22paged_attention_kernelIfhLi96ELi32ELi128ELNS_18Fp8KVCacheDataTypeE1ELb1ELi512EEEvPfS2_PT_PKS3_PKT0_S9_ifPKiSB_iPKfiiiSD_SD_iiiii@rel32@hi+12
	s_delay_alu instid0(SALU_CYCLE_1)
	s_swappc_b64 s[30:31], s[0:1]
	s_endpgm
	.section	.rodata,"a",@progbits
	.p2align	6, 0x0
	.amdhsa_kernel _ZN4vllm25paged_attention_v2_kernelIfhLi96ELi32ELi128ELNS_18Fp8KVCacheDataTypeE1ELb1ELi512EEEvPfS2_PT_PKS3_PKT0_S9_ifPKiSB_iPKfiiiSD_SD_iiiii
		.amdhsa_group_segment_fixed_size 416
		.amdhsa_private_segment_fixed_size 944
		.amdhsa_kernarg_size 400
		.amdhsa_user_sgpr_count 13
		.amdhsa_user_sgpr_dispatch_ptr 0
		.amdhsa_user_sgpr_queue_ptr 0
		.amdhsa_user_sgpr_kernarg_segment_ptr 1
		.amdhsa_user_sgpr_dispatch_id 0
		.amdhsa_user_sgpr_private_segment_size 0
		.amdhsa_wavefront_size32 1
		.amdhsa_uses_dynamic_stack 0
		.amdhsa_enable_private_segment 1
		.amdhsa_system_sgpr_workgroup_id_x 1
		.amdhsa_system_sgpr_workgroup_id_y 1
		.amdhsa_system_sgpr_workgroup_id_z 1
		.amdhsa_system_sgpr_workgroup_info 0
		.amdhsa_system_vgpr_workitem_id 0
		.amdhsa_next_free_vgpr 192
		.amdhsa_next_free_sgpr 44
		.amdhsa_reserve_vcc 1
		.amdhsa_float_round_mode_32 0
		.amdhsa_float_round_mode_16_64 0
		.amdhsa_float_denorm_mode_32 3
		.amdhsa_float_denorm_mode_16_64 3
		.amdhsa_dx10_clamp 1
		.amdhsa_ieee_mode 1
		.amdhsa_fp16_overflow 0
		.amdhsa_workgroup_processor_mode 1
		.amdhsa_memory_ordered 1
		.amdhsa_forward_progress 0
		.amdhsa_shared_vgpr_count 0
		.amdhsa_exception_fp_ieee_invalid_op 0
		.amdhsa_exception_fp_denorm_src 0
		.amdhsa_exception_fp_ieee_div_zero 0
		.amdhsa_exception_fp_ieee_overflow 0
		.amdhsa_exception_fp_ieee_underflow 0
		.amdhsa_exception_fp_ieee_inexact 0
		.amdhsa_exception_int_div_zero 0
	.end_amdhsa_kernel
	.section	.text._ZN4vllm25paged_attention_v2_kernelIfhLi96ELi32ELi128ELNS_18Fp8KVCacheDataTypeE1ELb1ELi512EEEvPfS2_PT_PKS3_PKT0_S9_ifPKiSB_iPKfiiiSD_SD_iiiii,"axG",@progbits,_ZN4vllm25paged_attention_v2_kernelIfhLi96ELi32ELi128ELNS_18Fp8KVCacheDataTypeE1ELb1ELi512EEEvPfS2_PT_PKS3_PKT0_S9_ifPKiSB_iPKfiiiSD_SD_iiiii,comdat
.Lfunc_end261:
	.size	_ZN4vllm25paged_attention_v2_kernelIfhLi96ELi32ELi128ELNS_18Fp8KVCacheDataTypeE1ELb1ELi512EEEvPfS2_PT_PKS3_PKT0_S9_ifPKiSB_iPKfiiiSD_SD_iiiii, .Lfunc_end261-_ZN4vllm25paged_attention_v2_kernelIfhLi96ELi32ELi128ELNS_18Fp8KVCacheDataTypeE1ELb1ELi512EEEvPfS2_PT_PKS3_PKT0_S9_ifPKiSB_iPKfiiiSD_SD_iiiii
                                        ; -- End function
	.section	.AMDGPU.csdata,"",@progbits
; Kernel info:
; codeLenInByte = 280
; NumSgprs: 46
; NumVgprs: 192
; ScratchSize: 944
; MemoryBound: 0
; FloatMode: 240
; IeeeMode: 1
; LDSByteSize: 416 bytes/workgroup (compile time only)
; SGPRBlocks: 5
; VGPRBlocks: 23
; NumSGPRsForWavesPerEU: 46
; NumVGPRsForWavesPerEU: 192
; Occupancy: 8
; WaveLimiterHint : 1
; COMPUTE_PGM_RSRC2:SCRATCH_EN: 1
; COMPUTE_PGM_RSRC2:USER_SGPR: 13
; COMPUTE_PGM_RSRC2:TRAP_HANDLER: 0
; COMPUTE_PGM_RSRC2:TGID_X_EN: 1
; COMPUTE_PGM_RSRC2:TGID_Y_EN: 1
; COMPUTE_PGM_RSRC2:TGID_Z_EN: 1
; COMPUTE_PGM_RSRC2:TIDIG_COMP_CNT: 0
	.text
	.p2align	2                               ; -- Begin function _ZN4vllm22paged_attention_kernelIfhLi112ELi32ELi128ELNS_18Fp8KVCacheDataTypeE1ELb1ELi512EEEvPfS2_PT_PKS3_PKT0_S9_ifPKiSB_iPKfiiiSD_SD_iiiii
	.type	_ZN4vllm22paged_attention_kernelIfhLi112ELi32ELi128ELNS_18Fp8KVCacheDataTypeE1ELb1ELi512EEEvPfS2_PT_PKS3_PKT0_S9_ifPKiSB_iPKfiiiSD_SD_iiiii,@function
_ZN4vllm22paged_attention_kernelIfhLi112ELi32ELi128ELNS_18Fp8KVCacheDataTypeE1ELb1ELi512EEEvPfS2_PT_PKS3_PKT0_S9_ifPKiSB_iPKfiiiSD_SD_iiiii: ; @_ZN4vllm22paged_attention_kernelIfhLi112ELi32ELi128ELNS_18Fp8KVCacheDataTypeE1ELb1ELi512EEEvPfS2_PT_PKS3_PKT0_S9_ifPKiSB_iPKfiiiSD_SD_iiiii
; %bb.0:
	s_waitcnt vmcnt(0) expcnt(0) lgkmcnt(0)
	s_clause 0x1f
	scratch_store_b32 off, v40, s32 offset:324
	; meta instruction
	scratch_store_b32 off, v41, s32 offset:320
	; meta instruction
	;; [unrolled: 2-line block ×31, first 2 shown]
	scratch_store_b32 off, v95, s32 offset:200
	s_clause 0x1f
	scratch_store_b32 off, v104, s32 offset:196
	; meta instruction
	scratch_store_b32 off, v105, s32 offset:192
	; meta instruction
	;; [unrolled: 2-line block ×31, first 2 shown]
	scratch_store_b32 off, v159, s32 offset:72
	s_clause 0xf
	scratch_store_b32 off, v168, s32 offset:68
	; meta instruction
	scratch_store_b32 off, v169, s32 offset:64
	; meta instruction
	;; [unrolled: 2-line block ×15, first 2 shown]
	scratch_store_b32 off, v191, s32 offset:8
	s_mov_b32 s10, s13
	s_ashr_i32 s11, s13, 31
	v_dual_mov_b32 v32, v1 :: v_dual_mov_b32 v33, v0
	s_lshl_b64 s[0:1], s[10:11], 2
	s_clause 0x2
	scratch_store_b64 off, v[26:27], s32 offset:576
	scratch_store_b64 off, v[24:25], s32 offset:584
	scratch_store_b32 off, v22, s32 offset:564
	v_add_co_u32 v0, vcc_lo, v16, s0
	v_add_co_ci_u32_e32 v1, vcc_lo, s1, v17, vcc_lo
	s_clause 0x1
	scratch_store_b32 off, v5, s32 offset:1064
	scratch_store_b32 off, v4, s32 offset:1068
	v_dual_mov_b32 v34, v3 :: v_dual_mov_b32 v35, v2
	flat_load_b32 v22, v[0:1]
	s_clause 0x1
	scratch_load_b32 v2, off, s32 offset:4
	scratch_load_b32 v3, off, s32
	v_dual_mov_b32 v80, v11 :: v_dual_mov_b32 v81, v10
	s_mov_b32 s6, s15
	s_lshl_b32 s15, s14, 9
	s_mov_b32 s18, exec_lo
	s_waitcnt vmcnt(2) lgkmcnt(0)
	v_cmpx_lt_i32_e64 s15, v22
	s_cbranch_execz .LBB262_1956
; %bb.1:
	v_sub_nc_u32_e32 v0, 0, v12
	s_clause 0x1
	s_load_b32 s0, s[8:9], 0x10
	s_load_b32 s1, s[8:9], 0x0
	v_mov_b32_e32 v143, 0
	v_max_i32_e32 v0, v12, v0
	s_delay_alu instid0(VALU_DEP_1) | instskip(SKIP_1) | instid1(VALU_DEP_2)
	v_cvt_f32_u32_e32 v1, v0
	v_sub_nc_u32_e32 v4, 0, v0
	v_rcp_iflag_f32_e32 v1, v1
	s_waitcnt lgkmcnt(0)
	s_lshr_b32 s0, s0, 16
	s_delay_alu instid0(SALU_CYCLE_1) | instskip(SKIP_3) | instid1(SALU_CYCLE_1)
	s_cmp_lg_u32 s0, 0
	s_waitcnt_depctr 0xfff
	v_mul_f32_e32 v1, 0x4f7ffffe, v1
	s_cselect_b32 s0, -1, 0
	s_cmp_lg_u32 s0, 0
	s_delay_alu instid0(VALU_DEP_1) | instskip(SKIP_3) | instid1(VALU_DEP_1)
	v_cvt_u32_f32_e32 v1, v1
	s_addc_u32 s11, s1, 0
	s_mov_b32 s1, exec_lo
	s_abs_i32 s0, s11
	v_mul_lo_u32 v4, v4, v1
	s_delay_alu instid0(VALU_DEP_1) | instskip(NEXT) | instid1(VALU_DEP_1)
	v_mul_hi_u32 v4, v1, v4
	v_add_nc_u32_e32 v1, v1, v4
	s_delay_alu instid0(VALU_DEP_1) | instskip(NEXT) | instid1(VALU_DEP_1)
	v_mul_hi_u32 v1, s0, v1
	v_mul_lo_u32 v4, v1, v0
	v_add_nc_u32_e32 v5, 1, v1
	s_delay_alu instid0(VALU_DEP_2) | instskip(SKIP_1) | instid1(VALU_DEP_1)
	v_sub_nc_u32_e32 v4, s0, v4
	s_abs_i32 s0, s12
	v_sub_nc_u32_e32 v10, v4, v0
	v_cmp_ge_u32_e32 vcc_lo, v4, v0
	s_delay_alu instid0(VALU_DEP_2) | instskip(SKIP_1) | instid1(VALU_DEP_2)
	v_dual_cndmask_b32 v1, v1, v5 :: v_dual_cndmask_b32 v4, v4, v10
	v_xor_b32_e32 v5, s11, v12
	v_add_nc_u32_e32 v10, 1, v1
	s_delay_alu instid0(VALU_DEP_3) | instskip(NEXT) | instid1(VALU_DEP_3)
	v_cmp_ge_u32_e32 vcc_lo, v4, v0
	v_ashrrev_i32_e32 v5, 31, v5
	s_delay_alu instid0(VALU_DEP_3) | instskip(NEXT) | instid1(VALU_DEP_1)
	v_cndmask_b32_e32 v0, v1, v10, vcc_lo
	v_xor_b32_e32 v0, v0, v5
	s_delay_alu instid0(VALU_DEP_1) | instskip(NEXT) | instid1(VALU_DEP_1)
	v_sub_nc_u32_e32 v5, v0, v5
	v_sub_nc_u32_e32 v0, 0, v5
	s_delay_alu instid0(VALU_DEP_1) | instskip(NEXT) | instid1(VALU_DEP_1)
	v_max_i32_e32 v4, v5, v0
	v_cvt_f32_u32_e32 v0, v4
	v_sub_nc_u32_e32 v1, 0, v4
	s_delay_alu instid0(VALU_DEP_2) | instskip(SKIP_2) | instid1(VALU_DEP_1)
	v_rcp_iflag_f32_e32 v0, v0
	s_waitcnt_depctr 0xfff
	v_mul_f32_e32 v0, 0x4f7ffffe, v0
	v_cvt_u32_f32_e32 v0, v0
	s_delay_alu instid0(VALU_DEP_1) | instskip(NEXT) | instid1(VALU_DEP_1)
	v_mul_lo_u32 v1, v1, v0
	v_mul_hi_u32 v1, v0, v1
	s_delay_alu instid0(VALU_DEP_1) | instskip(NEXT) | instid1(VALU_DEP_1)
	v_add_nc_u32_e32 v10, v0, v1
	v_mad_u64_u32 v[0:1], null, s0, v10, 0
	v_cmpx_ne_u64_e32 0, v[19:20]
	s_cbranch_execz .LBB262_3
; %bb.2:
	s_ashr_i32 s13, s12, 31
	s_delay_alu instid0(SALU_CYCLE_1) | instskip(NEXT) | instid1(SALU_CYCLE_1)
	s_lshl_b64 s[2:3], s[12:13], 2
	v_add_co_u32 v10, vcc_lo, v19, s2
	v_add_co_ci_u32_e32 v11, vcc_lo, s3, v20, vcc_lo
	flat_load_b32 v143, v[10:11]
.LBB262_3:
	s_or_b32 exec_lo, exec_lo, s1
	v_and_b32_e32 v19, 0x3ff, v31
	v_ashrrev_i32_e32 v0, 31, v5
	s_ashr_i32 s1, s12, 31
	s_mul_i32 s4, s12, 0x70
	s_mov_b32 s2, exec_lo
	v_cmpx_gt_u32_e32 28, v19
	s_cbranch_execz .LBB262_5
; %bb.4:
	v_mul_lo_u32 v10, s10, v21
	s_ashr_i32 s5, s4, 31
	v_lshlrev_b32_e32 v17, 4, v19
	s_lshl_b64 s[16:17], s[4:5], 2
	s_delay_alu instid0(VALU_DEP_2) | instskip(NEXT) | instid1(VALU_DEP_1)
	v_ashrrev_i32_e32 v11, 31, v10
	v_lshlrev_b64 v[10:11], 2, v[10:11]
	s_delay_alu instid0(VALU_DEP_1) | instskip(NEXT) | instid1(VALU_DEP_2)
	v_add_co_u32 v5, vcc_lo, v6, v10
	v_add_co_ci_u32_e32 v6, vcc_lo, v7, v11, vcc_lo
	s_delay_alu instid0(VALU_DEP_2) | instskip(NEXT) | instid1(VALU_DEP_2)
	v_add_co_u32 v5, vcc_lo, v5, s16
	v_add_co_ci_u32_e32 v6, vcc_lo, s17, v6, vcc_lo
	s_delay_alu instid0(VALU_DEP_2) | instskip(NEXT) | instid1(VALU_DEP_2)
	v_add_co_u32 v5, vcc_lo, v5, v17
	v_add_co_ci_u32_e32 v6, vcc_lo, 0, v6, vcc_lo
	flat_load_b128 v[36:39], v[5:6]
	s_waitcnt vmcnt(0) lgkmcnt(0)
	ds_store_b128 v17, v[36:39]
.LBB262_5:
	s_or_b32 exec_lo, exec_lo, s2
	s_waitcnt vmcnt(0)
	v_sub_nc_u32_e32 v5, 0, v3
	v_mul_lo_u32 v6, v1, v4
	s_delay_alu instid0(VALU_DEP_2) | instskip(NEXT) | instid1(VALU_DEP_2)
	v_max_i32_e32 v10, v3, v5
	v_sub_nc_u32_e32 v6, s0, v6
	s_delay_alu instid0(VALU_DEP_2) | instskip(SKIP_1) | instid1(VALU_DEP_2)
	v_cvt_f32_u32_e32 v5, v10
	s_mov_b32 s0, exec_lo
	v_sub_nc_u32_e32 v11, v6, v4
	s_delay_alu instid0(VALU_DEP_2) | instskip(SKIP_3) | instid1(VALU_DEP_1)
	v_rcp_iflag_f32_e32 v5, v5
	v_cmp_ge_u32_e32 vcc_lo, v6, v4
	s_waitcnt_depctr 0xfff
	v_dual_cndmask_b32 v6, v6, v11 :: v_dual_mul_f32 v5, 0x4f7ffffe, v5
	v_cvt_u32_f32_e32 v7, v5
	v_sub_nc_u32_e32 v5, 0, v10
	s_delay_alu instid0(VALU_DEP_1) | instskip(SKIP_1) | instid1(VALU_DEP_1)
	v_mul_lo_u32 v16, v5, v7
	v_add_nc_u32_e32 v5, -1, v22
	v_sub_nc_u32_e32 v17, 0, v5
	s_delay_alu instid0(VALU_DEP_3) | instskip(SKIP_1) | instid1(VALU_DEP_2)
	v_mul_hi_u32 v11, v7, v16
	v_xor_b32_e32 v16, s1, v0
	v_add_nc_u32_e32 v7, v7, v11
	scratch_store_b32 off, v10, s32 offset:328 ; 4-byte Folded Spill
	v_add_nc_u32_e32 v10, 1, v1
	scratch_store_b32 off, v7, s32 offset:348 ; 4-byte Folded Spill
	s_waitcnt lgkmcnt(0)
	s_waitcnt_vscnt null, 0x0
	v_cndmask_b32_e32 v1, v1, v10, vcc_lo
	v_cmp_ge_u32_e32 vcc_lo, v6, v4
	v_max_i32_e32 v4, v5, v17
	s_barrier
	buffer_gl0_inv
	v_add_nc_u32_e32 v10, 1, v1
	s_delay_alu instid0(VALU_DEP_1) | instskip(NEXT) | instid1(VALU_DEP_1)
	v_cndmask_b32_e32 v0, v1, v10, vcc_lo
	v_xor_b32_e32 v6, v0, v16
	v_mad_u64_u32 v[0:1], null, v4, v7, 0
	s_delay_alu instid0(VALU_DEP_2)
	v_sub_nc_u32_e32 v0, v6, v16
                                        ; implicit-def: $vgpr6
	scratch_store_b64 off, v[6:7], s32 offset:332 ; 8-byte Folded Spill
	v_cmpx_gt_i32_e32 0, v2
	s_xor_b32 s0, exec_lo, s0
	s_cbranch_execz .LBB262_7
; %bb.6:
	v_mad_u64_u32 v[6:7], null, v28, v12, v[0:1]
                                        ; implicit-def: $vgpr28
	s_delay_alu instid0(VALU_DEP_1) | instskip(NEXT) | instid1(VALU_DEP_1)
	v_mul_lo_u32 v2, v6, v2
	v_sub_nc_u32_e32 v2, 1, v2
	scratch_store_b64 off, v[2:3], s32 offset:332 ; 8-byte Folded Spill
                                        ; implicit-def: $vgpr2
.LBB262_7:
	s_or_saveexec_b32 s0, s0
	v_ashrrev_i32_e32 v5, 31, v5
	v_ashrrev_i32_e32 v3, 31, v3
	scratch_store_b32 off, v3, s32 offset:340 ; 4-byte Folded Spill
	s_xor_b32 exec_lo, exec_lo, s0
	s_cbranch_execz .LBB262_9
; %bb.8:
	v_mad_u64_u32 v[6:7], null, s11, v28, s[12:13]
	s_delay_alu instid0(VALU_DEP_1)
	v_mad_u64_u32 v[10:11], null, v6, v2, 1
	scratch_store_b64 off, v[10:11], s32 offset:332 ; 8-byte Folded Spill
.LBB262_9:
	s_or_b32 exec_lo, exec_lo, s0
	scratch_load_b32 v12, off, s32 offset:328 ; 4-byte Folded Reload
	s_clause 0x1
	s_load_b32 s19, s[8:9], 0x14
	s_load_b32 s5, s[8:9], 0x8
	scratch_load_b32 v7, off, s32 offset:340 ; 4-byte Folded Reload
	v_dual_mov_b32 v26, 0xff7fffff :: v_dual_add_nc_u32 v3, 31, v22
	v_add_nc_u32_e32 v6, 1, v1
	v_lshrrev_b32_e32 v11, 5, v19
	scratch_store_b32 off, v19, s32 offset:1052 ; 4-byte Folded Spill
	s_lshl_b32 s13, s14, 4
	v_sub_nc_u32_e32 v17, 0, v30
	s_add_i32 s0, s13, 16
	v_add_nc_u32_e32 v88, s13, v11
	v_lshl_add_u32 v159, v11, 5, s15
	s_delay_alu instid0(VALU_DEP_2)
	v_ashrrev_i32_e32 v89, 31, v88
	s_waitcnt vmcnt(1)
	v_mul_lo_u32 v2, v1, v12
	s_waitcnt vmcnt(0)
	v_xor_b32_e32 v5, v5, v7
	v_ashrrev_i32_e32 v7, 31, v3
	s_delay_alu instid0(VALU_DEP_3) | instskip(SKIP_1) | instid1(VALU_DEP_2)
	v_sub_nc_u32_e32 v4, v4, v2
	v_mul_lo_u32 v2, s10, v18
	v_sub_nc_u32_e32 v10, v4, v12
	v_cmp_ge_u32_e32 vcc_lo, v4, v12
	v_cndmask_b32_e32 v1, v1, v6, vcc_lo
	s_delay_alu instid0(VALU_DEP_3)
	v_cndmask_b32_e32 v4, v4, v10, vcc_lo
	v_lshrrev_b32_e32 v6, 27, v7
	v_and_b32_e32 v10, 31, v19
	v_mul_lo_u32 v19, v0, v23
	v_add_nc_u32_e32 v7, 1, v1
	v_cmp_ge_u32_e32 vcc_lo, v4, v12
	v_add_nc_u32_e32 v3, v3, v6
	s_delay_alu instid0(VALU_DEP_3) | instskip(NEXT) | instid1(VALU_DEP_2)
	v_cndmask_b32_e32 v1, v1, v7, vcc_lo
	v_ashrrev_i32_e32 v16, 5, v3
	v_ashrrev_i32_e32 v3, 31, v2
	;; [unrolled: 1-line block ×3, first 2 shown]
	s_delay_alu instid0(VALU_DEP_4) | instskip(NEXT) | instid1(VALU_DEP_4)
	v_xor_b32_e32 v0, v1, v5
	v_min_i32_e32 v1, s0, v16
	scratch_store_b32 off, v11, s32 offset:1060 ; 4-byte Folded Spill
	v_lshlrev_b64 v[11:12], 2, v[2:3]
	v_sub_nc_u32_e32 v0, v0, v5
	scratch_store_b32 off, v1, s32 offset:344 ; 4-byte Folded Spill
	v_cmp_lt_i32_e64 s0, v88, v1
	v_sub_nc_u32_e32 v0, v0, v29
	s_clause 0x1
	scratch_store_b32 off, v0, s32 offset:352
	scratch_store_b32 off, v10, s32 offset:572
	v_lshlrev_b32_e32 v10, 2, v10
	s_and_saveexec_b32 s20, s0
	s_cbranch_execz .LBB262_913
; %bb.10:
	s_clause 0x8
	scratch_store_b32 off, v16, s32 offset:1116
	scratch_store_b32 off, v35, s32 offset:1100
	;; [unrolled: 1-line block ×9, first 2 shown]
	scratch_load_b32 v6, off, s32 offset:572 ; 4-byte Folded Reload
	v_max_i32_e32 v142, v30, v17
	v_add_co_u32 v2, vcc_lo, v8, v19
	v_add_co_ci_u32_e32 v3, vcc_lo, v9, v18, vcc_lo
	s_delay_alu instid0(VALU_DEP_3)
	v_cvt_f32_u32_e32 v0, v142
	s_ashr_i32 s7, s6, 31
	s_getpc_b64 s[2:3]
	s_add_u32 s2, s2, llvm.amdgcn.dynlds.offset.table@rel32@lo+4
	s_addc_u32 s3, s3, llvm.amdgcn.dynlds.offset.table@rel32@hi+12
	s_lshl_b64 s[8:9], s[6:7], 2
	v_cmp_neq_f32_e32 vcc_lo, 0, v143
	v_rcp_iflag_f32_e32 v5, v0
	v_lshlrev_b64 v[0:1], 2, v[88:89]
	s_add_u32 s8, s8, s2
	s_addc_u32 s9, s9, s3
	v_mov_b32_e32 v26, 0xff7fffff
	s_load_b32 s7, s[8:9], 0x0
	s_mov_b32 s16, 0
	s_brev_b32 s17, 1
	s_mov_b32 s3, 0x7f800001
	s_mov_b32 s21, s16
	v_mov_b32_e32 v29, 0
	scratch_store_b32 off, v15, s32 offset:1072 ; 4-byte Folded Spill
	v_mov_b32_e32 v47, v88
	s_clause 0x3
	scratch_store_b32 off, v142, s32 offset:1056
	scratch_store_b32 off, v14, s32 offset:1076
	scratch_store_b64 off, v[11:12], s32 offset:1104
	scratch_store_b32 off, v10, s32 offset:1132
	s_waitcnt vmcnt(0)
	v_lshlrev_b32_e32 v4, 4, v6
	s_delay_alu instid0(VALU_DEP_1) | instskip(NEXT) | instid1(VALU_DEP_1)
	v_add_co_u32 v2, s1, v2, v4
	v_add_co_ci_u32_e64 v3, s1, 0, v3, s1
	v_add_co_u32 v0, s1, v11, v0
	s_delay_alu instid0(VALU_DEP_1)
	v_add_co_ci_u32_e64 v1, s1, v12, v1, s1
	scratch_store_b64 off, v[2:3], s32 offset:592 ; 8-byte Folded Spill
	v_add_co_u32 v94, s1, v14, v0
	scratch_load_b32 v0, off, s32 offset:1060 ; 4-byte Folded Reload
	v_mul_f32_e32 v3, 0x4f7ffffe, v5
	v_sub_nc_u32_e32 v2, 0, v142
	scratch_store_b32 off, v18, s32 offset:1124 ; 4-byte Folded Spill
	v_add_co_ci_u32_e64 v95, s1, v15, v1, s1
	v_cvt_u32_f32_e32 v3, v3
	s_delay_alu instid0(VALU_DEP_1) | instskip(NEXT) | instid1(VALU_DEP_1)
	v_mul_lo_u32 v2, v2, v3
	v_mul_hi_u32 v2, v3, v2
	s_delay_alu instid0(VALU_DEP_1)
	v_add_nc_u32_e32 v2, v3, v2
	s_clause 0x1
	scratch_store_b32 off, v2, s32 offset:568
	scratch_store_b32 off, v19, s32 offset:1112
	ds_load_b128 v[16:19], v29
	ds_load_b128 v[2:5], v29 offset:320
	s_waitcnt lgkmcnt(0)
	s_clause 0x1
	scratch_store_b128 off, v[16:19], s32 offset:600
	scratch_store_b128 off, v[2:5], s32 offset:920
	ds_load_b128 v[16:19], v29 offset:16
	ds_load_b128 v[2:5], v29 offset:336
	s_waitcnt lgkmcnt(1)
	scratch_store_b128 off, v[16:19], s32 offset:616 ; 16-byte Folded Spill
	s_waitcnt lgkmcnt(0)
	scratch_store_b128 off, v[2:5], s32 offset:936 ; 16-byte Folded Spill
	ds_load_b128 v[16:19], v29 offset:32
	ds_load_b128 v[2:5], v29 offset:352
	s_waitcnt lgkmcnt(1)
	scratch_store_b128 off, v[16:19], s32 offset:632 ; 16-byte Folded Spill
	s_waitcnt lgkmcnt(0)
	scratch_store_b128 off, v[2:5], s32 offset:952 ; 16-byte Folded Spill
	;; [unrolled: 6-line block ×7, first 2 shown]
	ds_load_b128 v[16:19], v29 offset:128
	v_sub_nc_u32_e32 v2, v6, v22
	s_waitcnt vmcnt(0)
	v_lshl_add_u32 v27, v0, 5, s15
	v_lshl_or_b32 v158, v0, 7, v10
	s_delay_alu instid0(VALU_DEP_3)
	v_add_nc_u32_e32 v0, 1, v2
	s_waitcnt lgkmcnt(0)
	scratch_store_b128 off, v[16:19], s32 offset:728 ; 16-byte Folded Spill
	ds_load_b128 v[16:19], v29 offset:144
	scratch_store_b32 off, v0, s32 offset:1048 ; 4-byte Folded Spill
	s_waitcnt lgkmcnt(0)
	scratch_store_b128 off, v[16:19], s32 offset:744 ; 16-byte Folded Spill
	ds_load_b128 v[16:19], v29 offset:160
	s_waitcnt lgkmcnt(0)
	scratch_store_b128 off, v[16:19], s32 offset:760 ; 16-byte Folded Spill
	ds_load_b128 v[16:19], v29 offset:176
	;; [unrolled: 3-line block ×10, first 2 shown]
	s_waitcnt lgkmcnt(0)
	scratch_store_b128 off, v[16:19], s32 offset:904 ; 16-byte Folded Spill
	s_branch .LBB262_16
.LBB262_11:                             ;   in Loop: Header=BB262_16 Depth=1
	s_or_b32 exec_lo, exec_lo, s25
	v_dual_mov_b32 v106, v29 :: v_dual_lshlrev_b32 v19, 24, v19
	s_delay_alu instid0(VALU_DEP_2) | instskip(SKIP_1) | instid1(VALU_DEP_3)
	v_lshlrev_b32_e32 v28, 20, v28
	v_lshl_add_u32 v18, v18, 23, 0x3c000000
	v_and_b32_e32 v19, 0x80000000, v19
	s_delay_alu instid0(VALU_DEP_1)
	v_or3_b32 v107, v28, v19, v18
.LBB262_12:                             ;   in Loop: Header=BB262_16 Depth=1
	s_or_b32 exec_lo, exec_lo, s2
	scratch_load_b32 v142, off, s32 offset:1056 ; 4-byte Folded Reload
.LBB262_13:                             ;   in Loop: Header=BB262_16 Depth=1
	s_or_b32 exec_lo, exec_lo, s24
.LBB262_14:                             ;   in Loop: Header=BB262_16 Depth=1
	s_delay_alu instid0(SALU_CYCLE_1)
	s_or_b32 exec_lo, exec_lo, s23
	v_or_b32_e32 v28, v123, v137
	v_or_b32_e32 v137, v105, v34
	;; [unrolled: 1-line block ×5, first 2 shown]
	s_clause 0x1
	scratch_load_b64 v[24:25], off, s32 offset:556
	scratch_load_b64 v[18:19], off, s32 offset:548
	v_or_b32_e32 v34, v35, v37
	v_or_b32_e32 v31, v36, v38
	;; [unrolled: 1-line block ×70, first 2 shown]
	v_mul_f32_e32 v3, v10, v3
	s_waitcnt vmcnt(1)
	v_or_b32_e32 v7, v7, v25
	v_or_b32_e32 v35, v6, v24
	scratch_load_b64 v[24:25], off, s32 offset:540 ; 8-byte Folded Reload
	s_waitcnt vmcnt(1)
	v_or_b32_e32 v6, v17, v19
	v_or_b32_e32 v16, v16, v18
	scratch_load_b64 v[18:19], off, s32 offset:532 ; 8-byte Folded Reload
	;; [unrolled: 4-line block ×4, first 2 shown]
	v_mul_f32_e32 v1, v10, v1
	v_mul_f32_e32 v0, v10, v0
	s_waitcnt vmcnt(1)
	v_or_b32_e32 v5, v5, v25
	v_or_b32_e32 v15, v4, v24
	scratch_load_b64 v[24:25], off, s32 offset:508 ; 8-byte Folded Reload
	s_waitcnt vmcnt(1)
	v_or_b32_e32 v4, v12, v19
	v_or_b32_e32 v11, v11, v18
	v_mul_f32_e32 v5, v10, v5
	s_delay_alu instid0(VALU_DEP_3)
	v_mul_f32_e32 v4, v10, v4
	s_waitcnt vmcnt(0)
	v_or_b32_e32 v12, v187, v25
	v_or_b32_e32 v19, v186, v24
	scratch_load_b64 v[24:25], off, s32 offset:500 ; 8-byte Folded Reload
	v_mul_f32_e32 v12, v10, v12
	v_mul_f32_e32 v19, v10, v19
	s_waitcnt vmcnt(0)
	v_or_b32_e32 v18, v191, v25
	v_or_b32_e32 v36, v190, v24
	scratch_load_b64 v[24:25], off, s32 offset:492 ; 8-byte Folded Reload
	s_waitcnt vmcnt(0)
	v_or_b32_e32 v37, v171, v25
	v_or_b32_e32 v52, v170, v24
	scratch_load_b64 v[24:25], off, s32 offset:484 ; 8-byte Folded Reload
	v_mul_f32_e32 v37, v10, v37
	v_mul_f32_e32 v52, v10, v52
	s_waitcnt vmcnt(0)
	v_or_b32_e32 v38, v175, v25
	v_or_b32_e32 v53, v174, v24
	s_clause 0x1
	scratch_load_b64 v[24:25], off, s32 offset:476
	scratch_load_b64 v[68:69], off, s32 offset:452
	s_waitcnt vmcnt(0)
	v_or_b32_e32 v54, v25, v69
	v_or_b32_e32 v68, v24, v68
	s_clause 0x1
	scratch_load_b64 v[24:25], off, s32 offset:460
	scratch_load_b64 v[69:70], off, s32 offset:468
	v_mul_f32_e32 v54, v10, v54
	v_mul_f32_e32 v68, v10, v68
	s_waitcnt vmcnt(0)
	v_or_b32_e32 v55, v25, v70
	v_or_b32_e32 v69, v24, v69
	s_clause 0x1
	scratch_load_b64 v[24:25], off, s32 offset:444
	scratch_load_b64 v[84:85], off, s32 offset:420
	s_waitcnt vmcnt(0)
	v_or_b32_e32 v70, v85, v25
	v_or_b32_e32 v84, v84, v24
	s_clause 0x1
	scratch_load_b64 v[24:25], off, s32 offset:428
	scratch_load_b64 v[85:86], off, s32 offset:436
	;; [unrolled: 14-line block ×3, first 2 shown]
	v_mul_f32_e32 v87, v10, v87
	s_waitcnt vmcnt(0)
	v_or_b32_e32 v86, v101, v25
	v_or_b32_e32 v100, v100, v24
	s_clause 0x1
	scratch_load_b64 v[24:25], off, s32 offset:380
	scratch_load_b64 v[116:117], off, s32 offset:356
	v_mul_f32_e32 v86, v10, v86
	s_waitcnt vmcnt(0)
	v_or_b32_e32 v103, v117, v25
	v_or_b32_e32 v117, v116, v24
	s_clause 0x3
	scratch_load_b64 v[24:25], off, s32 offset:364
	scratch_load_b64 v[118:119], off, s32 offset:372
	scratch_load_b128 v[148:151], off, s32 offset:616
	scratch_load_b128 v[132:135], off, s32 offset:600
	v_mul_f32_e32 v103, v10, v103
	s_load_b32 s2, s[8:9], 0x0
	s_waitcnt vmcnt(2)
	v_or_b32_e32 v116, v118, v24
	v_or_b32_e32 v118, v106, v2
	v_mul_f32_e32 v2, v10, v102
	v_mul_f32_e32 v102, v10, v117
	v_or_b32_e32 v101, v119, v25
	s_waitcnt vmcnt(1)
	v_mul_f32_e32 v86, v151, v86
	v_mul_f32_e32 v2, v148, v2
	s_waitcnt vmcnt(0)
	s_delay_alu instid0(VALU_DEP_1) | instskip(SKIP_2) | instid1(VALU_DEP_2)
	v_fmac_f32_e32 v2, v132, v102
	v_dual_mul_f32 v102, v149, v87 :: v_dual_mul_f32 v87, v10, v100
	v_mul_f32_e32 v100, v10, v116
	v_mul_f32_e32 v87, v150, v87
	s_delay_alu instid0(VALU_DEP_1) | instskip(SKIP_1) | instid1(VALU_DEP_1)
	v_dual_fmac_f32 v102, v133, v103 :: v_dual_fmac_f32 v87, v134, v100
	v_mul_f32_e32 v100, v10, v101
	v_fmac_f32_e32 v86, v135, v100
	scratch_load_b128 v[132:135], off, s32 offset:632 ; 16-byte Folded Reload
	s_waitcnt vmcnt(0)
	v_fmac_f32_e32 v102, v133, v70
	v_mul_f32_e32 v70, v10, v85
	s_delay_alu instid0(VALU_DEP_1) | instskip(SKIP_2) | instid1(VALU_DEP_2)
	v_fmac_f32_e32 v87, v134, v70
	v_mul_f32_e32 v70, v10, v71
	v_fmac_f32_e32 v2, v132, v84
	v_fmac_f32_e32 v86, v135, v70
	scratch_load_b128 v[132:135], off, s32 offset:648 ; 16-byte Folded Reload
	s_waitcnt vmcnt(0)
	v_fmac_f32_e32 v102, v133, v54
	v_mul_f32_e32 v54, v10, v69
	s_delay_alu instid0(VALU_DEP_1)
	v_dual_fmac_f32 v87, v134, v54 :: v_dual_fmac_f32 v2, v132, v68
	scratch_load_b128 v[68:71], off, s32 offset:664 ; 16-byte Folded Reload
	v_mul_f32_e32 v54, v10, v55
	s_waitcnt vmcnt(0)
	v_fmac_f32_e32 v102, v69, v37
	v_mul_f32_e32 v37, v10, v53
	s_delay_alu instid0(VALU_DEP_1)
	v_dual_fmac_f32 v87, v70, v37 :: v_dual_fmac_f32 v86, v135, v54
	v_dual_fmac_f32 v2, v68, v52 :: v_dual_mul_f32 v37, v10, v38
	scratch_load_b128 v[52:55], off, s32 offset:680 ; 16-byte Folded Reload
	s_waitcnt vmcnt(0)
	v_fmac_f32_e32 v102, v53, v12
	v_mul_f32_e32 v12, v10, v36
	s_delay_alu instid0(VALU_DEP_1) | instskip(SKIP_2) | instid1(VALU_DEP_1)
	v_dual_fmac_f32 v2, v52, v19 :: v_dual_fmac_f32 v87, v54, v12
	v_fmac_f32_e32 v86, v71, v37
	v_mul_f32_e32 v12, v10, v18
	v_fmac_f32_e32 v86, v55, v12
	scratch_load_b128 v[52:55], off, s32 offset:696 ; 16-byte Folded Reload
	v_mul_f32_e32 v12, v10, v15
	s_waitcnt vmcnt(0)
	v_dual_fmac_f32 v102, v53, v5 :: v_dual_mul_f32 v5, v10, v11
	v_fmac_f32_e32 v86, v55, v4
	v_mul_f32_e32 v4, v10, v17
	s_delay_alu instid0(VALU_DEP_3) | instskip(SKIP_3) | instid1(VALU_DEP_1)
	v_dual_fmac_f32 v87, v54, v5 :: v_dual_fmac_f32 v2, v52, v12
	scratch_load_b128 v[52:55], off, s32 offset:712 ; 16-byte Folded Reload
	s_waitcnt vmcnt(0)
	v_dual_fmac_f32 v102, v53, v1 :: v_dual_mul_f32 v1, v10, v14
	v_fmac_f32_e32 v87, v54, v1
	v_dual_mul_f32 v1, v10, v118 :: v_dual_fmac_f32 v86, v55, v0
	v_mul_f32_e32 v0, v10, v35
	scratch_load_b128 v[35:38], off, s32 offset:728 ; 16-byte Folded Reload
	v_fmac_f32_e32 v2, v52, v4
	s_waitcnt vmcnt(0)
	s_delay_alu instid0(VALU_DEP_1) | instskip(SKIP_1) | instid1(VALU_DEP_1)
	v_fmac_f32_e32 v2, v35, v0
	v_mul_f32_e32 v0, v10, v7
	v_fmac_f32_e32 v102, v36, v0
	v_mul_f32_e32 v0, v10, v16
	scratch_load_b128 v[14:17], off, s32 offset:808 ; 16-byte Folded Reload
	v_dual_fmac_f32 v87, v37, v0 :: v_dual_mul_f32 v0, v10, v6
	scratch_load_b128 v[4:7], off, s32 offset:744 ; 16-byte Folded Reload
	v_fmac_f32_e32 v86, v38, v0
	v_mul_f32_e32 v0, v10, v33
	s_waitcnt vmcnt(0)
	s_delay_alu instid0(VALU_DEP_1) | instskip(SKIP_1) | instid1(VALU_DEP_1)
	v_fmac_f32_e32 v2, v4, v0
	v_mul_f32_e32 v0, v10, v32
	v_fmac_f32_e32 v102, v5, v0
	v_mul_f32_e32 v0, v10, v34
	s_delay_alu instid0(VALU_DEP_1) | instskip(SKIP_1) | instid1(VALU_DEP_1)
	v_fmac_f32_e32 v87, v6, v0
	v_mul_f32_e32 v0, v10, v31
	v_fmac_f32_e32 v86, v7, v0
	scratch_load_b128 v[4:7], off, s32 offset:760 ; 16-byte Folded Reload
	v_mul_f32_e32 v0, v10, v50
	s_waitcnt vmcnt(0)
	s_delay_alu instid0(VALU_DEP_1) | instskip(SKIP_1) | instid1(VALU_DEP_1)
	v_fmac_f32_e32 v2, v4, v0
	v_mul_f32_e32 v0, v10, v49
	v_fmac_f32_e32 v102, v5, v0
	v_mul_f32_e32 v0, v10, v51
	s_delay_alu instid0(VALU_DEP_1) | instskip(SKIP_1) | instid1(VALU_DEP_1)
	v_fmac_f32_e32 v87, v6, v0
	v_mul_f32_e32 v0, v10, v48
	v_fmac_f32_e32 v86, v7, v0
	scratch_load_b128 v[4:7], off, s32 offset:776 ; 16-byte Folded Reload
	;; [unrolled: 12-line block ×3, first 2 shown]
	v_mul_f32_e32 v0, v10, v82
	s_waitcnt vmcnt(0)
	s_delay_alu instid0(VALU_DEP_1) | instskip(SKIP_1) | instid1(VALU_DEP_1)
	v_fmac_f32_e32 v2, v4, v0
	v_mul_f32_e32 v0, v10, v81
	v_fmac_f32_e32 v102, v5, v0
	v_mul_f32_e32 v0, v10, v83
	s_delay_alu instid0(VALU_DEP_1) | instskip(SKIP_1) | instid1(VALU_DEP_1)
	v_fmac_f32_e32 v87, v6, v0
	v_mul_f32_e32 v0, v10, v99
	v_fmac_f32_e32 v2, v14, v0
	v_mul_f32_e32 v0, v10, v97
	s_delay_alu instid0(VALU_DEP_1) | instskip(SKIP_1) | instid1(VALU_DEP_1)
	v_fmac_f32_e32 v102, v15, v0
	v_mul_f32_e32 v0, v10, v80
	v_fmac_f32_e32 v86, v7, v0
	scratch_load_b128 v[4:7], off, s32 offset:824 ; 16-byte Folded Reload
	v_mul_f32_e32 v0, v10, v98
	s_delay_alu instid0(VALU_DEP_1) | instskip(SKIP_1) | instid1(VALU_DEP_1)
	v_dual_fmac_f32 v87, v16, v0 :: v_dual_mul_f32 v0, v10, v115
	s_waitcnt vmcnt(0)
	v_fmac_f32_e32 v2, v4, v0
	v_mul_f32_e32 v0, v10, v113
	s_delay_alu instid0(VALU_DEP_1) | instskip(SKIP_1) | instid1(VALU_DEP_1)
	v_fmac_f32_e32 v102, v5, v0
	v_mul_f32_e32 v0, v10, v96
	v_fmac_f32_e32 v86, v17, v0
	scratch_load_b128 v[14:17], off, s32 offset:840 ; 16-byte Folded Reload
	v_mul_f32_e32 v0, v10, v114
	s_delay_alu instid0(VALU_DEP_1) | instskip(SKIP_2) | instid1(VALU_DEP_1)
	v_fmac_f32_e32 v87, v6, v0
	v_mul_f32_e32 v0, v10, v131
	s_waitcnt vmcnt(0)
	v_fmac_f32_e32 v2, v14, v0
	v_mul_f32_e32 v0, v10, v129
	s_delay_alu instid0(VALU_DEP_1) | instskip(SKIP_1) | instid1(VALU_DEP_1)
	v_fmac_f32_e32 v102, v15, v0
	v_mul_f32_e32 v0, v10, v112
	v_fmac_f32_e32 v86, v7, v0
	scratch_load_b128 v[4:7], off, s32 offset:856 ; 16-byte Folded Reload
	v_mul_f32_e32 v0, v10, v130
	s_delay_alu instid0(VALU_DEP_1) | instskip(SKIP_1) | instid1(VALU_DEP_1)
	v_dual_fmac_f32 v87, v16, v0 :: v_dual_mul_f32 v0, v10, v147
	s_waitcnt vmcnt(0)
	v_fmac_f32_e32 v2, v4, v0
	v_mul_f32_e32 v0, v10, v145
	s_delay_alu instid0(VALU_DEP_1) | instskip(SKIP_1) | instid1(VALU_DEP_1)
	v_fmac_f32_e32 v102, v5, v0
	v_mul_f32_e32 v0, v10, v128
	v_fmac_f32_e32 v86, v17, v0
	scratch_load_b128 v[14:17], off, s32 offset:872 ; 16-byte Folded Reload
	v_mul_f32_e32 v0, v10, v146
	s_delay_alu instid0(VALU_DEP_1) | instskip(SKIP_2) | instid1(VALU_DEP_1)
	v_fmac_f32_e32 v87, v6, v0
	v_mul_f32_e32 v0, v10, v163
	s_waitcnt vmcnt(0)
	;; [unrolled: 23-line block ×6, first 2 shown]
	v_fmac_f32_e32 v2, v14, v0
	v_mul_f32_e32 v0, v10, v91
	s_delay_alu instid0(VALU_DEP_1) | instskip(SKIP_1) | instid1(VALU_DEP_1)
	v_fmac_f32_e32 v102, v15, v0
	v_mul_f32_e32 v0, v10, v92
	v_fmac_f32_e32 v86, v7, v0
	scratch_load_b128 v[4:7], off, s32 offset:1016 ; 16-byte Folded Reload
	v_mul_f32_e32 v0, v10, v30
	s_delay_alu instid0(VALU_DEP_1) | instskip(SKIP_1) | instid1(VALU_DEP_1)
	v_dual_fmac_f32 v87, v16, v0 :: v_dual_mul_f32 v0, v10, v122
	s_waitcnt vmcnt(0)
	v_fmac_f32_e32 v2, v4, v0
	v_mul_f32_e32 v0, v10, v28
	s_delay_alu instid0(VALU_DEP_1) | instskip(SKIP_1) | instid1(VALU_DEP_1)
	v_fmac_f32_e32 v102, v5, v0
	v_mul_f32_e32 v0, v10, v140
	v_fmac_f32_e32 v86, v17, v0
	scratch_load_b128 v[14:17], off, s32 offset:1032 ; 16-byte Folded Reload
	v_mul_f32_e32 v0, v10, v8
	s_delay_alu instid0(VALU_DEP_1) | instskip(SKIP_1) | instid1(VALU_DEP_1)
	v_fmac_f32_e32 v87, v6, v0
	s_waitcnt vmcnt(0)
	v_dual_mul_f32 v0, v10, v20 :: v_dual_fmac_f32 v87, v16, v1
	scratch_load_b32 v1, off, s32 offset:1048 ; 4-byte Folded Reload
	v_fmac_f32_e32 v2, v14, v0
	v_mul_f32_e32 v0, v10, v21
	s_delay_alu instid0(VALU_DEP_1) | instskip(SKIP_1) | instid1(VALU_DEP_1)
	v_fmac_f32_e32 v102, v15, v0
	v_mul_f32_e32 v0, v10, v9
	v_fmac_f32_e32 v86, v7, v0
	s_delay_alu instid0(VALU_DEP_3) | instskip(NEXT) | instid1(VALU_DEP_2)
	v_add_f32_e32 v0, v2, v102
	v_fmac_f32_e32 v86, v17, v3
	s_delay_alu instid0(VALU_DEP_2) | instskip(SKIP_1) | instid1(VALU_DEP_1)
	v_add_f32_e32 v0, v87, v0
	s_waitcnt vmcnt(0)
	v_dual_add_f32 v0, v86, v0 :: v_dual_add_nc_u32 v1, v1, v27
	s_delay_alu instid0(VALU_DEP_1) | instskip(NEXT) | instid1(VALU_DEP_1)
	v_cvt_f32_i32_e32 v1, v1
	v_mul_f32_e32 v1, v143, v1
	s_delay_alu instid0(VALU_DEP_1) | instskip(NEXT) | instid1(VALU_DEP_1)
	v_cndmask_b32_e32 v1, 0, v1, vcc_lo
	v_fmac_f32_e32 v1, v0, v13
	scratch_load_b32 v0, off, s32 offset:572 ; 4-byte Folded Reload
	s_waitcnt vmcnt(0)
	v_add_nc_u32_e32 v0, v0, v27
	s_delay_alu instid0(VALU_DEP_1) | instskip(SKIP_2) | instid1(VALU_DEP_2)
	v_cmp_lt_i32_e64 s1, v0, v22
	s_waitcnt lgkmcnt(0)
	v_add_nc_u32_e32 v0, s2, v158
	v_cndmask_b32_e64 v2, 0, v1, s1
	ds_store_b32 v0, v2
	v_max_f32_e32 v0, v26, v26
	s_delay_alu instid0(VALU_DEP_1) | instskip(NEXT) | instid1(VALU_DEP_1)
	v_max_f32_e32 v0, v0, v1
	v_cndmask_b32_e64 v26, v26, v0, s1
.LBB262_15:                             ;   in Loop: Header=BB262_16 Depth=1
	s_or_b32 exec_lo, exec_lo, s22
	scratch_load_b32 v0, off, s32 offset:344 ; 4-byte Folded Reload
	v_add_nc_u32_e32 v47, 4, v47
	v_add_co_u32 v94, s2, v94, 16
	s_delay_alu instid0(VALU_DEP_1) | instskip(SKIP_4) | instid1(VALU_DEP_1)
	v_add_co_ci_u32_e64 v95, s2, 0, v95, s2
	v_add_nc_u32_e32 v27, 0x80, v27
	v_add_nc_u32_e32 v158, 0x200, v158
	s_waitcnt vmcnt(0)
	v_cmp_ge_i32_e64 s1, v47, v0
	s_or_b32 s21, s1, s21
	s_delay_alu instid0(SALU_CYCLE_1)
	s_and_not1_b32 exec_lo, exec_lo, s21
	s_cbranch_execz .LBB262_912
.LBB262_16:                             ; =>This Inner Loop Header: Depth=1
	s_clause 0x2
	scratch_load_b32 v1, off, s32 offset:348
	scratch_load_b32 v5, off, s32 offset:340
	;; [unrolled: 1-line block ×3, first 2 shown]
	v_sub_nc_u32_e32 v0, 0, v27
	s_delay_alu instid0(VALU_DEP_1) | instskip(SKIP_1) | instid1(VALU_DEP_1)
	v_max_i32_e32 v0, v27, v0
	s_waitcnt vmcnt(2)
	v_mul_hi_u32 v1, v0, v1
	s_waitcnt vmcnt(0)
	s_delay_alu instid0(VALU_DEP_1) | instskip(NEXT) | instid1(VALU_DEP_1)
	v_mul_lo_u32 v2, v1, v4
	v_sub_nc_u32_e32 v0, v0, v2
	v_add_nc_u32_e32 v2, 1, v1
	s_delay_alu instid0(VALU_DEP_2) | instskip(SKIP_1) | instid1(VALU_DEP_1)
	v_sub_nc_u32_e32 v3, v0, v4
	v_cmp_ge_u32_e64 s1, v0, v4
	v_cndmask_b32_e64 v1, v1, v2, s1
	s_delay_alu instid0(VALU_DEP_3) | instskip(SKIP_1) | instid1(VALU_DEP_3)
	v_cndmask_b32_e64 v0, v0, v3, s1
	v_ashrrev_i32_e32 v2, 31, v27
	v_add_nc_u32_e32 v3, 1, v1
	s_delay_alu instid0(VALU_DEP_3) | instskip(NEXT) | instid1(VALU_DEP_3)
	v_cmp_ge_u32_e64 s1, v0, v4
	v_xor_b32_e32 v2, v2, v5
	s_delay_alu instid0(VALU_DEP_2) | instskip(SKIP_2) | instid1(VALU_DEP_1)
	v_cndmask_b32_e64 v0, v1, v3, s1
	scratch_load_b32 v3, off, s32 offset:568 ; 4-byte Folded Reload
	v_xor_b32_e32 v0, v0, v2
	v_sub_nc_u32_e32 v0, v0, v2
	scratch_load_b64 v[1:2], off, s32 offset:332 ; 8-byte Folded Reload
	s_waitcnt vmcnt(0)
	v_add_nc_u32_e32 v1, v0, v1
	s_delay_alu instid0(VALU_DEP_1) | instskip(NEXT) | instid1(VALU_DEP_1)
	v_sub_nc_u32_e32 v2, 0, v1
	v_max_i32_e32 v2, v1, v2
	v_ashrrev_i32_e32 v1, 31, v1
	s_delay_alu instid0(VALU_DEP_2) | instskip(NEXT) | instid1(VALU_DEP_1)
	v_mul_hi_u32 v3, v2, v3
	v_mul_lo_u32 v3, v3, v142
	s_delay_alu instid0(VALU_DEP_1) | instskip(NEXT) | instid1(VALU_DEP_1)
	v_sub_nc_u32_e32 v2, v2, v3
	v_sub_nc_u32_e32 v3, v2, v142
	v_cmp_ge_u32_e64 s1, v2, v142
	s_delay_alu instid0(VALU_DEP_1) | instskip(NEXT) | instid1(VALU_DEP_1)
	v_cndmask_b32_e64 v2, v2, v3, s1
	v_sub_nc_u32_e32 v3, v2, v142
	v_cmp_ge_u32_e64 s1, v2, v142
	s_delay_alu instid0(VALU_DEP_1) | instskip(NEXT) | instid1(VALU_DEP_1)
	v_cndmask_b32_e64 v2, v2, v3, s1
	v_xor_b32_e32 v2, v2, v1
	s_delay_alu instid0(VALU_DEP_1) | instskip(NEXT) | instid1(VALU_DEP_1)
	v_sub_nc_u32_e32 v1, v2, v1
	v_cmp_ne_u32_e64 s1, 0, v1
	scratch_load_b32 v1, off, s32 offset:352 ; 4-byte Folded Reload
	s_waitcnt vmcnt(0)
	v_cmp_le_i32_e64 s2, v0, v1
	s_delay_alu instid0(VALU_DEP_1) | instskip(NEXT) | instid1(SALU_CYCLE_1)
	s_and_b32 s1, s1, s2
	s_and_saveexec_b32 s2, s1
	s_delay_alu instid0(SALU_CYCLE_1)
	s_xor_b32 s1, exec_lo, s2
	s_cbranch_execz .LBB262_18
; %bb.17:                               ;   in Loop: Header=BB262_16 Depth=1
	v_dual_mov_b32 v1, 0xff7fffff :: v_dual_add_nc_u32 v0, s7, v158
	ds_store_b32 v0, v1
.LBB262_18:                             ;   in Loop: Header=BB262_16 Depth=1
	s_and_not1_saveexec_b32 s22, s1
	s_cbranch_execz .LBB262_15
; %bb.19:                               ;   in Loop: Header=BB262_16 Depth=1
	flat_load_b32 v0, v[94:95]
	s_clause 0x1
	scratch_load_b32 v1, off, s32 offset:564
	scratch_load_b64 v[2:3], off, s32 offset:592
	s_mov_b32 s2, exec_lo
	s_waitcnt vmcnt(0) lgkmcnt(0)
	v_mad_i64_i32 v[124:125], null, v0, v1, v[2:3]
	flat_load_b32 v0, v[124:125]
	scratch_load_b64 v[1:2], off, s32 offset:584 ; 8-byte Folded Reload
	v_mov_b32_e32 v24, 0
	v_mov_b32_e32 v25, 0
	s_waitcnt vmcnt(0)
	flat_load_b32 v10, v[1:2]
	s_waitcnt lgkmcnt(1)
	v_and_b32_e32 v1, 0xff, v0
	s_clause 0x1
	scratch_store_b64 off, v[24:25], s32 offset:356
	scratch_store_b64 off, v[24:25], s32 offset:380
	v_cmpx_ne_u16_e32 0, v1
	s_cbranch_execz .LBB262_27
; %bb.20:                               ;   in Loop: Header=BB262_16 Depth=1
	v_bfrev_b32_e32 v2, 1
	v_mov_b32_e32 v3, 0
	s_mov_b32 s23, exec_lo
	scratch_store_b64 off, v[2:3], s32 offset:380 ; 8-byte Folded Spill
	v_cmpx_ne_u16_e32 0x80, v1
	s_cbranch_execz .LBB262_26
; %bb.21:                               ;   in Loop: Header=BB262_16 Depth=1
	v_mov_b32_e32 v3, 0x7f800001
	v_and_b32_e32 v2, 0x7f, v0
	v_mov_b32_e32 v4, 0
	s_mov_b32 s24, exec_lo
	scratch_store_b64 off, v[3:4], s32 offset:380 ; 8-byte Folded Spill
	v_cmpx_ne_u32_e32 0x7f, v2
	s_cbranch_execz .LBB262_25
; %bb.22:                               ;   in Loop: Header=BB262_16 Depth=1
	v_and_b32_e32 v28, 7, v0
	v_lshrrev_b32_e32 v1, 3, v2
	s_mov_b32 s25, exec_lo
	v_cmpx_gt_u32_e32 8, v2
; %bb.23:                               ;   in Loop: Header=BB262_16 Depth=1
	s_delay_alu instid0(VALU_DEP_3) | instskip(NEXT) | instid1(VALU_DEP_1)
	v_clz_i32_u32_e32 v1, v28
	v_min_u32_e32 v1, 32, v1
	s_delay_alu instid0(VALU_DEP_1) | instskip(SKIP_1) | instid1(VALU_DEP_2)
	v_subrev_nc_u32_e32 v2, 28, v1
	v_sub_nc_u32_e32 v1, 29, v1
	v_lshlrev_b64 v[2:3], v2, v[28:29]
	s_delay_alu instid0(VALU_DEP_1)
	v_and_b32_e32 v28, 7, v2
; %bb.24:                               ;   in Loop: Header=BB262_16 Depth=1
	s_or_b32 exec_lo, exec_lo, s25
	v_lshlrev_b32_e32 v2, 24, v0
	s_delay_alu instid0(VALU_DEP_2) | instskip(SKIP_1) | instid1(VALU_DEP_3)
	v_lshlrev_b32_e32 v3, 20, v28
	v_lshl_add_u32 v1, v1, 23, 0x3c000000
	v_and_b32_e32 v2, 0x80000000, v2
	s_delay_alu instid0(VALU_DEP_1)
	v_or3_b32 v28, v3, v2, v1
	scratch_store_b64 off, v[28:29], s32 offset:380 ; 8-byte Folded Spill
.LBB262_25:                             ;   in Loop: Header=BB262_16 Depth=1
	s_or_b32 exec_lo, exec_lo, s24
.LBB262_26:                             ;   in Loop: Header=BB262_16 Depth=1
	s_delay_alu instid0(SALU_CYCLE_1)
	s_or_b32 exec_lo, exec_lo, s23
.LBB262_27:                             ;   in Loop: Header=BB262_16 Depth=1
	s_delay_alu instid0(SALU_CYCLE_1) | instskip(SKIP_2) | instid1(VALU_DEP_1)
	s_or_b32 exec_lo, exec_lo, s2
	v_lshrrev_b16 v1, 8, v0
	s_mov_b32 s23, exec_lo
	v_cmpx_ne_u16_e32 0, v1
	s_cbranch_execz .LBB262_35
; %bb.28:                               ;   in Loop: Header=BB262_16 Depth=1
	v_dual_mov_b32 v2, s16 :: v_dual_mov_b32 v3, s17
	s_mov_b32 s24, exec_lo
	scratch_store_b64 off, v[2:3], s32 offset:356 ; 8-byte Folded Spill
	v_cmpx_ne_u16_e32 0x80, v1
	s_cbranch_execz .LBB262_34
; %bb.29:                               ;   in Loop: Header=BB262_16 Depth=1
	s_mov_b32 s2, s16
	v_dual_mov_b32 v4, s3 :: v_dual_and_b32 v1, 0xffff, v1
	v_mov_b32_e32 v3, s2
	s_mov_b32 s2, exec_lo
	s_delay_alu instid0(VALU_DEP_2)
	v_and_b32_e32 v2, 0x7f, v1
	scratch_store_b64 off, v[3:4], s32 offset:356 ; 8-byte Folded Spill
	v_cmpx_ne_u32_e32 0x7f, v2
	s_cbranch_execz .LBB262_33
; %bb.30:                               ;   in Loop: Header=BB262_16 Depth=1
	v_and_b32_e32 v28, 7, v1
	v_lshrrev_b32_e32 v1, 3, v2
	s_mov_b32 s25, exec_lo
	v_cmpx_gt_u32_e32 8, v2
; %bb.31:                               ;   in Loop: Header=BB262_16 Depth=1
	s_delay_alu instid0(VALU_DEP_3) | instskip(NEXT) | instid1(VALU_DEP_1)
	v_clz_i32_u32_e32 v1, v28
	v_min_u32_e32 v1, 32, v1
	s_delay_alu instid0(VALU_DEP_1) | instskip(SKIP_1) | instid1(VALU_DEP_2)
	v_subrev_nc_u32_e32 v2, 28, v1
	v_sub_nc_u32_e32 v1, 29, v1
	v_lshlrev_b64 v[2:3], v2, v[28:29]
	s_delay_alu instid0(VALU_DEP_1)
	v_and_b32_e32 v28, 7, v2
; %bb.32:                               ;   in Loop: Header=BB262_16 Depth=1
	s_or_b32 exec_lo, exec_lo, s25
	v_lshlrev_b32_e32 v2, 16, v0
	s_delay_alu instid0(VALU_DEP_2) | instskip(SKIP_1) | instid1(VALU_DEP_3)
	v_lshlrev_b32_e32 v3, 20, v28
	v_lshl_add_u32 v1, v1, 23, 0x3c000000
	v_and_b32_e32 v2, 0x80000000, v2
	s_delay_alu instid0(VALU_DEP_1)
	v_or3_b32 v2, v3, v2, v1
	v_mov_b32_e32 v1, v29
	scratch_store_b64 off, v[1:2], s32 offset:356 ; 8-byte Folded Spill
.LBB262_33:                             ;   in Loop: Header=BB262_16 Depth=1
	s_or_b32 exec_lo, exec_lo, s2
.LBB262_34:                             ;   in Loop: Header=BB262_16 Depth=1
	s_delay_alu instid0(SALU_CYCLE_1)
	s_or_b32 exec_lo, exec_lo, s24
.LBB262_35:                             ;   in Loop: Header=BB262_16 Depth=1
	s_delay_alu instid0(SALU_CYCLE_1)
	s_or_b32 exec_lo, exec_lo, s23
	v_lshrrev_b32_e32 v1, 16, v0
	v_mov_b32_e32 v3, 0
	v_mov_b32_e32 v4, 0
	s_mov_b32 s2, exec_lo
	s_clause 0x1
	scratch_store_b64 off, v[3:4], s32 offset:372
	scratch_store_b64 off, v[3:4], s32 offset:364
	v_and_b32_e32 v2, 0xff, v1
	s_delay_alu instid0(VALU_DEP_1)
	v_cmpx_ne_u16_e32 0, v2
	s_cbranch_execz .LBB262_43
; %bb.36:                               ;   in Loop: Header=BB262_16 Depth=1
	v_bfrev_b32_e32 v3, 1
	v_mov_b32_e32 v4, 0
	s_mov_b32 s23, exec_lo
	scratch_store_b64 off, v[3:4], s32 offset:364 ; 8-byte Folded Spill
	v_cmpx_ne_u16_e32 0x80, v2
	s_cbranch_execz .LBB262_42
; %bb.37:                               ;   in Loop: Header=BB262_16 Depth=1
	v_mov_b32_e32 v4, 0x7f800001
	v_bfe_u32 v3, v0, 16, 7
	v_mov_b32_e32 v5, 0
	s_mov_b32 s24, exec_lo
	scratch_store_b64 off, v[4:5], s32 offset:364 ; 8-byte Folded Spill
	v_cmpx_ne_u32_e32 0x7f, v3
	s_cbranch_execz .LBB262_41
; %bb.38:                               ;   in Loop: Header=BB262_16 Depth=1
	v_and_b32_e32 v28, 7, v1
	v_lshrrev_b32_e32 v2, 3, v3
	s_mov_b32 s25, exec_lo
	v_cmpx_gt_u32_e32 8, v3
; %bb.39:                               ;   in Loop: Header=BB262_16 Depth=1
	s_delay_alu instid0(VALU_DEP_3) | instskip(NEXT) | instid1(VALU_DEP_1)
	v_clz_i32_u32_e32 v2, v28
	v_min_u32_e32 v2, 32, v2
	s_delay_alu instid0(VALU_DEP_1) | instskip(SKIP_1) | instid1(VALU_DEP_2)
	v_subrev_nc_u32_e32 v3, 28, v2
	v_sub_nc_u32_e32 v2, 29, v2
	v_lshlrev_b64 v[3:4], v3, v[28:29]
	s_delay_alu instid0(VALU_DEP_1)
	v_and_b32_e32 v28, 7, v3
; %bb.40:                               ;   in Loop: Header=BB262_16 Depth=1
	s_or_b32 exec_lo, exec_lo, s25
	v_lshlrev_b32_e32 v1, 24, v1
	s_delay_alu instid0(VALU_DEP_2) | instskip(SKIP_1) | instid1(VALU_DEP_3)
	v_lshlrev_b32_e32 v3, 20, v28
	v_lshl_add_u32 v2, v2, 23, 0x3c000000
	v_and_b32_e32 v1, 0x80000000, v1
	s_delay_alu instid0(VALU_DEP_1)
	v_or3_b32 v28, v3, v1, v2
	scratch_store_b64 off, v[28:29], s32 offset:364 ; 8-byte Folded Spill
.LBB262_41:                             ;   in Loop: Header=BB262_16 Depth=1
	s_or_b32 exec_lo, exec_lo, s24
.LBB262_42:                             ;   in Loop: Header=BB262_16 Depth=1
	s_delay_alu instid0(SALU_CYCLE_1)
	s_or_b32 exec_lo, exec_lo, s23
.LBB262_43:                             ;   in Loop: Header=BB262_16 Depth=1
	s_delay_alu instid0(SALU_CYCLE_1) | instskip(NEXT) | instid1(SALU_CYCLE_1)
	s_or_b32 exec_lo, exec_lo, s2
	s_mov_b32 s23, exec_lo
	v_cmpx_lt_u32_e32 0xffffff, v0
	s_cbranch_execz .LBB262_51
; %bb.44:                               ;   in Loop: Header=BB262_16 Depth=1
	v_lshrrev_b32_e32 v1, 24, v0
	v_dual_mov_b32 v2, s16 :: v_dual_mov_b32 v3, s17
	s_mov_b32 s24, exec_lo
	scratch_store_b64 off, v[2:3], s32 offset:372 ; 8-byte Folded Spill
	v_cmpx_ne_u32_e32 0x80, v1
	s_cbranch_execz .LBB262_50
; %bb.45:                               ;   in Loop: Header=BB262_16 Depth=1
	s_mov_b32 s2, s16
	v_bfe_u32 v2, v0, 24, 7
	v_dual_mov_b32 v4, s3 :: v_dual_mov_b32 v3, s2
	s_mov_b32 s2, exec_lo
	scratch_store_b64 off, v[3:4], s32 offset:372 ; 8-byte Folded Spill
	v_cmpx_ne_u32_e32 0x7f, v2
	s_cbranch_execz .LBB262_49
; %bb.46:                               ;   in Loop: Header=BB262_16 Depth=1
	v_and_b32_e32 v28, 7, v1
	v_lshrrev_b32_e32 v0, 3, v2
	s_mov_b32 s25, exec_lo
	v_cmpx_gt_u32_e32 8, v2
; %bb.47:                               ;   in Loop: Header=BB262_16 Depth=1
	s_delay_alu instid0(VALU_DEP_3) | instskip(NEXT) | instid1(VALU_DEP_1)
	v_clz_i32_u32_e32 v0, v28
	v_min_u32_e32 v0, 32, v0
	s_delay_alu instid0(VALU_DEP_1) | instskip(SKIP_1) | instid1(VALU_DEP_2)
	v_subrev_nc_u32_e32 v2, 28, v0
	v_sub_nc_u32_e32 v0, 29, v0
	v_lshlrev_b64 v[2:3], v2, v[28:29]
	s_delay_alu instid0(VALU_DEP_1)
	v_and_b32_e32 v28, 7, v2
; %bb.48:                               ;   in Loop: Header=BB262_16 Depth=1
	s_or_b32 exec_lo, exec_lo, s25
	v_lshlrev_b32_e32 v1, 24, v1
	s_delay_alu instid0(VALU_DEP_2) | instskip(SKIP_1) | instid1(VALU_DEP_3)
	v_lshlrev_b32_e32 v2, 20, v28
	v_lshl_add_u32 v0, v0, 23, 0x3c000000
	v_and_b32_e32 v1, 0x80000000, v1
	s_delay_alu instid0(VALU_DEP_1)
	v_or3_b32 v1, v2, v1, v0
	v_mov_b32_e32 v0, v29
	scratch_store_b64 off, v[0:1], s32 offset:372 ; 8-byte Folded Spill
.LBB262_49:                             ;   in Loop: Header=BB262_16 Depth=1
	s_or_b32 exec_lo, exec_lo, s2
.LBB262_50:                             ;   in Loop: Header=BB262_16 Depth=1
	s_delay_alu instid0(SALU_CYCLE_1)
	s_or_b32 exec_lo, exec_lo, s24
.LBB262_51:                             ;   in Loop: Header=BB262_16 Depth=1
	s_delay_alu instid0(SALU_CYCLE_1)
	s_or_b32 exec_lo, exec_lo, s23
	flat_load_b32 v0, v[124:125] offset:4
	v_mov_b32_e32 v24, 0
	v_mov_b32_e32 v25, 0
	s_mov_b32 s2, exec_lo
	s_clause 0x1
	scratch_store_b64 off, v[24:25], s32 offset:388
	scratch_store_b64 off, v[24:25], s32 offset:412
	s_waitcnt vmcnt(0) lgkmcnt(0)
	v_and_b32_e32 v1, 0xff, v0
	s_delay_alu instid0(VALU_DEP_1)
	v_cmpx_ne_u16_e32 0, v1
	s_cbranch_execz .LBB262_59
; %bb.52:                               ;   in Loop: Header=BB262_16 Depth=1
	v_bfrev_b32_e32 v2, 1
	v_mov_b32_e32 v3, 0
	s_mov_b32 s23, exec_lo
	scratch_store_b64 off, v[2:3], s32 offset:412 ; 8-byte Folded Spill
	v_cmpx_ne_u16_e32 0x80, v1
	s_cbranch_execz .LBB262_58
; %bb.53:                               ;   in Loop: Header=BB262_16 Depth=1
	v_mov_b32_e32 v3, 0x7f800001
	v_and_b32_e32 v2, 0x7f, v0
	v_mov_b32_e32 v4, 0
	s_mov_b32 s24, exec_lo
	scratch_store_b64 off, v[3:4], s32 offset:412 ; 8-byte Folded Spill
	v_cmpx_ne_u32_e32 0x7f, v2
	s_cbranch_execz .LBB262_57
; %bb.54:                               ;   in Loop: Header=BB262_16 Depth=1
	v_and_b32_e32 v28, 7, v0
	v_lshrrev_b32_e32 v1, 3, v2
	s_mov_b32 s25, exec_lo
	v_cmpx_gt_u32_e32 8, v2
; %bb.55:                               ;   in Loop: Header=BB262_16 Depth=1
	s_delay_alu instid0(VALU_DEP_3) | instskip(NEXT) | instid1(VALU_DEP_1)
	v_clz_i32_u32_e32 v1, v28
	v_min_u32_e32 v1, 32, v1
	s_delay_alu instid0(VALU_DEP_1) | instskip(SKIP_1) | instid1(VALU_DEP_2)
	v_subrev_nc_u32_e32 v2, 28, v1
	v_sub_nc_u32_e32 v1, 29, v1
	v_lshlrev_b64 v[2:3], v2, v[28:29]
	s_delay_alu instid0(VALU_DEP_1)
	v_and_b32_e32 v28, 7, v2
; %bb.56:                               ;   in Loop: Header=BB262_16 Depth=1
	s_or_b32 exec_lo, exec_lo, s25
	v_lshlrev_b32_e32 v2, 24, v0
	s_delay_alu instid0(VALU_DEP_2) | instskip(SKIP_1) | instid1(VALU_DEP_3)
	v_lshlrev_b32_e32 v3, 20, v28
	v_lshl_add_u32 v1, v1, 23, 0x3c000000
	v_and_b32_e32 v2, 0x80000000, v2
	s_delay_alu instid0(VALU_DEP_1)
	v_or3_b32 v28, v3, v2, v1
	scratch_store_b64 off, v[28:29], s32 offset:412 ; 8-byte Folded Spill
.LBB262_57:                             ;   in Loop: Header=BB262_16 Depth=1
	s_or_b32 exec_lo, exec_lo, s24
.LBB262_58:                             ;   in Loop: Header=BB262_16 Depth=1
	s_delay_alu instid0(SALU_CYCLE_1)
	s_or_b32 exec_lo, exec_lo, s23
.LBB262_59:                             ;   in Loop: Header=BB262_16 Depth=1
	s_delay_alu instid0(SALU_CYCLE_1) | instskip(SKIP_2) | instid1(VALU_DEP_1)
	s_or_b32 exec_lo, exec_lo, s2
	v_lshrrev_b16 v1, 8, v0
	s_mov_b32 s23, exec_lo
	v_cmpx_ne_u16_e32 0, v1
	s_cbranch_execz .LBB262_67
; %bb.60:                               ;   in Loop: Header=BB262_16 Depth=1
	v_dual_mov_b32 v2, s16 :: v_dual_mov_b32 v3, s17
	s_mov_b32 s24, exec_lo
	scratch_store_b64 off, v[2:3], s32 offset:388 ; 8-byte Folded Spill
	v_cmpx_ne_u16_e32 0x80, v1
	s_cbranch_execz .LBB262_66
; %bb.61:                               ;   in Loop: Header=BB262_16 Depth=1
	s_mov_b32 s2, s16
	v_dual_mov_b32 v4, s3 :: v_dual_and_b32 v1, 0xffff, v1
	v_mov_b32_e32 v3, s2
	s_mov_b32 s2, exec_lo
	s_delay_alu instid0(VALU_DEP_2)
	v_and_b32_e32 v2, 0x7f, v1
	scratch_store_b64 off, v[3:4], s32 offset:388 ; 8-byte Folded Spill
	v_cmpx_ne_u32_e32 0x7f, v2
	s_cbranch_execz .LBB262_65
; %bb.62:                               ;   in Loop: Header=BB262_16 Depth=1
	v_and_b32_e32 v28, 7, v1
	v_lshrrev_b32_e32 v1, 3, v2
	s_mov_b32 s25, exec_lo
	v_cmpx_gt_u32_e32 8, v2
; %bb.63:                               ;   in Loop: Header=BB262_16 Depth=1
	s_delay_alu instid0(VALU_DEP_3) | instskip(NEXT) | instid1(VALU_DEP_1)
	v_clz_i32_u32_e32 v1, v28
	v_min_u32_e32 v1, 32, v1
	s_delay_alu instid0(VALU_DEP_1) | instskip(SKIP_1) | instid1(VALU_DEP_2)
	v_subrev_nc_u32_e32 v2, 28, v1
	v_sub_nc_u32_e32 v1, 29, v1
	v_lshlrev_b64 v[2:3], v2, v[28:29]
	s_delay_alu instid0(VALU_DEP_1)
	v_and_b32_e32 v28, 7, v2
; %bb.64:                               ;   in Loop: Header=BB262_16 Depth=1
	s_or_b32 exec_lo, exec_lo, s25
	v_lshlrev_b32_e32 v2, 16, v0
	s_delay_alu instid0(VALU_DEP_2) | instskip(SKIP_1) | instid1(VALU_DEP_3)
	v_lshlrev_b32_e32 v3, 20, v28
	v_lshl_add_u32 v1, v1, 23, 0x3c000000
	v_and_b32_e32 v2, 0x80000000, v2
	s_delay_alu instid0(VALU_DEP_1)
	v_or3_b32 v2, v3, v2, v1
	v_mov_b32_e32 v1, v29
	scratch_store_b64 off, v[1:2], s32 offset:388 ; 8-byte Folded Spill
.LBB262_65:                             ;   in Loop: Header=BB262_16 Depth=1
	s_or_b32 exec_lo, exec_lo, s2
.LBB262_66:                             ;   in Loop: Header=BB262_16 Depth=1
	s_delay_alu instid0(SALU_CYCLE_1)
	s_or_b32 exec_lo, exec_lo, s24
.LBB262_67:                             ;   in Loop: Header=BB262_16 Depth=1
	s_delay_alu instid0(SALU_CYCLE_1)
	s_or_b32 exec_lo, exec_lo, s23
	v_lshrrev_b32_e32 v1, 16, v0
	v_mov_b32_e32 v3, 0
	v_mov_b32_e32 v4, 0
	s_mov_b32 s2, exec_lo
	s_clause 0x1
	scratch_store_b64 off, v[3:4], s32 offset:404
	scratch_store_b64 off, v[3:4], s32 offset:396
	v_and_b32_e32 v2, 0xff, v1
	s_delay_alu instid0(VALU_DEP_1)
	v_cmpx_ne_u16_e32 0, v2
	s_cbranch_execz .LBB262_75
; %bb.68:                               ;   in Loop: Header=BB262_16 Depth=1
	v_bfrev_b32_e32 v3, 1
	v_mov_b32_e32 v4, 0
	s_mov_b32 s23, exec_lo
	scratch_store_b64 off, v[3:4], s32 offset:396 ; 8-byte Folded Spill
	v_cmpx_ne_u16_e32 0x80, v2
	s_cbranch_execz .LBB262_74
; %bb.69:                               ;   in Loop: Header=BB262_16 Depth=1
	v_mov_b32_e32 v4, 0x7f800001
	v_bfe_u32 v3, v0, 16, 7
	v_mov_b32_e32 v5, 0
	s_mov_b32 s24, exec_lo
	scratch_store_b64 off, v[4:5], s32 offset:396 ; 8-byte Folded Spill
	v_cmpx_ne_u32_e32 0x7f, v3
	s_cbranch_execz .LBB262_73
; %bb.70:                               ;   in Loop: Header=BB262_16 Depth=1
	v_and_b32_e32 v28, 7, v1
	v_lshrrev_b32_e32 v2, 3, v3
	s_mov_b32 s25, exec_lo
	v_cmpx_gt_u32_e32 8, v3
; %bb.71:                               ;   in Loop: Header=BB262_16 Depth=1
	s_delay_alu instid0(VALU_DEP_3) | instskip(NEXT) | instid1(VALU_DEP_1)
	v_clz_i32_u32_e32 v2, v28
	v_min_u32_e32 v2, 32, v2
	s_delay_alu instid0(VALU_DEP_1) | instskip(SKIP_1) | instid1(VALU_DEP_2)
	v_subrev_nc_u32_e32 v3, 28, v2
	v_sub_nc_u32_e32 v2, 29, v2
	v_lshlrev_b64 v[3:4], v3, v[28:29]
	s_delay_alu instid0(VALU_DEP_1)
	v_and_b32_e32 v28, 7, v3
; %bb.72:                               ;   in Loop: Header=BB262_16 Depth=1
	s_or_b32 exec_lo, exec_lo, s25
	v_lshlrev_b32_e32 v1, 24, v1
	s_delay_alu instid0(VALU_DEP_2) | instskip(SKIP_1) | instid1(VALU_DEP_3)
	v_lshlrev_b32_e32 v3, 20, v28
	v_lshl_add_u32 v2, v2, 23, 0x3c000000
	v_and_b32_e32 v1, 0x80000000, v1
	s_delay_alu instid0(VALU_DEP_1)
	v_or3_b32 v28, v3, v1, v2
	scratch_store_b64 off, v[28:29], s32 offset:396 ; 8-byte Folded Spill
.LBB262_73:                             ;   in Loop: Header=BB262_16 Depth=1
	s_or_b32 exec_lo, exec_lo, s24
.LBB262_74:                             ;   in Loop: Header=BB262_16 Depth=1
	s_delay_alu instid0(SALU_CYCLE_1)
	s_or_b32 exec_lo, exec_lo, s23
.LBB262_75:                             ;   in Loop: Header=BB262_16 Depth=1
	s_delay_alu instid0(SALU_CYCLE_1) | instskip(NEXT) | instid1(SALU_CYCLE_1)
	s_or_b32 exec_lo, exec_lo, s2
	s_mov_b32 s23, exec_lo
	v_cmpx_lt_u32_e32 0xffffff, v0
	s_cbranch_execz .LBB262_83
; %bb.76:                               ;   in Loop: Header=BB262_16 Depth=1
	v_lshrrev_b32_e32 v1, 24, v0
	v_dual_mov_b32 v2, s16 :: v_dual_mov_b32 v3, s17
	s_mov_b32 s24, exec_lo
	scratch_store_b64 off, v[2:3], s32 offset:404 ; 8-byte Folded Spill
	v_cmpx_ne_u32_e32 0x80, v1
	s_cbranch_execz .LBB262_82
; %bb.77:                               ;   in Loop: Header=BB262_16 Depth=1
	s_mov_b32 s2, s16
	v_bfe_u32 v2, v0, 24, 7
	v_dual_mov_b32 v4, s3 :: v_dual_mov_b32 v3, s2
	s_mov_b32 s2, exec_lo
	scratch_store_b64 off, v[3:4], s32 offset:404 ; 8-byte Folded Spill
	v_cmpx_ne_u32_e32 0x7f, v2
	s_cbranch_execz .LBB262_81
; %bb.78:                               ;   in Loop: Header=BB262_16 Depth=1
	v_and_b32_e32 v28, 7, v1
	v_lshrrev_b32_e32 v0, 3, v2
	s_mov_b32 s25, exec_lo
	v_cmpx_gt_u32_e32 8, v2
; %bb.79:                               ;   in Loop: Header=BB262_16 Depth=1
	s_delay_alu instid0(VALU_DEP_3) | instskip(NEXT) | instid1(VALU_DEP_1)
	v_clz_i32_u32_e32 v0, v28
	v_min_u32_e32 v0, 32, v0
	s_delay_alu instid0(VALU_DEP_1) | instskip(SKIP_1) | instid1(VALU_DEP_2)
	v_subrev_nc_u32_e32 v2, 28, v0
	v_sub_nc_u32_e32 v0, 29, v0
	v_lshlrev_b64 v[2:3], v2, v[28:29]
	s_delay_alu instid0(VALU_DEP_1)
	v_and_b32_e32 v28, 7, v2
; %bb.80:                               ;   in Loop: Header=BB262_16 Depth=1
	s_or_b32 exec_lo, exec_lo, s25
	v_lshlrev_b32_e32 v1, 24, v1
	s_delay_alu instid0(VALU_DEP_2) | instskip(SKIP_1) | instid1(VALU_DEP_3)
	v_lshlrev_b32_e32 v2, 20, v28
	v_lshl_add_u32 v0, v0, 23, 0x3c000000
	v_and_b32_e32 v1, 0x80000000, v1
	s_delay_alu instid0(VALU_DEP_1)
	v_or3_b32 v1, v2, v1, v0
	v_mov_b32_e32 v0, v29
	scratch_store_b64 off, v[0:1], s32 offset:404 ; 8-byte Folded Spill
.LBB262_81:                             ;   in Loop: Header=BB262_16 Depth=1
	s_or_b32 exec_lo, exec_lo, s2
.LBB262_82:                             ;   in Loop: Header=BB262_16 Depth=1
	s_delay_alu instid0(SALU_CYCLE_1)
	s_or_b32 exec_lo, exec_lo, s24
.LBB262_83:                             ;   in Loop: Header=BB262_16 Depth=1
	s_delay_alu instid0(SALU_CYCLE_1)
	s_or_b32 exec_lo, exec_lo, s23
	flat_load_b32 v0, v[124:125] offset:8
	v_mov_b32_e32 v24, 0
	v_mov_b32_e32 v25, 0
	s_mov_b32 s2, exec_lo
	s_clause 0x1
	scratch_store_b64 off, v[24:25], s32 offset:420
	scratch_store_b64 off, v[24:25], s32 offset:444
	s_waitcnt vmcnt(0) lgkmcnt(0)
	v_and_b32_e32 v1, 0xff, v0
	s_delay_alu instid0(VALU_DEP_1)
	v_cmpx_ne_u16_e32 0, v1
	s_cbranch_execz .LBB262_91
; %bb.84:                               ;   in Loop: Header=BB262_16 Depth=1
	v_bfrev_b32_e32 v2, 1
	v_mov_b32_e32 v3, 0
	s_mov_b32 s23, exec_lo
	scratch_store_b64 off, v[2:3], s32 offset:444 ; 8-byte Folded Spill
	v_cmpx_ne_u16_e32 0x80, v1
	s_cbranch_execz .LBB262_90
; %bb.85:                               ;   in Loop: Header=BB262_16 Depth=1
	v_mov_b32_e32 v3, 0x7f800001
	v_and_b32_e32 v2, 0x7f, v0
	v_mov_b32_e32 v4, 0
	s_mov_b32 s24, exec_lo
	scratch_store_b64 off, v[3:4], s32 offset:444 ; 8-byte Folded Spill
	v_cmpx_ne_u32_e32 0x7f, v2
	s_cbranch_execz .LBB262_89
; %bb.86:                               ;   in Loop: Header=BB262_16 Depth=1
	v_and_b32_e32 v28, 7, v0
	v_lshrrev_b32_e32 v1, 3, v2
	s_mov_b32 s25, exec_lo
	v_cmpx_gt_u32_e32 8, v2
; %bb.87:                               ;   in Loop: Header=BB262_16 Depth=1
	s_delay_alu instid0(VALU_DEP_3) | instskip(NEXT) | instid1(VALU_DEP_1)
	v_clz_i32_u32_e32 v1, v28
	v_min_u32_e32 v1, 32, v1
	s_delay_alu instid0(VALU_DEP_1) | instskip(SKIP_1) | instid1(VALU_DEP_2)
	v_subrev_nc_u32_e32 v2, 28, v1
	v_sub_nc_u32_e32 v1, 29, v1
	v_lshlrev_b64 v[2:3], v2, v[28:29]
	s_delay_alu instid0(VALU_DEP_1)
	v_and_b32_e32 v28, 7, v2
; %bb.88:                               ;   in Loop: Header=BB262_16 Depth=1
	s_or_b32 exec_lo, exec_lo, s25
	v_lshlrev_b32_e32 v2, 24, v0
	s_delay_alu instid0(VALU_DEP_2) | instskip(SKIP_1) | instid1(VALU_DEP_3)
	v_lshlrev_b32_e32 v3, 20, v28
	v_lshl_add_u32 v1, v1, 23, 0x3c000000
	v_and_b32_e32 v2, 0x80000000, v2
	s_delay_alu instid0(VALU_DEP_1)
	v_or3_b32 v28, v3, v2, v1
	scratch_store_b64 off, v[28:29], s32 offset:444 ; 8-byte Folded Spill
.LBB262_89:                             ;   in Loop: Header=BB262_16 Depth=1
	s_or_b32 exec_lo, exec_lo, s24
.LBB262_90:                             ;   in Loop: Header=BB262_16 Depth=1
	s_delay_alu instid0(SALU_CYCLE_1)
	s_or_b32 exec_lo, exec_lo, s23
.LBB262_91:                             ;   in Loop: Header=BB262_16 Depth=1
	s_delay_alu instid0(SALU_CYCLE_1) | instskip(SKIP_2) | instid1(VALU_DEP_1)
	s_or_b32 exec_lo, exec_lo, s2
	v_lshrrev_b16 v1, 8, v0
	s_mov_b32 s23, exec_lo
	v_cmpx_ne_u16_e32 0, v1
	s_cbranch_execz .LBB262_99
; %bb.92:                               ;   in Loop: Header=BB262_16 Depth=1
	v_dual_mov_b32 v2, s16 :: v_dual_mov_b32 v3, s17
	s_mov_b32 s24, exec_lo
	scratch_store_b64 off, v[2:3], s32 offset:420 ; 8-byte Folded Spill
	v_cmpx_ne_u16_e32 0x80, v1
	s_cbranch_execz .LBB262_98
; %bb.93:                               ;   in Loop: Header=BB262_16 Depth=1
	s_mov_b32 s2, s16
	v_dual_mov_b32 v4, s3 :: v_dual_and_b32 v1, 0xffff, v1
	v_mov_b32_e32 v3, s2
	s_mov_b32 s2, exec_lo
	s_delay_alu instid0(VALU_DEP_2)
	v_and_b32_e32 v2, 0x7f, v1
	scratch_store_b64 off, v[3:4], s32 offset:420 ; 8-byte Folded Spill
	v_cmpx_ne_u32_e32 0x7f, v2
	s_cbranch_execz .LBB262_97
; %bb.94:                               ;   in Loop: Header=BB262_16 Depth=1
	v_and_b32_e32 v28, 7, v1
	v_lshrrev_b32_e32 v1, 3, v2
	s_mov_b32 s25, exec_lo
	v_cmpx_gt_u32_e32 8, v2
; %bb.95:                               ;   in Loop: Header=BB262_16 Depth=1
	s_delay_alu instid0(VALU_DEP_3) | instskip(NEXT) | instid1(VALU_DEP_1)
	v_clz_i32_u32_e32 v1, v28
	v_min_u32_e32 v1, 32, v1
	s_delay_alu instid0(VALU_DEP_1) | instskip(SKIP_1) | instid1(VALU_DEP_2)
	v_subrev_nc_u32_e32 v2, 28, v1
	v_sub_nc_u32_e32 v1, 29, v1
	v_lshlrev_b64 v[2:3], v2, v[28:29]
	s_delay_alu instid0(VALU_DEP_1)
	v_and_b32_e32 v28, 7, v2
; %bb.96:                               ;   in Loop: Header=BB262_16 Depth=1
	s_or_b32 exec_lo, exec_lo, s25
	v_lshlrev_b32_e32 v2, 16, v0
	s_delay_alu instid0(VALU_DEP_2) | instskip(SKIP_1) | instid1(VALU_DEP_3)
	v_lshlrev_b32_e32 v3, 20, v28
	v_lshl_add_u32 v1, v1, 23, 0x3c000000
	v_and_b32_e32 v2, 0x80000000, v2
	s_delay_alu instid0(VALU_DEP_1)
	v_or3_b32 v2, v3, v2, v1
	v_mov_b32_e32 v1, v29
	scratch_store_b64 off, v[1:2], s32 offset:420 ; 8-byte Folded Spill
.LBB262_97:                             ;   in Loop: Header=BB262_16 Depth=1
	s_or_b32 exec_lo, exec_lo, s2
.LBB262_98:                             ;   in Loop: Header=BB262_16 Depth=1
	s_delay_alu instid0(SALU_CYCLE_1)
	s_or_b32 exec_lo, exec_lo, s24
.LBB262_99:                             ;   in Loop: Header=BB262_16 Depth=1
	s_delay_alu instid0(SALU_CYCLE_1)
	s_or_b32 exec_lo, exec_lo, s23
	v_lshrrev_b32_e32 v1, 16, v0
	v_mov_b32_e32 v3, 0
	v_mov_b32_e32 v4, 0
	s_mov_b32 s2, exec_lo
	s_clause 0x1
	scratch_store_b64 off, v[3:4], s32 offset:428
	scratch_store_b64 off, v[3:4], s32 offset:436
	v_and_b32_e32 v2, 0xff, v1
	s_delay_alu instid0(VALU_DEP_1)
	v_cmpx_ne_u16_e32 0, v2
	s_cbranch_execz .LBB262_107
; %bb.100:                              ;   in Loop: Header=BB262_16 Depth=1
	v_cmp_ne_u16_e64 s1, 0x80, v2
	v_bfrev_b32_e32 v2, 1
	v_mov_b32_e32 v3, 0
	scratch_store_b64 off, v[2:3], s32 offset:436 ; 8-byte Folded Spill
	s_and_saveexec_b32 s23, s1
	s_cbranch_execz .LBB262_106
; %bb.101:                              ;   in Loop: Header=BB262_16 Depth=1
	v_mov_b32_e32 v4, 0x7f800001
	v_bfe_u32 v3, v0, 16, 7
	v_mov_b32_e32 v5, 0
	s_mov_b32 s24, exec_lo
	scratch_store_b64 off, v[4:5], s32 offset:436 ; 8-byte Folded Spill
	v_cmpx_ne_u32_e32 0x7f, v3
	s_cbranch_execz .LBB262_105
; %bb.102:                              ;   in Loop: Header=BB262_16 Depth=1
	v_and_b32_e32 v28, 7, v1
	v_lshrrev_b32_e32 v2, 3, v3
	s_mov_b32 s25, exec_lo
	v_cmpx_gt_u32_e32 8, v3
; %bb.103:                              ;   in Loop: Header=BB262_16 Depth=1
	s_delay_alu instid0(VALU_DEP_3) | instskip(NEXT) | instid1(VALU_DEP_1)
	v_clz_i32_u32_e32 v2, v28
	v_min_u32_e32 v2, 32, v2
	s_delay_alu instid0(VALU_DEP_1) | instskip(SKIP_1) | instid1(VALU_DEP_2)
	v_subrev_nc_u32_e32 v3, 28, v2
	v_sub_nc_u32_e32 v2, 29, v2
	v_lshlrev_b64 v[3:4], v3, v[28:29]
	s_delay_alu instid0(VALU_DEP_1)
	v_and_b32_e32 v28, 7, v3
; %bb.104:                              ;   in Loop: Header=BB262_16 Depth=1
	s_or_b32 exec_lo, exec_lo, s25
	v_lshlrev_b32_e32 v1, 24, v1
	s_delay_alu instid0(VALU_DEP_2) | instskip(SKIP_1) | instid1(VALU_DEP_3)
	v_lshlrev_b32_e32 v3, 20, v28
	v_lshl_add_u32 v2, v2, 23, 0x3c000000
	v_and_b32_e32 v1, 0x80000000, v1
	s_delay_alu instid0(VALU_DEP_1)
	v_or3_b32 v28, v3, v1, v2
	scratch_store_b64 off, v[28:29], s32 offset:436 ; 8-byte Folded Spill
.LBB262_105:                            ;   in Loop: Header=BB262_16 Depth=1
	s_or_b32 exec_lo, exec_lo, s24
.LBB262_106:                            ;   in Loop: Header=BB262_16 Depth=1
	s_delay_alu instid0(SALU_CYCLE_1)
	s_or_b32 exec_lo, exec_lo, s23
.LBB262_107:                            ;   in Loop: Header=BB262_16 Depth=1
	s_delay_alu instid0(SALU_CYCLE_1) | instskip(NEXT) | instid1(SALU_CYCLE_1)
	s_or_b32 exec_lo, exec_lo, s2
	s_mov_b32 s23, exec_lo
	v_cmpx_lt_u32_e32 0xffffff, v0
	s_cbranch_execz .LBB262_115
; %bb.108:                              ;   in Loop: Header=BB262_16 Depth=1
	v_lshrrev_b32_e32 v1, 24, v0
	v_dual_mov_b32 v2, s16 :: v_dual_mov_b32 v3, s17
	s_mov_b32 s24, exec_lo
	scratch_store_b64 off, v[2:3], s32 offset:428 ; 8-byte Folded Spill
	v_cmpx_ne_u32_e32 0x80, v1
	s_cbranch_execz .LBB262_114
; %bb.109:                              ;   in Loop: Header=BB262_16 Depth=1
	s_mov_b32 s2, s16
	v_bfe_u32 v2, v0, 24, 7
	v_dual_mov_b32 v4, s3 :: v_dual_mov_b32 v3, s2
	s_mov_b32 s2, exec_lo
	scratch_store_b64 off, v[3:4], s32 offset:428 ; 8-byte Folded Spill
	v_cmpx_ne_u32_e32 0x7f, v2
	s_cbranch_execz .LBB262_113
; %bb.110:                              ;   in Loop: Header=BB262_16 Depth=1
	v_and_b32_e32 v28, 7, v1
	v_lshrrev_b32_e32 v0, 3, v2
	s_mov_b32 s25, exec_lo
	v_cmpx_gt_u32_e32 8, v2
; %bb.111:                              ;   in Loop: Header=BB262_16 Depth=1
	s_delay_alu instid0(VALU_DEP_3) | instskip(NEXT) | instid1(VALU_DEP_1)
	v_clz_i32_u32_e32 v0, v28
	v_min_u32_e32 v0, 32, v0
	s_delay_alu instid0(VALU_DEP_1) | instskip(SKIP_1) | instid1(VALU_DEP_2)
	v_subrev_nc_u32_e32 v2, 28, v0
	v_sub_nc_u32_e32 v0, 29, v0
	v_lshlrev_b64 v[2:3], v2, v[28:29]
	s_delay_alu instid0(VALU_DEP_1)
	v_and_b32_e32 v28, 7, v2
; %bb.112:                              ;   in Loop: Header=BB262_16 Depth=1
	s_or_b32 exec_lo, exec_lo, s25
	v_lshlrev_b32_e32 v1, 24, v1
	s_delay_alu instid0(VALU_DEP_2) | instskip(SKIP_1) | instid1(VALU_DEP_3)
	v_lshlrev_b32_e32 v2, 20, v28
	v_lshl_add_u32 v0, v0, 23, 0x3c000000
	v_and_b32_e32 v1, 0x80000000, v1
	s_delay_alu instid0(VALU_DEP_1)
	v_or3_b32 v1, v2, v1, v0
	v_mov_b32_e32 v0, v29
	scratch_store_b64 off, v[0:1], s32 offset:428 ; 8-byte Folded Spill
.LBB262_113:                            ;   in Loop: Header=BB262_16 Depth=1
	s_or_b32 exec_lo, exec_lo, s2
.LBB262_114:                            ;   in Loop: Header=BB262_16 Depth=1
	s_delay_alu instid0(SALU_CYCLE_1)
	s_or_b32 exec_lo, exec_lo, s24
.LBB262_115:                            ;   in Loop: Header=BB262_16 Depth=1
	s_delay_alu instid0(SALU_CYCLE_1)
	s_or_b32 exec_lo, exec_lo, s23
	flat_load_b32 v0, v[124:125] offset:12
	v_mov_b32_e32 v2, 0
	v_mov_b32_e32 v3, 0
	s_mov_b32 s2, exec_lo
	s_clause 0x1
	scratch_store_b64 off, v[2:3], s32 offset:476
	scratch_store_b64 off, v[2:3], s32 offset:452
	s_waitcnt vmcnt(0) lgkmcnt(0)
	v_and_b32_e32 v1, 0xff, v0
	s_delay_alu instid0(VALU_DEP_1)
	v_cmpx_ne_u16_e32 0, v1
	s_cbranch_execz .LBB262_123
; %bb.116:                              ;   in Loop: Header=BB262_16 Depth=1
	v_cmp_ne_u16_e64 s1, 0x80, v1
	v_bfrev_b32_e32 v1, 1
	v_mov_b32_e32 v2, 0
	scratch_store_b64 off, v[1:2], s32 offset:452 ; 8-byte Folded Spill
	s_and_saveexec_b32 s23, s1
	s_cbranch_execz .LBB262_122
; %bb.117:                              ;   in Loop: Header=BB262_16 Depth=1
	v_mov_b32_e32 v3, 0x7f800001
	v_and_b32_e32 v2, 0x7f, v0
	v_mov_b32_e32 v4, 0
	s_mov_b32 s24, exec_lo
	scratch_store_b64 off, v[3:4], s32 offset:452 ; 8-byte Folded Spill
	v_cmpx_ne_u32_e32 0x7f, v2
	s_cbranch_execz .LBB262_121
; %bb.118:                              ;   in Loop: Header=BB262_16 Depth=1
	v_and_b32_e32 v28, 7, v0
	v_lshrrev_b32_e32 v1, 3, v2
	s_mov_b32 s25, exec_lo
	v_cmpx_gt_u32_e32 8, v2
; %bb.119:                              ;   in Loop: Header=BB262_16 Depth=1
	s_delay_alu instid0(VALU_DEP_3) | instskip(NEXT) | instid1(VALU_DEP_1)
	v_clz_i32_u32_e32 v1, v28
	v_min_u32_e32 v1, 32, v1
	s_delay_alu instid0(VALU_DEP_1) | instskip(SKIP_1) | instid1(VALU_DEP_2)
	v_subrev_nc_u32_e32 v2, 28, v1
	v_sub_nc_u32_e32 v1, 29, v1
	v_lshlrev_b64 v[2:3], v2, v[28:29]
	s_delay_alu instid0(VALU_DEP_1)
	v_and_b32_e32 v28, 7, v2
; %bb.120:                              ;   in Loop: Header=BB262_16 Depth=1
	s_or_b32 exec_lo, exec_lo, s25
	v_lshlrev_b32_e32 v2, 24, v0
	s_delay_alu instid0(VALU_DEP_2) | instskip(SKIP_1) | instid1(VALU_DEP_3)
	v_lshlrev_b32_e32 v3, 20, v28
	v_lshl_add_u32 v1, v1, 23, 0x3c000000
	v_and_b32_e32 v2, 0x80000000, v2
	s_delay_alu instid0(VALU_DEP_1)
	v_or3_b32 v28, v3, v2, v1
	scratch_store_b64 off, v[28:29], s32 offset:452 ; 8-byte Folded Spill
.LBB262_121:                            ;   in Loop: Header=BB262_16 Depth=1
	s_or_b32 exec_lo, exec_lo, s24
.LBB262_122:                            ;   in Loop: Header=BB262_16 Depth=1
	s_delay_alu instid0(SALU_CYCLE_1)
	s_or_b32 exec_lo, exec_lo, s23
.LBB262_123:                            ;   in Loop: Header=BB262_16 Depth=1
	s_delay_alu instid0(SALU_CYCLE_1) | instskip(SKIP_2) | instid1(VALU_DEP_1)
	s_or_b32 exec_lo, exec_lo, s2
	v_lshrrev_b16 v1, 8, v0
	s_mov_b32 s23, exec_lo
	v_cmpx_ne_u16_e32 0, v1
	s_cbranch_execz .LBB262_131
; %bb.124:                              ;   in Loop: Header=BB262_16 Depth=1
	v_dual_mov_b32 v2, s16 :: v_dual_mov_b32 v3, s17
	s_mov_b32 s24, exec_lo
	scratch_store_b64 off, v[2:3], s32 offset:476 ; 8-byte Folded Spill
	v_cmpx_ne_u16_e32 0x80, v1
	s_cbranch_execz .LBB262_130
; %bb.125:                              ;   in Loop: Header=BB262_16 Depth=1
	s_mov_b32 s2, s16
	v_dual_mov_b32 v4, s3 :: v_dual_and_b32 v1, 0xffff, v1
	v_mov_b32_e32 v3, s2
	s_mov_b32 s2, exec_lo
	s_delay_alu instid0(VALU_DEP_2)
	v_and_b32_e32 v2, 0x7f, v1
	scratch_store_b64 off, v[3:4], s32 offset:476 ; 8-byte Folded Spill
	v_cmpx_ne_u32_e32 0x7f, v2
	s_cbranch_execz .LBB262_129
; %bb.126:                              ;   in Loop: Header=BB262_16 Depth=1
	v_and_b32_e32 v28, 7, v1
	v_lshrrev_b32_e32 v1, 3, v2
	s_mov_b32 s25, exec_lo
	v_cmpx_gt_u32_e32 8, v2
; %bb.127:                              ;   in Loop: Header=BB262_16 Depth=1
	s_delay_alu instid0(VALU_DEP_3) | instskip(NEXT) | instid1(VALU_DEP_1)
	v_clz_i32_u32_e32 v1, v28
	v_min_u32_e32 v1, 32, v1
	s_delay_alu instid0(VALU_DEP_1) | instskip(SKIP_1) | instid1(VALU_DEP_2)
	v_subrev_nc_u32_e32 v2, 28, v1
	v_sub_nc_u32_e32 v1, 29, v1
	v_lshlrev_b64 v[2:3], v2, v[28:29]
	s_delay_alu instid0(VALU_DEP_1)
	v_and_b32_e32 v28, 7, v2
; %bb.128:                              ;   in Loop: Header=BB262_16 Depth=1
	s_or_b32 exec_lo, exec_lo, s25
	v_lshlrev_b32_e32 v2, 16, v0
	s_delay_alu instid0(VALU_DEP_2) | instskip(SKIP_1) | instid1(VALU_DEP_3)
	v_lshlrev_b32_e32 v3, 20, v28
	v_lshl_add_u32 v1, v1, 23, 0x3c000000
	v_and_b32_e32 v2, 0x80000000, v2
	s_delay_alu instid0(VALU_DEP_1)
	v_or3_b32 v2, v3, v2, v1
	v_mov_b32_e32 v1, v29
	scratch_store_b64 off, v[1:2], s32 offset:476 ; 8-byte Folded Spill
.LBB262_129:                            ;   in Loop: Header=BB262_16 Depth=1
	s_or_b32 exec_lo, exec_lo, s2
.LBB262_130:                            ;   in Loop: Header=BB262_16 Depth=1
	s_delay_alu instid0(SALU_CYCLE_1)
	s_or_b32 exec_lo, exec_lo, s24
.LBB262_131:                            ;   in Loop: Header=BB262_16 Depth=1
	s_delay_alu instid0(SALU_CYCLE_1)
	s_or_b32 exec_lo, exec_lo, s23
	v_lshrrev_b32_e32 v1, 16, v0
	v_mov_b32_e32 v3, 0
	v_mov_b32_e32 v4, 0
	s_mov_b32 s2, exec_lo
	s_clause 0x1
	scratch_store_b64 off, v[3:4], s32 offset:460
	scratch_store_b64 off, v[3:4], s32 offset:468
	v_and_b32_e32 v2, 0xff, v1
	s_delay_alu instid0(VALU_DEP_1)
	v_cmpx_ne_u16_e32 0, v2
	s_cbranch_execz .LBB262_139
; %bb.132:                              ;   in Loop: Header=BB262_16 Depth=1
	v_cmp_ne_u16_e64 s1, 0x80, v2
	v_bfrev_b32_e32 v2, 1
	v_mov_b32_e32 v3, 0
	scratch_store_b64 off, v[2:3], s32 offset:468 ; 8-byte Folded Spill
	s_and_saveexec_b32 s23, s1
	s_cbranch_execz .LBB262_138
; %bb.133:                              ;   in Loop: Header=BB262_16 Depth=1
	v_mov_b32_e32 v4, 0x7f800001
	v_bfe_u32 v3, v0, 16, 7
	v_mov_b32_e32 v5, 0
	s_mov_b32 s24, exec_lo
	scratch_store_b64 off, v[4:5], s32 offset:468 ; 8-byte Folded Spill
	v_cmpx_ne_u32_e32 0x7f, v3
	s_cbranch_execz .LBB262_137
; %bb.134:                              ;   in Loop: Header=BB262_16 Depth=1
	v_and_b32_e32 v28, 7, v1
	v_lshrrev_b32_e32 v2, 3, v3
	s_mov_b32 s25, exec_lo
	v_cmpx_gt_u32_e32 8, v3
; %bb.135:                              ;   in Loop: Header=BB262_16 Depth=1
	s_delay_alu instid0(VALU_DEP_3) | instskip(NEXT) | instid1(VALU_DEP_1)
	v_clz_i32_u32_e32 v2, v28
	v_min_u32_e32 v2, 32, v2
	s_delay_alu instid0(VALU_DEP_1) | instskip(SKIP_1) | instid1(VALU_DEP_2)
	v_subrev_nc_u32_e32 v3, 28, v2
	v_sub_nc_u32_e32 v2, 29, v2
	v_lshlrev_b64 v[3:4], v3, v[28:29]
	s_delay_alu instid0(VALU_DEP_1)
	v_and_b32_e32 v28, 7, v3
; %bb.136:                              ;   in Loop: Header=BB262_16 Depth=1
	s_or_b32 exec_lo, exec_lo, s25
	v_lshlrev_b32_e32 v1, 24, v1
	s_delay_alu instid0(VALU_DEP_2) | instskip(SKIP_1) | instid1(VALU_DEP_3)
	v_lshlrev_b32_e32 v3, 20, v28
	v_lshl_add_u32 v2, v2, 23, 0x3c000000
	v_and_b32_e32 v1, 0x80000000, v1
	s_delay_alu instid0(VALU_DEP_1)
	v_or3_b32 v28, v3, v1, v2
	scratch_store_b64 off, v[28:29], s32 offset:468 ; 8-byte Folded Spill
.LBB262_137:                            ;   in Loop: Header=BB262_16 Depth=1
	s_or_b32 exec_lo, exec_lo, s24
.LBB262_138:                            ;   in Loop: Header=BB262_16 Depth=1
	s_delay_alu instid0(SALU_CYCLE_1)
	s_or_b32 exec_lo, exec_lo, s23
.LBB262_139:                            ;   in Loop: Header=BB262_16 Depth=1
	s_delay_alu instid0(SALU_CYCLE_1) | instskip(NEXT) | instid1(SALU_CYCLE_1)
	s_or_b32 exec_lo, exec_lo, s2
	s_mov_b32 s23, exec_lo
	v_cmpx_lt_u32_e32 0xffffff, v0
	s_cbranch_execz .LBB262_147
; %bb.140:                              ;   in Loop: Header=BB262_16 Depth=1
	v_lshrrev_b32_e32 v1, 24, v0
	v_dual_mov_b32 v2, s16 :: v_dual_mov_b32 v3, s17
	s_mov_b32 s24, exec_lo
	scratch_store_b64 off, v[2:3], s32 offset:460 ; 8-byte Folded Spill
	v_cmpx_ne_u32_e32 0x80, v1
	s_cbranch_execz .LBB262_146
; %bb.141:                              ;   in Loop: Header=BB262_16 Depth=1
	s_mov_b32 s2, s16
	v_bfe_u32 v2, v0, 24, 7
	v_dual_mov_b32 v4, s3 :: v_dual_mov_b32 v3, s2
	s_mov_b32 s2, exec_lo
	scratch_store_b64 off, v[3:4], s32 offset:460 ; 8-byte Folded Spill
	v_cmpx_ne_u32_e32 0x7f, v2
	s_cbranch_execz .LBB262_145
; %bb.142:                              ;   in Loop: Header=BB262_16 Depth=1
	v_and_b32_e32 v28, 7, v1
	v_lshrrev_b32_e32 v0, 3, v2
	s_mov_b32 s25, exec_lo
	v_cmpx_gt_u32_e32 8, v2
; %bb.143:                              ;   in Loop: Header=BB262_16 Depth=1
	s_delay_alu instid0(VALU_DEP_3) | instskip(NEXT) | instid1(VALU_DEP_1)
	v_clz_i32_u32_e32 v0, v28
	v_min_u32_e32 v0, 32, v0
	s_delay_alu instid0(VALU_DEP_1) | instskip(SKIP_1) | instid1(VALU_DEP_2)
	v_subrev_nc_u32_e32 v2, 28, v0
	v_sub_nc_u32_e32 v0, 29, v0
	v_lshlrev_b64 v[2:3], v2, v[28:29]
	s_delay_alu instid0(VALU_DEP_1)
	v_and_b32_e32 v28, 7, v2
; %bb.144:                              ;   in Loop: Header=BB262_16 Depth=1
	s_or_b32 exec_lo, exec_lo, s25
	v_lshlrev_b32_e32 v1, 24, v1
	s_delay_alu instid0(VALU_DEP_2) | instskip(SKIP_1) | instid1(VALU_DEP_3)
	v_lshlrev_b32_e32 v2, 20, v28
	v_lshl_add_u32 v0, v0, 23, 0x3c000000
	v_and_b32_e32 v1, 0x80000000, v1
	s_delay_alu instid0(VALU_DEP_1)
	v_or3_b32 v1, v2, v1, v0
	v_mov_b32_e32 v0, v29
	scratch_store_b64 off, v[0:1], s32 offset:460 ; 8-byte Folded Spill
.LBB262_145:                            ;   in Loop: Header=BB262_16 Depth=1
	s_or_b32 exec_lo, exec_lo, s2
.LBB262_146:                            ;   in Loop: Header=BB262_16 Depth=1
	s_delay_alu instid0(SALU_CYCLE_1)
	s_or_b32 exec_lo, exec_lo, s24
.LBB262_147:                            ;   in Loop: Header=BB262_16 Depth=1
	s_delay_alu instid0(SALU_CYCLE_1)
	s_or_b32 exec_lo, exec_lo, s23
	flat_load_b32 v0, v[124:125] offset:512
	v_mov_b32_e32 v170, 0
	v_mov_b32_e32 v171, 0
	s_mov_b32 s2, exec_lo
	scratch_store_b64 off, v[170:171], s32 offset:492 ; 8-byte Folded Spill
	s_waitcnt vmcnt(0) lgkmcnt(0)
	v_and_b32_e32 v1, 0xff, v0
	s_delay_alu instid0(VALU_DEP_1)
	v_cmpx_ne_u16_e32 0, v1
	s_cbranch_execz .LBB262_155
; %bb.148:                              ;   in Loop: Header=BB262_16 Depth=1
	v_cmp_ne_u16_e64 s1, 0x80, v1
	v_bfrev_b32_e32 v1, 1
	v_mov_b32_e32 v2, 0
	scratch_store_b64 off, v[1:2], s32 offset:492 ; 8-byte Folded Spill
	s_and_saveexec_b32 s23, s1
	s_cbranch_execz .LBB262_154
; %bb.149:                              ;   in Loop: Header=BB262_16 Depth=1
	v_mov_b32_e32 v3, 0x7f800001
	v_and_b32_e32 v2, 0x7f, v0
	v_mov_b32_e32 v4, 0
	s_mov_b32 s24, exec_lo
	scratch_store_b64 off, v[3:4], s32 offset:492 ; 8-byte Folded Spill
	v_cmpx_ne_u32_e32 0x7f, v2
	s_cbranch_execz .LBB262_153
; %bb.150:                              ;   in Loop: Header=BB262_16 Depth=1
	v_and_b32_e32 v28, 7, v0
	v_lshrrev_b32_e32 v1, 3, v2
	s_mov_b32 s25, exec_lo
	v_cmpx_gt_u32_e32 8, v2
; %bb.151:                              ;   in Loop: Header=BB262_16 Depth=1
	s_delay_alu instid0(VALU_DEP_3) | instskip(NEXT) | instid1(VALU_DEP_1)
	v_clz_i32_u32_e32 v1, v28
	v_min_u32_e32 v1, 32, v1
	s_delay_alu instid0(VALU_DEP_1) | instskip(SKIP_1) | instid1(VALU_DEP_2)
	v_subrev_nc_u32_e32 v2, 28, v1
	v_sub_nc_u32_e32 v1, 29, v1
	v_lshlrev_b64 v[2:3], v2, v[28:29]
	s_delay_alu instid0(VALU_DEP_1)
	v_and_b32_e32 v28, 7, v2
; %bb.152:                              ;   in Loop: Header=BB262_16 Depth=1
	s_or_b32 exec_lo, exec_lo, s25
	v_lshlrev_b32_e32 v2, 24, v0
	s_delay_alu instid0(VALU_DEP_2) | instskip(SKIP_1) | instid1(VALU_DEP_3)
	v_lshlrev_b32_e32 v3, 20, v28
	v_lshl_add_u32 v1, v1, 23, 0x3c000000
	v_and_b32_e32 v2, 0x80000000, v2
	s_delay_alu instid0(VALU_DEP_1)
	v_or3_b32 v28, v3, v2, v1
	scratch_store_b64 off, v[28:29], s32 offset:492 ; 8-byte Folded Spill
.LBB262_153:                            ;   in Loop: Header=BB262_16 Depth=1
	s_or_b32 exec_lo, exec_lo, s24
.LBB262_154:                            ;   in Loop: Header=BB262_16 Depth=1
	s_delay_alu instid0(SALU_CYCLE_1)
	s_or_b32 exec_lo, exec_lo, s23
.LBB262_155:                            ;   in Loop: Header=BB262_16 Depth=1
	s_delay_alu instid0(SALU_CYCLE_1) | instskip(SKIP_2) | instid1(VALU_DEP_1)
	s_or_b32 exec_lo, exec_lo, s2
	v_lshrrev_b16 v1, 8, v0
	s_mov_b32 s23, exec_lo
	v_cmpx_ne_u16_e32 0, v1
	s_cbranch_execz .LBB262_163
; %bb.156:                              ;   in Loop: Header=BB262_16 Depth=1
	v_dual_mov_b32 v171, s17 :: v_dual_mov_b32 v170, s16
	s_mov_b32 s24, exec_lo
	v_cmpx_ne_u16_e32 0x80, v1
	s_cbranch_execz .LBB262_162
; %bb.157:                              ;   in Loop: Header=BB262_16 Depth=1
	s_mov_b32 s2, s16
	v_and_b32_e32 v1, 0xffff, v1
	v_dual_mov_b32 v171, s3 :: v_dual_mov_b32 v170, s2
	s_mov_b32 s2, exec_lo
	s_delay_alu instid0(VALU_DEP_2) | instskip(NEXT) | instid1(VALU_DEP_1)
	v_and_b32_e32 v2, 0x7f, v1
	v_cmpx_ne_u32_e32 0x7f, v2
	s_cbranch_execz .LBB262_161
; %bb.158:                              ;   in Loop: Header=BB262_16 Depth=1
	v_and_b32_e32 v28, 7, v1
	v_lshrrev_b32_e32 v1, 3, v2
	s_mov_b32 s25, exec_lo
	v_cmpx_gt_u32_e32 8, v2
; %bb.159:                              ;   in Loop: Header=BB262_16 Depth=1
	s_delay_alu instid0(VALU_DEP_3) | instskip(NEXT) | instid1(VALU_DEP_1)
	v_clz_i32_u32_e32 v1, v28
	v_min_u32_e32 v1, 32, v1
	s_delay_alu instid0(VALU_DEP_1) | instskip(SKIP_1) | instid1(VALU_DEP_2)
	v_subrev_nc_u32_e32 v2, 28, v1
	v_sub_nc_u32_e32 v1, 29, v1
	v_lshlrev_b64 v[2:3], v2, v[28:29]
	s_delay_alu instid0(VALU_DEP_1)
	v_and_b32_e32 v28, 7, v2
; %bb.160:                              ;   in Loop: Header=BB262_16 Depth=1
	s_or_b32 exec_lo, exec_lo, s25
	v_lshlrev_b32_e32 v2, 16, v0
	s_delay_alu instid0(VALU_DEP_2) | instskip(SKIP_1) | instid1(VALU_DEP_3)
	v_dual_mov_b32 v170, v29 :: v_dual_lshlrev_b32 v3, 20, v28
	v_lshl_add_u32 v1, v1, 23, 0x3c000000
	v_and_b32_e32 v2, 0x80000000, v2
	s_delay_alu instid0(VALU_DEP_1)
	v_or3_b32 v171, v3, v2, v1
.LBB262_161:                            ;   in Loop: Header=BB262_16 Depth=1
	s_or_b32 exec_lo, exec_lo, s2
.LBB262_162:                            ;   in Loop: Header=BB262_16 Depth=1
	s_delay_alu instid0(SALU_CYCLE_1)
	s_or_b32 exec_lo, exec_lo, s24
.LBB262_163:                            ;   in Loop: Header=BB262_16 Depth=1
	s_delay_alu instid0(SALU_CYCLE_1) | instskip(SKIP_4) | instid1(VALU_DEP_3)
	s_or_b32 exec_lo, exec_lo, s23
	v_lshrrev_b32_e32 v1, 16, v0
	v_mov_b32_e32 v174, 0
	v_mov_b32_e32 v175, 0
	s_mov_b32 s2, exec_lo
	v_and_b32_e32 v2, 0xff, v1
	scratch_store_b64 off, v[174:175], s32 offset:484 ; 8-byte Folded Spill
	v_cmpx_ne_u16_e32 0, v2
	s_cbranch_execz .LBB262_171
; %bb.164:                              ;   in Loop: Header=BB262_16 Depth=1
	v_cmp_ne_u16_e64 s1, 0x80, v2
	v_bfrev_b32_e32 v2, 1
	v_mov_b32_e32 v3, 0
	scratch_store_b64 off, v[2:3], s32 offset:484 ; 8-byte Folded Spill
	s_and_saveexec_b32 s23, s1
	s_cbranch_execz .LBB262_170
; %bb.165:                              ;   in Loop: Header=BB262_16 Depth=1
	v_mov_b32_e32 v4, 0x7f800001
	v_bfe_u32 v3, v0, 16, 7
	v_mov_b32_e32 v5, 0
	s_mov_b32 s24, exec_lo
	scratch_store_b64 off, v[4:5], s32 offset:484 ; 8-byte Folded Spill
	v_cmpx_ne_u32_e32 0x7f, v3
	s_cbranch_execz .LBB262_169
; %bb.166:                              ;   in Loop: Header=BB262_16 Depth=1
	v_and_b32_e32 v28, 7, v1
	v_lshrrev_b32_e32 v2, 3, v3
	s_mov_b32 s25, exec_lo
	v_cmpx_gt_u32_e32 8, v3
; %bb.167:                              ;   in Loop: Header=BB262_16 Depth=1
	s_delay_alu instid0(VALU_DEP_3) | instskip(NEXT) | instid1(VALU_DEP_1)
	v_clz_i32_u32_e32 v2, v28
	v_min_u32_e32 v2, 32, v2
	s_delay_alu instid0(VALU_DEP_1) | instskip(SKIP_1) | instid1(VALU_DEP_2)
	v_subrev_nc_u32_e32 v3, 28, v2
	v_sub_nc_u32_e32 v2, 29, v2
	v_lshlrev_b64 v[3:4], v3, v[28:29]
	s_delay_alu instid0(VALU_DEP_1)
	v_and_b32_e32 v28, 7, v3
; %bb.168:                              ;   in Loop: Header=BB262_16 Depth=1
	s_or_b32 exec_lo, exec_lo, s25
	v_lshlrev_b32_e32 v1, 24, v1
	s_delay_alu instid0(VALU_DEP_2) | instskip(SKIP_1) | instid1(VALU_DEP_3)
	v_lshlrev_b32_e32 v3, 20, v28
	v_lshl_add_u32 v2, v2, 23, 0x3c000000
	v_and_b32_e32 v1, 0x80000000, v1
	s_delay_alu instid0(VALU_DEP_1)
	v_or3_b32 v28, v3, v1, v2
	scratch_store_b64 off, v[28:29], s32 offset:484 ; 8-byte Folded Spill
.LBB262_169:                            ;   in Loop: Header=BB262_16 Depth=1
	s_or_b32 exec_lo, exec_lo, s24
.LBB262_170:                            ;   in Loop: Header=BB262_16 Depth=1
	s_delay_alu instid0(SALU_CYCLE_1)
	s_or_b32 exec_lo, exec_lo, s23
.LBB262_171:                            ;   in Loop: Header=BB262_16 Depth=1
	s_delay_alu instid0(SALU_CYCLE_1) | instskip(NEXT) | instid1(SALU_CYCLE_1)
	s_or_b32 exec_lo, exec_lo, s2
	s_mov_b32 s23, exec_lo
	v_cmpx_lt_u32_e32 0xffffff, v0
	s_cbranch_execz .LBB262_179
; %bb.172:                              ;   in Loop: Header=BB262_16 Depth=1
	v_lshrrev_b32_e32 v1, 24, v0
	v_dual_mov_b32 v175, s17 :: v_dual_mov_b32 v174, s16
	s_mov_b32 s24, exec_lo
	s_delay_alu instid0(VALU_DEP_2)
	v_cmpx_ne_u32_e32 0x80, v1
	s_cbranch_execz .LBB262_178
; %bb.173:                              ;   in Loop: Header=BB262_16 Depth=1
	s_mov_b32 s2, s16
	v_bfe_u32 v2, v0, 24, 7
	v_dual_mov_b32 v175, s3 :: v_dual_mov_b32 v174, s2
	s_mov_b32 s2, exec_lo
	s_delay_alu instid0(VALU_DEP_2)
	v_cmpx_ne_u32_e32 0x7f, v2
	s_cbranch_execz .LBB262_177
; %bb.174:                              ;   in Loop: Header=BB262_16 Depth=1
	v_and_b32_e32 v28, 7, v1
	v_lshrrev_b32_e32 v0, 3, v2
	s_mov_b32 s25, exec_lo
	v_cmpx_gt_u32_e32 8, v2
; %bb.175:                              ;   in Loop: Header=BB262_16 Depth=1
	s_delay_alu instid0(VALU_DEP_3) | instskip(NEXT) | instid1(VALU_DEP_1)
	v_clz_i32_u32_e32 v0, v28
	v_min_u32_e32 v0, 32, v0
	s_delay_alu instid0(VALU_DEP_1) | instskip(SKIP_1) | instid1(VALU_DEP_2)
	v_subrev_nc_u32_e32 v2, 28, v0
	v_sub_nc_u32_e32 v0, 29, v0
	v_lshlrev_b64 v[2:3], v2, v[28:29]
	s_delay_alu instid0(VALU_DEP_1)
	v_and_b32_e32 v28, 7, v2
; %bb.176:                              ;   in Loop: Header=BB262_16 Depth=1
	s_or_b32 exec_lo, exec_lo, s25
	v_dual_mov_b32 v174, v29 :: v_dual_lshlrev_b32 v1, 24, v1
	s_delay_alu instid0(VALU_DEP_2) | instskip(SKIP_1) | instid1(VALU_DEP_3)
	v_lshlrev_b32_e32 v2, 20, v28
	v_lshl_add_u32 v0, v0, 23, 0x3c000000
	v_and_b32_e32 v1, 0x80000000, v1
	s_delay_alu instid0(VALU_DEP_1)
	v_or3_b32 v175, v2, v1, v0
.LBB262_177:                            ;   in Loop: Header=BB262_16 Depth=1
	s_or_b32 exec_lo, exec_lo, s2
.LBB262_178:                            ;   in Loop: Header=BB262_16 Depth=1
	s_delay_alu instid0(SALU_CYCLE_1)
	s_or_b32 exec_lo, exec_lo, s24
.LBB262_179:                            ;   in Loop: Header=BB262_16 Depth=1
	s_delay_alu instid0(SALU_CYCLE_1)
	s_or_b32 exec_lo, exec_lo, s23
	flat_load_b32 v0, v[124:125] offset:516
	v_mov_b32_e32 v186, 0
	v_mov_b32_e32 v187, 0
	s_mov_b32 s2, exec_lo
	scratch_store_b64 off, v[186:187], s32 offset:508 ; 8-byte Folded Spill
	s_waitcnt vmcnt(0) lgkmcnt(0)
	v_and_b32_e32 v1, 0xff, v0
	s_delay_alu instid0(VALU_DEP_1)
	v_cmpx_ne_u16_e32 0, v1
	s_cbranch_execz .LBB262_187
; %bb.180:                              ;   in Loop: Header=BB262_16 Depth=1
	v_cmp_ne_u16_e64 s1, 0x80, v1
	v_bfrev_b32_e32 v1, 1
	v_mov_b32_e32 v2, 0
	scratch_store_b64 off, v[1:2], s32 offset:508 ; 8-byte Folded Spill
	s_and_saveexec_b32 s23, s1
	s_cbranch_execz .LBB262_186
; %bb.181:                              ;   in Loop: Header=BB262_16 Depth=1
	v_mov_b32_e32 v3, 0x7f800001
	v_and_b32_e32 v2, 0x7f, v0
	v_mov_b32_e32 v4, 0
	s_mov_b32 s24, exec_lo
	scratch_store_b64 off, v[3:4], s32 offset:508 ; 8-byte Folded Spill
	v_cmpx_ne_u32_e32 0x7f, v2
	s_cbranch_execz .LBB262_185
; %bb.182:                              ;   in Loop: Header=BB262_16 Depth=1
	v_and_b32_e32 v28, 7, v0
	v_lshrrev_b32_e32 v1, 3, v2
	s_mov_b32 s25, exec_lo
	v_cmpx_gt_u32_e32 8, v2
; %bb.183:                              ;   in Loop: Header=BB262_16 Depth=1
	s_delay_alu instid0(VALU_DEP_3) | instskip(NEXT) | instid1(VALU_DEP_1)
	v_clz_i32_u32_e32 v1, v28
	v_min_u32_e32 v1, 32, v1
	s_delay_alu instid0(VALU_DEP_1) | instskip(SKIP_1) | instid1(VALU_DEP_2)
	v_subrev_nc_u32_e32 v2, 28, v1
	v_sub_nc_u32_e32 v1, 29, v1
	v_lshlrev_b64 v[2:3], v2, v[28:29]
	s_delay_alu instid0(VALU_DEP_1)
	v_and_b32_e32 v28, 7, v2
; %bb.184:                              ;   in Loop: Header=BB262_16 Depth=1
	s_or_b32 exec_lo, exec_lo, s25
	v_lshlrev_b32_e32 v2, 24, v0
	s_delay_alu instid0(VALU_DEP_2) | instskip(SKIP_1) | instid1(VALU_DEP_3)
	v_lshlrev_b32_e32 v3, 20, v28
	v_lshl_add_u32 v1, v1, 23, 0x3c000000
	v_and_b32_e32 v2, 0x80000000, v2
	s_delay_alu instid0(VALU_DEP_1)
	v_or3_b32 v28, v3, v2, v1
	scratch_store_b64 off, v[28:29], s32 offset:508 ; 8-byte Folded Spill
.LBB262_185:                            ;   in Loop: Header=BB262_16 Depth=1
	s_or_b32 exec_lo, exec_lo, s24
.LBB262_186:                            ;   in Loop: Header=BB262_16 Depth=1
	s_delay_alu instid0(SALU_CYCLE_1)
	s_or_b32 exec_lo, exec_lo, s23
.LBB262_187:                            ;   in Loop: Header=BB262_16 Depth=1
	s_delay_alu instid0(SALU_CYCLE_1) | instskip(SKIP_2) | instid1(VALU_DEP_1)
	s_or_b32 exec_lo, exec_lo, s2
	v_lshrrev_b16 v1, 8, v0
	s_mov_b32 s23, exec_lo
	v_cmpx_ne_u16_e32 0, v1
	s_cbranch_execz .LBB262_195
; %bb.188:                              ;   in Loop: Header=BB262_16 Depth=1
	v_dual_mov_b32 v187, s17 :: v_dual_mov_b32 v186, s16
	s_mov_b32 s24, exec_lo
	v_cmpx_ne_u16_e32 0x80, v1
	s_cbranch_execz .LBB262_194
; %bb.189:                              ;   in Loop: Header=BB262_16 Depth=1
	s_mov_b32 s2, s16
	v_and_b32_e32 v1, 0xffff, v1
	v_dual_mov_b32 v187, s3 :: v_dual_mov_b32 v186, s2
	s_mov_b32 s2, exec_lo
	s_delay_alu instid0(VALU_DEP_2) | instskip(NEXT) | instid1(VALU_DEP_1)
	v_and_b32_e32 v2, 0x7f, v1
	v_cmpx_ne_u32_e32 0x7f, v2
	s_cbranch_execz .LBB262_193
; %bb.190:                              ;   in Loop: Header=BB262_16 Depth=1
	v_and_b32_e32 v28, 7, v1
	v_lshrrev_b32_e32 v1, 3, v2
	s_mov_b32 s25, exec_lo
	v_cmpx_gt_u32_e32 8, v2
; %bb.191:                              ;   in Loop: Header=BB262_16 Depth=1
	s_delay_alu instid0(VALU_DEP_3) | instskip(NEXT) | instid1(VALU_DEP_1)
	v_clz_i32_u32_e32 v1, v28
	v_min_u32_e32 v1, 32, v1
	s_delay_alu instid0(VALU_DEP_1) | instskip(SKIP_1) | instid1(VALU_DEP_2)
	v_subrev_nc_u32_e32 v2, 28, v1
	v_sub_nc_u32_e32 v1, 29, v1
	v_lshlrev_b64 v[2:3], v2, v[28:29]
	s_delay_alu instid0(VALU_DEP_1)
	v_and_b32_e32 v28, 7, v2
; %bb.192:                              ;   in Loop: Header=BB262_16 Depth=1
	s_or_b32 exec_lo, exec_lo, s25
	v_lshlrev_b32_e32 v2, 16, v0
	s_delay_alu instid0(VALU_DEP_2) | instskip(SKIP_1) | instid1(VALU_DEP_3)
	v_dual_mov_b32 v186, v29 :: v_dual_lshlrev_b32 v3, 20, v28
	v_lshl_add_u32 v1, v1, 23, 0x3c000000
	v_and_b32_e32 v2, 0x80000000, v2
	s_delay_alu instid0(VALU_DEP_1)
	v_or3_b32 v187, v3, v2, v1
.LBB262_193:                            ;   in Loop: Header=BB262_16 Depth=1
	s_or_b32 exec_lo, exec_lo, s2
.LBB262_194:                            ;   in Loop: Header=BB262_16 Depth=1
	s_delay_alu instid0(SALU_CYCLE_1)
	s_or_b32 exec_lo, exec_lo, s24
.LBB262_195:                            ;   in Loop: Header=BB262_16 Depth=1
	s_delay_alu instid0(SALU_CYCLE_1) | instskip(SKIP_4) | instid1(VALU_DEP_3)
	s_or_b32 exec_lo, exec_lo, s23
	v_lshrrev_b32_e32 v1, 16, v0
	v_mov_b32_e32 v190, 0
	v_mov_b32_e32 v191, 0
	s_mov_b32 s2, exec_lo
	v_and_b32_e32 v2, 0xff, v1
	scratch_store_b64 off, v[190:191], s32 offset:500 ; 8-byte Folded Spill
	v_cmpx_ne_u16_e32 0, v2
	s_cbranch_execz .LBB262_203
; %bb.196:                              ;   in Loop: Header=BB262_16 Depth=1
	v_cmp_ne_u16_e64 s1, 0x80, v2
	v_bfrev_b32_e32 v2, 1
	v_mov_b32_e32 v3, 0
	scratch_store_b64 off, v[2:3], s32 offset:500 ; 8-byte Folded Spill
	s_and_saveexec_b32 s23, s1
	s_cbranch_execz .LBB262_202
; %bb.197:                              ;   in Loop: Header=BB262_16 Depth=1
	v_mov_b32_e32 v4, 0x7f800001
	v_bfe_u32 v3, v0, 16, 7
	v_mov_b32_e32 v5, 0
	s_mov_b32 s24, exec_lo
	scratch_store_b64 off, v[4:5], s32 offset:500 ; 8-byte Folded Spill
	v_cmpx_ne_u32_e32 0x7f, v3
	s_cbranch_execz .LBB262_201
; %bb.198:                              ;   in Loop: Header=BB262_16 Depth=1
	v_and_b32_e32 v28, 7, v1
	v_lshrrev_b32_e32 v2, 3, v3
	s_mov_b32 s25, exec_lo
	v_cmpx_gt_u32_e32 8, v3
; %bb.199:                              ;   in Loop: Header=BB262_16 Depth=1
	s_delay_alu instid0(VALU_DEP_3) | instskip(NEXT) | instid1(VALU_DEP_1)
	v_clz_i32_u32_e32 v2, v28
	v_min_u32_e32 v2, 32, v2
	s_delay_alu instid0(VALU_DEP_1) | instskip(SKIP_1) | instid1(VALU_DEP_2)
	v_subrev_nc_u32_e32 v3, 28, v2
	v_sub_nc_u32_e32 v2, 29, v2
	v_lshlrev_b64 v[3:4], v3, v[28:29]
	s_delay_alu instid0(VALU_DEP_1)
	v_and_b32_e32 v28, 7, v3
; %bb.200:                              ;   in Loop: Header=BB262_16 Depth=1
	s_or_b32 exec_lo, exec_lo, s25
	v_lshlrev_b32_e32 v1, 24, v1
	s_delay_alu instid0(VALU_DEP_2) | instskip(SKIP_1) | instid1(VALU_DEP_3)
	v_lshlrev_b32_e32 v3, 20, v28
	v_lshl_add_u32 v2, v2, 23, 0x3c000000
	v_and_b32_e32 v1, 0x80000000, v1
	s_delay_alu instid0(VALU_DEP_1)
	v_or3_b32 v28, v3, v1, v2
	scratch_store_b64 off, v[28:29], s32 offset:500 ; 8-byte Folded Spill
.LBB262_201:                            ;   in Loop: Header=BB262_16 Depth=1
	s_or_b32 exec_lo, exec_lo, s24
.LBB262_202:                            ;   in Loop: Header=BB262_16 Depth=1
	s_delay_alu instid0(SALU_CYCLE_1)
	s_or_b32 exec_lo, exec_lo, s23
.LBB262_203:                            ;   in Loop: Header=BB262_16 Depth=1
	s_delay_alu instid0(SALU_CYCLE_1) | instskip(NEXT) | instid1(SALU_CYCLE_1)
	s_or_b32 exec_lo, exec_lo, s2
	s_mov_b32 s23, exec_lo
	v_cmpx_lt_u32_e32 0xffffff, v0
	s_cbranch_execz .LBB262_211
; %bb.204:                              ;   in Loop: Header=BB262_16 Depth=1
	v_lshrrev_b32_e32 v1, 24, v0
	v_dual_mov_b32 v191, s17 :: v_dual_mov_b32 v190, s16
	s_mov_b32 s24, exec_lo
	s_delay_alu instid0(VALU_DEP_2)
	v_cmpx_ne_u32_e32 0x80, v1
	s_cbranch_execz .LBB262_210
; %bb.205:                              ;   in Loop: Header=BB262_16 Depth=1
	s_mov_b32 s2, s16
	v_bfe_u32 v2, v0, 24, 7
	v_dual_mov_b32 v191, s3 :: v_dual_mov_b32 v190, s2
	s_mov_b32 s2, exec_lo
	s_delay_alu instid0(VALU_DEP_2)
	v_cmpx_ne_u32_e32 0x7f, v2
	s_cbranch_execz .LBB262_209
; %bb.206:                              ;   in Loop: Header=BB262_16 Depth=1
	v_and_b32_e32 v28, 7, v1
	v_lshrrev_b32_e32 v0, 3, v2
	s_mov_b32 s25, exec_lo
	v_cmpx_gt_u32_e32 8, v2
; %bb.207:                              ;   in Loop: Header=BB262_16 Depth=1
	s_delay_alu instid0(VALU_DEP_3) | instskip(NEXT) | instid1(VALU_DEP_1)
	v_clz_i32_u32_e32 v0, v28
	v_min_u32_e32 v0, 32, v0
	s_delay_alu instid0(VALU_DEP_1) | instskip(SKIP_1) | instid1(VALU_DEP_2)
	v_subrev_nc_u32_e32 v2, 28, v0
	v_sub_nc_u32_e32 v0, 29, v0
	v_lshlrev_b64 v[2:3], v2, v[28:29]
	s_delay_alu instid0(VALU_DEP_1)
	v_and_b32_e32 v28, 7, v2
; %bb.208:                              ;   in Loop: Header=BB262_16 Depth=1
	s_or_b32 exec_lo, exec_lo, s25
	v_dual_mov_b32 v190, v29 :: v_dual_lshlrev_b32 v1, 24, v1
	s_delay_alu instid0(VALU_DEP_2) | instskip(SKIP_1) | instid1(VALU_DEP_3)
	v_lshlrev_b32_e32 v2, 20, v28
	v_lshl_add_u32 v0, v0, 23, 0x3c000000
	v_and_b32_e32 v1, 0x80000000, v1
	s_delay_alu instid0(VALU_DEP_1)
	v_or3_b32 v191, v2, v1, v0
.LBB262_209:                            ;   in Loop: Header=BB262_16 Depth=1
	s_or_b32 exec_lo, exec_lo, s2
.LBB262_210:                            ;   in Loop: Header=BB262_16 Depth=1
	s_delay_alu instid0(SALU_CYCLE_1)
	s_or_b32 exec_lo, exec_lo, s24
.LBB262_211:                            ;   in Loop: Header=BB262_16 Depth=1
	s_delay_alu instid0(SALU_CYCLE_1)
	s_or_b32 exec_lo, exec_lo, s23
	flat_load_b32 v0, v[124:125] offset:520
	v_mov_b32_e32 v4, 0
	v_mov_b32_e32 v5, 0
	s_mov_b32 s2, exec_lo
	scratch_store_b64 off, v[4:5], s32 offset:524 ; 8-byte Folded Spill
	s_waitcnt vmcnt(0) lgkmcnt(0)
	v_and_b32_e32 v1, 0xff, v0
	s_delay_alu instid0(VALU_DEP_1)
	v_cmpx_ne_u16_e32 0, v1
	s_cbranch_execz .LBB262_219
; %bb.212:                              ;   in Loop: Header=BB262_16 Depth=1
	v_cmp_ne_u16_e64 s1, 0x80, v1
	v_bfrev_b32_e32 v1, 1
	v_mov_b32_e32 v2, 0
	scratch_store_b64 off, v[1:2], s32 offset:524 ; 8-byte Folded Spill
	s_and_saveexec_b32 s23, s1
	s_cbranch_execz .LBB262_218
; %bb.213:                              ;   in Loop: Header=BB262_16 Depth=1
	v_mov_b32_e32 v6, 0x7f800001
	v_dual_mov_b32 v7, 0 :: v_dual_and_b32 v2, 0x7f, v0
	s_mov_b32 s24, exec_lo
	scratch_store_b64 off, v[6:7], s32 offset:524 ; 8-byte Folded Spill
	v_cmpx_ne_u32_e32 0x7f, v2
	s_cbranch_execz .LBB262_217
; %bb.214:                              ;   in Loop: Header=BB262_16 Depth=1
	v_and_b32_e32 v28, 7, v0
	v_lshrrev_b32_e32 v1, 3, v2
	s_mov_b32 s25, exec_lo
	v_cmpx_gt_u32_e32 8, v2
; %bb.215:                              ;   in Loop: Header=BB262_16 Depth=1
	s_delay_alu instid0(VALU_DEP_3) | instskip(NEXT) | instid1(VALU_DEP_1)
	v_clz_i32_u32_e32 v1, v28
	v_min_u32_e32 v1, 32, v1
	s_delay_alu instid0(VALU_DEP_1) | instskip(SKIP_1) | instid1(VALU_DEP_2)
	v_subrev_nc_u32_e32 v2, 28, v1
	v_sub_nc_u32_e32 v1, 29, v1
	v_lshlrev_b64 v[2:3], v2, v[28:29]
	s_delay_alu instid0(VALU_DEP_1)
	v_and_b32_e32 v28, 7, v2
; %bb.216:                              ;   in Loop: Header=BB262_16 Depth=1
	s_or_b32 exec_lo, exec_lo, s25
	v_lshlrev_b32_e32 v2, 24, v0
	s_delay_alu instid0(VALU_DEP_2) | instskip(SKIP_1) | instid1(VALU_DEP_3)
	v_lshlrev_b32_e32 v3, 20, v28
	v_lshl_add_u32 v1, v1, 23, 0x3c000000
	v_and_b32_e32 v2, 0x80000000, v2
	s_delay_alu instid0(VALU_DEP_1)
	v_or3_b32 v28, v3, v2, v1
	scratch_store_b64 off, v[28:29], s32 offset:524 ; 8-byte Folded Spill
.LBB262_217:                            ;   in Loop: Header=BB262_16 Depth=1
	s_or_b32 exec_lo, exec_lo, s24
.LBB262_218:                            ;   in Loop: Header=BB262_16 Depth=1
	s_delay_alu instid0(SALU_CYCLE_1)
	s_or_b32 exec_lo, exec_lo, s23
.LBB262_219:                            ;   in Loop: Header=BB262_16 Depth=1
	s_delay_alu instid0(SALU_CYCLE_1) | instskip(SKIP_2) | instid1(VALU_DEP_1)
	s_or_b32 exec_lo, exec_lo, s2
	v_lshrrev_b16 v1, 8, v0
	s_mov_b32 s23, exec_lo
	v_cmpx_ne_u16_e32 0, v1
	s_cbranch_execz .LBB262_227
; %bb.220:                              ;   in Loop: Header=BB262_16 Depth=1
	v_dual_mov_b32 v4, s16 :: v_dual_mov_b32 v5, s17
	s_mov_b32 s24, exec_lo
	v_cmpx_ne_u16_e32 0x80, v1
	s_cbranch_execz .LBB262_226
; %bb.221:                              ;   in Loop: Header=BB262_16 Depth=1
	s_mov_b32 s2, s16
	v_and_b32_e32 v1, 0xffff, v1
	v_dual_mov_b32 v5, s3 :: v_dual_mov_b32 v4, s2
	s_mov_b32 s2, exec_lo
	s_delay_alu instid0(VALU_DEP_2) | instskip(NEXT) | instid1(VALU_DEP_1)
	v_and_b32_e32 v2, 0x7f, v1
	v_cmpx_ne_u32_e32 0x7f, v2
	s_cbranch_execz .LBB262_225
; %bb.222:                              ;   in Loop: Header=BB262_16 Depth=1
	v_and_b32_e32 v28, 7, v1
	v_lshrrev_b32_e32 v1, 3, v2
	s_mov_b32 s25, exec_lo
	v_cmpx_gt_u32_e32 8, v2
; %bb.223:                              ;   in Loop: Header=BB262_16 Depth=1
	s_delay_alu instid0(VALU_DEP_3) | instskip(NEXT) | instid1(VALU_DEP_1)
	v_clz_i32_u32_e32 v1, v28
	v_min_u32_e32 v1, 32, v1
	s_delay_alu instid0(VALU_DEP_1) | instskip(SKIP_1) | instid1(VALU_DEP_2)
	v_subrev_nc_u32_e32 v2, 28, v1
	v_sub_nc_u32_e32 v1, 29, v1
	v_lshlrev_b64 v[2:3], v2, v[28:29]
	s_delay_alu instid0(VALU_DEP_1)
	v_and_b32_e32 v28, 7, v2
; %bb.224:                              ;   in Loop: Header=BB262_16 Depth=1
	s_or_b32 exec_lo, exec_lo, s25
	v_lshlrev_b32_e32 v2, 16, v0
	s_delay_alu instid0(VALU_DEP_2) | instskip(SKIP_1) | instid1(VALU_DEP_3)
	v_dual_mov_b32 v4, v29 :: v_dual_lshlrev_b32 v3, 20, v28
	v_lshl_add_u32 v1, v1, 23, 0x3c000000
	v_and_b32_e32 v2, 0x80000000, v2
	s_delay_alu instid0(VALU_DEP_1)
	v_or3_b32 v5, v3, v2, v1
.LBB262_225:                            ;   in Loop: Header=BB262_16 Depth=1
	s_or_b32 exec_lo, exec_lo, s2
.LBB262_226:                            ;   in Loop: Header=BB262_16 Depth=1
	s_delay_alu instid0(SALU_CYCLE_1)
	s_or_b32 exec_lo, exec_lo, s24
.LBB262_227:                            ;   in Loop: Header=BB262_16 Depth=1
	s_delay_alu instid0(SALU_CYCLE_1) | instskip(SKIP_4) | instid1(VALU_DEP_3)
	s_or_b32 exec_lo, exec_lo, s23
	v_lshrrev_b32_e32 v1, 16, v0
	v_mov_b32_e32 v11, 0
	v_mov_b32_e32 v12, 0
	s_mov_b32 s2, exec_lo
	v_and_b32_e32 v2, 0xff, v1
	scratch_store_b64 off, v[11:12], s32 offset:516 ; 8-byte Folded Spill
	v_cmpx_ne_u16_e32 0, v2
	s_cbranch_execz .LBB262_235
; %bb.228:                              ;   in Loop: Header=BB262_16 Depth=1
	v_cmp_ne_u16_e64 s1, 0x80, v2
	v_bfrev_b32_e32 v2, 1
	v_mov_b32_e32 v3, 0
	scratch_store_b64 off, v[2:3], s32 offset:516 ; 8-byte Folded Spill
	s_and_saveexec_b32 s23, s1
	s_cbranch_execz .LBB262_234
; %bb.229:                              ;   in Loop: Header=BB262_16 Depth=1
	v_mov_b32_e32 v6, 0x7f800001
	v_bfe_u32 v3, v0, 16, 7
	v_mov_b32_e32 v7, 0
	s_mov_b32 s24, exec_lo
	scratch_store_b64 off, v[6:7], s32 offset:516 ; 8-byte Folded Spill
	v_cmpx_ne_u32_e32 0x7f, v3
	s_cbranch_execz .LBB262_233
; %bb.230:                              ;   in Loop: Header=BB262_16 Depth=1
	v_and_b32_e32 v28, 7, v1
	v_lshrrev_b32_e32 v2, 3, v3
	s_mov_b32 s25, exec_lo
	v_cmpx_gt_u32_e32 8, v3
; %bb.231:                              ;   in Loop: Header=BB262_16 Depth=1
	s_delay_alu instid0(VALU_DEP_3) | instskip(NEXT) | instid1(VALU_DEP_1)
	v_clz_i32_u32_e32 v2, v28
	v_min_u32_e32 v2, 32, v2
	s_delay_alu instid0(VALU_DEP_1) | instskip(SKIP_1) | instid1(VALU_DEP_2)
	v_subrev_nc_u32_e32 v3, 28, v2
	v_sub_nc_u32_e32 v2, 29, v2
	v_lshlrev_b64 v[6:7], v3, v[28:29]
	s_delay_alu instid0(VALU_DEP_1)
	v_and_b32_e32 v28, 7, v6
; %bb.232:                              ;   in Loop: Header=BB262_16 Depth=1
	s_or_b32 exec_lo, exec_lo, s25
	v_lshlrev_b32_e32 v1, 24, v1
	s_delay_alu instid0(VALU_DEP_2) | instskip(SKIP_1) | instid1(VALU_DEP_3)
	v_lshlrev_b32_e32 v3, 20, v28
	v_lshl_add_u32 v2, v2, 23, 0x3c000000
	v_and_b32_e32 v1, 0x80000000, v1
	s_delay_alu instid0(VALU_DEP_1)
	v_or3_b32 v28, v3, v1, v2
	scratch_store_b64 off, v[28:29], s32 offset:516 ; 8-byte Folded Spill
.LBB262_233:                            ;   in Loop: Header=BB262_16 Depth=1
	s_or_b32 exec_lo, exec_lo, s24
.LBB262_234:                            ;   in Loop: Header=BB262_16 Depth=1
	s_delay_alu instid0(SALU_CYCLE_1)
	s_or_b32 exec_lo, exec_lo, s23
.LBB262_235:                            ;   in Loop: Header=BB262_16 Depth=1
	s_delay_alu instid0(SALU_CYCLE_1) | instskip(NEXT) | instid1(SALU_CYCLE_1)
	s_or_b32 exec_lo, exec_lo, s2
	s_mov_b32 s23, exec_lo
	v_cmpx_lt_u32_e32 0xffffff, v0
	s_cbranch_execz .LBB262_243
; %bb.236:                              ;   in Loop: Header=BB262_16 Depth=1
	v_lshrrev_b32_e32 v1, 24, v0
	v_dual_mov_b32 v11, s16 :: v_dual_mov_b32 v12, s17
	s_mov_b32 s24, exec_lo
	s_delay_alu instid0(VALU_DEP_2)
	v_cmpx_ne_u32_e32 0x80, v1
	s_cbranch_execz .LBB262_242
; %bb.237:                              ;   in Loop: Header=BB262_16 Depth=1
	s_mov_b32 s2, s16
	v_bfe_u32 v2, v0, 24, 7
	v_dual_mov_b32 v12, s3 :: v_dual_mov_b32 v11, s2
	s_mov_b32 s2, exec_lo
	s_delay_alu instid0(VALU_DEP_2)
	v_cmpx_ne_u32_e32 0x7f, v2
	s_cbranch_execz .LBB262_241
; %bb.238:                              ;   in Loop: Header=BB262_16 Depth=1
	v_and_b32_e32 v28, 7, v1
	v_lshrrev_b32_e32 v0, 3, v2
	s_mov_b32 s25, exec_lo
	v_cmpx_gt_u32_e32 8, v2
; %bb.239:                              ;   in Loop: Header=BB262_16 Depth=1
	s_delay_alu instid0(VALU_DEP_3) | instskip(NEXT) | instid1(VALU_DEP_1)
	v_clz_i32_u32_e32 v0, v28
	v_min_u32_e32 v0, 32, v0
	s_delay_alu instid0(VALU_DEP_1) | instskip(SKIP_1) | instid1(VALU_DEP_2)
	v_subrev_nc_u32_e32 v2, 28, v0
	v_sub_nc_u32_e32 v0, 29, v0
	v_lshlrev_b64 v[2:3], v2, v[28:29]
	s_delay_alu instid0(VALU_DEP_1)
	v_and_b32_e32 v28, 7, v2
; %bb.240:                              ;   in Loop: Header=BB262_16 Depth=1
	s_or_b32 exec_lo, exec_lo, s25
	v_lshlrev_b32_e32 v1, 24, v1
	s_delay_alu instid0(VALU_DEP_2) | instskip(SKIP_1) | instid1(VALU_DEP_3)
	v_dual_mov_b32 v11, v29 :: v_dual_lshlrev_b32 v2, 20, v28
	v_lshl_add_u32 v0, v0, 23, 0x3c000000
	v_and_b32_e32 v1, 0x80000000, v1
	s_delay_alu instid0(VALU_DEP_1)
	v_or3_b32 v12, v2, v1, v0
.LBB262_241:                            ;   in Loop: Header=BB262_16 Depth=1
	s_or_b32 exec_lo, exec_lo, s2
.LBB262_242:                            ;   in Loop: Header=BB262_16 Depth=1
	s_delay_alu instid0(SALU_CYCLE_1)
	s_or_b32 exec_lo, exec_lo, s24
.LBB262_243:                            ;   in Loop: Header=BB262_16 Depth=1
	s_delay_alu instid0(SALU_CYCLE_1)
	s_or_b32 exec_lo, exec_lo, s23
	flat_load_b32 v2, v[124:125] offset:524
	v_mov_b32_e32 v0, 0
	v_mov_b32_e32 v1, 0
	s_mov_b32 s2, exec_lo
	scratch_store_b64 off, v[0:1], s32 offset:540 ; 8-byte Folded Spill
	s_waitcnt vmcnt(0) lgkmcnt(0)
	v_and_b32_e32 v3, 0xff, v2
	s_delay_alu instid0(VALU_DEP_1)
	v_cmpx_ne_u16_e32 0, v3
	s_cbranch_execz .LBB262_251
; %bb.244:                              ;   in Loop: Header=BB262_16 Depth=1
	v_bfrev_b32_e32 v6, 1
	v_mov_b32_e32 v7, 0
	s_mov_b32 s23, exec_lo
	scratch_store_b64 off, v[6:7], s32 offset:540 ; 8-byte Folded Spill
	v_cmpx_ne_u16_e32 0x80, v3
	s_cbranch_execz .LBB262_250
; %bb.245:                              ;   in Loop: Header=BB262_16 Depth=1
	v_mov_b32_e32 v7, 0x7f800001
	v_and_b32_e32 v6, 0x7f, v2
	v_mov_b32_e32 v8, 0
	s_mov_b32 s24, exec_lo
	scratch_store_b64 off, v[7:8], s32 offset:540 ; 8-byte Folded Spill
	v_cmpx_ne_u32_e32 0x7f, v6
	s_cbranch_execz .LBB262_249
; %bb.246:                              ;   in Loop: Header=BB262_16 Depth=1
	v_and_b32_e32 v28, 7, v2
	v_lshrrev_b32_e32 v3, 3, v6
	s_mov_b32 s25, exec_lo
	v_cmpx_gt_u32_e32 8, v6
; %bb.247:                              ;   in Loop: Header=BB262_16 Depth=1
	s_delay_alu instid0(VALU_DEP_3) | instskip(NEXT) | instid1(VALU_DEP_1)
	v_clz_i32_u32_e32 v3, v28
	v_min_u32_e32 v3, 32, v3
	s_delay_alu instid0(VALU_DEP_1) | instskip(SKIP_1) | instid1(VALU_DEP_2)
	v_subrev_nc_u32_e32 v6, 28, v3
	v_sub_nc_u32_e32 v3, 29, v3
	v_lshlrev_b64 v[6:7], v6, v[28:29]
	s_delay_alu instid0(VALU_DEP_1)
	v_and_b32_e32 v28, 7, v6
; %bb.248:                              ;   in Loop: Header=BB262_16 Depth=1
	s_or_b32 exec_lo, exec_lo, s25
	v_lshlrev_b32_e32 v6, 24, v2
	s_delay_alu instid0(VALU_DEP_2) | instskip(SKIP_1) | instid1(VALU_DEP_3)
	v_lshlrev_b32_e32 v7, 20, v28
	v_lshl_add_u32 v3, v3, 23, 0x3c000000
	v_and_b32_e32 v6, 0x80000000, v6
	s_delay_alu instid0(VALU_DEP_1)
	v_or3_b32 v28, v7, v6, v3
	scratch_store_b64 off, v[28:29], s32 offset:540 ; 8-byte Folded Spill
.LBB262_249:                            ;   in Loop: Header=BB262_16 Depth=1
	s_or_b32 exec_lo, exec_lo, s24
.LBB262_250:                            ;   in Loop: Header=BB262_16 Depth=1
	s_delay_alu instid0(SALU_CYCLE_1)
	s_or_b32 exec_lo, exec_lo, s23
.LBB262_251:                            ;   in Loop: Header=BB262_16 Depth=1
	s_delay_alu instid0(SALU_CYCLE_1) | instskip(SKIP_2) | instid1(VALU_DEP_1)
	s_or_b32 exec_lo, exec_lo, s2
	v_lshrrev_b16 v3, 8, v2
	s_mov_b32 s23, exec_lo
	v_cmpx_ne_u16_e32 0, v3
	s_cbranch_execz .LBB262_259
; %bb.252:                              ;   in Loop: Header=BB262_16 Depth=1
	v_dual_mov_b32 v0, s16 :: v_dual_mov_b32 v1, s17
	s_mov_b32 s24, exec_lo
	v_cmpx_ne_u16_e32 0x80, v3
	s_cbranch_execz .LBB262_258
; %bb.253:                              ;   in Loop: Header=BB262_16 Depth=1
	s_mov_b32 s2, s16
	v_and_b32_e32 v6, 0xffff, v3
	v_dual_mov_b32 v0, s2 :: v_dual_mov_b32 v1, s3
	s_mov_b32 s2, exec_lo
	s_delay_alu instid0(VALU_DEP_2) | instskip(NEXT) | instid1(VALU_DEP_1)
	v_and_b32_e32 v3, 0x7f, v6
	v_cmpx_ne_u32_e32 0x7f, v3
	s_cbranch_execz .LBB262_257
; %bb.254:                              ;   in Loop: Header=BB262_16 Depth=1
	v_and_b32_e32 v28, 7, v6
	v_lshrrev_b32_e32 v0, 3, v3
	s_mov_b32 s25, exec_lo
	v_cmpx_gt_u32_e32 8, v3
; %bb.255:                              ;   in Loop: Header=BB262_16 Depth=1
	s_delay_alu instid0(VALU_DEP_3) | instskip(NEXT) | instid1(VALU_DEP_1)
	v_clz_i32_u32_e32 v0, v28
	v_min_u32_e32 v0, 32, v0
	s_delay_alu instid0(VALU_DEP_1) | instskip(SKIP_1) | instid1(VALU_DEP_2)
	v_subrev_nc_u32_e32 v1, 28, v0
	v_sub_nc_u32_e32 v0, 29, v0
	v_lshlrev_b64 v[6:7], v1, v[28:29]
	s_delay_alu instid0(VALU_DEP_1)
	v_and_b32_e32 v28, 7, v6
; %bb.256:                              ;   in Loop: Header=BB262_16 Depth=1
	s_or_b32 exec_lo, exec_lo, s25
	v_lshlrev_b32_e32 v1, 16, v2
	s_delay_alu instid0(VALU_DEP_2) | instskip(SKIP_1) | instid1(VALU_DEP_3)
	v_lshlrev_b32_e32 v3, 20, v28
	v_lshl_add_u32 v0, v0, 23, 0x3c000000
	v_and_b32_e32 v1, 0x80000000, v1
	s_delay_alu instid0(VALU_DEP_1)
	v_or3_b32 v1, v3, v1, v0
	v_mov_b32_e32 v0, v29
.LBB262_257:                            ;   in Loop: Header=BB262_16 Depth=1
	s_or_b32 exec_lo, exec_lo, s2
.LBB262_258:                            ;   in Loop: Header=BB262_16 Depth=1
	s_delay_alu instid0(SALU_CYCLE_1)
	s_or_b32 exec_lo, exec_lo, s24
.LBB262_259:                            ;   in Loop: Header=BB262_16 Depth=1
	s_delay_alu instid0(SALU_CYCLE_1) | instskip(SKIP_4) | instid1(VALU_DEP_3)
	s_or_b32 exec_lo, exec_lo, s23
	v_lshrrev_b32_e32 v3, 16, v2
	v_mov_b32_e32 v14, 0
	v_mov_b32_e32 v15, 0
	s_mov_b32 s2, exec_lo
	v_and_b32_e32 v6, 0xff, v3
	scratch_store_b64 off, v[14:15], s32 offset:532 ; 8-byte Folded Spill
	v_cmpx_ne_u16_e32 0, v6
	s_cbranch_execz .LBB262_267
; %bb.260:                              ;   in Loop: Header=BB262_16 Depth=1
	v_cmp_ne_u16_e64 s1, 0x80, v6
	v_bfrev_b32_e32 v6, 1
	v_mov_b32_e32 v7, 0
	scratch_store_b64 off, v[6:7], s32 offset:532 ; 8-byte Folded Spill
	s_and_saveexec_b32 s23, s1
	s_cbranch_execz .LBB262_266
; %bb.261:                              ;   in Loop: Header=BB262_16 Depth=1
	v_mov_b32_e32 v8, 0x7f800001
	v_bfe_u32 v7, v2, 16, 7
	v_mov_b32_e32 v9, 0
	s_mov_b32 s24, exec_lo
	scratch_store_b64 off, v[8:9], s32 offset:532 ; 8-byte Folded Spill
	v_cmpx_ne_u32_e32 0x7f, v7
	s_cbranch_execz .LBB262_265
; %bb.262:                              ;   in Loop: Header=BB262_16 Depth=1
	v_and_b32_e32 v28, 7, v3
	v_lshrrev_b32_e32 v6, 3, v7
	s_mov_b32 s25, exec_lo
	v_cmpx_gt_u32_e32 8, v7
; %bb.263:                              ;   in Loop: Header=BB262_16 Depth=1
	s_delay_alu instid0(VALU_DEP_3) | instskip(NEXT) | instid1(VALU_DEP_1)
	v_clz_i32_u32_e32 v6, v28
	v_min_u32_e32 v6, 32, v6
	s_delay_alu instid0(VALU_DEP_1) | instskip(SKIP_1) | instid1(VALU_DEP_2)
	v_subrev_nc_u32_e32 v7, 28, v6
	v_sub_nc_u32_e32 v6, 29, v6
	v_lshlrev_b64 v[7:8], v7, v[28:29]
	s_delay_alu instid0(VALU_DEP_1)
	v_and_b32_e32 v28, 7, v7
; %bb.264:                              ;   in Loop: Header=BB262_16 Depth=1
	s_or_b32 exec_lo, exec_lo, s25
	v_lshlrev_b32_e32 v3, 24, v3
	s_delay_alu instid0(VALU_DEP_2) | instskip(SKIP_1) | instid1(VALU_DEP_3)
	v_lshlrev_b32_e32 v7, 20, v28
	v_lshl_add_u32 v6, v6, 23, 0x3c000000
	v_and_b32_e32 v3, 0x80000000, v3
	s_delay_alu instid0(VALU_DEP_1)
	v_or3_b32 v28, v7, v3, v6
	scratch_store_b64 off, v[28:29], s32 offset:532 ; 8-byte Folded Spill
.LBB262_265:                            ;   in Loop: Header=BB262_16 Depth=1
	s_or_b32 exec_lo, exec_lo, s24
.LBB262_266:                            ;   in Loop: Header=BB262_16 Depth=1
	s_delay_alu instid0(SALU_CYCLE_1)
	s_or_b32 exec_lo, exec_lo, s23
.LBB262_267:                            ;   in Loop: Header=BB262_16 Depth=1
	s_delay_alu instid0(SALU_CYCLE_1) | instskip(NEXT) | instid1(SALU_CYCLE_1)
	s_or_b32 exec_lo, exec_lo, s2
	s_mov_b32 s23, exec_lo
	v_cmpx_lt_u32_e32 0xffffff, v2
	s_cbranch_execz .LBB262_275
; %bb.268:                              ;   in Loop: Header=BB262_16 Depth=1
	v_lshrrev_b32_e32 v3, 24, v2
	v_dual_mov_b32 v14, s16 :: v_dual_mov_b32 v15, s17
	s_mov_b32 s24, exec_lo
	s_delay_alu instid0(VALU_DEP_2)
	v_cmpx_ne_u32_e32 0x80, v3
	s_cbranch_execz .LBB262_274
; %bb.269:                              ;   in Loop: Header=BB262_16 Depth=1
	s_mov_b32 s2, s16
	v_bfe_u32 v6, v2, 24, 7
	v_dual_mov_b32 v15, s3 :: v_dual_mov_b32 v14, s2
	s_mov_b32 s2, exec_lo
	s_delay_alu instid0(VALU_DEP_2)
	v_cmpx_ne_u32_e32 0x7f, v6
	s_cbranch_execz .LBB262_273
; %bb.270:                              ;   in Loop: Header=BB262_16 Depth=1
	v_and_b32_e32 v28, 7, v3
	v_lshrrev_b32_e32 v2, 3, v6
	s_mov_b32 s25, exec_lo
	v_cmpx_gt_u32_e32 8, v6
; %bb.271:                              ;   in Loop: Header=BB262_16 Depth=1
	s_delay_alu instid0(VALU_DEP_3) | instskip(NEXT) | instid1(VALU_DEP_1)
	v_clz_i32_u32_e32 v2, v28
	v_min_u32_e32 v2, 32, v2
	s_delay_alu instid0(VALU_DEP_1) | instskip(SKIP_1) | instid1(VALU_DEP_2)
	v_subrev_nc_u32_e32 v6, 28, v2
	v_sub_nc_u32_e32 v2, 29, v2
	v_lshlrev_b64 v[6:7], v6, v[28:29]
	s_delay_alu instid0(VALU_DEP_1)
	v_and_b32_e32 v28, 7, v6
; %bb.272:                              ;   in Loop: Header=BB262_16 Depth=1
	s_or_b32 exec_lo, exec_lo, s25
	v_dual_mov_b32 v14, v29 :: v_dual_lshlrev_b32 v3, 24, v3
	s_delay_alu instid0(VALU_DEP_2) | instskip(SKIP_1) | instid1(VALU_DEP_3)
	v_lshlrev_b32_e32 v6, 20, v28
	v_lshl_add_u32 v2, v2, 23, 0x3c000000
	v_and_b32_e32 v3, 0x80000000, v3
	s_delay_alu instid0(VALU_DEP_1)
	v_or3_b32 v15, v6, v3, v2
.LBB262_273:                            ;   in Loop: Header=BB262_16 Depth=1
	s_or_b32 exec_lo, exec_lo, s2
.LBB262_274:                            ;   in Loop: Header=BB262_16 Depth=1
	s_delay_alu instid0(SALU_CYCLE_1)
	s_or_b32 exec_lo, exec_lo, s24
.LBB262_275:                            ;   in Loop: Header=BB262_16 Depth=1
	s_delay_alu instid0(SALU_CYCLE_1)
	s_or_b32 exec_lo, exec_lo, s23
	flat_load_b32 v2, v[124:125] offset:1024
	v_mov_b32_e32 v6, 0
	v_mov_b32_e32 v7, 0
	s_mov_b32 s2, exec_lo
	scratch_store_b64 off, v[6:7], s32 offset:556 ; 8-byte Folded Spill
	s_waitcnt vmcnt(0) lgkmcnt(0)
	v_and_b32_e32 v3, 0xff, v2
	s_delay_alu instid0(VALU_DEP_1)
	v_cmpx_ne_u16_e32 0, v3
	s_cbranch_execz .LBB262_283
; %bb.276:                              ;   in Loop: Header=BB262_16 Depth=1
	v_bfrev_b32_e32 v8, 1
	v_mov_b32_e32 v9, 0
	s_mov_b32 s23, exec_lo
	scratch_store_b64 off, v[8:9], s32 offset:556 ; 8-byte Folded Spill
	v_cmpx_ne_u16_e32 0x80, v3
	s_cbranch_execz .LBB262_282
; %bb.277:                              ;   in Loop: Header=BB262_16 Depth=1
	v_mov_b32_e32 v16, 0x7f800001
	v_dual_mov_b32 v17, 0 :: v_dual_and_b32 v8, 0x7f, v2
	s_mov_b32 s24, exec_lo
	scratch_store_b64 off, v[16:17], s32 offset:556 ; 8-byte Folded Spill
	v_cmpx_ne_u32_e32 0x7f, v8
	s_cbranch_execz .LBB262_281
; %bb.278:                              ;   in Loop: Header=BB262_16 Depth=1
	v_and_b32_e32 v28, 7, v2
	v_lshrrev_b32_e32 v3, 3, v8
	s_mov_b32 s25, exec_lo
	v_cmpx_gt_u32_e32 8, v8
; %bb.279:                              ;   in Loop: Header=BB262_16 Depth=1
	s_delay_alu instid0(VALU_DEP_3) | instskip(NEXT) | instid1(VALU_DEP_1)
	v_clz_i32_u32_e32 v3, v28
	v_min_u32_e32 v3, 32, v3
	s_delay_alu instid0(VALU_DEP_1) | instskip(SKIP_1) | instid1(VALU_DEP_2)
	v_subrev_nc_u32_e32 v8, 28, v3
	v_sub_nc_u32_e32 v3, 29, v3
	v_lshlrev_b64 v[8:9], v8, v[28:29]
	s_delay_alu instid0(VALU_DEP_1)
	v_and_b32_e32 v28, 7, v8
; %bb.280:                              ;   in Loop: Header=BB262_16 Depth=1
	s_or_b32 exec_lo, exec_lo, s25
	v_lshlrev_b32_e32 v8, 24, v2
	s_delay_alu instid0(VALU_DEP_2) | instskip(SKIP_1) | instid1(VALU_DEP_3)
	v_lshlrev_b32_e32 v9, 20, v28
	v_lshl_add_u32 v3, v3, 23, 0x3c000000
	v_and_b32_e32 v8, 0x80000000, v8
	s_delay_alu instid0(VALU_DEP_1)
	v_or3_b32 v28, v9, v8, v3
	scratch_store_b64 off, v[28:29], s32 offset:556 ; 8-byte Folded Spill
.LBB262_281:                            ;   in Loop: Header=BB262_16 Depth=1
	s_or_b32 exec_lo, exec_lo, s24
.LBB262_282:                            ;   in Loop: Header=BB262_16 Depth=1
	s_delay_alu instid0(SALU_CYCLE_1)
	s_or_b32 exec_lo, exec_lo, s23
.LBB262_283:                            ;   in Loop: Header=BB262_16 Depth=1
	s_delay_alu instid0(SALU_CYCLE_1) | instskip(SKIP_2) | instid1(VALU_DEP_1)
	s_or_b32 exec_lo, exec_lo, s2
	v_lshrrev_b16 v3, 8, v2
	s_mov_b32 s23, exec_lo
	v_cmpx_ne_u16_e32 0, v3
	s_cbranch_execz .LBB262_291
; %bb.284:                              ;   in Loop: Header=BB262_16 Depth=1
	v_dual_mov_b32 v6, s16 :: v_dual_mov_b32 v7, s17
	s_mov_b32 s24, exec_lo
	v_cmpx_ne_u16_e32 0x80, v3
	s_cbranch_execz .LBB262_290
; %bb.285:                              ;   in Loop: Header=BB262_16 Depth=1
	s_mov_b32 s2, s16
	v_and_b32_e32 v3, 0xffff, v3
	v_dual_mov_b32 v7, s3 :: v_dual_mov_b32 v6, s2
	s_mov_b32 s2, exec_lo
	s_delay_alu instid0(VALU_DEP_2) | instskip(NEXT) | instid1(VALU_DEP_1)
	v_and_b32_e32 v8, 0x7f, v3
	v_cmpx_ne_u32_e32 0x7f, v8
	s_cbranch_execz .LBB262_289
; %bb.286:                              ;   in Loop: Header=BB262_16 Depth=1
	v_and_b32_e32 v28, 7, v3
	v_lshrrev_b32_e32 v3, 3, v8
	s_mov_b32 s25, exec_lo
	v_cmpx_gt_u32_e32 8, v8
; %bb.287:                              ;   in Loop: Header=BB262_16 Depth=1
	s_delay_alu instid0(VALU_DEP_3) | instskip(NEXT) | instid1(VALU_DEP_1)
	v_clz_i32_u32_e32 v3, v28
	v_min_u32_e32 v3, 32, v3
	s_delay_alu instid0(VALU_DEP_1) | instskip(SKIP_1) | instid1(VALU_DEP_2)
	v_subrev_nc_u32_e32 v6, 28, v3
	v_sub_nc_u32_e32 v3, 29, v3
	v_lshlrev_b64 v[6:7], v6, v[28:29]
	s_delay_alu instid0(VALU_DEP_1)
	v_and_b32_e32 v28, 7, v6
; %bb.288:                              ;   in Loop: Header=BB262_16 Depth=1
	s_or_b32 exec_lo, exec_lo, s25
	v_lshlrev_b32_e32 v6, 16, v2
	s_delay_alu instid0(VALU_DEP_2) | instskip(SKIP_1) | instid1(VALU_DEP_3)
	v_lshlrev_b32_e32 v7, 20, v28
	v_lshl_add_u32 v3, v3, 23, 0x3c000000
	v_and_b32_e32 v6, 0x80000000, v6
	s_delay_alu instid0(VALU_DEP_1)
	v_or3_b32 v7, v7, v6, v3
	v_mov_b32_e32 v6, v29
.LBB262_289:                            ;   in Loop: Header=BB262_16 Depth=1
	s_or_b32 exec_lo, exec_lo, s2
.LBB262_290:                            ;   in Loop: Header=BB262_16 Depth=1
	s_delay_alu instid0(SALU_CYCLE_1)
	s_or_b32 exec_lo, exec_lo, s24
.LBB262_291:                            ;   in Loop: Header=BB262_16 Depth=1
	s_delay_alu instid0(SALU_CYCLE_1) | instskip(SKIP_4) | instid1(VALU_DEP_3)
	s_or_b32 exec_lo, exec_lo, s23
	v_lshrrev_b32_e32 v3, 16, v2
	v_mov_b32_e32 v16, 0
	v_mov_b32_e32 v17, 0
	s_mov_b32 s2, exec_lo
	v_and_b32_e32 v8, 0xff, v3
	scratch_store_b64 off, v[16:17], s32 offset:548 ; 8-byte Folded Spill
	v_cmpx_ne_u16_e32 0, v8
	s_cbranch_execz .LBB262_299
; %bb.292:                              ;   in Loop: Header=BB262_16 Depth=1
	v_cmp_ne_u16_e64 s1, 0x80, v8
	v_bfrev_b32_e32 v8, 1
	v_mov_b32_e32 v9, 0
	scratch_store_b64 off, v[8:9], s32 offset:548 ; 8-byte Folded Spill
	s_and_saveexec_b32 s23, s1
	s_cbranch_execz .LBB262_298
; %bb.293:                              ;   in Loop: Header=BB262_16 Depth=1
	v_mov_b32_e32 v18, 0x7f800001
	v_bfe_u32 v9, v2, 16, 7
	v_mov_b32_e32 v19, 0
	s_mov_b32 s24, exec_lo
	scratch_store_b64 off, v[18:19], s32 offset:548 ; 8-byte Folded Spill
	v_cmpx_ne_u32_e32 0x7f, v9
	s_cbranch_execz .LBB262_297
; %bb.294:                              ;   in Loop: Header=BB262_16 Depth=1
	v_and_b32_e32 v28, 7, v3
	v_lshrrev_b32_e32 v8, 3, v9
	s_mov_b32 s25, exec_lo
	v_cmpx_gt_u32_e32 8, v9
; %bb.295:                              ;   in Loop: Header=BB262_16 Depth=1
	s_delay_alu instid0(VALU_DEP_3) | instskip(NEXT) | instid1(VALU_DEP_1)
	v_clz_i32_u32_e32 v8, v28
	v_min_u32_e32 v8, 32, v8
	s_delay_alu instid0(VALU_DEP_1) | instskip(SKIP_1) | instid1(VALU_DEP_2)
	v_subrev_nc_u32_e32 v9, 28, v8
	v_sub_nc_u32_e32 v8, 29, v8
	v_lshlrev_b64 v[18:19], v9, v[28:29]
	s_delay_alu instid0(VALU_DEP_1)
	v_and_b32_e32 v28, 7, v18
; %bb.296:                              ;   in Loop: Header=BB262_16 Depth=1
	s_or_b32 exec_lo, exec_lo, s25
	v_lshlrev_b32_e32 v3, 24, v3
	s_delay_alu instid0(VALU_DEP_2) | instskip(SKIP_1) | instid1(VALU_DEP_3)
	v_lshlrev_b32_e32 v9, 20, v28
	v_lshl_add_u32 v8, v8, 23, 0x3c000000
	v_and_b32_e32 v3, 0x80000000, v3
	s_delay_alu instid0(VALU_DEP_1)
	v_or3_b32 v28, v9, v3, v8
	scratch_store_b64 off, v[28:29], s32 offset:548 ; 8-byte Folded Spill
.LBB262_297:                            ;   in Loop: Header=BB262_16 Depth=1
	s_or_b32 exec_lo, exec_lo, s24
.LBB262_298:                            ;   in Loop: Header=BB262_16 Depth=1
	s_delay_alu instid0(SALU_CYCLE_1)
	s_or_b32 exec_lo, exec_lo, s23
.LBB262_299:                            ;   in Loop: Header=BB262_16 Depth=1
	s_delay_alu instid0(SALU_CYCLE_1) | instskip(NEXT) | instid1(SALU_CYCLE_1)
	s_or_b32 exec_lo, exec_lo, s2
	s_mov_b32 s23, exec_lo
	v_cmpx_lt_u32_e32 0xffffff, v2
	s_cbranch_execz .LBB262_307
; %bb.300:                              ;   in Loop: Header=BB262_16 Depth=1
	v_lshrrev_b32_e32 v3, 24, v2
	v_dual_mov_b32 v16, s16 :: v_dual_mov_b32 v17, s17
	s_mov_b32 s24, exec_lo
	s_delay_alu instid0(VALU_DEP_2)
	v_cmpx_ne_u32_e32 0x80, v3
	s_cbranch_execz .LBB262_306
; %bb.301:                              ;   in Loop: Header=BB262_16 Depth=1
	s_mov_b32 s2, s16
	v_bfe_u32 v8, v2, 24, 7
	v_dual_mov_b32 v17, s3 :: v_dual_mov_b32 v16, s2
	s_mov_b32 s2, exec_lo
	s_delay_alu instid0(VALU_DEP_2)
	v_cmpx_ne_u32_e32 0x7f, v8
	s_cbranch_execz .LBB262_305
; %bb.302:                              ;   in Loop: Header=BB262_16 Depth=1
	v_and_b32_e32 v28, 7, v3
	v_lshrrev_b32_e32 v2, 3, v8
	s_mov_b32 s25, exec_lo
	v_cmpx_gt_u32_e32 8, v8
; %bb.303:                              ;   in Loop: Header=BB262_16 Depth=1
	s_delay_alu instid0(VALU_DEP_3) | instskip(NEXT) | instid1(VALU_DEP_1)
	v_clz_i32_u32_e32 v2, v28
	v_min_u32_e32 v2, 32, v2
	s_delay_alu instid0(VALU_DEP_1) | instskip(SKIP_1) | instid1(VALU_DEP_2)
	v_subrev_nc_u32_e32 v8, 28, v2
	v_sub_nc_u32_e32 v2, 29, v2
	v_lshlrev_b64 v[8:9], v8, v[28:29]
	s_delay_alu instid0(VALU_DEP_1)
	v_and_b32_e32 v28, 7, v8
; %bb.304:                              ;   in Loop: Header=BB262_16 Depth=1
	s_or_b32 exec_lo, exec_lo, s25
	v_dual_mov_b32 v16, v29 :: v_dual_lshlrev_b32 v3, 24, v3
	s_delay_alu instid0(VALU_DEP_2) | instskip(SKIP_1) | instid1(VALU_DEP_3)
	v_lshlrev_b32_e32 v8, 20, v28
	v_lshl_add_u32 v2, v2, 23, 0x3c000000
	v_and_b32_e32 v3, 0x80000000, v3
	s_delay_alu instid0(VALU_DEP_1)
	v_or3_b32 v17, v8, v3, v2
.LBB262_305:                            ;   in Loop: Header=BB262_16 Depth=1
	s_or_b32 exec_lo, exec_lo, s2
.LBB262_306:                            ;   in Loop: Header=BB262_16 Depth=1
	s_delay_alu instid0(SALU_CYCLE_1)
	s_or_b32 exec_lo, exec_lo, s24
.LBB262_307:                            ;   in Loop: Header=BB262_16 Depth=1
	s_delay_alu instid0(SALU_CYCLE_1)
	s_or_b32 exec_lo, exec_lo, s23
	flat_load_b32 v2, v[124:125] offset:1028
	v_mov_b32_e32 v31, 0
	v_mov_b32_e32 v32, 0
	s_mov_b32 s2, exec_lo
	s_waitcnt vmcnt(0) lgkmcnt(0)
	s_delay_alu instid0(VALU_DEP_2) | instskip(NEXT) | instid1(VALU_DEP_2)
	v_dual_mov_b32 v24, v31 :: v_dual_and_b32 v3, 0xff, v2
	v_mov_b32_e32 v25, v32
	s_delay_alu instid0(VALU_DEP_2)
	v_cmpx_ne_u16_e32 0, v3
	s_cbranch_execz .LBB262_315
; %bb.308:                              ;   in Loop: Header=BB262_16 Depth=1
	v_bfrev_b32_e32 v24, 1
	v_mov_b32_e32 v25, 0
	s_mov_b32 s23, exec_lo
	v_cmpx_ne_u16_e32 0x80, v3
	s_cbranch_execz .LBB262_314
; %bb.309:                              ;   in Loop: Header=BB262_16 Depth=1
	v_mov_b32_e32 v24, 0x7f800001
	v_dual_mov_b32 v25, 0 :: v_dual_and_b32 v8, 0x7f, v2
	s_mov_b32 s24, exec_lo
	s_delay_alu instid0(VALU_DEP_1)
	v_cmpx_ne_u32_e32 0x7f, v8
	s_cbranch_execz .LBB262_313
; %bb.310:                              ;   in Loop: Header=BB262_16 Depth=1
	v_and_b32_e32 v28, 7, v2
	v_lshrrev_b32_e32 v3, 3, v8
	s_mov_b32 s25, exec_lo
	v_cmpx_gt_u32_e32 8, v8
; %bb.311:                              ;   in Loop: Header=BB262_16 Depth=1
	s_delay_alu instid0(VALU_DEP_3) | instskip(NEXT) | instid1(VALU_DEP_1)
	v_clz_i32_u32_e32 v3, v28
	v_min_u32_e32 v3, 32, v3
	s_delay_alu instid0(VALU_DEP_1) | instskip(SKIP_1) | instid1(VALU_DEP_2)
	v_subrev_nc_u32_e32 v8, 28, v3
	v_sub_nc_u32_e32 v3, 29, v3
	v_lshlrev_b64 v[8:9], v8, v[28:29]
	s_delay_alu instid0(VALU_DEP_1)
	v_and_b32_e32 v28, 7, v8
; %bb.312:                              ;   in Loop: Header=BB262_16 Depth=1
	s_or_b32 exec_lo, exec_lo, s25
	v_lshlrev_b32_e32 v8, 24, v2
	s_delay_alu instid0(VALU_DEP_2) | instskip(SKIP_1) | instid1(VALU_DEP_3)
	v_lshlrev_b32_e32 v9, 20, v28
	v_lshl_add_u32 v3, v3, 23, 0x3c000000
	v_and_b32_e32 v8, 0x80000000, v8
	s_delay_alu instid0(VALU_DEP_1) | instskip(NEXT) | instid1(VALU_DEP_1)
	v_or3_b32 v28, v9, v8, v3
	v_dual_mov_b32 v24, v28 :: v_dual_mov_b32 v25, v29
.LBB262_313:                            ;   in Loop: Header=BB262_16 Depth=1
	s_or_b32 exec_lo, exec_lo, s24
.LBB262_314:                            ;   in Loop: Header=BB262_16 Depth=1
	s_delay_alu instid0(SALU_CYCLE_1)
	s_or_b32 exec_lo, exec_lo, s23
.LBB262_315:                            ;   in Loop: Header=BB262_16 Depth=1
	s_delay_alu instid0(SALU_CYCLE_1) | instskip(SKIP_2) | instid1(VALU_DEP_1)
	s_or_b32 exec_lo, exec_lo, s2
	v_lshrrev_b16 v3, 8, v2
	s_mov_b32 s23, exec_lo
	v_cmpx_ne_u16_e32 0, v3
	s_cbranch_execz .LBB262_323
; %bb.316:                              ;   in Loop: Header=BB262_16 Depth=1
	v_dual_mov_b32 v32, s17 :: v_dual_mov_b32 v31, s16
	s_mov_b32 s24, exec_lo
	v_cmpx_ne_u16_e32 0x80, v3
	s_cbranch_execz .LBB262_322
; %bb.317:                              ;   in Loop: Header=BB262_16 Depth=1
	s_mov_b32 s2, s16
	v_dual_mov_b32 v32, s3 :: v_dual_and_b32 v3, 0xffff, v3
	v_mov_b32_e32 v31, s2
	s_mov_b32 s2, exec_lo
	s_delay_alu instid0(VALU_DEP_2) | instskip(NEXT) | instid1(VALU_DEP_1)
	v_and_b32_e32 v8, 0x7f, v3
	v_cmpx_ne_u32_e32 0x7f, v8
	s_cbranch_execz .LBB262_321
; %bb.318:                              ;   in Loop: Header=BB262_16 Depth=1
	v_and_b32_e32 v28, 7, v3
	v_lshrrev_b32_e32 v3, 3, v8
	s_mov_b32 s25, exec_lo
	v_cmpx_gt_u32_e32 8, v8
; %bb.319:                              ;   in Loop: Header=BB262_16 Depth=1
	s_delay_alu instid0(VALU_DEP_3) | instskip(NEXT) | instid1(VALU_DEP_1)
	v_clz_i32_u32_e32 v3, v28
	v_min_u32_e32 v3, 32, v3
	s_delay_alu instid0(VALU_DEP_1) | instskip(SKIP_1) | instid1(VALU_DEP_2)
	v_subrev_nc_u32_e32 v8, 28, v3
	v_sub_nc_u32_e32 v3, 29, v3
	v_lshlrev_b64 v[8:9], v8, v[28:29]
	s_delay_alu instid0(VALU_DEP_1)
	v_and_b32_e32 v28, 7, v8
; %bb.320:                              ;   in Loop: Header=BB262_16 Depth=1
	s_or_b32 exec_lo, exec_lo, s25
	v_dual_mov_b32 v31, v29 :: v_dual_lshlrev_b32 v8, 16, v2
	s_delay_alu instid0(VALU_DEP_2) | instskip(SKIP_1) | instid1(VALU_DEP_3)
	v_lshlrev_b32_e32 v9, 20, v28
	v_lshl_add_u32 v3, v3, 23, 0x3c000000
	v_and_b32_e32 v8, 0x80000000, v8
	s_delay_alu instid0(VALU_DEP_1)
	v_or3_b32 v32, v9, v8, v3
.LBB262_321:                            ;   in Loop: Header=BB262_16 Depth=1
	s_or_b32 exec_lo, exec_lo, s2
.LBB262_322:                            ;   in Loop: Header=BB262_16 Depth=1
	s_delay_alu instid0(SALU_CYCLE_1)
	s_or_b32 exec_lo, exec_lo, s24
.LBB262_323:                            ;   in Loop: Header=BB262_16 Depth=1
	s_delay_alu instid0(SALU_CYCLE_1) | instskip(SKIP_4) | instid1(VALU_DEP_3)
	s_or_b32 exec_lo, exec_lo, s23
	v_lshrrev_b32_e32 v3, 16, v2
	v_mov_b32_e32 v35, 0
	v_mov_b32_e32 v36, 0
	s_mov_b32 s2, exec_lo
	v_and_b32_e32 v8, 0xff, v3
	s_delay_alu instid0(VALU_DEP_2) | instskip(NEXT) | instid1(VALU_DEP_2)
	v_dual_mov_b32 v38, v36 :: v_dual_mov_b32 v37, v35
	v_cmpx_ne_u16_e32 0, v8
	s_cbranch_execz .LBB262_331
; %bb.324:                              ;   in Loop: Header=BB262_16 Depth=1
	v_bfrev_b32_e32 v37, 1
	v_mov_b32_e32 v38, 0
	s_mov_b32 s23, exec_lo
	v_cmpx_ne_u16_e32 0x80, v8
	s_cbranch_execz .LBB262_330
; %bb.325:                              ;   in Loop: Header=BB262_16 Depth=1
	v_mov_b32_e32 v37, 0x7f800001
	v_bfe_u32 v9, v2, 16, 7
	v_mov_b32_e32 v38, 0
	s_mov_b32 s24, exec_lo
	s_delay_alu instid0(VALU_DEP_2)
	v_cmpx_ne_u32_e32 0x7f, v9
	s_cbranch_execz .LBB262_329
; %bb.326:                              ;   in Loop: Header=BB262_16 Depth=1
	v_and_b32_e32 v28, 7, v3
	v_lshrrev_b32_e32 v8, 3, v9
	s_mov_b32 s25, exec_lo
	v_cmpx_gt_u32_e32 8, v9
; %bb.327:                              ;   in Loop: Header=BB262_16 Depth=1
	s_delay_alu instid0(VALU_DEP_3) | instskip(NEXT) | instid1(VALU_DEP_1)
	v_clz_i32_u32_e32 v8, v28
	v_min_u32_e32 v8, 32, v8
	s_delay_alu instid0(VALU_DEP_1) | instskip(SKIP_1) | instid1(VALU_DEP_2)
	v_subrev_nc_u32_e32 v9, 28, v8
	v_sub_nc_u32_e32 v8, 29, v8
	v_lshlrev_b64 v[18:19], v9, v[28:29]
	s_delay_alu instid0(VALU_DEP_1)
	v_and_b32_e32 v28, 7, v18
; %bb.328:                              ;   in Loop: Header=BB262_16 Depth=1
	s_or_b32 exec_lo, exec_lo, s25
	v_lshlrev_b32_e32 v3, 24, v3
	s_delay_alu instid0(VALU_DEP_2) | instskip(SKIP_1) | instid1(VALU_DEP_3)
	v_lshlrev_b32_e32 v9, 20, v28
	v_lshl_add_u32 v8, v8, 23, 0x3c000000
	v_and_b32_e32 v3, 0x80000000, v3
	s_delay_alu instid0(VALU_DEP_1) | instskip(NEXT) | instid1(VALU_DEP_1)
	v_or3_b32 v28, v9, v3, v8
	v_dual_mov_b32 v38, v29 :: v_dual_mov_b32 v37, v28
.LBB262_329:                            ;   in Loop: Header=BB262_16 Depth=1
	s_or_b32 exec_lo, exec_lo, s24
.LBB262_330:                            ;   in Loop: Header=BB262_16 Depth=1
	s_delay_alu instid0(SALU_CYCLE_1)
	s_or_b32 exec_lo, exec_lo, s23
.LBB262_331:                            ;   in Loop: Header=BB262_16 Depth=1
	s_delay_alu instid0(SALU_CYCLE_1) | instskip(NEXT) | instid1(SALU_CYCLE_1)
	s_or_b32 exec_lo, exec_lo, s2
	s_mov_b32 s23, exec_lo
	v_cmpx_lt_u32_e32 0xffffff, v2
	s_cbranch_execz .LBB262_339
; %bb.332:                              ;   in Loop: Header=BB262_16 Depth=1
	v_lshrrev_b32_e32 v3, 24, v2
	v_dual_mov_b32 v36, s17 :: v_dual_mov_b32 v35, s16
	s_mov_b32 s24, exec_lo
	s_delay_alu instid0(VALU_DEP_2)
	v_cmpx_ne_u32_e32 0x80, v3
	s_cbranch_execz .LBB262_338
; %bb.333:                              ;   in Loop: Header=BB262_16 Depth=1
	s_mov_b32 s2, s16
	v_bfe_u32 v8, v2, 24, 7
	v_dual_mov_b32 v36, s3 :: v_dual_mov_b32 v35, s2
	s_mov_b32 s2, exec_lo
	s_delay_alu instid0(VALU_DEP_2)
	v_cmpx_ne_u32_e32 0x7f, v8
	s_cbranch_execz .LBB262_337
; %bb.334:                              ;   in Loop: Header=BB262_16 Depth=1
	v_and_b32_e32 v28, 7, v3
	v_lshrrev_b32_e32 v2, 3, v8
	s_mov_b32 s25, exec_lo
	v_cmpx_gt_u32_e32 8, v8
; %bb.335:                              ;   in Loop: Header=BB262_16 Depth=1
	s_delay_alu instid0(VALU_DEP_3) | instskip(NEXT) | instid1(VALU_DEP_1)
	v_clz_i32_u32_e32 v2, v28
	v_min_u32_e32 v2, 32, v2
	s_delay_alu instid0(VALU_DEP_1) | instskip(SKIP_1) | instid1(VALU_DEP_2)
	v_subrev_nc_u32_e32 v8, 28, v2
	v_sub_nc_u32_e32 v2, 29, v2
	v_lshlrev_b64 v[8:9], v8, v[28:29]
	s_delay_alu instid0(VALU_DEP_1)
	v_and_b32_e32 v28, 7, v8
; %bb.336:                              ;   in Loop: Header=BB262_16 Depth=1
	s_or_b32 exec_lo, exec_lo, s25
	v_lshlrev_b32_e32 v3, 24, v3
	s_delay_alu instid0(VALU_DEP_2) | instskip(SKIP_1) | instid1(VALU_DEP_3)
	v_dual_mov_b32 v35, v29 :: v_dual_lshlrev_b32 v8, 20, v28
	v_lshl_add_u32 v2, v2, 23, 0x3c000000
	v_and_b32_e32 v3, 0x80000000, v3
	s_delay_alu instid0(VALU_DEP_1)
	v_or3_b32 v36, v8, v3, v2
.LBB262_337:                            ;   in Loop: Header=BB262_16 Depth=1
	s_or_b32 exec_lo, exec_lo, s2
.LBB262_338:                            ;   in Loop: Header=BB262_16 Depth=1
	s_delay_alu instid0(SALU_CYCLE_1)
	s_or_b32 exec_lo, exec_lo, s24
.LBB262_339:                            ;   in Loop: Header=BB262_16 Depth=1
	s_delay_alu instid0(SALU_CYCLE_1) | instskip(SKIP_4) | instid1(VALU_DEP_1)
	s_or_b32 exec_lo, exec_lo, s23
	flat_load_b32 v2, v[124:125] offset:1032
	v_mov_b32_e32 v48, 0
	v_mov_b32_e32 v49, 0
	s_mov_b32 s2, exec_lo
	v_dual_mov_b32 v51, v49 :: v_dual_mov_b32 v50, v48
	s_waitcnt vmcnt(0) lgkmcnt(0)
	v_and_b32_e32 v3, 0xff, v2
	s_delay_alu instid0(VALU_DEP_1)
	v_cmpx_ne_u16_e32 0, v3
	s_cbranch_execz .LBB262_347
; %bb.340:                              ;   in Loop: Header=BB262_16 Depth=1
	v_bfrev_b32_e32 v50, 1
	v_mov_b32_e32 v51, 0
	s_mov_b32 s23, exec_lo
	v_cmpx_ne_u16_e32 0x80, v3
	s_cbranch_execz .LBB262_346
; %bb.341:                              ;   in Loop: Header=BB262_16 Depth=1
	v_mov_b32_e32 v50, 0x7f800001
	v_dual_mov_b32 v51, 0 :: v_dual_and_b32 v8, 0x7f, v2
	s_mov_b32 s24, exec_lo
	s_delay_alu instid0(VALU_DEP_1)
	v_cmpx_ne_u32_e32 0x7f, v8
	s_cbranch_execz .LBB262_345
; %bb.342:                              ;   in Loop: Header=BB262_16 Depth=1
	v_and_b32_e32 v28, 7, v2
	v_lshrrev_b32_e32 v3, 3, v8
	s_mov_b32 s25, exec_lo
	v_cmpx_gt_u32_e32 8, v8
; %bb.343:                              ;   in Loop: Header=BB262_16 Depth=1
	s_delay_alu instid0(VALU_DEP_3) | instskip(NEXT) | instid1(VALU_DEP_1)
	v_clz_i32_u32_e32 v3, v28
	v_min_u32_e32 v3, 32, v3
	s_delay_alu instid0(VALU_DEP_1) | instskip(SKIP_1) | instid1(VALU_DEP_2)
	v_subrev_nc_u32_e32 v8, 28, v3
	v_sub_nc_u32_e32 v3, 29, v3
	v_lshlrev_b64 v[8:9], v8, v[28:29]
	s_delay_alu instid0(VALU_DEP_1)
	v_and_b32_e32 v28, 7, v8
; %bb.344:                              ;   in Loop: Header=BB262_16 Depth=1
	s_or_b32 exec_lo, exec_lo, s25
	v_lshlrev_b32_e32 v8, 24, v2
	s_delay_alu instid0(VALU_DEP_2) | instskip(SKIP_1) | instid1(VALU_DEP_3)
	v_lshlrev_b32_e32 v9, 20, v28
	v_lshl_add_u32 v3, v3, 23, 0x3c000000
	v_and_b32_e32 v8, 0x80000000, v8
	s_delay_alu instid0(VALU_DEP_1) | instskip(NEXT) | instid1(VALU_DEP_1)
	v_or3_b32 v28, v9, v8, v3
	v_dual_mov_b32 v51, v29 :: v_dual_mov_b32 v50, v28
.LBB262_345:                            ;   in Loop: Header=BB262_16 Depth=1
	s_or_b32 exec_lo, exec_lo, s24
.LBB262_346:                            ;   in Loop: Header=BB262_16 Depth=1
	s_delay_alu instid0(SALU_CYCLE_1)
	s_or_b32 exec_lo, exec_lo, s23
.LBB262_347:                            ;   in Loop: Header=BB262_16 Depth=1
	s_delay_alu instid0(SALU_CYCLE_1) | instskip(SKIP_2) | instid1(VALU_DEP_1)
	s_or_b32 exec_lo, exec_lo, s2
	v_lshrrev_b16 v3, 8, v2
	s_mov_b32 s23, exec_lo
	v_cmpx_ne_u16_e32 0, v3
	s_cbranch_execz .LBB262_355
; %bb.348:                              ;   in Loop: Header=BB262_16 Depth=1
	v_dual_mov_b32 v49, s17 :: v_dual_mov_b32 v48, s16
	s_mov_b32 s24, exec_lo
	v_cmpx_ne_u16_e32 0x80, v3
	s_cbranch_execz .LBB262_354
; %bb.349:                              ;   in Loop: Header=BB262_16 Depth=1
	s_mov_b32 s2, s16
	v_and_b32_e32 v3, 0xffff, v3
	v_dual_mov_b32 v49, s3 :: v_dual_mov_b32 v48, s2
	s_mov_b32 s2, exec_lo
	s_delay_alu instid0(VALU_DEP_2) | instskip(NEXT) | instid1(VALU_DEP_1)
	v_and_b32_e32 v8, 0x7f, v3
	v_cmpx_ne_u32_e32 0x7f, v8
	s_cbranch_execz .LBB262_353
; %bb.350:                              ;   in Loop: Header=BB262_16 Depth=1
	v_and_b32_e32 v28, 7, v3
	v_lshrrev_b32_e32 v3, 3, v8
	s_mov_b32 s25, exec_lo
	v_cmpx_gt_u32_e32 8, v8
; %bb.351:                              ;   in Loop: Header=BB262_16 Depth=1
	s_delay_alu instid0(VALU_DEP_3) | instskip(NEXT) | instid1(VALU_DEP_1)
	v_clz_i32_u32_e32 v3, v28
	v_min_u32_e32 v3, 32, v3
	s_delay_alu instid0(VALU_DEP_1) | instskip(SKIP_1) | instid1(VALU_DEP_2)
	v_subrev_nc_u32_e32 v8, 28, v3
	v_sub_nc_u32_e32 v3, 29, v3
	v_lshlrev_b64 v[8:9], v8, v[28:29]
	s_delay_alu instid0(VALU_DEP_1)
	v_and_b32_e32 v28, 7, v8
; %bb.352:                              ;   in Loop: Header=BB262_16 Depth=1
	s_or_b32 exec_lo, exec_lo, s25
	v_lshlrev_b32_e32 v8, 16, v2
	s_delay_alu instid0(VALU_DEP_2) | instskip(SKIP_1) | instid1(VALU_DEP_3)
	v_dual_mov_b32 v48, v29 :: v_dual_lshlrev_b32 v9, 20, v28
	v_lshl_add_u32 v3, v3, 23, 0x3c000000
	v_and_b32_e32 v8, 0x80000000, v8
	s_delay_alu instid0(VALU_DEP_1)
	v_or3_b32 v49, v9, v8, v3
.LBB262_353:                            ;   in Loop: Header=BB262_16 Depth=1
	s_or_b32 exec_lo, exec_lo, s2
.LBB262_354:                            ;   in Loop: Header=BB262_16 Depth=1
	s_delay_alu instid0(SALU_CYCLE_1)
	s_or_b32 exec_lo, exec_lo, s24
.LBB262_355:                            ;   in Loop: Header=BB262_16 Depth=1
	s_delay_alu instid0(SALU_CYCLE_1) | instskip(SKIP_4) | instid1(VALU_DEP_1)
	s_or_b32 exec_lo, exec_lo, s23
	v_mov_b32_e32 v52, 0
	v_lshrrev_b32_e32 v3, 16, v2
	v_mov_b32_e32 v53, 0
	s_mov_b32 s2, exec_lo
	v_dual_mov_b32 v55, v53 :: v_dual_and_b32 v8, 0xff, v3
	v_mov_b32_e32 v54, v52
	s_delay_alu instid0(VALU_DEP_2)
	v_cmpx_ne_u16_e32 0, v8
	s_cbranch_execz .LBB262_363
; %bb.356:                              ;   in Loop: Header=BB262_16 Depth=1
	v_bfrev_b32_e32 v54, 1
	v_mov_b32_e32 v55, 0
	s_mov_b32 s23, exec_lo
	v_cmpx_ne_u16_e32 0x80, v8
	s_cbranch_execz .LBB262_362
; %bb.357:                              ;   in Loop: Header=BB262_16 Depth=1
	v_mov_b32_e32 v54, 0x7f800001
	v_bfe_u32 v9, v2, 16, 7
	v_mov_b32_e32 v55, 0
	s_mov_b32 s24, exec_lo
	s_delay_alu instid0(VALU_DEP_2)
	v_cmpx_ne_u32_e32 0x7f, v9
	s_cbranch_execz .LBB262_361
; %bb.358:                              ;   in Loop: Header=BB262_16 Depth=1
	v_and_b32_e32 v28, 7, v3
	v_lshrrev_b32_e32 v8, 3, v9
	s_mov_b32 s25, exec_lo
	v_cmpx_gt_u32_e32 8, v9
; %bb.359:                              ;   in Loop: Header=BB262_16 Depth=1
	s_delay_alu instid0(VALU_DEP_3) | instskip(NEXT) | instid1(VALU_DEP_1)
	v_clz_i32_u32_e32 v8, v28
	v_min_u32_e32 v8, 32, v8
	s_delay_alu instid0(VALU_DEP_1) | instskip(SKIP_1) | instid1(VALU_DEP_2)
	v_subrev_nc_u32_e32 v9, 28, v8
	v_sub_nc_u32_e32 v8, 29, v8
	v_lshlrev_b64 v[18:19], v9, v[28:29]
	s_delay_alu instid0(VALU_DEP_1)
	v_and_b32_e32 v28, 7, v18
; %bb.360:                              ;   in Loop: Header=BB262_16 Depth=1
	s_or_b32 exec_lo, exec_lo, s25
	v_lshlrev_b32_e32 v3, 24, v3
	s_delay_alu instid0(VALU_DEP_2) | instskip(SKIP_1) | instid1(VALU_DEP_3)
	v_lshlrev_b32_e32 v9, 20, v28
	v_lshl_add_u32 v8, v8, 23, 0x3c000000
	v_and_b32_e32 v3, 0x80000000, v3
	s_delay_alu instid0(VALU_DEP_1) | instskip(NEXT) | instid1(VALU_DEP_1)
	v_or3_b32 v28, v9, v3, v8
	v_dual_mov_b32 v55, v29 :: v_dual_mov_b32 v54, v28
.LBB262_361:                            ;   in Loop: Header=BB262_16 Depth=1
	s_or_b32 exec_lo, exec_lo, s24
.LBB262_362:                            ;   in Loop: Header=BB262_16 Depth=1
	s_delay_alu instid0(SALU_CYCLE_1)
	s_or_b32 exec_lo, exec_lo, s23
.LBB262_363:                            ;   in Loop: Header=BB262_16 Depth=1
	s_delay_alu instid0(SALU_CYCLE_1) | instskip(NEXT) | instid1(SALU_CYCLE_1)
	s_or_b32 exec_lo, exec_lo, s2
	s_mov_b32 s23, exec_lo
	v_cmpx_lt_u32_e32 0xffffff, v2
	s_cbranch_execz .LBB262_371
; %bb.364:                              ;   in Loop: Header=BB262_16 Depth=1
	v_lshrrev_b32_e32 v3, 24, v2
	v_dual_mov_b32 v53, s17 :: v_dual_mov_b32 v52, s16
	s_mov_b32 s24, exec_lo
	s_delay_alu instid0(VALU_DEP_2)
	v_cmpx_ne_u32_e32 0x80, v3
	s_cbranch_execz .LBB262_370
; %bb.365:                              ;   in Loop: Header=BB262_16 Depth=1
	s_mov_b32 s2, s16
	v_bfe_u32 v8, v2, 24, 7
	v_dual_mov_b32 v53, s3 :: v_dual_mov_b32 v52, s2
	s_mov_b32 s2, exec_lo
	s_delay_alu instid0(VALU_DEP_2)
	v_cmpx_ne_u32_e32 0x7f, v8
	s_cbranch_execz .LBB262_369
; %bb.366:                              ;   in Loop: Header=BB262_16 Depth=1
	v_and_b32_e32 v28, 7, v3
	v_lshrrev_b32_e32 v2, 3, v8
	s_mov_b32 s25, exec_lo
	v_cmpx_gt_u32_e32 8, v8
; %bb.367:                              ;   in Loop: Header=BB262_16 Depth=1
	s_delay_alu instid0(VALU_DEP_3) | instskip(NEXT) | instid1(VALU_DEP_1)
	v_clz_i32_u32_e32 v2, v28
	v_min_u32_e32 v2, 32, v2
	s_delay_alu instid0(VALU_DEP_1) | instskip(SKIP_1) | instid1(VALU_DEP_2)
	v_subrev_nc_u32_e32 v8, 28, v2
	v_sub_nc_u32_e32 v2, 29, v2
	v_lshlrev_b64 v[8:9], v8, v[28:29]
	s_delay_alu instid0(VALU_DEP_1)
	v_and_b32_e32 v28, 7, v8
; %bb.368:                              ;   in Loop: Header=BB262_16 Depth=1
	s_or_b32 exec_lo, exec_lo, s25
	v_dual_mov_b32 v52, v29 :: v_dual_lshlrev_b32 v3, 24, v3
	s_delay_alu instid0(VALU_DEP_2) | instskip(SKIP_1) | instid1(VALU_DEP_3)
	v_lshlrev_b32_e32 v8, 20, v28
	v_lshl_add_u32 v2, v2, 23, 0x3c000000
	v_and_b32_e32 v3, 0x80000000, v3
	s_delay_alu instid0(VALU_DEP_1)
	v_or3_b32 v53, v8, v3, v2
.LBB262_369:                            ;   in Loop: Header=BB262_16 Depth=1
	s_or_b32 exec_lo, exec_lo, s2
.LBB262_370:                            ;   in Loop: Header=BB262_16 Depth=1
	s_delay_alu instid0(SALU_CYCLE_1)
	s_or_b32 exec_lo, exec_lo, s24
.LBB262_371:                            ;   in Loop: Header=BB262_16 Depth=1
	s_delay_alu instid0(SALU_CYCLE_1) | instskip(SKIP_4) | instid1(VALU_DEP_1)
	s_or_b32 exec_lo, exec_lo, s23
	flat_load_b32 v2, v[124:125] offset:1036
	v_mov_b32_e32 v64, 0
	v_mov_b32_e32 v65, 0
	s_mov_b32 s2, exec_lo
	v_dual_mov_b32 v67, v65 :: v_dual_mov_b32 v66, v64
	s_waitcnt vmcnt(0) lgkmcnt(0)
	v_and_b32_e32 v3, 0xff, v2
	s_delay_alu instid0(VALU_DEP_1)
	v_cmpx_ne_u16_e32 0, v3
	s_cbranch_execz .LBB262_379
; %bb.372:                              ;   in Loop: Header=BB262_16 Depth=1
	v_bfrev_b32_e32 v66, 1
	v_mov_b32_e32 v67, 0
	s_mov_b32 s23, exec_lo
	v_cmpx_ne_u16_e32 0x80, v3
	s_cbranch_execz .LBB262_378
; %bb.373:                              ;   in Loop: Header=BB262_16 Depth=1
	v_mov_b32_e32 v66, 0x7f800001
	v_dual_mov_b32 v67, 0 :: v_dual_and_b32 v8, 0x7f, v2
	s_mov_b32 s24, exec_lo
	s_delay_alu instid0(VALU_DEP_1)
	v_cmpx_ne_u32_e32 0x7f, v8
	s_cbranch_execz .LBB262_377
; %bb.374:                              ;   in Loop: Header=BB262_16 Depth=1
	v_and_b32_e32 v28, 7, v2
	v_lshrrev_b32_e32 v3, 3, v8
	s_mov_b32 s25, exec_lo
	v_cmpx_gt_u32_e32 8, v8
; %bb.375:                              ;   in Loop: Header=BB262_16 Depth=1
	s_delay_alu instid0(VALU_DEP_3) | instskip(NEXT) | instid1(VALU_DEP_1)
	v_clz_i32_u32_e32 v3, v28
	v_min_u32_e32 v3, 32, v3
	s_delay_alu instid0(VALU_DEP_1) | instskip(SKIP_1) | instid1(VALU_DEP_2)
	v_subrev_nc_u32_e32 v8, 28, v3
	v_sub_nc_u32_e32 v3, 29, v3
	v_lshlrev_b64 v[8:9], v8, v[28:29]
	s_delay_alu instid0(VALU_DEP_1)
	v_and_b32_e32 v28, 7, v8
; %bb.376:                              ;   in Loop: Header=BB262_16 Depth=1
	s_or_b32 exec_lo, exec_lo, s25
	v_lshlrev_b32_e32 v8, 24, v2
	s_delay_alu instid0(VALU_DEP_2) | instskip(SKIP_1) | instid1(VALU_DEP_3)
	v_lshlrev_b32_e32 v9, 20, v28
	v_lshl_add_u32 v3, v3, 23, 0x3c000000
	v_and_b32_e32 v8, 0x80000000, v8
	s_delay_alu instid0(VALU_DEP_1) | instskip(NEXT) | instid1(VALU_DEP_1)
	v_or3_b32 v28, v9, v8, v3
	v_dual_mov_b32 v67, v29 :: v_dual_mov_b32 v66, v28
.LBB262_377:                            ;   in Loop: Header=BB262_16 Depth=1
	s_or_b32 exec_lo, exec_lo, s24
.LBB262_378:                            ;   in Loop: Header=BB262_16 Depth=1
	s_delay_alu instid0(SALU_CYCLE_1)
	s_or_b32 exec_lo, exec_lo, s23
.LBB262_379:                            ;   in Loop: Header=BB262_16 Depth=1
	s_delay_alu instid0(SALU_CYCLE_1) | instskip(SKIP_2) | instid1(VALU_DEP_1)
	s_or_b32 exec_lo, exec_lo, s2
	v_lshrrev_b16 v3, 8, v2
	s_mov_b32 s23, exec_lo
	v_cmpx_ne_u16_e32 0, v3
	s_cbranch_execz .LBB262_387
; %bb.380:                              ;   in Loop: Header=BB262_16 Depth=1
	v_dual_mov_b32 v65, s17 :: v_dual_mov_b32 v64, s16
	s_mov_b32 s24, exec_lo
	v_cmpx_ne_u16_e32 0x80, v3
	s_cbranch_execz .LBB262_386
; %bb.381:                              ;   in Loop: Header=BB262_16 Depth=1
	s_mov_b32 s2, s16
	v_and_b32_e32 v3, 0xffff, v3
	v_dual_mov_b32 v65, s3 :: v_dual_mov_b32 v64, s2
	s_mov_b32 s2, exec_lo
	s_delay_alu instid0(VALU_DEP_2) | instskip(NEXT) | instid1(VALU_DEP_1)
	v_and_b32_e32 v8, 0x7f, v3
	v_cmpx_ne_u32_e32 0x7f, v8
	s_cbranch_execz .LBB262_385
; %bb.382:                              ;   in Loop: Header=BB262_16 Depth=1
	v_and_b32_e32 v28, 7, v3
	v_lshrrev_b32_e32 v3, 3, v8
	s_mov_b32 s25, exec_lo
	v_cmpx_gt_u32_e32 8, v8
; %bb.383:                              ;   in Loop: Header=BB262_16 Depth=1
	s_delay_alu instid0(VALU_DEP_3) | instskip(NEXT) | instid1(VALU_DEP_1)
	v_clz_i32_u32_e32 v3, v28
	v_min_u32_e32 v3, 32, v3
	s_delay_alu instid0(VALU_DEP_1) | instskip(SKIP_1) | instid1(VALU_DEP_2)
	v_subrev_nc_u32_e32 v8, 28, v3
	v_sub_nc_u32_e32 v3, 29, v3
	v_lshlrev_b64 v[8:9], v8, v[28:29]
	s_delay_alu instid0(VALU_DEP_1)
	v_and_b32_e32 v28, 7, v8
; %bb.384:                              ;   in Loop: Header=BB262_16 Depth=1
	s_or_b32 exec_lo, exec_lo, s25
	v_lshlrev_b32_e32 v8, 16, v2
	s_delay_alu instid0(VALU_DEP_2) | instskip(SKIP_1) | instid1(VALU_DEP_3)
	v_dual_mov_b32 v64, v29 :: v_dual_lshlrev_b32 v9, 20, v28
	v_lshl_add_u32 v3, v3, 23, 0x3c000000
	v_and_b32_e32 v8, 0x80000000, v8
	s_delay_alu instid0(VALU_DEP_1)
	v_or3_b32 v65, v9, v8, v3
.LBB262_385:                            ;   in Loop: Header=BB262_16 Depth=1
	s_or_b32 exec_lo, exec_lo, s2
.LBB262_386:                            ;   in Loop: Header=BB262_16 Depth=1
	s_delay_alu instid0(SALU_CYCLE_1)
	s_or_b32 exec_lo, exec_lo, s24
.LBB262_387:                            ;   in Loop: Header=BB262_16 Depth=1
	s_delay_alu instid0(SALU_CYCLE_1) | instskip(SKIP_4) | instid1(VALU_DEP_1)
	s_or_b32 exec_lo, exec_lo, s23
	v_mov_b32_e32 v68, 0
	v_lshrrev_b32_e32 v3, 16, v2
	v_mov_b32_e32 v69, 0
	s_mov_b32 s2, exec_lo
	v_dual_mov_b32 v71, v69 :: v_dual_and_b32 v8, 0xff, v3
	v_mov_b32_e32 v70, v68
	s_delay_alu instid0(VALU_DEP_2)
	v_cmpx_ne_u16_e32 0, v8
	s_cbranch_execz .LBB262_395
; %bb.388:                              ;   in Loop: Header=BB262_16 Depth=1
	v_bfrev_b32_e32 v70, 1
	v_mov_b32_e32 v71, 0
	s_mov_b32 s23, exec_lo
	v_cmpx_ne_u16_e32 0x80, v8
	s_cbranch_execz .LBB262_394
; %bb.389:                              ;   in Loop: Header=BB262_16 Depth=1
	v_mov_b32_e32 v70, 0x7f800001
	v_bfe_u32 v9, v2, 16, 7
	v_mov_b32_e32 v71, 0
	s_mov_b32 s24, exec_lo
	s_delay_alu instid0(VALU_DEP_2)
	v_cmpx_ne_u32_e32 0x7f, v9
	s_cbranch_execz .LBB262_393
; %bb.390:                              ;   in Loop: Header=BB262_16 Depth=1
	v_and_b32_e32 v28, 7, v3
	v_lshrrev_b32_e32 v8, 3, v9
	s_mov_b32 s25, exec_lo
	v_cmpx_gt_u32_e32 8, v9
; %bb.391:                              ;   in Loop: Header=BB262_16 Depth=1
	s_delay_alu instid0(VALU_DEP_3) | instskip(NEXT) | instid1(VALU_DEP_1)
	v_clz_i32_u32_e32 v8, v28
	v_min_u32_e32 v8, 32, v8
	s_delay_alu instid0(VALU_DEP_1) | instskip(SKIP_1) | instid1(VALU_DEP_2)
	v_subrev_nc_u32_e32 v9, 28, v8
	v_sub_nc_u32_e32 v8, 29, v8
	v_lshlrev_b64 v[18:19], v9, v[28:29]
	s_delay_alu instid0(VALU_DEP_1)
	v_and_b32_e32 v28, 7, v18
; %bb.392:                              ;   in Loop: Header=BB262_16 Depth=1
	s_or_b32 exec_lo, exec_lo, s25
	v_lshlrev_b32_e32 v3, 24, v3
	s_delay_alu instid0(VALU_DEP_2) | instskip(SKIP_1) | instid1(VALU_DEP_3)
	v_lshlrev_b32_e32 v9, 20, v28
	v_lshl_add_u32 v8, v8, 23, 0x3c000000
	v_and_b32_e32 v3, 0x80000000, v3
	s_delay_alu instid0(VALU_DEP_1) | instskip(NEXT) | instid1(VALU_DEP_1)
	v_or3_b32 v28, v9, v3, v8
	v_dual_mov_b32 v71, v29 :: v_dual_mov_b32 v70, v28
.LBB262_393:                            ;   in Loop: Header=BB262_16 Depth=1
	s_or_b32 exec_lo, exec_lo, s24
.LBB262_394:                            ;   in Loop: Header=BB262_16 Depth=1
	s_delay_alu instid0(SALU_CYCLE_1)
	s_or_b32 exec_lo, exec_lo, s23
.LBB262_395:                            ;   in Loop: Header=BB262_16 Depth=1
	s_delay_alu instid0(SALU_CYCLE_1) | instskip(NEXT) | instid1(SALU_CYCLE_1)
	s_or_b32 exec_lo, exec_lo, s2
	s_mov_b32 s23, exec_lo
	v_cmpx_lt_u32_e32 0xffffff, v2
	s_cbranch_execz .LBB262_403
; %bb.396:                              ;   in Loop: Header=BB262_16 Depth=1
	v_lshrrev_b32_e32 v3, 24, v2
	v_dual_mov_b32 v69, s17 :: v_dual_mov_b32 v68, s16
	s_mov_b32 s24, exec_lo
	s_delay_alu instid0(VALU_DEP_2)
	v_cmpx_ne_u32_e32 0x80, v3
	s_cbranch_execz .LBB262_402
; %bb.397:                              ;   in Loop: Header=BB262_16 Depth=1
	s_mov_b32 s2, s16
	v_bfe_u32 v8, v2, 24, 7
	v_dual_mov_b32 v69, s3 :: v_dual_mov_b32 v68, s2
	s_mov_b32 s2, exec_lo
	s_delay_alu instid0(VALU_DEP_2)
	v_cmpx_ne_u32_e32 0x7f, v8
	s_cbranch_execz .LBB262_401
; %bb.398:                              ;   in Loop: Header=BB262_16 Depth=1
	v_and_b32_e32 v28, 7, v3
	v_lshrrev_b32_e32 v2, 3, v8
	s_mov_b32 s25, exec_lo
	v_cmpx_gt_u32_e32 8, v8
; %bb.399:                              ;   in Loop: Header=BB262_16 Depth=1
	s_delay_alu instid0(VALU_DEP_3) | instskip(NEXT) | instid1(VALU_DEP_1)
	v_clz_i32_u32_e32 v2, v28
	v_min_u32_e32 v2, 32, v2
	s_delay_alu instid0(VALU_DEP_1) | instskip(SKIP_1) | instid1(VALU_DEP_2)
	v_subrev_nc_u32_e32 v8, 28, v2
	v_sub_nc_u32_e32 v2, 29, v2
	v_lshlrev_b64 v[8:9], v8, v[28:29]
	s_delay_alu instid0(VALU_DEP_1)
	v_and_b32_e32 v28, 7, v8
; %bb.400:                              ;   in Loop: Header=BB262_16 Depth=1
	s_or_b32 exec_lo, exec_lo, s25
	v_dual_mov_b32 v68, v29 :: v_dual_lshlrev_b32 v3, 24, v3
	s_delay_alu instid0(VALU_DEP_2) | instskip(SKIP_1) | instid1(VALU_DEP_3)
	v_lshlrev_b32_e32 v8, 20, v28
	v_lshl_add_u32 v2, v2, 23, 0x3c000000
	v_and_b32_e32 v3, 0x80000000, v3
	s_delay_alu instid0(VALU_DEP_1)
	v_or3_b32 v69, v8, v3, v2
.LBB262_401:                            ;   in Loop: Header=BB262_16 Depth=1
	s_or_b32 exec_lo, exec_lo, s2
.LBB262_402:                            ;   in Loop: Header=BB262_16 Depth=1
	s_delay_alu instid0(SALU_CYCLE_1)
	s_or_b32 exec_lo, exec_lo, s24
.LBB262_403:                            ;   in Loop: Header=BB262_16 Depth=1
	s_delay_alu instid0(SALU_CYCLE_1) | instskip(SKIP_4) | instid1(VALU_DEP_1)
	s_or_b32 exec_lo, exec_lo, s23
	flat_load_b32 v2, v[124:125] offset:1536
	v_mov_b32_e32 v80, 0
	v_mov_b32_e32 v81, 0
	s_mov_b32 s2, exec_lo
	v_dual_mov_b32 v83, v81 :: v_dual_mov_b32 v82, v80
	s_waitcnt vmcnt(0) lgkmcnt(0)
	v_and_b32_e32 v3, 0xff, v2
	s_delay_alu instid0(VALU_DEP_1)
	v_cmpx_ne_u16_e32 0, v3
	s_cbranch_execz .LBB262_411
; %bb.404:                              ;   in Loop: Header=BB262_16 Depth=1
	v_bfrev_b32_e32 v82, 1
	v_mov_b32_e32 v83, 0
	s_mov_b32 s23, exec_lo
	v_cmpx_ne_u16_e32 0x80, v3
	s_cbranch_execz .LBB262_410
; %bb.405:                              ;   in Loop: Header=BB262_16 Depth=1
	v_mov_b32_e32 v82, 0x7f800001
	v_dual_mov_b32 v83, 0 :: v_dual_and_b32 v8, 0x7f, v2
	s_mov_b32 s24, exec_lo
	s_delay_alu instid0(VALU_DEP_1)
	v_cmpx_ne_u32_e32 0x7f, v8
	s_cbranch_execz .LBB262_409
; %bb.406:                              ;   in Loop: Header=BB262_16 Depth=1
	v_and_b32_e32 v28, 7, v2
	v_lshrrev_b32_e32 v3, 3, v8
	s_mov_b32 s25, exec_lo
	v_cmpx_gt_u32_e32 8, v8
; %bb.407:                              ;   in Loop: Header=BB262_16 Depth=1
	s_delay_alu instid0(VALU_DEP_3) | instskip(NEXT) | instid1(VALU_DEP_1)
	v_clz_i32_u32_e32 v3, v28
	v_min_u32_e32 v3, 32, v3
	s_delay_alu instid0(VALU_DEP_1) | instskip(SKIP_1) | instid1(VALU_DEP_2)
	v_subrev_nc_u32_e32 v8, 28, v3
	v_sub_nc_u32_e32 v3, 29, v3
	v_lshlrev_b64 v[8:9], v8, v[28:29]
	s_delay_alu instid0(VALU_DEP_1)
	v_and_b32_e32 v28, 7, v8
; %bb.408:                              ;   in Loop: Header=BB262_16 Depth=1
	s_or_b32 exec_lo, exec_lo, s25
	v_lshlrev_b32_e32 v8, 24, v2
	s_delay_alu instid0(VALU_DEP_2) | instskip(SKIP_1) | instid1(VALU_DEP_3)
	v_lshlrev_b32_e32 v9, 20, v28
	v_lshl_add_u32 v3, v3, 23, 0x3c000000
	v_and_b32_e32 v8, 0x80000000, v8
	s_delay_alu instid0(VALU_DEP_1) | instskip(NEXT) | instid1(VALU_DEP_1)
	v_or3_b32 v28, v9, v8, v3
	v_dual_mov_b32 v83, v29 :: v_dual_mov_b32 v82, v28
.LBB262_409:                            ;   in Loop: Header=BB262_16 Depth=1
	s_or_b32 exec_lo, exec_lo, s24
.LBB262_410:                            ;   in Loop: Header=BB262_16 Depth=1
	s_delay_alu instid0(SALU_CYCLE_1)
	s_or_b32 exec_lo, exec_lo, s23
.LBB262_411:                            ;   in Loop: Header=BB262_16 Depth=1
	s_delay_alu instid0(SALU_CYCLE_1) | instskip(SKIP_2) | instid1(VALU_DEP_1)
	s_or_b32 exec_lo, exec_lo, s2
	v_lshrrev_b16 v3, 8, v2
	s_mov_b32 s23, exec_lo
	v_cmpx_ne_u16_e32 0, v3
	s_cbranch_execz .LBB262_419
; %bb.412:                              ;   in Loop: Header=BB262_16 Depth=1
	v_dual_mov_b32 v81, s17 :: v_dual_mov_b32 v80, s16
	s_mov_b32 s24, exec_lo
	v_cmpx_ne_u16_e32 0x80, v3
	s_cbranch_execz .LBB262_418
; %bb.413:                              ;   in Loop: Header=BB262_16 Depth=1
	s_mov_b32 s2, s16
	v_and_b32_e32 v3, 0xffff, v3
	v_dual_mov_b32 v81, s3 :: v_dual_mov_b32 v80, s2
	s_mov_b32 s2, exec_lo
	s_delay_alu instid0(VALU_DEP_2) | instskip(NEXT) | instid1(VALU_DEP_1)
	v_and_b32_e32 v8, 0x7f, v3
	v_cmpx_ne_u32_e32 0x7f, v8
	s_cbranch_execz .LBB262_417
; %bb.414:                              ;   in Loop: Header=BB262_16 Depth=1
	v_and_b32_e32 v28, 7, v3
	v_lshrrev_b32_e32 v3, 3, v8
	s_mov_b32 s25, exec_lo
	v_cmpx_gt_u32_e32 8, v8
; %bb.415:                              ;   in Loop: Header=BB262_16 Depth=1
	s_delay_alu instid0(VALU_DEP_3) | instskip(NEXT) | instid1(VALU_DEP_1)
	v_clz_i32_u32_e32 v3, v28
	v_min_u32_e32 v3, 32, v3
	s_delay_alu instid0(VALU_DEP_1) | instskip(SKIP_1) | instid1(VALU_DEP_2)
	v_subrev_nc_u32_e32 v8, 28, v3
	v_sub_nc_u32_e32 v3, 29, v3
	v_lshlrev_b64 v[8:9], v8, v[28:29]
	s_delay_alu instid0(VALU_DEP_1)
	v_and_b32_e32 v28, 7, v8
; %bb.416:                              ;   in Loop: Header=BB262_16 Depth=1
	s_or_b32 exec_lo, exec_lo, s25
	v_lshlrev_b32_e32 v8, 16, v2
	s_delay_alu instid0(VALU_DEP_2) | instskip(SKIP_1) | instid1(VALU_DEP_3)
	v_dual_mov_b32 v80, v29 :: v_dual_lshlrev_b32 v9, 20, v28
	v_lshl_add_u32 v3, v3, 23, 0x3c000000
	v_and_b32_e32 v8, 0x80000000, v8
	s_delay_alu instid0(VALU_DEP_1)
	v_or3_b32 v81, v9, v8, v3
.LBB262_417:                            ;   in Loop: Header=BB262_16 Depth=1
	s_or_b32 exec_lo, exec_lo, s2
.LBB262_418:                            ;   in Loop: Header=BB262_16 Depth=1
	s_delay_alu instid0(SALU_CYCLE_1)
	s_or_b32 exec_lo, exec_lo, s24
.LBB262_419:                            ;   in Loop: Header=BB262_16 Depth=1
	s_delay_alu instid0(SALU_CYCLE_1) | instskip(SKIP_4) | instid1(VALU_DEP_1)
	s_or_b32 exec_lo, exec_lo, s23
	v_mov_b32_e32 v84, 0
	v_lshrrev_b32_e32 v3, 16, v2
	v_mov_b32_e32 v85, 0
	s_mov_b32 s2, exec_lo
	v_dual_mov_b32 v87, v85 :: v_dual_and_b32 v8, 0xff, v3
	v_mov_b32_e32 v86, v84
	s_delay_alu instid0(VALU_DEP_2)
	v_cmpx_ne_u16_e32 0, v8
	s_cbranch_execz .LBB262_427
; %bb.420:                              ;   in Loop: Header=BB262_16 Depth=1
	v_bfrev_b32_e32 v86, 1
	v_mov_b32_e32 v87, 0
	s_mov_b32 s23, exec_lo
	v_cmpx_ne_u16_e32 0x80, v8
	s_cbranch_execz .LBB262_426
; %bb.421:                              ;   in Loop: Header=BB262_16 Depth=1
	v_mov_b32_e32 v86, 0x7f800001
	v_bfe_u32 v9, v2, 16, 7
	v_mov_b32_e32 v87, 0
	s_mov_b32 s24, exec_lo
	s_delay_alu instid0(VALU_DEP_2)
	v_cmpx_ne_u32_e32 0x7f, v9
	s_cbranch_execz .LBB262_425
; %bb.422:                              ;   in Loop: Header=BB262_16 Depth=1
	v_and_b32_e32 v28, 7, v3
	v_lshrrev_b32_e32 v8, 3, v9
	s_mov_b32 s25, exec_lo
	v_cmpx_gt_u32_e32 8, v9
; %bb.423:                              ;   in Loop: Header=BB262_16 Depth=1
	s_delay_alu instid0(VALU_DEP_3) | instskip(NEXT) | instid1(VALU_DEP_1)
	v_clz_i32_u32_e32 v8, v28
	v_min_u32_e32 v8, 32, v8
	s_delay_alu instid0(VALU_DEP_1) | instskip(SKIP_1) | instid1(VALU_DEP_2)
	v_subrev_nc_u32_e32 v9, 28, v8
	v_sub_nc_u32_e32 v8, 29, v8
	v_lshlrev_b64 v[18:19], v9, v[28:29]
	s_delay_alu instid0(VALU_DEP_1)
	v_and_b32_e32 v28, 7, v18
; %bb.424:                              ;   in Loop: Header=BB262_16 Depth=1
	s_or_b32 exec_lo, exec_lo, s25
	v_lshlrev_b32_e32 v3, 24, v3
	s_delay_alu instid0(VALU_DEP_2) | instskip(SKIP_1) | instid1(VALU_DEP_3)
	v_lshlrev_b32_e32 v9, 20, v28
	v_lshl_add_u32 v8, v8, 23, 0x3c000000
	v_and_b32_e32 v3, 0x80000000, v3
	s_delay_alu instid0(VALU_DEP_1) | instskip(NEXT) | instid1(VALU_DEP_1)
	v_or3_b32 v28, v9, v3, v8
	v_dual_mov_b32 v87, v29 :: v_dual_mov_b32 v86, v28
.LBB262_425:                            ;   in Loop: Header=BB262_16 Depth=1
	s_or_b32 exec_lo, exec_lo, s24
.LBB262_426:                            ;   in Loop: Header=BB262_16 Depth=1
	s_delay_alu instid0(SALU_CYCLE_1)
	s_or_b32 exec_lo, exec_lo, s23
.LBB262_427:                            ;   in Loop: Header=BB262_16 Depth=1
	s_delay_alu instid0(SALU_CYCLE_1) | instskip(NEXT) | instid1(SALU_CYCLE_1)
	s_or_b32 exec_lo, exec_lo, s2
	s_mov_b32 s23, exec_lo
	v_cmpx_lt_u32_e32 0xffffff, v2
	s_cbranch_execz .LBB262_435
; %bb.428:                              ;   in Loop: Header=BB262_16 Depth=1
	v_lshrrev_b32_e32 v3, 24, v2
	v_dual_mov_b32 v85, s17 :: v_dual_mov_b32 v84, s16
	s_mov_b32 s24, exec_lo
	s_delay_alu instid0(VALU_DEP_2)
	v_cmpx_ne_u32_e32 0x80, v3
	s_cbranch_execz .LBB262_434
; %bb.429:                              ;   in Loop: Header=BB262_16 Depth=1
	s_mov_b32 s2, s16
	v_bfe_u32 v8, v2, 24, 7
	v_dual_mov_b32 v85, s3 :: v_dual_mov_b32 v84, s2
	s_mov_b32 s2, exec_lo
	s_delay_alu instid0(VALU_DEP_2)
	v_cmpx_ne_u32_e32 0x7f, v8
	s_cbranch_execz .LBB262_433
; %bb.430:                              ;   in Loop: Header=BB262_16 Depth=1
	v_and_b32_e32 v28, 7, v3
	v_lshrrev_b32_e32 v2, 3, v8
	s_mov_b32 s25, exec_lo
	v_cmpx_gt_u32_e32 8, v8
; %bb.431:                              ;   in Loop: Header=BB262_16 Depth=1
	s_delay_alu instid0(VALU_DEP_3) | instskip(NEXT) | instid1(VALU_DEP_1)
	v_clz_i32_u32_e32 v2, v28
	v_min_u32_e32 v2, 32, v2
	s_delay_alu instid0(VALU_DEP_1) | instskip(SKIP_1) | instid1(VALU_DEP_2)
	v_subrev_nc_u32_e32 v8, 28, v2
	v_sub_nc_u32_e32 v2, 29, v2
	v_lshlrev_b64 v[8:9], v8, v[28:29]
	s_delay_alu instid0(VALU_DEP_1)
	v_and_b32_e32 v28, 7, v8
; %bb.432:                              ;   in Loop: Header=BB262_16 Depth=1
	s_or_b32 exec_lo, exec_lo, s25
	v_dual_mov_b32 v84, v29 :: v_dual_lshlrev_b32 v3, 24, v3
	s_delay_alu instid0(VALU_DEP_2) | instskip(SKIP_1) | instid1(VALU_DEP_3)
	v_lshlrev_b32_e32 v8, 20, v28
	v_lshl_add_u32 v2, v2, 23, 0x3c000000
	v_and_b32_e32 v3, 0x80000000, v3
	s_delay_alu instid0(VALU_DEP_1)
	v_or3_b32 v85, v8, v3, v2
.LBB262_433:                            ;   in Loop: Header=BB262_16 Depth=1
	s_or_b32 exec_lo, exec_lo, s2
.LBB262_434:                            ;   in Loop: Header=BB262_16 Depth=1
	s_delay_alu instid0(SALU_CYCLE_1)
	s_or_b32 exec_lo, exec_lo, s24
.LBB262_435:                            ;   in Loop: Header=BB262_16 Depth=1
	s_delay_alu instid0(SALU_CYCLE_1) | instskip(SKIP_4) | instid1(VALU_DEP_1)
	s_or_b32 exec_lo, exec_lo, s23
	flat_load_b32 v2, v[124:125] offset:1540
	v_mov_b32_e32 v96, 0
	v_mov_b32_e32 v97, 0
	s_mov_b32 s2, exec_lo
	v_dual_mov_b32 v99, v97 :: v_dual_mov_b32 v98, v96
	s_waitcnt vmcnt(0) lgkmcnt(0)
	v_and_b32_e32 v3, 0xff, v2
	s_delay_alu instid0(VALU_DEP_1)
	v_cmpx_ne_u16_e32 0, v3
	s_cbranch_execz .LBB262_443
; %bb.436:                              ;   in Loop: Header=BB262_16 Depth=1
	v_bfrev_b32_e32 v98, 1
	v_mov_b32_e32 v99, 0
	s_mov_b32 s23, exec_lo
	v_cmpx_ne_u16_e32 0x80, v3
	s_cbranch_execz .LBB262_442
; %bb.437:                              ;   in Loop: Header=BB262_16 Depth=1
	v_mov_b32_e32 v98, 0x7f800001
	v_dual_mov_b32 v99, 0 :: v_dual_and_b32 v8, 0x7f, v2
	s_mov_b32 s24, exec_lo
	s_delay_alu instid0(VALU_DEP_1)
	v_cmpx_ne_u32_e32 0x7f, v8
	s_cbranch_execz .LBB262_441
; %bb.438:                              ;   in Loop: Header=BB262_16 Depth=1
	v_and_b32_e32 v28, 7, v2
	v_lshrrev_b32_e32 v3, 3, v8
	s_mov_b32 s25, exec_lo
	v_cmpx_gt_u32_e32 8, v8
; %bb.439:                              ;   in Loop: Header=BB262_16 Depth=1
	s_delay_alu instid0(VALU_DEP_3) | instskip(NEXT) | instid1(VALU_DEP_1)
	v_clz_i32_u32_e32 v3, v28
	v_min_u32_e32 v3, 32, v3
	s_delay_alu instid0(VALU_DEP_1) | instskip(SKIP_1) | instid1(VALU_DEP_2)
	v_subrev_nc_u32_e32 v8, 28, v3
	v_sub_nc_u32_e32 v3, 29, v3
	v_lshlrev_b64 v[8:9], v8, v[28:29]
	s_delay_alu instid0(VALU_DEP_1)
	v_and_b32_e32 v28, 7, v8
; %bb.440:                              ;   in Loop: Header=BB262_16 Depth=1
	s_or_b32 exec_lo, exec_lo, s25
	v_lshlrev_b32_e32 v8, 24, v2
	s_delay_alu instid0(VALU_DEP_2) | instskip(SKIP_1) | instid1(VALU_DEP_3)
	v_lshlrev_b32_e32 v9, 20, v28
	v_lshl_add_u32 v3, v3, 23, 0x3c000000
	v_and_b32_e32 v8, 0x80000000, v8
	s_delay_alu instid0(VALU_DEP_1) | instskip(NEXT) | instid1(VALU_DEP_1)
	v_or3_b32 v28, v9, v8, v3
	v_dual_mov_b32 v99, v29 :: v_dual_mov_b32 v98, v28
.LBB262_441:                            ;   in Loop: Header=BB262_16 Depth=1
	s_or_b32 exec_lo, exec_lo, s24
.LBB262_442:                            ;   in Loop: Header=BB262_16 Depth=1
	s_delay_alu instid0(SALU_CYCLE_1)
	s_or_b32 exec_lo, exec_lo, s23
.LBB262_443:                            ;   in Loop: Header=BB262_16 Depth=1
	s_delay_alu instid0(SALU_CYCLE_1) | instskip(SKIP_2) | instid1(VALU_DEP_1)
	s_or_b32 exec_lo, exec_lo, s2
	v_lshrrev_b16 v3, 8, v2
	s_mov_b32 s23, exec_lo
	v_cmpx_ne_u16_e32 0, v3
	s_cbranch_execz .LBB262_451
; %bb.444:                              ;   in Loop: Header=BB262_16 Depth=1
	v_dual_mov_b32 v97, s17 :: v_dual_mov_b32 v96, s16
	s_mov_b32 s24, exec_lo
	v_cmpx_ne_u16_e32 0x80, v3
	s_cbranch_execz .LBB262_450
; %bb.445:                              ;   in Loop: Header=BB262_16 Depth=1
	s_mov_b32 s2, s16
	v_and_b32_e32 v3, 0xffff, v3
	v_dual_mov_b32 v97, s3 :: v_dual_mov_b32 v96, s2
	s_mov_b32 s2, exec_lo
	s_delay_alu instid0(VALU_DEP_2) | instskip(NEXT) | instid1(VALU_DEP_1)
	v_and_b32_e32 v8, 0x7f, v3
	v_cmpx_ne_u32_e32 0x7f, v8
	s_cbranch_execz .LBB262_449
; %bb.446:                              ;   in Loop: Header=BB262_16 Depth=1
	v_and_b32_e32 v28, 7, v3
	v_lshrrev_b32_e32 v3, 3, v8
	s_mov_b32 s25, exec_lo
	v_cmpx_gt_u32_e32 8, v8
; %bb.447:                              ;   in Loop: Header=BB262_16 Depth=1
	s_delay_alu instid0(VALU_DEP_3) | instskip(NEXT) | instid1(VALU_DEP_1)
	v_clz_i32_u32_e32 v3, v28
	v_min_u32_e32 v3, 32, v3
	s_delay_alu instid0(VALU_DEP_1) | instskip(SKIP_1) | instid1(VALU_DEP_2)
	v_subrev_nc_u32_e32 v8, 28, v3
	v_sub_nc_u32_e32 v3, 29, v3
	v_lshlrev_b64 v[8:9], v8, v[28:29]
	s_delay_alu instid0(VALU_DEP_1)
	v_and_b32_e32 v28, 7, v8
; %bb.448:                              ;   in Loop: Header=BB262_16 Depth=1
	s_or_b32 exec_lo, exec_lo, s25
	v_lshlrev_b32_e32 v8, 16, v2
	s_delay_alu instid0(VALU_DEP_2) | instskip(SKIP_1) | instid1(VALU_DEP_3)
	v_dual_mov_b32 v96, v29 :: v_dual_lshlrev_b32 v9, 20, v28
	v_lshl_add_u32 v3, v3, 23, 0x3c000000
	v_and_b32_e32 v8, 0x80000000, v8
	s_delay_alu instid0(VALU_DEP_1)
	v_or3_b32 v97, v9, v8, v3
.LBB262_449:                            ;   in Loop: Header=BB262_16 Depth=1
	s_or_b32 exec_lo, exec_lo, s2
.LBB262_450:                            ;   in Loop: Header=BB262_16 Depth=1
	s_delay_alu instid0(SALU_CYCLE_1)
	s_or_b32 exec_lo, exec_lo, s24
.LBB262_451:                            ;   in Loop: Header=BB262_16 Depth=1
	s_delay_alu instid0(SALU_CYCLE_1) | instskip(SKIP_4) | instid1(VALU_DEP_1)
	s_or_b32 exec_lo, exec_lo, s23
	v_mov_b32_e32 v100, 0
	v_lshrrev_b32_e32 v3, 16, v2
	v_mov_b32_e32 v101, 0
	s_mov_b32 s2, exec_lo
	v_dual_mov_b32 v103, v101 :: v_dual_and_b32 v8, 0xff, v3
	v_mov_b32_e32 v102, v100
	s_delay_alu instid0(VALU_DEP_2)
	v_cmpx_ne_u16_e32 0, v8
	s_cbranch_execz .LBB262_459
; %bb.452:                              ;   in Loop: Header=BB262_16 Depth=1
	v_bfrev_b32_e32 v102, 1
	v_mov_b32_e32 v103, 0
	s_mov_b32 s23, exec_lo
	v_cmpx_ne_u16_e32 0x80, v8
	s_cbranch_execz .LBB262_458
; %bb.453:                              ;   in Loop: Header=BB262_16 Depth=1
	v_mov_b32_e32 v102, 0x7f800001
	v_bfe_u32 v9, v2, 16, 7
	v_mov_b32_e32 v103, 0
	s_mov_b32 s24, exec_lo
	s_delay_alu instid0(VALU_DEP_2)
	v_cmpx_ne_u32_e32 0x7f, v9
	s_cbranch_execz .LBB262_457
; %bb.454:                              ;   in Loop: Header=BB262_16 Depth=1
	v_and_b32_e32 v28, 7, v3
	v_lshrrev_b32_e32 v8, 3, v9
	s_mov_b32 s25, exec_lo
	v_cmpx_gt_u32_e32 8, v9
; %bb.455:                              ;   in Loop: Header=BB262_16 Depth=1
	s_delay_alu instid0(VALU_DEP_3) | instskip(NEXT) | instid1(VALU_DEP_1)
	v_clz_i32_u32_e32 v8, v28
	v_min_u32_e32 v8, 32, v8
	s_delay_alu instid0(VALU_DEP_1) | instskip(SKIP_1) | instid1(VALU_DEP_2)
	v_subrev_nc_u32_e32 v9, 28, v8
	v_sub_nc_u32_e32 v8, 29, v8
	v_lshlrev_b64 v[18:19], v9, v[28:29]
	s_delay_alu instid0(VALU_DEP_1)
	v_and_b32_e32 v28, 7, v18
; %bb.456:                              ;   in Loop: Header=BB262_16 Depth=1
	s_or_b32 exec_lo, exec_lo, s25
	v_lshlrev_b32_e32 v3, 24, v3
	s_delay_alu instid0(VALU_DEP_2) | instskip(SKIP_1) | instid1(VALU_DEP_3)
	v_lshlrev_b32_e32 v9, 20, v28
	v_lshl_add_u32 v8, v8, 23, 0x3c000000
	v_and_b32_e32 v3, 0x80000000, v3
	s_delay_alu instid0(VALU_DEP_1) | instskip(NEXT) | instid1(VALU_DEP_1)
	v_or3_b32 v28, v9, v3, v8
	v_dual_mov_b32 v103, v29 :: v_dual_mov_b32 v102, v28
.LBB262_457:                            ;   in Loop: Header=BB262_16 Depth=1
	s_or_b32 exec_lo, exec_lo, s24
.LBB262_458:                            ;   in Loop: Header=BB262_16 Depth=1
	s_delay_alu instid0(SALU_CYCLE_1)
	s_or_b32 exec_lo, exec_lo, s23
.LBB262_459:                            ;   in Loop: Header=BB262_16 Depth=1
	s_delay_alu instid0(SALU_CYCLE_1) | instskip(NEXT) | instid1(SALU_CYCLE_1)
	s_or_b32 exec_lo, exec_lo, s2
	s_mov_b32 s23, exec_lo
	v_cmpx_lt_u32_e32 0xffffff, v2
	s_cbranch_execz .LBB262_467
; %bb.460:                              ;   in Loop: Header=BB262_16 Depth=1
	v_lshrrev_b32_e32 v3, 24, v2
	v_dual_mov_b32 v101, s17 :: v_dual_mov_b32 v100, s16
	s_mov_b32 s24, exec_lo
	s_delay_alu instid0(VALU_DEP_2)
	v_cmpx_ne_u32_e32 0x80, v3
	s_cbranch_execz .LBB262_466
; %bb.461:                              ;   in Loop: Header=BB262_16 Depth=1
	s_mov_b32 s2, s16
	v_bfe_u32 v8, v2, 24, 7
	v_dual_mov_b32 v101, s3 :: v_dual_mov_b32 v100, s2
	s_mov_b32 s2, exec_lo
	s_delay_alu instid0(VALU_DEP_2)
	v_cmpx_ne_u32_e32 0x7f, v8
	s_cbranch_execz .LBB262_465
; %bb.462:                              ;   in Loop: Header=BB262_16 Depth=1
	v_and_b32_e32 v28, 7, v3
	v_lshrrev_b32_e32 v2, 3, v8
	s_mov_b32 s25, exec_lo
	v_cmpx_gt_u32_e32 8, v8
; %bb.463:                              ;   in Loop: Header=BB262_16 Depth=1
	s_delay_alu instid0(VALU_DEP_3) | instskip(NEXT) | instid1(VALU_DEP_1)
	v_clz_i32_u32_e32 v2, v28
	v_min_u32_e32 v2, 32, v2
	s_delay_alu instid0(VALU_DEP_1) | instskip(SKIP_1) | instid1(VALU_DEP_2)
	v_subrev_nc_u32_e32 v8, 28, v2
	v_sub_nc_u32_e32 v2, 29, v2
	v_lshlrev_b64 v[8:9], v8, v[28:29]
	s_delay_alu instid0(VALU_DEP_1)
	v_and_b32_e32 v28, 7, v8
; %bb.464:                              ;   in Loop: Header=BB262_16 Depth=1
	s_or_b32 exec_lo, exec_lo, s25
	v_dual_mov_b32 v100, v29 :: v_dual_lshlrev_b32 v3, 24, v3
	s_delay_alu instid0(VALU_DEP_2) | instskip(SKIP_1) | instid1(VALU_DEP_3)
	v_lshlrev_b32_e32 v8, 20, v28
	v_lshl_add_u32 v2, v2, 23, 0x3c000000
	v_and_b32_e32 v3, 0x80000000, v3
	s_delay_alu instid0(VALU_DEP_1)
	v_or3_b32 v101, v8, v3, v2
.LBB262_465:                            ;   in Loop: Header=BB262_16 Depth=1
	s_or_b32 exec_lo, exec_lo, s2
.LBB262_466:                            ;   in Loop: Header=BB262_16 Depth=1
	s_delay_alu instid0(SALU_CYCLE_1)
	s_or_b32 exec_lo, exec_lo, s24
.LBB262_467:                            ;   in Loop: Header=BB262_16 Depth=1
	s_delay_alu instid0(SALU_CYCLE_1) | instskip(SKIP_4) | instid1(VALU_DEP_1)
	s_or_b32 exec_lo, exec_lo, s23
	flat_load_b32 v2, v[124:125] offset:1544
	v_mov_b32_e32 v112, 0
	v_mov_b32_e32 v113, 0
	s_mov_b32 s2, exec_lo
	v_dual_mov_b32 v115, v113 :: v_dual_mov_b32 v114, v112
	s_waitcnt vmcnt(0) lgkmcnt(0)
	v_and_b32_e32 v3, 0xff, v2
	s_delay_alu instid0(VALU_DEP_1)
	v_cmpx_ne_u16_e32 0, v3
	s_cbranch_execz .LBB262_475
; %bb.468:                              ;   in Loop: Header=BB262_16 Depth=1
	v_bfrev_b32_e32 v114, 1
	v_mov_b32_e32 v115, 0
	s_mov_b32 s23, exec_lo
	v_cmpx_ne_u16_e32 0x80, v3
	s_cbranch_execz .LBB262_474
; %bb.469:                              ;   in Loop: Header=BB262_16 Depth=1
	v_mov_b32_e32 v114, 0x7f800001
	v_dual_mov_b32 v115, 0 :: v_dual_and_b32 v8, 0x7f, v2
	s_mov_b32 s24, exec_lo
	s_delay_alu instid0(VALU_DEP_1)
	v_cmpx_ne_u32_e32 0x7f, v8
	s_cbranch_execz .LBB262_473
; %bb.470:                              ;   in Loop: Header=BB262_16 Depth=1
	v_and_b32_e32 v28, 7, v2
	v_lshrrev_b32_e32 v3, 3, v8
	s_mov_b32 s25, exec_lo
	v_cmpx_gt_u32_e32 8, v8
; %bb.471:                              ;   in Loop: Header=BB262_16 Depth=1
	s_delay_alu instid0(VALU_DEP_3) | instskip(NEXT) | instid1(VALU_DEP_1)
	v_clz_i32_u32_e32 v3, v28
	v_min_u32_e32 v3, 32, v3
	s_delay_alu instid0(VALU_DEP_1) | instskip(SKIP_1) | instid1(VALU_DEP_2)
	v_subrev_nc_u32_e32 v8, 28, v3
	v_sub_nc_u32_e32 v3, 29, v3
	v_lshlrev_b64 v[8:9], v8, v[28:29]
	s_delay_alu instid0(VALU_DEP_1)
	v_and_b32_e32 v28, 7, v8
; %bb.472:                              ;   in Loop: Header=BB262_16 Depth=1
	s_or_b32 exec_lo, exec_lo, s25
	v_lshlrev_b32_e32 v8, 24, v2
	s_delay_alu instid0(VALU_DEP_2) | instskip(SKIP_1) | instid1(VALU_DEP_3)
	v_lshlrev_b32_e32 v9, 20, v28
	v_lshl_add_u32 v3, v3, 23, 0x3c000000
	v_and_b32_e32 v8, 0x80000000, v8
	s_delay_alu instid0(VALU_DEP_1) | instskip(NEXT) | instid1(VALU_DEP_1)
	v_or3_b32 v28, v9, v8, v3
	v_dual_mov_b32 v115, v29 :: v_dual_mov_b32 v114, v28
.LBB262_473:                            ;   in Loop: Header=BB262_16 Depth=1
	s_or_b32 exec_lo, exec_lo, s24
.LBB262_474:                            ;   in Loop: Header=BB262_16 Depth=1
	s_delay_alu instid0(SALU_CYCLE_1)
	s_or_b32 exec_lo, exec_lo, s23
.LBB262_475:                            ;   in Loop: Header=BB262_16 Depth=1
	s_delay_alu instid0(SALU_CYCLE_1) | instskip(SKIP_2) | instid1(VALU_DEP_1)
	s_or_b32 exec_lo, exec_lo, s2
	v_lshrrev_b16 v3, 8, v2
	s_mov_b32 s23, exec_lo
	v_cmpx_ne_u16_e32 0, v3
	s_cbranch_execz .LBB262_483
; %bb.476:                              ;   in Loop: Header=BB262_16 Depth=1
	v_dual_mov_b32 v113, s17 :: v_dual_mov_b32 v112, s16
	s_mov_b32 s24, exec_lo
	v_cmpx_ne_u16_e32 0x80, v3
	s_cbranch_execz .LBB262_482
; %bb.477:                              ;   in Loop: Header=BB262_16 Depth=1
	s_mov_b32 s2, s16
	v_and_b32_e32 v3, 0xffff, v3
	v_dual_mov_b32 v113, s3 :: v_dual_mov_b32 v112, s2
	s_mov_b32 s2, exec_lo
	s_delay_alu instid0(VALU_DEP_2) | instskip(NEXT) | instid1(VALU_DEP_1)
	v_and_b32_e32 v8, 0x7f, v3
	v_cmpx_ne_u32_e32 0x7f, v8
	s_cbranch_execz .LBB262_481
; %bb.478:                              ;   in Loop: Header=BB262_16 Depth=1
	v_and_b32_e32 v28, 7, v3
	v_lshrrev_b32_e32 v3, 3, v8
	s_mov_b32 s25, exec_lo
	v_cmpx_gt_u32_e32 8, v8
; %bb.479:                              ;   in Loop: Header=BB262_16 Depth=1
	s_delay_alu instid0(VALU_DEP_3) | instskip(NEXT) | instid1(VALU_DEP_1)
	v_clz_i32_u32_e32 v3, v28
	v_min_u32_e32 v3, 32, v3
	s_delay_alu instid0(VALU_DEP_1) | instskip(SKIP_1) | instid1(VALU_DEP_2)
	v_subrev_nc_u32_e32 v8, 28, v3
	v_sub_nc_u32_e32 v3, 29, v3
	v_lshlrev_b64 v[8:9], v8, v[28:29]
	s_delay_alu instid0(VALU_DEP_1)
	v_and_b32_e32 v28, 7, v8
; %bb.480:                              ;   in Loop: Header=BB262_16 Depth=1
	s_or_b32 exec_lo, exec_lo, s25
	v_lshlrev_b32_e32 v8, 16, v2
	s_delay_alu instid0(VALU_DEP_2) | instskip(SKIP_1) | instid1(VALU_DEP_3)
	v_dual_mov_b32 v112, v29 :: v_dual_lshlrev_b32 v9, 20, v28
	v_lshl_add_u32 v3, v3, 23, 0x3c000000
	v_and_b32_e32 v8, 0x80000000, v8
	s_delay_alu instid0(VALU_DEP_1)
	v_or3_b32 v113, v9, v8, v3
.LBB262_481:                            ;   in Loop: Header=BB262_16 Depth=1
	s_or_b32 exec_lo, exec_lo, s2
.LBB262_482:                            ;   in Loop: Header=BB262_16 Depth=1
	s_delay_alu instid0(SALU_CYCLE_1)
	s_or_b32 exec_lo, exec_lo, s24
.LBB262_483:                            ;   in Loop: Header=BB262_16 Depth=1
	s_delay_alu instid0(SALU_CYCLE_1) | instskip(SKIP_4) | instid1(VALU_DEP_1)
	s_or_b32 exec_lo, exec_lo, s23
	v_mov_b32_e32 v116, 0
	v_lshrrev_b32_e32 v3, 16, v2
	v_mov_b32_e32 v117, 0
	s_mov_b32 s2, exec_lo
	v_dual_mov_b32 v119, v117 :: v_dual_and_b32 v8, 0xff, v3
	v_mov_b32_e32 v118, v116
	s_delay_alu instid0(VALU_DEP_2)
	v_cmpx_ne_u16_e32 0, v8
	s_cbranch_execz .LBB262_491
; %bb.484:                              ;   in Loop: Header=BB262_16 Depth=1
	v_bfrev_b32_e32 v118, 1
	v_mov_b32_e32 v119, 0
	s_mov_b32 s23, exec_lo
	v_cmpx_ne_u16_e32 0x80, v8
	s_cbranch_execz .LBB262_490
; %bb.485:                              ;   in Loop: Header=BB262_16 Depth=1
	v_mov_b32_e32 v118, 0x7f800001
	v_bfe_u32 v9, v2, 16, 7
	v_mov_b32_e32 v119, 0
	s_mov_b32 s24, exec_lo
	s_delay_alu instid0(VALU_DEP_2)
	v_cmpx_ne_u32_e32 0x7f, v9
	s_cbranch_execz .LBB262_489
; %bb.486:                              ;   in Loop: Header=BB262_16 Depth=1
	v_and_b32_e32 v28, 7, v3
	v_lshrrev_b32_e32 v8, 3, v9
	s_mov_b32 s25, exec_lo
	v_cmpx_gt_u32_e32 8, v9
; %bb.487:                              ;   in Loop: Header=BB262_16 Depth=1
	s_delay_alu instid0(VALU_DEP_3) | instskip(NEXT) | instid1(VALU_DEP_1)
	v_clz_i32_u32_e32 v8, v28
	v_min_u32_e32 v8, 32, v8
	s_delay_alu instid0(VALU_DEP_1) | instskip(SKIP_1) | instid1(VALU_DEP_2)
	v_subrev_nc_u32_e32 v9, 28, v8
	v_sub_nc_u32_e32 v8, 29, v8
	v_lshlrev_b64 v[18:19], v9, v[28:29]
	s_delay_alu instid0(VALU_DEP_1)
	v_and_b32_e32 v28, 7, v18
; %bb.488:                              ;   in Loop: Header=BB262_16 Depth=1
	s_or_b32 exec_lo, exec_lo, s25
	v_lshlrev_b32_e32 v3, 24, v3
	s_delay_alu instid0(VALU_DEP_2) | instskip(SKIP_1) | instid1(VALU_DEP_3)
	v_lshlrev_b32_e32 v9, 20, v28
	v_lshl_add_u32 v8, v8, 23, 0x3c000000
	v_and_b32_e32 v3, 0x80000000, v3
	s_delay_alu instid0(VALU_DEP_1) | instskip(NEXT) | instid1(VALU_DEP_1)
	v_or3_b32 v28, v9, v3, v8
	v_dual_mov_b32 v119, v29 :: v_dual_mov_b32 v118, v28
.LBB262_489:                            ;   in Loop: Header=BB262_16 Depth=1
	s_or_b32 exec_lo, exec_lo, s24
.LBB262_490:                            ;   in Loop: Header=BB262_16 Depth=1
	s_delay_alu instid0(SALU_CYCLE_1)
	s_or_b32 exec_lo, exec_lo, s23
.LBB262_491:                            ;   in Loop: Header=BB262_16 Depth=1
	s_delay_alu instid0(SALU_CYCLE_1) | instskip(NEXT) | instid1(SALU_CYCLE_1)
	s_or_b32 exec_lo, exec_lo, s2
	s_mov_b32 s23, exec_lo
	v_cmpx_lt_u32_e32 0xffffff, v2
	s_cbranch_execz .LBB262_499
; %bb.492:                              ;   in Loop: Header=BB262_16 Depth=1
	v_lshrrev_b32_e32 v3, 24, v2
	v_dual_mov_b32 v117, s17 :: v_dual_mov_b32 v116, s16
	s_mov_b32 s24, exec_lo
	s_delay_alu instid0(VALU_DEP_2)
	v_cmpx_ne_u32_e32 0x80, v3
	s_cbranch_execz .LBB262_498
; %bb.493:                              ;   in Loop: Header=BB262_16 Depth=1
	s_mov_b32 s2, s16
	v_bfe_u32 v8, v2, 24, 7
	v_dual_mov_b32 v117, s3 :: v_dual_mov_b32 v116, s2
	s_mov_b32 s2, exec_lo
	s_delay_alu instid0(VALU_DEP_2)
	v_cmpx_ne_u32_e32 0x7f, v8
	s_cbranch_execz .LBB262_497
; %bb.494:                              ;   in Loop: Header=BB262_16 Depth=1
	v_and_b32_e32 v28, 7, v3
	v_lshrrev_b32_e32 v2, 3, v8
	s_mov_b32 s25, exec_lo
	v_cmpx_gt_u32_e32 8, v8
; %bb.495:                              ;   in Loop: Header=BB262_16 Depth=1
	s_delay_alu instid0(VALU_DEP_3) | instskip(NEXT) | instid1(VALU_DEP_1)
	v_clz_i32_u32_e32 v2, v28
	v_min_u32_e32 v2, 32, v2
	s_delay_alu instid0(VALU_DEP_1) | instskip(SKIP_1) | instid1(VALU_DEP_2)
	v_subrev_nc_u32_e32 v8, 28, v2
	v_sub_nc_u32_e32 v2, 29, v2
	v_lshlrev_b64 v[8:9], v8, v[28:29]
	s_delay_alu instid0(VALU_DEP_1)
	v_and_b32_e32 v28, 7, v8
; %bb.496:                              ;   in Loop: Header=BB262_16 Depth=1
	s_or_b32 exec_lo, exec_lo, s25
	v_dual_mov_b32 v116, v29 :: v_dual_lshlrev_b32 v3, 24, v3
	s_delay_alu instid0(VALU_DEP_2) | instskip(SKIP_1) | instid1(VALU_DEP_3)
	v_lshlrev_b32_e32 v8, 20, v28
	v_lshl_add_u32 v2, v2, 23, 0x3c000000
	v_and_b32_e32 v3, 0x80000000, v3
	s_delay_alu instid0(VALU_DEP_1)
	v_or3_b32 v117, v8, v3, v2
.LBB262_497:                            ;   in Loop: Header=BB262_16 Depth=1
	s_or_b32 exec_lo, exec_lo, s2
.LBB262_498:                            ;   in Loop: Header=BB262_16 Depth=1
	s_delay_alu instid0(SALU_CYCLE_1)
	s_or_b32 exec_lo, exec_lo, s24
.LBB262_499:                            ;   in Loop: Header=BB262_16 Depth=1
	s_delay_alu instid0(SALU_CYCLE_1) | instskip(SKIP_4) | instid1(VALU_DEP_1)
	s_or_b32 exec_lo, exec_lo, s23
	flat_load_b32 v2, v[124:125] offset:1548
	v_mov_b32_e32 v128, 0
	v_mov_b32_e32 v129, 0
	s_mov_b32 s2, exec_lo
	v_dual_mov_b32 v131, v129 :: v_dual_mov_b32 v130, v128
	s_waitcnt vmcnt(0) lgkmcnt(0)
	v_and_b32_e32 v3, 0xff, v2
	s_delay_alu instid0(VALU_DEP_1)
	v_cmpx_ne_u16_e32 0, v3
	s_cbranch_execz .LBB262_507
; %bb.500:                              ;   in Loop: Header=BB262_16 Depth=1
	v_bfrev_b32_e32 v130, 1
	v_mov_b32_e32 v131, 0
	s_mov_b32 s23, exec_lo
	v_cmpx_ne_u16_e32 0x80, v3
	s_cbranch_execz .LBB262_506
; %bb.501:                              ;   in Loop: Header=BB262_16 Depth=1
	v_mov_b32_e32 v130, 0x7f800001
	v_dual_mov_b32 v131, 0 :: v_dual_and_b32 v8, 0x7f, v2
	s_mov_b32 s24, exec_lo
	s_delay_alu instid0(VALU_DEP_1)
	v_cmpx_ne_u32_e32 0x7f, v8
	s_cbranch_execz .LBB262_505
; %bb.502:                              ;   in Loop: Header=BB262_16 Depth=1
	v_and_b32_e32 v28, 7, v2
	v_lshrrev_b32_e32 v3, 3, v8
	s_mov_b32 s25, exec_lo
	v_cmpx_gt_u32_e32 8, v8
; %bb.503:                              ;   in Loop: Header=BB262_16 Depth=1
	s_delay_alu instid0(VALU_DEP_3) | instskip(NEXT) | instid1(VALU_DEP_1)
	v_clz_i32_u32_e32 v3, v28
	v_min_u32_e32 v3, 32, v3
	s_delay_alu instid0(VALU_DEP_1) | instskip(SKIP_1) | instid1(VALU_DEP_2)
	v_subrev_nc_u32_e32 v8, 28, v3
	v_sub_nc_u32_e32 v3, 29, v3
	v_lshlrev_b64 v[8:9], v8, v[28:29]
	s_delay_alu instid0(VALU_DEP_1)
	v_and_b32_e32 v28, 7, v8
; %bb.504:                              ;   in Loop: Header=BB262_16 Depth=1
	s_or_b32 exec_lo, exec_lo, s25
	v_lshlrev_b32_e32 v8, 24, v2
	s_delay_alu instid0(VALU_DEP_2) | instskip(SKIP_1) | instid1(VALU_DEP_3)
	v_lshlrev_b32_e32 v9, 20, v28
	v_lshl_add_u32 v3, v3, 23, 0x3c000000
	v_and_b32_e32 v8, 0x80000000, v8
	s_delay_alu instid0(VALU_DEP_1) | instskip(NEXT) | instid1(VALU_DEP_1)
	v_or3_b32 v28, v9, v8, v3
	v_dual_mov_b32 v131, v29 :: v_dual_mov_b32 v130, v28
.LBB262_505:                            ;   in Loop: Header=BB262_16 Depth=1
	s_or_b32 exec_lo, exec_lo, s24
.LBB262_506:                            ;   in Loop: Header=BB262_16 Depth=1
	s_delay_alu instid0(SALU_CYCLE_1)
	s_or_b32 exec_lo, exec_lo, s23
.LBB262_507:                            ;   in Loop: Header=BB262_16 Depth=1
	s_delay_alu instid0(SALU_CYCLE_1) | instskip(SKIP_2) | instid1(VALU_DEP_1)
	s_or_b32 exec_lo, exec_lo, s2
	v_lshrrev_b16 v3, 8, v2
	s_mov_b32 s23, exec_lo
	v_cmpx_ne_u16_e32 0, v3
	s_cbranch_execz .LBB262_515
; %bb.508:                              ;   in Loop: Header=BB262_16 Depth=1
	v_dual_mov_b32 v129, s17 :: v_dual_mov_b32 v128, s16
	s_mov_b32 s24, exec_lo
	v_cmpx_ne_u16_e32 0x80, v3
	s_cbranch_execz .LBB262_514
; %bb.509:                              ;   in Loop: Header=BB262_16 Depth=1
	s_mov_b32 s2, s16
	v_and_b32_e32 v3, 0xffff, v3
	v_dual_mov_b32 v129, s3 :: v_dual_mov_b32 v128, s2
	s_mov_b32 s2, exec_lo
	s_delay_alu instid0(VALU_DEP_2) | instskip(NEXT) | instid1(VALU_DEP_1)
	v_and_b32_e32 v8, 0x7f, v3
	v_cmpx_ne_u32_e32 0x7f, v8
	s_cbranch_execz .LBB262_513
; %bb.510:                              ;   in Loop: Header=BB262_16 Depth=1
	v_and_b32_e32 v28, 7, v3
	v_lshrrev_b32_e32 v3, 3, v8
	s_mov_b32 s25, exec_lo
	v_cmpx_gt_u32_e32 8, v8
; %bb.511:                              ;   in Loop: Header=BB262_16 Depth=1
	s_delay_alu instid0(VALU_DEP_3) | instskip(NEXT) | instid1(VALU_DEP_1)
	v_clz_i32_u32_e32 v3, v28
	v_min_u32_e32 v3, 32, v3
	s_delay_alu instid0(VALU_DEP_1) | instskip(SKIP_1) | instid1(VALU_DEP_2)
	v_subrev_nc_u32_e32 v8, 28, v3
	v_sub_nc_u32_e32 v3, 29, v3
	v_lshlrev_b64 v[8:9], v8, v[28:29]
	s_delay_alu instid0(VALU_DEP_1)
	v_and_b32_e32 v28, 7, v8
; %bb.512:                              ;   in Loop: Header=BB262_16 Depth=1
	s_or_b32 exec_lo, exec_lo, s25
	v_lshlrev_b32_e32 v8, 16, v2
	s_delay_alu instid0(VALU_DEP_2) | instskip(SKIP_1) | instid1(VALU_DEP_3)
	v_dual_mov_b32 v128, v29 :: v_dual_lshlrev_b32 v9, 20, v28
	v_lshl_add_u32 v3, v3, 23, 0x3c000000
	v_and_b32_e32 v8, 0x80000000, v8
	s_delay_alu instid0(VALU_DEP_1)
	v_or3_b32 v129, v9, v8, v3
.LBB262_513:                            ;   in Loop: Header=BB262_16 Depth=1
	s_or_b32 exec_lo, exec_lo, s2
.LBB262_514:                            ;   in Loop: Header=BB262_16 Depth=1
	s_delay_alu instid0(SALU_CYCLE_1)
	s_or_b32 exec_lo, exec_lo, s24
.LBB262_515:                            ;   in Loop: Header=BB262_16 Depth=1
	s_delay_alu instid0(SALU_CYCLE_1) | instskip(SKIP_4) | instid1(VALU_DEP_1)
	s_or_b32 exec_lo, exec_lo, s23
	v_mov_b32_e32 v132, 0
	v_lshrrev_b32_e32 v3, 16, v2
	v_mov_b32_e32 v133, 0
	s_mov_b32 s2, exec_lo
	v_dual_mov_b32 v135, v133 :: v_dual_and_b32 v8, 0xff, v3
	v_mov_b32_e32 v134, v132
	s_delay_alu instid0(VALU_DEP_2)
	v_cmpx_ne_u16_e32 0, v8
	s_cbranch_execz .LBB262_523
; %bb.516:                              ;   in Loop: Header=BB262_16 Depth=1
	v_bfrev_b32_e32 v134, 1
	v_mov_b32_e32 v135, 0
	s_mov_b32 s23, exec_lo
	v_cmpx_ne_u16_e32 0x80, v8
	s_cbranch_execz .LBB262_522
; %bb.517:                              ;   in Loop: Header=BB262_16 Depth=1
	v_mov_b32_e32 v134, 0x7f800001
	v_bfe_u32 v9, v2, 16, 7
	v_mov_b32_e32 v135, 0
	s_mov_b32 s24, exec_lo
	s_delay_alu instid0(VALU_DEP_2)
	v_cmpx_ne_u32_e32 0x7f, v9
	s_cbranch_execz .LBB262_521
; %bb.518:                              ;   in Loop: Header=BB262_16 Depth=1
	v_and_b32_e32 v28, 7, v3
	v_lshrrev_b32_e32 v8, 3, v9
	s_mov_b32 s25, exec_lo
	v_cmpx_gt_u32_e32 8, v9
; %bb.519:                              ;   in Loop: Header=BB262_16 Depth=1
	s_delay_alu instid0(VALU_DEP_3) | instskip(NEXT) | instid1(VALU_DEP_1)
	v_clz_i32_u32_e32 v8, v28
	v_min_u32_e32 v8, 32, v8
	s_delay_alu instid0(VALU_DEP_1) | instskip(SKIP_1) | instid1(VALU_DEP_2)
	v_subrev_nc_u32_e32 v9, 28, v8
	v_sub_nc_u32_e32 v8, 29, v8
	v_lshlrev_b64 v[18:19], v9, v[28:29]
	s_delay_alu instid0(VALU_DEP_1)
	v_and_b32_e32 v28, 7, v18
; %bb.520:                              ;   in Loop: Header=BB262_16 Depth=1
	s_or_b32 exec_lo, exec_lo, s25
	v_lshlrev_b32_e32 v3, 24, v3
	s_delay_alu instid0(VALU_DEP_2) | instskip(SKIP_1) | instid1(VALU_DEP_3)
	v_lshlrev_b32_e32 v9, 20, v28
	v_lshl_add_u32 v8, v8, 23, 0x3c000000
	v_and_b32_e32 v3, 0x80000000, v3
	s_delay_alu instid0(VALU_DEP_1) | instskip(NEXT) | instid1(VALU_DEP_1)
	v_or3_b32 v28, v9, v3, v8
	v_dual_mov_b32 v135, v29 :: v_dual_mov_b32 v134, v28
.LBB262_521:                            ;   in Loop: Header=BB262_16 Depth=1
	s_or_b32 exec_lo, exec_lo, s24
.LBB262_522:                            ;   in Loop: Header=BB262_16 Depth=1
	s_delay_alu instid0(SALU_CYCLE_1)
	s_or_b32 exec_lo, exec_lo, s23
.LBB262_523:                            ;   in Loop: Header=BB262_16 Depth=1
	s_delay_alu instid0(SALU_CYCLE_1) | instskip(NEXT) | instid1(SALU_CYCLE_1)
	s_or_b32 exec_lo, exec_lo, s2
	s_mov_b32 s23, exec_lo
	v_cmpx_lt_u32_e32 0xffffff, v2
	s_cbranch_execz .LBB262_531
; %bb.524:                              ;   in Loop: Header=BB262_16 Depth=1
	v_lshrrev_b32_e32 v3, 24, v2
	v_dual_mov_b32 v133, s17 :: v_dual_mov_b32 v132, s16
	s_mov_b32 s24, exec_lo
	s_delay_alu instid0(VALU_DEP_2)
	v_cmpx_ne_u32_e32 0x80, v3
	s_cbranch_execz .LBB262_530
; %bb.525:                              ;   in Loop: Header=BB262_16 Depth=1
	s_mov_b32 s2, s16
	v_bfe_u32 v8, v2, 24, 7
	v_dual_mov_b32 v133, s3 :: v_dual_mov_b32 v132, s2
	s_mov_b32 s2, exec_lo
	s_delay_alu instid0(VALU_DEP_2)
	v_cmpx_ne_u32_e32 0x7f, v8
	s_cbranch_execz .LBB262_529
; %bb.526:                              ;   in Loop: Header=BB262_16 Depth=1
	v_and_b32_e32 v28, 7, v3
	v_lshrrev_b32_e32 v2, 3, v8
	s_mov_b32 s25, exec_lo
	v_cmpx_gt_u32_e32 8, v8
; %bb.527:                              ;   in Loop: Header=BB262_16 Depth=1
	s_delay_alu instid0(VALU_DEP_3) | instskip(NEXT) | instid1(VALU_DEP_1)
	v_clz_i32_u32_e32 v2, v28
	v_min_u32_e32 v2, 32, v2
	s_delay_alu instid0(VALU_DEP_1) | instskip(SKIP_1) | instid1(VALU_DEP_2)
	v_subrev_nc_u32_e32 v8, 28, v2
	v_sub_nc_u32_e32 v2, 29, v2
	v_lshlrev_b64 v[8:9], v8, v[28:29]
	s_delay_alu instid0(VALU_DEP_1)
	v_and_b32_e32 v28, 7, v8
; %bb.528:                              ;   in Loop: Header=BB262_16 Depth=1
	s_or_b32 exec_lo, exec_lo, s25
	v_dual_mov_b32 v132, v29 :: v_dual_lshlrev_b32 v3, 24, v3
	s_delay_alu instid0(VALU_DEP_2) | instskip(SKIP_1) | instid1(VALU_DEP_3)
	v_lshlrev_b32_e32 v8, 20, v28
	v_lshl_add_u32 v2, v2, 23, 0x3c000000
	v_and_b32_e32 v3, 0x80000000, v3
	s_delay_alu instid0(VALU_DEP_1)
	v_or3_b32 v133, v8, v3, v2
.LBB262_529:                            ;   in Loop: Header=BB262_16 Depth=1
	s_or_b32 exec_lo, exec_lo, s2
.LBB262_530:                            ;   in Loop: Header=BB262_16 Depth=1
	s_delay_alu instid0(SALU_CYCLE_1)
	s_or_b32 exec_lo, exec_lo, s24
.LBB262_531:                            ;   in Loop: Header=BB262_16 Depth=1
	s_delay_alu instid0(SALU_CYCLE_1) | instskip(SKIP_4) | instid1(VALU_DEP_1)
	s_or_b32 exec_lo, exec_lo, s23
	flat_load_b32 v2, v[124:125] offset:2048
	v_mov_b32_e32 v144, 0
	v_mov_b32_e32 v145, 0
	s_mov_b32 s2, exec_lo
	v_dual_mov_b32 v147, v145 :: v_dual_mov_b32 v146, v144
	s_waitcnt vmcnt(0) lgkmcnt(0)
	v_and_b32_e32 v3, 0xff, v2
	s_delay_alu instid0(VALU_DEP_1)
	v_cmpx_ne_u16_e32 0, v3
	s_cbranch_execz .LBB262_539
; %bb.532:                              ;   in Loop: Header=BB262_16 Depth=1
	v_bfrev_b32_e32 v146, 1
	v_mov_b32_e32 v147, 0
	s_mov_b32 s23, exec_lo
	v_cmpx_ne_u16_e32 0x80, v3
	s_cbranch_execz .LBB262_538
; %bb.533:                              ;   in Loop: Header=BB262_16 Depth=1
	v_mov_b32_e32 v146, 0x7f800001
	v_dual_mov_b32 v147, 0 :: v_dual_and_b32 v8, 0x7f, v2
	s_mov_b32 s24, exec_lo
	s_delay_alu instid0(VALU_DEP_1)
	v_cmpx_ne_u32_e32 0x7f, v8
	s_cbranch_execz .LBB262_537
; %bb.534:                              ;   in Loop: Header=BB262_16 Depth=1
	v_and_b32_e32 v28, 7, v2
	v_lshrrev_b32_e32 v3, 3, v8
	s_mov_b32 s25, exec_lo
	v_cmpx_gt_u32_e32 8, v8
; %bb.535:                              ;   in Loop: Header=BB262_16 Depth=1
	s_delay_alu instid0(VALU_DEP_3) | instskip(NEXT) | instid1(VALU_DEP_1)
	v_clz_i32_u32_e32 v3, v28
	v_min_u32_e32 v3, 32, v3
	s_delay_alu instid0(VALU_DEP_1) | instskip(SKIP_1) | instid1(VALU_DEP_2)
	v_subrev_nc_u32_e32 v8, 28, v3
	v_sub_nc_u32_e32 v3, 29, v3
	v_lshlrev_b64 v[8:9], v8, v[28:29]
	s_delay_alu instid0(VALU_DEP_1)
	v_and_b32_e32 v28, 7, v8
; %bb.536:                              ;   in Loop: Header=BB262_16 Depth=1
	s_or_b32 exec_lo, exec_lo, s25
	v_lshlrev_b32_e32 v8, 24, v2
	s_delay_alu instid0(VALU_DEP_2) | instskip(SKIP_1) | instid1(VALU_DEP_3)
	v_lshlrev_b32_e32 v9, 20, v28
	v_lshl_add_u32 v3, v3, 23, 0x3c000000
	v_and_b32_e32 v8, 0x80000000, v8
	s_delay_alu instid0(VALU_DEP_1) | instskip(NEXT) | instid1(VALU_DEP_1)
	v_or3_b32 v28, v9, v8, v3
	v_dual_mov_b32 v147, v29 :: v_dual_mov_b32 v146, v28
.LBB262_537:                            ;   in Loop: Header=BB262_16 Depth=1
	s_or_b32 exec_lo, exec_lo, s24
.LBB262_538:                            ;   in Loop: Header=BB262_16 Depth=1
	s_delay_alu instid0(SALU_CYCLE_1)
	s_or_b32 exec_lo, exec_lo, s23
.LBB262_539:                            ;   in Loop: Header=BB262_16 Depth=1
	s_delay_alu instid0(SALU_CYCLE_1) | instskip(SKIP_2) | instid1(VALU_DEP_1)
	s_or_b32 exec_lo, exec_lo, s2
	v_lshrrev_b16 v3, 8, v2
	s_mov_b32 s23, exec_lo
	v_cmpx_ne_u16_e32 0, v3
	s_cbranch_execz .LBB262_547
; %bb.540:                              ;   in Loop: Header=BB262_16 Depth=1
	v_dual_mov_b32 v145, s17 :: v_dual_mov_b32 v144, s16
	s_mov_b32 s24, exec_lo
	v_cmpx_ne_u16_e32 0x80, v3
	s_cbranch_execz .LBB262_546
; %bb.541:                              ;   in Loop: Header=BB262_16 Depth=1
	s_mov_b32 s2, s16
	v_and_b32_e32 v3, 0xffff, v3
	v_dual_mov_b32 v145, s3 :: v_dual_mov_b32 v144, s2
	s_mov_b32 s2, exec_lo
	s_delay_alu instid0(VALU_DEP_2) | instskip(NEXT) | instid1(VALU_DEP_1)
	v_and_b32_e32 v8, 0x7f, v3
	v_cmpx_ne_u32_e32 0x7f, v8
	s_cbranch_execz .LBB262_545
; %bb.542:                              ;   in Loop: Header=BB262_16 Depth=1
	v_and_b32_e32 v28, 7, v3
	v_lshrrev_b32_e32 v3, 3, v8
	s_mov_b32 s25, exec_lo
	v_cmpx_gt_u32_e32 8, v8
; %bb.543:                              ;   in Loop: Header=BB262_16 Depth=1
	s_delay_alu instid0(VALU_DEP_3) | instskip(NEXT) | instid1(VALU_DEP_1)
	v_clz_i32_u32_e32 v3, v28
	v_min_u32_e32 v3, 32, v3
	s_delay_alu instid0(VALU_DEP_1) | instskip(SKIP_1) | instid1(VALU_DEP_2)
	v_subrev_nc_u32_e32 v8, 28, v3
	v_sub_nc_u32_e32 v3, 29, v3
	v_lshlrev_b64 v[8:9], v8, v[28:29]
	s_delay_alu instid0(VALU_DEP_1)
	v_and_b32_e32 v28, 7, v8
; %bb.544:                              ;   in Loop: Header=BB262_16 Depth=1
	s_or_b32 exec_lo, exec_lo, s25
	v_lshlrev_b32_e32 v8, 16, v2
	s_delay_alu instid0(VALU_DEP_2) | instskip(SKIP_1) | instid1(VALU_DEP_3)
	v_dual_mov_b32 v144, v29 :: v_dual_lshlrev_b32 v9, 20, v28
	v_lshl_add_u32 v3, v3, 23, 0x3c000000
	v_and_b32_e32 v8, 0x80000000, v8
	s_delay_alu instid0(VALU_DEP_1)
	v_or3_b32 v145, v9, v8, v3
.LBB262_545:                            ;   in Loop: Header=BB262_16 Depth=1
	s_or_b32 exec_lo, exec_lo, s2
.LBB262_546:                            ;   in Loop: Header=BB262_16 Depth=1
	s_delay_alu instid0(SALU_CYCLE_1)
	s_or_b32 exec_lo, exec_lo, s24
.LBB262_547:                            ;   in Loop: Header=BB262_16 Depth=1
	s_delay_alu instid0(SALU_CYCLE_1) | instskip(SKIP_4) | instid1(VALU_DEP_1)
	s_or_b32 exec_lo, exec_lo, s23
	v_mov_b32_e32 v148, 0
	v_lshrrev_b32_e32 v3, 16, v2
	v_mov_b32_e32 v149, 0
	s_mov_b32 s2, exec_lo
	v_dual_mov_b32 v151, v149 :: v_dual_and_b32 v8, 0xff, v3
	v_mov_b32_e32 v150, v148
	s_delay_alu instid0(VALU_DEP_2)
	v_cmpx_ne_u16_e32 0, v8
	s_cbranch_execz .LBB262_555
; %bb.548:                              ;   in Loop: Header=BB262_16 Depth=1
	v_bfrev_b32_e32 v150, 1
	v_mov_b32_e32 v151, 0
	s_mov_b32 s23, exec_lo
	v_cmpx_ne_u16_e32 0x80, v8
	s_cbranch_execz .LBB262_554
; %bb.549:                              ;   in Loop: Header=BB262_16 Depth=1
	v_mov_b32_e32 v150, 0x7f800001
	v_bfe_u32 v9, v2, 16, 7
	v_mov_b32_e32 v151, 0
	s_mov_b32 s24, exec_lo
	s_delay_alu instid0(VALU_DEP_2)
	v_cmpx_ne_u32_e32 0x7f, v9
	s_cbranch_execz .LBB262_553
; %bb.550:                              ;   in Loop: Header=BB262_16 Depth=1
	v_and_b32_e32 v28, 7, v3
	v_lshrrev_b32_e32 v8, 3, v9
	s_mov_b32 s25, exec_lo
	v_cmpx_gt_u32_e32 8, v9
; %bb.551:                              ;   in Loop: Header=BB262_16 Depth=1
	s_delay_alu instid0(VALU_DEP_3) | instskip(NEXT) | instid1(VALU_DEP_1)
	v_clz_i32_u32_e32 v8, v28
	v_min_u32_e32 v8, 32, v8
	s_delay_alu instid0(VALU_DEP_1) | instskip(SKIP_1) | instid1(VALU_DEP_2)
	v_subrev_nc_u32_e32 v9, 28, v8
	v_sub_nc_u32_e32 v8, 29, v8
	v_lshlrev_b64 v[18:19], v9, v[28:29]
	s_delay_alu instid0(VALU_DEP_1)
	v_and_b32_e32 v28, 7, v18
; %bb.552:                              ;   in Loop: Header=BB262_16 Depth=1
	s_or_b32 exec_lo, exec_lo, s25
	v_lshlrev_b32_e32 v3, 24, v3
	s_delay_alu instid0(VALU_DEP_2) | instskip(SKIP_1) | instid1(VALU_DEP_3)
	v_lshlrev_b32_e32 v9, 20, v28
	v_lshl_add_u32 v8, v8, 23, 0x3c000000
	v_and_b32_e32 v3, 0x80000000, v3
	s_delay_alu instid0(VALU_DEP_1) | instskip(NEXT) | instid1(VALU_DEP_1)
	v_or3_b32 v28, v9, v3, v8
	v_dual_mov_b32 v151, v29 :: v_dual_mov_b32 v150, v28
.LBB262_553:                            ;   in Loop: Header=BB262_16 Depth=1
	s_or_b32 exec_lo, exec_lo, s24
.LBB262_554:                            ;   in Loop: Header=BB262_16 Depth=1
	s_delay_alu instid0(SALU_CYCLE_1)
	s_or_b32 exec_lo, exec_lo, s23
.LBB262_555:                            ;   in Loop: Header=BB262_16 Depth=1
	s_delay_alu instid0(SALU_CYCLE_1) | instskip(NEXT) | instid1(SALU_CYCLE_1)
	s_or_b32 exec_lo, exec_lo, s2
	s_mov_b32 s23, exec_lo
	v_cmpx_lt_u32_e32 0xffffff, v2
	s_cbranch_execz .LBB262_563
; %bb.556:                              ;   in Loop: Header=BB262_16 Depth=1
	v_lshrrev_b32_e32 v3, 24, v2
	v_dual_mov_b32 v149, s17 :: v_dual_mov_b32 v148, s16
	s_mov_b32 s24, exec_lo
	s_delay_alu instid0(VALU_DEP_2)
	v_cmpx_ne_u32_e32 0x80, v3
	s_cbranch_execz .LBB262_562
; %bb.557:                              ;   in Loop: Header=BB262_16 Depth=1
	s_mov_b32 s2, s16
	v_bfe_u32 v8, v2, 24, 7
	v_dual_mov_b32 v149, s3 :: v_dual_mov_b32 v148, s2
	s_mov_b32 s2, exec_lo
	s_delay_alu instid0(VALU_DEP_2)
	v_cmpx_ne_u32_e32 0x7f, v8
	s_cbranch_execz .LBB262_561
; %bb.558:                              ;   in Loop: Header=BB262_16 Depth=1
	v_and_b32_e32 v28, 7, v3
	v_lshrrev_b32_e32 v2, 3, v8
	s_mov_b32 s25, exec_lo
	v_cmpx_gt_u32_e32 8, v8
; %bb.559:                              ;   in Loop: Header=BB262_16 Depth=1
	s_delay_alu instid0(VALU_DEP_3) | instskip(NEXT) | instid1(VALU_DEP_1)
	v_clz_i32_u32_e32 v2, v28
	v_min_u32_e32 v2, 32, v2
	s_delay_alu instid0(VALU_DEP_1) | instskip(SKIP_1) | instid1(VALU_DEP_2)
	v_subrev_nc_u32_e32 v8, 28, v2
	v_sub_nc_u32_e32 v2, 29, v2
	v_lshlrev_b64 v[8:9], v8, v[28:29]
	s_delay_alu instid0(VALU_DEP_1)
	v_and_b32_e32 v28, 7, v8
; %bb.560:                              ;   in Loop: Header=BB262_16 Depth=1
	s_or_b32 exec_lo, exec_lo, s25
	v_dual_mov_b32 v148, v29 :: v_dual_lshlrev_b32 v3, 24, v3
	s_delay_alu instid0(VALU_DEP_2) | instskip(SKIP_1) | instid1(VALU_DEP_3)
	v_lshlrev_b32_e32 v8, 20, v28
	v_lshl_add_u32 v2, v2, 23, 0x3c000000
	v_and_b32_e32 v3, 0x80000000, v3
	s_delay_alu instid0(VALU_DEP_1)
	v_or3_b32 v149, v8, v3, v2
.LBB262_561:                            ;   in Loop: Header=BB262_16 Depth=1
	s_or_b32 exec_lo, exec_lo, s2
.LBB262_562:                            ;   in Loop: Header=BB262_16 Depth=1
	s_delay_alu instid0(SALU_CYCLE_1)
	s_or_b32 exec_lo, exec_lo, s24
.LBB262_563:                            ;   in Loop: Header=BB262_16 Depth=1
	s_delay_alu instid0(SALU_CYCLE_1) | instskip(SKIP_4) | instid1(VALU_DEP_1)
	s_or_b32 exec_lo, exec_lo, s23
	flat_load_b32 v2, v[124:125] offset:2052
	v_mov_b32_e32 v160, 0
	v_mov_b32_e32 v161, 0
	s_mov_b32 s2, exec_lo
	v_dual_mov_b32 v163, v161 :: v_dual_mov_b32 v162, v160
	s_waitcnt vmcnt(0) lgkmcnt(0)
	v_and_b32_e32 v3, 0xff, v2
	s_delay_alu instid0(VALU_DEP_1)
	v_cmpx_ne_u16_e32 0, v3
	s_cbranch_execz .LBB262_571
; %bb.564:                              ;   in Loop: Header=BB262_16 Depth=1
	v_bfrev_b32_e32 v162, 1
	v_mov_b32_e32 v163, 0
	s_mov_b32 s23, exec_lo
	v_cmpx_ne_u16_e32 0x80, v3
	s_cbranch_execz .LBB262_570
; %bb.565:                              ;   in Loop: Header=BB262_16 Depth=1
	v_mov_b32_e32 v162, 0x7f800001
	v_dual_mov_b32 v163, 0 :: v_dual_and_b32 v8, 0x7f, v2
	s_mov_b32 s24, exec_lo
	s_delay_alu instid0(VALU_DEP_1)
	v_cmpx_ne_u32_e32 0x7f, v8
	s_cbranch_execz .LBB262_569
; %bb.566:                              ;   in Loop: Header=BB262_16 Depth=1
	v_and_b32_e32 v28, 7, v2
	v_lshrrev_b32_e32 v3, 3, v8
	s_mov_b32 s25, exec_lo
	v_cmpx_gt_u32_e32 8, v8
; %bb.567:                              ;   in Loop: Header=BB262_16 Depth=1
	s_delay_alu instid0(VALU_DEP_3) | instskip(NEXT) | instid1(VALU_DEP_1)
	v_clz_i32_u32_e32 v3, v28
	v_min_u32_e32 v3, 32, v3
	s_delay_alu instid0(VALU_DEP_1) | instskip(SKIP_1) | instid1(VALU_DEP_2)
	v_subrev_nc_u32_e32 v8, 28, v3
	v_sub_nc_u32_e32 v3, 29, v3
	v_lshlrev_b64 v[8:9], v8, v[28:29]
	s_delay_alu instid0(VALU_DEP_1)
	v_and_b32_e32 v28, 7, v8
; %bb.568:                              ;   in Loop: Header=BB262_16 Depth=1
	s_or_b32 exec_lo, exec_lo, s25
	v_lshlrev_b32_e32 v8, 24, v2
	s_delay_alu instid0(VALU_DEP_2) | instskip(SKIP_1) | instid1(VALU_DEP_3)
	v_lshlrev_b32_e32 v9, 20, v28
	v_lshl_add_u32 v3, v3, 23, 0x3c000000
	v_and_b32_e32 v8, 0x80000000, v8
	s_delay_alu instid0(VALU_DEP_1) | instskip(NEXT) | instid1(VALU_DEP_1)
	v_or3_b32 v28, v9, v8, v3
	v_dual_mov_b32 v163, v29 :: v_dual_mov_b32 v162, v28
.LBB262_569:                            ;   in Loop: Header=BB262_16 Depth=1
	s_or_b32 exec_lo, exec_lo, s24
.LBB262_570:                            ;   in Loop: Header=BB262_16 Depth=1
	s_delay_alu instid0(SALU_CYCLE_1)
	s_or_b32 exec_lo, exec_lo, s23
.LBB262_571:                            ;   in Loop: Header=BB262_16 Depth=1
	s_delay_alu instid0(SALU_CYCLE_1) | instskip(SKIP_2) | instid1(VALU_DEP_1)
	s_or_b32 exec_lo, exec_lo, s2
	v_lshrrev_b16 v3, 8, v2
	s_mov_b32 s23, exec_lo
	v_cmpx_ne_u16_e32 0, v3
	s_cbranch_execz .LBB262_579
; %bb.572:                              ;   in Loop: Header=BB262_16 Depth=1
	v_dual_mov_b32 v161, s17 :: v_dual_mov_b32 v160, s16
	s_mov_b32 s24, exec_lo
	v_cmpx_ne_u16_e32 0x80, v3
	s_cbranch_execz .LBB262_578
; %bb.573:                              ;   in Loop: Header=BB262_16 Depth=1
	s_mov_b32 s2, s16
	v_and_b32_e32 v3, 0xffff, v3
	v_dual_mov_b32 v161, s3 :: v_dual_mov_b32 v160, s2
	s_mov_b32 s2, exec_lo
	s_delay_alu instid0(VALU_DEP_2) | instskip(NEXT) | instid1(VALU_DEP_1)
	v_and_b32_e32 v8, 0x7f, v3
	v_cmpx_ne_u32_e32 0x7f, v8
	s_cbranch_execz .LBB262_577
; %bb.574:                              ;   in Loop: Header=BB262_16 Depth=1
	v_and_b32_e32 v28, 7, v3
	v_lshrrev_b32_e32 v3, 3, v8
	s_mov_b32 s25, exec_lo
	v_cmpx_gt_u32_e32 8, v8
; %bb.575:                              ;   in Loop: Header=BB262_16 Depth=1
	s_delay_alu instid0(VALU_DEP_3) | instskip(NEXT) | instid1(VALU_DEP_1)
	v_clz_i32_u32_e32 v3, v28
	v_min_u32_e32 v3, 32, v3
	s_delay_alu instid0(VALU_DEP_1) | instskip(SKIP_1) | instid1(VALU_DEP_2)
	v_subrev_nc_u32_e32 v8, 28, v3
	v_sub_nc_u32_e32 v3, 29, v3
	v_lshlrev_b64 v[8:9], v8, v[28:29]
	s_delay_alu instid0(VALU_DEP_1)
	v_and_b32_e32 v28, 7, v8
; %bb.576:                              ;   in Loop: Header=BB262_16 Depth=1
	s_or_b32 exec_lo, exec_lo, s25
	v_lshlrev_b32_e32 v8, 16, v2
	s_delay_alu instid0(VALU_DEP_2) | instskip(SKIP_1) | instid1(VALU_DEP_3)
	v_dual_mov_b32 v160, v29 :: v_dual_lshlrev_b32 v9, 20, v28
	v_lshl_add_u32 v3, v3, 23, 0x3c000000
	v_and_b32_e32 v8, 0x80000000, v8
	s_delay_alu instid0(VALU_DEP_1)
	v_or3_b32 v161, v9, v8, v3
.LBB262_577:                            ;   in Loop: Header=BB262_16 Depth=1
	s_or_b32 exec_lo, exec_lo, s2
.LBB262_578:                            ;   in Loop: Header=BB262_16 Depth=1
	s_delay_alu instid0(SALU_CYCLE_1)
	s_or_b32 exec_lo, exec_lo, s24
.LBB262_579:                            ;   in Loop: Header=BB262_16 Depth=1
	s_delay_alu instid0(SALU_CYCLE_1) | instskip(SKIP_4) | instid1(VALU_DEP_1)
	s_or_b32 exec_lo, exec_lo, s23
	v_mov_b32_e32 v164, 0
	v_lshrrev_b32_e32 v3, 16, v2
	v_mov_b32_e32 v165, 0
	s_mov_b32 s2, exec_lo
	v_dual_mov_b32 v167, v165 :: v_dual_and_b32 v8, 0xff, v3
	v_mov_b32_e32 v166, v164
	s_delay_alu instid0(VALU_DEP_2)
	v_cmpx_ne_u16_e32 0, v8
	s_cbranch_execz .LBB262_587
; %bb.580:                              ;   in Loop: Header=BB262_16 Depth=1
	v_bfrev_b32_e32 v166, 1
	v_mov_b32_e32 v167, 0
	s_mov_b32 s23, exec_lo
	v_cmpx_ne_u16_e32 0x80, v8
	s_cbranch_execz .LBB262_586
; %bb.581:                              ;   in Loop: Header=BB262_16 Depth=1
	v_mov_b32_e32 v166, 0x7f800001
	v_bfe_u32 v9, v2, 16, 7
	v_mov_b32_e32 v167, 0
	s_mov_b32 s24, exec_lo
	s_delay_alu instid0(VALU_DEP_2)
	v_cmpx_ne_u32_e32 0x7f, v9
	s_cbranch_execz .LBB262_585
; %bb.582:                              ;   in Loop: Header=BB262_16 Depth=1
	v_and_b32_e32 v28, 7, v3
	v_lshrrev_b32_e32 v8, 3, v9
	s_mov_b32 s25, exec_lo
	v_cmpx_gt_u32_e32 8, v9
; %bb.583:                              ;   in Loop: Header=BB262_16 Depth=1
	s_delay_alu instid0(VALU_DEP_3) | instskip(NEXT) | instid1(VALU_DEP_1)
	v_clz_i32_u32_e32 v8, v28
	v_min_u32_e32 v8, 32, v8
	s_delay_alu instid0(VALU_DEP_1) | instskip(SKIP_1) | instid1(VALU_DEP_2)
	v_subrev_nc_u32_e32 v9, 28, v8
	v_sub_nc_u32_e32 v8, 29, v8
	v_lshlrev_b64 v[18:19], v9, v[28:29]
	s_delay_alu instid0(VALU_DEP_1)
	v_and_b32_e32 v28, 7, v18
; %bb.584:                              ;   in Loop: Header=BB262_16 Depth=1
	s_or_b32 exec_lo, exec_lo, s25
	v_lshlrev_b32_e32 v3, 24, v3
	s_delay_alu instid0(VALU_DEP_2) | instskip(SKIP_1) | instid1(VALU_DEP_3)
	v_lshlrev_b32_e32 v9, 20, v28
	v_lshl_add_u32 v8, v8, 23, 0x3c000000
	v_and_b32_e32 v3, 0x80000000, v3
	s_delay_alu instid0(VALU_DEP_1) | instskip(NEXT) | instid1(VALU_DEP_1)
	v_or3_b32 v28, v9, v3, v8
	v_dual_mov_b32 v167, v29 :: v_dual_mov_b32 v166, v28
.LBB262_585:                            ;   in Loop: Header=BB262_16 Depth=1
	s_or_b32 exec_lo, exec_lo, s24
.LBB262_586:                            ;   in Loop: Header=BB262_16 Depth=1
	s_delay_alu instid0(SALU_CYCLE_1)
	s_or_b32 exec_lo, exec_lo, s23
.LBB262_587:                            ;   in Loop: Header=BB262_16 Depth=1
	s_delay_alu instid0(SALU_CYCLE_1) | instskip(NEXT) | instid1(SALU_CYCLE_1)
	s_or_b32 exec_lo, exec_lo, s2
	s_mov_b32 s23, exec_lo
	v_cmpx_lt_u32_e32 0xffffff, v2
	s_cbranch_execz .LBB262_595
; %bb.588:                              ;   in Loop: Header=BB262_16 Depth=1
	v_lshrrev_b32_e32 v3, 24, v2
	v_dual_mov_b32 v165, s17 :: v_dual_mov_b32 v164, s16
	s_mov_b32 s24, exec_lo
	s_delay_alu instid0(VALU_DEP_2)
	v_cmpx_ne_u32_e32 0x80, v3
	s_cbranch_execz .LBB262_594
; %bb.589:                              ;   in Loop: Header=BB262_16 Depth=1
	s_mov_b32 s2, s16
	v_bfe_u32 v8, v2, 24, 7
	v_dual_mov_b32 v165, s3 :: v_dual_mov_b32 v164, s2
	s_mov_b32 s2, exec_lo
	s_delay_alu instid0(VALU_DEP_2)
	v_cmpx_ne_u32_e32 0x7f, v8
	s_cbranch_execz .LBB262_593
; %bb.590:                              ;   in Loop: Header=BB262_16 Depth=1
	v_and_b32_e32 v28, 7, v3
	v_lshrrev_b32_e32 v2, 3, v8
	s_mov_b32 s25, exec_lo
	v_cmpx_gt_u32_e32 8, v8
; %bb.591:                              ;   in Loop: Header=BB262_16 Depth=1
	s_delay_alu instid0(VALU_DEP_3) | instskip(NEXT) | instid1(VALU_DEP_1)
	v_clz_i32_u32_e32 v2, v28
	v_min_u32_e32 v2, 32, v2
	s_delay_alu instid0(VALU_DEP_1) | instskip(SKIP_1) | instid1(VALU_DEP_2)
	v_subrev_nc_u32_e32 v8, 28, v2
	v_sub_nc_u32_e32 v2, 29, v2
	v_lshlrev_b64 v[8:9], v8, v[28:29]
	s_delay_alu instid0(VALU_DEP_1)
	v_and_b32_e32 v28, 7, v8
; %bb.592:                              ;   in Loop: Header=BB262_16 Depth=1
	s_or_b32 exec_lo, exec_lo, s25
	v_dual_mov_b32 v164, v29 :: v_dual_lshlrev_b32 v3, 24, v3
	s_delay_alu instid0(VALU_DEP_2) | instskip(SKIP_1) | instid1(VALU_DEP_3)
	v_lshlrev_b32_e32 v8, 20, v28
	v_lshl_add_u32 v2, v2, 23, 0x3c000000
	v_and_b32_e32 v3, 0x80000000, v3
	s_delay_alu instid0(VALU_DEP_1)
	v_or3_b32 v165, v8, v3, v2
.LBB262_593:                            ;   in Loop: Header=BB262_16 Depth=1
	s_or_b32 exec_lo, exec_lo, s2
.LBB262_594:                            ;   in Loop: Header=BB262_16 Depth=1
	s_delay_alu instid0(SALU_CYCLE_1)
	s_or_b32 exec_lo, exec_lo, s24
.LBB262_595:                            ;   in Loop: Header=BB262_16 Depth=1
	s_delay_alu instid0(SALU_CYCLE_1) | instskip(SKIP_4) | instid1(VALU_DEP_1)
	s_or_b32 exec_lo, exec_lo, s23
	flat_load_b32 v2, v[124:125] offset:2056
	v_mov_b32_e32 v176, 0
	v_mov_b32_e32 v177, 0
	s_mov_b32 s2, exec_lo
	v_dual_mov_b32 v179, v177 :: v_dual_mov_b32 v178, v176
	s_waitcnt vmcnt(0) lgkmcnt(0)
	v_and_b32_e32 v3, 0xff, v2
	s_delay_alu instid0(VALU_DEP_1)
	v_cmpx_ne_u16_e32 0, v3
	s_cbranch_execz .LBB262_603
; %bb.596:                              ;   in Loop: Header=BB262_16 Depth=1
	v_bfrev_b32_e32 v178, 1
	v_mov_b32_e32 v179, 0
	s_mov_b32 s23, exec_lo
	v_cmpx_ne_u16_e32 0x80, v3
	s_cbranch_execz .LBB262_602
; %bb.597:                              ;   in Loop: Header=BB262_16 Depth=1
	v_mov_b32_e32 v178, 0x7f800001
	v_dual_mov_b32 v179, 0 :: v_dual_and_b32 v8, 0x7f, v2
	s_mov_b32 s24, exec_lo
	s_delay_alu instid0(VALU_DEP_1)
	v_cmpx_ne_u32_e32 0x7f, v8
	s_cbranch_execz .LBB262_601
; %bb.598:                              ;   in Loop: Header=BB262_16 Depth=1
	v_and_b32_e32 v28, 7, v2
	v_lshrrev_b32_e32 v3, 3, v8
	s_mov_b32 s25, exec_lo
	v_cmpx_gt_u32_e32 8, v8
; %bb.599:                              ;   in Loop: Header=BB262_16 Depth=1
	s_delay_alu instid0(VALU_DEP_3) | instskip(NEXT) | instid1(VALU_DEP_1)
	v_clz_i32_u32_e32 v3, v28
	v_min_u32_e32 v3, 32, v3
	s_delay_alu instid0(VALU_DEP_1) | instskip(SKIP_1) | instid1(VALU_DEP_2)
	v_subrev_nc_u32_e32 v8, 28, v3
	v_sub_nc_u32_e32 v3, 29, v3
	v_lshlrev_b64 v[8:9], v8, v[28:29]
	s_delay_alu instid0(VALU_DEP_1)
	v_and_b32_e32 v28, 7, v8
; %bb.600:                              ;   in Loop: Header=BB262_16 Depth=1
	s_or_b32 exec_lo, exec_lo, s25
	v_lshlrev_b32_e32 v8, 24, v2
	s_delay_alu instid0(VALU_DEP_2) | instskip(SKIP_1) | instid1(VALU_DEP_3)
	v_lshlrev_b32_e32 v9, 20, v28
	v_lshl_add_u32 v3, v3, 23, 0x3c000000
	v_and_b32_e32 v8, 0x80000000, v8
	s_delay_alu instid0(VALU_DEP_1) | instskip(NEXT) | instid1(VALU_DEP_1)
	v_or3_b32 v28, v9, v8, v3
	v_dual_mov_b32 v179, v29 :: v_dual_mov_b32 v178, v28
.LBB262_601:                            ;   in Loop: Header=BB262_16 Depth=1
	s_or_b32 exec_lo, exec_lo, s24
.LBB262_602:                            ;   in Loop: Header=BB262_16 Depth=1
	s_delay_alu instid0(SALU_CYCLE_1)
	s_or_b32 exec_lo, exec_lo, s23
.LBB262_603:                            ;   in Loop: Header=BB262_16 Depth=1
	s_delay_alu instid0(SALU_CYCLE_1) | instskip(SKIP_2) | instid1(VALU_DEP_1)
	s_or_b32 exec_lo, exec_lo, s2
	v_lshrrev_b16 v3, 8, v2
	s_mov_b32 s23, exec_lo
	v_cmpx_ne_u16_e32 0, v3
	s_cbranch_execz .LBB262_611
; %bb.604:                              ;   in Loop: Header=BB262_16 Depth=1
	v_dual_mov_b32 v177, s17 :: v_dual_mov_b32 v176, s16
	s_mov_b32 s24, exec_lo
	v_cmpx_ne_u16_e32 0x80, v3
	s_cbranch_execz .LBB262_610
; %bb.605:                              ;   in Loop: Header=BB262_16 Depth=1
	s_mov_b32 s2, s16
	v_and_b32_e32 v3, 0xffff, v3
	v_dual_mov_b32 v177, s3 :: v_dual_mov_b32 v176, s2
	s_mov_b32 s2, exec_lo
	s_delay_alu instid0(VALU_DEP_2) | instskip(NEXT) | instid1(VALU_DEP_1)
	v_and_b32_e32 v8, 0x7f, v3
	v_cmpx_ne_u32_e32 0x7f, v8
	s_cbranch_execz .LBB262_609
; %bb.606:                              ;   in Loop: Header=BB262_16 Depth=1
	v_and_b32_e32 v28, 7, v3
	v_lshrrev_b32_e32 v3, 3, v8
	s_mov_b32 s25, exec_lo
	v_cmpx_gt_u32_e32 8, v8
; %bb.607:                              ;   in Loop: Header=BB262_16 Depth=1
	s_delay_alu instid0(VALU_DEP_3) | instskip(NEXT) | instid1(VALU_DEP_1)
	v_clz_i32_u32_e32 v3, v28
	v_min_u32_e32 v3, 32, v3
	s_delay_alu instid0(VALU_DEP_1) | instskip(SKIP_1) | instid1(VALU_DEP_2)
	v_subrev_nc_u32_e32 v8, 28, v3
	v_sub_nc_u32_e32 v3, 29, v3
	v_lshlrev_b64 v[8:9], v8, v[28:29]
	s_delay_alu instid0(VALU_DEP_1)
	v_and_b32_e32 v28, 7, v8
; %bb.608:                              ;   in Loop: Header=BB262_16 Depth=1
	s_or_b32 exec_lo, exec_lo, s25
	v_lshlrev_b32_e32 v8, 16, v2
	s_delay_alu instid0(VALU_DEP_2) | instskip(SKIP_1) | instid1(VALU_DEP_3)
	v_dual_mov_b32 v176, v29 :: v_dual_lshlrev_b32 v9, 20, v28
	v_lshl_add_u32 v3, v3, 23, 0x3c000000
	v_and_b32_e32 v8, 0x80000000, v8
	s_delay_alu instid0(VALU_DEP_1)
	v_or3_b32 v177, v9, v8, v3
.LBB262_609:                            ;   in Loop: Header=BB262_16 Depth=1
	s_or_b32 exec_lo, exec_lo, s2
.LBB262_610:                            ;   in Loop: Header=BB262_16 Depth=1
	s_delay_alu instid0(SALU_CYCLE_1)
	s_or_b32 exec_lo, exec_lo, s24
.LBB262_611:                            ;   in Loop: Header=BB262_16 Depth=1
	s_delay_alu instid0(SALU_CYCLE_1) | instskip(SKIP_4) | instid1(VALU_DEP_1)
	s_or_b32 exec_lo, exec_lo, s23
	v_mov_b32_e32 v180, 0
	v_lshrrev_b32_e32 v3, 16, v2
	v_mov_b32_e32 v181, 0
	s_mov_b32 s2, exec_lo
	v_dual_mov_b32 v183, v181 :: v_dual_and_b32 v8, 0xff, v3
	v_mov_b32_e32 v182, v180
	s_delay_alu instid0(VALU_DEP_2)
	v_cmpx_ne_u16_e32 0, v8
	s_cbranch_execz .LBB262_619
; %bb.612:                              ;   in Loop: Header=BB262_16 Depth=1
	v_bfrev_b32_e32 v182, 1
	v_mov_b32_e32 v183, 0
	s_mov_b32 s23, exec_lo
	v_cmpx_ne_u16_e32 0x80, v8
	s_cbranch_execz .LBB262_618
; %bb.613:                              ;   in Loop: Header=BB262_16 Depth=1
	v_mov_b32_e32 v182, 0x7f800001
	v_bfe_u32 v9, v2, 16, 7
	v_mov_b32_e32 v183, 0
	s_mov_b32 s24, exec_lo
	s_delay_alu instid0(VALU_DEP_2)
	v_cmpx_ne_u32_e32 0x7f, v9
	s_cbranch_execz .LBB262_617
; %bb.614:                              ;   in Loop: Header=BB262_16 Depth=1
	v_and_b32_e32 v28, 7, v3
	v_lshrrev_b32_e32 v8, 3, v9
	s_mov_b32 s25, exec_lo
	v_cmpx_gt_u32_e32 8, v9
; %bb.615:                              ;   in Loop: Header=BB262_16 Depth=1
	s_delay_alu instid0(VALU_DEP_3) | instskip(NEXT) | instid1(VALU_DEP_1)
	v_clz_i32_u32_e32 v8, v28
	v_min_u32_e32 v8, 32, v8
	s_delay_alu instid0(VALU_DEP_1) | instskip(SKIP_1) | instid1(VALU_DEP_2)
	v_subrev_nc_u32_e32 v9, 28, v8
	v_sub_nc_u32_e32 v8, 29, v8
	v_lshlrev_b64 v[18:19], v9, v[28:29]
	s_delay_alu instid0(VALU_DEP_1)
	v_and_b32_e32 v28, 7, v18
; %bb.616:                              ;   in Loop: Header=BB262_16 Depth=1
	s_or_b32 exec_lo, exec_lo, s25
	v_lshlrev_b32_e32 v3, 24, v3
	s_delay_alu instid0(VALU_DEP_2) | instskip(SKIP_1) | instid1(VALU_DEP_3)
	v_lshlrev_b32_e32 v9, 20, v28
	v_lshl_add_u32 v8, v8, 23, 0x3c000000
	v_and_b32_e32 v3, 0x80000000, v3
	s_delay_alu instid0(VALU_DEP_1) | instskip(NEXT) | instid1(VALU_DEP_1)
	v_or3_b32 v28, v9, v3, v8
	v_dual_mov_b32 v183, v29 :: v_dual_mov_b32 v182, v28
.LBB262_617:                            ;   in Loop: Header=BB262_16 Depth=1
	s_or_b32 exec_lo, exec_lo, s24
.LBB262_618:                            ;   in Loop: Header=BB262_16 Depth=1
	s_delay_alu instid0(SALU_CYCLE_1)
	s_or_b32 exec_lo, exec_lo, s23
.LBB262_619:                            ;   in Loop: Header=BB262_16 Depth=1
	s_delay_alu instid0(SALU_CYCLE_1) | instskip(NEXT) | instid1(SALU_CYCLE_1)
	s_or_b32 exec_lo, exec_lo, s2
	s_mov_b32 s23, exec_lo
	v_cmpx_lt_u32_e32 0xffffff, v2
	s_cbranch_execz .LBB262_627
; %bb.620:                              ;   in Loop: Header=BB262_16 Depth=1
	v_lshrrev_b32_e32 v3, 24, v2
	v_dual_mov_b32 v181, s17 :: v_dual_mov_b32 v180, s16
	s_mov_b32 s24, exec_lo
	s_delay_alu instid0(VALU_DEP_2)
	v_cmpx_ne_u32_e32 0x80, v3
	s_cbranch_execz .LBB262_626
; %bb.621:                              ;   in Loop: Header=BB262_16 Depth=1
	s_mov_b32 s2, s16
	v_bfe_u32 v8, v2, 24, 7
	v_dual_mov_b32 v181, s3 :: v_dual_mov_b32 v180, s2
	s_mov_b32 s2, exec_lo
	s_delay_alu instid0(VALU_DEP_2)
	v_cmpx_ne_u32_e32 0x7f, v8
	s_cbranch_execz .LBB262_625
; %bb.622:                              ;   in Loop: Header=BB262_16 Depth=1
	v_and_b32_e32 v28, 7, v3
	v_lshrrev_b32_e32 v2, 3, v8
	s_mov_b32 s25, exec_lo
	v_cmpx_gt_u32_e32 8, v8
; %bb.623:                              ;   in Loop: Header=BB262_16 Depth=1
	s_delay_alu instid0(VALU_DEP_3) | instskip(NEXT) | instid1(VALU_DEP_1)
	v_clz_i32_u32_e32 v2, v28
	v_min_u32_e32 v2, 32, v2
	s_delay_alu instid0(VALU_DEP_1) | instskip(SKIP_1) | instid1(VALU_DEP_2)
	v_subrev_nc_u32_e32 v8, 28, v2
	v_sub_nc_u32_e32 v2, 29, v2
	v_lshlrev_b64 v[8:9], v8, v[28:29]
	s_delay_alu instid0(VALU_DEP_1)
	v_and_b32_e32 v28, 7, v8
; %bb.624:                              ;   in Loop: Header=BB262_16 Depth=1
	s_or_b32 exec_lo, exec_lo, s25
	v_dual_mov_b32 v180, v29 :: v_dual_lshlrev_b32 v3, 24, v3
	s_delay_alu instid0(VALU_DEP_2) | instskip(SKIP_1) | instid1(VALU_DEP_3)
	v_lshlrev_b32_e32 v8, 20, v28
	v_lshl_add_u32 v2, v2, 23, 0x3c000000
	v_and_b32_e32 v3, 0x80000000, v3
	s_delay_alu instid0(VALU_DEP_1)
	v_or3_b32 v181, v8, v3, v2
.LBB262_625:                            ;   in Loop: Header=BB262_16 Depth=1
	s_or_b32 exec_lo, exec_lo, s2
.LBB262_626:                            ;   in Loop: Header=BB262_16 Depth=1
	s_delay_alu instid0(SALU_CYCLE_1)
	s_or_b32 exec_lo, exec_lo, s24
.LBB262_627:                            ;   in Loop: Header=BB262_16 Depth=1
	s_delay_alu instid0(SALU_CYCLE_1)
	s_or_b32 exec_lo, exec_lo, s23
	flat_load_b32 v2, v[124:125] offset:2060
	v_mov_b32_e32 v39, 0
	v_mov_b32_e32 v40, 0
	s_mov_b32 s2, exec_lo
	s_waitcnt vmcnt(0) lgkmcnt(0)
	s_delay_alu instid0(VALU_DEP_1) | instskip(SKIP_1) | instid1(VALU_DEP_2)
	v_dual_mov_b32 v42, v40 :: v_dual_and_b32 v3, 0xff, v2
	v_mov_b32_e32 v41, v39
	v_cmpx_ne_u16_e32 0, v3
	s_cbranch_execz .LBB262_635
; %bb.628:                              ;   in Loop: Header=BB262_16 Depth=1
	v_bfrev_b32_e32 v41, 1
	v_mov_b32_e32 v42, 0
	s_mov_b32 s23, exec_lo
	v_cmpx_ne_u16_e32 0x80, v3
	s_cbranch_execz .LBB262_634
; %bb.629:                              ;   in Loop: Header=BB262_16 Depth=1
	v_mov_b32_e32 v41, 0x7f800001
	v_and_b32_e32 v8, 0x7f, v2
	v_mov_b32_e32 v42, 0
	s_mov_b32 s24, exec_lo
	s_delay_alu instid0(VALU_DEP_2)
	v_cmpx_ne_u32_e32 0x7f, v8
	s_cbranch_execz .LBB262_633
; %bb.630:                              ;   in Loop: Header=BB262_16 Depth=1
	v_and_b32_e32 v28, 7, v2
	v_lshrrev_b32_e32 v3, 3, v8
	s_mov_b32 s25, exec_lo
	v_cmpx_gt_u32_e32 8, v8
; %bb.631:                              ;   in Loop: Header=BB262_16 Depth=1
	s_delay_alu instid0(VALU_DEP_3) | instskip(NEXT) | instid1(VALU_DEP_1)
	v_clz_i32_u32_e32 v3, v28
	v_min_u32_e32 v3, 32, v3
	s_delay_alu instid0(VALU_DEP_1) | instskip(SKIP_1) | instid1(VALU_DEP_2)
	v_subrev_nc_u32_e32 v8, 28, v3
	v_sub_nc_u32_e32 v3, 29, v3
	v_lshlrev_b64 v[8:9], v8, v[28:29]
	s_delay_alu instid0(VALU_DEP_1)
	v_and_b32_e32 v28, 7, v8
; %bb.632:                              ;   in Loop: Header=BB262_16 Depth=1
	s_or_b32 exec_lo, exec_lo, s25
	v_lshlrev_b32_e32 v8, 24, v2
	s_delay_alu instid0(VALU_DEP_2) | instskip(SKIP_1) | instid1(VALU_DEP_3)
	v_lshlrev_b32_e32 v9, 20, v28
	v_lshl_add_u32 v3, v3, 23, 0x3c000000
	v_and_b32_e32 v8, 0x80000000, v8
	s_delay_alu instid0(VALU_DEP_1) | instskip(NEXT) | instid1(VALU_DEP_1)
	v_or3_b32 v28, v9, v8, v3
	v_dual_mov_b32 v42, v29 :: v_dual_mov_b32 v41, v28
.LBB262_633:                            ;   in Loop: Header=BB262_16 Depth=1
	s_or_b32 exec_lo, exec_lo, s24
.LBB262_634:                            ;   in Loop: Header=BB262_16 Depth=1
	s_delay_alu instid0(SALU_CYCLE_1)
	s_or_b32 exec_lo, exec_lo, s23
.LBB262_635:                            ;   in Loop: Header=BB262_16 Depth=1
	s_delay_alu instid0(SALU_CYCLE_1) | instskip(SKIP_2) | instid1(VALU_DEP_1)
	s_or_b32 exec_lo, exec_lo, s2
	v_lshrrev_b16 v3, 8, v2
	s_mov_b32 s23, exec_lo
	v_cmpx_ne_u16_e32 0, v3
	s_cbranch_execz .LBB262_643
; %bb.636:                              ;   in Loop: Header=BB262_16 Depth=1
	v_dual_mov_b32 v40, s17 :: v_dual_mov_b32 v39, s16
	s_mov_b32 s24, exec_lo
	v_cmpx_ne_u16_e32 0x80, v3
	s_cbranch_execz .LBB262_642
; %bb.637:                              ;   in Loop: Header=BB262_16 Depth=1
	s_mov_b32 s2, s16
	v_dual_mov_b32 v40, s3 :: v_dual_and_b32 v3, 0xffff, v3
	v_mov_b32_e32 v39, s2
	s_mov_b32 s2, exec_lo
	s_delay_alu instid0(VALU_DEP_2) | instskip(NEXT) | instid1(VALU_DEP_1)
	v_and_b32_e32 v8, 0x7f, v3
	v_cmpx_ne_u32_e32 0x7f, v8
	s_cbranch_execz .LBB262_641
; %bb.638:                              ;   in Loop: Header=BB262_16 Depth=1
	v_and_b32_e32 v28, 7, v3
	v_lshrrev_b32_e32 v3, 3, v8
	s_mov_b32 s25, exec_lo
	v_cmpx_gt_u32_e32 8, v8
; %bb.639:                              ;   in Loop: Header=BB262_16 Depth=1
	s_delay_alu instid0(VALU_DEP_3) | instskip(NEXT) | instid1(VALU_DEP_1)
	v_clz_i32_u32_e32 v3, v28
	v_min_u32_e32 v3, 32, v3
	s_delay_alu instid0(VALU_DEP_1) | instskip(SKIP_1) | instid1(VALU_DEP_2)
	v_subrev_nc_u32_e32 v8, 28, v3
	v_sub_nc_u32_e32 v3, 29, v3
	v_lshlrev_b64 v[8:9], v8, v[28:29]
	s_delay_alu instid0(VALU_DEP_1)
	v_and_b32_e32 v28, 7, v8
; %bb.640:                              ;   in Loop: Header=BB262_16 Depth=1
	s_or_b32 exec_lo, exec_lo, s25
	v_dual_mov_b32 v39, v29 :: v_dual_lshlrev_b32 v8, 16, v2
	s_delay_alu instid0(VALU_DEP_2) | instskip(SKIP_1) | instid1(VALU_DEP_3)
	v_lshlrev_b32_e32 v9, 20, v28
	v_lshl_add_u32 v3, v3, 23, 0x3c000000
	v_and_b32_e32 v8, 0x80000000, v8
	s_delay_alu instid0(VALU_DEP_1)
	v_or3_b32 v40, v9, v8, v3
.LBB262_641:                            ;   in Loop: Header=BB262_16 Depth=1
	s_or_b32 exec_lo, exec_lo, s2
.LBB262_642:                            ;   in Loop: Header=BB262_16 Depth=1
	s_delay_alu instid0(SALU_CYCLE_1)
	s_or_b32 exec_lo, exec_lo, s24
.LBB262_643:                            ;   in Loop: Header=BB262_16 Depth=1
	s_delay_alu instid0(SALU_CYCLE_1) | instskip(SKIP_4) | instid1(VALU_DEP_3)
	s_or_b32 exec_lo, exec_lo, s23
	v_lshrrev_b32_e32 v3, 16, v2
	v_mov_b32_e32 v43, 0
	v_mov_b32_e32 v44, 0
	s_mov_b32 s2, exec_lo
	v_and_b32_e32 v8, 0xff, v3
	s_delay_alu instid0(VALU_DEP_2) | instskip(NEXT) | instid1(VALU_DEP_2)
	v_dual_mov_b32 v46, v44 :: v_dual_mov_b32 v45, v43
	v_cmpx_ne_u16_e32 0, v8
	s_cbranch_execz .LBB262_651
; %bb.644:                              ;   in Loop: Header=BB262_16 Depth=1
	v_bfrev_b32_e32 v45, 1
	v_mov_b32_e32 v46, 0
	s_mov_b32 s23, exec_lo
	v_cmpx_ne_u16_e32 0x80, v8
	s_cbranch_execz .LBB262_650
; %bb.645:                              ;   in Loop: Header=BB262_16 Depth=1
	v_mov_b32_e32 v45, 0x7f800001
	v_bfe_u32 v9, v2, 16, 7
	v_mov_b32_e32 v46, 0
	s_mov_b32 s24, exec_lo
	s_delay_alu instid0(VALU_DEP_2)
	v_cmpx_ne_u32_e32 0x7f, v9
	s_cbranch_execz .LBB262_649
; %bb.646:                              ;   in Loop: Header=BB262_16 Depth=1
	v_and_b32_e32 v28, 7, v3
	v_lshrrev_b32_e32 v8, 3, v9
	s_mov_b32 s25, exec_lo
	v_cmpx_gt_u32_e32 8, v9
; %bb.647:                              ;   in Loop: Header=BB262_16 Depth=1
	s_delay_alu instid0(VALU_DEP_3) | instskip(NEXT) | instid1(VALU_DEP_1)
	v_clz_i32_u32_e32 v8, v28
	v_min_u32_e32 v8, 32, v8
	s_delay_alu instid0(VALU_DEP_1) | instskip(SKIP_1) | instid1(VALU_DEP_2)
	v_subrev_nc_u32_e32 v9, 28, v8
	v_sub_nc_u32_e32 v8, 29, v8
	v_lshlrev_b64 v[18:19], v9, v[28:29]
	s_delay_alu instid0(VALU_DEP_1)
	v_and_b32_e32 v28, 7, v18
; %bb.648:                              ;   in Loop: Header=BB262_16 Depth=1
	s_or_b32 exec_lo, exec_lo, s25
	v_lshlrev_b32_e32 v3, 24, v3
	s_delay_alu instid0(VALU_DEP_2) | instskip(SKIP_1) | instid1(VALU_DEP_3)
	v_lshlrev_b32_e32 v9, 20, v28
	v_lshl_add_u32 v8, v8, 23, 0x3c000000
	v_and_b32_e32 v3, 0x80000000, v3
	s_delay_alu instid0(VALU_DEP_1) | instskip(NEXT) | instid1(VALU_DEP_1)
	v_or3_b32 v28, v9, v3, v8
	v_dual_mov_b32 v46, v29 :: v_dual_mov_b32 v45, v28
.LBB262_649:                            ;   in Loop: Header=BB262_16 Depth=1
	s_or_b32 exec_lo, exec_lo, s24
.LBB262_650:                            ;   in Loop: Header=BB262_16 Depth=1
	s_delay_alu instid0(SALU_CYCLE_1)
	s_or_b32 exec_lo, exec_lo, s23
.LBB262_651:                            ;   in Loop: Header=BB262_16 Depth=1
	s_delay_alu instid0(SALU_CYCLE_1) | instskip(NEXT) | instid1(SALU_CYCLE_1)
	s_or_b32 exec_lo, exec_lo, s2
	s_mov_b32 s23, exec_lo
	v_cmpx_lt_u32_e32 0xffffff, v2
	s_cbranch_execz .LBB262_659
; %bb.652:                              ;   in Loop: Header=BB262_16 Depth=1
	v_lshrrev_b32_e32 v3, 24, v2
	v_dual_mov_b32 v44, s17 :: v_dual_mov_b32 v43, s16
	s_mov_b32 s24, exec_lo
	s_delay_alu instid0(VALU_DEP_2)
	v_cmpx_ne_u32_e32 0x80, v3
	s_cbranch_execz .LBB262_658
; %bb.653:                              ;   in Loop: Header=BB262_16 Depth=1
	s_mov_b32 s2, s16
	v_bfe_u32 v8, v2, 24, 7
	v_dual_mov_b32 v44, s3 :: v_dual_mov_b32 v43, s2
	s_mov_b32 s2, exec_lo
	s_delay_alu instid0(VALU_DEP_2)
	v_cmpx_ne_u32_e32 0x7f, v8
	s_cbranch_execz .LBB262_657
; %bb.654:                              ;   in Loop: Header=BB262_16 Depth=1
	v_and_b32_e32 v28, 7, v3
	v_lshrrev_b32_e32 v2, 3, v8
	s_mov_b32 s25, exec_lo
	v_cmpx_gt_u32_e32 8, v8
; %bb.655:                              ;   in Loop: Header=BB262_16 Depth=1
	s_delay_alu instid0(VALU_DEP_3) | instskip(NEXT) | instid1(VALU_DEP_1)
	v_clz_i32_u32_e32 v2, v28
	v_min_u32_e32 v2, 32, v2
	s_delay_alu instid0(VALU_DEP_1) | instskip(SKIP_1) | instid1(VALU_DEP_2)
	v_subrev_nc_u32_e32 v8, 28, v2
	v_sub_nc_u32_e32 v2, 29, v2
	v_lshlrev_b64 v[8:9], v8, v[28:29]
	s_delay_alu instid0(VALU_DEP_1)
	v_and_b32_e32 v28, 7, v8
; %bb.656:                              ;   in Loop: Header=BB262_16 Depth=1
	s_or_b32 exec_lo, exec_lo, s25
	v_lshlrev_b32_e32 v3, 24, v3
	s_delay_alu instid0(VALU_DEP_2) | instskip(SKIP_1) | instid1(VALU_DEP_3)
	v_dual_mov_b32 v43, v29 :: v_dual_lshlrev_b32 v8, 20, v28
	v_lshl_add_u32 v2, v2, 23, 0x3c000000
	v_and_b32_e32 v3, 0x80000000, v3
	s_delay_alu instid0(VALU_DEP_1)
	v_or3_b32 v44, v8, v3, v2
.LBB262_657:                            ;   in Loop: Header=BB262_16 Depth=1
	s_or_b32 exec_lo, exec_lo, s2
.LBB262_658:                            ;   in Loop: Header=BB262_16 Depth=1
	s_delay_alu instid0(SALU_CYCLE_1)
	s_or_b32 exec_lo, exec_lo, s24
.LBB262_659:                            ;   in Loop: Header=BB262_16 Depth=1
	s_delay_alu instid0(SALU_CYCLE_1) | instskip(SKIP_4) | instid1(VALU_DEP_1)
	s_or_b32 exec_lo, exec_lo, s23
	flat_load_b32 v2, v[124:125] offset:2560
	v_mov_b32_e32 v56, 0
	v_mov_b32_e32 v57, 0
	s_mov_b32 s2, exec_lo
	v_dual_mov_b32 v59, v57 :: v_dual_mov_b32 v58, v56
	s_waitcnt vmcnt(0) lgkmcnt(0)
	v_and_b32_e32 v3, 0xff, v2
	s_delay_alu instid0(VALU_DEP_1)
	v_cmpx_ne_u16_e32 0, v3
	s_cbranch_execz .LBB262_667
; %bb.660:                              ;   in Loop: Header=BB262_16 Depth=1
	v_bfrev_b32_e32 v58, 1
	v_mov_b32_e32 v59, 0
	s_mov_b32 s23, exec_lo
	v_cmpx_ne_u16_e32 0x80, v3
	s_cbranch_execz .LBB262_666
; %bb.661:                              ;   in Loop: Header=BB262_16 Depth=1
	v_mov_b32_e32 v58, 0x7f800001
	v_dual_mov_b32 v59, 0 :: v_dual_and_b32 v8, 0x7f, v2
	s_mov_b32 s24, exec_lo
	s_delay_alu instid0(VALU_DEP_1)
	v_cmpx_ne_u32_e32 0x7f, v8
	s_cbranch_execz .LBB262_665
; %bb.662:                              ;   in Loop: Header=BB262_16 Depth=1
	v_and_b32_e32 v28, 7, v2
	v_lshrrev_b32_e32 v3, 3, v8
	s_mov_b32 s25, exec_lo
	v_cmpx_gt_u32_e32 8, v8
; %bb.663:                              ;   in Loop: Header=BB262_16 Depth=1
	s_delay_alu instid0(VALU_DEP_3) | instskip(NEXT) | instid1(VALU_DEP_1)
	v_clz_i32_u32_e32 v3, v28
	v_min_u32_e32 v3, 32, v3
	s_delay_alu instid0(VALU_DEP_1) | instskip(SKIP_1) | instid1(VALU_DEP_2)
	v_subrev_nc_u32_e32 v8, 28, v3
	v_sub_nc_u32_e32 v3, 29, v3
	v_lshlrev_b64 v[8:9], v8, v[28:29]
	s_delay_alu instid0(VALU_DEP_1)
	v_and_b32_e32 v28, 7, v8
; %bb.664:                              ;   in Loop: Header=BB262_16 Depth=1
	s_or_b32 exec_lo, exec_lo, s25
	v_lshlrev_b32_e32 v8, 24, v2
	s_delay_alu instid0(VALU_DEP_2) | instskip(SKIP_1) | instid1(VALU_DEP_3)
	v_lshlrev_b32_e32 v9, 20, v28
	v_lshl_add_u32 v3, v3, 23, 0x3c000000
	v_and_b32_e32 v8, 0x80000000, v8
	s_delay_alu instid0(VALU_DEP_1) | instskip(NEXT) | instid1(VALU_DEP_1)
	v_or3_b32 v28, v9, v8, v3
	v_dual_mov_b32 v59, v29 :: v_dual_mov_b32 v58, v28
.LBB262_665:                            ;   in Loop: Header=BB262_16 Depth=1
	s_or_b32 exec_lo, exec_lo, s24
.LBB262_666:                            ;   in Loop: Header=BB262_16 Depth=1
	s_delay_alu instid0(SALU_CYCLE_1)
	s_or_b32 exec_lo, exec_lo, s23
.LBB262_667:                            ;   in Loop: Header=BB262_16 Depth=1
	s_delay_alu instid0(SALU_CYCLE_1) | instskip(SKIP_2) | instid1(VALU_DEP_1)
	s_or_b32 exec_lo, exec_lo, s2
	v_lshrrev_b16 v3, 8, v2
	s_mov_b32 s23, exec_lo
	v_cmpx_ne_u16_e32 0, v3
	s_cbranch_execz .LBB262_675
; %bb.668:                              ;   in Loop: Header=BB262_16 Depth=1
	v_dual_mov_b32 v57, s17 :: v_dual_mov_b32 v56, s16
	s_mov_b32 s24, exec_lo
	v_cmpx_ne_u16_e32 0x80, v3
	s_cbranch_execz .LBB262_674
; %bb.669:                              ;   in Loop: Header=BB262_16 Depth=1
	s_mov_b32 s2, s16
	v_and_b32_e32 v3, 0xffff, v3
	v_dual_mov_b32 v57, s3 :: v_dual_mov_b32 v56, s2
	s_mov_b32 s2, exec_lo
	s_delay_alu instid0(VALU_DEP_2) | instskip(NEXT) | instid1(VALU_DEP_1)
	v_and_b32_e32 v8, 0x7f, v3
	v_cmpx_ne_u32_e32 0x7f, v8
	s_cbranch_execz .LBB262_673
; %bb.670:                              ;   in Loop: Header=BB262_16 Depth=1
	v_and_b32_e32 v28, 7, v3
	v_lshrrev_b32_e32 v3, 3, v8
	s_mov_b32 s25, exec_lo
	v_cmpx_gt_u32_e32 8, v8
; %bb.671:                              ;   in Loop: Header=BB262_16 Depth=1
	s_delay_alu instid0(VALU_DEP_3) | instskip(NEXT) | instid1(VALU_DEP_1)
	v_clz_i32_u32_e32 v3, v28
	v_min_u32_e32 v3, 32, v3
	s_delay_alu instid0(VALU_DEP_1) | instskip(SKIP_1) | instid1(VALU_DEP_2)
	v_subrev_nc_u32_e32 v8, 28, v3
	v_sub_nc_u32_e32 v3, 29, v3
	v_lshlrev_b64 v[8:9], v8, v[28:29]
	s_delay_alu instid0(VALU_DEP_1)
	v_and_b32_e32 v28, 7, v8
; %bb.672:                              ;   in Loop: Header=BB262_16 Depth=1
	s_or_b32 exec_lo, exec_lo, s25
	v_lshlrev_b32_e32 v8, 16, v2
	s_delay_alu instid0(VALU_DEP_2) | instskip(SKIP_1) | instid1(VALU_DEP_3)
	v_dual_mov_b32 v56, v29 :: v_dual_lshlrev_b32 v9, 20, v28
	v_lshl_add_u32 v3, v3, 23, 0x3c000000
	v_and_b32_e32 v8, 0x80000000, v8
	s_delay_alu instid0(VALU_DEP_1)
	v_or3_b32 v57, v9, v8, v3
.LBB262_673:                            ;   in Loop: Header=BB262_16 Depth=1
	s_or_b32 exec_lo, exec_lo, s2
.LBB262_674:                            ;   in Loop: Header=BB262_16 Depth=1
	s_delay_alu instid0(SALU_CYCLE_1)
	s_or_b32 exec_lo, exec_lo, s24
.LBB262_675:                            ;   in Loop: Header=BB262_16 Depth=1
	s_delay_alu instid0(SALU_CYCLE_1) | instskip(SKIP_4) | instid1(VALU_DEP_1)
	s_or_b32 exec_lo, exec_lo, s23
	v_mov_b32_e32 v60, 0
	v_lshrrev_b32_e32 v3, 16, v2
	v_mov_b32_e32 v61, 0
	s_mov_b32 s2, exec_lo
	v_dual_mov_b32 v63, v61 :: v_dual_and_b32 v8, 0xff, v3
	v_mov_b32_e32 v62, v60
	s_delay_alu instid0(VALU_DEP_2)
	v_cmpx_ne_u16_e32 0, v8
	s_cbranch_execz .LBB262_683
; %bb.676:                              ;   in Loop: Header=BB262_16 Depth=1
	v_bfrev_b32_e32 v62, 1
	v_mov_b32_e32 v63, 0
	s_mov_b32 s23, exec_lo
	v_cmpx_ne_u16_e32 0x80, v8
	s_cbranch_execz .LBB262_682
; %bb.677:                              ;   in Loop: Header=BB262_16 Depth=1
	v_mov_b32_e32 v62, 0x7f800001
	v_bfe_u32 v9, v2, 16, 7
	v_mov_b32_e32 v63, 0
	s_mov_b32 s24, exec_lo
	s_delay_alu instid0(VALU_DEP_2)
	v_cmpx_ne_u32_e32 0x7f, v9
	s_cbranch_execz .LBB262_681
; %bb.678:                              ;   in Loop: Header=BB262_16 Depth=1
	v_and_b32_e32 v28, 7, v3
	v_lshrrev_b32_e32 v8, 3, v9
	s_mov_b32 s25, exec_lo
	v_cmpx_gt_u32_e32 8, v9
; %bb.679:                              ;   in Loop: Header=BB262_16 Depth=1
	s_delay_alu instid0(VALU_DEP_3) | instskip(NEXT) | instid1(VALU_DEP_1)
	v_clz_i32_u32_e32 v8, v28
	v_min_u32_e32 v8, 32, v8
	s_delay_alu instid0(VALU_DEP_1) | instskip(SKIP_1) | instid1(VALU_DEP_2)
	v_subrev_nc_u32_e32 v9, 28, v8
	v_sub_nc_u32_e32 v8, 29, v8
	v_lshlrev_b64 v[18:19], v9, v[28:29]
	s_delay_alu instid0(VALU_DEP_1)
	v_and_b32_e32 v28, 7, v18
; %bb.680:                              ;   in Loop: Header=BB262_16 Depth=1
	s_or_b32 exec_lo, exec_lo, s25
	v_lshlrev_b32_e32 v3, 24, v3
	s_delay_alu instid0(VALU_DEP_2) | instskip(SKIP_1) | instid1(VALU_DEP_3)
	v_lshlrev_b32_e32 v9, 20, v28
	v_lshl_add_u32 v8, v8, 23, 0x3c000000
	v_and_b32_e32 v3, 0x80000000, v3
	s_delay_alu instid0(VALU_DEP_1) | instskip(NEXT) | instid1(VALU_DEP_1)
	v_or3_b32 v28, v9, v3, v8
	v_dual_mov_b32 v63, v29 :: v_dual_mov_b32 v62, v28
.LBB262_681:                            ;   in Loop: Header=BB262_16 Depth=1
	s_or_b32 exec_lo, exec_lo, s24
.LBB262_682:                            ;   in Loop: Header=BB262_16 Depth=1
	s_delay_alu instid0(SALU_CYCLE_1)
	s_or_b32 exec_lo, exec_lo, s23
.LBB262_683:                            ;   in Loop: Header=BB262_16 Depth=1
	s_delay_alu instid0(SALU_CYCLE_1) | instskip(NEXT) | instid1(SALU_CYCLE_1)
	s_or_b32 exec_lo, exec_lo, s2
	s_mov_b32 s23, exec_lo
	v_cmpx_lt_u32_e32 0xffffff, v2
	s_cbranch_execz .LBB262_691
; %bb.684:                              ;   in Loop: Header=BB262_16 Depth=1
	v_lshrrev_b32_e32 v3, 24, v2
	v_dual_mov_b32 v61, s17 :: v_dual_mov_b32 v60, s16
	s_mov_b32 s24, exec_lo
	s_delay_alu instid0(VALU_DEP_2)
	v_cmpx_ne_u32_e32 0x80, v3
	s_cbranch_execz .LBB262_690
; %bb.685:                              ;   in Loop: Header=BB262_16 Depth=1
	s_mov_b32 s2, s16
	v_bfe_u32 v8, v2, 24, 7
	v_dual_mov_b32 v61, s3 :: v_dual_mov_b32 v60, s2
	s_mov_b32 s2, exec_lo
	s_delay_alu instid0(VALU_DEP_2)
	v_cmpx_ne_u32_e32 0x7f, v8
	s_cbranch_execz .LBB262_689
; %bb.686:                              ;   in Loop: Header=BB262_16 Depth=1
	v_and_b32_e32 v28, 7, v3
	v_lshrrev_b32_e32 v2, 3, v8
	s_mov_b32 s25, exec_lo
	v_cmpx_gt_u32_e32 8, v8
; %bb.687:                              ;   in Loop: Header=BB262_16 Depth=1
	s_delay_alu instid0(VALU_DEP_3) | instskip(NEXT) | instid1(VALU_DEP_1)
	v_clz_i32_u32_e32 v2, v28
	v_min_u32_e32 v2, 32, v2
	s_delay_alu instid0(VALU_DEP_1) | instskip(SKIP_1) | instid1(VALU_DEP_2)
	v_subrev_nc_u32_e32 v8, 28, v2
	v_sub_nc_u32_e32 v2, 29, v2
	v_lshlrev_b64 v[8:9], v8, v[28:29]
	s_delay_alu instid0(VALU_DEP_1)
	v_and_b32_e32 v28, 7, v8
; %bb.688:                              ;   in Loop: Header=BB262_16 Depth=1
	s_or_b32 exec_lo, exec_lo, s25
	v_dual_mov_b32 v60, v29 :: v_dual_lshlrev_b32 v3, 24, v3
	s_delay_alu instid0(VALU_DEP_2) | instskip(SKIP_1) | instid1(VALU_DEP_3)
	v_lshlrev_b32_e32 v8, 20, v28
	v_lshl_add_u32 v2, v2, 23, 0x3c000000
	v_and_b32_e32 v3, 0x80000000, v3
	s_delay_alu instid0(VALU_DEP_1)
	v_or3_b32 v61, v8, v3, v2
.LBB262_689:                            ;   in Loop: Header=BB262_16 Depth=1
	s_or_b32 exec_lo, exec_lo, s2
.LBB262_690:                            ;   in Loop: Header=BB262_16 Depth=1
	s_delay_alu instid0(SALU_CYCLE_1)
	s_or_b32 exec_lo, exec_lo, s24
.LBB262_691:                            ;   in Loop: Header=BB262_16 Depth=1
	s_delay_alu instid0(SALU_CYCLE_1) | instskip(SKIP_4) | instid1(VALU_DEP_1)
	s_or_b32 exec_lo, exec_lo, s23
	flat_load_b32 v2, v[124:125] offset:2564
	v_mov_b32_e32 v72, 0
	v_mov_b32_e32 v73, 0
	s_mov_b32 s2, exec_lo
	v_dual_mov_b32 v75, v73 :: v_dual_mov_b32 v74, v72
	s_waitcnt vmcnt(0) lgkmcnt(0)
	v_and_b32_e32 v3, 0xff, v2
	s_delay_alu instid0(VALU_DEP_1)
	v_cmpx_ne_u16_e32 0, v3
	s_cbranch_execz .LBB262_699
; %bb.692:                              ;   in Loop: Header=BB262_16 Depth=1
	v_bfrev_b32_e32 v74, 1
	v_mov_b32_e32 v75, 0
	s_mov_b32 s23, exec_lo
	v_cmpx_ne_u16_e32 0x80, v3
	s_cbranch_execz .LBB262_698
; %bb.693:                              ;   in Loop: Header=BB262_16 Depth=1
	v_mov_b32_e32 v74, 0x7f800001
	v_dual_mov_b32 v75, 0 :: v_dual_and_b32 v8, 0x7f, v2
	s_mov_b32 s24, exec_lo
	s_delay_alu instid0(VALU_DEP_1)
	v_cmpx_ne_u32_e32 0x7f, v8
	s_cbranch_execz .LBB262_697
; %bb.694:                              ;   in Loop: Header=BB262_16 Depth=1
	v_and_b32_e32 v28, 7, v2
	v_lshrrev_b32_e32 v3, 3, v8
	s_mov_b32 s25, exec_lo
	v_cmpx_gt_u32_e32 8, v8
; %bb.695:                              ;   in Loop: Header=BB262_16 Depth=1
	s_delay_alu instid0(VALU_DEP_3) | instskip(NEXT) | instid1(VALU_DEP_1)
	v_clz_i32_u32_e32 v3, v28
	v_min_u32_e32 v3, 32, v3
	s_delay_alu instid0(VALU_DEP_1) | instskip(SKIP_1) | instid1(VALU_DEP_2)
	v_subrev_nc_u32_e32 v8, 28, v3
	v_sub_nc_u32_e32 v3, 29, v3
	v_lshlrev_b64 v[8:9], v8, v[28:29]
	s_delay_alu instid0(VALU_DEP_1)
	v_and_b32_e32 v28, 7, v8
; %bb.696:                              ;   in Loop: Header=BB262_16 Depth=1
	s_or_b32 exec_lo, exec_lo, s25
	v_lshlrev_b32_e32 v8, 24, v2
	s_delay_alu instid0(VALU_DEP_2) | instskip(SKIP_1) | instid1(VALU_DEP_3)
	v_lshlrev_b32_e32 v9, 20, v28
	v_lshl_add_u32 v3, v3, 23, 0x3c000000
	v_and_b32_e32 v8, 0x80000000, v8
	s_delay_alu instid0(VALU_DEP_1) | instskip(NEXT) | instid1(VALU_DEP_1)
	v_or3_b32 v28, v9, v8, v3
	v_dual_mov_b32 v75, v29 :: v_dual_mov_b32 v74, v28
.LBB262_697:                            ;   in Loop: Header=BB262_16 Depth=1
	s_or_b32 exec_lo, exec_lo, s24
.LBB262_698:                            ;   in Loop: Header=BB262_16 Depth=1
	s_delay_alu instid0(SALU_CYCLE_1)
	s_or_b32 exec_lo, exec_lo, s23
.LBB262_699:                            ;   in Loop: Header=BB262_16 Depth=1
	s_delay_alu instid0(SALU_CYCLE_1) | instskip(SKIP_2) | instid1(VALU_DEP_1)
	s_or_b32 exec_lo, exec_lo, s2
	v_lshrrev_b16 v3, 8, v2
	s_mov_b32 s23, exec_lo
	v_cmpx_ne_u16_e32 0, v3
	s_cbranch_execz .LBB262_707
; %bb.700:                              ;   in Loop: Header=BB262_16 Depth=1
	v_dual_mov_b32 v73, s17 :: v_dual_mov_b32 v72, s16
	s_mov_b32 s24, exec_lo
	v_cmpx_ne_u16_e32 0x80, v3
	s_cbranch_execz .LBB262_706
; %bb.701:                              ;   in Loop: Header=BB262_16 Depth=1
	s_mov_b32 s2, s16
	v_and_b32_e32 v3, 0xffff, v3
	v_dual_mov_b32 v73, s3 :: v_dual_mov_b32 v72, s2
	s_mov_b32 s2, exec_lo
	s_delay_alu instid0(VALU_DEP_2) | instskip(NEXT) | instid1(VALU_DEP_1)
	v_and_b32_e32 v8, 0x7f, v3
	v_cmpx_ne_u32_e32 0x7f, v8
	s_cbranch_execz .LBB262_705
; %bb.702:                              ;   in Loop: Header=BB262_16 Depth=1
	v_and_b32_e32 v28, 7, v3
	v_lshrrev_b32_e32 v3, 3, v8
	s_mov_b32 s25, exec_lo
	v_cmpx_gt_u32_e32 8, v8
; %bb.703:                              ;   in Loop: Header=BB262_16 Depth=1
	s_delay_alu instid0(VALU_DEP_3) | instskip(NEXT) | instid1(VALU_DEP_1)
	v_clz_i32_u32_e32 v3, v28
	v_min_u32_e32 v3, 32, v3
	s_delay_alu instid0(VALU_DEP_1) | instskip(SKIP_1) | instid1(VALU_DEP_2)
	v_subrev_nc_u32_e32 v8, 28, v3
	v_sub_nc_u32_e32 v3, 29, v3
	v_lshlrev_b64 v[8:9], v8, v[28:29]
	s_delay_alu instid0(VALU_DEP_1)
	v_and_b32_e32 v28, 7, v8
; %bb.704:                              ;   in Loop: Header=BB262_16 Depth=1
	s_or_b32 exec_lo, exec_lo, s25
	v_lshlrev_b32_e32 v8, 16, v2
	s_delay_alu instid0(VALU_DEP_2) | instskip(SKIP_1) | instid1(VALU_DEP_3)
	v_dual_mov_b32 v72, v29 :: v_dual_lshlrev_b32 v9, 20, v28
	v_lshl_add_u32 v3, v3, 23, 0x3c000000
	v_and_b32_e32 v8, 0x80000000, v8
	s_delay_alu instid0(VALU_DEP_1)
	v_or3_b32 v73, v9, v8, v3
.LBB262_705:                            ;   in Loop: Header=BB262_16 Depth=1
	s_or_b32 exec_lo, exec_lo, s2
.LBB262_706:                            ;   in Loop: Header=BB262_16 Depth=1
	s_delay_alu instid0(SALU_CYCLE_1)
	s_or_b32 exec_lo, exec_lo, s24
.LBB262_707:                            ;   in Loop: Header=BB262_16 Depth=1
	s_delay_alu instid0(SALU_CYCLE_1) | instskip(SKIP_4) | instid1(VALU_DEP_1)
	s_or_b32 exec_lo, exec_lo, s23
	v_mov_b32_e32 v76, 0
	v_lshrrev_b32_e32 v3, 16, v2
	v_mov_b32_e32 v77, 0
	s_mov_b32 s2, exec_lo
	v_dual_mov_b32 v79, v77 :: v_dual_and_b32 v8, 0xff, v3
	v_mov_b32_e32 v78, v76
	s_delay_alu instid0(VALU_DEP_2)
	v_cmpx_ne_u16_e32 0, v8
	s_cbranch_execz .LBB262_715
; %bb.708:                              ;   in Loop: Header=BB262_16 Depth=1
	v_bfrev_b32_e32 v78, 1
	v_mov_b32_e32 v79, 0
	s_mov_b32 s23, exec_lo
	v_cmpx_ne_u16_e32 0x80, v8
	s_cbranch_execz .LBB262_714
; %bb.709:                              ;   in Loop: Header=BB262_16 Depth=1
	v_mov_b32_e32 v78, 0x7f800001
	v_bfe_u32 v9, v2, 16, 7
	v_mov_b32_e32 v79, 0
	s_mov_b32 s24, exec_lo
	s_delay_alu instid0(VALU_DEP_2)
	v_cmpx_ne_u32_e32 0x7f, v9
	s_cbranch_execz .LBB262_713
; %bb.710:                              ;   in Loop: Header=BB262_16 Depth=1
	v_and_b32_e32 v28, 7, v3
	v_lshrrev_b32_e32 v8, 3, v9
	s_mov_b32 s25, exec_lo
	v_cmpx_gt_u32_e32 8, v9
; %bb.711:                              ;   in Loop: Header=BB262_16 Depth=1
	s_delay_alu instid0(VALU_DEP_3) | instskip(NEXT) | instid1(VALU_DEP_1)
	v_clz_i32_u32_e32 v8, v28
	v_min_u32_e32 v8, 32, v8
	s_delay_alu instid0(VALU_DEP_1) | instskip(SKIP_1) | instid1(VALU_DEP_2)
	v_subrev_nc_u32_e32 v9, 28, v8
	v_sub_nc_u32_e32 v8, 29, v8
	v_lshlrev_b64 v[18:19], v9, v[28:29]
	s_delay_alu instid0(VALU_DEP_1)
	v_and_b32_e32 v28, 7, v18
; %bb.712:                              ;   in Loop: Header=BB262_16 Depth=1
	s_or_b32 exec_lo, exec_lo, s25
	v_lshlrev_b32_e32 v3, 24, v3
	s_delay_alu instid0(VALU_DEP_2) | instskip(SKIP_1) | instid1(VALU_DEP_3)
	v_lshlrev_b32_e32 v9, 20, v28
	v_lshl_add_u32 v8, v8, 23, 0x3c000000
	v_and_b32_e32 v3, 0x80000000, v3
	s_delay_alu instid0(VALU_DEP_1) | instskip(NEXT) | instid1(VALU_DEP_1)
	v_or3_b32 v28, v9, v3, v8
	v_dual_mov_b32 v79, v29 :: v_dual_mov_b32 v78, v28
.LBB262_713:                            ;   in Loop: Header=BB262_16 Depth=1
	s_or_b32 exec_lo, exec_lo, s24
.LBB262_714:                            ;   in Loop: Header=BB262_16 Depth=1
	s_delay_alu instid0(SALU_CYCLE_1)
	s_or_b32 exec_lo, exec_lo, s23
.LBB262_715:                            ;   in Loop: Header=BB262_16 Depth=1
	s_delay_alu instid0(SALU_CYCLE_1) | instskip(NEXT) | instid1(SALU_CYCLE_1)
	s_or_b32 exec_lo, exec_lo, s2
	s_mov_b32 s23, exec_lo
	v_cmpx_lt_u32_e32 0xffffff, v2
	s_cbranch_execz .LBB262_723
; %bb.716:                              ;   in Loop: Header=BB262_16 Depth=1
	v_lshrrev_b32_e32 v3, 24, v2
	v_dual_mov_b32 v77, s17 :: v_dual_mov_b32 v76, s16
	s_mov_b32 s24, exec_lo
	s_delay_alu instid0(VALU_DEP_2)
	v_cmpx_ne_u32_e32 0x80, v3
	s_cbranch_execz .LBB262_722
; %bb.717:                              ;   in Loop: Header=BB262_16 Depth=1
	s_mov_b32 s2, s16
	v_bfe_u32 v8, v2, 24, 7
	v_dual_mov_b32 v77, s3 :: v_dual_mov_b32 v76, s2
	s_mov_b32 s2, exec_lo
	s_delay_alu instid0(VALU_DEP_2)
	v_cmpx_ne_u32_e32 0x7f, v8
	s_cbranch_execz .LBB262_721
; %bb.718:                              ;   in Loop: Header=BB262_16 Depth=1
	v_and_b32_e32 v28, 7, v3
	v_lshrrev_b32_e32 v2, 3, v8
	s_mov_b32 s25, exec_lo
	v_cmpx_gt_u32_e32 8, v8
; %bb.719:                              ;   in Loop: Header=BB262_16 Depth=1
	s_delay_alu instid0(VALU_DEP_3) | instskip(NEXT) | instid1(VALU_DEP_1)
	v_clz_i32_u32_e32 v2, v28
	v_min_u32_e32 v2, 32, v2
	s_delay_alu instid0(VALU_DEP_1) | instskip(SKIP_1) | instid1(VALU_DEP_2)
	v_subrev_nc_u32_e32 v8, 28, v2
	v_sub_nc_u32_e32 v2, 29, v2
	v_lshlrev_b64 v[8:9], v8, v[28:29]
	s_delay_alu instid0(VALU_DEP_1)
	v_and_b32_e32 v28, 7, v8
; %bb.720:                              ;   in Loop: Header=BB262_16 Depth=1
	s_or_b32 exec_lo, exec_lo, s25
	v_dual_mov_b32 v76, v29 :: v_dual_lshlrev_b32 v3, 24, v3
	s_delay_alu instid0(VALU_DEP_2) | instskip(SKIP_1) | instid1(VALU_DEP_3)
	v_lshlrev_b32_e32 v8, 20, v28
	v_lshl_add_u32 v2, v2, 23, 0x3c000000
	v_and_b32_e32 v3, 0x80000000, v3
	s_delay_alu instid0(VALU_DEP_1)
	v_or3_b32 v77, v8, v3, v2
.LBB262_721:                            ;   in Loop: Header=BB262_16 Depth=1
	s_or_b32 exec_lo, exec_lo, s2
.LBB262_722:                            ;   in Loop: Header=BB262_16 Depth=1
	s_delay_alu instid0(SALU_CYCLE_1)
	s_or_b32 exec_lo, exec_lo, s24
.LBB262_723:                            ;   in Loop: Header=BB262_16 Depth=1
	s_delay_alu instid0(SALU_CYCLE_1) | instskip(SKIP_3) | instid1(VALU_DEP_2)
	s_or_b32 exec_lo, exec_lo, s23
	flat_load_b32 v2, v[124:125] offset:2568
	v_mov_b32_e32 v104, 0
	v_mov_b32_e32 v105, 0
	;; [unrolled: 1-line block ×3, first 2 shown]
	s_mov_b32 s2, exec_lo
	s_waitcnt vmcnt(0) lgkmcnt(0)
	s_delay_alu instid0(VALU_DEP_2) | instskip(NEXT) | instid1(VALU_DEP_1)
	v_dual_mov_b32 v34, v105 :: v_dual_and_b32 v3, 0xff, v2
	v_cmpx_ne_u16_e32 0, v3
	s_cbranch_execz .LBB262_731
; %bb.724:                              ;   in Loop: Header=BB262_16 Depth=1
	v_bfrev_b32_e32 v33, 1
	v_mov_b32_e32 v34, 0
	s_mov_b32 s23, exec_lo
	v_cmpx_ne_u16_e32 0x80, v3
	s_cbranch_execz .LBB262_730
; %bb.725:                              ;   in Loop: Header=BB262_16 Depth=1
	v_mov_b32_e32 v33, 0x7f800001
	v_and_b32_e32 v8, 0x7f, v2
	v_mov_b32_e32 v34, 0
	s_mov_b32 s24, exec_lo
	s_delay_alu instid0(VALU_DEP_2)
	v_cmpx_ne_u32_e32 0x7f, v8
	s_cbranch_execz .LBB262_729
; %bb.726:                              ;   in Loop: Header=BB262_16 Depth=1
	v_and_b32_e32 v28, 7, v2
	v_lshrrev_b32_e32 v3, 3, v8
	s_mov_b32 s25, exec_lo
	v_cmpx_gt_u32_e32 8, v8
; %bb.727:                              ;   in Loop: Header=BB262_16 Depth=1
	s_delay_alu instid0(VALU_DEP_3) | instskip(NEXT) | instid1(VALU_DEP_1)
	v_clz_i32_u32_e32 v3, v28
	v_min_u32_e32 v3, 32, v3
	s_delay_alu instid0(VALU_DEP_1) | instskip(SKIP_1) | instid1(VALU_DEP_2)
	v_subrev_nc_u32_e32 v8, 28, v3
	v_sub_nc_u32_e32 v3, 29, v3
	v_lshlrev_b64 v[8:9], v8, v[28:29]
	s_delay_alu instid0(VALU_DEP_1)
	v_and_b32_e32 v28, 7, v8
; %bb.728:                              ;   in Loop: Header=BB262_16 Depth=1
	s_or_b32 exec_lo, exec_lo, s25
	v_lshlrev_b32_e32 v8, 24, v2
	s_delay_alu instid0(VALU_DEP_2) | instskip(SKIP_1) | instid1(VALU_DEP_3)
	v_lshlrev_b32_e32 v9, 20, v28
	v_lshl_add_u32 v3, v3, 23, 0x3c000000
	v_and_b32_e32 v8, 0x80000000, v8
	s_delay_alu instid0(VALU_DEP_1) | instskip(NEXT) | instid1(VALU_DEP_1)
	v_or3_b32 v28, v9, v8, v3
	v_dual_mov_b32 v34, v29 :: v_dual_mov_b32 v33, v28
.LBB262_729:                            ;   in Loop: Header=BB262_16 Depth=1
	s_or_b32 exec_lo, exec_lo, s24
.LBB262_730:                            ;   in Loop: Header=BB262_16 Depth=1
	s_delay_alu instid0(SALU_CYCLE_1)
	s_or_b32 exec_lo, exec_lo, s23
.LBB262_731:                            ;   in Loop: Header=BB262_16 Depth=1
	s_delay_alu instid0(SALU_CYCLE_1) | instskip(SKIP_2) | instid1(VALU_DEP_1)
	s_or_b32 exec_lo, exec_lo, s2
	v_lshrrev_b16 v3, 8, v2
	s_mov_b32 s23, exec_lo
	v_cmpx_ne_u16_e32 0, v3
	s_cbranch_execz .LBB262_739
; %bb.732:                              ;   in Loop: Header=BB262_16 Depth=1
	v_dual_mov_b32 v105, s17 :: v_dual_mov_b32 v104, s16
	s_mov_b32 s24, exec_lo
	v_cmpx_ne_u16_e32 0x80, v3
	s_cbranch_execz .LBB262_738
; %bb.733:                              ;   in Loop: Header=BB262_16 Depth=1
	s_mov_b32 s2, s16
	v_and_b32_e32 v3, 0xffff, v3
	v_dual_mov_b32 v105, s3 :: v_dual_mov_b32 v104, s2
	s_mov_b32 s2, exec_lo
	s_delay_alu instid0(VALU_DEP_2) | instskip(NEXT) | instid1(VALU_DEP_1)
	v_and_b32_e32 v8, 0x7f, v3
	v_cmpx_ne_u32_e32 0x7f, v8
	s_cbranch_execz .LBB262_737
; %bb.734:                              ;   in Loop: Header=BB262_16 Depth=1
	v_and_b32_e32 v28, 7, v3
	v_lshrrev_b32_e32 v3, 3, v8
	s_mov_b32 s25, exec_lo
	v_cmpx_gt_u32_e32 8, v8
; %bb.735:                              ;   in Loop: Header=BB262_16 Depth=1
	s_delay_alu instid0(VALU_DEP_3) | instskip(NEXT) | instid1(VALU_DEP_1)
	v_clz_i32_u32_e32 v3, v28
	v_min_u32_e32 v3, 32, v3
	s_delay_alu instid0(VALU_DEP_1) | instskip(SKIP_1) | instid1(VALU_DEP_2)
	v_subrev_nc_u32_e32 v8, 28, v3
	v_sub_nc_u32_e32 v3, 29, v3
	v_lshlrev_b64 v[8:9], v8, v[28:29]
	s_delay_alu instid0(VALU_DEP_1)
	v_and_b32_e32 v28, 7, v8
; %bb.736:                              ;   in Loop: Header=BB262_16 Depth=1
	s_or_b32 exec_lo, exec_lo, s25
	v_lshlrev_b32_e32 v8, 16, v2
	s_delay_alu instid0(VALU_DEP_2) | instskip(SKIP_1) | instid1(VALU_DEP_3)
	v_dual_mov_b32 v104, v29 :: v_dual_lshlrev_b32 v9, 20, v28
	v_lshl_add_u32 v3, v3, 23, 0x3c000000
	v_and_b32_e32 v8, 0x80000000, v8
	s_delay_alu instid0(VALU_DEP_1)
	v_or3_b32 v105, v9, v8, v3
.LBB262_737:                            ;   in Loop: Header=BB262_16 Depth=1
	s_or_b32 exec_lo, exec_lo, s2
.LBB262_738:                            ;   in Loop: Header=BB262_16 Depth=1
	s_delay_alu instid0(SALU_CYCLE_1)
	s_or_b32 exec_lo, exec_lo, s24
.LBB262_739:                            ;   in Loop: Header=BB262_16 Depth=1
	s_delay_alu instid0(SALU_CYCLE_1) | instskip(SKIP_4) | instid1(VALU_DEP_1)
	s_or_b32 exec_lo, exec_lo, s23
	v_mov_b32_e32 v108, 0
	v_lshrrev_b32_e32 v3, 16, v2
	v_mov_b32_e32 v109, 0
	s_mov_b32 s2, exec_lo
	v_dual_mov_b32 v121, v109 :: v_dual_and_b32 v8, 0xff, v3
	v_mov_b32_e32 v120, v108
	s_delay_alu instid0(VALU_DEP_2)
	v_cmpx_ne_u16_e32 0, v8
	s_cbranch_execz .LBB262_747
; %bb.740:                              ;   in Loop: Header=BB262_16 Depth=1
	v_bfrev_b32_e32 v120, 1
	v_mov_b32_e32 v121, 0
	s_mov_b32 s23, exec_lo
	v_cmpx_ne_u16_e32 0x80, v8
	s_cbranch_execz .LBB262_746
; %bb.741:                              ;   in Loop: Header=BB262_16 Depth=1
	v_mov_b32_e32 v120, 0x7f800001
	v_bfe_u32 v9, v2, 16, 7
	v_mov_b32_e32 v121, 0
	s_mov_b32 s24, exec_lo
	s_delay_alu instid0(VALU_DEP_2)
	v_cmpx_ne_u32_e32 0x7f, v9
	s_cbranch_execz .LBB262_745
; %bb.742:                              ;   in Loop: Header=BB262_16 Depth=1
	v_and_b32_e32 v28, 7, v3
	v_lshrrev_b32_e32 v8, 3, v9
	s_mov_b32 s25, exec_lo
	v_cmpx_gt_u32_e32 8, v9
; %bb.743:                              ;   in Loop: Header=BB262_16 Depth=1
	s_delay_alu instid0(VALU_DEP_3) | instskip(NEXT) | instid1(VALU_DEP_1)
	v_clz_i32_u32_e32 v8, v28
	v_min_u32_e32 v8, 32, v8
	s_delay_alu instid0(VALU_DEP_1) | instskip(SKIP_1) | instid1(VALU_DEP_2)
	v_subrev_nc_u32_e32 v9, 28, v8
	v_sub_nc_u32_e32 v8, 29, v8
	v_lshlrev_b64 v[18:19], v9, v[28:29]
	s_delay_alu instid0(VALU_DEP_1)
	v_and_b32_e32 v28, 7, v18
; %bb.744:                              ;   in Loop: Header=BB262_16 Depth=1
	s_or_b32 exec_lo, exec_lo, s25
	v_lshlrev_b32_e32 v3, 24, v3
	s_delay_alu instid0(VALU_DEP_2) | instskip(SKIP_1) | instid1(VALU_DEP_3)
	v_lshlrev_b32_e32 v9, 20, v28
	v_lshl_add_u32 v8, v8, 23, 0x3c000000
	v_and_b32_e32 v3, 0x80000000, v3
	s_delay_alu instid0(VALU_DEP_1) | instskip(NEXT) | instid1(VALU_DEP_1)
	v_or3_b32 v28, v9, v3, v8
	v_dual_mov_b32 v121, v29 :: v_dual_mov_b32 v120, v28
.LBB262_745:                            ;   in Loop: Header=BB262_16 Depth=1
	s_or_b32 exec_lo, exec_lo, s24
.LBB262_746:                            ;   in Loop: Header=BB262_16 Depth=1
	s_delay_alu instid0(SALU_CYCLE_1)
	s_or_b32 exec_lo, exec_lo, s23
.LBB262_747:                            ;   in Loop: Header=BB262_16 Depth=1
	s_delay_alu instid0(SALU_CYCLE_1) | instskip(NEXT) | instid1(SALU_CYCLE_1)
	s_or_b32 exec_lo, exec_lo, s2
	s_mov_b32 s23, exec_lo
	v_cmpx_lt_u32_e32 0xffffff, v2
	s_cbranch_execz .LBB262_755
; %bb.748:                              ;   in Loop: Header=BB262_16 Depth=1
	v_lshrrev_b32_e32 v3, 24, v2
	v_dual_mov_b32 v109, s17 :: v_dual_mov_b32 v108, s16
	s_mov_b32 s24, exec_lo
	s_delay_alu instid0(VALU_DEP_2)
	v_cmpx_ne_u32_e32 0x80, v3
	s_cbranch_execz .LBB262_754
; %bb.749:                              ;   in Loop: Header=BB262_16 Depth=1
	s_mov_b32 s2, s16
	v_bfe_u32 v8, v2, 24, 7
	v_dual_mov_b32 v109, s3 :: v_dual_mov_b32 v108, s2
	s_mov_b32 s2, exec_lo
	s_delay_alu instid0(VALU_DEP_2)
	v_cmpx_ne_u32_e32 0x7f, v8
	s_cbranch_execz .LBB262_753
; %bb.750:                              ;   in Loop: Header=BB262_16 Depth=1
	v_and_b32_e32 v28, 7, v3
	v_lshrrev_b32_e32 v2, 3, v8
	s_mov_b32 s25, exec_lo
	v_cmpx_gt_u32_e32 8, v8
; %bb.751:                              ;   in Loop: Header=BB262_16 Depth=1
	s_delay_alu instid0(VALU_DEP_3) | instskip(NEXT) | instid1(VALU_DEP_1)
	v_clz_i32_u32_e32 v2, v28
	v_min_u32_e32 v2, 32, v2
	s_delay_alu instid0(VALU_DEP_1) | instskip(SKIP_1) | instid1(VALU_DEP_2)
	v_subrev_nc_u32_e32 v8, 28, v2
	v_sub_nc_u32_e32 v2, 29, v2
	v_lshlrev_b64 v[8:9], v8, v[28:29]
	s_delay_alu instid0(VALU_DEP_1)
	v_and_b32_e32 v28, 7, v8
; %bb.752:                              ;   in Loop: Header=BB262_16 Depth=1
	s_or_b32 exec_lo, exec_lo, s25
	v_dual_mov_b32 v108, v29 :: v_dual_lshlrev_b32 v3, 24, v3
	s_delay_alu instid0(VALU_DEP_2) | instskip(SKIP_1) | instid1(VALU_DEP_3)
	v_lshlrev_b32_e32 v8, 20, v28
	v_lshl_add_u32 v2, v2, 23, 0x3c000000
	v_and_b32_e32 v3, 0x80000000, v3
	s_delay_alu instid0(VALU_DEP_1)
	v_or3_b32 v109, v8, v3, v2
.LBB262_753:                            ;   in Loop: Header=BB262_16 Depth=1
	s_or_b32 exec_lo, exec_lo, s2
.LBB262_754:                            ;   in Loop: Header=BB262_16 Depth=1
	s_delay_alu instid0(SALU_CYCLE_1)
	s_or_b32 exec_lo, exec_lo, s24
.LBB262_755:                            ;   in Loop: Header=BB262_16 Depth=1
	s_delay_alu instid0(SALU_CYCLE_1) | instskip(SKIP_4) | instid1(VALU_DEP_1)
	s_or_b32 exec_lo, exec_lo, s23
	flat_load_b32 v2, v[124:125] offset:2572
	v_mov_b32_e32 v126, 0
	v_mov_b32_e32 v127, 0
	s_mov_b32 s2, exec_lo
	v_dual_mov_b32 v139, v127 :: v_dual_mov_b32 v138, v126
	s_waitcnt vmcnt(0) lgkmcnt(0)
	v_and_b32_e32 v3, 0xff, v2
	s_delay_alu instid0(VALU_DEP_1)
	v_cmpx_ne_u16_e32 0, v3
	s_cbranch_execz .LBB262_763
; %bb.756:                              ;   in Loop: Header=BB262_16 Depth=1
	v_bfrev_b32_e32 v138, 1
	v_mov_b32_e32 v139, 0
	s_mov_b32 s23, exec_lo
	v_cmpx_ne_u16_e32 0x80, v3
	s_cbranch_execz .LBB262_762
; %bb.757:                              ;   in Loop: Header=BB262_16 Depth=1
	v_mov_b32_e32 v138, 0x7f800001
	v_dual_mov_b32 v139, 0 :: v_dual_and_b32 v8, 0x7f, v2
	s_mov_b32 s24, exec_lo
	s_delay_alu instid0(VALU_DEP_1)
	v_cmpx_ne_u32_e32 0x7f, v8
	s_cbranch_execz .LBB262_761
; %bb.758:                              ;   in Loop: Header=BB262_16 Depth=1
	v_and_b32_e32 v28, 7, v2
	v_lshrrev_b32_e32 v3, 3, v8
	s_mov_b32 s25, exec_lo
	v_cmpx_gt_u32_e32 8, v8
; %bb.759:                              ;   in Loop: Header=BB262_16 Depth=1
	s_delay_alu instid0(VALU_DEP_3) | instskip(NEXT) | instid1(VALU_DEP_1)
	v_clz_i32_u32_e32 v3, v28
	v_min_u32_e32 v3, 32, v3
	s_delay_alu instid0(VALU_DEP_1) | instskip(SKIP_1) | instid1(VALU_DEP_2)
	v_subrev_nc_u32_e32 v8, 28, v3
	v_sub_nc_u32_e32 v3, 29, v3
	v_lshlrev_b64 v[8:9], v8, v[28:29]
	s_delay_alu instid0(VALU_DEP_1)
	v_and_b32_e32 v28, 7, v8
; %bb.760:                              ;   in Loop: Header=BB262_16 Depth=1
	s_or_b32 exec_lo, exec_lo, s25
	v_lshlrev_b32_e32 v8, 24, v2
	s_delay_alu instid0(VALU_DEP_2) | instskip(SKIP_1) | instid1(VALU_DEP_3)
	v_lshlrev_b32_e32 v9, 20, v28
	v_lshl_add_u32 v3, v3, 23, 0x3c000000
	v_and_b32_e32 v8, 0x80000000, v8
	s_delay_alu instid0(VALU_DEP_1) | instskip(NEXT) | instid1(VALU_DEP_1)
	v_or3_b32 v28, v9, v8, v3
	v_dual_mov_b32 v139, v29 :: v_dual_mov_b32 v138, v28
.LBB262_761:                            ;   in Loop: Header=BB262_16 Depth=1
	s_or_b32 exec_lo, exec_lo, s24
.LBB262_762:                            ;   in Loop: Header=BB262_16 Depth=1
	s_delay_alu instid0(SALU_CYCLE_1)
	s_or_b32 exec_lo, exec_lo, s23
.LBB262_763:                            ;   in Loop: Header=BB262_16 Depth=1
	s_delay_alu instid0(SALU_CYCLE_1) | instskip(SKIP_2) | instid1(VALU_DEP_1)
	s_or_b32 exec_lo, exec_lo, s2
	v_lshrrev_b16 v3, 8, v2
	s_mov_b32 s23, exec_lo
	v_cmpx_ne_u16_e32 0, v3
	s_cbranch_execz .LBB262_771
; %bb.764:                              ;   in Loop: Header=BB262_16 Depth=1
	v_dual_mov_b32 v127, s17 :: v_dual_mov_b32 v126, s16
	s_mov_b32 s24, exec_lo
	v_cmpx_ne_u16_e32 0x80, v3
	s_cbranch_execz .LBB262_770
; %bb.765:                              ;   in Loop: Header=BB262_16 Depth=1
	s_mov_b32 s2, s16
	v_and_b32_e32 v3, 0xffff, v3
	v_dual_mov_b32 v127, s3 :: v_dual_mov_b32 v126, s2
	s_mov_b32 s2, exec_lo
	s_delay_alu instid0(VALU_DEP_2) | instskip(NEXT) | instid1(VALU_DEP_1)
	v_and_b32_e32 v8, 0x7f, v3
	v_cmpx_ne_u32_e32 0x7f, v8
	s_cbranch_execz .LBB262_769
; %bb.766:                              ;   in Loop: Header=BB262_16 Depth=1
	v_and_b32_e32 v28, 7, v3
	v_lshrrev_b32_e32 v3, 3, v8
	s_mov_b32 s25, exec_lo
	v_cmpx_gt_u32_e32 8, v8
; %bb.767:                              ;   in Loop: Header=BB262_16 Depth=1
	s_delay_alu instid0(VALU_DEP_3) | instskip(NEXT) | instid1(VALU_DEP_1)
	v_clz_i32_u32_e32 v3, v28
	v_min_u32_e32 v3, 32, v3
	s_delay_alu instid0(VALU_DEP_1) | instskip(SKIP_1) | instid1(VALU_DEP_2)
	v_subrev_nc_u32_e32 v8, 28, v3
	v_sub_nc_u32_e32 v3, 29, v3
	v_lshlrev_b64 v[8:9], v8, v[28:29]
	s_delay_alu instid0(VALU_DEP_1)
	v_and_b32_e32 v28, 7, v8
; %bb.768:                              ;   in Loop: Header=BB262_16 Depth=1
	s_or_b32 exec_lo, exec_lo, s25
	v_lshlrev_b32_e32 v8, 16, v2
	s_delay_alu instid0(VALU_DEP_2) | instskip(SKIP_1) | instid1(VALU_DEP_3)
	v_dual_mov_b32 v126, v29 :: v_dual_lshlrev_b32 v9, 20, v28
	v_lshl_add_u32 v3, v3, 23, 0x3c000000
	v_and_b32_e32 v8, 0x80000000, v8
	s_delay_alu instid0(VALU_DEP_1)
	v_or3_b32 v127, v9, v8, v3
.LBB262_769:                            ;   in Loop: Header=BB262_16 Depth=1
	s_or_b32 exec_lo, exec_lo, s2
.LBB262_770:                            ;   in Loop: Header=BB262_16 Depth=1
	s_delay_alu instid0(SALU_CYCLE_1)
	s_or_b32 exec_lo, exec_lo, s24
.LBB262_771:                            ;   in Loop: Header=BB262_16 Depth=1
	s_delay_alu instid0(SALU_CYCLE_1) | instskip(SKIP_4) | instid1(VALU_DEP_1)
	s_or_b32 exec_lo, exec_lo, s23
	v_mov_b32_e32 v152, 0
	v_lshrrev_b32_e32 v3, 16, v2
	v_mov_b32_e32 v153, 0
	s_mov_b32 s2, exec_lo
	v_dual_mov_b32 v157, v153 :: v_dual_and_b32 v8, 0xff, v3
	v_mov_b32_e32 v156, v152
	s_delay_alu instid0(VALU_DEP_2)
	v_cmpx_ne_u16_e32 0, v8
	s_cbranch_execz .LBB262_779
; %bb.772:                              ;   in Loop: Header=BB262_16 Depth=1
	v_bfrev_b32_e32 v156, 1
	v_mov_b32_e32 v157, 0
	s_mov_b32 s23, exec_lo
	v_cmpx_ne_u16_e32 0x80, v8
	s_cbranch_execz .LBB262_778
; %bb.773:                              ;   in Loop: Header=BB262_16 Depth=1
	v_mov_b32_e32 v156, 0x7f800001
	v_bfe_u32 v9, v2, 16, 7
	v_mov_b32_e32 v157, 0
	s_mov_b32 s24, exec_lo
	s_delay_alu instid0(VALU_DEP_2)
	v_cmpx_ne_u32_e32 0x7f, v9
	s_cbranch_execz .LBB262_777
; %bb.774:                              ;   in Loop: Header=BB262_16 Depth=1
	v_and_b32_e32 v28, 7, v3
	v_lshrrev_b32_e32 v8, 3, v9
	s_mov_b32 s25, exec_lo
	v_cmpx_gt_u32_e32 8, v9
; %bb.775:                              ;   in Loop: Header=BB262_16 Depth=1
	s_delay_alu instid0(VALU_DEP_3) | instskip(NEXT) | instid1(VALU_DEP_1)
	v_clz_i32_u32_e32 v8, v28
	v_min_u32_e32 v8, 32, v8
	s_delay_alu instid0(VALU_DEP_1) | instskip(SKIP_1) | instid1(VALU_DEP_2)
	v_subrev_nc_u32_e32 v9, 28, v8
	v_sub_nc_u32_e32 v8, 29, v8
	v_lshlrev_b64 v[18:19], v9, v[28:29]
	s_delay_alu instid0(VALU_DEP_1)
	v_and_b32_e32 v28, 7, v18
; %bb.776:                              ;   in Loop: Header=BB262_16 Depth=1
	s_or_b32 exec_lo, exec_lo, s25
	v_lshlrev_b32_e32 v3, 24, v3
	s_delay_alu instid0(VALU_DEP_2) | instskip(SKIP_1) | instid1(VALU_DEP_3)
	v_lshlrev_b32_e32 v9, 20, v28
	v_lshl_add_u32 v8, v8, 23, 0x3c000000
	v_and_b32_e32 v3, 0x80000000, v3
	s_delay_alu instid0(VALU_DEP_1) | instskip(NEXT) | instid1(VALU_DEP_1)
	v_or3_b32 v28, v9, v3, v8
	v_dual_mov_b32 v157, v29 :: v_dual_mov_b32 v156, v28
.LBB262_777:                            ;   in Loop: Header=BB262_16 Depth=1
	s_or_b32 exec_lo, exec_lo, s24
.LBB262_778:                            ;   in Loop: Header=BB262_16 Depth=1
	s_delay_alu instid0(SALU_CYCLE_1)
	s_or_b32 exec_lo, exec_lo, s23
.LBB262_779:                            ;   in Loop: Header=BB262_16 Depth=1
	s_delay_alu instid0(SALU_CYCLE_1) | instskip(NEXT) | instid1(SALU_CYCLE_1)
	s_or_b32 exec_lo, exec_lo, s2
	s_mov_b32 s23, exec_lo
	v_cmpx_lt_u32_e32 0xffffff, v2
	s_cbranch_execz .LBB262_787
; %bb.780:                              ;   in Loop: Header=BB262_16 Depth=1
	v_lshrrev_b32_e32 v3, 24, v2
	v_dual_mov_b32 v153, s17 :: v_dual_mov_b32 v152, s16
	s_mov_b32 s24, exec_lo
	s_delay_alu instid0(VALU_DEP_2)
	v_cmpx_ne_u32_e32 0x80, v3
	s_cbranch_execz .LBB262_786
; %bb.781:                              ;   in Loop: Header=BB262_16 Depth=1
	s_mov_b32 s2, s16
	v_bfe_u32 v8, v2, 24, 7
	v_dual_mov_b32 v153, s3 :: v_dual_mov_b32 v152, s2
	s_mov_b32 s2, exec_lo
	s_delay_alu instid0(VALU_DEP_2)
	v_cmpx_ne_u32_e32 0x7f, v8
	s_cbranch_execz .LBB262_785
; %bb.782:                              ;   in Loop: Header=BB262_16 Depth=1
	v_and_b32_e32 v28, 7, v3
	v_lshrrev_b32_e32 v2, 3, v8
	s_mov_b32 s25, exec_lo
	v_cmpx_gt_u32_e32 8, v8
; %bb.783:                              ;   in Loop: Header=BB262_16 Depth=1
	s_delay_alu instid0(VALU_DEP_3) | instskip(NEXT) | instid1(VALU_DEP_1)
	v_clz_i32_u32_e32 v2, v28
	v_min_u32_e32 v2, 32, v2
	s_delay_alu instid0(VALU_DEP_1) | instskip(SKIP_1) | instid1(VALU_DEP_2)
	v_subrev_nc_u32_e32 v8, 28, v2
	v_sub_nc_u32_e32 v2, 29, v2
	v_lshlrev_b64 v[8:9], v8, v[28:29]
	s_delay_alu instid0(VALU_DEP_1)
	v_and_b32_e32 v28, 7, v8
; %bb.784:                              ;   in Loop: Header=BB262_16 Depth=1
	s_or_b32 exec_lo, exec_lo, s25
	v_dual_mov_b32 v152, v29 :: v_dual_lshlrev_b32 v3, 24, v3
	s_delay_alu instid0(VALU_DEP_2) | instskip(SKIP_1) | instid1(VALU_DEP_3)
	v_lshlrev_b32_e32 v8, 20, v28
	v_lshl_add_u32 v2, v2, 23, 0x3c000000
	v_and_b32_e32 v3, 0x80000000, v3
	s_delay_alu instid0(VALU_DEP_1)
	v_or3_b32 v153, v8, v3, v2
.LBB262_785:                            ;   in Loop: Header=BB262_16 Depth=1
	s_or_b32 exec_lo, exec_lo, s2
.LBB262_786:                            ;   in Loop: Header=BB262_16 Depth=1
	s_delay_alu instid0(SALU_CYCLE_1)
	s_or_b32 exec_lo, exec_lo, s24
.LBB262_787:                            ;   in Loop: Header=BB262_16 Depth=1
	s_delay_alu instid0(SALU_CYCLE_1) | instskip(SKIP_4) | instid1(VALU_DEP_1)
	s_or_b32 exec_lo, exec_lo, s23
	flat_load_b32 v2, v[124:125] offset:3072
	v_mov_b32_e32 v168, 0
	v_mov_b32_e32 v169, 0
	s_mov_b32 s2, exec_lo
	v_dual_mov_b32 v173, v169 :: v_dual_mov_b32 v172, v168
	s_waitcnt vmcnt(0) lgkmcnt(0)
	v_and_b32_e32 v3, 0xff, v2
	s_delay_alu instid0(VALU_DEP_1)
	v_cmpx_ne_u16_e32 0, v3
	s_cbranch_execz .LBB262_795
; %bb.788:                              ;   in Loop: Header=BB262_16 Depth=1
	v_bfrev_b32_e32 v172, 1
	v_mov_b32_e32 v173, 0
	s_mov_b32 s23, exec_lo
	v_cmpx_ne_u16_e32 0x80, v3
	s_cbranch_execz .LBB262_794
; %bb.789:                              ;   in Loop: Header=BB262_16 Depth=1
	v_mov_b32_e32 v172, 0x7f800001
	v_dual_mov_b32 v173, 0 :: v_dual_and_b32 v8, 0x7f, v2
	s_mov_b32 s24, exec_lo
	s_delay_alu instid0(VALU_DEP_1)
	v_cmpx_ne_u32_e32 0x7f, v8
	s_cbranch_execz .LBB262_793
; %bb.790:                              ;   in Loop: Header=BB262_16 Depth=1
	v_and_b32_e32 v28, 7, v2
	v_lshrrev_b32_e32 v3, 3, v8
	s_mov_b32 s25, exec_lo
	v_cmpx_gt_u32_e32 8, v8
; %bb.791:                              ;   in Loop: Header=BB262_16 Depth=1
	s_delay_alu instid0(VALU_DEP_3) | instskip(NEXT) | instid1(VALU_DEP_1)
	v_clz_i32_u32_e32 v3, v28
	v_min_u32_e32 v3, 32, v3
	s_delay_alu instid0(VALU_DEP_1) | instskip(SKIP_1) | instid1(VALU_DEP_2)
	v_subrev_nc_u32_e32 v8, 28, v3
	v_sub_nc_u32_e32 v3, 29, v3
	v_lshlrev_b64 v[8:9], v8, v[28:29]
	s_delay_alu instid0(VALU_DEP_1)
	v_and_b32_e32 v28, 7, v8
; %bb.792:                              ;   in Loop: Header=BB262_16 Depth=1
	s_or_b32 exec_lo, exec_lo, s25
	v_lshlrev_b32_e32 v8, 24, v2
	s_delay_alu instid0(VALU_DEP_2) | instskip(SKIP_1) | instid1(VALU_DEP_3)
	v_lshlrev_b32_e32 v9, 20, v28
	v_lshl_add_u32 v3, v3, 23, 0x3c000000
	v_and_b32_e32 v8, 0x80000000, v8
	s_delay_alu instid0(VALU_DEP_1) | instskip(NEXT) | instid1(VALU_DEP_1)
	v_or3_b32 v28, v9, v8, v3
	v_dual_mov_b32 v173, v29 :: v_dual_mov_b32 v172, v28
.LBB262_793:                            ;   in Loop: Header=BB262_16 Depth=1
	s_or_b32 exec_lo, exec_lo, s24
.LBB262_794:                            ;   in Loop: Header=BB262_16 Depth=1
	s_delay_alu instid0(SALU_CYCLE_1)
	s_or_b32 exec_lo, exec_lo, s23
.LBB262_795:                            ;   in Loop: Header=BB262_16 Depth=1
	s_delay_alu instid0(SALU_CYCLE_1) | instskip(SKIP_2) | instid1(VALU_DEP_1)
	s_or_b32 exec_lo, exec_lo, s2
	v_lshrrev_b16 v3, 8, v2
	s_mov_b32 s23, exec_lo
	v_cmpx_ne_u16_e32 0, v3
	s_cbranch_execz .LBB262_803
; %bb.796:                              ;   in Loop: Header=BB262_16 Depth=1
	v_dual_mov_b32 v169, s17 :: v_dual_mov_b32 v168, s16
	s_mov_b32 s24, exec_lo
	v_cmpx_ne_u16_e32 0x80, v3
	s_cbranch_execz .LBB262_802
; %bb.797:                              ;   in Loop: Header=BB262_16 Depth=1
	s_mov_b32 s2, s16
	v_and_b32_e32 v3, 0xffff, v3
	v_dual_mov_b32 v169, s3 :: v_dual_mov_b32 v168, s2
	s_mov_b32 s2, exec_lo
	s_delay_alu instid0(VALU_DEP_2) | instskip(NEXT) | instid1(VALU_DEP_1)
	v_and_b32_e32 v8, 0x7f, v3
	v_cmpx_ne_u32_e32 0x7f, v8
	s_cbranch_execz .LBB262_801
; %bb.798:                              ;   in Loop: Header=BB262_16 Depth=1
	v_and_b32_e32 v28, 7, v3
	v_lshrrev_b32_e32 v3, 3, v8
	s_mov_b32 s25, exec_lo
	v_cmpx_gt_u32_e32 8, v8
; %bb.799:                              ;   in Loop: Header=BB262_16 Depth=1
	s_delay_alu instid0(VALU_DEP_3) | instskip(NEXT) | instid1(VALU_DEP_1)
	v_clz_i32_u32_e32 v3, v28
	v_min_u32_e32 v3, 32, v3
	s_delay_alu instid0(VALU_DEP_1) | instskip(SKIP_1) | instid1(VALU_DEP_2)
	v_subrev_nc_u32_e32 v8, 28, v3
	v_sub_nc_u32_e32 v3, 29, v3
	v_lshlrev_b64 v[8:9], v8, v[28:29]
	s_delay_alu instid0(VALU_DEP_1)
	v_and_b32_e32 v28, 7, v8
; %bb.800:                              ;   in Loop: Header=BB262_16 Depth=1
	s_or_b32 exec_lo, exec_lo, s25
	v_lshlrev_b32_e32 v8, 16, v2
	s_delay_alu instid0(VALU_DEP_2) | instskip(SKIP_1) | instid1(VALU_DEP_3)
	v_dual_mov_b32 v168, v29 :: v_dual_lshlrev_b32 v9, 20, v28
	v_lshl_add_u32 v3, v3, 23, 0x3c000000
	v_and_b32_e32 v8, 0x80000000, v8
	s_delay_alu instid0(VALU_DEP_1)
	v_or3_b32 v169, v9, v8, v3
.LBB262_801:                            ;   in Loop: Header=BB262_16 Depth=1
	s_or_b32 exec_lo, exec_lo, s2
.LBB262_802:                            ;   in Loop: Header=BB262_16 Depth=1
	s_delay_alu instid0(SALU_CYCLE_1)
	s_or_b32 exec_lo, exec_lo, s24
.LBB262_803:                            ;   in Loop: Header=BB262_16 Depth=1
	s_delay_alu instid0(SALU_CYCLE_1) | instskip(SKIP_4) | instid1(VALU_DEP_1)
	s_or_b32 exec_lo, exec_lo, s23
	v_mov_b32_e32 v184, 0
	v_lshrrev_b32_e32 v3, 16, v2
	v_mov_b32_e32 v185, 0
	s_mov_b32 s2, exec_lo
	v_dual_mov_b32 v189, v185 :: v_dual_and_b32 v8, 0xff, v3
	v_mov_b32_e32 v188, v184
	s_delay_alu instid0(VALU_DEP_2)
	v_cmpx_ne_u16_e32 0, v8
	s_cbranch_execz .LBB262_811
; %bb.804:                              ;   in Loop: Header=BB262_16 Depth=1
	v_bfrev_b32_e32 v188, 1
	v_mov_b32_e32 v189, 0
	s_mov_b32 s23, exec_lo
	v_cmpx_ne_u16_e32 0x80, v8
	s_cbranch_execz .LBB262_810
; %bb.805:                              ;   in Loop: Header=BB262_16 Depth=1
	v_mov_b32_e32 v188, 0x7f800001
	v_bfe_u32 v9, v2, 16, 7
	v_mov_b32_e32 v189, 0
	s_mov_b32 s24, exec_lo
	s_delay_alu instid0(VALU_DEP_2)
	v_cmpx_ne_u32_e32 0x7f, v9
	s_cbranch_execz .LBB262_809
; %bb.806:                              ;   in Loop: Header=BB262_16 Depth=1
	v_and_b32_e32 v28, 7, v3
	v_lshrrev_b32_e32 v8, 3, v9
	s_mov_b32 s25, exec_lo
	v_cmpx_gt_u32_e32 8, v9
; %bb.807:                              ;   in Loop: Header=BB262_16 Depth=1
	s_delay_alu instid0(VALU_DEP_3) | instskip(NEXT) | instid1(VALU_DEP_1)
	v_clz_i32_u32_e32 v8, v28
	v_min_u32_e32 v8, 32, v8
	s_delay_alu instid0(VALU_DEP_1) | instskip(SKIP_1) | instid1(VALU_DEP_2)
	v_subrev_nc_u32_e32 v9, 28, v8
	v_sub_nc_u32_e32 v8, 29, v8
	v_lshlrev_b64 v[18:19], v9, v[28:29]
	s_delay_alu instid0(VALU_DEP_1)
	v_and_b32_e32 v28, 7, v18
; %bb.808:                              ;   in Loop: Header=BB262_16 Depth=1
	s_or_b32 exec_lo, exec_lo, s25
	v_lshlrev_b32_e32 v3, 24, v3
	s_delay_alu instid0(VALU_DEP_2) | instskip(SKIP_1) | instid1(VALU_DEP_3)
	v_lshlrev_b32_e32 v9, 20, v28
	v_lshl_add_u32 v8, v8, 23, 0x3c000000
	v_and_b32_e32 v3, 0x80000000, v3
	s_delay_alu instid0(VALU_DEP_1) | instskip(NEXT) | instid1(VALU_DEP_1)
	v_or3_b32 v28, v9, v3, v8
	v_dual_mov_b32 v189, v29 :: v_dual_mov_b32 v188, v28
.LBB262_809:                            ;   in Loop: Header=BB262_16 Depth=1
	s_or_b32 exec_lo, exec_lo, s24
.LBB262_810:                            ;   in Loop: Header=BB262_16 Depth=1
	s_delay_alu instid0(SALU_CYCLE_1)
	s_or_b32 exec_lo, exec_lo, s23
.LBB262_811:                            ;   in Loop: Header=BB262_16 Depth=1
	s_delay_alu instid0(SALU_CYCLE_1) | instskip(NEXT) | instid1(SALU_CYCLE_1)
	s_or_b32 exec_lo, exec_lo, s2
	s_mov_b32 s23, exec_lo
	v_cmpx_lt_u32_e32 0xffffff, v2
	s_cbranch_execz .LBB262_819
; %bb.812:                              ;   in Loop: Header=BB262_16 Depth=1
	v_lshrrev_b32_e32 v3, 24, v2
	v_dual_mov_b32 v185, s17 :: v_dual_mov_b32 v184, s16
	s_mov_b32 s24, exec_lo
	s_delay_alu instid0(VALU_DEP_2)
	v_cmpx_ne_u32_e32 0x80, v3
	s_cbranch_execz .LBB262_818
; %bb.813:                              ;   in Loop: Header=BB262_16 Depth=1
	s_mov_b32 s2, s16
	v_bfe_u32 v8, v2, 24, 7
	v_dual_mov_b32 v185, s3 :: v_dual_mov_b32 v184, s2
	s_mov_b32 s2, exec_lo
	s_delay_alu instid0(VALU_DEP_2)
	v_cmpx_ne_u32_e32 0x7f, v8
	s_cbranch_execz .LBB262_817
; %bb.814:                              ;   in Loop: Header=BB262_16 Depth=1
	v_and_b32_e32 v28, 7, v3
	v_lshrrev_b32_e32 v2, 3, v8
	s_mov_b32 s25, exec_lo
	v_cmpx_gt_u32_e32 8, v8
; %bb.815:                              ;   in Loop: Header=BB262_16 Depth=1
	s_delay_alu instid0(VALU_DEP_3) | instskip(NEXT) | instid1(VALU_DEP_1)
	v_clz_i32_u32_e32 v2, v28
	v_min_u32_e32 v2, 32, v2
	s_delay_alu instid0(VALU_DEP_1) | instskip(SKIP_1) | instid1(VALU_DEP_2)
	v_subrev_nc_u32_e32 v8, 28, v2
	v_sub_nc_u32_e32 v2, 29, v2
	v_lshlrev_b64 v[8:9], v8, v[28:29]
	s_delay_alu instid0(VALU_DEP_1)
	v_and_b32_e32 v28, 7, v8
; %bb.816:                              ;   in Loop: Header=BB262_16 Depth=1
	s_or_b32 exec_lo, exec_lo, s25
	v_dual_mov_b32 v184, v29 :: v_dual_lshlrev_b32 v3, 24, v3
	s_delay_alu instid0(VALU_DEP_2) | instskip(SKIP_1) | instid1(VALU_DEP_3)
	v_lshlrev_b32_e32 v8, 20, v28
	v_lshl_add_u32 v2, v2, 23, 0x3c000000
	v_and_b32_e32 v3, 0x80000000, v3
	s_delay_alu instid0(VALU_DEP_1)
	v_or3_b32 v185, v8, v3, v2
.LBB262_817:                            ;   in Loop: Header=BB262_16 Depth=1
	s_or_b32 exec_lo, exec_lo, s2
.LBB262_818:                            ;   in Loop: Header=BB262_16 Depth=1
	s_delay_alu instid0(SALU_CYCLE_1)
	s_or_b32 exec_lo, exec_lo, s24
.LBB262_819:                            ;   in Loop: Header=BB262_16 Depth=1
	s_delay_alu instid0(SALU_CYCLE_1) | instskip(SKIP_4) | instid1(VALU_DEP_1)
	s_or_b32 exec_lo, exec_lo, s23
	flat_load_b32 v2, v[124:125] offset:3076
	v_mov_b32_e32 v90, 0
	v_mov_b32_e32 v91, 0
	s_mov_b32 s2, exec_lo
	v_dual_mov_b32 v93, v91 :: v_dual_mov_b32 v92, v90
	s_waitcnt vmcnt(0) lgkmcnt(0)
	v_and_b32_e32 v3, 0xff, v2
	s_delay_alu instid0(VALU_DEP_1)
	v_cmpx_ne_u16_e32 0, v3
	s_cbranch_execz .LBB262_827
; %bb.820:                              ;   in Loop: Header=BB262_16 Depth=1
	v_bfrev_b32_e32 v92, 1
	v_mov_b32_e32 v93, 0
	s_mov_b32 s23, exec_lo
	v_cmpx_ne_u16_e32 0x80, v3
	s_cbranch_execz .LBB262_826
; %bb.821:                              ;   in Loop: Header=BB262_16 Depth=1
	v_mov_b32_e32 v92, 0x7f800001
	v_dual_mov_b32 v93, 0 :: v_dual_and_b32 v8, 0x7f, v2
	s_mov_b32 s24, exec_lo
	s_delay_alu instid0(VALU_DEP_1)
	v_cmpx_ne_u32_e32 0x7f, v8
	s_cbranch_execz .LBB262_825
; %bb.822:                              ;   in Loop: Header=BB262_16 Depth=1
	v_and_b32_e32 v28, 7, v2
	v_lshrrev_b32_e32 v3, 3, v8
	s_mov_b32 s25, exec_lo
	v_cmpx_gt_u32_e32 8, v8
; %bb.823:                              ;   in Loop: Header=BB262_16 Depth=1
	s_delay_alu instid0(VALU_DEP_3) | instskip(NEXT) | instid1(VALU_DEP_1)
	v_clz_i32_u32_e32 v3, v28
	v_min_u32_e32 v3, 32, v3
	s_delay_alu instid0(VALU_DEP_1) | instskip(SKIP_1) | instid1(VALU_DEP_2)
	v_subrev_nc_u32_e32 v8, 28, v3
	v_sub_nc_u32_e32 v3, 29, v3
	v_lshlrev_b64 v[8:9], v8, v[28:29]
	s_delay_alu instid0(VALU_DEP_1)
	v_and_b32_e32 v28, 7, v8
; %bb.824:                              ;   in Loop: Header=BB262_16 Depth=1
	s_or_b32 exec_lo, exec_lo, s25
	v_lshlrev_b32_e32 v8, 24, v2
	s_delay_alu instid0(VALU_DEP_2) | instskip(SKIP_1) | instid1(VALU_DEP_3)
	v_lshlrev_b32_e32 v9, 20, v28
	v_lshl_add_u32 v3, v3, 23, 0x3c000000
	v_and_b32_e32 v8, 0x80000000, v8
	s_delay_alu instid0(VALU_DEP_1) | instskip(NEXT) | instid1(VALU_DEP_1)
	v_or3_b32 v28, v9, v8, v3
	v_dual_mov_b32 v93, v29 :: v_dual_mov_b32 v92, v28
.LBB262_825:                            ;   in Loop: Header=BB262_16 Depth=1
	s_or_b32 exec_lo, exec_lo, s24
.LBB262_826:                            ;   in Loop: Header=BB262_16 Depth=1
	s_delay_alu instid0(SALU_CYCLE_1)
	s_or_b32 exec_lo, exec_lo, s23
.LBB262_827:                            ;   in Loop: Header=BB262_16 Depth=1
	s_delay_alu instid0(SALU_CYCLE_1) | instskip(SKIP_2) | instid1(VALU_DEP_1)
	s_or_b32 exec_lo, exec_lo, s2
	v_lshrrev_b16 v3, 8, v2
	s_mov_b32 s23, exec_lo
	v_cmpx_ne_u16_e32 0, v3
	s_cbranch_execz .LBB262_835
; %bb.828:                              ;   in Loop: Header=BB262_16 Depth=1
	v_dual_mov_b32 v91, s17 :: v_dual_mov_b32 v90, s16
	s_mov_b32 s24, exec_lo
	v_cmpx_ne_u16_e32 0x80, v3
	s_cbranch_execz .LBB262_834
; %bb.829:                              ;   in Loop: Header=BB262_16 Depth=1
	s_mov_b32 s2, s16
	v_and_b32_e32 v3, 0xffff, v3
	v_dual_mov_b32 v91, s3 :: v_dual_mov_b32 v90, s2
	s_mov_b32 s2, exec_lo
	s_delay_alu instid0(VALU_DEP_2) | instskip(NEXT) | instid1(VALU_DEP_1)
	v_and_b32_e32 v8, 0x7f, v3
	v_cmpx_ne_u32_e32 0x7f, v8
	s_cbranch_execz .LBB262_833
; %bb.830:                              ;   in Loop: Header=BB262_16 Depth=1
	v_and_b32_e32 v28, 7, v3
	v_lshrrev_b32_e32 v3, 3, v8
	s_mov_b32 s25, exec_lo
	v_cmpx_gt_u32_e32 8, v8
; %bb.831:                              ;   in Loop: Header=BB262_16 Depth=1
	s_delay_alu instid0(VALU_DEP_3) | instskip(NEXT) | instid1(VALU_DEP_1)
	v_clz_i32_u32_e32 v3, v28
	v_min_u32_e32 v3, 32, v3
	s_delay_alu instid0(VALU_DEP_1) | instskip(SKIP_1) | instid1(VALU_DEP_2)
	v_subrev_nc_u32_e32 v8, 28, v3
	v_sub_nc_u32_e32 v3, 29, v3
	v_lshlrev_b64 v[8:9], v8, v[28:29]
	s_delay_alu instid0(VALU_DEP_1)
	v_and_b32_e32 v28, 7, v8
; %bb.832:                              ;   in Loop: Header=BB262_16 Depth=1
	s_or_b32 exec_lo, exec_lo, s25
	v_lshlrev_b32_e32 v8, 16, v2
	s_delay_alu instid0(VALU_DEP_2) | instskip(SKIP_1) | instid1(VALU_DEP_3)
	v_dual_mov_b32 v90, v29 :: v_dual_lshlrev_b32 v9, 20, v28
	v_lshl_add_u32 v3, v3, 23, 0x3c000000
	v_and_b32_e32 v8, 0x80000000, v8
	s_delay_alu instid0(VALU_DEP_1)
	v_or3_b32 v91, v9, v8, v3
.LBB262_833:                            ;   in Loop: Header=BB262_16 Depth=1
	s_or_b32 exec_lo, exec_lo, s2
.LBB262_834:                            ;   in Loop: Header=BB262_16 Depth=1
	s_delay_alu instid0(SALU_CYCLE_1)
	s_or_b32 exec_lo, exec_lo, s24
.LBB262_835:                            ;   in Loop: Header=BB262_16 Depth=1
	s_delay_alu instid0(SALU_CYCLE_1) | instskip(SKIP_4) | instid1(VALU_DEP_1)
	s_or_b32 exec_lo, exec_lo, s23
	v_mov_b32_e32 v110, 0
	v_lshrrev_b32_e32 v3, 16, v2
	v_mov_b32_e32 v111, 0
	s_mov_b32 s2, exec_lo
	v_dual_mov_b32 v155, v111 :: v_dual_and_b32 v8, 0xff, v3
	v_mov_b32_e32 v154, v110
	s_delay_alu instid0(VALU_DEP_2)
	v_cmpx_ne_u16_e32 0, v8
	s_cbranch_execz .LBB262_843
; %bb.836:                              ;   in Loop: Header=BB262_16 Depth=1
	v_bfrev_b32_e32 v154, 1
	v_mov_b32_e32 v155, 0
	s_mov_b32 s23, exec_lo
	v_cmpx_ne_u16_e32 0x80, v8
	s_cbranch_execz .LBB262_842
; %bb.837:                              ;   in Loop: Header=BB262_16 Depth=1
	v_mov_b32_e32 v154, 0x7f800001
	v_bfe_u32 v9, v2, 16, 7
	v_mov_b32_e32 v155, 0
	s_mov_b32 s24, exec_lo
	s_delay_alu instid0(VALU_DEP_2)
	v_cmpx_ne_u32_e32 0x7f, v9
	s_cbranch_execz .LBB262_841
; %bb.838:                              ;   in Loop: Header=BB262_16 Depth=1
	v_and_b32_e32 v28, 7, v3
	v_lshrrev_b32_e32 v8, 3, v9
	s_mov_b32 s25, exec_lo
	v_cmpx_gt_u32_e32 8, v9
; %bb.839:                              ;   in Loop: Header=BB262_16 Depth=1
	s_delay_alu instid0(VALU_DEP_3) | instskip(NEXT) | instid1(VALU_DEP_1)
	v_clz_i32_u32_e32 v8, v28
	v_min_u32_e32 v8, 32, v8
	s_delay_alu instid0(VALU_DEP_1) | instskip(SKIP_1) | instid1(VALU_DEP_2)
	v_subrev_nc_u32_e32 v9, 28, v8
	v_sub_nc_u32_e32 v8, 29, v8
	v_lshlrev_b64 v[18:19], v9, v[28:29]
	s_delay_alu instid0(VALU_DEP_1)
	v_and_b32_e32 v28, 7, v18
; %bb.840:                              ;   in Loop: Header=BB262_16 Depth=1
	s_or_b32 exec_lo, exec_lo, s25
	v_lshlrev_b32_e32 v3, 24, v3
	s_delay_alu instid0(VALU_DEP_2) | instskip(SKIP_1) | instid1(VALU_DEP_3)
	v_lshlrev_b32_e32 v9, 20, v28
	v_lshl_add_u32 v8, v8, 23, 0x3c000000
	v_and_b32_e32 v3, 0x80000000, v3
	s_delay_alu instid0(VALU_DEP_1) | instskip(NEXT) | instid1(VALU_DEP_1)
	v_or3_b32 v28, v9, v3, v8
	v_dual_mov_b32 v155, v29 :: v_dual_mov_b32 v154, v28
.LBB262_841:                            ;   in Loop: Header=BB262_16 Depth=1
	s_or_b32 exec_lo, exec_lo, s24
.LBB262_842:                            ;   in Loop: Header=BB262_16 Depth=1
	s_delay_alu instid0(SALU_CYCLE_1)
	s_or_b32 exec_lo, exec_lo, s23
.LBB262_843:                            ;   in Loop: Header=BB262_16 Depth=1
	s_delay_alu instid0(SALU_CYCLE_1) | instskip(NEXT) | instid1(SALU_CYCLE_1)
	s_or_b32 exec_lo, exec_lo, s2
	s_mov_b32 s23, exec_lo
	v_cmpx_lt_u32_e32 0xffffff, v2
	s_cbranch_execz .LBB262_851
; %bb.844:                              ;   in Loop: Header=BB262_16 Depth=1
	v_lshrrev_b32_e32 v3, 24, v2
	v_dual_mov_b32 v111, s17 :: v_dual_mov_b32 v110, s16
	s_mov_b32 s24, exec_lo
	s_delay_alu instid0(VALU_DEP_2)
	v_cmpx_ne_u32_e32 0x80, v3
	s_cbranch_execz .LBB262_850
; %bb.845:                              ;   in Loop: Header=BB262_16 Depth=1
	s_mov_b32 s2, s16
	v_bfe_u32 v8, v2, 24, 7
	v_dual_mov_b32 v111, s3 :: v_dual_mov_b32 v110, s2
	s_mov_b32 s2, exec_lo
	s_delay_alu instid0(VALU_DEP_2)
	v_cmpx_ne_u32_e32 0x7f, v8
	s_cbranch_execz .LBB262_849
; %bb.846:                              ;   in Loop: Header=BB262_16 Depth=1
	v_and_b32_e32 v28, 7, v3
	v_lshrrev_b32_e32 v2, 3, v8
	s_mov_b32 s25, exec_lo
	v_cmpx_gt_u32_e32 8, v8
; %bb.847:                              ;   in Loop: Header=BB262_16 Depth=1
	s_delay_alu instid0(VALU_DEP_3) | instskip(NEXT) | instid1(VALU_DEP_1)
	v_clz_i32_u32_e32 v2, v28
	v_min_u32_e32 v2, 32, v2
	s_delay_alu instid0(VALU_DEP_1) | instskip(SKIP_1) | instid1(VALU_DEP_2)
	v_subrev_nc_u32_e32 v8, 28, v2
	v_sub_nc_u32_e32 v2, 29, v2
	v_lshlrev_b64 v[8:9], v8, v[28:29]
	s_delay_alu instid0(VALU_DEP_1)
	v_and_b32_e32 v28, 7, v8
; %bb.848:                              ;   in Loop: Header=BB262_16 Depth=1
	s_or_b32 exec_lo, exec_lo, s25
	v_dual_mov_b32 v110, v29 :: v_dual_lshlrev_b32 v3, 24, v3
	s_delay_alu instid0(VALU_DEP_2) | instskip(SKIP_1) | instid1(VALU_DEP_3)
	v_lshlrev_b32_e32 v8, 20, v28
	v_lshl_add_u32 v2, v2, 23, 0x3c000000
	v_and_b32_e32 v3, 0x80000000, v3
	s_delay_alu instid0(VALU_DEP_1)
	v_or3_b32 v111, v8, v3, v2
.LBB262_849:                            ;   in Loop: Header=BB262_16 Depth=1
	s_or_b32 exec_lo, exec_lo, s2
.LBB262_850:                            ;   in Loop: Header=BB262_16 Depth=1
	s_delay_alu instid0(SALU_CYCLE_1)
	s_or_b32 exec_lo, exec_lo, s24
.LBB262_851:                            ;   in Loop: Header=BB262_16 Depth=1
	s_delay_alu instid0(SALU_CYCLE_1) | instskip(SKIP_4) | instid1(VALU_DEP_1)
	s_or_b32 exec_lo, exec_lo, s23
	flat_load_b32 v2, v[124:125] offset:3080
	v_mov_b32_e32 v122, 0
	v_mov_b32_e32 v123, 0
	s_mov_b32 s2, exec_lo
	v_dual_mov_b32 v137, v123 :: v_dual_mov_b32 v136, v122
	s_waitcnt vmcnt(0) lgkmcnt(0)
	v_and_b32_e32 v3, 0xff, v2
	s_delay_alu instid0(VALU_DEP_1)
	v_cmpx_ne_u16_e32 0, v3
	s_cbranch_execz .LBB262_859
; %bb.852:                              ;   in Loop: Header=BB262_16 Depth=1
	v_bfrev_b32_e32 v136, 1
	v_mov_b32_e32 v137, 0
	s_mov_b32 s23, exec_lo
	v_cmpx_ne_u16_e32 0x80, v3
	s_cbranch_execz .LBB262_858
; %bb.853:                              ;   in Loop: Header=BB262_16 Depth=1
	v_mov_b32_e32 v136, 0x7f800001
	v_dual_mov_b32 v137, 0 :: v_dual_and_b32 v8, 0x7f, v2
	s_mov_b32 s24, exec_lo
	s_delay_alu instid0(VALU_DEP_1)
	v_cmpx_ne_u32_e32 0x7f, v8
	s_cbranch_execz .LBB262_857
; %bb.854:                              ;   in Loop: Header=BB262_16 Depth=1
	v_and_b32_e32 v28, 7, v2
	v_lshrrev_b32_e32 v3, 3, v8
	s_mov_b32 s25, exec_lo
	v_cmpx_gt_u32_e32 8, v8
; %bb.855:                              ;   in Loop: Header=BB262_16 Depth=1
	s_delay_alu instid0(VALU_DEP_3) | instskip(NEXT) | instid1(VALU_DEP_1)
	v_clz_i32_u32_e32 v3, v28
	v_min_u32_e32 v3, 32, v3
	s_delay_alu instid0(VALU_DEP_1) | instskip(SKIP_1) | instid1(VALU_DEP_2)
	v_subrev_nc_u32_e32 v8, 28, v3
	v_sub_nc_u32_e32 v3, 29, v3
	v_lshlrev_b64 v[8:9], v8, v[28:29]
	s_delay_alu instid0(VALU_DEP_1)
	v_and_b32_e32 v28, 7, v8
; %bb.856:                              ;   in Loop: Header=BB262_16 Depth=1
	s_or_b32 exec_lo, exec_lo, s25
	v_lshlrev_b32_e32 v8, 24, v2
	s_delay_alu instid0(VALU_DEP_2) | instskip(SKIP_1) | instid1(VALU_DEP_3)
	v_lshlrev_b32_e32 v9, 20, v28
	v_lshl_add_u32 v3, v3, 23, 0x3c000000
	v_and_b32_e32 v8, 0x80000000, v8
	s_delay_alu instid0(VALU_DEP_1) | instskip(NEXT) | instid1(VALU_DEP_1)
	v_or3_b32 v28, v9, v8, v3
	v_dual_mov_b32 v137, v29 :: v_dual_mov_b32 v136, v28
.LBB262_857:                            ;   in Loop: Header=BB262_16 Depth=1
	s_or_b32 exec_lo, exec_lo, s24
.LBB262_858:                            ;   in Loop: Header=BB262_16 Depth=1
	s_delay_alu instid0(SALU_CYCLE_1)
	s_or_b32 exec_lo, exec_lo, s23
.LBB262_859:                            ;   in Loop: Header=BB262_16 Depth=1
	s_delay_alu instid0(SALU_CYCLE_1) | instskip(SKIP_2) | instid1(VALU_DEP_1)
	s_or_b32 exec_lo, exec_lo, s2
	v_lshrrev_b16 v3, 8, v2
	s_mov_b32 s23, exec_lo
	v_cmpx_ne_u16_e32 0, v3
	s_cbranch_execz .LBB262_867
; %bb.860:                              ;   in Loop: Header=BB262_16 Depth=1
	v_dual_mov_b32 v123, s17 :: v_dual_mov_b32 v122, s16
	s_mov_b32 s24, exec_lo
	v_cmpx_ne_u16_e32 0x80, v3
	s_cbranch_execz .LBB262_866
; %bb.861:                              ;   in Loop: Header=BB262_16 Depth=1
	s_mov_b32 s2, s16
	v_and_b32_e32 v3, 0xffff, v3
	v_dual_mov_b32 v123, s3 :: v_dual_mov_b32 v122, s2
	s_mov_b32 s2, exec_lo
	s_delay_alu instid0(VALU_DEP_2) | instskip(NEXT) | instid1(VALU_DEP_1)
	v_and_b32_e32 v8, 0x7f, v3
	v_cmpx_ne_u32_e32 0x7f, v8
	s_cbranch_execz .LBB262_865
; %bb.862:                              ;   in Loop: Header=BB262_16 Depth=1
	v_and_b32_e32 v28, 7, v3
	v_lshrrev_b32_e32 v3, 3, v8
	s_mov_b32 s25, exec_lo
	v_cmpx_gt_u32_e32 8, v8
; %bb.863:                              ;   in Loop: Header=BB262_16 Depth=1
	s_delay_alu instid0(VALU_DEP_3) | instskip(NEXT) | instid1(VALU_DEP_1)
	v_clz_i32_u32_e32 v3, v28
	v_min_u32_e32 v3, 32, v3
	s_delay_alu instid0(VALU_DEP_1) | instskip(SKIP_1) | instid1(VALU_DEP_2)
	v_subrev_nc_u32_e32 v8, 28, v3
	v_sub_nc_u32_e32 v3, 29, v3
	v_lshlrev_b64 v[8:9], v8, v[28:29]
	s_delay_alu instid0(VALU_DEP_1)
	v_and_b32_e32 v28, 7, v8
; %bb.864:                              ;   in Loop: Header=BB262_16 Depth=1
	s_or_b32 exec_lo, exec_lo, s25
	v_lshlrev_b32_e32 v8, 16, v2
	s_delay_alu instid0(VALU_DEP_2) | instskip(SKIP_1) | instid1(VALU_DEP_3)
	v_dual_mov_b32 v122, v29 :: v_dual_lshlrev_b32 v9, 20, v28
	v_lshl_add_u32 v3, v3, 23, 0x3c000000
	v_and_b32_e32 v8, 0x80000000, v8
	s_delay_alu instid0(VALU_DEP_1)
	v_or3_b32 v123, v9, v8, v3
.LBB262_865:                            ;   in Loop: Header=BB262_16 Depth=1
	s_or_b32 exec_lo, exec_lo, s2
.LBB262_866:                            ;   in Loop: Header=BB262_16 Depth=1
	s_delay_alu instid0(SALU_CYCLE_1)
	s_or_b32 exec_lo, exec_lo, s24
.LBB262_867:                            ;   in Loop: Header=BB262_16 Depth=1
	s_delay_alu instid0(SALU_CYCLE_1) | instskip(SKIP_4) | instid1(VALU_DEP_1)
	s_or_b32 exec_lo, exec_lo, s23
	v_mov_b32_e32 v8, 0
	v_lshrrev_b32_e32 v3, 16, v2
	v_mov_b32_e32 v9, 0
	s_mov_b32 s2, exec_lo
	v_dual_mov_b32 v141, v9 :: v_dual_and_b32 v18, 0xff, v3
	v_mov_b32_e32 v140, v8
	s_delay_alu instid0(VALU_DEP_2)
	v_cmpx_ne_u16_e32 0, v18
	s_cbranch_execz .LBB262_875
; %bb.868:                              ;   in Loop: Header=BB262_16 Depth=1
	v_bfrev_b32_e32 v140, 1
	v_mov_b32_e32 v141, 0
	s_mov_b32 s23, exec_lo
	v_cmpx_ne_u16_e32 0x80, v18
	s_cbranch_execz .LBB262_874
; %bb.869:                              ;   in Loop: Header=BB262_16 Depth=1
	v_mov_b32_e32 v140, 0x7f800001
	v_bfe_u32 v19, v2, 16, 7
	v_mov_b32_e32 v141, 0
	s_mov_b32 s24, exec_lo
	s_delay_alu instid0(VALU_DEP_2)
	v_cmpx_ne_u32_e32 0x7f, v19
	s_cbranch_execz .LBB262_873
; %bb.870:                              ;   in Loop: Header=BB262_16 Depth=1
	v_and_b32_e32 v28, 7, v3
	v_lshrrev_b32_e32 v18, 3, v19
	s_mov_b32 s25, exec_lo
	v_cmpx_gt_u32_e32 8, v19
; %bb.871:                              ;   in Loop: Header=BB262_16 Depth=1
	s_delay_alu instid0(VALU_DEP_3) | instskip(NEXT) | instid1(VALU_DEP_1)
	v_clz_i32_u32_e32 v18, v28
	v_min_u32_e32 v18, 32, v18
	s_delay_alu instid0(VALU_DEP_1) | instskip(SKIP_1) | instid1(VALU_DEP_2)
	v_subrev_nc_u32_e32 v19, 28, v18
	v_sub_nc_u32_e32 v18, 29, v18
	v_lshlrev_b64 v[19:20], v19, v[28:29]
	s_delay_alu instid0(VALU_DEP_1)
	v_and_b32_e32 v28, 7, v19
; %bb.872:                              ;   in Loop: Header=BB262_16 Depth=1
	s_or_b32 exec_lo, exec_lo, s25
	v_lshlrev_b32_e32 v3, 24, v3
	s_delay_alu instid0(VALU_DEP_2) | instskip(SKIP_1) | instid1(VALU_DEP_3)
	v_lshlrev_b32_e32 v19, 20, v28
	v_lshl_add_u32 v18, v18, 23, 0x3c000000
	v_and_b32_e32 v3, 0x80000000, v3
	s_delay_alu instid0(VALU_DEP_1) | instskip(NEXT) | instid1(VALU_DEP_1)
	v_or3_b32 v28, v19, v3, v18
	v_dual_mov_b32 v141, v29 :: v_dual_mov_b32 v140, v28
.LBB262_873:                            ;   in Loop: Header=BB262_16 Depth=1
	s_or_b32 exec_lo, exec_lo, s24
.LBB262_874:                            ;   in Loop: Header=BB262_16 Depth=1
	s_delay_alu instid0(SALU_CYCLE_1)
	s_or_b32 exec_lo, exec_lo, s23
.LBB262_875:                            ;   in Loop: Header=BB262_16 Depth=1
	s_delay_alu instid0(SALU_CYCLE_1) | instskip(NEXT) | instid1(SALU_CYCLE_1)
	s_or_b32 exec_lo, exec_lo, s2
	s_mov_b32 s23, exec_lo
	v_cmpx_lt_u32_e32 0xffffff, v2
	s_cbranch_execz .LBB262_883
; %bb.876:                              ;   in Loop: Header=BB262_16 Depth=1
	v_lshrrev_b32_e32 v3, 24, v2
	v_dual_mov_b32 v8, s16 :: v_dual_mov_b32 v9, s17
	s_mov_b32 s24, exec_lo
	s_delay_alu instid0(VALU_DEP_2)
	v_cmpx_ne_u32_e32 0x80, v3
	s_cbranch_execz .LBB262_882
; %bb.877:                              ;   in Loop: Header=BB262_16 Depth=1
	s_mov_b32 s2, s16
	v_bfe_u32 v18, v2, 24, 7
	v_dual_mov_b32 v9, s3 :: v_dual_mov_b32 v8, s2
	s_mov_b32 s2, exec_lo
	s_delay_alu instid0(VALU_DEP_2)
	v_cmpx_ne_u32_e32 0x7f, v18
	s_cbranch_execz .LBB262_881
; %bb.878:                              ;   in Loop: Header=BB262_16 Depth=1
	v_and_b32_e32 v28, 7, v3
	v_lshrrev_b32_e32 v2, 3, v18
	s_mov_b32 s25, exec_lo
	v_cmpx_gt_u32_e32 8, v18
; %bb.879:                              ;   in Loop: Header=BB262_16 Depth=1
	s_delay_alu instid0(VALU_DEP_3) | instskip(NEXT) | instid1(VALU_DEP_1)
	v_clz_i32_u32_e32 v2, v28
	v_min_u32_e32 v2, 32, v2
	s_delay_alu instid0(VALU_DEP_1) | instskip(SKIP_1) | instid1(VALU_DEP_2)
	v_subrev_nc_u32_e32 v8, 28, v2
	v_sub_nc_u32_e32 v2, 29, v2
	v_lshlrev_b64 v[8:9], v8, v[28:29]
	s_delay_alu instid0(VALU_DEP_1)
	v_and_b32_e32 v28, 7, v8
; %bb.880:                              ;   in Loop: Header=BB262_16 Depth=1
	s_or_b32 exec_lo, exec_lo, s25
	v_lshlrev_b32_e32 v3, 24, v3
	s_delay_alu instid0(VALU_DEP_2) | instskip(SKIP_1) | instid1(VALU_DEP_3)
	v_lshlrev_b32_e32 v8, 20, v28
	v_lshl_add_u32 v2, v2, 23, 0x3c000000
	v_and_b32_e32 v3, 0x80000000, v3
	s_delay_alu instid0(VALU_DEP_1)
	v_or3_b32 v9, v8, v3, v2
	v_mov_b32_e32 v8, v29
.LBB262_881:                            ;   in Loop: Header=BB262_16 Depth=1
	s_or_b32 exec_lo, exec_lo, s2
.LBB262_882:                            ;   in Loop: Header=BB262_16 Depth=1
	s_delay_alu instid0(SALU_CYCLE_1)
	s_or_b32 exec_lo, exec_lo, s24
.LBB262_883:                            ;   in Loop: Header=BB262_16 Depth=1
	s_delay_alu instid0(SALU_CYCLE_1)
	s_or_b32 exec_lo, exec_lo, s23
	flat_load_b32 v18, v[124:125] offset:3084
	v_mov_b32_e32 v124, 0
	v_mov_b32_e32 v125, 0
	s_mov_b32 s2, exec_lo
	s_waitcnt vmcnt(0) lgkmcnt(0)
	v_and_b32_e32 v2, 0xff, v18
	s_delay_alu instid0(VALU_DEP_2) | instskip(NEXT) | instid1(VALU_DEP_2)
	v_dual_mov_b32 v20, v124 :: v_dual_mov_b32 v21, v125
	v_cmpx_ne_u16_e32 0, v2
	s_cbranch_execz .LBB262_891
; %bb.884:                              ;   in Loop: Header=BB262_16 Depth=1
	v_bfrev_b32_e32 v20, 1
	v_mov_b32_e32 v21, 0
	s_mov_b32 s23, exec_lo
	v_cmpx_ne_u16_e32 0x80, v2
	s_cbranch_execz .LBB262_890
; %bb.885:                              ;   in Loop: Header=BB262_16 Depth=1
	v_mov_b32_e32 v20, 0x7f800001
	v_and_b32_e32 v3, 0x7f, v18
	v_mov_b32_e32 v21, 0
	s_mov_b32 s24, exec_lo
	s_delay_alu instid0(VALU_DEP_2)
	v_cmpx_ne_u32_e32 0x7f, v3
	s_cbranch_execz .LBB262_889
; %bb.886:                              ;   in Loop: Header=BB262_16 Depth=1
	v_and_b32_e32 v28, 7, v18
	v_lshrrev_b32_e32 v2, 3, v3
	s_mov_b32 s25, exec_lo
	v_cmpx_gt_u32_e32 8, v3
; %bb.887:                              ;   in Loop: Header=BB262_16 Depth=1
	s_delay_alu instid0(VALU_DEP_3) | instskip(NEXT) | instid1(VALU_DEP_1)
	v_clz_i32_u32_e32 v2, v28
	v_min_u32_e32 v2, 32, v2
	s_delay_alu instid0(VALU_DEP_1) | instskip(SKIP_1) | instid1(VALU_DEP_2)
	v_subrev_nc_u32_e32 v3, 28, v2
	v_sub_nc_u32_e32 v2, 29, v2
	v_lshlrev_b64 v[19:20], v3, v[28:29]
	s_delay_alu instid0(VALU_DEP_1)
	v_and_b32_e32 v28, 7, v19
; %bb.888:                              ;   in Loop: Header=BB262_16 Depth=1
	s_or_b32 exec_lo, exec_lo, s25
	v_lshlrev_b32_e32 v3, 24, v18
	s_delay_alu instid0(VALU_DEP_2) | instskip(SKIP_1) | instid1(VALU_DEP_3)
	v_lshlrev_b32_e32 v19, 20, v28
	v_lshl_add_u32 v2, v2, 23, 0x3c000000
	v_and_b32_e32 v3, 0x80000000, v3
	s_delay_alu instid0(VALU_DEP_1) | instskip(NEXT) | instid1(VALU_DEP_1)
	v_or3_b32 v28, v19, v3, v2
	v_dual_mov_b32 v20, v28 :: v_dual_mov_b32 v21, v29
.LBB262_889:                            ;   in Loop: Header=BB262_16 Depth=1
	s_or_b32 exec_lo, exec_lo, s24
.LBB262_890:                            ;   in Loop: Header=BB262_16 Depth=1
	s_delay_alu instid0(SALU_CYCLE_1)
	s_or_b32 exec_lo, exec_lo, s23
.LBB262_891:                            ;   in Loop: Header=BB262_16 Depth=1
	s_delay_alu instid0(SALU_CYCLE_1) | instskip(SKIP_2) | instid1(VALU_DEP_1)
	s_or_b32 exec_lo, exec_lo, s2
	v_lshrrev_b16 v2, 8, v18
	s_mov_b32 s23, exec_lo
	v_cmpx_ne_u16_e32 0, v2
	s_cbranch_execz .LBB262_899
; %bb.892:                              ;   in Loop: Header=BB262_16 Depth=1
	v_dual_mov_b32 v125, s17 :: v_dual_mov_b32 v124, s16
	s_mov_b32 s24, exec_lo
	v_cmpx_ne_u16_e32 0x80, v2
	s_cbranch_execz .LBB262_898
; %bb.893:                              ;   in Loop: Header=BB262_16 Depth=1
	s_mov_b32 s2, s16
	v_dual_mov_b32 v125, s3 :: v_dual_and_b32 v2, 0xffff, v2
	v_mov_b32_e32 v124, s2
	s_mov_b32 s2, exec_lo
	s_delay_alu instid0(VALU_DEP_2) | instskip(NEXT) | instid1(VALU_DEP_1)
	v_and_b32_e32 v3, 0x7f, v2
	v_cmpx_ne_u32_e32 0x7f, v3
	s_cbranch_execz .LBB262_897
; %bb.894:                              ;   in Loop: Header=BB262_16 Depth=1
	v_and_b32_e32 v28, 7, v2
	v_lshrrev_b32_e32 v2, 3, v3
	s_mov_b32 s25, exec_lo
	v_cmpx_gt_u32_e32 8, v3
; %bb.895:                              ;   in Loop: Header=BB262_16 Depth=1
	s_delay_alu instid0(VALU_DEP_3) | instskip(NEXT) | instid1(VALU_DEP_1)
	v_clz_i32_u32_e32 v2, v28
	v_min_u32_e32 v2, 32, v2
	s_delay_alu instid0(VALU_DEP_1) | instskip(SKIP_1) | instid1(VALU_DEP_2)
	v_subrev_nc_u32_e32 v3, 28, v2
	v_sub_nc_u32_e32 v2, 29, v2
	v_lshlrev_b64 v[106:107], v3, v[28:29]
	s_delay_alu instid0(VALU_DEP_1)
	v_and_b32_e32 v28, 7, v106
; %bb.896:                              ;   in Loop: Header=BB262_16 Depth=1
	s_or_b32 exec_lo, exec_lo, s25
	v_dual_mov_b32 v124, v29 :: v_dual_lshlrev_b32 v3, 16, v18
	s_delay_alu instid0(VALU_DEP_2) | instskip(SKIP_1) | instid1(VALU_DEP_3)
	v_lshlrev_b32_e32 v19, 20, v28
	v_lshl_add_u32 v2, v2, 23, 0x3c000000
	v_and_b32_e32 v3, 0x80000000, v3
	s_delay_alu instid0(VALU_DEP_1)
	v_or3_b32 v125, v19, v3, v2
.LBB262_897:                            ;   in Loop: Header=BB262_16 Depth=1
	s_or_b32 exec_lo, exec_lo, s2
.LBB262_898:                            ;   in Loop: Header=BB262_16 Depth=1
	s_delay_alu instid0(SALU_CYCLE_1)
	s_or_b32 exec_lo, exec_lo, s24
.LBB262_899:                            ;   in Loop: Header=BB262_16 Depth=1
	s_delay_alu instid0(SALU_CYCLE_1) | instskip(SKIP_4) | instid1(VALU_DEP_2)
	s_or_b32 exec_lo, exec_lo, s23
	v_mov_b32_e32 v106, 0
	v_lshrrev_b32_e32 v19, 16, v18
	v_mov_b32_e32 v107, 0
	s_mov_b32 s2, exec_lo
	v_and_b32_e32 v28, 0xff, v19
	s_delay_alu instid0(VALU_DEP_2) | instskip(NEXT) | instid1(VALU_DEP_2)
	v_dual_mov_b32 v2, v106 :: v_dual_mov_b32 v3, v107
	v_cmpx_ne_u16_e32 0, v28
	s_cbranch_execz .LBB262_907
; %bb.900:                              ;   in Loop: Header=BB262_16 Depth=1
	v_bfrev_b32_e32 v2, 1
	v_mov_b32_e32 v3, 0
	s_mov_b32 s23, exec_lo
	v_cmpx_ne_u16_e32 0x80, v28
	s_cbranch_execz .LBB262_906
; %bb.901:                              ;   in Loop: Header=BB262_16 Depth=1
	v_mov_b32_e32 v2, 0x7f800001
	v_bfe_u32 v142, v18, 16, 7
	v_mov_b32_e32 v3, 0
	s_mov_b32 s24, exec_lo
	s_delay_alu instid0(VALU_DEP_2)
	v_cmpx_ne_u32_e32 0x7f, v142
	s_cbranch_execz .LBB262_905
; %bb.902:                              ;   in Loop: Header=BB262_16 Depth=1
	v_and_b32_e32 v28, 7, v19
	v_lshrrev_b32_e32 v2, 3, v142
	s_mov_b32 s25, exec_lo
	v_cmpx_gt_u32_e32 8, v142
; %bb.903:                              ;   in Loop: Header=BB262_16 Depth=1
	s_delay_alu instid0(VALU_DEP_3) | instskip(SKIP_1) | instid1(VALU_DEP_2)
	v_clz_i32_u32_e32 v2, v28
	v_mov_b32_e32 v23, v143
	v_min_u32_e32 v2, 32, v2
	s_delay_alu instid0(VALU_DEP_1) | instskip(SKIP_1) | instid1(VALU_DEP_2)
	v_subrev_nc_u32_e32 v3, 28, v2
	v_sub_nc_u32_e32 v2, 29, v2
	v_lshlrev_b64 v[142:143], v3, v[28:29]
	s_delay_alu instid0(VALU_DEP_1)
	v_dual_mov_b32 v143, v23 :: v_dual_and_b32 v28, 7, v142
; %bb.904:                              ;   in Loop: Header=BB262_16 Depth=1
	s_or_b32 exec_lo, exec_lo, s25
	v_lshlrev_b32_e32 v3, 24, v19
	s_delay_alu instid0(VALU_DEP_2) | instskip(SKIP_1) | instid1(VALU_DEP_3)
	v_lshlrev_b32_e32 v19, 20, v28
	v_lshl_add_u32 v2, v2, 23, 0x3c000000
	v_and_b32_e32 v3, 0x80000000, v3
	s_delay_alu instid0(VALU_DEP_1) | instskip(NEXT) | instid1(VALU_DEP_1)
	v_or3_b32 v28, v19, v3, v2
	v_dual_mov_b32 v2, v28 :: v_dual_mov_b32 v3, v29
.LBB262_905:                            ;   in Loop: Header=BB262_16 Depth=1
	s_or_b32 exec_lo, exec_lo, s24
	scratch_load_b32 v142, off, s32 offset:1056 ; 4-byte Folded Reload
.LBB262_906:                            ;   in Loop: Header=BB262_16 Depth=1
	s_or_b32 exec_lo, exec_lo, s23
.LBB262_907:                            ;   in Loop: Header=BB262_16 Depth=1
	s_delay_alu instid0(SALU_CYCLE_1) | instskip(NEXT) | instid1(SALU_CYCLE_1)
	s_or_b32 exec_lo, exec_lo, s2
	s_mov_b32 s23, exec_lo
	v_cmpx_lt_u32_e32 0xffffff, v18
	s_cbranch_execz .LBB262_14
; %bb.908:                              ;   in Loop: Header=BB262_16 Depth=1
	v_lshrrev_b32_e32 v19, 24, v18
	v_dual_mov_b32 v107, s17 :: v_dual_mov_b32 v106, s16
	s_mov_b32 s24, exec_lo
	s_delay_alu instid0(VALU_DEP_2)
	v_cmpx_ne_u32_e32 0x80, v19
	s_cbranch_execz .LBB262_13
; %bb.909:                              ;   in Loop: Header=BB262_16 Depth=1
	s_mov_b32 s2, s16
	s_waitcnt vmcnt(0)
	v_bfe_u32 v142, v18, 24, 7
	v_dual_mov_b32 v107, s3 :: v_dual_mov_b32 v106, s2
	s_mov_b32 s2, exec_lo
	s_delay_alu instid0(VALU_DEP_2)
	v_cmpx_ne_u32_e32 0x7f, v142
	s_cbranch_execz .LBB262_12
; %bb.910:                              ;   in Loop: Header=BB262_16 Depth=1
	v_and_b32_e32 v28, 7, v19
	v_lshrrev_b32_e32 v18, 3, v142
	s_mov_b32 s25, exec_lo
	v_cmpx_gt_u32_e32 8, v142
	s_cbranch_execz .LBB262_11
; %bb.911:                              ;   in Loop: Header=BB262_16 Depth=1
	v_clz_i32_u32_e32 v18, v28
	s_delay_alu instid0(VALU_DEP_1) | instskip(NEXT) | instid1(VALU_DEP_1)
	v_min_u32_e32 v18, 32, v18
	v_subrev_nc_u32_e32 v106, 28, v18
	v_sub_nc_u32_e32 v18, 29, v18
	s_delay_alu instid0(VALU_DEP_2) | instskip(NEXT) | instid1(VALU_DEP_1)
	v_lshlrev_b64 v[106:107], v106, v[28:29]
	v_and_b32_e32 v28, 7, v106
	s_branch .LBB262_11
.LBB262_912:
	s_or_b32 exec_lo, exec_lo, s21
	s_clause 0xe
	scratch_load_b32 v15, off, s32 offset:1072
	scratch_load_b32 v14, off, s32 offset:1076
	;; [unrolled: 1-line block ×9, first 2 shown]
	scratch_load_b64 v[11:12], off, s32 offset:1104
	scratch_load_b32 v19, off, s32 offset:1112
	scratch_load_b32 v16, off, s32 offset:1116
	;; [unrolled: 1-line block ×5, first 2 shown]
.LBB262_913:
	s_or_b32 exec_lo, exec_lo, s20
	v_mbcnt_lo_u32_b32 v0, -1, 0
	s_waitcnt lgkmcnt(0)
	s_lshr_b32 s8, s19, 16
	v_max_f32_e32 v4, v26, v26
	s_delay_alu instid0(VALU_DEP_2) | instskip(SKIP_2) | instid1(VALU_DEP_3)
	v_xor_b32_e32 v1, 16, v0
	v_xor_b32_e32 v3, 8, v0
	;; [unrolled: 1-line block ×3, first 2 shown]
	v_cmp_gt_i32_e32 vcc_lo, 32, v1
	v_cndmask_b32_e32 v1, v0, v1, vcc_lo
	s_delay_alu instid0(VALU_DEP_4) | instskip(NEXT) | instid1(VALU_DEP_2)
	v_cmp_gt_i32_e32 vcc_lo, 32, v3
	v_dual_cndmask_b32 v3, v0, v3 :: v_dual_lshlrev_b32 v2, 2, v1
	v_cmp_gt_i32_e32 vcc_lo, 32, v5
	ds_bpermute_b32 v1, v2, v26
	v_lshlrev_b32_e32 v3, 2, v3
	v_cndmask_b32_e32 v5, v0, v5, vcc_lo
	s_delay_alu instid0(VALU_DEP_1) | instskip(SKIP_1) | instid1(VALU_DEP_1)
	v_lshlrev_b32_e32 v23, 2, v5
	v_xor_b32_e32 v5, 2, v0
	v_cmp_gt_i32_e32 vcc_lo, 32, v5
	v_cndmask_b32_e32 v5, v0, v5, vcc_lo
	s_waitcnt lgkmcnt(0)
	v_max_f32_e32 v1, v1, v1
	s_delay_alu instid0(VALU_DEP_2) | instskip(SKIP_1) | instid1(VALU_DEP_3)
	v_lshlrev_b32_e32 v21, 2, v5
	v_xor_b32_e32 v5, 1, v0
	v_max_f32_e32 v1, v4, v1
	s_delay_alu instid0(VALU_DEP_2) | instskip(SKIP_2) | instid1(VALU_DEP_1)
	v_cmp_gt_i32_e32 vcc_lo, 32, v5
	ds_bpermute_b32 v4, v3, v1
	v_cndmask_b32_e32 v5, v0, v5, vcc_lo
	v_lshlrev_b32_e32 v20, 2, v5
	s_waitcnt lgkmcnt(0)
	v_max_f32_e32 v4, v4, v4
	s_delay_alu instid0(VALU_DEP_1) | instskip(SKIP_3) | instid1(VALU_DEP_1)
	v_max_f32_e32 v1, v1, v4
	ds_bpermute_b32 v4, v23, v1
	s_waitcnt lgkmcnt(0)
	v_max_f32_e32 v4, v4, v4
	v_max_f32_e32 v1, v1, v4
	ds_bpermute_b32 v4, v21, v1
	s_waitcnt lgkmcnt(0)
	v_max_f32_e32 v4, v4, v4
	s_delay_alu instid0(VALU_DEP_1)
	v_max_f32_e32 v0, v1, v4
	scratch_load_b32 v4, off, s32 offset:572 ; 4-byte Folded Reload
	ds_bpermute_b32 v1, v20, v0
	s_waitcnt vmcnt(0)
	v_cmp_eq_u32_e32 vcc_lo, 0, v4
	scratch_load_b32 v4, off, s32 offset:1060 ; 4-byte Folded Reload
	s_waitcnt vmcnt(0)
	v_lshlrev_b32_e32 v4, 2, v4
	s_and_saveexec_b32 s1, vcc_lo
	s_cbranch_execz .LBB262_915
; %bb.914:
	s_waitcnt lgkmcnt(0)
	v_dual_max_f32 v1, v1, v1 :: v_dual_max_f32 v0, v0, v0
	s_delay_alu instid0(VALU_DEP_1)
	v_max_f32_e32 v0, v0, v1
	ds_store_b32 v4, v0 offset:448
.LBB262_915:
	s_or_b32 exec_lo, exec_lo, s1
	scratch_load_b32 v0, off, s32 offset:572 ; 4-byte Folded Reload
	s_waitcnt vmcnt(0) lgkmcnt(0)
	s_waitcnt_vscnt null, 0x0
	s_barrier
	buffer_gl0_inv
	v_cmp_gt_u32_e64 s1, 4, v0
	v_mov_b32_e32 v0, 0xff7fffff
	s_delay_alu instid0(VALU_DEP_2)
	s_and_saveexec_b32 s2, s1
	s_cbranch_execz .LBB262_917
; %bb.916:
	ds_load_b32 v0, v10 offset:448
.LBB262_917:
	s_or_b32 exec_lo, exec_lo, s2
	scratch_load_b32 v5, off, s32 offset:344 ; 4-byte Folded Reload
	s_waitcnt lgkmcnt(0)
	ds_bpermute_b32 v1, v21, v0
	s_waitcnt lgkmcnt(0)
	v_dual_max_f32 v0, v0, v0 :: v_dual_max_f32 v1, v1, v1
	s_delay_alu instid0(VALU_DEP_1)
	v_max_f32_e32 v0, v0, v1
	s_waitcnt vmcnt(0)
	v_subrev_nc_u32_e32 v6, s13, v5
	v_mov_b32_e32 v5, 0
	ds_bpermute_b32 v1, v20, v0
	s_waitcnt lgkmcnt(0)
	v_max_f32_e32 v1, v1, v1
	s_delay_alu instid0(VALU_DEP_1) | instskip(SKIP_4) | instid1(VALU_DEP_1)
	v_max_f32_e32 v0, v0, v1
	v_lshl_add_u32 v1, v6, 5, s15
	scratch_load_b32 v6, off, s32 offset:1052 ; 4-byte Folded Reload
	ds_bpermute_b32 v0, v5, v0
	v_min_i32_e32 v1, v1, v22
	v_subrev_nc_u32_e32 v1, s15, v1
	s_waitcnt vmcnt(0)
	s_delay_alu instid0(VALU_DEP_1) | instskip(NEXT) | instid1(VALU_DEP_1)
	v_cmp_lt_i32_e64 s2, v6, v1
	s_and_saveexec_b32 s9, s2
	s_cbranch_execz .LBB262_921
; %bb.918:
	scratch_load_b32 v7, off, s32 offset:1052 ; 4-byte Folded Reload
	s_getpc_b64 s[16:17]
	s_add_u32 s16, s16, llvm.amdgcn.dynlds.offset.table@rel32@lo+4
	s_addc_u32 s17, s17, llvm.amdgcn.dynlds.offset.table@rel32@hi+12
	s_ashr_i32 s7, s6, 31
	v_mov_b32_e32 v5, 0
	s_lshl_b64 s[20:21], s[6:7], 2
	s_mov_b32 s7, 0
	s_add_u32 s16, s20, s16
	s_addc_u32 s17, s21, s17
	s_load_b32 s3, s[16:17], 0x0
	s_waitcnt vmcnt(0) lgkmcnt(0)
	v_lshl_add_u32 v6, v7, 2, s3
	.p2align	6
.LBB262_919:                            ; =>This Inner Loop Header: Depth=1
	ds_load_b32 v8, v6
	v_add_nc_u32_e32 v7, 0x80, v7
	s_delay_alu instid0(VALU_DEP_1) | instskip(NEXT) | instid1(VALU_DEP_1)
	v_cmp_ge_i32_e64 s3, v7, v1
	s_or_b32 s7, s3, s7
	s_waitcnt lgkmcnt(0)
	v_sub_f32_e32 v8, v8, v0
	s_delay_alu instid0(VALU_DEP_1) | instskip(NEXT) | instid1(VALU_DEP_1)
	v_mul_f32_e32 v8, 0x3fb8aa3b, v8
	v_exp_f32_e32 v8, v8
	ds_store_b32 v6, v8
	v_dual_add_f32 v5, v5, v8 :: v_dual_add_nc_u32 v6, 0x200, v6
	s_and_not1_b32 exec_lo, exec_lo, s7
	s_cbranch_execnz .LBB262_919
; %bb.920:
	s_or_b32 exec_lo, exec_lo, s7
.LBB262_921:
	s_delay_alu instid0(SALU_CYCLE_1)
	s_or_b32 exec_lo, exec_lo, s9
	ds_bpermute_b32 v2, v2, v5
	s_waitcnt lgkmcnt(0)
	v_add_f32_e32 v2, v5, v2
	ds_bpermute_b32 v3, v3, v2
	s_waitcnt lgkmcnt(0)
	v_add_f32_e32 v2, v2, v3
	;; [unrolled: 3-line block ×5, first 2 shown]
	s_and_saveexec_b32 s3, vcc_lo
	s_cbranch_execz .LBB262_923
; %bb.922:
	ds_store_b32 v4, v2 offset:464
.LBB262_923:
	s_or_b32 exec_lo, exec_lo, s3
	s_waitcnt lgkmcnt(0)
	s_barrier
	buffer_gl0_inv
	s_and_saveexec_b32 s3, s1
	s_cbranch_execz .LBB262_925
; %bb.924:
	ds_load_b32 v2, v10 offset:464
.LBB262_925:
	s_or_b32 exec_lo, exec_lo, s3
	s_waitcnt lgkmcnt(0)
	ds_bpermute_b32 v3, v21, v2
	s_waitcnt lgkmcnt(0)
	v_add_f32_e32 v2, v2, v3
	ds_bpermute_b32 v3, v20, v2
	s_waitcnt lgkmcnt(0)
	v_dual_add_f32 v2, v2, v3 :: v_dual_mov_b32 v3, 0
	ds_bpermute_b32 v2, v3, v2
	s_and_saveexec_b32 s1, s2
	s_cbranch_execz .LBB262_928
; %bb.926:
	s_waitcnt lgkmcnt(0)
	v_add_f32_e32 v4, 0x358637bd, v2
	s_getpc_b64 s[2:3]
	s_add_u32 s2, s2, llvm.amdgcn.dynlds.offset.table@rel32@lo+4
	s_addc_u32 s3, s3, llvm.amdgcn.dynlds.offset.table@rel32@hi+12
	s_ashr_i32 s7, s6, 31
	s_delay_alu instid0(SALU_CYCLE_1) | instskip(SKIP_4) | instid1(VALU_DEP_1)
	s_lshl_b64 s[16:17], s[6:7], 2
	v_div_scale_f32 v3, null, v4, v4, 1.0
	s_add_u32 s2, s16, s2
	s_addc_u32 s3, s17, s3
	s_load_b32 s2, s[2:3], 0x0
	v_rcp_f32_e32 v5, v3
	s_waitcnt_depctr 0xfff
	v_fma_f32 v6, -v3, v5, 1.0
	s_delay_alu instid0(VALU_DEP_1) | instskip(SKIP_1) | instid1(VALU_DEP_1)
	v_fmac_f32_e32 v5, v6, v5
	v_div_scale_f32 v7, vcc_lo, 1.0, v4, 1.0
	v_mul_f32_e32 v6, v7, v5
	s_delay_alu instid0(VALU_DEP_1) | instskip(NEXT) | instid1(VALU_DEP_1)
	v_fma_f32 v8, -v3, v6, v7
	v_fmac_f32_e32 v6, v8, v5
	s_delay_alu instid0(VALU_DEP_1) | instskip(NEXT) | instid1(VALU_DEP_1)
	v_fma_f32 v3, -v3, v6, v7
	v_div_fmas_f32 v5, v3, v5, v6
	scratch_load_b32 v6, off, s32 offset:1052 ; 4-byte Folded Reload
	v_div_fixup_f32 v4, v5, v4, 1.0
	s_waitcnt vmcnt(0) lgkmcnt(0)
	v_lshl_add_u32 v3, v6, 2, s2
	v_mov_b32_e32 v5, v6
	s_mov_b32 s2, 0
.LBB262_927:                            ; =>This Inner Loop Header: Depth=1
	ds_load_b32 v6, v3
	s_waitcnt lgkmcnt(0)
	v_dual_mul_f32 v6, v4, v6 :: v_dual_add_nc_u32 v5, 0x80, v5
	s_delay_alu instid0(VALU_DEP_1) | instskip(SKIP_3) | instid1(SALU_CYCLE_1)
	v_cmp_ge_i32_e32 vcc_lo, v5, v1
	ds_store_b32 v3, v6
	v_add_nc_u32_e32 v3, 0x200, v3
	s_or_b32 s2, vcc_lo, s2
	s_and_not1_b32 exec_lo, exec_lo, s2
	s_cbranch_execnz .LBB262_927
.LBB262_928:
	s_or_b32 exec_lo, exec_lo, s1
	s_waitcnt lgkmcnt(0)
	scratch_load_b32 v1, off, s32 offset:1052 ; 4-byte Folded Reload
	v_cmp_ne_u16_e64 s1, s8, 0
	s_waitcnt vmcnt(0)
	s_barrier
	buffer_gl0_inv
	s_cmp_lg_u32 s1, 0
	s_addc_u32 s1, s5, 0
	s_mov_b32 s5, exec_lo
	s_mul_i32 s2, s1, s10
	s_delay_alu instid0(SALU_CYCLE_1)
	s_mul_i32 s2, s2, s11
	v_cmpx_eq_u32_e32 0, v1
	s_cbranch_execz .LBB262_930
; %bb.929:
	s_mul_i32 s8, s1, s12
	s_ashr_i32 s15, s14, 31
	s_ashr_i32 s9, s8, 31
	;; [unrolled: 1-line block ×3, first 2 shown]
	s_lshl_b64 s[8:9], s[8:9], 2
	s_lshl_b64 s[10:11], s[14:15], 2
	s_lshl_b64 s[12:13], s[2:3], 2
	s_add_u32 s3, s10, s8
	s_addc_u32 s7, s11, s9
	s_add_u32 s3, s3, s12
	s_addc_u32 s7, s7, s13
	v_add_co_u32 v3, vcc_lo, s3, v35
	v_add_co_ci_u32_e32 v4, vcc_lo, s7, v34, vcc_lo
	v_add_co_u32 v5, vcc_lo, s3, v33
	v_add_co_ci_u32_e32 v6, vcc_lo, s7, v32, vcc_lo
	flat_store_b32 v[3:4], v0
	flat_store_b32 v[5:6], v2
.LBB262_930:
	s_or_b32 exec_lo, exec_lo, s5
	scratch_load_b32 v0, off, s32 offset:1052 ; 4-byte Folded Reload
	s_ashr_i32 s7, s6, 31
	s_getpc_b64 s[8:9]
	s_add_u32 s8, s8, llvm.amdgcn.dynlds.offset.table@rel32@lo+4
	s_addc_u32 s9, s9, llvm.amdgcn.dynlds.offset.table@rel32@hi+12
	s_lshl_b64 s[6:7], s[6:7], 2
	v_dual_mov_b32 v69, 0 :: v_dual_mov_b32 v70, 0
	v_dual_mov_b32 v67, 0 :: v_dual_mov_b32 v68, 0
	;; [unrolled: 1-line block ×14, first 2 shown]
	s_add_u32 s6, s6, s8
	s_addc_u32 s7, s7, s9
	s_mov_b32 s8, 0
	s_waitcnt vmcnt(0)
	v_and_b32_e32 v24, 7, v0
	s_and_saveexec_b32 s3, s0
	s_cbranch_execz .LBB262_1888
; %bb.931:
	s_clause 0x1
	scratch_load_b32 v0, off, s32 offset:1052
	scratch_load_b32 v9, off, s32 offset:1060
	v_max_i32_e32 v71, v30, v17
	s_load_b32 s0, s[6:7], 0x0
	v_add_co_u32 v3, vcc_lo, v81, v19
	v_add_co_ci_u32_e32 v4, vcc_lo, v80, v18, vcc_lo
	s_delay_alu instid0(VALU_DEP_3)
	v_sub_nc_u32_e32 v8, 0, v71
	v_dual_mov_b32 v29, 0 :: v_dual_lshlrev_b32 v6, 4, v24
	v_dual_mov_b32 v25, 0 :: v_dual_add_nc_u32 v80, -1, v16
	v_dual_mov_b32 v26, 0 :: v_dual_mov_b32 v31, 0
	v_dual_mov_b32 v32, 0 :: v_dual_mov_b32 v33, 0
	;; [unrolled: 1-line block ×10, first 2 shown]
	v_mov_b32_e32 v70, 0
	s_brev_b32 s9, 1
	s_mov_b32 s11, 0x7f800001
	s_mov_b32 s5, s8
	v_mov_b32_e32 v7, 0
	v_dual_mov_b32 v39, 0 :: v_dual_mov_b32 v48, 0
	s_waitcnt vmcnt(1)
	v_dual_mov_b32 v49, 0 :: v_dual_lshlrev_b32 v2, 2, v0
	v_cvt_f32_u32_e32 v0, v71
	v_mov_b32_e32 v38, 0
	s_waitcnt vmcnt(0)
	v_lshl_or_b32 v6, v9, 7, v6
	v_and_b32_e32 v27, 28, v2
	v_rcp_iflag_f32_e32 v5, v0
	v_mov_b32_e32 v28, 0
	v_lshlrev_b64 v[0:1], 2, v[88:89]
	v_and_b32_e32 v2, 0x7c, v2
	s_waitcnt lgkmcnt(0)
	v_add_nc_u32_e32 v81, s0, v6
	s_delay_alu instid0(VALU_DEP_3) | instskip(SKIP_3) | instid1(VALU_DEP_2)
	v_add_co_u32 v0, vcc_lo, v11, v0
	s_waitcnt_depctr 0xfff
	v_mul_f32_e32 v5, 0x4f7ffffe, v5
	v_add_co_ci_u32_e32 v1, vcc_lo, v12, v1, vcc_lo
	v_cvt_u32_f32_e32 v5, v5
	s_delay_alu instid0(VALU_DEP_1) | instskip(NEXT) | instid1(VALU_DEP_1)
	v_mul_lo_u32 v8, v8, v5
	v_mul_hi_u32 v12, v5, v8
	v_add_co_u32 v8, vcc_lo, v3, v2
	v_add_co_ci_u32_e32 v9, vcc_lo, 0, v4, vcc_lo
	v_add_co_u32 v10, vcc_lo, v14, v0
	v_add_co_ci_u32_e32 v11, vcc_lo, v15, v1, vcc_lo
	v_add_nc_u32_e32 v82, v5, v12
	s_branch .LBB262_934
.LBB262_932:                            ;   in Loop: Header=BB262_934 Depth=1
	s_or_b32 exec_lo, exec_lo, s0
	v_mul_f32_e32 v14, v1, v152
	v_mul_f32_e32 v13, v1, v154
	;; [unrolled: 1-line block ×3, first 2 shown]
	s_delay_alu instid0(VALU_DEP_3) | instskip(NEXT) | instid1(VALU_DEP_3)
	v_dual_fmac_f32 v14, v0, v143 :: v_dual_mul_f32 v15, v1, v140
	v_fmac_f32_e32 v13, v0, v153
	s_delay_alu instid0(VALU_DEP_3) | instskip(NEXT) | instid1(VALU_DEP_3)
	v_fmac_f32_e32 v16, v0, v127
	v_dual_fmac_f32 v14, v2, v142 :: v_dual_fmac_f32 v15, v0, v139
	v_mul_f32_e32 v17, v1, v124
	s_delay_alu instid0(VALU_DEP_4) | instskip(NEXT) | instid1(VALU_DEP_4)
	v_fmac_f32_e32 v13, v2, v19
	v_fmac_f32_e32 v16, v2, v126
	s_delay_alu instid0(VALU_DEP_4) | instskip(NEXT) | instid1(VALU_DEP_4)
	v_dual_fmac_f32 v14, v3, v141 :: v_dual_fmac_f32 v15, v2, v138
	v_fmac_f32_e32 v17, v0, v123
	v_mul_f32_e32 v83, v1, v108
	v_fmac_f32_e32 v13, v3, v18
	s_delay_alu instid0(VALU_DEP_4) | instskip(SKIP_3) | instid1(VALU_DEP_3)
	v_dual_add_f32 v28, v28, v14 :: v_dual_fmac_f32 v15, v3, v137
	v_mul_f32_e32 v18, v1, v104
	v_dual_fmac_f32 v16, v3, v125 :: v_dual_fmac_f32 v17, v2, v122
	v_mul_f32_e32 v14, v1, v79
	v_fmac_f32_e32 v18, v0, v95
	v_add_f32_e32 v29, v29, v15
	v_dual_mul_f32 v19, v1, v120 :: v_dual_add_f32 v26, v26, v13
	s_delay_alu instid0(VALU_DEP_4) | instskip(NEXT) | instid1(VALU_DEP_4)
	v_dual_add_f32 v31, v31, v16 :: v_dual_fmac_f32 v14, v0, v78
	v_dual_fmac_f32 v83, v0, v107 :: v_dual_fmac_f32 v18, v2, v94
	s_delay_alu instid0(VALU_DEP_3) | instskip(SKIP_1) | instid1(VALU_DEP_4)
	v_fmac_f32_e32 v19, v0, v111
	v_mul_f32_e32 v16, v1, v63
	v_dual_fmac_f32 v14, v2, v77 :: v_dual_mul_f32 v15, v1, v75
	s_delay_alu instid0(VALU_DEP_4) | instskip(NEXT) | instid1(VALU_DEP_3)
	v_dual_fmac_f32 v83, v2, v106 :: v_dual_fmac_f32 v18, v3, v93
	v_fmac_f32_e32 v16, v0, v62
	s_delay_alu instid0(VALU_DEP_3) | instskip(NEXT) | instid1(VALU_DEP_1)
	v_dual_fmac_f32 v14, v3, v76 :: v_dual_fmac_f32 v15, v0, v74
	v_dual_fmac_f32 v16, v2, v61 :: v_dual_add_f32 v37, v37, v14
	s_delay_alu instid0(VALU_DEP_2) | instskip(NEXT) | instid1(VALU_DEP_2)
	v_dual_mul_f32 v14, v1, v43 :: v_dual_fmac_f32 v15, v2, v73
	v_fmac_f32_e32 v16, v3, v60
	s_delay_alu instid0(VALU_DEP_2) | instskip(SKIP_1) | instid1(VALU_DEP_3)
	v_dual_fmac_f32 v14, v0, v42 :: v_dual_fmac_f32 v15, v3, v72
	v_fmac_f32_e32 v83, v3, v105
	v_dual_add_f32 v39, v39, v16 :: v_dual_mul_f32 v16, v1, v179
	s_delay_alu instid0(VALU_DEP_3) | instskip(NEXT) | instid1(VALU_DEP_4)
	v_fmac_f32_e32 v14, v2, v41
	v_dual_add_f32 v38, v38, v15 :: v_dual_fmac_f32 v17, v3, v121
	s_delay_alu instid0(VALU_DEP_4) | instskip(SKIP_4) | instid1(VALU_DEP_4)
	v_add_f32_e32 v34, v34, v83
	v_fmac_f32_e32 v19, v2, v110
	v_fmac_f32_e32 v16, v0, v178
	;; [unrolled: 1-line block ×3, first 2 shown]
	v_dual_add_f32 v32, v32, v17 :: v_dual_mul_f32 v17, v1, v59
	v_fmac_f32_e32 v19, v3, v109
	s_delay_alu instid0(VALU_DEP_4) | instskip(NEXT) | instid1(VALU_DEP_4)
	v_fmac_f32_e32 v16, v2, v177
	v_add_f32_e32 v50, v50, v14
	s_delay_alu instid0(VALU_DEP_4) | instskip(NEXT) | instid1(VALU_DEP_3)
	v_dual_mul_f32 v14, v1, v151 :: v_dual_fmac_f32 v17, v0, v58
	v_dual_add_f32 v33, v33, v19 :: v_dual_fmac_f32 v16, v3, v176
	s_delay_alu instid0(VALU_DEP_2) | instskip(NEXT) | instid1(VALU_DEP_2)
	v_dual_mul_f32 v15, v1, v183 :: v_dual_fmac_f32 v14, v0, v150
	v_dual_fmac_f32 v17, v2, v57 :: v_dual_add_f32 v52, v52, v16
	v_mul_f32_e32 v16, v1, v135
	s_delay_alu instid0(VALU_DEP_2) | instskip(NEXT) | instid1(VALU_DEP_2)
	v_dual_fmac_f32 v14, v2, v149 :: v_dual_fmac_f32 v17, v3, v56
	v_dual_mul_f32 v13, v1, v92 :: v_dual_fmac_f32 v16, v0, v134
	v_fmac_f32_e32 v15, v0, v182
	s_delay_alu instid0(VALU_DEP_3) | instskip(NEXT) | instid1(VALU_DEP_3)
	v_add_f32_e32 v48, v48, v17
	v_fmac_f32_e32 v13, v0, v91
	s_delay_alu instid0(VALU_DEP_4) | instskip(NEXT) | instid1(VALU_DEP_4)
	v_dual_mul_f32 v17, v1, v167 :: v_dual_fmac_f32 v16, v2, v133
	v_dual_fmac_f32 v15, v2, v181 :: v_dual_fmac_f32 v14, v3, v148
	s_delay_alu instid0(VALU_DEP_3) | instskip(NEXT) | instid1(VALU_DEP_3)
	v_fmac_f32_e32 v13, v2, v90
	v_dual_fmac_f32 v17, v0, v166 :: v_dual_fmac_f32 v16, v3, v132
	s_delay_alu instid0(VALU_DEP_3) | instskip(NEXT) | instid1(VALU_DEP_3)
	v_add_f32_e32 v55, v55, v14
	v_fmac_f32_e32 v13, v3, v89
	v_dual_add_f32 v35, v35, v18 :: v_dual_mul_f32 v14, v1, v115
	v_fmac_f32_e32 v15, v3, v180
	s_delay_alu instid0(VALU_DEP_3) | instskip(SKIP_2) | instid1(VALU_DEP_4)
	v_dual_add_f32 v65, v65, v16 :: v_dual_add_f32 v36, v36, v13
	v_mul_f32_e32 v13, v1, v47
	v_mul_f32_e32 v16, v1, v87
	v_add_f32_e32 v51, v51, v15
	v_dual_mul_f32 v15, v1, v147 :: v_dual_fmac_f32 v14, v0, v114
	s_delay_alu instid0(VALU_DEP_4) | instskip(NEXT) | instid1(VALU_DEP_4)
	v_fmac_f32_e32 v13, v0, v46
	v_fmac_f32_e32 v16, v0, v86
	s_delay_alu instid0(VALU_DEP_3) | instskip(NEXT) | instid1(VALU_DEP_3)
	v_dual_fmac_f32 v15, v0, v146 :: v_dual_fmac_f32 v14, v2, v113
	v_fmac_f32_e32 v13, v2, v45
	s_delay_alu instid0(VALU_DEP_3) | instskip(NEXT) | instid1(VALU_DEP_3)
	v_fmac_f32_e32 v16, v2, v85
	v_dual_fmac_f32 v15, v2, v145 :: v_dual_fmac_f32 v14, v3, v112
	s_delay_alu instid0(VALU_DEP_2) | instskip(NEXT) | instid1(VALU_DEP_2)
	v_fmac_f32_e32 v16, v3, v84
	v_fmac_f32_e32 v15, v3, v144
	s_delay_alu instid0(VALU_DEP_3) | instskip(NEXT) | instid1(VALU_DEP_2)
	v_dual_fmac_f32 v17, v2, v165 :: v_dual_add_f32 v68, v68, v14
	v_dual_add_f32 v69, v69, v16 :: v_dual_add_f32 v64, v64, v15
	s_delay_alu instid0(VALU_DEP_2) | instskip(SKIP_1) | instid1(VALU_DEP_2)
	v_fmac_f32_e32 v17, v3, v164
	v_mul_f32_e32 v15, v1, v103
	v_add_f32_e32 v53, v53, v17
	v_mul_f32_e32 v17, v1, v131
	s_delay_alu instid0(VALU_DEP_3) | instskip(NEXT) | instid1(VALU_DEP_2)
	v_fmac_f32_e32 v15, v0, v102
	v_fmac_f32_e32 v17, v0, v130
	s_delay_alu instid0(VALU_DEP_2) | instskip(NEXT) | instid1(VALU_DEP_2)
	v_fmac_f32_e32 v15, v2, v101
	v_fmac_f32_e32 v17, v2, v129
	s_delay_alu instid0(VALU_DEP_2) | instskip(NEXT) | instid1(VALU_DEP_2)
	;; [unrolled: 3-line block ×3, first 2 shown]
	v_dual_fmac_f32 v13, v3, v44 :: v_dual_add_f32 v70, v70, v15
	v_add_f32_e32 v66, v66, v17
	s_delay_alu instid0(VALU_DEP_2) | instskip(SKIP_1) | instid1(VALU_DEP_1)
	v_add_f32_e32 v49, v49, v13
	v_mul_f32_e32 v13, v1, v163
	v_fmac_f32_e32 v13, v0, v162
	s_delay_alu instid0(VALU_DEP_1) | instskip(NEXT) | instid1(VALU_DEP_1)
	v_fmac_f32_e32 v13, v2, v161
	v_fmac_f32_e32 v13, v3, v160
	s_delay_alu instid0(VALU_DEP_1) | instskip(SKIP_1) | instid1(VALU_DEP_2)
	v_dual_add_f32 v54, v54, v13 :: v_dual_mul_f32 v13, v1, v119
	v_mul_f32_e32 v1, v1, v12
	v_fmac_f32_e32 v13, v0, v118
	s_delay_alu instid0(VALU_DEP_2) | instskip(NEXT) | instid1(VALU_DEP_2)
	v_fmac_f32_e32 v1, v0, v6
	v_fmac_f32_e32 v13, v2, v117
	s_delay_alu instid0(VALU_DEP_2) | instskip(NEXT) | instid1(VALU_DEP_2)
	v_fmac_f32_e32 v1, v2, v5
	;; [unrolled: 3-line block ×3, first 2 shown]
	v_add_f32_e32 v67, v67, v13
	s_delay_alu instid0(VALU_DEP_2)
	v_add_f32_e32 v25, v25, v1
.LBB262_933:                            ;   in Loop: Header=BB262_934 Depth=1
	s_or_b32 exec_lo, exec_lo, s12
	scratch_load_b32 v0, off, s32 offset:344 ; 4-byte Folded Reload
	v_add_nc_u32_e32 v88, 4, v88
	v_add_co_u32 v10, s0, v10, 16
	s_delay_alu instid0(VALU_DEP_1)
	v_add_co_ci_u32_e64 v11, s0, 0, v11, s0
	v_add_nc_u32_e32 v159, 0x80, v159
	v_add_nc_u32_e32 v81, 0x200, v81
	s_waitcnt vmcnt(0)
	v_cmp_ge_i32_e32 vcc_lo, v88, v0
	s_or_b32 s5, vcc_lo, s5
	s_delay_alu instid0(SALU_CYCLE_1)
	s_and_not1_b32 exec_lo, exec_lo, s5
	s_cbranch_execz .LBB262_1887
.LBB262_934:                            ; =>This Inner Loop Header: Depth=1
	s_clause 0x2
	scratch_load_b32 v1, off, s32 offset:348
	scratch_load_b32 v5, off, s32 offset:340
	;; [unrolled: 1-line block ×3, first 2 shown]
	v_sub_nc_u32_e32 v0, 0, v159
	s_delay_alu instid0(VALU_DEP_1) | instskip(SKIP_1) | instid1(VALU_DEP_1)
	v_max_i32_e32 v0, v159, v0
	s_waitcnt vmcnt(2)
	v_mul_hi_u32 v1, v0, v1
	s_waitcnt vmcnt(0)
	s_delay_alu instid0(VALU_DEP_1) | instskip(NEXT) | instid1(VALU_DEP_1)
	v_mul_lo_u32 v2, v1, v4
	v_sub_nc_u32_e32 v0, v0, v2
	v_add_nc_u32_e32 v2, 1, v1
	s_delay_alu instid0(VALU_DEP_2) | instskip(SKIP_1) | instid1(VALU_DEP_2)
	v_sub_nc_u32_e32 v3, v0, v4
	v_cmp_ge_u32_e32 vcc_lo, v0, v4
	v_dual_cndmask_b32 v1, v1, v2 :: v_dual_cndmask_b32 v0, v0, v3
	v_ashrrev_i32_e32 v2, 31, v159
	s_delay_alu instid0(VALU_DEP_2) | instskip(NEXT) | instid1(VALU_DEP_3)
	v_add_nc_u32_e32 v3, 1, v1
	v_cmp_ge_u32_e32 vcc_lo, v0, v4
	s_delay_alu instid0(VALU_DEP_3) | instskip(NEXT) | instid1(VALU_DEP_3)
	v_xor_b32_e32 v2, v2, v5
	v_cndmask_b32_e32 v0, v1, v3, vcc_lo
	s_delay_alu instid0(VALU_DEP_1) | instskip(NEXT) | instid1(VALU_DEP_1)
	v_xor_b32_e32 v0, v0, v2
	v_sub_nc_u32_e32 v0, v0, v2
	scratch_load_b64 v[1:2], off, s32 offset:332 ; 8-byte Folded Reload
	s_waitcnt vmcnt(0)
	v_add_nc_u32_e32 v1, v0, v1
	s_delay_alu instid0(VALU_DEP_1) | instskip(NEXT) | instid1(VALU_DEP_1)
	v_sub_nc_u32_e32 v2, 0, v1
	v_max_i32_e32 v2, v1, v2
	s_delay_alu instid0(VALU_DEP_1) | instskip(NEXT) | instid1(VALU_DEP_1)
	v_mul_hi_u32 v3, v2, v82
	v_mul_lo_u32 v3, v3, v71
	s_delay_alu instid0(VALU_DEP_1) | instskip(NEXT) | instid1(VALU_DEP_1)
	v_sub_nc_u32_e32 v2, v2, v3
	v_sub_nc_u32_e32 v3, v2, v71
	v_cmp_ge_u32_e32 vcc_lo, v2, v71
	s_delay_alu instid0(VALU_DEP_2) | instskip(SKIP_1) | instid1(VALU_DEP_2)
	v_cndmask_b32_e32 v2, v2, v3, vcc_lo
	v_ashrrev_i32_e32 v1, 31, v1
	v_sub_nc_u32_e32 v3, v2, v71
	v_cmp_ge_u32_e32 vcc_lo, v2, v71
	s_delay_alu instid0(VALU_DEP_2) | instskip(NEXT) | instid1(VALU_DEP_1)
	v_cndmask_b32_e32 v2, v2, v3, vcc_lo
	v_xor_b32_e32 v2, v2, v1
	s_delay_alu instid0(VALU_DEP_1) | instskip(NEXT) | instid1(VALU_DEP_1)
	v_sub_nc_u32_e32 v1, v2, v1
	v_cmp_eq_u32_e32 vcc_lo, 0, v1
	scratch_load_b32 v1, off, s32 offset:352 ; 4-byte Folded Reload
	s_waitcnt vmcnt(0)
	v_cmp_gt_i32_e64 s0, v0, v1
	s_delay_alu instid0(VALU_DEP_1) | instskip(NEXT) | instid1(SALU_CYCLE_1)
	s_or_b32 s0, vcc_lo, s0
	s_and_saveexec_b32 s12, s0
	s_cbranch_execz .LBB262_933
; %bb.935:                              ;   in Loop: Header=BB262_934 Depth=1
	flat_load_b32 v0, v[10:11]
	scratch_load_b32 v1, off, s32 offset:564 ; 4-byte Folded Reload
	v_mov_b32_e32 v14, 0
	s_mov_b32 s0, exec_lo
	s_waitcnt vmcnt(0) lgkmcnt(0)
	v_mad_i64_i32 v[12:13], null, v0, v1, v[8:9]
	flat_load_b32 v84, v[12:13]
	scratch_load_b64 v[0:1], off, s32 offset:576 ; 8-byte Folded Reload
	s_waitcnt vmcnt(1) lgkmcnt(0)
	v_dual_mov_b32 v15, 0 :: v_dual_and_b32 v6, 0xff, v84
	s_waitcnt vmcnt(0)
	flat_load_b32 v83, v[0:1]
	ds_load_b128 v[0:3], v81
	v_dual_mov_b32 v4, v14 :: v_dual_mov_b32 v5, v15
	v_cmpx_ne_u16_e32 0, v6
	s_cbranch_execz .LBB262_943
; %bb.936:                              ;   in Loop: Header=BB262_934 Depth=1
	v_bfrev_b32_e32 v4, 1
	v_mov_b32_e32 v5, 0
	s_mov_b32 s10, exec_lo
	v_cmpx_ne_u16_e32 0x80, v6
	s_cbranch_execz .LBB262_942
; %bb.937:                              ;   in Loop: Header=BB262_934 Depth=1
	v_mov_b32_e32 v4, 0x7f800001
	v_dual_mov_b32 v5, 0 :: v_dual_and_b32 v16, 0x7f, v84
	s_mov_b32 s13, exec_lo
	s_delay_alu instid0(VALU_DEP_1)
	v_cmpx_ne_u32_e32 0x7f, v16
	s_cbranch_execz .LBB262_941
; %bb.938:                              ;   in Loop: Header=BB262_934 Depth=1
	v_and_b32_e32 v6, 7, v84
	v_lshrrev_b32_e32 v4, 3, v16
	s_mov_b32 s15, exec_lo
	v_cmpx_gt_u32_e32 8, v16
; %bb.939:                              ;   in Loop: Header=BB262_934 Depth=1
	s_delay_alu instid0(VALU_DEP_3) | instskip(NEXT) | instid1(VALU_DEP_1)
	v_clz_i32_u32_e32 v4, v6
	v_min_u32_e32 v4, 32, v4
	s_delay_alu instid0(VALU_DEP_1) | instskip(SKIP_1) | instid1(VALU_DEP_2)
	v_subrev_nc_u32_e32 v5, 28, v4
	v_sub_nc_u32_e32 v4, 29, v4
	v_lshlrev_b64 v[5:6], v5, v[6:7]
	s_delay_alu instid0(VALU_DEP_1)
	v_and_b32_e32 v6, 7, v5
; %bb.940:                              ;   in Loop: Header=BB262_934 Depth=1
	s_or_b32 exec_lo, exec_lo, s15
	v_lshlrev_b32_e32 v5, 24, v84
	s_delay_alu instid0(VALU_DEP_2) | instskip(SKIP_1) | instid1(VALU_DEP_3)
	v_lshlrev_b32_e32 v6, 20, v6
	v_lshl_add_u32 v4, v4, 23, 0x3c000000
	v_and_b32_e32 v5, 0x80000000, v5
	s_delay_alu instid0(VALU_DEP_1) | instskip(NEXT) | instid1(VALU_DEP_1)
	v_or3_b32 v6, v6, v5, v4
	v_dual_mov_b32 v4, v6 :: v_dual_mov_b32 v5, v7
.LBB262_941:                            ;   in Loop: Header=BB262_934 Depth=1
	s_or_b32 exec_lo, exec_lo, s13
.LBB262_942:                            ;   in Loop: Header=BB262_934 Depth=1
	s_delay_alu instid0(SALU_CYCLE_1)
	s_or_b32 exec_lo, exec_lo, s10
.LBB262_943:                            ;   in Loop: Header=BB262_934 Depth=1
	s_delay_alu instid0(SALU_CYCLE_1) | instskip(SKIP_2) | instid1(VALU_DEP_1)
	s_or_b32 exec_lo, exec_lo, s0
	v_lshrrev_b16 v6, 8, v84
	s_mov_b32 s0, exec_lo
	v_cmpx_ne_u16_e32 0, v6
	s_cbranch_execz .LBB262_951
; %bb.944:                              ;   in Loop: Header=BB262_934 Depth=1
	v_dual_mov_b32 v15, s9 :: v_dual_mov_b32 v14, s8
	s_mov_b32 s13, exec_lo
	v_cmpx_ne_u16_e32 0x80, v6
	s_cbranch_execz .LBB262_950
; %bb.945:                              ;   in Loop: Header=BB262_934 Depth=1
	s_mov_b32 s10, s8
	v_dual_mov_b32 v15, s11 :: v_dual_and_b32 v6, 0xffff, v6
	v_mov_b32_e32 v14, s10
	s_mov_b32 s10, exec_lo
	s_delay_alu instid0(VALU_DEP_2) | instskip(NEXT) | instid1(VALU_DEP_1)
	v_and_b32_e32 v16, 0x7f, v6
	v_cmpx_ne_u32_e32 0x7f, v16
	s_cbranch_execz .LBB262_949
; %bb.946:                              ;   in Loop: Header=BB262_934 Depth=1
	v_and_b32_e32 v6, 7, v6
	v_lshrrev_b32_e32 v14, 3, v16
	s_mov_b32 s15, exec_lo
	v_cmpx_gt_u32_e32 8, v16
; %bb.947:                              ;   in Loop: Header=BB262_934 Depth=1
	s_delay_alu instid0(VALU_DEP_3) | instskip(NEXT) | instid1(VALU_DEP_1)
	v_clz_i32_u32_e32 v14, v6
	v_min_u32_e32 v14, 32, v14
	s_delay_alu instid0(VALU_DEP_1) | instskip(SKIP_1) | instid1(VALU_DEP_2)
	v_subrev_nc_u32_e32 v15, 28, v14
	v_sub_nc_u32_e32 v14, 29, v14
	v_lshlrev_b64 v[15:16], v15, v[6:7]
	s_delay_alu instid0(VALU_DEP_1)
	v_and_b32_e32 v6, 7, v15
; %bb.948:                              ;   in Loop: Header=BB262_934 Depth=1
	s_or_b32 exec_lo, exec_lo, s15
	v_lshlrev_b32_e32 v15, 16, v84
	s_delay_alu instid0(VALU_DEP_2) | instskip(SKIP_1) | instid1(VALU_DEP_3)
	v_lshlrev_b32_e32 v6, 20, v6
	v_lshl_add_u32 v14, v14, 23, 0x3c000000
	v_and_b32_e32 v15, 0x80000000, v15
	s_delay_alu instid0(VALU_DEP_1)
	v_or3_b32 v15, v6, v15, v14
	v_mov_b32_e32 v14, v7
.LBB262_949:                            ;   in Loop: Header=BB262_934 Depth=1
	s_or_b32 exec_lo, exec_lo, s10
.LBB262_950:                            ;   in Loop: Header=BB262_934 Depth=1
	s_delay_alu instid0(SALU_CYCLE_1)
	s_or_b32 exec_lo, exec_lo, s13
.LBB262_951:                            ;   in Loop: Header=BB262_934 Depth=1
	s_delay_alu instid0(SALU_CYCLE_1) | instskip(SKIP_4) | instid1(VALU_DEP_2)
	s_or_b32 exec_lo, exec_lo, s0
	v_mov_b32_e32 v18, 0
	v_lshrrev_b32_e32 v85, 16, v84
	v_mov_b32_e32 v19, 0
	s_mov_b32 s0, exec_lo
	v_and_b32_e32 v6, 0xff, v85
	s_delay_alu instid0(VALU_DEP_2) | instskip(NEXT) | instid1(VALU_DEP_2)
	v_dual_mov_b32 v16, v18 :: v_dual_mov_b32 v17, v19
	v_cmpx_ne_u16_e32 0, v6
	s_cbranch_execz .LBB262_959
; %bb.952:                              ;   in Loop: Header=BB262_934 Depth=1
	v_bfrev_b32_e32 v16, 1
	v_mov_b32_e32 v17, 0
	s_mov_b32 s10, exec_lo
	v_cmpx_ne_u16_e32 0x80, v6
	s_cbranch_execz .LBB262_958
; %bb.953:                              ;   in Loop: Header=BB262_934 Depth=1
	v_mov_b32_e32 v16, 0x7f800001
	v_bfe_u32 v86, v84, 16, 7
	v_mov_b32_e32 v17, 0
	s_mov_b32 s13, exec_lo
	s_delay_alu instid0(VALU_DEP_2)
	v_cmpx_ne_u32_e32 0x7f, v86
	s_cbranch_execz .LBB262_957
; %bb.954:                              ;   in Loop: Header=BB262_934 Depth=1
	v_and_b32_e32 v6, 7, v85
	v_lshrrev_b32_e32 v16, 3, v86
	s_mov_b32 s15, exec_lo
	v_cmpx_gt_u32_e32 8, v86
; %bb.955:                              ;   in Loop: Header=BB262_934 Depth=1
	s_delay_alu instid0(VALU_DEP_3) | instskip(NEXT) | instid1(VALU_DEP_1)
	v_clz_i32_u32_e32 v16, v6
	v_min_u32_e32 v16, 32, v16
	s_delay_alu instid0(VALU_DEP_1) | instskip(SKIP_1) | instid1(VALU_DEP_2)
	v_subrev_nc_u32_e32 v17, 28, v16
	v_sub_nc_u32_e32 v16, 29, v16
	v_lshlrev_b64 v[86:87], v17, v[6:7]
	s_delay_alu instid0(VALU_DEP_1)
	v_and_b32_e32 v6, 7, v86
; %bb.956:                              ;   in Loop: Header=BB262_934 Depth=1
	s_or_b32 exec_lo, exec_lo, s15
	v_lshlrev_b32_e32 v17, 24, v85
	s_delay_alu instid0(VALU_DEP_2) | instskip(SKIP_1) | instid1(VALU_DEP_3)
	v_lshlrev_b32_e32 v6, 20, v6
	v_lshl_add_u32 v16, v16, 23, 0x3c000000
	v_and_b32_e32 v17, 0x80000000, v17
	s_delay_alu instid0(VALU_DEP_1) | instskip(NEXT) | instid1(VALU_DEP_1)
	v_or3_b32 v6, v6, v17, v16
	v_dual_mov_b32 v17, v7 :: v_dual_mov_b32 v16, v6
.LBB262_957:                            ;   in Loop: Header=BB262_934 Depth=1
	s_or_b32 exec_lo, exec_lo, s13
.LBB262_958:                            ;   in Loop: Header=BB262_934 Depth=1
	s_delay_alu instid0(SALU_CYCLE_1)
	s_or_b32 exec_lo, exec_lo, s10
.LBB262_959:                            ;   in Loop: Header=BB262_934 Depth=1
	s_delay_alu instid0(SALU_CYCLE_1) | instskip(NEXT) | instid1(SALU_CYCLE_1)
	s_or_b32 exec_lo, exec_lo, s0
	s_mov_b32 s0, exec_lo
	v_cmpx_lt_u32_e32 0xffffff, v84
	s_cbranch_execz .LBB262_967
; %bb.960:                              ;   in Loop: Header=BB262_934 Depth=1
	v_lshrrev_b32_e32 v85, 24, v84
	v_dual_mov_b32 v19, s9 :: v_dual_mov_b32 v18, s8
	s_mov_b32 s13, exec_lo
	s_delay_alu instid0(VALU_DEP_2)
	v_cmpx_ne_u32_e32 0x80, v85
	s_cbranch_execz .LBB262_966
; %bb.961:                              ;   in Loop: Header=BB262_934 Depth=1
	s_mov_b32 s10, s8
	v_bfe_u32 v84, v84, 24, 7
	v_dual_mov_b32 v19, s11 :: v_dual_mov_b32 v18, s10
	s_mov_b32 s10, exec_lo
	s_delay_alu instid0(VALU_DEP_2)
	v_cmpx_ne_u32_e32 0x7f, v84
	s_cbranch_execz .LBB262_965
; %bb.962:                              ;   in Loop: Header=BB262_934 Depth=1
	v_and_b32_e32 v6, 7, v85
	v_lshrrev_b32_e32 v18, 3, v84
	s_mov_b32 s15, exec_lo
	v_cmpx_gt_u32_e32 8, v84
; %bb.963:                              ;   in Loop: Header=BB262_934 Depth=1
	s_delay_alu instid0(VALU_DEP_3) | instskip(NEXT) | instid1(VALU_DEP_1)
	v_clz_i32_u32_e32 v18, v6
	v_min_u32_e32 v18, 32, v18
	s_delay_alu instid0(VALU_DEP_1) | instskip(SKIP_1) | instid1(VALU_DEP_2)
	v_subrev_nc_u32_e32 v19, 28, v18
	v_sub_nc_u32_e32 v18, 29, v18
	v_lshlrev_b64 v[86:87], v19, v[6:7]
	s_delay_alu instid0(VALU_DEP_1)
	v_and_b32_e32 v6, 7, v86
; %bb.964:                              ;   in Loop: Header=BB262_934 Depth=1
	s_or_b32 exec_lo, exec_lo, s15
	v_lshlrev_b32_e32 v19, 24, v85
	s_delay_alu instid0(VALU_DEP_2) | instskip(SKIP_1) | instid1(VALU_DEP_3)
	v_lshlrev_b32_e32 v6, 20, v6
	v_lshl_add_u32 v18, v18, 23, 0x3c000000
	v_and_b32_e32 v19, 0x80000000, v19
	s_delay_alu instid0(VALU_DEP_1)
	v_or3_b32 v19, v6, v19, v18
	v_mov_b32_e32 v18, v7
.LBB262_965:                            ;   in Loop: Header=BB262_934 Depth=1
	s_or_b32 exec_lo, exec_lo, s10
.LBB262_966:                            ;   in Loop: Header=BB262_934 Depth=1
	s_delay_alu instid0(SALU_CYCLE_1)
	s_or_b32 exec_lo, exec_lo, s13
.LBB262_967:                            ;   in Loop: Header=BB262_934 Depth=1
	s_delay_alu instid0(SALU_CYCLE_1)
	s_or_b32 exec_lo, exec_lo, s0
	v_add_nc_u32_e32 v96, v27, v159
	v_or_b32_e32 v5, v15, v5
	v_or_b32_e32 v4, v14, v4
	;; [unrolled: 1-line block ×4, first 2 shown]
	v_cmp_eq_u32_e32 vcc_lo, v80, v88
	s_waitcnt vmcnt(0) lgkmcnt(1)
	v_dual_mul_f32 v87, v83, v5 :: v_dual_add_nc_u32 v98, 2, v96
	v_mul_f32_e32 v86, v83, v4
	v_dual_mul_f32 v84, v83, v6 :: v_dual_add_nc_u32 v99, 1, v96
	v_mul_f32_e32 v85, v83, v14
	v_add_nc_u32_e32 v97, 3, v96
	s_and_saveexec_b32 s10, vcc_lo
; %bb.968:                              ;   in Loop: Header=BB262_934 Depth=1
	v_cmp_lt_i32_e64 s0, v96, v22
	s_delay_alu instid0(VALU_DEP_1) | instskip(SKIP_1) | instid1(VALU_DEP_1)
	v_cndmask_b32_e64 v86, 0, v86, s0
	v_cmp_lt_i32_e64 s0, v99, v22
	v_cndmask_b32_e64 v87, 0, v87, s0
	v_cmp_lt_i32_e64 s0, v98, v22
	s_delay_alu instid0(VALU_DEP_1) | instskip(SKIP_1) | instid1(VALU_DEP_1)
	v_cndmask_b32_e64 v85, 0, v85, s0
	v_cmp_lt_i32_e64 s0, v97, v22
	v_cndmask_b32_e64 v84, 0, v84, s0
; %bb.969:                              ;   in Loop: Header=BB262_934 Depth=1
	s_or_b32 exec_lo, exec_lo, s10
	flat_load_b32 v100, v[12:13] offset:128
	v_mov_b32_e32 v14, 0
	v_mov_b32_e32 v15, 0
	s_mov_b32 s10, exec_lo
	s_waitcnt vmcnt(0) lgkmcnt(0)
	v_and_b32_e32 v6, 0xff, v100
	s_delay_alu instid0(VALU_DEP_2) | instskip(NEXT) | instid1(VALU_DEP_2)
	v_dual_mov_b32 v4, v14 :: v_dual_mov_b32 v5, v15
	v_cmpx_ne_u16_e32 0, v6
	s_cbranch_execz .LBB262_977
; %bb.970:                              ;   in Loop: Header=BB262_934 Depth=1
	v_bfrev_b32_e32 v4, 1
	v_mov_b32_e32 v5, 0
	s_mov_b32 s13, exec_lo
	v_cmpx_ne_u16_e32 0x80, v6
	s_cbranch_execz .LBB262_976
; %bb.971:                              ;   in Loop: Header=BB262_934 Depth=1
	v_mov_b32_e32 v4, 0x7f800001
	v_dual_mov_b32 v5, 0 :: v_dual_and_b32 v16, 0x7f, v100
	s_mov_b32 s15, exec_lo
	s_delay_alu instid0(VALU_DEP_1)
	v_cmpx_ne_u32_e32 0x7f, v16
	s_cbranch_execz .LBB262_975
; %bb.972:                              ;   in Loop: Header=BB262_934 Depth=1
	v_and_b32_e32 v6, 7, v100
	v_lshrrev_b32_e32 v4, 3, v16
	s_mov_b32 s16, exec_lo
	v_cmpx_gt_u32_e32 8, v16
; %bb.973:                              ;   in Loop: Header=BB262_934 Depth=1
	s_delay_alu instid0(VALU_DEP_3) | instskip(NEXT) | instid1(VALU_DEP_1)
	v_clz_i32_u32_e32 v4, v6
	v_min_u32_e32 v4, 32, v4
	s_delay_alu instid0(VALU_DEP_1) | instskip(SKIP_1) | instid1(VALU_DEP_2)
	v_subrev_nc_u32_e32 v5, 28, v4
	v_sub_nc_u32_e32 v4, 29, v4
	v_lshlrev_b64 v[5:6], v5, v[6:7]
	s_delay_alu instid0(VALU_DEP_1)
	v_and_b32_e32 v6, 7, v5
; %bb.974:                              ;   in Loop: Header=BB262_934 Depth=1
	s_or_b32 exec_lo, exec_lo, s16
	v_lshlrev_b32_e32 v5, 24, v100
	s_delay_alu instid0(VALU_DEP_2) | instskip(SKIP_1) | instid1(VALU_DEP_3)
	v_lshlrev_b32_e32 v6, 20, v6
	v_lshl_add_u32 v4, v4, 23, 0x3c000000
	v_and_b32_e32 v5, 0x80000000, v5
	s_delay_alu instid0(VALU_DEP_1) | instskip(NEXT) | instid1(VALU_DEP_1)
	v_or3_b32 v6, v6, v5, v4
	v_dual_mov_b32 v4, v6 :: v_dual_mov_b32 v5, v7
.LBB262_975:                            ;   in Loop: Header=BB262_934 Depth=1
	s_or_b32 exec_lo, exec_lo, s15
.LBB262_976:                            ;   in Loop: Header=BB262_934 Depth=1
	s_delay_alu instid0(SALU_CYCLE_1)
	s_or_b32 exec_lo, exec_lo, s13
.LBB262_977:                            ;   in Loop: Header=BB262_934 Depth=1
	s_delay_alu instid0(SALU_CYCLE_1) | instskip(SKIP_2) | instid1(VALU_DEP_1)
	s_or_b32 exec_lo, exec_lo, s10
	v_lshrrev_b16 v6, 8, v100
	s_mov_b32 s13, exec_lo
	v_cmpx_ne_u16_e32 0, v6
	s_cbranch_execz .LBB262_985
; %bb.978:                              ;   in Loop: Header=BB262_934 Depth=1
	v_dual_mov_b32 v15, s9 :: v_dual_mov_b32 v14, s8
	s_mov_b32 s15, exec_lo
	v_cmpx_ne_u16_e32 0x80, v6
	s_cbranch_execz .LBB262_984
; %bb.979:                              ;   in Loop: Header=BB262_934 Depth=1
	s_mov_b32 s10, s8
	v_dual_mov_b32 v15, s11 :: v_dual_and_b32 v6, 0xffff, v6
	v_mov_b32_e32 v14, s10
	s_mov_b32 s10, exec_lo
	s_delay_alu instid0(VALU_DEP_2) | instskip(NEXT) | instid1(VALU_DEP_1)
	v_and_b32_e32 v16, 0x7f, v6
	v_cmpx_ne_u32_e32 0x7f, v16
	s_cbranch_execz .LBB262_983
; %bb.980:                              ;   in Loop: Header=BB262_934 Depth=1
	v_and_b32_e32 v6, 7, v6
	v_lshrrev_b32_e32 v14, 3, v16
	s_mov_b32 s16, exec_lo
	v_cmpx_gt_u32_e32 8, v16
; %bb.981:                              ;   in Loop: Header=BB262_934 Depth=1
	s_delay_alu instid0(VALU_DEP_3) | instskip(NEXT) | instid1(VALU_DEP_1)
	v_clz_i32_u32_e32 v14, v6
	v_min_u32_e32 v14, 32, v14
	s_delay_alu instid0(VALU_DEP_1) | instskip(SKIP_1) | instid1(VALU_DEP_2)
	v_subrev_nc_u32_e32 v15, 28, v14
	v_sub_nc_u32_e32 v14, 29, v14
	v_lshlrev_b64 v[15:16], v15, v[6:7]
	s_delay_alu instid0(VALU_DEP_1)
	v_and_b32_e32 v6, 7, v15
; %bb.982:                              ;   in Loop: Header=BB262_934 Depth=1
	s_or_b32 exec_lo, exec_lo, s16
	v_lshlrev_b32_e32 v15, 16, v100
	s_delay_alu instid0(VALU_DEP_2) | instskip(SKIP_1) | instid1(VALU_DEP_3)
	v_lshlrev_b32_e32 v6, 20, v6
	v_lshl_add_u32 v14, v14, 23, 0x3c000000
	v_and_b32_e32 v15, 0x80000000, v15
	s_delay_alu instid0(VALU_DEP_1)
	v_or3_b32 v15, v6, v15, v14
	v_mov_b32_e32 v14, v7
.LBB262_983:                            ;   in Loop: Header=BB262_934 Depth=1
	s_or_b32 exec_lo, exec_lo, s10
.LBB262_984:                            ;   in Loop: Header=BB262_934 Depth=1
	s_delay_alu instid0(SALU_CYCLE_1)
	s_or_b32 exec_lo, exec_lo, s15
.LBB262_985:                            ;   in Loop: Header=BB262_934 Depth=1
	s_delay_alu instid0(SALU_CYCLE_1) | instskip(SKIP_4) | instid1(VALU_DEP_2)
	s_or_b32 exec_lo, exec_lo, s13
	v_mov_b32_e32 v18, 0
	v_lshrrev_b32_e32 v101, 16, v100
	v_mov_b32_e32 v19, 0
	s_mov_b32 s10, exec_lo
	v_and_b32_e32 v6, 0xff, v101
	s_delay_alu instid0(VALU_DEP_2) | instskip(NEXT) | instid1(VALU_DEP_2)
	v_dual_mov_b32 v16, v18 :: v_dual_mov_b32 v17, v19
	v_cmpx_ne_u16_e32 0, v6
	s_cbranch_execz .LBB262_993
; %bb.986:                              ;   in Loop: Header=BB262_934 Depth=1
	v_bfrev_b32_e32 v16, 1
	v_mov_b32_e32 v17, 0
	s_mov_b32 s13, exec_lo
	v_cmpx_ne_u16_e32 0x80, v6
	s_cbranch_execz .LBB262_992
; %bb.987:                              ;   in Loop: Header=BB262_934 Depth=1
	v_mov_b32_e32 v16, 0x7f800001
	v_bfe_u32 v102, v100, 16, 7
	v_mov_b32_e32 v17, 0
	s_mov_b32 s15, exec_lo
	s_delay_alu instid0(VALU_DEP_2)
	v_cmpx_ne_u32_e32 0x7f, v102
	s_cbranch_execz .LBB262_991
; %bb.988:                              ;   in Loop: Header=BB262_934 Depth=1
	v_and_b32_e32 v6, 7, v101
	v_lshrrev_b32_e32 v16, 3, v102
	s_mov_b32 s16, exec_lo
	v_cmpx_gt_u32_e32 8, v102
; %bb.989:                              ;   in Loop: Header=BB262_934 Depth=1
	s_delay_alu instid0(VALU_DEP_3) | instskip(NEXT) | instid1(VALU_DEP_1)
	v_clz_i32_u32_e32 v16, v6
	v_min_u32_e32 v16, 32, v16
	s_delay_alu instid0(VALU_DEP_1) | instskip(SKIP_1) | instid1(VALU_DEP_2)
	v_subrev_nc_u32_e32 v17, 28, v16
	v_sub_nc_u32_e32 v16, 29, v16
	v_lshlrev_b64 v[102:103], v17, v[6:7]
	s_delay_alu instid0(VALU_DEP_1)
	v_and_b32_e32 v6, 7, v102
; %bb.990:                              ;   in Loop: Header=BB262_934 Depth=1
	s_or_b32 exec_lo, exec_lo, s16
	v_lshlrev_b32_e32 v17, 24, v101
	s_delay_alu instid0(VALU_DEP_2) | instskip(SKIP_1) | instid1(VALU_DEP_3)
	v_lshlrev_b32_e32 v6, 20, v6
	v_lshl_add_u32 v16, v16, 23, 0x3c000000
	v_and_b32_e32 v17, 0x80000000, v17
	s_delay_alu instid0(VALU_DEP_1) | instskip(NEXT) | instid1(VALU_DEP_1)
	v_or3_b32 v6, v6, v17, v16
	v_dual_mov_b32 v17, v7 :: v_dual_mov_b32 v16, v6
.LBB262_991:                            ;   in Loop: Header=BB262_934 Depth=1
	s_or_b32 exec_lo, exec_lo, s15
.LBB262_992:                            ;   in Loop: Header=BB262_934 Depth=1
	s_delay_alu instid0(SALU_CYCLE_1)
	s_or_b32 exec_lo, exec_lo, s13
.LBB262_993:                            ;   in Loop: Header=BB262_934 Depth=1
	s_delay_alu instid0(SALU_CYCLE_1) | instskip(NEXT) | instid1(SALU_CYCLE_1)
	s_or_b32 exec_lo, exec_lo, s10
	s_mov_b32 s13, exec_lo
	v_cmpx_lt_u32_e32 0xffffff, v100
	s_cbranch_execz .LBB262_1001
; %bb.994:                              ;   in Loop: Header=BB262_934 Depth=1
	v_lshrrev_b32_e32 v101, 24, v100
	v_dual_mov_b32 v19, s9 :: v_dual_mov_b32 v18, s8
	s_mov_b32 s15, exec_lo
	s_delay_alu instid0(VALU_DEP_2)
	v_cmpx_ne_u32_e32 0x80, v101
	s_cbranch_execz .LBB262_1000
; %bb.995:                              ;   in Loop: Header=BB262_934 Depth=1
	s_mov_b32 s10, s8
	v_bfe_u32 v100, v100, 24, 7
	v_dual_mov_b32 v19, s11 :: v_dual_mov_b32 v18, s10
	s_mov_b32 s10, exec_lo
	s_delay_alu instid0(VALU_DEP_2)
	v_cmpx_ne_u32_e32 0x7f, v100
	s_cbranch_execz .LBB262_999
; %bb.996:                              ;   in Loop: Header=BB262_934 Depth=1
	v_and_b32_e32 v6, 7, v101
	v_lshrrev_b32_e32 v18, 3, v100
	s_mov_b32 s16, exec_lo
	v_cmpx_gt_u32_e32 8, v100
; %bb.997:                              ;   in Loop: Header=BB262_934 Depth=1
	s_delay_alu instid0(VALU_DEP_3) | instskip(NEXT) | instid1(VALU_DEP_1)
	v_clz_i32_u32_e32 v18, v6
	v_min_u32_e32 v18, 32, v18
	s_delay_alu instid0(VALU_DEP_1) | instskip(SKIP_1) | instid1(VALU_DEP_2)
	v_subrev_nc_u32_e32 v19, 28, v18
	v_sub_nc_u32_e32 v18, 29, v18
	v_lshlrev_b64 v[102:103], v19, v[6:7]
	s_delay_alu instid0(VALU_DEP_1)
	v_and_b32_e32 v6, 7, v102
; %bb.998:                              ;   in Loop: Header=BB262_934 Depth=1
	s_or_b32 exec_lo, exec_lo, s16
	v_lshlrev_b32_e32 v19, 24, v101
	s_delay_alu instid0(VALU_DEP_2) | instskip(SKIP_1) | instid1(VALU_DEP_3)
	v_lshlrev_b32_e32 v6, 20, v6
	v_lshl_add_u32 v18, v18, 23, 0x3c000000
	v_and_b32_e32 v19, 0x80000000, v19
	s_delay_alu instid0(VALU_DEP_1)
	v_or3_b32 v19, v6, v19, v18
	v_mov_b32_e32 v18, v7
.LBB262_999:                            ;   in Loop: Header=BB262_934 Depth=1
	s_or_b32 exec_lo, exec_lo, s10
.LBB262_1000:                           ;   in Loop: Header=BB262_934 Depth=1
	s_delay_alu instid0(SALU_CYCLE_1)
	s_or_b32 exec_lo, exec_lo, s15
.LBB262_1001:                           ;   in Loop: Header=BB262_934 Depth=1
	s_delay_alu instid0(SALU_CYCLE_1) | instskip(SKIP_4) | instid1(VALU_DEP_4)
	s_or_b32 exec_lo, exec_lo, s13
	v_or_b32_e32 v5, v15, v5
	v_or_b32_e32 v4, v14, v4
	;; [unrolled: 1-line block ×4, first 2 shown]
	v_mul_f32_e32 v103, v83, v5
	s_delay_alu instid0(VALU_DEP_4) | instskip(NEXT) | instid1(VALU_DEP_4)
	v_mul_f32_e32 v102, v83, v4
	v_mul_f32_e32 v100, v83, v6
	s_delay_alu instid0(VALU_DEP_4)
	v_mul_f32_e32 v101, v83, v14
	s_and_saveexec_b32 s10, vcc_lo
; %bb.1002:                             ;   in Loop: Header=BB262_934 Depth=1
	v_cmp_lt_i32_e64 s0, v96, v22
	s_delay_alu instid0(VALU_DEP_1) | instskip(SKIP_1) | instid1(VALU_DEP_1)
	v_cndmask_b32_e64 v102, 0, v102, s0
	v_cmp_lt_i32_e64 s0, v99, v22
	v_cndmask_b32_e64 v103, 0, v103, s0
	v_cmp_lt_i32_e64 s0, v98, v22
	s_delay_alu instid0(VALU_DEP_1) | instskip(SKIP_1) | instid1(VALU_DEP_1)
	v_cndmask_b32_e64 v101, 0, v101, s0
	v_cmp_lt_i32_e64 s0, v97, v22
	v_cndmask_b32_e64 v100, 0, v100, s0
; %bb.1003:                             ;   in Loop: Header=BB262_934 Depth=1
	s_or_b32 exec_lo, exec_lo, s10
	flat_load_b32 v112, v[12:13] offset:256
	v_mov_b32_e32 v14, 0
	v_mov_b32_e32 v15, 0
	s_mov_b32 s10, exec_lo
	s_waitcnt vmcnt(0) lgkmcnt(0)
	v_and_b32_e32 v6, 0xff, v112
	s_delay_alu instid0(VALU_DEP_2) | instskip(NEXT) | instid1(VALU_DEP_2)
	v_dual_mov_b32 v4, v14 :: v_dual_mov_b32 v5, v15
	v_cmpx_ne_u16_e32 0, v6
	s_cbranch_execz .LBB262_1011
; %bb.1004:                             ;   in Loop: Header=BB262_934 Depth=1
	v_bfrev_b32_e32 v4, 1
	v_mov_b32_e32 v5, 0
	s_mov_b32 s13, exec_lo
	v_cmpx_ne_u16_e32 0x80, v6
	s_cbranch_execz .LBB262_1010
; %bb.1005:                             ;   in Loop: Header=BB262_934 Depth=1
	v_mov_b32_e32 v4, 0x7f800001
	v_dual_mov_b32 v5, 0 :: v_dual_and_b32 v16, 0x7f, v112
	s_mov_b32 s15, exec_lo
	s_delay_alu instid0(VALU_DEP_1)
	v_cmpx_ne_u32_e32 0x7f, v16
	s_cbranch_execz .LBB262_1009
; %bb.1006:                             ;   in Loop: Header=BB262_934 Depth=1
	v_and_b32_e32 v6, 7, v112
	v_lshrrev_b32_e32 v4, 3, v16
	s_mov_b32 s16, exec_lo
	v_cmpx_gt_u32_e32 8, v16
; %bb.1007:                             ;   in Loop: Header=BB262_934 Depth=1
	s_delay_alu instid0(VALU_DEP_3) | instskip(NEXT) | instid1(VALU_DEP_1)
	v_clz_i32_u32_e32 v4, v6
	v_min_u32_e32 v4, 32, v4
	s_delay_alu instid0(VALU_DEP_1) | instskip(SKIP_1) | instid1(VALU_DEP_2)
	v_subrev_nc_u32_e32 v5, 28, v4
	v_sub_nc_u32_e32 v4, 29, v4
	v_lshlrev_b64 v[5:6], v5, v[6:7]
	s_delay_alu instid0(VALU_DEP_1)
	v_and_b32_e32 v6, 7, v5
; %bb.1008:                             ;   in Loop: Header=BB262_934 Depth=1
	s_or_b32 exec_lo, exec_lo, s16
	v_lshlrev_b32_e32 v5, 24, v112
	s_delay_alu instid0(VALU_DEP_2) | instskip(SKIP_1) | instid1(VALU_DEP_3)
	v_lshlrev_b32_e32 v6, 20, v6
	v_lshl_add_u32 v4, v4, 23, 0x3c000000
	v_and_b32_e32 v5, 0x80000000, v5
	s_delay_alu instid0(VALU_DEP_1) | instskip(NEXT) | instid1(VALU_DEP_1)
	v_or3_b32 v6, v6, v5, v4
	v_dual_mov_b32 v4, v6 :: v_dual_mov_b32 v5, v7
.LBB262_1009:                           ;   in Loop: Header=BB262_934 Depth=1
	s_or_b32 exec_lo, exec_lo, s15
.LBB262_1010:                           ;   in Loop: Header=BB262_934 Depth=1
	s_delay_alu instid0(SALU_CYCLE_1)
	s_or_b32 exec_lo, exec_lo, s13
.LBB262_1011:                           ;   in Loop: Header=BB262_934 Depth=1
	s_delay_alu instid0(SALU_CYCLE_1) | instskip(SKIP_2) | instid1(VALU_DEP_1)
	s_or_b32 exec_lo, exec_lo, s10
	v_lshrrev_b16 v6, 8, v112
	s_mov_b32 s13, exec_lo
	v_cmpx_ne_u16_e32 0, v6
	s_cbranch_execz .LBB262_1019
; %bb.1012:                             ;   in Loop: Header=BB262_934 Depth=1
	v_dual_mov_b32 v15, s9 :: v_dual_mov_b32 v14, s8
	s_mov_b32 s15, exec_lo
	v_cmpx_ne_u16_e32 0x80, v6
	s_cbranch_execz .LBB262_1018
; %bb.1013:                             ;   in Loop: Header=BB262_934 Depth=1
	s_mov_b32 s10, s8
	v_dual_mov_b32 v15, s11 :: v_dual_and_b32 v6, 0xffff, v6
	v_mov_b32_e32 v14, s10
	s_mov_b32 s10, exec_lo
	s_delay_alu instid0(VALU_DEP_2) | instskip(NEXT) | instid1(VALU_DEP_1)
	v_and_b32_e32 v16, 0x7f, v6
	v_cmpx_ne_u32_e32 0x7f, v16
	s_cbranch_execz .LBB262_1017
; %bb.1014:                             ;   in Loop: Header=BB262_934 Depth=1
	v_and_b32_e32 v6, 7, v6
	v_lshrrev_b32_e32 v14, 3, v16
	s_mov_b32 s16, exec_lo
	v_cmpx_gt_u32_e32 8, v16
; %bb.1015:                             ;   in Loop: Header=BB262_934 Depth=1
	s_delay_alu instid0(VALU_DEP_3) | instskip(NEXT) | instid1(VALU_DEP_1)
	v_clz_i32_u32_e32 v14, v6
	v_min_u32_e32 v14, 32, v14
	s_delay_alu instid0(VALU_DEP_1) | instskip(SKIP_1) | instid1(VALU_DEP_2)
	v_subrev_nc_u32_e32 v15, 28, v14
	v_sub_nc_u32_e32 v14, 29, v14
	v_lshlrev_b64 v[15:16], v15, v[6:7]
	s_delay_alu instid0(VALU_DEP_1)
	v_and_b32_e32 v6, 7, v15
; %bb.1016:                             ;   in Loop: Header=BB262_934 Depth=1
	s_or_b32 exec_lo, exec_lo, s16
	v_lshlrev_b32_e32 v15, 16, v112
	s_delay_alu instid0(VALU_DEP_2) | instskip(SKIP_1) | instid1(VALU_DEP_3)
	v_lshlrev_b32_e32 v6, 20, v6
	v_lshl_add_u32 v14, v14, 23, 0x3c000000
	v_and_b32_e32 v15, 0x80000000, v15
	s_delay_alu instid0(VALU_DEP_1)
	v_or3_b32 v15, v6, v15, v14
	v_mov_b32_e32 v14, v7
.LBB262_1017:                           ;   in Loop: Header=BB262_934 Depth=1
	s_or_b32 exec_lo, exec_lo, s10
.LBB262_1018:                           ;   in Loop: Header=BB262_934 Depth=1
	s_delay_alu instid0(SALU_CYCLE_1)
	s_or_b32 exec_lo, exec_lo, s15
.LBB262_1019:                           ;   in Loop: Header=BB262_934 Depth=1
	s_delay_alu instid0(SALU_CYCLE_1) | instskip(SKIP_4) | instid1(VALU_DEP_2)
	s_or_b32 exec_lo, exec_lo, s13
	v_mov_b32_e32 v18, 0
	v_lshrrev_b32_e32 v113, 16, v112
	v_mov_b32_e32 v19, 0
	s_mov_b32 s10, exec_lo
	v_and_b32_e32 v6, 0xff, v113
	s_delay_alu instid0(VALU_DEP_2) | instskip(NEXT) | instid1(VALU_DEP_2)
	v_dual_mov_b32 v16, v18 :: v_dual_mov_b32 v17, v19
	v_cmpx_ne_u16_e32 0, v6
	s_cbranch_execz .LBB262_1027
; %bb.1020:                             ;   in Loop: Header=BB262_934 Depth=1
	v_bfrev_b32_e32 v16, 1
	v_mov_b32_e32 v17, 0
	s_mov_b32 s13, exec_lo
	v_cmpx_ne_u16_e32 0x80, v6
	s_cbranch_execz .LBB262_1026
; %bb.1021:                             ;   in Loop: Header=BB262_934 Depth=1
	v_mov_b32_e32 v16, 0x7f800001
	v_bfe_u32 v114, v112, 16, 7
	v_mov_b32_e32 v17, 0
	s_mov_b32 s15, exec_lo
	s_delay_alu instid0(VALU_DEP_2)
	v_cmpx_ne_u32_e32 0x7f, v114
	s_cbranch_execz .LBB262_1025
; %bb.1022:                             ;   in Loop: Header=BB262_934 Depth=1
	v_and_b32_e32 v6, 7, v113
	v_lshrrev_b32_e32 v16, 3, v114
	s_mov_b32 s16, exec_lo
	v_cmpx_gt_u32_e32 8, v114
; %bb.1023:                             ;   in Loop: Header=BB262_934 Depth=1
	s_delay_alu instid0(VALU_DEP_3) | instskip(NEXT) | instid1(VALU_DEP_1)
	v_clz_i32_u32_e32 v16, v6
	v_min_u32_e32 v16, 32, v16
	s_delay_alu instid0(VALU_DEP_1) | instskip(SKIP_1) | instid1(VALU_DEP_2)
	v_subrev_nc_u32_e32 v17, 28, v16
	v_sub_nc_u32_e32 v16, 29, v16
	v_lshlrev_b64 v[114:115], v17, v[6:7]
	s_delay_alu instid0(VALU_DEP_1)
	v_and_b32_e32 v6, 7, v114
; %bb.1024:                             ;   in Loop: Header=BB262_934 Depth=1
	s_or_b32 exec_lo, exec_lo, s16
	v_lshlrev_b32_e32 v17, 24, v113
	s_delay_alu instid0(VALU_DEP_2) | instskip(SKIP_1) | instid1(VALU_DEP_3)
	v_lshlrev_b32_e32 v6, 20, v6
	v_lshl_add_u32 v16, v16, 23, 0x3c000000
	v_and_b32_e32 v17, 0x80000000, v17
	s_delay_alu instid0(VALU_DEP_1) | instskip(NEXT) | instid1(VALU_DEP_1)
	v_or3_b32 v6, v6, v17, v16
	v_dual_mov_b32 v17, v7 :: v_dual_mov_b32 v16, v6
.LBB262_1025:                           ;   in Loop: Header=BB262_934 Depth=1
	s_or_b32 exec_lo, exec_lo, s15
.LBB262_1026:                           ;   in Loop: Header=BB262_934 Depth=1
	s_delay_alu instid0(SALU_CYCLE_1)
	s_or_b32 exec_lo, exec_lo, s13
.LBB262_1027:                           ;   in Loop: Header=BB262_934 Depth=1
	s_delay_alu instid0(SALU_CYCLE_1) | instskip(NEXT) | instid1(SALU_CYCLE_1)
	s_or_b32 exec_lo, exec_lo, s10
	s_mov_b32 s13, exec_lo
	v_cmpx_lt_u32_e32 0xffffff, v112
	s_cbranch_execz .LBB262_1035
; %bb.1028:                             ;   in Loop: Header=BB262_934 Depth=1
	v_lshrrev_b32_e32 v113, 24, v112
	v_dual_mov_b32 v19, s9 :: v_dual_mov_b32 v18, s8
	s_mov_b32 s15, exec_lo
	s_delay_alu instid0(VALU_DEP_2)
	v_cmpx_ne_u32_e32 0x80, v113
	s_cbranch_execz .LBB262_1034
; %bb.1029:                             ;   in Loop: Header=BB262_934 Depth=1
	s_mov_b32 s10, s8
	v_bfe_u32 v112, v112, 24, 7
	v_dual_mov_b32 v19, s11 :: v_dual_mov_b32 v18, s10
	s_mov_b32 s10, exec_lo
	s_delay_alu instid0(VALU_DEP_2)
	v_cmpx_ne_u32_e32 0x7f, v112
	s_cbranch_execz .LBB262_1033
; %bb.1030:                             ;   in Loop: Header=BB262_934 Depth=1
	v_and_b32_e32 v6, 7, v113
	v_lshrrev_b32_e32 v18, 3, v112
	s_mov_b32 s16, exec_lo
	v_cmpx_gt_u32_e32 8, v112
; %bb.1031:                             ;   in Loop: Header=BB262_934 Depth=1
	s_delay_alu instid0(VALU_DEP_3) | instskip(NEXT) | instid1(VALU_DEP_1)
	v_clz_i32_u32_e32 v18, v6
	v_min_u32_e32 v18, 32, v18
	s_delay_alu instid0(VALU_DEP_1) | instskip(SKIP_1) | instid1(VALU_DEP_2)
	v_subrev_nc_u32_e32 v19, 28, v18
	v_sub_nc_u32_e32 v18, 29, v18
	v_lshlrev_b64 v[114:115], v19, v[6:7]
	s_delay_alu instid0(VALU_DEP_1)
	v_and_b32_e32 v6, 7, v114
; %bb.1032:                             ;   in Loop: Header=BB262_934 Depth=1
	s_or_b32 exec_lo, exec_lo, s16
	v_lshlrev_b32_e32 v19, 24, v113
	s_delay_alu instid0(VALU_DEP_2) | instskip(SKIP_1) | instid1(VALU_DEP_3)
	v_lshlrev_b32_e32 v6, 20, v6
	v_lshl_add_u32 v18, v18, 23, 0x3c000000
	v_and_b32_e32 v19, 0x80000000, v19
	s_delay_alu instid0(VALU_DEP_1)
	v_or3_b32 v19, v6, v19, v18
	v_mov_b32_e32 v18, v7
.LBB262_1033:                           ;   in Loop: Header=BB262_934 Depth=1
	s_or_b32 exec_lo, exec_lo, s10
.LBB262_1034:                           ;   in Loop: Header=BB262_934 Depth=1
	s_delay_alu instid0(SALU_CYCLE_1)
	s_or_b32 exec_lo, exec_lo, s15
.LBB262_1035:                           ;   in Loop: Header=BB262_934 Depth=1
	s_delay_alu instid0(SALU_CYCLE_1) | instskip(SKIP_4) | instid1(VALU_DEP_4)
	s_or_b32 exec_lo, exec_lo, s13
	v_or_b32_e32 v5, v15, v5
	v_or_b32_e32 v4, v14, v4
	v_or_b32_e32 v6, v19, v17
	v_or_b32_e32 v14, v18, v16
	v_mul_f32_e32 v115, v83, v5
	s_delay_alu instid0(VALU_DEP_4) | instskip(NEXT) | instid1(VALU_DEP_4)
	v_mul_f32_e32 v114, v83, v4
	v_mul_f32_e32 v112, v83, v6
	s_delay_alu instid0(VALU_DEP_4)
	v_mul_f32_e32 v113, v83, v14
	s_and_saveexec_b32 s10, vcc_lo
; %bb.1036:                             ;   in Loop: Header=BB262_934 Depth=1
	v_cmp_lt_i32_e64 s0, v96, v22
	s_delay_alu instid0(VALU_DEP_1) | instskip(SKIP_1) | instid1(VALU_DEP_1)
	v_cndmask_b32_e64 v114, 0, v114, s0
	v_cmp_lt_i32_e64 s0, v99, v22
	v_cndmask_b32_e64 v115, 0, v115, s0
	v_cmp_lt_i32_e64 s0, v98, v22
	s_delay_alu instid0(VALU_DEP_1) | instskip(SKIP_1) | instid1(VALU_DEP_1)
	v_cndmask_b32_e64 v113, 0, v113, s0
	v_cmp_lt_i32_e64 s0, v97, v22
	v_cndmask_b32_e64 v112, 0, v112, s0
; %bb.1037:                             ;   in Loop: Header=BB262_934 Depth=1
	s_or_b32 exec_lo, exec_lo, s10
	flat_load_b32 v116, v[12:13] offset:384
	v_mov_b32_e32 v14, 0
	v_mov_b32_e32 v15, 0
	s_mov_b32 s10, exec_lo
	s_waitcnt vmcnt(0) lgkmcnt(0)
	v_and_b32_e32 v6, 0xff, v116
	s_delay_alu instid0(VALU_DEP_2) | instskip(NEXT) | instid1(VALU_DEP_2)
	v_dual_mov_b32 v4, v14 :: v_dual_mov_b32 v5, v15
	v_cmpx_ne_u16_e32 0, v6
	s_cbranch_execz .LBB262_1045
; %bb.1038:                             ;   in Loop: Header=BB262_934 Depth=1
	v_bfrev_b32_e32 v4, 1
	v_mov_b32_e32 v5, 0
	s_mov_b32 s13, exec_lo
	v_cmpx_ne_u16_e32 0x80, v6
	s_cbranch_execz .LBB262_1044
; %bb.1039:                             ;   in Loop: Header=BB262_934 Depth=1
	v_mov_b32_e32 v4, 0x7f800001
	v_dual_mov_b32 v5, 0 :: v_dual_and_b32 v16, 0x7f, v116
	s_mov_b32 s15, exec_lo
	s_delay_alu instid0(VALU_DEP_1)
	v_cmpx_ne_u32_e32 0x7f, v16
	s_cbranch_execz .LBB262_1043
; %bb.1040:                             ;   in Loop: Header=BB262_934 Depth=1
	v_and_b32_e32 v6, 7, v116
	v_lshrrev_b32_e32 v4, 3, v16
	s_mov_b32 s16, exec_lo
	v_cmpx_gt_u32_e32 8, v16
; %bb.1041:                             ;   in Loop: Header=BB262_934 Depth=1
	s_delay_alu instid0(VALU_DEP_3) | instskip(NEXT) | instid1(VALU_DEP_1)
	v_clz_i32_u32_e32 v4, v6
	v_min_u32_e32 v4, 32, v4
	s_delay_alu instid0(VALU_DEP_1) | instskip(SKIP_1) | instid1(VALU_DEP_2)
	v_subrev_nc_u32_e32 v5, 28, v4
	v_sub_nc_u32_e32 v4, 29, v4
	v_lshlrev_b64 v[5:6], v5, v[6:7]
	s_delay_alu instid0(VALU_DEP_1)
	v_and_b32_e32 v6, 7, v5
; %bb.1042:                             ;   in Loop: Header=BB262_934 Depth=1
	s_or_b32 exec_lo, exec_lo, s16
	v_lshlrev_b32_e32 v5, 24, v116
	s_delay_alu instid0(VALU_DEP_2) | instskip(SKIP_1) | instid1(VALU_DEP_3)
	v_lshlrev_b32_e32 v6, 20, v6
	v_lshl_add_u32 v4, v4, 23, 0x3c000000
	v_and_b32_e32 v5, 0x80000000, v5
	s_delay_alu instid0(VALU_DEP_1) | instskip(NEXT) | instid1(VALU_DEP_1)
	v_or3_b32 v6, v6, v5, v4
	v_dual_mov_b32 v4, v6 :: v_dual_mov_b32 v5, v7
.LBB262_1043:                           ;   in Loop: Header=BB262_934 Depth=1
	s_or_b32 exec_lo, exec_lo, s15
.LBB262_1044:                           ;   in Loop: Header=BB262_934 Depth=1
	s_delay_alu instid0(SALU_CYCLE_1)
	s_or_b32 exec_lo, exec_lo, s13
.LBB262_1045:                           ;   in Loop: Header=BB262_934 Depth=1
	s_delay_alu instid0(SALU_CYCLE_1) | instskip(SKIP_2) | instid1(VALU_DEP_1)
	s_or_b32 exec_lo, exec_lo, s10
	v_lshrrev_b16 v6, 8, v116
	s_mov_b32 s13, exec_lo
	v_cmpx_ne_u16_e32 0, v6
	s_cbranch_execz .LBB262_1053
; %bb.1046:                             ;   in Loop: Header=BB262_934 Depth=1
	v_dual_mov_b32 v15, s9 :: v_dual_mov_b32 v14, s8
	s_mov_b32 s15, exec_lo
	v_cmpx_ne_u16_e32 0x80, v6
	s_cbranch_execz .LBB262_1052
; %bb.1047:                             ;   in Loop: Header=BB262_934 Depth=1
	s_mov_b32 s10, s8
	v_dual_mov_b32 v15, s11 :: v_dual_and_b32 v6, 0xffff, v6
	v_mov_b32_e32 v14, s10
	s_mov_b32 s10, exec_lo
	s_delay_alu instid0(VALU_DEP_2) | instskip(NEXT) | instid1(VALU_DEP_1)
	v_and_b32_e32 v16, 0x7f, v6
	v_cmpx_ne_u32_e32 0x7f, v16
	s_cbranch_execz .LBB262_1051
; %bb.1048:                             ;   in Loop: Header=BB262_934 Depth=1
	v_and_b32_e32 v6, 7, v6
	v_lshrrev_b32_e32 v14, 3, v16
	s_mov_b32 s16, exec_lo
	v_cmpx_gt_u32_e32 8, v16
; %bb.1049:                             ;   in Loop: Header=BB262_934 Depth=1
	s_delay_alu instid0(VALU_DEP_3) | instskip(NEXT) | instid1(VALU_DEP_1)
	v_clz_i32_u32_e32 v14, v6
	v_min_u32_e32 v14, 32, v14
	s_delay_alu instid0(VALU_DEP_1) | instskip(SKIP_1) | instid1(VALU_DEP_2)
	v_subrev_nc_u32_e32 v15, 28, v14
	v_sub_nc_u32_e32 v14, 29, v14
	v_lshlrev_b64 v[15:16], v15, v[6:7]
	s_delay_alu instid0(VALU_DEP_1)
	v_and_b32_e32 v6, 7, v15
; %bb.1050:                             ;   in Loop: Header=BB262_934 Depth=1
	s_or_b32 exec_lo, exec_lo, s16
	v_lshlrev_b32_e32 v15, 16, v116
	s_delay_alu instid0(VALU_DEP_2) | instskip(SKIP_1) | instid1(VALU_DEP_3)
	v_lshlrev_b32_e32 v6, 20, v6
	v_lshl_add_u32 v14, v14, 23, 0x3c000000
	v_and_b32_e32 v15, 0x80000000, v15
	s_delay_alu instid0(VALU_DEP_1)
	v_or3_b32 v15, v6, v15, v14
	v_mov_b32_e32 v14, v7
.LBB262_1051:                           ;   in Loop: Header=BB262_934 Depth=1
	s_or_b32 exec_lo, exec_lo, s10
.LBB262_1052:                           ;   in Loop: Header=BB262_934 Depth=1
	s_delay_alu instid0(SALU_CYCLE_1)
	s_or_b32 exec_lo, exec_lo, s15
.LBB262_1053:                           ;   in Loop: Header=BB262_934 Depth=1
	s_delay_alu instid0(SALU_CYCLE_1) | instskip(SKIP_4) | instid1(VALU_DEP_2)
	s_or_b32 exec_lo, exec_lo, s13
	v_mov_b32_e32 v18, 0
	v_lshrrev_b32_e32 v117, 16, v116
	v_mov_b32_e32 v19, 0
	s_mov_b32 s10, exec_lo
	v_and_b32_e32 v6, 0xff, v117
	s_delay_alu instid0(VALU_DEP_2) | instskip(NEXT) | instid1(VALU_DEP_2)
	v_dual_mov_b32 v16, v18 :: v_dual_mov_b32 v17, v19
	v_cmpx_ne_u16_e32 0, v6
	s_cbranch_execz .LBB262_1061
; %bb.1054:                             ;   in Loop: Header=BB262_934 Depth=1
	v_bfrev_b32_e32 v16, 1
	v_mov_b32_e32 v17, 0
	s_mov_b32 s13, exec_lo
	v_cmpx_ne_u16_e32 0x80, v6
	s_cbranch_execz .LBB262_1060
; %bb.1055:                             ;   in Loop: Header=BB262_934 Depth=1
	v_mov_b32_e32 v16, 0x7f800001
	v_bfe_u32 v118, v116, 16, 7
	v_mov_b32_e32 v17, 0
	s_mov_b32 s15, exec_lo
	s_delay_alu instid0(VALU_DEP_2)
	v_cmpx_ne_u32_e32 0x7f, v118
	s_cbranch_execz .LBB262_1059
; %bb.1056:                             ;   in Loop: Header=BB262_934 Depth=1
	v_and_b32_e32 v6, 7, v117
	v_lshrrev_b32_e32 v16, 3, v118
	s_mov_b32 s16, exec_lo
	v_cmpx_gt_u32_e32 8, v118
; %bb.1057:                             ;   in Loop: Header=BB262_934 Depth=1
	s_delay_alu instid0(VALU_DEP_3) | instskip(NEXT) | instid1(VALU_DEP_1)
	v_clz_i32_u32_e32 v16, v6
	v_min_u32_e32 v16, 32, v16
	s_delay_alu instid0(VALU_DEP_1) | instskip(SKIP_1) | instid1(VALU_DEP_2)
	v_subrev_nc_u32_e32 v17, 28, v16
	v_sub_nc_u32_e32 v16, 29, v16
	v_lshlrev_b64 v[118:119], v17, v[6:7]
	s_delay_alu instid0(VALU_DEP_1)
	v_and_b32_e32 v6, 7, v118
; %bb.1058:                             ;   in Loop: Header=BB262_934 Depth=1
	s_or_b32 exec_lo, exec_lo, s16
	v_lshlrev_b32_e32 v17, 24, v117
	s_delay_alu instid0(VALU_DEP_2) | instskip(SKIP_1) | instid1(VALU_DEP_3)
	v_lshlrev_b32_e32 v6, 20, v6
	v_lshl_add_u32 v16, v16, 23, 0x3c000000
	v_and_b32_e32 v17, 0x80000000, v17
	s_delay_alu instid0(VALU_DEP_1) | instskip(NEXT) | instid1(VALU_DEP_1)
	v_or3_b32 v6, v6, v17, v16
	v_dual_mov_b32 v17, v7 :: v_dual_mov_b32 v16, v6
.LBB262_1059:                           ;   in Loop: Header=BB262_934 Depth=1
	s_or_b32 exec_lo, exec_lo, s15
.LBB262_1060:                           ;   in Loop: Header=BB262_934 Depth=1
	s_delay_alu instid0(SALU_CYCLE_1)
	s_or_b32 exec_lo, exec_lo, s13
.LBB262_1061:                           ;   in Loop: Header=BB262_934 Depth=1
	s_delay_alu instid0(SALU_CYCLE_1) | instskip(NEXT) | instid1(SALU_CYCLE_1)
	s_or_b32 exec_lo, exec_lo, s10
	s_mov_b32 s13, exec_lo
	v_cmpx_lt_u32_e32 0xffffff, v116
	s_cbranch_execz .LBB262_1069
; %bb.1062:                             ;   in Loop: Header=BB262_934 Depth=1
	v_lshrrev_b32_e32 v117, 24, v116
	v_dual_mov_b32 v19, s9 :: v_dual_mov_b32 v18, s8
	s_mov_b32 s15, exec_lo
	s_delay_alu instid0(VALU_DEP_2)
	v_cmpx_ne_u32_e32 0x80, v117
	s_cbranch_execz .LBB262_1068
; %bb.1063:                             ;   in Loop: Header=BB262_934 Depth=1
	s_mov_b32 s10, s8
	v_bfe_u32 v116, v116, 24, 7
	v_dual_mov_b32 v19, s11 :: v_dual_mov_b32 v18, s10
	s_mov_b32 s10, exec_lo
	s_delay_alu instid0(VALU_DEP_2)
	v_cmpx_ne_u32_e32 0x7f, v116
	s_cbranch_execz .LBB262_1067
; %bb.1064:                             ;   in Loop: Header=BB262_934 Depth=1
	v_and_b32_e32 v6, 7, v117
	v_lshrrev_b32_e32 v18, 3, v116
	s_mov_b32 s16, exec_lo
	v_cmpx_gt_u32_e32 8, v116
; %bb.1065:                             ;   in Loop: Header=BB262_934 Depth=1
	s_delay_alu instid0(VALU_DEP_3) | instskip(NEXT) | instid1(VALU_DEP_1)
	v_clz_i32_u32_e32 v18, v6
	v_min_u32_e32 v18, 32, v18
	s_delay_alu instid0(VALU_DEP_1) | instskip(SKIP_1) | instid1(VALU_DEP_2)
	v_subrev_nc_u32_e32 v19, 28, v18
	v_sub_nc_u32_e32 v18, 29, v18
	v_lshlrev_b64 v[118:119], v19, v[6:7]
	s_delay_alu instid0(VALU_DEP_1)
	v_and_b32_e32 v6, 7, v118
; %bb.1066:                             ;   in Loop: Header=BB262_934 Depth=1
	s_or_b32 exec_lo, exec_lo, s16
	v_lshlrev_b32_e32 v19, 24, v117
	s_delay_alu instid0(VALU_DEP_2) | instskip(SKIP_1) | instid1(VALU_DEP_3)
	v_lshlrev_b32_e32 v6, 20, v6
	v_lshl_add_u32 v18, v18, 23, 0x3c000000
	v_and_b32_e32 v19, 0x80000000, v19
	s_delay_alu instid0(VALU_DEP_1)
	v_or3_b32 v19, v6, v19, v18
	v_mov_b32_e32 v18, v7
.LBB262_1067:                           ;   in Loop: Header=BB262_934 Depth=1
	s_or_b32 exec_lo, exec_lo, s10
.LBB262_1068:                           ;   in Loop: Header=BB262_934 Depth=1
	s_delay_alu instid0(SALU_CYCLE_1)
	s_or_b32 exec_lo, exec_lo, s15
.LBB262_1069:                           ;   in Loop: Header=BB262_934 Depth=1
	s_delay_alu instid0(SALU_CYCLE_1) | instskip(SKIP_4) | instid1(VALU_DEP_4)
	s_or_b32 exec_lo, exec_lo, s13
	v_or_b32_e32 v5, v15, v5
	v_or_b32_e32 v4, v14, v4
	;; [unrolled: 1-line block ×4, first 2 shown]
	v_mul_f32_e32 v119, v83, v5
	s_delay_alu instid0(VALU_DEP_4) | instskip(NEXT) | instid1(VALU_DEP_4)
	v_mul_f32_e32 v118, v83, v4
	v_mul_f32_e32 v116, v83, v6
	s_delay_alu instid0(VALU_DEP_4)
	v_mul_f32_e32 v117, v83, v14
	s_and_saveexec_b32 s10, vcc_lo
; %bb.1070:                             ;   in Loop: Header=BB262_934 Depth=1
	v_cmp_lt_i32_e64 s0, v96, v22
	s_delay_alu instid0(VALU_DEP_1) | instskip(SKIP_1) | instid1(VALU_DEP_1)
	v_cndmask_b32_e64 v118, 0, v118, s0
	v_cmp_lt_i32_e64 s0, v99, v22
	v_cndmask_b32_e64 v119, 0, v119, s0
	v_cmp_lt_i32_e64 s0, v98, v22
	s_delay_alu instid0(VALU_DEP_1) | instskip(SKIP_1) | instid1(VALU_DEP_1)
	v_cndmask_b32_e64 v117, 0, v117, s0
	v_cmp_lt_i32_e64 s0, v97, v22
	v_cndmask_b32_e64 v116, 0, v116, s0
; %bb.1071:                             ;   in Loop: Header=BB262_934 Depth=1
	s_or_b32 exec_lo, exec_lo, s10
	flat_load_b32 v128, v[12:13] offset:512
	v_mov_b32_e32 v14, 0
	v_mov_b32_e32 v15, 0
	s_mov_b32 s10, exec_lo
	s_waitcnt vmcnt(0) lgkmcnt(0)
	v_and_b32_e32 v6, 0xff, v128
	s_delay_alu instid0(VALU_DEP_2) | instskip(NEXT) | instid1(VALU_DEP_2)
	v_dual_mov_b32 v4, v14 :: v_dual_mov_b32 v5, v15
	v_cmpx_ne_u16_e32 0, v6
	s_cbranch_execz .LBB262_1079
; %bb.1072:                             ;   in Loop: Header=BB262_934 Depth=1
	v_bfrev_b32_e32 v4, 1
	v_mov_b32_e32 v5, 0
	s_mov_b32 s13, exec_lo
	v_cmpx_ne_u16_e32 0x80, v6
	s_cbranch_execz .LBB262_1078
; %bb.1073:                             ;   in Loop: Header=BB262_934 Depth=1
	v_mov_b32_e32 v4, 0x7f800001
	v_dual_mov_b32 v5, 0 :: v_dual_and_b32 v16, 0x7f, v128
	s_mov_b32 s15, exec_lo
	s_delay_alu instid0(VALU_DEP_1)
	v_cmpx_ne_u32_e32 0x7f, v16
	s_cbranch_execz .LBB262_1077
; %bb.1074:                             ;   in Loop: Header=BB262_934 Depth=1
	v_and_b32_e32 v6, 7, v128
	v_lshrrev_b32_e32 v4, 3, v16
	s_mov_b32 s16, exec_lo
	v_cmpx_gt_u32_e32 8, v16
; %bb.1075:                             ;   in Loop: Header=BB262_934 Depth=1
	s_delay_alu instid0(VALU_DEP_3) | instskip(NEXT) | instid1(VALU_DEP_1)
	v_clz_i32_u32_e32 v4, v6
	v_min_u32_e32 v4, 32, v4
	s_delay_alu instid0(VALU_DEP_1) | instskip(SKIP_1) | instid1(VALU_DEP_2)
	v_subrev_nc_u32_e32 v5, 28, v4
	v_sub_nc_u32_e32 v4, 29, v4
	v_lshlrev_b64 v[5:6], v5, v[6:7]
	s_delay_alu instid0(VALU_DEP_1)
	v_and_b32_e32 v6, 7, v5
; %bb.1076:                             ;   in Loop: Header=BB262_934 Depth=1
	s_or_b32 exec_lo, exec_lo, s16
	v_lshlrev_b32_e32 v5, 24, v128
	s_delay_alu instid0(VALU_DEP_2) | instskip(SKIP_1) | instid1(VALU_DEP_3)
	v_lshlrev_b32_e32 v6, 20, v6
	v_lshl_add_u32 v4, v4, 23, 0x3c000000
	v_and_b32_e32 v5, 0x80000000, v5
	s_delay_alu instid0(VALU_DEP_1) | instskip(NEXT) | instid1(VALU_DEP_1)
	v_or3_b32 v6, v6, v5, v4
	v_dual_mov_b32 v4, v6 :: v_dual_mov_b32 v5, v7
.LBB262_1077:                           ;   in Loop: Header=BB262_934 Depth=1
	s_or_b32 exec_lo, exec_lo, s15
.LBB262_1078:                           ;   in Loop: Header=BB262_934 Depth=1
	s_delay_alu instid0(SALU_CYCLE_1)
	s_or_b32 exec_lo, exec_lo, s13
.LBB262_1079:                           ;   in Loop: Header=BB262_934 Depth=1
	s_delay_alu instid0(SALU_CYCLE_1) | instskip(SKIP_2) | instid1(VALU_DEP_1)
	s_or_b32 exec_lo, exec_lo, s10
	v_lshrrev_b16 v6, 8, v128
	s_mov_b32 s13, exec_lo
	v_cmpx_ne_u16_e32 0, v6
	s_cbranch_execz .LBB262_1087
; %bb.1080:                             ;   in Loop: Header=BB262_934 Depth=1
	v_dual_mov_b32 v15, s9 :: v_dual_mov_b32 v14, s8
	s_mov_b32 s15, exec_lo
	v_cmpx_ne_u16_e32 0x80, v6
	s_cbranch_execz .LBB262_1086
; %bb.1081:                             ;   in Loop: Header=BB262_934 Depth=1
	s_mov_b32 s10, s8
	v_dual_mov_b32 v15, s11 :: v_dual_and_b32 v6, 0xffff, v6
	v_mov_b32_e32 v14, s10
	s_mov_b32 s10, exec_lo
	s_delay_alu instid0(VALU_DEP_2) | instskip(NEXT) | instid1(VALU_DEP_1)
	v_and_b32_e32 v16, 0x7f, v6
	v_cmpx_ne_u32_e32 0x7f, v16
	s_cbranch_execz .LBB262_1085
; %bb.1082:                             ;   in Loop: Header=BB262_934 Depth=1
	v_and_b32_e32 v6, 7, v6
	v_lshrrev_b32_e32 v14, 3, v16
	s_mov_b32 s16, exec_lo
	v_cmpx_gt_u32_e32 8, v16
; %bb.1083:                             ;   in Loop: Header=BB262_934 Depth=1
	s_delay_alu instid0(VALU_DEP_3) | instskip(NEXT) | instid1(VALU_DEP_1)
	v_clz_i32_u32_e32 v14, v6
	v_min_u32_e32 v14, 32, v14
	s_delay_alu instid0(VALU_DEP_1) | instskip(SKIP_1) | instid1(VALU_DEP_2)
	v_subrev_nc_u32_e32 v15, 28, v14
	v_sub_nc_u32_e32 v14, 29, v14
	v_lshlrev_b64 v[15:16], v15, v[6:7]
	s_delay_alu instid0(VALU_DEP_1)
	v_and_b32_e32 v6, 7, v15
; %bb.1084:                             ;   in Loop: Header=BB262_934 Depth=1
	s_or_b32 exec_lo, exec_lo, s16
	v_lshlrev_b32_e32 v15, 16, v128
	s_delay_alu instid0(VALU_DEP_2) | instskip(SKIP_1) | instid1(VALU_DEP_3)
	v_lshlrev_b32_e32 v6, 20, v6
	v_lshl_add_u32 v14, v14, 23, 0x3c000000
	v_and_b32_e32 v15, 0x80000000, v15
	s_delay_alu instid0(VALU_DEP_1)
	v_or3_b32 v15, v6, v15, v14
	v_mov_b32_e32 v14, v7
.LBB262_1085:                           ;   in Loop: Header=BB262_934 Depth=1
	s_or_b32 exec_lo, exec_lo, s10
.LBB262_1086:                           ;   in Loop: Header=BB262_934 Depth=1
	s_delay_alu instid0(SALU_CYCLE_1)
	s_or_b32 exec_lo, exec_lo, s15
.LBB262_1087:                           ;   in Loop: Header=BB262_934 Depth=1
	s_delay_alu instid0(SALU_CYCLE_1) | instskip(SKIP_4) | instid1(VALU_DEP_2)
	s_or_b32 exec_lo, exec_lo, s13
	v_mov_b32_e32 v18, 0
	v_lshrrev_b32_e32 v129, 16, v128
	v_mov_b32_e32 v19, 0
	s_mov_b32 s10, exec_lo
	v_and_b32_e32 v6, 0xff, v129
	s_delay_alu instid0(VALU_DEP_2) | instskip(NEXT) | instid1(VALU_DEP_2)
	v_dual_mov_b32 v16, v18 :: v_dual_mov_b32 v17, v19
	v_cmpx_ne_u16_e32 0, v6
	s_cbranch_execz .LBB262_1095
; %bb.1088:                             ;   in Loop: Header=BB262_934 Depth=1
	v_bfrev_b32_e32 v16, 1
	v_mov_b32_e32 v17, 0
	s_mov_b32 s13, exec_lo
	v_cmpx_ne_u16_e32 0x80, v6
	s_cbranch_execz .LBB262_1094
; %bb.1089:                             ;   in Loop: Header=BB262_934 Depth=1
	v_mov_b32_e32 v16, 0x7f800001
	v_bfe_u32 v130, v128, 16, 7
	v_mov_b32_e32 v17, 0
	s_mov_b32 s15, exec_lo
	s_delay_alu instid0(VALU_DEP_2)
	v_cmpx_ne_u32_e32 0x7f, v130
	s_cbranch_execz .LBB262_1093
; %bb.1090:                             ;   in Loop: Header=BB262_934 Depth=1
	v_and_b32_e32 v6, 7, v129
	v_lshrrev_b32_e32 v16, 3, v130
	s_mov_b32 s16, exec_lo
	v_cmpx_gt_u32_e32 8, v130
; %bb.1091:                             ;   in Loop: Header=BB262_934 Depth=1
	s_delay_alu instid0(VALU_DEP_3) | instskip(NEXT) | instid1(VALU_DEP_1)
	v_clz_i32_u32_e32 v16, v6
	v_min_u32_e32 v16, 32, v16
	s_delay_alu instid0(VALU_DEP_1) | instskip(SKIP_1) | instid1(VALU_DEP_2)
	v_subrev_nc_u32_e32 v17, 28, v16
	v_sub_nc_u32_e32 v16, 29, v16
	v_lshlrev_b64 v[130:131], v17, v[6:7]
	s_delay_alu instid0(VALU_DEP_1)
	v_and_b32_e32 v6, 7, v130
; %bb.1092:                             ;   in Loop: Header=BB262_934 Depth=1
	s_or_b32 exec_lo, exec_lo, s16
	v_lshlrev_b32_e32 v17, 24, v129
	s_delay_alu instid0(VALU_DEP_2) | instskip(SKIP_1) | instid1(VALU_DEP_3)
	v_lshlrev_b32_e32 v6, 20, v6
	v_lshl_add_u32 v16, v16, 23, 0x3c000000
	v_and_b32_e32 v17, 0x80000000, v17
	s_delay_alu instid0(VALU_DEP_1) | instskip(NEXT) | instid1(VALU_DEP_1)
	v_or3_b32 v6, v6, v17, v16
	v_dual_mov_b32 v17, v7 :: v_dual_mov_b32 v16, v6
.LBB262_1093:                           ;   in Loop: Header=BB262_934 Depth=1
	s_or_b32 exec_lo, exec_lo, s15
.LBB262_1094:                           ;   in Loop: Header=BB262_934 Depth=1
	s_delay_alu instid0(SALU_CYCLE_1)
	s_or_b32 exec_lo, exec_lo, s13
.LBB262_1095:                           ;   in Loop: Header=BB262_934 Depth=1
	s_delay_alu instid0(SALU_CYCLE_1) | instskip(NEXT) | instid1(SALU_CYCLE_1)
	s_or_b32 exec_lo, exec_lo, s10
	s_mov_b32 s13, exec_lo
	v_cmpx_lt_u32_e32 0xffffff, v128
	s_cbranch_execz .LBB262_1103
; %bb.1096:                             ;   in Loop: Header=BB262_934 Depth=1
	v_lshrrev_b32_e32 v129, 24, v128
	v_dual_mov_b32 v19, s9 :: v_dual_mov_b32 v18, s8
	s_mov_b32 s15, exec_lo
	s_delay_alu instid0(VALU_DEP_2)
	v_cmpx_ne_u32_e32 0x80, v129
	s_cbranch_execz .LBB262_1102
; %bb.1097:                             ;   in Loop: Header=BB262_934 Depth=1
	s_mov_b32 s10, s8
	v_bfe_u32 v128, v128, 24, 7
	v_dual_mov_b32 v19, s11 :: v_dual_mov_b32 v18, s10
	s_mov_b32 s10, exec_lo
	s_delay_alu instid0(VALU_DEP_2)
	v_cmpx_ne_u32_e32 0x7f, v128
	s_cbranch_execz .LBB262_1101
; %bb.1098:                             ;   in Loop: Header=BB262_934 Depth=1
	v_and_b32_e32 v6, 7, v129
	v_lshrrev_b32_e32 v18, 3, v128
	s_mov_b32 s16, exec_lo
	v_cmpx_gt_u32_e32 8, v128
; %bb.1099:                             ;   in Loop: Header=BB262_934 Depth=1
	s_delay_alu instid0(VALU_DEP_3) | instskip(NEXT) | instid1(VALU_DEP_1)
	v_clz_i32_u32_e32 v18, v6
	v_min_u32_e32 v18, 32, v18
	s_delay_alu instid0(VALU_DEP_1) | instskip(SKIP_1) | instid1(VALU_DEP_2)
	v_subrev_nc_u32_e32 v19, 28, v18
	v_sub_nc_u32_e32 v18, 29, v18
	v_lshlrev_b64 v[130:131], v19, v[6:7]
	s_delay_alu instid0(VALU_DEP_1)
	v_and_b32_e32 v6, 7, v130
; %bb.1100:                             ;   in Loop: Header=BB262_934 Depth=1
	s_or_b32 exec_lo, exec_lo, s16
	v_lshlrev_b32_e32 v19, 24, v129
	s_delay_alu instid0(VALU_DEP_2) | instskip(SKIP_1) | instid1(VALU_DEP_3)
	v_lshlrev_b32_e32 v6, 20, v6
	v_lshl_add_u32 v18, v18, 23, 0x3c000000
	v_and_b32_e32 v19, 0x80000000, v19
	s_delay_alu instid0(VALU_DEP_1)
	v_or3_b32 v19, v6, v19, v18
	v_mov_b32_e32 v18, v7
.LBB262_1101:                           ;   in Loop: Header=BB262_934 Depth=1
	s_or_b32 exec_lo, exec_lo, s10
.LBB262_1102:                           ;   in Loop: Header=BB262_934 Depth=1
	s_delay_alu instid0(SALU_CYCLE_1)
	s_or_b32 exec_lo, exec_lo, s15
.LBB262_1103:                           ;   in Loop: Header=BB262_934 Depth=1
	s_delay_alu instid0(SALU_CYCLE_1) | instskip(SKIP_4) | instid1(VALU_DEP_4)
	s_or_b32 exec_lo, exec_lo, s13
	v_or_b32_e32 v5, v15, v5
	v_or_b32_e32 v4, v14, v4
	;; [unrolled: 1-line block ×4, first 2 shown]
	v_mul_f32_e32 v131, v83, v5
	s_delay_alu instid0(VALU_DEP_4) | instskip(NEXT) | instid1(VALU_DEP_4)
	v_mul_f32_e32 v130, v83, v4
	v_mul_f32_e32 v128, v83, v6
	s_delay_alu instid0(VALU_DEP_4)
	v_mul_f32_e32 v129, v83, v14
	s_and_saveexec_b32 s10, vcc_lo
; %bb.1104:                             ;   in Loop: Header=BB262_934 Depth=1
	v_cmp_lt_i32_e64 s0, v96, v22
	s_delay_alu instid0(VALU_DEP_1) | instskip(SKIP_1) | instid1(VALU_DEP_1)
	v_cndmask_b32_e64 v130, 0, v130, s0
	v_cmp_lt_i32_e64 s0, v99, v22
	v_cndmask_b32_e64 v131, 0, v131, s0
	v_cmp_lt_i32_e64 s0, v98, v22
	s_delay_alu instid0(VALU_DEP_1) | instskip(SKIP_1) | instid1(VALU_DEP_1)
	v_cndmask_b32_e64 v129, 0, v129, s0
	v_cmp_lt_i32_e64 s0, v97, v22
	v_cndmask_b32_e64 v128, 0, v128, s0
; %bb.1105:                             ;   in Loop: Header=BB262_934 Depth=1
	s_or_b32 exec_lo, exec_lo, s10
	flat_load_b32 v132, v[12:13] offset:640
	v_mov_b32_e32 v14, 0
	v_mov_b32_e32 v15, 0
	s_mov_b32 s10, exec_lo
	s_waitcnt vmcnt(0) lgkmcnt(0)
	v_and_b32_e32 v6, 0xff, v132
	s_delay_alu instid0(VALU_DEP_2) | instskip(NEXT) | instid1(VALU_DEP_2)
	v_dual_mov_b32 v4, v14 :: v_dual_mov_b32 v5, v15
	v_cmpx_ne_u16_e32 0, v6
	s_cbranch_execz .LBB262_1113
; %bb.1106:                             ;   in Loop: Header=BB262_934 Depth=1
	v_bfrev_b32_e32 v4, 1
	v_mov_b32_e32 v5, 0
	s_mov_b32 s13, exec_lo
	v_cmpx_ne_u16_e32 0x80, v6
	s_cbranch_execz .LBB262_1112
; %bb.1107:                             ;   in Loop: Header=BB262_934 Depth=1
	v_mov_b32_e32 v4, 0x7f800001
	v_dual_mov_b32 v5, 0 :: v_dual_and_b32 v16, 0x7f, v132
	s_mov_b32 s15, exec_lo
	s_delay_alu instid0(VALU_DEP_1)
	v_cmpx_ne_u32_e32 0x7f, v16
	s_cbranch_execz .LBB262_1111
; %bb.1108:                             ;   in Loop: Header=BB262_934 Depth=1
	v_and_b32_e32 v6, 7, v132
	v_lshrrev_b32_e32 v4, 3, v16
	s_mov_b32 s16, exec_lo
	v_cmpx_gt_u32_e32 8, v16
; %bb.1109:                             ;   in Loop: Header=BB262_934 Depth=1
	s_delay_alu instid0(VALU_DEP_3) | instskip(NEXT) | instid1(VALU_DEP_1)
	v_clz_i32_u32_e32 v4, v6
	v_min_u32_e32 v4, 32, v4
	s_delay_alu instid0(VALU_DEP_1) | instskip(SKIP_1) | instid1(VALU_DEP_2)
	v_subrev_nc_u32_e32 v5, 28, v4
	v_sub_nc_u32_e32 v4, 29, v4
	v_lshlrev_b64 v[5:6], v5, v[6:7]
	s_delay_alu instid0(VALU_DEP_1)
	v_and_b32_e32 v6, 7, v5
; %bb.1110:                             ;   in Loop: Header=BB262_934 Depth=1
	s_or_b32 exec_lo, exec_lo, s16
	v_lshlrev_b32_e32 v5, 24, v132
	s_delay_alu instid0(VALU_DEP_2) | instskip(SKIP_1) | instid1(VALU_DEP_3)
	v_lshlrev_b32_e32 v6, 20, v6
	v_lshl_add_u32 v4, v4, 23, 0x3c000000
	v_and_b32_e32 v5, 0x80000000, v5
	s_delay_alu instid0(VALU_DEP_1) | instskip(NEXT) | instid1(VALU_DEP_1)
	v_or3_b32 v6, v6, v5, v4
	v_dual_mov_b32 v4, v6 :: v_dual_mov_b32 v5, v7
.LBB262_1111:                           ;   in Loop: Header=BB262_934 Depth=1
	s_or_b32 exec_lo, exec_lo, s15
.LBB262_1112:                           ;   in Loop: Header=BB262_934 Depth=1
	s_delay_alu instid0(SALU_CYCLE_1)
	s_or_b32 exec_lo, exec_lo, s13
.LBB262_1113:                           ;   in Loop: Header=BB262_934 Depth=1
	s_delay_alu instid0(SALU_CYCLE_1) | instskip(SKIP_2) | instid1(VALU_DEP_1)
	s_or_b32 exec_lo, exec_lo, s10
	v_lshrrev_b16 v6, 8, v132
	s_mov_b32 s13, exec_lo
	v_cmpx_ne_u16_e32 0, v6
	s_cbranch_execz .LBB262_1121
; %bb.1114:                             ;   in Loop: Header=BB262_934 Depth=1
	v_dual_mov_b32 v15, s9 :: v_dual_mov_b32 v14, s8
	s_mov_b32 s15, exec_lo
	v_cmpx_ne_u16_e32 0x80, v6
	s_cbranch_execz .LBB262_1120
; %bb.1115:                             ;   in Loop: Header=BB262_934 Depth=1
	s_mov_b32 s10, s8
	v_dual_mov_b32 v15, s11 :: v_dual_and_b32 v6, 0xffff, v6
	v_mov_b32_e32 v14, s10
	s_mov_b32 s10, exec_lo
	s_delay_alu instid0(VALU_DEP_2) | instskip(NEXT) | instid1(VALU_DEP_1)
	v_and_b32_e32 v16, 0x7f, v6
	v_cmpx_ne_u32_e32 0x7f, v16
	s_cbranch_execz .LBB262_1119
; %bb.1116:                             ;   in Loop: Header=BB262_934 Depth=1
	v_and_b32_e32 v6, 7, v6
	v_lshrrev_b32_e32 v14, 3, v16
	s_mov_b32 s16, exec_lo
	v_cmpx_gt_u32_e32 8, v16
; %bb.1117:                             ;   in Loop: Header=BB262_934 Depth=1
	s_delay_alu instid0(VALU_DEP_3) | instskip(NEXT) | instid1(VALU_DEP_1)
	v_clz_i32_u32_e32 v14, v6
	v_min_u32_e32 v14, 32, v14
	s_delay_alu instid0(VALU_DEP_1) | instskip(SKIP_1) | instid1(VALU_DEP_2)
	v_subrev_nc_u32_e32 v15, 28, v14
	v_sub_nc_u32_e32 v14, 29, v14
	v_lshlrev_b64 v[15:16], v15, v[6:7]
	s_delay_alu instid0(VALU_DEP_1)
	v_and_b32_e32 v6, 7, v15
; %bb.1118:                             ;   in Loop: Header=BB262_934 Depth=1
	s_or_b32 exec_lo, exec_lo, s16
	v_lshlrev_b32_e32 v15, 16, v132
	s_delay_alu instid0(VALU_DEP_2) | instskip(SKIP_1) | instid1(VALU_DEP_3)
	v_lshlrev_b32_e32 v6, 20, v6
	v_lshl_add_u32 v14, v14, 23, 0x3c000000
	v_and_b32_e32 v15, 0x80000000, v15
	s_delay_alu instid0(VALU_DEP_1)
	v_or3_b32 v15, v6, v15, v14
	v_mov_b32_e32 v14, v7
.LBB262_1119:                           ;   in Loop: Header=BB262_934 Depth=1
	s_or_b32 exec_lo, exec_lo, s10
.LBB262_1120:                           ;   in Loop: Header=BB262_934 Depth=1
	s_delay_alu instid0(SALU_CYCLE_1)
	s_or_b32 exec_lo, exec_lo, s15
.LBB262_1121:                           ;   in Loop: Header=BB262_934 Depth=1
	s_delay_alu instid0(SALU_CYCLE_1) | instskip(SKIP_4) | instid1(VALU_DEP_2)
	s_or_b32 exec_lo, exec_lo, s13
	v_mov_b32_e32 v18, 0
	v_lshrrev_b32_e32 v133, 16, v132
	v_mov_b32_e32 v19, 0
	s_mov_b32 s10, exec_lo
	v_and_b32_e32 v6, 0xff, v133
	s_delay_alu instid0(VALU_DEP_2) | instskip(NEXT) | instid1(VALU_DEP_2)
	v_dual_mov_b32 v16, v18 :: v_dual_mov_b32 v17, v19
	v_cmpx_ne_u16_e32 0, v6
	s_cbranch_execz .LBB262_1129
; %bb.1122:                             ;   in Loop: Header=BB262_934 Depth=1
	v_bfrev_b32_e32 v16, 1
	v_mov_b32_e32 v17, 0
	s_mov_b32 s13, exec_lo
	v_cmpx_ne_u16_e32 0x80, v6
	s_cbranch_execz .LBB262_1128
; %bb.1123:                             ;   in Loop: Header=BB262_934 Depth=1
	v_mov_b32_e32 v16, 0x7f800001
	v_bfe_u32 v134, v132, 16, 7
	v_mov_b32_e32 v17, 0
	s_mov_b32 s15, exec_lo
	s_delay_alu instid0(VALU_DEP_2)
	v_cmpx_ne_u32_e32 0x7f, v134
	s_cbranch_execz .LBB262_1127
; %bb.1124:                             ;   in Loop: Header=BB262_934 Depth=1
	v_and_b32_e32 v6, 7, v133
	v_lshrrev_b32_e32 v16, 3, v134
	s_mov_b32 s16, exec_lo
	v_cmpx_gt_u32_e32 8, v134
; %bb.1125:                             ;   in Loop: Header=BB262_934 Depth=1
	s_delay_alu instid0(VALU_DEP_3) | instskip(NEXT) | instid1(VALU_DEP_1)
	v_clz_i32_u32_e32 v16, v6
	v_min_u32_e32 v16, 32, v16
	s_delay_alu instid0(VALU_DEP_1) | instskip(SKIP_1) | instid1(VALU_DEP_2)
	v_subrev_nc_u32_e32 v17, 28, v16
	v_sub_nc_u32_e32 v16, 29, v16
	v_lshlrev_b64 v[134:135], v17, v[6:7]
	s_delay_alu instid0(VALU_DEP_1)
	v_and_b32_e32 v6, 7, v134
; %bb.1126:                             ;   in Loop: Header=BB262_934 Depth=1
	s_or_b32 exec_lo, exec_lo, s16
	v_lshlrev_b32_e32 v17, 24, v133
	s_delay_alu instid0(VALU_DEP_2) | instskip(SKIP_1) | instid1(VALU_DEP_3)
	v_lshlrev_b32_e32 v6, 20, v6
	v_lshl_add_u32 v16, v16, 23, 0x3c000000
	v_and_b32_e32 v17, 0x80000000, v17
	s_delay_alu instid0(VALU_DEP_1) | instskip(NEXT) | instid1(VALU_DEP_1)
	v_or3_b32 v6, v6, v17, v16
	v_dual_mov_b32 v17, v7 :: v_dual_mov_b32 v16, v6
.LBB262_1127:                           ;   in Loop: Header=BB262_934 Depth=1
	s_or_b32 exec_lo, exec_lo, s15
.LBB262_1128:                           ;   in Loop: Header=BB262_934 Depth=1
	s_delay_alu instid0(SALU_CYCLE_1)
	s_or_b32 exec_lo, exec_lo, s13
.LBB262_1129:                           ;   in Loop: Header=BB262_934 Depth=1
	s_delay_alu instid0(SALU_CYCLE_1) | instskip(NEXT) | instid1(SALU_CYCLE_1)
	s_or_b32 exec_lo, exec_lo, s10
	s_mov_b32 s13, exec_lo
	v_cmpx_lt_u32_e32 0xffffff, v132
	s_cbranch_execz .LBB262_1137
; %bb.1130:                             ;   in Loop: Header=BB262_934 Depth=1
	v_lshrrev_b32_e32 v133, 24, v132
	v_dual_mov_b32 v19, s9 :: v_dual_mov_b32 v18, s8
	s_mov_b32 s15, exec_lo
	s_delay_alu instid0(VALU_DEP_2)
	v_cmpx_ne_u32_e32 0x80, v133
	s_cbranch_execz .LBB262_1136
; %bb.1131:                             ;   in Loop: Header=BB262_934 Depth=1
	s_mov_b32 s10, s8
	v_bfe_u32 v132, v132, 24, 7
	v_dual_mov_b32 v19, s11 :: v_dual_mov_b32 v18, s10
	s_mov_b32 s10, exec_lo
	s_delay_alu instid0(VALU_DEP_2)
	v_cmpx_ne_u32_e32 0x7f, v132
	s_cbranch_execz .LBB262_1135
; %bb.1132:                             ;   in Loop: Header=BB262_934 Depth=1
	v_and_b32_e32 v6, 7, v133
	v_lshrrev_b32_e32 v18, 3, v132
	s_mov_b32 s16, exec_lo
	v_cmpx_gt_u32_e32 8, v132
; %bb.1133:                             ;   in Loop: Header=BB262_934 Depth=1
	s_delay_alu instid0(VALU_DEP_3) | instskip(NEXT) | instid1(VALU_DEP_1)
	v_clz_i32_u32_e32 v18, v6
	v_min_u32_e32 v18, 32, v18
	s_delay_alu instid0(VALU_DEP_1) | instskip(SKIP_1) | instid1(VALU_DEP_2)
	v_subrev_nc_u32_e32 v19, 28, v18
	v_sub_nc_u32_e32 v18, 29, v18
	v_lshlrev_b64 v[134:135], v19, v[6:7]
	s_delay_alu instid0(VALU_DEP_1)
	v_and_b32_e32 v6, 7, v134
; %bb.1134:                             ;   in Loop: Header=BB262_934 Depth=1
	s_or_b32 exec_lo, exec_lo, s16
	v_lshlrev_b32_e32 v19, 24, v133
	s_delay_alu instid0(VALU_DEP_2) | instskip(SKIP_1) | instid1(VALU_DEP_3)
	v_lshlrev_b32_e32 v6, 20, v6
	v_lshl_add_u32 v18, v18, 23, 0x3c000000
	v_and_b32_e32 v19, 0x80000000, v19
	s_delay_alu instid0(VALU_DEP_1)
	v_or3_b32 v19, v6, v19, v18
	v_mov_b32_e32 v18, v7
.LBB262_1135:                           ;   in Loop: Header=BB262_934 Depth=1
	s_or_b32 exec_lo, exec_lo, s10
.LBB262_1136:                           ;   in Loop: Header=BB262_934 Depth=1
	s_delay_alu instid0(SALU_CYCLE_1)
	s_or_b32 exec_lo, exec_lo, s15
.LBB262_1137:                           ;   in Loop: Header=BB262_934 Depth=1
	s_delay_alu instid0(SALU_CYCLE_1) | instskip(SKIP_4) | instid1(VALU_DEP_4)
	s_or_b32 exec_lo, exec_lo, s13
	v_or_b32_e32 v5, v15, v5
	v_or_b32_e32 v4, v14, v4
	;; [unrolled: 1-line block ×4, first 2 shown]
	v_mul_f32_e32 v135, v83, v5
	s_delay_alu instid0(VALU_DEP_4) | instskip(NEXT) | instid1(VALU_DEP_4)
	v_mul_f32_e32 v134, v83, v4
	v_mul_f32_e32 v132, v83, v6
	s_delay_alu instid0(VALU_DEP_4)
	v_mul_f32_e32 v133, v83, v14
	s_and_saveexec_b32 s10, vcc_lo
; %bb.1138:                             ;   in Loop: Header=BB262_934 Depth=1
	v_cmp_lt_i32_e64 s0, v96, v22
	s_delay_alu instid0(VALU_DEP_1) | instskip(SKIP_1) | instid1(VALU_DEP_1)
	v_cndmask_b32_e64 v134, 0, v134, s0
	v_cmp_lt_i32_e64 s0, v99, v22
	v_cndmask_b32_e64 v135, 0, v135, s0
	v_cmp_lt_i32_e64 s0, v98, v22
	s_delay_alu instid0(VALU_DEP_1) | instskip(SKIP_1) | instid1(VALU_DEP_1)
	v_cndmask_b32_e64 v133, 0, v133, s0
	v_cmp_lt_i32_e64 s0, v97, v22
	v_cndmask_b32_e64 v132, 0, v132, s0
; %bb.1139:                             ;   in Loop: Header=BB262_934 Depth=1
	s_or_b32 exec_lo, exec_lo, s10
	flat_load_b32 v144, v[12:13] offset:768
	v_mov_b32_e32 v14, 0
	v_mov_b32_e32 v15, 0
	s_mov_b32 s10, exec_lo
	s_waitcnt vmcnt(0) lgkmcnt(0)
	v_and_b32_e32 v6, 0xff, v144
	s_delay_alu instid0(VALU_DEP_2) | instskip(NEXT) | instid1(VALU_DEP_2)
	v_dual_mov_b32 v4, v14 :: v_dual_mov_b32 v5, v15
	v_cmpx_ne_u16_e32 0, v6
	s_cbranch_execz .LBB262_1147
; %bb.1140:                             ;   in Loop: Header=BB262_934 Depth=1
	v_bfrev_b32_e32 v4, 1
	v_mov_b32_e32 v5, 0
	s_mov_b32 s13, exec_lo
	v_cmpx_ne_u16_e32 0x80, v6
	s_cbranch_execz .LBB262_1146
; %bb.1141:                             ;   in Loop: Header=BB262_934 Depth=1
	v_mov_b32_e32 v4, 0x7f800001
	v_dual_mov_b32 v5, 0 :: v_dual_and_b32 v16, 0x7f, v144
	s_mov_b32 s15, exec_lo
	s_delay_alu instid0(VALU_DEP_1)
	v_cmpx_ne_u32_e32 0x7f, v16
	s_cbranch_execz .LBB262_1145
; %bb.1142:                             ;   in Loop: Header=BB262_934 Depth=1
	v_and_b32_e32 v6, 7, v144
	v_lshrrev_b32_e32 v4, 3, v16
	s_mov_b32 s16, exec_lo
	v_cmpx_gt_u32_e32 8, v16
; %bb.1143:                             ;   in Loop: Header=BB262_934 Depth=1
	s_delay_alu instid0(VALU_DEP_3) | instskip(NEXT) | instid1(VALU_DEP_1)
	v_clz_i32_u32_e32 v4, v6
	v_min_u32_e32 v4, 32, v4
	s_delay_alu instid0(VALU_DEP_1) | instskip(SKIP_1) | instid1(VALU_DEP_2)
	v_subrev_nc_u32_e32 v5, 28, v4
	v_sub_nc_u32_e32 v4, 29, v4
	v_lshlrev_b64 v[5:6], v5, v[6:7]
	s_delay_alu instid0(VALU_DEP_1)
	v_and_b32_e32 v6, 7, v5
; %bb.1144:                             ;   in Loop: Header=BB262_934 Depth=1
	s_or_b32 exec_lo, exec_lo, s16
	v_lshlrev_b32_e32 v5, 24, v144
	s_delay_alu instid0(VALU_DEP_2) | instskip(SKIP_1) | instid1(VALU_DEP_3)
	v_lshlrev_b32_e32 v6, 20, v6
	v_lshl_add_u32 v4, v4, 23, 0x3c000000
	v_and_b32_e32 v5, 0x80000000, v5
	s_delay_alu instid0(VALU_DEP_1) | instskip(NEXT) | instid1(VALU_DEP_1)
	v_or3_b32 v6, v6, v5, v4
	v_dual_mov_b32 v4, v6 :: v_dual_mov_b32 v5, v7
.LBB262_1145:                           ;   in Loop: Header=BB262_934 Depth=1
	s_or_b32 exec_lo, exec_lo, s15
.LBB262_1146:                           ;   in Loop: Header=BB262_934 Depth=1
	s_delay_alu instid0(SALU_CYCLE_1)
	s_or_b32 exec_lo, exec_lo, s13
.LBB262_1147:                           ;   in Loop: Header=BB262_934 Depth=1
	s_delay_alu instid0(SALU_CYCLE_1) | instskip(SKIP_2) | instid1(VALU_DEP_1)
	s_or_b32 exec_lo, exec_lo, s10
	v_lshrrev_b16 v6, 8, v144
	s_mov_b32 s13, exec_lo
	v_cmpx_ne_u16_e32 0, v6
	s_cbranch_execz .LBB262_1155
; %bb.1148:                             ;   in Loop: Header=BB262_934 Depth=1
	v_dual_mov_b32 v15, s9 :: v_dual_mov_b32 v14, s8
	s_mov_b32 s15, exec_lo
	v_cmpx_ne_u16_e32 0x80, v6
	s_cbranch_execz .LBB262_1154
; %bb.1149:                             ;   in Loop: Header=BB262_934 Depth=1
	s_mov_b32 s10, s8
	v_dual_mov_b32 v15, s11 :: v_dual_and_b32 v6, 0xffff, v6
	v_mov_b32_e32 v14, s10
	s_mov_b32 s10, exec_lo
	s_delay_alu instid0(VALU_DEP_2) | instskip(NEXT) | instid1(VALU_DEP_1)
	v_and_b32_e32 v16, 0x7f, v6
	v_cmpx_ne_u32_e32 0x7f, v16
	s_cbranch_execz .LBB262_1153
; %bb.1150:                             ;   in Loop: Header=BB262_934 Depth=1
	v_and_b32_e32 v6, 7, v6
	v_lshrrev_b32_e32 v14, 3, v16
	s_mov_b32 s16, exec_lo
	v_cmpx_gt_u32_e32 8, v16
; %bb.1151:                             ;   in Loop: Header=BB262_934 Depth=1
	s_delay_alu instid0(VALU_DEP_3) | instskip(NEXT) | instid1(VALU_DEP_1)
	v_clz_i32_u32_e32 v14, v6
	v_min_u32_e32 v14, 32, v14
	s_delay_alu instid0(VALU_DEP_1) | instskip(SKIP_1) | instid1(VALU_DEP_2)
	v_subrev_nc_u32_e32 v15, 28, v14
	v_sub_nc_u32_e32 v14, 29, v14
	v_lshlrev_b64 v[15:16], v15, v[6:7]
	s_delay_alu instid0(VALU_DEP_1)
	v_and_b32_e32 v6, 7, v15
; %bb.1152:                             ;   in Loop: Header=BB262_934 Depth=1
	s_or_b32 exec_lo, exec_lo, s16
	v_lshlrev_b32_e32 v15, 16, v144
	s_delay_alu instid0(VALU_DEP_2) | instskip(SKIP_1) | instid1(VALU_DEP_3)
	v_lshlrev_b32_e32 v6, 20, v6
	v_lshl_add_u32 v14, v14, 23, 0x3c000000
	v_and_b32_e32 v15, 0x80000000, v15
	s_delay_alu instid0(VALU_DEP_1)
	v_or3_b32 v15, v6, v15, v14
	v_mov_b32_e32 v14, v7
.LBB262_1153:                           ;   in Loop: Header=BB262_934 Depth=1
	s_or_b32 exec_lo, exec_lo, s10
.LBB262_1154:                           ;   in Loop: Header=BB262_934 Depth=1
	s_delay_alu instid0(SALU_CYCLE_1)
	s_or_b32 exec_lo, exec_lo, s15
.LBB262_1155:                           ;   in Loop: Header=BB262_934 Depth=1
	s_delay_alu instid0(SALU_CYCLE_1) | instskip(SKIP_4) | instid1(VALU_DEP_2)
	s_or_b32 exec_lo, exec_lo, s13
	v_mov_b32_e32 v18, 0
	v_lshrrev_b32_e32 v145, 16, v144
	v_mov_b32_e32 v19, 0
	s_mov_b32 s10, exec_lo
	v_and_b32_e32 v6, 0xff, v145
	s_delay_alu instid0(VALU_DEP_2) | instskip(NEXT) | instid1(VALU_DEP_2)
	v_dual_mov_b32 v16, v18 :: v_dual_mov_b32 v17, v19
	v_cmpx_ne_u16_e32 0, v6
	s_cbranch_execz .LBB262_1163
; %bb.1156:                             ;   in Loop: Header=BB262_934 Depth=1
	v_bfrev_b32_e32 v16, 1
	v_mov_b32_e32 v17, 0
	s_mov_b32 s13, exec_lo
	v_cmpx_ne_u16_e32 0x80, v6
	s_cbranch_execz .LBB262_1162
; %bb.1157:                             ;   in Loop: Header=BB262_934 Depth=1
	v_mov_b32_e32 v16, 0x7f800001
	v_bfe_u32 v146, v144, 16, 7
	v_mov_b32_e32 v17, 0
	s_mov_b32 s15, exec_lo
	s_delay_alu instid0(VALU_DEP_2)
	v_cmpx_ne_u32_e32 0x7f, v146
	s_cbranch_execz .LBB262_1161
; %bb.1158:                             ;   in Loop: Header=BB262_934 Depth=1
	v_and_b32_e32 v6, 7, v145
	v_lshrrev_b32_e32 v16, 3, v146
	s_mov_b32 s16, exec_lo
	v_cmpx_gt_u32_e32 8, v146
; %bb.1159:                             ;   in Loop: Header=BB262_934 Depth=1
	s_delay_alu instid0(VALU_DEP_3) | instskip(NEXT) | instid1(VALU_DEP_1)
	v_clz_i32_u32_e32 v16, v6
	v_min_u32_e32 v16, 32, v16
	s_delay_alu instid0(VALU_DEP_1) | instskip(SKIP_1) | instid1(VALU_DEP_2)
	v_subrev_nc_u32_e32 v17, 28, v16
	v_sub_nc_u32_e32 v16, 29, v16
	v_lshlrev_b64 v[146:147], v17, v[6:7]
	s_delay_alu instid0(VALU_DEP_1)
	v_and_b32_e32 v6, 7, v146
; %bb.1160:                             ;   in Loop: Header=BB262_934 Depth=1
	s_or_b32 exec_lo, exec_lo, s16
	v_lshlrev_b32_e32 v17, 24, v145
	s_delay_alu instid0(VALU_DEP_2) | instskip(SKIP_1) | instid1(VALU_DEP_3)
	v_lshlrev_b32_e32 v6, 20, v6
	v_lshl_add_u32 v16, v16, 23, 0x3c000000
	v_and_b32_e32 v17, 0x80000000, v17
	s_delay_alu instid0(VALU_DEP_1) | instskip(NEXT) | instid1(VALU_DEP_1)
	v_or3_b32 v6, v6, v17, v16
	v_dual_mov_b32 v17, v7 :: v_dual_mov_b32 v16, v6
.LBB262_1161:                           ;   in Loop: Header=BB262_934 Depth=1
	s_or_b32 exec_lo, exec_lo, s15
.LBB262_1162:                           ;   in Loop: Header=BB262_934 Depth=1
	s_delay_alu instid0(SALU_CYCLE_1)
	s_or_b32 exec_lo, exec_lo, s13
.LBB262_1163:                           ;   in Loop: Header=BB262_934 Depth=1
	s_delay_alu instid0(SALU_CYCLE_1) | instskip(NEXT) | instid1(SALU_CYCLE_1)
	s_or_b32 exec_lo, exec_lo, s10
	s_mov_b32 s13, exec_lo
	v_cmpx_lt_u32_e32 0xffffff, v144
	s_cbranch_execz .LBB262_1171
; %bb.1164:                             ;   in Loop: Header=BB262_934 Depth=1
	v_lshrrev_b32_e32 v145, 24, v144
	v_dual_mov_b32 v19, s9 :: v_dual_mov_b32 v18, s8
	s_mov_b32 s15, exec_lo
	s_delay_alu instid0(VALU_DEP_2)
	v_cmpx_ne_u32_e32 0x80, v145
	s_cbranch_execz .LBB262_1170
; %bb.1165:                             ;   in Loop: Header=BB262_934 Depth=1
	s_mov_b32 s10, s8
	v_bfe_u32 v144, v144, 24, 7
	v_dual_mov_b32 v19, s11 :: v_dual_mov_b32 v18, s10
	s_mov_b32 s10, exec_lo
	s_delay_alu instid0(VALU_DEP_2)
	v_cmpx_ne_u32_e32 0x7f, v144
	s_cbranch_execz .LBB262_1169
; %bb.1166:                             ;   in Loop: Header=BB262_934 Depth=1
	v_and_b32_e32 v6, 7, v145
	v_lshrrev_b32_e32 v18, 3, v144
	s_mov_b32 s16, exec_lo
	v_cmpx_gt_u32_e32 8, v144
; %bb.1167:                             ;   in Loop: Header=BB262_934 Depth=1
	s_delay_alu instid0(VALU_DEP_3) | instskip(NEXT) | instid1(VALU_DEP_1)
	v_clz_i32_u32_e32 v18, v6
	v_min_u32_e32 v18, 32, v18
	s_delay_alu instid0(VALU_DEP_1) | instskip(SKIP_1) | instid1(VALU_DEP_2)
	v_subrev_nc_u32_e32 v19, 28, v18
	v_sub_nc_u32_e32 v18, 29, v18
	v_lshlrev_b64 v[146:147], v19, v[6:7]
	s_delay_alu instid0(VALU_DEP_1)
	v_and_b32_e32 v6, 7, v146
; %bb.1168:                             ;   in Loop: Header=BB262_934 Depth=1
	s_or_b32 exec_lo, exec_lo, s16
	v_lshlrev_b32_e32 v19, 24, v145
	s_delay_alu instid0(VALU_DEP_2) | instskip(SKIP_1) | instid1(VALU_DEP_3)
	v_lshlrev_b32_e32 v6, 20, v6
	v_lshl_add_u32 v18, v18, 23, 0x3c000000
	v_and_b32_e32 v19, 0x80000000, v19
	s_delay_alu instid0(VALU_DEP_1)
	v_or3_b32 v19, v6, v19, v18
	v_mov_b32_e32 v18, v7
.LBB262_1169:                           ;   in Loop: Header=BB262_934 Depth=1
	s_or_b32 exec_lo, exec_lo, s10
.LBB262_1170:                           ;   in Loop: Header=BB262_934 Depth=1
	s_delay_alu instid0(SALU_CYCLE_1)
	s_or_b32 exec_lo, exec_lo, s15
.LBB262_1171:                           ;   in Loop: Header=BB262_934 Depth=1
	s_delay_alu instid0(SALU_CYCLE_1) | instskip(SKIP_4) | instid1(VALU_DEP_4)
	s_or_b32 exec_lo, exec_lo, s13
	v_or_b32_e32 v5, v15, v5
	v_or_b32_e32 v4, v14, v4
	;; [unrolled: 1-line block ×4, first 2 shown]
	v_mul_f32_e32 v147, v83, v5
	s_delay_alu instid0(VALU_DEP_4) | instskip(NEXT) | instid1(VALU_DEP_4)
	v_mul_f32_e32 v146, v83, v4
	v_mul_f32_e32 v144, v83, v6
	s_delay_alu instid0(VALU_DEP_4)
	v_mul_f32_e32 v145, v83, v14
	s_and_saveexec_b32 s10, vcc_lo
; %bb.1172:                             ;   in Loop: Header=BB262_934 Depth=1
	v_cmp_lt_i32_e64 s0, v96, v22
	s_delay_alu instid0(VALU_DEP_1) | instskip(SKIP_1) | instid1(VALU_DEP_1)
	v_cndmask_b32_e64 v146, 0, v146, s0
	v_cmp_lt_i32_e64 s0, v99, v22
	v_cndmask_b32_e64 v147, 0, v147, s0
	v_cmp_lt_i32_e64 s0, v98, v22
	s_delay_alu instid0(VALU_DEP_1) | instskip(SKIP_1) | instid1(VALU_DEP_1)
	v_cndmask_b32_e64 v145, 0, v145, s0
	v_cmp_lt_i32_e64 s0, v97, v22
	v_cndmask_b32_e64 v144, 0, v144, s0
; %bb.1173:                             ;   in Loop: Header=BB262_934 Depth=1
	s_or_b32 exec_lo, exec_lo, s10
	flat_load_b32 v148, v[12:13] offset:896
	v_mov_b32_e32 v14, 0
	v_mov_b32_e32 v15, 0
	s_mov_b32 s10, exec_lo
	s_waitcnt vmcnt(0) lgkmcnt(0)
	v_and_b32_e32 v6, 0xff, v148
	s_delay_alu instid0(VALU_DEP_2) | instskip(NEXT) | instid1(VALU_DEP_2)
	v_dual_mov_b32 v4, v14 :: v_dual_mov_b32 v5, v15
	v_cmpx_ne_u16_e32 0, v6
	s_cbranch_execz .LBB262_1181
; %bb.1174:                             ;   in Loop: Header=BB262_934 Depth=1
	v_bfrev_b32_e32 v4, 1
	v_mov_b32_e32 v5, 0
	s_mov_b32 s13, exec_lo
	v_cmpx_ne_u16_e32 0x80, v6
	s_cbranch_execz .LBB262_1180
; %bb.1175:                             ;   in Loop: Header=BB262_934 Depth=1
	v_mov_b32_e32 v4, 0x7f800001
	v_dual_mov_b32 v5, 0 :: v_dual_and_b32 v16, 0x7f, v148
	s_mov_b32 s15, exec_lo
	s_delay_alu instid0(VALU_DEP_1)
	v_cmpx_ne_u32_e32 0x7f, v16
	s_cbranch_execz .LBB262_1179
; %bb.1176:                             ;   in Loop: Header=BB262_934 Depth=1
	v_and_b32_e32 v6, 7, v148
	v_lshrrev_b32_e32 v4, 3, v16
	s_mov_b32 s16, exec_lo
	v_cmpx_gt_u32_e32 8, v16
; %bb.1177:                             ;   in Loop: Header=BB262_934 Depth=1
	s_delay_alu instid0(VALU_DEP_3) | instskip(NEXT) | instid1(VALU_DEP_1)
	v_clz_i32_u32_e32 v4, v6
	v_min_u32_e32 v4, 32, v4
	s_delay_alu instid0(VALU_DEP_1) | instskip(SKIP_1) | instid1(VALU_DEP_2)
	v_subrev_nc_u32_e32 v5, 28, v4
	v_sub_nc_u32_e32 v4, 29, v4
	v_lshlrev_b64 v[5:6], v5, v[6:7]
	s_delay_alu instid0(VALU_DEP_1)
	v_and_b32_e32 v6, 7, v5
; %bb.1178:                             ;   in Loop: Header=BB262_934 Depth=1
	s_or_b32 exec_lo, exec_lo, s16
	v_lshlrev_b32_e32 v5, 24, v148
	s_delay_alu instid0(VALU_DEP_2) | instskip(SKIP_1) | instid1(VALU_DEP_3)
	v_lshlrev_b32_e32 v6, 20, v6
	v_lshl_add_u32 v4, v4, 23, 0x3c000000
	v_and_b32_e32 v5, 0x80000000, v5
	s_delay_alu instid0(VALU_DEP_1) | instskip(NEXT) | instid1(VALU_DEP_1)
	v_or3_b32 v6, v6, v5, v4
	v_dual_mov_b32 v4, v6 :: v_dual_mov_b32 v5, v7
.LBB262_1179:                           ;   in Loop: Header=BB262_934 Depth=1
	s_or_b32 exec_lo, exec_lo, s15
.LBB262_1180:                           ;   in Loop: Header=BB262_934 Depth=1
	s_delay_alu instid0(SALU_CYCLE_1)
	s_or_b32 exec_lo, exec_lo, s13
.LBB262_1181:                           ;   in Loop: Header=BB262_934 Depth=1
	s_delay_alu instid0(SALU_CYCLE_1) | instskip(SKIP_2) | instid1(VALU_DEP_1)
	s_or_b32 exec_lo, exec_lo, s10
	v_lshrrev_b16 v6, 8, v148
	s_mov_b32 s13, exec_lo
	v_cmpx_ne_u16_e32 0, v6
	s_cbranch_execz .LBB262_1189
; %bb.1182:                             ;   in Loop: Header=BB262_934 Depth=1
	v_dual_mov_b32 v15, s9 :: v_dual_mov_b32 v14, s8
	s_mov_b32 s15, exec_lo
	v_cmpx_ne_u16_e32 0x80, v6
	s_cbranch_execz .LBB262_1188
; %bb.1183:                             ;   in Loop: Header=BB262_934 Depth=1
	s_mov_b32 s10, s8
	v_dual_mov_b32 v15, s11 :: v_dual_and_b32 v6, 0xffff, v6
	v_mov_b32_e32 v14, s10
	s_mov_b32 s10, exec_lo
	s_delay_alu instid0(VALU_DEP_2) | instskip(NEXT) | instid1(VALU_DEP_1)
	v_and_b32_e32 v16, 0x7f, v6
	v_cmpx_ne_u32_e32 0x7f, v16
	s_cbranch_execz .LBB262_1187
; %bb.1184:                             ;   in Loop: Header=BB262_934 Depth=1
	v_and_b32_e32 v6, 7, v6
	v_lshrrev_b32_e32 v14, 3, v16
	s_mov_b32 s16, exec_lo
	v_cmpx_gt_u32_e32 8, v16
; %bb.1185:                             ;   in Loop: Header=BB262_934 Depth=1
	s_delay_alu instid0(VALU_DEP_3) | instskip(NEXT) | instid1(VALU_DEP_1)
	v_clz_i32_u32_e32 v14, v6
	v_min_u32_e32 v14, 32, v14
	s_delay_alu instid0(VALU_DEP_1) | instskip(SKIP_1) | instid1(VALU_DEP_2)
	v_subrev_nc_u32_e32 v15, 28, v14
	v_sub_nc_u32_e32 v14, 29, v14
	v_lshlrev_b64 v[15:16], v15, v[6:7]
	s_delay_alu instid0(VALU_DEP_1)
	v_and_b32_e32 v6, 7, v15
; %bb.1186:                             ;   in Loop: Header=BB262_934 Depth=1
	s_or_b32 exec_lo, exec_lo, s16
	v_lshlrev_b32_e32 v15, 16, v148
	s_delay_alu instid0(VALU_DEP_2) | instskip(SKIP_1) | instid1(VALU_DEP_3)
	v_lshlrev_b32_e32 v6, 20, v6
	v_lshl_add_u32 v14, v14, 23, 0x3c000000
	v_and_b32_e32 v15, 0x80000000, v15
	s_delay_alu instid0(VALU_DEP_1)
	v_or3_b32 v15, v6, v15, v14
	v_mov_b32_e32 v14, v7
.LBB262_1187:                           ;   in Loop: Header=BB262_934 Depth=1
	s_or_b32 exec_lo, exec_lo, s10
.LBB262_1188:                           ;   in Loop: Header=BB262_934 Depth=1
	s_delay_alu instid0(SALU_CYCLE_1)
	s_or_b32 exec_lo, exec_lo, s15
.LBB262_1189:                           ;   in Loop: Header=BB262_934 Depth=1
	s_delay_alu instid0(SALU_CYCLE_1) | instskip(SKIP_4) | instid1(VALU_DEP_2)
	s_or_b32 exec_lo, exec_lo, s13
	v_mov_b32_e32 v18, 0
	v_lshrrev_b32_e32 v149, 16, v148
	v_mov_b32_e32 v19, 0
	s_mov_b32 s10, exec_lo
	v_and_b32_e32 v6, 0xff, v149
	s_delay_alu instid0(VALU_DEP_2) | instskip(NEXT) | instid1(VALU_DEP_2)
	v_dual_mov_b32 v16, v18 :: v_dual_mov_b32 v17, v19
	v_cmpx_ne_u16_e32 0, v6
	s_cbranch_execz .LBB262_1197
; %bb.1190:                             ;   in Loop: Header=BB262_934 Depth=1
	v_bfrev_b32_e32 v16, 1
	v_mov_b32_e32 v17, 0
	s_mov_b32 s13, exec_lo
	v_cmpx_ne_u16_e32 0x80, v6
	s_cbranch_execz .LBB262_1196
; %bb.1191:                             ;   in Loop: Header=BB262_934 Depth=1
	v_mov_b32_e32 v16, 0x7f800001
	v_bfe_u32 v150, v148, 16, 7
	v_mov_b32_e32 v17, 0
	s_mov_b32 s15, exec_lo
	s_delay_alu instid0(VALU_DEP_2)
	v_cmpx_ne_u32_e32 0x7f, v150
	s_cbranch_execz .LBB262_1195
; %bb.1192:                             ;   in Loop: Header=BB262_934 Depth=1
	v_and_b32_e32 v6, 7, v149
	v_lshrrev_b32_e32 v16, 3, v150
	s_mov_b32 s16, exec_lo
	v_cmpx_gt_u32_e32 8, v150
; %bb.1193:                             ;   in Loop: Header=BB262_934 Depth=1
	s_delay_alu instid0(VALU_DEP_3) | instskip(NEXT) | instid1(VALU_DEP_1)
	v_clz_i32_u32_e32 v16, v6
	v_min_u32_e32 v16, 32, v16
	s_delay_alu instid0(VALU_DEP_1) | instskip(SKIP_1) | instid1(VALU_DEP_2)
	v_subrev_nc_u32_e32 v17, 28, v16
	v_sub_nc_u32_e32 v16, 29, v16
	v_lshlrev_b64 v[150:151], v17, v[6:7]
	s_delay_alu instid0(VALU_DEP_1)
	v_and_b32_e32 v6, 7, v150
; %bb.1194:                             ;   in Loop: Header=BB262_934 Depth=1
	s_or_b32 exec_lo, exec_lo, s16
	v_lshlrev_b32_e32 v17, 24, v149
	s_delay_alu instid0(VALU_DEP_2) | instskip(SKIP_1) | instid1(VALU_DEP_3)
	v_lshlrev_b32_e32 v6, 20, v6
	v_lshl_add_u32 v16, v16, 23, 0x3c000000
	v_and_b32_e32 v17, 0x80000000, v17
	s_delay_alu instid0(VALU_DEP_1) | instskip(NEXT) | instid1(VALU_DEP_1)
	v_or3_b32 v6, v6, v17, v16
	v_dual_mov_b32 v17, v7 :: v_dual_mov_b32 v16, v6
.LBB262_1195:                           ;   in Loop: Header=BB262_934 Depth=1
	s_or_b32 exec_lo, exec_lo, s15
.LBB262_1196:                           ;   in Loop: Header=BB262_934 Depth=1
	s_delay_alu instid0(SALU_CYCLE_1)
	s_or_b32 exec_lo, exec_lo, s13
.LBB262_1197:                           ;   in Loop: Header=BB262_934 Depth=1
	s_delay_alu instid0(SALU_CYCLE_1) | instskip(NEXT) | instid1(SALU_CYCLE_1)
	s_or_b32 exec_lo, exec_lo, s10
	s_mov_b32 s13, exec_lo
	v_cmpx_lt_u32_e32 0xffffff, v148
	s_cbranch_execz .LBB262_1205
; %bb.1198:                             ;   in Loop: Header=BB262_934 Depth=1
	v_lshrrev_b32_e32 v149, 24, v148
	v_dual_mov_b32 v19, s9 :: v_dual_mov_b32 v18, s8
	s_mov_b32 s15, exec_lo
	s_delay_alu instid0(VALU_DEP_2)
	v_cmpx_ne_u32_e32 0x80, v149
	s_cbranch_execz .LBB262_1204
; %bb.1199:                             ;   in Loop: Header=BB262_934 Depth=1
	s_mov_b32 s10, s8
	v_bfe_u32 v148, v148, 24, 7
	v_dual_mov_b32 v19, s11 :: v_dual_mov_b32 v18, s10
	s_mov_b32 s10, exec_lo
	s_delay_alu instid0(VALU_DEP_2)
	v_cmpx_ne_u32_e32 0x7f, v148
	s_cbranch_execz .LBB262_1203
; %bb.1200:                             ;   in Loop: Header=BB262_934 Depth=1
	v_and_b32_e32 v6, 7, v149
	v_lshrrev_b32_e32 v18, 3, v148
	s_mov_b32 s16, exec_lo
	v_cmpx_gt_u32_e32 8, v148
; %bb.1201:                             ;   in Loop: Header=BB262_934 Depth=1
	s_delay_alu instid0(VALU_DEP_3) | instskip(NEXT) | instid1(VALU_DEP_1)
	v_clz_i32_u32_e32 v18, v6
	v_min_u32_e32 v18, 32, v18
	s_delay_alu instid0(VALU_DEP_1) | instskip(SKIP_1) | instid1(VALU_DEP_2)
	v_subrev_nc_u32_e32 v19, 28, v18
	v_sub_nc_u32_e32 v18, 29, v18
	v_lshlrev_b64 v[150:151], v19, v[6:7]
	s_delay_alu instid0(VALU_DEP_1)
	v_and_b32_e32 v6, 7, v150
; %bb.1202:                             ;   in Loop: Header=BB262_934 Depth=1
	s_or_b32 exec_lo, exec_lo, s16
	v_lshlrev_b32_e32 v19, 24, v149
	s_delay_alu instid0(VALU_DEP_2) | instskip(SKIP_1) | instid1(VALU_DEP_3)
	v_lshlrev_b32_e32 v6, 20, v6
	v_lshl_add_u32 v18, v18, 23, 0x3c000000
	v_and_b32_e32 v19, 0x80000000, v19
	s_delay_alu instid0(VALU_DEP_1)
	v_or3_b32 v19, v6, v19, v18
	v_mov_b32_e32 v18, v7
.LBB262_1203:                           ;   in Loop: Header=BB262_934 Depth=1
	s_or_b32 exec_lo, exec_lo, s10
.LBB262_1204:                           ;   in Loop: Header=BB262_934 Depth=1
	s_delay_alu instid0(SALU_CYCLE_1)
	s_or_b32 exec_lo, exec_lo, s15
.LBB262_1205:                           ;   in Loop: Header=BB262_934 Depth=1
	s_delay_alu instid0(SALU_CYCLE_1) | instskip(SKIP_4) | instid1(VALU_DEP_4)
	s_or_b32 exec_lo, exec_lo, s13
	v_or_b32_e32 v5, v15, v5
	v_or_b32_e32 v4, v14, v4
	;; [unrolled: 1-line block ×4, first 2 shown]
	v_mul_f32_e32 v151, v83, v5
	s_delay_alu instid0(VALU_DEP_4) | instskip(NEXT) | instid1(VALU_DEP_4)
	v_mul_f32_e32 v150, v83, v4
	v_mul_f32_e32 v148, v83, v6
	s_delay_alu instid0(VALU_DEP_4)
	v_mul_f32_e32 v149, v83, v14
	s_and_saveexec_b32 s10, vcc_lo
; %bb.1206:                             ;   in Loop: Header=BB262_934 Depth=1
	v_cmp_lt_i32_e64 s0, v96, v22
	s_delay_alu instid0(VALU_DEP_1) | instskip(SKIP_1) | instid1(VALU_DEP_1)
	v_cndmask_b32_e64 v150, 0, v150, s0
	v_cmp_lt_i32_e64 s0, v99, v22
	v_cndmask_b32_e64 v151, 0, v151, s0
	v_cmp_lt_i32_e64 s0, v98, v22
	s_delay_alu instid0(VALU_DEP_1) | instskip(SKIP_1) | instid1(VALU_DEP_1)
	v_cndmask_b32_e64 v149, 0, v149, s0
	v_cmp_lt_i32_e64 s0, v97, v22
	v_cndmask_b32_e64 v148, 0, v148, s0
; %bb.1207:                             ;   in Loop: Header=BB262_934 Depth=1
	s_or_b32 exec_lo, exec_lo, s10
	flat_load_b32 v160, v[12:13] offset:1024
	v_mov_b32_e32 v14, 0
	v_mov_b32_e32 v15, 0
	s_mov_b32 s10, exec_lo
	s_waitcnt vmcnt(0) lgkmcnt(0)
	v_and_b32_e32 v6, 0xff, v160
	s_delay_alu instid0(VALU_DEP_2) | instskip(NEXT) | instid1(VALU_DEP_2)
	v_dual_mov_b32 v4, v14 :: v_dual_mov_b32 v5, v15
	v_cmpx_ne_u16_e32 0, v6
	s_cbranch_execz .LBB262_1215
; %bb.1208:                             ;   in Loop: Header=BB262_934 Depth=1
	v_bfrev_b32_e32 v4, 1
	v_mov_b32_e32 v5, 0
	s_mov_b32 s13, exec_lo
	v_cmpx_ne_u16_e32 0x80, v6
	s_cbranch_execz .LBB262_1214
; %bb.1209:                             ;   in Loop: Header=BB262_934 Depth=1
	v_mov_b32_e32 v4, 0x7f800001
	v_dual_mov_b32 v5, 0 :: v_dual_and_b32 v16, 0x7f, v160
	s_mov_b32 s15, exec_lo
	s_delay_alu instid0(VALU_DEP_1)
	v_cmpx_ne_u32_e32 0x7f, v16
	s_cbranch_execz .LBB262_1213
; %bb.1210:                             ;   in Loop: Header=BB262_934 Depth=1
	v_and_b32_e32 v6, 7, v160
	v_lshrrev_b32_e32 v4, 3, v16
	s_mov_b32 s16, exec_lo
	v_cmpx_gt_u32_e32 8, v16
; %bb.1211:                             ;   in Loop: Header=BB262_934 Depth=1
	s_delay_alu instid0(VALU_DEP_3) | instskip(NEXT) | instid1(VALU_DEP_1)
	v_clz_i32_u32_e32 v4, v6
	v_min_u32_e32 v4, 32, v4
	s_delay_alu instid0(VALU_DEP_1) | instskip(SKIP_1) | instid1(VALU_DEP_2)
	v_subrev_nc_u32_e32 v5, 28, v4
	v_sub_nc_u32_e32 v4, 29, v4
	v_lshlrev_b64 v[5:6], v5, v[6:7]
	s_delay_alu instid0(VALU_DEP_1)
	v_and_b32_e32 v6, 7, v5
; %bb.1212:                             ;   in Loop: Header=BB262_934 Depth=1
	s_or_b32 exec_lo, exec_lo, s16
	v_lshlrev_b32_e32 v5, 24, v160
	s_delay_alu instid0(VALU_DEP_2) | instskip(SKIP_1) | instid1(VALU_DEP_3)
	v_lshlrev_b32_e32 v6, 20, v6
	v_lshl_add_u32 v4, v4, 23, 0x3c000000
	v_and_b32_e32 v5, 0x80000000, v5
	s_delay_alu instid0(VALU_DEP_1) | instskip(NEXT) | instid1(VALU_DEP_1)
	v_or3_b32 v6, v6, v5, v4
	v_dual_mov_b32 v4, v6 :: v_dual_mov_b32 v5, v7
.LBB262_1213:                           ;   in Loop: Header=BB262_934 Depth=1
	s_or_b32 exec_lo, exec_lo, s15
.LBB262_1214:                           ;   in Loop: Header=BB262_934 Depth=1
	s_delay_alu instid0(SALU_CYCLE_1)
	s_or_b32 exec_lo, exec_lo, s13
.LBB262_1215:                           ;   in Loop: Header=BB262_934 Depth=1
	s_delay_alu instid0(SALU_CYCLE_1) | instskip(SKIP_2) | instid1(VALU_DEP_1)
	s_or_b32 exec_lo, exec_lo, s10
	v_lshrrev_b16 v6, 8, v160
	s_mov_b32 s13, exec_lo
	v_cmpx_ne_u16_e32 0, v6
	s_cbranch_execz .LBB262_1223
; %bb.1216:                             ;   in Loop: Header=BB262_934 Depth=1
	v_dual_mov_b32 v15, s9 :: v_dual_mov_b32 v14, s8
	s_mov_b32 s15, exec_lo
	v_cmpx_ne_u16_e32 0x80, v6
	s_cbranch_execz .LBB262_1222
; %bb.1217:                             ;   in Loop: Header=BB262_934 Depth=1
	s_mov_b32 s10, s8
	v_dual_mov_b32 v15, s11 :: v_dual_and_b32 v6, 0xffff, v6
	v_mov_b32_e32 v14, s10
	s_mov_b32 s10, exec_lo
	s_delay_alu instid0(VALU_DEP_2) | instskip(NEXT) | instid1(VALU_DEP_1)
	v_and_b32_e32 v16, 0x7f, v6
	v_cmpx_ne_u32_e32 0x7f, v16
	s_cbranch_execz .LBB262_1221
; %bb.1218:                             ;   in Loop: Header=BB262_934 Depth=1
	v_and_b32_e32 v6, 7, v6
	v_lshrrev_b32_e32 v14, 3, v16
	s_mov_b32 s16, exec_lo
	v_cmpx_gt_u32_e32 8, v16
; %bb.1219:                             ;   in Loop: Header=BB262_934 Depth=1
	s_delay_alu instid0(VALU_DEP_3) | instskip(NEXT) | instid1(VALU_DEP_1)
	v_clz_i32_u32_e32 v14, v6
	v_min_u32_e32 v14, 32, v14
	s_delay_alu instid0(VALU_DEP_1) | instskip(SKIP_1) | instid1(VALU_DEP_2)
	v_subrev_nc_u32_e32 v15, 28, v14
	v_sub_nc_u32_e32 v14, 29, v14
	v_lshlrev_b64 v[15:16], v15, v[6:7]
	s_delay_alu instid0(VALU_DEP_1)
	v_and_b32_e32 v6, 7, v15
; %bb.1220:                             ;   in Loop: Header=BB262_934 Depth=1
	s_or_b32 exec_lo, exec_lo, s16
	v_lshlrev_b32_e32 v15, 16, v160
	s_delay_alu instid0(VALU_DEP_2) | instskip(SKIP_1) | instid1(VALU_DEP_3)
	v_lshlrev_b32_e32 v6, 20, v6
	v_lshl_add_u32 v14, v14, 23, 0x3c000000
	v_and_b32_e32 v15, 0x80000000, v15
	s_delay_alu instid0(VALU_DEP_1)
	v_or3_b32 v15, v6, v15, v14
	v_mov_b32_e32 v14, v7
.LBB262_1221:                           ;   in Loop: Header=BB262_934 Depth=1
	s_or_b32 exec_lo, exec_lo, s10
.LBB262_1222:                           ;   in Loop: Header=BB262_934 Depth=1
	s_delay_alu instid0(SALU_CYCLE_1)
	s_or_b32 exec_lo, exec_lo, s15
.LBB262_1223:                           ;   in Loop: Header=BB262_934 Depth=1
	s_delay_alu instid0(SALU_CYCLE_1) | instskip(SKIP_4) | instid1(VALU_DEP_2)
	s_or_b32 exec_lo, exec_lo, s13
	v_mov_b32_e32 v18, 0
	v_lshrrev_b32_e32 v161, 16, v160
	v_mov_b32_e32 v19, 0
	s_mov_b32 s10, exec_lo
	v_and_b32_e32 v6, 0xff, v161
	s_delay_alu instid0(VALU_DEP_2) | instskip(NEXT) | instid1(VALU_DEP_2)
	v_dual_mov_b32 v16, v18 :: v_dual_mov_b32 v17, v19
	v_cmpx_ne_u16_e32 0, v6
	s_cbranch_execz .LBB262_1231
; %bb.1224:                             ;   in Loop: Header=BB262_934 Depth=1
	v_bfrev_b32_e32 v16, 1
	v_mov_b32_e32 v17, 0
	s_mov_b32 s13, exec_lo
	v_cmpx_ne_u16_e32 0x80, v6
	s_cbranch_execz .LBB262_1230
; %bb.1225:                             ;   in Loop: Header=BB262_934 Depth=1
	v_mov_b32_e32 v16, 0x7f800001
	v_bfe_u32 v162, v160, 16, 7
	v_mov_b32_e32 v17, 0
	s_mov_b32 s15, exec_lo
	s_delay_alu instid0(VALU_DEP_2)
	v_cmpx_ne_u32_e32 0x7f, v162
	s_cbranch_execz .LBB262_1229
; %bb.1226:                             ;   in Loop: Header=BB262_934 Depth=1
	v_and_b32_e32 v6, 7, v161
	v_lshrrev_b32_e32 v16, 3, v162
	s_mov_b32 s16, exec_lo
	v_cmpx_gt_u32_e32 8, v162
; %bb.1227:                             ;   in Loop: Header=BB262_934 Depth=1
	s_delay_alu instid0(VALU_DEP_3) | instskip(NEXT) | instid1(VALU_DEP_1)
	v_clz_i32_u32_e32 v16, v6
	v_min_u32_e32 v16, 32, v16
	s_delay_alu instid0(VALU_DEP_1) | instskip(SKIP_1) | instid1(VALU_DEP_2)
	v_subrev_nc_u32_e32 v17, 28, v16
	v_sub_nc_u32_e32 v16, 29, v16
	v_lshlrev_b64 v[162:163], v17, v[6:7]
	s_delay_alu instid0(VALU_DEP_1)
	v_and_b32_e32 v6, 7, v162
; %bb.1228:                             ;   in Loop: Header=BB262_934 Depth=1
	s_or_b32 exec_lo, exec_lo, s16
	v_lshlrev_b32_e32 v17, 24, v161
	s_delay_alu instid0(VALU_DEP_2) | instskip(SKIP_1) | instid1(VALU_DEP_3)
	v_lshlrev_b32_e32 v6, 20, v6
	v_lshl_add_u32 v16, v16, 23, 0x3c000000
	v_and_b32_e32 v17, 0x80000000, v17
	s_delay_alu instid0(VALU_DEP_1) | instskip(NEXT) | instid1(VALU_DEP_1)
	v_or3_b32 v6, v6, v17, v16
	v_dual_mov_b32 v17, v7 :: v_dual_mov_b32 v16, v6
.LBB262_1229:                           ;   in Loop: Header=BB262_934 Depth=1
	s_or_b32 exec_lo, exec_lo, s15
.LBB262_1230:                           ;   in Loop: Header=BB262_934 Depth=1
	s_delay_alu instid0(SALU_CYCLE_1)
	s_or_b32 exec_lo, exec_lo, s13
.LBB262_1231:                           ;   in Loop: Header=BB262_934 Depth=1
	s_delay_alu instid0(SALU_CYCLE_1) | instskip(NEXT) | instid1(SALU_CYCLE_1)
	s_or_b32 exec_lo, exec_lo, s10
	s_mov_b32 s13, exec_lo
	v_cmpx_lt_u32_e32 0xffffff, v160
	s_cbranch_execz .LBB262_1239
; %bb.1232:                             ;   in Loop: Header=BB262_934 Depth=1
	v_lshrrev_b32_e32 v161, 24, v160
	v_dual_mov_b32 v19, s9 :: v_dual_mov_b32 v18, s8
	s_mov_b32 s15, exec_lo
	s_delay_alu instid0(VALU_DEP_2)
	v_cmpx_ne_u32_e32 0x80, v161
	s_cbranch_execz .LBB262_1238
; %bb.1233:                             ;   in Loop: Header=BB262_934 Depth=1
	s_mov_b32 s10, s8
	v_bfe_u32 v160, v160, 24, 7
	v_dual_mov_b32 v19, s11 :: v_dual_mov_b32 v18, s10
	s_mov_b32 s10, exec_lo
	s_delay_alu instid0(VALU_DEP_2)
	v_cmpx_ne_u32_e32 0x7f, v160
	s_cbranch_execz .LBB262_1237
; %bb.1234:                             ;   in Loop: Header=BB262_934 Depth=1
	v_and_b32_e32 v6, 7, v161
	v_lshrrev_b32_e32 v18, 3, v160
	s_mov_b32 s16, exec_lo
	v_cmpx_gt_u32_e32 8, v160
; %bb.1235:                             ;   in Loop: Header=BB262_934 Depth=1
	s_delay_alu instid0(VALU_DEP_3) | instskip(NEXT) | instid1(VALU_DEP_1)
	v_clz_i32_u32_e32 v18, v6
	v_min_u32_e32 v18, 32, v18
	s_delay_alu instid0(VALU_DEP_1) | instskip(SKIP_1) | instid1(VALU_DEP_2)
	v_subrev_nc_u32_e32 v19, 28, v18
	v_sub_nc_u32_e32 v18, 29, v18
	v_lshlrev_b64 v[162:163], v19, v[6:7]
	s_delay_alu instid0(VALU_DEP_1)
	v_and_b32_e32 v6, 7, v162
; %bb.1236:                             ;   in Loop: Header=BB262_934 Depth=1
	s_or_b32 exec_lo, exec_lo, s16
	v_lshlrev_b32_e32 v19, 24, v161
	s_delay_alu instid0(VALU_DEP_2) | instskip(SKIP_1) | instid1(VALU_DEP_3)
	v_lshlrev_b32_e32 v6, 20, v6
	v_lshl_add_u32 v18, v18, 23, 0x3c000000
	v_and_b32_e32 v19, 0x80000000, v19
	s_delay_alu instid0(VALU_DEP_1)
	v_or3_b32 v19, v6, v19, v18
	v_mov_b32_e32 v18, v7
.LBB262_1237:                           ;   in Loop: Header=BB262_934 Depth=1
	s_or_b32 exec_lo, exec_lo, s10
.LBB262_1238:                           ;   in Loop: Header=BB262_934 Depth=1
	s_delay_alu instid0(SALU_CYCLE_1)
	s_or_b32 exec_lo, exec_lo, s15
.LBB262_1239:                           ;   in Loop: Header=BB262_934 Depth=1
	s_delay_alu instid0(SALU_CYCLE_1) | instskip(SKIP_4) | instid1(VALU_DEP_4)
	s_or_b32 exec_lo, exec_lo, s13
	v_or_b32_e32 v5, v15, v5
	v_or_b32_e32 v4, v14, v4
	;; [unrolled: 1-line block ×4, first 2 shown]
	v_mul_f32_e32 v163, v83, v5
	s_delay_alu instid0(VALU_DEP_4) | instskip(NEXT) | instid1(VALU_DEP_4)
	v_mul_f32_e32 v162, v83, v4
	v_mul_f32_e32 v160, v83, v6
	s_delay_alu instid0(VALU_DEP_4)
	v_mul_f32_e32 v161, v83, v14
	s_and_saveexec_b32 s10, vcc_lo
; %bb.1240:                             ;   in Loop: Header=BB262_934 Depth=1
	v_cmp_lt_i32_e64 s0, v96, v22
	s_delay_alu instid0(VALU_DEP_1) | instskip(SKIP_1) | instid1(VALU_DEP_1)
	v_cndmask_b32_e64 v162, 0, v162, s0
	v_cmp_lt_i32_e64 s0, v99, v22
	v_cndmask_b32_e64 v163, 0, v163, s0
	v_cmp_lt_i32_e64 s0, v98, v22
	s_delay_alu instid0(VALU_DEP_1) | instskip(SKIP_1) | instid1(VALU_DEP_1)
	v_cndmask_b32_e64 v161, 0, v161, s0
	v_cmp_lt_i32_e64 s0, v97, v22
	v_cndmask_b32_e64 v160, 0, v160, s0
; %bb.1241:                             ;   in Loop: Header=BB262_934 Depth=1
	s_or_b32 exec_lo, exec_lo, s10
	flat_load_b32 v164, v[12:13] offset:1152
	v_mov_b32_e32 v14, 0
	v_mov_b32_e32 v15, 0
	s_mov_b32 s10, exec_lo
	s_waitcnt vmcnt(0) lgkmcnt(0)
	v_and_b32_e32 v6, 0xff, v164
	s_delay_alu instid0(VALU_DEP_2) | instskip(NEXT) | instid1(VALU_DEP_2)
	v_dual_mov_b32 v4, v14 :: v_dual_mov_b32 v5, v15
	v_cmpx_ne_u16_e32 0, v6
	s_cbranch_execz .LBB262_1249
; %bb.1242:                             ;   in Loop: Header=BB262_934 Depth=1
	v_bfrev_b32_e32 v4, 1
	v_mov_b32_e32 v5, 0
	s_mov_b32 s13, exec_lo
	v_cmpx_ne_u16_e32 0x80, v6
	s_cbranch_execz .LBB262_1248
; %bb.1243:                             ;   in Loop: Header=BB262_934 Depth=1
	v_mov_b32_e32 v4, 0x7f800001
	v_dual_mov_b32 v5, 0 :: v_dual_and_b32 v16, 0x7f, v164
	s_mov_b32 s15, exec_lo
	s_delay_alu instid0(VALU_DEP_1)
	v_cmpx_ne_u32_e32 0x7f, v16
	s_cbranch_execz .LBB262_1247
; %bb.1244:                             ;   in Loop: Header=BB262_934 Depth=1
	v_and_b32_e32 v6, 7, v164
	v_lshrrev_b32_e32 v4, 3, v16
	s_mov_b32 s16, exec_lo
	v_cmpx_gt_u32_e32 8, v16
; %bb.1245:                             ;   in Loop: Header=BB262_934 Depth=1
	s_delay_alu instid0(VALU_DEP_3) | instskip(NEXT) | instid1(VALU_DEP_1)
	v_clz_i32_u32_e32 v4, v6
	v_min_u32_e32 v4, 32, v4
	s_delay_alu instid0(VALU_DEP_1) | instskip(SKIP_1) | instid1(VALU_DEP_2)
	v_subrev_nc_u32_e32 v5, 28, v4
	v_sub_nc_u32_e32 v4, 29, v4
	v_lshlrev_b64 v[5:6], v5, v[6:7]
	s_delay_alu instid0(VALU_DEP_1)
	v_and_b32_e32 v6, 7, v5
; %bb.1246:                             ;   in Loop: Header=BB262_934 Depth=1
	s_or_b32 exec_lo, exec_lo, s16
	v_lshlrev_b32_e32 v5, 24, v164
	s_delay_alu instid0(VALU_DEP_2) | instskip(SKIP_1) | instid1(VALU_DEP_3)
	v_lshlrev_b32_e32 v6, 20, v6
	v_lshl_add_u32 v4, v4, 23, 0x3c000000
	v_and_b32_e32 v5, 0x80000000, v5
	s_delay_alu instid0(VALU_DEP_1) | instskip(NEXT) | instid1(VALU_DEP_1)
	v_or3_b32 v6, v6, v5, v4
	v_dual_mov_b32 v4, v6 :: v_dual_mov_b32 v5, v7
.LBB262_1247:                           ;   in Loop: Header=BB262_934 Depth=1
	s_or_b32 exec_lo, exec_lo, s15
.LBB262_1248:                           ;   in Loop: Header=BB262_934 Depth=1
	s_delay_alu instid0(SALU_CYCLE_1)
	s_or_b32 exec_lo, exec_lo, s13
.LBB262_1249:                           ;   in Loop: Header=BB262_934 Depth=1
	s_delay_alu instid0(SALU_CYCLE_1) | instskip(SKIP_2) | instid1(VALU_DEP_1)
	s_or_b32 exec_lo, exec_lo, s10
	v_lshrrev_b16 v6, 8, v164
	s_mov_b32 s13, exec_lo
	v_cmpx_ne_u16_e32 0, v6
	s_cbranch_execz .LBB262_1257
; %bb.1250:                             ;   in Loop: Header=BB262_934 Depth=1
	v_dual_mov_b32 v15, s9 :: v_dual_mov_b32 v14, s8
	s_mov_b32 s15, exec_lo
	v_cmpx_ne_u16_e32 0x80, v6
	s_cbranch_execz .LBB262_1256
; %bb.1251:                             ;   in Loop: Header=BB262_934 Depth=1
	s_mov_b32 s10, s8
	v_dual_mov_b32 v15, s11 :: v_dual_and_b32 v6, 0xffff, v6
	v_mov_b32_e32 v14, s10
	s_mov_b32 s10, exec_lo
	s_delay_alu instid0(VALU_DEP_2) | instskip(NEXT) | instid1(VALU_DEP_1)
	v_and_b32_e32 v16, 0x7f, v6
	v_cmpx_ne_u32_e32 0x7f, v16
	s_cbranch_execz .LBB262_1255
; %bb.1252:                             ;   in Loop: Header=BB262_934 Depth=1
	v_and_b32_e32 v6, 7, v6
	v_lshrrev_b32_e32 v14, 3, v16
	s_mov_b32 s16, exec_lo
	v_cmpx_gt_u32_e32 8, v16
; %bb.1253:                             ;   in Loop: Header=BB262_934 Depth=1
	s_delay_alu instid0(VALU_DEP_3) | instskip(NEXT) | instid1(VALU_DEP_1)
	v_clz_i32_u32_e32 v14, v6
	v_min_u32_e32 v14, 32, v14
	s_delay_alu instid0(VALU_DEP_1) | instskip(SKIP_1) | instid1(VALU_DEP_2)
	v_subrev_nc_u32_e32 v15, 28, v14
	v_sub_nc_u32_e32 v14, 29, v14
	v_lshlrev_b64 v[15:16], v15, v[6:7]
	s_delay_alu instid0(VALU_DEP_1)
	v_and_b32_e32 v6, 7, v15
; %bb.1254:                             ;   in Loop: Header=BB262_934 Depth=1
	s_or_b32 exec_lo, exec_lo, s16
	v_lshlrev_b32_e32 v15, 16, v164
	s_delay_alu instid0(VALU_DEP_2) | instskip(SKIP_1) | instid1(VALU_DEP_3)
	v_lshlrev_b32_e32 v6, 20, v6
	v_lshl_add_u32 v14, v14, 23, 0x3c000000
	v_and_b32_e32 v15, 0x80000000, v15
	s_delay_alu instid0(VALU_DEP_1)
	v_or3_b32 v15, v6, v15, v14
	v_mov_b32_e32 v14, v7
.LBB262_1255:                           ;   in Loop: Header=BB262_934 Depth=1
	s_or_b32 exec_lo, exec_lo, s10
.LBB262_1256:                           ;   in Loop: Header=BB262_934 Depth=1
	s_delay_alu instid0(SALU_CYCLE_1)
	s_or_b32 exec_lo, exec_lo, s15
.LBB262_1257:                           ;   in Loop: Header=BB262_934 Depth=1
	s_delay_alu instid0(SALU_CYCLE_1) | instskip(SKIP_4) | instid1(VALU_DEP_2)
	s_or_b32 exec_lo, exec_lo, s13
	v_mov_b32_e32 v18, 0
	v_lshrrev_b32_e32 v165, 16, v164
	v_mov_b32_e32 v19, 0
	s_mov_b32 s10, exec_lo
	v_and_b32_e32 v6, 0xff, v165
	s_delay_alu instid0(VALU_DEP_2) | instskip(NEXT) | instid1(VALU_DEP_2)
	v_dual_mov_b32 v16, v18 :: v_dual_mov_b32 v17, v19
	v_cmpx_ne_u16_e32 0, v6
	s_cbranch_execz .LBB262_1265
; %bb.1258:                             ;   in Loop: Header=BB262_934 Depth=1
	v_bfrev_b32_e32 v16, 1
	v_mov_b32_e32 v17, 0
	s_mov_b32 s13, exec_lo
	v_cmpx_ne_u16_e32 0x80, v6
	s_cbranch_execz .LBB262_1264
; %bb.1259:                             ;   in Loop: Header=BB262_934 Depth=1
	v_mov_b32_e32 v16, 0x7f800001
	v_bfe_u32 v166, v164, 16, 7
	v_mov_b32_e32 v17, 0
	s_mov_b32 s15, exec_lo
	s_delay_alu instid0(VALU_DEP_2)
	v_cmpx_ne_u32_e32 0x7f, v166
	s_cbranch_execz .LBB262_1263
; %bb.1260:                             ;   in Loop: Header=BB262_934 Depth=1
	v_and_b32_e32 v6, 7, v165
	v_lshrrev_b32_e32 v16, 3, v166
	s_mov_b32 s16, exec_lo
	v_cmpx_gt_u32_e32 8, v166
; %bb.1261:                             ;   in Loop: Header=BB262_934 Depth=1
	s_delay_alu instid0(VALU_DEP_3) | instskip(NEXT) | instid1(VALU_DEP_1)
	v_clz_i32_u32_e32 v16, v6
	v_min_u32_e32 v16, 32, v16
	s_delay_alu instid0(VALU_DEP_1) | instskip(SKIP_1) | instid1(VALU_DEP_2)
	v_subrev_nc_u32_e32 v17, 28, v16
	v_sub_nc_u32_e32 v16, 29, v16
	v_lshlrev_b64 v[166:167], v17, v[6:7]
	s_delay_alu instid0(VALU_DEP_1)
	v_and_b32_e32 v6, 7, v166
; %bb.1262:                             ;   in Loop: Header=BB262_934 Depth=1
	s_or_b32 exec_lo, exec_lo, s16
	v_lshlrev_b32_e32 v17, 24, v165
	s_delay_alu instid0(VALU_DEP_2) | instskip(SKIP_1) | instid1(VALU_DEP_3)
	v_lshlrev_b32_e32 v6, 20, v6
	v_lshl_add_u32 v16, v16, 23, 0x3c000000
	v_and_b32_e32 v17, 0x80000000, v17
	s_delay_alu instid0(VALU_DEP_1) | instskip(NEXT) | instid1(VALU_DEP_1)
	v_or3_b32 v6, v6, v17, v16
	v_dual_mov_b32 v17, v7 :: v_dual_mov_b32 v16, v6
.LBB262_1263:                           ;   in Loop: Header=BB262_934 Depth=1
	s_or_b32 exec_lo, exec_lo, s15
.LBB262_1264:                           ;   in Loop: Header=BB262_934 Depth=1
	s_delay_alu instid0(SALU_CYCLE_1)
	s_or_b32 exec_lo, exec_lo, s13
.LBB262_1265:                           ;   in Loop: Header=BB262_934 Depth=1
	s_delay_alu instid0(SALU_CYCLE_1) | instskip(NEXT) | instid1(SALU_CYCLE_1)
	s_or_b32 exec_lo, exec_lo, s10
	s_mov_b32 s13, exec_lo
	v_cmpx_lt_u32_e32 0xffffff, v164
	s_cbranch_execz .LBB262_1273
; %bb.1266:                             ;   in Loop: Header=BB262_934 Depth=1
	v_lshrrev_b32_e32 v165, 24, v164
	v_dual_mov_b32 v19, s9 :: v_dual_mov_b32 v18, s8
	s_mov_b32 s15, exec_lo
	s_delay_alu instid0(VALU_DEP_2)
	v_cmpx_ne_u32_e32 0x80, v165
	s_cbranch_execz .LBB262_1272
; %bb.1267:                             ;   in Loop: Header=BB262_934 Depth=1
	s_mov_b32 s10, s8
	v_bfe_u32 v164, v164, 24, 7
	v_dual_mov_b32 v19, s11 :: v_dual_mov_b32 v18, s10
	s_mov_b32 s10, exec_lo
	s_delay_alu instid0(VALU_DEP_2)
	v_cmpx_ne_u32_e32 0x7f, v164
	s_cbranch_execz .LBB262_1271
; %bb.1268:                             ;   in Loop: Header=BB262_934 Depth=1
	v_and_b32_e32 v6, 7, v165
	v_lshrrev_b32_e32 v18, 3, v164
	s_mov_b32 s16, exec_lo
	v_cmpx_gt_u32_e32 8, v164
; %bb.1269:                             ;   in Loop: Header=BB262_934 Depth=1
	s_delay_alu instid0(VALU_DEP_3) | instskip(NEXT) | instid1(VALU_DEP_1)
	v_clz_i32_u32_e32 v18, v6
	v_min_u32_e32 v18, 32, v18
	s_delay_alu instid0(VALU_DEP_1) | instskip(SKIP_1) | instid1(VALU_DEP_2)
	v_subrev_nc_u32_e32 v19, 28, v18
	v_sub_nc_u32_e32 v18, 29, v18
	v_lshlrev_b64 v[166:167], v19, v[6:7]
	s_delay_alu instid0(VALU_DEP_1)
	v_and_b32_e32 v6, 7, v166
; %bb.1270:                             ;   in Loop: Header=BB262_934 Depth=1
	s_or_b32 exec_lo, exec_lo, s16
	v_lshlrev_b32_e32 v19, 24, v165
	s_delay_alu instid0(VALU_DEP_2) | instskip(SKIP_1) | instid1(VALU_DEP_3)
	v_lshlrev_b32_e32 v6, 20, v6
	v_lshl_add_u32 v18, v18, 23, 0x3c000000
	v_and_b32_e32 v19, 0x80000000, v19
	s_delay_alu instid0(VALU_DEP_1)
	v_or3_b32 v19, v6, v19, v18
	v_mov_b32_e32 v18, v7
.LBB262_1271:                           ;   in Loop: Header=BB262_934 Depth=1
	s_or_b32 exec_lo, exec_lo, s10
.LBB262_1272:                           ;   in Loop: Header=BB262_934 Depth=1
	s_delay_alu instid0(SALU_CYCLE_1)
	s_or_b32 exec_lo, exec_lo, s15
.LBB262_1273:                           ;   in Loop: Header=BB262_934 Depth=1
	s_delay_alu instid0(SALU_CYCLE_1) | instskip(SKIP_4) | instid1(VALU_DEP_4)
	s_or_b32 exec_lo, exec_lo, s13
	v_or_b32_e32 v5, v15, v5
	v_or_b32_e32 v4, v14, v4
	;; [unrolled: 1-line block ×4, first 2 shown]
	v_mul_f32_e32 v167, v83, v5
	s_delay_alu instid0(VALU_DEP_4) | instskip(NEXT) | instid1(VALU_DEP_4)
	v_mul_f32_e32 v166, v83, v4
	v_mul_f32_e32 v164, v83, v6
	s_delay_alu instid0(VALU_DEP_4)
	v_mul_f32_e32 v165, v83, v14
	s_and_saveexec_b32 s10, vcc_lo
; %bb.1274:                             ;   in Loop: Header=BB262_934 Depth=1
	v_cmp_lt_i32_e64 s0, v96, v22
	s_delay_alu instid0(VALU_DEP_1) | instskip(SKIP_1) | instid1(VALU_DEP_1)
	v_cndmask_b32_e64 v166, 0, v166, s0
	v_cmp_lt_i32_e64 s0, v99, v22
	v_cndmask_b32_e64 v167, 0, v167, s0
	v_cmp_lt_i32_e64 s0, v98, v22
	s_delay_alu instid0(VALU_DEP_1) | instskip(SKIP_1) | instid1(VALU_DEP_1)
	v_cndmask_b32_e64 v165, 0, v165, s0
	v_cmp_lt_i32_e64 s0, v97, v22
	v_cndmask_b32_e64 v164, 0, v164, s0
; %bb.1275:                             ;   in Loop: Header=BB262_934 Depth=1
	s_or_b32 exec_lo, exec_lo, s10
	flat_load_b32 v176, v[12:13] offset:1280
	v_mov_b32_e32 v14, 0
	v_mov_b32_e32 v15, 0
	s_mov_b32 s10, exec_lo
	s_waitcnt vmcnt(0) lgkmcnt(0)
	v_and_b32_e32 v6, 0xff, v176
	s_delay_alu instid0(VALU_DEP_2) | instskip(NEXT) | instid1(VALU_DEP_2)
	v_dual_mov_b32 v4, v14 :: v_dual_mov_b32 v5, v15
	v_cmpx_ne_u16_e32 0, v6
	s_cbranch_execz .LBB262_1283
; %bb.1276:                             ;   in Loop: Header=BB262_934 Depth=1
	v_bfrev_b32_e32 v4, 1
	v_mov_b32_e32 v5, 0
	s_mov_b32 s13, exec_lo
	v_cmpx_ne_u16_e32 0x80, v6
	s_cbranch_execz .LBB262_1282
; %bb.1277:                             ;   in Loop: Header=BB262_934 Depth=1
	v_mov_b32_e32 v4, 0x7f800001
	v_dual_mov_b32 v5, 0 :: v_dual_and_b32 v16, 0x7f, v176
	s_mov_b32 s15, exec_lo
	s_delay_alu instid0(VALU_DEP_1)
	v_cmpx_ne_u32_e32 0x7f, v16
	s_cbranch_execz .LBB262_1281
; %bb.1278:                             ;   in Loop: Header=BB262_934 Depth=1
	v_and_b32_e32 v6, 7, v176
	v_lshrrev_b32_e32 v4, 3, v16
	s_mov_b32 s16, exec_lo
	v_cmpx_gt_u32_e32 8, v16
; %bb.1279:                             ;   in Loop: Header=BB262_934 Depth=1
	s_delay_alu instid0(VALU_DEP_3) | instskip(NEXT) | instid1(VALU_DEP_1)
	v_clz_i32_u32_e32 v4, v6
	v_min_u32_e32 v4, 32, v4
	s_delay_alu instid0(VALU_DEP_1) | instskip(SKIP_1) | instid1(VALU_DEP_2)
	v_subrev_nc_u32_e32 v5, 28, v4
	v_sub_nc_u32_e32 v4, 29, v4
	v_lshlrev_b64 v[5:6], v5, v[6:7]
	s_delay_alu instid0(VALU_DEP_1)
	v_and_b32_e32 v6, 7, v5
; %bb.1280:                             ;   in Loop: Header=BB262_934 Depth=1
	s_or_b32 exec_lo, exec_lo, s16
	v_lshlrev_b32_e32 v5, 24, v176
	s_delay_alu instid0(VALU_DEP_2) | instskip(SKIP_1) | instid1(VALU_DEP_3)
	v_lshlrev_b32_e32 v6, 20, v6
	v_lshl_add_u32 v4, v4, 23, 0x3c000000
	v_and_b32_e32 v5, 0x80000000, v5
	s_delay_alu instid0(VALU_DEP_1) | instskip(NEXT) | instid1(VALU_DEP_1)
	v_or3_b32 v6, v6, v5, v4
	v_dual_mov_b32 v4, v6 :: v_dual_mov_b32 v5, v7
.LBB262_1281:                           ;   in Loop: Header=BB262_934 Depth=1
	s_or_b32 exec_lo, exec_lo, s15
.LBB262_1282:                           ;   in Loop: Header=BB262_934 Depth=1
	s_delay_alu instid0(SALU_CYCLE_1)
	s_or_b32 exec_lo, exec_lo, s13
.LBB262_1283:                           ;   in Loop: Header=BB262_934 Depth=1
	s_delay_alu instid0(SALU_CYCLE_1) | instskip(SKIP_2) | instid1(VALU_DEP_1)
	s_or_b32 exec_lo, exec_lo, s10
	v_lshrrev_b16 v6, 8, v176
	s_mov_b32 s13, exec_lo
	v_cmpx_ne_u16_e32 0, v6
	s_cbranch_execz .LBB262_1291
; %bb.1284:                             ;   in Loop: Header=BB262_934 Depth=1
	v_dual_mov_b32 v15, s9 :: v_dual_mov_b32 v14, s8
	s_mov_b32 s15, exec_lo
	v_cmpx_ne_u16_e32 0x80, v6
	s_cbranch_execz .LBB262_1290
; %bb.1285:                             ;   in Loop: Header=BB262_934 Depth=1
	s_mov_b32 s10, s8
	v_dual_mov_b32 v15, s11 :: v_dual_and_b32 v6, 0xffff, v6
	v_mov_b32_e32 v14, s10
	s_mov_b32 s10, exec_lo
	s_delay_alu instid0(VALU_DEP_2) | instskip(NEXT) | instid1(VALU_DEP_1)
	v_and_b32_e32 v16, 0x7f, v6
	v_cmpx_ne_u32_e32 0x7f, v16
	s_cbranch_execz .LBB262_1289
; %bb.1286:                             ;   in Loop: Header=BB262_934 Depth=1
	v_and_b32_e32 v6, 7, v6
	v_lshrrev_b32_e32 v14, 3, v16
	s_mov_b32 s16, exec_lo
	v_cmpx_gt_u32_e32 8, v16
; %bb.1287:                             ;   in Loop: Header=BB262_934 Depth=1
	s_delay_alu instid0(VALU_DEP_3) | instskip(NEXT) | instid1(VALU_DEP_1)
	v_clz_i32_u32_e32 v14, v6
	v_min_u32_e32 v14, 32, v14
	s_delay_alu instid0(VALU_DEP_1) | instskip(SKIP_1) | instid1(VALU_DEP_2)
	v_subrev_nc_u32_e32 v15, 28, v14
	v_sub_nc_u32_e32 v14, 29, v14
	v_lshlrev_b64 v[15:16], v15, v[6:7]
	s_delay_alu instid0(VALU_DEP_1)
	v_and_b32_e32 v6, 7, v15
; %bb.1288:                             ;   in Loop: Header=BB262_934 Depth=1
	s_or_b32 exec_lo, exec_lo, s16
	v_lshlrev_b32_e32 v15, 16, v176
	s_delay_alu instid0(VALU_DEP_2) | instskip(SKIP_1) | instid1(VALU_DEP_3)
	v_lshlrev_b32_e32 v6, 20, v6
	v_lshl_add_u32 v14, v14, 23, 0x3c000000
	v_and_b32_e32 v15, 0x80000000, v15
	s_delay_alu instid0(VALU_DEP_1)
	v_or3_b32 v15, v6, v15, v14
	v_mov_b32_e32 v14, v7
.LBB262_1289:                           ;   in Loop: Header=BB262_934 Depth=1
	s_or_b32 exec_lo, exec_lo, s10
.LBB262_1290:                           ;   in Loop: Header=BB262_934 Depth=1
	s_delay_alu instid0(SALU_CYCLE_1)
	s_or_b32 exec_lo, exec_lo, s15
.LBB262_1291:                           ;   in Loop: Header=BB262_934 Depth=1
	s_delay_alu instid0(SALU_CYCLE_1) | instskip(SKIP_4) | instid1(VALU_DEP_2)
	s_or_b32 exec_lo, exec_lo, s13
	v_mov_b32_e32 v18, 0
	v_lshrrev_b32_e32 v177, 16, v176
	v_mov_b32_e32 v19, 0
	s_mov_b32 s10, exec_lo
	v_and_b32_e32 v6, 0xff, v177
	s_delay_alu instid0(VALU_DEP_2) | instskip(NEXT) | instid1(VALU_DEP_2)
	v_dual_mov_b32 v16, v18 :: v_dual_mov_b32 v17, v19
	v_cmpx_ne_u16_e32 0, v6
	s_cbranch_execz .LBB262_1299
; %bb.1292:                             ;   in Loop: Header=BB262_934 Depth=1
	v_bfrev_b32_e32 v16, 1
	v_mov_b32_e32 v17, 0
	s_mov_b32 s13, exec_lo
	v_cmpx_ne_u16_e32 0x80, v6
	s_cbranch_execz .LBB262_1298
; %bb.1293:                             ;   in Loop: Header=BB262_934 Depth=1
	v_mov_b32_e32 v16, 0x7f800001
	v_bfe_u32 v178, v176, 16, 7
	v_mov_b32_e32 v17, 0
	s_mov_b32 s15, exec_lo
	s_delay_alu instid0(VALU_DEP_2)
	v_cmpx_ne_u32_e32 0x7f, v178
	s_cbranch_execz .LBB262_1297
; %bb.1294:                             ;   in Loop: Header=BB262_934 Depth=1
	v_and_b32_e32 v6, 7, v177
	v_lshrrev_b32_e32 v16, 3, v178
	s_mov_b32 s16, exec_lo
	v_cmpx_gt_u32_e32 8, v178
; %bb.1295:                             ;   in Loop: Header=BB262_934 Depth=1
	s_delay_alu instid0(VALU_DEP_3) | instskip(NEXT) | instid1(VALU_DEP_1)
	v_clz_i32_u32_e32 v16, v6
	v_min_u32_e32 v16, 32, v16
	s_delay_alu instid0(VALU_DEP_1) | instskip(SKIP_1) | instid1(VALU_DEP_2)
	v_subrev_nc_u32_e32 v17, 28, v16
	v_sub_nc_u32_e32 v16, 29, v16
	v_lshlrev_b64 v[178:179], v17, v[6:7]
	s_delay_alu instid0(VALU_DEP_1)
	v_and_b32_e32 v6, 7, v178
; %bb.1296:                             ;   in Loop: Header=BB262_934 Depth=1
	s_or_b32 exec_lo, exec_lo, s16
	v_lshlrev_b32_e32 v17, 24, v177
	s_delay_alu instid0(VALU_DEP_2) | instskip(SKIP_1) | instid1(VALU_DEP_3)
	v_lshlrev_b32_e32 v6, 20, v6
	v_lshl_add_u32 v16, v16, 23, 0x3c000000
	v_and_b32_e32 v17, 0x80000000, v17
	s_delay_alu instid0(VALU_DEP_1) | instskip(NEXT) | instid1(VALU_DEP_1)
	v_or3_b32 v6, v6, v17, v16
	v_dual_mov_b32 v17, v7 :: v_dual_mov_b32 v16, v6
.LBB262_1297:                           ;   in Loop: Header=BB262_934 Depth=1
	s_or_b32 exec_lo, exec_lo, s15
.LBB262_1298:                           ;   in Loop: Header=BB262_934 Depth=1
	s_delay_alu instid0(SALU_CYCLE_1)
	s_or_b32 exec_lo, exec_lo, s13
.LBB262_1299:                           ;   in Loop: Header=BB262_934 Depth=1
	s_delay_alu instid0(SALU_CYCLE_1) | instskip(NEXT) | instid1(SALU_CYCLE_1)
	s_or_b32 exec_lo, exec_lo, s10
	s_mov_b32 s13, exec_lo
	v_cmpx_lt_u32_e32 0xffffff, v176
	s_cbranch_execz .LBB262_1307
; %bb.1300:                             ;   in Loop: Header=BB262_934 Depth=1
	v_lshrrev_b32_e32 v177, 24, v176
	v_dual_mov_b32 v19, s9 :: v_dual_mov_b32 v18, s8
	s_mov_b32 s15, exec_lo
	s_delay_alu instid0(VALU_DEP_2)
	v_cmpx_ne_u32_e32 0x80, v177
	s_cbranch_execz .LBB262_1306
; %bb.1301:                             ;   in Loop: Header=BB262_934 Depth=1
	s_mov_b32 s10, s8
	v_bfe_u32 v176, v176, 24, 7
	v_dual_mov_b32 v19, s11 :: v_dual_mov_b32 v18, s10
	s_mov_b32 s10, exec_lo
	s_delay_alu instid0(VALU_DEP_2)
	v_cmpx_ne_u32_e32 0x7f, v176
	s_cbranch_execz .LBB262_1305
; %bb.1302:                             ;   in Loop: Header=BB262_934 Depth=1
	v_and_b32_e32 v6, 7, v177
	v_lshrrev_b32_e32 v18, 3, v176
	s_mov_b32 s16, exec_lo
	v_cmpx_gt_u32_e32 8, v176
; %bb.1303:                             ;   in Loop: Header=BB262_934 Depth=1
	s_delay_alu instid0(VALU_DEP_3) | instskip(NEXT) | instid1(VALU_DEP_1)
	v_clz_i32_u32_e32 v18, v6
	v_min_u32_e32 v18, 32, v18
	s_delay_alu instid0(VALU_DEP_1) | instskip(SKIP_1) | instid1(VALU_DEP_2)
	v_subrev_nc_u32_e32 v19, 28, v18
	v_sub_nc_u32_e32 v18, 29, v18
	v_lshlrev_b64 v[178:179], v19, v[6:7]
	s_delay_alu instid0(VALU_DEP_1)
	v_and_b32_e32 v6, 7, v178
; %bb.1304:                             ;   in Loop: Header=BB262_934 Depth=1
	s_or_b32 exec_lo, exec_lo, s16
	v_lshlrev_b32_e32 v19, 24, v177
	s_delay_alu instid0(VALU_DEP_2) | instskip(SKIP_1) | instid1(VALU_DEP_3)
	v_lshlrev_b32_e32 v6, 20, v6
	v_lshl_add_u32 v18, v18, 23, 0x3c000000
	v_and_b32_e32 v19, 0x80000000, v19
	s_delay_alu instid0(VALU_DEP_1)
	v_or3_b32 v19, v6, v19, v18
	v_mov_b32_e32 v18, v7
.LBB262_1305:                           ;   in Loop: Header=BB262_934 Depth=1
	s_or_b32 exec_lo, exec_lo, s10
.LBB262_1306:                           ;   in Loop: Header=BB262_934 Depth=1
	s_delay_alu instid0(SALU_CYCLE_1)
	s_or_b32 exec_lo, exec_lo, s15
.LBB262_1307:                           ;   in Loop: Header=BB262_934 Depth=1
	s_delay_alu instid0(SALU_CYCLE_1) | instskip(SKIP_4) | instid1(VALU_DEP_4)
	s_or_b32 exec_lo, exec_lo, s13
	v_or_b32_e32 v5, v15, v5
	v_or_b32_e32 v4, v14, v4
	;; [unrolled: 1-line block ×4, first 2 shown]
	v_mul_f32_e32 v179, v83, v5
	s_delay_alu instid0(VALU_DEP_4) | instskip(NEXT) | instid1(VALU_DEP_4)
	v_mul_f32_e32 v178, v83, v4
	v_mul_f32_e32 v176, v83, v6
	s_delay_alu instid0(VALU_DEP_4)
	v_mul_f32_e32 v177, v83, v14
	s_and_saveexec_b32 s10, vcc_lo
; %bb.1308:                             ;   in Loop: Header=BB262_934 Depth=1
	v_cmp_lt_i32_e64 s0, v96, v22
	s_delay_alu instid0(VALU_DEP_1) | instskip(SKIP_1) | instid1(VALU_DEP_1)
	v_cndmask_b32_e64 v178, 0, v178, s0
	v_cmp_lt_i32_e64 s0, v99, v22
	v_cndmask_b32_e64 v179, 0, v179, s0
	v_cmp_lt_i32_e64 s0, v98, v22
	s_delay_alu instid0(VALU_DEP_1) | instskip(SKIP_1) | instid1(VALU_DEP_1)
	v_cndmask_b32_e64 v177, 0, v177, s0
	v_cmp_lt_i32_e64 s0, v97, v22
	v_cndmask_b32_e64 v176, 0, v176, s0
; %bb.1309:                             ;   in Loop: Header=BB262_934 Depth=1
	s_or_b32 exec_lo, exec_lo, s10
	flat_load_b32 v180, v[12:13] offset:1408
	v_mov_b32_e32 v14, 0
	v_mov_b32_e32 v15, 0
	s_mov_b32 s10, exec_lo
	s_waitcnt vmcnt(0) lgkmcnt(0)
	v_and_b32_e32 v6, 0xff, v180
	s_delay_alu instid0(VALU_DEP_2) | instskip(NEXT) | instid1(VALU_DEP_2)
	v_dual_mov_b32 v4, v14 :: v_dual_mov_b32 v5, v15
	v_cmpx_ne_u16_e32 0, v6
	s_cbranch_execz .LBB262_1317
; %bb.1310:                             ;   in Loop: Header=BB262_934 Depth=1
	v_bfrev_b32_e32 v4, 1
	v_mov_b32_e32 v5, 0
	s_mov_b32 s13, exec_lo
	v_cmpx_ne_u16_e32 0x80, v6
	s_cbranch_execz .LBB262_1316
; %bb.1311:                             ;   in Loop: Header=BB262_934 Depth=1
	v_mov_b32_e32 v4, 0x7f800001
	v_dual_mov_b32 v5, 0 :: v_dual_and_b32 v16, 0x7f, v180
	s_mov_b32 s15, exec_lo
	s_delay_alu instid0(VALU_DEP_1)
	v_cmpx_ne_u32_e32 0x7f, v16
	s_cbranch_execz .LBB262_1315
; %bb.1312:                             ;   in Loop: Header=BB262_934 Depth=1
	v_and_b32_e32 v6, 7, v180
	v_lshrrev_b32_e32 v4, 3, v16
	s_mov_b32 s16, exec_lo
	v_cmpx_gt_u32_e32 8, v16
; %bb.1313:                             ;   in Loop: Header=BB262_934 Depth=1
	s_delay_alu instid0(VALU_DEP_3) | instskip(NEXT) | instid1(VALU_DEP_1)
	v_clz_i32_u32_e32 v4, v6
	v_min_u32_e32 v4, 32, v4
	s_delay_alu instid0(VALU_DEP_1) | instskip(SKIP_1) | instid1(VALU_DEP_2)
	v_subrev_nc_u32_e32 v5, 28, v4
	v_sub_nc_u32_e32 v4, 29, v4
	v_lshlrev_b64 v[5:6], v5, v[6:7]
	s_delay_alu instid0(VALU_DEP_1)
	v_and_b32_e32 v6, 7, v5
; %bb.1314:                             ;   in Loop: Header=BB262_934 Depth=1
	s_or_b32 exec_lo, exec_lo, s16
	v_lshlrev_b32_e32 v5, 24, v180
	s_delay_alu instid0(VALU_DEP_2) | instskip(SKIP_1) | instid1(VALU_DEP_3)
	v_lshlrev_b32_e32 v6, 20, v6
	v_lshl_add_u32 v4, v4, 23, 0x3c000000
	v_and_b32_e32 v5, 0x80000000, v5
	s_delay_alu instid0(VALU_DEP_1) | instskip(NEXT) | instid1(VALU_DEP_1)
	v_or3_b32 v6, v6, v5, v4
	v_dual_mov_b32 v4, v6 :: v_dual_mov_b32 v5, v7
.LBB262_1315:                           ;   in Loop: Header=BB262_934 Depth=1
	s_or_b32 exec_lo, exec_lo, s15
.LBB262_1316:                           ;   in Loop: Header=BB262_934 Depth=1
	s_delay_alu instid0(SALU_CYCLE_1)
	s_or_b32 exec_lo, exec_lo, s13
.LBB262_1317:                           ;   in Loop: Header=BB262_934 Depth=1
	s_delay_alu instid0(SALU_CYCLE_1) | instskip(SKIP_2) | instid1(VALU_DEP_1)
	s_or_b32 exec_lo, exec_lo, s10
	v_lshrrev_b16 v6, 8, v180
	s_mov_b32 s13, exec_lo
	v_cmpx_ne_u16_e32 0, v6
	s_cbranch_execz .LBB262_1325
; %bb.1318:                             ;   in Loop: Header=BB262_934 Depth=1
	v_dual_mov_b32 v15, s9 :: v_dual_mov_b32 v14, s8
	s_mov_b32 s15, exec_lo
	v_cmpx_ne_u16_e32 0x80, v6
	s_cbranch_execz .LBB262_1324
; %bb.1319:                             ;   in Loop: Header=BB262_934 Depth=1
	s_mov_b32 s10, s8
	v_dual_mov_b32 v15, s11 :: v_dual_and_b32 v6, 0xffff, v6
	v_mov_b32_e32 v14, s10
	s_mov_b32 s10, exec_lo
	s_delay_alu instid0(VALU_DEP_2) | instskip(NEXT) | instid1(VALU_DEP_1)
	v_and_b32_e32 v16, 0x7f, v6
	v_cmpx_ne_u32_e32 0x7f, v16
	s_cbranch_execz .LBB262_1323
; %bb.1320:                             ;   in Loop: Header=BB262_934 Depth=1
	v_and_b32_e32 v6, 7, v6
	v_lshrrev_b32_e32 v14, 3, v16
	s_mov_b32 s16, exec_lo
	v_cmpx_gt_u32_e32 8, v16
; %bb.1321:                             ;   in Loop: Header=BB262_934 Depth=1
	s_delay_alu instid0(VALU_DEP_3) | instskip(NEXT) | instid1(VALU_DEP_1)
	v_clz_i32_u32_e32 v14, v6
	v_min_u32_e32 v14, 32, v14
	s_delay_alu instid0(VALU_DEP_1) | instskip(SKIP_1) | instid1(VALU_DEP_2)
	v_subrev_nc_u32_e32 v15, 28, v14
	v_sub_nc_u32_e32 v14, 29, v14
	v_lshlrev_b64 v[15:16], v15, v[6:7]
	s_delay_alu instid0(VALU_DEP_1)
	v_and_b32_e32 v6, 7, v15
; %bb.1322:                             ;   in Loop: Header=BB262_934 Depth=1
	s_or_b32 exec_lo, exec_lo, s16
	v_lshlrev_b32_e32 v15, 16, v180
	s_delay_alu instid0(VALU_DEP_2) | instskip(SKIP_1) | instid1(VALU_DEP_3)
	v_lshlrev_b32_e32 v6, 20, v6
	v_lshl_add_u32 v14, v14, 23, 0x3c000000
	v_and_b32_e32 v15, 0x80000000, v15
	s_delay_alu instid0(VALU_DEP_1)
	v_or3_b32 v15, v6, v15, v14
	v_mov_b32_e32 v14, v7
.LBB262_1323:                           ;   in Loop: Header=BB262_934 Depth=1
	s_or_b32 exec_lo, exec_lo, s10
.LBB262_1324:                           ;   in Loop: Header=BB262_934 Depth=1
	s_delay_alu instid0(SALU_CYCLE_1)
	s_or_b32 exec_lo, exec_lo, s15
.LBB262_1325:                           ;   in Loop: Header=BB262_934 Depth=1
	s_delay_alu instid0(SALU_CYCLE_1) | instskip(SKIP_4) | instid1(VALU_DEP_2)
	s_or_b32 exec_lo, exec_lo, s13
	v_mov_b32_e32 v18, 0
	v_lshrrev_b32_e32 v181, 16, v180
	v_mov_b32_e32 v19, 0
	s_mov_b32 s10, exec_lo
	v_and_b32_e32 v6, 0xff, v181
	s_delay_alu instid0(VALU_DEP_2) | instskip(NEXT) | instid1(VALU_DEP_2)
	v_dual_mov_b32 v16, v18 :: v_dual_mov_b32 v17, v19
	v_cmpx_ne_u16_e32 0, v6
	s_cbranch_execz .LBB262_1333
; %bb.1326:                             ;   in Loop: Header=BB262_934 Depth=1
	v_bfrev_b32_e32 v16, 1
	v_mov_b32_e32 v17, 0
	s_mov_b32 s13, exec_lo
	v_cmpx_ne_u16_e32 0x80, v6
	s_cbranch_execz .LBB262_1332
; %bb.1327:                             ;   in Loop: Header=BB262_934 Depth=1
	v_mov_b32_e32 v16, 0x7f800001
	v_bfe_u32 v182, v180, 16, 7
	v_mov_b32_e32 v17, 0
	s_mov_b32 s15, exec_lo
	s_delay_alu instid0(VALU_DEP_2)
	v_cmpx_ne_u32_e32 0x7f, v182
	s_cbranch_execz .LBB262_1331
; %bb.1328:                             ;   in Loop: Header=BB262_934 Depth=1
	v_and_b32_e32 v6, 7, v181
	v_lshrrev_b32_e32 v16, 3, v182
	s_mov_b32 s16, exec_lo
	v_cmpx_gt_u32_e32 8, v182
; %bb.1329:                             ;   in Loop: Header=BB262_934 Depth=1
	s_delay_alu instid0(VALU_DEP_3) | instskip(NEXT) | instid1(VALU_DEP_1)
	v_clz_i32_u32_e32 v16, v6
	v_min_u32_e32 v16, 32, v16
	s_delay_alu instid0(VALU_DEP_1) | instskip(SKIP_1) | instid1(VALU_DEP_2)
	v_subrev_nc_u32_e32 v17, 28, v16
	v_sub_nc_u32_e32 v16, 29, v16
	v_lshlrev_b64 v[182:183], v17, v[6:7]
	s_delay_alu instid0(VALU_DEP_1)
	v_and_b32_e32 v6, 7, v182
; %bb.1330:                             ;   in Loop: Header=BB262_934 Depth=1
	s_or_b32 exec_lo, exec_lo, s16
	v_lshlrev_b32_e32 v17, 24, v181
	s_delay_alu instid0(VALU_DEP_2) | instskip(SKIP_1) | instid1(VALU_DEP_3)
	v_lshlrev_b32_e32 v6, 20, v6
	v_lshl_add_u32 v16, v16, 23, 0x3c000000
	v_and_b32_e32 v17, 0x80000000, v17
	s_delay_alu instid0(VALU_DEP_1) | instskip(NEXT) | instid1(VALU_DEP_1)
	v_or3_b32 v6, v6, v17, v16
	v_dual_mov_b32 v17, v7 :: v_dual_mov_b32 v16, v6
.LBB262_1331:                           ;   in Loop: Header=BB262_934 Depth=1
	s_or_b32 exec_lo, exec_lo, s15
.LBB262_1332:                           ;   in Loop: Header=BB262_934 Depth=1
	s_delay_alu instid0(SALU_CYCLE_1)
	s_or_b32 exec_lo, exec_lo, s13
.LBB262_1333:                           ;   in Loop: Header=BB262_934 Depth=1
	s_delay_alu instid0(SALU_CYCLE_1) | instskip(NEXT) | instid1(SALU_CYCLE_1)
	s_or_b32 exec_lo, exec_lo, s10
	s_mov_b32 s13, exec_lo
	v_cmpx_lt_u32_e32 0xffffff, v180
	s_cbranch_execz .LBB262_1341
; %bb.1334:                             ;   in Loop: Header=BB262_934 Depth=1
	v_lshrrev_b32_e32 v181, 24, v180
	v_dual_mov_b32 v19, s9 :: v_dual_mov_b32 v18, s8
	s_mov_b32 s15, exec_lo
	s_delay_alu instid0(VALU_DEP_2)
	v_cmpx_ne_u32_e32 0x80, v181
	s_cbranch_execz .LBB262_1340
; %bb.1335:                             ;   in Loop: Header=BB262_934 Depth=1
	s_mov_b32 s10, s8
	v_bfe_u32 v180, v180, 24, 7
	v_dual_mov_b32 v19, s11 :: v_dual_mov_b32 v18, s10
	s_mov_b32 s10, exec_lo
	s_delay_alu instid0(VALU_DEP_2)
	v_cmpx_ne_u32_e32 0x7f, v180
	s_cbranch_execz .LBB262_1339
; %bb.1336:                             ;   in Loop: Header=BB262_934 Depth=1
	v_and_b32_e32 v6, 7, v181
	v_lshrrev_b32_e32 v18, 3, v180
	s_mov_b32 s16, exec_lo
	v_cmpx_gt_u32_e32 8, v180
; %bb.1337:                             ;   in Loop: Header=BB262_934 Depth=1
	s_delay_alu instid0(VALU_DEP_3) | instskip(NEXT) | instid1(VALU_DEP_1)
	v_clz_i32_u32_e32 v18, v6
	v_min_u32_e32 v18, 32, v18
	s_delay_alu instid0(VALU_DEP_1) | instskip(SKIP_1) | instid1(VALU_DEP_2)
	v_subrev_nc_u32_e32 v19, 28, v18
	v_sub_nc_u32_e32 v18, 29, v18
	v_lshlrev_b64 v[182:183], v19, v[6:7]
	s_delay_alu instid0(VALU_DEP_1)
	v_and_b32_e32 v6, 7, v182
; %bb.1338:                             ;   in Loop: Header=BB262_934 Depth=1
	s_or_b32 exec_lo, exec_lo, s16
	v_lshlrev_b32_e32 v19, 24, v181
	s_delay_alu instid0(VALU_DEP_2) | instskip(SKIP_1) | instid1(VALU_DEP_3)
	v_lshlrev_b32_e32 v6, 20, v6
	v_lshl_add_u32 v18, v18, 23, 0x3c000000
	v_and_b32_e32 v19, 0x80000000, v19
	s_delay_alu instid0(VALU_DEP_1)
	v_or3_b32 v19, v6, v19, v18
	v_mov_b32_e32 v18, v7
.LBB262_1339:                           ;   in Loop: Header=BB262_934 Depth=1
	s_or_b32 exec_lo, exec_lo, s10
.LBB262_1340:                           ;   in Loop: Header=BB262_934 Depth=1
	s_delay_alu instid0(SALU_CYCLE_1)
	s_or_b32 exec_lo, exec_lo, s15
.LBB262_1341:                           ;   in Loop: Header=BB262_934 Depth=1
	s_delay_alu instid0(SALU_CYCLE_1) | instskip(SKIP_4) | instid1(VALU_DEP_4)
	s_or_b32 exec_lo, exec_lo, s13
	v_or_b32_e32 v5, v15, v5
	v_or_b32_e32 v4, v14, v4
	;; [unrolled: 1-line block ×4, first 2 shown]
	v_mul_f32_e32 v183, v83, v5
	s_delay_alu instid0(VALU_DEP_4) | instskip(NEXT) | instid1(VALU_DEP_4)
	v_mul_f32_e32 v182, v83, v4
	v_mul_f32_e32 v180, v83, v6
	s_delay_alu instid0(VALU_DEP_4)
	v_mul_f32_e32 v181, v83, v14
	s_and_saveexec_b32 s10, vcc_lo
; %bb.1342:                             ;   in Loop: Header=BB262_934 Depth=1
	v_cmp_lt_i32_e64 s0, v96, v22
	s_delay_alu instid0(VALU_DEP_1) | instskip(SKIP_1) | instid1(VALU_DEP_1)
	v_cndmask_b32_e64 v182, 0, v182, s0
	v_cmp_lt_i32_e64 s0, v99, v22
	v_cndmask_b32_e64 v183, 0, v183, s0
	v_cmp_lt_i32_e64 s0, v98, v22
	s_delay_alu instid0(VALU_DEP_1) | instskip(SKIP_1) | instid1(VALU_DEP_1)
	v_cndmask_b32_e64 v181, 0, v181, s0
	v_cmp_lt_i32_e64 s0, v97, v22
	v_cndmask_b32_e64 v180, 0, v180, s0
; %bb.1343:                             ;   in Loop: Header=BB262_934 Depth=1
	s_or_b32 exec_lo, exec_lo, s10
	flat_load_b32 v40, v[12:13] offset:1536
	v_mov_b32_e32 v14, 0
	v_mov_b32_e32 v15, 0
	s_mov_b32 s10, exec_lo
	s_waitcnt vmcnt(0) lgkmcnt(0)
	v_and_b32_e32 v6, 0xff, v40
	s_delay_alu instid0(VALU_DEP_2) | instskip(NEXT) | instid1(VALU_DEP_2)
	v_dual_mov_b32 v4, v14 :: v_dual_mov_b32 v5, v15
	v_cmpx_ne_u16_e32 0, v6
	s_cbranch_execz .LBB262_1351
; %bb.1344:                             ;   in Loop: Header=BB262_934 Depth=1
	v_bfrev_b32_e32 v4, 1
	v_mov_b32_e32 v5, 0
	s_mov_b32 s13, exec_lo
	v_cmpx_ne_u16_e32 0x80, v6
	s_cbranch_execz .LBB262_1350
; %bb.1345:                             ;   in Loop: Header=BB262_934 Depth=1
	v_mov_b32_e32 v4, 0x7f800001
	v_dual_mov_b32 v5, 0 :: v_dual_and_b32 v16, 0x7f, v40
	s_mov_b32 s15, exec_lo
	s_delay_alu instid0(VALU_DEP_1)
	v_cmpx_ne_u32_e32 0x7f, v16
	s_cbranch_execz .LBB262_1349
; %bb.1346:                             ;   in Loop: Header=BB262_934 Depth=1
	v_and_b32_e32 v6, 7, v40
	v_lshrrev_b32_e32 v4, 3, v16
	s_mov_b32 s16, exec_lo
	v_cmpx_gt_u32_e32 8, v16
; %bb.1347:                             ;   in Loop: Header=BB262_934 Depth=1
	s_delay_alu instid0(VALU_DEP_3) | instskip(NEXT) | instid1(VALU_DEP_1)
	v_clz_i32_u32_e32 v4, v6
	v_min_u32_e32 v4, 32, v4
	s_delay_alu instid0(VALU_DEP_1) | instskip(SKIP_1) | instid1(VALU_DEP_2)
	v_subrev_nc_u32_e32 v5, 28, v4
	v_sub_nc_u32_e32 v4, 29, v4
	v_lshlrev_b64 v[5:6], v5, v[6:7]
	s_delay_alu instid0(VALU_DEP_1)
	v_and_b32_e32 v6, 7, v5
; %bb.1348:                             ;   in Loop: Header=BB262_934 Depth=1
	s_or_b32 exec_lo, exec_lo, s16
	v_lshlrev_b32_e32 v5, 24, v40
	s_delay_alu instid0(VALU_DEP_2) | instskip(SKIP_1) | instid1(VALU_DEP_3)
	v_lshlrev_b32_e32 v6, 20, v6
	v_lshl_add_u32 v4, v4, 23, 0x3c000000
	v_and_b32_e32 v5, 0x80000000, v5
	s_delay_alu instid0(VALU_DEP_1) | instskip(NEXT) | instid1(VALU_DEP_1)
	v_or3_b32 v6, v6, v5, v4
	v_dual_mov_b32 v4, v6 :: v_dual_mov_b32 v5, v7
.LBB262_1349:                           ;   in Loop: Header=BB262_934 Depth=1
	s_or_b32 exec_lo, exec_lo, s15
.LBB262_1350:                           ;   in Loop: Header=BB262_934 Depth=1
	s_delay_alu instid0(SALU_CYCLE_1)
	s_or_b32 exec_lo, exec_lo, s13
.LBB262_1351:                           ;   in Loop: Header=BB262_934 Depth=1
	s_delay_alu instid0(SALU_CYCLE_1) | instskip(SKIP_2) | instid1(VALU_DEP_1)
	s_or_b32 exec_lo, exec_lo, s10
	v_lshrrev_b16 v6, 8, v40
	s_mov_b32 s13, exec_lo
	v_cmpx_ne_u16_e32 0, v6
	s_cbranch_execz .LBB262_1359
; %bb.1352:                             ;   in Loop: Header=BB262_934 Depth=1
	v_dual_mov_b32 v15, s9 :: v_dual_mov_b32 v14, s8
	s_mov_b32 s15, exec_lo
	v_cmpx_ne_u16_e32 0x80, v6
	s_cbranch_execz .LBB262_1358
; %bb.1353:                             ;   in Loop: Header=BB262_934 Depth=1
	s_mov_b32 s10, s8
	v_dual_mov_b32 v15, s11 :: v_dual_and_b32 v6, 0xffff, v6
	v_mov_b32_e32 v14, s10
	s_mov_b32 s10, exec_lo
	s_delay_alu instid0(VALU_DEP_2) | instskip(NEXT) | instid1(VALU_DEP_1)
	v_and_b32_e32 v16, 0x7f, v6
	v_cmpx_ne_u32_e32 0x7f, v16
	s_cbranch_execz .LBB262_1357
; %bb.1354:                             ;   in Loop: Header=BB262_934 Depth=1
	v_and_b32_e32 v6, 7, v6
	v_lshrrev_b32_e32 v14, 3, v16
	s_mov_b32 s16, exec_lo
	v_cmpx_gt_u32_e32 8, v16
; %bb.1355:                             ;   in Loop: Header=BB262_934 Depth=1
	s_delay_alu instid0(VALU_DEP_3) | instskip(NEXT) | instid1(VALU_DEP_1)
	v_clz_i32_u32_e32 v14, v6
	v_min_u32_e32 v14, 32, v14
	s_delay_alu instid0(VALU_DEP_1) | instskip(SKIP_1) | instid1(VALU_DEP_2)
	v_subrev_nc_u32_e32 v15, 28, v14
	v_sub_nc_u32_e32 v14, 29, v14
	v_lshlrev_b64 v[15:16], v15, v[6:7]
	s_delay_alu instid0(VALU_DEP_1)
	v_and_b32_e32 v6, 7, v15
; %bb.1356:                             ;   in Loop: Header=BB262_934 Depth=1
	s_or_b32 exec_lo, exec_lo, s16
	v_lshlrev_b32_e32 v15, 16, v40
	s_delay_alu instid0(VALU_DEP_2) | instskip(SKIP_1) | instid1(VALU_DEP_3)
	v_lshlrev_b32_e32 v6, 20, v6
	v_lshl_add_u32 v14, v14, 23, 0x3c000000
	v_and_b32_e32 v15, 0x80000000, v15
	s_delay_alu instid0(VALU_DEP_1)
	v_or3_b32 v15, v6, v15, v14
	v_mov_b32_e32 v14, v7
.LBB262_1357:                           ;   in Loop: Header=BB262_934 Depth=1
	s_or_b32 exec_lo, exec_lo, s10
.LBB262_1358:                           ;   in Loop: Header=BB262_934 Depth=1
	s_delay_alu instid0(SALU_CYCLE_1)
	s_or_b32 exec_lo, exec_lo, s15
.LBB262_1359:                           ;   in Loop: Header=BB262_934 Depth=1
	s_delay_alu instid0(SALU_CYCLE_1) | instskip(SKIP_4) | instid1(VALU_DEP_2)
	s_or_b32 exec_lo, exec_lo, s13
	v_mov_b32_e32 v18, 0
	v_lshrrev_b32_e32 v41, 16, v40
	v_mov_b32_e32 v19, 0
	s_mov_b32 s10, exec_lo
	v_and_b32_e32 v6, 0xff, v41
	s_delay_alu instid0(VALU_DEP_2) | instskip(NEXT) | instid1(VALU_DEP_2)
	v_dual_mov_b32 v16, v18 :: v_dual_mov_b32 v17, v19
	v_cmpx_ne_u16_e32 0, v6
	s_cbranch_execz .LBB262_1367
; %bb.1360:                             ;   in Loop: Header=BB262_934 Depth=1
	v_bfrev_b32_e32 v16, 1
	v_mov_b32_e32 v17, 0
	s_mov_b32 s13, exec_lo
	v_cmpx_ne_u16_e32 0x80, v6
	s_cbranch_execz .LBB262_1366
; %bb.1361:                             ;   in Loop: Header=BB262_934 Depth=1
	v_mov_b32_e32 v16, 0x7f800001
	v_bfe_u32 v42, v40, 16, 7
	v_mov_b32_e32 v17, 0
	s_mov_b32 s15, exec_lo
	s_delay_alu instid0(VALU_DEP_2)
	v_cmpx_ne_u32_e32 0x7f, v42
	s_cbranch_execz .LBB262_1365
; %bb.1362:                             ;   in Loop: Header=BB262_934 Depth=1
	v_and_b32_e32 v6, 7, v41
	v_lshrrev_b32_e32 v16, 3, v42
	s_mov_b32 s16, exec_lo
	v_cmpx_gt_u32_e32 8, v42
; %bb.1363:                             ;   in Loop: Header=BB262_934 Depth=1
	s_delay_alu instid0(VALU_DEP_3) | instskip(NEXT) | instid1(VALU_DEP_1)
	v_clz_i32_u32_e32 v16, v6
	v_min_u32_e32 v16, 32, v16
	s_delay_alu instid0(VALU_DEP_1) | instskip(SKIP_1) | instid1(VALU_DEP_2)
	v_subrev_nc_u32_e32 v17, 28, v16
	v_sub_nc_u32_e32 v16, 29, v16
	v_lshlrev_b64 v[42:43], v17, v[6:7]
	s_delay_alu instid0(VALU_DEP_1)
	v_and_b32_e32 v6, 7, v42
; %bb.1364:                             ;   in Loop: Header=BB262_934 Depth=1
	s_or_b32 exec_lo, exec_lo, s16
	v_lshlrev_b32_e32 v17, 24, v41
	s_delay_alu instid0(VALU_DEP_2) | instskip(SKIP_1) | instid1(VALU_DEP_3)
	v_lshlrev_b32_e32 v6, 20, v6
	v_lshl_add_u32 v16, v16, 23, 0x3c000000
	v_and_b32_e32 v17, 0x80000000, v17
	s_delay_alu instid0(VALU_DEP_1) | instskip(NEXT) | instid1(VALU_DEP_1)
	v_or3_b32 v6, v6, v17, v16
	v_dual_mov_b32 v17, v7 :: v_dual_mov_b32 v16, v6
.LBB262_1365:                           ;   in Loop: Header=BB262_934 Depth=1
	s_or_b32 exec_lo, exec_lo, s15
.LBB262_1366:                           ;   in Loop: Header=BB262_934 Depth=1
	s_delay_alu instid0(SALU_CYCLE_1)
	s_or_b32 exec_lo, exec_lo, s13
.LBB262_1367:                           ;   in Loop: Header=BB262_934 Depth=1
	s_delay_alu instid0(SALU_CYCLE_1) | instskip(NEXT) | instid1(SALU_CYCLE_1)
	s_or_b32 exec_lo, exec_lo, s10
	s_mov_b32 s13, exec_lo
	v_cmpx_lt_u32_e32 0xffffff, v40
	s_cbranch_execz .LBB262_1375
; %bb.1368:                             ;   in Loop: Header=BB262_934 Depth=1
	v_lshrrev_b32_e32 v41, 24, v40
	v_dual_mov_b32 v19, s9 :: v_dual_mov_b32 v18, s8
	s_mov_b32 s15, exec_lo
	s_delay_alu instid0(VALU_DEP_2)
	v_cmpx_ne_u32_e32 0x80, v41
	s_cbranch_execz .LBB262_1374
; %bb.1369:                             ;   in Loop: Header=BB262_934 Depth=1
	s_mov_b32 s10, s8
	v_bfe_u32 v40, v40, 24, 7
	v_dual_mov_b32 v19, s11 :: v_dual_mov_b32 v18, s10
	s_mov_b32 s10, exec_lo
	s_delay_alu instid0(VALU_DEP_2)
	v_cmpx_ne_u32_e32 0x7f, v40
	s_cbranch_execz .LBB262_1373
; %bb.1370:                             ;   in Loop: Header=BB262_934 Depth=1
	v_and_b32_e32 v6, 7, v41
	v_lshrrev_b32_e32 v18, 3, v40
	s_mov_b32 s16, exec_lo
	v_cmpx_gt_u32_e32 8, v40
; %bb.1371:                             ;   in Loop: Header=BB262_934 Depth=1
	s_delay_alu instid0(VALU_DEP_3) | instskip(NEXT) | instid1(VALU_DEP_1)
	v_clz_i32_u32_e32 v18, v6
	v_min_u32_e32 v18, 32, v18
	s_delay_alu instid0(VALU_DEP_1) | instskip(SKIP_1) | instid1(VALU_DEP_2)
	v_subrev_nc_u32_e32 v19, 28, v18
	v_sub_nc_u32_e32 v18, 29, v18
	v_lshlrev_b64 v[42:43], v19, v[6:7]
	s_delay_alu instid0(VALU_DEP_1)
	v_and_b32_e32 v6, 7, v42
; %bb.1372:                             ;   in Loop: Header=BB262_934 Depth=1
	s_or_b32 exec_lo, exec_lo, s16
	v_lshlrev_b32_e32 v19, 24, v41
	s_delay_alu instid0(VALU_DEP_2) | instskip(SKIP_1) | instid1(VALU_DEP_3)
	v_lshlrev_b32_e32 v6, 20, v6
	v_lshl_add_u32 v18, v18, 23, 0x3c000000
	v_and_b32_e32 v19, 0x80000000, v19
	s_delay_alu instid0(VALU_DEP_1)
	v_or3_b32 v19, v6, v19, v18
	v_mov_b32_e32 v18, v7
.LBB262_1373:                           ;   in Loop: Header=BB262_934 Depth=1
	s_or_b32 exec_lo, exec_lo, s10
.LBB262_1374:                           ;   in Loop: Header=BB262_934 Depth=1
	s_delay_alu instid0(SALU_CYCLE_1)
	s_or_b32 exec_lo, exec_lo, s15
.LBB262_1375:                           ;   in Loop: Header=BB262_934 Depth=1
	s_delay_alu instid0(SALU_CYCLE_1) | instskip(SKIP_4) | instid1(VALU_DEP_4)
	s_or_b32 exec_lo, exec_lo, s13
	v_or_b32_e32 v5, v15, v5
	v_or_b32_e32 v4, v14, v4
	;; [unrolled: 1-line block ×4, first 2 shown]
	v_mul_f32_e32 v43, v83, v5
	s_delay_alu instid0(VALU_DEP_4) | instskip(NEXT) | instid1(VALU_DEP_4)
	v_mul_f32_e32 v42, v83, v4
	v_mul_f32_e32 v40, v83, v6
	s_delay_alu instid0(VALU_DEP_4)
	v_mul_f32_e32 v41, v83, v14
	s_and_saveexec_b32 s10, vcc_lo
; %bb.1376:                             ;   in Loop: Header=BB262_934 Depth=1
	v_cmp_lt_i32_e64 s0, v96, v22
	s_delay_alu instid0(VALU_DEP_1) | instskip(SKIP_1) | instid1(VALU_DEP_1)
	v_cndmask_b32_e64 v42, 0, v42, s0
	v_cmp_lt_i32_e64 s0, v99, v22
	v_cndmask_b32_e64 v43, 0, v43, s0
	v_cmp_lt_i32_e64 s0, v98, v22
	s_delay_alu instid0(VALU_DEP_1) | instskip(SKIP_1) | instid1(VALU_DEP_1)
	v_cndmask_b32_e64 v41, 0, v41, s0
	v_cmp_lt_i32_e64 s0, v97, v22
	v_cndmask_b32_e64 v40, 0, v40, s0
; %bb.1377:                             ;   in Loop: Header=BB262_934 Depth=1
	s_or_b32 exec_lo, exec_lo, s10
	flat_load_b32 v44, v[12:13] offset:1664
	v_mov_b32_e32 v14, 0
	v_mov_b32_e32 v15, 0
	s_mov_b32 s10, exec_lo
	s_waitcnt vmcnt(0) lgkmcnt(0)
	v_and_b32_e32 v6, 0xff, v44
	s_delay_alu instid0(VALU_DEP_2) | instskip(NEXT) | instid1(VALU_DEP_2)
	v_dual_mov_b32 v4, v14 :: v_dual_mov_b32 v5, v15
	v_cmpx_ne_u16_e32 0, v6
	s_cbranch_execz .LBB262_1385
; %bb.1378:                             ;   in Loop: Header=BB262_934 Depth=1
	v_bfrev_b32_e32 v4, 1
	v_mov_b32_e32 v5, 0
	s_mov_b32 s13, exec_lo
	v_cmpx_ne_u16_e32 0x80, v6
	s_cbranch_execz .LBB262_1384
; %bb.1379:                             ;   in Loop: Header=BB262_934 Depth=1
	v_mov_b32_e32 v4, 0x7f800001
	v_dual_mov_b32 v5, 0 :: v_dual_and_b32 v16, 0x7f, v44
	s_mov_b32 s15, exec_lo
	s_delay_alu instid0(VALU_DEP_1)
	v_cmpx_ne_u32_e32 0x7f, v16
	s_cbranch_execz .LBB262_1383
; %bb.1380:                             ;   in Loop: Header=BB262_934 Depth=1
	v_and_b32_e32 v6, 7, v44
	v_lshrrev_b32_e32 v4, 3, v16
	s_mov_b32 s16, exec_lo
	v_cmpx_gt_u32_e32 8, v16
; %bb.1381:                             ;   in Loop: Header=BB262_934 Depth=1
	s_delay_alu instid0(VALU_DEP_3) | instskip(NEXT) | instid1(VALU_DEP_1)
	v_clz_i32_u32_e32 v4, v6
	v_min_u32_e32 v4, 32, v4
	s_delay_alu instid0(VALU_DEP_1) | instskip(SKIP_1) | instid1(VALU_DEP_2)
	v_subrev_nc_u32_e32 v5, 28, v4
	v_sub_nc_u32_e32 v4, 29, v4
	v_lshlrev_b64 v[5:6], v5, v[6:7]
	s_delay_alu instid0(VALU_DEP_1)
	v_and_b32_e32 v6, 7, v5
; %bb.1382:                             ;   in Loop: Header=BB262_934 Depth=1
	s_or_b32 exec_lo, exec_lo, s16
	v_lshlrev_b32_e32 v5, 24, v44
	s_delay_alu instid0(VALU_DEP_2) | instskip(SKIP_1) | instid1(VALU_DEP_3)
	v_lshlrev_b32_e32 v6, 20, v6
	v_lshl_add_u32 v4, v4, 23, 0x3c000000
	v_and_b32_e32 v5, 0x80000000, v5
	s_delay_alu instid0(VALU_DEP_1) | instskip(NEXT) | instid1(VALU_DEP_1)
	v_or3_b32 v6, v6, v5, v4
	v_dual_mov_b32 v4, v6 :: v_dual_mov_b32 v5, v7
.LBB262_1383:                           ;   in Loop: Header=BB262_934 Depth=1
	s_or_b32 exec_lo, exec_lo, s15
.LBB262_1384:                           ;   in Loop: Header=BB262_934 Depth=1
	s_delay_alu instid0(SALU_CYCLE_1)
	s_or_b32 exec_lo, exec_lo, s13
.LBB262_1385:                           ;   in Loop: Header=BB262_934 Depth=1
	s_delay_alu instid0(SALU_CYCLE_1) | instskip(SKIP_2) | instid1(VALU_DEP_1)
	s_or_b32 exec_lo, exec_lo, s10
	v_lshrrev_b16 v6, 8, v44
	s_mov_b32 s13, exec_lo
	v_cmpx_ne_u16_e32 0, v6
	s_cbranch_execz .LBB262_1393
; %bb.1386:                             ;   in Loop: Header=BB262_934 Depth=1
	v_dual_mov_b32 v15, s9 :: v_dual_mov_b32 v14, s8
	s_mov_b32 s15, exec_lo
	v_cmpx_ne_u16_e32 0x80, v6
	s_cbranch_execz .LBB262_1392
; %bb.1387:                             ;   in Loop: Header=BB262_934 Depth=1
	s_mov_b32 s10, s8
	v_dual_mov_b32 v15, s11 :: v_dual_and_b32 v6, 0xffff, v6
	v_mov_b32_e32 v14, s10
	s_mov_b32 s10, exec_lo
	s_delay_alu instid0(VALU_DEP_2) | instskip(NEXT) | instid1(VALU_DEP_1)
	v_and_b32_e32 v16, 0x7f, v6
	v_cmpx_ne_u32_e32 0x7f, v16
	s_cbranch_execz .LBB262_1391
; %bb.1388:                             ;   in Loop: Header=BB262_934 Depth=1
	v_and_b32_e32 v6, 7, v6
	v_lshrrev_b32_e32 v14, 3, v16
	s_mov_b32 s16, exec_lo
	v_cmpx_gt_u32_e32 8, v16
; %bb.1389:                             ;   in Loop: Header=BB262_934 Depth=1
	s_delay_alu instid0(VALU_DEP_3) | instskip(NEXT) | instid1(VALU_DEP_1)
	v_clz_i32_u32_e32 v14, v6
	v_min_u32_e32 v14, 32, v14
	s_delay_alu instid0(VALU_DEP_1) | instskip(SKIP_1) | instid1(VALU_DEP_2)
	v_subrev_nc_u32_e32 v15, 28, v14
	v_sub_nc_u32_e32 v14, 29, v14
	v_lshlrev_b64 v[15:16], v15, v[6:7]
	s_delay_alu instid0(VALU_DEP_1)
	v_and_b32_e32 v6, 7, v15
; %bb.1390:                             ;   in Loop: Header=BB262_934 Depth=1
	s_or_b32 exec_lo, exec_lo, s16
	v_lshlrev_b32_e32 v15, 16, v44
	s_delay_alu instid0(VALU_DEP_2) | instskip(SKIP_1) | instid1(VALU_DEP_3)
	v_lshlrev_b32_e32 v6, 20, v6
	v_lshl_add_u32 v14, v14, 23, 0x3c000000
	v_and_b32_e32 v15, 0x80000000, v15
	s_delay_alu instid0(VALU_DEP_1)
	v_or3_b32 v15, v6, v15, v14
	v_mov_b32_e32 v14, v7
.LBB262_1391:                           ;   in Loop: Header=BB262_934 Depth=1
	s_or_b32 exec_lo, exec_lo, s10
.LBB262_1392:                           ;   in Loop: Header=BB262_934 Depth=1
	s_delay_alu instid0(SALU_CYCLE_1)
	s_or_b32 exec_lo, exec_lo, s15
.LBB262_1393:                           ;   in Loop: Header=BB262_934 Depth=1
	s_delay_alu instid0(SALU_CYCLE_1) | instskip(SKIP_4) | instid1(VALU_DEP_2)
	s_or_b32 exec_lo, exec_lo, s13
	v_mov_b32_e32 v18, 0
	v_lshrrev_b32_e32 v45, 16, v44
	v_mov_b32_e32 v19, 0
	s_mov_b32 s10, exec_lo
	v_and_b32_e32 v6, 0xff, v45
	s_delay_alu instid0(VALU_DEP_2) | instskip(NEXT) | instid1(VALU_DEP_2)
	v_dual_mov_b32 v16, v18 :: v_dual_mov_b32 v17, v19
	v_cmpx_ne_u16_e32 0, v6
	s_cbranch_execz .LBB262_1401
; %bb.1394:                             ;   in Loop: Header=BB262_934 Depth=1
	v_bfrev_b32_e32 v16, 1
	v_mov_b32_e32 v17, 0
	s_mov_b32 s13, exec_lo
	v_cmpx_ne_u16_e32 0x80, v6
	s_cbranch_execz .LBB262_1400
; %bb.1395:                             ;   in Loop: Header=BB262_934 Depth=1
	v_mov_b32_e32 v16, 0x7f800001
	v_bfe_u32 v46, v44, 16, 7
	v_mov_b32_e32 v17, 0
	s_mov_b32 s15, exec_lo
	s_delay_alu instid0(VALU_DEP_2)
	v_cmpx_ne_u32_e32 0x7f, v46
	s_cbranch_execz .LBB262_1399
; %bb.1396:                             ;   in Loop: Header=BB262_934 Depth=1
	v_and_b32_e32 v6, 7, v45
	v_lshrrev_b32_e32 v16, 3, v46
	s_mov_b32 s16, exec_lo
	v_cmpx_gt_u32_e32 8, v46
; %bb.1397:                             ;   in Loop: Header=BB262_934 Depth=1
	s_delay_alu instid0(VALU_DEP_3) | instskip(NEXT) | instid1(VALU_DEP_1)
	v_clz_i32_u32_e32 v16, v6
	v_min_u32_e32 v16, 32, v16
	s_delay_alu instid0(VALU_DEP_1) | instskip(SKIP_1) | instid1(VALU_DEP_2)
	v_subrev_nc_u32_e32 v17, 28, v16
	v_sub_nc_u32_e32 v16, 29, v16
	v_lshlrev_b64 v[46:47], v17, v[6:7]
	s_delay_alu instid0(VALU_DEP_1)
	v_and_b32_e32 v6, 7, v46
; %bb.1398:                             ;   in Loop: Header=BB262_934 Depth=1
	s_or_b32 exec_lo, exec_lo, s16
	v_lshlrev_b32_e32 v17, 24, v45
	s_delay_alu instid0(VALU_DEP_2) | instskip(SKIP_1) | instid1(VALU_DEP_3)
	v_lshlrev_b32_e32 v6, 20, v6
	v_lshl_add_u32 v16, v16, 23, 0x3c000000
	v_and_b32_e32 v17, 0x80000000, v17
	s_delay_alu instid0(VALU_DEP_1) | instskip(NEXT) | instid1(VALU_DEP_1)
	v_or3_b32 v6, v6, v17, v16
	v_dual_mov_b32 v17, v7 :: v_dual_mov_b32 v16, v6
.LBB262_1399:                           ;   in Loop: Header=BB262_934 Depth=1
	s_or_b32 exec_lo, exec_lo, s15
.LBB262_1400:                           ;   in Loop: Header=BB262_934 Depth=1
	s_delay_alu instid0(SALU_CYCLE_1)
	s_or_b32 exec_lo, exec_lo, s13
.LBB262_1401:                           ;   in Loop: Header=BB262_934 Depth=1
	s_delay_alu instid0(SALU_CYCLE_1) | instskip(NEXT) | instid1(SALU_CYCLE_1)
	s_or_b32 exec_lo, exec_lo, s10
	s_mov_b32 s13, exec_lo
	v_cmpx_lt_u32_e32 0xffffff, v44
	s_cbranch_execz .LBB262_1409
; %bb.1402:                             ;   in Loop: Header=BB262_934 Depth=1
	v_lshrrev_b32_e32 v45, 24, v44
	v_dual_mov_b32 v19, s9 :: v_dual_mov_b32 v18, s8
	s_mov_b32 s15, exec_lo
	s_delay_alu instid0(VALU_DEP_2)
	v_cmpx_ne_u32_e32 0x80, v45
	s_cbranch_execz .LBB262_1408
; %bb.1403:                             ;   in Loop: Header=BB262_934 Depth=1
	s_mov_b32 s10, s8
	v_bfe_u32 v44, v44, 24, 7
	v_dual_mov_b32 v19, s11 :: v_dual_mov_b32 v18, s10
	s_mov_b32 s10, exec_lo
	s_delay_alu instid0(VALU_DEP_2)
	v_cmpx_ne_u32_e32 0x7f, v44
	s_cbranch_execz .LBB262_1407
; %bb.1404:                             ;   in Loop: Header=BB262_934 Depth=1
	v_and_b32_e32 v6, 7, v45
	v_lshrrev_b32_e32 v18, 3, v44
	s_mov_b32 s16, exec_lo
	v_cmpx_gt_u32_e32 8, v44
; %bb.1405:                             ;   in Loop: Header=BB262_934 Depth=1
	s_delay_alu instid0(VALU_DEP_3) | instskip(NEXT) | instid1(VALU_DEP_1)
	v_clz_i32_u32_e32 v18, v6
	v_min_u32_e32 v18, 32, v18
	s_delay_alu instid0(VALU_DEP_1) | instskip(SKIP_1) | instid1(VALU_DEP_2)
	v_subrev_nc_u32_e32 v19, 28, v18
	v_sub_nc_u32_e32 v18, 29, v18
	v_lshlrev_b64 v[46:47], v19, v[6:7]
	s_delay_alu instid0(VALU_DEP_1)
	v_and_b32_e32 v6, 7, v46
; %bb.1406:                             ;   in Loop: Header=BB262_934 Depth=1
	s_or_b32 exec_lo, exec_lo, s16
	v_lshlrev_b32_e32 v19, 24, v45
	s_delay_alu instid0(VALU_DEP_2) | instskip(SKIP_1) | instid1(VALU_DEP_3)
	v_lshlrev_b32_e32 v6, 20, v6
	v_lshl_add_u32 v18, v18, 23, 0x3c000000
	v_and_b32_e32 v19, 0x80000000, v19
	s_delay_alu instid0(VALU_DEP_1)
	v_or3_b32 v19, v6, v19, v18
	v_mov_b32_e32 v18, v7
.LBB262_1407:                           ;   in Loop: Header=BB262_934 Depth=1
	s_or_b32 exec_lo, exec_lo, s10
.LBB262_1408:                           ;   in Loop: Header=BB262_934 Depth=1
	s_delay_alu instid0(SALU_CYCLE_1)
	s_or_b32 exec_lo, exec_lo, s15
.LBB262_1409:                           ;   in Loop: Header=BB262_934 Depth=1
	s_delay_alu instid0(SALU_CYCLE_1) | instskip(SKIP_4) | instid1(VALU_DEP_4)
	s_or_b32 exec_lo, exec_lo, s13
	v_or_b32_e32 v5, v15, v5
	v_or_b32_e32 v4, v14, v4
	;; [unrolled: 1-line block ×4, first 2 shown]
	v_mul_f32_e32 v47, v83, v5
	s_delay_alu instid0(VALU_DEP_4) | instskip(NEXT) | instid1(VALU_DEP_4)
	v_mul_f32_e32 v46, v83, v4
	v_mul_f32_e32 v44, v83, v6
	s_delay_alu instid0(VALU_DEP_4)
	v_mul_f32_e32 v45, v83, v14
	s_and_saveexec_b32 s10, vcc_lo
; %bb.1410:                             ;   in Loop: Header=BB262_934 Depth=1
	v_cmp_lt_i32_e64 s0, v96, v22
	s_delay_alu instid0(VALU_DEP_1) | instskip(SKIP_1) | instid1(VALU_DEP_1)
	v_cndmask_b32_e64 v46, 0, v46, s0
	v_cmp_lt_i32_e64 s0, v99, v22
	v_cndmask_b32_e64 v47, 0, v47, s0
	v_cmp_lt_i32_e64 s0, v98, v22
	s_delay_alu instid0(VALU_DEP_1) | instskip(SKIP_1) | instid1(VALU_DEP_1)
	v_cndmask_b32_e64 v45, 0, v45, s0
	v_cmp_lt_i32_e64 s0, v97, v22
	v_cndmask_b32_e64 v44, 0, v44, s0
; %bb.1411:                             ;   in Loop: Header=BB262_934 Depth=1
	s_or_b32 exec_lo, exec_lo, s10
	flat_load_b32 v56, v[12:13] offset:1792
	v_mov_b32_e32 v14, 0
	v_mov_b32_e32 v15, 0
	s_mov_b32 s10, exec_lo
	s_waitcnt vmcnt(0) lgkmcnt(0)
	v_and_b32_e32 v6, 0xff, v56
	s_delay_alu instid0(VALU_DEP_2) | instskip(NEXT) | instid1(VALU_DEP_2)
	v_dual_mov_b32 v4, v14 :: v_dual_mov_b32 v5, v15
	v_cmpx_ne_u16_e32 0, v6
	s_cbranch_execz .LBB262_1419
; %bb.1412:                             ;   in Loop: Header=BB262_934 Depth=1
	v_bfrev_b32_e32 v4, 1
	v_mov_b32_e32 v5, 0
	s_mov_b32 s13, exec_lo
	v_cmpx_ne_u16_e32 0x80, v6
	s_cbranch_execz .LBB262_1418
; %bb.1413:                             ;   in Loop: Header=BB262_934 Depth=1
	v_mov_b32_e32 v4, 0x7f800001
	v_dual_mov_b32 v5, 0 :: v_dual_and_b32 v16, 0x7f, v56
	s_mov_b32 s15, exec_lo
	s_delay_alu instid0(VALU_DEP_1)
	v_cmpx_ne_u32_e32 0x7f, v16
	s_cbranch_execz .LBB262_1417
; %bb.1414:                             ;   in Loop: Header=BB262_934 Depth=1
	v_and_b32_e32 v6, 7, v56
	v_lshrrev_b32_e32 v4, 3, v16
	s_mov_b32 s16, exec_lo
	v_cmpx_gt_u32_e32 8, v16
; %bb.1415:                             ;   in Loop: Header=BB262_934 Depth=1
	s_delay_alu instid0(VALU_DEP_3) | instskip(NEXT) | instid1(VALU_DEP_1)
	v_clz_i32_u32_e32 v4, v6
	v_min_u32_e32 v4, 32, v4
	s_delay_alu instid0(VALU_DEP_1) | instskip(SKIP_1) | instid1(VALU_DEP_2)
	v_subrev_nc_u32_e32 v5, 28, v4
	v_sub_nc_u32_e32 v4, 29, v4
	v_lshlrev_b64 v[5:6], v5, v[6:7]
	s_delay_alu instid0(VALU_DEP_1)
	v_and_b32_e32 v6, 7, v5
; %bb.1416:                             ;   in Loop: Header=BB262_934 Depth=1
	s_or_b32 exec_lo, exec_lo, s16
	v_lshlrev_b32_e32 v5, 24, v56
	s_delay_alu instid0(VALU_DEP_2) | instskip(SKIP_1) | instid1(VALU_DEP_3)
	v_lshlrev_b32_e32 v6, 20, v6
	v_lshl_add_u32 v4, v4, 23, 0x3c000000
	v_and_b32_e32 v5, 0x80000000, v5
	s_delay_alu instid0(VALU_DEP_1) | instskip(NEXT) | instid1(VALU_DEP_1)
	v_or3_b32 v6, v6, v5, v4
	v_dual_mov_b32 v4, v6 :: v_dual_mov_b32 v5, v7
.LBB262_1417:                           ;   in Loop: Header=BB262_934 Depth=1
	s_or_b32 exec_lo, exec_lo, s15
.LBB262_1418:                           ;   in Loop: Header=BB262_934 Depth=1
	s_delay_alu instid0(SALU_CYCLE_1)
	s_or_b32 exec_lo, exec_lo, s13
.LBB262_1419:                           ;   in Loop: Header=BB262_934 Depth=1
	s_delay_alu instid0(SALU_CYCLE_1) | instskip(SKIP_2) | instid1(VALU_DEP_1)
	s_or_b32 exec_lo, exec_lo, s10
	v_lshrrev_b16 v6, 8, v56
	s_mov_b32 s13, exec_lo
	v_cmpx_ne_u16_e32 0, v6
	s_cbranch_execz .LBB262_1427
; %bb.1420:                             ;   in Loop: Header=BB262_934 Depth=1
	v_dual_mov_b32 v15, s9 :: v_dual_mov_b32 v14, s8
	s_mov_b32 s15, exec_lo
	v_cmpx_ne_u16_e32 0x80, v6
	s_cbranch_execz .LBB262_1426
; %bb.1421:                             ;   in Loop: Header=BB262_934 Depth=1
	s_mov_b32 s10, s8
	v_dual_mov_b32 v15, s11 :: v_dual_and_b32 v6, 0xffff, v6
	v_mov_b32_e32 v14, s10
	s_mov_b32 s10, exec_lo
	s_delay_alu instid0(VALU_DEP_2) | instskip(NEXT) | instid1(VALU_DEP_1)
	v_and_b32_e32 v16, 0x7f, v6
	v_cmpx_ne_u32_e32 0x7f, v16
	s_cbranch_execz .LBB262_1425
; %bb.1422:                             ;   in Loop: Header=BB262_934 Depth=1
	v_and_b32_e32 v6, 7, v6
	v_lshrrev_b32_e32 v14, 3, v16
	s_mov_b32 s16, exec_lo
	v_cmpx_gt_u32_e32 8, v16
; %bb.1423:                             ;   in Loop: Header=BB262_934 Depth=1
	s_delay_alu instid0(VALU_DEP_3) | instskip(NEXT) | instid1(VALU_DEP_1)
	v_clz_i32_u32_e32 v14, v6
	v_min_u32_e32 v14, 32, v14
	s_delay_alu instid0(VALU_DEP_1) | instskip(SKIP_1) | instid1(VALU_DEP_2)
	v_subrev_nc_u32_e32 v15, 28, v14
	v_sub_nc_u32_e32 v14, 29, v14
	v_lshlrev_b64 v[15:16], v15, v[6:7]
	s_delay_alu instid0(VALU_DEP_1)
	v_and_b32_e32 v6, 7, v15
; %bb.1424:                             ;   in Loop: Header=BB262_934 Depth=1
	s_or_b32 exec_lo, exec_lo, s16
	v_lshlrev_b32_e32 v15, 16, v56
	s_delay_alu instid0(VALU_DEP_2) | instskip(SKIP_1) | instid1(VALU_DEP_3)
	v_lshlrev_b32_e32 v6, 20, v6
	v_lshl_add_u32 v14, v14, 23, 0x3c000000
	v_and_b32_e32 v15, 0x80000000, v15
	s_delay_alu instid0(VALU_DEP_1)
	v_or3_b32 v15, v6, v15, v14
	v_mov_b32_e32 v14, v7
.LBB262_1425:                           ;   in Loop: Header=BB262_934 Depth=1
	s_or_b32 exec_lo, exec_lo, s10
.LBB262_1426:                           ;   in Loop: Header=BB262_934 Depth=1
	s_delay_alu instid0(SALU_CYCLE_1)
	s_or_b32 exec_lo, exec_lo, s15
.LBB262_1427:                           ;   in Loop: Header=BB262_934 Depth=1
	s_delay_alu instid0(SALU_CYCLE_1) | instskip(SKIP_4) | instid1(VALU_DEP_2)
	s_or_b32 exec_lo, exec_lo, s13
	v_mov_b32_e32 v18, 0
	v_lshrrev_b32_e32 v57, 16, v56
	v_mov_b32_e32 v19, 0
	s_mov_b32 s10, exec_lo
	v_and_b32_e32 v6, 0xff, v57
	s_delay_alu instid0(VALU_DEP_2) | instskip(NEXT) | instid1(VALU_DEP_2)
	v_dual_mov_b32 v16, v18 :: v_dual_mov_b32 v17, v19
	v_cmpx_ne_u16_e32 0, v6
	s_cbranch_execz .LBB262_1435
; %bb.1428:                             ;   in Loop: Header=BB262_934 Depth=1
	v_bfrev_b32_e32 v16, 1
	v_mov_b32_e32 v17, 0
	s_mov_b32 s13, exec_lo
	v_cmpx_ne_u16_e32 0x80, v6
	s_cbranch_execz .LBB262_1434
; %bb.1429:                             ;   in Loop: Header=BB262_934 Depth=1
	v_mov_b32_e32 v16, 0x7f800001
	v_bfe_u32 v58, v56, 16, 7
	v_mov_b32_e32 v17, 0
	s_mov_b32 s15, exec_lo
	s_delay_alu instid0(VALU_DEP_2)
	v_cmpx_ne_u32_e32 0x7f, v58
	s_cbranch_execz .LBB262_1433
; %bb.1430:                             ;   in Loop: Header=BB262_934 Depth=1
	v_and_b32_e32 v6, 7, v57
	v_lshrrev_b32_e32 v16, 3, v58
	s_mov_b32 s16, exec_lo
	v_cmpx_gt_u32_e32 8, v58
; %bb.1431:                             ;   in Loop: Header=BB262_934 Depth=1
	s_delay_alu instid0(VALU_DEP_3) | instskip(NEXT) | instid1(VALU_DEP_1)
	v_clz_i32_u32_e32 v16, v6
	v_min_u32_e32 v16, 32, v16
	s_delay_alu instid0(VALU_DEP_1) | instskip(SKIP_1) | instid1(VALU_DEP_2)
	v_subrev_nc_u32_e32 v17, 28, v16
	v_sub_nc_u32_e32 v16, 29, v16
	v_lshlrev_b64 v[58:59], v17, v[6:7]
	s_delay_alu instid0(VALU_DEP_1)
	v_and_b32_e32 v6, 7, v58
; %bb.1432:                             ;   in Loop: Header=BB262_934 Depth=1
	s_or_b32 exec_lo, exec_lo, s16
	v_lshlrev_b32_e32 v17, 24, v57
	s_delay_alu instid0(VALU_DEP_2) | instskip(SKIP_1) | instid1(VALU_DEP_3)
	v_lshlrev_b32_e32 v6, 20, v6
	v_lshl_add_u32 v16, v16, 23, 0x3c000000
	v_and_b32_e32 v17, 0x80000000, v17
	s_delay_alu instid0(VALU_DEP_1) | instskip(NEXT) | instid1(VALU_DEP_1)
	v_or3_b32 v6, v6, v17, v16
	v_dual_mov_b32 v17, v7 :: v_dual_mov_b32 v16, v6
.LBB262_1433:                           ;   in Loop: Header=BB262_934 Depth=1
	s_or_b32 exec_lo, exec_lo, s15
.LBB262_1434:                           ;   in Loop: Header=BB262_934 Depth=1
	s_delay_alu instid0(SALU_CYCLE_1)
	s_or_b32 exec_lo, exec_lo, s13
.LBB262_1435:                           ;   in Loop: Header=BB262_934 Depth=1
	s_delay_alu instid0(SALU_CYCLE_1) | instskip(NEXT) | instid1(SALU_CYCLE_1)
	s_or_b32 exec_lo, exec_lo, s10
	s_mov_b32 s13, exec_lo
	v_cmpx_lt_u32_e32 0xffffff, v56
	s_cbranch_execz .LBB262_1443
; %bb.1436:                             ;   in Loop: Header=BB262_934 Depth=1
	v_lshrrev_b32_e32 v57, 24, v56
	v_dual_mov_b32 v19, s9 :: v_dual_mov_b32 v18, s8
	s_mov_b32 s15, exec_lo
	s_delay_alu instid0(VALU_DEP_2)
	v_cmpx_ne_u32_e32 0x80, v57
	s_cbranch_execz .LBB262_1442
; %bb.1437:                             ;   in Loop: Header=BB262_934 Depth=1
	s_mov_b32 s10, s8
	v_bfe_u32 v56, v56, 24, 7
	v_dual_mov_b32 v19, s11 :: v_dual_mov_b32 v18, s10
	s_mov_b32 s10, exec_lo
	s_delay_alu instid0(VALU_DEP_2)
	v_cmpx_ne_u32_e32 0x7f, v56
	s_cbranch_execz .LBB262_1441
; %bb.1438:                             ;   in Loop: Header=BB262_934 Depth=1
	v_and_b32_e32 v6, 7, v57
	v_lshrrev_b32_e32 v18, 3, v56
	s_mov_b32 s16, exec_lo
	v_cmpx_gt_u32_e32 8, v56
; %bb.1439:                             ;   in Loop: Header=BB262_934 Depth=1
	s_delay_alu instid0(VALU_DEP_3) | instskip(NEXT) | instid1(VALU_DEP_1)
	v_clz_i32_u32_e32 v18, v6
	v_min_u32_e32 v18, 32, v18
	s_delay_alu instid0(VALU_DEP_1) | instskip(SKIP_1) | instid1(VALU_DEP_2)
	v_subrev_nc_u32_e32 v19, 28, v18
	v_sub_nc_u32_e32 v18, 29, v18
	v_lshlrev_b64 v[58:59], v19, v[6:7]
	s_delay_alu instid0(VALU_DEP_1)
	v_and_b32_e32 v6, 7, v58
; %bb.1440:                             ;   in Loop: Header=BB262_934 Depth=1
	s_or_b32 exec_lo, exec_lo, s16
	v_lshlrev_b32_e32 v19, 24, v57
	s_delay_alu instid0(VALU_DEP_2) | instskip(SKIP_1) | instid1(VALU_DEP_3)
	v_lshlrev_b32_e32 v6, 20, v6
	v_lshl_add_u32 v18, v18, 23, 0x3c000000
	v_and_b32_e32 v19, 0x80000000, v19
	s_delay_alu instid0(VALU_DEP_1)
	v_or3_b32 v19, v6, v19, v18
	v_mov_b32_e32 v18, v7
.LBB262_1441:                           ;   in Loop: Header=BB262_934 Depth=1
	s_or_b32 exec_lo, exec_lo, s10
.LBB262_1442:                           ;   in Loop: Header=BB262_934 Depth=1
	s_delay_alu instid0(SALU_CYCLE_1)
	s_or_b32 exec_lo, exec_lo, s15
.LBB262_1443:                           ;   in Loop: Header=BB262_934 Depth=1
	s_delay_alu instid0(SALU_CYCLE_1) | instskip(SKIP_4) | instid1(VALU_DEP_4)
	s_or_b32 exec_lo, exec_lo, s13
	v_or_b32_e32 v5, v15, v5
	v_or_b32_e32 v4, v14, v4
	;; [unrolled: 1-line block ×4, first 2 shown]
	v_mul_f32_e32 v59, v83, v5
	s_delay_alu instid0(VALU_DEP_4) | instskip(NEXT) | instid1(VALU_DEP_4)
	v_mul_f32_e32 v58, v83, v4
	v_mul_f32_e32 v56, v83, v6
	s_delay_alu instid0(VALU_DEP_4)
	v_mul_f32_e32 v57, v83, v14
	s_and_saveexec_b32 s10, vcc_lo
; %bb.1444:                             ;   in Loop: Header=BB262_934 Depth=1
	v_cmp_lt_i32_e64 s0, v96, v22
	s_delay_alu instid0(VALU_DEP_1) | instskip(SKIP_1) | instid1(VALU_DEP_1)
	v_cndmask_b32_e64 v58, 0, v58, s0
	v_cmp_lt_i32_e64 s0, v99, v22
	v_cndmask_b32_e64 v59, 0, v59, s0
	v_cmp_lt_i32_e64 s0, v98, v22
	s_delay_alu instid0(VALU_DEP_1) | instskip(SKIP_1) | instid1(VALU_DEP_1)
	v_cndmask_b32_e64 v57, 0, v57, s0
	v_cmp_lt_i32_e64 s0, v97, v22
	v_cndmask_b32_e64 v56, 0, v56, s0
; %bb.1445:                             ;   in Loop: Header=BB262_934 Depth=1
	s_or_b32 exec_lo, exec_lo, s10
	flat_load_b32 v60, v[12:13] offset:1920
	v_mov_b32_e32 v14, 0
	v_mov_b32_e32 v15, 0
	s_mov_b32 s10, exec_lo
	s_waitcnt vmcnt(0) lgkmcnt(0)
	v_and_b32_e32 v6, 0xff, v60
	s_delay_alu instid0(VALU_DEP_2) | instskip(NEXT) | instid1(VALU_DEP_2)
	v_dual_mov_b32 v4, v14 :: v_dual_mov_b32 v5, v15
	v_cmpx_ne_u16_e32 0, v6
	s_cbranch_execz .LBB262_1453
; %bb.1446:                             ;   in Loop: Header=BB262_934 Depth=1
	v_bfrev_b32_e32 v4, 1
	v_mov_b32_e32 v5, 0
	s_mov_b32 s13, exec_lo
	v_cmpx_ne_u16_e32 0x80, v6
	s_cbranch_execz .LBB262_1452
; %bb.1447:                             ;   in Loop: Header=BB262_934 Depth=1
	v_mov_b32_e32 v4, 0x7f800001
	v_dual_mov_b32 v5, 0 :: v_dual_and_b32 v16, 0x7f, v60
	s_mov_b32 s15, exec_lo
	s_delay_alu instid0(VALU_DEP_1)
	v_cmpx_ne_u32_e32 0x7f, v16
	s_cbranch_execz .LBB262_1451
; %bb.1448:                             ;   in Loop: Header=BB262_934 Depth=1
	v_and_b32_e32 v6, 7, v60
	v_lshrrev_b32_e32 v4, 3, v16
	s_mov_b32 s16, exec_lo
	v_cmpx_gt_u32_e32 8, v16
; %bb.1449:                             ;   in Loop: Header=BB262_934 Depth=1
	s_delay_alu instid0(VALU_DEP_3) | instskip(NEXT) | instid1(VALU_DEP_1)
	v_clz_i32_u32_e32 v4, v6
	v_min_u32_e32 v4, 32, v4
	s_delay_alu instid0(VALU_DEP_1) | instskip(SKIP_1) | instid1(VALU_DEP_2)
	v_subrev_nc_u32_e32 v5, 28, v4
	v_sub_nc_u32_e32 v4, 29, v4
	v_lshlrev_b64 v[5:6], v5, v[6:7]
	s_delay_alu instid0(VALU_DEP_1)
	v_and_b32_e32 v6, 7, v5
; %bb.1450:                             ;   in Loop: Header=BB262_934 Depth=1
	s_or_b32 exec_lo, exec_lo, s16
	v_lshlrev_b32_e32 v5, 24, v60
	s_delay_alu instid0(VALU_DEP_2) | instskip(SKIP_1) | instid1(VALU_DEP_3)
	v_lshlrev_b32_e32 v6, 20, v6
	v_lshl_add_u32 v4, v4, 23, 0x3c000000
	v_and_b32_e32 v5, 0x80000000, v5
	s_delay_alu instid0(VALU_DEP_1) | instskip(NEXT) | instid1(VALU_DEP_1)
	v_or3_b32 v6, v6, v5, v4
	v_dual_mov_b32 v4, v6 :: v_dual_mov_b32 v5, v7
.LBB262_1451:                           ;   in Loop: Header=BB262_934 Depth=1
	s_or_b32 exec_lo, exec_lo, s15
.LBB262_1452:                           ;   in Loop: Header=BB262_934 Depth=1
	s_delay_alu instid0(SALU_CYCLE_1)
	s_or_b32 exec_lo, exec_lo, s13
.LBB262_1453:                           ;   in Loop: Header=BB262_934 Depth=1
	s_delay_alu instid0(SALU_CYCLE_1) | instskip(SKIP_2) | instid1(VALU_DEP_1)
	s_or_b32 exec_lo, exec_lo, s10
	v_lshrrev_b16 v6, 8, v60
	s_mov_b32 s13, exec_lo
	v_cmpx_ne_u16_e32 0, v6
	s_cbranch_execz .LBB262_1461
; %bb.1454:                             ;   in Loop: Header=BB262_934 Depth=1
	v_dual_mov_b32 v15, s9 :: v_dual_mov_b32 v14, s8
	s_mov_b32 s15, exec_lo
	v_cmpx_ne_u16_e32 0x80, v6
	s_cbranch_execz .LBB262_1460
; %bb.1455:                             ;   in Loop: Header=BB262_934 Depth=1
	s_mov_b32 s10, s8
	v_dual_mov_b32 v15, s11 :: v_dual_and_b32 v6, 0xffff, v6
	v_mov_b32_e32 v14, s10
	s_mov_b32 s10, exec_lo
	s_delay_alu instid0(VALU_DEP_2) | instskip(NEXT) | instid1(VALU_DEP_1)
	v_and_b32_e32 v16, 0x7f, v6
	v_cmpx_ne_u32_e32 0x7f, v16
	s_cbranch_execz .LBB262_1459
; %bb.1456:                             ;   in Loop: Header=BB262_934 Depth=1
	v_and_b32_e32 v6, 7, v6
	v_lshrrev_b32_e32 v14, 3, v16
	s_mov_b32 s16, exec_lo
	v_cmpx_gt_u32_e32 8, v16
; %bb.1457:                             ;   in Loop: Header=BB262_934 Depth=1
	s_delay_alu instid0(VALU_DEP_3) | instskip(NEXT) | instid1(VALU_DEP_1)
	v_clz_i32_u32_e32 v14, v6
	v_min_u32_e32 v14, 32, v14
	s_delay_alu instid0(VALU_DEP_1) | instskip(SKIP_1) | instid1(VALU_DEP_2)
	v_subrev_nc_u32_e32 v15, 28, v14
	v_sub_nc_u32_e32 v14, 29, v14
	v_lshlrev_b64 v[15:16], v15, v[6:7]
	s_delay_alu instid0(VALU_DEP_1)
	v_and_b32_e32 v6, 7, v15
; %bb.1458:                             ;   in Loop: Header=BB262_934 Depth=1
	s_or_b32 exec_lo, exec_lo, s16
	v_lshlrev_b32_e32 v15, 16, v60
	s_delay_alu instid0(VALU_DEP_2) | instskip(SKIP_1) | instid1(VALU_DEP_3)
	v_lshlrev_b32_e32 v6, 20, v6
	v_lshl_add_u32 v14, v14, 23, 0x3c000000
	v_and_b32_e32 v15, 0x80000000, v15
	s_delay_alu instid0(VALU_DEP_1)
	v_or3_b32 v15, v6, v15, v14
	v_mov_b32_e32 v14, v7
.LBB262_1459:                           ;   in Loop: Header=BB262_934 Depth=1
	s_or_b32 exec_lo, exec_lo, s10
.LBB262_1460:                           ;   in Loop: Header=BB262_934 Depth=1
	s_delay_alu instid0(SALU_CYCLE_1)
	s_or_b32 exec_lo, exec_lo, s15
.LBB262_1461:                           ;   in Loop: Header=BB262_934 Depth=1
	s_delay_alu instid0(SALU_CYCLE_1) | instskip(SKIP_4) | instid1(VALU_DEP_2)
	s_or_b32 exec_lo, exec_lo, s13
	v_mov_b32_e32 v18, 0
	v_lshrrev_b32_e32 v61, 16, v60
	v_mov_b32_e32 v19, 0
	s_mov_b32 s10, exec_lo
	v_and_b32_e32 v6, 0xff, v61
	s_delay_alu instid0(VALU_DEP_2) | instskip(NEXT) | instid1(VALU_DEP_2)
	v_dual_mov_b32 v16, v18 :: v_dual_mov_b32 v17, v19
	v_cmpx_ne_u16_e32 0, v6
	s_cbranch_execz .LBB262_1469
; %bb.1462:                             ;   in Loop: Header=BB262_934 Depth=1
	v_bfrev_b32_e32 v16, 1
	v_mov_b32_e32 v17, 0
	s_mov_b32 s13, exec_lo
	v_cmpx_ne_u16_e32 0x80, v6
	s_cbranch_execz .LBB262_1468
; %bb.1463:                             ;   in Loop: Header=BB262_934 Depth=1
	v_mov_b32_e32 v16, 0x7f800001
	v_bfe_u32 v62, v60, 16, 7
	v_mov_b32_e32 v17, 0
	s_mov_b32 s15, exec_lo
	s_delay_alu instid0(VALU_DEP_2)
	v_cmpx_ne_u32_e32 0x7f, v62
	s_cbranch_execz .LBB262_1467
; %bb.1464:                             ;   in Loop: Header=BB262_934 Depth=1
	v_and_b32_e32 v6, 7, v61
	v_lshrrev_b32_e32 v16, 3, v62
	s_mov_b32 s16, exec_lo
	v_cmpx_gt_u32_e32 8, v62
; %bb.1465:                             ;   in Loop: Header=BB262_934 Depth=1
	s_delay_alu instid0(VALU_DEP_3) | instskip(NEXT) | instid1(VALU_DEP_1)
	v_clz_i32_u32_e32 v16, v6
	v_min_u32_e32 v16, 32, v16
	s_delay_alu instid0(VALU_DEP_1) | instskip(SKIP_1) | instid1(VALU_DEP_2)
	v_subrev_nc_u32_e32 v17, 28, v16
	v_sub_nc_u32_e32 v16, 29, v16
	v_lshlrev_b64 v[62:63], v17, v[6:7]
	s_delay_alu instid0(VALU_DEP_1)
	v_and_b32_e32 v6, 7, v62
; %bb.1466:                             ;   in Loop: Header=BB262_934 Depth=1
	s_or_b32 exec_lo, exec_lo, s16
	v_lshlrev_b32_e32 v17, 24, v61
	s_delay_alu instid0(VALU_DEP_2) | instskip(SKIP_1) | instid1(VALU_DEP_3)
	v_lshlrev_b32_e32 v6, 20, v6
	v_lshl_add_u32 v16, v16, 23, 0x3c000000
	v_and_b32_e32 v17, 0x80000000, v17
	s_delay_alu instid0(VALU_DEP_1) | instskip(NEXT) | instid1(VALU_DEP_1)
	v_or3_b32 v6, v6, v17, v16
	v_dual_mov_b32 v17, v7 :: v_dual_mov_b32 v16, v6
.LBB262_1467:                           ;   in Loop: Header=BB262_934 Depth=1
	s_or_b32 exec_lo, exec_lo, s15
.LBB262_1468:                           ;   in Loop: Header=BB262_934 Depth=1
	s_delay_alu instid0(SALU_CYCLE_1)
	s_or_b32 exec_lo, exec_lo, s13
.LBB262_1469:                           ;   in Loop: Header=BB262_934 Depth=1
	s_delay_alu instid0(SALU_CYCLE_1) | instskip(NEXT) | instid1(SALU_CYCLE_1)
	s_or_b32 exec_lo, exec_lo, s10
	s_mov_b32 s13, exec_lo
	v_cmpx_lt_u32_e32 0xffffff, v60
	s_cbranch_execz .LBB262_1477
; %bb.1470:                             ;   in Loop: Header=BB262_934 Depth=1
	v_lshrrev_b32_e32 v61, 24, v60
	v_dual_mov_b32 v19, s9 :: v_dual_mov_b32 v18, s8
	s_mov_b32 s15, exec_lo
	s_delay_alu instid0(VALU_DEP_2)
	v_cmpx_ne_u32_e32 0x80, v61
	s_cbranch_execz .LBB262_1476
; %bb.1471:                             ;   in Loop: Header=BB262_934 Depth=1
	s_mov_b32 s10, s8
	v_bfe_u32 v60, v60, 24, 7
	v_dual_mov_b32 v19, s11 :: v_dual_mov_b32 v18, s10
	s_mov_b32 s10, exec_lo
	s_delay_alu instid0(VALU_DEP_2)
	v_cmpx_ne_u32_e32 0x7f, v60
	s_cbranch_execz .LBB262_1475
; %bb.1472:                             ;   in Loop: Header=BB262_934 Depth=1
	v_and_b32_e32 v6, 7, v61
	v_lshrrev_b32_e32 v18, 3, v60
	s_mov_b32 s16, exec_lo
	v_cmpx_gt_u32_e32 8, v60
; %bb.1473:                             ;   in Loop: Header=BB262_934 Depth=1
	s_delay_alu instid0(VALU_DEP_3) | instskip(NEXT) | instid1(VALU_DEP_1)
	v_clz_i32_u32_e32 v18, v6
	v_min_u32_e32 v18, 32, v18
	s_delay_alu instid0(VALU_DEP_1) | instskip(SKIP_1) | instid1(VALU_DEP_2)
	v_subrev_nc_u32_e32 v19, 28, v18
	v_sub_nc_u32_e32 v18, 29, v18
	v_lshlrev_b64 v[62:63], v19, v[6:7]
	s_delay_alu instid0(VALU_DEP_1)
	v_and_b32_e32 v6, 7, v62
; %bb.1474:                             ;   in Loop: Header=BB262_934 Depth=1
	s_or_b32 exec_lo, exec_lo, s16
	v_lshlrev_b32_e32 v19, 24, v61
	s_delay_alu instid0(VALU_DEP_2) | instskip(SKIP_1) | instid1(VALU_DEP_3)
	v_lshlrev_b32_e32 v6, 20, v6
	v_lshl_add_u32 v18, v18, 23, 0x3c000000
	v_and_b32_e32 v19, 0x80000000, v19
	s_delay_alu instid0(VALU_DEP_1)
	v_or3_b32 v19, v6, v19, v18
	v_mov_b32_e32 v18, v7
.LBB262_1475:                           ;   in Loop: Header=BB262_934 Depth=1
	s_or_b32 exec_lo, exec_lo, s10
.LBB262_1476:                           ;   in Loop: Header=BB262_934 Depth=1
	s_delay_alu instid0(SALU_CYCLE_1)
	s_or_b32 exec_lo, exec_lo, s15
.LBB262_1477:                           ;   in Loop: Header=BB262_934 Depth=1
	s_delay_alu instid0(SALU_CYCLE_1) | instskip(SKIP_4) | instid1(VALU_DEP_4)
	s_or_b32 exec_lo, exec_lo, s13
	v_or_b32_e32 v5, v15, v5
	v_or_b32_e32 v4, v14, v4
	;; [unrolled: 1-line block ×4, first 2 shown]
	v_mul_f32_e32 v63, v83, v5
	s_delay_alu instid0(VALU_DEP_4) | instskip(NEXT) | instid1(VALU_DEP_4)
	v_mul_f32_e32 v62, v83, v4
	v_mul_f32_e32 v60, v83, v6
	s_delay_alu instid0(VALU_DEP_4)
	v_mul_f32_e32 v61, v83, v14
	s_and_saveexec_b32 s10, vcc_lo
; %bb.1478:                             ;   in Loop: Header=BB262_934 Depth=1
	v_cmp_lt_i32_e64 s0, v96, v22
	s_delay_alu instid0(VALU_DEP_1) | instskip(SKIP_1) | instid1(VALU_DEP_1)
	v_cndmask_b32_e64 v62, 0, v62, s0
	v_cmp_lt_i32_e64 s0, v99, v22
	v_cndmask_b32_e64 v63, 0, v63, s0
	v_cmp_lt_i32_e64 s0, v98, v22
	s_delay_alu instid0(VALU_DEP_1) | instskip(SKIP_1) | instid1(VALU_DEP_1)
	v_cndmask_b32_e64 v61, 0, v61, s0
	v_cmp_lt_i32_e64 s0, v97, v22
	v_cndmask_b32_e64 v60, 0, v60, s0
; %bb.1479:                             ;   in Loop: Header=BB262_934 Depth=1
	s_or_b32 exec_lo, exec_lo, s10
	flat_load_b32 v72, v[12:13] offset:2048
	v_mov_b32_e32 v14, 0
	v_mov_b32_e32 v15, 0
	s_mov_b32 s10, exec_lo
	s_waitcnt vmcnt(0) lgkmcnt(0)
	v_and_b32_e32 v6, 0xff, v72
	s_delay_alu instid0(VALU_DEP_2) | instskip(NEXT) | instid1(VALU_DEP_2)
	v_dual_mov_b32 v4, v14 :: v_dual_mov_b32 v5, v15
	v_cmpx_ne_u16_e32 0, v6
	s_cbranch_execz .LBB262_1487
; %bb.1480:                             ;   in Loop: Header=BB262_934 Depth=1
	v_bfrev_b32_e32 v4, 1
	v_mov_b32_e32 v5, 0
	s_mov_b32 s13, exec_lo
	v_cmpx_ne_u16_e32 0x80, v6
	s_cbranch_execz .LBB262_1486
; %bb.1481:                             ;   in Loop: Header=BB262_934 Depth=1
	v_mov_b32_e32 v4, 0x7f800001
	v_dual_mov_b32 v5, 0 :: v_dual_and_b32 v16, 0x7f, v72
	s_mov_b32 s15, exec_lo
	s_delay_alu instid0(VALU_DEP_1)
	v_cmpx_ne_u32_e32 0x7f, v16
	s_cbranch_execz .LBB262_1485
; %bb.1482:                             ;   in Loop: Header=BB262_934 Depth=1
	v_and_b32_e32 v6, 7, v72
	v_lshrrev_b32_e32 v4, 3, v16
	s_mov_b32 s16, exec_lo
	v_cmpx_gt_u32_e32 8, v16
; %bb.1483:                             ;   in Loop: Header=BB262_934 Depth=1
	s_delay_alu instid0(VALU_DEP_3) | instskip(NEXT) | instid1(VALU_DEP_1)
	v_clz_i32_u32_e32 v4, v6
	v_min_u32_e32 v4, 32, v4
	s_delay_alu instid0(VALU_DEP_1) | instskip(SKIP_1) | instid1(VALU_DEP_2)
	v_subrev_nc_u32_e32 v5, 28, v4
	v_sub_nc_u32_e32 v4, 29, v4
	v_lshlrev_b64 v[5:6], v5, v[6:7]
	s_delay_alu instid0(VALU_DEP_1)
	v_and_b32_e32 v6, 7, v5
; %bb.1484:                             ;   in Loop: Header=BB262_934 Depth=1
	s_or_b32 exec_lo, exec_lo, s16
	v_lshlrev_b32_e32 v5, 24, v72
	s_delay_alu instid0(VALU_DEP_2) | instskip(SKIP_1) | instid1(VALU_DEP_3)
	v_lshlrev_b32_e32 v6, 20, v6
	v_lshl_add_u32 v4, v4, 23, 0x3c000000
	v_and_b32_e32 v5, 0x80000000, v5
	s_delay_alu instid0(VALU_DEP_1) | instskip(NEXT) | instid1(VALU_DEP_1)
	v_or3_b32 v6, v6, v5, v4
	v_dual_mov_b32 v4, v6 :: v_dual_mov_b32 v5, v7
.LBB262_1485:                           ;   in Loop: Header=BB262_934 Depth=1
	s_or_b32 exec_lo, exec_lo, s15
.LBB262_1486:                           ;   in Loop: Header=BB262_934 Depth=1
	s_delay_alu instid0(SALU_CYCLE_1)
	s_or_b32 exec_lo, exec_lo, s13
.LBB262_1487:                           ;   in Loop: Header=BB262_934 Depth=1
	s_delay_alu instid0(SALU_CYCLE_1) | instskip(SKIP_2) | instid1(VALU_DEP_1)
	s_or_b32 exec_lo, exec_lo, s10
	v_lshrrev_b16 v6, 8, v72
	s_mov_b32 s13, exec_lo
	v_cmpx_ne_u16_e32 0, v6
	s_cbranch_execz .LBB262_1495
; %bb.1488:                             ;   in Loop: Header=BB262_934 Depth=1
	v_dual_mov_b32 v15, s9 :: v_dual_mov_b32 v14, s8
	s_mov_b32 s15, exec_lo
	v_cmpx_ne_u16_e32 0x80, v6
	s_cbranch_execz .LBB262_1494
; %bb.1489:                             ;   in Loop: Header=BB262_934 Depth=1
	s_mov_b32 s10, s8
	v_dual_mov_b32 v15, s11 :: v_dual_and_b32 v6, 0xffff, v6
	v_mov_b32_e32 v14, s10
	s_mov_b32 s10, exec_lo
	s_delay_alu instid0(VALU_DEP_2) | instskip(NEXT) | instid1(VALU_DEP_1)
	v_and_b32_e32 v16, 0x7f, v6
	v_cmpx_ne_u32_e32 0x7f, v16
	s_cbranch_execz .LBB262_1493
; %bb.1490:                             ;   in Loop: Header=BB262_934 Depth=1
	v_and_b32_e32 v6, 7, v6
	v_lshrrev_b32_e32 v14, 3, v16
	s_mov_b32 s16, exec_lo
	v_cmpx_gt_u32_e32 8, v16
; %bb.1491:                             ;   in Loop: Header=BB262_934 Depth=1
	s_delay_alu instid0(VALU_DEP_3) | instskip(NEXT) | instid1(VALU_DEP_1)
	v_clz_i32_u32_e32 v14, v6
	v_min_u32_e32 v14, 32, v14
	s_delay_alu instid0(VALU_DEP_1) | instskip(SKIP_1) | instid1(VALU_DEP_2)
	v_subrev_nc_u32_e32 v15, 28, v14
	v_sub_nc_u32_e32 v14, 29, v14
	v_lshlrev_b64 v[15:16], v15, v[6:7]
	s_delay_alu instid0(VALU_DEP_1)
	v_and_b32_e32 v6, 7, v15
; %bb.1492:                             ;   in Loop: Header=BB262_934 Depth=1
	s_or_b32 exec_lo, exec_lo, s16
	v_lshlrev_b32_e32 v15, 16, v72
	s_delay_alu instid0(VALU_DEP_2) | instskip(SKIP_1) | instid1(VALU_DEP_3)
	v_lshlrev_b32_e32 v6, 20, v6
	v_lshl_add_u32 v14, v14, 23, 0x3c000000
	v_and_b32_e32 v15, 0x80000000, v15
	s_delay_alu instid0(VALU_DEP_1)
	v_or3_b32 v15, v6, v15, v14
	v_mov_b32_e32 v14, v7
.LBB262_1493:                           ;   in Loop: Header=BB262_934 Depth=1
	s_or_b32 exec_lo, exec_lo, s10
.LBB262_1494:                           ;   in Loop: Header=BB262_934 Depth=1
	s_delay_alu instid0(SALU_CYCLE_1)
	s_or_b32 exec_lo, exec_lo, s15
.LBB262_1495:                           ;   in Loop: Header=BB262_934 Depth=1
	s_delay_alu instid0(SALU_CYCLE_1) | instskip(SKIP_4) | instid1(VALU_DEP_2)
	s_or_b32 exec_lo, exec_lo, s13
	v_mov_b32_e32 v18, 0
	v_lshrrev_b32_e32 v73, 16, v72
	v_mov_b32_e32 v19, 0
	s_mov_b32 s10, exec_lo
	v_and_b32_e32 v6, 0xff, v73
	s_delay_alu instid0(VALU_DEP_2) | instskip(NEXT) | instid1(VALU_DEP_2)
	v_dual_mov_b32 v16, v18 :: v_dual_mov_b32 v17, v19
	v_cmpx_ne_u16_e32 0, v6
	s_cbranch_execz .LBB262_1503
; %bb.1496:                             ;   in Loop: Header=BB262_934 Depth=1
	v_bfrev_b32_e32 v16, 1
	v_mov_b32_e32 v17, 0
	s_mov_b32 s13, exec_lo
	v_cmpx_ne_u16_e32 0x80, v6
	s_cbranch_execz .LBB262_1502
; %bb.1497:                             ;   in Loop: Header=BB262_934 Depth=1
	v_mov_b32_e32 v16, 0x7f800001
	v_bfe_u32 v74, v72, 16, 7
	v_mov_b32_e32 v17, 0
	s_mov_b32 s15, exec_lo
	s_delay_alu instid0(VALU_DEP_2)
	v_cmpx_ne_u32_e32 0x7f, v74
	s_cbranch_execz .LBB262_1501
; %bb.1498:                             ;   in Loop: Header=BB262_934 Depth=1
	v_and_b32_e32 v6, 7, v73
	v_lshrrev_b32_e32 v16, 3, v74
	s_mov_b32 s16, exec_lo
	v_cmpx_gt_u32_e32 8, v74
; %bb.1499:                             ;   in Loop: Header=BB262_934 Depth=1
	s_delay_alu instid0(VALU_DEP_3) | instskip(NEXT) | instid1(VALU_DEP_1)
	v_clz_i32_u32_e32 v16, v6
	v_min_u32_e32 v16, 32, v16
	s_delay_alu instid0(VALU_DEP_1) | instskip(SKIP_1) | instid1(VALU_DEP_2)
	v_subrev_nc_u32_e32 v17, 28, v16
	v_sub_nc_u32_e32 v16, 29, v16
	v_lshlrev_b64 v[74:75], v17, v[6:7]
	s_delay_alu instid0(VALU_DEP_1)
	v_and_b32_e32 v6, 7, v74
; %bb.1500:                             ;   in Loop: Header=BB262_934 Depth=1
	s_or_b32 exec_lo, exec_lo, s16
	v_lshlrev_b32_e32 v17, 24, v73
	s_delay_alu instid0(VALU_DEP_2) | instskip(SKIP_1) | instid1(VALU_DEP_3)
	v_lshlrev_b32_e32 v6, 20, v6
	v_lshl_add_u32 v16, v16, 23, 0x3c000000
	v_and_b32_e32 v17, 0x80000000, v17
	s_delay_alu instid0(VALU_DEP_1) | instskip(NEXT) | instid1(VALU_DEP_1)
	v_or3_b32 v6, v6, v17, v16
	v_dual_mov_b32 v17, v7 :: v_dual_mov_b32 v16, v6
.LBB262_1501:                           ;   in Loop: Header=BB262_934 Depth=1
	s_or_b32 exec_lo, exec_lo, s15
.LBB262_1502:                           ;   in Loop: Header=BB262_934 Depth=1
	s_delay_alu instid0(SALU_CYCLE_1)
	s_or_b32 exec_lo, exec_lo, s13
.LBB262_1503:                           ;   in Loop: Header=BB262_934 Depth=1
	s_delay_alu instid0(SALU_CYCLE_1) | instskip(NEXT) | instid1(SALU_CYCLE_1)
	s_or_b32 exec_lo, exec_lo, s10
	s_mov_b32 s13, exec_lo
	v_cmpx_lt_u32_e32 0xffffff, v72
	s_cbranch_execz .LBB262_1511
; %bb.1504:                             ;   in Loop: Header=BB262_934 Depth=1
	v_lshrrev_b32_e32 v73, 24, v72
	v_dual_mov_b32 v19, s9 :: v_dual_mov_b32 v18, s8
	s_mov_b32 s15, exec_lo
	s_delay_alu instid0(VALU_DEP_2)
	v_cmpx_ne_u32_e32 0x80, v73
	s_cbranch_execz .LBB262_1510
; %bb.1505:                             ;   in Loop: Header=BB262_934 Depth=1
	s_mov_b32 s10, s8
	v_bfe_u32 v72, v72, 24, 7
	v_dual_mov_b32 v19, s11 :: v_dual_mov_b32 v18, s10
	s_mov_b32 s10, exec_lo
	s_delay_alu instid0(VALU_DEP_2)
	v_cmpx_ne_u32_e32 0x7f, v72
	s_cbranch_execz .LBB262_1509
; %bb.1506:                             ;   in Loop: Header=BB262_934 Depth=1
	v_and_b32_e32 v6, 7, v73
	v_lshrrev_b32_e32 v18, 3, v72
	s_mov_b32 s16, exec_lo
	v_cmpx_gt_u32_e32 8, v72
; %bb.1507:                             ;   in Loop: Header=BB262_934 Depth=1
	s_delay_alu instid0(VALU_DEP_3) | instskip(NEXT) | instid1(VALU_DEP_1)
	v_clz_i32_u32_e32 v18, v6
	v_min_u32_e32 v18, 32, v18
	s_delay_alu instid0(VALU_DEP_1) | instskip(SKIP_1) | instid1(VALU_DEP_2)
	v_subrev_nc_u32_e32 v19, 28, v18
	v_sub_nc_u32_e32 v18, 29, v18
	v_lshlrev_b64 v[74:75], v19, v[6:7]
	s_delay_alu instid0(VALU_DEP_1)
	v_and_b32_e32 v6, 7, v74
; %bb.1508:                             ;   in Loop: Header=BB262_934 Depth=1
	s_or_b32 exec_lo, exec_lo, s16
	v_lshlrev_b32_e32 v19, 24, v73
	s_delay_alu instid0(VALU_DEP_2) | instskip(SKIP_1) | instid1(VALU_DEP_3)
	v_lshlrev_b32_e32 v6, 20, v6
	v_lshl_add_u32 v18, v18, 23, 0x3c000000
	v_and_b32_e32 v19, 0x80000000, v19
	s_delay_alu instid0(VALU_DEP_1)
	v_or3_b32 v19, v6, v19, v18
	v_mov_b32_e32 v18, v7
.LBB262_1509:                           ;   in Loop: Header=BB262_934 Depth=1
	s_or_b32 exec_lo, exec_lo, s10
.LBB262_1510:                           ;   in Loop: Header=BB262_934 Depth=1
	s_delay_alu instid0(SALU_CYCLE_1)
	s_or_b32 exec_lo, exec_lo, s15
.LBB262_1511:                           ;   in Loop: Header=BB262_934 Depth=1
	s_delay_alu instid0(SALU_CYCLE_1) | instskip(SKIP_4) | instid1(VALU_DEP_4)
	s_or_b32 exec_lo, exec_lo, s13
	v_or_b32_e32 v5, v15, v5
	v_or_b32_e32 v4, v14, v4
	;; [unrolled: 1-line block ×4, first 2 shown]
	v_mul_f32_e32 v75, v83, v5
	s_delay_alu instid0(VALU_DEP_4) | instskip(NEXT) | instid1(VALU_DEP_4)
	v_mul_f32_e32 v74, v83, v4
	v_mul_f32_e32 v72, v83, v6
	s_delay_alu instid0(VALU_DEP_4)
	v_mul_f32_e32 v73, v83, v14
	s_and_saveexec_b32 s10, vcc_lo
; %bb.1512:                             ;   in Loop: Header=BB262_934 Depth=1
	v_cmp_lt_i32_e64 s0, v96, v22
	s_delay_alu instid0(VALU_DEP_1) | instskip(SKIP_1) | instid1(VALU_DEP_1)
	v_cndmask_b32_e64 v74, 0, v74, s0
	v_cmp_lt_i32_e64 s0, v99, v22
	v_cndmask_b32_e64 v75, 0, v75, s0
	v_cmp_lt_i32_e64 s0, v98, v22
	s_delay_alu instid0(VALU_DEP_1) | instskip(SKIP_1) | instid1(VALU_DEP_1)
	v_cndmask_b32_e64 v73, 0, v73, s0
	v_cmp_lt_i32_e64 s0, v97, v22
	v_cndmask_b32_e64 v72, 0, v72, s0
; %bb.1513:                             ;   in Loop: Header=BB262_934 Depth=1
	s_or_b32 exec_lo, exec_lo, s10
	flat_load_b32 v76, v[12:13] offset:2176
	v_mov_b32_e32 v14, 0
	v_mov_b32_e32 v15, 0
	s_mov_b32 s10, exec_lo
	s_waitcnt vmcnt(0) lgkmcnt(0)
	v_and_b32_e32 v6, 0xff, v76
	s_delay_alu instid0(VALU_DEP_2) | instskip(NEXT) | instid1(VALU_DEP_2)
	v_dual_mov_b32 v4, v14 :: v_dual_mov_b32 v5, v15
	v_cmpx_ne_u16_e32 0, v6
	s_cbranch_execz .LBB262_1521
; %bb.1514:                             ;   in Loop: Header=BB262_934 Depth=1
	v_bfrev_b32_e32 v4, 1
	v_mov_b32_e32 v5, 0
	s_mov_b32 s13, exec_lo
	v_cmpx_ne_u16_e32 0x80, v6
	s_cbranch_execz .LBB262_1520
; %bb.1515:                             ;   in Loop: Header=BB262_934 Depth=1
	v_mov_b32_e32 v4, 0x7f800001
	v_dual_mov_b32 v5, 0 :: v_dual_and_b32 v16, 0x7f, v76
	s_mov_b32 s15, exec_lo
	s_delay_alu instid0(VALU_DEP_1)
	v_cmpx_ne_u32_e32 0x7f, v16
	s_cbranch_execz .LBB262_1519
; %bb.1516:                             ;   in Loop: Header=BB262_934 Depth=1
	v_and_b32_e32 v6, 7, v76
	v_lshrrev_b32_e32 v4, 3, v16
	s_mov_b32 s16, exec_lo
	v_cmpx_gt_u32_e32 8, v16
; %bb.1517:                             ;   in Loop: Header=BB262_934 Depth=1
	s_delay_alu instid0(VALU_DEP_3) | instskip(NEXT) | instid1(VALU_DEP_1)
	v_clz_i32_u32_e32 v4, v6
	v_min_u32_e32 v4, 32, v4
	s_delay_alu instid0(VALU_DEP_1) | instskip(SKIP_1) | instid1(VALU_DEP_2)
	v_subrev_nc_u32_e32 v5, 28, v4
	v_sub_nc_u32_e32 v4, 29, v4
	v_lshlrev_b64 v[5:6], v5, v[6:7]
	s_delay_alu instid0(VALU_DEP_1)
	v_and_b32_e32 v6, 7, v5
; %bb.1518:                             ;   in Loop: Header=BB262_934 Depth=1
	s_or_b32 exec_lo, exec_lo, s16
	v_lshlrev_b32_e32 v5, 24, v76
	s_delay_alu instid0(VALU_DEP_2) | instskip(SKIP_1) | instid1(VALU_DEP_3)
	v_lshlrev_b32_e32 v6, 20, v6
	v_lshl_add_u32 v4, v4, 23, 0x3c000000
	v_and_b32_e32 v5, 0x80000000, v5
	s_delay_alu instid0(VALU_DEP_1) | instskip(NEXT) | instid1(VALU_DEP_1)
	v_or3_b32 v6, v6, v5, v4
	v_dual_mov_b32 v4, v6 :: v_dual_mov_b32 v5, v7
.LBB262_1519:                           ;   in Loop: Header=BB262_934 Depth=1
	s_or_b32 exec_lo, exec_lo, s15
.LBB262_1520:                           ;   in Loop: Header=BB262_934 Depth=1
	s_delay_alu instid0(SALU_CYCLE_1)
	s_or_b32 exec_lo, exec_lo, s13
.LBB262_1521:                           ;   in Loop: Header=BB262_934 Depth=1
	s_delay_alu instid0(SALU_CYCLE_1) | instskip(SKIP_2) | instid1(VALU_DEP_1)
	s_or_b32 exec_lo, exec_lo, s10
	v_lshrrev_b16 v6, 8, v76
	s_mov_b32 s13, exec_lo
	v_cmpx_ne_u16_e32 0, v6
	s_cbranch_execz .LBB262_1529
; %bb.1522:                             ;   in Loop: Header=BB262_934 Depth=1
	v_dual_mov_b32 v15, s9 :: v_dual_mov_b32 v14, s8
	s_mov_b32 s15, exec_lo
	v_cmpx_ne_u16_e32 0x80, v6
	s_cbranch_execz .LBB262_1528
; %bb.1523:                             ;   in Loop: Header=BB262_934 Depth=1
	s_mov_b32 s10, s8
	v_dual_mov_b32 v15, s11 :: v_dual_and_b32 v6, 0xffff, v6
	v_mov_b32_e32 v14, s10
	s_mov_b32 s10, exec_lo
	s_delay_alu instid0(VALU_DEP_2) | instskip(NEXT) | instid1(VALU_DEP_1)
	v_and_b32_e32 v16, 0x7f, v6
	v_cmpx_ne_u32_e32 0x7f, v16
	s_cbranch_execz .LBB262_1527
; %bb.1524:                             ;   in Loop: Header=BB262_934 Depth=1
	v_and_b32_e32 v6, 7, v6
	v_lshrrev_b32_e32 v14, 3, v16
	s_mov_b32 s16, exec_lo
	v_cmpx_gt_u32_e32 8, v16
; %bb.1525:                             ;   in Loop: Header=BB262_934 Depth=1
	s_delay_alu instid0(VALU_DEP_3) | instskip(NEXT) | instid1(VALU_DEP_1)
	v_clz_i32_u32_e32 v14, v6
	v_min_u32_e32 v14, 32, v14
	s_delay_alu instid0(VALU_DEP_1) | instskip(SKIP_1) | instid1(VALU_DEP_2)
	v_subrev_nc_u32_e32 v15, 28, v14
	v_sub_nc_u32_e32 v14, 29, v14
	v_lshlrev_b64 v[15:16], v15, v[6:7]
	s_delay_alu instid0(VALU_DEP_1)
	v_and_b32_e32 v6, 7, v15
; %bb.1526:                             ;   in Loop: Header=BB262_934 Depth=1
	s_or_b32 exec_lo, exec_lo, s16
	v_lshlrev_b32_e32 v15, 16, v76
	s_delay_alu instid0(VALU_DEP_2) | instskip(SKIP_1) | instid1(VALU_DEP_3)
	v_lshlrev_b32_e32 v6, 20, v6
	v_lshl_add_u32 v14, v14, 23, 0x3c000000
	v_and_b32_e32 v15, 0x80000000, v15
	s_delay_alu instid0(VALU_DEP_1)
	v_or3_b32 v15, v6, v15, v14
	v_mov_b32_e32 v14, v7
.LBB262_1527:                           ;   in Loop: Header=BB262_934 Depth=1
	s_or_b32 exec_lo, exec_lo, s10
.LBB262_1528:                           ;   in Loop: Header=BB262_934 Depth=1
	s_delay_alu instid0(SALU_CYCLE_1)
	s_or_b32 exec_lo, exec_lo, s15
.LBB262_1529:                           ;   in Loop: Header=BB262_934 Depth=1
	s_delay_alu instid0(SALU_CYCLE_1) | instskip(SKIP_4) | instid1(VALU_DEP_2)
	s_or_b32 exec_lo, exec_lo, s13
	v_mov_b32_e32 v18, 0
	v_lshrrev_b32_e32 v77, 16, v76
	v_mov_b32_e32 v19, 0
	s_mov_b32 s10, exec_lo
	v_and_b32_e32 v6, 0xff, v77
	s_delay_alu instid0(VALU_DEP_2) | instskip(NEXT) | instid1(VALU_DEP_2)
	v_dual_mov_b32 v16, v18 :: v_dual_mov_b32 v17, v19
	v_cmpx_ne_u16_e32 0, v6
	s_cbranch_execz .LBB262_1537
; %bb.1530:                             ;   in Loop: Header=BB262_934 Depth=1
	v_bfrev_b32_e32 v16, 1
	v_mov_b32_e32 v17, 0
	s_mov_b32 s13, exec_lo
	v_cmpx_ne_u16_e32 0x80, v6
	s_cbranch_execz .LBB262_1536
; %bb.1531:                             ;   in Loop: Header=BB262_934 Depth=1
	v_mov_b32_e32 v16, 0x7f800001
	v_bfe_u32 v78, v76, 16, 7
	v_mov_b32_e32 v17, 0
	s_mov_b32 s15, exec_lo
	s_delay_alu instid0(VALU_DEP_2)
	v_cmpx_ne_u32_e32 0x7f, v78
	s_cbranch_execz .LBB262_1535
; %bb.1532:                             ;   in Loop: Header=BB262_934 Depth=1
	v_and_b32_e32 v6, 7, v77
	v_lshrrev_b32_e32 v16, 3, v78
	s_mov_b32 s16, exec_lo
	v_cmpx_gt_u32_e32 8, v78
; %bb.1533:                             ;   in Loop: Header=BB262_934 Depth=1
	s_delay_alu instid0(VALU_DEP_3) | instskip(NEXT) | instid1(VALU_DEP_1)
	v_clz_i32_u32_e32 v16, v6
	v_min_u32_e32 v16, 32, v16
	s_delay_alu instid0(VALU_DEP_1) | instskip(SKIP_1) | instid1(VALU_DEP_2)
	v_subrev_nc_u32_e32 v17, 28, v16
	v_sub_nc_u32_e32 v16, 29, v16
	v_lshlrev_b64 v[78:79], v17, v[6:7]
	s_delay_alu instid0(VALU_DEP_1)
	v_and_b32_e32 v6, 7, v78
; %bb.1534:                             ;   in Loop: Header=BB262_934 Depth=1
	s_or_b32 exec_lo, exec_lo, s16
	v_lshlrev_b32_e32 v17, 24, v77
	s_delay_alu instid0(VALU_DEP_2) | instskip(SKIP_1) | instid1(VALU_DEP_3)
	v_lshlrev_b32_e32 v6, 20, v6
	v_lshl_add_u32 v16, v16, 23, 0x3c000000
	v_and_b32_e32 v17, 0x80000000, v17
	s_delay_alu instid0(VALU_DEP_1) | instskip(NEXT) | instid1(VALU_DEP_1)
	v_or3_b32 v6, v6, v17, v16
	v_dual_mov_b32 v17, v7 :: v_dual_mov_b32 v16, v6
.LBB262_1535:                           ;   in Loop: Header=BB262_934 Depth=1
	s_or_b32 exec_lo, exec_lo, s15
.LBB262_1536:                           ;   in Loop: Header=BB262_934 Depth=1
	s_delay_alu instid0(SALU_CYCLE_1)
	s_or_b32 exec_lo, exec_lo, s13
.LBB262_1537:                           ;   in Loop: Header=BB262_934 Depth=1
	s_delay_alu instid0(SALU_CYCLE_1) | instskip(NEXT) | instid1(SALU_CYCLE_1)
	s_or_b32 exec_lo, exec_lo, s10
	s_mov_b32 s13, exec_lo
	v_cmpx_lt_u32_e32 0xffffff, v76
	s_cbranch_execz .LBB262_1545
; %bb.1538:                             ;   in Loop: Header=BB262_934 Depth=1
	v_lshrrev_b32_e32 v77, 24, v76
	v_dual_mov_b32 v19, s9 :: v_dual_mov_b32 v18, s8
	s_mov_b32 s15, exec_lo
	s_delay_alu instid0(VALU_DEP_2)
	v_cmpx_ne_u32_e32 0x80, v77
	s_cbranch_execz .LBB262_1544
; %bb.1539:                             ;   in Loop: Header=BB262_934 Depth=1
	s_mov_b32 s10, s8
	v_bfe_u32 v76, v76, 24, 7
	v_dual_mov_b32 v19, s11 :: v_dual_mov_b32 v18, s10
	s_mov_b32 s10, exec_lo
	s_delay_alu instid0(VALU_DEP_2)
	v_cmpx_ne_u32_e32 0x7f, v76
	s_cbranch_execz .LBB262_1543
; %bb.1540:                             ;   in Loop: Header=BB262_934 Depth=1
	v_and_b32_e32 v6, 7, v77
	v_lshrrev_b32_e32 v18, 3, v76
	s_mov_b32 s16, exec_lo
	v_cmpx_gt_u32_e32 8, v76
; %bb.1541:                             ;   in Loop: Header=BB262_934 Depth=1
	s_delay_alu instid0(VALU_DEP_3) | instskip(NEXT) | instid1(VALU_DEP_1)
	v_clz_i32_u32_e32 v18, v6
	v_min_u32_e32 v18, 32, v18
	s_delay_alu instid0(VALU_DEP_1) | instskip(SKIP_1) | instid1(VALU_DEP_2)
	v_subrev_nc_u32_e32 v19, 28, v18
	v_sub_nc_u32_e32 v18, 29, v18
	v_lshlrev_b64 v[78:79], v19, v[6:7]
	s_delay_alu instid0(VALU_DEP_1)
	v_and_b32_e32 v6, 7, v78
; %bb.1542:                             ;   in Loop: Header=BB262_934 Depth=1
	s_or_b32 exec_lo, exec_lo, s16
	v_lshlrev_b32_e32 v19, 24, v77
	s_delay_alu instid0(VALU_DEP_2) | instskip(SKIP_1) | instid1(VALU_DEP_3)
	v_lshlrev_b32_e32 v6, 20, v6
	v_lshl_add_u32 v18, v18, 23, 0x3c000000
	v_and_b32_e32 v19, 0x80000000, v19
	s_delay_alu instid0(VALU_DEP_1)
	v_or3_b32 v19, v6, v19, v18
	v_mov_b32_e32 v18, v7
.LBB262_1543:                           ;   in Loop: Header=BB262_934 Depth=1
	s_or_b32 exec_lo, exec_lo, s10
.LBB262_1544:                           ;   in Loop: Header=BB262_934 Depth=1
	s_delay_alu instid0(SALU_CYCLE_1)
	s_or_b32 exec_lo, exec_lo, s15
.LBB262_1545:                           ;   in Loop: Header=BB262_934 Depth=1
	s_delay_alu instid0(SALU_CYCLE_1) | instskip(SKIP_4) | instid1(VALU_DEP_4)
	s_or_b32 exec_lo, exec_lo, s13
	v_or_b32_e32 v5, v15, v5
	v_or_b32_e32 v4, v14, v4
	v_or_b32_e32 v6, v19, v17
	v_or_b32_e32 v14, v18, v16
	v_mul_f32_e32 v79, v83, v5
	s_delay_alu instid0(VALU_DEP_4) | instskip(NEXT) | instid1(VALU_DEP_4)
	v_mul_f32_e32 v78, v83, v4
	v_mul_f32_e32 v76, v83, v6
	s_delay_alu instid0(VALU_DEP_4)
	v_mul_f32_e32 v77, v83, v14
	s_and_saveexec_b32 s10, vcc_lo
; %bb.1546:                             ;   in Loop: Header=BB262_934 Depth=1
	v_cmp_lt_i32_e64 s0, v96, v22
	s_delay_alu instid0(VALU_DEP_1) | instskip(SKIP_1) | instid1(VALU_DEP_1)
	v_cndmask_b32_e64 v78, 0, v78, s0
	v_cmp_lt_i32_e64 s0, v99, v22
	v_cndmask_b32_e64 v79, 0, v79, s0
	v_cmp_lt_i32_e64 s0, v98, v22
	s_delay_alu instid0(VALU_DEP_1) | instskip(SKIP_1) | instid1(VALU_DEP_1)
	v_cndmask_b32_e64 v77, 0, v77, s0
	v_cmp_lt_i32_e64 s0, v97, v22
	v_cndmask_b32_e64 v76, 0, v76, s0
; %bb.1547:                             ;   in Loop: Header=BB262_934 Depth=1
	s_or_b32 exec_lo, exec_lo, s10
	flat_load_b32 v89, v[12:13] offset:2304
	v_mov_b32_e32 v14, 0
	v_mov_b32_e32 v15, 0
	s_mov_b32 s10, exec_lo
	s_waitcnt vmcnt(0) lgkmcnt(0)
	v_and_b32_e32 v6, 0xff, v89
	s_delay_alu instid0(VALU_DEP_2) | instskip(NEXT) | instid1(VALU_DEP_2)
	v_dual_mov_b32 v4, v14 :: v_dual_mov_b32 v5, v15
	v_cmpx_ne_u16_e32 0, v6
	s_cbranch_execz .LBB262_1555
; %bb.1548:                             ;   in Loop: Header=BB262_934 Depth=1
	v_bfrev_b32_e32 v4, 1
	v_mov_b32_e32 v5, 0
	s_mov_b32 s13, exec_lo
	v_cmpx_ne_u16_e32 0x80, v6
	s_cbranch_execz .LBB262_1554
; %bb.1549:                             ;   in Loop: Header=BB262_934 Depth=1
	v_mov_b32_e32 v4, 0x7f800001
	v_dual_mov_b32 v5, 0 :: v_dual_and_b32 v16, 0x7f, v89
	s_mov_b32 s15, exec_lo
	s_delay_alu instid0(VALU_DEP_1)
	v_cmpx_ne_u32_e32 0x7f, v16
	s_cbranch_execz .LBB262_1553
; %bb.1550:                             ;   in Loop: Header=BB262_934 Depth=1
	v_and_b32_e32 v6, 7, v89
	v_lshrrev_b32_e32 v4, 3, v16
	s_mov_b32 s16, exec_lo
	v_cmpx_gt_u32_e32 8, v16
; %bb.1551:                             ;   in Loop: Header=BB262_934 Depth=1
	s_delay_alu instid0(VALU_DEP_3) | instskip(NEXT) | instid1(VALU_DEP_1)
	v_clz_i32_u32_e32 v4, v6
	v_min_u32_e32 v4, 32, v4
	s_delay_alu instid0(VALU_DEP_1) | instskip(SKIP_1) | instid1(VALU_DEP_2)
	v_subrev_nc_u32_e32 v5, 28, v4
	v_sub_nc_u32_e32 v4, 29, v4
	v_lshlrev_b64 v[5:6], v5, v[6:7]
	s_delay_alu instid0(VALU_DEP_1)
	v_and_b32_e32 v6, 7, v5
; %bb.1552:                             ;   in Loop: Header=BB262_934 Depth=1
	s_or_b32 exec_lo, exec_lo, s16
	v_lshlrev_b32_e32 v5, 24, v89
	s_delay_alu instid0(VALU_DEP_2) | instskip(SKIP_1) | instid1(VALU_DEP_3)
	v_lshlrev_b32_e32 v6, 20, v6
	v_lshl_add_u32 v4, v4, 23, 0x3c000000
	v_and_b32_e32 v5, 0x80000000, v5
	s_delay_alu instid0(VALU_DEP_1) | instskip(NEXT) | instid1(VALU_DEP_1)
	v_or3_b32 v6, v6, v5, v4
	v_dual_mov_b32 v4, v6 :: v_dual_mov_b32 v5, v7
.LBB262_1553:                           ;   in Loop: Header=BB262_934 Depth=1
	s_or_b32 exec_lo, exec_lo, s15
.LBB262_1554:                           ;   in Loop: Header=BB262_934 Depth=1
	s_delay_alu instid0(SALU_CYCLE_1)
	s_or_b32 exec_lo, exec_lo, s13
.LBB262_1555:                           ;   in Loop: Header=BB262_934 Depth=1
	s_delay_alu instid0(SALU_CYCLE_1) | instskip(SKIP_2) | instid1(VALU_DEP_1)
	s_or_b32 exec_lo, exec_lo, s10
	v_lshrrev_b16 v6, 8, v89
	s_mov_b32 s13, exec_lo
	v_cmpx_ne_u16_e32 0, v6
	s_cbranch_execz .LBB262_1563
; %bb.1556:                             ;   in Loop: Header=BB262_934 Depth=1
	v_dual_mov_b32 v15, s9 :: v_dual_mov_b32 v14, s8
	s_mov_b32 s15, exec_lo
	v_cmpx_ne_u16_e32 0x80, v6
	s_cbranch_execz .LBB262_1562
; %bb.1557:                             ;   in Loop: Header=BB262_934 Depth=1
	s_mov_b32 s10, s8
	v_dual_mov_b32 v15, s11 :: v_dual_and_b32 v6, 0xffff, v6
	v_mov_b32_e32 v14, s10
	s_mov_b32 s10, exec_lo
	s_delay_alu instid0(VALU_DEP_2) | instskip(NEXT) | instid1(VALU_DEP_1)
	v_and_b32_e32 v16, 0x7f, v6
	v_cmpx_ne_u32_e32 0x7f, v16
	s_cbranch_execz .LBB262_1561
; %bb.1558:                             ;   in Loop: Header=BB262_934 Depth=1
	v_and_b32_e32 v6, 7, v6
	v_lshrrev_b32_e32 v14, 3, v16
	s_mov_b32 s16, exec_lo
	v_cmpx_gt_u32_e32 8, v16
; %bb.1559:                             ;   in Loop: Header=BB262_934 Depth=1
	s_delay_alu instid0(VALU_DEP_3) | instskip(NEXT) | instid1(VALU_DEP_1)
	v_clz_i32_u32_e32 v14, v6
	v_min_u32_e32 v14, 32, v14
	s_delay_alu instid0(VALU_DEP_1) | instskip(SKIP_1) | instid1(VALU_DEP_2)
	v_subrev_nc_u32_e32 v15, 28, v14
	v_sub_nc_u32_e32 v14, 29, v14
	v_lshlrev_b64 v[15:16], v15, v[6:7]
	s_delay_alu instid0(VALU_DEP_1)
	v_and_b32_e32 v6, 7, v15
; %bb.1560:                             ;   in Loop: Header=BB262_934 Depth=1
	s_or_b32 exec_lo, exec_lo, s16
	v_lshlrev_b32_e32 v15, 16, v89
	s_delay_alu instid0(VALU_DEP_2) | instskip(SKIP_1) | instid1(VALU_DEP_3)
	v_lshlrev_b32_e32 v6, 20, v6
	v_lshl_add_u32 v14, v14, 23, 0x3c000000
	v_and_b32_e32 v15, 0x80000000, v15
	s_delay_alu instid0(VALU_DEP_1)
	v_or3_b32 v15, v6, v15, v14
	v_mov_b32_e32 v14, v7
.LBB262_1561:                           ;   in Loop: Header=BB262_934 Depth=1
	s_or_b32 exec_lo, exec_lo, s10
.LBB262_1562:                           ;   in Loop: Header=BB262_934 Depth=1
	s_delay_alu instid0(SALU_CYCLE_1)
	s_or_b32 exec_lo, exec_lo, s15
.LBB262_1563:                           ;   in Loop: Header=BB262_934 Depth=1
	s_delay_alu instid0(SALU_CYCLE_1) | instskip(SKIP_4) | instid1(VALU_DEP_2)
	s_or_b32 exec_lo, exec_lo, s13
	v_mov_b32_e32 v18, 0
	v_lshrrev_b32_e32 v90, 16, v89
	v_mov_b32_e32 v19, 0
	s_mov_b32 s10, exec_lo
	v_and_b32_e32 v6, 0xff, v90
	s_delay_alu instid0(VALU_DEP_2) | instskip(NEXT) | instid1(VALU_DEP_2)
	v_dual_mov_b32 v16, v18 :: v_dual_mov_b32 v17, v19
	v_cmpx_ne_u16_e32 0, v6
	s_cbranch_execz .LBB262_1571
; %bb.1564:                             ;   in Loop: Header=BB262_934 Depth=1
	v_bfrev_b32_e32 v16, 1
	v_mov_b32_e32 v17, 0
	s_mov_b32 s13, exec_lo
	v_cmpx_ne_u16_e32 0x80, v6
	s_cbranch_execz .LBB262_1570
; %bb.1565:                             ;   in Loop: Header=BB262_934 Depth=1
	v_mov_b32_e32 v16, 0x7f800001
	v_bfe_u32 v91, v89, 16, 7
	v_mov_b32_e32 v17, 0
	s_mov_b32 s15, exec_lo
	s_delay_alu instid0(VALU_DEP_2)
	v_cmpx_ne_u32_e32 0x7f, v91
	s_cbranch_execz .LBB262_1569
; %bb.1566:                             ;   in Loop: Header=BB262_934 Depth=1
	v_and_b32_e32 v6, 7, v90
	v_lshrrev_b32_e32 v16, 3, v91
	s_mov_b32 s16, exec_lo
	v_cmpx_gt_u32_e32 8, v91
; %bb.1567:                             ;   in Loop: Header=BB262_934 Depth=1
	s_delay_alu instid0(VALU_DEP_3) | instskip(NEXT) | instid1(VALU_DEP_1)
	v_clz_i32_u32_e32 v16, v6
	v_min_u32_e32 v16, 32, v16
	s_delay_alu instid0(VALU_DEP_1) | instskip(SKIP_1) | instid1(VALU_DEP_2)
	v_subrev_nc_u32_e32 v17, 28, v16
	v_sub_nc_u32_e32 v16, 29, v16
	v_lshlrev_b64 v[91:92], v17, v[6:7]
	s_delay_alu instid0(VALU_DEP_1)
	v_and_b32_e32 v6, 7, v91
; %bb.1568:                             ;   in Loop: Header=BB262_934 Depth=1
	s_or_b32 exec_lo, exec_lo, s16
	v_lshlrev_b32_e32 v17, 24, v90
	s_delay_alu instid0(VALU_DEP_2) | instskip(SKIP_1) | instid1(VALU_DEP_3)
	v_lshlrev_b32_e32 v6, 20, v6
	v_lshl_add_u32 v16, v16, 23, 0x3c000000
	v_and_b32_e32 v17, 0x80000000, v17
	s_delay_alu instid0(VALU_DEP_1) | instskip(NEXT) | instid1(VALU_DEP_1)
	v_or3_b32 v6, v6, v17, v16
	v_dual_mov_b32 v17, v7 :: v_dual_mov_b32 v16, v6
.LBB262_1569:                           ;   in Loop: Header=BB262_934 Depth=1
	s_or_b32 exec_lo, exec_lo, s15
.LBB262_1570:                           ;   in Loop: Header=BB262_934 Depth=1
	s_delay_alu instid0(SALU_CYCLE_1)
	s_or_b32 exec_lo, exec_lo, s13
.LBB262_1571:                           ;   in Loop: Header=BB262_934 Depth=1
	s_delay_alu instid0(SALU_CYCLE_1) | instskip(NEXT) | instid1(SALU_CYCLE_1)
	s_or_b32 exec_lo, exec_lo, s10
	s_mov_b32 s13, exec_lo
	v_cmpx_lt_u32_e32 0xffffff, v89
	s_cbranch_execz .LBB262_1579
; %bb.1572:                             ;   in Loop: Header=BB262_934 Depth=1
	v_lshrrev_b32_e32 v90, 24, v89
	v_dual_mov_b32 v19, s9 :: v_dual_mov_b32 v18, s8
	s_mov_b32 s15, exec_lo
	s_delay_alu instid0(VALU_DEP_2)
	v_cmpx_ne_u32_e32 0x80, v90
	s_cbranch_execz .LBB262_1578
; %bb.1573:                             ;   in Loop: Header=BB262_934 Depth=1
	s_mov_b32 s10, s8
	v_bfe_u32 v89, v89, 24, 7
	v_dual_mov_b32 v19, s11 :: v_dual_mov_b32 v18, s10
	s_mov_b32 s10, exec_lo
	s_delay_alu instid0(VALU_DEP_2)
	v_cmpx_ne_u32_e32 0x7f, v89
	s_cbranch_execz .LBB262_1577
; %bb.1574:                             ;   in Loop: Header=BB262_934 Depth=1
	v_and_b32_e32 v6, 7, v90
	v_lshrrev_b32_e32 v18, 3, v89
	s_mov_b32 s16, exec_lo
	v_cmpx_gt_u32_e32 8, v89
; %bb.1575:                             ;   in Loop: Header=BB262_934 Depth=1
	s_delay_alu instid0(VALU_DEP_3) | instskip(NEXT) | instid1(VALU_DEP_1)
	v_clz_i32_u32_e32 v18, v6
	v_min_u32_e32 v18, 32, v18
	s_delay_alu instid0(VALU_DEP_1) | instskip(SKIP_1) | instid1(VALU_DEP_2)
	v_subrev_nc_u32_e32 v19, 28, v18
	v_sub_nc_u32_e32 v18, 29, v18
	v_lshlrev_b64 v[91:92], v19, v[6:7]
	s_delay_alu instid0(VALU_DEP_1)
	v_and_b32_e32 v6, 7, v91
; %bb.1576:                             ;   in Loop: Header=BB262_934 Depth=1
	s_or_b32 exec_lo, exec_lo, s16
	v_lshlrev_b32_e32 v19, 24, v90
	s_delay_alu instid0(VALU_DEP_2) | instskip(SKIP_1) | instid1(VALU_DEP_3)
	v_lshlrev_b32_e32 v6, 20, v6
	v_lshl_add_u32 v18, v18, 23, 0x3c000000
	v_and_b32_e32 v19, 0x80000000, v19
	s_delay_alu instid0(VALU_DEP_1)
	v_or3_b32 v19, v6, v19, v18
	v_mov_b32_e32 v18, v7
.LBB262_1577:                           ;   in Loop: Header=BB262_934 Depth=1
	s_or_b32 exec_lo, exec_lo, s10
.LBB262_1578:                           ;   in Loop: Header=BB262_934 Depth=1
	s_delay_alu instid0(SALU_CYCLE_1)
	s_or_b32 exec_lo, exec_lo, s15
.LBB262_1579:                           ;   in Loop: Header=BB262_934 Depth=1
	s_delay_alu instid0(SALU_CYCLE_1) | instskip(SKIP_4) | instid1(VALU_DEP_4)
	s_or_b32 exec_lo, exec_lo, s13
	v_or_b32_e32 v5, v15, v5
	v_or_b32_e32 v4, v14, v4
	;; [unrolled: 1-line block ×4, first 2 shown]
	v_mul_f32_e32 v92, v83, v5
	s_delay_alu instid0(VALU_DEP_4) | instskip(NEXT) | instid1(VALU_DEP_4)
	v_mul_f32_e32 v91, v83, v4
	v_mul_f32_e32 v89, v83, v6
	s_delay_alu instid0(VALU_DEP_4)
	v_mul_f32_e32 v90, v83, v14
	s_and_saveexec_b32 s10, vcc_lo
; %bb.1580:                             ;   in Loop: Header=BB262_934 Depth=1
	v_cmp_lt_i32_e64 s0, v96, v22
	s_delay_alu instid0(VALU_DEP_1) | instskip(SKIP_1) | instid1(VALU_DEP_1)
	v_cndmask_b32_e64 v91, 0, v91, s0
	v_cmp_lt_i32_e64 s0, v99, v22
	v_cndmask_b32_e64 v92, 0, v92, s0
	v_cmp_lt_i32_e64 s0, v98, v22
	s_delay_alu instid0(VALU_DEP_1) | instskip(SKIP_1) | instid1(VALU_DEP_1)
	v_cndmask_b32_e64 v90, 0, v90, s0
	v_cmp_lt_i32_e64 s0, v97, v22
	v_cndmask_b32_e64 v89, 0, v89, s0
; %bb.1581:                             ;   in Loop: Header=BB262_934 Depth=1
	s_or_b32 exec_lo, exec_lo, s10
	flat_load_b32 v93, v[12:13] offset:2432
	v_mov_b32_e32 v14, 0
	v_mov_b32_e32 v15, 0
	s_mov_b32 s10, exec_lo
	s_waitcnt vmcnt(0) lgkmcnt(0)
	v_and_b32_e32 v6, 0xff, v93
	s_delay_alu instid0(VALU_DEP_2) | instskip(NEXT) | instid1(VALU_DEP_2)
	v_dual_mov_b32 v4, v14 :: v_dual_mov_b32 v5, v15
	v_cmpx_ne_u16_e32 0, v6
	s_cbranch_execz .LBB262_1589
; %bb.1582:                             ;   in Loop: Header=BB262_934 Depth=1
	v_bfrev_b32_e32 v4, 1
	v_mov_b32_e32 v5, 0
	s_mov_b32 s13, exec_lo
	v_cmpx_ne_u16_e32 0x80, v6
	s_cbranch_execz .LBB262_1588
; %bb.1583:                             ;   in Loop: Header=BB262_934 Depth=1
	v_mov_b32_e32 v4, 0x7f800001
	v_dual_mov_b32 v5, 0 :: v_dual_and_b32 v16, 0x7f, v93
	s_mov_b32 s15, exec_lo
	s_delay_alu instid0(VALU_DEP_1)
	v_cmpx_ne_u32_e32 0x7f, v16
	s_cbranch_execz .LBB262_1587
; %bb.1584:                             ;   in Loop: Header=BB262_934 Depth=1
	v_and_b32_e32 v6, 7, v93
	v_lshrrev_b32_e32 v4, 3, v16
	s_mov_b32 s16, exec_lo
	v_cmpx_gt_u32_e32 8, v16
; %bb.1585:                             ;   in Loop: Header=BB262_934 Depth=1
	s_delay_alu instid0(VALU_DEP_3) | instskip(NEXT) | instid1(VALU_DEP_1)
	v_clz_i32_u32_e32 v4, v6
	v_min_u32_e32 v4, 32, v4
	s_delay_alu instid0(VALU_DEP_1) | instskip(SKIP_1) | instid1(VALU_DEP_2)
	v_subrev_nc_u32_e32 v5, 28, v4
	v_sub_nc_u32_e32 v4, 29, v4
	v_lshlrev_b64 v[5:6], v5, v[6:7]
	s_delay_alu instid0(VALU_DEP_1)
	v_and_b32_e32 v6, 7, v5
; %bb.1586:                             ;   in Loop: Header=BB262_934 Depth=1
	s_or_b32 exec_lo, exec_lo, s16
	v_lshlrev_b32_e32 v5, 24, v93
	s_delay_alu instid0(VALU_DEP_2) | instskip(SKIP_1) | instid1(VALU_DEP_3)
	v_lshlrev_b32_e32 v6, 20, v6
	v_lshl_add_u32 v4, v4, 23, 0x3c000000
	v_and_b32_e32 v5, 0x80000000, v5
	s_delay_alu instid0(VALU_DEP_1) | instskip(NEXT) | instid1(VALU_DEP_1)
	v_or3_b32 v6, v6, v5, v4
	v_dual_mov_b32 v4, v6 :: v_dual_mov_b32 v5, v7
.LBB262_1587:                           ;   in Loop: Header=BB262_934 Depth=1
	s_or_b32 exec_lo, exec_lo, s15
.LBB262_1588:                           ;   in Loop: Header=BB262_934 Depth=1
	s_delay_alu instid0(SALU_CYCLE_1)
	s_or_b32 exec_lo, exec_lo, s13
.LBB262_1589:                           ;   in Loop: Header=BB262_934 Depth=1
	s_delay_alu instid0(SALU_CYCLE_1) | instskip(SKIP_2) | instid1(VALU_DEP_1)
	s_or_b32 exec_lo, exec_lo, s10
	v_lshrrev_b16 v6, 8, v93
	s_mov_b32 s13, exec_lo
	v_cmpx_ne_u16_e32 0, v6
	s_cbranch_execz .LBB262_1597
; %bb.1590:                             ;   in Loop: Header=BB262_934 Depth=1
	v_dual_mov_b32 v15, s9 :: v_dual_mov_b32 v14, s8
	s_mov_b32 s15, exec_lo
	v_cmpx_ne_u16_e32 0x80, v6
	s_cbranch_execz .LBB262_1596
; %bb.1591:                             ;   in Loop: Header=BB262_934 Depth=1
	s_mov_b32 s10, s8
	v_dual_mov_b32 v15, s11 :: v_dual_and_b32 v6, 0xffff, v6
	v_mov_b32_e32 v14, s10
	s_mov_b32 s10, exec_lo
	s_delay_alu instid0(VALU_DEP_2) | instskip(NEXT) | instid1(VALU_DEP_1)
	v_and_b32_e32 v16, 0x7f, v6
	v_cmpx_ne_u32_e32 0x7f, v16
	s_cbranch_execz .LBB262_1595
; %bb.1592:                             ;   in Loop: Header=BB262_934 Depth=1
	v_and_b32_e32 v6, 7, v6
	v_lshrrev_b32_e32 v14, 3, v16
	s_mov_b32 s16, exec_lo
	v_cmpx_gt_u32_e32 8, v16
; %bb.1593:                             ;   in Loop: Header=BB262_934 Depth=1
	s_delay_alu instid0(VALU_DEP_3) | instskip(NEXT) | instid1(VALU_DEP_1)
	v_clz_i32_u32_e32 v14, v6
	v_min_u32_e32 v14, 32, v14
	s_delay_alu instid0(VALU_DEP_1) | instskip(SKIP_1) | instid1(VALU_DEP_2)
	v_subrev_nc_u32_e32 v15, 28, v14
	v_sub_nc_u32_e32 v14, 29, v14
	v_lshlrev_b64 v[15:16], v15, v[6:7]
	s_delay_alu instid0(VALU_DEP_1)
	v_and_b32_e32 v6, 7, v15
; %bb.1594:                             ;   in Loop: Header=BB262_934 Depth=1
	s_or_b32 exec_lo, exec_lo, s16
	v_lshlrev_b32_e32 v15, 16, v93
	s_delay_alu instid0(VALU_DEP_2) | instskip(SKIP_1) | instid1(VALU_DEP_3)
	v_lshlrev_b32_e32 v6, 20, v6
	v_lshl_add_u32 v14, v14, 23, 0x3c000000
	v_and_b32_e32 v15, 0x80000000, v15
	s_delay_alu instid0(VALU_DEP_1)
	v_or3_b32 v15, v6, v15, v14
	v_mov_b32_e32 v14, v7
.LBB262_1595:                           ;   in Loop: Header=BB262_934 Depth=1
	s_or_b32 exec_lo, exec_lo, s10
.LBB262_1596:                           ;   in Loop: Header=BB262_934 Depth=1
	s_delay_alu instid0(SALU_CYCLE_1)
	s_or_b32 exec_lo, exec_lo, s15
.LBB262_1597:                           ;   in Loop: Header=BB262_934 Depth=1
	s_delay_alu instid0(SALU_CYCLE_1) | instskip(SKIP_4) | instid1(VALU_DEP_2)
	s_or_b32 exec_lo, exec_lo, s13
	v_mov_b32_e32 v18, 0
	v_lshrrev_b32_e32 v94, 16, v93
	v_mov_b32_e32 v19, 0
	s_mov_b32 s10, exec_lo
	v_and_b32_e32 v6, 0xff, v94
	s_delay_alu instid0(VALU_DEP_2) | instskip(NEXT) | instid1(VALU_DEP_2)
	v_dual_mov_b32 v16, v18 :: v_dual_mov_b32 v17, v19
	v_cmpx_ne_u16_e32 0, v6
	s_cbranch_execz .LBB262_1605
; %bb.1598:                             ;   in Loop: Header=BB262_934 Depth=1
	v_bfrev_b32_e32 v16, 1
	v_mov_b32_e32 v17, 0
	s_mov_b32 s13, exec_lo
	v_cmpx_ne_u16_e32 0x80, v6
	s_cbranch_execz .LBB262_1604
; %bb.1599:                             ;   in Loop: Header=BB262_934 Depth=1
	v_mov_b32_e32 v16, 0x7f800001
	v_bfe_u32 v95, v93, 16, 7
	v_mov_b32_e32 v17, 0
	s_mov_b32 s15, exec_lo
	s_delay_alu instid0(VALU_DEP_2)
	v_cmpx_ne_u32_e32 0x7f, v95
	s_cbranch_execz .LBB262_1603
; %bb.1600:                             ;   in Loop: Header=BB262_934 Depth=1
	v_and_b32_e32 v6, 7, v94
	v_lshrrev_b32_e32 v16, 3, v95
	s_mov_b32 s16, exec_lo
	v_cmpx_gt_u32_e32 8, v95
; %bb.1601:                             ;   in Loop: Header=BB262_934 Depth=1
	s_delay_alu instid0(VALU_DEP_3) | instskip(NEXT) | instid1(VALU_DEP_1)
	v_clz_i32_u32_e32 v16, v6
	v_min_u32_e32 v16, 32, v16
	s_delay_alu instid0(VALU_DEP_1) | instskip(SKIP_1) | instid1(VALU_DEP_2)
	v_subrev_nc_u32_e32 v17, 28, v16
	v_sub_nc_u32_e32 v16, 29, v16
	v_lshlrev_b64 v[104:105], v17, v[6:7]
	s_delay_alu instid0(VALU_DEP_1)
	v_and_b32_e32 v6, 7, v104
; %bb.1602:                             ;   in Loop: Header=BB262_934 Depth=1
	s_or_b32 exec_lo, exec_lo, s16
	v_lshlrev_b32_e32 v17, 24, v94
	s_delay_alu instid0(VALU_DEP_2) | instskip(SKIP_1) | instid1(VALU_DEP_3)
	v_lshlrev_b32_e32 v6, 20, v6
	v_lshl_add_u32 v16, v16, 23, 0x3c000000
	v_and_b32_e32 v17, 0x80000000, v17
	s_delay_alu instid0(VALU_DEP_1) | instskip(NEXT) | instid1(VALU_DEP_1)
	v_or3_b32 v6, v6, v17, v16
	v_dual_mov_b32 v17, v7 :: v_dual_mov_b32 v16, v6
.LBB262_1603:                           ;   in Loop: Header=BB262_934 Depth=1
	s_or_b32 exec_lo, exec_lo, s15
.LBB262_1604:                           ;   in Loop: Header=BB262_934 Depth=1
	s_delay_alu instid0(SALU_CYCLE_1)
	s_or_b32 exec_lo, exec_lo, s13
.LBB262_1605:                           ;   in Loop: Header=BB262_934 Depth=1
	s_delay_alu instid0(SALU_CYCLE_1) | instskip(NEXT) | instid1(SALU_CYCLE_1)
	s_or_b32 exec_lo, exec_lo, s10
	s_mov_b32 s13, exec_lo
	v_cmpx_lt_u32_e32 0xffffff, v93
	s_cbranch_execz .LBB262_1613
; %bb.1606:                             ;   in Loop: Header=BB262_934 Depth=1
	v_lshrrev_b32_e32 v94, 24, v93
	v_dual_mov_b32 v19, s9 :: v_dual_mov_b32 v18, s8
	s_mov_b32 s15, exec_lo
	s_delay_alu instid0(VALU_DEP_2)
	v_cmpx_ne_u32_e32 0x80, v94
	s_cbranch_execz .LBB262_1612
; %bb.1607:                             ;   in Loop: Header=BB262_934 Depth=1
	s_mov_b32 s10, s8
	v_bfe_u32 v93, v93, 24, 7
	v_dual_mov_b32 v19, s11 :: v_dual_mov_b32 v18, s10
	s_mov_b32 s10, exec_lo
	s_delay_alu instid0(VALU_DEP_2)
	v_cmpx_ne_u32_e32 0x7f, v93
	s_cbranch_execz .LBB262_1611
; %bb.1608:                             ;   in Loop: Header=BB262_934 Depth=1
	v_and_b32_e32 v6, 7, v94
	v_lshrrev_b32_e32 v18, 3, v93
	s_mov_b32 s16, exec_lo
	v_cmpx_gt_u32_e32 8, v93
; %bb.1609:                             ;   in Loop: Header=BB262_934 Depth=1
	s_delay_alu instid0(VALU_DEP_3) | instskip(NEXT) | instid1(VALU_DEP_1)
	v_clz_i32_u32_e32 v18, v6
	v_min_u32_e32 v18, 32, v18
	s_delay_alu instid0(VALU_DEP_1) | instskip(SKIP_1) | instid1(VALU_DEP_2)
	v_subrev_nc_u32_e32 v19, 28, v18
	v_sub_nc_u32_e32 v18, 29, v18
	v_lshlrev_b64 v[104:105], v19, v[6:7]
	s_delay_alu instid0(VALU_DEP_1)
	v_and_b32_e32 v6, 7, v104
; %bb.1610:                             ;   in Loop: Header=BB262_934 Depth=1
	s_or_b32 exec_lo, exec_lo, s16
	v_lshlrev_b32_e32 v19, 24, v94
	s_delay_alu instid0(VALU_DEP_2) | instskip(SKIP_1) | instid1(VALU_DEP_3)
	v_lshlrev_b32_e32 v6, 20, v6
	v_lshl_add_u32 v18, v18, 23, 0x3c000000
	v_and_b32_e32 v19, 0x80000000, v19
	s_delay_alu instid0(VALU_DEP_1)
	v_or3_b32 v19, v6, v19, v18
	v_mov_b32_e32 v18, v7
.LBB262_1611:                           ;   in Loop: Header=BB262_934 Depth=1
	s_or_b32 exec_lo, exec_lo, s10
.LBB262_1612:                           ;   in Loop: Header=BB262_934 Depth=1
	s_delay_alu instid0(SALU_CYCLE_1)
	s_or_b32 exec_lo, exec_lo, s15
.LBB262_1613:                           ;   in Loop: Header=BB262_934 Depth=1
	s_delay_alu instid0(SALU_CYCLE_1) | instskip(SKIP_4) | instid1(VALU_DEP_4)
	s_or_b32 exec_lo, exec_lo, s13
	v_or_b32_e32 v5, v15, v5
	v_or_b32_e32 v4, v14, v4
	;; [unrolled: 1-line block ×4, first 2 shown]
	v_mul_f32_e32 v104, v83, v5
	s_delay_alu instid0(VALU_DEP_4) | instskip(NEXT) | instid1(VALU_DEP_4)
	v_mul_f32_e32 v95, v83, v4
	v_mul_f32_e32 v93, v83, v6
	s_delay_alu instid0(VALU_DEP_4)
	v_mul_f32_e32 v94, v83, v14
	s_and_saveexec_b32 s10, vcc_lo
; %bb.1614:                             ;   in Loop: Header=BB262_934 Depth=1
	v_cmp_lt_i32_e64 s0, v96, v22
	s_delay_alu instid0(VALU_DEP_1) | instskip(SKIP_1) | instid1(VALU_DEP_1)
	v_cndmask_b32_e64 v95, 0, v95, s0
	v_cmp_lt_i32_e64 s0, v99, v22
	v_cndmask_b32_e64 v104, 0, v104, s0
	v_cmp_lt_i32_e64 s0, v98, v22
	s_delay_alu instid0(VALU_DEP_1) | instskip(SKIP_1) | instid1(VALU_DEP_1)
	v_cndmask_b32_e64 v94, 0, v94, s0
	v_cmp_lt_i32_e64 s0, v97, v22
	v_cndmask_b32_e64 v93, 0, v93, s0
; %bb.1615:                             ;   in Loop: Header=BB262_934 Depth=1
	s_or_b32 exec_lo, exec_lo, s10
	flat_load_b32 v105, v[12:13] offset:2560
	v_mov_b32_e32 v14, 0
	v_mov_b32_e32 v15, 0
	s_mov_b32 s10, exec_lo
	s_waitcnt vmcnt(0) lgkmcnt(0)
	v_and_b32_e32 v6, 0xff, v105
	s_delay_alu instid0(VALU_DEP_2) | instskip(NEXT) | instid1(VALU_DEP_2)
	v_dual_mov_b32 v4, v14 :: v_dual_mov_b32 v5, v15
	v_cmpx_ne_u16_e32 0, v6
	s_cbranch_execz .LBB262_1623
; %bb.1616:                             ;   in Loop: Header=BB262_934 Depth=1
	v_bfrev_b32_e32 v4, 1
	v_mov_b32_e32 v5, 0
	s_mov_b32 s13, exec_lo
	v_cmpx_ne_u16_e32 0x80, v6
	s_cbranch_execz .LBB262_1622
; %bb.1617:                             ;   in Loop: Header=BB262_934 Depth=1
	v_mov_b32_e32 v4, 0x7f800001
	v_dual_mov_b32 v5, 0 :: v_dual_and_b32 v16, 0x7f, v105
	s_mov_b32 s15, exec_lo
	s_delay_alu instid0(VALU_DEP_1)
	v_cmpx_ne_u32_e32 0x7f, v16
	s_cbranch_execz .LBB262_1621
; %bb.1618:                             ;   in Loop: Header=BB262_934 Depth=1
	v_and_b32_e32 v6, 7, v105
	v_lshrrev_b32_e32 v4, 3, v16
	s_mov_b32 s16, exec_lo
	v_cmpx_gt_u32_e32 8, v16
; %bb.1619:                             ;   in Loop: Header=BB262_934 Depth=1
	s_delay_alu instid0(VALU_DEP_3) | instskip(NEXT) | instid1(VALU_DEP_1)
	v_clz_i32_u32_e32 v4, v6
	v_min_u32_e32 v4, 32, v4
	s_delay_alu instid0(VALU_DEP_1) | instskip(SKIP_1) | instid1(VALU_DEP_2)
	v_subrev_nc_u32_e32 v5, 28, v4
	v_sub_nc_u32_e32 v4, 29, v4
	v_lshlrev_b64 v[5:6], v5, v[6:7]
	s_delay_alu instid0(VALU_DEP_1)
	v_and_b32_e32 v6, 7, v5
; %bb.1620:                             ;   in Loop: Header=BB262_934 Depth=1
	s_or_b32 exec_lo, exec_lo, s16
	v_lshlrev_b32_e32 v5, 24, v105
	s_delay_alu instid0(VALU_DEP_2) | instskip(SKIP_1) | instid1(VALU_DEP_3)
	v_lshlrev_b32_e32 v6, 20, v6
	v_lshl_add_u32 v4, v4, 23, 0x3c000000
	v_and_b32_e32 v5, 0x80000000, v5
	s_delay_alu instid0(VALU_DEP_1) | instskip(NEXT) | instid1(VALU_DEP_1)
	v_or3_b32 v6, v6, v5, v4
	v_dual_mov_b32 v4, v6 :: v_dual_mov_b32 v5, v7
.LBB262_1621:                           ;   in Loop: Header=BB262_934 Depth=1
	s_or_b32 exec_lo, exec_lo, s15
.LBB262_1622:                           ;   in Loop: Header=BB262_934 Depth=1
	s_delay_alu instid0(SALU_CYCLE_1)
	s_or_b32 exec_lo, exec_lo, s13
.LBB262_1623:                           ;   in Loop: Header=BB262_934 Depth=1
	s_delay_alu instid0(SALU_CYCLE_1) | instskip(SKIP_2) | instid1(VALU_DEP_1)
	s_or_b32 exec_lo, exec_lo, s10
	v_lshrrev_b16 v6, 8, v105
	s_mov_b32 s13, exec_lo
	v_cmpx_ne_u16_e32 0, v6
	s_cbranch_execz .LBB262_1631
; %bb.1624:                             ;   in Loop: Header=BB262_934 Depth=1
	v_dual_mov_b32 v15, s9 :: v_dual_mov_b32 v14, s8
	s_mov_b32 s15, exec_lo
	v_cmpx_ne_u16_e32 0x80, v6
	s_cbranch_execz .LBB262_1630
; %bb.1625:                             ;   in Loop: Header=BB262_934 Depth=1
	s_mov_b32 s10, s8
	v_dual_mov_b32 v15, s11 :: v_dual_and_b32 v6, 0xffff, v6
	v_mov_b32_e32 v14, s10
	s_mov_b32 s10, exec_lo
	s_delay_alu instid0(VALU_DEP_2) | instskip(NEXT) | instid1(VALU_DEP_1)
	v_and_b32_e32 v16, 0x7f, v6
	v_cmpx_ne_u32_e32 0x7f, v16
	s_cbranch_execz .LBB262_1629
; %bb.1626:                             ;   in Loop: Header=BB262_934 Depth=1
	v_and_b32_e32 v6, 7, v6
	v_lshrrev_b32_e32 v14, 3, v16
	s_mov_b32 s16, exec_lo
	v_cmpx_gt_u32_e32 8, v16
; %bb.1627:                             ;   in Loop: Header=BB262_934 Depth=1
	s_delay_alu instid0(VALU_DEP_3) | instskip(NEXT) | instid1(VALU_DEP_1)
	v_clz_i32_u32_e32 v14, v6
	v_min_u32_e32 v14, 32, v14
	s_delay_alu instid0(VALU_DEP_1) | instskip(SKIP_1) | instid1(VALU_DEP_2)
	v_subrev_nc_u32_e32 v15, 28, v14
	v_sub_nc_u32_e32 v14, 29, v14
	v_lshlrev_b64 v[15:16], v15, v[6:7]
	s_delay_alu instid0(VALU_DEP_1)
	v_and_b32_e32 v6, 7, v15
; %bb.1628:                             ;   in Loop: Header=BB262_934 Depth=1
	s_or_b32 exec_lo, exec_lo, s16
	v_lshlrev_b32_e32 v15, 16, v105
	s_delay_alu instid0(VALU_DEP_2) | instskip(SKIP_1) | instid1(VALU_DEP_3)
	v_lshlrev_b32_e32 v6, 20, v6
	v_lshl_add_u32 v14, v14, 23, 0x3c000000
	v_and_b32_e32 v15, 0x80000000, v15
	s_delay_alu instid0(VALU_DEP_1)
	v_or3_b32 v15, v6, v15, v14
	v_mov_b32_e32 v14, v7
.LBB262_1629:                           ;   in Loop: Header=BB262_934 Depth=1
	s_or_b32 exec_lo, exec_lo, s10
.LBB262_1630:                           ;   in Loop: Header=BB262_934 Depth=1
	s_delay_alu instid0(SALU_CYCLE_1)
	s_or_b32 exec_lo, exec_lo, s15
.LBB262_1631:                           ;   in Loop: Header=BB262_934 Depth=1
	s_delay_alu instid0(SALU_CYCLE_1) | instskip(SKIP_4) | instid1(VALU_DEP_2)
	s_or_b32 exec_lo, exec_lo, s13
	v_mov_b32_e32 v18, 0
	v_lshrrev_b32_e32 v106, 16, v105
	v_mov_b32_e32 v19, 0
	s_mov_b32 s10, exec_lo
	v_and_b32_e32 v6, 0xff, v106
	s_delay_alu instid0(VALU_DEP_2) | instskip(NEXT) | instid1(VALU_DEP_2)
	v_dual_mov_b32 v16, v18 :: v_dual_mov_b32 v17, v19
	v_cmpx_ne_u16_e32 0, v6
	s_cbranch_execz .LBB262_1639
; %bb.1632:                             ;   in Loop: Header=BB262_934 Depth=1
	v_bfrev_b32_e32 v16, 1
	v_mov_b32_e32 v17, 0
	s_mov_b32 s13, exec_lo
	v_cmpx_ne_u16_e32 0x80, v6
	s_cbranch_execz .LBB262_1638
; %bb.1633:                             ;   in Loop: Header=BB262_934 Depth=1
	v_mov_b32_e32 v16, 0x7f800001
	v_bfe_u32 v107, v105, 16, 7
	v_mov_b32_e32 v17, 0
	s_mov_b32 s15, exec_lo
	s_delay_alu instid0(VALU_DEP_2)
	v_cmpx_ne_u32_e32 0x7f, v107
	s_cbranch_execz .LBB262_1637
; %bb.1634:                             ;   in Loop: Header=BB262_934 Depth=1
	v_and_b32_e32 v6, 7, v106
	v_lshrrev_b32_e32 v16, 3, v107
	s_mov_b32 s16, exec_lo
	v_cmpx_gt_u32_e32 8, v107
; %bb.1635:                             ;   in Loop: Header=BB262_934 Depth=1
	s_delay_alu instid0(VALU_DEP_3) | instskip(NEXT) | instid1(VALU_DEP_1)
	v_clz_i32_u32_e32 v16, v6
	v_min_u32_e32 v16, 32, v16
	s_delay_alu instid0(VALU_DEP_1) | instskip(SKIP_1) | instid1(VALU_DEP_2)
	v_subrev_nc_u32_e32 v17, 28, v16
	v_sub_nc_u32_e32 v16, 29, v16
	v_lshlrev_b64 v[107:108], v17, v[6:7]
	s_delay_alu instid0(VALU_DEP_1)
	v_and_b32_e32 v6, 7, v107
; %bb.1636:                             ;   in Loop: Header=BB262_934 Depth=1
	s_or_b32 exec_lo, exec_lo, s16
	v_lshlrev_b32_e32 v17, 24, v106
	s_delay_alu instid0(VALU_DEP_2) | instskip(SKIP_1) | instid1(VALU_DEP_3)
	v_lshlrev_b32_e32 v6, 20, v6
	v_lshl_add_u32 v16, v16, 23, 0x3c000000
	v_and_b32_e32 v17, 0x80000000, v17
	s_delay_alu instid0(VALU_DEP_1) | instskip(NEXT) | instid1(VALU_DEP_1)
	v_or3_b32 v6, v6, v17, v16
	v_dual_mov_b32 v17, v7 :: v_dual_mov_b32 v16, v6
.LBB262_1637:                           ;   in Loop: Header=BB262_934 Depth=1
	s_or_b32 exec_lo, exec_lo, s15
.LBB262_1638:                           ;   in Loop: Header=BB262_934 Depth=1
	s_delay_alu instid0(SALU_CYCLE_1)
	s_or_b32 exec_lo, exec_lo, s13
.LBB262_1639:                           ;   in Loop: Header=BB262_934 Depth=1
	s_delay_alu instid0(SALU_CYCLE_1) | instskip(NEXT) | instid1(SALU_CYCLE_1)
	s_or_b32 exec_lo, exec_lo, s10
	s_mov_b32 s13, exec_lo
	v_cmpx_lt_u32_e32 0xffffff, v105
	s_cbranch_execz .LBB262_1647
; %bb.1640:                             ;   in Loop: Header=BB262_934 Depth=1
	v_lshrrev_b32_e32 v106, 24, v105
	v_dual_mov_b32 v19, s9 :: v_dual_mov_b32 v18, s8
	s_mov_b32 s15, exec_lo
	s_delay_alu instid0(VALU_DEP_2)
	v_cmpx_ne_u32_e32 0x80, v106
	s_cbranch_execz .LBB262_1646
; %bb.1641:                             ;   in Loop: Header=BB262_934 Depth=1
	s_mov_b32 s10, s8
	v_bfe_u32 v105, v105, 24, 7
	v_dual_mov_b32 v19, s11 :: v_dual_mov_b32 v18, s10
	s_mov_b32 s10, exec_lo
	s_delay_alu instid0(VALU_DEP_2)
	v_cmpx_ne_u32_e32 0x7f, v105
	s_cbranch_execz .LBB262_1645
; %bb.1642:                             ;   in Loop: Header=BB262_934 Depth=1
	v_and_b32_e32 v6, 7, v106
	v_lshrrev_b32_e32 v18, 3, v105
	s_mov_b32 s16, exec_lo
	v_cmpx_gt_u32_e32 8, v105
; %bb.1643:                             ;   in Loop: Header=BB262_934 Depth=1
	s_delay_alu instid0(VALU_DEP_3) | instskip(NEXT) | instid1(VALU_DEP_1)
	v_clz_i32_u32_e32 v18, v6
	v_min_u32_e32 v18, 32, v18
	s_delay_alu instid0(VALU_DEP_1) | instskip(SKIP_1) | instid1(VALU_DEP_2)
	v_subrev_nc_u32_e32 v19, 28, v18
	v_sub_nc_u32_e32 v18, 29, v18
	v_lshlrev_b64 v[107:108], v19, v[6:7]
	s_delay_alu instid0(VALU_DEP_1)
	v_and_b32_e32 v6, 7, v107
; %bb.1644:                             ;   in Loop: Header=BB262_934 Depth=1
	s_or_b32 exec_lo, exec_lo, s16
	v_lshlrev_b32_e32 v19, 24, v106
	s_delay_alu instid0(VALU_DEP_2) | instskip(SKIP_1) | instid1(VALU_DEP_3)
	v_lshlrev_b32_e32 v6, 20, v6
	v_lshl_add_u32 v18, v18, 23, 0x3c000000
	v_and_b32_e32 v19, 0x80000000, v19
	s_delay_alu instid0(VALU_DEP_1)
	v_or3_b32 v19, v6, v19, v18
	v_mov_b32_e32 v18, v7
.LBB262_1645:                           ;   in Loop: Header=BB262_934 Depth=1
	s_or_b32 exec_lo, exec_lo, s10
.LBB262_1646:                           ;   in Loop: Header=BB262_934 Depth=1
	s_delay_alu instid0(SALU_CYCLE_1)
	s_or_b32 exec_lo, exec_lo, s15
.LBB262_1647:                           ;   in Loop: Header=BB262_934 Depth=1
	s_delay_alu instid0(SALU_CYCLE_1) | instskip(SKIP_4) | instid1(VALU_DEP_4)
	s_or_b32 exec_lo, exec_lo, s13
	v_or_b32_e32 v5, v15, v5
	v_or_b32_e32 v4, v14, v4
	v_or_b32_e32 v6, v19, v17
	v_or_b32_e32 v14, v18, v16
	v_mul_f32_e32 v108, v83, v5
	s_delay_alu instid0(VALU_DEP_4) | instskip(NEXT) | instid1(VALU_DEP_4)
	v_mul_f32_e32 v107, v83, v4
	v_mul_f32_e32 v105, v83, v6
	s_delay_alu instid0(VALU_DEP_4)
	v_mul_f32_e32 v106, v83, v14
	s_and_saveexec_b32 s10, vcc_lo
; %bb.1648:                             ;   in Loop: Header=BB262_934 Depth=1
	v_cmp_lt_i32_e64 s0, v96, v22
	s_delay_alu instid0(VALU_DEP_1) | instskip(SKIP_1) | instid1(VALU_DEP_1)
	v_cndmask_b32_e64 v107, 0, v107, s0
	v_cmp_lt_i32_e64 s0, v99, v22
	v_cndmask_b32_e64 v108, 0, v108, s0
	v_cmp_lt_i32_e64 s0, v98, v22
	s_delay_alu instid0(VALU_DEP_1) | instskip(SKIP_1) | instid1(VALU_DEP_1)
	v_cndmask_b32_e64 v106, 0, v106, s0
	v_cmp_lt_i32_e64 s0, v97, v22
	v_cndmask_b32_e64 v105, 0, v105, s0
; %bb.1649:                             ;   in Loop: Header=BB262_934 Depth=1
	s_or_b32 exec_lo, exec_lo, s10
	flat_load_b32 v109, v[12:13] offset:2688
	v_mov_b32_e32 v14, 0
	v_mov_b32_e32 v15, 0
	s_mov_b32 s10, exec_lo
	s_waitcnt vmcnt(0) lgkmcnt(0)
	v_and_b32_e32 v6, 0xff, v109
	s_delay_alu instid0(VALU_DEP_2) | instskip(NEXT) | instid1(VALU_DEP_2)
	v_dual_mov_b32 v4, v14 :: v_dual_mov_b32 v5, v15
	v_cmpx_ne_u16_e32 0, v6
	s_cbranch_execz .LBB262_1657
; %bb.1650:                             ;   in Loop: Header=BB262_934 Depth=1
	v_bfrev_b32_e32 v4, 1
	v_mov_b32_e32 v5, 0
	s_mov_b32 s13, exec_lo
	v_cmpx_ne_u16_e32 0x80, v6
	s_cbranch_execz .LBB262_1656
; %bb.1651:                             ;   in Loop: Header=BB262_934 Depth=1
	v_mov_b32_e32 v4, 0x7f800001
	v_dual_mov_b32 v5, 0 :: v_dual_and_b32 v16, 0x7f, v109
	s_mov_b32 s15, exec_lo
	s_delay_alu instid0(VALU_DEP_1)
	v_cmpx_ne_u32_e32 0x7f, v16
	s_cbranch_execz .LBB262_1655
; %bb.1652:                             ;   in Loop: Header=BB262_934 Depth=1
	v_and_b32_e32 v6, 7, v109
	v_lshrrev_b32_e32 v4, 3, v16
	s_mov_b32 s16, exec_lo
	v_cmpx_gt_u32_e32 8, v16
; %bb.1653:                             ;   in Loop: Header=BB262_934 Depth=1
	s_delay_alu instid0(VALU_DEP_3) | instskip(NEXT) | instid1(VALU_DEP_1)
	v_clz_i32_u32_e32 v4, v6
	v_min_u32_e32 v4, 32, v4
	s_delay_alu instid0(VALU_DEP_1) | instskip(SKIP_1) | instid1(VALU_DEP_2)
	v_subrev_nc_u32_e32 v5, 28, v4
	v_sub_nc_u32_e32 v4, 29, v4
	v_lshlrev_b64 v[5:6], v5, v[6:7]
	s_delay_alu instid0(VALU_DEP_1)
	v_and_b32_e32 v6, 7, v5
; %bb.1654:                             ;   in Loop: Header=BB262_934 Depth=1
	s_or_b32 exec_lo, exec_lo, s16
	v_lshlrev_b32_e32 v5, 24, v109
	s_delay_alu instid0(VALU_DEP_2) | instskip(SKIP_1) | instid1(VALU_DEP_3)
	v_lshlrev_b32_e32 v6, 20, v6
	v_lshl_add_u32 v4, v4, 23, 0x3c000000
	v_and_b32_e32 v5, 0x80000000, v5
	s_delay_alu instid0(VALU_DEP_1) | instskip(NEXT) | instid1(VALU_DEP_1)
	v_or3_b32 v6, v6, v5, v4
	v_dual_mov_b32 v4, v6 :: v_dual_mov_b32 v5, v7
.LBB262_1655:                           ;   in Loop: Header=BB262_934 Depth=1
	s_or_b32 exec_lo, exec_lo, s15
.LBB262_1656:                           ;   in Loop: Header=BB262_934 Depth=1
	s_delay_alu instid0(SALU_CYCLE_1)
	s_or_b32 exec_lo, exec_lo, s13
.LBB262_1657:                           ;   in Loop: Header=BB262_934 Depth=1
	s_delay_alu instid0(SALU_CYCLE_1) | instskip(SKIP_2) | instid1(VALU_DEP_1)
	s_or_b32 exec_lo, exec_lo, s10
	v_lshrrev_b16 v6, 8, v109
	s_mov_b32 s13, exec_lo
	v_cmpx_ne_u16_e32 0, v6
	s_cbranch_execz .LBB262_1665
; %bb.1658:                             ;   in Loop: Header=BB262_934 Depth=1
	v_dual_mov_b32 v15, s9 :: v_dual_mov_b32 v14, s8
	s_mov_b32 s15, exec_lo
	v_cmpx_ne_u16_e32 0x80, v6
	s_cbranch_execz .LBB262_1664
; %bb.1659:                             ;   in Loop: Header=BB262_934 Depth=1
	s_mov_b32 s10, s8
	v_dual_mov_b32 v15, s11 :: v_dual_and_b32 v6, 0xffff, v6
	v_mov_b32_e32 v14, s10
	s_mov_b32 s10, exec_lo
	s_delay_alu instid0(VALU_DEP_2) | instskip(NEXT) | instid1(VALU_DEP_1)
	v_and_b32_e32 v16, 0x7f, v6
	v_cmpx_ne_u32_e32 0x7f, v16
	s_cbranch_execz .LBB262_1663
; %bb.1660:                             ;   in Loop: Header=BB262_934 Depth=1
	v_and_b32_e32 v6, 7, v6
	v_lshrrev_b32_e32 v14, 3, v16
	s_mov_b32 s16, exec_lo
	v_cmpx_gt_u32_e32 8, v16
; %bb.1661:                             ;   in Loop: Header=BB262_934 Depth=1
	s_delay_alu instid0(VALU_DEP_3) | instskip(NEXT) | instid1(VALU_DEP_1)
	v_clz_i32_u32_e32 v14, v6
	v_min_u32_e32 v14, 32, v14
	s_delay_alu instid0(VALU_DEP_1) | instskip(SKIP_1) | instid1(VALU_DEP_2)
	v_subrev_nc_u32_e32 v15, 28, v14
	v_sub_nc_u32_e32 v14, 29, v14
	v_lshlrev_b64 v[15:16], v15, v[6:7]
	s_delay_alu instid0(VALU_DEP_1)
	v_and_b32_e32 v6, 7, v15
; %bb.1662:                             ;   in Loop: Header=BB262_934 Depth=1
	s_or_b32 exec_lo, exec_lo, s16
	v_lshlrev_b32_e32 v15, 16, v109
	s_delay_alu instid0(VALU_DEP_2) | instskip(SKIP_1) | instid1(VALU_DEP_3)
	v_lshlrev_b32_e32 v6, 20, v6
	v_lshl_add_u32 v14, v14, 23, 0x3c000000
	v_and_b32_e32 v15, 0x80000000, v15
	s_delay_alu instid0(VALU_DEP_1)
	v_or3_b32 v15, v6, v15, v14
	v_mov_b32_e32 v14, v7
.LBB262_1663:                           ;   in Loop: Header=BB262_934 Depth=1
	s_or_b32 exec_lo, exec_lo, s10
.LBB262_1664:                           ;   in Loop: Header=BB262_934 Depth=1
	s_delay_alu instid0(SALU_CYCLE_1)
	s_or_b32 exec_lo, exec_lo, s15
.LBB262_1665:                           ;   in Loop: Header=BB262_934 Depth=1
	s_delay_alu instid0(SALU_CYCLE_1) | instskip(SKIP_4) | instid1(VALU_DEP_2)
	s_or_b32 exec_lo, exec_lo, s13
	v_mov_b32_e32 v18, 0
	v_lshrrev_b32_e32 v110, 16, v109
	v_mov_b32_e32 v19, 0
	s_mov_b32 s10, exec_lo
	v_and_b32_e32 v6, 0xff, v110
	s_delay_alu instid0(VALU_DEP_2) | instskip(NEXT) | instid1(VALU_DEP_2)
	v_dual_mov_b32 v16, v18 :: v_dual_mov_b32 v17, v19
	v_cmpx_ne_u16_e32 0, v6
	s_cbranch_execz .LBB262_1673
; %bb.1666:                             ;   in Loop: Header=BB262_934 Depth=1
	v_bfrev_b32_e32 v16, 1
	v_mov_b32_e32 v17, 0
	s_mov_b32 s13, exec_lo
	v_cmpx_ne_u16_e32 0x80, v6
	s_cbranch_execz .LBB262_1672
; %bb.1667:                             ;   in Loop: Header=BB262_934 Depth=1
	v_mov_b32_e32 v16, 0x7f800001
	v_bfe_u32 v111, v109, 16, 7
	v_mov_b32_e32 v17, 0
	s_mov_b32 s15, exec_lo
	s_delay_alu instid0(VALU_DEP_2)
	v_cmpx_ne_u32_e32 0x7f, v111
	s_cbranch_execz .LBB262_1671
; %bb.1668:                             ;   in Loop: Header=BB262_934 Depth=1
	v_and_b32_e32 v6, 7, v110
	v_lshrrev_b32_e32 v16, 3, v111
	s_mov_b32 s16, exec_lo
	v_cmpx_gt_u32_e32 8, v111
; %bb.1669:                             ;   in Loop: Header=BB262_934 Depth=1
	s_delay_alu instid0(VALU_DEP_3) | instskip(NEXT) | instid1(VALU_DEP_1)
	v_clz_i32_u32_e32 v16, v6
	v_min_u32_e32 v16, 32, v16
	s_delay_alu instid0(VALU_DEP_1) | instskip(SKIP_1) | instid1(VALU_DEP_2)
	v_subrev_nc_u32_e32 v17, 28, v16
	v_sub_nc_u32_e32 v16, 29, v16
	v_lshlrev_b64 v[120:121], v17, v[6:7]
	s_delay_alu instid0(VALU_DEP_1)
	v_and_b32_e32 v6, 7, v120
; %bb.1670:                             ;   in Loop: Header=BB262_934 Depth=1
	s_or_b32 exec_lo, exec_lo, s16
	v_lshlrev_b32_e32 v17, 24, v110
	s_delay_alu instid0(VALU_DEP_2) | instskip(SKIP_1) | instid1(VALU_DEP_3)
	v_lshlrev_b32_e32 v6, 20, v6
	v_lshl_add_u32 v16, v16, 23, 0x3c000000
	v_and_b32_e32 v17, 0x80000000, v17
	s_delay_alu instid0(VALU_DEP_1) | instskip(NEXT) | instid1(VALU_DEP_1)
	v_or3_b32 v6, v6, v17, v16
	v_dual_mov_b32 v17, v7 :: v_dual_mov_b32 v16, v6
.LBB262_1671:                           ;   in Loop: Header=BB262_934 Depth=1
	s_or_b32 exec_lo, exec_lo, s15
.LBB262_1672:                           ;   in Loop: Header=BB262_934 Depth=1
	s_delay_alu instid0(SALU_CYCLE_1)
	s_or_b32 exec_lo, exec_lo, s13
.LBB262_1673:                           ;   in Loop: Header=BB262_934 Depth=1
	s_delay_alu instid0(SALU_CYCLE_1) | instskip(NEXT) | instid1(SALU_CYCLE_1)
	s_or_b32 exec_lo, exec_lo, s10
	s_mov_b32 s13, exec_lo
	v_cmpx_lt_u32_e32 0xffffff, v109
	s_cbranch_execz .LBB262_1681
; %bb.1674:                             ;   in Loop: Header=BB262_934 Depth=1
	v_lshrrev_b32_e32 v110, 24, v109
	v_dual_mov_b32 v19, s9 :: v_dual_mov_b32 v18, s8
	s_mov_b32 s15, exec_lo
	s_delay_alu instid0(VALU_DEP_2)
	v_cmpx_ne_u32_e32 0x80, v110
	s_cbranch_execz .LBB262_1680
; %bb.1675:                             ;   in Loop: Header=BB262_934 Depth=1
	s_mov_b32 s10, s8
	v_bfe_u32 v109, v109, 24, 7
	v_dual_mov_b32 v19, s11 :: v_dual_mov_b32 v18, s10
	s_mov_b32 s10, exec_lo
	s_delay_alu instid0(VALU_DEP_2)
	v_cmpx_ne_u32_e32 0x7f, v109
	s_cbranch_execz .LBB262_1679
; %bb.1676:                             ;   in Loop: Header=BB262_934 Depth=1
	v_and_b32_e32 v6, 7, v110
	v_lshrrev_b32_e32 v18, 3, v109
	s_mov_b32 s16, exec_lo
	v_cmpx_gt_u32_e32 8, v109
; %bb.1677:                             ;   in Loop: Header=BB262_934 Depth=1
	s_delay_alu instid0(VALU_DEP_3) | instskip(NEXT) | instid1(VALU_DEP_1)
	v_clz_i32_u32_e32 v18, v6
	v_min_u32_e32 v18, 32, v18
	s_delay_alu instid0(VALU_DEP_1) | instskip(SKIP_1) | instid1(VALU_DEP_2)
	v_subrev_nc_u32_e32 v19, 28, v18
	v_sub_nc_u32_e32 v18, 29, v18
	v_lshlrev_b64 v[120:121], v19, v[6:7]
	s_delay_alu instid0(VALU_DEP_1)
	v_and_b32_e32 v6, 7, v120
; %bb.1678:                             ;   in Loop: Header=BB262_934 Depth=1
	s_or_b32 exec_lo, exec_lo, s16
	v_lshlrev_b32_e32 v19, 24, v110
	s_delay_alu instid0(VALU_DEP_2) | instskip(SKIP_1) | instid1(VALU_DEP_3)
	v_lshlrev_b32_e32 v6, 20, v6
	v_lshl_add_u32 v18, v18, 23, 0x3c000000
	v_and_b32_e32 v19, 0x80000000, v19
	s_delay_alu instid0(VALU_DEP_1)
	v_or3_b32 v19, v6, v19, v18
	v_mov_b32_e32 v18, v7
.LBB262_1679:                           ;   in Loop: Header=BB262_934 Depth=1
	s_or_b32 exec_lo, exec_lo, s10
.LBB262_1680:                           ;   in Loop: Header=BB262_934 Depth=1
	s_delay_alu instid0(SALU_CYCLE_1)
	s_or_b32 exec_lo, exec_lo, s15
.LBB262_1681:                           ;   in Loop: Header=BB262_934 Depth=1
	s_delay_alu instid0(SALU_CYCLE_1) | instskip(SKIP_4) | instid1(VALU_DEP_4)
	s_or_b32 exec_lo, exec_lo, s13
	v_or_b32_e32 v5, v15, v5
	v_or_b32_e32 v4, v14, v4
	;; [unrolled: 1-line block ×4, first 2 shown]
	v_mul_f32_e32 v120, v83, v5
	s_delay_alu instid0(VALU_DEP_4) | instskip(NEXT) | instid1(VALU_DEP_4)
	v_mul_f32_e32 v111, v83, v4
	v_mul_f32_e32 v109, v83, v6
	s_delay_alu instid0(VALU_DEP_4)
	v_mul_f32_e32 v110, v83, v14
	s_and_saveexec_b32 s10, vcc_lo
; %bb.1682:                             ;   in Loop: Header=BB262_934 Depth=1
	v_cmp_lt_i32_e64 s0, v96, v22
	s_delay_alu instid0(VALU_DEP_1) | instskip(SKIP_1) | instid1(VALU_DEP_1)
	v_cndmask_b32_e64 v111, 0, v111, s0
	v_cmp_lt_i32_e64 s0, v99, v22
	v_cndmask_b32_e64 v120, 0, v120, s0
	v_cmp_lt_i32_e64 s0, v98, v22
	s_delay_alu instid0(VALU_DEP_1) | instskip(SKIP_1) | instid1(VALU_DEP_1)
	v_cndmask_b32_e64 v110, 0, v110, s0
	v_cmp_lt_i32_e64 s0, v97, v22
	v_cndmask_b32_e64 v109, 0, v109, s0
; %bb.1683:                             ;   in Loop: Header=BB262_934 Depth=1
	s_or_b32 exec_lo, exec_lo, s10
	flat_load_b32 v121, v[12:13] offset:2816
	v_mov_b32_e32 v14, 0
	v_mov_b32_e32 v15, 0
	s_mov_b32 s10, exec_lo
	s_waitcnt vmcnt(0) lgkmcnt(0)
	v_and_b32_e32 v6, 0xff, v121
	s_delay_alu instid0(VALU_DEP_2) | instskip(NEXT) | instid1(VALU_DEP_2)
	v_dual_mov_b32 v4, v14 :: v_dual_mov_b32 v5, v15
	v_cmpx_ne_u16_e32 0, v6
	s_cbranch_execz .LBB262_1691
; %bb.1684:                             ;   in Loop: Header=BB262_934 Depth=1
	v_bfrev_b32_e32 v4, 1
	v_mov_b32_e32 v5, 0
	s_mov_b32 s13, exec_lo
	v_cmpx_ne_u16_e32 0x80, v6
	s_cbranch_execz .LBB262_1690
; %bb.1685:                             ;   in Loop: Header=BB262_934 Depth=1
	v_mov_b32_e32 v4, 0x7f800001
	v_dual_mov_b32 v5, 0 :: v_dual_and_b32 v16, 0x7f, v121
	s_mov_b32 s15, exec_lo
	s_delay_alu instid0(VALU_DEP_1)
	v_cmpx_ne_u32_e32 0x7f, v16
	s_cbranch_execz .LBB262_1689
; %bb.1686:                             ;   in Loop: Header=BB262_934 Depth=1
	v_and_b32_e32 v6, 7, v121
	v_lshrrev_b32_e32 v4, 3, v16
	s_mov_b32 s16, exec_lo
	v_cmpx_gt_u32_e32 8, v16
; %bb.1687:                             ;   in Loop: Header=BB262_934 Depth=1
	s_delay_alu instid0(VALU_DEP_3) | instskip(NEXT) | instid1(VALU_DEP_1)
	v_clz_i32_u32_e32 v4, v6
	v_min_u32_e32 v4, 32, v4
	s_delay_alu instid0(VALU_DEP_1) | instskip(SKIP_1) | instid1(VALU_DEP_2)
	v_subrev_nc_u32_e32 v5, 28, v4
	v_sub_nc_u32_e32 v4, 29, v4
	v_lshlrev_b64 v[5:6], v5, v[6:7]
	s_delay_alu instid0(VALU_DEP_1)
	v_and_b32_e32 v6, 7, v5
; %bb.1688:                             ;   in Loop: Header=BB262_934 Depth=1
	s_or_b32 exec_lo, exec_lo, s16
	v_lshlrev_b32_e32 v5, 24, v121
	s_delay_alu instid0(VALU_DEP_2) | instskip(SKIP_1) | instid1(VALU_DEP_3)
	v_lshlrev_b32_e32 v6, 20, v6
	v_lshl_add_u32 v4, v4, 23, 0x3c000000
	v_and_b32_e32 v5, 0x80000000, v5
	s_delay_alu instid0(VALU_DEP_1) | instskip(NEXT) | instid1(VALU_DEP_1)
	v_or3_b32 v6, v6, v5, v4
	v_dual_mov_b32 v4, v6 :: v_dual_mov_b32 v5, v7
.LBB262_1689:                           ;   in Loop: Header=BB262_934 Depth=1
	s_or_b32 exec_lo, exec_lo, s15
.LBB262_1690:                           ;   in Loop: Header=BB262_934 Depth=1
	s_delay_alu instid0(SALU_CYCLE_1)
	s_or_b32 exec_lo, exec_lo, s13
.LBB262_1691:                           ;   in Loop: Header=BB262_934 Depth=1
	s_delay_alu instid0(SALU_CYCLE_1) | instskip(SKIP_2) | instid1(VALU_DEP_1)
	s_or_b32 exec_lo, exec_lo, s10
	v_lshrrev_b16 v6, 8, v121
	s_mov_b32 s13, exec_lo
	v_cmpx_ne_u16_e32 0, v6
	s_cbranch_execz .LBB262_1699
; %bb.1692:                             ;   in Loop: Header=BB262_934 Depth=1
	v_dual_mov_b32 v15, s9 :: v_dual_mov_b32 v14, s8
	s_mov_b32 s15, exec_lo
	v_cmpx_ne_u16_e32 0x80, v6
	s_cbranch_execz .LBB262_1698
; %bb.1693:                             ;   in Loop: Header=BB262_934 Depth=1
	s_mov_b32 s10, s8
	v_dual_mov_b32 v15, s11 :: v_dual_and_b32 v6, 0xffff, v6
	v_mov_b32_e32 v14, s10
	s_mov_b32 s10, exec_lo
	s_delay_alu instid0(VALU_DEP_2) | instskip(NEXT) | instid1(VALU_DEP_1)
	v_and_b32_e32 v16, 0x7f, v6
	v_cmpx_ne_u32_e32 0x7f, v16
	s_cbranch_execz .LBB262_1697
; %bb.1694:                             ;   in Loop: Header=BB262_934 Depth=1
	v_and_b32_e32 v6, 7, v6
	v_lshrrev_b32_e32 v14, 3, v16
	s_mov_b32 s16, exec_lo
	v_cmpx_gt_u32_e32 8, v16
; %bb.1695:                             ;   in Loop: Header=BB262_934 Depth=1
	s_delay_alu instid0(VALU_DEP_3) | instskip(NEXT) | instid1(VALU_DEP_1)
	v_clz_i32_u32_e32 v14, v6
	v_min_u32_e32 v14, 32, v14
	s_delay_alu instid0(VALU_DEP_1) | instskip(SKIP_1) | instid1(VALU_DEP_2)
	v_subrev_nc_u32_e32 v15, 28, v14
	v_sub_nc_u32_e32 v14, 29, v14
	v_lshlrev_b64 v[15:16], v15, v[6:7]
	s_delay_alu instid0(VALU_DEP_1)
	v_and_b32_e32 v6, 7, v15
; %bb.1696:                             ;   in Loop: Header=BB262_934 Depth=1
	s_or_b32 exec_lo, exec_lo, s16
	v_lshlrev_b32_e32 v15, 16, v121
	s_delay_alu instid0(VALU_DEP_2) | instskip(SKIP_1) | instid1(VALU_DEP_3)
	v_lshlrev_b32_e32 v6, 20, v6
	v_lshl_add_u32 v14, v14, 23, 0x3c000000
	v_and_b32_e32 v15, 0x80000000, v15
	s_delay_alu instid0(VALU_DEP_1)
	v_or3_b32 v15, v6, v15, v14
	v_mov_b32_e32 v14, v7
.LBB262_1697:                           ;   in Loop: Header=BB262_934 Depth=1
	s_or_b32 exec_lo, exec_lo, s10
.LBB262_1698:                           ;   in Loop: Header=BB262_934 Depth=1
	s_delay_alu instid0(SALU_CYCLE_1)
	s_or_b32 exec_lo, exec_lo, s15
.LBB262_1699:                           ;   in Loop: Header=BB262_934 Depth=1
	s_delay_alu instid0(SALU_CYCLE_1) | instskip(SKIP_4) | instid1(VALU_DEP_2)
	s_or_b32 exec_lo, exec_lo, s13
	v_mov_b32_e32 v18, 0
	v_lshrrev_b32_e32 v122, 16, v121
	v_mov_b32_e32 v19, 0
	s_mov_b32 s10, exec_lo
	v_and_b32_e32 v6, 0xff, v122
	s_delay_alu instid0(VALU_DEP_2) | instskip(NEXT) | instid1(VALU_DEP_2)
	v_dual_mov_b32 v16, v18 :: v_dual_mov_b32 v17, v19
	v_cmpx_ne_u16_e32 0, v6
	s_cbranch_execz .LBB262_1707
; %bb.1700:                             ;   in Loop: Header=BB262_934 Depth=1
	v_bfrev_b32_e32 v16, 1
	v_mov_b32_e32 v17, 0
	s_mov_b32 s13, exec_lo
	v_cmpx_ne_u16_e32 0x80, v6
	s_cbranch_execz .LBB262_1706
; %bb.1701:                             ;   in Loop: Header=BB262_934 Depth=1
	v_mov_b32_e32 v16, 0x7f800001
	v_bfe_u32 v123, v121, 16, 7
	v_mov_b32_e32 v17, 0
	s_mov_b32 s15, exec_lo
	s_delay_alu instid0(VALU_DEP_2)
	v_cmpx_ne_u32_e32 0x7f, v123
	s_cbranch_execz .LBB262_1705
; %bb.1702:                             ;   in Loop: Header=BB262_934 Depth=1
	v_and_b32_e32 v6, 7, v122
	v_lshrrev_b32_e32 v16, 3, v123
	s_mov_b32 s16, exec_lo
	v_cmpx_gt_u32_e32 8, v123
; %bb.1703:                             ;   in Loop: Header=BB262_934 Depth=1
	s_delay_alu instid0(VALU_DEP_3) | instskip(NEXT) | instid1(VALU_DEP_1)
	v_clz_i32_u32_e32 v16, v6
	v_min_u32_e32 v16, 32, v16
	s_delay_alu instid0(VALU_DEP_1) | instskip(SKIP_1) | instid1(VALU_DEP_2)
	v_subrev_nc_u32_e32 v17, 28, v16
	v_sub_nc_u32_e32 v16, 29, v16
	v_lshlrev_b64 v[123:124], v17, v[6:7]
	s_delay_alu instid0(VALU_DEP_1)
	v_and_b32_e32 v6, 7, v123
; %bb.1704:                             ;   in Loop: Header=BB262_934 Depth=1
	s_or_b32 exec_lo, exec_lo, s16
	v_lshlrev_b32_e32 v17, 24, v122
	s_delay_alu instid0(VALU_DEP_2) | instskip(SKIP_1) | instid1(VALU_DEP_3)
	v_lshlrev_b32_e32 v6, 20, v6
	v_lshl_add_u32 v16, v16, 23, 0x3c000000
	v_and_b32_e32 v17, 0x80000000, v17
	s_delay_alu instid0(VALU_DEP_1) | instskip(NEXT) | instid1(VALU_DEP_1)
	v_or3_b32 v6, v6, v17, v16
	v_dual_mov_b32 v17, v7 :: v_dual_mov_b32 v16, v6
.LBB262_1705:                           ;   in Loop: Header=BB262_934 Depth=1
	s_or_b32 exec_lo, exec_lo, s15
.LBB262_1706:                           ;   in Loop: Header=BB262_934 Depth=1
	s_delay_alu instid0(SALU_CYCLE_1)
	s_or_b32 exec_lo, exec_lo, s13
.LBB262_1707:                           ;   in Loop: Header=BB262_934 Depth=1
	s_delay_alu instid0(SALU_CYCLE_1) | instskip(NEXT) | instid1(SALU_CYCLE_1)
	s_or_b32 exec_lo, exec_lo, s10
	s_mov_b32 s13, exec_lo
	v_cmpx_lt_u32_e32 0xffffff, v121
	s_cbranch_execz .LBB262_1715
; %bb.1708:                             ;   in Loop: Header=BB262_934 Depth=1
	v_lshrrev_b32_e32 v122, 24, v121
	v_dual_mov_b32 v19, s9 :: v_dual_mov_b32 v18, s8
	s_mov_b32 s15, exec_lo
	s_delay_alu instid0(VALU_DEP_2)
	v_cmpx_ne_u32_e32 0x80, v122
	s_cbranch_execz .LBB262_1714
; %bb.1709:                             ;   in Loop: Header=BB262_934 Depth=1
	s_mov_b32 s10, s8
	v_bfe_u32 v121, v121, 24, 7
	v_dual_mov_b32 v19, s11 :: v_dual_mov_b32 v18, s10
	s_mov_b32 s10, exec_lo
	s_delay_alu instid0(VALU_DEP_2)
	v_cmpx_ne_u32_e32 0x7f, v121
	s_cbranch_execz .LBB262_1713
; %bb.1710:                             ;   in Loop: Header=BB262_934 Depth=1
	v_and_b32_e32 v6, 7, v122
	v_lshrrev_b32_e32 v18, 3, v121
	s_mov_b32 s16, exec_lo
	v_cmpx_gt_u32_e32 8, v121
; %bb.1711:                             ;   in Loop: Header=BB262_934 Depth=1
	s_delay_alu instid0(VALU_DEP_3) | instskip(NEXT) | instid1(VALU_DEP_1)
	v_clz_i32_u32_e32 v18, v6
	v_min_u32_e32 v18, 32, v18
	s_delay_alu instid0(VALU_DEP_1) | instskip(SKIP_1) | instid1(VALU_DEP_2)
	v_subrev_nc_u32_e32 v19, 28, v18
	v_sub_nc_u32_e32 v18, 29, v18
	v_lshlrev_b64 v[123:124], v19, v[6:7]
	s_delay_alu instid0(VALU_DEP_1)
	v_and_b32_e32 v6, 7, v123
; %bb.1712:                             ;   in Loop: Header=BB262_934 Depth=1
	s_or_b32 exec_lo, exec_lo, s16
	v_lshlrev_b32_e32 v19, 24, v122
	s_delay_alu instid0(VALU_DEP_2) | instskip(SKIP_1) | instid1(VALU_DEP_3)
	v_lshlrev_b32_e32 v6, 20, v6
	v_lshl_add_u32 v18, v18, 23, 0x3c000000
	v_and_b32_e32 v19, 0x80000000, v19
	s_delay_alu instid0(VALU_DEP_1)
	v_or3_b32 v19, v6, v19, v18
	v_mov_b32_e32 v18, v7
.LBB262_1713:                           ;   in Loop: Header=BB262_934 Depth=1
	s_or_b32 exec_lo, exec_lo, s10
.LBB262_1714:                           ;   in Loop: Header=BB262_934 Depth=1
	s_delay_alu instid0(SALU_CYCLE_1)
	s_or_b32 exec_lo, exec_lo, s15
.LBB262_1715:                           ;   in Loop: Header=BB262_934 Depth=1
	s_delay_alu instid0(SALU_CYCLE_1) | instskip(SKIP_4) | instid1(VALU_DEP_4)
	s_or_b32 exec_lo, exec_lo, s13
	v_or_b32_e32 v5, v15, v5
	v_or_b32_e32 v4, v14, v4
	;; [unrolled: 1-line block ×4, first 2 shown]
	v_mul_f32_e32 v124, v83, v5
	s_delay_alu instid0(VALU_DEP_4) | instskip(NEXT) | instid1(VALU_DEP_4)
	v_mul_f32_e32 v123, v83, v4
	v_mul_f32_e32 v121, v83, v6
	s_delay_alu instid0(VALU_DEP_4)
	v_mul_f32_e32 v122, v83, v14
	s_and_saveexec_b32 s10, vcc_lo
; %bb.1716:                             ;   in Loop: Header=BB262_934 Depth=1
	v_cmp_lt_i32_e64 s0, v96, v22
	s_delay_alu instid0(VALU_DEP_1) | instskip(SKIP_1) | instid1(VALU_DEP_1)
	v_cndmask_b32_e64 v123, 0, v123, s0
	v_cmp_lt_i32_e64 s0, v99, v22
	v_cndmask_b32_e64 v124, 0, v124, s0
	v_cmp_lt_i32_e64 s0, v98, v22
	s_delay_alu instid0(VALU_DEP_1) | instskip(SKIP_1) | instid1(VALU_DEP_1)
	v_cndmask_b32_e64 v122, 0, v122, s0
	v_cmp_lt_i32_e64 s0, v97, v22
	v_cndmask_b32_e64 v121, 0, v121, s0
; %bb.1717:                             ;   in Loop: Header=BB262_934 Depth=1
	s_or_b32 exec_lo, exec_lo, s10
	flat_load_b32 v125, v[12:13] offset:2944
	v_mov_b32_e32 v14, 0
	v_mov_b32_e32 v15, 0
	s_mov_b32 s10, exec_lo
	s_waitcnt vmcnt(0) lgkmcnt(0)
	v_and_b32_e32 v6, 0xff, v125
	s_delay_alu instid0(VALU_DEP_2) | instskip(NEXT) | instid1(VALU_DEP_2)
	v_dual_mov_b32 v4, v14 :: v_dual_mov_b32 v5, v15
	v_cmpx_ne_u16_e32 0, v6
	s_cbranch_execz .LBB262_1725
; %bb.1718:                             ;   in Loop: Header=BB262_934 Depth=1
	v_bfrev_b32_e32 v4, 1
	v_mov_b32_e32 v5, 0
	s_mov_b32 s13, exec_lo
	v_cmpx_ne_u16_e32 0x80, v6
	s_cbranch_execz .LBB262_1724
; %bb.1719:                             ;   in Loop: Header=BB262_934 Depth=1
	v_mov_b32_e32 v4, 0x7f800001
	v_dual_mov_b32 v5, 0 :: v_dual_and_b32 v16, 0x7f, v125
	s_mov_b32 s15, exec_lo
	s_delay_alu instid0(VALU_DEP_1)
	v_cmpx_ne_u32_e32 0x7f, v16
	s_cbranch_execz .LBB262_1723
; %bb.1720:                             ;   in Loop: Header=BB262_934 Depth=1
	v_and_b32_e32 v6, 7, v125
	v_lshrrev_b32_e32 v4, 3, v16
	s_mov_b32 s16, exec_lo
	v_cmpx_gt_u32_e32 8, v16
; %bb.1721:                             ;   in Loop: Header=BB262_934 Depth=1
	s_delay_alu instid0(VALU_DEP_3) | instskip(NEXT) | instid1(VALU_DEP_1)
	v_clz_i32_u32_e32 v4, v6
	v_min_u32_e32 v4, 32, v4
	s_delay_alu instid0(VALU_DEP_1) | instskip(SKIP_1) | instid1(VALU_DEP_2)
	v_subrev_nc_u32_e32 v5, 28, v4
	v_sub_nc_u32_e32 v4, 29, v4
	v_lshlrev_b64 v[5:6], v5, v[6:7]
	s_delay_alu instid0(VALU_DEP_1)
	v_and_b32_e32 v6, 7, v5
; %bb.1722:                             ;   in Loop: Header=BB262_934 Depth=1
	s_or_b32 exec_lo, exec_lo, s16
	v_lshlrev_b32_e32 v5, 24, v125
	s_delay_alu instid0(VALU_DEP_2) | instskip(SKIP_1) | instid1(VALU_DEP_3)
	v_lshlrev_b32_e32 v6, 20, v6
	v_lshl_add_u32 v4, v4, 23, 0x3c000000
	v_and_b32_e32 v5, 0x80000000, v5
	s_delay_alu instid0(VALU_DEP_1) | instskip(NEXT) | instid1(VALU_DEP_1)
	v_or3_b32 v6, v6, v5, v4
	v_dual_mov_b32 v4, v6 :: v_dual_mov_b32 v5, v7
.LBB262_1723:                           ;   in Loop: Header=BB262_934 Depth=1
	s_or_b32 exec_lo, exec_lo, s15
.LBB262_1724:                           ;   in Loop: Header=BB262_934 Depth=1
	s_delay_alu instid0(SALU_CYCLE_1)
	s_or_b32 exec_lo, exec_lo, s13
.LBB262_1725:                           ;   in Loop: Header=BB262_934 Depth=1
	s_delay_alu instid0(SALU_CYCLE_1) | instskip(SKIP_2) | instid1(VALU_DEP_1)
	s_or_b32 exec_lo, exec_lo, s10
	v_lshrrev_b16 v6, 8, v125
	s_mov_b32 s13, exec_lo
	v_cmpx_ne_u16_e32 0, v6
	s_cbranch_execz .LBB262_1733
; %bb.1726:                             ;   in Loop: Header=BB262_934 Depth=1
	v_dual_mov_b32 v15, s9 :: v_dual_mov_b32 v14, s8
	s_mov_b32 s15, exec_lo
	v_cmpx_ne_u16_e32 0x80, v6
	s_cbranch_execz .LBB262_1732
; %bb.1727:                             ;   in Loop: Header=BB262_934 Depth=1
	s_mov_b32 s10, s8
	v_dual_mov_b32 v15, s11 :: v_dual_and_b32 v6, 0xffff, v6
	v_mov_b32_e32 v14, s10
	s_mov_b32 s10, exec_lo
	s_delay_alu instid0(VALU_DEP_2) | instskip(NEXT) | instid1(VALU_DEP_1)
	v_and_b32_e32 v16, 0x7f, v6
	v_cmpx_ne_u32_e32 0x7f, v16
	s_cbranch_execz .LBB262_1731
; %bb.1728:                             ;   in Loop: Header=BB262_934 Depth=1
	v_and_b32_e32 v6, 7, v6
	v_lshrrev_b32_e32 v14, 3, v16
	s_mov_b32 s16, exec_lo
	v_cmpx_gt_u32_e32 8, v16
; %bb.1729:                             ;   in Loop: Header=BB262_934 Depth=1
	s_delay_alu instid0(VALU_DEP_3) | instskip(NEXT) | instid1(VALU_DEP_1)
	v_clz_i32_u32_e32 v14, v6
	v_min_u32_e32 v14, 32, v14
	s_delay_alu instid0(VALU_DEP_1) | instskip(SKIP_1) | instid1(VALU_DEP_2)
	v_subrev_nc_u32_e32 v15, 28, v14
	v_sub_nc_u32_e32 v14, 29, v14
	v_lshlrev_b64 v[15:16], v15, v[6:7]
	s_delay_alu instid0(VALU_DEP_1)
	v_and_b32_e32 v6, 7, v15
; %bb.1730:                             ;   in Loop: Header=BB262_934 Depth=1
	s_or_b32 exec_lo, exec_lo, s16
	v_lshlrev_b32_e32 v15, 16, v125
	s_delay_alu instid0(VALU_DEP_2) | instskip(SKIP_1) | instid1(VALU_DEP_3)
	v_lshlrev_b32_e32 v6, 20, v6
	v_lshl_add_u32 v14, v14, 23, 0x3c000000
	v_and_b32_e32 v15, 0x80000000, v15
	s_delay_alu instid0(VALU_DEP_1)
	v_or3_b32 v15, v6, v15, v14
	v_mov_b32_e32 v14, v7
.LBB262_1731:                           ;   in Loop: Header=BB262_934 Depth=1
	s_or_b32 exec_lo, exec_lo, s10
.LBB262_1732:                           ;   in Loop: Header=BB262_934 Depth=1
	s_delay_alu instid0(SALU_CYCLE_1)
	s_or_b32 exec_lo, exec_lo, s15
.LBB262_1733:                           ;   in Loop: Header=BB262_934 Depth=1
	s_delay_alu instid0(SALU_CYCLE_1) | instskip(SKIP_4) | instid1(VALU_DEP_2)
	s_or_b32 exec_lo, exec_lo, s13
	v_mov_b32_e32 v18, 0
	v_lshrrev_b32_e32 v126, 16, v125
	v_mov_b32_e32 v19, 0
	s_mov_b32 s10, exec_lo
	v_and_b32_e32 v6, 0xff, v126
	s_delay_alu instid0(VALU_DEP_2) | instskip(NEXT) | instid1(VALU_DEP_2)
	v_dual_mov_b32 v16, v18 :: v_dual_mov_b32 v17, v19
	v_cmpx_ne_u16_e32 0, v6
	s_cbranch_execz .LBB262_1741
; %bb.1734:                             ;   in Loop: Header=BB262_934 Depth=1
	v_bfrev_b32_e32 v16, 1
	v_mov_b32_e32 v17, 0
	s_mov_b32 s13, exec_lo
	v_cmpx_ne_u16_e32 0x80, v6
	s_cbranch_execz .LBB262_1740
; %bb.1735:                             ;   in Loop: Header=BB262_934 Depth=1
	v_mov_b32_e32 v16, 0x7f800001
	v_bfe_u32 v127, v125, 16, 7
	v_mov_b32_e32 v17, 0
	s_mov_b32 s15, exec_lo
	s_delay_alu instid0(VALU_DEP_2)
	v_cmpx_ne_u32_e32 0x7f, v127
	s_cbranch_execz .LBB262_1739
; %bb.1736:                             ;   in Loop: Header=BB262_934 Depth=1
	v_and_b32_e32 v6, 7, v126
	v_lshrrev_b32_e32 v16, 3, v127
	s_mov_b32 s16, exec_lo
	v_cmpx_gt_u32_e32 8, v127
; %bb.1737:                             ;   in Loop: Header=BB262_934 Depth=1
	s_delay_alu instid0(VALU_DEP_3) | instskip(NEXT) | instid1(VALU_DEP_1)
	v_clz_i32_u32_e32 v16, v6
	v_min_u32_e32 v16, 32, v16
	s_delay_alu instid0(VALU_DEP_1) | instskip(SKIP_1) | instid1(VALU_DEP_2)
	v_subrev_nc_u32_e32 v17, 28, v16
	v_sub_nc_u32_e32 v16, 29, v16
	v_lshlrev_b64 v[136:137], v17, v[6:7]
	s_delay_alu instid0(VALU_DEP_1)
	v_and_b32_e32 v6, 7, v136
; %bb.1738:                             ;   in Loop: Header=BB262_934 Depth=1
	s_or_b32 exec_lo, exec_lo, s16
	v_lshlrev_b32_e32 v17, 24, v126
	s_delay_alu instid0(VALU_DEP_2) | instskip(SKIP_1) | instid1(VALU_DEP_3)
	v_lshlrev_b32_e32 v6, 20, v6
	v_lshl_add_u32 v16, v16, 23, 0x3c000000
	v_and_b32_e32 v17, 0x80000000, v17
	s_delay_alu instid0(VALU_DEP_1) | instskip(NEXT) | instid1(VALU_DEP_1)
	v_or3_b32 v6, v6, v17, v16
	v_dual_mov_b32 v17, v7 :: v_dual_mov_b32 v16, v6
.LBB262_1739:                           ;   in Loop: Header=BB262_934 Depth=1
	s_or_b32 exec_lo, exec_lo, s15
.LBB262_1740:                           ;   in Loop: Header=BB262_934 Depth=1
	s_delay_alu instid0(SALU_CYCLE_1)
	s_or_b32 exec_lo, exec_lo, s13
.LBB262_1741:                           ;   in Loop: Header=BB262_934 Depth=1
	s_delay_alu instid0(SALU_CYCLE_1) | instskip(NEXT) | instid1(SALU_CYCLE_1)
	s_or_b32 exec_lo, exec_lo, s10
	s_mov_b32 s13, exec_lo
	v_cmpx_lt_u32_e32 0xffffff, v125
	s_cbranch_execz .LBB262_1749
; %bb.1742:                             ;   in Loop: Header=BB262_934 Depth=1
	v_lshrrev_b32_e32 v126, 24, v125
	v_dual_mov_b32 v19, s9 :: v_dual_mov_b32 v18, s8
	s_mov_b32 s15, exec_lo
	s_delay_alu instid0(VALU_DEP_2)
	v_cmpx_ne_u32_e32 0x80, v126
	s_cbranch_execz .LBB262_1748
; %bb.1743:                             ;   in Loop: Header=BB262_934 Depth=1
	s_mov_b32 s10, s8
	v_bfe_u32 v125, v125, 24, 7
	v_dual_mov_b32 v19, s11 :: v_dual_mov_b32 v18, s10
	s_mov_b32 s10, exec_lo
	s_delay_alu instid0(VALU_DEP_2)
	v_cmpx_ne_u32_e32 0x7f, v125
	s_cbranch_execz .LBB262_1747
; %bb.1744:                             ;   in Loop: Header=BB262_934 Depth=1
	v_and_b32_e32 v6, 7, v126
	v_lshrrev_b32_e32 v18, 3, v125
	s_mov_b32 s16, exec_lo
	v_cmpx_gt_u32_e32 8, v125
; %bb.1745:                             ;   in Loop: Header=BB262_934 Depth=1
	s_delay_alu instid0(VALU_DEP_3) | instskip(NEXT) | instid1(VALU_DEP_1)
	v_clz_i32_u32_e32 v18, v6
	v_min_u32_e32 v18, 32, v18
	s_delay_alu instid0(VALU_DEP_1) | instskip(SKIP_1) | instid1(VALU_DEP_2)
	v_subrev_nc_u32_e32 v19, 28, v18
	v_sub_nc_u32_e32 v18, 29, v18
	v_lshlrev_b64 v[136:137], v19, v[6:7]
	s_delay_alu instid0(VALU_DEP_1)
	v_and_b32_e32 v6, 7, v136
; %bb.1746:                             ;   in Loop: Header=BB262_934 Depth=1
	s_or_b32 exec_lo, exec_lo, s16
	v_lshlrev_b32_e32 v19, 24, v126
	s_delay_alu instid0(VALU_DEP_2) | instskip(SKIP_1) | instid1(VALU_DEP_3)
	v_lshlrev_b32_e32 v6, 20, v6
	v_lshl_add_u32 v18, v18, 23, 0x3c000000
	v_and_b32_e32 v19, 0x80000000, v19
	s_delay_alu instid0(VALU_DEP_1)
	v_or3_b32 v19, v6, v19, v18
	v_mov_b32_e32 v18, v7
.LBB262_1747:                           ;   in Loop: Header=BB262_934 Depth=1
	s_or_b32 exec_lo, exec_lo, s10
.LBB262_1748:                           ;   in Loop: Header=BB262_934 Depth=1
	s_delay_alu instid0(SALU_CYCLE_1)
	s_or_b32 exec_lo, exec_lo, s15
.LBB262_1749:                           ;   in Loop: Header=BB262_934 Depth=1
	s_delay_alu instid0(SALU_CYCLE_1) | instskip(SKIP_4) | instid1(VALU_DEP_4)
	s_or_b32 exec_lo, exec_lo, s13
	v_or_b32_e32 v5, v15, v5
	v_or_b32_e32 v4, v14, v4
	;; [unrolled: 1-line block ×4, first 2 shown]
	v_mul_f32_e32 v136, v83, v5
	s_delay_alu instid0(VALU_DEP_4) | instskip(NEXT) | instid1(VALU_DEP_4)
	v_mul_f32_e32 v127, v83, v4
	v_mul_f32_e32 v125, v83, v6
	s_delay_alu instid0(VALU_DEP_4)
	v_mul_f32_e32 v126, v83, v14
	s_and_saveexec_b32 s10, vcc_lo
; %bb.1750:                             ;   in Loop: Header=BB262_934 Depth=1
	v_cmp_lt_i32_e64 s0, v96, v22
	s_delay_alu instid0(VALU_DEP_1) | instskip(SKIP_1) | instid1(VALU_DEP_1)
	v_cndmask_b32_e64 v127, 0, v127, s0
	v_cmp_lt_i32_e64 s0, v99, v22
	v_cndmask_b32_e64 v136, 0, v136, s0
	v_cmp_lt_i32_e64 s0, v98, v22
	s_delay_alu instid0(VALU_DEP_1) | instskip(SKIP_1) | instid1(VALU_DEP_1)
	v_cndmask_b32_e64 v126, 0, v126, s0
	v_cmp_lt_i32_e64 s0, v97, v22
	v_cndmask_b32_e64 v125, 0, v125, s0
; %bb.1751:                             ;   in Loop: Header=BB262_934 Depth=1
	s_or_b32 exec_lo, exec_lo, s10
	flat_load_b32 v137, v[12:13] offset:3072
	v_mov_b32_e32 v14, 0
	v_mov_b32_e32 v15, 0
	s_mov_b32 s10, exec_lo
	s_waitcnt vmcnt(0) lgkmcnt(0)
	v_and_b32_e32 v6, 0xff, v137
	s_delay_alu instid0(VALU_DEP_2) | instskip(NEXT) | instid1(VALU_DEP_2)
	v_dual_mov_b32 v4, v14 :: v_dual_mov_b32 v5, v15
	v_cmpx_ne_u16_e32 0, v6
	s_cbranch_execz .LBB262_1759
; %bb.1752:                             ;   in Loop: Header=BB262_934 Depth=1
	v_bfrev_b32_e32 v4, 1
	v_mov_b32_e32 v5, 0
	s_mov_b32 s13, exec_lo
	v_cmpx_ne_u16_e32 0x80, v6
	s_cbranch_execz .LBB262_1758
; %bb.1753:                             ;   in Loop: Header=BB262_934 Depth=1
	v_mov_b32_e32 v4, 0x7f800001
	v_dual_mov_b32 v5, 0 :: v_dual_and_b32 v16, 0x7f, v137
	s_mov_b32 s15, exec_lo
	s_delay_alu instid0(VALU_DEP_1)
	v_cmpx_ne_u32_e32 0x7f, v16
	s_cbranch_execz .LBB262_1757
; %bb.1754:                             ;   in Loop: Header=BB262_934 Depth=1
	v_and_b32_e32 v6, 7, v137
	v_lshrrev_b32_e32 v4, 3, v16
	s_mov_b32 s16, exec_lo
	v_cmpx_gt_u32_e32 8, v16
; %bb.1755:                             ;   in Loop: Header=BB262_934 Depth=1
	s_delay_alu instid0(VALU_DEP_3) | instskip(NEXT) | instid1(VALU_DEP_1)
	v_clz_i32_u32_e32 v4, v6
	v_min_u32_e32 v4, 32, v4
	s_delay_alu instid0(VALU_DEP_1) | instskip(SKIP_1) | instid1(VALU_DEP_2)
	v_subrev_nc_u32_e32 v5, 28, v4
	v_sub_nc_u32_e32 v4, 29, v4
	v_lshlrev_b64 v[5:6], v5, v[6:7]
	s_delay_alu instid0(VALU_DEP_1)
	v_and_b32_e32 v6, 7, v5
; %bb.1756:                             ;   in Loop: Header=BB262_934 Depth=1
	s_or_b32 exec_lo, exec_lo, s16
	v_lshlrev_b32_e32 v5, 24, v137
	s_delay_alu instid0(VALU_DEP_2) | instskip(SKIP_1) | instid1(VALU_DEP_3)
	v_lshlrev_b32_e32 v6, 20, v6
	v_lshl_add_u32 v4, v4, 23, 0x3c000000
	v_and_b32_e32 v5, 0x80000000, v5
	s_delay_alu instid0(VALU_DEP_1) | instskip(NEXT) | instid1(VALU_DEP_1)
	v_or3_b32 v6, v6, v5, v4
	v_dual_mov_b32 v4, v6 :: v_dual_mov_b32 v5, v7
.LBB262_1757:                           ;   in Loop: Header=BB262_934 Depth=1
	s_or_b32 exec_lo, exec_lo, s15
.LBB262_1758:                           ;   in Loop: Header=BB262_934 Depth=1
	s_delay_alu instid0(SALU_CYCLE_1)
	s_or_b32 exec_lo, exec_lo, s13
.LBB262_1759:                           ;   in Loop: Header=BB262_934 Depth=1
	s_delay_alu instid0(SALU_CYCLE_1) | instskip(SKIP_2) | instid1(VALU_DEP_1)
	s_or_b32 exec_lo, exec_lo, s10
	v_lshrrev_b16 v6, 8, v137
	s_mov_b32 s13, exec_lo
	v_cmpx_ne_u16_e32 0, v6
	s_cbranch_execz .LBB262_1767
; %bb.1760:                             ;   in Loop: Header=BB262_934 Depth=1
	v_dual_mov_b32 v15, s9 :: v_dual_mov_b32 v14, s8
	s_mov_b32 s15, exec_lo
	v_cmpx_ne_u16_e32 0x80, v6
	s_cbranch_execz .LBB262_1766
; %bb.1761:                             ;   in Loop: Header=BB262_934 Depth=1
	s_mov_b32 s10, s8
	v_dual_mov_b32 v15, s11 :: v_dual_and_b32 v6, 0xffff, v6
	v_mov_b32_e32 v14, s10
	s_mov_b32 s10, exec_lo
	s_delay_alu instid0(VALU_DEP_2) | instskip(NEXT) | instid1(VALU_DEP_1)
	v_and_b32_e32 v16, 0x7f, v6
	v_cmpx_ne_u32_e32 0x7f, v16
	s_cbranch_execz .LBB262_1765
; %bb.1762:                             ;   in Loop: Header=BB262_934 Depth=1
	v_and_b32_e32 v6, 7, v6
	v_lshrrev_b32_e32 v14, 3, v16
	s_mov_b32 s16, exec_lo
	v_cmpx_gt_u32_e32 8, v16
; %bb.1763:                             ;   in Loop: Header=BB262_934 Depth=1
	s_delay_alu instid0(VALU_DEP_3) | instskip(NEXT) | instid1(VALU_DEP_1)
	v_clz_i32_u32_e32 v14, v6
	v_min_u32_e32 v14, 32, v14
	s_delay_alu instid0(VALU_DEP_1) | instskip(SKIP_1) | instid1(VALU_DEP_2)
	v_subrev_nc_u32_e32 v15, 28, v14
	v_sub_nc_u32_e32 v14, 29, v14
	v_lshlrev_b64 v[15:16], v15, v[6:7]
	s_delay_alu instid0(VALU_DEP_1)
	v_and_b32_e32 v6, 7, v15
; %bb.1764:                             ;   in Loop: Header=BB262_934 Depth=1
	s_or_b32 exec_lo, exec_lo, s16
	v_lshlrev_b32_e32 v15, 16, v137
	s_delay_alu instid0(VALU_DEP_2) | instskip(SKIP_1) | instid1(VALU_DEP_3)
	v_lshlrev_b32_e32 v6, 20, v6
	v_lshl_add_u32 v14, v14, 23, 0x3c000000
	v_and_b32_e32 v15, 0x80000000, v15
	s_delay_alu instid0(VALU_DEP_1)
	v_or3_b32 v15, v6, v15, v14
	v_mov_b32_e32 v14, v7
.LBB262_1765:                           ;   in Loop: Header=BB262_934 Depth=1
	s_or_b32 exec_lo, exec_lo, s10
.LBB262_1766:                           ;   in Loop: Header=BB262_934 Depth=1
	s_delay_alu instid0(SALU_CYCLE_1)
	s_or_b32 exec_lo, exec_lo, s15
.LBB262_1767:                           ;   in Loop: Header=BB262_934 Depth=1
	s_delay_alu instid0(SALU_CYCLE_1) | instskip(SKIP_4) | instid1(VALU_DEP_2)
	s_or_b32 exec_lo, exec_lo, s13
	v_mov_b32_e32 v18, 0
	v_lshrrev_b32_e32 v138, 16, v137
	v_mov_b32_e32 v19, 0
	s_mov_b32 s10, exec_lo
	v_and_b32_e32 v6, 0xff, v138
	s_delay_alu instid0(VALU_DEP_2) | instskip(NEXT) | instid1(VALU_DEP_2)
	v_dual_mov_b32 v16, v18 :: v_dual_mov_b32 v17, v19
	v_cmpx_ne_u16_e32 0, v6
	s_cbranch_execz .LBB262_1775
; %bb.1768:                             ;   in Loop: Header=BB262_934 Depth=1
	v_bfrev_b32_e32 v16, 1
	v_mov_b32_e32 v17, 0
	s_mov_b32 s13, exec_lo
	v_cmpx_ne_u16_e32 0x80, v6
	s_cbranch_execz .LBB262_1774
; %bb.1769:                             ;   in Loop: Header=BB262_934 Depth=1
	v_mov_b32_e32 v16, 0x7f800001
	v_bfe_u32 v139, v137, 16, 7
	v_mov_b32_e32 v17, 0
	s_mov_b32 s15, exec_lo
	s_delay_alu instid0(VALU_DEP_2)
	v_cmpx_ne_u32_e32 0x7f, v139
	s_cbranch_execz .LBB262_1773
; %bb.1770:                             ;   in Loop: Header=BB262_934 Depth=1
	v_and_b32_e32 v6, 7, v138
	v_lshrrev_b32_e32 v16, 3, v139
	s_mov_b32 s16, exec_lo
	v_cmpx_gt_u32_e32 8, v139
; %bb.1771:                             ;   in Loop: Header=BB262_934 Depth=1
	s_delay_alu instid0(VALU_DEP_3) | instskip(NEXT) | instid1(VALU_DEP_1)
	v_clz_i32_u32_e32 v16, v6
	v_min_u32_e32 v16, 32, v16
	s_delay_alu instid0(VALU_DEP_1) | instskip(SKIP_1) | instid1(VALU_DEP_2)
	v_subrev_nc_u32_e32 v17, 28, v16
	v_sub_nc_u32_e32 v16, 29, v16
	v_lshlrev_b64 v[139:140], v17, v[6:7]
	s_delay_alu instid0(VALU_DEP_1)
	v_and_b32_e32 v6, 7, v139
; %bb.1772:                             ;   in Loop: Header=BB262_934 Depth=1
	s_or_b32 exec_lo, exec_lo, s16
	v_lshlrev_b32_e32 v17, 24, v138
	s_delay_alu instid0(VALU_DEP_2) | instskip(SKIP_1) | instid1(VALU_DEP_3)
	v_lshlrev_b32_e32 v6, 20, v6
	v_lshl_add_u32 v16, v16, 23, 0x3c000000
	v_and_b32_e32 v17, 0x80000000, v17
	s_delay_alu instid0(VALU_DEP_1) | instskip(NEXT) | instid1(VALU_DEP_1)
	v_or3_b32 v6, v6, v17, v16
	v_dual_mov_b32 v17, v7 :: v_dual_mov_b32 v16, v6
.LBB262_1773:                           ;   in Loop: Header=BB262_934 Depth=1
	s_or_b32 exec_lo, exec_lo, s15
.LBB262_1774:                           ;   in Loop: Header=BB262_934 Depth=1
	s_delay_alu instid0(SALU_CYCLE_1)
	s_or_b32 exec_lo, exec_lo, s13
.LBB262_1775:                           ;   in Loop: Header=BB262_934 Depth=1
	s_delay_alu instid0(SALU_CYCLE_1) | instskip(NEXT) | instid1(SALU_CYCLE_1)
	s_or_b32 exec_lo, exec_lo, s10
	s_mov_b32 s13, exec_lo
	v_cmpx_lt_u32_e32 0xffffff, v137
	s_cbranch_execz .LBB262_1783
; %bb.1776:                             ;   in Loop: Header=BB262_934 Depth=1
	v_lshrrev_b32_e32 v138, 24, v137
	v_dual_mov_b32 v19, s9 :: v_dual_mov_b32 v18, s8
	s_mov_b32 s15, exec_lo
	s_delay_alu instid0(VALU_DEP_2)
	v_cmpx_ne_u32_e32 0x80, v138
	s_cbranch_execz .LBB262_1782
; %bb.1777:                             ;   in Loop: Header=BB262_934 Depth=1
	s_mov_b32 s10, s8
	v_bfe_u32 v137, v137, 24, 7
	v_dual_mov_b32 v19, s11 :: v_dual_mov_b32 v18, s10
	s_mov_b32 s10, exec_lo
	s_delay_alu instid0(VALU_DEP_2)
	v_cmpx_ne_u32_e32 0x7f, v137
	s_cbranch_execz .LBB262_1781
; %bb.1778:                             ;   in Loop: Header=BB262_934 Depth=1
	v_and_b32_e32 v6, 7, v138
	v_lshrrev_b32_e32 v18, 3, v137
	s_mov_b32 s16, exec_lo
	v_cmpx_gt_u32_e32 8, v137
; %bb.1779:                             ;   in Loop: Header=BB262_934 Depth=1
	s_delay_alu instid0(VALU_DEP_3) | instskip(NEXT) | instid1(VALU_DEP_1)
	v_clz_i32_u32_e32 v18, v6
	v_min_u32_e32 v18, 32, v18
	s_delay_alu instid0(VALU_DEP_1) | instskip(SKIP_1) | instid1(VALU_DEP_2)
	v_subrev_nc_u32_e32 v19, 28, v18
	v_sub_nc_u32_e32 v18, 29, v18
	v_lshlrev_b64 v[139:140], v19, v[6:7]
	s_delay_alu instid0(VALU_DEP_1)
	v_and_b32_e32 v6, 7, v139
; %bb.1780:                             ;   in Loop: Header=BB262_934 Depth=1
	s_or_b32 exec_lo, exec_lo, s16
	v_lshlrev_b32_e32 v19, 24, v138
	s_delay_alu instid0(VALU_DEP_2) | instskip(SKIP_1) | instid1(VALU_DEP_3)
	v_lshlrev_b32_e32 v6, 20, v6
	v_lshl_add_u32 v18, v18, 23, 0x3c000000
	v_and_b32_e32 v19, 0x80000000, v19
	s_delay_alu instid0(VALU_DEP_1)
	v_or3_b32 v19, v6, v19, v18
	v_mov_b32_e32 v18, v7
.LBB262_1781:                           ;   in Loop: Header=BB262_934 Depth=1
	s_or_b32 exec_lo, exec_lo, s10
.LBB262_1782:                           ;   in Loop: Header=BB262_934 Depth=1
	s_delay_alu instid0(SALU_CYCLE_1)
	s_or_b32 exec_lo, exec_lo, s15
.LBB262_1783:                           ;   in Loop: Header=BB262_934 Depth=1
	s_delay_alu instid0(SALU_CYCLE_1) | instskip(SKIP_4) | instid1(VALU_DEP_4)
	s_or_b32 exec_lo, exec_lo, s13
	v_or_b32_e32 v5, v15, v5
	v_or_b32_e32 v4, v14, v4
	;; [unrolled: 1-line block ×4, first 2 shown]
	v_mul_f32_e32 v140, v83, v5
	s_delay_alu instid0(VALU_DEP_4) | instskip(NEXT) | instid1(VALU_DEP_4)
	v_mul_f32_e32 v139, v83, v4
	v_mul_f32_e32 v137, v83, v6
	s_delay_alu instid0(VALU_DEP_4)
	v_mul_f32_e32 v138, v83, v14
	s_and_saveexec_b32 s10, vcc_lo
; %bb.1784:                             ;   in Loop: Header=BB262_934 Depth=1
	v_cmp_lt_i32_e64 s0, v96, v22
	s_delay_alu instid0(VALU_DEP_1) | instskip(SKIP_1) | instid1(VALU_DEP_1)
	v_cndmask_b32_e64 v139, 0, v139, s0
	v_cmp_lt_i32_e64 s0, v99, v22
	v_cndmask_b32_e64 v140, 0, v140, s0
	v_cmp_lt_i32_e64 s0, v98, v22
	s_delay_alu instid0(VALU_DEP_1) | instskip(SKIP_1) | instid1(VALU_DEP_1)
	v_cndmask_b32_e64 v138, 0, v138, s0
	v_cmp_lt_i32_e64 s0, v97, v22
	v_cndmask_b32_e64 v137, 0, v137, s0
; %bb.1785:                             ;   in Loop: Header=BB262_934 Depth=1
	s_or_b32 exec_lo, exec_lo, s10
	flat_load_b32 v141, v[12:13] offset:3200
	v_mov_b32_e32 v14, 0
	v_mov_b32_e32 v15, 0
	s_mov_b32 s10, exec_lo
	s_waitcnt vmcnt(0) lgkmcnt(0)
	v_and_b32_e32 v6, 0xff, v141
	s_delay_alu instid0(VALU_DEP_2) | instskip(NEXT) | instid1(VALU_DEP_2)
	v_dual_mov_b32 v4, v14 :: v_dual_mov_b32 v5, v15
	v_cmpx_ne_u16_e32 0, v6
	s_cbranch_execz .LBB262_1793
; %bb.1786:                             ;   in Loop: Header=BB262_934 Depth=1
	v_bfrev_b32_e32 v4, 1
	v_mov_b32_e32 v5, 0
	s_mov_b32 s13, exec_lo
	v_cmpx_ne_u16_e32 0x80, v6
	s_cbranch_execz .LBB262_1792
; %bb.1787:                             ;   in Loop: Header=BB262_934 Depth=1
	v_mov_b32_e32 v4, 0x7f800001
	v_dual_mov_b32 v5, 0 :: v_dual_and_b32 v16, 0x7f, v141
	s_mov_b32 s15, exec_lo
	s_delay_alu instid0(VALU_DEP_1)
	v_cmpx_ne_u32_e32 0x7f, v16
	s_cbranch_execz .LBB262_1791
; %bb.1788:                             ;   in Loop: Header=BB262_934 Depth=1
	v_and_b32_e32 v6, 7, v141
	v_lshrrev_b32_e32 v4, 3, v16
	s_mov_b32 s16, exec_lo
	v_cmpx_gt_u32_e32 8, v16
; %bb.1789:                             ;   in Loop: Header=BB262_934 Depth=1
	s_delay_alu instid0(VALU_DEP_3) | instskip(NEXT) | instid1(VALU_DEP_1)
	v_clz_i32_u32_e32 v4, v6
	v_min_u32_e32 v4, 32, v4
	s_delay_alu instid0(VALU_DEP_1) | instskip(SKIP_1) | instid1(VALU_DEP_2)
	v_subrev_nc_u32_e32 v5, 28, v4
	v_sub_nc_u32_e32 v4, 29, v4
	v_lshlrev_b64 v[5:6], v5, v[6:7]
	s_delay_alu instid0(VALU_DEP_1)
	v_and_b32_e32 v6, 7, v5
; %bb.1790:                             ;   in Loop: Header=BB262_934 Depth=1
	s_or_b32 exec_lo, exec_lo, s16
	v_lshlrev_b32_e32 v5, 24, v141
	s_delay_alu instid0(VALU_DEP_2) | instskip(SKIP_1) | instid1(VALU_DEP_3)
	v_lshlrev_b32_e32 v6, 20, v6
	v_lshl_add_u32 v4, v4, 23, 0x3c000000
	v_and_b32_e32 v5, 0x80000000, v5
	s_delay_alu instid0(VALU_DEP_1) | instskip(NEXT) | instid1(VALU_DEP_1)
	v_or3_b32 v6, v6, v5, v4
	v_dual_mov_b32 v4, v6 :: v_dual_mov_b32 v5, v7
.LBB262_1791:                           ;   in Loop: Header=BB262_934 Depth=1
	s_or_b32 exec_lo, exec_lo, s15
.LBB262_1792:                           ;   in Loop: Header=BB262_934 Depth=1
	s_delay_alu instid0(SALU_CYCLE_1)
	s_or_b32 exec_lo, exec_lo, s13
.LBB262_1793:                           ;   in Loop: Header=BB262_934 Depth=1
	s_delay_alu instid0(SALU_CYCLE_1) | instskip(SKIP_2) | instid1(VALU_DEP_1)
	s_or_b32 exec_lo, exec_lo, s10
	v_lshrrev_b16 v6, 8, v141
	s_mov_b32 s13, exec_lo
	v_cmpx_ne_u16_e32 0, v6
	s_cbranch_execz .LBB262_1801
; %bb.1794:                             ;   in Loop: Header=BB262_934 Depth=1
	v_dual_mov_b32 v15, s9 :: v_dual_mov_b32 v14, s8
	s_mov_b32 s15, exec_lo
	v_cmpx_ne_u16_e32 0x80, v6
	s_cbranch_execz .LBB262_1800
; %bb.1795:                             ;   in Loop: Header=BB262_934 Depth=1
	s_mov_b32 s10, s8
	v_dual_mov_b32 v15, s11 :: v_dual_and_b32 v6, 0xffff, v6
	v_mov_b32_e32 v14, s10
	s_mov_b32 s10, exec_lo
	s_delay_alu instid0(VALU_DEP_2) | instskip(NEXT) | instid1(VALU_DEP_1)
	v_and_b32_e32 v16, 0x7f, v6
	v_cmpx_ne_u32_e32 0x7f, v16
	s_cbranch_execz .LBB262_1799
; %bb.1796:                             ;   in Loop: Header=BB262_934 Depth=1
	v_and_b32_e32 v6, 7, v6
	v_lshrrev_b32_e32 v14, 3, v16
	s_mov_b32 s16, exec_lo
	v_cmpx_gt_u32_e32 8, v16
; %bb.1797:                             ;   in Loop: Header=BB262_934 Depth=1
	s_delay_alu instid0(VALU_DEP_3) | instskip(NEXT) | instid1(VALU_DEP_1)
	v_clz_i32_u32_e32 v14, v6
	v_min_u32_e32 v14, 32, v14
	s_delay_alu instid0(VALU_DEP_1) | instskip(SKIP_1) | instid1(VALU_DEP_2)
	v_subrev_nc_u32_e32 v15, 28, v14
	v_sub_nc_u32_e32 v14, 29, v14
	v_lshlrev_b64 v[15:16], v15, v[6:7]
	s_delay_alu instid0(VALU_DEP_1)
	v_and_b32_e32 v6, 7, v15
; %bb.1798:                             ;   in Loop: Header=BB262_934 Depth=1
	s_or_b32 exec_lo, exec_lo, s16
	v_lshlrev_b32_e32 v15, 16, v141
	s_delay_alu instid0(VALU_DEP_2) | instskip(SKIP_1) | instid1(VALU_DEP_3)
	v_lshlrev_b32_e32 v6, 20, v6
	v_lshl_add_u32 v14, v14, 23, 0x3c000000
	v_and_b32_e32 v15, 0x80000000, v15
	s_delay_alu instid0(VALU_DEP_1)
	v_or3_b32 v15, v6, v15, v14
	v_mov_b32_e32 v14, v7
.LBB262_1799:                           ;   in Loop: Header=BB262_934 Depth=1
	s_or_b32 exec_lo, exec_lo, s10
.LBB262_1800:                           ;   in Loop: Header=BB262_934 Depth=1
	s_delay_alu instid0(SALU_CYCLE_1)
	s_or_b32 exec_lo, exec_lo, s15
.LBB262_1801:                           ;   in Loop: Header=BB262_934 Depth=1
	s_delay_alu instid0(SALU_CYCLE_1) | instskip(SKIP_4) | instid1(VALU_DEP_2)
	s_or_b32 exec_lo, exec_lo, s13
	v_mov_b32_e32 v18, 0
	v_lshrrev_b32_e32 v142, 16, v141
	v_mov_b32_e32 v19, 0
	s_mov_b32 s10, exec_lo
	v_and_b32_e32 v6, 0xff, v142
	s_delay_alu instid0(VALU_DEP_2) | instskip(NEXT) | instid1(VALU_DEP_2)
	v_dual_mov_b32 v16, v18 :: v_dual_mov_b32 v17, v19
	v_cmpx_ne_u16_e32 0, v6
	s_cbranch_execz .LBB262_1809
; %bb.1802:                             ;   in Loop: Header=BB262_934 Depth=1
	v_bfrev_b32_e32 v16, 1
	v_mov_b32_e32 v17, 0
	s_mov_b32 s13, exec_lo
	v_cmpx_ne_u16_e32 0x80, v6
	s_cbranch_execz .LBB262_1808
; %bb.1803:                             ;   in Loop: Header=BB262_934 Depth=1
	v_mov_b32_e32 v16, 0x7f800001
	v_bfe_u32 v143, v141, 16, 7
	v_mov_b32_e32 v17, 0
	s_mov_b32 s15, exec_lo
	s_delay_alu instid0(VALU_DEP_2)
	v_cmpx_ne_u32_e32 0x7f, v143
	s_cbranch_execz .LBB262_1807
; %bb.1804:                             ;   in Loop: Header=BB262_934 Depth=1
	v_and_b32_e32 v6, 7, v142
	v_lshrrev_b32_e32 v16, 3, v143
	s_mov_b32 s16, exec_lo
	v_cmpx_gt_u32_e32 8, v143
; %bb.1805:                             ;   in Loop: Header=BB262_934 Depth=1
	s_delay_alu instid0(VALU_DEP_3) | instskip(NEXT) | instid1(VALU_DEP_1)
	v_clz_i32_u32_e32 v16, v6
	v_min_u32_e32 v16, 32, v16
	s_delay_alu instid0(VALU_DEP_1) | instskip(SKIP_1) | instid1(VALU_DEP_2)
	v_subrev_nc_u32_e32 v17, 28, v16
	v_sub_nc_u32_e32 v16, 29, v16
	v_lshlrev_b64 v[152:153], v17, v[6:7]
	s_delay_alu instid0(VALU_DEP_1)
	v_and_b32_e32 v6, 7, v152
; %bb.1806:                             ;   in Loop: Header=BB262_934 Depth=1
	s_or_b32 exec_lo, exec_lo, s16
	v_lshlrev_b32_e32 v17, 24, v142
	s_delay_alu instid0(VALU_DEP_2) | instskip(SKIP_1) | instid1(VALU_DEP_3)
	v_lshlrev_b32_e32 v6, 20, v6
	v_lshl_add_u32 v16, v16, 23, 0x3c000000
	v_and_b32_e32 v17, 0x80000000, v17
	s_delay_alu instid0(VALU_DEP_1) | instskip(NEXT) | instid1(VALU_DEP_1)
	v_or3_b32 v6, v6, v17, v16
	v_dual_mov_b32 v17, v7 :: v_dual_mov_b32 v16, v6
.LBB262_1807:                           ;   in Loop: Header=BB262_934 Depth=1
	s_or_b32 exec_lo, exec_lo, s15
.LBB262_1808:                           ;   in Loop: Header=BB262_934 Depth=1
	s_delay_alu instid0(SALU_CYCLE_1)
	s_or_b32 exec_lo, exec_lo, s13
.LBB262_1809:                           ;   in Loop: Header=BB262_934 Depth=1
	s_delay_alu instid0(SALU_CYCLE_1) | instskip(NEXT) | instid1(SALU_CYCLE_1)
	s_or_b32 exec_lo, exec_lo, s10
	s_mov_b32 s13, exec_lo
	v_cmpx_lt_u32_e32 0xffffff, v141
	s_cbranch_execz .LBB262_1817
; %bb.1810:                             ;   in Loop: Header=BB262_934 Depth=1
	v_lshrrev_b32_e32 v142, 24, v141
	v_dual_mov_b32 v19, s9 :: v_dual_mov_b32 v18, s8
	s_mov_b32 s15, exec_lo
	s_delay_alu instid0(VALU_DEP_2)
	v_cmpx_ne_u32_e32 0x80, v142
	s_cbranch_execz .LBB262_1816
; %bb.1811:                             ;   in Loop: Header=BB262_934 Depth=1
	s_mov_b32 s10, s8
	v_bfe_u32 v141, v141, 24, 7
	v_dual_mov_b32 v19, s11 :: v_dual_mov_b32 v18, s10
	s_mov_b32 s10, exec_lo
	s_delay_alu instid0(VALU_DEP_2)
	v_cmpx_ne_u32_e32 0x7f, v141
	s_cbranch_execz .LBB262_1815
; %bb.1812:                             ;   in Loop: Header=BB262_934 Depth=1
	v_and_b32_e32 v6, 7, v142
	v_lshrrev_b32_e32 v18, 3, v141
	s_mov_b32 s16, exec_lo
	v_cmpx_gt_u32_e32 8, v141
; %bb.1813:                             ;   in Loop: Header=BB262_934 Depth=1
	s_delay_alu instid0(VALU_DEP_3) | instskip(NEXT) | instid1(VALU_DEP_1)
	v_clz_i32_u32_e32 v18, v6
	v_min_u32_e32 v18, 32, v18
	s_delay_alu instid0(VALU_DEP_1) | instskip(SKIP_1) | instid1(VALU_DEP_2)
	v_subrev_nc_u32_e32 v19, 28, v18
	v_sub_nc_u32_e32 v18, 29, v18
	v_lshlrev_b64 v[152:153], v19, v[6:7]
	s_delay_alu instid0(VALU_DEP_1)
	v_and_b32_e32 v6, 7, v152
; %bb.1814:                             ;   in Loop: Header=BB262_934 Depth=1
	s_or_b32 exec_lo, exec_lo, s16
	v_lshlrev_b32_e32 v19, 24, v142
	s_delay_alu instid0(VALU_DEP_2) | instskip(SKIP_1) | instid1(VALU_DEP_3)
	v_lshlrev_b32_e32 v6, 20, v6
	v_lshl_add_u32 v18, v18, 23, 0x3c000000
	v_and_b32_e32 v19, 0x80000000, v19
	s_delay_alu instid0(VALU_DEP_1)
	v_or3_b32 v19, v6, v19, v18
	v_mov_b32_e32 v18, v7
.LBB262_1815:                           ;   in Loop: Header=BB262_934 Depth=1
	s_or_b32 exec_lo, exec_lo, s10
.LBB262_1816:                           ;   in Loop: Header=BB262_934 Depth=1
	s_delay_alu instid0(SALU_CYCLE_1)
	s_or_b32 exec_lo, exec_lo, s15
.LBB262_1817:                           ;   in Loop: Header=BB262_934 Depth=1
	s_delay_alu instid0(SALU_CYCLE_1) | instskip(SKIP_4) | instid1(VALU_DEP_4)
	s_or_b32 exec_lo, exec_lo, s13
	v_or_b32_e32 v5, v15, v5
	v_or_b32_e32 v4, v14, v4
	;; [unrolled: 1-line block ×4, first 2 shown]
	v_mul_f32_e32 v152, v83, v5
	s_delay_alu instid0(VALU_DEP_4) | instskip(NEXT) | instid1(VALU_DEP_4)
	v_mul_f32_e32 v143, v83, v4
	v_mul_f32_e32 v141, v83, v6
	s_delay_alu instid0(VALU_DEP_4)
	v_mul_f32_e32 v142, v83, v14
	s_and_saveexec_b32 s10, vcc_lo
; %bb.1818:                             ;   in Loop: Header=BB262_934 Depth=1
	v_cmp_lt_i32_e64 s0, v96, v22
	s_delay_alu instid0(VALU_DEP_1) | instskip(SKIP_1) | instid1(VALU_DEP_1)
	v_cndmask_b32_e64 v143, 0, v143, s0
	v_cmp_lt_i32_e64 s0, v99, v22
	v_cndmask_b32_e64 v152, 0, v152, s0
	v_cmp_lt_i32_e64 s0, v98, v22
	s_delay_alu instid0(VALU_DEP_1) | instskip(SKIP_1) | instid1(VALU_DEP_1)
	v_cndmask_b32_e64 v142, 0, v142, s0
	v_cmp_lt_i32_e64 s0, v97, v22
	v_cndmask_b32_e64 v141, 0, v141, s0
; %bb.1819:                             ;   in Loop: Header=BB262_934 Depth=1
	s_or_b32 exec_lo, exec_lo, s10
	flat_load_b32 v153, v[12:13] offset:3328
	v_mov_b32_e32 v14, 0
	v_mov_b32_e32 v15, 0
	s_mov_b32 s10, exec_lo
	s_waitcnt vmcnt(0) lgkmcnt(0)
	v_and_b32_e32 v6, 0xff, v153
	s_delay_alu instid0(VALU_DEP_2) | instskip(NEXT) | instid1(VALU_DEP_2)
	v_dual_mov_b32 v4, v14 :: v_dual_mov_b32 v5, v15
	v_cmpx_ne_u16_e32 0, v6
	s_cbranch_execz .LBB262_1827
; %bb.1820:                             ;   in Loop: Header=BB262_934 Depth=1
	v_bfrev_b32_e32 v4, 1
	v_mov_b32_e32 v5, 0
	s_mov_b32 s13, exec_lo
	v_cmpx_ne_u16_e32 0x80, v6
	s_cbranch_execz .LBB262_1826
; %bb.1821:                             ;   in Loop: Header=BB262_934 Depth=1
	v_mov_b32_e32 v4, 0x7f800001
	v_dual_mov_b32 v5, 0 :: v_dual_and_b32 v16, 0x7f, v153
	s_mov_b32 s15, exec_lo
	s_delay_alu instid0(VALU_DEP_1)
	v_cmpx_ne_u32_e32 0x7f, v16
	s_cbranch_execz .LBB262_1825
; %bb.1822:                             ;   in Loop: Header=BB262_934 Depth=1
	v_and_b32_e32 v6, 7, v153
	v_lshrrev_b32_e32 v4, 3, v16
	s_mov_b32 s16, exec_lo
	v_cmpx_gt_u32_e32 8, v16
; %bb.1823:                             ;   in Loop: Header=BB262_934 Depth=1
	s_delay_alu instid0(VALU_DEP_3) | instskip(NEXT) | instid1(VALU_DEP_1)
	v_clz_i32_u32_e32 v4, v6
	v_min_u32_e32 v4, 32, v4
	s_delay_alu instid0(VALU_DEP_1) | instskip(SKIP_1) | instid1(VALU_DEP_2)
	v_subrev_nc_u32_e32 v5, 28, v4
	v_sub_nc_u32_e32 v4, 29, v4
	v_lshlrev_b64 v[5:6], v5, v[6:7]
	s_delay_alu instid0(VALU_DEP_1)
	v_and_b32_e32 v6, 7, v5
; %bb.1824:                             ;   in Loop: Header=BB262_934 Depth=1
	s_or_b32 exec_lo, exec_lo, s16
	v_lshlrev_b32_e32 v5, 24, v153
	s_delay_alu instid0(VALU_DEP_2) | instskip(SKIP_1) | instid1(VALU_DEP_3)
	v_lshlrev_b32_e32 v6, 20, v6
	v_lshl_add_u32 v4, v4, 23, 0x3c000000
	v_and_b32_e32 v5, 0x80000000, v5
	s_delay_alu instid0(VALU_DEP_1) | instskip(NEXT) | instid1(VALU_DEP_1)
	v_or3_b32 v6, v6, v5, v4
	v_dual_mov_b32 v4, v6 :: v_dual_mov_b32 v5, v7
.LBB262_1825:                           ;   in Loop: Header=BB262_934 Depth=1
	s_or_b32 exec_lo, exec_lo, s15
.LBB262_1826:                           ;   in Loop: Header=BB262_934 Depth=1
	s_delay_alu instid0(SALU_CYCLE_1)
	s_or_b32 exec_lo, exec_lo, s13
.LBB262_1827:                           ;   in Loop: Header=BB262_934 Depth=1
	s_delay_alu instid0(SALU_CYCLE_1) | instskip(SKIP_2) | instid1(VALU_DEP_1)
	s_or_b32 exec_lo, exec_lo, s10
	v_lshrrev_b16 v6, 8, v153
	s_mov_b32 s13, exec_lo
	v_cmpx_ne_u16_e32 0, v6
	s_cbranch_execz .LBB262_1835
; %bb.1828:                             ;   in Loop: Header=BB262_934 Depth=1
	v_dual_mov_b32 v15, s9 :: v_dual_mov_b32 v14, s8
	s_mov_b32 s15, exec_lo
	v_cmpx_ne_u16_e32 0x80, v6
	s_cbranch_execz .LBB262_1834
; %bb.1829:                             ;   in Loop: Header=BB262_934 Depth=1
	s_mov_b32 s10, s8
	v_dual_mov_b32 v15, s11 :: v_dual_and_b32 v6, 0xffff, v6
	v_mov_b32_e32 v14, s10
	s_mov_b32 s10, exec_lo
	s_delay_alu instid0(VALU_DEP_2) | instskip(NEXT) | instid1(VALU_DEP_1)
	v_and_b32_e32 v16, 0x7f, v6
	v_cmpx_ne_u32_e32 0x7f, v16
	s_cbranch_execz .LBB262_1833
; %bb.1830:                             ;   in Loop: Header=BB262_934 Depth=1
	v_and_b32_e32 v6, 7, v6
	v_lshrrev_b32_e32 v14, 3, v16
	s_mov_b32 s16, exec_lo
	v_cmpx_gt_u32_e32 8, v16
; %bb.1831:                             ;   in Loop: Header=BB262_934 Depth=1
	s_delay_alu instid0(VALU_DEP_3) | instskip(NEXT) | instid1(VALU_DEP_1)
	v_clz_i32_u32_e32 v14, v6
	v_min_u32_e32 v14, 32, v14
	s_delay_alu instid0(VALU_DEP_1) | instskip(SKIP_1) | instid1(VALU_DEP_2)
	v_subrev_nc_u32_e32 v15, 28, v14
	v_sub_nc_u32_e32 v14, 29, v14
	v_lshlrev_b64 v[15:16], v15, v[6:7]
	s_delay_alu instid0(VALU_DEP_1)
	v_and_b32_e32 v6, 7, v15
; %bb.1832:                             ;   in Loop: Header=BB262_934 Depth=1
	s_or_b32 exec_lo, exec_lo, s16
	v_lshlrev_b32_e32 v15, 16, v153
	s_delay_alu instid0(VALU_DEP_2) | instskip(SKIP_1) | instid1(VALU_DEP_3)
	v_lshlrev_b32_e32 v6, 20, v6
	v_lshl_add_u32 v14, v14, 23, 0x3c000000
	v_and_b32_e32 v15, 0x80000000, v15
	s_delay_alu instid0(VALU_DEP_1)
	v_or3_b32 v15, v6, v15, v14
	v_mov_b32_e32 v14, v7
.LBB262_1833:                           ;   in Loop: Header=BB262_934 Depth=1
	s_or_b32 exec_lo, exec_lo, s10
.LBB262_1834:                           ;   in Loop: Header=BB262_934 Depth=1
	s_delay_alu instid0(SALU_CYCLE_1)
	s_or_b32 exec_lo, exec_lo, s15
.LBB262_1835:                           ;   in Loop: Header=BB262_934 Depth=1
	s_delay_alu instid0(SALU_CYCLE_1) | instskip(SKIP_4) | instid1(VALU_DEP_2)
	s_or_b32 exec_lo, exec_lo, s13
	v_mov_b32_e32 v18, 0
	v_lshrrev_b32_e32 v154, 16, v153
	v_mov_b32_e32 v19, 0
	s_mov_b32 s10, exec_lo
	v_and_b32_e32 v6, 0xff, v154
	s_delay_alu instid0(VALU_DEP_2) | instskip(NEXT) | instid1(VALU_DEP_2)
	v_dual_mov_b32 v16, v18 :: v_dual_mov_b32 v17, v19
	v_cmpx_ne_u16_e32 0, v6
	s_cbranch_execz .LBB262_1843
; %bb.1836:                             ;   in Loop: Header=BB262_934 Depth=1
	v_bfrev_b32_e32 v16, 1
	v_mov_b32_e32 v17, 0
	s_mov_b32 s13, exec_lo
	v_cmpx_ne_u16_e32 0x80, v6
	s_cbranch_execz .LBB262_1842
; %bb.1837:                             ;   in Loop: Header=BB262_934 Depth=1
	v_mov_b32_e32 v16, 0x7f800001
	v_bfe_u32 v155, v153, 16, 7
	v_mov_b32_e32 v17, 0
	s_mov_b32 s15, exec_lo
	s_delay_alu instid0(VALU_DEP_2)
	v_cmpx_ne_u32_e32 0x7f, v155
	s_cbranch_execz .LBB262_1841
; %bb.1838:                             ;   in Loop: Header=BB262_934 Depth=1
	v_and_b32_e32 v6, 7, v154
	v_lshrrev_b32_e32 v16, 3, v155
	s_mov_b32 s16, exec_lo
	v_cmpx_gt_u32_e32 8, v155
; %bb.1839:                             ;   in Loop: Header=BB262_934 Depth=1
	s_delay_alu instid0(VALU_DEP_3) | instskip(NEXT) | instid1(VALU_DEP_1)
	v_clz_i32_u32_e32 v16, v6
	v_min_u32_e32 v16, 32, v16
	s_delay_alu instid0(VALU_DEP_1) | instskip(SKIP_1) | instid1(VALU_DEP_2)
	v_subrev_nc_u32_e32 v17, 28, v16
	v_sub_nc_u32_e32 v16, 29, v16
	v_lshlrev_b64 v[155:156], v17, v[6:7]
	s_delay_alu instid0(VALU_DEP_1)
	v_and_b32_e32 v6, 7, v155
; %bb.1840:                             ;   in Loop: Header=BB262_934 Depth=1
	s_or_b32 exec_lo, exec_lo, s16
	v_lshlrev_b32_e32 v17, 24, v154
	s_delay_alu instid0(VALU_DEP_2) | instskip(SKIP_1) | instid1(VALU_DEP_3)
	v_lshlrev_b32_e32 v6, 20, v6
	v_lshl_add_u32 v16, v16, 23, 0x3c000000
	v_and_b32_e32 v17, 0x80000000, v17
	s_delay_alu instid0(VALU_DEP_1) | instskip(NEXT) | instid1(VALU_DEP_1)
	v_or3_b32 v6, v6, v17, v16
	v_dual_mov_b32 v17, v7 :: v_dual_mov_b32 v16, v6
.LBB262_1841:                           ;   in Loop: Header=BB262_934 Depth=1
	s_or_b32 exec_lo, exec_lo, s15
.LBB262_1842:                           ;   in Loop: Header=BB262_934 Depth=1
	s_delay_alu instid0(SALU_CYCLE_1)
	s_or_b32 exec_lo, exec_lo, s13
.LBB262_1843:                           ;   in Loop: Header=BB262_934 Depth=1
	s_delay_alu instid0(SALU_CYCLE_1) | instskip(NEXT) | instid1(SALU_CYCLE_1)
	s_or_b32 exec_lo, exec_lo, s10
	s_mov_b32 s13, exec_lo
	v_cmpx_lt_u32_e32 0xffffff, v153
	s_cbranch_execz .LBB262_1851
; %bb.1844:                             ;   in Loop: Header=BB262_934 Depth=1
	v_lshrrev_b32_e32 v154, 24, v153
	v_dual_mov_b32 v19, s9 :: v_dual_mov_b32 v18, s8
	s_mov_b32 s15, exec_lo
	s_delay_alu instid0(VALU_DEP_2)
	v_cmpx_ne_u32_e32 0x80, v154
	s_cbranch_execz .LBB262_1850
; %bb.1845:                             ;   in Loop: Header=BB262_934 Depth=1
	s_mov_b32 s10, s8
	v_bfe_u32 v153, v153, 24, 7
	v_dual_mov_b32 v19, s11 :: v_dual_mov_b32 v18, s10
	s_mov_b32 s10, exec_lo
	s_delay_alu instid0(VALU_DEP_2)
	v_cmpx_ne_u32_e32 0x7f, v153
	s_cbranch_execz .LBB262_1849
; %bb.1846:                             ;   in Loop: Header=BB262_934 Depth=1
	v_and_b32_e32 v6, 7, v154
	v_lshrrev_b32_e32 v18, 3, v153
	s_mov_b32 s16, exec_lo
	v_cmpx_gt_u32_e32 8, v153
; %bb.1847:                             ;   in Loop: Header=BB262_934 Depth=1
	s_delay_alu instid0(VALU_DEP_3) | instskip(NEXT) | instid1(VALU_DEP_1)
	v_clz_i32_u32_e32 v18, v6
	v_min_u32_e32 v18, 32, v18
	s_delay_alu instid0(VALU_DEP_1) | instskip(SKIP_1) | instid1(VALU_DEP_2)
	v_subrev_nc_u32_e32 v19, 28, v18
	v_sub_nc_u32_e32 v18, 29, v18
	v_lshlrev_b64 v[155:156], v19, v[6:7]
	s_delay_alu instid0(VALU_DEP_1)
	v_and_b32_e32 v6, 7, v155
; %bb.1848:                             ;   in Loop: Header=BB262_934 Depth=1
	s_or_b32 exec_lo, exec_lo, s16
	v_lshlrev_b32_e32 v19, 24, v154
	s_delay_alu instid0(VALU_DEP_2) | instskip(SKIP_1) | instid1(VALU_DEP_3)
	v_lshlrev_b32_e32 v6, 20, v6
	v_lshl_add_u32 v18, v18, 23, 0x3c000000
	v_and_b32_e32 v19, 0x80000000, v19
	s_delay_alu instid0(VALU_DEP_1)
	v_or3_b32 v19, v6, v19, v18
	v_mov_b32_e32 v18, v7
.LBB262_1849:                           ;   in Loop: Header=BB262_934 Depth=1
	s_or_b32 exec_lo, exec_lo, s10
.LBB262_1850:                           ;   in Loop: Header=BB262_934 Depth=1
	s_delay_alu instid0(SALU_CYCLE_1)
	s_or_b32 exec_lo, exec_lo, s15
.LBB262_1851:                           ;   in Loop: Header=BB262_934 Depth=1
	s_delay_alu instid0(SALU_CYCLE_1) | instskip(SKIP_4) | instid1(VALU_DEP_4)
	s_or_b32 exec_lo, exec_lo, s13
	v_or_b32_e32 v5, v15, v5
	v_or_b32_e32 v4, v14, v4
	;; [unrolled: 1-line block ×4, first 2 shown]
	v_mul_f32_e32 v154, v83, v5
	s_delay_alu instid0(VALU_DEP_4) | instskip(NEXT) | instid1(VALU_DEP_4)
	v_mul_f32_e32 v153, v83, v4
	v_mul_f32_e32 v18, v83, v6
	s_delay_alu instid0(VALU_DEP_4)
	v_mul_f32_e32 v19, v83, v14
	s_and_saveexec_b32 s10, vcc_lo
; %bb.1852:                             ;   in Loop: Header=BB262_934 Depth=1
	v_cmp_lt_i32_e64 s0, v96, v22
	s_delay_alu instid0(VALU_DEP_1) | instskip(SKIP_1) | instid1(VALU_DEP_1)
	v_cndmask_b32_e64 v153, 0, v153, s0
	v_cmp_lt_i32_e64 s0, v99, v22
	v_cndmask_b32_e64 v154, 0, v154, s0
	v_cmp_lt_i32_e64 s0, v98, v22
	s_delay_alu instid0(VALU_DEP_1) | instskip(SKIP_1) | instid1(VALU_DEP_1)
	v_cndmask_b32_e64 v19, 0, v19, s0
	v_cmp_lt_i32_e64 s0, v97, v22
	v_cndmask_b32_e64 v18, 0, v18, s0
; %bb.1853:                             ;   in Loop: Header=BB262_934 Depth=1
	s_or_b32 exec_lo, exec_lo, s10
	flat_load_b32 v155, v[12:13] offset:3456
	v_mov_b32_e32 v12, 0
	v_mov_b32_e32 v13, 0
	s_mov_b32 s10, exec_lo
	s_waitcnt vmcnt(0) lgkmcnt(0)
	v_and_b32_e32 v6, 0xff, v155
	s_delay_alu instid0(VALU_DEP_2) | instskip(NEXT) | instid1(VALU_DEP_2)
	v_dual_mov_b32 v4, v12 :: v_dual_mov_b32 v5, v13
	v_cmpx_ne_u16_e32 0, v6
	s_cbranch_execz .LBB262_1861
; %bb.1854:                             ;   in Loop: Header=BB262_934 Depth=1
	v_bfrev_b32_e32 v4, 1
	v_mov_b32_e32 v5, 0
	s_mov_b32 s13, exec_lo
	v_cmpx_ne_u16_e32 0x80, v6
	s_cbranch_execz .LBB262_1860
; %bb.1855:                             ;   in Loop: Header=BB262_934 Depth=1
	v_mov_b32_e32 v4, 0x7f800001
	v_dual_mov_b32 v5, 0 :: v_dual_and_b32 v14, 0x7f, v155
	s_mov_b32 s15, exec_lo
	s_delay_alu instid0(VALU_DEP_1)
	v_cmpx_ne_u32_e32 0x7f, v14
	s_cbranch_execz .LBB262_1859
; %bb.1856:                             ;   in Loop: Header=BB262_934 Depth=1
	v_and_b32_e32 v6, 7, v155
	v_lshrrev_b32_e32 v4, 3, v14
	s_mov_b32 s16, exec_lo
	v_cmpx_gt_u32_e32 8, v14
; %bb.1857:                             ;   in Loop: Header=BB262_934 Depth=1
	s_delay_alu instid0(VALU_DEP_3) | instskip(NEXT) | instid1(VALU_DEP_1)
	v_clz_i32_u32_e32 v4, v6
	v_min_u32_e32 v4, 32, v4
	s_delay_alu instid0(VALU_DEP_1) | instskip(SKIP_1) | instid1(VALU_DEP_2)
	v_subrev_nc_u32_e32 v5, 28, v4
	v_sub_nc_u32_e32 v4, 29, v4
	v_lshlrev_b64 v[5:6], v5, v[6:7]
	s_delay_alu instid0(VALU_DEP_1)
	v_and_b32_e32 v6, 7, v5
; %bb.1858:                             ;   in Loop: Header=BB262_934 Depth=1
	s_or_b32 exec_lo, exec_lo, s16
	v_lshlrev_b32_e32 v5, 24, v155
	s_delay_alu instid0(VALU_DEP_2) | instskip(SKIP_1) | instid1(VALU_DEP_3)
	v_lshlrev_b32_e32 v6, 20, v6
	v_lshl_add_u32 v4, v4, 23, 0x3c000000
	v_and_b32_e32 v5, 0x80000000, v5
	s_delay_alu instid0(VALU_DEP_1) | instskip(NEXT) | instid1(VALU_DEP_1)
	v_or3_b32 v6, v6, v5, v4
	v_dual_mov_b32 v4, v6 :: v_dual_mov_b32 v5, v7
.LBB262_1859:                           ;   in Loop: Header=BB262_934 Depth=1
	s_or_b32 exec_lo, exec_lo, s15
.LBB262_1860:                           ;   in Loop: Header=BB262_934 Depth=1
	s_delay_alu instid0(SALU_CYCLE_1)
	s_or_b32 exec_lo, exec_lo, s13
.LBB262_1861:                           ;   in Loop: Header=BB262_934 Depth=1
	s_delay_alu instid0(SALU_CYCLE_1) | instskip(SKIP_2) | instid1(VALU_DEP_1)
	s_or_b32 exec_lo, exec_lo, s10
	v_lshrrev_b16 v6, 8, v155
	s_mov_b32 s13, exec_lo
	v_cmpx_ne_u16_e32 0, v6
	s_cbranch_execz .LBB262_1869
; %bb.1862:                             ;   in Loop: Header=BB262_934 Depth=1
	v_dual_mov_b32 v13, s9 :: v_dual_mov_b32 v12, s8
	s_mov_b32 s15, exec_lo
	v_cmpx_ne_u16_e32 0x80, v6
	s_cbranch_execz .LBB262_1868
; %bb.1863:                             ;   in Loop: Header=BB262_934 Depth=1
	s_mov_b32 s10, s8
	v_dual_mov_b32 v13, s11 :: v_dual_and_b32 v6, 0xffff, v6
	v_mov_b32_e32 v12, s10
	s_mov_b32 s10, exec_lo
	s_delay_alu instid0(VALU_DEP_2) | instskip(NEXT) | instid1(VALU_DEP_1)
	v_and_b32_e32 v14, 0x7f, v6
	v_cmpx_ne_u32_e32 0x7f, v14
	s_cbranch_execz .LBB262_1867
; %bb.1864:                             ;   in Loop: Header=BB262_934 Depth=1
	v_and_b32_e32 v6, 7, v6
	v_lshrrev_b32_e32 v12, 3, v14
	s_mov_b32 s16, exec_lo
	v_cmpx_gt_u32_e32 8, v14
; %bb.1865:                             ;   in Loop: Header=BB262_934 Depth=1
	s_delay_alu instid0(VALU_DEP_3) | instskip(NEXT) | instid1(VALU_DEP_1)
	v_clz_i32_u32_e32 v12, v6
	v_min_u32_e32 v12, 32, v12
	s_delay_alu instid0(VALU_DEP_1) | instskip(SKIP_1) | instid1(VALU_DEP_2)
	v_subrev_nc_u32_e32 v13, 28, v12
	v_sub_nc_u32_e32 v12, 29, v12
	v_lshlrev_b64 v[13:14], v13, v[6:7]
	s_delay_alu instid0(VALU_DEP_1)
	v_and_b32_e32 v6, 7, v13
; %bb.1866:                             ;   in Loop: Header=BB262_934 Depth=1
	s_or_b32 exec_lo, exec_lo, s16
	v_lshlrev_b32_e32 v13, 16, v155
	s_delay_alu instid0(VALU_DEP_2) | instskip(SKIP_1) | instid1(VALU_DEP_3)
	v_lshlrev_b32_e32 v6, 20, v6
	v_lshl_add_u32 v12, v12, 23, 0x3c000000
	v_and_b32_e32 v13, 0x80000000, v13
	s_delay_alu instid0(VALU_DEP_1)
	v_or3_b32 v13, v6, v13, v12
	v_mov_b32_e32 v12, v7
.LBB262_1867:                           ;   in Loop: Header=BB262_934 Depth=1
	s_or_b32 exec_lo, exec_lo, s10
.LBB262_1868:                           ;   in Loop: Header=BB262_934 Depth=1
	s_delay_alu instid0(SALU_CYCLE_1)
	s_or_b32 exec_lo, exec_lo, s15
.LBB262_1869:                           ;   in Loop: Header=BB262_934 Depth=1
	s_delay_alu instid0(SALU_CYCLE_1) | instskip(SKIP_4) | instid1(VALU_DEP_2)
	s_or_b32 exec_lo, exec_lo, s13
	v_mov_b32_e32 v16, 0
	v_lshrrev_b32_e32 v156, 16, v155
	v_mov_b32_e32 v17, 0
	s_mov_b32 s10, exec_lo
	v_and_b32_e32 v6, 0xff, v156
	s_delay_alu instid0(VALU_DEP_2) | instskip(NEXT) | instid1(VALU_DEP_2)
	v_dual_mov_b32 v14, v16 :: v_dual_mov_b32 v15, v17
	v_cmpx_ne_u16_e32 0, v6
	s_cbranch_execz .LBB262_1877
; %bb.1870:                             ;   in Loop: Header=BB262_934 Depth=1
	v_bfrev_b32_e32 v14, 1
	v_mov_b32_e32 v15, 0
	s_mov_b32 s13, exec_lo
	v_cmpx_ne_u16_e32 0x80, v6
	s_cbranch_execz .LBB262_1876
; %bb.1871:                             ;   in Loop: Header=BB262_934 Depth=1
	v_mov_b32_e32 v14, 0x7f800001
	v_bfe_u32 v157, v155, 16, 7
	v_mov_b32_e32 v15, 0
	s_mov_b32 s15, exec_lo
	s_delay_alu instid0(VALU_DEP_2)
	v_cmpx_ne_u32_e32 0x7f, v157
	s_cbranch_execz .LBB262_1875
; %bb.1872:                             ;   in Loop: Header=BB262_934 Depth=1
	v_and_b32_e32 v6, 7, v156
	v_lshrrev_b32_e32 v14, 3, v157
	s_mov_b32 s16, exec_lo
	v_cmpx_gt_u32_e32 8, v157
; %bb.1873:                             ;   in Loop: Header=BB262_934 Depth=1
	s_delay_alu instid0(VALU_DEP_3) | instskip(NEXT) | instid1(VALU_DEP_1)
	v_clz_i32_u32_e32 v14, v6
	v_min_u32_e32 v14, 32, v14
	s_delay_alu instid0(VALU_DEP_1) | instskip(SKIP_1) | instid1(VALU_DEP_2)
	v_subrev_nc_u32_e32 v15, 28, v14
	v_sub_nc_u32_e32 v14, 29, v14
	v_lshlrev_b64 v[157:158], v15, v[6:7]
	s_delay_alu instid0(VALU_DEP_1)
	v_and_b32_e32 v6, 7, v157
; %bb.1874:                             ;   in Loop: Header=BB262_934 Depth=1
	s_or_b32 exec_lo, exec_lo, s16
	v_lshlrev_b32_e32 v15, 24, v156
	s_delay_alu instid0(VALU_DEP_2) | instskip(SKIP_1) | instid1(VALU_DEP_3)
	v_lshlrev_b32_e32 v6, 20, v6
	v_lshl_add_u32 v14, v14, 23, 0x3c000000
	v_and_b32_e32 v15, 0x80000000, v15
	s_delay_alu instid0(VALU_DEP_1) | instskip(NEXT) | instid1(VALU_DEP_1)
	v_or3_b32 v6, v6, v15, v14
	v_dual_mov_b32 v15, v7 :: v_dual_mov_b32 v14, v6
.LBB262_1875:                           ;   in Loop: Header=BB262_934 Depth=1
	s_or_b32 exec_lo, exec_lo, s15
.LBB262_1876:                           ;   in Loop: Header=BB262_934 Depth=1
	s_delay_alu instid0(SALU_CYCLE_1)
	s_or_b32 exec_lo, exec_lo, s13
.LBB262_1877:                           ;   in Loop: Header=BB262_934 Depth=1
	s_delay_alu instid0(SALU_CYCLE_1) | instskip(NEXT) | instid1(SALU_CYCLE_1)
	s_or_b32 exec_lo, exec_lo, s10
	s_mov_b32 s13, exec_lo
	v_cmpx_lt_u32_e32 0xffffff, v155
	s_cbranch_execz .LBB262_1885
; %bb.1878:                             ;   in Loop: Header=BB262_934 Depth=1
	v_lshrrev_b32_e32 v156, 24, v155
	v_dual_mov_b32 v17, s9 :: v_dual_mov_b32 v16, s8
	s_mov_b32 s15, exec_lo
	s_delay_alu instid0(VALU_DEP_2)
	v_cmpx_ne_u32_e32 0x80, v156
	s_cbranch_execz .LBB262_1884
; %bb.1879:                             ;   in Loop: Header=BB262_934 Depth=1
	s_mov_b32 s10, s8
	v_bfe_u32 v155, v155, 24, 7
	v_dual_mov_b32 v17, s11 :: v_dual_mov_b32 v16, s10
	s_mov_b32 s10, exec_lo
	s_delay_alu instid0(VALU_DEP_2)
	v_cmpx_ne_u32_e32 0x7f, v155
	s_cbranch_execz .LBB262_1883
; %bb.1880:                             ;   in Loop: Header=BB262_934 Depth=1
	v_and_b32_e32 v6, 7, v156
	v_lshrrev_b32_e32 v16, 3, v155
	s_mov_b32 s16, exec_lo
	v_cmpx_gt_u32_e32 8, v155
; %bb.1881:                             ;   in Loop: Header=BB262_934 Depth=1
	s_delay_alu instid0(VALU_DEP_3) | instskip(NEXT) | instid1(VALU_DEP_1)
	v_clz_i32_u32_e32 v16, v6
	v_min_u32_e32 v16, 32, v16
	s_delay_alu instid0(VALU_DEP_1) | instskip(SKIP_1) | instid1(VALU_DEP_2)
	v_subrev_nc_u32_e32 v17, 28, v16
	v_sub_nc_u32_e32 v16, 29, v16
	v_lshlrev_b64 v[157:158], v17, v[6:7]
	s_delay_alu instid0(VALU_DEP_1)
	v_and_b32_e32 v6, 7, v157
; %bb.1882:                             ;   in Loop: Header=BB262_934 Depth=1
	s_or_b32 exec_lo, exec_lo, s16
	v_lshlrev_b32_e32 v17, 24, v156
	s_delay_alu instid0(VALU_DEP_2) | instskip(SKIP_1) | instid1(VALU_DEP_3)
	v_lshlrev_b32_e32 v6, 20, v6
	v_lshl_add_u32 v16, v16, 23, 0x3c000000
	v_and_b32_e32 v17, 0x80000000, v17
	s_delay_alu instid0(VALU_DEP_1)
	v_or3_b32 v17, v6, v17, v16
	v_mov_b32_e32 v16, v7
.LBB262_1883:                           ;   in Loop: Header=BB262_934 Depth=1
	s_or_b32 exec_lo, exec_lo, s10
.LBB262_1884:                           ;   in Loop: Header=BB262_934 Depth=1
	s_delay_alu instid0(SALU_CYCLE_1)
	s_or_b32 exec_lo, exec_lo, s15
.LBB262_1885:                           ;   in Loop: Header=BB262_934 Depth=1
	s_delay_alu instid0(SALU_CYCLE_1) | instskip(SKIP_4) | instid1(VALU_DEP_4)
	s_or_b32 exec_lo, exec_lo, s13
	v_or_b32_e32 v5, v13, v5
	v_or_b32_e32 v4, v12, v4
	;; [unrolled: 1-line block ×4, first 2 shown]
	v_mul_f32_e32 v12, v83, v5
	s_delay_alu instid0(VALU_DEP_4) | instskip(NEXT) | instid1(VALU_DEP_4)
	v_mul_f32_e32 v6, v83, v4
	v_mul_f32_e32 v4, v83, v13
	s_delay_alu instid0(VALU_DEP_4)
	v_mul_f32_e32 v5, v83, v14
	s_and_saveexec_b32 s0, vcc_lo
	s_cbranch_execz .LBB262_932
; %bb.1886:                             ;   in Loop: Header=BB262_934 Depth=1
	v_cmp_lt_i32_e32 vcc_lo, v96, v22
	v_cndmask_b32_e32 v6, 0, v6, vcc_lo
	v_cmp_lt_i32_e32 vcc_lo, v99, v22
	v_cndmask_b32_e32 v12, 0, v12, vcc_lo
	;; [unrolled: 2-line block ×4, first 2 shown]
	s_branch .LBB262_932
.LBB262_1887:
	s_or_b32 exec_lo, exec_lo, s5
.LBB262_1888:
	s_delay_alu instid0(SALU_CYCLE_1)
	s_or_b32 exec_lo, exec_lo, s3
	ds_bpermute_b32 v0, v23, v69
	ds_bpermute_b32 v1, v23, v70
	;; [unrolled: 1-line block ×13, first 2 shown]
	s_waitcnt lgkmcnt(0)
	s_waitcnt_vscnt null, 0x0
	s_barrier
	buffer_gl0_inv
	s_load_b32 s0, s[6:7], 0x0
	v_dual_add_f32 v0, v69, v0 :: v_dual_add_f32 v1, v70, v1
	v_add_f32_e32 v6, v64, v6
	v_add_f32_e32 v2, v68, v2
	v_dual_add_f32 v4, v66, v4 :: v_dual_add_f32 v5, v65, v5
	ds_bpermute_b32 v14, v21, v1
	v_add_f32_e32 v7, v55, v7
	ds_bpermute_b32 v19, v21, v6
	v_dual_add_f32 v8, v54, v8 :: v_dual_add_f32 v9, v53, v9
	v_add_f32_e32 v3, v67, v3
	ds_bpermute_b32 v13, v21, v0
	ds_bpermute_b32 v15, v21, v2
	;; [unrolled: 1-line block ×7, first 2 shown]
	v_add_f32_e32 v12, v50, v12
	ds_bpermute_b32 v27, v21, v8
	v_dual_add_f32 v10, v52, v10 :: v_dual_add_f32 v11, v51, v11
	ds_bpermute_b32 v64, v23, v38
	ds_bpermute_b32 v55, v23, v39
	;; [unrolled: 1-line block ×3, first 2 shown]
	s_waitcnt lgkmcnt(0)
	v_add_f32_e32 v1, v1, v14
	ds_bpermute_b32 v53, v21, v12
	v_add_f32_e32 v6, v6, v19
	ds_bpermute_b32 v50, v21, v10
	ds_bpermute_b32 v54, v23, v48
	;; [unrolled: 1-line block ×3, first 2 shown]
	v_add_f32_e32 v0, v0, v13
	v_dual_add_f32 v2, v2, v15 :: v_dual_add_f32 v5, v5, v18
	v_add_f32_e32 v9, v9, v30
	ds_bpermute_b32 v19, v20, v6
	v_dual_add_f32 v3, v3, v16 :: v_dual_add_f32 v4, v4, v17
	v_add_f32_e32 v7, v7, v22
	ds_bpermute_b32 v13, v20, v0
	ds_bpermute_b32 v18, v20, v5
	;; [unrolled: 1-line block ×7, first 2 shown]
	v_add_f32_e32 v8, v8, v27
	s_waitcnt lgkmcnt(11)
	v_add_f32_e32 v12, v12, v53
	s_waitcnt lgkmcnt(10)
	v_add_f32_e32 v10, v10, v50
	ds_bpermute_b32 v52, v21, v11
	s_waitcnt lgkmcnt(9)
	v_add_f32_e32 v1, v1, v14
	ds_bpermute_b32 v14, v20, v9
	ds_bpermute_b32 v50, v23, v34
	;; [unrolled: 1-line block ×3, first 2 shown]
	s_waitcnt lgkmcnt(11)
	v_add_f32_e32 v6, v6, v19
	s_waitcnt lgkmcnt(10)
	v_dual_add_f32 v19, v38, v64 :: v_dual_add_f32 v0, v0, v13
	s_waitcnt lgkmcnt(9)
	v_dual_add_f32 v5, v5, v18 :: v_dual_add_f32 v18, v39, v55
	ds_bpermute_b32 v38, v21, v19
	s_waitcnt lgkmcnt(6)
	v_dual_add_f32 v2, v2, v15 :: v_dual_add_f32 v7, v7, v22
	v_dual_add_f32 v3, v3, v16 :: v_dual_add_f32 v4, v4, v17
	ds_bpermute_b32 v15, v20, v10
	v_dual_add_f32 v16, v49, v51 :: v_dual_add_f32 v17, v48, v54
	ds_bpermute_b32 v48, v23, v36
	s_waitcnt lgkmcnt(7)
	v_add_f32_e32 v22, v37, v65
	ds_bpermute_b32 v51, v23, v33
	s_waitcnt lgkmcnt(6)
	v_add_f32_e32 v9, v9, v14
	ds_bpermute_b32 v37, v21, v18
	ds_bpermute_b32 v13, v20, v8
	;; [unrolled: 1-line block ×4, first 2 shown]
	v_add_f32_e32 v11, v11, v52
	ds_bpermute_b32 v52, v23, v32
	ds_bpermute_b32 v54, v23, v28
	;; [unrolled: 1-line block ×3, first 2 shown]
	s_waitcnt lgkmcnt(10)
	v_add_f32_e32 v19, v19, v38
	ds_bpermute_b32 v27, v21, v16
	v_add_f32_e32 v29, v29, v53
	ds_bpermute_b32 v14, v20, v12
	s_waitcnt lgkmcnt(11)
	v_add_f32_e32 v10, v10, v15
	ds_bpermute_b32 v15, v23, v31
	ds_bpermute_b32 v23, v23, v25
	v_add_f32_e32 v34, v34, v50
	ds_bpermute_b32 v53, v20, v19
	s_waitcnt lgkmcnt(11)
	v_dual_add_f32 v33, v33, v51 :: v_dual_add_f32 v18, v18, v37
	s_waitcnt lgkmcnt(9)
	v_dual_add_f32 v8, v8, v13 :: v_dual_add_f32 v17, v17, v30
	ds_bpermute_b32 v38, v21, v33
	s_waitcnt lgkmcnt(9)
	v_add_f32_e32 v30, v35, v49
	ds_bpermute_b32 v13, v20, v11
	s_waitcnt lgkmcnt(7)
	v_add_f32_e32 v26, v26, v55
	;; [unrolled: 3-line block ×3, first 2 shown]
	v_add_f32_e32 v27, v36, v48
	ds_bpermute_b32 v39, v21, v22
	s_waitcnt lgkmcnt(6)
	v_add_f32_e32 v15, v31, v15
	ds_bpermute_b32 v35, v21, v27
	s_waitcnt lgkmcnt(6)
	v_add_f32_e32 v23, v25, v23
	ds_bpermute_b32 v36, v21, v30
	ds_bpermute_b32 v31, v21, v29
	v_add_f32_e32 v32, v32, v52
	v_add_f32_e32 v28, v28, v54
	ds_bpermute_b32 v25, v21, v15
	ds_bpermute_b32 v37, v21, v34
	s_waitcnt lgkmcnt(8)
	v_add_f32_e32 v33, v33, v38
	ds_bpermute_b32 v50, v20, v16
	ds_bpermute_b32 v52, v20, v18
	s_waitcnt lgkmcnt(9)
	;; [unrolled: 4-line block ×3, first 2 shown]
	v_add_f32_e32 v22, v22, v39
	s_waitcnt lgkmcnt(8)
	v_add_f32_e32 v27, v27, v35
	ds_bpermute_b32 v39, v21, v32
	s_waitcnt lgkmcnt(7)
	v_dual_add_f32 v30, v30, v36 :: v_dual_add_f32 v29, v29, v31
	ds_bpermute_b32 v48, v21, v28
	ds_bpermute_b32 v21, v21, v23
	;; [unrolled: 1-line block ×3, first 2 shown]
	s_waitcnt lgkmcnt(9)
	v_add_f32_e32 v25, v15, v25
	ds_bpermute_b32 v54, v20, v22
	s_waitcnt lgkmcnt(8)
	v_add_f32_e32 v13, v16, v50
	ds_bpermute_b32 v36, v20, v30
	v_add_f32_e32 v34, v34, v37
	s_waitcnt lgkmcnt(7)
	v_add_f32_e32 v31, v26, v49
	ds_bpermute_b32 v26, v20, v29
	v_dual_add_f32 v12, v12, v14 :: v_dual_add_f32 v15, v18, v52
	ds_bpermute_b32 v55, v20, v31
	s_waitcnt lgkmcnt(7)
	v_add_f32_e32 v32, v32, v39
	s_waitcnt lgkmcnt(6)
	v_add_f32_e32 v28, v28, v48
	;; [unrolled: 2-line block ×3, first 2 shown]
	ds_bpermute_b32 v23, v20, v25
	v_add_f32_e32 v16, v19, v53
	s_waitcnt lgkmcnt(5)
	v_dual_add_f32 v18, v27, v35 :: v_dual_add_f32 v21, v33, v38
	s_waitcnt lgkmcnt(3)
	v_add_f32_e32 v19, v30, v36
	s_clause 0x2
	scratch_load_b32 v33, off, s32 offset:1052
	scratch_load_b32 v30, off, s32 offset:1060
	;; [unrolled: 1-line block ×3, first 2 shown]
	ds_bpermute_b32 v37, v20, v34
	ds_bpermute_b32 v39, v20, v32
	;; [unrolled: 1-line block ×3, first 2 shown]
	s_waitcnt lgkmcnt(3)
	v_add_f32_e32 v23, v25, v23
	v_add_f32_e32 v25, v29, v26
	s_waitcnt vmcnt(1)
	v_mad_u32_u24 v30, 0x1c0, v30, s0
	s_waitcnt vmcnt(0)
	v_lshrrev_b32_e32 v29, 3, v27
	v_dual_add_f32 v14, v17, v51 :: v_dual_add_f32 v17, v22, v54
	ds_bpermute_b32 v49, v20, v28
	s_waitcnt lgkmcnt(3)
	v_dual_add_f32 v20, v34, v37 :: v_dual_add_f32 v27, v31, v55
	s_waitcnt lgkmcnt(2)
	v_add_f32_e32 v22, v32, v39
	v_and_b32_e32 v32, 0x3c7, v33
	v_lshlrev_b32_e32 v31, 2, v29
	s_mov_b32 s0, exec_lo
	s_waitcnt lgkmcnt(0)
	v_add_f32_e32 v26, v28, v49
	v_add_f32_e32 v28, v48, v64
	v_cmpx_eq_u32_e32 64, v32
	s_cbranch_execz .LBB262_1890
; %bb.1889:
	v_add3_u32 v32, v30, v31, 0xfffffc80
	ds_store_2addr_b32 v32, v0, v1 offset1:4
	ds_store_2addr_b32 v32, v2, v3 offset0:8 offset1:12
	ds_store_2addr_b32 v32, v4, v5 offset0:16 offset1:20
	ds_store_2addr_b32 v32, v6, v7 offset0:24 offset1:28
	ds_store_2addr_b32 v32, v8, v9 offset0:32 offset1:36
	ds_store_2addr_b32 v32, v10, v11 offset0:40 offset1:44
	ds_store_2addr_b32 v32, v12, v13 offset0:48 offset1:52
	ds_store_2addr_b32 v32, v14, v15 offset0:56 offset1:60
	ds_store_2addr_b32 v32, v16, v17 offset0:64 offset1:68
	ds_store_2addr_b32 v32, v18, v19 offset0:72 offset1:76
	ds_store_2addr_b32 v32, v20, v21 offset0:80 offset1:84
	ds_store_2addr_b32 v32, v22, v23 offset0:88 offset1:92
	ds_store_2addr_b32 v32, v25, v26 offset0:96 offset1:100
	ds_store_2addr_b32 v32, v27, v28 offset0:104 offset1:108
.LBB262_1890:
	s_or_b32 exec_lo, exec_lo, s0
	v_cmp_eq_u32_e32 vcc_lo, 0, v24
	s_mov_b32 s3, exec_lo
	s_waitcnt lgkmcnt(0)
	s_barrier
	buffer_gl0_inv
	v_cmpx_gt_u32_e32 64, v33
	s_cbranch_execz .LBB262_1921
; %bb.1891:
	s_and_saveexec_b32 s0, vcc_lo
	s_cbranch_execnz .LBB262_1957
; %bb.1892:
	s_or_b32 exec_lo, exec_lo, s0
	s_and_saveexec_b32 s0, vcc_lo
	s_cbranch_execnz .LBB262_1958
.LBB262_1893:
	s_or_b32 exec_lo, exec_lo, s0
	s_and_saveexec_b32 s0, vcc_lo
	s_cbranch_execnz .LBB262_1959
.LBB262_1894:
	s_or_b32 exec_lo, exec_lo, s0
	s_and_saveexec_b32 s0, vcc_lo
	s_cbranch_execnz .LBB262_1960
.LBB262_1895:
	s_or_b32 exec_lo, exec_lo, s0
	s_and_saveexec_b32 s0, vcc_lo
	s_cbranch_execnz .LBB262_1961
.LBB262_1896:
	s_or_b32 exec_lo, exec_lo, s0
	s_and_saveexec_b32 s0, vcc_lo
	s_cbranch_execnz .LBB262_1962
.LBB262_1897:
	s_or_b32 exec_lo, exec_lo, s0
	s_and_saveexec_b32 s0, vcc_lo
	s_cbranch_execnz .LBB262_1963
.LBB262_1898:
	s_or_b32 exec_lo, exec_lo, s0
	s_and_saveexec_b32 s0, vcc_lo
	s_cbranch_execnz .LBB262_1964
.LBB262_1899:
	s_or_b32 exec_lo, exec_lo, s0
	s_and_saveexec_b32 s0, vcc_lo
	s_cbranch_execnz .LBB262_1965
.LBB262_1900:
	s_or_b32 exec_lo, exec_lo, s0
	s_and_saveexec_b32 s0, vcc_lo
	s_cbranch_execnz .LBB262_1966
.LBB262_1901:
	s_or_b32 exec_lo, exec_lo, s0
	s_and_saveexec_b32 s0, vcc_lo
	s_cbranch_execnz .LBB262_1967
.LBB262_1902:
	s_or_b32 exec_lo, exec_lo, s0
	s_and_saveexec_b32 s0, vcc_lo
	s_cbranch_execnz .LBB262_1968
.LBB262_1903:
	s_or_b32 exec_lo, exec_lo, s0
	s_and_saveexec_b32 s0, vcc_lo
	s_cbranch_execnz .LBB262_1969
.LBB262_1904:
	s_or_b32 exec_lo, exec_lo, s0
	s_and_saveexec_b32 s0, vcc_lo
	s_cbranch_execnz .LBB262_1970
.LBB262_1905:
	s_or_b32 exec_lo, exec_lo, s0
	s_and_saveexec_b32 s0, vcc_lo
	s_cbranch_execnz .LBB262_1971
.LBB262_1906:
	s_or_b32 exec_lo, exec_lo, s0
	s_and_saveexec_b32 s0, vcc_lo
	s_cbranch_execnz .LBB262_1972
.LBB262_1907:
	s_or_b32 exec_lo, exec_lo, s0
	s_and_saveexec_b32 s0, vcc_lo
	s_cbranch_execnz .LBB262_1973
.LBB262_1908:
	s_or_b32 exec_lo, exec_lo, s0
	s_and_saveexec_b32 s0, vcc_lo
	s_cbranch_execnz .LBB262_1974
.LBB262_1909:
	s_or_b32 exec_lo, exec_lo, s0
	s_and_saveexec_b32 s0, vcc_lo
	s_cbranch_execnz .LBB262_1975
.LBB262_1910:
	s_or_b32 exec_lo, exec_lo, s0
	s_and_saveexec_b32 s0, vcc_lo
	s_cbranch_execnz .LBB262_1976
.LBB262_1911:
	s_or_b32 exec_lo, exec_lo, s0
	s_and_saveexec_b32 s0, vcc_lo
	s_cbranch_execnz .LBB262_1977
.LBB262_1912:
	s_or_b32 exec_lo, exec_lo, s0
	s_and_saveexec_b32 s0, vcc_lo
	s_cbranch_execnz .LBB262_1978
.LBB262_1913:
	s_or_b32 exec_lo, exec_lo, s0
	s_and_saveexec_b32 s0, vcc_lo
	s_cbranch_execnz .LBB262_1979
.LBB262_1914:
	s_or_b32 exec_lo, exec_lo, s0
	s_and_saveexec_b32 s0, vcc_lo
	s_cbranch_execnz .LBB262_1980
.LBB262_1915:
	s_or_b32 exec_lo, exec_lo, s0
	s_and_saveexec_b32 s0, vcc_lo
	s_cbranch_execnz .LBB262_1981
.LBB262_1916:
	s_or_b32 exec_lo, exec_lo, s0
	s_and_saveexec_b32 s0, vcc_lo
	s_cbranch_execnz .LBB262_1982
.LBB262_1917:
	s_or_b32 exec_lo, exec_lo, s0
	s_and_saveexec_b32 s0, vcc_lo
	s_cbranch_execnz .LBB262_1983
.LBB262_1918:
	s_or_b32 exec_lo, exec_lo, s0
	s_and_saveexec_b32 s0, vcc_lo
	s_cbranch_execz .LBB262_1920
.LBB262_1919:
	v_lshl_add_u32 v24, v29, 2, v30
	ds_load_b32 v24, v24 offset:432
	s_waitcnt lgkmcnt(0)
	v_add_f32_e32 v28, v24, v28
.LBB262_1920:
	s_or_b32 exec_lo, exec_lo, s0
.LBB262_1921:
	s_delay_alu instid0(SALU_CYCLE_1)
	s_or_b32 exec_lo, exec_lo, s3
	v_and_b32_e32 v24, 0x3e7, v33
	s_mov_b32 s3, exec_lo
	s_barrier
	buffer_gl0_inv
	v_cmpx_eq_u32_e32 32, v24
	s_cbranch_execz .LBB262_1923
; %bb.1922:
	v_add3_u32 v31, v30, v31, 0xfffffe40
	ds_store_2addr_b32 v31, v0, v1 offset1:4
	ds_store_2addr_b32 v31, v2, v3 offset0:8 offset1:12
	ds_store_2addr_b32 v31, v4, v5 offset0:16 offset1:20
	;; [unrolled: 1-line block ×13, first 2 shown]
.LBB262_1923:
	s_or_b32 exec_lo, exec_lo, s3
	s_delay_alu instid0(SALU_CYCLE_1)
	s_mov_b32 s3, exec_lo
	s_waitcnt lgkmcnt(0)
	s_barrier
	buffer_gl0_inv
	v_cmpx_gt_u32_e32 32, v33
	s_cbranch_execz .LBB262_1954
; %bb.1924:
	v_lshl_add_u32 v29, v29, 2, v30
	s_and_saveexec_b32 s0, vcc_lo
	s_cbranch_execnz .LBB262_1984
; %bb.1925:
	s_or_b32 exec_lo, exec_lo, s0
	s_and_saveexec_b32 s0, vcc_lo
	s_cbranch_execnz .LBB262_1985
.LBB262_1926:
	s_or_b32 exec_lo, exec_lo, s0
	s_and_saveexec_b32 s0, vcc_lo
	s_cbranch_execnz .LBB262_1986
.LBB262_1927:
	s_or_b32 exec_lo, exec_lo, s0
	s_and_saveexec_b32 s0, vcc_lo
	s_cbranch_execnz .LBB262_1987
.LBB262_1928:
	s_or_b32 exec_lo, exec_lo, s0
	s_and_saveexec_b32 s0, vcc_lo
	s_cbranch_execnz .LBB262_1988
.LBB262_1929:
	s_or_b32 exec_lo, exec_lo, s0
	s_and_saveexec_b32 s0, vcc_lo
	s_cbranch_execnz .LBB262_1989
.LBB262_1930:
	s_or_b32 exec_lo, exec_lo, s0
	s_and_saveexec_b32 s0, vcc_lo
	s_cbranch_execnz .LBB262_1990
.LBB262_1931:
	s_or_b32 exec_lo, exec_lo, s0
	s_and_saveexec_b32 s0, vcc_lo
	s_cbranch_execnz .LBB262_1991
.LBB262_1932:
	s_or_b32 exec_lo, exec_lo, s0
	s_and_saveexec_b32 s0, vcc_lo
	s_cbranch_execnz .LBB262_1992
.LBB262_1933:
	s_or_b32 exec_lo, exec_lo, s0
	s_and_saveexec_b32 s0, vcc_lo
	s_cbranch_execnz .LBB262_1993
.LBB262_1934:
	s_or_b32 exec_lo, exec_lo, s0
	s_and_saveexec_b32 s0, vcc_lo
	s_cbranch_execnz .LBB262_1994
.LBB262_1935:
	s_or_b32 exec_lo, exec_lo, s0
	s_and_saveexec_b32 s0, vcc_lo
	s_cbranch_execnz .LBB262_1995
.LBB262_1936:
	s_or_b32 exec_lo, exec_lo, s0
	s_and_saveexec_b32 s0, vcc_lo
	s_cbranch_execnz .LBB262_1996
.LBB262_1937:
	s_or_b32 exec_lo, exec_lo, s0
	s_and_saveexec_b32 s0, vcc_lo
	s_cbranch_execnz .LBB262_1997
.LBB262_1938:
	s_or_b32 exec_lo, exec_lo, s0
	s_and_saveexec_b32 s0, vcc_lo
	s_cbranch_execnz .LBB262_1998
.LBB262_1939:
	s_or_b32 exec_lo, exec_lo, s0
	s_and_saveexec_b32 s0, vcc_lo
	s_cbranch_execnz .LBB262_1999
.LBB262_1940:
	s_or_b32 exec_lo, exec_lo, s0
	s_and_saveexec_b32 s0, vcc_lo
	s_cbranch_execnz .LBB262_2000
.LBB262_1941:
	s_or_b32 exec_lo, exec_lo, s0
	s_and_saveexec_b32 s0, vcc_lo
	s_cbranch_execnz .LBB262_2001
.LBB262_1942:
	s_or_b32 exec_lo, exec_lo, s0
	s_and_saveexec_b32 s0, vcc_lo
	s_cbranch_execnz .LBB262_2002
.LBB262_1943:
	s_or_b32 exec_lo, exec_lo, s0
	s_and_saveexec_b32 s0, vcc_lo
	s_cbranch_execnz .LBB262_2003
.LBB262_1944:
	s_or_b32 exec_lo, exec_lo, s0
	s_and_saveexec_b32 s0, vcc_lo
	s_cbranch_execnz .LBB262_2004
.LBB262_1945:
	s_or_b32 exec_lo, exec_lo, s0
	s_and_saveexec_b32 s0, vcc_lo
	s_cbranch_execnz .LBB262_2005
.LBB262_1946:
	s_or_b32 exec_lo, exec_lo, s0
	s_and_saveexec_b32 s0, vcc_lo
	s_cbranch_execnz .LBB262_2006
.LBB262_1947:
	s_or_b32 exec_lo, exec_lo, s0
	s_and_saveexec_b32 s0, vcc_lo
	s_cbranch_execnz .LBB262_2007
.LBB262_1948:
	s_or_b32 exec_lo, exec_lo, s0
	s_and_saveexec_b32 s0, vcc_lo
	s_cbranch_execnz .LBB262_2008
.LBB262_1949:
	s_or_b32 exec_lo, exec_lo, s0
	s_and_saveexec_b32 s0, vcc_lo
	s_cbranch_execnz .LBB262_2009
.LBB262_1950:
	s_or_b32 exec_lo, exec_lo, s0
	s_and_saveexec_b32 s0, vcc_lo
	s_cbranch_execnz .LBB262_2010
.LBB262_1951:
	s_or_b32 exec_lo, exec_lo, s0
	s_and_saveexec_b32 s0, vcc_lo
	s_cbranch_execz .LBB262_1953
.LBB262_1952:
	ds_load_b32 v29, v29 offset:432
	s_waitcnt lgkmcnt(0)
	v_add_f32_e32 v28, v29, v28
.LBB262_1953:
	s_or_b32 exec_lo, exec_lo, s0
.LBB262_1954:
	s_delay_alu instid0(SALU_CYCLE_1)
	s_or_b32 exec_lo, exec_lo, s3
	v_cmp_eq_u32_e32 vcc_lo, 0, v24
	s_barrier
	buffer_gl0_inv
	s_and_b32 exec_lo, exec_lo, vcc_lo
	s_cbranch_execz .LBB262_1956
; %bb.1955:
	s_clause 0x1
	scratch_load_b32 v29, off, s32 offset:1068
	scratch_load_b32 v30, off, s32 offset:1064
	s_mul_i32 s0, s2, 0x70
	s_mul_i32 s2, s4, s1
	s_mul_i32 s4, s14, 0x70
	s_ashr_i32 s3, s2, 31
	s_ashr_i32 s5, s4, 31
	;; [unrolled: 1-line block ×3, first 2 shown]
	s_lshl_b64 s[2:3], s[2:3], 2
	s_lshl_b64 s[4:5], s[4:5], 2
	;; [unrolled: 1-line block ×3, first 2 shown]
	s_add_u32 s2, s4, s2
	s_addc_u32 s3, s5, s3
	s_add_u32 s0, s2, s0
	s_addc_u32 s1, s3, s1
	v_lshrrev_b32_e32 v24, 1, v33
	s_waitcnt vmcnt(1)
	v_add_co_u32 v29, vcc_lo, s0, v29
	s_waitcnt vmcnt(0)
	v_add_co_ci_u32_e32 v30, vcc_lo, s1, v30, vcc_lo
	s_delay_alu instid0(VALU_DEP_2) | instskip(NEXT) | instid1(VALU_DEP_2)
	v_add_co_u32 v29, vcc_lo, v29, v24
	v_add_co_ci_u32_e32 v30, vcc_lo, 0, v30, vcc_lo
	s_clause 0x1b
	flat_store_b32 v[29:30], v0
	flat_store_b32 v[29:30], v1 offset:16
	flat_store_b32 v[29:30], v2 offset:32
	;; [unrolled: 1-line block ×27, first 2 shown]
.LBB262_1956:
	s_or_b32 exec_lo, exec_lo, s18
	s_clause 0x1f
	scratch_load_b32 v191, off, s32 offset:8
	scratch_load_b32 v190, off, s32 offset:12
	;; [unrolled: 1-line block ×32, first 2 shown]
	s_clause 0x1f
	scratch_load_b32 v127, off, s32 offset:136
	scratch_load_b32 v126, off, s32 offset:140
	;; [unrolled: 1-line block ×32, first 2 shown]
	s_clause 0xf
	scratch_load_b32 v63, off, s32 offset:264
	scratch_load_b32 v62, off, s32 offset:268
	;; [unrolled: 1-line block ×16, first 2 shown]
	s_waitcnt vmcnt(0) lgkmcnt(0)
	s_setpc_b64 s[30:31]
.LBB262_1957:
	v_lshl_add_u32 v24, v29, 2, v30
	ds_load_b32 v24, v24
	s_waitcnt lgkmcnt(0)
	v_add_f32_e32 v0, v24, v0
	s_or_b32 exec_lo, exec_lo, s0
	s_and_saveexec_b32 s0, vcc_lo
	s_cbranch_execz .LBB262_1893
.LBB262_1958:
	v_lshl_add_u32 v24, v29, 2, v30
	ds_load_b32 v24, v24 offset:16
	s_waitcnt lgkmcnt(0)
	v_add_f32_e32 v1, v24, v1
	s_or_b32 exec_lo, exec_lo, s0
	s_and_saveexec_b32 s0, vcc_lo
	s_cbranch_execz .LBB262_1894
.LBB262_1959:
	v_lshl_add_u32 v24, v29, 2, v30
	ds_load_b32 v24, v24 offset:32
	s_waitcnt lgkmcnt(0)
	v_add_f32_e32 v2, v24, v2
	s_or_b32 exec_lo, exec_lo, s0
	s_and_saveexec_b32 s0, vcc_lo
	s_cbranch_execz .LBB262_1895
.LBB262_1960:
	v_lshl_add_u32 v24, v29, 2, v30
	ds_load_b32 v24, v24 offset:48
	s_waitcnt lgkmcnt(0)
	v_add_f32_e32 v3, v24, v3
	s_or_b32 exec_lo, exec_lo, s0
	s_and_saveexec_b32 s0, vcc_lo
	s_cbranch_execz .LBB262_1896
.LBB262_1961:
	v_lshl_add_u32 v24, v29, 2, v30
	ds_load_b32 v24, v24 offset:64
	s_waitcnt lgkmcnt(0)
	v_add_f32_e32 v4, v24, v4
	s_or_b32 exec_lo, exec_lo, s0
	s_and_saveexec_b32 s0, vcc_lo
	s_cbranch_execz .LBB262_1897
.LBB262_1962:
	v_lshl_add_u32 v24, v29, 2, v30
	ds_load_b32 v24, v24 offset:80
	s_waitcnt lgkmcnt(0)
	v_add_f32_e32 v5, v24, v5
	s_or_b32 exec_lo, exec_lo, s0
	s_and_saveexec_b32 s0, vcc_lo
	s_cbranch_execz .LBB262_1898
.LBB262_1963:
	v_lshl_add_u32 v24, v29, 2, v30
	ds_load_b32 v24, v24 offset:96
	s_waitcnt lgkmcnt(0)
	v_add_f32_e32 v6, v24, v6
	s_or_b32 exec_lo, exec_lo, s0
	s_and_saveexec_b32 s0, vcc_lo
	s_cbranch_execz .LBB262_1899
.LBB262_1964:
	v_lshl_add_u32 v24, v29, 2, v30
	ds_load_b32 v24, v24 offset:112
	s_waitcnt lgkmcnt(0)
	v_add_f32_e32 v7, v24, v7
	s_or_b32 exec_lo, exec_lo, s0
	s_and_saveexec_b32 s0, vcc_lo
	s_cbranch_execz .LBB262_1900
.LBB262_1965:
	v_lshl_add_u32 v24, v29, 2, v30
	ds_load_b32 v24, v24 offset:128
	s_waitcnt lgkmcnt(0)
	v_add_f32_e32 v8, v24, v8
	s_or_b32 exec_lo, exec_lo, s0
	s_and_saveexec_b32 s0, vcc_lo
	s_cbranch_execz .LBB262_1901
.LBB262_1966:
	v_lshl_add_u32 v24, v29, 2, v30
	ds_load_b32 v24, v24 offset:144
	s_waitcnt lgkmcnt(0)
	v_add_f32_e32 v9, v24, v9
	s_or_b32 exec_lo, exec_lo, s0
	s_and_saveexec_b32 s0, vcc_lo
	s_cbranch_execz .LBB262_1902
.LBB262_1967:
	v_lshl_add_u32 v24, v29, 2, v30
	ds_load_b32 v24, v24 offset:160
	s_waitcnt lgkmcnt(0)
	v_add_f32_e32 v10, v24, v10
	s_or_b32 exec_lo, exec_lo, s0
	s_and_saveexec_b32 s0, vcc_lo
	s_cbranch_execz .LBB262_1903
.LBB262_1968:
	v_lshl_add_u32 v24, v29, 2, v30
	ds_load_b32 v24, v24 offset:176
	s_waitcnt lgkmcnt(0)
	v_add_f32_e32 v11, v24, v11
	s_or_b32 exec_lo, exec_lo, s0
	s_and_saveexec_b32 s0, vcc_lo
	s_cbranch_execz .LBB262_1904
.LBB262_1969:
	v_lshl_add_u32 v24, v29, 2, v30
	ds_load_b32 v24, v24 offset:192
	s_waitcnt lgkmcnt(0)
	v_add_f32_e32 v12, v24, v12
	s_or_b32 exec_lo, exec_lo, s0
	s_and_saveexec_b32 s0, vcc_lo
	s_cbranch_execz .LBB262_1905
.LBB262_1970:
	v_lshl_add_u32 v24, v29, 2, v30
	ds_load_b32 v24, v24 offset:208
	s_waitcnt lgkmcnt(0)
	v_add_f32_e32 v13, v24, v13
	s_or_b32 exec_lo, exec_lo, s0
	s_and_saveexec_b32 s0, vcc_lo
	s_cbranch_execz .LBB262_1906
.LBB262_1971:
	v_lshl_add_u32 v24, v29, 2, v30
	ds_load_b32 v24, v24 offset:224
	s_waitcnt lgkmcnt(0)
	v_add_f32_e32 v14, v24, v14
	s_or_b32 exec_lo, exec_lo, s0
	s_and_saveexec_b32 s0, vcc_lo
	s_cbranch_execz .LBB262_1907
.LBB262_1972:
	v_lshl_add_u32 v24, v29, 2, v30
	ds_load_b32 v24, v24 offset:240
	s_waitcnt lgkmcnt(0)
	v_add_f32_e32 v15, v24, v15
	s_or_b32 exec_lo, exec_lo, s0
	s_and_saveexec_b32 s0, vcc_lo
	s_cbranch_execz .LBB262_1908
.LBB262_1973:
	v_lshl_add_u32 v24, v29, 2, v30
	ds_load_b32 v24, v24 offset:256
	s_waitcnt lgkmcnt(0)
	v_add_f32_e32 v16, v24, v16
	s_or_b32 exec_lo, exec_lo, s0
	s_and_saveexec_b32 s0, vcc_lo
	s_cbranch_execz .LBB262_1909
.LBB262_1974:
	v_lshl_add_u32 v24, v29, 2, v30
	ds_load_b32 v24, v24 offset:272
	s_waitcnt lgkmcnt(0)
	v_add_f32_e32 v17, v24, v17
	s_or_b32 exec_lo, exec_lo, s0
	s_and_saveexec_b32 s0, vcc_lo
	s_cbranch_execz .LBB262_1910
.LBB262_1975:
	v_lshl_add_u32 v24, v29, 2, v30
	ds_load_b32 v24, v24 offset:288
	s_waitcnt lgkmcnt(0)
	v_add_f32_e32 v18, v24, v18
	s_or_b32 exec_lo, exec_lo, s0
	s_and_saveexec_b32 s0, vcc_lo
	s_cbranch_execz .LBB262_1911
.LBB262_1976:
	v_lshl_add_u32 v24, v29, 2, v30
	ds_load_b32 v24, v24 offset:304
	s_waitcnt lgkmcnt(0)
	v_add_f32_e32 v19, v24, v19
	s_or_b32 exec_lo, exec_lo, s0
	s_and_saveexec_b32 s0, vcc_lo
	s_cbranch_execz .LBB262_1912
.LBB262_1977:
	v_lshl_add_u32 v24, v29, 2, v30
	ds_load_b32 v24, v24 offset:320
	s_waitcnt lgkmcnt(0)
	v_add_f32_e32 v20, v24, v20
	s_or_b32 exec_lo, exec_lo, s0
	s_and_saveexec_b32 s0, vcc_lo
	s_cbranch_execz .LBB262_1913
.LBB262_1978:
	v_lshl_add_u32 v24, v29, 2, v30
	ds_load_b32 v24, v24 offset:336
	s_waitcnt lgkmcnt(0)
	v_add_f32_e32 v21, v24, v21
	s_or_b32 exec_lo, exec_lo, s0
	s_and_saveexec_b32 s0, vcc_lo
	s_cbranch_execz .LBB262_1914
.LBB262_1979:
	v_lshl_add_u32 v24, v29, 2, v30
	ds_load_b32 v24, v24 offset:352
	s_waitcnt lgkmcnt(0)
	v_add_f32_e32 v22, v24, v22
	s_or_b32 exec_lo, exec_lo, s0
	s_and_saveexec_b32 s0, vcc_lo
	s_cbranch_execz .LBB262_1915
.LBB262_1980:
	v_lshl_add_u32 v24, v29, 2, v30
	ds_load_b32 v24, v24 offset:368
	s_waitcnt lgkmcnt(0)
	v_add_f32_e32 v23, v24, v23
	s_or_b32 exec_lo, exec_lo, s0
	s_and_saveexec_b32 s0, vcc_lo
	s_cbranch_execz .LBB262_1916
.LBB262_1981:
	v_lshl_add_u32 v24, v29, 2, v30
	ds_load_b32 v24, v24 offset:384
	s_waitcnt lgkmcnt(0)
	v_add_f32_e32 v25, v24, v25
	s_or_b32 exec_lo, exec_lo, s0
	s_and_saveexec_b32 s0, vcc_lo
	s_cbranch_execz .LBB262_1917
.LBB262_1982:
	v_lshl_add_u32 v24, v29, 2, v30
	ds_load_b32 v24, v24 offset:400
	s_waitcnt lgkmcnt(0)
	v_add_f32_e32 v26, v24, v26
	s_or_b32 exec_lo, exec_lo, s0
	s_and_saveexec_b32 s0, vcc_lo
	s_cbranch_execz .LBB262_1918
.LBB262_1983:
	v_lshl_add_u32 v24, v29, 2, v30
	ds_load_b32 v24, v24 offset:416
	s_waitcnt lgkmcnt(0)
	v_add_f32_e32 v27, v24, v27
	s_or_b32 exec_lo, exec_lo, s0
	s_and_saveexec_b32 s0, vcc_lo
	s_cbranch_execnz .LBB262_1919
	s_branch .LBB262_1920
.LBB262_1984:
	ds_load_b32 v30, v29
	s_waitcnt lgkmcnt(0)
	v_add_f32_e32 v0, v30, v0
	s_or_b32 exec_lo, exec_lo, s0
	s_and_saveexec_b32 s0, vcc_lo
	s_cbranch_execz .LBB262_1926
.LBB262_1985:
	ds_load_b32 v30, v29 offset:16
	s_waitcnt lgkmcnt(0)
	v_add_f32_e32 v1, v30, v1
	s_or_b32 exec_lo, exec_lo, s0
	s_and_saveexec_b32 s0, vcc_lo
	s_cbranch_execz .LBB262_1927
.LBB262_1986:
	ds_load_b32 v30, v29 offset:32
	s_waitcnt lgkmcnt(0)
	v_add_f32_e32 v2, v30, v2
	s_or_b32 exec_lo, exec_lo, s0
	s_and_saveexec_b32 s0, vcc_lo
	s_cbranch_execz .LBB262_1928
.LBB262_1987:
	ds_load_b32 v30, v29 offset:48
	s_waitcnt lgkmcnt(0)
	v_add_f32_e32 v3, v30, v3
	s_or_b32 exec_lo, exec_lo, s0
	s_and_saveexec_b32 s0, vcc_lo
	s_cbranch_execz .LBB262_1929
.LBB262_1988:
	ds_load_b32 v30, v29 offset:64
	s_waitcnt lgkmcnt(0)
	v_add_f32_e32 v4, v30, v4
	s_or_b32 exec_lo, exec_lo, s0
	s_and_saveexec_b32 s0, vcc_lo
	s_cbranch_execz .LBB262_1930
.LBB262_1989:
	ds_load_b32 v30, v29 offset:80
	s_waitcnt lgkmcnt(0)
	v_add_f32_e32 v5, v30, v5
	s_or_b32 exec_lo, exec_lo, s0
	s_and_saveexec_b32 s0, vcc_lo
	s_cbranch_execz .LBB262_1931
.LBB262_1990:
	ds_load_b32 v30, v29 offset:96
	s_waitcnt lgkmcnt(0)
	v_add_f32_e32 v6, v30, v6
	s_or_b32 exec_lo, exec_lo, s0
	s_and_saveexec_b32 s0, vcc_lo
	s_cbranch_execz .LBB262_1932
.LBB262_1991:
	ds_load_b32 v30, v29 offset:112
	s_waitcnt lgkmcnt(0)
	v_add_f32_e32 v7, v30, v7
	s_or_b32 exec_lo, exec_lo, s0
	s_and_saveexec_b32 s0, vcc_lo
	s_cbranch_execz .LBB262_1933
.LBB262_1992:
	ds_load_b32 v30, v29 offset:128
	s_waitcnt lgkmcnt(0)
	v_add_f32_e32 v8, v30, v8
	s_or_b32 exec_lo, exec_lo, s0
	s_and_saveexec_b32 s0, vcc_lo
	s_cbranch_execz .LBB262_1934
.LBB262_1993:
	ds_load_b32 v30, v29 offset:144
	s_waitcnt lgkmcnt(0)
	v_add_f32_e32 v9, v30, v9
	s_or_b32 exec_lo, exec_lo, s0
	s_and_saveexec_b32 s0, vcc_lo
	s_cbranch_execz .LBB262_1935
.LBB262_1994:
	ds_load_b32 v30, v29 offset:160
	s_waitcnt lgkmcnt(0)
	v_add_f32_e32 v10, v30, v10
	s_or_b32 exec_lo, exec_lo, s0
	s_and_saveexec_b32 s0, vcc_lo
	s_cbranch_execz .LBB262_1936
.LBB262_1995:
	ds_load_b32 v30, v29 offset:176
	s_waitcnt lgkmcnt(0)
	v_add_f32_e32 v11, v30, v11
	s_or_b32 exec_lo, exec_lo, s0
	s_and_saveexec_b32 s0, vcc_lo
	s_cbranch_execz .LBB262_1937
.LBB262_1996:
	ds_load_b32 v30, v29 offset:192
	s_waitcnt lgkmcnt(0)
	v_add_f32_e32 v12, v30, v12
	s_or_b32 exec_lo, exec_lo, s0
	s_and_saveexec_b32 s0, vcc_lo
	s_cbranch_execz .LBB262_1938
.LBB262_1997:
	ds_load_b32 v30, v29 offset:208
	s_waitcnt lgkmcnt(0)
	v_add_f32_e32 v13, v30, v13
	s_or_b32 exec_lo, exec_lo, s0
	s_and_saveexec_b32 s0, vcc_lo
	s_cbranch_execz .LBB262_1939
.LBB262_1998:
	ds_load_b32 v30, v29 offset:224
	s_waitcnt lgkmcnt(0)
	v_add_f32_e32 v14, v30, v14
	s_or_b32 exec_lo, exec_lo, s0
	s_and_saveexec_b32 s0, vcc_lo
	s_cbranch_execz .LBB262_1940
.LBB262_1999:
	ds_load_b32 v30, v29 offset:240
	s_waitcnt lgkmcnt(0)
	v_add_f32_e32 v15, v30, v15
	s_or_b32 exec_lo, exec_lo, s0
	s_and_saveexec_b32 s0, vcc_lo
	s_cbranch_execz .LBB262_1941
.LBB262_2000:
	ds_load_b32 v30, v29 offset:256
	s_waitcnt lgkmcnt(0)
	v_add_f32_e32 v16, v30, v16
	s_or_b32 exec_lo, exec_lo, s0
	s_and_saveexec_b32 s0, vcc_lo
	s_cbranch_execz .LBB262_1942
.LBB262_2001:
	ds_load_b32 v30, v29 offset:272
	s_waitcnt lgkmcnt(0)
	v_add_f32_e32 v17, v30, v17
	s_or_b32 exec_lo, exec_lo, s0
	s_and_saveexec_b32 s0, vcc_lo
	s_cbranch_execz .LBB262_1943
.LBB262_2002:
	ds_load_b32 v30, v29 offset:288
	s_waitcnt lgkmcnt(0)
	v_add_f32_e32 v18, v30, v18
	s_or_b32 exec_lo, exec_lo, s0
	s_and_saveexec_b32 s0, vcc_lo
	s_cbranch_execz .LBB262_1944
.LBB262_2003:
	ds_load_b32 v30, v29 offset:304
	s_waitcnt lgkmcnt(0)
	v_add_f32_e32 v19, v30, v19
	s_or_b32 exec_lo, exec_lo, s0
	s_and_saveexec_b32 s0, vcc_lo
	s_cbranch_execz .LBB262_1945
.LBB262_2004:
	ds_load_b32 v30, v29 offset:320
	s_waitcnt lgkmcnt(0)
	v_add_f32_e32 v20, v30, v20
	s_or_b32 exec_lo, exec_lo, s0
	s_and_saveexec_b32 s0, vcc_lo
	s_cbranch_execz .LBB262_1946
.LBB262_2005:
	ds_load_b32 v30, v29 offset:336
	s_waitcnt lgkmcnt(0)
	v_add_f32_e32 v21, v30, v21
	s_or_b32 exec_lo, exec_lo, s0
	s_and_saveexec_b32 s0, vcc_lo
	s_cbranch_execz .LBB262_1947
.LBB262_2006:
	ds_load_b32 v30, v29 offset:352
	s_waitcnt lgkmcnt(0)
	v_add_f32_e32 v22, v30, v22
	s_or_b32 exec_lo, exec_lo, s0
	s_and_saveexec_b32 s0, vcc_lo
	s_cbranch_execz .LBB262_1948
.LBB262_2007:
	ds_load_b32 v30, v29 offset:368
	s_waitcnt lgkmcnt(0)
	v_add_f32_e32 v23, v30, v23
	s_or_b32 exec_lo, exec_lo, s0
	s_and_saveexec_b32 s0, vcc_lo
	s_cbranch_execz .LBB262_1949
.LBB262_2008:
	ds_load_b32 v30, v29 offset:384
	s_waitcnt lgkmcnt(0)
	v_add_f32_e32 v25, v30, v25
	s_or_b32 exec_lo, exec_lo, s0
	s_and_saveexec_b32 s0, vcc_lo
	s_cbranch_execz .LBB262_1950
.LBB262_2009:
	ds_load_b32 v30, v29 offset:400
	s_waitcnt lgkmcnt(0)
	v_add_f32_e32 v26, v30, v26
	s_or_b32 exec_lo, exec_lo, s0
	s_and_saveexec_b32 s0, vcc_lo
	s_cbranch_execz .LBB262_1951
.LBB262_2010:
	ds_load_b32 v30, v29 offset:416
	s_waitcnt lgkmcnt(0)
	v_add_f32_e32 v27, v30, v27
	s_or_b32 exec_lo, exec_lo, s0
	s_and_saveexec_b32 s0, vcc_lo
	s_cbranch_execnz .LBB262_1952
	s_branch .LBB262_1953
.Lfunc_end262:
	.size	_ZN4vllm22paged_attention_kernelIfhLi112ELi32ELi128ELNS_18Fp8KVCacheDataTypeE1ELb1ELi512EEEvPfS2_PT_PKS3_PKT0_S9_ifPKiSB_iPKfiiiSD_SD_iiiii, .Lfunc_end262-_ZN4vllm22paged_attention_kernelIfhLi112ELi32ELi128ELNS_18Fp8KVCacheDataTypeE1ELb1ELi512EEEvPfS2_PT_PKS3_PKT0_S9_ifPKiSB_iPKfiiiSD_SD_iiiii
                                        ; -- End function
	.section	.AMDGPU.csdata,"",@progbits
; Function info:
; codeLenInByte = 69472
; NumSgprs: 35
; NumVgprs: 192
; ScratchSize: 1140
; MemoryBound: 0
	.section	.text._ZN4vllm25paged_attention_v2_kernelIfhLi112ELi32ELi128ELNS_18Fp8KVCacheDataTypeE1ELb1ELi512EEEvPfS2_PT_PKS3_PKT0_S9_ifPKiSB_iPKfiiiSD_SD_iiiii,"axG",@progbits,_ZN4vllm25paged_attention_v2_kernelIfhLi112ELi32ELi128ELNS_18Fp8KVCacheDataTypeE1ELb1ELi512EEEvPfS2_PT_PKS3_PKT0_S9_ifPKiSB_iPKfiiiSD_SD_iiiii,comdat
	.protected	_ZN4vllm25paged_attention_v2_kernelIfhLi112ELi32ELi128ELNS_18Fp8KVCacheDataTypeE1ELb1ELi512EEEvPfS2_PT_PKS3_PKT0_S9_ifPKiSB_iPKfiiiSD_SD_iiiii ; -- Begin function _ZN4vllm25paged_attention_v2_kernelIfhLi112ELi32ELi128ELNS_18Fp8KVCacheDataTypeE1ELb1ELi512EEEvPfS2_PT_PKS3_PKT0_S9_ifPKiSB_iPKfiiiSD_SD_iiiii
	.globl	_ZN4vllm25paged_attention_v2_kernelIfhLi112ELi32ELi128ELNS_18Fp8KVCacheDataTypeE1ELb1ELi512EEEvPfS2_PT_PKS3_PKT0_S9_ifPKiSB_iPKfiiiSD_SD_iiiii
	.p2align	8
	.type	_ZN4vllm25paged_attention_v2_kernelIfhLi112ELi32ELi128ELNS_18Fp8KVCacheDataTypeE1ELb1ELi512EEEvPfS2_PT_PKS3_PKT0_S9_ifPKiSB_iPKfiiiSD_SD_iiiii,@function
_ZN4vllm25paged_attention_v2_kernelIfhLi112ELi32ELi128ELNS_18Fp8KVCacheDataTypeE1ELb1ELi512EEEvPfS2_PT_PKS3_PKT0_S9_ifPKiSB_iPKfiiiSD_SD_iiiii: ; @_ZN4vllm25paged_attention_v2_kernelIfhLi112ELi32ELi128ELNS_18Fp8KVCacheDataTypeE1ELb1ELi512EEEvPfS2_PT_PKS3_PKT0_S9_ifPKiSB_iPKfiiiSD_SD_iiiii
; %bb.0:
	s_mov_b32 s12, s13
	s_clause 0x7
	s_load_b128 s[4:7], s[0:1], 0x78
	s_load_b32 s8, s[0:1], 0x88
	s_load_b256 s[24:31], s[0:1], 0x0
	s_load_b256 s[36:43], s[0:1], 0x20
	s_load_b64 s[2:3], s[0:1], 0x40
	s_load_b64 s[10:11], s[0:1], 0x50
	s_load_b32 s13, s[0:1], 0x48
	s_load_b256 s[16:23], s[0:1], 0x58
	s_mov_b32 s32, 0
	v_mov_b32_e32 v31, v0
	s_waitcnt lgkmcnt(0)
	v_dual_mov_b32 v1, s7 :: v_dual_mov_b32 v2, s8
	v_dual_mov_b32 v0, s24 :: v_dual_mov_b32 v3, s27
	;; [unrolled: 1-line block ×3, first 2 shown]
	v_mov_b32_e32 v6, s30
	scratch_store_b64 off, v[1:2], s32
	v_dual_mov_b32 v1, s25 :: v_dual_mov_b32 v2, s26
	v_dual_mov_b32 v7, s31 :: v_dual_mov_b32 v8, s36
	;; [unrolled: 1-line block ×13, first 2 shown]
	s_add_u32 s8, s0, 0x90
	s_addc_u32 s9, s1, 0
	s_mov_b32 s13, s14
	s_mov_b32 s14, s15
	;; [unrolled: 1-line block ×3, first 2 shown]
	s_getpc_b64 s[0:1]
	s_add_u32 s0, s0, _ZN4vllm22paged_attention_kernelIfhLi112ELi32ELi128ELNS_18Fp8KVCacheDataTypeE1ELb1ELi512EEEvPfS2_PT_PKS3_PKT0_S9_ifPKiSB_iPKfiiiSD_SD_iiiii@rel32@lo+4
	s_addc_u32 s1, s1, _ZN4vllm22paged_attention_kernelIfhLi112ELi32ELi128ELNS_18Fp8KVCacheDataTypeE1ELb1ELi512EEEvPfS2_PT_PKS3_PKT0_S9_ifPKiSB_iPKfiiiSD_SD_iiiii@rel32@hi+12
	s_delay_alu instid0(SALU_CYCLE_1)
	s_swappc_b64 s[30:31], s[0:1]
	s_endpgm
	.section	.rodata,"a",@progbits
	.p2align	6, 0x0
	.amdhsa_kernel _ZN4vllm25paged_attention_v2_kernelIfhLi112ELi32ELi128ELNS_18Fp8KVCacheDataTypeE1ELb1ELi512EEEvPfS2_PT_PKS3_PKT0_S9_ifPKiSB_iPKfiiiSD_SD_iiiii
		.amdhsa_group_segment_fixed_size 480
		.amdhsa_private_segment_fixed_size 1140
		.amdhsa_kernarg_size 400
		.amdhsa_user_sgpr_count 13
		.amdhsa_user_sgpr_dispatch_ptr 0
		.amdhsa_user_sgpr_queue_ptr 0
		.amdhsa_user_sgpr_kernarg_segment_ptr 1
		.amdhsa_user_sgpr_dispatch_id 0
		.amdhsa_user_sgpr_private_segment_size 0
		.amdhsa_wavefront_size32 1
		.amdhsa_uses_dynamic_stack 0
		.amdhsa_enable_private_segment 1
		.amdhsa_system_sgpr_workgroup_id_x 1
		.amdhsa_system_sgpr_workgroup_id_y 1
		.amdhsa_system_sgpr_workgroup_id_z 1
		.amdhsa_system_sgpr_workgroup_info 0
		.amdhsa_system_vgpr_workitem_id 0
		.amdhsa_next_free_vgpr 192
		.amdhsa_next_free_sgpr 44
		.amdhsa_reserve_vcc 1
		.amdhsa_float_round_mode_32 0
		.amdhsa_float_round_mode_16_64 0
		.amdhsa_float_denorm_mode_32 3
		.amdhsa_float_denorm_mode_16_64 3
		.amdhsa_dx10_clamp 1
		.amdhsa_ieee_mode 1
		.amdhsa_fp16_overflow 0
		.amdhsa_workgroup_processor_mode 1
		.amdhsa_memory_ordered 1
		.amdhsa_forward_progress 0
		.amdhsa_shared_vgpr_count 0
		.amdhsa_exception_fp_ieee_invalid_op 0
		.amdhsa_exception_fp_denorm_src 0
		.amdhsa_exception_fp_ieee_div_zero 0
		.amdhsa_exception_fp_ieee_overflow 0
		.amdhsa_exception_fp_ieee_underflow 0
		.amdhsa_exception_fp_ieee_inexact 0
		.amdhsa_exception_int_div_zero 0
	.end_amdhsa_kernel
	.section	.text._ZN4vllm25paged_attention_v2_kernelIfhLi112ELi32ELi128ELNS_18Fp8KVCacheDataTypeE1ELb1ELi512EEEvPfS2_PT_PKS3_PKT0_S9_ifPKiSB_iPKfiiiSD_SD_iiiii,"axG",@progbits,_ZN4vllm25paged_attention_v2_kernelIfhLi112ELi32ELi128ELNS_18Fp8KVCacheDataTypeE1ELb1ELi512EEEvPfS2_PT_PKS3_PKT0_S9_ifPKiSB_iPKfiiiSD_SD_iiiii,comdat
.Lfunc_end263:
	.size	_ZN4vllm25paged_attention_v2_kernelIfhLi112ELi32ELi128ELNS_18Fp8KVCacheDataTypeE1ELb1ELi512EEEvPfS2_PT_PKS3_PKT0_S9_ifPKiSB_iPKfiiiSD_SD_iiiii, .Lfunc_end263-_ZN4vllm25paged_attention_v2_kernelIfhLi112ELi32ELi128ELNS_18Fp8KVCacheDataTypeE1ELb1ELi512EEEvPfS2_PT_PKS3_PKT0_S9_ifPKiSB_iPKfiiiSD_SD_iiiii
                                        ; -- End function
	.section	.AMDGPU.csdata,"",@progbits
; Kernel info:
; codeLenInByte = 280
; NumSgprs: 46
; NumVgprs: 192
; ScratchSize: 1140
; MemoryBound: 0
; FloatMode: 240
; IeeeMode: 1
; LDSByteSize: 480 bytes/workgroup (compile time only)
; SGPRBlocks: 5
; VGPRBlocks: 23
; NumSGPRsForWavesPerEU: 46
; NumVGPRsForWavesPerEU: 192
; Occupancy: 8
; WaveLimiterHint : 1
; COMPUTE_PGM_RSRC2:SCRATCH_EN: 1
; COMPUTE_PGM_RSRC2:USER_SGPR: 13
; COMPUTE_PGM_RSRC2:TRAP_HANDLER: 0
; COMPUTE_PGM_RSRC2:TGID_X_EN: 1
; COMPUTE_PGM_RSRC2:TGID_Y_EN: 1
; COMPUTE_PGM_RSRC2:TGID_Z_EN: 1
; COMPUTE_PGM_RSRC2:TIDIG_COMP_CNT: 0
	.text
	.p2align	2                               ; -- Begin function _ZN4vllm22paged_attention_kernelIfhLi120ELi32ELi128ELNS_18Fp8KVCacheDataTypeE1ELb1ELi512EEEvPfS2_PT_PKS3_PKT0_S9_ifPKiSB_iPKfiiiSD_SD_iiiii
	.type	_ZN4vllm22paged_attention_kernelIfhLi120ELi32ELi128ELNS_18Fp8KVCacheDataTypeE1ELb1ELi512EEEvPfS2_PT_PKS3_PKT0_S9_ifPKiSB_iPKfiiiSD_SD_iiiii,@function
_ZN4vllm22paged_attention_kernelIfhLi120ELi32ELi128ELNS_18Fp8KVCacheDataTypeE1ELb1ELi512EEEvPfS2_PT_PKS3_PKT0_S9_ifPKiSB_iPKfiiiSD_SD_iiiii: ; @_ZN4vllm22paged_attention_kernelIfhLi120ELi32ELi128ELNS_18Fp8KVCacheDataTypeE1ELb1ELi512EEEvPfS2_PT_PKS3_PKT0_S9_ifPKiSB_iPKfiiiSD_SD_iiiii
; %bb.0:
	s_waitcnt vmcnt(0) expcnt(0) lgkmcnt(0)
	s_clause 0x1f
	scratch_store_b32 off, v40, s32 offset:324
	; meta instruction
	scratch_store_b32 off, v41, s32 offset:320
	; meta instruction
	;; [unrolled: 2-line block ×31, first 2 shown]
	scratch_store_b32 off, v95, s32 offset:200
	s_clause 0x1f
	scratch_store_b32 off, v104, s32 offset:196
	; meta instruction
	scratch_store_b32 off, v105, s32 offset:192
	; meta instruction
	;; [unrolled: 2-line block ×31, first 2 shown]
	scratch_store_b32 off, v159, s32 offset:72
	s_clause 0xf
	scratch_store_b32 off, v168, s32 offset:68
	; meta instruction
	scratch_store_b32 off, v169, s32 offset:64
	; meta instruction
	;; [unrolled: 2-line block ×15, first 2 shown]
	scratch_store_b32 off, v191, s32 offset:8
	s_mov_b32 s10, s13
	s_ashr_i32 s11, s13, 31
	v_dual_mov_b32 v32, v1 :: v_dual_mov_b32 v33, v0
	s_lshl_b64 s[0:1], s[10:11], 2
	s_clause 0x2
	scratch_store_b64 off, v[26:27], s32 offset:640
	scratch_store_b64 off, v[24:25], s32 offset:648
	scratch_store_b32 off, v22, s32 offset:572
	v_add_co_u32 v0, vcc_lo, v16, s0
	v_add_co_ci_u32_e32 v1, vcc_lo, s1, v17, vcc_lo
	s_clause 0x1
	scratch_store_b32 off, v5, s32 offset:1164
	scratch_store_b32 off, v4, s32 offset:1160
	v_dual_mov_b32 v34, v3 :: v_dual_mov_b32 v35, v2
	flat_load_b32 v22, v[0:1]
	s_clause 0x1
	scratch_load_b32 v2, off, s32 offset:4
	scratch_load_b32 v3, off, s32
	v_dual_mov_b32 v82, v11 :: v_dual_mov_b32 v83, v10
	s_mov_b32 s6, s15
	s_lshl_b32 s15, s14, 9
	s_mov_b32 s18, exec_lo
	s_waitcnt vmcnt(2) lgkmcnt(0)
	v_cmpx_lt_i32_e64 s15, v22
	s_cbranch_execz .LBB264_2092
; %bb.1:
	v_sub_nc_u32_e32 v0, 0, v12
	s_clause 0x1
	s_load_b32 s0, s[8:9], 0x10
	s_load_b32 s1, s[8:9], 0x0
	s_delay_alu instid0(VALU_DEP_1) | instskip(NEXT) | instid1(VALU_DEP_1)
	v_max_i32_e32 v0, v12, v0
	v_cvt_f32_u32_e32 v1, v0
	v_sub_nc_u32_e32 v4, 0, v0
	s_delay_alu instid0(VALU_DEP_2) | instskip(SKIP_2) | instid1(SALU_CYCLE_1)
	v_rcp_iflag_f32_e32 v1, v1
	s_waitcnt lgkmcnt(0)
	s_lshr_b32 s0, s0, 16
	s_cmp_lg_u32 s0, 0
	s_cselect_b32 s0, -1, 0
	s_waitcnt_depctr 0xfff
	v_mul_f32_e32 v1, 0x4f7ffffe, v1
	s_cmp_lg_u32 s0, 0
	s_addc_u32 s11, s1, 0
	s_mov_b32 s1, exec_lo
	s_delay_alu instid0(VALU_DEP_1) | instskip(SKIP_1) | instid1(VALU_DEP_1)
	v_cvt_u32_f32_e32 v1, v1
	s_abs_i32 s0, s11
	v_mul_lo_u32 v4, v4, v1
	s_delay_alu instid0(VALU_DEP_1) | instskip(NEXT) | instid1(VALU_DEP_1)
	v_mul_hi_u32 v4, v1, v4
	v_add_nc_u32_e32 v1, v1, v4
	s_delay_alu instid0(VALU_DEP_1) | instskip(NEXT) | instid1(VALU_DEP_1)
	v_mul_hi_u32 v1, s0, v1
	v_mul_lo_u32 v4, v1, v0
	v_add_nc_u32_e32 v5, 1, v1
	s_delay_alu instid0(VALU_DEP_2) | instskip(SKIP_1) | instid1(VALU_DEP_1)
	v_sub_nc_u32_e32 v4, s0, v4
	s_abs_i32 s0, s12
	v_sub_nc_u32_e32 v10, v4, v0
	v_cmp_ge_u32_e32 vcc_lo, v4, v0
	s_delay_alu instid0(VALU_DEP_2) | instskip(SKIP_1) | instid1(VALU_DEP_2)
	v_dual_cndmask_b32 v1, v1, v5 :: v_dual_cndmask_b32 v4, v4, v10
	v_xor_b32_e32 v5, s11, v12
	v_add_nc_u32_e32 v10, 1, v1
	s_delay_alu instid0(VALU_DEP_3) | instskip(NEXT) | instid1(VALU_DEP_3)
	v_cmp_ge_u32_e32 vcc_lo, v4, v0
	v_ashrrev_i32_e32 v5, 31, v5
	s_delay_alu instid0(VALU_DEP_3) | instskip(NEXT) | instid1(VALU_DEP_1)
	v_cndmask_b32_e32 v0, v1, v10, vcc_lo
	v_xor_b32_e32 v0, v0, v5
	s_delay_alu instid0(VALU_DEP_1) | instskip(NEXT) | instid1(VALU_DEP_1)
	v_sub_nc_u32_e32 v5, v0, v5
	v_sub_nc_u32_e32 v0, 0, v5
	s_delay_alu instid0(VALU_DEP_1) | instskip(NEXT) | instid1(VALU_DEP_1)
	v_max_i32_e32 v4, v5, v0
	v_cvt_f32_u32_e32 v0, v4
	v_sub_nc_u32_e32 v1, 0, v4
	s_delay_alu instid0(VALU_DEP_2) | instskip(SKIP_2) | instid1(VALU_DEP_1)
	v_rcp_iflag_f32_e32 v0, v0
	s_waitcnt_depctr 0xfff
	v_mul_f32_e32 v0, 0x4f7ffffe, v0
	v_cvt_u32_f32_e32 v0, v0
	s_delay_alu instid0(VALU_DEP_1) | instskip(NEXT) | instid1(VALU_DEP_1)
	v_mul_lo_u32 v1, v1, v0
	v_mul_hi_u32 v1, v0, v1
	s_delay_alu instid0(VALU_DEP_1) | instskip(NEXT) | instid1(VALU_DEP_1)
	v_add_nc_u32_e32 v10, v0, v1
	v_mad_u64_u32 v[0:1], null, s0, v10, 0
	v_mov_b32_e32 v0, 0
	scratch_store_b32 off, v0, s32 offset:656 ; 4-byte Folded Spill
	v_cmpx_ne_u64_e32 0, v[19:20]
	s_cbranch_execz .LBB264_3
; %bb.2:
	s_ashr_i32 s13, s12, 31
	s_delay_alu instid0(SALU_CYCLE_1) | instskip(NEXT) | instid1(SALU_CYCLE_1)
	s_lshl_b64 s[2:3], s[12:13], 2
	v_add_co_u32 v10, vcc_lo, v19, s2
	v_add_co_ci_u32_e32 v11, vcc_lo, s3, v20, vcc_lo
	flat_load_b32 v0, v[10:11]
	s_waitcnt vmcnt(0) lgkmcnt(0)
	scratch_store_b32 off, v0, s32 offset:656 ; 4-byte Folded Spill
.LBB264_3:
	s_or_b32 exec_lo, exec_lo, s1
	v_and_b32_e32 v10, 0x3ff, v31
	v_ashrrev_i32_e32 v0, 31, v5
	s_ashr_i32 s1, s12, 31
	s_mul_i32 s4, s12, 0x78
	s_mov_b32 s2, exec_lo
	scratch_store_b32 off, v10, s32 offset:632 ; 4-byte Folded Spill
	v_cmpx_gt_u32_e32 30, v10
	s_cbranch_execz .LBB264_5
; %bb.4:
	scratch_load_b32 v5, off, s32 offset:632 ; 4-byte Folded Reload
	v_mul_lo_u32 v10, s10, v21
	s_ashr_i32 s5, s4, 31
	s_delay_alu instid0(SALU_CYCLE_1) | instskip(NEXT) | instid1(VALU_DEP_1)
	s_lshl_b64 s[16:17], s[4:5], 2
	v_ashrrev_i32_e32 v11, 31, v10
	s_delay_alu instid0(VALU_DEP_1) | instskip(SKIP_2) | instid1(VALU_DEP_2)
	v_lshlrev_b64 v[10:11], 2, v[10:11]
	s_waitcnt vmcnt(0)
	v_lshlrev_b32_e32 v17, 4, v5
	v_add_co_u32 v5, vcc_lo, v6, v10
	s_delay_alu instid0(VALU_DEP_3) | instskip(NEXT) | instid1(VALU_DEP_2)
	v_add_co_ci_u32_e32 v6, vcc_lo, v7, v11, vcc_lo
	v_add_co_u32 v5, vcc_lo, v5, s16
	s_delay_alu instid0(VALU_DEP_2) | instskip(NEXT) | instid1(VALU_DEP_2)
	v_add_co_ci_u32_e32 v6, vcc_lo, s17, v6, vcc_lo
	v_add_co_u32 v5, vcc_lo, v5, v17
	s_delay_alu instid0(VALU_DEP_2)
	v_add_co_ci_u32_e32 v6, vcc_lo, 0, v6, vcc_lo
	flat_load_b128 v[24:27], v[5:6]
	s_waitcnt vmcnt(0) lgkmcnt(0)
	ds_store_b128 v17, v[24:27]
.LBB264_5:
	s_or_b32 exec_lo, exec_lo, s2
	s_waitcnt vmcnt(0)
	v_sub_nc_u32_e32 v5, 0, v3
	v_mul_lo_u32 v6, v1, v4
	s_delay_alu instid0(VALU_DEP_2) | instskip(NEXT) | instid1(VALU_DEP_2)
	v_max_i32_e32 v10, v3, v5
	v_sub_nc_u32_e32 v6, s0, v6
	s_delay_alu instid0(VALU_DEP_2) | instskip(SKIP_1) | instid1(VALU_DEP_2)
	v_cvt_f32_u32_e32 v5, v10
	s_mov_b32 s0, exec_lo
	v_sub_nc_u32_e32 v11, v6, v4
	s_delay_alu instid0(VALU_DEP_2) | instskip(SKIP_3) | instid1(VALU_DEP_1)
	v_rcp_iflag_f32_e32 v5, v5
	v_cmp_ge_u32_e32 vcc_lo, v6, v4
	s_waitcnt_depctr 0xfff
	v_dual_cndmask_b32 v6, v6, v11 :: v_dual_mul_f32 v5, 0x4f7ffffe, v5
	v_cvt_u32_f32_e32 v7, v5
	v_sub_nc_u32_e32 v5, 0, v10
	s_delay_alu instid0(VALU_DEP_1) | instskip(SKIP_1) | instid1(VALU_DEP_1)
	v_mul_lo_u32 v16, v5, v7
	v_add_nc_u32_e32 v5, -1, v22
	v_sub_nc_u32_e32 v17, 0, v5
	s_delay_alu instid0(VALU_DEP_3) | instskip(SKIP_1) | instid1(VALU_DEP_2)
	v_mul_hi_u32 v11, v7, v16
	v_xor_b32_e32 v16, s1, v0
	v_add_nc_u32_e32 v7, v7, v11
	scratch_store_b32 off, v10, s32 offset:336 ; 4-byte Folded Spill
	v_add_nc_u32_e32 v10, 1, v1
	scratch_store_b32 off, v7, s32 offset:356 ; 4-byte Folded Spill
	s_waitcnt lgkmcnt(0)
	s_waitcnt_vscnt null, 0x0
	v_cndmask_b32_e32 v1, v1, v10, vcc_lo
	v_cmp_ge_u32_e32 vcc_lo, v6, v4
	v_max_i32_e32 v4, v5, v17
	s_barrier
	buffer_gl0_inv
	v_add_nc_u32_e32 v10, 1, v1
	s_delay_alu instid0(VALU_DEP_1) | instskip(NEXT) | instid1(VALU_DEP_1)
	v_cndmask_b32_e32 v0, v1, v10, vcc_lo
	v_xor_b32_e32 v6, v0, v16
	v_mad_u64_u32 v[0:1], null, v4, v7, 0
	s_delay_alu instid0(VALU_DEP_2)
	v_sub_nc_u32_e32 v0, v6, v16
                                        ; implicit-def: $vgpr6
	scratch_store_b64 off, v[6:7], s32 offset:340 ; 8-byte Folded Spill
	v_cmpx_gt_i32_e32 0, v2
	s_xor_b32 s0, exec_lo, s0
	s_cbranch_execz .LBB264_7
; %bb.6:
	v_mad_u64_u32 v[6:7], null, v28, v12, v[0:1]
                                        ; implicit-def: $vgpr28
	s_delay_alu instid0(VALU_DEP_1) | instskip(NEXT) | instid1(VALU_DEP_1)
	v_mul_lo_u32 v2, v6, v2
	v_sub_nc_u32_e32 v2, 1, v2
	scratch_store_b64 off, v[2:3], s32 offset:340 ; 8-byte Folded Spill
                                        ; implicit-def: $vgpr2
.LBB264_7:
	s_or_saveexec_b32 s0, s0
	v_ashrrev_i32_e32 v5, 31, v5
	v_ashrrev_i32_e32 v3, 31, v3
	scratch_store_b32 off, v3, s32 offset:348 ; 4-byte Folded Spill
	s_xor_b32 exec_lo, exec_lo, s0
	s_cbranch_execz .LBB264_9
; %bb.8:
	v_mad_u64_u32 v[6:7], null, s11, v28, s[12:13]
	s_delay_alu instid0(VALU_DEP_1)
	v_mad_u64_u32 v[10:11], null, v6, v2, 1
	scratch_store_b64 off, v[10:11], s32 offset:340 ; 8-byte Folded Spill
.LBB264_9:
	s_or_b32 exec_lo, exec_lo, s0
	scratch_load_b32 v12, off, s32 offset:336 ; 4-byte Folded Reload
	s_clause 0x1
	s_load_b32 s19, s[8:9], 0x14
	s_load_b32 s5, s[8:9], 0x8
	s_clause 0x1
	scratch_load_b32 v7, off, s32 offset:348
	scratch_load_b32 v16, off, s32 offset:632
	v_add_nc_u32_e32 v3, 31, v22
	v_dual_mov_b32 v105, 0xff7fffff :: v_dual_add_nc_u32 v6, 1, v1
	v_mul_lo_u32 v19, v0, v23
	s_lshl_b32 s13, s14, 4
	v_sub_nc_u32_e32 v17, 0, v30
	s_add_i32 s0, s13, 16
	s_waitcnt vmcnt(2)
	v_mul_lo_u32 v2, v1, v12
	s_waitcnt vmcnt(1)
	v_xor_b32_e32 v5, v5, v7
	v_ashrrev_i32_e32 v7, 31, v3
	s_waitcnt vmcnt(0)
	v_lshrrev_b32_e32 v11, 5, v16
	s_delay_alu instid0(VALU_DEP_4) | instskip(SKIP_2) | instid1(VALU_DEP_3)
	v_sub_nc_u32_e32 v4, v4, v2
	v_mul_lo_u32 v2, s10, v18
	v_ashrrev_i32_e32 v18, 31, v19
	v_sub_nc_u32_e32 v10, v4, v12
	v_cmp_ge_u32_e32 vcc_lo, v4, v12
	v_cndmask_b32_e32 v1, v1, v6, vcc_lo
	s_delay_alu instid0(VALU_DEP_3) | instskip(SKIP_2) | instid1(VALU_DEP_4)
	v_cndmask_b32_e32 v4, v4, v10, vcc_lo
	v_lshrrev_b32_e32 v6, 27, v7
	v_and_b32_e32 v10, 31, v16
	v_add_nc_u32_e32 v7, 1, v1
	s_delay_alu instid0(VALU_DEP_4) | instskip(NEXT) | instid1(VALU_DEP_4)
	v_cmp_ge_u32_e32 vcc_lo, v4, v12
	v_add_nc_u32_e32 v3, v3, v6
	v_add_nc_u32_e32 v4, s13, v11
	s_delay_alu instid0(VALU_DEP_4) | instskip(NEXT) | instid1(VALU_DEP_3)
	v_cndmask_b32_e32 v1, v1, v7, vcc_lo
	v_ashrrev_i32_e32 v16, 5, v3
	v_ashrrev_i32_e32 v3, 31, v2
	s_delay_alu instid0(VALU_DEP_3)
	v_xor_b32_e32 v0, v1, v5
	v_lshl_add_u32 v1, v11, 5, s15
	scratch_store_b32 off, v11, s32 offset:1156 ; 4-byte Folded Spill
	v_lshlrev_b64 v[11:12], 2, v[2:3]
	v_sub_nc_u32_e32 v0, v0, v5
	scratch_store_b32 off, v1, s32 offset:1168 ; 4-byte Folded Spill
	v_min_i32_e32 v1, s0, v16
	v_ashrrev_i32_e32 v5, 31, v4
	s_clause 0x1
	scratch_store_b32 off, v1, s32 offset:352
	scratch_store_b64 off, v[4:5], s32 offset:328
	v_sub_nc_u32_e32 v0, v0, v29
	v_cmp_lt_i32_e64 s0, v4, v1
	s_clause 0x1
	scratch_store_b32 off, v0, s32 offset:360
	scratch_store_b32 off, v10, s32 offset:636
	v_lshlrev_b32_e32 v10, 2, v10
	s_and_saveexec_b32 s20, s0
	s_cbranch_execz .LBB264_977
; %bb.10:
	v_add_co_u32 v2, vcc_lo, v8, v19
	s_clause 0x8
	scratch_store_b32 off, v16, s32 offset:1216
	scratch_store_b32 off, v35, s32 offset:1200
	;; [unrolled: 1-line block ×9, first 2 shown]
	v_add_co_ci_u32_e32 v3, vcc_lo, v9, v18, vcc_lo
	s_clause 0x2
	scratch_load_b32 v9, off, s32 offset:632
	scratch_load_b32 v1, off, s32 offset:656
	scratch_load_b64 v[7:8], off, s32 offset:328
	v_max_i32_e32 v16, v30, v17
	s_clause 0x1
	scratch_store_b32 off, v19, s32 offset:1212
	scratch_store_b32 off, v18, s32 offset:1224
	s_ashr_i32 s7, s6, 31
	s_getpc_b64 s[2:3]
	s_add_u32 s2, s2, llvm.amdgcn.dynlds.offset.table@rel32@lo+4
	s_addc_u32 s3, s3, llvm.amdgcn.dynlds.offset.table@rel32@hi+12
	v_cvt_f32_u32_e32 v0, v16
	s_lshl_b64 s[8:9], s[6:7], 2
	s_mov_b32 s16, 0
	s_add_u32 s8, s8, s2
	s_addc_u32 s9, s9, s3
	v_rcp_iflag_f32_e32 v5, v0
	s_brev_b32 s17, 1
	s_mov_b32 s3, 0x7f800001
	s_mov_b32 s21, s16
	v_mov_b32_e32 v29, 0
	s_waitcnt vmcnt(2)
	v_dual_mov_b32 v105, 0xff7fffff :: v_dual_and_b32 v6, 31, v9
	s_waitcnt vmcnt(1)
	v_cmp_neq_f32_e32 vcc_lo, 0, v1
	s_waitcnt vmcnt(0)
	v_lshlrev_b64 v[0:1], 2, v[7:8]
	v_dual_mov_b32 v47, v7 :: v_dual_lshlrev_b32 v4, 4, v6
	s_delay_alu instid0(VALU_DEP_1) | instskip(NEXT) | instid1(VALU_DEP_1)
	v_add_co_u32 v2, s1, v2, v4
	v_add_co_ci_u32_e64 v3, s1, 0, v3, s1
	s_clause 0x1
	scratch_store_b64 off, v[2:3], s32 offset:660
	scratch_store_b32 off, v16, s32 offset:576
	v_mul_f32_e32 v3, 0x4f7ffffe, v5
	v_sub_nc_u32_e32 v2, 0, v16
	ds_load_b128 v[16:19], v29
	v_add_co_u32 v0, s1, v11, v0
	v_cvt_u32_f32_e32 v3, v3
	v_add_co_ci_u32_e64 v1, s1, v12, v1, s1
	s_delay_alu instid0(VALU_DEP_3) | instskip(NEXT) | instid1(VALU_DEP_3)
	v_add_co_u32 v110, s1, v14, v0
	v_mul_lo_u32 v2, v2, v3
	v_lshrrev_b32_e32 v0, 5, v9
	s_load_b32 s7, s[8:9], 0x0
	v_add_co_ci_u32_e64 v111, s1, v15, v1, s1
	scratch_store_b32 off, v13, s32 offset:1152 ; 4-byte Folded Spill
	v_lshl_add_u32 v27, v0, 5, s15
	v_lshl_or_b32 v30, v0, 7, v10
	v_mul_hi_u32 v2, v3, v2
	s_clause 0x3
	scratch_store_b32 off, v15, s32 offset:1172
	scratch_store_b32 off, v14, s32 offset:1176
	scratch_store_b64 off, v[11:12], s32 offset:1204
	scratch_store_b32 off, v10, s32 offset:1228
	v_add_nc_u32_e32 v2, v3, v2
	scratch_store_b32 off, v2, s32 offset:580 ; 4-byte Folded Spill
	ds_load_b128 v[2:5], v29 offset:320
	s_waitcnt lgkmcnt(0)
	scratch_store_b128 off, v[16:19], s32 offset:668 ; 16-byte Folded Spill
	ds_load_b128 v[16:19], v29 offset:16
	scratch_store_b128 off, v[2:5], s32 offset:988 ; 16-byte Folded Spill
	ds_load_b128 v[2:5], v29 offset:336
	s_waitcnt lgkmcnt(1)
	scratch_store_b128 off, v[16:19], s32 offset:684 ; 16-byte Folded Spill
	ds_load_b128 v[16:19], v29 offset:32
	s_waitcnt lgkmcnt(1)
	;; [unrolled: 3-line block ×18, first 2 shown]
	scratch_store_b128 off, v[2:5], s32 offset:1132 ; 16-byte Folded Spill
	v_sub_nc_u32_e32 v2, v6, v22
	s_delay_alu instid0(VALU_DEP_1)
	v_add_nc_u32_e32 v0, 1, v2
	s_waitcnt lgkmcnt(0)
	scratch_store_b128 off, v[16:19], s32 offset:828 ; 16-byte Folded Spill
	ds_load_b128 v[16:19], v29 offset:176
	scratch_store_b32 off, v0, s32 offset:1148 ; 4-byte Folded Spill
	s_waitcnt lgkmcnt(0)
	scratch_store_b128 off, v[16:19], s32 offset:844 ; 16-byte Folded Spill
	ds_load_b128 v[16:19], v29 offset:192
	s_waitcnt lgkmcnt(0)
	scratch_store_b128 off, v[16:19], s32 offset:860 ; 16-byte Folded Spill
	ds_load_b128 v[16:19], v29 offset:208
	;; [unrolled: 3-line block ×8, first 2 shown]
	s_waitcnt lgkmcnt(0)
	scratch_store_b128 off, v[16:19], s32 offset:972 ; 16-byte Folded Spill
	s_branch .LBB264_16
.LBB264_11:                             ;   in Loop: Header=BB264_16 Depth=1
	s_or_b32 exec_lo, exec_lo, s25
	v_dual_mov_b32 v154, v29 :: v_dual_lshlrev_b32 v71, 24, v71
	s_delay_alu instid0(VALU_DEP_2) | instskip(SKIP_1) | instid1(VALU_DEP_3)
	v_lshlrev_b32_e32 v28, 20, v28
	v_lshl_add_u32 v70, v70, 23, 0x3c000000
	v_and_b32_e32 v71, 0x80000000, v71
	s_delay_alu instid0(VALU_DEP_1)
	v_or3_b32 v155, v28, v71, v70
.LBB264_12:                             ;   in Loop: Header=BB264_16 Depth=1
	s_or_b32 exec_lo, exec_lo, s2
.LBB264_13:                             ;   in Loop: Header=BB264_16 Depth=1
	s_delay_alu instid0(SALU_CYCLE_1)
	s_or_b32 exec_lo, exec_lo, s24
.LBB264_14:                             ;   in Loop: Header=BB264_16 Depth=1
	s_delay_alu instid0(SALU_CYCLE_1)
	s_or_b32 exec_lo, exec_lo, s23
	scratch_load_b64 v[70:71], off, s32 offset:548 ; 8-byte Folded Reload
	v_or_b32_e32 v13, v67, v187
	v_or_b32_e32 v66, v66, v186
	;; [unrolled: 1-line block ×7, first 2 shown]
	scratch_store_b32 off, v13, s32 offset:628 ; 4-byte Folded Spill
	v_or_b32_e32 v8, v25, v8
	v_or_b32_e32 v25, v106, v108
	;; [unrolled: 1-line block ×50, first 2 shown]
	v_mul_f32_e32 v0, v10, v0
	v_or_b32_e32 v36, v6, v16
	v_or_b32_e32 v16, v114, v31
	;; [unrolled: 1-line block ×9, first 2 shown]
	v_mul_f32_e32 v1, v10, v1
	s_waitcnt vmcnt(0)
	v_or_b32_e32 v89, v89, v71
	v_or_b32_e32 v91, v88, v70
	scratch_load_b64 v[70:71], off, s32 offset:532 ; 8-byte Folded Reload
	v_or_b32_e32 v88, v93, v95
	v_or_b32_e32 v95, v53, v135
	;; [unrolled: 1-line block ×5, first 2 shown]
	s_waitcnt vmcnt(0)
	v_or_b32_e32 v73, v73, v71
	v_or_b32_e32 v187, v72, v70
	scratch_load_b64 v[70:71], off, s32 offset:540 ; 8-byte Folded Reload
	s_waitcnt vmcnt(0)
	v_or_b32_e32 v72, v77, v71
	v_or_b32_e32 v186, v76, v70
	scratch_load_b64 v[70:71], off, s32 offset:516 ; 8-byte Folded Reload
	v_or_b32_e32 v77, v182, v128
	s_waitcnt vmcnt(0)
	v_or_b32_e32 v57, v57, v71
	v_or_b32_e32 v175, v56, v70
	scratch_load_b64 v[70:71], off, s32 offset:524 ; 8-byte Folded Reload
	s_waitcnt vmcnt(0)
	v_or_b32_e32 v56, v61, v71
	v_or_b32_e32 v174, v60, v70
	scratch_load_b64 v[70:71], off, s32 offset:500 ; 8-byte Folded Reload
	;; [unrolled: 4-line block ×8, first 2 shown]
	s_waitcnt vmcnt(0)
	v_or_b32_e32 v167, v87, v71
	v_or_b32_e32 v15, v86, v70
	s_clause 0x1
	scratch_load_b64 v[70:71], off, s32 offset:452
	scratch_load_b64 v[85:86], off, s32 offset:460
	s_waitcnt vmcnt(0)
	v_or_b32_e32 v60, v71, v86
	v_or_b32_e32 v61, v70, v85
	s_clause 0x3
	scratch_load_b64 v[70:71], off, s32 offset:616
	scratch_load_b64 v[85:86], off, s32 offset:436
	;; [unrolled: 1-line block ×4, first 2 shown]
	s_waitcnt vmcnt(2)
	v_or_b32_e32 v62, v71, v86
	s_waitcnt vmcnt(0)
	v_or_b32_e32 v86, v101, v103
	v_or_b32_e32 v100, v100, v102
	s_clause 0x1
	scratch_load_b64 v[101:102], off, s32 offset:428
	scratch_load_b64 v[116:117], off, s32 offset:564
	v_or_b32_e32 v71, v70, v85
	v_or_b32_e32 v70, v5, v12
	v_mul_f32_e32 v86, v10, v86
	v_mul_f32_e32 v100, v10, v100
	v_or_b32_e32 v85, v4, v11
	v_mul_f32_e32 v71, v10, v71
	v_mul_f32_e32 v12, v10, v62
	;; [unrolled: 1-line block ×4, first 2 shown]
	s_waitcnt vmcnt(0)
	v_or_b32_e32 v87, v102, v117
	v_or_b32_e32 v101, v101, v116
	s_clause 0x1
	scratch_load_b64 v[116:117], off, s32 offset:600
	scratch_load_b64 v[118:119], off, s32 offset:396
	s_waitcnt vmcnt(0)
	v_or_b32_e32 v102, v117, v119
	v_or_b32_e32 v116, v116, v118
	s_clause 0x1
	scratch_load_b64 v[117:118], off, s32 offset:608
	scratch_load_b64 v[132:133], off, s32 offset:404
	v_mul_f32_e32 v102, v10, v102
	v_mul_f32_e32 v116, v10, v116
	s_waitcnt vmcnt(0)
	v_or_b32_e32 v103, v118, v133
	v_or_b32_e32 v117, v117, v132
	s_clause 0x1
	scratch_load_b64 v[118:119], off, s32 offset:372
	scratch_load_b64 v[132:133], off, s32 offset:380
	s_waitcnt vmcnt(0)
	v_or_b32_e32 v119, v133, v119
	v_or_b32_e32 v134, v132, v118
	s_clause 0x1
	scratch_load_b64 v[132:133], off, s32 offset:388
	scratch_load_b64 v[148:149], off, s32 offset:556
	v_mul_f32_e32 v119, v10, v119
	s_waitcnt vmcnt(0)
	v_or_b32_e32 v118, v133, v149
	v_or_b32_e32 v132, v132, v148
	scratch_load_b64 v[148:149], off, s32 offset:584 ; 8-byte Folded Reload
	v_mul_f32_e32 v118, v10, v118
	s_waitcnt vmcnt(0)
	v_or_b32_e32 v135, v149, v83
	v_or_b32_e32 v149, v148, v82
	s_clause 0x3
	scratch_load_b64 v[82:83], off, s32 offset:592
	scratch_load_b64 v[150:151], off, s32 offset:364
	scratch_load_b128 v[43:46], off, s32 offset:684
	scratch_load_b128 v[180:183], off, s32 offset:668
	v_mul_f32_e32 v50, v10, v134
	v_mul_f32_e32 v134, v10, v149
	;; [unrolled: 1-line block ×3, first 2 shown]
	s_load_b32 s2, s[8:9], 0x0
	s_waitcnt vmcnt(2)
	v_or_b32_e32 v148, v150, v82
	s_waitcnt vmcnt(1)
	v_mul_f32_e32 v50, v43, v50
	v_or_b32_e32 v133, v151, v83
	v_mul_f32_e32 v118, v46, v118
	v_or_b32_e32 v151, v152, v138
	v_or_b32_e32 v150, v153, v139
	s_waitcnt vmcnt(0)
	v_fmac_f32_e32 v50, v180, v134
	v_dual_mul_f32 v134, v44, v119 :: v_dual_mul_f32 v119, v10, v132
	s_delay_alu instid0(VALU_DEP_1) | instskip(NEXT) | instid1(VALU_DEP_1)
	v_dual_mul_f32 v132, v10, v148 :: v_dual_mul_f32 v119, v45, v119
	v_dual_fmac_f32 v134, v181, v135 :: v_dual_fmac_f32 v119, v182, v132
	v_mul_f32_e32 v132, v10, v133
	s_delay_alu instid0(VALU_DEP_1) | instskip(SKIP_4) | instid1(VALU_DEP_1)
	v_fmac_f32_e32 v118, v183, v132
	scratch_load_b128 v[180:183], off, s32 offset:700 ; 16-byte Folded Reload
	s_waitcnt vmcnt(0)
	v_fmac_f32_e32 v134, v181, v102
	v_mul_f32_e32 v102, v10, v117
	v_fmac_f32_e32 v119, v182, v102
	v_mul_f32_e32 v102, v10, v103
	v_fmac_f32_e32 v50, v180, v116
	s_delay_alu instid0(VALU_DEP_2) | instskip(SKIP_4) | instid1(VALU_DEP_1)
	v_fmac_f32_e32 v118, v183, v102
	scratch_load_b128 v[180:183], off, s32 offset:716 ; 16-byte Folded Reload
	s_waitcnt vmcnt(0)
	v_fmac_f32_e32 v134, v181, v86
	v_mul_f32_e32 v86, v10, v101
	v_dual_fmac_f32 v119, v182, v86 :: v_dual_fmac_f32 v50, v180, v100
	scratch_load_b128 v[100:103], off, s32 offset:732 ; 16-byte Folded Reload
	v_mul_f32_e32 v86, v10, v87
	s_waitcnt vmcnt(0)
	v_fmac_f32_e32 v134, v101, v12
	v_mul_f32_e32 v12, v10, v85
	s_delay_alu instid0(VALU_DEP_1) | instskip(SKIP_2) | instid1(VALU_DEP_1)
	v_dual_fmac_f32 v50, v100, v71 :: v_dual_fmac_f32 v119, v102, v12
	v_fmac_f32_e32 v118, v183, v86
	v_mul_f32_e32 v12, v10, v70
	v_fmac_f32_e32 v118, v103, v12
	scratch_load_b128 v[100:103], off, s32 offset:748 ; 16-byte Folded Reload
	v_mul_f32_e32 v12, v10, v15
	s_waitcnt vmcnt(0)
	v_fmac_f32_e32 v134, v101, v5
	s_delay_alu instid0(VALU_DEP_2) | instskip(SKIP_2) | instid1(VALU_DEP_3)
	v_dual_mul_f32 v5, v10, v61 :: v_dual_fmac_f32 v50, v100, v12
	v_fmac_f32_e32 v118, v103, v4
	v_mul_f32_e32 v4, v10, v17
	v_fmac_f32_e32 v119, v102, v5
	scratch_load_b128 v[100:103], off, s32 offset:764 ; 16-byte Folded Reload
	s_waitcnt vmcnt(0)
	v_dual_fmac_f32 v134, v101, v1 :: v_dual_mul_f32 v1, v10, v14
	v_fmac_f32_e32 v50, v100, v4
	v_fmac_f32_e32 v118, v103, v0
	v_mul_f32_e32 v0, v10, v36
	s_delay_alu instid0(VALU_DEP_4) | instskip(SKIP_4) | instid1(VALU_DEP_1)
	v_fmac_f32_e32 v119, v102, v1
	scratch_load_b128 v[100:103], off, s32 offset:780 ; 16-byte Folded Reload
	s_waitcnt vmcnt(0)
	v_fmac_f32_e32 v50, v100, v0
	v_mul_f32_e32 v0, v10, v7
	v_fmac_f32_e32 v134, v101, v0
	v_mul_f32_e32 v0, v10, v16
	scratch_load_b128 v[14:17], off, s32 offset:940 ; 16-byte Folded Reload
	v_fmac_f32_e32 v119, v102, v0
	v_mul_f32_e32 v0, v10, v6
	scratch_load_b128 v[4:7], off, s32 offset:796 ; 16-byte Folded Reload
	v_fmac_f32_e32 v118, v103, v0
	v_mul_f32_e32 v0, v10, v53
	s_waitcnt vmcnt(0)
	s_delay_alu instid0(VALU_DEP_1) | instskip(SKIP_1) | instid1(VALU_DEP_1)
	v_fmac_f32_e32 v50, v4, v0
	v_mul_f32_e32 v0, v10, v79
	v_fmac_f32_e32 v134, v5, v0
	v_mul_f32_e32 v0, v10, v35
	s_delay_alu instid0(VALU_DEP_1) | instskip(SKIP_1) | instid1(VALU_DEP_1)
	v_fmac_f32_e32 v119, v6, v0
	v_mul_f32_e32 v0, v10, v92
	v_fmac_f32_e32 v118, v7, v0
	scratch_load_b128 v[4:7], off, s32 offset:812 ; 16-byte Folded Reload
	v_mul_f32_e32 v0, v10, v69
	s_waitcnt vmcnt(0)
	s_delay_alu instid0(VALU_DEP_1) | instskip(SKIP_1) | instid1(VALU_DEP_1)
	v_fmac_f32_e32 v50, v4, v0
	v_mul_f32_e32 v0, v10, v95
	v_fmac_f32_e32 v134, v5, v0
	v_mul_f32_e32 v0, v10, v52
	s_delay_alu instid0(VALU_DEP_1) | instskip(SKIP_1) | instid1(VALU_DEP_1)
	v_fmac_f32_e32 v119, v6, v0
	v_mul_f32_e32 v0, v10, v120
	v_fmac_f32_e32 v118, v7, v0
	scratch_load_b128 v[4:7], off, s32 offset:828 ; 16-byte Folded Reload
	;; [unrolled: 12-line block ×8, first 2 shown]
	v_mul_f32_e32 v0, v10, v127
	s_waitcnt vmcnt(0)
	s_delay_alu instid0(VALU_DEP_1) | instskip(SKIP_1) | instid1(VALU_DEP_1)
	v_fmac_f32_e32 v50, v4, v0
	v_mul_f32_e32 v0, v10, v185
	v_fmac_f32_e32 v134, v5, v0
	v_mul_f32_e32 v0, v10, v136
	s_delay_alu instid0(VALU_DEP_1) | instskip(SKIP_1) | instid1(VALU_DEP_1)
	v_fmac_f32_e32 v119, v6, v0
	v_mul_f32_e32 v0, v10, v143
	v_fmac_f32_e32 v50, v14, v0
	v_mul_f32_e32 v0, v10, v189
	s_delay_alu instid0(VALU_DEP_1) | instskip(SKIP_1) | instid1(VALU_DEP_1)
	v_fmac_f32_e32 v134, v15, v0
	v_mul_f32_e32 v0, v10, v184
	v_fmac_f32_e32 v118, v7, v0
	scratch_load_b128 v[4:7], off, s32 offset:956 ; 16-byte Folded Reload
	v_mul_f32_e32 v0, v10, v142
	s_delay_alu instid0(VALU_DEP_1) | instskip(SKIP_1) | instid1(VALU_DEP_1)
	v_dual_fmac_f32 v119, v16, v0 :: v_dual_mul_f32 v0, v10, v169
	s_waitcnt vmcnt(0)
	v_fmac_f32_e32 v50, v4, v0
	v_mul_f32_e32 v0, v10, v2
	s_delay_alu instid0(VALU_DEP_1) | instskip(SKIP_1) | instid1(VALU_DEP_1)
	v_fmac_f32_e32 v134, v5, v0
	v_mul_f32_e32 v0, v10, v188
	v_fmac_f32_e32 v118, v17, v0
	scratch_load_b128 v[14:17], off, s32 offset:972 ; 16-byte Folded Reload
	v_mul_f32_e32 v0, v10, v168
	s_delay_alu instid0(VALU_DEP_1) | instskip(SKIP_2) | instid1(VALU_DEP_1)
	v_fmac_f32_e32 v119, v6, v0
	v_mul_f32_e32 v0, v10, v175
	s_waitcnt vmcnt(0)
	v_fmac_f32_e32 v50, v14, v0
	v_mul_f32_e32 v0, v10, v57
	s_delay_alu instid0(VALU_DEP_1) | instskip(SKIP_1) | instid1(VALU_DEP_1)
	v_fmac_f32_e32 v134, v15, v0
	v_mul_f32_e32 v0, v10, v13
	v_fmac_f32_e32 v118, v7, v0
	scratch_load_b128 v[4:7], off, s32 offset:988 ; 16-byte Folded Reload
	v_mul_f32_e32 v0, v10, v174
	s_delay_alu instid0(VALU_DEP_1) | instskip(SKIP_1) | instid1(VALU_DEP_1)
	v_dual_fmac_f32 v119, v16, v0 :: v_dual_mul_f32 v0, v10, v187
	s_waitcnt vmcnt(0)
	v_fmac_f32_e32 v50, v4, v0
	v_mul_f32_e32 v0, v10, v73
	s_delay_alu instid0(VALU_DEP_1) | instskip(SKIP_1) | instid1(VALU_DEP_1)
	v_fmac_f32_e32 v134, v5, v0
	v_mul_f32_e32 v0, v10, v56
	v_fmac_f32_e32 v118, v17, v0
	scratch_load_b128 v[14:17], off, s32 offset:1004 ; 16-byte Folded Reload
	v_mul_f32_e32 v0, v10, v186
	s_delay_alu instid0(VALU_DEP_1) | instskip(SKIP_2) | instid1(VALU_DEP_1)
	v_fmac_f32_e32 v119, v6, v0
	v_mul_f32_e32 v0, v10, v91
	s_waitcnt vmcnt(0)
	;; [unrolled: 23-line block ×4, first 2 shown]
	v_fmac_f32_e32 v50, v14, v0
	v_mul_f32_e32 v0, v10, v3
	scratch_load_b128 v[3:6], off, s32 offset:1084 ; 16-byte Folded Reload
	v_fmac_f32_e32 v134, v15, v0
	v_mul_f32_e32 v0, v10, v9
	s_delay_alu instid0(VALU_DEP_1) | instskip(SKIP_1) | instid1(VALU_DEP_1)
	v_fmac_f32_e32 v118, v7, v0
	v_mul_f32_e32 v0, v10, v8
	v_dual_fmac_f32 v119, v16, v0 :: v_dual_mul_f32 v0, v10, v54
	s_waitcnt vmcnt(0)
	s_delay_alu instid0(VALU_DEP_1) | instskip(SKIP_1) | instid1(VALU_DEP_1)
	v_fmac_f32_e32 v50, v3, v0
	v_mul_f32_e32 v0, v10, v19
	v_fmac_f32_e32 v134, v4, v0
	scratch_load_b128 v[1:4], off, s32 offset:1100 ; 16-byte Folded Reload
	v_mul_f32_e32 v0, v10, v18
	s_delay_alu instid0(VALU_DEP_1) | instskip(SKIP_1) | instid1(VALU_DEP_1)
	v_fmac_f32_e32 v118, v17, v0
	v_mul_f32_e32 v0, v10, v33
	v_fmac_f32_e32 v119, v5, v0
	v_mul_f32_e32 v0, v10, v140
	s_waitcnt vmcnt(0)
	s_delay_alu instid0(VALU_DEP_1) | instskip(SKIP_1) | instid1(VALU_DEP_1)
	v_fmac_f32_e32 v50, v1, v0
	v_mul_f32_e32 v0, v10, v67
	v_fmac_f32_e32 v134, v2, v0
	v_mul_f32_e32 v0, v10, v28
	s_delay_alu instid0(VALU_DEP_1) | instskip(SKIP_2) | instid1(VALU_DEP_1)
	v_fmac_f32_e32 v118, v6, v0
	scratch_load_b128 v[5:8], off, s32 offset:1116 ; 16-byte Folded Reload
	v_mul_f32_e32 v0, v10, v38
	v_dual_fmac_f32 v119, v3, v0 :: v_dual_mul_f32 v0, v10, v170
	s_waitcnt vmcnt(0)
	s_delay_alu instid0(VALU_DEP_1) | instskip(SKIP_1) | instid1(VALU_DEP_1)
	v_fmac_f32_e32 v50, v5, v0
	v_mul_f32_e32 v0, v10, v171
	v_fmac_f32_e32 v134, v6, v0
	v_mul_f32_e32 v0, v10, v37
	s_delay_alu instid0(VALU_DEP_1) | instskip(SKIP_2) | instid1(VALU_DEP_1)
	v_fmac_f32_e32 v118, v4, v0
	scratch_load_b128 v[1:4], off, s32 offset:1132 ; 16-byte Folded Reload
	v_mul_f32_e32 v0, v10, v66
	v_dual_fmac_f32 v119, v7, v0 :: v_dual_mul_f32 v0, v10, v151
	s_waitcnt vmcnt(0)
	s_delay_alu instid0(VALU_DEP_1) | instskip(SKIP_2) | instid1(VALU_DEP_2)
	v_fmac_f32_e32 v50, v1, v0
	v_mul_f32_e32 v0, v10, v150
	v_mul_f32_e32 v1, v10, v164
	v_fmac_f32_e32 v134, v2, v0
	scratch_load_b32 v0, off, s32 offset:628 ; 4-byte Folded Reload
	v_fmac_f32_e32 v119, v3, v1
	s_clause 0x1
	scratch_load_b32 v1, off, s32 offset:1148
	scratch_load_b32 v105, off, s32 offset:624
	v_mul_f32_e32 v2, v10, v51
	s_waitcnt vmcnt(1)
	v_dual_mul_f32 v0, v10, v0 :: v_dual_add_nc_u32 v1, v1, v27
	s_delay_alu instid0(VALU_DEP_1) | instskip(SKIP_1) | instid1(VALU_DEP_3)
	v_fmac_f32_e32 v118, v8, v0
	v_add_f32_e32 v0, v50, v134
	v_cvt_f32_i32_e32 v1, v1
	s_delay_alu instid0(VALU_DEP_3) | instskip(SKIP_2) | instid1(VALU_DEP_1)
	v_fmac_f32_e32 v118, v4, v2
	scratch_load_b32 v2, off, s32 offset:656 ; 4-byte Folded Reload
	v_add_f32_e32 v0, v119, v0
	v_add_f32_e32 v0, v118, v0
	s_waitcnt vmcnt(0)
	v_mul_f32_e32 v1, v2, v1
	scratch_load_b32 v2, off, s32 offset:1152 ; 4-byte Folded Reload
	v_cndmask_b32_e32 v1, 0, v1, vcc_lo
	s_waitcnt vmcnt(0)
	s_delay_alu instid0(VALU_DEP_1) | instskip(SKIP_3) | instid1(VALU_DEP_1)
	v_fmac_f32_e32 v1, v0, v2
	scratch_load_b32 v0, off, s32 offset:636 ; 4-byte Folded Reload
	s_waitcnt vmcnt(0)
	v_add_nc_u32_e32 v0, v0, v27
	v_cmp_lt_i32_e64 s1, v0, v22
	s_waitcnt lgkmcnt(0)
	v_add_nc_u32_e32 v0, s2, v30
	s_delay_alu instid0(VALU_DEP_2) | instskip(SKIP_2) | instid1(VALU_DEP_1)
	v_cndmask_b32_e64 v2, 0, v1, s1
	ds_store_b32 v0, v2
	v_max_f32_e32 v0, v105, v105
	v_max_f32_e32 v0, v0, v1
	s_delay_alu instid0(VALU_DEP_1)
	v_cndmask_b32_e64 v105, v105, v0, s1
.LBB264_15:                             ;   in Loop: Header=BB264_16 Depth=1
	s_or_b32 exec_lo, exec_lo, s22
	scratch_load_b32 v0, off, s32 offset:352 ; 4-byte Folded Reload
	v_add_nc_u32_e32 v47, 4, v47
	v_add_co_u32 v110, s2, v110, 16
	s_delay_alu instid0(VALU_DEP_1) | instskip(SKIP_4) | instid1(VALU_DEP_1)
	v_add_co_ci_u32_e64 v111, s2, 0, v111, s2
	v_add_nc_u32_e32 v27, 0x80, v27
	v_add_nc_u32_e32 v30, 0x200, v30
	s_waitcnt vmcnt(0)
	v_cmp_ge_i32_e64 s1, v47, v0
	s_or_b32 s21, s1, s21
	s_delay_alu instid0(SALU_CYCLE_1)
	s_and_not1_b32 exec_lo, exec_lo, s21
	s_cbranch_execz .LBB264_976
.LBB264_16:                             ; =>This Inner Loop Header: Depth=1
	s_clause 0x2
	scratch_load_b32 v1, off, s32 offset:356
	scratch_load_b32 v5, off, s32 offset:348
	;; [unrolled: 1-line block ×3, first 2 shown]
	v_sub_nc_u32_e32 v0, 0, v27
	s_delay_alu instid0(VALU_DEP_1) | instskip(SKIP_1) | instid1(VALU_DEP_1)
	v_max_i32_e32 v0, v27, v0
	s_waitcnt vmcnt(2)
	v_mul_hi_u32 v1, v0, v1
	s_waitcnt vmcnt(0)
	s_delay_alu instid0(VALU_DEP_1) | instskip(NEXT) | instid1(VALU_DEP_1)
	v_mul_lo_u32 v2, v1, v4
	v_sub_nc_u32_e32 v0, v0, v2
	v_add_nc_u32_e32 v2, 1, v1
	s_delay_alu instid0(VALU_DEP_2) | instskip(SKIP_1) | instid1(VALU_DEP_1)
	v_sub_nc_u32_e32 v3, v0, v4
	v_cmp_ge_u32_e64 s1, v0, v4
	v_cndmask_b32_e64 v1, v1, v2, s1
	s_delay_alu instid0(VALU_DEP_3) | instskip(SKIP_1) | instid1(VALU_DEP_3)
	v_cndmask_b32_e64 v0, v0, v3, s1
	v_ashrrev_i32_e32 v2, 31, v27
	v_add_nc_u32_e32 v3, 1, v1
	s_delay_alu instid0(VALU_DEP_3) | instskip(NEXT) | instid1(VALU_DEP_3)
	v_cmp_ge_u32_e64 s1, v0, v4
	v_xor_b32_e32 v2, v2, v5
	scratch_load_b32 v4, off, s32 offset:576 ; 4-byte Folded Reload
	v_cndmask_b32_e64 v0, v1, v3, s1
	scratch_load_b32 v3, off, s32 offset:580 ; 4-byte Folded Reload
	v_xor_b32_e32 v0, v0, v2
	s_delay_alu instid0(VALU_DEP_1) | instskip(SKIP_3) | instid1(VALU_DEP_1)
	v_sub_nc_u32_e32 v0, v0, v2
	scratch_load_b64 v[1:2], off, s32 offset:340 ; 8-byte Folded Reload
	s_waitcnt vmcnt(0)
	v_add_nc_u32_e32 v1, v0, v1
	v_sub_nc_u32_e32 v2, 0, v1
	s_delay_alu instid0(VALU_DEP_1) | instskip(SKIP_1) | instid1(VALU_DEP_2)
	v_max_i32_e32 v2, v1, v2
	v_ashrrev_i32_e32 v1, 31, v1
	v_mul_hi_u32 v3, v2, v3
	s_delay_alu instid0(VALU_DEP_1) | instskip(NEXT) | instid1(VALU_DEP_1)
	v_mul_lo_u32 v3, v3, v4
	v_sub_nc_u32_e32 v2, v2, v3
	s_delay_alu instid0(VALU_DEP_1) | instskip(SKIP_1) | instid1(VALU_DEP_1)
	v_sub_nc_u32_e32 v3, v2, v4
	v_cmp_ge_u32_e64 s1, v2, v4
	v_cndmask_b32_e64 v2, v2, v3, s1
	s_delay_alu instid0(VALU_DEP_1) | instskip(SKIP_1) | instid1(VALU_DEP_1)
	v_sub_nc_u32_e32 v3, v2, v4
	v_cmp_ge_u32_e64 s1, v2, v4
	v_cndmask_b32_e64 v2, v2, v3, s1
	s_delay_alu instid0(VALU_DEP_1) | instskip(NEXT) | instid1(VALU_DEP_1)
	v_xor_b32_e32 v2, v2, v1
	v_sub_nc_u32_e32 v1, v2, v1
	s_delay_alu instid0(VALU_DEP_1) | instskip(SKIP_3) | instid1(VALU_DEP_1)
	v_cmp_ne_u32_e64 s1, 0, v1
	scratch_load_b32 v1, off, s32 offset:360 ; 4-byte Folded Reload
	s_waitcnt vmcnt(0)
	v_cmp_le_i32_e64 s2, v0, v1
	s_and_b32 s1, s1, s2
	s_delay_alu instid0(SALU_CYCLE_1) | instskip(NEXT) | instid1(SALU_CYCLE_1)
	s_and_saveexec_b32 s2, s1
	s_xor_b32 s1, exec_lo, s2
	s_cbranch_execz .LBB264_18
; %bb.17:                               ;   in Loop: Header=BB264_16 Depth=1
	v_dual_mov_b32 v1, 0xff7fffff :: v_dual_add_nc_u32 v0, s7, v30
	ds_store_b32 v0, v1
.LBB264_18:                             ;   in Loop: Header=BB264_16 Depth=1
	s_and_not1_saveexec_b32 s22, s1
	s_cbranch_execz .LBB264_15
; %bb.19:                               ;   in Loop: Header=BB264_16 Depth=1
	scratch_store_b32 off, v105, s32 offset:624 ; 4-byte Folded Spill
	flat_load_b32 v0, v[110:111]
	s_clause 0x1
	scratch_load_b32 v1, off, s32 offset:572
	scratch_load_b64 v[2:3], off, s32 offset:660
	s_mov_b32 s2, exec_lo
	s_waitcnt vmcnt(0) lgkmcnt(0)
	v_mad_i64_i32 v[152:153], null, v0, v1, v[2:3]
	flat_load_b32 v0, v[152:153]
	scratch_load_b64 v[1:2], off, s32 offset:648 ; 8-byte Folded Reload
	v_mov_b32_e32 v4, 0
	v_mov_b32_e32 v5, 0
	s_delay_alu instid0(VALU_DEP_1) | instskip(SKIP_4) | instid1(VALU_DEP_1)
	v_dual_mov_b32 v83, v5 :: v_dual_mov_b32 v82, v4
	s_waitcnt vmcnt(0)
	flat_load_b32 v10, v[1:2]
	s_waitcnt lgkmcnt(1)
	v_and_b32_e32 v1, 0xff, v0
	v_cmpx_ne_u16_e32 0, v1
	s_cbranch_execz .LBB264_27
; %bb.20:                               ;   in Loop: Header=BB264_16 Depth=1
	v_bfrev_b32_e32 v82, 1
	v_mov_b32_e32 v83, 0
	s_mov_b32 s23, exec_lo
	v_cmpx_ne_u16_e32 0x80, v1
	s_cbranch_execz .LBB264_26
; %bb.21:                               ;   in Loop: Header=BB264_16 Depth=1
	v_mov_b32_e32 v82, 0x7f800001
	v_dual_mov_b32 v83, 0 :: v_dual_and_b32 v2, 0x7f, v0
	s_mov_b32 s24, exec_lo
	s_delay_alu instid0(VALU_DEP_1)
	v_cmpx_ne_u32_e32 0x7f, v2
	s_cbranch_execz .LBB264_25
; %bb.22:                               ;   in Loop: Header=BB264_16 Depth=1
	v_and_b32_e32 v28, 7, v0
	v_lshrrev_b32_e32 v1, 3, v2
	s_mov_b32 s25, exec_lo
	v_cmpx_gt_u32_e32 8, v2
; %bb.23:                               ;   in Loop: Header=BB264_16 Depth=1
	s_delay_alu instid0(VALU_DEP_3) | instskip(NEXT) | instid1(VALU_DEP_1)
	v_clz_i32_u32_e32 v1, v28
	v_min_u32_e32 v1, 32, v1
	s_delay_alu instid0(VALU_DEP_1) | instskip(SKIP_1) | instid1(VALU_DEP_2)
	v_subrev_nc_u32_e32 v2, 28, v1
	v_sub_nc_u32_e32 v1, 29, v1
	v_lshlrev_b64 v[2:3], v2, v[28:29]
	s_delay_alu instid0(VALU_DEP_1)
	v_and_b32_e32 v28, 7, v2
; %bb.24:                               ;   in Loop: Header=BB264_16 Depth=1
	s_or_b32 exec_lo, exec_lo, s25
	v_lshlrev_b32_e32 v2, 24, v0
	s_delay_alu instid0(VALU_DEP_2) | instskip(SKIP_1) | instid1(VALU_DEP_3)
	v_lshlrev_b32_e32 v3, 20, v28
	v_lshl_add_u32 v1, v1, 23, 0x3c000000
	v_and_b32_e32 v2, 0x80000000, v2
	s_delay_alu instid0(VALU_DEP_1) | instskip(NEXT) | instid1(VALU_DEP_1)
	v_or3_b32 v28, v3, v2, v1
	v_dual_mov_b32 v83, v29 :: v_dual_mov_b32 v82, v28
.LBB264_25:                             ;   in Loop: Header=BB264_16 Depth=1
	s_or_b32 exec_lo, exec_lo, s24
.LBB264_26:                             ;   in Loop: Header=BB264_16 Depth=1
	s_delay_alu instid0(SALU_CYCLE_1)
	s_or_b32 exec_lo, exec_lo, s23
.LBB264_27:                             ;   in Loop: Header=BB264_16 Depth=1
	s_delay_alu instid0(SALU_CYCLE_1) | instskip(SKIP_2) | instid1(VALU_DEP_1)
	s_or_b32 exec_lo, exec_lo, s2
	v_lshrrev_b16 v1, 8, v0
	s_mov_b32 s23, exec_lo
	v_cmpx_ne_u16_e32 0, v1
	s_cbranch_execz .LBB264_35
; %bb.28:                               ;   in Loop: Header=BB264_16 Depth=1
	v_dual_mov_b32 v4, s16 :: v_dual_mov_b32 v5, s17
	s_mov_b32 s24, exec_lo
	v_cmpx_ne_u16_e32 0x80, v1
	s_cbranch_execz .LBB264_34
; %bb.29:                               ;   in Loop: Header=BB264_16 Depth=1
	s_mov_b32 s2, s16
	v_and_b32_e32 v1, 0xffff, v1
	v_dual_mov_b32 v5, s3 :: v_dual_mov_b32 v4, s2
	s_mov_b32 s2, exec_lo
	s_delay_alu instid0(VALU_DEP_2) | instskip(NEXT) | instid1(VALU_DEP_1)
	v_and_b32_e32 v2, 0x7f, v1
	v_cmpx_ne_u32_e32 0x7f, v2
	s_cbranch_execz .LBB264_33
; %bb.30:                               ;   in Loop: Header=BB264_16 Depth=1
	v_and_b32_e32 v28, 7, v1
	v_lshrrev_b32_e32 v1, 3, v2
	s_mov_b32 s25, exec_lo
	v_cmpx_gt_u32_e32 8, v2
; %bb.31:                               ;   in Loop: Header=BB264_16 Depth=1
	s_delay_alu instid0(VALU_DEP_3) | instskip(NEXT) | instid1(VALU_DEP_1)
	v_clz_i32_u32_e32 v1, v28
	v_min_u32_e32 v1, 32, v1
	s_delay_alu instid0(VALU_DEP_1) | instskip(SKIP_1) | instid1(VALU_DEP_2)
	v_subrev_nc_u32_e32 v2, 28, v1
	v_sub_nc_u32_e32 v1, 29, v1
	v_lshlrev_b64 v[2:3], v2, v[28:29]
	s_delay_alu instid0(VALU_DEP_1)
	v_and_b32_e32 v28, 7, v2
; %bb.32:                               ;   in Loop: Header=BB264_16 Depth=1
	s_or_b32 exec_lo, exec_lo, s25
	v_lshlrev_b32_e32 v2, 16, v0
	s_delay_alu instid0(VALU_DEP_2) | instskip(SKIP_1) | instid1(VALU_DEP_3)
	v_dual_mov_b32 v4, v29 :: v_dual_lshlrev_b32 v3, 20, v28
	v_lshl_add_u32 v1, v1, 23, 0x3c000000
	v_and_b32_e32 v2, 0x80000000, v2
	s_delay_alu instid0(VALU_DEP_1)
	v_or3_b32 v5, v3, v2, v1
.LBB264_33:                             ;   in Loop: Header=BB264_16 Depth=1
	s_or_b32 exec_lo, exec_lo, s2
.LBB264_34:                             ;   in Loop: Header=BB264_16 Depth=1
	s_delay_alu instid0(SALU_CYCLE_1)
	s_or_b32 exec_lo, exec_lo, s24
.LBB264_35:                             ;   in Loop: Header=BB264_16 Depth=1
	s_delay_alu instid0(SALU_CYCLE_1)
	s_or_b32 exec_lo, exec_lo, s23
	v_lshrrev_b32_e32 v1, 16, v0
	scratch_store_b64 off, v[4:5], s32 offset:584 ; 8-byte Folded Spill
	v_mov_b32_e32 v4, 0
	v_mov_b32_e32 v5, 0
	s_mov_b32 s2, exec_lo
	v_and_b32_e32 v2, 0xff, v1
	scratch_store_b64 off, v[4:5], s32 offset:364 ; 8-byte Folded Spill
	v_cmpx_ne_u16_e32 0, v2
	s_cbranch_execz .LBB264_43
; %bb.36:                               ;   in Loop: Header=BB264_16 Depth=1
	v_bfrev_b32_e32 v4, 1
	v_mov_b32_e32 v5, 0
	s_mov_b32 s23, exec_lo
	v_cmpx_ne_u16_e32 0x80, v2
	s_cbranch_execz .LBB264_42
; %bb.37:                               ;   in Loop: Header=BB264_16 Depth=1
	v_mov_b32_e32 v4, 0x7f800001
	v_bfe_u32 v3, v0, 16, 7
	v_mov_b32_e32 v5, 0
	s_mov_b32 s24, exec_lo
	s_delay_alu instid0(VALU_DEP_2)
	v_cmpx_ne_u32_e32 0x7f, v3
	s_cbranch_execz .LBB264_41
; %bb.38:                               ;   in Loop: Header=BB264_16 Depth=1
	v_and_b32_e32 v28, 7, v1
	v_lshrrev_b32_e32 v2, 3, v3
	s_mov_b32 s25, exec_lo
	v_cmpx_gt_u32_e32 8, v3
; %bb.39:                               ;   in Loop: Header=BB264_16 Depth=1
	s_delay_alu instid0(VALU_DEP_3) | instskip(NEXT) | instid1(VALU_DEP_1)
	v_clz_i32_u32_e32 v2, v28
	v_min_u32_e32 v2, 32, v2
	s_delay_alu instid0(VALU_DEP_1) | instskip(SKIP_1) | instid1(VALU_DEP_2)
	v_subrev_nc_u32_e32 v3, 28, v2
	v_sub_nc_u32_e32 v2, 29, v2
	v_lshlrev_b64 v[3:4], v3, v[28:29]
	s_delay_alu instid0(VALU_DEP_1)
	v_and_b32_e32 v28, 7, v3
; %bb.40:                               ;   in Loop: Header=BB264_16 Depth=1
	s_or_b32 exec_lo, exec_lo, s25
	v_lshlrev_b32_e32 v1, 24, v1
	s_delay_alu instid0(VALU_DEP_2) | instskip(SKIP_1) | instid1(VALU_DEP_3)
	v_lshlrev_b32_e32 v3, 20, v28
	v_lshl_add_u32 v2, v2, 23, 0x3c000000
	v_and_b32_e32 v1, 0x80000000, v1
	s_delay_alu instid0(VALU_DEP_1) | instskip(NEXT) | instid1(VALU_DEP_1)
	v_or3_b32 v28, v3, v1, v2
	v_dual_mov_b32 v4, v28 :: v_dual_mov_b32 v5, v29
.LBB264_41:                             ;   in Loop: Header=BB264_16 Depth=1
	s_or_b32 exec_lo, exec_lo, s24
.LBB264_42:                             ;   in Loop: Header=BB264_16 Depth=1
	s_delay_alu instid0(SALU_CYCLE_1)
	s_or_b32 exec_lo, exec_lo, s23
.LBB264_43:                             ;   in Loop: Header=BB264_16 Depth=1
	s_delay_alu instid0(SALU_CYCLE_1) | instskip(NEXT) | instid1(SALU_CYCLE_1)
	s_or_b32 exec_lo, exec_lo, s2
	s_mov_b32 s23, exec_lo
	v_cmpx_lt_u32_e32 0xffffff, v0
	s_cbranch_execz .LBB264_51
; %bb.44:                               ;   in Loop: Header=BB264_16 Depth=1
	v_lshrrev_b32_e32 v1, 24, v0
	v_dual_mov_b32 v2, s16 :: v_dual_mov_b32 v3, s17
	s_mov_b32 s24, exec_lo
	scratch_store_b64 off, v[2:3], s32 offset:364 ; 8-byte Folded Spill
	v_cmpx_ne_u32_e32 0x80, v1
	s_cbranch_execz .LBB264_50
; %bb.45:                               ;   in Loop: Header=BB264_16 Depth=1
	s_mov_b32 s2, s16
	v_bfe_u32 v2, v0, 24, 7
	v_dual_mov_b32 v7, s3 :: v_dual_mov_b32 v6, s2
	s_mov_b32 s2, exec_lo
	scratch_store_b64 off, v[6:7], s32 offset:364 ; 8-byte Folded Spill
	v_cmpx_ne_u32_e32 0x7f, v2
	s_cbranch_execz .LBB264_49
; %bb.46:                               ;   in Loop: Header=BB264_16 Depth=1
	v_and_b32_e32 v28, 7, v1
	v_lshrrev_b32_e32 v0, 3, v2
	s_mov_b32 s25, exec_lo
	v_cmpx_gt_u32_e32 8, v2
; %bb.47:                               ;   in Loop: Header=BB264_16 Depth=1
	s_delay_alu instid0(VALU_DEP_3) | instskip(NEXT) | instid1(VALU_DEP_1)
	v_clz_i32_u32_e32 v0, v28
	v_min_u32_e32 v0, 32, v0
	s_delay_alu instid0(VALU_DEP_1) | instskip(SKIP_1) | instid1(VALU_DEP_2)
	v_subrev_nc_u32_e32 v2, 28, v0
	v_sub_nc_u32_e32 v0, 29, v0
	v_lshlrev_b64 v[2:3], v2, v[28:29]
	s_delay_alu instid0(VALU_DEP_1)
	v_and_b32_e32 v28, 7, v2
; %bb.48:                               ;   in Loop: Header=BB264_16 Depth=1
	s_or_b32 exec_lo, exec_lo, s25
	v_lshlrev_b32_e32 v1, 24, v1
	s_delay_alu instid0(VALU_DEP_2) | instskip(SKIP_1) | instid1(VALU_DEP_3)
	v_lshlrev_b32_e32 v2, 20, v28
	v_lshl_add_u32 v0, v0, 23, 0x3c000000
	v_and_b32_e32 v1, 0x80000000, v1
	s_delay_alu instid0(VALU_DEP_1)
	v_or3_b32 v1, v2, v1, v0
	v_mov_b32_e32 v0, v29
	scratch_store_b64 off, v[0:1], s32 offset:364 ; 8-byte Folded Spill
.LBB264_49:                             ;   in Loop: Header=BB264_16 Depth=1
	s_or_b32 exec_lo, exec_lo, s2
.LBB264_50:                             ;   in Loop: Header=BB264_16 Depth=1
	s_delay_alu instid0(SALU_CYCLE_1)
	s_or_b32 exec_lo, exec_lo, s24
.LBB264_51:                             ;   in Loop: Header=BB264_16 Depth=1
	s_delay_alu instid0(SALU_CYCLE_1)
	s_or_b32 exec_lo, exec_lo, s23
	flat_load_b32 v0, v[152:153] offset:4
	v_mov_b32_e32 v2, 0
	v_mov_b32_e32 v3, 0
	s_mov_b32 s2, exec_lo
	s_clause 0x1
	scratch_store_b64 off, v[2:3], s32 offset:380
	scratch_store_b64 off, v[2:3], s32 offset:372
	s_waitcnt vmcnt(0) lgkmcnt(0)
	v_and_b32_e32 v1, 0xff, v0
	s_delay_alu instid0(VALU_DEP_1)
	v_cmpx_ne_u16_e32 0, v1
	s_cbranch_execz .LBB264_59
; %bb.52:                               ;   in Loop: Header=BB264_16 Depth=1
	v_bfrev_b32_e32 v2, 1
	v_mov_b32_e32 v3, 0
	s_mov_b32 s23, exec_lo
	scratch_store_b64 off, v[2:3], s32 offset:372 ; 8-byte Folded Spill
	v_cmpx_ne_u16_e32 0x80, v1
	s_cbranch_execz .LBB264_58
; %bb.53:                               ;   in Loop: Header=BB264_16 Depth=1
	v_mov_b32_e32 v6, 0x7f800001
	v_dual_mov_b32 v7, 0 :: v_dual_and_b32 v2, 0x7f, v0
	s_mov_b32 s24, exec_lo
	scratch_store_b64 off, v[6:7], s32 offset:372 ; 8-byte Folded Spill
	v_cmpx_ne_u32_e32 0x7f, v2
	s_cbranch_execz .LBB264_57
; %bb.54:                               ;   in Loop: Header=BB264_16 Depth=1
	v_and_b32_e32 v28, 7, v0
	v_lshrrev_b32_e32 v1, 3, v2
	s_mov_b32 s25, exec_lo
	v_cmpx_gt_u32_e32 8, v2
; %bb.55:                               ;   in Loop: Header=BB264_16 Depth=1
	s_delay_alu instid0(VALU_DEP_3) | instskip(NEXT) | instid1(VALU_DEP_1)
	v_clz_i32_u32_e32 v1, v28
	v_min_u32_e32 v1, 32, v1
	s_delay_alu instid0(VALU_DEP_1) | instskip(SKIP_1) | instid1(VALU_DEP_2)
	v_subrev_nc_u32_e32 v2, 28, v1
	v_sub_nc_u32_e32 v1, 29, v1
	v_lshlrev_b64 v[2:3], v2, v[28:29]
	s_delay_alu instid0(VALU_DEP_1)
	v_and_b32_e32 v28, 7, v2
; %bb.56:                               ;   in Loop: Header=BB264_16 Depth=1
	s_or_b32 exec_lo, exec_lo, s25
	v_lshlrev_b32_e32 v2, 24, v0
	s_delay_alu instid0(VALU_DEP_2) | instskip(SKIP_1) | instid1(VALU_DEP_3)
	v_lshlrev_b32_e32 v3, 20, v28
	v_lshl_add_u32 v1, v1, 23, 0x3c000000
	v_and_b32_e32 v2, 0x80000000, v2
	s_delay_alu instid0(VALU_DEP_1)
	v_or3_b32 v28, v3, v2, v1
	scratch_store_b64 off, v[28:29], s32 offset:372 ; 8-byte Folded Spill
.LBB264_57:                             ;   in Loop: Header=BB264_16 Depth=1
	s_or_b32 exec_lo, exec_lo, s24
.LBB264_58:                             ;   in Loop: Header=BB264_16 Depth=1
	s_delay_alu instid0(SALU_CYCLE_1)
	s_or_b32 exec_lo, exec_lo, s23
.LBB264_59:                             ;   in Loop: Header=BB264_16 Depth=1
	s_delay_alu instid0(SALU_CYCLE_1) | instskip(SKIP_2) | instid1(VALU_DEP_1)
	s_or_b32 exec_lo, exec_lo, s2
	v_lshrrev_b16 v1, 8, v0
	s_mov_b32 s23, exec_lo
	v_cmpx_ne_u16_e32 0, v1
	s_cbranch_execz .LBB264_67
; %bb.60:                               ;   in Loop: Header=BB264_16 Depth=1
	v_dual_mov_b32 v2, s16 :: v_dual_mov_b32 v3, s17
	s_mov_b32 s24, exec_lo
	scratch_store_b64 off, v[2:3], s32 offset:380 ; 8-byte Folded Spill
	v_cmpx_ne_u16_e32 0x80, v1
	s_cbranch_execz .LBB264_66
; %bb.61:                               ;   in Loop: Header=BB264_16 Depth=1
	s_mov_b32 s2, s16
	v_and_b32_e32 v1, 0xffff, v1
	v_dual_mov_b32 v7, s3 :: v_dual_mov_b32 v6, s2
	s_mov_b32 s2, exec_lo
	s_delay_alu instid0(VALU_DEP_2)
	v_and_b32_e32 v2, 0x7f, v1
	scratch_store_b64 off, v[6:7], s32 offset:380 ; 8-byte Folded Spill
	v_cmpx_ne_u32_e32 0x7f, v2
	s_cbranch_execz .LBB264_65
; %bb.62:                               ;   in Loop: Header=BB264_16 Depth=1
	v_and_b32_e32 v28, 7, v1
	v_lshrrev_b32_e32 v1, 3, v2
	s_mov_b32 s25, exec_lo
	v_cmpx_gt_u32_e32 8, v2
; %bb.63:                               ;   in Loop: Header=BB264_16 Depth=1
	s_delay_alu instid0(VALU_DEP_3) | instskip(NEXT) | instid1(VALU_DEP_1)
	v_clz_i32_u32_e32 v1, v28
	v_min_u32_e32 v1, 32, v1
	s_delay_alu instid0(VALU_DEP_1) | instskip(SKIP_1) | instid1(VALU_DEP_2)
	v_subrev_nc_u32_e32 v2, 28, v1
	v_sub_nc_u32_e32 v1, 29, v1
	v_lshlrev_b64 v[2:3], v2, v[28:29]
	s_delay_alu instid0(VALU_DEP_1)
	v_and_b32_e32 v28, 7, v2
; %bb.64:                               ;   in Loop: Header=BB264_16 Depth=1
	s_or_b32 exec_lo, exec_lo, s25
	v_lshlrev_b32_e32 v2, 16, v0
	s_delay_alu instid0(VALU_DEP_2) | instskip(SKIP_1) | instid1(VALU_DEP_3)
	v_lshlrev_b32_e32 v3, 20, v28
	v_lshl_add_u32 v1, v1, 23, 0x3c000000
	v_and_b32_e32 v2, 0x80000000, v2
	s_delay_alu instid0(VALU_DEP_1)
	v_or3_b32 v2, v3, v2, v1
	v_mov_b32_e32 v1, v29
	scratch_store_b64 off, v[1:2], s32 offset:380 ; 8-byte Folded Spill
.LBB264_65:                             ;   in Loop: Header=BB264_16 Depth=1
	s_or_b32 exec_lo, exec_lo, s2
.LBB264_66:                             ;   in Loop: Header=BB264_16 Depth=1
	s_delay_alu instid0(SALU_CYCLE_1)
	s_or_b32 exec_lo, exec_lo, s24
.LBB264_67:                             ;   in Loop: Header=BB264_16 Depth=1
	s_delay_alu instid0(SALU_CYCLE_1) | instskip(SKIP_2) | instid1(VALU_DEP_2)
	s_or_b32 exec_lo, exec_lo, s23
	v_lshrrev_b32_e32 v1, 16, v0
	v_mov_b32_e32 v6, 0
	v_dual_mov_b32 v7, 0 :: v_dual_and_b32 v2, 0xff, v1
	s_clause 0x1
	scratch_store_b64 off, v[6:7], s32 offset:388
	scratch_store_b64 off, v[6:7], s32 offset:556
	v_cmp_ne_u16_e64 s1, 0, v2
	s_mov_b32 s2, exec_lo
	s_delay_alu instid0(VALU_DEP_1) | instid1(SALU_CYCLE_1)
	s_and_b32 s1, s2, s1
	scratch_store_b64 off, v[4:5], s32 offset:592 ; 8-byte Folded Spill
	s_mov_b32 exec_lo, s1
	s_cbranch_execz .LBB264_75
; %bb.68:                               ;   in Loop: Header=BB264_16 Depth=1
	v_bfrev_b32_e32 v4, 1
	v_mov_b32_e32 v5, 0
	s_mov_b32 s23, exec_lo
	v_cmpx_ne_u16_e32 0x80, v2
	s_cbranch_execz .LBB264_74
; %bb.69:                               ;   in Loop: Header=BB264_16 Depth=1
	v_mov_b32_e32 v4, 0x7f800001
	v_bfe_u32 v3, v0, 16, 7
	v_mov_b32_e32 v5, 0
	s_mov_b32 s24, exec_lo
	s_delay_alu instid0(VALU_DEP_2)
	v_cmpx_ne_u32_e32 0x7f, v3
	s_cbranch_execz .LBB264_73
; %bb.70:                               ;   in Loop: Header=BB264_16 Depth=1
	v_and_b32_e32 v28, 7, v1
	v_lshrrev_b32_e32 v2, 3, v3
	s_mov_b32 s25, exec_lo
	v_cmpx_gt_u32_e32 8, v3
; %bb.71:                               ;   in Loop: Header=BB264_16 Depth=1
	s_delay_alu instid0(VALU_DEP_3) | instskip(NEXT) | instid1(VALU_DEP_1)
	v_clz_i32_u32_e32 v2, v28
	v_min_u32_e32 v2, 32, v2
	s_delay_alu instid0(VALU_DEP_1) | instskip(SKIP_1) | instid1(VALU_DEP_2)
	v_subrev_nc_u32_e32 v3, 28, v2
	v_sub_nc_u32_e32 v2, 29, v2
	v_lshlrev_b64 v[3:4], v3, v[28:29]
	s_delay_alu instid0(VALU_DEP_1)
	v_and_b32_e32 v28, 7, v3
; %bb.72:                               ;   in Loop: Header=BB264_16 Depth=1
	s_or_b32 exec_lo, exec_lo, s25
	v_lshlrev_b32_e32 v1, 24, v1
	s_delay_alu instid0(VALU_DEP_2) | instskip(SKIP_1) | instid1(VALU_DEP_3)
	v_lshlrev_b32_e32 v3, 20, v28
	v_lshl_add_u32 v2, v2, 23, 0x3c000000
	v_and_b32_e32 v1, 0x80000000, v1
	s_delay_alu instid0(VALU_DEP_1) | instskip(NEXT) | instid1(VALU_DEP_1)
	v_or3_b32 v28, v3, v1, v2
	v_dual_mov_b32 v4, v28 :: v_dual_mov_b32 v5, v29
.LBB264_73:                             ;   in Loop: Header=BB264_16 Depth=1
	s_or_b32 exec_lo, exec_lo, s24
.LBB264_74:                             ;   in Loop: Header=BB264_16 Depth=1
	s_delay_alu instid0(SALU_CYCLE_1)
	s_or_b32 exec_lo, exec_lo, s23
	scratch_store_b64 off, v[4:5], s32 offset:556 ; 8-byte Folded Spill
.LBB264_75:                             ;   in Loop: Header=BB264_16 Depth=1
	s_or_b32 exec_lo, exec_lo, s2
	s_delay_alu instid0(SALU_CYCLE_1)
	s_mov_b32 s23, exec_lo
	v_cmpx_lt_u32_e32 0xffffff, v0
	s_cbranch_execz .LBB264_83
; %bb.76:                               ;   in Loop: Header=BB264_16 Depth=1
	v_lshrrev_b32_e32 v1, 24, v0
	v_dual_mov_b32 v2, s16 :: v_dual_mov_b32 v3, s17
	s_mov_b32 s24, exec_lo
	scratch_store_b64 off, v[2:3], s32 offset:388 ; 8-byte Folded Spill
	v_cmpx_ne_u32_e32 0x80, v1
	s_cbranch_execz .LBB264_82
; %bb.77:                               ;   in Loop: Header=BB264_16 Depth=1
	s_mov_b32 s2, s16
	v_bfe_u32 v2, v0, 24, 7
	v_dual_mov_b32 v4, s3 :: v_dual_mov_b32 v3, s2
	s_mov_b32 s2, exec_lo
	scratch_store_b64 off, v[3:4], s32 offset:388 ; 8-byte Folded Spill
	v_cmpx_ne_u32_e32 0x7f, v2
	s_cbranch_execz .LBB264_81
; %bb.78:                               ;   in Loop: Header=BB264_16 Depth=1
	v_and_b32_e32 v28, 7, v1
	v_lshrrev_b32_e32 v0, 3, v2
	s_mov_b32 s25, exec_lo
	v_cmpx_gt_u32_e32 8, v2
; %bb.79:                               ;   in Loop: Header=BB264_16 Depth=1
	s_delay_alu instid0(VALU_DEP_3) | instskip(NEXT) | instid1(VALU_DEP_1)
	v_clz_i32_u32_e32 v0, v28
	v_min_u32_e32 v0, 32, v0
	s_delay_alu instid0(VALU_DEP_1) | instskip(SKIP_1) | instid1(VALU_DEP_2)
	v_subrev_nc_u32_e32 v2, 28, v0
	v_sub_nc_u32_e32 v0, 29, v0
	v_lshlrev_b64 v[2:3], v2, v[28:29]
	s_delay_alu instid0(VALU_DEP_1)
	v_and_b32_e32 v28, 7, v2
; %bb.80:                               ;   in Loop: Header=BB264_16 Depth=1
	s_or_b32 exec_lo, exec_lo, s25
	v_lshlrev_b32_e32 v1, 24, v1
	s_delay_alu instid0(VALU_DEP_2) | instskip(SKIP_1) | instid1(VALU_DEP_3)
	v_lshlrev_b32_e32 v2, 20, v28
	v_lshl_add_u32 v0, v0, 23, 0x3c000000
	v_and_b32_e32 v1, 0x80000000, v1
	s_delay_alu instid0(VALU_DEP_1)
	v_or3_b32 v1, v2, v1, v0
	v_mov_b32_e32 v0, v29
	scratch_store_b64 off, v[0:1], s32 offset:388 ; 8-byte Folded Spill
.LBB264_81:                             ;   in Loop: Header=BB264_16 Depth=1
	s_or_b32 exec_lo, exec_lo, s2
.LBB264_82:                             ;   in Loop: Header=BB264_16 Depth=1
	s_delay_alu instid0(SALU_CYCLE_1)
	s_or_b32 exec_lo, exec_lo, s24
.LBB264_83:                             ;   in Loop: Header=BB264_16 Depth=1
	s_delay_alu instid0(SALU_CYCLE_1)
	s_or_b32 exec_lo, exec_lo, s23
	flat_load_b32 v0, v[152:153] offset:8
	v_mov_b32_e32 v4, 0
	v_mov_b32_e32 v5, 0
	s_mov_b32 s2, exec_lo
	scratch_store_b64 off, v[4:5], s32 offset:396 ; 8-byte Folded Spill
	s_waitcnt vmcnt(0) lgkmcnt(0)
	v_and_b32_e32 v1, 0xff, v0
	s_delay_alu instid0(VALU_DEP_1)
	v_cmpx_ne_u16_e32 0, v1
	s_cbranch_execz .LBB264_91
; %bb.84:                               ;   in Loop: Header=BB264_16 Depth=1
	v_cmp_ne_u16_e64 s1, 0x80, v1
	v_bfrev_b32_e32 v1, 1
	v_mov_b32_e32 v2, 0
	scratch_store_b64 off, v[1:2], s32 offset:396 ; 8-byte Folded Spill
	s_and_saveexec_b32 s23, s1
	s_cbranch_execz .LBB264_90
; %bb.85:                               ;   in Loop: Header=BB264_16 Depth=1
	v_mov_b32_e32 v6, 0x7f800001
	v_dual_mov_b32 v7, 0 :: v_dual_and_b32 v2, 0x7f, v0
	s_mov_b32 s24, exec_lo
	scratch_store_b64 off, v[6:7], s32 offset:396 ; 8-byte Folded Spill
	v_cmpx_ne_u32_e32 0x7f, v2
	s_cbranch_execz .LBB264_89
; %bb.86:                               ;   in Loop: Header=BB264_16 Depth=1
	v_and_b32_e32 v28, 7, v0
	v_lshrrev_b32_e32 v1, 3, v2
	s_mov_b32 s25, exec_lo
	v_cmpx_gt_u32_e32 8, v2
; %bb.87:                               ;   in Loop: Header=BB264_16 Depth=1
	s_delay_alu instid0(VALU_DEP_3) | instskip(NEXT) | instid1(VALU_DEP_1)
	v_clz_i32_u32_e32 v1, v28
	v_min_u32_e32 v1, 32, v1
	s_delay_alu instid0(VALU_DEP_1) | instskip(SKIP_1) | instid1(VALU_DEP_2)
	v_subrev_nc_u32_e32 v2, 28, v1
	v_sub_nc_u32_e32 v1, 29, v1
	v_lshlrev_b64 v[2:3], v2, v[28:29]
	s_delay_alu instid0(VALU_DEP_1)
	v_and_b32_e32 v28, 7, v2
; %bb.88:                               ;   in Loop: Header=BB264_16 Depth=1
	s_or_b32 exec_lo, exec_lo, s25
	v_lshlrev_b32_e32 v2, 24, v0
	s_delay_alu instid0(VALU_DEP_2) | instskip(SKIP_1) | instid1(VALU_DEP_3)
	v_lshlrev_b32_e32 v3, 20, v28
	v_lshl_add_u32 v1, v1, 23, 0x3c000000
	v_and_b32_e32 v2, 0x80000000, v2
	s_delay_alu instid0(VALU_DEP_1)
	v_or3_b32 v28, v3, v2, v1
	scratch_store_b64 off, v[28:29], s32 offset:396 ; 8-byte Folded Spill
.LBB264_89:                             ;   in Loop: Header=BB264_16 Depth=1
	s_or_b32 exec_lo, exec_lo, s24
.LBB264_90:                             ;   in Loop: Header=BB264_16 Depth=1
	s_delay_alu instid0(SALU_CYCLE_1)
	s_or_b32 exec_lo, exec_lo, s23
.LBB264_91:                             ;   in Loop: Header=BB264_16 Depth=1
	s_delay_alu instid0(SALU_CYCLE_1) | instskip(SKIP_2) | instid1(VALU_DEP_1)
	s_or_b32 exec_lo, exec_lo, s2
	v_lshrrev_b16 v1, 8, v0
	s_mov_b32 s23, exec_lo
	v_cmpx_ne_u16_e32 0, v1
	s_cbranch_execz .LBB264_99
; %bb.92:                               ;   in Loop: Header=BB264_16 Depth=1
	v_dual_mov_b32 v4, s16 :: v_dual_mov_b32 v5, s17
	s_mov_b32 s24, exec_lo
	v_cmpx_ne_u16_e32 0x80, v1
	s_cbranch_execz .LBB264_98
; %bb.93:                               ;   in Loop: Header=BB264_16 Depth=1
	s_mov_b32 s2, s16
	v_and_b32_e32 v1, 0xffff, v1
	v_dual_mov_b32 v5, s3 :: v_dual_mov_b32 v4, s2
	s_mov_b32 s2, exec_lo
	s_delay_alu instid0(VALU_DEP_2) | instskip(NEXT) | instid1(VALU_DEP_1)
	v_and_b32_e32 v2, 0x7f, v1
	v_cmpx_ne_u32_e32 0x7f, v2
	s_cbranch_execz .LBB264_97
; %bb.94:                               ;   in Loop: Header=BB264_16 Depth=1
	v_and_b32_e32 v28, 7, v1
	v_lshrrev_b32_e32 v1, 3, v2
	s_mov_b32 s25, exec_lo
	v_cmpx_gt_u32_e32 8, v2
; %bb.95:                               ;   in Loop: Header=BB264_16 Depth=1
	s_delay_alu instid0(VALU_DEP_3) | instskip(NEXT) | instid1(VALU_DEP_1)
	v_clz_i32_u32_e32 v1, v28
	v_min_u32_e32 v1, 32, v1
	s_delay_alu instid0(VALU_DEP_1) | instskip(SKIP_1) | instid1(VALU_DEP_2)
	v_subrev_nc_u32_e32 v2, 28, v1
	v_sub_nc_u32_e32 v1, 29, v1
	v_lshlrev_b64 v[2:3], v2, v[28:29]
	s_delay_alu instid0(VALU_DEP_1)
	v_and_b32_e32 v28, 7, v2
; %bb.96:                               ;   in Loop: Header=BB264_16 Depth=1
	s_or_b32 exec_lo, exec_lo, s25
	v_lshlrev_b32_e32 v2, 16, v0
	s_delay_alu instid0(VALU_DEP_2) | instskip(SKIP_1) | instid1(VALU_DEP_3)
	v_dual_mov_b32 v4, v29 :: v_dual_lshlrev_b32 v3, 20, v28
	v_lshl_add_u32 v1, v1, 23, 0x3c000000
	v_and_b32_e32 v2, 0x80000000, v2
	s_delay_alu instid0(VALU_DEP_1)
	v_or3_b32 v5, v3, v2, v1
.LBB264_97:                             ;   in Loop: Header=BB264_16 Depth=1
	s_or_b32 exec_lo, exec_lo, s2
.LBB264_98:                             ;   in Loop: Header=BB264_16 Depth=1
	s_delay_alu instid0(SALU_CYCLE_1)
	s_or_b32 exec_lo, exec_lo, s24
.LBB264_99:                             ;   in Loop: Header=BB264_16 Depth=1
	s_delay_alu instid0(SALU_CYCLE_1)
	s_or_b32 exec_lo, exec_lo, s23
	v_lshrrev_b32_e32 v1, 16, v0
	scratch_store_b64 off, v[4:5], s32 offset:600 ; 8-byte Folded Spill
	v_mov_b32_e32 v4, 0
	v_mov_b32_e32 v5, 0
	s_mov_b32 s2, exec_lo
	v_and_b32_e32 v2, 0xff, v1
	scratch_store_b64 off, v[4:5], s32 offset:404 ; 8-byte Folded Spill
	v_cmpx_ne_u16_e32 0, v2
	s_cbranch_execz .LBB264_107
; %bb.100:                              ;   in Loop: Header=BB264_16 Depth=1
	v_cmp_ne_u16_e64 s1, 0x80, v2
	v_bfrev_b32_e32 v2, 1
	v_mov_b32_e32 v3, 0
	scratch_store_b64 off, v[2:3], s32 offset:404 ; 8-byte Folded Spill
	s_and_saveexec_b32 s23, s1
	s_cbranch_execz .LBB264_106
; %bb.101:                              ;   in Loop: Header=BB264_16 Depth=1
	v_mov_b32_e32 v6, 0x7f800001
	v_bfe_u32 v3, v0, 16, 7
	v_mov_b32_e32 v7, 0
	s_mov_b32 s24, exec_lo
	scratch_store_b64 off, v[6:7], s32 offset:404 ; 8-byte Folded Spill
	v_cmpx_ne_u32_e32 0x7f, v3
	s_cbranch_execz .LBB264_105
; %bb.102:                              ;   in Loop: Header=BB264_16 Depth=1
	v_and_b32_e32 v28, 7, v1
	v_lshrrev_b32_e32 v2, 3, v3
	s_mov_b32 s25, exec_lo
	v_cmpx_gt_u32_e32 8, v3
; %bb.103:                              ;   in Loop: Header=BB264_16 Depth=1
	s_delay_alu instid0(VALU_DEP_3) | instskip(SKIP_2) | instid1(VALU_DEP_3)
	v_clz_i32_u32_e32 v2, v28
	v_mov_b32_e32 v6, v5
	v_mov_b32_e32 v5, v4
	v_min_u32_e32 v2, 32, v2
	s_delay_alu instid0(VALU_DEP_1) | instskip(SKIP_1) | instid1(VALU_DEP_2)
	v_subrev_nc_u32_e32 v3, 28, v2
	v_sub_nc_u32_e32 v2, 29, v2
	v_lshlrev_b64 v[3:4], v3, v[28:29]
	s_delay_alu instid0(VALU_DEP_1)
	v_and_b32_e32 v28, 7, v3
	v_mov_b32_e32 v4, v5
	v_mov_b32_e32 v5, v6
; %bb.104:                              ;   in Loop: Header=BB264_16 Depth=1
	s_or_b32 exec_lo, exec_lo, s25
	v_lshlrev_b32_e32 v1, 24, v1
	v_lshlrev_b32_e32 v3, 20, v28
	v_lshl_add_u32 v2, v2, 23, 0x3c000000
	s_delay_alu instid0(VALU_DEP_3) | instskip(NEXT) | instid1(VALU_DEP_1)
	v_and_b32_e32 v1, 0x80000000, v1
	v_or3_b32 v28, v3, v1, v2
	scratch_store_b64 off, v[28:29], s32 offset:404 ; 8-byte Folded Spill
.LBB264_105:                            ;   in Loop: Header=BB264_16 Depth=1
	s_or_b32 exec_lo, exec_lo, s24
.LBB264_106:                            ;   in Loop: Header=BB264_16 Depth=1
	s_delay_alu instid0(SALU_CYCLE_1)
	s_or_b32 exec_lo, exec_lo, s23
.LBB264_107:                            ;   in Loop: Header=BB264_16 Depth=1
	s_delay_alu instid0(SALU_CYCLE_1) | instskip(NEXT) | instid1(SALU_CYCLE_1)
	s_or_b32 exec_lo, exec_lo, s2
	s_mov_b32 s23, exec_lo
	v_cmpx_lt_u32_e32 0xffffff, v0
	s_cbranch_execz .LBB264_115
; %bb.108:                              ;   in Loop: Header=BB264_16 Depth=1
	v_lshrrev_b32_e32 v1, 24, v0
	v_dual_mov_b32 v4, s16 :: v_dual_mov_b32 v5, s17
	s_mov_b32 s24, exec_lo
	s_delay_alu instid0(VALU_DEP_2)
	v_cmpx_ne_u32_e32 0x80, v1
	s_cbranch_execz .LBB264_114
; %bb.109:                              ;   in Loop: Header=BB264_16 Depth=1
	s_mov_b32 s2, s16
	v_bfe_u32 v2, v0, 24, 7
	v_dual_mov_b32 v5, s3 :: v_dual_mov_b32 v4, s2
	s_mov_b32 s2, exec_lo
	s_delay_alu instid0(VALU_DEP_2)
	v_cmpx_ne_u32_e32 0x7f, v2
	s_cbranch_execz .LBB264_113
; %bb.110:                              ;   in Loop: Header=BB264_16 Depth=1
	v_and_b32_e32 v28, 7, v1
	v_lshrrev_b32_e32 v0, 3, v2
	s_mov_b32 s25, exec_lo
	v_cmpx_gt_u32_e32 8, v2
; %bb.111:                              ;   in Loop: Header=BB264_16 Depth=1
	s_delay_alu instid0(VALU_DEP_3) | instskip(NEXT) | instid1(VALU_DEP_1)
	v_clz_i32_u32_e32 v0, v28
	v_min_u32_e32 v0, 32, v0
	s_delay_alu instid0(VALU_DEP_1) | instskip(SKIP_1) | instid1(VALU_DEP_2)
	v_subrev_nc_u32_e32 v2, 28, v0
	v_sub_nc_u32_e32 v0, 29, v0
	v_lshlrev_b64 v[2:3], v2, v[28:29]
	s_delay_alu instid0(VALU_DEP_1)
	v_and_b32_e32 v28, 7, v2
; %bb.112:                              ;   in Loop: Header=BB264_16 Depth=1
	s_or_b32 exec_lo, exec_lo, s25
	v_dual_mov_b32 v4, v29 :: v_dual_lshlrev_b32 v1, 24, v1
	s_delay_alu instid0(VALU_DEP_2) | instskip(SKIP_1) | instid1(VALU_DEP_3)
	v_lshlrev_b32_e32 v2, 20, v28
	v_lshl_add_u32 v0, v0, 23, 0x3c000000
	v_and_b32_e32 v1, 0x80000000, v1
	s_delay_alu instid0(VALU_DEP_1)
	v_or3_b32 v5, v2, v1, v0
.LBB264_113:                            ;   in Loop: Header=BB264_16 Depth=1
	s_or_b32 exec_lo, exec_lo, s2
.LBB264_114:                            ;   in Loop: Header=BB264_16 Depth=1
	s_delay_alu instid0(SALU_CYCLE_1)
	s_or_b32 exec_lo, exec_lo, s24
.LBB264_115:                            ;   in Loop: Header=BB264_16 Depth=1
	s_delay_alu instid0(SALU_CYCLE_1)
	s_or_b32 exec_lo, exec_lo, s23
	flat_load_b32 v0, v[152:153] offset:12
	v_mov_b32_e32 v2, 0
	v_mov_b32_e32 v3, 0
	s_mov_b32 s2, exec_lo
	s_clause 0x1
	scratch_store_b64 off, v[2:3], s32 offset:412
	scratch_store_b64 off, v[2:3], s32 offset:420
	s_waitcnt vmcnt(0) lgkmcnt(0)
	v_and_b32_e32 v1, 0xff, v0
	s_delay_alu instid0(VALU_DEP_1)
	v_cmpx_ne_u16_e32 0, v1
	s_cbranch_execz .LBB264_123
; %bb.116:                              ;   in Loop: Header=BB264_16 Depth=1
	v_cmp_ne_u16_e64 s1, 0x80, v1
	v_bfrev_b32_e32 v1, 1
	v_mov_b32_e32 v2, 0
	scratch_store_b64 off, v[1:2], s32 offset:420 ; 8-byte Folded Spill
	s_and_saveexec_b32 s23, s1
	s_cbranch_execz .LBB264_122
; %bb.117:                              ;   in Loop: Header=BB264_16 Depth=1
	v_mov_b32_e32 v6, 0x7f800001
	v_dual_mov_b32 v7, 0 :: v_dual_and_b32 v2, 0x7f, v0
	s_mov_b32 s24, exec_lo
	scratch_store_b64 off, v[6:7], s32 offset:420 ; 8-byte Folded Spill
	v_cmpx_ne_u32_e32 0x7f, v2
	s_cbranch_execz .LBB264_121
; %bb.118:                              ;   in Loop: Header=BB264_16 Depth=1
	v_and_b32_e32 v28, 7, v0
	v_lshrrev_b32_e32 v1, 3, v2
	s_mov_b32 s25, exec_lo
	v_cmpx_gt_u32_e32 8, v2
; %bb.119:                              ;   in Loop: Header=BB264_16 Depth=1
	s_delay_alu instid0(VALU_DEP_3) | instskip(NEXT) | instid1(VALU_DEP_1)
	v_clz_i32_u32_e32 v1, v28
	v_min_u32_e32 v1, 32, v1
	s_delay_alu instid0(VALU_DEP_1) | instskip(SKIP_1) | instid1(VALU_DEP_2)
	v_subrev_nc_u32_e32 v2, 28, v1
	v_sub_nc_u32_e32 v1, 29, v1
	v_lshlrev_b64 v[2:3], v2, v[28:29]
	s_delay_alu instid0(VALU_DEP_1)
	v_and_b32_e32 v28, 7, v2
; %bb.120:                              ;   in Loop: Header=BB264_16 Depth=1
	s_or_b32 exec_lo, exec_lo, s25
	v_lshlrev_b32_e32 v2, 24, v0
	s_delay_alu instid0(VALU_DEP_2) | instskip(SKIP_1) | instid1(VALU_DEP_3)
	v_lshlrev_b32_e32 v3, 20, v28
	v_lshl_add_u32 v1, v1, 23, 0x3c000000
	v_and_b32_e32 v2, 0x80000000, v2
	s_delay_alu instid0(VALU_DEP_1)
	v_or3_b32 v28, v3, v2, v1
	scratch_store_b64 off, v[28:29], s32 offset:420 ; 8-byte Folded Spill
.LBB264_121:                            ;   in Loop: Header=BB264_16 Depth=1
	s_or_b32 exec_lo, exec_lo, s24
.LBB264_122:                            ;   in Loop: Header=BB264_16 Depth=1
	s_delay_alu instid0(SALU_CYCLE_1)
	s_or_b32 exec_lo, exec_lo, s23
.LBB264_123:                            ;   in Loop: Header=BB264_16 Depth=1
	s_delay_alu instid0(SALU_CYCLE_1) | instskip(SKIP_2) | instid1(VALU_DEP_1)
	s_or_b32 exec_lo, exec_lo, s2
	v_lshrrev_b16 v1, 8, v0
	s_mov_b32 s23, exec_lo
	v_cmpx_ne_u16_e32 0, v1
	s_cbranch_execz .LBB264_131
; %bb.124:                              ;   in Loop: Header=BB264_16 Depth=1
	v_dual_mov_b32 v2, s16 :: v_dual_mov_b32 v3, s17
	s_mov_b32 s24, exec_lo
	scratch_store_b64 off, v[2:3], s32 offset:412 ; 8-byte Folded Spill
	v_cmpx_ne_u16_e32 0x80, v1
	s_cbranch_execz .LBB264_130
; %bb.125:                              ;   in Loop: Header=BB264_16 Depth=1
	s_mov_b32 s2, s16
	v_and_b32_e32 v1, 0xffff, v1
	v_dual_mov_b32 v7, s3 :: v_dual_mov_b32 v6, s2
	s_mov_b32 s2, exec_lo
	s_delay_alu instid0(VALU_DEP_2)
	v_and_b32_e32 v2, 0x7f, v1
	scratch_store_b64 off, v[6:7], s32 offset:412 ; 8-byte Folded Spill
	v_cmpx_ne_u32_e32 0x7f, v2
	s_cbranch_execz .LBB264_129
; %bb.126:                              ;   in Loop: Header=BB264_16 Depth=1
	v_and_b32_e32 v28, 7, v1
	v_lshrrev_b32_e32 v1, 3, v2
	s_mov_b32 s25, exec_lo
	v_cmpx_gt_u32_e32 8, v2
; %bb.127:                              ;   in Loop: Header=BB264_16 Depth=1
	s_delay_alu instid0(VALU_DEP_3) | instskip(NEXT) | instid1(VALU_DEP_1)
	v_clz_i32_u32_e32 v1, v28
	v_min_u32_e32 v1, 32, v1
	s_delay_alu instid0(VALU_DEP_1) | instskip(SKIP_1) | instid1(VALU_DEP_2)
	v_subrev_nc_u32_e32 v2, 28, v1
	v_sub_nc_u32_e32 v1, 29, v1
	v_lshlrev_b64 v[2:3], v2, v[28:29]
	s_delay_alu instid0(VALU_DEP_1)
	v_and_b32_e32 v28, 7, v2
; %bb.128:                              ;   in Loop: Header=BB264_16 Depth=1
	s_or_b32 exec_lo, exec_lo, s25
	v_lshlrev_b32_e32 v2, 16, v0
	s_delay_alu instid0(VALU_DEP_2) | instskip(SKIP_1) | instid1(VALU_DEP_3)
	v_lshlrev_b32_e32 v3, 20, v28
	v_lshl_add_u32 v1, v1, 23, 0x3c000000
	v_and_b32_e32 v2, 0x80000000, v2
	s_delay_alu instid0(VALU_DEP_1)
	v_or3_b32 v2, v3, v2, v1
	v_mov_b32_e32 v1, v29
	scratch_store_b64 off, v[1:2], s32 offset:412 ; 8-byte Folded Spill
.LBB264_129:                            ;   in Loop: Header=BB264_16 Depth=1
	s_or_b32 exec_lo, exec_lo, s2
.LBB264_130:                            ;   in Loop: Header=BB264_16 Depth=1
	s_delay_alu instid0(SALU_CYCLE_1)
	s_or_b32 exec_lo, exec_lo, s24
.LBB264_131:                            ;   in Loop: Header=BB264_16 Depth=1
	s_delay_alu instid0(SALU_CYCLE_1) | instskip(SKIP_2) | instid1(VALU_DEP_2)
	s_or_b32 exec_lo, exec_lo, s23
	v_lshrrev_b32_e32 v1, 16, v0
	v_mov_b32_e32 v6, 0
	v_dual_mov_b32 v7, 0 :: v_dual_and_b32 v2, 0xff, v1
	s_clause 0x1
	scratch_store_b64 off, v[6:7], s32 offset:428
	scratch_store_b64 off, v[6:7], s32 offset:564
	v_cmp_ne_u16_e64 s1, 0, v2
	s_mov_b32 s2, exec_lo
	s_delay_alu instid0(VALU_DEP_1) | instid1(SALU_CYCLE_1)
	s_and_b32 s1, s2, s1
	scratch_store_b64 off, v[4:5], s32 offset:608 ; 8-byte Folded Spill
	s_mov_b32 exec_lo, s1
	s_cbranch_execz .LBB264_139
; %bb.132:                              ;   in Loop: Header=BB264_16 Depth=1
	v_bfrev_b32_e32 v4, 1
	v_mov_b32_e32 v5, 0
	s_mov_b32 s23, exec_lo
	v_cmpx_ne_u16_e32 0x80, v2
	s_cbranch_execz .LBB264_138
; %bb.133:                              ;   in Loop: Header=BB264_16 Depth=1
	v_mov_b32_e32 v4, 0x7f800001
	v_bfe_u32 v3, v0, 16, 7
	v_mov_b32_e32 v5, 0
	s_mov_b32 s24, exec_lo
	s_delay_alu instid0(VALU_DEP_2)
	v_cmpx_ne_u32_e32 0x7f, v3
	s_cbranch_execz .LBB264_137
; %bb.134:                              ;   in Loop: Header=BB264_16 Depth=1
	v_and_b32_e32 v28, 7, v1
	v_lshrrev_b32_e32 v2, 3, v3
	s_mov_b32 s25, exec_lo
	v_cmpx_gt_u32_e32 8, v3
; %bb.135:                              ;   in Loop: Header=BB264_16 Depth=1
	s_delay_alu instid0(VALU_DEP_3) | instskip(NEXT) | instid1(VALU_DEP_1)
	v_clz_i32_u32_e32 v2, v28
	v_min_u32_e32 v2, 32, v2
	s_delay_alu instid0(VALU_DEP_1) | instskip(SKIP_1) | instid1(VALU_DEP_2)
	v_subrev_nc_u32_e32 v3, 28, v2
	v_sub_nc_u32_e32 v2, 29, v2
	v_lshlrev_b64 v[3:4], v3, v[28:29]
	s_delay_alu instid0(VALU_DEP_1)
	v_and_b32_e32 v28, 7, v3
; %bb.136:                              ;   in Loop: Header=BB264_16 Depth=1
	s_or_b32 exec_lo, exec_lo, s25
	v_lshlrev_b32_e32 v1, 24, v1
	s_delay_alu instid0(VALU_DEP_2) | instskip(SKIP_1) | instid1(VALU_DEP_3)
	v_lshlrev_b32_e32 v3, 20, v28
	v_lshl_add_u32 v2, v2, 23, 0x3c000000
	v_and_b32_e32 v1, 0x80000000, v1
	s_delay_alu instid0(VALU_DEP_1) | instskip(NEXT) | instid1(VALU_DEP_1)
	v_or3_b32 v28, v3, v1, v2
	v_dual_mov_b32 v4, v28 :: v_dual_mov_b32 v5, v29
.LBB264_137:                            ;   in Loop: Header=BB264_16 Depth=1
	s_or_b32 exec_lo, exec_lo, s24
.LBB264_138:                            ;   in Loop: Header=BB264_16 Depth=1
	s_delay_alu instid0(SALU_CYCLE_1)
	s_or_b32 exec_lo, exec_lo, s23
	scratch_store_b64 off, v[4:5], s32 offset:564 ; 8-byte Folded Spill
.LBB264_139:                            ;   in Loop: Header=BB264_16 Depth=1
	s_or_b32 exec_lo, exec_lo, s2
	s_delay_alu instid0(SALU_CYCLE_1)
	s_mov_b32 s23, exec_lo
	v_cmpx_lt_u32_e32 0xffffff, v0
	s_cbranch_execz .LBB264_147
; %bb.140:                              ;   in Loop: Header=BB264_16 Depth=1
	v_lshrrev_b32_e32 v1, 24, v0
	v_dual_mov_b32 v2, s16 :: v_dual_mov_b32 v3, s17
	s_mov_b32 s24, exec_lo
	scratch_store_b64 off, v[2:3], s32 offset:428 ; 8-byte Folded Spill
	v_cmpx_ne_u32_e32 0x80, v1
	s_cbranch_execz .LBB264_146
; %bb.141:                              ;   in Loop: Header=BB264_16 Depth=1
	s_mov_b32 s2, s16
	v_bfe_u32 v2, v0, 24, 7
	v_dual_mov_b32 v4, s3 :: v_dual_mov_b32 v3, s2
	s_mov_b32 s2, exec_lo
	scratch_store_b64 off, v[3:4], s32 offset:428 ; 8-byte Folded Spill
	v_cmpx_ne_u32_e32 0x7f, v2
	s_cbranch_execz .LBB264_145
; %bb.142:                              ;   in Loop: Header=BB264_16 Depth=1
	v_and_b32_e32 v28, 7, v1
	v_lshrrev_b32_e32 v0, 3, v2
	s_mov_b32 s25, exec_lo
	v_cmpx_gt_u32_e32 8, v2
; %bb.143:                              ;   in Loop: Header=BB264_16 Depth=1
	s_delay_alu instid0(VALU_DEP_3) | instskip(NEXT) | instid1(VALU_DEP_1)
	v_clz_i32_u32_e32 v0, v28
	v_min_u32_e32 v0, 32, v0
	s_delay_alu instid0(VALU_DEP_1) | instskip(SKIP_1) | instid1(VALU_DEP_2)
	v_subrev_nc_u32_e32 v2, 28, v0
	v_sub_nc_u32_e32 v0, 29, v0
	v_lshlrev_b64 v[2:3], v2, v[28:29]
	s_delay_alu instid0(VALU_DEP_1)
	v_and_b32_e32 v28, 7, v2
; %bb.144:                              ;   in Loop: Header=BB264_16 Depth=1
	s_or_b32 exec_lo, exec_lo, s25
	v_lshlrev_b32_e32 v1, 24, v1
	s_delay_alu instid0(VALU_DEP_2) | instskip(SKIP_1) | instid1(VALU_DEP_3)
	v_lshlrev_b32_e32 v2, 20, v28
	v_lshl_add_u32 v0, v0, 23, 0x3c000000
	v_and_b32_e32 v1, 0x80000000, v1
	s_delay_alu instid0(VALU_DEP_1)
	v_or3_b32 v1, v2, v1, v0
	v_mov_b32_e32 v0, v29
	scratch_store_b64 off, v[0:1], s32 offset:428 ; 8-byte Folded Spill
.LBB264_145:                            ;   in Loop: Header=BB264_16 Depth=1
	s_or_b32 exec_lo, exec_lo, s2
.LBB264_146:                            ;   in Loop: Header=BB264_16 Depth=1
	s_delay_alu instid0(SALU_CYCLE_1)
	s_or_b32 exec_lo, exec_lo, s24
.LBB264_147:                            ;   in Loop: Header=BB264_16 Depth=1
	s_delay_alu instid0(SALU_CYCLE_1)
	s_or_b32 exec_lo, exec_lo, s23
	flat_load_b32 v0, v[152:153] offset:512
	v_mov_b32_e32 v4, 0
	v_mov_b32_e32 v5, 0
	s_mov_b32 s2, exec_lo
	scratch_store_b64 off, v[4:5], s32 offset:436 ; 8-byte Folded Spill
	s_waitcnt vmcnt(0) lgkmcnt(0)
	v_and_b32_e32 v1, 0xff, v0
	s_delay_alu instid0(VALU_DEP_1)
	v_cmpx_ne_u16_e32 0, v1
	s_cbranch_execz .LBB264_155
; %bb.148:                              ;   in Loop: Header=BB264_16 Depth=1
	v_cmp_ne_u16_e64 s1, 0x80, v1
	v_bfrev_b32_e32 v1, 1
	v_mov_b32_e32 v2, 0
	scratch_store_b64 off, v[1:2], s32 offset:436 ; 8-byte Folded Spill
	s_and_saveexec_b32 s23, s1
	s_cbranch_execz .LBB264_154
; %bb.149:                              ;   in Loop: Header=BB264_16 Depth=1
	v_mov_b32_e32 v6, 0x7f800001
	v_dual_mov_b32 v7, 0 :: v_dual_and_b32 v2, 0x7f, v0
	s_mov_b32 s24, exec_lo
	scratch_store_b64 off, v[6:7], s32 offset:436 ; 8-byte Folded Spill
	v_cmpx_ne_u32_e32 0x7f, v2
	s_cbranch_execz .LBB264_153
; %bb.150:                              ;   in Loop: Header=BB264_16 Depth=1
	v_and_b32_e32 v28, 7, v0
	v_lshrrev_b32_e32 v1, 3, v2
	s_mov_b32 s25, exec_lo
	v_cmpx_gt_u32_e32 8, v2
; %bb.151:                              ;   in Loop: Header=BB264_16 Depth=1
	s_delay_alu instid0(VALU_DEP_3) | instskip(NEXT) | instid1(VALU_DEP_1)
	v_clz_i32_u32_e32 v1, v28
	v_min_u32_e32 v1, 32, v1
	s_delay_alu instid0(VALU_DEP_1) | instskip(SKIP_1) | instid1(VALU_DEP_2)
	v_subrev_nc_u32_e32 v2, 28, v1
	v_sub_nc_u32_e32 v1, 29, v1
	v_lshlrev_b64 v[2:3], v2, v[28:29]
	s_delay_alu instid0(VALU_DEP_1)
	v_and_b32_e32 v28, 7, v2
; %bb.152:                              ;   in Loop: Header=BB264_16 Depth=1
	s_or_b32 exec_lo, exec_lo, s25
	v_lshlrev_b32_e32 v2, 24, v0
	s_delay_alu instid0(VALU_DEP_2) | instskip(SKIP_1) | instid1(VALU_DEP_3)
	v_lshlrev_b32_e32 v3, 20, v28
	v_lshl_add_u32 v1, v1, 23, 0x3c000000
	v_and_b32_e32 v2, 0x80000000, v2
	s_delay_alu instid0(VALU_DEP_1)
	v_or3_b32 v28, v3, v2, v1
	scratch_store_b64 off, v[28:29], s32 offset:436 ; 8-byte Folded Spill
.LBB264_153:                            ;   in Loop: Header=BB264_16 Depth=1
	s_or_b32 exec_lo, exec_lo, s24
.LBB264_154:                            ;   in Loop: Header=BB264_16 Depth=1
	s_delay_alu instid0(SALU_CYCLE_1)
	s_or_b32 exec_lo, exec_lo, s23
.LBB264_155:                            ;   in Loop: Header=BB264_16 Depth=1
	s_delay_alu instid0(SALU_CYCLE_1) | instskip(SKIP_2) | instid1(VALU_DEP_1)
	s_or_b32 exec_lo, exec_lo, s2
	v_lshrrev_b16 v1, 8, v0
	s_mov_b32 s23, exec_lo
	v_cmpx_ne_u16_e32 0, v1
	s_cbranch_execz .LBB264_163
; %bb.156:                              ;   in Loop: Header=BB264_16 Depth=1
	v_dual_mov_b32 v4, s16 :: v_dual_mov_b32 v5, s17
	s_mov_b32 s24, exec_lo
	v_cmpx_ne_u16_e32 0x80, v1
	s_cbranch_execz .LBB264_162
; %bb.157:                              ;   in Loop: Header=BB264_16 Depth=1
	s_mov_b32 s2, s16
	v_and_b32_e32 v1, 0xffff, v1
	v_dual_mov_b32 v5, s3 :: v_dual_mov_b32 v4, s2
	s_mov_b32 s2, exec_lo
	s_delay_alu instid0(VALU_DEP_2) | instskip(NEXT) | instid1(VALU_DEP_1)
	v_and_b32_e32 v2, 0x7f, v1
	v_cmpx_ne_u32_e32 0x7f, v2
	s_cbranch_execz .LBB264_161
; %bb.158:                              ;   in Loop: Header=BB264_16 Depth=1
	v_and_b32_e32 v28, 7, v1
	v_lshrrev_b32_e32 v1, 3, v2
	s_mov_b32 s25, exec_lo
	v_cmpx_gt_u32_e32 8, v2
; %bb.159:                              ;   in Loop: Header=BB264_16 Depth=1
	s_delay_alu instid0(VALU_DEP_3) | instskip(NEXT) | instid1(VALU_DEP_1)
	v_clz_i32_u32_e32 v1, v28
	v_min_u32_e32 v1, 32, v1
	s_delay_alu instid0(VALU_DEP_1) | instskip(SKIP_1) | instid1(VALU_DEP_2)
	v_subrev_nc_u32_e32 v2, 28, v1
	v_sub_nc_u32_e32 v1, 29, v1
	v_lshlrev_b64 v[2:3], v2, v[28:29]
	s_delay_alu instid0(VALU_DEP_1)
	v_and_b32_e32 v28, 7, v2
; %bb.160:                              ;   in Loop: Header=BB264_16 Depth=1
	s_or_b32 exec_lo, exec_lo, s25
	v_lshlrev_b32_e32 v2, 16, v0
	s_delay_alu instid0(VALU_DEP_2) | instskip(SKIP_1) | instid1(VALU_DEP_3)
	v_dual_mov_b32 v4, v29 :: v_dual_lshlrev_b32 v3, 20, v28
	v_lshl_add_u32 v1, v1, 23, 0x3c000000
	v_and_b32_e32 v2, 0x80000000, v2
	s_delay_alu instid0(VALU_DEP_1)
	v_or3_b32 v5, v3, v2, v1
.LBB264_161:                            ;   in Loop: Header=BB264_16 Depth=1
	s_or_b32 exec_lo, exec_lo, s2
.LBB264_162:                            ;   in Loop: Header=BB264_16 Depth=1
	s_delay_alu instid0(SALU_CYCLE_1)
	s_or_b32 exec_lo, exec_lo, s24
.LBB264_163:                            ;   in Loop: Header=BB264_16 Depth=1
	s_delay_alu instid0(SALU_CYCLE_1)
	s_or_b32 exec_lo, exec_lo, s23
	scratch_store_b64 off, v[4:5], s32 offset:616 ; 8-byte Folded Spill
	v_mov_b32_e32 v4, 0
	v_lshrrev_b32_e32 v1, 16, v0
	v_mov_b32_e32 v5, 0
	s_mov_b32 s2, exec_lo
	s_delay_alu instid0(VALU_DEP_2) | instskip(NEXT) | instid1(VALU_DEP_2)
	v_and_b32_e32 v2, 0xff, v1
	v_dual_mov_b32 v12, v5 :: v_dual_mov_b32 v11, v4
	s_delay_alu instid0(VALU_DEP_2)
	v_cmpx_ne_u16_e32 0, v2
	s_cbranch_execz .LBB264_171
; %bb.164:                              ;   in Loop: Header=BB264_16 Depth=1
	v_bfrev_b32_e32 v11, 1
	v_mov_b32_e32 v12, 0
	s_mov_b32 s23, exec_lo
	v_cmpx_ne_u16_e32 0x80, v2
	s_cbranch_execz .LBB264_170
; %bb.165:                              ;   in Loop: Header=BB264_16 Depth=1
	v_mov_b32_e32 v11, 0x7f800001
	v_bfe_u32 v3, v0, 16, 7
	v_mov_b32_e32 v12, 0
	s_mov_b32 s24, exec_lo
	s_delay_alu instid0(VALU_DEP_2)
	v_cmpx_ne_u32_e32 0x7f, v3
	s_cbranch_execz .LBB264_169
; %bb.166:                              ;   in Loop: Header=BB264_16 Depth=1
	v_and_b32_e32 v28, 7, v1
	v_lshrrev_b32_e32 v2, 3, v3
	s_mov_b32 s25, exec_lo
	v_cmpx_gt_u32_e32 8, v3
; %bb.167:                              ;   in Loop: Header=BB264_16 Depth=1
	s_delay_alu instid0(VALU_DEP_3) | instskip(SKIP_2) | instid1(VALU_DEP_3)
	v_clz_i32_u32_e32 v2, v28
	v_mov_b32_e32 v6, v5
	v_mov_b32_e32 v5, v4
	v_min_u32_e32 v2, 32, v2
	s_delay_alu instid0(VALU_DEP_1) | instskip(SKIP_1) | instid1(VALU_DEP_2)
	v_subrev_nc_u32_e32 v3, 28, v2
	v_sub_nc_u32_e32 v2, 29, v2
	v_lshlrev_b64 v[3:4], v3, v[28:29]
	s_delay_alu instid0(VALU_DEP_1)
	v_and_b32_e32 v28, 7, v3
	v_mov_b32_e32 v4, v5
	v_mov_b32_e32 v5, v6
; %bb.168:                              ;   in Loop: Header=BB264_16 Depth=1
	s_or_b32 exec_lo, exec_lo, s25
	v_lshlrev_b32_e32 v1, 24, v1
	v_lshlrev_b32_e32 v3, 20, v28
	v_lshl_add_u32 v2, v2, 23, 0x3c000000
	s_delay_alu instid0(VALU_DEP_3) | instskip(NEXT) | instid1(VALU_DEP_1)
	v_and_b32_e32 v1, 0x80000000, v1
	v_or3_b32 v28, v3, v1, v2
	s_delay_alu instid0(VALU_DEP_1)
	v_dual_mov_b32 v11, v28 :: v_dual_mov_b32 v12, v29
.LBB264_169:                            ;   in Loop: Header=BB264_16 Depth=1
	s_or_b32 exec_lo, exec_lo, s24
.LBB264_170:                            ;   in Loop: Header=BB264_16 Depth=1
	s_delay_alu instid0(SALU_CYCLE_1)
	s_or_b32 exec_lo, exec_lo, s23
.LBB264_171:                            ;   in Loop: Header=BB264_16 Depth=1
	s_delay_alu instid0(SALU_CYCLE_1) | instskip(NEXT) | instid1(SALU_CYCLE_1)
	s_or_b32 exec_lo, exec_lo, s2
	s_mov_b32 s23, exec_lo
	v_cmpx_lt_u32_e32 0xffffff, v0
	s_cbranch_execz .LBB264_179
; %bb.172:                              ;   in Loop: Header=BB264_16 Depth=1
	v_lshrrev_b32_e32 v1, 24, v0
	v_dual_mov_b32 v4, s16 :: v_dual_mov_b32 v5, s17
	s_mov_b32 s24, exec_lo
	s_delay_alu instid0(VALU_DEP_2)
	v_cmpx_ne_u32_e32 0x80, v1
	s_cbranch_execz .LBB264_178
; %bb.173:                              ;   in Loop: Header=BB264_16 Depth=1
	s_mov_b32 s2, s16
	v_bfe_u32 v2, v0, 24, 7
	v_dual_mov_b32 v5, s3 :: v_dual_mov_b32 v4, s2
	s_mov_b32 s2, exec_lo
	s_delay_alu instid0(VALU_DEP_2)
	v_cmpx_ne_u32_e32 0x7f, v2
	s_cbranch_execz .LBB264_177
; %bb.174:                              ;   in Loop: Header=BB264_16 Depth=1
	v_and_b32_e32 v28, 7, v1
	v_lshrrev_b32_e32 v0, 3, v2
	s_mov_b32 s25, exec_lo
	v_cmpx_gt_u32_e32 8, v2
; %bb.175:                              ;   in Loop: Header=BB264_16 Depth=1
	s_delay_alu instid0(VALU_DEP_3) | instskip(NEXT) | instid1(VALU_DEP_1)
	v_clz_i32_u32_e32 v0, v28
	v_min_u32_e32 v0, 32, v0
	s_delay_alu instid0(VALU_DEP_1) | instskip(SKIP_1) | instid1(VALU_DEP_2)
	v_subrev_nc_u32_e32 v2, 28, v0
	v_sub_nc_u32_e32 v0, 29, v0
	v_lshlrev_b64 v[2:3], v2, v[28:29]
	s_delay_alu instid0(VALU_DEP_1)
	v_and_b32_e32 v28, 7, v2
; %bb.176:                              ;   in Loop: Header=BB264_16 Depth=1
	s_or_b32 exec_lo, exec_lo, s25
	v_dual_mov_b32 v4, v29 :: v_dual_lshlrev_b32 v1, 24, v1
	s_delay_alu instid0(VALU_DEP_2) | instskip(SKIP_1) | instid1(VALU_DEP_3)
	v_lshlrev_b32_e32 v2, 20, v28
	v_lshl_add_u32 v0, v0, 23, 0x3c000000
	v_and_b32_e32 v1, 0x80000000, v1
	s_delay_alu instid0(VALU_DEP_1)
	v_or3_b32 v5, v2, v1, v0
.LBB264_177:                            ;   in Loop: Header=BB264_16 Depth=1
	s_or_b32 exec_lo, exec_lo, s2
.LBB264_178:                            ;   in Loop: Header=BB264_16 Depth=1
	s_delay_alu instid0(SALU_CYCLE_1)
	s_or_b32 exec_lo, exec_lo, s24
.LBB264_179:                            ;   in Loop: Header=BB264_16 Depth=1
	s_delay_alu instid0(SALU_CYCLE_1)
	s_or_b32 exec_lo, exec_lo, s23
	flat_load_b32 v0, v[152:153] offset:516
	v_mov_b32_e32 v86, 0
	v_mov_b32_e32 v87, 0
	s_mov_b32 s2, exec_lo
	scratch_store_b64 off, v[86:87], s32 offset:444 ; 8-byte Folded Spill
	s_waitcnt vmcnt(0) lgkmcnt(0)
	v_and_b32_e32 v1, 0xff, v0
	s_delay_alu instid0(VALU_DEP_1)
	v_cmpx_ne_u16_e32 0, v1
	s_cbranch_execz .LBB264_187
; %bb.180:                              ;   in Loop: Header=BB264_16 Depth=1
	v_cmp_ne_u16_e64 s1, 0x80, v1
	v_bfrev_b32_e32 v1, 1
	v_mov_b32_e32 v2, 0
	scratch_store_b64 off, v[1:2], s32 offset:444 ; 8-byte Folded Spill
	s_and_saveexec_b32 s23, s1
	s_cbranch_execz .LBB264_186
; %bb.181:                              ;   in Loop: Header=BB264_16 Depth=1
	v_mov_b32_e32 v6, 0x7f800001
	v_dual_mov_b32 v7, 0 :: v_dual_and_b32 v2, 0x7f, v0
	s_mov_b32 s24, exec_lo
	scratch_store_b64 off, v[6:7], s32 offset:444 ; 8-byte Folded Spill
	v_cmpx_ne_u32_e32 0x7f, v2
	s_cbranch_execz .LBB264_185
; %bb.182:                              ;   in Loop: Header=BB264_16 Depth=1
	v_and_b32_e32 v28, 7, v0
	v_lshrrev_b32_e32 v1, 3, v2
	s_mov_b32 s25, exec_lo
	v_cmpx_gt_u32_e32 8, v2
; %bb.183:                              ;   in Loop: Header=BB264_16 Depth=1
	s_delay_alu instid0(VALU_DEP_3) | instskip(NEXT) | instid1(VALU_DEP_1)
	v_clz_i32_u32_e32 v1, v28
	v_min_u32_e32 v1, 32, v1
	s_delay_alu instid0(VALU_DEP_1) | instskip(SKIP_1) | instid1(VALU_DEP_2)
	v_subrev_nc_u32_e32 v2, 28, v1
	v_sub_nc_u32_e32 v1, 29, v1
	v_lshlrev_b64 v[2:3], v2, v[28:29]
	s_delay_alu instid0(VALU_DEP_1)
	v_and_b32_e32 v28, 7, v2
; %bb.184:                              ;   in Loop: Header=BB264_16 Depth=1
	s_or_b32 exec_lo, exec_lo, s25
	v_lshlrev_b32_e32 v2, 24, v0
	s_delay_alu instid0(VALU_DEP_2) | instskip(SKIP_1) | instid1(VALU_DEP_3)
	v_lshlrev_b32_e32 v3, 20, v28
	v_lshl_add_u32 v1, v1, 23, 0x3c000000
	v_and_b32_e32 v2, 0x80000000, v2
	s_delay_alu instid0(VALU_DEP_1)
	v_or3_b32 v28, v3, v2, v1
	scratch_store_b64 off, v[28:29], s32 offset:444 ; 8-byte Folded Spill
.LBB264_185:                            ;   in Loop: Header=BB264_16 Depth=1
	s_or_b32 exec_lo, exec_lo, s24
.LBB264_186:                            ;   in Loop: Header=BB264_16 Depth=1
	s_delay_alu instid0(SALU_CYCLE_1)
	s_or_b32 exec_lo, exec_lo, s23
.LBB264_187:                            ;   in Loop: Header=BB264_16 Depth=1
	s_delay_alu instid0(SALU_CYCLE_1) | instskip(SKIP_2) | instid1(VALU_DEP_1)
	s_or_b32 exec_lo, exec_lo, s2
	v_lshrrev_b16 v1, 8, v0
	s_mov_b32 s23, exec_lo
	v_cmpx_ne_u16_e32 0, v1
	s_cbranch_execz .LBB264_195
; %bb.188:                              ;   in Loop: Header=BB264_16 Depth=1
	v_dual_mov_b32 v87, s17 :: v_dual_mov_b32 v86, s16
	s_mov_b32 s24, exec_lo
	v_cmpx_ne_u16_e32 0x80, v1
	s_cbranch_execz .LBB264_194
; %bb.189:                              ;   in Loop: Header=BB264_16 Depth=1
	s_mov_b32 s2, s16
	v_and_b32_e32 v1, 0xffff, v1
	v_dual_mov_b32 v87, s3 :: v_dual_mov_b32 v86, s2
	s_mov_b32 s2, exec_lo
	s_delay_alu instid0(VALU_DEP_2) | instskip(NEXT) | instid1(VALU_DEP_1)
	v_and_b32_e32 v2, 0x7f, v1
	v_cmpx_ne_u32_e32 0x7f, v2
	s_cbranch_execz .LBB264_193
; %bb.190:                              ;   in Loop: Header=BB264_16 Depth=1
	v_and_b32_e32 v28, 7, v1
	v_lshrrev_b32_e32 v1, 3, v2
	s_mov_b32 s25, exec_lo
	v_cmpx_gt_u32_e32 8, v2
; %bb.191:                              ;   in Loop: Header=BB264_16 Depth=1
	s_delay_alu instid0(VALU_DEP_3) | instskip(NEXT) | instid1(VALU_DEP_1)
	v_clz_i32_u32_e32 v1, v28
	v_min_u32_e32 v1, 32, v1
	s_delay_alu instid0(VALU_DEP_1) | instskip(SKIP_1) | instid1(VALU_DEP_2)
	v_subrev_nc_u32_e32 v2, 28, v1
	v_sub_nc_u32_e32 v1, 29, v1
	v_lshlrev_b64 v[2:3], v2, v[28:29]
	s_delay_alu instid0(VALU_DEP_1)
	v_and_b32_e32 v28, 7, v2
; %bb.192:                              ;   in Loop: Header=BB264_16 Depth=1
	s_or_b32 exec_lo, exec_lo, s25
	v_lshlrev_b32_e32 v2, 16, v0
	s_delay_alu instid0(VALU_DEP_2) | instskip(SKIP_1) | instid1(VALU_DEP_3)
	v_dual_mov_b32 v86, v29 :: v_dual_lshlrev_b32 v3, 20, v28
	v_lshl_add_u32 v1, v1, 23, 0x3c000000
	v_and_b32_e32 v2, 0x80000000, v2
	s_delay_alu instid0(VALU_DEP_1)
	v_or3_b32 v87, v3, v2, v1
.LBB264_193:                            ;   in Loop: Header=BB264_16 Depth=1
	s_or_b32 exec_lo, exec_lo, s2
.LBB264_194:                            ;   in Loop: Header=BB264_16 Depth=1
	s_delay_alu instid0(SALU_CYCLE_1)
	s_or_b32 exec_lo, exec_lo, s24
.LBB264_195:                            ;   in Loop: Header=BB264_16 Depth=1
	s_delay_alu instid0(SALU_CYCLE_1) | instskip(SKIP_4) | instid1(VALU_DEP_3)
	s_or_b32 exec_lo, exec_lo, s23
	v_lshrrev_b32_e32 v1, 16, v0
	v_mov_b32_e32 v6, 0
	v_mov_b32_e32 v7, 0
	s_mov_b32 s2, exec_lo
	v_and_b32_e32 v2, 0xff, v1
	s_clause 0x1
	scratch_store_b64 off, v[6:7], s32 offset:452
	scratch_store_b64 off, v[6:7], s32 offset:460
	v_cmpx_ne_u16_e32 0, v2
	s_cbranch_execz .LBB264_203
; %bb.196:                              ;   in Loop: Header=BB264_16 Depth=1
	v_cmp_ne_u16_e64 s1, 0x80, v2
	v_bfrev_b32_e32 v2, 1
	v_mov_b32_e32 v3, 0
	scratch_store_b64 off, v[2:3], s32 offset:460 ; 8-byte Folded Spill
	s_and_saveexec_b32 s23, s1
	s_cbranch_execz .LBB264_202
; %bb.197:                              ;   in Loop: Header=BB264_16 Depth=1
	v_mov_b32_e32 v6, 0x7f800001
	v_bfe_u32 v3, v0, 16, 7
	v_mov_b32_e32 v7, 0
	s_mov_b32 s24, exec_lo
	scratch_store_b64 off, v[6:7], s32 offset:460 ; 8-byte Folded Spill
	v_cmpx_ne_u32_e32 0x7f, v3
	s_cbranch_execz .LBB264_201
; %bb.198:                              ;   in Loop: Header=BB264_16 Depth=1
	v_and_b32_e32 v28, 7, v1
	v_lshrrev_b32_e32 v2, 3, v3
	s_mov_b32 s25, exec_lo
	v_cmpx_gt_u32_e32 8, v3
; %bb.199:                              ;   in Loop: Header=BB264_16 Depth=1
	s_delay_alu instid0(VALU_DEP_3) | instskip(NEXT) | instid1(VALU_DEP_1)
	v_clz_i32_u32_e32 v2, v28
	v_min_u32_e32 v2, 32, v2
	s_delay_alu instid0(VALU_DEP_1) | instskip(SKIP_1) | instid1(VALU_DEP_2)
	v_subrev_nc_u32_e32 v3, 28, v2
	v_sub_nc_u32_e32 v2, 29, v2
	v_lshlrev_b64 v[6:7], v3, v[28:29]
	s_delay_alu instid0(VALU_DEP_1)
	v_and_b32_e32 v28, 7, v6
; %bb.200:                              ;   in Loop: Header=BB264_16 Depth=1
	s_or_b32 exec_lo, exec_lo, s25
	v_lshlrev_b32_e32 v1, 24, v1
	s_delay_alu instid0(VALU_DEP_2) | instskip(SKIP_1) | instid1(VALU_DEP_3)
	v_lshlrev_b32_e32 v3, 20, v28
	v_lshl_add_u32 v2, v2, 23, 0x3c000000
	v_and_b32_e32 v1, 0x80000000, v1
	s_delay_alu instid0(VALU_DEP_1)
	v_or3_b32 v28, v3, v1, v2
	scratch_store_b64 off, v[28:29], s32 offset:460 ; 8-byte Folded Spill
.LBB264_201:                            ;   in Loop: Header=BB264_16 Depth=1
	s_or_b32 exec_lo, exec_lo, s24
.LBB264_202:                            ;   in Loop: Header=BB264_16 Depth=1
	s_delay_alu instid0(SALU_CYCLE_1)
	s_or_b32 exec_lo, exec_lo, s23
.LBB264_203:                            ;   in Loop: Header=BB264_16 Depth=1
	s_delay_alu instid0(SALU_CYCLE_1) | instskip(NEXT) | instid1(SALU_CYCLE_1)
	s_or_b32 exec_lo, exec_lo, s2
	s_mov_b32 s23, exec_lo
	v_cmpx_lt_u32_e32 0xffffff, v0
	s_cbranch_execz .LBB264_211
; %bb.204:                              ;   in Loop: Header=BB264_16 Depth=1
	v_lshrrev_b32_e32 v1, 24, v0
	v_dual_mov_b32 v2, s16 :: v_dual_mov_b32 v3, s17
	s_mov_b32 s24, exec_lo
	scratch_store_b64 off, v[2:3], s32 offset:452 ; 8-byte Folded Spill
	v_cmpx_ne_u32_e32 0x80, v1
	s_cbranch_execz .LBB264_210
; %bb.205:                              ;   in Loop: Header=BB264_16 Depth=1
	s_mov_b32 s2, s16
	v_bfe_u32 v2, v0, 24, 7
	v_dual_mov_b32 v7, s3 :: v_dual_mov_b32 v6, s2
	s_mov_b32 s2, exec_lo
	scratch_store_b64 off, v[6:7], s32 offset:452 ; 8-byte Folded Spill
	v_cmpx_ne_u32_e32 0x7f, v2
	s_cbranch_execz .LBB264_209
; %bb.206:                              ;   in Loop: Header=BB264_16 Depth=1
	v_and_b32_e32 v28, 7, v1
	v_lshrrev_b32_e32 v0, 3, v2
	s_mov_b32 s25, exec_lo
	v_cmpx_gt_u32_e32 8, v2
; %bb.207:                              ;   in Loop: Header=BB264_16 Depth=1
	s_delay_alu instid0(VALU_DEP_3) | instskip(NEXT) | instid1(VALU_DEP_1)
	v_clz_i32_u32_e32 v0, v28
	v_min_u32_e32 v0, 32, v0
	s_delay_alu instid0(VALU_DEP_1) | instskip(SKIP_1) | instid1(VALU_DEP_2)
	v_subrev_nc_u32_e32 v2, 28, v0
	v_sub_nc_u32_e32 v0, 29, v0
	v_lshlrev_b64 v[2:3], v2, v[28:29]
	s_delay_alu instid0(VALU_DEP_1)
	v_and_b32_e32 v28, 7, v2
; %bb.208:                              ;   in Loop: Header=BB264_16 Depth=1
	s_or_b32 exec_lo, exec_lo, s25
	v_lshlrev_b32_e32 v1, 24, v1
	s_delay_alu instid0(VALU_DEP_2) | instskip(SKIP_1) | instid1(VALU_DEP_3)
	v_lshlrev_b32_e32 v2, 20, v28
	v_lshl_add_u32 v0, v0, 23, 0x3c000000
	v_and_b32_e32 v1, 0x80000000, v1
	s_delay_alu instid0(VALU_DEP_1)
	v_or3_b32 v1, v2, v1, v0
	v_mov_b32_e32 v0, v29
	scratch_store_b64 off, v[0:1], s32 offset:452 ; 8-byte Folded Spill
.LBB264_209:                            ;   in Loop: Header=BB264_16 Depth=1
	s_or_b32 exec_lo, exec_lo, s2
.LBB264_210:                            ;   in Loop: Header=BB264_16 Depth=1
	s_delay_alu instid0(SALU_CYCLE_1)
	s_or_b32 exec_lo, exec_lo, s24
.LBB264_211:                            ;   in Loop: Header=BB264_16 Depth=1
	s_delay_alu instid0(SALU_CYCLE_1) | instskip(SKIP_4) | instid1(VALU_DEP_1)
	s_or_b32 exec_lo, exec_lo, s23
	flat_load_b32 v2, v[152:153] offset:520
	v_mov_b32_e32 v0, 0
	v_mov_b32_e32 v1, 0
	s_mov_b32 s2, exec_lo
	v_dual_mov_b32 v99, v1 :: v_dual_mov_b32 v98, v0
	s_waitcnt vmcnt(0) lgkmcnt(0)
	v_and_b32_e32 v3, 0xff, v2
	s_delay_alu instid0(VALU_DEP_1)
	v_cmpx_ne_u16_e32 0, v3
	s_cbranch_execz .LBB264_219
; %bb.212:                              ;   in Loop: Header=BB264_16 Depth=1
	v_bfrev_b32_e32 v98, 1
	v_mov_b32_e32 v99, 0
	s_mov_b32 s23, exec_lo
	v_cmpx_ne_u16_e32 0x80, v3
	s_cbranch_execz .LBB264_218
; %bb.213:                              ;   in Loop: Header=BB264_16 Depth=1
	v_mov_b32_e32 v98, 0x7f800001
	v_dual_mov_b32 v99, 0 :: v_dual_and_b32 v6, 0x7f, v2
	s_mov_b32 s24, exec_lo
	s_delay_alu instid0(VALU_DEP_1)
	v_cmpx_ne_u32_e32 0x7f, v6
	s_cbranch_execz .LBB264_217
; %bb.214:                              ;   in Loop: Header=BB264_16 Depth=1
	v_and_b32_e32 v28, 7, v2
	v_lshrrev_b32_e32 v3, 3, v6
	s_mov_b32 s25, exec_lo
	v_cmpx_gt_u32_e32 8, v6
; %bb.215:                              ;   in Loop: Header=BB264_16 Depth=1
	s_delay_alu instid0(VALU_DEP_3) | instskip(NEXT) | instid1(VALU_DEP_1)
	v_clz_i32_u32_e32 v3, v28
	v_min_u32_e32 v3, 32, v3
	s_delay_alu instid0(VALU_DEP_1) | instskip(SKIP_1) | instid1(VALU_DEP_2)
	v_subrev_nc_u32_e32 v6, 28, v3
	v_sub_nc_u32_e32 v3, 29, v3
	v_lshlrev_b64 v[6:7], v6, v[28:29]
	s_delay_alu instid0(VALU_DEP_1)
	v_and_b32_e32 v28, 7, v6
; %bb.216:                              ;   in Loop: Header=BB264_16 Depth=1
	s_or_b32 exec_lo, exec_lo, s25
	v_lshlrev_b32_e32 v6, 24, v2
	s_delay_alu instid0(VALU_DEP_2) | instskip(SKIP_1) | instid1(VALU_DEP_3)
	v_lshlrev_b32_e32 v7, 20, v28
	v_lshl_add_u32 v3, v3, 23, 0x3c000000
	v_and_b32_e32 v6, 0x80000000, v6
	s_delay_alu instid0(VALU_DEP_1) | instskip(NEXT) | instid1(VALU_DEP_1)
	v_or3_b32 v28, v7, v6, v3
	v_dual_mov_b32 v99, v29 :: v_dual_mov_b32 v98, v28
.LBB264_217:                            ;   in Loop: Header=BB264_16 Depth=1
	s_or_b32 exec_lo, exec_lo, s24
.LBB264_218:                            ;   in Loop: Header=BB264_16 Depth=1
	s_delay_alu instid0(SALU_CYCLE_1)
	s_or_b32 exec_lo, exec_lo, s23
.LBB264_219:                            ;   in Loop: Header=BB264_16 Depth=1
	s_delay_alu instid0(SALU_CYCLE_1) | instskip(SKIP_2) | instid1(VALU_DEP_1)
	s_or_b32 exec_lo, exec_lo, s2
	v_lshrrev_b16 v3, 8, v2
	s_mov_b32 s23, exec_lo
	v_cmpx_ne_u16_e32 0, v3
	s_cbranch_execz .LBB264_227
; %bb.220:                              ;   in Loop: Header=BB264_16 Depth=1
	v_dual_mov_b32 v0, s16 :: v_dual_mov_b32 v1, s17
	s_mov_b32 s24, exec_lo
	v_cmpx_ne_u16_e32 0x80, v3
	s_cbranch_execz .LBB264_226
; %bb.221:                              ;   in Loop: Header=BB264_16 Depth=1
	s_mov_b32 s2, s16
	v_and_b32_e32 v6, 0xffff, v3
	v_dual_mov_b32 v0, s2 :: v_dual_mov_b32 v1, s3
	s_mov_b32 s2, exec_lo
	s_delay_alu instid0(VALU_DEP_2) | instskip(NEXT) | instid1(VALU_DEP_1)
	v_and_b32_e32 v3, 0x7f, v6
	v_cmpx_ne_u32_e32 0x7f, v3
	s_cbranch_execz .LBB264_225
; %bb.222:                              ;   in Loop: Header=BB264_16 Depth=1
	v_and_b32_e32 v28, 7, v6
	v_lshrrev_b32_e32 v0, 3, v3
	s_mov_b32 s25, exec_lo
	v_cmpx_gt_u32_e32 8, v3
; %bb.223:                              ;   in Loop: Header=BB264_16 Depth=1
	s_delay_alu instid0(VALU_DEP_3) | instskip(NEXT) | instid1(VALU_DEP_1)
	v_clz_i32_u32_e32 v0, v28
	v_min_u32_e32 v0, 32, v0
	s_delay_alu instid0(VALU_DEP_1) | instskip(SKIP_1) | instid1(VALU_DEP_2)
	v_subrev_nc_u32_e32 v1, 28, v0
	v_sub_nc_u32_e32 v0, 29, v0
	v_lshlrev_b64 v[6:7], v1, v[28:29]
	s_delay_alu instid0(VALU_DEP_1)
	v_and_b32_e32 v28, 7, v6
; %bb.224:                              ;   in Loop: Header=BB264_16 Depth=1
	s_or_b32 exec_lo, exec_lo, s25
	v_lshlrev_b32_e32 v1, 16, v2
	s_delay_alu instid0(VALU_DEP_2) | instskip(SKIP_1) | instid1(VALU_DEP_3)
	v_lshlrev_b32_e32 v3, 20, v28
	v_lshl_add_u32 v0, v0, 23, 0x3c000000
	v_and_b32_e32 v1, 0x80000000, v1
	s_delay_alu instid0(VALU_DEP_1)
	v_or3_b32 v1, v3, v1, v0
	v_mov_b32_e32 v0, v29
.LBB264_225:                            ;   in Loop: Header=BB264_16 Depth=1
	s_or_b32 exec_lo, exec_lo, s2
.LBB264_226:                            ;   in Loop: Header=BB264_16 Depth=1
	s_delay_alu instid0(SALU_CYCLE_1)
	s_or_b32 exec_lo, exec_lo, s24
.LBB264_227:                            ;   in Loop: Header=BB264_16 Depth=1
	s_delay_alu instid0(SALU_CYCLE_1) | instskip(SKIP_4) | instid1(VALU_DEP_1)
	s_or_b32 exec_lo, exec_lo, s23
	v_mov_b32_e32 v14, 0
	v_lshrrev_b32_e32 v3, 16, v2
	v_mov_b32_e32 v15, 0
	s_mov_b32 s2, exec_lo
	v_dual_mov_b32 v103, v15 :: v_dual_and_b32 v6, 0xff, v3
	v_mov_b32_e32 v102, v14
	s_delay_alu instid0(VALU_DEP_2)
	v_cmpx_ne_u16_e32 0, v6
	s_cbranch_execz .LBB264_235
; %bb.228:                              ;   in Loop: Header=BB264_16 Depth=1
	v_bfrev_b32_e32 v102, 1
	v_mov_b32_e32 v103, 0
	s_mov_b32 s23, exec_lo
	v_cmpx_ne_u16_e32 0x80, v6
	s_cbranch_execz .LBB264_234
; %bb.229:                              ;   in Loop: Header=BB264_16 Depth=1
	v_mov_b32_e32 v102, 0x7f800001
	v_bfe_u32 v7, v2, 16, 7
	v_mov_b32_e32 v103, 0
	s_mov_b32 s24, exec_lo
	s_delay_alu instid0(VALU_DEP_2)
	v_cmpx_ne_u32_e32 0x7f, v7
	s_cbranch_execz .LBB264_233
; %bb.230:                              ;   in Loop: Header=BB264_16 Depth=1
	v_and_b32_e32 v28, 7, v3
	v_lshrrev_b32_e32 v6, 3, v7
	s_mov_b32 s25, exec_lo
	v_cmpx_gt_u32_e32 8, v7
; %bb.231:                              ;   in Loop: Header=BB264_16 Depth=1
	s_delay_alu instid0(VALU_DEP_3) | instskip(NEXT) | instid1(VALU_DEP_1)
	v_clz_i32_u32_e32 v6, v28
	v_min_u32_e32 v6, 32, v6
	s_delay_alu instid0(VALU_DEP_1) | instskip(SKIP_1) | instid1(VALU_DEP_2)
	v_subrev_nc_u32_e32 v7, 28, v6
	v_sub_nc_u32_e32 v6, 29, v6
	v_lshlrev_b64 v[7:8], v7, v[28:29]
	s_delay_alu instid0(VALU_DEP_1)
	v_and_b32_e32 v28, 7, v7
; %bb.232:                              ;   in Loop: Header=BB264_16 Depth=1
	s_or_b32 exec_lo, exec_lo, s25
	v_lshlrev_b32_e32 v3, 24, v3
	s_delay_alu instid0(VALU_DEP_2) | instskip(SKIP_1) | instid1(VALU_DEP_3)
	v_lshlrev_b32_e32 v7, 20, v28
	v_lshl_add_u32 v6, v6, 23, 0x3c000000
	v_and_b32_e32 v3, 0x80000000, v3
	s_delay_alu instid0(VALU_DEP_1) | instskip(NEXT) | instid1(VALU_DEP_1)
	v_or3_b32 v28, v7, v3, v6
	v_dual_mov_b32 v103, v29 :: v_dual_mov_b32 v102, v28
.LBB264_233:                            ;   in Loop: Header=BB264_16 Depth=1
	s_or_b32 exec_lo, exec_lo, s24
.LBB264_234:                            ;   in Loop: Header=BB264_16 Depth=1
	s_delay_alu instid0(SALU_CYCLE_1)
	s_or_b32 exec_lo, exec_lo, s23
.LBB264_235:                            ;   in Loop: Header=BB264_16 Depth=1
	s_delay_alu instid0(SALU_CYCLE_1) | instskip(NEXT) | instid1(SALU_CYCLE_1)
	s_or_b32 exec_lo, exec_lo, s2
	s_mov_b32 s23, exec_lo
	v_cmpx_lt_u32_e32 0xffffff, v2
	s_cbranch_execz .LBB264_243
; %bb.236:                              ;   in Loop: Header=BB264_16 Depth=1
	v_lshrrev_b32_e32 v3, 24, v2
	v_dual_mov_b32 v14, s16 :: v_dual_mov_b32 v15, s17
	s_mov_b32 s24, exec_lo
	s_delay_alu instid0(VALU_DEP_2)
	v_cmpx_ne_u32_e32 0x80, v3
	s_cbranch_execz .LBB264_242
; %bb.237:                              ;   in Loop: Header=BB264_16 Depth=1
	s_mov_b32 s2, s16
	v_bfe_u32 v6, v2, 24, 7
	v_dual_mov_b32 v15, s3 :: v_dual_mov_b32 v14, s2
	s_mov_b32 s2, exec_lo
	s_delay_alu instid0(VALU_DEP_2)
	v_cmpx_ne_u32_e32 0x7f, v6
	s_cbranch_execz .LBB264_241
; %bb.238:                              ;   in Loop: Header=BB264_16 Depth=1
	v_and_b32_e32 v28, 7, v3
	v_lshrrev_b32_e32 v2, 3, v6
	s_mov_b32 s25, exec_lo
	v_cmpx_gt_u32_e32 8, v6
; %bb.239:                              ;   in Loop: Header=BB264_16 Depth=1
	s_delay_alu instid0(VALU_DEP_3) | instskip(NEXT) | instid1(VALU_DEP_1)
	v_clz_i32_u32_e32 v2, v28
	v_min_u32_e32 v2, 32, v2
	s_delay_alu instid0(VALU_DEP_1) | instskip(SKIP_1) | instid1(VALU_DEP_2)
	v_subrev_nc_u32_e32 v6, 28, v2
	v_sub_nc_u32_e32 v2, 29, v2
	v_lshlrev_b64 v[6:7], v6, v[28:29]
	s_delay_alu instid0(VALU_DEP_1)
	v_and_b32_e32 v28, 7, v6
; %bb.240:                              ;   in Loop: Header=BB264_16 Depth=1
	s_or_b32 exec_lo, exec_lo, s25
	v_dual_mov_b32 v14, v29 :: v_dual_lshlrev_b32 v3, 24, v3
	s_delay_alu instid0(VALU_DEP_2) | instskip(SKIP_1) | instid1(VALU_DEP_3)
	v_lshlrev_b32_e32 v6, 20, v28
	v_lshl_add_u32 v2, v2, 23, 0x3c000000
	v_and_b32_e32 v3, 0x80000000, v3
	s_delay_alu instid0(VALU_DEP_1)
	v_or3_b32 v15, v6, v3, v2
.LBB264_241:                            ;   in Loop: Header=BB264_16 Depth=1
	s_or_b32 exec_lo, exec_lo, s2
.LBB264_242:                            ;   in Loop: Header=BB264_16 Depth=1
	s_delay_alu instid0(SALU_CYCLE_1)
	s_or_b32 exec_lo, exec_lo, s24
.LBB264_243:                            ;   in Loop: Header=BB264_16 Depth=1
	s_delay_alu instid0(SALU_CYCLE_1) | instskip(SKIP_4) | instid1(VALU_DEP_1)
	s_or_b32 exec_lo, exec_lo, s23
	flat_load_b32 v2, v[152:153] offset:524
	v_mov_b32_e32 v6, 0
	v_mov_b32_e32 v7, 0
	s_mov_b32 s2, exec_lo
	v_dual_mov_b32 v17, v7 :: v_dual_mov_b32 v16, v6
	s_waitcnt vmcnt(0) lgkmcnt(0)
	v_and_b32_e32 v3, 0xff, v2
	s_delay_alu instid0(VALU_DEP_1)
	v_cmpx_ne_u16_e32 0, v3
	s_cbranch_execz .LBB264_251
; %bb.244:                              ;   in Loop: Header=BB264_16 Depth=1
	v_bfrev_b32_e32 v16, 1
	v_mov_b32_e32 v17, 0
	s_mov_b32 s23, exec_lo
	v_cmpx_ne_u16_e32 0x80, v3
	s_cbranch_execz .LBB264_250
; %bb.245:                              ;   in Loop: Header=BB264_16 Depth=1
	v_mov_b32_e32 v16, 0x7f800001
	v_dual_mov_b32 v17, 0 :: v_dual_and_b32 v8, 0x7f, v2
	s_mov_b32 s24, exec_lo
	s_delay_alu instid0(VALU_DEP_1)
	v_cmpx_ne_u32_e32 0x7f, v8
	s_cbranch_execz .LBB264_249
; %bb.246:                              ;   in Loop: Header=BB264_16 Depth=1
	v_and_b32_e32 v28, 7, v2
	v_lshrrev_b32_e32 v3, 3, v8
	s_mov_b32 s25, exec_lo
	v_cmpx_gt_u32_e32 8, v8
; %bb.247:                              ;   in Loop: Header=BB264_16 Depth=1
	s_delay_alu instid0(VALU_DEP_3) | instskip(NEXT) | instid1(VALU_DEP_1)
	v_clz_i32_u32_e32 v3, v28
	v_min_u32_e32 v3, 32, v3
	s_delay_alu instid0(VALU_DEP_1) | instskip(SKIP_1) | instid1(VALU_DEP_2)
	v_subrev_nc_u32_e32 v8, 28, v3
	v_sub_nc_u32_e32 v3, 29, v3
	v_lshlrev_b64 v[8:9], v8, v[28:29]
	s_delay_alu instid0(VALU_DEP_1)
	v_and_b32_e32 v28, 7, v8
; %bb.248:                              ;   in Loop: Header=BB264_16 Depth=1
	s_or_b32 exec_lo, exec_lo, s25
	v_lshlrev_b32_e32 v8, 24, v2
	s_delay_alu instid0(VALU_DEP_2) | instskip(SKIP_1) | instid1(VALU_DEP_3)
	v_lshlrev_b32_e32 v9, 20, v28
	v_lshl_add_u32 v3, v3, 23, 0x3c000000
	v_and_b32_e32 v8, 0x80000000, v8
	s_delay_alu instid0(VALU_DEP_1) | instskip(NEXT) | instid1(VALU_DEP_1)
	v_or3_b32 v28, v9, v8, v3
	v_dual_mov_b32 v16, v28 :: v_dual_mov_b32 v17, v29
.LBB264_249:                            ;   in Loop: Header=BB264_16 Depth=1
	s_or_b32 exec_lo, exec_lo, s24
.LBB264_250:                            ;   in Loop: Header=BB264_16 Depth=1
	s_delay_alu instid0(SALU_CYCLE_1)
	s_or_b32 exec_lo, exec_lo, s23
.LBB264_251:                            ;   in Loop: Header=BB264_16 Depth=1
	s_delay_alu instid0(SALU_CYCLE_1) | instskip(SKIP_2) | instid1(VALU_DEP_1)
	s_or_b32 exec_lo, exec_lo, s2
	v_lshrrev_b16 v3, 8, v2
	s_mov_b32 s23, exec_lo
	v_cmpx_ne_u16_e32 0, v3
	s_cbranch_execz .LBB264_259
; %bb.252:                              ;   in Loop: Header=BB264_16 Depth=1
	v_dual_mov_b32 v6, s16 :: v_dual_mov_b32 v7, s17
	s_mov_b32 s24, exec_lo
	v_cmpx_ne_u16_e32 0x80, v3
	s_cbranch_execz .LBB264_258
; %bb.253:                              ;   in Loop: Header=BB264_16 Depth=1
	s_mov_b32 s2, s16
	v_and_b32_e32 v3, 0xffff, v3
	v_dual_mov_b32 v7, s3 :: v_dual_mov_b32 v6, s2
	s_mov_b32 s2, exec_lo
	s_delay_alu instid0(VALU_DEP_2) | instskip(NEXT) | instid1(VALU_DEP_1)
	v_and_b32_e32 v8, 0x7f, v3
	v_cmpx_ne_u32_e32 0x7f, v8
	s_cbranch_execz .LBB264_257
; %bb.254:                              ;   in Loop: Header=BB264_16 Depth=1
	v_and_b32_e32 v28, 7, v3
	v_lshrrev_b32_e32 v3, 3, v8
	s_mov_b32 s25, exec_lo
	v_cmpx_gt_u32_e32 8, v8
; %bb.255:                              ;   in Loop: Header=BB264_16 Depth=1
	s_delay_alu instid0(VALU_DEP_3) | instskip(NEXT) | instid1(VALU_DEP_1)
	v_clz_i32_u32_e32 v3, v28
	v_min_u32_e32 v3, 32, v3
	s_delay_alu instid0(VALU_DEP_1) | instskip(SKIP_1) | instid1(VALU_DEP_2)
	v_subrev_nc_u32_e32 v6, 28, v3
	v_sub_nc_u32_e32 v3, 29, v3
	v_lshlrev_b64 v[6:7], v6, v[28:29]
	s_delay_alu instid0(VALU_DEP_1)
	v_and_b32_e32 v28, 7, v6
; %bb.256:                              ;   in Loop: Header=BB264_16 Depth=1
	s_or_b32 exec_lo, exec_lo, s25
	v_lshlrev_b32_e32 v6, 16, v2
	s_delay_alu instid0(VALU_DEP_2) | instskip(SKIP_1) | instid1(VALU_DEP_3)
	v_lshlrev_b32_e32 v7, 20, v28
	v_lshl_add_u32 v3, v3, 23, 0x3c000000
	v_and_b32_e32 v6, 0x80000000, v6
	s_delay_alu instid0(VALU_DEP_1)
	v_or3_b32 v7, v7, v6, v3
	v_mov_b32_e32 v6, v29
.LBB264_257:                            ;   in Loop: Header=BB264_16 Depth=1
	s_or_b32 exec_lo, exec_lo, s2
.LBB264_258:                            ;   in Loop: Header=BB264_16 Depth=1
	s_delay_alu instid0(SALU_CYCLE_1)
	s_or_b32 exec_lo, exec_lo, s24
.LBB264_259:                            ;   in Loop: Header=BB264_16 Depth=1
	s_delay_alu instid0(SALU_CYCLE_1) | instskip(SKIP_4) | instid1(VALU_DEP_2)
	s_or_b32 exec_lo, exec_lo, s23
	v_mov_b32_e32 v114, 0
	v_lshrrev_b32_e32 v3, 16, v2
	v_mov_b32_e32 v115, 0
	s_mov_b32 s2, exec_lo
	v_dual_mov_b32 v31, v114 :: v_dual_and_b32 v8, 0xff, v3
	s_delay_alu instid0(VALU_DEP_2) | instskip(NEXT) | instid1(VALU_DEP_2)
	v_mov_b32_e32 v32, v115
	v_cmpx_ne_u16_e32 0, v8
	s_cbranch_execz .LBB264_267
; %bb.260:                              ;   in Loop: Header=BB264_16 Depth=1
	v_bfrev_b32_e32 v31, 1
	v_mov_b32_e32 v32, 0
	s_mov_b32 s23, exec_lo
	v_cmpx_ne_u16_e32 0x80, v8
	s_cbranch_execz .LBB264_266
; %bb.261:                              ;   in Loop: Header=BB264_16 Depth=1
	v_mov_b32_e32 v31, 0x7f800001
	v_bfe_u32 v9, v2, 16, 7
	v_mov_b32_e32 v32, 0
	s_mov_b32 s24, exec_lo
	s_delay_alu instid0(VALU_DEP_2)
	v_cmpx_ne_u32_e32 0x7f, v9
	s_cbranch_execz .LBB264_265
; %bb.262:                              ;   in Loop: Header=BB264_16 Depth=1
	v_and_b32_e32 v28, 7, v3
	v_lshrrev_b32_e32 v8, 3, v9
	s_mov_b32 s25, exec_lo
	v_cmpx_gt_u32_e32 8, v9
; %bb.263:                              ;   in Loop: Header=BB264_16 Depth=1
	s_delay_alu instid0(VALU_DEP_3) | instskip(NEXT) | instid1(VALU_DEP_1)
	v_clz_i32_u32_e32 v8, v28
	v_min_u32_e32 v8, 32, v8
	s_delay_alu instid0(VALU_DEP_1) | instskip(SKIP_1) | instid1(VALU_DEP_2)
	v_subrev_nc_u32_e32 v9, 28, v8
	v_sub_nc_u32_e32 v8, 29, v8
	v_lshlrev_b64 v[18:19], v9, v[28:29]
	s_delay_alu instid0(VALU_DEP_1)
	v_and_b32_e32 v28, 7, v18
; %bb.264:                              ;   in Loop: Header=BB264_16 Depth=1
	s_or_b32 exec_lo, exec_lo, s25
	v_lshlrev_b32_e32 v3, 24, v3
	s_delay_alu instid0(VALU_DEP_2) | instskip(SKIP_1) | instid1(VALU_DEP_3)
	v_lshlrev_b32_e32 v9, 20, v28
	v_lshl_add_u32 v8, v8, 23, 0x3c000000
	v_and_b32_e32 v3, 0x80000000, v3
	s_delay_alu instid0(VALU_DEP_1) | instskip(NEXT) | instid1(VALU_DEP_1)
	v_or3_b32 v28, v9, v3, v8
	v_dual_mov_b32 v32, v29 :: v_dual_mov_b32 v31, v28
.LBB264_265:                            ;   in Loop: Header=BB264_16 Depth=1
	s_or_b32 exec_lo, exec_lo, s24
.LBB264_266:                            ;   in Loop: Header=BB264_16 Depth=1
	s_delay_alu instid0(SALU_CYCLE_1)
	s_or_b32 exec_lo, exec_lo, s23
.LBB264_267:                            ;   in Loop: Header=BB264_16 Depth=1
	s_delay_alu instid0(SALU_CYCLE_1) | instskip(NEXT) | instid1(SALU_CYCLE_1)
	s_or_b32 exec_lo, exec_lo, s2
	s_mov_b32 s23, exec_lo
	v_cmpx_lt_u32_e32 0xffffff, v2
	s_cbranch_execz .LBB264_275
; %bb.268:                              ;   in Loop: Header=BB264_16 Depth=1
	v_lshrrev_b32_e32 v3, 24, v2
	v_dual_mov_b32 v115, s17 :: v_dual_mov_b32 v114, s16
	s_mov_b32 s24, exec_lo
	s_delay_alu instid0(VALU_DEP_2)
	v_cmpx_ne_u32_e32 0x80, v3
	s_cbranch_execz .LBB264_274
; %bb.269:                              ;   in Loop: Header=BB264_16 Depth=1
	s_mov_b32 s2, s16
	v_bfe_u32 v8, v2, 24, 7
	v_dual_mov_b32 v115, s3 :: v_dual_mov_b32 v114, s2
	s_mov_b32 s2, exec_lo
	s_delay_alu instid0(VALU_DEP_2)
	v_cmpx_ne_u32_e32 0x7f, v8
	s_cbranch_execz .LBB264_273
; %bb.270:                              ;   in Loop: Header=BB264_16 Depth=1
	v_and_b32_e32 v28, 7, v3
	v_lshrrev_b32_e32 v2, 3, v8
	s_mov_b32 s25, exec_lo
	v_cmpx_gt_u32_e32 8, v8
; %bb.271:                              ;   in Loop: Header=BB264_16 Depth=1
	s_delay_alu instid0(VALU_DEP_3) | instskip(NEXT) | instid1(VALU_DEP_1)
	v_clz_i32_u32_e32 v2, v28
	v_min_u32_e32 v2, 32, v2
	s_delay_alu instid0(VALU_DEP_1) | instskip(SKIP_1) | instid1(VALU_DEP_2)
	v_subrev_nc_u32_e32 v8, 28, v2
	v_sub_nc_u32_e32 v2, 29, v2
	v_lshlrev_b64 v[8:9], v8, v[28:29]
	s_delay_alu instid0(VALU_DEP_1)
	v_and_b32_e32 v28, 7, v8
; %bb.272:                              ;   in Loop: Header=BB264_16 Depth=1
	s_or_b32 exec_lo, exec_lo, s25
	v_dual_mov_b32 v114, v29 :: v_dual_lshlrev_b32 v3, 24, v3
	s_delay_alu instid0(VALU_DEP_2) | instskip(SKIP_1) | instid1(VALU_DEP_3)
	v_lshlrev_b32_e32 v8, 20, v28
	v_lshl_add_u32 v2, v2, 23, 0x3c000000
	v_and_b32_e32 v3, 0x80000000, v3
	s_delay_alu instid0(VALU_DEP_1)
	v_or3_b32 v115, v8, v3, v2
.LBB264_273:                            ;   in Loop: Header=BB264_16 Depth=1
	s_or_b32 exec_lo, exec_lo, s2
.LBB264_274:                            ;   in Loop: Header=BB264_16 Depth=1
	s_delay_alu instid0(SALU_CYCLE_1)
	s_or_b32 exec_lo, exec_lo, s24
.LBB264_275:                            ;   in Loop: Header=BB264_16 Depth=1
	s_delay_alu instid0(SALU_CYCLE_1) | instskip(SKIP_3) | instid1(VALU_DEP_2)
	s_or_b32 exec_lo, exec_lo, s23
	flat_load_b32 v2, v[152:153] offset:1024
	v_mov_b32_e32 v118, 0
	v_mov_b32_e32 v119, 0
	;; [unrolled: 1-line block ×3, first 2 shown]
	s_mov_b32 s2, exec_lo
	s_waitcnt vmcnt(0) lgkmcnt(0)
	s_delay_alu instid0(VALU_DEP_2) | instskip(NEXT) | instid1(VALU_DEP_1)
	v_dual_mov_b32 v36, v119 :: v_dual_and_b32 v3, 0xff, v2
	v_cmpx_ne_u16_e32 0, v3
	s_cbranch_execz .LBB264_283
; %bb.276:                              ;   in Loop: Header=BB264_16 Depth=1
	v_bfrev_b32_e32 v35, 1
	v_mov_b32_e32 v36, 0
	s_mov_b32 s23, exec_lo
	v_cmpx_ne_u16_e32 0x80, v3
	s_cbranch_execz .LBB264_282
; %bb.277:                              ;   in Loop: Header=BB264_16 Depth=1
	v_mov_b32_e32 v35, 0x7f800001
	v_and_b32_e32 v8, 0x7f, v2
	v_mov_b32_e32 v36, 0
	s_mov_b32 s24, exec_lo
	s_delay_alu instid0(VALU_DEP_2)
	v_cmpx_ne_u32_e32 0x7f, v8
	s_cbranch_execz .LBB264_281
; %bb.278:                              ;   in Loop: Header=BB264_16 Depth=1
	v_and_b32_e32 v28, 7, v2
	v_lshrrev_b32_e32 v3, 3, v8
	s_mov_b32 s25, exec_lo
	v_cmpx_gt_u32_e32 8, v8
; %bb.279:                              ;   in Loop: Header=BB264_16 Depth=1
	s_delay_alu instid0(VALU_DEP_3) | instskip(NEXT) | instid1(VALU_DEP_1)
	v_clz_i32_u32_e32 v3, v28
	v_min_u32_e32 v3, 32, v3
	s_delay_alu instid0(VALU_DEP_1) | instskip(SKIP_1) | instid1(VALU_DEP_2)
	v_subrev_nc_u32_e32 v8, 28, v3
	v_sub_nc_u32_e32 v3, 29, v3
	v_lshlrev_b64 v[8:9], v8, v[28:29]
	s_delay_alu instid0(VALU_DEP_1)
	v_and_b32_e32 v28, 7, v8
; %bb.280:                              ;   in Loop: Header=BB264_16 Depth=1
	s_or_b32 exec_lo, exec_lo, s25
	v_lshlrev_b32_e32 v8, 24, v2
	s_delay_alu instid0(VALU_DEP_2) | instskip(SKIP_1) | instid1(VALU_DEP_3)
	v_lshlrev_b32_e32 v9, 20, v28
	v_lshl_add_u32 v3, v3, 23, 0x3c000000
	v_and_b32_e32 v8, 0x80000000, v8
	s_delay_alu instid0(VALU_DEP_1) | instskip(NEXT) | instid1(VALU_DEP_1)
	v_or3_b32 v28, v9, v8, v3
	v_dual_mov_b32 v36, v29 :: v_dual_mov_b32 v35, v28
.LBB264_281:                            ;   in Loop: Header=BB264_16 Depth=1
	s_or_b32 exec_lo, exec_lo, s24
.LBB264_282:                            ;   in Loop: Header=BB264_16 Depth=1
	s_delay_alu instid0(SALU_CYCLE_1)
	s_or_b32 exec_lo, exec_lo, s23
.LBB264_283:                            ;   in Loop: Header=BB264_16 Depth=1
	s_delay_alu instid0(SALU_CYCLE_1) | instskip(SKIP_2) | instid1(VALU_DEP_1)
	s_or_b32 exec_lo, exec_lo, s2
	v_lshrrev_b16 v3, 8, v2
	s_mov_b32 s23, exec_lo
	v_cmpx_ne_u16_e32 0, v3
	s_cbranch_execz .LBB264_291
; %bb.284:                              ;   in Loop: Header=BB264_16 Depth=1
	v_dual_mov_b32 v119, s17 :: v_dual_mov_b32 v118, s16
	s_mov_b32 s24, exec_lo
	v_cmpx_ne_u16_e32 0x80, v3
	s_cbranch_execz .LBB264_290
; %bb.285:                              ;   in Loop: Header=BB264_16 Depth=1
	s_mov_b32 s2, s16
	v_and_b32_e32 v3, 0xffff, v3
	v_dual_mov_b32 v119, s3 :: v_dual_mov_b32 v118, s2
	s_mov_b32 s2, exec_lo
	s_delay_alu instid0(VALU_DEP_2) | instskip(NEXT) | instid1(VALU_DEP_1)
	v_and_b32_e32 v8, 0x7f, v3
	v_cmpx_ne_u32_e32 0x7f, v8
	s_cbranch_execz .LBB264_289
; %bb.286:                              ;   in Loop: Header=BB264_16 Depth=1
	v_and_b32_e32 v28, 7, v3
	v_lshrrev_b32_e32 v3, 3, v8
	s_mov_b32 s25, exec_lo
	v_cmpx_gt_u32_e32 8, v8
; %bb.287:                              ;   in Loop: Header=BB264_16 Depth=1
	s_delay_alu instid0(VALU_DEP_3) | instskip(NEXT) | instid1(VALU_DEP_1)
	v_clz_i32_u32_e32 v3, v28
	v_min_u32_e32 v3, 32, v3
	s_delay_alu instid0(VALU_DEP_1) | instskip(SKIP_1) | instid1(VALU_DEP_2)
	v_subrev_nc_u32_e32 v8, 28, v3
	v_sub_nc_u32_e32 v3, 29, v3
	v_lshlrev_b64 v[8:9], v8, v[28:29]
	s_delay_alu instid0(VALU_DEP_1)
	v_and_b32_e32 v28, 7, v8
; %bb.288:                              ;   in Loop: Header=BB264_16 Depth=1
	s_or_b32 exec_lo, exec_lo, s25
	v_lshlrev_b32_e32 v8, 16, v2
	s_delay_alu instid0(VALU_DEP_2) | instskip(SKIP_1) | instid1(VALU_DEP_3)
	v_dual_mov_b32 v118, v29 :: v_dual_lshlrev_b32 v9, 20, v28
	v_lshl_add_u32 v3, v3, 23, 0x3c000000
	v_and_b32_e32 v8, 0x80000000, v8
	s_delay_alu instid0(VALU_DEP_1)
	v_or3_b32 v119, v9, v8, v3
.LBB264_289:                            ;   in Loop: Header=BB264_16 Depth=1
	s_or_b32 exec_lo, exec_lo, s2
.LBB264_290:                            ;   in Loop: Header=BB264_16 Depth=1
	s_delay_alu instid0(SALU_CYCLE_1)
	s_or_b32 exec_lo, exec_lo, s24
.LBB264_291:                            ;   in Loop: Header=BB264_16 Depth=1
	s_delay_alu instid0(SALU_CYCLE_1) | instskip(SKIP_4) | instid1(VALU_DEP_2)
	s_or_b32 exec_lo, exec_lo, s23
	v_mov_b32_e32 v130, 0
	v_lshrrev_b32_e32 v3, 16, v2
	v_mov_b32_e32 v131, 0
	s_mov_b32 s2, exec_lo
	v_and_b32_e32 v8, 0xff, v3
	s_delay_alu instid0(VALU_DEP_2) | instskip(NEXT) | instid1(VALU_DEP_2)
	v_dual_mov_b32 v48, v130 :: v_dual_mov_b32 v49, v131
	v_cmpx_ne_u16_e32 0, v8
	s_cbranch_execz .LBB264_299
; %bb.292:                              ;   in Loop: Header=BB264_16 Depth=1
	v_bfrev_b32_e32 v48, 1
	v_mov_b32_e32 v49, 0
	s_mov_b32 s23, exec_lo
	v_cmpx_ne_u16_e32 0x80, v8
	s_cbranch_execz .LBB264_298
; %bb.293:                              ;   in Loop: Header=BB264_16 Depth=1
	v_mov_b32_e32 v48, 0x7f800001
	v_bfe_u32 v9, v2, 16, 7
	v_mov_b32_e32 v49, 0
	s_mov_b32 s24, exec_lo
	s_delay_alu instid0(VALU_DEP_2)
	v_cmpx_ne_u32_e32 0x7f, v9
	s_cbranch_execz .LBB264_297
; %bb.294:                              ;   in Loop: Header=BB264_16 Depth=1
	v_and_b32_e32 v28, 7, v3
	v_lshrrev_b32_e32 v8, 3, v9
	s_mov_b32 s25, exec_lo
	v_cmpx_gt_u32_e32 8, v9
; %bb.295:                              ;   in Loop: Header=BB264_16 Depth=1
	s_delay_alu instid0(VALU_DEP_3) | instskip(NEXT) | instid1(VALU_DEP_1)
	v_clz_i32_u32_e32 v8, v28
	v_min_u32_e32 v8, 32, v8
	s_delay_alu instid0(VALU_DEP_1) | instskip(SKIP_1) | instid1(VALU_DEP_2)
	v_subrev_nc_u32_e32 v9, 28, v8
	v_sub_nc_u32_e32 v8, 29, v8
	v_lshlrev_b64 v[18:19], v9, v[28:29]
	s_delay_alu instid0(VALU_DEP_1)
	v_and_b32_e32 v28, 7, v18
; %bb.296:                              ;   in Loop: Header=BB264_16 Depth=1
	s_or_b32 exec_lo, exec_lo, s25
	v_lshlrev_b32_e32 v3, 24, v3
	s_delay_alu instid0(VALU_DEP_2) | instskip(SKIP_1) | instid1(VALU_DEP_3)
	v_lshlrev_b32_e32 v9, 20, v28
	v_lshl_add_u32 v8, v8, 23, 0x3c000000
	v_and_b32_e32 v3, 0x80000000, v3
	s_delay_alu instid0(VALU_DEP_1) | instskip(NEXT) | instid1(VALU_DEP_1)
	v_or3_b32 v28, v9, v3, v8
	v_dual_mov_b32 v49, v29 :: v_dual_mov_b32 v48, v28
.LBB264_297:                            ;   in Loop: Header=BB264_16 Depth=1
	s_or_b32 exec_lo, exec_lo, s24
.LBB264_298:                            ;   in Loop: Header=BB264_16 Depth=1
	s_delay_alu instid0(SALU_CYCLE_1)
	s_or_b32 exec_lo, exec_lo, s23
.LBB264_299:                            ;   in Loop: Header=BB264_16 Depth=1
	s_delay_alu instid0(SALU_CYCLE_1) | instskip(NEXT) | instid1(SALU_CYCLE_1)
	s_or_b32 exec_lo, exec_lo, s2
	s_mov_b32 s23, exec_lo
	v_cmpx_lt_u32_e32 0xffffff, v2
	s_cbranch_execz .LBB264_307
; %bb.300:                              ;   in Loop: Header=BB264_16 Depth=1
	v_lshrrev_b32_e32 v3, 24, v2
	v_dual_mov_b32 v131, s17 :: v_dual_mov_b32 v130, s16
	s_mov_b32 s24, exec_lo
	s_delay_alu instid0(VALU_DEP_2)
	v_cmpx_ne_u32_e32 0x80, v3
	s_cbranch_execz .LBB264_306
; %bb.301:                              ;   in Loop: Header=BB264_16 Depth=1
	s_mov_b32 s2, s16
	v_bfe_u32 v8, v2, 24, 7
	v_dual_mov_b32 v131, s3 :: v_dual_mov_b32 v130, s2
	s_mov_b32 s2, exec_lo
	s_delay_alu instid0(VALU_DEP_2)
	v_cmpx_ne_u32_e32 0x7f, v8
	s_cbranch_execz .LBB264_305
; %bb.302:                              ;   in Loop: Header=BB264_16 Depth=1
	v_and_b32_e32 v28, 7, v3
	v_lshrrev_b32_e32 v2, 3, v8
	s_mov_b32 s25, exec_lo
	v_cmpx_gt_u32_e32 8, v8
; %bb.303:                              ;   in Loop: Header=BB264_16 Depth=1
	s_delay_alu instid0(VALU_DEP_3) | instskip(NEXT) | instid1(VALU_DEP_1)
	v_clz_i32_u32_e32 v2, v28
	v_min_u32_e32 v2, 32, v2
	s_delay_alu instid0(VALU_DEP_1) | instskip(SKIP_1) | instid1(VALU_DEP_2)
	v_subrev_nc_u32_e32 v8, 28, v2
	v_sub_nc_u32_e32 v2, 29, v2
	v_lshlrev_b64 v[8:9], v8, v[28:29]
	s_delay_alu instid0(VALU_DEP_1)
	v_and_b32_e32 v28, 7, v8
; %bb.304:                              ;   in Loop: Header=BB264_16 Depth=1
	s_or_b32 exec_lo, exec_lo, s25
	v_dual_mov_b32 v130, v29 :: v_dual_lshlrev_b32 v3, 24, v3
	s_delay_alu instid0(VALU_DEP_2) | instskip(SKIP_1) | instid1(VALU_DEP_3)
	v_lshlrev_b32_e32 v8, 20, v28
	v_lshl_add_u32 v2, v2, 23, 0x3c000000
	v_and_b32_e32 v3, 0x80000000, v3
	s_delay_alu instid0(VALU_DEP_1)
	v_or3_b32 v131, v8, v3, v2
.LBB264_305:                            ;   in Loop: Header=BB264_16 Depth=1
	s_or_b32 exec_lo, exec_lo, s2
.LBB264_306:                            ;   in Loop: Header=BB264_16 Depth=1
	s_delay_alu instid0(SALU_CYCLE_1)
	s_or_b32 exec_lo, exec_lo, s24
.LBB264_307:                            ;   in Loop: Header=BB264_16 Depth=1
	s_delay_alu instid0(SALU_CYCLE_1) | instskip(SKIP_4) | instid1(VALU_DEP_1)
	s_or_b32 exec_lo, exec_lo, s23
	flat_load_b32 v2, v[152:153] offset:1028
	v_mov_b32_e32 v52, 0
	v_mov_b32_e32 v53, 0
	s_mov_b32 s2, exec_lo
	v_dual_mov_b32 v135, v53 :: v_dual_mov_b32 v134, v52
	s_waitcnt vmcnt(0) lgkmcnt(0)
	v_and_b32_e32 v3, 0xff, v2
	s_delay_alu instid0(VALU_DEP_1)
	v_cmpx_ne_u16_e32 0, v3
	s_cbranch_execz .LBB264_315
; %bb.308:                              ;   in Loop: Header=BB264_16 Depth=1
	v_bfrev_b32_e32 v134, 1
	v_mov_b32_e32 v135, 0
	s_mov_b32 s23, exec_lo
	v_cmpx_ne_u16_e32 0x80, v3
	s_cbranch_execz .LBB264_314
; %bb.309:                              ;   in Loop: Header=BB264_16 Depth=1
	v_mov_b32_e32 v134, 0x7f800001
	v_dual_mov_b32 v135, 0 :: v_dual_and_b32 v8, 0x7f, v2
	s_mov_b32 s24, exec_lo
	s_delay_alu instid0(VALU_DEP_1)
	v_cmpx_ne_u32_e32 0x7f, v8
	s_cbranch_execz .LBB264_313
; %bb.310:                              ;   in Loop: Header=BB264_16 Depth=1
	v_and_b32_e32 v28, 7, v2
	v_lshrrev_b32_e32 v3, 3, v8
	s_mov_b32 s25, exec_lo
	v_cmpx_gt_u32_e32 8, v8
; %bb.311:                              ;   in Loop: Header=BB264_16 Depth=1
	s_delay_alu instid0(VALU_DEP_3) | instskip(NEXT) | instid1(VALU_DEP_1)
	v_clz_i32_u32_e32 v3, v28
	v_min_u32_e32 v3, 32, v3
	s_delay_alu instid0(VALU_DEP_1) | instskip(SKIP_1) | instid1(VALU_DEP_2)
	v_subrev_nc_u32_e32 v8, 28, v3
	v_sub_nc_u32_e32 v3, 29, v3
	v_lshlrev_b64 v[8:9], v8, v[28:29]
	s_delay_alu instid0(VALU_DEP_1)
	v_and_b32_e32 v28, 7, v8
; %bb.312:                              ;   in Loop: Header=BB264_16 Depth=1
	s_or_b32 exec_lo, exec_lo, s25
	v_lshlrev_b32_e32 v8, 24, v2
	s_delay_alu instid0(VALU_DEP_2) | instskip(SKIP_1) | instid1(VALU_DEP_3)
	v_lshlrev_b32_e32 v9, 20, v28
	v_lshl_add_u32 v3, v3, 23, 0x3c000000
	v_and_b32_e32 v8, 0x80000000, v8
	s_delay_alu instid0(VALU_DEP_1) | instskip(NEXT) | instid1(VALU_DEP_1)
	v_or3_b32 v28, v9, v8, v3
	v_dual_mov_b32 v135, v29 :: v_dual_mov_b32 v134, v28
.LBB264_313:                            ;   in Loop: Header=BB264_16 Depth=1
	s_or_b32 exec_lo, exec_lo, s24
.LBB264_314:                            ;   in Loop: Header=BB264_16 Depth=1
	s_delay_alu instid0(SALU_CYCLE_1)
	s_or_b32 exec_lo, exec_lo, s23
.LBB264_315:                            ;   in Loop: Header=BB264_16 Depth=1
	s_delay_alu instid0(SALU_CYCLE_1) | instskip(SKIP_2) | instid1(VALU_DEP_1)
	s_or_b32 exec_lo, exec_lo, s2
	v_lshrrev_b16 v3, 8, v2
	s_mov_b32 s23, exec_lo
	v_cmpx_ne_u16_e32 0, v3
	s_cbranch_execz .LBB264_323
; %bb.316:                              ;   in Loop: Header=BB264_16 Depth=1
	v_dual_mov_b32 v53, s17 :: v_dual_mov_b32 v52, s16
	s_mov_b32 s24, exec_lo
	v_cmpx_ne_u16_e32 0x80, v3
	s_cbranch_execz .LBB264_322
; %bb.317:                              ;   in Loop: Header=BB264_16 Depth=1
	s_mov_b32 s2, s16
	v_and_b32_e32 v3, 0xffff, v3
	v_dual_mov_b32 v53, s3 :: v_dual_mov_b32 v52, s2
	s_mov_b32 s2, exec_lo
	s_delay_alu instid0(VALU_DEP_2) | instskip(NEXT) | instid1(VALU_DEP_1)
	v_and_b32_e32 v8, 0x7f, v3
	v_cmpx_ne_u32_e32 0x7f, v8
	s_cbranch_execz .LBB264_321
; %bb.318:                              ;   in Loop: Header=BB264_16 Depth=1
	v_and_b32_e32 v28, 7, v3
	v_lshrrev_b32_e32 v3, 3, v8
	s_mov_b32 s25, exec_lo
	v_cmpx_gt_u32_e32 8, v8
; %bb.319:                              ;   in Loop: Header=BB264_16 Depth=1
	s_delay_alu instid0(VALU_DEP_3) | instskip(NEXT) | instid1(VALU_DEP_1)
	v_clz_i32_u32_e32 v3, v28
	v_min_u32_e32 v3, 32, v3
	s_delay_alu instid0(VALU_DEP_1) | instskip(SKIP_1) | instid1(VALU_DEP_2)
	v_subrev_nc_u32_e32 v8, 28, v3
	v_sub_nc_u32_e32 v3, 29, v3
	v_lshlrev_b64 v[8:9], v8, v[28:29]
	s_delay_alu instid0(VALU_DEP_1)
	v_and_b32_e32 v28, 7, v8
; %bb.320:                              ;   in Loop: Header=BB264_16 Depth=1
	s_or_b32 exec_lo, exec_lo, s25
	v_lshlrev_b32_e32 v8, 16, v2
	s_delay_alu instid0(VALU_DEP_2) | instskip(SKIP_1) | instid1(VALU_DEP_3)
	v_dual_mov_b32 v52, v29 :: v_dual_lshlrev_b32 v9, 20, v28
	v_lshl_add_u32 v3, v3, 23, 0x3c000000
	v_and_b32_e32 v8, 0x80000000, v8
	s_delay_alu instid0(VALU_DEP_1)
	v_or3_b32 v53, v9, v8, v3
.LBB264_321:                            ;   in Loop: Header=BB264_16 Depth=1
	s_or_b32 exec_lo, exec_lo, s2
.LBB264_322:                            ;   in Loop: Header=BB264_16 Depth=1
	s_delay_alu instid0(SALU_CYCLE_1)
	s_or_b32 exec_lo, exec_lo, s24
.LBB264_323:                            ;   in Loop: Header=BB264_16 Depth=1
	s_delay_alu instid0(SALU_CYCLE_1) | instskip(SKIP_4) | instid1(VALU_DEP_1)
	s_or_b32 exec_lo, exec_lo, s23
	v_mov_b32_e32 v64, 0
	v_lshrrev_b32_e32 v3, 16, v2
	v_mov_b32_e32 v65, 0
	s_mov_b32 s2, exec_lo
	v_dual_mov_b32 v147, v65 :: v_dual_and_b32 v8, 0xff, v3
	v_mov_b32_e32 v146, v64
	s_delay_alu instid0(VALU_DEP_2)
	v_cmpx_ne_u16_e32 0, v8
	s_cbranch_execz .LBB264_331
; %bb.324:                              ;   in Loop: Header=BB264_16 Depth=1
	v_bfrev_b32_e32 v146, 1
	v_mov_b32_e32 v147, 0
	s_mov_b32 s23, exec_lo
	v_cmpx_ne_u16_e32 0x80, v8
	s_cbranch_execz .LBB264_330
; %bb.325:                              ;   in Loop: Header=BB264_16 Depth=1
	v_mov_b32_e32 v146, 0x7f800001
	v_bfe_u32 v9, v2, 16, 7
	v_mov_b32_e32 v147, 0
	s_mov_b32 s24, exec_lo
	s_delay_alu instid0(VALU_DEP_2)
	v_cmpx_ne_u32_e32 0x7f, v9
	s_cbranch_execz .LBB264_329
; %bb.326:                              ;   in Loop: Header=BB264_16 Depth=1
	v_and_b32_e32 v28, 7, v3
	v_lshrrev_b32_e32 v8, 3, v9
	s_mov_b32 s25, exec_lo
	v_cmpx_gt_u32_e32 8, v9
; %bb.327:                              ;   in Loop: Header=BB264_16 Depth=1
	s_delay_alu instid0(VALU_DEP_3) | instskip(NEXT) | instid1(VALU_DEP_1)
	v_clz_i32_u32_e32 v8, v28
	v_min_u32_e32 v8, 32, v8
	s_delay_alu instid0(VALU_DEP_1) | instskip(SKIP_1) | instid1(VALU_DEP_2)
	v_subrev_nc_u32_e32 v9, 28, v8
	v_sub_nc_u32_e32 v8, 29, v8
	v_lshlrev_b64 v[18:19], v9, v[28:29]
	s_delay_alu instid0(VALU_DEP_1)
	v_and_b32_e32 v28, 7, v18
; %bb.328:                              ;   in Loop: Header=BB264_16 Depth=1
	s_or_b32 exec_lo, exec_lo, s25
	v_lshlrev_b32_e32 v3, 24, v3
	s_delay_alu instid0(VALU_DEP_2) | instskip(SKIP_1) | instid1(VALU_DEP_3)
	v_lshlrev_b32_e32 v9, 20, v28
	v_lshl_add_u32 v8, v8, 23, 0x3c000000
	v_and_b32_e32 v3, 0x80000000, v3
	s_delay_alu instid0(VALU_DEP_1) | instskip(NEXT) | instid1(VALU_DEP_1)
	v_or3_b32 v28, v9, v3, v8
	v_dual_mov_b32 v147, v29 :: v_dual_mov_b32 v146, v28
.LBB264_329:                            ;   in Loop: Header=BB264_16 Depth=1
	s_or_b32 exec_lo, exec_lo, s24
.LBB264_330:                            ;   in Loop: Header=BB264_16 Depth=1
	s_delay_alu instid0(SALU_CYCLE_1)
	s_or_b32 exec_lo, exec_lo, s23
.LBB264_331:                            ;   in Loop: Header=BB264_16 Depth=1
	s_delay_alu instid0(SALU_CYCLE_1) | instskip(NEXT) | instid1(SALU_CYCLE_1)
	s_or_b32 exec_lo, exec_lo, s2
	s_mov_b32 s23, exec_lo
	v_cmpx_lt_u32_e32 0xffffff, v2
	s_cbranch_execz .LBB264_339
; %bb.332:                              ;   in Loop: Header=BB264_16 Depth=1
	v_lshrrev_b32_e32 v3, 24, v2
	v_dual_mov_b32 v65, s17 :: v_dual_mov_b32 v64, s16
	s_mov_b32 s24, exec_lo
	s_delay_alu instid0(VALU_DEP_2)
	v_cmpx_ne_u32_e32 0x80, v3
	s_cbranch_execz .LBB264_338
; %bb.333:                              ;   in Loop: Header=BB264_16 Depth=1
	s_mov_b32 s2, s16
	v_bfe_u32 v8, v2, 24, 7
	v_dual_mov_b32 v65, s3 :: v_dual_mov_b32 v64, s2
	s_mov_b32 s2, exec_lo
	s_delay_alu instid0(VALU_DEP_2)
	v_cmpx_ne_u32_e32 0x7f, v8
	s_cbranch_execz .LBB264_337
; %bb.334:                              ;   in Loop: Header=BB264_16 Depth=1
	v_and_b32_e32 v28, 7, v3
	v_lshrrev_b32_e32 v2, 3, v8
	s_mov_b32 s25, exec_lo
	v_cmpx_gt_u32_e32 8, v8
; %bb.335:                              ;   in Loop: Header=BB264_16 Depth=1
	s_delay_alu instid0(VALU_DEP_3) | instskip(NEXT) | instid1(VALU_DEP_1)
	v_clz_i32_u32_e32 v2, v28
	v_min_u32_e32 v2, 32, v2
	s_delay_alu instid0(VALU_DEP_1) | instskip(SKIP_1) | instid1(VALU_DEP_2)
	v_subrev_nc_u32_e32 v8, 28, v2
	v_sub_nc_u32_e32 v2, 29, v2
	v_lshlrev_b64 v[8:9], v8, v[28:29]
	s_delay_alu instid0(VALU_DEP_1)
	v_and_b32_e32 v28, 7, v8
; %bb.336:                              ;   in Loop: Header=BB264_16 Depth=1
	s_or_b32 exec_lo, exec_lo, s25
	v_dual_mov_b32 v64, v29 :: v_dual_lshlrev_b32 v3, 24, v3
	s_delay_alu instid0(VALU_DEP_2) | instskip(SKIP_1) | instid1(VALU_DEP_3)
	v_lshlrev_b32_e32 v8, 20, v28
	v_lshl_add_u32 v2, v2, 23, 0x3c000000
	v_and_b32_e32 v3, 0x80000000, v3
	s_delay_alu instid0(VALU_DEP_1)
	v_or3_b32 v65, v8, v3, v2
.LBB264_337:                            ;   in Loop: Header=BB264_16 Depth=1
	s_or_b32 exec_lo, exec_lo, s2
.LBB264_338:                            ;   in Loop: Header=BB264_16 Depth=1
	s_delay_alu instid0(SALU_CYCLE_1)
	s_or_b32 exec_lo, exec_lo, s24
.LBB264_339:                            ;   in Loop: Header=BB264_16 Depth=1
	s_delay_alu instid0(SALU_CYCLE_1) | instskip(SKIP_4) | instid1(VALU_DEP_1)
	s_or_b32 exec_lo, exec_lo, s23
	flat_load_b32 v2, v[152:153] offset:1032
	v_mov_b32_e32 v68, 0
	v_mov_b32_e32 v69, 0
	s_mov_b32 s2, exec_lo
	v_dual_mov_b32 v151, v69 :: v_dual_mov_b32 v150, v68
	s_waitcnt vmcnt(0) lgkmcnt(0)
	v_and_b32_e32 v3, 0xff, v2
	s_delay_alu instid0(VALU_DEP_1)
	v_cmpx_ne_u16_e32 0, v3
	s_cbranch_execz .LBB264_347
; %bb.340:                              ;   in Loop: Header=BB264_16 Depth=1
	v_bfrev_b32_e32 v150, 1
	v_mov_b32_e32 v151, 0
	s_mov_b32 s23, exec_lo
	v_cmpx_ne_u16_e32 0x80, v3
	s_cbranch_execz .LBB264_346
; %bb.341:                              ;   in Loop: Header=BB264_16 Depth=1
	v_mov_b32_e32 v150, 0x7f800001
	v_dual_mov_b32 v151, 0 :: v_dual_and_b32 v8, 0x7f, v2
	s_mov_b32 s24, exec_lo
	s_delay_alu instid0(VALU_DEP_1)
	v_cmpx_ne_u32_e32 0x7f, v8
	s_cbranch_execz .LBB264_345
; %bb.342:                              ;   in Loop: Header=BB264_16 Depth=1
	v_and_b32_e32 v28, 7, v2
	v_lshrrev_b32_e32 v3, 3, v8
	s_mov_b32 s25, exec_lo
	v_cmpx_gt_u32_e32 8, v8
; %bb.343:                              ;   in Loop: Header=BB264_16 Depth=1
	s_delay_alu instid0(VALU_DEP_3) | instskip(NEXT) | instid1(VALU_DEP_1)
	v_clz_i32_u32_e32 v3, v28
	v_min_u32_e32 v3, 32, v3
	s_delay_alu instid0(VALU_DEP_1) | instskip(SKIP_1) | instid1(VALU_DEP_2)
	v_subrev_nc_u32_e32 v8, 28, v3
	v_sub_nc_u32_e32 v3, 29, v3
	v_lshlrev_b64 v[8:9], v8, v[28:29]
	s_delay_alu instid0(VALU_DEP_1)
	v_and_b32_e32 v28, 7, v8
; %bb.344:                              ;   in Loop: Header=BB264_16 Depth=1
	s_or_b32 exec_lo, exec_lo, s25
	v_lshlrev_b32_e32 v8, 24, v2
	s_delay_alu instid0(VALU_DEP_2) | instskip(SKIP_1) | instid1(VALU_DEP_3)
	v_lshlrev_b32_e32 v9, 20, v28
	v_lshl_add_u32 v3, v3, 23, 0x3c000000
	v_and_b32_e32 v8, 0x80000000, v8
	s_delay_alu instid0(VALU_DEP_1) | instskip(NEXT) | instid1(VALU_DEP_1)
	v_or3_b32 v28, v9, v8, v3
	v_dual_mov_b32 v151, v29 :: v_dual_mov_b32 v150, v28
.LBB264_345:                            ;   in Loop: Header=BB264_16 Depth=1
	s_or_b32 exec_lo, exec_lo, s24
.LBB264_346:                            ;   in Loop: Header=BB264_16 Depth=1
	s_delay_alu instid0(SALU_CYCLE_1)
	s_or_b32 exec_lo, exec_lo, s23
.LBB264_347:                            ;   in Loop: Header=BB264_16 Depth=1
	s_delay_alu instid0(SALU_CYCLE_1) | instskip(SKIP_2) | instid1(VALU_DEP_1)
	s_or_b32 exec_lo, exec_lo, s2
	v_lshrrev_b16 v3, 8, v2
	s_mov_b32 s23, exec_lo
	v_cmpx_ne_u16_e32 0, v3
	s_cbranch_execz .LBB264_355
; %bb.348:                              ;   in Loop: Header=BB264_16 Depth=1
	v_dual_mov_b32 v69, s17 :: v_dual_mov_b32 v68, s16
	s_mov_b32 s24, exec_lo
	v_cmpx_ne_u16_e32 0x80, v3
	s_cbranch_execz .LBB264_354
; %bb.349:                              ;   in Loop: Header=BB264_16 Depth=1
	s_mov_b32 s2, s16
	v_and_b32_e32 v3, 0xffff, v3
	v_dual_mov_b32 v69, s3 :: v_dual_mov_b32 v68, s2
	s_mov_b32 s2, exec_lo
	s_delay_alu instid0(VALU_DEP_2) | instskip(NEXT) | instid1(VALU_DEP_1)
	v_and_b32_e32 v8, 0x7f, v3
	v_cmpx_ne_u32_e32 0x7f, v8
	s_cbranch_execz .LBB264_353
; %bb.350:                              ;   in Loop: Header=BB264_16 Depth=1
	v_and_b32_e32 v28, 7, v3
	v_lshrrev_b32_e32 v3, 3, v8
	s_mov_b32 s25, exec_lo
	v_cmpx_gt_u32_e32 8, v8
; %bb.351:                              ;   in Loop: Header=BB264_16 Depth=1
	s_delay_alu instid0(VALU_DEP_3) | instskip(NEXT) | instid1(VALU_DEP_1)
	v_clz_i32_u32_e32 v3, v28
	v_min_u32_e32 v3, 32, v3
	s_delay_alu instid0(VALU_DEP_1) | instskip(SKIP_1) | instid1(VALU_DEP_2)
	v_subrev_nc_u32_e32 v8, 28, v3
	v_sub_nc_u32_e32 v3, 29, v3
	v_lshlrev_b64 v[8:9], v8, v[28:29]
	s_delay_alu instid0(VALU_DEP_1)
	v_and_b32_e32 v28, 7, v8
; %bb.352:                              ;   in Loop: Header=BB264_16 Depth=1
	s_or_b32 exec_lo, exec_lo, s25
	v_lshlrev_b32_e32 v8, 16, v2
	s_delay_alu instid0(VALU_DEP_2) | instskip(SKIP_1) | instid1(VALU_DEP_3)
	v_dual_mov_b32 v68, v29 :: v_dual_lshlrev_b32 v9, 20, v28
	v_lshl_add_u32 v3, v3, 23, 0x3c000000
	v_and_b32_e32 v8, 0x80000000, v8
	s_delay_alu instid0(VALU_DEP_1)
	v_or3_b32 v69, v9, v8, v3
.LBB264_353:                            ;   in Loop: Header=BB264_16 Depth=1
	s_or_b32 exec_lo, exec_lo, s2
.LBB264_354:                            ;   in Loop: Header=BB264_16 Depth=1
	s_delay_alu instid0(SALU_CYCLE_1)
	s_or_b32 exec_lo, exec_lo, s24
.LBB264_355:                            ;   in Loop: Header=BB264_16 Depth=1
	s_delay_alu instid0(SALU_CYCLE_1) | instskip(SKIP_4) | instid1(VALU_DEP_1)
	s_or_b32 exec_lo, exec_lo, s23
	v_mov_b32_e32 v80, 0
	v_lshrrev_b32_e32 v3, 16, v2
	v_mov_b32_e32 v81, 0
	s_mov_b32 s2, exec_lo
	v_dual_mov_b32 v85, v81 :: v_dual_and_b32 v8, 0xff, v3
	v_mov_b32_e32 v84, v80
	s_delay_alu instid0(VALU_DEP_2)
	v_cmpx_ne_u16_e32 0, v8
	s_cbranch_execz .LBB264_363
; %bb.356:                              ;   in Loop: Header=BB264_16 Depth=1
	v_bfrev_b32_e32 v84, 1
	v_mov_b32_e32 v85, 0
	s_mov_b32 s23, exec_lo
	v_cmpx_ne_u16_e32 0x80, v8
	s_cbranch_execz .LBB264_362
; %bb.357:                              ;   in Loop: Header=BB264_16 Depth=1
	v_mov_b32_e32 v84, 0x7f800001
	v_bfe_u32 v9, v2, 16, 7
	v_mov_b32_e32 v85, 0
	s_mov_b32 s24, exec_lo
	s_delay_alu instid0(VALU_DEP_2)
	v_cmpx_ne_u32_e32 0x7f, v9
	s_cbranch_execz .LBB264_361
; %bb.358:                              ;   in Loop: Header=BB264_16 Depth=1
	v_and_b32_e32 v28, 7, v3
	v_lshrrev_b32_e32 v8, 3, v9
	s_mov_b32 s25, exec_lo
	v_cmpx_gt_u32_e32 8, v9
; %bb.359:                              ;   in Loop: Header=BB264_16 Depth=1
	s_delay_alu instid0(VALU_DEP_3) | instskip(NEXT) | instid1(VALU_DEP_1)
	v_clz_i32_u32_e32 v8, v28
	v_min_u32_e32 v8, 32, v8
	s_delay_alu instid0(VALU_DEP_1) | instskip(SKIP_1) | instid1(VALU_DEP_2)
	v_subrev_nc_u32_e32 v9, 28, v8
	v_sub_nc_u32_e32 v8, 29, v8
	v_lshlrev_b64 v[18:19], v9, v[28:29]
	s_delay_alu instid0(VALU_DEP_1)
	v_and_b32_e32 v28, 7, v18
; %bb.360:                              ;   in Loop: Header=BB264_16 Depth=1
	s_or_b32 exec_lo, exec_lo, s25
	v_lshlrev_b32_e32 v3, 24, v3
	s_delay_alu instid0(VALU_DEP_2) | instskip(SKIP_1) | instid1(VALU_DEP_3)
	v_lshlrev_b32_e32 v9, 20, v28
	v_lshl_add_u32 v8, v8, 23, 0x3c000000
	v_and_b32_e32 v3, 0x80000000, v3
	s_delay_alu instid0(VALU_DEP_1) | instskip(NEXT) | instid1(VALU_DEP_1)
	v_or3_b32 v28, v9, v3, v8
	v_dual_mov_b32 v85, v29 :: v_dual_mov_b32 v84, v28
.LBB264_361:                            ;   in Loop: Header=BB264_16 Depth=1
	s_or_b32 exec_lo, exec_lo, s24
.LBB264_362:                            ;   in Loop: Header=BB264_16 Depth=1
	s_delay_alu instid0(SALU_CYCLE_1)
	s_or_b32 exec_lo, exec_lo, s23
.LBB264_363:                            ;   in Loop: Header=BB264_16 Depth=1
	s_delay_alu instid0(SALU_CYCLE_1) | instskip(NEXT) | instid1(SALU_CYCLE_1)
	s_or_b32 exec_lo, exec_lo, s2
	s_mov_b32 s23, exec_lo
	v_cmpx_lt_u32_e32 0xffffff, v2
	s_cbranch_execz .LBB264_371
; %bb.364:                              ;   in Loop: Header=BB264_16 Depth=1
	v_lshrrev_b32_e32 v3, 24, v2
	v_dual_mov_b32 v81, s17 :: v_dual_mov_b32 v80, s16
	s_mov_b32 s24, exec_lo
	s_delay_alu instid0(VALU_DEP_2)
	v_cmpx_ne_u32_e32 0x80, v3
	s_cbranch_execz .LBB264_370
; %bb.365:                              ;   in Loop: Header=BB264_16 Depth=1
	s_mov_b32 s2, s16
	v_bfe_u32 v8, v2, 24, 7
	v_dual_mov_b32 v81, s3 :: v_dual_mov_b32 v80, s2
	s_mov_b32 s2, exec_lo
	s_delay_alu instid0(VALU_DEP_2)
	v_cmpx_ne_u32_e32 0x7f, v8
	s_cbranch_execz .LBB264_369
; %bb.366:                              ;   in Loop: Header=BB264_16 Depth=1
	v_and_b32_e32 v28, 7, v3
	v_lshrrev_b32_e32 v2, 3, v8
	s_mov_b32 s25, exec_lo
	v_cmpx_gt_u32_e32 8, v8
; %bb.367:                              ;   in Loop: Header=BB264_16 Depth=1
	s_delay_alu instid0(VALU_DEP_3) | instskip(NEXT) | instid1(VALU_DEP_1)
	v_clz_i32_u32_e32 v2, v28
	v_min_u32_e32 v2, 32, v2
	s_delay_alu instid0(VALU_DEP_1) | instskip(SKIP_1) | instid1(VALU_DEP_2)
	v_subrev_nc_u32_e32 v8, 28, v2
	v_sub_nc_u32_e32 v2, 29, v2
	v_lshlrev_b64 v[8:9], v8, v[28:29]
	s_delay_alu instid0(VALU_DEP_1)
	v_and_b32_e32 v28, 7, v8
; %bb.368:                              ;   in Loop: Header=BB264_16 Depth=1
	s_or_b32 exec_lo, exec_lo, s25
	v_dual_mov_b32 v80, v29 :: v_dual_lshlrev_b32 v3, 24, v3
	s_delay_alu instid0(VALU_DEP_2) | instskip(SKIP_1) | instid1(VALU_DEP_3)
	v_lshlrev_b32_e32 v8, 20, v28
	v_lshl_add_u32 v2, v2, 23, 0x3c000000
	v_and_b32_e32 v3, 0x80000000, v3
	s_delay_alu instid0(VALU_DEP_1)
	v_or3_b32 v81, v8, v3, v2
.LBB264_369:                            ;   in Loop: Header=BB264_16 Depth=1
	s_or_b32 exec_lo, exec_lo, s2
.LBB264_370:                            ;   in Loop: Header=BB264_16 Depth=1
	s_delay_alu instid0(SALU_CYCLE_1)
	s_or_b32 exec_lo, exec_lo, s24
.LBB264_371:                            ;   in Loop: Header=BB264_16 Depth=1
	s_delay_alu instid0(SALU_CYCLE_1) | instskip(SKIP_3) | instid1(VALU_DEP_2)
	s_or_b32 exec_lo, exec_lo, s23
	flat_load_b32 v2, v[152:153] offset:1036
	v_mov_b32_e32 v162, 0
	v_mov_b32_e32 v163, 0
	;; [unrolled: 1-line block ×3, first 2 shown]
	s_mov_b32 s2, exec_lo
	s_delay_alu instid0(VALU_DEP_2) | instskip(SKIP_3) | instid1(VALU_DEP_1)
	v_mov_b32_e32 v91, v163
	scratch_store_b64 off, v[162:163], s32 offset:492 ; 8-byte Folded Spill
	s_waitcnt vmcnt(0) lgkmcnt(0)
	v_and_b32_e32 v3, 0xff, v2
	v_cmpx_ne_u16_e32 0, v3
	s_cbranch_execz .LBB264_379
; %bb.372:                              ;   in Loop: Header=BB264_16 Depth=1
	v_bfrev_b32_e32 v90, 1
	v_mov_b32_e32 v91, 0
	s_mov_b32 s23, exec_lo
	v_cmpx_ne_u16_e32 0x80, v3
	s_cbranch_execz .LBB264_378
; %bb.373:                              ;   in Loop: Header=BB264_16 Depth=1
	v_mov_b32_e32 v90, 0x7f800001
	v_dual_mov_b32 v91, 0 :: v_dual_and_b32 v8, 0x7f, v2
	s_mov_b32 s24, exec_lo
	s_delay_alu instid0(VALU_DEP_1)
	v_cmpx_ne_u32_e32 0x7f, v8
	s_cbranch_execz .LBB264_377
; %bb.374:                              ;   in Loop: Header=BB264_16 Depth=1
	v_and_b32_e32 v28, 7, v2
	v_lshrrev_b32_e32 v3, 3, v8
	s_mov_b32 s25, exec_lo
	v_cmpx_gt_u32_e32 8, v8
; %bb.375:                              ;   in Loop: Header=BB264_16 Depth=1
	s_delay_alu instid0(VALU_DEP_3) | instskip(NEXT) | instid1(VALU_DEP_1)
	v_clz_i32_u32_e32 v3, v28
	v_min_u32_e32 v3, 32, v3
	s_delay_alu instid0(VALU_DEP_1) | instskip(SKIP_1) | instid1(VALU_DEP_2)
	v_subrev_nc_u32_e32 v8, 28, v3
	v_sub_nc_u32_e32 v3, 29, v3
	v_lshlrev_b64 v[8:9], v8, v[28:29]
	s_delay_alu instid0(VALU_DEP_1)
	v_and_b32_e32 v28, 7, v8
; %bb.376:                              ;   in Loop: Header=BB264_16 Depth=1
	s_or_b32 exec_lo, exec_lo, s25
	v_lshlrev_b32_e32 v8, 24, v2
	s_delay_alu instid0(VALU_DEP_2) | instskip(SKIP_1) | instid1(VALU_DEP_3)
	v_lshlrev_b32_e32 v9, 20, v28
	v_lshl_add_u32 v3, v3, 23, 0x3c000000
	v_and_b32_e32 v8, 0x80000000, v8
	s_delay_alu instid0(VALU_DEP_1) | instskip(NEXT) | instid1(VALU_DEP_1)
	v_or3_b32 v28, v9, v8, v3
	v_dual_mov_b32 v91, v29 :: v_dual_mov_b32 v90, v28
.LBB264_377:                            ;   in Loop: Header=BB264_16 Depth=1
	s_or_b32 exec_lo, exec_lo, s24
.LBB264_378:                            ;   in Loop: Header=BB264_16 Depth=1
	s_delay_alu instid0(SALU_CYCLE_1)
	s_or_b32 exec_lo, exec_lo, s23
.LBB264_379:                            ;   in Loop: Header=BB264_16 Depth=1
	s_delay_alu instid0(SALU_CYCLE_1) | instskip(SKIP_2) | instid1(VALU_DEP_1)
	s_or_b32 exec_lo, exec_lo, s2
	v_lshrrev_b16 v3, 8, v2
	s_mov_b32 s23, exec_lo
	v_cmpx_ne_u16_e32 0, v3
	s_cbranch_execz .LBB264_387
; %bb.380:                              ;   in Loop: Header=BB264_16 Depth=1
	v_dual_mov_b32 v8, s16 :: v_dual_mov_b32 v9, s17
	s_mov_b32 s24, exec_lo
	scratch_store_b64 off, v[8:9], s32 offset:492 ; 8-byte Folded Spill
	v_cmpx_ne_u16_e32 0x80, v3
	s_cbranch_execz .LBB264_386
; %bb.381:                              ;   in Loop: Header=BB264_16 Depth=1
	s_mov_b32 s2, s16
	v_and_b32_e32 v3, 0xffff, v3
	v_dual_mov_b32 v19, s3 :: v_dual_mov_b32 v18, s2
	s_mov_b32 s2, exec_lo
	s_delay_alu instid0(VALU_DEP_2)
	v_and_b32_e32 v8, 0x7f, v3
	scratch_store_b64 off, v[18:19], s32 offset:492 ; 8-byte Folded Spill
	v_cmpx_ne_u32_e32 0x7f, v8
	s_cbranch_execz .LBB264_385
; %bb.382:                              ;   in Loop: Header=BB264_16 Depth=1
	v_and_b32_e32 v28, 7, v3
	v_lshrrev_b32_e32 v3, 3, v8
	s_mov_b32 s25, exec_lo
	v_cmpx_gt_u32_e32 8, v8
; %bb.383:                              ;   in Loop: Header=BB264_16 Depth=1
	s_delay_alu instid0(VALU_DEP_3) | instskip(NEXT) | instid1(VALU_DEP_1)
	v_clz_i32_u32_e32 v3, v28
	v_min_u32_e32 v3, 32, v3
	s_delay_alu instid0(VALU_DEP_1) | instskip(SKIP_1) | instid1(VALU_DEP_2)
	v_subrev_nc_u32_e32 v8, 28, v3
	v_sub_nc_u32_e32 v3, 29, v3
	v_lshlrev_b64 v[8:9], v8, v[28:29]
	s_delay_alu instid0(VALU_DEP_1)
	v_and_b32_e32 v28, 7, v8
; %bb.384:                              ;   in Loop: Header=BB264_16 Depth=1
	s_or_b32 exec_lo, exec_lo, s25
	v_lshlrev_b32_e32 v8, 16, v2
	s_delay_alu instid0(VALU_DEP_2) | instskip(SKIP_1) | instid1(VALU_DEP_3)
	v_lshlrev_b32_e32 v9, 20, v28
	v_lshl_add_u32 v3, v3, 23, 0x3c000000
	v_and_b32_e32 v8, 0x80000000, v8
	s_delay_alu instid0(VALU_DEP_1)
	v_or3_b32 v9, v9, v8, v3
	v_mov_b32_e32 v8, v29
	scratch_store_b64 off, v[8:9], s32 offset:492 ; 8-byte Folded Spill
.LBB264_385:                            ;   in Loop: Header=BB264_16 Depth=1
	s_or_b32 exec_lo, exec_lo, s2
.LBB264_386:                            ;   in Loop: Header=BB264_16 Depth=1
	s_delay_alu instid0(SALU_CYCLE_1)
	s_or_b32 exec_lo, exec_lo, s24
.LBB264_387:                            ;   in Loop: Header=BB264_16 Depth=1
	s_delay_alu instid0(SALU_CYCLE_1) | instskip(SKIP_4) | instid1(VALU_DEP_3)
	s_or_b32 exec_lo, exec_lo, s23
	v_lshrrev_b32_e32 v3, 16, v2
	v_mov_b32_e32 v96, 0
	v_mov_b32_e32 v97, 0
	s_mov_b32 s2, exec_lo
	v_and_b32_e32 v8, 0xff, v3
	scratch_store_b64 off, v[96:97], s32 offset:468 ; 8-byte Folded Spill
	v_cmpx_ne_u16_e32 0, v8
	s_cbranch_execz .LBB264_395
; %bb.388:                              ;   in Loop: Header=BB264_16 Depth=1
	v_cmp_ne_u16_e64 s1, 0x80, v8
	v_bfrev_b32_e32 v8, 1
	v_mov_b32_e32 v9, 0
	scratch_store_b64 off, v[8:9], s32 offset:468 ; 8-byte Folded Spill
	s_and_saveexec_b32 s23, s1
	s_cbranch_execz .LBB264_394
; %bb.389:                              ;   in Loop: Header=BB264_16 Depth=1
	v_mov_b32_e32 v18, 0x7f800001
	v_bfe_u32 v9, v2, 16, 7
	v_mov_b32_e32 v19, 0
	s_mov_b32 s24, exec_lo
	scratch_store_b64 off, v[18:19], s32 offset:468 ; 8-byte Folded Spill
	v_cmpx_ne_u32_e32 0x7f, v9
	s_cbranch_execz .LBB264_393
; %bb.390:                              ;   in Loop: Header=BB264_16 Depth=1
	v_and_b32_e32 v28, 7, v3
	v_lshrrev_b32_e32 v8, 3, v9
	s_mov_b32 s25, exec_lo
	v_cmpx_gt_u32_e32 8, v9
; %bb.391:                              ;   in Loop: Header=BB264_16 Depth=1
	s_delay_alu instid0(VALU_DEP_3) | instskip(NEXT) | instid1(VALU_DEP_1)
	v_clz_i32_u32_e32 v8, v28
	v_min_u32_e32 v8, 32, v8
	s_delay_alu instid0(VALU_DEP_1) | instskip(SKIP_1) | instid1(VALU_DEP_2)
	v_subrev_nc_u32_e32 v9, 28, v8
	v_sub_nc_u32_e32 v8, 29, v8
	v_lshlrev_b64 v[18:19], v9, v[28:29]
	s_delay_alu instid0(VALU_DEP_1)
	v_and_b32_e32 v28, 7, v18
; %bb.392:                              ;   in Loop: Header=BB264_16 Depth=1
	s_or_b32 exec_lo, exec_lo, s25
	v_lshlrev_b32_e32 v3, 24, v3
	s_delay_alu instid0(VALU_DEP_2) | instskip(SKIP_1) | instid1(VALU_DEP_3)
	v_lshlrev_b32_e32 v9, 20, v28
	v_lshl_add_u32 v8, v8, 23, 0x3c000000
	v_and_b32_e32 v3, 0x80000000, v3
	s_delay_alu instid0(VALU_DEP_1)
	v_or3_b32 v28, v9, v3, v8
	scratch_store_b64 off, v[28:29], s32 offset:468 ; 8-byte Folded Spill
.LBB264_393:                            ;   in Loop: Header=BB264_16 Depth=1
	s_or_b32 exec_lo, exec_lo, s24
.LBB264_394:                            ;   in Loop: Header=BB264_16 Depth=1
	s_delay_alu instid0(SALU_CYCLE_1)
	s_or_b32 exec_lo, exec_lo, s23
.LBB264_395:                            ;   in Loop: Header=BB264_16 Depth=1
	s_delay_alu instid0(SALU_CYCLE_1) | instskip(NEXT) | instid1(SALU_CYCLE_1)
	s_or_b32 exec_lo, exec_lo, s2
	s_mov_b32 s23, exec_lo
	v_cmpx_lt_u32_e32 0xffffff, v2
	s_cbranch_execz .LBB264_403
; %bb.396:                              ;   in Loop: Header=BB264_16 Depth=1
	v_lshrrev_b32_e32 v3, 24, v2
	v_dual_mov_b32 v97, s17 :: v_dual_mov_b32 v96, s16
	s_mov_b32 s24, exec_lo
	s_delay_alu instid0(VALU_DEP_2)
	v_cmpx_ne_u32_e32 0x80, v3
	s_cbranch_execz .LBB264_402
; %bb.397:                              ;   in Loop: Header=BB264_16 Depth=1
	s_mov_b32 s2, s16
	v_bfe_u32 v8, v2, 24, 7
	v_dual_mov_b32 v97, s3 :: v_dual_mov_b32 v96, s2
	s_mov_b32 s2, exec_lo
	s_delay_alu instid0(VALU_DEP_2)
	v_cmpx_ne_u32_e32 0x7f, v8
	s_cbranch_execz .LBB264_401
; %bb.398:                              ;   in Loop: Header=BB264_16 Depth=1
	v_and_b32_e32 v28, 7, v3
	v_lshrrev_b32_e32 v2, 3, v8
	s_mov_b32 s25, exec_lo
	v_cmpx_gt_u32_e32 8, v8
; %bb.399:                              ;   in Loop: Header=BB264_16 Depth=1
	s_delay_alu instid0(VALU_DEP_3) | instskip(NEXT) | instid1(VALU_DEP_1)
	v_clz_i32_u32_e32 v2, v28
	v_min_u32_e32 v2, 32, v2
	s_delay_alu instid0(VALU_DEP_1) | instskip(SKIP_1) | instid1(VALU_DEP_2)
	v_subrev_nc_u32_e32 v8, 28, v2
	v_sub_nc_u32_e32 v2, 29, v2
	v_lshlrev_b64 v[8:9], v8, v[28:29]
	s_delay_alu instid0(VALU_DEP_1)
	v_and_b32_e32 v28, 7, v8
; %bb.400:                              ;   in Loop: Header=BB264_16 Depth=1
	s_or_b32 exec_lo, exec_lo, s25
	v_dual_mov_b32 v96, v29 :: v_dual_lshlrev_b32 v3, 24, v3
	s_delay_alu instid0(VALU_DEP_2) | instskip(SKIP_1) | instid1(VALU_DEP_3)
	v_lshlrev_b32_e32 v8, 20, v28
	v_lshl_add_u32 v2, v2, 23, 0x3c000000
	v_and_b32_e32 v3, 0x80000000, v3
	s_delay_alu instid0(VALU_DEP_1)
	v_or3_b32 v97, v8, v3, v2
.LBB264_401:                            ;   in Loop: Header=BB264_16 Depth=1
	s_or_b32 exec_lo, exec_lo, s2
.LBB264_402:                            ;   in Loop: Header=BB264_16 Depth=1
	s_delay_alu instid0(SALU_CYCLE_1)
	s_or_b32 exec_lo, exec_lo, s24
.LBB264_403:                            ;   in Loop: Header=BB264_16 Depth=1
	s_delay_alu instid0(SALU_CYCLE_1) | instskip(SKIP_4) | instid1(VALU_DEP_1)
	s_or_b32 exec_lo, exec_lo, s23
	flat_load_b32 v2, v[152:153] offset:1536
	v_mov_b32_e32 v100, 0
	v_mov_b32_e32 v101, 0
	s_mov_b32 s2, exec_lo
	v_dual_mov_b32 v163, v101 :: v_dual_mov_b32 v162, v100
	s_waitcnt vmcnt(0) lgkmcnt(0)
	v_and_b32_e32 v3, 0xff, v2
	s_delay_alu instid0(VALU_DEP_1)
	v_cmpx_ne_u16_e32 0, v3
	s_cbranch_execz .LBB264_411
; %bb.404:                              ;   in Loop: Header=BB264_16 Depth=1
	v_bfrev_b32_e32 v162, 1
	v_mov_b32_e32 v163, 0
	s_mov_b32 s23, exec_lo
	v_cmpx_ne_u16_e32 0x80, v3
	s_cbranch_execz .LBB264_410
; %bb.405:                              ;   in Loop: Header=BB264_16 Depth=1
	v_mov_b32_e32 v162, 0x7f800001
	v_dual_mov_b32 v163, 0 :: v_dual_and_b32 v8, 0x7f, v2
	s_mov_b32 s24, exec_lo
	s_delay_alu instid0(VALU_DEP_1)
	v_cmpx_ne_u32_e32 0x7f, v8
	s_cbranch_execz .LBB264_409
; %bb.406:                              ;   in Loop: Header=BB264_16 Depth=1
	v_and_b32_e32 v28, 7, v2
	v_lshrrev_b32_e32 v3, 3, v8
	s_mov_b32 s25, exec_lo
	v_cmpx_gt_u32_e32 8, v8
; %bb.407:                              ;   in Loop: Header=BB264_16 Depth=1
	s_delay_alu instid0(VALU_DEP_3) | instskip(NEXT) | instid1(VALU_DEP_1)
	v_clz_i32_u32_e32 v3, v28
	v_min_u32_e32 v3, 32, v3
	s_delay_alu instid0(VALU_DEP_1) | instskip(SKIP_1) | instid1(VALU_DEP_2)
	v_subrev_nc_u32_e32 v8, 28, v3
	v_sub_nc_u32_e32 v3, 29, v3
	v_lshlrev_b64 v[8:9], v8, v[28:29]
	s_delay_alu instid0(VALU_DEP_1)
	v_and_b32_e32 v28, 7, v8
; %bb.408:                              ;   in Loop: Header=BB264_16 Depth=1
	s_or_b32 exec_lo, exec_lo, s25
	v_lshlrev_b32_e32 v8, 24, v2
	s_delay_alu instid0(VALU_DEP_2) | instskip(SKIP_1) | instid1(VALU_DEP_3)
	v_lshlrev_b32_e32 v9, 20, v28
	v_lshl_add_u32 v3, v3, 23, 0x3c000000
	v_and_b32_e32 v8, 0x80000000, v8
	s_delay_alu instid0(VALU_DEP_1) | instskip(NEXT) | instid1(VALU_DEP_1)
	v_or3_b32 v28, v9, v8, v3
	v_dual_mov_b32 v163, v29 :: v_dual_mov_b32 v162, v28
.LBB264_409:                            ;   in Loop: Header=BB264_16 Depth=1
	s_or_b32 exec_lo, exec_lo, s24
.LBB264_410:                            ;   in Loop: Header=BB264_16 Depth=1
	s_delay_alu instid0(SALU_CYCLE_1)
	s_or_b32 exec_lo, exec_lo, s23
.LBB264_411:                            ;   in Loop: Header=BB264_16 Depth=1
	s_delay_alu instid0(SALU_CYCLE_1) | instskip(SKIP_2) | instid1(VALU_DEP_1)
	s_or_b32 exec_lo, exec_lo, s2
	v_lshrrev_b16 v3, 8, v2
	s_mov_b32 s23, exec_lo
	v_cmpx_ne_u16_e32 0, v3
	s_cbranch_execz .LBB264_419
; %bb.412:                              ;   in Loop: Header=BB264_16 Depth=1
	v_dual_mov_b32 v101, s17 :: v_dual_mov_b32 v100, s16
	s_mov_b32 s24, exec_lo
	v_cmpx_ne_u16_e32 0x80, v3
	s_cbranch_execz .LBB264_418
; %bb.413:                              ;   in Loop: Header=BB264_16 Depth=1
	s_mov_b32 s2, s16
	v_and_b32_e32 v3, 0xffff, v3
	v_dual_mov_b32 v101, s3 :: v_dual_mov_b32 v100, s2
	s_mov_b32 s2, exec_lo
	s_delay_alu instid0(VALU_DEP_2) | instskip(NEXT) | instid1(VALU_DEP_1)
	v_and_b32_e32 v8, 0x7f, v3
	v_cmpx_ne_u32_e32 0x7f, v8
	s_cbranch_execz .LBB264_417
; %bb.414:                              ;   in Loop: Header=BB264_16 Depth=1
	v_and_b32_e32 v28, 7, v3
	v_lshrrev_b32_e32 v3, 3, v8
	s_mov_b32 s25, exec_lo
	v_cmpx_gt_u32_e32 8, v8
; %bb.415:                              ;   in Loop: Header=BB264_16 Depth=1
	s_delay_alu instid0(VALU_DEP_3) | instskip(NEXT) | instid1(VALU_DEP_1)
	v_clz_i32_u32_e32 v3, v28
	v_min_u32_e32 v3, 32, v3
	s_delay_alu instid0(VALU_DEP_1) | instskip(SKIP_1) | instid1(VALU_DEP_2)
	v_subrev_nc_u32_e32 v8, 28, v3
	v_sub_nc_u32_e32 v3, 29, v3
	v_lshlrev_b64 v[8:9], v8, v[28:29]
	s_delay_alu instid0(VALU_DEP_1)
	v_and_b32_e32 v28, 7, v8
; %bb.416:                              ;   in Loop: Header=BB264_16 Depth=1
	s_or_b32 exec_lo, exec_lo, s25
	v_lshlrev_b32_e32 v8, 16, v2
	s_delay_alu instid0(VALU_DEP_2) | instskip(SKIP_1) | instid1(VALU_DEP_3)
	v_dual_mov_b32 v100, v29 :: v_dual_lshlrev_b32 v9, 20, v28
	v_lshl_add_u32 v3, v3, 23, 0x3c000000
	v_and_b32_e32 v8, 0x80000000, v8
	s_delay_alu instid0(VALU_DEP_1)
	v_or3_b32 v101, v9, v8, v3
.LBB264_417:                            ;   in Loop: Header=BB264_16 Depth=1
	s_or_b32 exec_lo, exec_lo, s2
.LBB264_418:                            ;   in Loop: Header=BB264_16 Depth=1
	s_delay_alu instid0(SALU_CYCLE_1)
	s_or_b32 exec_lo, exec_lo, s24
.LBB264_419:                            ;   in Loop: Header=BB264_16 Depth=1
	s_delay_alu instid0(SALU_CYCLE_1) | instskip(SKIP_4) | instid1(VALU_DEP_3)
	s_or_b32 exec_lo, exec_lo, s23
	v_lshrrev_b32_e32 v3, 16, v2
	v_mov_b32_e32 v112, 0
	v_mov_b32_e32 v113, 0
	s_mov_b32 s2, exec_lo
	v_and_b32_e32 v8, 0xff, v3
	scratch_store_b64 off, v[112:113], s32 offset:476 ; 8-byte Folded Spill
	v_cmpx_ne_u16_e32 0, v8
	s_cbranch_execz .LBB264_427
; %bb.420:                              ;   in Loop: Header=BB264_16 Depth=1
	v_cmp_ne_u16_e64 s1, 0x80, v8
	v_bfrev_b32_e32 v8, 1
	v_mov_b32_e32 v9, 0
	scratch_store_b64 off, v[8:9], s32 offset:476 ; 8-byte Folded Spill
	s_and_saveexec_b32 s23, s1
	s_cbranch_execz .LBB264_426
; %bb.421:                              ;   in Loop: Header=BB264_16 Depth=1
	v_mov_b32_e32 v18, 0x7f800001
	v_bfe_u32 v9, v2, 16, 7
	v_mov_b32_e32 v19, 0
	s_mov_b32 s24, exec_lo
	scratch_store_b64 off, v[18:19], s32 offset:476 ; 8-byte Folded Spill
	v_cmpx_ne_u32_e32 0x7f, v9
	s_cbranch_execz .LBB264_425
; %bb.422:                              ;   in Loop: Header=BB264_16 Depth=1
	v_and_b32_e32 v28, 7, v3
	v_lshrrev_b32_e32 v8, 3, v9
	s_mov_b32 s25, exec_lo
	v_cmpx_gt_u32_e32 8, v9
; %bb.423:                              ;   in Loop: Header=BB264_16 Depth=1
	s_delay_alu instid0(VALU_DEP_3) | instskip(NEXT) | instid1(VALU_DEP_1)
	v_clz_i32_u32_e32 v8, v28
	v_min_u32_e32 v8, 32, v8
	s_delay_alu instid0(VALU_DEP_1) | instskip(SKIP_1) | instid1(VALU_DEP_2)
	v_subrev_nc_u32_e32 v9, 28, v8
	v_sub_nc_u32_e32 v8, 29, v8
	v_lshlrev_b64 v[18:19], v9, v[28:29]
	s_delay_alu instid0(VALU_DEP_1)
	v_and_b32_e32 v28, 7, v18
; %bb.424:                              ;   in Loop: Header=BB264_16 Depth=1
	s_or_b32 exec_lo, exec_lo, s25
	v_lshlrev_b32_e32 v3, 24, v3
	s_delay_alu instid0(VALU_DEP_2) | instskip(SKIP_1) | instid1(VALU_DEP_3)
	v_lshlrev_b32_e32 v9, 20, v28
	v_lshl_add_u32 v8, v8, 23, 0x3c000000
	v_and_b32_e32 v3, 0x80000000, v3
	s_delay_alu instid0(VALU_DEP_1)
	v_or3_b32 v28, v9, v3, v8
	scratch_store_b64 off, v[28:29], s32 offset:476 ; 8-byte Folded Spill
.LBB264_425:                            ;   in Loop: Header=BB264_16 Depth=1
	s_or_b32 exec_lo, exec_lo, s24
.LBB264_426:                            ;   in Loop: Header=BB264_16 Depth=1
	s_delay_alu instid0(SALU_CYCLE_1)
	s_or_b32 exec_lo, exec_lo, s23
.LBB264_427:                            ;   in Loop: Header=BB264_16 Depth=1
	s_delay_alu instid0(SALU_CYCLE_1) | instskip(NEXT) | instid1(SALU_CYCLE_1)
	s_or_b32 exec_lo, exec_lo, s2
	s_mov_b32 s23, exec_lo
	v_cmpx_lt_u32_e32 0xffffff, v2
	s_cbranch_execz .LBB264_435
; %bb.428:                              ;   in Loop: Header=BB264_16 Depth=1
	v_lshrrev_b32_e32 v3, 24, v2
	v_dual_mov_b32 v113, s17 :: v_dual_mov_b32 v112, s16
	s_mov_b32 s24, exec_lo
	s_delay_alu instid0(VALU_DEP_2)
	v_cmpx_ne_u32_e32 0x80, v3
	s_cbranch_execz .LBB264_434
; %bb.429:                              ;   in Loop: Header=BB264_16 Depth=1
	s_mov_b32 s2, s16
	v_bfe_u32 v8, v2, 24, 7
	v_dual_mov_b32 v113, s3 :: v_dual_mov_b32 v112, s2
	s_mov_b32 s2, exec_lo
	s_delay_alu instid0(VALU_DEP_2)
	v_cmpx_ne_u32_e32 0x7f, v8
	s_cbranch_execz .LBB264_433
; %bb.430:                              ;   in Loop: Header=BB264_16 Depth=1
	v_and_b32_e32 v28, 7, v3
	v_lshrrev_b32_e32 v2, 3, v8
	s_mov_b32 s25, exec_lo
	v_cmpx_gt_u32_e32 8, v8
; %bb.431:                              ;   in Loop: Header=BB264_16 Depth=1
	s_delay_alu instid0(VALU_DEP_3) | instskip(NEXT) | instid1(VALU_DEP_1)
	v_clz_i32_u32_e32 v2, v28
	v_min_u32_e32 v2, 32, v2
	s_delay_alu instid0(VALU_DEP_1) | instskip(SKIP_1) | instid1(VALU_DEP_2)
	v_subrev_nc_u32_e32 v8, 28, v2
	v_sub_nc_u32_e32 v2, 29, v2
	v_lshlrev_b64 v[8:9], v8, v[28:29]
	s_delay_alu instid0(VALU_DEP_1)
	v_and_b32_e32 v28, 7, v8
; %bb.432:                              ;   in Loop: Header=BB264_16 Depth=1
	s_or_b32 exec_lo, exec_lo, s25
	v_dual_mov_b32 v112, v29 :: v_dual_lshlrev_b32 v3, 24, v3
	s_delay_alu instid0(VALU_DEP_2) | instskip(SKIP_1) | instid1(VALU_DEP_3)
	v_lshlrev_b32_e32 v8, 20, v28
	v_lshl_add_u32 v2, v2, 23, 0x3c000000
	v_and_b32_e32 v3, 0x80000000, v3
	s_delay_alu instid0(VALU_DEP_1)
	v_or3_b32 v113, v8, v3, v2
.LBB264_433:                            ;   in Loop: Header=BB264_16 Depth=1
	s_or_b32 exec_lo, exec_lo, s2
.LBB264_434:                            ;   in Loop: Header=BB264_16 Depth=1
	s_delay_alu instid0(SALU_CYCLE_1)
	s_or_b32 exec_lo, exec_lo, s24
.LBB264_435:                            ;   in Loop: Header=BB264_16 Depth=1
	s_delay_alu instid0(SALU_CYCLE_1) | instskip(SKIP_3) | instid1(VALU_DEP_2)
	s_or_b32 exec_lo, exec_lo, s23
	flat_load_b32 v2, v[152:153] offset:1540
	v_mov_b32_e32 v182, 0
	v_mov_b32_e32 v183, 0
	;; [unrolled: 1-line block ×3, first 2 shown]
	s_mov_b32 s2, exec_lo
	s_delay_alu instid0(VALU_DEP_2) | instskip(SKIP_2) | instid1(VALU_DEP_1)
	v_mov_b32_e32 v179, v183
	s_waitcnt vmcnt(0) lgkmcnt(0)
	v_and_b32_e32 v3, 0xff, v2
	v_cmpx_ne_u16_e32 0, v3
	s_cbranch_execz .LBB264_443
; %bb.436:                              ;   in Loop: Header=BB264_16 Depth=1
	v_bfrev_b32_e32 v178, 1
	v_mov_b32_e32 v179, 0
	s_mov_b32 s23, exec_lo
	v_cmpx_ne_u16_e32 0x80, v3
	s_cbranch_execz .LBB264_442
; %bb.437:                              ;   in Loop: Header=BB264_16 Depth=1
	v_mov_b32_e32 v178, 0x7f800001
	v_dual_mov_b32 v179, 0 :: v_dual_and_b32 v8, 0x7f, v2
	s_mov_b32 s24, exec_lo
	s_delay_alu instid0(VALU_DEP_1)
	v_cmpx_ne_u32_e32 0x7f, v8
	s_cbranch_execz .LBB264_441
; %bb.438:                              ;   in Loop: Header=BB264_16 Depth=1
	v_and_b32_e32 v28, 7, v2
	v_lshrrev_b32_e32 v3, 3, v8
	s_mov_b32 s25, exec_lo
	v_cmpx_gt_u32_e32 8, v8
; %bb.439:                              ;   in Loop: Header=BB264_16 Depth=1
	s_delay_alu instid0(VALU_DEP_3) | instskip(NEXT) | instid1(VALU_DEP_1)
	v_clz_i32_u32_e32 v3, v28
	v_min_u32_e32 v3, 32, v3
	s_delay_alu instid0(VALU_DEP_1) | instskip(SKIP_1) | instid1(VALU_DEP_2)
	v_subrev_nc_u32_e32 v8, 28, v3
	v_sub_nc_u32_e32 v3, 29, v3
	v_lshlrev_b64 v[8:9], v8, v[28:29]
	s_delay_alu instid0(VALU_DEP_1)
	v_and_b32_e32 v28, 7, v8
; %bb.440:                              ;   in Loop: Header=BB264_16 Depth=1
	s_or_b32 exec_lo, exec_lo, s25
	v_lshlrev_b32_e32 v8, 24, v2
	s_delay_alu instid0(VALU_DEP_2) | instskip(SKIP_1) | instid1(VALU_DEP_3)
	v_lshlrev_b32_e32 v9, 20, v28
	v_lshl_add_u32 v3, v3, 23, 0x3c000000
	v_and_b32_e32 v8, 0x80000000, v8
	s_delay_alu instid0(VALU_DEP_1) | instskip(NEXT) | instid1(VALU_DEP_1)
	v_or3_b32 v28, v9, v8, v3
	v_dual_mov_b32 v179, v29 :: v_dual_mov_b32 v178, v28
.LBB264_441:                            ;   in Loop: Header=BB264_16 Depth=1
	s_or_b32 exec_lo, exec_lo, s24
.LBB264_442:                            ;   in Loop: Header=BB264_16 Depth=1
	s_delay_alu instid0(SALU_CYCLE_1)
	s_or_b32 exec_lo, exec_lo, s23
.LBB264_443:                            ;   in Loop: Header=BB264_16 Depth=1
	s_delay_alu instid0(SALU_CYCLE_1) | instskip(SKIP_2) | instid1(VALU_DEP_1)
	s_or_b32 exec_lo, exec_lo, s2
	v_lshrrev_b16 v3, 8, v2
	s_mov_b32 s23, exec_lo
	v_cmpx_ne_u16_e32 0, v3
	s_cbranch_execz .LBB264_451
; %bb.444:                              ;   in Loop: Header=BB264_16 Depth=1
	v_dual_mov_b32 v183, s17 :: v_dual_mov_b32 v182, s16
	s_mov_b32 s24, exec_lo
	v_cmpx_ne_u16_e32 0x80, v3
	s_cbranch_execz .LBB264_450
; %bb.445:                              ;   in Loop: Header=BB264_16 Depth=1
	s_mov_b32 s2, s16
	v_and_b32_e32 v3, 0xffff, v3
	v_dual_mov_b32 v183, s3 :: v_dual_mov_b32 v182, s2
	s_mov_b32 s2, exec_lo
	s_delay_alu instid0(VALU_DEP_2) | instskip(NEXT) | instid1(VALU_DEP_1)
	v_and_b32_e32 v8, 0x7f, v3
	v_cmpx_ne_u32_e32 0x7f, v8
	s_cbranch_execz .LBB264_449
; %bb.446:                              ;   in Loop: Header=BB264_16 Depth=1
	v_and_b32_e32 v28, 7, v3
	v_lshrrev_b32_e32 v3, 3, v8
	s_mov_b32 s25, exec_lo
	v_cmpx_gt_u32_e32 8, v8
; %bb.447:                              ;   in Loop: Header=BB264_16 Depth=1
	s_delay_alu instid0(VALU_DEP_3) | instskip(NEXT) | instid1(VALU_DEP_1)
	v_clz_i32_u32_e32 v3, v28
	v_min_u32_e32 v3, 32, v3
	s_delay_alu instid0(VALU_DEP_1) | instskip(SKIP_1) | instid1(VALU_DEP_2)
	v_subrev_nc_u32_e32 v8, 28, v3
	v_sub_nc_u32_e32 v3, 29, v3
	v_lshlrev_b64 v[8:9], v8, v[28:29]
	s_delay_alu instid0(VALU_DEP_1)
	v_and_b32_e32 v28, 7, v8
; %bb.448:                              ;   in Loop: Header=BB264_16 Depth=1
	s_or_b32 exec_lo, exec_lo, s25
	v_lshlrev_b32_e32 v8, 16, v2
	s_delay_alu instid0(VALU_DEP_2) | instskip(SKIP_1) | instid1(VALU_DEP_3)
	v_dual_mov_b32 v182, v29 :: v_dual_lshlrev_b32 v9, 20, v28
	v_lshl_add_u32 v3, v3, 23, 0x3c000000
	v_and_b32_e32 v8, 0x80000000, v8
	s_delay_alu instid0(VALU_DEP_1)
	v_or3_b32 v183, v9, v8, v3
.LBB264_449:                            ;   in Loop: Header=BB264_16 Depth=1
	s_or_b32 exec_lo, exec_lo, s2
.LBB264_450:                            ;   in Loop: Header=BB264_16 Depth=1
	s_delay_alu instid0(SALU_CYCLE_1)
	s_or_b32 exec_lo, exec_lo, s24
.LBB264_451:                            ;   in Loop: Header=BB264_16 Depth=1
	s_delay_alu instid0(SALU_CYCLE_1) | instskip(SKIP_4) | instid1(VALU_DEP_3)
	s_or_b32 exec_lo, exec_lo, s23
	v_lshrrev_b32_e32 v3, 16, v2
	v_mov_b32_e32 v41, 0
	v_mov_b32_e32 v42, 0
	s_mov_b32 s2, exec_lo
	v_and_b32_e32 v8, 0xff, v3
	scratch_store_b64 off, v[41:42], s32 offset:484 ; 8-byte Folded Spill
	v_cmpx_ne_u16_e32 0, v8
	s_cbranch_execz .LBB264_459
; %bb.452:                              ;   in Loop: Header=BB264_16 Depth=1
	v_cmp_ne_u16_e64 s1, 0x80, v8
	v_bfrev_b32_e32 v8, 1
	v_mov_b32_e32 v9, 0
	scratch_store_b64 off, v[8:9], s32 offset:484 ; 8-byte Folded Spill
	s_and_saveexec_b32 s23, s1
	s_cbranch_execz .LBB264_458
; %bb.453:                              ;   in Loop: Header=BB264_16 Depth=1
	v_mov_b32_e32 v18, 0x7f800001
	v_bfe_u32 v9, v2, 16, 7
	v_mov_b32_e32 v19, 0
	s_mov_b32 s24, exec_lo
	scratch_store_b64 off, v[18:19], s32 offset:484 ; 8-byte Folded Spill
	v_cmpx_ne_u32_e32 0x7f, v9
	s_cbranch_execz .LBB264_457
; %bb.454:                              ;   in Loop: Header=BB264_16 Depth=1
	v_and_b32_e32 v28, 7, v3
	v_lshrrev_b32_e32 v8, 3, v9
	s_mov_b32 s25, exec_lo
	v_cmpx_gt_u32_e32 8, v9
; %bb.455:                              ;   in Loop: Header=BB264_16 Depth=1
	s_delay_alu instid0(VALU_DEP_3) | instskip(NEXT) | instid1(VALU_DEP_1)
	v_clz_i32_u32_e32 v8, v28
	v_min_u32_e32 v8, 32, v8
	s_delay_alu instid0(VALU_DEP_1) | instskip(SKIP_1) | instid1(VALU_DEP_2)
	v_subrev_nc_u32_e32 v9, 28, v8
	v_sub_nc_u32_e32 v8, 29, v8
	v_lshlrev_b64 v[18:19], v9, v[28:29]
	s_delay_alu instid0(VALU_DEP_1)
	v_and_b32_e32 v28, 7, v18
; %bb.456:                              ;   in Loop: Header=BB264_16 Depth=1
	s_or_b32 exec_lo, exec_lo, s25
	v_lshlrev_b32_e32 v3, 24, v3
	s_delay_alu instid0(VALU_DEP_2) | instskip(SKIP_1) | instid1(VALU_DEP_3)
	v_lshlrev_b32_e32 v9, 20, v28
	v_lshl_add_u32 v8, v8, 23, 0x3c000000
	v_and_b32_e32 v3, 0x80000000, v3
	s_delay_alu instid0(VALU_DEP_1)
	v_or3_b32 v28, v9, v3, v8
	scratch_store_b64 off, v[28:29], s32 offset:484 ; 8-byte Folded Spill
.LBB264_457:                            ;   in Loop: Header=BB264_16 Depth=1
	s_or_b32 exec_lo, exec_lo, s24
.LBB264_458:                            ;   in Loop: Header=BB264_16 Depth=1
	s_delay_alu instid0(SALU_CYCLE_1)
	s_or_b32 exec_lo, exec_lo, s23
.LBB264_459:                            ;   in Loop: Header=BB264_16 Depth=1
	s_delay_alu instid0(SALU_CYCLE_1) | instskip(NEXT) | instid1(SALU_CYCLE_1)
	s_or_b32 exec_lo, exec_lo, s2
	s_mov_b32 s23, exec_lo
	v_cmpx_lt_u32_e32 0xffffff, v2
	s_cbranch_execz .LBB264_467
; %bb.460:                              ;   in Loop: Header=BB264_16 Depth=1
	v_lshrrev_b32_e32 v3, 24, v2
	v_dual_mov_b32 v42, s17 :: v_dual_mov_b32 v41, s16
	s_mov_b32 s24, exec_lo
	s_delay_alu instid0(VALU_DEP_2)
	v_cmpx_ne_u32_e32 0x80, v3
	s_cbranch_execz .LBB264_466
; %bb.461:                              ;   in Loop: Header=BB264_16 Depth=1
	s_mov_b32 s2, s16
	v_bfe_u32 v8, v2, 24, 7
	v_dual_mov_b32 v42, s3 :: v_dual_mov_b32 v41, s2
	s_mov_b32 s2, exec_lo
	s_delay_alu instid0(VALU_DEP_2)
	v_cmpx_ne_u32_e32 0x7f, v8
	s_cbranch_execz .LBB264_465
; %bb.462:                              ;   in Loop: Header=BB264_16 Depth=1
	v_and_b32_e32 v28, 7, v3
	v_lshrrev_b32_e32 v2, 3, v8
	s_mov_b32 s25, exec_lo
	v_cmpx_gt_u32_e32 8, v8
; %bb.463:                              ;   in Loop: Header=BB264_16 Depth=1
	s_delay_alu instid0(VALU_DEP_3) | instskip(NEXT) | instid1(VALU_DEP_1)
	v_clz_i32_u32_e32 v2, v28
	v_min_u32_e32 v2, 32, v2
	s_delay_alu instid0(VALU_DEP_1) | instskip(SKIP_1) | instid1(VALU_DEP_2)
	v_subrev_nc_u32_e32 v8, 28, v2
	v_sub_nc_u32_e32 v2, 29, v2
	v_lshlrev_b64 v[8:9], v8, v[28:29]
	s_delay_alu instid0(VALU_DEP_1)
	v_and_b32_e32 v28, 7, v8
; %bb.464:                              ;   in Loop: Header=BB264_16 Depth=1
	s_or_b32 exec_lo, exec_lo, s25
	v_lshlrev_b32_e32 v3, 24, v3
	s_delay_alu instid0(VALU_DEP_2) | instskip(SKIP_1) | instid1(VALU_DEP_3)
	v_dual_mov_b32 v41, v29 :: v_dual_lshlrev_b32 v8, 20, v28
	v_lshl_add_u32 v2, v2, 23, 0x3c000000
	v_and_b32_e32 v3, 0x80000000, v3
	s_delay_alu instid0(VALU_DEP_1)
	v_or3_b32 v42, v8, v3, v2
.LBB264_465:                            ;   in Loop: Header=BB264_16 Depth=1
	s_or_b32 exec_lo, exec_lo, s2
.LBB264_466:                            ;   in Loop: Header=BB264_16 Depth=1
	s_delay_alu instid0(SALU_CYCLE_1)
	s_or_b32 exec_lo, exec_lo, s24
.LBB264_467:                            ;   in Loop: Header=BB264_16 Depth=1
	s_delay_alu instid0(SALU_CYCLE_1)
	s_or_b32 exec_lo, exec_lo, s23
	flat_load_b32 v2, v[152:153] offset:1544
	v_mov_b32_e32 v45, 0
	v_mov_b32_e32 v46, 0
	s_mov_b32 s2, exec_lo
	s_waitcnt vmcnt(0) lgkmcnt(0)
	v_and_b32_e32 v3, 0xff, v2
	s_delay_alu instid0(VALU_DEP_2) | instskip(NEXT) | instid1(VALU_DEP_2)
	v_dual_mov_b32 v129, v46 :: v_dual_mov_b32 v128, v45
	v_cmpx_ne_u16_e32 0, v3
	s_cbranch_execz .LBB264_475
; %bb.468:                              ;   in Loop: Header=BB264_16 Depth=1
	v_bfrev_b32_e32 v128, 1
	v_mov_b32_e32 v129, 0
	s_mov_b32 s23, exec_lo
	v_cmpx_ne_u16_e32 0x80, v3
	s_cbranch_execz .LBB264_474
; %bb.469:                              ;   in Loop: Header=BB264_16 Depth=1
	v_mov_b32_e32 v128, 0x7f800001
	v_dual_mov_b32 v129, 0 :: v_dual_and_b32 v8, 0x7f, v2
	s_mov_b32 s24, exec_lo
	s_delay_alu instid0(VALU_DEP_1)
	v_cmpx_ne_u32_e32 0x7f, v8
	s_cbranch_execz .LBB264_473
; %bb.470:                              ;   in Loop: Header=BB264_16 Depth=1
	v_and_b32_e32 v28, 7, v2
	v_lshrrev_b32_e32 v3, 3, v8
	s_mov_b32 s25, exec_lo
	v_cmpx_gt_u32_e32 8, v8
; %bb.471:                              ;   in Loop: Header=BB264_16 Depth=1
	s_delay_alu instid0(VALU_DEP_3) | instskip(NEXT) | instid1(VALU_DEP_1)
	v_clz_i32_u32_e32 v3, v28
	v_min_u32_e32 v3, 32, v3
	s_delay_alu instid0(VALU_DEP_1) | instskip(SKIP_1) | instid1(VALU_DEP_2)
	v_subrev_nc_u32_e32 v8, 28, v3
	v_sub_nc_u32_e32 v3, 29, v3
	v_lshlrev_b64 v[8:9], v8, v[28:29]
	s_delay_alu instid0(VALU_DEP_1)
	v_and_b32_e32 v28, 7, v8
; %bb.472:                              ;   in Loop: Header=BB264_16 Depth=1
	s_or_b32 exec_lo, exec_lo, s25
	v_lshlrev_b32_e32 v8, 24, v2
	s_delay_alu instid0(VALU_DEP_2) | instskip(SKIP_1) | instid1(VALU_DEP_3)
	v_lshlrev_b32_e32 v9, 20, v28
	v_lshl_add_u32 v3, v3, 23, 0x3c000000
	v_and_b32_e32 v8, 0x80000000, v8
	s_delay_alu instid0(VALU_DEP_1) | instskip(NEXT) | instid1(VALU_DEP_1)
	v_or3_b32 v28, v9, v8, v3
	v_dual_mov_b32 v129, v29 :: v_dual_mov_b32 v128, v28
.LBB264_473:                            ;   in Loop: Header=BB264_16 Depth=1
	s_or_b32 exec_lo, exec_lo, s24
.LBB264_474:                            ;   in Loop: Header=BB264_16 Depth=1
	s_delay_alu instid0(SALU_CYCLE_1)
	s_or_b32 exec_lo, exec_lo, s23
.LBB264_475:                            ;   in Loop: Header=BB264_16 Depth=1
	s_delay_alu instid0(SALU_CYCLE_1) | instskip(SKIP_2) | instid1(VALU_DEP_1)
	s_or_b32 exec_lo, exec_lo, s2
	v_lshrrev_b16 v3, 8, v2
	s_mov_b32 s23, exec_lo
	v_cmpx_ne_u16_e32 0, v3
	s_cbranch_execz .LBB264_483
; %bb.476:                              ;   in Loop: Header=BB264_16 Depth=1
	v_dual_mov_b32 v46, s17 :: v_dual_mov_b32 v45, s16
	s_mov_b32 s24, exec_lo
	v_cmpx_ne_u16_e32 0x80, v3
	s_cbranch_execz .LBB264_482
; %bb.477:                              ;   in Loop: Header=BB264_16 Depth=1
	s_mov_b32 s2, s16
	v_dual_mov_b32 v46, s3 :: v_dual_and_b32 v3, 0xffff, v3
	v_mov_b32_e32 v45, s2
	s_mov_b32 s2, exec_lo
	s_delay_alu instid0(VALU_DEP_2) | instskip(NEXT) | instid1(VALU_DEP_1)
	v_and_b32_e32 v8, 0x7f, v3
	v_cmpx_ne_u32_e32 0x7f, v8
	s_cbranch_execz .LBB264_481
; %bb.478:                              ;   in Loop: Header=BB264_16 Depth=1
	v_and_b32_e32 v28, 7, v3
	v_lshrrev_b32_e32 v3, 3, v8
	s_mov_b32 s25, exec_lo
	v_cmpx_gt_u32_e32 8, v8
; %bb.479:                              ;   in Loop: Header=BB264_16 Depth=1
	s_delay_alu instid0(VALU_DEP_3) | instskip(NEXT) | instid1(VALU_DEP_1)
	v_clz_i32_u32_e32 v3, v28
	v_min_u32_e32 v3, 32, v3
	s_delay_alu instid0(VALU_DEP_1) | instskip(SKIP_1) | instid1(VALU_DEP_2)
	v_subrev_nc_u32_e32 v8, 28, v3
	v_sub_nc_u32_e32 v3, 29, v3
	v_lshlrev_b64 v[8:9], v8, v[28:29]
	s_delay_alu instid0(VALU_DEP_1)
	v_and_b32_e32 v28, 7, v8
; %bb.480:                              ;   in Loop: Header=BB264_16 Depth=1
	s_or_b32 exec_lo, exec_lo, s25
	v_dual_mov_b32 v45, v29 :: v_dual_lshlrev_b32 v8, 16, v2
	s_delay_alu instid0(VALU_DEP_2) | instskip(SKIP_1) | instid1(VALU_DEP_3)
	v_lshlrev_b32_e32 v9, 20, v28
	v_lshl_add_u32 v3, v3, 23, 0x3c000000
	v_and_b32_e32 v8, 0x80000000, v8
	s_delay_alu instid0(VALU_DEP_1)
	v_or3_b32 v46, v9, v8, v3
.LBB264_481:                            ;   in Loop: Header=BB264_16 Depth=1
	s_or_b32 exec_lo, exec_lo, s2
.LBB264_482:                            ;   in Loop: Header=BB264_16 Depth=1
	s_delay_alu instid0(SALU_CYCLE_1)
	s_or_b32 exec_lo, exec_lo, s24
.LBB264_483:                            ;   in Loop: Header=BB264_16 Depth=1
	s_delay_alu instid0(SALU_CYCLE_1) | instskip(SKIP_4) | instid1(VALU_DEP_2)
	s_or_b32 exec_lo, exec_lo, s23
	v_mov_b32_e32 v148, 0
	v_lshrrev_b32_e32 v3, 16, v2
	v_mov_b32_e32 v149, 0
	s_mov_b32 s2, exec_lo
	v_and_b32_e32 v8, 0xff, v3
	s_delay_alu instid0(VALU_DEP_2) | instskip(NEXT) | instid1(VALU_DEP_2)
	v_dual_mov_b32 v144, v148 :: v_dual_mov_b32 v145, v149
	v_cmpx_ne_u16_e32 0, v8
	s_cbranch_execz .LBB264_491
; %bb.484:                              ;   in Loop: Header=BB264_16 Depth=1
	v_bfrev_b32_e32 v144, 1
	v_mov_b32_e32 v145, 0
	s_mov_b32 s23, exec_lo
	v_cmpx_ne_u16_e32 0x80, v8
	s_cbranch_execz .LBB264_490
; %bb.485:                              ;   in Loop: Header=BB264_16 Depth=1
	v_mov_b32_e32 v144, 0x7f800001
	v_bfe_u32 v9, v2, 16, 7
	v_mov_b32_e32 v145, 0
	s_mov_b32 s24, exec_lo
	s_delay_alu instid0(VALU_DEP_2)
	v_cmpx_ne_u32_e32 0x7f, v9
	s_cbranch_execz .LBB264_489
; %bb.486:                              ;   in Loop: Header=BB264_16 Depth=1
	v_and_b32_e32 v28, 7, v3
	v_lshrrev_b32_e32 v8, 3, v9
	s_mov_b32 s25, exec_lo
	v_cmpx_gt_u32_e32 8, v9
; %bb.487:                              ;   in Loop: Header=BB264_16 Depth=1
	s_delay_alu instid0(VALU_DEP_3) | instskip(NEXT) | instid1(VALU_DEP_1)
	v_clz_i32_u32_e32 v8, v28
	v_min_u32_e32 v8, 32, v8
	s_delay_alu instid0(VALU_DEP_1) | instskip(SKIP_1) | instid1(VALU_DEP_2)
	v_subrev_nc_u32_e32 v9, 28, v8
	v_sub_nc_u32_e32 v8, 29, v8
	v_lshlrev_b64 v[18:19], v9, v[28:29]
	s_delay_alu instid0(VALU_DEP_1)
	v_and_b32_e32 v28, 7, v18
; %bb.488:                              ;   in Loop: Header=BB264_16 Depth=1
	s_or_b32 exec_lo, exec_lo, s25
	v_lshlrev_b32_e32 v3, 24, v3
	s_delay_alu instid0(VALU_DEP_2) | instskip(SKIP_1) | instid1(VALU_DEP_3)
	v_lshlrev_b32_e32 v9, 20, v28
	v_lshl_add_u32 v8, v8, 23, 0x3c000000
	v_and_b32_e32 v3, 0x80000000, v3
	s_delay_alu instid0(VALU_DEP_1) | instskip(NEXT) | instid1(VALU_DEP_1)
	v_or3_b32 v28, v9, v3, v8
	v_dual_mov_b32 v145, v29 :: v_dual_mov_b32 v144, v28
.LBB264_489:                            ;   in Loop: Header=BB264_16 Depth=1
	s_or_b32 exec_lo, exec_lo, s24
.LBB264_490:                            ;   in Loop: Header=BB264_16 Depth=1
	s_delay_alu instid0(SALU_CYCLE_1)
	s_or_b32 exec_lo, exec_lo, s23
.LBB264_491:                            ;   in Loop: Header=BB264_16 Depth=1
	s_delay_alu instid0(SALU_CYCLE_1) | instskip(NEXT) | instid1(SALU_CYCLE_1)
	s_or_b32 exec_lo, exec_lo, s2
	s_mov_b32 s23, exec_lo
	v_cmpx_lt_u32_e32 0xffffff, v2
	s_cbranch_execz .LBB264_499
; %bb.492:                              ;   in Loop: Header=BB264_16 Depth=1
	v_lshrrev_b32_e32 v3, 24, v2
	v_dual_mov_b32 v149, s17 :: v_dual_mov_b32 v148, s16
	s_mov_b32 s24, exec_lo
	s_delay_alu instid0(VALU_DEP_2)
	v_cmpx_ne_u32_e32 0x80, v3
	s_cbranch_execz .LBB264_498
; %bb.493:                              ;   in Loop: Header=BB264_16 Depth=1
	s_mov_b32 s2, s16
	v_bfe_u32 v8, v2, 24, 7
	v_dual_mov_b32 v149, s3 :: v_dual_mov_b32 v148, s2
	s_mov_b32 s2, exec_lo
	s_delay_alu instid0(VALU_DEP_2)
	v_cmpx_ne_u32_e32 0x7f, v8
	s_cbranch_execz .LBB264_497
; %bb.494:                              ;   in Loop: Header=BB264_16 Depth=1
	v_and_b32_e32 v28, 7, v3
	v_lshrrev_b32_e32 v2, 3, v8
	s_mov_b32 s25, exec_lo
	v_cmpx_gt_u32_e32 8, v8
; %bb.495:                              ;   in Loop: Header=BB264_16 Depth=1
	s_delay_alu instid0(VALU_DEP_3) | instskip(NEXT) | instid1(VALU_DEP_1)
	v_clz_i32_u32_e32 v2, v28
	v_min_u32_e32 v2, 32, v2
	s_delay_alu instid0(VALU_DEP_1) | instskip(SKIP_1) | instid1(VALU_DEP_2)
	v_subrev_nc_u32_e32 v8, 28, v2
	v_sub_nc_u32_e32 v2, 29, v2
	v_lshlrev_b64 v[8:9], v8, v[28:29]
	s_delay_alu instid0(VALU_DEP_1)
	v_and_b32_e32 v28, 7, v8
; %bb.496:                              ;   in Loop: Header=BB264_16 Depth=1
	s_or_b32 exec_lo, exec_lo, s25
	v_dual_mov_b32 v148, v29 :: v_dual_lshlrev_b32 v3, 24, v3
	s_delay_alu instid0(VALU_DEP_2) | instskip(SKIP_1) | instid1(VALU_DEP_3)
	v_lshlrev_b32_e32 v8, 20, v28
	v_lshl_add_u32 v2, v2, 23, 0x3c000000
	v_and_b32_e32 v3, 0x80000000, v3
	s_delay_alu instid0(VALU_DEP_1)
	v_or3_b32 v149, v8, v3, v2
.LBB264_497:                            ;   in Loop: Header=BB264_16 Depth=1
	s_or_b32 exec_lo, exec_lo, s2
.LBB264_498:                            ;   in Loop: Header=BB264_16 Depth=1
	s_delay_alu instid0(SALU_CYCLE_1)
	s_or_b32 exec_lo, exec_lo, s24
.LBB264_499:                            ;   in Loop: Header=BB264_16 Depth=1
	s_delay_alu instid0(SALU_CYCLE_1) | instskip(SKIP_3) | instid1(VALU_DEP_2)
	s_or_b32 exec_lo, exec_lo, s23
	flat_load_b32 v2, v[152:153] offset:1548
	v_mov_b32_e32 v160, 0
	v_mov_b32_e32 v161, 0
	v_mov_b32_e32 v62, v160
	s_mov_b32 s2, exec_lo
	s_delay_alu instid0(VALU_DEP_2) | instskip(SKIP_2) | instid1(VALU_DEP_1)
	v_mov_b32_e32 v63, v161
	s_waitcnt vmcnt(0) lgkmcnt(0)
	v_and_b32_e32 v3, 0xff, v2
	v_cmpx_ne_u16_e32 0, v3
	s_cbranch_execz .LBB264_507
; %bb.500:                              ;   in Loop: Header=BB264_16 Depth=1
	v_bfrev_b32_e32 v62, 1
	v_mov_b32_e32 v63, 0
	s_mov_b32 s23, exec_lo
	v_cmpx_ne_u16_e32 0x80, v3
	s_cbranch_execz .LBB264_506
; %bb.501:                              ;   in Loop: Header=BB264_16 Depth=1
	v_mov_b32_e32 v62, 0x7f800001
	v_dual_mov_b32 v63, 0 :: v_dual_and_b32 v8, 0x7f, v2
	s_mov_b32 s24, exec_lo
	s_delay_alu instid0(VALU_DEP_1)
	v_cmpx_ne_u32_e32 0x7f, v8
	s_cbranch_execz .LBB264_505
; %bb.502:                              ;   in Loop: Header=BB264_16 Depth=1
	v_and_b32_e32 v28, 7, v2
	v_lshrrev_b32_e32 v3, 3, v8
	s_mov_b32 s25, exec_lo
	v_cmpx_gt_u32_e32 8, v8
; %bb.503:                              ;   in Loop: Header=BB264_16 Depth=1
	s_delay_alu instid0(VALU_DEP_3) | instskip(NEXT) | instid1(VALU_DEP_1)
	v_clz_i32_u32_e32 v3, v28
	v_min_u32_e32 v3, 32, v3
	s_delay_alu instid0(VALU_DEP_1) | instskip(SKIP_1) | instid1(VALU_DEP_2)
	v_subrev_nc_u32_e32 v8, 28, v3
	v_sub_nc_u32_e32 v3, 29, v3
	v_lshlrev_b64 v[8:9], v8, v[28:29]
	s_delay_alu instid0(VALU_DEP_1)
	v_and_b32_e32 v28, 7, v8
; %bb.504:                              ;   in Loop: Header=BB264_16 Depth=1
	s_or_b32 exec_lo, exec_lo, s25
	v_lshlrev_b32_e32 v8, 24, v2
	s_delay_alu instid0(VALU_DEP_2) | instskip(SKIP_1) | instid1(VALU_DEP_3)
	v_lshlrev_b32_e32 v9, 20, v28
	v_lshl_add_u32 v3, v3, 23, 0x3c000000
	v_and_b32_e32 v8, 0x80000000, v8
	s_delay_alu instid0(VALU_DEP_1) | instskip(NEXT) | instid1(VALU_DEP_1)
	v_or3_b32 v28, v9, v8, v3
	v_dual_mov_b32 v63, v29 :: v_dual_mov_b32 v62, v28
.LBB264_505:                            ;   in Loop: Header=BB264_16 Depth=1
	s_or_b32 exec_lo, exec_lo, s24
.LBB264_506:                            ;   in Loop: Header=BB264_16 Depth=1
	s_delay_alu instid0(SALU_CYCLE_1)
	s_or_b32 exec_lo, exec_lo, s23
.LBB264_507:                            ;   in Loop: Header=BB264_16 Depth=1
	s_delay_alu instid0(SALU_CYCLE_1) | instskip(SKIP_2) | instid1(VALU_DEP_1)
	s_or_b32 exec_lo, exec_lo, s2
	v_lshrrev_b16 v3, 8, v2
	s_mov_b32 s23, exec_lo
	v_cmpx_ne_u16_e32 0, v3
	s_cbranch_execz .LBB264_515
; %bb.508:                              ;   in Loop: Header=BB264_16 Depth=1
	v_dual_mov_b32 v161, s17 :: v_dual_mov_b32 v160, s16
	s_mov_b32 s24, exec_lo
	v_cmpx_ne_u16_e32 0x80, v3
	s_cbranch_execz .LBB264_514
; %bb.509:                              ;   in Loop: Header=BB264_16 Depth=1
	s_mov_b32 s2, s16
	v_and_b32_e32 v3, 0xffff, v3
	v_dual_mov_b32 v161, s3 :: v_dual_mov_b32 v160, s2
	s_mov_b32 s2, exec_lo
	s_delay_alu instid0(VALU_DEP_2) | instskip(NEXT) | instid1(VALU_DEP_1)
	v_and_b32_e32 v8, 0x7f, v3
	v_cmpx_ne_u32_e32 0x7f, v8
	s_cbranch_execz .LBB264_513
; %bb.510:                              ;   in Loop: Header=BB264_16 Depth=1
	v_and_b32_e32 v28, 7, v3
	v_lshrrev_b32_e32 v3, 3, v8
	s_mov_b32 s25, exec_lo
	v_cmpx_gt_u32_e32 8, v8
; %bb.511:                              ;   in Loop: Header=BB264_16 Depth=1
	s_delay_alu instid0(VALU_DEP_3) | instskip(NEXT) | instid1(VALU_DEP_1)
	v_clz_i32_u32_e32 v3, v28
	v_min_u32_e32 v3, 32, v3
	s_delay_alu instid0(VALU_DEP_1) | instskip(SKIP_1) | instid1(VALU_DEP_2)
	v_subrev_nc_u32_e32 v8, 28, v3
	v_sub_nc_u32_e32 v3, 29, v3
	v_lshlrev_b64 v[8:9], v8, v[28:29]
	s_delay_alu instid0(VALU_DEP_1)
	v_and_b32_e32 v28, 7, v8
; %bb.512:                              ;   in Loop: Header=BB264_16 Depth=1
	s_or_b32 exec_lo, exec_lo, s25
	v_lshlrev_b32_e32 v8, 16, v2
	s_delay_alu instid0(VALU_DEP_2) | instskip(SKIP_1) | instid1(VALU_DEP_3)
	v_dual_mov_b32 v160, v29 :: v_dual_lshlrev_b32 v9, 20, v28
	v_lshl_add_u32 v3, v3, 23, 0x3c000000
	v_and_b32_e32 v8, 0x80000000, v8
	s_delay_alu instid0(VALU_DEP_1)
	v_or3_b32 v161, v9, v8, v3
.LBB264_513:                            ;   in Loop: Header=BB264_16 Depth=1
	s_or_b32 exec_lo, exec_lo, s2
.LBB264_514:                            ;   in Loop: Header=BB264_16 Depth=1
	s_delay_alu instid0(SALU_CYCLE_1)
	s_or_b32 exec_lo, exec_lo, s24
.LBB264_515:                            ;   in Loop: Header=BB264_16 Depth=1
	s_delay_alu instid0(SALU_CYCLE_1) | instskip(SKIP_4) | instid1(VALU_DEP_2)
	s_or_b32 exec_lo, exec_lo, s23
	v_mov_b32_e32 v164, 0
	v_lshrrev_b32_e32 v3, 16, v2
	v_mov_b32_e32 v165, 0
	s_mov_b32 s2, exec_lo
	v_and_b32_e32 v8, 0xff, v3
	s_delay_alu instid0(VALU_DEP_2) | instskip(NEXT) | instid1(VALU_DEP_2)
	v_dual_mov_b32 v74, v164 :: v_dual_mov_b32 v75, v165
	v_cmpx_ne_u16_e32 0, v8
	s_cbranch_execz .LBB264_523
; %bb.516:                              ;   in Loop: Header=BB264_16 Depth=1
	v_bfrev_b32_e32 v74, 1
	v_mov_b32_e32 v75, 0
	s_mov_b32 s23, exec_lo
	v_cmpx_ne_u16_e32 0x80, v8
	s_cbranch_execz .LBB264_522
; %bb.517:                              ;   in Loop: Header=BB264_16 Depth=1
	v_mov_b32_e32 v74, 0x7f800001
	v_bfe_u32 v9, v2, 16, 7
	v_mov_b32_e32 v75, 0
	s_mov_b32 s24, exec_lo
	s_delay_alu instid0(VALU_DEP_2)
	v_cmpx_ne_u32_e32 0x7f, v9
	s_cbranch_execz .LBB264_521
; %bb.518:                              ;   in Loop: Header=BB264_16 Depth=1
	v_and_b32_e32 v28, 7, v3
	v_lshrrev_b32_e32 v8, 3, v9
	s_mov_b32 s25, exec_lo
	v_cmpx_gt_u32_e32 8, v9
; %bb.519:                              ;   in Loop: Header=BB264_16 Depth=1
	s_delay_alu instid0(VALU_DEP_3) | instskip(NEXT) | instid1(VALU_DEP_1)
	v_clz_i32_u32_e32 v8, v28
	v_min_u32_e32 v8, 32, v8
	s_delay_alu instid0(VALU_DEP_1) | instskip(SKIP_1) | instid1(VALU_DEP_2)
	v_subrev_nc_u32_e32 v9, 28, v8
	v_sub_nc_u32_e32 v8, 29, v8
	v_lshlrev_b64 v[18:19], v9, v[28:29]
	s_delay_alu instid0(VALU_DEP_1)
	v_and_b32_e32 v28, 7, v18
; %bb.520:                              ;   in Loop: Header=BB264_16 Depth=1
	s_or_b32 exec_lo, exec_lo, s25
	v_lshlrev_b32_e32 v3, 24, v3
	s_delay_alu instid0(VALU_DEP_2) | instskip(SKIP_1) | instid1(VALU_DEP_3)
	v_lshlrev_b32_e32 v9, 20, v28
	v_lshl_add_u32 v8, v8, 23, 0x3c000000
	v_and_b32_e32 v3, 0x80000000, v3
	s_delay_alu instid0(VALU_DEP_1) | instskip(NEXT) | instid1(VALU_DEP_1)
	v_or3_b32 v28, v9, v3, v8
	v_dual_mov_b32 v75, v29 :: v_dual_mov_b32 v74, v28
.LBB264_521:                            ;   in Loop: Header=BB264_16 Depth=1
	s_or_b32 exec_lo, exec_lo, s24
.LBB264_522:                            ;   in Loop: Header=BB264_16 Depth=1
	s_delay_alu instid0(SALU_CYCLE_1)
	s_or_b32 exec_lo, exec_lo, s23
.LBB264_523:                            ;   in Loop: Header=BB264_16 Depth=1
	s_delay_alu instid0(SALU_CYCLE_1) | instskip(NEXT) | instid1(SALU_CYCLE_1)
	s_or_b32 exec_lo, exec_lo, s2
	s_mov_b32 s23, exec_lo
	v_cmpx_lt_u32_e32 0xffffff, v2
	s_cbranch_execz .LBB264_531
; %bb.524:                              ;   in Loop: Header=BB264_16 Depth=1
	v_lshrrev_b32_e32 v3, 24, v2
	v_dual_mov_b32 v165, s17 :: v_dual_mov_b32 v164, s16
	s_mov_b32 s24, exec_lo
	s_delay_alu instid0(VALU_DEP_2)
	v_cmpx_ne_u32_e32 0x80, v3
	s_cbranch_execz .LBB264_530
; %bb.525:                              ;   in Loop: Header=BB264_16 Depth=1
	s_mov_b32 s2, s16
	v_bfe_u32 v8, v2, 24, 7
	v_dual_mov_b32 v165, s3 :: v_dual_mov_b32 v164, s2
	s_mov_b32 s2, exec_lo
	s_delay_alu instid0(VALU_DEP_2)
	v_cmpx_ne_u32_e32 0x7f, v8
	s_cbranch_execz .LBB264_529
; %bb.526:                              ;   in Loop: Header=BB264_16 Depth=1
	v_and_b32_e32 v28, 7, v3
	v_lshrrev_b32_e32 v2, 3, v8
	s_mov_b32 s25, exec_lo
	v_cmpx_gt_u32_e32 8, v8
; %bb.527:                              ;   in Loop: Header=BB264_16 Depth=1
	s_delay_alu instid0(VALU_DEP_3) | instskip(NEXT) | instid1(VALU_DEP_1)
	v_clz_i32_u32_e32 v2, v28
	v_min_u32_e32 v2, 32, v2
	s_delay_alu instid0(VALU_DEP_1) | instskip(SKIP_1) | instid1(VALU_DEP_2)
	v_subrev_nc_u32_e32 v8, 28, v2
	v_sub_nc_u32_e32 v2, 29, v2
	v_lshlrev_b64 v[8:9], v8, v[28:29]
	s_delay_alu instid0(VALU_DEP_1)
	v_and_b32_e32 v28, 7, v8
; %bb.528:                              ;   in Loop: Header=BB264_16 Depth=1
	s_or_b32 exec_lo, exec_lo, s25
	v_dual_mov_b32 v164, v29 :: v_dual_lshlrev_b32 v3, 24, v3
	s_delay_alu instid0(VALU_DEP_2) | instskip(SKIP_1) | instid1(VALU_DEP_3)
	v_lshlrev_b32_e32 v8, 20, v28
	v_lshl_add_u32 v2, v2, 23, 0x3c000000
	v_and_b32_e32 v3, 0x80000000, v3
	s_delay_alu instid0(VALU_DEP_1)
	v_or3_b32 v165, v8, v3, v2
.LBB264_529:                            ;   in Loop: Header=BB264_16 Depth=1
	s_or_b32 exec_lo, exec_lo, s2
.LBB264_530:                            ;   in Loop: Header=BB264_16 Depth=1
	s_delay_alu instid0(SALU_CYCLE_1)
	s_or_b32 exec_lo, exec_lo, s24
.LBB264_531:                            ;   in Loop: Header=BB264_16 Depth=1
	s_delay_alu instid0(SALU_CYCLE_1) | instskip(SKIP_3) | instid1(VALU_DEP_2)
	s_or_b32 exec_lo, exec_lo, s23
	flat_load_b32 v2, v[152:153] offset:2048
	v_mov_b32_e32 v176, 0
	v_mov_b32_e32 v177, 0
	v_mov_b32_e32 v78, v176
	s_mov_b32 s2, exec_lo
	s_delay_alu instid0(VALU_DEP_2) | instskip(SKIP_2) | instid1(VALU_DEP_1)
	v_mov_b32_e32 v79, v177
	s_waitcnt vmcnt(0) lgkmcnt(0)
	v_and_b32_e32 v3, 0xff, v2
	v_cmpx_ne_u16_e32 0, v3
	s_cbranch_execz .LBB264_539
; %bb.532:                              ;   in Loop: Header=BB264_16 Depth=1
	v_bfrev_b32_e32 v78, 1
	v_mov_b32_e32 v79, 0
	s_mov_b32 s23, exec_lo
	v_cmpx_ne_u16_e32 0x80, v3
	s_cbranch_execz .LBB264_538
; %bb.533:                              ;   in Loop: Header=BB264_16 Depth=1
	v_mov_b32_e32 v78, 0x7f800001
	v_dual_mov_b32 v79, 0 :: v_dual_and_b32 v8, 0x7f, v2
	s_mov_b32 s24, exec_lo
	s_delay_alu instid0(VALU_DEP_1)
	v_cmpx_ne_u32_e32 0x7f, v8
	s_cbranch_execz .LBB264_537
; %bb.534:                              ;   in Loop: Header=BB264_16 Depth=1
	v_and_b32_e32 v28, 7, v2
	v_lshrrev_b32_e32 v3, 3, v8
	s_mov_b32 s25, exec_lo
	v_cmpx_gt_u32_e32 8, v8
; %bb.535:                              ;   in Loop: Header=BB264_16 Depth=1
	s_delay_alu instid0(VALU_DEP_3) | instskip(NEXT) | instid1(VALU_DEP_1)
	v_clz_i32_u32_e32 v3, v28
	v_min_u32_e32 v3, 32, v3
	s_delay_alu instid0(VALU_DEP_1) | instskip(SKIP_1) | instid1(VALU_DEP_2)
	v_subrev_nc_u32_e32 v8, 28, v3
	v_sub_nc_u32_e32 v3, 29, v3
	v_lshlrev_b64 v[8:9], v8, v[28:29]
	s_delay_alu instid0(VALU_DEP_1)
	v_and_b32_e32 v28, 7, v8
; %bb.536:                              ;   in Loop: Header=BB264_16 Depth=1
	s_or_b32 exec_lo, exec_lo, s25
	v_lshlrev_b32_e32 v8, 24, v2
	s_delay_alu instid0(VALU_DEP_2) | instskip(SKIP_1) | instid1(VALU_DEP_3)
	v_lshlrev_b32_e32 v9, 20, v28
	v_lshl_add_u32 v3, v3, 23, 0x3c000000
	v_and_b32_e32 v8, 0x80000000, v8
	s_delay_alu instid0(VALU_DEP_1) | instskip(NEXT) | instid1(VALU_DEP_1)
	v_or3_b32 v28, v9, v8, v3
	v_dual_mov_b32 v79, v29 :: v_dual_mov_b32 v78, v28
.LBB264_537:                            ;   in Loop: Header=BB264_16 Depth=1
	s_or_b32 exec_lo, exec_lo, s24
.LBB264_538:                            ;   in Loop: Header=BB264_16 Depth=1
	s_delay_alu instid0(SALU_CYCLE_1)
	s_or_b32 exec_lo, exec_lo, s23
.LBB264_539:                            ;   in Loop: Header=BB264_16 Depth=1
	s_delay_alu instid0(SALU_CYCLE_1) | instskip(SKIP_2) | instid1(VALU_DEP_1)
	s_or_b32 exec_lo, exec_lo, s2
	v_lshrrev_b16 v3, 8, v2
	s_mov_b32 s23, exec_lo
	v_cmpx_ne_u16_e32 0, v3
	s_cbranch_execz .LBB264_547
; %bb.540:                              ;   in Loop: Header=BB264_16 Depth=1
	v_dual_mov_b32 v177, s17 :: v_dual_mov_b32 v176, s16
	s_mov_b32 s24, exec_lo
	v_cmpx_ne_u16_e32 0x80, v3
	s_cbranch_execz .LBB264_546
; %bb.541:                              ;   in Loop: Header=BB264_16 Depth=1
	s_mov_b32 s2, s16
	v_and_b32_e32 v3, 0xffff, v3
	v_dual_mov_b32 v177, s3 :: v_dual_mov_b32 v176, s2
	s_mov_b32 s2, exec_lo
	s_delay_alu instid0(VALU_DEP_2) | instskip(NEXT) | instid1(VALU_DEP_1)
	v_and_b32_e32 v8, 0x7f, v3
	v_cmpx_ne_u32_e32 0x7f, v8
	s_cbranch_execz .LBB264_545
; %bb.542:                              ;   in Loop: Header=BB264_16 Depth=1
	v_and_b32_e32 v28, 7, v3
	v_lshrrev_b32_e32 v3, 3, v8
	s_mov_b32 s25, exec_lo
	v_cmpx_gt_u32_e32 8, v8
; %bb.543:                              ;   in Loop: Header=BB264_16 Depth=1
	s_delay_alu instid0(VALU_DEP_3) | instskip(NEXT) | instid1(VALU_DEP_1)
	v_clz_i32_u32_e32 v3, v28
	v_min_u32_e32 v3, 32, v3
	s_delay_alu instid0(VALU_DEP_1) | instskip(SKIP_1) | instid1(VALU_DEP_2)
	v_subrev_nc_u32_e32 v8, 28, v3
	v_sub_nc_u32_e32 v3, 29, v3
	v_lshlrev_b64 v[8:9], v8, v[28:29]
	s_delay_alu instid0(VALU_DEP_1)
	v_and_b32_e32 v28, 7, v8
; %bb.544:                              ;   in Loop: Header=BB264_16 Depth=1
	s_or_b32 exec_lo, exec_lo, s25
	v_lshlrev_b32_e32 v8, 16, v2
	s_delay_alu instid0(VALU_DEP_2) | instskip(SKIP_1) | instid1(VALU_DEP_3)
	v_dual_mov_b32 v176, v29 :: v_dual_lshlrev_b32 v9, 20, v28
	v_lshl_add_u32 v3, v3, 23, 0x3c000000
	v_and_b32_e32 v8, 0x80000000, v8
	s_delay_alu instid0(VALU_DEP_1)
	v_or3_b32 v177, v9, v8, v3
.LBB264_545:                            ;   in Loop: Header=BB264_16 Depth=1
	s_or_b32 exec_lo, exec_lo, s2
.LBB264_546:                            ;   in Loop: Header=BB264_16 Depth=1
	s_delay_alu instid0(SALU_CYCLE_1)
	s_or_b32 exec_lo, exec_lo, s24
.LBB264_547:                            ;   in Loop: Header=BB264_16 Depth=1
	s_delay_alu instid0(SALU_CYCLE_1) | instskip(SKIP_4) | instid1(VALU_DEP_2)
	s_or_b32 exec_lo, exec_lo, s23
	v_mov_b32_e32 v180, 0
	v_lshrrev_b32_e32 v3, 16, v2
	v_mov_b32_e32 v181, 0
	s_mov_b32 s2, exec_lo
	v_dual_mov_b32 v39, v180 :: v_dual_and_b32 v8, 0xff, v3
	s_delay_alu instid0(VALU_DEP_2) | instskip(NEXT) | instid1(VALU_DEP_2)
	v_mov_b32_e32 v40, v181
	v_cmpx_ne_u16_e32 0, v8
	s_cbranch_execz .LBB264_555
; %bb.548:                              ;   in Loop: Header=BB264_16 Depth=1
	v_bfrev_b32_e32 v39, 1
	v_mov_b32_e32 v40, 0
	s_mov_b32 s23, exec_lo
	v_cmpx_ne_u16_e32 0x80, v8
	s_cbranch_execz .LBB264_554
; %bb.549:                              ;   in Loop: Header=BB264_16 Depth=1
	v_mov_b32_e32 v39, 0x7f800001
	v_bfe_u32 v9, v2, 16, 7
	v_mov_b32_e32 v40, 0
	s_mov_b32 s24, exec_lo
	s_delay_alu instid0(VALU_DEP_2)
	v_cmpx_ne_u32_e32 0x7f, v9
	s_cbranch_execz .LBB264_553
; %bb.550:                              ;   in Loop: Header=BB264_16 Depth=1
	v_and_b32_e32 v28, 7, v3
	v_lshrrev_b32_e32 v8, 3, v9
	s_mov_b32 s25, exec_lo
	v_cmpx_gt_u32_e32 8, v9
; %bb.551:                              ;   in Loop: Header=BB264_16 Depth=1
	s_delay_alu instid0(VALU_DEP_3) | instskip(NEXT) | instid1(VALU_DEP_1)
	v_clz_i32_u32_e32 v8, v28
	v_min_u32_e32 v8, 32, v8
	s_delay_alu instid0(VALU_DEP_1) | instskip(SKIP_1) | instid1(VALU_DEP_2)
	v_subrev_nc_u32_e32 v9, 28, v8
	v_sub_nc_u32_e32 v8, 29, v8
	v_lshlrev_b64 v[18:19], v9, v[28:29]
	s_delay_alu instid0(VALU_DEP_1)
	v_and_b32_e32 v28, 7, v18
; %bb.552:                              ;   in Loop: Header=BB264_16 Depth=1
	s_or_b32 exec_lo, exec_lo, s25
	v_lshlrev_b32_e32 v3, 24, v3
	s_delay_alu instid0(VALU_DEP_2) | instskip(SKIP_1) | instid1(VALU_DEP_3)
	v_lshlrev_b32_e32 v9, 20, v28
	v_lshl_add_u32 v8, v8, 23, 0x3c000000
	v_and_b32_e32 v3, 0x80000000, v3
	s_delay_alu instid0(VALU_DEP_1) | instskip(NEXT) | instid1(VALU_DEP_1)
	v_or3_b32 v28, v9, v3, v8
	v_dual_mov_b32 v40, v29 :: v_dual_mov_b32 v39, v28
.LBB264_553:                            ;   in Loop: Header=BB264_16 Depth=1
	s_or_b32 exec_lo, exec_lo, s24
.LBB264_554:                            ;   in Loop: Header=BB264_16 Depth=1
	s_delay_alu instid0(SALU_CYCLE_1)
	s_or_b32 exec_lo, exec_lo, s23
.LBB264_555:                            ;   in Loop: Header=BB264_16 Depth=1
	s_delay_alu instid0(SALU_CYCLE_1) | instskip(NEXT) | instid1(SALU_CYCLE_1)
	s_or_b32 exec_lo, exec_lo, s2
	s_mov_b32 s23, exec_lo
	v_cmpx_lt_u32_e32 0xffffff, v2
	s_cbranch_execz .LBB264_563
; %bb.556:                              ;   in Loop: Header=BB264_16 Depth=1
	v_lshrrev_b32_e32 v3, 24, v2
	v_dual_mov_b32 v181, s17 :: v_dual_mov_b32 v180, s16
	s_mov_b32 s24, exec_lo
	s_delay_alu instid0(VALU_DEP_2)
	v_cmpx_ne_u32_e32 0x80, v3
	s_cbranch_execz .LBB264_562
; %bb.557:                              ;   in Loop: Header=BB264_16 Depth=1
	s_mov_b32 s2, s16
	v_bfe_u32 v8, v2, 24, 7
	v_dual_mov_b32 v181, s3 :: v_dual_mov_b32 v180, s2
	s_mov_b32 s2, exec_lo
	s_delay_alu instid0(VALU_DEP_2)
	v_cmpx_ne_u32_e32 0x7f, v8
	s_cbranch_execz .LBB264_561
; %bb.558:                              ;   in Loop: Header=BB264_16 Depth=1
	v_and_b32_e32 v28, 7, v3
	v_lshrrev_b32_e32 v2, 3, v8
	s_mov_b32 s25, exec_lo
	v_cmpx_gt_u32_e32 8, v8
; %bb.559:                              ;   in Loop: Header=BB264_16 Depth=1
	s_delay_alu instid0(VALU_DEP_3) | instskip(NEXT) | instid1(VALU_DEP_1)
	v_clz_i32_u32_e32 v2, v28
	v_min_u32_e32 v2, 32, v2
	s_delay_alu instid0(VALU_DEP_1) | instskip(SKIP_1) | instid1(VALU_DEP_2)
	v_subrev_nc_u32_e32 v8, 28, v2
	v_sub_nc_u32_e32 v2, 29, v2
	v_lshlrev_b64 v[8:9], v8, v[28:29]
	s_delay_alu instid0(VALU_DEP_1)
	v_and_b32_e32 v28, 7, v8
; %bb.560:                              ;   in Loop: Header=BB264_16 Depth=1
	s_or_b32 exec_lo, exec_lo, s25
	v_dual_mov_b32 v180, v29 :: v_dual_lshlrev_b32 v3, 24, v3
	s_delay_alu instid0(VALU_DEP_2) | instskip(SKIP_1) | instid1(VALU_DEP_3)
	v_lshlrev_b32_e32 v8, 20, v28
	v_lshl_add_u32 v2, v2, 23, 0x3c000000
	v_and_b32_e32 v3, 0x80000000, v3
	s_delay_alu instid0(VALU_DEP_1)
	v_or3_b32 v181, v8, v3, v2
.LBB264_561:                            ;   in Loop: Header=BB264_16 Depth=1
	s_or_b32 exec_lo, exec_lo, s2
.LBB264_562:                            ;   in Loop: Header=BB264_16 Depth=1
	s_delay_alu instid0(SALU_CYCLE_1)
	s_or_b32 exec_lo, exec_lo, s24
.LBB264_563:                            ;   in Loop: Header=BB264_16 Depth=1
	s_delay_alu instid0(SALU_CYCLE_1) | instskip(SKIP_3) | instid1(VALU_DEP_2)
	s_or_b32 exec_lo, exec_lo, s23
	flat_load_b32 v2, v[152:153] offset:2052
	v_mov_b32_e32 v190, 0
	v_mov_b32_e32 v191, 0
	;; [unrolled: 1-line block ×3, first 2 shown]
	s_mov_b32 s2, exec_lo
	s_delay_alu instid0(VALU_DEP_2) | instskip(SKIP_2) | instid1(VALU_DEP_1)
	v_mov_b32_e32 v105, v191
	s_waitcnt vmcnt(0) lgkmcnt(0)
	v_and_b32_e32 v3, 0xff, v2
	v_cmpx_ne_u16_e32 0, v3
	s_cbranch_execz .LBB264_571
; %bb.564:                              ;   in Loop: Header=BB264_16 Depth=1
	v_bfrev_b32_e32 v104, 1
	v_mov_b32_e32 v105, 0
	s_mov_b32 s23, exec_lo
	v_cmpx_ne_u16_e32 0x80, v3
	s_cbranch_execz .LBB264_570
; %bb.565:                              ;   in Loop: Header=BB264_16 Depth=1
	v_mov_b32_e32 v104, 0x7f800001
	v_dual_mov_b32 v105, 0 :: v_dual_and_b32 v8, 0x7f, v2
	s_mov_b32 s24, exec_lo
	s_delay_alu instid0(VALU_DEP_1)
	v_cmpx_ne_u32_e32 0x7f, v8
	s_cbranch_execz .LBB264_569
; %bb.566:                              ;   in Loop: Header=BB264_16 Depth=1
	v_and_b32_e32 v28, 7, v2
	v_lshrrev_b32_e32 v3, 3, v8
	s_mov_b32 s25, exec_lo
	v_cmpx_gt_u32_e32 8, v8
; %bb.567:                              ;   in Loop: Header=BB264_16 Depth=1
	s_delay_alu instid0(VALU_DEP_3) | instskip(NEXT) | instid1(VALU_DEP_1)
	v_clz_i32_u32_e32 v3, v28
	v_min_u32_e32 v3, 32, v3
	s_delay_alu instid0(VALU_DEP_1) | instskip(SKIP_1) | instid1(VALU_DEP_2)
	v_subrev_nc_u32_e32 v8, 28, v3
	v_sub_nc_u32_e32 v3, 29, v3
	v_lshlrev_b64 v[8:9], v8, v[28:29]
	s_delay_alu instid0(VALU_DEP_1)
	v_and_b32_e32 v28, 7, v8
; %bb.568:                              ;   in Loop: Header=BB264_16 Depth=1
	s_or_b32 exec_lo, exec_lo, s25
	v_lshlrev_b32_e32 v8, 24, v2
	s_delay_alu instid0(VALU_DEP_2) | instskip(SKIP_1) | instid1(VALU_DEP_3)
	v_lshlrev_b32_e32 v9, 20, v28
	v_lshl_add_u32 v3, v3, 23, 0x3c000000
	v_and_b32_e32 v8, 0x80000000, v8
	s_delay_alu instid0(VALU_DEP_1) | instskip(NEXT) | instid1(VALU_DEP_1)
	v_or3_b32 v28, v9, v8, v3
	v_dual_mov_b32 v105, v29 :: v_dual_mov_b32 v104, v28
.LBB264_569:                            ;   in Loop: Header=BB264_16 Depth=1
	s_or_b32 exec_lo, exec_lo, s24
.LBB264_570:                            ;   in Loop: Header=BB264_16 Depth=1
	s_delay_alu instid0(SALU_CYCLE_1)
	s_or_b32 exec_lo, exec_lo, s23
.LBB264_571:                            ;   in Loop: Header=BB264_16 Depth=1
	s_delay_alu instid0(SALU_CYCLE_1) | instskip(SKIP_2) | instid1(VALU_DEP_1)
	s_or_b32 exec_lo, exec_lo, s2
	v_lshrrev_b16 v3, 8, v2
	s_mov_b32 s23, exec_lo
	v_cmpx_ne_u16_e32 0, v3
	s_cbranch_execz .LBB264_579
; %bb.572:                              ;   in Loop: Header=BB264_16 Depth=1
	v_dual_mov_b32 v191, s17 :: v_dual_mov_b32 v190, s16
	s_mov_b32 s24, exec_lo
	v_cmpx_ne_u16_e32 0x80, v3
	s_cbranch_execz .LBB264_578
; %bb.573:                              ;   in Loop: Header=BB264_16 Depth=1
	s_mov_b32 s2, s16
	v_and_b32_e32 v3, 0xffff, v3
	v_dual_mov_b32 v191, s3 :: v_dual_mov_b32 v190, s2
	s_mov_b32 s2, exec_lo
	s_delay_alu instid0(VALU_DEP_2) | instskip(NEXT) | instid1(VALU_DEP_1)
	v_and_b32_e32 v8, 0x7f, v3
	v_cmpx_ne_u32_e32 0x7f, v8
	s_cbranch_execz .LBB264_577
; %bb.574:                              ;   in Loop: Header=BB264_16 Depth=1
	v_and_b32_e32 v28, 7, v3
	v_lshrrev_b32_e32 v3, 3, v8
	s_mov_b32 s25, exec_lo
	v_cmpx_gt_u32_e32 8, v8
; %bb.575:                              ;   in Loop: Header=BB264_16 Depth=1
	s_delay_alu instid0(VALU_DEP_3) | instskip(NEXT) | instid1(VALU_DEP_1)
	v_clz_i32_u32_e32 v3, v28
	v_min_u32_e32 v3, 32, v3
	s_delay_alu instid0(VALU_DEP_1) | instskip(SKIP_1) | instid1(VALU_DEP_2)
	v_subrev_nc_u32_e32 v8, 28, v3
	v_sub_nc_u32_e32 v3, 29, v3
	v_lshlrev_b64 v[8:9], v8, v[28:29]
	s_delay_alu instid0(VALU_DEP_1)
	v_and_b32_e32 v28, 7, v8
; %bb.576:                              ;   in Loop: Header=BB264_16 Depth=1
	s_or_b32 exec_lo, exec_lo, s25
	v_lshlrev_b32_e32 v8, 16, v2
	s_delay_alu instid0(VALU_DEP_2) | instskip(SKIP_1) | instid1(VALU_DEP_3)
	v_dual_mov_b32 v190, v29 :: v_dual_lshlrev_b32 v9, 20, v28
	v_lshl_add_u32 v3, v3, 23, 0x3c000000
	v_and_b32_e32 v8, 0x80000000, v8
	s_delay_alu instid0(VALU_DEP_1)
	v_or3_b32 v191, v9, v8, v3
.LBB264_577:                            ;   in Loop: Header=BB264_16 Depth=1
	s_or_b32 exec_lo, exec_lo, s2
.LBB264_578:                            ;   in Loop: Header=BB264_16 Depth=1
	s_delay_alu instid0(SALU_CYCLE_1)
	s_or_b32 exec_lo, exec_lo, s24
.LBB264_579:                            ;   in Loop: Header=BB264_16 Depth=1
	s_delay_alu instid0(SALU_CYCLE_1) | instskip(SKIP_4) | instid1(VALU_DEP_2)
	s_or_b32 exec_lo, exec_lo, s23
	v_mov_b32_e32 v166, 0
	v_lshrrev_b32_e32 v3, 16, v2
	v_mov_b32_e32 v167, 0
	s_mov_b32 s2, exec_lo
	v_and_b32_e32 v8, 0xff, v3
	s_delay_alu instid0(VALU_DEP_2) | instskip(NEXT) | instid1(VALU_DEP_2)
	v_dual_mov_b32 v116, v166 :: v_dual_mov_b32 v117, v167
	v_cmpx_ne_u16_e32 0, v8
	s_cbranch_execz .LBB264_587
; %bb.580:                              ;   in Loop: Header=BB264_16 Depth=1
	v_bfrev_b32_e32 v116, 1
	v_mov_b32_e32 v117, 0
	s_mov_b32 s23, exec_lo
	v_cmpx_ne_u16_e32 0x80, v8
	s_cbranch_execz .LBB264_586
; %bb.581:                              ;   in Loop: Header=BB264_16 Depth=1
	v_mov_b32_e32 v116, 0x7f800001
	v_bfe_u32 v9, v2, 16, 7
	v_mov_b32_e32 v117, 0
	s_mov_b32 s24, exec_lo
	s_delay_alu instid0(VALU_DEP_2)
	v_cmpx_ne_u32_e32 0x7f, v9
	s_cbranch_execz .LBB264_585
; %bb.582:                              ;   in Loop: Header=BB264_16 Depth=1
	v_and_b32_e32 v28, 7, v3
	v_lshrrev_b32_e32 v8, 3, v9
	s_mov_b32 s25, exec_lo
	v_cmpx_gt_u32_e32 8, v9
; %bb.583:                              ;   in Loop: Header=BB264_16 Depth=1
	s_delay_alu instid0(VALU_DEP_3) | instskip(NEXT) | instid1(VALU_DEP_1)
	v_clz_i32_u32_e32 v8, v28
	v_min_u32_e32 v8, 32, v8
	s_delay_alu instid0(VALU_DEP_1) | instskip(SKIP_1) | instid1(VALU_DEP_2)
	v_subrev_nc_u32_e32 v9, 28, v8
	v_sub_nc_u32_e32 v8, 29, v8
	v_lshlrev_b64 v[18:19], v9, v[28:29]
	s_delay_alu instid0(VALU_DEP_1)
	v_and_b32_e32 v28, 7, v18
; %bb.584:                              ;   in Loop: Header=BB264_16 Depth=1
	s_or_b32 exec_lo, exec_lo, s25
	v_lshlrev_b32_e32 v3, 24, v3
	s_delay_alu instid0(VALU_DEP_2) | instskip(SKIP_1) | instid1(VALU_DEP_3)
	v_lshlrev_b32_e32 v9, 20, v28
	v_lshl_add_u32 v8, v8, 23, 0x3c000000
	v_and_b32_e32 v3, 0x80000000, v3
	s_delay_alu instid0(VALU_DEP_1) | instskip(NEXT) | instid1(VALU_DEP_1)
	v_or3_b32 v28, v9, v3, v8
	v_dual_mov_b32 v117, v29 :: v_dual_mov_b32 v116, v28
.LBB264_585:                            ;   in Loop: Header=BB264_16 Depth=1
	s_or_b32 exec_lo, exec_lo, s24
.LBB264_586:                            ;   in Loop: Header=BB264_16 Depth=1
	s_delay_alu instid0(SALU_CYCLE_1)
	s_or_b32 exec_lo, exec_lo, s23
.LBB264_587:                            ;   in Loop: Header=BB264_16 Depth=1
	s_delay_alu instid0(SALU_CYCLE_1) | instskip(NEXT) | instid1(SALU_CYCLE_1)
	s_or_b32 exec_lo, exec_lo, s2
	s_mov_b32 s23, exec_lo
	v_cmpx_lt_u32_e32 0xffffff, v2
	s_cbranch_execz .LBB264_595
; %bb.588:                              ;   in Loop: Header=BB264_16 Depth=1
	v_lshrrev_b32_e32 v3, 24, v2
	v_dual_mov_b32 v167, s17 :: v_dual_mov_b32 v166, s16
	s_mov_b32 s24, exec_lo
	s_delay_alu instid0(VALU_DEP_2)
	v_cmpx_ne_u32_e32 0x80, v3
	s_cbranch_execz .LBB264_594
; %bb.589:                              ;   in Loop: Header=BB264_16 Depth=1
	s_mov_b32 s2, s16
	v_bfe_u32 v8, v2, 24, 7
	v_dual_mov_b32 v167, s3 :: v_dual_mov_b32 v166, s2
	s_mov_b32 s2, exec_lo
	s_delay_alu instid0(VALU_DEP_2)
	v_cmpx_ne_u32_e32 0x7f, v8
	s_cbranch_execz .LBB264_593
; %bb.590:                              ;   in Loop: Header=BB264_16 Depth=1
	v_and_b32_e32 v28, 7, v3
	v_lshrrev_b32_e32 v2, 3, v8
	s_mov_b32 s25, exec_lo
	v_cmpx_gt_u32_e32 8, v8
; %bb.591:                              ;   in Loop: Header=BB264_16 Depth=1
	s_delay_alu instid0(VALU_DEP_3) | instskip(NEXT) | instid1(VALU_DEP_1)
	v_clz_i32_u32_e32 v2, v28
	v_min_u32_e32 v2, 32, v2
	s_delay_alu instid0(VALU_DEP_1) | instskip(SKIP_1) | instid1(VALU_DEP_2)
	v_subrev_nc_u32_e32 v8, 28, v2
	v_sub_nc_u32_e32 v2, 29, v2
	v_lshlrev_b64 v[8:9], v8, v[28:29]
	s_delay_alu instid0(VALU_DEP_1)
	v_and_b32_e32 v28, 7, v8
; %bb.592:                              ;   in Loop: Header=BB264_16 Depth=1
	s_or_b32 exec_lo, exec_lo, s25
	v_dual_mov_b32 v166, v29 :: v_dual_lshlrev_b32 v3, 24, v3
	s_delay_alu instid0(VALU_DEP_2) | instskip(SKIP_1) | instid1(VALU_DEP_3)
	v_lshlrev_b32_e32 v8, 20, v28
	v_lshl_add_u32 v2, v2, 23, 0x3c000000
	v_and_b32_e32 v3, 0x80000000, v3
	s_delay_alu instid0(VALU_DEP_1)
	v_or3_b32 v167, v8, v3, v2
.LBB264_593:                            ;   in Loop: Header=BB264_16 Depth=1
	s_or_b32 exec_lo, exec_lo, s2
.LBB264_594:                            ;   in Loop: Header=BB264_16 Depth=1
	s_delay_alu instid0(SALU_CYCLE_1)
	s_or_b32 exec_lo, exec_lo, s24
.LBB264_595:                            ;   in Loop: Header=BB264_16 Depth=1
	s_delay_alu instid0(SALU_CYCLE_1)
	s_or_b32 exec_lo, exec_lo, s23
	flat_load_b32 v2, v[152:153] offset:2056
	v_mov_b32_e32 v132, 0
	v_mov_b32_e32 v133, 0
	s_mov_b32 s2, exec_lo
	scratch_store_b64 off, v[132:133], s32 offset:500 ; 8-byte Folded Spill
	s_waitcnt vmcnt(0) lgkmcnt(0)
	v_and_b32_e32 v3, 0xff, v2
	s_delay_alu instid0(VALU_DEP_1)
	v_cmpx_ne_u16_e32 0, v3
	s_cbranch_execz .LBB264_603
; %bb.596:                              ;   in Loop: Header=BB264_16 Depth=1
	v_bfrev_b32_e32 v8, 1
	v_mov_b32_e32 v9, 0
	s_mov_b32 s23, exec_lo
	scratch_store_b64 off, v[8:9], s32 offset:500 ; 8-byte Folded Spill
	v_cmpx_ne_u16_e32 0x80, v3
	s_cbranch_execz .LBB264_602
; %bb.597:                              ;   in Loop: Header=BB264_16 Depth=1
	v_mov_b32_e32 v18, 0x7f800001
	v_dual_mov_b32 v19, 0 :: v_dual_and_b32 v8, 0x7f, v2
	s_mov_b32 s24, exec_lo
	scratch_store_b64 off, v[18:19], s32 offset:500 ; 8-byte Folded Spill
	v_cmpx_ne_u32_e32 0x7f, v8
	s_cbranch_execz .LBB264_601
; %bb.598:                              ;   in Loop: Header=BB264_16 Depth=1
	v_and_b32_e32 v28, 7, v2
	v_lshrrev_b32_e32 v3, 3, v8
	s_mov_b32 s25, exec_lo
	v_cmpx_gt_u32_e32 8, v8
; %bb.599:                              ;   in Loop: Header=BB264_16 Depth=1
	s_delay_alu instid0(VALU_DEP_3) | instskip(NEXT) | instid1(VALU_DEP_1)
	v_clz_i32_u32_e32 v3, v28
	v_min_u32_e32 v3, 32, v3
	s_delay_alu instid0(VALU_DEP_1) | instskip(SKIP_1) | instid1(VALU_DEP_2)
	v_subrev_nc_u32_e32 v8, 28, v3
	v_sub_nc_u32_e32 v3, 29, v3
	v_lshlrev_b64 v[8:9], v8, v[28:29]
	s_delay_alu instid0(VALU_DEP_1)
	v_and_b32_e32 v28, 7, v8
; %bb.600:                              ;   in Loop: Header=BB264_16 Depth=1
	s_or_b32 exec_lo, exec_lo, s25
	v_lshlrev_b32_e32 v8, 24, v2
	s_delay_alu instid0(VALU_DEP_2) | instskip(SKIP_1) | instid1(VALU_DEP_3)
	v_lshlrev_b32_e32 v9, 20, v28
	v_lshl_add_u32 v3, v3, 23, 0x3c000000
	v_and_b32_e32 v8, 0x80000000, v8
	s_delay_alu instid0(VALU_DEP_1)
	v_or3_b32 v28, v9, v8, v3
	scratch_store_b64 off, v[28:29], s32 offset:500 ; 8-byte Folded Spill
.LBB264_601:                            ;   in Loop: Header=BB264_16 Depth=1
	s_or_b32 exec_lo, exec_lo, s24
.LBB264_602:                            ;   in Loop: Header=BB264_16 Depth=1
	s_delay_alu instid0(SALU_CYCLE_1)
	s_or_b32 exec_lo, exec_lo, s23
.LBB264_603:                            ;   in Loop: Header=BB264_16 Depth=1
	s_delay_alu instid0(SALU_CYCLE_1) | instskip(SKIP_2) | instid1(VALU_DEP_1)
	s_or_b32 exec_lo, exec_lo, s2
	v_lshrrev_b16 v3, 8, v2
	s_mov_b32 s23, exec_lo
	v_cmpx_ne_u16_e32 0, v3
	s_cbranch_execz .LBB264_611
; %bb.604:                              ;   in Loop: Header=BB264_16 Depth=1
	v_dual_mov_b32 v133, s17 :: v_dual_mov_b32 v132, s16
	s_mov_b32 s24, exec_lo
	v_cmpx_ne_u16_e32 0x80, v3
	s_cbranch_execz .LBB264_610
; %bb.605:                              ;   in Loop: Header=BB264_16 Depth=1
	s_mov_b32 s2, s16
	v_and_b32_e32 v3, 0xffff, v3
	v_dual_mov_b32 v133, s3 :: v_dual_mov_b32 v132, s2
	s_mov_b32 s2, exec_lo
	s_delay_alu instid0(VALU_DEP_2) | instskip(NEXT) | instid1(VALU_DEP_1)
	v_and_b32_e32 v8, 0x7f, v3
	v_cmpx_ne_u32_e32 0x7f, v8
	s_cbranch_execz .LBB264_609
; %bb.606:                              ;   in Loop: Header=BB264_16 Depth=1
	v_and_b32_e32 v28, 7, v3
	v_lshrrev_b32_e32 v3, 3, v8
	s_mov_b32 s25, exec_lo
	v_cmpx_gt_u32_e32 8, v8
; %bb.607:                              ;   in Loop: Header=BB264_16 Depth=1
	s_delay_alu instid0(VALU_DEP_3) | instskip(NEXT) | instid1(VALU_DEP_1)
	v_clz_i32_u32_e32 v3, v28
	v_min_u32_e32 v3, 32, v3
	s_delay_alu instid0(VALU_DEP_1) | instskip(SKIP_1) | instid1(VALU_DEP_2)
	v_subrev_nc_u32_e32 v8, 28, v3
	v_sub_nc_u32_e32 v3, 29, v3
	v_lshlrev_b64 v[8:9], v8, v[28:29]
	s_delay_alu instid0(VALU_DEP_1)
	v_and_b32_e32 v28, 7, v8
; %bb.608:                              ;   in Loop: Header=BB264_16 Depth=1
	s_or_b32 exec_lo, exec_lo, s25
	v_lshlrev_b32_e32 v8, 16, v2
	s_delay_alu instid0(VALU_DEP_2) | instskip(SKIP_1) | instid1(VALU_DEP_3)
	v_dual_mov_b32 v132, v29 :: v_dual_lshlrev_b32 v9, 20, v28
	v_lshl_add_u32 v3, v3, 23, 0x3c000000
	v_and_b32_e32 v8, 0x80000000, v8
	s_delay_alu instid0(VALU_DEP_1)
	v_or3_b32 v133, v9, v8, v3
.LBB264_609:                            ;   in Loop: Header=BB264_16 Depth=1
	s_or_b32 exec_lo, exec_lo, s2
.LBB264_610:                            ;   in Loop: Header=BB264_16 Depth=1
	s_delay_alu instid0(SALU_CYCLE_1)
	s_or_b32 exec_lo, exec_lo, s24
.LBB264_611:                            ;   in Loop: Header=BB264_16 Depth=1
	s_delay_alu instid0(SALU_CYCLE_1) | instskip(SKIP_4) | instid1(VALU_DEP_3)
	s_or_b32 exec_lo, exec_lo, s23
	v_lshrrev_b32_e32 v3, 16, v2
	v_mov_b32_e32 v43, 0
	v_mov_b32_e32 v44, 0
	s_mov_b32 s2, exec_lo
	v_and_b32_e32 v8, 0xff, v3
	scratch_store_b64 off, v[43:44], s32 offset:508 ; 8-byte Folded Spill
	v_cmpx_ne_u16_e32 0, v8
	s_cbranch_execz .LBB264_619
; %bb.612:                              ;   in Loop: Header=BB264_16 Depth=1
	v_cmp_ne_u16_e64 s1, 0x80, v8
	v_bfrev_b32_e32 v8, 1
	v_mov_b32_e32 v9, 0
	scratch_store_b64 off, v[8:9], s32 offset:508 ; 8-byte Folded Spill
	s_and_saveexec_b32 s23, s1
	s_cbranch_execz .LBB264_618
; %bb.613:                              ;   in Loop: Header=BB264_16 Depth=1
	v_mov_b32_e32 v18, 0x7f800001
	v_bfe_u32 v9, v2, 16, 7
	v_mov_b32_e32 v19, 0
	s_mov_b32 s24, exec_lo
	scratch_store_b64 off, v[18:19], s32 offset:508 ; 8-byte Folded Spill
	v_cmpx_ne_u32_e32 0x7f, v9
	s_cbranch_execz .LBB264_617
; %bb.614:                              ;   in Loop: Header=BB264_16 Depth=1
	v_and_b32_e32 v28, 7, v3
	v_lshrrev_b32_e32 v8, 3, v9
	s_mov_b32 s25, exec_lo
	v_cmpx_gt_u32_e32 8, v9
; %bb.615:                              ;   in Loop: Header=BB264_16 Depth=1
	s_delay_alu instid0(VALU_DEP_3) | instskip(NEXT) | instid1(VALU_DEP_1)
	v_clz_i32_u32_e32 v8, v28
	v_min_u32_e32 v8, 32, v8
	s_delay_alu instid0(VALU_DEP_1) | instskip(SKIP_1) | instid1(VALU_DEP_2)
	v_subrev_nc_u32_e32 v9, 28, v8
	v_sub_nc_u32_e32 v8, 29, v8
	v_lshlrev_b64 v[18:19], v9, v[28:29]
	s_delay_alu instid0(VALU_DEP_1)
	v_and_b32_e32 v28, 7, v18
; %bb.616:                              ;   in Loop: Header=BB264_16 Depth=1
	s_or_b32 exec_lo, exec_lo, s25
	v_lshlrev_b32_e32 v3, 24, v3
	s_delay_alu instid0(VALU_DEP_2) | instskip(SKIP_1) | instid1(VALU_DEP_3)
	v_lshlrev_b32_e32 v9, 20, v28
	v_lshl_add_u32 v8, v8, 23, 0x3c000000
	v_and_b32_e32 v3, 0x80000000, v3
	s_delay_alu instid0(VALU_DEP_1)
	v_or3_b32 v28, v9, v3, v8
	scratch_store_b64 off, v[28:29], s32 offset:508 ; 8-byte Folded Spill
.LBB264_617:                            ;   in Loop: Header=BB264_16 Depth=1
	s_or_b32 exec_lo, exec_lo, s24
.LBB264_618:                            ;   in Loop: Header=BB264_16 Depth=1
	s_delay_alu instid0(SALU_CYCLE_1)
	s_or_b32 exec_lo, exec_lo, s23
.LBB264_619:                            ;   in Loop: Header=BB264_16 Depth=1
	s_delay_alu instid0(SALU_CYCLE_1) | instskip(NEXT) | instid1(SALU_CYCLE_1)
	s_or_b32 exec_lo, exec_lo, s2
	s_mov_b32 s23, exec_lo
	v_cmpx_lt_u32_e32 0xffffff, v2
	s_cbranch_execz .LBB264_627
; %bb.620:                              ;   in Loop: Header=BB264_16 Depth=1
	v_lshrrev_b32_e32 v3, 24, v2
	v_dual_mov_b32 v44, s17 :: v_dual_mov_b32 v43, s16
	s_mov_b32 s24, exec_lo
	s_delay_alu instid0(VALU_DEP_2)
	v_cmpx_ne_u32_e32 0x80, v3
	s_cbranch_execz .LBB264_626
; %bb.621:                              ;   in Loop: Header=BB264_16 Depth=1
	s_mov_b32 s2, s16
	v_bfe_u32 v8, v2, 24, 7
	v_dual_mov_b32 v44, s3 :: v_dual_mov_b32 v43, s2
	s_mov_b32 s2, exec_lo
	s_delay_alu instid0(VALU_DEP_2)
	v_cmpx_ne_u32_e32 0x7f, v8
	s_cbranch_execz .LBB264_625
; %bb.622:                              ;   in Loop: Header=BB264_16 Depth=1
	v_and_b32_e32 v28, 7, v3
	v_lshrrev_b32_e32 v2, 3, v8
	s_mov_b32 s25, exec_lo
	v_cmpx_gt_u32_e32 8, v8
; %bb.623:                              ;   in Loop: Header=BB264_16 Depth=1
	s_delay_alu instid0(VALU_DEP_3) | instskip(NEXT) | instid1(VALU_DEP_1)
	v_clz_i32_u32_e32 v2, v28
	v_min_u32_e32 v2, 32, v2
	s_delay_alu instid0(VALU_DEP_1) | instskip(SKIP_1) | instid1(VALU_DEP_2)
	v_subrev_nc_u32_e32 v8, 28, v2
	v_sub_nc_u32_e32 v2, 29, v2
	v_lshlrev_b64 v[8:9], v8, v[28:29]
	s_delay_alu instid0(VALU_DEP_1)
	v_and_b32_e32 v28, 7, v8
; %bb.624:                              ;   in Loop: Header=BB264_16 Depth=1
	s_or_b32 exec_lo, exec_lo, s25
	v_lshlrev_b32_e32 v3, 24, v3
	s_delay_alu instid0(VALU_DEP_2) | instskip(SKIP_1) | instid1(VALU_DEP_3)
	v_dual_mov_b32 v43, v29 :: v_dual_lshlrev_b32 v8, 20, v28
	v_lshl_add_u32 v2, v2, 23, 0x3c000000
	v_and_b32_e32 v3, 0x80000000, v3
	s_delay_alu instid0(VALU_DEP_1)
	v_or3_b32 v44, v8, v3, v2
.LBB264_625:                            ;   in Loop: Header=BB264_16 Depth=1
	s_or_b32 exec_lo, exec_lo, s2
.LBB264_626:                            ;   in Loop: Header=BB264_16 Depth=1
	s_delay_alu instid0(SALU_CYCLE_1)
	s_or_b32 exec_lo, exec_lo, s24
.LBB264_627:                            ;   in Loop: Header=BB264_16 Depth=1
	s_delay_alu instid0(SALU_CYCLE_1)
	s_or_b32 exec_lo, exec_lo, s23
	flat_load_b32 v2, v[152:153] offset:2060
	v_mov_b32_e32 v56, 0
	v_mov_b32_e32 v57, 0
	s_mov_b32 s2, exec_lo
	scratch_store_b64 off, v[56:57], s32 offset:516 ; 8-byte Folded Spill
	s_waitcnt vmcnt(0) lgkmcnt(0)
	v_and_b32_e32 v3, 0xff, v2
	s_delay_alu instid0(VALU_DEP_1)
	v_cmpx_ne_u16_e32 0, v3
	s_cbranch_execz .LBB264_635
; %bb.628:                              ;   in Loop: Header=BB264_16 Depth=1
	v_bfrev_b32_e32 v8, 1
	v_mov_b32_e32 v9, 0
	s_mov_b32 s23, exec_lo
	scratch_store_b64 off, v[8:9], s32 offset:516 ; 8-byte Folded Spill
	v_cmpx_ne_u16_e32 0x80, v3
	s_cbranch_execz .LBB264_634
; %bb.629:                              ;   in Loop: Header=BB264_16 Depth=1
	v_mov_b32_e32 v18, 0x7f800001
	v_dual_mov_b32 v19, 0 :: v_dual_and_b32 v8, 0x7f, v2
	s_mov_b32 s24, exec_lo
	scratch_store_b64 off, v[18:19], s32 offset:516 ; 8-byte Folded Spill
	v_cmpx_ne_u32_e32 0x7f, v8
	s_cbranch_execz .LBB264_633
; %bb.630:                              ;   in Loop: Header=BB264_16 Depth=1
	v_and_b32_e32 v28, 7, v2
	v_lshrrev_b32_e32 v3, 3, v8
	s_mov_b32 s25, exec_lo
	v_cmpx_gt_u32_e32 8, v8
; %bb.631:                              ;   in Loop: Header=BB264_16 Depth=1
	s_delay_alu instid0(VALU_DEP_3) | instskip(NEXT) | instid1(VALU_DEP_1)
	v_clz_i32_u32_e32 v3, v28
	v_min_u32_e32 v3, 32, v3
	s_delay_alu instid0(VALU_DEP_1) | instskip(SKIP_1) | instid1(VALU_DEP_2)
	v_subrev_nc_u32_e32 v8, 28, v3
	v_sub_nc_u32_e32 v3, 29, v3
	v_lshlrev_b64 v[8:9], v8, v[28:29]
	s_delay_alu instid0(VALU_DEP_1)
	v_and_b32_e32 v28, 7, v8
; %bb.632:                              ;   in Loop: Header=BB264_16 Depth=1
	s_or_b32 exec_lo, exec_lo, s25
	v_lshlrev_b32_e32 v8, 24, v2
	s_delay_alu instid0(VALU_DEP_2) | instskip(SKIP_1) | instid1(VALU_DEP_3)
	v_lshlrev_b32_e32 v9, 20, v28
	v_lshl_add_u32 v3, v3, 23, 0x3c000000
	v_and_b32_e32 v8, 0x80000000, v8
	s_delay_alu instid0(VALU_DEP_1)
	v_or3_b32 v28, v9, v8, v3
	scratch_store_b64 off, v[28:29], s32 offset:516 ; 8-byte Folded Spill
.LBB264_633:                            ;   in Loop: Header=BB264_16 Depth=1
	s_or_b32 exec_lo, exec_lo, s24
.LBB264_634:                            ;   in Loop: Header=BB264_16 Depth=1
	s_delay_alu instid0(SALU_CYCLE_1)
	s_or_b32 exec_lo, exec_lo, s23
.LBB264_635:                            ;   in Loop: Header=BB264_16 Depth=1
	s_delay_alu instid0(SALU_CYCLE_1) | instskip(SKIP_2) | instid1(VALU_DEP_1)
	s_or_b32 exec_lo, exec_lo, s2
	v_lshrrev_b16 v3, 8, v2
	s_mov_b32 s23, exec_lo
	v_cmpx_ne_u16_e32 0, v3
	s_cbranch_execz .LBB264_643
; %bb.636:                              ;   in Loop: Header=BB264_16 Depth=1
	v_dual_mov_b32 v57, s17 :: v_dual_mov_b32 v56, s16
	s_mov_b32 s24, exec_lo
	v_cmpx_ne_u16_e32 0x80, v3
	s_cbranch_execz .LBB264_642
; %bb.637:                              ;   in Loop: Header=BB264_16 Depth=1
	s_mov_b32 s2, s16
	v_and_b32_e32 v3, 0xffff, v3
	v_dual_mov_b32 v57, s3 :: v_dual_mov_b32 v56, s2
	s_mov_b32 s2, exec_lo
	s_delay_alu instid0(VALU_DEP_2) | instskip(NEXT) | instid1(VALU_DEP_1)
	v_and_b32_e32 v8, 0x7f, v3
	v_cmpx_ne_u32_e32 0x7f, v8
	s_cbranch_execz .LBB264_641
; %bb.638:                              ;   in Loop: Header=BB264_16 Depth=1
	v_and_b32_e32 v28, 7, v3
	v_lshrrev_b32_e32 v3, 3, v8
	s_mov_b32 s25, exec_lo
	v_cmpx_gt_u32_e32 8, v8
; %bb.639:                              ;   in Loop: Header=BB264_16 Depth=1
	s_delay_alu instid0(VALU_DEP_3) | instskip(NEXT) | instid1(VALU_DEP_1)
	v_clz_i32_u32_e32 v3, v28
	v_min_u32_e32 v3, 32, v3
	s_delay_alu instid0(VALU_DEP_1) | instskip(SKIP_1) | instid1(VALU_DEP_2)
	v_subrev_nc_u32_e32 v8, 28, v3
	v_sub_nc_u32_e32 v3, 29, v3
	v_lshlrev_b64 v[8:9], v8, v[28:29]
	s_delay_alu instid0(VALU_DEP_1)
	v_and_b32_e32 v28, 7, v8
; %bb.640:                              ;   in Loop: Header=BB264_16 Depth=1
	s_or_b32 exec_lo, exec_lo, s25
	v_lshlrev_b32_e32 v8, 16, v2
	s_delay_alu instid0(VALU_DEP_2) | instskip(SKIP_1) | instid1(VALU_DEP_3)
	v_dual_mov_b32 v56, v29 :: v_dual_lshlrev_b32 v9, 20, v28
	v_lshl_add_u32 v3, v3, 23, 0x3c000000
	v_and_b32_e32 v8, 0x80000000, v8
	s_delay_alu instid0(VALU_DEP_1)
	v_or3_b32 v57, v9, v8, v3
.LBB264_641:                            ;   in Loop: Header=BB264_16 Depth=1
	s_or_b32 exec_lo, exec_lo, s2
.LBB264_642:                            ;   in Loop: Header=BB264_16 Depth=1
	s_delay_alu instid0(SALU_CYCLE_1)
	s_or_b32 exec_lo, exec_lo, s24
.LBB264_643:                            ;   in Loop: Header=BB264_16 Depth=1
	s_delay_alu instid0(SALU_CYCLE_1) | instskip(SKIP_4) | instid1(VALU_DEP_3)
	s_or_b32 exec_lo, exec_lo, s23
	v_lshrrev_b32_e32 v3, 16, v2
	v_mov_b32_e32 v60, 0
	v_mov_b32_e32 v61, 0
	s_mov_b32 s2, exec_lo
	v_and_b32_e32 v8, 0xff, v3
	scratch_store_b64 off, v[60:61], s32 offset:524 ; 8-byte Folded Spill
	v_cmpx_ne_u16_e32 0, v8
	s_cbranch_execz .LBB264_651
; %bb.644:                              ;   in Loop: Header=BB264_16 Depth=1
	v_cmp_ne_u16_e64 s1, 0x80, v8
	v_bfrev_b32_e32 v8, 1
	v_mov_b32_e32 v9, 0
	scratch_store_b64 off, v[8:9], s32 offset:524 ; 8-byte Folded Spill
	s_and_saveexec_b32 s23, s1
	s_cbranch_execz .LBB264_650
; %bb.645:                              ;   in Loop: Header=BB264_16 Depth=1
	v_mov_b32_e32 v18, 0x7f800001
	v_bfe_u32 v9, v2, 16, 7
	v_mov_b32_e32 v19, 0
	s_mov_b32 s24, exec_lo
	scratch_store_b64 off, v[18:19], s32 offset:524 ; 8-byte Folded Spill
	v_cmpx_ne_u32_e32 0x7f, v9
	s_cbranch_execz .LBB264_649
; %bb.646:                              ;   in Loop: Header=BB264_16 Depth=1
	v_and_b32_e32 v28, 7, v3
	v_lshrrev_b32_e32 v8, 3, v9
	s_mov_b32 s25, exec_lo
	v_cmpx_gt_u32_e32 8, v9
; %bb.647:                              ;   in Loop: Header=BB264_16 Depth=1
	s_delay_alu instid0(VALU_DEP_3) | instskip(NEXT) | instid1(VALU_DEP_1)
	v_clz_i32_u32_e32 v8, v28
	v_min_u32_e32 v8, 32, v8
	s_delay_alu instid0(VALU_DEP_1) | instskip(SKIP_1) | instid1(VALU_DEP_2)
	v_subrev_nc_u32_e32 v9, 28, v8
	v_sub_nc_u32_e32 v8, 29, v8
	v_lshlrev_b64 v[18:19], v9, v[28:29]
	s_delay_alu instid0(VALU_DEP_1)
	v_and_b32_e32 v28, 7, v18
; %bb.648:                              ;   in Loop: Header=BB264_16 Depth=1
	s_or_b32 exec_lo, exec_lo, s25
	v_lshlrev_b32_e32 v3, 24, v3
	s_delay_alu instid0(VALU_DEP_2) | instskip(SKIP_1) | instid1(VALU_DEP_3)
	v_lshlrev_b32_e32 v9, 20, v28
	v_lshl_add_u32 v8, v8, 23, 0x3c000000
	v_and_b32_e32 v3, 0x80000000, v3
	s_delay_alu instid0(VALU_DEP_1)
	v_or3_b32 v28, v9, v3, v8
	scratch_store_b64 off, v[28:29], s32 offset:524 ; 8-byte Folded Spill
.LBB264_649:                            ;   in Loop: Header=BB264_16 Depth=1
	s_or_b32 exec_lo, exec_lo, s24
.LBB264_650:                            ;   in Loop: Header=BB264_16 Depth=1
	s_delay_alu instid0(SALU_CYCLE_1)
	s_or_b32 exec_lo, exec_lo, s23
.LBB264_651:                            ;   in Loop: Header=BB264_16 Depth=1
	s_delay_alu instid0(SALU_CYCLE_1) | instskip(NEXT) | instid1(SALU_CYCLE_1)
	s_or_b32 exec_lo, exec_lo, s2
	s_mov_b32 s23, exec_lo
	v_cmpx_lt_u32_e32 0xffffff, v2
	s_cbranch_execz .LBB264_659
; %bb.652:                              ;   in Loop: Header=BB264_16 Depth=1
	v_lshrrev_b32_e32 v3, 24, v2
	v_dual_mov_b32 v61, s17 :: v_dual_mov_b32 v60, s16
	s_mov_b32 s24, exec_lo
	s_delay_alu instid0(VALU_DEP_2)
	v_cmpx_ne_u32_e32 0x80, v3
	s_cbranch_execz .LBB264_658
; %bb.653:                              ;   in Loop: Header=BB264_16 Depth=1
	s_mov_b32 s2, s16
	v_bfe_u32 v8, v2, 24, 7
	v_dual_mov_b32 v61, s3 :: v_dual_mov_b32 v60, s2
	s_mov_b32 s2, exec_lo
	s_delay_alu instid0(VALU_DEP_2)
	v_cmpx_ne_u32_e32 0x7f, v8
	s_cbranch_execz .LBB264_657
; %bb.654:                              ;   in Loop: Header=BB264_16 Depth=1
	v_and_b32_e32 v28, 7, v3
	v_lshrrev_b32_e32 v2, 3, v8
	s_mov_b32 s25, exec_lo
	v_cmpx_gt_u32_e32 8, v8
; %bb.655:                              ;   in Loop: Header=BB264_16 Depth=1
	s_delay_alu instid0(VALU_DEP_3) | instskip(NEXT) | instid1(VALU_DEP_1)
	v_clz_i32_u32_e32 v2, v28
	v_min_u32_e32 v2, 32, v2
	s_delay_alu instid0(VALU_DEP_1) | instskip(SKIP_1) | instid1(VALU_DEP_2)
	v_subrev_nc_u32_e32 v8, 28, v2
	v_sub_nc_u32_e32 v2, 29, v2
	v_lshlrev_b64 v[8:9], v8, v[28:29]
	s_delay_alu instid0(VALU_DEP_1)
	v_and_b32_e32 v28, 7, v8
; %bb.656:                              ;   in Loop: Header=BB264_16 Depth=1
	s_or_b32 exec_lo, exec_lo, s25
	v_dual_mov_b32 v60, v29 :: v_dual_lshlrev_b32 v3, 24, v3
	s_delay_alu instid0(VALU_DEP_2) | instskip(SKIP_1) | instid1(VALU_DEP_3)
	v_lshlrev_b32_e32 v8, 20, v28
	v_lshl_add_u32 v2, v2, 23, 0x3c000000
	v_and_b32_e32 v3, 0x80000000, v3
	s_delay_alu instid0(VALU_DEP_1)
	v_or3_b32 v61, v8, v3, v2
.LBB264_657:                            ;   in Loop: Header=BB264_16 Depth=1
	s_or_b32 exec_lo, exec_lo, s2
.LBB264_658:                            ;   in Loop: Header=BB264_16 Depth=1
	s_delay_alu instid0(SALU_CYCLE_1)
	s_or_b32 exec_lo, exec_lo, s24
.LBB264_659:                            ;   in Loop: Header=BB264_16 Depth=1
	s_delay_alu instid0(SALU_CYCLE_1)
	s_or_b32 exec_lo, exec_lo, s23
	flat_load_b32 v2, v[152:153] offset:2560
	v_mov_b32_e32 v72, 0
	v_mov_b32_e32 v73, 0
	s_mov_b32 s2, exec_lo
	scratch_store_b64 off, v[72:73], s32 offset:532 ; 8-byte Folded Spill
	s_waitcnt vmcnt(0) lgkmcnt(0)
	v_and_b32_e32 v3, 0xff, v2
	s_delay_alu instid0(VALU_DEP_1)
	v_cmpx_ne_u16_e32 0, v3
	s_cbranch_execz .LBB264_667
; %bb.660:                              ;   in Loop: Header=BB264_16 Depth=1
	v_bfrev_b32_e32 v8, 1
	v_mov_b32_e32 v9, 0
	s_mov_b32 s23, exec_lo
	scratch_store_b64 off, v[8:9], s32 offset:532 ; 8-byte Folded Spill
	v_cmpx_ne_u16_e32 0x80, v3
	s_cbranch_execz .LBB264_666
; %bb.661:                              ;   in Loop: Header=BB264_16 Depth=1
	v_mov_b32_e32 v18, 0x7f800001
	v_dual_mov_b32 v19, 0 :: v_dual_and_b32 v8, 0x7f, v2
	s_mov_b32 s24, exec_lo
	scratch_store_b64 off, v[18:19], s32 offset:532 ; 8-byte Folded Spill
	v_cmpx_ne_u32_e32 0x7f, v8
	s_cbranch_execz .LBB264_665
; %bb.662:                              ;   in Loop: Header=BB264_16 Depth=1
	v_and_b32_e32 v28, 7, v2
	v_lshrrev_b32_e32 v3, 3, v8
	s_mov_b32 s25, exec_lo
	v_cmpx_gt_u32_e32 8, v8
; %bb.663:                              ;   in Loop: Header=BB264_16 Depth=1
	s_delay_alu instid0(VALU_DEP_3) | instskip(NEXT) | instid1(VALU_DEP_1)
	v_clz_i32_u32_e32 v3, v28
	v_min_u32_e32 v3, 32, v3
	s_delay_alu instid0(VALU_DEP_1) | instskip(SKIP_1) | instid1(VALU_DEP_2)
	v_subrev_nc_u32_e32 v8, 28, v3
	v_sub_nc_u32_e32 v3, 29, v3
	v_lshlrev_b64 v[8:9], v8, v[28:29]
	s_delay_alu instid0(VALU_DEP_1)
	v_and_b32_e32 v28, 7, v8
; %bb.664:                              ;   in Loop: Header=BB264_16 Depth=1
	s_or_b32 exec_lo, exec_lo, s25
	v_lshlrev_b32_e32 v8, 24, v2
	s_delay_alu instid0(VALU_DEP_2) | instskip(SKIP_1) | instid1(VALU_DEP_3)
	v_lshlrev_b32_e32 v9, 20, v28
	v_lshl_add_u32 v3, v3, 23, 0x3c000000
	v_and_b32_e32 v8, 0x80000000, v8
	s_delay_alu instid0(VALU_DEP_1)
	v_or3_b32 v28, v9, v8, v3
	scratch_store_b64 off, v[28:29], s32 offset:532 ; 8-byte Folded Spill
.LBB264_665:                            ;   in Loop: Header=BB264_16 Depth=1
	s_or_b32 exec_lo, exec_lo, s24
.LBB264_666:                            ;   in Loop: Header=BB264_16 Depth=1
	s_delay_alu instid0(SALU_CYCLE_1)
	s_or_b32 exec_lo, exec_lo, s23
.LBB264_667:                            ;   in Loop: Header=BB264_16 Depth=1
	s_delay_alu instid0(SALU_CYCLE_1) | instskip(SKIP_2) | instid1(VALU_DEP_1)
	s_or_b32 exec_lo, exec_lo, s2
	v_lshrrev_b16 v3, 8, v2
	s_mov_b32 s23, exec_lo
	v_cmpx_ne_u16_e32 0, v3
	s_cbranch_execz .LBB264_675
; %bb.668:                              ;   in Loop: Header=BB264_16 Depth=1
	v_dual_mov_b32 v73, s17 :: v_dual_mov_b32 v72, s16
	s_mov_b32 s24, exec_lo
	v_cmpx_ne_u16_e32 0x80, v3
	s_cbranch_execz .LBB264_674
; %bb.669:                              ;   in Loop: Header=BB264_16 Depth=1
	s_mov_b32 s2, s16
	v_and_b32_e32 v3, 0xffff, v3
	v_dual_mov_b32 v73, s3 :: v_dual_mov_b32 v72, s2
	s_mov_b32 s2, exec_lo
	s_delay_alu instid0(VALU_DEP_2) | instskip(NEXT) | instid1(VALU_DEP_1)
	v_and_b32_e32 v8, 0x7f, v3
	v_cmpx_ne_u32_e32 0x7f, v8
	s_cbranch_execz .LBB264_673
; %bb.670:                              ;   in Loop: Header=BB264_16 Depth=1
	v_and_b32_e32 v28, 7, v3
	v_lshrrev_b32_e32 v3, 3, v8
	s_mov_b32 s25, exec_lo
	v_cmpx_gt_u32_e32 8, v8
; %bb.671:                              ;   in Loop: Header=BB264_16 Depth=1
	s_delay_alu instid0(VALU_DEP_3) | instskip(NEXT) | instid1(VALU_DEP_1)
	v_clz_i32_u32_e32 v3, v28
	v_min_u32_e32 v3, 32, v3
	s_delay_alu instid0(VALU_DEP_1) | instskip(SKIP_1) | instid1(VALU_DEP_2)
	v_subrev_nc_u32_e32 v8, 28, v3
	v_sub_nc_u32_e32 v3, 29, v3
	v_lshlrev_b64 v[8:9], v8, v[28:29]
	s_delay_alu instid0(VALU_DEP_1)
	v_and_b32_e32 v28, 7, v8
; %bb.672:                              ;   in Loop: Header=BB264_16 Depth=1
	s_or_b32 exec_lo, exec_lo, s25
	v_lshlrev_b32_e32 v8, 16, v2
	s_delay_alu instid0(VALU_DEP_2) | instskip(SKIP_1) | instid1(VALU_DEP_3)
	v_dual_mov_b32 v72, v29 :: v_dual_lshlrev_b32 v9, 20, v28
	v_lshl_add_u32 v3, v3, 23, 0x3c000000
	v_and_b32_e32 v8, 0x80000000, v8
	s_delay_alu instid0(VALU_DEP_1)
	v_or3_b32 v73, v9, v8, v3
.LBB264_673:                            ;   in Loop: Header=BB264_16 Depth=1
	s_or_b32 exec_lo, exec_lo, s2
.LBB264_674:                            ;   in Loop: Header=BB264_16 Depth=1
	s_delay_alu instid0(SALU_CYCLE_1)
	s_or_b32 exec_lo, exec_lo, s24
.LBB264_675:                            ;   in Loop: Header=BB264_16 Depth=1
	s_delay_alu instid0(SALU_CYCLE_1) | instskip(SKIP_4) | instid1(VALU_DEP_3)
	s_or_b32 exec_lo, exec_lo, s23
	v_lshrrev_b32_e32 v3, 16, v2
	v_mov_b32_e32 v76, 0
	v_mov_b32_e32 v77, 0
	s_mov_b32 s2, exec_lo
	v_and_b32_e32 v8, 0xff, v3
	scratch_store_b64 off, v[76:77], s32 offset:540 ; 8-byte Folded Spill
	v_cmpx_ne_u16_e32 0, v8
	s_cbranch_execz .LBB264_683
; %bb.676:                              ;   in Loop: Header=BB264_16 Depth=1
	v_cmp_ne_u16_e64 s1, 0x80, v8
	v_bfrev_b32_e32 v8, 1
	v_mov_b32_e32 v9, 0
	scratch_store_b64 off, v[8:9], s32 offset:540 ; 8-byte Folded Spill
	s_and_saveexec_b32 s23, s1
	s_cbranch_execz .LBB264_682
; %bb.677:                              ;   in Loop: Header=BB264_16 Depth=1
	v_mov_b32_e32 v18, 0x7f800001
	v_bfe_u32 v9, v2, 16, 7
	v_mov_b32_e32 v19, 0
	s_mov_b32 s24, exec_lo
	scratch_store_b64 off, v[18:19], s32 offset:540 ; 8-byte Folded Spill
	v_cmpx_ne_u32_e32 0x7f, v9
	s_cbranch_execz .LBB264_681
; %bb.678:                              ;   in Loop: Header=BB264_16 Depth=1
	v_and_b32_e32 v28, 7, v3
	v_lshrrev_b32_e32 v8, 3, v9
	s_mov_b32 s25, exec_lo
	v_cmpx_gt_u32_e32 8, v9
; %bb.679:                              ;   in Loop: Header=BB264_16 Depth=1
	s_delay_alu instid0(VALU_DEP_3) | instskip(NEXT) | instid1(VALU_DEP_1)
	v_clz_i32_u32_e32 v8, v28
	v_min_u32_e32 v8, 32, v8
	s_delay_alu instid0(VALU_DEP_1) | instskip(SKIP_1) | instid1(VALU_DEP_2)
	v_subrev_nc_u32_e32 v9, 28, v8
	v_sub_nc_u32_e32 v8, 29, v8
	v_lshlrev_b64 v[18:19], v9, v[28:29]
	s_delay_alu instid0(VALU_DEP_1)
	v_and_b32_e32 v28, 7, v18
; %bb.680:                              ;   in Loop: Header=BB264_16 Depth=1
	s_or_b32 exec_lo, exec_lo, s25
	v_lshlrev_b32_e32 v3, 24, v3
	s_delay_alu instid0(VALU_DEP_2) | instskip(SKIP_1) | instid1(VALU_DEP_3)
	v_lshlrev_b32_e32 v9, 20, v28
	v_lshl_add_u32 v8, v8, 23, 0x3c000000
	v_and_b32_e32 v3, 0x80000000, v3
	s_delay_alu instid0(VALU_DEP_1)
	v_or3_b32 v28, v9, v3, v8
	scratch_store_b64 off, v[28:29], s32 offset:540 ; 8-byte Folded Spill
.LBB264_681:                            ;   in Loop: Header=BB264_16 Depth=1
	s_or_b32 exec_lo, exec_lo, s24
.LBB264_682:                            ;   in Loop: Header=BB264_16 Depth=1
	s_delay_alu instid0(SALU_CYCLE_1)
	s_or_b32 exec_lo, exec_lo, s23
.LBB264_683:                            ;   in Loop: Header=BB264_16 Depth=1
	s_delay_alu instid0(SALU_CYCLE_1) | instskip(NEXT) | instid1(SALU_CYCLE_1)
	s_or_b32 exec_lo, exec_lo, s2
	s_mov_b32 s23, exec_lo
	v_cmpx_lt_u32_e32 0xffffff, v2
	s_cbranch_execz .LBB264_691
; %bb.684:                              ;   in Loop: Header=BB264_16 Depth=1
	v_lshrrev_b32_e32 v3, 24, v2
	v_dual_mov_b32 v77, s17 :: v_dual_mov_b32 v76, s16
	s_mov_b32 s24, exec_lo
	s_delay_alu instid0(VALU_DEP_2)
	v_cmpx_ne_u32_e32 0x80, v3
	s_cbranch_execz .LBB264_690
; %bb.685:                              ;   in Loop: Header=BB264_16 Depth=1
	s_mov_b32 s2, s16
	v_bfe_u32 v8, v2, 24, 7
	v_dual_mov_b32 v77, s3 :: v_dual_mov_b32 v76, s2
	s_mov_b32 s2, exec_lo
	s_delay_alu instid0(VALU_DEP_2)
	v_cmpx_ne_u32_e32 0x7f, v8
	s_cbranch_execz .LBB264_689
; %bb.686:                              ;   in Loop: Header=BB264_16 Depth=1
	v_and_b32_e32 v28, 7, v3
	v_lshrrev_b32_e32 v2, 3, v8
	s_mov_b32 s25, exec_lo
	v_cmpx_gt_u32_e32 8, v8
; %bb.687:                              ;   in Loop: Header=BB264_16 Depth=1
	s_delay_alu instid0(VALU_DEP_3) | instskip(NEXT) | instid1(VALU_DEP_1)
	v_clz_i32_u32_e32 v2, v28
	v_min_u32_e32 v2, 32, v2
	s_delay_alu instid0(VALU_DEP_1) | instskip(SKIP_1) | instid1(VALU_DEP_2)
	v_subrev_nc_u32_e32 v8, 28, v2
	v_sub_nc_u32_e32 v2, 29, v2
	v_lshlrev_b64 v[8:9], v8, v[28:29]
	s_delay_alu instid0(VALU_DEP_1)
	v_and_b32_e32 v28, 7, v8
; %bb.688:                              ;   in Loop: Header=BB264_16 Depth=1
	s_or_b32 exec_lo, exec_lo, s25
	v_dual_mov_b32 v76, v29 :: v_dual_lshlrev_b32 v3, 24, v3
	s_delay_alu instid0(VALU_DEP_2) | instskip(SKIP_1) | instid1(VALU_DEP_3)
	v_lshlrev_b32_e32 v8, 20, v28
	v_lshl_add_u32 v2, v2, 23, 0x3c000000
	v_and_b32_e32 v3, 0x80000000, v3
	s_delay_alu instid0(VALU_DEP_1)
	v_or3_b32 v77, v8, v3, v2
.LBB264_689:                            ;   in Loop: Header=BB264_16 Depth=1
	s_or_b32 exec_lo, exec_lo, s2
.LBB264_690:                            ;   in Loop: Header=BB264_16 Depth=1
	s_delay_alu instid0(SALU_CYCLE_1)
	s_or_b32 exec_lo, exec_lo, s24
.LBB264_691:                            ;   in Loop: Header=BB264_16 Depth=1
	s_delay_alu instid0(SALU_CYCLE_1)
	s_or_b32 exec_lo, exec_lo, s23
	flat_load_b32 v2, v[152:153] offset:2564
	v_mov_b32_e32 v88, 0
	v_mov_b32_e32 v89, 0
	s_mov_b32 s2, exec_lo
	scratch_store_b64 off, v[88:89], s32 offset:548 ; 8-byte Folded Spill
	s_waitcnt vmcnt(0) lgkmcnt(0)
	v_and_b32_e32 v3, 0xff, v2
	s_delay_alu instid0(VALU_DEP_1)
	v_cmpx_ne_u16_e32 0, v3
	s_cbranch_execz .LBB264_699
; %bb.692:                              ;   in Loop: Header=BB264_16 Depth=1
	v_bfrev_b32_e32 v8, 1
	v_mov_b32_e32 v9, 0
	s_mov_b32 s23, exec_lo
	scratch_store_b64 off, v[8:9], s32 offset:548 ; 8-byte Folded Spill
	v_cmpx_ne_u16_e32 0x80, v3
	s_cbranch_execz .LBB264_698
; %bb.693:                              ;   in Loop: Header=BB264_16 Depth=1
	v_mov_b32_e32 v18, 0x7f800001
	v_dual_mov_b32 v19, 0 :: v_dual_and_b32 v8, 0x7f, v2
	s_mov_b32 s24, exec_lo
	scratch_store_b64 off, v[18:19], s32 offset:548 ; 8-byte Folded Spill
	v_cmpx_ne_u32_e32 0x7f, v8
	s_cbranch_execz .LBB264_697
; %bb.694:                              ;   in Loop: Header=BB264_16 Depth=1
	v_and_b32_e32 v28, 7, v2
	v_lshrrev_b32_e32 v3, 3, v8
	s_mov_b32 s25, exec_lo
	v_cmpx_gt_u32_e32 8, v8
; %bb.695:                              ;   in Loop: Header=BB264_16 Depth=1
	s_delay_alu instid0(VALU_DEP_3) | instskip(NEXT) | instid1(VALU_DEP_1)
	v_clz_i32_u32_e32 v3, v28
	v_min_u32_e32 v3, 32, v3
	s_delay_alu instid0(VALU_DEP_1) | instskip(SKIP_1) | instid1(VALU_DEP_2)
	v_subrev_nc_u32_e32 v8, 28, v3
	v_sub_nc_u32_e32 v3, 29, v3
	v_lshlrev_b64 v[8:9], v8, v[28:29]
	s_delay_alu instid0(VALU_DEP_1)
	v_and_b32_e32 v28, 7, v8
; %bb.696:                              ;   in Loop: Header=BB264_16 Depth=1
	s_or_b32 exec_lo, exec_lo, s25
	v_lshlrev_b32_e32 v8, 24, v2
	s_delay_alu instid0(VALU_DEP_2) | instskip(SKIP_1) | instid1(VALU_DEP_3)
	v_lshlrev_b32_e32 v9, 20, v28
	v_lshl_add_u32 v3, v3, 23, 0x3c000000
	v_and_b32_e32 v8, 0x80000000, v8
	s_delay_alu instid0(VALU_DEP_1)
	v_or3_b32 v28, v9, v8, v3
	scratch_store_b64 off, v[28:29], s32 offset:548 ; 8-byte Folded Spill
.LBB264_697:                            ;   in Loop: Header=BB264_16 Depth=1
	s_or_b32 exec_lo, exec_lo, s24
.LBB264_698:                            ;   in Loop: Header=BB264_16 Depth=1
	s_delay_alu instid0(SALU_CYCLE_1)
	s_or_b32 exec_lo, exec_lo, s23
.LBB264_699:                            ;   in Loop: Header=BB264_16 Depth=1
	s_delay_alu instid0(SALU_CYCLE_1) | instskip(SKIP_2) | instid1(VALU_DEP_1)
	s_or_b32 exec_lo, exec_lo, s2
	v_lshrrev_b16 v3, 8, v2
	s_mov_b32 s23, exec_lo
	v_cmpx_ne_u16_e32 0, v3
	s_cbranch_execz .LBB264_707
; %bb.700:                              ;   in Loop: Header=BB264_16 Depth=1
	v_dual_mov_b32 v89, s17 :: v_dual_mov_b32 v88, s16
	s_mov_b32 s24, exec_lo
	v_cmpx_ne_u16_e32 0x80, v3
	s_cbranch_execz .LBB264_706
; %bb.701:                              ;   in Loop: Header=BB264_16 Depth=1
	s_mov_b32 s2, s16
	v_and_b32_e32 v3, 0xffff, v3
	v_dual_mov_b32 v89, s3 :: v_dual_mov_b32 v88, s2
	s_mov_b32 s2, exec_lo
	s_delay_alu instid0(VALU_DEP_2) | instskip(NEXT) | instid1(VALU_DEP_1)
	v_and_b32_e32 v8, 0x7f, v3
	v_cmpx_ne_u32_e32 0x7f, v8
	s_cbranch_execz .LBB264_705
; %bb.702:                              ;   in Loop: Header=BB264_16 Depth=1
	v_and_b32_e32 v28, 7, v3
	v_lshrrev_b32_e32 v3, 3, v8
	s_mov_b32 s25, exec_lo
	v_cmpx_gt_u32_e32 8, v8
; %bb.703:                              ;   in Loop: Header=BB264_16 Depth=1
	s_delay_alu instid0(VALU_DEP_3) | instskip(NEXT) | instid1(VALU_DEP_1)
	v_clz_i32_u32_e32 v3, v28
	v_min_u32_e32 v3, 32, v3
	s_delay_alu instid0(VALU_DEP_1) | instskip(SKIP_1) | instid1(VALU_DEP_2)
	v_subrev_nc_u32_e32 v8, 28, v3
	v_sub_nc_u32_e32 v3, 29, v3
	v_lshlrev_b64 v[8:9], v8, v[28:29]
	s_delay_alu instid0(VALU_DEP_1)
	v_and_b32_e32 v28, 7, v8
; %bb.704:                              ;   in Loop: Header=BB264_16 Depth=1
	s_or_b32 exec_lo, exec_lo, s25
	v_lshlrev_b32_e32 v8, 16, v2
	s_delay_alu instid0(VALU_DEP_2) | instskip(SKIP_1) | instid1(VALU_DEP_3)
	v_dual_mov_b32 v88, v29 :: v_dual_lshlrev_b32 v9, 20, v28
	v_lshl_add_u32 v3, v3, 23, 0x3c000000
	v_and_b32_e32 v8, 0x80000000, v8
	s_delay_alu instid0(VALU_DEP_1)
	v_or3_b32 v89, v9, v8, v3
.LBB264_705:                            ;   in Loop: Header=BB264_16 Depth=1
	s_or_b32 exec_lo, exec_lo, s2
.LBB264_706:                            ;   in Loop: Header=BB264_16 Depth=1
	s_delay_alu instid0(SALU_CYCLE_1)
	s_or_b32 exec_lo, exec_lo, s24
.LBB264_707:                            ;   in Loop: Header=BB264_16 Depth=1
	s_delay_alu instid0(SALU_CYCLE_1) | instskip(SKIP_4) | instid1(VALU_DEP_1)
	s_or_b32 exec_lo, exec_lo, s23
	v_mov_b32_e32 v92, 0
	v_lshrrev_b32_e32 v3, 16, v2
	v_mov_b32_e32 v93, 0
	s_mov_b32 s2, exec_lo
	v_dual_mov_b32 v95, v93 :: v_dual_and_b32 v8, 0xff, v3
	v_mov_b32_e32 v94, v92
	s_delay_alu instid0(VALU_DEP_2)
	v_cmpx_ne_u16_e32 0, v8
	s_cbranch_execz .LBB264_715
; %bb.708:                              ;   in Loop: Header=BB264_16 Depth=1
	v_bfrev_b32_e32 v94, 1
	v_mov_b32_e32 v95, 0
	s_mov_b32 s23, exec_lo
	v_cmpx_ne_u16_e32 0x80, v8
	s_cbranch_execz .LBB264_714
; %bb.709:                              ;   in Loop: Header=BB264_16 Depth=1
	v_mov_b32_e32 v94, 0x7f800001
	v_bfe_u32 v9, v2, 16, 7
	v_mov_b32_e32 v95, 0
	s_mov_b32 s24, exec_lo
	s_delay_alu instid0(VALU_DEP_2)
	v_cmpx_ne_u32_e32 0x7f, v9
	s_cbranch_execz .LBB264_713
; %bb.710:                              ;   in Loop: Header=BB264_16 Depth=1
	v_and_b32_e32 v28, 7, v3
	v_lshrrev_b32_e32 v8, 3, v9
	s_mov_b32 s25, exec_lo
	v_cmpx_gt_u32_e32 8, v9
; %bb.711:                              ;   in Loop: Header=BB264_16 Depth=1
	s_delay_alu instid0(VALU_DEP_3) | instskip(NEXT) | instid1(VALU_DEP_1)
	v_clz_i32_u32_e32 v8, v28
	v_min_u32_e32 v8, 32, v8
	s_delay_alu instid0(VALU_DEP_1) | instskip(SKIP_1) | instid1(VALU_DEP_2)
	v_subrev_nc_u32_e32 v9, 28, v8
	v_sub_nc_u32_e32 v8, 29, v8
	v_lshlrev_b64 v[18:19], v9, v[28:29]
	s_delay_alu instid0(VALU_DEP_1)
	v_and_b32_e32 v28, 7, v18
; %bb.712:                              ;   in Loop: Header=BB264_16 Depth=1
	s_or_b32 exec_lo, exec_lo, s25
	v_lshlrev_b32_e32 v3, 24, v3
	s_delay_alu instid0(VALU_DEP_2) | instskip(SKIP_1) | instid1(VALU_DEP_3)
	v_lshlrev_b32_e32 v9, 20, v28
	v_lshl_add_u32 v8, v8, 23, 0x3c000000
	v_and_b32_e32 v3, 0x80000000, v3
	s_delay_alu instid0(VALU_DEP_1) | instskip(NEXT) | instid1(VALU_DEP_1)
	v_or3_b32 v28, v9, v3, v8
	v_dual_mov_b32 v95, v29 :: v_dual_mov_b32 v94, v28
.LBB264_713:                            ;   in Loop: Header=BB264_16 Depth=1
	s_or_b32 exec_lo, exec_lo, s24
.LBB264_714:                            ;   in Loop: Header=BB264_16 Depth=1
	s_delay_alu instid0(SALU_CYCLE_1)
	s_or_b32 exec_lo, exec_lo, s23
.LBB264_715:                            ;   in Loop: Header=BB264_16 Depth=1
	s_delay_alu instid0(SALU_CYCLE_1) | instskip(NEXT) | instid1(SALU_CYCLE_1)
	s_or_b32 exec_lo, exec_lo, s2
	s_mov_b32 s23, exec_lo
	v_cmpx_lt_u32_e32 0xffffff, v2
	s_cbranch_execz .LBB264_723
; %bb.716:                              ;   in Loop: Header=BB264_16 Depth=1
	v_lshrrev_b32_e32 v3, 24, v2
	v_dual_mov_b32 v93, s17 :: v_dual_mov_b32 v92, s16
	s_mov_b32 s24, exec_lo
	s_delay_alu instid0(VALU_DEP_2)
	v_cmpx_ne_u32_e32 0x80, v3
	s_cbranch_execz .LBB264_722
; %bb.717:                              ;   in Loop: Header=BB264_16 Depth=1
	s_mov_b32 s2, s16
	v_bfe_u32 v8, v2, 24, 7
	v_dual_mov_b32 v93, s3 :: v_dual_mov_b32 v92, s2
	s_mov_b32 s2, exec_lo
	s_delay_alu instid0(VALU_DEP_2)
	v_cmpx_ne_u32_e32 0x7f, v8
	s_cbranch_execz .LBB264_721
; %bb.718:                              ;   in Loop: Header=BB264_16 Depth=1
	v_and_b32_e32 v28, 7, v3
	v_lshrrev_b32_e32 v2, 3, v8
	s_mov_b32 s25, exec_lo
	v_cmpx_gt_u32_e32 8, v8
; %bb.719:                              ;   in Loop: Header=BB264_16 Depth=1
	s_delay_alu instid0(VALU_DEP_3) | instskip(NEXT) | instid1(VALU_DEP_1)
	v_clz_i32_u32_e32 v2, v28
	v_min_u32_e32 v2, 32, v2
	s_delay_alu instid0(VALU_DEP_1) | instskip(SKIP_1) | instid1(VALU_DEP_2)
	v_subrev_nc_u32_e32 v8, 28, v2
	v_sub_nc_u32_e32 v2, 29, v2
	v_lshlrev_b64 v[8:9], v8, v[28:29]
	s_delay_alu instid0(VALU_DEP_1)
	v_and_b32_e32 v28, 7, v8
; %bb.720:                              ;   in Loop: Header=BB264_16 Depth=1
	s_or_b32 exec_lo, exec_lo, s25
	v_dual_mov_b32 v92, v29 :: v_dual_lshlrev_b32 v3, 24, v3
	s_delay_alu instid0(VALU_DEP_2) | instskip(SKIP_1) | instid1(VALU_DEP_3)
	v_lshlrev_b32_e32 v8, 20, v28
	v_lshl_add_u32 v2, v2, 23, 0x3c000000
	v_and_b32_e32 v3, 0x80000000, v3
	s_delay_alu instid0(VALU_DEP_1)
	v_or3_b32 v93, v8, v3, v2
.LBB264_721:                            ;   in Loop: Header=BB264_16 Depth=1
	s_or_b32 exec_lo, exec_lo, s2
.LBB264_722:                            ;   in Loop: Header=BB264_16 Depth=1
	s_delay_alu instid0(SALU_CYCLE_1)
	s_or_b32 exec_lo, exec_lo, s24
.LBB264_723:                            ;   in Loop: Header=BB264_16 Depth=1
	s_delay_alu instid0(SALU_CYCLE_1) | instskip(SKIP_3) | instid1(VALU_DEP_2)
	s_or_b32 exec_lo, exec_lo, s23
	flat_load_b32 v2, v[152:153] offset:2568
	v_mov_b32_e32 v120, 0
	v_mov_b32_e32 v121, 0
	;; [unrolled: 1-line block ×3, first 2 shown]
	s_mov_b32 s2, exec_lo
	s_waitcnt vmcnt(0) lgkmcnt(0)
	s_delay_alu instid0(VALU_DEP_2) | instskip(NEXT) | instid1(VALU_DEP_1)
	v_dual_mov_b32 v24, v121 :: v_dual_and_b32 v3, 0xff, v2
	v_cmpx_ne_u16_e32 0, v3
	s_cbranch_execz .LBB264_731
; %bb.724:                              ;   in Loop: Header=BB264_16 Depth=1
	v_bfrev_b32_e32 v23, 1
	v_mov_b32_e32 v24, 0
	s_mov_b32 s23, exec_lo
	v_cmpx_ne_u16_e32 0x80, v3
	s_cbranch_execz .LBB264_730
; %bb.725:                              ;   in Loop: Header=BB264_16 Depth=1
	v_mov_b32_e32 v23, 0x7f800001
	v_and_b32_e32 v8, 0x7f, v2
	v_mov_b32_e32 v24, 0
	s_mov_b32 s24, exec_lo
	s_delay_alu instid0(VALU_DEP_2)
	v_cmpx_ne_u32_e32 0x7f, v8
	s_cbranch_execz .LBB264_729
; %bb.726:                              ;   in Loop: Header=BB264_16 Depth=1
	v_and_b32_e32 v28, 7, v2
	v_lshrrev_b32_e32 v3, 3, v8
	s_mov_b32 s25, exec_lo
	v_cmpx_gt_u32_e32 8, v8
; %bb.727:                              ;   in Loop: Header=BB264_16 Depth=1
	s_delay_alu instid0(VALU_DEP_3) | instskip(NEXT) | instid1(VALU_DEP_1)
	v_clz_i32_u32_e32 v3, v28
	v_min_u32_e32 v3, 32, v3
	s_delay_alu instid0(VALU_DEP_1) | instskip(SKIP_1) | instid1(VALU_DEP_2)
	v_subrev_nc_u32_e32 v8, 28, v3
	v_sub_nc_u32_e32 v3, 29, v3
	v_lshlrev_b64 v[8:9], v8, v[28:29]
	s_delay_alu instid0(VALU_DEP_1)
	v_and_b32_e32 v28, 7, v8
; %bb.728:                              ;   in Loop: Header=BB264_16 Depth=1
	s_or_b32 exec_lo, exec_lo, s25
	v_lshlrev_b32_e32 v8, 24, v2
	s_delay_alu instid0(VALU_DEP_2) | instskip(SKIP_1) | instid1(VALU_DEP_3)
	v_lshlrev_b32_e32 v9, 20, v28
	v_lshl_add_u32 v3, v3, 23, 0x3c000000
	v_and_b32_e32 v8, 0x80000000, v8
	s_delay_alu instid0(VALU_DEP_1) | instskip(NEXT) | instid1(VALU_DEP_1)
	v_or3_b32 v28, v9, v8, v3
	v_dual_mov_b32 v23, v28 :: v_dual_mov_b32 v24, v29
.LBB264_729:                            ;   in Loop: Header=BB264_16 Depth=1
	s_or_b32 exec_lo, exec_lo, s24
.LBB264_730:                            ;   in Loop: Header=BB264_16 Depth=1
	s_delay_alu instid0(SALU_CYCLE_1)
	s_or_b32 exec_lo, exec_lo, s23
.LBB264_731:                            ;   in Loop: Header=BB264_16 Depth=1
	s_delay_alu instid0(SALU_CYCLE_1) | instskip(SKIP_2) | instid1(VALU_DEP_1)
	s_or_b32 exec_lo, exec_lo, s2
	v_lshrrev_b16 v3, 8, v2
	s_mov_b32 s23, exec_lo
	v_cmpx_ne_u16_e32 0, v3
	s_cbranch_execz .LBB264_739
; %bb.732:                              ;   in Loop: Header=BB264_16 Depth=1
	v_dual_mov_b32 v121, s17 :: v_dual_mov_b32 v120, s16
	s_mov_b32 s24, exec_lo
	v_cmpx_ne_u16_e32 0x80, v3
	s_cbranch_execz .LBB264_738
; %bb.733:                              ;   in Loop: Header=BB264_16 Depth=1
	s_mov_b32 s2, s16
	v_and_b32_e32 v3, 0xffff, v3
	v_dual_mov_b32 v121, s3 :: v_dual_mov_b32 v120, s2
	s_mov_b32 s2, exec_lo
	s_delay_alu instid0(VALU_DEP_2) | instskip(NEXT) | instid1(VALU_DEP_1)
	v_and_b32_e32 v8, 0x7f, v3
	v_cmpx_ne_u32_e32 0x7f, v8
	s_cbranch_execz .LBB264_737
; %bb.734:                              ;   in Loop: Header=BB264_16 Depth=1
	v_and_b32_e32 v28, 7, v3
	v_lshrrev_b32_e32 v3, 3, v8
	s_mov_b32 s25, exec_lo
	v_cmpx_gt_u32_e32 8, v8
; %bb.735:                              ;   in Loop: Header=BB264_16 Depth=1
	s_delay_alu instid0(VALU_DEP_3) | instskip(NEXT) | instid1(VALU_DEP_1)
	v_clz_i32_u32_e32 v3, v28
	v_min_u32_e32 v3, 32, v3
	s_delay_alu instid0(VALU_DEP_1) | instskip(SKIP_1) | instid1(VALU_DEP_2)
	v_subrev_nc_u32_e32 v8, 28, v3
	v_sub_nc_u32_e32 v3, 29, v3
	v_lshlrev_b64 v[8:9], v8, v[28:29]
	s_delay_alu instid0(VALU_DEP_1)
	v_and_b32_e32 v28, 7, v8
; %bb.736:                              ;   in Loop: Header=BB264_16 Depth=1
	s_or_b32 exec_lo, exec_lo, s25
	v_lshlrev_b32_e32 v8, 16, v2
	s_delay_alu instid0(VALU_DEP_2) | instskip(SKIP_1) | instid1(VALU_DEP_3)
	v_dual_mov_b32 v120, v29 :: v_dual_lshlrev_b32 v9, 20, v28
	v_lshl_add_u32 v3, v3, 23, 0x3c000000
	v_and_b32_e32 v8, 0x80000000, v8
	s_delay_alu instid0(VALU_DEP_1)
	v_or3_b32 v121, v9, v8, v3
.LBB264_737:                            ;   in Loop: Header=BB264_16 Depth=1
	s_or_b32 exec_lo, exec_lo, s2
.LBB264_738:                            ;   in Loop: Header=BB264_16 Depth=1
	s_delay_alu instid0(SALU_CYCLE_1)
	s_or_b32 exec_lo, exec_lo, s24
.LBB264_739:                            ;   in Loop: Header=BB264_16 Depth=1
	s_delay_alu instid0(SALU_CYCLE_1) | instskip(SKIP_4) | instid1(VALU_DEP_1)
	s_or_b32 exec_lo, exec_lo, s23
	v_mov_b32_e32 v124, 0
	v_lshrrev_b32_e32 v3, 16, v2
	v_mov_b32_e32 v125, 0
	s_mov_b32 s2, exec_lo
	v_dual_mov_b32 v137, v125 :: v_dual_and_b32 v8, 0xff, v3
	v_mov_b32_e32 v136, v124
	s_delay_alu instid0(VALU_DEP_2)
	v_cmpx_ne_u16_e32 0, v8
	s_cbranch_execz .LBB264_747
; %bb.740:                              ;   in Loop: Header=BB264_16 Depth=1
	v_bfrev_b32_e32 v136, 1
	v_mov_b32_e32 v137, 0
	s_mov_b32 s23, exec_lo
	v_cmpx_ne_u16_e32 0x80, v8
	s_cbranch_execz .LBB264_746
; %bb.741:                              ;   in Loop: Header=BB264_16 Depth=1
	v_mov_b32_e32 v136, 0x7f800001
	v_bfe_u32 v9, v2, 16, 7
	v_mov_b32_e32 v137, 0
	s_mov_b32 s24, exec_lo
	s_delay_alu instid0(VALU_DEP_2)
	v_cmpx_ne_u32_e32 0x7f, v9
	s_cbranch_execz .LBB264_745
; %bb.742:                              ;   in Loop: Header=BB264_16 Depth=1
	v_and_b32_e32 v28, 7, v3
	v_lshrrev_b32_e32 v8, 3, v9
	s_mov_b32 s25, exec_lo
	v_cmpx_gt_u32_e32 8, v9
; %bb.743:                              ;   in Loop: Header=BB264_16 Depth=1
	s_delay_alu instid0(VALU_DEP_3) | instskip(NEXT) | instid1(VALU_DEP_1)
	v_clz_i32_u32_e32 v8, v28
	v_min_u32_e32 v8, 32, v8
	s_delay_alu instid0(VALU_DEP_1) | instskip(SKIP_1) | instid1(VALU_DEP_2)
	v_subrev_nc_u32_e32 v9, 28, v8
	v_sub_nc_u32_e32 v8, 29, v8
	v_lshlrev_b64 v[18:19], v9, v[28:29]
	s_delay_alu instid0(VALU_DEP_1)
	v_and_b32_e32 v28, 7, v18
; %bb.744:                              ;   in Loop: Header=BB264_16 Depth=1
	s_or_b32 exec_lo, exec_lo, s25
	v_lshlrev_b32_e32 v3, 24, v3
	s_delay_alu instid0(VALU_DEP_2) | instskip(SKIP_1) | instid1(VALU_DEP_3)
	v_lshlrev_b32_e32 v9, 20, v28
	v_lshl_add_u32 v8, v8, 23, 0x3c000000
	v_and_b32_e32 v3, 0x80000000, v3
	s_delay_alu instid0(VALU_DEP_1) | instskip(NEXT) | instid1(VALU_DEP_1)
	v_or3_b32 v28, v9, v3, v8
	v_dual_mov_b32 v137, v29 :: v_dual_mov_b32 v136, v28
.LBB264_745:                            ;   in Loop: Header=BB264_16 Depth=1
	s_or_b32 exec_lo, exec_lo, s24
.LBB264_746:                            ;   in Loop: Header=BB264_16 Depth=1
	s_delay_alu instid0(SALU_CYCLE_1)
	s_or_b32 exec_lo, exec_lo, s23
.LBB264_747:                            ;   in Loop: Header=BB264_16 Depth=1
	s_delay_alu instid0(SALU_CYCLE_1) | instskip(NEXT) | instid1(SALU_CYCLE_1)
	s_or_b32 exec_lo, exec_lo, s2
	s_mov_b32 s23, exec_lo
	v_cmpx_lt_u32_e32 0xffffff, v2
	s_cbranch_execz .LBB264_755
; %bb.748:                              ;   in Loop: Header=BB264_16 Depth=1
	v_lshrrev_b32_e32 v3, 24, v2
	v_dual_mov_b32 v125, s17 :: v_dual_mov_b32 v124, s16
	s_mov_b32 s24, exec_lo
	s_delay_alu instid0(VALU_DEP_2)
	v_cmpx_ne_u32_e32 0x80, v3
	s_cbranch_execz .LBB264_754
; %bb.749:                              ;   in Loop: Header=BB264_16 Depth=1
	s_mov_b32 s2, s16
	v_bfe_u32 v8, v2, 24, 7
	v_dual_mov_b32 v125, s3 :: v_dual_mov_b32 v124, s2
	s_mov_b32 s2, exec_lo
	s_delay_alu instid0(VALU_DEP_2)
	v_cmpx_ne_u32_e32 0x7f, v8
	s_cbranch_execz .LBB264_753
; %bb.750:                              ;   in Loop: Header=BB264_16 Depth=1
	v_and_b32_e32 v28, 7, v3
	v_lshrrev_b32_e32 v2, 3, v8
	s_mov_b32 s25, exec_lo
	v_cmpx_gt_u32_e32 8, v8
; %bb.751:                              ;   in Loop: Header=BB264_16 Depth=1
	s_delay_alu instid0(VALU_DEP_3) | instskip(NEXT) | instid1(VALU_DEP_1)
	v_clz_i32_u32_e32 v2, v28
	v_min_u32_e32 v2, 32, v2
	s_delay_alu instid0(VALU_DEP_1) | instskip(SKIP_1) | instid1(VALU_DEP_2)
	v_subrev_nc_u32_e32 v8, 28, v2
	v_sub_nc_u32_e32 v2, 29, v2
	v_lshlrev_b64 v[8:9], v8, v[28:29]
	s_delay_alu instid0(VALU_DEP_1)
	v_and_b32_e32 v28, 7, v8
; %bb.752:                              ;   in Loop: Header=BB264_16 Depth=1
	s_or_b32 exec_lo, exec_lo, s25
	v_dual_mov_b32 v124, v29 :: v_dual_lshlrev_b32 v3, 24, v3
	s_delay_alu instid0(VALU_DEP_2) | instskip(SKIP_1) | instid1(VALU_DEP_3)
	v_lshlrev_b32_e32 v8, 20, v28
	v_lshl_add_u32 v2, v2, 23, 0x3c000000
	v_and_b32_e32 v3, 0x80000000, v3
	s_delay_alu instid0(VALU_DEP_1)
	v_or3_b32 v125, v8, v3, v2
.LBB264_753:                            ;   in Loop: Header=BB264_16 Depth=1
	s_or_b32 exec_lo, exec_lo, s2
.LBB264_754:                            ;   in Loop: Header=BB264_16 Depth=1
	s_delay_alu instid0(SALU_CYCLE_1)
	s_or_b32 exec_lo, exec_lo, s24
.LBB264_755:                            ;   in Loop: Header=BB264_16 Depth=1
	s_delay_alu instid0(SALU_CYCLE_1) | instskip(SKIP_4) | instid1(VALU_DEP_1)
	s_or_b32 exec_lo, exec_lo, s23
	flat_load_b32 v2, v[152:153] offset:2572
	v_mov_b32_e32 v142, 0
	v_mov_b32_e32 v143, 0
	s_mov_b32 s2, exec_lo
	v_dual_mov_b32 v157, v143 :: v_dual_mov_b32 v156, v142
	s_waitcnt vmcnt(0) lgkmcnt(0)
	v_and_b32_e32 v3, 0xff, v2
	s_delay_alu instid0(VALU_DEP_1)
	v_cmpx_ne_u16_e32 0, v3
	s_cbranch_execz .LBB264_763
; %bb.756:                              ;   in Loop: Header=BB264_16 Depth=1
	v_bfrev_b32_e32 v156, 1
	v_mov_b32_e32 v157, 0
	s_mov_b32 s23, exec_lo
	v_cmpx_ne_u16_e32 0x80, v3
	s_cbranch_execz .LBB264_762
; %bb.757:                              ;   in Loop: Header=BB264_16 Depth=1
	v_mov_b32_e32 v156, 0x7f800001
	v_dual_mov_b32 v157, 0 :: v_dual_and_b32 v8, 0x7f, v2
	s_mov_b32 s24, exec_lo
	s_delay_alu instid0(VALU_DEP_1)
	v_cmpx_ne_u32_e32 0x7f, v8
	s_cbranch_execz .LBB264_761
; %bb.758:                              ;   in Loop: Header=BB264_16 Depth=1
	v_and_b32_e32 v28, 7, v2
	v_lshrrev_b32_e32 v3, 3, v8
	s_mov_b32 s25, exec_lo
	v_cmpx_gt_u32_e32 8, v8
; %bb.759:                              ;   in Loop: Header=BB264_16 Depth=1
	s_delay_alu instid0(VALU_DEP_3) | instskip(NEXT) | instid1(VALU_DEP_1)
	v_clz_i32_u32_e32 v3, v28
	v_min_u32_e32 v3, 32, v3
	s_delay_alu instid0(VALU_DEP_1) | instskip(SKIP_1) | instid1(VALU_DEP_2)
	v_subrev_nc_u32_e32 v8, 28, v3
	v_sub_nc_u32_e32 v3, 29, v3
	v_lshlrev_b64 v[8:9], v8, v[28:29]
	s_delay_alu instid0(VALU_DEP_1)
	v_and_b32_e32 v28, 7, v8
; %bb.760:                              ;   in Loop: Header=BB264_16 Depth=1
	s_or_b32 exec_lo, exec_lo, s25
	v_lshlrev_b32_e32 v8, 24, v2
	s_delay_alu instid0(VALU_DEP_2) | instskip(SKIP_1) | instid1(VALU_DEP_3)
	v_lshlrev_b32_e32 v9, 20, v28
	v_lshl_add_u32 v3, v3, 23, 0x3c000000
	v_and_b32_e32 v8, 0x80000000, v8
	s_delay_alu instid0(VALU_DEP_1) | instskip(NEXT) | instid1(VALU_DEP_1)
	v_or3_b32 v28, v9, v8, v3
	v_dual_mov_b32 v157, v29 :: v_dual_mov_b32 v156, v28
.LBB264_761:                            ;   in Loop: Header=BB264_16 Depth=1
	s_or_b32 exec_lo, exec_lo, s24
.LBB264_762:                            ;   in Loop: Header=BB264_16 Depth=1
	s_delay_alu instid0(SALU_CYCLE_1)
	s_or_b32 exec_lo, exec_lo, s23
.LBB264_763:                            ;   in Loop: Header=BB264_16 Depth=1
	s_delay_alu instid0(SALU_CYCLE_1) | instskip(SKIP_2) | instid1(VALU_DEP_1)
	s_or_b32 exec_lo, exec_lo, s2
	v_lshrrev_b16 v3, 8, v2
	s_mov_b32 s23, exec_lo
	v_cmpx_ne_u16_e32 0, v3
	s_cbranch_execz .LBB264_771
; %bb.764:                              ;   in Loop: Header=BB264_16 Depth=1
	v_dual_mov_b32 v143, s17 :: v_dual_mov_b32 v142, s16
	s_mov_b32 s24, exec_lo
	v_cmpx_ne_u16_e32 0x80, v3
	s_cbranch_execz .LBB264_770
; %bb.765:                              ;   in Loop: Header=BB264_16 Depth=1
	s_mov_b32 s2, s16
	v_and_b32_e32 v3, 0xffff, v3
	v_dual_mov_b32 v143, s3 :: v_dual_mov_b32 v142, s2
	s_mov_b32 s2, exec_lo
	s_delay_alu instid0(VALU_DEP_2) | instskip(NEXT) | instid1(VALU_DEP_1)
	v_and_b32_e32 v8, 0x7f, v3
	v_cmpx_ne_u32_e32 0x7f, v8
	s_cbranch_execz .LBB264_769
; %bb.766:                              ;   in Loop: Header=BB264_16 Depth=1
	v_and_b32_e32 v28, 7, v3
	v_lshrrev_b32_e32 v3, 3, v8
	s_mov_b32 s25, exec_lo
	v_cmpx_gt_u32_e32 8, v8
; %bb.767:                              ;   in Loop: Header=BB264_16 Depth=1
	s_delay_alu instid0(VALU_DEP_3) | instskip(NEXT) | instid1(VALU_DEP_1)
	v_clz_i32_u32_e32 v3, v28
	v_min_u32_e32 v3, 32, v3
	s_delay_alu instid0(VALU_DEP_1) | instskip(SKIP_1) | instid1(VALU_DEP_2)
	v_subrev_nc_u32_e32 v8, 28, v3
	v_sub_nc_u32_e32 v3, 29, v3
	v_lshlrev_b64 v[8:9], v8, v[28:29]
	s_delay_alu instid0(VALU_DEP_1)
	v_and_b32_e32 v28, 7, v8
; %bb.768:                              ;   in Loop: Header=BB264_16 Depth=1
	s_or_b32 exec_lo, exec_lo, s25
	v_lshlrev_b32_e32 v8, 16, v2
	s_delay_alu instid0(VALU_DEP_2) | instskip(SKIP_1) | instid1(VALU_DEP_3)
	v_dual_mov_b32 v142, v29 :: v_dual_lshlrev_b32 v9, 20, v28
	v_lshl_add_u32 v3, v3, 23, 0x3c000000
	v_and_b32_e32 v8, 0x80000000, v8
	s_delay_alu instid0(VALU_DEP_1)
	v_or3_b32 v143, v9, v8, v3
.LBB264_769:                            ;   in Loop: Header=BB264_16 Depth=1
	s_or_b32 exec_lo, exec_lo, s2
.LBB264_770:                            ;   in Loop: Header=BB264_16 Depth=1
	s_delay_alu instid0(SALU_CYCLE_1)
	s_or_b32 exec_lo, exec_lo, s24
.LBB264_771:                            ;   in Loop: Header=BB264_16 Depth=1
	s_delay_alu instid0(SALU_CYCLE_1) | instskip(SKIP_4) | instid1(VALU_DEP_1)
	s_or_b32 exec_lo, exec_lo, s23
	v_mov_b32_e32 v168, 0
	v_lshrrev_b32_e32 v3, 16, v2
	v_mov_b32_e32 v169, 0
	s_mov_b32 s2, exec_lo
	v_dual_mov_b32 v173, v169 :: v_dual_and_b32 v8, 0xff, v3
	v_mov_b32_e32 v172, v168
	s_delay_alu instid0(VALU_DEP_2)
	v_cmpx_ne_u16_e32 0, v8
	s_cbranch_execz .LBB264_779
; %bb.772:                              ;   in Loop: Header=BB264_16 Depth=1
	v_bfrev_b32_e32 v172, 1
	v_mov_b32_e32 v173, 0
	s_mov_b32 s23, exec_lo
	v_cmpx_ne_u16_e32 0x80, v8
	s_cbranch_execz .LBB264_778
; %bb.773:                              ;   in Loop: Header=BB264_16 Depth=1
	v_mov_b32_e32 v172, 0x7f800001
	v_bfe_u32 v9, v2, 16, 7
	v_mov_b32_e32 v173, 0
	s_mov_b32 s24, exec_lo
	s_delay_alu instid0(VALU_DEP_2)
	v_cmpx_ne_u32_e32 0x7f, v9
	s_cbranch_execz .LBB264_777
; %bb.774:                              ;   in Loop: Header=BB264_16 Depth=1
	v_and_b32_e32 v28, 7, v3
	v_lshrrev_b32_e32 v8, 3, v9
	s_mov_b32 s25, exec_lo
	v_cmpx_gt_u32_e32 8, v9
; %bb.775:                              ;   in Loop: Header=BB264_16 Depth=1
	s_delay_alu instid0(VALU_DEP_3) | instskip(NEXT) | instid1(VALU_DEP_1)
	v_clz_i32_u32_e32 v8, v28
	v_min_u32_e32 v8, 32, v8
	s_delay_alu instid0(VALU_DEP_1) | instskip(SKIP_1) | instid1(VALU_DEP_2)
	v_subrev_nc_u32_e32 v9, 28, v8
	v_sub_nc_u32_e32 v8, 29, v8
	v_lshlrev_b64 v[18:19], v9, v[28:29]
	s_delay_alu instid0(VALU_DEP_1)
	v_and_b32_e32 v28, 7, v18
; %bb.776:                              ;   in Loop: Header=BB264_16 Depth=1
	s_or_b32 exec_lo, exec_lo, s25
	v_lshlrev_b32_e32 v3, 24, v3
	s_delay_alu instid0(VALU_DEP_2) | instskip(SKIP_1) | instid1(VALU_DEP_3)
	v_lshlrev_b32_e32 v9, 20, v28
	v_lshl_add_u32 v8, v8, 23, 0x3c000000
	v_and_b32_e32 v3, 0x80000000, v3
	s_delay_alu instid0(VALU_DEP_1) | instskip(NEXT) | instid1(VALU_DEP_1)
	v_or3_b32 v28, v9, v3, v8
	v_dual_mov_b32 v173, v29 :: v_dual_mov_b32 v172, v28
.LBB264_777:                            ;   in Loop: Header=BB264_16 Depth=1
	s_or_b32 exec_lo, exec_lo, s24
.LBB264_778:                            ;   in Loop: Header=BB264_16 Depth=1
	s_delay_alu instid0(SALU_CYCLE_1)
	s_or_b32 exec_lo, exec_lo, s23
.LBB264_779:                            ;   in Loop: Header=BB264_16 Depth=1
	s_delay_alu instid0(SALU_CYCLE_1) | instskip(NEXT) | instid1(SALU_CYCLE_1)
	s_or_b32 exec_lo, exec_lo, s2
	s_mov_b32 s23, exec_lo
	v_cmpx_lt_u32_e32 0xffffff, v2
	s_cbranch_execz .LBB264_787
; %bb.780:                              ;   in Loop: Header=BB264_16 Depth=1
	v_lshrrev_b32_e32 v3, 24, v2
	v_dual_mov_b32 v169, s17 :: v_dual_mov_b32 v168, s16
	s_mov_b32 s24, exec_lo
	s_delay_alu instid0(VALU_DEP_2)
	v_cmpx_ne_u32_e32 0x80, v3
	s_cbranch_execz .LBB264_786
; %bb.781:                              ;   in Loop: Header=BB264_16 Depth=1
	s_mov_b32 s2, s16
	v_bfe_u32 v8, v2, 24, 7
	v_dual_mov_b32 v169, s3 :: v_dual_mov_b32 v168, s2
	s_mov_b32 s2, exec_lo
	s_delay_alu instid0(VALU_DEP_2)
	v_cmpx_ne_u32_e32 0x7f, v8
	s_cbranch_execz .LBB264_785
; %bb.782:                              ;   in Loop: Header=BB264_16 Depth=1
	v_and_b32_e32 v28, 7, v3
	v_lshrrev_b32_e32 v2, 3, v8
	s_mov_b32 s25, exec_lo
	v_cmpx_gt_u32_e32 8, v8
; %bb.783:                              ;   in Loop: Header=BB264_16 Depth=1
	s_delay_alu instid0(VALU_DEP_3) | instskip(NEXT) | instid1(VALU_DEP_1)
	v_clz_i32_u32_e32 v2, v28
	v_min_u32_e32 v2, 32, v2
	s_delay_alu instid0(VALU_DEP_1) | instskip(SKIP_1) | instid1(VALU_DEP_2)
	v_subrev_nc_u32_e32 v8, 28, v2
	v_sub_nc_u32_e32 v2, 29, v2
	v_lshlrev_b64 v[8:9], v8, v[28:29]
	s_delay_alu instid0(VALU_DEP_1)
	v_and_b32_e32 v28, 7, v8
; %bb.784:                              ;   in Loop: Header=BB264_16 Depth=1
	s_or_b32 exec_lo, exec_lo, s25
	v_dual_mov_b32 v168, v29 :: v_dual_lshlrev_b32 v3, 24, v3
	s_delay_alu instid0(VALU_DEP_2) | instskip(SKIP_1) | instid1(VALU_DEP_3)
	v_lshlrev_b32_e32 v8, 20, v28
	v_lshl_add_u32 v2, v2, 23, 0x3c000000
	v_and_b32_e32 v3, 0x80000000, v3
	s_delay_alu instid0(VALU_DEP_1)
	v_or3_b32 v169, v8, v3, v2
.LBB264_785:                            ;   in Loop: Header=BB264_16 Depth=1
	s_or_b32 exec_lo, exec_lo, s2
.LBB264_786:                            ;   in Loop: Header=BB264_16 Depth=1
	s_delay_alu instid0(SALU_CYCLE_1)
	s_or_b32 exec_lo, exec_lo, s24
.LBB264_787:                            ;   in Loop: Header=BB264_16 Depth=1
	s_delay_alu instid0(SALU_CYCLE_1) | instskip(SKIP_4) | instid1(VALU_DEP_1)
	s_or_b32 exec_lo, exec_lo, s23
	flat_load_b32 v2, v[152:153] offset:3072
	v_mov_b32_e32 v184, 0
	v_mov_b32_e32 v185, 0
	s_mov_b32 s2, exec_lo
	v_dual_mov_b32 v189, v185 :: v_dual_mov_b32 v188, v184
	s_waitcnt vmcnt(0) lgkmcnt(0)
	v_and_b32_e32 v3, 0xff, v2
	s_delay_alu instid0(VALU_DEP_1)
	v_cmpx_ne_u16_e32 0, v3
	s_cbranch_execz .LBB264_795
; %bb.788:                              ;   in Loop: Header=BB264_16 Depth=1
	v_bfrev_b32_e32 v188, 1
	v_mov_b32_e32 v189, 0
	s_mov_b32 s23, exec_lo
	v_cmpx_ne_u16_e32 0x80, v3
	s_cbranch_execz .LBB264_794
; %bb.789:                              ;   in Loop: Header=BB264_16 Depth=1
	v_mov_b32_e32 v188, 0x7f800001
	v_dual_mov_b32 v189, 0 :: v_dual_and_b32 v8, 0x7f, v2
	s_mov_b32 s24, exec_lo
	s_delay_alu instid0(VALU_DEP_1)
	v_cmpx_ne_u32_e32 0x7f, v8
	s_cbranch_execz .LBB264_793
; %bb.790:                              ;   in Loop: Header=BB264_16 Depth=1
	v_and_b32_e32 v28, 7, v2
	v_lshrrev_b32_e32 v3, 3, v8
	s_mov_b32 s25, exec_lo
	v_cmpx_gt_u32_e32 8, v8
; %bb.791:                              ;   in Loop: Header=BB264_16 Depth=1
	s_delay_alu instid0(VALU_DEP_3) | instskip(NEXT) | instid1(VALU_DEP_1)
	v_clz_i32_u32_e32 v3, v28
	v_min_u32_e32 v3, 32, v3
	s_delay_alu instid0(VALU_DEP_1) | instskip(SKIP_1) | instid1(VALU_DEP_2)
	v_subrev_nc_u32_e32 v8, 28, v3
	v_sub_nc_u32_e32 v3, 29, v3
	v_lshlrev_b64 v[8:9], v8, v[28:29]
	s_delay_alu instid0(VALU_DEP_1)
	v_and_b32_e32 v28, 7, v8
; %bb.792:                              ;   in Loop: Header=BB264_16 Depth=1
	s_or_b32 exec_lo, exec_lo, s25
	v_lshlrev_b32_e32 v8, 24, v2
	s_delay_alu instid0(VALU_DEP_2) | instskip(SKIP_1) | instid1(VALU_DEP_3)
	v_lshlrev_b32_e32 v9, 20, v28
	v_lshl_add_u32 v3, v3, 23, 0x3c000000
	v_and_b32_e32 v8, 0x80000000, v8
	s_delay_alu instid0(VALU_DEP_1) | instskip(NEXT) | instid1(VALU_DEP_1)
	v_or3_b32 v28, v9, v8, v3
	v_dual_mov_b32 v189, v29 :: v_dual_mov_b32 v188, v28
.LBB264_793:                            ;   in Loop: Header=BB264_16 Depth=1
	s_or_b32 exec_lo, exec_lo, s24
.LBB264_794:                            ;   in Loop: Header=BB264_16 Depth=1
	s_delay_alu instid0(SALU_CYCLE_1)
	s_or_b32 exec_lo, exec_lo, s23
.LBB264_795:                            ;   in Loop: Header=BB264_16 Depth=1
	s_delay_alu instid0(SALU_CYCLE_1) | instskip(SKIP_2) | instid1(VALU_DEP_1)
	s_or_b32 exec_lo, exec_lo, s2
	v_lshrrev_b16 v3, 8, v2
	s_mov_b32 s23, exec_lo
	v_cmpx_ne_u16_e32 0, v3
	s_cbranch_execz .LBB264_803
; %bb.796:                              ;   in Loop: Header=BB264_16 Depth=1
	v_dual_mov_b32 v185, s17 :: v_dual_mov_b32 v184, s16
	s_mov_b32 s24, exec_lo
	v_cmpx_ne_u16_e32 0x80, v3
	s_cbranch_execz .LBB264_802
; %bb.797:                              ;   in Loop: Header=BB264_16 Depth=1
	s_mov_b32 s2, s16
	v_and_b32_e32 v3, 0xffff, v3
	v_dual_mov_b32 v185, s3 :: v_dual_mov_b32 v184, s2
	s_mov_b32 s2, exec_lo
	s_delay_alu instid0(VALU_DEP_2) | instskip(NEXT) | instid1(VALU_DEP_1)
	v_and_b32_e32 v8, 0x7f, v3
	v_cmpx_ne_u32_e32 0x7f, v8
	s_cbranch_execz .LBB264_801
; %bb.798:                              ;   in Loop: Header=BB264_16 Depth=1
	v_and_b32_e32 v28, 7, v3
	v_lshrrev_b32_e32 v3, 3, v8
	s_mov_b32 s25, exec_lo
	v_cmpx_gt_u32_e32 8, v8
; %bb.799:                              ;   in Loop: Header=BB264_16 Depth=1
	s_delay_alu instid0(VALU_DEP_3) | instskip(NEXT) | instid1(VALU_DEP_1)
	v_clz_i32_u32_e32 v3, v28
	v_min_u32_e32 v3, 32, v3
	s_delay_alu instid0(VALU_DEP_1) | instskip(SKIP_1) | instid1(VALU_DEP_2)
	v_subrev_nc_u32_e32 v8, 28, v3
	v_sub_nc_u32_e32 v3, 29, v3
	v_lshlrev_b64 v[8:9], v8, v[28:29]
	s_delay_alu instid0(VALU_DEP_1)
	v_and_b32_e32 v28, 7, v8
; %bb.800:                              ;   in Loop: Header=BB264_16 Depth=1
	s_or_b32 exec_lo, exec_lo, s25
	v_lshlrev_b32_e32 v8, 16, v2
	s_delay_alu instid0(VALU_DEP_2) | instskip(SKIP_1) | instid1(VALU_DEP_3)
	v_dual_mov_b32 v184, v29 :: v_dual_lshlrev_b32 v9, 20, v28
	v_lshl_add_u32 v3, v3, 23, 0x3c000000
	v_and_b32_e32 v8, 0x80000000, v8
	s_delay_alu instid0(VALU_DEP_1)
	v_or3_b32 v185, v9, v8, v3
.LBB264_801:                            ;   in Loop: Header=BB264_16 Depth=1
	s_or_b32 exec_lo, exec_lo, s2
.LBB264_802:                            ;   in Loop: Header=BB264_16 Depth=1
	s_delay_alu instid0(SALU_CYCLE_1)
	s_or_b32 exec_lo, exec_lo, s24
.LBB264_803:                            ;   in Loop: Header=BB264_16 Depth=1
	s_delay_alu instid0(SALU_CYCLE_1) | instskip(SKIP_4) | instid1(VALU_DEP_1)
	s_or_b32 exec_lo, exec_lo, s23
	v_mov_b32_e32 v106, 0
	v_lshrrev_b32_e32 v3, 16, v2
	v_mov_b32_e32 v107, 0
	s_mov_b32 s2, exec_lo
	v_dual_mov_b32 v109, v107 :: v_dual_and_b32 v8, 0xff, v3
	v_mov_b32_e32 v108, v106
	s_delay_alu instid0(VALU_DEP_2)
	v_cmpx_ne_u16_e32 0, v8
	s_cbranch_execz .LBB264_811
; %bb.804:                              ;   in Loop: Header=BB264_16 Depth=1
	v_bfrev_b32_e32 v108, 1
	v_mov_b32_e32 v109, 0
	s_mov_b32 s23, exec_lo
	v_cmpx_ne_u16_e32 0x80, v8
	s_cbranch_execz .LBB264_810
; %bb.805:                              ;   in Loop: Header=BB264_16 Depth=1
	v_mov_b32_e32 v108, 0x7f800001
	v_bfe_u32 v9, v2, 16, 7
	v_mov_b32_e32 v109, 0
	s_mov_b32 s24, exec_lo
	s_delay_alu instid0(VALU_DEP_2)
	v_cmpx_ne_u32_e32 0x7f, v9
	s_cbranch_execz .LBB264_809
; %bb.806:                              ;   in Loop: Header=BB264_16 Depth=1
	v_and_b32_e32 v28, 7, v3
	v_lshrrev_b32_e32 v8, 3, v9
	s_mov_b32 s25, exec_lo
	v_cmpx_gt_u32_e32 8, v9
; %bb.807:                              ;   in Loop: Header=BB264_16 Depth=1
	s_delay_alu instid0(VALU_DEP_3) | instskip(NEXT) | instid1(VALU_DEP_1)
	v_clz_i32_u32_e32 v8, v28
	v_min_u32_e32 v8, 32, v8
	s_delay_alu instid0(VALU_DEP_1) | instskip(SKIP_1) | instid1(VALU_DEP_2)
	v_subrev_nc_u32_e32 v9, 28, v8
	v_sub_nc_u32_e32 v8, 29, v8
	v_lshlrev_b64 v[18:19], v9, v[28:29]
	s_delay_alu instid0(VALU_DEP_1)
	v_and_b32_e32 v28, 7, v18
; %bb.808:                              ;   in Loop: Header=BB264_16 Depth=1
	s_or_b32 exec_lo, exec_lo, s25
	v_lshlrev_b32_e32 v3, 24, v3
	s_delay_alu instid0(VALU_DEP_2) | instskip(SKIP_1) | instid1(VALU_DEP_3)
	v_lshlrev_b32_e32 v9, 20, v28
	v_lshl_add_u32 v8, v8, 23, 0x3c000000
	v_and_b32_e32 v3, 0x80000000, v3
	s_delay_alu instid0(VALU_DEP_1) | instskip(NEXT) | instid1(VALU_DEP_1)
	v_or3_b32 v28, v9, v3, v8
	v_dual_mov_b32 v109, v29 :: v_dual_mov_b32 v108, v28
.LBB264_809:                            ;   in Loop: Header=BB264_16 Depth=1
	s_or_b32 exec_lo, exec_lo, s24
.LBB264_810:                            ;   in Loop: Header=BB264_16 Depth=1
	s_delay_alu instid0(SALU_CYCLE_1)
	s_or_b32 exec_lo, exec_lo, s23
.LBB264_811:                            ;   in Loop: Header=BB264_16 Depth=1
	s_delay_alu instid0(SALU_CYCLE_1) | instskip(NEXT) | instid1(SALU_CYCLE_1)
	s_or_b32 exec_lo, exec_lo, s2
	s_mov_b32 s23, exec_lo
	v_cmpx_lt_u32_e32 0xffffff, v2
	s_cbranch_execz .LBB264_819
; %bb.812:                              ;   in Loop: Header=BB264_16 Depth=1
	v_lshrrev_b32_e32 v3, 24, v2
	v_dual_mov_b32 v107, s17 :: v_dual_mov_b32 v106, s16
	s_mov_b32 s24, exec_lo
	s_delay_alu instid0(VALU_DEP_2)
	v_cmpx_ne_u32_e32 0x80, v3
	s_cbranch_execz .LBB264_818
; %bb.813:                              ;   in Loop: Header=BB264_16 Depth=1
	s_mov_b32 s2, s16
	v_bfe_u32 v8, v2, 24, 7
	v_dual_mov_b32 v107, s3 :: v_dual_mov_b32 v106, s2
	s_mov_b32 s2, exec_lo
	s_delay_alu instid0(VALU_DEP_2)
	v_cmpx_ne_u32_e32 0x7f, v8
	s_cbranch_execz .LBB264_817
; %bb.814:                              ;   in Loop: Header=BB264_16 Depth=1
	v_and_b32_e32 v28, 7, v3
	v_lshrrev_b32_e32 v2, 3, v8
	s_mov_b32 s25, exec_lo
	v_cmpx_gt_u32_e32 8, v8
; %bb.815:                              ;   in Loop: Header=BB264_16 Depth=1
	s_delay_alu instid0(VALU_DEP_3) | instskip(NEXT) | instid1(VALU_DEP_1)
	v_clz_i32_u32_e32 v2, v28
	v_min_u32_e32 v2, 32, v2
	s_delay_alu instid0(VALU_DEP_1) | instskip(SKIP_1) | instid1(VALU_DEP_2)
	v_subrev_nc_u32_e32 v8, 28, v2
	v_sub_nc_u32_e32 v2, 29, v2
	v_lshlrev_b64 v[8:9], v8, v[28:29]
	s_delay_alu instid0(VALU_DEP_1)
	v_and_b32_e32 v28, 7, v8
; %bb.816:                              ;   in Loop: Header=BB264_16 Depth=1
	s_or_b32 exec_lo, exec_lo, s25
	v_dual_mov_b32 v106, v29 :: v_dual_lshlrev_b32 v3, 24, v3
	s_delay_alu instid0(VALU_DEP_2) | instskip(SKIP_1) | instid1(VALU_DEP_3)
	v_lshlrev_b32_e32 v8, 20, v28
	v_lshl_add_u32 v2, v2, 23, 0x3c000000
	v_and_b32_e32 v3, 0x80000000, v3
	s_delay_alu instid0(VALU_DEP_1)
	v_or3_b32 v107, v8, v3, v2
.LBB264_817:                            ;   in Loop: Header=BB264_16 Depth=1
	s_or_b32 exec_lo, exec_lo, s2
.LBB264_818:                            ;   in Loop: Header=BB264_16 Depth=1
	s_delay_alu instid0(SALU_CYCLE_1)
	s_or_b32 exec_lo, exec_lo, s24
.LBB264_819:                            ;   in Loop: Header=BB264_16 Depth=1
	s_delay_alu instid0(SALU_CYCLE_1)
	s_or_b32 exec_lo, exec_lo, s23
	flat_load_b32 v18, v[152:153] offset:3076
	v_mov_b32_e32 v20, 0
	v_mov_b32_e32 v21, 0
	s_mov_b32 s2, exec_lo
	s_waitcnt vmcnt(0) lgkmcnt(0)
	v_and_b32_e32 v8, 0xff, v18
	s_delay_alu instid0(VALU_DEP_2) | instskip(NEXT) | instid1(VALU_DEP_2)
	v_dual_mov_b32 v2, v20 :: v_dual_mov_b32 v3, v21
	v_cmpx_ne_u16_e32 0, v8
	s_cbranch_execz .LBB264_827
; %bb.820:                              ;   in Loop: Header=BB264_16 Depth=1
	v_bfrev_b32_e32 v2, 1
	v_mov_b32_e32 v3, 0
	s_mov_b32 s23, exec_lo
	v_cmpx_ne_u16_e32 0x80, v8
	s_cbranch_execz .LBB264_826
; %bb.821:                              ;   in Loop: Header=BB264_16 Depth=1
	v_mov_b32_e32 v2, 0x7f800001
	v_dual_mov_b32 v3, 0 :: v_dual_and_b32 v8, 0x7f, v18
	s_mov_b32 s24, exec_lo
	s_delay_alu instid0(VALU_DEP_1)
	v_cmpx_ne_u32_e32 0x7f, v8
	s_cbranch_execz .LBB264_825
; %bb.822:                              ;   in Loop: Header=BB264_16 Depth=1
	v_and_b32_e32 v28, 7, v18
	v_lshrrev_b32_e32 v2, 3, v8
	s_mov_b32 s25, exec_lo
	v_cmpx_gt_u32_e32 8, v8
; %bb.823:                              ;   in Loop: Header=BB264_16 Depth=1
	s_delay_alu instid0(VALU_DEP_3) | instskip(NEXT) | instid1(VALU_DEP_1)
	v_clz_i32_u32_e32 v2, v28
	v_min_u32_e32 v2, 32, v2
	s_delay_alu instid0(VALU_DEP_1) | instskip(SKIP_1) | instid1(VALU_DEP_2)
	v_subrev_nc_u32_e32 v3, 28, v2
	v_sub_nc_u32_e32 v2, 29, v2
	v_lshlrev_b64 v[8:9], v3, v[28:29]
	s_delay_alu instid0(VALU_DEP_1)
	v_and_b32_e32 v28, 7, v8
; %bb.824:                              ;   in Loop: Header=BB264_16 Depth=1
	s_or_b32 exec_lo, exec_lo, s25
	v_lshlrev_b32_e32 v3, 24, v18
	s_delay_alu instid0(VALU_DEP_2) | instskip(SKIP_1) | instid1(VALU_DEP_3)
	v_lshlrev_b32_e32 v8, 20, v28
	v_lshl_add_u32 v2, v2, 23, 0x3c000000
	v_and_b32_e32 v3, 0x80000000, v3
	s_delay_alu instid0(VALU_DEP_1) | instskip(NEXT) | instid1(VALU_DEP_1)
	v_or3_b32 v28, v8, v3, v2
	v_dual_mov_b32 v2, v28 :: v_dual_mov_b32 v3, v29
.LBB264_825:                            ;   in Loop: Header=BB264_16 Depth=1
	s_or_b32 exec_lo, exec_lo, s24
.LBB264_826:                            ;   in Loop: Header=BB264_16 Depth=1
	s_delay_alu instid0(SALU_CYCLE_1)
	s_or_b32 exec_lo, exec_lo, s23
.LBB264_827:                            ;   in Loop: Header=BB264_16 Depth=1
	s_delay_alu instid0(SALU_CYCLE_1) | instskip(SKIP_2) | instid1(VALU_DEP_1)
	s_or_b32 exec_lo, exec_lo, s2
	v_lshrrev_b16 v8, 8, v18
	s_mov_b32 s23, exec_lo
	v_cmpx_ne_u16_e32 0, v8
	s_cbranch_execz .LBB264_835
; %bb.828:                              ;   in Loop: Header=BB264_16 Depth=1
	v_dual_mov_b32 v21, s17 :: v_dual_mov_b32 v20, s16
	s_mov_b32 s24, exec_lo
	v_cmpx_ne_u16_e32 0x80, v8
	s_cbranch_execz .LBB264_834
; %bb.829:                              ;   in Loop: Header=BB264_16 Depth=1
	s_mov_b32 s2, s16
	v_dual_mov_b32 v21, s3 :: v_dual_and_b32 v8, 0xffff, v8
	v_mov_b32_e32 v20, s2
	s_mov_b32 s2, exec_lo
	s_delay_alu instid0(VALU_DEP_2) | instskip(NEXT) | instid1(VALU_DEP_1)
	v_and_b32_e32 v9, 0x7f, v8
	v_cmpx_ne_u32_e32 0x7f, v9
	s_cbranch_execz .LBB264_833
; %bb.830:                              ;   in Loop: Header=BB264_16 Depth=1
	v_and_b32_e32 v28, 7, v8
	v_lshrrev_b32_e32 v8, 3, v9
	s_mov_b32 s25, exec_lo
	v_cmpx_gt_u32_e32 8, v9
; %bb.831:                              ;   in Loop: Header=BB264_16 Depth=1
	s_delay_alu instid0(VALU_DEP_3) | instskip(NEXT) | instid1(VALU_DEP_1)
	v_clz_i32_u32_e32 v8, v28
	v_min_u32_e32 v8, 32, v8
	s_delay_alu instid0(VALU_DEP_1) | instskip(SKIP_1) | instid1(VALU_DEP_2)
	v_subrev_nc_u32_e32 v9, 28, v8
	v_sub_nc_u32_e32 v8, 29, v8
	v_lshlrev_b64 v[19:20], v9, v[28:29]
	s_delay_alu instid0(VALU_DEP_1)
	v_and_b32_e32 v28, 7, v19
; %bb.832:                              ;   in Loop: Header=BB264_16 Depth=1
	s_or_b32 exec_lo, exec_lo, s25
	v_dual_mov_b32 v20, v29 :: v_dual_lshlrev_b32 v9, 16, v18
	s_delay_alu instid0(VALU_DEP_2) | instskip(SKIP_1) | instid1(VALU_DEP_3)
	v_lshlrev_b32_e32 v19, 20, v28
	v_lshl_add_u32 v8, v8, 23, 0x3c000000
	v_and_b32_e32 v9, 0x80000000, v9
	s_delay_alu instid0(VALU_DEP_1)
	v_or3_b32 v21, v19, v9, v8
.LBB264_833:                            ;   in Loop: Header=BB264_16 Depth=1
	s_or_b32 exec_lo, exec_lo, s2
.LBB264_834:                            ;   in Loop: Header=BB264_16 Depth=1
	s_delay_alu instid0(SALU_CYCLE_1)
	s_or_b32 exec_lo, exec_lo, s24
.LBB264_835:                            ;   in Loop: Header=BB264_16 Depth=1
	s_delay_alu instid0(SALU_CYCLE_1) | instskip(SKIP_3) | instid1(VALU_DEP_2)
	s_or_b32 exec_lo, exec_lo, s23
	v_lshrrev_b32_e32 v19, 16, v18
	v_mov_b32_e32 v25, 0
	v_mov_b32_e32 v26, 0
	;; [unrolled: 1-line block ×3, first 2 shown]
	s_mov_b32 s2, exec_lo
	s_delay_alu instid0(VALU_DEP_2) | instskip(NEXT) | instid1(VALU_DEP_1)
	v_dual_mov_b32 v9, v26 :: v_dual_and_b32 v28, 0xff, v19
	v_cmpx_ne_u16_e32 0, v28
	s_cbranch_execz .LBB264_843
; %bb.836:                              ;   in Loop: Header=BB264_16 Depth=1
	v_bfrev_b32_e32 v8, 1
	v_mov_b32_e32 v9, 0
	s_mov_b32 s23, exec_lo
	v_cmpx_ne_u16_e32 0x80, v28
	s_cbranch_execz .LBB264_842
; %bb.837:                              ;   in Loop: Header=BB264_16 Depth=1
	v_mov_b32_e32 v8, 0x7f800001
	v_bfe_u32 v33, v18, 16, 7
	v_mov_b32_e32 v9, 0
	s_mov_b32 s24, exec_lo
	s_delay_alu instid0(VALU_DEP_2)
	v_cmpx_ne_u32_e32 0x7f, v33
	s_cbranch_execz .LBB264_841
; %bb.838:                              ;   in Loop: Header=BB264_16 Depth=1
	v_and_b32_e32 v28, 7, v19
	v_lshrrev_b32_e32 v8, 3, v33
	s_mov_b32 s25, exec_lo
	v_cmpx_gt_u32_e32 8, v33
; %bb.839:                              ;   in Loop: Header=BB264_16 Depth=1
	s_delay_alu instid0(VALU_DEP_3) | instskip(NEXT) | instid1(VALU_DEP_1)
	v_clz_i32_u32_e32 v8, v28
	v_min_u32_e32 v8, 32, v8
	s_delay_alu instid0(VALU_DEP_1) | instskip(SKIP_1) | instid1(VALU_DEP_2)
	v_subrev_nc_u32_e32 v9, 28, v8
	v_sub_nc_u32_e32 v8, 29, v8
	v_lshlrev_b64 v[33:34], v9, v[28:29]
	s_delay_alu instid0(VALU_DEP_1)
	v_and_b32_e32 v28, 7, v33
; %bb.840:                              ;   in Loop: Header=BB264_16 Depth=1
	s_or_b32 exec_lo, exec_lo, s25
	v_lshlrev_b32_e32 v9, 24, v19
	s_delay_alu instid0(VALU_DEP_2) | instskip(SKIP_1) | instid1(VALU_DEP_3)
	v_lshlrev_b32_e32 v19, 20, v28
	v_lshl_add_u32 v8, v8, 23, 0x3c000000
	v_and_b32_e32 v9, 0x80000000, v9
	s_delay_alu instid0(VALU_DEP_1) | instskip(NEXT) | instid1(VALU_DEP_1)
	v_or3_b32 v28, v19, v9, v8
	v_dual_mov_b32 v8, v28 :: v_dual_mov_b32 v9, v29
.LBB264_841:                            ;   in Loop: Header=BB264_16 Depth=1
	s_or_b32 exec_lo, exec_lo, s24
.LBB264_842:                            ;   in Loop: Header=BB264_16 Depth=1
	s_delay_alu instid0(SALU_CYCLE_1)
	s_or_b32 exec_lo, exec_lo, s23
.LBB264_843:                            ;   in Loop: Header=BB264_16 Depth=1
	s_delay_alu instid0(SALU_CYCLE_1) | instskip(NEXT) | instid1(SALU_CYCLE_1)
	s_or_b32 exec_lo, exec_lo, s2
	s_mov_b32 s23, exec_lo
	v_cmpx_lt_u32_e32 0xffffff, v18
	s_cbranch_execz .LBB264_851
; %bb.844:                              ;   in Loop: Header=BB264_16 Depth=1
	v_lshrrev_b32_e32 v19, 24, v18
	v_dual_mov_b32 v26, s17 :: v_dual_mov_b32 v25, s16
	s_mov_b32 s24, exec_lo
	s_delay_alu instid0(VALU_DEP_2)
	v_cmpx_ne_u32_e32 0x80, v19
	s_cbranch_execz .LBB264_850
; %bb.845:                              ;   in Loop: Header=BB264_16 Depth=1
	s_mov_b32 s2, s16
	v_bfe_u32 v33, v18, 24, 7
	v_dual_mov_b32 v26, s3 :: v_dual_mov_b32 v25, s2
	s_mov_b32 s2, exec_lo
	s_delay_alu instid0(VALU_DEP_2)
	v_cmpx_ne_u32_e32 0x7f, v33
	s_cbranch_execz .LBB264_849
; %bb.846:                              ;   in Loop: Header=BB264_16 Depth=1
	v_and_b32_e32 v28, 7, v19
	v_lshrrev_b32_e32 v18, 3, v33
	s_mov_b32 s25, exec_lo
	v_cmpx_gt_u32_e32 8, v33
; %bb.847:                              ;   in Loop: Header=BB264_16 Depth=1
	s_delay_alu instid0(VALU_DEP_3) | instskip(NEXT) | instid1(VALU_DEP_1)
	v_clz_i32_u32_e32 v18, v28
	v_min_u32_e32 v18, 32, v18
	s_delay_alu instid0(VALU_DEP_1) | instskip(SKIP_1) | instid1(VALU_DEP_2)
	v_subrev_nc_u32_e32 v25, 28, v18
	v_sub_nc_u32_e32 v18, 29, v18
	v_lshlrev_b64 v[25:26], v25, v[28:29]
	s_delay_alu instid0(VALU_DEP_1)
	v_and_b32_e32 v28, 7, v25
; %bb.848:                              ;   in Loop: Header=BB264_16 Depth=1
	s_or_b32 exec_lo, exec_lo, s25
	v_lshlrev_b32_e32 v19, 24, v19
	s_delay_alu instid0(VALU_DEP_2) | instskip(SKIP_1) | instid1(VALU_DEP_3)
	v_lshlrev_b32_e32 v25, 20, v28
	v_lshl_add_u32 v18, v18, 23, 0x3c000000
	v_and_b32_e32 v19, 0x80000000, v19
	s_delay_alu instid0(VALU_DEP_1)
	v_or3_b32 v26, v25, v19, v18
	v_mov_b32_e32 v25, v29
.LBB264_849:                            ;   in Loop: Header=BB264_16 Depth=1
	s_or_b32 exec_lo, exec_lo, s2
.LBB264_850:                            ;   in Loop: Header=BB264_16 Depth=1
	s_delay_alu instid0(SALU_CYCLE_1)
	s_or_b32 exec_lo, exec_lo, s24
.LBB264_851:                            ;   in Loop: Header=BB264_16 Depth=1
	s_delay_alu instid0(SALU_CYCLE_1)
	s_or_b32 exec_lo, exec_lo, s23
	flat_load_b32 v37, v[152:153] offset:3080
	v_mov_b32_e32 v122, 0
	v_mov_b32_e32 v123, 0
	s_mov_b32 s2, exec_lo
	s_waitcnt vmcnt(0) lgkmcnt(0)
	v_and_b32_e32 v28, 0xff, v37
	s_delay_alu instid0(VALU_DEP_2) | instskip(NEXT) | instid1(VALU_DEP_2)
	v_dual_mov_b32 v18, v122 :: v_dual_mov_b32 v19, v123
	v_cmpx_ne_u16_e32 0, v28
	s_cbranch_execz .LBB264_859
; %bb.852:                              ;   in Loop: Header=BB264_16 Depth=1
	v_bfrev_b32_e32 v18, 1
	v_mov_b32_e32 v19, 0
	s_mov_b32 s23, exec_lo
	v_cmpx_ne_u16_e32 0x80, v28
	s_cbranch_execz .LBB264_858
; %bb.853:                              ;   in Loop: Header=BB264_16 Depth=1
	v_mov_b32_e32 v18, 0x7f800001
	v_and_b32_e32 v33, 0x7f, v37
	v_mov_b32_e32 v19, 0
	s_mov_b32 s24, exec_lo
	s_delay_alu instid0(VALU_DEP_2)
	v_cmpx_ne_u32_e32 0x7f, v33
	s_cbranch_execz .LBB264_857
; %bb.854:                              ;   in Loop: Header=BB264_16 Depth=1
	v_and_b32_e32 v28, 7, v37
	v_lshrrev_b32_e32 v18, 3, v33
	s_mov_b32 s25, exec_lo
	v_cmpx_gt_u32_e32 8, v33
; %bb.855:                              ;   in Loop: Header=BB264_16 Depth=1
	s_delay_alu instid0(VALU_DEP_3) | instskip(NEXT) | instid1(VALU_DEP_1)
	v_clz_i32_u32_e32 v18, v28
	v_min_u32_e32 v18, 32, v18
	s_delay_alu instid0(VALU_DEP_1) | instskip(SKIP_1) | instid1(VALU_DEP_2)
	v_subrev_nc_u32_e32 v19, 28, v18
	v_sub_nc_u32_e32 v18, 29, v18
	v_lshlrev_b64 v[33:34], v19, v[28:29]
	s_delay_alu instid0(VALU_DEP_1)
	v_and_b32_e32 v28, 7, v33
; %bb.856:                              ;   in Loop: Header=BB264_16 Depth=1
	s_or_b32 exec_lo, exec_lo, s25
	v_lshlrev_b32_e32 v19, 24, v37
	s_delay_alu instid0(VALU_DEP_2) | instskip(SKIP_1) | instid1(VALU_DEP_3)
	v_lshlrev_b32_e32 v28, 20, v28
	v_lshl_add_u32 v18, v18, 23, 0x3c000000
	v_and_b32_e32 v19, 0x80000000, v19
	s_delay_alu instid0(VALU_DEP_1) | instskip(NEXT) | instid1(VALU_DEP_1)
	v_or3_b32 v28, v28, v19, v18
	v_dual_mov_b32 v18, v28 :: v_dual_mov_b32 v19, v29
.LBB264_857:                            ;   in Loop: Header=BB264_16 Depth=1
	s_or_b32 exec_lo, exec_lo, s24
.LBB264_858:                            ;   in Loop: Header=BB264_16 Depth=1
	s_delay_alu instid0(SALU_CYCLE_1)
	s_or_b32 exec_lo, exec_lo, s23
.LBB264_859:                            ;   in Loop: Header=BB264_16 Depth=1
	s_delay_alu instid0(SALU_CYCLE_1) | instskip(SKIP_2) | instid1(VALU_DEP_1)
	s_or_b32 exec_lo, exec_lo, s2
	v_lshrrev_b16 v28, 8, v37
	s_mov_b32 s23, exec_lo
	v_cmpx_ne_u16_e32 0, v28
	s_cbranch_execz .LBB264_867
; %bb.860:                              ;   in Loop: Header=BB264_16 Depth=1
	v_dual_mov_b32 v123, s17 :: v_dual_mov_b32 v122, s16
	s_mov_b32 s24, exec_lo
	v_cmpx_ne_u16_e32 0x80, v28
	s_cbranch_execz .LBB264_866
; %bb.861:                              ;   in Loop: Header=BB264_16 Depth=1
	s_mov_b32 s2, s16
	v_dual_mov_b32 v123, s3 :: v_dual_and_b32 v28, 0xffff, v28
	v_mov_b32_e32 v122, s2
	s_mov_b32 s2, exec_lo
	s_delay_alu instid0(VALU_DEP_2) | instskip(NEXT) | instid1(VALU_DEP_1)
	v_and_b32_e32 v34, 0x7f, v28
	v_cmpx_ne_u32_e32 0x7f, v34
	s_cbranch_execz .LBB264_865
; %bb.862:                              ;   in Loop: Header=BB264_16 Depth=1
	v_and_b32_e32 v28, 7, v28
	v_lshrrev_b32_e32 v33, 3, v34
	s_mov_b32 s25, exec_lo
	v_cmpx_gt_u32_e32 8, v34
; %bb.863:                              ;   in Loop: Header=BB264_16 Depth=1
	s_delay_alu instid0(VALU_DEP_3) | instskip(NEXT) | instid1(VALU_DEP_1)
	v_clz_i32_u32_e32 v33, v28
	v_min_u32_e32 v33, 32, v33
	s_delay_alu instid0(VALU_DEP_1) | instskip(SKIP_1) | instid1(VALU_DEP_2)
	v_subrev_nc_u32_e32 v34, 28, v33
	v_sub_nc_u32_e32 v33, 29, v33
	v_lshlrev_b64 v[50:51], v34, v[28:29]
	s_delay_alu instid0(VALU_DEP_1)
	v_and_b32_e32 v28, 7, v50
; %bb.864:                              ;   in Loop: Header=BB264_16 Depth=1
	s_or_b32 exec_lo, exec_lo, s25
	v_lshlrev_b32_e32 v34, 16, v37
	s_delay_alu instid0(VALU_DEP_2) | instskip(SKIP_2) | instid1(VALU_DEP_4)
	v_lshlrev_b32_e32 v28, 20, v28
	v_lshl_add_u32 v33, v33, 23, 0x3c000000
	v_mov_b32_e32 v122, v29
	v_and_b32_e32 v34, 0x80000000, v34
	s_delay_alu instid0(VALU_DEP_1)
	v_or3_b32 v123, v28, v34, v33
.LBB264_865:                            ;   in Loop: Header=BB264_16 Depth=1
	s_or_b32 exec_lo, exec_lo, s2
.LBB264_866:                            ;   in Loop: Header=BB264_16 Depth=1
	s_delay_alu instid0(SALU_CYCLE_1)
	s_or_b32 exec_lo, exec_lo, s24
.LBB264_867:                            ;   in Loop: Header=BB264_16 Depth=1
	s_delay_alu instid0(SALU_CYCLE_1) | instskip(SKIP_4) | instid1(VALU_DEP_2)
	s_or_b32 exec_lo, exec_lo, s23
	v_mov_b32_e32 v126, 0
	v_lshrrev_b32_e32 v38, 16, v37
	v_mov_b32_e32 v127, 0
	s_mov_b32 s2, exec_lo
	v_dual_mov_b32 v33, v126 :: v_dual_and_b32 v28, 0xff, v38
	s_delay_alu instid0(VALU_DEP_2) | instskip(NEXT) | instid1(VALU_DEP_2)
	v_mov_b32_e32 v34, v127
	v_cmpx_ne_u16_e32 0, v28
	s_cbranch_execz .LBB264_875
; %bb.868:                              ;   in Loop: Header=BB264_16 Depth=1
	v_bfrev_b32_e32 v33, 1
	v_mov_b32_e32 v34, 0
	s_mov_b32 s23, exec_lo
	v_cmpx_ne_u16_e32 0x80, v28
	s_cbranch_execz .LBB264_874
; %bb.869:                              ;   in Loop: Header=BB264_16 Depth=1
	v_mov_b32_e32 v33, 0x7f800001
	v_bfe_u32 v50, v37, 16, 7
	v_mov_b32_e32 v34, 0
	s_mov_b32 s24, exec_lo
	s_delay_alu instid0(VALU_DEP_2)
	v_cmpx_ne_u32_e32 0x7f, v50
	s_cbranch_execz .LBB264_873
; %bb.870:                              ;   in Loop: Header=BB264_16 Depth=1
	v_and_b32_e32 v28, 7, v38
	v_lshrrev_b32_e32 v33, 3, v50
	s_mov_b32 s25, exec_lo
	v_cmpx_gt_u32_e32 8, v50
; %bb.871:                              ;   in Loop: Header=BB264_16 Depth=1
	s_delay_alu instid0(VALU_DEP_3) | instskip(NEXT) | instid1(VALU_DEP_1)
	v_clz_i32_u32_e32 v33, v28
	v_min_u32_e32 v33, 32, v33
	s_delay_alu instid0(VALU_DEP_1) | instskip(SKIP_1) | instid1(VALU_DEP_2)
	v_subrev_nc_u32_e32 v34, 28, v33
	v_sub_nc_u32_e32 v33, 29, v33
	v_lshlrev_b64 v[50:51], v34, v[28:29]
	s_delay_alu instid0(VALU_DEP_1)
	v_and_b32_e32 v28, 7, v50
; %bb.872:                              ;   in Loop: Header=BB264_16 Depth=1
	s_or_b32 exec_lo, exec_lo, s25
	v_lshlrev_b32_e32 v34, 24, v38
	s_delay_alu instid0(VALU_DEP_2) | instskip(SKIP_1) | instid1(VALU_DEP_3)
	v_lshlrev_b32_e32 v28, 20, v28
	v_lshl_add_u32 v33, v33, 23, 0x3c000000
	v_and_b32_e32 v34, 0x80000000, v34
	s_delay_alu instid0(VALU_DEP_1) | instskip(NEXT) | instid1(VALU_DEP_1)
	v_or3_b32 v28, v28, v34, v33
	v_dual_mov_b32 v34, v29 :: v_dual_mov_b32 v33, v28
.LBB264_873:                            ;   in Loop: Header=BB264_16 Depth=1
	s_or_b32 exec_lo, exec_lo, s24
.LBB264_874:                            ;   in Loop: Header=BB264_16 Depth=1
	s_delay_alu instid0(SALU_CYCLE_1)
	s_or_b32 exec_lo, exec_lo, s23
.LBB264_875:                            ;   in Loop: Header=BB264_16 Depth=1
	s_delay_alu instid0(SALU_CYCLE_1) | instskip(NEXT) | instid1(SALU_CYCLE_1)
	s_or_b32 exec_lo, exec_lo, s2
	s_mov_b32 s23, exec_lo
	v_cmpx_lt_u32_e32 0xffffff, v37
	s_cbranch_execz .LBB264_883
; %bb.876:                              ;   in Loop: Header=BB264_16 Depth=1
	v_lshrrev_b32_e32 v38, 24, v37
	v_dual_mov_b32 v127, s17 :: v_dual_mov_b32 v126, s16
	s_mov_b32 s24, exec_lo
	s_delay_alu instid0(VALU_DEP_2)
	v_cmpx_ne_u32_e32 0x80, v38
	s_cbranch_execz .LBB264_882
; %bb.877:                              ;   in Loop: Header=BB264_16 Depth=1
	s_mov_b32 s2, s16
	v_bfe_u32 v50, v37, 24, 7
	v_dual_mov_b32 v127, s3 :: v_dual_mov_b32 v126, s2
	s_mov_b32 s2, exec_lo
	s_delay_alu instid0(VALU_DEP_2)
	v_cmpx_ne_u32_e32 0x7f, v50
	s_cbranch_execz .LBB264_881
; %bb.878:                              ;   in Loop: Header=BB264_16 Depth=1
	v_and_b32_e32 v28, 7, v38
	v_lshrrev_b32_e32 v37, 3, v50
	s_mov_b32 s25, exec_lo
	v_cmpx_gt_u32_e32 8, v50
; %bb.879:                              ;   in Loop: Header=BB264_16 Depth=1
	s_delay_alu instid0(VALU_DEP_3) | instskip(NEXT) | instid1(VALU_DEP_1)
	v_clz_i32_u32_e32 v37, v28
	v_min_u32_e32 v37, 32, v37
	s_delay_alu instid0(VALU_DEP_1) | instskip(SKIP_1) | instid1(VALU_DEP_2)
	v_subrev_nc_u32_e32 v50, 28, v37
	v_sub_nc_u32_e32 v37, 29, v37
	v_lshlrev_b64 v[50:51], v50, v[28:29]
	s_delay_alu instid0(VALU_DEP_1)
	v_and_b32_e32 v28, 7, v50
; %bb.880:                              ;   in Loop: Header=BB264_16 Depth=1
	s_or_b32 exec_lo, exec_lo, s25
	v_lshlrev_b32_e32 v38, 24, v38
	s_delay_alu instid0(VALU_DEP_2) | instskip(SKIP_2) | instid1(VALU_DEP_4)
	v_lshlrev_b32_e32 v28, 20, v28
	v_lshl_add_u32 v37, v37, 23, 0x3c000000
	v_mov_b32_e32 v126, v29
	v_and_b32_e32 v38, 0x80000000, v38
	s_delay_alu instid0(VALU_DEP_1)
	v_or3_b32 v127, v28, v38, v37
.LBB264_881:                            ;   in Loop: Header=BB264_16 Depth=1
	s_or_b32 exec_lo, exec_lo, s2
.LBB264_882:                            ;   in Loop: Header=BB264_16 Depth=1
	s_delay_alu instid0(SALU_CYCLE_1)
	s_or_b32 exec_lo, exec_lo, s24
.LBB264_883:                            ;   in Loop: Header=BB264_16 Depth=1
	s_delay_alu instid0(SALU_CYCLE_1)
	s_or_b32 exec_lo, exec_lo, s23
	flat_load_b32 v50, v[152:153] offset:3084
	v_mov_b32_e32 v140, 0
	v_mov_b32_e32 v141, 0
	s_mov_b32 s2, exec_lo
	s_waitcnt vmcnt(0) lgkmcnt(0)
	s_delay_alu instid0(VALU_DEP_2) | instskip(NEXT) | instid1(VALU_DEP_2)
	v_dual_mov_b32 v37, v140 :: v_dual_and_b32 v28, 0xff, v50
	v_mov_b32_e32 v38, v141
	s_delay_alu instid0(VALU_DEP_2)
	v_cmpx_ne_u16_e32 0, v28
	s_cbranch_execz .LBB264_891
; %bb.884:                              ;   in Loop: Header=BB264_16 Depth=1
	v_bfrev_b32_e32 v37, 1
	v_mov_b32_e32 v38, 0
	s_mov_b32 s23, exec_lo
	v_cmpx_ne_u16_e32 0x80, v28
	s_cbranch_execz .LBB264_890
; %bb.885:                              ;   in Loop: Header=BB264_16 Depth=1
	v_mov_b32_e32 v37, 0x7f800001
	v_dual_mov_b32 v38, 0 :: v_dual_and_b32 v51, 0x7f, v50
	s_mov_b32 s24, exec_lo
	s_delay_alu instid0(VALU_DEP_1)
	v_cmpx_ne_u32_e32 0x7f, v51
	s_cbranch_execz .LBB264_889
; %bb.886:                              ;   in Loop: Header=BB264_16 Depth=1
	v_and_b32_e32 v28, 7, v50
	v_lshrrev_b32_e32 v37, 3, v51
	s_mov_b32 s25, exec_lo
	v_cmpx_gt_u32_e32 8, v51
; %bb.887:                              ;   in Loop: Header=BB264_16 Depth=1
	s_delay_alu instid0(VALU_DEP_3) | instskip(NEXT) | instid1(VALU_DEP_1)
	v_clz_i32_u32_e32 v37, v28
	v_min_u32_e32 v37, 32, v37
	s_delay_alu instid0(VALU_DEP_1) | instskip(SKIP_1) | instid1(VALU_DEP_2)
	v_subrev_nc_u32_e32 v38, 28, v37
	v_sub_nc_u32_e32 v37, 29, v37
	v_lshlrev_b64 v[54:55], v38, v[28:29]
	s_delay_alu instid0(VALU_DEP_1)
	v_and_b32_e32 v28, 7, v54
; %bb.888:                              ;   in Loop: Header=BB264_16 Depth=1
	s_or_b32 exec_lo, exec_lo, s25
	v_lshlrev_b32_e32 v38, 24, v50
	s_delay_alu instid0(VALU_DEP_2) | instskip(SKIP_1) | instid1(VALU_DEP_3)
	v_lshlrev_b32_e32 v28, 20, v28
	v_lshl_add_u32 v37, v37, 23, 0x3c000000
	v_and_b32_e32 v38, 0x80000000, v38
	s_delay_alu instid0(VALU_DEP_1) | instskip(NEXT) | instid1(VALU_DEP_1)
	v_or3_b32 v28, v28, v38, v37
	v_dual_mov_b32 v38, v29 :: v_dual_mov_b32 v37, v28
.LBB264_889:                            ;   in Loop: Header=BB264_16 Depth=1
	s_or_b32 exec_lo, exec_lo, s24
.LBB264_890:                            ;   in Loop: Header=BB264_16 Depth=1
	s_delay_alu instid0(SALU_CYCLE_1)
	s_or_b32 exec_lo, exec_lo, s23
.LBB264_891:                            ;   in Loop: Header=BB264_16 Depth=1
	s_delay_alu instid0(SALU_CYCLE_1) | instskip(SKIP_2) | instid1(VALU_DEP_1)
	s_or_b32 exec_lo, exec_lo, s2
	v_lshrrev_b16 v28, 8, v50
	s_mov_b32 s23, exec_lo
	v_cmpx_ne_u16_e32 0, v28
	s_cbranch_execz .LBB264_899
; %bb.892:                              ;   in Loop: Header=BB264_16 Depth=1
	v_dual_mov_b32 v141, s17 :: v_dual_mov_b32 v140, s16
	s_mov_b32 s24, exec_lo
	v_cmpx_ne_u16_e32 0x80, v28
	s_cbranch_execz .LBB264_898
; %bb.893:                              ;   in Loop: Header=BB264_16 Depth=1
	s_mov_b32 s2, s16
	v_dual_mov_b32 v141, s3 :: v_dual_and_b32 v28, 0xffff, v28
	v_mov_b32_e32 v140, s2
	s_mov_b32 s2, exec_lo
	s_delay_alu instid0(VALU_DEP_2) | instskip(NEXT) | instid1(VALU_DEP_1)
	v_and_b32_e32 v54, 0x7f, v28
	v_cmpx_ne_u32_e32 0x7f, v54
	s_cbranch_execz .LBB264_897
; %bb.894:                              ;   in Loop: Header=BB264_16 Depth=1
	v_and_b32_e32 v28, 7, v28
	v_lshrrev_b32_e32 v51, 3, v54
	s_mov_b32 s25, exec_lo
	v_cmpx_gt_u32_e32 8, v54
; %bb.895:                              ;   in Loop: Header=BB264_16 Depth=1
	s_delay_alu instid0(VALU_DEP_3) | instskip(NEXT) | instid1(VALU_DEP_1)
	v_clz_i32_u32_e32 v51, v28
	v_min_u32_e32 v51, 32, v51
	s_delay_alu instid0(VALU_DEP_1) | instskip(SKIP_1) | instid1(VALU_DEP_2)
	v_subrev_nc_u32_e32 v54, 28, v51
	v_sub_nc_u32_e32 v51, 29, v51
	v_lshlrev_b64 v[54:55], v54, v[28:29]
	s_delay_alu instid0(VALU_DEP_1)
	v_and_b32_e32 v28, 7, v54
; %bb.896:                              ;   in Loop: Header=BB264_16 Depth=1
	s_or_b32 exec_lo, exec_lo, s25
	v_lshlrev_b32_e32 v54, 16, v50
	s_delay_alu instid0(VALU_DEP_2) | instskip(SKIP_2) | instid1(VALU_DEP_4)
	v_lshlrev_b32_e32 v28, 20, v28
	v_lshl_add_u32 v51, v51, 23, 0x3c000000
	v_mov_b32_e32 v140, v29
	v_and_b32_e32 v54, 0x80000000, v54
	s_delay_alu instid0(VALU_DEP_1)
	v_or3_b32 v141, v28, v54, v51
.LBB264_897:                            ;   in Loop: Header=BB264_16 Depth=1
	s_or_b32 exec_lo, exec_lo, s2
.LBB264_898:                            ;   in Loop: Header=BB264_16 Depth=1
	s_delay_alu instid0(SALU_CYCLE_1)
	s_or_b32 exec_lo, exec_lo, s24
.LBB264_899:                            ;   in Loop: Header=BB264_16 Depth=1
	s_delay_alu instid0(SALU_CYCLE_1) | instskip(SKIP_4) | instid1(VALU_DEP_2)
	s_or_b32 exec_lo, exec_lo, s23
	v_mov_b32_e32 v158, 0
	v_lshrrev_b32_e32 v51, 16, v50
	v_mov_b32_e32 v159, 0
	s_mov_b32 s2, exec_lo
	v_and_b32_e32 v28, 0xff, v51
	s_delay_alu instid0(VALU_DEP_2) | instskip(NEXT) | instid1(VALU_DEP_2)
	v_dual_mov_b32 v54, v158 :: v_dual_mov_b32 v55, v159
	v_cmpx_ne_u16_e32 0, v28
	s_cbranch_execz .LBB264_907
; %bb.900:                              ;   in Loop: Header=BB264_16 Depth=1
	v_bfrev_b32_e32 v54, 1
	v_mov_b32_e32 v55, 0
	s_mov_b32 s23, exec_lo
	v_cmpx_ne_u16_e32 0x80, v28
	s_cbranch_execz .LBB264_906
; %bb.901:                              ;   in Loop: Header=BB264_16 Depth=1
	v_mov_b32_e32 v54, 0x7f800001
	v_bfe_u32 v66, v50, 16, 7
	v_mov_b32_e32 v55, 0
	s_mov_b32 s24, exec_lo
	s_delay_alu instid0(VALU_DEP_2)
	v_cmpx_ne_u32_e32 0x7f, v66
	s_cbranch_execz .LBB264_905
; %bb.902:                              ;   in Loop: Header=BB264_16 Depth=1
	v_and_b32_e32 v28, 7, v51
	v_lshrrev_b32_e32 v54, 3, v66
	s_mov_b32 s25, exec_lo
	v_cmpx_gt_u32_e32 8, v66
; %bb.903:                              ;   in Loop: Header=BB264_16 Depth=1
	s_delay_alu instid0(VALU_DEP_3) | instskip(NEXT) | instid1(VALU_DEP_1)
	v_clz_i32_u32_e32 v54, v28
	v_min_u32_e32 v54, 32, v54
	s_delay_alu instid0(VALU_DEP_1) | instskip(SKIP_1) | instid1(VALU_DEP_2)
	v_subrev_nc_u32_e32 v55, 28, v54
	v_sub_nc_u32_e32 v54, 29, v54
	v_lshlrev_b64 v[66:67], v55, v[28:29]
	s_delay_alu instid0(VALU_DEP_1)
	v_and_b32_e32 v28, 7, v66
; %bb.904:                              ;   in Loop: Header=BB264_16 Depth=1
	s_or_b32 exec_lo, exec_lo, s25
	v_lshlrev_b32_e32 v51, 24, v51
	s_delay_alu instid0(VALU_DEP_2) | instskip(SKIP_1) | instid1(VALU_DEP_3)
	v_lshlrev_b32_e32 v28, 20, v28
	v_lshl_add_u32 v54, v54, 23, 0x3c000000
	v_and_b32_e32 v51, 0x80000000, v51
	s_delay_alu instid0(VALU_DEP_1) | instskip(NEXT) | instid1(VALU_DEP_1)
	v_or3_b32 v28, v28, v51, v54
	v_dual_mov_b32 v55, v29 :: v_dual_mov_b32 v54, v28
.LBB264_905:                            ;   in Loop: Header=BB264_16 Depth=1
	s_or_b32 exec_lo, exec_lo, s24
.LBB264_906:                            ;   in Loop: Header=BB264_16 Depth=1
	s_delay_alu instid0(SALU_CYCLE_1)
	s_or_b32 exec_lo, exec_lo, s23
.LBB264_907:                            ;   in Loop: Header=BB264_16 Depth=1
	s_delay_alu instid0(SALU_CYCLE_1) | instskip(NEXT) | instid1(SALU_CYCLE_1)
	s_or_b32 exec_lo, exec_lo, s2
	s_mov_b32 s23, exec_lo
	v_cmpx_lt_u32_e32 0xffffff, v50
	s_cbranch_execz .LBB264_915
; %bb.908:                              ;   in Loop: Header=BB264_16 Depth=1
	v_lshrrev_b32_e32 v51, 24, v50
	v_dual_mov_b32 v159, s17 :: v_dual_mov_b32 v158, s16
	s_mov_b32 s24, exec_lo
	s_delay_alu instid0(VALU_DEP_2)
	v_cmpx_ne_u32_e32 0x80, v51
	s_cbranch_execz .LBB264_914
; %bb.909:                              ;   in Loop: Header=BB264_16 Depth=1
	s_mov_b32 s2, s16
	v_bfe_u32 v66, v50, 24, 7
	v_dual_mov_b32 v159, s3 :: v_dual_mov_b32 v158, s2
	s_mov_b32 s2, exec_lo
	s_delay_alu instid0(VALU_DEP_2)
	v_cmpx_ne_u32_e32 0x7f, v66
	s_cbranch_execz .LBB264_913
; %bb.910:                              ;   in Loop: Header=BB264_16 Depth=1
	v_and_b32_e32 v28, 7, v51
	v_lshrrev_b32_e32 v50, 3, v66
	s_mov_b32 s25, exec_lo
	v_cmpx_gt_u32_e32 8, v66
; %bb.911:                              ;   in Loop: Header=BB264_16 Depth=1
	s_delay_alu instid0(VALU_DEP_3) | instskip(NEXT) | instid1(VALU_DEP_1)
	v_clz_i32_u32_e32 v50, v28
	v_min_u32_e32 v50, 32, v50
	s_delay_alu instid0(VALU_DEP_1) | instskip(SKIP_1) | instid1(VALU_DEP_2)
	v_subrev_nc_u32_e32 v66, 28, v50
	v_sub_nc_u32_e32 v50, 29, v50
	v_lshlrev_b64 v[66:67], v66, v[28:29]
	s_delay_alu instid0(VALU_DEP_1)
	v_and_b32_e32 v28, 7, v66
; %bb.912:                              ;   in Loop: Header=BB264_16 Depth=1
	s_or_b32 exec_lo, exec_lo, s25
	v_dual_mov_b32 v158, v29 :: v_dual_lshlrev_b32 v51, 24, v51
	s_delay_alu instid0(VALU_DEP_2) | instskip(SKIP_1) | instid1(VALU_DEP_3)
	v_lshlrev_b32_e32 v28, 20, v28
	v_lshl_add_u32 v50, v50, 23, 0x3c000000
	v_and_b32_e32 v51, 0x80000000, v51
	s_delay_alu instid0(VALU_DEP_1)
	v_or3_b32 v159, v28, v51, v50
.LBB264_913:                            ;   in Loop: Header=BB264_16 Depth=1
	s_or_b32 exec_lo, exec_lo, s2
.LBB264_914:                            ;   in Loop: Header=BB264_16 Depth=1
	s_delay_alu instid0(SALU_CYCLE_1)
	s_or_b32 exec_lo, exec_lo, s24
.LBB264_915:                            ;   in Loop: Header=BB264_16 Depth=1
	s_delay_alu instid0(SALU_CYCLE_1)
	s_or_b32 exec_lo, exec_lo, s23
	flat_load_b32 v50, v[152:153] offset:3584
	v_mov_b32_e32 v170, 0
	v_mov_b32_e32 v171, 0
	s_mov_b32 s2, exec_lo
	s_waitcnt vmcnt(0) lgkmcnt(0)
	s_delay_alu instid0(VALU_DEP_1) | instskip(SKIP_1) | instid1(VALU_DEP_2)
	v_dual_mov_b32 v175, v171 :: v_dual_and_b32 v28, 0xff, v50
	v_mov_b32_e32 v174, v170
	v_cmpx_ne_u16_e32 0, v28
	s_cbranch_execz .LBB264_923
; %bb.916:                              ;   in Loop: Header=BB264_16 Depth=1
	v_bfrev_b32_e32 v174, 1
	v_mov_b32_e32 v175, 0
	s_mov_b32 s23, exec_lo
	v_cmpx_ne_u16_e32 0x80, v28
	s_cbranch_execz .LBB264_922
; %bb.917:                              ;   in Loop: Header=BB264_16 Depth=1
	v_mov_b32_e32 v174, 0x7f800001
	v_dual_mov_b32 v175, 0 :: v_dual_and_b32 v66, 0x7f, v50
	s_mov_b32 s24, exec_lo
	s_delay_alu instid0(VALU_DEP_1)
	v_cmpx_ne_u32_e32 0x7f, v66
	s_cbranch_execz .LBB264_921
; %bb.918:                              ;   in Loop: Header=BB264_16 Depth=1
	v_and_b32_e32 v28, 7, v50
	v_lshrrev_b32_e32 v51, 3, v66
	s_mov_b32 s25, exec_lo
	v_cmpx_gt_u32_e32 8, v66
; %bb.919:                              ;   in Loop: Header=BB264_16 Depth=1
	s_delay_alu instid0(VALU_DEP_3) | instskip(NEXT) | instid1(VALU_DEP_1)
	v_clz_i32_u32_e32 v51, v28
	v_min_u32_e32 v51, 32, v51
	s_delay_alu instid0(VALU_DEP_1) | instskip(SKIP_1) | instid1(VALU_DEP_2)
	v_subrev_nc_u32_e32 v66, 28, v51
	v_sub_nc_u32_e32 v51, 29, v51
	v_lshlrev_b64 v[66:67], v66, v[28:29]
	s_delay_alu instid0(VALU_DEP_1)
	v_and_b32_e32 v28, 7, v66
; %bb.920:                              ;   in Loop: Header=BB264_16 Depth=1
	s_or_b32 exec_lo, exec_lo, s25
	v_lshlrev_b32_e32 v66, 24, v50
	s_delay_alu instid0(VALU_DEP_2) | instskip(SKIP_1) | instid1(VALU_DEP_3)
	v_lshlrev_b32_e32 v28, 20, v28
	v_lshl_add_u32 v51, v51, 23, 0x3c000000
	v_and_b32_e32 v66, 0x80000000, v66
	s_delay_alu instid0(VALU_DEP_1) | instskip(NEXT) | instid1(VALU_DEP_1)
	v_or3_b32 v28, v28, v66, v51
	v_dual_mov_b32 v175, v29 :: v_dual_mov_b32 v174, v28
.LBB264_921:                            ;   in Loop: Header=BB264_16 Depth=1
	s_or_b32 exec_lo, exec_lo, s24
.LBB264_922:                            ;   in Loop: Header=BB264_16 Depth=1
	s_delay_alu instid0(SALU_CYCLE_1)
	s_or_b32 exec_lo, exec_lo, s23
.LBB264_923:                            ;   in Loop: Header=BB264_16 Depth=1
	s_delay_alu instid0(SALU_CYCLE_1) | instskip(SKIP_2) | instid1(VALU_DEP_1)
	s_or_b32 exec_lo, exec_lo, s2
	v_lshrrev_b16 v28, 8, v50
	s_mov_b32 s23, exec_lo
	v_cmpx_ne_u16_e32 0, v28
	s_cbranch_execz .LBB264_931
; %bb.924:                              ;   in Loop: Header=BB264_16 Depth=1
	v_dual_mov_b32 v171, s17 :: v_dual_mov_b32 v170, s16
	s_mov_b32 s24, exec_lo
	v_cmpx_ne_u16_e32 0x80, v28
	s_cbranch_execz .LBB264_930
; %bb.925:                              ;   in Loop: Header=BB264_16 Depth=1
	s_mov_b32 s2, s16
	v_dual_mov_b32 v171, s3 :: v_dual_and_b32 v28, 0xffff, v28
	v_mov_b32_e32 v170, s2
	s_mov_b32 s2, exec_lo
	s_delay_alu instid0(VALU_DEP_2) | instskip(NEXT) | instid1(VALU_DEP_1)
	v_and_b32_e32 v66, 0x7f, v28
	v_cmpx_ne_u32_e32 0x7f, v66
	s_cbranch_execz .LBB264_929
; %bb.926:                              ;   in Loop: Header=BB264_16 Depth=1
	v_and_b32_e32 v28, 7, v28
	v_lshrrev_b32_e32 v51, 3, v66
	s_mov_b32 s25, exec_lo
	v_cmpx_gt_u32_e32 8, v66
; %bb.927:                              ;   in Loop: Header=BB264_16 Depth=1
	s_delay_alu instid0(VALU_DEP_3) | instskip(NEXT) | instid1(VALU_DEP_1)
	v_clz_i32_u32_e32 v51, v28
	v_min_u32_e32 v51, 32, v51
	s_delay_alu instid0(VALU_DEP_1) | instskip(SKIP_1) | instid1(VALU_DEP_2)
	v_subrev_nc_u32_e32 v66, 28, v51
	v_sub_nc_u32_e32 v51, 29, v51
	v_lshlrev_b64 v[66:67], v66, v[28:29]
	s_delay_alu instid0(VALU_DEP_1)
	v_and_b32_e32 v28, 7, v66
; %bb.928:                              ;   in Loop: Header=BB264_16 Depth=1
	s_or_b32 exec_lo, exec_lo, s25
	v_lshlrev_b32_e32 v66, 16, v50
	s_delay_alu instid0(VALU_DEP_2) | instskip(SKIP_2) | instid1(VALU_DEP_4)
	v_lshlrev_b32_e32 v28, 20, v28
	v_lshl_add_u32 v51, v51, 23, 0x3c000000
	v_mov_b32_e32 v170, v29
	v_and_b32_e32 v66, 0x80000000, v66
	s_delay_alu instid0(VALU_DEP_1)
	v_or3_b32 v171, v28, v66, v51
.LBB264_929:                            ;   in Loop: Header=BB264_16 Depth=1
	s_or_b32 exec_lo, exec_lo, s2
.LBB264_930:                            ;   in Loop: Header=BB264_16 Depth=1
	s_delay_alu instid0(SALU_CYCLE_1)
	s_or_b32 exec_lo, exec_lo, s24
.LBB264_931:                            ;   in Loop: Header=BB264_16 Depth=1
	s_delay_alu instid0(SALU_CYCLE_1) | instskip(SKIP_4) | instid1(VALU_DEP_1)
	s_or_b32 exec_lo, exec_lo, s23
	v_mov_b32_e32 v66, 0
	v_lshrrev_b32_e32 v51, 16, v50
	v_mov_b32_e32 v67, 0
	s_mov_b32 s2, exec_lo
	v_dual_mov_b32 v187, v67 :: v_dual_and_b32 v28, 0xff, v51
	v_mov_b32_e32 v186, v66
	s_delay_alu instid0(VALU_DEP_2)
	v_cmpx_ne_u16_e32 0, v28
	s_cbranch_execz .LBB264_939
; %bb.932:                              ;   in Loop: Header=BB264_16 Depth=1
	v_bfrev_b32_e32 v186, 1
	v_mov_b32_e32 v187, 0
	s_mov_b32 s23, exec_lo
	v_cmpx_ne_u16_e32 0x80, v28
	s_cbranch_execz .LBB264_938
; %bb.933:                              ;   in Loop: Header=BB264_16 Depth=1
	v_mov_b32_e32 v186, 0x7f800001
	v_bfe_u32 v71, v50, 16, 7
	v_mov_b32_e32 v187, 0
	s_mov_b32 s24, exec_lo
	s_delay_alu instid0(VALU_DEP_2)
	v_cmpx_ne_u32_e32 0x7f, v71
	s_cbranch_execz .LBB264_937
; %bb.934:                              ;   in Loop: Header=BB264_16 Depth=1
	v_and_b32_e32 v28, 7, v51
	v_lshrrev_b32_e32 v70, 3, v71
	s_mov_b32 s25, exec_lo
	v_cmpx_gt_u32_e32 8, v71
; %bb.935:                              ;   in Loop: Header=BB264_16 Depth=1
	s_delay_alu instid0(VALU_DEP_3) | instskip(NEXT) | instid1(VALU_DEP_1)
	v_clz_i32_u32_e32 v70, v28
	v_min_u32_e32 v70, 32, v70
	s_delay_alu instid0(VALU_DEP_1) | instskip(SKIP_1) | instid1(VALU_DEP_2)
	v_subrev_nc_u32_e32 v71, 28, v70
	v_sub_nc_u32_e32 v70, 29, v70
	v_lshlrev_b64 v[138:139], v71, v[28:29]
	s_delay_alu instid0(VALU_DEP_1)
	v_and_b32_e32 v28, 7, v138
; %bb.936:                              ;   in Loop: Header=BB264_16 Depth=1
	s_or_b32 exec_lo, exec_lo, s25
	v_lshlrev_b32_e32 v51, 24, v51
	s_delay_alu instid0(VALU_DEP_2) | instskip(SKIP_1) | instid1(VALU_DEP_3)
	v_lshlrev_b32_e32 v28, 20, v28
	v_lshl_add_u32 v70, v70, 23, 0x3c000000
	v_and_b32_e32 v51, 0x80000000, v51
	s_delay_alu instid0(VALU_DEP_1) | instskip(NEXT) | instid1(VALU_DEP_1)
	v_or3_b32 v28, v28, v51, v70
	v_dual_mov_b32 v187, v29 :: v_dual_mov_b32 v186, v28
.LBB264_937:                            ;   in Loop: Header=BB264_16 Depth=1
	s_or_b32 exec_lo, exec_lo, s24
.LBB264_938:                            ;   in Loop: Header=BB264_16 Depth=1
	s_delay_alu instid0(SALU_CYCLE_1)
	s_or_b32 exec_lo, exec_lo, s23
.LBB264_939:                            ;   in Loop: Header=BB264_16 Depth=1
	s_delay_alu instid0(SALU_CYCLE_1) | instskip(NEXT) | instid1(SALU_CYCLE_1)
	s_or_b32 exec_lo, exec_lo, s2
	s_mov_b32 s23, exec_lo
	v_cmpx_lt_u32_e32 0xffffff, v50
	s_cbranch_execz .LBB264_947
; %bb.940:                              ;   in Loop: Header=BB264_16 Depth=1
	v_lshrrev_b32_e32 v51, 24, v50
	v_dual_mov_b32 v67, s17 :: v_dual_mov_b32 v66, s16
	s_mov_b32 s24, exec_lo
	s_delay_alu instid0(VALU_DEP_2)
	v_cmpx_ne_u32_e32 0x80, v51
	s_cbranch_execz .LBB264_946
; %bb.941:                              ;   in Loop: Header=BB264_16 Depth=1
	s_mov_b32 s2, s16
	v_bfe_u32 v70, v50, 24, 7
	v_dual_mov_b32 v67, s3 :: v_dual_mov_b32 v66, s2
	s_mov_b32 s2, exec_lo
	s_delay_alu instid0(VALU_DEP_2)
	v_cmpx_ne_u32_e32 0x7f, v70
	s_cbranch_execz .LBB264_945
; %bb.942:                              ;   in Loop: Header=BB264_16 Depth=1
	v_and_b32_e32 v28, 7, v51
	v_lshrrev_b32_e32 v50, 3, v70
	s_mov_b32 s25, exec_lo
	v_cmpx_gt_u32_e32 8, v70
; %bb.943:                              ;   in Loop: Header=BB264_16 Depth=1
	s_delay_alu instid0(VALU_DEP_3) | instskip(NEXT) | instid1(VALU_DEP_1)
	v_clz_i32_u32_e32 v50, v28
	v_min_u32_e32 v50, 32, v50
	s_delay_alu instid0(VALU_DEP_1) | instskip(SKIP_1) | instid1(VALU_DEP_2)
	v_subrev_nc_u32_e32 v66, 28, v50
	v_sub_nc_u32_e32 v50, 29, v50
	v_lshlrev_b64 v[66:67], v66, v[28:29]
	s_delay_alu instid0(VALU_DEP_1)
	v_and_b32_e32 v28, 7, v66
; %bb.944:                              ;   in Loop: Header=BB264_16 Depth=1
	s_or_b32 exec_lo, exec_lo, s25
	v_dual_mov_b32 v66, v29 :: v_dual_lshlrev_b32 v51, 24, v51
	s_delay_alu instid0(VALU_DEP_2) | instskip(SKIP_1) | instid1(VALU_DEP_3)
	v_lshlrev_b32_e32 v28, 20, v28
	v_lshl_add_u32 v50, v50, 23, 0x3c000000
	v_and_b32_e32 v51, 0x80000000, v51
	s_delay_alu instid0(VALU_DEP_1)
	v_or3_b32 v67, v28, v51, v50
.LBB264_945:                            ;   in Loop: Header=BB264_16 Depth=1
	s_or_b32 exec_lo, exec_lo, s2
.LBB264_946:                            ;   in Loop: Header=BB264_16 Depth=1
	s_delay_alu instid0(SALU_CYCLE_1)
	s_or_b32 exec_lo, exec_lo, s24
.LBB264_947:                            ;   in Loop: Header=BB264_16 Depth=1
	s_delay_alu instid0(SALU_CYCLE_1)
	s_or_b32 exec_lo, exec_lo, s23
	flat_load_b32 v70, v[152:153] offset:3588
	v_mov_b32_e32 v152, 0
	v_mov_b32_e32 v153, 0
	s_mov_b32 s2, exec_lo
	s_waitcnt vmcnt(0) lgkmcnt(0)
	v_and_b32_e32 v28, 0xff, v70
	s_delay_alu instid0(VALU_DEP_2) | instskip(NEXT) | instid1(VALU_DEP_2)
	v_dual_mov_b32 v138, v152 :: v_dual_mov_b32 v139, v153
	v_cmpx_ne_u16_e32 0, v28
	s_cbranch_execz .LBB264_955
; %bb.948:                              ;   in Loop: Header=BB264_16 Depth=1
	v_bfrev_b32_e32 v138, 1
	v_mov_b32_e32 v139, 0
	s_mov_b32 s23, exec_lo
	v_cmpx_ne_u16_e32 0x80, v28
	s_cbranch_execz .LBB264_954
; %bb.949:                              ;   in Loop: Header=BB264_16 Depth=1
	v_mov_b32_e32 v138, 0x7f800001
	v_and_b32_e32 v51, 0x7f, v70
	v_mov_b32_e32 v139, 0
	s_mov_b32 s24, exec_lo
	s_delay_alu instid0(VALU_DEP_2)
	v_cmpx_ne_u32_e32 0x7f, v51
	s_cbranch_execz .LBB264_953
; %bb.950:                              ;   in Loop: Header=BB264_16 Depth=1
	v_and_b32_e32 v28, 7, v70
	v_lshrrev_b32_e32 v50, 3, v51
	s_mov_b32 s25, exec_lo
	v_cmpx_gt_u32_e32 8, v51
; %bb.951:                              ;   in Loop: Header=BB264_16 Depth=1
	s_delay_alu instid0(VALU_DEP_3) | instskip(NEXT) | instid1(VALU_DEP_1)
	v_clz_i32_u32_e32 v50, v28
	v_min_u32_e32 v50, 32, v50
	s_delay_alu instid0(VALU_DEP_1) | instskip(SKIP_1) | instid1(VALU_DEP_2)
	v_subrev_nc_u32_e32 v51, 28, v50
	v_sub_nc_u32_e32 v50, 29, v50
	v_lshlrev_b64 v[138:139], v51, v[28:29]
	s_delay_alu instid0(VALU_DEP_1)
	v_and_b32_e32 v28, 7, v138
; %bb.952:                              ;   in Loop: Header=BB264_16 Depth=1
	s_or_b32 exec_lo, exec_lo, s25
	v_lshlrev_b32_e32 v51, 24, v70
	s_delay_alu instid0(VALU_DEP_2) | instskip(SKIP_1) | instid1(VALU_DEP_3)
	v_lshlrev_b32_e32 v28, 20, v28
	v_lshl_add_u32 v50, v50, 23, 0x3c000000
	v_and_b32_e32 v51, 0x80000000, v51
	s_delay_alu instid0(VALU_DEP_1) | instskip(NEXT) | instid1(VALU_DEP_1)
	v_or3_b32 v28, v28, v51, v50
	v_dual_mov_b32 v139, v29 :: v_dual_mov_b32 v138, v28
.LBB264_953:                            ;   in Loop: Header=BB264_16 Depth=1
	s_or_b32 exec_lo, exec_lo, s24
.LBB264_954:                            ;   in Loop: Header=BB264_16 Depth=1
	s_delay_alu instid0(SALU_CYCLE_1)
	s_or_b32 exec_lo, exec_lo, s23
.LBB264_955:                            ;   in Loop: Header=BB264_16 Depth=1
	s_delay_alu instid0(SALU_CYCLE_1) | instskip(SKIP_2) | instid1(VALU_DEP_1)
	s_or_b32 exec_lo, exec_lo, s2
	v_lshrrev_b16 v28, 8, v70
	s_mov_b32 s23, exec_lo
	v_cmpx_ne_u16_e32 0, v28
	s_cbranch_execz .LBB264_963
; %bb.956:                              ;   in Loop: Header=BB264_16 Depth=1
	v_dual_mov_b32 v153, s17 :: v_dual_mov_b32 v152, s16
	s_mov_b32 s24, exec_lo
	v_cmpx_ne_u16_e32 0x80, v28
	s_cbranch_execz .LBB264_962
; %bb.957:                              ;   in Loop: Header=BB264_16 Depth=1
	s_mov_b32 s2, s16
	v_dual_mov_b32 v153, s3 :: v_dual_and_b32 v28, 0xffff, v28
	v_mov_b32_e32 v152, s2
	s_mov_b32 s2, exec_lo
	s_delay_alu instid0(VALU_DEP_2) | instskip(NEXT) | instid1(VALU_DEP_1)
	v_and_b32_e32 v51, 0x7f, v28
	v_cmpx_ne_u32_e32 0x7f, v51
	s_cbranch_execz .LBB264_961
; %bb.958:                              ;   in Loop: Header=BB264_16 Depth=1
	v_and_b32_e32 v28, 7, v28
	v_lshrrev_b32_e32 v50, 3, v51
	s_mov_b32 s25, exec_lo
	v_cmpx_gt_u32_e32 8, v51
; %bb.959:                              ;   in Loop: Header=BB264_16 Depth=1
	s_delay_alu instid0(VALU_DEP_3) | instskip(NEXT) | instid1(VALU_DEP_1)
	v_clz_i32_u32_e32 v50, v28
	v_min_u32_e32 v50, 32, v50
	s_delay_alu instid0(VALU_DEP_1) | instskip(SKIP_1) | instid1(VALU_DEP_2)
	v_subrev_nc_u32_e32 v51, 28, v50
	v_sub_nc_u32_e32 v50, 29, v50
	v_lshlrev_b64 v[152:153], v51, v[28:29]
	s_delay_alu instid0(VALU_DEP_1)
	v_and_b32_e32 v28, 7, v152
; %bb.960:                              ;   in Loop: Header=BB264_16 Depth=1
	s_or_b32 exec_lo, exec_lo, s25
	v_dual_mov_b32 v152, v29 :: v_dual_lshlrev_b32 v51, 16, v70
	s_delay_alu instid0(VALU_DEP_2) | instskip(SKIP_1) | instid1(VALU_DEP_3)
	v_lshlrev_b32_e32 v28, 20, v28
	v_lshl_add_u32 v50, v50, 23, 0x3c000000
	v_and_b32_e32 v51, 0x80000000, v51
	s_delay_alu instid0(VALU_DEP_1)
	v_or3_b32 v153, v28, v51, v50
.LBB264_961:                            ;   in Loop: Header=BB264_16 Depth=1
	s_or_b32 exec_lo, exec_lo, s2
.LBB264_962:                            ;   in Loop: Header=BB264_16 Depth=1
	s_delay_alu instid0(SALU_CYCLE_1)
	s_or_b32 exec_lo, exec_lo, s24
.LBB264_963:                            ;   in Loop: Header=BB264_16 Depth=1
	s_delay_alu instid0(SALU_CYCLE_1)
	s_or_b32 exec_lo, exec_lo, s23
	v_mov_b32_e32 v154, 0
	v_lshrrev_b32_e32 v71, 16, v70
	v_dual_mov_b32 v155, 0 :: v_dual_mov_b32 v58, v144
	v_mov_b32_e32 v59, v145
	v_dual_mov_b32 v145, v129 :: v_dual_mov_b32 v144, v128
	v_dual_mov_b32 v128, v178 :: v_dual_mov_b32 v129, v179
	;; [unrolled: 1-line block ×4, first 2 shown]
	v_and_b32_e32 v28, 0xff, v71
	v_dual_mov_b32 v50, v154 :: v_dual_mov_b32 v51, v155
	s_mov_b32 s2, exec_lo
	s_delay_alu instid0(VALU_DEP_2)
	v_cmpx_ne_u16_e32 0, v28
	s_cbranch_execz .LBB264_971
; %bb.964:                              ;   in Loop: Header=BB264_16 Depth=1
	v_bfrev_b32_e32 v50, 1
	v_mov_b32_e32 v51, 0
	s_mov_b32 s23, exec_lo
	v_cmpx_ne_u16_e32 0x80, v28
	s_cbranch_execz .LBB264_970
; %bb.965:                              ;   in Loop: Header=BB264_16 Depth=1
	v_mov_b32_e32 v50, 0x7f800001
	v_dual_mov_b32 v90, v190 :: v_dual_mov_b32 v91, v191
	v_bfe_u32 v190, v70, 16, 7
	v_mov_b32_e32 v51, 0
	s_mov_b32 s24, exec_lo
	s_delay_alu instid0(VALU_DEP_2)
	v_cmpx_ne_u32_e32 0x7f, v190
	s_cbranch_execz .LBB264_969
; %bb.966:                              ;   in Loop: Header=BB264_16 Depth=1
	v_and_b32_e32 v28, 7, v71
	v_lshrrev_b32_e32 v50, 3, v190
	s_mov_b32 s25, exec_lo
	v_cmpx_gt_u32_e32 8, v190
	s_cbranch_execz .LBB264_968
; %bb.967:                              ;   in Loop: Header=BB264_16 Depth=1
	v_clz_i32_u32_e32 v50, v28
	v_dual_mov_b32 v191, v105 :: v_dual_mov_b32 v190, v104
	v_dual_mov_b32 v104, v132 :: v_dual_mov_b32 v105, v133
	s_delay_alu instid0(VALU_DEP_3) | instskip(SKIP_2) | instid1(VALU_DEP_3)
	v_min_u32_e32 v50, 32, v50
	v_dual_mov_b32 v133, v117 :: v_dual_mov_b32 v132, v116
	v_dual_mov_b32 v116, v166 :: v_dual_mov_b32 v117, v167
	v_subrev_nc_u32_e32 v51, 28, v50
	v_dual_mov_b32 v166, v190 :: v_dual_mov_b32 v167, v191
	v_sub_nc_u32_e32 v50, 29, v50
	s_delay_alu instid0(VALU_DEP_3) | instskip(NEXT) | instid1(VALU_DEP_1)
	v_lshlrev_b64 v[190:191], v51, v[28:29]
	v_dual_mov_b32 v191, v167 :: v_dual_and_b32 v28, 7, v190
	s_delay_alu instid0(VALU_DEP_4) | instskip(SKIP_3) | instid1(VALU_DEP_4)
	v_dual_mov_b32 v190, v166 :: v_dual_mov_b32 v167, v117
	v_mov_b32_e32 v166, v116
	v_dual_mov_b32 v116, v132 :: v_dual_mov_b32 v117, v133
	v_dual_mov_b32 v133, v105 :: v_dual_mov_b32 v132, v104
	;; [unrolled: 1-line block ×3, first 2 shown]
.LBB264_968:                            ;   in Loop: Header=BB264_16 Depth=1
	s_or_b32 exec_lo, exec_lo, s25
	v_lshlrev_b32_e32 v51, 24, v71
	v_lshlrev_b32_e32 v28, 20, v28
	v_lshl_add_u32 v50, v50, 23, 0x3c000000
	s_delay_alu instid0(VALU_DEP_3) | instskip(NEXT) | instid1(VALU_DEP_1)
	v_and_b32_e32 v51, 0x80000000, v51
	v_or3_b32 v28, v28, v51, v50
	s_delay_alu instid0(VALU_DEP_1)
	v_dual_mov_b32 v51, v29 :: v_dual_mov_b32 v50, v28
.LBB264_969:                            ;   in Loop: Header=BB264_16 Depth=1
	s_or_b32 exec_lo, exec_lo, s24
	v_dual_mov_b32 v191, v91 :: v_dual_mov_b32 v190, v90
.LBB264_970:                            ;   in Loop: Header=BB264_16 Depth=1
	s_or_b32 exec_lo, exec_lo, s23
.LBB264_971:                            ;   in Loop: Header=BB264_16 Depth=1
	s_delay_alu instid0(SALU_CYCLE_1) | instskip(NEXT) | instid1(SALU_CYCLE_1)
	s_or_b32 exec_lo, exec_lo, s2
	s_mov_b32 s23, exec_lo
	v_cmpx_lt_u32_e32 0xffffff, v70
	s_cbranch_execz .LBB264_14
; %bb.972:                              ;   in Loop: Header=BB264_16 Depth=1
	v_lshrrev_b32_e32 v71, 24, v70
	v_dual_mov_b32 v155, s17 :: v_dual_mov_b32 v154, s16
	s_mov_b32 s24, exec_lo
	s_delay_alu instid0(VALU_DEP_2)
	v_cmpx_ne_u32_e32 0x80, v71
	s_cbranch_execz .LBB264_13
; %bb.973:                              ;   in Loop: Header=BB264_16 Depth=1
	s_mov_b32 s2, s16
	v_bfe_u32 v13, v70, 24, 7
	v_dual_mov_b32 v155, s3 :: v_dual_mov_b32 v154, s2
	s_mov_b32 s2, exec_lo
	s_delay_alu instid0(VALU_DEP_2)
	v_cmpx_ne_u32_e32 0x7f, v13
	s_cbranch_execz .LBB264_12
; %bb.974:                              ;   in Loop: Header=BB264_16 Depth=1
	v_and_b32_e32 v28, 7, v71
	v_lshrrev_b32_e32 v70, 3, v13
	s_mov_b32 s25, exec_lo
	v_cmpx_gt_u32_e32 8, v13
	s_cbranch_execz .LBB264_11
; %bb.975:                              ;   in Loop: Header=BB264_16 Depth=1
	v_clz_i32_u32_e32 v70, v28
	s_delay_alu instid0(VALU_DEP_1) | instskip(NEXT) | instid1(VALU_DEP_1)
	v_min_u32_e32 v70, 32, v70
	v_subrev_nc_u32_e32 v154, 28, v70
	v_sub_nc_u32_e32 v70, 29, v70
	s_delay_alu instid0(VALU_DEP_2) | instskip(NEXT) | instid1(VALU_DEP_1)
	v_lshlrev_b64 v[154:155], v154, v[28:29]
	v_and_b32_e32 v28, 7, v154
	s_branch .LBB264_11
.LBB264_976:
	s_or_b32 exec_lo, exec_lo, s21
	s_clause 0xe
	scratch_load_b32 v15, off, s32 offset:1172
	scratch_load_b32 v14, off, s32 offset:1176
	;; [unrolled: 1-line block ×9, first 2 shown]
	scratch_load_b64 v[11:12], off, s32 offset:1204
	scratch_load_b32 v19, off, s32 offset:1212
	scratch_load_b32 v16, off, s32 offset:1216
	;; [unrolled: 1-line block ×5, first 2 shown]
.LBB264_977:
	s_or_b32 exec_lo, exec_lo, s20
	v_mbcnt_lo_u32_b32 v0, -1, 0
	s_waitcnt lgkmcnt(0)
	s_lshr_b32 s8, s19, 16
	s_delay_alu instid0(VALU_DEP_1) | instskip(SKIP_2) | instid1(VALU_DEP_3)
	v_xor_b32_e32 v1, 16, v0
	v_xor_b32_e32 v3, 8, v0
	;; [unrolled: 1-line block ×3, first 2 shown]
	v_cmp_gt_i32_e32 vcc_lo, 32, v1
	v_cndmask_b32_e32 v1, v0, v1, vcc_lo
	s_delay_alu instid0(VALU_DEP_4) | instskip(NEXT) | instid1(VALU_DEP_2)
	v_cmp_gt_i32_e32 vcc_lo, 32, v3
	v_dual_cndmask_b32 v3, v0, v3 :: v_dual_lshlrev_b32 v2, 2, v1
	v_max_f32_e32 v4, v105, v105
	v_cmp_gt_i32_e32 vcc_lo, 32, v5
	ds_bpermute_b32 v1, v2, v105
	v_lshlrev_b32_e32 v3, 2, v3
	v_cndmask_b32_e32 v5, v0, v5, vcc_lo
	s_delay_alu instid0(VALU_DEP_1) | instskip(SKIP_1) | instid1(VALU_DEP_1)
	v_lshlrev_b32_e32 v23, 2, v5
	v_xor_b32_e32 v5, 2, v0
	v_cmp_gt_i32_e32 vcc_lo, 32, v5
	v_cndmask_b32_e32 v5, v0, v5, vcc_lo
	s_waitcnt lgkmcnt(0)
	v_max_f32_e32 v1, v1, v1
	s_delay_alu instid0(VALU_DEP_2) | instskip(NEXT) | instid1(VALU_DEP_2)
	v_lshlrev_b32_e32 v21, 2, v5
	v_max_f32_e32 v1, v4, v1
	v_xor_b32_e32 v5, 1, v0
	ds_bpermute_b32 v4, v3, v1
	v_cmp_gt_i32_e32 vcc_lo, 32, v5
	v_cndmask_b32_e32 v5, v0, v5, vcc_lo
	s_delay_alu instid0(VALU_DEP_1) | instskip(SKIP_2) | instid1(VALU_DEP_1)
	v_lshlrev_b32_e32 v20, 2, v5
	s_waitcnt lgkmcnt(0)
	v_max_f32_e32 v4, v4, v4
	v_max_f32_e32 v1, v1, v4
	ds_bpermute_b32 v4, v23, v1
	s_waitcnt lgkmcnt(0)
	v_max_f32_e32 v4, v4, v4
	s_delay_alu instid0(VALU_DEP_1) | instskip(SKIP_3) | instid1(VALU_DEP_1)
	v_max_f32_e32 v1, v1, v4
	ds_bpermute_b32 v4, v21, v1
	s_waitcnt lgkmcnt(0)
	v_max_f32_e32 v4, v4, v4
	v_max_f32_e32 v0, v1, v4
	scratch_load_b32 v4, off, s32 offset:636 ; 4-byte Folded Reload
	ds_bpermute_b32 v1, v20, v0
	s_waitcnt vmcnt(0)
	v_cmp_eq_u32_e32 vcc_lo, 0, v4
	scratch_load_b32 v4, off, s32 offset:1156 ; 4-byte Folded Reload
	s_waitcnt vmcnt(0)
	v_lshlrev_b32_e32 v4, 2, v4
	s_and_saveexec_b32 s1, vcc_lo
	s_cbranch_execz .LBB264_979
; %bb.978:
	s_waitcnt lgkmcnt(0)
	v_dual_max_f32 v1, v1, v1 :: v_dual_max_f32 v0, v0, v0
	s_delay_alu instid0(VALU_DEP_1)
	v_max_f32_e32 v0, v0, v1
	ds_store_b32 v4, v0 offset:480
.LBB264_979:
	s_or_b32 exec_lo, exec_lo, s1
	scratch_load_b32 v0, off, s32 offset:636 ; 4-byte Folded Reload
	s_waitcnt vmcnt(0) lgkmcnt(0)
	s_waitcnt_vscnt null, 0x0
	s_barrier
	buffer_gl0_inv
	v_cmp_gt_u32_e64 s1, 4, v0
	v_mov_b32_e32 v0, 0xff7fffff
	s_delay_alu instid0(VALU_DEP_2)
	s_and_saveexec_b32 s2, s1
	s_cbranch_execz .LBB264_981
; %bb.980:
	ds_load_b32 v0, v10 offset:480
.LBB264_981:
	s_or_b32 exec_lo, exec_lo, s2
	scratch_load_b32 v5, off, s32 offset:352 ; 4-byte Folded Reload
	s_waitcnt lgkmcnt(0)
	ds_bpermute_b32 v1, v21, v0
	s_waitcnt lgkmcnt(0)
	v_dual_max_f32 v0, v0, v0 :: v_dual_max_f32 v1, v1, v1
	s_delay_alu instid0(VALU_DEP_1)
	v_max_f32_e32 v0, v0, v1
	s_waitcnt vmcnt(0)
	v_subrev_nc_u32_e32 v6, s13, v5
	v_mov_b32_e32 v5, 0
	ds_bpermute_b32 v1, v20, v0
	s_waitcnt lgkmcnt(0)
	v_max_f32_e32 v1, v1, v1
	s_delay_alu instid0(VALU_DEP_1) | instskip(SKIP_4) | instid1(VALU_DEP_1)
	v_max_f32_e32 v0, v0, v1
	v_lshl_add_u32 v1, v6, 5, s15
	scratch_load_b32 v6, off, s32 offset:632 ; 4-byte Folded Reload
	ds_bpermute_b32 v0, v5, v0
	v_min_i32_e32 v1, v1, v22
	v_subrev_nc_u32_e32 v1, s15, v1
	s_waitcnt vmcnt(0)
	s_delay_alu instid0(VALU_DEP_1) | instskip(NEXT) | instid1(VALU_DEP_1)
	v_cmp_lt_i32_e64 s2, v6, v1
	s_and_saveexec_b32 s9, s2
	s_cbranch_execz .LBB264_985
; %bb.982:
	scratch_load_b32 v7, off, s32 offset:632 ; 4-byte Folded Reload
	s_getpc_b64 s[16:17]
	s_add_u32 s16, s16, llvm.amdgcn.dynlds.offset.table@rel32@lo+4
	s_addc_u32 s17, s17, llvm.amdgcn.dynlds.offset.table@rel32@hi+12
	s_ashr_i32 s7, s6, 31
	v_mov_b32_e32 v5, 0
	s_lshl_b64 s[20:21], s[6:7], 2
	s_mov_b32 s7, 0
	s_add_u32 s16, s20, s16
	s_addc_u32 s17, s21, s17
	s_load_b32 s3, s[16:17], 0x0
	s_waitcnt vmcnt(0) lgkmcnt(0)
	v_lshl_add_u32 v6, v7, 2, s3
	.p2align	6
.LBB264_983:                            ; =>This Inner Loop Header: Depth=1
	ds_load_b32 v8, v6
	v_add_nc_u32_e32 v7, 0x80, v7
	s_delay_alu instid0(VALU_DEP_1) | instskip(NEXT) | instid1(VALU_DEP_1)
	v_cmp_ge_i32_e64 s3, v7, v1
	s_or_b32 s7, s3, s7
	s_waitcnt lgkmcnt(0)
	v_sub_f32_e32 v8, v8, v0
	s_delay_alu instid0(VALU_DEP_1) | instskip(NEXT) | instid1(VALU_DEP_1)
	v_mul_f32_e32 v8, 0x3fb8aa3b, v8
	v_exp_f32_e32 v8, v8
	ds_store_b32 v6, v8
	v_dual_add_f32 v5, v5, v8 :: v_dual_add_nc_u32 v6, 0x200, v6
	s_and_not1_b32 exec_lo, exec_lo, s7
	s_cbranch_execnz .LBB264_983
; %bb.984:
	s_or_b32 exec_lo, exec_lo, s7
.LBB264_985:
	s_delay_alu instid0(SALU_CYCLE_1)
	s_or_b32 exec_lo, exec_lo, s9
	ds_bpermute_b32 v2, v2, v5
	s_waitcnt lgkmcnt(0)
	v_add_f32_e32 v2, v5, v2
	ds_bpermute_b32 v3, v3, v2
	s_waitcnt lgkmcnt(0)
	v_add_f32_e32 v2, v2, v3
	ds_bpermute_b32 v3, v23, v2
	s_waitcnt lgkmcnt(0)
	v_add_f32_e32 v2, v2, v3
	ds_bpermute_b32 v3, v21, v2
	s_waitcnt lgkmcnt(0)
	v_add_f32_e32 v2, v2, v3
	ds_bpermute_b32 v3, v20, v2
	s_waitcnt lgkmcnt(0)
	v_add_f32_e32 v2, v2, v3
	s_and_saveexec_b32 s3, vcc_lo
	s_cbranch_execz .LBB264_987
; %bb.986:
	ds_store_b32 v4, v2 offset:496
.LBB264_987:
	s_or_b32 exec_lo, exec_lo, s3
	s_waitcnt lgkmcnt(0)
	s_barrier
	buffer_gl0_inv
	s_and_saveexec_b32 s3, s1
	s_cbranch_execz .LBB264_989
; %bb.988:
	ds_load_b32 v2, v10 offset:496
.LBB264_989:
	s_or_b32 exec_lo, exec_lo, s3
	s_waitcnt lgkmcnt(0)
	ds_bpermute_b32 v3, v21, v2
	s_waitcnt lgkmcnt(0)
	v_add_f32_e32 v2, v2, v3
	ds_bpermute_b32 v3, v20, v2
	s_waitcnt lgkmcnt(0)
	v_dual_add_f32 v2, v2, v3 :: v_dual_mov_b32 v3, 0
	ds_bpermute_b32 v2, v3, v2
	s_and_saveexec_b32 s1, s2
	s_cbranch_execz .LBB264_992
; %bb.990:
	s_waitcnt lgkmcnt(0)
	v_add_f32_e32 v4, 0x358637bd, v2
	s_getpc_b64 s[2:3]
	s_add_u32 s2, s2, llvm.amdgcn.dynlds.offset.table@rel32@lo+4
	s_addc_u32 s3, s3, llvm.amdgcn.dynlds.offset.table@rel32@hi+12
	s_ashr_i32 s7, s6, 31
	s_delay_alu instid0(SALU_CYCLE_1) | instskip(SKIP_4) | instid1(VALU_DEP_1)
	s_lshl_b64 s[16:17], s[6:7], 2
	v_div_scale_f32 v3, null, v4, v4, 1.0
	s_add_u32 s2, s16, s2
	s_addc_u32 s3, s17, s3
	s_load_b32 s2, s[2:3], 0x0
	v_rcp_f32_e32 v5, v3
	s_waitcnt_depctr 0xfff
	v_fma_f32 v6, -v3, v5, 1.0
	s_delay_alu instid0(VALU_DEP_1) | instskip(SKIP_1) | instid1(VALU_DEP_1)
	v_fmac_f32_e32 v5, v6, v5
	v_div_scale_f32 v7, vcc_lo, 1.0, v4, 1.0
	v_mul_f32_e32 v6, v7, v5
	s_delay_alu instid0(VALU_DEP_1) | instskip(NEXT) | instid1(VALU_DEP_1)
	v_fma_f32 v8, -v3, v6, v7
	v_fmac_f32_e32 v6, v8, v5
	s_delay_alu instid0(VALU_DEP_1) | instskip(NEXT) | instid1(VALU_DEP_1)
	v_fma_f32 v3, -v3, v6, v7
	v_div_fmas_f32 v5, v3, v5, v6
	scratch_load_b32 v6, off, s32 offset:632 ; 4-byte Folded Reload
	v_div_fixup_f32 v4, v5, v4, 1.0
	s_waitcnt vmcnt(0) lgkmcnt(0)
	v_lshl_add_u32 v3, v6, 2, s2
	v_mov_b32_e32 v5, v6
	s_mov_b32 s2, 0
.LBB264_991:                            ; =>This Inner Loop Header: Depth=1
	ds_load_b32 v6, v3
	s_waitcnt lgkmcnt(0)
	v_dual_mul_f32 v6, v4, v6 :: v_dual_add_nc_u32 v5, 0x80, v5
	s_delay_alu instid0(VALU_DEP_1) | instskip(SKIP_3) | instid1(SALU_CYCLE_1)
	v_cmp_ge_i32_e32 vcc_lo, v5, v1
	ds_store_b32 v3, v6
	v_add_nc_u32_e32 v3, 0x200, v3
	s_or_b32 s2, vcc_lo, s2
	s_and_not1_b32 exec_lo, exec_lo, s2
	s_cbranch_execnz .LBB264_991
.LBB264_992:
	s_or_b32 exec_lo, exec_lo, s1
	s_waitcnt lgkmcnt(0)
	scratch_load_b32 v1, off, s32 offset:632 ; 4-byte Folded Reload
	v_cmp_ne_u16_e64 s1, s8, 0
	s_waitcnt vmcnt(0)
	s_barrier
	buffer_gl0_inv
	s_cmp_lg_u32 s1, 0
	s_addc_u32 s1, s5, 0
	s_mov_b32 s5, exec_lo
	s_mul_i32 s2, s1, s10
	s_delay_alu instid0(SALU_CYCLE_1)
	s_mul_i32 s2, s2, s11
	v_cmpx_eq_u32_e32 0, v1
	s_cbranch_execz .LBB264_994
; %bb.993:
	s_mul_i32 s8, s1, s12
	s_ashr_i32 s15, s14, 31
	s_ashr_i32 s9, s8, 31
	;; [unrolled: 1-line block ×3, first 2 shown]
	s_lshl_b64 s[8:9], s[8:9], 2
	s_lshl_b64 s[10:11], s[14:15], 2
	;; [unrolled: 1-line block ×3, first 2 shown]
	s_add_u32 s3, s10, s8
	s_addc_u32 s7, s11, s9
	s_add_u32 s3, s3, s12
	s_addc_u32 s7, s7, s13
	v_add_co_u32 v3, vcc_lo, s3, v35
	v_add_co_ci_u32_e32 v4, vcc_lo, s7, v34, vcc_lo
	v_add_co_u32 v5, vcc_lo, s3, v33
	v_add_co_ci_u32_e32 v6, vcc_lo, s7, v32, vcc_lo
	flat_store_b32 v[3:4], v0
	flat_store_b32 v[5:6], v2
.LBB264_994:
	s_or_b32 exec_lo, exec_lo, s5
	scratch_load_b32 v0, off, s32 offset:632 ; 4-byte Folded Reload
	s_ashr_i32 s7, s6, 31
	s_getpc_b64 s[8:9]
	s_add_u32 s8, s8, llvm.amdgcn.dynlds.offset.table@rel32@lo+4
	s_addc_u32 s9, s9, llvm.amdgcn.dynlds.offset.table@rel32@hi+12
	s_lshl_b64 s[6:7], s[6:7], 2
	v_dual_mov_b32 v71, 0 :: v_dual_mov_b32 v80, 0
	v_dual_mov_b32 v69, 0 :: v_dual_mov_b32 v70, 0
	;; [unrolled: 1-line block ×15, first 2 shown]
	s_add_u32 s6, s6, s8
	s_addc_u32 s7, s7, s9
	s_mov_b32 s8, 0
	s_waitcnt vmcnt(0)
	v_and_b32_e32 v24, 7, v0
	s_and_saveexec_b32 s3, s0
	s_cbranch_execz .LBB264_2020
; %bb.995:
	scratch_load_b32 v0, off, s32 offset:632 ; 4-byte Folded Reload
	v_max_i32_e32 v81, v30, v17
	scratch_load_b32 v30, off, s32 offset:1168 ; 4-byte Folded Reload
	s_load_b32 s0, s[6:7], 0x0
	v_add_co_u32 v3, vcc_lo, v83, v19
	v_sub_nc_u32_e32 v8, 0, v81
	v_add_co_ci_u32_e32 v4, vcc_lo, v82, v18, vcc_lo
	v_dual_mov_b32 v29, 0 :: v_dual_lshlrev_b32 v6, 4, v24
	v_dual_mov_b32 v25, 0 :: v_dual_add_nc_u32 v82, -1, v16
	v_dual_mov_b32 v26, 0 :: v_dual_mov_b32 v31, 0
	v_dual_mov_b32 v32, 0 :: v_dual_mov_b32 v33, 0
	;; [unrolled: 1-line block ×11, first 2 shown]
	v_mov_b32_e32 v80, 0
	s_brev_b32 s9, 1
	s_mov_b32 s11, 0x7f800001
	s_mov_b32 s5, s8
	v_mov_b32_e32 v7, 0
	scratch_load_b32 v9, off, s32 offset:1156 ; 4-byte Folded Reload
	v_dual_mov_b32 v39, 0 :: v_dual_mov_b32 v48, 0
	s_waitcnt vmcnt(2)
	v_dual_mov_b32 v49, 0 :: v_dual_lshlrev_b32 v2, 2, v0
	v_cvt_f32_u32_e32 v0, v81
	s_delay_alu instid0(VALU_DEP_2) | instskip(NEXT) | instid1(VALU_DEP_2)
	v_dual_mov_b32 v38, 0 :: v_dual_and_b32 v27, 28, v2
	v_rcp_iflag_f32_e32 v5, v0
	scratch_load_b64 v[0:1], off, s32 offset:328 ; 8-byte Folded Reload
	v_mov_b32_e32 v28, 0
	v_and_b32_e32 v2, 0x7c, v2
	v_mul_f32_e32 v5, 0x4f7ffffe, v5
	s_delay_alu instid0(VALU_DEP_1) | instskip(NEXT) | instid1(VALU_DEP_1)
	v_cvt_u32_f32_e32 v5, v5
	v_mul_lo_u32 v8, v8, v5
	s_waitcnt vmcnt(1)
	v_lshl_or_b32 v6, v9, 7, v6
	s_waitcnt lgkmcnt(0)
	s_delay_alu instid0(VALU_DEP_1) | instskip(SKIP_2) | instid1(VALU_DEP_1)
	v_add_nc_u32_e32 v83, s0, v6
	s_waitcnt vmcnt(0)
	v_lshlrev_b64 v[0:1], 2, v[0:1]
	v_add_co_u32 v0, vcc_lo, v11, v0
	s_delay_alu instid0(VALU_DEP_2)
	v_add_co_ci_u32_e32 v1, vcc_lo, v12, v1, vcc_lo
	v_mul_hi_u32 v12, v5, v8
	v_add_co_u32 v8, vcc_lo, v3, v2
	v_add_co_ci_u32_e32 v9, vcc_lo, 0, v4, vcc_lo
	v_add_co_u32 v10, vcc_lo, v14, v0
	v_add_co_ci_u32_e32 v11, vcc_lo, v15, v1, vcc_lo
	v_add_nc_u32_e32 v84, v5, v12
	s_branch .LBB264_998
.LBB264_996:                            ;   in Loop: Header=BB264_998 Depth=1
	s_or_b32 exec_lo, exec_lo, s0
	v_mul_f32_e32 v14, v1, v170
	v_mul_f32_e32 v13, v1, v172
	;; [unrolled: 1-line block ×3, first 2 shown]
	s_delay_alu instid0(VALU_DEP_3) | instskip(NEXT) | instid1(VALU_DEP_2)
	v_dual_mul_f32 v15, v1, v158 :: v_dual_fmac_f32 v14, v0, v169
	v_dual_mul_f32 v17, v1, v142 :: v_dual_fmac_f32 v16, v0, v153
	s_delay_alu instid0(VALU_DEP_4) | instskip(NEXT) | instid1(VALU_DEP_3)
	v_fmac_f32_e32 v13, v0, v171
	v_dual_fmac_f32 v15, v0, v157 :: v_dual_fmac_f32 v14, v2, v168
	s_delay_alu instid0(VALU_DEP_3) | instskip(NEXT) | instid1(VALU_DEP_2)
	v_dual_fmac_f32 v17, v0, v141 :: v_dual_fmac_f32 v16, v2, v152
	v_dual_fmac_f32 v15, v2, v156 :: v_dual_fmac_f32 v14, v3, v159
	s_delay_alu instid0(VALU_DEP_2) | instskip(NEXT) | instid1(VALU_DEP_2)
	v_dual_fmac_f32 v17, v2, v140 :: v_dual_fmac_f32 v16, v3, v143
	v_dual_fmac_f32 v13, v2, v19 :: v_dual_add_f32 v28, v28, v14
	s_delay_alu instid0(VALU_DEP_2) | instskip(NEXT) | instid1(VALU_DEP_2)
	v_dual_fmac_f32 v17, v3, v139 :: v_dual_mul_f32 v14, v1, v126
	v_fmac_f32_e32 v13, v3, v18
	s_delay_alu instid0(VALU_DEP_4) | instskip(NEXT) | instid1(VALU_DEP_3)
	v_dual_add_f32 v31, v31, v16 :: v_dual_mul_f32 v16, v1, v110
	v_dual_add_f32 v32, v32, v17 :: v_dual_fmac_f32 v15, v3, v155
	s_delay_alu instid0(VALU_DEP_3) | instskip(NEXT) | instid1(VALU_DEP_3)
	v_dual_add_f32 v26, v26, v13 :: v_dual_mul_f32 v13, v1, v138
	v_fmac_f32_e32 v16, v0, v109
	s_delay_alu instid0(VALU_DEP_3) | instskip(SKIP_1) | instid1(VALU_DEP_3)
	v_dual_fmac_f32 v14, v0, v125 :: v_dual_add_f32 v29, v29, v15
	v_mul_f32_e32 v15, v1, v122
	v_dual_mul_f32 v17, v1, v106 :: v_dual_fmac_f32 v16, v2, v108
	s_delay_alu instid0(VALU_DEP_3) | instskip(NEXT) | instid1(VALU_DEP_2)
	v_dual_fmac_f32 v14, v2, v124 :: v_dual_fmac_f32 v13, v0, v137
	v_dual_fmac_f32 v15, v0, v121 :: v_dual_fmac_f32 v16, v3, v107
	s_delay_alu instid0(VALU_DEP_2) | instskip(NEXT) | instid1(VALU_DEP_3)
	v_dual_fmac_f32 v14, v3, v123 :: v_dual_fmac_f32 v17, v0, v105
	v_fmac_f32_e32 v13, v2, v136
	s_delay_alu instid0(VALU_DEP_3) | instskip(NEXT) | instid1(VALU_DEP_4)
	v_fmac_f32_e32 v15, v2, v120
	v_add_f32_e32 v36, v36, v16
	v_mul_f32_e32 v16, v1, v73
	v_add_f32_e32 v34, v34, v14
	v_fmac_f32_e32 v17, v2, v95
	v_dual_fmac_f32 v15, v3, v111 :: v_dual_mul_f32 v14, v1, v89
	s_delay_alu instid0(VALU_DEP_4) | instskip(NEXT) | instid1(VALU_DEP_2)
	v_dual_fmac_f32 v16, v0, v72 :: v_dual_fmac_f32 v13, v3, v127
	v_fmac_f32_e32 v14, v0, v88
	s_delay_alu instid0(VALU_DEP_2) | instskip(SKIP_1) | instid1(VALU_DEP_3)
	v_dual_fmac_f32 v16, v2, v63 :: v_dual_add_f32 v33, v33, v13
	v_mul_f32_e32 v13, v1, v93
	v_dual_fmac_f32 v17, v3, v94 :: v_dual_fmac_f32 v14, v2, v79
	s_delay_alu instid0(VALU_DEP_2) | instskip(NEXT) | instid1(VALU_DEP_2)
	v_dual_fmac_f32 v16, v3, v62 :: v_dual_fmac_f32 v13, v0, v92
	v_dual_add_f32 v37, v37, v17 :: v_dual_fmac_f32 v14, v3, v78
	s_delay_alu instid0(VALU_DEP_2) | instskip(NEXT) | instid1(VALU_DEP_3)
	v_add_f32_e32 v49, v49, v16
	v_dual_mul_f32 v16, v1, v181 :: v_dual_fmac_f32 v13, v2, v91
	s_delay_alu instid0(VALU_DEP_3) | instskip(NEXT) | instid1(VALU_DEP_2)
	v_dual_add_f32 v39, v39, v14 :: v_dual_mul_f32 v14, v1, v45
	v_dual_fmac_f32 v16, v0, v180 :: v_dual_fmac_f32 v13, v3, v90
	v_add_f32_e32 v35, v35, v15
	s_delay_alu instid0(VALU_DEP_3) | instskip(NEXT) | instid1(VALU_DEP_3)
	v_dual_mul_f32 v15, v1, v77 :: v_dual_fmac_f32 v14, v0, v44
	v_fmac_f32_e32 v16, v2, v179
	s_delay_alu instid0(VALU_DEP_2) | instskip(NEXT) | instid1(VALU_DEP_3)
	v_dual_add_f32 v38, v38, v13 :: v_dual_fmac_f32 v15, v0, v76
	v_fmac_f32_e32 v14, v2, v43
	s_delay_alu instid0(VALU_DEP_2) | instskip(NEXT) | instid1(VALU_DEP_2)
	v_dual_fmac_f32 v16, v3, v178 :: v_dual_fmac_f32 v15, v2, v75
	v_fmac_f32_e32 v14, v3, v42
	s_delay_alu instid0(VALU_DEP_2) | instskip(NEXT) | instid1(VALU_DEP_3)
	v_dual_add_f32 v54, v54, v16 :: v_dual_mul_f32 v13, v1, v57
	v_dual_mul_f32 v16, v1, v145 :: v_dual_fmac_f32 v15, v3, v74
	s_delay_alu instid0(VALU_DEP_3) | instskip(SKIP_1) | instid1(VALU_DEP_3)
	v_dual_mul_f32 v17, v1, v61 :: v_dual_add_f32 v52, v52, v14
	v_mul_f32_e32 v14, v1, v161
	v_fmac_f32_e32 v16, v0, v144
	s_delay_alu instid0(VALU_DEP_4) | instskip(NEXT) | instid1(VALU_DEP_4)
	v_add_f32_e32 v48, v48, v15
	v_fmac_f32_e32 v17, v0, v60
	s_delay_alu instid0(VALU_DEP_4) | instskip(NEXT) | instid1(VALU_DEP_4)
	v_dual_mul_f32 v15, v1, v41 :: v_dual_fmac_f32 v14, v0, v160
	v_dual_fmac_f32 v13, v0, v56 :: v_dual_fmac_f32 v16, v2, v135
	s_delay_alu instid0(VALU_DEP_3) | instskip(NEXT) | instid1(VALU_DEP_3)
	v_fmac_f32_e32 v17, v2, v59
	v_dual_fmac_f32 v15, v0, v40 :: v_dual_fmac_f32 v14, v2, v151
	s_delay_alu instid0(VALU_DEP_3) | instskip(NEXT) | instid1(VALU_DEP_3)
	v_dual_fmac_f32 v13, v2, v47 :: v_dual_fmac_f32 v16, v3, v134
	v_fmac_f32_e32 v17, v3, v58
	s_delay_alu instid0(VALU_DEP_3) | instskip(NEXT) | instid1(VALU_DEP_3)
	v_fmac_f32_e32 v14, v3, v150
	v_fmac_f32_e32 v13, v3, v46
	s_delay_alu instid0(VALU_DEP_3) | instskip(SKIP_1) | instid1(VALU_DEP_4)
	v_dual_add_f32 v67, v67, v16 :: v_dual_add_f32 v50, v50, v17
	v_mul_f32_e32 v17, v1, v177
	v_add_f32_e32 v65, v65, v14
	v_mul_f32_e32 v14, v1, v117
	v_add_f32_e32 v51, v51, v13
	v_mul_f32_e32 v13, v1, v165
	v_dual_fmac_f32 v17, v0, v176 :: v_dual_mul_f32 v16, v1, v97
	s_delay_alu instid0(VALU_DEP_4) | instskip(NEXT) | instid1(VALU_DEP_3)
	v_fmac_f32_e32 v14, v0, v116
	v_fmac_f32_e32 v13, v0, v164
	s_delay_alu instid0(VALU_DEP_3) | instskip(NEXT) | instid1(VALU_DEP_3)
	v_dual_fmac_f32 v17, v2, v167 :: v_dual_fmac_f32 v16, v0, v96
	v_fmac_f32_e32 v14, v2, v115
	s_delay_alu instid0(VALU_DEP_3) | instskip(NEXT) | instid1(VALU_DEP_3)
	v_fmac_f32_e32 v13, v2, v163
	v_dual_fmac_f32 v17, v3, v166 :: v_dual_fmac_f32 v16, v2, v87
	s_delay_alu instid0(VALU_DEP_3) | instskip(NEXT) | instid1(VALU_DEP_3)
	v_fmac_f32_e32 v14, v3, v114
	v_fmac_f32_e32 v13, v3, v162
	s_delay_alu instid0(VALU_DEP_3) | instskip(NEXT) | instid1(VALU_DEP_4)
	v_add_f32_e32 v55, v55, v17
	v_dual_mul_f32 v17, v1, v133 :: v_dual_fmac_f32 v16, v3, v86
	s_delay_alu instid0(VALU_DEP_3) | instskip(SKIP_1) | instid1(VALU_DEP_3)
	v_dual_fmac_f32 v15, v2, v183 :: v_dual_add_f32 v64, v64, v13
	v_mul_f32_e32 v13, v1, v129
	v_dual_fmac_f32 v17, v0, v132 :: v_dual_add_f32 v70, v70, v14
	s_delay_alu instid0(VALU_DEP_4) | instskip(NEXT) | instid1(VALU_DEP_3)
	v_add_f32_e32 v71, v71, v16
	v_fmac_f32_e32 v13, v0, v128
	s_delay_alu instid0(VALU_DEP_3) | instskip(NEXT) | instid1(VALU_DEP_2)
	v_fmac_f32_e32 v17, v2, v131
	v_fmac_f32_e32 v13, v2, v119
	s_delay_alu instid0(VALU_DEP_2) | instskip(SKIP_1) | instid1(VALU_DEP_2)
	v_fmac_f32_e32 v17, v3, v130
	v_fmac_f32_e32 v15, v3, v182
	v_dual_fmac_f32 v13, v3, v118 :: v_dual_add_f32 v68, v68, v17
	s_delay_alu instid0(VALU_DEP_2) | instskip(SKIP_1) | instid1(VALU_DEP_3)
	v_add_f32_e32 v53, v53, v15
	v_mul_f32_e32 v15, v1, v149
	v_add_f32_e32 v69, v69, v13
	s_delay_alu instid0(VALU_DEP_2) | instskip(NEXT) | instid1(VALU_DEP_1)
	v_fmac_f32_e32 v15, v0, v148
	v_fmac_f32_e32 v15, v2, v147
	s_delay_alu instid0(VALU_DEP_1) | instskip(NEXT) | instid1(VALU_DEP_1)
	v_fmac_f32_e32 v15, v3, v146
	v_dual_add_f32 v66, v66, v15 :: v_dual_mul_f32 v15, v1, v113
	v_mul_f32_e32 v1, v1, v12
	s_delay_alu instid0(VALU_DEP_2) | instskip(NEXT) | instid1(VALU_DEP_2)
	v_fmac_f32_e32 v15, v0, v112
	v_fmac_f32_e32 v1, v0, v6
	s_delay_alu instid0(VALU_DEP_2) | instskip(NEXT) | instid1(VALU_DEP_2)
	v_fmac_f32_e32 v15, v2, v103
	v_fmac_f32_e32 v1, v2, v5
	s_delay_alu instid0(VALU_DEP_2) | instskip(NEXT) | instid1(VALU_DEP_1)
	v_fmac_f32_e32 v15, v3, v102
	v_dual_fmac_f32 v1, v3, v4 :: v_dual_add_f32 v80, v80, v15
	s_delay_alu instid0(VALU_DEP_1)
	v_add_f32_e32 v25, v25, v1
.LBB264_997:                            ;   in Loop: Header=BB264_998 Depth=1
	s_or_b32 exec_lo, exec_lo, s12
	scratch_load_b64 v[0:1], off, s32 offset:328 ; 8-byte Folded Reload
	v_add_co_u32 v10, s0, v10, 16
	s_delay_alu instid0(VALU_DEP_1)
	v_add_co_ci_u32_e64 v11, s0, 0, v11, s0
	v_add_nc_u32_e32 v83, 0x200, v83
	v_add_nc_u32_e32 v30, 0x80, v30
	s_waitcnt vmcnt(0)
	v_mov_b32_e32 v2, v0
	scratch_load_b32 v0, off, s32 offset:352 ; 4-byte Folded Reload
	v_add_nc_u32_e32 v2, 4, v2
	s_delay_alu instid0(VALU_DEP_1) | instskip(SKIP_4) | instid1(SALU_CYCLE_1)
	v_mov_b32_e32 v1, v2
	scratch_store_b64 off, v[1:2], s32 offset:328 ; 8-byte Folded Spill
	s_waitcnt vmcnt(0)
	v_cmp_ge_i32_e32 vcc_lo, v2, v0
	s_or_b32 s5, vcc_lo, s5
	s_and_not1_b32 exec_lo, exec_lo, s5
	s_cbranch_execz .LBB264_2019
.LBB264_998:                            ; =>This Inner Loop Header: Depth=1
	s_clause 0x2
	scratch_load_b32 v1, off, s32 offset:356
	scratch_load_b32 v5, off, s32 offset:348
	;; [unrolled: 1-line block ×3, first 2 shown]
	v_sub_nc_u32_e32 v0, 0, v30
	s_delay_alu instid0(VALU_DEP_1) | instskip(SKIP_1) | instid1(VALU_DEP_1)
	v_max_i32_e32 v0, v30, v0
	s_waitcnt vmcnt(2)
	v_mul_hi_u32 v1, v0, v1
	s_waitcnt vmcnt(0)
	s_delay_alu instid0(VALU_DEP_1) | instskip(NEXT) | instid1(VALU_DEP_1)
	v_mul_lo_u32 v2, v1, v4
	v_sub_nc_u32_e32 v0, v0, v2
	v_add_nc_u32_e32 v2, 1, v1
	s_delay_alu instid0(VALU_DEP_2) | instskip(SKIP_1) | instid1(VALU_DEP_2)
	v_sub_nc_u32_e32 v3, v0, v4
	v_cmp_ge_u32_e32 vcc_lo, v0, v4
	v_dual_cndmask_b32 v1, v1, v2 :: v_dual_cndmask_b32 v0, v0, v3
	v_ashrrev_i32_e32 v2, 31, v30
	s_delay_alu instid0(VALU_DEP_2) | instskip(NEXT) | instid1(VALU_DEP_3)
	v_add_nc_u32_e32 v3, 1, v1
	v_cmp_ge_u32_e32 vcc_lo, v0, v4
	s_delay_alu instid0(VALU_DEP_3) | instskip(NEXT) | instid1(VALU_DEP_3)
	v_xor_b32_e32 v2, v2, v5
	v_cndmask_b32_e32 v0, v1, v3, vcc_lo
	s_delay_alu instid0(VALU_DEP_1) | instskip(NEXT) | instid1(VALU_DEP_1)
	v_xor_b32_e32 v0, v0, v2
	v_sub_nc_u32_e32 v0, v0, v2
	scratch_load_b64 v[1:2], off, s32 offset:340 ; 8-byte Folded Reload
	s_waitcnt vmcnt(0)
	v_add_nc_u32_e32 v1, v0, v1
	s_delay_alu instid0(VALU_DEP_1) | instskip(NEXT) | instid1(VALU_DEP_1)
	v_sub_nc_u32_e32 v2, 0, v1
	v_max_i32_e32 v2, v1, v2
	s_delay_alu instid0(VALU_DEP_1) | instskip(NEXT) | instid1(VALU_DEP_1)
	v_mul_hi_u32 v3, v2, v84
	v_mul_lo_u32 v3, v3, v81
	s_delay_alu instid0(VALU_DEP_1) | instskip(NEXT) | instid1(VALU_DEP_1)
	v_sub_nc_u32_e32 v2, v2, v3
	v_sub_nc_u32_e32 v3, v2, v81
	v_cmp_ge_u32_e32 vcc_lo, v2, v81
	s_delay_alu instid0(VALU_DEP_2) | instskip(SKIP_1) | instid1(VALU_DEP_2)
	v_cndmask_b32_e32 v2, v2, v3, vcc_lo
	v_ashrrev_i32_e32 v1, 31, v1
	v_sub_nc_u32_e32 v3, v2, v81
	v_cmp_ge_u32_e32 vcc_lo, v2, v81
	s_delay_alu instid0(VALU_DEP_2) | instskip(NEXT) | instid1(VALU_DEP_1)
	v_cndmask_b32_e32 v2, v2, v3, vcc_lo
	v_xor_b32_e32 v2, v2, v1
	s_delay_alu instid0(VALU_DEP_1) | instskip(NEXT) | instid1(VALU_DEP_1)
	v_sub_nc_u32_e32 v1, v2, v1
	v_cmp_eq_u32_e32 vcc_lo, 0, v1
	scratch_load_b32 v1, off, s32 offset:360 ; 4-byte Folded Reload
	s_waitcnt vmcnt(0)
	v_cmp_gt_i32_e64 s0, v0, v1
	s_delay_alu instid0(VALU_DEP_1) | instskip(NEXT) | instid1(SALU_CYCLE_1)
	s_or_b32 s0, vcc_lo, s0
	s_and_saveexec_b32 s12, s0
	s_cbranch_execz .LBB264_997
; %bb.999:                              ;   in Loop: Header=BB264_998 Depth=1
	flat_load_b32 v0, v[10:11]
	scratch_load_b32 v1, off, s32 offset:572 ; 4-byte Folded Reload
	v_mov_b32_e32 v14, 0
	s_mov_b32 s0, exec_lo
	s_waitcnt vmcnt(0) lgkmcnt(0)
	v_mad_i64_i32 v[12:13], null, v0, v1, v[8:9]
	flat_load_b32 v86, v[12:13]
	scratch_load_b64 v[0:1], off, s32 offset:640 ; 8-byte Folded Reload
	s_waitcnt vmcnt(1) lgkmcnt(0)
	v_dual_mov_b32 v15, 0 :: v_dual_and_b32 v6, 0xff, v86
	s_waitcnt vmcnt(0)
	flat_load_b32 v85, v[0:1]
	ds_load_b128 v[0:3], v83
	v_dual_mov_b32 v4, v14 :: v_dual_mov_b32 v5, v15
	v_cmpx_ne_u16_e32 0, v6
	s_cbranch_execz .LBB264_1007
; %bb.1000:                             ;   in Loop: Header=BB264_998 Depth=1
	v_bfrev_b32_e32 v4, 1
	v_mov_b32_e32 v5, 0
	s_mov_b32 s10, exec_lo
	v_cmpx_ne_u16_e32 0x80, v6
	s_cbranch_execz .LBB264_1006
; %bb.1001:                             ;   in Loop: Header=BB264_998 Depth=1
	v_mov_b32_e32 v4, 0x7f800001
	v_dual_mov_b32 v5, 0 :: v_dual_and_b32 v16, 0x7f, v86
	s_mov_b32 s13, exec_lo
	s_delay_alu instid0(VALU_DEP_1)
	v_cmpx_ne_u32_e32 0x7f, v16
	s_cbranch_execz .LBB264_1005
; %bb.1002:                             ;   in Loop: Header=BB264_998 Depth=1
	v_and_b32_e32 v6, 7, v86
	v_lshrrev_b32_e32 v4, 3, v16
	s_mov_b32 s15, exec_lo
	v_cmpx_gt_u32_e32 8, v16
; %bb.1003:                             ;   in Loop: Header=BB264_998 Depth=1
	s_delay_alu instid0(VALU_DEP_3) | instskip(NEXT) | instid1(VALU_DEP_1)
	v_clz_i32_u32_e32 v4, v6
	v_min_u32_e32 v4, 32, v4
	s_delay_alu instid0(VALU_DEP_1) | instskip(SKIP_1) | instid1(VALU_DEP_2)
	v_subrev_nc_u32_e32 v5, 28, v4
	v_sub_nc_u32_e32 v4, 29, v4
	v_lshlrev_b64 v[5:6], v5, v[6:7]
	s_delay_alu instid0(VALU_DEP_1)
	v_and_b32_e32 v6, 7, v5
; %bb.1004:                             ;   in Loop: Header=BB264_998 Depth=1
	s_or_b32 exec_lo, exec_lo, s15
	v_lshlrev_b32_e32 v5, 24, v86
	s_delay_alu instid0(VALU_DEP_2) | instskip(SKIP_1) | instid1(VALU_DEP_3)
	v_lshlrev_b32_e32 v6, 20, v6
	v_lshl_add_u32 v4, v4, 23, 0x3c000000
	v_and_b32_e32 v5, 0x80000000, v5
	s_delay_alu instid0(VALU_DEP_1) | instskip(NEXT) | instid1(VALU_DEP_1)
	v_or3_b32 v6, v6, v5, v4
	v_dual_mov_b32 v4, v6 :: v_dual_mov_b32 v5, v7
.LBB264_1005:                           ;   in Loop: Header=BB264_998 Depth=1
	s_or_b32 exec_lo, exec_lo, s13
.LBB264_1006:                           ;   in Loop: Header=BB264_998 Depth=1
	s_delay_alu instid0(SALU_CYCLE_1)
	s_or_b32 exec_lo, exec_lo, s10
.LBB264_1007:                           ;   in Loop: Header=BB264_998 Depth=1
	s_delay_alu instid0(SALU_CYCLE_1) | instskip(SKIP_2) | instid1(VALU_DEP_1)
	s_or_b32 exec_lo, exec_lo, s0
	v_lshrrev_b16 v6, 8, v86
	s_mov_b32 s0, exec_lo
	v_cmpx_ne_u16_e32 0, v6
	s_cbranch_execz .LBB264_1015
; %bb.1008:                             ;   in Loop: Header=BB264_998 Depth=1
	v_dual_mov_b32 v15, s9 :: v_dual_mov_b32 v14, s8
	s_mov_b32 s13, exec_lo
	v_cmpx_ne_u16_e32 0x80, v6
	s_cbranch_execz .LBB264_1014
; %bb.1009:                             ;   in Loop: Header=BB264_998 Depth=1
	s_mov_b32 s10, s8
	v_dual_mov_b32 v15, s11 :: v_dual_and_b32 v6, 0xffff, v6
	v_mov_b32_e32 v14, s10
	s_mov_b32 s10, exec_lo
	s_delay_alu instid0(VALU_DEP_2) | instskip(NEXT) | instid1(VALU_DEP_1)
	v_and_b32_e32 v16, 0x7f, v6
	v_cmpx_ne_u32_e32 0x7f, v16
	s_cbranch_execz .LBB264_1013
; %bb.1010:                             ;   in Loop: Header=BB264_998 Depth=1
	v_and_b32_e32 v6, 7, v6
	v_lshrrev_b32_e32 v14, 3, v16
	s_mov_b32 s15, exec_lo
	v_cmpx_gt_u32_e32 8, v16
; %bb.1011:                             ;   in Loop: Header=BB264_998 Depth=1
	s_delay_alu instid0(VALU_DEP_3) | instskip(NEXT) | instid1(VALU_DEP_1)
	v_clz_i32_u32_e32 v14, v6
	v_min_u32_e32 v14, 32, v14
	s_delay_alu instid0(VALU_DEP_1) | instskip(SKIP_1) | instid1(VALU_DEP_2)
	v_subrev_nc_u32_e32 v15, 28, v14
	v_sub_nc_u32_e32 v14, 29, v14
	v_lshlrev_b64 v[15:16], v15, v[6:7]
	s_delay_alu instid0(VALU_DEP_1)
	v_and_b32_e32 v6, 7, v15
; %bb.1012:                             ;   in Loop: Header=BB264_998 Depth=1
	s_or_b32 exec_lo, exec_lo, s15
	v_lshlrev_b32_e32 v15, 16, v86
	s_delay_alu instid0(VALU_DEP_2) | instskip(SKIP_1) | instid1(VALU_DEP_3)
	v_lshlrev_b32_e32 v6, 20, v6
	v_lshl_add_u32 v14, v14, 23, 0x3c000000
	v_and_b32_e32 v15, 0x80000000, v15
	s_delay_alu instid0(VALU_DEP_1)
	v_or3_b32 v15, v6, v15, v14
	v_mov_b32_e32 v14, v7
.LBB264_1013:                           ;   in Loop: Header=BB264_998 Depth=1
	s_or_b32 exec_lo, exec_lo, s10
.LBB264_1014:                           ;   in Loop: Header=BB264_998 Depth=1
	s_delay_alu instid0(SALU_CYCLE_1)
	s_or_b32 exec_lo, exec_lo, s13
.LBB264_1015:                           ;   in Loop: Header=BB264_998 Depth=1
	s_delay_alu instid0(SALU_CYCLE_1) | instskip(SKIP_4) | instid1(VALU_DEP_2)
	s_or_b32 exec_lo, exec_lo, s0
	v_mov_b32_e32 v18, 0
	v_lshrrev_b32_e32 v87, 16, v86
	v_mov_b32_e32 v19, 0
	s_mov_b32 s0, exec_lo
	v_and_b32_e32 v6, 0xff, v87
	s_delay_alu instid0(VALU_DEP_2) | instskip(NEXT) | instid1(VALU_DEP_2)
	v_dual_mov_b32 v16, v18 :: v_dual_mov_b32 v17, v19
	v_cmpx_ne_u16_e32 0, v6
	s_cbranch_execz .LBB264_1023
; %bb.1016:                             ;   in Loop: Header=BB264_998 Depth=1
	v_bfrev_b32_e32 v16, 1
	v_mov_b32_e32 v17, 0
	s_mov_b32 s10, exec_lo
	v_cmpx_ne_u16_e32 0x80, v6
	s_cbranch_execz .LBB264_1022
; %bb.1017:                             ;   in Loop: Header=BB264_998 Depth=1
	v_mov_b32_e32 v16, 0x7f800001
	v_bfe_u32 v96, v86, 16, 7
	v_mov_b32_e32 v17, 0
	s_mov_b32 s13, exec_lo
	s_delay_alu instid0(VALU_DEP_2)
	v_cmpx_ne_u32_e32 0x7f, v96
	s_cbranch_execz .LBB264_1021
; %bb.1018:                             ;   in Loop: Header=BB264_998 Depth=1
	v_and_b32_e32 v6, 7, v87
	v_lshrrev_b32_e32 v16, 3, v96
	s_mov_b32 s15, exec_lo
	v_cmpx_gt_u32_e32 8, v96
; %bb.1019:                             ;   in Loop: Header=BB264_998 Depth=1
	s_delay_alu instid0(VALU_DEP_3) | instskip(NEXT) | instid1(VALU_DEP_1)
	v_clz_i32_u32_e32 v16, v6
	v_min_u32_e32 v16, 32, v16
	s_delay_alu instid0(VALU_DEP_1) | instskip(SKIP_1) | instid1(VALU_DEP_2)
	v_subrev_nc_u32_e32 v17, 28, v16
	v_sub_nc_u32_e32 v16, 29, v16
	v_lshlrev_b64 v[96:97], v17, v[6:7]
	s_delay_alu instid0(VALU_DEP_1)
	v_and_b32_e32 v6, 7, v96
; %bb.1020:                             ;   in Loop: Header=BB264_998 Depth=1
	s_or_b32 exec_lo, exec_lo, s15
	v_lshlrev_b32_e32 v17, 24, v87
	s_delay_alu instid0(VALU_DEP_2) | instskip(SKIP_1) | instid1(VALU_DEP_3)
	v_lshlrev_b32_e32 v6, 20, v6
	v_lshl_add_u32 v16, v16, 23, 0x3c000000
	v_and_b32_e32 v17, 0x80000000, v17
	s_delay_alu instid0(VALU_DEP_1) | instskip(NEXT) | instid1(VALU_DEP_1)
	v_or3_b32 v6, v6, v17, v16
	v_dual_mov_b32 v17, v7 :: v_dual_mov_b32 v16, v6
.LBB264_1021:                           ;   in Loop: Header=BB264_998 Depth=1
	s_or_b32 exec_lo, exec_lo, s13
.LBB264_1022:                           ;   in Loop: Header=BB264_998 Depth=1
	s_delay_alu instid0(SALU_CYCLE_1)
	s_or_b32 exec_lo, exec_lo, s10
.LBB264_1023:                           ;   in Loop: Header=BB264_998 Depth=1
	s_delay_alu instid0(SALU_CYCLE_1) | instskip(NEXT) | instid1(SALU_CYCLE_1)
	s_or_b32 exec_lo, exec_lo, s0
	s_mov_b32 s0, exec_lo
	v_cmpx_lt_u32_e32 0xffffff, v86
	s_cbranch_execz .LBB264_1031
; %bb.1024:                             ;   in Loop: Header=BB264_998 Depth=1
	v_lshrrev_b32_e32 v87, 24, v86
	v_dual_mov_b32 v19, s9 :: v_dual_mov_b32 v18, s8
	s_mov_b32 s13, exec_lo
	s_delay_alu instid0(VALU_DEP_2)
	v_cmpx_ne_u32_e32 0x80, v87
	s_cbranch_execz .LBB264_1030
; %bb.1025:                             ;   in Loop: Header=BB264_998 Depth=1
	s_mov_b32 s10, s8
	v_bfe_u32 v86, v86, 24, 7
	v_dual_mov_b32 v19, s11 :: v_dual_mov_b32 v18, s10
	s_mov_b32 s10, exec_lo
	s_delay_alu instid0(VALU_DEP_2)
	v_cmpx_ne_u32_e32 0x7f, v86
	s_cbranch_execz .LBB264_1029
; %bb.1026:                             ;   in Loop: Header=BB264_998 Depth=1
	v_and_b32_e32 v6, 7, v87
	v_lshrrev_b32_e32 v18, 3, v86
	s_mov_b32 s15, exec_lo
	v_cmpx_gt_u32_e32 8, v86
; %bb.1027:                             ;   in Loop: Header=BB264_998 Depth=1
	s_delay_alu instid0(VALU_DEP_3) | instskip(NEXT) | instid1(VALU_DEP_1)
	v_clz_i32_u32_e32 v18, v6
	v_min_u32_e32 v18, 32, v18
	s_delay_alu instid0(VALU_DEP_1) | instskip(SKIP_1) | instid1(VALU_DEP_2)
	v_subrev_nc_u32_e32 v19, 28, v18
	v_sub_nc_u32_e32 v18, 29, v18
	v_lshlrev_b64 v[96:97], v19, v[6:7]
	s_delay_alu instid0(VALU_DEP_1)
	v_and_b32_e32 v6, 7, v96
; %bb.1028:                             ;   in Loop: Header=BB264_998 Depth=1
	s_or_b32 exec_lo, exec_lo, s15
	v_lshlrev_b32_e32 v19, 24, v87
	s_delay_alu instid0(VALU_DEP_2) | instskip(SKIP_1) | instid1(VALU_DEP_3)
	v_lshlrev_b32_e32 v6, 20, v6
	v_lshl_add_u32 v18, v18, 23, 0x3c000000
	v_and_b32_e32 v19, 0x80000000, v19
	s_delay_alu instid0(VALU_DEP_1)
	v_or3_b32 v19, v6, v19, v18
	v_mov_b32_e32 v18, v7
.LBB264_1029:                           ;   in Loop: Header=BB264_998 Depth=1
	s_or_b32 exec_lo, exec_lo, s10
.LBB264_1030:                           ;   in Loop: Header=BB264_998 Depth=1
	s_delay_alu instid0(SALU_CYCLE_1)
	s_or_b32 exec_lo, exec_lo, s13
.LBB264_1031:                           ;   in Loop: Header=BB264_998 Depth=1
	s_delay_alu instid0(SALU_CYCLE_1)
	s_or_b32 exec_lo, exec_lo, s0
	v_or_b32_e32 v5, v15, v5
	v_or_b32_e32 v4, v14, v4
	;; [unrolled: 1-line block ×3, first 2 shown]
	scratch_load_b64 v[15:16], off, s32 offset:328 ; 8-byte Folded Reload
	s_waitcnt vmcnt(1) lgkmcnt(1)
	v_dual_mul_f32 v97, v85, v5 :: v_dual_add_nc_u32 v98, v27, v30
	v_or_b32_e32 v6, v19, v17
	v_mul_f32_e32 v96, v85, v4
	v_mul_f32_e32 v87, v85, v14
	s_delay_alu instid0(VALU_DEP_4)
	v_add_nc_u32_e32 v101, 1, v98
	v_add_nc_u32_e32 v100, 2, v98
	v_mul_f32_e32 v86, v85, v6
	v_add_nc_u32_e32 v99, 3, v98
	s_waitcnt vmcnt(0)
	v_cmp_eq_u32_e32 vcc_lo, v82, v15
	s_and_saveexec_b32 s10, vcc_lo
; %bb.1032:                             ;   in Loop: Header=BB264_998 Depth=1
	v_cmp_lt_i32_e64 s0, v98, v22
	s_delay_alu instid0(VALU_DEP_1) | instskip(SKIP_1) | instid1(VALU_DEP_1)
	v_cndmask_b32_e64 v96, 0, v96, s0
	v_cmp_lt_i32_e64 s0, v101, v22
	v_cndmask_b32_e64 v97, 0, v97, s0
	v_cmp_lt_i32_e64 s0, v100, v22
	s_delay_alu instid0(VALU_DEP_1) | instskip(SKIP_1) | instid1(VALU_DEP_1)
	v_cndmask_b32_e64 v87, 0, v87, s0
	v_cmp_lt_i32_e64 s0, v99, v22
	v_cndmask_b32_e64 v86, 0, v86, s0
; %bb.1033:                             ;   in Loop: Header=BB264_998 Depth=1
	s_or_b32 exec_lo, exec_lo, s10
	flat_load_b32 v102, v[12:13] offset:128
	v_mov_b32_e32 v14, 0
	v_mov_b32_e32 v15, 0
	s_mov_b32 s10, exec_lo
	s_waitcnt vmcnt(0) lgkmcnt(0)
	v_and_b32_e32 v6, 0xff, v102
	s_delay_alu instid0(VALU_DEP_2) | instskip(NEXT) | instid1(VALU_DEP_2)
	v_dual_mov_b32 v4, v14 :: v_dual_mov_b32 v5, v15
	v_cmpx_ne_u16_e32 0, v6
	s_cbranch_execz .LBB264_1041
; %bb.1034:                             ;   in Loop: Header=BB264_998 Depth=1
	v_bfrev_b32_e32 v4, 1
	v_mov_b32_e32 v5, 0
	s_mov_b32 s13, exec_lo
	v_cmpx_ne_u16_e32 0x80, v6
	s_cbranch_execz .LBB264_1040
; %bb.1035:                             ;   in Loop: Header=BB264_998 Depth=1
	v_mov_b32_e32 v4, 0x7f800001
	v_dual_mov_b32 v5, 0 :: v_dual_and_b32 v16, 0x7f, v102
	s_mov_b32 s15, exec_lo
	s_delay_alu instid0(VALU_DEP_1)
	v_cmpx_ne_u32_e32 0x7f, v16
	s_cbranch_execz .LBB264_1039
; %bb.1036:                             ;   in Loop: Header=BB264_998 Depth=1
	v_and_b32_e32 v6, 7, v102
	v_lshrrev_b32_e32 v4, 3, v16
	s_mov_b32 s16, exec_lo
	v_cmpx_gt_u32_e32 8, v16
; %bb.1037:                             ;   in Loop: Header=BB264_998 Depth=1
	s_delay_alu instid0(VALU_DEP_3) | instskip(NEXT) | instid1(VALU_DEP_1)
	v_clz_i32_u32_e32 v4, v6
	v_min_u32_e32 v4, 32, v4
	s_delay_alu instid0(VALU_DEP_1) | instskip(SKIP_1) | instid1(VALU_DEP_2)
	v_subrev_nc_u32_e32 v5, 28, v4
	v_sub_nc_u32_e32 v4, 29, v4
	v_lshlrev_b64 v[5:6], v5, v[6:7]
	s_delay_alu instid0(VALU_DEP_1)
	v_and_b32_e32 v6, 7, v5
; %bb.1038:                             ;   in Loop: Header=BB264_998 Depth=1
	s_or_b32 exec_lo, exec_lo, s16
	v_lshlrev_b32_e32 v5, 24, v102
	s_delay_alu instid0(VALU_DEP_2) | instskip(SKIP_1) | instid1(VALU_DEP_3)
	v_lshlrev_b32_e32 v6, 20, v6
	v_lshl_add_u32 v4, v4, 23, 0x3c000000
	v_and_b32_e32 v5, 0x80000000, v5
	s_delay_alu instid0(VALU_DEP_1) | instskip(NEXT) | instid1(VALU_DEP_1)
	v_or3_b32 v6, v6, v5, v4
	v_dual_mov_b32 v4, v6 :: v_dual_mov_b32 v5, v7
.LBB264_1039:                           ;   in Loop: Header=BB264_998 Depth=1
	s_or_b32 exec_lo, exec_lo, s15
.LBB264_1040:                           ;   in Loop: Header=BB264_998 Depth=1
	s_delay_alu instid0(SALU_CYCLE_1)
	s_or_b32 exec_lo, exec_lo, s13
.LBB264_1041:                           ;   in Loop: Header=BB264_998 Depth=1
	s_delay_alu instid0(SALU_CYCLE_1) | instskip(SKIP_2) | instid1(VALU_DEP_1)
	s_or_b32 exec_lo, exec_lo, s10
	v_lshrrev_b16 v6, 8, v102
	s_mov_b32 s13, exec_lo
	v_cmpx_ne_u16_e32 0, v6
	s_cbranch_execz .LBB264_1049
; %bb.1042:                             ;   in Loop: Header=BB264_998 Depth=1
	v_dual_mov_b32 v15, s9 :: v_dual_mov_b32 v14, s8
	s_mov_b32 s15, exec_lo
	v_cmpx_ne_u16_e32 0x80, v6
	s_cbranch_execz .LBB264_1048
; %bb.1043:                             ;   in Loop: Header=BB264_998 Depth=1
	s_mov_b32 s10, s8
	v_dual_mov_b32 v15, s11 :: v_dual_and_b32 v6, 0xffff, v6
	v_mov_b32_e32 v14, s10
	s_mov_b32 s10, exec_lo
	s_delay_alu instid0(VALU_DEP_2) | instskip(NEXT) | instid1(VALU_DEP_1)
	v_and_b32_e32 v16, 0x7f, v6
	v_cmpx_ne_u32_e32 0x7f, v16
	s_cbranch_execz .LBB264_1047
; %bb.1044:                             ;   in Loop: Header=BB264_998 Depth=1
	v_and_b32_e32 v6, 7, v6
	v_lshrrev_b32_e32 v14, 3, v16
	s_mov_b32 s16, exec_lo
	v_cmpx_gt_u32_e32 8, v16
; %bb.1045:                             ;   in Loop: Header=BB264_998 Depth=1
	s_delay_alu instid0(VALU_DEP_3) | instskip(NEXT) | instid1(VALU_DEP_1)
	v_clz_i32_u32_e32 v14, v6
	v_min_u32_e32 v14, 32, v14
	s_delay_alu instid0(VALU_DEP_1) | instskip(SKIP_1) | instid1(VALU_DEP_2)
	v_subrev_nc_u32_e32 v15, 28, v14
	v_sub_nc_u32_e32 v14, 29, v14
	v_lshlrev_b64 v[15:16], v15, v[6:7]
	s_delay_alu instid0(VALU_DEP_1)
	v_and_b32_e32 v6, 7, v15
; %bb.1046:                             ;   in Loop: Header=BB264_998 Depth=1
	s_or_b32 exec_lo, exec_lo, s16
	v_lshlrev_b32_e32 v15, 16, v102
	s_delay_alu instid0(VALU_DEP_2) | instskip(SKIP_1) | instid1(VALU_DEP_3)
	v_lshlrev_b32_e32 v6, 20, v6
	v_lshl_add_u32 v14, v14, 23, 0x3c000000
	v_and_b32_e32 v15, 0x80000000, v15
	s_delay_alu instid0(VALU_DEP_1)
	v_or3_b32 v15, v6, v15, v14
	v_mov_b32_e32 v14, v7
.LBB264_1047:                           ;   in Loop: Header=BB264_998 Depth=1
	s_or_b32 exec_lo, exec_lo, s10
.LBB264_1048:                           ;   in Loop: Header=BB264_998 Depth=1
	s_delay_alu instid0(SALU_CYCLE_1)
	s_or_b32 exec_lo, exec_lo, s15
.LBB264_1049:                           ;   in Loop: Header=BB264_998 Depth=1
	s_delay_alu instid0(SALU_CYCLE_1) | instskip(SKIP_4) | instid1(VALU_DEP_2)
	s_or_b32 exec_lo, exec_lo, s13
	v_mov_b32_e32 v18, 0
	v_lshrrev_b32_e32 v103, 16, v102
	v_mov_b32_e32 v19, 0
	s_mov_b32 s10, exec_lo
	v_and_b32_e32 v6, 0xff, v103
	s_delay_alu instid0(VALU_DEP_2) | instskip(NEXT) | instid1(VALU_DEP_2)
	v_dual_mov_b32 v16, v18 :: v_dual_mov_b32 v17, v19
	v_cmpx_ne_u16_e32 0, v6
	s_cbranch_execz .LBB264_1057
; %bb.1050:                             ;   in Loop: Header=BB264_998 Depth=1
	v_bfrev_b32_e32 v16, 1
	v_mov_b32_e32 v17, 0
	s_mov_b32 s13, exec_lo
	v_cmpx_ne_u16_e32 0x80, v6
	s_cbranch_execz .LBB264_1056
; %bb.1051:                             ;   in Loop: Header=BB264_998 Depth=1
	v_mov_b32_e32 v16, 0x7f800001
	v_bfe_u32 v112, v102, 16, 7
	v_mov_b32_e32 v17, 0
	s_mov_b32 s15, exec_lo
	s_delay_alu instid0(VALU_DEP_2)
	v_cmpx_ne_u32_e32 0x7f, v112
	s_cbranch_execz .LBB264_1055
; %bb.1052:                             ;   in Loop: Header=BB264_998 Depth=1
	v_and_b32_e32 v6, 7, v103
	v_lshrrev_b32_e32 v16, 3, v112
	s_mov_b32 s16, exec_lo
	v_cmpx_gt_u32_e32 8, v112
; %bb.1053:                             ;   in Loop: Header=BB264_998 Depth=1
	s_delay_alu instid0(VALU_DEP_3) | instskip(NEXT) | instid1(VALU_DEP_1)
	v_clz_i32_u32_e32 v16, v6
	v_min_u32_e32 v16, 32, v16
	s_delay_alu instid0(VALU_DEP_1) | instskip(SKIP_1) | instid1(VALU_DEP_2)
	v_subrev_nc_u32_e32 v17, 28, v16
	v_sub_nc_u32_e32 v16, 29, v16
	v_lshlrev_b64 v[112:113], v17, v[6:7]
	s_delay_alu instid0(VALU_DEP_1)
	v_and_b32_e32 v6, 7, v112
; %bb.1054:                             ;   in Loop: Header=BB264_998 Depth=1
	s_or_b32 exec_lo, exec_lo, s16
	v_lshlrev_b32_e32 v17, 24, v103
	s_delay_alu instid0(VALU_DEP_2) | instskip(SKIP_1) | instid1(VALU_DEP_3)
	v_lshlrev_b32_e32 v6, 20, v6
	v_lshl_add_u32 v16, v16, 23, 0x3c000000
	v_and_b32_e32 v17, 0x80000000, v17
	s_delay_alu instid0(VALU_DEP_1) | instskip(NEXT) | instid1(VALU_DEP_1)
	v_or3_b32 v6, v6, v17, v16
	v_dual_mov_b32 v17, v7 :: v_dual_mov_b32 v16, v6
.LBB264_1055:                           ;   in Loop: Header=BB264_998 Depth=1
	s_or_b32 exec_lo, exec_lo, s15
.LBB264_1056:                           ;   in Loop: Header=BB264_998 Depth=1
	s_delay_alu instid0(SALU_CYCLE_1)
	s_or_b32 exec_lo, exec_lo, s13
.LBB264_1057:                           ;   in Loop: Header=BB264_998 Depth=1
	s_delay_alu instid0(SALU_CYCLE_1) | instskip(NEXT) | instid1(SALU_CYCLE_1)
	s_or_b32 exec_lo, exec_lo, s10
	s_mov_b32 s13, exec_lo
	v_cmpx_lt_u32_e32 0xffffff, v102
	s_cbranch_execz .LBB264_1065
; %bb.1058:                             ;   in Loop: Header=BB264_998 Depth=1
	v_lshrrev_b32_e32 v103, 24, v102
	v_dual_mov_b32 v19, s9 :: v_dual_mov_b32 v18, s8
	s_mov_b32 s15, exec_lo
	s_delay_alu instid0(VALU_DEP_2)
	v_cmpx_ne_u32_e32 0x80, v103
	s_cbranch_execz .LBB264_1064
; %bb.1059:                             ;   in Loop: Header=BB264_998 Depth=1
	s_mov_b32 s10, s8
	v_bfe_u32 v102, v102, 24, 7
	v_dual_mov_b32 v19, s11 :: v_dual_mov_b32 v18, s10
	s_mov_b32 s10, exec_lo
	s_delay_alu instid0(VALU_DEP_2)
	v_cmpx_ne_u32_e32 0x7f, v102
	s_cbranch_execz .LBB264_1063
; %bb.1060:                             ;   in Loop: Header=BB264_998 Depth=1
	v_and_b32_e32 v6, 7, v103
	v_lshrrev_b32_e32 v18, 3, v102
	s_mov_b32 s16, exec_lo
	v_cmpx_gt_u32_e32 8, v102
; %bb.1061:                             ;   in Loop: Header=BB264_998 Depth=1
	s_delay_alu instid0(VALU_DEP_3) | instskip(NEXT) | instid1(VALU_DEP_1)
	v_clz_i32_u32_e32 v18, v6
	v_min_u32_e32 v18, 32, v18
	s_delay_alu instid0(VALU_DEP_1) | instskip(SKIP_1) | instid1(VALU_DEP_2)
	v_subrev_nc_u32_e32 v19, 28, v18
	v_sub_nc_u32_e32 v18, 29, v18
	v_lshlrev_b64 v[112:113], v19, v[6:7]
	s_delay_alu instid0(VALU_DEP_1)
	v_and_b32_e32 v6, 7, v112
; %bb.1062:                             ;   in Loop: Header=BB264_998 Depth=1
	s_or_b32 exec_lo, exec_lo, s16
	v_lshlrev_b32_e32 v19, 24, v103
	s_delay_alu instid0(VALU_DEP_2) | instskip(SKIP_1) | instid1(VALU_DEP_3)
	v_lshlrev_b32_e32 v6, 20, v6
	v_lshl_add_u32 v18, v18, 23, 0x3c000000
	v_and_b32_e32 v19, 0x80000000, v19
	s_delay_alu instid0(VALU_DEP_1)
	v_or3_b32 v19, v6, v19, v18
	v_mov_b32_e32 v18, v7
.LBB264_1063:                           ;   in Loop: Header=BB264_998 Depth=1
	s_or_b32 exec_lo, exec_lo, s10
.LBB264_1064:                           ;   in Loop: Header=BB264_998 Depth=1
	s_delay_alu instid0(SALU_CYCLE_1)
	s_or_b32 exec_lo, exec_lo, s15
.LBB264_1065:                           ;   in Loop: Header=BB264_998 Depth=1
	s_delay_alu instid0(SALU_CYCLE_1) | instskip(SKIP_4) | instid1(VALU_DEP_4)
	s_or_b32 exec_lo, exec_lo, s13
	v_or_b32_e32 v5, v15, v5
	v_or_b32_e32 v4, v14, v4
	;; [unrolled: 1-line block ×4, first 2 shown]
	v_mul_f32_e32 v113, v85, v5
	s_delay_alu instid0(VALU_DEP_4) | instskip(NEXT) | instid1(VALU_DEP_4)
	v_mul_f32_e32 v112, v85, v4
	v_mul_f32_e32 v102, v85, v6
	s_delay_alu instid0(VALU_DEP_4)
	v_mul_f32_e32 v103, v85, v14
	s_and_saveexec_b32 s10, vcc_lo
; %bb.1066:                             ;   in Loop: Header=BB264_998 Depth=1
	v_cmp_lt_i32_e64 s0, v98, v22
	s_delay_alu instid0(VALU_DEP_1) | instskip(SKIP_1) | instid1(VALU_DEP_1)
	v_cndmask_b32_e64 v112, 0, v112, s0
	v_cmp_lt_i32_e64 s0, v101, v22
	v_cndmask_b32_e64 v113, 0, v113, s0
	v_cmp_lt_i32_e64 s0, v100, v22
	s_delay_alu instid0(VALU_DEP_1) | instskip(SKIP_1) | instid1(VALU_DEP_1)
	v_cndmask_b32_e64 v103, 0, v103, s0
	v_cmp_lt_i32_e64 s0, v99, v22
	v_cndmask_b32_e64 v102, 0, v102, s0
; %bb.1067:                             ;   in Loop: Header=BB264_998 Depth=1
	s_or_b32 exec_lo, exec_lo, s10
	flat_load_b32 v114, v[12:13] offset:256
	v_mov_b32_e32 v14, 0
	v_mov_b32_e32 v15, 0
	s_mov_b32 s10, exec_lo
	s_waitcnt vmcnt(0) lgkmcnt(0)
	v_and_b32_e32 v6, 0xff, v114
	s_delay_alu instid0(VALU_DEP_2) | instskip(NEXT) | instid1(VALU_DEP_2)
	v_dual_mov_b32 v4, v14 :: v_dual_mov_b32 v5, v15
	v_cmpx_ne_u16_e32 0, v6
	s_cbranch_execz .LBB264_1075
; %bb.1068:                             ;   in Loop: Header=BB264_998 Depth=1
	v_bfrev_b32_e32 v4, 1
	v_mov_b32_e32 v5, 0
	s_mov_b32 s13, exec_lo
	v_cmpx_ne_u16_e32 0x80, v6
	s_cbranch_execz .LBB264_1074
; %bb.1069:                             ;   in Loop: Header=BB264_998 Depth=1
	v_mov_b32_e32 v4, 0x7f800001
	v_dual_mov_b32 v5, 0 :: v_dual_and_b32 v16, 0x7f, v114
	s_mov_b32 s15, exec_lo
	s_delay_alu instid0(VALU_DEP_1)
	v_cmpx_ne_u32_e32 0x7f, v16
	s_cbranch_execz .LBB264_1073
; %bb.1070:                             ;   in Loop: Header=BB264_998 Depth=1
	v_and_b32_e32 v6, 7, v114
	v_lshrrev_b32_e32 v4, 3, v16
	s_mov_b32 s16, exec_lo
	v_cmpx_gt_u32_e32 8, v16
; %bb.1071:                             ;   in Loop: Header=BB264_998 Depth=1
	s_delay_alu instid0(VALU_DEP_3) | instskip(NEXT) | instid1(VALU_DEP_1)
	v_clz_i32_u32_e32 v4, v6
	v_min_u32_e32 v4, 32, v4
	s_delay_alu instid0(VALU_DEP_1) | instskip(SKIP_1) | instid1(VALU_DEP_2)
	v_subrev_nc_u32_e32 v5, 28, v4
	v_sub_nc_u32_e32 v4, 29, v4
	v_lshlrev_b64 v[5:6], v5, v[6:7]
	s_delay_alu instid0(VALU_DEP_1)
	v_and_b32_e32 v6, 7, v5
; %bb.1072:                             ;   in Loop: Header=BB264_998 Depth=1
	s_or_b32 exec_lo, exec_lo, s16
	v_lshlrev_b32_e32 v5, 24, v114
	s_delay_alu instid0(VALU_DEP_2) | instskip(SKIP_1) | instid1(VALU_DEP_3)
	v_lshlrev_b32_e32 v6, 20, v6
	v_lshl_add_u32 v4, v4, 23, 0x3c000000
	v_and_b32_e32 v5, 0x80000000, v5
	s_delay_alu instid0(VALU_DEP_1) | instskip(NEXT) | instid1(VALU_DEP_1)
	v_or3_b32 v6, v6, v5, v4
	v_dual_mov_b32 v4, v6 :: v_dual_mov_b32 v5, v7
.LBB264_1073:                           ;   in Loop: Header=BB264_998 Depth=1
	s_or_b32 exec_lo, exec_lo, s15
.LBB264_1074:                           ;   in Loop: Header=BB264_998 Depth=1
	s_delay_alu instid0(SALU_CYCLE_1)
	s_or_b32 exec_lo, exec_lo, s13
.LBB264_1075:                           ;   in Loop: Header=BB264_998 Depth=1
	s_delay_alu instid0(SALU_CYCLE_1) | instskip(SKIP_2) | instid1(VALU_DEP_1)
	s_or_b32 exec_lo, exec_lo, s10
	v_lshrrev_b16 v6, 8, v114
	s_mov_b32 s13, exec_lo
	v_cmpx_ne_u16_e32 0, v6
	s_cbranch_execz .LBB264_1083
; %bb.1076:                             ;   in Loop: Header=BB264_998 Depth=1
	v_dual_mov_b32 v15, s9 :: v_dual_mov_b32 v14, s8
	s_mov_b32 s15, exec_lo
	v_cmpx_ne_u16_e32 0x80, v6
	s_cbranch_execz .LBB264_1082
; %bb.1077:                             ;   in Loop: Header=BB264_998 Depth=1
	s_mov_b32 s10, s8
	v_dual_mov_b32 v15, s11 :: v_dual_and_b32 v6, 0xffff, v6
	v_mov_b32_e32 v14, s10
	s_mov_b32 s10, exec_lo
	s_delay_alu instid0(VALU_DEP_2) | instskip(NEXT) | instid1(VALU_DEP_1)
	v_and_b32_e32 v16, 0x7f, v6
	v_cmpx_ne_u32_e32 0x7f, v16
	s_cbranch_execz .LBB264_1081
; %bb.1078:                             ;   in Loop: Header=BB264_998 Depth=1
	v_and_b32_e32 v6, 7, v6
	v_lshrrev_b32_e32 v14, 3, v16
	s_mov_b32 s16, exec_lo
	v_cmpx_gt_u32_e32 8, v16
; %bb.1079:                             ;   in Loop: Header=BB264_998 Depth=1
	s_delay_alu instid0(VALU_DEP_3) | instskip(NEXT) | instid1(VALU_DEP_1)
	v_clz_i32_u32_e32 v14, v6
	v_min_u32_e32 v14, 32, v14
	s_delay_alu instid0(VALU_DEP_1) | instskip(SKIP_1) | instid1(VALU_DEP_2)
	v_subrev_nc_u32_e32 v15, 28, v14
	v_sub_nc_u32_e32 v14, 29, v14
	v_lshlrev_b64 v[15:16], v15, v[6:7]
	s_delay_alu instid0(VALU_DEP_1)
	v_and_b32_e32 v6, 7, v15
; %bb.1080:                             ;   in Loop: Header=BB264_998 Depth=1
	s_or_b32 exec_lo, exec_lo, s16
	v_lshlrev_b32_e32 v15, 16, v114
	s_delay_alu instid0(VALU_DEP_2) | instskip(SKIP_1) | instid1(VALU_DEP_3)
	v_lshlrev_b32_e32 v6, 20, v6
	v_lshl_add_u32 v14, v14, 23, 0x3c000000
	v_and_b32_e32 v15, 0x80000000, v15
	s_delay_alu instid0(VALU_DEP_1)
	v_or3_b32 v15, v6, v15, v14
	v_mov_b32_e32 v14, v7
.LBB264_1081:                           ;   in Loop: Header=BB264_998 Depth=1
	s_or_b32 exec_lo, exec_lo, s10
.LBB264_1082:                           ;   in Loop: Header=BB264_998 Depth=1
	s_delay_alu instid0(SALU_CYCLE_1)
	s_or_b32 exec_lo, exec_lo, s15
.LBB264_1083:                           ;   in Loop: Header=BB264_998 Depth=1
	s_delay_alu instid0(SALU_CYCLE_1) | instskip(SKIP_4) | instid1(VALU_DEP_2)
	s_or_b32 exec_lo, exec_lo, s13
	v_mov_b32_e32 v18, 0
	v_lshrrev_b32_e32 v115, 16, v114
	v_mov_b32_e32 v19, 0
	s_mov_b32 s10, exec_lo
	v_and_b32_e32 v6, 0xff, v115
	s_delay_alu instid0(VALU_DEP_2) | instskip(NEXT) | instid1(VALU_DEP_2)
	v_dual_mov_b32 v16, v18 :: v_dual_mov_b32 v17, v19
	v_cmpx_ne_u16_e32 0, v6
	s_cbranch_execz .LBB264_1091
; %bb.1084:                             ;   in Loop: Header=BB264_998 Depth=1
	v_bfrev_b32_e32 v16, 1
	v_mov_b32_e32 v17, 0
	s_mov_b32 s13, exec_lo
	v_cmpx_ne_u16_e32 0x80, v6
	s_cbranch_execz .LBB264_1090
; %bb.1085:                             ;   in Loop: Header=BB264_998 Depth=1
	v_mov_b32_e32 v16, 0x7f800001
	v_bfe_u32 v116, v114, 16, 7
	v_mov_b32_e32 v17, 0
	s_mov_b32 s15, exec_lo
	s_delay_alu instid0(VALU_DEP_2)
	v_cmpx_ne_u32_e32 0x7f, v116
	s_cbranch_execz .LBB264_1089
; %bb.1086:                             ;   in Loop: Header=BB264_998 Depth=1
	v_and_b32_e32 v6, 7, v115
	v_lshrrev_b32_e32 v16, 3, v116
	s_mov_b32 s16, exec_lo
	v_cmpx_gt_u32_e32 8, v116
; %bb.1087:                             ;   in Loop: Header=BB264_998 Depth=1
	s_delay_alu instid0(VALU_DEP_3) | instskip(NEXT) | instid1(VALU_DEP_1)
	v_clz_i32_u32_e32 v16, v6
	v_min_u32_e32 v16, 32, v16
	s_delay_alu instid0(VALU_DEP_1) | instskip(SKIP_1) | instid1(VALU_DEP_2)
	v_subrev_nc_u32_e32 v17, 28, v16
	v_sub_nc_u32_e32 v16, 29, v16
	v_lshlrev_b64 v[116:117], v17, v[6:7]
	s_delay_alu instid0(VALU_DEP_1)
	v_and_b32_e32 v6, 7, v116
; %bb.1088:                             ;   in Loop: Header=BB264_998 Depth=1
	s_or_b32 exec_lo, exec_lo, s16
	v_lshlrev_b32_e32 v17, 24, v115
	s_delay_alu instid0(VALU_DEP_2) | instskip(SKIP_1) | instid1(VALU_DEP_3)
	v_lshlrev_b32_e32 v6, 20, v6
	v_lshl_add_u32 v16, v16, 23, 0x3c000000
	v_and_b32_e32 v17, 0x80000000, v17
	s_delay_alu instid0(VALU_DEP_1) | instskip(NEXT) | instid1(VALU_DEP_1)
	v_or3_b32 v6, v6, v17, v16
	v_dual_mov_b32 v17, v7 :: v_dual_mov_b32 v16, v6
.LBB264_1089:                           ;   in Loop: Header=BB264_998 Depth=1
	s_or_b32 exec_lo, exec_lo, s15
.LBB264_1090:                           ;   in Loop: Header=BB264_998 Depth=1
	s_delay_alu instid0(SALU_CYCLE_1)
	s_or_b32 exec_lo, exec_lo, s13
.LBB264_1091:                           ;   in Loop: Header=BB264_998 Depth=1
	s_delay_alu instid0(SALU_CYCLE_1) | instskip(NEXT) | instid1(SALU_CYCLE_1)
	s_or_b32 exec_lo, exec_lo, s10
	s_mov_b32 s13, exec_lo
	v_cmpx_lt_u32_e32 0xffffff, v114
	s_cbranch_execz .LBB264_1099
; %bb.1092:                             ;   in Loop: Header=BB264_998 Depth=1
	v_lshrrev_b32_e32 v115, 24, v114
	v_dual_mov_b32 v19, s9 :: v_dual_mov_b32 v18, s8
	s_mov_b32 s15, exec_lo
	s_delay_alu instid0(VALU_DEP_2)
	v_cmpx_ne_u32_e32 0x80, v115
	s_cbranch_execz .LBB264_1098
; %bb.1093:                             ;   in Loop: Header=BB264_998 Depth=1
	s_mov_b32 s10, s8
	v_bfe_u32 v114, v114, 24, 7
	v_dual_mov_b32 v19, s11 :: v_dual_mov_b32 v18, s10
	s_mov_b32 s10, exec_lo
	s_delay_alu instid0(VALU_DEP_2)
	v_cmpx_ne_u32_e32 0x7f, v114
	s_cbranch_execz .LBB264_1097
; %bb.1094:                             ;   in Loop: Header=BB264_998 Depth=1
	v_and_b32_e32 v6, 7, v115
	v_lshrrev_b32_e32 v18, 3, v114
	s_mov_b32 s16, exec_lo
	v_cmpx_gt_u32_e32 8, v114
; %bb.1095:                             ;   in Loop: Header=BB264_998 Depth=1
	s_delay_alu instid0(VALU_DEP_3) | instskip(NEXT) | instid1(VALU_DEP_1)
	v_clz_i32_u32_e32 v18, v6
	v_min_u32_e32 v18, 32, v18
	s_delay_alu instid0(VALU_DEP_1) | instskip(SKIP_1) | instid1(VALU_DEP_2)
	v_subrev_nc_u32_e32 v19, 28, v18
	v_sub_nc_u32_e32 v18, 29, v18
	v_lshlrev_b64 v[116:117], v19, v[6:7]
	s_delay_alu instid0(VALU_DEP_1)
	v_and_b32_e32 v6, 7, v116
; %bb.1096:                             ;   in Loop: Header=BB264_998 Depth=1
	s_or_b32 exec_lo, exec_lo, s16
	v_lshlrev_b32_e32 v19, 24, v115
	s_delay_alu instid0(VALU_DEP_2) | instskip(SKIP_1) | instid1(VALU_DEP_3)
	v_lshlrev_b32_e32 v6, 20, v6
	v_lshl_add_u32 v18, v18, 23, 0x3c000000
	v_and_b32_e32 v19, 0x80000000, v19
	s_delay_alu instid0(VALU_DEP_1)
	v_or3_b32 v19, v6, v19, v18
	v_mov_b32_e32 v18, v7
.LBB264_1097:                           ;   in Loop: Header=BB264_998 Depth=1
	s_or_b32 exec_lo, exec_lo, s10
.LBB264_1098:                           ;   in Loop: Header=BB264_998 Depth=1
	s_delay_alu instid0(SALU_CYCLE_1)
	s_or_b32 exec_lo, exec_lo, s15
.LBB264_1099:                           ;   in Loop: Header=BB264_998 Depth=1
	s_delay_alu instid0(SALU_CYCLE_1) | instskip(SKIP_4) | instid1(VALU_DEP_4)
	s_or_b32 exec_lo, exec_lo, s13
	v_or_b32_e32 v5, v15, v5
	v_or_b32_e32 v4, v14, v4
	v_or_b32_e32 v6, v19, v17
	v_or_b32_e32 v14, v18, v16
	v_mul_f32_e32 v117, v85, v5
	s_delay_alu instid0(VALU_DEP_4) | instskip(NEXT) | instid1(VALU_DEP_4)
	v_mul_f32_e32 v116, v85, v4
	v_mul_f32_e32 v114, v85, v6
	s_delay_alu instid0(VALU_DEP_4)
	v_mul_f32_e32 v115, v85, v14
	s_and_saveexec_b32 s10, vcc_lo
; %bb.1100:                             ;   in Loop: Header=BB264_998 Depth=1
	v_cmp_lt_i32_e64 s0, v98, v22
	s_delay_alu instid0(VALU_DEP_1) | instskip(SKIP_1) | instid1(VALU_DEP_1)
	v_cndmask_b32_e64 v116, 0, v116, s0
	v_cmp_lt_i32_e64 s0, v101, v22
	v_cndmask_b32_e64 v117, 0, v117, s0
	v_cmp_lt_i32_e64 s0, v100, v22
	s_delay_alu instid0(VALU_DEP_1) | instskip(SKIP_1) | instid1(VALU_DEP_1)
	v_cndmask_b32_e64 v115, 0, v115, s0
	v_cmp_lt_i32_e64 s0, v99, v22
	v_cndmask_b32_e64 v114, 0, v114, s0
; %bb.1101:                             ;   in Loop: Header=BB264_998 Depth=1
	s_or_b32 exec_lo, exec_lo, s10
	flat_load_b32 v118, v[12:13] offset:384
	v_mov_b32_e32 v14, 0
	v_mov_b32_e32 v15, 0
	s_mov_b32 s10, exec_lo
	s_waitcnt vmcnt(0) lgkmcnt(0)
	v_and_b32_e32 v6, 0xff, v118
	s_delay_alu instid0(VALU_DEP_2) | instskip(NEXT) | instid1(VALU_DEP_2)
	v_dual_mov_b32 v4, v14 :: v_dual_mov_b32 v5, v15
	v_cmpx_ne_u16_e32 0, v6
	s_cbranch_execz .LBB264_1109
; %bb.1102:                             ;   in Loop: Header=BB264_998 Depth=1
	v_bfrev_b32_e32 v4, 1
	v_mov_b32_e32 v5, 0
	s_mov_b32 s13, exec_lo
	v_cmpx_ne_u16_e32 0x80, v6
	s_cbranch_execz .LBB264_1108
; %bb.1103:                             ;   in Loop: Header=BB264_998 Depth=1
	v_mov_b32_e32 v4, 0x7f800001
	v_dual_mov_b32 v5, 0 :: v_dual_and_b32 v16, 0x7f, v118
	s_mov_b32 s15, exec_lo
	s_delay_alu instid0(VALU_DEP_1)
	v_cmpx_ne_u32_e32 0x7f, v16
	s_cbranch_execz .LBB264_1107
; %bb.1104:                             ;   in Loop: Header=BB264_998 Depth=1
	v_and_b32_e32 v6, 7, v118
	v_lshrrev_b32_e32 v4, 3, v16
	s_mov_b32 s16, exec_lo
	v_cmpx_gt_u32_e32 8, v16
; %bb.1105:                             ;   in Loop: Header=BB264_998 Depth=1
	s_delay_alu instid0(VALU_DEP_3) | instskip(NEXT) | instid1(VALU_DEP_1)
	v_clz_i32_u32_e32 v4, v6
	v_min_u32_e32 v4, 32, v4
	s_delay_alu instid0(VALU_DEP_1) | instskip(SKIP_1) | instid1(VALU_DEP_2)
	v_subrev_nc_u32_e32 v5, 28, v4
	v_sub_nc_u32_e32 v4, 29, v4
	v_lshlrev_b64 v[5:6], v5, v[6:7]
	s_delay_alu instid0(VALU_DEP_1)
	v_and_b32_e32 v6, 7, v5
; %bb.1106:                             ;   in Loop: Header=BB264_998 Depth=1
	s_or_b32 exec_lo, exec_lo, s16
	v_lshlrev_b32_e32 v5, 24, v118
	s_delay_alu instid0(VALU_DEP_2) | instskip(SKIP_1) | instid1(VALU_DEP_3)
	v_lshlrev_b32_e32 v6, 20, v6
	v_lshl_add_u32 v4, v4, 23, 0x3c000000
	v_and_b32_e32 v5, 0x80000000, v5
	s_delay_alu instid0(VALU_DEP_1) | instskip(NEXT) | instid1(VALU_DEP_1)
	v_or3_b32 v6, v6, v5, v4
	v_dual_mov_b32 v4, v6 :: v_dual_mov_b32 v5, v7
.LBB264_1107:                           ;   in Loop: Header=BB264_998 Depth=1
	s_or_b32 exec_lo, exec_lo, s15
.LBB264_1108:                           ;   in Loop: Header=BB264_998 Depth=1
	s_delay_alu instid0(SALU_CYCLE_1)
	s_or_b32 exec_lo, exec_lo, s13
.LBB264_1109:                           ;   in Loop: Header=BB264_998 Depth=1
	s_delay_alu instid0(SALU_CYCLE_1) | instskip(SKIP_2) | instid1(VALU_DEP_1)
	s_or_b32 exec_lo, exec_lo, s10
	v_lshrrev_b16 v6, 8, v118
	s_mov_b32 s13, exec_lo
	v_cmpx_ne_u16_e32 0, v6
	s_cbranch_execz .LBB264_1117
; %bb.1110:                             ;   in Loop: Header=BB264_998 Depth=1
	v_dual_mov_b32 v15, s9 :: v_dual_mov_b32 v14, s8
	s_mov_b32 s15, exec_lo
	v_cmpx_ne_u16_e32 0x80, v6
	s_cbranch_execz .LBB264_1116
; %bb.1111:                             ;   in Loop: Header=BB264_998 Depth=1
	s_mov_b32 s10, s8
	v_dual_mov_b32 v15, s11 :: v_dual_and_b32 v6, 0xffff, v6
	v_mov_b32_e32 v14, s10
	s_mov_b32 s10, exec_lo
	s_delay_alu instid0(VALU_DEP_2) | instskip(NEXT) | instid1(VALU_DEP_1)
	v_and_b32_e32 v16, 0x7f, v6
	v_cmpx_ne_u32_e32 0x7f, v16
	s_cbranch_execz .LBB264_1115
; %bb.1112:                             ;   in Loop: Header=BB264_998 Depth=1
	v_and_b32_e32 v6, 7, v6
	v_lshrrev_b32_e32 v14, 3, v16
	s_mov_b32 s16, exec_lo
	v_cmpx_gt_u32_e32 8, v16
; %bb.1113:                             ;   in Loop: Header=BB264_998 Depth=1
	s_delay_alu instid0(VALU_DEP_3) | instskip(NEXT) | instid1(VALU_DEP_1)
	v_clz_i32_u32_e32 v14, v6
	v_min_u32_e32 v14, 32, v14
	s_delay_alu instid0(VALU_DEP_1) | instskip(SKIP_1) | instid1(VALU_DEP_2)
	v_subrev_nc_u32_e32 v15, 28, v14
	v_sub_nc_u32_e32 v14, 29, v14
	v_lshlrev_b64 v[15:16], v15, v[6:7]
	s_delay_alu instid0(VALU_DEP_1)
	v_and_b32_e32 v6, 7, v15
; %bb.1114:                             ;   in Loop: Header=BB264_998 Depth=1
	s_or_b32 exec_lo, exec_lo, s16
	v_lshlrev_b32_e32 v15, 16, v118
	s_delay_alu instid0(VALU_DEP_2) | instskip(SKIP_1) | instid1(VALU_DEP_3)
	v_lshlrev_b32_e32 v6, 20, v6
	v_lshl_add_u32 v14, v14, 23, 0x3c000000
	v_and_b32_e32 v15, 0x80000000, v15
	s_delay_alu instid0(VALU_DEP_1)
	v_or3_b32 v15, v6, v15, v14
	v_mov_b32_e32 v14, v7
.LBB264_1115:                           ;   in Loop: Header=BB264_998 Depth=1
	s_or_b32 exec_lo, exec_lo, s10
.LBB264_1116:                           ;   in Loop: Header=BB264_998 Depth=1
	s_delay_alu instid0(SALU_CYCLE_1)
	s_or_b32 exec_lo, exec_lo, s15
.LBB264_1117:                           ;   in Loop: Header=BB264_998 Depth=1
	s_delay_alu instid0(SALU_CYCLE_1) | instskip(SKIP_4) | instid1(VALU_DEP_2)
	s_or_b32 exec_lo, exec_lo, s13
	v_mov_b32_e32 v18, 0
	v_lshrrev_b32_e32 v119, 16, v118
	v_mov_b32_e32 v19, 0
	s_mov_b32 s10, exec_lo
	v_and_b32_e32 v6, 0xff, v119
	s_delay_alu instid0(VALU_DEP_2) | instskip(NEXT) | instid1(VALU_DEP_2)
	v_dual_mov_b32 v16, v18 :: v_dual_mov_b32 v17, v19
	v_cmpx_ne_u16_e32 0, v6
	s_cbranch_execz .LBB264_1125
; %bb.1118:                             ;   in Loop: Header=BB264_998 Depth=1
	v_bfrev_b32_e32 v16, 1
	v_mov_b32_e32 v17, 0
	s_mov_b32 s13, exec_lo
	v_cmpx_ne_u16_e32 0x80, v6
	s_cbranch_execz .LBB264_1124
; %bb.1119:                             ;   in Loop: Header=BB264_998 Depth=1
	v_mov_b32_e32 v16, 0x7f800001
	v_bfe_u32 v128, v118, 16, 7
	v_mov_b32_e32 v17, 0
	s_mov_b32 s15, exec_lo
	s_delay_alu instid0(VALU_DEP_2)
	v_cmpx_ne_u32_e32 0x7f, v128
	s_cbranch_execz .LBB264_1123
; %bb.1120:                             ;   in Loop: Header=BB264_998 Depth=1
	v_and_b32_e32 v6, 7, v119
	v_lshrrev_b32_e32 v16, 3, v128
	s_mov_b32 s16, exec_lo
	v_cmpx_gt_u32_e32 8, v128
; %bb.1121:                             ;   in Loop: Header=BB264_998 Depth=1
	s_delay_alu instid0(VALU_DEP_3) | instskip(NEXT) | instid1(VALU_DEP_1)
	v_clz_i32_u32_e32 v16, v6
	v_min_u32_e32 v16, 32, v16
	s_delay_alu instid0(VALU_DEP_1) | instskip(SKIP_1) | instid1(VALU_DEP_2)
	v_subrev_nc_u32_e32 v17, 28, v16
	v_sub_nc_u32_e32 v16, 29, v16
	v_lshlrev_b64 v[128:129], v17, v[6:7]
	s_delay_alu instid0(VALU_DEP_1)
	v_and_b32_e32 v6, 7, v128
; %bb.1122:                             ;   in Loop: Header=BB264_998 Depth=1
	s_or_b32 exec_lo, exec_lo, s16
	v_lshlrev_b32_e32 v17, 24, v119
	s_delay_alu instid0(VALU_DEP_2) | instskip(SKIP_1) | instid1(VALU_DEP_3)
	v_lshlrev_b32_e32 v6, 20, v6
	v_lshl_add_u32 v16, v16, 23, 0x3c000000
	v_and_b32_e32 v17, 0x80000000, v17
	s_delay_alu instid0(VALU_DEP_1) | instskip(NEXT) | instid1(VALU_DEP_1)
	v_or3_b32 v6, v6, v17, v16
	v_dual_mov_b32 v17, v7 :: v_dual_mov_b32 v16, v6
.LBB264_1123:                           ;   in Loop: Header=BB264_998 Depth=1
	s_or_b32 exec_lo, exec_lo, s15
.LBB264_1124:                           ;   in Loop: Header=BB264_998 Depth=1
	s_delay_alu instid0(SALU_CYCLE_1)
	s_or_b32 exec_lo, exec_lo, s13
.LBB264_1125:                           ;   in Loop: Header=BB264_998 Depth=1
	s_delay_alu instid0(SALU_CYCLE_1) | instskip(NEXT) | instid1(SALU_CYCLE_1)
	s_or_b32 exec_lo, exec_lo, s10
	s_mov_b32 s13, exec_lo
	v_cmpx_lt_u32_e32 0xffffff, v118
	s_cbranch_execz .LBB264_1133
; %bb.1126:                             ;   in Loop: Header=BB264_998 Depth=1
	v_lshrrev_b32_e32 v119, 24, v118
	v_dual_mov_b32 v19, s9 :: v_dual_mov_b32 v18, s8
	s_mov_b32 s15, exec_lo
	s_delay_alu instid0(VALU_DEP_2)
	v_cmpx_ne_u32_e32 0x80, v119
	s_cbranch_execz .LBB264_1132
; %bb.1127:                             ;   in Loop: Header=BB264_998 Depth=1
	s_mov_b32 s10, s8
	v_bfe_u32 v118, v118, 24, 7
	v_dual_mov_b32 v19, s11 :: v_dual_mov_b32 v18, s10
	s_mov_b32 s10, exec_lo
	s_delay_alu instid0(VALU_DEP_2)
	v_cmpx_ne_u32_e32 0x7f, v118
	s_cbranch_execz .LBB264_1131
; %bb.1128:                             ;   in Loop: Header=BB264_998 Depth=1
	v_and_b32_e32 v6, 7, v119
	v_lshrrev_b32_e32 v18, 3, v118
	s_mov_b32 s16, exec_lo
	v_cmpx_gt_u32_e32 8, v118
; %bb.1129:                             ;   in Loop: Header=BB264_998 Depth=1
	s_delay_alu instid0(VALU_DEP_3) | instskip(NEXT) | instid1(VALU_DEP_1)
	v_clz_i32_u32_e32 v18, v6
	v_min_u32_e32 v18, 32, v18
	s_delay_alu instid0(VALU_DEP_1) | instskip(SKIP_1) | instid1(VALU_DEP_2)
	v_subrev_nc_u32_e32 v19, 28, v18
	v_sub_nc_u32_e32 v18, 29, v18
	v_lshlrev_b64 v[128:129], v19, v[6:7]
	s_delay_alu instid0(VALU_DEP_1)
	v_and_b32_e32 v6, 7, v128
; %bb.1130:                             ;   in Loop: Header=BB264_998 Depth=1
	s_or_b32 exec_lo, exec_lo, s16
	v_lshlrev_b32_e32 v19, 24, v119
	s_delay_alu instid0(VALU_DEP_2) | instskip(SKIP_1) | instid1(VALU_DEP_3)
	v_lshlrev_b32_e32 v6, 20, v6
	v_lshl_add_u32 v18, v18, 23, 0x3c000000
	v_and_b32_e32 v19, 0x80000000, v19
	s_delay_alu instid0(VALU_DEP_1)
	v_or3_b32 v19, v6, v19, v18
	v_mov_b32_e32 v18, v7
.LBB264_1131:                           ;   in Loop: Header=BB264_998 Depth=1
	s_or_b32 exec_lo, exec_lo, s10
.LBB264_1132:                           ;   in Loop: Header=BB264_998 Depth=1
	s_delay_alu instid0(SALU_CYCLE_1)
	s_or_b32 exec_lo, exec_lo, s15
.LBB264_1133:                           ;   in Loop: Header=BB264_998 Depth=1
	s_delay_alu instid0(SALU_CYCLE_1) | instskip(SKIP_4) | instid1(VALU_DEP_4)
	s_or_b32 exec_lo, exec_lo, s13
	v_or_b32_e32 v5, v15, v5
	v_or_b32_e32 v4, v14, v4
	;; [unrolled: 1-line block ×4, first 2 shown]
	v_mul_f32_e32 v129, v85, v5
	s_delay_alu instid0(VALU_DEP_4) | instskip(NEXT) | instid1(VALU_DEP_4)
	v_mul_f32_e32 v128, v85, v4
	v_mul_f32_e32 v118, v85, v6
	s_delay_alu instid0(VALU_DEP_4)
	v_mul_f32_e32 v119, v85, v14
	s_and_saveexec_b32 s10, vcc_lo
; %bb.1134:                             ;   in Loop: Header=BB264_998 Depth=1
	v_cmp_lt_i32_e64 s0, v98, v22
	s_delay_alu instid0(VALU_DEP_1) | instskip(SKIP_1) | instid1(VALU_DEP_1)
	v_cndmask_b32_e64 v128, 0, v128, s0
	v_cmp_lt_i32_e64 s0, v101, v22
	v_cndmask_b32_e64 v129, 0, v129, s0
	v_cmp_lt_i32_e64 s0, v100, v22
	s_delay_alu instid0(VALU_DEP_1) | instskip(SKIP_1) | instid1(VALU_DEP_1)
	v_cndmask_b32_e64 v119, 0, v119, s0
	v_cmp_lt_i32_e64 s0, v99, v22
	v_cndmask_b32_e64 v118, 0, v118, s0
; %bb.1135:                             ;   in Loop: Header=BB264_998 Depth=1
	s_or_b32 exec_lo, exec_lo, s10
	flat_load_b32 v130, v[12:13] offset:512
	v_mov_b32_e32 v14, 0
	v_mov_b32_e32 v15, 0
	s_mov_b32 s10, exec_lo
	s_waitcnt vmcnt(0) lgkmcnt(0)
	v_and_b32_e32 v6, 0xff, v130
	s_delay_alu instid0(VALU_DEP_2) | instskip(NEXT) | instid1(VALU_DEP_2)
	v_dual_mov_b32 v4, v14 :: v_dual_mov_b32 v5, v15
	v_cmpx_ne_u16_e32 0, v6
	s_cbranch_execz .LBB264_1143
; %bb.1136:                             ;   in Loop: Header=BB264_998 Depth=1
	v_bfrev_b32_e32 v4, 1
	v_mov_b32_e32 v5, 0
	s_mov_b32 s13, exec_lo
	v_cmpx_ne_u16_e32 0x80, v6
	s_cbranch_execz .LBB264_1142
; %bb.1137:                             ;   in Loop: Header=BB264_998 Depth=1
	v_mov_b32_e32 v4, 0x7f800001
	v_dual_mov_b32 v5, 0 :: v_dual_and_b32 v16, 0x7f, v130
	s_mov_b32 s15, exec_lo
	s_delay_alu instid0(VALU_DEP_1)
	v_cmpx_ne_u32_e32 0x7f, v16
	s_cbranch_execz .LBB264_1141
; %bb.1138:                             ;   in Loop: Header=BB264_998 Depth=1
	v_and_b32_e32 v6, 7, v130
	v_lshrrev_b32_e32 v4, 3, v16
	s_mov_b32 s16, exec_lo
	v_cmpx_gt_u32_e32 8, v16
; %bb.1139:                             ;   in Loop: Header=BB264_998 Depth=1
	s_delay_alu instid0(VALU_DEP_3) | instskip(NEXT) | instid1(VALU_DEP_1)
	v_clz_i32_u32_e32 v4, v6
	v_min_u32_e32 v4, 32, v4
	s_delay_alu instid0(VALU_DEP_1) | instskip(SKIP_1) | instid1(VALU_DEP_2)
	v_subrev_nc_u32_e32 v5, 28, v4
	v_sub_nc_u32_e32 v4, 29, v4
	v_lshlrev_b64 v[5:6], v5, v[6:7]
	s_delay_alu instid0(VALU_DEP_1)
	v_and_b32_e32 v6, 7, v5
; %bb.1140:                             ;   in Loop: Header=BB264_998 Depth=1
	s_or_b32 exec_lo, exec_lo, s16
	v_lshlrev_b32_e32 v5, 24, v130
	s_delay_alu instid0(VALU_DEP_2) | instskip(SKIP_1) | instid1(VALU_DEP_3)
	v_lshlrev_b32_e32 v6, 20, v6
	v_lshl_add_u32 v4, v4, 23, 0x3c000000
	v_and_b32_e32 v5, 0x80000000, v5
	s_delay_alu instid0(VALU_DEP_1) | instskip(NEXT) | instid1(VALU_DEP_1)
	v_or3_b32 v6, v6, v5, v4
	v_dual_mov_b32 v4, v6 :: v_dual_mov_b32 v5, v7
.LBB264_1141:                           ;   in Loop: Header=BB264_998 Depth=1
	s_or_b32 exec_lo, exec_lo, s15
.LBB264_1142:                           ;   in Loop: Header=BB264_998 Depth=1
	s_delay_alu instid0(SALU_CYCLE_1)
	s_or_b32 exec_lo, exec_lo, s13
.LBB264_1143:                           ;   in Loop: Header=BB264_998 Depth=1
	s_delay_alu instid0(SALU_CYCLE_1) | instskip(SKIP_2) | instid1(VALU_DEP_1)
	s_or_b32 exec_lo, exec_lo, s10
	v_lshrrev_b16 v6, 8, v130
	s_mov_b32 s13, exec_lo
	v_cmpx_ne_u16_e32 0, v6
	s_cbranch_execz .LBB264_1151
; %bb.1144:                             ;   in Loop: Header=BB264_998 Depth=1
	v_dual_mov_b32 v15, s9 :: v_dual_mov_b32 v14, s8
	s_mov_b32 s15, exec_lo
	v_cmpx_ne_u16_e32 0x80, v6
	s_cbranch_execz .LBB264_1150
; %bb.1145:                             ;   in Loop: Header=BB264_998 Depth=1
	s_mov_b32 s10, s8
	v_dual_mov_b32 v15, s11 :: v_dual_and_b32 v6, 0xffff, v6
	v_mov_b32_e32 v14, s10
	s_mov_b32 s10, exec_lo
	s_delay_alu instid0(VALU_DEP_2) | instskip(NEXT) | instid1(VALU_DEP_1)
	v_and_b32_e32 v16, 0x7f, v6
	v_cmpx_ne_u32_e32 0x7f, v16
	s_cbranch_execz .LBB264_1149
; %bb.1146:                             ;   in Loop: Header=BB264_998 Depth=1
	v_and_b32_e32 v6, 7, v6
	v_lshrrev_b32_e32 v14, 3, v16
	s_mov_b32 s16, exec_lo
	v_cmpx_gt_u32_e32 8, v16
; %bb.1147:                             ;   in Loop: Header=BB264_998 Depth=1
	s_delay_alu instid0(VALU_DEP_3) | instskip(NEXT) | instid1(VALU_DEP_1)
	v_clz_i32_u32_e32 v14, v6
	v_min_u32_e32 v14, 32, v14
	s_delay_alu instid0(VALU_DEP_1) | instskip(SKIP_1) | instid1(VALU_DEP_2)
	v_subrev_nc_u32_e32 v15, 28, v14
	v_sub_nc_u32_e32 v14, 29, v14
	v_lshlrev_b64 v[15:16], v15, v[6:7]
	s_delay_alu instid0(VALU_DEP_1)
	v_and_b32_e32 v6, 7, v15
; %bb.1148:                             ;   in Loop: Header=BB264_998 Depth=1
	s_or_b32 exec_lo, exec_lo, s16
	v_lshlrev_b32_e32 v15, 16, v130
	s_delay_alu instid0(VALU_DEP_2) | instskip(SKIP_1) | instid1(VALU_DEP_3)
	v_lshlrev_b32_e32 v6, 20, v6
	v_lshl_add_u32 v14, v14, 23, 0x3c000000
	v_and_b32_e32 v15, 0x80000000, v15
	s_delay_alu instid0(VALU_DEP_1)
	v_or3_b32 v15, v6, v15, v14
	v_mov_b32_e32 v14, v7
.LBB264_1149:                           ;   in Loop: Header=BB264_998 Depth=1
	s_or_b32 exec_lo, exec_lo, s10
.LBB264_1150:                           ;   in Loop: Header=BB264_998 Depth=1
	s_delay_alu instid0(SALU_CYCLE_1)
	s_or_b32 exec_lo, exec_lo, s15
.LBB264_1151:                           ;   in Loop: Header=BB264_998 Depth=1
	s_delay_alu instid0(SALU_CYCLE_1) | instskip(SKIP_4) | instid1(VALU_DEP_2)
	s_or_b32 exec_lo, exec_lo, s13
	v_mov_b32_e32 v18, 0
	v_lshrrev_b32_e32 v131, 16, v130
	v_mov_b32_e32 v19, 0
	s_mov_b32 s10, exec_lo
	v_and_b32_e32 v6, 0xff, v131
	s_delay_alu instid0(VALU_DEP_2) | instskip(NEXT) | instid1(VALU_DEP_2)
	v_dual_mov_b32 v16, v18 :: v_dual_mov_b32 v17, v19
	v_cmpx_ne_u16_e32 0, v6
	s_cbranch_execz .LBB264_1159
; %bb.1152:                             ;   in Loop: Header=BB264_998 Depth=1
	v_bfrev_b32_e32 v16, 1
	v_mov_b32_e32 v17, 0
	s_mov_b32 s13, exec_lo
	v_cmpx_ne_u16_e32 0x80, v6
	s_cbranch_execz .LBB264_1158
; %bb.1153:                             ;   in Loop: Header=BB264_998 Depth=1
	v_mov_b32_e32 v16, 0x7f800001
	v_bfe_u32 v132, v130, 16, 7
	v_mov_b32_e32 v17, 0
	s_mov_b32 s15, exec_lo
	s_delay_alu instid0(VALU_DEP_2)
	v_cmpx_ne_u32_e32 0x7f, v132
	s_cbranch_execz .LBB264_1157
; %bb.1154:                             ;   in Loop: Header=BB264_998 Depth=1
	v_and_b32_e32 v6, 7, v131
	v_lshrrev_b32_e32 v16, 3, v132
	s_mov_b32 s16, exec_lo
	v_cmpx_gt_u32_e32 8, v132
; %bb.1155:                             ;   in Loop: Header=BB264_998 Depth=1
	s_delay_alu instid0(VALU_DEP_3) | instskip(NEXT) | instid1(VALU_DEP_1)
	v_clz_i32_u32_e32 v16, v6
	v_min_u32_e32 v16, 32, v16
	s_delay_alu instid0(VALU_DEP_1) | instskip(SKIP_1) | instid1(VALU_DEP_2)
	v_subrev_nc_u32_e32 v17, 28, v16
	v_sub_nc_u32_e32 v16, 29, v16
	v_lshlrev_b64 v[132:133], v17, v[6:7]
	s_delay_alu instid0(VALU_DEP_1)
	v_and_b32_e32 v6, 7, v132
; %bb.1156:                             ;   in Loop: Header=BB264_998 Depth=1
	s_or_b32 exec_lo, exec_lo, s16
	v_lshlrev_b32_e32 v17, 24, v131
	s_delay_alu instid0(VALU_DEP_2) | instskip(SKIP_1) | instid1(VALU_DEP_3)
	v_lshlrev_b32_e32 v6, 20, v6
	v_lshl_add_u32 v16, v16, 23, 0x3c000000
	v_and_b32_e32 v17, 0x80000000, v17
	s_delay_alu instid0(VALU_DEP_1) | instskip(NEXT) | instid1(VALU_DEP_1)
	v_or3_b32 v6, v6, v17, v16
	v_dual_mov_b32 v17, v7 :: v_dual_mov_b32 v16, v6
.LBB264_1157:                           ;   in Loop: Header=BB264_998 Depth=1
	s_or_b32 exec_lo, exec_lo, s15
.LBB264_1158:                           ;   in Loop: Header=BB264_998 Depth=1
	s_delay_alu instid0(SALU_CYCLE_1)
	s_or_b32 exec_lo, exec_lo, s13
.LBB264_1159:                           ;   in Loop: Header=BB264_998 Depth=1
	s_delay_alu instid0(SALU_CYCLE_1) | instskip(NEXT) | instid1(SALU_CYCLE_1)
	s_or_b32 exec_lo, exec_lo, s10
	s_mov_b32 s13, exec_lo
	v_cmpx_lt_u32_e32 0xffffff, v130
	s_cbranch_execz .LBB264_1167
; %bb.1160:                             ;   in Loop: Header=BB264_998 Depth=1
	v_lshrrev_b32_e32 v131, 24, v130
	v_dual_mov_b32 v19, s9 :: v_dual_mov_b32 v18, s8
	s_mov_b32 s15, exec_lo
	s_delay_alu instid0(VALU_DEP_2)
	v_cmpx_ne_u32_e32 0x80, v131
	s_cbranch_execz .LBB264_1166
; %bb.1161:                             ;   in Loop: Header=BB264_998 Depth=1
	s_mov_b32 s10, s8
	v_bfe_u32 v130, v130, 24, 7
	v_dual_mov_b32 v19, s11 :: v_dual_mov_b32 v18, s10
	s_mov_b32 s10, exec_lo
	s_delay_alu instid0(VALU_DEP_2)
	v_cmpx_ne_u32_e32 0x7f, v130
	s_cbranch_execz .LBB264_1165
; %bb.1162:                             ;   in Loop: Header=BB264_998 Depth=1
	v_and_b32_e32 v6, 7, v131
	v_lshrrev_b32_e32 v18, 3, v130
	s_mov_b32 s16, exec_lo
	v_cmpx_gt_u32_e32 8, v130
; %bb.1163:                             ;   in Loop: Header=BB264_998 Depth=1
	s_delay_alu instid0(VALU_DEP_3) | instskip(NEXT) | instid1(VALU_DEP_1)
	v_clz_i32_u32_e32 v18, v6
	v_min_u32_e32 v18, 32, v18
	s_delay_alu instid0(VALU_DEP_1) | instskip(SKIP_1) | instid1(VALU_DEP_2)
	v_subrev_nc_u32_e32 v19, 28, v18
	v_sub_nc_u32_e32 v18, 29, v18
	v_lshlrev_b64 v[132:133], v19, v[6:7]
	s_delay_alu instid0(VALU_DEP_1)
	v_and_b32_e32 v6, 7, v132
; %bb.1164:                             ;   in Loop: Header=BB264_998 Depth=1
	s_or_b32 exec_lo, exec_lo, s16
	v_lshlrev_b32_e32 v19, 24, v131
	s_delay_alu instid0(VALU_DEP_2) | instskip(SKIP_1) | instid1(VALU_DEP_3)
	v_lshlrev_b32_e32 v6, 20, v6
	v_lshl_add_u32 v18, v18, 23, 0x3c000000
	v_and_b32_e32 v19, 0x80000000, v19
	s_delay_alu instid0(VALU_DEP_1)
	v_or3_b32 v19, v6, v19, v18
	v_mov_b32_e32 v18, v7
.LBB264_1165:                           ;   in Loop: Header=BB264_998 Depth=1
	s_or_b32 exec_lo, exec_lo, s10
.LBB264_1166:                           ;   in Loop: Header=BB264_998 Depth=1
	s_delay_alu instid0(SALU_CYCLE_1)
	s_or_b32 exec_lo, exec_lo, s15
.LBB264_1167:                           ;   in Loop: Header=BB264_998 Depth=1
	s_delay_alu instid0(SALU_CYCLE_1) | instskip(SKIP_4) | instid1(VALU_DEP_4)
	s_or_b32 exec_lo, exec_lo, s13
	v_or_b32_e32 v5, v15, v5
	v_or_b32_e32 v4, v14, v4
	;; [unrolled: 1-line block ×4, first 2 shown]
	v_mul_f32_e32 v133, v85, v5
	s_delay_alu instid0(VALU_DEP_4) | instskip(NEXT) | instid1(VALU_DEP_4)
	v_mul_f32_e32 v132, v85, v4
	v_mul_f32_e32 v130, v85, v6
	s_delay_alu instid0(VALU_DEP_4)
	v_mul_f32_e32 v131, v85, v14
	s_and_saveexec_b32 s10, vcc_lo
; %bb.1168:                             ;   in Loop: Header=BB264_998 Depth=1
	v_cmp_lt_i32_e64 s0, v98, v22
	s_delay_alu instid0(VALU_DEP_1) | instskip(SKIP_1) | instid1(VALU_DEP_1)
	v_cndmask_b32_e64 v132, 0, v132, s0
	v_cmp_lt_i32_e64 s0, v101, v22
	v_cndmask_b32_e64 v133, 0, v133, s0
	v_cmp_lt_i32_e64 s0, v100, v22
	s_delay_alu instid0(VALU_DEP_1) | instskip(SKIP_1) | instid1(VALU_DEP_1)
	v_cndmask_b32_e64 v131, 0, v131, s0
	v_cmp_lt_i32_e64 s0, v99, v22
	v_cndmask_b32_e64 v130, 0, v130, s0
; %bb.1169:                             ;   in Loop: Header=BB264_998 Depth=1
	s_or_b32 exec_lo, exec_lo, s10
	flat_load_b32 v134, v[12:13] offset:640
	v_mov_b32_e32 v14, 0
	v_mov_b32_e32 v15, 0
	s_mov_b32 s10, exec_lo
	s_waitcnt vmcnt(0) lgkmcnt(0)
	v_and_b32_e32 v6, 0xff, v134
	s_delay_alu instid0(VALU_DEP_2) | instskip(NEXT) | instid1(VALU_DEP_2)
	v_dual_mov_b32 v4, v14 :: v_dual_mov_b32 v5, v15
	v_cmpx_ne_u16_e32 0, v6
	s_cbranch_execz .LBB264_1177
; %bb.1170:                             ;   in Loop: Header=BB264_998 Depth=1
	v_bfrev_b32_e32 v4, 1
	v_mov_b32_e32 v5, 0
	s_mov_b32 s13, exec_lo
	v_cmpx_ne_u16_e32 0x80, v6
	s_cbranch_execz .LBB264_1176
; %bb.1171:                             ;   in Loop: Header=BB264_998 Depth=1
	v_mov_b32_e32 v4, 0x7f800001
	v_dual_mov_b32 v5, 0 :: v_dual_and_b32 v16, 0x7f, v134
	s_mov_b32 s15, exec_lo
	s_delay_alu instid0(VALU_DEP_1)
	v_cmpx_ne_u32_e32 0x7f, v16
	s_cbranch_execz .LBB264_1175
; %bb.1172:                             ;   in Loop: Header=BB264_998 Depth=1
	v_and_b32_e32 v6, 7, v134
	v_lshrrev_b32_e32 v4, 3, v16
	s_mov_b32 s16, exec_lo
	v_cmpx_gt_u32_e32 8, v16
; %bb.1173:                             ;   in Loop: Header=BB264_998 Depth=1
	s_delay_alu instid0(VALU_DEP_3) | instskip(NEXT) | instid1(VALU_DEP_1)
	v_clz_i32_u32_e32 v4, v6
	v_min_u32_e32 v4, 32, v4
	s_delay_alu instid0(VALU_DEP_1) | instskip(SKIP_1) | instid1(VALU_DEP_2)
	v_subrev_nc_u32_e32 v5, 28, v4
	v_sub_nc_u32_e32 v4, 29, v4
	v_lshlrev_b64 v[5:6], v5, v[6:7]
	s_delay_alu instid0(VALU_DEP_1)
	v_and_b32_e32 v6, 7, v5
; %bb.1174:                             ;   in Loop: Header=BB264_998 Depth=1
	s_or_b32 exec_lo, exec_lo, s16
	v_lshlrev_b32_e32 v5, 24, v134
	s_delay_alu instid0(VALU_DEP_2) | instskip(SKIP_1) | instid1(VALU_DEP_3)
	v_lshlrev_b32_e32 v6, 20, v6
	v_lshl_add_u32 v4, v4, 23, 0x3c000000
	v_and_b32_e32 v5, 0x80000000, v5
	s_delay_alu instid0(VALU_DEP_1) | instskip(NEXT) | instid1(VALU_DEP_1)
	v_or3_b32 v6, v6, v5, v4
	v_dual_mov_b32 v4, v6 :: v_dual_mov_b32 v5, v7
.LBB264_1175:                           ;   in Loop: Header=BB264_998 Depth=1
	s_or_b32 exec_lo, exec_lo, s15
.LBB264_1176:                           ;   in Loop: Header=BB264_998 Depth=1
	s_delay_alu instid0(SALU_CYCLE_1)
	s_or_b32 exec_lo, exec_lo, s13
.LBB264_1177:                           ;   in Loop: Header=BB264_998 Depth=1
	s_delay_alu instid0(SALU_CYCLE_1) | instskip(SKIP_2) | instid1(VALU_DEP_1)
	s_or_b32 exec_lo, exec_lo, s10
	v_lshrrev_b16 v6, 8, v134
	s_mov_b32 s13, exec_lo
	v_cmpx_ne_u16_e32 0, v6
	s_cbranch_execz .LBB264_1185
; %bb.1178:                             ;   in Loop: Header=BB264_998 Depth=1
	v_dual_mov_b32 v15, s9 :: v_dual_mov_b32 v14, s8
	s_mov_b32 s15, exec_lo
	v_cmpx_ne_u16_e32 0x80, v6
	s_cbranch_execz .LBB264_1184
; %bb.1179:                             ;   in Loop: Header=BB264_998 Depth=1
	s_mov_b32 s10, s8
	v_dual_mov_b32 v15, s11 :: v_dual_and_b32 v6, 0xffff, v6
	v_mov_b32_e32 v14, s10
	s_mov_b32 s10, exec_lo
	s_delay_alu instid0(VALU_DEP_2) | instskip(NEXT) | instid1(VALU_DEP_1)
	v_and_b32_e32 v16, 0x7f, v6
	v_cmpx_ne_u32_e32 0x7f, v16
	s_cbranch_execz .LBB264_1183
; %bb.1180:                             ;   in Loop: Header=BB264_998 Depth=1
	v_and_b32_e32 v6, 7, v6
	v_lshrrev_b32_e32 v14, 3, v16
	s_mov_b32 s16, exec_lo
	v_cmpx_gt_u32_e32 8, v16
; %bb.1181:                             ;   in Loop: Header=BB264_998 Depth=1
	s_delay_alu instid0(VALU_DEP_3) | instskip(NEXT) | instid1(VALU_DEP_1)
	v_clz_i32_u32_e32 v14, v6
	v_min_u32_e32 v14, 32, v14
	s_delay_alu instid0(VALU_DEP_1) | instskip(SKIP_1) | instid1(VALU_DEP_2)
	v_subrev_nc_u32_e32 v15, 28, v14
	v_sub_nc_u32_e32 v14, 29, v14
	v_lshlrev_b64 v[15:16], v15, v[6:7]
	s_delay_alu instid0(VALU_DEP_1)
	v_and_b32_e32 v6, 7, v15
; %bb.1182:                             ;   in Loop: Header=BB264_998 Depth=1
	s_or_b32 exec_lo, exec_lo, s16
	v_lshlrev_b32_e32 v15, 16, v134
	s_delay_alu instid0(VALU_DEP_2) | instskip(SKIP_1) | instid1(VALU_DEP_3)
	v_lshlrev_b32_e32 v6, 20, v6
	v_lshl_add_u32 v14, v14, 23, 0x3c000000
	v_and_b32_e32 v15, 0x80000000, v15
	s_delay_alu instid0(VALU_DEP_1)
	v_or3_b32 v15, v6, v15, v14
	v_mov_b32_e32 v14, v7
.LBB264_1183:                           ;   in Loop: Header=BB264_998 Depth=1
	s_or_b32 exec_lo, exec_lo, s10
.LBB264_1184:                           ;   in Loop: Header=BB264_998 Depth=1
	s_delay_alu instid0(SALU_CYCLE_1)
	s_or_b32 exec_lo, exec_lo, s15
.LBB264_1185:                           ;   in Loop: Header=BB264_998 Depth=1
	s_delay_alu instid0(SALU_CYCLE_1) | instskip(SKIP_4) | instid1(VALU_DEP_2)
	s_or_b32 exec_lo, exec_lo, s13
	v_mov_b32_e32 v18, 0
	v_lshrrev_b32_e32 v135, 16, v134
	v_mov_b32_e32 v19, 0
	s_mov_b32 s10, exec_lo
	v_and_b32_e32 v6, 0xff, v135
	s_delay_alu instid0(VALU_DEP_2) | instskip(NEXT) | instid1(VALU_DEP_2)
	v_dual_mov_b32 v16, v18 :: v_dual_mov_b32 v17, v19
	v_cmpx_ne_u16_e32 0, v6
	s_cbranch_execz .LBB264_1193
; %bb.1186:                             ;   in Loop: Header=BB264_998 Depth=1
	v_bfrev_b32_e32 v16, 1
	v_mov_b32_e32 v17, 0
	s_mov_b32 s13, exec_lo
	v_cmpx_ne_u16_e32 0x80, v6
	s_cbranch_execz .LBB264_1192
; %bb.1187:                             ;   in Loop: Header=BB264_998 Depth=1
	v_mov_b32_e32 v16, 0x7f800001
	v_bfe_u32 v144, v134, 16, 7
	v_mov_b32_e32 v17, 0
	s_mov_b32 s15, exec_lo
	s_delay_alu instid0(VALU_DEP_2)
	v_cmpx_ne_u32_e32 0x7f, v144
	s_cbranch_execz .LBB264_1191
; %bb.1188:                             ;   in Loop: Header=BB264_998 Depth=1
	v_and_b32_e32 v6, 7, v135
	v_lshrrev_b32_e32 v16, 3, v144
	s_mov_b32 s16, exec_lo
	v_cmpx_gt_u32_e32 8, v144
; %bb.1189:                             ;   in Loop: Header=BB264_998 Depth=1
	s_delay_alu instid0(VALU_DEP_3) | instskip(NEXT) | instid1(VALU_DEP_1)
	v_clz_i32_u32_e32 v16, v6
	v_min_u32_e32 v16, 32, v16
	s_delay_alu instid0(VALU_DEP_1) | instskip(SKIP_1) | instid1(VALU_DEP_2)
	v_subrev_nc_u32_e32 v17, 28, v16
	v_sub_nc_u32_e32 v16, 29, v16
	v_lshlrev_b64 v[144:145], v17, v[6:7]
	s_delay_alu instid0(VALU_DEP_1)
	v_and_b32_e32 v6, 7, v144
; %bb.1190:                             ;   in Loop: Header=BB264_998 Depth=1
	s_or_b32 exec_lo, exec_lo, s16
	v_lshlrev_b32_e32 v17, 24, v135
	s_delay_alu instid0(VALU_DEP_2) | instskip(SKIP_1) | instid1(VALU_DEP_3)
	v_lshlrev_b32_e32 v6, 20, v6
	v_lshl_add_u32 v16, v16, 23, 0x3c000000
	v_and_b32_e32 v17, 0x80000000, v17
	s_delay_alu instid0(VALU_DEP_1) | instskip(NEXT) | instid1(VALU_DEP_1)
	v_or3_b32 v6, v6, v17, v16
	v_dual_mov_b32 v17, v7 :: v_dual_mov_b32 v16, v6
.LBB264_1191:                           ;   in Loop: Header=BB264_998 Depth=1
	s_or_b32 exec_lo, exec_lo, s15
.LBB264_1192:                           ;   in Loop: Header=BB264_998 Depth=1
	s_delay_alu instid0(SALU_CYCLE_1)
	s_or_b32 exec_lo, exec_lo, s13
.LBB264_1193:                           ;   in Loop: Header=BB264_998 Depth=1
	s_delay_alu instid0(SALU_CYCLE_1) | instskip(NEXT) | instid1(SALU_CYCLE_1)
	s_or_b32 exec_lo, exec_lo, s10
	s_mov_b32 s13, exec_lo
	v_cmpx_lt_u32_e32 0xffffff, v134
	s_cbranch_execz .LBB264_1201
; %bb.1194:                             ;   in Loop: Header=BB264_998 Depth=1
	v_lshrrev_b32_e32 v135, 24, v134
	v_dual_mov_b32 v19, s9 :: v_dual_mov_b32 v18, s8
	s_mov_b32 s15, exec_lo
	s_delay_alu instid0(VALU_DEP_2)
	v_cmpx_ne_u32_e32 0x80, v135
	s_cbranch_execz .LBB264_1200
; %bb.1195:                             ;   in Loop: Header=BB264_998 Depth=1
	s_mov_b32 s10, s8
	v_bfe_u32 v134, v134, 24, 7
	v_dual_mov_b32 v19, s11 :: v_dual_mov_b32 v18, s10
	s_mov_b32 s10, exec_lo
	s_delay_alu instid0(VALU_DEP_2)
	v_cmpx_ne_u32_e32 0x7f, v134
	s_cbranch_execz .LBB264_1199
; %bb.1196:                             ;   in Loop: Header=BB264_998 Depth=1
	v_and_b32_e32 v6, 7, v135
	v_lshrrev_b32_e32 v18, 3, v134
	s_mov_b32 s16, exec_lo
	v_cmpx_gt_u32_e32 8, v134
; %bb.1197:                             ;   in Loop: Header=BB264_998 Depth=1
	s_delay_alu instid0(VALU_DEP_3) | instskip(NEXT) | instid1(VALU_DEP_1)
	v_clz_i32_u32_e32 v18, v6
	v_min_u32_e32 v18, 32, v18
	s_delay_alu instid0(VALU_DEP_1) | instskip(SKIP_1) | instid1(VALU_DEP_2)
	v_subrev_nc_u32_e32 v19, 28, v18
	v_sub_nc_u32_e32 v18, 29, v18
	v_lshlrev_b64 v[144:145], v19, v[6:7]
	s_delay_alu instid0(VALU_DEP_1)
	v_and_b32_e32 v6, 7, v144
; %bb.1198:                             ;   in Loop: Header=BB264_998 Depth=1
	s_or_b32 exec_lo, exec_lo, s16
	v_lshlrev_b32_e32 v19, 24, v135
	s_delay_alu instid0(VALU_DEP_2) | instskip(SKIP_1) | instid1(VALU_DEP_3)
	v_lshlrev_b32_e32 v6, 20, v6
	v_lshl_add_u32 v18, v18, 23, 0x3c000000
	v_and_b32_e32 v19, 0x80000000, v19
	s_delay_alu instid0(VALU_DEP_1)
	v_or3_b32 v19, v6, v19, v18
	v_mov_b32_e32 v18, v7
.LBB264_1199:                           ;   in Loop: Header=BB264_998 Depth=1
	s_or_b32 exec_lo, exec_lo, s10
.LBB264_1200:                           ;   in Loop: Header=BB264_998 Depth=1
	s_delay_alu instid0(SALU_CYCLE_1)
	s_or_b32 exec_lo, exec_lo, s15
.LBB264_1201:                           ;   in Loop: Header=BB264_998 Depth=1
	s_delay_alu instid0(SALU_CYCLE_1) | instskip(SKIP_4) | instid1(VALU_DEP_4)
	s_or_b32 exec_lo, exec_lo, s13
	v_or_b32_e32 v5, v15, v5
	v_or_b32_e32 v4, v14, v4
	;; [unrolled: 1-line block ×4, first 2 shown]
	v_mul_f32_e32 v145, v85, v5
	s_delay_alu instid0(VALU_DEP_4) | instskip(NEXT) | instid1(VALU_DEP_4)
	v_mul_f32_e32 v144, v85, v4
	v_mul_f32_e32 v134, v85, v6
	s_delay_alu instid0(VALU_DEP_4)
	v_mul_f32_e32 v135, v85, v14
	s_and_saveexec_b32 s10, vcc_lo
; %bb.1202:                             ;   in Loop: Header=BB264_998 Depth=1
	v_cmp_lt_i32_e64 s0, v98, v22
	s_delay_alu instid0(VALU_DEP_1) | instskip(SKIP_1) | instid1(VALU_DEP_1)
	v_cndmask_b32_e64 v144, 0, v144, s0
	v_cmp_lt_i32_e64 s0, v101, v22
	v_cndmask_b32_e64 v145, 0, v145, s0
	v_cmp_lt_i32_e64 s0, v100, v22
	s_delay_alu instid0(VALU_DEP_1) | instskip(SKIP_1) | instid1(VALU_DEP_1)
	v_cndmask_b32_e64 v135, 0, v135, s0
	v_cmp_lt_i32_e64 s0, v99, v22
	v_cndmask_b32_e64 v134, 0, v134, s0
; %bb.1203:                             ;   in Loop: Header=BB264_998 Depth=1
	s_or_b32 exec_lo, exec_lo, s10
	flat_load_b32 v146, v[12:13] offset:768
	v_mov_b32_e32 v14, 0
	v_mov_b32_e32 v15, 0
	s_mov_b32 s10, exec_lo
	s_waitcnt vmcnt(0) lgkmcnt(0)
	v_and_b32_e32 v6, 0xff, v146
	s_delay_alu instid0(VALU_DEP_2) | instskip(NEXT) | instid1(VALU_DEP_2)
	v_dual_mov_b32 v4, v14 :: v_dual_mov_b32 v5, v15
	v_cmpx_ne_u16_e32 0, v6
	s_cbranch_execz .LBB264_1211
; %bb.1204:                             ;   in Loop: Header=BB264_998 Depth=1
	v_bfrev_b32_e32 v4, 1
	v_mov_b32_e32 v5, 0
	s_mov_b32 s13, exec_lo
	v_cmpx_ne_u16_e32 0x80, v6
	s_cbranch_execz .LBB264_1210
; %bb.1205:                             ;   in Loop: Header=BB264_998 Depth=1
	v_mov_b32_e32 v4, 0x7f800001
	v_dual_mov_b32 v5, 0 :: v_dual_and_b32 v16, 0x7f, v146
	s_mov_b32 s15, exec_lo
	s_delay_alu instid0(VALU_DEP_1)
	v_cmpx_ne_u32_e32 0x7f, v16
	s_cbranch_execz .LBB264_1209
; %bb.1206:                             ;   in Loop: Header=BB264_998 Depth=1
	v_and_b32_e32 v6, 7, v146
	v_lshrrev_b32_e32 v4, 3, v16
	s_mov_b32 s16, exec_lo
	v_cmpx_gt_u32_e32 8, v16
; %bb.1207:                             ;   in Loop: Header=BB264_998 Depth=1
	s_delay_alu instid0(VALU_DEP_3) | instskip(NEXT) | instid1(VALU_DEP_1)
	v_clz_i32_u32_e32 v4, v6
	v_min_u32_e32 v4, 32, v4
	s_delay_alu instid0(VALU_DEP_1) | instskip(SKIP_1) | instid1(VALU_DEP_2)
	v_subrev_nc_u32_e32 v5, 28, v4
	v_sub_nc_u32_e32 v4, 29, v4
	v_lshlrev_b64 v[5:6], v5, v[6:7]
	s_delay_alu instid0(VALU_DEP_1)
	v_and_b32_e32 v6, 7, v5
; %bb.1208:                             ;   in Loop: Header=BB264_998 Depth=1
	s_or_b32 exec_lo, exec_lo, s16
	v_lshlrev_b32_e32 v5, 24, v146
	s_delay_alu instid0(VALU_DEP_2) | instskip(SKIP_1) | instid1(VALU_DEP_3)
	v_lshlrev_b32_e32 v6, 20, v6
	v_lshl_add_u32 v4, v4, 23, 0x3c000000
	v_and_b32_e32 v5, 0x80000000, v5
	s_delay_alu instid0(VALU_DEP_1) | instskip(NEXT) | instid1(VALU_DEP_1)
	v_or3_b32 v6, v6, v5, v4
	v_dual_mov_b32 v4, v6 :: v_dual_mov_b32 v5, v7
.LBB264_1209:                           ;   in Loop: Header=BB264_998 Depth=1
	s_or_b32 exec_lo, exec_lo, s15
.LBB264_1210:                           ;   in Loop: Header=BB264_998 Depth=1
	s_delay_alu instid0(SALU_CYCLE_1)
	s_or_b32 exec_lo, exec_lo, s13
.LBB264_1211:                           ;   in Loop: Header=BB264_998 Depth=1
	s_delay_alu instid0(SALU_CYCLE_1) | instskip(SKIP_2) | instid1(VALU_DEP_1)
	s_or_b32 exec_lo, exec_lo, s10
	v_lshrrev_b16 v6, 8, v146
	s_mov_b32 s13, exec_lo
	v_cmpx_ne_u16_e32 0, v6
	s_cbranch_execz .LBB264_1219
; %bb.1212:                             ;   in Loop: Header=BB264_998 Depth=1
	v_dual_mov_b32 v15, s9 :: v_dual_mov_b32 v14, s8
	s_mov_b32 s15, exec_lo
	v_cmpx_ne_u16_e32 0x80, v6
	s_cbranch_execz .LBB264_1218
; %bb.1213:                             ;   in Loop: Header=BB264_998 Depth=1
	s_mov_b32 s10, s8
	v_dual_mov_b32 v15, s11 :: v_dual_and_b32 v6, 0xffff, v6
	v_mov_b32_e32 v14, s10
	s_mov_b32 s10, exec_lo
	s_delay_alu instid0(VALU_DEP_2) | instskip(NEXT) | instid1(VALU_DEP_1)
	v_and_b32_e32 v16, 0x7f, v6
	v_cmpx_ne_u32_e32 0x7f, v16
	s_cbranch_execz .LBB264_1217
; %bb.1214:                             ;   in Loop: Header=BB264_998 Depth=1
	v_and_b32_e32 v6, 7, v6
	v_lshrrev_b32_e32 v14, 3, v16
	s_mov_b32 s16, exec_lo
	v_cmpx_gt_u32_e32 8, v16
; %bb.1215:                             ;   in Loop: Header=BB264_998 Depth=1
	s_delay_alu instid0(VALU_DEP_3) | instskip(NEXT) | instid1(VALU_DEP_1)
	v_clz_i32_u32_e32 v14, v6
	v_min_u32_e32 v14, 32, v14
	s_delay_alu instid0(VALU_DEP_1) | instskip(SKIP_1) | instid1(VALU_DEP_2)
	v_subrev_nc_u32_e32 v15, 28, v14
	v_sub_nc_u32_e32 v14, 29, v14
	v_lshlrev_b64 v[15:16], v15, v[6:7]
	s_delay_alu instid0(VALU_DEP_1)
	v_and_b32_e32 v6, 7, v15
; %bb.1216:                             ;   in Loop: Header=BB264_998 Depth=1
	s_or_b32 exec_lo, exec_lo, s16
	v_lshlrev_b32_e32 v15, 16, v146
	s_delay_alu instid0(VALU_DEP_2) | instskip(SKIP_1) | instid1(VALU_DEP_3)
	v_lshlrev_b32_e32 v6, 20, v6
	v_lshl_add_u32 v14, v14, 23, 0x3c000000
	v_and_b32_e32 v15, 0x80000000, v15
	s_delay_alu instid0(VALU_DEP_1)
	v_or3_b32 v15, v6, v15, v14
	v_mov_b32_e32 v14, v7
.LBB264_1217:                           ;   in Loop: Header=BB264_998 Depth=1
	s_or_b32 exec_lo, exec_lo, s10
.LBB264_1218:                           ;   in Loop: Header=BB264_998 Depth=1
	s_delay_alu instid0(SALU_CYCLE_1)
	s_or_b32 exec_lo, exec_lo, s15
.LBB264_1219:                           ;   in Loop: Header=BB264_998 Depth=1
	s_delay_alu instid0(SALU_CYCLE_1) | instskip(SKIP_4) | instid1(VALU_DEP_2)
	s_or_b32 exec_lo, exec_lo, s13
	v_mov_b32_e32 v18, 0
	v_lshrrev_b32_e32 v147, 16, v146
	v_mov_b32_e32 v19, 0
	s_mov_b32 s10, exec_lo
	v_and_b32_e32 v6, 0xff, v147
	s_delay_alu instid0(VALU_DEP_2) | instskip(NEXT) | instid1(VALU_DEP_2)
	v_dual_mov_b32 v16, v18 :: v_dual_mov_b32 v17, v19
	v_cmpx_ne_u16_e32 0, v6
	s_cbranch_execz .LBB264_1227
; %bb.1220:                             ;   in Loop: Header=BB264_998 Depth=1
	v_bfrev_b32_e32 v16, 1
	v_mov_b32_e32 v17, 0
	s_mov_b32 s13, exec_lo
	v_cmpx_ne_u16_e32 0x80, v6
	s_cbranch_execz .LBB264_1226
; %bb.1221:                             ;   in Loop: Header=BB264_998 Depth=1
	v_mov_b32_e32 v16, 0x7f800001
	v_bfe_u32 v148, v146, 16, 7
	v_mov_b32_e32 v17, 0
	s_mov_b32 s15, exec_lo
	s_delay_alu instid0(VALU_DEP_2)
	v_cmpx_ne_u32_e32 0x7f, v148
	s_cbranch_execz .LBB264_1225
; %bb.1222:                             ;   in Loop: Header=BB264_998 Depth=1
	v_and_b32_e32 v6, 7, v147
	v_lshrrev_b32_e32 v16, 3, v148
	s_mov_b32 s16, exec_lo
	v_cmpx_gt_u32_e32 8, v148
; %bb.1223:                             ;   in Loop: Header=BB264_998 Depth=1
	s_delay_alu instid0(VALU_DEP_3) | instskip(NEXT) | instid1(VALU_DEP_1)
	v_clz_i32_u32_e32 v16, v6
	v_min_u32_e32 v16, 32, v16
	s_delay_alu instid0(VALU_DEP_1) | instskip(SKIP_1) | instid1(VALU_DEP_2)
	v_subrev_nc_u32_e32 v17, 28, v16
	v_sub_nc_u32_e32 v16, 29, v16
	v_lshlrev_b64 v[148:149], v17, v[6:7]
	s_delay_alu instid0(VALU_DEP_1)
	v_and_b32_e32 v6, 7, v148
; %bb.1224:                             ;   in Loop: Header=BB264_998 Depth=1
	s_or_b32 exec_lo, exec_lo, s16
	v_lshlrev_b32_e32 v17, 24, v147
	s_delay_alu instid0(VALU_DEP_2) | instskip(SKIP_1) | instid1(VALU_DEP_3)
	v_lshlrev_b32_e32 v6, 20, v6
	v_lshl_add_u32 v16, v16, 23, 0x3c000000
	v_and_b32_e32 v17, 0x80000000, v17
	s_delay_alu instid0(VALU_DEP_1) | instskip(NEXT) | instid1(VALU_DEP_1)
	v_or3_b32 v6, v6, v17, v16
	v_dual_mov_b32 v17, v7 :: v_dual_mov_b32 v16, v6
.LBB264_1225:                           ;   in Loop: Header=BB264_998 Depth=1
	s_or_b32 exec_lo, exec_lo, s15
.LBB264_1226:                           ;   in Loop: Header=BB264_998 Depth=1
	s_delay_alu instid0(SALU_CYCLE_1)
	s_or_b32 exec_lo, exec_lo, s13
.LBB264_1227:                           ;   in Loop: Header=BB264_998 Depth=1
	s_delay_alu instid0(SALU_CYCLE_1) | instskip(NEXT) | instid1(SALU_CYCLE_1)
	s_or_b32 exec_lo, exec_lo, s10
	s_mov_b32 s13, exec_lo
	v_cmpx_lt_u32_e32 0xffffff, v146
	s_cbranch_execz .LBB264_1235
; %bb.1228:                             ;   in Loop: Header=BB264_998 Depth=1
	v_lshrrev_b32_e32 v147, 24, v146
	v_dual_mov_b32 v19, s9 :: v_dual_mov_b32 v18, s8
	s_mov_b32 s15, exec_lo
	s_delay_alu instid0(VALU_DEP_2)
	v_cmpx_ne_u32_e32 0x80, v147
	s_cbranch_execz .LBB264_1234
; %bb.1229:                             ;   in Loop: Header=BB264_998 Depth=1
	s_mov_b32 s10, s8
	v_bfe_u32 v146, v146, 24, 7
	v_dual_mov_b32 v19, s11 :: v_dual_mov_b32 v18, s10
	s_mov_b32 s10, exec_lo
	s_delay_alu instid0(VALU_DEP_2)
	v_cmpx_ne_u32_e32 0x7f, v146
	s_cbranch_execz .LBB264_1233
; %bb.1230:                             ;   in Loop: Header=BB264_998 Depth=1
	v_and_b32_e32 v6, 7, v147
	v_lshrrev_b32_e32 v18, 3, v146
	s_mov_b32 s16, exec_lo
	v_cmpx_gt_u32_e32 8, v146
; %bb.1231:                             ;   in Loop: Header=BB264_998 Depth=1
	s_delay_alu instid0(VALU_DEP_3) | instskip(NEXT) | instid1(VALU_DEP_1)
	v_clz_i32_u32_e32 v18, v6
	v_min_u32_e32 v18, 32, v18
	s_delay_alu instid0(VALU_DEP_1) | instskip(SKIP_1) | instid1(VALU_DEP_2)
	v_subrev_nc_u32_e32 v19, 28, v18
	v_sub_nc_u32_e32 v18, 29, v18
	v_lshlrev_b64 v[148:149], v19, v[6:7]
	s_delay_alu instid0(VALU_DEP_1)
	v_and_b32_e32 v6, 7, v148
; %bb.1232:                             ;   in Loop: Header=BB264_998 Depth=1
	s_or_b32 exec_lo, exec_lo, s16
	v_lshlrev_b32_e32 v19, 24, v147
	s_delay_alu instid0(VALU_DEP_2) | instskip(SKIP_1) | instid1(VALU_DEP_3)
	v_lshlrev_b32_e32 v6, 20, v6
	v_lshl_add_u32 v18, v18, 23, 0x3c000000
	v_and_b32_e32 v19, 0x80000000, v19
	s_delay_alu instid0(VALU_DEP_1)
	v_or3_b32 v19, v6, v19, v18
	v_mov_b32_e32 v18, v7
.LBB264_1233:                           ;   in Loop: Header=BB264_998 Depth=1
	s_or_b32 exec_lo, exec_lo, s10
.LBB264_1234:                           ;   in Loop: Header=BB264_998 Depth=1
	s_delay_alu instid0(SALU_CYCLE_1)
	s_or_b32 exec_lo, exec_lo, s15
.LBB264_1235:                           ;   in Loop: Header=BB264_998 Depth=1
	s_delay_alu instid0(SALU_CYCLE_1) | instskip(SKIP_4) | instid1(VALU_DEP_4)
	s_or_b32 exec_lo, exec_lo, s13
	v_or_b32_e32 v5, v15, v5
	v_or_b32_e32 v4, v14, v4
	;; [unrolled: 1-line block ×4, first 2 shown]
	v_mul_f32_e32 v149, v85, v5
	s_delay_alu instid0(VALU_DEP_4) | instskip(NEXT) | instid1(VALU_DEP_4)
	v_mul_f32_e32 v148, v85, v4
	v_mul_f32_e32 v146, v85, v6
	s_delay_alu instid0(VALU_DEP_4)
	v_mul_f32_e32 v147, v85, v14
	s_and_saveexec_b32 s10, vcc_lo
; %bb.1236:                             ;   in Loop: Header=BB264_998 Depth=1
	v_cmp_lt_i32_e64 s0, v98, v22
	s_delay_alu instid0(VALU_DEP_1) | instskip(SKIP_1) | instid1(VALU_DEP_1)
	v_cndmask_b32_e64 v148, 0, v148, s0
	v_cmp_lt_i32_e64 s0, v101, v22
	v_cndmask_b32_e64 v149, 0, v149, s0
	v_cmp_lt_i32_e64 s0, v100, v22
	s_delay_alu instid0(VALU_DEP_1) | instskip(SKIP_1) | instid1(VALU_DEP_1)
	v_cndmask_b32_e64 v147, 0, v147, s0
	v_cmp_lt_i32_e64 s0, v99, v22
	v_cndmask_b32_e64 v146, 0, v146, s0
; %bb.1237:                             ;   in Loop: Header=BB264_998 Depth=1
	s_or_b32 exec_lo, exec_lo, s10
	flat_load_b32 v150, v[12:13] offset:896
	v_mov_b32_e32 v14, 0
	v_mov_b32_e32 v15, 0
	s_mov_b32 s10, exec_lo
	s_waitcnt vmcnt(0) lgkmcnt(0)
	v_and_b32_e32 v6, 0xff, v150
	s_delay_alu instid0(VALU_DEP_2) | instskip(NEXT) | instid1(VALU_DEP_2)
	v_dual_mov_b32 v4, v14 :: v_dual_mov_b32 v5, v15
	v_cmpx_ne_u16_e32 0, v6
	s_cbranch_execz .LBB264_1245
; %bb.1238:                             ;   in Loop: Header=BB264_998 Depth=1
	v_bfrev_b32_e32 v4, 1
	v_mov_b32_e32 v5, 0
	s_mov_b32 s13, exec_lo
	v_cmpx_ne_u16_e32 0x80, v6
	s_cbranch_execz .LBB264_1244
; %bb.1239:                             ;   in Loop: Header=BB264_998 Depth=1
	v_mov_b32_e32 v4, 0x7f800001
	v_dual_mov_b32 v5, 0 :: v_dual_and_b32 v16, 0x7f, v150
	s_mov_b32 s15, exec_lo
	s_delay_alu instid0(VALU_DEP_1)
	v_cmpx_ne_u32_e32 0x7f, v16
	s_cbranch_execz .LBB264_1243
; %bb.1240:                             ;   in Loop: Header=BB264_998 Depth=1
	v_and_b32_e32 v6, 7, v150
	v_lshrrev_b32_e32 v4, 3, v16
	s_mov_b32 s16, exec_lo
	v_cmpx_gt_u32_e32 8, v16
; %bb.1241:                             ;   in Loop: Header=BB264_998 Depth=1
	s_delay_alu instid0(VALU_DEP_3) | instskip(NEXT) | instid1(VALU_DEP_1)
	v_clz_i32_u32_e32 v4, v6
	v_min_u32_e32 v4, 32, v4
	s_delay_alu instid0(VALU_DEP_1) | instskip(SKIP_1) | instid1(VALU_DEP_2)
	v_subrev_nc_u32_e32 v5, 28, v4
	v_sub_nc_u32_e32 v4, 29, v4
	v_lshlrev_b64 v[5:6], v5, v[6:7]
	s_delay_alu instid0(VALU_DEP_1)
	v_and_b32_e32 v6, 7, v5
; %bb.1242:                             ;   in Loop: Header=BB264_998 Depth=1
	s_or_b32 exec_lo, exec_lo, s16
	v_lshlrev_b32_e32 v5, 24, v150
	s_delay_alu instid0(VALU_DEP_2) | instskip(SKIP_1) | instid1(VALU_DEP_3)
	v_lshlrev_b32_e32 v6, 20, v6
	v_lshl_add_u32 v4, v4, 23, 0x3c000000
	v_and_b32_e32 v5, 0x80000000, v5
	s_delay_alu instid0(VALU_DEP_1) | instskip(NEXT) | instid1(VALU_DEP_1)
	v_or3_b32 v6, v6, v5, v4
	v_dual_mov_b32 v4, v6 :: v_dual_mov_b32 v5, v7
.LBB264_1243:                           ;   in Loop: Header=BB264_998 Depth=1
	s_or_b32 exec_lo, exec_lo, s15
.LBB264_1244:                           ;   in Loop: Header=BB264_998 Depth=1
	s_delay_alu instid0(SALU_CYCLE_1)
	s_or_b32 exec_lo, exec_lo, s13
.LBB264_1245:                           ;   in Loop: Header=BB264_998 Depth=1
	s_delay_alu instid0(SALU_CYCLE_1) | instskip(SKIP_2) | instid1(VALU_DEP_1)
	s_or_b32 exec_lo, exec_lo, s10
	v_lshrrev_b16 v6, 8, v150
	s_mov_b32 s13, exec_lo
	v_cmpx_ne_u16_e32 0, v6
	s_cbranch_execz .LBB264_1253
; %bb.1246:                             ;   in Loop: Header=BB264_998 Depth=1
	v_dual_mov_b32 v15, s9 :: v_dual_mov_b32 v14, s8
	s_mov_b32 s15, exec_lo
	v_cmpx_ne_u16_e32 0x80, v6
	s_cbranch_execz .LBB264_1252
; %bb.1247:                             ;   in Loop: Header=BB264_998 Depth=1
	s_mov_b32 s10, s8
	v_dual_mov_b32 v15, s11 :: v_dual_and_b32 v6, 0xffff, v6
	v_mov_b32_e32 v14, s10
	s_mov_b32 s10, exec_lo
	s_delay_alu instid0(VALU_DEP_2) | instskip(NEXT) | instid1(VALU_DEP_1)
	v_and_b32_e32 v16, 0x7f, v6
	v_cmpx_ne_u32_e32 0x7f, v16
	s_cbranch_execz .LBB264_1251
; %bb.1248:                             ;   in Loop: Header=BB264_998 Depth=1
	v_and_b32_e32 v6, 7, v6
	v_lshrrev_b32_e32 v14, 3, v16
	s_mov_b32 s16, exec_lo
	v_cmpx_gt_u32_e32 8, v16
; %bb.1249:                             ;   in Loop: Header=BB264_998 Depth=1
	s_delay_alu instid0(VALU_DEP_3) | instskip(NEXT) | instid1(VALU_DEP_1)
	v_clz_i32_u32_e32 v14, v6
	v_min_u32_e32 v14, 32, v14
	s_delay_alu instid0(VALU_DEP_1) | instskip(SKIP_1) | instid1(VALU_DEP_2)
	v_subrev_nc_u32_e32 v15, 28, v14
	v_sub_nc_u32_e32 v14, 29, v14
	v_lshlrev_b64 v[15:16], v15, v[6:7]
	s_delay_alu instid0(VALU_DEP_1)
	v_and_b32_e32 v6, 7, v15
; %bb.1250:                             ;   in Loop: Header=BB264_998 Depth=1
	s_or_b32 exec_lo, exec_lo, s16
	v_lshlrev_b32_e32 v15, 16, v150
	s_delay_alu instid0(VALU_DEP_2) | instskip(SKIP_1) | instid1(VALU_DEP_3)
	v_lshlrev_b32_e32 v6, 20, v6
	v_lshl_add_u32 v14, v14, 23, 0x3c000000
	v_and_b32_e32 v15, 0x80000000, v15
	s_delay_alu instid0(VALU_DEP_1)
	v_or3_b32 v15, v6, v15, v14
	v_mov_b32_e32 v14, v7
.LBB264_1251:                           ;   in Loop: Header=BB264_998 Depth=1
	s_or_b32 exec_lo, exec_lo, s10
.LBB264_1252:                           ;   in Loop: Header=BB264_998 Depth=1
	s_delay_alu instid0(SALU_CYCLE_1)
	s_or_b32 exec_lo, exec_lo, s15
.LBB264_1253:                           ;   in Loop: Header=BB264_998 Depth=1
	s_delay_alu instid0(SALU_CYCLE_1) | instskip(SKIP_4) | instid1(VALU_DEP_2)
	s_or_b32 exec_lo, exec_lo, s13
	v_mov_b32_e32 v18, 0
	v_lshrrev_b32_e32 v151, 16, v150
	v_mov_b32_e32 v19, 0
	s_mov_b32 s10, exec_lo
	v_and_b32_e32 v6, 0xff, v151
	s_delay_alu instid0(VALU_DEP_2) | instskip(NEXT) | instid1(VALU_DEP_2)
	v_dual_mov_b32 v16, v18 :: v_dual_mov_b32 v17, v19
	v_cmpx_ne_u16_e32 0, v6
	s_cbranch_execz .LBB264_1261
; %bb.1254:                             ;   in Loop: Header=BB264_998 Depth=1
	v_bfrev_b32_e32 v16, 1
	v_mov_b32_e32 v17, 0
	s_mov_b32 s13, exec_lo
	v_cmpx_ne_u16_e32 0x80, v6
	s_cbranch_execz .LBB264_1260
; %bb.1255:                             ;   in Loop: Header=BB264_998 Depth=1
	v_mov_b32_e32 v16, 0x7f800001
	v_bfe_u32 v160, v150, 16, 7
	v_mov_b32_e32 v17, 0
	s_mov_b32 s15, exec_lo
	s_delay_alu instid0(VALU_DEP_2)
	v_cmpx_ne_u32_e32 0x7f, v160
	s_cbranch_execz .LBB264_1259
; %bb.1256:                             ;   in Loop: Header=BB264_998 Depth=1
	v_and_b32_e32 v6, 7, v151
	v_lshrrev_b32_e32 v16, 3, v160
	s_mov_b32 s16, exec_lo
	v_cmpx_gt_u32_e32 8, v160
; %bb.1257:                             ;   in Loop: Header=BB264_998 Depth=1
	s_delay_alu instid0(VALU_DEP_3) | instskip(NEXT) | instid1(VALU_DEP_1)
	v_clz_i32_u32_e32 v16, v6
	v_min_u32_e32 v16, 32, v16
	s_delay_alu instid0(VALU_DEP_1) | instskip(SKIP_1) | instid1(VALU_DEP_2)
	v_subrev_nc_u32_e32 v17, 28, v16
	v_sub_nc_u32_e32 v16, 29, v16
	v_lshlrev_b64 v[160:161], v17, v[6:7]
	s_delay_alu instid0(VALU_DEP_1)
	v_and_b32_e32 v6, 7, v160
; %bb.1258:                             ;   in Loop: Header=BB264_998 Depth=1
	s_or_b32 exec_lo, exec_lo, s16
	v_lshlrev_b32_e32 v17, 24, v151
	s_delay_alu instid0(VALU_DEP_2) | instskip(SKIP_1) | instid1(VALU_DEP_3)
	v_lshlrev_b32_e32 v6, 20, v6
	v_lshl_add_u32 v16, v16, 23, 0x3c000000
	v_and_b32_e32 v17, 0x80000000, v17
	s_delay_alu instid0(VALU_DEP_1) | instskip(NEXT) | instid1(VALU_DEP_1)
	v_or3_b32 v6, v6, v17, v16
	v_dual_mov_b32 v17, v7 :: v_dual_mov_b32 v16, v6
.LBB264_1259:                           ;   in Loop: Header=BB264_998 Depth=1
	s_or_b32 exec_lo, exec_lo, s15
.LBB264_1260:                           ;   in Loop: Header=BB264_998 Depth=1
	s_delay_alu instid0(SALU_CYCLE_1)
	s_or_b32 exec_lo, exec_lo, s13
.LBB264_1261:                           ;   in Loop: Header=BB264_998 Depth=1
	s_delay_alu instid0(SALU_CYCLE_1) | instskip(NEXT) | instid1(SALU_CYCLE_1)
	s_or_b32 exec_lo, exec_lo, s10
	s_mov_b32 s13, exec_lo
	v_cmpx_lt_u32_e32 0xffffff, v150
	s_cbranch_execz .LBB264_1269
; %bb.1262:                             ;   in Loop: Header=BB264_998 Depth=1
	v_lshrrev_b32_e32 v151, 24, v150
	v_dual_mov_b32 v19, s9 :: v_dual_mov_b32 v18, s8
	s_mov_b32 s15, exec_lo
	s_delay_alu instid0(VALU_DEP_2)
	v_cmpx_ne_u32_e32 0x80, v151
	s_cbranch_execz .LBB264_1268
; %bb.1263:                             ;   in Loop: Header=BB264_998 Depth=1
	s_mov_b32 s10, s8
	v_bfe_u32 v150, v150, 24, 7
	v_dual_mov_b32 v19, s11 :: v_dual_mov_b32 v18, s10
	s_mov_b32 s10, exec_lo
	s_delay_alu instid0(VALU_DEP_2)
	v_cmpx_ne_u32_e32 0x7f, v150
	s_cbranch_execz .LBB264_1267
; %bb.1264:                             ;   in Loop: Header=BB264_998 Depth=1
	v_and_b32_e32 v6, 7, v151
	v_lshrrev_b32_e32 v18, 3, v150
	s_mov_b32 s16, exec_lo
	v_cmpx_gt_u32_e32 8, v150
; %bb.1265:                             ;   in Loop: Header=BB264_998 Depth=1
	s_delay_alu instid0(VALU_DEP_3) | instskip(NEXT) | instid1(VALU_DEP_1)
	v_clz_i32_u32_e32 v18, v6
	v_min_u32_e32 v18, 32, v18
	s_delay_alu instid0(VALU_DEP_1) | instskip(SKIP_1) | instid1(VALU_DEP_2)
	v_subrev_nc_u32_e32 v19, 28, v18
	v_sub_nc_u32_e32 v18, 29, v18
	v_lshlrev_b64 v[160:161], v19, v[6:7]
	s_delay_alu instid0(VALU_DEP_1)
	v_and_b32_e32 v6, 7, v160
; %bb.1266:                             ;   in Loop: Header=BB264_998 Depth=1
	s_or_b32 exec_lo, exec_lo, s16
	v_lshlrev_b32_e32 v19, 24, v151
	s_delay_alu instid0(VALU_DEP_2) | instskip(SKIP_1) | instid1(VALU_DEP_3)
	v_lshlrev_b32_e32 v6, 20, v6
	v_lshl_add_u32 v18, v18, 23, 0x3c000000
	v_and_b32_e32 v19, 0x80000000, v19
	s_delay_alu instid0(VALU_DEP_1)
	v_or3_b32 v19, v6, v19, v18
	v_mov_b32_e32 v18, v7
.LBB264_1267:                           ;   in Loop: Header=BB264_998 Depth=1
	s_or_b32 exec_lo, exec_lo, s10
.LBB264_1268:                           ;   in Loop: Header=BB264_998 Depth=1
	s_delay_alu instid0(SALU_CYCLE_1)
	s_or_b32 exec_lo, exec_lo, s15
.LBB264_1269:                           ;   in Loop: Header=BB264_998 Depth=1
	s_delay_alu instid0(SALU_CYCLE_1) | instskip(SKIP_4) | instid1(VALU_DEP_4)
	s_or_b32 exec_lo, exec_lo, s13
	v_or_b32_e32 v5, v15, v5
	v_or_b32_e32 v4, v14, v4
	;; [unrolled: 1-line block ×4, first 2 shown]
	v_mul_f32_e32 v161, v85, v5
	s_delay_alu instid0(VALU_DEP_4) | instskip(NEXT) | instid1(VALU_DEP_4)
	v_mul_f32_e32 v160, v85, v4
	v_mul_f32_e32 v150, v85, v6
	s_delay_alu instid0(VALU_DEP_4)
	v_mul_f32_e32 v151, v85, v14
	s_and_saveexec_b32 s10, vcc_lo
; %bb.1270:                             ;   in Loop: Header=BB264_998 Depth=1
	v_cmp_lt_i32_e64 s0, v98, v22
	s_delay_alu instid0(VALU_DEP_1) | instskip(SKIP_1) | instid1(VALU_DEP_1)
	v_cndmask_b32_e64 v160, 0, v160, s0
	v_cmp_lt_i32_e64 s0, v101, v22
	v_cndmask_b32_e64 v161, 0, v161, s0
	v_cmp_lt_i32_e64 s0, v100, v22
	s_delay_alu instid0(VALU_DEP_1) | instskip(SKIP_1) | instid1(VALU_DEP_1)
	v_cndmask_b32_e64 v151, 0, v151, s0
	v_cmp_lt_i32_e64 s0, v99, v22
	v_cndmask_b32_e64 v150, 0, v150, s0
; %bb.1271:                             ;   in Loop: Header=BB264_998 Depth=1
	s_or_b32 exec_lo, exec_lo, s10
	flat_load_b32 v162, v[12:13] offset:1024
	v_mov_b32_e32 v14, 0
	v_mov_b32_e32 v15, 0
	s_mov_b32 s10, exec_lo
	s_waitcnt vmcnt(0) lgkmcnt(0)
	v_and_b32_e32 v6, 0xff, v162
	s_delay_alu instid0(VALU_DEP_2) | instskip(NEXT) | instid1(VALU_DEP_2)
	v_dual_mov_b32 v4, v14 :: v_dual_mov_b32 v5, v15
	v_cmpx_ne_u16_e32 0, v6
	s_cbranch_execz .LBB264_1279
; %bb.1272:                             ;   in Loop: Header=BB264_998 Depth=1
	v_bfrev_b32_e32 v4, 1
	v_mov_b32_e32 v5, 0
	s_mov_b32 s13, exec_lo
	v_cmpx_ne_u16_e32 0x80, v6
	s_cbranch_execz .LBB264_1278
; %bb.1273:                             ;   in Loop: Header=BB264_998 Depth=1
	v_mov_b32_e32 v4, 0x7f800001
	v_dual_mov_b32 v5, 0 :: v_dual_and_b32 v16, 0x7f, v162
	s_mov_b32 s15, exec_lo
	s_delay_alu instid0(VALU_DEP_1)
	v_cmpx_ne_u32_e32 0x7f, v16
	s_cbranch_execz .LBB264_1277
; %bb.1274:                             ;   in Loop: Header=BB264_998 Depth=1
	v_and_b32_e32 v6, 7, v162
	v_lshrrev_b32_e32 v4, 3, v16
	s_mov_b32 s16, exec_lo
	v_cmpx_gt_u32_e32 8, v16
; %bb.1275:                             ;   in Loop: Header=BB264_998 Depth=1
	s_delay_alu instid0(VALU_DEP_3) | instskip(NEXT) | instid1(VALU_DEP_1)
	v_clz_i32_u32_e32 v4, v6
	v_min_u32_e32 v4, 32, v4
	s_delay_alu instid0(VALU_DEP_1) | instskip(SKIP_1) | instid1(VALU_DEP_2)
	v_subrev_nc_u32_e32 v5, 28, v4
	v_sub_nc_u32_e32 v4, 29, v4
	v_lshlrev_b64 v[5:6], v5, v[6:7]
	s_delay_alu instid0(VALU_DEP_1)
	v_and_b32_e32 v6, 7, v5
; %bb.1276:                             ;   in Loop: Header=BB264_998 Depth=1
	s_or_b32 exec_lo, exec_lo, s16
	v_lshlrev_b32_e32 v5, 24, v162
	s_delay_alu instid0(VALU_DEP_2) | instskip(SKIP_1) | instid1(VALU_DEP_3)
	v_lshlrev_b32_e32 v6, 20, v6
	v_lshl_add_u32 v4, v4, 23, 0x3c000000
	v_and_b32_e32 v5, 0x80000000, v5
	s_delay_alu instid0(VALU_DEP_1) | instskip(NEXT) | instid1(VALU_DEP_1)
	v_or3_b32 v6, v6, v5, v4
	v_dual_mov_b32 v4, v6 :: v_dual_mov_b32 v5, v7
.LBB264_1277:                           ;   in Loop: Header=BB264_998 Depth=1
	s_or_b32 exec_lo, exec_lo, s15
.LBB264_1278:                           ;   in Loop: Header=BB264_998 Depth=1
	s_delay_alu instid0(SALU_CYCLE_1)
	s_or_b32 exec_lo, exec_lo, s13
.LBB264_1279:                           ;   in Loop: Header=BB264_998 Depth=1
	s_delay_alu instid0(SALU_CYCLE_1) | instskip(SKIP_2) | instid1(VALU_DEP_1)
	s_or_b32 exec_lo, exec_lo, s10
	v_lshrrev_b16 v6, 8, v162
	s_mov_b32 s13, exec_lo
	v_cmpx_ne_u16_e32 0, v6
	s_cbranch_execz .LBB264_1287
; %bb.1280:                             ;   in Loop: Header=BB264_998 Depth=1
	v_dual_mov_b32 v15, s9 :: v_dual_mov_b32 v14, s8
	s_mov_b32 s15, exec_lo
	v_cmpx_ne_u16_e32 0x80, v6
	s_cbranch_execz .LBB264_1286
; %bb.1281:                             ;   in Loop: Header=BB264_998 Depth=1
	s_mov_b32 s10, s8
	v_dual_mov_b32 v15, s11 :: v_dual_and_b32 v6, 0xffff, v6
	v_mov_b32_e32 v14, s10
	s_mov_b32 s10, exec_lo
	s_delay_alu instid0(VALU_DEP_2) | instskip(NEXT) | instid1(VALU_DEP_1)
	v_and_b32_e32 v16, 0x7f, v6
	v_cmpx_ne_u32_e32 0x7f, v16
	s_cbranch_execz .LBB264_1285
; %bb.1282:                             ;   in Loop: Header=BB264_998 Depth=1
	v_and_b32_e32 v6, 7, v6
	v_lshrrev_b32_e32 v14, 3, v16
	s_mov_b32 s16, exec_lo
	v_cmpx_gt_u32_e32 8, v16
; %bb.1283:                             ;   in Loop: Header=BB264_998 Depth=1
	s_delay_alu instid0(VALU_DEP_3) | instskip(NEXT) | instid1(VALU_DEP_1)
	v_clz_i32_u32_e32 v14, v6
	v_min_u32_e32 v14, 32, v14
	s_delay_alu instid0(VALU_DEP_1) | instskip(SKIP_1) | instid1(VALU_DEP_2)
	v_subrev_nc_u32_e32 v15, 28, v14
	v_sub_nc_u32_e32 v14, 29, v14
	v_lshlrev_b64 v[15:16], v15, v[6:7]
	s_delay_alu instid0(VALU_DEP_1)
	v_and_b32_e32 v6, 7, v15
; %bb.1284:                             ;   in Loop: Header=BB264_998 Depth=1
	s_or_b32 exec_lo, exec_lo, s16
	v_lshlrev_b32_e32 v15, 16, v162
	s_delay_alu instid0(VALU_DEP_2) | instskip(SKIP_1) | instid1(VALU_DEP_3)
	v_lshlrev_b32_e32 v6, 20, v6
	v_lshl_add_u32 v14, v14, 23, 0x3c000000
	v_and_b32_e32 v15, 0x80000000, v15
	s_delay_alu instid0(VALU_DEP_1)
	v_or3_b32 v15, v6, v15, v14
	v_mov_b32_e32 v14, v7
.LBB264_1285:                           ;   in Loop: Header=BB264_998 Depth=1
	s_or_b32 exec_lo, exec_lo, s10
.LBB264_1286:                           ;   in Loop: Header=BB264_998 Depth=1
	s_delay_alu instid0(SALU_CYCLE_1)
	s_or_b32 exec_lo, exec_lo, s15
.LBB264_1287:                           ;   in Loop: Header=BB264_998 Depth=1
	s_delay_alu instid0(SALU_CYCLE_1) | instskip(SKIP_4) | instid1(VALU_DEP_2)
	s_or_b32 exec_lo, exec_lo, s13
	v_mov_b32_e32 v18, 0
	v_lshrrev_b32_e32 v163, 16, v162
	v_mov_b32_e32 v19, 0
	s_mov_b32 s10, exec_lo
	v_and_b32_e32 v6, 0xff, v163
	s_delay_alu instid0(VALU_DEP_2) | instskip(NEXT) | instid1(VALU_DEP_2)
	v_dual_mov_b32 v16, v18 :: v_dual_mov_b32 v17, v19
	v_cmpx_ne_u16_e32 0, v6
	s_cbranch_execz .LBB264_1295
; %bb.1288:                             ;   in Loop: Header=BB264_998 Depth=1
	v_bfrev_b32_e32 v16, 1
	v_mov_b32_e32 v17, 0
	s_mov_b32 s13, exec_lo
	v_cmpx_ne_u16_e32 0x80, v6
	s_cbranch_execz .LBB264_1294
; %bb.1289:                             ;   in Loop: Header=BB264_998 Depth=1
	v_mov_b32_e32 v16, 0x7f800001
	v_bfe_u32 v164, v162, 16, 7
	v_mov_b32_e32 v17, 0
	s_mov_b32 s15, exec_lo
	s_delay_alu instid0(VALU_DEP_2)
	v_cmpx_ne_u32_e32 0x7f, v164
	s_cbranch_execz .LBB264_1293
; %bb.1290:                             ;   in Loop: Header=BB264_998 Depth=1
	v_and_b32_e32 v6, 7, v163
	v_lshrrev_b32_e32 v16, 3, v164
	s_mov_b32 s16, exec_lo
	v_cmpx_gt_u32_e32 8, v164
; %bb.1291:                             ;   in Loop: Header=BB264_998 Depth=1
	s_delay_alu instid0(VALU_DEP_3) | instskip(NEXT) | instid1(VALU_DEP_1)
	v_clz_i32_u32_e32 v16, v6
	v_min_u32_e32 v16, 32, v16
	s_delay_alu instid0(VALU_DEP_1) | instskip(SKIP_1) | instid1(VALU_DEP_2)
	v_subrev_nc_u32_e32 v17, 28, v16
	v_sub_nc_u32_e32 v16, 29, v16
	v_lshlrev_b64 v[164:165], v17, v[6:7]
	s_delay_alu instid0(VALU_DEP_1)
	v_and_b32_e32 v6, 7, v164
; %bb.1292:                             ;   in Loop: Header=BB264_998 Depth=1
	s_or_b32 exec_lo, exec_lo, s16
	v_lshlrev_b32_e32 v17, 24, v163
	s_delay_alu instid0(VALU_DEP_2) | instskip(SKIP_1) | instid1(VALU_DEP_3)
	v_lshlrev_b32_e32 v6, 20, v6
	v_lshl_add_u32 v16, v16, 23, 0x3c000000
	v_and_b32_e32 v17, 0x80000000, v17
	s_delay_alu instid0(VALU_DEP_1) | instskip(NEXT) | instid1(VALU_DEP_1)
	v_or3_b32 v6, v6, v17, v16
	v_dual_mov_b32 v17, v7 :: v_dual_mov_b32 v16, v6
.LBB264_1293:                           ;   in Loop: Header=BB264_998 Depth=1
	s_or_b32 exec_lo, exec_lo, s15
.LBB264_1294:                           ;   in Loop: Header=BB264_998 Depth=1
	s_delay_alu instid0(SALU_CYCLE_1)
	s_or_b32 exec_lo, exec_lo, s13
.LBB264_1295:                           ;   in Loop: Header=BB264_998 Depth=1
	s_delay_alu instid0(SALU_CYCLE_1) | instskip(NEXT) | instid1(SALU_CYCLE_1)
	s_or_b32 exec_lo, exec_lo, s10
	s_mov_b32 s13, exec_lo
	v_cmpx_lt_u32_e32 0xffffff, v162
	s_cbranch_execz .LBB264_1303
; %bb.1296:                             ;   in Loop: Header=BB264_998 Depth=1
	v_lshrrev_b32_e32 v163, 24, v162
	v_dual_mov_b32 v19, s9 :: v_dual_mov_b32 v18, s8
	s_mov_b32 s15, exec_lo
	s_delay_alu instid0(VALU_DEP_2)
	v_cmpx_ne_u32_e32 0x80, v163
	s_cbranch_execz .LBB264_1302
; %bb.1297:                             ;   in Loop: Header=BB264_998 Depth=1
	s_mov_b32 s10, s8
	v_bfe_u32 v162, v162, 24, 7
	v_dual_mov_b32 v19, s11 :: v_dual_mov_b32 v18, s10
	s_mov_b32 s10, exec_lo
	s_delay_alu instid0(VALU_DEP_2)
	v_cmpx_ne_u32_e32 0x7f, v162
	s_cbranch_execz .LBB264_1301
; %bb.1298:                             ;   in Loop: Header=BB264_998 Depth=1
	v_and_b32_e32 v6, 7, v163
	v_lshrrev_b32_e32 v18, 3, v162
	s_mov_b32 s16, exec_lo
	v_cmpx_gt_u32_e32 8, v162
; %bb.1299:                             ;   in Loop: Header=BB264_998 Depth=1
	s_delay_alu instid0(VALU_DEP_3) | instskip(NEXT) | instid1(VALU_DEP_1)
	v_clz_i32_u32_e32 v18, v6
	v_min_u32_e32 v18, 32, v18
	s_delay_alu instid0(VALU_DEP_1) | instskip(SKIP_1) | instid1(VALU_DEP_2)
	v_subrev_nc_u32_e32 v19, 28, v18
	v_sub_nc_u32_e32 v18, 29, v18
	v_lshlrev_b64 v[164:165], v19, v[6:7]
	s_delay_alu instid0(VALU_DEP_1)
	v_and_b32_e32 v6, 7, v164
; %bb.1300:                             ;   in Loop: Header=BB264_998 Depth=1
	s_or_b32 exec_lo, exec_lo, s16
	v_lshlrev_b32_e32 v19, 24, v163
	s_delay_alu instid0(VALU_DEP_2) | instskip(SKIP_1) | instid1(VALU_DEP_3)
	v_lshlrev_b32_e32 v6, 20, v6
	v_lshl_add_u32 v18, v18, 23, 0x3c000000
	v_and_b32_e32 v19, 0x80000000, v19
	s_delay_alu instid0(VALU_DEP_1)
	v_or3_b32 v19, v6, v19, v18
	v_mov_b32_e32 v18, v7
.LBB264_1301:                           ;   in Loop: Header=BB264_998 Depth=1
	s_or_b32 exec_lo, exec_lo, s10
.LBB264_1302:                           ;   in Loop: Header=BB264_998 Depth=1
	s_delay_alu instid0(SALU_CYCLE_1)
	s_or_b32 exec_lo, exec_lo, s15
.LBB264_1303:                           ;   in Loop: Header=BB264_998 Depth=1
	s_delay_alu instid0(SALU_CYCLE_1) | instskip(SKIP_4) | instid1(VALU_DEP_4)
	s_or_b32 exec_lo, exec_lo, s13
	v_or_b32_e32 v5, v15, v5
	v_or_b32_e32 v4, v14, v4
	;; [unrolled: 1-line block ×4, first 2 shown]
	v_mul_f32_e32 v165, v85, v5
	s_delay_alu instid0(VALU_DEP_4) | instskip(NEXT) | instid1(VALU_DEP_4)
	v_mul_f32_e32 v164, v85, v4
	v_mul_f32_e32 v162, v85, v6
	s_delay_alu instid0(VALU_DEP_4)
	v_mul_f32_e32 v163, v85, v14
	s_and_saveexec_b32 s10, vcc_lo
; %bb.1304:                             ;   in Loop: Header=BB264_998 Depth=1
	v_cmp_lt_i32_e64 s0, v98, v22
	s_delay_alu instid0(VALU_DEP_1) | instskip(SKIP_1) | instid1(VALU_DEP_1)
	v_cndmask_b32_e64 v164, 0, v164, s0
	v_cmp_lt_i32_e64 s0, v101, v22
	v_cndmask_b32_e64 v165, 0, v165, s0
	v_cmp_lt_i32_e64 s0, v100, v22
	s_delay_alu instid0(VALU_DEP_1) | instskip(SKIP_1) | instid1(VALU_DEP_1)
	v_cndmask_b32_e64 v163, 0, v163, s0
	v_cmp_lt_i32_e64 s0, v99, v22
	v_cndmask_b32_e64 v162, 0, v162, s0
; %bb.1305:                             ;   in Loop: Header=BB264_998 Depth=1
	s_or_b32 exec_lo, exec_lo, s10
	flat_load_b32 v166, v[12:13] offset:1152
	v_mov_b32_e32 v14, 0
	v_mov_b32_e32 v15, 0
	s_mov_b32 s10, exec_lo
	s_waitcnt vmcnt(0) lgkmcnt(0)
	v_and_b32_e32 v6, 0xff, v166
	s_delay_alu instid0(VALU_DEP_2) | instskip(NEXT) | instid1(VALU_DEP_2)
	v_dual_mov_b32 v4, v14 :: v_dual_mov_b32 v5, v15
	v_cmpx_ne_u16_e32 0, v6
	s_cbranch_execz .LBB264_1313
; %bb.1306:                             ;   in Loop: Header=BB264_998 Depth=1
	v_bfrev_b32_e32 v4, 1
	v_mov_b32_e32 v5, 0
	s_mov_b32 s13, exec_lo
	v_cmpx_ne_u16_e32 0x80, v6
	s_cbranch_execz .LBB264_1312
; %bb.1307:                             ;   in Loop: Header=BB264_998 Depth=1
	v_mov_b32_e32 v4, 0x7f800001
	v_dual_mov_b32 v5, 0 :: v_dual_and_b32 v16, 0x7f, v166
	s_mov_b32 s15, exec_lo
	s_delay_alu instid0(VALU_DEP_1)
	v_cmpx_ne_u32_e32 0x7f, v16
	s_cbranch_execz .LBB264_1311
; %bb.1308:                             ;   in Loop: Header=BB264_998 Depth=1
	v_and_b32_e32 v6, 7, v166
	v_lshrrev_b32_e32 v4, 3, v16
	s_mov_b32 s16, exec_lo
	v_cmpx_gt_u32_e32 8, v16
; %bb.1309:                             ;   in Loop: Header=BB264_998 Depth=1
	s_delay_alu instid0(VALU_DEP_3) | instskip(NEXT) | instid1(VALU_DEP_1)
	v_clz_i32_u32_e32 v4, v6
	v_min_u32_e32 v4, 32, v4
	s_delay_alu instid0(VALU_DEP_1) | instskip(SKIP_1) | instid1(VALU_DEP_2)
	v_subrev_nc_u32_e32 v5, 28, v4
	v_sub_nc_u32_e32 v4, 29, v4
	v_lshlrev_b64 v[5:6], v5, v[6:7]
	s_delay_alu instid0(VALU_DEP_1)
	v_and_b32_e32 v6, 7, v5
; %bb.1310:                             ;   in Loop: Header=BB264_998 Depth=1
	s_or_b32 exec_lo, exec_lo, s16
	v_lshlrev_b32_e32 v5, 24, v166
	s_delay_alu instid0(VALU_DEP_2) | instskip(SKIP_1) | instid1(VALU_DEP_3)
	v_lshlrev_b32_e32 v6, 20, v6
	v_lshl_add_u32 v4, v4, 23, 0x3c000000
	v_and_b32_e32 v5, 0x80000000, v5
	s_delay_alu instid0(VALU_DEP_1) | instskip(NEXT) | instid1(VALU_DEP_1)
	v_or3_b32 v6, v6, v5, v4
	v_dual_mov_b32 v4, v6 :: v_dual_mov_b32 v5, v7
.LBB264_1311:                           ;   in Loop: Header=BB264_998 Depth=1
	s_or_b32 exec_lo, exec_lo, s15
.LBB264_1312:                           ;   in Loop: Header=BB264_998 Depth=1
	s_delay_alu instid0(SALU_CYCLE_1)
	s_or_b32 exec_lo, exec_lo, s13
.LBB264_1313:                           ;   in Loop: Header=BB264_998 Depth=1
	s_delay_alu instid0(SALU_CYCLE_1) | instskip(SKIP_2) | instid1(VALU_DEP_1)
	s_or_b32 exec_lo, exec_lo, s10
	v_lshrrev_b16 v6, 8, v166
	s_mov_b32 s13, exec_lo
	v_cmpx_ne_u16_e32 0, v6
	s_cbranch_execz .LBB264_1321
; %bb.1314:                             ;   in Loop: Header=BB264_998 Depth=1
	v_dual_mov_b32 v15, s9 :: v_dual_mov_b32 v14, s8
	s_mov_b32 s15, exec_lo
	v_cmpx_ne_u16_e32 0x80, v6
	s_cbranch_execz .LBB264_1320
; %bb.1315:                             ;   in Loop: Header=BB264_998 Depth=1
	s_mov_b32 s10, s8
	v_dual_mov_b32 v15, s11 :: v_dual_and_b32 v6, 0xffff, v6
	v_mov_b32_e32 v14, s10
	s_mov_b32 s10, exec_lo
	s_delay_alu instid0(VALU_DEP_2) | instskip(NEXT) | instid1(VALU_DEP_1)
	v_and_b32_e32 v16, 0x7f, v6
	v_cmpx_ne_u32_e32 0x7f, v16
	s_cbranch_execz .LBB264_1319
; %bb.1316:                             ;   in Loop: Header=BB264_998 Depth=1
	v_and_b32_e32 v6, 7, v6
	v_lshrrev_b32_e32 v14, 3, v16
	s_mov_b32 s16, exec_lo
	v_cmpx_gt_u32_e32 8, v16
; %bb.1317:                             ;   in Loop: Header=BB264_998 Depth=1
	s_delay_alu instid0(VALU_DEP_3) | instskip(NEXT) | instid1(VALU_DEP_1)
	v_clz_i32_u32_e32 v14, v6
	v_min_u32_e32 v14, 32, v14
	s_delay_alu instid0(VALU_DEP_1) | instskip(SKIP_1) | instid1(VALU_DEP_2)
	v_subrev_nc_u32_e32 v15, 28, v14
	v_sub_nc_u32_e32 v14, 29, v14
	v_lshlrev_b64 v[15:16], v15, v[6:7]
	s_delay_alu instid0(VALU_DEP_1)
	v_and_b32_e32 v6, 7, v15
; %bb.1318:                             ;   in Loop: Header=BB264_998 Depth=1
	s_or_b32 exec_lo, exec_lo, s16
	v_lshlrev_b32_e32 v15, 16, v166
	s_delay_alu instid0(VALU_DEP_2) | instskip(SKIP_1) | instid1(VALU_DEP_3)
	v_lshlrev_b32_e32 v6, 20, v6
	v_lshl_add_u32 v14, v14, 23, 0x3c000000
	v_and_b32_e32 v15, 0x80000000, v15
	s_delay_alu instid0(VALU_DEP_1)
	v_or3_b32 v15, v6, v15, v14
	v_mov_b32_e32 v14, v7
.LBB264_1319:                           ;   in Loop: Header=BB264_998 Depth=1
	s_or_b32 exec_lo, exec_lo, s10
.LBB264_1320:                           ;   in Loop: Header=BB264_998 Depth=1
	s_delay_alu instid0(SALU_CYCLE_1)
	s_or_b32 exec_lo, exec_lo, s15
.LBB264_1321:                           ;   in Loop: Header=BB264_998 Depth=1
	s_delay_alu instid0(SALU_CYCLE_1) | instskip(SKIP_4) | instid1(VALU_DEP_2)
	s_or_b32 exec_lo, exec_lo, s13
	v_mov_b32_e32 v18, 0
	v_lshrrev_b32_e32 v167, 16, v166
	v_mov_b32_e32 v19, 0
	s_mov_b32 s10, exec_lo
	v_and_b32_e32 v6, 0xff, v167
	s_delay_alu instid0(VALU_DEP_2) | instskip(NEXT) | instid1(VALU_DEP_2)
	v_dual_mov_b32 v16, v18 :: v_dual_mov_b32 v17, v19
	v_cmpx_ne_u16_e32 0, v6
	s_cbranch_execz .LBB264_1329
; %bb.1322:                             ;   in Loop: Header=BB264_998 Depth=1
	v_bfrev_b32_e32 v16, 1
	v_mov_b32_e32 v17, 0
	s_mov_b32 s13, exec_lo
	v_cmpx_ne_u16_e32 0x80, v6
	s_cbranch_execz .LBB264_1328
; %bb.1323:                             ;   in Loop: Header=BB264_998 Depth=1
	v_mov_b32_e32 v16, 0x7f800001
	v_bfe_u32 v176, v166, 16, 7
	v_mov_b32_e32 v17, 0
	s_mov_b32 s15, exec_lo
	s_delay_alu instid0(VALU_DEP_2)
	v_cmpx_ne_u32_e32 0x7f, v176
	s_cbranch_execz .LBB264_1327
; %bb.1324:                             ;   in Loop: Header=BB264_998 Depth=1
	v_and_b32_e32 v6, 7, v167
	v_lshrrev_b32_e32 v16, 3, v176
	s_mov_b32 s16, exec_lo
	v_cmpx_gt_u32_e32 8, v176
; %bb.1325:                             ;   in Loop: Header=BB264_998 Depth=1
	s_delay_alu instid0(VALU_DEP_3) | instskip(NEXT) | instid1(VALU_DEP_1)
	v_clz_i32_u32_e32 v16, v6
	v_min_u32_e32 v16, 32, v16
	s_delay_alu instid0(VALU_DEP_1) | instskip(SKIP_1) | instid1(VALU_DEP_2)
	v_subrev_nc_u32_e32 v17, 28, v16
	v_sub_nc_u32_e32 v16, 29, v16
	v_lshlrev_b64 v[176:177], v17, v[6:7]
	s_delay_alu instid0(VALU_DEP_1)
	v_and_b32_e32 v6, 7, v176
; %bb.1326:                             ;   in Loop: Header=BB264_998 Depth=1
	s_or_b32 exec_lo, exec_lo, s16
	v_lshlrev_b32_e32 v17, 24, v167
	s_delay_alu instid0(VALU_DEP_2) | instskip(SKIP_1) | instid1(VALU_DEP_3)
	v_lshlrev_b32_e32 v6, 20, v6
	v_lshl_add_u32 v16, v16, 23, 0x3c000000
	v_and_b32_e32 v17, 0x80000000, v17
	s_delay_alu instid0(VALU_DEP_1) | instskip(NEXT) | instid1(VALU_DEP_1)
	v_or3_b32 v6, v6, v17, v16
	v_dual_mov_b32 v17, v7 :: v_dual_mov_b32 v16, v6
.LBB264_1327:                           ;   in Loop: Header=BB264_998 Depth=1
	s_or_b32 exec_lo, exec_lo, s15
.LBB264_1328:                           ;   in Loop: Header=BB264_998 Depth=1
	s_delay_alu instid0(SALU_CYCLE_1)
	s_or_b32 exec_lo, exec_lo, s13
.LBB264_1329:                           ;   in Loop: Header=BB264_998 Depth=1
	s_delay_alu instid0(SALU_CYCLE_1) | instskip(NEXT) | instid1(SALU_CYCLE_1)
	s_or_b32 exec_lo, exec_lo, s10
	s_mov_b32 s13, exec_lo
	v_cmpx_lt_u32_e32 0xffffff, v166
	s_cbranch_execz .LBB264_1337
; %bb.1330:                             ;   in Loop: Header=BB264_998 Depth=1
	v_lshrrev_b32_e32 v167, 24, v166
	v_dual_mov_b32 v19, s9 :: v_dual_mov_b32 v18, s8
	s_mov_b32 s15, exec_lo
	s_delay_alu instid0(VALU_DEP_2)
	v_cmpx_ne_u32_e32 0x80, v167
	s_cbranch_execz .LBB264_1336
; %bb.1331:                             ;   in Loop: Header=BB264_998 Depth=1
	s_mov_b32 s10, s8
	v_bfe_u32 v166, v166, 24, 7
	v_dual_mov_b32 v19, s11 :: v_dual_mov_b32 v18, s10
	s_mov_b32 s10, exec_lo
	s_delay_alu instid0(VALU_DEP_2)
	v_cmpx_ne_u32_e32 0x7f, v166
	s_cbranch_execz .LBB264_1335
; %bb.1332:                             ;   in Loop: Header=BB264_998 Depth=1
	v_and_b32_e32 v6, 7, v167
	v_lshrrev_b32_e32 v18, 3, v166
	s_mov_b32 s16, exec_lo
	v_cmpx_gt_u32_e32 8, v166
; %bb.1333:                             ;   in Loop: Header=BB264_998 Depth=1
	s_delay_alu instid0(VALU_DEP_3) | instskip(NEXT) | instid1(VALU_DEP_1)
	v_clz_i32_u32_e32 v18, v6
	v_min_u32_e32 v18, 32, v18
	s_delay_alu instid0(VALU_DEP_1) | instskip(SKIP_1) | instid1(VALU_DEP_2)
	v_subrev_nc_u32_e32 v19, 28, v18
	v_sub_nc_u32_e32 v18, 29, v18
	v_lshlrev_b64 v[176:177], v19, v[6:7]
	s_delay_alu instid0(VALU_DEP_1)
	v_and_b32_e32 v6, 7, v176
; %bb.1334:                             ;   in Loop: Header=BB264_998 Depth=1
	s_or_b32 exec_lo, exec_lo, s16
	v_lshlrev_b32_e32 v19, 24, v167
	s_delay_alu instid0(VALU_DEP_2) | instskip(SKIP_1) | instid1(VALU_DEP_3)
	v_lshlrev_b32_e32 v6, 20, v6
	v_lshl_add_u32 v18, v18, 23, 0x3c000000
	v_and_b32_e32 v19, 0x80000000, v19
	s_delay_alu instid0(VALU_DEP_1)
	v_or3_b32 v19, v6, v19, v18
	v_mov_b32_e32 v18, v7
.LBB264_1335:                           ;   in Loop: Header=BB264_998 Depth=1
	s_or_b32 exec_lo, exec_lo, s10
.LBB264_1336:                           ;   in Loop: Header=BB264_998 Depth=1
	s_delay_alu instid0(SALU_CYCLE_1)
	s_or_b32 exec_lo, exec_lo, s15
.LBB264_1337:                           ;   in Loop: Header=BB264_998 Depth=1
	s_delay_alu instid0(SALU_CYCLE_1) | instskip(SKIP_4) | instid1(VALU_DEP_4)
	s_or_b32 exec_lo, exec_lo, s13
	v_or_b32_e32 v5, v15, v5
	v_or_b32_e32 v4, v14, v4
	;; [unrolled: 1-line block ×4, first 2 shown]
	v_mul_f32_e32 v177, v85, v5
	s_delay_alu instid0(VALU_DEP_4) | instskip(NEXT) | instid1(VALU_DEP_4)
	v_mul_f32_e32 v176, v85, v4
	v_mul_f32_e32 v166, v85, v6
	s_delay_alu instid0(VALU_DEP_4)
	v_mul_f32_e32 v167, v85, v14
	s_and_saveexec_b32 s10, vcc_lo
; %bb.1338:                             ;   in Loop: Header=BB264_998 Depth=1
	v_cmp_lt_i32_e64 s0, v98, v22
	s_delay_alu instid0(VALU_DEP_1) | instskip(SKIP_1) | instid1(VALU_DEP_1)
	v_cndmask_b32_e64 v176, 0, v176, s0
	v_cmp_lt_i32_e64 s0, v101, v22
	v_cndmask_b32_e64 v177, 0, v177, s0
	v_cmp_lt_i32_e64 s0, v100, v22
	s_delay_alu instid0(VALU_DEP_1) | instskip(SKIP_1) | instid1(VALU_DEP_1)
	v_cndmask_b32_e64 v167, 0, v167, s0
	v_cmp_lt_i32_e64 s0, v99, v22
	v_cndmask_b32_e64 v166, 0, v166, s0
; %bb.1339:                             ;   in Loop: Header=BB264_998 Depth=1
	s_or_b32 exec_lo, exec_lo, s10
	flat_load_b32 v178, v[12:13] offset:1280
	v_mov_b32_e32 v14, 0
	v_mov_b32_e32 v15, 0
	s_mov_b32 s10, exec_lo
	s_waitcnt vmcnt(0) lgkmcnt(0)
	v_and_b32_e32 v6, 0xff, v178
	s_delay_alu instid0(VALU_DEP_2) | instskip(NEXT) | instid1(VALU_DEP_2)
	v_dual_mov_b32 v4, v14 :: v_dual_mov_b32 v5, v15
	v_cmpx_ne_u16_e32 0, v6
	s_cbranch_execz .LBB264_1347
; %bb.1340:                             ;   in Loop: Header=BB264_998 Depth=1
	v_bfrev_b32_e32 v4, 1
	v_mov_b32_e32 v5, 0
	s_mov_b32 s13, exec_lo
	v_cmpx_ne_u16_e32 0x80, v6
	s_cbranch_execz .LBB264_1346
; %bb.1341:                             ;   in Loop: Header=BB264_998 Depth=1
	v_mov_b32_e32 v4, 0x7f800001
	v_dual_mov_b32 v5, 0 :: v_dual_and_b32 v16, 0x7f, v178
	s_mov_b32 s15, exec_lo
	s_delay_alu instid0(VALU_DEP_1)
	v_cmpx_ne_u32_e32 0x7f, v16
	s_cbranch_execz .LBB264_1345
; %bb.1342:                             ;   in Loop: Header=BB264_998 Depth=1
	v_and_b32_e32 v6, 7, v178
	v_lshrrev_b32_e32 v4, 3, v16
	s_mov_b32 s16, exec_lo
	v_cmpx_gt_u32_e32 8, v16
; %bb.1343:                             ;   in Loop: Header=BB264_998 Depth=1
	s_delay_alu instid0(VALU_DEP_3) | instskip(NEXT) | instid1(VALU_DEP_1)
	v_clz_i32_u32_e32 v4, v6
	v_min_u32_e32 v4, 32, v4
	s_delay_alu instid0(VALU_DEP_1) | instskip(SKIP_1) | instid1(VALU_DEP_2)
	v_subrev_nc_u32_e32 v5, 28, v4
	v_sub_nc_u32_e32 v4, 29, v4
	v_lshlrev_b64 v[5:6], v5, v[6:7]
	s_delay_alu instid0(VALU_DEP_1)
	v_and_b32_e32 v6, 7, v5
; %bb.1344:                             ;   in Loop: Header=BB264_998 Depth=1
	s_or_b32 exec_lo, exec_lo, s16
	v_lshlrev_b32_e32 v5, 24, v178
	s_delay_alu instid0(VALU_DEP_2) | instskip(SKIP_1) | instid1(VALU_DEP_3)
	v_lshlrev_b32_e32 v6, 20, v6
	v_lshl_add_u32 v4, v4, 23, 0x3c000000
	v_and_b32_e32 v5, 0x80000000, v5
	s_delay_alu instid0(VALU_DEP_1) | instskip(NEXT) | instid1(VALU_DEP_1)
	v_or3_b32 v6, v6, v5, v4
	v_dual_mov_b32 v4, v6 :: v_dual_mov_b32 v5, v7
.LBB264_1345:                           ;   in Loop: Header=BB264_998 Depth=1
	s_or_b32 exec_lo, exec_lo, s15
.LBB264_1346:                           ;   in Loop: Header=BB264_998 Depth=1
	s_delay_alu instid0(SALU_CYCLE_1)
	s_or_b32 exec_lo, exec_lo, s13
.LBB264_1347:                           ;   in Loop: Header=BB264_998 Depth=1
	s_delay_alu instid0(SALU_CYCLE_1) | instskip(SKIP_2) | instid1(VALU_DEP_1)
	s_or_b32 exec_lo, exec_lo, s10
	v_lshrrev_b16 v6, 8, v178
	s_mov_b32 s13, exec_lo
	v_cmpx_ne_u16_e32 0, v6
	s_cbranch_execz .LBB264_1355
; %bb.1348:                             ;   in Loop: Header=BB264_998 Depth=1
	v_dual_mov_b32 v15, s9 :: v_dual_mov_b32 v14, s8
	s_mov_b32 s15, exec_lo
	v_cmpx_ne_u16_e32 0x80, v6
	s_cbranch_execz .LBB264_1354
; %bb.1349:                             ;   in Loop: Header=BB264_998 Depth=1
	s_mov_b32 s10, s8
	v_dual_mov_b32 v15, s11 :: v_dual_and_b32 v6, 0xffff, v6
	v_mov_b32_e32 v14, s10
	s_mov_b32 s10, exec_lo
	s_delay_alu instid0(VALU_DEP_2) | instskip(NEXT) | instid1(VALU_DEP_1)
	v_and_b32_e32 v16, 0x7f, v6
	v_cmpx_ne_u32_e32 0x7f, v16
	s_cbranch_execz .LBB264_1353
; %bb.1350:                             ;   in Loop: Header=BB264_998 Depth=1
	v_and_b32_e32 v6, 7, v6
	v_lshrrev_b32_e32 v14, 3, v16
	s_mov_b32 s16, exec_lo
	v_cmpx_gt_u32_e32 8, v16
; %bb.1351:                             ;   in Loop: Header=BB264_998 Depth=1
	s_delay_alu instid0(VALU_DEP_3) | instskip(NEXT) | instid1(VALU_DEP_1)
	v_clz_i32_u32_e32 v14, v6
	v_min_u32_e32 v14, 32, v14
	s_delay_alu instid0(VALU_DEP_1) | instskip(SKIP_1) | instid1(VALU_DEP_2)
	v_subrev_nc_u32_e32 v15, 28, v14
	v_sub_nc_u32_e32 v14, 29, v14
	v_lshlrev_b64 v[15:16], v15, v[6:7]
	s_delay_alu instid0(VALU_DEP_1)
	v_and_b32_e32 v6, 7, v15
; %bb.1352:                             ;   in Loop: Header=BB264_998 Depth=1
	s_or_b32 exec_lo, exec_lo, s16
	v_lshlrev_b32_e32 v15, 16, v178
	s_delay_alu instid0(VALU_DEP_2) | instskip(SKIP_1) | instid1(VALU_DEP_3)
	v_lshlrev_b32_e32 v6, 20, v6
	v_lshl_add_u32 v14, v14, 23, 0x3c000000
	v_and_b32_e32 v15, 0x80000000, v15
	s_delay_alu instid0(VALU_DEP_1)
	v_or3_b32 v15, v6, v15, v14
	v_mov_b32_e32 v14, v7
.LBB264_1353:                           ;   in Loop: Header=BB264_998 Depth=1
	s_or_b32 exec_lo, exec_lo, s10
.LBB264_1354:                           ;   in Loop: Header=BB264_998 Depth=1
	s_delay_alu instid0(SALU_CYCLE_1)
	s_or_b32 exec_lo, exec_lo, s15
.LBB264_1355:                           ;   in Loop: Header=BB264_998 Depth=1
	s_delay_alu instid0(SALU_CYCLE_1) | instskip(SKIP_4) | instid1(VALU_DEP_2)
	s_or_b32 exec_lo, exec_lo, s13
	v_mov_b32_e32 v18, 0
	v_lshrrev_b32_e32 v179, 16, v178
	v_mov_b32_e32 v19, 0
	s_mov_b32 s10, exec_lo
	v_and_b32_e32 v6, 0xff, v179
	s_delay_alu instid0(VALU_DEP_2) | instskip(NEXT) | instid1(VALU_DEP_2)
	v_dual_mov_b32 v16, v18 :: v_dual_mov_b32 v17, v19
	v_cmpx_ne_u16_e32 0, v6
	s_cbranch_execz .LBB264_1363
; %bb.1356:                             ;   in Loop: Header=BB264_998 Depth=1
	v_bfrev_b32_e32 v16, 1
	v_mov_b32_e32 v17, 0
	s_mov_b32 s13, exec_lo
	v_cmpx_ne_u16_e32 0x80, v6
	s_cbranch_execz .LBB264_1362
; %bb.1357:                             ;   in Loop: Header=BB264_998 Depth=1
	v_mov_b32_e32 v16, 0x7f800001
	v_bfe_u32 v180, v178, 16, 7
	v_mov_b32_e32 v17, 0
	s_mov_b32 s15, exec_lo
	s_delay_alu instid0(VALU_DEP_2)
	v_cmpx_ne_u32_e32 0x7f, v180
	s_cbranch_execz .LBB264_1361
; %bb.1358:                             ;   in Loop: Header=BB264_998 Depth=1
	v_and_b32_e32 v6, 7, v179
	v_lshrrev_b32_e32 v16, 3, v180
	s_mov_b32 s16, exec_lo
	v_cmpx_gt_u32_e32 8, v180
; %bb.1359:                             ;   in Loop: Header=BB264_998 Depth=1
	s_delay_alu instid0(VALU_DEP_3) | instskip(NEXT) | instid1(VALU_DEP_1)
	v_clz_i32_u32_e32 v16, v6
	v_min_u32_e32 v16, 32, v16
	s_delay_alu instid0(VALU_DEP_1) | instskip(SKIP_1) | instid1(VALU_DEP_2)
	v_subrev_nc_u32_e32 v17, 28, v16
	v_sub_nc_u32_e32 v16, 29, v16
	v_lshlrev_b64 v[180:181], v17, v[6:7]
	s_delay_alu instid0(VALU_DEP_1)
	v_and_b32_e32 v6, 7, v180
; %bb.1360:                             ;   in Loop: Header=BB264_998 Depth=1
	s_or_b32 exec_lo, exec_lo, s16
	v_lshlrev_b32_e32 v17, 24, v179
	s_delay_alu instid0(VALU_DEP_2) | instskip(SKIP_1) | instid1(VALU_DEP_3)
	v_lshlrev_b32_e32 v6, 20, v6
	v_lshl_add_u32 v16, v16, 23, 0x3c000000
	v_and_b32_e32 v17, 0x80000000, v17
	s_delay_alu instid0(VALU_DEP_1) | instskip(NEXT) | instid1(VALU_DEP_1)
	v_or3_b32 v6, v6, v17, v16
	v_dual_mov_b32 v17, v7 :: v_dual_mov_b32 v16, v6
.LBB264_1361:                           ;   in Loop: Header=BB264_998 Depth=1
	s_or_b32 exec_lo, exec_lo, s15
.LBB264_1362:                           ;   in Loop: Header=BB264_998 Depth=1
	s_delay_alu instid0(SALU_CYCLE_1)
	s_or_b32 exec_lo, exec_lo, s13
.LBB264_1363:                           ;   in Loop: Header=BB264_998 Depth=1
	s_delay_alu instid0(SALU_CYCLE_1) | instskip(NEXT) | instid1(SALU_CYCLE_1)
	s_or_b32 exec_lo, exec_lo, s10
	s_mov_b32 s13, exec_lo
	v_cmpx_lt_u32_e32 0xffffff, v178
	s_cbranch_execz .LBB264_1371
; %bb.1364:                             ;   in Loop: Header=BB264_998 Depth=1
	v_lshrrev_b32_e32 v179, 24, v178
	v_dual_mov_b32 v19, s9 :: v_dual_mov_b32 v18, s8
	s_mov_b32 s15, exec_lo
	s_delay_alu instid0(VALU_DEP_2)
	v_cmpx_ne_u32_e32 0x80, v179
	s_cbranch_execz .LBB264_1370
; %bb.1365:                             ;   in Loop: Header=BB264_998 Depth=1
	s_mov_b32 s10, s8
	v_bfe_u32 v178, v178, 24, 7
	v_dual_mov_b32 v19, s11 :: v_dual_mov_b32 v18, s10
	s_mov_b32 s10, exec_lo
	s_delay_alu instid0(VALU_DEP_2)
	v_cmpx_ne_u32_e32 0x7f, v178
	s_cbranch_execz .LBB264_1369
; %bb.1366:                             ;   in Loop: Header=BB264_998 Depth=1
	v_and_b32_e32 v6, 7, v179
	v_lshrrev_b32_e32 v18, 3, v178
	s_mov_b32 s16, exec_lo
	v_cmpx_gt_u32_e32 8, v178
; %bb.1367:                             ;   in Loop: Header=BB264_998 Depth=1
	s_delay_alu instid0(VALU_DEP_3) | instskip(NEXT) | instid1(VALU_DEP_1)
	v_clz_i32_u32_e32 v18, v6
	v_min_u32_e32 v18, 32, v18
	s_delay_alu instid0(VALU_DEP_1) | instskip(SKIP_1) | instid1(VALU_DEP_2)
	v_subrev_nc_u32_e32 v19, 28, v18
	v_sub_nc_u32_e32 v18, 29, v18
	v_lshlrev_b64 v[180:181], v19, v[6:7]
	s_delay_alu instid0(VALU_DEP_1)
	v_and_b32_e32 v6, 7, v180
; %bb.1368:                             ;   in Loop: Header=BB264_998 Depth=1
	s_or_b32 exec_lo, exec_lo, s16
	v_lshlrev_b32_e32 v19, 24, v179
	s_delay_alu instid0(VALU_DEP_2) | instskip(SKIP_1) | instid1(VALU_DEP_3)
	v_lshlrev_b32_e32 v6, 20, v6
	v_lshl_add_u32 v18, v18, 23, 0x3c000000
	v_and_b32_e32 v19, 0x80000000, v19
	s_delay_alu instid0(VALU_DEP_1)
	v_or3_b32 v19, v6, v19, v18
	v_mov_b32_e32 v18, v7
.LBB264_1369:                           ;   in Loop: Header=BB264_998 Depth=1
	s_or_b32 exec_lo, exec_lo, s10
.LBB264_1370:                           ;   in Loop: Header=BB264_998 Depth=1
	s_delay_alu instid0(SALU_CYCLE_1)
	s_or_b32 exec_lo, exec_lo, s15
.LBB264_1371:                           ;   in Loop: Header=BB264_998 Depth=1
	s_delay_alu instid0(SALU_CYCLE_1) | instskip(SKIP_4) | instid1(VALU_DEP_4)
	s_or_b32 exec_lo, exec_lo, s13
	v_or_b32_e32 v5, v15, v5
	v_or_b32_e32 v4, v14, v4
	;; [unrolled: 1-line block ×4, first 2 shown]
	v_mul_f32_e32 v181, v85, v5
	s_delay_alu instid0(VALU_DEP_4) | instskip(NEXT) | instid1(VALU_DEP_4)
	v_mul_f32_e32 v180, v85, v4
	v_mul_f32_e32 v178, v85, v6
	s_delay_alu instid0(VALU_DEP_4)
	v_mul_f32_e32 v179, v85, v14
	s_and_saveexec_b32 s10, vcc_lo
; %bb.1372:                             ;   in Loop: Header=BB264_998 Depth=1
	v_cmp_lt_i32_e64 s0, v98, v22
	s_delay_alu instid0(VALU_DEP_1) | instskip(SKIP_1) | instid1(VALU_DEP_1)
	v_cndmask_b32_e64 v180, 0, v180, s0
	v_cmp_lt_i32_e64 s0, v101, v22
	v_cndmask_b32_e64 v181, 0, v181, s0
	v_cmp_lt_i32_e64 s0, v100, v22
	s_delay_alu instid0(VALU_DEP_1) | instskip(SKIP_1) | instid1(VALU_DEP_1)
	v_cndmask_b32_e64 v179, 0, v179, s0
	v_cmp_lt_i32_e64 s0, v99, v22
	v_cndmask_b32_e64 v178, 0, v178, s0
; %bb.1373:                             ;   in Loop: Header=BB264_998 Depth=1
	s_or_b32 exec_lo, exec_lo, s10
	flat_load_b32 v182, v[12:13] offset:1408
	v_mov_b32_e32 v14, 0
	v_mov_b32_e32 v15, 0
	s_mov_b32 s10, exec_lo
	s_waitcnt vmcnt(0) lgkmcnt(0)
	v_and_b32_e32 v6, 0xff, v182
	s_delay_alu instid0(VALU_DEP_2) | instskip(NEXT) | instid1(VALU_DEP_2)
	v_dual_mov_b32 v4, v14 :: v_dual_mov_b32 v5, v15
	v_cmpx_ne_u16_e32 0, v6
	s_cbranch_execz .LBB264_1381
; %bb.1374:                             ;   in Loop: Header=BB264_998 Depth=1
	v_bfrev_b32_e32 v4, 1
	v_mov_b32_e32 v5, 0
	s_mov_b32 s13, exec_lo
	v_cmpx_ne_u16_e32 0x80, v6
	s_cbranch_execz .LBB264_1380
; %bb.1375:                             ;   in Loop: Header=BB264_998 Depth=1
	v_mov_b32_e32 v4, 0x7f800001
	v_dual_mov_b32 v5, 0 :: v_dual_and_b32 v16, 0x7f, v182
	s_mov_b32 s15, exec_lo
	s_delay_alu instid0(VALU_DEP_1)
	v_cmpx_ne_u32_e32 0x7f, v16
	s_cbranch_execz .LBB264_1379
; %bb.1376:                             ;   in Loop: Header=BB264_998 Depth=1
	v_and_b32_e32 v6, 7, v182
	v_lshrrev_b32_e32 v4, 3, v16
	s_mov_b32 s16, exec_lo
	v_cmpx_gt_u32_e32 8, v16
; %bb.1377:                             ;   in Loop: Header=BB264_998 Depth=1
	s_delay_alu instid0(VALU_DEP_3) | instskip(NEXT) | instid1(VALU_DEP_1)
	v_clz_i32_u32_e32 v4, v6
	v_min_u32_e32 v4, 32, v4
	s_delay_alu instid0(VALU_DEP_1) | instskip(SKIP_1) | instid1(VALU_DEP_2)
	v_subrev_nc_u32_e32 v5, 28, v4
	v_sub_nc_u32_e32 v4, 29, v4
	v_lshlrev_b64 v[5:6], v5, v[6:7]
	s_delay_alu instid0(VALU_DEP_1)
	v_and_b32_e32 v6, 7, v5
; %bb.1378:                             ;   in Loop: Header=BB264_998 Depth=1
	s_or_b32 exec_lo, exec_lo, s16
	v_lshlrev_b32_e32 v5, 24, v182
	s_delay_alu instid0(VALU_DEP_2) | instskip(SKIP_1) | instid1(VALU_DEP_3)
	v_lshlrev_b32_e32 v6, 20, v6
	v_lshl_add_u32 v4, v4, 23, 0x3c000000
	v_and_b32_e32 v5, 0x80000000, v5
	s_delay_alu instid0(VALU_DEP_1) | instskip(NEXT) | instid1(VALU_DEP_1)
	v_or3_b32 v6, v6, v5, v4
	v_dual_mov_b32 v4, v6 :: v_dual_mov_b32 v5, v7
.LBB264_1379:                           ;   in Loop: Header=BB264_998 Depth=1
	s_or_b32 exec_lo, exec_lo, s15
.LBB264_1380:                           ;   in Loop: Header=BB264_998 Depth=1
	s_delay_alu instid0(SALU_CYCLE_1)
	s_or_b32 exec_lo, exec_lo, s13
.LBB264_1381:                           ;   in Loop: Header=BB264_998 Depth=1
	s_delay_alu instid0(SALU_CYCLE_1) | instskip(SKIP_2) | instid1(VALU_DEP_1)
	s_or_b32 exec_lo, exec_lo, s10
	v_lshrrev_b16 v6, 8, v182
	s_mov_b32 s13, exec_lo
	v_cmpx_ne_u16_e32 0, v6
	s_cbranch_execz .LBB264_1389
; %bb.1382:                             ;   in Loop: Header=BB264_998 Depth=1
	v_dual_mov_b32 v15, s9 :: v_dual_mov_b32 v14, s8
	s_mov_b32 s15, exec_lo
	v_cmpx_ne_u16_e32 0x80, v6
	s_cbranch_execz .LBB264_1388
; %bb.1383:                             ;   in Loop: Header=BB264_998 Depth=1
	s_mov_b32 s10, s8
	v_dual_mov_b32 v15, s11 :: v_dual_and_b32 v6, 0xffff, v6
	v_mov_b32_e32 v14, s10
	s_mov_b32 s10, exec_lo
	s_delay_alu instid0(VALU_DEP_2) | instskip(NEXT) | instid1(VALU_DEP_1)
	v_and_b32_e32 v16, 0x7f, v6
	v_cmpx_ne_u32_e32 0x7f, v16
	s_cbranch_execz .LBB264_1387
; %bb.1384:                             ;   in Loop: Header=BB264_998 Depth=1
	v_and_b32_e32 v6, 7, v6
	v_lshrrev_b32_e32 v14, 3, v16
	s_mov_b32 s16, exec_lo
	v_cmpx_gt_u32_e32 8, v16
; %bb.1385:                             ;   in Loop: Header=BB264_998 Depth=1
	s_delay_alu instid0(VALU_DEP_3) | instskip(NEXT) | instid1(VALU_DEP_1)
	v_clz_i32_u32_e32 v14, v6
	v_min_u32_e32 v14, 32, v14
	s_delay_alu instid0(VALU_DEP_1) | instskip(SKIP_1) | instid1(VALU_DEP_2)
	v_subrev_nc_u32_e32 v15, 28, v14
	v_sub_nc_u32_e32 v14, 29, v14
	v_lshlrev_b64 v[15:16], v15, v[6:7]
	s_delay_alu instid0(VALU_DEP_1)
	v_and_b32_e32 v6, 7, v15
; %bb.1386:                             ;   in Loop: Header=BB264_998 Depth=1
	s_or_b32 exec_lo, exec_lo, s16
	v_lshlrev_b32_e32 v15, 16, v182
	s_delay_alu instid0(VALU_DEP_2) | instskip(SKIP_1) | instid1(VALU_DEP_3)
	v_lshlrev_b32_e32 v6, 20, v6
	v_lshl_add_u32 v14, v14, 23, 0x3c000000
	v_and_b32_e32 v15, 0x80000000, v15
	s_delay_alu instid0(VALU_DEP_1)
	v_or3_b32 v15, v6, v15, v14
	v_mov_b32_e32 v14, v7
.LBB264_1387:                           ;   in Loop: Header=BB264_998 Depth=1
	s_or_b32 exec_lo, exec_lo, s10
.LBB264_1388:                           ;   in Loop: Header=BB264_998 Depth=1
	s_delay_alu instid0(SALU_CYCLE_1)
	s_or_b32 exec_lo, exec_lo, s15
.LBB264_1389:                           ;   in Loop: Header=BB264_998 Depth=1
	s_delay_alu instid0(SALU_CYCLE_1) | instskip(SKIP_4) | instid1(VALU_DEP_2)
	s_or_b32 exec_lo, exec_lo, s13
	v_mov_b32_e32 v18, 0
	v_lshrrev_b32_e32 v183, 16, v182
	v_mov_b32_e32 v19, 0
	s_mov_b32 s10, exec_lo
	v_and_b32_e32 v6, 0xff, v183
	s_delay_alu instid0(VALU_DEP_2) | instskip(NEXT) | instid1(VALU_DEP_2)
	v_dual_mov_b32 v16, v18 :: v_dual_mov_b32 v17, v19
	v_cmpx_ne_u16_e32 0, v6
	s_cbranch_execz .LBB264_1397
; %bb.1390:                             ;   in Loop: Header=BB264_998 Depth=1
	v_bfrev_b32_e32 v16, 1
	v_mov_b32_e32 v17, 0
	s_mov_b32 s13, exec_lo
	v_cmpx_ne_u16_e32 0x80, v6
	s_cbranch_execz .LBB264_1396
; %bb.1391:                             ;   in Loop: Header=BB264_998 Depth=1
	v_mov_b32_e32 v16, 0x7f800001
	v_bfe_u32 v40, v182, 16, 7
	v_mov_b32_e32 v17, 0
	s_mov_b32 s15, exec_lo
	s_delay_alu instid0(VALU_DEP_2)
	v_cmpx_ne_u32_e32 0x7f, v40
	s_cbranch_execz .LBB264_1395
; %bb.1392:                             ;   in Loop: Header=BB264_998 Depth=1
	v_and_b32_e32 v6, 7, v183
	v_lshrrev_b32_e32 v16, 3, v40
	s_mov_b32 s16, exec_lo
	v_cmpx_gt_u32_e32 8, v40
; %bb.1393:                             ;   in Loop: Header=BB264_998 Depth=1
	s_delay_alu instid0(VALU_DEP_3) | instskip(NEXT) | instid1(VALU_DEP_1)
	v_clz_i32_u32_e32 v16, v6
	v_min_u32_e32 v16, 32, v16
	s_delay_alu instid0(VALU_DEP_1) | instskip(SKIP_1) | instid1(VALU_DEP_2)
	v_subrev_nc_u32_e32 v17, 28, v16
	v_sub_nc_u32_e32 v16, 29, v16
	v_lshlrev_b64 v[40:41], v17, v[6:7]
	s_delay_alu instid0(VALU_DEP_1)
	v_and_b32_e32 v6, 7, v40
; %bb.1394:                             ;   in Loop: Header=BB264_998 Depth=1
	s_or_b32 exec_lo, exec_lo, s16
	v_lshlrev_b32_e32 v17, 24, v183
	s_delay_alu instid0(VALU_DEP_2) | instskip(SKIP_1) | instid1(VALU_DEP_3)
	v_lshlrev_b32_e32 v6, 20, v6
	v_lshl_add_u32 v16, v16, 23, 0x3c000000
	v_and_b32_e32 v17, 0x80000000, v17
	s_delay_alu instid0(VALU_DEP_1) | instskip(NEXT) | instid1(VALU_DEP_1)
	v_or3_b32 v6, v6, v17, v16
	v_dual_mov_b32 v17, v7 :: v_dual_mov_b32 v16, v6
.LBB264_1395:                           ;   in Loop: Header=BB264_998 Depth=1
	s_or_b32 exec_lo, exec_lo, s15
.LBB264_1396:                           ;   in Loop: Header=BB264_998 Depth=1
	s_delay_alu instid0(SALU_CYCLE_1)
	s_or_b32 exec_lo, exec_lo, s13
.LBB264_1397:                           ;   in Loop: Header=BB264_998 Depth=1
	s_delay_alu instid0(SALU_CYCLE_1) | instskip(NEXT) | instid1(SALU_CYCLE_1)
	s_or_b32 exec_lo, exec_lo, s10
	s_mov_b32 s13, exec_lo
	v_cmpx_lt_u32_e32 0xffffff, v182
	s_cbranch_execz .LBB264_1405
; %bb.1398:                             ;   in Loop: Header=BB264_998 Depth=1
	v_lshrrev_b32_e32 v183, 24, v182
	v_dual_mov_b32 v19, s9 :: v_dual_mov_b32 v18, s8
	s_mov_b32 s15, exec_lo
	s_delay_alu instid0(VALU_DEP_2)
	v_cmpx_ne_u32_e32 0x80, v183
	s_cbranch_execz .LBB264_1404
; %bb.1399:                             ;   in Loop: Header=BB264_998 Depth=1
	s_mov_b32 s10, s8
	v_bfe_u32 v182, v182, 24, 7
	v_dual_mov_b32 v19, s11 :: v_dual_mov_b32 v18, s10
	s_mov_b32 s10, exec_lo
	s_delay_alu instid0(VALU_DEP_2)
	v_cmpx_ne_u32_e32 0x7f, v182
	s_cbranch_execz .LBB264_1403
; %bb.1400:                             ;   in Loop: Header=BB264_998 Depth=1
	v_and_b32_e32 v6, 7, v183
	v_lshrrev_b32_e32 v18, 3, v182
	s_mov_b32 s16, exec_lo
	v_cmpx_gt_u32_e32 8, v182
; %bb.1401:                             ;   in Loop: Header=BB264_998 Depth=1
	s_delay_alu instid0(VALU_DEP_3) | instskip(NEXT) | instid1(VALU_DEP_1)
	v_clz_i32_u32_e32 v18, v6
	v_min_u32_e32 v18, 32, v18
	s_delay_alu instid0(VALU_DEP_1) | instskip(SKIP_1) | instid1(VALU_DEP_2)
	v_subrev_nc_u32_e32 v19, 28, v18
	v_sub_nc_u32_e32 v18, 29, v18
	v_lshlrev_b64 v[40:41], v19, v[6:7]
	s_delay_alu instid0(VALU_DEP_1)
	v_and_b32_e32 v6, 7, v40
; %bb.1402:                             ;   in Loop: Header=BB264_998 Depth=1
	s_or_b32 exec_lo, exec_lo, s16
	v_lshlrev_b32_e32 v19, 24, v183
	s_delay_alu instid0(VALU_DEP_2) | instskip(SKIP_1) | instid1(VALU_DEP_3)
	v_lshlrev_b32_e32 v6, 20, v6
	v_lshl_add_u32 v18, v18, 23, 0x3c000000
	v_and_b32_e32 v19, 0x80000000, v19
	s_delay_alu instid0(VALU_DEP_1)
	v_or3_b32 v19, v6, v19, v18
	v_mov_b32_e32 v18, v7
.LBB264_1403:                           ;   in Loop: Header=BB264_998 Depth=1
	s_or_b32 exec_lo, exec_lo, s10
.LBB264_1404:                           ;   in Loop: Header=BB264_998 Depth=1
	s_delay_alu instid0(SALU_CYCLE_1)
	s_or_b32 exec_lo, exec_lo, s15
.LBB264_1405:                           ;   in Loop: Header=BB264_998 Depth=1
	s_delay_alu instid0(SALU_CYCLE_1) | instskip(SKIP_4) | instid1(VALU_DEP_4)
	s_or_b32 exec_lo, exec_lo, s13
	v_or_b32_e32 v5, v15, v5
	v_or_b32_e32 v4, v14, v4
	;; [unrolled: 1-line block ×4, first 2 shown]
	v_mul_f32_e32 v41, v85, v5
	s_delay_alu instid0(VALU_DEP_4) | instskip(NEXT) | instid1(VALU_DEP_4)
	v_mul_f32_e32 v40, v85, v4
	v_mul_f32_e32 v182, v85, v6
	s_delay_alu instid0(VALU_DEP_4)
	v_mul_f32_e32 v183, v85, v14
	s_and_saveexec_b32 s10, vcc_lo
; %bb.1406:                             ;   in Loop: Header=BB264_998 Depth=1
	v_cmp_lt_i32_e64 s0, v98, v22
	s_delay_alu instid0(VALU_DEP_1) | instskip(SKIP_1) | instid1(VALU_DEP_1)
	v_cndmask_b32_e64 v40, 0, v40, s0
	v_cmp_lt_i32_e64 s0, v101, v22
	v_cndmask_b32_e64 v41, 0, v41, s0
	v_cmp_lt_i32_e64 s0, v100, v22
	s_delay_alu instid0(VALU_DEP_1) | instskip(SKIP_1) | instid1(VALU_DEP_1)
	v_cndmask_b32_e64 v183, 0, v183, s0
	v_cmp_lt_i32_e64 s0, v99, v22
	v_cndmask_b32_e64 v182, 0, v182, s0
; %bb.1407:                             ;   in Loop: Header=BB264_998 Depth=1
	s_or_b32 exec_lo, exec_lo, s10
	flat_load_b32 v42, v[12:13] offset:1536
	v_mov_b32_e32 v14, 0
	v_mov_b32_e32 v15, 0
	s_mov_b32 s10, exec_lo
	s_waitcnt vmcnt(0) lgkmcnt(0)
	v_and_b32_e32 v6, 0xff, v42
	s_delay_alu instid0(VALU_DEP_2) | instskip(NEXT) | instid1(VALU_DEP_2)
	v_dual_mov_b32 v4, v14 :: v_dual_mov_b32 v5, v15
	v_cmpx_ne_u16_e32 0, v6
	s_cbranch_execz .LBB264_1415
; %bb.1408:                             ;   in Loop: Header=BB264_998 Depth=1
	v_bfrev_b32_e32 v4, 1
	v_mov_b32_e32 v5, 0
	s_mov_b32 s13, exec_lo
	v_cmpx_ne_u16_e32 0x80, v6
	s_cbranch_execz .LBB264_1414
; %bb.1409:                             ;   in Loop: Header=BB264_998 Depth=1
	v_mov_b32_e32 v4, 0x7f800001
	v_dual_mov_b32 v5, 0 :: v_dual_and_b32 v16, 0x7f, v42
	s_mov_b32 s15, exec_lo
	s_delay_alu instid0(VALU_DEP_1)
	v_cmpx_ne_u32_e32 0x7f, v16
	s_cbranch_execz .LBB264_1413
; %bb.1410:                             ;   in Loop: Header=BB264_998 Depth=1
	v_and_b32_e32 v6, 7, v42
	v_lshrrev_b32_e32 v4, 3, v16
	s_mov_b32 s16, exec_lo
	v_cmpx_gt_u32_e32 8, v16
; %bb.1411:                             ;   in Loop: Header=BB264_998 Depth=1
	s_delay_alu instid0(VALU_DEP_3) | instskip(NEXT) | instid1(VALU_DEP_1)
	v_clz_i32_u32_e32 v4, v6
	v_min_u32_e32 v4, 32, v4
	s_delay_alu instid0(VALU_DEP_1) | instskip(SKIP_1) | instid1(VALU_DEP_2)
	v_subrev_nc_u32_e32 v5, 28, v4
	v_sub_nc_u32_e32 v4, 29, v4
	v_lshlrev_b64 v[5:6], v5, v[6:7]
	s_delay_alu instid0(VALU_DEP_1)
	v_and_b32_e32 v6, 7, v5
; %bb.1412:                             ;   in Loop: Header=BB264_998 Depth=1
	s_or_b32 exec_lo, exec_lo, s16
	v_lshlrev_b32_e32 v5, 24, v42
	s_delay_alu instid0(VALU_DEP_2) | instskip(SKIP_1) | instid1(VALU_DEP_3)
	v_lshlrev_b32_e32 v6, 20, v6
	v_lshl_add_u32 v4, v4, 23, 0x3c000000
	v_and_b32_e32 v5, 0x80000000, v5
	s_delay_alu instid0(VALU_DEP_1) | instskip(NEXT) | instid1(VALU_DEP_1)
	v_or3_b32 v6, v6, v5, v4
	v_dual_mov_b32 v4, v6 :: v_dual_mov_b32 v5, v7
.LBB264_1413:                           ;   in Loop: Header=BB264_998 Depth=1
	s_or_b32 exec_lo, exec_lo, s15
.LBB264_1414:                           ;   in Loop: Header=BB264_998 Depth=1
	s_delay_alu instid0(SALU_CYCLE_1)
	s_or_b32 exec_lo, exec_lo, s13
.LBB264_1415:                           ;   in Loop: Header=BB264_998 Depth=1
	s_delay_alu instid0(SALU_CYCLE_1) | instskip(SKIP_2) | instid1(VALU_DEP_1)
	s_or_b32 exec_lo, exec_lo, s10
	v_lshrrev_b16 v6, 8, v42
	s_mov_b32 s13, exec_lo
	v_cmpx_ne_u16_e32 0, v6
	s_cbranch_execz .LBB264_1423
; %bb.1416:                             ;   in Loop: Header=BB264_998 Depth=1
	v_dual_mov_b32 v15, s9 :: v_dual_mov_b32 v14, s8
	s_mov_b32 s15, exec_lo
	v_cmpx_ne_u16_e32 0x80, v6
	s_cbranch_execz .LBB264_1422
; %bb.1417:                             ;   in Loop: Header=BB264_998 Depth=1
	s_mov_b32 s10, s8
	v_dual_mov_b32 v15, s11 :: v_dual_and_b32 v6, 0xffff, v6
	v_mov_b32_e32 v14, s10
	s_mov_b32 s10, exec_lo
	s_delay_alu instid0(VALU_DEP_2) | instskip(NEXT) | instid1(VALU_DEP_1)
	v_and_b32_e32 v16, 0x7f, v6
	v_cmpx_ne_u32_e32 0x7f, v16
	s_cbranch_execz .LBB264_1421
; %bb.1418:                             ;   in Loop: Header=BB264_998 Depth=1
	v_and_b32_e32 v6, 7, v6
	v_lshrrev_b32_e32 v14, 3, v16
	s_mov_b32 s16, exec_lo
	v_cmpx_gt_u32_e32 8, v16
; %bb.1419:                             ;   in Loop: Header=BB264_998 Depth=1
	s_delay_alu instid0(VALU_DEP_3) | instskip(NEXT) | instid1(VALU_DEP_1)
	v_clz_i32_u32_e32 v14, v6
	v_min_u32_e32 v14, 32, v14
	s_delay_alu instid0(VALU_DEP_1) | instskip(SKIP_1) | instid1(VALU_DEP_2)
	v_subrev_nc_u32_e32 v15, 28, v14
	v_sub_nc_u32_e32 v14, 29, v14
	v_lshlrev_b64 v[15:16], v15, v[6:7]
	s_delay_alu instid0(VALU_DEP_1)
	v_and_b32_e32 v6, 7, v15
; %bb.1420:                             ;   in Loop: Header=BB264_998 Depth=1
	s_or_b32 exec_lo, exec_lo, s16
	v_lshlrev_b32_e32 v15, 16, v42
	s_delay_alu instid0(VALU_DEP_2) | instskip(SKIP_1) | instid1(VALU_DEP_3)
	v_lshlrev_b32_e32 v6, 20, v6
	v_lshl_add_u32 v14, v14, 23, 0x3c000000
	v_and_b32_e32 v15, 0x80000000, v15
	s_delay_alu instid0(VALU_DEP_1)
	v_or3_b32 v15, v6, v15, v14
	v_mov_b32_e32 v14, v7
.LBB264_1421:                           ;   in Loop: Header=BB264_998 Depth=1
	s_or_b32 exec_lo, exec_lo, s10
.LBB264_1422:                           ;   in Loop: Header=BB264_998 Depth=1
	s_delay_alu instid0(SALU_CYCLE_1)
	s_or_b32 exec_lo, exec_lo, s15
.LBB264_1423:                           ;   in Loop: Header=BB264_998 Depth=1
	s_delay_alu instid0(SALU_CYCLE_1) | instskip(SKIP_4) | instid1(VALU_DEP_2)
	s_or_b32 exec_lo, exec_lo, s13
	v_mov_b32_e32 v18, 0
	v_lshrrev_b32_e32 v43, 16, v42
	v_mov_b32_e32 v19, 0
	s_mov_b32 s10, exec_lo
	v_and_b32_e32 v6, 0xff, v43
	s_delay_alu instid0(VALU_DEP_2) | instskip(NEXT) | instid1(VALU_DEP_2)
	v_dual_mov_b32 v16, v18 :: v_dual_mov_b32 v17, v19
	v_cmpx_ne_u16_e32 0, v6
	s_cbranch_execz .LBB264_1431
; %bb.1424:                             ;   in Loop: Header=BB264_998 Depth=1
	v_bfrev_b32_e32 v16, 1
	v_mov_b32_e32 v17, 0
	s_mov_b32 s13, exec_lo
	v_cmpx_ne_u16_e32 0x80, v6
	s_cbranch_execz .LBB264_1430
; %bb.1425:                             ;   in Loop: Header=BB264_998 Depth=1
	v_mov_b32_e32 v16, 0x7f800001
	v_bfe_u32 v44, v42, 16, 7
	v_mov_b32_e32 v17, 0
	s_mov_b32 s15, exec_lo
	s_delay_alu instid0(VALU_DEP_2)
	v_cmpx_ne_u32_e32 0x7f, v44
	s_cbranch_execz .LBB264_1429
; %bb.1426:                             ;   in Loop: Header=BB264_998 Depth=1
	v_and_b32_e32 v6, 7, v43
	v_lshrrev_b32_e32 v16, 3, v44
	s_mov_b32 s16, exec_lo
	v_cmpx_gt_u32_e32 8, v44
; %bb.1427:                             ;   in Loop: Header=BB264_998 Depth=1
	s_delay_alu instid0(VALU_DEP_3) | instskip(NEXT) | instid1(VALU_DEP_1)
	v_clz_i32_u32_e32 v16, v6
	v_min_u32_e32 v16, 32, v16
	s_delay_alu instid0(VALU_DEP_1) | instskip(SKIP_1) | instid1(VALU_DEP_2)
	v_subrev_nc_u32_e32 v17, 28, v16
	v_sub_nc_u32_e32 v16, 29, v16
	v_lshlrev_b64 v[44:45], v17, v[6:7]
	s_delay_alu instid0(VALU_DEP_1)
	v_and_b32_e32 v6, 7, v44
; %bb.1428:                             ;   in Loop: Header=BB264_998 Depth=1
	s_or_b32 exec_lo, exec_lo, s16
	v_lshlrev_b32_e32 v17, 24, v43
	s_delay_alu instid0(VALU_DEP_2) | instskip(SKIP_1) | instid1(VALU_DEP_3)
	v_lshlrev_b32_e32 v6, 20, v6
	v_lshl_add_u32 v16, v16, 23, 0x3c000000
	v_and_b32_e32 v17, 0x80000000, v17
	s_delay_alu instid0(VALU_DEP_1) | instskip(NEXT) | instid1(VALU_DEP_1)
	v_or3_b32 v6, v6, v17, v16
	v_dual_mov_b32 v17, v7 :: v_dual_mov_b32 v16, v6
.LBB264_1429:                           ;   in Loop: Header=BB264_998 Depth=1
	s_or_b32 exec_lo, exec_lo, s15
.LBB264_1430:                           ;   in Loop: Header=BB264_998 Depth=1
	s_delay_alu instid0(SALU_CYCLE_1)
	s_or_b32 exec_lo, exec_lo, s13
.LBB264_1431:                           ;   in Loop: Header=BB264_998 Depth=1
	s_delay_alu instid0(SALU_CYCLE_1) | instskip(NEXT) | instid1(SALU_CYCLE_1)
	s_or_b32 exec_lo, exec_lo, s10
	s_mov_b32 s13, exec_lo
	v_cmpx_lt_u32_e32 0xffffff, v42
	s_cbranch_execz .LBB264_1439
; %bb.1432:                             ;   in Loop: Header=BB264_998 Depth=1
	v_lshrrev_b32_e32 v43, 24, v42
	v_dual_mov_b32 v19, s9 :: v_dual_mov_b32 v18, s8
	s_mov_b32 s15, exec_lo
	s_delay_alu instid0(VALU_DEP_2)
	v_cmpx_ne_u32_e32 0x80, v43
	s_cbranch_execz .LBB264_1438
; %bb.1433:                             ;   in Loop: Header=BB264_998 Depth=1
	s_mov_b32 s10, s8
	v_bfe_u32 v42, v42, 24, 7
	v_dual_mov_b32 v19, s11 :: v_dual_mov_b32 v18, s10
	s_mov_b32 s10, exec_lo
	s_delay_alu instid0(VALU_DEP_2)
	v_cmpx_ne_u32_e32 0x7f, v42
	s_cbranch_execz .LBB264_1437
; %bb.1434:                             ;   in Loop: Header=BB264_998 Depth=1
	v_and_b32_e32 v6, 7, v43
	v_lshrrev_b32_e32 v18, 3, v42
	s_mov_b32 s16, exec_lo
	v_cmpx_gt_u32_e32 8, v42
; %bb.1435:                             ;   in Loop: Header=BB264_998 Depth=1
	s_delay_alu instid0(VALU_DEP_3) | instskip(NEXT) | instid1(VALU_DEP_1)
	v_clz_i32_u32_e32 v18, v6
	v_min_u32_e32 v18, 32, v18
	s_delay_alu instid0(VALU_DEP_1) | instskip(SKIP_1) | instid1(VALU_DEP_2)
	v_subrev_nc_u32_e32 v19, 28, v18
	v_sub_nc_u32_e32 v18, 29, v18
	v_lshlrev_b64 v[44:45], v19, v[6:7]
	s_delay_alu instid0(VALU_DEP_1)
	v_and_b32_e32 v6, 7, v44
; %bb.1436:                             ;   in Loop: Header=BB264_998 Depth=1
	s_or_b32 exec_lo, exec_lo, s16
	v_lshlrev_b32_e32 v19, 24, v43
	s_delay_alu instid0(VALU_DEP_2) | instskip(SKIP_1) | instid1(VALU_DEP_3)
	v_lshlrev_b32_e32 v6, 20, v6
	v_lshl_add_u32 v18, v18, 23, 0x3c000000
	v_and_b32_e32 v19, 0x80000000, v19
	s_delay_alu instid0(VALU_DEP_1)
	v_or3_b32 v19, v6, v19, v18
	v_mov_b32_e32 v18, v7
.LBB264_1437:                           ;   in Loop: Header=BB264_998 Depth=1
	s_or_b32 exec_lo, exec_lo, s10
.LBB264_1438:                           ;   in Loop: Header=BB264_998 Depth=1
	s_delay_alu instid0(SALU_CYCLE_1)
	s_or_b32 exec_lo, exec_lo, s15
.LBB264_1439:                           ;   in Loop: Header=BB264_998 Depth=1
	s_delay_alu instid0(SALU_CYCLE_1) | instskip(SKIP_4) | instid1(VALU_DEP_4)
	s_or_b32 exec_lo, exec_lo, s13
	v_or_b32_e32 v5, v15, v5
	v_or_b32_e32 v4, v14, v4
	;; [unrolled: 1-line block ×4, first 2 shown]
	v_mul_f32_e32 v45, v85, v5
	s_delay_alu instid0(VALU_DEP_4) | instskip(NEXT) | instid1(VALU_DEP_4)
	v_mul_f32_e32 v44, v85, v4
	v_mul_f32_e32 v42, v85, v6
	s_delay_alu instid0(VALU_DEP_4)
	v_mul_f32_e32 v43, v85, v14
	s_and_saveexec_b32 s10, vcc_lo
; %bb.1440:                             ;   in Loop: Header=BB264_998 Depth=1
	v_cmp_lt_i32_e64 s0, v98, v22
	s_delay_alu instid0(VALU_DEP_1) | instskip(SKIP_1) | instid1(VALU_DEP_1)
	v_cndmask_b32_e64 v44, 0, v44, s0
	v_cmp_lt_i32_e64 s0, v101, v22
	v_cndmask_b32_e64 v45, 0, v45, s0
	v_cmp_lt_i32_e64 s0, v100, v22
	s_delay_alu instid0(VALU_DEP_1) | instskip(SKIP_1) | instid1(VALU_DEP_1)
	v_cndmask_b32_e64 v43, 0, v43, s0
	v_cmp_lt_i32_e64 s0, v99, v22
	v_cndmask_b32_e64 v42, 0, v42, s0
; %bb.1441:                             ;   in Loop: Header=BB264_998 Depth=1
	s_or_b32 exec_lo, exec_lo, s10
	flat_load_b32 v46, v[12:13] offset:1664
	v_mov_b32_e32 v14, 0
	v_mov_b32_e32 v15, 0
	s_mov_b32 s10, exec_lo
	s_waitcnt vmcnt(0) lgkmcnt(0)
	v_and_b32_e32 v6, 0xff, v46
	s_delay_alu instid0(VALU_DEP_2) | instskip(NEXT) | instid1(VALU_DEP_2)
	v_dual_mov_b32 v4, v14 :: v_dual_mov_b32 v5, v15
	v_cmpx_ne_u16_e32 0, v6
	s_cbranch_execz .LBB264_1449
; %bb.1442:                             ;   in Loop: Header=BB264_998 Depth=1
	v_bfrev_b32_e32 v4, 1
	v_mov_b32_e32 v5, 0
	s_mov_b32 s13, exec_lo
	v_cmpx_ne_u16_e32 0x80, v6
	s_cbranch_execz .LBB264_1448
; %bb.1443:                             ;   in Loop: Header=BB264_998 Depth=1
	v_mov_b32_e32 v4, 0x7f800001
	v_dual_mov_b32 v5, 0 :: v_dual_and_b32 v16, 0x7f, v46
	s_mov_b32 s15, exec_lo
	s_delay_alu instid0(VALU_DEP_1)
	v_cmpx_ne_u32_e32 0x7f, v16
	s_cbranch_execz .LBB264_1447
; %bb.1444:                             ;   in Loop: Header=BB264_998 Depth=1
	v_and_b32_e32 v6, 7, v46
	v_lshrrev_b32_e32 v4, 3, v16
	s_mov_b32 s16, exec_lo
	v_cmpx_gt_u32_e32 8, v16
; %bb.1445:                             ;   in Loop: Header=BB264_998 Depth=1
	s_delay_alu instid0(VALU_DEP_3) | instskip(NEXT) | instid1(VALU_DEP_1)
	v_clz_i32_u32_e32 v4, v6
	v_min_u32_e32 v4, 32, v4
	s_delay_alu instid0(VALU_DEP_1) | instskip(SKIP_1) | instid1(VALU_DEP_2)
	v_subrev_nc_u32_e32 v5, 28, v4
	v_sub_nc_u32_e32 v4, 29, v4
	v_lshlrev_b64 v[5:6], v5, v[6:7]
	s_delay_alu instid0(VALU_DEP_1)
	v_and_b32_e32 v6, 7, v5
; %bb.1446:                             ;   in Loop: Header=BB264_998 Depth=1
	s_or_b32 exec_lo, exec_lo, s16
	v_lshlrev_b32_e32 v5, 24, v46
	s_delay_alu instid0(VALU_DEP_2) | instskip(SKIP_1) | instid1(VALU_DEP_3)
	v_lshlrev_b32_e32 v6, 20, v6
	v_lshl_add_u32 v4, v4, 23, 0x3c000000
	v_and_b32_e32 v5, 0x80000000, v5
	s_delay_alu instid0(VALU_DEP_1) | instskip(NEXT) | instid1(VALU_DEP_1)
	v_or3_b32 v6, v6, v5, v4
	v_dual_mov_b32 v4, v6 :: v_dual_mov_b32 v5, v7
.LBB264_1447:                           ;   in Loop: Header=BB264_998 Depth=1
	s_or_b32 exec_lo, exec_lo, s15
.LBB264_1448:                           ;   in Loop: Header=BB264_998 Depth=1
	s_delay_alu instid0(SALU_CYCLE_1)
	s_or_b32 exec_lo, exec_lo, s13
.LBB264_1449:                           ;   in Loop: Header=BB264_998 Depth=1
	s_delay_alu instid0(SALU_CYCLE_1) | instskip(SKIP_2) | instid1(VALU_DEP_1)
	s_or_b32 exec_lo, exec_lo, s10
	v_lshrrev_b16 v6, 8, v46
	s_mov_b32 s13, exec_lo
	v_cmpx_ne_u16_e32 0, v6
	s_cbranch_execz .LBB264_1457
; %bb.1450:                             ;   in Loop: Header=BB264_998 Depth=1
	v_dual_mov_b32 v15, s9 :: v_dual_mov_b32 v14, s8
	s_mov_b32 s15, exec_lo
	v_cmpx_ne_u16_e32 0x80, v6
	s_cbranch_execz .LBB264_1456
; %bb.1451:                             ;   in Loop: Header=BB264_998 Depth=1
	s_mov_b32 s10, s8
	v_dual_mov_b32 v15, s11 :: v_dual_and_b32 v6, 0xffff, v6
	v_mov_b32_e32 v14, s10
	s_mov_b32 s10, exec_lo
	s_delay_alu instid0(VALU_DEP_2) | instskip(NEXT) | instid1(VALU_DEP_1)
	v_and_b32_e32 v16, 0x7f, v6
	v_cmpx_ne_u32_e32 0x7f, v16
	s_cbranch_execz .LBB264_1455
; %bb.1452:                             ;   in Loop: Header=BB264_998 Depth=1
	v_and_b32_e32 v6, 7, v6
	v_lshrrev_b32_e32 v14, 3, v16
	s_mov_b32 s16, exec_lo
	v_cmpx_gt_u32_e32 8, v16
; %bb.1453:                             ;   in Loop: Header=BB264_998 Depth=1
	s_delay_alu instid0(VALU_DEP_3) | instskip(NEXT) | instid1(VALU_DEP_1)
	v_clz_i32_u32_e32 v14, v6
	v_min_u32_e32 v14, 32, v14
	s_delay_alu instid0(VALU_DEP_1) | instskip(SKIP_1) | instid1(VALU_DEP_2)
	v_subrev_nc_u32_e32 v15, 28, v14
	v_sub_nc_u32_e32 v14, 29, v14
	v_lshlrev_b64 v[15:16], v15, v[6:7]
	s_delay_alu instid0(VALU_DEP_1)
	v_and_b32_e32 v6, 7, v15
; %bb.1454:                             ;   in Loop: Header=BB264_998 Depth=1
	s_or_b32 exec_lo, exec_lo, s16
	v_lshlrev_b32_e32 v15, 16, v46
	s_delay_alu instid0(VALU_DEP_2) | instskip(SKIP_1) | instid1(VALU_DEP_3)
	v_lshlrev_b32_e32 v6, 20, v6
	v_lshl_add_u32 v14, v14, 23, 0x3c000000
	v_and_b32_e32 v15, 0x80000000, v15
	s_delay_alu instid0(VALU_DEP_1)
	v_or3_b32 v15, v6, v15, v14
	v_mov_b32_e32 v14, v7
.LBB264_1455:                           ;   in Loop: Header=BB264_998 Depth=1
	s_or_b32 exec_lo, exec_lo, s10
.LBB264_1456:                           ;   in Loop: Header=BB264_998 Depth=1
	s_delay_alu instid0(SALU_CYCLE_1)
	s_or_b32 exec_lo, exec_lo, s15
.LBB264_1457:                           ;   in Loop: Header=BB264_998 Depth=1
	s_delay_alu instid0(SALU_CYCLE_1) | instskip(SKIP_4) | instid1(VALU_DEP_2)
	s_or_b32 exec_lo, exec_lo, s13
	v_mov_b32_e32 v18, 0
	v_lshrrev_b32_e32 v47, 16, v46
	v_mov_b32_e32 v19, 0
	s_mov_b32 s10, exec_lo
	v_and_b32_e32 v6, 0xff, v47
	s_delay_alu instid0(VALU_DEP_2) | instskip(NEXT) | instid1(VALU_DEP_2)
	v_dual_mov_b32 v16, v18 :: v_dual_mov_b32 v17, v19
	v_cmpx_ne_u16_e32 0, v6
	s_cbranch_execz .LBB264_1465
; %bb.1458:                             ;   in Loop: Header=BB264_998 Depth=1
	v_bfrev_b32_e32 v16, 1
	v_mov_b32_e32 v17, 0
	s_mov_b32 s13, exec_lo
	v_cmpx_ne_u16_e32 0x80, v6
	s_cbranch_execz .LBB264_1464
; %bb.1459:                             ;   in Loop: Header=BB264_998 Depth=1
	v_mov_b32_e32 v16, 0x7f800001
	v_bfe_u32 v56, v46, 16, 7
	v_mov_b32_e32 v17, 0
	s_mov_b32 s15, exec_lo
	s_delay_alu instid0(VALU_DEP_2)
	v_cmpx_ne_u32_e32 0x7f, v56
	s_cbranch_execz .LBB264_1463
; %bb.1460:                             ;   in Loop: Header=BB264_998 Depth=1
	v_and_b32_e32 v6, 7, v47
	v_lshrrev_b32_e32 v16, 3, v56
	s_mov_b32 s16, exec_lo
	v_cmpx_gt_u32_e32 8, v56
; %bb.1461:                             ;   in Loop: Header=BB264_998 Depth=1
	s_delay_alu instid0(VALU_DEP_3) | instskip(NEXT) | instid1(VALU_DEP_1)
	v_clz_i32_u32_e32 v16, v6
	v_min_u32_e32 v16, 32, v16
	s_delay_alu instid0(VALU_DEP_1) | instskip(SKIP_1) | instid1(VALU_DEP_2)
	v_subrev_nc_u32_e32 v17, 28, v16
	v_sub_nc_u32_e32 v16, 29, v16
	v_lshlrev_b64 v[56:57], v17, v[6:7]
	s_delay_alu instid0(VALU_DEP_1)
	v_and_b32_e32 v6, 7, v56
; %bb.1462:                             ;   in Loop: Header=BB264_998 Depth=1
	s_or_b32 exec_lo, exec_lo, s16
	v_lshlrev_b32_e32 v17, 24, v47
	s_delay_alu instid0(VALU_DEP_2) | instskip(SKIP_1) | instid1(VALU_DEP_3)
	v_lshlrev_b32_e32 v6, 20, v6
	v_lshl_add_u32 v16, v16, 23, 0x3c000000
	v_and_b32_e32 v17, 0x80000000, v17
	s_delay_alu instid0(VALU_DEP_1) | instskip(NEXT) | instid1(VALU_DEP_1)
	v_or3_b32 v6, v6, v17, v16
	v_dual_mov_b32 v17, v7 :: v_dual_mov_b32 v16, v6
.LBB264_1463:                           ;   in Loop: Header=BB264_998 Depth=1
	s_or_b32 exec_lo, exec_lo, s15
.LBB264_1464:                           ;   in Loop: Header=BB264_998 Depth=1
	s_delay_alu instid0(SALU_CYCLE_1)
	s_or_b32 exec_lo, exec_lo, s13
.LBB264_1465:                           ;   in Loop: Header=BB264_998 Depth=1
	s_delay_alu instid0(SALU_CYCLE_1) | instskip(NEXT) | instid1(SALU_CYCLE_1)
	s_or_b32 exec_lo, exec_lo, s10
	s_mov_b32 s13, exec_lo
	v_cmpx_lt_u32_e32 0xffffff, v46
	s_cbranch_execz .LBB264_1473
; %bb.1466:                             ;   in Loop: Header=BB264_998 Depth=1
	v_lshrrev_b32_e32 v47, 24, v46
	v_dual_mov_b32 v19, s9 :: v_dual_mov_b32 v18, s8
	s_mov_b32 s15, exec_lo
	s_delay_alu instid0(VALU_DEP_2)
	v_cmpx_ne_u32_e32 0x80, v47
	s_cbranch_execz .LBB264_1472
; %bb.1467:                             ;   in Loop: Header=BB264_998 Depth=1
	s_mov_b32 s10, s8
	v_bfe_u32 v46, v46, 24, 7
	v_dual_mov_b32 v19, s11 :: v_dual_mov_b32 v18, s10
	s_mov_b32 s10, exec_lo
	s_delay_alu instid0(VALU_DEP_2)
	v_cmpx_ne_u32_e32 0x7f, v46
	s_cbranch_execz .LBB264_1471
; %bb.1468:                             ;   in Loop: Header=BB264_998 Depth=1
	v_and_b32_e32 v6, 7, v47
	v_lshrrev_b32_e32 v18, 3, v46
	s_mov_b32 s16, exec_lo
	v_cmpx_gt_u32_e32 8, v46
; %bb.1469:                             ;   in Loop: Header=BB264_998 Depth=1
	s_delay_alu instid0(VALU_DEP_3) | instskip(NEXT) | instid1(VALU_DEP_1)
	v_clz_i32_u32_e32 v18, v6
	v_min_u32_e32 v18, 32, v18
	s_delay_alu instid0(VALU_DEP_1) | instskip(SKIP_1) | instid1(VALU_DEP_2)
	v_subrev_nc_u32_e32 v19, 28, v18
	v_sub_nc_u32_e32 v18, 29, v18
	v_lshlrev_b64 v[56:57], v19, v[6:7]
	s_delay_alu instid0(VALU_DEP_1)
	v_and_b32_e32 v6, 7, v56
; %bb.1470:                             ;   in Loop: Header=BB264_998 Depth=1
	s_or_b32 exec_lo, exec_lo, s16
	v_lshlrev_b32_e32 v19, 24, v47
	s_delay_alu instid0(VALU_DEP_2) | instskip(SKIP_1) | instid1(VALU_DEP_3)
	v_lshlrev_b32_e32 v6, 20, v6
	v_lshl_add_u32 v18, v18, 23, 0x3c000000
	v_and_b32_e32 v19, 0x80000000, v19
	s_delay_alu instid0(VALU_DEP_1)
	v_or3_b32 v19, v6, v19, v18
	v_mov_b32_e32 v18, v7
.LBB264_1471:                           ;   in Loop: Header=BB264_998 Depth=1
	s_or_b32 exec_lo, exec_lo, s10
.LBB264_1472:                           ;   in Loop: Header=BB264_998 Depth=1
	s_delay_alu instid0(SALU_CYCLE_1)
	s_or_b32 exec_lo, exec_lo, s15
.LBB264_1473:                           ;   in Loop: Header=BB264_998 Depth=1
	s_delay_alu instid0(SALU_CYCLE_1) | instskip(SKIP_4) | instid1(VALU_DEP_4)
	s_or_b32 exec_lo, exec_lo, s13
	v_or_b32_e32 v5, v15, v5
	v_or_b32_e32 v4, v14, v4
	;; [unrolled: 1-line block ×4, first 2 shown]
	v_mul_f32_e32 v57, v85, v5
	s_delay_alu instid0(VALU_DEP_4) | instskip(NEXT) | instid1(VALU_DEP_4)
	v_mul_f32_e32 v56, v85, v4
	v_mul_f32_e32 v46, v85, v6
	s_delay_alu instid0(VALU_DEP_4)
	v_mul_f32_e32 v47, v85, v14
	s_and_saveexec_b32 s10, vcc_lo
; %bb.1474:                             ;   in Loop: Header=BB264_998 Depth=1
	v_cmp_lt_i32_e64 s0, v98, v22
	s_delay_alu instid0(VALU_DEP_1) | instskip(SKIP_1) | instid1(VALU_DEP_1)
	v_cndmask_b32_e64 v56, 0, v56, s0
	v_cmp_lt_i32_e64 s0, v101, v22
	v_cndmask_b32_e64 v57, 0, v57, s0
	v_cmp_lt_i32_e64 s0, v100, v22
	s_delay_alu instid0(VALU_DEP_1) | instskip(SKIP_1) | instid1(VALU_DEP_1)
	v_cndmask_b32_e64 v47, 0, v47, s0
	v_cmp_lt_i32_e64 s0, v99, v22
	v_cndmask_b32_e64 v46, 0, v46, s0
; %bb.1475:                             ;   in Loop: Header=BB264_998 Depth=1
	s_or_b32 exec_lo, exec_lo, s10
	flat_load_b32 v58, v[12:13] offset:1792
	v_mov_b32_e32 v14, 0
	v_mov_b32_e32 v15, 0
	s_mov_b32 s10, exec_lo
	s_waitcnt vmcnt(0) lgkmcnt(0)
	v_and_b32_e32 v6, 0xff, v58
	s_delay_alu instid0(VALU_DEP_2) | instskip(NEXT) | instid1(VALU_DEP_2)
	v_dual_mov_b32 v4, v14 :: v_dual_mov_b32 v5, v15
	v_cmpx_ne_u16_e32 0, v6
	s_cbranch_execz .LBB264_1483
; %bb.1476:                             ;   in Loop: Header=BB264_998 Depth=1
	v_bfrev_b32_e32 v4, 1
	v_mov_b32_e32 v5, 0
	s_mov_b32 s13, exec_lo
	v_cmpx_ne_u16_e32 0x80, v6
	s_cbranch_execz .LBB264_1482
; %bb.1477:                             ;   in Loop: Header=BB264_998 Depth=1
	v_mov_b32_e32 v4, 0x7f800001
	v_dual_mov_b32 v5, 0 :: v_dual_and_b32 v16, 0x7f, v58
	s_mov_b32 s15, exec_lo
	s_delay_alu instid0(VALU_DEP_1)
	v_cmpx_ne_u32_e32 0x7f, v16
	s_cbranch_execz .LBB264_1481
; %bb.1478:                             ;   in Loop: Header=BB264_998 Depth=1
	v_and_b32_e32 v6, 7, v58
	v_lshrrev_b32_e32 v4, 3, v16
	s_mov_b32 s16, exec_lo
	v_cmpx_gt_u32_e32 8, v16
; %bb.1479:                             ;   in Loop: Header=BB264_998 Depth=1
	s_delay_alu instid0(VALU_DEP_3) | instskip(NEXT) | instid1(VALU_DEP_1)
	v_clz_i32_u32_e32 v4, v6
	v_min_u32_e32 v4, 32, v4
	s_delay_alu instid0(VALU_DEP_1) | instskip(SKIP_1) | instid1(VALU_DEP_2)
	v_subrev_nc_u32_e32 v5, 28, v4
	v_sub_nc_u32_e32 v4, 29, v4
	v_lshlrev_b64 v[5:6], v5, v[6:7]
	s_delay_alu instid0(VALU_DEP_1)
	v_and_b32_e32 v6, 7, v5
; %bb.1480:                             ;   in Loop: Header=BB264_998 Depth=1
	s_or_b32 exec_lo, exec_lo, s16
	v_lshlrev_b32_e32 v5, 24, v58
	s_delay_alu instid0(VALU_DEP_2) | instskip(SKIP_1) | instid1(VALU_DEP_3)
	v_lshlrev_b32_e32 v6, 20, v6
	v_lshl_add_u32 v4, v4, 23, 0x3c000000
	v_and_b32_e32 v5, 0x80000000, v5
	s_delay_alu instid0(VALU_DEP_1) | instskip(NEXT) | instid1(VALU_DEP_1)
	v_or3_b32 v6, v6, v5, v4
	v_dual_mov_b32 v4, v6 :: v_dual_mov_b32 v5, v7
.LBB264_1481:                           ;   in Loop: Header=BB264_998 Depth=1
	s_or_b32 exec_lo, exec_lo, s15
.LBB264_1482:                           ;   in Loop: Header=BB264_998 Depth=1
	s_delay_alu instid0(SALU_CYCLE_1)
	s_or_b32 exec_lo, exec_lo, s13
.LBB264_1483:                           ;   in Loop: Header=BB264_998 Depth=1
	s_delay_alu instid0(SALU_CYCLE_1) | instskip(SKIP_2) | instid1(VALU_DEP_1)
	s_or_b32 exec_lo, exec_lo, s10
	v_lshrrev_b16 v6, 8, v58
	s_mov_b32 s13, exec_lo
	v_cmpx_ne_u16_e32 0, v6
	s_cbranch_execz .LBB264_1491
; %bb.1484:                             ;   in Loop: Header=BB264_998 Depth=1
	v_dual_mov_b32 v15, s9 :: v_dual_mov_b32 v14, s8
	s_mov_b32 s15, exec_lo
	v_cmpx_ne_u16_e32 0x80, v6
	s_cbranch_execz .LBB264_1490
; %bb.1485:                             ;   in Loop: Header=BB264_998 Depth=1
	s_mov_b32 s10, s8
	v_dual_mov_b32 v15, s11 :: v_dual_and_b32 v6, 0xffff, v6
	v_mov_b32_e32 v14, s10
	s_mov_b32 s10, exec_lo
	s_delay_alu instid0(VALU_DEP_2) | instskip(NEXT) | instid1(VALU_DEP_1)
	v_and_b32_e32 v16, 0x7f, v6
	v_cmpx_ne_u32_e32 0x7f, v16
	s_cbranch_execz .LBB264_1489
; %bb.1486:                             ;   in Loop: Header=BB264_998 Depth=1
	v_and_b32_e32 v6, 7, v6
	v_lshrrev_b32_e32 v14, 3, v16
	s_mov_b32 s16, exec_lo
	v_cmpx_gt_u32_e32 8, v16
; %bb.1487:                             ;   in Loop: Header=BB264_998 Depth=1
	s_delay_alu instid0(VALU_DEP_3) | instskip(NEXT) | instid1(VALU_DEP_1)
	v_clz_i32_u32_e32 v14, v6
	v_min_u32_e32 v14, 32, v14
	s_delay_alu instid0(VALU_DEP_1) | instskip(SKIP_1) | instid1(VALU_DEP_2)
	v_subrev_nc_u32_e32 v15, 28, v14
	v_sub_nc_u32_e32 v14, 29, v14
	v_lshlrev_b64 v[15:16], v15, v[6:7]
	s_delay_alu instid0(VALU_DEP_1)
	v_and_b32_e32 v6, 7, v15
; %bb.1488:                             ;   in Loop: Header=BB264_998 Depth=1
	s_or_b32 exec_lo, exec_lo, s16
	v_lshlrev_b32_e32 v15, 16, v58
	s_delay_alu instid0(VALU_DEP_2) | instskip(SKIP_1) | instid1(VALU_DEP_3)
	v_lshlrev_b32_e32 v6, 20, v6
	v_lshl_add_u32 v14, v14, 23, 0x3c000000
	v_and_b32_e32 v15, 0x80000000, v15
	s_delay_alu instid0(VALU_DEP_1)
	v_or3_b32 v15, v6, v15, v14
	v_mov_b32_e32 v14, v7
.LBB264_1489:                           ;   in Loop: Header=BB264_998 Depth=1
	s_or_b32 exec_lo, exec_lo, s10
.LBB264_1490:                           ;   in Loop: Header=BB264_998 Depth=1
	s_delay_alu instid0(SALU_CYCLE_1)
	s_or_b32 exec_lo, exec_lo, s15
.LBB264_1491:                           ;   in Loop: Header=BB264_998 Depth=1
	s_delay_alu instid0(SALU_CYCLE_1) | instskip(SKIP_4) | instid1(VALU_DEP_2)
	s_or_b32 exec_lo, exec_lo, s13
	v_mov_b32_e32 v18, 0
	v_lshrrev_b32_e32 v59, 16, v58
	v_mov_b32_e32 v19, 0
	s_mov_b32 s10, exec_lo
	v_and_b32_e32 v6, 0xff, v59
	s_delay_alu instid0(VALU_DEP_2) | instskip(NEXT) | instid1(VALU_DEP_2)
	v_dual_mov_b32 v16, v18 :: v_dual_mov_b32 v17, v19
	v_cmpx_ne_u16_e32 0, v6
	s_cbranch_execz .LBB264_1499
; %bb.1492:                             ;   in Loop: Header=BB264_998 Depth=1
	v_bfrev_b32_e32 v16, 1
	v_mov_b32_e32 v17, 0
	s_mov_b32 s13, exec_lo
	v_cmpx_ne_u16_e32 0x80, v6
	s_cbranch_execz .LBB264_1498
; %bb.1493:                             ;   in Loop: Header=BB264_998 Depth=1
	v_mov_b32_e32 v16, 0x7f800001
	v_bfe_u32 v60, v58, 16, 7
	v_mov_b32_e32 v17, 0
	s_mov_b32 s15, exec_lo
	s_delay_alu instid0(VALU_DEP_2)
	v_cmpx_ne_u32_e32 0x7f, v60
	s_cbranch_execz .LBB264_1497
; %bb.1494:                             ;   in Loop: Header=BB264_998 Depth=1
	v_and_b32_e32 v6, 7, v59
	v_lshrrev_b32_e32 v16, 3, v60
	s_mov_b32 s16, exec_lo
	v_cmpx_gt_u32_e32 8, v60
; %bb.1495:                             ;   in Loop: Header=BB264_998 Depth=1
	s_delay_alu instid0(VALU_DEP_3) | instskip(NEXT) | instid1(VALU_DEP_1)
	v_clz_i32_u32_e32 v16, v6
	v_min_u32_e32 v16, 32, v16
	s_delay_alu instid0(VALU_DEP_1) | instskip(SKIP_1) | instid1(VALU_DEP_2)
	v_subrev_nc_u32_e32 v17, 28, v16
	v_sub_nc_u32_e32 v16, 29, v16
	v_lshlrev_b64 v[60:61], v17, v[6:7]
	s_delay_alu instid0(VALU_DEP_1)
	v_and_b32_e32 v6, 7, v60
; %bb.1496:                             ;   in Loop: Header=BB264_998 Depth=1
	s_or_b32 exec_lo, exec_lo, s16
	v_lshlrev_b32_e32 v17, 24, v59
	s_delay_alu instid0(VALU_DEP_2) | instskip(SKIP_1) | instid1(VALU_DEP_3)
	v_lshlrev_b32_e32 v6, 20, v6
	v_lshl_add_u32 v16, v16, 23, 0x3c000000
	v_and_b32_e32 v17, 0x80000000, v17
	s_delay_alu instid0(VALU_DEP_1) | instskip(NEXT) | instid1(VALU_DEP_1)
	v_or3_b32 v6, v6, v17, v16
	v_dual_mov_b32 v17, v7 :: v_dual_mov_b32 v16, v6
.LBB264_1497:                           ;   in Loop: Header=BB264_998 Depth=1
	s_or_b32 exec_lo, exec_lo, s15
.LBB264_1498:                           ;   in Loop: Header=BB264_998 Depth=1
	s_delay_alu instid0(SALU_CYCLE_1)
	s_or_b32 exec_lo, exec_lo, s13
.LBB264_1499:                           ;   in Loop: Header=BB264_998 Depth=1
	s_delay_alu instid0(SALU_CYCLE_1) | instskip(NEXT) | instid1(SALU_CYCLE_1)
	s_or_b32 exec_lo, exec_lo, s10
	s_mov_b32 s13, exec_lo
	v_cmpx_lt_u32_e32 0xffffff, v58
	s_cbranch_execz .LBB264_1507
; %bb.1500:                             ;   in Loop: Header=BB264_998 Depth=1
	v_lshrrev_b32_e32 v59, 24, v58
	v_dual_mov_b32 v19, s9 :: v_dual_mov_b32 v18, s8
	s_mov_b32 s15, exec_lo
	s_delay_alu instid0(VALU_DEP_2)
	v_cmpx_ne_u32_e32 0x80, v59
	s_cbranch_execz .LBB264_1506
; %bb.1501:                             ;   in Loop: Header=BB264_998 Depth=1
	s_mov_b32 s10, s8
	v_bfe_u32 v58, v58, 24, 7
	v_dual_mov_b32 v19, s11 :: v_dual_mov_b32 v18, s10
	s_mov_b32 s10, exec_lo
	s_delay_alu instid0(VALU_DEP_2)
	v_cmpx_ne_u32_e32 0x7f, v58
	s_cbranch_execz .LBB264_1505
; %bb.1502:                             ;   in Loop: Header=BB264_998 Depth=1
	v_and_b32_e32 v6, 7, v59
	v_lshrrev_b32_e32 v18, 3, v58
	s_mov_b32 s16, exec_lo
	v_cmpx_gt_u32_e32 8, v58
; %bb.1503:                             ;   in Loop: Header=BB264_998 Depth=1
	s_delay_alu instid0(VALU_DEP_3) | instskip(NEXT) | instid1(VALU_DEP_1)
	v_clz_i32_u32_e32 v18, v6
	v_min_u32_e32 v18, 32, v18
	s_delay_alu instid0(VALU_DEP_1) | instskip(SKIP_1) | instid1(VALU_DEP_2)
	v_subrev_nc_u32_e32 v19, 28, v18
	v_sub_nc_u32_e32 v18, 29, v18
	v_lshlrev_b64 v[60:61], v19, v[6:7]
	s_delay_alu instid0(VALU_DEP_1)
	v_and_b32_e32 v6, 7, v60
; %bb.1504:                             ;   in Loop: Header=BB264_998 Depth=1
	s_or_b32 exec_lo, exec_lo, s16
	v_lshlrev_b32_e32 v19, 24, v59
	s_delay_alu instid0(VALU_DEP_2) | instskip(SKIP_1) | instid1(VALU_DEP_3)
	v_lshlrev_b32_e32 v6, 20, v6
	v_lshl_add_u32 v18, v18, 23, 0x3c000000
	v_and_b32_e32 v19, 0x80000000, v19
	s_delay_alu instid0(VALU_DEP_1)
	v_or3_b32 v19, v6, v19, v18
	v_mov_b32_e32 v18, v7
.LBB264_1505:                           ;   in Loop: Header=BB264_998 Depth=1
	s_or_b32 exec_lo, exec_lo, s10
.LBB264_1506:                           ;   in Loop: Header=BB264_998 Depth=1
	s_delay_alu instid0(SALU_CYCLE_1)
	s_or_b32 exec_lo, exec_lo, s15
.LBB264_1507:                           ;   in Loop: Header=BB264_998 Depth=1
	s_delay_alu instid0(SALU_CYCLE_1) | instskip(SKIP_4) | instid1(VALU_DEP_4)
	s_or_b32 exec_lo, exec_lo, s13
	v_or_b32_e32 v5, v15, v5
	v_or_b32_e32 v4, v14, v4
	;; [unrolled: 1-line block ×4, first 2 shown]
	v_mul_f32_e32 v61, v85, v5
	s_delay_alu instid0(VALU_DEP_4) | instskip(NEXT) | instid1(VALU_DEP_4)
	v_mul_f32_e32 v60, v85, v4
	v_mul_f32_e32 v58, v85, v6
	s_delay_alu instid0(VALU_DEP_4)
	v_mul_f32_e32 v59, v85, v14
	s_and_saveexec_b32 s10, vcc_lo
; %bb.1508:                             ;   in Loop: Header=BB264_998 Depth=1
	v_cmp_lt_i32_e64 s0, v98, v22
	s_delay_alu instid0(VALU_DEP_1) | instskip(SKIP_1) | instid1(VALU_DEP_1)
	v_cndmask_b32_e64 v60, 0, v60, s0
	v_cmp_lt_i32_e64 s0, v101, v22
	v_cndmask_b32_e64 v61, 0, v61, s0
	v_cmp_lt_i32_e64 s0, v100, v22
	s_delay_alu instid0(VALU_DEP_1) | instskip(SKIP_1) | instid1(VALU_DEP_1)
	v_cndmask_b32_e64 v59, 0, v59, s0
	v_cmp_lt_i32_e64 s0, v99, v22
	v_cndmask_b32_e64 v58, 0, v58, s0
; %bb.1509:                             ;   in Loop: Header=BB264_998 Depth=1
	s_or_b32 exec_lo, exec_lo, s10
	flat_load_b32 v62, v[12:13] offset:1920
	v_mov_b32_e32 v14, 0
	v_mov_b32_e32 v15, 0
	s_mov_b32 s10, exec_lo
	s_waitcnt vmcnt(0) lgkmcnt(0)
	v_and_b32_e32 v6, 0xff, v62
	s_delay_alu instid0(VALU_DEP_2) | instskip(NEXT) | instid1(VALU_DEP_2)
	v_dual_mov_b32 v4, v14 :: v_dual_mov_b32 v5, v15
	v_cmpx_ne_u16_e32 0, v6
	s_cbranch_execz .LBB264_1517
; %bb.1510:                             ;   in Loop: Header=BB264_998 Depth=1
	v_bfrev_b32_e32 v4, 1
	v_mov_b32_e32 v5, 0
	s_mov_b32 s13, exec_lo
	v_cmpx_ne_u16_e32 0x80, v6
	s_cbranch_execz .LBB264_1516
; %bb.1511:                             ;   in Loop: Header=BB264_998 Depth=1
	v_mov_b32_e32 v4, 0x7f800001
	v_dual_mov_b32 v5, 0 :: v_dual_and_b32 v16, 0x7f, v62
	s_mov_b32 s15, exec_lo
	s_delay_alu instid0(VALU_DEP_1)
	v_cmpx_ne_u32_e32 0x7f, v16
	s_cbranch_execz .LBB264_1515
; %bb.1512:                             ;   in Loop: Header=BB264_998 Depth=1
	v_and_b32_e32 v6, 7, v62
	v_lshrrev_b32_e32 v4, 3, v16
	s_mov_b32 s16, exec_lo
	v_cmpx_gt_u32_e32 8, v16
; %bb.1513:                             ;   in Loop: Header=BB264_998 Depth=1
	s_delay_alu instid0(VALU_DEP_3) | instskip(NEXT) | instid1(VALU_DEP_1)
	v_clz_i32_u32_e32 v4, v6
	v_min_u32_e32 v4, 32, v4
	s_delay_alu instid0(VALU_DEP_1) | instskip(SKIP_1) | instid1(VALU_DEP_2)
	v_subrev_nc_u32_e32 v5, 28, v4
	v_sub_nc_u32_e32 v4, 29, v4
	v_lshlrev_b64 v[5:6], v5, v[6:7]
	s_delay_alu instid0(VALU_DEP_1)
	v_and_b32_e32 v6, 7, v5
; %bb.1514:                             ;   in Loop: Header=BB264_998 Depth=1
	s_or_b32 exec_lo, exec_lo, s16
	v_lshlrev_b32_e32 v5, 24, v62
	s_delay_alu instid0(VALU_DEP_2) | instskip(SKIP_1) | instid1(VALU_DEP_3)
	v_lshlrev_b32_e32 v6, 20, v6
	v_lshl_add_u32 v4, v4, 23, 0x3c000000
	v_and_b32_e32 v5, 0x80000000, v5
	s_delay_alu instid0(VALU_DEP_1) | instskip(NEXT) | instid1(VALU_DEP_1)
	v_or3_b32 v6, v6, v5, v4
	v_dual_mov_b32 v4, v6 :: v_dual_mov_b32 v5, v7
.LBB264_1515:                           ;   in Loop: Header=BB264_998 Depth=1
	s_or_b32 exec_lo, exec_lo, s15
.LBB264_1516:                           ;   in Loop: Header=BB264_998 Depth=1
	s_delay_alu instid0(SALU_CYCLE_1)
	s_or_b32 exec_lo, exec_lo, s13
.LBB264_1517:                           ;   in Loop: Header=BB264_998 Depth=1
	s_delay_alu instid0(SALU_CYCLE_1) | instskip(SKIP_2) | instid1(VALU_DEP_1)
	s_or_b32 exec_lo, exec_lo, s10
	v_lshrrev_b16 v6, 8, v62
	s_mov_b32 s13, exec_lo
	v_cmpx_ne_u16_e32 0, v6
	s_cbranch_execz .LBB264_1525
; %bb.1518:                             ;   in Loop: Header=BB264_998 Depth=1
	v_dual_mov_b32 v15, s9 :: v_dual_mov_b32 v14, s8
	s_mov_b32 s15, exec_lo
	v_cmpx_ne_u16_e32 0x80, v6
	s_cbranch_execz .LBB264_1524
; %bb.1519:                             ;   in Loop: Header=BB264_998 Depth=1
	s_mov_b32 s10, s8
	v_dual_mov_b32 v15, s11 :: v_dual_and_b32 v6, 0xffff, v6
	v_mov_b32_e32 v14, s10
	s_mov_b32 s10, exec_lo
	s_delay_alu instid0(VALU_DEP_2) | instskip(NEXT) | instid1(VALU_DEP_1)
	v_and_b32_e32 v16, 0x7f, v6
	v_cmpx_ne_u32_e32 0x7f, v16
	s_cbranch_execz .LBB264_1523
; %bb.1520:                             ;   in Loop: Header=BB264_998 Depth=1
	v_and_b32_e32 v6, 7, v6
	v_lshrrev_b32_e32 v14, 3, v16
	s_mov_b32 s16, exec_lo
	v_cmpx_gt_u32_e32 8, v16
; %bb.1521:                             ;   in Loop: Header=BB264_998 Depth=1
	s_delay_alu instid0(VALU_DEP_3) | instskip(NEXT) | instid1(VALU_DEP_1)
	v_clz_i32_u32_e32 v14, v6
	v_min_u32_e32 v14, 32, v14
	s_delay_alu instid0(VALU_DEP_1) | instskip(SKIP_1) | instid1(VALU_DEP_2)
	v_subrev_nc_u32_e32 v15, 28, v14
	v_sub_nc_u32_e32 v14, 29, v14
	v_lshlrev_b64 v[15:16], v15, v[6:7]
	s_delay_alu instid0(VALU_DEP_1)
	v_and_b32_e32 v6, 7, v15
; %bb.1522:                             ;   in Loop: Header=BB264_998 Depth=1
	s_or_b32 exec_lo, exec_lo, s16
	v_lshlrev_b32_e32 v15, 16, v62
	s_delay_alu instid0(VALU_DEP_2) | instskip(SKIP_1) | instid1(VALU_DEP_3)
	v_lshlrev_b32_e32 v6, 20, v6
	v_lshl_add_u32 v14, v14, 23, 0x3c000000
	v_and_b32_e32 v15, 0x80000000, v15
	s_delay_alu instid0(VALU_DEP_1)
	v_or3_b32 v15, v6, v15, v14
	v_mov_b32_e32 v14, v7
.LBB264_1523:                           ;   in Loop: Header=BB264_998 Depth=1
	s_or_b32 exec_lo, exec_lo, s10
.LBB264_1524:                           ;   in Loop: Header=BB264_998 Depth=1
	s_delay_alu instid0(SALU_CYCLE_1)
	s_or_b32 exec_lo, exec_lo, s15
.LBB264_1525:                           ;   in Loop: Header=BB264_998 Depth=1
	s_delay_alu instid0(SALU_CYCLE_1) | instskip(SKIP_4) | instid1(VALU_DEP_2)
	s_or_b32 exec_lo, exec_lo, s13
	v_mov_b32_e32 v18, 0
	v_lshrrev_b32_e32 v63, 16, v62
	v_mov_b32_e32 v19, 0
	s_mov_b32 s10, exec_lo
	v_and_b32_e32 v6, 0xff, v63
	s_delay_alu instid0(VALU_DEP_2) | instskip(NEXT) | instid1(VALU_DEP_2)
	v_dual_mov_b32 v16, v18 :: v_dual_mov_b32 v17, v19
	v_cmpx_ne_u16_e32 0, v6
	s_cbranch_execz .LBB264_1533
; %bb.1526:                             ;   in Loop: Header=BB264_998 Depth=1
	v_bfrev_b32_e32 v16, 1
	v_mov_b32_e32 v17, 0
	s_mov_b32 s13, exec_lo
	v_cmpx_ne_u16_e32 0x80, v6
	s_cbranch_execz .LBB264_1532
; %bb.1527:                             ;   in Loop: Header=BB264_998 Depth=1
	v_mov_b32_e32 v16, 0x7f800001
	v_bfe_u32 v72, v62, 16, 7
	v_mov_b32_e32 v17, 0
	s_mov_b32 s15, exec_lo
	s_delay_alu instid0(VALU_DEP_2)
	v_cmpx_ne_u32_e32 0x7f, v72
	s_cbranch_execz .LBB264_1531
; %bb.1528:                             ;   in Loop: Header=BB264_998 Depth=1
	v_and_b32_e32 v6, 7, v63
	v_lshrrev_b32_e32 v16, 3, v72
	s_mov_b32 s16, exec_lo
	v_cmpx_gt_u32_e32 8, v72
; %bb.1529:                             ;   in Loop: Header=BB264_998 Depth=1
	s_delay_alu instid0(VALU_DEP_3) | instskip(NEXT) | instid1(VALU_DEP_1)
	v_clz_i32_u32_e32 v16, v6
	v_min_u32_e32 v16, 32, v16
	s_delay_alu instid0(VALU_DEP_1) | instskip(SKIP_1) | instid1(VALU_DEP_2)
	v_subrev_nc_u32_e32 v17, 28, v16
	v_sub_nc_u32_e32 v16, 29, v16
	v_lshlrev_b64 v[72:73], v17, v[6:7]
	s_delay_alu instid0(VALU_DEP_1)
	v_and_b32_e32 v6, 7, v72
; %bb.1530:                             ;   in Loop: Header=BB264_998 Depth=1
	s_or_b32 exec_lo, exec_lo, s16
	v_lshlrev_b32_e32 v17, 24, v63
	s_delay_alu instid0(VALU_DEP_2) | instskip(SKIP_1) | instid1(VALU_DEP_3)
	v_lshlrev_b32_e32 v6, 20, v6
	v_lshl_add_u32 v16, v16, 23, 0x3c000000
	v_and_b32_e32 v17, 0x80000000, v17
	s_delay_alu instid0(VALU_DEP_1) | instskip(NEXT) | instid1(VALU_DEP_1)
	v_or3_b32 v6, v6, v17, v16
	v_dual_mov_b32 v17, v7 :: v_dual_mov_b32 v16, v6
.LBB264_1531:                           ;   in Loop: Header=BB264_998 Depth=1
	s_or_b32 exec_lo, exec_lo, s15
.LBB264_1532:                           ;   in Loop: Header=BB264_998 Depth=1
	s_delay_alu instid0(SALU_CYCLE_1)
	s_or_b32 exec_lo, exec_lo, s13
.LBB264_1533:                           ;   in Loop: Header=BB264_998 Depth=1
	s_delay_alu instid0(SALU_CYCLE_1) | instskip(NEXT) | instid1(SALU_CYCLE_1)
	s_or_b32 exec_lo, exec_lo, s10
	s_mov_b32 s13, exec_lo
	v_cmpx_lt_u32_e32 0xffffff, v62
	s_cbranch_execz .LBB264_1541
; %bb.1534:                             ;   in Loop: Header=BB264_998 Depth=1
	v_lshrrev_b32_e32 v63, 24, v62
	v_dual_mov_b32 v19, s9 :: v_dual_mov_b32 v18, s8
	s_mov_b32 s15, exec_lo
	s_delay_alu instid0(VALU_DEP_2)
	v_cmpx_ne_u32_e32 0x80, v63
	s_cbranch_execz .LBB264_1540
; %bb.1535:                             ;   in Loop: Header=BB264_998 Depth=1
	s_mov_b32 s10, s8
	v_bfe_u32 v62, v62, 24, 7
	v_dual_mov_b32 v19, s11 :: v_dual_mov_b32 v18, s10
	s_mov_b32 s10, exec_lo
	s_delay_alu instid0(VALU_DEP_2)
	v_cmpx_ne_u32_e32 0x7f, v62
	s_cbranch_execz .LBB264_1539
; %bb.1536:                             ;   in Loop: Header=BB264_998 Depth=1
	v_and_b32_e32 v6, 7, v63
	v_lshrrev_b32_e32 v18, 3, v62
	s_mov_b32 s16, exec_lo
	v_cmpx_gt_u32_e32 8, v62
; %bb.1537:                             ;   in Loop: Header=BB264_998 Depth=1
	s_delay_alu instid0(VALU_DEP_3) | instskip(NEXT) | instid1(VALU_DEP_1)
	v_clz_i32_u32_e32 v18, v6
	v_min_u32_e32 v18, 32, v18
	s_delay_alu instid0(VALU_DEP_1) | instskip(SKIP_1) | instid1(VALU_DEP_2)
	v_subrev_nc_u32_e32 v19, 28, v18
	v_sub_nc_u32_e32 v18, 29, v18
	v_lshlrev_b64 v[72:73], v19, v[6:7]
	s_delay_alu instid0(VALU_DEP_1)
	v_and_b32_e32 v6, 7, v72
; %bb.1538:                             ;   in Loop: Header=BB264_998 Depth=1
	s_or_b32 exec_lo, exec_lo, s16
	v_lshlrev_b32_e32 v19, 24, v63
	s_delay_alu instid0(VALU_DEP_2) | instskip(SKIP_1) | instid1(VALU_DEP_3)
	v_lshlrev_b32_e32 v6, 20, v6
	v_lshl_add_u32 v18, v18, 23, 0x3c000000
	v_and_b32_e32 v19, 0x80000000, v19
	s_delay_alu instid0(VALU_DEP_1)
	v_or3_b32 v19, v6, v19, v18
	v_mov_b32_e32 v18, v7
.LBB264_1539:                           ;   in Loop: Header=BB264_998 Depth=1
	s_or_b32 exec_lo, exec_lo, s10
.LBB264_1540:                           ;   in Loop: Header=BB264_998 Depth=1
	s_delay_alu instid0(SALU_CYCLE_1)
	s_or_b32 exec_lo, exec_lo, s15
.LBB264_1541:                           ;   in Loop: Header=BB264_998 Depth=1
	s_delay_alu instid0(SALU_CYCLE_1) | instskip(SKIP_4) | instid1(VALU_DEP_4)
	s_or_b32 exec_lo, exec_lo, s13
	v_or_b32_e32 v5, v15, v5
	v_or_b32_e32 v4, v14, v4
	;; [unrolled: 1-line block ×4, first 2 shown]
	v_mul_f32_e32 v73, v85, v5
	s_delay_alu instid0(VALU_DEP_4) | instskip(NEXT) | instid1(VALU_DEP_4)
	v_mul_f32_e32 v72, v85, v4
	v_mul_f32_e32 v62, v85, v6
	s_delay_alu instid0(VALU_DEP_4)
	v_mul_f32_e32 v63, v85, v14
	s_and_saveexec_b32 s10, vcc_lo
; %bb.1542:                             ;   in Loop: Header=BB264_998 Depth=1
	v_cmp_lt_i32_e64 s0, v98, v22
	s_delay_alu instid0(VALU_DEP_1) | instskip(SKIP_1) | instid1(VALU_DEP_1)
	v_cndmask_b32_e64 v72, 0, v72, s0
	v_cmp_lt_i32_e64 s0, v101, v22
	v_cndmask_b32_e64 v73, 0, v73, s0
	v_cmp_lt_i32_e64 s0, v100, v22
	s_delay_alu instid0(VALU_DEP_1) | instskip(SKIP_1) | instid1(VALU_DEP_1)
	v_cndmask_b32_e64 v63, 0, v63, s0
	v_cmp_lt_i32_e64 s0, v99, v22
	v_cndmask_b32_e64 v62, 0, v62, s0
; %bb.1543:                             ;   in Loop: Header=BB264_998 Depth=1
	s_or_b32 exec_lo, exec_lo, s10
	flat_load_b32 v74, v[12:13] offset:2048
	v_mov_b32_e32 v14, 0
	v_mov_b32_e32 v15, 0
	s_mov_b32 s10, exec_lo
	s_waitcnt vmcnt(0) lgkmcnt(0)
	v_and_b32_e32 v6, 0xff, v74
	s_delay_alu instid0(VALU_DEP_2) | instskip(NEXT) | instid1(VALU_DEP_2)
	v_dual_mov_b32 v4, v14 :: v_dual_mov_b32 v5, v15
	v_cmpx_ne_u16_e32 0, v6
	s_cbranch_execz .LBB264_1551
; %bb.1544:                             ;   in Loop: Header=BB264_998 Depth=1
	v_bfrev_b32_e32 v4, 1
	v_mov_b32_e32 v5, 0
	s_mov_b32 s13, exec_lo
	v_cmpx_ne_u16_e32 0x80, v6
	s_cbranch_execz .LBB264_1550
; %bb.1545:                             ;   in Loop: Header=BB264_998 Depth=1
	v_mov_b32_e32 v4, 0x7f800001
	v_dual_mov_b32 v5, 0 :: v_dual_and_b32 v16, 0x7f, v74
	s_mov_b32 s15, exec_lo
	s_delay_alu instid0(VALU_DEP_1)
	v_cmpx_ne_u32_e32 0x7f, v16
	s_cbranch_execz .LBB264_1549
; %bb.1546:                             ;   in Loop: Header=BB264_998 Depth=1
	v_and_b32_e32 v6, 7, v74
	v_lshrrev_b32_e32 v4, 3, v16
	s_mov_b32 s16, exec_lo
	v_cmpx_gt_u32_e32 8, v16
; %bb.1547:                             ;   in Loop: Header=BB264_998 Depth=1
	s_delay_alu instid0(VALU_DEP_3) | instskip(NEXT) | instid1(VALU_DEP_1)
	v_clz_i32_u32_e32 v4, v6
	v_min_u32_e32 v4, 32, v4
	s_delay_alu instid0(VALU_DEP_1) | instskip(SKIP_1) | instid1(VALU_DEP_2)
	v_subrev_nc_u32_e32 v5, 28, v4
	v_sub_nc_u32_e32 v4, 29, v4
	v_lshlrev_b64 v[5:6], v5, v[6:7]
	s_delay_alu instid0(VALU_DEP_1)
	v_and_b32_e32 v6, 7, v5
; %bb.1548:                             ;   in Loop: Header=BB264_998 Depth=1
	s_or_b32 exec_lo, exec_lo, s16
	v_lshlrev_b32_e32 v5, 24, v74
	s_delay_alu instid0(VALU_DEP_2) | instskip(SKIP_1) | instid1(VALU_DEP_3)
	v_lshlrev_b32_e32 v6, 20, v6
	v_lshl_add_u32 v4, v4, 23, 0x3c000000
	v_and_b32_e32 v5, 0x80000000, v5
	s_delay_alu instid0(VALU_DEP_1) | instskip(NEXT) | instid1(VALU_DEP_1)
	v_or3_b32 v6, v6, v5, v4
	v_dual_mov_b32 v4, v6 :: v_dual_mov_b32 v5, v7
.LBB264_1549:                           ;   in Loop: Header=BB264_998 Depth=1
	s_or_b32 exec_lo, exec_lo, s15
.LBB264_1550:                           ;   in Loop: Header=BB264_998 Depth=1
	s_delay_alu instid0(SALU_CYCLE_1)
	s_or_b32 exec_lo, exec_lo, s13
.LBB264_1551:                           ;   in Loop: Header=BB264_998 Depth=1
	s_delay_alu instid0(SALU_CYCLE_1) | instskip(SKIP_2) | instid1(VALU_DEP_1)
	s_or_b32 exec_lo, exec_lo, s10
	v_lshrrev_b16 v6, 8, v74
	s_mov_b32 s13, exec_lo
	v_cmpx_ne_u16_e32 0, v6
	s_cbranch_execz .LBB264_1559
; %bb.1552:                             ;   in Loop: Header=BB264_998 Depth=1
	v_dual_mov_b32 v15, s9 :: v_dual_mov_b32 v14, s8
	s_mov_b32 s15, exec_lo
	v_cmpx_ne_u16_e32 0x80, v6
	s_cbranch_execz .LBB264_1558
; %bb.1553:                             ;   in Loop: Header=BB264_998 Depth=1
	s_mov_b32 s10, s8
	v_dual_mov_b32 v15, s11 :: v_dual_and_b32 v6, 0xffff, v6
	v_mov_b32_e32 v14, s10
	s_mov_b32 s10, exec_lo
	s_delay_alu instid0(VALU_DEP_2) | instskip(NEXT) | instid1(VALU_DEP_1)
	v_and_b32_e32 v16, 0x7f, v6
	v_cmpx_ne_u32_e32 0x7f, v16
	s_cbranch_execz .LBB264_1557
; %bb.1554:                             ;   in Loop: Header=BB264_998 Depth=1
	v_and_b32_e32 v6, 7, v6
	v_lshrrev_b32_e32 v14, 3, v16
	s_mov_b32 s16, exec_lo
	v_cmpx_gt_u32_e32 8, v16
; %bb.1555:                             ;   in Loop: Header=BB264_998 Depth=1
	s_delay_alu instid0(VALU_DEP_3) | instskip(NEXT) | instid1(VALU_DEP_1)
	v_clz_i32_u32_e32 v14, v6
	v_min_u32_e32 v14, 32, v14
	s_delay_alu instid0(VALU_DEP_1) | instskip(SKIP_1) | instid1(VALU_DEP_2)
	v_subrev_nc_u32_e32 v15, 28, v14
	v_sub_nc_u32_e32 v14, 29, v14
	v_lshlrev_b64 v[15:16], v15, v[6:7]
	s_delay_alu instid0(VALU_DEP_1)
	v_and_b32_e32 v6, 7, v15
; %bb.1556:                             ;   in Loop: Header=BB264_998 Depth=1
	s_or_b32 exec_lo, exec_lo, s16
	v_lshlrev_b32_e32 v15, 16, v74
	s_delay_alu instid0(VALU_DEP_2) | instskip(SKIP_1) | instid1(VALU_DEP_3)
	v_lshlrev_b32_e32 v6, 20, v6
	v_lshl_add_u32 v14, v14, 23, 0x3c000000
	v_and_b32_e32 v15, 0x80000000, v15
	s_delay_alu instid0(VALU_DEP_1)
	v_or3_b32 v15, v6, v15, v14
	v_mov_b32_e32 v14, v7
.LBB264_1557:                           ;   in Loop: Header=BB264_998 Depth=1
	s_or_b32 exec_lo, exec_lo, s10
.LBB264_1558:                           ;   in Loop: Header=BB264_998 Depth=1
	s_delay_alu instid0(SALU_CYCLE_1)
	s_or_b32 exec_lo, exec_lo, s15
.LBB264_1559:                           ;   in Loop: Header=BB264_998 Depth=1
	s_delay_alu instid0(SALU_CYCLE_1) | instskip(SKIP_4) | instid1(VALU_DEP_2)
	s_or_b32 exec_lo, exec_lo, s13
	v_mov_b32_e32 v18, 0
	v_lshrrev_b32_e32 v75, 16, v74
	v_mov_b32_e32 v19, 0
	s_mov_b32 s10, exec_lo
	v_and_b32_e32 v6, 0xff, v75
	s_delay_alu instid0(VALU_DEP_2) | instskip(NEXT) | instid1(VALU_DEP_2)
	v_dual_mov_b32 v16, v18 :: v_dual_mov_b32 v17, v19
	v_cmpx_ne_u16_e32 0, v6
	s_cbranch_execz .LBB264_1567
; %bb.1560:                             ;   in Loop: Header=BB264_998 Depth=1
	v_bfrev_b32_e32 v16, 1
	v_mov_b32_e32 v17, 0
	s_mov_b32 s13, exec_lo
	v_cmpx_ne_u16_e32 0x80, v6
	s_cbranch_execz .LBB264_1566
; %bb.1561:                             ;   in Loop: Header=BB264_998 Depth=1
	v_mov_b32_e32 v16, 0x7f800001
	v_bfe_u32 v76, v74, 16, 7
	v_mov_b32_e32 v17, 0
	s_mov_b32 s15, exec_lo
	s_delay_alu instid0(VALU_DEP_2)
	v_cmpx_ne_u32_e32 0x7f, v76
	s_cbranch_execz .LBB264_1565
; %bb.1562:                             ;   in Loop: Header=BB264_998 Depth=1
	v_and_b32_e32 v6, 7, v75
	v_lshrrev_b32_e32 v16, 3, v76
	s_mov_b32 s16, exec_lo
	v_cmpx_gt_u32_e32 8, v76
; %bb.1563:                             ;   in Loop: Header=BB264_998 Depth=1
	s_delay_alu instid0(VALU_DEP_3) | instskip(NEXT) | instid1(VALU_DEP_1)
	v_clz_i32_u32_e32 v16, v6
	v_min_u32_e32 v16, 32, v16
	s_delay_alu instid0(VALU_DEP_1) | instskip(SKIP_1) | instid1(VALU_DEP_2)
	v_subrev_nc_u32_e32 v17, 28, v16
	v_sub_nc_u32_e32 v16, 29, v16
	v_lshlrev_b64 v[76:77], v17, v[6:7]
	s_delay_alu instid0(VALU_DEP_1)
	v_and_b32_e32 v6, 7, v76
; %bb.1564:                             ;   in Loop: Header=BB264_998 Depth=1
	s_or_b32 exec_lo, exec_lo, s16
	v_lshlrev_b32_e32 v17, 24, v75
	s_delay_alu instid0(VALU_DEP_2) | instskip(SKIP_1) | instid1(VALU_DEP_3)
	v_lshlrev_b32_e32 v6, 20, v6
	v_lshl_add_u32 v16, v16, 23, 0x3c000000
	v_and_b32_e32 v17, 0x80000000, v17
	s_delay_alu instid0(VALU_DEP_1) | instskip(NEXT) | instid1(VALU_DEP_1)
	v_or3_b32 v6, v6, v17, v16
	v_dual_mov_b32 v17, v7 :: v_dual_mov_b32 v16, v6
.LBB264_1565:                           ;   in Loop: Header=BB264_998 Depth=1
	s_or_b32 exec_lo, exec_lo, s15
.LBB264_1566:                           ;   in Loop: Header=BB264_998 Depth=1
	s_delay_alu instid0(SALU_CYCLE_1)
	s_or_b32 exec_lo, exec_lo, s13
.LBB264_1567:                           ;   in Loop: Header=BB264_998 Depth=1
	s_delay_alu instid0(SALU_CYCLE_1) | instskip(NEXT) | instid1(SALU_CYCLE_1)
	s_or_b32 exec_lo, exec_lo, s10
	s_mov_b32 s13, exec_lo
	v_cmpx_lt_u32_e32 0xffffff, v74
	s_cbranch_execz .LBB264_1575
; %bb.1568:                             ;   in Loop: Header=BB264_998 Depth=1
	v_lshrrev_b32_e32 v75, 24, v74
	v_dual_mov_b32 v19, s9 :: v_dual_mov_b32 v18, s8
	s_mov_b32 s15, exec_lo
	s_delay_alu instid0(VALU_DEP_2)
	v_cmpx_ne_u32_e32 0x80, v75
	s_cbranch_execz .LBB264_1574
; %bb.1569:                             ;   in Loop: Header=BB264_998 Depth=1
	s_mov_b32 s10, s8
	v_bfe_u32 v74, v74, 24, 7
	v_dual_mov_b32 v19, s11 :: v_dual_mov_b32 v18, s10
	s_mov_b32 s10, exec_lo
	s_delay_alu instid0(VALU_DEP_2)
	v_cmpx_ne_u32_e32 0x7f, v74
	s_cbranch_execz .LBB264_1573
; %bb.1570:                             ;   in Loop: Header=BB264_998 Depth=1
	v_and_b32_e32 v6, 7, v75
	v_lshrrev_b32_e32 v18, 3, v74
	s_mov_b32 s16, exec_lo
	v_cmpx_gt_u32_e32 8, v74
; %bb.1571:                             ;   in Loop: Header=BB264_998 Depth=1
	s_delay_alu instid0(VALU_DEP_3) | instskip(NEXT) | instid1(VALU_DEP_1)
	v_clz_i32_u32_e32 v18, v6
	v_min_u32_e32 v18, 32, v18
	s_delay_alu instid0(VALU_DEP_1) | instskip(SKIP_1) | instid1(VALU_DEP_2)
	v_subrev_nc_u32_e32 v19, 28, v18
	v_sub_nc_u32_e32 v18, 29, v18
	v_lshlrev_b64 v[76:77], v19, v[6:7]
	s_delay_alu instid0(VALU_DEP_1)
	v_and_b32_e32 v6, 7, v76
; %bb.1572:                             ;   in Loop: Header=BB264_998 Depth=1
	s_or_b32 exec_lo, exec_lo, s16
	v_lshlrev_b32_e32 v19, 24, v75
	s_delay_alu instid0(VALU_DEP_2) | instskip(SKIP_1) | instid1(VALU_DEP_3)
	v_lshlrev_b32_e32 v6, 20, v6
	v_lshl_add_u32 v18, v18, 23, 0x3c000000
	v_and_b32_e32 v19, 0x80000000, v19
	s_delay_alu instid0(VALU_DEP_1)
	v_or3_b32 v19, v6, v19, v18
	v_mov_b32_e32 v18, v7
.LBB264_1573:                           ;   in Loop: Header=BB264_998 Depth=1
	s_or_b32 exec_lo, exec_lo, s10
.LBB264_1574:                           ;   in Loop: Header=BB264_998 Depth=1
	s_delay_alu instid0(SALU_CYCLE_1)
	s_or_b32 exec_lo, exec_lo, s15
.LBB264_1575:                           ;   in Loop: Header=BB264_998 Depth=1
	s_delay_alu instid0(SALU_CYCLE_1) | instskip(SKIP_4) | instid1(VALU_DEP_4)
	s_or_b32 exec_lo, exec_lo, s13
	v_or_b32_e32 v5, v15, v5
	v_or_b32_e32 v4, v14, v4
	;; [unrolled: 1-line block ×4, first 2 shown]
	v_mul_f32_e32 v77, v85, v5
	s_delay_alu instid0(VALU_DEP_4) | instskip(NEXT) | instid1(VALU_DEP_4)
	v_mul_f32_e32 v76, v85, v4
	v_mul_f32_e32 v74, v85, v6
	s_delay_alu instid0(VALU_DEP_4)
	v_mul_f32_e32 v75, v85, v14
	s_and_saveexec_b32 s10, vcc_lo
; %bb.1576:                             ;   in Loop: Header=BB264_998 Depth=1
	v_cmp_lt_i32_e64 s0, v98, v22
	s_delay_alu instid0(VALU_DEP_1) | instskip(SKIP_1) | instid1(VALU_DEP_1)
	v_cndmask_b32_e64 v76, 0, v76, s0
	v_cmp_lt_i32_e64 s0, v101, v22
	v_cndmask_b32_e64 v77, 0, v77, s0
	v_cmp_lt_i32_e64 s0, v100, v22
	s_delay_alu instid0(VALU_DEP_1) | instskip(SKIP_1) | instid1(VALU_DEP_1)
	v_cndmask_b32_e64 v75, 0, v75, s0
	v_cmp_lt_i32_e64 s0, v99, v22
	v_cndmask_b32_e64 v74, 0, v74, s0
; %bb.1577:                             ;   in Loop: Header=BB264_998 Depth=1
	s_or_b32 exec_lo, exec_lo, s10
	flat_load_b32 v78, v[12:13] offset:2176
	v_mov_b32_e32 v14, 0
	v_mov_b32_e32 v15, 0
	s_mov_b32 s10, exec_lo
	s_waitcnt vmcnt(0) lgkmcnt(0)
	v_and_b32_e32 v6, 0xff, v78
	s_delay_alu instid0(VALU_DEP_2) | instskip(NEXT) | instid1(VALU_DEP_2)
	v_dual_mov_b32 v4, v14 :: v_dual_mov_b32 v5, v15
	v_cmpx_ne_u16_e32 0, v6
	s_cbranch_execz .LBB264_1585
; %bb.1578:                             ;   in Loop: Header=BB264_998 Depth=1
	v_bfrev_b32_e32 v4, 1
	v_mov_b32_e32 v5, 0
	s_mov_b32 s13, exec_lo
	v_cmpx_ne_u16_e32 0x80, v6
	s_cbranch_execz .LBB264_1584
; %bb.1579:                             ;   in Loop: Header=BB264_998 Depth=1
	v_mov_b32_e32 v4, 0x7f800001
	v_dual_mov_b32 v5, 0 :: v_dual_and_b32 v16, 0x7f, v78
	s_mov_b32 s15, exec_lo
	s_delay_alu instid0(VALU_DEP_1)
	v_cmpx_ne_u32_e32 0x7f, v16
	s_cbranch_execz .LBB264_1583
; %bb.1580:                             ;   in Loop: Header=BB264_998 Depth=1
	v_and_b32_e32 v6, 7, v78
	v_lshrrev_b32_e32 v4, 3, v16
	s_mov_b32 s16, exec_lo
	v_cmpx_gt_u32_e32 8, v16
; %bb.1581:                             ;   in Loop: Header=BB264_998 Depth=1
	s_delay_alu instid0(VALU_DEP_3) | instskip(NEXT) | instid1(VALU_DEP_1)
	v_clz_i32_u32_e32 v4, v6
	v_min_u32_e32 v4, 32, v4
	s_delay_alu instid0(VALU_DEP_1) | instskip(SKIP_1) | instid1(VALU_DEP_2)
	v_subrev_nc_u32_e32 v5, 28, v4
	v_sub_nc_u32_e32 v4, 29, v4
	v_lshlrev_b64 v[5:6], v5, v[6:7]
	s_delay_alu instid0(VALU_DEP_1)
	v_and_b32_e32 v6, 7, v5
; %bb.1582:                             ;   in Loop: Header=BB264_998 Depth=1
	s_or_b32 exec_lo, exec_lo, s16
	v_lshlrev_b32_e32 v5, 24, v78
	s_delay_alu instid0(VALU_DEP_2) | instskip(SKIP_1) | instid1(VALU_DEP_3)
	v_lshlrev_b32_e32 v6, 20, v6
	v_lshl_add_u32 v4, v4, 23, 0x3c000000
	v_and_b32_e32 v5, 0x80000000, v5
	s_delay_alu instid0(VALU_DEP_1) | instskip(NEXT) | instid1(VALU_DEP_1)
	v_or3_b32 v6, v6, v5, v4
	v_dual_mov_b32 v4, v6 :: v_dual_mov_b32 v5, v7
.LBB264_1583:                           ;   in Loop: Header=BB264_998 Depth=1
	s_or_b32 exec_lo, exec_lo, s15
.LBB264_1584:                           ;   in Loop: Header=BB264_998 Depth=1
	s_delay_alu instid0(SALU_CYCLE_1)
	s_or_b32 exec_lo, exec_lo, s13
.LBB264_1585:                           ;   in Loop: Header=BB264_998 Depth=1
	s_delay_alu instid0(SALU_CYCLE_1) | instskip(SKIP_2) | instid1(VALU_DEP_1)
	s_or_b32 exec_lo, exec_lo, s10
	v_lshrrev_b16 v6, 8, v78
	s_mov_b32 s13, exec_lo
	v_cmpx_ne_u16_e32 0, v6
	s_cbranch_execz .LBB264_1593
; %bb.1586:                             ;   in Loop: Header=BB264_998 Depth=1
	v_dual_mov_b32 v15, s9 :: v_dual_mov_b32 v14, s8
	s_mov_b32 s15, exec_lo
	v_cmpx_ne_u16_e32 0x80, v6
	s_cbranch_execz .LBB264_1592
; %bb.1587:                             ;   in Loop: Header=BB264_998 Depth=1
	s_mov_b32 s10, s8
	v_dual_mov_b32 v15, s11 :: v_dual_and_b32 v6, 0xffff, v6
	v_mov_b32_e32 v14, s10
	s_mov_b32 s10, exec_lo
	s_delay_alu instid0(VALU_DEP_2) | instskip(NEXT) | instid1(VALU_DEP_1)
	v_and_b32_e32 v16, 0x7f, v6
	v_cmpx_ne_u32_e32 0x7f, v16
	s_cbranch_execz .LBB264_1591
; %bb.1588:                             ;   in Loop: Header=BB264_998 Depth=1
	v_and_b32_e32 v6, 7, v6
	v_lshrrev_b32_e32 v14, 3, v16
	s_mov_b32 s16, exec_lo
	v_cmpx_gt_u32_e32 8, v16
; %bb.1589:                             ;   in Loop: Header=BB264_998 Depth=1
	s_delay_alu instid0(VALU_DEP_3) | instskip(NEXT) | instid1(VALU_DEP_1)
	v_clz_i32_u32_e32 v14, v6
	v_min_u32_e32 v14, 32, v14
	s_delay_alu instid0(VALU_DEP_1) | instskip(SKIP_1) | instid1(VALU_DEP_2)
	v_subrev_nc_u32_e32 v15, 28, v14
	v_sub_nc_u32_e32 v14, 29, v14
	v_lshlrev_b64 v[15:16], v15, v[6:7]
	s_delay_alu instid0(VALU_DEP_1)
	v_and_b32_e32 v6, 7, v15
; %bb.1590:                             ;   in Loop: Header=BB264_998 Depth=1
	s_or_b32 exec_lo, exec_lo, s16
	v_lshlrev_b32_e32 v15, 16, v78
	s_delay_alu instid0(VALU_DEP_2) | instskip(SKIP_1) | instid1(VALU_DEP_3)
	v_lshlrev_b32_e32 v6, 20, v6
	v_lshl_add_u32 v14, v14, 23, 0x3c000000
	v_and_b32_e32 v15, 0x80000000, v15
	s_delay_alu instid0(VALU_DEP_1)
	v_or3_b32 v15, v6, v15, v14
	v_mov_b32_e32 v14, v7
.LBB264_1591:                           ;   in Loop: Header=BB264_998 Depth=1
	s_or_b32 exec_lo, exec_lo, s10
.LBB264_1592:                           ;   in Loop: Header=BB264_998 Depth=1
	s_delay_alu instid0(SALU_CYCLE_1)
	s_or_b32 exec_lo, exec_lo, s15
.LBB264_1593:                           ;   in Loop: Header=BB264_998 Depth=1
	s_delay_alu instid0(SALU_CYCLE_1) | instskip(SKIP_4) | instid1(VALU_DEP_2)
	s_or_b32 exec_lo, exec_lo, s13
	v_mov_b32_e32 v18, 0
	v_lshrrev_b32_e32 v79, 16, v78
	v_mov_b32_e32 v19, 0
	s_mov_b32 s10, exec_lo
	v_and_b32_e32 v6, 0xff, v79
	s_delay_alu instid0(VALU_DEP_2) | instskip(NEXT) | instid1(VALU_DEP_2)
	v_dual_mov_b32 v16, v18 :: v_dual_mov_b32 v17, v19
	v_cmpx_ne_u16_e32 0, v6
	s_cbranch_execz .LBB264_1601
; %bb.1594:                             ;   in Loop: Header=BB264_998 Depth=1
	v_bfrev_b32_e32 v16, 1
	v_mov_b32_e32 v17, 0
	s_mov_b32 s13, exec_lo
	v_cmpx_ne_u16_e32 0x80, v6
	s_cbranch_execz .LBB264_1600
; %bb.1595:                             ;   in Loop: Header=BB264_998 Depth=1
	v_mov_b32_e32 v16, 0x7f800001
	v_bfe_u32 v88, v78, 16, 7
	v_mov_b32_e32 v17, 0
	s_mov_b32 s15, exec_lo
	s_delay_alu instid0(VALU_DEP_2)
	v_cmpx_ne_u32_e32 0x7f, v88
	s_cbranch_execz .LBB264_1599
; %bb.1596:                             ;   in Loop: Header=BB264_998 Depth=1
	v_and_b32_e32 v6, 7, v79
	v_lshrrev_b32_e32 v16, 3, v88
	s_mov_b32 s16, exec_lo
	v_cmpx_gt_u32_e32 8, v88
; %bb.1597:                             ;   in Loop: Header=BB264_998 Depth=1
	s_delay_alu instid0(VALU_DEP_3) | instskip(NEXT) | instid1(VALU_DEP_1)
	v_clz_i32_u32_e32 v16, v6
	v_min_u32_e32 v16, 32, v16
	s_delay_alu instid0(VALU_DEP_1) | instskip(SKIP_1) | instid1(VALU_DEP_2)
	v_subrev_nc_u32_e32 v17, 28, v16
	v_sub_nc_u32_e32 v16, 29, v16
	v_lshlrev_b64 v[88:89], v17, v[6:7]
	s_delay_alu instid0(VALU_DEP_1)
	v_and_b32_e32 v6, 7, v88
; %bb.1598:                             ;   in Loop: Header=BB264_998 Depth=1
	s_or_b32 exec_lo, exec_lo, s16
	v_lshlrev_b32_e32 v17, 24, v79
	s_delay_alu instid0(VALU_DEP_2) | instskip(SKIP_1) | instid1(VALU_DEP_3)
	v_lshlrev_b32_e32 v6, 20, v6
	v_lshl_add_u32 v16, v16, 23, 0x3c000000
	v_and_b32_e32 v17, 0x80000000, v17
	s_delay_alu instid0(VALU_DEP_1) | instskip(NEXT) | instid1(VALU_DEP_1)
	v_or3_b32 v6, v6, v17, v16
	v_dual_mov_b32 v17, v7 :: v_dual_mov_b32 v16, v6
.LBB264_1599:                           ;   in Loop: Header=BB264_998 Depth=1
	s_or_b32 exec_lo, exec_lo, s15
.LBB264_1600:                           ;   in Loop: Header=BB264_998 Depth=1
	s_delay_alu instid0(SALU_CYCLE_1)
	s_or_b32 exec_lo, exec_lo, s13
.LBB264_1601:                           ;   in Loop: Header=BB264_998 Depth=1
	s_delay_alu instid0(SALU_CYCLE_1) | instskip(NEXT) | instid1(SALU_CYCLE_1)
	s_or_b32 exec_lo, exec_lo, s10
	s_mov_b32 s13, exec_lo
	v_cmpx_lt_u32_e32 0xffffff, v78
	s_cbranch_execz .LBB264_1609
; %bb.1602:                             ;   in Loop: Header=BB264_998 Depth=1
	v_lshrrev_b32_e32 v79, 24, v78
	v_dual_mov_b32 v19, s9 :: v_dual_mov_b32 v18, s8
	s_mov_b32 s15, exec_lo
	s_delay_alu instid0(VALU_DEP_2)
	v_cmpx_ne_u32_e32 0x80, v79
	s_cbranch_execz .LBB264_1608
; %bb.1603:                             ;   in Loop: Header=BB264_998 Depth=1
	s_mov_b32 s10, s8
	v_bfe_u32 v78, v78, 24, 7
	v_dual_mov_b32 v19, s11 :: v_dual_mov_b32 v18, s10
	s_mov_b32 s10, exec_lo
	s_delay_alu instid0(VALU_DEP_2)
	v_cmpx_ne_u32_e32 0x7f, v78
	s_cbranch_execz .LBB264_1607
; %bb.1604:                             ;   in Loop: Header=BB264_998 Depth=1
	v_and_b32_e32 v6, 7, v79
	v_lshrrev_b32_e32 v18, 3, v78
	s_mov_b32 s16, exec_lo
	v_cmpx_gt_u32_e32 8, v78
; %bb.1605:                             ;   in Loop: Header=BB264_998 Depth=1
	s_delay_alu instid0(VALU_DEP_3) | instskip(NEXT) | instid1(VALU_DEP_1)
	v_clz_i32_u32_e32 v18, v6
	v_min_u32_e32 v18, 32, v18
	s_delay_alu instid0(VALU_DEP_1) | instskip(SKIP_1) | instid1(VALU_DEP_2)
	v_subrev_nc_u32_e32 v19, 28, v18
	v_sub_nc_u32_e32 v18, 29, v18
	v_lshlrev_b64 v[88:89], v19, v[6:7]
	s_delay_alu instid0(VALU_DEP_1)
	v_and_b32_e32 v6, 7, v88
; %bb.1606:                             ;   in Loop: Header=BB264_998 Depth=1
	s_or_b32 exec_lo, exec_lo, s16
	v_lshlrev_b32_e32 v19, 24, v79
	s_delay_alu instid0(VALU_DEP_2) | instskip(SKIP_1) | instid1(VALU_DEP_3)
	v_lshlrev_b32_e32 v6, 20, v6
	v_lshl_add_u32 v18, v18, 23, 0x3c000000
	v_and_b32_e32 v19, 0x80000000, v19
	s_delay_alu instid0(VALU_DEP_1)
	v_or3_b32 v19, v6, v19, v18
	v_mov_b32_e32 v18, v7
.LBB264_1607:                           ;   in Loop: Header=BB264_998 Depth=1
	s_or_b32 exec_lo, exec_lo, s10
.LBB264_1608:                           ;   in Loop: Header=BB264_998 Depth=1
	s_delay_alu instid0(SALU_CYCLE_1)
	s_or_b32 exec_lo, exec_lo, s15
.LBB264_1609:                           ;   in Loop: Header=BB264_998 Depth=1
	s_delay_alu instid0(SALU_CYCLE_1) | instskip(SKIP_4) | instid1(VALU_DEP_4)
	s_or_b32 exec_lo, exec_lo, s13
	v_or_b32_e32 v5, v15, v5
	v_or_b32_e32 v4, v14, v4
	;; [unrolled: 1-line block ×4, first 2 shown]
	v_mul_f32_e32 v89, v85, v5
	s_delay_alu instid0(VALU_DEP_4) | instskip(NEXT) | instid1(VALU_DEP_4)
	v_mul_f32_e32 v88, v85, v4
	v_mul_f32_e32 v78, v85, v6
	s_delay_alu instid0(VALU_DEP_4)
	v_mul_f32_e32 v79, v85, v14
	s_and_saveexec_b32 s10, vcc_lo
; %bb.1610:                             ;   in Loop: Header=BB264_998 Depth=1
	v_cmp_lt_i32_e64 s0, v98, v22
	s_delay_alu instid0(VALU_DEP_1) | instskip(SKIP_1) | instid1(VALU_DEP_1)
	v_cndmask_b32_e64 v88, 0, v88, s0
	v_cmp_lt_i32_e64 s0, v101, v22
	v_cndmask_b32_e64 v89, 0, v89, s0
	v_cmp_lt_i32_e64 s0, v100, v22
	s_delay_alu instid0(VALU_DEP_1) | instskip(SKIP_1) | instid1(VALU_DEP_1)
	v_cndmask_b32_e64 v79, 0, v79, s0
	v_cmp_lt_i32_e64 s0, v99, v22
	v_cndmask_b32_e64 v78, 0, v78, s0
; %bb.1611:                             ;   in Loop: Header=BB264_998 Depth=1
	s_or_b32 exec_lo, exec_lo, s10
	flat_load_b32 v90, v[12:13] offset:2304
	v_mov_b32_e32 v14, 0
	v_mov_b32_e32 v15, 0
	s_mov_b32 s10, exec_lo
	s_waitcnt vmcnt(0) lgkmcnt(0)
	v_and_b32_e32 v6, 0xff, v90
	s_delay_alu instid0(VALU_DEP_2) | instskip(NEXT) | instid1(VALU_DEP_2)
	v_dual_mov_b32 v4, v14 :: v_dual_mov_b32 v5, v15
	v_cmpx_ne_u16_e32 0, v6
	s_cbranch_execz .LBB264_1619
; %bb.1612:                             ;   in Loop: Header=BB264_998 Depth=1
	v_bfrev_b32_e32 v4, 1
	v_mov_b32_e32 v5, 0
	s_mov_b32 s13, exec_lo
	v_cmpx_ne_u16_e32 0x80, v6
	s_cbranch_execz .LBB264_1618
; %bb.1613:                             ;   in Loop: Header=BB264_998 Depth=1
	v_mov_b32_e32 v4, 0x7f800001
	v_dual_mov_b32 v5, 0 :: v_dual_and_b32 v16, 0x7f, v90
	s_mov_b32 s15, exec_lo
	s_delay_alu instid0(VALU_DEP_1)
	v_cmpx_ne_u32_e32 0x7f, v16
	s_cbranch_execz .LBB264_1617
; %bb.1614:                             ;   in Loop: Header=BB264_998 Depth=1
	v_and_b32_e32 v6, 7, v90
	v_lshrrev_b32_e32 v4, 3, v16
	s_mov_b32 s16, exec_lo
	v_cmpx_gt_u32_e32 8, v16
; %bb.1615:                             ;   in Loop: Header=BB264_998 Depth=1
	s_delay_alu instid0(VALU_DEP_3) | instskip(NEXT) | instid1(VALU_DEP_1)
	v_clz_i32_u32_e32 v4, v6
	v_min_u32_e32 v4, 32, v4
	s_delay_alu instid0(VALU_DEP_1) | instskip(SKIP_1) | instid1(VALU_DEP_2)
	v_subrev_nc_u32_e32 v5, 28, v4
	v_sub_nc_u32_e32 v4, 29, v4
	v_lshlrev_b64 v[5:6], v5, v[6:7]
	s_delay_alu instid0(VALU_DEP_1)
	v_and_b32_e32 v6, 7, v5
; %bb.1616:                             ;   in Loop: Header=BB264_998 Depth=1
	s_or_b32 exec_lo, exec_lo, s16
	v_lshlrev_b32_e32 v5, 24, v90
	s_delay_alu instid0(VALU_DEP_2) | instskip(SKIP_1) | instid1(VALU_DEP_3)
	v_lshlrev_b32_e32 v6, 20, v6
	v_lshl_add_u32 v4, v4, 23, 0x3c000000
	v_and_b32_e32 v5, 0x80000000, v5
	s_delay_alu instid0(VALU_DEP_1) | instskip(NEXT) | instid1(VALU_DEP_1)
	v_or3_b32 v6, v6, v5, v4
	v_dual_mov_b32 v4, v6 :: v_dual_mov_b32 v5, v7
.LBB264_1617:                           ;   in Loop: Header=BB264_998 Depth=1
	s_or_b32 exec_lo, exec_lo, s15
.LBB264_1618:                           ;   in Loop: Header=BB264_998 Depth=1
	s_delay_alu instid0(SALU_CYCLE_1)
	s_or_b32 exec_lo, exec_lo, s13
.LBB264_1619:                           ;   in Loop: Header=BB264_998 Depth=1
	s_delay_alu instid0(SALU_CYCLE_1) | instskip(SKIP_2) | instid1(VALU_DEP_1)
	s_or_b32 exec_lo, exec_lo, s10
	v_lshrrev_b16 v6, 8, v90
	s_mov_b32 s13, exec_lo
	v_cmpx_ne_u16_e32 0, v6
	s_cbranch_execz .LBB264_1627
; %bb.1620:                             ;   in Loop: Header=BB264_998 Depth=1
	v_dual_mov_b32 v15, s9 :: v_dual_mov_b32 v14, s8
	s_mov_b32 s15, exec_lo
	v_cmpx_ne_u16_e32 0x80, v6
	s_cbranch_execz .LBB264_1626
; %bb.1621:                             ;   in Loop: Header=BB264_998 Depth=1
	s_mov_b32 s10, s8
	v_dual_mov_b32 v15, s11 :: v_dual_and_b32 v6, 0xffff, v6
	v_mov_b32_e32 v14, s10
	s_mov_b32 s10, exec_lo
	s_delay_alu instid0(VALU_DEP_2) | instskip(NEXT) | instid1(VALU_DEP_1)
	v_and_b32_e32 v16, 0x7f, v6
	v_cmpx_ne_u32_e32 0x7f, v16
	s_cbranch_execz .LBB264_1625
; %bb.1622:                             ;   in Loop: Header=BB264_998 Depth=1
	v_and_b32_e32 v6, 7, v6
	v_lshrrev_b32_e32 v14, 3, v16
	s_mov_b32 s16, exec_lo
	v_cmpx_gt_u32_e32 8, v16
; %bb.1623:                             ;   in Loop: Header=BB264_998 Depth=1
	s_delay_alu instid0(VALU_DEP_3) | instskip(NEXT) | instid1(VALU_DEP_1)
	v_clz_i32_u32_e32 v14, v6
	v_min_u32_e32 v14, 32, v14
	s_delay_alu instid0(VALU_DEP_1) | instskip(SKIP_1) | instid1(VALU_DEP_2)
	v_subrev_nc_u32_e32 v15, 28, v14
	v_sub_nc_u32_e32 v14, 29, v14
	v_lshlrev_b64 v[15:16], v15, v[6:7]
	s_delay_alu instid0(VALU_DEP_1)
	v_and_b32_e32 v6, 7, v15
; %bb.1624:                             ;   in Loop: Header=BB264_998 Depth=1
	s_or_b32 exec_lo, exec_lo, s16
	v_lshlrev_b32_e32 v15, 16, v90
	s_delay_alu instid0(VALU_DEP_2) | instskip(SKIP_1) | instid1(VALU_DEP_3)
	v_lshlrev_b32_e32 v6, 20, v6
	v_lshl_add_u32 v14, v14, 23, 0x3c000000
	v_and_b32_e32 v15, 0x80000000, v15
	s_delay_alu instid0(VALU_DEP_1)
	v_or3_b32 v15, v6, v15, v14
	v_mov_b32_e32 v14, v7
.LBB264_1625:                           ;   in Loop: Header=BB264_998 Depth=1
	s_or_b32 exec_lo, exec_lo, s10
.LBB264_1626:                           ;   in Loop: Header=BB264_998 Depth=1
	s_delay_alu instid0(SALU_CYCLE_1)
	s_or_b32 exec_lo, exec_lo, s15
.LBB264_1627:                           ;   in Loop: Header=BB264_998 Depth=1
	s_delay_alu instid0(SALU_CYCLE_1) | instskip(SKIP_4) | instid1(VALU_DEP_2)
	s_or_b32 exec_lo, exec_lo, s13
	v_mov_b32_e32 v18, 0
	v_lshrrev_b32_e32 v91, 16, v90
	v_mov_b32_e32 v19, 0
	s_mov_b32 s10, exec_lo
	v_and_b32_e32 v6, 0xff, v91
	s_delay_alu instid0(VALU_DEP_2) | instskip(NEXT) | instid1(VALU_DEP_2)
	v_dual_mov_b32 v16, v18 :: v_dual_mov_b32 v17, v19
	v_cmpx_ne_u16_e32 0, v6
	s_cbranch_execz .LBB264_1635
; %bb.1628:                             ;   in Loop: Header=BB264_998 Depth=1
	v_bfrev_b32_e32 v16, 1
	v_mov_b32_e32 v17, 0
	s_mov_b32 s13, exec_lo
	v_cmpx_ne_u16_e32 0x80, v6
	s_cbranch_execz .LBB264_1634
; %bb.1629:                             ;   in Loop: Header=BB264_998 Depth=1
	v_mov_b32_e32 v16, 0x7f800001
	v_bfe_u32 v92, v90, 16, 7
	v_mov_b32_e32 v17, 0
	s_mov_b32 s15, exec_lo
	s_delay_alu instid0(VALU_DEP_2)
	v_cmpx_ne_u32_e32 0x7f, v92
	s_cbranch_execz .LBB264_1633
; %bb.1630:                             ;   in Loop: Header=BB264_998 Depth=1
	v_and_b32_e32 v6, 7, v91
	v_lshrrev_b32_e32 v16, 3, v92
	s_mov_b32 s16, exec_lo
	v_cmpx_gt_u32_e32 8, v92
; %bb.1631:                             ;   in Loop: Header=BB264_998 Depth=1
	s_delay_alu instid0(VALU_DEP_3) | instskip(NEXT) | instid1(VALU_DEP_1)
	v_clz_i32_u32_e32 v16, v6
	v_min_u32_e32 v16, 32, v16
	s_delay_alu instid0(VALU_DEP_1) | instskip(SKIP_1) | instid1(VALU_DEP_2)
	v_subrev_nc_u32_e32 v17, 28, v16
	v_sub_nc_u32_e32 v16, 29, v16
	v_lshlrev_b64 v[92:93], v17, v[6:7]
	s_delay_alu instid0(VALU_DEP_1)
	v_and_b32_e32 v6, 7, v92
; %bb.1632:                             ;   in Loop: Header=BB264_998 Depth=1
	s_or_b32 exec_lo, exec_lo, s16
	v_lshlrev_b32_e32 v17, 24, v91
	s_delay_alu instid0(VALU_DEP_2) | instskip(SKIP_1) | instid1(VALU_DEP_3)
	v_lshlrev_b32_e32 v6, 20, v6
	v_lshl_add_u32 v16, v16, 23, 0x3c000000
	v_and_b32_e32 v17, 0x80000000, v17
	s_delay_alu instid0(VALU_DEP_1) | instskip(NEXT) | instid1(VALU_DEP_1)
	v_or3_b32 v6, v6, v17, v16
	v_dual_mov_b32 v17, v7 :: v_dual_mov_b32 v16, v6
.LBB264_1633:                           ;   in Loop: Header=BB264_998 Depth=1
	s_or_b32 exec_lo, exec_lo, s15
.LBB264_1634:                           ;   in Loop: Header=BB264_998 Depth=1
	s_delay_alu instid0(SALU_CYCLE_1)
	s_or_b32 exec_lo, exec_lo, s13
.LBB264_1635:                           ;   in Loop: Header=BB264_998 Depth=1
	s_delay_alu instid0(SALU_CYCLE_1) | instskip(NEXT) | instid1(SALU_CYCLE_1)
	s_or_b32 exec_lo, exec_lo, s10
	s_mov_b32 s13, exec_lo
	v_cmpx_lt_u32_e32 0xffffff, v90
	s_cbranch_execz .LBB264_1643
; %bb.1636:                             ;   in Loop: Header=BB264_998 Depth=1
	v_lshrrev_b32_e32 v91, 24, v90
	v_dual_mov_b32 v19, s9 :: v_dual_mov_b32 v18, s8
	s_mov_b32 s15, exec_lo
	s_delay_alu instid0(VALU_DEP_2)
	v_cmpx_ne_u32_e32 0x80, v91
	s_cbranch_execz .LBB264_1642
; %bb.1637:                             ;   in Loop: Header=BB264_998 Depth=1
	s_mov_b32 s10, s8
	v_bfe_u32 v90, v90, 24, 7
	v_dual_mov_b32 v19, s11 :: v_dual_mov_b32 v18, s10
	s_mov_b32 s10, exec_lo
	s_delay_alu instid0(VALU_DEP_2)
	v_cmpx_ne_u32_e32 0x7f, v90
	s_cbranch_execz .LBB264_1641
; %bb.1638:                             ;   in Loop: Header=BB264_998 Depth=1
	v_and_b32_e32 v6, 7, v91
	v_lshrrev_b32_e32 v18, 3, v90
	s_mov_b32 s16, exec_lo
	v_cmpx_gt_u32_e32 8, v90
; %bb.1639:                             ;   in Loop: Header=BB264_998 Depth=1
	s_delay_alu instid0(VALU_DEP_3) | instskip(NEXT) | instid1(VALU_DEP_1)
	v_clz_i32_u32_e32 v18, v6
	v_min_u32_e32 v18, 32, v18
	s_delay_alu instid0(VALU_DEP_1) | instskip(SKIP_1) | instid1(VALU_DEP_2)
	v_subrev_nc_u32_e32 v19, 28, v18
	v_sub_nc_u32_e32 v18, 29, v18
	v_lshlrev_b64 v[92:93], v19, v[6:7]
	s_delay_alu instid0(VALU_DEP_1)
	v_and_b32_e32 v6, 7, v92
; %bb.1640:                             ;   in Loop: Header=BB264_998 Depth=1
	s_or_b32 exec_lo, exec_lo, s16
	v_lshlrev_b32_e32 v19, 24, v91
	s_delay_alu instid0(VALU_DEP_2) | instskip(SKIP_1) | instid1(VALU_DEP_3)
	v_lshlrev_b32_e32 v6, 20, v6
	v_lshl_add_u32 v18, v18, 23, 0x3c000000
	v_and_b32_e32 v19, 0x80000000, v19
	s_delay_alu instid0(VALU_DEP_1)
	v_or3_b32 v19, v6, v19, v18
	v_mov_b32_e32 v18, v7
.LBB264_1641:                           ;   in Loop: Header=BB264_998 Depth=1
	s_or_b32 exec_lo, exec_lo, s10
.LBB264_1642:                           ;   in Loop: Header=BB264_998 Depth=1
	s_delay_alu instid0(SALU_CYCLE_1)
	s_or_b32 exec_lo, exec_lo, s15
.LBB264_1643:                           ;   in Loop: Header=BB264_998 Depth=1
	s_delay_alu instid0(SALU_CYCLE_1) | instskip(SKIP_4) | instid1(VALU_DEP_4)
	s_or_b32 exec_lo, exec_lo, s13
	v_or_b32_e32 v5, v15, v5
	v_or_b32_e32 v4, v14, v4
	;; [unrolled: 1-line block ×4, first 2 shown]
	v_mul_f32_e32 v93, v85, v5
	s_delay_alu instid0(VALU_DEP_4) | instskip(NEXT) | instid1(VALU_DEP_4)
	v_mul_f32_e32 v92, v85, v4
	v_mul_f32_e32 v90, v85, v6
	s_delay_alu instid0(VALU_DEP_4)
	v_mul_f32_e32 v91, v85, v14
	s_and_saveexec_b32 s10, vcc_lo
; %bb.1644:                             ;   in Loop: Header=BB264_998 Depth=1
	v_cmp_lt_i32_e64 s0, v98, v22
	s_delay_alu instid0(VALU_DEP_1) | instskip(SKIP_1) | instid1(VALU_DEP_1)
	v_cndmask_b32_e64 v92, 0, v92, s0
	v_cmp_lt_i32_e64 s0, v101, v22
	v_cndmask_b32_e64 v93, 0, v93, s0
	v_cmp_lt_i32_e64 s0, v100, v22
	s_delay_alu instid0(VALU_DEP_1) | instskip(SKIP_1) | instid1(VALU_DEP_1)
	v_cndmask_b32_e64 v91, 0, v91, s0
	v_cmp_lt_i32_e64 s0, v99, v22
	v_cndmask_b32_e64 v90, 0, v90, s0
; %bb.1645:                             ;   in Loop: Header=BB264_998 Depth=1
	s_or_b32 exec_lo, exec_lo, s10
	flat_load_b32 v94, v[12:13] offset:2432
	v_mov_b32_e32 v14, 0
	v_mov_b32_e32 v15, 0
	s_mov_b32 s10, exec_lo
	s_waitcnt vmcnt(0) lgkmcnt(0)
	v_and_b32_e32 v6, 0xff, v94
	s_delay_alu instid0(VALU_DEP_2) | instskip(NEXT) | instid1(VALU_DEP_2)
	v_dual_mov_b32 v4, v14 :: v_dual_mov_b32 v5, v15
	v_cmpx_ne_u16_e32 0, v6
	s_cbranch_execz .LBB264_1653
; %bb.1646:                             ;   in Loop: Header=BB264_998 Depth=1
	v_bfrev_b32_e32 v4, 1
	v_mov_b32_e32 v5, 0
	s_mov_b32 s13, exec_lo
	v_cmpx_ne_u16_e32 0x80, v6
	s_cbranch_execz .LBB264_1652
; %bb.1647:                             ;   in Loop: Header=BB264_998 Depth=1
	v_mov_b32_e32 v4, 0x7f800001
	v_dual_mov_b32 v5, 0 :: v_dual_and_b32 v16, 0x7f, v94
	s_mov_b32 s15, exec_lo
	s_delay_alu instid0(VALU_DEP_1)
	v_cmpx_ne_u32_e32 0x7f, v16
	s_cbranch_execz .LBB264_1651
; %bb.1648:                             ;   in Loop: Header=BB264_998 Depth=1
	v_and_b32_e32 v6, 7, v94
	v_lshrrev_b32_e32 v4, 3, v16
	s_mov_b32 s16, exec_lo
	v_cmpx_gt_u32_e32 8, v16
; %bb.1649:                             ;   in Loop: Header=BB264_998 Depth=1
	s_delay_alu instid0(VALU_DEP_3) | instskip(NEXT) | instid1(VALU_DEP_1)
	v_clz_i32_u32_e32 v4, v6
	v_min_u32_e32 v4, 32, v4
	s_delay_alu instid0(VALU_DEP_1) | instskip(SKIP_1) | instid1(VALU_DEP_2)
	v_subrev_nc_u32_e32 v5, 28, v4
	v_sub_nc_u32_e32 v4, 29, v4
	v_lshlrev_b64 v[5:6], v5, v[6:7]
	s_delay_alu instid0(VALU_DEP_1)
	v_and_b32_e32 v6, 7, v5
; %bb.1650:                             ;   in Loop: Header=BB264_998 Depth=1
	s_or_b32 exec_lo, exec_lo, s16
	v_lshlrev_b32_e32 v5, 24, v94
	s_delay_alu instid0(VALU_DEP_2) | instskip(SKIP_1) | instid1(VALU_DEP_3)
	v_lshlrev_b32_e32 v6, 20, v6
	v_lshl_add_u32 v4, v4, 23, 0x3c000000
	v_and_b32_e32 v5, 0x80000000, v5
	s_delay_alu instid0(VALU_DEP_1) | instskip(NEXT) | instid1(VALU_DEP_1)
	v_or3_b32 v6, v6, v5, v4
	v_dual_mov_b32 v4, v6 :: v_dual_mov_b32 v5, v7
.LBB264_1651:                           ;   in Loop: Header=BB264_998 Depth=1
	s_or_b32 exec_lo, exec_lo, s15
.LBB264_1652:                           ;   in Loop: Header=BB264_998 Depth=1
	s_delay_alu instid0(SALU_CYCLE_1)
	s_or_b32 exec_lo, exec_lo, s13
.LBB264_1653:                           ;   in Loop: Header=BB264_998 Depth=1
	s_delay_alu instid0(SALU_CYCLE_1) | instskip(SKIP_2) | instid1(VALU_DEP_1)
	s_or_b32 exec_lo, exec_lo, s10
	v_lshrrev_b16 v6, 8, v94
	s_mov_b32 s13, exec_lo
	v_cmpx_ne_u16_e32 0, v6
	s_cbranch_execz .LBB264_1661
; %bb.1654:                             ;   in Loop: Header=BB264_998 Depth=1
	v_dual_mov_b32 v15, s9 :: v_dual_mov_b32 v14, s8
	s_mov_b32 s15, exec_lo
	v_cmpx_ne_u16_e32 0x80, v6
	s_cbranch_execz .LBB264_1660
; %bb.1655:                             ;   in Loop: Header=BB264_998 Depth=1
	s_mov_b32 s10, s8
	v_dual_mov_b32 v15, s11 :: v_dual_and_b32 v6, 0xffff, v6
	v_mov_b32_e32 v14, s10
	s_mov_b32 s10, exec_lo
	s_delay_alu instid0(VALU_DEP_2) | instskip(NEXT) | instid1(VALU_DEP_1)
	v_and_b32_e32 v16, 0x7f, v6
	v_cmpx_ne_u32_e32 0x7f, v16
	s_cbranch_execz .LBB264_1659
; %bb.1656:                             ;   in Loop: Header=BB264_998 Depth=1
	v_and_b32_e32 v6, 7, v6
	v_lshrrev_b32_e32 v14, 3, v16
	s_mov_b32 s16, exec_lo
	v_cmpx_gt_u32_e32 8, v16
; %bb.1657:                             ;   in Loop: Header=BB264_998 Depth=1
	s_delay_alu instid0(VALU_DEP_3) | instskip(NEXT) | instid1(VALU_DEP_1)
	v_clz_i32_u32_e32 v14, v6
	v_min_u32_e32 v14, 32, v14
	s_delay_alu instid0(VALU_DEP_1) | instskip(SKIP_1) | instid1(VALU_DEP_2)
	v_subrev_nc_u32_e32 v15, 28, v14
	v_sub_nc_u32_e32 v14, 29, v14
	v_lshlrev_b64 v[15:16], v15, v[6:7]
	s_delay_alu instid0(VALU_DEP_1)
	v_and_b32_e32 v6, 7, v15
; %bb.1658:                             ;   in Loop: Header=BB264_998 Depth=1
	s_or_b32 exec_lo, exec_lo, s16
	v_lshlrev_b32_e32 v15, 16, v94
	s_delay_alu instid0(VALU_DEP_2) | instskip(SKIP_1) | instid1(VALU_DEP_3)
	v_lshlrev_b32_e32 v6, 20, v6
	v_lshl_add_u32 v14, v14, 23, 0x3c000000
	v_and_b32_e32 v15, 0x80000000, v15
	s_delay_alu instid0(VALU_DEP_1)
	v_or3_b32 v15, v6, v15, v14
	v_mov_b32_e32 v14, v7
.LBB264_1659:                           ;   in Loop: Header=BB264_998 Depth=1
	s_or_b32 exec_lo, exec_lo, s10
.LBB264_1660:                           ;   in Loop: Header=BB264_998 Depth=1
	s_delay_alu instid0(SALU_CYCLE_1)
	s_or_b32 exec_lo, exec_lo, s15
.LBB264_1661:                           ;   in Loop: Header=BB264_998 Depth=1
	s_delay_alu instid0(SALU_CYCLE_1) | instskip(SKIP_4) | instid1(VALU_DEP_2)
	s_or_b32 exec_lo, exec_lo, s13
	v_mov_b32_e32 v18, 0
	v_lshrrev_b32_e32 v95, 16, v94
	v_mov_b32_e32 v19, 0
	s_mov_b32 s10, exec_lo
	v_and_b32_e32 v6, 0xff, v95
	s_delay_alu instid0(VALU_DEP_2) | instskip(NEXT) | instid1(VALU_DEP_2)
	v_dual_mov_b32 v16, v18 :: v_dual_mov_b32 v17, v19
	v_cmpx_ne_u16_e32 0, v6
	s_cbranch_execz .LBB264_1669
; %bb.1662:                             ;   in Loop: Header=BB264_998 Depth=1
	v_bfrev_b32_e32 v16, 1
	v_mov_b32_e32 v17, 0
	s_mov_b32 s13, exec_lo
	v_cmpx_ne_u16_e32 0x80, v6
	s_cbranch_execz .LBB264_1668
; %bb.1663:                             ;   in Loop: Header=BB264_998 Depth=1
	v_mov_b32_e32 v16, 0x7f800001
	v_bfe_u32 v105, v94, 16, 7
	v_mov_b32_e32 v17, 0
	s_mov_b32 s15, exec_lo
	s_delay_alu instid0(VALU_DEP_2)
	v_cmpx_ne_u32_e32 0x7f, v105
	s_cbranch_execz .LBB264_1667
; %bb.1664:                             ;   in Loop: Header=BB264_998 Depth=1
	v_and_b32_e32 v6, 7, v95
	v_lshrrev_b32_e32 v16, 3, v105
	s_mov_b32 s16, exec_lo
	v_cmpx_gt_u32_e32 8, v105
; %bb.1665:                             ;   in Loop: Header=BB264_998 Depth=1
	s_delay_alu instid0(VALU_DEP_3) | instskip(NEXT) | instid1(VALU_DEP_1)
	v_clz_i32_u32_e32 v16, v6
	v_min_u32_e32 v16, 32, v16
	s_delay_alu instid0(VALU_DEP_1) | instskip(SKIP_1) | instid1(VALU_DEP_2)
	v_subrev_nc_u32_e32 v17, 28, v16
	v_sub_nc_u32_e32 v16, 29, v16
	v_lshlrev_b64 v[105:106], v17, v[6:7]
	s_delay_alu instid0(VALU_DEP_1)
	v_and_b32_e32 v6, 7, v105
; %bb.1666:                             ;   in Loop: Header=BB264_998 Depth=1
	s_or_b32 exec_lo, exec_lo, s16
	v_lshlrev_b32_e32 v17, 24, v95
	s_delay_alu instid0(VALU_DEP_2) | instskip(SKIP_1) | instid1(VALU_DEP_3)
	v_lshlrev_b32_e32 v6, 20, v6
	v_lshl_add_u32 v16, v16, 23, 0x3c000000
	v_and_b32_e32 v17, 0x80000000, v17
	s_delay_alu instid0(VALU_DEP_1) | instskip(NEXT) | instid1(VALU_DEP_1)
	v_or3_b32 v6, v6, v17, v16
	v_dual_mov_b32 v17, v7 :: v_dual_mov_b32 v16, v6
.LBB264_1667:                           ;   in Loop: Header=BB264_998 Depth=1
	s_or_b32 exec_lo, exec_lo, s15
.LBB264_1668:                           ;   in Loop: Header=BB264_998 Depth=1
	s_delay_alu instid0(SALU_CYCLE_1)
	s_or_b32 exec_lo, exec_lo, s13
.LBB264_1669:                           ;   in Loop: Header=BB264_998 Depth=1
	s_delay_alu instid0(SALU_CYCLE_1) | instskip(NEXT) | instid1(SALU_CYCLE_1)
	s_or_b32 exec_lo, exec_lo, s10
	s_mov_b32 s13, exec_lo
	v_cmpx_lt_u32_e32 0xffffff, v94
	s_cbranch_execz .LBB264_1677
; %bb.1670:                             ;   in Loop: Header=BB264_998 Depth=1
	v_lshrrev_b32_e32 v95, 24, v94
	v_dual_mov_b32 v19, s9 :: v_dual_mov_b32 v18, s8
	s_mov_b32 s15, exec_lo
	s_delay_alu instid0(VALU_DEP_2)
	v_cmpx_ne_u32_e32 0x80, v95
	s_cbranch_execz .LBB264_1676
; %bb.1671:                             ;   in Loop: Header=BB264_998 Depth=1
	s_mov_b32 s10, s8
	v_bfe_u32 v94, v94, 24, 7
	v_dual_mov_b32 v19, s11 :: v_dual_mov_b32 v18, s10
	s_mov_b32 s10, exec_lo
	s_delay_alu instid0(VALU_DEP_2)
	v_cmpx_ne_u32_e32 0x7f, v94
	s_cbranch_execz .LBB264_1675
; %bb.1672:                             ;   in Loop: Header=BB264_998 Depth=1
	v_and_b32_e32 v6, 7, v95
	v_lshrrev_b32_e32 v18, 3, v94
	s_mov_b32 s16, exec_lo
	v_cmpx_gt_u32_e32 8, v94
; %bb.1673:                             ;   in Loop: Header=BB264_998 Depth=1
	s_delay_alu instid0(VALU_DEP_3) | instskip(NEXT) | instid1(VALU_DEP_1)
	v_clz_i32_u32_e32 v18, v6
	v_min_u32_e32 v18, 32, v18
	s_delay_alu instid0(VALU_DEP_1) | instskip(SKIP_1) | instid1(VALU_DEP_2)
	v_subrev_nc_u32_e32 v19, 28, v18
	v_sub_nc_u32_e32 v18, 29, v18
	v_lshlrev_b64 v[105:106], v19, v[6:7]
	s_delay_alu instid0(VALU_DEP_1)
	v_and_b32_e32 v6, 7, v105
; %bb.1674:                             ;   in Loop: Header=BB264_998 Depth=1
	s_or_b32 exec_lo, exec_lo, s16
	v_lshlrev_b32_e32 v19, 24, v95
	s_delay_alu instid0(VALU_DEP_2) | instskip(SKIP_1) | instid1(VALU_DEP_3)
	v_lshlrev_b32_e32 v6, 20, v6
	v_lshl_add_u32 v18, v18, 23, 0x3c000000
	v_and_b32_e32 v19, 0x80000000, v19
	s_delay_alu instid0(VALU_DEP_1)
	v_or3_b32 v19, v6, v19, v18
	v_mov_b32_e32 v18, v7
.LBB264_1675:                           ;   in Loop: Header=BB264_998 Depth=1
	s_or_b32 exec_lo, exec_lo, s10
.LBB264_1676:                           ;   in Loop: Header=BB264_998 Depth=1
	s_delay_alu instid0(SALU_CYCLE_1)
	s_or_b32 exec_lo, exec_lo, s15
.LBB264_1677:                           ;   in Loop: Header=BB264_998 Depth=1
	s_delay_alu instid0(SALU_CYCLE_1) | instskip(SKIP_4) | instid1(VALU_DEP_4)
	s_or_b32 exec_lo, exec_lo, s13
	v_or_b32_e32 v5, v15, v5
	v_or_b32_e32 v4, v14, v4
	v_or_b32_e32 v6, v19, v17
	v_or_b32_e32 v14, v18, v16
	v_mul_f32_e32 v106, v85, v5
	s_delay_alu instid0(VALU_DEP_4) | instskip(NEXT) | instid1(VALU_DEP_4)
	v_mul_f32_e32 v105, v85, v4
	v_mul_f32_e32 v94, v85, v6
	s_delay_alu instid0(VALU_DEP_4)
	v_mul_f32_e32 v95, v85, v14
	s_and_saveexec_b32 s10, vcc_lo
; %bb.1678:                             ;   in Loop: Header=BB264_998 Depth=1
	v_cmp_lt_i32_e64 s0, v98, v22
	s_delay_alu instid0(VALU_DEP_1) | instskip(SKIP_1) | instid1(VALU_DEP_1)
	v_cndmask_b32_e64 v105, 0, v105, s0
	v_cmp_lt_i32_e64 s0, v101, v22
	v_cndmask_b32_e64 v106, 0, v106, s0
	v_cmp_lt_i32_e64 s0, v100, v22
	s_delay_alu instid0(VALU_DEP_1) | instskip(SKIP_1) | instid1(VALU_DEP_1)
	v_cndmask_b32_e64 v95, 0, v95, s0
	v_cmp_lt_i32_e64 s0, v99, v22
	v_cndmask_b32_e64 v94, 0, v94, s0
; %bb.1679:                             ;   in Loop: Header=BB264_998 Depth=1
	s_or_b32 exec_lo, exec_lo, s10
	flat_load_b32 v107, v[12:13] offset:2560
	v_mov_b32_e32 v14, 0
	v_mov_b32_e32 v15, 0
	s_mov_b32 s10, exec_lo
	s_waitcnt vmcnt(0) lgkmcnt(0)
	v_and_b32_e32 v6, 0xff, v107
	s_delay_alu instid0(VALU_DEP_2) | instskip(NEXT) | instid1(VALU_DEP_2)
	v_dual_mov_b32 v4, v14 :: v_dual_mov_b32 v5, v15
	v_cmpx_ne_u16_e32 0, v6
	s_cbranch_execz .LBB264_1687
; %bb.1680:                             ;   in Loop: Header=BB264_998 Depth=1
	v_bfrev_b32_e32 v4, 1
	v_mov_b32_e32 v5, 0
	s_mov_b32 s13, exec_lo
	v_cmpx_ne_u16_e32 0x80, v6
	s_cbranch_execz .LBB264_1686
; %bb.1681:                             ;   in Loop: Header=BB264_998 Depth=1
	v_mov_b32_e32 v4, 0x7f800001
	v_dual_mov_b32 v5, 0 :: v_dual_and_b32 v16, 0x7f, v107
	s_mov_b32 s15, exec_lo
	s_delay_alu instid0(VALU_DEP_1)
	v_cmpx_ne_u32_e32 0x7f, v16
	s_cbranch_execz .LBB264_1685
; %bb.1682:                             ;   in Loop: Header=BB264_998 Depth=1
	v_and_b32_e32 v6, 7, v107
	v_lshrrev_b32_e32 v4, 3, v16
	s_mov_b32 s16, exec_lo
	v_cmpx_gt_u32_e32 8, v16
; %bb.1683:                             ;   in Loop: Header=BB264_998 Depth=1
	s_delay_alu instid0(VALU_DEP_3) | instskip(NEXT) | instid1(VALU_DEP_1)
	v_clz_i32_u32_e32 v4, v6
	v_min_u32_e32 v4, 32, v4
	s_delay_alu instid0(VALU_DEP_1) | instskip(SKIP_1) | instid1(VALU_DEP_2)
	v_subrev_nc_u32_e32 v5, 28, v4
	v_sub_nc_u32_e32 v4, 29, v4
	v_lshlrev_b64 v[5:6], v5, v[6:7]
	s_delay_alu instid0(VALU_DEP_1)
	v_and_b32_e32 v6, 7, v5
; %bb.1684:                             ;   in Loop: Header=BB264_998 Depth=1
	s_or_b32 exec_lo, exec_lo, s16
	v_lshlrev_b32_e32 v5, 24, v107
	s_delay_alu instid0(VALU_DEP_2) | instskip(SKIP_1) | instid1(VALU_DEP_3)
	v_lshlrev_b32_e32 v6, 20, v6
	v_lshl_add_u32 v4, v4, 23, 0x3c000000
	v_and_b32_e32 v5, 0x80000000, v5
	s_delay_alu instid0(VALU_DEP_1) | instskip(NEXT) | instid1(VALU_DEP_1)
	v_or3_b32 v6, v6, v5, v4
	v_dual_mov_b32 v4, v6 :: v_dual_mov_b32 v5, v7
.LBB264_1685:                           ;   in Loop: Header=BB264_998 Depth=1
	s_or_b32 exec_lo, exec_lo, s15
.LBB264_1686:                           ;   in Loop: Header=BB264_998 Depth=1
	s_delay_alu instid0(SALU_CYCLE_1)
	s_or_b32 exec_lo, exec_lo, s13
.LBB264_1687:                           ;   in Loop: Header=BB264_998 Depth=1
	s_delay_alu instid0(SALU_CYCLE_1) | instskip(SKIP_2) | instid1(VALU_DEP_1)
	s_or_b32 exec_lo, exec_lo, s10
	v_lshrrev_b16 v6, 8, v107
	s_mov_b32 s13, exec_lo
	v_cmpx_ne_u16_e32 0, v6
	s_cbranch_execz .LBB264_1695
; %bb.1688:                             ;   in Loop: Header=BB264_998 Depth=1
	v_dual_mov_b32 v15, s9 :: v_dual_mov_b32 v14, s8
	s_mov_b32 s15, exec_lo
	v_cmpx_ne_u16_e32 0x80, v6
	s_cbranch_execz .LBB264_1694
; %bb.1689:                             ;   in Loop: Header=BB264_998 Depth=1
	s_mov_b32 s10, s8
	v_dual_mov_b32 v15, s11 :: v_dual_and_b32 v6, 0xffff, v6
	v_mov_b32_e32 v14, s10
	s_mov_b32 s10, exec_lo
	s_delay_alu instid0(VALU_DEP_2) | instskip(NEXT) | instid1(VALU_DEP_1)
	v_and_b32_e32 v16, 0x7f, v6
	v_cmpx_ne_u32_e32 0x7f, v16
	s_cbranch_execz .LBB264_1693
; %bb.1690:                             ;   in Loop: Header=BB264_998 Depth=1
	v_and_b32_e32 v6, 7, v6
	v_lshrrev_b32_e32 v14, 3, v16
	s_mov_b32 s16, exec_lo
	v_cmpx_gt_u32_e32 8, v16
; %bb.1691:                             ;   in Loop: Header=BB264_998 Depth=1
	s_delay_alu instid0(VALU_DEP_3) | instskip(NEXT) | instid1(VALU_DEP_1)
	v_clz_i32_u32_e32 v14, v6
	v_min_u32_e32 v14, 32, v14
	s_delay_alu instid0(VALU_DEP_1) | instskip(SKIP_1) | instid1(VALU_DEP_2)
	v_subrev_nc_u32_e32 v15, 28, v14
	v_sub_nc_u32_e32 v14, 29, v14
	v_lshlrev_b64 v[15:16], v15, v[6:7]
	s_delay_alu instid0(VALU_DEP_1)
	v_and_b32_e32 v6, 7, v15
; %bb.1692:                             ;   in Loop: Header=BB264_998 Depth=1
	s_or_b32 exec_lo, exec_lo, s16
	v_lshlrev_b32_e32 v15, 16, v107
	s_delay_alu instid0(VALU_DEP_2) | instskip(SKIP_1) | instid1(VALU_DEP_3)
	v_lshlrev_b32_e32 v6, 20, v6
	v_lshl_add_u32 v14, v14, 23, 0x3c000000
	v_and_b32_e32 v15, 0x80000000, v15
	s_delay_alu instid0(VALU_DEP_1)
	v_or3_b32 v15, v6, v15, v14
	v_mov_b32_e32 v14, v7
.LBB264_1693:                           ;   in Loop: Header=BB264_998 Depth=1
	s_or_b32 exec_lo, exec_lo, s10
.LBB264_1694:                           ;   in Loop: Header=BB264_998 Depth=1
	s_delay_alu instid0(SALU_CYCLE_1)
	s_or_b32 exec_lo, exec_lo, s15
.LBB264_1695:                           ;   in Loop: Header=BB264_998 Depth=1
	s_delay_alu instid0(SALU_CYCLE_1) | instskip(SKIP_4) | instid1(VALU_DEP_2)
	s_or_b32 exec_lo, exec_lo, s13
	v_mov_b32_e32 v18, 0
	v_lshrrev_b32_e32 v108, 16, v107
	v_mov_b32_e32 v19, 0
	s_mov_b32 s10, exec_lo
	v_and_b32_e32 v6, 0xff, v108
	s_delay_alu instid0(VALU_DEP_2) | instskip(NEXT) | instid1(VALU_DEP_2)
	v_dual_mov_b32 v16, v18 :: v_dual_mov_b32 v17, v19
	v_cmpx_ne_u16_e32 0, v6
	s_cbranch_execz .LBB264_1703
; %bb.1696:                             ;   in Loop: Header=BB264_998 Depth=1
	v_bfrev_b32_e32 v16, 1
	v_mov_b32_e32 v17, 0
	s_mov_b32 s13, exec_lo
	v_cmpx_ne_u16_e32 0x80, v6
	s_cbranch_execz .LBB264_1702
; %bb.1697:                             ;   in Loop: Header=BB264_998 Depth=1
	v_mov_b32_e32 v16, 0x7f800001
	v_bfe_u32 v109, v107, 16, 7
	v_mov_b32_e32 v17, 0
	s_mov_b32 s15, exec_lo
	s_delay_alu instid0(VALU_DEP_2)
	v_cmpx_ne_u32_e32 0x7f, v109
	s_cbranch_execz .LBB264_1701
; %bb.1698:                             ;   in Loop: Header=BB264_998 Depth=1
	v_and_b32_e32 v6, 7, v108
	v_lshrrev_b32_e32 v16, 3, v109
	s_mov_b32 s16, exec_lo
	v_cmpx_gt_u32_e32 8, v109
; %bb.1699:                             ;   in Loop: Header=BB264_998 Depth=1
	s_delay_alu instid0(VALU_DEP_3) | instskip(NEXT) | instid1(VALU_DEP_1)
	v_clz_i32_u32_e32 v16, v6
	v_min_u32_e32 v16, 32, v16
	s_delay_alu instid0(VALU_DEP_1) | instskip(SKIP_1) | instid1(VALU_DEP_2)
	v_subrev_nc_u32_e32 v17, 28, v16
	v_sub_nc_u32_e32 v16, 29, v16
	v_lshlrev_b64 v[109:110], v17, v[6:7]
	s_delay_alu instid0(VALU_DEP_1)
	v_and_b32_e32 v6, 7, v109
; %bb.1700:                             ;   in Loop: Header=BB264_998 Depth=1
	s_or_b32 exec_lo, exec_lo, s16
	v_lshlrev_b32_e32 v17, 24, v108
	s_delay_alu instid0(VALU_DEP_2) | instskip(SKIP_1) | instid1(VALU_DEP_3)
	v_lshlrev_b32_e32 v6, 20, v6
	v_lshl_add_u32 v16, v16, 23, 0x3c000000
	v_and_b32_e32 v17, 0x80000000, v17
	s_delay_alu instid0(VALU_DEP_1) | instskip(NEXT) | instid1(VALU_DEP_1)
	v_or3_b32 v6, v6, v17, v16
	v_dual_mov_b32 v17, v7 :: v_dual_mov_b32 v16, v6
.LBB264_1701:                           ;   in Loop: Header=BB264_998 Depth=1
	s_or_b32 exec_lo, exec_lo, s15
.LBB264_1702:                           ;   in Loop: Header=BB264_998 Depth=1
	s_delay_alu instid0(SALU_CYCLE_1)
	s_or_b32 exec_lo, exec_lo, s13
.LBB264_1703:                           ;   in Loop: Header=BB264_998 Depth=1
	s_delay_alu instid0(SALU_CYCLE_1) | instskip(NEXT) | instid1(SALU_CYCLE_1)
	s_or_b32 exec_lo, exec_lo, s10
	s_mov_b32 s13, exec_lo
	v_cmpx_lt_u32_e32 0xffffff, v107
	s_cbranch_execz .LBB264_1711
; %bb.1704:                             ;   in Loop: Header=BB264_998 Depth=1
	v_lshrrev_b32_e32 v108, 24, v107
	v_dual_mov_b32 v19, s9 :: v_dual_mov_b32 v18, s8
	s_mov_b32 s15, exec_lo
	s_delay_alu instid0(VALU_DEP_2)
	v_cmpx_ne_u32_e32 0x80, v108
	s_cbranch_execz .LBB264_1710
; %bb.1705:                             ;   in Loop: Header=BB264_998 Depth=1
	s_mov_b32 s10, s8
	v_bfe_u32 v107, v107, 24, 7
	v_dual_mov_b32 v19, s11 :: v_dual_mov_b32 v18, s10
	s_mov_b32 s10, exec_lo
	s_delay_alu instid0(VALU_DEP_2)
	v_cmpx_ne_u32_e32 0x7f, v107
	s_cbranch_execz .LBB264_1709
; %bb.1706:                             ;   in Loop: Header=BB264_998 Depth=1
	v_and_b32_e32 v6, 7, v108
	v_lshrrev_b32_e32 v18, 3, v107
	s_mov_b32 s16, exec_lo
	v_cmpx_gt_u32_e32 8, v107
; %bb.1707:                             ;   in Loop: Header=BB264_998 Depth=1
	s_delay_alu instid0(VALU_DEP_3) | instskip(NEXT) | instid1(VALU_DEP_1)
	v_clz_i32_u32_e32 v18, v6
	v_min_u32_e32 v18, 32, v18
	s_delay_alu instid0(VALU_DEP_1) | instskip(SKIP_1) | instid1(VALU_DEP_2)
	v_subrev_nc_u32_e32 v19, 28, v18
	v_sub_nc_u32_e32 v18, 29, v18
	v_lshlrev_b64 v[109:110], v19, v[6:7]
	s_delay_alu instid0(VALU_DEP_1)
	v_and_b32_e32 v6, 7, v109
; %bb.1708:                             ;   in Loop: Header=BB264_998 Depth=1
	s_or_b32 exec_lo, exec_lo, s16
	v_lshlrev_b32_e32 v19, 24, v108
	s_delay_alu instid0(VALU_DEP_2) | instskip(SKIP_1) | instid1(VALU_DEP_3)
	v_lshlrev_b32_e32 v6, 20, v6
	v_lshl_add_u32 v18, v18, 23, 0x3c000000
	v_and_b32_e32 v19, 0x80000000, v19
	s_delay_alu instid0(VALU_DEP_1)
	v_or3_b32 v19, v6, v19, v18
	v_mov_b32_e32 v18, v7
.LBB264_1709:                           ;   in Loop: Header=BB264_998 Depth=1
	s_or_b32 exec_lo, exec_lo, s10
.LBB264_1710:                           ;   in Loop: Header=BB264_998 Depth=1
	s_delay_alu instid0(SALU_CYCLE_1)
	s_or_b32 exec_lo, exec_lo, s15
.LBB264_1711:                           ;   in Loop: Header=BB264_998 Depth=1
	s_delay_alu instid0(SALU_CYCLE_1) | instskip(SKIP_4) | instid1(VALU_DEP_4)
	s_or_b32 exec_lo, exec_lo, s13
	v_or_b32_e32 v5, v15, v5
	v_or_b32_e32 v4, v14, v4
	;; [unrolled: 1-line block ×4, first 2 shown]
	v_mul_f32_e32 v110, v85, v5
	s_delay_alu instid0(VALU_DEP_4) | instskip(NEXT) | instid1(VALU_DEP_4)
	v_mul_f32_e32 v109, v85, v4
	v_mul_f32_e32 v107, v85, v6
	s_delay_alu instid0(VALU_DEP_4)
	v_mul_f32_e32 v108, v85, v14
	s_and_saveexec_b32 s10, vcc_lo
; %bb.1712:                             ;   in Loop: Header=BB264_998 Depth=1
	v_cmp_lt_i32_e64 s0, v98, v22
	s_delay_alu instid0(VALU_DEP_1) | instskip(SKIP_1) | instid1(VALU_DEP_1)
	v_cndmask_b32_e64 v109, 0, v109, s0
	v_cmp_lt_i32_e64 s0, v101, v22
	v_cndmask_b32_e64 v110, 0, v110, s0
	v_cmp_lt_i32_e64 s0, v100, v22
	s_delay_alu instid0(VALU_DEP_1) | instskip(SKIP_1) | instid1(VALU_DEP_1)
	v_cndmask_b32_e64 v108, 0, v108, s0
	v_cmp_lt_i32_e64 s0, v99, v22
	v_cndmask_b32_e64 v107, 0, v107, s0
; %bb.1713:                             ;   in Loop: Header=BB264_998 Depth=1
	s_or_b32 exec_lo, exec_lo, s10
	flat_load_b32 v111, v[12:13] offset:2688
	v_mov_b32_e32 v14, 0
	v_mov_b32_e32 v15, 0
	s_mov_b32 s10, exec_lo
	s_waitcnt vmcnt(0) lgkmcnt(0)
	v_and_b32_e32 v6, 0xff, v111
	s_delay_alu instid0(VALU_DEP_2) | instskip(NEXT) | instid1(VALU_DEP_2)
	v_dual_mov_b32 v4, v14 :: v_dual_mov_b32 v5, v15
	v_cmpx_ne_u16_e32 0, v6
	s_cbranch_execz .LBB264_1721
; %bb.1714:                             ;   in Loop: Header=BB264_998 Depth=1
	v_bfrev_b32_e32 v4, 1
	v_mov_b32_e32 v5, 0
	s_mov_b32 s13, exec_lo
	v_cmpx_ne_u16_e32 0x80, v6
	s_cbranch_execz .LBB264_1720
; %bb.1715:                             ;   in Loop: Header=BB264_998 Depth=1
	v_mov_b32_e32 v4, 0x7f800001
	v_dual_mov_b32 v5, 0 :: v_dual_and_b32 v16, 0x7f, v111
	s_mov_b32 s15, exec_lo
	s_delay_alu instid0(VALU_DEP_1)
	v_cmpx_ne_u32_e32 0x7f, v16
	s_cbranch_execz .LBB264_1719
; %bb.1716:                             ;   in Loop: Header=BB264_998 Depth=1
	v_and_b32_e32 v6, 7, v111
	v_lshrrev_b32_e32 v4, 3, v16
	s_mov_b32 s16, exec_lo
	v_cmpx_gt_u32_e32 8, v16
; %bb.1717:                             ;   in Loop: Header=BB264_998 Depth=1
	s_delay_alu instid0(VALU_DEP_3) | instskip(NEXT) | instid1(VALU_DEP_1)
	v_clz_i32_u32_e32 v4, v6
	v_min_u32_e32 v4, 32, v4
	s_delay_alu instid0(VALU_DEP_1) | instskip(SKIP_1) | instid1(VALU_DEP_2)
	v_subrev_nc_u32_e32 v5, 28, v4
	v_sub_nc_u32_e32 v4, 29, v4
	v_lshlrev_b64 v[5:6], v5, v[6:7]
	s_delay_alu instid0(VALU_DEP_1)
	v_and_b32_e32 v6, 7, v5
; %bb.1718:                             ;   in Loop: Header=BB264_998 Depth=1
	s_or_b32 exec_lo, exec_lo, s16
	v_lshlrev_b32_e32 v5, 24, v111
	s_delay_alu instid0(VALU_DEP_2) | instskip(SKIP_1) | instid1(VALU_DEP_3)
	v_lshlrev_b32_e32 v6, 20, v6
	v_lshl_add_u32 v4, v4, 23, 0x3c000000
	v_and_b32_e32 v5, 0x80000000, v5
	s_delay_alu instid0(VALU_DEP_1) | instskip(NEXT) | instid1(VALU_DEP_1)
	v_or3_b32 v6, v6, v5, v4
	v_dual_mov_b32 v4, v6 :: v_dual_mov_b32 v5, v7
.LBB264_1719:                           ;   in Loop: Header=BB264_998 Depth=1
	s_or_b32 exec_lo, exec_lo, s15
.LBB264_1720:                           ;   in Loop: Header=BB264_998 Depth=1
	s_delay_alu instid0(SALU_CYCLE_1)
	s_or_b32 exec_lo, exec_lo, s13
.LBB264_1721:                           ;   in Loop: Header=BB264_998 Depth=1
	s_delay_alu instid0(SALU_CYCLE_1) | instskip(SKIP_2) | instid1(VALU_DEP_1)
	s_or_b32 exec_lo, exec_lo, s10
	v_lshrrev_b16 v6, 8, v111
	s_mov_b32 s13, exec_lo
	v_cmpx_ne_u16_e32 0, v6
	s_cbranch_execz .LBB264_1729
; %bb.1722:                             ;   in Loop: Header=BB264_998 Depth=1
	v_dual_mov_b32 v15, s9 :: v_dual_mov_b32 v14, s8
	s_mov_b32 s15, exec_lo
	v_cmpx_ne_u16_e32 0x80, v6
	s_cbranch_execz .LBB264_1728
; %bb.1723:                             ;   in Loop: Header=BB264_998 Depth=1
	s_mov_b32 s10, s8
	v_dual_mov_b32 v15, s11 :: v_dual_and_b32 v6, 0xffff, v6
	v_mov_b32_e32 v14, s10
	s_mov_b32 s10, exec_lo
	s_delay_alu instid0(VALU_DEP_2) | instskip(NEXT) | instid1(VALU_DEP_1)
	v_and_b32_e32 v16, 0x7f, v6
	v_cmpx_ne_u32_e32 0x7f, v16
	s_cbranch_execz .LBB264_1727
; %bb.1724:                             ;   in Loop: Header=BB264_998 Depth=1
	v_and_b32_e32 v6, 7, v6
	v_lshrrev_b32_e32 v14, 3, v16
	s_mov_b32 s16, exec_lo
	v_cmpx_gt_u32_e32 8, v16
; %bb.1725:                             ;   in Loop: Header=BB264_998 Depth=1
	s_delay_alu instid0(VALU_DEP_3) | instskip(NEXT) | instid1(VALU_DEP_1)
	v_clz_i32_u32_e32 v14, v6
	v_min_u32_e32 v14, 32, v14
	s_delay_alu instid0(VALU_DEP_1) | instskip(SKIP_1) | instid1(VALU_DEP_2)
	v_subrev_nc_u32_e32 v15, 28, v14
	v_sub_nc_u32_e32 v14, 29, v14
	v_lshlrev_b64 v[15:16], v15, v[6:7]
	s_delay_alu instid0(VALU_DEP_1)
	v_and_b32_e32 v6, 7, v15
; %bb.1726:                             ;   in Loop: Header=BB264_998 Depth=1
	s_or_b32 exec_lo, exec_lo, s16
	v_lshlrev_b32_e32 v15, 16, v111
	s_delay_alu instid0(VALU_DEP_2) | instskip(SKIP_1) | instid1(VALU_DEP_3)
	v_lshlrev_b32_e32 v6, 20, v6
	v_lshl_add_u32 v14, v14, 23, 0x3c000000
	v_and_b32_e32 v15, 0x80000000, v15
	s_delay_alu instid0(VALU_DEP_1)
	v_or3_b32 v15, v6, v15, v14
	v_mov_b32_e32 v14, v7
.LBB264_1727:                           ;   in Loop: Header=BB264_998 Depth=1
	s_or_b32 exec_lo, exec_lo, s10
.LBB264_1728:                           ;   in Loop: Header=BB264_998 Depth=1
	s_delay_alu instid0(SALU_CYCLE_1)
	s_or_b32 exec_lo, exec_lo, s15
.LBB264_1729:                           ;   in Loop: Header=BB264_998 Depth=1
	s_delay_alu instid0(SALU_CYCLE_1) | instskip(SKIP_4) | instid1(VALU_DEP_2)
	s_or_b32 exec_lo, exec_lo, s13
	v_mov_b32_e32 v18, 0
	v_lshrrev_b32_e32 v120, 16, v111
	v_mov_b32_e32 v19, 0
	s_mov_b32 s10, exec_lo
	v_and_b32_e32 v6, 0xff, v120
	s_delay_alu instid0(VALU_DEP_2) | instskip(NEXT) | instid1(VALU_DEP_2)
	v_dual_mov_b32 v16, v18 :: v_dual_mov_b32 v17, v19
	v_cmpx_ne_u16_e32 0, v6
	s_cbranch_execz .LBB264_1737
; %bb.1730:                             ;   in Loop: Header=BB264_998 Depth=1
	v_bfrev_b32_e32 v16, 1
	v_mov_b32_e32 v17, 0
	s_mov_b32 s13, exec_lo
	v_cmpx_ne_u16_e32 0x80, v6
	s_cbranch_execz .LBB264_1736
; %bb.1731:                             ;   in Loop: Header=BB264_998 Depth=1
	v_mov_b32_e32 v16, 0x7f800001
	v_bfe_u32 v121, v111, 16, 7
	v_mov_b32_e32 v17, 0
	s_mov_b32 s15, exec_lo
	s_delay_alu instid0(VALU_DEP_2)
	v_cmpx_ne_u32_e32 0x7f, v121
	s_cbranch_execz .LBB264_1735
; %bb.1732:                             ;   in Loop: Header=BB264_998 Depth=1
	v_and_b32_e32 v6, 7, v120
	v_lshrrev_b32_e32 v16, 3, v121
	s_mov_b32 s16, exec_lo
	v_cmpx_gt_u32_e32 8, v121
; %bb.1733:                             ;   in Loop: Header=BB264_998 Depth=1
	s_delay_alu instid0(VALU_DEP_3) | instskip(NEXT) | instid1(VALU_DEP_1)
	v_clz_i32_u32_e32 v16, v6
	v_min_u32_e32 v16, 32, v16
	s_delay_alu instid0(VALU_DEP_1) | instskip(SKIP_1) | instid1(VALU_DEP_2)
	v_subrev_nc_u32_e32 v17, 28, v16
	v_sub_nc_u32_e32 v16, 29, v16
	v_lshlrev_b64 v[121:122], v17, v[6:7]
	s_delay_alu instid0(VALU_DEP_1)
	v_and_b32_e32 v6, 7, v121
; %bb.1734:                             ;   in Loop: Header=BB264_998 Depth=1
	s_or_b32 exec_lo, exec_lo, s16
	v_lshlrev_b32_e32 v17, 24, v120
	s_delay_alu instid0(VALU_DEP_2) | instskip(SKIP_1) | instid1(VALU_DEP_3)
	v_lshlrev_b32_e32 v6, 20, v6
	v_lshl_add_u32 v16, v16, 23, 0x3c000000
	v_and_b32_e32 v17, 0x80000000, v17
	s_delay_alu instid0(VALU_DEP_1) | instskip(NEXT) | instid1(VALU_DEP_1)
	v_or3_b32 v6, v6, v17, v16
	v_dual_mov_b32 v17, v7 :: v_dual_mov_b32 v16, v6
.LBB264_1735:                           ;   in Loop: Header=BB264_998 Depth=1
	s_or_b32 exec_lo, exec_lo, s15
.LBB264_1736:                           ;   in Loop: Header=BB264_998 Depth=1
	s_delay_alu instid0(SALU_CYCLE_1)
	s_or_b32 exec_lo, exec_lo, s13
.LBB264_1737:                           ;   in Loop: Header=BB264_998 Depth=1
	s_delay_alu instid0(SALU_CYCLE_1) | instskip(NEXT) | instid1(SALU_CYCLE_1)
	s_or_b32 exec_lo, exec_lo, s10
	s_mov_b32 s13, exec_lo
	v_cmpx_lt_u32_e32 0xffffff, v111
	s_cbranch_execz .LBB264_1745
; %bb.1738:                             ;   in Loop: Header=BB264_998 Depth=1
	v_lshrrev_b32_e32 v120, 24, v111
	v_dual_mov_b32 v19, s9 :: v_dual_mov_b32 v18, s8
	s_mov_b32 s15, exec_lo
	s_delay_alu instid0(VALU_DEP_2)
	v_cmpx_ne_u32_e32 0x80, v120
	s_cbranch_execz .LBB264_1744
; %bb.1739:                             ;   in Loop: Header=BB264_998 Depth=1
	s_mov_b32 s10, s8
	v_bfe_u32 v111, v111, 24, 7
	v_dual_mov_b32 v19, s11 :: v_dual_mov_b32 v18, s10
	s_mov_b32 s10, exec_lo
	s_delay_alu instid0(VALU_DEP_2)
	v_cmpx_ne_u32_e32 0x7f, v111
	s_cbranch_execz .LBB264_1743
; %bb.1740:                             ;   in Loop: Header=BB264_998 Depth=1
	v_and_b32_e32 v6, 7, v120
	v_lshrrev_b32_e32 v18, 3, v111
	s_mov_b32 s16, exec_lo
	v_cmpx_gt_u32_e32 8, v111
; %bb.1741:                             ;   in Loop: Header=BB264_998 Depth=1
	s_delay_alu instid0(VALU_DEP_3) | instskip(NEXT) | instid1(VALU_DEP_1)
	v_clz_i32_u32_e32 v18, v6
	v_min_u32_e32 v18, 32, v18
	s_delay_alu instid0(VALU_DEP_1) | instskip(SKIP_1) | instid1(VALU_DEP_2)
	v_subrev_nc_u32_e32 v19, 28, v18
	v_sub_nc_u32_e32 v18, 29, v18
	v_lshlrev_b64 v[121:122], v19, v[6:7]
	s_delay_alu instid0(VALU_DEP_1)
	v_and_b32_e32 v6, 7, v121
; %bb.1742:                             ;   in Loop: Header=BB264_998 Depth=1
	s_or_b32 exec_lo, exec_lo, s16
	v_lshlrev_b32_e32 v19, 24, v120
	s_delay_alu instid0(VALU_DEP_2) | instskip(SKIP_1) | instid1(VALU_DEP_3)
	v_lshlrev_b32_e32 v6, 20, v6
	v_lshl_add_u32 v18, v18, 23, 0x3c000000
	v_and_b32_e32 v19, 0x80000000, v19
	s_delay_alu instid0(VALU_DEP_1)
	v_or3_b32 v19, v6, v19, v18
	v_mov_b32_e32 v18, v7
.LBB264_1743:                           ;   in Loop: Header=BB264_998 Depth=1
	s_or_b32 exec_lo, exec_lo, s10
.LBB264_1744:                           ;   in Loop: Header=BB264_998 Depth=1
	s_delay_alu instid0(SALU_CYCLE_1)
	s_or_b32 exec_lo, exec_lo, s15
.LBB264_1745:                           ;   in Loop: Header=BB264_998 Depth=1
	s_delay_alu instid0(SALU_CYCLE_1) | instskip(SKIP_4) | instid1(VALU_DEP_4)
	s_or_b32 exec_lo, exec_lo, s13
	v_or_b32_e32 v5, v15, v5
	v_or_b32_e32 v4, v14, v4
	;; [unrolled: 1-line block ×4, first 2 shown]
	v_mul_f32_e32 v122, v85, v5
	s_delay_alu instid0(VALU_DEP_4) | instskip(NEXT) | instid1(VALU_DEP_4)
	v_mul_f32_e32 v121, v85, v4
	v_mul_f32_e32 v111, v85, v6
	s_delay_alu instid0(VALU_DEP_4)
	v_mul_f32_e32 v120, v85, v14
	s_and_saveexec_b32 s10, vcc_lo
; %bb.1746:                             ;   in Loop: Header=BB264_998 Depth=1
	v_cmp_lt_i32_e64 s0, v98, v22
	s_delay_alu instid0(VALU_DEP_1) | instskip(SKIP_1) | instid1(VALU_DEP_1)
	v_cndmask_b32_e64 v121, 0, v121, s0
	v_cmp_lt_i32_e64 s0, v101, v22
	v_cndmask_b32_e64 v122, 0, v122, s0
	v_cmp_lt_i32_e64 s0, v100, v22
	s_delay_alu instid0(VALU_DEP_1) | instskip(SKIP_1) | instid1(VALU_DEP_1)
	v_cndmask_b32_e64 v120, 0, v120, s0
	v_cmp_lt_i32_e64 s0, v99, v22
	v_cndmask_b32_e64 v111, 0, v111, s0
; %bb.1747:                             ;   in Loop: Header=BB264_998 Depth=1
	s_or_b32 exec_lo, exec_lo, s10
	flat_load_b32 v123, v[12:13] offset:2816
	v_mov_b32_e32 v14, 0
	v_mov_b32_e32 v15, 0
	s_mov_b32 s10, exec_lo
	s_waitcnt vmcnt(0) lgkmcnt(0)
	v_and_b32_e32 v6, 0xff, v123
	s_delay_alu instid0(VALU_DEP_2) | instskip(NEXT) | instid1(VALU_DEP_2)
	v_dual_mov_b32 v4, v14 :: v_dual_mov_b32 v5, v15
	v_cmpx_ne_u16_e32 0, v6
	s_cbranch_execz .LBB264_1755
; %bb.1748:                             ;   in Loop: Header=BB264_998 Depth=1
	v_bfrev_b32_e32 v4, 1
	v_mov_b32_e32 v5, 0
	s_mov_b32 s13, exec_lo
	v_cmpx_ne_u16_e32 0x80, v6
	s_cbranch_execz .LBB264_1754
; %bb.1749:                             ;   in Loop: Header=BB264_998 Depth=1
	v_mov_b32_e32 v4, 0x7f800001
	v_dual_mov_b32 v5, 0 :: v_dual_and_b32 v16, 0x7f, v123
	s_mov_b32 s15, exec_lo
	s_delay_alu instid0(VALU_DEP_1)
	v_cmpx_ne_u32_e32 0x7f, v16
	s_cbranch_execz .LBB264_1753
; %bb.1750:                             ;   in Loop: Header=BB264_998 Depth=1
	v_and_b32_e32 v6, 7, v123
	v_lshrrev_b32_e32 v4, 3, v16
	s_mov_b32 s16, exec_lo
	v_cmpx_gt_u32_e32 8, v16
; %bb.1751:                             ;   in Loop: Header=BB264_998 Depth=1
	s_delay_alu instid0(VALU_DEP_3) | instskip(NEXT) | instid1(VALU_DEP_1)
	v_clz_i32_u32_e32 v4, v6
	v_min_u32_e32 v4, 32, v4
	s_delay_alu instid0(VALU_DEP_1) | instskip(SKIP_1) | instid1(VALU_DEP_2)
	v_subrev_nc_u32_e32 v5, 28, v4
	v_sub_nc_u32_e32 v4, 29, v4
	v_lshlrev_b64 v[5:6], v5, v[6:7]
	s_delay_alu instid0(VALU_DEP_1)
	v_and_b32_e32 v6, 7, v5
; %bb.1752:                             ;   in Loop: Header=BB264_998 Depth=1
	s_or_b32 exec_lo, exec_lo, s16
	v_lshlrev_b32_e32 v5, 24, v123
	s_delay_alu instid0(VALU_DEP_2) | instskip(SKIP_1) | instid1(VALU_DEP_3)
	v_lshlrev_b32_e32 v6, 20, v6
	v_lshl_add_u32 v4, v4, 23, 0x3c000000
	v_and_b32_e32 v5, 0x80000000, v5
	s_delay_alu instid0(VALU_DEP_1) | instskip(NEXT) | instid1(VALU_DEP_1)
	v_or3_b32 v6, v6, v5, v4
	v_dual_mov_b32 v4, v6 :: v_dual_mov_b32 v5, v7
.LBB264_1753:                           ;   in Loop: Header=BB264_998 Depth=1
	s_or_b32 exec_lo, exec_lo, s15
.LBB264_1754:                           ;   in Loop: Header=BB264_998 Depth=1
	s_delay_alu instid0(SALU_CYCLE_1)
	s_or_b32 exec_lo, exec_lo, s13
.LBB264_1755:                           ;   in Loop: Header=BB264_998 Depth=1
	s_delay_alu instid0(SALU_CYCLE_1) | instskip(SKIP_2) | instid1(VALU_DEP_1)
	s_or_b32 exec_lo, exec_lo, s10
	v_lshrrev_b16 v6, 8, v123
	s_mov_b32 s13, exec_lo
	v_cmpx_ne_u16_e32 0, v6
	s_cbranch_execz .LBB264_1763
; %bb.1756:                             ;   in Loop: Header=BB264_998 Depth=1
	v_dual_mov_b32 v15, s9 :: v_dual_mov_b32 v14, s8
	s_mov_b32 s15, exec_lo
	v_cmpx_ne_u16_e32 0x80, v6
	s_cbranch_execz .LBB264_1762
; %bb.1757:                             ;   in Loop: Header=BB264_998 Depth=1
	s_mov_b32 s10, s8
	v_dual_mov_b32 v15, s11 :: v_dual_and_b32 v6, 0xffff, v6
	v_mov_b32_e32 v14, s10
	s_mov_b32 s10, exec_lo
	s_delay_alu instid0(VALU_DEP_2) | instskip(NEXT) | instid1(VALU_DEP_1)
	v_and_b32_e32 v16, 0x7f, v6
	v_cmpx_ne_u32_e32 0x7f, v16
	s_cbranch_execz .LBB264_1761
; %bb.1758:                             ;   in Loop: Header=BB264_998 Depth=1
	v_and_b32_e32 v6, 7, v6
	v_lshrrev_b32_e32 v14, 3, v16
	s_mov_b32 s16, exec_lo
	v_cmpx_gt_u32_e32 8, v16
; %bb.1759:                             ;   in Loop: Header=BB264_998 Depth=1
	s_delay_alu instid0(VALU_DEP_3) | instskip(NEXT) | instid1(VALU_DEP_1)
	v_clz_i32_u32_e32 v14, v6
	v_min_u32_e32 v14, 32, v14
	s_delay_alu instid0(VALU_DEP_1) | instskip(SKIP_1) | instid1(VALU_DEP_2)
	v_subrev_nc_u32_e32 v15, 28, v14
	v_sub_nc_u32_e32 v14, 29, v14
	v_lshlrev_b64 v[15:16], v15, v[6:7]
	s_delay_alu instid0(VALU_DEP_1)
	v_and_b32_e32 v6, 7, v15
; %bb.1760:                             ;   in Loop: Header=BB264_998 Depth=1
	s_or_b32 exec_lo, exec_lo, s16
	v_lshlrev_b32_e32 v15, 16, v123
	s_delay_alu instid0(VALU_DEP_2) | instskip(SKIP_1) | instid1(VALU_DEP_3)
	v_lshlrev_b32_e32 v6, 20, v6
	v_lshl_add_u32 v14, v14, 23, 0x3c000000
	v_and_b32_e32 v15, 0x80000000, v15
	s_delay_alu instid0(VALU_DEP_1)
	v_or3_b32 v15, v6, v15, v14
	v_mov_b32_e32 v14, v7
.LBB264_1761:                           ;   in Loop: Header=BB264_998 Depth=1
	s_or_b32 exec_lo, exec_lo, s10
.LBB264_1762:                           ;   in Loop: Header=BB264_998 Depth=1
	s_delay_alu instid0(SALU_CYCLE_1)
	s_or_b32 exec_lo, exec_lo, s15
.LBB264_1763:                           ;   in Loop: Header=BB264_998 Depth=1
	s_delay_alu instid0(SALU_CYCLE_1) | instskip(SKIP_4) | instid1(VALU_DEP_2)
	s_or_b32 exec_lo, exec_lo, s13
	v_mov_b32_e32 v18, 0
	v_lshrrev_b32_e32 v124, 16, v123
	v_mov_b32_e32 v19, 0
	s_mov_b32 s10, exec_lo
	v_and_b32_e32 v6, 0xff, v124
	s_delay_alu instid0(VALU_DEP_2) | instskip(NEXT) | instid1(VALU_DEP_2)
	v_dual_mov_b32 v16, v18 :: v_dual_mov_b32 v17, v19
	v_cmpx_ne_u16_e32 0, v6
	s_cbranch_execz .LBB264_1771
; %bb.1764:                             ;   in Loop: Header=BB264_998 Depth=1
	v_bfrev_b32_e32 v16, 1
	v_mov_b32_e32 v17, 0
	s_mov_b32 s13, exec_lo
	v_cmpx_ne_u16_e32 0x80, v6
	s_cbranch_execz .LBB264_1770
; %bb.1765:                             ;   in Loop: Header=BB264_998 Depth=1
	v_mov_b32_e32 v16, 0x7f800001
	v_bfe_u32 v125, v123, 16, 7
	v_mov_b32_e32 v17, 0
	s_mov_b32 s15, exec_lo
	s_delay_alu instid0(VALU_DEP_2)
	v_cmpx_ne_u32_e32 0x7f, v125
	s_cbranch_execz .LBB264_1769
; %bb.1766:                             ;   in Loop: Header=BB264_998 Depth=1
	v_and_b32_e32 v6, 7, v124
	v_lshrrev_b32_e32 v16, 3, v125
	s_mov_b32 s16, exec_lo
	v_cmpx_gt_u32_e32 8, v125
; %bb.1767:                             ;   in Loop: Header=BB264_998 Depth=1
	s_delay_alu instid0(VALU_DEP_3) | instskip(NEXT) | instid1(VALU_DEP_1)
	v_clz_i32_u32_e32 v16, v6
	v_min_u32_e32 v16, 32, v16
	s_delay_alu instid0(VALU_DEP_1) | instskip(SKIP_1) | instid1(VALU_DEP_2)
	v_subrev_nc_u32_e32 v17, 28, v16
	v_sub_nc_u32_e32 v16, 29, v16
	v_lshlrev_b64 v[125:126], v17, v[6:7]
	s_delay_alu instid0(VALU_DEP_1)
	v_and_b32_e32 v6, 7, v125
; %bb.1768:                             ;   in Loop: Header=BB264_998 Depth=1
	s_or_b32 exec_lo, exec_lo, s16
	v_lshlrev_b32_e32 v17, 24, v124
	s_delay_alu instid0(VALU_DEP_2) | instskip(SKIP_1) | instid1(VALU_DEP_3)
	v_lshlrev_b32_e32 v6, 20, v6
	v_lshl_add_u32 v16, v16, 23, 0x3c000000
	v_and_b32_e32 v17, 0x80000000, v17
	s_delay_alu instid0(VALU_DEP_1) | instskip(NEXT) | instid1(VALU_DEP_1)
	v_or3_b32 v6, v6, v17, v16
	v_dual_mov_b32 v17, v7 :: v_dual_mov_b32 v16, v6
.LBB264_1769:                           ;   in Loop: Header=BB264_998 Depth=1
	s_or_b32 exec_lo, exec_lo, s15
.LBB264_1770:                           ;   in Loop: Header=BB264_998 Depth=1
	s_delay_alu instid0(SALU_CYCLE_1)
	s_or_b32 exec_lo, exec_lo, s13
.LBB264_1771:                           ;   in Loop: Header=BB264_998 Depth=1
	s_delay_alu instid0(SALU_CYCLE_1) | instskip(NEXT) | instid1(SALU_CYCLE_1)
	s_or_b32 exec_lo, exec_lo, s10
	s_mov_b32 s13, exec_lo
	v_cmpx_lt_u32_e32 0xffffff, v123
	s_cbranch_execz .LBB264_1779
; %bb.1772:                             ;   in Loop: Header=BB264_998 Depth=1
	v_lshrrev_b32_e32 v124, 24, v123
	v_dual_mov_b32 v19, s9 :: v_dual_mov_b32 v18, s8
	s_mov_b32 s15, exec_lo
	s_delay_alu instid0(VALU_DEP_2)
	v_cmpx_ne_u32_e32 0x80, v124
	s_cbranch_execz .LBB264_1778
; %bb.1773:                             ;   in Loop: Header=BB264_998 Depth=1
	s_mov_b32 s10, s8
	v_bfe_u32 v123, v123, 24, 7
	v_dual_mov_b32 v19, s11 :: v_dual_mov_b32 v18, s10
	s_mov_b32 s10, exec_lo
	s_delay_alu instid0(VALU_DEP_2)
	v_cmpx_ne_u32_e32 0x7f, v123
	s_cbranch_execz .LBB264_1777
; %bb.1774:                             ;   in Loop: Header=BB264_998 Depth=1
	v_and_b32_e32 v6, 7, v124
	v_lshrrev_b32_e32 v18, 3, v123
	s_mov_b32 s16, exec_lo
	v_cmpx_gt_u32_e32 8, v123
; %bb.1775:                             ;   in Loop: Header=BB264_998 Depth=1
	s_delay_alu instid0(VALU_DEP_3) | instskip(NEXT) | instid1(VALU_DEP_1)
	v_clz_i32_u32_e32 v18, v6
	v_min_u32_e32 v18, 32, v18
	s_delay_alu instid0(VALU_DEP_1) | instskip(SKIP_1) | instid1(VALU_DEP_2)
	v_subrev_nc_u32_e32 v19, 28, v18
	v_sub_nc_u32_e32 v18, 29, v18
	v_lshlrev_b64 v[125:126], v19, v[6:7]
	s_delay_alu instid0(VALU_DEP_1)
	v_and_b32_e32 v6, 7, v125
; %bb.1776:                             ;   in Loop: Header=BB264_998 Depth=1
	s_or_b32 exec_lo, exec_lo, s16
	v_lshlrev_b32_e32 v19, 24, v124
	s_delay_alu instid0(VALU_DEP_2) | instskip(SKIP_1) | instid1(VALU_DEP_3)
	v_lshlrev_b32_e32 v6, 20, v6
	v_lshl_add_u32 v18, v18, 23, 0x3c000000
	v_and_b32_e32 v19, 0x80000000, v19
	s_delay_alu instid0(VALU_DEP_1)
	v_or3_b32 v19, v6, v19, v18
	v_mov_b32_e32 v18, v7
.LBB264_1777:                           ;   in Loop: Header=BB264_998 Depth=1
	s_or_b32 exec_lo, exec_lo, s10
.LBB264_1778:                           ;   in Loop: Header=BB264_998 Depth=1
	s_delay_alu instid0(SALU_CYCLE_1)
	s_or_b32 exec_lo, exec_lo, s15
.LBB264_1779:                           ;   in Loop: Header=BB264_998 Depth=1
	s_delay_alu instid0(SALU_CYCLE_1) | instskip(SKIP_4) | instid1(VALU_DEP_4)
	s_or_b32 exec_lo, exec_lo, s13
	v_or_b32_e32 v5, v15, v5
	v_or_b32_e32 v4, v14, v4
	v_or_b32_e32 v6, v19, v17
	v_or_b32_e32 v14, v18, v16
	v_mul_f32_e32 v126, v85, v5
	s_delay_alu instid0(VALU_DEP_4) | instskip(NEXT) | instid1(VALU_DEP_4)
	v_mul_f32_e32 v125, v85, v4
	v_mul_f32_e32 v123, v85, v6
	s_delay_alu instid0(VALU_DEP_4)
	v_mul_f32_e32 v124, v85, v14
	s_and_saveexec_b32 s10, vcc_lo
; %bb.1780:                             ;   in Loop: Header=BB264_998 Depth=1
	v_cmp_lt_i32_e64 s0, v98, v22
	s_delay_alu instid0(VALU_DEP_1) | instskip(SKIP_1) | instid1(VALU_DEP_1)
	v_cndmask_b32_e64 v125, 0, v125, s0
	v_cmp_lt_i32_e64 s0, v101, v22
	v_cndmask_b32_e64 v126, 0, v126, s0
	v_cmp_lt_i32_e64 s0, v100, v22
	s_delay_alu instid0(VALU_DEP_1) | instskip(SKIP_1) | instid1(VALU_DEP_1)
	v_cndmask_b32_e64 v124, 0, v124, s0
	v_cmp_lt_i32_e64 s0, v99, v22
	v_cndmask_b32_e64 v123, 0, v123, s0
; %bb.1781:                             ;   in Loop: Header=BB264_998 Depth=1
	s_or_b32 exec_lo, exec_lo, s10
	flat_load_b32 v127, v[12:13] offset:2944
	v_mov_b32_e32 v14, 0
	v_mov_b32_e32 v15, 0
	s_mov_b32 s10, exec_lo
	s_waitcnt vmcnt(0) lgkmcnt(0)
	v_and_b32_e32 v6, 0xff, v127
	s_delay_alu instid0(VALU_DEP_2) | instskip(NEXT) | instid1(VALU_DEP_2)
	v_dual_mov_b32 v4, v14 :: v_dual_mov_b32 v5, v15
	v_cmpx_ne_u16_e32 0, v6
	s_cbranch_execz .LBB264_1789
; %bb.1782:                             ;   in Loop: Header=BB264_998 Depth=1
	v_bfrev_b32_e32 v4, 1
	v_mov_b32_e32 v5, 0
	s_mov_b32 s13, exec_lo
	v_cmpx_ne_u16_e32 0x80, v6
	s_cbranch_execz .LBB264_1788
; %bb.1783:                             ;   in Loop: Header=BB264_998 Depth=1
	v_mov_b32_e32 v4, 0x7f800001
	v_dual_mov_b32 v5, 0 :: v_dual_and_b32 v16, 0x7f, v127
	s_mov_b32 s15, exec_lo
	s_delay_alu instid0(VALU_DEP_1)
	v_cmpx_ne_u32_e32 0x7f, v16
	s_cbranch_execz .LBB264_1787
; %bb.1784:                             ;   in Loop: Header=BB264_998 Depth=1
	v_and_b32_e32 v6, 7, v127
	v_lshrrev_b32_e32 v4, 3, v16
	s_mov_b32 s16, exec_lo
	v_cmpx_gt_u32_e32 8, v16
; %bb.1785:                             ;   in Loop: Header=BB264_998 Depth=1
	s_delay_alu instid0(VALU_DEP_3) | instskip(NEXT) | instid1(VALU_DEP_1)
	v_clz_i32_u32_e32 v4, v6
	v_min_u32_e32 v4, 32, v4
	s_delay_alu instid0(VALU_DEP_1) | instskip(SKIP_1) | instid1(VALU_DEP_2)
	v_subrev_nc_u32_e32 v5, 28, v4
	v_sub_nc_u32_e32 v4, 29, v4
	v_lshlrev_b64 v[5:6], v5, v[6:7]
	s_delay_alu instid0(VALU_DEP_1)
	v_and_b32_e32 v6, 7, v5
; %bb.1786:                             ;   in Loop: Header=BB264_998 Depth=1
	s_or_b32 exec_lo, exec_lo, s16
	v_lshlrev_b32_e32 v5, 24, v127
	s_delay_alu instid0(VALU_DEP_2) | instskip(SKIP_1) | instid1(VALU_DEP_3)
	v_lshlrev_b32_e32 v6, 20, v6
	v_lshl_add_u32 v4, v4, 23, 0x3c000000
	v_and_b32_e32 v5, 0x80000000, v5
	s_delay_alu instid0(VALU_DEP_1) | instskip(NEXT) | instid1(VALU_DEP_1)
	v_or3_b32 v6, v6, v5, v4
	v_dual_mov_b32 v4, v6 :: v_dual_mov_b32 v5, v7
.LBB264_1787:                           ;   in Loop: Header=BB264_998 Depth=1
	s_or_b32 exec_lo, exec_lo, s15
.LBB264_1788:                           ;   in Loop: Header=BB264_998 Depth=1
	s_delay_alu instid0(SALU_CYCLE_1)
	s_or_b32 exec_lo, exec_lo, s13
.LBB264_1789:                           ;   in Loop: Header=BB264_998 Depth=1
	s_delay_alu instid0(SALU_CYCLE_1) | instskip(SKIP_2) | instid1(VALU_DEP_1)
	s_or_b32 exec_lo, exec_lo, s10
	v_lshrrev_b16 v6, 8, v127
	s_mov_b32 s13, exec_lo
	v_cmpx_ne_u16_e32 0, v6
	s_cbranch_execz .LBB264_1797
; %bb.1790:                             ;   in Loop: Header=BB264_998 Depth=1
	v_dual_mov_b32 v15, s9 :: v_dual_mov_b32 v14, s8
	s_mov_b32 s15, exec_lo
	v_cmpx_ne_u16_e32 0x80, v6
	s_cbranch_execz .LBB264_1796
; %bb.1791:                             ;   in Loop: Header=BB264_998 Depth=1
	s_mov_b32 s10, s8
	v_dual_mov_b32 v15, s11 :: v_dual_and_b32 v6, 0xffff, v6
	v_mov_b32_e32 v14, s10
	s_mov_b32 s10, exec_lo
	s_delay_alu instid0(VALU_DEP_2) | instskip(NEXT) | instid1(VALU_DEP_1)
	v_and_b32_e32 v16, 0x7f, v6
	v_cmpx_ne_u32_e32 0x7f, v16
	s_cbranch_execz .LBB264_1795
; %bb.1792:                             ;   in Loop: Header=BB264_998 Depth=1
	v_and_b32_e32 v6, 7, v6
	v_lshrrev_b32_e32 v14, 3, v16
	s_mov_b32 s16, exec_lo
	v_cmpx_gt_u32_e32 8, v16
; %bb.1793:                             ;   in Loop: Header=BB264_998 Depth=1
	s_delay_alu instid0(VALU_DEP_3) | instskip(NEXT) | instid1(VALU_DEP_1)
	v_clz_i32_u32_e32 v14, v6
	v_min_u32_e32 v14, 32, v14
	s_delay_alu instid0(VALU_DEP_1) | instskip(SKIP_1) | instid1(VALU_DEP_2)
	v_subrev_nc_u32_e32 v15, 28, v14
	v_sub_nc_u32_e32 v14, 29, v14
	v_lshlrev_b64 v[15:16], v15, v[6:7]
	s_delay_alu instid0(VALU_DEP_1)
	v_and_b32_e32 v6, 7, v15
; %bb.1794:                             ;   in Loop: Header=BB264_998 Depth=1
	s_or_b32 exec_lo, exec_lo, s16
	v_lshlrev_b32_e32 v15, 16, v127
	s_delay_alu instid0(VALU_DEP_2) | instskip(SKIP_1) | instid1(VALU_DEP_3)
	v_lshlrev_b32_e32 v6, 20, v6
	v_lshl_add_u32 v14, v14, 23, 0x3c000000
	v_and_b32_e32 v15, 0x80000000, v15
	s_delay_alu instid0(VALU_DEP_1)
	v_or3_b32 v15, v6, v15, v14
	v_mov_b32_e32 v14, v7
.LBB264_1795:                           ;   in Loop: Header=BB264_998 Depth=1
	s_or_b32 exec_lo, exec_lo, s10
.LBB264_1796:                           ;   in Loop: Header=BB264_998 Depth=1
	s_delay_alu instid0(SALU_CYCLE_1)
	s_or_b32 exec_lo, exec_lo, s15
.LBB264_1797:                           ;   in Loop: Header=BB264_998 Depth=1
	s_delay_alu instid0(SALU_CYCLE_1) | instskip(SKIP_4) | instid1(VALU_DEP_2)
	s_or_b32 exec_lo, exec_lo, s13
	v_mov_b32_e32 v18, 0
	v_lshrrev_b32_e32 v136, 16, v127
	v_mov_b32_e32 v19, 0
	s_mov_b32 s10, exec_lo
	v_and_b32_e32 v6, 0xff, v136
	s_delay_alu instid0(VALU_DEP_2) | instskip(NEXT) | instid1(VALU_DEP_2)
	v_dual_mov_b32 v16, v18 :: v_dual_mov_b32 v17, v19
	v_cmpx_ne_u16_e32 0, v6
	s_cbranch_execz .LBB264_1805
; %bb.1798:                             ;   in Loop: Header=BB264_998 Depth=1
	v_bfrev_b32_e32 v16, 1
	v_mov_b32_e32 v17, 0
	s_mov_b32 s13, exec_lo
	v_cmpx_ne_u16_e32 0x80, v6
	s_cbranch_execz .LBB264_1804
; %bb.1799:                             ;   in Loop: Header=BB264_998 Depth=1
	v_mov_b32_e32 v16, 0x7f800001
	v_bfe_u32 v137, v127, 16, 7
	v_mov_b32_e32 v17, 0
	s_mov_b32 s15, exec_lo
	s_delay_alu instid0(VALU_DEP_2)
	v_cmpx_ne_u32_e32 0x7f, v137
	s_cbranch_execz .LBB264_1803
; %bb.1800:                             ;   in Loop: Header=BB264_998 Depth=1
	v_and_b32_e32 v6, 7, v136
	v_lshrrev_b32_e32 v16, 3, v137
	s_mov_b32 s16, exec_lo
	v_cmpx_gt_u32_e32 8, v137
; %bb.1801:                             ;   in Loop: Header=BB264_998 Depth=1
	s_delay_alu instid0(VALU_DEP_3) | instskip(NEXT) | instid1(VALU_DEP_1)
	v_clz_i32_u32_e32 v16, v6
	v_min_u32_e32 v16, 32, v16
	s_delay_alu instid0(VALU_DEP_1) | instskip(SKIP_1) | instid1(VALU_DEP_2)
	v_subrev_nc_u32_e32 v17, 28, v16
	v_sub_nc_u32_e32 v16, 29, v16
	v_lshlrev_b64 v[137:138], v17, v[6:7]
	s_delay_alu instid0(VALU_DEP_1)
	v_and_b32_e32 v6, 7, v137
; %bb.1802:                             ;   in Loop: Header=BB264_998 Depth=1
	s_or_b32 exec_lo, exec_lo, s16
	v_lshlrev_b32_e32 v17, 24, v136
	s_delay_alu instid0(VALU_DEP_2) | instskip(SKIP_1) | instid1(VALU_DEP_3)
	v_lshlrev_b32_e32 v6, 20, v6
	v_lshl_add_u32 v16, v16, 23, 0x3c000000
	v_and_b32_e32 v17, 0x80000000, v17
	s_delay_alu instid0(VALU_DEP_1) | instskip(NEXT) | instid1(VALU_DEP_1)
	v_or3_b32 v6, v6, v17, v16
	v_dual_mov_b32 v17, v7 :: v_dual_mov_b32 v16, v6
.LBB264_1803:                           ;   in Loop: Header=BB264_998 Depth=1
	s_or_b32 exec_lo, exec_lo, s15
.LBB264_1804:                           ;   in Loop: Header=BB264_998 Depth=1
	s_delay_alu instid0(SALU_CYCLE_1)
	s_or_b32 exec_lo, exec_lo, s13
.LBB264_1805:                           ;   in Loop: Header=BB264_998 Depth=1
	s_delay_alu instid0(SALU_CYCLE_1) | instskip(NEXT) | instid1(SALU_CYCLE_1)
	s_or_b32 exec_lo, exec_lo, s10
	s_mov_b32 s13, exec_lo
	v_cmpx_lt_u32_e32 0xffffff, v127
	s_cbranch_execz .LBB264_1813
; %bb.1806:                             ;   in Loop: Header=BB264_998 Depth=1
	v_lshrrev_b32_e32 v136, 24, v127
	v_dual_mov_b32 v19, s9 :: v_dual_mov_b32 v18, s8
	s_mov_b32 s15, exec_lo
	s_delay_alu instid0(VALU_DEP_2)
	v_cmpx_ne_u32_e32 0x80, v136
	s_cbranch_execz .LBB264_1812
; %bb.1807:                             ;   in Loop: Header=BB264_998 Depth=1
	s_mov_b32 s10, s8
	v_bfe_u32 v127, v127, 24, 7
	v_dual_mov_b32 v19, s11 :: v_dual_mov_b32 v18, s10
	s_mov_b32 s10, exec_lo
	s_delay_alu instid0(VALU_DEP_2)
	v_cmpx_ne_u32_e32 0x7f, v127
	s_cbranch_execz .LBB264_1811
; %bb.1808:                             ;   in Loop: Header=BB264_998 Depth=1
	v_and_b32_e32 v6, 7, v136
	v_lshrrev_b32_e32 v18, 3, v127
	s_mov_b32 s16, exec_lo
	v_cmpx_gt_u32_e32 8, v127
; %bb.1809:                             ;   in Loop: Header=BB264_998 Depth=1
	s_delay_alu instid0(VALU_DEP_3) | instskip(NEXT) | instid1(VALU_DEP_1)
	v_clz_i32_u32_e32 v18, v6
	v_min_u32_e32 v18, 32, v18
	s_delay_alu instid0(VALU_DEP_1) | instskip(SKIP_1) | instid1(VALU_DEP_2)
	v_subrev_nc_u32_e32 v19, 28, v18
	v_sub_nc_u32_e32 v18, 29, v18
	v_lshlrev_b64 v[137:138], v19, v[6:7]
	s_delay_alu instid0(VALU_DEP_1)
	v_and_b32_e32 v6, 7, v137
; %bb.1810:                             ;   in Loop: Header=BB264_998 Depth=1
	s_or_b32 exec_lo, exec_lo, s16
	v_lshlrev_b32_e32 v19, 24, v136
	s_delay_alu instid0(VALU_DEP_2) | instskip(SKIP_1) | instid1(VALU_DEP_3)
	v_lshlrev_b32_e32 v6, 20, v6
	v_lshl_add_u32 v18, v18, 23, 0x3c000000
	v_and_b32_e32 v19, 0x80000000, v19
	s_delay_alu instid0(VALU_DEP_1)
	v_or3_b32 v19, v6, v19, v18
	v_mov_b32_e32 v18, v7
.LBB264_1811:                           ;   in Loop: Header=BB264_998 Depth=1
	s_or_b32 exec_lo, exec_lo, s10
.LBB264_1812:                           ;   in Loop: Header=BB264_998 Depth=1
	s_delay_alu instid0(SALU_CYCLE_1)
	s_or_b32 exec_lo, exec_lo, s15
.LBB264_1813:                           ;   in Loop: Header=BB264_998 Depth=1
	s_delay_alu instid0(SALU_CYCLE_1) | instskip(SKIP_4) | instid1(VALU_DEP_4)
	s_or_b32 exec_lo, exec_lo, s13
	v_or_b32_e32 v5, v15, v5
	v_or_b32_e32 v4, v14, v4
	;; [unrolled: 1-line block ×4, first 2 shown]
	v_mul_f32_e32 v138, v85, v5
	s_delay_alu instid0(VALU_DEP_4) | instskip(NEXT) | instid1(VALU_DEP_4)
	v_mul_f32_e32 v137, v85, v4
	v_mul_f32_e32 v127, v85, v6
	s_delay_alu instid0(VALU_DEP_4)
	v_mul_f32_e32 v136, v85, v14
	s_and_saveexec_b32 s10, vcc_lo
; %bb.1814:                             ;   in Loop: Header=BB264_998 Depth=1
	v_cmp_lt_i32_e64 s0, v98, v22
	s_delay_alu instid0(VALU_DEP_1) | instskip(SKIP_1) | instid1(VALU_DEP_1)
	v_cndmask_b32_e64 v137, 0, v137, s0
	v_cmp_lt_i32_e64 s0, v101, v22
	v_cndmask_b32_e64 v138, 0, v138, s0
	v_cmp_lt_i32_e64 s0, v100, v22
	s_delay_alu instid0(VALU_DEP_1) | instskip(SKIP_1) | instid1(VALU_DEP_1)
	v_cndmask_b32_e64 v136, 0, v136, s0
	v_cmp_lt_i32_e64 s0, v99, v22
	v_cndmask_b32_e64 v127, 0, v127, s0
; %bb.1815:                             ;   in Loop: Header=BB264_998 Depth=1
	s_or_b32 exec_lo, exec_lo, s10
	flat_load_b32 v139, v[12:13] offset:3072
	v_mov_b32_e32 v14, 0
	v_mov_b32_e32 v15, 0
	s_mov_b32 s10, exec_lo
	s_waitcnt vmcnt(0) lgkmcnt(0)
	v_and_b32_e32 v6, 0xff, v139
	s_delay_alu instid0(VALU_DEP_2) | instskip(NEXT) | instid1(VALU_DEP_2)
	v_dual_mov_b32 v4, v14 :: v_dual_mov_b32 v5, v15
	v_cmpx_ne_u16_e32 0, v6
	s_cbranch_execz .LBB264_1823
; %bb.1816:                             ;   in Loop: Header=BB264_998 Depth=1
	v_bfrev_b32_e32 v4, 1
	v_mov_b32_e32 v5, 0
	s_mov_b32 s13, exec_lo
	v_cmpx_ne_u16_e32 0x80, v6
	s_cbranch_execz .LBB264_1822
; %bb.1817:                             ;   in Loop: Header=BB264_998 Depth=1
	v_mov_b32_e32 v4, 0x7f800001
	v_dual_mov_b32 v5, 0 :: v_dual_and_b32 v16, 0x7f, v139
	s_mov_b32 s15, exec_lo
	s_delay_alu instid0(VALU_DEP_1)
	v_cmpx_ne_u32_e32 0x7f, v16
	s_cbranch_execz .LBB264_1821
; %bb.1818:                             ;   in Loop: Header=BB264_998 Depth=1
	v_and_b32_e32 v6, 7, v139
	v_lshrrev_b32_e32 v4, 3, v16
	s_mov_b32 s16, exec_lo
	v_cmpx_gt_u32_e32 8, v16
; %bb.1819:                             ;   in Loop: Header=BB264_998 Depth=1
	s_delay_alu instid0(VALU_DEP_3) | instskip(NEXT) | instid1(VALU_DEP_1)
	v_clz_i32_u32_e32 v4, v6
	v_min_u32_e32 v4, 32, v4
	s_delay_alu instid0(VALU_DEP_1) | instskip(SKIP_1) | instid1(VALU_DEP_2)
	v_subrev_nc_u32_e32 v5, 28, v4
	v_sub_nc_u32_e32 v4, 29, v4
	v_lshlrev_b64 v[5:6], v5, v[6:7]
	s_delay_alu instid0(VALU_DEP_1)
	v_and_b32_e32 v6, 7, v5
; %bb.1820:                             ;   in Loop: Header=BB264_998 Depth=1
	s_or_b32 exec_lo, exec_lo, s16
	v_lshlrev_b32_e32 v5, 24, v139
	s_delay_alu instid0(VALU_DEP_2) | instskip(SKIP_1) | instid1(VALU_DEP_3)
	v_lshlrev_b32_e32 v6, 20, v6
	v_lshl_add_u32 v4, v4, 23, 0x3c000000
	v_and_b32_e32 v5, 0x80000000, v5
	s_delay_alu instid0(VALU_DEP_1) | instskip(NEXT) | instid1(VALU_DEP_1)
	v_or3_b32 v6, v6, v5, v4
	v_dual_mov_b32 v4, v6 :: v_dual_mov_b32 v5, v7
.LBB264_1821:                           ;   in Loop: Header=BB264_998 Depth=1
	s_or_b32 exec_lo, exec_lo, s15
.LBB264_1822:                           ;   in Loop: Header=BB264_998 Depth=1
	s_delay_alu instid0(SALU_CYCLE_1)
	s_or_b32 exec_lo, exec_lo, s13
.LBB264_1823:                           ;   in Loop: Header=BB264_998 Depth=1
	s_delay_alu instid0(SALU_CYCLE_1) | instskip(SKIP_2) | instid1(VALU_DEP_1)
	s_or_b32 exec_lo, exec_lo, s10
	v_lshrrev_b16 v6, 8, v139
	s_mov_b32 s13, exec_lo
	v_cmpx_ne_u16_e32 0, v6
	s_cbranch_execz .LBB264_1831
; %bb.1824:                             ;   in Loop: Header=BB264_998 Depth=1
	v_dual_mov_b32 v15, s9 :: v_dual_mov_b32 v14, s8
	s_mov_b32 s15, exec_lo
	v_cmpx_ne_u16_e32 0x80, v6
	s_cbranch_execz .LBB264_1830
; %bb.1825:                             ;   in Loop: Header=BB264_998 Depth=1
	s_mov_b32 s10, s8
	v_dual_mov_b32 v15, s11 :: v_dual_and_b32 v6, 0xffff, v6
	v_mov_b32_e32 v14, s10
	s_mov_b32 s10, exec_lo
	s_delay_alu instid0(VALU_DEP_2) | instskip(NEXT) | instid1(VALU_DEP_1)
	v_and_b32_e32 v16, 0x7f, v6
	v_cmpx_ne_u32_e32 0x7f, v16
	s_cbranch_execz .LBB264_1829
; %bb.1826:                             ;   in Loop: Header=BB264_998 Depth=1
	v_and_b32_e32 v6, 7, v6
	v_lshrrev_b32_e32 v14, 3, v16
	s_mov_b32 s16, exec_lo
	v_cmpx_gt_u32_e32 8, v16
; %bb.1827:                             ;   in Loop: Header=BB264_998 Depth=1
	s_delay_alu instid0(VALU_DEP_3) | instskip(NEXT) | instid1(VALU_DEP_1)
	v_clz_i32_u32_e32 v14, v6
	v_min_u32_e32 v14, 32, v14
	s_delay_alu instid0(VALU_DEP_1) | instskip(SKIP_1) | instid1(VALU_DEP_2)
	v_subrev_nc_u32_e32 v15, 28, v14
	v_sub_nc_u32_e32 v14, 29, v14
	v_lshlrev_b64 v[15:16], v15, v[6:7]
	s_delay_alu instid0(VALU_DEP_1)
	v_and_b32_e32 v6, 7, v15
; %bb.1828:                             ;   in Loop: Header=BB264_998 Depth=1
	s_or_b32 exec_lo, exec_lo, s16
	v_lshlrev_b32_e32 v15, 16, v139
	s_delay_alu instid0(VALU_DEP_2) | instskip(SKIP_1) | instid1(VALU_DEP_3)
	v_lshlrev_b32_e32 v6, 20, v6
	v_lshl_add_u32 v14, v14, 23, 0x3c000000
	v_and_b32_e32 v15, 0x80000000, v15
	s_delay_alu instid0(VALU_DEP_1)
	v_or3_b32 v15, v6, v15, v14
	v_mov_b32_e32 v14, v7
.LBB264_1829:                           ;   in Loop: Header=BB264_998 Depth=1
	s_or_b32 exec_lo, exec_lo, s10
.LBB264_1830:                           ;   in Loop: Header=BB264_998 Depth=1
	s_delay_alu instid0(SALU_CYCLE_1)
	s_or_b32 exec_lo, exec_lo, s15
.LBB264_1831:                           ;   in Loop: Header=BB264_998 Depth=1
	s_delay_alu instid0(SALU_CYCLE_1) | instskip(SKIP_4) | instid1(VALU_DEP_2)
	s_or_b32 exec_lo, exec_lo, s13
	v_mov_b32_e32 v18, 0
	v_lshrrev_b32_e32 v140, 16, v139
	v_mov_b32_e32 v19, 0
	s_mov_b32 s10, exec_lo
	v_and_b32_e32 v6, 0xff, v140
	s_delay_alu instid0(VALU_DEP_2) | instskip(NEXT) | instid1(VALU_DEP_2)
	v_dual_mov_b32 v16, v18 :: v_dual_mov_b32 v17, v19
	v_cmpx_ne_u16_e32 0, v6
	s_cbranch_execz .LBB264_1839
; %bb.1832:                             ;   in Loop: Header=BB264_998 Depth=1
	v_bfrev_b32_e32 v16, 1
	v_mov_b32_e32 v17, 0
	s_mov_b32 s13, exec_lo
	v_cmpx_ne_u16_e32 0x80, v6
	s_cbranch_execz .LBB264_1838
; %bb.1833:                             ;   in Loop: Header=BB264_998 Depth=1
	v_mov_b32_e32 v16, 0x7f800001
	v_bfe_u32 v141, v139, 16, 7
	v_mov_b32_e32 v17, 0
	s_mov_b32 s15, exec_lo
	s_delay_alu instid0(VALU_DEP_2)
	v_cmpx_ne_u32_e32 0x7f, v141
	s_cbranch_execz .LBB264_1837
; %bb.1834:                             ;   in Loop: Header=BB264_998 Depth=1
	v_and_b32_e32 v6, 7, v140
	v_lshrrev_b32_e32 v16, 3, v141
	s_mov_b32 s16, exec_lo
	v_cmpx_gt_u32_e32 8, v141
; %bb.1835:                             ;   in Loop: Header=BB264_998 Depth=1
	s_delay_alu instid0(VALU_DEP_3) | instskip(NEXT) | instid1(VALU_DEP_1)
	v_clz_i32_u32_e32 v16, v6
	v_min_u32_e32 v16, 32, v16
	s_delay_alu instid0(VALU_DEP_1) | instskip(SKIP_1) | instid1(VALU_DEP_2)
	v_subrev_nc_u32_e32 v17, 28, v16
	v_sub_nc_u32_e32 v16, 29, v16
	v_lshlrev_b64 v[141:142], v17, v[6:7]
	s_delay_alu instid0(VALU_DEP_1)
	v_and_b32_e32 v6, 7, v141
; %bb.1836:                             ;   in Loop: Header=BB264_998 Depth=1
	s_or_b32 exec_lo, exec_lo, s16
	v_lshlrev_b32_e32 v17, 24, v140
	s_delay_alu instid0(VALU_DEP_2) | instskip(SKIP_1) | instid1(VALU_DEP_3)
	v_lshlrev_b32_e32 v6, 20, v6
	v_lshl_add_u32 v16, v16, 23, 0x3c000000
	v_and_b32_e32 v17, 0x80000000, v17
	s_delay_alu instid0(VALU_DEP_1) | instskip(NEXT) | instid1(VALU_DEP_1)
	v_or3_b32 v6, v6, v17, v16
	v_dual_mov_b32 v17, v7 :: v_dual_mov_b32 v16, v6
.LBB264_1837:                           ;   in Loop: Header=BB264_998 Depth=1
	s_or_b32 exec_lo, exec_lo, s15
.LBB264_1838:                           ;   in Loop: Header=BB264_998 Depth=1
	s_delay_alu instid0(SALU_CYCLE_1)
	s_or_b32 exec_lo, exec_lo, s13
.LBB264_1839:                           ;   in Loop: Header=BB264_998 Depth=1
	s_delay_alu instid0(SALU_CYCLE_1) | instskip(NEXT) | instid1(SALU_CYCLE_1)
	s_or_b32 exec_lo, exec_lo, s10
	s_mov_b32 s13, exec_lo
	v_cmpx_lt_u32_e32 0xffffff, v139
	s_cbranch_execz .LBB264_1847
; %bb.1840:                             ;   in Loop: Header=BB264_998 Depth=1
	v_lshrrev_b32_e32 v140, 24, v139
	v_dual_mov_b32 v19, s9 :: v_dual_mov_b32 v18, s8
	s_mov_b32 s15, exec_lo
	s_delay_alu instid0(VALU_DEP_2)
	v_cmpx_ne_u32_e32 0x80, v140
	s_cbranch_execz .LBB264_1846
; %bb.1841:                             ;   in Loop: Header=BB264_998 Depth=1
	s_mov_b32 s10, s8
	v_bfe_u32 v139, v139, 24, 7
	v_dual_mov_b32 v19, s11 :: v_dual_mov_b32 v18, s10
	s_mov_b32 s10, exec_lo
	s_delay_alu instid0(VALU_DEP_2)
	v_cmpx_ne_u32_e32 0x7f, v139
	s_cbranch_execz .LBB264_1845
; %bb.1842:                             ;   in Loop: Header=BB264_998 Depth=1
	v_and_b32_e32 v6, 7, v140
	v_lshrrev_b32_e32 v18, 3, v139
	s_mov_b32 s16, exec_lo
	v_cmpx_gt_u32_e32 8, v139
; %bb.1843:                             ;   in Loop: Header=BB264_998 Depth=1
	s_delay_alu instid0(VALU_DEP_3) | instskip(NEXT) | instid1(VALU_DEP_1)
	v_clz_i32_u32_e32 v18, v6
	v_min_u32_e32 v18, 32, v18
	s_delay_alu instid0(VALU_DEP_1) | instskip(SKIP_1) | instid1(VALU_DEP_2)
	v_subrev_nc_u32_e32 v19, 28, v18
	v_sub_nc_u32_e32 v18, 29, v18
	v_lshlrev_b64 v[141:142], v19, v[6:7]
	s_delay_alu instid0(VALU_DEP_1)
	v_and_b32_e32 v6, 7, v141
; %bb.1844:                             ;   in Loop: Header=BB264_998 Depth=1
	s_or_b32 exec_lo, exec_lo, s16
	v_lshlrev_b32_e32 v19, 24, v140
	s_delay_alu instid0(VALU_DEP_2) | instskip(SKIP_1) | instid1(VALU_DEP_3)
	v_lshlrev_b32_e32 v6, 20, v6
	v_lshl_add_u32 v18, v18, 23, 0x3c000000
	v_and_b32_e32 v19, 0x80000000, v19
	s_delay_alu instid0(VALU_DEP_1)
	v_or3_b32 v19, v6, v19, v18
	v_mov_b32_e32 v18, v7
.LBB264_1845:                           ;   in Loop: Header=BB264_998 Depth=1
	s_or_b32 exec_lo, exec_lo, s10
.LBB264_1846:                           ;   in Loop: Header=BB264_998 Depth=1
	s_delay_alu instid0(SALU_CYCLE_1)
	s_or_b32 exec_lo, exec_lo, s15
.LBB264_1847:                           ;   in Loop: Header=BB264_998 Depth=1
	s_delay_alu instid0(SALU_CYCLE_1) | instskip(SKIP_4) | instid1(VALU_DEP_4)
	s_or_b32 exec_lo, exec_lo, s13
	v_or_b32_e32 v5, v15, v5
	v_or_b32_e32 v4, v14, v4
	;; [unrolled: 1-line block ×4, first 2 shown]
	v_mul_f32_e32 v142, v85, v5
	s_delay_alu instid0(VALU_DEP_4) | instskip(NEXT) | instid1(VALU_DEP_4)
	v_mul_f32_e32 v141, v85, v4
	v_mul_f32_e32 v139, v85, v6
	s_delay_alu instid0(VALU_DEP_4)
	v_mul_f32_e32 v140, v85, v14
	s_and_saveexec_b32 s10, vcc_lo
; %bb.1848:                             ;   in Loop: Header=BB264_998 Depth=1
	v_cmp_lt_i32_e64 s0, v98, v22
	s_delay_alu instid0(VALU_DEP_1) | instskip(SKIP_1) | instid1(VALU_DEP_1)
	v_cndmask_b32_e64 v141, 0, v141, s0
	v_cmp_lt_i32_e64 s0, v101, v22
	v_cndmask_b32_e64 v142, 0, v142, s0
	v_cmp_lt_i32_e64 s0, v100, v22
	s_delay_alu instid0(VALU_DEP_1) | instskip(SKIP_1) | instid1(VALU_DEP_1)
	v_cndmask_b32_e64 v140, 0, v140, s0
	v_cmp_lt_i32_e64 s0, v99, v22
	v_cndmask_b32_e64 v139, 0, v139, s0
; %bb.1849:                             ;   in Loop: Header=BB264_998 Depth=1
	s_or_b32 exec_lo, exec_lo, s10
	flat_load_b32 v143, v[12:13] offset:3200
	v_mov_b32_e32 v14, 0
	v_mov_b32_e32 v15, 0
	s_mov_b32 s10, exec_lo
	s_waitcnt vmcnt(0) lgkmcnt(0)
	v_and_b32_e32 v6, 0xff, v143
	s_delay_alu instid0(VALU_DEP_2) | instskip(NEXT) | instid1(VALU_DEP_2)
	v_dual_mov_b32 v4, v14 :: v_dual_mov_b32 v5, v15
	v_cmpx_ne_u16_e32 0, v6
	s_cbranch_execz .LBB264_1857
; %bb.1850:                             ;   in Loop: Header=BB264_998 Depth=1
	v_bfrev_b32_e32 v4, 1
	v_mov_b32_e32 v5, 0
	s_mov_b32 s13, exec_lo
	v_cmpx_ne_u16_e32 0x80, v6
	s_cbranch_execz .LBB264_1856
; %bb.1851:                             ;   in Loop: Header=BB264_998 Depth=1
	v_mov_b32_e32 v4, 0x7f800001
	v_dual_mov_b32 v5, 0 :: v_dual_and_b32 v16, 0x7f, v143
	s_mov_b32 s15, exec_lo
	s_delay_alu instid0(VALU_DEP_1)
	v_cmpx_ne_u32_e32 0x7f, v16
	s_cbranch_execz .LBB264_1855
; %bb.1852:                             ;   in Loop: Header=BB264_998 Depth=1
	v_and_b32_e32 v6, 7, v143
	v_lshrrev_b32_e32 v4, 3, v16
	s_mov_b32 s16, exec_lo
	v_cmpx_gt_u32_e32 8, v16
; %bb.1853:                             ;   in Loop: Header=BB264_998 Depth=1
	s_delay_alu instid0(VALU_DEP_3) | instskip(NEXT) | instid1(VALU_DEP_1)
	v_clz_i32_u32_e32 v4, v6
	v_min_u32_e32 v4, 32, v4
	s_delay_alu instid0(VALU_DEP_1) | instskip(SKIP_1) | instid1(VALU_DEP_2)
	v_subrev_nc_u32_e32 v5, 28, v4
	v_sub_nc_u32_e32 v4, 29, v4
	v_lshlrev_b64 v[5:6], v5, v[6:7]
	s_delay_alu instid0(VALU_DEP_1)
	v_and_b32_e32 v6, 7, v5
; %bb.1854:                             ;   in Loop: Header=BB264_998 Depth=1
	s_or_b32 exec_lo, exec_lo, s16
	v_lshlrev_b32_e32 v5, 24, v143
	s_delay_alu instid0(VALU_DEP_2) | instskip(SKIP_1) | instid1(VALU_DEP_3)
	v_lshlrev_b32_e32 v6, 20, v6
	v_lshl_add_u32 v4, v4, 23, 0x3c000000
	v_and_b32_e32 v5, 0x80000000, v5
	s_delay_alu instid0(VALU_DEP_1) | instskip(NEXT) | instid1(VALU_DEP_1)
	v_or3_b32 v6, v6, v5, v4
	v_dual_mov_b32 v4, v6 :: v_dual_mov_b32 v5, v7
.LBB264_1855:                           ;   in Loop: Header=BB264_998 Depth=1
	s_or_b32 exec_lo, exec_lo, s15
.LBB264_1856:                           ;   in Loop: Header=BB264_998 Depth=1
	s_delay_alu instid0(SALU_CYCLE_1)
	s_or_b32 exec_lo, exec_lo, s13
.LBB264_1857:                           ;   in Loop: Header=BB264_998 Depth=1
	s_delay_alu instid0(SALU_CYCLE_1) | instskip(SKIP_2) | instid1(VALU_DEP_1)
	s_or_b32 exec_lo, exec_lo, s10
	v_lshrrev_b16 v6, 8, v143
	s_mov_b32 s13, exec_lo
	v_cmpx_ne_u16_e32 0, v6
	s_cbranch_execz .LBB264_1865
; %bb.1858:                             ;   in Loop: Header=BB264_998 Depth=1
	v_dual_mov_b32 v15, s9 :: v_dual_mov_b32 v14, s8
	s_mov_b32 s15, exec_lo
	v_cmpx_ne_u16_e32 0x80, v6
	s_cbranch_execz .LBB264_1864
; %bb.1859:                             ;   in Loop: Header=BB264_998 Depth=1
	s_mov_b32 s10, s8
	v_dual_mov_b32 v15, s11 :: v_dual_and_b32 v6, 0xffff, v6
	v_mov_b32_e32 v14, s10
	s_mov_b32 s10, exec_lo
	s_delay_alu instid0(VALU_DEP_2) | instskip(NEXT) | instid1(VALU_DEP_1)
	v_and_b32_e32 v16, 0x7f, v6
	v_cmpx_ne_u32_e32 0x7f, v16
	s_cbranch_execz .LBB264_1863
; %bb.1860:                             ;   in Loop: Header=BB264_998 Depth=1
	v_and_b32_e32 v6, 7, v6
	v_lshrrev_b32_e32 v14, 3, v16
	s_mov_b32 s16, exec_lo
	v_cmpx_gt_u32_e32 8, v16
; %bb.1861:                             ;   in Loop: Header=BB264_998 Depth=1
	s_delay_alu instid0(VALU_DEP_3) | instskip(NEXT) | instid1(VALU_DEP_1)
	v_clz_i32_u32_e32 v14, v6
	v_min_u32_e32 v14, 32, v14
	s_delay_alu instid0(VALU_DEP_1) | instskip(SKIP_1) | instid1(VALU_DEP_2)
	v_subrev_nc_u32_e32 v15, 28, v14
	v_sub_nc_u32_e32 v14, 29, v14
	v_lshlrev_b64 v[15:16], v15, v[6:7]
	s_delay_alu instid0(VALU_DEP_1)
	v_and_b32_e32 v6, 7, v15
; %bb.1862:                             ;   in Loop: Header=BB264_998 Depth=1
	s_or_b32 exec_lo, exec_lo, s16
	v_lshlrev_b32_e32 v15, 16, v143
	s_delay_alu instid0(VALU_DEP_2) | instskip(SKIP_1) | instid1(VALU_DEP_3)
	v_lshlrev_b32_e32 v6, 20, v6
	v_lshl_add_u32 v14, v14, 23, 0x3c000000
	v_and_b32_e32 v15, 0x80000000, v15
	s_delay_alu instid0(VALU_DEP_1)
	v_or3_b32 v15, v6, v15, v14
	v_mov_b32_e32 v14, v7
.LBB264_1863:                           ;   in Loop: Header=BB264_998 Depth=1
	s_or_b32 exec_lo, exec_lo, s10
.LBB264_1864:                           ;   in Loop: Header=BB264_998 Depth=1
	s_delay_alu instid0(SALU_CYCLE_1)
	s_or_b32 exec_lo, exec_lo, s15
.LBB264_1865:                           ;   in Loop: Header=BB264_998 Depth=1
	s_delay_alu instid0(SALU_CYCLE_1) | instskip(SKIP_4) | instid1(VALU_DEP_2)
	s_or_b32 exec_lo, exec_lo, s13
	v_mov_b32_e32 v18, 0
	v_lshrrev_b32_e32 v152, 16, v143
	v_mov_b32_e32 v19, 0
	s_mov_b32 s10, exec_lo
	v_and_b32_e32 v6, 0xff, v152
	s_delay_alu instid0(VALU_DEP_2) | instskip(NEXT) | instid1(VALU_DEP_2)
	v_dual_mov_b32 v16, v18 :: v_dual_mov_b32 v17, v19
	v_cmpx_ne_u16_e32 0, v6
	s_cbranch_execz .LBB264_1873
; %bb.1866:                             ;   in Loop: Header=BB264_998 Depth=1
	v_bfrev_b32_e32 v16, 1
	v_mov_b32_e32 v17, 0
	s_mov_b32 s13, exec_lo
	v_cmpx_ne_u16_e32 0x80, v6
	s_cbranch_execz .LBB264_1872
; %bb.1867:                             ;   in Loop: Header=BB264_998 Depth=1
	v_mov_b32_e32 v16, 0x7f800001
	v_bfe_u32 v153, v143, 16, 7
	v_mov_b32_e32 v17, 0
	s_mov_b32 s15, exec_lo
	s_delay_alu instid0(VALU_DEP_2)
	v_cmpx_ne_u32_e32 0x7f, v153
	s_cbranch_execz .LBB264_1871
; %bb.1868:                             ;   in Loop: Header=BB264_998 Depth=1
	v_and_b32_e32 v6, 7, v152
	v_lshrrev_b32_e32 v16, 3, v153
	s_mov_b32 s16, exec_lo
	v_cmpx_gt_u32_e32 8, v153
; %bb.1869:                             ;   in Loop: Header=BB264_998 Depth=1
	s_delay_alu instid0(VALU_DEP_3) | instskip(NEXT) | instid1(VALU_DEP_1)
	v_clz_i32_u32_e32 v16, v6
	v_min_u32_e32 v16, 32, v16
	s_delay_alu instid0(VALU_DEP_1) | instskip(SKIP_1) | instid1(VALU_DEP_2)
	v_subrev_nc_u32_e32 v17, 28, v16
	v_sub_nc_u32_e32 v16, 29, v16
	v_lshlrev_b64 v[153:154], v17, v[6:7]
	s_delay_alu instid0(VALU_DEP_1)
	v_and_b32_e32 v6, 7, v153
; %bb.1870:                             ;   in Loop: Header=BB264_998 Depth=1
	s_or_b32 exec_lo, exec_lo, s16
	v_lshlrev_b32_e32 v17, 24, v152
	s_delay_alu instid0(VALU_DEP_2) | instskip(SKIP_1) | instid1(VALU_DEP_3)
	v_lshlrev_b32_e32 v6, 20, v6
	v_lshl_add_u32 v16, v16, 23, 0x3c000000
	v_and_b32_e32 v17, 0x80000000, v17
	s_delay_alu instid0(VALU_DEP_1) | instskip(NEXT) | instid1(VALU_DEP_1)
	v_or3_b32 v6, v6, v17, v16
	v_dual_mov_b32 v17, v7 :: v_dual_mov_b32 v16, v6
.LBB264_1871:                           ;   in Loop: Header=BB264_998 Depth=1
	s_or_b32 exec_lo, exec_lo, s15
.LBB264_1872:                           ;   in Loop: Header=BB264_998 Depth=1
	s_delay_alu instid0(SALU_CYCLE_1)
	s_or_b32 exec_lo, exec_lo, s13
.LBB264_1873:                           ;   in Loop: Header=BB264_998 Depth=1
	s_delay_alu instid0(SALU_CYCLE_1) | instskip(NEXT) | instid1(SALU_CYCLE_1)
	s_or_b32 exec_lo, exec_lo, s10
	s_mov_b32 s13, exec_lo
	v_cmpx_lt_u32_e32 0xffffff, v143
	s_cbranch_execz .LBB264_1881
; %bb.1874:                             ;   in Loop: Header=BB264_998 Depth=1
	v_lshrrev_b32_e32 v152, 24, v143
	v_dual_mov_b32 v19, s9 :: v_dual_mov_b32 v18, s8
	s_mov_b32 s15, exec_lo
	s_delay_alu instid0(VALU_DEP_2)
	v_cmpx_ne_u32_e32 0x80, v152
	s_cbranch_execz .LBB264_1880
; %bb.1875:                             ;   in Loop: Header=BB264_998 Depth=1
	s_mov_b32 s10, s8
	v_bfe_u32 v143, v143, 24, 7
	v_dual_mov_b32 v19, s11 :: v_dual_mov_b32 v18, s10
	s_mov_b32 s10, exec_lo
	s_delay_alu instid0(VALU_DEP_2)
	v_cmpx_ne_u32_e32 0x7f, v143
	s_cbranch_execz .LBB264_1879
; %bb.1876:                             ;   in Loop: Header=BB264_998 Depth=1
	v_and_b32_e32 v6, 7, v152
	v_lshrrev_b32_e32 v18, 3, v143
	s_mov_b32 s16, exec_lo
	v_cmpx_gt_u32_e32 8, v143
; %bb.1877:                             ;   in Loop: Header=BB264_998 Depth=1
	s_delay_alu instid0(VALU_DEP_3) | instskip(NEXT) | instid1(VALU_DEP_1)
	v_clz_i32_u32_e32 v18, v6
	v_min_u32_e32 v18, 32, v18
	s_delay_alu instid0(VALU_DEP_1) | instskip(SKIP_1) | instid1(VALU_DEP_2)
	v_subrev_nc_u32_e32 v19, 28, v18
	v_sub_nc_u32_e32 v18, 29, v18
	v_lshlrev_b64 v[153:154], v19, v[6:7]
	s_delay_alu instid0(VALU_DEP_1)
	v_and_b32_e32 v6, 7, v153
; %bb.1878:                             ;   in Loop: Header=BB264_998 Depth=1
	s_or_b32 exec_lo, exec_lo, s16
	v_lshlrev_b32_e32 v19, 24, v152
	s_delay_alu instid0(VALU_DEP_2) | instskip(SKIP_1) | instid1(VALU_DEP_3)
	v_lshlrev_b32_e32 v6, 20, v6
	v_lshl_add_u32 v18, v18, 23, 0x3c000000
	v_and_b32_e32 v19, 0x80000000, v19
	s_delay_alu instid0(VALU_DEP_1)
	v_or3_b32 v19, v6, v19, v18
	v_mov_b32_e32 v18, v7
.LBB264_1879:                           ;   in Loop: Header=BB264_998 Depth=1
	s_or_b32 exec_lo, exec_lo, s10
.LBB264_1880:                           ;   in Loop: Header=BB264_998 Depth=1
	s_delay_alu instid0(SALU_CYCLE_1)
	s_or_b32 exec_lo, exec_lo, s15
.LBB264_1881:                           ;   in Loop: Header=BB264_998 Depth=1
	s_delay_alu instid0(SALU_CYCLE_1) | instskip(SKIP_4) | instid1(VALU_DEP_4)
	s_or_b32 exec_lo, exec_lo, s13
	v_or_b32_e32 v5, v15, v5
	v_or_b32_e32 v4, v14, v4
	;; [unrolled: 1-line block ×4, first 2 shown]
	v_mul_f32_e32 v154, v85, v5
	s_delay_alu instid0(VALU_DEP_4) | instskip(NEXT) | instid1(VALU_DEP_4)
	v_mul_f32_e32 v153, v85, v4
	v_mul_f32_e32 v143, v85, v6
	s_delay_alu instid0(VALU_DEP_4)
	v_mul_f32_e32 v152, v85, v14
	s_and_saveexec_b32 s10, vcc_lo
; %bb.1882:                             ;   in Loop: Header=BB264_998 Depth=1
	v_cmp_lt_i32_e64 s0, v98, v22
	s_delay_alu instid0(VALU_DEP_1) | instskip(SKIP_1) | instid1(VALU_DEP_1)
	v_cndmask_b32_e64 v153, 0, v153, s0
	v_cmp_lt_i32_e64 s0, v101, v22
	v_cndmask_b32_e64 v154, 0, v154, s0
	v_cmp_lt_i32_e64 s0, v100, v22
	s_delay_alu instid0(VALU_DEP_1) | instskip(SKIP_1) | instid1(VALU_DEP_1)
	v_cndmask_b32_e64 v152, 0, v152, s0
	v_cmp_lt_i32_e64 s0, v99, v22
	v_cndmask_b32_e64 v143, 0, v143, s0
; %bb.1883:                             ;   in Loop: Header=BB264_998 Depth=1
	s_or_b32 exec_lo, exec_lo, s10
	flat_load_b32 v155, v[12:13] offset:3328
	v_mov_b32_e32 v14, 0
	v_mov_b32_e32 v15, 0
	s_mov_b32 s10, exec_lo
	s_waitcnt vmcnt(0) lgkmcnt(0)
	v_and_b32_e32 v6, 0xff, v155
	s_delay_alu instid0(VALU_DEP_2) | instskip(NEXT) | instid1(VALU_DEP_2)
	v_dual_mov_b32 v4, v14 :: v_dual_mov_b32 v5, v15
	v_cmpx_ne_u16_e32 0, v6
	s_cbranch_execz .LBB264_1891
; %bb.1884:                             ;   in Loop: Header=BB264_998 Depth=1
	v_bfrev_b32_e32 v4, 1
	v_mov_b32_e32 v5, 0
	s_mov_b32 s13, exec_lo
	v_cmpx_ne_u16_e32 0x80, v6
	s_cbranch_execz .LBB264_1890
; %bb.1885:                             ;   in Loop: Header=BB264_998 Depth=1
	v_mov_b32_e32 v4, 0x7f800001
	v_dual_mov_b32 v5, 0 :: v_dual_and_b32 v16, 0x7f, v155
	s_mov_b32 s15, exec_lo
	s_delay_alu instid0(VALU_DEP_1)
	v_cmpx_ne_u32_e32 0x7f, v16
	s_cbranch_execz .LBB264_1889
; %bb.1886:                             ;   in Loop: Header=BB264_998 Depth=1
	v_and_b32_e32 v6, 7, v155
	v_lshrrev_b32_e32 v4, 3, v16
	s_mov_b32 s16, exec_lo
	v_cmpx_gt_u32_e32 8, v16
; %bb.1887:                             ;   in Loop: Header=BB264_998 Depth=1
	s_delay_alu instid0(VALU_DEP_3) | instskip(NEXT) | instid1(VALU_DEP_1)
	v_clz_i32_u32_e32 v4, v6
	v_min_u32_e32 v4, 32, v4
	s_delay_alu instid0(VALU_DEP_1) | instskip(SKIP_1) | instid1(VALU_DEP_2)
	v_subrev_nc_u32_e32 v5, 28, v4
	v_sub_nc_u32_e32 v4, 29, v4
	v_lshlrev_b64 v[5:6], v5, v[6:7]
	s_delay_alu instid0(VALU_DEP_1)
	v_and_b32_e32 v6, 7, v5
; %bb.1888:                             ;   in Loop: Header=BB264_998 Depth=1
	s_or_b32 exec_lo, exec_lo, s16
	v_lshlrev_b32_e32 v5, 24, v155
	s_delay_alu instid0(VALU_DEP_2) | instskip(SKIP_1) | instid1(VALU_DEP_3)
	v_lshlrev_b32_e32 v6, 20, v6
	v_lshl_add_u32 v4, v4, 23, 0x3c000000
	v_and_b32_e32 v5, 0x80000000, v5
	s_delay_alu instid0(VALU_DEP_1) | instskip(NEXT) | instid1(VALU_DEP_1)
	v_or3_b32 v6, v6, v5, v4
	v_dual_mov_b32 v4, v6 :: v_dual_mov_b32 v5, v7
.LBB264_1889:                           ;   in Loop: Header=BB264_998 Depth=1
	s_or_b32 exec_lo, exec_lo, s15
.LBB264_1890:                           ;   in Loop: Header=BB264_998 Depth=1
	s_delay_alu instid0(SALU_CYCLE_1)
	s_or_b32 exec_lo, exec_lo, s13
.LBB264_1891:                           ;   in Loop: Header=BB264_998 Depth=1
	s_delay_alu instid0(SALU_CYCLE_1) | instskip(SKIP_2) | instid1(VALU_DEP_1)
	s_or_b32 exec_lo, exec_lo, s10
	v_lshrrev_b16 v6, 8, v155
	s_mov_b32 s13, exec_lo
	v_cmpx_ne_u16_e32 0, v6
	s_cbranch_execz .LBB264_1899
; %bb.1892:                             ;   in Loop: Header=BB264_998 Depth=1
	v_dual_mov_b32 v15, s9 :: v_dual_mov_b32 v14, s8
	s_mov_b32 s15, exec_lo
	v_cmpx_ne_u16_e32 0x80, v6
	s_cbranch_execz .LBB264_1898
; %bb.1893:                             ;   in Loop: Header=BB264_998 Depth=1
	s_mov_b32 s10, s8
	v_dual_mov_b32 v15, s11 :: v_dual_and_b32 v6, 0xffff, v6
	v_mov_b32_e32 v14, s10
	s_mov_b32 s10, exec_lo
	s_delay_alu instid0(VALU_DEP_2) | instskip(NEXT) | instid1(VALU_DEP_1)
	v_and_b32_e32 v16, 0x7f, v6
	v_cmpx_ne_u32_e32 0x7f, v16
	s_cbranch_execz .LBB264_1897
; %bb.1894:                             ;   in Loop: Header=BB264_998 Depth=1
	v_and_b32_e32 v6, 7, v6
	v_lshrrev_b32_e32 v14, 3, v16
	s_mov_b32 s16, exec_lo
	v_cmpx_gt_u32_e32 8, v16
; %bb.1895:                             ;   in Loop: Header=BB264_998 Depth=1
	s_delay_alu instid0(VALU_DEP_3) | instskip(NEXT) | instid1(VALU_DEP_1)
	v_clz_i32_u32_e32 v14, v6
	v_min_u32_e32 v14, 32, v14
	s_delay_alu instid0(VALU_DEP_1) | instskip(SKIP_1) | instid1(VALU_DEP_2)
	v_subrev_nc_u32_e32 v15, 28, v14
	v_sub_nc_u32_e32 v14, 29, v14
	v_lshlrev_b64 v[15:16], v15, v[6:7]
	s_delay_alu instid0(VALU_DEP_1)
	v_and_b32_e32 v6, 7, v15
; %bb.1896:                             ;   in Loop: Header=BB264_998 Depth=1
	s_or_b32 exec_lo, exec_lo, s16
	v_lshlrev_b32_e32 v15, 16, v155
	s_delay_alu instid0(VALU_DEP_2) | instskip(SKIP_1) | instid1(VALU_DEP_3)
	v_lshlrev_b32_e32 v6, 20, v6
	v_lshl_add_u32 v14, v14, 23, 0x3c000000
	v_and_b32_e32 v15, 0x80000000, v15
	s_delay_alu instid0(VALU_DEP_1)
	v_or3_b32 v15, v6, v15, v14
	v_mov_b32_e32 v14, v7
.LBB264_1897:                           ;   in Loop: Header=BB264_998 Depth=1
	s_or_b32 exec_lo, exec_lo, s10
.LBB264_1898:                           ;   in Loop: Header=BB264_998 Depth=1
	s_delay_alu instid0(SALU_CYCLE_1)
	s_or_b32 exec_lo, exec_lo, s15
.LBB264_1899:                           ;   in Loop: Header=BB264_998 Depth=1
	s_delay_alu instid0(SALU_CYCLE_1) | instskip(SKIP_4) | instid1(VALU_DEP_2)
	s_or_b32 exec_lo, exec_lo, s13
	v_mov_b32_e32 v18, 0
	v_lshrrev_b32_e32 v156, 16, v155
	v_mov_b32_e32 v19, 0
	s_mov_b32 s10, exec_lo
	v_and_b32_e32 v6, 0xff, v156
	s_delay_alu instid0(VALU_DEP_2) | instskip(NEXT) | instid1(VALU_DEP_2)
	v_dual_mov_b32 v16, v18 :: v_dual_mov_b32 v17, v19
	v_cmpx_ne_u16_e32 0, v6
	s_cbranch_execz .LBB264_1907
; %bb.1900:                             ;   in Loop: Header=BB264_998 Depth=1
	v_bfrev_b32_e32 v16, 1
	v_mov_b32_e32 v17, 0
	s_mov_b32 s13, exec_lo
	v_cmpx_ne_u16_e32 0x80, v6
	s_cbranch_execz .LBB264_1906
; %bb.1901:                             ;   in Loop: Header=BB264_998 Depth=1
	v_mov_b32_e32 v16, 0x7f800001
	v_bfe_u32 v157, v155, 16, 7
	v_mov_b32_e32 v17, 0
	s_mov_b32 s15, exec_lo
	s_delay_alu instid0(VALU_DEP_2)
	v_cmpx_ne_u32_e32 0x7f, v157
	s_cbranch_execz .LBB264_1905
; %bb.1902:                             ;   in Loop: Header=BB264_998 Depth=1
	v_and_b32_e32 v6, 7, v156
	v_lshrrev_b32_e32 v16, 3, v157
	s_mov_b32 s16, exec_lo
	v_cmpx_gt_u32_e32 8, v157
; %bb.1903:                             ;   in Loop: Header=BB264_998 Depth=1
	s_delay_alu instid0(VALU_DEP_3) | instskip(NEXT) | instid1(VALU_DEP_1)
	v_clz_i32_u32_e32 v16, v6
	v_min_u32_e32 v16, 32, v16
	s_delay_alu instid0(VALU_DEP_1) | instskip(SKIP_1) | instid1(VALU_DEP_2)
	v_subrev_nc_u32_e32 v17, 28, v16
	v_sub_nc_u32_e32 v16, 29, v16
	v_lshlrev_b64 v[157:158], v17, v[6:7]
	s_delay_alu instid0(VALU_DEP_1)
	v_and_b32_e32 v6, 7, v157
; %bb.1904:                             ;   in Loop: Header=BB264_998 Depth=1
	s_or_b32 exec_lo, exec_lo, s16
	v_lshlrev_b32_e32 v17, 24, v156
	s_delay_alu instid0(VALU_DEP_2) | instskip(SKIP_1) | instid1(VALU_DEP_3)
	v_lshlrev_b32_e32 v6, 20, v6
	v_lshl_add_u32 v16, v16, 23, 0x3c000000
	v_and_b32_e32 v17, 0x80000000, v17
	s_delay_alu instid0(VALU_DEP_1) | instskip(NEXT) | instid1(VALU_DEP_1)
	v_or3_b32 v6, v6, v17, v16
	v_dual_mov_b32 v17, v7 :: v_dual_mov_b32 v16, v6
.LBB264_1905:                           ;   in Loop: Header=BB264_998 Depth=1
	s_or_b32 exec_lo, exec_lo, s15
.LBB264_1906:                           ;   in Loop: Header=BB264_998 Depth=1
	s_delay_alu instid0(SALU_CYCLE_1)
	s_or_b32 exec_lo, exec_lo, s13
.LBB264_1907:                           ;   in Loop: Header=BB264_998 Depth=1
	s_delay_alu instid0(SALU_CYCLE_1) | instskip(NEXT) | instid1(SALU_CYCLE_1)
	s_or_b32 exec_lo, exec_lo, s10
	s_mov_b32 s13, exec_lo
	v_cmpx_lt_u32_e32 0xffffff, v155
	s_cbranch_execz .LBB264_1915
; %bb.1908:                             ;   in Loop: Header=BB264_998 Depth=1
	v_lshrrev_b32_e32 v156, 24, v155
	v_dual_mov_b32 v19, s9 :: v_dual_mov_b32 v18, s8
	s_mov_b32 s15, exec_lo
	s_delay_alu instid0(VALU_DEP_2)
	v_cmpx_ne_u32_e32 0x80, v156
	s_cbranch_execz .LBB264_1914
; %bb.1909:                             ;   in Loop: Header=BB264_998 Depth=1
	s_mov_b32 s10, s8
	v_bfe_u32 v155, v155, 24, 7
	v_dual_mov_b32 v19, s11 :: v_dual_mov_b32 v18, s10
	s_mov_b32 s10, exec_lo
	s_delay_alu instid0(VALU_DEP_2)
	v_cmpx_ne_u32_e32 0x7f, v155
	s_cbranch_execz .LBB264_1913
; %bb.1910:                             ;   in Loop: Header=BB264_998 Depth=1
	v_and_b32_e32 v6, 7, v156
	v_lshrrev_b32_e32 v18, 3, v155
	s_mov_b32 s16, exec_lo
	v_cmpx_gt_u32_e32 8, v155
; %bb.1911:                             ;   in Loop: Header=BB264_998 Depth=1
	s_delay_alu instid0(VALU_DEP_3) | instskip(NEXT) | instid1(VALU_DEP_1)
	v_clz_i32_u32_e32 v18, v6
	v_min_u32_e32 v18, 32, v18
	s_delay_alu instid0(VALU_DEP_1) | instskip(SKIP_1) | instid1(VALU_DEP_2)
	v_subrev_nc_u32_e32 v19, 28, v18
	v_sub_nc_u32_e32 v18, 29, v18
	v_lshlrev_b64 v[157:158], v19, v[6:7]
	s_delay_alu instid0(VALU_DEP_1)
	v_and_b32_e32 v6, 7, v157
; %bb.1912:                             ;   in Loop: Header=BB264_998 Depth=1
	s_or_b32 exec_lo, exec_lo, s16
	v_lshlrev_b32_e32 v19, 24, v156
	s_delay_alu instid0(VALU_DEP_2) | instskip(SKIP_1) | instid1(VALU_DEP_3)
	v_lshlrev_b32_e32 v6, 20, v6
	v_lshl_add_u32 v18, v18, 23, 0x3c000000
	v_and_b32_e32 v19, 0x80000000, v19
	s_delay_alu instid0(VALU_DEP_1)
	v_or3_b32 v19, v6, v19, v18
	v_mov_b32_e32 v18, v7
.LBB264_1913:                           ;   in Loop: Header=BB264_998 Depth=1
	s_or_b32 exec_lo, exec_lo, s10
.LBB264_1914:                           ;   in Loop: Header=BB264_998 Depth=1
	s_delay_alu instid0(SALU_CYCLE_1)
	s_or_b32 exec_lo, exec_lo, s15
.LBB264_1915:                           ;   in Loop: Header=BB264_998 Depth=1
	s_delay_alu instid0(SALU_CYCLE_1) | instskip(SKIP_4) | instid1(VALU_DEP_4)
	s_or_b32 exec_lo, exec_lo, s13
	v_or_b32_e32 v5, v15, v5
	v_or_b32_e32 v4, v14, v4
	;; [unrolled: 1-line block ×4, first 2 shown]
	v_mul_f32_e32 v158, v85, v5
	s_delay_alu instid0(VALU_DEP_4) | instskip(NEXT) | instid1(VALU_DEP_4)
	v_mul_f32_e32 v157, v85, v4
	v_mul_f32_e32 v155, v85, v6
	s_delay_alu instid0(VALU_DEP_4)
	v_mul_f32_e32 v156, v85, v14
	s_and_saveexec_b32 s10, vcc_lo
; %bb.1916:                             ;   in Loop: Header=BB264_998 Depth=1
	v_cmp_lt_i32_e64 s0, v98, v22
	s_delay_alu instid0(VALU_DEP_1) | instskip(SKIP_1) | instid1(VALU_DEP_1)
	v_cndmask_b32_e64 v157, 0, v157, s0
	v_cmp_lt_i32_e64 s0, v101, v22
	v_cndmask_b32_e64 v158, 0, v158, s0
	v_cmp_lt_i32_e64 s0, v100, v22
	s_delay_alu instid0(VALU_DEP_1) | instskip(SKIP_1) | instid1(VALU_DEP_1)
	v_cndmask_b32_e64 v156, 0, v156, s0
	v_cmp_lt_i32_e64 s0, v99, v22
	v_cndmask_b32_e64 v155, 0, v155, s0
; %bb.1917:                             ;   in Loop: Header=BB264_998 Depth=1
	s_or_b32 exec_lo, exec_lo, s10
	flat_load_b32 v159, v[12:13] offset:3456
	v_mov_b32_e32 v14, 0
	v_mov_b32_e32 v15, 0
	s_mov_b32 s10, exec_lo
	s_waitcnt vmcnt(0) lgkmcnt(0)
	v_and_b32_e32 v6, 0xff, v159
	s_delay_alu instid0(VALU_DEP_2) | instskip(NEXT) | instid1(VALU_DEP_2)
	v_dual_mov_b32 v4, v14 :: v_dual_mov_b32 v5, v15
	v_cmpx_ne_u16_e32 0, v6
	s_cbranch_execz .LBB264_1925
; %bb.1918:                             ;   in Loop: Header=BB264_998 Depth=1
	v_bfrev_b32_e32 v4, 1
	v_mov_b32_e32 v5, 0
	s_mov_b32 s13, exec_lo
	v_cmpx_ne_u16_e32 0x80, v6
	s_cbranch_execz .LBB264_1924
; %bb.1919:                             ;   in Loop: Header=BB264_998 Depth=1
	v_mov_b32_e32 v4, 0x7f800001
	v_dual_mov_b32 v5, 0 :: v_dual_and_b32 v16, 0x7f, v159
	s_mov_b32 s15, exec_lo
	s_delay_alu instid0(VALU_DEP_1)
	v_cmpx_ne_u32_e32 0x7f, v16
	s_cbranch_execz .LBB264_1923
; %bb.1920:                             ;   in Loop: Header=BB264_998 Depth=1
	v_and_b32_e32 v6, 7, v159
	v_lshrrev_b32_e32 v4, 3, v16
	s_mov_b32 s16, exec_lo
	v_cmpx_gt_u32_e32 8, v16
; %bb.1921:                             ;   in Loop: Header=BB264_998 Depth=1
	s_delay_alu instid0(VALU_DEP_3) | instskip(NEXT) | instid1(VALU_DEP_1)
	v_clz_i32_u32_e32 v4, v6
	v_min_u32_e32 v4, 32, v4
	s_delay_alu instid0(VALU_DEP_1) | instskip(SKIP_1) | instid1(VALU_DEP_2)
	v_subrev_nc_u32_e32 v5, 28, v4
	v_sub_nc_u32_e32 v4, 29, v4
	v_lshlrev_b64 v[5:6], v5, v[6:7]
	s_delay_alu instid0(VALU_DEP_1)
	v_and_b32_e32 v6, 7, v5
; %bb.1922:                             ;   in Loop: Header=BB264_998 Depth=1
	s_or_b32 exec_lo, exec_lo, s16
	v_lshlrev_b32_e32 v5, 24, v159
	s_delay_alu instid0(VALU_DEP_2) | instskip(SKIP_1) | instid1(VALU_DEP_3)
	v_lshlrev_b32_e32 v6, 20, v6
	v_lshl_add_u32 v4, v4, 23, 0x3c000000
	v_and_b32_e32 v5, 0x80000000, v5
	s_delay_alu instid0(VALU_DEP_1) | instskip(NEXT) | instid1(VALU_DEP_1)
	v_or3_b32 v6, v6, v5, v4
	v_dual_mov_b32 v4, v6 :: v_dual_mov_b32 v5, v7
.LBB264_1923:                           ;   in Loop: Header=BB264_998 Depth=1
	s_or_b32 exec_lo, exec_lo, s15
.LBB264_1924:                           ;   in Loop: Header=BB264_998 Depth=1
	s_delay_alu instid0(SALU_CYCLE_1)
	s_or_b32 exec_lo, exec_lo, s13
.LBB264_1925:                           ;   in Loop: Header=BB264_998 Depth=1
	s_delay_alu instid0(SALU_CYCLE_1) | instskip(SKIP_2) | instid1(VALU_DEP_1)
	s_or_b32 exec_lo, exec_lo, s10
	v_lshrrev_b16 v6, 8, v159
	s_mov_b32 s13, exec_lo
	v_cmpx_ne_u16_e32 0, v6
	s_cbranch_execz .LBB264_1933
; %bb.1926:                             ;   in Loop: Header=BB264_998 Depth=1
	v_dual_mov_b32 v15, s9 :: v_dual_mov_b32 v14, s8
	s_mov_b32 s15, exec_lo
	v_cmpx_ne_u16_e32 0x80, v6
	s_cbranch_execz .LBB264_1932
; %bb.1927:                             ;   in Loop: Header=BB264_998 Depth=1
	s_mov_b32 s10, s8
	v_dual_mov_b32 v15, s11 :: v_dual_and_b32 v6, 0xffff, v6
	v_mov_b32_e32 v14, s10
	s_mov_b32 s10, exec_lo
	s_delay_alu instid0(VALU_DEP_2) | instskip(NEXT) | instid1(VALU_DEP_1)
	v_and_b32_e32 v16, 0x7f, v6
	v_cmpx_ne_u32_e32 0x7f, v16
	s_cbranch_execz .LBB264_1931
; %bb.1928:                             ;   in Loop: Header=BB264_998 Depth=1
	v_and_b32_e32 v6, 7, v6
	v_lshrrev_b32_e32 v14, 3, v16
	s_mov_b32 s16, exec_lo
	v_cmpx_gt_u32_e32 8, v16
; %bb.1929:                             ;   in Loop: Header=BB264_998 Depth=1
	s_delay_alu instid0(VALU_DEP_3) | instskip(NEXT) | instid1(VALU_DEP_1)
	v_clz_i32_u32_e32 v14, v6
	v_min_u32_e32 v14, 32, v14
	s_delay_alu instid0(VALU_DEP_1) | instskip(SKIP_1) | instid1(VALU_DEP_2)
	v_subrev_nc_u32_e32 v15, 28, v14
	v_sub_nc_u32_e32 v14, 29, v14
	v_lshlrev_b64 v[15:16], v15, v[6:7]
	s_delay_alu instid0(VALU_DEP_1)
	v_and_b32_e32 v6, 7, v15
; %bb.1930:                             ;   in Loop: Header=BB264_998 Depth=1
	s_or_b32 exec_lo, exec_lo, s16
	v_lshlrev_b32_e32 v15, 16, v159
	s_delay_alu instid0(VALU_DEP_2) | instskip(SKIP_1) | instid1(VALU_DEP_3)
	v_lshlrev_b32_e32 v6, 20, v6
	v_lshl_add_u32 v14, v14, 23, 0x3c000000
	v_and_b32_e32 v15, 0x80000000, v15
	s_delay_alu instid0(VALU_DEP_1)
	v_or3_b32 v15, v6, v15, v14
	v_mov_b32_e32 v14, v7
.LBB264_1931:                           ;   in Loop: Header=BB264_998 Depth=1
	s_or_b32 exec_lo, exec_lo, s10
.LBB264_1932:                           ;   in Loop: Header=BB264_998 Depth=1
	s_delay_alu instid0(SALU_CYCLE_1)
	s_or_b32 exec_lo, exec_lo, s15
.LBB264_1933:                           ;   in Loop: Header=BB264_998 Depth=1
	s_delay_alu instid0(SALU_CYCLE_1) | instskip(SKIP_4) | instid1(VALU_DEP_2)
	s_or_b32 exec_lo, exec_lo, s13
	v_mov_b32_e32 v18, 0
	v_lshrrev_b32_e32 v168, 16, v159
	v_mov_b32_e32 v19, 0
	s_mov_b32 s10, exec_lo
	v_and_b32_e32 v6, 0xff, v168
	s_delay_alu instid0(VALU_DEP_2) | instskip(NEXT) | instid1(VALU_DEP_2)
	v_dual_mov_b32 v16, v18 :: v_dual_mov_b32 v17, v19
	v_cmpx_ne_u16_e32 0, v6
	s_cbranch_execz .LBB264_1941
; %bb.1934:                             ;   in Loop: Header=BB264_998 Depth=1
	v_bfrev_b32_e32 v16, 1
	v_mov_b32_e32 v17, 0
	s_mov_b32 s13, exec_lo
	v_cmpx_ne_u16_e32 0x80, v6
	s_cbranch_execz .LBB264_1940
; %bb.1935:                             ;   in Loop: Header=BB264_998 Depth=1
	v_mov_b32_e32 v16, 0x7f800001
	v_bfe_u32 v169, v159, 16, 7
	v_mov_b32_e32 v17, 0
	s_mov_b32 s15, exec_lo
	s_delay_alu instid0(VALU_DEP_2)
	v_cmpx_ne_u32_e32 0x7f, v169
	s_cbranch_execz .LBB264_1939
; %bb.1936:                             ;   in Loop: Header=BB264_998 Depth=1
	v_and_b32_e32 v6, 7, v168
	v_lshrrev_b32_e32 v16, 3, v169
	s_mov_b32 s16, exec_lo
	v_cmpx_gt_u32_e32 8, v169
; %bb.1937:                             ;   in Loop: Header=BB264_998 Depth=1
	s_delay_alu instid0(VALU_DEP_3) | instskip(NEXT) | instid1(VALU_DEP_1)
	v_clz_i32_u32_e32 v16, v6
	v_min_u32_e32 v16, 32, v16
	s_delay_alu instid0(VALU_DEP_1) | instskip(SKIP_1) | instid1(VALU_DEP_2)
	v_subrev_nc_u32_e32 v17, 28, v16
	v_sub_nc_u32_e32 v16, 29, v16
	v_lshlrev_b64 v[169:170], v17, v[6:7]
	s_delay_alu instid0(VALU_DEP_1)
	v_and_b32_e32 v6, 7, v169
; %bb.1938:                             ;   in Loop: Header=BB264_998 Depth=1
	s_or_b32 exec_lo, exec_lo, s16
	v_lshlrev_b32_e32 v17, 24, v168
	s_delay_alu instid0(VALU_DEP_2) | instskip(SKIP_1) | instid1(VALU_DEP_3)
	v_lshlrev_b32_e32 v6, 20, v6
	v_lshl_add_u32 v16, v16, 23, 0x3c000000
	v_and_b32_e32 v17, 0x80000000, v17
	s_delay_alu instid0(VALU_DEP_1) | instskip(NEXT) | instid1(VALU_DEP_1)
	v_or3_b32 v6, v6, v17, v16
	v_dual_mov_b32 v17, v7 :: v_dual_mov_b32 v16, v6
.LBB264_1939:                           ;   in Loop: Header=BB264_998 Depth=1
	s_or_b32 exec_lo, exec_lo, s15
.LBB264_1940:                           ;   in Loop: Header=BB264_998 Depth=1
	s_delay_alu instid0(SALU_CYCLE_1)
	s_or_b32 exec_lo, exec_lo, s13
.LBB264_1941:                           ;   in Loop: Header=BB264_998 Depth=1
	s_delay_alu instid0(SALU_CYCLE_1) | instskip(NEXT) | instid1(SALU_CYCLE_1)
	s_or_b32 exec_lo, exec_lo, s10
	s_mov_b32 s13, exec_lo
	v_cmpx_lt_u32_e32 0xffffff, v159
	s_cbranch_execz .LBB264_1949
; %bb.1942:                             ;   in Loop: Header=BB264_998 Depth=1
	v_lshrrev_b32_e32 v168, 24, v159
	v_dual_mov_b32 v19, s9 :: v_dual_mov_b32 v18, s8
	s_mov_b32 s15, exec_lo
	s_delay_alu instid0(VALU_DEP_2)
	v_cmpx_ne_u32_e32 0x80, v168
	s_cbranch_execz .LBB264_1948
; %bb.1943:                             ;   in Loop: Header=BB264_998 Depth=1
	s_mov_b32 s10, s8
	v_bfe_u32 v159, v159, 24, 7
	v_dual_mov_b32 v19, s11 :: v_dual_mov_b32 v18, s10
	s_mov_b32 s10, exec_lo
	s_delay_alu instid0(VALU_DEP_2)
	v_cmpx_ne_u32_e32 0x7f, v159
	s_cbranch_execz .LBB264_1947
; %bb.1944:                             ;   in Loop: Header=BB264_998 Depth=1
	v_and_b32_e32 v6, 7, v168
	v_lshrrev_b32_e32 v18, 3, v159
	s_mov_b32 s16, exec_lo
	v_cmpx_gt_u32_e32 8, v159
; %bb.1945:                             ;   in Loop: Header=BB264_998 Depth=1
	s_delay_alu instid0(VALU_DEP_3) | instskip(NEXT) | instid1(VALU_DEP_1)
	v_clz_i32_u32_e32 v18, v6
	v_min_u32_e32 v18, 32, v18
	s_delay_alu instid0(VALU_DEP_1) | instskip(SKIP_1) | instid1(VALU_DEP_2)
	v_subrev_nc_u32_e32 v19, 28, v18
	v_sub_nc_u32_e32 v18, 29, v18
	v_lshlrev_b64 v[169:170], v19, v[6:7]
	s_delay_alu instid0(VALU_DEP_1)
	v_and_b32_e32 v6, 7, v169
; %bb.1946:                             ;   in Loop: Header=BB264_998 Depth=1
	s_or_b32 exec_lo, exec_lo, s16
	v_lshlrev_b32_e32 v19, 24, v168
	s_delay_alu instid0(VALU_DEP_2) | instskip(SKIP_1) | instid1(VALU_DEP_3)
	v_lshlrev_b32_e32 v6, 20, v6
	v_lshl_add_u32 v18, v18, 23, 0x3c000000
	v_and_b32_e32 v19, 0x80000000, v19
	s_delay_alu instid0(VALU_DEP_1)
	v_or3_b32 v19, v6, v19, v18
	v_mov_b32_e32 v18, v7
.LBB264_1947:                           ;   in Loop: Header=BB264_998 Depth=1
	s_or_b32 exec_lo, exec_lo, s10
.LBB264_1948:                           ;   in Loop: Header=BB264_998 Depth=1
	s_delay_alu instid0(SALU_CYCLE_1)
	s_or_b32 exec_lo, exec_lo, s15
.LBB264_1949:                           ;   in Loop: Header=BB264_998 Depth=1
	s_delay_alu instid0(SALU_CYCLE_1) | instskip(SKIP_4) | instid1(VALU_DEP_4)
	s_or_b32 exec_lo, exec_lo, s13
	v_or_b32_e32 v5, v15, v5
	v_or_b32_e32 v4, v14, v4
	;; [unrolled: 1-line block ×4, first 2 shown]
	v_mul_f32_e32 v170, v85, v5
	s_delay_alu instid0(VALU_DEP_4) | instskip(NEXT) | instid1(VALU_DEP_4)
	v_mul_f32_e32 v169, v85, v4
	v_mul_f32_e32 v159, v85, v6
	s_delay_alu instid0(VALU_DEP_4)
	v_mul_f32_e32 v168, v85, v14
	s_and_saveexec_b32 s10, vcc_lo
; %bb.1950:                             ;   in Loop: Header=BB264_998 Depth=1
	v_cmp_lt_i32_e64 s0, v98, v22
	s_delay_alu instid0(VALU_DEP_1) | instskip(SKIP_1) | instid1(VALU_DEP_1)
	v_cndmask_b32_e64 v169, 0, v169, s0
	v_cmp_lt_i32_e64 s0, v101, v22
	v_cndmask_b32_e64 v170, 0, v170, s0
	v_cmp_lt_i32_e64 s0, v100, v22
	s_delay_alu instid0(VALU_DEP_1) | instskip(SKIP_1) | instid1(VALU_DEP_1)
	v_cndmask_b32_e64 v168, 0, v168, s0
	v_cmp_lt_i32_e64 s0, v99, v22
	v_cndmask_b32_e64 v159, 0, v159, s0
; %bb.1951:                             ;   in Loop: Header=BB264_998 Depth=1
	s_or_b32 exec_lo, exec_lo, s10
	flat_load_b32 v171, v[12:13] offset:3584
	v_mov_b32_e32 v14, 0
	v_mov_b32_e32 v15, 0
	s_mov_b32 s10, exec_lo
	s_waitcnt vmcnt(0) lgkmcnt(0)
	v_and_b32_e32 v6, 0xff, v171
	s_delay_alu instid0(VALU_DEP_2) | instskip(NEXT) | instid1(VALU_DEP_2)
	v_dual_mov_b32 v4, v14 :: v_dual_mov_b32 v5, v15
	v_cmpx_ne_u16_e32 0, v6
	s_cbranch_execz .LBB264_1959
; %bb.1952:                             ;   in Loop: Header=BB264_998 Depth=1
	v_bfrev_b32_e32 v4, 1
	v_mov_b32_e32 v5, 0
	s_mov_b32 s13, exec_lo
	v_cmpx_ne_u16_e32 0x80, v6
	s_cbranch_execz .LBB264_1958
; %bb.1953:                             ;   in Loop: Header=BB264_998 Depth=1
	v_mov_b32_e32 v4, 0x7f800001
	v_dual_mov_b32 v5, 0 :: v_dual_and_b32 v16, 0x7f, v171
	s_mov_b32 s15, exec_lo
	s_delay_alu instid0(VALU_DEP_1)
	v_cmpx_ne_u32_e32 0x7f, v16
	s_cbranch_execz .LBB264_1957
; %bb.1954:                             ;   in Loop: Header=BB264_998 Depth=1
	v_and_b32_e32 v6, 7, v171
	v_lshrrev_b32_e32 v4, 3, v16
	s_mov_b32 s16, exec_lo
	v_cmpx_gt_u32_e32 8, v16
; %bb.1955:                             ;   in Loop: Header=BB264_998 Depth=1
	s_delay_alu instid0(VALU_DEP_3) | instskip(NEXT) | instid1(VALU_DEP_1)
	v_clz_i32_u32_e32 v4, v6
	v_min_u32_e32 v4, 32, v4
	s_delay_alu instid0(VALU_DEP_1) | instskip(SKIP_1) | instid1(VALU_DEP_2)
	v_subrev_nc_u32_e32 v5, 28, v4
	v_sub_nc_u32_e32 v4, 29, v4
	v_lshlrev_b64 v[5:6], v5, v[6:7]
	s_delay_alu instid0(VALU_DEP_1)
	v_and_b32_e32 v6, 7, v5
; %bb.1956:                             ;   in Loop: Header=BB264_998 Depth=1
	s_or_b32 exec_lo, exec_lo, s16
	v_lshlrev_b32_e32 v5, 24, v171
	s_delay_alu instid0(VALU_DEP_2) | instskip(SKIP_1) | instid1(VALU_DEP_3)
	v_lshlrev_b32_e32 v6, 20, v6
	v_lshl_add_u32 v4, v4, 23, 0x3c000000
	v_and_b32_e32 v5, 0x80000000, v5
	s_delay_alu instid0(VALU_DEP_1) | instskip(NEXT) | instid1(VALU_DEP_1)
	v_or3_b32 v6, v6, v5, v4
	v_dual_mov_b32 v4, v6 :: v_dual_mov_b32 v5, v7
.LBB264_1957:                           ;   in Loop: Header=BB264_998 Depth=1
	s_or_b32 exec_lo, exec_lo, s15
.LBB264_1958:                           ;   in Loop: Header=BB264_998 Depth=1
	s_delay_alu instid0(SALU_CYCLE_1)
	s_or_b32 exec_lo, exec_lo, s13
.LBB264_1959:                           ;   in Loop: Header=BB264_998 Depth=1
	s_delay_alu instid0(SALU_CYCLE_1) | instskip(SKIP_2) | instid1(VALU_DEP_1)
	s_or_b32 exec_lo, exec_lo, s10
	v_lshrrev_b16 v6, 8, v171
	s_mov_b32 s13, exec_lo
	v_cmpx_ne_u16_e32 0, v6
	s_cbranch_execz .LBB264_1967
; %bb.1960:                             ;   in Loop: Header=BB264_998 Depth=1
	v_dual_mov_b32 v15, s9 :: v_dual_mov_b32 v14, s8
	s_mov_b32 s15, exec_lo
	v_cmpx_ne_u16_e32 0x80, v6
	s_cbranch_execz .LBB264_1966
; %bb.1961:                             ;   in Loop: Header=BB264_998 Depth=1
	s_mov_b32 s10, s8
	v_dual_mov_b32 v15, s11 :: v_dual_and_b32 v6, 0xffff, v6
	v_mov_b32_e32 v14, s10
	s_mov_b32 s10, exec_lo
	s_delay_alu instid0(VALU_DEP_2) | instskip(NEXT) | instid1(VALU_DEP_1)
	v_and_b32_e32 v16, 0x7f, v6
	v_cmpx_ne_u32_e32 0x7f, v16
	s_cbranch_execz .LBB264_1965
; %bb.1962:                             ;   in Loop: Header=BB264_998 Depth=1
	v_and_b32_e32 v6, 7, v6
	v_lshrrev_b32_e32 v14, 3, v16
	s_mov_b32 s16, exec_lo
	v_cmpx_gt_u32_e32 8, v16
; %bb.1963:                             ;   in Loop: Header=BB264_998 Depth=1
	s_delay_alu instid0(VALU_DEP_3) | instskip(NEXT) | instid1(VALU_DEP_1)
	v_clz_i32_u32_e32 v14, v6
	v_min_u32_e32 v14, 32, v14
	s_delay_alu instid0(VALU_DEP_1) | instskip(SKIP_1) | instid1(VALU_DEP_2)
	v_subrev_nc_u32_e32 v15, 28, v14
	v_sub_nc_u32_e32 v14, 29, v14
	v_lshlrev_b64 v[15:16], v15, v[6:7]
	s_delay_alu instid0(VALU_DEP_1)
	v_and_b32_e32 v6, 7, v15
; %bb.1964:                             ;   in Loop: Header=BB264_998 Depth=1
	s_or_b32 exec_lo, exec_lo, s16
	v_lshlrev_b32_e32 v15, 16, v171
	s_delay_alu instid0(VALU_DEP_2) | instskip(SKIP_1) | instid1(VALU_DEP_3)
	v_lshlrev_b32_e32 v6, 20, v6
	v_lshl_add_u32 v14, v14, 23, 0x3c000000
	v_and_b32_e32 v15, 0x80000000, v15
	s_delay_alu instid0(VALU_DEP_1)
	v_or3_b32 v15, v6, v15, v14
	v_mov_b32_e32 v14, v7
.LBB264_1965:                           ;   in Loop: Header=BB264_998 Depth=1
	s_or_b32 exec_lo, exec_lo, s10
.LBB264_1966:                           ;   in Loop: Header=BB264_998 Depth=1
	s_delay_alu instid0(SALU_CYCLE_1)
	s_or_b32 exec_lo, exec_lo, s15
.LBB264_1967:                           ;   in Loop: Header=BB264_998 Depth=1
	s_delay_alu instid0(SALU_CYCLE_1) | instskip(SKIP_4) | instid1(VALU_DEP_1)
	s_or_b32 exec_lo, exec_lo, s13
	v_mov_b32_e32 v16, 0
	v_lshrrev_b32_e32 v172, 16, v171
	v_mov_b32_e32 v17, 0
	s_mov_b32 s10, exec_lo
	v_dual_mov_b32 v19, v17 :: v_dual_and_b32 v6, 0xff, v172
	v_mov_b32_e32 v18, v16
	s_delay_alu instid0(VALU_DEP_2)
	v_cmpx_ne_u16_e32 0, v6
	s_cbranch_execz .LBB264_1975
; %bb.1968:                             ;   in Loop: Header=BB264_998 Depth=1
	v_bfrev_b32_e32 v18, 1
	v_mov_b32_e32 v19, 0
	s_mov_b32 s13, exec_lo
	v_cmpx_ne_u16_e32 0x80, v6
	s_cbranch_execz .LBB264_1974
; %bb.1969:                             ;   in Loop: Header=BB264_998 Depth=1
	v_mov_b32_e32 v18, 0x7f800001
	v_bfe_u32 v173, v171, 16, 7
	v_mov_b32_e32 v19, 0
	s_mov_b32 s15, exec_lo
	s_delay_alu instid0(VALU_DEP_2)
	v_cmpx_ne_u32_e32 0x7f, v173
	s_cbranch_execz .LBB264_1973
; %bb.1970:                             ;   in Loop: Header=BB264_998 Depth=1
	v_and_b32_e32 v6, 7, v172
	v_lshrrev_b32_e32 v18, 3, v173
	s_mov_b32 s16, exec_lo
	v_cmpx_gt_u32_e32 8, v173
; %bb.1971:                             ;   in Loop: Header=BB264_998 Depth=1
	s_delay_alu instid0(VALU_DEP_3) | instskip(NEXT) | instid1(VALU_DEP_1)
	v_clz_i32_u32_e32 v18, v6
	v_min_u32_e32 v18, 32, v18
	s_delay_alu instid0(VALU_DEP_1) | instskip(SKIP_1) | instid1(VALU_DEP_2)
	v_subrev_nc_u32_e32 v19, 28, v18
	v_sub_nc_u32_e32 v18, 29, v18
	v_lshlrev_b64 v[173:174], v19, v[6:7]
	s_delay_alu instid0(VALU_DEP_1)
	v_and_b32_e32 v6, 7, v173
; %bb.1972:                             ;   in Loop: Header=BB264_998 Depth=1
	s_or_b32 exec_lo, exec_lo, s16
	v_lshlrev_b32_e32 v19, 24, v172
	s_delay_alu instid0(VALU_DEP_2) | instskip(SKIP_1) | instid1(VALU_DEP_3)
	v_lshlrev_b32_e32 v6, 20, v6
	v_lshl_add_u32 v18, v18, 23, 0x3c000000
	v_and_b32_e32 v19, 0x80000000, v19
	s_delay_alu instid0(VALU_DEP_1) | instskip(NEXT) | instid1(VALU_DEP_1)
	v_or3_b32 v6, v6, v19, v18
	v_dual_mov_b32 v19, v7 :: v_dual_mov_b32 v18, v6
.LBB264_1973:                           ;   in Loop: Header=BB264_998 Depth=1
	s_or_b32 exec_lo, exec_lo, s15
.LBB264_1974:                           ;   in Loop: Header=BB264_998 Depth=1
	s_delay_alu instid0(SALU_CYCLE_1)
	s_or_b32 exec_lo, exec_lo, s13
.LBB264_1975:                           ;   in Loop: Header=BB264_998 Depth=1
	s_delay_alu instid0(SALU_CYCLE_1) | instskip(NEXT) | instid1(SALU_CYCLE_1)
	s_or_b32 exec_lo, exec_lo, s10
	s_mov_b32 s13, exec_lo
	v_cmpx_lt_u32_e32 0xffffff, v171
	s_cbranch_execz .LBB264_1983
; %bb.1976:                             ;   in Loop: Header=BB264_998 Depth=1
	v_lshrrev_b32_e32 v172, 24, v171
	v_dual_mov_b32 v17, s9 :: v_dual_mov_b32 v16, s8
	s_mov_b32 s15, exec_lo
	s_delay_alu instid0(VALU_DEP_2)
	v_cmpx_ne_u32_e32 0x80, v172
	s_cbranch_execz .LBB264_1982
; %bb.1977:                             ;   in Loop: Header=BB264_998 Depth=1
	s_mov_b32 s10, s8
	v_bfe_u32 v171, v171, 24, 7
	v_dual_mov_b32 v17, s11 :: v_dual_mov_b32 v16, s10
	s_mov_b32 s10, exec_lo
	s_delay_alu instid0(VALU_DEP_2)
	v_cmpx_ne_u32_e32 0x7f, v171
	s_cbranch_execz .LBB264_1981
; %bb.1978:                             ;   in Loop: Header=BB264_998 Depth=1
	v_and_b32_e32 v6, 7, v172
	v_lshrrev_b32_e32 v16, 3, v171
	s_mov_b32 s16, exec_lo
	v_cmpx_gt_u32_e32 8, v171
; %bb.1979:                             ;   in Loop: Header=BB264_998 Depth=1
	s_delay_alu instid0(VALU_DEP_3) | instskip(NEXT) | instid1(VALU_DEP_1)
	v_clz_i32_u32_e32 v16, v6
	v_min_u32_e32 v16, 32, v16
	s_delay_alu instid0(VALU_DEP_1) | instskip(SKIP_1) | instid1(VALU_DEP_2)
	v_subrev_nc_u32_e32 v17, 28, v16
	v_sub_nc_u32_e32 v16, 29, v16
	v_lshlrev_b64 v[173:174], v17, v[6:7]
	s_delay_alu instid0(VALU_DEP_1)
	v_and_b32_e32 v6, 7, v173
; %bb.1980:                             ;   in Loop: Header=BB264_998 Depth=1
	s_or_b32 exec_lo, exec_lo, s16
	v_lshlrev_b32_e32 v17, 24, v172
	s_delay_alu instid0(VALU_DEP_2) | instskip(SKIP_1) | instid1(VALU_DEP_3)
	v_lshlrev_b32_e32 v6, 20, v6
	v_lshl_add_u32 v16, v16, 23, 0x3c000000
	v_and_b32_e32 v17, 0x80000000, v17
	s_delay_alu instid0(VALU_DEP_1)
	v_or3_b32 v17, v6, v17, v16
	v_mov_b32_e32 v16, v7
.LBB264_1981:                           ;   in Loop: Header=BB264_998 Depth=1
	s_or_b32 exec_lo, exec_lo, s10
.LBB264_1982:                           ;   in Loop: Header=BB264_998 Depth=1
	s_delay_alu instid0(SALU_CYCLE_1)
	s_or_b32 exec_lo, exec_lo, s15
.LBB264_1983:                           ;   in Loop: Header=BB264_998 Depth=1
	s_delay_alu instid0(SALU_CYCLE_1) | instskip(SKIP_4) | instid1(VALU_DEP_4)
	s_or_b32 exec_lo, exec_lo, s13
	v_or_b32_e32 v5, v15, v5
	v_or_b32_e32 v4, v14, v4
	;; [unrolled: 1-line block ×4, first 2 shown]
	v_mul_f32_e32 v172, v85, v5
	s_delay_alu instid0(VALU_DEP_4) | instskip(NEXT) | instid1(VALU_DEP_4)
	v_mul_f32_e32 v171, v85, v4
	v_mul_f32_e32 v18, v85, v6
	s_delay_alu instid0(VALU_DEP_4)
	v_mul_f32_e32 v19, v85, v14
	s_and_saveexec_b32 s10, vcc_lo
; %bb.1984:                             ;   in Loop: Header=BB264_998 Depth=1
	v_cmp_lt_i32_e64 s0, v98, v22
	s_delay_alu instid0(VALU_DEP_1) | instskip(SKIP_1) | instid1(VALU_DEP_1)
	v_cndmask_b32_e64 v171, 0, v171, s0
	v_cmp_lt_i32_e64 s0, v101, v22
	v_cndmask_b32_e64 v172, 0, v172, s0
	v_cmp_lt_i32_e64 s0, v100, v22
	s_delay_alu instid0(VALU_DEP_1) | instskip(SKIP_1) | instid1(VALU_DEP_1)
	v_cndmask_b32_e64 v19, 0, v19, s0
	v_cmp_lt_i32_e64 s0, v99, v22
	v_cndmask_b32_e64 v18, 0, v18, s0
; %bb.1985:                             ;   in Loop: Header=BB264_998 Depth=1
	s_or_b32 exec_lo, exec_lo, s10
	flat_load_b32 v173, v[12:13] offset:3712
	v_mov_b32_e32 v12, 0
	v_mov_b32_e32 v13, 0
	s_mov_b32 s10, exec_lo
	s_waitcnt vmcnt(0) lgkmcnt(0)
	v_and_b32_e32 v6, 0xff, v173
	s_delay_alu instid0(VALU_DEP_2) | instskip(NEXT) | instid1(VALU_DEP_2)
	v_dual_mov_b32 v4, v12 :: v_dual_mov_b32 v5, v13
	v_cmpx_ne_u16_e32 0, v6
	s_cbranch_execz .LBB264_1993
; %bb.1986:                             ;   in Loop: Header=BB264_998 Depth=1
	v_bfrev_b32_e32 v4, 1
	v_mov_b32_e32 v5, 0
	s_mov_b32 s13, exec_lo
	v_cmpx_ne_u16_e32 0x80, v6
	s_cbranch_execz .LBB264_1992
; %bb.1987:                             ;   in Loop: Header=BB264_998 Depth=1
	v_mov_b32_e32 v4, 0x7f800001
	v_dual_mov_b32 v5, 0 :: v_dual_and_b32 v14, 0x7f, v173
	s_mov_b32 s15, exec_lo
	s_delay_alu instid0(VALU_DEP_1)
	v_cmpx_ne_u32_e32 0x7f, v14
	s_cbranch_execz .LBB264_1991
; %bb.1988:                             ;   in Loop: Header=BB264_998 Depth=1
	v_and_b32_e32 v6, 7, v173
	v_lshrrev_b32_e32 v4, 3, v14
	s_mov_b32 s16, exec_lo
	v_cmpx_gt_u32_e32 8, v14
; %bb.1989:                             ;   in Loop: Header=BB264_998 Depth=1
	s_delay_alu instid0(VALU_DEP_3) | instskip(NEXT) | instid1(VALU_DEP_1)
	v_clz_i32_u32_e32 v4, v6
	v_min_u32_e32 v4, 32, v4
	s_delay_alu instid0(VALU_DEP_1) | instskip(SKIP_1) | instid1(VALU_DEP_2)
	v_subrev_nc_u32_e32 v5, 28, v4
	v_sub_nc_u32_e32 v4, 29, v4
	v_lshlrev_b64 v[5:6], v5, v[6:7]
	s_delay_alu instid0(VALU_DEP_1)
	v_and_b32_e32 v6, 7, v5
; %bb.1990:                             ;   in Loop: Header=BB264_998 Depth=1
	s_or_b32 exec_lo, exec_lo, s16
	v_lshlrev_b32_e32 v5, 24, v173
	s_delay_alu instid0(VALU_DEP_2) | instskip(SKIP_1) | instid1(VALU_DEP_3)
	v_lshlrev_b32_e32 v6, 20, v6
	v_lshl_add_u32 v4, v4, 23, 0x3c000000
	v_and_b32_e32 v5, 0x80000000, v5
	s_delay_alu instid0(VALU_DEP_1) | instskip(NEXT) | instid1(VALU_DEP_1)
	v_or3_b32 v6, v6, v5, v4
	v_dual_mov_b32 v4, v6 :: v_dual_mov_b32 v5, v7
.LBB264_1991:                           ;   in Loop: Header=BB264_998 Depth=1
	s_or_b32 exec_lo, exec_lo, s15
.LBB264_1992:                           ;   in Loop: Header=BB264_998 Depth=1
	s_delay_alu instid0(SALU_CYCLE_1)
	s_or_b32 exec_lo, exec_lo, s13
.LBB264_1993:                           ;   in Loop: Header=BB264_998 Depth=1
	s_delay_alu instid0(SALU_CYCLE_1) | instskip(SKIP_2) | instid1(VALU_DEP_1)
	s_or_b32 exec_lo, exec_lo, s10
	v_lshrrev_b16 v6, 8, v173
	s_mov_b32 s13, exec_lo
	v_cmpx_ne_u16_e32 0, v6
	s_cbranch_execz .LBB264_2001
; %bb.1994:                             ;   in Loop: Header=BB264_998 Depth=1
	v_dual_mov_b32 v13, s9 :: v_dual_mov_b32 v12, s8
	s_mov_b32 s15, exec_lo
	v_cmpx_ne_u16_e32 0x80, v6
	s_cbranch_execz .LBB264_2000
; %bb.1995:                             ;   in Loop: Header=BB264_998 Depth=1
	s_mov_b32 s10, s8
	v_dual_mov_b32 v13, s11 :: v_dual_and_b32 v6, 0xffff, v6
	v_mov_b32_e32 v12, s10
	s_mov_b32 s10, exec_lo
	s_delay_alu instid0(VALU_DEP_2) | instskip(NEXT) | instid1(VALU_DEP_1)
	v_and_b32_e32 v14, 0x7f, v6
	v_cmpx_ne_u32_e32 0x7f, v14
	s_cbranch_execz .LBB264_1999
; %bb.1996:                             ;   in Loop: Header=BB264_998 Depth=1
	v_and_b32_e32 v6, 7, v6
	v_lshrrev_b32_e32 v12, 3, v14
	s_mov_b32 s16, exec_lo
	v_cmpx_gt_u32_e32 8, v14
; %bb.1997:                             ;   in Loop: Header=BB264_998 Depth=1
	s_delay_alu instid0(VALU_DEP_3) | instskip(NEXT) | instid1(VALU_DEP_1)
	v_clz_i32_u32_e32 v12, v6
	v_min_u32_e32 v12, 32, v12
	s_delay_alu instid0(VALU_DEP_1) | instskip(SKIP_1) | instid1(VALU_DEP_2)
	v_subrev_nc_u32_e32 v13, 28, v12
	v_sub_nc_u32_e32 v12, 29, v12
	v_lshlrev_b64 v[13:14], v13, v[6:7]
	s_delay_alu instid0(VALU_DEP_1)
	v_and_b32_e32 v6, 7, v13
; %bb.1998:                             ;   in Loop: Header=BB264_998 Depth=1
	s_or_b32 exec_lo, exec_lo, s16
	v_lshlrev_b32_e32 v13, 16, v173
	s_delay_alu instid0(VALU_DEP_2) | instskip(SKIP_1) | instid1(VALU_DEP_3)
	v_lshlrev_b32_e32 v6, 20, v6
	v_lshl_add_u32 v12, v12, 23, 0x3c000000
	v_and_b32_e32 v13, 0x80000000, v13
	s_delay_alu instid0(VALU_DEP_1)
	v_or3_b32 v13, v6, v13, v12
	v_mov_b32_e32 v12, v7
.LBB264_1999:                           ;   in Loop: Header=BB264_998 Depth=1
	s_or_b32 exec_lo, exec_lo, s10
.LBB264_2000:                           ;   in Loop: Header=BB264_998 Depth=1
	s_delay_alu instid0(SALU_CYCLE_1)
	s_or_b32 exec_lo, exec_lo, s15
.LBB264_2001:                           ;   in Loop: Header=BB264_998 Depth=1
	s_delay_alu instid0(SALU_CYCLE_1) | instskip(SKIP_4) | instid1(VALU_DEP_1)
	s_or_b32 exec_lo, exec_lo, s13
	v_mov_b32_e32 v14, 0
	v_lshrrev_b32_e32 v174, 16, v173
	v_mov_b32_e32 v15, 0
	s_mov_b32 s10, exec_lo
	v_dual_mov_b32 v17, v15 :: v_dual_and_b32 v6, 0xff, v174
	v_mov_b32_e32 v16, v14
	s_delay_alu instid0(VALU_DEP_2)
	v_cmpx_ne_u16_e32 0, v6
	s_cbranch_execz .LBB264_2009
; %bb.2002:                             ;   in Loop: Header=BB264_998 Depth=1
	v_bfrev_b32_e32 v16, 1
	v_mov_b32_e32 v17, 0
	s_mov_b32 s13, exec_lo
	v_cmpx_ne_u16_e32 0x80, v6
	s_cbranch_execz .LBB264_2008
; %bb.2003:                             ;   in Loop: Header=BB264_998 Depth=1
	v_mov_b32_e32 v16, 0x7f800001
	v_bfe_u32 v175, v173, 16, 7
	v_mov_b32_e32 v17, 0
	s_mov_b32 s15, exec_lo
	s_delay_alu instid0(VALU_DEP_2)
	v_cmpx_ne_u32_e32 0x7f, v175
	s_cbranch_execz .LBB264_2007
; %bb.2004:                             ;   in Loop: Header=BB264_998 Depth=1
	v_and_b32_e32 v6, 7, v174
	v_lshrrev_b32_e32 v16, 3, v175
	s_mov_b32 s16, exec_lo
	v_cmpx_gt_u32_e32 8, v175
; %bb.2005:                             ;   in Loop: Header=BB264_998 Depth=1
	s_delay_alu instid0(VALU_DEP_3) | instskip(NEXT) | instid1(VALU_DEP_1)
	v_clz_i32_u32_e32 v16, v6
	v_min_u32_e32 v16, 32, v16
	s_delay_alu instid0(VALU_DEP_1) | instskip(SKIP_1) | instid1(VALU_DEP_2)
	v_subrev_nc_u32_e32 v17, 28, v16
	v_sub_nc_u32_e32 v16, 29, v16
	v_lshlrev_b64 v[184:185], v17, v[6:7]
	s_delay_alu instid0(VALU_DEP_1)
	v_and_b32_e32 v6, 7, v184
; %bb.2006:                             ;   in Loop: Header=BB264_998 Depth=1
	s_or_b32 exec_lo, exec_lo, s16
	v_lshlrev_b32_e32 v17, 24, v174
	s_delay_alu instid0(VALU_DEP_2) | instskip(SKIP_1) | instid1(VALU_DEP_3)
	v_lshlrev_b32_e32 v6, 20, v6
	v_lshl_add_u32 v16, v16, 23, 0x3c000000
	v_and_b32_e32 v17, 0x80000000, v17
	s_delay_alu instid0(VALU_DEP_1) | instskip(NEXT) | instid1(VALU_DEP_1)
	v_or3_b32 v6, v6, v17, v16
	v_dual_mov_b32 v17, v7 :: v_dual_mov_b32 v16, v6
.LBB264_2007:                           ;   in Loop: Header=BB264_998 Depth=1
	s_or_b32 exec_lo, exec_lo, s15
.LBB264_2008:                           ;   in Loop: Header=BB264_998 Depth=1
	s_delay_alu instid0(SALU_CYCLE_1)
	s_or_b32 exec_lo, exec_lo, s13
.LBB264_2009:                           ;   in Loop: Header=BB264_998 Depth=1
	s_delay_alu instid0(SALU_CYCLE_1) | instskip(NEXT) | instid1(SALU_CYCLE_1)
	s_or_b32 exec_lo, exec_lo, s10
	s_mov_b32 s13, exec_lo
	v_cmpx_lt_u32_e32 0xffffff, v173
	s_cbranch_execz .LBB264_2017
; %bb.2010:                             ;   in Loop: Header=BB264_998 Depth=1
	v_lshrrev_b32_e32 v174, 24, v173
	v_dual_mov_b32 v15, s9 :: v_dual_mov_b32 v14, s8
	s_mov_b32 s15, exec_lo
	s_delay_alu instid0(VALU_DEP_2)
	v_cmpx_ne_u32_e32 0x80, v174
	s_cbranch_execz .LBB264_2016
; %bb.2011:                             ;   in Loop: Header=BB264_998 Depth=1
	s_mov_b32 s10, s8
	v_bfe_u32 v173, v173, 24, 7
	v_dual_mov_b32 v15, s11 :: v_dual_mov_b32 v14, s10
	s_mov_b32 s10, exec_lo
	s_delay_alu instid0(VALU_DEP_2)
	v_cmpx_ne_u32_e32 0x7f, v173
	s_cbranch_execz .LBB264_2015
; %bb.2012:                             ;   in Loop: Header=BB264_998 Depth=1
	v_and_b32_e32 v6, 7, v174
	v_lshrrev_b32_e32 v14, 3, v173
	s_mov_b32 s16, exec_lo
	v_cmpx_gt_u32_e32 8, v173
; %bb.2013:                             ;   in Loop: Header=BB264_998 Depth=1
	s_delay_alu instid0(VALU_DEP_3) | instskip(NEXT) | instid1(VALU_DEP_1)
	v_clz_i32_u32_e32 v14, v6
	v_min_u32_e32 v14, 32, v14
	s_delay_alu instid0(VALU_DEP_1) | instskip(SKIP_1) | instid1(VALU_DEP_2)
	v_subrev_nc_u32_e32 v15, 28, v14
	v_sub_nc_u32_e32 v14, 29, v14
	v_lshlrev_b64 v[184:185], v15, v[6:7]
	s_delay_alu instid0(VALU_DEP_1)
	v_and_b32_e32 v6, 7, v184
; %bb.2014:                             ;   in Loop: Header=BB264_998 Depth=1
	s_or_b32 exec_lo, exec_lo, s16
	v_lshlrev_b32_e32 v15, 24, v174
	s_delay_alu instid0(VALU_DEP_2) | instskip(SKIP_1) | instid1(VALU_DEP_3)
	v_lshlrev_b32_e32 v6, 20, v6
	v_lshl_add_u32 v14, v14, 23, 0x3c000000
	v_and_b32_e32 v15, 0x80000000, v15
	s_delay_alu instid0(VALU_DEP_1)
	v_or3_b32 v15, v6, v15, v14
	v_mov_b32_e32 v14, v7
.LBB264_2015:                           ;   in Loop: Header=BB264_998 Depth=1
	s_or_b32 exec_lo, exec_lo, s10
.LBB264_2016:                           ;   in Loop: Header=BB264_998 Depth=1
	s_delay_alu instid0(SALU_CYCLE_1)
	s_or_b32 exec_lo, exec_lo, s15
.LBB264_2017:                           ;   in Loop: Header=BB264_998 Depth=1
	s_delay_alu instid0(SALU_CYCLE_1) | instskip(SKIP_4) | instid1(VALU_DEP_4)
	s_or_b32 exec_lo, exec_lo, s13
	v_or_b32_e32 v5, v13, v5
	v_or_b32_e32 v4, v12, v4
	;; [unrolled: 1-line block ×4, first 2 shown]
	v_mul_f32_e32 v12, v85, v5
	s_delay_alu instid0(VALU_DEP_4) | instskip(NEXT) | instid1(VALU_DEP_4)
	v_mul_f32_e32 v6, v85, v4
	v_mul_f32_e32 v4, v85, v13
	s_delay_alu instid0(VALU_DEP_4)
	v_mul_f32_e32 v5, v85, v14
	s_and_saveexec_b32 s0, vcc_lo
	s_cbranch_execz .LBB264_996
; %bb.2018:                             ;   in Loop: Header=BB264_998 Depth=1
	v_cmp_lt_i32_e32 vcc_lo, v98, v22
	v_cndmask_b32_e32 v6, 0, v6, vcc_lo
	v_cmp_lt_i32_e32 vcc_lo, v101, v22
	v_cndmask_b32_e32 v12, 0, v12, vcc_lo
	;; [unrolled: 2-line block ×4, first 2 shown]
	s_branch .LBB264_996
.LBB264_2019:
	s_or_b32 exec_lo, exec_lo, s5
.LBB264_2020:
	s_delay_alu instid0(SALU_CYCLE_1)
	s_or_b32 exec_lo, exec_lo, s3
	ds_bpermute_b32 v0, v23, v71
	ds_bpermute_b32 v1, v23, v80
	;; [unrolled: 1-line block ×15, first 2 shown]
	s_waitcnt lgkmcnt(0)
	s_waitcnt_vscnt null, 0x0
	s_barrier
	buffer_gl0_inv
	s_load_b32 s0, s[6:7], 0x0
	v_dual_add_f32 v0, v71, v0 :: v_dual_add_f32 v1, v80, v1
	v_dual_add_f32 v2, v70, v2 :: v_dual_add_f32 v3, v69, v3
	;; [unrolled: 1-line block ×3, first 2 shown]
	ds_bpermute_b32 v15, v21, v0
	ds_bpermute_b32 v16, v21, v1
	;; [unrolled: 1-line block ×3, first 2 shown]
	v_dual_add_f32 v8, v64, v8 :: v_dual_add_f32 v9, v55, v9
	ds_bpermute_b32 v27, v21, v6
	v_dual_add_f32 v4, v68, v4 :: v_dual_add_f32 v5, v67, v5
	ds_bpermute_b32 v55, v21, v8
	ds_bpermute_b32 v64, v21, v9
	v_add_f32_e32 v14, v50, v14
	ds_bpermute_b32 v19, v21, v4
	ds_bpermute_b32 v30, v21, v7
	ds_bpermute_b32 v17, v21, v2
	ds_bpermute_b32 v22, v21, v5
	v_dual_add_f32 v10, v54, v10 :: v_dual_add_f32 v11, v53, v11
	v_dual_add_f32 v12, v52, v12 :: v_dual_add_f32 v13, v51, v13
	ds_bpermute_b32 v65, v23, v39
	s_waitcnt lgkmcnt(0)
	v_dual_add_f32 v0, v0, v15 :: v_dual_add_f32 v1, v1, v16
	v_add_f32_e32 v3, v3, v18
	ds_bpermute_b32 v67, v21, v14
	ds_bpermute_b32 v50, v21, v10
	;; [unrolled: 1-line block ×4, first 2 shown]
	v_add_f32_e32 v6, v6, v27
	v_dual_add_f32 v8, v8, v55 :: v_dual_add_f32 v9, v9, v64
	ds_bpermute_b32 v64, v23, v48
	v_dual_add_f32 v4, v4, v19 :: v_dual_add_f32 v7, v7, v30
	ds_bpermute_b32 v27, v20, v6
	ds_bpermute_b32 v18, v20, v3
	;; [unrolled: 1-line block ×6, first 2 shown]
	v_dual_add_f32 v2, v2, v17 :: v_dual_add_f32 v5, v5, v22
	ds_bpermute_b32 v54, v20, v9
	ds_bpermute_b32 v55, v23, v49
	s_waitcnt lgkmcnt(12)
	v_add_f32_e32 v14, v14, v67
	ds_bpermute_b32 v17, v20, v2
	s_waitcnt lgkmcnt(10)
	v_dual_add_f32 v0, v0, v15 :: v_dual_add_f32 v1, v1, v16
	ds_bpermute_b32 v53, v20, v8
	ds_bpermute_b32 v15, v23, v38
	;; [unrolled: 1-line block ×4, first 2 shown]
	v_add_f32_e32 v10, v10, v50
	ds_bpermute_b32 v30, v20, v7
	s_waitcnt lgkmcnt(13)
	v_dual_add_f32 v6, v6, v27 :: v_dual_add_f32 v27, v48, v64
	s_waitcnt lgkmcnt(10)
	v_dual_add_f32 v11, v11, v51 :: v_dual_add_f32 v12, v12, v52
	v_add_f32_e32 v3, v3, v18
	s_waitcnt lgkmcnt(8)
	v_dual_add_f32 v13, v13, v66 :: v_dual_add_f32 v4, v4, v19
	ds_bpermute_b32 v18, v20, v11
	ds_bpermute_b32 v19, v20, v12
	;; [unrolled: 1-line block ×4, first 2 shown]
	s_waitcnt lgkmcnt(9)
	v_add_f32_e32 v2, v2, v17
	ds_bpermute_b32 v17, v20, v10
	s_waitcnt lgkmcnt(9)
	v_dual_add_f32 v9, v9, v54 :: v_dual_add_f32 v8, v8, v53
	s_waitcnt lgkmcnt(8)
	v_add_f32_e32 v15, v38, v15
	ds_bpermute_b32 v38, v21, v27
	s_waitcnt lgkmcnt(8)
	v_add_f32_e32 v16, v37, v16
	s_waitcnt lgkmcnt(7)
	v_add_f32_e32 v5, v5, v22
	v_add_f32_e32 v22, v49, v55
	ds_bpermute_b32 v55, v23, v29
	ds_bpermute_b32 v53, v23, v33
	s_waitcnt lgkmcnt(8)
	v_add_f32_e32 v7, v7, v30
	v_add_f32_e32 v30, v39, v65
	ds_bpermute_b32 v48, v21, v15
	ds_bpermute_b32 v65, v23, v26
	;; [unrolled: 1-line block ×3, first 2 shown]
	s_waitcnt lgkmcnt(10)
	v_add_f32_e32 v11, v11, v18
	ds_bpermute_b32 v37, v21, v22
	s_waitcnt lgkmcnt(10)
	v_add_f32_e32 v12, v12, v19
	ds_bpermute_b32 v19, v23, v31
	ds_bpermute_b32 v54, v23, v32
	s_waitcnt lgkmcnt(9)
	v_add_f32_e32 v10, v10, v17
	ds_bpermute_b32 v17, v20, v13
	ds_bpermute_b32 v64, v23, v28
	ds_bpermute_b32 v23, v23, v25
	s_waitcnt lgkmcnt(11)
	v_add_f32_e32 v27, v27, v38
	ds_bpermute_b32 v49, v21, v16
	ds_bpermute_b32 v18, v20, v14
	s_waitcnt lgkmcnt(12)
	v_add_f32_e32 v29, v29, v55
	s_waitcnt lgkmcnt(11)
	v_add_f32_e32 v33, v33, v53
	ds_bpermute_b32 v53, v20, v27
	s_waitcnt lgkmcnt(9)
	v_add_f32_e32 v34, v34, v52
	s_waitcnt lgkmcnt(8)
	v_dual_add_f32 v22, v22, v37 :: v_dual_add_f32 v37, v15, v48
	s_waitcnt lgkmcnt(7)
	v_add_f32_e32 v19, v31, v19
	v_add_f32_e32 v15, v36, v50
	ds_bpermute_b32 v39, v21, v30
	ds_bpermute_b32 v48, v21, v33
	s_waitcnt lgkmcnt(7)
	v_add_f32_e32 v13, v13, v17
	s_waitcnt lgkmcnt(5)
	v_add_f32_e32 v23, v25, v23
	ds_bpermute_b32 v31, v21, v29
	s_waitcnt lgkmcnt(5)
	v_add_f32_e32 v38, v16, v49
	v_add_f32_e32 v16, v35, v51
	v_add_f32_e32 v26, v26, v65
	ds_bpermute_b32 v35, v21, v15
	ds_bpermute_b32 v25, v21, v19
	v_add_f32_e32 v32, v32, v54
	ds_bpermute_b32 v36, v21, v16
	v_add_f32_e32 v28, v28, v64
	ds_bpermute_b32 v52, v20, v22
	ds_bpermute_b32 v55, v20, v37
	ds_bpermute_b32 v64, v20, v38
	s_waitcnt lgkmcnt(7)
	v_dual_add_f32 v30, v30, v39 :: v_dual_add_f32 v33, v33, v48
	ds_bpermute_b32 v39, v21, v34
	s_waitcnt lgkmcnt(7)
	v_add_f32_e32 v29, v29, v31
	ds_bpermute_b32 v51, v21, v26
	ds_bpermute_b32 v54, v20, v30
	;; [unrolled: 1-line block ×3, first 2 shown]
	s_waitcnt lgkmcnt(9)
	v_add_f32_e32 v35, v15, v35
	ds_bpermute_b32 v31, v20, v29
	ds_bpermute_b32 v49, v21, v32
	s_waitcnt lgkmcnt(10)
	v_add_f32_e32 v67, v19, v25
	ds_bpermute_b32 v50, v21, v28
	ds_bpermute_b32 v21, v21, v23
	s_waitcnt lgkmcnt(11)
	v_add_f32_e32 v36, v16, v36
	v_add_f32_e32 v14, v14, v18
	s_waitcnt lgkmcnt(8)
	v_dual_add_f32 v16, v27, v53 :: v_dual_add_f32 v19, v38, v64
	v_add_f32_e32 v15, v22, v52
	s_waitcnt lgkmcnt(5)
	v_add_f32_e32 v17, v30, v54
	s_waitcnt lgkmcnt(3)
	v_add_f32_e32 v27, v29, v31
	scratch_load_b32 v29, off, s32 offset:632 ; 4-byte Folded Reload
	s_waitcnt lgkmcnt(2)
	v_add_f32_e32 v32, v32, v49
	s_waitcnt lgkmcnt(1)
	v_add_f32_e32 v28, v28, v50
	s_waitcnt lgkmcnt(0)
	v_dual_add_f32 v50, v26, v51 :: v_dual_add_f32 v51, v23, v21
	v_add_f32_e32 v23, v33, v65
	ds_bpermute_b32 v48, v20, v36
	v_add_f32_e32 v34, v34, v39
	ds_bpermute_b32 v39, v20, v35
	ds_bpermute_b32 v66, v20, v32
	;; [unrolled: 1-line block ×6, first 2 shown]
	s_waitcnt lgkmcnt(6)
	v_dual_add_f32 v18, v37, v55 :: v_dual_add_f32 v21, v36, v48
	ds_bpermute_b32 v49, v20, v34
	s_waitcnt lgkmcnt(5)
	v_add_f32_e32 v25, v32, v66
	scratch_load_b32 v32, off, s32 offset:1156 ; 4-byte Folded Reload
	v_add_f32_e32 v20, v35, v39
	s_waitcnt lgkmcnt(4)
	v_add_f32_e32 v26, v67, v26
	s_waitcnt lgkmcnt(3)
	v_add_f32_e32 v28, v28, v68
	s_waitcnt vmcnt(1) lgkmcnt(1)
	v_dual_add_f32 v30, v51, v70 :: v_dual_and_b32 v33, 0x3c7, v29
	scratch_load_b32 v29, off, s32 offset:636 ; 4-byte Folded Reload
	v_cmp_eq_u32_e32 vcc_lo, 64, v33
	s_waitcnt vmcnt(1)
	v_mad_u32_u24 v32, 0x1e0, v32, s0
	s_waitcnt vmcnt(0)
	v_lshrrev_b32_e32 v31, 3, v29
	v_add_f32_e32 v29, v50, v69
	s_waitcnt lgkmcnt(0)
	s_delay_alu instid0(VALU_DEP_2)
	v_dual_add_f32 v22, v34, v49 :: v_dual_lshlrev_b32 v33, 2, v31
	s_and_saveexec_b32 s0, vcc_lo
	s_cbranch_execz .LBB264_2022
; %bb.2021:
	s_delay_alu instid0(VALU_DEP_1)
	v_add3_u32 v34, v32, v33, 0xfffffc40
	ds_store_2addr_b32 v34, v0, v1 offset1:4
	ds_store_2addr_b32 v34, v2, v3 offset0:8 offset1:12
	ds_store_2addr_b32 v34, v4, v5 offset0:16 offset1:20
	;; [unrolled: 1-line block ×14, first 2 shown]
.LBB264_2022:
	s_or_b32 exec_lo, exec_lo, s0
	v_cmp_eq_u32_e32 vcc_lo, 0, v24
	scratch_load_b32 v24, off, s32 offset:632 ; 4-byte Folded Reload
	s_mov_b32 s3, exec_lo
	s_waitcnt vmcnt(0) lgkmcnt(0)
	s_barrier
	buffer_gl0_inv
	v_cmpx_gt_u32_e32 64, v24
	s_cbranch_execz .LBB264_2055
; %bb.2023:
	s_and_saveexec_b32 s0, vcc_lo
	s_cbranch_execnz .LBB264_2093
; %bb.2024:
	s_or_b32 exec_lo, exec_lo, s0
	s_and_saveexec_b32 s0, vcc_lo
	s_cbranch_execnz .LBB264_2094
.LBB264_2025:
	s_or_b32 exec_lo, exec_lo, s0
	s_and_saveexec_b32 s0, vcc_lo
	s_cbranch_execnz .LBB264_2095
.LBB264_2026:
	s_or_b32 exec_lo, exec_lo, s0
	s_and_saveexec_b32 s0, vcc_lo
	s_cbranch_execnz .LBB264_2096
.LBB264_2027:
	s_or_b32 exec_lo, exec_lo, s0
	s_and_saveexec_b32 s0, vcc_lo
	s_cbranch_execnz .LBB264_2097
.LBB264_2028:
	s_or_b32 exec_lo, exec_lo, s0
	s_and_saveexec_b32 s0, vcc_lo
	s_cbranch_execnz .LBB264_2098
.LBB264_2029:
	s_or_b32 exec_lo, exec_lo, s0
	s_and_saveexec_b32 s0, vcc_lo
	s_cbranch_execnz .LBB264_2099
.LBB264_2030:
	s_or_b32 exec_lo, exec_lo, s0
	s_and_saveexec_b32 s0, vcc_lo
	s_cbranch_execnz .LBB264_2100
.LBB264_2031:
	s_or_b32 exec_lo, exec_lo, s0
	s_and_saveexec_b32 s0, vcc_lo
	s_cbranch_execnz .LBB264_2101
.LBB264_2032:
	s_or_b32 exec_lo, exec_lo, s0
	s_and_saveexec_b32 s0, vcc_lo
	s_cbranch_execnz .LBB264_2102
.LBB264_2033:
	s_or_b32 exec_lo, exec_lo, s0
	s_and_saveexec_b32 s0, vcc_lo
	s_cbranch_execnz .LBB264_2103
.LBB264_2034:
	s_or_b32 exec_lo, exec_lo, s0
	s_and_saveexec_b32 s0, vcc_lo
	s_cbranch_execnz .LBB264_2104
.LBB264_2035:
	s_or_b32 exec_lo, exec_lo, s0
	s_and_saveexec_b32 s0, vcc_lo
	s_cbranch_execnz .LBB264_2105
.LBB264_2036:
	s_or_b32 exec_lo, exec_lo, s0
	s_and_saveexec_b32 s0, vcc_lo
	s_cbranch_execnz .LBB264_2106
.LBB264_2037:
	s_or_b32 exec_lo, exec_lo, s0
	s_and_saveexec_b32 s0, vcc_lo
	s_cbranch_execnz .LBB264_2107
.LBB264_2038:
	s_or_b32 exec_lo, exec_lo, s0
	s_and_saveexec_b32 s0, vcc_lo
	s_cbranch_execnz .LBB264_2108
.LBB264_2039:
	s_or_b32 exec_lo, exec_lo, s0
	s_and_saveexec_b32 s0, vcc_lo
	s_cbranch_execnz .LBB264_2109
.LBB264_2040:
	s_or_b32 exec_lo, exec_lo, s0
	s_and_saveexec_b32 s0, vcc_lo
	s_cbranch_execnz .LBB264_2110
.LBB264_2041:
	s_or_b32 exec_lo, exec_lo, s0
	s_and_saveexec_b32 s0, vcc_lo
	s_cbranch_execnz .LBB264_2111
.LBB264_2042:
	s_or_b32 exec_lo, exec_lo, s0
	s_and_saveexec_b32 s0, vcc_lo
	s_cbranch_execnz .LBB264_2112
.LBB264_2043:
	s_or_b32 exec_lo, exec_lo, s0
	s_and_saveexec_b32 s0, vcc_lo
	s_cbranch_execnz .LBB264_2113
.LBB264_2044:
	s_or_b32 exec_lo, exec_lo, s0
	s_and_saveexec_b32 s0, vcc_lo
	s_cbranch_execnz .LBB264_2114
.LBB264_2045:
	s_or_b32 exec_lo, exec_lo, s0
	s_and_saveexec_b32 s0, vcc_lo
	s_cbranch_execnz .LBB264_2115
.LBB264_2046:
	s_or_b32 exec_lo, exec_lo, s0
	s_and_saveexec_b32 s0, vcc_lo
	s_cbranch_execnz .LBB264_2116
.LBB264_2047:
	s_or_b32 exec_lo, exec_lo, s0
	s_and_saveexec_b32 s0, vcc_lo
	s_cbranch_execnz .LBB264_2117
.LBB264_2048:
	s_or_b32 exec_lo, exec_lo, s0
	s_and_saveexec_b32 s0, vcc_lo
	s_cbranch_execnz .LBB264_2118
.LBB264_2049:
	s_or_b32 exec_lo, exec_lo, s0
	s_and_saveexec_b32 s0, vcc_lo
	s_cbranch_execnz .LBB264_2119
.LBB264_2050:
	s_or_b32 exec_lo, exec_lo, s0
	s_and_saveexec_b32 s0, vcc_lo
	s_cbranch_execnz .LBB264_2120
.LBB264_2051:
	s_or_b32 exec_lo, exec_lo, s0
	s_and_saveexec_b32 s0, vcc_lo
	s_cbranch_execnz .LBB264_2121
.LBB264_2052:
	s_or_b32 exec_lo, exec_lo, s0
	s_and_saveexec_b32 s0, vcc_lo
	s_cbranch_execz .LBB264_2054
.LBB264_2053:
	v_lshl_add_u32 v24, v31, 2, v32
	ds_load_b32 v24, v24 offset:464
	s_waitcnt lgkmcnt(0)
	v_add_f32_e32 v30, v24, v30
.LBB264_2054:
	s_or_b32 exec_lo, exec_lo, s0
.LBB264_2055:
	s_delay_alu instid0(SALU_CYCLE_1)
	s_or_b32 exec_lo, exec_lo, s3
	scratch_load_b32 v24, off, s32 offset:632 ; 4-byte Folded Reload
	s_mov_b32 s3, exec_lo
	s_waitcnt vmcnt(0)
	s_barrier
	buffer_gl0_inv
	v_and_b32_e32 v24, 0x3e7, v24
	s_delay_alu instid0(VALU_DEP_1)
	v_cmpx_eq_u32_e32 32, v24
	s_cbranch_execz .LBB264_2057
; %bb.2056:
	v_add3_u32 v33, v32, v33, 0xfffffe20
	ds_store_2addr_b32 v33, v0, v1 offset1:4
	ds_store_2addr_b32 v33, v2, v3 offset0:8 offset1:12
	ds_store_2addr_b32 v33, v4, v5 offset0:16 offset1:20
	;; [unrolled: 1-line block ×14, first 2 shown]
.LBB264_2057:
	s_or_b32 exec_lo, exec_lo, s3
	scratch_load_b32 v33, off, s32 offset:632 ; 4-byte Folded Reload
	s_mov_b32 s3, exec_lo
	s_waitcnt vmcnt(0) lgkmcnt(0)
	s_barrier
	buffer_gl0_inv
	v_cmpx_gt_u32_e32 32, v33
	s_cbranch_execz .LBB264_2090
; %bb.2058:
	v_lshl_add_u32 v31, v31, 2, v32
	s_and_saveexec_b32 s0, vcc_lo
	s_cbranch_execnz .LBB264_2122
; %bb.2059:
	s_or_b32 exec_lo, exec_lo, s0
	s_and_saveexec_b32 s0, vcc_lo
	s_cbranch_execnz .LBB264_2123
.LBB264_2060:
	s_or_b32 exec_lo, exec_lo, s0
	s_and_saveexec_b32 s0, vcc_lo
	s_cbranch_execnz .LBB264_2124
.LBB264_2061:
	s_or_b32 exec_lo, exec_lo, s0
	s_and_saveexec_b32 s0, vcc_lo
	s_cbranch_execnz .LBB264_2125
.LBB264_2062:
	s_or_b32 exec_lo, exec_lo, s0
	s_and_saveexec_b32 s0, vcc_lo
	s_cbranch_execnz .LBB264_2126
.LBB264_2063:
	s_or_b32 exec_lo, exec_lo, s0
	s_and_saveexec_b32 s0, vcc_lo
	s_cbranch_execnz .LBB264_2127
.LBB264_2064:
	s_or_b32 exec_lo, exec_lo, s0
	s_and_saveexec_b32 s0, vcc_lo
	s_cbranch_execnz .LBB264_2128
.LBB264_2065:
	s_or_b32 exec_lo, exec_lo, s0
	s_and_saveexec_b32 s0, vcc_lo
	s_cbranch_execnz .LBB264_2129
.LBB264_2066:
	s_or_b32 exec_lo, exec_lo, s0
	s_and_saveexec_b32 s0, vcc_lo
	s_cbranch_execnz .LBB264_2130
.LBB264_2067:
	s_or_b32 exec_lo, exec_lo, s0
	s_and_saveexec_b32 s0, vcc_lo
	s_cbranch_execnz .LBB264_2131
.LBB264_2068:
	s_or_b32 exec_lo, exec_lo, s0
	s_and_saveexec_b32 s0, vcc_lo
	s_cbranch_execnz .LBB264_2132
.LBB264_2069:
	s_or_b32 exec_lo, exec_lo, s0
	s_and_saveexec_b32 s0, vcc_lo
	s_cbranch_execnz .LBB264_2133
.LBB264_2070:
	s_or_b32 exec_lo, exec_lo, s0
	s_and_saveexec_b32 s0, vcc_lo
	s_cbranch_execnz .LBB264_2134
.LBB264_2071:
	s_or_b32 exec_lo, exec_lo, s0
	s_and_saveexec_b32 s0, vcc_lo
	s_cbranch_execnz .LBB264_2135
.LBB264_2072:
	s_or_b32 exec_lo, exec_lo, s0
	s_and_saveexec_b32 s0, vcc_lo
	s_cbranch_execnz .LBB264_2136
.LBB264_2073:
	s_or_b32 exec_lo, exec_lo, s0
	s_and_saveexec_b32 s0, vcc_lo
	s_cbranch_execnz .LBB264_2137
.LBB264_2074:
	s_or_b32 exec_lo, exec_lo, s0
	s_and_saveexec_b32 s0, vcc_lo
	s_cbranch_execnz .LBB264_2138
.LBB264_2075:
	s_or_b32 exec_lo, exec_lo, s0
	s_and_saveexec_b32 s0, vcc_lo
	s_cbranch_execnz .LBB264_2139
.LBB264_2076:
	s_or_b32 exec_lo, exec_lo, s0
	s_and_saveexec_b32 s0, vcc_lo
	s_cbranch_execnz .LBB264_2140
.LBB264_2077:
	s_or_b32 exec_lo, exec_lo, s0
	s_and_saveexec_b32 s0, vcc_lo
	s_cbranch_execnz .LBB264_2141
.LBB264_2078:
	s_or_b32 exec_lo, exec_lo, s0
	s_and_saveexec_b32 s0, vcc_lo
	s_cbranch_execnz .LBB264_2142
.LBB264_2079:
	s_or_b32 exec_lo, exec_lo, s0
	s_and_saveexec_b32 s0, vcc_lo
	s_cbranch_execnz .LBB264_2143
.LBB264_2080:
	s_or_b32 exec_lo, exec_lo, s0
	s_and_saveexec_b32 s0, vcc_lo
	s_cbranch_execnz .LBB264_2144
.LBB264_2081:
	s_or_b32 exec_lo, exec_lo, s0
	s_and_saveexec_b32 s0, vcc_lo
	s_cbranch_execnz .LBB264_2145
.LBB264_2082:
	s_or_b32 exec_lo, exec_lo, s0
	s_and_saveexec_b32 s0, vcc_lo
	s_cbranch_execnz .LBB264_2146
.LBB264_2083:
	s_or_b32 exec_lo, exec_lo, s0
	s_and_saveexec_b32 s0, vcc_lo
	s_cbranch_execnz .LBB264_2147
.LBB264_2084:
	s_or_b32 exec_lo, exec_lo, s0
	s_and_saveexec_b32 s0, vcc_lo
	s_cbranch_execnz .LBB264_2148
.LBB264_2085:
	s_or_b32 exec_lo, exec_lo, s0
	s_and_saveexec_b32 s0, vcc_lo
	s_cbranch_execnz .LBB264_2149
.LBB264_2086:
	s_or_b32 exec_lo, exec_lo, s0
	s_and_saveexec_b32 s0, vcc_lo
	s_cbranch_execnz .LBB264_2150
.LBB264_2087:
	s_or_b32 exec_lo, exec_lo, s0
	s_and_saveexec_b32 s0, vcc_lo
	s_cbranch_execz .LBB264_2089
.LBB264_2088:
	ds_load_b32 v31, v31 offset:464
	s_waitcnt lgkmcnt(0)
	v_add_f32_e32 v30, v31, v30
.LBB264_2089:
	s_or_b32 exec_lo, exec_lo, s0
.LBB264_2090:
	s_delay_alu instid0(SALU_CYCLE_1)
	s_or_b32 exec_lo, exec_lo, s3
	v_cmp_eq_u32_e32 vcc_lo, 0, v24
	s_barrier
	buffer_gl0_inv
	s_and_b32 exec_lo, exec_lo, vcc_lo
	s_cbranch_execz .LBB264_2092
; %bb.2091:
	s_clause 0x2
	scratch_load_b32 v24, off, s32 offset:632
	scratch_load_b32 v31, off, s32 offset:1160
	;; [unrolled: 1-line block ×3, first 2 shown]
	s_mul_i32 s0, s2, 0x78
	s_mul_i32 s2, s4, s1
	;; [unrolled: 1-line block ×3, first 2 shown]
	s_ashr_i32 s3, s2, 31
	s_ashr_i32 s5, s4, 31
	;; [unrolled: 1-line block ×3, first 2 shown]
	s_lshl_b64 s[2:3], s[2:3], 2
	s_lshl_b64 s[4:5], s[4:5], 2
	;; [unrolled: 1-line block ×3, first 2 shown]
	s_add_u32 s2, s4, s2
	s_addc_u32 s3, s5, s3
	s_add_u32 s0, s2, s0
	s_addc_u32 s1, s3, s1
	s_waitcnt vmcnt(2)
	v_lshrrev_b32_e32 v24, 1, v24
	s_waitcnt vmcnt(1)
	v_add_co_u32 v31, vcc_lo, s0, v31
	s_waitcnt vmcnt(0)
	v_add_co_ci_u32_e32 v32, vcc_lo, s1, v32, vcc_lo
	s_delay_alu instid0(VALU_DEP_2) | instskip(NEXT) | instid1(VALU_DEP_2)
	v_add_co_u32 v31, vcc_lo, v31, v24
	v_add_co_ci_u32_e32 v32, vcc_lo, 0, v32, vcc_lo
	s_clause 0x1d
	flat_store_b32 v[31:32], v0
	flat_store_b32 v[31:32], v1 offset:16
	flat_store_b32 v[31:32], v2 offset:32
	;; [unrolled: 1-line block ×29, first 2 shown]
.LBB264_2092:
	s_or_b32 exec_lo, exec_lo, s18
	s_clause 0x1f
	scratch_load_b32 v191, off, s32 offset:8
	scratch_load_b32 v190, off, s32 offset:12
	;; [unrolled: 1-line block ×32, first 2 shown]
	s_clause 0x1f
	scratch_load_b32 v127, off, s32 offset:136
	scratch_load_b32 v126, off, s32 offset:140
	;; [unrolled: 1-line block ×32, first 2 shown]
	s_clause 0xf
	scratch_load_b32 v63, off, s32 offset:264
	scratch_load_b32 v62, off, s32 offset:268
	;; [unrolled: 1-line block ×16, first 2 shown]
	s_waitcnt vmcnt(0) lgkmcnt(0)
	s_setpc_b64 s[30:31]
.LBB264_2093:
	v_lshl_add_u32 v24, v31, 2, v32
	ds_load_b32 v24, v24
	s_waitcnt lgkmcnt(0)
	v_add_f32_e32 v0, v24, v0
	s_or_b32 exec_lo, exec_lo, s0
	s_and_saveexec_b32 s0, vcc_lo
	s_cbranch_execz .LBB264_2025
.LBB264_2094:
	v_lshl_add_u32 v24, v31, 2, v32
	ds_load_b32 v24, v24 offset:16
	s_waitcnt lgkmcnt(0)
	v_add_f32_e32 v1, v24, v1
	s_or_b32 exec_lo, exec_lo, s0
	s_and_saveexec_b32 s0, vcc_lo
	s_cbranch_execz .LBB264_2026
.LBB264_2095:
	v_lshl_add_u32 v24, v31, 2, v32
	ds_load_b32 v24, v24 offset:32
	s_waitcnt lgkmcnt(0)
	v_add_f32_e32 v2, v24, v2
	s_or_b32 exec_lo, exec_lo, s0
	s_and_saveexec_b32 s0, vcc_lo
	s_cbranch_execz .LBB264_2027
.LBB264_2096:
	v_lshl_add_u32 v24, v31, 2, v32
	ds_load_b32 v24, v24 offset:48
	s_waitcnt lgkmcnt(0)
	v_add_f32_e32 v3, v24, v3
	s_or_b32 exec_lo, exec_lo, s0
	s_and_saveexec_b32 s0, vcc_lo
	s_cbranch_execz .LBB264_2028
.LBB264_2097:
	v_lshl_add_u32 v24, v31, 2, v32
	ds_load_b32 v24, v24 offset:64
	s_waitcnt lgkmcnt(0)
	v_add_f32_e32 v4, v24, v4
	s_or_b32 exec_lo, exec_lo, s0
	s_and_saveexec_b32 s0, vcc_lo
	s_cbranch_execz .LBB264_2029
.LBB264_2098:
	v_lshl_add_u32 v24, v31, 2, v32
	ds_load_b32 v24, v24 offset:80
	s_waitcnt lgkmcnt(0)
	v_add_f32_e32 v5, v24, v5
	s_or_b32 exec_lo, exec_lo, s0
	s_and_saveexec_b32 s0, vcc_lo
	s_cbranch_execz .LBB264_2030
.LBB264_2099:
	v_lshl_add_u32 v24, v31, 2, v32
	ds_load_b32 v24, v24 offset:96
	s_waitcnt lgkmcnt(0)
	v_add_f32_e32 v6, v24, v6
	s_or_b32 exec_lo, exec_lo, s0
	s_and_saveexec_b32 s0, vcc_lo
	s_cbranch_execz .LBB264_2031
.LBB264_2100:
	v_lshl_add_u32 v24, v31, 2, v32
	ds_load_b32 v24, v24 offset:112
	s_waitcnt lgkmcnt(0)
	v_add_f32_e32 v7, v24, v7
	s_or_b32 exec_lo, exec_lo, s0
	s_and_saveexec_b32 s0, vcc_lo
	s_cbranch_execz .LBB264_2032
.LBB264_2101:
	v_lshl_add_u32 v24, v31, 2, v32
	ds_load_b32 v24, v24 offset:128
	s_waitcnt lgkmcnt(0)
	v_add_f32_e32 v8, v24, v8
	s_or_b32 exec_lo, exec_lo, s0
	s_and_saveexec_b32 s0, vcc_lo
	s_cbranch_execz .LBB264_2033
.LBB264_2102:
	v_lshl_add_u32 v24, v31, 2, v32
	ds_load_b32 v24, v24 offset:144
	s_waitcnt lgkmcnt(0)
	v_add_f32_e32 v9, v24, v9
	s_or_b32 exec_lo, exec_lo, s0
	s_and_saveexec_b32 s0, vcc_lo
	s_cbranch_execz .LBB264_2034
.LBB264_2103:
	v_lshl_add_u32 v24, v31, 2, v32
	ds_load_b32 v24, v24 offset:160
	s_waitcnt lgkmcnt(0)
	v_add_f32_e32 v10, v24, v10
	s_or_b32 exec_lo, exec_lo, s0
	s_and_saveexec_b32 s0, vcc_lo
	s_cbranch_execz .LBB264_2035
.LBB264_2104:
	v_lshl_add_u32 v24, v31, 2, v32
	ds_load_b32 v24, v24 offset:176
	s_waitcnt lgkmcnt(0)
	v_add_f32_e32 v11, v24, v11
	s_or_b32 exec_lo, exec_lo, s0
	s_and_saveexec_b32 s0, vcc_lo
	s_cbranch_execz .LBB264_2036
.LBB264_2105:
	v_lshl_add_u32 v24, v31, 2, v32
	ds_load_b32 v24, v24 offset:192
	s_waitcnt lgkmcnt(0)
	v_add_f32_e32 v12, v24, v12
	s_or_b32 exec_lo, exec_lo, s0
	s_and_saveexec_b32 s0, vcc_lo
	s_cbranch_execz .LBB264_2037
.LBB264_2106:
	v_lshl_add_u32 v24, v31, 2, v32
	ds_load_b32 v24, v24 offset:208
	s_waitcnt lgkmcnt(0)
	v_add_f32_e32 v13, v24, v13
	s_or_b32 exec_lo, exec_lo, s0
	s_and_saveexec_b32 s0, vcc_lo
	s_cbranch_execz .LBB264_2038
.LBB264_2107:
	v_lshl_add_u32 v24, v31, 2, v32
	ds_load_b32 v24, v24 offset:224
	s_waitcnt lgkmcnt(0)
	v_add_f32_e32 v14, v24, v14
	s_or_b32 exec_lo, exec_lo, s0
	s_and_saveexec_b32 s0, vcc_lo
	s_cbranch_execz .LBB264_2039
.LBB264_2108:
	v_lshl_add_u32 v24, v31, 2, v32
	ds_load_b32 v24, v24 offset:240
	s_waitcnt lgkmcnt(0)
	v_add_f32_e32 v15, v24, v15
	s_or_b32 exec_lo, exec_lo, s0
	s_and_saveexec_b32 s0, vcc_lo
	s_cbranch_execz .LBB264_2040
.LBB264_2109:
	v_lshl_add_u32 v24, v31, 2, v32
	ds_load_b32 v24, v24 offset:256
	s_waitcnt lgkmcnt(0)
	v_add_f32_e32 v16, v24, v16
	s_or_b32 exec_lo, exec_lo, s0
	s_and_saveexec_b32 s0, vcc_lo
	s_cbranch_execz .LBB264_2041
.LBB264_2110:
	v_lshl_add_u32 v24, v31, 2, v32
	ds_load_b32 v24, v24 offset:272
	s_waitcnt lgkmcnt(0)
	v_add_f32_e32 v17, v24, v17
	s_or_b32 exec_lo, exec_lo, s0
	s_and_saveexec_b32 s0, vcc_lo
	s_cbranch_execz .LBB264_2042
.LBB264_2111:
	v_lshl_add_u32 v24, v31, 2, v32
	ds_load_b32 v24, v24 offset:288
	s_waitcnt lgkmcnt(0)
	v_add_f32_e32 v18, v24, v18
	s_or_b32 exec_lo, exec_lo, s0
	s_and_saveexec_b32 s0, vcc_lo
	s_cbranch_execz .LBB264_2043
.LBB264_2112:
	v_lshl_add_u32 v24, v31, 2, v32
	ds_load_b32 v24, v24 offset:304
	s_waitcnt lgkmcnt(0)
	v_add_f32_e32 v19, v24, v19
	s_or_b32 exec_lo, exec_lo, s0
	s_and_saveexec_b32 s0, vcc_lo
	s_cbranch_execz .LBB264_2044
.LBB264_2113:
	v_lshl_add_u32 v24, v31, 2, v32
	ds_load_b32 v24, v24 offset:320
	s_waitcnt lgkmcnt(0)
	v_add_f32_e32 v20, v24, v20
	s_or_b32 exec_lo, exec_lo, s0
	s_and_saveexec_b32 s0, vcc_lo
	s_cbranch_execz .LBB264_2045
.LBB264_2114:
	v_lshl_add_u32 v24, v31, 2, v32
	ds_load_b32 v24, v24 offset:336
	s_waitcnt lgkmcnt(0)
	v_add_f32_e32 v21, v24, v21
	s_or_b32 exec_lo, exec_lo, s0
	s_and_saveexec_b32 s0, vcc_lo
	s_cbranch_execz .LBB264_2046
.LBB264_2115:
	v_lshl_add_u32 v24, v31, 2, v32
	ds_load_b32 v24, v24 offset:352
	s_waitcnt lgkmcnt(0)
	v_add_f32_e32 v22, v24, v22
	s_or_b32 exec_lo, exec_lo, s0
	s_and_saveexec_b32 s0, vcc_lo
	s_cbranch_execz .LBB264_2047
.LBB264_2116:
	v_lshl_add_u32 v24, v31, 2, v32
	ds_load_b32 v24, v24 offset:368
	s_waitcnt lgkmcnt(0)
	v_add_f32_e32 v23, v24, v23
	s_or_b32 exec_lo, exec_lo, s0
	s_and_saveexec_b32 s0, vcc_lo
	s_cbranch_execz .LBB264_2048
.LBB264_2117:
	v_lshl_add_u32 v24, v31, 2, v32
	ds_load_b32 v24, v24 offset:384
	s_waitcnt lgkmcnt(0)
	v_add_f32_e32 v25, v24, v25
	s_or_b32 exec_lo, exec_lo, s0
	s_and_saveexec_b32 s0, vcc_lo
	s_cbranch_execz .LBB264_2049
.LBB264_2118:
	v_lshl_add_u32 v24, v31, 2, v32
	ds_load_b32 v24, v24 offset:400
	s_waitcnt lgkmcnt(0)
	v_add_f32_e32 v26, v24, v26
	s_or_b32 exec_lo, exec_lo, s0
	s_and_saveexec_b32 s0, vcc_lo
	s_cbranch_execz .LBB264_2050
.LBB264_2119:
	v_lshl_add_u32 v24, v31, 2, v32
	ds_load_b32 v24, v24 offset:416
	s_waitcnt lgkmcnt(0)
	v_add_f32_e32 v27, v24, v27
	s_or_b32 exec_lo, exec_lo, s0
	s_and_saveexec_b32 s0, vcc_lo
	s_cbranch_execz .LBB264_2051
.LBB264_2120:
	v_lshl_add_u32 v24, v31, 2, v32
	ds_load_b32 v24, v24 offset:432
	s_waitcnt lgkmcnt(0)
	v_add_f32_e32 v28, v24, v28
	s_or_b32 exec_lo, exec_lo, s0
	s_and_saveexec_b32 s0, vcc_lo
	s_cbranch_execz .LBB264_2052
.LBB264_2121:
	v_lshl_add_u32 v24, v31, 2, v32
	ds_load_b32 v24, v24 offset:448
	s_waitcnt lgkmcnt(0)
	v_add_f32_e32 v29, v24, v29
	s_or_b32 exec_lo, exec_lo, s0
	s_and_saveexec_b32 s0, vcc_lo
	s_cbranch_execnz .LBB264_2053
	s_branch .LBB264_2054
.LBB264_2122:
	ds_load_b32 v32, v31
	s_waitcnt lgkmcnt(0)
	v_add_f32_e32 v0, v32, v0
	s_or_b32 exec_lo, exec_lo, s0
	s_and_saveexec_b32 s0, vcc_lo
	s_cbranch_execz .LBB264_2060
.LBB264_2123:
	ds_load_b32 v32, v31 offset:16
	s_waitcnt lgkmcnt(0)
	v_add_f32_e32 v1, v32, v1
	s_or_b32 exec_lo, exec_lo, s0
	s_and_saveexec_b32 s0, vcc_lo
	s_cbranch_execz .LBB264_2061
.LBB264_2124:
	ds_load_b32 v32, v31 offset:32
	s_waitcnt lgkmcnt(0)
	v_add_f32_e32 v2, v32, v2
	s_or_b32 exec_lo, exec_lo, s0
	s_and_saveexec_b32 s0, vcc_lo
	s_cbranch_execz .LBB264_2062
.LBB264_2125:
	ds_load_b32 v32, v31 offset:48
	s_waitcnt lgkmcnt(0)
	v_add_f32_e32 v3, v32, v3
	s_or_b32 exec_lo, exec_lo, s0
	s_and_saveexec_b32 s0, vcc_lo
	s_cbranch_execz .LBB264_2063
.LBB264_2126:
	ds_load_b32 v32, v31 offset:64
	s_waitcnt lgkmcnt(0)
	v_add_f32_e32 v4, v32, v4
	s_or_b32 exec_lo, exec_lo, s0
	s_and_saveexec_b32 s0, vcc_lo
	s_cbranch_execz .LBB264_2064
.LBB264_2127:
	ds_load_b32 v32, v31 offset:80
	s_waitcnt lgkmcnt(0)
	v_add_f32_e32 v5, v32, v5
	s_or_b32 exec_lo, exec_lo, s0
	s_and_saveexec_b32 s0, vcc_lo
	s_cbranch_execz .LBB264_2065
.LBB264_2128:
	ds_load_b32 v32, v31 offset:96
	s_waitcnt lgkmcnt(0)
	v_add_f32_e32 v6, v32, v6
	s_or_b32 exec_lo, exec_lo, s0
	s_and_saveexec_b32 s0, vcc_lo
	s_cbranch_execz .LBB264_2066
.LBB264_2129:
	ds_load_b32 v32, v31 offset:112
	s_waitcnt lgkmcnt(0)
	v_add_f32_e32 v7, v32, v7
	s_or_b32 exec_lo, exec_lo, s0
	s_and_saveexec_b32 s0, vcc_lo
	s_cbranch_execz .LBB264_2067
.LBB264_2130:
	ds_load_b32 v32, v31 offset:128
	s_waitcnt lgkmcnt(0)
	v_add_f32_e32 v8, v32, v8
	s_or_b32 exec_lo, exec_lo, s0
	s_and_saveexec_b32 s0, vcc_lo
	s_cbranch_execz .LBB264_2068
.LBB264_2131:
	ds_load_b32 v32, v31 offset:144
	s_waitcnt lgkmcnt(0)
	v_add_f32_e32 v9, v32, v9
	s_or_b32 exec_lo, exec_lo, s0
	s_and_saveexec_b32 s0, vcc_lo
	s_cbranch_execz .LBB264_2069
.LBB264_2132:
	ds_load_b32 v32, v31 offset:160
	s_waitcnt lgkmcnt(0)
	v_add_f32_e32 v10, v32, v10
	s_or_b32 exec_lo, exec_lo, s0
	s_and_saveexec_b32 s0, vcc_lo
	s_cbranch_execz .LBB264_2070
.LBB264_2133:
	ds_load_b32 v32, v31 offset:176
	s_waitcnt lgkmcnt(0)
	v_add_f32_e32 v11, v32, v11
	s_or_b32 exec_lo, exec_lo, s0
	s_and_saveexec_b32 s0, vcc_lo
	s_cbranch_execz .LBB264_2071
.LBB264_2134:
	ds_load_b32 v32, v31 offset:192
	s_waitcnt lgkmcnt(0)
	v_add_f32_e32 v12, v32, v12
	s_or_b32 exec_lo, exec_lo, s0
	s_and_saveexec_b32 s0, vcc_lo
	s_cbranch_execz .LBB264_2072
.LBB264_2135:
	ds_load_b32 v32, v31 offset:208
	s_waitcnt lgkmcnt(0)
	v_add_f32_e32 v13, v32, v13
	s_or_b32 exec_lo, exec_lo, s0
	s_and_saveexec_b32 s0, vcc_lo
	s_cbranch_execz .LBB264_2073
.LBB264_2136:
	ds_load_b32 v32, v31 offset:224
	s_waitcnt lgkmcnt(0)
	v_add_f32_e32 v14, v32, v14
	s_or_b32 exec_lo, exec_lo, s0
	s_and_saveexec_b32 s0, vcc_lo
	s_cbranch_execz .LBB264_2074
.LBB264_2137:
	ds_load_b32 v32, v31 offset:240
	s_waitcnt lgkmcnt(0)
	v_add_f32_e32 v15, v32, v15
	s_or_b32 exec_lo, exec_lo, s0
	s_and_saveexec_b32 s0, vcc_lo
	s_cbranch_execz .LBB264_2075
.LBB264_2138:
	ds_load_b32 v32, v31 offset:256
	s_waitcnt lgkmcnt(0)
	v_add_f32_e32 v16, v32, v16
	s_or_b32 exec_lo, exec_lo, s0
	s_and_saveexec_b32 s0, vcc_lo
	s_cbranch_execz .LBB264_2076
.LBB264_2139:
	ds_load_b32 v32, v31 offset:272
	s_waitcnt lgkmcnt(0)
	v_add_f32_e32 v17, v32, v17
	s_or_b32 exec_lo, exec_lo, s0
	s_and_saveexec_b32 s0, vcc_lo
	s_cbranch_execz .LBB264_2077
.LBB264_2140:
	ds_load_b32 v32, v31 offset:288
	s_waitcnt lgkmcnt(0)
	v_add_f32_e32 v18, v32, v18
	s_or_b32 exec_lo, exec_lo, s0
	s_and_saveexec_b32 s0, vcc_lo
	s_cbranch_execz .LBB264_2078
.LBB264_2141:
	ds_load_b32 v32, v31 offset:304
	s_waitcnt lgkmcnt(0)
	v_add_f32_e32 v19, v32, v19
	s_or_b32 exec_lo, exec_lo, s0
	s_and_saveexec_b32 s0, vcc_lo
	s_cbranch_execz .LBB264_2079
.LBB264_2142:
	ds_load_b32 v32, v31 offset:320
	s_waitcnt lgkmcnt(0)
	v_add_f32_e32 v20, v32, v20
	s_or_b32 exec_lo, exec_lo, s0
	s_and_saveexec_b32 s0, vcc_lo
	s_cbranch_execz .LBB264_2080
.LBB264_2143:
	ds_load_b32 v32, v31 offset:336
	s_waitcnt lgkmcnt(0)
	v_add_f32_e32 v21, v32, v21
	s_or_b32 exec_lo, exec_lo, s0
	s_and_saveexec_b32 s0, vcc_lo
	s_cbranch_execz .LBB264_2081
.LBB264_2144:
	ds_load_b32 v32, v31 offset:352
	s_waitcnt lgkmcnt(0)
	v_add_f32_e32 v22, v32, v22
	s_or_b32 exec_lo, exec_lo, s0
	s_and_saveexec_b32 s0, vcc_lo
	s_cbranch_execz .LBB264_2082
.LBB264_2145:
	ds_load_b32 v32, v31 offset:368
	s_waitcnt lgkmcnt(0)
	v_add_f32_e32 v23, v32, v23
	s_or_b32 exec_lo, exec_lo, s0
	s_and_saveexec_b32 s0, vcc_lo
	s_cbranch_execz .LBB264_2083
.LBB264_2146:
	ds_load_b32 v32, v31 offset:384
	s_waitcnt lgkmcnt(0)
	v_add_f32_e32 v25, v32, v25
	s_or_b32 exec_lo, exec_lo, s0
	s_and_saveexec_b32 s0, vcc_lo
	s_cbranch_execz .LBB264_2084
.LBB264_2147:
	ds_load_b32 v32, v31 offset:400
	s_waitcnt lgkmcnt(0)
	v_add_f32_e32 v26, v32, v26
	s_or_b32 exec_lo, exec_lo, s0
	s_and_saveexec_b32 s0, vcc_lo
	s_cbranch_execz .LBB264_2085
.LBB264_2148:
	ds_load_b32 v32, v31 offset:416
	s_waitcnt lgkmcnt(0)
	v_add_f32_e32 v27, v32, v27
	s_or_b32 exec_lo, exec_lo, s0
	s_and_saveexec_b32 s0, vcc_lo
	s_cbranch_execz .LBB264_2086
.LBB264_2149:
	ds_load_b32 v32, v31 offset:432
	s_waitcnt lgkmcnt(0)
	v_add_f32_e32 v28, v32, v28
	s_or_b32 exec_lo, exec_lo, s0
	s_and_saveexec_b32 s0, vcc_lo
	s_cbranch_execz .LBB264_2087
.LBB264_2150:
	ds_load_b32 v32, v31 offset:448
	s_waitcnt lgkmcnt(0)
	v_add_f32_e32 v29, v32, v29
	s_or_b32 exec_lo, exec_lo, s0
	s_and_saveexec_b32 s0, vcc_lo
	s_cbranch_execnz .LBB264_2088
	s_branch .LBB264_2089
.Lfunc_end264:
	.size	_ZN4vllm22paged_attention_kernelIfhLi120ELi32ELi128ELNS_18Fp8KVCacheDataTypeE1ELb1ELi512EEEvPfS2_PT_PKS3_PKT0_S9_ifPKiSB_iPKfiiiSD_SD_iiiii, .Lfunc_end264-_ZN4vllm22paged_attention_kernelIfhLi120ELi32ELi128ELNS_18Fp8KVCacheDataTypeE1ELb1ELi512EEEvPfS2_PT_PKS3_PKT0_S9_ifPKiSB_iPKfiiiSD_SD_iiiii
                                        ; -- End function
	.section	.AMDGPU.csdata,"",@progbits
; Function info:
; codeLenInByte = 74408
; NumSgprs: 35
; NumVgprs: 192
; ScratchSize: 1240
; MemoryBound: 0
	.section	.text._ZN4vllm25paged_attention_v2_kernelIfhLi120ELi32ELi128ELNS_18Fp8KVCacheDataTypeE1ELb1ELi512EEEvPfS2_PT_PKS3_PKT0_S9_ifPKiSB_iPKfiiiSD_SD_iiiii,"axG",@progbits,_ZN4vllm25paged_attention_v2_kernelIfhLi120ELi32ELi128ELNS_18Fp8KVCacheDataTypeE1ELb1ELi512EEEvPfS2_PT_PKS3_PKT0_S9_ifPKiSB_iPKfiiiSD_SD_iiiii,comdat
	.protected	_ZN4vllm25paged_attention_v2_kernelIfhLi120ELi32ELi128ELNS_18Fp8KVCacheDataTypeE1ELb1ELi512EEEvPfS2_PT_PKS3_PKT0_S9_ifPKiSB_iPKfiiiSD_SD_iiiii ; -- Begin function _ZN4vllm25paged_attention_v2_kernelIfhLi120ELi32ELi128ELNS_18Fp8KVCacheDataTypeE1ELb1ELi512EEEvPfS2_PT_PKS3_PKT0_S9_ifPKiSB_iPKfiiiSD_SD_iiiii
	.globl	_ZN4vllm25paged_attention_v2_kernelIfhLi120ELi32ELi128ELNS_18Fp8KVCacheDataTypeE1ELb1ELi512EEEvPfS2_PT_PKS3_PKT0_S9_ifPKiSB_iPKfiiiSD_SD_iiiii
	.p2align	8
	.type	_ZN4vllm25paged_attention_v2_kernelIfhLi120ELi32ELi128ELNS_18Fp8KVCacheDataTypeE1ELb1ELi512EEEvPfS2_PT_PKS3_PKT0_S9_ifPKiSB_iPKfiiiSD_SD_iiiii,@function
_ZN4vllm25paged_attention_v2_kernelIfhLi120ELi32ELi128ELNS_18Fp8KVCacheDataTypeE1ELb1ELi512EEEvPfS2_PT_PKS3_PKT0_S9_ifPKiSB_iPKfiiiSD_SD_iiiii: ; @_ZN4vllm25paged_attention_v2_kernelIfhLi120ELi32ELi128ELNS_18Fp8KVCacheDataTypeE1ELb1ELi512EEEvPfS2_PT_PKS3_PKT0_S9_ifPKiSB_iPKfiiiSD_SD_iiiii
; %bb.0:
	s_mov_b32 s12, s13
	s_clause 0x7
	s_load_b128 s[4:7], s[0:1], 0x78
	s_load_b32 s8, s[0:1], 0x88
	s_load_b256 s[24:31], s[0:1], 0x0
	s_load_b256 s[36:43], s[0:1], 0x20
	s_load_b64 s[2:3], s[0:1], 0x40
	s_load_b64 s[10:11], s[0:1], 0x50
	s_load_b32 s13, s[0:1], 0x48
	s_load_b256 s[16:23], s[0:1], 0x58
	s_mov_b32 s32, 0
	v_mov_b32_e32 v31, v0
	s_waitcnt lgkmcnt(0)
	v_dual_mov_b32 v1, s7 :: v_dual_mov_b32 v2, s8
	v_dual_mov_b32 v0, s24 :: v_dual_mov_b32 v3, s27
	;; [unrolled: 1-line block ×3, first 2 shown]
	v_mov_b32_e32 v6, s30
	scratch_store_b64 off, v[1:2], s32
	v_dual_mov_b32 v1, s25 :: v_dual_mov_b32 v2, s26
	v_dual_mov_b32 v7, s31 :: v_dual_mov_b32 v8, s36
	v_dual_mov_b32 v9, s37 :: v_dual_mov_b32 v10, s38
	v_dual_mov_b32 v11, s39 :: v_dual_mov_b32 v12, s40
	v_dual_mov_b32 v13, s41 :: v_dual_mov_b32 v14, s42
	v_dual_mov_b32 v15, s43 :: v_dual_mov_b32 v16, s2
	v_dual_mov_b32 v17, s3 :: v_dual_mov_b32 v18, s13
	v_dual_mov_b32 v19, s10 :: v_dual_mov_b32 v20, s11
	v_dual_mov_b32 v21, s16 :: v_dual_mov_b32 v22, s17
	v_dual_mov_b32 v23, s18 :: v_dual_mov_b32 v24, s20
	v_dual_mov_b32 v25, s21 :: v_dual_mov_b32 v26, s22
	v_dual_mov_b32 v27, s23 :: v_dual_mov_b32 v28, s4
	v_dual_mov_b32 v29, s5 :: v_dual_mov_b32 v30, s6
	s_add_u32 s8, s0, 0x90
	s_addc_u32 s9, s1, 0
	s_mov_b32 s13, s14
	s_mov_b32 s14, s15
	;; [unrolled: 1-line block ×3, first 2 shown]
	s_getpc_b64 s[0:1]
	s_add_u32 s0, s0, _ZN4vllm22paged_attention_kernelIfhLi120ELi32ELi128ELNS_18Fp8KVCacheDataTypeE1ELb1ELi512EEEvPfS2_PT_PKS3_PKT0_S9_ifPKiSB_iPKfiiiSD_SD_iiiii@rel32@lo+4
	s_addc_u32 s1, s1, _ZN4vllm22paged_attention_kernelIfhLi120ELi32ELi128ELNS_18Fp8KVCacheDataTypeE1ELb1ELi512EEEvPfS2_PT_PKS3_PKT0_S9_ifPKiSB_iPKfiiiSD_SD_iiiii@rel32@hi+12
	s_delay_alu instid0(SALU_CYCLE_1)
	s_swappc_b64 s[30:31], s[0:1]
	s_endpgm
	.section	.rodata,"a",@progbits
	.p2align	6, 0x0
	.amdhsa_kernel _ZN4vllm25paged_attention_v2_kernelIfhLi120ELi32ELi128ELNS_18Fp8KVCacheDataTypeE1ELb1ELi512EEEvPfS2_PT_PKS3_PKT0_S9_ifPKiSB_iPKfiiiSD_SD_iiiii
		.amdhsa_group_segment_fixed_size 512
		.amdhsa_private_segment_fixed_size 1240
		.amdhsa_kernarg_size 400
		.amdhsa_user_sgpr_count 13
		.amdhsa_user_sgpr_dispatch_ptr 0
		.amdhsa_user_sgpr_queue_ptr 0
		.amdhsa_user_sgpr_kernarg_segment_ptr 1
		.amdhsa_user_sgpr_dispatch_id 0
		.amdhsa_user_sgpr_private_segment_size 0
		.amdhsa_wavefront_size32 1
		.amdhsa_uses_dynamic_stack 0
		.amdhsa_enable_private_segment 1
		.amdhsa_system_sgpr_workgroup_id_x 1
		.amdhsa_system_sgpr_workgroup_id_y 1
		.amdhsa_system_sgpr_workgroup_id_z 1
		.amdhsa_system_sgpr_workgroup_info 0
		.amdhsa_system_vgpr_workitem_id 0
		.amdhsa_next_free_vgpr 192
		.amdhsa_next_free_sgpr 44
		.amdhsa_reserve_vcc 1
		.amdhsa_float_round_mode_32 0
		.amdhsa_float_round_mode_16_64 0
		.amdhsa_float_denorm_mode_32 3
		.amdhsa_float_denorm_mode_16_64 3
		.amdhsa_dx10_clamp 1
		.amdhsa_ieee_mode 1
		.amdhsa_fp16_overflow 0
		.amdhsa_workgroup_processor_mode 1
		.amdhsa_memory_ordered 1
		.amdhsa_forward_progress 0
		.amdhsa_shared_vgpr_count 0
		.amdhsa_exception_fp_ieee_invalid_op 0
		.amdhsa_exception_fp_denorm_src 0
		.amdhsa_exception_fp_ieee_div_zero 0
		.amdhsa_exception_fp_ieee_overflow 0
		.amdhsa_exception_fp_ieee_underflow 0
		.amdhsa_exception_fp_ieee_inexact 0
		.amdhsa_exception_int_div_zero 0
	.end_amdhsa_kernel
	.section	.text._ZN4vllm25paged_attention_v2_kernelIfhLi120ELi32ELi128ELNS_18Fp8KVCacheDataTypeE1ELb1ELi512EEEvPfS2_PT_PKS3_PKT0_S9_ifPKiSB_iPKfiiiSD_SD_iiiii,"axG",@progbits,_ZN4vllm25paged_attention_v2_kernelIfhLi120ELi32ELi128ELNS_18Fp8KVCacheDataTypeE1ELb1ELi512EEEvPfS2_PT_PKS3_PKT0_S9_ifPKiSB_iPKfiiiSD_SD_iiiii,comdat
.Lfunc_end265:
	.size	_ZN4vllm25paged_attention_v2_kernelIfhLi120ELi32ELi128ELNS_18Fp8KVCacheDataTypeE1ELb1ELi512EEEvPfS2_PT_PKS3_PKT0_S9_ifPKiSB_iPKfiiiSD_SD_iiiii, .Lfunc_end265-_ZN4vllm25paged_attention_v2_kernelIfhLi120ELi32ELi128ELNS_18Fp8KVCacheDataTypeE1ELb1ELi512EEEvPfS2_PT_PKS3_PKT0_S9_ifPKiSB_iPKfiiiSD_SD_iiiii
                                        ; -- End function
	.section	.AMDGPU.csdata,"",@progbits
; Kernel info:
; codeLenInByte = 280
; NumSgprs: 46
; NumVgprs: 192
; ScratchSize: 1240
; MemoryBound: 0
; FloatMode: 240
; IeeeMode: 1
; LDSByteSize: 512 bytes/workgroup (compile time only)
; SGPRBlocks: 5
; VGPRBlocks: 23
; NumSGPRsForWavesPerEU: 46
; NumVGPRsForWavesPerEU: 192
; Occupancy: 8
; WaveLimiterHint : 1
; COMPUTE_PGM_RSRC2:SCRATCH_EN: 1
; COMPUTE_PGM_RSRC2:USER_SGPR: 13
; COMPUTE_PGM_RSRC2:TRAP_HANDLER: 0
; COMPUTE_PGM_RSRC2:TGID_X_EN: 1
; COMPUTE_PGM_RSRC2:TGID_Y_EN: 1
; COMPUTE_PGM_RSRC2:TGID_Z_EN: 1
; COMPUTE_PGM_RSRC2:TIDIG_COMP_CNT: 0
	.text
	.p2align	2                               ; -- Begin function _ZN4vllm22paged_attention_kernelIfhLi128ELi32ELi128ELNS_18Fp8KVCacheDataTypeE1ELb1ELi512EEEvPfS2_PT_PKS3_PKT0_S9_ifPKiSB_iPKfiiiSD_SD_iiiii
	.type	_ZN4vllm22paged_attention_kernelIfhLi128ELi32ELi128ELNS_18Fp8KVCacheDataTypeE1ELb1ELi512EEEvPfS2_PT_PKS3_PKT0_S9_ifPKiSB_iPKfiiiSD_SD_iiiii,@function
_ZN4vllm22paged_attention_kernelIfhLi128ELi32ELi128ELNS_18Fp8KVCacheDataTypeE1ELb1ELi512EEEvPfS2_PT_PKS3_PKT0_S9_ifPKiSB_iPKfiiiSD_SD_iiiii: ; @_ZN4vllm22paged_attention_kernelIfhLi128ELi32ELi128ELNS_18Fp8KVCacheDataTypeE1ELb1ELi512EEEvPfS2_PT_PKS3_PKT0_S9_ifPKiSB_iPKfiiiSD_SD_iiiii
; %bb.0:
	s_waitcnt vmcnt(0) expcnt(0) lgkmcnt(0)
	s_clause 0x1f
	scratch_store_b32 off, v40, s32 offset:324
	; meta instruction
	scratch_store_b32 off, v41, s32 offset:320
	; meta instruction
	;; [unrolled: 2-line block ×31, first 2 shown]
	scratch_store_b32 off, v95, s32 offset:200
	s_clause 0x1f
	scratch_store_b32 off, v104, s32 offset:196
	; meta instruction
	scratch_store_b32 off, v105, s32 offset:192
	; meta instruction
	;; [unrolled: 2-line block ×31, first 2 shown]
	scratch_store_b32 off, v159, s32 offset:72
	s_clause 0xf
	scratch_store_b32 off, v168, s32 offset:68
	; meta instruction
	scratch_store_b32 off, v169, s32 offset:64
	; meta instruction
	;; [unrolled: 2-line block ×15, first 2 shown]
	scratch_store_b32 off, v191, s32 offset:8
	s_mov_b32 s10, s13
	s_ashr_i32 s11, s13, 31
	v_dual_mov_b32 v32, v1 :: v_dual_mov_b32 v33, v0
	s_lshl_b64 s[0:1], s[10:11], 2
	s_clause 0x3
	scratch_store_b64 off, v[26:27], s32 offset:696
	scratch_store_b64 off, v[24:25], s32 offset:704
	scratch_store_b32 off, v22, s32 offset:676
	scratch_store_b32 off, v13, s32 offset:712
	v_add_co_u32 v0, vcc_lo, v16, s0
	v_add_co_ci_u32_e32 v1, vcc_lo, s1, v17, vcc_lo
	s_clause 0x1
	scratch_store_b32 off, v5, s32 offset:1252
	scratch_store_b32 off, v4, s32 offset:1256
	v_dual_mov_b32 v34, v3 :: v_dual_mov_b32 v35, v2
	flat_load_b32 v47, v[0:1]
	s_clause 0x1
	scratch_load_b32 v2, off, s32 offset:4
	scratch_load_b32 v3, off, s32
	v_dual_mov_b32 v86, v11 :: v_dual_mov_b32 v87, v10
	s_mov_b32 s6, s15
	s_lshl_b32 s15, s14, 9
	s_mov_b32 s18, exec_lo
	s_waitcnt vmcnt(2) lgkmcnt(0)
	v_cmpx_lt_i32_e64 s15, v47
	s_cbranch_execz .LBB266_2228
; %bb.1:
	v_sub_nc_u32_e32 v0, 0, v12
	s_clause 0x1
	s_load_b32 s0, s[8:9], 0x10
	s_load_b32 s1, s[8:9], 0x0
	s_delay_alu instid0(VALU_DEP_1) | instskip(NEXT) | instid1(VALU_DEP_1)
	v_max_i32_e32 v0, v12, v0
	v_cvt_f32_u32_e32 v1, v0
	v_sub_nc_u32_e32 v4, 0, v0
	s_delay_alu instid0(VALU_DEP_2) | instskip(SKIP_2) | instid1(SALU_CYCLE_1)
	v_rcp_iflag_f32_e32 v1, v1
	s_waitcnt lgkmcnt(0)
	s_lshr_b32 s0, s0, 16
	s_cmp_lg_u32 s0, 0
	s_cselect_b32 s0, -1, 0
	s_waitcnt_depctr 0xfff
	v_mul_f32_e32 v1, 0x4f7ffffe, v1
	s_cmp_lg_u32 s0, 0
	s_addc_u32 s11, s1, 0
	s_mov_b32 s1, exec_lo
	s_delay_alu instid0(VALU_DEP_1) | instskip(SKIP_1) | instid1(VALU_DEP_1)
	v_cvt_u32_f32_e32 v1, v1
	s_abs_i32 s0, s11
	v_mul_lo_u32 v4, v4, v1
	s_delay_alu instid0(VALU_DEP_1) | instskip(NEXT) | instid1(VALU_DEP_1)
	v_mul_hi_u32 v4, v1, v4
	v_add_nc_u32_e32 v1, v1, v4
	s_delay_alu instid0(VALU_DEP_1) | instskip(NEXT) | instid1(VALU_DEP_1)
	v_mul_hi_u32 v1, s0, v1
	v_mul_lo_u32 v4, v1, v0
	v_add_nc_u32_e32 v5, 1, v1
	s_delay_alu instid0(VALU_DEP_2) | instskip(SKIP_1) | instid1(VALU_DEP_1)
	v_sub_nc_u32_e32 v4, s0, v4
	s_abs_i32 s0, s12
	v_sub_nc_u32_e32 v10, v4, v0
	v_cmp_ge_u32_e32 vcc_lo, v4, v0
	s_delay_alu instid0(VALU_DEP_2) | instskip(SKIP_1) | instid1(VALU_DEP_2)
	v_dual_cndmask_b32 v1, v1, v5 :: v_dual_cndmask_b32 v4, v4, v10
	v_xor_b32_e32 v5, s11, v12
	v_add_nc_u32_e32 v10, 1, v1
	s_delay_alu instid0(VALU_DEP_3) | instskip(NEXT) | instid1(VALU_DEP_3)
	v_cmp_ge_u32_e32 vcc_lo, v4, v0
	v_ashrrev_i32_e32 v5, 31, v5
	s_delay_alu instid0(VALU_DEP_3) | instskip(NEXT) | instid1(VALU_DEP_1)
	v_cndmask_b32_e32 v0, v1, v10, vcc_lo
	v_xor_b32_e32 v0, v0, v5
	s_delay_alu instid0(VALU_DEP_1) | instskip(NEXT) | instid1(VALU_DEP_1)
	v_sub_nc_u32_e32 v5, v0, v5
	v_sub_nc_u32_e32 v0, 0, v5
	s_delay_alu instid0(VALU_DEP_1) | instskip(NEXT) | instid1(VALU_DEP_1)
	v_max_i32_e32 v4, v5, v0
	v_cvt_f32_u32_e32 v0, v4
	v_sub_nc_u32_e32 v1, 0, v4
	s_delay_alu instid0(VALU_DEP_2) | instskip(SKIP_2) | instid1(VALU_DEP_1)
	v_rcp_iflag_f32_e32 v0, v0
	s_waitcnt_depctr 0xfff
	v_mul_f32_e32 v0, 0x4f7ffffe, v0
	v_cvt_u32_f32_e32 v0, v0
	s_delay_alu instid0(VALU_DEP_1) | instskip(NEXT) | instid1(VALU_DEP_1)
	v_mul_lo_u32 v1, v1, v0
	v_mul_hi_u32 v1, v0, v1
	s_delay_alu instid0(VALU_DEP_1) | instskip(NEXT) | instid1(VALU_DEP_1)
	v_add_nc_u32_e32 v10, v0, v1
	v_mad_u64_u32 v[0:1], null, s0, v10, 0
	v_mov_b32_e32 v0, 0
	scratch_store_b32 off, v0, s32 offset:716 ; 4-byte Folded Spill
	v_cmpx_ne_u64_e32 0, v[19:20]
	s_cbranch_execz .LBB266_3
; %bb.2:
	s_ashr_i32 s13, s12, 31
	s_delay_alu instid0(SALU_CYCLE_1) | instskip(NEXT) | instid1(SALU_CYCLE_1)
	s_lshl_b64 s[2:3], s[12:13], 2
	v_add_co_u32 v10, vcc_lo, v19, s2
	v_add_co_ci_u32_e32 v11, vcc_lo, s3, v20, vcc_lo
	flat_load_b32 v0, v[10:11]
	s_waitcnt vmcnt(0) lgkmcnt(0)
	scratch_store_b32 off, v0, s32 offset:716 ; 4-byte Folded Spill
.LBB266_3:
	s_or_b32 exec_lo, exec_lo, s1
	v_and_b32_e32 v19, 0x3ff, v31
	v_ashrrev_i32_e32 v0, 31, v5
	s_ashr_i32 s1, s12, 31
	s_lshl_b32 s4, s12, 7
	s_mov_b32 s2, exec_lo
	v_cmpx_gt_u32_e32 32, v19
	s_cbranch_execz .LBB266_5
; %bb.4:
	v_mul_lo_u32 v10, s10, v21
	s_ashr_i32 s5, s4, 31
	v_lshlrev_b32_e32 v17, 4, v19
	s_lshl_b64 s[16:17], s[4:5], 2
	s_delay_alu instid0(VALU_DEP_2) | instskip(NEXT) | instid1(VALU_DEP_1)
	v_ashrrev_i32_e32 v11, 31, v10
	v_lshlrev_b64 v[10:11], 2, v[10:11]
	s_delay_alu instid0(VALU_DEP_1) | instskip(NEXT) | instid1(VALU_DEP_2)
	v_add_co_u32 v5, vcc_lo, v6, v10
	v_add_co_ci_u32_e32 v6, vcc_lo, v7, v11, vcc_lo
	s_delay_alu instid0(VALU_DEP_2) | instskip(NEXT) | instid1(VALU_DEP_2)
	v_add_co_u32 v5, vcc_lo, v5, s16
	v_add_co_ci_u32_e32 v6, vcc_lo, s17, v6, vcc_lo
	s_delay_alu instid0(VALU_DEP_2) | instskip(NEXT) | instid1(VALU_DEP_2)
	v_add_co_u32 v5, vcc_lo, v5, v17
	v_add_co_ci_u32_e32 v6, vcc_lo, 0, v6, vcc_lo
	flat_load_b128 v[24:27], v[5:6]
	s_waitcnt vmcnt(0) lgkmcnt(0)
	ds_store_b128 v17, v[24:27]
.LBB266_5:
	s_or_b32 exec_lo, exec_lo, s2
	s_waitcnt vmcnt(0)
	v_sub_nc_u32_e32 v5, 0, v3
	v_mul_lo_u32 v6, v1, v4
	v_xor_b32_e32 v16, s1, v0
	s_delay_alu instid0(VALU_DEP_3) | instskip(NEXT) | instid1(VALU_DEP_3)
	v_max_i32_e32 v10, v3, v5
	v_sub_nc_u32_e32 v6, s0, v6
	s_delay_alu instid0(VALU_DEP_2) | instskip(SKIP_1) | instid1(VALU_DEP_2)
	v_cvt_f32_u32_e32 v5, v10
	s_mov_b32 s0, exec_lo
	v_sub_nc_u32_e32 v11, v6, v4
	s_delay_alu instid0(VALU_DEP_2) | instskip(SKIP_3) | instid1(VALU_DEP_1)
	v_rcp_iflag_f32_e32 v5, v5
	v_cmp_ge_u32_e32 vcc_lo, v6, v4
	s_waitcnt_depctr 0xfff
	v_dual_cndmask_b32 v6, v6, v11 :: v_dual_mul_f32 v5, 0x4f7ffffe, v5
	v_cvt_u32_f32_e32 v7, v5
	v_sub_nc_u32_e32 v5, 0, v10
	s_delay_alu instid0(VALU_DEP_1) | instskip(NEXT) | instid1(VALU_DEP_1)
	v_mul_lo_u32 v13, v5, v7
	v_mul_hi_u32 v11, v7, v13
	s_delay_alu instid0(VALU_DEP_1)
	v_add_nc_u32_e32 v7, v7, v11
	scratch_store_b32 off, v10, s32 offset:328 ; 4-byte Folded Spill
	v_add_nc_u32_e32 v10, 1, v1
	scratch_store_b32 off, v7, s32 offset:348 ; 4-byte Folded Spill
	s_waitcnt lgkmcnt(0)
	s_waitcnt_vscnt null, 0x0
	v_cndmask_b32_e32 v1, v1, v10, vcc_lo
	v_cmp_ge_u32_e32 vcc_lo, v6, v4
	s_barrier
	buffer_gl0_inv
	v_add_nc_u32_e32 v10, 1, v1
	s_delay_alu instid0(VALU_DEP_1) | instskip(NEXT) | instid1(VALU_DEP_1)
	v_dual_cndmask_b32 v0, v1, v10 :: v_dual_add_nc_u32 v5, -1, v47
	v_sub_nc_u32_e32 v13, 0, v5
	s_delay_alu instid0(VALU_DEP_2) | instskip(NEXT) | instid1(VALU_DEP_2)
	v_xor_b32_e32 v6, v0, v16
	v_max_i32_e32 v4, v5, v13
	s_delay_alu instid0(VALU_DEP_1) | instskip(NEXT) | instid1(VALU_DEP_3)
	v_mad_u64_u32 v[0:1], null, v4, v7, 0
	v_sub_nc_u32_e32 v0, v6, v16
                                        ; implicit-def: $vgpr6
	scratch_store_b64 off, v[6:7], s32 offset:332 ; 8-byte Folded Spill
	v_cmpx_gt_i32_e32 0, v2
	s_xor_b32 s0, exec_lo, s0
	s_cbranch_execz .LBB266_7
; %bb.6:
	v_mad_u64_u32 v[6:7], null, v28, v12, v[0:1]
                                        ; implicit-def: $vgpr28
	s_delay_alu instid0(VALU_DEP_1) | instskip(NEXT) | instid1(VALU_DEP_1)
	v_mul_lo_u32 v2, v6, v2
	v_sub_nc_u32_e32 v2, 1, v2
	scratch_store_b64 off, v[2:3], s32 offset:332 ; 8-byte Folded Spill
                                        ; implicit-def: $vgpr2
.LBB266_7:
	s_or_saveexec_b32 s0, s0
	v_ashrrev_i32_e32 v5, 31, v5
	v_ashrrev_i32_e32 v3, 31, v3
	scratch_store_b32 off, v3, s32 offset:340 ; 4-byte Folded Spill
	s_xor_b32 exec_lo, exec_lo, s0
	s_cbranch_execz .LBB266_9
; %bb.8:
	v_mad_u64_u32 v[6:7], null, s11, v28, s[12:13]
	s_delay_alu instid0(VALU_DEP_1)
	v_mad_u64_u32 v[10:11], null, v6, v2, 1
	scratch_store_b64 off, v[10:11], s32 offset:332 ; 8-byte Folded Spill
.LBB266_9:
	s_or_b32 exec_lo, exec_lo, s0
	scratch_load_b32 v12, off, s32 offset:328 ; 4-byte Folded Reload
	s_clause 0x1
	s_load_b32 s19, s[8:9], 0x14
	s_load_b32 s5, s[8:9], 0x8
	scratch_load_b32 v7, off, s32 offset:340 ; 4-byte Folded Reload
	v_add_nc_u32_e32 v6, 1, v1
	v_mul_lo_u32 v13, v0, v23
	v_lshrrev_b32_e32 v11, 5, v19
	s_lshl_b32 s13, s14, 4
	v_sub_nc_u32_e32 v17, 0, v30
	s_add_i32 s0, s13, 16
	s_delay_alu instid0(VALU_DEP_2)
	v_add_nc_u32_e32 v120, s13, v11
	v_lshl_add_u32 v22, v11, 5, s15
	scratch_store_b32 off, v11, s32 offset:1248 ; 4-byte Folded Spill
	v_ashrrev_i32_e32 v121, 31, v120
	s_waitcnt vmcnt(1)
	v_mul_lo_u32 v2, v1, v12
	s_waitcnt vmcnt(0)
	v_xor_b32_e32 v5, v5, v7
	s_delay_alu instid0(VALU_DEP_2) | instskip(SKIP_2) | instid1(VALU_DEP_3)
	v_sub_nc_u32_e32 v4, v4, v2
	v_mul_lo_u32 v2, s10, v18
	v_ashrrev_i32_e32 v18, 31, v13
	v_sub_nc_u32_e32 v10, v4, v12
	v_cmp_ge_u32_e32 vcc_lo, v4, v12
	s_delay_alu instid0(VALU_DEP_2) | instskip(NEXT) | instid1(VALU_DEP_1)
	v_dual_cndmask_b32 v4, v4, v10 :: v_dual_add_nc_u32 v3, 31, v47
	v_ashrrev_i32_e32 v7, 31, v3
	v_dual_cndmask_b32 v1, v1, v6 :: v_dual_and_b32 v10, 31, v19
	s_delay_alu instid0(VALU_DEP_3) | instskip(NEXT) | instid1(VALU_DEP_3)
	v_cmp_ge_u32_e32 vcc_lo, v4, v12
	v_lshrrev_b32_e32 v6, 27, v7
	s_delay_alu instid0(VALU_DEP_3) | instskip(NEXT) | instid1(VALU_DEP_2)
	v_add_nc_u32_e32 v7, 1, v1
	v_add_nc_u32_e32 v3, v3, v6
	s_delay_alu instid0(VALU_DEP_2) | instskip(NEXT) | instid1(VALU_DEP_2)
	v_cndmask_b32_e32 v1, v1, v7, vcc_lo
	v_ashrrev_i32_e32 v16, 5, v3
	s_delay_alu instid0(VALU_DEP_2) | instskip(SKIP_1) | instid1(VALU_DEP_3)
	v_xor_b32_e32 v0, v1, v5
	v_ashrrev_i32_e32 v3, 31, v2
	v_min_i32_e32 v1, s0, v16
	s_delay_alu instid0(VALU_DEP_3)
	v_sub_nc_u32_e32 v0, v0, v5
	scratch_store_b32 off, v19, s32 offset:1244 ; 4-byte Folded Spill
	v_lshlrev_b64 v[11:12], 2, v[2:3]
	v_mov_b32_e32 v19, 0xff7fffff
	scratch_store_b32 off, v1, s32 offset:344 ; 4-byte Folded Spill
	v_sub_nc_u32_e32 v0, v0, v29
	v_cmp_lt_i32_e64 s0, v120, v1
	s_clause 0x1
	scratch_store_b32 off, v0, s32 offset:352
	scratch_store_b32 off, v10, s32 offset:692
	v_lshlrev_b32_e32 v10, 2, v10
	s_and_saveexec_b32 s20, s0
	s_cbranch_execz .LBB266_1041
; %bb.10:
	s_clause 0x8
	scratch_store_b32 off, v16, s32 offset:1308
	scratch_store_b32 off, v35, s32 offset:1292
	;; [unrolled: 1-line block ×9, first 2 shown]
	s_clause 0x1
	scratch_load_b32 v6, off, s32 offset:692
	scratch_load_b32 v1, off, s32 offset:716
	v_max_i32_e32 v7, v30, v17
	v_add_co_u32 v2, vcc_lo, v8, v13
	v_add_co_ci_u32_e32 v3, vcc_lo, v9, v18, vcc_lo
	s_delay_alu instid0(VALU_DEP_3)
	v_cvt_f32_u32_e32 v0, v7
	s_clause 0x1
	scratch_store_b32 off, v13, s32 offset:1304
	scratch_store_b32 off, v18, s32 offset:1316
	s_ashr_i32 s7, s6, 31
	s_getpc_b64 s[2:3]
	s_add_u32 s2, s2, llvm.amdgcn.dynlds.offset.table@rel32@lo+4
	s_addc_u32 s3, s3, llvm.amdgcn.dynlds.offset.table@rel32@hi+12
	v_rcp_iflag_f32_e32 v5, v0
	s_lshl_b64 s[8:9], s[6:7], 2
	s_mov_b32 s16, 0
	s_add_u32 s8, s8, s2
	s_addc_u32 s9, s9, s3
	s_brev_b32 s17, 1
	s_mov_b32 s3, 0x7f800001
	s_mov_b32 s21, s16
	s_waitcnt vmcnt(1)
	v_dual_mov_b32 v29, 0 :: v_dual_lshlrev_b32 v4, 4, v6
	s_waitcnt vmcnt(0)
	v_cmp_neq_f32_e32 vcc_lo, 0, v1
	v_lshlrev_b64 v[0:1], 2, v[120:121]
	s_delay_alu instid0(VALU_DEP_3) | instskip(NEXT) | instid1(VALU_DEP_1)
	v_add_co_u32 v2, s1, v2, v4
	v_add_co_ci_u32_e64 v3, s1, 0, v3, s1
	s_delay_alu instid0(VALU_DEP_3) | instskip(NEXT) | instid1(VALU_DEP_1)
	v_add_co_u32 v0, s1, v11, v0
	v_add_co_ci_u32_e64 v1, s1, v12, v1, s1
	s_clause 0x1
	scratch_store_b64 off, v[2:3], s32 offset:720
	scratch_store_b32 off, v7, s32 offset:680
	v_add_co_u32 v126, s1, v14, v0
	scratch_load_b32 v0, off, s32 offset:1248 ; 4-byte Folded Reload
	v_mul_f32_e32 v3, 0x4f7ffffe, v5
	v_sub_nc_u32_e32 v2, 0, v7
	ds_load_b128 v[16:19], v29
	s_load_b32 s7, s[8:9], 0x0
	v_add_co_ci_u32_e64 v127, s1, v15, v1, s1
	v_cvt_u32_f32_e32 v3, v3
	s_clause 0x3
	scratch_store_b32 off, v15, s32 offset:1260
	scratch_store_b32 off, v14, s32 offset:1264
	scratch_store_b64 off, v[11:12], s32 offset:1296
	scratch_store_b32 off, v10, s32 offset:1320
	v_mul_lo_u32 v2, v2, v3
	s_delay_alu instid0(VALU_DEP_1) | instskip(NEXT) | instid1(VALU_DEP_1)
	v_mul_hi_u32 v2, v3, v2
	v_add_nc_u32_e32 v2, v3, v2
	scratch_store_b32 off, v2, s32 offset:684 ; 4-byte Folded Spill
	ds_load_b128 v[2:5], v29 offset:320
	s_waitcnt lgkmcnt(0)
	scratch_store_b128 off, v[16:19], s32 offset:728 ; 16-byte Folded Spill
	ds_load_b128 v[16:19], v29 offset:16
	scratch_store_b128 off, v[2:5], s32 offset:1048 ; 16-byte Folded Spill
	ds_load_b128 v[2:5], v29 offset:336
	s_waitcnt lgkmcnt(1)
	scratch_store_b128 off, v[16:19], s32 offset:744 ; 16-byte Folded Spill
	ds_load_b128 v[16:19], v29 offset:32
	s_waitcnt lgkmcnt(1)
	scratch_store_b128 off, v[2:5], s32 offset:1064 ; 16-byte Folded Spill
	ds_load_b128 v[2:5], v29 offset:352
	s_waitcnt lgkmcnt(1)
	scratch_store_b128 off, v[16:19], s32 offset:760 ; 16-byte Folded Spill
	ds_load_b128 v[16:19], v29 offset:48
	s_waitcnt lgkmcnt(1)
	scratch_store_b128 off, v[2:5], s32 offset:1080 ; 16-byte Folded Spill
	ds_load_b128 v[2:5], v29 offset:368
	s_waitcnt lgkmcnt(1)
	scratch_store_b128 off, v[16:19], s32 offset:776 ; 16-byte Folded Spill
	ds_load_b128 v[16:19], v29 offset:64
	s_waitcnt lgkmcnt(1)
	scratch_store_b128 off, v[2:5], s32 offset:1096 ; 16-byte Folded Spill
	ds_load_b128 v[2:5], v29 offset:384
	s_waitcnt lgkmcnt(1)
	scratch_store_b128 off, v[16:19], s32 offset:792 ; 16-byte Folded Spill
	ds_load_b128 v[16:19], v29 offset:80
	s_waitcnt lgkmcnt(1)
	scratch_store_b128 off, v[2:5], s32 offset:1112 ; 16-byte Folded Spill
	ds_load_b128 v[2:5], v29 offset:400
	s_waitcnt lgkmcnt(1)
	scratch_store_b128 off, v[16:19], s32 offset:808 ; 16-byte Folded Spill
	ds_load_b128 v[16:19], v29 offset:96
	s_waitcnt lgkmcnt(1)
	scratch_store_b128 off, v[2:5], s32 offset:1128 ; 16-byte Folded Spill
	ds_load_b128 v[2:5], v29 offset:416
	s_waitcnt lgkmcnt(1)
	scratch_store_b128 off, v[16:19], s32 offset:824 ; 16-byte Folded Spill
	ds_load_b128 v[16:19], v29 offset:112
	s_waitcnt lgkmcnt(1)
	scratch_store_b128 off, v[2:5], s32 offset:1144 ; 16-byte Folded Spill
	ds_load_b128 v[2:5], v29 offset:432
	s_waitcnt lgkmcnt(1)
	scratch_store_b128 off, v[16:19], s32 offset:840 ; 16-byte Folded Spill
	ds_load_b128 v[16:19], v29 offset:128
	s_waitcnt lgkmcnt(1)
	scratch_store_b128 off, v[2:5], s32 offset:1160 ; 16-byte Folded Spill
	ds_load_b128 v[2:5], v29 offset:448
	s_waitcnt lgkmcnt(1)
	scratch_store_b128 off, v[16:19], s32 offset:856 ; 16-byte Folded Spill
	ds_load_b128 v[16:19], v29 offset:144
	s_waitcnt lgkmcnt(1)
	scratch_store_b128 off, v[2:5], s32 offset:1176 ; 16-byte Folded Spill
	ds_load_b128 v[2:5], v29 offset:464
	s_waitcnt lgkmcnt(1)
	scratch_store_b128 off, v[16:19], s32 offset:872 ; 16-byte Folded Spill
	ds_load_b128 v[16:19], v29 offset:160
	s_waitcnt lgkmcnt(1)
	scratch_store_b128 off, v[2:5], s32 offset:1192 ; 16-byte Folded Spill
	ds_load_b128 v[2:5], v29 offset:480
	s_waitcnt lgkmcnt(1)
	scratch_store_b128 off, v[16:19], s32 offset:888 ; 16-byte Folded Spill
	ds_load_b128 v[16:19], v29 offset:176
	s_waitcnt lgkmcnt(1)
	scratch_store_b128 off, v[2:5], s32 offset:1208 ; 16-byte Folded Spill
	ds_load_b128 v[2:5], v29 offset:496
	s_waitcnt lgkmcnt(1)
	scratch_store_b128 off, v[16:19], s32 offset:904 ; 16-byte Folded Spill
	ds_load_b128 v[16:19], v29 offset:192
	s_waitcnt lgkmcnt(1)
	scratch_store_b128 off, v[2:5], s32 offset:1224 ; 16-byte Folded Spill
	v_sub_nc_u32_e32 v2, v6, v47
	v_mov_b32_e32 v6, v120
	s_waitcnt vmcnt(0)
	v_lshl_add_u32 v30, v0, 5, s15
	v_lshl_or_b32 v27, v0, 7, v10
	v_add_nc_u32_e32 v0, 1, v2
	s_waitcnt lgkmcnt(0)
	scratch_store_b128 off, v[16:19], s32 offset:920 ; 16-byte Folded Spill
	ds_load_b128 v[16:19], v29 offset:208
	scratch_store_b32 off, v0, s32 offset:1240 ; 4-byte Folded Spill
	s_waitcnt lgkmcnt(0)
	scratch_store_b128 off, v[16:19], s32 offset:936 ; 16-byte Folded Spill
	ds_load_b128 v[16:19], v29 offset:224
	s_waitcnt lgkmcnt(0)
	scratch_store_b128 off, v[16:19], s32 offset:952 ; 16-byte Folded Spill
	ds_load_b128 v[16:19], v29 offset:240
	;; [unrolled: 3-line block ×6, first 2 shown]
	s_waitcnt lgkmcnt(0)
	scratch_store_b128 off, v[16:19], s32 offset:1032 ; 16-byte Folded Spill
	v_mov_b32_e32 v19, 0xff7fffff
	s_branch .LBB266_16
.LBB266_11:                             ;   in Loop: Header=BB266_16 Depth=1
	s_or_b32 exec_lo, exec_lo, s25
	v_lshlrev_b32_e32 v5, 24, v119
	s_delay_alu instid0(VALU_DEP_2) | instskip(SKIP_1) | instid1(VALU_DEP_3)
	v_lshlrev_b32_e32 v16, 20, v28
	v_lshl_add_u32 v4, v4, 23, 0x3c000000
	v_and_b32_e32 v5, 0x80000000, v5
	s_delay_alu instid0(VALU_DEP_1)
	v_or3_b32 v5, v16, v5, v4
	v_mov_b32_e32 v4, v29
.LBB266_12:                             ;   in Loop: Header=BB266_16 Depth=1
	s_or_b32 exec_lo, exec_lo, s2
.LBB266_13:                             ;   in Loop: Header=BB266_16 Depth=1
	s_delay_alu instid0(SALU_CYCLE_1)
	s_or_b32 exec_lo, exec_lo, s24
.LBB266_14:                             ;   in Loop: Header=BB266_16 Depth=1
	s_delay_alu instid0(SALU_CYCLE_1)
	s_or_b32 exec_lo, exec_lo, s23
	scratch_load_b64 v[16:17], off, s32 offset:660 ; 8-byte Folded Reload
	v_or_b32_e32 v129, v129, v131
	v_or_b32_e32 v131, v132, v134
	;; [unrolled: 1-line block ×45, first 2 shown]
	v_mul_f32_e32 v8, v7, v8
	v_or_b32_e32 v13, v171, v71
	v_or_b32_e32 v71, v54, v152
	;; [unrolled: 1-line block ×6, first 2 shown]
	v_mul_f32_e32 v2, v7, v2
	v_or_b32_e32 v103, v108, v110
	v_or_b32_e32 v15, v190, v86
	;; [unrolled: 1-line block ×22, first 2 shown]
	v_mul_f32_e32 v0, v7, v0
	v_mul_f32_e32 v9, v7, v9
	;; [unrolled: 1-line block ×3, first 2 shown]
	s_waitcnt vmcnt(0)
	v_or_b32_e32 v113, v113, v17
	v_or_b32_e32 v132, v112, v16
	scratch_load_b64 v[16:17], off, s32 offset:668 ; 8-byte Folded Reload
	s_waitcnt vmcnt(0)
	v_or_b32_e32 v112, v117, v17
	v_or_b32_e32 v116, v116, v16
	scratch_load_b64 v[16:17], off, s32 offset:644 ; 8-byte Folded Reload
	;; [unrolled: 4-line block ×11, first 2 shown]
	s_waitcnt vmcnt(0)
	v_or_b32_e32 v31, v36, v17
	v_or_b32_e32 v35, v35, v16
	s_clause 0x1
	scratch_load_b64 v[16:17], off, s32 offset:548
	scratch_load_b64 v[118:119], off, s32 offset:556
	s_waitcnt vmcnt(0)
	v_or_b32_e32 v36, v17, v119
	v_or_b32_e32 v118, v16, v118
	s_clause 0x1
	scratch_load_b64 v[16:17], off, s32 offset:564
	scratch_load_b64 v[133:134], off, s32 offset:572
	v_mul_f32_e32 v36, v7, v36
	v_mul_f32_e32 v118, v7, v118
	s_waitcnt vmcnt(0)
	v_or_b32_e32 v17, v17, v134
	v_or_b32_e32 v16, v16, v133
	s_clause 0x1
	scratch_load_b64 v[133:134], off, s32 offset:516
	scratch_load_b64 v[148:149], off, s32 offset:524
	v_mul_f32_e32 v16, v7, v16
	s_waitcnt vmcnt(0)
	v_or_b32_e32 v119, v134, v149
	v_or_b32_e32 v134, v133, v148
	s_clause 0x1
	scratch_load_b64 v[148:149], off, s32 offset:532
	scratch_load_b64 v[150:151], off, s32 offset:540
	v_mul_f32_e32 v119, v7, v119
	v_mul_f32_e32 v134, v7, v134
	s_waitcnt vmcnt(0)
	v_or_b32_e32 v133, v149, v151
	v_or_b32_e32 v135, v148, v150
	s_clause 0x1
	scratch_load_b64 v[149:150], off, s32 offset:484
	scratch_load_b64 v[164:165], off, s32 offset:492
	s_waitcnt vmcnt(0)
	v_or_b32_e32 v148, v150, v165
	v_or_b32_e32 v150, v149, v164
	s_clause 0x1
	scratch_load_b64 v[164:165], off, s32 offset:500
	scratch_load_b64 v[166:167], off, s32 offset:508
	v_mul_f32_e32 v148, v7, v148
	v_mul_f32_e32 v150, v7, v150
	s_waitcnt vmcnt(0)
	v_or_b32_e32 v149, v165, v167
	v_or_b32_e32 v151, v164, v166
	s_clause 0x1
	scratch_load_b64 v[165:166], off, s32 offset:452
	scratch_load_b64 v[180:181], off, s32 offset:460
	;; [unrolled: 14-line block ×4, first 2 shown]
	s_waitcnt vmcnt(0)
	v_or_b32_e32 v44, v44, v46
	v_or_b32_e32 v60, v43, v45
	s_clause 0x1
	scratch_load_b64 v[45:46], off, s32 offset:404
	scratch_load_b64 v[61:62], off, s32 offset:412
	s_waitcnt vmcnt(0)
	v_or_b32_e32 v43, v46, v62
	s_clause 0x1
	scratch_load_b64 v[62:63], off, s32 offset:356
	scratch_load_b64 v[76:77], off, s32 offset:364
	v_or_b32_e32 v45, v45, v61
	s_waitcnt vmcnt(0)
	v_or_b32_e32 v61, v77, v63
	v_or_b32_e32 v63, v76, v62
	s_clause 0x3
	scratch_load_b64 v[76:77], off, s32 offset:372
	scratch_load_b64 v[78:79], off, s32 offset:380
	scratch_load_b128 v[104:107], off, s32 offset:744
	scratch_load_b128 v[91:94], off, s32 offset:728
	v_mul_f32_e32 v99, v7, v61
	s_load_b32 s2, s[8:9], 0x0
	s_waitcnt vmcnt(2)
	v_or_b32_e32 v62, v76, v78
	v_or_b32_e32 v78, v4, v98
	v_mul_f32_e32 v4, v7, v60
	v_mul_f32_e32 v98, v7, v63
	v_or_b32_e32 v46, v77, v79
	v_or_b32_e32 v77, v168, v186
	;; [unrolled: 1-line block ×3, first 2 shown]
	s_waitcnt vmcnt(1)
	v_mul_f32_e32 v4, v104, v4
	s_waitcnt vmcnt(0)
	s_delay_alu instid0(VALU_DEP_1) | instskip(SKIP_1) | instid1(VALU_DEP_1)
	v_fmac_f32_e32 v4, v91, v98
	v_mul_f32_e32 v98, v7, v44
	v_mul_f32_e32 v44, v105, v98
	;; [unrolled: 1-line block ×3, first 2 shown]
	s_delay_alu instid0(VALU_DEP_2) | instskip(SKIP_2) | instid1(VALU_DEP_1)
	v_dual_fmac_f32 v44, v92, v99 :: v_dual_mul_f32 v99, v7, v62
	scratch_load_b128 v[60:63], off, s32 offset:760 ; 16-byte Folded Reload
	v_mul_f32_e32 v98, v106, v98
	v_fmac_f32_e32 v98, v93, v99
	v_mul_f32_e32 v99, v7, v43
	v_mul_f32_e32 v43, v7, v46
	s_delay_alu instid0(VALU_DEP_2) | instskip(SKIP_1) | instid1(VALU_DEP_1)
	v_mul_f32_e32 v99, v107, v99
	s_waitcnt vmcnt(0)
	v_dual_fmac_f32 v99, v94, v43 :: v_dual_fmac_f32 v44, v61, v180
	v_mul_f32_e32 v180, v7, v183
	s_delay_alu instid0(VALU_DEP_1) | instskip(SKIP_1) | instid1(VALU_DEP_1)
	v_fmac_f32_e32 v98, v62, v180
	v_mul_f32_e32 v180, v7, v181
	v_dual_fmac_f32 v4, v60, v182 :: v_dual_fmac_f32 v99, v63, v180
	scratch_load_b128 v[180:183], off, s32 offset:776 ; 16-byte Folded Reload
	s_waitcnt vmcnt(0)
	v_fmac_f32_e32 v44, v181, v164
	v_mul_f32_e32 v164, v7, v167
	s_delay_alu instid0(VALU_DEP_1) | instskip(SKIP_1) | instid1(VALU_DEP_1)
	v_fmac_f32_e32 v98, v182, v164
	v_mul_f32_e32 v164, v7, v165
	v_dual_fmac_f32 v4, v180, v166 :: v_dual_fmac_f32 v99, v183, v164
	scratch_load_b128 v[164:167], off, s32 offset:792 ; 16-byte Folded Reload
	s_waitcnt vmcnt(0)
	v_fmac_f32_e32 v44, v165, v148
	;; [unrolled: 8-line block ×3, first 2 shown]
	v_mul_f32_e32 v119, v7, v135
	s_delay_alu instid0(VALU_DEP_1) | instskip(NEXT) | instid1(VALU_DEP_1)
	v_dual_fmac_f32 v98, v150, v119 :: v_dual_mul_f32 v119, v7, v133
	v_dual_fmac_f32 v99, v151, v119 :: v_dual_fmac_f32 v4, v148, v134
	scratch_load_b128 v[148:151], off, s32 offset:824 ; 16-byte Folded Reload
	s_waitcnt vmcnt(0)
	v_fmac_f32_e32 v98, v150, v16
	v_mul_f32_e32 v16, v7, v17
	v_fmac_f32_e32 v44, v149, v36
	s_delay_alu instid0(VALU_DEP_2) | instskip(SKIP_3) | instid1(VALU_DEP_1)
	v_dual_fmac_f32 v99, v151, v16 :: v_dual_fmac_f32 v4, v148, v118
	scratch_load_b128 v[148:151], off, s32 offset:840 ; 16-byte Folded Reload
	v_mul_f32_e32 v16, v7, v53
	s_waitcnt vmcnt(0)
	v_fmac_f32_e32 v4, v148, v16
	v_mul_f32_e32 v16, v7, v32
	s_delay_alu instid0(VALU_DEP_1) | instskip(SKIP_1) | instid1(VALU_DEP_1)
	v_fmac_f32_e32 v44, v149, v16
	v_mul_f32_e32 v16, v7, v35
	v_fmac_f32_e32 v98, v150, v16
	v_mul_f32_e32 v16, v7, v31
	s_delay_alu instid0(VALU_DEP_1) | instskip(SKIP_3) | instid1(VALU_DEP_1)
	v_fmac_f32_e32 v99, v151, v16
	scratch_load_b128 v[148:151], off, s32 offset:856 ; 16-byte Folded Reload
	v_mul_f32_e32 v16, v7, v69
	s_waitcnt vmcnt(0)
	v_fmac_f32_e32 v4, v148, v16
	v_mul_f32_e32 v16, v7, v49
	s_delay_alu instid0(VALU_DEP_1) | instskip(SKIP_1) | instid1(VALU_DEP_1)
	v_fmac_f32_e32 v44, v149, v16
	v_mul_f32_e32 v16, v7, v52
	v_fmac_f32_e32 v98, v150, v16
	v_mul_f32_e32 v16, v7, v48
	s_delay_alu instid0(VALU_DEP_1) | instskip(SKIP_3) | instid1(VALU_DEP_1)
	v_fmac_f32_e32 v99, v151, v16
	;; [unrolled: 12-line block ×4, first 2 shown]
	scratch_load_b128 v[148:151], off, s32 offset:904 ; 16-byte Folded Reload
	v_mul_f32_e32 v16, v7, v117
	s_waitcnt vmcnt(0)
	v_fmac_f32_e32 v4, v148, v16
	v_mul_f32_e32 v16, v7, v97
	s_delay_alu instid0(VALU_DEP_1) | instskip(SKIP_1) | instid1(VALU_DEP_1)
	v_fmac_f32_e32 v44, v149, v16
	v_mul_f32_e32 v16, v7, v100
	v_fmac_f32_e32 v98, v150, v16
	v_mul_f32_e32 v16, v7, v96
	s_delay_alu instid0(VALU_DEP_1)
	v_fmac_f32_e32 v99, v151, v16
	v_mul_f32_e32 v16, v7, v132
	scratch_load_b128 v[132:135], off, s32 offset:920 ; 16-byte Folded Reload
	s_waitcnt vmcnt(0)
	v_fmac_f32_e32 v4, v132, v16
	v_mul_f32_e32 v16, v7, v113
	s_delay_alu instid0(VALU_DEP_1) | instskip(SKIP_4) | instid1(VALU_DEP_1)
	v_fmac_f32_e32 v44, v133, v16
	v_mul_f32_e32 v16, v7, v116
	scratch_load_b128 v[116:119], off, s32 offset:936 ; 16-byte Folded Reload
	v_fmac_f32_e32 v98, v134, v16
	v_mul_f32_e32 v16, v7, v112
	v_fmac_f32_e32 v99, v135, v16
	v_mul_f32_e32 v16, v7, v130
	s_waitcnt vmcnt(0)
	s_delay_alu instid0(VALU_DEP_1) | instskip(SKIP_1) | instid1(VALU_DEP_1)
	v_fmac_f32_e32 v4, v116, v16
	v_mul_f32_e32 v16, v7, v129
	v_fmac_f32_e32 v44, v117, v16
	v_mul_f32_e32 v16, v7, v131
	s_delay_alu instid0(VALU_DEP_1)
	v_fmac_f32_e32 v98, v118, v16
	v_mul_f32_e32 v16, v7, v128
	scratch_load_b128 v[128:131], off, s32 offset:1064 ; 16-byte Folded Reload
	v_fmac_f32_e32 v99, v119, v16
	scratch_load_b128 v[116:119], off, s32 offset:952 ; 16-byte Folded Reload
	v_mul_f32_e32 v16, v7, v146
	s_waitcnt vmcnt(0)
	s_delay_alu instid0(VALU_DEP_1) | instskip(SKIP_1) | instid1(VALU_DEP_1)
	v_fmac_f32_e32 v4, v116, v16
	v_mul_f32_e32 v16, v7, v145
	v_fmac_f32_e32 v44, v117, v16
	v_mul_f32_e32 v16, v7, v147
	s_delay_alu instid0(VALU_DEP_1) | instskip(SKIP_1) | instid1(VALU_DEP_1)
	v_fmac_f32_e32 v98, v118, v16
	v_mul_f32_e32 v16, v7, v144
	v_fmac_f32_e32 v99, v119, v16
	scratch_load_b128 v[116:119], off, s32 offset:968 ; 16-byte Folded Reload
	v_mul_f32_e32 v16, v7, v162
	s_waitcnt vmcnt(0)
	s_delay_alu instid0(VALU_DEP_1) | instskip(SKIP_1) | instid1(VALU_DEP_1)
	v_fmac_f32_e32 v4, v116, v16
	v_mul_f32_e32 v16, v7, v161
	v_fmac_f32_e32 v44, v117, v16
	v_mul_f32_e32 v16, v7, v163
	s_delay_alu instid0(VALU_DEP_1) | instskip(SKIP_1) | instid1(VALU_DEP_1)
	v_fmac_f32_e32 v98, v118, v16
	v_mul_f32_e32 v16, v7, v160
	;; [unrolled: 12-line block ×7, first 2 shown]
	v_fmac_f32_e32 v4, v128, v16
	v_mul_f32_e32 v16, v7, v102
	s_delay_alu instid0(VALU_DEP_1) | instskip(SKIP_1) | instid1(VALU_DEP_1)
	v_fmac_f32_e32 v44, v129, v16
	v_mul_f32_e32 v16, v7, v115
	v_fmac_f32_e32 v99, v119, v16
	v_mul_f32_e32 v16, v7, v103
	scratch_load_b128 v[100:103], off, s32 offset:1080 ; 16-byte Folded Reload
	v_fmac_f32_e32 v98, v130, v16
	v_mul_f32_e32 v16, v7, v86
	s_waitcnt vmcnt(0)
	s_delay_alu instid0(VALU_DEP_1) | instskip(SKIP_1) | instid1(VALU_DEP_1)
	v_fmac_f32_e32 v4, v100, v16
	v_mul_f32_e32 v16, v7, v24
	v_fmac_f32_e32 v44, v101, v16
	v_mul_f32_e32 v16, v7, v87
	s_delay_alu instid0(VALU_DEP_1) | instskip(SKIP_1) | instid1(VALU_DEP_1)
	v_fmac_f32_e32 v99, v131, v16
	v_mul_f32_e32 v16, v7, v83
	v_fmac_f32_e32 v98, v102, v16
	v_mul_f32_e32 v16, v7, v82
	scratch_load_b128 v[80:83], off, s32 offset:1096 ; 16-byte Folded Reload
	s_waitcnt vmcnt(0)
	v_fmac_f32_e32 v4, v80, v16
	v_mul_f32_e32 v16, v7, v34
	s_delay_alu instid0(VALU_DEP_1) | instskip(SKIP_1) | instid1(VALU_DEP_1)
	v_fmac_f32_e32 v44, v81, v16
	v_mul_f32_e32 v16, v7, v23
	v_fmac_f32_e32 v99, v103, v16
	v_mul_f32_e32 v16, v7, v51
	s_delay_alu instid0(VALU_DEP_1)
	v_fmac_f32_e32 v98, v82, v16
	v_mul_f32_e32 v16, v7, v33
	scratch_load_b128 v[31:34], off, s32 offset:1112 ; 16-byte Folded Reload
	s_waitcnt vmcnt(0)
	v_fmac_f32_e32 v4, v31, v16
	v_mul_f32_e32 v16, v7, v26
	s_delay_alu instid0(VALU_DEP_1) | instskip(SKIP_1) | instid1(VALU_DEP_1)
	v_fmac_f32_e32 v44, v32, v16
	v_mul_f32_e32 v16, v7, v21
	v_fmac_f32_e32 v99, v83, v16
	v_mul_f32_e32 v16, v7, v20
	s_delay_alu instid0(VALU_DEP_1) | instskip(SKIP_4) | instid1(VALU_DEP_1)
	v_fmac_f32_e32 v98, v33, v16
	v_mul_f32_e32 v16, v7, v25
	scratch_load_b128 v[23:26], off, s32 offset:1128 ; 16-byte Folded Reload
	s_waitcnt vmcnt(0)
	v_dual_fmac_f32 v44, v24, v9 :: v_dual_mul_f32 v9, v7, v19
	v_dual_fmac_f32 v4, v23, v16 :: v_dual_fmac_f32 v99, v34, v9
	v_mul_f32_e32 v9, v7, v18
	scratch_load_b128 v[16:19], off, s32 offset:1144 ; 16-byte Folded Reload
	v_dual_fmac_f32 v99, v26, v8 :: v_dual_fmac_f32 v98, v25, v9
	scratch_load_b128 v[23:26], off, s32 offset:1160 ; 16-byte Folded Reload
	v_mul_f32_e32 v9, v7, v67
	v_mul_f32_e32 v8, v7, v50
	s_waitcnt vmcnt(1)
	s_delay_alu instid0(VALU_DEP_2) | instskip(NEXT) | instid1(VALU_DEP_2)
	v_dual_fmac_f32 v4, v16, v9 :: v_dual_mul_f32 v9, v7, v38
	v_fmac_f32_e32 v98, v18, v8
	v_mul_f32_e32 v8, v7, v71
	s_delay_alu instid0(VALU_DEP_3) | instskip(SKIP_1) | instid1(VALU_DEP_2)
	v_fmac_f32_e32 v44, v17, v9
	s_waitcnt vmcnt(0)
	v_fmac_f32_e32 v4, v23, v8
	v_mul_f32_e32 v8, v7, v55
	s_delay_alu instid0(VALU_DEP_1) | instskip(SKIP_1) | instid1(VALU_DEP_1)
	v_fmac_f32_e32 v44, v24, v8
	v_mul_f32_e32 v8, v7, v37
	v_fmac_f32_e32 v99, v19, v8
	scratch_load_b128 v[16:19], off, s32 offset:1176 ; 16-byte Folded Reload
	v_mul_f32_e32 v8, v7, v66
	s_delay_alu instid0(VALU_DEP_1) | instskip(SKIP_2) | instid1(VALU_DEP_1)
	v_fmac_f32_e32 v98, v25, v8
	v_mul_f32_e32 v8, v7, v70
	s_waitcnt vmcnt(0)
	v_fmac_f32_e32 v4, v16, v8
	v_mul_f32_e32 v8, v7, v13
	s_delay_alu instid0(VALU_DEP_1) | instskip(SKIP_1) | instid1(VALU_DEP_1)
	v_fmac_f32_e32 v44, v17, v8
	v_mul_f32_e32 v8, v7, v54
	v_fmac_f32_e32 v99, v26, v8
	v_mul_f32_e32 v8, v7, v28
	s_delay_alu instid0(VALU_DEP_1)
	v_fmac_f32_e32 v98, v18, v8
	v_mul_f32_e32 v8, v7, v15
	scratch_load_b128 v[15:18], off, s32 offset:1192 ; 16-byte Folded Reload
	s_waitcnt vmcnt(0)
	v_fmac_f32_e32 v4, v15, v8
	v_mul_f32_e32 v8, v7, v14
	s_delay_alu instid0(VALU_DEP_1)
	v_fmac_f32_e32 v44, v16, v8
	v_mul_f32_e32 v8, v7, v12
	scratch_load_b128 v[12:15], off, s32 offset:1208 ; 16-byte Folded Reload
	v_fmac_f32_e32 v99, v19, v8
	v_mul_f32_e32 v8, v7, v10
	scratch_load_b32 v19, off, s32 offset:688 ; 4-byte Folded Reload
	v_fmac_f32_e32 v98, v17, v8
	s_waitcnt vmcnt(1)
	v_fmac_f32_e32 v4, v12, v2
	v_mul_f32_e32 v2, v7, v3
	s_delay_alu instid0(VALU_DEP_3) | instskip(NEXT) | instid1(VALU_DEP_2)
	v_fmac_f32_e32 v98, v14, v1
	v_dual_mul_f32 v1, v7, v77 :: v_dual_fmac_f32 v44, v13, v2
	v_mul_f32_e32 v2, v7, v11
	scratch_load_b128 v[8:11], off, s32 offset:1224 ; 16-byte Folded Reload
	v_dual_fmac_f32 v99, v18, v2 :: v_dual_mul_f32 v2, v7, v5
	s_waitcnt vmcnt(0)
	s_delay_alu instid0(VALU_DEP_1) | instskip(SKIP_1) | instid1(VALU_DEP_2)
	v_dual_fmac_f32 v99, v15, v0 :: v_dual_fmac_f32 v4, v8, v1
	v_mul_f32_e32 v1, v7, v76
	v_fmac_f32_e32 v99, v11, v2
	scratch_load_b32 v2, off, s32 offset:716 ; 4-byte Folded Reload
	v_dual_fmac_f32 v44, v9, v1 :: v_dual_mul_f32 v1, v7, v78
	s_delay_alu instid0(VALU_DEP_1) | instskip(NEXT) | instid1(VALU_DEP_2)
	v_add_f32_e32 v0, v4, v44
	v_fmac_f32_e32 v98, v10, v1
	scratch_load_b32 v1, off, s32 offset:1240 ; 4-byte Folded Reload
	v_add_f32_e32 v0, v98, v0
	s_waitcnt vmcnt(0)
	s_delay_alu instid0(VALU_DEP_1) | instskip(NEXT) | instid1(VALU_DEP_1)
	v_dual_add_f32 v0, v99, v0 :: v_dual_add_nc_u32 v1, v1, v30
	v_cvt_f32_i32_e32 v1, v1
	s_delay_alu instid0(VALU_DEP_1) | instskip(SKIP_3) | instid1(VALU_DEP_1)
	v_mul_f32_e32 v1, v2, v1
	scratch_load_b32 v2, off, s32 offset:712 ; 4-byte Folded Reload
	v_cndmask_b32_e32 v1, 0, v1, vcc_lo
	s_waitcnt vmcnt(0)
	v_fmac_f32_e32 v1, v0, v2
	scratch_load_b32 v0, off, s32 offset:692 ; 4-byte Folded Reload
	s_waitcnt vmcnt(0)
	v_add_nc_u32_e32 v0, v0, v30
	s_delay_alu instid0(VALU_DEP_1) | instskip(SKIP_2) | instid1(VALU_DEP_2)
	v_cmp_lt_i32_e64 s1, v0, v47
	s_waitcnt lgkmcnt(0)
	v_add_nc_u32_e32 v0, s2, v27
	v_cndmask_b32_e64 v2, 0, v1, s1
	ds_store_b32 v0, v2
	v_max_f32_e32 v0, v19, v19
	s_delay_alu instid0(VALU_DEP_1) | instskip(NEXT) | instid1(VALU_DEP_1)
	v_max_f32_e32 v0, v0, v1
	v_cndmask_b32_e64 v19, v19, v0, s1
.LBB266_15:                             ;   in Loop: Header=BB266_16 Depth=1
	s_or_b32 exec_lo, exec_lo, s22
	scratch_load_b32 v0, off, s32 offset:344 ; 4-byte Folded Reload
	v_add_nc_u32_e32 v6, 4, v6
	v_add_co_u32 v126, s2, v126, 16
	s_delay_alu instid0(VALU_DEP_1) | instskip(SKIP_4) | instid1(VALU_DEP_1)
	v_add_co_ci_u32_e64 v127, s2, 0, v127, s2
	v_add_nc_u32_e32 v30, 0x80, v30
	v_add_nc_u32_e32 v27, 0x200, v27
	s_waitcnt vmcnt(0)
	v_cmp_ge_i32_e64 s1, v6, v0
	s_or_b32 s21, s1, s21
	s_delay_alu instid0(SALU_CYCLE_1)
	s_and_not1_b32 exec_lo, exec_lo, s21
	s_cbranch_execz .LBB266_1040
.LBB266_16:                             ; =>This Inner Loop Header: Depth=1
	s_clause 0x2
	scratch_load_b32 v1, off, s32 offset:348
	scratch_load_b32 v5, off, s32 offset:340
	;; [unrolled: 1-line block ×3, first 2 shown]
	v_sub_nc_u32_e32 v0, 0, v30
	s_delay_alu instid0(VALU_DEP_1) | instskip(SKIP_1) | instid1(VALU_DEP_1)
	v_max_i32_e32 v0, v30, v0
	s_waitcnt vmcnt(2)
	v_mul_hi_u32 v1, v0, v1
	s_waitcnt vmcnt(0)
	s_delay_alu instid0(VALU_DEP_1) | instskip(NEXT) | instid1(VALU_DEP_1)
	v_mul_lo_u32 v2, v1, v4
	v_sub_nc_u32_e32 v0, v0, v2
	v_add_nc_u32_e32 v2, 1, v1
	s_delay_alu instid0(VALU_DEP_2) | instskip(SKIP_1) | instid1(VALU_DEP_1)
	v_sub_nc_u32_e32 v3, v0, v4
	v_cmp_ge_u32_e64 s1, v0, v4
	v_cndmask_b32_e64 v1, v1, v2, s1
	s_delay_alu instid0(VALU_DEP_3) | instskip(SKIP_1) | instid1(VALU_DEP_3)
	v_cndmask_b32_e64 v0, v0, v3, s1
	v_ashrrev_i32_e32 v2, 31, v30
	v_add_nc_u32_e32 v3, 1, v1
	s_delay_alu instid0(VALU_DEP_3) | instskip(NEXT) | instid1(VALU_DEP_3)
	v_cmp_ge_u32_e64 s1, v0, v4
	v_xor_b32_e32 v2, v2, v5
	scratch_load_b32 v4, off, s32 offset:680 ; 4-byte Folded Reload
	v_cndmask_b32_e64 v0, v1, v3, s1
	scratch_load_b32 v3, off, s32 offset:684 ; 4-byte Folded Reload
	v_xor_b32_e32 v0, v0, v2
	s_delay_alu instid0(VALU_DEP_1) | instskip(SKIP_3) | instid1(VALU_DEP_1)
	v_sub_nc_u32_e32 v0, v0, v2
	scratch_load_b64 v[1:2], off, s32 offset:332 ; 8-byte Folded Reload
	s_waitcnt vmcnt(0)
	v_add_nc_u32_e32 v1, v0, v1
	v_sub_nc_u32_e32 v2, 0, v1
	s_delay_alu instid0(VALU_DEP_1) | instskip(SKIP_1) | instid1(VALU_DEP_2)
	v_max_i32_e32 v2, v1, v2
	v_ashrrev_i32_e32 v1, 31, v1
	v_mul_hi_u32 v3, v2, v3
	s_delay_alu instid0(VALU_DEP_1) | instskip(NEXT) | instid1(VALU_DEP_1)
	v_mul_lo_u32 v3, v3, v4
	v_sub_nc_u32_e32 v2, v2, v3
	s_delay_alu instid0(VALU_DEP_1) | instskip(SKIP_1) | instid1(VALU_DEP_1)
	v_sub_nc_u32_e32 v3, v2, v4
	v_cmp_ge_u32_e64 s1, v2, v4
	v_cndmask_b32_e64 v2, v2, v3, s1
	s_delay_alu instid0(VALU_DEP_1) | instskip(SKIP_1) | instid1(VALU_DEP_1)
	v_sub_nc_u32_e32 v3, v2, v4
	v_cmp_ge_u32_e64 s1, v2, v4
	v_cndmask_b32_e64 v2, v2, v3, s1
	s_delay_alu instid0(VALU_DEP_1) | instskip(NEXT) | instid1(VALU_DEP_1)
	v_xor_b32_e32 v2, v2, v1
	v_sub_nc_u32_e32 v1, v2, v1
	s_delay_alu instid0(VALU_DEP_1) | instskip(SKIP_3) | instid1(VALU_DEP_1)
	v_cmp_ne_u32_e64 s1, 0, v1
	scratch_load_b32 v1, off, s32 offset:352 ; 4-byte Folded Reload
	s_waitcnt vmcnt(0)
	v_cmp_le_i32_e64 s2, v0, v1
	s_and_b32 s1, s1, s2
	s_delay_alu instid0(SALU_CYCLE_1) | instskip(NEXT) | instid1(SALU_CYCLE_1)
	s_and_saveexec_b32 s2, s1
	s_xor_b32 s1, exec_lo, s2
	s_cbranch_execz .LBB266_18
; %bb.17:                               ;   in Loop: Header=BB266_16 Depth=1
	v_dual_mov_b32 v1, 0xff7fffff :: v_dual_add_nc_u32 v0, s7, v27
	ds_store_b32 v0, v1
.LBB266_18:                             ;   in Loop: Header=BB266_16 Depth=1
	s_and_not1_saveexec_b32 s22, s1
	s_cbranch_execz .LBB266_15
; %bb.19:                               ;   in Loop: Header=BB266_16 Depth=1
	scratch_store_b32 off, v19, s32 offset:688 ; 4-byte Folded Spill
	flat_load_b32 v0, v[126:127]
	s_clause 0x1
	scratch_load_b32 v1, off, s32 offset:676
	scratch_load_b64 v[2:3], off, s32 offset:720
	s_mov_b32 s2, exec_lo
	s_waitcnt vmcnt(0) lgkmcnt(0)
	v_mad_i64_i32 v[168:169], null, v0, v1, v[2:3]
	flat_load_b32 v0, v[168:169]
	scratch_load_b64 v[1:2], off, s32 offset:704 ; 8-byte Folded Reload
	s_waitcnt vmcnt(0)
	flat_load_b32 v7, v[1:2]
	s_waitcnt lgkmcnt(1)
	v_dual_mov_b32 v2, 0 :: v_dual_and_b32 v1, 0xff, v0
	v_mov_b32_e32 v3, 0
	s_clause 0x1
	scratch_store_b64 off, v[2:3], s32 offset:364
	scratch_store_b64 off, v[2:3], s32 offset:356
	v_cmpx_ne_u16_e32 0, v1
	s_cbranch_execz .LBB266_27
; %bb.20:                               ;   in Loop: Header=BB266_16 Depth=1
	v_bfrev_b32_e32 v2, 1
	v_mov_b32_e32 v3, 0
	s_mov_b32 s23, exec_lo
	scratch_store_b64 off, v[2:3], s32 offset:356 ; 8-byte Folded Spill
	v_cmpx_ne_u16_e32 0x80, v1
	s_cbranch_execz .LBB266_26
; %bb.21:                               ;   in Loop: Header=BB266_16 Depth=1
	v_mov_b32_e32 v3, 0x7f800001
	v_and_b32_e32 v2, 0x7f, v0
	v_mov_b32_e32 v4, 0
	s_mov_b32 s24, exec_lo
	scratch_store_b64 off, v[3:4], s32 offset:356 ; 8-byte Folded Spill
	v_cmpx_ne_u32_e32 0x7f, v2
	s_cbranch_execz .LBB266_25
; %bb.22:                               ;   in Loop: Header=BB266_16 Depth=1
	v_and_b32_e32 v28, 7, v0
	v_lshrrev_b32_e32 v1, 3, v2
	s_mov_b32 s25, exec_lo
	v_cmpx_gt_u32_e32 8, v2
; %bb.23:                               ;   in Loop: Header=BB266_16 Depth=1
	s_delay_alu instid0(VALU_DEP_3) | instskip(NEXT) | instid1(VALU_DEP_1)
	v_clz_i32_u32_e32 v1, v28
	v_min_u32_e32 v1, 32, v1
	s_delay_alu instid0(VALU_DEP_1) | instskip(SKIP_1) | instid1(VALU_DEP_2)
	v_subrev_nc_u32_e32 v2, 28, v1
	v_sub_nc_u32_e32 v1, 29, v1
	v_lshlrev_b64 v[2:3], v2, v[28:29]
	s_delay_alu instid0(VALU_DEP_1)
	v_and_b32_e32 v28, 7, v2
; %bb.24:                               ;   in Loop: Header=BB266_16 Depth=1
	s_or_b32 exec_lo, exec_lo, s25
	v_lshlrev_b32_e32 v2, 24, v0
	s_delay_alu instid0(VALU_DEP_2) | instskip(SKIP_1) | instid1(VALU_DEP_3)
	v_lshlrev_b32_e32 v3, 20, v28
	v_lshl_add_u32 v1, v1, 23, 0x3c000000
	v_and_b32_e32 v2, 0x80000000, v2
	s_delay_alu instid0(VALU_DEP_1)
	v_or3_b32 v28, v3, v2, v1
	scratch_store_b64 off, v[28:29], s32 offset:356 ; 8-byte Folded Spill
.LBB266_25:                             ;   in Loop: Header=BB266_16 Depth=1
	s_or_b32 exec_lo, exec_lo, s24
.LBB266_26:                             ;   in Loop: Header=BB266_16 Depth=1
	s_delay_alu instid0(SALU_CYCLE_1)
	s_or_b32 exec_lo, exec_lo, s23
.LBB266_27:                             ;   in Loop: Header=BB266_16 Depth=1
	s_delay_alu instid0(SALU_CYCLE_1) | instskip(SKIP_2) | instid1(VALU_DEP_1)
	s_or_b32 exec_lo, exec_lo, s2
	v_lshrrev_b16 v1, 8, v0
	s_mov_b32 s23, exec_lo
	v_cmpx_ne_u16_e32 0, v1
	s_cbranch_execz .LBB266_35
; %bb.28:                               ;   in Loop: Header=BB266_16 Depth=1
	v_dual_mov_b32 v2, s16 :: v_dual_mov_b32 v3, s17
	s_mov_b32 s24, exec_lo
	scratch_store_b64 off, v[2:3], s32 offset:364 ; 8-byte Folded Spill
	v_cmpx_ne_u16_e32 0x80, v1
	s_cbranch_execz .LBB266_34
; %bb.29:                               ;   in Loop: Header=BB266_16 Depth=1
	s_mov_b32 s2, s16
	v_dual_mov_b32 v4, s3 :: v_dual_and_b32 v1, 0xffff, v1
	v_mov_b32_e32 v3, s2
	s_mov_b32 s2, exec_lo
	s_delay_alu instid0(VALU_DEP_2)
	v_and_b32_e32 v2, 0x7f, v1
	scratch_store_b64 off, v[3:4], s32 offset:364 ; 8-byte Folded Spill
	v_cmpx_ne_u32_e32 0x7f, v2
	s_cbranch_execz .LBB266_33
; %bb.30:                               ;   in Loop: Header=BB266_16 Depth=1
	v_and_b32_e32 v28, 7, v1
	v_lshrrev_b32_e32 v1, 3, v2
	s_mov_b32 s25, exec_lo
	v_cmpx_gt_u32_e32 8, v2
; %bb.31:                               ;   in Loop: Header=BB266_16 Depth=1
	s_delay_alu instid0(VALU_DEP_3) | instskip(NEXT) | instid1(VALU_DEP_1)
	v_clz_i32_u32_e32 v1, v28
	v_min_u32_e32 v1, 32, v1
	s_delay_alu instid0(VALU_DEP_1) | instskip(SKIP_1) | instid1(VALU_DEP_2)
	v_subrev_nc_u32_e32 v2, 28, v1
	v_sub_nc_u32_e32 v1, 29, v1
	v_lshlrev_b64 v[2:3], v2, v[28:29]
	s_delay_alu instid0(VALU_DEP_1)
	v_and_b32_e32 v28, 7, v2
; %bb.32:                               ;   in Loop: Header=BB266_16 Depth=1
	s_or_b32 exec_lo, exec_lo, s25
	v_lshlrev_b32_e32 v2, 16, v0
	s_delay_alu instid0(VALU_DEP_2) | instskip(SKIP_1) | instid1(VALU_DEP_3)
	v_lshlrev_b32_e32 v3, 20, v28
	v_lshl_add_u32 v1, v1, 23, 0x3c000000
	v_and_b32_e32 v2, 0x80000000, v2
	s_delay_alu instid0(VALU_DEP_1)
	v_or3_b32 v2, v3, v2, v1
	v_mov_b32_e32 v1, v29
	scratch_store_b64 off, v[1:2], s32 offset:364 ; 8-byte Folded Spill
.LBB266_33:                             ;   in Loop: Header=BB266_16 Depth=1
	s_or_b32 exec_lo, exec_lo, s2
.LBB266_34:                             ;   in Loop: Header=BB266_16 Depth=1
	s_delay_alu instid0(SALU_CYCLE_1)
	s_or_b32 exec_lo, exec_lo, s24
.LBB266_35:                             ;   in Loop: Header=BB266_16 Depth=1
	s_delay_alu instid0(SALU_CYCLE_1)
	s_or_b32 exec_lo, exec_lo, s23
	v_lshrrev_b32_e32 v1, 16, v0
	v_mov_b32_e32 v3, 0
	v_mov_b32_e32 v4, 0
	s_mov_b32 s2, exec_lo
	s_clause 0x1
	scratch_store_b64 off, v[3:4], s32 offset:372
	scratch_store_b64 off, v[3:4], s32 offset:380
	v_and_b32_e32 v2, 0xff, v1
	s_delay_alu instid0(VALU_DEP_1)
	v_cmpx_ne_u16_e32 0, v2
	s_cbranch_execz .LBB266_43
; %bb.36:                               ;   in Loop: Header=BB266_16 Depth=1
	v_cmp_ne_u16_e64 s1, 0x80, v2
	v_bfrev_b32_e32 v2, 1
	v_mov_b32_e32 v3, 0
	scratch_store_b64 off, v[2:3], s32 offset:380 ; 8-byte Folded Spill
	s_and_saveexec_b32 s23, s1
	s_cbranch_execz .LBB266_42
; %bb.37:                               ;   in Loop: Header=BB266_16 Depth=1
	v_mov_b32_e32 v4, 0x7f800001
	v_bfe_u32 v3, v0, 16, 7
	v_mov_b32_e32 v5, 0
	s_mov_b32 s24, exec_lo
	scratch_store_b64 off, v[4:5], s32 offset:380 ; 8-byte Folded Spill
	v_cmpx_ne_u32_e32 0x7f, v3
	s_cbranch_execz .LBB266_41
; %bb.38:                               ;   in Loop: Header=BB266_16 Depth=1
	v_and_b32_e32 v28, 7, v1
	v_lshrrev_b32_e32 v2, 3, v3
	s_mov_b32 s25, exec_lo
	v_cmpx_gt_u32_e32 8, v3
; %bb.39:                               ;   in Loop: Header=BB266_16 Depth=1
	s_delay_alu instid0(VALU_DEP_3) | instskip(NEXT) | instid1(VALU_DEP_1)
	v_clz_i32_u32_e32 v2, v28
	v_min_u32_e32 v2, 32, v2
	s_delay_alu instid0(VALU_DEP_1) | instskip(SKIP_1) | instid1(VALU_DEP_2)
	v_subrev_nc_u32_e32 v3, 28, v2
	v_sub_nc_u32_e32 v2, 29, v2
	v_lshlrev_b64 v[3:4], v3, v[28:29]
	s_delay_alu instid0(VALU_DEP_1)
	v_and_b32_e32 v28, 7, v3
; %bb.40:                               ;   in Loop: Header=BB266_16 Depth=1
	s_or_b32 exec_lo, exec_lo, s25
	v_lshlrev_b32_e32 v1, 24, v1
	s_delay_alu instid0(VALU_DEP_2) | instskip(SKIP_1) | instid1(VALU_DEP_3)
	v_lshlrev_b32_e32 v3, 20, v28
	v_lshl_add_u32 v2, v2, 23, 0x3c000000
	v_and_b32_e32 v1, 0x80000000, v1
	s_delay_alu instid0(VALU_DEP_1)
	v_or3_b32 v28, v3, v1, v2
	scratch_store_b64 off, v[28:29], s32 offset:380 ; 8-byte Folded Spill
.LBB266_41:                             ;   in Loop: Header=BB266_16 Depth=1
	s_or_b32 exec_lo, exec_lo, s24
.LBB266_42:                             ;   in Loop: Header=BB266_16 Depth=1
	s_delay_alu instid0(SALU_CYCLE_1)
	s_or_b32 exec_lo, exec_lo, s23
.LBB266_43:                             ;   in Loop: Header=BB266_16 Depth=1
	s_delay_alu instid0(SALU_CYCLE_1) | instskip(NEXT) | instid1(SALU_CYCLE_1)
	s_or_b32 exec_lo, exec_lo, s2
	s_mov_b32 s23, exec_lo
	v_cmpx_lt_u32_e32 0xffffff, v0
	s_cbranch_execz .LBB266_51
; %bb.44:                               ;   in Loop: Header=BB266_16 Depth=1
	v_lshrrev_b32_e32 v1, 24, v0
	v_dual_mov_b32 v2, s16 :: v_dual_mov_b32 v3, s17
	s_mov_b32 s24, exec_lo
	scratch_store_b64 off, v[2:3], s32 offset:372 ; 8-byte Folded Spill
	v_cmpx_ne_u32_e32 0x80, v1
	s_cbranch_execz .LBB266_50
; %bb.45:                               ;   in Loop: Header=BB266_16 Depth=1
	s_mov_b32 s2, s16
	v_bfe_u32 v2, v0, 24, 7
	v_dual_mov_b32 v4, s3 :: v_dual_mov_b32 v3, s2
	s_mov_b32 s2, exec_lo
	scratch_store_b64 off, v[3:4], s32 offset:372 ; 8-byte Folded Spill
	v_cmpx_ne_u32_e32 0x7f, v2
	s_cbranch_execz .LBB266_49
; %bb.46:                               ;   in Loop: Header=BB266_16 Depth=1
	v_and_b32_e32 v28, 7, v1
	v_lshrrev_b32_e32 v0, 3, v2
	s_mov_b32 s25, exec_lo
	v_cmpx_gt_u32_e32 8, v2
; %bb.47:                               ;   in Loop: Header=BB266_16 Depth=1
	s_delay_alu instid0(VALU_DEP_3) | instskip(NEXT) | instid1(VALU_DEP_1)
	v_clz_i32_u32_e32 v0, v28
	v_min_u32_e32 v0, 32, v0
	s_delay_alu instid0(VALU_DEP_1) | instskip(SKIP_1) | instid1(VALU_DEP_2)
	v_subrev_nc_u32_e32 v2, 28, v0
	v_sub_nc_u32_e32 v0, 29, v0
	v_lshlrev_b64 v[2:3], v2, v[28:29]
	s_delay_alu instid0(VALU_DEP_1)
	v_and_b32_e32 v28, 7, v2
; %bb.48:                               ;   in Loop: Header=BB266_16 Depth=1
	s_or_b32 exec_lo, exec_lo, s25
	v_lshlrev_b32_e32 v1, 24, v1
	s_delay_alu instid0(VALU_DEP_2) | instskip(SKIP_1) | instid1(VALU_DEP_3)
	v_lshlrev_b32_e32 v2, 20, v28
	v_lshl_add_u32 v0, v0, 23, 0x3c000000
	v_and_b32_e32 v1, 0x80000000, v1
	s_delay_alu instid0(VALU_DEP_1)
	v_or3_b32 v1, v2, v1, v0
	v_mov_b32_e32 v0, v29
	scratch_store_b64 off, v[0:1], s32 offset:372 ; 8-byte Folded Spill
.LBB266_49:                             ;   in Loop: Header=BB266_16 Depth=1
	s_or_b32 exec_lo, exec_lo, s2
.LBB266_50:                             ;   in Loop: Header=BB266_16 Depth=1
	s_delay_alu instid0(SALU_CYCLE_1)
	s_or_b32 exec_lo, exec_lo, s24
.LBB266_51:                             ;   in Loop: Header=BB266_16 Depth=1
	s_delay_alu instid0(SALU_CYCLE_1)
	s_or_b32 exec_lo, exec_lo, s23
	flat_load_b32 v0, v[168:169] offset:4
	v_mov_b32_e32 v2, 0
	v_mov_b32_e32 v3, 0
	s_mov_b32 s2, exec_lo
	s_clause 0x1
	scratch_store_b64 off, v[2:3], s32 offset:388
	scratch_store_b64 off, v[2:3], s32 offset:396
	s_waitcnt vmcnt(0) lgkmcnt(0)
	v_and_b32_e32 v1, 0xff, v0
	s_delay_alu instid0(VALU_DEP_1)
	v_cmpx_ne_u16_e32 0, v1
	s_cbranch_execz .LBB266_59
; %bb.52:                               ;   in Loop: Header=BB266_16 Depth=1
	v_cmp_ne_u16_e64 s1, 0x80, v1
	v_bfrev_b32_e32 v1, 1
	v_mov_b32_e32 v2, 0
	scratch_store_b64 off, v[1:2], s32 offset:396 ; 8-byte Folded Spill
	s_and_saveexec_b32 s23, s1
	s_cbranch_execz .LBB266_58
; %bb.53:                               ;   in Loop: Header=BB266_16 Depth=1
	v_mov_b32_e32 v3, 0x7f800001
	v_and_b32_e32 v2, 0x7f, v0
	v_mov_b32_e32 v4, 0
	s_mov_b32 s24, exec_lo
	scratch_store_b64 off, v[3:4], s32 offset:396 ; 8-byte Folded Spill
	v_cmpx_ne_u32_e32 0x7f, v2
	s_cbranch_execz .LBB266_57
; %bb.54:                               ;   in Loop: Header=BB266_16 Depth=1
	v_and_b32_e32 v28, 7, v0
	v_lshrrev_b32_e32 v1, 3, v2
	s_mov_b32 s25, exec_lo
	v_cmpx_gt_u32_e32 8, v2
; %bb.55:                               ;   in Loop: Header=BB266_16 Depth=1
	s_delay_alu instid0(VALU_DEP_3) | instskip(NEXT) | instid1(VALU_DEP_1)
	v_clz_i32_u32_e32 v1, v28
	v_min_u32_e32 v1, 32, v1
	s_delay_alu instid0(VALU_DEP_1) | instskip(SKIP_1) | instid1(VALU_DEP_2)
	v_subrev_nc_u32_e32 v2, 28, v1
	v_sub_nc_u32_e32 v1, 29, v1
	v_lshlrev_b64 v[2:3], v2, v[28:29]
	s_delay_alu instid0(VALU_DEP_1)
	v_and_b32_e32 v28, 7, v2
; %bb.56:                               ;   in Loop: Header=BB266_16 Depth=1
	s_or_b32 exec_lo, exec_lo, s25
	v_lshlrev_b32_e32 v2, 24, v0
	s_delay_alu instid0(VALU_DEP_2) | instskip(SKIP_1) | instid1(VALU_DEP_3)
	v_lshlrev_b32_e32 v3, 20, v28
	v_lshl_add_u32 v1, v1, 23, 0x3c000000
	v_and_b32_e32 v2, 0x80000000, v2
	s_delay_alu instid0(VALU_DEP_1)
	v_or3_b32 v28, v3, v2, v1
	scratch_store_b64 off, v[28:29], s32 offset:396 ; 8-byte Folded Spill
.LBB266_57:                             ;   in Loop: Header=BB266_16 Depth=1
	s_or_b32 exec_lo, exec_lo, s24
.LBB266_58:                             ;   in Loop: Header=BB266_16 Depth=1
	s_delay_alu instid0(SALU_CYCLE_1)
	s_or_b32 exec_lo, exec_lo, s23
.LBB266_59:                             ;   in Loop: Header=BB266_16 Depth=1
	s_delay_alu instid0(SALU_CYCLE_1) | instskip(SKIP_2) | instid1(VALU_DEP_1)
	s_or_b32 exec_lo, exec_lo, s2
	v_lshrrev_b16 v1, 8, v0
	s_mov_b32 s23, exec_lo
	v_cmpx_ne_u16_e32 0, v1
	s_cbranch_execz .LBB266_67
; %bb.60:                               ;   in Loop: Header=BB266_16 Depth=1
	v_dual_mov_b32 v2, s16 :: v_dual_mov_b32 v3, s17
	s_mov_b32 s24, exec_lo
	scratch_store_b64 off, v[2:3], s32 offset:388 ; 8-byte Folded Spill
	v_cmpx_ne_u16_e32 0x80, v1
	s_cbranch_execz .LBB266_66
; %bb.61:                               ;   in Loop: Header=BB266_16 Depth=1
	s_mov_b32 s2, s16
	v_dual_mov_b32 v4, s3 :: v_dual_and_b32 v1, 0xffff, v1
	v_mov_b32_e32 v3, s2
	s_mov_b32 s2, exec_lo
	s_delay_alu instid0(VALU_DEP_2)
	v_and_b32_e32 v2, 0x7f, v1
	scratch_store_b64 off, v[3:4], s32 offset:388 ; 8-byte Folded Spill
	v_cmpx_ne_u32_e32 0x7f, v2
	s_cbranch_execz .LBB266_65
; %bb.62:                               ;   in Loop: Header=BB266_16 Depth=1
	v_and_b32_e32 v28, 7, v1
	v_lshrrev_b32_e32 v1, 3, v2
	s_mov_b32 s25, exec_lo
	v_cmpx_gt_u32_e32 8, v2
; %bb.63:                               ;   in Loop: Header=BB266_16 Depth=1
	s_delay_alu instid0(VALU_DEP_3) | instskip(NEXT) | instid1(VALU_DEP_1)
	v_clz_i32_u32_e32 v1, v28
	v_min_u32_e32 v1, 32, v1
	s_delay_alu instid0(VALU_DEP_1) | instskip(SKIP_1) | instid1(VALU_DEP_2)
	v_subrev_nc_u32_e32 v2, 28, v1
	v_sub_nc_u32_e32 v1, 29, v1
	v_lshlrev_b64 v[2:3], v2, v[28:29]
	s_delay_alu instid0(VALU_DEP_1)
	v_and_b32_e32 v28, 7, v2
; %bb.64:                               ;   in Loop: Header=BB266_16 Depth=1
	s_or_b32 exec_lo, exec_lo, s25
	v_lshlrev_b32_e32 v2, 16, v0
	s_delay_alu instid0(VALU_DEP_2) | instskip(SKIP_1) | instid1(VALU_DEP_3)
	v_lshlrev_b32_e32 v3, 20, v28
	v_lshl_add_u32 v1, v1, 23, 0x3c000000
	v_and_b32_e32 v2, 0x80000000, v2
	s_delay_alu instid0(VALU_DEP_1)
	v_or3_b32 v2, v3, v2, v1
	v_mov_b32_e32 v1, v29
	scratch_store_b64 off, v[1:2], s32 offset:388 ; 8-byte Folded Spill
.LBB266_65:                             ;   in Loop: Header=BB266_16 Depth=1
	s_or_b32 exec_lo, exec_lo, s2
.LBB266_66:                             ;   in Loop: Header=BB266_16 Depth=1
	s_delay_alu instid0(SALU_CYCLE_1)
	s_or_b32 exec_lo, exec_lo, s24
.LBB266_67:                             ;   in Loop: Header=BB266_16 Depth=1
	s_delay_alu instid0(SALU_CYCLE_1)
	s_or_b32 exec_lo, exec_lo, s23
	v_lshrrev_b32_e32 v1, 16, v0
	v_mov_b32_e32 v3, 0
	v_mov_b32_e32 v4, 0
	s_mov_b32 s2, exec_lo
	s_clause 0x1
	scratch_store_b64 off, v[3:4], s32 offset:404
	scratch_store_b64 off, v[3:4], s32 offset:412
	v_and_b32_e32 v2, 0xff, v1
	s_delay_alu instid0(VALU_DEP_1)
	v_cmpx_ne_u16_e32 0, v2
	s_cbranch_execz .LBB266_75
; %bb.68:                               ;   in Loop: Header=BB266_16 Depth=1
	v_cmp_ne_u16_e64 s1, 0x80, v2
	v_bfrev_b32_e32 v2, 1
	v_mov_b32_e32 v3, 0
	scratch_store_b64 off, v[2:3], s32 offset:412 ; 8-byte Folded Spill
	s_and_saveexec_b32 s23, s1
	s_cbranch_execz .LBB266_74
; %bb.69:                               ;   in Loop: Header=BB266_16 Depth=1
	v_mov_b32_e32 v4, 0x7f800001
	v_bfe_u32 v3, v0, 16, 7
	v_mov_b32_e32 v5, 0
	s_mov_b32 s24, exec_lo
	scratch_store_b64 off, v[4:5], s32 offset:412 ; 8-byte Folded Spill
	v_cmpx_ne_u32_e32 0x7f, v3
	s_cbranch_execz .LBB266_73
; %bb.70:                               ;   in Loop: Header=BB266_16 Depth=1
	v_and_b32_e32 v28, 7, v1
	v_lshrrev_b32_e32 v2, 3, v3
	s_mov_b32 s25, exec_lo
	v_cmpx_gt_u32_e32 8, v3
; %bb.71:                               ;   in Loop: Header=BB266_16 Depth=1
	s_delay_alu instid0(VALU_DEP_3) | instskip(NEXT) | instid1(VALU_DEP_1)
	v_clz_i32_u32_e32 v2, v28
	v_min_u32_e32 v2, 32, v2
	s_delay_alu instid0(VALU_DEP_1) | instskip(SKIP_1) | instid1(VALU_DEP_2)
	v_subrev_nc_u32_e32 v3, 28, v2
	v_sub_nc_u32_e32 v2, 29, v2
	v_lshlrev_b64 v[3:4], v3, v[28:29]
	s_delay_alu instid0(VALU_DEP_1)
	v_and_b32_e32 v28, 7, v3
; %bb.72:                               ;   in Loop: Header=BB266_16 Depth=1
	s_or_b32 exec_lo, exec_lo, s25
	v_lshlrev_b32_e32 v1, 24, v1
	s_delay_alu instid0(VALU_DEP_2) | instskip(SKIP_1) | instid1(VALU_DEP_3)
	v_lshlrev_b32_e32 v3, 20, v28
	v_lshl_add_u32 v2, v2, 23, 0x3c000000
	v_and_b32_e32 v1, 0x80000000, v1
	s_delay_alu instid0(VALU_DEP_1)
	v_or3_b32 v28, v3, v1, v2
	scratch_store_b64 off, v[28:29], s32 offset:412 ; 8-byte Folded Spill
.LBB266_73:                             ;   in Loop: Header=BB266_16 Depth=1
	s_or_b32 exec_lo, exec_lo, s24
.LBB266_74:                             ;   in Loop: Header=BB266_16 Depth=1
	s_delay_alu instid0(SALU_CYCLE_1)
	s_or_b32 exec_lo, exec_lo, s23
.LBB266_75:                             ;   in Loop: Header=BB266_16 Depth=1
	s_delay_alu instid0(SALU_CYCLE_1) | instskip(NEXT) | instid1(SALU_CYCLE_1)
	s_or_b32 exec_lo, exec_lo, s2
	s_mov_b32 s23, exec_lo
	v_cmpx_lt_u32_e32 0xffffff, v0
	s_cbranch_execz .LBB266_83
; %bb.76:                               ;   in Loop: Header=BB266_16 Depth=1
	v_lshrrev_b32_e32 v1, 24, v0
	v_dual_mov_b32 v2, s16 :: v_dual_mov_b32 v3, s17
	s_mov_b32 s24, exec_lo
	scratch_store_b64 off, v[2:3], s32 offset:404 ; 8-byte Folded Spill
	v_cmpx_ne_u32_e32 0x80, v1
	s_cbranch_execz .LBB266_82
; %bb.77:                               ;   in Loop: Header=BB266_16 Depth=1
	s_mov_b32 s2, s16
	v_bfe_u32 v2, v0, 24, 7
	v_dual_mov_b32 v4, s3 :: v_dual_mov_b32 v3, s2
	s_mov_b32 s2, exec_lo
	scratch_store_b64 off, v[3:4], s32 offset:404 ; 8-byte Folded Spill
	v_cmpx_ne_u32_e32 0x7f, v2
	s_cbranch_execz .LBB266_81
; %bb.78:                               ;   in Loop: Header=BB266_16 Depth=1
	v_and_b32_e32 v28, 7, v1
	v_lshrrev_b32_e32 v0, 3, v2
	s_mov_b32 s25, exec_lo
	v_cmpx_gt_u32_e32 8, v2
; %bb.79:                               ;   in Loop: Header=BB266_16 Depth=1
	s_delay_alu instid0(VALU_DEP_3) | instskip(NEXT) | instid1(VALU_DEP_1)
	v_clz_i32_u32_e32 v0, v28
	v_min_u32_e32 v0, 32, v0
	s_delay_alu instid0(VALU_DEP_1) | instskip(SKIP_1) | instid1(VALU_DEP_2)
	v_subrev_nc_u32_e32 v2, 28, v0
	v_sub_nc_u32_e32 v0, 29, v0
	v_lshlrev_b64 v[2:3], v2, v[28:29]
	s_delay_alu instid0(VALU_DEP_1)
	v_and_b32_e32 v28, 7, v2
; %bb.80:                               ;   in Loop: Header=BB266_16 Depth=1
	s_or_b32 exec_lo, exec_lo, s25
	v_lshlrev_b32_e32 v1, 24, v1
	s_delay_alu instid0(VALU_DEP_2) | instskip(SKIP_1) | instid1(VALU_DEP_3)
	v_lshlrev_b32_e32 v2, 20, v28
	v_lshl_add_u32 v0, v0, 23, 0x3c000000
	v_and_b32_e32 v1, 0x80000000, v1
	s_delay_alu instid0(VALU_DEP_1)
	v_or3_b32 v1, v2, v1, v0
	v_mov_b32_e32 v0, v29
	scratch_store_b64 off, v[0:1], s32 offset:404 ; 8-byte Folded Spill
.LBB266_81:                             ;   in Loop: Header=BB266_16 Depth=1
	s_or_b32 exec_lo, exec_lo, s2
.LBB266_82:                             ;   in Loop: Header=BB266_16 Depth=1
	s_delay_alu instid0(SALU_CYCLE_1)
	s_or_b32 exec_lo, exec_lo, s24
.LBB266_83:                             ;   in Loop: Header=BB266_16 Depth=1
	s_delay_alu instid0(SALU_CYCLE_1)
	s_or_b32 exec_lo, exec_lo, s23
	flat_load_b32 v0, v[168:169] offset:8
	v_mov_b32_e32 v2, 0
	v_mov_b32_e32 v3, 0
	s_mov_b32 s2, exec_lo
	s_clause 0x1
	scratch_store_b64 off, v[2:3], s32 offset:420
	scratch_store_b64 off, v[2:3], s32 offset:428
	s_waitcnt vmcnt(0) lgkmcnt(0)
	v_and_b32_e32 v1, 0xff, v0
	s_delay_alu instid0(VALU_DEP_1)
	v_cmpx_ne_u16_e32 0, v1
	s_cbranch_execz .LBB266_91
; %bb.84:                               ;   in Loop: Header=BB266_16 Depth=1
	v_cmp_ne_u16_e64 s1, 0x80, v1
	v_bfrev_b32_e32 v1, 1
	v_mov_b32_e32 v2, 0
	scratch_store_b64 off, v[1:2], s32 offset:428 ; 8-byte Folded Spill
	s_and_saveexec_b32 s23, s1
	s_cbranch_execz .LBB266_90
; %bb.85:                               ;   in Loop: Header=BB266_16 Depth=1
	v_mov_b32_e32 v3, 0x7f800001
	v_and_b32_e32 v2, 0x7f, v0
	v_mov_b32_e32 v4, 0
	s_mov_b32 s24, exec_lo
	scratch_store_b64 off, v[3:4], s32 offset:428 ; 8-byte Folded Spill
	v_cmpx_ne_u32_e32 0x7f, v2
	s_cbranch_execz .LBB266_89
; %bb.86:                               ;   in Loop: Header=BB266_16 Depth=1
	v_and_b32_e32 v28, 7, v0
	v_lshrrev_b32_e32 v1, 3, v2
	s_mov_b32 s25, exec_lo
	v_cmpx_gt_u32_e32 8, v2
; %bb.87:                               ;   in Loop: Header=BB266_16 Depth=1
	s_delay_alu instid0(VALU_DEP_3) | instskip(NEXT) | instid1(VALU_DEP_1)
	v_clz_i32_u32_e32 v1, v28
	v_min_u32_e32 v1, 32, v1
	s_delay_alu instid0(VALU_DEP_1) | instskip(SKIP_1) | instid1(VALU_DEP_2)
	v_subrev_nc_u32_e32 v2, 28, v1
	v_sub_nc_u32_e32 v1, 29, v1
	v_lshlrev_b64 v[2:3], v2, v[28:29]
	s_delay_alu instid0(VALU_DEP_1)
	v_and_b32_e32 v28, 7, v2
; %bb.88:                               ;   in Loop: Header=BB266_16 Depth=1
	s_or_b32 exec_lo, exec_lo, s25
	v_lshlrev_b32_e32 v2, 24, v0
	s_delay_alu instid0(VALU_DEP_2) | instskip(SKIP_1) | instid1(VALU_DEP_3)
	v_lshlrev_b32_e32 v3, 20, v28
	v_lshl_add_u32 v1, v1, 23, 0x3c000000
	v_and_b32_e32 v2, 0x80000000, v2
	s_delay_alu instid0(VALU_DEP_1)
	v_or3_b32 v28, v3, v2, v1
	scratch_store_b64 off, v[28:29], s32 offset:428 ; 8-byte Folded Spill
.LBB266_89:                             ;   in Loop: Header=BB266_16 Depth=1
	s_or_b32 exec_lo, exec_lo, s24
.LBB266_90:                             ;   in Loop: Header=BB266_16 Depth=1
	s_delay_alu instid0(SALU_CYCLE_1)
	s_or_b32 exec_lo, exec_lo, s23
.LBB266_91:                             ;   in Loop: Header=BB266_16 Depth=1
	s_delay_alu instid0(SALU_CYCLE_1) | instskip(SKIP_2) | instid1(VALU_DEP_1)
	s_or_b32 exec_lo, exec_lo, s2
	v_lshrrev_b16 v1, 8, v0
	s_mov_b32 s23, exec_lo
	v_cmpx_ne_u16_e32 0, v1
	s_cbranch_execz .LBB266_99
; %bb.92:                               ;   in Loop: Header=BB266_16 Depth=1
	v_dual_mov_b32 v2, s16 :: v_dual_mov_b32 v3, s17
	s_mov_b32 s24, exec_lo
	scratch_store_b64 off, v[2:3], s32 offset:420 ; 8-byte Folded Spill
	v_cmpx_ne_u16_e32 0x80, v1
	s_cbranch_execz .LBB266_98
; %bb.93:                               ;   in Loop: Header=BB266_16 Depth=1
	s_mov_b32 s2, s16
	v_dual_mov_b32 v4, s3 :: v_dual_and_b32 v1, 0xffff, v1
	v_mov_b32_e32 v3, s2
	s_mov_b32 s2, exec_lo
	s_delay_alu instid0(VALU_DEP_2)
	v_and_b32_e32 v2, 0x7f, v1
	scratch_store_b64 off, v[3:4], s32 offset:420 ; 8-byte Folded Spill
	v_cmpx_ne_u32_e32 0x7f, v2
	s_cbranch_execz .LBB266_97
; %bb.94:                               ;   in Loop: Header=BB266_16 Depth=1
	v_and_b32_e32 v28, 7, v1
	v_lshrrev_b32_e32 v1, 3, v2
	s_mov_b32 s25, exec_lo
	v_cmpx_gt_u32_e32 8, v2
; %bb.95:                               ;   in Loop: Header=BB266_16 Depth=1
	s_delay_alu instid0(VALU_DEP_3) | instskip(NEXT) | instid1(VALU_DEP_1)
	v_clz_i32_u32_e32 v1, v28
	v_min_u32_e32 v1, 32, v1
	s_delay_alu instid0(VALU_DEP_1) | instskip(SKIP_1) | instid1(VALU_DEP_2)
	v_subrev_nc_u32_e32 v2, 28, v1
	v_sub_nc_u32_e32 v1, 29, v1
	v_lshlrev_b64 v[2:3], v2, v[28:29]
	s_delay_alu instid0(VALU_DEP_1)
	v_and_b32_e32 v28, 7, v2
; %bb.96:                               ;   in Loop: Header=BB266_16 Depth=1
	s_or_b32 exec_lo, exec_lo, s25
	v_lshlrev_b32_e32 v2, 16, v0
	s_delay_alu instid0(VALU_DEP_2) | instskip(SKIP_1) | instid1(VALU_DEP_3)
	v_lshlrev_b32_e32 v3, 20, v28
	v_lshl_add_u32 v1, v1, 23, 0x3c000000
	v_and_b32_e32 v2, 0x80000000, v2
	s_delay_alu instid0(VALU_DEP_1)
	v_or3_b32 v2, v3, v2, v1
	v_mov_b32_e32 v1, v29
	scratch_store_b64 off, v[1:2], s32 offset:420 ; 8-byte Folded Spill
.LBB266_97:                             ;   in Loop: Header=BB266_16 Depth=1
	s_or_b32 exec_lo, exec_lo, s2
.LBB266_98:                             ;   in Loop: Header=BB266_16 Depth=1
	s_delay_alu instid0(SALU_CYCLE_1)
	s_or_b32 exec_lo, exec_lo, s24
.LBB266_99:                             ;   in Loop: Header=BB266_16 Depth=1
	s_delay_alu instid0(SALU_CYCLE_1)
	s_or_b32 exec_lo, exec_lo, s23
	v_lshrrev_b32_e32 v1, 16, v0
	v_mov_b32_e32 v3, 0
	v_mov_b32_e32 v4, 0
	s_mov_b32 s2, exec_lo
	s_clause 0x1
	scratch_store_b64 off, v[3:4], s32 offset:436
	scratch_store_b64 off, v[3:4], s32 offset:444
	v_and_b32_e32 v2, 0xff, v1
	s_delay_alu instid0(VALU_DEP_1)
	v_cmpx_ne_u16_e32 0, v2
	s_cbranch_execz .LBB266_107
; %bb.100:                              ;   in Loop: Header=BB266_16 Depth=1
	v_cmp_ne_u16_e64 s1, 0x80, v2
	v_bfrev_b32_e32 v2, 1
	v_mov_b32_e32 v3, 0
	scratch_store_b64 off, v[2:3], s32 offset:444 ; 8-byte Folded Spill
	s_and_saveexec_b32 s23, s1
	s_cbranch_execz .LBB266_106
; %bb.101:                              ;   in Loop: Header=BB266_16 Depth=1
	v_mov_b32_e32 v4, 0x7f800001
	v_bfe_u32 v3, v0, 16, 7
	v_mov_b32_e32 v5, 0
	s_mov_b32 s24, exec_lo
	scratch_store_b64 off, v[4:5], s32 offset:444 ; 8-byte Folded Spill
	v_cmpx_ne_u32_e32 0x7f, v3
	s_cbranch_execz .LBB266_105
; %bb.102:                              ;   in Loop: Header=BB266_16 Depth=1
	v_and_b32_e32 v28, 7, v1
	v_lshrrev_b32_e32 v2, 3, v3
	s_mov_b32 s25, exec_lo
	v_cmpx_gt_u32_e32 8, v3
; %bb.103:                              ;   in Loop: Header=BB266_16 Depth=1
	s_delay_alu instid0(VALU_DEP_3) | instskip(NEXT) | instid1(VALU_DEP_1)
	v_clz_i32_u32_e32 v2, v28
	v_min_u32_e32 v2, 32, v2
	s_delay_alu instid0(VALU_DEP_1) | instskip(SKIP_1) | instid1(VALU_DEP_2)
	v_subrev_nc_u32_e32 v3, 28, v2
	v_sub_nc_u32_e32 v2, 29, v2
	v_lshlrev_b64 v[3:4], v3, v[28:29]
	s_delay_alu instid0(VALU_DEP_1)
	v_and_b32_e32 v28, 7, v3
; %bb.104:                              ;   in Loop: Header=BB266_16 Depth=1
	s_or_b32 exec_lo, exec_lo, s25
	v_lshlrev_b32_e32 v1, 24, v1
	s_delay_alu instid0(VALU_DEP_2) | instskip(SKIP_1) | instid1(VALU_DEP_3)
	v_lshlrev_b32_e32 v3, 20, v28
	v_lshl_add_u32 v2, v2, 23, 0x3c000000
	v_and_b32_e32 v1, 0x80000000, v1
	s_delay_alu instid0(VALU_DEP_1)
	v_or3_b32 v28, v3, v1, v2
	scratch_store_b64 off, v[28:29], s32 offset:444 ; 8-byte Folded Spill
.LBB266_105:                            ;   in Loop: Header=BB266_16 Depth=1
	s_or_b32 exec_lo, exec_lo, s24
.LBB266_106:                            ;   in Loop: Header=BB266_16 Depth=1
	s_delay_alu instid0(SALU_CYCLE_1)
	s_or_b32 exec_lo, exec_lo, s23
.LBB266_107:                            ;   in Loop: Header=BB266_16 Depth=1
	s_delay_alu instid0(SALU_CYCLE_1) | instskip(NEXT) | instid1(SALU_CYCLE_1)
	s_or_b32 exec_lo, exec_lo, s2
	s_mov_b32 s23, exec_lo
	v_cmpx_lt_u32_e32 0xffffff, v0
	s_cbranch_execz .LBB266_115
; %bb.108:                              ;   in Loop: Header=BB266_16 Depth=1
	v_lshrrev_b32_e32 v1, 24, v0
	v_dual_mov_b32 v2, s16 :: v_dual_mov_b32 v3, s17
	s_mov_b32 s24, exec_lo
	scratch_store_b64 off, v[2:3], s32 offset:436 ; 8-byte Folded Spill
	v_cmpx_ne_u32_e32 0x80, v1
	s_cbranch_execz .LBB266_114
; %bb.109:                              ;   in Loop: Header=BB266_16 Depth=1
	s_mov_b32 s2, s16
	v_bfe_u32 v2, v0, 24, 7
	v_dual_mov_b32 v4, s3 :: v_dual_mov_b32 v3, s2
	s_mov_b32 s2, exec_lo
	scratch_store_b64 off, v[3:4], s32 offset:436 ; 8-byte Folded Spill
	v_cmpx_ne_u32_e32 0x7f, v2
	s_cbranch_execz .LBB266_113
; %bb.110:                              ;   in Loop: Header=BB266_16 Depth=1
	v_and_b32_e32 v28, 7, v1
	v_lshrrev_b32_e32 v0, 3, v2
	s_mov_b32 s25, exec_lo
	v_cmpx_gt_u32_e32 8, v2
; %bb.111:                              ;   in Loop: Header=BB266_16 Depth=1
	s_delay_alu instid0(VALU_DEP_3) | instskip(NEXT) | instid1(VALU_DEP_1)
	v_clz_i32_u32_e32 v0, v28
	v_min_u32_e32 v0, 32, v0
	s_delay_alu instid0(VALU_DEP_1) | instskip(SKIP_1) | instid1(VALU_DEP_2)
	v_subrev_nc_u32_e32 v2, 28, v0
	v_sub_nc_u32_e32 v0, 29, v0
	v_lshlrev_b64 v[2:3], v2, v[28:29]
	s_delay_alu instid0(VALU_DEP_1)
	v_and_b32_e32 v28, 7, v2
; %bb.112:                              ;   in Loop: Header=BB266_16 Depth=1
	s_or_b32 exec_lo, exec_lo, s25
	v_lshlrev_b32_e32 v1, 24, v1
	s_delay_alu instid0(VALU_DEP_2) | instskip(SKIP_1) | instid1(VALU_DEP_3)
	v_lshlrev_b32_e32 v2, 20, v28
	v_lshl_add_u32 v0, v0, 23, 0x3c000000
	v_and_b32_e32 v1, 0x80000000, v1
	s_delay_alu instid0(VALU_DEP_1)
	v_or3_b32 v1, v2, v1, v0
	v_mov_b32_e32 v0, v29
	scratch_store_b64 off, v[0:1], s32 offset:436 ; 8-byte Folded Spill
.LBB266_113:                            ;   in Loop: Header=BB266_16 Depth=1
	s_or_b32 exec_lo, exec_lo, s2
.LBB266_114:                            ;   in Loop: Header=BB266_16 Depth=1
	s_delay_alu instid0(SALU_CYCLE_1)
	s_or_b32 exec_lo, exec_lo, s24
.LBB266_115:                            ;   in Loop: Header=BB266_16 Depth=1
	s_delay_alu instid0(SALU_CYCLE_1)
	s_or_b32 exec_lo, exec_lo, s23
	flat_load_b32 v0, v[168:169] offset:12
	v_mov_b32_e32 v2, 0
	v_mov_b32_e32 v3, 0
	s_mov_b32 s2, exec_lo
	s_clause 0x1
	scratch_store_b64 off, v[2:3], s32 offset:452
	scratch_store_b64 off, v[2:3], s32 offset:460
	s_waitcnt vmcnt(0) lgkmcnt(0)
	v_and_b32_e32 v1, 0xff, v0
	s_delay_alu instid0(VALU_DEP_1)
	v_cmpx_ne_u16_e32 0, v1
	s_cbranch_execz .LBB266_123
; %bb.116:                              ;   in Loop: Header=BB266_16 Depth=1
	v_cmp_ne_u16_e64 s1, 0x80, v1
	v_bfrev_b32_e32 v1, 1
	v_mov_b32_e32 v2, 0
	scratch_store_b64 off, v[1:2], s32 offset:460 ; 8-byte Folded Spill
	s_and_saveexec_b32 s23, s1
	s_cbranch_execz .LBB266_122
; %bb.117:                              ;   in Loop: Header=BB266_16 Depth=1
	v_mov_b32_e32 v3, 0x7f800001
	v_and_b32_e32 v2, 0x7f, v0
	v_mov_b32_e32 v4, 0
	s_mov_b32 s24, exec_lo
	scratch_store_b64 off, v[3:4], s32 offset:460 ; 8-byte Folded Spill
	v_cmpx_ne_u32_e32 0x7f, v2
	s_cbranch_execz .LBB266_121
; %bb.118:                              ;   in Loop: Header=BB266_16 Depth=1
	v_and_b32_e32 v28, 7, v0
	v_lshrrev_b32_e32 v1, 3, v2
	s_mov_b32 s25, exec_lo
	v_cmpx_gt_u32_e32 8, v2
; %bb.119:                              ;   in Loop: Header=BB266_16 Depth=1
	s_delay_alu instid0(VALU_DEP_3) | instskip(NEXT) | instid1(VALU_DEP_1)
	v_clz_i32_u32_e32 v1, v28
	v_min_u32_e32 v1, 32, v1
	s_delay_alu instid0(VALU_DEP_1) | instskip(SKIP_1) | instid1(VALU_DEP_2)
	v_subrev_nc_u32_e32 v2, 28, v1
	v_sub_nc_u32_e32 v1, 29, v1
	v_lshlrev_b64 v[2:3], v2, v[28:29]
	s_delay_alu instid0(VALU_DEP_1)
	v_and_b32_e32 v28, 7, v2
; %bb.120:                              ;   in Loop: Header=BB266_16 Depth=1
	s_or_b32 exec_lo, exec_lo, s25
	v_lshlrev_b32_e32 v2, 24, v0
	s_delay_alu instid0(VALU_DEP_2) | instskip(SKIP_1) | instid1(VALU_DEP_3)
	v_lshlrev_b32_e32 v3, 20, v28
	v_lshl_add_u32 v1, v1, 23, 0x3c000000
	v_and_b32_e32 v2, 0x80000000, v2
	s_delay_alu instid0(VALU_DEP_1)
	v_or3_b32 v28, v3, v2, v1
	scratch_store_b64 off, v[28:29], s32 offset:460 ; 8-byte Folded Spill
.LBB266_121:                            ;   in Loop: Header=BB266_16 Depth=1
	s_or_b32 exec_lo, exec_lo, s24
.LBB266_122:                            ;   in Loop: Header=BB266_16 Depth=1
	s_delay_alu instid0(SALU_CYCLE_1)
	s_or_b32 exec_lo, exec_lo, s23
.LBB266_123:                            ;   in Loop: Header=BB266_16 Depth=1
	s_delay_alu instid0(SALU_CYCLE_1) | instskip(SKIP_2) | instid1(VALU_DEP_1)
	s_or_b32 exec_lo, exec_lo, s2
	v_lshrrev_b16 v1, 8, v0
	s_mov_b32 s23, exec_lo
	v_cmpx_ne_u16_e32 0, v1
	s_cbranch_execz .LBB266_131
; %bb.124:                              ;   in Loop: Header=BB266_16 Depth=1
	v_dual_mov_b32 v2, s16 :: v_dual_mov_b32 v3, s17
	s_mov_b32 s24, exec_lo
	scratch_store_b64 off, v[2:3], s32 offset:452 ; 8-byte Folded Spill
	v_cmpx_ne_u16_e32 0x80, v1
	s_cbranch_execz .LBB266_130
; %bb.125:                              ;   in Loop: Header=BB266_16 Depth=1
	s_mov_b32 s2, s16
	v_dual_mov_b32 v4, s3 :: v_dual_and_b32 v1, 0xffff, v1
	v_mov_b32_e32 v3, s2
	s_mov_b32 s2, exec_lo
	s_delay_alu instid0(VALU_DEP_2)
	v_and_b32_e32 v2, 0x7f, v1
	scratch_store_b64 off, v[3:4], s32 offset:452 ; 8-byte Folded Spill
	v_cmpx_ne_u32_e32 0x7f, v2
	s_cbranch_execz .LBB266_129
; %bb.126:                              ;   in Loop: Header=BB266_16 Depth=1
	v_and_b32_e32 v28, 7, v1
	v_lshrrev_b32_e32 v1, 3, v2
	s_mov_b32 s25, exec_lo
	v_cmpx_gt_u32_e32 8, v2
; %bb.127:                              ;   in Loop: Header=BB266_16 Depth=1
	s_delay_alu instid0(VALU_DEP_3) | instskip(NEXT) | instid1(VALU_DEP_1)
	v_clz_i32_u32_e32 v1, v28
	v_min_u32_e32 v1, 32, v1
	s_delay_alu instid0(VALU_DEP_1) | instskip(SKIP_1) | instid1(VALU_DEP_2)
	v_subrev_nc_u32_e32 v2, 28, v1
	v_sub_nc_u32_e32 v1, 29, v1
	v_lshlrev_b64 v[2:3], v2, v[28:29]
	s_delay_alu instid0(VALU_DEP_1)
	v_and_b32_e32 v28, 7, v2
; %bb.128:                              ;   in Loop: Header=BB266_16 Depth=1
	s_or_b32 exec_lo, exec_lo, s25
	v_lshlrev_b32_e32 v2, 16, v0
	s_delay_alu instid0(VALU_DEP_2) | instskip(SKIP_1) | instid1(VALU_DEP_3)
	v_lshlrev_b32_e32 v3, 20, v28
	v_lshl_add_u32 v1, v1, 23, 0x3c000000
	v_and_b32_e32 v2, 0x80000000, v2
	s_delay_alu instid0(VALU_DEP_1)
	v_or3_b32 v2, v3, v2, v1
	v_mov_b32_e32 v1, v29
	scratch_store_b64 off, v[1:2], s32 offset:452 ; 8-byte Folded Spill
.LBB266_129:                            ;   in Loop: Header=BB266_16 Depth=1
	s_or_b32 exec_lo, exec_lo, s2
.LBB266_130:                            ;   in Loop: Header=BB266_16 Depth=1
	s_delay_alu instid0(SALU_CYCLE_1)
	s_or_b32 exec_lo, exec_lo, s24
.LBB266_131:                            ;   in Loop: Header=BB266_16 Depth=1
	s_delay_alu instid0(SALU_CYCLE_1)
	s_or_b32 exec_lo, exec_lo, s23
	v_lshrrev_b32_e32 v1, 16, v0
	v_mov_b32_e32 v3, 0
	v_mov_b32_e32 v4, 0
	s_mov_b32 s2, exec_lo
	s_clause 0x1
	scratch_store_b64 off, v[3:4], s32 offset:468
	scratch_store_b64 off, v[3:4], s32 offset:476
	v_and_b32_e32 v2, 0xff, v1
	s_delay_alu instid0(VALU_DEP_1)
	v_cmpx_ne_u16_e32 0, v2
	s_cbranch_execz .LBB266_139
; %bb.132:                              ;   in Loop: Header=BB266_16 Depth=1
	v_cmp_ne_u16_e64 s1, 0x80, v2
	v_bfrev_b32_e32 v2, 1
	v_mov_b32_e32 v3, 0
	scratch_store_b64 off, v[2:3], s32 offset:476 ; 8-byte Folded Spill
	s_and_saveexec_b32 s23, s1
	s_cbranch_execz .LBB266_138
; %bb.133:                              ;   in Loop: Header=BB266_16 Depth=1
	v_mov_b32_e32 v4, 0x7f800001
	v_bfe_u32 v3, v0, 16, 7
	v_mov_b32_e32 v5, 0
	s_mov_b32 s24, exec_lo
	scratch_store_b64 off, v[4:5], s32 offset:476 ; 8-byte Folded Spill
	v_cmpx_ne_u32_e32 0x7f, v3
	s_cbranch_execz .LBB266_137
; %bb.134:                              ;   in Loop: Header=BB266_16 Depth=1
	v_and_b32_e32 v28, 7, v1
	v_lshrrev_b32_e32 v2, 3, v3
	s_mov_b32 s25, exec_lo
	v_cmpx_gt_u32_e32 8, v3
; %bb.135:                              ;   in Loop: Header=BB266_16 Depth=1
	s_delay_alu instid0(VALU_DEP_3) | instskip(NEXT) | instid1(VALU_DEP_1)
	v_clz_i32_u32_e32 v2, v28
	v_min_u32_e32 v2, 32, v2
	s_delay_alu instid0(VALU_DEP_1) | instskip(SKIP_1) | instid1(VALU_DEP_2)
	v_subrev_nc_u32_e32 v3, 28, v2
	v_sub_nc_u32_e32 v2, 29, v2
	v_lshlrev_b64 v[3:4], v3, v[28:29]
	s_delay_alu instid0(VALU_DEP_1)
	v_and_b32_e32 v28, 7, v3
; %bb.136:                              ;   in Loop: Header=BB266_16 Depth=1
	s_or_b32 exec_lo, exec_lo, s25
	v_lshlrev_b32_e32 v1, 24, v1
	s_delay_alu instid0(VALU_DEP_2) | instskip(SKIP_1) | instid1(VALU_DEP_3)
	v_lshlrev_b32_e32 v3, 20, v28
	v_lshl_add_u32 v2, v2, 23, 0x3c000000
	v_and_b32_e32 v1, 0x80000000, v1
	s_delay_alu instid0(VALU_DEP_1)
	v_or3_b32 v28, v3, v1, v2
	scratch_store_b64 off, v[28:29], s32 offset:476 ; 8-byte Folded Spill
.LBB266_137:                            ;   in Loop: Header=BB266_16 Depth=1
	s_or_b32 exec_lo, exec_lo, s24
.LBB266_138:                            ;   in Loop: Header=BB266_16 Depth=1
	s_delay_alu instid0(SALU_CYCLE_1)
	s_or_b32 exec_lo, exec_lo, s23
.LBB266_139:                            ;   in Loop: Header=BB266_16 Depth=1
	s_delay_alu instid0(SALU_CYCLE_1) | instskip(NEXT) | instid1(SALU_CYCLE_1)
	s_or_b32 exec_lo, exec_lo, s2
	s_mov_b32 s23, exec_lo
	v_cmpx_lt_u32_e32 0xffffff, v0
	s_cbranch_execz .LBB266_147
; %bb.140:                              ;   in Loop: Header=BB266_16 Depth=1
	v_lshrrev_b32_e32 v1, 24, v0
	v_dual_mov_b32 v2, s16 :: v_dual_mov_b32 v3, s17
	s_mov_b32 s24, exec_lo
	scratch_store_b64 off, v[2:3], s32 offset:468 ; 8-byte Folded Spill
	v_cmpx_ne_u32_e32 0x80, v1
	s_cbranch_execz .LBB266_146
; %bb.141:                              ;   in Loop: Header=BB266_16 Depth=1
	s_mov_b32 s2, s16
	v_bfe_u32 v2, v0, 24, 7
	v_dual_mov_b32 v4, s3 :: v_dual_mov_b32 v3, s2
	s_mov_b32 s2, exec_lo
	scratch_store_b64 off, v[3:4], s32 offset:468 ; 8-byte Folded Spill
	v_cmpx_ne_u32_e32 0x7f, v2
	s_cbranch_execz .LBB266_145
; %bb.142:                              ;   in Loop: Header=BB266_16 Depth=1
	v_and_b32_e32 v28, 7, v1
	v_lshrrev_b32_e32 v0, 3, v2
	s_mov_b32 s25, exec_lo
	v_cmpx_gt_u32_e32 8, v2
; %bb.143:                              ;   in Loop: Header=BB266_16 Depth=1
	s_delay_alu instid0(VALU_DEP_3) | instskip(NEXT) | instid1(VALU_DEP_1)
	v_clz_i32_u32_e32 v0, v28
	v_min_u32_e32 v0, 32, v0
	s_delay_alu instid0(VALU_DEP_1) | instskip(SKIP_1) | instid1(VALU_DEP_2)
	v_subrev_nc_u32_e32 v2, 28, v0
	v_sub_nc_u32_e32 v0, 29, v0
	v_lshlrev_b64 v[2:3], v2, v[28:29]
	s_delay_alu instid0(VALU_DEP_1)
	v_and_b32_e32 v28, 7, v2
; %bb.144:                              ;   in Loop: Header=BB266_16 Depth=1
	s_or_b32 exec_lo, exec_lo, s25
	v_lshlrev_b32_e32 v1, 24, v1
	s_delay_alu instid0(VALU_DEP_2) | instskip(SKIP_1) | instid1(VALU_DEP_3)
	v_lshlrev_b32_e32 v2, 20, v28
	v_lshl_add_u32 v0, v0, 23, 0x3c000000
	v_and_b32_e32 v1, 0x80000000, v1
	s_delay_alu instid0(VALU_DEP_1)
	v_or3_b32 v1, v2, v1, v0
	v_mov_b32_e32 v0, v29
	scratch_store_b64 off, v[0:1], s32 offset:468 ; 8-byte Folded Spill
.LBB266_145:                            ;   in Loop: Header=BB266_16 Depth=1
	s_or_b32 exec_lo, exec_lo, s2
.LBB266_146:                            ;   in Loop: Header=BB266_16 Depth=1
	s_delay_alu instid0(SALU_CYCLE_1)
	s_or_b32 exec_lo, exec_lo, s24
.LBB266_147:                            ;   in Loop: Header=BB266_16 Depth=1
	s_delay_alu instid0(SALU_CYCLE_1)
	s_or_b32 exec_lo, exec_lo, s23
	flat_load_b32 v0, v[168:169] offset:512
	v_mov_b32_e32 v2, 0
	v_mov_b32_e32 v3, 0
	s_mov_b32 s2, exec_lo
	s_clause 0x1
	scratch_store_b64 off, v[2:3], s32 offset:484
	scratch_store_b64 off, v[2:3], s32 offset:492
	s_waitcnt vmcnt(0) lgkmcnt(0)
	v_and_b32_e32 v1, 0xff, v0
	s_delay_alu instid0(VALU_DEP_1)
	v_cmpx_ne_u16_e32 0, v1
	s_cbranch_execz .LBB266_155
; %bb.148:                              ;   in Loop: Header=BB266_16 Depth=1
	v_cmp_ne_u16_e64 s1, 0x80, v1
	v_bfrev_b32_e32 v1, 1
	v_mov_b32_e32 v2, 0
	scratch_store_b64 off, v[1:2], s32 offset:492 ; 8-byte Folded Spill
	s_and_saveexec_b32 s23, s1
	s_cbranch_execz .LBB266_154
; %bb.149:                              ;   in Loop: Header=BB266_16 Depth=1
	v_mov_b32_e32 v3, 0x7f800001
	v_and_b32_e32 v2, 0x7f, v0
	v_mov_b32_e32 v4, 0
	s_mov_b32 s24, exec_lo
	scratch_store_b64 off, v[3:4], s32 offset:492 ; 8-byte Folded Spill
	v_cmpx_ne_u32_e32 0x7f, v2
	s_cbranch_execz .LBB266_153
; %bb.150:                              ;   in Loop: Header=BB266_16 Depth=1
	v_and_b32_e32 v28, 7, v0
	v_lshrrev_b32_e32 v1, 3, v2
	s_mov_b32 s25, exec_lo
	v_cmpx_gt_u32_e32 8, v2
; %bb.151:                              ;   in Loop: Header=BB266_16 Depth=1
	s_delay_alu instid0(VALU_DEP_3) | instskip(NEXT) | instid1(VALU_DEP_1)
	v_clz_i32_u32_e32 v1, v28
	v_min_u32_e32 v1, 32, v1
	s_delay_alu instid0(VALU_DEP_1) | instskip(SKIP_1) | instid1(VALU_DEP_2)
	v_subrev_nc_u32_e32 v2, 28, v1
	v_sub_nc_u32_e32 v1, 29, v1
	v_lshlrev_b64 v[2:3], v2, v[28:29]
	s_delay_alu instid0(VALU_DEP_1)
	v_and_b32_e32 v28, 7, v2
; %bb.152:                              ;   in Loop: Header=BB266_16 Depth=1
	s_or_b32 exec_lo, exec_lo, s25
	v_lshlrev_b32_e32 v2, 24, v0
	s_delay_alu instid0(VALU_DEP_2) | instskip(SKIP_1) | instid1(VALU_DEP_3)
	v_lshlrev_b32_e32 v3, 20, v28
	v_lshl_add_u32 v1, v1, 23, 0x3c000000
	v_and_b32_e32 v2, 0x80000000, v2
	s_delay_alu instid0(VALU_DEP_1)
	v_or3_b32 v28, v3, v2, v1
	scratch_store_b64 off, v[28:29], s32 offset:492 ; 8-byte Folded Spill
.LBB266_153:                            ;   in Loop: Header=BB266_16 Depth=1
	s_or_b32 exec_lo, exec_lo, s24
.LBB266_154:                            ;   in Loop: Header=BB266_16 Depth=1
	s_delay_alu instid0(SALU_CYCLE_1)
	s_or_b32 exec_lo, exec_lo, s23
.LBB266_155:                            ;   in Loop: Header=BB266_16 Depth=1
	s_delay_alu instid0(SALU_CYCLE_1) | instskip(SKIP_2) | instid1(VALU_DEP_1)
	s_or_b32 exec_lo, exec_lo, s2
	v_lshrrev_b16 v1, 8, v0
	s_mov_b32 s23, exec_lo
	v_cmpx_ne_u16_e32 0, v1
	s_cbranch_execz .LBB266_163
; %bb.156:                              ;   in Loop: Header=BB266_16 Depth=1
	v_dual_mov_b32 v2, s16 :: v_dual_mov_b32 v3, s17
	s_mov_b32 s24, exec_lo
	scratch_store_b64 off, v[2:3], s32 offset:484 ; 8-byte Folded Spill
	v_cmpx_ne_u16_e32 0x80, v1
	s_cbranch_execz .LBB266_162
; %bb.157:                              ;   in Loop: Header=BB266_16 Depth=1
	s_mov_b32 s2, s16
	v_dual_mov_b32 v4, s3 :: v_dual_and_b32 v1, 0xffff, v1
	v_mov_b32_e32 v3, s2
	s_mov_b32 s2, exec_lo
	s_delay_alu instid0(VALU_DEP_2)
	v_and_b32_e32 v2, 0x7f, v1
	scratch_store_b64 off, v[3:4], s32 offset:484 ; 8-byte Folded Spill
	v_cmpx_ne_u32_e32 0x7f, v2
	s_cbranch_execz .LBB266_161
; %bb.158:                              ;   in Loop: Header=BB266_16 Depth=1
	v_and_b32_e32 v28, 7, v1
	v_lshrrev_b32_e32 v1, 3, v2
	s_mov_b32 s25, exec_lo
	v_cmpx_gt_u32_e32 8, v2
; %bb.159:                              ;   in Loop: Header=BB266_16 Depth=1
	s_delay_alu instid0(VALU_DEP_3) | instskip(NEXT) | instid1(VALU_DEP_1)
	v_clz_i32_u32_e32 v1, v28
	v_min_u32_e32 v1, 32, v1
	s_delay_alu instid0(VALU_DEP_1) | instskip(SKIP_1) | instid1(VALU_DEP_2)
	v_subrev_nc_u32_e32 v2, 28, v1
	v_sub_nc_u32_e32 v1, 29, v1
	v_lshlrev_b64 v[2:3], v2, v[28:29]
	s_delay_alu instid0(VALU_DEP_1)
	v_and_b32_e32 v28, 7, v2
; %bb.160:                              ;   in Loop: Header=BB266_16 Depth=1
	s_or_b32 exec_lo, exec_lo, s25
	v_lshlrev_b32_e32 v2, 16, v0
	s_delay_alu instid0(VALU_DEP_2) | instskip(SKIP_1) | instid1(VALU_DEP_3)
	v_lshlrev_b32_e32 v3, 20, v28
	v_lshl_add_u32 v1, v1, 23, 0x3c000000
	v_and_b32_e32 v2, 0x80000000, v2
	s_delay_alu instid0(VALU_DEP_1)
	v_or3_b32 v2, v3, v2, v1
	v_mov_b32_e32 v1, v29
	scratch_store_b64 off, v[1:2], s32 offset:484 ; 8-byte Folded Spill
.LBB266_161:                            ;   in Loop: Header=BB266_16 Depth=1
	s_or_b32 exec_lo, exec_lo, s2
.LBB266_162:                            ;   in Loop: Header=BB266_16 Depth=1
	s_delay_alu instid0(SALU_CYCLE_1)
	s_or_b32 exec_lo, exec_lo, s24
.LBB266_163:                            ;   in Loop: Header=BB266_16 Depth=1
	s_delay_alu instid0(SALU_CYCLE_1)
	s_or_b32 exec_lo, exec_lo, s23
	v_lshrrev_b32_e32 v1, 16, v0
	v_mov_b32_e32 v3, 0
	v_mov_b32_e32 v4, 0
	s_mov_b32 s2, exec_lo
	s_clause 0x1
	scratch_store_b64 off, v[3:4], s32 offset:500
	scratch_store_b64 off, v[3:4], s32 offset:508
	v_and_b32_e32 v2, 0xff, v1
	s_delay_alu instid0(VALU_DEP_1)
	v_cmpx_ne_u16_e32 0, v2
	s_cbranch_execz .LBB266_171
; %bb.164:                              ;   in Loop: Header=BB266_16 Depth=1
	v_cmp_ne_u16_e64 s1, 0x80, v2
	v_bfrev_b32_e32 v2, 1
	v_mov_b32_e32 v3, 0
	scratch_store_b64 off, v[2:3], s32 offset:508 ; 8-byte Folded Spill
	s_and_saveexec_b32 s23, s1
	s_cbranch_execz .LBB266_170
; %bb.165:                              ;   in Loop: Header=BB266_16 Depth=1
	v_mov_b32_e32 v4, 0x7f800001
	v_bfe_u32 v3, v0, 16, 7
	v_mov_b32_e32 v5, 0
	s_mov_b32 s24, exec_lo
	scratch_store_b64 off, v[4:5], s32 offset:508 ; 8-byte Folded Spill
	v_cmpx_ne_u32_e32 0x7f, v3
	s_cbranch_execz .LBB266_169
; %bb.166:                              ;   in Loop: Header=BB266_16 Depth=1
	v_and_b32_e32 v28, 7, v1
	v_lshrrev_b32_e32 v2, 3, v3
	s_mov_b32 s25, exec_lo
	v_cmpx_gt_u32_e32 8, v3
; %bb.167:                              ;   in Loop: Header=BB266_16 Depth=1
	s_delay_alu instid0(VALU_DEP_3) | instskip(NEXT) | instid1(VALU_DEP_1)
	v_clz_i32_u32_e32 v2, v28
	v_min_u32_e32 v2, 32, v2
	s_delay_alu instid0(VALU_DEP_1) | instskip(SKIP_1) | instid1(VALU_DEP_2)
	v_subrev_nc_u32_e32 v3, 28, v2
	v_sub_nc_u32_e32 v2, 29, v2
	v_lshlrev_b64 v[3:4], v3, v[28:29]
	s_delay_alu instid0(VALU_DEP_1)
	v_and_b32_e32 v28, 7, v3
; %bb.168:                              ;   in Loop: Header=BB266_16 Depth=1
	s_or_b32 exec_lo, exec_lo, s25
	v_lshlrev_b32_e32 v1, 24, v1
	s_delay_alu instid0(VALU_DEP_2) | instskip(SKIP_1) | instid1(VALU_DEP_3)
	v_lshlrev_b32_e32 v3, 20, v28
	v_lshl_add_u32 v2, v2, 23, 0x3c000000
	v_and_b32_e32 v1, 0x80000000, v1
	s_delay_alu instid0(VALU_DEP_1)
	v_or3_b32 v28, v3, v1, v2
	scratch_store_b64 off, v[28:29], s32 offset:508 ; 8-byte Folded Spill
.LBB266_169:                            ;   in Loop: Header=BB266_16 Depth=1
	s_or_b32 exec_lo, exec_lo, s24
.LBB266_170:                            ;   in Loop: Header=BB266_16 Depth=1
	s_delay_alu instid0(SALU_CYCLE_1)
	s_or_b32 exec_lo, exec_lo, s23
.LBB266_171:                            ;   in Loop: Header=BB266_16 Depth=1
	s_delay_alu instid0(SALU_CYCLE_1) | instskip(NEXT) | instid1(SALU_CYCLE_1)
	s_or_b32 exec_lo, exec_lo, s2
	s_mov_b32 s23, exec_lo
	v_cmpx_lt_u32_e32 0xffffff, v0
	s_cbranch_execz .LBB266_179
; %bb.172:                              ;   in Loop: Header=BB266_16 Depth=1
	v_lshrrev_b32_e32 v1, 24, v0
	v_dual_mov_b32 v2, s16 :: v_dual_mov_b32 v3, s17
	s_mov_b32 s24, exec_lo
	scratch_store_b64 off, v[2:3], s32 offset:500 ; 8-byte Folded Spill
	v_cmpx_ne_u32_e32 0x80, v1
	s_cbranch_execz .LBB266_178
; %bb.173:                              ;   in Loop: Header=BB266_16 Depth=1
	s_mov_b32 s2, s16
	v_bfe_u32 v2, v0, 24, 7
	v_dual_mov_b32 v4, s3 :: v_dual_mov_b32 v3, s2
	s_mov_b32 s2, exec_lo
	scratch_store_b64 off, v[3:4], s32 offset:500 ; 8-byte Folded Spill
	v_cmpx_ne_u32_e32 0x7f, v2
	s_cbranch_execz .LBB266_177
; %bb.174:                              ;   in Loop: Header=BB266_16 Depth=1
	v_and_b32_e32 v28, 7, v1
	v_lshrrev_b32_e32 v0, 3, v2
	s_mov_b32 s25, exec_lo
	v_cmpx_gt_u32_e32 8, v2
; %bb.175:                              ;   in Loop: Header=BB266_16 Depth=1
	s_delay_alu instid0(VALU_DEP_3) | instskip(NEXT) | instid1(VALU_DEP_1)
	v_clz_i32_u32_e32 v0, v28
	v_min_u32_e32 v0, 32, v0
	s_delay_alu instid0(VALU_DEP_1) | instskip(SKIP_1) | instid1(VALU_DEP_2)
	v_subrev_nc_u32_e32 v2, 28, v0
	v_sub_nc_u32_e32 v0, 29, v0
	v_lshlrev_b64 v[2:3], v2, v[28:29]
	s_delay_alu instid0(VALU_DEP_1)
	v_and_b32_e32 v28, 7, v2
; %bb.176:                              ;   in Loop: Header=BB266_16 Depth=1
	s_or_b32 exec_lo, exec_lo, s25
	v_lshlrev_b32_e32 v1, 24, v1
	s_delay_alu instid0(VALU_DEP_2) | instskip(SKIP_1) | instid1(VALU_DEP_3)
	v_lshlrev_b32_e32 v2, 20, v28
	v_lshl_add_u32 v0, v0, 23, 0x3c000000
	v_and_b32_e32 v1, 0x80000000, v1
	s_delay_alu instid0(VALU_DEP_1)
	v_or3_b32 v1, v2, v1, v0
	v_mov_b32_e32 v0, v29
	scratch_store_b64 off, v[0:1], s32 offset:500 ; 8-byte Folded Spill
.LBB266_177:                            ;   in Loop: Header=BB266_16 Depth=1
	s_or_b32 exec_lo, exec_lo, s2
.LBB266_178:                            ;   in Loop: Header=BB266_16 Depth=1
	s_delay_alu instid0(SALU_CYCLE_1)
	s_or_b32 exec_lo, exec_lo, s24
.LBB266_179:                            ;   in Loop: Header=BB266_16 Depth=1
	s_delay_alu instid0(SALU_CYCLE_1)
	s_or_b32 exec_lo, exec_lo, s23
	flat_load_b32 v0, v[168:169] offset:516
	v_mov_b32_e32 v2, 0
	v_mov_b32_e32 v3, 0
	s_mov_b32 s2, exec_lo
	s_clause 0x1
	scratch_store_b64 off, v[2:3], s32 offset:516
	scratch_store_b64 off, v[2:3], s32 offset:524
	s_waitcnt vmcnt(0) lgkmcnt(0)
	v_and_b32_e32 v1, 0xff, v0
	s_delay_alu instid0(VALU_DEP_1)
	v_cmpx_ne_u16_e32 0, v1
	s_cbranch_execz .LBB266_187
; %bb.180:                              ;   in Loop: Header=BB266_16 Depth=1
	v_cmp_ne_u16_e64 s1, 0x80, v1
	v_bfrev_b32_e32 v1, 1
	v_mov_b32_e32 v2, 0
	scratch_store_b64 off, v[1:2], s32 offset:524 ; 8-byte Folded Spill
	s_and_saveexec_b32 s23, s1
	s_cbranch_execz .LBB266_186
; %bb.181:                              ;   in Loop: Header=BB266_16 Depth=1
	v_mov_b32_e32 v3, 0x7f800001
	v_and_b32_e32 v2, 0x7f, v0
	v_mov_b32_e32 v4, 0
	s_mov_b32 s24, exec_lo
	scratch_store_b64 off, v[3:4], s32 offset:524 ; 8-byte Folded Spill
	v_cmpx_ne_u32_e32 0x7f, v2
	s_cbranch_execz .LBB266_185
; %bb.182:                              ;   in Loop: Header=BB266_16 Depth=1
	v_and_b32_e32 v28, 7, v0
	v_lshrrev_b32_e32 v1, 3, v2
	s_mov_b32 s25, exec_lo
	v_cmpx_gt_u32_e32 8, v2
; %bb.183:                              ;   in Loop: Header=BB266_16 Depth=1
	s_delay_alu instid0(VALU_DEP_3) | instskip(NEXT) | instid1(VALU_DEP_1)
	v_clz_i32_u32_e32 v1, v28
	v_min_u32_e32 v1, 32, v1
	s_delay_alu instid0(VALU_DEP_1) | instskip(SKIP_1) | instid1(VALU_DEP_2)
	v_subrev_nc_u32_e32 v2, 28, v1
	v_sub_nc_u32_e32 v1, 29, v1
	v_lshlrev_b64 v[2:3], v2, v[28:29]
	s_delay_alu instid0(VALU_DEP_1)
	v_and_b32_e32 v28, 7, v2
; %bb.184:                              ;   in Loop: Header=BB266_16 Depth=1
	s_or_b32 exec_lo, exec_lo, s25
	v_lshlrev_b32_e32 v2, 24, v0
	s_delay_alu instid0(VALU_DEP_2) | instskip(SKIP_1) | instid1(VALU_DEP_3)
	v_lshlrev_b32_e32 v3, 20, v28
	v_lshl_add_u32 v1, v1, 23, 0x3c000000
	v_and_b32_e32 v2, 0x80000000, v2
	s_delay_alu instid0(VALU_DEP_1)
	v_or3_b32 v28, v3, v2, v1
	scratch_store_b64 off, v[28:29], s32 offset:524 ; 8-byte Folded Spill
.LBB266_185:                            ;   in Loop: Header=BB266_16 Depth=1
	s_or_b32 exec_lo, exec_lo, s24
.LBB266_186:                            ;   in Loop: Header=BB266_16 Depth=1
	s_delay_alu instid0(SALU_CYCLE_1)
	s_or_b32 exec_lo, exec_lo, s23
.LBB266_187:                            ;   in Loop: Header=BB266_16 Depth=1
	s_delay_alu instid0(SALU_CYCLE_1) | instskip(SKIP_2) | instid1(VALU_DEP_1)
	s_or_b32 exec_lo, exec_lo, s2
	v_lshrrev_b16 v1, 8, v0
	s_mov_b32 s23, exec_lo
	v_cmpx_ne_u16_e32 0, v1
	s_cbranch_execz .LBB266_195
; %bb.188:                              ;   in Loop: Header=BB266_16 Depth=1
	v_dual_mov_b32 v2, s16 :: v_dual_mov_b32 v3, s17
	s_mov_b32 s24, exec_lo
	scratch_store_b64 off, v[2:3], s32 offset:516 ; 8-byte Folded Spill
	v_cmpx_ne_u16_e32 0x80, v1
	s_cbranch_execz .LBB266_194
; %bb.189:                              ;   in Loop: Header=BB266_16 Depth=1
	s_mov_b32 s2, s16
	v_dual_mov_b32 v4, s3 :: v_dual_and_b32 v1, 0xffff, v1
	v_mov_b32_e32 v3, s2
	s_mov_b32 s2, exec_lo
	s_delay_alu instid0(VALU_DEP_2)
	v_and_b32_e32 v2, 0x7f, v1
	scratch_store_b64 off, v[3:4], s32 offset:516 ; 8-byte Folded Spill
	v_cmpx_ne_u32_e32 0x7f, v2
	s_cbranch_execz .LBB266_193
; %bb.190:                              ;   in Loop: Header=BB266_16 Depth=1
	v_and_b32_e32 v28, 7, v1
	v_lshrrev_b32_e32 v1, 3, v2
	s_mov_b32 s25, exec_lo
	v_cmpx_gt_u32_e32 8, v2
; %bb.191:                              ;   in Loop: Header=BB266_16 Depth=1
	s_delay_alu instid0(VALU_DEP_3) | instskip(NEXT) | instid1(VALU_DEP_1)
	v_clz_i32_u32_e32 v1, v28
	v_min_u32_e32 v1, 32, v1
	s_delay_alu instid0(VALU_DEP_1) | instskip(SKIP_1) | instid1(VALU_DEP_2)
	v_subrev_nc_u32_e32 v2, 28, v1
	v_sub_nc_u32_e32 v1, 29, v1
	v_lshlrev_b64 v[2:3], v2, v[28:29]
	s_delay_alu instid0(VALU_DEP_1)
	v_and_b32_e32 v28, 7, v2
; %bb.192:                              ;   in Loop: Header=BB266_16 Depth=1
	s_or_b32 exec_lo, exec_lo, s25
	v_lshlrev_b32_e32 v2, 16, v0
	s_delay_alu instid0(VALU_DEP_2) | instskip(SKIP_1) | instid1(VALU_DEP_3)
	v_lshlrev_b32_e32 v3, 20, v28
	v_lshl_add_u32 v1, v1, 23, 0x3c000000
	v_and_b32_e32 v2, 0x80000000, v2
	s_delay_alu instid0(VALU_DEP_1)
	v_or3_b32 v2, v3, v2, v1
	v_mov_b32_e32 v1, v29
	scratch_store_b64 off, v[1:2], s32 offset:516 ; 8-byte Folded Spill
.LBB266_193:                            ;   in Loop: Header=BB266_16 Depth=1
	s_or_b32 exec_lo, exec_lo, s2
.LBB266_194:                            ;   in Loop: Header=BB266_16 Depth=1
	s_delay_alu instid0(SALU_CYCLE_1)
	s_or_b32 exec_lo, exec_lo, s24
.LBB266_195:                            ;   in Loop: Header=BB266_16 Depth=1
	s_delay_alu instid0(SALU_CYCLE_1)
	s_or_b32 exec_lo, exec_lo, s23
	v_lshrrev_b32_e32 v1, 16, v0
	v_mov_b32_e32 v3, 0
	v_mov_b32_e32 v4, 0
	s_mov_b32 s2, exec_lo
	s_clause 0x1
	scratch_store_b64 off, v[3:4], s32 offset:532
	scratch_store_b64 off, v[3:4], s32 offset:540
	v_and_b32_e32 v2, 0xff, v1
	s_delay_alu instid0(VALU_DEP_1)
	v_cmpx_ne_u16_e32 0, v2
	s_cbranch_execz .LBB266_203
; %bb.196:                              ;   in Loop: Header=BB266_16 Depth=1
	v_cmp_ne_u16_e64 s1, 0x80, v2
	v_bfrev_b32_e32 v2, 1
	v_mov_b32_e32 v3, 0
	scratch_store_b64 off, v[2:3], s32 offset:540 ; 8-byte Folded Spill
	s_and_saveexec_b32 s23, s1
	s_cbranch_execz .LBB266_202
; %bb.197:                              ;   in Loop: Header=BB266_16 Depth=1
	v_mov_b32_e32 v4, 0x7f800001
	v_bfe_u32 v3, v0, 16, 7
	v_mov_b32_e32 v5, 0
	s_mov_b32 s24, exec_lo
	scratch_store_b64 off, v[4:5], s32 offset:540 ; 8-byte Folded Spill
	v_cmpx_ne_u32_e32 0x7f, v3
	s_cbranch_execz .LBB266_201
; %bb.198:                              ;   in Loop: Header=BB266_16 Depth=1
	v_and_b32_e32 v28, 7, v1
	v_lshrrev_b32_e32 v2, 3, v3
	s_mov_b32 s25, exec_lo
	v_cmpx_gt_u32_e32 8, v3
; %bb.199:                              ;   in Loop: Header=BB266_16 Depth=1
	s_delay_alu instid0(VALU_DEP_3) | instskip(NEXT) | instid1(VALU_DEP_1)
	v_clz_i32_u32_e32 v2, v28
	v_min_u32_e32 v2, 32, v2
	s_delay_alu instid0(VALU_DEP_1) | instskip(SKIP_1) | instid1(VALU_DEP_2)
	v_subrev_nc_u32_e32 v3, 28, v2
	v_sub_nc_u32_e32 v2, 29, v2
	v_lshlrev_b64 v[3:4], v3, v[28:29]
	s_delay_alu instid0(VALU_DEP_1)
	v_and_b32_e32 v28, 7, v3
; %bb.200:                              ;   in Loop: Header=BB266_16 Depth=1
	s_or_b32 exec_lo, exec_lo, s25
	v_lshlrev_b32_e32 v1, 24, v1
	s_delay_alu instid0(VALU_DEP_2) | instskip(SKIP_1) | instid1(VALU_DEP_3)
	v_lshlrev_b32_e32 v3, 20, v28
	v_lshl_add_u32 v2, v2, 23, 0x3c000000
	v_and_b32_e32 v1, 0x80000000, v1
	s_delay_alu instid0(VALU_DEP_1)
	v_or3_b32 v28, v3, v1, v2
	scratch_store_b64 off, v[28:29], s32 offset:540 ; 8-byte Folded Spill
.LBB266_201:                            ;   in Loop: Header=BB266_16 Depth=1
	s_or_b32 exec_lo, exec_lo, s24
.LBB266_202:                            ;   in Loop: Header=BB266_16 Depth=1
	s_delay_alu instid0(SALU_CYCLE_1)
	s_or_b32 exec_lo, exec_lo, s23
.LBB266_203:                            ;   in Loop: Header=BB266_16 Depth=1
	s_delay_alu instid0(SALU_CYCLE_1) | instskip(NEXT) | instid1(SALU_CYCLE_1)
	s_or_b32 exec_lo, exec_lo, s2
	s_mov_b32 s23, exec_lo
	v_cmpx_lt_u32_e32 0xffffff, v0
	s_cbranch_execz .LBB266_211
; %bb.204:                              ;   in Loop: Header=BB266_16 Depth=1
	v_lshrrev_b32_e32 v1, 24, v0
	v_dual_mov_b32 v2, s16 :: v_dual_mov_b32 v3, s17
	s_mov_b32 s24, exec_lo
	scratch_store_b64 off, v[2:3], s32 offset:532 ; 8-byte Folded Spill
	v_cmpx_ne_u32_e32 0x80, v1
	s_cbranch_execz .LBB266_210
; %bb.205:                              ;   in Loop: Header=BB266_16 Depth=1
	s_mov_b32 s2, s16
	v_bfe_u32 v2, v0, 24, 7
	v_dual_mov_b32 v4, s3 :: v_dual_mov_b32 v3, s2
	s_mov_b32 s2, exec_lo
	scratch_store_b64 off, v[3:4], s32 offset:532 ; 8-byte Folded Spill
	v_cmpx_ne_u32_e32 0x7f, v2
	s_cbranch_execz .LBB266_209
; %bb.206:                              ;   in Loop: Header=BB266_16 Depth=1
	v_and_b32_e32 v28, 7, v1
	v_lshrrev_b32_e32 v0, 3, v2
	s_mov_b32 s25, exec_lo
	v_cmpx_gt_u32_e32 8, v2
; %bb.207:                              ;   in Loop: Header=BB266_16 Depth=1
	s_delay_alu instid0(VALU_DEP_3) | instskip(NEXT) | instid1(VALU_DEP_1)
	v_clz_i32_u32_e32 v0, v28
	v_min_u32_e32 v0, 32, v0
	s_delay_alu instid0(VALU_DEP_1) | instskip(SKIP_1) | instid1(VALU_DEP_2)
	v_subrev_nc_u32_e32 v2, 28, v0
	v_sub_nc_u32_e32 v0, 29, v0
	v_lshlrev_b64 v[2:3], v2, v[28:29]
	s_delay_alu instid0(VALU_DEP_1)
	v_and_b32_e32 v28, 7, v2
; %bb.208:                              ;   in Loop: Header=BB266_16 Depth=1
	s_or_b32 exec_lo, exec_lo, s25
	v_lshlrev_b32_e32 v1, 24, v1
	s_delay_alu instid0(VALU_DEP_2) | instskip(SKIP_1) | instid1(VALU_DEP_3)
	v_lshlrev_b32_e32 v2, 20, v28
	v_lshl_add_u32 v0, v0, 23, 0x3c000000
	v_and_b32_e32 v1, 0x80000000, v1
	s_delay_alu instid0(VALU_DEP_1)
	v_or3_b32 v1, v2, v1, v0
	v_mov_b32_e32 v0, v29
	scratch_store_b64 off, v[0:1], s32 offset:532 ; 8-byte Folded Spill
.LBB266_209:                            ;   in Loop: Header=BB266_16 Depth=1
	s_or_b32 exec_lo, exec_lo, s2
.LBB266_210:                            ;   in Loop: Header=BB266_16 Depth=1
	s_delay_alu instid0(SALU_CYCLE_1)
	s_or_b32 exec_lo, exec_lo, s24
.LBB266_211:                            ;   in Loop: Header=BB266_16 Depth=1
	s_delay_alu instid0(SALU_CYCLE_1)
	s_or_b32 exec_lo, exec_lo, s23
	flat_load_b32 v0, v[168:169] offset:520
	v_mov_b32_e32 v2, 0
	v_mov_b32_e32 v3, 0
	s_mov_b32 s2, exec_lo
	s_clause 0x1
	scratch_store_b64 off, v[2:3], s32 offset:548
	scratch_store_b64 off, v[2:3], s32 offset:556
	s_waitcnt vmcnt(0) lgkmcnt(0)
	v_and_b32_e32 v1, 0xff, v0
	s_delay_alu instid0(VALU_DEP_1)
	v_cmpx_ne_u16_e32 0, v1
	s_cbranch_execz .LBB266_219
; %bb.212:                              ;   in Loop: Header=BB266_16 Depth=1
	v_cmp_ne_u16_e64 s1, 0x80, v1
	v_bfrev_b32_e32 v1, 1
	v_mov_b32_e32 v2, 0
	scratch_store_b64 off, v[1:2], s32 offset:556 ; 8-byte Folded Spill
	s_and_saveexec_b32 s23, s1
	s_cbranch_execz .LBB266_218
; %bb.213:                              ;   in Loop: Header=BB266_16 Depth=1
	v_mov_b32_e32 v3, 0x7f800001
	v_and_b32_e32 v2, 0x7f, v0
	v_mov_b32_e32 v4, 0
	s_mov_b32 s24, exec_lo
	scratch_store_b64 off, v[3:4], s32 offset:556 ; 8-byte Folded Spill
	v_cmpx_ne_u32_e32 0x7f, v2
	s_cbranch_execz .LBB266_217
; %bb.214:                              ;   in Loop: Header=BB266_16 Depth=1
	v_and_b32_e32 v28, 7, v0
	v_lshrrev_b32_e32 v1, 3, v2
	s_mov_b32 s25, exec_lo
	v_cmpx_gt_u32_e32 8, v2
; %bb.215:                              ;   in Loop: Header=BB266_16 Depth=1
	s_delay_alu instid0(VALU_DEP_3) | instskip(NEXT) | instid1(VALU_DEP_1)
	v_clz_i32_u32_e32 v1, v28
	v_min_u32_e32 v1, 32, v1
	s_delay_alu instid0(VALU_DEP_1) | instskip(SKIP_1) | instid1(VALU_DEP_2)
	v_subrev_nc_u32_e32 v2, 28, v1
	v_sub_nc_u32_e32 v1, 29, v1
	v_lshlrev_b64 v[2:3], v2, v[28:29]
	s_delay_alu instid0(VALU_DEP_1)
	v_and_b32_e32 v28, 7, v2
; %bb.216:                              ;   in Loop: Header=BB266_16 Depth=1
	s_or_b32 exec_lo, exec_lo, s25
	v_lshlrev_b32_e32 v2, 24, v0
	s_delay_alu instid0(VALU_DEP_2) | instskip(SKIP_1) | instid1(VALU_DEP_3)
	v_lshlrev_b32_e32 v3, 20, v28
	v_lshl_add_u32 v1, v1, 23, 0x3c000000
	v_and_b32_e32 v2, 0x80000000, v2
	s_delay_alu instid0(VALU_DEP_1)
	v_or3_b32 v28, v3, v2, v1
	scratch_store_b64 off, v[28:29], s32 offset:556 ; 8-byte Folded Spill
.LBB266_217:                            ;   in Loop: Header=BB266_16 Depth=1
	s_or_b32 exec_lo, exec_lo, s24
.LBB266_218:                            ;   in Loop: Header=BB266_16 Depth=1
	s_delay_alu instid0(SALU_CYCLE_1)
	s_or_b32 exec_lo, exec_lo, s23
.LBB266_219:                            ;   in Loop: Header=BB266_16 Depth=1
	s_delay_alu instid0(SALU_CYCLE_1) | instskip(SKIP_2) | instid1(VALU_DEP_1)
	s_or_b32 exec_lo, exec_lo, s2
	v_lshrrev_b16 v1, 8, v0
	s_mov_b32 s23, exec_lo
	v_cmpx_ne_u16_e32 0, v1
	s_cbranch_execz .LBB266_227
; %bb.220:                              ;   in Loop: Header=BB266_16 Depth=1
	v_dual_mov_b32 v2, s16 :: v_dual_mov_b32 v3, s17
	s_mov_b32 s24, exec_lo
	scratch_store_b64 off, v[2:3], s32 offset:548 ; 8-byte Folded Spill
	v_cmpx_ne_u16_e32 0x80, v1
	s_cbranch_execz .LBB266_226
; %bb.221:                              ;   in Loop: Header=BB266_16 Depth=1
	s_mov_b32 s2, s16
	v_dual_mov_b32 v4, s3 :: v_dual_and_b32 v1, 0xffff, v1
	v_mov_b32_e32 v3, s2
	s_mov_b32 s2, exec_lo
	s_delay_alu instid0(VALU_DEP_2)
	v_and_b32_e32 v2, 0x7f, v1
	scratch_store_b64 off, v[3:4], s32 offset:548 ; 8-byte Folded Spill
	v_cmpx_ne_u32_e32 0x7f, v2
	s_cbranch_execz .LBB266_225
; %bb.222:                              ;   in Loop: Header=BB266_16 Depth=1
	v_and_b32_e32 v28, 7, v1
	v_lshrrev_b32_e32 v1, 3, v2
	s_mov_b32 s25, exec_lo
	v_cmpx_gt_u32_e32 8, v2
; %bb.223:                              ;   in Loop: Header=BB266_16 Depth=1
	s_delay_alu instid0(VALU_DEP_3) | instskip(NEXT) | instid1(VALU_DEP_1)
	v_clz_i32_u32_e32 v1, v28
	v_min_u32_e32 v1, 32, v1
	s_delay_alu instid0(VALU_DEP_1) | instskip(SKIP_1) | instid1(VALU_DEP_2)
	v_subrev_nc_u32_e32 v2, 28, v1
	v_sub_nc_u32_e32 v1, 29, v1
	v_lshlrev_b64 v[2:3], v2, v[28:29]
	s_delay_alu instid0(VALU_DEP_1)
	v_and_b32_e32 v28, 7, v2
; %bb.224:                              ;   in Loop: Header=BB266_16 Depth=1
	s_or_b32 exec_lo, exec_lo, s25
	v_lshlrev_b32_e32 v2, 16, v0
	s_delay_alu instid0(VALU_DEP_2) | instskip(SKIP_1) | instid1(VALU_DEP_3)
	v_lshlrev_b32_e32 v3, 20, v28
	v_lshl_add_u32 v1, v1, 23, 0x3c000000
	v_and_b32_e32 v2, 0x80000000, v2
	s_delay_alu instid0(VALU_DEP_1)
	v_or3_b32 v2, v3, v2, v1
	v_mov_b32_e32 v1, v29
	scratch_store_b64 off, v[1:2], s32 offset:548 ; 8-byte Folded Spill
.LBB266_225:                            ;   in Loop: Header=BB266_16 Depth=1
	s_or_b32 exec_lo, exec_lo, s2
.LBB266_226:                            ;   in Loop: Header=BB266_16 Depth=1
	s_delay_alu instid0(SALU_CYCLE_1)
	s_or_b32 exec_lo, exec_lo, s24
.LBB266_227:                            ;   in Loop: Header=BB266_16 Depth=1
	s_delay_alu instid0(SALU_CYCLE_1)
	s_or_b32 exec_lo, exec_lo, s23
	v_lshrrev_b32_e32 v1, 16, v0
	v_mov_b32_e32 v3, 0
	v_mov_b32_e32 v4, 0
	s_mov_b32 s2, exec_lo
	s_clause 0x1
	scratch_store_b64 off, v[3:4], s32 offset:564
	scratch_store_b64 off, v[3:4], s32 offset:572
	v_and_b32_e32 v2, 0xff, v1
	s_delay_alu instid0(VALU_DEP_1)
	v_cmpx_ne_u16_e32 0, v2
	s_cbranch_execz .LBB266_235
; %bb.228:                              ;   in Loop: Header=BB266_16 Depth=1
	v_cmp_ne_u16_e64 s1, 0x80, v2
	v_bfrev_b32_e32 v2, 1
	v_mov_b32_e32 v3, 0
	scratch_store_b64 off, v[2:3], s32 offset:572 ; 8-byte Folded Spill
	s_and_saveexec_b32 s23, s1
	s_cbranch_execz .LBB266_234
; %bb.229:                              ;   in Loop: Header=BB266_16 Depth=1
	v_mov_b32_e32 v4, 0x7f800001
	v_bfe_u32 v3, v0, 16, 7
	v_mov_b32_e32 v5, 0
	s_mov_b32 s24, exec_lo
	scratch_store_b64 off, v[4:5], s32 offset:572 ; 8-byte Folded Spill
	v_cmpx_ne_u32_e32 0x7f, v3
	s_cbranch_execz .LBB266_233
; %bb.230:                              ;   in Loop: Header=BB266_16 Depth=1
	v_and_b32_e32 v28, 7, v1
	v_lshrrev_b32_e32 v2, 3, v3
	s_mov_b32 s25, exec_lo
	v_cmpx_gt_u32_e32 8, v3
; %bb.231:                              ;   in Loop: Header=BB266_16 Depth=1
	s_delay_alu instid0(VALU_DEP_3) | instskip(NEXT) | instid1(VALU_DEP_1)
	v_clz_i32_u32_e32 v2, v28
	v_min_u32_e32 v2, 32, v2
	s_delay_alu instid0(VALU_DEP_1) | instskip(SKIP_1) | instid1(VALU_DEP_2)
	v_subrev_nc_u32_e32 v3, 28, v2
	v_sub_nc_u32_e32 v2, 29, v2
	v_lshlrev_b64 v[3:4], v3, v[28:29]
	s_delay_alu instid0(VALU_DEP_1)
	v_and_b32_e32 v28, 7, v3
; %bb.232:                              ;   in Loop: Header=BB266_16 Depth=1
	s_or_b32 exec_lo, exec_lo, s25
	v_lshlrev_b32_e32 v1, 24, v1
	s_delay_alu instid0(VALU_DEP_2) | instskip(SKIP_1) | instid1(VALU_DEP_3)
	v_lshlrev_b32_e32 v3, 20, v28
	v_lshl_add_u32 v2, v2, 23, 0x3c000000
	v_and_b32_e32 v1, 0x80000000, v1
	s_delay_alu instid0(VALU_DEP_1)
	v_or3_b32 v28, v3, v1, v2
	scratch_store_b64 off, v[28:29], s32 offset:572 ; 8-byte Folded Spill
.LBB266_233:                            ;   in Loop: Header=BB266_16 Depth=1
	s_or_b32 exec_lo, exec_lo, s24
.LBB266_234:                            ;   in Loop: Header=BB266_16 Depth=1
	s_delay_alu instid0(SALU_CYCLE_1)
	s_or_b32 exec_lo, exec_lo, s23
.LBB266_235:                            ;   in Loop: Header=BB266_16 Depth=1
	s_delay_alu instid0(SALU_CYCLE_1) | instskip(NEXT) | instid1(SALU_CYCLE_1)
	s_or_b32 exec_lo, exec_lo, s2
	s_mov_b32 s23, exec_lo
	v_cmpx_lt_u32_e32 0xffffff, v0
	s_cbranch_execz .LBB266_243
; %bb.236:                              ;   in Loop: Header=BB266_16 Depth=1
	v_lshrrev_b32_e32 v1, 24, v0
	v_dual_mov_b32 v2, s16 :: v_dual_mov_b32 v3, s17
	s_mov_b32 s24, exec_lo
	scratch_store_b64 off, v[2:3], s32 offset:564 ; 8-byte Folded Spill
	v_cmpx_ne_u32_e32 0x80, v1
	s_cbranch_execz .LBB266_242
; %bb.237:                              ;   in Loop: Header=BB266_16 Depth=1
	s_mov_b32 s2, s16
	v_bfe_u32 v2, v0, 24, 7
	v_dual_mov_b32 v4, s3 :: v_dual_mov_b32 v3, s2
	s_mov_b32 s2, exec_lo
	scratch_store_b64 off, v[3:4], s32 offset:564 ; 8-byte Folded Spill
	v_cmpx_ne_u32_e32 0x7f, v2
	s_cbranch_execz .LBB266_241
; %bb.238:                              ;   in Loop: Header=BB266_16 Depth=1
	v_and_b32_e32 v28, 7, v1
	v_lshrrev_b32_e32 v0, 3, v2
	s_mov_b32 s25, exec_lo
	v_cmpx_gt_u32_e32 8, v2
; %bb.239:                              ;   in Loop: Header=BB266_16 Depth=1
	s_delay_alu instid0(VALU_DEP_3) | instskip(NEXT) | instid1(VALU_DEP_1)
	v_clz_i32_u32_e32 v0, v28
	v_min_u32_e32 v0, 32, v0
	s_delay_alu instid0(VALU_DEP_1) | instskip(SKIP_1) | instid1(VALU_DEP_2)
	v_subrev_nc_u32_e32 v2, 28, v0
	v_sub_nc_u32_e32 v0, 29, v0
	v_lshlrev_b64 v[2:3], v2, v[28:29]
	s_delay_alu instid0(VALU_DEP_1)
	v_and_b32_e32 v28, 7, v2
; %bb.240:                              ;   in Loop: Header=BB266_16 Depth=1
	s_or_b32 exec_lo, exec_lo, s25
	v_lshlrev_b32_e32 v1, 24, v1
	s_delay_alu instid0(VALU_DEP_2) | instskip(SKIP_1) | instid1(VALU_DEP_3)
	v_lshlrev_b32_e32 v2, 20, v28
	v_lshl_add_u32 v0, v0, 23, 0x3c000000
	v_and_b32_e32 v1, 0x80000000, v1
	s_delay_alu instid0(VALU_DEP_1)
	v_or3_b32 v1, v2, v1, v0
	v_mov_b32_e32 v0, v29
	scratch_store_b64 off, v[0:1], s32 offset:564 ; 8-byte Folded Spill
.LBB266_241:                            ;   in Loop: Header=BB266_16 Depth=1
	s_or_b32 exec_lo, exec_lo, s2
.LBB266_242:                            ;   in Loop: Header=BB266_16 Depth=1
	s_delay_alu instid0(SALU_CYCLE_1)
	s_or_b32 exec_lo, exec_lo, s24
.LBB266_243:                            ;   in Loop: Header=BB266_16 Depth=1
	s_delay_alu instid0(SALU_CYCLE_1)
	s_or_b32 exec_lo, exec_lo, s23
	flat_load_b32 v0, v[168:169] offset:524
	v_mov_b32_e32 v31, 0
	v_mov_b32_e32 v32, 0
	s_mov_b32 s2, exec_lo
	s_waitcnt vmcnt(0) lgkmcnt(0)
	v_and_b32_e32 v1, 0xff, v0
	scratch_store_b64 off, v[31:32], s32 offset:580 ; 8-byte Folded Spill
	v_cmpx_ne_u16_e32 0, v1
	s_cbranch_execz .LBB266_251
; %bb.244:                              ;   in Loop: Header=BB266_16 Depth=1
	v_cmp_ne_u16_e64 s1, 0x80, v1
	v_bfrev_b32_e32 v1, 1
	v_mov_b32_e32 v2, 0
	scratch_store_b64 off, v[1:2], s32 offset:580 ; 8-byte Folded Spill
	s_and_saveexec_b32 s23, s1
	s_cbranch_execz .LBB266_250
; %bb.245:                              ;   in Loop: Header=BB266_16 Depth=1
	v_mov_b32_e32 v3, 0x7f800001
	v_and_b32_e32 v2, 0x7f, v0
	v_mov_b32_e32 v4, 0
	s_mov_b32 s24, exec_lo
	scratch_store_b64 off, v[3:4], s32 offset:580 ; 8-byte Folded Spill
	v_cmpx_ne_u32_e32 0x7f, v2
	s_cbranch_execz .LBB266_249
; %bb.246:                              ;   in Loop: Header=BB266_16 Depth=1
	v_and_b32_e32 v28, 7, v0
	v_lshrrev_b32_e32 v1, 3, v2
	s_mov_b32 s25, exec_lo
	v_cmpx_gt_u32_e32 8, v2
; %bb.247:                              ;   in Loop: Header=BB266_16 Depth=1
	s_delay_alu instid0(VALU_DEP_3) | instskip(NEXT) | instid1(VALU_DEP_1)
	v_clz_i32_u32_e32 v1, v28
	v_min_u32_e32 v1, 32, v1
	s_delay_alu instid0(VALU_DEP_1) | instskip(SKIP_1) | instid1(VALU_DEP_2)
	v_subrev_nc_u32_e32 v2, 28, v1
	v_sub_nc_u32_e32 v1, 29, v1
	v_lshlrev_b64 v[2:3], v2, v[28:29]
	s_delay_alu instid0(VALU_DEP_1)
	v_and_b32_e32 v28, 7, v2
; %bb.248:                              ;   in Loop: Header=BB266_16 Depth=1
	s_or_b32 exec_lo, exec_lo, s25
	v_lshlrev_b32_e32 v2, 24, v0
	s_delay_alu instid0(VALU_DEP_2) | instskip(SKIP_1) | instid1(VALU_DEP_3)
	v_lshlrev_b32_e32 v3, 20, v28
	v_lshl_add_u32 v1, v1, 23, 0x3c000000
	v_and_b32_e32 v2, 0x80000000, v2
	s_delay_alu instid0(VALU_DEP_1)
	v_or3_b32 v28, v3, v2, v1
	scratch_store_b64 off, v[28:29], s32 offset:580 ; 8-byte Folded Spill
.LBB266_249:                            ;   in Loop: Header=BB266_16 Depth=1
	s_or_b32 exec_lo, exec_lo, s24
.LBB266_250:                            ;   in Loop: Header=BB266_16 Depth=1
	s_delay_alu instid0(SALU_CYCLE_1)
	s_or_b32 exec_lo, exec_lo, s23
.LBB266_251:                            ;   in Loop: Header=BB266_16 Depth=1
	s_delay_alu instid0(SALU_CYCLE_1) | instskip(SKIP_2) | instid1(VALU_DEP_1)
	s_or_b32 exec_lo, exec_lo, s2
	v_lshrrev_b16 v1, 8, v0
	s_mov_b32 s23, exec_lo
	v_cmpx_ne_u16_e32 0, v1
	s_cbranch_execz .LBB266_259
; %bb.252:                              ;   in Loop: Header=BB266_16 Depth=1
	v_dual_mov_b32 v32, s17 :: v_dual_mov_b32 v31, s16
	s_mov_b32 s24, exec_lo
	v_cmpx_ne_u16_e32 0x80, v1
	s_cbranch_execz .LBB266_258
; %bb.253:                              ;   in Loop: Header=BB266_16 Depth=1
	s_mov_b32 s2, s16
	v_dual_mov_b32 v32, s3 :: v_dual_and_b32 v1, 0xffff, v1
	v_mov_b32_e32 v31, s2
	s_mov_b32 s2, exec_lo
	s_delay_alu instid0(VALU_DEP_2) | instskip(NEXT) | instid1(VALU_DEP_1)
	v_and_b32_e32 v2, 0x7f, v1
	v_cmpx_ne_u32_e32 0x7f, v2
	s_cbranch_execz .LBB266_257
; %bb.254:                              ;   in Loop: Header=BB266_16 Depth=1
	v_and_b32_e32 v28, 7, v1
	v_lshrrev_b32_e32 v1, 3, v2
	s_mov_b32 s25, exec_lo
	v_cmpx_gt_u32_e32 8, v2
; %bb.255:                              ;   in Loop: Header=BB266_16 Depth=1
	s_delay_alu instid0(VALU_DEP_3) | instskip(NEXT) | instid1(VALU_DEP_1)
	v_clz_i32_u32_e32 v1, v28
	v_min_u32_e32 v1, 32, v1
	s_delay_alu instid0(VALU_DEP_1) | instskip(SKIP_1) | instid1(VALU_DEP_2)
	v_subrev_nc_u32_e32 v2, 28, v1
	v_sub_nc_u32_e32 v1, 29, v1
	v_lshlrev_b64 v[2:3], v2, v[28:29]
	s_delay_alu instid0(VALU_DEP_1)
	v_and_b32_e32 v28, 7, v2
; %bb.256:                              ;   in Loop: Header=BB266_16 Depth=1
	s_or_b32 exec_lo, exec_lo, s25
	v_dual_mov_b32 v31, v29 :: v_dual_lshlrev_b32 v2, 16, v0
	s_delay_alu instid0(VALU_DEP_2) | instskip(SKIP_1) | instid1(VALU_DEP_3)
	v_lshlrev_b32_e32 v3, 20, v28
	v_lshl_add_u32 v1, v1, 23, 0x3c000000
	v_and_b32_e32 v2, 0x80000000, v2
	s_delay_alu instid0(VALU_DEP_1)
	v_or3_b32 v32, v3, v2, v1
.LBB266_257:                            ;   in Loop: Header=BB266_16 Depth=1
	s_or_b32 exec_lo, exec_lo, s2
.LBB266_258:                            ;   in Loop: Header=BB266_16 Depth=1
	s_delay_alu instid0(SALU_CYCLE_1)
	s_or_b32 exec_lo, exec_lo, s24
.LBB266_259:                            ;   in Loop: Header=BB266_16 Depth=1
	s_delay_alu instid0(SALU_CYCLE_1) | instskip(SKIP_4) | instid1(VALU_DEP_3)
	s_or_b32 exec_lo, exec_lo, s23
	v_lshrrev_b32_e32 v1, 16, v0
	v_mov_b32_e32 v35, 0
	v_mov_b32_e32 v36, 0
	s_mov_b32 s2, exec_lo
	v_and_b32_e32 v2, 0xff, v1
	scratch_store_b64 off, v[35:36], s32 offset:588 ; 8-byte Folded Spill
	v_cmpx_ne_u16_e32 0, v2
	s_cbranch_execz .LBB266_267
; %bb.260:                              ;   in Loop: Header=BB266_16 Depth=1
	v_cmp_ne_u16_e64 s1, 0x80, v2
	v_bfrev_b32_e32 v2, 1
	v_mov_b32_e32 v3, 0
	scratch_store_b64 off, v[2:3], s32 offset:588 ; 8-byte Folded Spill
	s_and_saveexec_b32 s23, s1
	s_cbranch_execz .LBB266_266
; %bb.261:                              ;   in Loop: Header=BB266_16 Depth=1
	v_mov_b32_e32 v4, 0x7f800001
	v_bfe_u32 v3, v0, 16, 7
	v_mov_b32_e32 v5, 0
	s_mov_b32 s24, exec_lo
	scratch_store_b64 off, v[4:5], s32 offset:588 ; 8-byte Folded Spill
	v_cmpx_ne_u32_e32 0x7f, v3
	s_cbranch_execz .LBB266_265
; %bb.262:                              ;   in Loop: Header=BB266_16 Depth=1
	v_and_b32_e32 v28, 7, v1
	v_lshrrev_b32_e32 v2, 3, v3
	s_mov_b32 s25, exec_lo
	v_cmpx_gt_u32_e32 8, v3
; %bb.263:                              ;   in Loop: Header=BB266_16 Depth=1
	s_delay_alu instid0(VALU_DEP_3) | instskip(NEXT) | instid1(VALU_DEP_1)
	v_clz_i32_u32_e32 v2, v28
	v_min_u32_e32 v2, 32, v2
	s_delay_alu instid0(VALU_DEP_1) | instskip(SKIP_1) | instid1(VALU_DEP_2)
	v_subrev_nc_u32_e32 v3, 28, v2
	v_sub_nc_u32_e32 v2, 29, v2
	v_lshlrev_b64 v[3:4], v3, v[28:29]
	s_delay_alu instid0(VALU_DEP_1)
	v_and_b32_e32 v28, 7, v3
; %bb.264:                              ;   in Loop: Header=BB266_16 Depth=1
	s_or_b32 exec_lo, exec_lo, s25
	v_lshlrev_b32_e32 v1, 24, v1
	s_delay_alu instid0(VALU_DEP_2) | instskip(SKIP_1) | instid1(VALU_DEP_3)
	v_lshlrev_b32_e32 v3, 20, v28
	v_lshl_add_u32 v2, v2, 23, 0x3c000000
	v_and_b32_e32 v1, 0x80000000, v1
	s_delay_alu instid0(VALU_DEP_1)
	v_or3_b32 v28, v3, v1, v2
	scratch_store_b64 off, v[28:29], s32 offset:588 ; 8-byte Folded Spill
.LBB266_265:                            ;   in Loop: Header=BB266_16 Depth=1
	s_or_b32 exec_lo, exec_lo, s24
.LBB266_266:                            ;   in Loop: Header=BB266_16 Depth=1
	s_delay_alu instid0(SALU_CYCLE_1)
	s_or_b32 exec_lo, exec_lo, s23
.LBB266_267:                            ;   in Loop: Header=BB266_16 Depth=1
	s_delay_alu instid0(SALU_CYCLE_1) | instskip(NEXT) | instid1(SALU_CYCLE_1)
	s_or_b32 exec_lo, exec_lo, s2
	s_mov_b32 s23, exec_lo
	v_cmpx_lt_u32_e32 0xffffff, v0
	s_cbranch_execz .LBB266_275
; %bb.268:                              ;   in Loop: Header=BB266_16 Depth=1
	v_lshrrev_b32_e32 v1, 24, v0
	v_dual_mov_b32 v36, s17 :: v_dual_mov_b32 v35, s16
	s_mov_b32 s24, exec_lo
	s_delay_alu instid0(VALU_DEP_2)
	v_cmpx_ne_u32_e32 0x80, v1
	s_cbranch_execz .LBB266_274
; %bb.269:                              ;   in Loop: Header=BB266_16 Depth=1
	s_mov_b32 s2, s16
	v_bfe_u32 v2, v0, 24, 7
	v_dual_mov_b32 v36, s3 :: v_dual_mov_b32 v35, s2
	s_mov_b32 s2, exec_lo
	s_delay_alu instid0(VALU_DEP_2)
	v_cmpx_ne_u32_e32 0x7f, v2
	s_cbranch_execz .LBB266_273
; %bb.270:                              ;   in Loop: Header=BB266_16 Depth=1
	v_and_b32_e32 v28, 7, v1
	v_lshrrev_b32_e32 v0, 3, v2
	s_mov_b32 s25, exec_lo
	v_cmpx_gt_u32_e32 8, v2
; %bb.271:                              ;   in Loop: Header=BB266_16 Depth=1
	s_delay_alu instid0(VALU_DEP_3) | instskip(NEXT) | instid1(VALU_DEP_1)
	v_clz_i32_u32_e32 v0, v28
	v_min_u32_e32 v0, 32, v0
	s_delay_alu instid0(VALU_DEP_1) | instskip(SKIP_1) | instid1(VALU_DEP_2)
	v_subrev_nc_u32_e32 v2, 28, v0
	v_sub_nc_u32_e32 v0, 29, v0
	v_lshlrev_b64 v[2:3], v2, v[28:29]
	s_delay_alu instid0(VALU_DEP_1)
	v_and_b32_e32 v28, 7, v2
; %bb.272:                              ;   in Loop: Header=BB266_16 Depth=1
	s_or_b32 exec_lo, exec_lo, s25
	v_lshlrev_b32_e32 v1, 24, v1
	s_delay_alu instid0(VALU_DEP_2) | instskip(SKIP_1) | instid1(VALU_DEP_3)
	v_dual_mov_b32 v35, v29 :: v_dual_lshlrev_b32 v2, 20, v28
	v_lshl_add_u32 v0, v0, 23, 0x3c000000
	v_and_b32_e32 v1, 0x80000000, v1
	s_delay_alu instid0(VALU_DEP_1)
	v_or3_b32 v36, v2, v1, v0
.LBB266_273:                            ;   in Loop: Header=BB266_16 Depth=1
	s_or_b32 exec_lo, exec_lo, s2
.LBB266_274:                            ;   in Loop: Header=BB266_16 Depth=1
	s_delay_alu instid0(SALU_CYCLE_1)
	s_or_b32 exec_lo, exec_lo, s24
.LBB266_275:                            ;   in Loop: Header=BB266_16 Depth=1
	s_delay_alu instid0(SALU_CYCLE_1)
	s_or_b32 exec_lo, exec_lo, s23
	flat_load_b32 v0, v[168:169] offset:1024
	v_mov_b32_e32 v48, 0
	v_mov_b32_e32 v49, 0
	s_mov_b32 s2, exec_lo
	scratch_store_b64 off, v[48:49], s32 offset:596 ; 8-byte Folded Spill
	s_waitcnt vmcnt(0) lgkmcnt(0)
	v_and_b32_e32 v1, 0xff, v0
	s_delay_alu instid0(VALU_DEP_1)
	v_cmpx_ne_u16_e32 0, v1
	s_cbranch_execz .LBB266_283
; %bb.276:                              ;   in Loop: Header=BB266_16 Depth=1
	v_cmp_ne_u16_e64 s1, 0x80, v1
	v_bfrev_b32_e32 v1, 1
	v_mov_b32_e32 v2, 0
	scratch_store_b64 off, v[1:2], s32 offset:596 ; 8-byte Folded Spill
	s_and_saveexec_b32 s23, s1
	s_cbranch_execz .LBB266_282
; %bb.277:                              ;   in Loop: Header=BB266_16 Depth=1
	v_mov_b32_e32 v3, 0x7f800001
	v_and_b32_e32 v2, 0x7f, v0
	v_mov_b32_e32 v4, 0
	s_mov_b32 s24, exec_lo
	scratch_store_b64 off, v[3:4], s32 offset:596 ; 8-byte Folded Spill
	v_cmpx_ne_u32_e32 0x7f, v2
	s_cbranch_execz .LBB266_281
; %bb.278:                              ;   in Loop: Header=BB266_16 Depth=1
	v_and_b32_e32 v28, 7, v0
	v_lshrrev_b32_e32 v1, 3, v2
	s_mov_b32 s25, exec_lo
	v_cmpx_gt_u32_e32 8, v2
; %bb.279:                              ;   in Loop: Header=BB266_16 Depth=1
	s_delay_alu instid0(VALU_DEP_3) | instskip(NEXT) | instid1(VALU_DEP_1)
	v_clz_i32_u32_e32 v1, v28
	v_min_u32_e32 v1, 32, v1
	s_delay_alu instid0(VALU_DEP_1) | instskip(SKIP_1) | instid1(VALU_DEP_2)
	v_subrev_nc_u32_e32 v2, 28, v1
	v_sub_nc_u32_e32 v1, 29, v1
	v_lshlrev_b64 v[2:3], v2, v[28:29]
	s_delay_alu instid0(VALU_DEP_1)
	v_and_b32_e32 v28, 7, v2
; %bb.280:                              ;   in Loop: Header=BB266_16 Depth=1
	s_or_b32 exec_lo, exec_lo, s25
	v_lshlrev_b32_e32 v2, 24, v0
	s_delay_alu instid0(VALU_DEP_2) | instskip(SKIP_1) | instid1(VALU_DEP_3)
	v_lshlrev_b32_e32 v3, 20, v28
	v_lshl_add_u32 v1, v1, 23, 0x3c000000
	v_and_b32_e32 v2, 0x80000000, v2
	s_delay_alu instid0(VALU_DEP_1)
	v_or3_b32 v28, v3, v2, v1
	scratch_store_b64 off, v[28:29], s32 offset:596 ; 8-byte Folded Spill
.LBB266_281:                            ;   in Loop: Header=BB266_16 Depth=1
	s_or_b32 exec_lo, exec_lo, s24
.LBB266_282:                            ;   in Loop: Header=BB266_16 Depth=1
	s_delay_alu instid0(SALU_CYCLE_1)
	s_or_b32 exec_lo, exec_lo, s23
.LBB266_283:                            ;   in Loop: Header=BB266_16 Depth=1
	s_delay_alu instid0(SALU_CYCLE_1) | instskip(SKIP_2) | instid1(VALU_DEP_1)
	s_or_b32 exec_lo, exec_lo, s2
	v_lshrrev_b16 v1, 8, v0
	s_mov_b32 s23, exec_lo
	v_cmpx_ne_u16_e32 0, v1
	s_cbranch_execz .LBB266_291
; %bb.284:                              ;   in Loop: Header=BB266_16 Depth=1
	v_dual_mov_b32 v49, s17 :: v_dual_mov_b32 v48, s16
	s_mov_b32 s24, exec_lo
	v_cmpx_ne_u16_e32 0x80, v1
	s_cbranch_execz .LBB266_290
; %bb.285:                              ;   in Loop: Header=BB266_16 Depth=1
	s_mov_b32 s2, s16
	v_and_b32_e32 v1, 0xffff, v1
	v_dual_mov_b32 v49, s3 :: v_dual_mov_b32 v48, s2
	s_mov_b32 s2, exec_lo
	s_delay_alu instid0(VALU_DEP_2) | instskip(NEXT) | instid1(VALU_DEP_1)
	v_and_b32_e32 v2, 0x7f, v1
	v_cmpx_ne_u32_e32 0x7f, v2
	s_cbranch_execz .LBB266_289
; %bb.286:                              ;   in Loop: Header=BB266_16 Depth=1
	v_and_b32_e32 v28, 7, v1
	v_lshrrev_b32_e32 v1, 3, v2
	s_mov_b32 s25, exec_lo
	v_cmpx_gt_u32_e32 8, v2
; %bb.287:                              ;   in Loop: Header=BB266_16 Depth=1
	s_delay_alu instid0(VALU_DEP_3) | instskip(NEXT) | instid1(VALU_DEP_1)
	v_clz_i32_u32_e32 v1, v28
	v_min_u32_e32 v1, 32, v1
	s_delay_alu instid0(VALU_DEP_1) | instskip(SKIP_1) | instid1(VALU_DEP_2)
	v_subrev_nc_u32_e32 v2, 28, v1
	v_sub_nc_u32_e32 v1, 29, v1
	v_lshlrev_b64 v[2:3], v2, v[28:29]
	s_delay_alu instid0(VALU_DEP_1)
	v_and_b32_e32 v28, 7, v2
; %bb.288:                              ;   in Loop: Header=BB266_16 Depth=1
	s_or_b32 exec_lo, exec_lo, s25
	v_lshlrev_b32_e32 v2, 16, v0
	s_delay_alu instid0(VALU_DEP_2) | instskip(SKIP_1) | instid1(VALU_DEP_3)
	v_dual_mov_b32 v48, v29 :: v_dual_lshlrev_b32 v3, 20, v28
	v_lshl_add_u32 v1, v1, 23, 0x3c000000
	v_and_b32_e32 v2, 0x80000000, v2
	s_delay_alu instid0(VALU_DEP_1)
	v_or3_b32 v49, v3, v2, v1
.LBB266_289:                            ;   in Loop: Header=BB266_16 Depth=1
	s_or_b32 exec_lo, exec_lo, s2
.LBB266_290:                            ;   in Loop: Header=BB266_16 Depth=1
	s_delay_alu instid0(SALU_CYCLE_1)
	s_or_b32 exec_lo, exec_lo, s24
.LBB266_291:                            ;   in Loop: Header=BB266_16 Depth=1
	s_delay_alu instid0(SALU_CYCLE_1) | instskip(SKIP_4) | instid1(VALU_DEP_3)
	s_or_b32 exec_lo, exec_lo, s23
	v_lshrrev_b32_e32 v1, 16, v0
	v_mov_b32_e32 v52, 0
	v_mov_b32_e32 v53, 0
	s_mov_b32 s2, exec_lo
	v_and_b32_e32 v2, 0xff, v1
	scratch_store_b64 off, v[52:53], s32 offset:604 ; 8-byte Folded Spill
	v_cmpx_ne_u16_e32 0, v2
	s_cbranch_execz .LBB266_299
; %bb.292:                              ;   in Loop: Header=BB266_16 Depth=1
	v_cmp_ne_u16_e64 s1, 0x80, v2
	v_bfrev_b32_e32 v2, 1
	v_mov_b32_e32 v3, 0
	scratch_store_b64 off, v[2:3], s32 offset:604 ; 8-byte Folded Spill
	s_and_saveexec_b32 s23, s1
	s_cbranch_execz .LBB266_298
; %bb.293:                              ;   in Loop: Header=BB266_16 Depth=1
	v_mov_b32_e32 v4, 0x7f800001
	v_bfe_u32 v3, v0, 16, 7
	v_mov_b32_e32 v5, 0
	s_mov_b32 s24, exec_lo
	scratch_store_b64 off, v[4:5], s32 offset:604 ; 8-byte Folded Spill
	v_cmpx_ne_u32_e32 0x7f, v3
	s_cbranch_execz .LBB266_297
; %bb.294:                              ;   in Loop: Header=BB266_16 Depth=1
	v_and_b32_e32 v28, 7, v1
	v_lshrrev_b32_e32 v2, 3, v3
	s_mov_b32 s25, exec_lo
	v_cmpx_gt_u32_e32 8, v3
; %bb.295:                              ;   in Loop: Header=BB266_16 Depth=1
	s_delay_alu instid0(VALU_DEP_3) | instskip(NEXT) | instid1(VALU_DEP_1)
	v_clz_i32_u32_e32 v2, v28
	v_min_u32_e32 v2, 32, v2
	s_delay_alu instid0(VALU_DEP_1) | instskip(SKIP_1) | instid1(VALU_DEP_2)
	v_subrev_nc_u32_e32 v3, 28, v2
	v_sub_nc_u32_e32 v2, 29, v2
	v_lshlrev_b64 v[3:4], v3, v[28:29]
	s_delay_alu instid0(VALU_DEP_1)
	v_and_b32_e32 v28, 7, v3
; %bb.296:                              ;   in Loop: Header=BB266_16 Depth=1
	s_or_b32 exec_lo, exec_lo, s25
	v_lshlrev_b32_e32 v1, 24, v1
	s_delay_alu instid0(VALU_DEP_2) | instskip(SKIP_1) | instid1(VALU_DEP_3)
	v_lshlrev_b32_e32 v3, 20, v28
	v_lshl_add_u32 v2, v2, 23, 0x3c000000
	v_and_b32_e32 v1, 0x80000000, v1
	s_delay_alu instid0(VALU_DEP_1)
	v_or3_b32 v28, v3, v1, v2
	scratch_store_b64 off, v[28:29], s32 offset:604 ; 8-byte Folded Spill
.LBB266_297:                            ;   in Loop: Header=BB266_16 Depth=1
	s_or_b32 exec_lo, exec_lo, s24
.LBB266_298:                            ;   in Loop: Header=BB266_16 Depth=1
	s_delay_alu instid0(SALU_CYCLE_1)
	s_or_b32 exec_lo, exec_lo, s23
.LBB266_299:                            ;   in Loop: Header=BB266_16 Depth=1
	s_delay_alu instid0(SALU_CYCLE_1) | instskip(NEXT) | instid1(SALU_CYCLE_1)
	s_or_b32 exec_lo, exec_lo, s2
	s_mov_b32 s23, exec_lo
	v_cmpx_lt_u32_e32 0xffffff, v0
	s_cbranch_execz .LBB266_307
; %bb.300:                              ;   in Loop: Header=BB266_16 Depth=1
	v_lshrrev_b32_e32 v1, 24, v0
	v_dual_mov_b32 v53, s17 :: v_dual_mov_b32 v52, s16
	s_mov_b32 s24, exec_lo
	s_delay_alu instid0(VALU_DEP_2)
	v_cmpx_ne_u32_e32 0x80, v1
	s_cbranch_execz .LBB266_306
; %bb.301:                              ;   in Loop: Header=BB266_16 Depth=1
	s_mov_b32 s2, s16
	v_bfe_u32 v2, v0, 24, 7
	v_dual_mov_b32 v53, s3 :: v_dual_mov_b32 v52, s2
	s_mov_b32 s2, exec_lo
	s_delay_alu instid0(VALU_DEP_2)
	v_cmpx_ne_u32_e32 0x7f, v2
	s_cbranch_execz .LBB266_305
; %bb.302:                              ;   in Loop: Header=BB266_16 Depth=1
	v_and_b32_e32 v28, 7, v1
	v_lshrrev_b32_e32 v0, 3, v2
	s_mov_b32 s25, exec_lo
	v_cmpx_gt_u32_e32 8, v2
; %bb.303:                              ;   in Loop: Header=BB266_16 Depth=1
	s_delay_alu instid0(VALU_DEP_3) | instskip(NEXT) | instid1(VALU_DEP_1)
	v_clz_i32_u32_e32 v0, v28
	v_min_u32_e32 v0, 32, v0
	s_delay_alu instid0(VALU_DEP_1) | instskip(SKIP_1) | instid1(VALU_DEP_2)
	v_subrev_nc_u32_e32 v2, 28, v0
	v_sub_nc_u32_e32 v0, 29, v0
	v_lshlrev_b64 v[2:3], v2, v[28:29]
	s_delay_alu instid0(VALU_DEP_1)
	v_and_b32_e32 v28, 7, v2
; %bb.304:                              ;   in Loop: Header=BB266_16 Depth=1
	s_or_b32 exec_lo, exec_lo, s25
	v_dual_mov_b32 v52, v29 :: v_dual_lshlrev_b32 v1, 24, v1
	s_delay_alu instid0(VALU_DEP_2) | instskip(SKIP_1) | instid1(VALU_DEP_3)
	v_lshlrev_b32_e32 v2, 20, v28
	v_lshl_add_u32 v0, v0, 23, 0x3c000000
	v_and_b32_e32 v1, 0x80000000, v1
	s_delay_alu instid0(VALU_DEP_1)
	v_or3_b32 v53, v2, v1, v0
.LBB266_305:                            ;   in Loop: Header=BB266_16 Depth=1
	s_or_b32 exec_lo, exec_lo, s2
.LBB266_306:                            ;   in Loop: Header=BB266_16 Depth=1
	s_delay_alu instid0(SALU_CYCLE_1)
	s_or_b32 exec_lo, exec_lo, s24
.LBB266_307:                            ;   in Loop: Header=BB266_16 Depth=1
	s_delay_alu instid0(SALU_CYCLE_1)
	s_or_b32 exec_lo, exec_lo, s23
	flat_load_b32 v0, v[168:169] offset:1028
	v_mov_b32_e32 v64, 0
	v_mov_b32_e32 v65, 0
	s_mov_b32 s2, exec_lo
	scratch_store_b64 off, v[64:65], s32 offset:612 ; 8-byte Folded Spill
	s_waitcnt vmcnt(0) lgkmcnt(0)
	v_and_b32_e32 v1, 0xff, v0
	s_delay_alu instid0(VALU_DEP_1)
	v_cmpx_ne_u16_e32 0, v1
	s_cbranch_execz .LBB266_315
; %bb.308:                              ;   in Loop: Header=BB266_16 Depth=1
	v_cmp_ne_u16_e64 s1, 0x80, v1
	v_bfrev_b32_e32 v1, 1
	v_mov_b32_e32 v2, 0
	scratch_store_b64 off, v[1:2], s32 offset:612 ; 8-byte Folded Spill
	s_and_saveexec_b32 s23, s1
	s_cbranch_execz .LBB266_314
; %bb.309:                              ;   in Loop: Header=BB266_16 Depth=1
	v_mov_b32_e32 v3, 0x7f800001
	v_and_b32_e32 v2, 0x7f, v0
	v_mov_b32_e32 v4, 0
	s_mov_b32 s24, exec_lo
	scratch_store_b64 off, v[3:4], s32 offset:612 ; 8-byte Folded Spill
	v_cmpx_ne_u32_e32 0x7f, v2
	s_cbranch_execz .LBB266_313
; %bb.310:                              ;   in Loop: Header=BB266_16 Depth=1
	v_and_b32_e32 v28, 7, v0
	v_lshrrev_b32_e32 v1, 3, v2
	s_mov_b32 s25, exec_lo
	v_cmpx_gt_u32_e32 8, v2
; %bb.311:                              ;   in Loop: Header=BB266_16 Depth=1
	s_delay_alu instid0(VALU_DEP_3) | instskip(NEXT) | instid1(VALU_DEP_1)
	v_clz_i32_u32_e32 v1, v28
	v_min_u32_e32 v1, 32, v1
	s_delay_alu instid0(VALU_DEP_1) | instskip(SKIP_1) | instid1(VALU_DEP_2)
	v_subrev_nc_u32_e32 v2, 28, v1
	v_sub_nc_u32_e32 v1, 29, v1
	v_lshlrev_b64 v[2:3], v2, v[28:29]
	s_delay_alu instid0(VALU_DEP_1)
	v_and_b32_e32 v28, 7, v2
; %bb.312:                              ;   in Loop: Header=BB266_16 Depth=1
	s_or_b32 exec_lo, exec_lo, s25
	v_lshlrev_b32_e32 v2, 24, v0
	s_delay_alu instid0(VALU_DEP_2) | instskip(SKIP_1) | instid1(VALU_DEP_3)
	v_lshlrev_b32_e32 v3, 20, v28
	v_lshl_add_u32 v1, v1, 23, 0x3c000000
	v_and_b32_e32 v2, 0x80000000, v2
	s_delay_alu instid0(VALU_DEP_1)
	v_or3_b32 v28, v3, v2, v1
	scratch_store_b64 off, v[28:29], s32 offset:612 ; 8-byte Folded Spill
.LBB266_313:                            ;   in Loop: Header=BB266_16 Depth=1
	s_or_b32 exec_lo, exec_lo, s24
.LBB266_314:                            ;   in Loop: Header=BB266_16 Depth=1
	s_delay_alu instid0(SALU_CYCLE_1)
	s_or_b32 exec_lo, exec_lo, s23
.LBB266_315:                            ;   in Loop: Header=BB266_16 Depth=1
	s_delay_alu instid0(SALU_CYCLE_1) | instskip(SKIP_2) | instid1(VALU_DEP_1)
	s_or_b32 exec_lo, exec_lo, s2
	v_lshrrev_b16 v1, 8, v0
	s_mov_b32 s23, exec_lo
	v_cmpx_ne_u16_e32 0, v1
	s_cbranch_execz .LBB266_323
; %bb.316:                              ;   in Loop: Header=BB266_16 Depth=1
	v_dual_mov_b32 v65, s17 :: v_dual_mov_b32 v64, s16
	s_mov_b32 s24, exec_lo
	v_cmpx_ne_u16_e32 0x80, v1
	s_cbranch_execz .LBB266_322
; %bb.317:                              ;   in Loop: Header=BB266_16 Depth=1
	s_mov_b32 s2, s16
	v_and_b32_e32 v1, 0xffff, v1
	v_dual_mov_b32 v65, s3 :: v_dual_mov_b32 v64, s2
	s_mov_b32 s2, exec_lo
	s_delay_alu instid0(VALU_DEP_2) | instskip(NEXT) | instid1(VALU_DEP_1)
	v_and_b32_e32 v2, 0x7f, v1
	v_cmpx_ne_u32_e32 0x7f, v2
	s_cbranch_execz .LBB266_321
; %bb.318:                              ;   in Loop: Header=BB266_16 Depth=1
	v_and_b32_e32 v28, 7, v1
	v_lshrrev_b32_e32 v1, 3, v2
	s_mov_b32 s25, exec_lo
	v_cmpx_gt_u32_e32 8, v2
; %bb.319:                              ;   in Loop: Header=BB266_16 Depth=1
	s_delay_alu instid0(VALU_DEP_3) | instskip(NEXT) | instid1(VALU_DEP_1)
	v_clz_i32_u32_e32 v1, v28
	v_min_u32_e32 v1, 32, v1
	s_delay_alu instid0(VALU_DEP_1) | instskip(SKIP_1) | instid1(VALU_DEP_2)
	v_subrev_nc_u32_e32 v2, 28, v1
	v_sub_nc_u32_e32 v1, 29, v1
	v_lshlrev_b64 v[2:3], v2, v[28:29]
	s_delay_alu instid0(VALU_DEP_1)
	v_and_b32_e32 v28, 7, v2
; %bb.320:                              ;   in Loop: Header=BB266_16 Depth=1
	s_or_b32 exec_lo, exec_lo, s25
	v_lshlrev_b32_e32 v2, 16, v0
	s_delay_alu instid0(VALU_DEP_2) | instskip(SKIP_1) | instid1(VALU_DEP_3)
	v_dual_mov_b32 v64, v29 :: v_dual_lshlrev_b32 v3, 20, v28
	v_lshl_add_u32 v1, v1, 23, 0x3c000000
	v_and_b32_e32 v2, 0x80000000, v2
	s_delay_alu instid0(VALU_DEP_1)
	v_or3_b32 v65, v3, v2, v1
.LBB266_321:                            ;   in Loop: Header=BB266_16 Depth=1
	s_or_b32 exec_lo, exec_lo, s2
.LBB266_322:                            ;   in Loop: Header=BB266_16 Depth=1
	s_delay_alu instid0(SALU_CYCLE_1)
	s_or_b32 exec_lo, exec_lo, s24
.LBB266_323:                            ;   in Loop: Header=BB266_16 Depth=1
	s_delay_alu instid0(SALU_CYCLE_1) | instskip(SKIP_4) | instid1(VALU_DEP_3)
	s_or_b32 exec_lo, exec_lo, s23
	v_lshrrev_b32_e32 v1, 16, v0
	v_mov_b32_e32 v68, 0
	v_mov_b32_e32 v69, 0
	s_mov_b32 s2, exec_lo
	v_and_b32_e32 v2, 0xff, v1
	scratch_store_b64 off, v[68:69], s32 offset:620 ; 8-byte Folded Spill
	v_cmpx_ne_u16_e32 0, v2
	s_cbranch_execz .LBB266_331
; %bb.324:                              ;   in Loop: Header=BB266_16 Depth=1
	v_cmp_ne_u16_e64 s1, 0x80, v2
	v_bfrev_b32_e32 v2, 1
	v_mov_b32_e32 v3, 0
	scratch_store_b64 off, v[2:3], s32 offset:620 ; 8-byte Folded Spill
	s_and_saveexec_b32 s23, s1
	s_cbranch_execz .LBB266_330
; %bb.325:                              ;   in Loop: Header=BB266_16 Depth=1
	v_mov_b32_e32 v4, 0x7f800001
	v_bfe_u32 v3, v0, 16, 7
	v_mov_b32_e32 v5, 0
	s_mov_b32 s24, exec_lo
	scratch_store_b64 off, v[4:5], s32 offset:620 ; 8-byte Folded Spill
	v_cmpx_ne_u32_e32 0x7f, v3
	s_cbranch_execz .LBB266_329
; %bb.326:                              ;   in Loop: Header=BB266_16 Depth=1
	v_and_b32_e32 v28, 7, v1
	v_lshrrev_b32_e32 v2, 3, v3
	s_mov_b32 s25, exec_lo
	v_cmpx_gt_u32_e32 8, v3
; %bb.327:                              ;   in Loop: Header=BB266_16 Depth=1
	s_delay_alu instid0(VALU_DEP_3) | instskip(NEXT) | instid1(VALU_DEP_1)
	v_clz_i32_u32_e32 v2, v28
	v_min_u32_e32 v2, 32, v2
	s_delay_alu instid0(VALU_DEP_1) | instskip(SKIP_1) | instid1(VALU_DEP_2)
	v_subrev_nc_u32_e32 v3, 28, v2
	v_sub_nc_u32_e32 v2, 29, v2
	v_lshlrev_b64 v[3:4], v3, v[28:29]
	s_delay_alu instid0(VALU_DEP_1)
	v_and_b32_e32 v28, 7, v3
; %bb.328:                              ;   in Loop: Header=BB266_16 Depth=1
	s_or_b32 exec_lo, exec_lo, s25
	v_lshlrev_b32_e32 v1, 24, v1
	s_delay_alu instid0(VALU_DEP_2) | instskip(SKIP_1) | instid1(VALU_DEP_3)
	v_lshlrev_b32_e32 v3, 20, v28
	v_lshl_add_u32 v2, v2, 23, 0x3c000000
	v_and_b32_e32 v1, 0x80000000, v1
	s_delay_alu instid0(VALU_DEP_1)
	v_or3_b32 v28, v3, v1, v2
	scratch_store_b64 off, v[28:29], s32 offset:620 ; 8-byte Folded Spill
.LBB266_329:                            ;   in Loop: Header=BB266_16 Depth=1
	s_or_b32 exec_lo, exec_lo, s24
.LBB266_330:                            ;   in Loop: Header=BB266_16 Depth=1
	s_delay_alu instid0(SALU_CYCLE_1)
	s_or_b32 exec_lo, exec_lo, s23
.LBB266_331:                            ;   in Loop: Header=BB266_16 Depth=1
	s_delay_alu instid0(SALU_CYCLE_1) | instskip(NEXT) | instid1(SALU_CYCLE_1)
	s_or_b32 exec_lo, exec_lo, s2
	s_mov_b32 s23, exec_lo
	v_cmpx_lt_u32_e32 0xffffff, v0
	s_cbranch_execz .LBB266_339
; %bb.332:                              ;   in Loop: Header=BB266_16 Depth=1
	v_lshrrev_b32_e32 v1, 24, v0
	v_dual_mov_b32 v69, s17 :: v_dual_mov_b32 v68, s16
	s_mov_b32 s24, exec_lo
	s_delay_alu instid0(VALU_DEP_2)
	v_cmpx_ne_u32_e32 0x80, v1
	s_cbranch_execz .LBB266_338
; %bb.333:                              ;   in Loop: Header=BB266_16 Depth=1
	s_mov_b32 s2, s16
	v_bfe_u32 v2, v0, 24, 7
	v_dual_mov_b32 v69, s3 :: v_dual_mov_b32 v68, s2
	s_mov_b32 s2, exec_lo
	s_delay_alu instid0(VALU_DEP_2)
	v_cmpx_ne_u32_e32 0x7f, v2
	s_cbranch_execz .LBB266_337
; %bb.334:                              ;   in Loop: Header=BB266_16 Depth=1
	v_and_b32_e32 v28, 7, v1
	v_lshrrev_b32_e32 v0, 3, v2
	s_mov_b32 s25, exec_lo
	v_cmpx_gt_u32_e32 8, v2
; %bb.335:                              ;   in Loop: Header=BB266_16 Depth=1
	s_delay_alu instid0(VALU_DEP_3) | instskip(NEXT) | instid1(VALU_DEP_1)
	v_clz_i32_u32_e32 v0, v28
	v_min_u32_e32 v0, 32, v0
	s_delay_alu instid0(VALU_DEP_1) | instskip(SKIP_1) | instid1(VALU_DEP_2)
	v_subrev_nc_u32_e32 v2, 28, v0
	v_sub_nc_u32_e32 v0, 29, v0
	v_lshlrev_b64 v[2:3], v2, v[28:29]
	s_delay_alu instid0(VALU_DEP_1)
	v_and_b32_e32 v28, 7, v2
; %bb.336:                              ;   in Loop: Header=BB266_16 Depth=1
	s_or_b32 exec_lo, exec_lo, s25
	v_dual_mov_b32 v68, v29 :: v_dual_lshlrev_b32 v1, 24, v1
	s_delay_alu instid0(VALU_DEP_2) | instskip(SKIP_1) | instid1(VALU_DEP_3)
	v_lshlrev_b32_e32 v2, 20, v28
	v_lshl_add_u32 v0, v0, 23, 0x3c000000
	v_and_b32_e32 v1, 0x80000000, v1
	s_delay_alu instid0(VALU_DEP_1)
	v_or3_b32 v69, v2, v1, v0
.LBB266_337:                            ;   in Loop: Header=BB266_16 Depth=1
	s_or_b32 exec_lo, exec_lo, s2
.LBB266_338:                            ;   in Loop: Header=BB266_16 Depth=1
	s_delay_alu instid0(SALU_CYCLE_1)
	s_or_b32 exec_lo, exec_lo, s24
.LBB266_339:                            ;   in Loop: Header=BB266_16 Depth=1
	s_delay_alu instid0(SALU_CYCLE_1)
	s_or_b32 exec_lo, exec_lo, s23
	flat_load_b32 v0, v[168:169] offset:1032
	v_mov_b32_e32 v80, 0
	v_mov_b32_e32 v81, 0
	s_mov_b32 s2, exec_lo
	scratch_store_b64 off, v[80:81], s32 offset:628 ; 8-byte Folded Spill
	s_waitcnt vmcnt(0) lgkmcnt(0)
	v_and_b32_e32 v1, 0xff, v0
	s_delay_alu instid0(VALU_DEP_1)
	v_cmpx_ne_u16_e32 0, v1
	s_cbranch_execz .LBB266_347
; %bb.340:                              ;   in Loop: Header=BB266_16 Depth=1
	v_cmp_ne_u16_e64 s1, 0x80, v1
	v_bfrev_b32_e32 v1, 1
	v_mov_b32_e32 v2, 0
	scratch_store_b64 off, v[1:2], s32 offset:628 ; 8-byte Folded Spill
	s_and_saveexec_b32 s23, s1
	s_cbranch_execz .LBB266_346
; %bb.341:                              ;   in Loop: Header=BB266_16 Depth=1
	v_mov_b32_e32 v3, 0x7f800001
	v_and_b32_e32 v2, 0x7f, v0
	v_mov_b32_e32 v4, 0
	s_mov_b32 s24, exec_lo
	scratch_store_b64 off, v[3:4], s32 offset:628 ; 8-byte Folded Spill
	v_cmpx_ne_u32_e32 0x7f, v2
	s_cbranch_execz .LBB266_345
; %bb.342:                              ;   in Loop: Header=BB266_16 Depth=1
	v_and_b32_e32 v28, 7, v0
	v_lshrrev_b32_e32 v1, 3, v2
	s_mov_b32 s25, exec_lo
	v_cmpx_gt_u32_e32 8, v2
; %bb.343:                              ;   in Loop: Header=BB266_16 Depth=1
	s_delay_alu instid0(VALU_DEP_3) | instskip(NEXT) | instid1(VALU_DEP_1)
	v_clz_i32_u32_e32 v1, v28
	v_min_u32_e32 v1, 32, v1
	s_delay_alu instid0(VALU_DEP_1) | instskip(SKIP_1) | instid1(VALU_DEP_2)
	v_subrev_nc_u32_e32 v2, 28, v1
	v_sub_nc_u32_e32 v1, 29, v1
	v_lshlrev_b64 v[2:3], v2, v[28:29]
	s_delay_alu instid0(VALU_DEP_1)
	v_and_b32_e32 v28, 7, v2
; %bb.344:                              ;   in Loop: Header=BB266_16 Depth=1
	s_or_b32 exec_lo, exec_lo, s25
	v_lshlrev_b32_e32 v2, 24, v0
	s_delay_alu instid0(VALU_DEP_2) | instskip(SKIP_1) | instid1(VALU_DEP_3)
	v_lshlrev_b32_e32 v3, 20, v28
	v_lshl_add_u32 v1, v1, 23, 0x3c000000
	v_and_b32_e32 v2, 0x80000000, v2
	s_delay_alu instid0(VALU_DEP_1)
	v_or3_b32 v28, v3, v2, v1
	scratch_store_b64 off, v[28:29], s32 offset:628 ; 8-byte Folded Spill
.LBB266_345:                            ;   in Loop: Header=BB266_16 Depth=1
	s_or_b32 exec_lo, exec_lo, s24
.LBB266_346:                            ;   in Loop: Header=BB266_16 Depth=1
	s_delay_alu instid0(SALU_CYCLE_1)
	s_or_b32 exec_lo, exec_lo, s23
.LBB266_347:                            ;   in Loop: Header=BB266_16 Depth=1
	s_delay_alu instid0(SALU_CYCLE_1) | instskip(SKIP_2) | instid1(VALU_DEP_1)
	s_or_b32 exec_lo, exec_lo, s2
	v_lshrrev_b16 v1, 8, v0
	s_mov_b32 s23, exec_lo
	v_cmpx_ne_u16_e32 0, v1
	s_cbranch_execz .LBB266_355
; %bb.348:                              ;   in Loop: Header=BB266_16 Depth=1
	v_dual_mov_b32 v81, s17 :: v_dual_mov_b32 v80, s16
	s_mov_b32 s24, exec_lo
	v_cmpx_ne_u16_e32 0x80, v1
	s_cbranch_execz .LBB266_354
; %bb.349:                              ;   in Loop: Header=BB266_16 Depth=1
	s_mov_b32 s2, s16
	v_and_b32_e32 v1, 0xffff, v1
	v_dual_mov_b32 v81, s3 :: v_dual_mov_b32 v80, s2
	s_mov_b32 s2, exec_lo
	s_delay_alu instid0(VALU_DEP_2) | instskip(NEXT) | instid1(VALU_DEP_1)
	v_and_b32_e32 v2, 0x7f, v1
	v_cmpx_ne_u32_e32 0x7f, v2
	s_cbranch_execz .LBB266_353
; %bb.350:                              ;   in Loop: Header=BB266_16 Depth=1
	v_and_b32_e32 v28, 7, v1
	v_lshrrev_b32_e32 v1, 3, v2
	s_mov_b32 s25, exec_lo
	v_cmpx_gt_u32_e32 8, v2
; %bb.351:                              ;   in Loop: Header=BB266_16 Depth=1
	s_delay_alu instid0(VALU_DEP_3) | instskip(NEXT) | instid1(VALU_DEP_1)
	v_clz_i32_u32_e32 v1, v28
	v_min_u32_e32 v1, 32, v1
	s_delay_alu instid0(VALU_DEP_1) | instskip(SKIP_1) | instid1(VALU_DEP_2)
	v_subrev_nc_u32_e32 v2, 28, v1
	v_sub_nc_u32_e32 v1, 29, v1
	v_lshlrev_b64 v[2:3], v2, v[28:29]
	s_delay_alu instid0(VALU_DEP_1)
	v_and_b32_e32 v28, 7, v2
; %bb.352:                              ;   in Loop: Header=BB266_16 Depth=1
	s_or_b32 exec_lo, exec_lo, s25
	v_lshlrev_b32_e32 v2, 16, v0
	s_delay_alu instid0(VALU_DEP_2) | instskip(SKIP_1) | instid1(VALU_DEP_3)
	v_dual_mov_b32 v80, v29 :: v_dual_lshlrev_b32 v3, 20, v28
	v_lshl_add_u32 v1, v1, 23, 0x3c000000
	v_and_b32_e32 v2, 0x80000000, v2
	s_delay_alu instid0(VALU_DEP_1)
	v_or3_b32 v81, v3, v2, v1
.LBB266_353:                            ;   in Loop: Header=BB266_16 Depth=1
	s_or_b32 exec_lo, exec_lo, s2
.LBB266_354:                            ;   in Loop: Header=BB266_16 Depth=1
	s_delay_alu instid0(SALU_CYCLE_1)
	s_or_b32 exec_lo, exec_lo, s24
.LBB266_355:                            ;   in Loop: Header=BB266_16 Depth=1
	s_delay_alu instid0(SALU_CYCLE_1) | instskip(SKIP_4) | instid1(VALU_DEP_3)
	s_or_b32 exec_lo, exec_lo, s23
	v_lshrrev_b32_e32 v1, 16, v0
	v_mov_b32_e32 v84, 0
	v_mov_b32_e32 v85, 0
	s_mov_b32 s2, exec_lo
	v_and_b32_e32 v2, 0xff, v1
	scratch_store_b64 off, v[84:85], s32 offset:636 ; 8-byte Folded Spill
	v_cmpx_ne_u16_e32 0, v2
	s_cbranch_execz .LBB266_363
; %bb.356:                              ;   in Loop: Header=BB266_16 Depth=1
	v_cmp_ne_u16_e64 s1, 0x80, v2
	v_bfrev_b32_e32 v2, 1
	v_mov_b32_e32 v3, 0
	scratch_store_b64 off, v[2:3], s32 offset:636 ; 8-byte Folded Spill
	s_and_saveexec_b32 s23, s1
	s_cbranch_execz .LBB266_362
; %bb.357:                              ;   in Loop: Header=BB266_16 Depth=1
	v_mov_b32_e32 v4, 0x7f800001
	v_bfe_u32 v3, v0, 16, 7
	v_mov_b32_e32 v5, 0
	s_mov_b32 s24, exec_lo
	scratch_store_b64 off, v[4:5], s32 offset:636 ; 8-byte Folded Spill
	v_cmpx_ne_u32_e32 0x7f, v3
	s_cbranch_execz .LBB266_361
; %bb.358:                              ;   in Loop: Header=BB266_16 Depth=1
	v_and_b32_e32 v28, 7, v1
	v_lshrrev_b32_e32 v2, 3, v3
	s_mov_b32 s25, exec_lo
	v_cmpx_gt_u32_e32 8, v3
; %bb.359:                              ;   in Loop: Header=BB266_16 Depth=1
	s_delay_alu instid0(VALU_DEP_3) | instskip(NEXT) | instid1(VALU_DEP_1)
	v_clz_i32_u32_e32 v2, v28
	v_min_u32_e32 v2, 32, v2
	s_delay_alu instid0(VALU_DEP_1) | instskip(SKIP_1) | instid1(VALU_DEP_2)
	v_subrev_nc_u32_e32 v3, 28, v2
	v_sub_nc_u32_e32 v2, 29, v2
	v_lshlrev_b64 v[3:4], v3, v[28:29]
	s_delay_alu instid0(VALU_DEP_1)
	v_and_b32_e32 v28, 7, v3
; %bb.360:                              ;   in Loop: Header=BB266_16 Depth=1
	s_or_b32 exec_lo, exec_lo, s25
	v_lshlrev_b32_e32 v1, 24, v1
	s_delay_alu instid0(VALU_DEP_2) | instskip(SKIP_1) | instid1(VALU_DEP_3)
	v_lshlrev_b32_e32 v3, 20, v28
	v_lshl_add_u32 v2, v2, 23, 0x3c000000
	v_and_b32_e32 v1, 0x80000000, v1
	s_delay_alu instid0(VALU_DEP_1)
	v_or3_b32 v28, v3, v1, v2
	scratch_store_b64 off, v[28:29], s32 offset:636 ; 8-byte Folded Spill
.LBB266_361:                            ;   in Loop: Header=BB266_16 Depth=1
	s_or_b32 exec_lo, exec_lo, s24
.LBB266_362:                            ;   in Loop: Header=BB266_16 Depth=1
	s_delay_alu instid0(SALU_CYCLE_1)
	s_or_b32 exec_lo, exec_lo, s23
.LBB266_363:                            ;   in Loop: Header=BB266_16 Depth=1
	s_delay_alu instid0(SALU_CYCLE_1) | instskip(NEXT) | instid1(SALU_CYCLE_1)
	s_or_b32 exec_lo, exec_lo, s2
	s_mov_b32 s23, exec_lo
	v_cmpx_lt_u32_e32 0xffffff, v0
	s_cbranch_execz .LBB266_371
; %bb.364:                              ;   in Loop: Header=BB266_16 Depth=1
	v_lshrrev_b32_e32 v1, 24, v0
	v_dual_mov_b32 v85, s17 :: v_dual_mov_b32 v84, s16
	s_mov_b32 s24, exec_lo
	s_delay_alu instid0(VALU_DEP_2)
	v_cmpx_ne_u32_e32 0x80, v1
	s_cbranch_execz .LBB266_370
; %bb.365:                              ;   in Loop: Header=BB266_16 Depth=1
	s_mov_b32 s2, s16
	v_bfe_u32 v2, v0, 24, 7
	v_dual_mov_b32 v85, s3 :: v_dual_mov_b32 v84, s2
	s_mov_b32 s2, exec_lo
	s_delay_alu instid0(VALU_DEP_2)
	v_cmpx_ne_u32_e32 0x7f, v2
	s_cbranch_execz .LBB266_369
; %bb.366:                              ;   in Loop: Header=BB266_16 Depth=1
	v_and_b32_e32 v28, 7, v1
	v_lshrrev_b32_e32 v0, 3, v2
	s_mov_b32 s25, exec_lo
	v_cmpx_gt_u32_e32 8, v2
; %bb.367:                              ;   in Loop: Header=BB266_16 Depth=1
	s_delay_alu instid0(VALU_DEP_3) | instskip(NEXT) | instid1(VALU_DEP_1)
	v_clz_i32_u32_e32 v0, v28
	v_min_u32_e32 v0, 32, v0
	s_delay_alu instid0(VALU_DEP_1) | instskip(SKIP_1) | instid1(VALU_DEP_2)
	v_subrev_nc_u32_e32 v2, 28, v0
	v_sub_nc_u32_e32 v0, 29, v0
	v_lshlrev_b64 v[2:3], v2, v[28:29]
	s_delay_alu instid0(VALU_DEP_1)
	v_and_b32_e32 v28, 7, v2
; %bb.368:                              ;   in Loop: Header=BB266_16 Depth=1
	s_or_b32 exec_lo, exec_lo, s25
	v_dual_mov_b32 v84, v29 :: v_dual_lshlrev_b32 v1, 24, v1
	s_delay_alu instid0(VALU_DEP_2) | instskip(SKIP_1) | instid1(VALU_DEP_3)
	v_lshlrev_b32_e32 v2, 20, v28
	v_lshl_add_u32 v0, v0, 23, 0x3c000000
	v_and_b32_e32 v1, 0x80000000, v1
	s_delay_alu instid0(VALU_DEP_1)
	v_or3_b32 v85, v2, v1, v0
.LBB266_369:                            ;   in Loop: Header=BB266_16 Depth=1
	s_or_b32 exec_lo, exec_lo, s2
.LBB266_370:                            ;   in Loop: Header=BB266_16 Depth=1
	s_delay_alu instid0(SALU_CYCLE_1)
	s_or_b32 exec_lo, exec_lo, s24
.LBB266_371:                            ;   in Loop: Header=BB266_16 Depth=1
	s_delay_alu instid0(SALU_CYCLE_1)
	s_or_b32 exec_lo, exec_lo, s23
	flat_load_b32 v0, v[168:169] offset:1036
	v_mov_b32_e32 v96, 0
	v_mov_b32_e32 v97, 0
	s_mov_b32 s2, exec_lo
	scratch_store_b64 off, v[96:97], s32 offset:644 ; 8-byte Folded Spill
	s_waitcnt vmcnt(0) lgkmcnt(0)
	v_and_b32_e32 v1, 0xff, v0
	s_delay_alu instid0(VALU_DEP_1)
	v_cmpx_ne_u16_e32 0, v1
	s_cbranch_execz .LBB266_379
; %bb.372:                              ;   in Loop: Header=BB266_16 Depth=1
	v_cmp_ne_u16_e64 s1, 0x80, v1
	v_bfrev_b32_e32 v1, 1
	v_mov_b32_e32 v2, 0
	scratch_store_b64 off, v[1:2], s32 offset:644 ; 8-byte Folded Spill
	s_and_saveexec_b32 s23, s1
	s_cbranch_execz .LBB266_378
; %bb.373:                              ;   in Loop: Header=BB266_16 Depth=1
	v_mov_b32_e32 v3, 0x7f800001
	v_and_b32_e32 v2, 0x7f, v0
	v_mov_b32_e32 v4, 0
	s_mov_b32 s24, exec_lo
	scratch_store_b64 off, v[3:4], s32 offset:644 ; 8-byte Folded Spill
	v_cmpx_ne_u32_e32 0x7f, v2
	s_cbranch_execz .LBB266_377
; %bb.374:                              ;   in Loop: Header=BB266_16 Depth=1
	v_and_b32_e32 v28, 7, v0
	v_lshrrev_b32_e32 v1, 3, v2
	s_mov_b32 s25, exec_lo
	v_cmpx_gt_u32_e32 8, v2
; %bb.375:                              ;   in Loop: Header=BB266_16 Depth=1
	s_delay_alu instid0(VALU_DEP_3) | instskip(NEXT) | instid1(VALU_DEP_1)
	v_clz_i32_u32_e32 v1, v28
	v_min_u32_e32 v1, 32, v1
	s_delay_alu instid0(VALU_DEP_1) | instskip(SKIP_1) | instid1(VALU_DEP_2)
	v_subrev_nc_u32_e32 v2, 28, v1
	v_sub_nc_u32_e32 v1, 29, v1
	v_lshlrev_b64 v[2:3], v2, v[28:29]
	s_delay_alu instid0(VALU_DEP_1)
	v_and_b32_e32 v28, 7, v2
; %bb.376:                              ;   in Loop: Header=BB266_16 Depth=1
	s_or_b32 exec_lo, exec_lo, s25
	v_lshlrev_b32_e32 v2, 24, v0
	s_delay_alu instid0(VALU_DEP_2) | instskip(SKIP_1) | instid1(VALU_DEP_3)
	v_lshlrev_b32_e32 v3, 20, v28
	v_lshl_add_u32 v1, v1, 23, 0x3c000000
	v_and_b32_e32 v2, 0x80000000, v2
	s_delay_alu instid0(VALU_DEP_1)
	v_or3_b32 v28, v3, v2, v1
	scratch_store_b64 off, v[28:29], s32 offset:644 ; 8-byte Folded Spill
.LBB266_377:                            ;   in Loop: Header=BB266_16 Depth=1
	s_or_b32 exec_lo, exec_lo, s24
.LBB266_378:                            ;   in Loop: Header=BB266_16 Depth=1
	s_delay_alu instid0(SALU_CYCLE_1)
	s_or_b32 exec_lo, exec_lo, s23
.LBB266_379:                            ;   in Loop: Header=BB266_16 Depth=1
	s_delay_alu instid0(SALU_CYCLE_1) | instskip(SKIP_2) | instid1(VALU_DEP_1)
	s_or_b32 exec_lo, exec_lo, s2
	v_lshrrev_b16 v1, 8, v0
	s_mov_b32 s23, exec_lo
	v_cmpx_ne_u16_e32 0, v1
	s_cbranch_execz .LBB266_387
; %bb.380:                              ;   in Loop: Header=BB266_16 Depth=1
	v_dual_mov_b32 v97, s17 :: v_dual_mov_b32 v96, s16
	s_mov_b32 s24, exec_lo
	v_cmpx_ne_u16_e32 0x80, v1
	s_cbranch_execz .LBB266_386
; %bb.381:                              ;   in Loop: Header=BB266_16 Depth=1
	s_mov_b32 s2, s16
	v_and_b32_e32 v1, 0xffff, v1
	v_dual_mov_b32 v97, s3 :: v_dual_mov_b32 v96, s2
	s_mov_b32 s2, exec_lo
	s_delay_alu instid0(VALU_DEP_2) | instskip(NEXT) | instid1(VALU_DEP_1)
	v_and_b32_e32 v2, 0x7f, v1
	v_cmpx_ne_u32_e32 0x7f, v2
	s_cbranch_execz .LBB266_385
; %bb.382:                              ;   in Loop: Header=BB266_16 Depth=1
	v_and_b32_e32 v28, 7, v1
	v_lshrrev_b32_e32 v1, 3, v2
	s_mov_b32 s25, exec_lo
	v_cmpx_gt_u32_e32 8, v2
; %bb.383:                              ;   in Loop: Header=BB266_16 Depth=1
	s_delay_alu instid0(VALU_DEP_3) | instskip(NEXT) | instid1(VALU_DEP_1)
	v_clz_i32_u32_e32 v1, v28
	v_min_u32_e32 v1, 32, v1
	s_delay_alu instid0(VALU_DEP_1) | instskip(SKIP_1) | instid1(VALU_DEP_2)
	v_subrev_nc_u32_e32 v2, 28, v1
	v_sub_nc_u32_e32 v1, 29, v1
	v_lshlrev_b64 v[2:3], v2, v[28:29]
	s_delay_alu instid0(VALU_DEP_1)
	v_and_b32_e32 v28, 7, v2
; %bb.384:                              ;   in Loop: Header=BB266_16 Depth=1
	s_or_b32 exec_lo, exec_lo, s25
	v_lshlrev_b32_e32 v2, 16, v0
	s_delay_alu instid0(VALU_DEP_2) | instskip(SKIP_1) | instid1(VALU_DEP_3)
	v_dual_mov_b32 v96, v29 :: v_dual_lshlrev_b32 v3, 20, v28
	v_lshl_add_u32 v1, v1, 23, 0x3c000000
	v_and_b32_e32 v2, 0x80000000, v2
	s_delay_alu instid0(VALU_DEP_1)
	v_or3_b32 v97, v3, v2, v1
.LBB266_385:                            ;   in Loop: Header=BB266_16 Depth=1
	s_or_b32 exec_lo, exec_lo, s2
.LBB266_386:                            ;   in Loop: Header=BB266_16 Depth=1
	s_delay_alu instid0(SALU_CYCLE_1)
	s_or_b32 exec_lo, exec_lo, s24
.LBB266_387:                            ;   in Loop: Header=BB266_16 Depth=1
	s_delay_alu instid0(SALU_CYCLE_1) | instskip(SKIP_4) | instid1(VALU_DEP_3)
	s_or_b32 exec_lo, exec_lo, s23
	v_lshrrev_b32_e32 v1, 16, v0
	v_mov_b32_e32 v100, 0
	v_mov_b32_e32 v101, 0
	s_mov_b32 s2, exec_lo
	v_and_b32_e32 v2, 0xff, v1
	scratch_store_b64 off, v[100:101], s32 offset:652 ; 8-byte Folded Spill
	v_cmpx_ne_u16_e32 0, v2
	s_cbranch_execz .LBB266_395
; %bb.388:                              ;   in Loop: Header=BB266_16 Depth=1
	v_cmp_ne_u16_e64 s1, 0x80, v2
	v_bfrev_b32_e32 v2, 1
	v_mov_b32_e32 v3, 0
	scratch_store_b64 off, v[2:3], s32 offset:652 ; 8-byte Folded Spill
	s_and_saveexec_b32 s23, s1
	s_cbranch_execz .LBB266_394
; %bb.389:                              ;   in Loop: Header=BB266_16 Depth=1
	v_mov_b32_e32 v4, 0x7f800001
	v_bfe_u32 v3, v0, 16, 7
	v_mov_b32_e32 v5, 0
	s_mov_b32 s24, exec_lo
	scratch_store_b64 off, v[4:5], s32 offset:652 ; 8-byte Folded Spill
	v_cmpx_ne_u32_e32 0x7f, v3
	s_cbranch_execz .LBB266_393
; %bb.390:                              ;   in Loop: Header=BB266_16 Depth=1
	v_and_b32_e32 v28, 7, v1
	v_lshrrev_b32_e32 v2, 3, v3
	s_mov_b32 s25, exec_lo
	v_cmpx_gt_u32_e32 8, v3
; %bb.391:                              ;   in Loop: Header=BB266_16 Depth=1
	s_delay_alu instid0(VALU_DEP_3) | instskip(NEXT) | instid1(VALU_DEP_1)
	v_clz_i32_u32_e32 v2, v28
	v_min_u32_e32 v2, 32, v2
	s_delay_alu instid0(VALU_DEP_1) | instskip(SKIP_1) | instid1(VALU_DEP_2)
	v_subrev_nc_u32_e32 v3, 28, v2
	v_sub_nc_u32_e32 v2, 29, v2
	v_lshlrev_b64 v[3:4], v3, v[28:29]
	s_delay_alu instid0(VALU_DEP_1)
	v_and_b32_e32 v28, 7, v3
; %bb.392:                              ;   in Loop: Header=BB266_16 Depth=1
	s_or_b32 exec_lo, exec_lo, s25
	v_lshlrev_b32_e32 v1, 24, v1
	s_delay_alu instid0(VALU_DEP_2) | instskip(SKIP_1) | instid1(VALU_DEP_3)
	v_lshlrev_b32_e32 v3, 20, v28
	v_lshl_add_u32 v2, v2, 23, 0x3c000000
	v_and_b32_e32 v1, 0x80000000, v1
	s_delay_alu instid0(VALU_DEP_1)
	v_or3_b32 v28, v3, v1, v2
	scratch_store_b64 off, v[28:29], s32 offset:652 ; 8-byte Folded Spill
.LBB266_393:                            ;   in Loop: Header=BB266_16 Depth=1
	s_or_b32 exec_lo, exec_lo, s24
.LBB266_394:                            ;   in Loop: Header=BB266_16 Depth=1
	s_delay_alu instid0(SALU_CYCLE_1)
	s_or_b32 exec_lo, exec_lo, s23
.LBB266_395:                            ;   in Loop: Header=BB266_16 Depth=1
	s_delay_alu instid0(SALU_CYCLE_1) | instskip(NEXT) | instid1(SALU_CYCLE_1)
	s_or_b32 exec_lo, exec_lo, s2
	s_mov_b32 s23, exec_lo
	v_cmpx_lt_u32_e32 0xffffff, v0
	s_cbranch_execz .LBB266_403
; %bb.396:                              ;   in Loop: Header=BB266_16 Depth=1
	v_lshrrev_b32_e32 v1, 24, v0
	v_dual_mov_b32 v101, s17 :: v_dual_mov_b32 v100, s16
	s_mov_b32 s24, exec_lo
	s_delay_alu instid0(VALU_DEP_2)
	v_cmpx_ne_u32_e32 0x80, v1
	s_cbranch_execz .LBB266_402
; %bb.397:                              ;   in Loop: Header=BB266_16 Depth=1
	s_mov_b32 s2, s16
	v_bfe_u32 v2, v0, 24, 7
	v_dual_mov_b32 v101, s3 :: v_dual_mov_b32 v100, s2
	s_mov_b32 s2, exec_lo
	s_delay_alu instid0(VALU_DEP_2)
	v_cmpx_ne_u32_e32 0x7f, v2
	s_cbranch_execz .LBB266_401
; %bb.398:                              ;   in Loop: Header=BB266_16 Depth=1
	v_and_b32_e32 v28, 7, v1
	v_lshrrev_b32_e32 v0, 3, v2
	s_mov_b32 s25, exec_lo
	v_cmpx_gt_u32_e32 8, v2
; %bb.399:                              ;   in Loop: Header=BB266_16 Depth=1
	s_delay_alu instid0(VALU_DEP_3) | instskip(NEXT) | instid1(VALU_DEP_1)
	v_clz_i32_u32_e32 v0, v28
	v_min_u32_e32 v0, 32, v0
	s_delay_alu instid0(VALU_DEP_1) | instskip(SKIP_1) | instid1(VALU_DEP_2)
	v_subrev_nc_u32_e32 v2, 28, v0
	v_sub_nc_u32_e32 v0, 29, v0
	v_lshlrev_b64 v[2:3], v2, v[28:29]
	s_delay_alu instid0(VALU_DEP_1)
	v_and_b32_e32 v28, 7, v2
; %bb.400:                              ;   in Loop: Header=BB266_16 Depth=1
	s_or_b32 exec_lo, exec_lo, s25
	v_dual_mov_b32 v100, v29 :: v_dual_lshlrev_b32 v1, 24, v1
	s_delay_alu instid0(VALU_DEP_2) | instskip(SKIP_1) | instid1(VALU_DEP_3)
	v_lshlrev_b32_e32 v2, 20, v28
	v_lshl_add_u32 v0, v0, 23, 0x3c000000
	v_and_b32_e32 v1, 0x80000000, v1
	s_delay_alu instid0(VALU_DEP_1)
	v_or3_b32 v101, v2, v1, v0
.LBB266_401:                            ;   in Loop: Header=BB266_16 Depth=1
	s_or_b32 exec_lo, exec_lo, s2
.LBB266_402:                            ;   in Loop: Header=BB266_16 Depth=1
	s_delay_alu instid0(SALU_CYCLE_1)
	s_or_b32 exec_lo, exec_lo, s24
.LBB266_403:                            ;   in Loop: Header=BB266_16 Depth=1
	s_delay_alu instid0(SALU_CYCLE_1)
	s_or_b32 exec_lo, exec_lo, s23
	flat_load_b32 v0, v[168:169] offset:1536
	v_mov_b32_e32 v112, 0
	v_mov_b32_e32 v113, 0
	s_mov_b32 s2, exec_lo
	scratch_store_b64 off, v[112:113], s32 offset:660 ; 8-byte Folded Spill
	s_waitcnt vmcnt(0) lgkmcnt(0)
	v_and_b32_e32 v1, 0xff, v0
	s_delay_alu instid0(VALU_DEP_1)
	v_cmpx_ne_u16_e32 0, v1
	s_cbranch_execz .LBB266_411
; %bb.404:                              ;   in Loop: Header=BB266_16 Depth=1
	v_cmp_ne_u16_e64 s1, 0x80, v1
	v_bfrev_b32_e32 v1, 1
	v_mov_b32_e32 v2, 0
	scratch_store_b64 off, v[1:2], s32 offset:660 ; 8-byte Folded Spill
	s_and_saveexec_b32 s23, s1
	s_cbranch_execz .LBB266_410
; %bb.405:                              ;   in Loop: Header=BB266_16 Depth=1
	v_mov_b32_e32 v3, 0x7f800001
	v_and_b32_e32 v2, 0x7f, v0
	v_mov_b32_e32 v4, 0
	s_mov_b32 s24, exec_lo
	scratch_store_b64 off, v[3:4], s32 offset:660 ; 8-byte Folded Spill
	v_cmpx_ne_u32_e32 0x7f, v2
	s_cbranch_execz .LBB266_409
; %bb.406:                              ;   in Loop: Header=BB266_16 Depth=1
	v_and_b32_e32 v28, 7, v0
	v_lshrrev_b32_e32 v1, 3, v2
	s_mov_b32 s25, exec_lo
	v_cmpx_gt_u32_e32 8, v2
; %bb.407:                              ;   in Loop: Header=BB266_16 Depth=1
	s_delay_alu instid0(VALU_DEP_3) | instskip(NEXT) | instid1(VALU_DEP_1)
	v_clz_i32_u32_e32 v1, v28
	v_min_u32_e32 v1, 32, v1
	s_delay_alu instid0(VALU_DEP_1) | instskip(SKIP_1) | instid1(VALU_DEP_2)
	v_subrev_nc_u32_e32 v2, 28, v1
	v_sub_nc_u32_e32 v1, 29, v1
	v_lshlrev_b64 v[2:3], v2, v[28:29]
	s_delay_alu instid0(VALU_DEP_1)
	v_and_b32_e32 v28, 7, v2
; %bb.408:                              ;   in Loop: Header=BB266_16 Depth=1
	s_or_b32 exec_lo, exec_lo, s25
	v_lshlrev_b32_e32 v2, 24, v0
	s_delay_alu instid0(VALU_DEP_2) | instskip(SKIP_1) | instid1(VALU_DEP_3)
	v_lshlrev_b32_e32 v3, 20, v28
	v_lshl_add_u32 v1, v1, 23, 0x3c000000
	v_and_b32_e32 v2, 0x80000000, v2
	s_delay_alu instid0(VALU_DEP_1)
	v_or3_b32 v28, v3, v2, v1
	scratch_store_b64 off, v[28:29], s32 offset:660 ; 8-byte Folded Spill
.LBB266_409:                            ;   in Loop: Header=BB266_16 Depth=1
	s_or_b32 exec_lo, exec_lo, s24
.LBB266_410:                            ;   in Loop: Header=BB266_16 Depth=1
	s_delay_alu instid0(SALU_CYCLE_1)
	s_or_b32 exec_lo, exec_lo, s23
.LBB266_411:                            ;   in Loop: Header=BB266_16 Depth=1
	s_delay_alu instid0(SALU_CYCLE_1) | instskip(SKIP_2) | instid1(VALU_DEP_1)
	s_or_b32 exec_lo, exec_lo, s2
	v_lshrrev_b16 v1, 8, v0
	s_mov_b32 s23, exec_lo
	v_cmpx_ne_u16_e32 0, v1
	s_cbranch_execz .LBB266_419
; %bb.412:                              ;   in Loop: Header=BB266_16 Depth=1
	v_dual_mov_b32 v113, s17 :: v_dual_mov_b32 v112, s16
	s_mov_b32 s24, exec_lo
	v_cmpx_ne_u16_e32 0x80, v1
	s_cbranch_execz .LBB266_418
; %bb.413:                              ;   in Loop: Header=BB266_16 Depth=1
	s_mov_b32 s2, s16
	v_and_b32_e32 v1, 0xffff, v1
	v_dual_mov_b32 v113, s3 :: v_dual_mov_b32 v112, s2
	s_mov_b32 s2, exec_lo
	s_delay_alu instid0(VALU_DEP_2) | instskip(NEXT) | instid1(VALU_DEP_1)
	v_and_b32_e32 v2, 0x7f, v1
	v_cmpx_ne_u32_e32 0x7f, v2
	s_cbranch_execz .LBB266_417
; %bb.414:                              ;   in Loop: Header=BB266_16 Depth=1
	v_and_b32_e32 v28, 7, v1
	v_lshrrev_b32_e32 v1, 3, v2
	s_mov_b32 s25, exec_lo
	v_cmpx_gt_u32_e32 8, v2
; %bb.415:                              ;   in Loop: Header=BB266_16 Depth=1
	s_delay_alu instid0(VALU_DEP_3) | instskip(NEXT) | instid1(VALU_DEP_1)
	v_clz_i32_u32_e32 v1, v28
	v_min_u32_e32 v1, 32, v1
	s_delay_alu instid0(VALU_DEP_1) | instskip(SKIP_1) | instid1(VALU_DEP_2)
	v_subrev_nc_u32_e32 v2, 28, v1
	v_sub_nc_u32_e32 v1, 29, v1
	v_lshlrev_b64 v[2:3], v2, v[28:29]
	s_delay_alu instid0(VALU_DEP_1)
	v_and_b32_e32 v28, 7, v2
; %bb.416:                              ;   in Loop: Header=BB266_16 Depth=1
	s_or_b32 exec_lo, exec_lo, s25
	v_lshlrev_b32_e32 v2, 16, v0
	s_delay_alu instid0(VALU_DEP_2) | instskip(SKIP_1) | instid1(VALU_DEP_3)
	v_dual_mov_b32 v112, v29 :: v_dual_lshlrev_b32 v3, 20, v28
	v_lshl_add_u32 v1, v1, 23, 0x3c000000
	v_and_b32_e32 v2, 0x80000000, v2
	s_delay_alu instid0(VALU_DEP_1)
	v_or3_b32 v113, v3, v2, v1
.LBB266_417:                            ;   in Loop: Header=BB266_16 Depth=1
	s_or_b32 exec_lo, exec_lo, s2
.LBB266_418:                            ;   in Loop: Header=BB266_16 Depth=1
	s_delay_alu instid0(SALU_CYCLE_1)
	s_or_b32 exec_lo, exec_lo, s24
.LBB266_419:                            ;   in Loop: Header=BB266_16 Depth=1
	s_delay_alu instid0(SALU_CYCLE_1) | instskip(SKIP_4) | instid1(VALU_DEP_3)
	s_or_b32 exec_lo, exec_lo, s23
	v_lshrrev_b32_e32 v1, 16, v0
	v_mov_b32_e32 v116, 0
	v_mov_b32_e32 v117, 0
	s_mov_b32 s2, exec_lo
	v_and_b32_e32 v2, 0xff, v1
	scratch_store_b64 off, v[116:117], s32 offset:668 ; 8-byte Folded Spill
	v_cmpx_ne_u16_e32 0, v2
	s_cbranch_execz .LBB266_427
; %bb.420:                              ;   in Loop: Header=BB266_16 Depth=1
	v_cmp_ne_u16_e64 s1, 0x80, v2
	v_bfrev_b32_e32 v2, 1
	v_mov_b32_e32 v3, 0
	scratch_store_b64 off, v[2:3], s32 offset:668 ; 8-byte Folded Spill
	s_and_saveexec_b32 s23, s1
	s_cbranch_execz .LBB266_426
; %bb.421:                              ;   in Loop: Header=BB266_16 Depth=1
	v_mov_b32_e32 v4, 0x7f800001
	v_bfe_u32 v3, v0, 16, 7
	v_mov_b32_e32 v5, 0
	s_mov_b32 s24, exec_lo
	scratch_store_b64 off, v[4:5], s32 offset:668 ; 8-byte Folded Spill
	v_cmpx_ne_u32_e32 0x7f, v3
	s_cbranch_execz .LBB266_425
; %bb.422:                              ;   in Loop: Header=BB266_16 Depth=1
	v_and_b32_e32 v28, 7, v1
	v_lshrrev_b32_e32 v2, 3, v3
	s_mov_b32 s25, exec_lo
	v_cmpx_gt_u32_e32 8, v3
; %bb.423:                              ;   in Loop: Header=BB266_16 Depth=1
	s_delay_alu instid0(VALU_DEP_3) | instskip(NEXT) | instid1(VALU_DEP_1)
	v_clz_i32_u32_e32 v2, v28
	v_min_u32_e32 v2, 32, v2
	s_delay_alu instid0(VALU_DEP_1) | instskip(SKIP_1) | instid1(VALU_DEP_2)
	v_subrev_nc_u32_e32 v3, 28, v2
	v_sub_nc_u32_e32 v2, 29, v2
	v_lshlrev_b64 v[3:4], v3, v[28:29]
	s_delay_alu instid0(VALU_DEP_1)
	v_and_b32_e32 v28, 7, v3
; %bb.424:                              ;   in Loop: Header=BB266_16 Depth=1
	s_or_b32 exec_lo, exec_lo, s25
	v_lshlrev_b32_e32 v1, 24, v1
	s_delay_alu instid0(VALU_DEP_2) | instskip(SKIP_1) | instid1(VALU_DEP_3)
	v_lshlrev_b32_e32 v3, 20, v28
	v_lshl_add_u32 v2, v2, 23, 0x3c000000
	v_and_b32_e32 v1, 0x80000000, v1
	s_delay_alu instid0(VALU_DEP_1)
	v_or3_b32 v28, v3, v1, v2
	scratch_store_b64 off, v[28:29], s32 offset:668 ; 8-byte Folded Spill
.LBB266_425:                            ;   in Loop: Header=BB266_16 Depth=1
	s_or_b32 exec_lo, exec_lo, s24
.LBB266_426:                            ;   in Loop: Header=BB266_16 Depth=1
	s_delay_alu instid0(SALU_CYCLE_1)
	s_or_b32 exec_lo, exec_lo, s23
.LBB266_427:                            ;   in Loop: Header=BB266_16 Depth=1
	s_delay_alu instid0(SALU_CYCLE_1) | instskip(NEXT) | instid1(SALU_CYCLE_1)
	s_or_b32 exec_lo, exec_lo, s2
	s_mov_b32 s23, exec_lo
	v_cmpx_lt_u32_e32 0xffffff, v0
	s_cbranch_execz .LBB266_435
; %bb.428:                              ;   in Loop: Header=BB266_16 Depth=1
	v_lshrrev_b32_e32 v1, 24, v0
	v_dual_mov_b32 v117, s17 :: v_dual_mov_b32 v116, s16
	s_mov_b32 s24, exec_lo
	s_delay_alu instid0(VALU_DEP_2)
	v_cmpx_ne_u32_e32 0x80, v1
	s_cbranch_execz .LBB266_434
; %bb.429:                              ;   in Loop: Header=BB266_16 Depth=1
	s_mov_b32 s2, s16
	v_bfe_u32 v2, v0, 24, 7
	v_dual_mov_b32 v117, s3 :: v_dual_mov_b32 v116, s2
	s_mov_b32 s2, exec_lo
	s_delay_alu instid0(VALU_DEP_2)
	v_cmpx_ne_u32_e32 0x7f, v2
	s_cbranch_execz .LBB266_433
; %bb.430:                              ;   in Loop: Header=BB266_16 Depth=1
	v_and_b32_e32 v28, 7, v1
	v_lshrrev_b32_e32 v0, 3, v2
	s_mov_b32 s25, exec_lo
	v_cmpx_gt_u32_e32 8, v2
; %bb.431:                              ;   in Loop: Header=BB266_16 Depth=1
	s_delay_alu instid0(VALU_DEP_3) | instskip(NEXT) | instid1(VALU_DEP_1)
	v_clz_i32_u32_e32 v0, v28
	v_min_u32_e32 v0, 32, v0
	s_delay_alu instid0(VALU_DEP_1) | instskip(SKIP_1) | instid1(VALU_DEP_2)
	v_subrev_nc_u32_e32 v2, 28, v0
	v_sub_nc_u32_e32 v0, 29, v0
	v_lshlrev_b64 v[2:3], v2, v[28:29]
	s_delay_alu instid0(VALU_DEP_1)
	v_and_b32_e32 v28, 7, v2
; %bb.432:                              ;   in Loop: Header=BB266_16 Depth=1
	s_or_b32 exec_lo, exec_lo, s25
	v_dual_mov_b32 v116, v29 :: v_dual_lshlrev_b32 v1, 24, v1
	s_delay_alu instid0(VALU_DEP_2) | instskip(SKIP_1) | instid1(VALU_DEP_3)
	v_lshlrev_b32_e32 v2, 20, v28
	v_lshl_add_u32 v0, v0, 23, 0x3c000000
	v_and_b32_e32 v1, 0x80000000, v1
	s_delay_alu instid0(VALU_DEP_1)
	v_or3_b32 v117, v2, v1, v0
.LBB266_433:                            ;   in Loop: Header=BB266_16 Depth=1
	s_or_b32 exec_lo, exec_lo, s2
.LBB266_434:                            ;   in Loop: Header=BB266_16 Depth=1
	s_delay_alu instid0(SALU_CYCLE_1)
	s_or_b32 exec_lo, exec_lo, s24
.LBB266_435:                            ;   in Loop: Header=BB266_16 Depth=1
	s_delay_alu instid0(SALU_CYCLE_1) | instskip(SKIP_4) | instid1(VALU_DEP_1)
	s_or_b32 exec_lo, exec_lo, s23
	flat_load_b32 v0, v[168:169] offset:1540
	v_mov_b32_e32 v128, 0
	v_mov_b32_e32 v129, 0
	s_mov_b32 s2, exec_lo
	v_dual_mov_b32 v131, v129 :: v_dual_mov_b32 v130, v128
	s_waitcnt vmcnt(0) lgkmcnt(0)
	v_and_b32_e32 v1, 0xff, v0
	s_delay_alu instid0(VALU_DEP_1)
	v_cmpx_ne_u16_e32 0, v1
	s_cbranch_execz .LBB266_443
; %bb.436:                              ;   in Loop: Header=BB266_16 Depth=1
	v_bfrev_b32_e32 v130, 1
	v_mov_b32_e32 v131, 0
	s_mov_b32 s23, exec_lo
	v_cmpx_ne_u16_e32 0x80, v1
	s_cbranch_execz .LBB266_442
; %bb.437:                              ;   in Loop: Header=BB266_16 Depth=1
	v_mov_b32_e32 v130, 0x7f800001
	v_dual_mov_b32 v131, 0 :: v_dual_and_b32 v2, 0x7f, v0
	s_mov_b32 s24, exec_lo
	s_delay_alu instid0(VALU_DEP_1)
	v_cmpx_ne_u32_e32 0x7f, v2
	s_cbranch_execz .LBB266_441
; %bb.438:                              ;   in Loop: Header=BB266_16 Depth=1
	v_and_b32_e32 v28, 7, v0
	v_lshrrev_b32_e32 v1, 3, v2
	s_mov_b32 s25, exec_lo
	v_cmpx_gt_u32_e32 8, v2
; %bb.439:                              ;   in Loop: Header=BB266_16 Depth=1
	s_delay_alu instid0(VALU_DEP_3) | instskip(NEXT) | instid1(VALU_DEP_1)
	v_clz_i32_u32_e32 v1, v28
	v_min_u32_e32 v1, 32, v1
	s_delay_alu instid0(VALU_DEP_1) | instskip(SKIP_1) | instid1(VALU_DEP_2)
	v_subrev_nc_u32_e32 v2, 28, v1
	v_sub_nc_u32_e32 v1, 29, v1
	v_lshlrev_b64 v[2:3], v2, v[28:29]
	s_delay_alu instid0(VALU_DEP_1)
	v_and_b32_e32 v28, 7, v2
; %bb.440:                              ;   in Loop: Header=BB266_16 Depth=1
	s_or_b32 exec_lo, exec_lo, s25
	v_lshlrev_b32_e32 v2, 24, v0
	s_delay_alu instid0(VALU_DEP_2) | instskip(SKIP_1) | instid1(VALU_DEP_3)
	v_lshlrev_b32_e32 v3, 20, v28
	v_lshl_add_u32 v1, v1, 23, 0x3c000000
	v_and_b32_e32 v2, 0x80000000, v2
	s_delay_alu instid0(VALU_DEP_1) | instskip(NEXT) | instid1(VALU_DEP_1)
	v_or3_b32 v28, v3, v2, v1
	v_dual_mov_b32 v131, v29 :: v_dual_mov_b32 v130, v28
.LBB266_441:                            ;   in Loop: Header=BB266_16 Depth=1
	s_or_b32 exec_lo, exec_lo, s24
.LBB266_442:                            ;   in Loop: Header=BB266_16 Depth=1
	s_delay_alu instid0(SALU_CYCLE_1)
	s_or_b32 exec_lo, exec_lo, s23
.LBB266_443:                            ;   in Loop: Header=BB266_16 Depth=1
	s_delay_alu instid0(SALU_CYCLE_1) | instskip(SKIP_2) | instid1(VALU_DEP_1)
	s_or_b32 exec_lo, exec_lo, s2
	v_lshrrev_b16 v1, 8, v0
	s_mov_b32 s23, exec_lo
	v_cmpx_ne_u16_e32 0, v1
	s_cbranch_execz .LBB266_451
; %bb.444:                              ;   in Loop: Header=BB266_16 Depth=1
	v_dual_mov_b32 v129, s17 :: v_dual_mov_b32 v128, s16
	s_mov_b32 s24, exec_lo
	v_cmpx_ne_u16_e32 0x80, v1
	s_cbranch_execz .LBB266_450
; %bb.445:                              ;   in Loop: Header=BB266_16 Depth=1
	s_mov_b32 s2, s16
	v_and_b32_e32 v1, 0xffff, v1
	v_dual_mov_b32 v129, s3 :: v_dual_mov_b32 v128, s2
	s_mov_b32 s2, exec_lo
	s_delay_alu instid0(VALU_DEP_2) | instskip(NEXT) | instid1(VALU_DEP_1)
	v_and_b32_e32 v2, 0x7f, v1
	v_cmpx_ne_u32_e32 0x7f, v2
	s_cbranch_execz .LBB266_449
; %bb.446:                              ;   in Loop: Header=BB266_16 Depth=1
	v_and_b32_e32 v28, 7, v1
	v_lshrrev_b32_e32 v1, 3, v2
	s_mov_b32 s25, exec_lo
	v_cmpx_gt_u32_e32 8, v2
; %bb.447:                              ;   in Loop: Header=BB266_16 Depth=1
	s_delay_alu instid0(VALU_DEP_3) | instskip(NEXT) | instid1(VALU_DEP_1)
	v_clz_i32_u32_e32 v1, v28
	v_min_u32_e32 v1, 32, v1
	s_delay_alu instid0(VALU_DEP_1) | instskip(SKIP_1) | instid1(VALU_DEP_2)
	v_subrev_nc_u32_e32 v2, 28, v1
	v_sub_nc_u32_e32 v1, 29, v1
	v_lshlrev_b64 v[2:3], v2, v[28:29]
	s_delay_alu instid0(VALU_DEP_1)
	v_and_b32_e32 v28, 7, v2
; %bb.448:                              ;   in Loop: Header=BB266_16 Depth=1
	s_or_b32 exec_lo, exec_lo, s25
	v_lshlrev_b32_e32 v2, 16, v0
	s_delay_alu instid0(VALU_DEP_2) | instskip(SKIP_1) | instid1(VALU_DEP_3)
	v_dual_mov_b32 v128, v29 :: v_dual_lshlrev_b32 v3, 20, v28
	v_lshl_add_u32 v1, v1, 23, 0x3c000000
	v_and_b32_e32 v2, 0x80000000, v2
	s_delay_alu instid0(VALU_DEP_1)
	v_or3_b32 v129, v3, v2, v1
.LBB266_449:                            ;   in Loop: Header=BB266_16 Depth=1
	s_or_b32 exec_lo, exec_lo, s2
.LBB266_450:                            ;   in Loop: Header=BB266_16 Depth=1
	s_delay_alu instid0(SALU_CYCLE_1)
	s_or_b32 exec_lo, exec_lo, s24
.LBB266_451:                            ;   in Loop: Header=BB266_16 Depth=1
	s_delay_alu instid0(SALU_CYCLE_1) | instskip(SKIP_4) | instid1(VALU_DEP_1)
	s_or_b32 exec_lo, exec_lo, s23
	v_mov_b32_e32 v132, 0
	v_lshrrev_b32_e32 v1, 16, v0
	v_mov_b32_e32 v133, 0
	s_mov_b32 s2, exec_lo
	v_dual_mov_b32 v135, v133 :: v_dual_and_b32 v2, 0xff, v1
	v_mov_b32_e32 v134, v132
	s_delay_alu instid0(VALU_DEP_2)
	v_cmpx_ne_u16_e32 0, v2
	s_cbranch_execz .LBB266_459
; %bb.452:                              ;   in Loop: Header=BB266_16 Depth=1
	v_bfrev_b32_e32 v134, 1
	v_mov_b32_e32 v135, 0
	s_mov_b32 s23, exec_lo
	v_cmpx_ne_u16_e32 0x80, v2
	s_cbranch_execz .LBB266_458
; %bb.453:                              ;   in Loop: Header=BB266_16 Depth=1
	v_mov_b32_e32 v134, 0x7f800001
	v_bfe_u32 v3, v0, 16, 7
	v_mov_b32_e32 v135, 0
	s_mov_b32 s24, exec_lo
	s_delay_alu instid0(VALU_DEP_2)
	v_cmpx_ne_u32_e32 0x7f, v3
	s_cbranch_execz .LBB266_457
; %bb.454:                              ;   in Loop: Header=BB266_16 Depth=1
	v_and_b32_e32 v28, 7, v1
	v_lshrrev_b32_e32 v2, 3, v3
	s_mov_b32 s25, exec_lo
	v_cmpx_gt_u32_e32 8, v3
; %bb.455:                              ;   in Loop: Header=BB266_16 Depth=1
	s_delay_alu instid0(VALU_DEP_3) | instskip(NEXT) | instid1(VALU_DEP_1)
	v_clz_i32_u32_e32 v2, v28
	v_min_u32_e32 v2, 32, v2
	s_delay_alu instid0(VALU_DEP_1) | instskip(SKIP_1) | instid1(VALU_DEP_2)
	v_subrev_nc_u32_e32 v3, 28, v2
	v_sub_nc_u32_e32 v2, 29, v2
	v_lshlrev_b64 v[3:4], v3, v[28:29]
	s_delay_alu instid0(VALU_DEP_1)
	v_and_b32_e32 v28, 7, v3
; %bb.456:                              ;   in Loop: Header=BB266_16 Depth=1
	s_or_b32 exec_lo, exec_lo, s25
	v_lshlrev_b32_e32 v1, 24, v1
	s_delay_alu instid0(VALU_DEP_2) | instskip(SKIP_1) | instid1(VALU_DEP_3)
	v_lshlrev_b32_e32 v3, 20, v28
	v_lshl_add_u32 v2, v2, 23, 0x3c000000
	v_and_b32_e32 v1, 0x80000000, v1
	s_delay_alu instid0(VALU_DEP_1) | instskip(NEXT) | instid1(VALU_DEP_1)
	v_or3_b32 v28, v3, v1, v2
	v_dual_mov_b32 v135, v29 :: v_dual_mov_b32 v134, v28
.LBB266_457:                            ;   in Loop: Header=BB266_16 Depth=1
	s_or_b32 exec_lo, exec_lo, s24
.LBB266_458:                            ;   in Loop: Header=BB266_16 Depth=1
	s_delay_alu instid0(SALU_CYCLE_1)
	s_or_b32 exec_lo, exec_lo, s23
.LBB266_459:                            ;   in Loop: Header=BB266_16 Depth=1
	s_delay_alu instid0(SALU_CYCLE_1) | instskip(NEXT) | instid1(SALU_CYCLE_1)
	s_or_b32 exec_lo, exec_lo, s2
	s_mov_b32 s23, exec_lo
	v_cmpx_lt_u32_e32 0xffffff, v0
	s_cbranch_execz .LBB266_467
; %bb.460:                              ;   in Loop: Header=BB266_16 Depth=1
	v_lshrrev_b32_e32 v1, 24, v0
	v_dual_mov_b32 v133, s17 :: v_dual_mov_b32 v132, s16
	s_mov_b32 s24, exec_lo
	s_delay_alu instid0(VALU_DEP_2)
	v_cmpx_ne_u32_e32 0x80, v1
	s_cbranch_execz .LBB266_466
; %bb.461:                              ;   in Loop: Header=BB266_16 Depth=1
	s_mov_b32 s2, s16
	v_bfe_u32 v2, v0, 24, 7
	v_dual_mov_b32 v133, s3 :: v_dual_mov_b32 v132, s2
	s_mov_b32 s2, exec_lo
	s_delay_alu instid0(VALU_DEP_2)
	v_cmpx_ne_u32_e32 0x7f, v2
	s_cbranch_execz .LBB266_465
; %bb.462:                              ;   in Loop: Header=BB266_16 Depth=1
	v_and_b32_e32 v28, 7, v1
	v_lshrrev_b32_e32 v0, 3, v2
	s_mov_b32 s25, exec_lo
	v_cmpx_gt_u32_e32 8, v2
; %bb.463:                              ;   in Loop: Header=BB266_16 Depth=1
	s_delay_alu instid0(VALU_DEP_3) | instskip(NEXT) | instid1(VALU_DEP_1)
	v_clz_i32_u32_e32 v0, v28
	v_min_u32_e32 v0, 32, v0
	s_delay_alu instid0(VALU_DEP_1) | instskip(SKIP_1) | instid1(VALU_DEP_2)
	v_subrev_nc_u32_e32 v2, 28, v0
	v_sub_nc_u32_e32 v0, 29, v0
	v_lshlrev_b64 v[2:3], v2, v[28:29]
	s_delay_alu instid0(VALU_DEP_1)
	v_and_b32_e32 v28, 7, v2
; %bb.464:                              ;   in Loop: Header=BB266_16 Depth=1
	s_or_b32 exec_lo, exec_lo, s25
	v_dual_mov_b32 v132, v29 :: v_dual_lshlrev_b32 v1, 24, v1
	s_delay_alu instid0(VALU_DEP_2) | instskip(SKIP_1) | instid1(VALU_DEP_3)
	v_lshlrev_b32_e32 v2, 20, v28
	v_lshl_add_u32 v0, v0, 23, 0x3c000000
	v_and_b32_e32 v1, 0x80000000, v1
	s_delay_alu instid0(VALU_DEP_1)
	v_or3_b32 v133, v2, v1, v0
.LBB266_465:                            ;   in Loop: Header=BB266_16 Depth=1
	s_or_b32 exec_lo, exec_lo, s2
.LBB266_466:                            ;   in Loop: Header=BB266_16 Depth=1
	s_delay_alu instid0(SALU_CYCLE_1)
	s_or_b32 exec_lo, exec_lo, s24
.LBB266_467:                            ;   in Loop: Header=BB266_16 Depth=1
	s_delay_alu instid0(SALU_CYCLE_1) | instskip(SKIP_4) | instid1(VALU_DEP_1)
	s_or_b32 exec_lo, exec_lo, s23
	flat_load_b32 v0, v[168:169] offset:1544
	v_mov_b32_e32 v144, 0
	v_mov_b32_e32 v145, 0
	s_mov_b32 s2, exec_lo
	v_dual_mov_b32 v147, v145 :: v_dual_mov_b32 v146, v144
	s_waitcnt vmcnt(0) lgkmcnt(0)
	v_and_b32_e32 v1, 0xff, v0
	s_delay_alu instid0(VALU_DEP_1)
	v_cmpx_ne_u16_e32 0, v1
	s_cbranch_execz .LBB266_475
; %bb.468:                              ;   in Loop: Header=BB266_16 Depth=1
	v_bfrev_b32_e32 v146, 1
	v_mov_b32_e32 v147, 0
	s_mov_b32 s23, exec_lo
	v_cmpx_ne_u16_e32 0x80, v1
	s_cbranch_execz .LBB266_474
; %bb.469:                              ;   in Loop: Header=BB266_16 Depth=1
	v_mov_b32_e32 v146, 0x7f800001
	v_dual_mov_b32 v147, 0 :: v_dual_and_b32 v2, 0x7f, v0
	s_mov_b32 s24, exec_lo
	s_delay_alu instid0(VALU_DEP_1)
	v_cmpx_ne_u32_e32 0x7f, v2
	s_cbranch_execz .LBB266_473
; %bb.470:                              ;   in Loop: Header=BB266_16 Depth=1
	v_and_b32_e32 v28, 7, v0
	v_lshrrev_b32_e32 v1, 3, v2
	s_mov_b32 s25, exec_lo
	v_cmpx_gt_u32_e32 8, v2
; %bb.471:                              ;   in Loop: Header=BB266_16 Depth=1
	s_delay_alu instid0(VALU_DEP_3) | instskip(NEXT) | instid1(VALU_DEP_1)
	v_clz_i32_u32_e32 v1, v28
	v_min_u32_e32 v1, 32, v1
	s_delay_alu instid0(VALU_DEP_1) | instskip(SKIP_1) | instid1(VALU_DEP_2)
	v_subrev_nc_u32_e32 v2, 28, v1
	v_sub_nc_u32_e32 v1, 29, v1
	v_lshlrev_b64 v[2:3], v2, v[28:29]
	s_delay_alu instid0(VALU_DEP_1)
	v_and_b32_e32 v28, 7, v2
; %bb.472:                              ;   in Loop: Header=BB266_16 Depth=1
	s_or_b32 exec_lo, exec_lo, s25
	v_lshlrev_b32_e32 v2, 24, v0
	s_delay_alu instid0(VALU_DEP_2) | instskip(SKIP_1) | instid1(VALU_DEP_3)
	v_lshlrev_b32_e32 v3, 20, v28
	v_lshl_add_u32 v1, v1, 23, 0x3c000000
	v_and_b32_e32 v2, 0x80000000, v2
	s_delay_alu instid0(VALU_DEP_1) | instskip(NEXT) | instid1(VALU_DEP_1)
	v_or3_b32 v28, v3, v2, v1
	v_dual_mov_b32 v147, v29 :: v_dual_mov_b32 v146, v28
.LBB266_473:                            ;   in Loop: Header=BB266_16 Depth=1
	s_or_b32 exec_lo, exec_lo, s24
.LBB266_474:                            ;   in Loop: Header=BB266_16 Depth=1
	s_delay_alu instid0(SALU_CYCLE_1)
	s_or_b32 exec_lo, exec_lo, s23
.LBB266_475:                            ;   in Loop: Header=BB266_16 Depth=1
	s_delay_alu instid0(SALU_CYCLE_1) | instskip(SKIP_2) | instid1(VALU_DEP_1)
	s_or_b32 exec_lo, exec_lo, s2
	v_lshrrev_b16 v1, 8, v0
	s_mov_b32 s23, exec_lo
	v_cmpx_ne_u16_e32 0, v1
	s_cbranch_execz .LBB266_483
; %bb.476:                              ;   in Loop: Header=BB266_16 Depth=1
	v_dual_mov_b32 v145, s17 :: v_dual_mov_b32 v144, s16
	s_mov_b32 s24, exec_lo
	v_cmpx_ne_u16_e32 0x80, v1
	s_cbranch_execz .LBB266_482
; %bb.477:                              ;   in Loop: Header=BB266_16 Depth=1
	s_mov_b32 s2, s16
	v_and_b32_e32 v1, 0xffff, v1
	v_dual_mov_b32 v145, s3 :: v_dual_mov_b32 v144, s2
	s_mov_b32 s2, exec_lo
	s_delay_alu instid0(VALU_DEP_2) | instskip(NEXT) | instid1(VALU_DEP_1)
	v_and_b32_e32 v2, 0x7f, v1
	v_cmpx_ne_u32_e32 0x7f, v2
	s_cbranch_execz .LBB266_481
; %bb.478:                              ;   in Loop: Header=BB266_16 Depth=1
	v_and_b32_e32 v28, 7, v1
	v_lshrrev_b32_e32 v1, 3, v2
	s_mov_b32 s25, exec_lo
	v_cmpx_gt_u32_e32 8, v2
; %bb.479:                              ;   in Loop: Header=BB266_16 Depth=1
	s_delay_alu instid0(VALU_DEP_3) | instskip(NEXT) | instid1(VALU_DEP_1)
	v_clz_i32_u32_e32 v1, v28
	v_min_u32_e32 v1, 32, v1
	s_delay_alu instid0(VALU_DEP_1) | instskip(SKIP_1) | instid1(VALU_DEP_2)
	v_subrev_nc_u32_e32 v2, 28, v1
	v_sub_nc_u32_e32 v1, 29, v1
	v_lshlrev_b64 v[2:3], v2, v[28:29]
	s_delay_alu instid0(VALU_DEP_1)
	v_and_b32_e32 v28, 7, v2
; %bb.480:                              ;   in Loop: Header=BB266_16 Depth=1
	s_or_b32 exec_lo, exec_lo, s25
	v_lshlrev_b32_e32 v2, 16, v0
	s_delay_alu instid0(VALU_DEP_2) | instskip(SKIP_1) | instid1(VALU_DEP_3)
	v_dual_mov_b32 v144, v29 :: v_dual_lshlrev_b32 v3, 20, v28
	v_lshl_add_u32 v1, v1, 23, 0x3c000000
	v_and_b32_e32 v2, 0x80000000, v2
	s_delay_alu instid0(VALU_DEP_1)
	v_or3_b32 v145, v3, v2, v1
.LBB266_481:                            ;   in Loop: Header=BB266_16 Depth=1
	s_or_b32 exec_lo, exec_lo, s2
.LBB266_482:                            ;   in Loop: Header=BB266_16 Depth=1
	s_delay_alu instid0(SALU_CYCLE_1)
	s_or_b32 exec_lo, exec_lo, s24
.LBB266_483:                            ;   in Loop: Header=BB266_16 Depth=1
	s_delay_alu instid0(SALU_CYCLE_1) | instskip(SKIP_4) | instid1(VALU_DEP_1)
	s_or_b32 exec_lo, exec_lo, s23
	v_mov_b32_e32 v148, 0
	v_lshrrev_b32_e32 v1, 16, v0
	v_mov_b32_e32 v149, 0
	s_mov_b32 s2, exec_lo
	v_dual_mov_b32 v151, v149 :: v_dual_and_b32 v2, 0xff, v1
	v_mov_b32_e32 v150, v148
	s_delay_alu instid0(VALU_DEP_2)
	v_cmpx_ne_u16_e32 0, v2
	s_cbranch_execz .LBB266_491
; %bb.484:                              ;   in Loop: Header=BB266_16 Depth=1
	v_bfrev_b32_e32 v150, 1
	v_mov_b32_e32 v151, 0
	s_mov_b32 s23, exec_lo
	v_cmpx_ne_u16_e32 0x80, v2
	s_cbranch_execz .LBB266_490
; %bb.485:                              ;   in Loop: Header=BB266_16 Depth=1
	v_mov_b32_e32 v150, 0x7f800001
	v_bfe_u32 v3, v0, 16, 7
	v_mov_b32_e32 v151, 0
	s_mov_b32 s24, exec_lo
	s_delay_alu instid0(VALU_DEP_2)
	v_cmpx_ne_u32_e32 0x7f, v3
	s_cbranch_execz .LBB266_489
; %bb.486:                              ;   in Loop: Header=BB266_16 Depth=1
	v_and_b32_e32 v28, 7, v1
	v_lshrrev_b32_e32 v2, 3, v3
	s_mov_b32 s25, exec_lo
	v_cmpx_gt_u32_e32 8, v3
; %bb.487:                              ;   in Loop: Header=BB266_16 Depth=1
	s_delay_alu instid0(VALU_DEP_3) | instskip(NEXT) | instid1(VALU_DEP_1)
	v_clz_i32_u32_e32 v2, v28
	v_min_u32_e32 v2, 32, v2
	s_delay_alu instid0(VALU_DEP_1) | instskip(SKIP_1) | instid1(VALU_DEP_2)
	v_subrev_nc_u32_e32 v3, 28, v2
	v_sub_nc_u32_e32 v2, 29, v2
	v_lshlrev_b64 v[3:4], v3, v[28:29]
	s_delay_alu instid0(VALU_DEP_1)
	v_and_b32_e32 v28, 7, v3
; %bb.488:                              ;   in Loop: Header=BB266_16 Depth=1
	s_or_b32 exec_lo, exec_lo, s25
	v_lshlrev_b32_e32 v1, 24, v1
	s_delay_alu instid0(VALU_DEP_2) | instskip(SKIP_1) | instid1(VALU_DEP_3)
	v_lshlrev_b32_e32 v3, 20, v28
	v_lshl_add_u32 v2, v2, 23, 0x3c000000
	v_and_b32_e32 v1, 0x80000000, v1
	s_delay_alu instid0(VALU_DEP_1) | instskip(NEXT) | instid1(VALU_DEP_1)
	v_or3_b32 v28, v3, v1, v2
	v_dual_mov_b32 v151, v29 :: v_dual_mov_b32 v150, v28
.LBB266_489:                            ;   in Loop: Header=BB266_16 Depth=1
	s_or_b32 exec_lo, exec_lo, s24
.LBB266_490:                            ;   in Loop: Header=BB266_16 Depth=1
	s_delay_alu instid0(SALU_CYCLE_1)
	s_or_b32 exec_lo, exec_lo, s23
.LBB266_491:                            ;   in Loop: Header=BB266_16 Depth=1
	s_delay_alu instid0(SALU_CYCLE_1) | instskip(NEXT) | instid1(SALU_CYCLE_1)
	s_or_b32 exec_lo, exec_lo, s2
	s_mov_b32 s23, exec_lo
	v_cmpx_lt_u32_e32 0xffffff, v0
	s_cbranch_execz .LBB266_499
; %bb.492:                              ;   in Loop: Header=BB266_16 Depth=1
	v_lshrrev_b32_e32 v1, 24, v0
	v_dual_mov_b32 v149, s17 :: v_dual_mov_b32 v148, s16
	s_mov_b32 s24, exec_lo
	s_delay_alu instid0(VALU_DEP_2)
	v_cmpx_ne_u32_e32 0x80, v1
	s_cbranch_execz .LBB266_498
; %bb.493:                              ;   in Loop: Header=BB266_16 Depth=1
	s_mov_b32 s2, s16
	v_bfe_u32 v2, v0, 24, 7
	v_dual_mov_b32 v149, s3 :: v_dual_mov_b32 v148, s2
	s_mov_b32 s2, exec_lo
	s_delay_alu instid0(VALU_DEP_2)
	v_cmpx_ne_u32_e32 0x7f, v2
	s_cbranch_execz .LBB266_497
; %bb.494:                              ;   in Loop: Header=BB266_16 Depth=1
	v_and_b32_e32 v28, 7, v1
	v_lshrrev_b32_e32 v0, 3, v2
	s_mov_b32 s25, exec_lo
	v_cmpx_gt_u32_e32 8, v2
; %bb.495:                              ;   in Loop: Header=BB266_16 Depth=1
	s_delay_alu instid0(VALU_DEP_3) | instskip(NEXT) | instid1(VALU_DEP_1)
	v_clz_i32_u32_e32 v0, v28
	v_min_u32_e32 v0, 32, v0
	s_delay_alu instid0(VALU_DEP_1) | instskip(SKIP_1) | instid1(VALU_DEP_2)
	v_subrev_nc_u32_e32 v2, 28, v0
	v_sub_nc_u32_e32 v0, 29, v0
	v_lshlrev_b64 v[2:3], v2, v[28:29]
	s_delay_alu instid0(VALU_DEP_1)
	v_and_b32_e32 v28, 7, v2
; %bb.496:                              ;   in Loop: Header=BB266_16 Depth=1
	s_or_b32 exec_lo, exec_lo, s25
	v_dual_mov_b32 v148, v29 :: v_dual_lshlrev_b32 v1, 24, v1
	s_delay_alu instid0(VALU_DEP_2) | instskip(SKIP_1) | instid1(VALU_DEP_3)
	v_lshlrev_b32_e32 v2, 20, v28
	v_lshl_add_u32 v0, v0, 23, 0x3c000000
	v_and_b32_e32 v1, 0x80000000, v1
	s_delay_alu instid0(VALU_DEP_1)
	v_or3_b32 v149, v2, v1, v0
.LBB266_497:                            ;   in Loop: Header=BB266_16 Depth=1
	s_or_b32 exec_lo, exec_lo, s2
.LBB266_498:                            ;   in Loop: Header=BB266_16 Depth=1
	s_delay_alu instid0(SALU_CYCLE_1)
	s_or_b32 exec_lo, exec_lo, s24
.LBB266_499:                            ;   in Loop: Header=BB266_16 Depth=1
	s_delay_alu instid0(SALU_CYCLE_1) | instskip(SKIP_4) | instid1(VALU_DEP_1)
	s_or_b32 exec_lo, exec_lo, s23
	flat_load_b32 v0, v[168:169] offset:1548
	v_mov_b32_e32 v160, 0
	v_mov_b32_e32 v161, 0
	s_mov_b32 s2, exec_lo
	v_dual_mov_b32 v163, v161 :: v_dual_mov_b32 v162, v160
	s_waitcnt vmcnt(0) lgkmcnt(0)
	v_and_b32_e32 v1, 0xff, v0
	s_delay_alu instid0(VALU_DEP_1)
	v_cmpx_ne_u16_e32 0, v1
	s_cbranch_execz .LBB266_507
; %bb.500:                              ;   in Loop: Header=BB266_16 Depth=1
	v_bfrev_b32_e32 v162, 1
	v_mov_b32_e32 v163, 0
	s_mov_b32 s23, exec_lo
	v_cmpx_ne_u16_e32 0x80, v1
	s_cbranch_execz .LBB266_506
; %bb.501:                              ;   in Loop: Header=BB266_16 Depth=1
	v_mov_b32_e32 v162, 0x7f800001
	v_dual_mov_b32 v163, 0 :: v_dual_and_b32 v2, 0x7f, v0
	s_mov_b32 s24, exec_lo
	s_delay_alu instid0(VALU_DEP_1)
	v_cmpx_ne_u32_e32 0x7f, v2
	s_cbranch_execz .LBB266_505
; %bb.502:                              ;   in Loop: Header=BB266_16 Depth=1
	v_and_b32_e32 v28, 7, v0
	v_lshrrev_b32_e32 v1, 3, v2
	s_mov_b32 s25, exec_lo
	v_cmpx_gt_u32_e32 8, v2
; %bb.503:                              ;   in Loop: Header=BB266_16 Depth=1
	s_delay_alu instid0(VALU_DEP_3) | instskip(NEXT) | instid1(VALU_DEP_1)
	v_clz_i32_u32_e32 v1, v28
	v_min_u32_e32 v1, 32, v1
	s_delay_alu instid0(VALU_DEP_1) | instskip(SKIP_1) | instid1(VALU_DEP_2)
	v_subrev_nc_u32_e32 v2, 28, v1
	v_sub_nc_u32_e32 v1, 29, v1
	v_lshlrev_b64 v[2:3], v2, v[28:29]
	s_delay_alu instid0(VALU_DEP_1)
	v_and_b32_e32 v28, 7, v2
; %bb.504:                              ;   in Loop: Header=BB266_16 Depth=1
	s_or_b32 exec_lo, exec_lo, s25
	v_lshlrev_b32_e32 v2, 24, v0
	s_delay_alu instid0(VALU_DEP_2) | instskip(SKIP_1) | instid1(VALU_DEP_3)
	v_lshlrev_b32_e32 v3, 20, v28
	v_lshl_add_u32 v1, v1, 23, 0x3c000000
	v_and_b32_e32 v2, 0x80000000, v2
	s_delay_alu instid0(VALU_DEP_1) | instskip(NEXT) | instid1(VALU_DEP_1)
	v_or3_b32 v28, v3, v2, v1
	v_dual_mov_b32 v163, v29 :: v_dual_mov_b32 v162, v28
.LBB266_505:                            ;   in Loop: Header=BB266_16 Depth=1
	s_or_b32 exec_lo, exec_lo, s24
.LBB266_506:                            ;   in Loop: Header=BB266_16 Depth=1
	s_delay_alu instid0(SALU_CYCLE_1)
	s_or_b32 exec_lo, exec_lo, s23
.LBB266_507:                            ;   in Loop: Header=BB266_16 Depth=1
	s_delay_alu instid0(SALU_CYCLE_1) | instskip(SKIP_2) | instid1(VALU_DEP_1)
	s_or_b32 exec_lo, exec_lo, s2
	v_lshrrev_b16 v1, 8, v0
	s_mov_b32 s23, exec_lo
	v_cmpx_ne_u16_e32 0, v1
	s_cbranch_execz .LBB266_515
; %bb.508:                              ;   in Loop: Header=BB266_16 Depth=1
	v_dual_mov_b32 v161, s17 :: v_dual_mov_b32 v160, s16
	s_mov_b32 s24, exec_lo
	v_cmpx_ne_u16_e32 0x80, v1
	s_cbranch_execz .LBB266_514
; %bb.509:                              ;   in Loop: Header=BB266_16 Depth=1
	s_mov_b32 s2, s16
	v_and_b32_e32 v1, 0xffff, v1
	v_dual_mov_b32 v161, s3 :: v_dual_mov_b32 v160, s2
	s_mov_b32 s2, exec_lo
	s_delay_alu instid0(VALU_DEP_2) | instskip(NEXT) | instid1(VALU_DEP_1)
	v_and_b32_e32 v2, 0x7f, v1
	v_cmpx_ne_u32_e32 0x7f, v2
	s_cbranch_execz .LBB266_513
; %bb.510:                              ;   in Loop: Header=BB266_16 Depth=1
	v_and_b32_e32 v28, 7, v1
	v_lshrrev_b32_e32 v1, 3, v2
	s_mov_b32 s25, exec_lo
	v_cmpx_gt_u32_e32 8, v2
; %bb.511:                              ;   in Loop: Header=BB266_16 Depth=1
	s_delay_alu instid0(VALU_DEP_3) | instskip(NEXT) | instid1(VALU_DEP_1)
	v_clz_i32_u32_e32 v1, v28
	v_min_u32_e32 v1, 32, v1
	s_delay_alu instid0(VALU_DEP_1) | instskip(SKIP_1) | instid1(VALU_DEP_2)
	v_subrev_nc_u32_e32 v2, 28, v1
	v_sub_nc_u32_e32 v1, 29, v1
	v_lshlrev_b64 v[2:3], v2, v[28:29]
	s_delay_alu instid0(VALU_DEP_1)
	v_and_b32_e32 v28, 7, v2
; %bb.512:                              ;   in Loop: Header=BB266_16 Depth=1
	s_or_b32 exec_lo, exec_lo, s25
	v_lshlrev_b32_e32 v2, 16, v0
	s_delay_alu instid0(VALU_DEP_2) | instskip(SKIP_1) | instid1(VALU_DEP_3)
	v_dual_mov_b32 v160, v29 :: v_dual_lshlrev_b32 v3, 20, v28
	v_lshl_add_u32 v1, v1, 23, 0x3c000000
	v_and_b32_e32 v2, 0x80000000, v2
	s_delay_alu instid0(VALU_DEP_1)
	v_or3_b32 v161, v3, v2, v1
.LBB266_513:                            ;   in Loop: Header=BB266_16 Depth=1
	s_or_b32 exec_lo, exec_lo, s2
.LBB266_514:                            ;   in Loop: Header=BB266_16 Depth=1
	s_delay_alu instid0(SALU_CYCLE_1)
	s_or_b32 exec_lo, exec_lo, s24
.LBB266_515:                            ;   in Loop: Header=BB266_16 Depth=1
	s_delay_alu instid0(SALU_CYCLE_1) | instskip(SKIP_4) | instid1(VALU_DEP_1)
	s_or_b32 exec_lo, exec_lo, s23
	v_mov_b32_e32 v164, 0
	v_lshrrev_b32_e32 v1, 16, v0
	v_mov_b32_e32 v165, 0
	s_mov_b32 s2, exec_lo
	v_dual_mov_b32 v167, v165 :: v_dual_and_b32 v2, 0xff, v1
	v_mov_b32_e32 v166, v164
	s_delay_alu instid0(VALU_DEP_2)
	v_cmpx_ne_u16_e32 0, v2
	s_cbranch_execz .LBB266_523
; %bb.516:                              ;   in Loop: Header=BB266_16 Depth=1
	v_bfrev_b32_e32 v166, 1
	v_mov_b32_e32 v167, 0
	s_mov_b32 s23, exec_lo
	v_cmpx_ne_u16_e32 0x80, v2
	s_cbranch_execz .LBB266_522
; %bb.517:                              ;   in Loop: Header=BB266_16 Depth=1
	v_mov_b32_e32 v166, 0x7f800001
	v_bfe_u32 v3, v0, 16, 7
	v_mov_b32_e32 v167, 0
	s_mov_b32 s24, exec_lo
	s_delay_alu instid0(VALU_DEP_2)
	v_cmpx_ne_u32_e32 0x7f, v3
	s_cbranch_execz .LBB266_521
; %bb.518:                              ;   in Loop: Header=BB266_16 Depth=1
	v_and_b32_e32 v28, 7, v1
	v_lshrrev_b32_e32 v2, 3, v3
	s_mov_b32 s25, exec_lo
	v_cmpx_gt_u32_e32 8, v3
; %bb.519:                              ;   in Loop: Header=BB266_16 Depth=1
	s_delay_alu instid0(VALU_DEP_3) | instskip(NEXT) | instid1(VALU_DEP_1)
	v_clz_i32_u32_e32 v2, v28
	v_min_u32_e32 v2, 32, v2
	s_delay_alu instid0(VALU_DEP_1) | instskip(SKIP_1) | instid1(VALU_DEP_2)
	v_subrev_nc_u32_e32 v3, 28, v2
	v_sub_nc_u32_e32 v2, 29, v2
	v_lshlrev_b64 v[3:4], v3, v[28:29]
	s_delay_alu instid0(VALU_DEP_1)
	v_and_b32_e32 v28, 7, v3
; %bb.520:                              ;   in Loop: Header=BB266_16 Depth=1
	s_or_b32 exec_lo, exec_lo, s25
	v_lshlrev_b32_e32 v1, 24, v1
	s_delay_alu instid0(VALU_DEP_2) | instskip(SKIP_1) | instid1(VALU_DEP_3)
	v_lshlrev_b32_e32 v3, 20, v28
	v_lshl_add_u32 v2, v2, 23, 0x3c000000
	v_and_b32_e32 v1, 0x80000000, v1
	s_delay_alu instid0(VALU_DEP_1) | instskip(NEXT) | instid1(VALU_DEP_1)
	v_or3_b32 v28, v3, v1, v2
	v_dual_mov_b32 v167, v29 :: v_dual_mov_b32 v166, v28
.LBB266_521:                            ;   in Loop: Header=BB266_16 Depth=1
	s_or_b32 exec_lo, exec_lo, s24
.LBB266_522:                            ;   in Loop: Header=BB266_16 Depth=1
	s_delay_alu instid0(SALU_CYCLE_1)
	s_or_b32 exec_lo, exec_lo, s23
.LBB266_523:                            ;   in Loop: Header=BB266_16 Depth=1
	s_delay_alu instid0(SALU_CYCLE_1) | instskip(NEXT) | instid1(SALU_CYCLE_1)
	s_or_b32 exec_lo, exec_lo, s2
	s_mov_b32 s23, exec_lo
	v_cmpx_lt_u32_e32 0xffffff, v0
	s_cbranch_execz .LBB266_531
; %bb.524:                              ;   in Loop: Header=BB266_16 Depth=1
	v_lshrrev_b32_e32 v1, 24, v0
	v_dual_mov_b32 v165, s17 :: v_dual_mov_b32 v164, s16
	s_mov_b32 s24, exec_lo
	s_delay_alu instid0(VALU_DEP_2)
	v_cmpx_ne_u32_e32 0x80, v1
	s_cbranch_execz .LBB266_530
; %bb.525:                              ;   in Loop: Header=BB266_16 Depth=1
	s_mov_b32 s2, s16
	v_bfe_u32 v2, v0, 24, 7
	v_dual_mov_b32 v165, s3 :: v_dual_mov_b32 v164, s2
	s_mov_b32 s2, exec_lo
	s_delay_alu instid0(VALU_DEP_2)
	v_cmpx_ne_u32_e32 0x7f, v2
	s_cbranch_execz .LBB266_529
; %bb.526:                              ;   in Loop: Header=BB266_16 Depth=1
	v_and_b32_e32 v28, 7, v1
	v_lshrrev_b32_e32 v0, 3, v2
	s_mov_b32 s25, exec_lo
	v_cmpx_gt_u32_e32 8, v2
; %bb.527:                              ;   in Loop: Header=BB266_16 Depth=1
	s_delay_alu instid0(VALU_DEP_3) | instskip(NEXT) | instid1(VALU_DEP_1)
	v_clz_i32_u32_e32 v0, v28
	v_min_u32_e32 v0, 32, v0
	s_delay_alu instid0(VALU_DEP_1) | instskip(SKIP_1) | instid1(VALU_DEP_2)
	v_subrev_nc_u32_e32 v2, 28, v0
	v_sub_nc_u32_e32 v0, 29, v0
	v_lshlrev_b64 v[2:3], v2, v[28:29]
	s_delay_alu instid0(VALU_DEP_1)
	v_and_b32_e32 v28, 7, v2
; %bb.528:                              ;   in Loop: Header=BB266_16 Depth=1
	s_or_b32 exec_lo, exec_lo, s25
	v_dual_mov_b32 v164, v29 :: v_dual_lshlrev_b32 v1, 24, v1
	s_delay_alu instid0(VALU_DEP_2) | instskip(SKIP_1) | instid1(VALU_DEP_3)
	v_lshlrev_b32_e32 v2, 20, v28
	v_lshl_add_u32 v0, v0, 23, 0x3c000000
	v_and_b32_e32 v1, 0x80000000, v1
	s_delay_alu instid0(VALU_DEP_1)
	v_or3_b32 v165, v2, v1, v0
.LBB266_529:                            ;   in Loop: Header=BB266_16 Depth=1
	s_or_b32 exec_lo, exec_lo, s2
.LBB266_530:                            ;   in Loop: Header=BB266_16 Depth=1
	s_delay_alu instid0(SALU_CYCLE_1)
	s_or_b32 exec_lo, exec_lo, s24
.LBB266_531:                            ;   in Loop: Header=BB266_16 Depth=1
	s_delay_alu instid0(SALU_CYCLE_1) | instskip(SKIP_4) | instid1(VALU_DEP_1)
	s_or_b32 exec_lo, exec_lo, s23
	flat_load_b32 v0, v[168:169] offset:2048
	v_mov_b32_e32 v176, 0
	v_mov_b32_e32 v177, 0
	s_mov_b32 s2, exec_lo
	v_dual_mov_b32 v179, v177 :: v_dual_mov_b32 v178, v176
	s_waitcnt vmcnt(0) lgkmcnt(0)
	v_and_b32_e32 v1, 0xff, v0
	s_delay_alu instid0(VALU_DEP_1)
	v_cmpx_ne_u16_e32 0, v1
	s_cbranch_execz .LBB266_539
; %bb.532:                              ;   in Loop: Header=BB266_16 Depth=1
	v_bfrev_b32_e32 v178, 1
	v_mov_b32_e32 v179, 0
	s_mov_b32 s23, exec_lo
	v_cmpx_ne_u16_e32 0x80, v1
	s_cbranch_execz .LBB266_538
; %bb.533:                              ;   in Loop: Header=BB266_16 Depth=1
	v_mov_b32_e32 v178, 0x7f800001
	v_dual_mov_b32 v179, 0 :: v_dual_and_b32 v2, 0x7f, v0
	s_mov_b32 s24, exec_lo
	s_delay_alu instid0(VALU_DEP_1)
	v_cmpx_ne_u32_e32 0x7f, v2
	s_cbranch_execz .LBB266_537
; %bb.534:                              ;   in Loop: Header=BB266_16 Depth=1
	v_and_b32_e32 v28, 7, v0
	v_lshrrev_b32_e32 v1, 3, v2
	s_mov_b32 s25, exec_lo
	v_cmpx_gt_u32_e32 8, v2
; %bb.535:                              ;   in Loop: Header=BB266_16 Depth=1
	s_delay_alu instid0(VALU_DEP_3) | instskip(NEXT) | instid1(VALU_DEP_1)
	v_clz_i32_u32_e32 v1, v28
	v_min_u32_e32 v1, 32, v1
	s_delay_alu instid0(VALU_DEP_1) | instskip(SKIP_1) | instid1(VALU_DEP_2)
	v_subrev_nc_u32_e32 v2, 28, v1
	v_sub_nc_u32_e32 v1, 29, v1
	v_lshlrev_b64 v[2:3], v2, v[28:29]
	s_delay_alu instid0(VALU_DEP_1)
	v_and_b32_e32 v28, 7, v2
; %bb.536:                              ;   in Loop: Header=BB266_16 Depth=1
	s_or_b32 exec_lo, exec_lo, s25
	v_lshlrev_b32_e32 v2, 24, v0
	s_delay_alu instid0(VALU_DEP_2) | instskip(SKIP_1) | instid1(VALU_DEP_3)
	v_lshlrev_b32_e32 v3, 20, v28
	v_lshl_add_u32 v1, v1, 23, 0x3c000000
	v_and_b32_e32 v2, 0x80000000, v2
	s_delay_alu instid0(VALU_DEP_1) | instskip(NEXT) | instid1(VALU_DEP_1)
	v_or3_b32 v28, v3, v2, v1
	v_dual_mov_b32 v179, v29 :: v_dual_mov_b32 v178, v28
.LBB266_537:                            ;   in Loop: Header=BB266_16 Depth=1
	s_or_b32 exec_lo, exec_lo, s24
.LBB266_538:                            ;   in Loop: Header=BB266_16 Depth=1
	s_delay_alu instid0(SALU_CYCLE_1)
	s_or_b32 exec_lo, exec_lo, s23
.LBB266_539:                            ;   in Loop: Header=BB266_16 Depth=1
	s_delay_alu instid0(SALU_CYCLE_1) | instskip(SKIP_2) | instid1(VALU_DEP_1)
	s_or_b32 exec_lo, exec_lo, s2
	v_lshrrev_b16 v1, 8, v0
	s_mov_b32 s23, exec_lo
	v_cmpx_ne_u16_e32 0, v1
	s_cbranch_execz .LBB266_547
; %bb.540:                              ;   in Loop: Header=BB266_16 Depth=1
	v_dual_mov_b32 v177, s17 :: v_dual_mov_b32 v176, s16
	s_mov_b32 s24, exec_lo
	v_cmpx_ne_u16_e32 0x80, v1
	s_cbranch_execz .LBB266_546
; %bb.541:                              ;   in Loop: Header=BB266_16 Depth=1
	s_mov_b32 s2, s16
	v_and_b32_e32 v1, 0xffff, v1
	v_dual_mov_b32 v177, s3 :: v_dual_mov_b32 v176, s2
	s_mov_b32 s2, exec_lo
	s_delay_alu instid0(VALU_DEP_2) | instskip(NEXT) | instid1(VALU_DEP_1)
	v_and_b32_e32 v2, 0x7f, v1
	v_cmpx_ne_u32_e32 0x7f, v2
	s_cbranch_execz .LBB266_545
; %bb.542:                              ;   in Loop: Header=BB266_16 Depth=1
	v_and_b32_e32 v28, 7, v1
	v_lshrrev_b32_e32 v1, 3, v2
	s_mov_b32 s25, exec_lo
	v_cmpx_gt_u32_e32 8, v2
; %bb.543:                              ;   in Loop: Header=BB266_16 Depth=1
	s_delay_alu instid0(VALU_DEP_3) | instskip(NEXT) | instid1(VALU_DEP_1)
	v_clz_i32_u32_e32 v1, v28
	v_min_u32_e32 v1, 32, v1
	s_delay_alu instid0(VALU_DEP_1) | instskip(SKIP_1) | instid1(VALU_DEP_2)
	v_subrev_nc_u32_e32 v2, 28, v1
	v_sub_nc_u32_e32 v1, 29, v1
	v_lshlrev_b64 v[2:3], v2, v[28:29]
	s_delay_alu instid0(VALU_DEP_1)
	v_and_b32_e32 v28, 7, v2
; %bb.544:                              ;   in Loop: Header=BB266_16 Depth=1
	s_or_b32 exec_lo, exec_lo, s25
	v_lshlrev_b32_e32 v2, 16, v0
	s_delay_alu instid0(VALU_DEP_2) | instskip(SKIP_1) | instid1(VALU_DEP_3)
	v_dual_mov_b32 v176, v29 :: v_dual_lshlrev_b32 v3, 20, v28
	v_lshl_add_u32 v1, v1, 23, 0x3c000000
	v_and_b32_e32 v2, 0x80000000, v2
	s_delay_alu instid0(VALU_DEP_1)
	v_or3_b32 v177, v3, v2, v1
.LBB266_545:                            ;   in Loop: Header=BB266_16 Depth=1
	s_or_b32 exec_lo, exec_lo, s2
.LBB266_546:                            ;   in Loop: Header=BB266_16 Depth=1
	s_delay_alu instid0(SALU_CYCLE_1)
	s_or_b32 exec_lo, exec_lo, s24
.LBB266_547:                            ;   in Loop: Header=BB266_16 Depth=1
	s_delay_alu instid0(SALU_CYCLE_1) | instskip(SKIP_4) | instid1(VALU_DEP_1)
	s_or_b32 exec_lo, exec_lo, s23
	v_mov_b32_e32 v180, 0
	v_lshrrev_b32_e32 v1, 16, v0
	v_mov_b32_e32 v181, 0
	s_mov_b32 s2, exec_lo
	v_dual_mov_b32 v183, v181 :: v_dual_and_b32 v2, 0xff, v1
	v_mov_b32_e32 v182, v180
	s_delay_alu instid0(VALU_DEP_2)
	v_cmpx_ne_u16_e32 0, v2
	s_cbranch_execz .LBB266_555
; %bb.548:                              ;   in Loop: Header=BB266_16 Depth=1
	v_bfrev_b32_e32 v182, 1
	v_mov_b32_e32 v183, 0
	s_mov_b32 s23, exec_lo
	v_cmpx_ne_u16_e32 0x80, v2
	s_cbranch_execz .LBB266_554
; %bb.549:                              ;   in Loop: Header=BB266_16 Depth=1
	v_mov_b32_e32 v182, 0x7f800001
	v_bfe_u32 v3, v0, 16, 7
	v_mov_b32_e32 v183, 0
	s_mov_b32 s24, exec_lo
	s_delay_alu instid0(VALU_DEP_2)
	v_cmpx_ne_u32_e32 0x7f, v3
	s_cbranch_execz .LBB266_553
; %bb.550:                              ;   in Loop: Header=BB266_16 Depth=1
	v_and_b32_e32 v28, 7, v1
	v_lshrrev_b32_e32 v2, 3, v3
	s_mov_b32 s25, exec_lo
	v_cmpx_gt_u32_e32 8, v3
; %bb.551:                              ;   in Loop: Header=BB266_16 Depth=1
	s_delay_alu instid0(VALU_DEP_3) | instskip(NEXT) | instid1(VALU_DEP_1)
	v_clz_i32_u32_e32 v2, v28
	v_min_u32_e32 v2, 32, v2
	s_delay_alu instid0(VALU_DEP_1) | instskip(SKIP_1) | instid1(VALU_DEP_2)
	v_subrev_nc_u32_e32 v3, 28, v2
	v_sub_nc_u32_e32 v2, 29, v2
	v_lshlrev_b64 v[3:4], v3, v[28:29]
	s_delay_alu instid0(VALU_DEP_1)
	v_and_b32_e32 v28, 7, v3
; %bb.552:                              ;   in Loop: Header=BB266_16 Depth=1
	s_or_b32 exec_lo, exec_lo, s25
	v_lshlrev_b32_e32 v1, 24, v1
	s_delay_alu instid0(VALU_DEP_2) | instskip(SKIP_1) | instid1(VALU_DEP_3)
	v_lshlrev_b32_e32 v3, 20, v28
	v_lshl_add_u32 v2, v2, 23, 0x3c000000
	v_and_b32_e32 v1, 0x80000000, v1
	s_delay_alu instid0(VALU_DEP_1) | instskip(NEXT) | instid1(VALU_DEP_1)
	v_or3_b32 v28, v3, v1, v2
	v_dual_mov_b32 v183, v29 :: v_dual_mov_b32 v182, v28
.LBB266_553:                            ;   in Loop: Header=BB266_16 Depth=1
	s_or_b32 exec_lo, exec_lo, s24
.LBB266_554:                            ;   in Loop: Header=BB266_16 Depth=1
	s_delay_alu instid0(SALU_CYCLE_1)
	s_or_b32 exec_lo, exec_lo, s23
.LBB266_555:                            ;   in Loop: Header=BB266_16 Depth=1
	s_delay_alu instid0(SALU_CYCLE_1) | instskip(NEXT) | instid1(SALU_CYCLE_1)
	s_or_b32 exec_lo, exec_lo, s2
	s_mov_b32 s23, exec_lo
	v_cmpx_lt_u32_e32 0xffffff, v0
	s_cbranch_execz .LBB266_563
; %bb.556:                              ;   in Loop: Header=BB266_16 Depth=1
	v_lshrrev_b32_e32 v1, 24, v0
	v_dual_mov_b32 v181, s17 :: v_dual_mov_b32 v180, s16
	s_mov_b32 s24, exec_lo
	s_delay_alu instid0(VALU_DEP_2)
	v_cmpx_ne_u32_e32 0x80, v1
	s_cbranch_execz .LBB266_562
; %bb.557:                              ;   in Loop: Header=BB266_16 Depth=1
	s_mov_b32 s2, s16
	v_bfe_u32 v2, v0, 24, 7
	v_dual_mov_b32 v181, s3 :: v_dual_mov_b32 v180, s2
	s_mov_b32 s2, exec_lo
	s_delay_alu instid0(VALU_DEP_2)
	v_cmpx_ne_u32_e32 0x7f, v2
	s_cbranch_execz .LBB266_561
; %bb.558:                              ;   in Loop: Header=BB266_16 Depth=1
	v_and_b32_e32 v28, 7, v1
	v_lshrrev_b32_e32 v0, 3, v2
	s_mov_b32 s25, exec_lo
	v_cmpx_gt_u32_e32 8, v2
; %bb.559:                              ;   in Loop: Header=BB266_16 Depth=1
	s_delay_alu instid0(VALU_DEP_3) | instskip(NEXT) | instid1(VALU_DEP_1)
	v_clz_i32_u32_e32 v0, v28
	v_min_u32_e32 v0, 32, v0
	s_delay_alu instid0(VALU_DEP_1) | instskip(SKIP_1) | instid1(VALU_DEP_2)
	v_subrev_nc_u32_e32 v2, 28, v0
	v_sub_nc_u32_e32 v0, 29, v0
	v_lshlrev_b64 v[2:3], v2, v[28:29]
	s_delay_alu instid0(VALU_DEP_1)
	v_and_b32_e32 v28, 7, v2
; %bb.560:                              ;   in Loop: Header=BB266_16 Depth=1
	s_or_b32 exec_lo, exec_lo, s25
	v_dual_mov_b32 v180, v29 :: v_dual_lshlrev_b32 v1, 24, v1
	s_delay_alu instid0(VALU_DEP_2) | instskip(SKIP_1) | instid1(VALU_DEP_3)
	v_lshlrev_b32_e32 v2, 20, v28
	v_lshl_add_u32 v0, v0, 23, 0x3c000000
	v_and_b32_e32 v1, 0x80000000, v1
	s_delay_alu instid0(VALU_DEP_1)
	v_or3_b32 v181, v2, v1, v0
.LBB266_561:                            ;   in Loop: Header=BB266_16 Depth=1
	s_or_b32 exec_lo, exec_lo, s2
.LBB266_562:                            ;   in Loop: Header=BB266_16 Depth=1
	s_delay_alu instid0(SALU_CYCLE_1)
	s_or_b32 exec_lo, exec_lo, s24
.LBB266_563:                            ;   in Loop: Header=BB266_16 Depth=1
	s_delay_alu instid0(SALU_CYCLE_1)
	s_or_b32 exec_lo, exec_lo, s23
	flat_load_b32 v0, v[168:169] offset:2052
	v_mov_b32_e32 v39, 0
	v_mov_b32_e32 v40, 0
	s_mov_b32 s2, exec_lo
	s_waitcnt vmcnt(0) lgkmcnt(0)
	s_delay_alu instid0(VALU_DEP_1) | instskip(SKIP_1) | instid1(VALU_DEP_2)
	v_dual_mov_b32 v42, v40 :: v_dual_and_b32 v1, 0xff, v0
	v_mov_b32_e32 v41, v39
	v_cmpx_ne_u16_e32 0, v1
	s_cbranch_execz .LBB266_571
; %bb.564:                              ;   in Loop: Header=BB266_16 Depth=1
	v_bfrev_b32_e32 v41, 1
	v_mov_b32_e32 v42, 0
	s_mov_b32 s23, exec_lo
	v_cmpx_ne_u16_e32 0x80, v1
	s_cbranch_execz .LBB266_570
; %bb.565:                              ;   in Loop: Header=BB266_16 Depth=1
	v_mov_b32_e32 v41, 0x7f800001
	v_and_b32_e32 v2, 0x7f, v0
	v_mov_b32_e32 v42, 0
	s_mov_b32 s24, exec_lo
	s_delay_alu instid0(VALU_DEP_2)
	v_cmpx_ne_u32_e32 0x7f, v2
	s_cbranch_execz .LBB266_569
; %bb.566:                              ;   in Loop: Header=BB266_16 Depth=1
	v_and_b32_e32 v28, 7, v0
	v_lshrrev_b32_e32 v1, 3, v2
	s_mov_b32 s25, exec_lo
	v_cmpx_gt_u32_e32 8, v2
; %bb.567:                              ;   in Loop: Header=BB266_16 Depth=1
	s_delay_alu instid0(VALU_DEP_3) | instskip(NEXT) | instid1(VALU_DEP_1)
	v_clz_i32_u32_e32 v1, v28
	v_min_u32_e32 v1, 32, v1
	s_delay_alu instid0(VALU_DEP_1) | instskip(SKIP_1) | instid1(VALU_DEP_2)
	v_subrev_nc_u32_e32 v2, 28, v1
	v_sub_nc_u32_e32 v1, 29, v1
	v_lshlrev_b64 v[2:3], v2, v[28:29]
	s_delay_alu instid0(VALU_DEP_1)
	v_and_b32_e32 v28, 7, v2
; %bb.568:                              ;   in Loop: Header=BB266_16 Depth=1
	s_or_b32 exec_lo, exec_lo, s25
	v_lshlrev_b32_e32 v2, 24, v0
	s_delay_alu instid0(VALU_DEP_2) | instskip(SKIP_1) | instid1(VALU_DEP_3)
	v_lshlrev_b32_e32 v3, 20, v28
	v_lshl_add_u32 v1, v1, 23, 0x3c000000
	v_and_b32_e32 v2, 0x80000000, v2
	s_delay_alu instid0(VALU_DEP_1) | instskip(NEXT) | instid1(VALU_DEP_1)
	v_or3_b32 v28, v3, v2, v1
	v_dual_mov_b32 v42, v29 :: v_dual_mov_b32 v41, v28
.LBB266_569:                            ;   in Loop: Header=BB266_16 Depth=1
	s_or_b32 exec_lo, exec_lo, s24
.LBB266_570:                            ;   in Loop: Header=BB266_16 Depth=1
	s_delay_alu instid0(SALU_CYCLE_1)
	s_or_b32 exec_lo, exec_lo, s23
.LBB266_571:                            ;   in Loop: Header=BB266_16 Depth=1
	s_delay_alu instid0(SALU_CYCLE_1) | instskip(SKIP_2) | instid1(VALU_DEP_1)
	s_or_b32 exec_lo, exec_lo, s2
	v_lshrrev_b16 v1, 8, v0
	s_mov_b32 s23, exec_lo
	v_cmpx_ne_u16_e32 0, v1
	s_cbranch_execz .LBB266_579
; %bb.572:                              ;   in Loop: Header=BB266_16 Depth=1
	v_dual_mov_b32 v40, s17 :: v_dual_mov_b32 v39, s16
	s_mov_b32 s24, exec_lo
	v_cmpx_ne_u16_e32 0x80, v1
	s_cbranch_execz .LBB266_578
; %bb.573:                              ;   in Loop: Header=BB266_16 Depth=1
	s_mov_b32 s2, s16
	v_dual_mov_b32 v40, s3 :: v_dual_and_b32 v1, 0xffff, v1
	v_mov_b32_e32 v39, s2
	s_mov_b32 s2, exec_lo
	s_delay_alu instid0(VALU_DEP_2) | instskip(NEXT) | instid1(VALU_DEP_1)
	v_and_b32_e32 v2, 0x7f, v1
	v_cmpx_ne_u32_e32 0x7f, v2
	s_cbranch_execz .LBB266_577
; %bb.574:                              ;   in Loop: Header=BB266_16 Depth=1
	v_and_b32_e32 v28, 7, v1
	v_lshrrev_b32_e32 v1, 3, v2
	s_mov_b32 s25, exec_lo
	v_cmpx_gt_u32_e32 8, v2
; %bb.575:                              ;   in Loop: Header=BB266_16 Depth=1
	s_delay_alu instid0(VALU_DEP_3) | instskip(NEXT) | instid1(VALU_DEP_1)
	v_clz_i32_u32_e32 v1, v28
	v_min_u32_e32 v1, 32, v1
	s_delay_alu instid0(VALU_DEP_1) | instskip(SKIP_1) | instid1(VALU_DEP_2)
	v_subrev_nc_u32_e32 v2, 28, v1
	v_sub_nc_u32_e32 v1, 29, v1
	v_lshlrev_b64 v[2:3], v2, v[28:29]
	s_delay_alu instid0(VALU_DEP_1)
	v_and_b32_e32 v28, 7, v2
; %bb.576:                              ;   in Loop: Header=BB266_16 Depth=1
	s_or_b32 exec_lo, exec_lo, s25
	v_dual_mov_b32 v39, v29 :: v_dual_lshlrev_b32 v2, 16, v0
	s_delay_alu instid0(VALU_DEP_2) | instskip(SKIP_1) | instid1(VALU_DEP_3)
	v_lshlrev_b32_e32 v3, 20, v28
	v_lshl_add_u32 v1, v1, 23, 0x3c000000
	v_and_b32_e32 v2, 0x80000000, v2
	s_delay_alu instid0(VALU_DEP_1)
	v_or3_b32 v40, v3, v2, v1
.LBB266_577:                            ;   in Loop: Header=BB266_16 Depth=1
	s_or_b32 exec_lo, exec_lo, s2
.LBB266_578:                            ;   in Loop: Header=BB266_16 Depth=1
	s_delay_alu instid0(SALU_CYCLE_1)
	s_or_b32 exec_lo, exec_lo, s24
.LBB266_579:                            ;   in Loop: Header=BB266_16 Depth=1
	s_delay_alu instid0(SALU_CYCLE_1) | instskip(SKIP_4) | instid1(VALU_DEP_3)
	s_or_b32 exec_lo, exec_lo, s23
	v_lshrrev_b32_e32 v1, 16, v0
	v_mov_b32_e32 v43, 0
	v_mov_b32_e32 v44, 0
	s_mov_b32 s2, exec_lo
	v_and_b32_e32 v2, 0xff, v1
	s_delay_alu instid0(VALU_DEP_2) | instskip(NEXT) | instid1(VALU_DEP_2)
	v_dual_mov_b32 v46, v44 :: v_dual_mov_b32 v45, v43
	v_cmpx_ne_u16_e32 0, v2
	s_cbranch_execz .LBB266_587
; %bb.580:                              ;   in Loop: Header=BB266_16 Depth=1
	v_bfrev_b32_e32 v45, 1
	v_mov_b32_e32 v46, 0
	s_mov_b32 s23, exec_lo
	v_cmpx_ne_u16_e32 0x80, v2
	s_cbranch_execz .LBB266_586
; %bb.581:                              ;   in Loop: Header=BB266_16 Depth=1
	v_mov_b32_e32 v45, 0x7f800001
	v_bfe_u32 v3, v0, 16, 7
	v_mov_b32_e32 v46, 0
	s_mov_b32 s24, exec_lo
	s_delay_alu instid0(VALU_DEP_2)
	v_cmpx_ne_u32_e32 0x7f, v3
	s_cbranch_execz .LBB266_585
; %bb.582:                              ;   in Loop: Header=BB266_16 Depth=1
	v_and_b32_e32 v28, 7, v1
	v_lshrrev_b32_e32 v2, 3, v3
	s_mov_b32 s25, exec_lo
	v_cmpx_gt_u32_e32 8, v3
; %bb.583:                              ;   in Loop: Header=BB266_16 Depth=1
	s_delay_alu instid0(VALU_DEP_3) | instskip(NEXT) | instid1(VALU_DEP_1)
	v_clz_i32_u32_e32 v2, v28
	v_min_u32_e32 v2, 32, v2
	s_delay_alu instid0(VALU_DEP_1) | instskip(SKIP_1) | instid1(VALU_DEP_2)
	v_subrev_nc_u32_e32 v3, 28, v2
	v_sub_nc_u32_e32 v2, 29, v2
	v_lshlrev_b64 v[3:4], v3, v[28:29]
	s_delay_alu instid0(VALU_DEP_1)
	v_and_b32_e32 v28, 7, v3
; %bb.584:                              ;   in Loop: Header=BB266_16 Depth=1
	s_or_b32 exec_lo, exec_lo, s25
	v_lshlrev_b32_e32 v1, 24, v1
	s_delay_alu instid0(VALU_DEP_2) | instskip(SKIP_1) | instid1(VALU_DEP_3)
	v_lshlrev_b32_e32 v3, 20, v28
	v_lshl_add_u32 v2, v2, 23, 0x3c000000
	v_and_b32_e32 v1, 0x80000000, v1
	s_delay_alu instid0(VALU_DEP_1) | instskip(NEXT) | instid1(VALU_DEP_1)
	v_or3_b32 v28, v3, v1, v2
	v_dual_mov_b32 v46, v29 :: v_dual_mov_b32 v45, v28
.LBB266_585:                            ;   in Loop: Header=BB266_16 Depth=1
	s_or_b32 exec_lo, exec_lo, s24
.LBB266_586:                            ;   in Loop: Header=BB266_16 Depth=1
	s_delay_alu instid0(SALU_CYCLE_1)
	s_or_b32 exec_lo, exec_lo, s23
.LBB266_587:                            ;   in Loop: Header=BB266_16 Depth=1
	s_delay_alu instid0(SALU_CYCLE_1) | instskip(NEXT) | instid1(SALU_CYCLE_1)
	s_or_b32 exec_lo, exec_lo, s2
	s_mov_b32 s23, exec_lo
	v_cmpx_lt_u32_e32 0xffffff, v0
	s_cbranch_execz .LBB266_595
; %bb.588:                              ;   in Loop: Header=BB266_16 Depth=1
	v_lshrrev_b32_e32 v1, 24, v0
	v_dual_mov_b32 v44, s17 :: v_dual_mov_b32 v43, s16
	s_mov_b32 s24, exec_lo
	s_delay_alu instid0(VALU_DEP_2)
	v_cmpx_ne_u32_e32 0x80, v1
	s_cbranch_execz .LBB266_594
; %bb.589:                              ;   in Loop: Header=BB266_16 Depth=1
	s_mov_b32 s2, s16
	v_bfe_u32 v2, v0, 24, 7
	v_dual_mov_b32 v44, s3 :: v_dual_mov_b32 v43, s2
	s_mov_b32 s2, exec_lo
	s_delay_alu instid0(VALU_DEP_2)
	v_cmpx_ne_u32_e32 0x7f, v2
	s_cbranch_execz .LBB266_593
; %bb.590:                              ;   in Loop: Header=BB266_16 Depth=1
	v_and_b32_e32 v28, 7, v1
	v_lshrrev_b32_e32 v0, 3, v2
	s_mov_b32 s25, exec_lo
	v_cmpx_gt_u32_e32 8, v2
; %bb.591:                              ;   in Loop: Header=BB266_16 Depth=1
	s_delay_alu instid0(VALU_DEP_3) | instskip(NEXT) | instid1(VALU_DEP_1)
	v_clz_i32_u32_e32 v0, v28
	v_min_u32_e32 v0, 32, v0
	s_delay_alu instid0(VALU_DEP_1) | instskip(SKIP_1) | instid1(VALU_DEP_2)
	v_subrev_nc_u32_e32 v2, 28, v0
	v_sub_nc_u32_e32 v0, 29, v0
	v_lshlrev_b64 v[2:3], v2, v[28:29]
	s_delay_alu instid0(VALU_DEP_1)
	v_and_b32_e32 v28, 7, v2
; %bb.592:                              ;   in Loop: Header=BB266_16 Depth=1
	s_or_b32 exec_lo, exec_lo, s25
	v_lshlrev_b32_e32 v1, 24, v1
	s_delay_alu instid0(VALU_DEP_2) | instskip(SKIP_1) | instid1(VALU_DEP_3)
	v_dual_mov_b32 v43, v29 :: v_dual_lshlrev_b32 v2, 20, v28
	v_lshl_add_u32 v0, v0, 23, 0x3c000000
	v_and_b32_e32 v1, 0x80000000, v1
	s_delay_alu instid0(VALU_DEP_1)
	v_or3_b32 v44, v2, v1, v0
.LBB266_593:                            ;   in Loop: Header=BB266_16 Depth=1
	s_or_b32 exec_lo, exec_lo, s2
.LBB266_594:                            ;   in Loop: Header=BB266_16 Depth=1
	s_delay_alu instid0(SALU_CYCLE_1)
	s_or_b32 exec_lo, exec_lo, s24
.LBB266_595:                            ;   in Loop: Header=BB266_16 Depth=1
	s_delay_alu instid0(SALU_CYCLE_1) | instskip(SKIP_4) | instid1(VALU_DEP_1)
	s_or_b32 exec_lo, exec_lo, s23
	flat_load_b32 v0, v[168:169] offset:2056
	v_mov_b32_e32 v56, 0
	v_mov_b32_e32 v57, 0
	s_mov_b32 s2, exec_lo
	v_dual_mov_b32 v59, v57 :: v_dual_mov_b32 v58, v56
	s_waitcnt vmcnt(0) lgkmcnt(0)
	v_and_b32_e32 v1, 0xff, v0
	s_delay_alu instid0(VALU_DEP_1)
	v_cmpx_ne_u16_e32 0, v1
	s_cbranch_execz .LBB266_603
; %bb.596:                              ;   in Loop: Header=BB266_16 Depth=1
	v_bfrev_b32_e32 v58, 1
	v_mov_b32_e32 v59, 0
	s_mov_b32 s23, exec_lo
	v_cmpx_ne_u16_e32 0x80, v1
	s_cbranch_execz .LBB266_602
; %bb.597:                              ;   in Loop: Header=BB266_16 Depth=1
	v_mov_b32_e32 v58, 0x7f800001
	v_dual_mov_b32 v59, 0 :: v_dual_and_b32 v2, 0x7f, v0
	s_mov_b32 s24, exec_lo
	s_delay_alu instid0(VALU_DEP_1)
	v_cmpx_ne_u32_e32 0x7f, v2
	s_cbranch_execz .LBB266_601
; %bb.598:                              ;   in Loop: Header=BB266_16 Depth=1
	v_and_b32_e32 v28, 7, v0
	v_lshrrev_b32_e32 v1, 3, v2
	s_mov_b32 s25, exec_lo
	v_cmpx_gt_u32_e32 8, v2
; %bb.599:                              ;   in Loop: Header=BB266_16 Depth=1
	s_delay_alu instid0(VALU_DEP_3) | instskip(NEXT) | instid1(VALU_DEP_1)
	v_clz_i32_u32_e32 v1, v28
	v_min_u32_e32 v1, 32, v1
	s_delay_alu instid0(VALU_DEP_1) | instskip(SKIP_1) | instid1(VALU_DEP_2)
	v_subrev_nc_u32_e32 v2, 28, v1
	v_sub_nc_u32_e32 v1, 29, v1
	v_lshlrev_b64 v[2:3], v2, v[28:29]
	s_delay_alu instid0(VALU_DEP_1)
	v_and_b32_e32 v28, 7, v2
; %bb.600:                              ;   in Loop: Header=BB266_16 Depth=1
	s_or_b32 exec_lo, exec_lo, s25
	v_lshlrev_b32_e32 v2, 24, v0
	s_delay_alu instid0(VALU_DEP_2) | instskip(SKIP_1) | instid1(VALU_DEP_3)
	v_lshlrev_b32_e32 v3, 20, v28
	v_lshl_add_u32 v1, v1, 23, 0x3c000000
	v_and_b32_e32 v2, 0x80000000, v2
	s_delay_alu instid0(VALU_DEP_1) | instskip(NEXT) | instid1(VALU_DEP_1)
	v_or3_b32 v28, v3, v2, v1
	v_dual_mov_b32 v59, v29 :: v_dual_mov_b32 v58, v28
.LBB266_601:                            ;   in Loop: Header=BB266_16 Depth=1
	s_or_b32 exec_lo, exec_lo, s24
.LBB266_602:                            ;   in Loop: Header=BB266_16 Depth=1
	s_delay_alu instid0(SALU_CYCLE_1)
	s_or_b32 exec_lo, exec_lo, s23
.LBB266_603:                            ;   in Loop: Header=BB266_16 Depth=1
	s_delay_alu instid0(SALU_CYCLE_1) | instskip(SKIP_2) | instid1(VALU_DEP_1)
	s_or_b32 exec_lo, exec_lo, s2
	v_lshrrev_b16 v1, 8, v0
	s_mov_b32 s23, exec_lo
	v_cmpx_ne_u16_e32 0, v1
	s_cbranch_execz .LBB266_611
; %bb.604:                              ;   in Loop: Header=BB266_16 Depth=1
	v_dual_mov_b32 v57, s17 :: v_dual_mov_b32 v56, s16
	s_mov_b32 s24, exec_lo
	v_cmpx_ne_u16_e32 0x80, v1
	s_cbranch_execz .LBB266_610
; %bb.605:                              ;   in Loop: Header=BB266_16 Depth=1
	s_mov_b32 s2, s16
	v_and_b32_e32 v1, 0xffff, v1
	v_dual_mov_b32 v57, s3 :: v_dual_mov_b32 v56, s2
	s_mov_b32 s2, exec_lo
	s_delay_alu instid0(VALU_DEP_2) | instskip(NEXT) | instid1(VALU_DEP_1)
	v_and_b32_e32 v2, 0x7f, v1
	v_cmpx_ne_u32_e32 0x7f, v2
	s_cbranch_execz .LBB266_609
; %bb.606:                              ;   in Loop: Header=BB266_16 Depth=1
	v_and_b32_e32 v28, 7, v1
	v_lshrrev_b32_e32 v1, 3, v2
	s_mov_b32 s25, exec_lo
	v_cmpx_gt_u32_e32 8, v2
; %bb.607:                              ;   in Loop: Header=BB266_16 Depth=1
	s_delay_alu instid0(VALU_DEP_3) | instskip(NEXT) | instid1(VALU_DEP_1)
	v_clz_i32_u32_e32 v1, v28
	v_min_u32_e32 v1, 32, v1
	s_delay_alu instid0(VALU_DEP_1) | instskip(SKIP_1) | instid1(VALU_DEP_2)
	v_subrev_nc_u32_e32 v2, 28, v1
	v_sub_nc_u32_e32 v1, 29, v1
	v_lshlrev_b64 v[2:3], v2, v[28:29]
	s_delay_alu instid0(VALU_DEP_1)
	v_and_b32_e32 v28, 7, v2
; %bb.608:                              ;   in Loop: Header=BB266_16 Depth=1
	s_or_b32 exec_lo, exec_lo, s25
	v_lshlrev_b32_e32 v2, 16, v0
	s_delay_alu instid0(VALU_DEP_2) | instskip(SKIP_1) | instid1(VALU_DEP_3)
	v_dual_mov_b32 v56, v29 :: v_dual_lshlrev_b32 v3, 20, v28
	v_lshl_add_u32 v1, v1, 23, 0x3c000000
	v_and_b32_e32 v2, 0x80000000, v2
	s_delay_alu instid0(VALU_DEP_1)
	v_or3_b32 v57, v3, v2, v1
.LBB266_609:                            ;   in Loop: Header=BB266_16 Depth=1
	s_or_b32 exec_lo, exec_lo, s2
.LBB266_610:                            ;   in Loop: Header=BB266_16 Depth=1
	s_delay_alu instid0(SALU_CYCLE_1)
	s_or_b32 exec_lo, exec_lo, s24
.LBB266_611:                            ;   in Loop: Header=BB266_16 Depth=1
	s_delay_alu instid0(SALU_CYCLE_1) | instskip(SKIP_4) | instid1(VALU_DEP_1)
	s_or_b32 exec_lo, exec_lo, s23
	v_mov_b32_e32 v60, 0
	v_lshrrev_b32_e32 v1, 16, v0
	v_mov_b32_e32 v61, 0
	s_mov_b32 s2, exec_lo
	v_dual_mov_b32 v63, v61 :: v_dual_and_b32 v2, 0xff, v1
	v_mov_b32_e32 v62, v60
	s_delay_alu instid0(VALU_DEP_2)
	v_cmpx_ne_u16_e32 0, v2
	s_cbranch_execz .LBB266_619
; %bb.612:                              ;   in Loop: Header=BB266_16 Depth=1
	v_bfrev_b32_e32 v62, 1
	v_mov_b32_e32 v63, 0
	s_mov_b32 s23, exec_lo
	v_cmpx_ne_u16_e32 0x80, v2
	s_cbranch_execz .LBB266_618
; %bb.613:                              ;   in Loop: Header=BB266_16 Depth=1
	v_mov_b32_e32 v62, 0x7f800001
	v_bfe_u32 v3, v0, 16, 7
	v_mov_b32_e32 v63, 0
	s_mov_b32 s24, exec_lo
	s_delay_alu instid0(VALU_DEP_2)
	v_cmpx_ne_u32_e32 0x7f, v3
	s_cbranch_execz .LBB266_617
; %bb.614:                              ;   in Loop: Header=BB266_16 Depth=1
	v_and_b32_e32 v28, 7, v1
	v_lshrrev_b32_e32 v2, 3, v3
	s_mov_b32 s25, exec_lo
	v_cmpx_gt_u32_e32 8, v3
; %bb.615:                              ;   in Loop: Header=BB266_16 Depth=1
	s_delay_alu instid0(VALU_DEP_3) | instskip(NEXT) | instid1(VALU_DEP_1)
	v_clz_i32_u32_e32 v2, v28
	v_min_u32_e32 v2, 32, v2
	s_delay_alu instid0(VALU_DEP_1) | instskip(SKIP_1) | instid1(VALU_DEP_2)
	v_subrev_nc_u32_e32 v3, 28, v2
	v_sub_nc_u32_e32 v2, 29, v2
	v_lshlrev_b64 v[3:4], v3, v[28:29]
	s_delay_alu instid0(VALU_DEP_1)
	v_and_b32_e32 v28, 7, v3
; %bb.616:                              ;   in Loop: Header=BB266_16 Depth=1
	s_or_b32 exec_lo, exec_lo, s25
	v_lshlrev_b32_e32 v1, 24, v1
	s_delay_alu instid0(VALU_DEP_2) | instskip(SKIP_1) | instid1(VALU_DEP_3)
	v_lshlrev_b32_e32 v3, 20, v28
	v_lshl_add_u32 v2, v2, 23, 0x3c000000
	v_and_b32_e32 v1, 0x80000000, v1
	s_delay_alu instid0(VALU_DEP_1) | instskip(NEXT) | instid1(VALU_DEP_1)
	v_or3_b32 v28, v3, v1, v2
	v_dual_mov_b32 v63, v29 :: v_dual_mov_b32 v62, v28
.LBB266_617:                            ;   in Loop: Header=BB266_16 Depth=1
	s_or_b32 exec_lo, exec_lo, s24
.LBB266_618:                            ;   in Loop: Header=BB266_16 Depth=1
	s_delay_alu instid0(SALU_CYCLE_1)
	s_or_b32 exec_lo, exec_lo, s23
.LBB266_619:                            ;   in Loop: Header=BB266_16 Depth=1
	s_delay_alu instid0(SALU_CYCLE_1) | instskip(NEXT) | instid1(SALU_CYCLE_1)
	s_or_b32 exec_lo, exec_lo, s2
	s_mov_b32 s23, exec_lo
	v_cmpx_lt_u32_e32 0xffffff, v0
	s_cbranch_execz .LBB266_627
; %bb.620:                              ;   in Loop: Header=BB266_16 Depth=1
	v_lshrrev_b32_e32 v1, 24, v0
	v_dual_mov_b32 v61, s17 :: v_dual_mov_b32 v60, s16
	s_mov_b32 s24, exec_lo
	s_delay_alu instid0(VALU_DEP_2)
	v_cmpx_ne_u32_e32 0x80, v1
	s_cbranch_execz .LBB266_626
; %bb.621:                              ;   in Loop: Header=BB266_16 Depth=1
	s_mov_b32 s2, s16
	v_bfe_u32 v2, v0, 24, 7
	v_dual_mov_b32 v61, s3 :: v_dual_mov_b32 v60, s2
	s_mov_b32 s2, exec_lo
	s_delay_alu instid0(VALU_DEP_2)
	v_cmpx_ne_u32_e32 0x7f, v2
	s_cbranch_execz .LBB266_625
; %bb.622:                              ;   in Loop: Header=BB266_16 Depth=1
	v_and_b32_e32 v28, 7, v1
	v_lshrrev_b32_e32 v0, 3, v2
	s_mov_b32 s25, exec_lo
	v_cmpx_gt_u32_e32 8, v2
; %bb.623:                              ;   in Loop: Header=BB266_16 Depth=1
	s_delay_alu instid0(VALU_DEP_3) | instskip(NEXT) | instid1(VALU_DEP_1)
	v_clz_i32_u32_e32 v0, v28
	v_min_u32_e32 v0, 32, v0
	s_delay_alu instid0(VALU_DEP_1) | instskip(SKIP_1) | instid1(VALU_DEP_2)
	v_subrev_nc_u32_e32 v2, 28, v0
	v_sub_nc_u32_e32 v0, 29, v0
	v_lshlrev_b64 v[2:3], v2, v[28:29]
	s_delay_alu instid0(VALU_DEP_1)
	v_and_b32_e32 v28, 7, v2
; %bb.624:                              ;   in Loop: Header=BB266_16 Depth=1
	s_or_b32 exec_lo, exec_lo, s25
	v_dual_mov_b32 v60, v29 :: v_dual_lshlrev_b32 v1, 24, v1
	s_delay_alu instid0(VALU_DEP_2) | instskip(SKIP_1) | instid1(VALU_DEP_3)
	v_lshlrev_b32_e32 v2, 20, v28
	v_lshl_add_u32 v0, v0, 23, 0x3c000000
	v_and_b32_e32 v1, 0x80000000, v1
	s_delay_alu instid0(VALU_DEP_1)
	v_or3_b32 v61, v2, v1, v0
.LBB266_625:                            ;   in Loop: Header=BB266_16 Depth=1
	s_or_b32 exec_lo, exec_lo, s2
.LBB266_626:                            ;   in Loop: Header=BB266_16 Depth=1
	s_delay_alu instid0(SALU_CYCLE_1)
	s_or_b32 exec_lo, exec_lo, s24
.LBB266_627:                            ;   in Loop: Header=BB266_16 Depth=1
	s_delay_alu instid0(SALU_CYCLE_1) | instskip(SKIP_4) | instid1(VALU_DEP_1)
	s_or_b32 exec_lo, exec_lo, s23
	flat_load_b32 v0, v[168:169] offset:2060
	v_mov_b32_e32 v72, 0
	v_mov_b32_e32 v73, 0
	s_mov_b32 s2, exec_lo
	v_dual_mov_b32 v75, v73 :: v_dual_mov_b32 v74, v72
	s_waitcnt vmcnt(0) lgkmcnt(0)
	v_and_b32_e32 v1, 0xff, v0
	s_delay_alu instid0(VALU_DEP_1)
	v_cmpx_ne_u16_e32 0, v1
	s_cbranch_execz .LBB266_635
; %bb.628:                              ;   in Loop: Header=BB266_16 Depth=1
	v_bfrev_b32_e32 v74, 1
	v_mov_b32_e32 v75, 0
	s_mov_b32 s23, exec_lo
	v_cmpx_ne_u16_e32 0x80, v1
	s_cbranch_execz .LBB266_634
; %bb.629:                              ;   in Loop: Header=BB266_16 Depth=1
	v_mov_b32_e32 v74, 0x7f800001
	v_dual_mov_b32 v75, 0 :: v_dual_and_b32 v2, 0x7f, v0
	s_mov_b32 s24, exec_lo
	s_delay_alu instid0(VALU_DEP_1)
	v_cmpx_ne_u32_e32 0x7f, v2
	s_cbranch_execz .LBB266_633
; %bb.630:                              ;   in Loop: Header=BB266_16 Depth=1
	v_and_b32_e32 v28, 7, v0
	v_lshrrev_b32_e32 v1, 3, v2
	s_mov_b32 s25, exec_lo
	v_cmpx_gt_u32_e32 8, v2
; %bb.631:                              ;   in Loop: Header=BB266_16 Depth=1
	s_delay_alu instid0(VALU_DEP_3) | instskip(NEXT) | instid1(VALU_DEP_1)
	v_clz_i32_u32_e32 v1, v28
	v_min_u32_e32 v1, 32, v1
	s_delay_alu instid0(VALU_DEP_1) | instskip(SKIP_1) | instid1(VALU_DEP_2)
	v_subrev_nc_u32_e32 v2, 28, v1
	v_sub_nc_u32_e32 v1, 29, v1
	v_lshlrev_b64 v[2:3], v2, v[28:29]
	s_delay_alu instid0(VALU_DEP_1)
	v_and_b32_e32 v28, 7, v2
; %bb.632:                              ;   in Loop: Header=BB266_16 Depth=1
	s_or_b32 exec_lo, exec_lo, s25
	v_lshlrev_b32_e32 v2, 24, v0
	s_delay_alu instid0(VALU_DEP_2) | instskip(SKIP_1) | instid1(VALU_DEP_3)
	v_lshlrev_b32_e32 v3, 20, v28
	v_lshl_add_u32 v1, v1, 23, 0x3c000000
	v_and_b32_e32 v2, 0x80000000, v2
	s_delay_alu instid0(VALU_DEP_1) | instskip(NEXT) | instid1(VALU_DEP_1)
	v_or3_b32 v28, v3, v2, v1
	v_dual_mov_b32 v75, v29 :: v_dual_mov_b32 v74, v28
.LBB266_633:                            ;   in Loop: Header=BB266_16 Depth=1
	s_or_b32 exec_lo, exec_lo, s24
.LBB266_634:                            ;   in Loop: Header=BB266_16 Depth=1
	s_delay_alu instid0(SALU_CYCLE_1)
	s_or_b32 exec_lo, exec_lo, s23
.LBB266_635:                            ;   in Loop: Header=BB266_16 Depth=1
	s_delay_alu instid0(SALU_CYCLE_1) | instskip(SKIP_2) | instid1(VALU_DEP_1)
	s_or_b32 exec_lo, exec_lo, s2
	v_lshrrev_b16 v1, 8, v0
	s_mov_b32 s23, exec_lo
	v_cmpx_ne_u16_e32 0, v1
	s_cbranch_execz .LBB266_643
; %bb.636:                              ;   in Loop: Header=BB266_16 Depth=1
	v_dual_mov_b32 v73, s17 :: v_dual_mov_b32 v72, s16
	s_mov_b32 s24, exec_lo
	v_cmpx_ne_u16_e32 0x80, v1
	s_cbranch_execz .LBB266_642
; %bb.637:                              ;   in Loop: Header=BB266_16 Depth=1
	s_mov_b32 s2, s16
	v_and_b32_e32 v1, 0xffff, v1
	v_dual_mov_b32 v73, s3 :: v_dual_mov_b32 v72, s2
	s_mov_b32 s2, exec_lo
	s_delay_alu instid0(VALU_DEP_2) | instskip(NEXT) | instid1(VALU_DEP_1)
	v_and_b32_e32 v2, 0x7f, v1
	v_cmpx_ne_u32_e32 0x7f, v2
	s_cbranch_execz .LBB266_641
; %bb.638:                              ;   in Loop: Header=BB266_16 Depth=1
	v_and_b32_e32 v28, 7, v1
	v_lshrrev_b32_e32 v1, 3, v2
	s_mov_b32 s25, exec_lo
	v_cmpx_gt_u32_e32 8, v2
; %bb.639:                              ;   in Loop: Header=BB266_16 Depth=1
	s_delay_alu instid0(VALU_DEP_3) | instskip(NEXT) | instid1(VALU_DEP_1)
	v_clz_i32_u32_e32 v1, v28
	v_min_u32_e32 v1, 32, v1
	s_delay_alu instid0(VALU_DEP_1) | instskip(SKIP_1) | instid1(VALU_DEP_2)
	v_subrev_nc_u32_e32 v2, 28, v1
	v_sub_nc_u32_e32 v1, 29, v1
	v_lshlrev_b64 v[2:3], v2, v[28:29]
	s_delay_alu instid0(VALU_DEP_1)
	v_and_b32_e32 v28, 7, v2
; %bb.640:                              ;   in Loop: Header=BB266_16 Depth=1
	s_or_b32 exec_lo, exec_lo, s25
	v_lshlrev_b32_e32 v2, 16, v0
	s_delay_alu instid0(VALU_DEP_2) | instskip(SKIP_1) | instid1(VALU_DEP_3)
	v_dual_mov_b32 v72, v29 :: v_dual_lshlrev_b32 v3, 20, v28
	v_lshl_add_u32 v1, v1, 23, 0x3c000000
	v_and_b32_e32 v2, 0x80000000, v2
	s_delay_alu instid0(VALU_DEP_1)
	v_or3_b32 v73, v3, v2, v1
.LBB266_641:                            ;   in Loop: Header=BB266_16 Depth=1
	s_or_b32 exec_lo, exec_lo, s2
.LBB266_642:                            ;   in Loop: Header=BB266_16 Depth=1
	s_delay_alu instid0(SALU_CYCLE_1)
	s_or_b32 exec_lo, exec_lo, s24
.LBB266_643:                            ;   in Loop: Header=BB266_16 Depth=1
	s_delay_alu instid0(SALU_CYCLE_1) | instskip(SKIP_4) | instid1(VALU_DEP_1)
	s_or_b32 exec_lo, exec_lo, s23
	v_mov_b32_e32 v76, 0
	v_lshrrev_b32_e32 v1, 16, v0
	v_mov_b32_e32 v77, 0
	s_mov_b32 s2, exec_lo
	v_dual_mov_b32 v79, v77 :: v_dual_and_b32 v2, 0xff, v1
	v_mov_b32_e32 v78, v76
	s_delay_alu instid0(VALU_DEP_2)
	v_cmpx_ne_u16_e32 0, v2
	s_cbranch_execz .LBB266_651
; %bb.644:                              ;   in Loop: Header=BB266_16 Depth=1
	v_bfrev_b32_e32 v78, 1
	v_mov_b32_e32 v79, 0
	s_mov_b32 s23, exec_lo
	v_cmpx_ne_u16_e32 0x80, v2
	s_cbranch_execz .LBB266_650
; %bb.645:                              ;   in Loop: Header=BB266_16 Depth=1
	v_mov_b32_e32 v78, 0x7f800001
	v_bfe_u32 v3, v0, 16, 7
	v_mov_b32_e32 v79, 0
	s_mov_b32 s24, exec_lo
	s_delay_alu instid0(VALU_DEP_2)
	v_cmpx_ne_u32_e32 0x7f, v3
	s_cbranch_execz .LBB266_649
; %bb.646:                              ;   in Loop: Header=BB266_16 Depth=1
	v_and_b32_e32 v28, 7, v1
	v_lshrrev_b32_e32 v2, 3, v3
	s_mov_b32 s25, exec_lo
	v_cmpx_gt_u32_e32 8, v3
; %bb.647:                              ;   in Loop: Header=BB266_16 Depth=1
	s_delay_alu instid0(VALU_DEP_3) | instskip(NEXT) | instid1(VALU_DEP_1)
	v_clz_i32_u32_e32 v2, v28
	v_min_u32_e32 v2, 32, v2
	s_delay_alu instid0(VALU_DEP_1) | instskip(SKIP_1) | instid1(VALU_DEP_2)
	v_subrev_nc_u32_e32 v3, 28, v2
	v_sub_nc_u32_e32 v2, 29, v2
	v_lshlrev_b64 v[3:4], v3, v[28:29]
	s_delay_alu instid0(VALU_DEP_1)
	v_and_b32_e32 v28, 7, v3
; %bb.648:                              ;   in Loop: Header=BB266_16 Depth=1
	s_or_b32 exec_lo, exec_lo, s25
	v_lshlrev_b32_e32 v1, 24, v1
	s_delay_alu instid0(VALU_DEP_2) | instskip(SKIP_1) | instid1(VALU_DEP_3)
	v_lshlrev_b32_e32 v3, 20, v28
	v_lshl_add_u32 v2, v2, 23, 0x3c000000
	v_and_b32_e32 v1, 0x80000000, v1
	s_delay_alu instid0(VALU_DEP_1) | instskip(NEXT) | instid1(VALU_DEP_1)
	v_or3_b32 v28, v3, v1, v2
	v_dual_mov_b32 v79, v29 :: v_dual_mov_b32 v78, v28
.LBB266_649:                            ;   in Loop: Header=BB266_16 Depth=1
	s_or_b32 exec_lo, exec_lo, s24
.LBB266_650:                            ;   in Loop: Header=BB266_16 Depth=1
	s_delay_alu instid0(SALU_CYCLE_1)
	s_or_b32 exec_lo, exec_lo, s23
.LBB266_651:                            ;   in Loop: Header=BB266_16 Depth=1
	s_delay_alu instid0(SALU_CYCLE_1) | instskip(NEXT) | instid1(SALU_CYCLE_1)
	s_or_b32 exec_lo, exec_lo, s2
	s_mov_b32 s23, exec_lo
	v_cmpx_lt_u32_e32 0xffffff, v0
	s_cbranch_execz .LBB266_659
; %bb.652:                              ;   in Loop: Header=BB266_16 Depth=1
	v_lshrrev_b32_e32 v1, 24, v0
	v_dual_mov_b32 v77, s17 :: v_dual_mov_b32 v76, s16
	s_mov_b32 s24, exec_lo
	s_delay_alu instid0(VALU_DEP_2)
	v_cmpx_ne_u32_e32 0x80, v1
	s_cbranch_execz .LBB266_658
; %bb.653:                              ;   in Loop: Header=BB266_16 Depth=1
	s_mov_b32 s2, s16
	v_bfe_u32 v2, v0, 24, 7
	v_dual_mov_b32 v77, s3 :: v_dual_mov_b32 v76, s2
	s_mov_b32 s2, exec_lo
	s_delay_alu instid0(VALU_DEP_2)
	v_cmpx_ne_u32_e32 0x7f, v2
	s_cbranch_execz .LBB266_657
; %bb.654:                              ;   in Loop: Header=BB266_16 Depth=1
	v_and_b32_e32 v28, 7, v1
	v_lshrrev_b32_e32 v0, 3, v2
	s_mov_b32 s25, exec_lo
	v_cmpx_gt_u32_e32 8, v2
; %bb.655:                              ;   in Loop: Header=BB266_16 Depth=1
	s_delay_alu instid0(VALU_DEP_3) | instskip(NEXT) | instid1(VALU_DEP_1)
	v_clz_i32_u32_e32 v0, v28
	v_min_u32_e32 v0, 32, v0
	s_delay_alu instid0(VALU_DEP_1) | instskip(SKIP_1) | instid1(VALU_DEP_2)
	v_subrev_nc_u32_e32 v2, 28, v0
	v_sub_nc_u32_e32 v0, 29, v0
	v_lshlrev_b64 v[2:3], v2, v[28:29]
	s_delay_alu instid0(VALU_DEP_1)
	v_and_b32_e32 v28, 7, v2
; %bb.656:                              ;   in Loop: Header=BB266_16 Depth=1
	s_or_b32 exec_lo, exec_lo, s25
	v_dual_mov_b32 v76, v29 :: v_dual_lshlrev_b32 v1, 24, v1
	s_delay_alu instid0(VALU_DEP_2) | instskip(SKIP_1) | instid1(VALU_DEP_3)
	v_lshlrev_b32_e32 v2, 20, v28
	v_lshl_add_u32 v0, v0, 23, 0x3c000000
	v_and_b32_e32 v1, 0x80000000, v1
	s_delay_alu instid0(VALU_DEP_1)
	v_or3_b32 v77, v2, v1, v0
.LBB266_657:                            ;   in Loop: Header=BB266_16 Depth=1
	s_or_b32 exec_lo, exec_lo, s2
.LBB266_658:                            ;   in Loop: Header=BB266_16 Depth=1
	s_delay_alu instid0(SALU_CYCLE_1)
	s_or_b32 exec_lo, exec_lo, s24
.LBB266_659:                            ;   in Loop: Header=BB266_16 Depth=1
	s_delay_alu instid0(SALU_CYCLE_1) | instskip(SKIP_4) | instid1(VALU_DEP_1)
	s_or_b32 exec_lo, exec_lo, s23
	flat_load_b32 v0, v[168:169] offset:2560
	v_mov_b32_e32 v88, 0
	v_mov_b32_e32 v89, 0
	s_mov_b32 s2, exec_lo
	v_dual_mov_b32 v91, v89 :: v_dual_mov_b32 v90, v88
	s_waitcnt vmcnt(0) lgkmcnt(0)
	v_and_b32_e32 v1, 0xff, v0
	s_delay_alu instid0(VALU_DEP_1)
	v_cmpx_ne_u16_e32 0, v1
	s_cbranch_execz .LBB266_667
; %bb.660:                              ;   in Loop: Header=BB266_16 Depth=1
	v_bfrev_b32_e32 v90, 1
	v_mov_b32_e32 v91, 0
	s_mov_b32 s23, exec_lo
	v_cmpx_ne_u16_e32 0x80, v1
	s_cbranch_execz .LBB266_666
; %bb.661:                              ;   in Loop: Header=BB266_16 Depth=1
	v_mov_b32_e32 v90, 0x7f800001
	v_dual_mov_b32 v91, 0 :: v_dual_and_b32 v2, 0x7f, v0
	s_mov_b32 s24, exec_lo
	s_delay_alu instid0(VALU_DEP_1)
	v_cmpx_ne_u32_e32 0x7f, v2
	s_cbranch_execz .LBB266_665
; %bb.662:                              ;   in Loop: Header=BB266_16 Depth=1
	v_and_b32_e32 v28, 7, v0
	v_lshrrev_b32_e32 v1, 3, v2
	s_mov_b32 s25, exec_lo
	v_cmpx_gt_u32_e32 8, v2
; %bb.663:                              ;   in Loop: Header=BB266_16 Depth=1
	s_delay_alu instid0(VALU_DEP_3) | instskip(NEXT) | instid1(VALU_DEP_1)
	v_clz_i32_u32_e32 v1, v28
	v_min_u32_e32 v1, 32, v1
	s_delay_alu instid0(VALU_DEP_1) | instskip(SKIP_1) | instid1(VALU_DEP_2)
	v_subrev_nc_u32_e32 v2, 28, v1
	v_sub_nc_u32_e32 v1, 29, v1
	v_lshlrev_b64 v[2:3], v2, v[28:29]
	s_delay_alu instid0(VALU_DEP_1)
	v_and_b32_e32 v28, 7, v2
; %bb.664:                              ;   in Loop: Header=BB266_16 Depth=1
	s_or_b32 exec_lo, exec_lo, s25
	v_lshlrev_b32_e32 v2, 24, v0
	s_delay_alu instid0(VALU_DEP_2) | instskip(SKIP_1) | instid1(VALU_DEP_3)
	v_lshlrev_b32_e32 v3, 20, v28
	v_lshl_add_u32 v1, v1, 23, 0x3c000000
	v_and_b32_e32 v2, 0x80000000, v2
	s_delay_alu instid0(VALU_DEP_1) | instskip(NEXT) | instid1(VALU_DEP_1)
	v_or3_b32 v28, v3, v2, v1
	v_dual_mov_b32 v91, v29 :: v_dual_mov_b32 v90, v28
.LBB266_665:                            ;   in Loop: Header=BB266_16 Depth=1
	s_or_b32 exec_lo, exec_lo, s24
.LBB266_666:                            ;   in Loop: Header=BB266_16 Depth=1
	s_delay_alu instid0(SALU_CYCLE_1)
	s_or_b32 exec_lo, exec_lo, s23
.LBB266_667:                            ;   in Loop: Header=BB266_16 Depth=1
	s_delay_alu instid0(SALU_CYCLE_1) | instskip(SKIP_2) | instid1(VALU_DEP_1)
	s_or_b32 exec_lo, exec_lo, s2
	v_lshrrev_b16 v1, 8, v0
	s_mov_b32 s23, exec_lo
	v_cmpx_ne_u16_e32 0, v1
	s_cbranch_execz .LBB266_675
; %bb.668:                              ;   in Loop: Header=BB266_16 Depth=1
	v_dual_mov_b32 v89, s17 :: v_dual_mov_b32 v88, s16
	s_mov_b32 s24, exec_lo
	v_cmpx_ne_u16_e32 0x80, v1
	s_cbranch_execz .LBB266_674
; %bb.669:                              ;   in Loop: Header=BB266_16 Depth=1
	s_mov_b32 s2, s16
	v_and_b32_e32 v1, 0xffff, v1
	v_dual_mov_b32 v89, s3 :: v_dual_mov_b32 v88, s2
	s_mov_b32 s2, exec_lo
	s_delay_alu instid0(VALU_DEP_2) | instskip(NEXT) | instid1(VALU_DEP_1)
	v_and_b32_e32 v2, 0x7f, v1
	v_cmpx_ne_u32_e32 0x7f, v2
	s_cbranch_execz .LBB266_673
; %bb.670:                              ;   in Loop: Header=BB266_16 Depth=1
	v_and_b32_e32 v28, 7, v1
	v_lshrrev_b32_e32 v1, 3, v2
	s_mov_b32 s25, exec_lo
	v_cmpx_gt_u32_e32 8, v2
; %bb.671:                              ;   in Loop: Header=BB266_16 Depth=1
	s_delay_alu instid0(VALU_DEP_3) | instskip(NEXT) | instid1(VALU_DEP_1)
	v_clz_i32_u32_e32 v1, v28
	v_min_u32_e32 v1, 32, v1
	s_delay_alu instid0(VALU_DEP_1) | instskip(SKIP_1) | instid1(VALU_DEP_2)
	v_subrev_nc_u32_e32 v2, 28, v1
	v_sub_nc_u32_e32 v1, 29, v1
	v_lshlrev_b64 v[2:3], v2, v[28:29]
	s_delay_alu instid0(VALU_DEP_1)
	v_and_b32_e32 v28, 7, v2
; %bb.672:                              ;   in Loop: Header=BB266_16 Depth=1
	s_or_b32 exec_lo, exec_lo, s25
	v_lshlrev_b32_e32 v2, 16, v0
	s_delay_alu instid0(VALU_DEP_2) | instskip(SKIP_1) | instid1(VALU_DEP_3)
	v_dual_mov_b32 v88, v29 :: v_dual_lshlrev_b32 v3, 20, v28
	v_lshl_add_u32 v1, v1, 23, 0x3c000000
	v_and_b32_e32 v2, 0x80000000, v2
	s_delay_alu instid0(VALU_DEP_1)
	v_or3_b32 v89, v3, v2, v1
.LBB266_673:                            ;   in Loop: Header=BB266_16 Depth=1
	s_or_b32 exec_lo, exec_lo, s2
.LBB266_674:                            ;   in Loop: Header=BB266_16 Depth=1
	s_delay_alu instid0(SALU_CYCLE_1)
	s_or_b32 exec_lo, exec_lo, s24
.LBB266_675:                            ;   in Loop: Header=BB266_16 Depth=1
	s_delay_alu instid0(SALU_CYCLE_1) | instskip(SKIP_4) | instid1(VALU_DEP_1)
	s_or_b32 exec_lo, exec_lo, s23
	v_mov_b32_e32 v92, 0
	v_lshrrev_b32_e32 v1, 16, v0
	v_mov_b32_e32 v93, 0
	s_mov_b32 s2, exec_lo
	v_dual_mov_b32 v95, v93 :: v_dual_and_b32 v2, 0xff, v1
	v_mov_b32_e32 v94, v92
	s_delay_alu instid0(VALU_DEP_2)
	v_cmpx_ne_u16_e32 0, v2
	s_cbranch_execz .LBB266_683
; %bb.676:                              ;   in Loop: Header=BB266_16 Depth=1
	v_bfrev_b32_e32 v94, 1
	v_mov_b32_e32 v95, 0
	s_mov_b32 s23, exec_lo
	v_cmpx_ne_u16_e32 0x80, v2
	s_cbranch_execz .LBB266_682
; %bb.677:                              ;   in Loop: Header=BB266_16 Depth=1
	v_mov_b32_e32 v94, 0x7f800001
	v_bfe_u32 v3, v0, 16, 7
	v_mov_b32_e32 v95, 0
	s_mov_b32 s24, exec_lo
	s_delay_alu instid0(VALU_DEP_2)
	v_cmpx_ne_u32_e32 0x7f, v3
	s_cbranch_execz .LBB266_681
; %bb.678:                              ;   in Loop: Header=BB266_16 Depth=1
	v_and_b32_e32 v28, 7, v1
	v_lshrrev_b32_e32 v2, 3, v3
	s_mov_b32 s25, exec_lo
	v_cmpx_gt_u32_e32 8, v3
; %bb.679:                              ;   in Loop: Header=BB266_16 Depth=1
	s_delay_alu instid0(VALU_DEP_3) | instskip(NEXT) | instid1(VALU_DEP_1)
	v_clz_i32_u32_e32 v2, v28
	v_min_u32_e32 v2, 32, v2
	s_delay_alu instid0(VALU_DEP_1) | instskip(SKIP_1) | instid1(VALU_DEP_2)
	v_subrev_nc_u32_e32 v3, 28, v2
	v_sub_nc_u32_e32 v2, 29, v2
	v_lshlrev_b64 v[3:4], v3, v[28:29]
	s_delay_alu instid0(VALU_DEP_1)
	v_and_b32_e32 v28, 7, v3
; %bb.680:                              ;   in Loop: Header=BB266_16 Depth=1
	s_or_b32 exec_lo, exec_lo, s25
	v_lshlrev_b32_e32 v1, 24, v1
	s_delay_alu instid0(VALU_DEP_2) | instskip(SKIP_1) | instid1(VALU_DEP_3)
	v_lshlrev_b32_e32 v3, 20, v28
	v_lshl_add_u32 v2, v2, 23, 0x3c000000
	v_and_b32_e32 v1, 0x80000000, v1
	s_delay_alu instid0(VALU_DEP_1) | instskip(NEXT) | instid1(VALU_DEP_1)
	v_or3_b32 v28, v3, v1, v2
	v_dual_mov_b32 v95, v29 :: v_dual_mov_b32 v94, v28
.LBB266_681:                            ;   in Loop: Header=BB266_16 Depth=1
	s_or_b32 exec_lo, exec_lo, s24
.LBB266_682:                            ;   in Loop: Header=BB266_16 Depth=1
	s_delay_alu instid0(SALU_CYCLE_1)
	s_or_b32 exec_lo, exec_lo, s23
.LBB266_683:                            ;   in Loop: Header=BB266_16 Depth=1
	s_delay_alu instid0(SALU_CYCLE_1) | instskip(NEXT) | instid1(SALU_CYCLE_1)
	s_or_b32 exec_lo, exec_lo, s2
	s_mov_b32 s23, exec_lo
	v_cmpx_lt_u32_e32 0xffffff, v0
	s_cbranch_execz .LBB266_691
; %bb.684:                              ;   in Loop: Header=BB266_16 Depth=1
	v_lshrrev_b32_e32 v1, 24, v0
	v_dual_mov_b32 v93, s17 :: v_dual_mov_b32 v92, s16
	s_mov_b32 s24, exec_lo
	s_delay_alu instid0(VALU_DEP_2)
	v_cmpx_ne_u32_e32 0x80, v1
	s_cbranch_execz .LBB266_690
; %bb.685:                              ;   in Loop: Header=BB266_16 Depth=1
	s_mov_b32 s2, s16
	v_bfe_u32 v2, v0, 24, 7
	v_dual_mov_b32 v93, s3 :: v_dual_mov_b32 v92, s2
	s_mov_b32 s2, exec_lo
	s_delay_alu instid0(VALU_DEP_2)
	v_cmpx_ne_u32_e32 0x7f, v2
	s_cbranch_execz .LBB266_689
; %bb.686:                              ;   in Loop: Header=BB266_16 Depth=1
	v_and_b32_e32 v28, 7, v1
	v_lshrrev_b32_e32 v0, 3, v2
	s_mov_b32 s25, exec_lo
	v_cmpx_gt_u32_e32 8, v2
; %bb.687:                              ;   in Loop: Header=BB266_16 Depth=1
	s_delay_alu instid0(VALU_DEP_3) | instskip(NEXT) | instid1(VALU_DEP_1)
	v_clz_i32_u32_e32 v0, v28
	v_min_u32_e32 v0, 32, v0
	s_delay_alu instid0(VALU_DEP_1) | instskip(SKIP_1) | instid1(VALU_DEP_2)
	v_subrev_nc_u32_e32 v2, 28, v0
	v_sub_nc_u32_e32 v0, 29, v0
	v_lshlrev_b64 v[2:3], v2, v[28:29]
	s_delay_alu instid0(VALU_DEP_1)
	v_and_b32_e32 v28, 7, v2
; %bb.688:                              ;   in Loop: Header=BB266_16 Depth=1
	s_or_b32 exec_lo, exec_lo, s25
	v_dual_mov_b32 v92, v29 :: v_dual_lshlrev_b32 v1, 24, v1
	s_delay_alu instid0(VALU_DEP_2) | instskip(SKIP_1) | instid1(VALU_DEP_3)
	v_lshlrev_b32_e32 v2, 20, v28
	v_lshl_add_u32 v0, v0, 23, 0x3c000000
	v_and_b32_e32 v1, 0x80000000, v1
	s_delay_alu instid0(VALU_DEP_1)
	v_or3_b32 v93, v2, v1, v0
.LBB266_689:                            ;   in Loop: Header=BB266_16 Depth=1
	s_or_b32 exec_lo, exec_lo, s2
.LBB266_690:                            ;   in Loop: Header=BB266_16 Depth=1
	s_delay_alu instid0(SALU_CYCLE_1)
	s_or_b32 exec_lo, exec_lo, s24
.LBB266_691:                            ;   in Loop: Header=BB266_16 Depth=1
	s_delay_alu instid0(SALU_CYCLE_1) | instskip(SKIP_4) | instid1(VALU_DEP_1)
	s_or_b32 exec_lo, exec_lo, s23
	flat_load_b32 v0, v[168:169] offset:2564
	v_mov_b32_e32 v104, 0
	v_mov_b32_e32 v105, 0
	s_mov_b32 s2, exec_lo
	v_dual_mov_b32 v107, v105 :: v_dual_mov_b32 v106, v104
	s_waitcnt vmcnt(0) lgkmcnt(0)
	v_and_b32_e32 v1, 0xff, v0
	s_delay_alu instid0(VALU_DEP_1)
	v_cmpx_ne_u16_e32 0, v1
	s_cbranch_execz .LBB266_699
; %bb.692:                              ;   in Loop: Header=BB266_16 Depth=1
	v_bfrev_b32_e32 v106, 1
	v_mov_b32_e32 v107, 0
	s_mov_b32 s23, exec_lo
	v_cmpx_ne_u16_e32 0x80, v1
	s_cbranch_execz .LBB266_698
; %bb.693:                              ;   in Loop: Header=BB266_16 Depth=1
	v_mov_b32_e32 v106, 0x7f800001
	v_dual_mov_b32 v107, 0 :: v_dual_and_b32 v2, 0x7f, v0
	s_mov_b32 s24, exec_lo
	s_delay_alu instid0(VALU_DEP_1)
	v_cmpx_ne_u32_e32 0x7f, v2
	s_cbranch_execz .LBB266_697
; %bb.694:                              ;   in Loop: Header=BB266_16 Depth=1
	v_and_b32_e32 v28, 7, v0
	v_lshrrev_b32_e32 v1, 3, v2
	s_mov_b32 s25, exec_lo
	v_cmpx_gt_u32_e32 8, v2
; %bb.695:                              ;   in Loop: Header=BB266_16 Depth=1
	s_delay_alu instid0(VALU_DEP_3) | instskip(NEXT) | instid1(VALU_DEP_1)
	v_clz_i32_u32_e32 v1, v28
	v_min_u32_e32 v1, 32, v1
	s_delay_alu instid0(VALU_DEP_1) | instskip(SKIP_1) | instid1(VALU_DEP_2)
	v_subrev_nc_u32_e32 v2, 28, v1
	v_sub_nc_u32_e32 v1, 29, v1
	v_lshlrev_b64 v[2:3], v2, v[28:29]
	s_delay_alu instid0(VALU_DEP_1)
	v_and_b32_e32 v28, 7, v2
; %bb.696:                              ;   in Loop: Header=BB266_16 Depth=1
	s_or_b32 exec_lo, exec_lo, s25
	v_lshlrev_b32_e32 v2, 24, v0
	s_delay_alu instid0(VALU_DEP_2) | instskip(SKIP_1) | instid1(VALU_DEP_3)
	v_lshlrev_b32_e32 v3, 20, v28
	v_lshl_add_u32 v1, v1, 23, 0x3c000000
	v_and_b32_e32 v2, 0x80000000, v2
	s_delay_alu instid0(VALU_DEP_1) | instskip(NEXT) | instid1(VALU_DEP_1)
	v_or3_b32 v28, v3, v2, v1
	v_dual_mov_b32 v107, v29 :: v_dual_mov_b32 v106, v28
.LBB266_697:                            ;   in Loop: Header=BB266_16 Depth=1
	s_or_b32 exec_lo, exec_lo, s24
.LBB266_698:                            ;   in Loop: Header=BB266_16 Depth=1
	s_delay_alu instid0(SALU_CYCLE_1)
	s_or_b32 exec_lo, exec_lo, s23
.LBB266_699:                            ;   in Loop: Header=BB266_16 Depth=1
	s_delay_alu instid0(SALU_CYCLE_1) | instskip(SKIP_2) | instid1(VALU_DEP_1)
	s_or_b32 exec_lo, exec_lo, s2
	v_lshrrev_b16 v1, 8, v0
	s_mov_b32 s23, exec_lo
	v_cmpx_ne_u16_e32 0, v1
	s_cbranch_execz .LBB266_707
; %bb.700:                              ;   in Loop: Header=BB266_16 Depth=1
	v_dual_mov_b32 v105, s17 :: v_dual_mov_b32 v104, s16
	s_mov_b32 s24, exec_lo
	v_cmpx_ne_u16_e32 0x80, v1
	s_cbranch_execz .LBB266_706
; %bb.701:                              ;   in Loop: Header=BB266_16 Depth=1
	s_mov_b32 s2, s16
	v_and_b32_e32 v1, 0xffff, v1
	v_dual_mov_b32 v105, s3 :: v_dual_mov_b32 v104, s2
	s_mov_b32 s2, exec_lo
	s_delay_alu instid0(VALU_DEP_2) | instskip(NEXT) | instid1(VALU_DEP_1)
	v_and_b32_e32 v2, 0x7f, v1
	v_cmpx_ne_u32_e32 0x7f, v2
	s_cbranch_execz .LBB266_705
; %bb.702:                              ;   in Loop: Header=BB266_16 Depth=1
	v_and_b32_e32 v28, 7, v1
	v_lshrrev_b32_e32 v1, 3, v2
	s_mov_b32 s25, exec_lo
	v_cmpx_gt_u32_e32 8, v2
; %bb.703:                              ;   in Loop: Header=BB266_16 Depth=1
	s_delay_alu instid0(VALU_DEP_3) | instskip(NEXT) | instid1(VALU_DEP_1)
	v_clz_i32_u32_e32 v1, v28
	v_min_u32_e32 v1, 32, v1
	s_delay_alu instid0(VALU_DEP_1) | instskip(SKIP_1) | instid1(VALU_DEP_2)
	v_subrev_nc_u32_e32 v2, 28, v1
	v_sub_nc_u32_e32 v1, 29, v1
	v_lshlrev_b64 v[2:3], v2, v[28:29]
	s_delay_alu instid0(VALU_DEP_1)
	v_and_b32_e32 v28, 7, v2
; %bb.704:                              ;   in Loop: Header=BB266_16 Depth=1
	s_or_b32 exec_lo, exec_lo, s25
	v_lshlrev_b32_e32 v2, 16, v0
	s_delay_alu instid0(VALU_DEP_2) | instskip(SKIP_1) | instid1(VALU_DEP_3)
	v_dual_mov_b32 v104, v29 :: v_dual_lshlrev_b32 v3, 20, v28
	v_lshl_add_u32 v1, v1, 23, 0x3c000000
	v_and_b32_e32 v2, 0x80000000, v2
	s_delay_alu instid0(VALU_DEP_1)
	v_or3_b32 v105, v3, v2, v1
.LBB266_705:                            ;   in Loop: Header=BB266_16 Depth=1
	s_or_b32 exec_lo, exec_lo, s2
.LBB266_706:                            ;   in Loop: Header=BB266_16 Depth=1
	s_delay_alu instid0(SALU_CYCLE_1)
	s_or_b32 exec_lo, exec_lo, s24
.LBB266_707:                            ;   in Loop: Header=BB266_16 Depth=1
	s_delay_alu instid0(SALU_CYCLE_1) | instskip(SKIP_4) | instid1(VALU_DEP_1)
	s_or_b32 exec_lo, exec_lo, s23
	v_mov_b32_e32 v108, 0
	v_lshrrev_b32_e32 v1, 16, v0
	v_mov_b32_e32 v109, 0
	s_mov_b32 s2, exec_lo
	v_dual_mov_b32 v111, v109 :: v_dual_and_b32 v2, 0xff, v1
	v_mov_b32_e32 v110, v108
	s_delay_alu instid0(VALU_DEP_2)
	v_cmpx_ne_u16_e32 0, v2
	s_cbranch_execz .LBB266_715
; %bb.708:                              ;   in Loop: Header=BB266_16 Depth=1
	v_bfrev_b32_e32 v110, 1
	v_mov_b32_e32 v111, 0
	s_mov_b32 s23, exec_lo
	v_cmpx_ne_u16_e32 0x80, v2
	s_cbranch_execz .LBB266_714
; %bb.709:                              ;   in Loop: Header=BB266_16 Depth=1
	v_mov_b32_e32 v110, 0x7f800001
	v_bfe_u32 v3, v0, 16, 7
	v_mov_b32_e32 v111, 0
	s_mov_b32 s24, exec_lo
	s_delay_alu instid0(VALU_DEP_2)
	v_cmpx_ne_u32_e32 0x7f, v3
	s_cbranch_execz .LBB266_713
; %bb.710:                              ;   in Loop: Header=BB266_16 Depth=1
	v_and_b32_e32 v28, 7, v1
	v_lshrrev_b32_e32 v2, 3, v3
	s_mov_b32 s25, exec_lo
	v_cmpx_gt_u32_e32 8, v3
; %bb.711:                              ;   in Loop: Header=BB266_16 Depth=1
	s_delay_alu instid0(VALU_DEP_3) | instskip(NEXT) | instid1(VALU_DEP_1)
	v_clz_i32_u32_e32 v2, v28
	v_min_u32_e32 v2, 32, v2
	s_delay_alu instid0(VALU_DEP_1) | instskip(SKIP_1) | instid1(VALU_DEP_2)
	v_subrev_nc_u32_e32 v3, 28, v2
	v_sub_nc_u32_e32 v2, 29, v2
	v_lshlrev_b64 v[3:4], v3, v[28:29]
	s_delay_alu instid0(VALU_DEP_1)
	v_and_b32_e32 v28, 7, v3
; %bb.712:                              ;   in Loop: Header=BB266_16 Depth=1
	s_or_b32 exec_lo, exec_lo, s25
	v_lshlrev_b32_e32 v1, 24, v1
	s_delay_alu instid0(VALU_DEP_2) | instskip(SKIP_1) | instid1(VALU_DEP_3)
	v_lshlrev_b32_e32 v3, 20, v28
	v_lshl_add_u32 v2, v2, 23, 0x3c000000
	v_and_b32_e32 v1, 0x80000000, v1
	s_delay_alu instid0(VALU_DEP_1) | instskip(NEXT) | instid1(VALU_DEP_1)
	v_or3_b32 v28, v3, v1, v2
	v_dual_mov_b32 v111, v29 :: v_dual_mov_b32 v110, v28
.LBB266_713:                            ;   in Loop: Header=BB266_16 Depth=1
	s_or_b32 exec_lo, exec_lo, s24
.LBB266_714:                            ;   in Loop: Header=BB266_16 Depth=1
	s_delay_alu instid0(SALU_CYCLE_1)
	s_or_b32 exec_lo, exec_lo, s23
.LBB266_715:                            ;   in Loop: Header=BB266_16 Depth=1
	s_delay_alu instid0(SALU_CYCLE_1) | instskip(NEXT) | instid1(SALU_CYCLE_1)
	s_or_b32 exec_lo, exec_lo, s2
	s_mov_b32 s23, exec_lo
	v_cmpx_lt_u32_e32 0xffffff, v0
	s_cbranch_execz .LBB266_723
; %bb.716:                              ;   in Loop: Header=BB266_16 Depth=1
	v_lshrrev_b32_e32 v1, 24, v0
	v_dual_mov_b32 v109, s17 :: v_dual_mov_b32 v108, s16
	s_mov_b32 s24, exec_lo
	s_delay_alu instid0(VALU_DEP_2)
	v_cmpx_ne_u32_e32 0x80, v1
	s_cbranch_execz .LBB266_722
; %bb.717:                              ;   in Loop: Header=BB266_16 Depth=1
	s_mov_b32 s2, s16
	v_bfe_u32 v2, v0, 24, 7
	v_dual_mov_b32 v109, s3 :: v_dual_mov_b32 v108, s2
	s_mov_b32 s2, exec_lo
	s_delay_alu instid0(VALU_DEP_2)
	v_cmpx_ne_u32_e32 0x7f, v2
	s_cbranch_execz .LBB266_721
; %bb.718:                              ;   in Loop: Header=BB266_16 Depth=1
	v_and_b32_e32 v28, 7, v1
	v_lshrrev_b32_e32 v0, 3, v2
	s_mov_b32 s25, exec_lo
	v_cmpx_gt_u32_e32 8, v2
; %bb.719:                              ;   in Loop: Header=BB266_16 Depth=1
	s_delay_alu instid0(VALU_DEP_3) | instskip(NEXT) | instid1(VALU_DEP_1)
	v_clz_i32_u32_e32 v0, v28
	v_min_u32_e32 v0, 32, v0
	s_delay_alu instid0(VALU_DEP_1) | instskip(SKIP_1) | instid1(VALU_DEP_2)
	v_subrev_nc_u32_e32 v2, 28, v0
	v_sub_nc_u32_e32 v0, 29, v0
	v_lshlrev_b64 v[2:3], v2, v[28:29]
	s_delay_alu instid0(VALU_DEP_1)
	v_and_b32_e32 v28, 7, v2
; %bb.720:                              ;   in Loop: Header=BB266_16 Depth=1
	s_or_b32 exec_lo, exec_lo, s25
	v_dual_mov_b32 v108, v29 :: v_dual_lshlrev_b32 v1, 24, v1
	s_delay_alu instid0(VALU_DEP_2) | instskip(SKIP_1) | instid1(VALU_DEP_3)
	v_lshlrev_b32_e32 v2, 20, v28
	v_lshl_add_u32 v0, v0, 23, 0x3c000000
	v_and_b32_e32 v1, 0x80000000, v1
	s_delay_alu instid0(VALU_DEP_1)
	v_or3_b32 v109, v2, v1, v0
.LBB266_721:                            ;   in Loop: Header=BB266_16 Depth=1
	s_or_b32 exec_lo, exec_lo, s2
.LBB266_722:                            ;   in Loop: Header=BB266_16 Depth=1
	s_delay_alu instid0(SALU_CYCLE_1)
	s_or_b32 exec_lo, exec_lo, s24
.LBB266_723:                            ;   in Loop: Header=BB266_16 Depth=1
	s_delay_alu instid0(SALU_CYCLE_1) | instskip(SKIP_3) | instid1(VALU_DEP_2)
	s_or_b32 exec_lo, exec_lo, s23
	flat_load_b32 v0, v[168:169] offset:2568
	v_mov_b32_e32 v136, 0
	v_mov_b32_e32 v137, 0
	;; [unrolled: 1-line block ×3, first 2 shown]
	s_mov_b32 s2, exec_lo
	s_waitcnt vmcnt(0) lgkmcnt(0)
	s_delay_alu instid0(VALU_DEP_2) | instskip(NEXT) | instid1(VALU_DEP_1)
	v_dual_mov_b32 v24, v137 :: v_dual_and_b32 v1, 0xff, v0
	v_cmpx_ne_u16_e32 0, v1
	s_cbranch_execz .LBB266_731
; %bb.724:                              ;   in Loop: Header=BB266_16 Depth=1
	v_bfrev_b32_e32 v23, 1
	v_mov_b32_e32 v24, 0
	s_mov_b32 s23, exec_lo
	v_cmpx_ne_u16_e32 0x80, v1
	s_cbranch_execz .LBB266_730
; %bb.725:                              ;   in Loop: Header=BB266_16 Depth=1
	v_mov_b32_e32 v23, 0x7f800001
	v_and_b32_e32 v2, 0x7f, v0
	v_mov_b32_e32 v24, 0
	s_mov_b32 s24, exec_lo
	s_delay_alu instid0(VALU_DEP_2)
	v_cmpx_ne_u32_e32 0x7f, v2
	s_cbranch_execz .LBB266_729
; %bb.726:                              ;   in Loop: Header=BB266_16 Depth=1
	v_and_b32_e32 v28, 7, v0
	v_lshrrev_b32_e32 v1, 3, v2
	s_mov_b32 s25, exec_lo
	v_cmpx_gt_u32_e32 8, v2
; %bb.727:                              ;   in Loop: Header=BB266_16 Depth=1
	s_delay_alu instid0(VALU_DEP_3) | instskip(NEXT) | instid1(VALU_DEP_1)
	v_clz_i32_u32_e32 v1, v28
	v_min_u32_e32 v1, 32, v1
	s_delay_alu instid0(VALU_DEP_1) | instskip(SKIP_1) | instid1(VALU_DEP_2)
	v_subrev_nc_u32_e32 v2, 28, v1
	v_sub_nc_u32_e32 v1, 29, v1
	v_lshlrev_b64 v[2:3], v2, v[28:29]
	s_delay_alu instid0(VALU_DEP_1)
	v_and_b32_e32 v28, 7, v2
; %bb.728:                              ;   in Loop: Header=BB266_16 Depth=1
	s_or_b32 exec_lo, exec_lo, s25
	v_lshlrev_b32_e32 v2, 24, v0
	s_delay_alu instid0(VALU_DEP_2) | instskip(SKIP_1) | instid1(VALU_DEP_3)
	v_lshlrev_b32_e32 v3, 20, v28
	v_lshl_add_u32 v1, v1, 23, 0x3c000000
	v_and_b32_e32 v2, 0x80000000, v2
	s_delay_alu instid0(VALU_DEP_1) | instskip(NEXT) | instid1(VALU_DEP_1)
	v_or3_b32 v28, v3, v2, v1
	v_dual_mov_b32 v23, v28 :: v_dual_mov_b32 v24, v29
.LBB266_729:                            ;   in Loop: Header=BB266_16 Depth=1
	s_or_b32 exec_lo, exec_lo, s24
.LBB266_730:                            ;   in Loop: Header=BB266_16 Depth=1
	s_delay_alu instid0(SALU_CYCLE_1)
	s_or_b32 exec_lo, exec_lo, s23
.LBB266_731:                            ;   in Loop: Header=BB266_16 Depth=1
	s_delay_alu instid0(SALU_CYCLE_1) | instskip(SKIP_2) | instid1(VALU_DEP_1)
	s_or_b32 exec_lo, exec_lo, s2
	v_lshrrev_b16 v1, 8, v0
	s_mov_b32 s23, exec_lo
	v_cmpx_ne_u16_e32 0, v1
	s_cbranch_execz .LBB266_739
; %bb.732:                              ;   in Loop: Header=BB266_16 Depth=1
	v_dual_mov_b32 v137, s17 :: v_dual_mov_b32 v136, s16
	s_mov_b32 s24, exec_lo
	v_cmpx_ne_u16_e32 0x80, v1
	s_cbranch_execz .LBB266_738
; %bb.733:                              ;   in Loop: Header=BB266_16 Depth=1
	s_mov_b32 s2, s16
	v_and_b32_e32 v1, 0xffff, v1
	v_dual_mov_b32 v137, s3 :: v_dual_mov_b32 v136, s2
	s_mov_b32 s2, exec_lo
	s_delay_alu instid0(VALU_DEP_2) | instskip(NEXT) | instid1(VALU_DEP_1)
	v_and_b32_e32 v2, 0x7f, v1
	v_cmpx_ne_u32_e32 0x7f, v2
	s_cbranch_execz .LBB266_737
; %bb.734:                              ;   in Loop: Header=BB266_16 Depth=1
	v_and_b32_e32 v28, 7, v1
	v_lshrrev_b32_e32 v1, 3, v2
	s_mov_b32 s25, exec_lo
	v_cmpx_gt_u32_e32 8, v2
; %bb.735:                              ;   in Loop: Header=BB266_16 Depth=1
	s_delay_alu instid0(VALU_DEP_3) | instskip(NEXT) | instid1(VALU_DEP_1)
	v_clz_i32_u32_e32 v1, v28
	v_min_u32_e32 v1, 32, v1
	s_delay_alu instid0(VALU_DEP_1) | instskip(SKIP_1) | instid1(VALU_DEP_2)
	v_subrev_nc_u32_e32 v2, 28, v1
	v_sub_nc_u32_e32 v1, 29, v1
	v_lshlrev_b64 v[2:3], v2, v[28:29]
	s_delay_alu instid0(VALU_DEP_1)
	v_and_b32_e32 v28, 7, v2
; %bb.736:                              ;   in Loop: Header=BB266_16 Depth=1
	s_or_b32 exec_lo, exec_lo, s25
	v_lshlrev_b32_e32 v2, 16, v0
	s_delay_alu instid0(VALU_DEP_2) | instskip(SKIP_1) | instid1(VALU_DEP_3)
	v_dual_mov_b32 v136, v29 :: v_dual_lshlrev_b32 v3, 20, v28
	v_lshl_add_u32 v1, v1, 23, 0x3c000000
	v_and_b32_e32 v2, 0x80000000, v2
	s_delay_alu instid0(VALU_DEP_1)
	v_or3_b32 v137, v3, v2, v1
.LBB266_737:                            ;   in Loop: Header=BB266_16 Depth=1
	s_or_b32 exec_lo, exec_lo, s2
.LBB266_738:                            ;   in Loop: Header=BB266_16 Depth=1
	s_delay_alu instid0(SALU_CYCLE_1)
	s_or_b32 exec_lo, exec_lo, s24
.LBB266_739:                            ;   in Loop: Header=BB266_16 Depth=1
	s_delay_alu instid0(SALU_CYCLE_1) | instskip(SKIP_4) | instid1(VALU_DEP_1)
	s_or_b32 exec_lo, exec_lo, s23
	v_mov_b32_e32 v142, 0
	v_lshrrev_b32_e32 v1, 16, v0
	v_mov_b32_e32 v143, 0
	s_mov_b32 s2, exec_lo
	v_dual_mov_b32 v155, v143 :: v_dual_and_b32 v2, 0xff, v1
	v_mov_b32_e32 v154, v142
	s_delay_alu instid0(VALU_DEP_2)
	v_cmpx_ne_u16_e32 0, v2
	s_cbranch_execz .LBB266_747
; %bb.740:                              ;   in Loop: Header=BB266_16 Depth=1
	v_bfrev_b32_e32 v154, 1
	v_mov_b32_e32 v155, 0
	s_mov_b32 s23, exec_lo
	v_cmpx_ne_u16_e32 0x80, v2
	s_cbranch_execz .LBB266_746
; %bb.741:                              ;   in Loop: Header=BB266_16 Depth=1
	v_mov_b32_e32 v154, 0x7f800001
	v_bfe_u32 v3, v0, 16, 7
	v_mov_b32_e32 v155, 0
	s_mov_b32 s24, exec_lo
	s_delay_alu instid0(VALU_DEP_2)
	v_cmpx_ne_u32_e32 0x7f, v3
	s_cbranch_execz .LBB266_745
; %bb.742:                              ;   in Loop: Header=BB266_16 Depth=1
	v_and_b32_e32 v28, 7, v1
	v_lshrrev_b32_e32 v2, 3, v3
	s_mov_b32 s25, exec_lo
	v_cmpx_gt_u32_e32 8, v3
; %bb.743:                              ;   in Loop: Header=BB266_16 Depth=1
	s_delay_alu instid0(VALU_DEP_3) | instskip(NEXT) | instid1(VALU_DEP_1)
	v_clz_i32_u32_e32 v2, v28
	v_min_u32_e32 v2, 32, v2
	s_delay_alu instid0(VALU_DEP_1) | instskip(SKIP_1) | instid1(VALU_DEP_2)
	v_subrev_nc_u32_e32 v3, 28, v2
	v_sub_nc_u32_e32 v2, 29, v2
	v_lshlrev_b64 v[3:4], v3, v[28:29]
	s_delay_alu instid0(VALU_DEP_1)
	v_and_b32_e32 v28, 7, v3
; %bb.744:                              ;   in Loop: Header=BB266_16 Depth=1
	s_or_b32 exec_lo, exec_lo, s25
	v_lshlrev_b32_e32 v1, 24, v1
	s_delay_alu instid0(VALU_DEP_2) | instskip(SKIP_1) | instid1(VALU_DEP_3)
	v_lshlrev_b32_e32 v3, 20, v28
	v_lshl_add_u32 v2, v2, 23, 0x3c000000
	v_and_b32_e32 v1, 0x80000000, v1
	s_delay_alu instid0(VALU_DEP_1) | instskip(NEXT) | instid1(VALU_DEP_1)
	v_or3_b32 v28, v3, v1, v2
	v_dual_mov_b32 v155, v29 :: v_dual_mov_b32 v154, v28
.LBB266_745:                            ;   in Loop: Header=BB266_16 Depth=1
	s_or_b32 exec_lo, exec_lo, s24
.LBB266_746:                            ;   in Loop: Header=BB266_16 Depth=1
	s_delay_alu instid0(SALU_CYCLE_1)
	s_or_b32 exec_lo, exec_lo, s23
.LBB266_747:                            ;   in Loop: Header=BB266_16 Depth=1
	s_delay_alu instid0(SALU_CYCLE_1) | instskip(NEXT) | instid1(SALU_CYCLE_1)
	s_or_b32 exec_lo, exec_lo, s2
	s_mov_b32 s23, exec_lo
	v_cmpx_lt_u32_e32 0xffffff, v0
	s_cbranch_execz .LBB266_755
; %bb.748:                              ;   in Loop: Header=BB266_16 Depth=1
	v_lshrrev_b32_e32 v1, 24, v0
	v_dual_mov_b32 v143, s17 :: v_dual_mov_b32 v142, s16
	s_mov_b32 s24, exec_lo
	s_delay_alu instid0(VALU_DEP_2)
	v_cmpx_ne_u32_e32 0x80, v1
	s_cbranch_execz .LBB266_754
; %bb.749:                              ;   in Loop: Header=BB266_16 Depth=1
	s_mov_b32 s2, s16
	v_bfe_u32 v2, v0, 24, 7
	v_dual_mov_b32 v143, s3 :: v_dual_mov_b32 v142, s2
	s_mov_b32 s2, exec_lo
	s_delay_alu instid0(VALU_DEP_2)
	v_cmpx_ne_u32_e32 0x7f, v2
	s_cbranch_execz .LBB266_753
; %bb.750:                              ;   in Loop: Header=BB266_16 Depth=1
	v_and_b32_e32 v28, 7, v1
	v_lshrrev_b32_e32 v0, 3, v2
	s_mov_b32 s25, exec_lo
	v_cmpx_gt_u32_e32 8, v2
; %bb.751:                              ;   in Loop: Header=BB266_16 Depth=1
	s_delay_alu instid0(VALU_DEP_3) | instskip(NEXT) | instid1(VALU_DEP_1)
	v_clz_i32_u32_e32 v0, v28
	v_min_u32_e32 v0, 32, v0
	s_delay_alu instid0(VALU_DEP_1) | instskip(SKIP_1) | instid1(VALU_DEP_2)
	v_subrev_nc_u32_e32 v2, 28, v0
	v_sub_nc_u32_e32 v0, 29, v0
	v_lshlrev_b64 v[2:3], v2, v[28:29]
	s_delay_alu instid0(VALU_DEP_1)
	v_and_b32_e32 v28, 7, v2
; %bb.752:                              ;   in Loop: Header=BB266_16 Depth=1
	s_or_b32 exec_lo, exec_lo, s25
	v_dual_mov_b32 v142, v29 :: v_dual_lshlrev_b32 v1, 24, v1
	s_delay_alu instid0(VALU_DEP_2) | instskip(SKIP_1) | instid1(VALU_DEP_3)
	v_lshlrev_b32_e32 v2, 20, v28
	v_lshl_add_u32 v0, v0, 23, 0x3c000000
	v_and_b32_e32 v1, 0x80000000, v1
	s_delay_alu instid0(VALU_DEP_1)
	v_or3_b32 v143, v2, v1, v0
.LBB266_753:                            ;   in Loop: Header=BB266_16 Depth=1
	s_or_b32 exec_lo, exec_lo, s2
.LBB266_754:                            ;   in Loop: Header=BB266_16 Depth=1
	s_delay_alu instid0(SALU_CYCLE_1)
	s_or_b32 exec_lo, exec_lo, s24
.LBB266_755:                            ;   in Loop: Header=BB266_16 Depth=1
	s_delay_alu instid0(SALU_CYCLE_1) | instskip(SKIP_4) | instid1(VALU_DEP_1)
	s_or_b32 exec_lo, exec_lo, s23
	flat_load_b32 v0, v[168:169] offset:2572
	v_mov_b32_e32 v158, 0
	v_mov_b32_e32 v159, 0
	s_mov_b32 s2, exec_lo
	v_dual_mov_b32 v173, v159 :: v_dual_mov_b32 v172, v158
	s_waitcnt vmcnt(0) lgkmcnt(0)
	v_and_b32_e32 v1, 0xff, v0
	s_delay_alu instid0(VALU_DEP_1)
	v_cmpx_ne_u16_e32 0, v1
	s_cbranch_execz .LBB266_763
; %bb.756:                              ;   in Loop: Header=BB266_16 Depth=1
	v_bfrev_b32_e32 v172, 1
	v_mov_b32_e32 v173, 0
	s_mov_b32 s23, exec_lo
	v_cmpx_ne_u16_e32 0x80, v1
	s_cbranch_execz .LBB266_762
; %bb.757:                              ;   in Loop: Header=BB266_16 Depth=1
	v_mov_b32_e32 v172, 0x7f800001
	v_dual_mov_b32 v173, 0 :: v_dual_and_b32 v2, 0x7f, v0
	s_mov_b32 s24, exec_lo
	s_delay_alu instid0(VALU_DEP_1)
	v_cmpx_ne_u32_e32 0x7f, v2
	s_cbranch_execz .LBB266_761
; %bb.758:                              ;   in Loop: Header=BB266_16 Depth=1
	v_and_b32_e32 v28, 7, v0
	v_lshrrev_b32_e32 v1, 3, v2
	s_mov_b32 s25, exec_lo
	v_cmpx_gt_u32_e32 8, v2
; %bb.759:                              ;   in Loop: Header=BB266_16 Depth=1
	s_delay_alu instid0(VALU_DEP_3) | instskip(NEXT) | instid1(VALU_DEP_1)
	v_clz_i32_u32_e32 v1, v28
	v_min_u32_e32 v1, 32, v1
	s_delay_alu instid0(VALU_DEP_1) | instskip(SKIP_1) | instid1(VALU_DEP_2)
	v_subrev_nc_u32_e32 v2, 28, v1
	v_sub_nc_u32_e32 v1, 29, v1
	v_lshlrev_b64 v[2:3], v2, v[28:29]
	s_delay_alu instid0(VALU_DEP_1)
	v_and_b32_e32 v28, 7, v2
; %bb.760:                              ;   in Loop: Header=BB266_16 Depth=1
	s_or_b32 exec_lo, exec_lo, s25
	v_lshlrev_b32_e32 v2, 24, v0
	s_delay_alu instid0(VALU_DEP_2) | instskip(SKIP_1) | instid1(VALU_DEP_3)
	v_lshlrev_b32_e32 v3, 20, v28
	v_lshl_add_u32 v1, v1, 23, 0x3c000000
	v_and_b32_e32 v2, 0x80000000, v2
	s_delay_alu instid0(VALU_DEP_1) | instskip(NEXT) | instid1(VALU_DEP_1)
	v_or3_b32 v28, v3, v2, v1
	v_dual_mov_b32 v173, v29 :: v_dual_mov_b32 v172, v28
.LBB266_761:                            ;   in Loop: Header=BB266_16 Depth=1
	s_or_b32 exec_lo, exec_lo, s24
.LBB266_762:                            ;   in Loop: Header=BB266_16 Depth=1
	s_delay_alu instid0(SALU_CYCLE_1)
	s_or_b32 exec_lo, exec_lo, s23
.LBB266_763:                            ;   in Loop: Header=BB266_16 Depth=1
	s_delay_alu instid0(SALU_CYCLE_1) | instskip(SKIP_2) | instid1(VALU_DEP_1)
	s_or_b32 exec_lo, exec_lo, s2
	v_lshrrev_b16 v1, 8, v0
	s_mov_b32 s23, exec_lo
	v_cmpx_ne_u16_e32 0, v1
	s_cbranch_execz .LBB266_771
; %bb.764:                              ;   in Loop: Header=BB266_16 Depth=1
	v_dual_mov_b32 v159, s17 :: v_dual_mov_b32 v158, s16
	s_mov_b32 s24, exec_lo
	v_cmpx_ne_u16_e32 0x80, v1
	s_cbranch_execz .LBB266_770
; %bb.765:                              ;   in Loop: Header=BB266_16 Depth=1
	s_mov_b32 s2, s16
	v_and_b32_e32 v1, 0xffff, v1
	v_dual_mov_b32 v159, s3 :: v_dual_mov_b32 v158, s2
	s_mov_b32 s2, exec_lo
	s_delay_alu instid0(VALU_DEP_2) | instskip(NEXT) | instid1(VALU_DEP_1)
	v_and_b32_e32 v2, 0x7f, v1
	v_cmpx_ne_u32_e32 0x7f, v2
	s_cbranch_execz .LBB266_769
; %bb.766:                              ;   in Loop: Header=BB266_16 Depth=1
	v_and_b32_e32 v28, 7, v1
	v_lshrrev_b32_e32 v1, 3, v2
	s_mov_b32 s25, exec_lo
	v_cmpx_gt_u32_e32 8, v2
; %bb.767:                              ;   in Loop: Header=BB266_16 Depth=1
	s_delay_alu instid0(VALU_DEP_3) | instskip(NEXT) | instid1(VALU_DEP_1)
	v_clz_i32_u32_e32 v1, v28
	v_min_u32_e32 v1, 32, v1
	s_delay_alu instid0(VALU_DEP_1) | instskip(SKIP_1) | instid1(VALU_DEP_2)
	v_subrev_nc_u32_e32 v2, 28, v1
	v_sub_nc_u32_e32 v1, 29, v1
	v_lshlrev_b64 v[2:3], v2, v[28:29]
	s_delay_alu instid0(VALU_DEP_1)
	v_and_b32_e32 v28, 7, v2
; %bb.768:                              ;   in Loop: Header=BB266_16 Depth=1
	s_or_b32 exec_lo, exec_lo, s25
	v_lshlrev_b32_e32 v2, 16, v0
	s_delay_alu instid0(VALU_DEP_2) | instskip(SKIP_1) | instid1(VALU_DEP_3)
	v_dual_mov_b32 v158, v29 :: v_dual_lshlrev_b32 v3, 20, v28
	v_lshl_add_u32 v1, v1, 23, 0x3c000000
	v_and_b32_e32 v2, 0x80000000, v2
	s_delay_alu instid0(VALU_DEP_1)
	v_or3_b32 v159, v3, v2, v1
.LBB266_769:                            ;   in Loop: Header=BB266_16 Depth=1
	s_or_b32 exec_lo, exec_lo, s2
.LBB266_770:                            ;   in Loop: Header=BB266_16 Depth=1
	s_delay_alu instid0(SALU_CYCLE_1)
	s_or_b32 exec_lo, exec_lo, s24
.LBB266_771:                            ;   in Loop: Header=BB266_16 Depth=1
	s_delay_alu instid0(SALU_CYCLE_1) | instskip(SKIP_4) | instid1(VALU_DEP_1)
	s_or_b32 exec_lo, exec_lo, s23
	v_mov_b32_e32 v184, 0
	v_lshrrev_b32_e32 v1, 16, v0
	v_mov_b32_e32 v185, 0
	s_mov_b32 s2, exec_lo
	v_dual_mov_b32 v189, v185 :: v_dual_and_b32 v2, 0xff, v1
	v_mov_b32_e32 v188, v184
	s_delay_alu instid0(VALU_DEP_2)
	v_cmpx_ne_u16_e32 0, v2
	s_cbranch_execz .LBB266_779
; %bb.772:                              ;   in Loop: Header=BB266_16 Depth=1
	v_bfrev_b32_e32 v188, 1
	v_mov_b32_e32 v189, 0
	s_mov_b32 s23, exec_lo
	v_cmpx_ne_u16_e32 0x80, v2
	s_cbranch_execz .LBB266_778
; %bb.773:                              ;   in Loop: Header=BB266_16 Depth=1
	v_mov_b32_e32 v188, 0x7f800001
	v_bfe_u32 v3, v0, 16, 7
	v_mov_b32_e32 v189, 0
	s_mov_b32 s24, exec_lo
	s_delay_alu instid0(VALU_DEP_2)
	v_cmpx_ne_u32_e32 0x7f, v3
	s_cbranch_execz .LBB266_777
; %bb.774:                              ;   in Loop: Header=BB266_16 Depth=1
	v_and_b32_e32 v28, 7, v1
	v_lshrrev_b32_e32 v2, 3, v3
	s_mov_b32 s25, exec_lo
	v_cmpx_gt_u32_e32 8, v3
; %bb.775:                              ;   in Loop: Header=BB266_16 Depth=1
	s_delay_alu instid0(VALU_DEP_3) | instskip(NEXT) | instid1(VALU_DEP_1)
	v_clz_i32_u32_e32 v2, v28
	v_min_u32_e32 v2, 32, v2
	s_delay_alu instid0(VALU_DEP_1) | instskip(SKIP_1) | instid1(VALU_DEP_2)
	v_subrev_nc_u32_e32 v3, 28, v2
	v_sub_nc_u32_e32 v2, 29, v2
	v_lshlrev_b64 v[3:4], v3, v[28:29]
	s_delay_alu instid0(VALU_DEP_1)
	v_and_b32_e32 v28, 7, v3
; %bb.776:                              ;   in Loop: Header=BB266_16 Depth=1
	s_or_b32 exec_lo, exec_lo, s25
	v_lshlrev_b32_e32 v1, 24, v1
	s_delay_alu instid0(VALU_DEP_2) | instskip(SKIP_1) | instid1(VALU_DEP_3)
	v_lshlrev_b32_e32 v3, 20, v28
	v_lshl_add_u32 v2, v2, 23, 0x3c000000
	v_and_b32_e32 v1, 0x80000000, v1
	s_delay_alu instid0(VALU_DEP_1) | instskip(NEXT) | instid1(VALU_DEP_1)
	v_or3_b32 v28, v3, v1, v2
	v_dual_mov_b32 v189, v29 :: v_dual_mov_b32 v188, v28
.LBB266_777:                            ;   in Loop: Header=BB266_16 Depth=1
	s_or_b32 exec_lo, exec_lo, s24
.LBB266_778:                            ;   in Loop: Header=BB266_16 Depth=1
	s_delay_alu instid0(SALU_CYCLE_1)
	s_or_b32 exec_lo, exec_lo, s23
.LBB266_779:                            ;   in Loop: Header=BB266_16 Depth=1
	s_delay_alu instid0(SALU_CYCLE_1) | instskip(NEXT) | instid1(SALU_CYCLE_1)
	s_or_b32 exec_lo, exec_lo, s2
	s_mov_b32 s23, exec_lo
	v_cmpx_lt_u32_e32 0xffffff, v0
	s_cbranch_execz .LBB266_787
; %bb.780:                              ;   in Loop: Header=BB266_16 Depth=1
	v_lshrrev_b32_e32 v1, 24, v0
	v_dual_mov_b32 v185, s17 :: v_dual_mov_b32 v184, s16
	s_mov_b32 s24, exec_lo
	s_delay_alu instid0(VALU_DEP_2)
	v_cmpx_ne_u32_e32 0x80, v1
	s_cbranch_execz .LBB266_786
; %bb.781:                              ;   in Loop: Header=BB266_16 Depth=1
	s_mov_b32 s2, s16
	v_bfe_u32 v2, v0, 24, 7
	v_dual_mov_b32 v185, s3 :: v_dual_mov_b32 v184, s2
	s_mov_b32 s2, exec_lo
	s_delay_alu instid0(VALU_DEP_2)
	v_cmpx_ne_u32_e32 0x7f, v2
	s_cbranch_execz .LBB266_785
; %bb.782:                              ;   in Loop: Header=BB266_16 Depth=1
	v_and_b32_e32 v28, 7, v1
	v_lshrrev_b32_e32 v0, 3, v2
	s_mov_b32 s25, exec_lo
	v_cmpx_gt_u32_e32 8, v2
; %bb.783:                              ;   in Loop: Header=BB266_16 Depth=1
	s_delay_alu instid0(VALU_DEP_3) | instskip(NEXT) | instid1(VALU_DEP_1)
	v_clz_i32_u32_e32 v0, v28
	v_min_u32_e32 v0, 32, v0
	s_delay_alu instid0(VALU_DEP_1) | instskip(SKIP_1) | instid1(VALU_DEP_2)
	v_subrev_nc_u32_e32 v2, 28, v0
	v_sub_nc_u32_e32 v0, 29, v0
	v_lshlrev_b64 v[2:3], v2, v[28:29]
	s_delay_alu instid0(VALU_DEP_1)
	v_and_b32_e32 v28, 7, v2
; %bb.784:                              ;   in Loop: Header=BB266_16 Depth=1
	s_or_b32 exec_lo, exec_lo, s25
	v_dual_mov_b32 v184, v29 :: v_dual_lshlrev_b32 v1, 24, v1
	s_delay_alu instid0(VALU_DEP_2) | instskip(SKIP_1) | instid1(VALU_DEP_3)
	v_lshlrev_b32_e32 v2, 20, v28
	v_lshl_add_u32 v0, v0, 23, 0x3c000000
	v_and_b32_e32 v1, 0x80000000, v1
	s_delay_alu instid0(VALU_DEP_1)
	v_or3_b32 v185, v2, v1, v0
.LBB266_785:                            ;   in Loop: Header=BB266_16 Depth=1
	s_or_b32 exec_lo, exec_lo, s2
.LBB266_786:                            ;   in Loop: Header=BB266_16 Depth=1
	s_delay_alu instid0(SALU_CYCLE_1)
	s_or_b32 exec_lo, exec_lo, s24
.LBB266_787:                            ;   in Loop: Header=BB266_16 Depth=1
	s_delay_alu instid0(SALU_CYCLE_1) | instskip(SKIP_4) | instid1(VALU_DEP_1)
	s_or_b32 exec_lo, exec_lo, s23
	flat_load_b32 v0, v[168:169] offset:3072
	v_mov_b32_e32 v122, 0
	v_mov_b32_e32 v123, 0
	s_mov_b32 s2, exec_lo
	v_dual_mov_b32 v125, v123 :: v_dual_mov_b32 v124, v122
	s_waitcnt vmcnt(0) lgkmcnt(0)
	v_and_b32_e32 v1, 0xff, v0
	s_delay_alu instid0(VALU_DEP_1)
	v_cmpx_ne_u16_e32 0, v1
	s_cbranch_execz .LBB266_795
; %bb.788:                              ;   in Loop: Header=BB266_16 Depth=1
	v_bfrev_b32_e32 v124, 1
	v_mov_b32_e32 v125, 0
	s_mov_b32 s23, exec_lo
	v_cmpx_ne_u16_e32 0x80, v1
	s_cbranch_execz .LBB266_794
; %bb.789:                              ;   in Loop: Header=BB266_16 Depth=1
	v_mov_b32_e32 v124, 0x7f800001
	v_dual_mov_b32 v125, 0 :: v_dual_and_b32 v2, 0x7f, v0
	s_mov_b32 s24, exec_lo
	s_delay_alu instid0(VALU_DEP_1)
	v_cmpx_ne_u32_e32 0x7f, v2
	s_cbranch_execz .LBB266_793
; %bb.790:                              ;   in Loop: Header=BB266_16 Depth=1
	v_and_b32_e32 v28, 7, v0
	v_lshrrev_b32_e32 v1, 3, v2
	s_mov_b32 s25, exec_lo
	v_cmpx_gt_u32_e32 8, v2
; %bb.791:                              ;   in Loop: Header=BB266_16 Depth=1
	s_delay_alu instid0(VALU_DEP_3) | instskip(NEXT) | instid1(VALU_DEP_1)
	v_clz_i32_u32_e32 v1, v28
	v_min_u32_e32 v1, 32, v1
	s_delay_alu instid0(VALU_DEP_1) | instskip(SKIP_1) | instid1(VALU_DEP_2)
	v_subrev_nc_u32_e32 v2, 28, v1
	v_sub_nc_u32_e32 v1, 29, v1
	v_lshlrev_b64 v[2:3], v2, v[28:29]
	s_delay_alu instid0(VALU_DEP_1)
	v_and_b32_e32 v28, 7, v2
; %bb.792:                              ;   in Loop: Header=BB266_16 Depth=1
	s_or_b32 exec_lo, exec_lo, s25
	v_lshlrev_b32_e32 v2, 24, v0
	s_delay_alu instid0(VALU_DEP_2) | instskip(SKIP_1) | instid1(VALU_DEP_3)
	v_lshlrev_b32_e32 v3, 20, v28
	v_lshl_add_u32 v1, v1, 23, 0x3c000000
	v_and_b32_e32 v2, 0x80000000, v2
	s_delay_alu instid0(VALU_DEP_1) | instskip(NEXT) | instid1(VALU_DEP_1)
	v_or3_b32 v28, v3, v2, v1
	v_dual_mov_b32 v125, v29 :: v_dual_mov_b32 v124, v28
.LBB266_793:                            ;   in Loop: Header=BB266_16 Depth=1
	s_or_b32 exec_lo, exec_lo, s24
.LBB266_794:                            ;   in Loop: Header=BB266_16 Depth=1
	s_delay_alu instid0(SALU_CYCLE_1)
	s_or_b32 exec_lo, exec_lo, s23
.LBB266_795:                            ;   in Loop: Header=BB266_16 Depth=1
	s_delay_alu instid0(SALU_CYCLE_1) | instskip(SKIP_2) | instid1(VALU_DEP_1)
	s_or_b32 exec_lo, exec_lo, s2
	v_lshrrev_b16 v1, 8, v0
	s_mov_b32 s23, exec_lo
	v_cmpx_ne_u16_e32 0, v1
	s_cbranch_execz .LBB266_803
; %bb.796:                              ;   in Loop: Header=BB266_16 Depth=1
	v_dual_mov_b32 v123, s17 :: v_dual_mov_b32 v122, s16
	s_mov_b32 s24, exec_lo
	v_cmpx_ne_u16_e32 0x80, v1
	s_cbranch_execz .LBB266_802
; %bb.797:                              ;   in Loop: Header=BB266_16 Depth=1
	s_mov_b32 s2, s16
	v_and_b32_e32 v1, 0xffff, v1
	v_dual_mov_b32 v123, s3 :: v_dual_mov_b32 v122, s2
	s_mov_b32 s2, exec_lo
	s_delay_alu instid0(VALU_DEP_2) | instskip(NEXT) | instid1(VALU_DEP_1)
	v_and_b32_e32 v2, 0x7f, v1
	v_cmpx_ne_u32_e32 0x7f, v2
	s_cbranch_execz .LBB266_801
; %bb.798:                              ;   in Loop: Header=BB266_16 Depth=1
	v_and_b32_e32 v28, 7, v1
	v_lshrrev_b32_e32 v1, 3, v2
	s_mov_b32 s25, exec_lo
	v_cmpx_gt_u32_e32 8, v2
; %bb.799:                              ;   in Loop: Header=BB266_16 Depth=1
	s_delay_alu instid0(VALU_DEP_3) | instskip(NEXT) | instid1(VALU_DEP_1)
	v_clz_i32_u32_e32 v1, v28
	v_min_u32_e32 v1, 32, v1
	s_delay_alu instid0(VALU_DEP_1) | instskip(SKIP_1) | instid1(VALU_DEP_2)
	v_subrev_nc_u32_e32 v2, 28, v1
	v_sub_nc_u32_e32 v1, 29, v1
	v_lshlrev_b64 v[2:3], v2, v[28:29]
	s_delay_alu instid0(VALU_DEP_1)
	v_and_b32_e32 v28, 7, v2
; %bb.800:                              ;   in Loop: Header=BB266_16 Depth=1
	s_or_b32 exec_lo, exec_lo, s25
	v_lshlrev_b32_e32 v2, 16, v0
	s_delay_alu instid0(VALU_DEP_2) | instskip(SKIP_1) | instid1(VALU_DEP_3)
	v_dual_mov_b32 v122, v29 :: v_dual_lshlrev_b32 v3, 20, v28
	v_lshl_add_u32 v1, v1, 23, 0x3c000000
	v_and_b32_e32 v2, 0x80000000, v2
	s_delay_alu instid0(VALU_DEP_1)
	v_or3_b32 v123, v3, v2, v1
.LBB266_801:                            ;   in Loop: Header=BB266_16 Depth=1
	s_or_b32 exec_lo, exec_lo, s2
.LBB266_802:                            ;   in Loop: Header=BB266_16 Depth=1
	s_delay_alu instid0(SALU_CYCLE_1)
	s_or_b32 exec_lo, exec_lo, s24
.LBB266_803:                            ;   in Loop: Header=BB266_16 Depth=1
	s_delay_alu instid0(SALU_CYCLE_1) | instskip(SKIP_4) | instid1(VALU_DEP_1)
	s_or_b32 exec_lo, exec_lo, s23
	v_mov_b32_e32 v20, 0
	v_lshrrev_b32_e32 v1, 16, v0
	v_mov_b32_e32 v21, 0
	s_mov_b32 s2, exec_lo
	v_dual_mov_b32 v103, v21 :: v_dual_and_b32 v2, 0xff, v1
	v_mov_b32_e32 v102, v20
	s_delay_alu instid0(VALU_DEP_2)
	v_cmpx_ne_u16_e32 0, v2
	s_cbranch_execz .LBB266_811
; %bb.804:                              ;   in Loop: Header=BB266_16 Depth=1
	v_bfrev_b32_e32 v102, 1
	v_mov_b32_e32 v103, 0
	s_mov_b32 s23, exec_lo
	v_cmpx_ne_u16_e32 0x80, v2
	s_cbranch_execz .LBB266_810
; %bb.805:                              ;   in Loop: Header=BB266_16 Depth=1
	v_mov_b32_e32 v102, 0x7f800001
	v_bfe_u32 v3, v0, 16, 7
	v_mov_b32_e32 v103, 0
	s_mov_b32 s24, exec_lo
	s_delay_alu instid0(VALU_DEP_2)
	v_cmpx_ne_u32_e32 0x7f, v3
	s_cbranch_execz .LBB266_809
; %bb.806:                              ;   in Loop: Header=BB266_16 Depth=1
	v_and_b32_e32 v28, 7, v1
	v_lshrrev_b32_e32 v2, 3, v3
	s_mov_b32 s25, exec_lo
	v_cmpx_gt_u32_e32 8, v3
; %bb.807:                              ;   in Loop: Header=BB266_16 Depth=1
	s_delay_alu instid0(VALU_DEP_3) | instskip(NEXT) | instid1(VALU_DEP_1)
	v_clz_i32_u32_e32 v2, v28
	v_min_u32_e32 v2, 32, v2
	s_delay_alu instid0(VALU_DEP_1) | instskip(SKIP_1) | instid1(VALU_DEP_2)
	v_subrev_nc_u32_e32 v3, 28, v2
	v_sub_nc_u32_e32 v2, 29, v2
	v_lshlrev_b64 v[3:4], v3, v[28:29]
	s_delay_alu instid0(VALU_DEP_1)
	v_and_b32_e32 v28, 7, v3
; %bb.808:                              ;   in Loop: Header=BB266_16 Depth=1
	s_or_b32 exec_lo, exec_lo, s25
	v_lshlrev_b32_e32 v1, 24, v1
	s_delay_alu instid0(VALU_DEP_2) | instskip(SKIP_1) | instid1(VALU_DEP_3)
	v_lshlrev_b32_e32 v3, 20, v28
	v_lshl_add_u32 v2, v2, 23, 0x3c000000
	v_and_b32_e32 v1, 0x80000000, v1
	s_delay_alu instid0(VALU_DEP_1) | instskip(NEXT) | instid1(VALU_DEP_1)
	v_or3_b32 v28, v3, v1, v2
	v_dual_mov_b32 v103, v29 :: v_dual_mov_b32 v102, v28
.LBB266_809:                            ;   in Loop: Header=BB266_16 Depth=1
	s_or_b32 exec_lo, exec_lo, s24
.LBB266_810:                            ;   in Loop: Header=BB266_16 Depth=1
	s_delay_alu instid0(SALU_CYCLE_1)
	s_or_b32 exec_lo, exec_lo, s23
.LBB266_811:                            ;   in Loop: Header=BB266_16 Depth=1
	s_delay_alu instid0(SALU_CYCLE_1) | instskip(NEXT) | instid1(SALU_CYCLE_1)
	s_or_b32 exec_lo, exec_lo, s2
	s_mov_b32 s23, exec_lo
	v_cmpx_lt_u32_e32 0xffffff, v0
	s_cbranch_execz .LBB266_819
; %bb.812:                              ;   in Loop: Header=BB266_16 Depth=1
	v_lshrrev_b32_e32 v1, 24, v0
	v_dual_mov_b32 v21, s17 :: v_dual_mov_b32 v20, s16
	s_mov_b32 s24, exec_lo
	s_delay_alu instid0(VALU_DEP_2)
	v_cmpx_ne_u32_e32 0x80, v1
	s_cbranch_execz .LBB266_818
; %bb.813:                              ;   in Loop: Header=BB266_16 Depth=1
	s_mov_b32 s2, s16
	v_bfe_u32 v2, v0, 24, 7
	v_dual_mov_b32 v21, s3 :: v_dual_mov_b32 v20, s2
	s_mov_b32 s2, exec_lo
	s_delay_alu instid0(VALU_DEP_2)
	v_cmpx_ne_u32_e32 0x7f, v2
	s_cbranch_execz .LBB266_817
; %bb.814:                              ;   in Loop: Header=BB266_16 Depth=1
	v_and_b32_e32 v28, 7, v1
	v_lshrrev_b32_e32 v0, 3, v2
	s_mov_b32 s25, exec_lo
	v_cmpx_gt_u32_e32 8, v2
; %bb.815:                              ;   in Loop: Header=BB266_16 Depth=1
	s_delay_alu instid0(VALU_DEP_3) | instskip(NEXT) | instid1(VALU_DEP_1)
	v_clz_i32_u32_e32 v0, v28
	v_min_u32_e32 v0, 32, v0
	s_delay_alu instid0(VALU_DEP_1) | instskip(SKIP_1) | instid1(VALU_DEP_2)
	v_subrev_nc_u32_e32 v2, 28, v0
	v_sub_nc_u32_e32 v0, 29, v0
	v_lshlrev_b64 v[2:3], v2, v[28:29]
	s_delay_alu instid0(VALU_DEP_1)
	v_and_b32_e32 v28, 7, v2
; %bb.816:                              ;   in Loop: Header=BB266_16 Depth=1
	s_or_b32 exec_lo, exec_lo, s25
	v_dual_mov_b32 v20, v29 :: v_dual_lshlrev_b32 v1, 24, v1
	s_delay_alu instid0(VALU_DEP_2) | instskip(SKIP_1) | instid1(VALU_DEP_3)
	v_lshlrev_b32_e32 v2, 20, v28
	v_lshl_add_u32 v0, v0, 23, 0x3c000000
	v_and_b32_e32 v1, 0x80000000, v1
	s_delay_alu instid0(VALU_DEP_1)
	v_or3_b32 v21, v2, v1, v0
.LBB266_817:                            ;   in Loop: Header=BB266_16 Depth=1
	s_or_b32 exec_lo, exec_lo, s2
.LBB266_818:                            ;   in Loop: Header=BB266_16 Depth=1
	s_delay_alu instid0(SALU_CYCLE_1)
	s_or_b32 exec_lo, exec_lo, s24
.LBB266_819:                            ;   in Loop: Header=BB266_16 Depth=1
	s_delay_alu instid0(SALU_CYCLE_1)
	s_or_b32 exec_lo, exec_lo, s23
	flat_load_b32 v0, v[168:169] offset:3076
	v_mov_b32_e32 v25, 0
	v_mov_b32_e32 v26, 0
	s_mov_b32 s2, exec_lo
	s_waitcnt vmcnt(0) lgkmcnt(0)
	s_delay_alu instid0(VALU_DEP_2) | instskip(NEXT) | instid1(VALU_DEP_2)
	v_dual_mov_b32 v8, v25 :: v_dual_and_b32 v1, 0xff, v0
	v_mov_b32_e32 v9, v26
	s_delay_alu instid0(VALU_DEP_2)
	v_cmpx_ne_u16_e32 0, v1
	s_cbranch_execz .LBB266_827
; %bb.820:                              ;   in Loop: Header=BB266_16 Depth=1
	v_bfrev_b32_e32 v8, 1
	v_mov_b32_e32 v9, 0
	s_mov_b32 s23, exec_lo
	v_cmpx_ne_u16_e32 0x80, v1
	s_cbranch_execz .LBB266_826
; %bb.821:                              ;   in Loop: Header=BB266_16 Depth=1
	v_mov_b32_e32 v8, 0x7f800001
	v_dual_mov_b32 v9, 0 :: v_dual_and_b32 v2, 0x7f, v0
	s_mov_b32 s24, exec_lo
	s_delay_alu instid0(VALU_DEP_1)
	v_cmpx_ne_u32_e32 0x7f, v2
	s_cbranch_execz .LBB266_825
; %bb.822:                              ;   in Loop: Header=BB266_16 Depth=1
	v_and_b32_e32 v28, 7, v0
	v_lshrrev_b32_e32 v1, 3, v2
	s_mov_b32 s25, exec_lo
	v_cmpx_gt_u32_e32 8, v2
; %bb.823:                              ;   in Loop: Header=BB266_16 Depth=1
	s_delay_alu instid0(VALU_DEP_3) | instskip(NEXT) | instid1(VALU_DEP_1)
	v_clz_i32_u32_e32 v1, v28
	v_min_u32_e32 v1, 32, v1
	s_delay_alu instid0(VALU_DEP_1) | instskip(SKIP_1) | instid1(VALU_DEP_2)
	v_subrev_nc_u32_e32 v2, 28, v1
	v_sub_nc_u32_e32 v1, 29, v1
	v_lshlrev_b64 v[2:3], v2, v[28:29]
	s_delay_alu instid0(VALU_DEP_1)
	v_and_b32_e32 v28, 7, v2
; %bb.824:                              ;   in Loop: Header=BB266_16 Depth=1
	s_or_b32 exec_lo, exec_lo, s25
	v_lshlrev_b32_e32 v2, 24, v0
	s_delay_alu instid0(VALU_DEP_2) | instskip(SKIP_1) | instid1(VALU_DEP_3)
	v_lshlrev_b32_e32 v3, 20, v28
	v_lshl_add_u32 v1, v1, 23, 0x3c000000
	v_and_b32_e32 v2, 0x80000000, v2
	s_delay_alu instid0(VALU_DEP_1) | instskip(NEXT) | instid1(VALU_DEP_1)
	v_or3_b32 v28, v3, v2, v1
	v_dual_mov_b32 v8, v28 :: v_dual_mov_b32 v9, v29
.LBB266_825:                            ;   in Loop: Header=BB266_16 Depth=1
	s_or_b32 exec_lo, exec_lo, s24
.LBB266_826:                            ;   in Loop: Header=BB266_16 Depth=1
	s_delay_alu instid0(SALU_CYCLE_1)
	s_or_b32 exec_lo, exec_lo, s23
.LBB266_827:                            ;   in Loop: Header=BB266_16 Depth=1
	s_delay_alu instid0(SALU_CYCLE_1) | instskip(SKIP_2) | instid1(VALU_DEP_1)
	s_or_b32 exec_lo, exec_lo, s2
	v_lshrrev_b16 v1, 8, v0
	s_mov_b32 s23, exec_lo
	v_cmpx_ne_u16_e32 0, v1
	s_cbranch_execz .LBB266_835
; %bb.828:                              ;   in Loop: Header=BB266_16 Depth=1
	v_dual_mov_b32 v26, s17 :: v_dual_mov_b32 v25, s16
	s_mov_b32 s24, exec_lo
	v_cmpx_ne_u16_e32 0x80, v1
	s_cbranch_execz .LBB266_834
; %bb.829:                              ;   in Loop: Header=BB266_16 Depth=1
	s_mov_b32 s2, s16
	v_dual_mov_b32 v26, s3 :: v_dual_and_b32 v1, 0xffff, v1
	v_mov_b32_e32 v25, s2
	s_mov_b32 s2, exec_lo
	s_delay_alu instid0(VALU_DEP_2) | instskip(NEXT) | instid1(VALU_DEP_1)
	v_and_b32_e32 v2, 0x7f, v1
	v_cmpx_ne_u32_e32 0x7f, v2
	s_cbranch_execz .LBB266_833
; %bb.830:                              ;   in Loop: Header=BB266_16 Depth=1
	v_and_b32_e32 v28, 7, v1
	v_lshrrev_b32_e32 v1, 3, v2
	s_mov_b32 s25, exec_lo
	v_cmpx_gt_u32_e32 8, v2
; %bb.831:                              ;   in Loop: Header=BB266_16 Depth=1
	s_delay_alu instid0(VALU_DEP_3) | instskip(NEXT) | instid1(VALU_DEP_1)
	v_clz_i32_u32_e32 v1, v28
	v_min_u32_e32 v1, 32, v1
	s_delay_alu instid0(VALU_DEP_1) | instskip(SKIP_1) | instid1(VALU_DEP_2)
	v_subrev_nc_u32_e32 v2, 28, v1
	v_sub_nc_u32_e32 v1, 29, v1
	v_lshlrev_b64 v[2:3], v2, v[28:29]
	s_delay_alu instid0(VALU_DEP_1)
	v_and_b32_e32 v28, 7, v2
; %bb.832:                              ;   in Loop: Header=BB266_16 Depth=1
	s_or_b32 exec_lo, exec_lo, s25
	v_dual_mov_b32 v25, v29 :: v_dual_lshlrev_b32 v2, 16, v0
	s_delay_alu instid0(VALU_DEP_2) | instskip(SKIP_1) | instid1(VALU_DEP_3)
	v_lshlrev_b32_e32 v3, 20, v28
	v_lshl_add_u32 v1, v1, 23, 0x3c000000
	v_and_b32_e32 v2, 0x80000000, v2
	s_delay_alu instid0(VALU_DEP_1)
	v_or3_b32 v26, v3, v2, v1
.LBB266_833:                            ;   in Loop: Header=BB266_16 Depth=1
	s_or_b32 exec_lo, exec_lo, s2
.LBB266_834:                            ;   in Loop: Header=BB266_16 Depth=1
	s_delay_alu instid0(SALU_CYCLE_1)
	s_or_b32 exec_lo, exec_lo, s24
.LBB266_835:                            ;   in Loop: Header=BB266_16 Depth=1
	s_delay_alu instid0(SALU_CYCLE_1) | instskip(SKIP_4) | instid1(VALU_DEP_2)
	s_or_b32 exec_lo, exec_lo, s23
	v_mov_b32_e32 v18, 0
	v_lshrrev_b32_e32 v1, 16, v0
	v_mov_b32_e32 v19, 0
	s_mov_b32 s2, exec_lo
	v_and_b32_e32 v2, 0xff, v1
	s_delay_alu instid0(VALU_DEP_2) | instskip(NEXT) | instid1(VALU_DEP_2)
	v_dual_mov_b32 v34, v19 :: v_dual_mov_b32 v33, v18
	v_cmpx_ne_u16_e32 0, v2
	s_cbranch_execz .LBB266_843
; %bb.836:                              ;   in Loop: Header=BB266_16 Depth=1
	v_bfrev_b32_e32 v33, 1
	v_mov_b32_e32 v34, 0
	s_mov_b32 s23, exec_lo
	v_cmpx_ne_u16_e32 0x80, v2
	s_cbranch_execz .LBB266_842
; %bb.837:                              ;   in Loop: Header=BB266_16 Depth=1
	v_mov_b32_e32 v33, 0x7f800001
	v_bfe_u32 v3, v0, 16, 7
	v_mov_b32_e32 v34, 0
	s_mov_b32 s24, exec_lo
	s_delay_alu instid0(VALU_DEP_2)
	v_cmpx_ne_u32_e32 0x7f, v3
	s_cbranch_execz .LBB266_841
; %bb.838:                              ;   in Loop: Header=BB266_16 Depth=1
	v_and_b32_e32 v28, 7, v1
	v_lshrrev_b32_e32 v2, 3, v3
	s_mov_b32 s25, exec_lo
	v_cmpx_gt_u32_e32 8, v3
; %bb.839:                              ;   in Loop: Header=BB266_16 Depth=1
	s_delay_alu instid0(VALU_DEP_3) | instskip(NEXT) | instid1(VALU_DEP_1)
	v_clz_i32_u32_e32 v2, v28
	v_min_u32_e32 v2, 32, v2
	s_delay_alu instid0(VALU_DEP_1) | instskip(SKIP_1) | instid1(VALU_DEP_2)
	v_subrev_nc_u32_e32 v3, 28, v2
	v_sub_nc_u32_e32 v2, 29, v2
	v_lshlrev_b64 v[3:4], v3, v[28:29]
	s_delay_alu instid0(VALU_DEP_1)
	v_and_b32_e32 v28, 7, v3
; %bb.840:                              ;   in Loop: Header=BB266_16 Depth=1
	s_or_b32 exec_lo, exec_lo, s25
	v_lshlrev_b32_e32 v1, 24, v1
	s_delay_alu instid0(VALU_DEP_2) | instskip(SKIP_1) | instid1(VALU_DEP_3)
	v_lshlrev_b32_e32 v3, 20, v28
	v_lshl_add_u32 v2, v2, 23, 0x3c000000
	v_and_b32_e32 v1, 0x80000000, v1
	s_delay_alu instid0(VALU_DEP_1) | instskip(NEXT) | instid1(VALU_DEP_1)
	v_or3_b32 v28, v3, v1, v2
	v_dual_mov_b32 v34, v29 :: v_dual_mov_b32 v33, v28
.LBB266_841:                            ;   in Loop: Header=BB266_16 Depth=1
	s_or_b32 exec_lo, exec_lo, s24
.LBB266_842:                            ;   in Loop: Header=BB266_16 Depth=1
	s_delay_alu instid0(SALU_CYCLE_1)
	s_or_b32 exec_lo, exec_lo, s23
.LBB266_843:                            ;   in Loop: Header=BB266_16 Depth=1
	s_delay_alu instid0(SALU_CYCLE_1) | instskip(NEXT) | instid1(SALU_CYCLE_1)
	s_or_b32 exec_lo, exec_lo, s2
	s_mov_b32 s23, exec_lo
	v_cmpx_lt_u32_e32 0xffffff, v0
	s_cbranch_execz .LBB266_851
; %bb.844:                              ;   in Loop: Header=BB266_16 Depth=1
	v_lshrrev_b32_e32 v1, 24, v0
	v_dual_mov_b32 v19, s17 :: v_dual_mov_b32 v18, s16
	s_mov_b32 s24, exec_lo
	s_delay_alu instid0(VALU_DEP_2)
	v_cmpx_ne_u32_e32 0x80, v1
	s_cbranch_execz .LBB266_850
; %bb.845:                              ;   in Loop: Header=BB266_16 Depth=1
	s_mov_b32 s2, s16
	v_bfe_u32 v2, v0, 24, 7
	v_dual_mov_b32 v19, s3 :: v_dual_mov_b32 v18, s2
	s_mov_b32 s2, exec_lo
	s_delay_alu instid0(VALU_DEP_2)
	v_cmpx_ne_u32_e32 0x7f, v2
	s_cbranch_execz .LBB266_849
; %bb.846:                              ;   in Loop: Header=BB266_16 Depth=1
	v_and_b32_e32 v28, 7, v1
	v_lshrrev_b32_e32 v0, 3, v2
	s_mov_b32 s25, exec_lo
	v_cmpx_gt_u32_e32 8, v2
; %bb.847:                              ;   in Loop: Header=BB266_16 Depth=1
	s_delay_alu instid0(VALU_DEP_3) | instskip(NEXT) | instid1(VALU_DEP_1)
	v_clz_i32_u32_e32 v0, v28
	v_min_u32_e32 v0, 32, v0
	s_delay_alu instid0(VALU_DEP_1) | instskip(SKIP_1) | instid1(VALU_DEP_2)
	v_subrev_nc_u32_e32 v2, 28, v0
	v_sub_nc_u32_e32 v0, 29, v0
	v_lshlrev_b64 v[2:3], v2, v[28:29]
	s_delay_alu instid0(VALU_DEP_1)
	v_and_b32_e32 v28, 7, v2
; %bb.848:                              ;   in Loop: Header=BB266_16 Depth=1
	s_or_b32 exec_lo, exec_lo, s25
	v_dual_mov_b32 v18, v29 :: v_dual_lshlrev_b32 v1, 24, v1
	s_delay_alu instid0(VALU_DEP_2) | instskip(SKIP_1) | instid1(VALU_DEP_3)
	v_lshlrev_b32_e32 v2, 20, v28
	v_lshl_add_u32 v0, v0, 23, 0x3c000000
	v_and_b32_e32 v1, 0x80000000, v1
	s_delay_alu instid0(VALU_DEP_1)
	v_or3_b32 v19, v2, v1, v0
.LBB266_849:                            ;   in Loop: Header=BB266_16 Depth=1
	s_or_b32 exec_lo, exec_lo, s2
.LBB266_850:                            ;   in Loop: Header=BB266_16 Depth=1
	s_delay_alu instid0(SALU_CYCLE_1)
	s_or_b32 exec_lo, exec_lo, s24
.LBB266_851:                            ;   in Loop: Header=BB266_16 Depth=1
	s_delay_alu instid0(SALU_CYCLE_1)
	s_or_b32 exec_lo, exec_lo, s23
	flat_load_b32 v0, v[168:169] offset:3080
	v_mov_b32_e32 v37, 0
	v_mov_b32_e32 v38, 0
	s_mov_b32 s2, exec_lo
	s_waitcnt vmcnt(0) lgkmcnt(0)
	v_and_b32_e32 v1, 0xff, v0
	s_delay_alu instid0(VALU_DEP_2) | instskip(NEXT) | instid1(VALU_DEP_2)
	v_dual_mov_b32 v139, v38 :: v_dual_mov_b32 v138, v37
	v_cmpx_ne_u16_e32 0, v1
	s_cbranch_execz .LBB266_859
; %bb.852:                              ;   in Loop: Header=BB266_16 Depth=1
	v_bfrev_b32_e32 v138, 1
	v_mov_b32_e32 v139, 0
	s_mov_b32 s23, exec_lo
	v_cmpx_ne_u16_e32 0x80, v1
	s_cbranch_execz .LBB266_858
; %bb.853:                              ;   in Loop: Header=BB266_16 Depth=1
	v_mov_b32_e32 v138, 0x7f800001
	v_dual_mov_b32 v139, 0 :: v_dual_and_b32 v2, 0x7f, v0
	s_mov_b32 s24, exec_lo
	s_delay_alu instid0(VALU_DEP_1)
	v_cmpx_ne_u32_e32 0x7f, v2
	s_cbranch_execz .LBB266_857
; %bb.854:                              ;   in Loop: Header=BB266_16 Depth=1
	v_and_b32_e32 v28, 7, v0
	v_lshrrev_b32_e32 v1, 3, v2
	s_mov_b32 s25, exec_lo
	v_cmpx_gt_u32_e32 8, v2
; %bb.855:                              ;   in Loop: Header=BB266_16 Depth=1
	s_delay_alu instid0(VALU_DEP_3) | instskip(NEXT) | instid1(VALU_DEP_1)
	v_clz_i32_u32_e32 v1, v28
	v_min_u32_e32 v1, 32, v1
	s_delay_alu instid0(VALU_DEP_1) | instskip(SKIP_1) | instid1(VALU_DEP_2)
	v_subrev_nc_u32_e32 v2, 28, v1
	v_sub_nc_u32_e32 v1, 29, v1
	v_lshlrev_b64 v[2:3], v2, v[28:29]
	s_delay_alu instid0(VALU_DEP_1)
	v_and_b32_e32 v28, 7, v2
; %bb.856:                              ;   in Loop: Header=BB266_16 Depth=1
	s_or_b32 exec_lo, exec_lo, s25
	v_lshlrev_b32_e32 v2, 24, v0
	s_delay_alu instid0(VALU_DEP_2) | instskip(SKIP_1) | instid1(VALU_DEP_3)
	v_lshlrev_b32_e32 v3, 20, v28
	v_lshl_add_u32 v1, v1, 23, 0x3c000000
	v_and_b32_e32 v2, 0x80000000, v2
	s_delay_alu instid0(VALU_DEP_1) | instskip(NEXT) | instid1(VALU_DEP_1)
	v_or3_b32 v28, v3, v2, v1
	v_dual_mov_b32 v139, v29 :: v_dual_mov_b32 v138, v28
.LBB266_857:                            ;   in Loop: Header=BB266_16 Depth=1
	s_or_b32 exec_lo, exec_lo, s24
.LBB266_858:                            ;   in Loop: Header=BB266_16 Depth=1
	s_delay_alu instid0(SALU_CYCLE_1)
	s_or_b32 exec_lo, exec_lo, s23
.LBB266_859:                            ;   in Loop: Header=BB266_16 Depth=1
	s_delay_alu instid0(SALU_CYCLE_1) | instskip(SKIP_2) | instid1(VALU_DEP_1)
	s_or_b32 exec_lo, exec_lo, s2
	v_lshrrev_b16 v1, 8, v0
	s_mov_b32 s23, exec_lo
	v_cmpx_ne_u16_e32 0, v1
	s_cbranch_execz .LBB266_867
; %bb.860:                              ;   in Loop: Header=BB266_16 Depth=1
	v_dual_mov_b32 v38, s17 :: v_dual_mov_b32 v37, s16
	s_mov_b32 s24, exec_lo
	v_cmpx_ne_u16_e32 0x80, v1
	s_cbranch_execz .LBB266_866
; %bb.861:                              ;   in Loop: Header=BB266_16 Depth=1
	s_mov_b32 s2, s16
	v_dual_mov_b32 v38, s3 :: v_dual_and_b32 v1, 0xffff, v1
	v_mov_b32_e32 v37, s2
	s_mov_b32 s2, exec_lo
	s_delay_alu instid0(VALU_DEP_2) | instskip(NEXT) | instid1(VALU_DEP_1)
	v_and_b32_e32 v2, 0x7f, v1
	v_cmpx_ne_u32_e32 0x7f, v2
	s_cbranch_execz .LBB266_865
; %bb.862:                              ;   in Loop: Header=BB266_16 Depth=1
	v_and_b32_e32 v28, 7, v1
	v_lshrrev_b32_e32 v1, 3, v2
	s_mov_b32 s25, exec_lo
	v_cmpx_gt_u32_e32 8, v2
; %bb.863:                              ;   in Loop: Header=BB266_16 Depth=1
	s_delay_alu instid0(VALU_DEP_3) | instskip(NEXT) | instid1(VALU_DEP_1)
	v_clz_i32_u32_e32 v1, v28
	v_min_u32_e32 v1, 32, v1
	s_delay_alu instid0(VALU_DEP_1) | instskip(SKIP_1) | instid1(VALU_DEP_2)
	v_subrev_nc_u32_e32 v2, 28, v1
	v_sub_nc_u32_e32 v1, 29, v1
	v_lshlrev_b64 v[2:3], v2, v[28:29]
	s_delay_alu instid0(VALU_DEP_1)
	v_and_b32_e32 v28, 7, v2
; %bb.864:                              ;   in Loop: Header=BB266_16 Depth=1
	s_or_b32 exec_lo, exec_lo, s25
	v_dual_mov_b32 v37, v29 :: v_dual_lshlrev_b32 v2, 16, v0
	s_delay_alu instid0(VALU_DEP_2) | instskip(SKIP_1) | instid1(VALU_DEP_3)
	v_lshlrev_b32_e32 v3, 20, v28
	v_lshl_add_u32 v1, v1, 23, 0x3c000000
	v_and_b32_e32 v2, 0x80000000, v2
	s_delay_alu instid0(VALU_DEP_1)
	v_or3_b32 v38, v3, v2, v1
.LBB266_865:                            ;   in Loop: Header=BB266_16 Depth=1
	s_or_b32 exec_lo, exec_lo, s2
.LBB266_866:                            ;   in Loop: Header=BB266_16 Depth=1
	s_delay_alu instid0(SALU_CYCLE_1)
	s_or_b32 exec_lo, exec_lo, s24
.LBB266_867:                            ;   in Loop: Header=BB266_16 Depth=1
	s_delay_alu instid0(SALU_CYCLE_1) | instskip(SKIP_4) | instid1(VALU_DEP_1)
	s_or_b32 exec_lo, exec_lo, s23
	v_mov_b32_e32 v50, 0
	v_lshrrev_b32_e32 v1, 16, v0
	v_mov_b32_e32 v51, 0
	s_mov_b32 s2, exec_lo
	v_dual_mov_b32 v141, v51 :: v_dual_and_b32 v2, 0xff, v1
	v_mov_b32_e32 v140, v50
	s_delay_alu instid0(VALU_DEP_2)
	v_cmpx_ne_u16_e32 0, v2
	s_cbranch_execz .LBB266_875
; %bb.868:                              ;   in Loop: Header=BB266_16 Depth=1
	v_bfrev_b32_e32 v140, 1
	v_mov_b32_e32 v141, 0
	s_mov_b32 s23, exec_lo
	v_cmpx_ne_u16_e32 0x80, v2
	s_cbranch_execz .LBB266_874
; %bb.869:                              ;   in Loop: Header=BB266_16 Depth=1
	v_mov_b32_e32 v140, 0x7f800001
	v_bfe_u32 v3, v0, 16, 7
	v_mov_b32_e32 v141, 0
	s_mov_b32 s24, exec_lo
	s_delay_alu instid0(VALU_DEP_2)
	v_cmpx_ne_u32_e32 0x7f, v3
	s_cbranch_execz .LBB266_873
; %bb.870:                              ;   in Loop: Header=BB266_16 Depth=1
	v_and_b32_e32 v28, 7, v1
	v_lshrrev_b32_e32 v2, 3, v3
	s_mov_b32 s25, exec_lo
	v_cmpx_gt_u32_e32 8, v3
; %bb.871:                              ;   in Loop: Header=BB266_16 Depth=1
	s_delay_alu instid0(VALU_DEP_3) | instskip(NEXT) | instid1(VALU_DEP_1)
	v_clz_i32_u32_e32 v2, v28
	v_min_u32_e32 v2, 32, v2
	s_delay_alu instid0(VALU_DEP_1) | instskip(SKIP_1) | instid1(VALU_DEP_2)
	v_subrev_nc_u32_e32 v3, 28, v2
	v_sub_nc_u32_e32 v2, 29, v2
	v_lshlrev_b64 v[3:4], v3, v[28:29]
	s_delay_alu instid0(VALU_DEP_1)
	v_and_b32_e32 v28, 7, v3
; %bb.872:                              ;   in Loop: Header=BB266_16 Depth=1
	s_or_b32 exec_lo, exec_lo, s25
	v_lshlrev_b32_e32 v1, 24, v1
	s_delay_alu instid0(VALU_DEP_2) | instskip(SKIP_1) | instid1(VALU_DEP_3)
	v_lshlrev_b32_e32 v3, 20, v28
	v_lshl_add_u32 v2, v2, 23, 0x3c000000
	v_and_b32_e32 v1, 0x80000000, v1
	s_delay_alu instid0(VALU_DEP_1) | instskip(NEXT) | instid1(VALU_DEP_1)
	v_or3_b32 v28, v3, v1, v2
	v_dual_mov_b32 v141, v29 :: v_dual_mov_b32 v140, v28
.LBB266_873:                            ;   in Loop: Header=BB266_16 Depth=1
	s_or_b32 exec_lo, exec_lo, s24
.LBB266_874:                            ;   in Loop: Header=BB266_16 Depth=1
	s_delay_alu instid0(SALU_CYCLE_1)
	s_or_b32 exec_lo, exec_lo, s23
.LBB266_875:                            ;   in Loop: Header=BB266_16 Depth=1
	s_delay_alu instid0(SALU_CYCLE_1) | instskip(NEXT) | instid1(SALU_CYCLE_1)
	s_or_b32 exec_lo, exec_lo, s2
	s_mov_b32 s23, exec_lo
	v_cmpx_lt_u32_e32 0xffffff, v0
	s_cbranch_execz .LBB266_883
; %bb.876:                              ;   in Loop: Header=BB266_16 Depth=1
	v_lshrrev_b32_e32 v1, 24, v0
	v_dual_mov_b32 v51, s17 :: v_dual_mov_b32 v50, s16
	s_mov_b32 s24, exec_lo
	s_delay_alu instid0(VALU_DEP_2)
	v_cmpx_ne_u32_e32 0x80, v1
	s_cbranch_execz .LBB266_882
; %bb.877:                              ;   in Loop: Header=BB266_16 Depth=1
	s_mov_b32 s2, s16
	v_bfe_u32 v2, v0, 24, 7
	v_dual_mov_b32 v51, s3 :: v_dual_mov_b32 v50, s2
	s_mov_b32 s2, exec_lo
	s_delay_alu instid0(VALU_DEP_2)
	v_cmpx_ne_u32_e32 0x7f, v2
	s_cbranch_execz .LBB266_881
; %bb.878:                              ;   in Loop: Header=BB266_16 Depth=1
	v_and_b32_e32 v28, 7, v1
	v_lshrrev_b32_e32 v0, 3, v2
	s_mov_b32 s25, exec_lo
	v_cmpx_gt_u32_e32 8, v2
; %bb.879:                              ;   in Loop: Header=BB266_16 Depth=1
	s_delay_alu instid0(VALU_DEP_3) | instskip(NEXT) | instid1(VALU_DEP_1)
	v_clz_i32_u32_e32 v0, v28
	v_min_u32_e32 v0, 32, v0
	s_delay_alu instid0(VALU_DEP_1) | instskip(SKIP_1) | instid1(VALU_DEP_2)
	v_subrev_nc_u32_e32 v2, 28, v0
	v_sub_nc_u32_e32 v0, 29, v0
	v_lshlrev_b64 v[2:3], v2, v[28:29]
	s_delay_alu instid0(VALU_DEP_1)
	v_and_b32_e32 v28, 7, v2
; %bb.880:                              ;   in Loop: Header=BB266_16 Depth=1
	s_or_b32 exec_lo, exec_lo, s25
	v_dual_mov_b32 v50, v29 :: v_dual_lshlrev_b32 v1, 24, v1
	s_delay_alu instid0(VALU_DEP_2) | instskip(SKIP_1) | instid1(VALU_DEP_3)
	v_lshlrev_b32_e32 v2, 20, v28
	v_lshl_add_u32 v0, v0, 23, 0x3c000000
	v_and_b32_e32 v1, 0x80000000, v1
	s_delay_alu instid0(VALU_DEP_1)
	v_or3_b32 v51, v2, v1, v0
.LBB266_881:                            ;   in Loop: Header=BB266_16 Depth=1
	s_or_b32 exec_lo, exec_lo, s2
.LBB266_882:                            ;   in Loop: Header=BB266_16 Depth=1
	s_delay_alu instid0(SALU_CYCLE_1)
	s_or_b32 exec_lo, exec_lo, s24
.LBB266_883:                            ;   in Loop: Header=BB266_16 Depth=1
	s_delay_alu instid0(SALU_CYCLE_1) | instskip(SKIP_4) | instid1(VALU_DEP_1)
	s_or_b32 exec_lo, exec_lo, s23
	flat_load_b32 v0, v[168:169] offset:3084
	v_mov_b32_e32 v54, 0
	v_mov_b32_e32 v55, 0
	s_mov_b32 s2, exec_lo
	v_dual_mov_b32 v153, v55 :: v_dual_mov_b32 v152, v54
	s_waitcnt vmcnt(0) lgkmcnt(0)
	v_and_b32_e32 v1, 0xff, v0
	s_delay_alu instid0(VALU_DEP_1)
	v_cmpx_ne_u16_e32 0, v1
	s_cbranch_execz .LBB266_891
; %bb.884:                              ;   in Loop: Header=BB266_16 Depth=1
	v_bfrev_b32_e32 v152, 1
	v_mov_b32_e32 v153, 0
	s_mov_b32 s23, exec_lo
	v_cmpx_ne_u16_e32 0x80, v1
	s_cbranch_execz .LBB266_890
; %bb.885:                              ;   in Loop: Header=BB266_16 Depth=1
	v_mov_b32_e32 v152, 0x7f800001
	v_dual_mov_b32 v153, 0 :: v_dual_and_b32 v2, 0x7f, v0
	s_mov_b32 s24, exec_lo
	s_delay_alu instid0(VALU_DEP_1)
	v_cmpx_ne_u32_e32 0x7f, v2
	s_cbranch_execz .LBB266_889
; %bb.886:                              ;   in Loop: Header=BB266_16 Depth=1
	v_and_b32_e32 v28, 7, v0
	v_lshrrev_b32_e32 v1, 3, v2
	s_mov_b32 s25, exec_lo
	v_cmpx_gt_u32_e32 8, v2
; %bb.887:                              ;   in Loop: Header=BB266_16 Depth=1
	s_delay_alu instid0(VALU_DEP_3) | instskip(NEXT) | instid1(VALU_DEP_1)
	v_clz_i32_u32_e32 v1, v28
	v_min_u32_e32 v1, 32, v1
	s_delay_alu instid0(VALU_DEP_1) | instskip(SKIP_1) | instid1(VALU_DEP_2)
	v_subrev_nc_u32_e32 v2, 28, v1
	v_sub_nc_u32_e32 v1, 29, v1
	v_lshlrev_b64 v[2:3], v2, v[28:29]
	s_delay_alu instid0(VALU_DEP_1)
	v_and_b32_e32 v28, 7, v2
; %bb.888:                              ;   in Loop: Header=BB266_16 Depth=1
	s_or_b32 exec_lo, exec_lo, s25
	v_lshlrev_b32_e32 v2, 24, v0
	s_delay_alu instid0(VALU_DEP_2) | instskip(SKIP_1) | instid1(VALU_DEP_3)
	v_lshlrev_b32_e32 v3, 20, v28
	v_lshl_add_u32 v1, v1, 23, 0x3c000000
	v_and_b32_e32 v2, 0x80000000, v2
	s_delay_alu instid0(VALU_DEP_1) | instskip(NEXT) | instid1(VALU_DEP_1)
	v_or3_b32 v28, v3, v2, v1
	v_dual_mov_b32 v153, v29 :: v_dual_mov_b32 v152, v28
.LBB266_889:                            ;   in Loop: Header=BB266_16 Depth=1
	s_or_b32 exec_lo, exec_lo, s24
.LBB266_890:                            ;   in Loop: Header=BB266_16 Depth=1
	s_delay_alu instid0(SALU_CYCLE_1)
	s_or_b32 exec_lo, exec_lo, s23
.LBB266_891:                            ;   in Loop: Header=BB266_16 Depth=1
	s_delay_alu instid0(SALU_CYCLE_1) | instskip(SKIP_2) | instid1(VALU_DEP_1)
	s_or_b32 exec_lo, exec_lo, s2
	v_lshrrev_b16 v1, 8, v0
	s_mov_b32 s23, exec_lo
	v_cmpx_ne_u16_e32 0, v1
	s_cbranch_execz .LBB266_899
; %bb.892:                              ;   in Loop: Header=BB266_16 Depth=1
	v_dual_mov_b32 v55, s17 :: v_dual_mov_b32 v54, s16
	s_mov_b32 s24, exec_lo
	v_cmpx_ne_u16_e32 0x80, v1
	s_cbranch_execz .LBB266_898
; %bb.893:                              ;   in Loop: Header=BB266_16 Depth=1
	s_mov_b32 s2, s16
	v_and_b32_e32 v1, 0xffff, v1
	v_dual_mov_b32 v55, s3 :: v_dual_mov_b32 v54, s2
	s_mov_b32 s2, exec_lo
	s_delay_alu instid0(VALU_DEP_2) | instskip(NEXT) | instid1(VALU_DEP_1)
	v_and_b32_e32 v2, 0x7f, v1
	v_cmpx_ne_u32_e32 0x7f, v2
	s_cbranch_execz .LBB266_897
; %bb.894:                              ;   in Loop: Header=BB266_16 Depth=1
	v_and_b32_e32 v28, 7, v1
	v_lshrrev_b32_e32 v1, 3, v2
	s_mov_b32 s25, exec_lo
	v_cmpx_gt_u32_e32 8, v2
; %bb.895:                              ;   in Loop: Header=BB266_16 Depth=1
	s_delay_alu instid0(VALU_DEP_3) | instskip(NEXT) | instid1(VALU_DEP_1)
	v_clz_i32_u32_e32 v1, v28
	v_min_u32_e32 v1, 32, v1
	s_delay_alu instid0(VALU_DEP_1) | instskip(SKIP_1) | instid1(VALU_DEP_2)
	v_subrev_nc_u32_e32 v2, 28, v1
	v_sub_nc_u32_e32 v1, 29, v1
	v_lshlrev_b64 v[2:3], v2, v[28:29]
	s_delay_alu instid0(VALU_DEP_1)
	v_and_b32_e32 v28, 7, v2
; %bb.896:                              ;   in Loop: Header=BB266_16 Depth=1
	s_or_b32 exec_lo, exec_lo, s25
	v_lshlrev_b32_e32 v2, 16, v0
	s_delay_alu instid0(VALU_DEP_2) | instskip(SKIP_1) | instid1(VALU_DEP_3)
	v_dual_mov_b32 v54, v29 :: v_dual_lshlrev_b32 v3, 20, v28
	v_lshl_add_u32 v1, v1, 23, 0x3c000000
	v_and_b32_e32 v2, 0x80000000, v2
	s_delay_alu instid0(VALU_DEP_1)
	v_or3_b32 v55, v3, v2, v1
.LBB266_897:                            ;   in Loop: Header=BB266_16 Depth=1
	s_or_b32 exec_lo, exec_lo, s2
.LBB266_898:                            ;   in Loop: Header=BB266_16 Depth=1
	s_delay_alu instid0(SALU_CYCLE_1)
	s_or_b32 exec_lo, exec_lo, s24
.LBB266_899:                            ;   in Loop: Header=BB266_16 Depth=1
	s_delay_alu instid0(SALU_CYCLE_1) | instskip(SKIP_4) | instid1(VALU_DEP_2)
	s_or_b32 exec_lo, exec_lo, s23
	v_mov_b32_e32 v156, 0
	v_lshrrev_b32_e32 v1, 16, v0
	v_mov_b32_e32 v157, 0
	s_mov_b32 s2, exec_lo
	v_and_b32_e32 v2, 0xff, v1
	s_delay_alu instid0(VALU_DEP_2) | instskip(NEXT) | instid1(VALU_DEP_2)
	v_dual_mov_b32 v66, v156 :: v_dual_mov_b32 v67, v157
	v_cmpx_ne_u16_e32 0, v2
	s_cbranch_execz .LBB266_907
; %bb.900:                              ;   in Loop: Header=BB266_16 Depth=1
	v_bfrev_b32_e32 v66, 1
	v_mov_b32_e32 v67, 0
	s_mov_b32 s23, exec_lo
	v_cmpx_ne_u16_e32 0x80, v2
	s_cbranch_execz .LBB266_906
; %bb.901:                              ;   in Loop: Header=BB266_16 Depth=1
	v_mov_b32_e32 v66, 0x7f800001
	v_bfe_u32 v3, v0, 16, 7
	v_mov_b32_e32 v67, 0
	s_mov_b32 s24, exec_lo
	s_delay_alu instid0(VALU_DEP_2)
	v_cmpx_ne_u32_e32 0x7f, v3
	s_cbranch_execz .LBB266_905
; %bb.902:                              ;   in Loop: Header=BB266_16 Depth=1
	v_and_b32_e32 v28, 7, v1
	v_lshrrev_b32_e32 v2, 3, v3
	s_mov_b32 s25, exec_lo
	v_cmpx_gt_u32_e32 8, v3
; %bb.903:                              ;   in Loop: Header=BB266_16 Depth=1
	s_delay_alu instid0(VALU_DEP_3) | instskip(NEXT) | instid1(VALU_DEP_1)
	v_clz_i32_u32_e32 v2, v28
	v_min_u32_e32 v2, 32, v2
	s_delay_alu instid0(VALU_DEP_1) | instskip(SKIP_1) | instid1(VALU_DEP_2)
	v_subrev_nc_u32_e32 v3, 28, v2
	v_sub_nc_u32_e32 v2, 29, v2
	v_lshlrev_b64 v[3:4], v3, v[28:29]
	s_delay_alu instid0(VALU_DEP_1)
	v_and_b32_e32 v28, 7, v3
; %bb.904:                              ;   in Loop: Header=BB266_16 Depth=1
	s_or_b32 exec_lo, exec_lo, s25
	v_lshlrev_b32_e32 v1, 24, v1
	s_delay_alu instid0(VALU_DEP_2) | instskip(SKIP_1) | instid1(VALU_DEP_3)
	v_lshlrev_b32_e32 v3, 20, v28
	v_lshl_add_u32 v2, v2, 23, 0x3c000000
	v_and_b32_e32 v1, 0x80000000, v1
	s_delay_alu instid0(VALU_DEP_1) | instskip(NEXT) | instid1(VALU_DEP_1)
	v_or3_b32 v28, v3, v1, v2
	v_dual_mov_b32 v67, v29 :: v_dual_mov_b32 v66, v28
.LBB266_905:                            ;   in Loop: Header=BB266_16 Depth=1
	s_or_b32 exec_lo, exec_lo, s24
.LBB266_906:                            ;   in Loop: Header=BB266_16 Depth=1
	s_delay_alu instid0(SALU_CYCLE_1)
	s_or_b32 exec_lo, exec_lo, s23
.LBB266_907:                            ;   in Loop: Header=BB266_16 Depth=1
	s_delay_alu instid0(SALU_CYCLE_1) | instskip(NEXT) | instid1(SALU_CYCLE_1)
	s_or_b32 exec_lo, exec_lo, s2
	s_mov_b32 s23, exec_lo
	v_cmpx_lt_u32_e32 0xffffff, v0
	s_cbranch_execz .LBB266_915
; %bb.908:                              ;   in Loop: Header=BB266_16 Depth=1
	v_lshrrev_b32_e32 v1, 24, v0
	v_dual_mov_b32 v157, s17 :: v_dual_mov_b32 v156, s16
	s_mov_b32 s24, exec_lo
	s_delay_alu instid0(VALU_DEP_2)
	v_cmpx_ne_u32_e32 0x80, v1
	s_cbranch_execz .LBB266_914
; %bb.909:                              ;   in Loop: Header=BB266_16 Depth=1
	s_mov_b32 s2, s16
	v_bfe_u32 v2, v0, 24, 7
	v_dual_mov_b32 v157, s3 :: v_dual_mov_b32 v156, s2
	s_mov_b32 s2, exec_lo
	s_delay_alu instid0(VALU_DEP_2)
	v_cmpx_ne_u32_e32 0x7f, v2
	s_cbranch_execz .LBB266_913
; %bb.910:                              ;   in Loop: Header=BB266_16 Depth=1
	v_and_b32_e32 v28, 7, v1
	v_lshrrev_b32_e32 v0, 3, v2
	s_mov_b32 s25, exec_lo
	v_cmpx_gt_u32_e32 8, v2
; %bb.911:                              ;   in Loop: Header=BB266_16 Depth=1
	s_delay_alu instid0(VALU_DEP_3) | instskip(NEXT) | instid1(VALU_DEP_1)
	v_clz_i32_u32_e32 v0, v28
	v_min_u32_e32 v0, 32, v0
	s_delay_alu instid0(VALU_DEP_1) | instskip(SKIP_1) | instid1(VALU_DEP_2)
	v_subrev_nc_u32_e32 v2, 28, v0
	v_sub_nc_u32_e32 v0, 29, v0
	v_lshlrev_b64 v[2:3], v2, v[28:29]
	s_delay_alu instid0(VALU_DEP_1)
	v_and_b32_e32 v28, 7, v2
; %bb.912:                              ;   in Loop: Header=BB266_16 Depth=1
	s_or_b32 exec_lo, exec_lo, s25
	v_dual_mov_b32 v156, v29 :: v_dual_lshlrev_b32 v1, 24, v1
	s_delay_alu instid0(VALU_DEP_2) | instskip(SKIP_1) | instid1(VALU_DEP_3)
	v_lshlrev_b32_e32 v2, 20, v28
	v_lshl_add_u32 v0, v0, 23, 0x3c000000
	v_and_b32_e32 v1, 0x80000000, v1
	s_delay_alu instid0(VALU_DEP_1)
	v_or3_b32 v157, v2, v1, v0
.LBB266_913:                            ;   in Loop: Header=BB266_16 Depth=1
	s_or_b32 exec_lo, exec_lo, s2
.LBB266_914:                            ;   in Loop: Header=BB266_16 Depth=1
	s_delay_alu instid0(SALU_CYCLE_1)
	s_or_b32 exec_lo, exec_lo, s24
.LBB266_915:                            ;   in Loop: Header=BB266_16 Depth=1
	s_delay_alu instid0(SALU_CYCLE_1) | instskip(SKIP_3) | instid1(VALU_DEP_2)
	s_or_b32 exec_lo, exec_lo, s23
	flat_load_b32 v0, v[168:169] offset:3584
	v_mov_b32_e32 v170, 0
	v_mov_b32_e32 v171, 0
	;; [unrolled: 1-line block ×3, first 2 shown]
	s_mov_b32 s2, exec_lo
	s_delay_alu instid0(VALU_DEP_2) | instskip(SKIP_2) | instid1(VALU_DEP_1)
	v_mov_b32_e32 v71, v171
	s_waitcnt vmcnt(0) lgkmcnt(0)
	v_and_b32_e32 v1, 0xff, v0
	v_cmpx_ne_u16_e32 0, v1
	s_cbranch_execz .LBB266_923
; %bb.916:                              ;   in Loop: Header=BB266_16 Depth=1
	v_bfrev_b32_e32 v70, 1
	v_mov_b32_e32 v71, 0
	s_mov_b32 s23, exec_lo
	v_cmpx_ne_u16_e32 0x80, v1
	s_cbranch_execz .LBB266_922
; %bb.917:                              ;   in Loop: Header=BB266_16 Depth=1
	v_mov_b32_e32 v70, 0x7f800001
	v_dual_mov_b32 v71, 0 :: v_dual_and_b32 v2, 0x7f, v0
	s_mov_b32 s24, exec_lo
	s_delay_alu instid0(VALU_DEP_1)
	v_cmpx_ne_u32_e32 0x7f, v2
	s_cbranch_execz .LBB266_921
; %bb.918:                              ;   in Loop: Header=BB266_16 Depth=1
	v_and_b32_e32 v28, 7, v0
	v_lshrrev_b32_e32 v1, 3, v2
	s_mov_b32 s25, exec_lo
	v_cmpx_gt_u32_e32 8, v2
; %bb.919:                              ;   in Loop: Header=BB266_16 Depth=1
	s_delay_alu instid0(VALU_DEP_3) | instskip(NEXT) | instid1(VALU_DEP_1)
	v_clz_i32_u32_e32 v1, v28
	v_min_u32_e32 v1, 32, v1
	s_delay_alu instid0(VALU_DEP_1) | instskip(SKIP_1) | instid1(VALU_DEP_2)
	v_subrev_nc_u32_e32 v2, 28, v1
	v_sub_nc_u32_e32 v1, 29, v1
	v_lshlrev_b64 v[2:3], v2, v[28:29]
	s_delay_alu instid0(VALU_DEP_1)
	v_and_b32_e32 v28, 7, v2
; %bb.920:                              ;   in Loop: Header=BB266_16 Depth=1
	s_or_b32 exec_lo, exec_lo, s25
	v_lshlrev_b32_e32 v2, 24, v0
	s_delay_alu instid0(VALU_DEP_2) | instskip(SKIP_1) | instid1(VALU_DEP_3)
	v_lshlrev_b32_e32 v3, 20, v28
	v_lshl_add_u32 v1, v1, 23, 0x3c000000
	v_and_b32_e32 v2, 0x80000000, v2
	s_delay_alu instid0(VALU_DEP_1) | instskip(NEXT) | instid1(VALU_DEP_1)
	v_or3_b32 v28, v3, v2, v1
	v_dual_mov_b32 v71, v29 :: v_dual_mov_b32 v70, v28
.LBB266_921:                            ;   in Loop: Header=BB266_16 Depth=1
	s_or_b32 exec_lo, exec_lo, s24
.LBB266_922:                            ;   in Loop: Header=BB266_16 Depth=1
	s_delay_alu instid0(SALU_CYCLE_1)
	s_or_b32 exec_lo, exec_lo, s23
.LBB266_923:                            ;   in Loop: Header=BB266_16 Depth=1
	s_delay_alu instid0(SALU_CYCLE_1) | instskip(SKIP_2) | instid1(VALU_DEP_1)
	s_or_b32 exec_lo, exec_lo, s2
	v_lshrrev_b16 v1, 8, v0
	s_mov_b32 s23, exec_lo
	v_cmpx_ne_u16_e32 0, v1
	s_cbranch_execz .LBB266_931
; %bb.924:                              ;   in Loop: Header=BB266_16 Depth=1
	v_dual_mov_b32 v171, s17 :: v_dual_mov_b32 v170, s16
	s_mov_b32 s24, exec_lo
	v_cmpx_ne_u16_e32 0x80, v1
	s_cbranch_execz .LBB266_930
; %bb.925:                              ;   in Loop: Header=BB266_16 Depth=1
	s_mov_b32 s2, s16
	v_and_b32_e32 v1, 0xffff, v1
	v_dual_mov_b32 v171, s3 :: v_dual_mov_b32 v170, s2
	s_mov_b32 s2, exec_lo
	s_delay_alu instid0(VALU_DEP_2) | instskip(NEXT) | instid1(VALU_DEP_1)
	v_and_b32_e32 v2, 0x7f, v1
	v_cmpx_ne_u32_e32 0x7f, v2
	s_cbranch_execz .LBB266_929
; %bb.926:                              ;   in Loop: Header=BB266_16 Depth=1
	v_and_b32_e32 v28, 7, v1
	v_lshrrev_b32_e32 v1, 3, v2
	s_mov_b32 s25, exec_lo
	v_cmpx_gt_u32_e32 8, v2
; %bb.927:                              ;   in Loop: Header=BB266_16 Depth=1
	s_delay_alu instid0(VALU_DEP_3) | instskip(NEXT) | instid1(VALU_DEP_1)
	v_clz_i32_u32_e32 v1, v28
	v_min_u32_e32 v1, 32, v1
	s_delay_alu instid0(VALU_DEP_1) | instskip(SKIP_1) | instid1(VALU_DEP_2)
	v_subrev_nc_u32_e32 v2, 28, v1
	v_sub_nc_u32_e32 v1, 29, v1
	v_lshlrev_b64 v[2:3], v2, v[28:29]
	s_delay_alu instid0(VALU_DEP_1)
	v_and_b32_e32 v28, 7, v2
; %bb.928:                              ;   in Loop: Header=BB266_16 Depth=1
	s_or_b32 exec_lo, exec_lo, s25
	v_lshlrev_b32_e32 v2, 16, v0
	s_delay_alu instid0(VALU_DEP_2) | instskip(SKIP_1) | instid1(VALU_DEP_3)
	v_dual_mov_b32 v170, v29 :: v_dual_lshlrev_b32 v3, 20, v28
	v_lshl_add_u32 v1, v1, 23, 0x3c000000
	v_and_b32_e32 v2, 0x80000000, v2
	s_delay_alu instid0(VALU_DEP_1)
	v_or3_b32 v171, v3, v2, v1
.LBB266_929:                            ;   in Loop: Header=BB266_16 Depth=1
	s_or_b32 exec_lo, exec_lo, s2
.LBB266_930:                            ;   in Loop: Header=BB266_16 Depth=1
	s_delay_alu instid0(SALU_CYCLE_1)
	s_or_b32 exec_lo, exec_lo, s24
.LBB266_931:                            ;   in Loop: Header=BB266_16 Depth=1
	s_delay_alu instid0(SALU_CYCLE_1) | instskip(SKIP_4) | instid1(VALU_DEP_2)
	s_or_b32 exec_lo, exec_lo, s23
	v_mov_b32_e32 v174, 0
	v_lshrrev_b32_e32 v1, 16, v0
	v_mov_b32_e32 v175, 0
	s_mov_b32 s2, exec_lo
	v_and_b32_e32 v2, 0xff, v1
	s_delay_alu instid0(VALU_DEP_2) | instskip(NEXT) | instid1(VALU_DEP_2)
	v_dual_mov_b32 v82, v174 :: v_dual_mov_b32 v83, v175
	v_cmpx_ne_u16_e32 0, v2
	s_cbranch_execz .LBB266_939
; %bb.932:                              ;   in Loop: Header=BB266_16 Depth=1
	v_bfrev_b32_e32 v82, 1
	v_mov_b32_e32 v83, 0
	s_mov_b32 s23, exec_lo
	v_cmpx_ne_u16_e32 0x80, v2
	s_cbranch_execz .LBB266_938
; %bb.933:                              ;   in Loop: Header=BB266_16 Depth=1
	v_mov_b32_e32 v82, 0x7f800001
	v_bfe_u32 v3, v0, 16, 7
	v_mov_b32_e32 v83, 0
	s_mov_b32 s24, exec_lo
	s_delay_alu instid0(VALU_DEP_2)
	v_cmpx_ne_u32_e32 0x7f, v3
	s_cbranch_execz .LBB266_937
; %bb.934:                              ;   in Loop: Header=BB266_16 Depth=1
	v_and_b32_e32 v28, 7, v1
	v_lshrrev_b32_e32 v2, 3, v3
	s_mov_b32 s25, exec_lo
	v_cmpx_gt_u32_e32 8, v3
; %bb.935:                              ;   in Loop: Header=BB266_16 Depth=1
	s_delay_alu instid0(VALU_DEP_3) | instskip(NEXT) | instid1(VALU_DEP_1)
	v_clz_i32_u32_e32 v2, v28
	v_min_u32_e32 v2, 32, v2
	s_delay_alu instid0(VALU_DEP_1) | instskip(SKIP_1) | instid1(VALU_DEP_2)
	v_subrev_nc_u32_e32 v3, 28, v2
	v_sub_nc_u32_e32 v2, 29, v2
	v_lshlrev_b64 v[3:4], v3, v[28:29]
	s_delay_alu instid0(VALU_DEP_1)
	v_and_b32_e32 v28, 7, v3
; %bb.936:                              ;   in Loop: Header=BB266_16 Depth=1
	s_or_b32 exec_lo, exec_lo, s25
	v_lshlrev_b32_e32 v1, 24, v1
	s_delay_alu instid0(VALU_DEP_2) | instskip(SKIP_1) | instid1(VALU_DEP_3)
	v_lshlrev_b32_e32 v3, 20, v28
	v_lshl_add_u32 v2, v2, 23, 0x3c000000
	v_and_b32_e32 v1, 0x80000000, v1
	s_delay_alu instid0(VALU_DEP_1) | instskip(NEXT) | instid1(VALU_DEP_1)
	v_or3_b32 v28, v3, v1, v2
	v_dual_mov_b32 v83, v29 :: v_dual_mov_b32 v82, v28
.LBB266_937:                            ;   in Loop: Header=BB266_16 Depth=1
	s_or_b32 exec_lo, exec_lo, s24
.LBB266_938:                            ;   in Loop: Header=BB266_16 Depth=1
	s_delay_alu instid0(SALU_CYCLE_1)
	s_or_b32 exec_lo, exec_lo, s23
.LBB266_939:                            ;   in Loop: Header=BB266_16 Depth=1
	s_delay_alu instid0(SALU_CYCLE_1) | instskip(NEXT) | instid1(SALU_CYCLE_1)
	s_or_b32 exec_lo, exec_lo, s2
	s_mov_b32 s23, exec_lo
	v_cmpx_lt_u32_e32 0xffffff, v0
	s_cbranch_execz .LBB266_947
; %bb.940:                              ;   in Loop: Header=BB266_16 Depth=1
	v_lshrrev_b32_e32 v1, 24, v0
	v_dual_mov_b32 v175, s17 :: v_dual_mov_b32 v174, s16
	s_mov_b32 s24, exec_lo
	s_delay_alu instid0(VALU_DEP_2)
	v_cmpx_ne_u32_e32 0x80, v1
	s_cbranch_execz .LBB266_946
; %bb.941:                              ;   in Loop: Header=BB266_16 Depth=1
	s_mov_b32 s2, s16
	v_bfe_u32 v2, v0, 24, 7
	v_dual_mov_b32 v175, s3 :: v_dual_mov_b32 v174, s2
	s_mov_b32 s2, exec_lo
	s_delay_alu instid0(VALU_DEP_2)
	v_cmpx_ne_u32_e32 0x7f, v2
	s_cbranch_execz .LBB266_945
; %bb.942:                              ;   in Loop: Header=BB266_16 Depth=1
	v_and_b32_e32 v28, 7, v1
	v_lshrrev_b32_e32 v0, 3, v2
	s_mov_b32 s25, exec_lo
	v_cmpx_gt_u32_e32 8, v2
; %bb.943:                              ;   in Loop: Header=BB266_16 Depth=1
	s_delay_alu instid0(VALU_DEP_3) | instskip(NEXT) | instid1(VALU_DEP_1)
	v_clz_i32_u32_e32 v0, v28
	v_min_u32_e32 v0, 32, v0
	s_delay_alu instid0(VALU_DEP_1) | instskip(SKIP_1) | instid1(VALU_DEP_2)
	v_subrev_nc_u32_e32 v2, 28, v0
	v_sub_nc_u32_e32 v0, 29, v0
	v_lshlrev_b64 v[2:3], v2, v[28:29]
	s_delay_alu instid0(VALU_DEP_1)
	v_and_b32_e32 v28, 7, v2
; %bb.944:                              ;   in Loop: Header=BB266_16 Depth=1
	s_or_b32 exec_lo, exec_lo, s25
	v_dual_mov_b32 v174, v29 :: v_dual_lshlrev_b32 v1, 24, v1
	s_delay_alu instid0(VALU_DEP_2) | instskip(SKIP_1) | instid1(VALU_DEP_3)
	v_lshlrev_b32_e32 v2, 20, v28
	v_lshl_add_u32 v0, v0, 23, 0x3c000000
	v_and_b32_e32 v1, 0x80000000, v1
	s_delay_alu instid0(VALU_DEP_1)
	v_or3_b32 v175, v2, v1, v0
.LBB266_945:                            ;   in Loop: Header=BB266_16 Depth=1
	s_or_b32 exec_lo, exec_lo, s2
.LBB266_946:                            ;   in Loop: Header=BB266_16 Depth=1
	s_delay_alu instid0(SALU_CYCLE_1)
	s_or_b32 exec_lo, exec_lo, s24
.LBB266_947:                            ;   in Loop: Header=BB266_16 Depth=1
	s_delay_alu instid0(SALU_CYCLE_1) | instskip(SKIP_3) | instid1(VALU_DEP_2)
	s_or_b32 exec_lo, exec_lo, s23
	flat_load_b32 v0, v[168:169] offset:3588
	v_mov_b32_e32 v190, 0
	v_mov_b32_e32 v191, 0
	;; [unrolled: 1-line block ×3, first 2 shown]
	s_mov_b32 s2, exec_lo
	s_delay_alu instid0(VALU_DEP_2) | instskip(SKIP_2) | instid1(VALU_DEP_1)
	v_mov_b32_e32 v87, v191
	s_waitcnt vmcnt(0) lgkmcnt(0)
	v_and_b32_e32 v1, 0xff, v0
	v_cmpx_ne_u16_e32 0, v1
	s_cbranch_execz .LBB266_955
; %bb.948:                              ;   in Loop: Header=BB266_16 Depth=1
	v_bfrev_b32_e32 v86, 1
	v_mov_b32_e32 v87, 0
	s_mov_b32 s23, exec_lo
	v_cmpx_ne_u16_e32 0x80, v1
	s_cbranch_execz .LBB266_954
; %bb.949:                              ;   in Loop: Header=BB266_16 Depth=1
	v_mov_b32_e32 v86, 0x7f800001
	v_dual_mov_b32 v87, 0 :: v_dual_and_b32 v2, 0x7f, v0
	s_mov_b32 s24, exec_lo
	s_delay_alu instid0(VALU_DEP_1)
	v_cmpx_ne_u32_e32 0x7f, v2
	s_cbranch_execz .LBB266_953
; %bb.950:                              ;   in Loop: Header=BB266_16 Depth=1
	v_and_b32_e32 v28, 7, v0
	v_lshrrev_b32_e32 v1, 3, v2
	s_mov_b32 s25, exec_lo
	v_cmpx_gt_u32_e32 8, v2
; %bb.951:                              ;   in Loop: Header=BB266_16 Depth=1
	s_delay_alu instid0(VALU_DEP_3) | instskip(NEXT) | instid1(VALU_DEP_1)
	v_clz_i32_u32_e32 v1, v28
	v_min_u32_e32 v1, 32, v1
	s_delay_alu instid0(VALU_DEP_1) | instskip(SKIP_1) | instid1(VALU_DEP_2)
	v_subrev_nc_u32_e32 v2, 28, v1
	v_sub_nc_u32_e32 v1, 29, v1
	v_lshlrev_b64 v[2:3], v2, v[28:29]
	s_delay_alu instid0(VALU_DEP_1)
	v_and_b32_e32 v28, 7, v2
; %bb.952:                              ;   in Loop: Header=BB266_16 Depth=1
	s_or_b32 exec_lo, exec_lo, s25
	v_lshlrev_b32_e32 v2, 24, v0
	s_delay_alu instid0(VALU_DEP_2) | instskip(SKIP_1) | instid1(VALU_DEP_3)
	v_lshlrev_b32_e32 v3, 20, v28
	v_lshl_add_u32 v1, v1, 23, 0x3c000000
	v_and_b32_e32 v2, 0x80000000, v2
	s_delay_alu instid0(VALU_DEP_1) | instskip(NEXT) | instid1(VALU_DEP_1)
	v_or3_b32 v28, v3, v2, v1
	v_dual_mov_b32 v87, v29 :: v_dual_mov_b32 v86, v28
.LBB266_953:                            ;   in Loop: Header=BB266_16 Depth=1
	s_or_b32 exec_lo, exec_lo, s24
.LBB266_954:                            ;   in Loop: Header=BB266_16 Depth=1
	s_delay_alu instid0(SALU_CYCLE_1)
	s_or_b32 exec_lo, exec_lo, s23
.LBB266_955:                            ;   in Loop: Header=BB266_16 Depth=1
	s_delay_alu instid0(SALU_CYCLE_1) | instskip(SKIP_2) | instid1(VALU_DEP_1)
	s_or_b32 exec_lo, exec_lo, s2
	v_lshrrev_b16 v1, 8, v0
	s_mov_b32 s23, exec_lo
	v_cmpx_ne_u16_e32 0, v1
	s_cbranch_execz .LBB266_963
; %bb.956:                              ;   in Loop: Header=BB266_16 Depth=1
	v_dual_mov_b32 v191, s17 :: v_dual_mov_b32 v190, s16
	s_mov_b32 s24, exec_lo
	v_cmpx_ne_u16_e32 0x80, v1
	s_cbranch_execz .LBB266_962
; %bb.957:                              ;   in Loop: Header=BB266_16 Depth=1
	s_mov_b32 s2, s16
	v_and_b32_e32 v1, 0xffff, v1
	v_dual_mov_b32 v191, s3 :: v_dual_mov_b32 v190, s2
	s_mov_b32 s2, exec_lo
	s_delay_alu instid0(VALU_DEP_2) | instskip(NEXT) | instid1(VALU_DEP_1)
	v_and_b32_e32 v2, 0x7f, v1
	v_cmpx_ne_u32_e32 0x7f, v2
	s_cbranch_execz .LBB266_961
; %bb.958:                              ;   in Loop: Header=BB266_16 Depth=1
	v_and_b32_e32 v28, 7, v1
	v_lshrrev_b32_e32 v1, 3, v2
	s_mov_b32 s25, exec_lo
	v_cmpx_gt_u32_e32 8, v2
; %bb.959:                              ;   in Loop: Header=BB266_16 Depth=1
	s_delay_alu instid0(VALU_DEP_3) | instskip(NEXT) | instid1(VALU_DEP_1)
	v_clz_i32_u32_e32 v1, v28
	v_min_u32_e32 v1, 32, v1
	s_delay_alu instid0(VALU_DEP_1) | instskip(SKIP_1) | instid1(VALU_DEP_2)
	v_subrev_nc_u32_e32 v2, 28, v1
	v_sub_nc_u32_e32 v1, 29, v1
	v_lshlrev_b64 v[2:3], v2, v[28:29]
	s_delay_alu instid0(VALU_DEP_1)
	v_and_b32_e32 v28, 7, v2
; %bb.960:                              ;   in Loop: Header=BB266_16 Depth=1
	s_or_b32 exec_lo, exec_lo, s25
	v_lshlrev_b32_e32 v2, 16, v0
	s_delay_alu instid0(VALU_DEP_2) | instskip(SKIP_1) | instid1(VALU_DEP_3)
	v_dual_mov_b32 v190, v29 :: v_dual_lshlrev_b32 v3, 20, v28
	v_lshl_add_u32 v1, v1, 23, 0x3c000000
	v_and_b32_e32 v2, 0x80000000, v2
	s_delay_alu instid0(VALU_DEP_1)
	v_or3_b32 v191, v3, v2, v1
.LBB266_961:                            ;   in Loop: Header=BB266_16 Depth=1
	s_or_b32 exec_lo, exec_lo, s2
.LBB266_962:                            ;   in Loop: Header=BB266_16 Depth=1
	s_delay_alu instid0(SALU_CYCLE_1)
	s_or_b32 exec_lo, exec_lo, s24
.LBB266_963:                            ;   in Loop: Header=BB266_16 Depth=1
	s_delay_alu instid0(SALU_CYCLE_1) | instskip(SKIP_4) | instid1(VALU_DEP_1)
	s_or_b32 exec_lo, exec_lo, s23
	v_mov_b32_e32 v10, 0
	v_lshrrev_b32_e32 v1, 16, v0
	v_mov_b32_e32 v11, 0
	s_mov_b32 s2, exec_lo
	v_dual_mov_b32 v13, v11 :: v_dual_and_b32 v2, 0xff, v1
	v_mov_b32_e32 v12, v10
	s_delay_alu instid0(VALU_DEP_2)
	v_cmpx_ne_u16_e32 0, v2
	s_cbranch_execz .LBB266_971
; %bb.964:                              ;   in Loop: Header=BB266_16 Depth=1
	v_bfrev_b32_e32 v12, 1
	v_mov_b32_e32 v13, 0
	s_mov_b32 s23, exec_lo
	v_cmpx_ne_u16_e32 0x80, v2
	s_cbranch_execz .LBB266_970
; %bb.965:                              ;   in Loop: Header=BB266_16 Depth=1
	v_mov_b32_e32 v12, 0x7f800001
	v_bfe_u32 v3, v0, 16, 7
	v_mov_b32_e32 v13, 0
	s_mov_b32 s24, exec_lo
	s_delay_alu instid0(VALU_DEP_2)
	v_cmpx_ne_u32_e32 0x7f, v3
	s_cbranch_execz .LBB266_969
; %bb.966:                              ;   in Loop: Header=BB266_16 Depth=1
	v_and_b32_e32 v28, 7, v1
	v_lshrrev_b32_e32 v2, 3, v3
	s_mov_b32 s25, exec_lo
	v_cmpx_gt_u32_e32 8, v3
; %bb.967:                              ;   in Loop: Header=BB266_16 Depth=1
	s_delay_alu instid0(VALU_DEP_3) | instskip(NEXT) | instid1(VALU_DEP_1)
	v_clz_i32_u32_e32 v2, v28
	v_min_u32_e32 v2, 32, v2
	s_delay_alu instid0(VALU_DEP_1) | instskip(SKIP_1) | instid1(VALU_DEP_2)
	v_subrev_nc_u32_e32 v3, 28, v2
	v_sub_nc_u32_e32 v2, 29, v2
	v_lshlrev_b64 v[3:4], v3, v[28:29]
	s_delay_alu instid0(VALU_DEP_1)
	v_and_b32_e32 v28, 7, v3
; %bb.968:                              ;   in Loop: Header=BB266_16 Depth=1
	s_or_b32 exec_lo, exec_lo, s25
	v_lshlrev_b32_e32 v1, 24, v1
	s_delay_alu instid0(VALU_DEP_2) | instskip(SKIP_1) | instid1(VALU_DEP_3)
	v_lshlrev_b32_e32 v3, 20, v28
	v_lshl_add_u32 v2, v2, 23, 0x3c000000
	v_and_b32_e32 v1, 0x80000000, v1
	s_delay_alu instid0(VALU_DEP_1) | instskip(NEXT) | instid1(VALU_DEP_1)
	v_or3_b32 v28, v3, v1, v2
	v_dual_mov_b32 v12, v28 :: v_dual_mov_b32 v13, v29
.LBB266_969:                            ;   in Loop: Header=BB266_16 Depth=1
	s_or_b32 exec_lo, exec_lo, s24
.LBB266_970:                            ;   in Loop: Header=BB266_16 Depth=1
	s_delay_alu instid0(SALU_CYCLE_1)
	s_or_b32 exec_lo, exec_lo, s23
.LBB266_971:                            ;   in Loop: Header=BB266_16 Depth=1
	s_delay_alu instid0(SALU_CYCLE_1) | instskip(NEXT) | instid1(SALU_CYCLE_1)
	s_or_b32 exec_lo, exec_lo, s2
	s_mov_b32 s23, exec_lo
	v_cmpx_lt_u32_e32 0xffffff, v0
	s_cbranch_execz .LBB266_979
; %bb.972:                              ;   in Loop: Header=BB266_16 Depth=1
	v_lshrrev_b32_e32 v1, 24, v0
	v_dual_mov_b32 v10, s16 :: v_dual_mov_b32 v11, s17
	s_mov_b32 s24, exec_lo
	s_delay_alu instid0(VALU_DEP_2)
	v_cmpx_ne_u32_e32 0x80, v1
	s_cbranch_execz .LBB266_978
; %bb.973:                              ;   in Loop: Header=BB266_16 Depth=1
	s_mov_b32 s2, s16
	v_bfe_u32 v2, v0, 24, 7
	v_dual_mov_b32 v11, s3 :: v_dual_mov_b32 v10, s2
	s_mov_b32 s2, exec_lo
	s_delay_alu instid0(VALU_DEP_2)
	v_cmpx_ne_u32_e32 0x7f, v2
	s_cbranch_execz .LBB266_977
; %bb.974:                              ;   in Loop: Header=BB266_16 Depth=1
	v_and_b32_e32 v28, 7, v1
	v_lshrrev_b32_e32 v0, 3, v2
	s_mov_b32 s25, exec_lo
	v_cmpx_gt_u32_e32 8, v2
; %bb.975:                              ;   in Loop: Header=BB266_16 Depth=1
	s_delay_alu instid0(VALU_DEP_3) | instskip(NEXT) | instid1(VALU_DEP_1)
	v_clz_i32_u32_e32 v0, v28
	v_min_u32_e32 v0, 32, v0
	s_delay_alu instid0(VALU_DEP_1) | instskip(SKIP_1) | instid1(VALU_DEP_2)
	v_subrev_nc_u32_e32 v2, 28, v0
	v_sub_nc_u32_e32 v0, 29, v0
	v_lshlrev_b64 v[2:3], v2, v[28:29]
	s_delay_alu instid0(VALU_DEP_1)
	v_and_b32_e32 v28, 7, v2
; %bb.976:                              ;   in Loop: Header=BB266_16 Depth=1
	s_or_b32 exec_lo, exec_lo, s25
	v_dual_mov_b32 v10, v29 :: v_dual_lshlrev_b32 v1, 24, v1
	s_delay_alu instid0(VALU_DEP_2) | instskip(SKIP_1) | instid1(VALU_DEP_3)
	v_lshlrev_b32_e32 v2, 20, v28
	v_lshl_add_u32 v0, v0, 23, 0x3c000000
	v_and_b32_e32 v1, 0x80000000, v1
	s_delay_alu instid0(VALU_DEP_1)
	v_or3_b32 v11, v2, v1, v0
.LBB266_977:                            ;   in Loop: Header=BB266_16 Depth=1
	s_or_b32 exec_lo, exec_lo, s2
.LBB266_978:                            ;   in Loop: Header=BB266_16 Depth=1
	s_delay_alu instid0(SALU_CYCLE_1)
	s_or_b32 exec_lo, exec_lo, s24
.LBB266_979:                            ;   in Loop: Header=BB266_16 Depth=1
	s_delay_alu instid0(SALU_CYCLE_1) | instskip(SKIP_3) | instid1(VALU_DEP_2)
	s_or_b32 exec_lo, exec_lo, s23
	flat_load_b32 v4, v[168:169] offset:3592
	v_mov_b32_e32 v2, 0
	v_mov_b32_e32 v3, 0
	;; [unrolled: 1-line block ×3, first 2 shown]
	s_mov_b32 s2, exec_lo
	s_delay_alu instid0(VALU_DEP_2) | instskip(SKIP_2) | instid1(VALU_DEP_1)
	v_mov_b32_e32 v1, v3
	s_waitcnt vmcnt(0) lgkmcnt(0)
	v_and_b32_e32 v5, 0xff, v4
	v_cmpx_ne_u16_e32 0, v5
	s_cbranch_execz .LBB266_987
; %bb.980:                              ;   in Loop: Header=BB266_16 Depth=1
	v_bfrev_b32_e32 v0, 1
	v_mov_b32_e32 v1, 0
	s_mov_b32 s23, exec_lo
	v_cmpx_ne_u16_e32 0x80, v5
	s_cbranch_execz .LBB266_986
; %bb.981:                              ;   in Loop: Header=BB266_16 Depth=1
	v_mov_b32_e32 v0, 0x7f800001
	v_and_b32_e32 v5, 0x7f, v4
	v_mov_b32_e32 v1, 0
	s_mov_b32 s24, exec_lo
	s_delay_alu instid0(VALU_DEP_2)
	v_cmpx_ne_u32_e32 0x7f, v5
	s_cbranch_execz .LBB266_985
; %bb.982:                              ;   in Loop: Header=BB266_16 Depth=1
	v_and_b32_e32 v28, 7, v4
	v_lshrrev_b32_e32 v0, 3, v5
	s_mov_b32 s25, exec_lo
	v_cmpx_gt_u32_e32 8, v5
; %bb.983:                              ;   in Loop: Header=BB266_16 Depth=1
	s_delay_alu instid0(VALU_DEP_3) | instskip(NEXT) | instid1(VALU_DEP_1)
	v_clz_i32_u32_e32 v0, v28
	v_min_u32_e32 v0, 32, v0
	s_delay_alu instid0(VALU_DEP_1) | instskip(SKIP_1) | instid1(VALU_DEP_2)
	v_subrev_nc_u32_e32 v1, 28, v0
	v_sub_nc_u32_e32 v0, 29, v0
	v_lshlrev_b64 v[14:15], v1, v[28:29]
	s_delay_alu instid0(VALU_DEP_1)
	v_and_b32_e32 v28, 7, v14
; %bb.984:                              ;   in Loop: Header=BB266_16 Depth=1
	s_or_b32 exec_lo, exec_lo, s25
	v_lshlrev_b32_e32 v1, 24, v4
	s_delay_alu instid0(VALU_DEP_2) | instskip(SKIP_1) | instid1(VALU_DEP_3)
	v_lshlrev_b32_e32 v5, 20, v28
	v_lshl_add_u32 v0, v0, 23, 0x3c000000
	v_and_b32_e32 v1, 0x80000000, v1
	s_delay_alu instid0(VALU_DEP_1) | instskip(NEXT) | instid1(VALU_DEP_1)
	v_or3_b32 v28, v5, v1, v0
	v_dual_mov_b32 v0, v28 :: v_dual_mov_b32 v1, v29
.LBB266_985:                            ;   in Loop: Header=BB266_16 Depth=1
	s_or_b32 exec_lo, exec_lo, s24
.LBB266_986:                            ;   in Loop: Header=BB266_16 Depth=1
	s_delay_alu instid0(SALU_CYCLE_1)
	s_or_b32 exec_lo, exec_lo, s23
.LBB266_987:                            ;   in Loop: Header=BB266_16 Depth=1
	s_delay_alu instid0(SALU_CYCLE_1) | instskip(SKIP_2) | instid1(VALU_DEP_1)
	s_or_b32 exec_lo, exec_lo, s2
	v_lshrrev_b16 v5, 8, v4
	s_mov_b32 s23, exec_lo
	v_cmpx_ne_u16_e32 0, v5
	s_cbranch_execz .LBB266_995
; %bb.988:                              ;   in Loop: Header=BB266_16 Depth=1
	v_dual_mov_b32 v2, s16 :: v_dual_mov_b32 v3, s17
	s_mov_b32 s24, exec_lo
	v_cmpx_ne_u16_e32 0x80, v5
	s_cbranch_execz .LBB266_994
; %bb.989:                              ;   in Loop: Header=BB266_16 Depth=1
	s_mov_b32 s2, s16
	v_and_b32_e32 v14, 0xffff, v5
	v_dual_mov_b32 v2, s2 :: v_dual_mov_b32 v3, s3
	s_mov_b32 s2, exec_lo
	s_delay_alu instid0(VALU_DEP_2) | instskip(NEXT) | instid1(VALU_DEP_1)
	v_and_b32_e32 v5, 0x7f, v14
	v_cmpx_ne_u32_e32 0x7f, v5
	s_cbranch_execz .LBB266_993
; %bb.990:                              ;   in Loop: Header=BB266_16 Depth=1
	v_and_b32_e32 v28, 7, v14
	v_lshrrev_b32_e32 v2, 3, v5
	s_mov_b32 s25, exec_lo
	v_cmpx_gt_u32_e32 8, v5
; %bb.991:                              ;   in Loop: Header=BB266_16 Depth=1
	s_delay_alu instid0(VALU_DEP_3) | instskip(NEXT) | instid1(VALU_DEP_1)
	v_clz_i32_u32_e32 v2, v28
	v_min_u32_e32 v2, 32, v2
	s_delay_alu instid0(VALU_DEP_1) | instskip(SKIP_1) | instid1(VALU_DEP_2)
	v_subrev_nc_u32_e32 v3, 28, v2
	v_sub_nc_u32_e32 v2, 29, v2
	v_lshlrev_b64 v[14:15], v3, v[28:29]
	s_delay_alu instid0(VALU_DEP_1)
	v_and_b32_e32 v28, 7, v14
; %bb.992:                              ;   in Loop: Header=BB266_16 Depth=1
	s_or_b32 exec_lo, exec_lo, s25
	v_lshlrev_b32_e32 v3, 16, v4
	s_delay_alu instid0(VALU_DEP_2) | instskip(SKIP_1) | instid1(VALU_DEP_3)
	v_lshlrev_b32_e32 v5, 20, v28
	v_lshl_add_u32 v2, v2, 23, 0x3c000000
	v_and_b32_e32 v3, 0x80000000, v3
	s_delay_alu instid0(VALU_DEP_1)
	v_or3_b32 v3, v5, v3, v2
	v_mov_b32_e32 v2, v29
.LBB266_993:                            ;   in Loop: Header=BB266_16 Depth=1
	s_or_b32 exec_lo, exec_lo, s2
.LBB266_994:                            ;   in Loop: Header=BB266_16 Depth=1
	s_delay_alu instid0(SALU_CYCLE_1)
	s_or_b32 exec_lo, exec_lo, s24
.LBB266_995:                            ;   in Loop: Header=BB266_16 Depth=1
	s_delay_alu instid0(SALU_CYCLE_1) | instskip(SKIP_4) | instid1(VALU_DEP_1)
	s_or_b32 exec_lo, exec_lo, s23
	v_mov_b32_e32 v14, 0
	v_lshrrev_b32_e32 v5, 16, v4
	v_mov_b32_e32 v15, 0
	s_mov_b32 s2, exec_lo
	v_dual_mov_b32 v115, v15 :: v_dual_and_b32 v16, 0xff, v5
	v_mov_b32_e32 v114, v14
	s_delay_alu instid0(VALU_DEP_2)
	v_cmpx_ne_u16_e32 0, v16
	s_cbranch_execz .LBB266_1003
; %bb.996:                              ;   in Loop: Header=BB266_16 Depth=1
	v_bfrev_b32_e32 v114, 1
	v_mov_b32_e32 v115, 0
	s_mov_b32 s23, exec_lo
	v_cmpx_ne_u16_e32 0x80, v16
	s_cbranch_execz .LBB266_1002
; %bb.997:                              ;   in Loop: Header=BB266_16 Depth=1
	v_mov_b32_e32 v114, 0x7f800001
	v_bfe_u32 v99, v4, 16, 7
	v_mov_b32_e32 v115, 0
	s_mov_b32 s24, exec_lo
	s_delay_alu instid0(VALU_DEP_2)
	v_cmpx_ne_u32_e32 0x7f, v99
	s_cbranch_execz .LBB266_1001
; %bb.998:                              ;   in Loop: Header=BB266_16 Depth=1
	v_and_b32_e32 v28, 7, v5
	v_lshrrev_b32_e32 v98, 3, v99
	s_mov_b32 s25, exec_lo
	v_cmpx_gt_u32_e32 8, v99
; %bb.999:                              ;   in Loop: Header=BB266_16 Depth=1
	s_delay_alu instid0(VALU_DEP_3) | instskip(NEXT) | instid1(VALU_DEP_1)
	v_clz_i32_u32_e32 v16, v28
	v_min_u32_e32 v98, 32, v16
	s_delay_alu instid0(VALU_DEP_1) | instskip(SKIP_1) | instid1(VALU_DEP_2)
	v_subrev_nc_u32_e32 v16, 28, v98
	v_sub_nc_u32_e32 v98, 29, v98
	v_lshlrev_b64 v[16:17], v16, v[28:29]
	s_delay_alu instid0(VALU_DEP_1)
	v_and_b32_e32 v28, 7, v16
; %bb.1000:                             ;   in Loop: Header=BB266_16 Depth=1
	s_or_b32 exec_lo, exec_lo, s25
	v_lshlrev_b32_e32 v5, 24, v5
	s_delay_alu instid0(VALU_DEP_2) | instskip(SKIP_1) | instid1(VALU_DEP_3)
	v_lshlrev_b32_e32 v16, 20, v28
	v_lshl_add_u32 v17, v98, 23, 0x3c000000
	v_and_b32_e32 v5, 0x80000000, v5
	s_delay_alu instid0(VALU_DEP_1) | instskip(NEXT) | instid1(VALU_DEP_1)
	v_or3_b32 v28, v16, v5, v17
	v_dual_mov_b32 v115, v29 :: v_dual_mov_b32 v114, v28
.LBB266_1001:                           ;   in Loop: Header=BB266_16 Depth=1
	s_or_b32 exec_lo, exec_lo, s24
.LBB266_1002:                           ;   in Loop: Header=BB266_16 Depth=1
	s_delay_alu instid0(SALU_CYCLE_1)
	s_or_b32 exec_lo, exec_lo, s23
.LBB266_1003:                           ;   in Loop: Header=BB266_16 Depth=1
	s_delay_alu instid0(SALU_CYCLE_1) | instskip(NEXT) | instid1(SALU_CYCLE_1)
	s_or_b32 exec_lo, exec_lo, s2
	s_mov_b32 s23, exec_lo
	v_cmpx_lt_u32_e32 0xffffff, v4
	s_cbranch_execz .LBB266_1011
; %bb.1004:                             ;   in Loop: Header=BB266_16 Depth=1
	v_lshrrev_b32_e32 v5, 24, v4
	v_dual_mov_b32 v14, s16 :: v_dual_mov_b32 v15, s17
	s_mov_b32 s24, exec_lo
	s_delay_alu instid0(VALU_DEP_2)
	v_cmpx_ne_u32_e32 0x80, v5
	s_cbranch_execz .LBB266_1010
; %bb.1005:                             ;   in Loop: Header=BB266_16 Depth=1
	s_mov_b32 s2, s16
	v_bfe_u32 v98, v4, 24, 7
	v_dual_mov_b32 v15, s3 :: v_dual_mov_b32 v14, s2
	s_mov_b32 s2, exec_lo
	s_delay_alu instid0(VALU_DEP_2)
	v_cmpx_ne_u32_e32 0x7f, v98
	s_cbranch_execz .LBB266_1009
; %bb.1006:                             ;   in Loop: Header=BB266_16 Depth=1
	v_and_b32_e32 v28, 7, v5
	v_lshrrev_b32_e32 v4, 3, v98
	s_mov_b32 s25, exec_lo
	v_cmpx_gt_u32_e32 8, v98
; %bb.1007:                             ;   in Loop: Header=BB266_16 Depth=1
	s_delay_alu instid0(VALU_DEP_3) | instskip(NEXT) | instid1(VALU_DEP_1)
	v_clz_i32_u32_e32 v4, v28
	v_min_u32_e32 v4, 32, v4
	s_delay_alu instid0(VALU_DEP_1) | instskip(SKIP_1) | instid1(VALU_DEP_2)
	v_subrev_nc_u32_e32 v14, 28, v4
	v_sub_nc_u32_e32 v4, 29, v4
	v_lshlrev_b64 v[14:15], v14, v[28:29]
	s_delay_alu instid0(VALU_DEP_1)
	v_and_b32_e32 v28, 7, v14
; %bb.1008:                             ;   in Loop: Header=BB266_16 Depth=1
	s_or_b32 exec_lo, exec_lo, s25
	v_lshlrev_b32_e32 v5, 24, v5
	s_delay_alu instid0(VALU_DEP_2) | instskip(SKIP_1) | instid1(VALU_DEP_3)
	v_lshlrev_b32_e32 v14, 20, v28
	v_lshl_add_u32 v4, v4, 23, 0x3c000000
	v_and_b32_e32 v5, 0x80000000, v5
	s_delay_alu instid0(VALU_DEP_1)
	v_or3_b32 v15, v14, v5, v4
	v_mov_b32_e32 v14, v29
.LBB266_1009:                           ;   in Loop: Header=BB266_16 Depth=1
	s_or_b32 exec_lo, exec_lo, s2
.LBB266_1010:                           ;   in Loop: Header=BB266_16 Depth=1
	s_delay_alu instid0(SALU_CYCLE_1)
	s_or_b32 exec_lo, exec_lo, s24
.LBB266_1011:                           ;   in Loop: Header=BB266_16 Depth=1
	s_delay_alu instid0(SALU_CYCLE_1)
	s_or_b32 exec_lo, exec_lo, s23
	flat_load_b32 v118, v[168:169] offset:3596
	v_mov_b32_e32 v168, 0
	v_mov_b32_e32 v169, 0
	s_mov_b32 s2, exec_lo
	s_waitcnt vmcnt(0) lgkmcnt(0)
	s_delay_alu instid0(VALU_DEP_1) | instskip(SKIP_1) | instid1(VALU_DEP_2)
	v_dual_mov_b32 v187, v169 :: v_dual_and_b32 v4, 0xff, v118
	v_mov_b32_e32 v186, v168
	v_cmpx_ne_u16_e32 0, v4
	s_cbranch_execz .LBB266_1019
; %bb.1012:                             ;   in Loop: Header=BB266_16 Depth=1
	v_bfrev_b32_e32 v186, 1
	v_mov_b32_e32 v187, 0
	s_mov_b32 s23, exec_lo
	v_cmpx_ne_u16_e32 0x80, v4
	s_cbranch_execz .LBB266_1018
; %bb.1013:                             ;   in Loop: Header=BB266_16 Depth=1
	v_mov_b32_e32 v186, 0x7f800001
	v_and_b32_e32 v5, 0x7f, v118
	v_mov_b32_e32 v187, 0
	s_mov_b32 s24, exec_lo
	s_delay_alu instid0(VALU_DEP_2)
	v_cmpx_ne_u32_e32 0x7f, v5
	s_cbranch_execz .LBB266_1017
; %bb.1014:                             ;   in Loop: Header=BB266_16 Depth=1
	v_and_b32_e32 v28, 7, v118
	v_lshrrev_b32_e32 v4, 3, v5
	s_mov_b32 s25, exec_lo
	v_cmpx_gt_u32_e32 8, v5
; %bb.1015:                             ;   in Loop: Header=BB266_16 Depth=1
	s_delay_alu instid0(VALU_DEP_3) | instskip(NEXT) | instid1(VALU_DEP_1)
	v_clz_i32_u32_e32 v4, v28
	v_min_u32_e32 v4, 32, v4
	s_delay_alu instid0(VALU_DEP_1) | instskip(SKIP_1) | instid1(VALU_DEP_2)
	v_subrev_nc_u32_e32 v5, 28, v4
	v_sub_nc_u32_e32 v4, 29, v4
	v_lshlrev_b64 v[16:17], v5, v[28:29]
	s_delay_alu instid0(VALU_DEP_1)
	v_and_b32_e32 v28, 7, v16
; %bb.1016:                             ;   in Loop: Header=BB266_16 Depth=1
	s_or_b32 exec_lo, exec_lo, s25
	v_lshlrev_b32_e32 v5, 24, v118
	s_delay_alu instid0(VALU_DEP_2) | instskip(SKIP_1) | instid1(VALU_DEP_3)
	v_lshlrev_b32_e32 v16, 20, v28
	v_lshl_add_u32 v4, v4, 23, 0x3c000000
	v_and_b32_e32 v5, 0x80000000, v5
	s_delay_alu instid0(VALU_DEP_1) | instskip(NEXT) | instid1(VALU_DEP_1)
	v_or3_b32 v28, v16, v5, v4
	v_dual_mov_b32 v187, v29 :: v_dual_mov_b32 v186, v28
.LBB266_1017:                           ;   in Loop: Header=BB266_16 Depth=1
	s_or_b32 exec_lo, exec_lo, s24
.LBB266_1018:                           ;   in Loop: Header=BB266_16 Depth=1
	s_delay_alu instid0(SALU_CYCLE_1)
	s_or_b32 exec_lo, exec_lo, s23
.LBB266_1019:                           ;   in Loop: Header=BB266_16 Depth=1
	s_delay_alu instid0(SALU_CYCLE_1) | instskip(SKIP_2) | instid1(VALU_DEP_1)
	s_or_b32 exec_lo, exec_lo, s2
	v_lshrrev_b16 v4, 8, v118
	s_mov_b32 s23, exec_lo
	v_cmpx_ne_u16_e32 0, v4
	s_cbranch_execz .LBB266_1027
; %bb.1020:                             ;   in Loop: Header=BB266_16 Depth=1
	v_dual_mov_b32 v169, s17 :: v_dual_mov_b32 v168, s16
	s_mov_b32 s24, exec_lo
	v_cmpx_ne_u16_e32 0x80, v4
	s_cbranch_execz .LBB266_1026
; %bb.1021:                             ;   in Loop: Header=BB266_16 Depth=1
	s_mov_b32 s2, s16
	v_dual_mov_b32 v169, s3 :: v_dual_and_b32 v4, 0xffff, v4
	v_mov_b32_e32 v168, s2
	s_mov_b32 s2, exec_lo
	s_delay_alu instid0(VALU_DEP_2) | instskip(NEXT) | instid1(VALU_DEP_1)
	v_and_b32_e32 v5, 0x7f, v4
	v_cmpx_ne_u32_e32 0x7f, v5
	s_cbranch_execz .LBB266_1025
; %bb.1022:                             ;   in Loop: Header=BB266_16 Depth=1
	v_and_b32_e32 v28, 7, v4
	v_lshrrev_b32_e32 v4, 3, v5
	s_mov_b32 s25, exec_lo
	v_cmpx_gt_u32_e32 8, v5
; %bb.1023:                             ;   in Loop: Header=BB266_16 Depth=1
	s_delay_alu instid0(VALU_DEP_3) | instskip(NEXT) | instid1(VALU_DEP_1)
	v_clz_i32_u32_e32 v4, v28
	v_min_u32_e32 v4, 32, v4
	s_delay_alu instid0(VALU_DEP_1) | instskip(SKIP_1) | instid1(VALU_DEP_2)
	v_subrev_nc_u32_e32 v5, 28, v4
	v_sub_nc_u32_e32 v4, 29, v4
	v_lshlrev_b64 v[16:17], v5, v[28:29]
	s_delay_alu instid0(VALU_DEP_1)
	v_and_b32_e32 v28, 7, v16
; %bb.1024:                             ;   in Loop: Header=BB266_16 Depth=1
	s_or_b32 exec_lo, exec_lo, s25
	v_dual_mov_b32 v168, v29 :: v_dual_lshlrev_b32 v5, 16, v118
	s_delay_alu instid0(VALU_DEP_2) | instskip(SKIP_1) | instid1(VALU_DEP_3)
	v_lshlrev_b32_e32 v16, 20, v28
	v_lshl_add_u32 v4, v4, 23, 0x3c000000
	v_and_b32_e32 v5, 0x80000000, v5
	s_delay_alu instid0(VALU_DEP_1)
	v_or3_b32 v169, v16, v5, v4
.LBB266_1025:                           ;   in Loop: Header=BB266_16 Depth=1
	s_or_b32 exec_lo, exec_lo, s2
.LBB266_1026:                           ;   in Loop: Header=BB266_16 Depth=1
	s_delay_alu instid0(SALU_CYCLE_1)
	s_or_b32 exec_lo, exec_lo, s24
.LBB266_1027:                           ;   in Loop: Header=BB266_16 Depth=1
	s_delay_alu instid0(SALU_CYCLE_1) | instskip(SKIP_4) | instid1(VALU_DEP_1)
	s_or_b32 exec_lo, exec_lo, s23
	v_mov_b32_e32 v4, 0
	v_lshrrev_b32_e32 v119, 16, v118
	v_mov_b32_e32 v5, 0
	s_mov_b32 s2, exec_lo
	v_dual_mov_b32 v99, v5 :: v_dual_and_b32 v16, 0xff, v119
	v_mov_b32_e32 v98, v4
	s_delay_alu instid0(VALU_DEP_2)
	v_cmpx_ne_u16_e32 0, v16
	s_cbranch_execz .LBB266_1035
; %bb.1028:                             ;   in Loop: Header=BB266_16 Depth=1
	v_bfrev_b32_e32 v98, 1
	v_mov_b32_e32 v99, 0
	s_mov_b32 s23, exec_lo
	v_cmpx_ne_u16_e32 0x80, v16
	s_cbranch_execz .LBB266_1034
; %bb.1029:                             ;   in Loop: Header=BB266_16 Depth=1
	v_mov_b32_e32 v98, 0x7f800001
	v_bfe_u32 v16, v118, 16, 7
	v_mov_b32_e32 v99, 0
	s_mov_b32 s24, exec_lo
	s_delay_alu instid0(VALU_DEP_2)
	v_cmpx_ne_u32_e32 0x7f, v16
	s_cbranch_execz .LBB266_1033
; %bb.1030:                             ;   in Loop: Header=BB266_16 Depth=1
	v_and_b32_e32 v28, 7, v119
	v_lshrrev_b32_e32 v98, 3, v16
	s_mov_b32 s25, exec_lo
	v_cmpx_gt_u32_e32 8, v16
; %bb.1031:                             ;   in Loop: Header=BB266_16 Depth=1
	s_delay_alu instid0(VALU_DEP_3) | instskip(NEXT) | instid1(VALU_DEP_1)
	v_clz_i32_u32_e32 v16, v28
	v_min_u32_e32 v98, 32, v16
	s_delay_alu instid0(VALU_DEP_1) | instskip(SKIP_1) | instid1(VALU_DEP_2)
	v_subrev_nc_u32_e32 v16, 28, v98
	v_sub_nc_u32_e32 v98, 29, v98
	v_lshlrev_b64 v[16:17], v16, v[28:29]
	s_delay_alu instid0(VALU_DEP_1)
	v_and_b32_e32 v28, 7, v16
; %bb.1032:                             ;   in Loop: Header=BB266_16 Depth=1
	s_or_b32 exec_lo, exec_lo, s25
	v_lshlrev_b32_e32 v16, 24, v119
	s_delay_alu instid0(VALU_DEP_2) | instskip(SKIP_1) | instid1(VALU_DEP_3)
	v_lshlrev_b32_e32 v17, 20, v28
	v_lshl_add_u32 v28, v98, 23, 0x3c000000
	v_and_b32_e32 v16, 0x80000000, v16
	s_delay_alu instid0(VALU_DEP_1) | instskip(NEXT) | instid1(VALU_DEP_1)
	v_or3_b32 v28, v17, v16, v28
	v_dual_mov_b32 v99, v29 :: v_dual_mov_b32 v98, v28
.LBB266_1033:                           ;   in Loop: Header=BB266_16 Depth=1
	s_or_b32 exec_lo, exec_lo, s24
.LBB266_1034:                           ;   in Loop: Header=BB266_16 Depth=1
	s_delay_alu instid0(SALU_CYCLE_1)
	s_or_b32 exec_lo, exec_lo, s23
.LBB266_1035:                           ;   in Loop: Header=BB266_16 Depth=1
	s_delay_alu instid0(SALU_CYCLE_1) | instskip(NEXT) | instid1(SALU_CYCLE_1)
	s_or_b32 exec_lo, exec_lo, s2
	s_mov_b32 s23, exec_lo
	v_cmpx_lt_u32_e32 0xffffff, v118
	s_cbranch_execz .LBB266_14
; %bb.1036:                             ;   in Loop: Header=BB266_16 Depth=1
	v_lshrrev_b32_e32 v119, 24, v118
	v_dual_mov_b32 v4, s16 :: v_dual_mov_b32 v5, s17
	s_mov_b32 s24, exec_lo
	s_delay_alu instid0(VALU_DEP_2)
	v_cmpx_ne_u32_e32 0x80, v119
	s_cbranch_execz .LBB266_13
; %bb.1037:                             ;   in Loop: Header=BB266_16 Depth=1
	s_mov_b32 s2, s16
	v_bfe_u32 v118, v118, 24, 7
	v_dual_mov_b32 v5, s3 :: v_dual_mov_b32 v4, s2
	s_mov_b32 s2, exec_lo
	s_delay_alu instid0(VALU_DEP_2)
	v_cmpx_ne_u32_e32 0x7f, v118
	s_cbranch_execz .LBB266_12
; %bb.1038:                             ;   in Loop: Header=BB266_16 Depth=1
	v_and_b32_e32 v28, 7, v119
	v_lshrrev_b32_e32 v4, 3, v118
	s_mov_b32 s25, exec_lo
	v_cmpx_gt_u32_e32 8, v118
	s_cbranch_execz .LBB266_11
; %bb.1039:                             ;   in Loop: Header=BB266_16 Depth=1
	v_clz_i32_u32_e32 v4, v28
	s_delay_alu instid0(VALU_DEP_1) | instskip(NEXT) | instid1(VALU_DEP_1)
	v_min_u32_e32 v4, 32, v4
	v_subrev_nc_u32_e32 v5, 28, v4
	v_sub_nc_u32_e32 v4, 29, v4
	s_delay_alu instid0(VALU_DEP_2) | instskip(NEXT) | instid1(VALU_DEP_1)
	v_lshlrev_b64 v[16:17], v5, v[28:29]
	v_and_b32_e32 v28, 7, v16
	s_branch .LBB266_11
.LBB266_1040:
	s_or_b32 exec_lo, exec_lo, s21
	s_clause 0xe
	scratch_load_b32 v15, off, s32 offset:1260
	scratch_load_b32 v14, off, s32 offset:1264
	;; [unrolled: 1-line block ×9, first 2 shown]
	scratch_load_b64 v[11:12], off, s32 offset:1296
	scratch_load_b32 v13, off, s32 offset:1304
	scratch_load_b32 v16, off, s32 offset:1308
	;; [unrolled: 1-line block ×5, first 2 shown]
.LBB266_1041:
	s_or_b32 exec_lo, exec_lo, s20
	v_mbcnt_lo_u32_b32 v0, -1, 0
	s_waitcnt lgkmcnt(0)
	s_lshr_b32 s8, s19, 16
	v_max_f32_e32 v4, v19, v19
	s_delay_alu instid0(VALU_DEP_2) | instskip(SKIP_2) | instid1(VALU_DEP_3)
	v_xor_b32_e32 v1, 16, v0
	v_xor_b32_e32 v3, 8, v0
	;; [unrolled: 1-line block ×3, first 2 shown]
	v_cmp_gt_i32_e32 vcc_lo, 32, v1
	v_cndmask_b32_e32 v1, v0, v1, vcc_lo
	s_delay_alu instid0(VALU_DEP_4) | instskip(NEXT) | instid1(VALU_DEP_2)
	v_cmp_gt_i32_e32 vcc_lo, 32, v3
	v_dual_cndmask_b32 v3, v0, v3 :: v_dual_lshlrev_b32 v2, 2, v1
	v_cmp_gt_i32_e32 vcc_lo, 32, v5
	ds_bpermute_b32 v1, v2, v19
	v_lshlrev_b32_e32 v3, 2, v3
	v_cndmask_b32_e32 v5, v0, v5, vcc_lo
	s_delay_alu instid0(VALU_DEP_1) | instskip(SKIP_1) | instid1(VALU_DEP_1)
	v_lshlrev_b32_e32 v25, 2, v5
	v_xor_b32_e32 v5, 2, v0
	v_cmp_gt_i32_e32 vcc_lo, 32, v5
	v_cndmask_b32_e32 v5, v0, v5, vcc_lo
	s_waitcnt lgkmcnt(0)
	v_max_f32_e32 v1, v1, v1
	s_delay_alu instid0(VALU_DEP_2) | instskip(SKIP_1) | instid1(VALU_DEP_3)
	v_lshlrev_b32_e32 v24, 2, v5
	v_xor_b32_e32 v5, 1, v0
	v_max_f32_e32 v1, v4, v1
	s_delay_alu instid0(VALU_DEP_2) | instskip(SKIP_3) | instid1(VALU_DEP_1)
	v_cmp_gt_i32_e32 vcc_lo, 32, v5
	ds_bpermute_b32 v4, v3, v1
	v_cndmask_b32_e32 v5, v0, v5, vcc_lo
	s_waitcnt lgkmcnt(0)
	v_dual_max_f32 v4, v4, v4 :: v_dual_lshlrev_b32 v23, 2, v5
	s_delay_alu instid0(VALU_DEP_1) | instskip(SKIP_3) | instid1(VALU_DEP_1)
	v_max_f32_e32 v1, v1, v4
	ds_bpermute_b32 v4, v25, v1
	s_waitcnt lgkmcnt(0)
	v_max_f32_e32 v4, v4, v4
	v_max_f32_e32 v1, v1, v4
	ds_bpermute_b32 v4, v24, v1
	s_waitcnt lgkmcnt(0)
	v_max_f32_e32 v4, v4, v4
	s_delay_alu instid0(VALU_DEP_1)
	v_max_f32_e32 v0, v1, v4
	scratch_load_b32 v4, off, s32 offset:692 ; 4-byte Folded Reload
	ds_bpermute_b32 v1, v23, v0
	s_waitcnt vmcnt(0)
	v_cmp_eq_u32_e32 vcc_lo, 0, v4
	scratch_load_b32 v4, off, s32 offset:1248 ; 4-byte Folded Reload
	s_waitcnt vmcnt(0)
	v_lshlrev_b32_e32 v4, 2, v4
	s_and_saveexec_b32 s1, vcc_lo
	s_cbranch_execz .LBB266_1043
; %bb.1042:
	s_waitcnt lgkmcnt(0)
	v_dual_max_f32 v1, v1, v1 :: v_dual_max_f32 v0, v0, v0
	s_delay_alu instid0(VALU_DEP_1)
	v_max_f32_e32 v0, v0, v1
	ds_store_b32 v4, v0 offset:512
.LBB266_1043:
	s_or_b32 exec_lo, exec_lo, s1
	scratch_load_b32 v0, off, s32 offset:692 ; 4-byte Folded Reload
	s_waitcnt vmcnt(0) lgkmcnt(0)
	s_waitcnt_vscnt null, 0x0
	s_barrier
	buffer_gl0_inv
	v_cmp_gt_u32_e64 s1, 4, v0
	v_mov_b32_e32 v0, 0xff7fffff
	s_delay_alu instid0(VALU_DEP_2)
	s_and_saveexec_b32 s2, s1
	s_cbranch_execz .LBB266_1045
; %bb.1044:
	ds_load_b32 v0, v10 offset:512
.LBB266_1045:
	s_or_b32 exec_lo, exec_lo, s2
	scratch_load_b32 v5, off, s32 offset:344 ; 4-byte Folded Reload
	s_waitcnt lgkmcnt(0)
	ds_bpermute_b32 v1, v24, v0
	s_waitcnt lgkmcnt(0)
	v_dual_max_f32 v0, v0, v0 :: v_dual_max_f32 v1, v1, v1
	s_delay_alu instid0(VALU_DEP_1)
	v_max_f32_e32 v0, v0, v1
	s_waitcnt vmcnt(0)
	v_subrev_nc_u32_e32 v6, s13, v5
	v_mov_b32_e32 v5, 0
	ds_bpermute_b32 v1, v23, v0
	s_waitcnt lgkmcnt(0)
	v_max_f32_e32 v1, v1, v1
	s_delay_alu instid0(VALU_DEP_1) | instskip(SKIP_4) | instid1(VALU_DEP_1)
	v_max_f32_e32 v0, v0, v1
	v_lshl_add_u32 v1, v6, 5, s15
	scratch_load_b32 v6, off, s32 offset:1244 ; 4-byte Folded Reload
	ds_bpermute_b32 v0, v5, v0
	v_min_i32_e32 v1, v1, v47
	v_subrev_nc_u32_e32 v1, s15, v1
	s_waitcnt vmcnt(0)
	s_delay_alu instid0(VALU_DEP_1) | instskip(NEXT) | instid1(VALU_DEP_1)
	v_cmp_lt_i32_e64 s2, v6, v1
	s_and_saveexec_b32 s9, s2
	s_cbranch_execz .LBB266_1049
; %bb.1046:
	scratch_load_b32 v7, off, s32 offset:1244 ; 4-byte Folded Reload
	s_getpc_b64 s[16:17]
	s_add_u32 s16, s16, llvm.amdgcn.dynlds.offset.table@rel32@lo+4
	s_addc_u32 s17, s17, llvm.amdgcn.dynlds.offset.table@rel32@hi+12
	s_ashr_i32 s7, s6, 31
	v_mov_b32_e32 v5, 0
	s_lshl_b64 s[20:21], s[6:7], 2
	s_mov_b32 s7, 0
	s_add_u32 s16, s20, s16
	s_addc_u32 s17, s21, s17
	s_load_b32 s3, s[16:17], 0x0
	s_waitcnt vmcnt(0) lgkmcnt(0)
	v_lshl_add_u32 v6, v7, 2, s3
	.p2align	6
.LBB266_1047:                           ; =>This Inner Loop Header: Depth=1
	ds_load_b32 v8, v6
	v_add_nc_u32_e32 v7, 0x80, v7
	s_delay_alu instid0(VALU_DEP_1) | instskip(NEXT) | instid1(VALU_DEP_1)
	v_cmp_ge_i32_e64 s3, v7, v1
	s_or_b32 s7, s3, s7
	s_waitcnt lgkmcnt(0)
	v_sub_f32_e32 v8, v8, v0
	s_delay_alu instid0(VALU_DEP_1) | instskip(NEXT) | instid1(VALU_DEP_1)
	v_mul_f32_e32 v8, 0x3fb8aa3b, v8
	v_exp_f32_e32 v8, v8
	ds_store_b32 v6, v8
	v_dual_add_f32 v5, v5, v8 :: v_dual_add_nc_u32 v6, 0x200, v6
	s_and_not1_b32 exec_lo, exec_lo, s7
	s_cbranch_execnz .LBB266_1047
; %bb.1048:
	s_or_b32 exec_lo, exec_lo, s7
.LBB266_1049:
	s_delay_alu instid0(SALU_CYCLE_1)
	s_or_b32 exec_lo, exec_lo, s9
	ds_bpermute_b32 v2, v2, v5
	s_waitcnt lgkmcnt(0)
	v_add_f32_e32 v2, v5, v2
	ds_bpermute_b32 v3, v3, v2
	s_waitcnt lgkmcnt(0)
	v_add_f32_e32 v2, v2, v3
	;; [unrolled: 3-line block ×5, first 2 shown]
	s_and_saveexec_b32 s3, vcc_lo
	s_cbranch_execz .LBB266_1051
; %bb.1050:
	ds_store_b32 v4, v2 offset:528
.LBB266_1051:
	s_or_b32 exec_lo, exec_lo, s3
	s_waitcnt lgkmcnt(0)
	s_barrier
	buffer_gl0_inv
	s_and_saveexec_b32 s3, s1
	s_cbranch_execz .LBB266_1053
; %bb.1052:
	ds_load_b32 v2, v10 offset:528
.LBB266_1053:
	s_or_b32 exec_lo, exec_lo, s3
	s_waitcnt lgkmcnt(0)
	ds_bpermute_b32 v3, v24, v2
	s_waitcnt lgkmcnt(0)
	v_add_f32_e32 v2, v2, v3
	ds_bpermute_b32 v3, v23, v2
	s_waitcnt lgkmcnt(0)
	v_dual_add_f32 v2, v2, v3 :: v_dual_mov_b32 v3, 0
	ds_bpermute_b32 v2, v3, v2
	s_and_saveexec_b32 s1, s2
	s_cbranch_execz .LBB266_1056
; %bb.1054:
	s_waitcnt lgkmcnt(0)
	v_add_f32_e32 v4, 0x358637bd, v2
	s_getpc_b64 s[2:3]
	s_add_u32 s2, s2, llvm.amdgcn.dynlds.offset.table@rel32@lo+4
	s_addc_u32 s3, s3, llvm.amdgcn.dynlds.offset.table@rel32@hi+12
	s_ashr_i32 s7, s6, 31
	s_delay_alu instid0(SALU_CYCLE_1) | instskip(SKIP_4) | instid1(VALU_DEP_1)
	s_lshl_b64 s[16:17], s[6:7], 2
	v_div_scale_f32 v3, null, v4, v4, 1.0
	s_add_u32 s2, s16, s2
	s_addc_u32 s3, s17, s3
	s_load_b32 s2, s[2:3], 0x0
	v_rcp_f32_e32 v5, v3
	s_waitcnt_depctr 0xfff
	v_fma_f32 v6, -v3, v5, 1.0
	s_delay_alu instid0(VALU_DEP_1) | instskip(SKIP_1) | instid1(VALU_DEP_1)
	v_fmac_f32_e32 v5, v6, v5
	v_div_scale_f32 v7, vcc_lo, 1.0, v4, 1.0
	v_mul_f32_e32 v6, v7, v5
	s_delay_alu instid0(VALU_DEP_1) | instskip(NEXT) | instid1(VALU_DEP_1)
	v_fma_f32 v8, -v3, v6, v7
	v_fmac_f32_e32 v6, v8, v5
	s_delay_alu instid0(VALU_DEP_1) | instskip(NEXT) | instid1(VALU_DEP_1)
	v_fma_f32 v3, -v3, v6, v7
	v_div_fmas_f32 v5, v3, v5, v6
	scratch_load_b32 v6, off, s32 offset:1244 ; 4-byte Folded Reload
	v_div_fixup_f32 v4, v5, v4, 1.0
	s_waitcnt vmcnt(0) lgkmcnt(0)
	v_lshl_add_u32 v3, v6, 2, s2
	v_mov_b32_e32 v5, v6
	s_mov_b32 s2, 0
.LBB266_1055:                           ; =>This Inner Loop Header: Depth=1
	ds_load_b32 v6, v3
	s_waitcnt lgkmcnt(0)
	v_dual_mul_f32 v6, v4, v6 :: v_dual_add_nc_u32 v5, 0x80, v5
	s_delay_alu instid0(VALU_DEP_1) | instskip(SKIP_3) | instid1(SALU_CYCLE_1)
	v_cmp_ge_i32_e32 vcc_lo, v5, v1
	ds_store_b32 v3, v6
	v_add_nc_u32_e32 v3, 0x200, v3
	s_or_b32 s2, vcc_lo, s2
	s_and_not1_b32 exec_lo, exec_lo, s2
	s_cbranch_execnz .LBB266_1055
.LBB266_1056:
	s_or_b32 exec_lo, exec_lo, s1
	s_waitcnt lgkmcnt(0)
	scratch_load_b32 v1, off, s32 offset:1244 ; 4-byte Folded Reload
	v_cmp_ne_u16_e64 s1, s8, 0
	s_waitcnt vmcnt(0)
	s_barrier
	buffer_gl0_inv
	s_cmp_lg_u32 s1, 0
	s_addc_u32 s1, s5, 0
	s_mov_b32 s5, exec_lo
	s_mul_i32 s2, s1, s10
	s_delay_alu instid0(SALU_CYCLE_1)
	s_mul_i32 s2, s2, s11
	v_cmpx_eq_u32_e32 0, v1
	s_cbranch_execz .LBB266_1058
; %bb.1057:
	s_mul_i32 s8, s1, s12
	s_ashr_i32 s15, s14, 31
	s_ashr_i32 s9, s8, 31
	;; [unrolled: 1-line block ×3, first 2 shown]
	s_lshl_b64 s[8:9], s[8:9], 2
	s_lshl_b64 s[10:11], s[14:15], 2
	;; [unrolled: 1-line block ×3, first 2 shown]
	s_add_u32 s3, s10, s8
	s_addc_u32 s7, s11, s9
	s_add_u32 s3, s3, s12
	s_addc_u32 s7, s7, s13
	v_add_co_u32 v3, vcc_lo, s3, v35
	v_add_co_ci_u32_e32 v4, vcc_lo, s7, v34, vcc_lo
	v_add_co_u32 v5, vcc_lo, s3, v33
	v_add_co_ci_u32_e32 v6, vcc_lo, s7, v32, vcc_lo
	flat_store_b32 v[3:4], v0
	flat_store_b32 v[5:6], v2
.LBB266_1058:
	s_or_b32 exec_lo, exec_lo, s5
	scratch_load_b32 v0, off, s32 offset:1244 ; 4-byte Folded Reload
	s_ashr_i32 s7, s6, 31
	s_getpc_b64 s[8:9]
	s_add_u32 s8, s8, llvm.amdgcn.dynlds.offset.table@rel32@lo+4
	s_addc_u32 s9, s9, llvm.amdgcn.dynlds.offset.table@rel32@hi+12
	s_lshl_b64 s[6:7], s[6:7], 2
	v_dual_mov_b32 v83, 0 :: v_dual_mov_b32 v84, 0
	v_dual_mov_b32 v81, 0 :: v_dual_mov_b32 v82, 0
	;; [unrolled: 1-line block ×16, first 2 shown]
	s_add_u32 s6, s6, s8
	s_addc_u32 s7, s7, s9
	s_mov_b32 s8, 0
	s_waitcnt vmcnt(0)
	v_and_b32_e32 v96, 7, v0
	s_and_saveexec_b32 s3, s0
	s_cbranch_execz .LBB266_2152
; %bb.1059:
	scratch_load_b32 v1, off, s32 offset:1244 ; 4-byte Folded Reload
	v_max_i32_e32 v85, v30, v17
	scratch_store_b32 off, v96, s32 offset:388 ; 4-byte Folded Spill
	v_dual_mov_b32 v29, 0 :: v_dual_lshlrev_b32 v4, 4, v96
	s_load_b32 s0, s[6:7], 0x0
	v_cvt_f32_u32_e32 v0, v85
	v_sub_nc_u32_e32 v5, 0, v85
	v_add_co_u32 v6, vcc_lo, v87, v13
	v_add_co_ci_u32_e32 v7, vcc_lo, v86, v18, vcc_lo
	s_delay_alu instid0(VALU_DEP_4)
	v_rcp_iflag_f32_e32 v3, v0
	v_dual_mov_b32 v28, 0 :: v_dual_add_nc_u32 v97, -1, v16
	v_dual_mov_b32 v31, 0 :: v_dual_mov_b32 v32, 0
	v_dual_mov_b32 v33, 0 :: v_dual_mov_b32 v36, 0
	;; [unrolled: 1-line block ×3, first 2 shown]
	s_waitcnt_depctr 0xfff
	v_dual_mov_b32 v34, 0 :: v_dual_mul_f32 v3, 0x4f7ffffe, v3
	v_dual_mov_b32 v37, 0 :: v_dual_mov_b32 v48, 0
	v_dual_mov_b32 v39, 0 :: v_dual_mov_b32 v50, 0
	s_delay_alu instid0(VALU_DEP_3) | instskip(SKIP_2) | instid1(VALU_DEP_3)
	v_cvt_u32_f32_e32 v3, v3
	v_dual_mov_b32 v54, 0 :: v_dual_mov_b32 v55, 0
	v_dual_mov_b32 v64, 0 :: v_dual_mov_b32 v65, 0
	v_mul_lo_u32 v5, v5, v3
	v_dual_mov_b32 v66, 0 :: v_dual_mov_b32 v67, 0
	v_dual_mov_b32 v68, 0 :: v_dual_mov_b32 v69, 0
	;; [unrolled: 1-line block ×5, first 2 shown]
	v_mov_b32_e32 v84, 0
	s_brev_b32 s9, 1
	s_mov_b32 s11, 0x7f800001
	s_mov_b32 s5, s8
	v_dual_mov_b32 v9, 0 :: v_dual_mov_b32 v52, 0
	s_waitcnt vmcnt(0)
	v_dual_mov_b32 v53, 0 :: v_dual_lshlrev_b32 v2, 2, v1
	v_mov_b32_e32 v49, 0
	v_mov_b32_e32 v51, 0
	v_lshlrev_b64 v[0:1], 2, v[120:121]
	s_delay_alu instid0(VALU_DEP_4) | instskip(SKIP_2) | instid1(VALU_DEP_4)
	v_and_b32_e32 v8, 0x7c, v2
	v_and_b32_e32 v96, 28, v2
	v_or_b32_e32 v2, 0xf80, v2
	v_add_co_u32 v0, vcc_lo, v11, v0
	s_clause 0x1
	scratch_store_b32 off, v8, s32 offset:356
	scratch_store_b32 off, v2, s32 offset:364
	v_mul_hi_u32 v2, v3, v5
	scratch_load_b32 v5, off, s32 offset:1248 ; 4-byte Folded Reload
	v_add_co_ci_u32_e32 v1, vcc_lo, v12, v1, vcc_lo
	v_add_co_u32 v10, vcc_lo, v14, v0
	s_clause 0x1
	scratch_store_b32 off, v97, s32 offset:380
	scratch_store_b32 off, v96, s32 offset:372
	v_add_co_ci_u32_e32 v11, vcc_lo, v15, v1, vcc_lo
	v_add_nc_u32_e32 v99, v3, v2
	s_waitcnt vmcnt(0)
	v_lshl_or_b32 v4, v5, 7, v4
	s_waitcnt lgkmcnt(0)
	s_delay_alu instid0(VALU_DEP_1)
	v_add_nc_u32_e32 v98, s0, v4
	s_branch .LBB266_1062
.LBB266_1060:                           ;   in Loop: Header=BB266_1062 Depth=1
	s_or_b32 exec_lo, exec_lo, s0
	v_mul_f32_e32 v15, v1, v188
	v_mul_f32_e32 v14, v1, v190
	;; [unrolled: 1-line block ×4, first 2 shown]
	s_delay_alu instid0(VALU_DEP_4) | instskip(NEXT) | instid1(VALU_DEP_4)
	v_fmac_f32_e32 v15, v0, v187
	v_dual_mul_f32 v13, v1, v26 :: v_dual_fmac_f32 v14, v0, v189
	s_delay_alu instid0(VALU_DEP_4) | instskip(NEXT) | instid1(VALU_DEP_4)
	v_fmac_f32_e32 v16, v0, v175
	v_fmac_f32_e32 v17, v0, v171
	s_delay_alu instid0(VALU_DEP_4) | instskip(NEXT) | instid1(VALU_DEP_4)
	v_fmac_f32_e32 v15, v2, v186
	v_dual_fmac_f32 v13, v0, v191 :: v_dual_fmac_f32 v14, v2, v21
	s_delay_alu instid0(VALU_DEP_2) | instskip(NEXT) | instid1(VALU_DEP_2)
	v_dual_fmac_f32 v16, v2, v174 :: v_dual_fmac_f32 v15, v3, v185
	v_dual_fmac_f32 v13, v2, v19 :: v_dual_fmac_f32 v14, v3, v20
	s_delay_alu instid0(VALU_DEP_2) | instskip(NEXT) | instid1(VALU_DEP_2)
	v_fmac_f32_e32 v16, v3, v173
	v_dual_add_f32 v32, v32, v15 :: v_dual_fmac_f32 v13, v3, v18
	v_mul_f32_e32 v18, v1, v156
	v_mul_f32_e32 v19, v1, v168
	s_delay_alu instid0(VALU_DEP_4) | instskip(SKIP_1) | instid1(VALU_DEP_4)
	v_add_f32_e32 v33, v33, v16
	v_mul_f32_e32 v16, v1, v124
	v_fmac_f32_e32 v18, v0, v155
	s_delay_alu instid0(VALU_DEP_4) | instskip(NEXT) | instid1(VALU_DEP_3)
	v_fmac_f32_e32 v19, v0, v159
	v_dual_add_f32 v29, v29, v13 :: v_dual_fmac_f32 v16, v0, v123
	s_delay_alu instid0(VALU_DEP_3) | instskip(SKIP_1) | instid1(VALU_DEP_4)
	v_dual_mul_f32 v13, v1, v152 :: v_dual_fmac_f32 v18, v2, v154
	v_fmac_f32_e32 v17, v2, v170
	v_fmac_f32_e32 v19, v2, v158
	s_delay_alu instid0(VALU_DEP_4) | instskip(NEXT) | instid1(VALU_DEP_4)
	v_dual_fmac_f32 v16, v2, v122 :: v_dual_mul_f32 v15, v1, v136
	v_fmac_f32_e32 v18, v3, v153
	s_delay_alu instid0(VALU_DEP_4) | instskip(SKIP_1) | instid1(VALU_DEP_3)
	v_fmac_f32_e32 v17, v3, v169
	v_dual_add_f32 v31, v31, v14 :: v_dual_mul_f32 v14, v1, v140
	v_dual_fmac_f32 v19, v3, v157 :: v_dual_add_f32 v36, v36, v18
	v_fmac_f32_e32 v16, v3, v121
	s_delay_alu instid0(VALU_DEP_3) | instskip(NEXT) | instid1(VALU_DEP_3)
	v_fmac_f32_e32 v14, v0, v139
	v_dual_add_f32 v35, v35, v19 :: v_dual_add_f32 v34, v34, v17
	s_delay_alu instid0(VALU_DEP_3) | instskip(NEXT) | instid1(VALU_DEP_3)
	v_dual_mul_f32 v17, v1, v111 :: v_dual_add_f32 v48, v48, v16
	v_dual_fmac_f32 v14, v2, v138 :: v_dual_fmac_f32 v13, v0, v143
	s_delay_alu instid0(VALU_DEP_2) | instskip(NEXT) | instid1(VALU_DEP_2)
	v_dual_mul_f32 v16, v1, v79 :: v_dual_fmac_f32 v17, v0, v110
	v_dual_fmac_f32 v14, v3, v137 :: v_dual_fmac_f32 v15, v0, v127
	s_delay_alu instid0(VALU_DEP_3) | instskip(NEXT) | instid1(VALU_DEP_3)
	v_fmac_f32_e32 v13, v2, v142
	v_fmac_f32_e32 v16, v0, v78
	s_delay_alu instid0(VALU_DEP_3) | instskip(SKIP_1) | instid1(VALU_DEP_4)
	v_add_f32_e32 v38, v38, v14
	v_dual_mul_f32 v14, v1, v95 :: v_dual_fmac_f32 v17, v2, v109
	v_fmac_f32_e32 v13, v3, v141
	s_delay_alu instid0(VALU_DEP_4) | instskip(NEXT) | instid1(VALU_DEP_3)
	v_fmac_f32_e32 v16, v2, v77
	v_dual_fmac_f32 v14, v0, v94 :: v_dual_fmac_f32 v17, v3, v108
	s_delay_alu instid0(VALU_DEP_2) | instskip(NEXT) | instid1(VALU_DEP_2)
	v_dual_add_f32 v37, v37, v13 :: v_dual_fmac_f32 v16, v3, v76
	v_fmac_f32_e32 v14, v2, v93
	v_fmac_f32_e32 v15, v2, v126
	s_delay_alu instid0(VALU_DEP_3) | instskip(SKIP_1) | instid1(VALU_DEP_4)
	v_add_f32_e32 v53, v53, v16
	v_mul_f32_e32 v16, v1, v42
	v_fmac_f32_e32 v14, v3, v92
	s_delay_alu instid0(VALU_DEP_4) | instskip(NEXT) | instid1(VALU_DEP_2)
	v_fmac_f32_e32 v15, v3, v125
	v_dual_fmac_f32 v16, v0, v41 :: v_dual_add_f32 v51, v51, v14
	v_mul_f32_e32 v14, v1, v59
	s_delay_alu instid0(VALU_DEP_3) | instskip(NEXT) | instid1(VALU_DEP_3)
	v_add_f32_e32 v39, v39, v15
	v_dual_mul_f32 v15, v1, v91 :: v_dual_fmac_f32 v16, v2, v40
	s_delay_alu instid0(VALU_DEP_3) | instskip(NEXT) | instid1(VALU_DEP_2)
	v_fmac_f32_e32 v14, v0, v58
	v_dual_fmac_f32 v15, v0, v90 :: v_dual_fmac_f32 v16, v3, v183
	s_delay_alu instid0(VALU_DEP_2) | instskip(NEXT) | instid1(VALU_DEP_2)
	v_fmac_f32_e32 v14, v2, v57
	v_fmac_f32_e32 v15, v2, v89
	s_delay_alu instid0(VALU_DEP_3) | instskip(SKIP_1) | instid1(VALU_DEP_4)
	v_add_f32_e32 v66, v66, v16
	v_mul_f32_e32 v16, v1, v150
	v_fmac_f32_e32 v14, v3, v56
	s_delay_alu instid0(VALU_DEP_4) | instskip(SKIP_1) | instid1(VALU_DEP_3)
	v_fmac_f32_e32 v15, v3, v88
	v_add_f32_e32 v49, v49, v17
	v_dual_mul_f32 v17, v1, v75 :: v_dual_add_f32 v64, v64, v14
	v_mul_f32_e32 v14, v1, v166
	s_delay_alu instid0(VALU_DEP_4) | instskip(SKIP_1) | instid1(VALU_DEP_4)
	v_add_f32_e32 v52, v52, v15
	v_fmac_f32_e32 v16, v0, v149
	v_fmac_f32_e32 v17, v0, v74
	s_delay_alu instid0(VALU_DEP_4) | instskip(NEXT) | instid1(VALU_DEP_3)
	v_dual_mul_f32 v15, v1, v46 :: v_dual_fmac_f32 v14, v0, v165
	v_fmac_f32_e32 v16, v2, v148
	s_delay_alu instid0(VALU_DEP_3) | instskip(NEXT) | instid1(VALU_DEP_3)
	v_fmac_f32_e32 v17, v2, v73
	v_dual_fmac_f32 v15, v0, v45 :: v_dual_fmac_f32 v14, v2, v164
	s_delay_alu instid0(VALU_DEP_3) | instskip(NEXT) | instid1(VALU_DEP_3)
	v_fmac_f32_e32 v16, v3, v147
	v_fmac_f32_e32 v17, v3, v72
	v_mul_f32_e32 v13, v1, v107
	s_delay_alu instid0(VALU_DEP_4) | instskip(NEXT) | instid1(VALU_DEP_3)
	v_fmac_f32_e32 v14, v3, v163
	v_dual_add_f32 v71, v71, v16 :: v_dual_add_f32 v54, v54, v17
	s_delay_alu instid0(VALU_DEP_3) | instskip(NEXT) | instid1(VALU_DEP_3)
	v_fmac_f32_e32 v13, v0, v106
	v_add_f32_e32 v69, v69, v14
	v_mul_f32_e32 v14, v1, v130
	v_mul_f32_e32 v16, v1, v101
	s_delay_alu instid0(VALU_DEP_4) | instskip(NEXT) | instid1(VALU_DEP_3)
	v_fmac_f32_e32 v13, v2, v105
	v_fmac_f32_e32 v14, v0, v129
	s_delay_alu instid0(VALU_DEP_3) | instskip(NEXT) | instid1(VALU_DEP_3)
	v_fmac_f32_e32 v16, v0, v100
	v_fmac_f32_e32 v13, v3, v104
	s_delay_alu instid0(VALU_DEP_3) | instskip(NEXT) | instid1(VALU_DEP_3)
	;; [unrolled: 3-line block ×3, first 2 shown]
	v_dual_add_f32 v50, v50, v13 :: v_dual_mul_f32 v13, v1, v63
	v_fmac_f32_e32 v14, v3, v119
	s_delay_alu instid0(VALU_DEP_2) | instskip(NEXT) | instid1(VALU_DEP_1)
	v_dual_fmac_f32 v16, v3, v27 :: v_dual_fmac_f32 v13, v0, v62
	v_dual_add_f32 v82, v82, v14 :: v_dual_add_f32 v83, v83, v16
	s_delay_alu instid0(VALU_DEP_2) | instskip(NEXT) | instid1(VALU_DEP_1)
	v_fmac_f32_e32 v13, v2, v61
	v_fmac_f32_e32 v13, v3, v60
	s_delay_alu instid0(VALU_DEP_1) | instskip(SKIP_1) | instid1(VALU_DEP_1)
	v_add_f32_e32 v55, v55, v13
	v_mul_f32_e32 v13, v1, v178
	v_fmac_f32_e32 v13, v0, v177
	s_delay_alu instid0(VALU_DEP_1) | instskip(NEXT) | instid1(VALU_DEP_1)
	v_fmac_f32_e32 v13, v2, v176
	v_fmac_f32_e32 v13, v3, v167
	s_delay_alu instid0(VALU_DEP_1) | instskip(NEXT) | instid1(VALU_DEP_1)
	v_dual_mul_f32 v17, v1, v182 :: v_dual_add_f32 v68, v68, v13
	v_fmac_f32_e32 v17, v0, v181
	v_mul_f32_e32 v13, v1, v134
	s_delay_alu instid0(VALU_DEP_2) | instskip(NEXT) | instid1(VALU_DEP_2)
	v_fmac_f32_e32 v17, v2, v180
	v_fmac_f32_e32 v13, v0, v133
	s_delay_alu instid0(VALU_DEP_2) | instskip(NEXT) | instid1(VALU_DEP_2)
	v_fmac_f32_e32 v17, v3, v179
	v_fmac_f32_e32 v13, v2, v132
	s_delay_alu instid0(VALU_DEP_2) | instskip(SKIP_1) | instid1(VALU_DEP_3)
	v_add_f32_e32 v67, v67, v17
	v_mul_f32_e32 v17, v1, v146
	v_fmac_f32_e32 v13, v3, v131
	s_delay_alu instid0(VALU_DEP_2) | instskip(NEXT) | instid1(VALU_DEP_2)
	v_fmac_f32_e32 v17, v0, v145
	v_add_f32_e32 v81, v81, v13
	s_delay_alu instid0(VALU_DEP_2) | instskip(NEXT) | instid1(VALU_DEP_1)
	v_fmac_f32_e32 v17, v2, v144
	v_fmac_f32_e32 v17, v3, v135
	s_delay_alu instid0(VALU_DEP_1) | instskip(NEXT) | instid1(VALU_DEP_1)
	v_dual_fmac_f32 v15, v2, v44 :: v_dual_add_f32 v80, v80, v17
	v_fmac_f32_e32 v15, v3, v43
	s_delay_alu instid0(VALU_DEP_1) | instskip(SKIP_1) | instid1(VALU_DEP_1)
	v_add_f32_e32 v65, v65, v15
	v_mul_f32_e32 v15, v1, v162
	v_fmac_f32_e32 v15, v0, v161
	s_delay_alu instid0(VALU_DEP_1) | instskip(NEXT) | instid1(VALU_DEP_1)
	v_fmac_f32_e32 v15, v2, v160
	v_fmac_f32_e32 v15, v3, v151
	s_delay_alu instid0(VALU_DEP_1) | instskip(SKIP_1) | instid1(VALU_DEP_2)
	v_dual_add_f32 v70, v70, v15 :: v_dual_mul_f32 v15, v1, v114
	v_mul_f32_e32 v1, v1, v12
	v_fmac_f32_e32 v15, v0, v113
	s_delay_alu instid0(VALU_DEP_2) | instskip(NEXT) | instid1(VALU_DEP_2)
	v_fmac_f32_e32 v1, v0, v8
	v_fmac_f32_e32 v15, v2, v112
	s_delay_alu instid0(VALU_DEP_2) | instskip(NEXT) | instid1(VALU_DEP_2)
	v_fmac_f32_e32 v1, v2, v5
	v_fmac_f32_e32 v15, v3, v103
	s_delay_alu instid0(VALU_DEP_1) | instskip(NEXT) | instid1(VALU_DEP_1)
	v_dual_fmac_f32 v1, v3, v4 :: v_dual_add_f32 v84, v84, v15
	v_add_f32_e32 v28, v28, v1
.LBB266_1061:                           ;   in Loop: Header=BB266_1062 Depth=1
	s_or_b32 exec_lo, exec_lo, s12
	scratch_load_b32 v0, off, s32 offset:344 ; 4-byte Folded Reload
	v_add_nc_u32_e32 v120, 4, v120
	v_add_co_u32 v10, s0, v10, 16
	s_delay_alu instid0(VALU_DEP_1)
	v_add_co_ci_u32_e64 v11, s0, 0, v11, s0
	v_add_nc_u32_e32 v22, 0x80, v22
	v_add_nc_u32_e32 v98, 0x200, v98
	s_waitcnt vmcnt(0)
	v_cmp_ge_i32_e32 vcc_lo, v120, v0
	s_or_b32 s5, vcc_lo, s5
	s_delay_alu instid0(SALU_CYCLE_1)
	s_and_not1_b32 exec_lo, exec_lo, s5
	s_cbranch_execz .LBB266_2151
.LBB266_1062:                           ; =>This Inner Loop Header: Depth=1
	s_clause 0x2
	scratch_load_b32 v1, off, s32 offset:348
	scratch_load_b32 v5, off, s32 offset:340
	;; [unrolled: 1-line block ×3, first 2 shown]
	v_sub_nc_u32_e32 v0, 0, v22
	s_delay_alu instid0(VALU_DEP_1) | instskip(SKIP_1) | instid1(VALU_DEP_1)
	v_max_i32_e32 v0, v22, v0
	s_waitcnt vmcnt(2)
	v_mul_hi_u32 v1, v0, v1
	s_waitcnt vmcnt(0)
	s_delay_alu instid0(VALU_DEP_1) | instskip(NEXT) | instid1(VALU_DEP_1)
	v_mul_lo_u32 v2, v1, v4
	v_sub_nc_u32_e32 v0, v0, v2
	v_add_nc_u32_e32 v2, 1, v1
	s_delay_alu instid0(VALU_DEP_2) | instskip(SKIP_1) | instid1(VALU_DEP_2)
	v_sub_nc_u32_e32 v3, v0, v4
	v_cmp_ge_u32_e32 vcc_lo, v0, v4
	v_dual_cndmask_b32 v1, v1, v2 :: v_dual_cndmask_b32 v0, v0, v3
	v_ashrrev_i32_e32 v2, 31, v22
	s_delay_alu instid0(VALU_DEP_2) | instskip(NEXT) | instid1(VALU_DEP_3)
	v_add_nc_u32_e32 v3, 1, v1
	v_cmp_ge_u32_e32 vcc_lo, v0, v4
	s_delay_alu instid0(VALU_DEP_3) | instskip(NEXT) | instid1(VALU_DEP_3)
	v_xor_b32_e32 v2, v2, v5
	v_cndmask_b32_e32 v0, v1, v3, vcc_lo
	s_delay_alu instid0(VALU_DEP_1) | instskip(NEXT) | instid1(VALU_DEP_1)
	v_xor_b32_e32 v0, v0, v2
	v_sub_nc_u32_e32 v0, v0, v2
	scratch_load_b64 v[1:2], off, s32 offset:332 ; 8-byte Folded Reload
	s_waitcnt vmcnt(0)
	v_add_nc_u32_e32 v1, v0, v1
	s_delay_alu instid0(VALU_DEP_1) | instskip(NEXT) | instid1(VALU_DEP_1)
	v_sub_nc_u32_e32 v2, 0, v1
	v_max_i32_e32 v2, v1, v2
	s_delay_alu instid0(VALU_DEP_1) | instskip(NEXT) | instid1(VALU_DEP_1)
	v_mul_hi_u32 v3, v2, v99
	v_mul_lo_u32 v3, v3, v85
	s_delay_alu instid0(VALU_DEP_1) | instskip(NEXT) | instid1(VALU_DEP_1)
	v_sub_nc_u32_e32 v2, v2, v3
	v_sub_nc_u32_e32 v3, v2, v85
	v_cmp_ge_u32_e32 vcc_lo, v2, v85
	s_delay_alu instid0(VALU_DEP_2) | instskip(SKIP_1) | instid1(VALU_DEP_2)
	v_cndmask_b32_e32 v2, v2, v3, vcc_lo
	v_ashrrev_i32_e32 v1, 31, v1
	v_sub_nc_u32_e32 v3, v2, v85
	v_cmp_ge_u32_e32 vcc_lo, v2, v85
	s_delay_alu instid0(VALU_DEP_2) | instskip(NEXT) | instid1(VALU_DEP_1)
	v_cndmask_b32_e32 v2, v2, v3, vcc_lo
	v_xor_b32_e32 v2, v2, v1
	s_delay_alu instid0(VALU_DEP_1) | instskip(NEXT) | instid1(VALU_DEP_1)
	v_sub_nc_u32_e32 v1, v2, v1
	v_cmp_eq_u32_e32 vcc_lo, 0, v1
	scratch_load_b32 v1, off, s32 offset:352 ; 4-byte Folded Reload
	s_waitcnt vmcnt(0)
	v_cmp_gt_i32_e64 s0, v0, v1
	s_delay_alu instid0(VALU_DEP_1) | instskip(NEXT) | instid1(SALU_CYCLE_1)
	s_or_b32 s0, vcc_lo, s0
	s_and_saveexec_b32 s12, s0
	s_cbranch_execz .LBB266_1061
; %bb.1063:                             ;   in Loop: Header=BB266_1062 Depth=1
	flat_load_b32 v0, v[10:11]
	scratch_load_b32 v1, off, s32 offset:676 ; 4-byte Folded Reload
	v_mov_b32_e32 v16, 0
	s_mov_b32 s0, exec_lo
	s_waitcnt vmcnt(0) lgkmcnt(0)
	v_mad_i64_i32 v[12:13], null, v0, v1, v[6:7]
	scratch_load_b32 v0, off, s32 offset:356 ; 4-byte Folded Reload
	s_waitcnt vmcnt(0)
	v_add_co_u32 v14, vcc_lo, v12, v0
	v_add_co_ci_u32_e32 v15, vcc_lo, 0, v13, vcc_lo
	flat_load_b32 v26, v[14:15]
	scratch_load_b64 v[0:1], off, s32 offset:696 ; 8-byte Folded Reload
	s_waitcnt vmcnt(1) lgkmcnt(0)
	v_dual_mov_b32 v17, 0 :: v_dual_and_b32 v8, 0xff, v26
	s_waitcnt vmcnt(0)
	flat_load_b32 v102, v[0:1]
	ds_load_b128 v[0:3], v98
	v_dual_mov_b32 v4, v16 :: v_dual_mov_b32 v5, v17
	v_cmpx_ne_u16_e32 0, v8
	s_cbranch_execz .LBB266_1071
; %bb.1064:                             ;   in Loop: Header=BB266_1062 Depth=1
	v_bfrev_b32_e32 v4, 1
	v_mov_b32_e32 v5, 0
	s_mov_b32 s10, exec_lo
	v_cmpx_ne_u16_e32 0x80, v8
	s_cbranch_execz .LBB266_1070
; %bb.1065:                             ;   in Loop: Header=BB266_1062 Depth=1
	v_mov_b32_e32 v4, 0x7f800001
	v_dual_mov_b32 v5, 0 :: v_dual_and_b32 v18, 0x7f, v26
	s_mov_b32 s13, exec_lo
	s_delay_alu instid0(VALU_DEP_1)
	v_cmpx_ne_u32_e32 0x7f, v18
	s_cbranch_execz .LBB266_1069
; %bb.1066:                             ;   in Loop: Header=BB266_1062 Depth=1
	v_and_b32_e32 v8, 7, v26
	v_lshrrev_b32_e32 v4, 3, v18
	s_mov_b32 s15, exec_lo
	v_cmpx_gt_u32_e32 8, v18
; %bb.1067:                             ;   in Loop: Header=BB266_1062 Depth=1
	s_delay_alu instid0(VALU_DEP_3) | instskip(NEXT) | instid1(VALU_DEP_1)
	v_clz_i32_u32_e32 v4, v8
	v_min_u32_e32 v4, 32, v4
	s_delay_alu instid0(VALU_DEP_1) | instskip(SKIP_1) | instid1(VALU_DEP_2)
	v_subrev_nc_u32_e32 v5, 28, v4
	v_sub_nc_u32_e32 v4, 29, v4
	v_lshlrev_b64 v[18:19], v5, v[8:9]
	s_delay_alu instid0(VALU_DEP_1)
	v_and_b32_e32 v8, 7, v18
; %bb.1068:                             ;   in Loop: Header=BB266_1062 Depth=1
	s_or_b32 exec_lo, exec_lo, s15
	v_lshlrev_b32_e32 v5, 24, v26
	s_delay_alu instid0(VALU_DEP_2) | instskip(SKIP_1) | instid1(VALU_DEP_3)
	v_lshlrev_b32_e32 v8, 20, v8
	v_lshl_add_u32 v4, v4, 23, 0x3c000000
	v_and_b32_e32 v5, 0x80000000, v5
	s_delay_alu instid0(VALU_DEP_1) | instskip(NEXT) | instid1(VALU_DEP_1)
	v_or3_b32 v8, v8, v5, v4
	v_dual_mov_b32 v4, v8 :: v_dual_mov_b32 v5, v9
.LBB266_1069:                           ;   in Loop: Header=BB266_1062 Depth=1
	s_or_b32 exec_lo, exec_lo, s13
.LBB266_1070:                           ;   in Loop: Header=BB266_1062 Depth=1
	s_delay_alu instid0(SALU_CYCLE_1)
	s_or_b32 exec_lo, exec_lo, s10
.LBB266_1071:                           ;   in Loop: Header=BB266_1062 Depth=1
	s_delay_alu instid0(SALU_CYCLE_1) | instskip(SKIP_2) | instid1(VALU_DEP_1)
	s_or_b32 exec_lo, exec_lo, s0
	v_lshrrev_b16 v8, 8, v26
	s_mov_b32 s0, exec_lo
	v_cmpx_ne_u16_e32 0, v8
	s_cbranch_execz .LBB266_1079
; %bb.1072:                             ;   in Loop: Header=BB266_1062 Depth=1
	v_dual_mov_b32 v17, s9 :: v_dual_mov_b32 v16, s8
	s_mov_b32 s13, exec_lo
	v_cmpx_ne_u16_e32 0x80, v8
	s_cbranch_execz .LBB266_1078
; %bb.1073:                             ;   in Loop: Header=BB266_1062 Depth=1
	s_mov_b32 s10, s8
	v_dual_mov_b32 v17, s11 :: v_dual_and_b32 v8, 0xffff, v8
	v_mov_b32_e32 v16, s10
	s_mov_b32 s10, exec_lo
	s_delay_alu instid0(VALU_DEP_2) | instskip(NEXT) | instid1(VALU_DEP_1)
	v_and_b32_e32 v18, 0x7f, v8
	v_cmpx_ne_u32_e32 0x7f, v18
	s_cbranch_execz .LBB266_1077
; %bb.1074:                             ;   in Loop: Header=BB266_1062 Depth=1
	v_and_b32_e32 v8, 7, v8
	v_lshrrev_b32_e32 v16, 3, v18
	s_mov_b32 s15, exec_lo
	v_cmpx_gt_u32_e32 8, v18
; %bb.1075:                             ;   in Loop: Header=BB266_1062 Depth=1
	s_delay_alu instid0(VALU_DEP_3) | instskip(NEXT) | instid1(VALU_DEP_1)
	v_clz_i32_u32_e32 v16, v8
	v_min_u32_e32 v16, 32, v16
	s_delay_alu instid0(VALU_DEP_1) | instskip(SKIP_1) | instid1(VALU_DEP_2)
	v_subrev_nc_u32_e32 v17, 28, v16
	v_sub_nc_u32_e32 v16, 29, v16
	v_lshlrev_b64 v[17:18], v17, v[8:9]
	s_delay_alu instid0(VALU_DEP_1)
	v_and_b32_e32 v8, 7, v17
; %bb.1076:                             ;   in Loop: Header=BB266_1062 Depth=1
	s_or_b32 exec_lo, exec_lo, s15
	v_lshlrev_b32_e32 v17, 16, v26
	s_delay_alu instid0(VALU_DEP_2) | instskip(SKIP_1) | instid1(VALU_DEP_3)
	v_lshlrev_b32_e32 v8, 20, v8
	v_lshl_add_u32 v16, v16, 23, 0x3c000000
	v_and_b32_e32 v17, 0x80000000, v17
	s_delay_alu instid0(VALU_DEP_1)
	v_or3_b32 v17, v8, v17, v16
	v_mov_b32_e32 v16, v9
.LBB266_1077:                           ;   in Loop: Header=BB266_1062 Depth=1
	s_or_b32 exec_lo, exec_lo, s10
.LBB266_1078:                           ;   in Loop: Header=BB266_1062 Depth=1
	s_delay_alu instid0(SALU_CYCLE_1)
	s_or_b32 exec_lo, exec_lo, s13
.LBB266_1079:                           ;   in Loop: Header=BB266_1062 Depth=1
	s_delay_alu instid0(SALU_CYCLE_1) | instskip(SKIP_4) | instid1(VALU_DEP_2)
	s_or_b32 exec_lo, exec_lo, s0
	v_mov_b32_e32 v20, 0
	v_lshrrev_b32_e32 v27, 16, v26
	v_mov_b32_e32 v21, 0
	s_mov_b32 s0, exec_lo
	v_and_b32_e32 v8, 0xff, v27
	s_delay_alu instid0(VALU_DEP_2) | instskip(NEXT) | instid1(VALU_DEP_2)
	v_dual_mov_b32 v18, v20 :: v_dual_mov_b32 v19, v21
	v_cmpx_ne_u16_e32 0, v8
	s_cbranch_execz .LBB266_1087
; %bb.1080:                             ;   in Loop: Header=BB266_1062 Depth=1
	v_bfrev_b32_e32 v18, 1
	v_mov_b32_e32 v19, 0
	s_mov_b32 s10, exec_lo
	v_cmpx_ne_u16_e32 0x80, v8
	s_cbranch_execz .LBB266_1086
; %bb.1081:                             ;   in Loop: Header=BB266_1062 Depth=1
	v_mov_b32_e32 v18, 0x7f800001
	v_bfe_u32 v30, v26, 16, 7
	v_mov_b32_e32 v19, 0
	s_mov_b32 s13, exec_lo
	s_delay_alu instid0(VALU_DEP_2)
	v_cmpx_ne_u32_e32 0x7f, v30
	s_cbranch_execz .LBB266_1085
; %bb.1082:                             ;   in Loop: Header=BB266_1062 Depth=1
	v_and_b32_e32 v8, 7, v27
	v_lshrrev_b32_e32 v18, 3, v30
	s_mov_b32 s15, exec_lo
	v_cmpx_gt_u32_e32 8, v30
; %bb.1083:                             ;   in Loop: Header=BB266_1062 Depth=1
	s_delay_alu instid0(VALU_DEP_3) | instskip(NEXT) | instid1(VALU_DEP_1)
	v_clz_i32_u32_e32 v18, v8
	v_min_u32_e32 v18, 32, v18
	s_delay_alu instid0(VALU_DEP_1) | instskip(SKIP_1) | instid1(VALU_DEP_2)
	v_subrev_nc_u32_e32 v19, 28, v18
	v_sub_nc_u32_e32 v18, 29, v18
	v_lshlrev_b64 v[86:87], v19, v[8:9]
	s_delay_alu instid0(VALU_DEP_1)
	v_and_b32_e32 v8, 7, v86
; %bb.1084:                             ;   in Loop: Header=BB266_1062 Depth=1
	s_or_b32 exec_lo, exec_lo, s15
	v_lshlrev_b32_e32 v19, 24, v27
	s_delay_alu instid0(VALU_DEP_2) | instskip(SKIP_1) | instid1(VALU_DEP_3)
	v_lshlrev_b32_e32 v8, 20, v8
	v_lshl_add_u32 v18, v18, 23, 0x3c000000
	v_and_b32_e32 v19, 0x80000000, v19
	s_delay_alu instid0(VALU_DEP_1) | instskip(NEXT) | instid1(VALU_DEP_1)
	v_or3_b32 v8, v8, v19, v18
	v_dual_mov_b32 v19, v9 :: v_dual_mov_b32 v18, v8
.LBB266_1085:                           ;   in Loop: Header=BB266_1062 Depth=1
	s_or_b32 exec_lo, exec_lo, s13
.LBB266_1086:                           ;   in Loop: Header=BB266_1062 Depth=1
	s_delay_alu instid0(SALU_CYCLE_1)
	s_or_b32 exec_lo, exec_lo, s10
.LBB266_1087:                           ;   in Loop: Header=BB266_1062 Depth=1
	s_delay_alu instid0(SALU_CYCLE_1) | instskip(NEXT) | instid1(SALU_CYCLE_1)
	s_or_b32 exec_lo, exec_lo, s0
	s_mov_b32 s0, exec_lo
	v_cmpx_lt_u32_e32 0xffffff, v26
	s_cbranch_execz .LBB266_1095
; %bb.1088:                             ;   in Loop: Header=BB266_1062 Depth=1
	v_lshrrev_b32_e32 v27, 24, v26
	v_dual_mov_b32 v21, s9 :: v_dual_mov_b32 v20, s8
	s_mov_b32 s13, exec_lo
	s_delay_alu instid0(VALU_DEP_2)
	v_cmpx_ne_u32_e32 0x80, v27
	s_cbranch_execz .LBB266_1094
; %bb.1089:                             ;   in Loop: Header=BB266_1062 Depth=1
	s_mov_b32 s10, s8
	v_bfe_u32 v26, v26, 24, 7
	v_dual_mov_b32 v21, s11 :: v_dual_mov_b32 v20, s10
	s_mov_b32 s10, exec_lo
	s_delay_alu instid0(VALU_DEP_2)
	v_cmpx_ne_u32_e32 0x7f, v26
	s_cbranch_execz .LBB266_1093
; %bb.1090:                             ;   in Loop: Header=BB266_1062 Depth=1
	v_and_b32_e32 v8, 7, v27
	v_lshrrev_b32_e32 v20, 3, v26
	s_mov_b32 s15, exec_lo
	v_cmpx_gt_u32_e32 8, v26
; %bb.1091:                             ;   in Loop: Header=BB266_1062 Depth=1
	s_delay_alu instid0(VALU_DEP_3) | instskip(NEXT) | instid1(VALU_DEP_1)
	v_clz_i32_u32_e32 v20, v8
	v_min_u32_e32 v20, 32, v20
	s_delay_alu instid0(VALU_DEP_1) | instskip(SKIP_1) | instid1(VALU_DEP_2)
	v_subrev_nc_u32_e32 v21, 28, v20
	v_sub_nc_u32_e32 v20, 29, v20
	v_lshlrev_b64 v[86:87], v21, v[8:9]
	s_delay_alu instid0(VALU_DEP_1)
	v_and_b32_e32 v8, 7, v86
; %bb.1092:                             ;   in Loop: Header=BB266_1062 Depth=1
	s_or_b32 exec_lo, exec_lo, s15
	v_lshlrev_b32_e32 v21, 24, v27
	s_delay_alu instid0(VALU_DEP_2) | instskip(SKIP_1) | instid1(VALU_DEP_3)
	v_lshlrev_b32_e32 v8, 20, v8
	v_lshl_add_u32 v20, v20, 23, 0x3c000000
	v_and_b32_e32 v21, 0x80000000, v21
	s_delay_alu instid0(VALU_DEP_1)
	v_or3_b32 v21, v8, v21, v20
	v_mov_b32_e32 v20, v9
.LBB266_1093:                           ;   in Loop: Header=BB266_1062 Depth=1
	s_or_b32 exec_lo, exec_lo, s10
.LBB266_1094:                           ;   in Loop: Header=BB266_1062 Depth=1
	s_delay_alu instid0(SALU_CYCLE_1)
	s_or_b32 exec_lo, exec_lo, s13
.LBB266_1095:                           ;   in Loop: Header=BB266_1062 Depth=1
	s_delay_alu instid0(SALU_CYCLE_1)
	s_or_b32 exec_lo, exec_lo, s0
	v_or_b32_e32 v5, v17, v5
	v_or_b32_e32 v4, v16, v4
	v_add_nc_u32_e32 v115, v96, v22
	v_or_b32_e32 v8, v21, v19
	v_or_b32_e32 v16, v20, v18
	v_cmp_eq_u32_e32 vcc_lo, v97, v120
	s_waitcnt vmcnt(0) lgkmcnt(1)
	v_mul_f32_e32 v100, v102, v4
	v_dual_mul_f32 v101, v102, v5 :: v_dual_add_nc_u32 v118, 1, v115
	v_dual_mul_f32 v27, v102, v8 :: v_dual_add_nc_u32 v116, 3, v115
	;; [unrolled: 1-line block ×3, first 2 shown]
	s_and_saveexec_b32 s10, vcc_lo
; %bb.1096:                             ;   in Loop: Header=BB266_1062 Depth=1
	v_cmp_lt_i32_e64 s0, v115, v47
	s_delay_alu instid0(VALU_DEP_1) | instskip(SKIP_1) | instid1(VALU_DEP_1)
	v_cndmask_b32_e64 v100, 0, v100, s0
	v_cmp_lt_i32_e64 s0, v118, v47
	v_cndmask_b32_e64 v101, 0, v101, s0
	v_cmp_lt_i32_e64 s0, v117, v47
	s_delay_alu instid0(VALU_DEP_1) | instskip(SKIP_1) | instid1(VALU_DEP_1)
	v_cndmask_b32_e64 v30, 0, v30, s0
	v_cmp_lt_i32_e64 s0, v116, v47
	v_cndmask_b32_e64 v27, 0, v27, s0
; %bb.1097:                             ;   in Loop: Header=BB266_1062 Depth=1
	s_or_b32 exec_lo, exec_lo, s10
	flat_load_b32 v26, v[14:15] offset:128
	v_mov_b32_e32 v16, 0
	v_mov_b32_e32 v17, 0
	s_mov_b32 s10, exec_lo
	s_waitcnt vmcnt(0) lgkmcnt(0)
	v_and_b32_e32 v8, 0xff, v26
	s_delay_alu instid0(VALU_DEP_2) | instskip(NEXT) | instid1(VALU_DEP_2)
	v_dual_mov_b32 v4, v16 :: v_dual_mov_b32 v5, v17
	v_cmpx_ne_u16_e32 0, v8
	s_cbranch_execz .LBB266_1105
; %bb.1098:                             ;   in Loop: Header=BB266_1062 Depth=1
	v_bfrev_b32_e32 v4, 1
	v_mov_b32_e32 v5, 0
	s_mov_b32 s13, exec_lo
	v_cmpx_ne_u16_e32 0x80, v8
	s_cbranch_execz .LBB266_1104
; %bb.1099:                             ;   in Loop: Header=BB266_1062 Depth=1
	v_mov_b32_e32 v4, 0x7f800001
	v_dual_mov_b32 v5, 0 :: v_dual_and_b32 v18, 0x7f, v26
	s_mov_b32 s15, exec_lo
	s_delay_alu instid0(VALU_DEP_1)
	v_cmpx_ne_u32_e32 0x7f, v18
	s_cbranch_execz .LBB266_1103
; %bb.1100:                             ;   in Loop: Header=BB266_1062 Depth=1
	v_and_b32_e32 v8, 7, v26
	v_lshrrev_b32_e32 v4, 3, v18
	s_mov_b32 s16, exec_lo
	v_cmpx_gt_u32_e32 8, v18
; %bb.1101:                             ;   in Loop: Header=BB266_1062 Depth=1
	s_delay_alu instid0(VALU_DEP_3) | instskip(NEXT) | instid1(VALU_DEP_1)
	v_clz_i32_u32_e32 v4, v8
	v_min_u32_e32 v4, 32, v4
	s_delay_alu instid0(VALU_DEP_1) | instskip(SKIP_1) | instid1(VALU_DEP_2)
	v_subrev_nc_u32_e32 v5, 28, v4
	v_sub_nc_u32_e32 v4, 29, v4
	v_lshlrev_b64 v[18:19], v5, v[8:9]
	s_delay_alu instid0(VALU_DEP_1)
	v_and_b32_e32 v8, 7, v18
; %bb.1102:                             ;   in Loop: Header=BB266_1062 Depth=1
	s_or_b32 exec_lo, exec_lo, s16
	v_lshlrev_b32_e32 v5, 24, v26
	s_delay_alu instid0(VALU_DEP_2) | instskip(SKIP_1) | instid1(VALU_DEP_3)
	v_lshlrev_b32_e32 v8, 20, v8
	v_lshl_add_u32 v4, v4, 23, 0x3c000000
	v_and_b32_e32 v5, 0x80000000, v5
	s_delay_alu instid0(VALU_DEP_1) | instskip(NEXT) | instid1(VALU_DEP_1)
	v_or3_b32 v8, v8, v5, v4
	v_dual_mov_b32 v4, v8 :: v_dual_mov_b32 v5, v9
.LBB266_1103:                           ;   in Loop: Header=BB266_1062 Depth=1
	s_or_b32 exec_lo, exec_lo, s15
.LBB266_1104:                           ;   in Loop: Header=BB266_1062 Depth=1
	s_delay_alu instid0(SALU_CYCLE_1)
	s_or_b32 exec_lo, exec_lo, s13
.LBB266_1105:                           ;   in Loop: Header=BB266_1062 Depth=1
	s_delay_alu instid0(SALU_CYCLE_1) | instskip(SKIP_2) | instid1(VALU_DEP_1)
	s_or_b32 exec_lo, exec_lo, s10
	v_lshrrev_b16 v8, 8, v26
	s_mov_b32 s13, exec_lo
	v_cmpx_ne_u16_e32 0, v8
	s_cbranch_execz .LBB266_1113
; %bb.1106:                             ;   in Loop: Header=BB266_1062 Depth=1
	v_dual_mov_b32 v17, s9 :: v_dual_mov_b32 v16, s8
	s_mov_b32 s15, exec_lo
	v_cmpx_ne_u16_e32 0x80, v8
	s_cbranch_execz .LBB266_1112
; %bb.1107:                             ;   in Loop: Header=BB266_1062 Depth=1
	s_mov_b32 s10, s8
	v_dual_mov_b32 v17, s11 :: v_dual_and_b32 v8, 0xffff, v8
	v_mov_b32_e32 v16, s10
	s_mov_b32 s10, exec_lo
	s_delay_alu instid0(VALU_DEP_2) | instskip(NEXT) | instid1(VALU_DEP_1)
	v_and_b32_e32 v18, 0x7f, v8
	v_cmpx_ne_u32_e32 0x7f, v18
	s_cbranch_execz .LBB266_1111
; %bb.1108:                             ;   in Loop: Header=BB266_1062 Depth=1
	v_and_b32_e32 v8, 7, v8
	v_lshrrev_b32_e32 v16, 3, v18
	s_mov_b32 s16, exec_lo
	v_cmpx_gt_u32_e32 8, v18
; %bb.1109:                             ;   in Loop: Header=BB266_1062 Depth=1
	s_delay_alu instid0(VALU_DEP_3) | instskip(NEXT) | instid1(VALU_DEP_1)
	v_clz_i32_u32_e32 v16, v8
	v_min_u32_e32 v16, 32, v16
	s_delay_alu instid0(VALU_DEP_1) | instskip(SKIP_1) | instid1(VALU_DEP_2)
	v_subrev_nc_u32_e32 v17, 28, v16
	v_sub_nc_u32_e32 v16, 29, v16
	v_lshlrev_b64 v[17:18], v17, v[8:9]
	s_delay_alu instid0(VALU_DEP_1)
	v_and_b32_e32 v8, 7, v17
; %bb.1110:                             ;   in Loop: Header=BB266_1062 Depth=1
	s_or_b32 exec_lo, exec_lo, s16
	v_lshlrev_b32_e32 v17, 16, v26
	s_delay_alu instid0(VALU_DEP_2) | instskip(SKIP_1) | instid1(VALU_DEP_3)
	v_lshlrev_b32_e32 v8, 20, v8
	v_lshl_add_u32 v16, v16, 23, 0x3c000000
	v_and_b32_e32 v17, 0x80000000, v17
	s_delay_alu instid0(VALU_DEP_1)
	v_or3_b32 v17, v8, v17, v16
	v_mov_b32_e32 v16, v9
.LBB266_1111:                           ;   in Loop: Header=BB266_1062 Depth=1
	s_or_b32 exec_lo, exec_lo, s10
.LBB266_1112:                           ;   in Loop: Header=BB266_1062 Depth=1
	s_delay_alu instid0(SALU_CYCLE_1)
	s_or_b32 exec_lo, exec_lo, s15
.LBB266_1113:                           ;   in Loop: Header=BB266_1062 Depth=1
	s_delay_alu instid0(SALU_CYCLE_1) | instskip(SKIP_4) | instid1(VALU_DEP_2)
	s_or_b32 exec_lo, exec_lo, s13
	v_mov_b32_e32 v20, 0
	v_lshrrev_b32_e32 v86, 16, v26
	v_mov_b32_e32 v21, 0
	s_mov_b32 s10, exec_lo
	v_and_b32_e32 v8, 0xff, v86
	s_delay_alu instid0(VALU_DEP_2) | instskip(NEXT) | instid1(VALU_DEP_2)
	v_dual_mov_b32 v18, v20 :: v_dual_mov_b32 v19, v21
	v_cmpx_ne_u16_e32 0, v8
	s_cbranch_execz .LBB266_1121
; %bb.1114:                             ;   in Loop: Header=BB266_1062 Depth=1
	v_bfrev_b32_e32 v18, 1
	v_mov_b32_e32 v19, 0
	s_mov_b32 s13, exec_lo
	v_cmpx_ne_u16_e32 0x80, v8
	s_cbranch_execz .LBB266_1120
; %bb.1115:                             ;   in Loop: Header=BB266_1062 Depth=1
	v_mov_b32_e32 v18, 0x7f800001
	v_bfe_u32 v87, v26, 16, 7
	v_mov_b32_e32 v19, 0
	s_mov_b32 s15, exec_lo
	s_delay_alu instid0(VALU_DEP_2)
	v_cmpx_ne_u32_e32 0x7f, v87
	s_cbranch_execz .LBB266_1119
; %bb.1116:                             ;   in Loop: Header=BB266_1062 Depth=1
	v_and_b32_e32 v8, 7, v86
	v_lshrrev_b32_e32 v18, 3, v87
	s_mov_b32 s16, exec_lo
	v_cmpx_gt_u32_e32 8, v87
; %bb.1117:                             ;   in Loop: Header=BB266_1062 Depth=1
	s_delay_alu instid0(VALU_DEP_3) | instskip(NEXT) | instid1(VALU_DEP_1)
	v_clz_i32_u32_e32 v18, v8
	v_min_u32_e32 v18, 32, v18
	s_delay_alu instid0(VALU_DEP_1) | instskip(SKIP_1) | instid1(VALU_DEP_2)
	v_subrev_nc_u32_e32 v19, 28, v18
	v_sub_nc_u32_e32 v18, 29, v18
	v_lshlrev_b64 v[112:113], v19, v[8:9]
	s_delay_alu instid0(VALU_DEP_1)
	v_and_b32_e32 v8, 7, v112
; %bb.1118:                             ;   in Loop: Header=BB266_1062 Depth=1
	s_or_b32 exec_lo, exec_lo, s16
	v_lshlrev_b32_e32 v19, 24, v86
	s_delay_alu instid0(VALU_DEP_2) | instskip(SKIP_1) | instid1(VALU_DEP_3)
	v_lshlrev_b32_e32 v8, 20, v8
	v_lshl_add_u32 v18, v18, 23, 0x3c000000
	v_and_b32_e32 v19, 0x80000000, v19
	s_delay_alu instid0(VALU_DEP_1) | instskip(NEXT) | instid1(VALU_DEP_1)
	v_or3_b32 v8, v8, v19, v18
	v_dual_mov_b32 v19, v9 :: v_dual_mov_b32 v18, v8
.LBB266_1119:                           ;   in Loop: Header=BB266_1062 Depth=1
	s_or_b32 exec_lo, exec_lo, s15
.LBB266_1120:                           ;   in Loop: Header=BB266_1062 Depth=1
	s_delay_alu instid0(SALU_CYCLE_1)
	s_or_b32 exec_lo, exec_lo, s13
.LBB266_1121:                           ;   in Loop: Header=BB266_1062 Depth=1
	s_delay_alu instid0(SALU_CYCLE_1) | instskip(NEXT) | instid1(SALU_CYCLE_1)
	s_or_b32 exec_lo, exec_lo, s10
	s_mov_b32 s13, exec_lo
	v_cmpx_lt_u32_e32 0xffffff, v26
	s_cbranch_execz .LBB266_1129
; %bb.1122:                             ;   in Loop: Header=BB266_1062 Depth=1
	v_lshrrev_b32_e32 v86, 24, v26
	v_dual_mov_b32 v21, s9 :: v_dual_mov_b32 v20, s8
	s_mov_b32 s15, exec_lo
	s_delay_alu instid0(VALU_DEP_2)
	v_cmpx_ne_u32_e32 0x80, v86
	s_cbranch_execz .LBB266_1128
; %bb.1123:                             ;   in Loop: Header=BB266_1062 Depth=1
	s_mov_b32 s10, s8
	v_bfe_u32 v26, v26, 24, 7
	v_dual_mov_b32 v21, s11 :: v_dual_mov_b32 v20, s10
	s_mov_b32 s10, exec_lo
	s_delay_alu instid0(VALU_DEP_2)
	v_cmpx_ne_u32_e32 0x7f, v26
	s_cbranch_execz .LBB266_1127
; %bb.1124:                             ;   in Loop: Header=BB266_1062 Depth=1
	v_and_b32_e32 v8, 7, v86
	v_lshrrev_b32_e32 v20, 3, v26
	s_mov_b32 s16, exec_lo
	v_cmpx_gt_u32_e32 8, v26
; %bb.1125:                             ;   in Loop: Header=BB266_1062 Depth=1
	s_delay_alu instid0(VALU_DEP_3) | instskip(NEXT) | instid1(VALU_DEP_1)
	v_clz_i32_u32_e32 v20, v8
	v_min_u32_e32 v20, 32, v20
	s_delay_alu instid0(VALU_DEP_1) | instskip(SKIP_1) | instid1(VALU_DEP_2)
	v_subrev_nc_u32_e32 v21, 28, v20
	v_sub_nc_u32_e32 v20, 29, v20
	v_lshlrev_b64 v[112:113], v21, v[8:9]
	s_delay_alu instid0(VALU_DEP_1)
	v_and_b32_e32 v8, 7, v112
; %bb.1126:                             ;   in Loop: Header=BB266_1062 Depth=1
	s_or_b32 exec_lo, exec_lo, s16
	v_lshlrev_b32_e32 v21, 24, v86
	s_delay_alu instid0(VALU_DEP_2) | instskip(SKIP_1) | instid1(VALU_DEP_3)
	v_lshlrev_b32_e32 v8, 20, v8
	v_lshl_add_u32 v20, v20, 23, 0x3c000000
	v_and_b32_e32 v21, 0x80000000, v21
	s_delay_alu instid0(VALU_DEP_1)
	v_or3_b32 v21, v8, v21, v20
	v_mov_b32_e32 v20, v9
.LBB266_1127:                           ;   in Loop: Header=BB266_1062 Depth=1
	s_or_b32 exec_lo, exec_lo, s10
.LBB266_1128:                           ;   in Loop: Header=BB266_1062 Depth=1
	s_delay_alu instid0(SALU_CYCLE_1)
	s_or_b32 exec_lo, exec_lo, s15
.LBB266_1129:                           ;   in Loop: Header=BB266_1062 Depth=1
	s_delay_alu instid0(SALU_CYCLE_1) | instskip(SKIP_4) | instid1(VALU_DEP_4)
	s_or_b32 exec_lo, exec_lo, s13
	v_or_b32_e32 v5, v17, v5
	v_or_b32_e32 v4, v16, v4
	;; [unrolled: 1-line block ×4, first 2 shown]
	v_mul_f32_e32 v114, v102, v5
	s_delay_alu instid0(VALU_DEP_4) | instskip(NEXT) | instid1(VALU_DEP_4)
	v_mul_f32_e32 v113, v102, v4
	v_mul_f32_e32 v103, v102, v8
	s_delay_alu instid0(VALU_DEP_4)
	v_mul_f32_e32 v112, v102, v16
	s_and_saveexec_b32 s10, vcc_lo
; %bb.1130:                             ;   in Loop: Header=BB266_1062 Depth=1
	v_cmp_lt_i32_e64 s0, v115, v47
	s_delay_alu instid0(VALU_DEP_1) | instskip(SKIP_1) | instid1(VALU_DEP_1)
	v_cndmask_b32_e64 v113, 0, v113, s0
	v_cmp_lt_i32_e64 s0, v118, v47
	v_cndmask_b32_e64 v114, 0, v114, s0
	v_cmp_lt_i32_e64 s0, v117, v47
	s_delay_alu instid0(VALU_DEP_1) | instskip(SKIP_1) | instid1(VALU_DEP_1)
	v_cndmask_b32_e64 v112, 0, v112, s0
	v_cmp_lt_i32_e64 s0, v116, v47
	v_cndmask_b32_e64 v103, 0, v103, s0
; %bb.1131:                             ;   in Loop: Header=BB266_1062 Depth=1
	s_or_b32 exec_lo, exec_lo, s10
	flat_load_b32 v26, v[14:15] offset:256
	v_mov_b32_e32 v16, 0
	v_mov_b32_e32 v17, 0
	s_mov_b32 s10, exec_lo
	s_waitcnt vmcnt(0) lgkmcnt(0)
	v_and_b32_e32 v8, 0xff, v26
	s_delay_alu instid0(VALU_DEP_2) | instskip(NEXT) | instid1(VALU_DEP_2)
	v_dual_mov_b32 v4, v16 :: v_dual_mov_b32 v5, v17
	v_cmpx_ne_u16_e32 0, v8
	s_cbranch_execz .LBB266_1139
; %bb.1132:                             ;   in Loop: Header=BB266_1062 Depth=1
	v_bfrev_b32_e32 v4, 1
	v_mov_b32_e32 v5, 0
	s_mov_b32 s13, exec_lo
	v_cmpx_ne_u16_e32 0x80, v8
	s_cbranch_execz .LBB266_1138
; %bb.1133:                             ;   in Loop: Header=BB266_1062 Depth=1
	v_mov_b32_e32 v4, 0x7f800001
	v_dual_mov_b32 v5, 0 :: v_dual_and_b32 v18, 0x7f, v26
	s_mov_b32 s15, exec_lo
	s_delay_alu instid0(VALU_DEP_1)
	v_cmpx_ne_u32_e32 0x7f, v18
	s_cbranch_execz .LBB266_1137
; %bb.1134:                             ;   in Loop: Header=BB266_1062 Depth=1
	v_and_b32_e32 v8, 7, v26
	v_lshrrev_b32_e32 v4, 3, v18
	s_mov_b32 s16, exec_lo
	v_cmpx_gt_u32_e32 8, v18
; %bb.1135:                             ;   in Loop: Header=BB266_1062 Depth=1
	s_delay_alu instid0(VALU_DEP_3) | instskip(NEXT) | instid1(VALU_DEP_1)
	v_clz_i32_u32_e32 v4, v8
	v_min_u32_e32 v4, 32, v4
	s_delay_alu instid0(VALU_DEP_1) | instskip(SKIP_1) | instid1(VALU_DEP_2)
	v_subrev_nc_u32_e32 v5, 28, v4
	v_sub_nc_u32_e32 v4, 29, v4
	v_lshlrev_b64 v[18:19], v5, v[8:9]
	s_delay_alu instid0(VALU_DEP_1)
	v_and_b32_e32 v8, 7, v18
; %bb.1136:                             ;   in Loop: Header=BB266_1062 Depth=1
	s_or_b32 exec_lo, exec_lo, s16
	v_lshlrev_b32_e32 v5, 24, v26
	s_delay_alu instid0(VALU_DEP_2) | instskip(SKIP_1) | instid1(VALU_DEP_3)
	v_lshlrev_b32_e32 v8, 20, v8
	v_lshl_add_u32 v4, v4, 23, 0x3c000000
	v_and_b32_e32 v5, 0x80000000, v5
	s_delay_alu instid0(VALU_DEP_1) | instskip(NEXT) | instid1(VALU_DEP_1)
	v_or3_b32 v8, v8, v5, v4
	v_dual_mov_b32 v4, v8 :: v_dual_mov_b32 v5, v9
.LBB266_1137:                           ;   in Loop: Header=BB266_1062 Depth=1
	s_or_b32 exec_lo, exec_lo, s15
.LBB266_1138:                           ;   in Loop: Header=BB266_1062 Depth=1
	s_delay_alu instid0(SALU_CYCLE_1)
	s_or_b32 exec_lo, exec_lo, s13
.LBB266_1139:                           ;   in Loop: Header=BB266_1062 Depth=1
	s_delay_alu instid0(SALU_CYCLE_1) | instskip(SKIP_2) | instid1(VALU_DEP_1)
	s_or_b32 exec_lo, exec_lo, s10
	v_lshrrev_b16 v8, 8, v26
	s_mov_b32 s13, exec_lo
	v_cmpx_ne_u16_e32 0, v8
	s_cbranch_execz .LBB266_1147
; %bb.1140:                             ;   in Loop: Header=BB266_1062 Depth=1
	v_dual_mov_b32 v17, s9 :: v_dual_mov_b32 v16, s8
	s_mov_b32 s15, exec_lo
	v_cmpx_ne_u16_e32 0x80, v8
	s_cbranch_execz .LBB266_1146
; %bb.1141:                             ;   in Loop: Header=BB266_1062 Depth=1
	s_mov_b32 s10, s8
	v_dual_mov_b32 v17, s11 :: v_dual_and_b32 v8, 0xffff, v8
	v_mov_b32_e32 v16, s10
	s_mov_b32 s10, exec_lo
	s_delay_alu instid0(VALU_DEP_2) | instskip(NEXT) | instid1(VALU_DEP_1)
	v_and_b32_e32 v18, 0x7f, v8
	v_cmpx_ne_u32_e32 0x7f, v18
	s_cbranch_execz .LBB266_1145
; %bb.1142:                             ;   in Loop: Header=BB266_1062 Depth=1
	v_and_b32_e32 v8, 7, v8
	v_lshrrev_b32_e32 v16, 3, v18
	s_mov_b32 s16, exec_lo
	v_cmpx_gt_u32_e32 8, v18
; %bb.1143:                             ;   in Loop: Header=BB266_1062 Depth=1
	s_delay_alu instid0(VALU_DEP_3) | instskip(NEXT) | instid1(VALU_DEP_1)
	v_clz_i32_u32_e32 v16, v8
	v_min_u32_e32 v16, 32, v16
	s_delay_alu instid0(VALU_DEP_1) | instskip(SKIP_1) | instid1(VALU_DEP_2)
	v_subrev_nc_u32_e32 v17, 28, v16
	v_sub_nc_u32_e32 v16, 29, v16
	v_lshlrev_b64 v[17:18], v17, v[8:9]
	s_delay_alu instid0(VALU_DEP_1)
	v_and_b32_e32 v8, 7, v17
; %bb.1144:                             ;   in Loop: Header=BB266_1062 Depth=1
	s_or_b32 exec_lo, exec_lo, s16
	v_lshlrev_b32_e32 v17, 16, v26
	s_delay_alu instid0(VALU_DEP_2) | instskip(SKIP_1) | instid1(VALU_DEP_3)
	v_lshlrev_b32_e32 v8, 20, v8
	v_lshl_add_u32 v16, v16, 23, 0x3c000000
	v_and_b32_e32 v17, 0x80000000, v17
	s_delay_alu instid0(VALU_DEP_1)
	v_or3_b32 v17, v8, v17, v16
	v_mov_b32_e32 v16, v9
.LBB266_1145:                           ;   in Loop: Header=BB266_1062 Depth=1
	s_or_b32 exec_lo, exec_lo, s10
.LBB266_1146:                           ;   in Loop: Header=BB266_1062 Depth=1
	s_delay_alu instid0(SALU_CYCLE_1)
	s_or_b32 exec_lo, exec_lo, s15
.LBB266_1147:                           ;   in Loop: Header=BB266_1062 Depth=1
	s_delay_alu instid0(SALU_CYCLE_1) | instskip(SKIP_4) | instid1(VALU_DEP_2)
	s_or_b32 exec_lo, exec_lo, s13
	v_mov_b32_e32 v20, 0
	v_lshrrev_b32_e32 v86, 16, v26
	v_mov_b32_e32 v21, 0
	s_mov_b32 s10, exec_lo
	v_and_b32_e32 v8, 0xff, v86
	s_delay_alu instid0(VALU_DEP_2) | instskip(NEXT) | instid1(VALU_DEP_2)
	v_dual_mov_b32 v18, v20 :: v_dual_mov_b32 v19, v21
	v_cmpx_ne_u16_e32 0, v8
	s_cbranch_execz .LBB266_1155
; %bb.1148:                             ;   in Loop: Header=BB266_1062 Depth=1
	v_bfrev_b32_e32 v18, 1
	v_mov_b32_e32 v19, 0
	s_mov_b32 s13, exec_lo
	v_cmpx_ne_u16_e32 0x80, v8
	s_cbranch_execz .LBB266_1154
; %bb.1149:                             ;   in Loop: Header=BB266_1062 Depth=1
	v_mov_b32_e32 v18, 0x7f800001
	v_bfe_u32 v87, v26, 16, 7
	v_mov_b32_e32 v19, 0
	s_mov_b32 s15, exec_lo
	s_delay_alu instid0(VALU_DEP_2)
	v_cmpx_ne_u32_e32 0x7f, v87
	s_cbranch_execz .LBB266_1153
; %bb.1150:                             ;   in Loop: Header=BB266_1062 Depth=1
	v_and_b32_e32 v8, 7, v86
	v_lshrrev_b32_e32 v18, 3, v87
	s_mov_b32 s16, exec_lo
	v_cmpx_gt_u32_e32 8, v87
; %bb.1151:                             ;   in Loop: Header=BB266_1062 Depth=1
	s_delay_alu instid0(VALU_DEP_3) | instskip(NEXT) | instid1(VALU_DEP_1)
	v_clz_i32_u32_e32 v18, v8
	v_min_u32_e32 v18, 32, v18
	s_delay_alu instid0(VALU_DEP_1) | instskip(SKIP_1) | instid1(VALU_DEP_2)
	v_subrev_nc_u32_e32 v19, 28, v18
	v_sub_nc_u32_e32 v18, 29, v18
	v_lshlrev_b64 v[128:129], v19, v[8:9]
	s_delay_alu instid0(VALU_DEP_1)
	v_and_b32_e32 v8, 7, v128
; %bb.1152:                             ;   in Loop: Header=BB266_1062 Depth=1
	s_or_b32 exec_lo, exec_lo, s16
	v_lshlrev_b32_e32 v19, 24, v86
	s_delay_alu instid0(VALU_DEP_2) | instskip(SKIP_1) | instid1(VALU_DEP_3)
	v_lshlrev_b32_e32 v8, 20, v8
	v_lshl_add_u32 v18, v18, 23, 0x3c000000
	v_and_b32_e32 v19, 0x80000000, v19
	s_delay_alu instid0(VALU_DEP_1) | instskip(NEXT) | instid1(VALU_DEP_1)
	v_or3_b32 v8, v8, v19, v18
	v_dual_mov_b32 v19, v9 :: v_dual_mov_b32 v18, v8
.LBB266_1153:                           ;   in Loop: Header=BB266_1062 Depth=1
	s_or_b32 exec_lo, exec_lo, s15
.LBB266_1154:                           ;   in Loop: Header=BB266_1062 Depth=1
	s_delay_alu instid0(SALU_CYCLE_1)
	s_or_b32 exec_lo, exec_lo, s13
.LBB266_1155:                           ;   in Loop: Header=BB266_1062 Depth=1
	s_delay_alu instid0(SALU_CYCLE_1) | instskip(NEXT) | instid1(SALU_CYCLE_1)
	s_or_b32 exec_lo, exec_lo, s10
	s_mov_b32 s13, exec_lo
	v_cmpx_lt_u32_e32 0xffffff, v26
	s_cbranch_execz .LBB266_1163
; %bb.1156:                             ;   in Loop: Header=BB266_1062 Depth=1
	v_lshrrev_b32_e32 v86, 24, v26
	v_dual_mov_b32 v21, s9 :: v_dual_mov_b32 v20, s8
	s_mov_b32 s15, exec_lo
	s_delay_alu instid0(VALU_DEP_2)
	v_cmpx_ne_u32_e32 0x80, v86
	s_cbranch_execz .LBB266_1162
; %bb.1157:                             ;   in Loop: Header=BB266_1062 Depth=1
	s_mov_b32 s10, s8
	v_bfe_u32 v26, v26, 24, 7
	v_dual_mov_b32 v21, s11 :: v_dual_mov_b32 v20, s10
	s_mov_b32 s10, exec_lo
	s_delay_alu instid0(VALU_DEP_2)
	v_cmpx_ne_u32_e32 0x7f, v26
	s_cbranch_execz .LBB266_1161
; %bb.1158:                             ;   in Loop: Header=BB266_1062 Depth=1
	v_and_b32_e32 v8, 7, v86
	v_lshrrev_b32_e32 v20, 3, v26
	s_mov_b32 s16, exec_lo
	v_cmpx_gt_u32_e32 8, v26
; %bb.1159:                             ;   in Loop: Header=BB266_1062 Depth=1
	s_delay_alu instid0(VALU_DEP_3) | instskip(NEXT) | instid1(VALU_DEP_1)
	v_clz_i32_u32_e32 v20, v8
	v_min_u32_e32 v20, 32, v20
	s_delay_alu instid0(VALU_DEP_1) | instskip(SKIP_1) | instid1(VALU_DEP_2)
	v_subrev_nc_u32_e32 v21, 28, v20
	v_sub_nc_u32_e32 v20, 29, v20
	v_lshlrev_b64 v[128:129], v21, v[8:9]
	s_delay_alu instid0(VALU_DEP_1)
	v_and_b32_e32 v8, 7, v128
; %bb.1160:                             ;   in Loop: Header=BB266_1062 Depth=1
	s_or_b32 exec_lo, exec_lo, s16
	v_lshlrev_b32_e32 v21, 24, v86
	s_delay_alu instid0(VALU_DEP_2) | instskip(SKIP_1) | instid1(VALU_DEP_3)
	v_lshlrev_b32_e32 v8, 20, v8
	v_lshl_add_u32 v20, v20, 23, 0x3c000000
	v_and_b32_e32 v21, 0x80000000, v21
	s_delay_alu instid0(VALU_DEP_1)
	v_or3_b32 v21, v8, v21, v20
	v_mov_b32_e32 v20, v9
.LBB266_1161:                           ;   in Loop: Header=BB266_1062 Depth=1
	s_or_b32 exec_lo, exec_lo, s10
.LBB266_1162:                           ;   in Loop: Header=BB266_1062 Depth=1
	s_delay_alu instid0(SALU_CYCLE_1)
	s_or_b32 exec_lo, exec_lo, s15
.LBB266_1163:                           ;   in Loop: Header=BB266_1062 Depth=1
	s_delay_alu instid0(SALU_CYCLE_1) | instskip(SKIP_4) | instid1(VALU_DEP_4)
	s_or_b32 exec_lo, exec_lo, s13
	v_or_b32_e32 v5, v17, v5
	v_or_b32_e32 v4, v16, v4
	;; [unrolled: 1-line block ×4, first 2 shown]
	v_mul_f32_e32 v130, v102, v5
	s_delay_alu instid0(VALU_DEP_4) | instskip(NEXT) | instid1(VALU_DEP_4)
	v_mul_f32_e32 v129, v102, v4
	v_mul_f32_e32 v119, v102, v8
	s_delay_alu instid0(VALU_DEP_4)
	v_mul_f32_e32 v128, v102, v16
	s_and_saveexec_b32 s10, vcc_lo
; %bb.1164:                             ;   in Loop: Header=BB266_1062 Depth=1
	v_cmp_lt_i32_e64 s0, v115, v47
	s_delay_alu instid0(VALU_DEP_1) | instskip(SKIP_1) | instid1(VALU_DEP_1)
	v_cndmask_b32_e64 v129, 0, v129, s0
	v_cmp_lt_i32_e64 s0, v118, v47
	v_cndmask_b32_e64 v130, 0, v130, s0
	v_cmp_lt_i32_e64 s0, v117, v47
	s_delay_alu instid0(VALU_DEP_1) | instskip(SKIP_1) | instid1(VALU_DEP_1)
	v_cndmask_b32_e64 v128, 0, v128, s0
	v_cmp_lt_i32_e64 s0, v116, v47
	v_cndmask_b32_e64 v119, 0, v119, s0
; %bb.1165:                             ;   in Loop: Header=BB266_1062 Depth=1
	s_or_b32 exec_lo, exec_lo, s10
	flat_load_b32 v26, v[14:15] offset:384
	v_mov_b32_e32 v16, 0
	v_mov_b32_e32 v17, 0
	s_mov_b32 s10, exec_lo
	s_waitcnt vmcnt(0) lgkmcnt(0)
	v_and_b32_e32 v8, 0xff, v26
	s_delay_alu instid0(VALU_DEP_2) | instskip(NEXT) | instid1(VALU_DEP_2)
	v_dual_mov_b32 v4, v16 :: v_dual_mov_b32 v5, v17
	v_cmpx_ne_u16_e32 0, v8
	s_cbranch_execz .LBB266_1173
; %bb.1166:                             ;   in Loop: Header=BB266_1062 Depth=1
	v_bfrev_b32_e32 v4, 1
	v_mov_b32_e32 v5, 0
	s_mov_b32 s13, exec_lo
	v_cmpx_ne_u16_e32 0x80, v8
	s_cbranch_execz .LBB266_1172
; %bb.1167:                             ;   in Loop: Header=BB266_1062 Depth=1
	v_mov_b32_e32 v4, 0x7f800001
	v_dual_mov_b32 v5, 0 :: v_dual_and_b32 v18, 0x7f, v26
	s_mov_b32 s15, exec_lo
	s_delay_alu instid0(VALU_DEP_1)
	v_cmpx_ne_u32_e32 0x7f, v18
	s_cbranch_execz .LBB266_1171
; %bb.1168:                             ;   in Loop: Header=BB266_1062 Depth=1
	v_and_b32_e32 v8, 7, v26
	v_lshrrev_b32_e32 v4, 3, v18
	s_mov_b32 s16, exec_lo
	v_cmpx_gt_u32_e32 8, v18
; %bb.1169:                             ;   in Loop: Header=BB266_1062 Depth=1
	s_delay_alu instid0(VALU_DEP_3) | instskip(NEXT) | instid1(VALU_DEP_1)
	v_clz_i32_u32_e32 v4, v8
	v_min_u32_e32 v4, 32, v4
	s_delay_alu instid0(VALU_DEP_1) | instskip(SKIP_1) | instid1(VALU_DEP_2)
	v_subrev_nc_u32_e32 v5, 28, v4
	v_sub_nc_u32_e32 v4, 29, v4
	v_lshlrev_b64 v[18:19], v5, v[8:9]
	s_delay_alu instid0(VALU_DEP_1)
	v_and_b32_e32 v8, 7, v18
; %bb.1170:                             ;   in Loop: Header=BB266_1062 Depth=1
	s_or_b32 exec_lo, exec_lo, s16
	v_lshlrev_b32_e32 v5, 24, v26
	s_delay_alu instid0(VALU_DEP_2) | instskip(SKIP_1) | instid1(VALU_DEP_3)
	v_lshlrev_b32_e32 v8, 20, v8
	v_lshl_add_u32 v4, v4, 23, 0x3c000000
	v_and_b32_e32 v5, 0x80000000, v5
	s_delay_alu instid0(VALU_DEP_1) | instskip(NEXT) | instid1(VALU_DEP_1)
	v_or3_b32 v8, v8, v5, v4
	v_dual_mov_b32 v4, v8 :: v_dual_mov_b32 v5, v9
.LBB266_1171:                           ;   in Loop: Header=BB266_1062 Depth=1
	s_or_b32 exec_lo, exec_lo, s15
.LBB266_1172:                           ;   in Loop: Header=BB266_1062 Depth=1
	s_delay_alu instid0(SALU_CYCLE_1)
	s_or_b32 exec_lo, exec_lo, s13
.LBB266_1173:                           ;   in Loop: Header=BB266_1062 Depth=1
	s_delay_alu instid0(SALU_CYCLE_1) | instskip(SKIP_2) | instid1(VALU_DEP_1)
	s_or_b32 exec_lo, exec_lo, s10
	v_lshrrev_b16 v8, 8, v26
	s_mov_b32 s13, exec_lo
	v_cmpx_ne_u16_e32 0, v8
	s_cbranch_execz .LBB266_1181
; %bb.1174:                             ;   in Loop: Header=BB266_1062 Depth=1
	v_dual_mov_b32 v17, s9 :: v_dual_mov_b32 v16, s8
	s_mov_b32 s15, exec_lo
	v_cmpx_ne_u16_e32 0x80, v8
	s_cbranch_execz .LBB266_1180
; %bb.1175:                             ;   in Loop: Header=BB266_1062 Depth=1
	s_mov_b32 s10, s8
	v_dual_mov_b32 v17, s11 :: v_dual_and_b32 v8, 0xffff, v8
	v_mov_b32_e32 v16, s10
	s_mov_b32 s10, exec_lo
	s_delay_alu instid0(VALU_DEP_2) | instskip(NEXT) | instid1(VALU_DEP_1)
	v_and_b32_e32 v18, 0x7f, v8
	v_cmpx_ne_u32_e32 0x7f, v18
	s_cbranch_execz .LBB266_1179
; %bb.1176:                             ;   in Loop: Header=BB266_1062 Depth=1
	v_and_b32_e32 v8, 7, v8
	v_lshrrev_b32_e32 v16, 3, v18
	s_mov_b32 s16, exec_lo
	v_cmpx_gt_u32_e32 8, v18
; %bb.1177:                             ;   in Loop: Header=BB266_1062 Depth=1
	s_delay_alu instid0(VALU_DEP_3) | instskip(NEXT) | instid1(VALU_DEP_1)
	v_clz_i32_u32_e32 v16, v8
	v_min_u32_e32 v16, 32, v16
	s_delay_alu instid0(VALU_DEP_1) | instskip(SKIP_1) | instid1(VALU_DEP_2)
	v_subrev_nc_u32_e32 v17, 28, v16
	v_sub_nc_u32_e32 v16, 29, v16
	v_lshlrev_b64 v[17:18], v17, v[8:9]
	s_delay_alu instid0(VALU_DEP_1)
	v_and_b32_e32 v8, 7, v17
; %bb.1178:                             ;   in Loop: Header=BB266_1062 Depth=1
	s_or_b32 exec_lo, exec_lo, s16
	v_lshlrev_b32_e32 v17, 16, v26
	s_delay_alu instid0(VALU_DEP_2) | instskip(SKIP_1) | instid1(VALU_DEP_3)
	v_lshlrev_b32_e32 v8, 20, v8
	v_lshl_add_u32 v16, v16, 23, 0x3c000000
	v_and_b32_e32 v17, 0x80000000, v17
	s_delay_alu instid0(VALU_DEP_1)
	v_or3_b32 v17, v8, v17, v16
	v_mov_b32_e32 v16, v9
.LBB266_1179:                           ;   in Loop: Header=BB266_1062 Depth=1
	s_or_b32 exec_lo, exec_lo, s10
.LBB266_1180:                           ;   in Loop: Header=BB266_1062 Depth=1
	s_delay_alu instid0(SALU_CYCLE_1)
	s_or_b32 exec_lo, exec_lo, s15
.LBB266_1181:                           ;   in Loop: Header=BB266_1062 Depth=1
	s_delay_alu instid0(SALU_CYCLE_1) | instskip(SKIP_4) | instid1(VALU_DEP_2)
	s_or_b32 exec_lo, exec_lo, s13
	v_mov_b32_e32 v20, 0
	v_lshrrev_b32_e32 v86, 16, v26
	v_mov_b32_e32 v21, 0
	s_mov_b32 s10, exec_lo
	v_and_b32_e32 v8, 0xff, v86
	s_delay_alu instid0(VALU_DEP_2) | instskip(NEXT) | instid1(VALU_DEP_2)
	v_dual_mov_b32 v18, v20 :: v_dual_mov_b32 v19, v21
	v_cmpx_ne_u16_e32 0, v8
	s_cbranch_execz .LBB266_1189
; %bb.1182:                             ;   in Loop: Header=BB266_1062 Depth=1
	v_bfrev_b32_e32 v18, 1
	v_mov_b32_e32 v19, 0
	s_mov_b32 s13, exec_lo
	v_cmpx_ne_u16_e32 0x80, v8
	s_cbranch_execz .LBB266_1188
; %bb.1183:                             ;   in Loop: Header=BB266_1062 Depth=1
	v_mov_b32_e32 v18, 0x7f800001
	v_bfe_u32 v87, v26, 16, 7
	v_mov_b32_e32 v19, 0
	s_mov_b32 s15, exec_lo
	s_delay_alu instid0(VALU_DEP_2)
	v_cmpx_ne_u32_e32 0x7f, v87
	s_cbranch_execz .LBB266_1187
; %bb.1184:                             ;   in Loop: Header=BB266_1062 Depth=1
	v_and_b32_e32 v8, 7, v86
	v_lshrrev_b32_e32 v18, 3, v87
	s_mov_b32 s16, exec_lo
	v_cmpx_gt_u32_e32 8, v87
; %bb.1185:                             ;   in Loop: Header=BB266_1062 Depth=1
	s_delay_alu instid0(VALU_DEP_3) | instskip(NEXT) | instid1(VALU_DEP_1)
	v_clz_i32_u32_e32 v18, v8
	v_min_u32_e32 v18, 32, v18
	s_delay_alu instid0(VALU_DEP_1) | instskip(SKIP_1) | instid1(VALU_DEP_2)
	v_subrev_nc_u32_e32 v19, 28, v18
	v_sub_nc_u32_e32 v18, 29, v18
	v_lshlrev_b64 v[131:132], v19, v[8:9]
	s_delay_alu instid0(VALU_DEP_1)
	v_and_b32_e32 v8, 7, v131
; %bb.1186:                             ;   in Loop: Header=BB266_1062 Depth=1
	s_or_b32 exec_lo, exec_lo, s16
	v_lshlrev_b32_e32 v19, 24, v86
	s_delay_alu instid0(VALU_DEP_2) | instskip(SKIP_1) | instid1(VALU_DEP_3)
	v_lshlrev_b32_e32 v8, 20, v8
	v_lshl_add_u32 v18, v18, 23, 0x3c000000
	v_and_b32_e32 v19, 0x80000000, v19
	s_delay_alu instid0(VALU_DEP_1) | instskip(NEXT) | instid1(VALU_DEP_1)
	v_or3_b32 v8, v8, v19, v18
	v_dual_mov_b32 v19, v9 :: v_dual_mov_b32 v18, v8
.LBB266_1187:                           ;   in Loop: Header=BB266_1062 Depth=1
	s_or_b32 exec_lo, exec_lo, s15
.LBB266_1188:                           ;   in Loop: Header=BB266_1062 Depth=1
	s_delay_alu instid0(SALU_CYCLE_1)
	s_or_b32 exec_lo, exec_lo, s13
.LBB266_1189:                           ;   in Loop: Header=BB266_1062 Depth=1
	s_delay_alu instid0(SALU_CYCLE_1) | instskip(NEXT) | instid1(SALU_CYCLE_1)
	s_or_b32 exec_lo, exec_lo, s10
	s_mov_b32 s13, exec_lo
	v_cmpx_lt_u32_e32 0xffffff, v26
	s_cbranch_execz .LBB266_1197
; %bb.1190:                             ;   in Loop: Header=BB266_1062 Depth=1
	v_lshrrev_b32_e32 v86, 24, v26
	v_dual_mov_b32 v21, s9 :: v_dual_mov_b32 v20, s8
	s_mov_b32 s15, exec_lo
	s_delay_alu instid0(VALU_DEP_2)
	v_cmpx_ne_u32_e32 0x80, v86
	s_cbranch_execz .LBB266_1196
; %bb.1191:                             ;   in Loop: Header=BB266_1062 Depth=1
	s_mov_b32 s10, s8
	v_bfe_u32 v26, v26, 24, 7
	v_dual_mov_b32 v21, s11 :: v_dual_mov_b32 v20, s10
	s_mov_b32 s10, exec_lo
	s_delay_alu instid0(VALU_DEP_2)
	v_cmpx_ne_u32_e32 0x7f, v26
	s_cbranch_execz .LBB266_1195
; %bb.1192:                             ;   in Loop: Header=BB266_1062 Depth=1
	v_and_b32_e32 v8, 7, v86
	v_lshrrev_b32_e32 v20, 3, v26
	s_mov_b32 s16, exec_lo
	v_cmpx_gt_u32_e32 8, v26
; %bb.1193:                             ;   in Loop: Header=BB266_1062 Depth=1
	s_delay_alu instid0(VALU_DEP_3) | instskip(NEXT) | instid1(VALU_DEP_1)
	v_clz_i32_u32_e32 v20, v8
	v_min_u32_e32 v20, 32, v20
	s_delay_alu instid0(VALU_DEP_1) | instskip(SKIP_1) | instid1(VALU_DEP_2)
	v_subrev_nc_u32_e32 v21, 28, v20
	v_sub_nc_u32_e32 v20, 29, v20
	v_lshlrev_b64 v[131:132], v21, v[8:9]
	s_delay_alu instid0(VALU_DEP_1)
	v_and_b32_e32 v8, 7, v131
; %bb.1194:                             ;   in Loop: Header=BB266_1062 Depth=1
	s_or_b32 exec_lo, exec_lo, s16
	v_lshlrev_b32_e32 v21, 24, v86
	s_delay_alu instid0(VALU_DEP_2) | instskip(SKIP_1) | instid1(VALU_DEP_3)
	v_lshlrev_b32_e32 v8, 20, v8
	v_lshl_add_u32 v20, v20, 23, 0x3c000000
	v_and_b32_e32 v21, 0x80000000, v21
	s_delay_alu instid0(VALU_DEP_1)
	v_or3_b32 v21, v8, v21, v20
	v_mov_b32_e32 v20, v9
.LBB266_1195:                           ;   in Loop: Header=BB266_1062 Depth=1
	s_or_b32 exec_lo, exec_lo, s10
.LBB266_1196:                           ;   in Loop: Header=BB266_1062 Depth=1
	s_delay_alu instid0(SALU_CYCLE_1)
	s_or_b32 exec_lo, exec_lo, s15
.LBB266_1197:                           ;   in Loop: Header=BB266_1062 Depth=1
	s_delay_alu instid0(SALU_CYCLE_1) | instskip(SKIP_4) | instid1(VALU_DEP_4)
	s_or_b32 exec_lo, exec_lo, s13
	v_or_b32_e32 v5, v17, v5
	v_or_b32_e32 v4, v16, v4
	;; [unrolled: 1-line block ×4, first 2 shown]
	v_mul_f32_e32 v134, v102, v5
	s_delay_alu instid0(VALU_DEP_4) | instskip(NEXT) | instid1(VALU_DEP_4)
	v_mul_f32_e32 v133, v102, v4
	v_mul_f32_e32 v131, v102, v8
	s_delay_alu instid0(VALU_DEP_4)
	v_mul_f32_e32 v132, v102, v16
	s_and_saveexec_b32 s10, vcc_lo
; %bb.1198:                             ;   in Loop: Header=BB266_1062 Depth=1
	v_cmp_lt_i32_e64 s0, v115, v47
	s_delay_alu instid0(VALU_DEP_1) | instskip(SKIP_1) | instid1(VALU_DEP_1)
	v_cndmask_b32_e64 v133, 0, v133, s0
	v_cmp_lt_i32_e64 s0, v118, v47
	v_cndmask_b32_e64 v134, 0, v134, s0
	v_cmp_lt_i32_e64 s0, v117, v47
	s_delay_alu instid0(VALU_DEP_1) | instskip(SKIP_1) | instid1(VALU_DEP_1)
	v_cndmask_b32_e64 v132, 0, v132, s0
	v_cmp_lt_i32_e64 s0, v116, v47
	v_cndmask_b32_e64 v131, 0, v131, s0
; %bb.1199:                             ;   in Loop: Header=BB266_1062 Depth=1
	s_or_b32 exec_lo, exec_lo, s10
	flat_load_b32 v26, v[14:15] offset:512
	v_mov_b32_e32 v16, 0
	v_mov_b32_e32 v17, 0
	s_mov_b32 s10, exec_lo
	s_waitcnt vmcnt(0) lgkmcnt(0)
	v_and_b32_e32 v8, 0xff, v26
	s_delay_alu instid0(VALU_DEP_2) | instskip(NEXT) | instid1(VALU_DEP_2)
	v_dual_mov_b32 v4, v16 :: v_dual_mov_b32 v5, v17
	v_cmpx_ne_u16_e32 0, v8
	s_cbranch_execz .LBB266_1207
; %bb.1200:                             ;   in Loop: Header=BB266_1062 Depth=1
	v_bfrev_b32_e32 v4, 1
	v_mov_b32_e32 v5, 0
	s_mov_b32 s13, exec_lo
	v_cmpx_ne_u16_e32 0x80, v8
	s_cbranch_execz .LBB266_1206
; %bb.1201:                             ;   in Loop: Header=BB266_1062 Depth=1
	v_mov_b32_e32 v4, 0x7f800001
	v_dual_mov_b32 v5, 0 :: v_dual_and_b32 v18, 0x7f, v26
	s_mov_b32 s15, exec_lo
	s_delay_alu instid0(VALU_DEP_1)
	v_cmpx_ne_u32_e32 0x7f, v18
	s_cbranch_execz .LBB266_1205
; %bb.1202:                             ;   in Loop: Header=BB266_1062 Depth=1
	v_and_b32_e32 v8, 7, v26
	v_lshrrev_b32_e32 v4, 3, v18
	s_mov_b32 s16, exec_lo
	v_cmpx_gt_u32_e32 8, v18
; %bb.1203:                             ;   in Loop: Header=BB266_1062 Depth=1
	s_delay_alu instid0(VALU_DEP_3) | instskip(NEXT) | instid1(VALU_DEP_1)
	v_clz_i32_u32_e32 v4, v8
	v_min_u32_e32 v4, 32, v4
	s_delay_alu instid0(VALU_DEP_1) | instskip(SKIP_1) | instid1(VALU_DEP_2)
	v_subrev_nc_u32_e32 v5, 28, v4
	v_sub_nc_u32_e32 v4, 29, v4
	v_lshlrev_b64 v[18:19], v5, v[8:9]
	s_delay_alu instid0(VALU_DEP_1)
	v_and_b32_e32 v8, 7, v18
; %bb.1204:                             ;   in Loop: Header=BB266_1062 Depth=1
	s_or_b32 exec_lo, exec_lo, s16
	v_lshlrev_b32_e32 v5, 24, v26
	s_delay_alu instid0(VALU_DEP_2) | instskip(SKIP_1) | instid1(VALU_DEP_3)
	v_lshlrev_b32_e32 v8, 20, v8
	v_lshl_add_u32 v4, v4, 23, 0x3c000000
	v_and_b32_e32 v5, 0x80000000, v5
	s_delay_alu instid0(VALU_DEP_1) | instskip(NEXT) | instid1(VALU_DEP_1)
	v_or3_b32 v8, v8, v5, v4
	v_dual_mov_b32 v4, v8 :: v_dual_mov_b32 v5, v9
.LBB266_1205:                           ;   in Loop: Header=BB266_1062 Depth=1
	s_or_b32 exec_lo, exec_lo, s15
.LBB266_1206:                           ;   in Loop: Header=BB266_1062 Depth=1
	s_delay_alu instid0(SALU_CYCLE_1)
	s_or_b32 exec_lo, exec_lo, s13
.LBB266_1207:                           ;   in Loop: Header=BB266_1062 Depth=1
	s_delay_alu instid0(SALU_CYCLE_1) | instskip(SKIP_2) | instid1(VALU_DEP_1)
	s_or_b32 exec_lo, exec_lo, s10
	v_lshrrev_b16 v8, 8, v26
	s_mov_b32 s13, exec_lo
	v_cmpx_ne_u16_e32 0, v8
	s_cbranch_execz .LBB266_1215
; %bb.1208:                             ;   in Loop: Header=BB266_1062 Depth=1
	v_dual_mov_b32 v17, s9 :: v_dual_mov_b32 v16, s8
	s_mov_b32 s15, exec_lo
	v_cmpx_ne_u16_e32 0x80, v8
	s_cbranch_execz .LBB266_1214
; %bb.1209:                             ;   in Loop: Header=BB266_1062 Depth=1
	s_mov_b32 s10, s8
	v_dual_mov_b32 v17, s11 :: v_dual_and_b32 v8, 0xffff, v8
	v_mov_b32_e32 v16, s10
	s_mov_b32 s10, exec_lo
	s_delay_alu instid0(VALU_DEP_2) | instskip(NEXT) | instid1(VALU_DEP_1)
	v_and_b32_e32 v18, 0x7f, v8
	v_cmpx_ne_u32_e32 0x7f, v18
	s_cbranch_execz .LBB266_1213
; %bb.1210:                             ;   in Loop: Header=BB266_1062 Depth=1
	v_and_b32_e32 v8, 7, v8
	v_lshrrev_b32_e32 v16, 3, v18
	s_mov_b32 s16, exec_lo
	v_cmpx_gt_u32_e32 8, v18
; %bb.1211:                             ;   in Loop: Header=BB266_1062 Depth=1
	s_delay_alu instid0(VALU_DEP_3) | instskip(NEXT) | instid1(VALU_DEP_1)
	v_clz_i32_u32_e32 v16, v8
	v_min_u32_e32 v16, 32, v16
	s_delay_alu instid0(VALU_DEP_1) | instskip(SKIP_1) | instid1(VALU_DEP_2)
	v_subrev_nc_u32_e32 v17, 28, v16
	v_sub_nc_u32_e32 v16, 29, v16
	v_lshlrev_b64 v[17:18], v17, v[8:9]
	s_delay_alu instid0(VALU_DEP_1)
	v_and_b32_e32 v8, 7, v17
; %bb.1212:                             ;   in Loop: Header=BB266_1062 Depth=1
	s_or_b32 exec_lo, exec_lo, s16
	v_lshlrev_b32_e32 v17, 16, v26
	s_delay_alu instid0(VALU_DEP_2) | instskip(SKIP_1) | instid1(VALU_DEP_3)
	v_lshlrev_b32_e32 v8, 20, v8
	v_lshl_add_u32 v16, v16, 23, 0x3c000000
	v_and_b32_e32 v17, 0x80000000, v17
	s_delay_alu instid0(VALU_DEP_1)
	v_or3_b32 v17, v8, v17, v16
	v_mov_b32_e32 v16, v9
.LBB266_1213:                           ;   in Loop: Header=BB266_1062 Depth=1
	s_or_b32 exec_lo, exec_lo, s10
.LBB266_1214:                           ;   in Loop: Header=BB266_1062 Depth=1
	s_delay_alu instid0(SALU_CYCLE_1)
	s_or_b32 exec_lo, exec_lo, s15
.LBB266_1215:                           ;   in Loop: Header=BB266_1062 Depth=1
	s_delay_alu instid0(SALU_CYCLE_1) | instskip(SKIP_4) | instid1(VALU_DEP_2)
	s_or_b32 exec_lo, exec_lo, s13
	v_mov_b32_e32 v20, 0
	v_lshrrev_b32_e32 v86, 16, v26
	v_mov_b32_e32 v21, 0
	s_mov_b32 s10, exec_lo
	v_and_b32_e32 v8, 0xff, v86
	s_delay_alu instid0(VALU_DEP_2) | instskip(NEXT) | instid1(VALU_DEP_2)
	v_dual_mov_b32 v18, v20 :: v_dual_mov_b32 v19, v21
	v_cmpx_ne_u16_e32 0, v8
	s_cbranch_execz .LBB266_1223
; %bb.1216:                             ;   in Loop: Header=BB266_1062 Depth=1
	v_bfrev_b32_e32 v18, 1
	v_mov_b32_e32 v19, 0
	s_mov_b32 s13, exec_lo
	v_cmpx_ne_u16_e32 0x80, v8
	s_cbranch_execz .LBB266_1222
; %bb.1217:                             ;   in Loop: Header=BB266_1062 Depth=1
	v_mov_b32_e32 v18, 0x7f800001
	v_bfe_u32 v87, v26, 16, 7
	v_mov_b32_e32 v19, 0
	s_mov_b32 s15, exec_lo
	s_delay_alu instid0(VALU_DEP_2)
	v_cmpx_ne_u32_e32 0x7f, v87
	s_cbranch_execz .LBB266_1221
; %bb.1218:                             ;   in Loop: Header=BB266_1062 Depth=1
	v_and_b32_e32 v8, 7, v86
	v_lshrrev_b32_e32 v18, 3, v87
	s_mov_b32 s16, exec_lo
	v_cmpx_gt_u32_e32 8, v87
; %bb.1219:                             ;   in Loop: Header=BB266_1062 Depth=1
	s_delay_alu instid0(VALU_DEP_3) | instskip(NEXT) | instid1(VALU_DEP_1)
	v_clz_i32_u32_e32 v18, v8
	v_min_u32_e32 v18, 32, v18
	s_delay_alu instid0(VALU_DEP_1) | instskip(SKIP_1) | instid1(VALU_DEP_2)
	v_subrev_nc_u32_e32 v19, 28, v18
	v_sub_nc_u32_e32 v18, 29, v18
	v_lshlrev_b64 v[144:145], v19, v[8:9]
	s_delay_alu instid0(VALU_DEP_1)
	v_and_b32_e32 v8, 7, v144
; %bb.1220:                             ;   in Loop: Header=BB266_1062 Depth=1
	s_or_b32 exec_lo, exec_lo, s16
	v_lshlrev_b32_e32 v19, 24, v86
	s_delay_alu instid0(VALU_DEP_2) | instskip(SKIP_1) | instid1(VALU_DEP_3)
	v_lshlrev_b32_e32 v8, 20, v8
	v_lshl_add_u32 v18, v18, 23, 0x3c000000
	v_and_b32_e32 v19, 0x80000000, v19
	s_delay_alu instid0(VALU_DEP_1) | instskip(NEXT) | instid1(VALU_DEP_1)
	v_or3_b32 v8, v8, v19, v18
	v_dual_mov_b32 v19, v9 :: v_dual_mov_b32 v18, v8
.LBB266_1221:                           ;   in Loop: Header=BB266_1062 Depth=1
	s_or_b32 exec_lo, exec_lo, s15
.LBB266_1222:                           ;   in Loop: Header=BB266_1062 Depth=1
	s_delay_alu instid0(SALU_CYCLE_1)
	s_or_b32 exec_lo, exec_lo, s13
.LBB266_1223:                           ;   in Loop: Header=BB266_1062 Depth=1
	s_delay_alu instid0(SALU_CYCLE_1) | instskip(NEXT) | instid1(SALU_CYCLE_1)
	s_or_b32 exec_lo, exec_lo, s10
	s_mov_b32 s13, exec_lo
	v_cmpx_lt_u32_e32 0xffffff, v26
	s_cbranch_execz .LBB266_1231
; %bb.1224:                             ;   in Loop: Header=BB266_1062 Depth=1
	v_lshrrev_b32_e32 v86, 24, v26
	v_dual_mov_b32 v21, s9 :: v_dual_mov_b32 v20, s8
	s_mov_b32 s15, exec_lo
	s_delay_alu instid0(VALU_DEP_2)
	v_cmpx_ne_u32_e32 0x80, v86
	s_cbranch_execz .LBB266_1230
; %bb.1225:                             ;   in Loop: Header=BB266_1062 Depth=1
	s_mov_b32 s10, s8
	v_bfe_u32 v26, v26, 24, 7
	v_dual_mov_b32 v21, s11 :: v_dual_mov_b32 v20, s10
	s_mov_b32 s10, exec_lo
	s_delay_alu instid0(VALU_DEP_2)
	v_cmpx_ne_u32_e32 0x7f, v26
	s_cbranch_execz .LBB266_1229
; %bb.1226:                             ;   in Loop: Header=BB266_1062 Depth=1
	v_and_b32_e32 v8, 7, v86
	v_lshrrev_b32_e32 v20, 3, v26
	s_mov_b32 s16, exec_lo
	v_cmpx_gt_u32_e32 8, v26
; %bb.1227:                             ;   in Loop: Header=BB266_1062 Depth=1
	s_delay_alu instid0(VALU_DEP_3) | instskip(NEXT) | instid1(VALU_DEP_1)
	v_clz_i32_u32_e32 v20, v8
	v_min_u32_e32 v20, 32, v20
	s_delay_alu instid0(VALU_DEP_1) | instskip(SKIP_1) | instid1(VALU_DEP_2)
	v_subrev_nc_u32_e32 v21, 28, v20
	v_sub_nc_u32_e32 v20, 29, v20
	v_lshlrev_b64 v[144:145], v21, v[8:9]
	s_delay_alu instid0(VALU_DEP_1)
	v_and_b32_e32 v8, 7, v144
; %bb.1228:                             ;   in Loop: Header=BB266_1062 Depth=1
	s_or_b32 exec_lo, exec_lo, s16
	v_lshlrev_b32_e32 v21, 24, v86
	s_delay_alu instid0(VALU_DEP_2) | instskip(SKIP_1) | instid1(VALU_DEP_3)
	v_lshlrev_b32_e32 v8, 20, v8
	v_lshl_add_u32 v20, v20, 23, 0x3c000000
	v_and_b32_e32 v21, 0x80000000, v21
	s_delay_alu instid0(VALU_DEP_1)
	v_or3_b32 v21, v8, v21, v20
	v_mov_b32_e32 v20, v9
.LBB266_1229:                           ;   in Loop: Header=BB266_1062 Depth=1
	s_or_b32 exec_lo, exec_lo, s10
.LBB266_1230:                           ;   in Loop: Header=BB266_1062 Depth=1
	s_delay_alu instid0(SALU_CYCLE_1)
	s_or_b32 exec_lo, exec_lo, s15
.LBB266_1231:                           ;   in Loop: Header=BB266_1062 Depth=1
	s_delay_alu instid0(SALU_CYCLE_1) | instskip(SKIP_4) | instid1(VALU_DEP_4)
	s_or_b32 exec_lo, exec_lo, s13
	v_or_b32_e32 v5, v17, v5
	v_or_b32_e32 v4, v16, v4
	;; [unrolled: 1-line block ×4, first 2 shown]
	v_mul_f32_e32 v146, v102, v5
	s_delay_alu instid0(VALU_DEP_4) | instskip(NEXT) | instid1(VALU_DEP_4)
	v_mul_f32_e32 v145, v102, v4
	v_mul_f32_e32 v135, v102, v8
	s_delay_alu instid0(VALU_DEP_4)
	v_mul_f32_e32 v144, v102, v16
	s_and_saveexec_b32 s10, vcc_lo
; %bb.1232:                             ;   in Loop: Header=BB266_1062 Depth=1
	v_cmp_lt_i32_e64 s0, v115, v47
	s_delay_alu instid0(VALU_DEP_1) | instskip(SKIP_1) | instid1(VALU_DEP_1)
	v_cndmask_b32_e64 v145, 0, v145, s0
	v_cmp_lt_i32_e64 s0, v118, v47
	v_cndmask_b32_e64 v146, 0, v146, s0
	v_cmp_lt_i32_e64 s0, v117, v47
	s_delay_alu instid0(VALU_DEP_1) | instskip(SKIP_1) | instid1(VALU_DEP_1)
	v_cndmask_b32_e64 v144, 0, v144, s0
	v_cmp_lt_i32_e64 s0, v116, v47
	v_cndmask_b32_e64 v135, 0, v135, s0
; %bb.1233:                             ;   in Loop: Header=BB266_1062 Depth=1
	s_or_b32 exec_lo, exec_lo, s10
	flat_load_b32 v26, v[14:15] offset:640
	v_mov_b32_e32 v16, 0
	v_mov_b32_e32 v17, 0
	s_mov_b32 s10, exec_lo
	s_waitcnt vmcnt(0) lgkmcnt(0)
	v_and_b32_e32 v8, 0xff, v26
	s_delay_alu instid0(VALU_DEP_2) | instskip(NEXT) | instid1(VALU_DEP_2)
	v_dual_mov_b32 v4, v16 :: v_dual_mov_b32 v5, v17
	v_cmpx_ne_u16_e32 0, v8
	s_cbranch_execz .LBB266_1241
; %bb.1234:                             ;   in Loop: Header=BB266_1062 Depth=1
	v_bfrev_b32_e32 v4, 1
	v_mov_b32_e32 v5, 0
	s_mov_b32 s13, exec_lo
	v_cmpx_ne_u16_e32 0x80, v8
	s_cbranch_execz .LBB266_1240
; %bb.1235:                             ;   in Loop: Header=BB266_1062 Depth=1
	v_mov_b32_e32 v4, 0x7f800001
	v_dual_mov_b32 v5, 0 :: v_dual_and_b32 v18, 0x7f, v26
	s_mov_b32 s15, exec_lo
	s_delay_alu instid0(VALU_DEP_1)
	v_cmpx_ne_u32_e32 0x7f, v18
	s_cbranch_execz .LBB266_1239
; %bb.1236:                             ;   in Loop: Header=BB266_1062 Depth=1
	v_and_b32_e32 v8, 7, v26
	v_lshrrev_b32_e32 v4, 3, v18
	s_mov_b32 s16, exec_lo
	v_cmpx_gt_u32_e32 8, v18
; %bb.1237:                             ;   in Loop: Header=BB266_1062 Depth=1
	s_delay_alu instid0(VALU_DEP_3) | instskip(NEXT) | instid1(VALU_DEP_1)
	v_clz_i32_u32_e32 v4, v8
	v_min_u32_e32 v4, 32, v4
	s_delay_alu instid0(VALU_DEP_1) | instskip(SKIP_1) | instid1(VALU_DEP_2)
	v_subrev_nc_u32_e32 v5, 28, v4
	v_sub_nc_u32_e32 v4, 29, v4
	v_lshlrev_b64 v[18:19], v5, v[8:9]
	s_delay_alu instid0(VALU_DEP_1)
	v_and_b32_e32 v8, 7, v18
; %bb.1238:                             ;   in Loop: Header=BB266_1062 Depth=1
	s_or_b32 exec_lo, exec_lo, s16
	v_lshlrev_b32_e32 v5, 24, v26
	s_delay_alu instid0(VALU_DEP_2) | instskip(SKIP_1) | instid1(VALU_DEP_3)
	v_lshlrev_b32_e32 v8, 20, v8
	v_lshl_add_u32 v4, v4, 23, 0x3c000000
	v_and_b32_e32 v5, 0x80000000, v5
	s_delay_alu instid0(VALU_DEP_1) | instskip(NEXT) | instid1(VALU_DEP_1)
	v_or3_b32 v8, v8, v5, v4
	v_dual_mov_b32 v4, v8 :: v_dual_mov_b32 v5, v9
.LBB266_1239:                           ;   in Loop: Header=BB266_1062 Depth=1
	s_or_b32 exec_lo, exec_lo, s15
.LBB266_1240:                           ;   in Loop: Header=BB266_1062 Depth=1
	s_delay_alu instid0(SALU_CYCLE_1)
	s_or_b32 exec_lo, exec_lo, s13
.LBB266_1241:                           ;   in Loop: Header=BB266_1062 Depth=1
	s_delay_alu instid0(SALU_CYCLE_1) | instskip(SKIP_2) | instid1(VALU_DEP_1)
	s_or_b32 exec_lo, exec_lo, s10
	v_lshrrev_b16 v8, 8, v26
	s_mov_b32 s13, exec_lo
	v_cmpx_ne_u16_e32 0, v8
	s_cbranch_execz .LBB266_1249
; %bb.1242:                             ;   in Loop: Header=BB266_1062 Depth=1
	v_dual_mov_b32 v17, s9 :: v_dual_mov_b32 v16, s8
	s_mov_b32 s15, exec_lo
	v_cmpx_ne_u16_e32 0x80, v8
	s_cbranch_execz .LBB266_1248
; %bb.1243:                             ;   in Loop: Header=BB266_1062 Depth=1
	s_mov_b32 s10, s8
	v_dual_mov_b32 v17, s11 :: v_dual_and_b32 v8, 0xffff, v8
	v_mov_b32_e32 v16, s10
	s_mov_b32 s10, exec_lo
	s_delay_alu instid0(VALU_DEP_2) | instskip(NEXT) | instid1(VALU_DEP_1)
	v_and_b32_e32 v18, 0x7f, v8
	v_cmpx_ne_u32_e32 0x7f, v18
	s_cbranch_execz .LBB266_1247
; %bb.1244:                             ;   in Loop: Header=BB266_1062 Depth=1
	v_and_b32_e32 v8, 7, v8
	v_lshrrev_b32_e32 v16, 3, v18
	s_mov_b32 s16, exec_lo
	v_cmpx_gt_u32_e32 8, v18
; %bb.1245:                             ;   in Loop: Header=BB266_1062 Depth=1
	s_delay_alu instid0(VALU_DEP_3) | instskip(NEXT) | instid1(VALU_DEP_1)
	v_clz_i32_u32_e32 v16, v8
	v_min_u32_e32 v16, 32, v16
	s_delay_alu instid0(VALU_DEP_1) | instskip(SKIP_1) | instid1(VALU_DEP_2)
	v_subrev_nc_u32_e32 v17, 28, v16
	v_sub_nc_u32_e32 v16, 29, v16
	v_lshlrev_b64 v[17:18], v17, v[8:9]
	s_delay_alu instid0(VALU_DEP_1)
	v_and_b32_e32 v8, 7, v17
; %bb.1246:                             ;   in Loop: Header=BB266_1062 Depth=1
	s_or_b32 exec_lo, exec_lo, s16
	v_lshlrev_b32_e32 v17, 16, v26
	s_delay_alu instid0(VALU_DEP_2) | instskip(SKIP_1) | instid1(VALU_DEP_3)
	v_lshlrev_b32_e32 v8, 20, v8
	v_lshl_add_u32 v16, v16, 23, 0x3c000000
	v_and_b32_e32 v17, 0x80000000, v17
	s_delay_alu instid0(VALU_DEP_1)
	v_or3_b32 v17, v8, v17, v16
	v_mov_b32_e32 v16, v9
.LBB266_1247:                           ;   in Loop: Header=BB266_1062 Depth=1
	s_or_b32 exec_lo, exec_lo, s10
.LBB266_1248:                           ;   in Loop: Header=BB266_1062 Depth=1
	s_delay_alu instid0(SALU_CYCLE_1)
	s_or_b32 exec_lo, exec_lo, s15
.LBB266_1249:                           ;   in Loop: Header=BB266_1062 Depth=1
	s_delay_alu instid0(SALU_CYCLE_1) | instskip(SKIP_4) | instid1(VALU_DEP_2)
	s_or_b32 exec_lo, exec_lo, s13
	v_mov_b32_e32 v20, 0
	v_lshrrev_b32_e32 v86, 16, v26
	v_mov_b32_e32 v21, 0
	s_mov_b32 s10, exec_lo
	v_and_b32_e32 v8, 0xff, v86
	s_delay_alu instid0(VALU_DEP_2) | instskip(NEXT) | instid1(VALU_DEP_2)
	v_dual_mov_b32 v18, v20 :: v_dual_mov_b32 v19, v21
	v_cmpx_ne_u16_e32 0, v8
	s_cbranch_execz .LBB266_1257
; %bb.1250:                             ;   in Loop: Header=BB266_1062 Depth=1
	v_bfrev_b32_e32 v18, 1
	v_mov_b32_e32 v19, 0
	s_mov_b32 s13, exec_lo
	v_cmpx_ne_u16_e32 0x80, v8
	s_cbranch_execz .LBB266_1256
; %bb.1251:                             ;   in Loop: Header=BB266_1062 Depth=1
	v_mov_b32_e32 v18, 0x7f800001
	v_bfe_u32 v87, v26, 16, 7
	v_mov_b32_e32 v19, 0
	s_mov_b32 s15, exec_lo
	s_delay_alu instid0(VALU_DEP_2)
	v_cmpx_ne_u32_e32 0x7f, v87
	s_cbranch_execz .LBB266_1255
; %bb.1252:                             ;   in Loop: Header=BB266_1062 Depth=1
	v_and_b32_e32 v8, 7, v86
	v_lshrrev_b32_e32 v18, 3, v87
	s_mov_b32 s16, exec_lo
	v_cmpx_gt_u32_e32 8, v87
; %bb.1253:                             ;   in Loop: Header=BB266_1062 Depth=1
	s_delay_alu instid0(VALU_DEP_3) | instskip(NEXT) | instid1(VALU_DEP_1)
	v_clz_i32_u32_e32 v18, v8
	v_min_u32_e32 v18, 32, v18
	s_delay_alu instid0(VALU_DEP_1) | instskip(SKIP_1) | instid1(VALU_DEP_2)
	v_subrev_nc_u32_e32 v19, 28, v18
	v_sub_nc_u32_e32 v18, 29, v18
	v_lshlrev_b64 v[147:148], v19, v[8:9]
	s_delay_alu instid0(VALU_DEP_1)
	v_and_b32_e32 v8, 7, v147
; %bb.1254:                             ;   in Loop: Header=BB266_1062 Depth=1
	s_or_b32 exec_lo, exec_lo, s16
	v_lshlrev_b32_e32 v19, 24, v86
	s_delay_alu instid0(VALU_DEP_2) | instskip(SKIP_1) | instid1(VALU_DEP_3)
	v_lshlrev_b32_e32 v8, 20, v8
	v_lshl_add_u32 v18, v18, 23, 0x3c000000
	v_and_b32_e32 v19, 0x80000000, v19
	s_delay_alu instid0(VALU_DEP_1) | instskip(NEXT) | instid1(VALU_DEP_1)
	v_or3_b32 v8, v8, v19, v18
	v_dual_mov_b32 v19, v9 :: v_dual_mov_b32 v18, v8
.LBB266_1255:                           ;   in Loop: Header=BB266_1062 Depth=1
	s_or_b32 exec_lo, exec_lo, s15
.LBB266_1256:                           ;   in Loop: Header=BB266_1062 Depth=1
	s_delay_alu instid0(SALU_CYCLE_1)
	s_or_b32 exec_lo, exec_lo, s13
.LBB266_1257:                           ;   in Loop: Header=BB266_1062 Depth=1
	s_delay_alu instid0(SALU_CYCLE_1) | instskip(NEXT) | instid1(SALU_CYCLE_1)
	s_or_b32 exec_lo, exec_lo, s10
	s_mov_b32 s13, exec_lo
	v_cmpx_lt_u32_e32 0xffffff, v26
	s_cbranch_execz .LBB266_1265
; %bb.1258:                             ;   in Loop: Header=BB266_1062 Depth=1
	v_lshrrev_b32_e32 v86, 24, v26
	v_dual_mov_b32 v21, s9 :: v_dual_mov_b32 v20, s8
	s_mov_b32 s15, exec_lo
	s_delay_alu instid0(VALU_DEP_2)
	v_cmpx_ne_u32_e32 0x80, v86
	s_cbranch_execz .LBB266_1264
; %bb.1259:                             ;   in Loop: Header=BB266_1062 Depth=1
	s_mov_b32 s10, s8
	v_bfe_u32 v26, v26, 24, 7
	v_dual_mov_b32 v21, s11 :: v_dual_mov_b32 v20, s10
	s_mov_b32 s10, exec_lo
	s_delay_alu instid0(VALU_DEP_2)
	v_cmpx_ne_u32_e32 0x7f, v26
	s_cbranch_execz .LBB266_1263
; %bb.1260:                             ;   in Loop: Header=BB266_1062 Depth=1
	v_and_b32_e32 v8, 7, v86
	v_lshrrev_b32_e32 v20, 3, v26
	s_mov_b32 s16, exec_lo
	v_cmpx_gt_u32_e32 8, v26
; %bb.1261:                             ;   in Loop: Header=BB266_1062 Depth=1
	s_delay_alu instid0(VALU_DEP_3) | instskip(NEXT) | instid1(VALU_DEP_1)
	v_clz_i32_u32_e32 v20, v8
	v_min_u32_e32 v20, 32, v20
	s_delay_alu instid0(VALU_DEP_1) | instskip(SKIP_1) | instid1(VALU_DEP_2)
	v_subrev_nc_u32_e32 v21, 28, v20
	v_sub_nc_u32_e32 v20, 29, v20
	v_lshlrev_b64 v[147:148], v21, v[8:9]
	s_delay_alu instid0(VALU_DEP_1)
	v_and_b32_e32 v8, 7, v147
; %bb.1262:                             ;   in Loop: Header=BB266_1062 Depth=1
	s_or_b32 exec_lo, exec_lo, s16
	v_lshlrev_b32_e32 v21, 24, v86
	s_delay_alu instid0(VALU_DEP_2) | instskip(SKIP_1) | instid1(VALU_DEP_3)
	v_lshlrev_b32_e32 v8, 20, v8
	v_lshl_add_u32 v20, v20, 23, 0x3c000000
	v_and_b32_e32 v21, 0x80000000, v21
	s_delay_alu instid0(VALU_DEP_1)
	v_or3_b32 v21, v8, v21, v20
	v_mov_b32_e32 v20, v9
.LBB266_1263:                           ;   in Loop: Header=BB266_1062 Depth=1
	s_or_b32 exec_lo, exec_lo, s10
.LBB266_1264:                           ;   in Loop: Header=BB266_1062 Depth=1
	s_delay_alu instid0(SALU_CYCLE_1)
	s_or_b32 exec_lo, exec_lo, s15
.LBB266_1265:                           ;   in Loop: Header=BB266_1062 Depth=1
	s_delay_alu instid0(SALU_CYCLE_1) | instskip(SKIP_4) | instid1(VALU_DEP_4)
	s_or_b32 exec_lo, exec_lo, s13
	v_or_b32_e32 v5, v17, v5
	v_or_b32_e32 v4, v16, v4
	;; [unrolled: 1-line block ×4, first 2 shown]
	v_mul_f32_e32 v150, v102, v5
	s_delay_alu instid0(VALU_DEP_4) | instskip(NEXT) | instid1(VALU_DEP_4)
	v_mul_f32_e32 v149, v102, v4
	v_mul_f32_e32 v147, v102, v8
	s_delay_alu instid0(VALU_DEP_4)
	v_mul_f32_e32 v148, v102, v16
	s_and_saveexec_b32 s10, vcc_lo
; %bb.1266:                             ;   in Loop: Header=BB266_1062 Depth=1
	v_cmp_lt_i32_e64 s0, v115, v47
	s_delay_alu instid0(VALU_DEP_1) | instskip(SKIP_1) | instid1(VALU_DEP_1)
	v_cndmask_b32_e64 v149, 0, v149, s0
	v_cmp_lt_i32_e64 s0, v118, v47
	v_cndmask_b32_e64 v150, 0, v150, s0
	v_cmp_lt_i32_e64 s0, v117, v47
	s_delay_alu instid0(VALU_DEP_1) | instskip(SKIP_1) | instid1(VALU_DEP_1)
	v_cndmask_b32_e64 v148, 0, v148, s0
	v_cmp_lt_i32_e64 s0, v116, v47
	v_cndmask_b32_e64 v147, 0, v147, s0
; %bb.1267:                             ;   in Loop: Header=BB266_1062 Depth=1
	s_or_b32 exec_lo, exec_lo, s10
	flat_load_b32 v26, v[14:15] offset:768
	v_mov_b32_e32 v16, 0
	v_mov_b32_e32 v17, 0
	s_mov_b32 s10, exec_lo
	s_waitcnt vmcnt(0) lgkmcnt(0)
	v_and_b32_e32 v8, 0xff, v26
	s_delay_alu instid0(VALU_DEP_2) | instskip(NEXT) | instid1(VALU_DEP_2)
	v_dual_mov_b32 v4, v16 :: v_dual_mov_b32 v5, v17
	v_cmpx_ne_u16_e32 0, v8
	s_cbranch_execz .LBB266_1275
; %bb.1268:                             ;   in Loop: Header=BB266_1062 Depth=1
	v_bfrev_b32_e32 v4, 1
	v_mov_b32_e32 v5, 0
	s_mov_b32 s13, exec_lo
	v_cmpx_ne_u16_e32 0x80, v8
	s_cbranch_execz .LBB266_1274
; %bb.1269:                             ;   in Loop: Header=BB266_1062 Depth=1
	v_mov_b32_e32 v4, 0x7f800001
	v_dual_mov_b32 v5, 0 :: v_dual_and_b32 v18, 0x7f, v26
	s_mov_b32 s15, exec_lo
	s_delay_alu instid0(VALU_DEP_1)
	v_cmpx_ne_u32_e32 0x7f, v18
	s_cbranch_execz .LBB266_1273
; %bb.1270:                             ;   in Loop: Header=BB266_1062 Depth=1
	v_and_b32_e32 v8, 7, v26
	v_lshrrev_b32_e32 v4, 3, v18
	s_mov_b32 s16, exec_lo
	v_cmpx_gt_u32_e32 8, v18
; %bb.1271:                             ;   in Loop: Header=BB266_1062 Depth=1
	s_delay_alu instid0(VALU_DEP_3) | instskip(NEXT) | instid1(VALU_DEP_1)
	v_clz_i32_u32_e32 v4, v8
	v_min_u32_e32 v4, 32, v4
	s_delay_alu instid0(VALU_DEP_1) | instskip(SKIP_1) | instid1(VALU_DEP_2)
	v_subrev_nc_u32_e32 v5, 28, v4
	v_sub_nc_u32_e32 v4, 29, v4
	v_lshlrev_b64 v[18:19], v5, v[8:9]
	s_delay_alu instid0(VALU_DEP_1)
	v_and_b32_e32 v8, 7, v18
; %bb.1272:                             ;   in Loop: Header=BB266_1062 Depth=1
	s_or_b32 exec_lo, exec_lo, s16
	v_lshlrev_b32_e32 v5, 24, v26
	s_delay_alu instid0(VALU_DEP_2) | instskip(SKIP_1) | instid1(VALU_DEP_3)
	v_lshlrev_b32_e32 v8, 20, v8
	v_lshl_add_u32 v4, v4, 23, 0x3c000000
	v_and_b32_e32 v5, 0x80000000, v5
	s_delay_alu instid0(VALU_DEP_1) | instskip(NEXT) | instid1(VALU_DEP_1)
	v_or3_b32 v8, v8, v5, v4
	v_dual_mov_b32 v4, v8 :: v_dual_mov_b32 v5, v9
.LBB266_1273:                           ;   in Loop: Header=BB266_1062 Depth=1
	s_or_b32 exec_lo, exec_lo, s15
.LBB266_1274:                           ;   in Loop: Header=BB266_1062 Depth=1
	s_delay_alu instid0(SALU_CYCLE_1)
	s_or_b32 exec_lo, exec_lo, s13
.LBB266_1275:                           ;   in Loop: Header=BB266_1062 Depth=1
	s_delay_alu instid0(SALU_CYCLE_1) | instskip(SKIP_2) | instid1(VALU_DEP_1)
	s_or_b32 exec_lo, exec_lo, s10
	v_lshrrev_b16 v8, 8, v26
	s_mov_b32 s13, exec_lo
	v_cmpx_ne_u16_e32 0, v8
	s_cbranch_execz .LBB266_1283
; %bb.1276:                             ;   in Loop: Header=BB266_1062 Depth=1
	v_dual_mov_b32 v17, s9 :: v_dual_mov_b32 v16, s8
	s_mov_b32 s15, exec_lo
	v_cmpx_ne_u16_e32 0x80, v8
	s_cbranch_execz .LBB266_1282
; %bb.1277:                             ;   in Loop: Header=BB266_1062 Depth=1
	s_mov_b32 s10, s8
	v_dual_mov_b32 v17, s11 :: v_dual_and_b32 v8, 0xffff, v8
	v_mov_b32_e32 v16, s10
	s_mov_b32 s10, exec_lo
	s_delay_alu instid0(VALU_DEP_2) | instskip(NEXT) | instid1(VALU_DEP_1)
	v_and_b32_e32 v18, 0x7f, v8
	v_cmpx_ne_u32_e32 0x7f, v18
	s_cbranch_execz .LBB266_1281
; %bb.1278:                             ;   in Loop: Header=BB266_1062 Depth=1
	v_and_b32_e32 v8, 7, v8
	v_lshrrev_b32_e32 v16, 3, v18
	s_mov_b32 s16, exec_lo
	v_cmpx_gt_u32_e32 8, v18
; %bb.1279:                             ;   in Loop: Header=BB266_1062 Depth=1
	s_delay_alu instid0(VALU_DEP_3) | instskip(NEXT) | instid1(VALU_DEP_1)
	v_clz_i32_u32_e32 v16, v8
	v_min_u32_e32 v16, 32, v16
	s_delay_alu instid0(VALU_DEP_1) | instskip(SKIP_1) | instid1(VALU_DEP_2)
	v_subrev_nc_u32_e32 v17, 28, v16
	v_sub_nc_u32_e32 v16, 29, v16
	v_lshlrev_b64 v[17:18], v17, v[8:9]
	s_delay_alu instid0(VALU_DEP_1)
	v_and_b32_e32 v8, 7, v17
; %bb.1280:                             ;   in Loop: Header=BB266_1062 Depth=1
	s_or_b32 exec_lo, exec_lo, s16
	v_lshlrev_b32_e32 v17, 16, v26
	s_delay_alu instid0(VALU_DEP_2) | instskip(SKIP_1) | instid1(VALU_DEP_3)
	v_lshlrev_b32_e32 v8, 20, v8
	v_lshl_add_u32 v16, v16, 23, 0x3c000000
	v_and_b32_e32 v17, 0x80000000, v17
	s_delay_alu instid0(VALU_DEP_1)
	v_or3_b32 v17, v8, v17, v16
	v_mov_b32_e32 v16, v9
.LBB266_1281:                           ;   in Loop: Header=BB266_1062 Depth=1
	s_or_b32 exec_lo, exec_lo, s10
.LBB266_1282:                           ;   in Loop: Header=BB266_1062 Depth=1
	s_delay_alu instid0(SALU_CYCLE_1)
	s_or_b32 exec_lo, exec_lo, s15
.LBB266_1283:                           ;   in Loop: Header=BB266_1062 Depth=1
	s_delay_alu instid0(SALU_CYCLE_1) | instskip(SKIP_4) | instid1(VALU_DEP_2)
	s_or_b32 exec_lo, exec_lo, s13
	v_mov_b32_e32 v20, 0
	v_lshrrev_b32_e32 v86, 16, v26
	v_mov_b32_e32 v21, 0
	s_mov_b32 s10, exec_lo
	v_and_b32_e32 v8, 0xff, v86
	s_delay_alu instid0(VALU_DEP_2) | instskip(NEXT) | instid1(VALU_DEP_2)
	v_dual_mov_b32 v18, v20 :: v_dual_mov_b32 v19, v21
	v_cmpx_ne_u16_e32 0, v8
	s_cbranch_execz .LBB266_1291
; %bb.1284:                             ;   in Loop: Header=BB266_1062 Depth=1
	v_bfrev_b32_e32 v18, 1
	v_mov_b32_e32 v19, 0
	s_mov_b32 s13, exec_lo
	v_cmpx_ne_u16_e32 0x80, v8
	s_cbranch_execz .LBB266_1290
; %bb.1285:                             ;   in Loop: Header=BB266_1062 Depth=1
	v_mov_b32_e32 v18, 0x7f800001
	v_bfe_u32 v87, v26, 16, 7
	v_mov_b32_e32 v19, 0
	s_mov_b32 s15, exec_lo
	s_delay_alu instid0(VALU_DEP_2)
	v_cmpx_ne_u32_e32 0x7f, v87
	s_cbranch_execz .LBB266_1289
; %bb.1286:                             ;   in Loop: Header=BB266_1062 Depth=1
	v_and_b32_e32 v8, 7, v86
	v_lshrrev_b32_e32 v18, 3, v87
	s_mov_b32 s16, exec_lo
	v_cmpx_gt_u32_e32 8, v87
; %bb.1287:                             ;   in Loop: Header=BB266_1062 Depth=1
	s_delay_alu instid0(VALU_DEP_3) | instskip(NEXT) | instid1(VALU_DEP_1)
	v_clz_i32_u32_e32 v18, v8
	v_min_u32_e32 v18, 32, v18
	s_delay_alu instid0(VALU_DEP_1) | instskip(SKIP_1) | instid1(VALU_DEP_2)
	v_subrev_nc_u32_e32 v19, 28, v18
	v_sub_nc_u32_e32 v18, 29, v18
	v_lshlrev_b64 v[160:161], v19, v[8:9]
	s_delay_alu instid0(VALU_DEP_1)
	v_and_b32_e32 v8, 7, v160
; %bb.1288:                             ;   in Loop: Header=BB266_1062 Depth=1
	s_or_b32 exec_lo, exec_lo, s16
	v_lshlrev_b32_e32 v19, 24, v86
	s_delay_alu instid0(VALU_DEP_2) | instskip(SKIP_1) | instid1(VALU_DEP_3)
	v_lshlrev_b32_e32 v8, 20, v8
	v_lshl_add_u32 v18, v18, 23, 0x3c000000
	v_and_b32_e32 v19, 0x80000000, v19
	s_delay_alu instid0(VALU_DEP_1) | instskip(NEXT) | instid1(VALU_DEP_1)
	v_or3_b32 v8, v8, v19, v18
	v_dual_mov_b32 v19, v9 :: v_dual_mov_b32 v18, v8
.LBB266_1289:                           ;   in Loop: Header=BB266_1062 Depth=1
	s_or_b32 exec_lo, exec_lo, s15
.LBB266_1290:                           ;   in Loop: Header=BB266_1062 Depth=1
	s_delay_alu instid0(SALU_CYCLE_1)
	s_or_b32 exec_lo, exec_lo, s13
.LBB266_1291:                           ;   in Loop: Header=BB266_1062 Depth=1
	s_delay_alu instid0(SALU_CYCLE_1) | instskip(NEXT) | instid1(SALU_CYCLE_1)
	s_or_b32 exec_lo, exec_lo, s10
	s_mov_b32 s13, exec_lo
	v_cmpx_lt_u32_e32 0xffffff, v26
	s_cbranch_execz .LBB266_1299
; %bb.1292:                             ;   in Loop: Header=BB266_1062 Depth=1
	v_lshrrev_b32_e32 v86, 24, v26
	v_dual_mov_b32 v21, s9 :: v_dual_mov_b32 v20, s8
	s_mov_b32 s15, exec_lo
	s_delay_alu instid0(VALU_DEP_2)
	v_cmpx_ne_u32_e32 0x80, v86
	s_cbranch_execz .LBB266_1298
; %bb.1293:                             ;   in Loop: Header=BB266_1062 Depth=1
	s_mov_b32 s10, s8
	v_bfe_u32 v26, v26, 24, 7
	v_dual_mov_b32 v21, s11 :: v_dual_mov_b32 v20, s10
	s_mov_b32 s10, exec_lo
	s_delay_alu instid0(VALU_DEP_2)
	v_cmpx_ne_u32_e32 0x7f, v26
	s_cbranch_execz .LBB266_1297
; %bb.1294:                             ;   in Loop: Header=BB266_1062 Depth=1
	v_and_b32_e32 v8, 7, v86
	v_lshrrev_b32_e32 v20, 3, v26
	s_mov_b32 s16, exec_lo
	v_cmpx_gt_u32_e32 8, v26
; %bb.1295:                             ;   in Loop: Header=BB266_1062 Depth=1
	s_delay_alu instid0(VALU_DEP_3) | instskip(NEXT) | instid1(VALU_DEP_1)
	v_clz_i32_u32_e32 v20, v8
	v_min_u32_e32 v20, 32, v20
	s_delay_alu instid0(VALU_DEP_1) | instskip(SKIP_1) | instid1(VALU_DEP_2)
	v_subrev_nc_u32_e32 v21, 28, v20
	v_sub_nc_u32_e32 v20, 29, v20
	v_lshlrev_b64 v[160:161], v21, v[8:9]
	s_delay_alu instid0(VALU_DEP_1)
	v_and_b32_e32 v8, 7, v160
; %bb.1296:                             ;   in Loop: Header=BB266_1062 Depth=1
	s_or_b32 exec_lo, exec_lo, s16
	v_lshlrev_b32_e32 v21, 24, v86
	s_delay_alu instid0(VALU_DEP_2) | instskip(SKIP_1) | instid1(VALU_DEP_3)
	v_lshlrev_b32_e32 v8, 20, v8
	v_lshl_add_u32 v20, v20, 23, 0x3c000000
	v_and_b32_e32 v21, 0x80000000, v21
	s_delay_alu instid0(VALU_DEP_1)
	v_or3_b32 v21, v8, v21, v20
	v_mov_b32_e32 v20, v9
.LBB266_1297:                           ;   in Loop: Header=BB266_1062 Depth=1
	s_or_b32 exec_lo, exec_lo, s10
.LBB266_1298:                           ;   in Loop: Header=BB266_1062 Depth=1
	s_delay_alu instid0(SALU_CYCLE_1)
	s_or_b32 exec_lo, exec_lo, s15
.LBB266_1299:                           ;   in Loop: Header=BB266_1062 Depth=1
	s_delay_alu instid0(SALU_CYCLE_1) | instskip(SKIP_4) | instid1(VALU_DEP_4)
	s_or_b32 exec_lo, exec_lo, s13
	v_or_b32_e32 v5, v17, v5
	v_or_b32_e32 v4, v16, v4
	;; [unrolled: 1-line block ×4, first 2 shown]
	v_mul_f32_e32 v162, v102, v5
	s_delay_alu instid0(VALU_DEP_4) | instskip(NEXT) | instid1(VALU_DEP_4)
	v_mul_f32_e32 v161, v102, v4
	v_mul_f32_e32 v151, v102, v8
	s_delay_alu instid0(VALU_DEP_4)
	v_mul_f32_e32 v160, v102, v16
	s_and_saveexec_b32 s10, vcc_lo
; %bb.1300:                             ;   in Loop: Header=BB266_1062 Depth=1
	v_cmp_lt_i32_e64 s0, v115, v47
	s_delay_alu instid0(VALU_DEP_1) | instskip(SKIP_1) | instid1(VALU_DEP_1)
	v_cndmask_b32_e64 v161, 0, v161, s0
	v_cmp_lt_i32_e64 s0, v118, v47
	v_cndmask_b32_e64 v162, 0, v162, s0
	v_cmp_lt_i32_e64 s0, v117, v47
	s_delay_alu instid0(VALU_DEP_1) | instskip(SKIP_1) | instid1(VALU_DEP_1)
	v_cndmask_b32_e64 v160, 0, v160, s0
	v_cmp_lt_i32_e64 s0, v116, v47
	v_cndmask_b32_e64 v151, 0, v151, s0
; %bb.1301:                             ;   in Loop: Header=BB266_1062 Depth=1
	s_or_b32 exec_lo, exec_lo, s10
	flat_load_b32 v26, v[14:15] offset:896
	v_mov_b32_e32 v16, 0
	v_mov_b32_e32 v17, 0
	s_mov_b32 s10, exec_lo
	s_waitcnt vmcnt(0) lgkmcnt(0)
	v_and_b32_e32 v8, 0xff, v26
	s_delay_alu instid0(VALU_DEP_2) | instskip(NEXT) | instid1(VALU_DEP_2)
	v_dual_mov_b32 v4, v16 :: v_dual_mov_b32 v5, v17
	v_cmpx_ne_u16_e32 0, v8
	s_cbranch_execz .LBB266_1309
; %bb.1302:                             ;   in Loop: Header=BB266_1062 Depth=1
	v_bfrev_b32_e32 v4, 1
	v_mov_b32_e32 v5, 0
	s_mov_b32 s13, exec_lo
	v_cmpx_ne_u16_e32 0x80, v8
	s_cbranch_execz .LBB266_1308
; %bb.1303:                             ;   in Loop: Header=BB266_1062 Depth=1
	v_mov_b32_e32 v4, 0x7f800001
	v_dual_mov_b32 v5, 0 :: v_dual_and_b32 v18, 0x7f, v26
	s_mov_b32 s15, exec_lo
	s_delay_alu instid0(VALU_DEP_1)
	v_cmpx_ne_u32_e32 0x7f, v18
	s_cbranch_execz .LBB266_1307
; %bb.1304:                             ;   in Loop: Header=BB266_1062 Depth=1
	v_and_b32_e32 v8, 7, v26
	v_lshrrev_b32_e32 v4, 3, v18
	s_mov_b32 s16, exec_lo
	v_cmpx_gt_u32_e32 8, v18
; %bb.1305:                             ;   in Loop: Header=BB266_1062 Depth=1
	s_delay_alu instid0(VALU_DEP_3) | instskip(NEXT) | instid1(VALU_DEP_1)
	v_clz_i32_u32_e32 v4, v8
	v_min_u32_e32 v4, 32, v4
	s_delay_alu instid0(VALU_DEP_1) | instskip(SKIP_1) | instid1(VALU_DEP_2)
	v_subrev_nc_u32_e32 v5, 28, v4
	v_sub_nc_u32_e32 v4, 29, v4
	v_lshlrev_b64 v[18:19], v5, v[8:9]
	s_delay_alu instid0(VALU_DEP_1)
	v_and_b32_e32 v8, 7, v18
; %bb.1306:                             ;   in Loop: Header=BB266_1062 Depth=1
	s_or_b32 exec_lo, exec_lo, s16
	v_lshlrev_b32_e32 v5, 24, v26
	s_delay_alu instid0(VALU_DEP_2) | instskip(SKIP_1) | instid1(VALU_DEP_3)
	v_lshlrev_b32_e32 v8, 20, v8
	v_lshl_add_u32 v4, v4, 23, 0x3c000000
	v_and_b32_e32 v5, 0x80000000, v5
	s_delay_alu instid0(VALU_DEP_1) | instskip(NEXT) | instid1(VALU_DEP_1)
	v_or3_b32 v8, v8, v5, v4
	v_dual_mov_b32 v4, v8 :: v_dual_mov_b32 v5, v9
.LBB266_1307:                           ;   in Loop: Header=BB266_1062 Depth=1
	s_or_b32 exec_lo, exec_lo, s15
.LBB266_1308:                           ;   in Loop: Header=BB266_1062 Depth=1
	s_delay_alu instid0(SALU_CYCLE_1)
	s_or_b32 exec_lo, exec_lo, s13
.LBB266_1309:                           ;   in Loop: Header=BB266_1062 Depth=1
	s_delay_alu instid0(SALU_CYCLE_1) | instskip(SKIP_2) | instid1(VALU_DEP_1)
	s_or_b32 exec_lo, exec_lo, s10
	v_lshrrev_b16 v8, 8, v26
	s_mov_b32 s13, exec_lo
	v_cmpx_ne_u16_e32 0, v8
	s_cbranch_execz .LBB266_1317
; %bb.1310:                             ;   in Loop: Header=BB266_1062 Depth=1
	v_dual_mov_b32 v17, s9 :: v_dual_mov_b32 v16, s8
	s_mov_b32 s15, exec_lo
	v_cmpx_ne_u16_e32 0x80, v8
	s_cbranch_execz .LBB266_1316
; %bb.1311:                             ;   in Loop: Header=BB266_1062 Depth=1
	s_mov_b32 s10, s8
	v_dual_mov_b32 v17, s11 :: v_dual_and_b32 v8, 0xffff, v8
	v_mov_b32_e32 v16, s10
	s_mov_b32 s10, exec_lo
	s_delay_alu instid0(VALU_DEP_2) | instskip(NEXT) | instid1(VALU_DEP_1)
	v_and_b32_e32 v18, 0x7f, v8
	v_cmpx_ne_u32_e32 0x7f, v18
	s_cbranch_execz .LBB266_1315
; %bb.1312:                             ;   in Loop: Header=BB266_1062 Depth=1
	v_and_b32_e32 v8, 7, v8
	v_lshrrev_b32_e32 v16, 3, v18
	s_mov_b32 s16, exec_lo
	v_cmpx_gt_u32_e32 8, v18
; %bb.1313:                             ;   in Loop: Header=BB266_1062 Depth=1
	s_delay_alu instid0(VALU_DEP_3) | instskip(NEXT) | instid1(VALU_DEP_1)
	v_clz_i32_u32_e32 v16, v8
	v_min_u32_e32 v16, 32, v16
	s_delay_alu instid0(VALU_DEP_1) | instskip(SKIP_1) | instid1(VALU_DEP_2)
	v_subrev_nc_u32_e32 v17, 28, v16
	v_sub_nc_u32_e32 v16, 29, v16
	v_lshlrev_b64 v[17:18], v17, v[8:9]
	s_delay_alu instid0(VALU_DEP_1)
	v_and_b32_e32 v8, 7, v17
; %bb.1314:                             ;   in Loop: Header=BB266_1062 Depth=1
	s_or_b32 exec_lo, exec_lo, s16
	v_lshlrev_b32_e32 v17, 16, v26
	s_delay_alu instid0(VALU_DEP_2) | instskip(SKIP_1) | instid1(VALU_DEP_3)
	v_lshlrev_b32_e32 v8, 20, v8
	v_lshl_add_u32 v16, v16, 23, 0x3c000000
	v_and_b32_e32 v17, 0x80000000, v17
	s_delay_alu instid0(VALU_DEP_1)
	v_or3_b32 v17, v8, v17, v16
	v_mov_b32_e32 v16, v9
.LBB266_1315:                           ;   in Loop: Header=BB266_1062 Depth=1
	s_or_b32 exec_lo, exec_lo, s10
.LBB266_1316:                           ;   in Loop: Header=BB266_1062 Depth=1
	s_delay_alu instid0(SALU_CYCLE_1)
	s_or_b32 exec_lo, exec_lo, s15
.LBB266_1317:                           ;   in Loop: Header=BB266_1062 Depth=1
	s_delay_alu instid0(SALU_CYCLE_1) | instskip(SKIP_4) | instid1(VALU_DEP_2)
	s_or_b32 exec_lo, exec_lo, s13
	v_mov_b32_e32 v20, 0
	v_lshrrev_b32_e32 v86, 16, v26
	v_mov_b32_e32 v21, 0
	s_mov_b32 s10, exec_lo
	v_and_b32_e32 v8, 0xff, v86
	s_delay_alu instid0(VALU_DEP_2) | instskip(NEXT) | instid1(VALU_DEP_2)
	v_dual_mov_b32 v18, v20 :: v_dual_mov_b32 v19, v21
	v_cmpx_ne_u16_e32 0, v8
	s_cbranch_execz .LBB266_1325
; %bb.1318:                             ;   in Loop: Header=BB266_1062 Depth=1
	v_bfrev_b32_e32 v18, 1
	v_mov_b32_e32 v19, 0
	s_mov_b32 s13, exec_lo
	v_cmpx_ne_u16_e32 0x80, v8
	s_cbranch_execz .LBB266_1324
; %bb.1319:                             ;   in Loop: Header=BB266_1062 Depth=1
	v_mov_b32_e32 v18, 0x7f800001
	v_bfe_u32 v87, v26, 16, 7
	v_mov_b32_e32 v19, 0
	s_mov_b32 s15, exec_lo
	s_delay_alu instid0(VALU_DEP_2)
	v_cmpx_ne_u32_e32 0x7f, v87
	s_cbranch_execz .LBB266_1323
; %bb.1320:                             ;   in Loop: Header=BB266_1062 Depth=1
	v_and_b32_e32 v8, 7, v86
	v_lshrrev_b32_e32 v18, 3, v87
	s_mov_b32 s16, exec_lo
	v_cmpx_gt_u32_e32 8, v87
; %bb.1321:                             ;   in Loop: Header=BB266_1062 Depth=1
	s_delay_alu instid0(VALU_DEP_3) | instskip(NEXT) | instid1(VALU_DEP_1)
	v_clz_i32_u32_e32 v18, v8
	v_min_u32_e32 v18, 32, v18
	s_delay_alu instid0(VALU_DEP_1) | instskip(SKIP_1) | instid1(VALU_DEP_2)
	v_subrev_nc_u32_e32 v19, 28, v18
	v_sub_nc_u32_e32 v18, 29, v18
	v_lshlrev_b64 v[163:164], v19, v[8:9]
	s_delay_alu instid0(VALU_DEP_1)
	v_and_b32_e32 v8, 7, v163
; %bb.1322:                             ;   in Loop: Header=BB266_1062 Depth=1
	s_or_b32 exec_lo, exec_lo, s16
	v_lshlrev_b32_e32 v19, 24, v86
	s_delay_alu instid0(VALU_DEP_2) | instskip(SKIP_1) | instid1(VALU_DEP_3)
	v_lshlrev_b32_e32 v8, 20, v8
	v_lshl_add_u32 v18, v18, 23, 0x3c000000
	v_and_b32_e32 v19, 0x80000000, v19
	s_delay_alu instid0(VALU_DEP_1) | instskip(NEXT) | instid1(VALU_DEP_1)
	v_or3_b32 v8, v8, v19, v18
	v_dual_mov_b32 v19, v9 :: v_dual_mov_b32 v18, v8
.LBB266_1323:                           ;   in Loop: Header=BB266_1062 Depth=1
	s_or_b32 exec_lo, exec_lo, s15
.LBB266_1324:                           ;   in Loop: Header=BB266_1062 Depth=1
	s_delay_alu instid0(SALU_CYCLE_1)
	s_or_b32 exec_lo, exec_lo, s13
.LBB266_1325:                           ;   in Loop: Header=BB266_1062 Depth=1
	s_delay_alu instid0(SALU_CYCLE_1) | instskip(NEXT) | instid1(SALU_CYCLE_1)
	s_or_b32 exec_lo, exec_lo, s10
	s_mov_b32 s13, exec_lo
	v_cmpx_lt_u32_e32 0xffffff, v26
	s_cbranch_execz .LBB266_1333
; %bb.1326:                             ;   in Loop: Header=BB266_1062 Depth=1
	v_lshrrev_b32_e32 v86, 24, v26
	v_dual_mov_b32 v21, s9 :: v_dual_mov_b32 v20, s8
	s_mov_b32 s15, exec_lo
	s_delay_alu instid0(VALU_DEP_2)
	v_cmpx_ne_u32_e32 0x80, v86
	s_cbranch_execz .LBB266_1332
; %bb.1327:                             ;   in Loop: Header=BB266_1062 Depth=1
	s_mov_b32 s10, s8
	v_bfe_u32 v26, v26, 24, 7
	v_dual_mov_b32 v21, s11 :: v_dual_mov_b32 v20, s10
	s_mov_b32 s10, exec_lo
	s_delay_alu instid0(VALU_DEP_2)
	v_cmpx_ne_u32_e32 0x7f, v26
	s_cbranch_execz .LBB266_1331
; %bb.1328:                             ;   in Loop: Header=BB266_1062 Depth=1
	v_and_b32_e32 v8, 7, v86
	v_lshrrev_b32_e32 v20, 3, v26
	s_mov_b32 s16, exec_lo
	v_cmpx_gt_u32_e32 8, v26
; %bb.1329:                             ;   in Loop: Header=BB266_1062 Depth=1
	s_delay_alu instid0(VALU_DEP_3) | instskip(NEXT) | instid1(VALU_DEP_1)
	v_clz_i32_u32_e32 v20, v8
	v_min_u32_e32 v20, 32, v20
	s_delay_alu instid0(VALU_DEP_1) | instskip(SKIP_1) | instid1(VALU_DEP_2)
	v_subrev_nc_u32_e32 v21, 28, v20
	v_sub_nc_u32_e32 v20, 29, v20
	v_lshlrev_b64 v[163:164], v21, v[8:9]
	s_delay_alu instid0(VALU_DEP_1)
	v_and_b32_e32 v8, 7, v163
; %bb.1330:                             ;   in Loop: Header=BB266_1062 Depth=1
	s_or_b32 exec_lo, exec_lo, s16
	v_lshlrev_b32_e32 v21, 24, v86
	s_delay_alu instid0(VALU_DEP_2) | instskip(SKIP_1) | instid1(VALU_DEP_3)
	v_lshlrev_b32_e32 v8, 20, v8
	v_lshl_add_u32 v20, v20, 23, 0x3c000000
	v_and_b32_e32 v21, 0x80000000, v21
	s_delay_alu instid0(VALU_DEP_1)
	v_or3_b32 v21, v8, v21, v20
	v_mov_b32_e32 v20, v9
.LBB266_1331:                           ;   in Loop: Header=BB266_1062 Depth=1
	s_or_b32 exec_lo, exec_lo, s10
.LBB266_1332:                           ;   in Loop: Header=BB266_1062 Depth=1
	s_delay_alu instid0(SALU_CYCLE_1)
	s_or_b32 exec_lo, exec_lo, s15
.LBB266_1333:                           ;   in Loop: Header=BB266_1062 Depth=1
	s_delay_alu instid0(SALU_CYCLE_1) | instskip(SKIP_4) | instid1(VALU_DEP_4)
	s_or_b32 exec_lo, exec_lo, s13
	v_or_b32_e32 v5, v17, v5
	v_or_b32_e32 v4, v16, v4
	;; [unrolled: 1-line block ×4, first 2 shown]
	v_mul_f32_e32 v166, v102, v5
	s_delay_alu instid0(VALU_DEP_4) | instskip(NEXT) | instid1(VALU_DEP_4)
	v_mul_f32_e32 v165, v102, v4
	v_mul_f32_e32 v163, v102, v8
	s_delay_alu instid0(VALU_DEP_4)
	v_mul_f32_e32 v164, v102, v16
	s_and_saveexec_b32 s10, vcc_lo
; %bb.1334:                             ;   in Loop: Header=BB266_1062 Depth=1
	v_cmp_lt_i32_e64 s0, v115, v47
	s_delay_alu instid0(VALU_DEP_1) | instskip(SKIP_1) | instid1(VALU_DEP_1)
	v_cndmask_b32_e64 v165, 0, v165, s0
	v_cmp_lt_i32_e64 s0, v118, v47
	v_cndmask_b32_e64 v166, 0, v166, s0
	v_cmp_lt_i32_e64 s0, v117, v47
	s_delay_alu instid0(VALU_DEP_1) | instskip(SKIP_1) | instid1(VALU_DEP_1)
	v_cndmask_b32_e64 v164, 0, v164, s0
	v_cmp_lt_i32_e64 s0, v116, v47
	v_cndmask_b32_e64 v163, 0, v163, s0
; %bb.1335:                             ;   in Loop: Header=BB266_1062 Depth=1
	s_or_b32 exec_lo, exec_lo, s10
	flat_load_b32 v26, v[14:15] offset:1024
	v_mov_b32_e32 v16, 0
	v_mov_b32_e32 v17, 0
	s_mov_b32 s10, exec_lo
	s_waitcnt vmcnt(0) lgkmcnt(0)
	v_and_b32_e32 v8, 0xff, v26
	s_delay_alu instid0(VALU_DEP_2) | instskip(NEXT) | instid1(VALU_DEP_2)
	v_dual_mov_b32 v4, v16 :: v_dual_mov_b32 v5, v17
	v_cmpx_ne_u16_e32 0, v8
	s_cbranch_execz .LBB266_1343
; %bb.1336:                             ;   in Loop: Header=BB266_1062 Depth=1
	v_bfrev_b32_e32 v4, 1
	v_mov_b32_e32 v5, 0
	s_mov_b32 s13, exec_lo
	v_cmpx_ne_u16_e32 0x80, v8
	s_cbranch_execz .LBB266_1342
; %bb.1337:                             ;   in Loop: Header=BB266_1062 Depth=1
	v_mov_b32_e32 v4, 0x7f800001
	v_dual_mov_b32 v5, 0 :: v_dual_and_b32 v18, 0x7f, v26
	s_mov_b32 s15, exec_lo
	s_delay_alu instid0(VALU_DEP_1)
	v_cmpx_ne_u32_e32 0x7f, v18
	s_cbranch_execz .LBB266_1341
; %bb.1338:                             ;   in Loop: Header=BB266_1062 Depth=1
	v_and_b32_e32 v8, 7, v26
	v_lshrrev_b32_e32 v4, 3, v18
	s_mov_b32 s16, exec_lo
	v_cmpx_gt_u32_e32 8, v18
; %bb.1339:                             ;   in Loop: Header=BB266_1062 Depth=1
	s_delay_alu instid0(VALU_DEP_3) | instskip(NEXT) | instid1(VALU_DEP_1)
	v_clz_i32_u32_e32 v4, v8
	v_min_u32_e32 v4, 32, v4
	s_delay_alu instid0(VALU_DEP_1) | instskip(SKIP_1) | instid1(VALU_DEP_2)
	v_subrev_nc_u32_e32 v5, 28, v4
	v_sub_nc_u32_e32 v4, 29, v4
	v_lshlrev_b64 v[18:19], v5, v[8:9]
	s_delay_alu instid0(VALU_DEP_1)
	v_and_b32_e32 v8, 7, v18
; %bb.1340:                             ;   in Loop: Header=BB266_1062 Depth=1
	s_or_b32 exec_lo, exec_lo, s16
	v_lshlrev_b32_e32 v5, 24, v26
	s_delay_alu instid0(VALU_DEP_2) | instskip(SKIP_1) | instid1(VALU_DEP_3)
	v_lshlrev_b32_e32 v8, 20, v8
	v_lshl_add_u32 v4, v4, 23, 0x3c000000
	v_and_b32_e32 v5, 0x80000000, v5
	s_delay_alu instid0(VALU_DEP_1) | instskip(NEXT) | instid1(VALU_DEP_1)
	v_or3_b32 v8, v8, v5, v4
	v_dual_mov_b32 v4, v8 :: v_dual_mov_b32 v5, v9
.LBB266_1341:                           ;   in Loop: Header=BB266_1062 Depth=1
	s_or_b32 exec_lo, exec_lo, s15
.LBB266_1342:                           ;   in Loop: Header=BB266_1062 Depth=1
	s_delay_alu instid0(SALU_CYCLE_1)
	s_or_b32 exec_lo, exec_lo, s13
.LBB266_1343:                           ;   in Loop: Header=BB266_1062 Depth=1
	s_delay_alu instid0(SALU_CYCLE_1) | instskip(SKIP_2) | instid1(VALU_DEP_1)
	s_or_b32 exec_lo, exec_lo, s10
	v_lshrrev_b16 v8, 8, v26
	s_mov_b32 s13, exec_lo
	v_cmpx_ne_u16_e32 0, v8
	s_cbranch_execz .LBB266_1351
; %bb.1344:                             ;   in Loop: Header=BB266_1062 Depth=1
	v_dual_mov_b32 v17, s9 :: v_dual_mov_b32 v16, s8
	s_mov_b32 s15, exec_lo
	v_cmpx_ne_u16_e32 0x80, v8
	s_cbranch_execz .LBB266_1350
; %bb.1345:                             ;   in Loop: Header=BB266_1062 Depth=1
	s_mov_b32 s10, s8
	v_dual_mov_b32 v17, s11 :: v_dual_and_b32 v8, 0xffff, v8
	v_mov_b32_e32 v16, s10
	s_mov_b32 s10, exec_lo
	s_delay_alu instid0(VALU_DEP_2) | instskip(NEXT) | instid1(VALU_DEP_1)
	v_and_b32_e32 v18, 0x7f, v8
	v_cmpx_ne_u32_e32 0x7f, v18
	s_cbranch_execz .LBB266_1349
; %bb.1346:                             ;   in Loop: Header=BB266_1062 Depth=1
	v_and_b32_e32 v8, 7, v8
	v_lshrrev_b32_e32 v16, 3, v18
	s_mov_b32 s16, exec_lo
	v_cmpx_gt_u32_e32 8, v18
; %bb.1347:                             ;   in Loop: Header=BB266_1062 Depth=1
	s_delay_alu instid0(VALU_DEP_3) | instskip(NEXT) | instid1(VALU_DEP_1)
	v_clz_i32_u32_e32 v16, v8
	v_min_u32_e32 v16, 32, v16
	s_delay_alu instid0(VALU_DEP_1) | instskip(SKIP_1) | instid1(VALU_DEP_2)
	v_subrev_nc_u32_e32 v17, 28, v16
	v_sub_nc_u32_e32 v16, 29, v16
	v_lshlrev_b64 v[17:18], v17, v[8:9]
	s_delay_alu instid0(VALU_DEP_1)
	v_and_b32_e32 v8, 7, v17
; %bb.1348:                             ;   in Loop: Header=BB266_1062 Depth=1
	s_or_b32 exec_lo, exec_lo, s16
	v_lshlrev_b32_e32 v17, 16, v26
	s_delay_alu instid0(VALU_DEP_2) | instskip(SKIP_1) | instid1(VALU_DEP_3)
	v_lshlrev_b32_e32 v8, 20, v8
	v_lshl_add_u32 v16, v16, 23, 0x3c000000
	v_and_b32_e32 v17, 0x80000000, v17
	s_delay_alu instid0(VALU_DEP_1)
	v_or3_b32 v17, v8, v17, v16
	v_mov_b32_e32 v16, v9
.LBB266_1349:                           ;   in Loop: Header=BB266_1062 Depth=1
	s_or_b32 exec_lo, exec_lo, s10
.LBB266_1350:                           ;   in Loop: Header=BB266_1062 Depth=1
	s_delay_alu instid0(SALU_CYCLE_1)
	s_or_b32 exec_lo, exec_lo, s15
.LBB266_1351:                           ;   in Loop: Header=BB266_1062 Depth=1
	s_delay_alu instid0(SALU_CYCLE_1) | instskip(SKIP_4) | instid1(VALU_DEP_2)
	s_or_b32 exec_lo, exec_lo, s13
	v_mov_b32_e32 v20, 0
	v_lshrrev_b32_e32 v86, 16, v26
	v_mov_b32_e32 v21, 0
	s_mov_b32 s10, exec_lo
	v_and_b32_e32 v8, 0xff, v86
	s_delay_alu instid0(VALU_DEP_2) | instskip(NEXT) | instid1(VALU_DEP_2)
	v_dual_mov_b32 v18, v20 :: v_dual_mov_b32 v19, v21
	v_cmpx_ne_u16_e32 0, v8
	s_cbranch_execz .LBB266_1359
; %bb.1352:                             ;   in Loop: Header=BB266_1062 Depth=1
	v_bfrev_b32_e32 v18, 1
	v_mov_b32_e32 v19, 0
	s_mov_b32 s13, exec_lo
	v_cmpx_ne_u16_e32 0x80, v8
	s_cbranch_execz .LBB266_1358
; %bb.1353:                             ;   in Loop: Header=BB266_1062 Depth=1
	v_mov_b32_e32 v18, 0x7f800001
	v_bfe_u32 v87, v26, 16, 7
	v_mov_b32_e32 v19, 0
	s_mov_b32 s15, exec_lo
	s_delay_alu instid0(VALU_DEP_2)
	v_cmpx_ne_u32_e32 0x7f, v87
	s_cbranch_execz .LBB266_1357
; %bb.1354:                             ;   in Loop: Header=BB266_1062 Depth=1
	v_and_b32_e32 v8, 7, v86
	v_lshrrev_b32_e32 v18, 3, v87
	s_mov_b32 s16, exec_lo
	v_cmpx_gt_u32_e32 8, v87
; %bb.1355:                             ;   in Loop: Header=BB266_1062 Depth=1
	s_delay_alu instid0(VALU_DEP_3) | instskip(NEXT) | instid1(VALU_DEP_1)
	v_clz_i32_u32_e32 v18, v8
	v_min_u32_e32 v18, 32, v18
	s_delay_alu instid0(VALU_DEP_1) | instskip(SKIP_1) | instid1(VALU_DEP_2)
	v_subrev_nc_u32_e32 v19, 28, v18
	v_sub_nc_u32_e32 v18, 29, v18
	v_lshlrev_b64 v[176:177], v19, v[8:9]
	s_delay_alu instid0(VALU_DEP_1)
	v_and_b32_e32 v8, 7, v176
; %bb.1356:                             ;   in Loop: Header=BB266_1062 Depth=1
	s_or_b32 exec_lo, exec_lo, s16
	v_lshlrev_b32_e32 v19, 24, v86
	s_delay_alu instid0(VALU_DEP_2) | instskip(SKIP_1) | instid1(VALU_DEP_3)
	v_lshlrev_b32_e32 v8, 20, v8
	v_lshl_add_u32 v18, v18, 23, 0x3c000000
	v_and_b32_e32 v19, 0x80000000, v19
	s_delay_alu instid0(VALU_DEP_1) | instskip(NEXT) | instid1(VALU_DEP_1)
	v_or3_b32 v8, v8, v19, v18
	v_dual_mov_b32 v19, v9 :: v_dual_mov_b32 v18, v8
.LBB266_1357:                           ;   in Loop: Header=BB266_1062 Depth=1
	s_or_b32 exec_lo, exec_lo, s15
.LBB266_1358:                           ;   in Loop: Header=BB266_1062 Depth=1
	s_delay_alu instid0(SALU_CYCLE_1)
	s_or_b32 exec_lo, exec_lo, s13
.LBB266_1359:                           ;   in Loop: Header=BB266_1062 Depth=1
	s_delay_alu instid0(SALU_CYCLE_1) | instskip(NEXT) | instid1(SALU_CYCLE_1)
	s_or_b32 exec_lo, exec_lo, s10
	s_mov_b32 s13, exec_lo
	v_cmpx_lt_u32_e32 0xffffff, v26
	s_cbranch_execz .LBB266_1367
; %bb.1360:                             ;   in Loop: Header=BB266_1062 Depth=1
	v_lshrrev_b32_e32 v86, 24, v26
	v_dual_mov_b32 v21, s9 :: v_dual_mov_b32 v20, s8
	s_mov_b32 s15, exec_lo
	s_delay_alu instid0(VALU_DEP_2)
	v_cmpx_ne_u32_e32 0x80, v86
	s_cbranch_execz .LBB266_1366
; %bb.1361:                             ;   in Loop: Header=BB266_1062 Depth=1
	s_mov_b32 s10, s8
	v_bfe_u32 v26, v26, 24, 7
	v_dual_mov_b32 v21, s11 :: v_dual_mov_b32 v20, s10
	s_mov_b32 s10, exec_lo
	s_delay_alu instid0(VALU_DEP_2)
	v_cmpx_ne_u32_e32 0x7f, v26
	s_cbranch_execz .LBB266_1365
; %bb.1362:                             ;   in Loop: Header=BB266_1062 Depth=1
	v_and_b32_e32 v8, 7, v86
	v_lshrrev_b32_e32 v20, 3, v26
	s_mov_b32 s16, exec_lo
	v_cmpx_gt_u32_e32 8, v26
; %bb.1363:                             ;   in Loop: Header=BB266_1062 Depth=1
	s_delay_alu instid0(VALU_DEP_3) | instskip(NEXT) | instid1(VALU_DEP_1)
	v_clz_i32_u32_e32 v20, v8
	v_min_u32_e32 v20, 32, v20
	s_delay_alu instid0(VALU_DEP_1) | instskip(SKIP_1) | instid1(VALU_DEP_2)
	v_subrev_nc_u32_e32 v21, 28, v20
	v_sub_nc_u32_e32 v20, 29, v20
	v_lshlrev_b64 v[176:177], v21, v[8:9]
	s_delay_alu instid0(VALU_DEP_1)
	v_and_b32_e32 v8, 7, v176
; %bb.1364:                             ;   in Loop: Header=BB266_1062 Depth=1
	s_or_b32 exec_lo, exec_lo, s16
	v_lshlrev_b32_e32 v21, 24, v86
	s_delay_alu instid0(VALU_DEP_2) | instskip(SKIP_1) | instid1(VALU_DEP_3)
	v_lshlrev_b32_e32 v8, 20, v8
	v_lshl_add_u32 v20, v20, 23, 0x3c000000
	v_and_b32_e32 v21, 0x80000000, v21
	s_delay_alu instid0(VALU_DEP_1)
	v_or3_b32 v21, v8, v21, v20
	v_mov_b32_e32 v20, v9
.LBB266_1365:                           ;   in Loop: Header=BB266_1062 Depth=1
	s_or_b32 exec_lo, exec_lo, s10
.LBB266_1366:                           ;   in Loop: Header=BB266_1062 Depth=1
	s_delay_alu instid0(SALU_CYCLE_1)
	s_or_b32 exec_lo, exec_lo, s15
.LBB266_1367:                           ;   in Loop: Header=BB266_1062 Depth=1
	s_delay_alu instid0(SALU_CYCLE_1) | instskip(SKIP_4) | instid1(VALU_DEP_4)
	s_or_b32 exec_lo, exec_lo, s13
	v_or_b32_e32 v5, v17, v5
	v_or_b32_e32 v4, v16, v4
	;; [unrolled: 1-line block ×4, first 2 shown]
	v_mul_f32_e32 v178, v102, v5
	s_delay_alu instid0(VALU_DEP_4) | instskip(NEXT) | instid1(VALU_DEP_4)
	v_mul_f32_e32 v177, v102, v4
	v_mul_f32_e32 v167, v102, v8
	s_delay_alu instid0(VALU_DEP_4)
	v_mul_f32_e32 v176, v102, v16
	s_and_saveexec_b32 s10, vcc_lo
; %bb.1368:                             ;   in Loop: Header=BB266_1062 Depth=1
	v_cmp_lt_i32_e64 s0, v115, v47
	s_delay_alu instid0(VALU_DEP_1) | instskip(SKIP_1) | instid1(VALU_DEP_1)
	v_cndmask_b32_e64 v177, 0, v177, s0
	v_cmp_lt_i32_e64 s0, v118, v47
	v_cndmask_b32_e64 v178, 0, v178, s0
	v_cmp_lt_i32_e64 s0, v117, v47
	s_delay_alu instid0(VALU_DEP_1) | instskip(SKIP_1) | instid1(VALU_DEP_1)
	v_cndmask_b32_e64 v176, 0, v176, s0
	v_cmp_lt_i32_e64 s0, v116, v47
	v_cndmask_b32_e64 v167, 0, v167, s0
; %bb.1369:                             ;   in Loop: Header=BB266_1062 Depth=1
	s_or_b32 exec_lo, exec_lo, s10
	flat_load_b32 v26, v[14:15] offset:1152
	v_mov_b32_e32 v16, 0
	v_mov_b32_e32 v17, 0
	s_mov_b32 s10, exec_lo
	s_waitcnt vmcnt(0) lgkmcnt(0)
	v_and_b32_e32 v8, 0xff, v26
	s_delay_alu instid0(VALU_DEP_2) | instskip(NEXT) | instid1(VALU_DEP_2)
	v_dual_mov_b32 v4, v16 :: v_dual_mov_b32 v5, v17
	v_cmpx_ne_u16_e32 0, v8
	s_cbranch_execz .LBB266_1377
; %bb.1370:                             ;   in Loop: Header=BB266_1062 Depth=1
	v_bfrev_b32_e32 v4, 1
	v_mov_b32_e32 v5, 0
	s_mov_b32 s13, exec_lo
	v_cmpx_ne_u16_e32 0x80, v8
	s_cbranch_execz .LBB266_1376
; %bb.1371:                             ;   in Loop: Header=BB266_1062 Depth=1
	v_mov_b32_e32 v4, 0x7f800001
	v_dual_mov_b32 v5, 0 :: v_dual_and_b32 v18, 0x7f, v26
	s_mov_b32 s15, exec_lo
	s_delay_alu instid0(VALU_DEP_1)
	v_cmpx_ne_u32_e32 0x7f, v18
	s_cbranch_execz .LBB266_1375
; %bb.1372:                             ;   in Loop: Header=BB266_1062 Depth=1
	v_and_b32_e32 v8, 7, v26
	v_lshrrev_b32_e32 v4, 3, v18
	s_mov_b32 s16, exec_lo
	v_cmpx_gt_u32_e32 8, v18
; %bb.1373:                             ;   in Loop: Header=BB266_1062 Depth=1
	s_delay_alu instid0(VALU_DEP_3) | instskip(NEXT) | instid1(VALU_DEP_1)
	v_clz_i32_u32_e32 v4, v8
	v_min_u32_e32 v4, 32, v4
	s_delay_alu instid0(VALU_DEP_1) | instskip(SKIP_1) | instid1(VALU_DEP_2)
	v_subrev_nc_u32_e32 v5, 28, v4
	v_sub_nc_u32_e32 v4, 29, v4
	v_lshlrev_b64 v[18:19], v5, v[8:9]
	s_delay_alu instid0(VALU_DEP_1)
	v_and_b32_e32 v8, 7, v18
; %bb.1374:                             ;   in Loop: Header=BB266_1062 Depth=1
	s_or_b32 exec_lo, exec_lo, s16
	v_lshlrev_b32_e32 v5, 24, v26
	s_delay_alu instid0(VALU_DEP_2) | instskip(SKIP_1) | instid1(VALU_DEP_3)
	v_lshlrev_b32_e32 v8, 20, v8
	v_lshl_add_u32 v4, v4, 23, 0x3c000000
	v_and_b32_e32 v5, 0x80000000, v5
	s_delay_alu instid0(VALU_DEP_1) | instskip(NEXT) | instid1(VALU_DEP_1)
	v_or3_b32 v8, v8, v5, v4
	v_dual_mov_b32 v4, v8 :: v_dual_mov_b32 v5, v9
.LBB266_1375:                           ;   in Loop: Header=BB266_1062 Depth=1
	s_or_b32 exec_lo, exec_lo, s15
.LBB266_1376:                           ;   in Loop: Header=BB266_1062 Depth=1
	s_delay_alu instid0(SALU_CYCLE_1)
	s_or_b32 exec_lo, exec_lo, s13
.LBB266_1377:                           ;   in Loop: Header=BB266_1062 Depth=1
	s_delay_alu instid0(SALU_CYCLE_1) | instskip(SKIP_2) | instid1(VALU_DEP_1)
	s_or_b32 exec_lo, exec_lo, s10
	v_lshrrev_b16 v8, 8, v26
	s_mov_b32 s13, exec_lo
	v_cmpx_ne_u16_e32 0, v8
	s_cbranch_execz .LBB266_1385
; %bb.1378:                             ;   in Loop: Header=BB266_1062 Depth=1
	v_dual_mov_b32 v17, s9 :: v_dual_mov_b32 v16, s8
	s_mov_b32 s15, exec_lo
	v_cmpx_ne_u16_e32 0x80, v8
	s_cbranch_execz .LBB266_1384
; %bb.1379:                             ;   in Loop: Header=BB266_1062 Depth=1
	s_mov_b32 s10, s8
	v_dual_mov_b32 v17, s11 :: v_dual_and_b32 v8, 0xffff, v8
	v_mov_b32_e32 v16, s10
	s_mov_b32 s10, exec_lo
	s_delay_alu instid0(VALU_DEP_2) | instskip(NEXT) | instid1(VALU_DEP_1)
	v_and_b32_e32 v18, 0x7f, v8
	v_cmpx_ne_u32_e32 0x7f, v18
	s_cbranch_execz .LBB266_1383
; %bb.1380:                             ;   in Loop: Header=BB266_1062 Depth=1
	v_and_b32_e32 v8, 7, v8
	v_lshrrev_b32_e32 v16, 3, v18
	s_mov_b32 s16, exec_lo
	v_cmpx_gt_u32_e32 8, v18
; %bb.1381:                             ;   in Loop: Header=BB266_1062 Depth=1
	s_delay_alu instid0(VALU_DEP_3) | instskip(NEXT) | instid1(VALU_DEP_1)
	v_clz_i32_u32_e32 v16, v8
	v_min_u32_e32 v16, 32, v16
	s_delay_alu instid0(VALU_DEP_1) | instskip(SKIP_1) | instid1(VALU_DEP_2)
	v_subrev_nc_u32_e32 v17, 28, v16
	v_sub_nc_u32_e32 v16, 29, v16
	v_lshlrev_b64 v[17:18], v17, v[8:9]
	s_delay_alu instid0(VALU_DEP_1)
	v_and_b32_e32 v8, 7, v17
; %bb.1382:                             ;   in Loop: Header=BB266_1062 Depth=1
	s_or_b32 exec_lo, exec_lo, s16
	v_lshlrev_b32_e32 v17, 16, v26
	s_delay_alu instid0(VALU_DEP_2) | instskip(SKIP_1) | instid1(VALU_DEP_3)
	v_lshlrev_b32_e32 v8, 20, v8
	v_lshl_add_u32 v16, v16, 23, 0x3c000000
	v_and_b32_e32 v17, 0x80000000, v17
	s_delay_alu instid0(VALU_DEP_1)
	v_or3_b32 v17, v8, v17, v16
	v_mov_b32_e32 v16, v9
.LBB266_1383:                           ;   in Loop: Header=BB266_1062 Depth=1
	s_or_b32 exec_lo, exec_lo, s10
.LBB266_1384:                           ;   in Loop: Header=BB266_1062 Depth=1
	s_delay_alu instid0(SALU_CYCLE_1)
	s_or_b32 exec_lo, exec_lo, s15
.LBB266_1385:                           ;   in Loop: Header=BB266_1062 Depth=1
	s_delay_alu instid0(SALU_CYCLE_1) | instskip(SKIP_4) | instid1(VALU_DEP_2)
	s_or_b32 exec_lo, exec_lo, s13
	v_mov_b32_e32 v20, 0
	v_lshrrev_b32_e32 v86, 16, v26
	v_mov_b32_e32 v21, 0
	s_mov_b32 s10, exec_lo
	v_and_b32_e32 v8, 0xff, v86
	s_delay_alu instid0(VALU_DEP_2) | instskip(NEXT) | instid1(VALU_DEP_2)
	v_dual_mov_b32 v18, v20 :: v_dual_mov_b32 v19, v21
	v_cmpx_ne_u16_e32 0, v8
	s_cbranch_execz .LBB266_1393
; %bb.1386:                             ;   in Loop: Header=BB266_1062 Depth=1
	v_bfrev_b32_e32 v18, 1
	v_mov_b32_e32 v19, 0
	s_mov_b32 s13, exec_lo
	v_cmpx_ne_u16_e32 0x80, v8
	s_cbranch_execz .LBB266_1392
; %bb.1387:                             ;   in Loop: Header=BB266_1062 Depth=1
	v_mov_b32_e32 v18, 0x7f800001
	v_bfe_u32 v87, v26, 16, 7
	v_mov_b32_e32 v19, 0
	s_mov_b32 s15, exec_lo
	s_delay_alu instid0(VALU_DEP_2)
	v_cmpx_ne_u32_e32 0x7f, v87
	s_cbranch_execz .LBB266_1391
; %bb.1388:                             ;   in Loop: Header=BB266_1062 Depth=1
	v_and_b32_e32 v8, 7, v86
	v_lshrrev_b32_e32 v18, 3, v87
	s_mov_b32 s16, exec_lo
	v_cmpx_gt_u32_e32 8, v87
; %bb.1389:                             ;   in Loop: Header=BB266_1062 Depth=1
	s_delay_alu instid0(VALU_DEP_3) | instskip(NEXT) | instid1(VALU_DEP_1)
	v_clz_i32_u32_e32 v18, v8
	v_min_u32_e32 v18, 32, v18
	s_delay_alu instid0(VALU_DEP_1) | instskip(SKIP_1) | instid1(VALU_DEP_2)
	v_subrev_nc_u32_e32 v19, 28, v18
	v_sub_nc_u32_e32 v18, 29, v18
	v_lshlrev_b64 v[179:180], v19, v[8:9]
	s_delay_alu instid0(VALU_DEP_1)
	v_and_b32_e32 v8, 7, v179
; %bb.1390:                             ;   in Loop: Header=BB266_1062 Depth=1
	s_or_b32 exec_lo, exec_lo, s16
	v_lshlrev_b32_e32 v19, 24, v86
	s_delay_alu instid0(VALU_DEP_2) | instskip(SKIP_1) | instid1(VALU_DEP_3)
	v_lshlrev_b32_e32 v8, 20, v8
	v_lshl_add_u32 v18, v18, 23, 0x3c000000
	v_and_b32_e32 v19, 0x80000000, v19
	s_delay_alu instid0(VALU_DEP_1) | instskip(NEXT) | instid1(VALU_DEP_1)
	v_or3_b32 v8, v8, v19, v18
	v_dual_mov_b32 v19, v9 :: v_dual_mov_b32 v18, v8
.LBB266_1391:                           ;   in Loop: Header=BB266_1062 Depth=1
	s_or_b32 exec_lo, exec_lo, s15
.LBB266_1392:                           ;   in Loop: Header=BB266_1062 Depth=1
	s_delay_alu instid0(SALU_CYCLE_1)
	s_or_b32 exec_lo, exec_lo, s13
.LBB266_1393:                           ;   in Loop: Header=BB266_1062 Depth=1
	s_delay_alu instid0(SALU_CYCLE_1) | instskip(NEXT) | instid1(SALU_CYCLE_1)
	s_or_b32 exec_lo, exec_lo, s10
	s_mov_b32 s13, exec_lo
	v_cmpx_lt_u32_e32 0xffffff, v26
	s_cbranch_execz .LBB266_1401
; %bb.1394:                             ;   in Loop: Header=BB266_1062 Depth=1
	v_lshrrev_b32_e32 v86, 24, v26
	v_dual_mov_b32 v21, s9 :: v_dual_mov_b32 v20, s8
	s_mov_b32 s15, exec_lo
	s_delay_alu instid0(VALU_DEP_2)
	v_cmpx_ne_u32_e32 0x80, v86
	s_cbranch_execz .LBB266_1400
; %bb.1395:                             ;   in Loop: Header=BB266_1062 Depth=1
	s_mov_b32 s10, s8
	v_bfe_u32 v26, v26, 24, 7
	v_dual_mov_b32 v21, s11 :: v_dual_mov_b32 v20, s10
	s_mov_b32 s10, exec_lo
	s_delay_alu instid0(VALU_DEP_2)
	v_cmpx_ne_u32_e32 0x7f, v26
	s_cbranch_execz .LBB266_1399
; %bb.1396:                             ;   in Loop: Header=BB266_1062 Depth=1
	v_and_b32_e32 v8, 7, v86
	v_lshrrev_b32_e32 v20, 3, v26
	s_mov_b32 s16, exec_lo
	v_cmpx_gt_u32_e32 8, v26
; %bb.1397:                             ;   in Loop: Header=BB266_1062 Depth=1
	s_delay_alu instid0(VALU_DEP_3) | instskip(NEXT) | instid1(VALU_DEP_1)
	v_clz_i32_u32_e32 v20, v8
	v_min_u32_e32 v20, 32, v20
	s_delay_alu instid0(VALU_DEP_1) | instskip(SKIP_1) | instid1(VALU_DEP_2)
	v_subrev_nc_u32_e32 v21, 28, v20
	v_sub_nc_u32_e32 v20, 29, v20
	v_lshlrev_b64 v[179:180], v21, v[8:9]
	s_delay_alu instid0(VALU_DEP_1)
	v_and_b32_e32 v8, 7, v179
; %bb.1398:                             ;   in Loop: Header=BB266_1062 Depth=1
	s_or_b32 exec_lo, exec_lo, s16
	v_lshlrev_b32_e32 v21, 24, v86
	s_delay_alu instid0(VALU_DEP_2) | instskip(SKIP_1) | instid1(VALU_DEP_3)
	v_lshlrev_b32_e32 v8, 20, v8
	v_lshl_add_u32 v20, v20, 23, 0x3c000000
	v_and_b32_e32 v21, 0x80000000, v21
	s_delay_alu instid0(VALU_DEP_1)
	v_or3_b32 v21, v8, v21, v20
	v_mov_b32_e32 v20, v9
.LBB266_1399:                           ;   in Loop: Header=BB266_1062 Depth=1
	s_or_b32 exec_lo, exec_lo, s10
.LBB266_1400:                           ;   in Loop: Header=BB266_1062 Depth=1
	s_delay_alu instid0(SALU_CYCLE_1)
	s_or_b32 exec_lo, exec_lo, s15
.LBB266_1401:                           ;   in Loop: Header=BB266_1062 Depth=1
	s_delay_alu instid0(SALU_CYCLE_1) | instskip(SKIP_4) | instid1(VALU_DEP_4)
	s_or_b32 exec_lo, exec_lo, s13
	v_or_b32_e32 v5, v17, v5
	v_or_b32_e32 v4, v16, v4
	;; [unrolled: 1-line block ×4, first 2 shown]
	v_mul_f32_e32 v182, v102, v5
	s_delay_alu instid0(VALU_DEP_4) | instskip(NEXT) | instid1(VALU_DEP_4)
	v_mul_f32_e32 v181, v102, v4
	v_mul_f32_e32 v179, v102, v8
	s_delay_alu instid0(VALU_DEP_4)
	v_mul_f32_e32 v180, v102, v16
	s_and_saveexec_b32 s10, vcc_lo
; %bb.1402:                             ;   in Loop: Header=BB266_1062 Depth=1
	v_cmp_lt_i32_e64 s0, v115, v47
	s_delay_alu instid0(VALU_DEP_1) | instskip(SKIP_1) | instid1(VALU_DEP_1)
	v_cndmask_b32_e64 v181, 0, v181, s0
	v_cmp_lt_i32_e64 s0, v118, v47
	v_cndmask_b32_e64 v182, 0, v182, s0
	v_cmp_lt_i32_e64 s0, v117, v47
	s_delay_alu instid0(VALU_DEP_1) | instskip(SKIP_1) | instid1(VALU_DEP_1)
	v_cndmask_b32_e64 v180, 0, v180, s0
	v_cmp_lt_i32_e64 s0, v116, v47
	v_cndmask_b32_e64 v179, 0, v179, s0
; %bb.1403:                             ;   in Loop: Header=BB266_1062 Depth=1
	s_or_b32 exec_lo, exec_lo, s10
	flat_load_b32 v26, v[14:15] offset:1280
	v_mov_b32_e32 v16, 0
	v_mov_b32_e32 v17, 0
	s_mov_b32 s10, exec_lo
	s_waitcnt vmcnt(0) lgkmcnt(0)
	v_and_b32_e32 v8, 0xff, v26
	s_delay_alu instid0(VALU_DEP_2) | instskip(NEXT) | instid1(VALU_DEP_2)
	v_dual_mov_b32 v4, v16 :: v_dual_mov_b32 v5, v17
	v_cmpx_ne_u16_e32 0, v8
	s_cbranch_execz .LBB266_1411
; %bb.1404:                             ;   in Loop: Header=BB266_1062 Depth=1
	v_bfrev_b32_e32 v4, 1
	v_mov_b32_e32 v5, 0
	s_mov_b32 s13, exec_lo
	v_cmpx_ne_u16_e32 0x80, v8
	s_cbranch_execz .LBB266_1410
; %bb.1405:                             ;   in Loop: Header=BB266_1062 Depth=1
	v_mov_b32_e32 v4, 0x7f800001
	v_dual_mov_b32 v5, 0 :: v_dual_and_b32 v18, 0x7f, v26
	s_mov_b32 s15, exec_lo
	s_delay_alu instid0(VALU_DEP_1)
	v_cmpx_ne_u32_e32 0x7f, v18
	s_cbranch_execz .LBB266_1409
; %bb.1406:                             ;   in Loop: Header=BB266_1062 Depth=1
	v_and_b32_e32 v8, 7, v26
	v_lshrrev_b32_e32 v4, 3, v18
	s_mov_b32 s16, exec_lo
	v_cmpx_gt_u32_e32 8, v18
; %bb.1407:                             ;   in Loop: Header=BB266_1062 Depth=1
	s_delay_alu instid0(VALU_DEP_3) | instskip(NEXT) | instid1(VALU_DEP_1)
	v_clz_i32_u32_e32 v4, v8
	v_min_u32_e32 v4, 32, v4
	s_delay_alu instid0(VALU_DEP_1) | instskip(SKIP_1) | instid1(VALU_DEP_2)
	v_subrev_nc_u32_e32 v5, 28, v4
	v_sub_nc_u32_e32 v4, 29, v4
	v_lshlrev_b64 v[18:19], v5, v[8:9]
	s_delay_alu instid0(VALU_DEP_1)
	v_and_b32_e32 v8, 7, v18
; %bb.1408:                             ;   in Loop: Header=BB266_1062 Depth=1
	s_or_b32 exec_lo, exec_lo, s16
	v_lshlrev_b32_e32 v5, 24, v26
	s_delay_alu instid0(VALU_DEP_2) | instskip(SKIP_1) | instid1(VALU_DEP_3)
	v_lshlrev_b32_e32 v8, 20, v8
	v_lshl_add_u32 v4, v4, 23, 0x3c000000
	v_and_b32_e32 v5, 0x80000000, v5
	s_delay_alu instid0(VALU_DEP_1) | instskip(NEXT) | instid1(VALU_DEP_1)
	v_or3_b32 v8, v8, v5, v4
	v_dual_mov_b32 v4, v8 :: v_dual_mov_b32 v5, v9
.LBB266_1409:                           ;   in Loop: Header=BB266_1062 Depth=1
	s_or_b32 exec_lo, exec_lo, s15
.LBB266_1410:                           ;   in Loop: Header=BB266_1062 Depth=1
	s_delay_alu instid0(SALU_CYCLE_1)
	s_or_b32 exec_lo, exec_lo, s13
.LBB266_1411:                           ;   in Loop: Header=BB266_1062 Depth=1
	s_delay_alu instid0(SALU_CYCLE_1) | instskip(SKIP_2) | instid1(VALU_DEP_1)
	s_or_b32 exec_lo, exec_lo, s10
	v_lshrrev_b16 v8, 8, v26
	s_mov_b32 s13, exec_lo
	v_cmpx_ne_u16_e32 0, v8
	s_cbranch_execz .LBB266_1419
; %bb.1412:                             ;   in Loop: Header=BB266_1062 Depth=1
	v_dual_mov_b32 v17, s9 :: v_dual_mov_b32 v16, s8
	s_mov_b32 s15, exec_lo
	v_cmpx_ne_u16_e32 0x80, v8
	s_cbranch_execz .LBB266_1418
; %bb.1413:                             ;   in Loop: Header=BB266_1062 Depth=1
	s_mov_b32 s10, s8
	v_dual_mov_b32 v17, s11 :: v_dual_and_b32 v8, 0xffff, v8
	v_mov_b32_e32 v16, s10
	s_mov_b32 s10, exec_lo
	s_delay_alu instid0(VALU_DEP_2) | instskip(NEXT) | instid1(VALU_DEP_1)
	v_and_b32_e32 v18, 0x7f, v8
	v_cmpx_ne_u32_e32 0x7f, v18
	s_cbranch_execz .LBB266_1417
; %bb.1414:                             ;   in Loop: Header=BB266_1062 Depth=1
	v_and_b32_e32 v8, 7, v8
	v_lshrrev_b32_e32 v16, 3, v18
	s_mov_b32 s16, exec_lo
	v_cmpx_gt_u32_e32 8, v18
; %bb.1415:                             ;   in Loop: Header=BB266_1062 Depth=1
	s_delay_alu instid0(VALU_DEP_3) | instskip(NEXT) | instid1(VALU_DEP_1)
	v_clz_i32_u32_e32 v16, v8
	v_min_u32_e32 v16, 32, v16
	s_delay_alu instid0(VALU_DEP_1) | instskip(SKIP_1) | instid1(VALU_DEP_2)
	v_subrev_nc_u32_e32 v17, 28, v16
	v_sub_nc_u32_e32 v16, 29, v16
	v_lshlrev_b64 v[17:18], v17, v[8:9]
	s_delay_alu instid0(VALU_DEP_1)
	v_and_b32_e32 v8, 7, v17
; %bb.1416:                             ;   in Loop: Header=BB266_1062 Depth=1
	s_or_b32 exec_lo, exec_lo, s16
	v_lshlrev_b32_e32 v17, 16, v26
	s_delay_alu instid0(VALU_DEP_2) | instskip(SKIP_1) | instid1(VALU_DEP_3)
	v_lshlrev_b32_e32 v8, 20, v8
	v_lshl_add_u32 v16, v16, 23, 0x3c000000
	v_and_b32_e32 v17, 0x80000000, v17
	s_delay_alu instid0(VALU_DEP_1)
	v_or3_b32 v17, v8, v17, v16
	v_mov_b32_e32 v16, v9
.LBB266_1417:                           ;   in Loop: Header=BB266_1062 Depth=1
	s_or_b32 exec_lo, exec_lo, s10
.LBB266_1418:                           ;   in Loop: Header=BB266_1062 Depth=1
	s_delay_alu instid0(SALU_CYCLE_1)
	s_or_b32 exec_lo, exec_lo, s15
.LBB266_1419:                           ;   in Loop: Header=BB266_1062 Depth=1
	s_delay_alu instid0(SALU_CYCLE_1) | instskip(SKIP_4) | instid1(VALU_DEP_2)
	s_or_b32 exec_lo, exec_lo, s13
	v_mov_b32_e32 v20, 0
	v_lshrrev_b32_e32 v86, 16, v26
	v_mov_b32_e32 v21, 0
	s_mov_b32 s10, exec_lo
	v_and_b32_e32 v8, 0xff, v86
	s_delay_alu instid0(VALU_DEP_2) | instskip(NEXT) | instid1(VALU_DEP_2)
	v_dual_mov_b32 v18, v20 :: v_dual_mov_b32 v19, v21
	v_cmpx_ne_u16_e32 0, v8
	s_cbranch_execz .LBB266_1427
; %bb.1420:                             ;   in Loop: Header=BB266_1062 Depth=1
	v_bfrev_b32_e32 v18, 1
	v_mov_b32_e32 v19, 0
	s_mov_b32 s13, exec_lo
	v_cmpx_ne_u16_e32 0x80, v8
	s_cbranch_execz .LBB266_1426
; %bb.1421:                             ;   in Loop: Header=BB266_1062 Depth=1
	v_mov_b32_e32 v18, 0x7f800001
	v_bfe_u32 v87, v26, 16, 7
	v_mov_b32_e32 v19, 0
	s_mov_b32 s15, exec_lo
	s_delay_alu instid0(VALU_DEP_2)
	v_cmpx_ne_u32_e32 0x7f, v87
	s_cbranch_execz .LBB266_1425
; %bb.1422:                             ;   in Loop: Header=BB266_1062 Depth=1
	v_and_b32_e32 v8, 7, v86
	v_lshrrev_b32_e32 v18, 3, v87
	s_mov_b32 s16, exec_lo
	v_cmpx_gt_u32_e32 8, v87
; %bb.1423:                             ;   in Loop: Header=BB266_1062 Depth=1
	s_delay_alu instid0(VALU_DEP_3) | instskip(NEXT) | instid1(VALU_DEP_1)
	v_clz_i32_u32_e32 v18, v8
	v_min_u32_e32 v18, 32, v18
	s_delay_alu instid0(VALU_DEP_1) | instskip(SKIP_1) | instid1(VALU_DEP_2)
	v_subrev_nc_u32_e32 v19, 28, v18
	v_sub_nc_u32_e32 v18, 29, v18
	v_lshlrev_b64 v[40:41], v19, v[8:9]
	s_delay_alu instid0(VALU_DEP_1)
	v_and_b32_e32 v8, 7, v40
; %bb.1424:                             ;   in Loop: Header=BB266_1062 Depth=1
	s_or_b32 exec_lo, exec_lo, s16
	v_lshlrev_b32_e32 v19, 24, v86
	s_delay_alu instid0(VALU_DEP_2) | instskip(SKIP_1) | instid1(VALU_DEP_3)
	v_lshlrev_b32_e32 v8, 20, v8
	v_lshl_add_u32 v18, v18, 23, 0x3c000000
	v_and_b32_e32 v19, 0x80000000, v19
	s_delay_alu instid0(VALU_DEP_1) | instskip(NEXT) | instid1(VALU_DEP_1)
	v_or3_b32 v8, v8, v19, v18
	v_dual_mov_b32 v19, v9 :: v_dual_mov_b32 v18, v8
.LBB266_1425:                           ;   in Loop: Header=BB266_1062 Depth=1
	s_or_b32 exec_lo, exec_lo, s15
.LBB266_1426:                           ;   in Loop: Header=BB266_1062 Depth=1
	s_delay_alu instid0(SALU_CYCLE_1)
	s_or_b32 exec_lo, exec_lo, s13
.LBB266_1427:                           ;   in Loop: Header=BB266_1062 Depth=1
	s_delay_alu instid0(SALU_CYCLE_1) | instskip(NEXT) | instid1(SALU_CYCLE_1)
	s_or_b32 exec_lo, exec_lo, s10
	s_mov_b32 s13, exec_lo
	v_cmpx_lt_u32_e32 0xffffff, v26
	s_cbranch_execz .LBB266_1435
; %bb.1428:                             ;   in Loop: Header=BB266_1062 Depth=1
	v_lshrrev_b32_e32 v86, 24, v26
	v_dual_mov_b32 v21, s9 :: v_dual_mov_b32 v20, s8
	s_mov_b32 s15, exec_lo
	s_delay_alu instid0(VALU_DEP_2)
	v_cmpx_ne_u32_e32 0x80, v86
	s_cbranch_execz .LBB266_1434
; %bb.1429:                             ;   in Loop: Header=BB266_1062 Depth=1
	s_mov_b32 s10, s8
	v_bfe_u32 v26, v26, 24, 7
	v_dual_mov_b32 v21, s11 :: v_dual_mov_b32 v20, s10
	s_mov_b32 s10, exec_lo
	s_delay_alu instid0(VALU_DEP_2)
	v_cmpx_ne_u32_e32 0x7f, v26
	s_cbranch_execz .LBB266_1433
; %bb.1430:                             ;   in Loop: Header=BB266_1062 Depth=1
	v_and_b32_e32 v8, 7, v86
	v_lshrrev_b32_e32 v20, 3, v26
	s_mov_b32 s16, exec_lo
	v_cmpx_gt_u32_e32 8, v26
; %bb.1431:                             ;   in Loop: Header=BB266_1062 Depth=1
	s_delay_alu instid0(VALU_DEP_3) | instskip(NEXT) | instid1(VALU_DEP_1)
	v_clz_i32_u32_e32 v20, v8
	v_min_u32_e32 v20, 32, v20
	s_delay_alu instid0(VALU_DEP_1) | instskip(SKIP_1) | instid1(VALU_DEP_2)
	v_subrev_nc_u32_e32 v21, 28, v20
	v_sub_nc_u32_e32 v20, 29, v20
	v_lshlrev_b64 v[40:41], v21, v[8:9]
	s_delay_alu instid0(VALU_DEP_1)
	v_and_b32_e32 v8, 7, v40
; %bb.1432:                             ;   in Loop: Header=BB266_1062 Depth=1
	s_or_b32 exec_lo, exec_lo, s16
	v_lshlrev_b32_e32 v21, 24, v86
	s_delay_alu instid0(VALU_DEP_2) | instskip(SKIP_1) | instid1(VALU_DEP_3)
	v_lshlrev_b32_e32 v8, 20, v8
	v_lshl_add_u32 v20, v20, 23, 0x3c000000
	v_and_b32_e32 v21, 0x80000000, v21
	s_delay_alu instid0(VALU_DEP_1)
	v_or3_b32 v21, v8, v21, v20
	v_mov_b32_e32 v20, v9
.LBB266_1433:                           ;   in Loop: Header=BB266_1062 Depth=1
	s_or_b32 exec_lo, exec_lo, s10
.LBB266_1434:                           ;   in Loop: Header=BB266_1062 Depth=1
	s_delay_alu instid0(SALU_CYCLE_1)
	s_or_b32 exec_lo, exec_lo, s15
.LBB266_1435:                           ;   in Loop: Header=BB266_1062 Depth=1
	s_delay_alu instid0(SALU_CYCLE_1) | instskip(SKIP_4) | instid1(VALU_DEP_4)
	s_or_b32 exec_lo, exec_lo, s13
	v_or_b32_e32 v5, v17, v5
	v_or_b32_e32 v4, v16, v4
	;; [unrolled: 1-line block ×4, first 2 shown]
	v_mul_f32_e32 v42, v102, v5
	s_delay_alu instid0(VALU_DEP_4) | instskip(NEXT) | instid1(VALU_DEP_4)
	v_mul_f32_e32 v41, v102, v4
	v_mul_f32_e32 v183, v102, v8
	s_delay_alu instid0(VALU_DEP_4)
	v_mul_f32_e32 v40, v102, v16
	s_and_saveexec_b32 s10, vcc_lo
; %bb.1436:                             ;   in Loop: Header=BB266_1062 Depth=1
	v_cmp_lt_i32_e64 s0, v115, v47
	s_delay_alu instid0(VALU_DEP_1) | instskip(SKIP_1) | instid1(VALU_DEP_1)
	v_cndmask_b32_e64 v41, 0, v41, s0
	v_cmp_lt_i32_e64 s0, v118, v47
	v_cndmask_b32_e64 v42, 0, v42, s0
	v_cmp_lt_i32_e64 s0, v117, v47
	s_delay_alu instid0(VALU_DEP_1) | instskip(SKIP_1) | instid1(VALU_DEP_1)
	v_cndmask_b32_e64 v40, 0, v40, s0
	v_cmp_lt_i32_e64 s0, v116, v47
	v_cndmask_b32_e64 v183, 0, v183, s0
; %bb.1437:                             ;   in Loop: Header=BB266_1062 Depth=1
	s_or_b32 exec_lo, exec_lo, s10
	flat_load_b32 v26, v[14:15] offset:1408
	v_mov_b32_e32 v16, 0
	v_mov_b32_e32 v17, 0
	s_mov_b32 s10, exec_lo
	s_waitcnt vmcnt(0) lgkmcnt(0)
	v_and_b32_e32 v8, 0xff, v26
	s_delay_alu instid0(VALU_DEP_2) | instskip(NEXT) | instid1(VALU_DEP_2)
	v_dual_mov_b32 v4, v16 :: v_dual_mov_b32 v5, v17
	v_cmpx_ne_u16_e32 0, v8
	s_cbranch_execz .LBB266_1445
; %bb.1438:                             ;   in Loop: Header=BB266_1062 Depth=1
	v_bfrev_b32_e32 v4, 1
	v_mov_b32_e32 v5, 0
	s_mov_b32 s13, exec_lo
	v_cmpx_ne_u16_e32 0x80, v8
	s_cbranch_execz .LBB266_1444
; %bb.1439:                             ;   in Loop: Header=BB266_1062 Depth=1
	v_mov_b32_e32 v4, 0x7f800001
	v_dual_mov_b32 v5, 0 :: v_dual_and_b32 v18, 0x7f, v26
	s_mov_b32 s15, exec_lo
	s_delay_alu instid0(VALU_DEP_1)
	v_cmpx_ne_u32_e32 0x7f, v18
	s_cbranch_execz .LBB266_1443
; %bb.1440:                             ;   in Loop: Header=BB266_1062 Depth=1
	v_and_b32_e32 v8, 7, v26
	v_lshrrev_b32_e32 v4, 3, v18
	s_mov_b32 s16, exec_lo
	v_cmpx_gt_u32_e32 8, v18
; %bb.1441:                             ;   in Loop: Header=BB266_1062 Depth=1
	s_delay_alu instid0(VALU_DEP_3) | instskip(NEXT) | instid1(VALU_DEP_1)
	v_clz_i32_u32_e32 v4, v8
	v_min_u32_e32 v4, 32, v4
	s_delay_alu instid0(VALU_DEP_1) | instskip(SKIP_1) | instid1(VALU_DEP_2)
	v_subrev_nc_u32_e32 v5, 28, v4
	v_sub_nc_u32_e32 v4, 29, v4
	v_lshlrev_b64 v[18:19], v5, v[8:9]
	s_delay_alu instid0(VALU_DEP_1)
	v_and_b32_e32 v8, 7, v18
; %bb.1442:                             ;   in Loop: Header=BB266_1062 Depth=1
	s_or_b32 exec_lo, exec_lo, s16
	v_lshlrev_b32_e32 v5, 24, v26
	s_delay_alu instid0(VALU_DEP_2) | instskip(SKIP_1) | instid1(VALU_DEP_3)
	v_lshlrev_b32_e32 v8, 20, v8
	v_lshl_add_u32 v4, v4, 23, 0x3c000000
	v_and_b32_e32 v5, 0x80000000, v5
	s_delay_alu instid0(VALU_DEP_1) | instskip(NEXT) | instid1(VALU_DEP_1)
	v_or3_b32 v8, v8, v5, v4
	v_dual_mov_b32 v4, v8 :: v_dual_mov_b32 v5, v9
.LBB266_1443:                           ;   in Loop: Header=BB266_1062 Depth=1
	s_or_b32 exec_lo, exec_lo, s15
.LBB266_1444:                           ;   in Loop: Header=BB266_1062 Depth=1
	s_delay_alu instid0(SALU_CYCLE_1)
	s_or_b32 exec_lo, exec_lo, s13
.LBB266_1445:                           ;   in Loop: Header=BB266_1062 Depth=1
	s_delay_alu instid0(SALU_CYCLE_1) | instskip(SKIP_2) | instid1(VALU_DEP_1)
	s_or_b32 exec_lo, exec_lo, s10
	v_lshrrev_b16 v8, 8, v26
	s_mov_b32 s13, exec_lo
	v_cmpx_ne_u16_e32 0, v8
	s_cbranch_execz .LBB266_1453
; %bb.1446:                             ;   in Loop: Header=BB266_1062 Depth=1
	v_dual_mov_b32 v17, s9 :: v_dual_mov_b32 v16, s8
	s_mov_b32 s15, exec_lo
	v_cmpx_ne_u16_e32 0x80, v8
	s_cbranch_execz .LBB266_1452
; %bb.1447:                             ;   in Loop: Header=BB266_1062 Depth=1
	s_mov_b32 s10, s8
	v_dual_mov_b32 v17, s11 :: v_dual_and_b32 v8, 0xffff, v8
	v_mov_b32_e32 v16, s10
	s_mov_b32 s10, exec_lo
	s_delay_alu instid0(VALU_DEP_2) | instskip(NEXT) | instid1(VALU_DEP_1)
	v_and_b32_e32 v18, 0x7f, v8
	v_cmpx_ne_u32_e32 0x7f, v18
	s_cbranch_execz .LBB266_1451
; %bb.1448:                             ;   in Loop: Header=BB266_1062 Depth=1
	v_and_b32_e32 v8, 7, v8
	v_lshrrev_b32_e32 v16, 3, v18
	s_mov_b32 s16, exec_lo
	v_cmpx_gt_u32_e32 8, v18
; %bb.1449:                             ;   in Loop: Header=BB266_1062 Depth=1
	s_delay_alu instid0(VALU_DEP_3) | instskip(NEXT) | instid1(VALU_DEP_1)
	v_clz_i32_u32_e32 v16, v8
	v_min_u32_e32 v16, 32, v16
	s_delay_alu instid0(VALU_DEP_1) | instskip(SKIP_1) | instid1(VALU_DEP_2)
	v_subrev_nc_u32_e32 v17, 28, v16
	v_sub_nc_u32_e32 v16, 29, v16
	v_lshlrev_b64 v[17:18], v17, v[8:9]
	s_delay_alu instid0(VALU_DEP_1)
	v_and_b32_e32 v8, 7, v17
; %bb.1450:                             ;   in Loop: Header=BB266_1062 Depth=1
	s_or_b32 exec_lo, exec_lo, s16
	v_lshlrev_b32_e32 v17, 16, v26
	s_delay_alu instid0(VALU_DEP_2) | instskip(SKIP_1) | instid1(VALU_DEP_3)
	v_lshlrev_b32_e32 v8, 20, v8
	v_lshl_add_u32 v16, v16, 23, 0x3c000000
	v_and_b32_e32 v17, 0x80000000, v17
	s_delay_alu instid0(VALU_DEP_1)
	v_or3_b32 v17, v8, v17, v16
	v_mov_b32_e32 v16, v9
.LBB266_1451:                           ;   in Loop: Header=BB266_1062 Depth=1
	s_or_b32 exec_lo, exec_lo, s10
.LBB266_1452:                           ;   in Loop: Header=BB266_1062 Depth=1
	s_delay_alu instid0(SALU_CYCLE_1)
	s_or_b32 exec_lo, exec_lo, s15
.LBB266_1453:                           ;   in Loop: Header=BB266_1062 Depth=1
	s_delay_alu instid0(SALU_CYCLE_1) | instskip(SKIP_4) | instid1(VALU_DEP_2)
	s_or_b32 exec_lo, exec_lo, s13
	v_mov_b32_e32 v20, 0
	v_lshrrev_b32_e32 v86, 16, v26
	v_mov_b32_e32 v21, 0
	s_mov_b32 s10, exec_lo
	v_and_b32_e32 v8, 0xff, v86
	s_delay_alu instid0(VALU_DEP_2) | instskip(NEXT) | instid1(VALU_DEP_2)
	v_dual_mov_b32 v18, v20 :: v_dual_mov_b32 v19, v21
	v_cmpx_ne_u16_e32 0, v8
	s_cbranch_execz .LBB266_1461
; %bb.1454:                             ;   in Loop: Header=BB266_1062 Depth=1
	v_bfrev_b32_e32 v18, 1
	v_mov_b32_e32 v19, 0
	s_mov_b32 s13, exec_lo
	v_cmpx_ne_u16_e32 0x80, v8
	s_cbranch_execz .LBB266_1460
; %bb.1455:                             ;   in Loop: Header=BB266_1062 Depth=1
	v_mov_b32_e32 v18, 0x7f800001
	v_bfe_u32 v87, v26, 16, 7
	v_mov_b32_e32 v19, 0
	s_mov_b32 s15, exec_lo
	s_delay_alu instid0(VALU_DEP_2)
	v_cmpx_ne_u32_e32 0x7f, v87
	s_cbranch_execz .LBB266_1459
; %bb.1456:                             ;   in Loop: Header=BB266_1062 Depth=1
	v_and_b32_e32 v8, 7, v86
	v_lshrrev_b32_e32 v18, 3, v87
	s_mov_b32 s16, exec_lo
	v_cmpx_gt_u32_e32 8, v87
; %bb.1457:                             ;   in Loop: Header=BB266_1062 Depth=1
	s_delay_alu instid0(VALU_DEP_3) | instskip(NEXT) | instid1(VALU_DEP_1)
	v_clz_i32_u32_e32 v18, v8
	v_min_u32_e32 v18, 32, v18
	s_delay_alu instid0(VALU_DEP_1) | instskip(SKIP_1) | instid1(VALU_DEP_2)
	v_subrev_nc_u32_e32 v19, 28, v18
	v_sub_nc_u32_e32 v18, 29, v18
	v_lshlrev_b64 v[43:44], v19, v[8:9]
	s_delay_alu instid0(VALU_DEP_1)
	v_and_b32_e32 v8, 7, v43
; %bb.1458:                             ;   in Loop: Header=BB266_1062 Depth=1
	s_or_b32 exec_lo, exec_lo, s16
	v_lshlrev_b32_e32 v19, 24, v86
	s_delay_alu instid0(VALU_DEP_2) | instskip(SKIP_1) | instid1(VALU_DEP_3)
	v_lshlrev_b32_e32 v8, 20, v8
	v_lshl_add_u32 v18, v18, 23, 0x3c000000
	v_and_b32_e32 v19, 0x80000000, v19
	s_delay_alu instid0(VALU_DEP_1) | instskip(NEXT) | instid1(VALU_DEP_1)
	v_or3_b32 v8, v8, v19, v18
	v_dual_mov_b32 v19, v9 :: v_dual_mov_b32 v18, v8
.LBB266_1459:                           ;   in Loop: Header=BB266_1062 Depth=1
	s_or_b32 exec_lo, exec_lo, s15
.LBB266_1460:                           ;   in Loop: Header=BB266_1062 Depth=1
	s_delay_alu instid0(SALU_CYCLE_1)
	s_or_b32 exec_lo, exec_lo, s13
.LBB266_1461:                           ;   in Loop: Header=BB266_1062 Depth=1
	s_delay_alu instid0(SALU_CYCLE_1) | instskip(NEXT) | instid1(SALU_CYCLE_1)
	s_or_b32 exec_lo, exec_lo, s10
	s_mov_b32 s13, exec_lo
	v_cmpx_lt_u32_e32 0xffffff, v26
	s_cbranch_execz .LBB266_1469
; %bb.1462:                             ;   in Loop: Header=BB266_1062 Depth=1
	v_lshrrev_b32_e32 v86, 24, v26
	v_dual_mov_b32 v21, s9 :: v_dual_mov_b32 v20, s8
	s_mov_b32 s15, exec_lo
	s_delay_alu instid0(VALU_DEP_2)
	v_cmpx_ne_u32_e32 0x80, v86
	s_cbranch_execz .LBB266_1468
; %bb.1463:                             ;   in Loop: Header=BB266_1062 Depth=1
	s_mov_b32 s10, s8
	v_bfe_u32 v26, v26, 24, 7
	v_dual_mov_b32 v21, s11 :: v_dual_mov_b32 v20, s10
	s_mov_b32 s10, exec_lo
	s_delay_alu instid0(VALU_DEP_2)
	v_cmpx_ne_u32_e32 0x7f, v26
	s_cbranch_execz .LBB266_1467
; %bb.1464:                             ;   in Loop: Header=BB266_1062 Depth=1
	v_and_b32_e32 v8, 7, v86
	v_lshrrev_b32_e32 v20, 3, v26
	s_mov_b32 s16, exec_lo
	v_cmpx_gt_u32_e32 8, v26
; %bb.1465:                             ;   in Loop: Header=BB266_1062 Depth=1
	s_delay_alu instid0(VALU_DEP_3) | instskip(NEXT) | instid1(VALU_DEP_1)
	v_clz_i32_u32_e32 v20, v8
	v_min_u32_e32 v20, 32, v20
	s_delay_alu instid0(VALU_DEP_1) | instskip(SKIP_1) | instid1(VALU_DEP_2)
	v_subrev_nc_u32_e32 v21, 28, v20
	v_sub_nc_u32_e32 v20, 29, v20
	v_lshlrev_b64 v[43:44], v21, v[8:9]
	s_delay_alu instid0(VALU_DEP_1)
	v_and_b32_e32 v8, 7, v43
; %bb.1466:                             ;   in Loop: Header=BB266_1062 Depth=1
	s_or_b32 exec_lo, exec_lo, s16
	v_lshlrev_b32_e32 v21, 24, v86
	s_delay_alu instid0(VALU_DEP_2) | instskip(SKIP_1) | instid1(VALU_DEP_3)
	v_lshlrev_b32_e32 v8, 20, v8
	v_lshl_add_u32 v20, v20, 23, 0x3c000000
	v_and_b32_e32 v21, 0x80000000, v21
	s_delay_alu instid0(VALU_DEP_1)
	v_or3_b32 v21, v8, v21, v20
	v_mov_b32_e32 v20, v9
.LBB266_1467:                           ;   in Loop: Header=BB266_1062 Depth=1
	s_or_b32 exec_lo, exec_lo, s10
.LBB266_1468:                           ;   in Loop: Header=BB266_1062 Depth=1
	s_delay_alu instid0(SALU_CYCLE_1)
	s_or_b32 exec_lo, exec_lo, s15
.LBB266_1469:                           ;   in Loop: Header=BB266_1062 Depth=1
	s_delay_alu instid0(SALU_CYCLE_1) | instskip(SKIP_4) | instid1(VALU_DEP_4)
	s_or_b32 exec_lo, exec_lo, s13
	v_or_b32_e32 v5, v17, v5
	v_or_b32_e32 v4, v16, v4
	;; [unrolled: 1-line block ×4, first 2 shown]
	v_mul_f32_e32 v46, v102, v5
	s_delay_alu instid0(VALU_DEP_4) | instskip(NEXT) | instid1(VALU_DEP_4)
	v_mul_f32_e32 v45, v102, v4
	v_mul_f32_e32 v43, v102, v8
	s_delay_alu instid0(VALU_DEP_4)
	v_mul_f32_e32 v44, v102, v16
	s_and_saveexec_b32 s10, vcc_lo
; %bb.1470:                             ;   in Loop: Header=BB266_1062 Depth=1
	v_cmp_lt_i32_e64 s0, v115, v47
	s_delay_alu instid0(VALU_DEP_1) | instskip(SKIP_1) | instid1(VALU_DEP_1)
	v_cndmask_b32_e64 v45, 0, v45, s0
	v_cmp_lt_i32_e64 s0, v118, v47
	v_cndmask_b32_e64 v46, 0, v46, s0
	v_cmp_lt_i32_e64 s0, v117, v47
	s_delay_alu instid0(VALU_DEP_1) | instskip(SKIP_1) | instid1(VALU_DEP_1)
	v_cndmask_b32_e64 v44, 0, v44, s0
	v_cmp_lt_i32_e64 s0, v116, v47
	v_cndmask_b32_e64 v43, 0, v43, s0
; %bb.1471:                             ;   in Loop: Header=BB266_1062 Depth=1
	s_or_b32 exec_lo, exec_lo, s10
	flat_load_b32 v26, v[14:15] offset:1536
	v_mov_b32_e32 v16, 0
	v_mov_b32_e32 v17, 0
	s_mov_b32 s10, exec_lo
	s_waitcnt vmcnt(0) lgkmcnt(0)
	v_and_b32_e32 v8, 0xff, v26
	s_delay_alu instid0(VALU_DEP_2) | instskip(NEXT) | instid1(VALU_DEP_2)
	v_dual_mov_b32 v4, v16 :: v_dual_mov_b32 v5, v17
	v_cmpx_ne_u16_e32 0, v8
	s_cbranch_execz .LBB266_1479
; %bb.1472:                             ;   in Loop: Header=BB266_1062 Depth=1
	v_bfrev_b32_e32 v4, 1
	v_mov_b32_e32 v5, 0
	s_mov_b32 s13, exec_lo
	v_cmpx_ne_u16_e32 0x80, v8
	s_cbranch_execz .LBB266_1478
; %bb.1473:                             ;   in Loop: Header=BB266_1062 Depth=1
	v_mov_b32_e32 v4, 0x7f800001
	v_dual_mov_b32 v5, 0 :: v_dual_and_b32 v18, 0x7f, v26
	s_mov_b32 s15, exec_lo
	s_delay_alu instid0(VALU_DEP_1)
	v_cmpx_ne_u32_e32 0x7f, v18
	s_cbranch_execz .LBB266_1477
; %bb.1474:                             ;   in Loop: Header=BB266_1062 Depth=1
	v_and_b32_e32 v8, 7, v26
	v_lshrrev_b32_e32 v4, 3, v18
	s_mov_b32 s16, exec_lo
	v_cmpx_gt_u32_e32 8, v18
; %bb.1475:                             ;   in Loop: Header=BB266_1062 Depth=1
	s_delay_alu instid0(VALU_DEP_3) | instskip(NEXT) | instid1(VALU_DEP_1)
	v_clz_i32_u32_e32 v4, v8
	v_min_u32_e32 v4, 32, v4
	s_delay_alu instid0(VALU_DEP_1) | instskip(SKIP_1) | instid1(VALU_DEP_2)
	v_subrev_nc_u32_e32 v5, 28, v4
	v_sub_nc_u32_e32 v4, 29, v4
	v_lshlrev_b64 v[18:19], v5, v[8:9]
	s_delay_alu instid0(VALU_DEP_1)
	v_and_b32_e32 v8, 7, v18
; %bb.1476:                             ;   in Loop: Header=BB266_1062 Depth=1
	s_or_b32 exec_lo, exec_lo, s16
	v_lshlrev_b32_e32 v5, 24, v26
	s_delay_alu instid0(VALU_DEP_2) | instskip(SKIP_1) | instid1(VALU_DEP_3)
	v_lshlrev_b32_e32 v8, 20, v8
	v_lshl_add_u32 v4, v4, 23, 0x3c000000
	v_and_b32_e32 v5, 0x80000000, v5
	s_delay_alu instid0(VALU_DEP_1) | instskip(NEXT) | instid1(VALU_DEP_1)
	v_or3_b32 v8, v8, v5, v4
	v_dual_mov_b32 v4, v8 :: v_dual_mov_b32 v5, v9
.LBB266_1477:                           ;   in Loop: Header=BB266_1062 Depth=1
	s_or_b32 exec_lo, exec_lo, s15
.LBB266_1478:                           ;   in Loop: Header=BB266_1062 Depth=1
	s_delay_alu instid0(SALU_CYCLE_1)
	s_or_b32 exec_lo, exec_lo, s13
.LBB266_1479:                           ;   in Loop: Header=BB266_1062 Depth=1
	s_delay_alu instid0(SALU_CYCLE_1) | instskip(SKIP_2) | instid1(VALU_DEP_1)
	s_or_b32 exec_lo, exec_lo, s10
	v_lshrrev_b16 v8, 8, v26
	s_mov_b32 s13, exec_lo
	v_cmpx_ne_u16_e32 0, v8
	s_cbranch_execz .LBB266_1487
; %bb.1480:                             ;   in Loop: Header=BB266_1062 Depth=1
	v_dual_mov_b32 v17, s9 :: v_dual_mov_b32 v16, s8
	s_mov_b32 s15, exec_lo
	v_cmpx_ne_u16_e32 0x80, v8
	s_cbranch_execz .LBB266_1486
; %bb.1481:                             ;   in Loop: Header=BB266_1062 Depth=1
	s_mov_b32 s10, s8
	v_dual_mov_b32 v17, s11 :: v_dual_and_b32 v8, 0xffff, v8
	v_mov_b32_e32 v16, s10
	s_mov_b32 s10, exec_lo
	s_delay_alu instid0(VALU_DEP_2) | instskip(NEXT) | instid1(VALU_DEP_1)
	v_and_b32_e32 v18, 0x7f, v8
	v_cmpx_ne_u32_e32 0x7f, v18
	s_cbranch_execz .LBB266_1485
; %bb.1482:                             ;   in Loop: Header=BB266_1062 Depth=1
	v_and_b32_e32 v8, 7, v8
	v_lshrrev_b32_e32 v16, 3, v18
	s_mov_b32 s16, exec_lo
	v_cmpx_gt_u32_e32 8, v18
; %bb.1483:                             ;   in Loop: Header=BB266_1062 Depth=1
	s_delay_alu instid0(VALU_DEP_3) | instskip(NEXT) | instid1(VALU_DEP_1)
	v_clz_i32_u32_e32 v16, v8
	v_min_u32_e32 v16, 32, v16
	s_delay_alu instid0(VALU_DEP_1) | instskip(SKIP_1) | instid1(VALU_DEP_2)
	v_subrev_nc_u32_e32 v17, 28, v16
	v_sub_nc_u32_e32 v16, 29, v16
	v_lshlrev_b64 v[17:18], v17, v[8:9]
	s_delay_alu instid0(VALU_DEP_1)
	v_and_b32_e32 v8, 7, v17
; %bb.1484:                             ;   in Loop: Header=BB266_1062 Depth=1
	s_or_b32 exec_lo, exec_lo, s16
	v_lshlrev_b32_e32 v17, 16, v26
	s_delay_alu instid0(VALU_DEP_2) | instskip(SKIP_1) | instid1(VALU_DEP_3)
	v_lshlrev_b32_e32 v8, 20, v8
	v_lshl_add_u32 v16, v16, 23, 0x3c000000
	v_and_b32_e32 v17, 0x80000000, v17
	s_delay_alu instid0(VALU_DEP_1)
	v_or3_b32 v17, v8, v17, v16
	v_mov_b32_e32 v16, v9
.LBB266_1485:                           ;   in Loop: Header=BB266_1062 Depth=1
	s_or_b32 exec_lo, exec_lo, s10
.LBB266_1486:                           ;   in Loop: Header=BB266_1062 Depth=1
	s_delay_alu instid0(SALU_CYCLE_1)
	s_or_b32 exec_lo, exec_lo, s15
.LBB266_1487:                           ;   in Loop: Header=BB266_1062 Depth=1
	s_delay_alu instid0(SALU_CYCLE_1) | instskip(SKIP_4) | instid1(VALU_DEP_2)
	s_or_b32 exec_lo, exec_lo, s13
	v_mov_b32_e32 v20, 0
	v_lshrrev_b32_e32 v86, 16, v26
	v_mov_b32_e32 v21, 0
	s_mov_b32 s10, exec_lo
	v_and_b32_e32 v8, 0xff, v86
	s_delay_alu instid0(VALU_DEP_2) | instskip(NEXT) | instid1(VALU_DEP_2)
	v_dual_mov_b32 v18, v20 :: v_dual_mov_b32 v19, v21
	v_cmpx_ne_u16_e32 0, v8
	s_cbranch_execz .LBB266_1495
; %bb.1488:                             ;   in Loop: Header=BB266_1062 Depth=1
	v_bfrev_b32_e32 v18, 1
	v_mov_b32_e32 v19, 0
	s_mov_b32 s13, exec_lo
	v_cmpx_ne_u16_e32 0x80, v8
	s_cbranch_execz .LBB266_1494
; %bb.1489:                             ;   in Loop: Header=BB266_1062 Depth=1
	v_mov_b32_e32 v18, 0x7f800001
	v_bfe_u32 v87, v26, 16, 7
	v_mov_b32_e32 v19, 0
	s_mov_b32 s15, exec_lo
	s_delay_alu instid0(VALU_DEP_2)
	v_cmpx_ne_u32_e32 0x7f, v87
	s_cbranch_execz .LBB266_1493
; %bb.1490:                             ;   in Loop: Header=BB266_1062 Depth=1
	v_and_b32_e32 v8, 7, v86
	v_lshrrev_b32_e32 v18, 3, v87
	s_mov_b32 s16, exec_lo
	v_cmpx_gt_u32_e32 8, v87
; %bb.1491:                             ;   in Loop: Header=BB266_1062 Depth=1
	s_delay_alu instid0(VALU_DEP_3) | instskip(NEXT) | instid1(VALU_DEP_1)
	v_clz_i32_u32_e32 v18, v8
	v_min_u32_e32 v18, 32, v18
	s_delay_alu instid0(VALU_DEP_1) | instskip(SKIP_1) | instid1(VALU_DEP_2)
	v_subrev_nc_u32_e32 v19, 28, v18
	v_sub_nc_u32_e32 v18, 29, v18
	v_lshlrev_b64 v[56:57], v19, v[8:9]
	s_delay_alu instid0(VALU_DEP_1)
	v_and_b32_e32 v8, 7, v56
; %bb.1492:                             ;   in Loop: Header=BB266_1062 Depth=1
	s_or_b32 exec_lo, exec_lo, s16
	v_lshlrev_b32_e32 v19, 24, v86
	s_delay_alu instid0(VALU_DEP_2) | instskip(SKIP_1) | instid1(VALU_DEP_3)
	v_lshlrev_b32_e32 v8, 20, v8
	v_lshl_add_u32 v18, v18, 23, 0x3c000000
	v_and_b32_e32 v19, 0x80000000, v19
	s_delay_alu instid0(VALU_DEP_1) | instskip(NEXT) | instid1(VALU_DEP_1)
	v_or3_b32 v8, v8, v19, v18
	v_dual_mov_b32 v19, v9 :: v_dual_mov_b32 v18, v8
.LBB266_1493:                           ;   in Loop: Header=BB266_1062 Depth=1
	s_or_b32 exec_lo, exec_lo, s15
.LBB266_1494:                           ;   in Loop: Header=BB266_1062 Depth=1
	s_delay_alu instid0(SALU_CYCLE_1)
	s_or_b32 exec_lo, exec_lo, s13
.LBB266_1495:                           ;   in Loop: Header=BB266_1062 Depth=1
	s_delay_alu instid0(SALU_CYCLE_1) | instskip(NEXT) | instid1(SALU_CYCLE_1)
	s_or_b32 exec_lo, exec_lo, s10
	s_mov_b32 s13, exec_lo
	v_cmpx_lt_u32_e32 0xffffff, v26
	s_cbranch_execz .LBB266_1503
; %bb.1496:                             ;   in Loop: Header=BB266_1062 Depth=1
	v_lshrrev_b32_e32 v86, 24, v26
	v_dual_mov_b32 v21, s9 :: v_dual_mov_b32 v20, s8
	s_mov_b32 s15, exec_lo
	s_delay_alu instid0(VALU_DEP_2)
	v_cmpx_ne_u32_e32 0x80, v86
	s_cbranch_execz .LBB266_1502
; %bb.1497:                             ;   in Loop: Header=BB266_1062 Depth=1
	s_mov_b32 s10, s8
	v_bfe_u32 v26, v26, 24, 7
	v_dual_mov_b32 v21, s11 :: v_dual_mov_b32 v20, s10
	s_mov_b32 s10, exec_lo
	s_delay_alu instid0(VALU_DEP_2)
	v_cmpx_ne_u32_e32 0x7f, v26
	s_cbranch_execz .LBB266_1501
; %bb.1498:                             ;   in Loop: Header=BB266_1062 Depth=1
	v_and_b32_e32 v8, 7, v86
	v_lshrrev_b32_e32 v20, 3, v26
	s_mov_b32 s16, exec_lo
	v_cmpx_gt_u32_e32 8, v26
; %bb.1499:                             ;   in Loop: Header=BB266_1062 Depth=1
	s_delay_alu instid0(VALU_DEP_3) | instskip(NEXT) | instid1(VALU_DEP_1)
	v_clz_i32_u32_e32 v20, v8
	v_min_u32_e32 v20, 32, v20
	s_delay_alu instid0(VALU_DEP_1) | instskip(SKIP_1) | instid1(VALU_DEP_2)
	v_subrev_nc_u32_e32 v21, 28, v20
	v_sub_nc_u32_e32 v20, 29, v20
	v_lshlrev_b64 v[56:57], v21, v[8:9]
	s_delay_alu instid0(VALU_DEP_1)
	v_and_b32_e32 v8, 7, v56
; %bb.1500:                             ;   in Loop: Header=BB266_1062 Depth=1
	s_or_b32 exec_lo, exec_lo, s16
	v_lshlrev_b32_e32 v21, 24, v86
	s_delay_alu instid0(VALU_DEP_2) | instskip(SKIP_1) | instid1(VALU_DEP_3)
	v_lshlrev_b32_e32 v8, 20, v8
	v_lshl_add_u32 v20, v20, 23, 0x3c000000
	v_and_b32_e32 v21, 0x80000000, v21
	s_delay_alu instid0(VALU_DEP_1)
	v_or3_b32 v21, v8, v21, v20
	v_mov_b32_e32 v20, v9
.LBB266_1501:                           ;   in Loop: Header=BB266_1062 Depth=1
	s_or_b32 exec_lo, exec_lo, s10
.LBB266_1502:                           ;   in Loop: Header=BB266_1062 Depth=1
	s_delay_alu instid0(SALU_CYCLE_1)
	s_or_b32 exec_lo, exec_lo, s15
.LBB266_1503:                           ;   in Loop: Header=BB266_1062 Depth=1
	s_delay_alu instid0(SALU_CYCLE_1) | instskip(SKIP_4) | instid1(VALU_DEP_4)
	s_or_b32 exec_lo, exec_lo, s13
	v_or_b32_e32 v5, v17, v5
	v_or_b32_e32 v4, v16, v4
	;; [unrolled: 1-line block ×4, first 2 shown]
	v_mul_f32_e32 v59, v102, v5
	s_delay_alu instid0(VALU_DEP_4) | instskip(NEXT) | instid1(VALU_DEP_4)
	v_mul_f32_e32 v58, v102, v4
	v_mul_f32_e32 v56, v102, v8
	s_delay_alu instid0(VALU_DEP_4)
	v_mul_f32_e32 v57, v102, v16
	s_and_saveexec_b32 s10, vcc_lo
; %bb.1504:                             ;   in Loop: Header=BB266_1062 Depth=1
	v_cmp_lt_i32_e64 s0, v115, v47
	s_delay_alu instid0(VALU_DEP_1) | instskip(SKIP_1) | instid1(VALU_DEP_1)
	v_cndmask_b32_e64 v58, 0, v58, s0
	v_cmp_lt_i32_e64 s0, v118, v47
	v_cndmask_b32_e64 v59, 0, v59, s0
	v_cmp_lt_i32_e64 s0, v117, v47
	s_delay_alu instid0(VALU_DEP_1) | instskip(SKIP_1) | instid1(VALU_DEP_1)
	v_cndmask_b32_e64 v57, 0, v57, s0
	v_cmp_lt_i32_e64 s0, v116, v47
	v_cndmask_b32_e64 v56, 0, v56, s0
; %bb.1505:                             ;   in Loop: Header=BB266_1062 Depth=1
	s_or_b32 exec_lo, exec_lo, s10
	flat_load_b32 v26, v[14:15] offset:1664
	v_mov_b32_e32 v16, 0
	v_mov_b32_e32 v17, 0
	s_mov_b32 s10, exec_lo
	s_waitcnt vmcnt(0) lgkmcnt(0)
	v_and_b32_e32 v8, 0xff, v26
	s_delay_alu instid0(VALU_DEP_2) | instskip(NEXT) | instid1(VALU_DEP_2)
	v_dual_mov_b32 v4, v16 :: v_dual_mov_b32 v5, v17
	v_cmpx_ne_u16_e32 0, v8
	s_cbranch_execz .LBB266_1513
; %bb.1506:                             ;   in Loop: Header=BB266_1062 Depth=1
	v_bfrev_b32_e32 v4, 1
	v_mov_b32_e32 v5, 0
	s_mov_b32 s13, exec_lo
	v_cmpx_ne_u16_e32 0x80, v8
	s_cbranch_execz .LBB266_1512
; %bb.1507:                             ;   in Loop: Header=BB266_1062 Depth=1
	v_mov_b32_e32 v4, 0x7f800001
	v_dual_mov_b32 v5, 0 :: v_dual_and_b32 v18, 0x7f, v26
	s_mov_b32 s15, exec_lo
	s_delay_alu instid0(VALU_DEP_1)
	v_cmpx_ne_u32_e32 0x7f, v18
	s_cbranch_execz .LBB266_1511
; %bb.1508:                             ;   in Loop: Header=BB266_1062 Depth=1
	v_and_b32_e32 v8, 7, v26
	v_lshrrev_b32_e32 v4, 3, v18
	s_mov_b32 s16, exec_lo
	v_cmpx_gt_u32_e32 8, v18
; %bb.1509:                             ;   in Loop: Header=BB266_1062 Depth=1
	s_delay_alu instid0(VALU_DEP_3) | instskip(NEXT) | instid1(VALU_DEP_1)
	v_clz_i32_u32_e32 v4, v8
	v_min_u32_e32 v4, 32, v4
	s_delay_alu instid0(VALU_DEP_1) | instskip(SKIP_1) | instid1(VALU_DEP_2)
	v_subrev_nc_u32_e32 v5, 28, v4
	v_sub_nc_u32_e32 v4, 29, v4
	v_lshlrev_b64 v[18:19], v5, v[8:9]
	s_delay_alu instid0(VALU_DEP_1)
	v_and_b32_e32 v8, 7, v18
; %bb.1510:                             ;   in Loop: Header=BB266_1062 Depth=1
	s_or_b32 exec_lo, exec_lo, s16
	v_lshlrev_b32_e32 v5, 24, v26
	s_delay_alu instid0(VALU_DEP_2) | instskip(SKIP_1) | instid1(VALU_DEP_3)
	v_lshlrev_b32_e32 v8, 20, v8
	v_lshl_add_u32 v4, v4, 23, 0x3c000000
	v_and_b32_e32 v5, 0x80000000, v5
	s_delay_alu instid0(VALU_DEP_1) | instskip(NEXT) | instid1(VALU_DEP_1)
	v_or3_b32 v8, v8, v5, v4
	v_dual_mov_b32 v4, v8 :: v_dual_mov_b32 v5, v9
.LBB266_1511:                           ;   in Loop: Header=BB266_1062 Depth=1
	s_or_b32 exec_lo, exec_lo, s15
.LBB266_1512:                           ;   in Loop: Header=BB266_1062 Depth=1
	s_delay_alu instid0(SALU_CYCLE_1)
	s_or_b32 exec_lo, exec_lo, s13
.LBB266_1513:                           ;   in Loop: Header=BB266_1062 Depth=1
	s_delay_alu instid0(SALU_CYCLE_1) | instskip(SKIP_2) | instid1(VALU_DEP_1)
	s_or_b32 exec_lo, exec_lo, s10
	v_lshrrev_b16 v8, 8, v26
	s_mov_b32 s13, exec_lo
	v_cmpx_ne_u16_e32 0, v8
	s_cbranch_execz .LBB266_1521
; %bb.1514:                             ;   in Loop: Header=BB266_1062 Depth=1
	v_dual_mov_b32 v17, s9 :: v_dual_mov_b32 v16, s8
	s_mov_b32 s15, exec_lo
	v_cmpx_ne_u16_e32 0x80, v8
	s_cbranch_execz .LBB266_1520
; %bb.1515:                             ;   in Loop: Header=BB266_1062 Depth=1
	s_mov_b32 s10, s8
	v_dual_mov_b32 v17, s11 :: v_dual_and_b32 v8, 0xffff, v8
	v_mov_b32_e32 v16, s10
	s_mov_b32 s10, exec_lo
	s_delay_alu instid0(VALU_DEP_2) | instskip(NEXT) | instid1(VALU_DEP_1)
	v_and_b32_e32 v18, 0x7f, v8
	v_cmpx_ne_u32_e32 0x7f, v18
	s_cbranch_execz .LBB266_1519
; %bb.1516:                             ;   in Loop: Header=BB266_1062 Depth=1
	v_and_b32_e32 v8, 7, v8
	v_lshrrev_b32_e32 v16, 3, v18
	s_mov_b32 s16, exec_lo
	v_cmpx_gt_u32_e32 8, v18
; %bb.1517:                             ;   in Loop: Header=BB266_1062 Depth=1
	s_delay_alu instid0(VALU_DEP_3) | instskip(NEXT) | instid1(VALU_DEP_1)
	v_clz_i32_u32_e32 v16, v8
	v_min_u32_e32 v16, 32, v16
	s_delay_alu instid0(VALU_DEP_1) | instskip(SKIP_1) | instid1(VALU_DEP_2)
	v_subrev_nc_u32_e32 v17, 28, v16
	v_sub_nc_u32_e32 v16, 29, v16
	v_lshlrev_b64 v[17:18], v17, v[8:9]
	s_delay_alu instid0(VALU_DEP_1)
	v_and_b32_e32 v8, 7, v17
; %bb.1518:                             ;   in Loop: Header=BB266_1062 Depth=1
	s_or_b32 exec_lo, exec_lo, s16
	v_lshlrev_b32_e32 v17, 16, v26
	s_delay_alu instid0(VALU_DEP_2) | instskip(SKIP_1) | instid1(VALU_DEP_3)
	v_lshlrev_b32_e32 v8, 20, v8
	v_lshl_add_u32 v16, v16, 23, 0x3c000000
	v_and_b32_e32 v17, 0x80000000, v17
	s_delay_alu instid0(VALU_DEP_1)
	v_or3_b32 v17, v8, v17, v16
	v_mov_b32_e32 v16, v9
.LBB266_1519:                           ;   in Loop: Header=BB266_1062 Depth=1
	s_or_b32 exec_lo, exec_lo, s10
.LBB266_1520:                           ;   in Loop: Header=BB266_1062 Depth=1
	s_delay_alu instid0(SALU_CYCLE_1)
	s_or_b32 exec_lo, exec_lo, s15
.LBB266_1521:                           ;   in Loop: Header=BB266_1062 Depth=1
	s_delay_alu instid0(SALU_CYCLE_1) | instskip(SKIP_4) | instid1(VALU_DEP_2)
	s_or_b32 exec_lo, exec_lo, s13
	v_mov_b32_e32 v20, 0
	v_lshrrev_b32_e32 v86, 16, v26
	v_mov_b32_e32 v21, 0
	s_mov_b32 s10, exec_lo
	v_and_b32_e32 v8, 0xff, v86
	s_delay_alu instid0(VALU_DEP_2) | instskip(NEXT) | instid1(VALU_DEP_2)
	v_dual_mov_b32 v18, v20 :: v_dual_mov_b32 v19, v21
	v_cmpx_ne_u16_e32 0, v8
	s_cbranch_execz .LBB266_1529
; %bb.1522:                             ;   in Loop: Header=BB266_1062 Depth=1
	v_bfrev_b32_e32 v18, 1
	v_mov_b32_e32 v19, 0
	s_mov_b32 s13, exec_lo
	v_cmpx_ne_u16_e32 0x80, v8
	s_cbranch_execz .LBB266_1528
; %bb.1523:                             ;   in Loop: Header=BB266_1062 Depth=1
	v_mov_b32_e32 v18, 0x7f800001
	v_bfe_u32 v87, v26, 16, 7
	v_mov_b32_e32 v19, 0
	s_mov_b32 s15, exec_lo
	s_delay_alu instid0(VALU_DEP_2)
	v_cmpx_ne_u32_e32 0x7f, v87
	s_cbranch_execz .LBB266_1527
; %bb.1524:                             ;   in Loop: Header=BB266_1062 Depth=1
	v_and_b32_e32 v8, 7, v86
	v_lshrrev_b32_e32 v18, 3, v87
	s_mov_b32 s16, exec_lo
	v_cmpx_gt_u32_e32 8, v87
; %bb.1525:                             ;   in Loop: Header=BB266_1062 Depth=1
	s_delay_alu instid0(VALU_DEP_3) | instskip(NEXT) | instid1(VALU_DEP_1)
	v_clz_i32_u32_e32 v18, v8
	v_min_u32_e32 v18, 32, v18
	s_delay_alu instid0(VALU_DEP_1) | instskip(SKIP_1) | instid1(VALU_DEP_2)
	v_subrev_nc_u32_e32 v19, 28, v18
	v_sub_nc_u32_e32 v18, 29, v18
	v_lshlrev_b64 v[60:61], v19, v[8:9]
	s_delay_alu instid0(VALU_DEP_1)
	v_and_b32_e32 v8, 7, v60
; %bb.1526:                             ;   in Loop: Header=BB266_1062 Depth=1
	s_or_b32 exec_lo, exec_lo, s16
	v_lshlrev_b32_e32 v19, 24, v86
	s_delay_alu instid0(VALU_DEP_2) | instskip(SKIP_1) | instid1(VALU_DEP_3)
	v_lshlrev_b32_e32 v8, 20, v8
	v_lshl_add_u32 v18, v18, 23, 0x3c000000
	v_and_b32_e32 v19, 0x80000000, v19
	s_delay_alu instid0(VALU_DEP_1) | instskip(NEXT) | instid1(VALU_DEP_1)
	v_or3_b32 v8, v8, v19, v18
	v_dual_mov_b32 v19, v9 :: v_dual_mov_b32 v18, v8
.LBB266_1527:                           ;   in Loop: Header=BB266_1062 Depth=1
	s_or_b32 exec_lo, exec_lo, s15
.LBB266_1528:                           ;   in Loop: Header=BB266_1062 Depth=1
	s_delay_alu instid0(SALU_CYCLE_1)
	s_or_b32 exec_lo, exec_lo, s13
.LBB266_1529:                           ;   in Loop: Header=BB266_1062 Depth=1
	s_delay_alu instid0(SALU_CYCLE_1) | instskip(NEXT) | instid1(SALU_CYCLE_1)
	s_or_b32 exec_lo, exec_lo, s10
	s_mov_b32 s13, exec_lo
	v_cmpx_lt_u32_e32 0xffffff, v26
	s_cbranch_execz .LBB266_1537
; %bb.1530:                             ;   in Loop: Header=BB266_1062 Depth=1
	v_lshrrev_b32_e32 v86, 24, v26
	v_dual_mov_b32 v21, s9 :: v_dual_mov_b32 v20, s8
	s_mov_b32 s15, exec_lo
	s_delay_alu instid0(VALU_DEP_2)
	v_cmpx_ne_u32_e32 0x80, v86
	s_cbranch_execz .LBB266_1536
; %bb.1531:                             ;   in Loop: Header=BB266_1062 Depth=1
	s_mov_b32 s10, s8
	v_bfe_u32 v26, v26, 24, 7
	v_dual_mov_b32 v21, s11 :: v_dual_mov_b32 v20, s10
	s_mov_b32 s10, exec_lo
	s_delay_alu instid0(VALU_DEP_2)
	v_cmpx_ne_u32_e32 0x7f, v26
	s_cbranch_execz .LBB266_1535
; %bb.1532:                             ;   in Loop: Header=BB266_1062 Depth=1
	v_and_b32_e32 v8, 7, v86
	v_lshrrev_b32_e32 v20, 3, v26
	s_mov_b32 s16, exec_lo
	v_cmpx_gt_u32_e32 8, v26
; %bb.1533:                             ;   in Loop: Header=BB266_1062 Depth=1
	s_delay_alu instid0(VALU_DEP_3) | instskip(NEXT) | instid1(VALU_DEP_1)
	v_clz_i32_u32_e32 v20, v8
	v_min_u32_e32 v20, 32, v20
	s_delay_alu instid0(VALU_DEP_1) | instskip(SKIP_1) | instid1(VALU_DEP_2)
	v_subrev_nc_u32_e32 v21, 28, v20
	v_sub_nc_u32_e32 v20, 29, v20
	v_lshlrev_b64 v[60:61], v21, v[8:9]
	s_delay_alu instid0(VALU_DEP_1)
	v_and_b32_e32 v8, 7, v60
; %bb.1534:                             ;   in Loop: Header=BB266_1062 Depth=1
	s_or_b32 exec_lo, exec_lo, s16
	v_lshlrev_b32_e32 v21, 24, v86
	s_delay_alu instid0(VALU_DEP_2) | instskip(SKIP_1) | instid1(VALU_DEP_3)
	v_lshlrev_b32_e32 v8, 20, v8
	v_lshl_add_u32 v20, v20, 23, 0x3c000000
	v_and_b32_e32 v21, 0x80000000, v21
	s_delay_alu instid0(VALU_DEP_1)
	v_or3_b32 v21, v8, v21, v20
	v_mov_b32_e32 v20, v9
.LBB266_1535:                           ;   in Loop: Header=BB266_1062 Depth=1
	s_or_b32 exec_lo, exec_lo, s10
.LBB266_1536:                           ;   in Loop: Header=BB266_1062 Depth=1
	s_delay_alu instid0(SALU_CYCLE_1)
	s_or_b32 exec_lo, exec_lo, s15
.LBB266_1537:                           ;   in Loop: Header=BB266_1062 Depth=1
	s_delay_alu instid0(SALU_CYCLE_1) | instskip(SKIP_4) | instid1(VALU_DEP_4)
	s_or_b32 exec_lo, exec_lo, s13
	v_or_b32_e32 v5, v17, v5
	v_or_b32_e32 v4, v16, v4
	;; [unrolled: 1-line block ×4, first 2 shown]
	v_mul_f32_e32 v63, v102, v5
	s_delay_alu instid0(VALU_DEP_4) | instskip(NEXT) | instid1(VALU_DEP_4)
	v_mul_f32_e32 v62, v102, v4
	v_mul_f32_e32 v60, v102, v8
	s_delay_alu instid0(VALU_DEP_4)
	v_mul_f32_e32 v61, v102, v16
	s_and_saveexec_b32 s10, vcc_lo
; %bb.1538:                             ;   in Loop: Header=BB266_1062 Depth=1
	v_cmp_lt_i32_e64 s0, v115, v47
	s_delay_alu instid0(VALU_DEP_1) | instskip(SKIP_1) | instid1(VALU_DEP_1)
	v_cndmask_b32_e64 v62, 0, v62, s0
	v_cmp_lt_i32_e64 s0, v118, v47
	v_cndmask_b32_e64 v63, 0, v63, s0
	v_cmp_lt_i32_e64 s0, v117, v47
	s_delay_alu instid0(VALU_DEP_1) | instskip(SKIP_1) | instid1(VALU_DEP_1)
	v_cndmask_b32_e64 v61, 0, v61, s0
	v_cmp_lt_i32_e64 s0, v116, v47
	v_cndmask_b32_e64 v60, 0, v60, s0
; %bb.1539:                             ;   in Loop: Header=BB266_1062 Depth=1
	s_or_b32 exec_lo, exec_lo, s10
	flat_load_b32 v26, v[14:15] offset:1792
	v_mov_b32_e32 v16, 0
	v_mov_b32_e32 v17, 0
	s_mov_b32 s10, exec_lo
	s_waitcnt vmcnt(0) lgkmcnt(0)
	v_and_b32_e32 v8, 0xff, v26
	s_delay_alu instid0(VALU_DEP_2) | instskip(NEXT) | instid1(VALU_DEP_2)
	v_dual_mov_b32 v4, v16 :: v_dual_mov_b32 v5, v17
	v_cmpx_ne_u16_e32 0, v8
	s_cbranch_execz .LBB266_1547
; %bb.1540:                             ;   in Loop: Header=BB266_1062 Depth=1
	v_bfrev_b32_e32 v4, 1
	v_mov_b32_e32 v5, 0
	s_mov_b32 s13, exec_lo
	v_cmpx_ne_u16_e32 0x80, v8
	s_cbranch_execz .LBB266_1546
; %bb.1541:                             ;   in Loop: Header=BB266_1062 Depth=1
	v_mov_b32_e32 v4, 0x7f800001
	v_dual_mov_b32 v5, 0 :: v_dual_and_b32 v18, 0x7f, v26
	s_mov_b32 s15, exec_lo
	s_delay_alu instid0(VALU_DEP_1)
	v_cmpx_ne_u32_e32 0x7f, v18
	s_cbranch_execz .LBB266_1545
; %bb.1542:                             ;   in Loop: Header=BB266_1062 Depth=1
	v_and_b32_e32 v8, 7, v26
	v_lshrrev_b32_e32 v4, 3, v18
	s_mov_b32 s16, exec_lo
	v_cmpx_gt_u32_e32 8, v18
; %bb.1543:                             ;   in Loop: Header=BB266_1062 Depth=1
	s_delay_alu instid0(VALU_DEP_3) | instskip(NEXT) | instid1(VALU_DEP_1)
	v_clz_i32_u32_e32 v4, v8
	v_min_u32_e32 v4, 32, v4
	s_delay_alu instid0(VALU_DEP_1) | instskip(SKIP_1) | instid1(VALU_DEP_2)
	v_subrev_nc_u32_e32 v5, 28, v4
	v_sub_nc_u32_e32 v4, 29, v4
	v_lshlrev_b64 v[18:19], v5, v[8:9]
	s_delay_alu instid0(VALU_DEP_1)
	v_and_b32_e32 v8, 7, v18
; %bb.1544:                             ;   in Loop: Header=BB266_1062 Depth=1
	s_or_b32 exec_lo, exec_lo, s16
	v_lshlrev_b32_e32 v5, 24, v26
	s_delay_alu instid0(VALU_DEP_2) | instskip(SKIP_1) | instid1(VALU_DEP_3)
	v_lshlrev_b32_e32 v8, 20, v8
	v_lshl_add_u32 v4, v4, 23, 0x3c000000
	v_and_b32_e32 v5, 0x80000000, v5
	s_delay_alu instid0(VALU_DEP_1) | instskip(NEXT) | instid1(VALU_DEP_1)
	v_or3_b32 v8, v8, v5, v4
	v_dual_mov_b32 v4, v8 :: v_dual_mov_b32 v5, v9
.LBB266_1545:                           ;   in Loop: Header=BB266_1062 Depth=1
	s_or_b32 exec_lo, exec_lo, s15
.LBB266_1546:                           ;   in Loop: Header=BB266_1062 Depth=1
	s_delay_alu instid0(SALU_CYCLE_1)
	s_or_b32 exec_lo, exec_lo, s13
.LBB266_1547:                           ;   in Loop: Header=BB266_1062 Depth=1
	s_delay_alu instid0(SALU_CYCLE_1) | instskip(SKIP_2) | instid1(VALU_DEP_1)
	s_or_b32 exec_lo, exec_lo, s10
	v_lshrrev_b16 v8, 8, v26
	s_mov_b32 s13, exec_lo
	v_cmpx_ne_u16_e32 0, v8
	s_cbranch_execz .LBB266_1555
; %bb.1548:                             ;   in Loop: Header=BB266_1062 Depth=1
	v_dual_mov_b32 v17, s9 :: v_dual_mov_b32 v16, s8
	s_mov_b32 s15, exec_lo
	v_cmpx_ne_u16_e32 0x80, v8
	s_cbranch_execz .LBB266_1554
; %bb.1549:                             ;   in Loop: Header=BB266_1062 Depth=1
	s_mov_b32 s10, s8
	v_dual_mov_b32 v17, s11 :: v_dual_and_b32 v8, 0xffff, v8
	v_mov_b32_e32 v16, s10
	s_mov_b32 s10, exec_lo
	s_delay_alu instid0(VALU_DEP_2) | instskip(NEXT) | instid1(VALU_DEP_1)
	v_and_b32_e32 v18, 0x7f, v8
	v_cmpx_ne_u32_e32 0x7f, v18
	s_cbranch_execz .LBB266_1553
; %bb.1550:                             ;   in Loop: Header=BB266_1062 Depth=1
	v_and_b32_e32 v8, 7, v8
	v_lshrrev_b32_e32 v16, 3, v18
	s_mov_b32 s16, exec_lo
	v_cmpx_gt_u32_e32 8, v18
; %bb.1551:                             ;   in Loop: Header=BB266_1062 Depth=1
	s_delay_alu instid0(VALU_DEP_3) | instskip(NEXT) | instid1(VALU_DEP_1)
	v_clz_i32_u32_e32 v16, v8
	v_min_u32_e32 v16, 32, v16
	s_delay_alu instid0(VALU_DEP_1) | instskip(SKIP_1) | instid1(VALU_DEP_2)
	v_subrev_nc_u32_e32 v17, 28, v16
	v_sub_nc_u32_e32 v16, 29, v16
	v_lshlrev_b64 v[17:18], v17, v[8:9]
	s_delay_alu instid0(VALU_DEP_1)
	v_and_b32_e32 v8, 7, v17
; %bb.1552:                             ;   in Loop: Header=BB266_1062 Depth=1
	s_or_b32 exec_lo, exec_lo, s16
	v_lshlrev_b32_e32 v17, 16, v26
	s_delay_alu instid0(VALU_DEP_2) | instskip(SKIP_1) | instid1(VALU_DEP_3)
	v_lshlrev_b32_e32 v8, 20, v8
	v_lshl_add_u32 v16, v16, 23, 0x3c000000
	v_and_b32_e32 v17, 0x80000000, v17
	s_delay_alu instid0(VALU_DEP_1)
	v_or3_b32 v17, v8, v17, v16
	v_mov_b32_e32 v16, v9
.LBB266_1553:                           ;   in Loop: Header=BB266_1062 Depth=1
	s_or_b32 exec_lo, exec_lo, s10
.LBB266_1554:                           ;   in Loop: Header=BB266_1062 Depth=1
	s_delay_alu instid0(SALU_CYCLE_1)
	s_or_b32 exec_lo, exec_lo, s15
.LBB266_1555:                           ;   in Loop: Header=BB266_1062 Depth=1
	s_delay_alu instid0(SALU_CYCLE_1) | instskip(SKIP_4) | instid1(VALU_DEP_2)
	s_or_b32 exec_lo, exec_lo, s13
	v_mov_b32_e32 v20, 0
	v_lshrrev_b32_e32 v86, 16, v26
	v_mov_b32_e32 v21, 0
	s_mov_b32 s10, exec_lo
	v_and_b32_e32 v8, 0xff, v86
	s_delay_alu instid0(VALU_DEP_2) | instskip(NEXT) | instid1(VALU_DEP_2)
	v_dual_mov_b32 v18, v20 :: v_dual_mov_b32 v19, v21
	v_cmpx_ne_u16_e32 0, v8
	s_cbranch_execz .LBB266_1563
; %bb.1556:                             ;   in Loop: Header=BB266_1062 Depth=1
	v_bfrev_b32_e32 v18, 1
	v_mov_b32_e32 v19, 0
	s_mov_b32 s13, exec_lo
	v_cmpx_ne_u16_e32 0x80, v8
	s_cbranch_execz .LBB266_1562
; %bb.1557:                             ;   in Loop: Header=BB266_1062 Depth=1
	v_mov_b32_e32 v18, 0x7f800001
	v_bfe_u32 v87, v26, 16, 7
	v_mov_b32_e32 v19, 0
	s_mov_b32 s15, exec_lo
	s_delay_alu instid0(VALU_DEP_2)
	v_cmpx_ne_u32_e32 0x7f, v87
	s_cbranch_execz .LBB266_1561
; %bb.1558:                             ;   in Loop: Header=BB266_1062 Depth=1
	v_and_b32_e32 v8, 7, v86
	v_lshrrev_b32_e32 v18, 3, v87
	s_mov_b32 s16, exec_lo
	v_cmpx_gt_u32_e32 8, v87
; %bb.1559:                             ;   in Loop: Header=BB266_1062 Depth=1
	s_delay_alu instid0(VALU_DEP_3) | instskip(NEXT) | instid1(VALU_DEP_1)
	v_clz_i32_u32_e32 v18, v8
	v_min_u32_e32 v18, 32, v18
	s_delay_alu instid0(VALU_DEP_1) | instskip(SKIP_1) | instid1(VALU_DEP_2)
	v_subrev_nc_u32_e32 v19, 28, v18
	v_sub_nc_u32_e32 v18, 29, v18
	v_lshlrev_b64 v[72:73], v19, v[8:9]
	s_delay_alu instid0(VALU_DEP_1)
	v_and_b32_e32 v8, 7, v72
; %bb.1560:                             ;   in Loop: Header=BB266_1062 Depth=1
	s_or_b32 exec_lo, exec_lo, s16
	v_lshlrev_b32_e32 v19, 24, v86
	s_delay_alu instid0(VALU_DEP_2) | instskip(SKIP_1) | instid1(VALU_DEP_3)
	v_lshlrev_b32_e32 v8, 20, v8
	v_lshl_add_u32 v18, v18, 23, 0x3c000000
	v_and_b32_e32 v19, 0x80000000, v19
	s_delay_alu instid0(VALU_DEP_1) | instskip(NEXT) | instid1(VALU_DEP_1)
	v_or3_b32 v8, v8, v19, v18
	v_dual_mov_b32 v19, v9 :: v_dual_mov_b32 v18, v8
.LBB266_1561:                           ;   in Loop: Header=BB266_1062 Depth=1
	s_or_b32 exec_lo, exec_lo, s15
.LBB266_1562:                           ;   in Loop: Header=BB266_1062 Depth=1
	s_delay_alu instid0(SALU_CYCLE_1)
	s_or_b32 exec_lo, exec_lo, s13
.LBB266_1563:                           ;   in Loop: Header=BB266_1062 Depth=1
	s_delay_alu instid0(SALU_CYCLE_1) | instskip(NEXT) | instid1(SALU_CYCLE_1)
	s_or_b32 exec_lo, exec_lo, s10
	s_mov_b32 s13, exec_lo
	v_cmpx_lt_u32_e32 0xffffff, v26
	s_cbranch_execz .LBB266_1571
; %bb.1564:                             ;   in Loop: Header=BB266_1062 Depth=1
	v_lshrrev_b32_e32 v86, 24, v26
	v_dual_mov_b32 v21, s9 :: v_dual_mov_b32 v20, s8
	s_mov_b32 s15, exec_lo
	s_delay_alu instid0(VALU_DEP_2)
	v_cmpx_ne_u32_e32 0x80, v86
	s_cbranch_execz .LBB266_1570
; %bb.1565:                             ;   in Loop: Header=BB266_1062 Depth=1
	s_mov_b32 s10, s8
	v_bfe_u32 v26, v26, 24, 7
	v_dual_mov_b32 v21, s11 :: v_dual_mov_b32 v20, s10
	s_mov_b32 s10, exec_lo
	s_delay_alu instid0(VALU_DEP_2)
	v_cmpx_ne_u32_e32 0x7f, v26
	s_cbranch_execz .LBB266_1569
; %bb.1566:                             ;   in Loop: Header=BB266_1062 Depth=1
	v_and_b32_e32 v8, 7, v86
	v_lshrrev_b32_e32 v20, 3, v26
	s_mov_b32 s16, exec_lo
	v_cmpx_gt_u32_e32 8, v26
; %bb.1567:                             ;   in Loop: Header=BB266_1062 Depth=1
	s_delay_alu instid0(VALU_DEP_3) | instskip(NEXT) | instid1(VALU_DEP_1)
	v_clz_i32_u32_e32 v20, v8
	v_min_u32_e32 v20, 32, v20
	s_delay_alu instid0(VALU_DEP_1) | instskip(SKIP_1) | instid1(VALU_DEP_2)
	v_subrev_nc_u32_e32 v21, 28, v20
	v_sub_nc_u32_e32 v20, 29, v20
	v_lshlrev_b64 v[72:73], v21, v[8:9]
	s_delay_alu instid0(VALU_DEP_1)
	v_and_b32_e32 v8, 7, v72
; %bb.1568:                             ;   in Loop: Header=BB266_1062 Depth=1
	s_or_b32 exec_lo, exec_lo, s16
	v_lshlrev_b32_e32 v21, 24, v86
	s_delay_alu instid0(VALU_DEP_2) | instskip(SKIP_1) | instid1(VALU_DEP_3)
	v_lshlrev_b32_e32 v8, 20, v8
	v_lshl_add_u32 v20, v20, 23, 0x3c000000
	v_and_b32_e32 v21, 0x80000000, v21
	s_delay_alu instid0(VALU_DEP_1)
	v_or3_b32 v21, v8, v21, v20
	v_mov_b32_e32 v20, v9
.LBB266_1569:                           ;   in Loop: Header=BB266_1062 Depth=1
	s_or_b32 exec_lo, exec_lo, s10
.LBB266_1570:                           ;   in Loop: Header=BB266_1062 Depth=1
	s_delay_alu instid0(SALU_CYCLE_1)
	s_or_b32 exec_lo, exec_lo, s15
.LBB266_1571:                           ;   in Loop: Header=BB266_1062 Depth=1
	s_delay_alu instid0(SALU_CYCLE_1) | instskip(SKIP_4) | instid1(VALU_DEP_4)
	s_or_b32 exec_lo, exec_lo, s13
	v_or_b32_e32 v5, v17, v5
	v_or_b32_e32 v4, v16, v4
	;; [unrolled: 1-line block ×4, first 2 shown]
	v_mul_f32_e32 v75, v102, v5
	s_delay_alu instid0(VALU_DEP_4) | instskip(NEXT) | instid1(VALU_DEP_4)
	v_mul_f32_e32 v74, v102, v4
	v_mul_f32_e32 v72, v102, v8
	s_delay_alu instid0(VALU_DEP_4)
	v_mul_f32_e32 v73, v102, v16
	s_and_saveexec_b32 s10, vcc_lo
; %bb.1572:                             ;   in Loop: Header=BB266_1062 Depth=1
	v_cmp_lt_i32_e64 s0, v115, v47
	s_delay_alu instid0(VALU_DEP_1) | instskip(SKIP_1) | instid1(VALU_DEP_1)
	v_cndmask_b32_e64 v74, 0, v74, s0
	v_cmp_lt_i32_e64 s0, v118, v47
	v_cndmask_b32_e64 v75, 0, v75, s0
	v_cmp_lt_i32_e64 s0, v117, v47
	s_delay_alu instid0(VALU_DEP_1) | instskip(SKIP_1) | instid1(VALU_DEP_1)
	v_cndmask_b32_e64 v73, 0, v73, s0
	v_cmp_lt_i32_e64 s0, v116, v47
	v_cndmask_b32_e64 v72, 0, v72, s0
; %bb.1573:                             ;   in Loop: Header=BB266_1062 Depth=1
	s_or_b32 exec_lo, exec_lo, s10
	flat_load_b32 v26, v[14:15] offset:1920
	v_mov_b32_e32 v16, 0
	v_mov_b32_e32 v17, 0
	s_mov_b32 s10, exec_lo
	s_waitcnt vmcnt(0) lgkmcnt(0)
	v_and_b32_e32 v8, 0xff, v26
	s_delay_alu instid0(VALU_DEP_2) | instskip(NEXT) | instid1(VALU_DEP_2)
	v_dual_mov_b32 v4, v16 :: v_dual_mov_b32 v5, v17
	v_cmpx_ne_u16_e32 0, v8
	s_cbranch_execz .LBB266_1581
; %bb.1574:                             ;   in Loop: Header=BB266_1062 Depth=1
	v_bfrev_b32_e32 v4, 1
	v_mov_b32_e32 v5, 0
	s_mov_b32 s13, exec_lo
	v_cmpx_ne_u16_e32 0x80, v8
	s_cbranch_execz .LBB266_1580
; %bb.1575:                             ;   in Loop: Header=BB266_1062 Depth=1
	v_mov_b32_e32 v4, 0x7f800001
	v_dual_mov_b32 v5, 0 :: v_dual_and_b32 v18, 0x7f, v26
	s_mov_b32 s15, exec_lo
	s_delay_alu instid0(VALU_DEP_1)
	v_cmpx_ne_u32_e32 0x7f, v18
	s_cbranch_execz .LBB266_1579
; %bb.1576:                             ;   in Loop: Header=BB266_1062 Depth=1
	v_and_b32_e32 v8, 7, v26
	v_lshrrev_b32_e32 v4, 3, v18
	s_mov_b32 s16, exec_lo
	v_cmpx_gt_u32_e32 8, v18
; %bb.1577:                             ;   in Loop: Header=BB266_1062 Depth=1
	s_delay_alu instid0(VALU_DEP_3) | instskip(NEXT) | instid1(VALU_DEP_1)
	v_clz_i32_u32_e32 v4, v8
	v_min_u32_e32 v4, 32, v4
	s_delay_alu instid0(VALU_DEP_1) | instskip(SKIP_1) | instid1(VALU_DEP_2)
	v_subrev_nc_u32_e32 v5, 28, v4
	v_sub_nc_u32_e32 v4, 29, v4
	v_lshlrev_b64 v[18:19], v5, v[8:9]
	s_delay_alu instid0(VALU_DEP_1)
	v_and_b32_e32 v8, 7, v18
; %bb.1578:                             ;   in Loop: Header=BB266_1062 Depth=1
	s_or_b32 exec_lo, exec_lo, s16
	v_lshlrev_b32_e32 v5, 24, v26
	s_delay_alu instid0(VALU_DEP_2) | instskip(SKIP_1) | instid1(VALU_DEP_3)
	v_lshlrev_b32_e32 v8, 20, v8
	v_lshl_add_u32 v4, v4, 23, 0x3c000000
	v_and_b32_e32 v5, 0x80000000, v5
	s_delay_alu instid0(VALU_DEP_1) | instskip(NEXT) | instid1(VALU_DEP_1)
	v_or3_b32 v8, v8, v5, v4
	v_dual_mov_b32 v4, v8 :: v_dual_mov_b32 v5, v9
.LBB266_1579:                           ;   in Loop: Header=BB266_1062 Depth=1
	s_or_b32 exec_lo, exec_lo, s15
.LBB266_1580:                           ;   in Loop: Header=BB266_1062 Depth=1
	s_delay_alu instid0(SALU_CYCLE_1)
	s_or_b32 exec_lo, exec_lo, s13
.LBB266_1581:                           ;   in Loop: Header=BB266_1062 Depth=1
	s_delay_alu instid0(SALU_CYCLE_1) | instskip(SKIP_2) | instid1(VALU_DEP_1)
	s_or_b32 exec_lo, exec_lo, s10
	v_lshrrev_b16 v8, 8, v26
	s_mov_b32 s13, exec_lo
	v_cmpx_ne_u16_e32 0, v8
	s_cbranch_execz .LBB266_1589
; %bb.1582:                             ;   in Loop: Header=BB266_1062 Depth=1
	v_dual_mov_b32 v17, s9 :: v_dual_mov_b32 v16, s8
	s_mov_b32 s15, exec_lo
	v_cmpx_ne_u16_e32 0x80, v8
	s_cbranch_execz .LBB266_1588
; %bb.1583:                             ;   in Loop: Header=BB266_1062 Depth=1
	s_mov_b32 s10, s8
	v_dual_mov_b32 v17, s11 :: v_dual_and_b32 v8, 0xffff, v8
	v_mov_b32_e32 v16, s10
	s_mov_b32 s10, exec_lo
	s_delay_alu instid0(VALU_DEP_2) | instskip(NEXT) | instid1(VALU_DEP_1)
	v_and_b32_e32 v18, 0x7f, v8
	v_cmpx_ne_u32_e32 0x7f, v18
	s_cbranch_execz .LBB266_1587
; %bb.1584:                             ;   in Loop: Header=BB266_1062 Depth=1
	v_and_b32_e32 v8, 7, v8
	v_lshrrev_b32_e32 v16, 3, v18
	s_mov_b32 s16, exec_lo
	v_cmpx_gt_u32_e32 8, v18
; %bb.1585:                             ;   in Loop: Header=BB266_1062 Depth=1
	s_delay_alu instid0(VALU_DEP_3) | instskip(NEXT) | instid1(VALU_DEP_1)
	v_clz_i32_u32_e32 v16, v8
	v_min_u32_e32 v16, 32, v16
	s_delay_alu instid0(VALU_DEP_1) | instskip(SKIP_1) | instid1(VALU_DEP_2)
	v_subrev_nc_u32_e32 v17, 28, v16
	v_sub_nc_u32_e32 v16, 29, v16
	v_lshlrev_b64 v[17:18], v17, v[8:9]
	s_delay_alu instid0(VALU_DEP_1)
	v_and_b32_e32 v8, 7, v17
; %bb.1586:                             ;   in Loop: Header=BB266_1062 Depth=1
	s_or_b32 exec_lo, exec_lo, s16
	v_lshlrev_b32_e32 v17, 16, v26
	s_delay_alu instid0(VALU_DEP_2) | instskip(SKIP_1) | instid1(VALU_DEP_3)
	v_lshlrev_b32_e32 v8, 20, v8
	v_lshl_add_u32 v16, v16, 23, 0x3c000000
	v_and_b32_e32 v17, 0x80000000, v17
	s_delay_alu instid0(VALU_DEP_1)
	v_or3_b32 v17, v8, v17, v16
	v_mov_b32_e32 v16, v9
.LBB266_1587:                           ;   in Loop: Header=BB266_1062 Depth=1
	s_or_b32 exec_lo, exec_lo, s10
.LBB266_1588:                           ;   in Loop: Header=BB266_1062 Depth=1
	s_delay_alu instid0(SALU_CYCLE_1)
	s_or_b32 exec_lo, exec_lo, s15
.LBB266_1589:                           ;   in Loop: Header=BB266_1062 Depth=1
	s_delay_alu instid0(SALU_CYCLE_1) | instskip(SKIP_4) | instid1(VALU_DEP_2)
	s_or_b32 exec_lo, exec_lo, s13
	v_mov_b32_e32 v20, 0
	v_lshrrev_b32_e32 v86, 16, v26
	v_mov_b32_e32 v21, 0
	s_mov_b32 s10, exec_lo
	v_and_b32_e32 v8, 0xff, v86
	s_delay_alu instid0(VALU_DEP_2) | instskip(NEXT) | instid1(VALU_DEP_2)
	v_dual_mov_b32 v18, v20 :: v_dual_mov_b32 v19, v21
	v_cmpx_ne_u16_e32 0, v8
	s_cbranch_execz .LBB266_1597
; %bb.1590:                             ;   in Loop: Header=BB266_1062 Depth=1
	v_bfrev_b32_e32 v18, 1
	v_mov_b32_e32 v19, 0
	s_mov_b32 s13, exec_lo
	v_cmpx_ne_u16_e32 0x80, v8
	s_cbranch_execz .LBB266_1596
; %bb.1591:                             ;   in Loop: Header=BB266_1062 Depth=1
	v_mov_b32_e32 v18, 0x7f800001
	v_bfe_u32 v87, v26, 16, 7
	v_mov_b32_e32 v19, 0
	s_mov_b32 s15, exec_lo
	s_delay_alu instid0(VALU_DEP_2)
	v_cmpx_ne_u32_e32 0x7f, v87
	s_cbranch_execz .LBB266_1595
; %bb.1592:                             ;   in Loop: Header=BB266_1062 Depth=1
	v_and_b32_e32 v8, 7, v86
	v_lshrrev_b32_e32 v18, 3, v87
	s_mov_b32 s16, exec_lo
	v_cmpx_gt_u32_e32 8, v87
; %bb.1593:                             ;   in Loop: Header=BB266_1062 Depth=1
	s_delay_alu instid0(VALU_DEP_3) | instskip(NEXT) | instid1(VALU_DEP_1)
	v_clz_i32_u32_e32 v18, v8
	v_min_u32_e32 v18, 32, v18
	s_delay_alu instid0(VALU_DEP_1) | instskip(SKIP_1) | instid1(VALU_DEP_2)
	v_subrev_nc_u32_e32 v19, 28, v18
	v_sub_nc_u32_e32 v18, 29, v18
	v_lshlrev_b64 v[76:77], v19, v[8:9]
	s_delay_alu instid0(VALU_DEP_1)
	v_and_b32_e32 v8, 7, v76
; %bb.1594:                             ;   in Loop: Header=BB266_1062 Depth=1
	s_or_b32 exec_lo, exec_lo, s16
	v_lshlrev_b32_e32 v19, 24, v86
	s_delay_alu instid0(VALU_DEP_2) | instskip(SKIP_1) | instid1(VALU_DEP_3)
	v_lshlrev_b32_e32 v8, 20, v8
	v_lshl_add_u32 v18, v18, 23, 0x3c000000
	v_and_b32_e32 v19, 0x80000000, v19
	s_delay_alu instid0(VALU_DEP_1) | instskip(NEXT) | instid1(VALU_DEP_1)
	v_or3_b32 v8, v8, v19, v18
	v_dual_mov_b32 v19, v9 :: v_dual_mov_b32 v18, v8
.LBB266_1595:                           ;   in Loop: Header=BB266_1062 Depth=1
	s_or_b32 exec_lo, exec_lo, s15
.LBB266_1596:                           ;   in Loop: Header=BB266_1062 Depth=1
	s_delay_alu instid0(SALU_CYCLE_1)
	s_or_b32 exec_lo, exec_lo, s13
.LBB266_1597:                           ;   in Loop: Header=BB266_1062 Depth=1
	s_delay_alu instid0(SALU_CYCLE_1) | instskip(NEXT) | instid1(SALU_CYCLE_1)
	s_or_b32 exec_lo, exec_lo, s10
	s_mov_b32 s13, exec_lo
	v_cmpx_lt_u32_e32 0xffffff, v26
	s_cbranch_execz .LBB266_1605
; %bb.1598:                             ;   in Loop: Header=BB266_1062 Depth=1
	v_lshrrev_b32_e32 v86, 24, v26
	v_dual_mov_b32 v21, s9 :: v_dual_mov_b32 v20, s8
	s_mov_b32 s15, exec_lo
	s_delay_alu instid0(VALU_DEP_2)
	v_cmpx_ne_u32_e32 0x80, v86
	s_cbranch_execz .LBB266_1604
; %bb.1599:                             ;   in Loop: Header=BB266_1062 Depth=1
	s_mov_b32 s10, s8
	v_bfe_u32 v26, v26, 24, 7
	v_dual_mov_b32 v21, s11 :: v_dual_mov_b32 v20, s10
	s_mov_b32 s10, exec_lo
	s_delay_alu instid0(VALU_DEP_2)
	v_cmpx_ne_u32_e32 0x7f, v26
	s_cbranch_execz .LBB266_1603
; %bb.1600:                             ;   in Loop: Header=BB266_1062 Depth=1
	v_and_b32_e32 v8, 7, v86
	v_lshrrev_b32_e32 v20, 3, v26
	s_mov_b32 s16, exec_lo
	v_cmpx_gt_u32_e32 8, v26
; %bb.1601:                             ;   in Loop: Header=BB266_1062 Depth=1
	s_delay_alu instid0(VALU_DEP_3) | instskip(NEXT) | instid1(VALU_DEP_1)
	v_clz_i32_u32_e32 v20, v8
	v_min_u32_e32 v20, 32, v20
	s_delay_alu instid0(VALU_DEP_1) | instskip(SKIP_1) | instid1(VALU_DEP_2)
	v_subrev_nc_u32_e32 v21, 28, v20
	v_sub_nc_u32_e32 v20, 29, v20
	v_lshlrev_b64 v[76:77], v21, v[8:9]
	s_delay_alu instid0(VALU_DEP_1)
	v_and_b32_e32 v8, 7, v76
; %bb.1602:                             ;   in Loop: Header=BB266_1062 Depth=1
	s_or_b32 exec_lo, exec_lo, s16
	v_lshlrev_b32_e32 v21, 24, v86
	s_delay_alu instid0(VALU_DEP_2) | instskip(SKIP_1) | instid1(VALU_DEP_3)
	v_lshlrev_b32_e32 v8, 20, v8
	v_lshl_add_u32 v20, v20, 23, 0x3c000000
	v_and_b32_e32 v21, 0x80000000, v21
	s_delay_alu instid0(VALU_DEP_1)
	v_or3_b32 v21, v8, v21, v20
	v_mov_b32_e32 v20, v9
.LBB266_1603:                           ;   in Loop: Header=BB266_1062 Depth=1
	s_or_b32 exec_lo, exec_lo, s10
.LBB266_1604:                           ;   in Loop: Header=BB266_1062 Depth=1
	s_delay_alu instid0(SALU_CYCLE_1)
	s_or_b32 exec_lo, exec_lo, s15
.LBB266_1605:                           ;   in Loop: Header=BB266_1062 Depth=1
	s_delay_alu instid0(SALU_CYCLE_1) | instskip(SKIP_4) | instid1(VALU_DEP_4)
	s_or_b32 exec_lo, exec_lo, s13
	v_or_b32_e32 v5, v17, v5
	v_or_b32_e32 v4, v16, v4
	v_or_b32_e32 v8, v21, v19
	v_or_b32_e32 v16, v20, v18
	v_mul_f32_e32 v79, v102, v5
	s_delay_alu instid0(VALU_DEP_4) | instskip(NEXT) | instid1(VALU_DEP_4)
	v_mul_f32_e32 v78, v102, v4
	v_mul_f32_e32 v76, v102, v8
	s_delay_alu instid0(VALU_DEP_4)
	v_mul_f32_e32 v77, v102, v16
	s_and_saveexec_b32 s10, vcc_lo
; %bb.1606:                             ;   in Loop: Header=BB266_1062 Depth=1
	v_cmp_lt_i32_e64 s0, v115, v47
	s_delay_alu instid0(VALU_DEP_1) | instskip(SKIP_1) | instid1(VALU_DEP_1)
	v_cndmask_b32_e64 v78, 0, v78, s0
	v_cmp_lt_i32_e64 s0, v118, v47
	v_cndmask_b32_e64 v79, 0, v79, s0
	v_cmp_lt_i32_e64 s0, v117, v47
	s_delay_alu instid0(VALU_DEP_1) | instskip(SKIP_1) | instid1(VALU_DEP_1)
	v_cndmask_b32_e64 v77, 0, v77, s0
	v_cmp_lt_i32_e64 s0, v116, v47
	v_cndmask_b32_e64 v76, 0, v76, s0
; %bb.1607:                             ;   in Loop: Header=BB266_1062 Depth=1
	s_or_b32 exec_lo, exec_lo, s10
	flat_load_b32 v26, v[14:15] offset:2048
	v_mov_b32_e32 v16, 0
	v_mov_b32_e32 v17, 0
	s_mov_b32 s10, exec_lo
	s_waitcnt vmcnt(0) lgkmcnt(0)
	v_and_b32_e32 v8, 0xff, v26
	s_delay_alu instid0(VALU_DEP_2) | instskip(NEXT) | instid1(VALU_DEP_2)
	v_dual_mov_b32 v4, v16 :: v_dual_mov_b32 v5, v17
	v_cmpx_ne_u16_e32 0, v8
	s_cbranch_execz .LBB266_1615
; %bb.1608:                             ;   in Loop: Header=BB266_1062 Depth=1
	v_bfrev_b32_e32 v4, 1
	v_mov_b32_e32 v5, 0
	s_mov_b32 s13, exec_lo
	v_cmpx_ne_u16_e32 0x80, v8
	s_cbranch_execz .LBB266_1614
; %bb.1609:                             ;   in Loop: Header=BB266_1062 Depth=1
	v_mov_b32_e32 v4, 0x7f800001
	v_dual_mov_b32 v5, 0 :: v_dual_and_b32 v18, 0x7f, v26
	s_mov_b32 s15, exec_lo
	s_delay_alu instid0(VALU_DEP_1)
	v_cmpx_ne_u32_e32 0x7f, v18
	s_cbranch_execz .LBB266_1613
; %bb.1610:                             ;   in Loop: Header=BB266_1062 Depth=1
	v_and_b32_e32 v8, 7, v26
	v_lshrrev_b32_e32 v4, 3, v18
	s_mov_b32 s16, exec_lo
	v_cmpx_gt_u32_e32 8, v18
; %bb.1611:                             ;   in Loop: Header=BB266_1062 Depth=1
	s_delay_alu instid0(VALU_DEP_3) | instskip(NEXT) | instid1(VALU_DEP_1)
	v_clz_i32_u32_e32 v4, v8
	v_min_u32_e32 v4, 32, v4
	s_delay_alu instid0(VALU_DEP_1) | instskip(SKIP_1) | instid1(VALU_DEP_2)
	v_subrev_nc_u32_e32 v5, 28, v4
	v_sub_nc_u32_e32 v4, 29, v4
	v_lshlrev_b64 v[18:19], v5, v[8:9]
	s_delay_alu instid0(VALU_DEP_1)
	v_and_b32_e32 v8, 7, v18
; %bb.1612:                             ;   in Loop: Header=BB266_1062 Depth=1
	s_or_b32 exec_lo, exec_lo, s16
	v_lshlrev_b32_e32 v5, 24, v26
	s_delay_alu instid0(VALU_DEP_2) | instskip(SKIP_1) | instid1(VALU_DEP_3)
	v_lshlrev_b32_e32 v8, 20, v8
	v_lshl_add_u32 v4, v4, 23, 0x3c000000
	v_and_b32_e32 v5, 0x80000000, v5
	s_delay_alu instid0(VALU_DEP_1) | instskip(NEXT) | instid1(VALU_DEP_1)
	v_or3_b32 v8, v8, v5, v4
	v_dual_mov_b32 v4, v8 :: v_dual_mov_b32 v5, v9
.LBB266_1613:                           ;   in Loop: Header=BB266_1062 Depth=1
	s_or_b32 exec_lo, exec_lo, s15
.LBB266_1614:                           ;   in Loop: Header=BB266_1062 Depth=1
	s_delay_alu instid0(SALU_CYCLE_1)
	s_or_b32 exec_lo, exec_lo, s13
.LBB266_1615:                           ;   in Loop: Header=BB266_1062 Depth=1
	s_delay_alu instid0(SALU_CYCLE_1) | instskip(SKIP_2) | instid1(VALU_DEP_1)
	s_or_b32 exec_lo, exec_lo, s10
	v_lshrrev_b16 v8, 8, v26
	s_mov_b32 s13, exec_lo
	v_cmpx_ne_u16_e32 0, v8
	s_cbranch_execz .LBB266_1623
; %bb.1616:                             ;   in Loop: Header=BB266_1062 Depth=1
	v_dual_mov_b32 v17, s9 :: v_dual_mov_b32 v16, s8
	s_mov_b32 s15, exec_lo
	v_cmpx_ne_u16_e32 0x80, v8
	s_cbranch_execz .LBB266_1622
; %bb.1617:                             ;   in Loop: Header=BB266_1062 Depth=1
	s_mov_b32 s10, s8
	v_dual_mov_b32 v17, s11 :: v_dual_and_b32 v8, 0xffff, v8
	v_mov_b32_e32 v16, s10
	s_mov_b32 s10, exec_lo
	s_delay_alu instid0(VALU_DEP_2) | instskip(NEXT) | instid1(VALU_DEP_1)
	v_and_b32_e32 v18, 0x7f, v8
	v_cmpx_ne_u32_e32 0x7f, v18
	s_cbranch_execz .LBB266_1621
; %bb.1618:                             ;   in Loop: Header=BB266_1062 Depth=1
	v_and_b32_e32 v8, 7, v8
	v_lshrrev_b32_e32 v16, 3, v18
	s_mov_b32 s16, exec_lo
	v_cmpx_gt_u32_e32 8, v18
; %bb.1619:                             ;   in Loop: Header=BB266_1062 Depth=1
	s_delay_alu instid0(VALU_DEP_3) | instskip(NEXT) | instid1(VALU_DEP_1)
	v_clz_i32_u32_e32 v16, v8
	v_min_u32_e32 v16, 32, v16
	s_delay_alu instid0(VALU_DEP_1) | instskip(SKIP_1) | instid1(VALU_DEP_2)
	v_subrev_nc_u32_e32 v17, 28, v16
	v_sub_nc_u32_e32 v16, 29, v16
	v_lshlrev_b64 v[17:18], v17, v[8:9]
	s_delay_alu instid0(VALU_DEP_1)
	v_and_b32_e32 v8, 7, v17
; %bb.1620:                             ;   in Loop: Header=BB266_1062 Depth=1
	s_or_b32 exec_lo, exec_lo, s16
	v_lshlrev_b32_e32 v17, 16, v26
	s_delay_alu instid0(VALU_DEP_2) | instskip(SKIP_1) | instid1(VALU_DEP_3)
	v_lshlrev_b32_e32 v8, 20, v8
	v_lshl_add_u32 v16, v16, 23, 0x3c000000
	v_and_b32_e32 v17, 0x80000000, v17
	s_delay_alu instid0(VALU_DEP_1)
	v_or3_b32 v17, v8, v17, v16
	v_mov_b32_e32 v16, v9
.LBB266_1621:                           ;   in Loop: Header=BB266_1062 Depth=1
	s_or_b32 exec_lo, exec_lo, s10
.LBB266_1622:                           ;   in Loop: Header=BB266_1062 Depth=1
	s_delay_alu instid0(SALU_CYCLE_1)
	s_or_b32 exec_lo, exec_lo, s15
.LBB266_1623:                           ;   in Loop: Header=BB266_1062 Depth=1
	s_delay_alu instid0(SALU_CYCLE_1) | instskip(SKIP_4) | instid1(VALU_DEP_2)
	s_or_b32 exec_lo, exec_lo, s13
	v_mov_b32_e32 v20, 0
	v_lshrrev_b32_e32 v86, 16, v26
	v_mov_b32_e32 v21, 0
	s_mov_b32 s10, exec_lo
	v_and_b32_e32 v8, 0xff, v86
	s_delay_alu instid0(VALU_DEP_2) | instskip(NEXT) | instid1(VALU_DEP_2)
	v_dual_mov_b32 v18, v20 :: v_dual_mov_b32 v19, v21
	v_cmpx_ne_u16_e32 0, v8
	s_cbranch_execz .LBB266_1631
; %bb.1624:                             ;   in Loop: Header=BB266_1062 Depth=1
	v_bfrev_b32_e32 v18, 1
	v_mov_b32_e32 v19, 0
	s_mov_b32 s13, exec_lo
	v_cmpx_ne_u16_e32 0x80, v8
	s_cbranch_execz .LBB266_1630
; %bb.1625:                             ;   in Loop: Header=BB266_1062 Depth=1
	v_mov_b32_e32 v18, 0x7f800001
	v_bfe_u32 v87, v26, 16, 7
	v_mov_b32_e32 v19, 0
	s_mov_b32 s15, exec_lo
	s_delay_alu instid0(VALU_DEP_2)
	v_cmpx_ne_u32_e32 0x7f, v87
	s_cbranch_execz .LBB266_1629
; %bb.1626:                             ;   in Loop: Header=BB266_1062 Depth=1
	v_and_b32_e32 v8, 7, v86
	v_lshrrev_b32_e32 v18, 3, v87
	s_mov_b32 s16, exec_lo
	v_cmpx_gt_u32_e32 8, v87
; %bb.1627:                             ;   in Loop: Header=BB266_1062 Depth=1
	s_delay_alu instid0(VALU_DEP_3) | instskip(NEXT) | instid1(VALU_DEP_1)
	v_clz_i32_u32_e32 v18, v8
	v_min_u32_e32 v18, 32, v18
	s_delay_alu instid0(VALU_DEP_1) | instskip(SKIP_1) | instid1(VALU_DEP_2)
	v_subrev_nc_u32_e32 v19, 28, v18
	v_sub_nc_u32_e32 v18, 29, v18
	v_lshlrev_b64 v[87:88], v19, v[8:9]
	s_delay_alu instid0(VALU_DEP_1)
	v_and_b32_e32 v8, 7, v87
; %bb.1628:                             ;   in Loop: Header=BB266_1062 Depth=1
	s_or_b32 exec_lo, exec_lo, s16
	v_lshlrev_b32_e32 v19, 24, v86
	s_delay_alu instid0(VALU_DEP_2) | instskip(SKIP_1) | instid1(VALU_DEP_3)
	v_lshlrev_b32_e32 v8, 20, v8
	v_lshl_add_u32 v18, v18, 23, 0x3c000000
	v_and_b32_e32 v19, 0x80000000, v19
	s_delay_alu instid0(VALU_DEP_1) | instskip(NEXT) | instid1(VALU_DEP_1)
	v_or3_b32 v8, v8, v19, v18
	v_dual_mov_b32 v19, v9 :: v_dual_mov_b32 v18, v8
.LBB266_1629:                           ;   in Loop: Header=BB266_1062 Depth=1
	s_or_b32 exec_lo, exec_lo, s15
.LBB266_1630:                           ;   in Loop: Header=BB266_1062 Depth=1
	s_delay_alu instid0(SALU_CYCLE_1)
	s_or_b32 exec_lo, exec_lo, s13
.LBB266_1631:                           ;   in Loop: Header=BB266_1062 Depth=1
	s_delay_alu instid0(SALU_CYCLE_1) | instskip(NEXT) | instid1(SALU_CYCLE_1)
	s_or_b32 exec_lo, exec_lo, s10
	s_mov_b32 s13, exec_lo
	v_cmpx_lt_u32_e32 0xffffff, v26
	s_cbranch_execz .LBB266_1639
; %bb.1632:                             ;   in Loop: Header=BB266_1062 Depth=1
	v_lshrrev_b32_e32 v86, 24, v26
	v_dual_mov_b32 v21, s9 :: v_dual_mov_b32 v20, s8
	s_mov_b32 s15, exec_lo
	s_delay_alu instid0(VALU_DEP_2)
	v_cmpx_ne_u32_e32 0x80, v86
	s_cbranch_execz .LBB266_1638
; %bb.1633:                             ;   in Loop: Header=BB266_1062 Depth=1
	s_mov_b32 s10, s8
	v_bfe_u32 v26, v26, 24, 7
	v_dual_mov_b32 v21, s11 :: v_dual_mov_b32 v20, s10
	s_mov_b32 s10, exec_lo
	s_delay_alu instid0(VALU_DEP_2)
	v_cmpx_ne_u32_e32 0x7f, v26
	s_cbranch_execz .LBB266_1637
; %bb.1634:                             ;   in Loop: Header=BB266_1062 Depth=1
	v_and_b32_e32 v8, 7, v86
	v_lshrrev_b32_e32 v20, 3, v26
	s_mov_b32 s16, exec_lo
	v_cmpx_gt_u32_e32 8, v26
; %bb.1635:                             ;   in Loop: Header=BB266_1062 Depth=1
	s_delay_alu instid0(VALU_DEP_3) | instskip(NEXT) | instid1(VALU_DEP_1)
	v_clz_i32_u32_e32 v20, v8
	v_min_u32_e32 v20, 32, v20
	s_delay_alu instid0(VALU_DEP_1) | instskip(SKIP_1) | instid1(VALU_DEP_2)
	v_subrev_nc_u32_e32 v21, 28, v20
	v_sub_nc_u32_e32 v20, 29, v20
	v_lshlrev_b64 v[87:88], v21, v[8:9]
	s_delay_alu instid0(VALU_DEP_1)
	v_and_b32_e32 v8, 7, v87
; %bb.1636:                             ;   in Loop: Header=BB266_1062 Depth=1
	s_or_b32 exec_lo, exec_lo, s16
	v_lshlrev_b32_e32 v21, 24, v86
	s_delay_alu instid0(VALU_DEP_2) | instskip(SKIP_1) | instid1(VALU_DEP_3)
	v_lshlrev_b32_e32 v8, 20, v8
	v_lshl_add_u32 v20, v20, 23, 0x3c000000
	v_and_b32_e32 v21, 0x80000000, v21
	s_delay_alu instid0(VALU_DEP_1)
	v_or3_b32 v21, v8, v21, v20
	v_mov_b32_e32 v20, v9
.LBB266_1637:                           ;   in Loop: Header=BB266_1062 Depth=1
	s_or_b32 exec_lo, exec_lo, s10
.LBB266_1638:                           ;   in Loop: Header=BB266_1062 Depth=1
	s_delay_alu instid0(SALU_CYCLE_1)
	s_or_b32 exec_lo, exec_lo, s15
.LBB266_1639:                           ;   in Loop: Header=BB266_1062 Depth=1
	s_delay_alu instid0(SALU_CYCLE_1) | instskip(SKIP_4) | instid1(VALU_DEP_4)
	s_or_b32 exec_lo, exec_lo, s13
	v_or_b32_e32 v5, v17, v5
	v_or_b32_e32 v4, v16, v4
	;; [unrolled: 1-line block ×4, first 2 shown]
	v_mul_f32_e32 v91, v102, v5
	s_delay_alu instid0(VALU_DEP_4) | instskip(NEXT) | instid1(VALU_DEP_4)
	v_mul_f32_e32 v90, v102, v4
	v_mul_f32_e32 v88, v102, v8
	s_delay_alu instid0(VALU_DEP_4)
	v_mul_f32_e32 v89, v102, v16
	s_and_saveexec_b32 s10, vcc_lo
; %bb.1640:                             ;   in Loop: Header=BB266_1062 Depth=1
	v_cmp_lt_i32_e64 s0, v115, v47
	s_delay_alu instid0(VALU_DEP_1) | instskip(SKIP_1) | instid1(VALU_DEP_1)
	v_cndmask_b32_e64 v90, 0, v90, s0
	v_cmp_lt_i32_e64 s0, v118, v47
	v_cndmask_b32_e64 v91, 0, v91, s0
	v_cmp_lt_i32_e64 s0, v117, v47
	s_delay_alu instid0(VALU_DEP_1) | instskip(SKIP_1) | instid1(VALU_DEP_1)
	v_cndmask_b32_e64 v89, 0, v89, s0
	v_cmp_lt_i32_e64 s0, v116, v47
	v_cndmask_b32_e64 v88, 0, v88, s0
; %bb.1641:                             ;   in Loop: Header=BB266_1062 Depth=1
	s_or_b32 exec_lo, exec_lo, s10
	flat_load_b32 v26, v[14:15] offset:2176
	v_mov_b32_e32 v16, 0
	v_mov_b32_e32 v17, 0
	s_mov_b32 s10, exec_lo
	s_waitcnt vmcnt(0) lgkmcnt(0)
	v_and_b32_e32 v8, 0xff, v26
	s_delay_alu instid0(VALU_DEP_2) | instskip(NEXT) | instid1(VALU_DEP_2)
	v_dual_mov_b32 v4, v16 :: v_dual_mov_b32 v5, v17
	v_cmpx_ne_u16_e32 0, v8
	s_cbranch_execz .LBB266_1649
; %bb.1642:                             ;   in Loop: Header=BB266_1062 Depth=1
	v_bfrev_b32_e32 v4, 1
	v_mov_b32_e32 v5, 0
	s_mov_b32 s13, exec_lo
	v_cmpx_ne_u16_e32 0x80, v8
	s_cbranch_execz .LBB266_1648
; %bb.1643:                             ;   in Loop: Header=BB266_1062 Depth=1
	v_mov_b32_e32 v4, 0x7f800001
	v_dual_mov_b32 v5, 0 :: v_dual_and_b32 v18, 0x7f, v26
	s_mov_b32 s15, exec_lo
	s_delay_alu instid0(VALU_DEP_1)
	v_cmpx_ne_u32_e32 0x7f, v18
	s_cbranch_execz .LBB266_1647
; %bb.1644:                             ;   in Loop: Header=BB266_1062 Depth=1
	v_and_b32_e32 v8, 7, v26
	v_lshrrev_b32_e32 v4, 3, v18
	s_mov_b32 s16, exec_lo
	v_cmpx_gt_u32_e32 8, v18
; %bb.1645:                             ;   in Loop: Header=BB266_1062 Depth=1
	s_delay_alu instid0(VALU_DEP_3) | instskip(NEXT) | instid1(VALU_DEP_1)
	v_clz_i32_u32_e32 v4, v8
	v_min_u32_e32 v4, 32, v4
	s_delay_alu instid0(VALU_DEP_1) | instskip(SKIP_1) | instid1(VALU_DEP_2)
	v_subrev_nc_u32_e32 v5, 28, v4
	v_sub_nc_u32_e32 v4, 29, v4
	v_lshlrev_b64 v[18:19], v5, v[8:9]
	s_delay_alu instid0(VALU_DEP_1)
	v_and_b32_e32 v8, 7, v18
; %bb.1646:                             ;   in Loop: Header=BB266_1062 Depth=1
	s_or_b32 exec_lo, exec_lo, s16
	v_lshlrev_b32_e32 v5, 24, v26
	s_delay_alu instid0(VALU_DEP_2) | instskip(SKIP_1) | instid1(VALU_DEP_3)
	v_lshlrev_b32_e32 v8, 20, v8
	v_lshl_add_u32 v4, v4, 23, 0x3c000000
	v_and_b32_e32 v5, 0x80000000, v5
	s_delay_alu instid0(VALU_DEP_1) | instskip(NEXT) | instid1(VALU_DEP_1)
	v_or3_b32 v8, v8, v5, v4
	v_dual_mov_b32 v4, v8 :: v_dual_mov_b32 v5, v9
.LBB266_1647:                           ;   in Loop: Header=BB266_1062 Depth=1
	s_or_b32 exec_lo, exec_lo, s15
.LBB266_1648:                           ;   in Loop: Header=BB266_1062 Depth=1
	s_delay_alu instid0(SALU_CYCLE_1)
	s_or_b32 exec_lo, exec_lo, s13
.LBB266_1649:                           ;   in Loop: Header=BB266_1062 Depth=1
	s_delay_alu instid0(SALU_CYCLE_1) | instskip(SKIP_2) | instid1(VALU_DEP_1)
	s_or_b32 exec_lo, exec_lo, s10
	v_lshrrev_b16 v8, 8, v26
	s_mov_b32 s13, exec_lo
	v_cmpx_ne_u16_e32 0, v8
	s_cbranch_execz .LBB266_1657
; %bb.1650:                             ;   in Loop: Header=BB266_1062 Depth=1
	v_dual_mov_b32 v17, s9 :: v_dual_mov_b32 v16, s8
	s_mov_b32 s15, exec_lo
	v_cmpx_ne_u16_e32 0x80, v8
	s_cbranch_execz .LBB266_1656
; %bb.1651:                             ;   in Loop: Header=BB266_1062 Depth=1
	s_mov_b32 s10, s8
	v_dual_mov_b32 v17, s11 :: v_dual_and_b32 v8, 0xffff, v8
	v_mov_b32_e32 v16, s10
	s_mov_b32 s10, exec_lo
	s_delay_alu instid0(VALU_DEP_2) | instskip(NEXT) | instid1(VALU_DEP_1)
	v_and_b32_e32 v18, 0x7f, v8
	v_cmpx_ne_u32_e32 0x7f, v18
	s_cbranch_execz .LBB266_1655
; %bb.1652:                             ;   in Loop: Header=BB266_1062 Depth=1
	v_and_b32_e32 v8, 7, v8
	v_lshrrev_b32_e32 v16, 3, v18
	s_mov_b32 s16, exec_lo
	v_cmpx_gt_u32_e32 8, v18
; %bb.1653:                             ;   in Loop: Header=BB266_1062 Depth=1
	s_delay_alu instid0(VALU_DEP_3) | instskip(NEXT) | instid1(VALU_DEP_1)
	v_clz_i32_u32_e32 v16, v8
	v_min_u32_e32 v16, 32, v16
	s_delay_alu instid0(VALU_DEP_1) | instskip(SKIP_1) | instid1(VALU_DEP_2)
	v_subrev_nc_u32_e32 v17, 28, v16
	v_sub_nc_u32_e32 v16, 29, v16
	v_lshlrev_b64 v[17:18], v17, v[8:9]
	s_delay_alu instid0(VALU_DEP_1)
	v_and_b32_e32 v8, 7, v17
; %bb.1654:                             ;   in Loop: Header=BB266_1062 Depth=1
	s_or_b32 exec_lo, exec_lo, s16
	v_lshlrev_b32_e32 v17, 16, v26
	s_delay_alu instid0(VALU_DEP_2) | instskip(SKIP_1) | instid1(VALU_DEP_3)
	v_lshlrev_b32_e32 v8, 20, v8
	v_lshl_add_u32 v16, v16, 23, 0x3c000000
	v_and_b32_e32 v17, 0x80000000, v17
	s_delay_alu instid0(VALU_DEP_1)
	v_or3_b32 v17, v8, v17, v16
	v_mov_b32_e32 v16, v9
.LBB266_1655:                           ;   in Loop: Header=BB266_1062 Depth=1
	s_or_b32 exec_lo, exec_lo, s10
.LBB266_1656:                           ;   in Loop: Header=BB266_1062 Depth=1
	s_delay_alu instid0(SALU_CYCLE_1)
	s_or_b32 exec_lo, exec_lo, s15
.LBB266_1657:                           ;   in Loop: Header=BB266_1062 Depth=1
	s_delay_alu instid0(SALU_CYCLE_1) | instskip(SKIP_4) | instid1(VALU_DEP_2)
	s_or_b32 exec_lo, exec_lo, s13
	v_mov_b32_e32 v20, 0
	v_lshrrev_b32_e32 v86, 16, v26
	v_mov_b32_e32 v21, 0
	s_mov_b32 s10, exec_lo
	v_and_b32_e32 v8, 0xff, v86
	s_delay_alu instid0(VALU_DEP_2) | instskip(NEXT) | instid1(VALU_DEP_2)
	v_dual_mov_b32 v18, v20 :: v_dual_mov_b32 v19, v21
	v_cmpx_ne_u16_e32 0, v8
	s_cbranch_execz .LBB266_1665
; %bb.1658:                             ;   in Loop: Header=BB266_1062 Depth=1
	v_bfrev_b32_e32 v18, 1
	v_mov_b32_e32 v19, 0
	s_mov_b32 s13, exec_lo
	v_cmpx_ne_u16_e32 0x80, v8
	s_cbranch_execz .LBB266_1664
; %bb.1659:                             ;   in Loop: Header=BB266_1062 Depth=1
	v_mov_b32_e32 v18, 0x7f800001
	v_bfe_u32 v87, v26, 16, 7
	v_mov_b32_e32 v19, 0
	s_mov_b32 s15, exec_lo
	s_delay_alu instid0(VALU_DEP_2)
	v_cmpx_ne_u32_e32 0x7f, v87
	s_cbranch_execz .LBB266_1663
; %bb.1660:                             ;   in Loop: Header=BB266_1062 Depth=1
	v_and_b32_e32 v8, 7, v86
	v_lshrrev_b32_e32 v18, 3, v87
	s_mov_b32 s16, exec_lo
	v_cmpx_gt_u32_e32 8, v87
; %bb.1661:                             ;   in Loop: Header=BB266_1062 Depth=1
	s_delay_alu instid0(VALU_DEP_3) | instskip(NEXT) | instid1(VALU_DEP_1)
	v_clz_i32_u32_e32 v18, v8
	v_min_u32_e32 v18, 32, v18
	s_delay_alu instid0(VALU_DEP_1) | instskip(SKIP_1) | instid1(VALU_DEP_2)
	v_subrev_nc_u32_e32 v19, 28, v18
	v_sub_nc_u32_e32 v18, 29, v18
	v_lshlrev_b64 v[92:93], v19, v[8:9]
	s_delay_alu instid0(VALU_DEP_1)
	v_and_b32_e32 v8, 7, v92
; %bb.1662:                             ;   in Loop: Header=BB266_1062 Depth=1
	s_or_b32 exec_lo, exec_lo, s16
	v_lshlrev_b32_e32 v19, 24, v86
	s_delay_alu instid0(VALU_DEP_2) | instskip(SKIP_1) | instid1(VALU_DEP_3)
	v_lshlrev_b32_e32 v8, 20, v8
	v_lshl_add_u32 v18, v18, 23, 0x3c000000
	v_and_b32_e32 v19, 0x80000000, v19
	s_delay_alu instid0(VALU_DEP_1) | instskip(NEXT) | instid1(VALU_DEP_1)
	v_or3_b32 v8, v8, v19, v18
	v_dual_mov_b32 v19, v9 :: v_dual_mov_b32 v18, v8
.LBB266_1663:                           ;   in Loop: Header=BB266_1062 Depth=1
	s_or_b32 exec_lo, exec_lo, s15
.LBB266_1664:                           ;   in Loop: Header=BB266_1062 Depth=1
	s_delay_alu instid0(SALU_CYCLE_1)
	s_or_b32 exec_lo, exec_lo, s13
.LBB266_1665:                           ;   in Loop: Header=BB266_1062 Depth=1
	s_delay_alu instid0(SALU_CYCLE_1) | instskip(NEXT) | instid1(SALU_CYCLE_1)
	s_or_b32 exec_lo, exec_lo, s10
	s_mov_b32 s13, exec_lo
	v_cmpx_lt_u32_e32 0xffffff, v26
	s_cbranch_execz .LBB266_1673
; %bb.1666:                             ;   in Loop: Header=BB266_1062 Depth=1
	v_lshrrev_b32_e32 v86, 24, v26
	v_dual_mov_b32 v21, s9 :: v_dual_mov_b32 v20, s8
	s_mov_b32 s15, exec_lo
	s_delay_alu instid0(VALU_DEP_2)
	v_cmpx_ne_u32_e32 0x80, v86
	s_cbranch_execz .LBB266_1672
; %bb.1667:                             ;   in Loop: Header=BB266_1062 Depth=1
	s_mov_b32 s10, s8
	v_bfe_u32 v26, v26, 24, 7
	v_dual_mov_b32 v21, s11 :: v_dual_mov_b32 v20, s10
	s_mov_b32 s10, exec_lo
	s_delay_alu instid0(VALU_DEP_2)
	v_cmpx_ne_u32_e32 0x7f, v26
	s_cbranch_execz .LBB266_1671
; %bb.1668:                             ;   in Loop: Header=BB266_1062 Depth=1
	v_and_b32_e32 v8, 7, v86
	v_lshrrev_b32_e32 v20, 3, v26
	s_mov_b32 s16, exec_lo
	v_cmpx_gt_u32_e32 8, v26
; %bb.1669:                             ;   in Loop: Header=BB266_1062 Depth=1
	s_delay_alu instid0(VALU_DEP_3) | instskip(NEXT) | instid1(VALU_DEP_1)
	v_clz_i32_u32_e32 v20, v8
	v_min_u32_e32 v20, 32, v20
	s_delay_alu instid0(VALU_DEP_1) | instskip(SKIP_1) | instid1(VALU_DEP_2)
	v_subrev_nc_u32_e32 v21, 28, v20
	v_sub_nc_u32_e32 v20, 29, v20
	v_lshlrev_b64 v[92:93], v21, v[8:9]
	s_delay_alu instid0(VALU_DEP_1)
	v_and_b32_e32 v8, 7, v92
; %bb.1670:                             ;   in Loop: Header=BB266_1062 Depth=1
	s_or_b32 exec_lo, exec_lo, s16
	v_lshlrev_b32_e32 v21, 24, v86
	s_delay_alu instid0(VALU_DEP_2) | instskip(SKIP_1) | instid1(VALU_DEP_3)
	v_lshlrev_b32_e32 v8, 20, v8
	v_lshl_add_u32 v20, v20, 23, 0x3c000000
	v_and_b32_e32 v21, 0x80000000, v21
	s_delay_alu instid0(VALU_DEP_1)
	v_or3_b32 v21, v8, v21, v20
	v_mov_b32_e32 v20, v9
.LBB266_1671:                           ;   in Loop: Header=BB266_1062 Depth=1
	s_or_b32 exec_lo, exec_lo, s10
.LBB266_1672:                           ;   in Loop: Header=BB266_1062 Depth=1
	s_delay_alu instid0(SALU_CYCLE_1)
	s_or_b32 exec_lo, exec_lo, s15
.LBB266_1673:                           ;   in Loop: Header=BB266_1062 Depth=1
	s_delay_alu instid0(SALU_CYCLE_1) | instskip(SKIP_4) | instid1(VALU_DEP_4)
	s_or_b32 exec_lo, exec_lo, s13
	v_or_b32_e32 v5, v17, v5
	v_or_b32_e32 v4, v16, v4
	;; [unrolled: 1-line block ×4, first 2 shown]
	v_mul_f32_e32 v95, v102, v5
	s_delay_alu instid0(VALU_DEP_4) | instskip(NEXT) | instid1(VALU_DEP_4)
	v_mul_f32_e32 v94, v102, v4
	v_mul_f32_e32 v92, v102, v8
	s_delay_alu instid0(VALU_DEP_4)
	v_mul_f32_e32 v93, v102, v16
	s_and_saveexec_b32 s10, vcc_lo
; %bb.1674:                             ;   in Loop: Header=BB266_1062 Depth=1
	v_cmp_lt_i32_e64 s0, v115, v47
	s_delay_alu instid0(VALU_DEP_1) | instskip(SKIP_1) | instid1(VALU_DEP_1)
	v_cndmask_b32_e64 v94, 0, v94, s0
	v_cmp_lt_i32_e64 s0, v118, v47
	v_cndmask_b32_e64 v95, 0, v95, s0
	v_cmp_lt_i32_e64 s0, v117, v47
	s_delay_alu instid0(VALU_DEP_1) | instskip(SKIP_1) | instid1(VALU_DEP_1)
	v_cndmask_b32_e64 v93, 0, v93, s0
	v_cmp_lt_i32_e64 s0, v116, v47
	v_cndmask_b32_e64 v92, 0, v92, s0
; %bb.1675:                             ;   in Loop: Header=BB266_1062 Depth=1
	s_or_b32 exec_lo, exec_lo, s10
	flat_load_b32 v26, v[14:15] offset:2304
	v_mov_b32_e32 v16, 0
	v_mov_b32_e32 v17, 0
	s_mov_b32 s10, exec_lo
	s_waitcnt vmcnt(0) lgkmcnt(0)
	v_and_b32_e32 v8, 0xff, v26
	s_delay_alu instid0(VALU_DEP_2) | instskip(NEXT) | instid1(VALU_DEP_2)
	v_dual_mov_b32 v4, v16 :: v_dual_mov_b32 v5, v17
	v_cmpx_ne_u16_e32 0, v8
	s_cbranch_execz .LBB266_1683
; %bb.1676:                             ;   in Loop: Header=BB266_1062 Depth=1
	v_bfrev_b32_e32 v4, 1
	v_mov_b32_e32 v5, 0
	s_mov_b32 s13, exec_lo
	v_cmpx_ne_u16_e32 0x80, v8
	s_cbranch_execz .LBB266_1682
; %bb.1677:                             ;   in Loop: Header=BB266_1062 Depth=1
	v_mov_b32_e32 v4, 0x7f800001
	v_dual_mov_b32 v5, 0 :: v_dual_and_b32 v18, 0x7f, v26
	s_mov_b32 s15, exec_lo
	s_delay_alu instid0(VALU_DEP_1)
	v_cmpx_ne_u32_e32 0x7f, v18
	s_cbranch_execz .LBB266_1681
; %bb.1678:                             ;   in Loop: Header=BB266_1062 Depth=1
	v_and_b32_e32 v8, 7, v26
	v_lshrrev_b32_e32 v4, 3, v18
	s_mov_b32 s16, exec_lo
	v_cmpx_gt_u32_e32 8, v18
; %bb.1679:                             ;   in Loop: Header=BB266_1062 Depth=1
	s_delay_alu instid0(VALU_DEP_3) | instskip(NEXT) | instid1(VALU_DEP_1)
	v_clz_i32_u32_e32 v4, v8
	v_min_u32_e32 v4, 32, v4
	s_delay_alu instid0(VALU_DEP_1) | instskip(SKIP_1) | instid1(VALU_DEP_2)
	v_subrev_nc_u32_e32 v5, 28, v4
	v_sub_nc_u32_e32 v4, 29, v4
	v_lshlrev_b64 v[18:19], v5, v[8:9]
	s_delay_alu instid0(VALU_DEP_1)
	v_and_b32_e32 v8, 7, v18
; %bb.1680:                             ;   in Loop: Header=BB266_1062 Depth=1
	s_or_b32 exec_lo, exec_lo, s16
	v_lshlrev_b32_e32 v5, 24, v26
	s_delay_alu instid0(VALU_DEP_2) | instskip(SKIP_1) | instid1(VALU_DEP_3)
	v_lshlrev_b32_e32 v8, 20, v8
	v_lshl_add_u32 v4, v4, 23, 0x3c000000
	v_and_b32_e32 v5, 0x80000000, v5
	s_delay_alu instid0(VALU_DEP_1) | instskip(NEXT) | instid1(VALU_DEP_1)
	v_or3_b32 v8, v8, v5, v4
	v_dual_mov_b32 v4, v8 :: v_dual_mov_b32 v5, v9
.LBB266_1681:                           ;   in Loop: Header=BB266_1062 Depth=1
	s_or_b32 exec_lo, exec_lo, s15
.LBB266_1682:                           ;   in Loop: Header=BB266_1062 Depth=1
	s_delay_alu instid0(SALU_CYCLE_1)
	s_or_b32 exec_lo, exec_lo, s13
.LBB266_1683:                           ;   in Loop: Header=BB266_1062 Depth=1
	s_delay_alu instid0(SALU_CYCLE_1) | instskip(SKIP_2) | instid1(VALU_DEP_1)
	s_or_b32 exec_lo, exec_lo, s10
	v_lshrrev_b16 v8, 8, v26
	s_mov_b32 s13, exec_lo
	v_cmpx_ne_u16_e32 0, v8
	s_cbranch_execz .LBB266_1691
; %bb.1684:                             ;   in Loop: Header=BB266_1062 Depth=1
	v_dual_mov_b32 v17, s9 :: v_dual_mov_b32 v16, s8
	s_mov_b32 s15, exec_lo
	v_cmpx_ne_u16_e32 0x80, v8
	s_cbranch_execz .LBB266_1690
; %bb.1685:                             ;   in Loop: Header=BB266_1062 Depth=1
	s_mov_b32 s10, s8
	v_dual_mov_b32 v17, s11 :: v_dual_and_b32 v8, 0xffff, v8
	v_mov_b32_e32 v16, s10
	s_mov_b32 s10, exec_lo
	s_delay_alu instid0(VALU_DEP_2) | instskip(NEXT) | instid1(VALU_DEP_1)
	v_and_b32_e32 v18, 0x7f, v8
	v_cmpx_ne_u32_e32 0x7f, v18
	s_cbranch_execz .LBB266_1689
; %bb.1686:                             ;   in Loop: Header=BB266_1062 Depth=1
	v_and_b32_e32 v8, 7, v8
	v_lshrrev_b32_e32 v16, 3, v18
	s_mov_b32 s16, exec_lo
	v_cmpx_gt_u32_e32 8, v18
; %bb.1687:                             ;   in Loop: Header=BB266_1062 Depth=1
	s_delay_alu instid0(VALU_DEP_3) | instskip(NEXT) | instid1(VALU_DEP_1)
	v_clz_i32_u32_e32 v16, v8
	v_min_u32_e32 v16, 32, v16
	s_delay_alu instid0(VALU_DEP_1) | instskip(SKIP_1) | instid1(VALU_DEP_2)
	v_subrev_nc_u32_e32 v17, 28, v16
	v_sub_nc_u32_e32 v16, 29, v16
	v_lshlrev_b64 v[17:18], v17, v[8:9]
	s_delay_alu instid0(VALU_DEP_1)
	v_and_b32_e32 v8, 7, v17
; %bb.1688:                             ;   in Loop: Header=BB266_1062 Depth=1
	s_or_b32 exec_lo, exec_lo, s16
	v_lshlrev_b32_e32 v17, 16, v26
	s_delay_alu instid0(VALU_DEP_2) | instskip(SKIP_1) | instid1(VALU_DEP_3)
	v_lshlrev_b32_e32 v8, 20, v8
	v_lshl_add_u32 v16, v16, 23, 0x3c000000
	v_and_b32_e32 v17, 0x80000000, v17
	s_delay_alu instid0(VALU_DEP_1)
	v_or3_b32 v17, v8, v17, v16
	v_mov_b32_e32 v16, v9
.LBB266_1689:                           ;   in Loop: Header=BB266_1062 Depth=1
	s_or_b32 exec_lo, exec_lo, s10
.LBB266_1690:                           ;   in Loop: Header=BB266_1062 Depth=1
	s_delay_alu instid0(SALU_CYCLE_1)
	s_or_b32 exec_lo, exec_lo, s15
.LBB266_1691:                           ;   in Loop: Header=BB266_1062 Depth=1
	s_delay_alu instid0(SALU_CYCLE_1) | instskip(SKIP_4) | instid1(VALU_DEP_2)
	s_or_b32 exec_lo, exec_lo, s13
	v_mov_b32_e32 v20, 0
	v_lshrrev_b32_e32 v86, 16, v26
	v_mov_b32_e32 v21, 0
	s_mov_b32 s10, exec_lo
	v_and_b32_e32 v8, 0xff, v86
	s_delay_alu instid0(VALU_DEP_2) | instskip(NEXT) | instid1(VALU_DEP_2)
	v_dual_mov_b32 v18, v20 :: v_dual_mov_b32 v19, v21
	v_cmpx_ne_u16_e32 0, v8
	s_cbranch_execz .LBB266_1699
; %bb.1692:                             ;   in Loop: Header=BB266_1062 Depth=1
	v_bfrev_b32_e32 v18, 1
	v_mov_b32_e32 v19, 0
	s_mov_b32 s13, exec_lo
	v_cmpx_ne_u16_e32 0x80, v8
	s_cbranch_execz .LBB266_1698
; %bb.1693:                             ;   in Loop: Header=BB266_1062 Depth=1
	v_mov_b32_e32 v18, 0x7f800001
	v_bfe_u32 v87, v26, 16, 7
	v_mov_b32_e32 v19, 0
	s_mov_b32 s15, exec_lo
	s_delay_alu instid0(VALU_DEP_2)
	v_cmpx_ne_u32_e32 0x7f, v87
	s_cbranch_execz .LBB266_1697
; %bb.1694:                             ;   in Loop: Header=BB266_1062 Depth=1
	v_and_b32_e32 v8, 7, v86
	v_lshrrev_b32_e32 v18, 3, v87
	s_mov_b32 s16, exec_lo
	v_cmpx_gt_u32_e32 8, v87
; %bb.1695:                             ;   in Loop: Header=BB266_1062 Depth=1
	s_delay_alu instid0(VALU_DEP_3) | instskip(NEXT) | instid1(VALU_DEP_1)
	v_clz_i32_u32_e32 v18, v8
	v_min_u32_e32 v18, 32, v18
	s_delay_alu instid0(VALU_DEP_1) | instskip(SKIP_1) | instid1(VALU_DEP_2)
	v_subrev_nc_u32_e32 v19, 28, v18
	v_sub_nc_u32_e32 v18, 29, v18
	v_lshlrev_b64 v[104:105], v19, v[8:9]
	s_delay_alu instid0(VALU_DEP_1)
	v_and_b32_e32 v8, 7, v104
; %bb.1696:                             ;   in Loop: Header=BB266_1062 Depth=1
	s_or_b32 exec_lo, exec_lo, s16
	v_lshlrev_b32_e32 v19, 24, v86
	s_delay_alu instid0(VALU_DEP_2) | instskip(SKIP_1) | instid1(VALU_DEP_3)
	v_lshlrev_b32_e32 v8, 20, v8
	v_lshl_add_u32 v18, v18, 23, 0x3c000000
	v_and_b32_e32 v19, 0x80000000, v19
	s_delay_alu instid0(VALU_DEP_1) | instskip(NEXT) | instid1(VALU_DEP_1)
	v_or3_b32 v8, v8, v19, v18
	v_dual_mov_b32 v19, v9 :: v_dual_mov_b32 v18, v8
.LBB266_1697:                           ;   in Loop: Header=BB266_1062 Depth=1
	s_or_b32 exec_lo, exec_lo, s15
.LBB266_1698:                           ;   in Loop: Header=BB266_1062 Depth=1
	s_delay_alu instid0(SALU_CYCLE_1)
	s_or_b32 exec_lo, exec_lo, s13
.LBB266_1699:                           ;   in Loop: Header=BB266_1062 Depth=1
	s_delay_alu instid0(SALU_CYCLE_1) | instskip(NEXT) | instid1(SALU_CYCLE_1)
	s_or_b32 exec_lo, exec_lo, s10
	s_mov_b32 s13, exec_lo
	v_cmpx_lt_u32_e32 0xffffff, v26
	s_cbranch_execz .LBB266_1707
; %bb.1700:                             ;   in Loop: Header=BB266_1062 Depth=1
	v_lshrrev_b32_e32 v86, 24, v26
	v_dual_mov_b32 v21, s9 :: v_dual_mov_b32 v20, s8
	s_mov_b32 s15, exec_lo
	s_delay_alu instid0(VALU_DEP_2)
	v_cmpx_ne_u32_e32 0x80, v86
	s_cbranch_execz .LBB266_1706
; %bb.1701:                             ;   in Loop: Header=BB266_1062 Depth=1
	s_mov_b32 s10, s8
	v_bfe_u32 v26, v26, 24, 7
	v_dual_mov_b32 v21, s11 :: v_dual_mov_b32 v20, s10
	s_mov_b32 s10, exec_lo
	s_delay_alu instid0(VALU_DEP_2)
	v_cmpx_ne_u32_e32 0x7f, v26
	s_cbranch_execz .LBB266_1705
; %bb.1702:                             ;   in Loop: Header=BB266_1062 Depth=1
	v_and_b32_e32 v8, 7, v86
	v_lshrrev_b32_e32 v20, 3, v26
	s_mov_b32 s16, exec_lo
	v_cmpx_gt_u32_e32 8, v26
; %bb.1703:                             ;   in Loop: Header=BB266_1062 Depth=1
	s_delay_alu instid0(VALU_DEP_3) | instskip(NEXT) | instid1(VALU_DEP_1)
	v_clz_i32_u32_e32 v20, v8
	v_min_u32_e32 v20, 32, v20
	s_delay_alu instid0(VALU_DEP_1) | instskip(SKIP_1) | instid1(VALU_DEP_2)
	v_subrev_nc_u32_e32 v21, 28, v20
	v_sub_nc_u32_e32 v20, 29, v20
	v_lshlrev_b64 v[104:105], v21, v[8:9]
	s_delay_alu instid0(VALU_DEP_1)
	v_and_b32_e32 v8, 7, v104
; %bb.1704:                             ;   in Loop: Header=BB266_1062 Depth=1
	s_or_b32 exec_lo, exec_lo, s16
	v_lshlrev_b32_e32 v21, 24, v86
	s_delay_alu instid0(VALU_DEP_2) | instskip(SKIP_1) | instid1(VALU_DEP_3)
	v_lshlrev_b32_e32 v8, 20, v8
	v_lshl_add_u32 v20, v20, 23, 0x3c000000
	v_and_b32_e32 v21, 0x80000000, v21
	s_delay_alu instid0(VALU_DEP_1)
	v_or3_b32 v21, v8, v21, v20
	v_mov_b32_e32 v20, v9
.LBB266_1705:                           ;   in Loop: Header=BB266_1062 Depth=1
	s_or_b32 exec_lo, exec_lo, s10
.LBB266_1706:                           ;   in Loop: Header=BB266_1062 Depth=1
	s_delay_alu instid0(SALU_CYCLE_1)
	s_or_b32 exec_lo, exec_lo, s15
.LBB266_1707:                           ;   in Loop: Header=BB266_1062 Depth=1
	s_delay_alu instid0(SALU_CYCLE_1) | instskip(SKIP_4) | instid1(VALU_DEP_4)
	s_or_b32 exec_lo, exec_lo, s13
	v_or_b32_e32 v5, v17, v5
	v_or_b32_e32 v4, v16, v4
	;; [unrolled: 1-line block ×4, first 2 shown]
	v_mul_f32_e32 v107, v102, v5
	s_delay_alu instid0(VALU_DEP_4) | instskip(NEXT) | instid1(VALU_DEP_4)
	v_mul_f32_e32 v106, v102, v4
	v_mul_f32_e32 v104, v102, v8
	s_delay_alu instid0(VALU_DEP_4)
	v_mul_f32_e32 v105, v102, v16
	s_and_saveexec_b32 s10, vcc_lo
; %bb.1708:                             ;   in Loop: Header=BB266_1062 Depth=1
	v_cmp_lt_i32_e64 s0, v115, v47
	s_delay_alu instid0(VALU_DEP_1) | instskip(SKIP_1) | instid1(VALU_DEP_1)
	v_cndmask_b32_e64 v106, 0, v106, s0
	v_cmp_lt_i32_e64 s0, v118, v47
	v_cndmask_b32_e64 v107, 0, v107, s0
	v_cmp_lt_i32_e64 s0, v117, v47
	s_delay_alu instid0(VALU_DEP_1) | instskip(SKIP_1) | instid1(VALU_DEP_1)
	v_cndmask_b32_e64 v105, 0, v105, s0
	v_cmp_lt_i32_e64 s0, v116, v47
	v_cndmask_b32_e64 v104, 0, v104, s0
; %bb.1709:                             ;   in Loop: Header=BB266_1062 Depth=1
	s_or_b32 exec_lo, exec_lo, s10
	flat_load_b32 v26, v[14:15] offset:2432
	v_mov_b32_e32 v16, 0
	v_mov_b32_e32 v17, 0
	s_mov_b32 s10, exec_lo
	s_waitcnt vmcnt(0) lgkmcnt(0)
	v_and_b32_e32 v8, 0xff, v26
	s_delay_alu instid0(VALU_DEP_2) | instskip(NEXT) | instid1(VALU_DEP_2)
	v_dual_mov_b32 v4, v16 :: v_dual_mov_b32 v5, v17
	v_cmpx_ne_u16_e32 0, v8
	s_cbranch_execz .LBB266_1717
; %bb.1710:                             ;   in Loop: Header=BB266_1062 Depth=1
	v_bfrev_b32_e32 v4, 1
	v_mov_b32_e32 v5, 0
	s_mov_b32 s13, exec_lo
	v_cmpx_ne_u16_e32 0x80, v8
	s_cbranch_execz .LBB266_1716
; %bb.1711:                             ;   in Loop: Header=BB266_1062 Depth=1
	v_mov_b32_e32 v4, 0x7f800001
	v_dual_mov_b32 v5, 0 :: v_dual_and_b32 v18, 0x7f, v26
	s_mov_b32 s15, exec_lo
	s_delay_alu instid0(VALU_DEP_1)
	v_cmpx_ne_u32_e32 0x7f, v18
	s_cbranch_execz .LBB266_1715
; %bb.1712:                             ;   in Loop: Header=BB266_1062 Depth=1
	v_and_b32_e32 v8, 7, v26
	v_lshrrev_b32_e32 v4, 3, v18
	s_mov_b32 s16, exec_lo
	v_cmpx_gt_u32_e32 8, v18
; %bb.1713:                             ;   in Loop: Header=BB266_1062 Depth=1
	s_delay_alu instid0(VALU_DEP_3) | instskip(NEXT) | instid1(VALU_DEP_1)
	v_clz_i32_u32_e32 v4, v8
	v_min_u32_e32 v4, 32, v4
	s_delay_alu instid0(VALU_DEP_1) | instskip(SKIP_1) | instid1(VALU_DEP_2)
	v_subrev_nc_u32_e32 v5, 28, v4
	v_sub_nc_u32_e32 v4, 29, v4
	v_lshlrev_b64 v[18:19], v5, v[8:9]
	s_delay_alu instid0(VALU_DEP_1)
	v_and_b32_e32 v8, 7, v18
; %bb.1714:                             ;   in Loop: Header=BB266_1062 Depth=1
	s_or_b32 exec_lo, exec_lo, s16
	v_lshlrev_b32_e32 v5, 24, v26
	s_delay_alu instid0(VALU_DEP_2) | instskip(SKIP_1) | instid1(VALU_DEP_3)
	v_lshlrev_b32_e32 v8, 20, v8
	v_lshl_add_u32 v4, v4, 23, 0x3c000000
	v_and_b32_e32 v5, 0x80000000, v5
	s_delay_alu instid0(VALU_DEP_1) | instskip(NEXT) | instid1(VALU_DEP_1)
	v_or3_b32 v8, v8, v5, v4
	v_dual_mov_b32 v4, v8 :: v_dual_mov_b32 v5, v9
.LBB266_1715:                           ;   in Loop: Header=BB266_1062 Depth=1
	s_or_b32 exec_lo, exec_lo, s15
.LBB266_1716:                           ;   in Loop: Header=BB266_1062 Depth=1
	s_delay_alu instid0(SALU_CYCLE_1)
	s_or_b32 exec_lo, exec_lo, s13
.LBB266_1717:                           ;   in Loop: Header=BB266_1062 Depth=1
	s_delay_alu instid0(SALU_CYCLE_1) | instskip(SKIP_2) | instid1(VALU_DEP_1)
	s_or_b32 exec_lo, exec_lo, s10
	v_lshrrev_b16 v8, 8, v26
	s_mov_b32 s13, exec_lo
	v_cmpx_ne_u16_e32 0, v8
	s_cbranch_execz .LBB266_1725
; %bb.1718:                             ;   in Loop: Header=BB266_1062 Depth=1
	v_dual_mov_b32 v17, s9 :: v_dual_mov_b32 v16, s8
	s_mov_b32 s15, exec_lo
	v_cmpx_ne_u16_e32 0x80, v8
	s_cbranch_execz .LBB266_1724
; %bb.1719:                             ;   in Loop: Header=BB266_1062 Depth=1
	s_mov_b32 s10, s8
	v_dual_mov_b32 v17, s11 :: v_dual_and_b32 v8, 0xffff, v8
	v_mov_b32_e32 v16, s10
	s_mov_b32 s10, exec_lo
	s_delay_alu instid0(VALU_DEP_2) | instskip(NEXT) | instid1(VALU_DEP_1)
	v_and_b32_e32 v18, 0x7f, v8
	v_cmpx_ne_u32_e32 0x7f, v18
	s_cbranch_execz .LBB266_1723
; %bb.1720:                             ;   in Loop: Header=BB266_1062 Depth=1
	v_and_b32_e32 v8, 7, v8
	v_lshrrev_b32_e32 v16, 3, v18
	s_mov_b32 s16, exec_lo
	v_cmpx_gt_u32_e32 8, v18
; %bb.1721:                             ;   in Loop: Header=BB266_1062 Depth=1
	s_delay_alu instid0(VALU_DEP_3) | instskip(NEXT) | instid1(VALU_DEP_1)
	v_clz_i32_u32_e32 v16, v8
	v_min_u32_e32 v16, 32, v16
	s_delay_alu instid0(VALU_DEP_1) | instskip(SKIP_1) | instid1(VALU_DEP_2)
	v_subrev_nc_u32_e32 v17, 28, v16
	v_sub_nc_u32_e32 v16, 29, v16
	v_lshlrev_b64 v[17:18], v17, v[8:9]
	s_delay_alu instid0(VALU_DEP_1)
	v_and_b32_e32 v8, 7, v17
; %bb.1722:                             ;   in Loop: Header=BB266_1062 Depth=1
	s_or_b32 exec_lo, exec_lo, s16
	v_lshlrev_b32_e32 v17, 16, v26
	s_delay_alu instid0(VALU_DEP_2) | instskip(SKIP_1) | instid1(VALU_DEP_3)
	v_lshlrev_b32_e32 v8, 20, v8
	v_lshl_add_u32 v16, v16, 23, 0x3c000000
	v_and_b32_e32 v17, 0x80000000, v17
	s_delay_alu instid0(VALU_DEP_1)
	v_or3_b32 v17, v8, v17, v16
	v_mov_b32_e32 v16, v9
.LBB266_1723:                           ;   in Loop: Header=BB266_1062 Depth=1
	s_or_b32 exec_lo, exec_lo, s10
.LBB266_1724:                           ;   in Loop: Header=BB266_1062 Depth=1
	s_delay_alu instid0(SALU_CYCLE_1)
	s_or_b32 exec_lo, exec_lo, s15
.LBB266_1725:                           ;   in Loop: Header=BB266_1062 Depth=1
	s_delay_alu instid0(SALU_CYCLE_1) | instskip(SKIP_4) | instid1(VALU_DEP_2)
	s_or_b32 exec_lo, exec_lo, s13
	v_mov_b32_e32 v20, 0
	v_lshrrev_b32_e32 v86, 16, v26
	v_mov_b32_e32 v21, 0
	s_mov_b32 s10, exec_lo
	v_and_b32_e32 v8, 0xff, v86
	s_delay_alu instid0(VALU_DEP_2) | instskip(NEXT) | instid1(VALU_DEP_2)
	v_dual_mov_b32 v18, v20 :: v_dual_mov_b32 v19, v21
	v_cmpx_ne_u16_e32 0, v8
	s_cbranch_execz .LBB266_1733
; %bb.1726:                             ;   in Loop: Header=BB266_1062 Depth=1
	v_bfrev_b32_e32 v18, 1
	v_mov_b32_e32 v19, 0
	s_mov_b32 s13, exec_lo
	v_cmpx_ne_u16_e32 0x80, v8
	s_cbranch_execz .LBB266_1732
; %bb.1727:                             ;   in Loop: Header=BB266_1062 Depth=1
	v_mov_b32_e32 v18, 0x7f800001
	v_bfe_u32 v87, v26, 16, 7
	v_mov_b32_e32 v19, 0
	s_mov_b32 s15, exec_lo
	s_delay_alu instid0(VALU_DEP_2)
	v_cmpx_ne_u32_e32 0x7f, v87
	s_cbranch_execz .LBB266_1731
; %bb.1728:                             ;   in Loop: Header=BB266_1062 Depth=1
	v_and_b32_e32 v8, 7, v86
	v_lshrrev_b32_e32 v18, 3, v87
	s_mov_b32 s16, exec_lo
	v_cmpx_gt_u32_e32 8, v87
; %bb.1729:                             ;   in Loop: Header=BB266_1062 Depth=1
	s_delay_alu instid0(VALU_DEP_3) | instskip(NEXT) | instid1(VALU_DEP_1)
	v_clz_i32_u32_e32 v18, v8
	v_min_u32_e32 v18, 32, v18
	s_delay_alu instid0(VALU_DEP_1) | instskip(SKIP_1) | instid1(VALU_DEP_2)
	v_subrev_nc_u32_e32 v19, 28, v18
	v_sub_nc_u32_e32 v18, 29, v18
	v_lshlrev_b64 v[108:109], v19, v[8:9]
	s_delay_alu instid0(VALU_DEP_1)
	v_and_b32_e32 v8, 7, v108
; %bb.1730:                             ;   in Loop: Header=BB266_1062 Depth=1
	s_or_b32 exec_lo, exec_lo, s16
	v_lshlrev_b32_e32 v19, 24, v86
	s_delay_alu instid0(VALU_DEP_2) | instskip(SKIP_1) | instid1(VALU_DEP_3)
	v_lshlrev_b32_e32 v8, 20, v8
	v_lshl_add_u32 v18, v18, 23, 0x3c000000
	v_and_b32_e32 v19, 0x80000000, v19
	s_delay_alu instid0(VALU_DEP_1) | instskip(NEXT) | instid1(VALU_DEP_1)
	v_or3_b32 v8, v8, v19, v18
	v_dual_mov_b32 v19, v9 :: v_dual_mov_b32 v18, v8
.LBB266_1731:                           ;   in Loop: Header=BB266_1062 Depth=1
	s_or_b32 exec_lo, exec_lo, s15
.LBB266_1732:                           ;   in Loop: Header=BB266_1062 Depth=1
	s_delay_alu instid0(SALU_CYCLE_1)
	s_or_b32 exec_lo, exec_lo, s13
.LBB266_1733:                           ;   in Loop: Header=BB266_1062 Depth=1
	s_delay_alu instid0(SALU_CYCLE_1) | instskip(NEXT) | instid1(SALU_CYCLE_1)
	s_or_b32 exec_lo, exec_lo, s10
	s_mov_b32 s13, exec_lo
	v_cmpx_lt_u32_e32 0xffffff, v26
	s_cbranch_execz .LBB266_1741
; %bb.1734:                             ;   in Loop: Header=BB266_1062 Depth=1
	v_lshrrev_b32_e32 v86, 24, v26
	v_dual_mov_b32 v21, s9 :: v_dual_mov_b32 v20, s8
	s_mov_b32 s15, exec_lo
	s_delay_alu instid0(VALU_DEP_2)
	v_cmpx_ne_u32_e32 0x80, v86
	s_cbranch_execz .LBB266_1740
; %bb.1735:                             ;   in Loop: Header=BB266_1062 Depth=1
	s_mov_b32 s10, s8
	v_bfe_u32 v26, v26, 24, 7
	v_dual_mov_b32 v21, s11 :: v_dual_mov_b32 v20, s10
	s_mov_b32 s10, exec_lo
	s_delay_alu instid0(VALU_DEP_2)
	v_cmpx_ne_u32_e32 0x7f, v26
	s_cbranch_execz .LBB266_1739
; %bb.1736:                             ;   in Loop: Header=BB266_1062 Depth=1
	v_and_b32_e32 v8, 7, v86
	v_lshrrev_b32_e32 v20, 3, v26
	s_mov_b32 s16, exec_lo
	v_cmpx_gt_u32_e32 8, v26
; %bb.1737:                             ;   in Loop: Header=BB266_1062 Depth=1
	s_delay_alu instid0(VALU_DEP_3) | instskip(NEXT) | instid1(VALU_DEP_1)
	v_clz_i32_u32_e32 v20, v8
	v_min_u32_e32 v20, 32, v20
	s_delay_alu instid0(VALU_DEP_1) | instskip(SKIP_1) | instid1(VALU_DEP_2)
	v_subrev_nc_u32_e32 v21, 28, v20
	v_sub_nc_u32_e32 v20, 29, v20
	v_lshlrev_b64 v[108:109], v21, v[8:9]
	s_delay_alu instid0(VALU_DEP_1)
	v_and_b32_e32 v8, 7, v108
; %bb.1738:                             ;   in Loop: Header=BB266_1062 Depth=1
	s_or_b32 exec_lo, exec_lo, s16
	v_lshlrev_b32_e32 v21, 24, v86
	s_delay_alu instid0(VALU_DEP_2) | instskip(SKIP_1) | instid1(VALU_DEP_3)
	v_lshlrev_b32_e32 v8, 20, v8
	v_lshl_add_u32 v20, v20, 23, 0x3c000000
	v_and_b32_e32 v21, 0x80000000, v21
	s_delay_alu instid0(VALU_DEP_1)
	v_or3_b32 v21, v8, v21, v20
	v_mov_b32_e32 v20, v9
.LBB266_1739:                           ;   in Loop: Header=BB266_1062 Depth=1
	s_or_b32 exec_lo, exec_lo, s10
.LBB266_1740:                           ;   in Loop: Header=BB266_1062 Depth=1
	s_delay_alu instid0(SALU_CYCLE_1)
	s_or_b32 exec_lo, exec_lo, s15
.LBB266_1741:                           ;   in Loop: Header=BB266_1062 Depth=1
	s_delay_alu instid0(SALU_CYCLE_1) | instskip(SKIP_4) | instid1(VALU_DEP_4)
	s_or_b32 exec_lo, exec_lo, s13
	v_or_b32_e32 v5, v17, v5
	v_or_b32_e32 v4, v16, v4
	;; [unrolled: 1-line block ×4, first 2 shown]
	v_mul_f32_e32 v111, v102, v5
	s_delay_alu instid0(VALU_DEP_4) | instskip(NEXT) | instid1(VALU_DEP_4)
	v_mul_f32_e32 v110, v102, v4
	v_mul_f32_e32 v108, v102, v8
	s_delay_alu instid0(VALU_DEP_4)
	v_mul_f32_e32 v109, v102, v16
	s_and_saveexec_b32 s10, vcc_lo
; %bb.1742:                             ;   in Loop: Header=BB266_1062 Depth=1
	v_cmp_lt_i32_e64 s0, v115, v47
	s_delay_alu instid0(VALU_DEP_1) | instskip(SKIP_1) | instid1(VALU_DEP_1)
	v_cndmask_b32_e64 v110, 0, v110, s0
	v_cmp_lt_i32_e64 s0, v118, v47
	v_cndmask_b32_e64 v111, 0, v111, s0
	v_cmp_lt_i32_e64 s0, v117, v47
	s_delay_alu instid0(VALU_DEP_1) | instskip(SKIP_1) | instid1(VALU_DEP_1)
	v_cndmask_b32_e64 v109, 0, v109, s0
	v_cmp_lt_i32_e64 s0, v116, v47
	v_cndmask_b32_e64 v108, 0, v108, s0
; %bb.1743:                             ;   in Loop: Header=BB266_1062 Depth=1
	s_or_b32 exec_lo, exec_lo, s10
	flat_load_b32 v26, v[14:15] offset:2560
	v_mov_b32_e32 v16, 0
	v_mov_b32_e32 v17, 0
	s_mov_b32 s10, exec_lo
	s_waitcnt vmcnt(0) lgkmcnt(0)
	v_and_b32_e32 v8, 0xff, v26
	s_delay_alu instid0(VALU_DEP_2) | instskip(NEXT) | instid1(VALU_DEP_2)
	v_dual_mov_b32 v4, v16 :: v_dual_mov_b32 v5, v17
	v_cmpx_ne_u16_e32 0, v8
	s_cbranch_execz .LBB266_1751
; %bb.1744:                             ;   in Loop: Header=BB266_1062 Depth=1
	v_bfrev_b32_e32 v4, 1
	v_mov_b32_e32 v5, 0
	s_mov_b32 s13, exec_lo
	v_cmpx_ne_u16_e32 0x80, v8
	s_cbranch_execz .LBB266_1750
; %bb.1745:                             ;   in Loop: Header=BB266_1062 Depth=1
	v_mov_b32_e32 v4, 0x7f800001
	v_dual_mov_b32 v5, 0 :: v_dual_and_b32 v18, 0x7f, v26
	s_mov_b32 s15, exec_lo
	s_delay_alu instid0(VALU_DEP_1)
	v_cmpx_ne_u32_e32 0x7f, v18
	s_cbranch_execz .LBB266_1749
; %bb.1746:                             ;   in Loop: Header=BB266_1062 Depth=1
	v_and_b32_e32 v8, 7, v26
	v_lshrrev_b32_e32 v4, 3, v18
	s_mov_b32 s16, exec_lo
	v_cmpx_gt_u32_e32 8, v18
; %bb.1747:                             ;   in Loop: Header=BB266_1062 Depth=1
	s_delay_alu instid0(VALU_DEP_3) | instskip(NEXT) | instid1(VALU_DEP_1)
	v_clz_i32_u32_e32 v4, v8
	v_min_u32_e32 v4, 32, v4
	s_delay_alu instid0(VALU_DEP_1) | instskip(SKIP_1) | instid1(VALU_DEP_2)
	v_subrev_nc_u32_e32 v5, 28, v4
	v_sub_nc_u32_e32 v4, 29, v4
	v_lshlrev_b64 v[18:19], v5, v[8:9]
	s_delay_alu instid0(VALU_DEP_1)
	v_and_b32_e32 v8, 7, v18
; %bb.1748:                             ;   in Loop: Header=BB266_1062 Depth=1
	s_or_b32 exec_lo, exec_lo, s16
	v_lshlrev_b32_e32 v5, 24, v26
	s_delay_alu instid0(VALU_DEP_2) | instskip(SKIP_1) | instid1(VALU_DEP_3)
	v_lshlrev_b32_e32 v8, 20, v8
	v_lshl_add_u32 v4, v4, 23, 0x3c000000
	v_and_b32_e32 v5, 0x80000000, v5
	s_delay_alu instid0(VALU_DEP_1) | instskip(NEXT) | instid1(VALU_DEP_1)
	v_or3_b32 v8, v8, v5, v4
	v_dual_mov_b32 v4, v8 :: v_dual_mov_b32 v5, v9
.LBB266_1749:                           ;   in Loop: Header=BB266_1062 Depth=1
	s_or_b32 exec_lo, exec_lo, s15
.LBB266_1750:                           ;   in Loop: Header=BB266_1062 Depth=1
	s_delay_alu instid0(SALU_CYCLE_1)
	s_or_b32 exec_lo, exec_lo, s13
.LBB266_1751:                           ;   in Loop: Header=BB266_1062 Depth=1
	s_delay_alu instid0(SALU_CYCLE_1) | instskip(SKIP_2) | instid1(VALU_DEP_1)
	s_or_b32 exec_lo, exec_lo, s10
	v_lshrrev_b16 v8, 8, v26
	s_mov_b32 s13, exec_lo
	v_cmpx_ne_u16_e32 0, v8
	s_cbranch_execz .LBB266_1759
; %bb.1752:                             ;   in Loop: Header=BB266_1062 Depth=1
	v_dual_mov_b32 v17, s9 :: v_dual_mov_b32 v16, s8
	s_mov_b32 s15, exec_lo
	v_cmpx_ne_u16_e32 0x80, v8
	s_cbranch_execz .LBB266_1758
; %bb.1753:                             ;   in Loop: Header=BB266_1062 Depth=1
	s_mov_b32 s10, s8
	v_dual_mov_b32 v17, s11 :: v_dual_and_b32 v8, 0xffff, v8
	v_mov_b32_e32 v16, s10
	s_mov_b32 s10, exec_lo
	s_delay_alu instid0(VALU_DEP_2) | instskip(NEXT) | instid1(VALU_DEP_1)
	v_and_b32_e32 v18, 0x7f, v8
	v_cmpx_ne_u32_e32 0x7f, v18
	s_cbranch_execz .LBB266_1757
; %bb.1754:                             ;   in Loop: Header=BB266_1062 Depth=1
	v_and_b32_e32 v8, 7, v8
	v_lshrrev_b32_e32 v16, 3, v18
	s_mov_b32 s16, exec_lo
	v_cmpx_gt_u32_e32 8, v18
; %bb.1755:                             ;   in Loop: Header=BB266_1062 Depth=1
	s_delay_alu instid0(VALU_DEP_3) | instskip(NEXT) | instid1(VALU_DEP_1)
	v_clz_i32_u32_e32 v16, v8
	v_min_u32_e32 v16, 32, v16
	s_delay_alu instid0(VALU_DEP_1) | instskip(SKIP_1) | instid1(VALU_DEP_2)
	v_subrev_nc_u32_e32 v17, 28, v16
	v_sub_nc_u32_e32 v16, 29, v16
	v_lshlrev_b64 v[17:18], v17, v[8:9]
	s_delay_alu instid0(VALU_DEP_1)
	v_and_b32_e32 v8, 7, v17
; %bb.1756:                             ;   in Loop: Header=BB266_1062 Depth=1
	s_or_b32 exec_lo, exec_lo, s16
	v_lshlrev_b32_e32 v17, 16, v26
	s_delay_alu instid0(VALU_DEP_2) | instskip(SKIP_1) | instid1(VALU_DEP_3)
	v_lshlrev_b32_e32 v8, 20, v8
	v_lshl_add_u32 v16, v16, 23, 0x3c000000
	v_and_b32_e32 v17, 0x80000000, v17
	s_delay_alu instid0(VALU_DEP_1)
	v_or3_b32 v17, v8, v17, v16
	v_mov_b32_e32 v16, v9
.LBB266_1757:                           ;   in Loop: Header=BB266_1062 Depth=1
	s_or_b32 exec_lo, exec_lo, s10
.LBB266_1758:                           ;   in Loop: Header=BB266_1062 Depth=1
	s_delay_alu instid0(SALU_CYCLE_1)
	s_or_b32 exec_lo, exec_lo, s15
.LBB266_1759:                           ;   in Loop: Header=BB266_1062 Depth=1
	s_delay_alu instid0(SALU_CYCLE_1) | instskip(SKIP_4) | instid1(VALU_DEP_2)
	s_or_b32 exec_lo, exec_lo, s13
	v_mov_b32_e32 v20, 0
	v_lshrrev_b32_e32 v86, 16, v26
	v_mov_b32_e32 v21, 0
	s_mov_b32 s10, exec_lo
	v_and_b32_e32 v8, 0xff, v86
	s_delay_alu instid0(VALU_DEP_2) | instskip(NEXT) | instid1(VALU_DEP_2)
	v_dual_mov_b32 v18, v20 :: v_dual_mov_b32 v19, v21
	v_cmpx_ne_u16_e32 0, v8
	s_cbranch_execz .LBB266_1767
; %bb.1760:                             ;   in Loop: Header=BB266_1062 Depth=1
	v_bfrev_b32_e32 v18, 1
	v_mov_b32_e32 v19, 0
	s_mov_b32 s13, exec_lo
	v_cmpx_ne_u16_e32 0x80, v8
	s_cbranch_execz .LBB266_1766
; %bb.1761:                             ;   in Loop: Header=BB266_1062 Depth=1
	v_mov_b32_e32 v18, 0x7f800001
	v_bfe_u32 v87, v26, 16, 7
	v_mov_b32_e32 v19, 0
	s_mov_b32 s15, exec_lo
	s_delay_alu instid0(VALU_DEP_2)
	v_cmpx_ne_u32_e32 0x7f, v87
	s_cbranch_execz .LBB266_1765
; %bb.1762:                             ;   in Loop: Header=BB266_1062 Depth=1
	v_and_b32_e32 v8, 7, v86
	v_lshrrev_b32_e32 v18, 3, v87
	s_mov_b32 s16, exec_lo
	v_cmpx_gt_u32_e32 8, v87
; %bb.1763:                             ;   in Loop: Header=BB266_1062 Depth=1
	s_delay_alu instid0(VALU_DEP_3) | instskip(NEXT) | instid1(VALU_DEP_1)
	v_clz_i32_u32_e32 v18, v8
	v_min_u32_e32 v18, 32, v18
	s_delay_alu instid0(VALU_DEP_1) | instskip(SKIP_1) | instid1(VALU_DEP_2)
	v_subrev_nc_u32_e32 v19, 28, v18
	v_sub_nc_u32_e32 v18, 29, v18
	v_lshlrev_b64 v[121:122], v19, v[8:9]
	s_delay_alu instid0(VALU_DEP_1)
	v_and_b32_e32 v8, 7, v121
; %bb.1764:                             ;   in Loop: Header=BB266_1062 Depth=1
	s_or_b32 exec_lo, exec_lo, s16
	v_lshlrev_b32_e32 v19, 24, v86
	s_delay_alu instid0(VALU_DEP_2) | instskip(SKIP_1) | instid1(VALU_DEP_3)
	v_lshlrev_b32_e32 v8, 20, v8
	v_lshl_add_u32 v18, v18, 23, 0x3c000000
	v_and_b32_e32 v19, 0x80000000, v19
	s_delay_alu instid0(VALU_DEP_1) | instskip(NEXT) | instid1(VALU_DEP_1)
	v_or3_b32 v8, v8, v19, v18
	v_dual_mov_b32 v19, v9 :: v_dual_mov_b32 v18, v8
.LBB266_1765:                           ;   in Loop: Header=BB266_1062 Depth=1
	s_or_b32 exec_lo, exec_lo, s15
.LBB266_1766:                           ;   in Loop: Header=BB266_1062 Depth=1
	s_delay_alu instid0(SALU_CYCLE_1)
	s_or_b32 exec_lo, exec_lo, s13
.LBB266_1767:                           ;   in Loop: Header=BB266_1062 Depth=1
	s_delay_alu instid0(SALU_CYCLE_1) | instskip(NEXT) | instid1(SALU_CYCLE_1)
	s_or_b32 exec_lo, exec_lo, s10
	s_mov_b32 s13, exec_lo
	v_cmpx_lt_u32_e32 0xffffff, v26
	s_cbranch_execz .LBB266_1775
; %bb.1768:                             ;   in Loop: Header=BB266_1062 Depth=1
	v_lshrrev_b32_e32 v86, 24, v26
	v_dual_mov_b32 v21, s9 :: v_dual_mov_b32 v20, s8
	s_mov_b32 s15, exec_lo
	s_delay_alu instid0(VALU_DEP_2)
	v_cmpx_ne_u32_e32 0x80, v86
	s_cbranch_execz .LBB266_1774
; %bb.1769:                             ;   in Loop: Header=BB266_1062 Depth=1
	s_mov_b32 s10, s8
	v_bfe_u32 v26, v26, 24, 7
	v_dual_mov_b32 v21, s11 :: v_dual_mov_b32 v20, s10
	s_mov_b32 s10, exec_lo
	s_delay_alu instid0(VALU_DEP_2)
	v_cmpx_ne_u32_e32 0x7f, v26
	s_cbranch_execz .LBB266_1773
; %bb.1770:                             ;   in Loop: Header=BB266_1062 Depth=1
	v_and_b32_e32 v8, 7, v86
	v_lshrrev_b32_e32 v20, 3, v26
	s_mov_b32 s16, exec_lo
	v_cmpx_gt_u32_e32 8, v26
; %bb.1771:                             ;   in Loop: Header=BB266_1062 Depth=1
	s_delay_alu instid0(VALU_DEP_3) | instskip(NEXT) | instid1(VALU_DEP_1)
	v_clz_i32_u32_e32 v20, v8
	v_min_u32_e32 v20, 32, v20
	s_delay_alu instid0(VALU_DEP_1) | instskip(SKIP_1) | instid1(VALU_DEP_2)
	v_subrev_nc_u32_e32 v21, 28, v20
	v_sub_nc_u32_e32 v20, 29, v20
	v_lshlrev_b64 v[121:122], v21, v[8:9]
	s_delay_alu instid0(VALU_DEP_1)
	v_and_b32_e32 v8, 7, v121
; %bb.1772:                             ;   in Loop: Header=BB266_1062 Depth=1
	s_or_b32 exec_lo, exec_lo, s16
	v_lshlrev_b32_e32 v21, 24, v86
	s_delay_alu instid0(VALU_DEP_2) | instskip(SKIP_1) | instid1(VALU_DEP_3)
	v_lshlrev_b32_e32 v8, 20, v8
	v_lshl_add_u32 v20, v20, 23, 0x3c000000
	v_and_b32_e32 v21, 0x80000000, v21
	s_delay_alu instid0(VALU_DEP_1)
	v_or3_b32 v21, v8, v21, v20
	v_mov_b32_e32 v20, v9
.LBB266_1773:                           ;   in Loop: Header=BB266_1062 Depth=1
	s_or_b32 exec_lo, exec_lo, s10
.LBB266_1774:                           ;   in Loop: Header=BB266_1062 Depth=1
	s_delay_alu instid0(SALU_CYCLE_1)
	s_or_b32 exec_lo, exec_lo, s15
.LBB266_1775:                           ;   in Loop: Header=BB266_1062 Depth=1
	s_delay_alu instid0(SALU_CYCLE_1) | instskip(SKIP_4) | instid1(VALU_DEP_4)
	s_or_b32 exec_lo, exec_lo, s13
	v_or_b32_e32 v5, v17, v5
	v_or_b32_e32 v4, v16, v4
	;; [unrolled: 1-line block ×4, first 2 shown]
	v_mul_f32_e32 v124, v102, v5
	s_delay_alu instid0(VALU_DEP_4) | instskip(NEXT) | instid1(VALU_DEP_4)
	v_mul_f32_e32 v123, v102, v4
	v_mul_f32_e32 v121, v102, v8
	s_delay_alu instid0(VALU_DEP_4)
	v_mul_f32_e32 v122, v102, v16
	s_and_saveexec_b32 s10, vcc_lo
; %bb.1776:                             ;   in Loop: Header=BB266_1062 Depth=1
	v_cmp_lt_i32_e64 s0, v115, v47
	s_delay_alu instid0(VALU_DEP_1) | instskip(SKIP_1) | instid1(VALU_DEP_1)
	v_cndmask_b32_e64 v123, 0, v123, s0
	v_cmp_lt_i32_e64 s0, v118, v47
	v_cndmask_b32_e64 v124, 0, v124, s0
	v_cmp_lt_i32_e64 s0, v117, v47
	s_delay_alu instid0(VALU_DEP_1) | instskip(SKIP_1) | instid1(VALU_DEP_1)
	v_cndmask_b32_e64 v122, 0, v122, s0
	v_cmp_lt_i32_e64 s0, v116, v47
	v_cndmask_b32_e64 v121, 0, v121, s0
; %bb.1777:                             ;   in Loop: Header=BB266_1062 Depth=1
	s_or_b32 exec_lo, exec_lo, s10
	flat_load_b32 v26, v[14:15] offset:2688
	v_mov_b32_e32 v16, 0
	v_mov_b32_e32 v17, 0
	s_mov_b32 s10, exec_lo
	s_waitcnt vmcnt(0) lgkmcnt(0)
	v_and_b32_e32 v8, 0xff, v26
	s_delay_alu instid0(VALU_DEP_2) | instskip(NEXT) | instid1(VALU_DEP_2)
	v_dual_mov_b32 v4, v16 :: v_dual_mov_b32 v5, v17
	v_cmpx_ne_u16_e32 0, v8
	s_cbranch_execz .LBB266_1785
; %bb.1778:                             ;   in Loop: Header=BB266_1062 Depth=1
	v_bfrev_b32_e32 v4, 1
	v_mov_b32_e32 v5, 0
	s_mov_b32 s13, exec_lo
	v_cmpx_ne_u16_e32 0x80, v8
	s_cbranch_execz .LBB266_1784
; %bb.1779:                             ;   in Loop: Header=BB266_1062 Depth=1
	v_mov_b32_e32 v4, 0x7f800001
	v_dual_mov_b32 v5, 0 :: v_dual_and_b32 v18, 0x7f, v26
	s_mov_b32 s15, exec_lo
	s_delay_alu instid0(VALU_DEP_1)
	v_cmpx_ne_u32_e32 0x7f, v18
	s_cbranch_execz .LBB266_1783
; %bb.1780:                             ;   in Loop: Header=BB266_1062 Depth=1
	v_and_b32_e32 v8, 7, v26
	v_lshrrev_b32_e32 v4, 3, v18
	s_mov_b32 s16, exec_lo
	v_cmpx_gt_u32_e32 8, v18
; %bb.1781:                             ;   in Loop: Header=BB266_1062 Depth=1
	s_delay_alu instid0(VALU_DEP_3) | instskip(NEXT) | instid1(VALU_DEP_1)
	v_clz_i32_u32_e32 v4, v8
	v_min_u32_e32 v4, 32, v4
	s_delay_alu instid0(VALU_DEP_1) | instskip(SKIP_1) | instid1(VALU_DEP_2)
	v_subrev_nc_u32_e32 v5, 28, v4
	v_sub_nc_u32_e32 v4, 29, v4
	v_lshlrev_b64 v[18:19], v5, v[8:9]
	s_delay_alu instid0(VALU_DEP_1)
	v_and_b32_e32 v8, 7, v18
; %bb.1782:                             ;   in Loop: Header=BB266_1062 Depth=1
	s_or_b32 exec_lo, exec_lo, s16
	v_lshlrev_b32_e32 v5, 24, v26
	s_delay_alu instid0(VALU_DEP_2) | instskip(SKIP_1) | instid1(VALU_DEP_3)
	v_lshlrev_b32_e32 v8, 20, v8
	v_lshl_add_u32 v4, v4, 23, 0x3c000000
	v_and_b32_e32 v5, 0x80000000, v5
	s_delay_alu instid0(VALU_DEP_1) | instskip(NEXT) | instid1(VALU_DEP_1)
	v_or3_b32 v8, v8, v5, v4
	v_dual_mov_b32 v4, v8 :: v_dual_mov_b32 v5, v9
.LBB266_1783:                           ;   in Loop: Header=BB266_1062 Depth=1
	s_or_b32 exec_lo, exec_lo, s15
.LBB266_1784:                           ;   in Loop: Header=BB266_1062 Depth=1
	s_delay_alu instid0(SALU_CYCLE_1)
	s_or_b32 exec_lo, exec_lo, s13
.LBB266_1785:                           ;   in Loop: Header=BB266_1062 Depth=1
	s_delay_alu instid0(SALU_CYCLE_1) | instskip(SKIP_2) | instid1(VALU_DEP_1)
	s_or_b32 exec_lo, exec_lo, s10
	v_lshrrev_b16 v8, 8, v26
	s_mov_b32 s13, exec_lo
	v_cmpx_ne_u16_e32 0, v8
	s_cbranch_execz .LBB266_1793
; %bb.1786:                             ;   in Loop: Header=BB266_1062 Depth=1
	v_dual_mov_b32 v17, s9 :: v_dual_mov_b32 v16, s8
	s_mov_b32 s15, exec_lo
	v_cmpx_ne_u16_e32 0x80, v8
	s_cbranch_execz .LBB266_1792
; %bb.1787:                             ;   in Loop: Header=BB266_1062 Depth=1
	s_mov_b32 s10, s8
	v_dual_mov_b32 v17, s11 :: v_dual_and_b32 v8, 0xffff, v8
	v_mov_b32_e32 v16, s10
	s_mov_b32 s10, exec_lo
	s_delay_alu instid0(VALU_DEP_2) | instskip(NEXT) | instid1(VALU_DEP_1)
	v_and_b32_e32 v18, 0x7f, v8
	v_cmpx_ne_u32_e32 0x7f, v18
	s_cbranch_execz .LBB266_1791
; %bb.1788:                             ;   in Loop: Header=BB266_1062 Depth=1
	v_and_b32_e32 v8, 7, v8
	v_lshrrev_b32_e32 v16, 3, v18
	s_mov_b32 s16, exec_lo
	v_cmpx_gt_u32_e32 8, v18
; %bb.1789:                             ;   in Loop: Header=BB266_1062 Depth=1
	s_delay_alu instid0(VALU_DEP_3) | instskip(NEXT) | instid1(VALU_DEP_1)
	v_clz_i32_u32_e32 v16, v8
	v_min_u32_e32 v16, 32, v16
	s_delay_alu instid0(VALU_DEP_1) | instskip(SKIP_1) | instid1(VALU_DEP_2)
	v_subrev_nc_u32_e32 v17, 28, v16
	v_sub_nc_u32_e32 v16, 29, v16
	v_lshlrev_b64 v[17:18], v17, v[8:9]
	s_delay_alu instid0(VALU_DEP_1)
	v_and_b32_e32 v8, 7, v17
; %bb.1790:                             ;   in Loop: Header=BB266_1062 Depth=1
	s_or_b32 exec_lo, exec_lo, s16
	v_lshlrev_b32_e32 v17, 16, v26
	s_delay_alu instid0(VALU_DEP_2) | instskip(SKIP_1) | instid1(VALU_DEP_3)
	v_lshlrev_b32_e32 v8, 20, v8
	v_lshl_add_u32 v16, v16, 23, 0x3c000000
	v_and_b32_e32 v17, 0x80000000, v17
	s_delay_alu instid0(VALU_DEP_1)
	v_or3_b32 v17, v8, v17, v16
	v_mov_b32_e32 v16, v9
.LBB266_1791:                           ;   in Loop: Header=BB266_1062 Depth=1
	s_or_b32 exec_lo, exec_lo, s10
.LBB266_1792:                           ;   in Loop: Header=BB266_1062 Depth=1
	s_delay_alu instid0(SALU_CYCLE_1)
	s_or_b32 exec_lo, exec_lo, s15
.LBB266_1793:                           ;   in Loop: Header=BB266_1062 Depth=1
	s_delay_alu instid0(SALU_CYCLE_1) | instskip(SKIP_4) | instid1(VALU_DEP_2)
	s_or_b32 exec_lo, exec_lo, s13
	v_mov_b32_e32 v20, 0
	v_lshrrev_b32_e32 v86, 16, v26
	v_mov_b32_e32 v21, 0
	s_mov_b32 s10, exec_lo
	v_and_b32_e32 v8, 0xff, v86
	s_delay_alu instid0(VALU_DEP_2) | instskip(NEXT) | instid1(VALU_DEP_2)
	v_dual_mov_b32 v18, v20 :: v_dual_mov_b32 v19, v21
	v_cmpx_ne_u16_e32 0, v8
	s_cbranch_execz .LBB266_1801
; %bb.1794:                             ;   in Loop: Header=BB266_1062 Depth=1
	v_bfrev_b32_e32 v18, 1
	v_mov_b32_e32 v19, 0
	s_mov_b32 s13, exec_lo
	v_cmpx_ne_u16_e32 0x80, v8
	s_cbranch_execz .LBB266_1800
; %bb.1795:                             ;   in Loop: Header=BB266_1062 Depth=1
	v_mov_b32_e32 v18, 0x7f800001
	v_bfe_u32 v87, v26, 16, 7
	v_mov_b32_e32 v19, 0
	s_mov_b32 s15, exec_lo
	s_delay_alu instid0(VALU_DEP_2)
	v_cmpx_ne_u32_e32 0x7f, v87
	s_cbranch_execz .LBB266_1799
; %bb.1796:                             ;   in Loop: Header=BB266_1062 Depth=1
	v_and_b32_e32 v8, 7, v86
	v_lshrrev_b32_e32 v18, 3, v87
	s_mov_b32 s16, exec_lo
	v_cmpx_gt_u32_e32 8, v87
; %bb.1797:                             ;   in Loop: Header=BB266_1062 Depth=1
	s_delay_alu instid0(VALU_DEP_3) | instskip(NEXT) | instid1(VALU_DEP_1)
	v_clz_i32_u32_e32 v18, v8
	v_min_u32_e32 v18, 32, v18
	s_delay_alu instid0(VALU_DEP_1) | instskip(SKIP_1) | instid1(VALU_DEP_2)
	v_subrev_nc_u32_e32 v19, 28, v18
	v_sub_nc_u32_e32 v18, 29, v18
	v_lshlrev_b64 v[125:126], v19, v[8:9]
	s_delay_alu instid0(VALU_DEP_1)
	v_and_b32_e32 v8, 7, v125
; %bb.1798:                             ;   in Loop: Header=BB266_1062 Depth=1
	s_or_b32 exec_lo, exec_lo, s16
	v_lshlrev_b32_e32 v19, 24, v86
	s_delay_alu instid0(VALU_DEP_2) | instskip(SKIP_1) | instid1(VALU_DEP_3)
	v_lshlrev_b32_e32 v8, 20, v8
	v_lshl_add_u32 v18, v18, 23, 0x3c000000
	v_and_b32_e32 v19, 0x80000000, v19
	s_delay_alu instid0(VALU_DEP_1) | instskip(NEXT) | instid1(VALU_DEP_1)
	v_or3_b32 v8, v8, v19, v18
	v_dual_mov_b32 v19, v9 :: v_dual_mov_b32 v18, v8
.LBB266_1799:                           ;   in Loop: Header=BB266_1062 Depth=1
	s_or_b32 exec_lo, exec_lo, s15
.LBB266_1800:                           ;   in Loop: Header=BB266_1062 Depth=1
	s_delay_alu instid0(SALU_CYCLE_1)
	s_or_b32 exec_lo, exec_lo, s13
.LBB266_1801:                           ;   in Loop: Header=BB266_1062 Depth=1
	s_delay_alu instid0(SALU_CYCLE_1) | instskip(NEXT) | instid1(SALU_CYCLE_1)
	s_or_b32 exec_lo, exec_lo, s10
	s_mov_b32 s13, exec_lo
	v_cmpx_lt_u32_e32 0xffffff, v26
	s_cbranch_execz .LBB266_1809
; %bb.1802:                             ;   in Loop: Header=BB266_1062 Depth=1
	v_lshrrev_b32_e32 v86, 24, v26
	v_dual_mov_b32 v21, s9 :: v_dual_mov_b32 v20, s8
	s_mov_b32 s15, exec_lo
	s_delay_alu instid0(VALU_DEP_2)
	v_cmpx_ne_u32_e32 0x80, v86
	s_cbranch_execz .LBB266_1808
; %bb.1803:                             ;   in Loop: Header=BB266_1062 Depth=1
	s_mov_b32 s10, s8
	v_bfe_u32 v26, v26, 24, 7
	v_dual_mov_b32 v21, s11 :: v_dual_mov_b32 v20, s10
	s_mov_b32 s10, exec_lo
	s_delay_alu instid0(VALU_DEP_2)
	v_cmpx_ne_u32_e32 0x7f, v26
	s_cbranch_execz .LBB266_1807
; %bb.1804:                             ;   in Loop: Header=BB266_1062 Depth=1
	v_and_b32_e32 v8, 7, v86
	v_lshrrev_b32_e32 v20, 3, v26
	s_mov_b32 s16, exec_lo
	v_cmpx_gt_u32_e32 8, v26
; %bb.1805:                             ;   in Loop: Header=BB266_1062 Depth=1
	s_delay_alu instid0(VALU_DEP_3) | instskip(NEXT) | instid1(VALU_DEP_1)
	v_clz_i32_u32_e32 v20, v8
	v_min_u32_e32 v20, 32, v20
	s_delay_alu instid0(VALU_DEP_1) | instskip(SKIP_1) | instid1(VALU_DEP_2)
	v_subrev_nc_u32_e32 v21, 28, v20
	v_sub_nc_u32_e32 v20, 29, v20
	v_lshlrev_b64 v[125:126], v21, v[8:9]
	s_delay_alu instid0(VALU_DEP_1)
	v_and_b32_e32 v8, 7, v125
; %bb.1806:                             ;   in Loop: Header=BB266_1062 Depth=1
	s_or_b32 exec_lo, exec_lo, s16
	v_lshlrev_b32_e32 v21, 24, v86
	s_delay_alu instid0(VALU_DEP_2) | instskip(SKIP_1) | instid1(VALU_DEP_3)
	v_lshlrev_b32_e32 v8, 20, v8
	v_lshl_add_u32 v20, v20, 23, 0x3c000000
	v_and_b32_e32 v21, 0x80000000, v21
	s_delay_alu instid0(VALU_DEP_1)
	v_or3_b32 v21, v8, v21, v20
	v_mov_b32_e32 v20, v9
.LBB266_1807:                           ;   in Loop: Header=BB266_1062 Depth=1
	s_or_b32 exec_lo, exec_lo, s10
.LBB266_1808:                           ;   in Loop: Header=BB266_1062 Depth=1
	s_delay_alu instid0(SALU_CYCLE_1)
	s_or_b32 exec_lo, exec_lo, s15
.LBB266_1809:                           ;   in Loop: Header=BB266_1062 Depth=1
	s_delay_alu instid0(SALU_CYCLE_1) | instskip(SKIP_4) | instid1(VALU_DEP_4)
	s_or_b32 exec_lo, exec_lo, s13
	v_or_b32_e32 v5, v17, v5
	v_or_b32_e32 v4, v16, v4
	v_or_b32_e32 v8, v21, v19
	v_or_b32_e32 v16, v20, v18
	v_mul_f32_e32 v136, v102, v5
	s_delay_alu instid0(VALU_DEP_4) | instskip(NEXT) | instid1(VALU_DEP_4)
	v_mul_f32_e32 v127, v102, v4
	v_mul_f32_e32 v125, v102, v8
	s_delay_alu instid0(VALU_DEP_4)
	v_mul_f32_e32 v126, v102, v16
	s_and_saveexec_b32 s10, vcc_lo
; %bb.1810:                             ;   in Loop: Header=BB266_1062 Depth=1
	v_cmp_lt_i32_e64 s0, v115, v47
	s_delay_alu instid0(VALU_DEP_1) | instskip(SKIP_1) | instid1(VALU_DEP_1)
	v_cndmask_b32_e64 v127, 0, v127, s0
	v_cmp_lt_i32_e64 s0, v118, v47
	v_cndmask_b32_e64 v136, 0, v136, s0
	v_cmp_lt_i32_e64 s0, v117, v47
	s_delay_alu instid0(VALU_DEP_1) | instskip(SKIP_1) | instid1(VALU_DEP_1)
	v_cndmask_b32_e64 v126, 0, v126, s0
	v_cmp_lt_i32_e64 s0, v116, v47
	v_cndmask_b32_e64 v125, 0, v125, s0
; %bb.1811:                             ;   in Loop: Header=BB266_1062 Depth=1
	s_or_b32 exec_lo, exec_lo, s10
	flat_load_b32 v26, v[14:15] offset:2816
	v_mov_b32_e32 v16, 0
	v_mov_b32_e32 v17, 0
	s_mov_b32 s10, exec_lo
	s_waitcnt vmcnt(0) lgkmcnt(0)
	v_and_b32_e32 v8, 0xff, v26
	s_delay_alu instid0(VALU_DEP_2) | instskip(NEXT) | instid1(VALU_DEP_2)
	v_dual_mov_b32 v4, v16 :: v_dual_mov_b32 v5, v17
	v_cmpx_ne_u16_e32 0, v8
	s_cbranch_execz .LBB266_1819
; %bb.1812:                             ;   in Loop: Header=BB266_1062 Depth=1
	v_bfrev_b32_e32 v4, 1
	v_mov_b32_e32 v5, 0
	s_mov_b32 s13, exec_lo
	v_cmpx_ne_u16_e32 0x80, v8
	s_cbranch_execz .LBB266_1818
; %bb.1813:                             ;   in Loop: Header=BB266_1062 Depth=1
	v_mov_b32_e32 v4, 0x7f800001
	v_dual_mov_b32 v5, 0 :: v_dual_and_b32 v18, 0x7f, v26
	s_mov_b32 s15, exec_lo
	s_delay_alu instid0(VALU_DEP_1)
	v_cmpx_ne_u32_e32 0x7f, v18
	s_cbranch_execz .LBB266_1817
; %bb.1814:                             ;   in Loop: Header=BB266_1062 Depth=1
	v_and_b32_e32 v8, 7, v26
	v_lshrrev_b32_e32 v4, 3, v18
	s_mov_b32 s16, exec_lo
	v_cmpx_gt_u32_e32 8, v18
; %bb.1815:                             ;   in Loop: Header=BB266_1062 Depth=1
	s_delay_alu instid0(VALU_DEP_3) | instskip(NEXT) | instid1(VALU_DEP_1)
	v_clz_i32_u32_e32 v4, v8
	v_min_u32_e32 v4, 32, v4
	s_delay_alu instid0(VALU_DEP_1) | instskip(SKIP_1) | instid1(VALU_DEP_2)
	v_subrev_nc_u32_e32 v5, 28, v4
	v_sub_nc_u32_e32 v4, 29, v4
	v_lshlrev_b64 v[18:19], v5, v[8:9]
	s_delay_alu instid0(VALU_DEP_1)
	v_and_b32_e32 v8, 7, v18
; %bb.1816:                             ;   in Loop: Header=BB266_1062 Depth=1
	s_or_b32 exec_lo, exec_lo, s16
	v_lshlrev_b32_e32 v5, 24, v26
	s_delay_alu instid0(VALU_DEP_2) | instskip(SKIP_1) | instid1(VALU_DEP_3)
	v_lshlrev_b32_e32 v8, 20, v8
	v_lshl_add_u32 v4, v4, 23, 0x3c000000
	v_and_b32_e32 v5, 0x80000000, v5
	s_delay_alu instid0(VALU_DEP_1) | instskip(NEXT) | instid1(VALU_DEP_1)
	v_or3_b32 v8, v8, v5, v4
	v_dual_mov_b32 v4, v8 :: v_dual_mov_b32 v5, v9
.LBB266_1817:                           ;   in Loop: Header=BB266_1062 Depth=1
	s_or_b32 exec_lo, exec_lo, s15
.LBB266_1818:                           ;   in Loop: Header=BB266_1062 Depth=1
	s_delay_alu instid0(SALU_CYCLE_1)
	s_or_b32 exec_lo, exec_lo, s13
.LBB266_1819:                           ;   in Loop: Header=BB266_1062 Depth=1
	s_delay_alu instid0(SALU_CYCLE_1) | instskip(SKIP_2) | instid1(VALU_DEP_1)
	s_or_b32 exec_lo, exec_lo, s10
	v_lshrrev_b16 v8, 8, v26
	s_mov_b32 s13, exec_lo
	v_cmpx_ne_u16_e32 0, v8
	s_cbranch_execz .LBB266_1827
; %bb.1820:                             ;   in Loop: Header=BB266_1062 Depth=1
	v_dual_mov_b32 v17, s9 :: v_dual_mov_b32 v16, s8
	s_mov_b32 s15, exec_lo
	v_cmpx_ne_u16_e32 0x80, v8
	s_cbranch_execz .LBB266_1826
; %bb.1821:                             ;   in Loop: Header=BB266_1062 Depth=1
	s_mov_b32 s10, s8
	v_dual_mov_b32 v17, s11 :: v_dual_and_b32 v8, 0xffff, v8
	v_mov_b32_e32 v16, s10
	s_mov_b32 s10, exec_lo
	s_delay_alu instid0(VALU_DEP_2) | instskip(NEXT) | instid1(VALU_DEP_1)
	v_and_b32_e32 v18, 0x7f, v8
	v_cmpx_ne_u32_e32 0x7f, v18
	s_cbranch_execz .LBB266_1825
; %bb.1822:                             ;   in Loop: Header=BB266_1062 Depth=1
	v_and_b32_e32 v8, 7, v8
	v_lshrrev_b32_e32 v16, 3, v18
	s_mov_b32 s16, exec_lo
	v_cmpx_gt_u32_e32 8, v18
; %bb.1823:                             ;   in Loop: Header=BB266_1062 Depth=1
	s_delay_alu instid0(VALU_DEP_3) | instskip(NEXT) | instid1(VALU_DEP_1)
	v_clz_i32_u32_e32 v16, v8
	v_min_u32_e32 v16, 32, v16
	s_delay_alu instid0(VALU_DEP_1) | instskip(SKIP_1) | instid1(VALU_DEP_2)
	v_subrev_nc_u32_e32 v17, 28, v16
	v_sub_nc_u32_e32 v16, 29, v16
	v_lshlrev_b64 v[17:18], v17, v[8:9]
	s_delay_alu instid0(VALU_DEP_1)
	v_and_b32_e32 v8, 7, v17
; %bb.1824:                             ;   in Loop: Header=BB266_1062 Depth=1
	s_or_b32 exec_lo, exec_lo, s16
	v_lshlrev_b32_e32 v17, 16, v26
	s_delay_alu instid0(VALU_DEP_2) | instskip(SKIP_1) | instid1(VALU_DEP_3)
	v_lshlrev_b32_e32 v8, 20, v8
	v_lshl_add_u32 v16, v16, 23, 0x3c000000
	v_and_b32_e32 v17, 0x80000000, v17
	s_delay_alu instid0(VALU_DEP_1)
	v_or3_b32 v17, v8, v17, v16
	v_mov_b32_e32 v16, v9
.LBB266_1825:                           ;   in Loop: Header=BB266_1062 Depth=1
	s_or_b32 exec_lo, exec_lo, s10
.LBB266_1826:                           ;   in Loop: Header=BB266_1062 Depth=1
	s_delay_alu instid0(SALU_CYCLE_1)
	s_or_b32 exec_lo, exec_lo, s15
.LBB266_1827:                           ;   in Loop: Header=BB266_1062 Depth=1
	s_delay_alu instid0(SALU_CYCLE_1) | instskip(SKIP_4) | instid1(VALU_DEP_2)
	s_or_b32 exec_lo, exec_lo, s13
	v_mov_b32_e32 v20, 0
	v_lshrrev_b32_e32 v86, 16, v26
	v_mov_b32_e32 v21, 0
	s_mov_b32 s10, exec_lo
	v_and_b32_e32 v8, 0xff, v86
	s_delay_alu instid0(VALU_DEP_2) | instskip(NEXT) | instid1(VALU_DEP_2)
	v_dual_mov_b32 v18, v20 :: v_dual_mov_b32 v19, v21
	v_cmpx_ne_u16_e32 0, v8
	s_cbranch_execz .LBB266_1835
; %bb.1828:                             ;   in Loop: Header=BB266_1062 Depth=1
	v_bfrev_b32_e32 v18, 1
	v_mov_b32_e32 v19, 0
	s_mov_b32 s13, exec_lo
	v_cmpx_ne_u16_e32 0x80, v8
	s_cbranch_execz .LBB266_1834
; %bb.1829:                             ;   in Loop: Header=BB266_1062 Depth=1
	v_mov_b32_e32 v18, 0x7f800001
	v_bfe_u32 v87, v26, 16, 7
	v_mov_b32_e32 v19, 0
	s_mov_b32 s15, exec_lo
	s_delay_alu instid0(VALU_DEP_2)
	v_cmpx_ne_u32_e32 0x7f, v87
	s_cbranch_execz .LBB266_1833
; %bb.1830:                             ;   in Loop: Header=BB266_1062 Depth=1
	v_and_b32_e32 v8, 7, v86
	v_lshrrev_b32_e32 v18, 3, v87
	s_mov_b32 s16, exec_lo
	v_cmpx_gt_u32_e32 8, v87
; %bb.1831:                             ;   in Loop: Header=BB266_1062 Depth=1
	s_delay_alu instid0(VALU_DEP_3) | instskip(NEXT) | instid1(VALU_DEP_1)
	v_clz_i32_u32_e32 v18, v8
	v_min_u32_e32 v18, 32, v18
	s_delay_alu instid0(VALU_DEP_1) | instskip(SKIP_1) | instid1(VALU_DEP_2)
	v_subrev_nc_u32_e32 v19, 28, v18
	v_sub_nc_u32_e32 v18, 29, v18
	v_lshlrev_b64 v[137:138], v19, v[8:9]
	s_delay_alu instid0(VALU_DEP_1)
	v_and_b32_e32 v8, 7, v137
; %bb.1832:                             ;   in Loop: Header=BB266_1062 Depth=1
	s_or_b32 exec_lo, exec_lo, s16
	v_lshlrev_b32_e32 v19, 24, v86
	s_delay_alu instid0(VALU_DEP_2) | instskip(SKIP_1) | instid1(VALU_DEP_3)
	v_lshlrev_b32_e32 v8, 20, v8
	v_lshl_add_u32 v18, v18, 23, 0x3c000000
	v_and_b32_e32 v19, 0x80000000, v19
	s_delay_alu instid0(VALU_DEP_1) | instskip(NEXT) | instid1(VALU_DEP_1)
	v_or3_b32 v8, v8, v19, v18
	v_dual_mov_b32 v19, v9 :: v_dual_mov_b32 v18, v8
.LBB266_1833:                           ;   in Loop: Header=BB266_1062 Depth=1
	s_or_b32 exec_lo, exec_lo, s15
.LBB266_1834:                           ;   in Loop: Header=BB266_1062 Depth=1
	s_delay_alu instid0(SALU_CYCLE_1)
	s_or_b32 exec_lo, exec_lo, s13
.LBB266_1835:                           ;   in Loop: Header=BB266_1062 Depth=1
	s_delay_alu instid0(SALU_CYCLE_1) | instskip(NEXT) | instid1(SALU_CYCLE_1)
	s_or_b32 exec_lo, exec_lo, s10
	s_mov_b32 s13, exec_lo
	v_cmpx_lt_u32_e32 0xffffff, v26
	s_cbranch_execz .LBB266_1843
; %bb.1836:                             ;   in Loop: Header=BB266_1062 Depth=1
	v_lshrrev_b32_e32 v86, 24, v26
	v_dual_mov_b32 v21, s9 :: v_dual_mov_b32 v20, s8
	s_mov_b32 s15, exec_lo
	s_delay_alu instid0(VALU_DEP_2)
	v_cmpx_ne_u32_e32 0x80, v86
	s_cbranch_execz .LBB266_1842
; %bb.1837:                             ;   in Loop: Header=BB266_1062 Depth=1
	s_mov_b32 s10, s8
	v_bfe_u32 v26, v26, 24, 7
	v_dual_mov_b32 v21, s11 :: v_dual_mov_b32 v20, s10
	s_mov_b32 s10, exec_lo
	s_delay_alu instid0(VALU_DEP_2)
	v_cmpx_ne_u32_e32 0x7f, v26
	s_cbranch_execz .LBB266_1841
; %bb.1838:                             ;   in Loop: Header=BB266_1062 Depth=1
	v_and_b32_e32 v8, 7, v86
	v_lshrrev_b32_e32 v20, 3, v26
	s_mov_b32 s16, exec_lo
	v_cmpx_gt_u32_e32 8, v26
; %bb.1839:                             ;   in Loop: Header=BB266_1062 Depth=1
	s_delay_alu instid0(VALU_DEP_3) | instskip(NEXT) | instid1(VALU_DEP_1)
	v_clz_i32_u32_e32 v20, v8
	v_min_u32_e32 v20, 32, v20
	s_delay_alu instid0(VALU_DEP_1) | instskip(SKIP_1) | instid1(VALU_DEP_2)
	v_subrev_nc_u32_e32 v21, 28, v20
	v_sub_nc_u32_e32 v20, 29, v20
	v_lshlrev_b64 v[137:138], v21, v[8:9]
	s_delay_alu instid0(VALU_DEP_1)
	v_and_b32_e32 v8, 7, v137
; %bb.1840:                             ;   in Loop: Header=BB266_1062 Depth=1
	s_or_b32 exec_lo, exec_lo, s16
	v_lshlrev_b32_e32 v21, 24, v86
	s_delay_alu instid0(VALU_DEP_2) | instskip(SKIP_1) | instid1(VALU_DEP_3)
	v_lshlrev_b32_e32 v8, 20, v8
	v_lshl_add_u32 v20, v20, 23, 0x3c000000
	v_and_b32_e32 v21, 0x80000000, v21
	s_delay_alu instid0(VALU_DEP_1)
	v_or3_b32 v21, v8, v21, v20
	v_mov_b32_e32 v20, v9
.LBB266_1841:                           ;   in Loop: Header=BB266_1062 Depth=1
	s_or_b32 exec_lo, exec_lo, s10
.LBB266_1842:                           ;   in Loop: Header=BB266_1062 Depth=1
	s_delay_alu instid0(SALU_CYCLE_1)
	s_or_b32 exec_lo, exec_lo, s15
.LBB266_1843:                           ;   in Loop: Header=BB266_1062 Depth=1
	s_delay_alu instid0(SALU_CYCLE_1) | instskip(SKIP_4) | instid1(VALU_DEP_4)
	s_or_b32 exec_lo, exec_lo, s13
	v_or_b32_e32 v5, v17, v5
	v_or_b32_e32 v4, v16, v4
	;; [unrolled: 1-line block ×4, first 2 shown]
	v_mul_f32_e32 v140, v102, v5
	s_delay_alu instid0(VALU_DEP_4) | instskip(NEXT) | instid1(VALU_DEP_4)
	v_mul_f32_e32 v139, v102, v4
	v_mul_f32_e32 v137, v102, v8
	s_delay_alu instid0(VALU_DEP_4)
	v_mul_f32_e32 v138, v102, v16
	s_and_saveexec_b32 s10, vcc_lo
; %bb.1844:                             ;   in Loop: Header=BB266_1062 Depth=1
	v_cmp_lt_i32_e64 s0, v115, v47
	s_delay_alu instid0(VALU_DEP_1) | instskip(SKIP_1) | instid1(VALU_DEP_1)
	v_cndmask_b32_e64 v139, 0, v139, s0
	v_cmp_lt_i32_e64 s0, v118, v47
	v_cndmask_b32_e64 v140, 0, v140, s0
	v_cmp_lt_i32_e64 s0, v117, v47
	s_delay_alu instid0(VALU_DEP_1) | instskip(SKIP_1) | instid1(VALU_DEP_1)
	v_cndmask_b32_e64 v138, 0, v138, s0
	v_cmp_lt_i32_e64 s0, v116, v47
	v_cndmask_b32_e64 v137, 0, v137, s0
; %bb.1845:                             ;   in Loop: Header=BB266_1062 Depth=1
	s_or_b32 exec_lo, exec_lo, s10
	flat_load_b32 v26, v[14:15] offset:2944
	v_mov_b32_e32 v16, 0
	v_mov_b32_e32 v17, 0
	s_mov_b32 s10, exec_lo
	s_waitcnt vmcnt(0) lgkmcnt(0)
	v_and_b32_e32 v8, 0xff, v26
	s_delay_alu instid0(VALU_DEP_2) | instskip(NEXT) | instid1(VALU_DEP_2)
	v_dual_mov_b32 v4, v16 :: v_dual_mov_b32 v5, v17
	v_cmpx_ne_u16_e32 0, v8
	s_cbranch_execz .LBB266_1853
; %bb.1846:                             ;   in Loop: Header=BB266_1062 Depth=1
	v_bfrev_b32_e32 v4, 1
	v_mov_b32_e32 v5, 0
	s_mov_b32 s13, exec_lo
	v_cmpx_ne_u16_e32 0x80, v8
	s_cbranch_execz .LBB266_1852
; %bb.1847:                             ;   in Loop: Header=BB266_1062 Depth=1
	v_mov_b32_e32 v4, 0x7f800001
	v_dual_mov_b32 v5, 0 :: v_dual_and_b32 v18, 0x7f, v26
	s_mov_b32 s15, exec_lo
	s_delay_alu instid0(VALU_DEP_1)
	v_cmpx_ne_u32_e32 0x7f, v18
	s_cbranch_execz .LBB266_1851
; %bb.1848:                             ;   in Loop: Header=BB266_1062 Depth=1
	v_and_b32_e32 v8, 7, v26
	v_lshrrev_b32_e32 v4, 3, v18
	s_mov_b32 s16, exec_lo
	v_cmpx_gt_u32_e32 8, v18
; %bb.1849:                             ;   in Loop: Header=BB266_1062 Depth=1
	s_delay_alu instid0(VALU_DEP_3) | instskip(NEXT) | instid1(VALU_DEP_1)
	v_clz_i32_u32_e32 v4, v8
	v_min_u32_e32 v4, 32, v4
	s_delay_alu instid0(VALU_DEP_1) | instskip(SKIP_1) | instid1(VALU_DEP_2)
	v_subrev_nc_u32_e32 v5, 28, v4
	v_sub_nc_u32_e32 v4, 29, v4
	v_lshlrev_b64 v[18:19], v5, v[8:9]
	s_delay_alu instid0(VALU_DEP_1)
	v_and_b32_e32 v8, 7, v18
; %bb.1850:                             ;   in Loop: Header=BB266_1062 Depth=1
	s_or_b32 exec_lo, exec_lo, s16
	v_lshlrev_b32_e32 v5, 24, v26
	s_delay_alu instid0(VALU_DEP_2) | instskip(SKIP_1) | instid1(VALU_DEP_3)
	v_lshlrev_b32_e32 v8, 20, v8
	v_lshl_add_u32 v4, v4, 23, 0x3c000000
	v_and_b32_e32 v5, 0x80000000, v5
	s_delay_alu instid0(VALU_DEP_1) | instskip(NEXT) | instid1(VALU_DEP_1)
	v_or3_b32 v8, v8, v5, v4
	v_dual_mov_b32 v4, v8 :: v_dual_mov_b32 v5, v9
.LBB266_1851:                           ;   in Loop: Header=BB266_1062 Depth=1
	s_or_b32 exec_lo, exec_lo, s15
.LBB266_1852:                           ;   in Loop: Header=BB266_1062 Depth=1
	s_delay_alu instid0(SALU_CYCLE_1)
	s_or_b32 exec_lo, exec_lo, s13
.LBB266_1853:                           ;   in Loop: Header=BB266_1062 Depth=1
	s_delay_alu instid0(SALU_CYCLE_1) | instskip(SKIP_2) | instid1(VALU_DEP_1)
	s_or_b32 exec_lo, exec_lo, s10
	v_lshrrev_b16 v8, 8, v26
	s_mov_b32 s13, exec_lo
	v_cmpx_ne_u16_e32 0, v8
	s_cbranch_execz .LBB266_1861
; %bb.1854:                             ;   in Loop: Header=BB266_1062 Depth=1
	v_dual_mov_b32 v17, s9 :: v_dual_mov_b32 v16, s8
	s_mov_b32 s15, exec_lo
	v_cmpx_ne_u16_e32 0x80, v8
	s_cbranch_execz .LBB266_1860
; %bb.1855:                             ;   in Loop: Header=BB266_1062 Depth=1
	s_mov_b32 s10, s8
	v_dual_mov_b32 v17, s11 :: v_dual_and_b32 v8, 0xffff, v8
	v_mov_b32_e32 v16, s10
	s_mov_b32 s10, exec_lo
	s_delay_alu instid0(VALU_DEP_2) | instskip(NEXT) | instid1(VALU_DEP_1)
	v_and_b32_e32 v18, 0x7f, v8
	v_cmpx_ne_u32_e32 0x7f, v18
	s_cbranch_execz .LBB266_1859
; %bb.1856:                             ;   in Loop: Header=BB266_1062 Depth=1
	v_and_b32_e32 v8, 7, v8
	v_lshrrev_b32_e32 v16, 3, v18
	s_mov_b32 s16, exec_lo
	v_cmpx_gt_u32_e32 8, v18
; %bb.1857:                             ;   in Loop: Header=BB266_1062 Depth=1
	s_delay_alu instid0(VALU_DEP_3) | instskip(NEXT) | instid1(VALU_DEP_1)
	v_clz_i32_u32_e32 v16, v8
	v_min_u32_e32 v16, 32, v16
	s_delay_alu instid0(VALU_DEP_1) | instskip(SKIP_1) | instid1(VALU_DEP_2)
	v_subrev_nc_u32_e32 v17, 28, v16
	v_sub_nc_u32_e32 v16, 29, v16
	v_lshlrev_b64 v[17:18], v17, v[8:9]
	s_delay_alu instid0(VALU_DEP_1)
	v_and_b32_e32 v8, 7, v17
; %bb.1858:                             ;   in Loop: Header=BB266_1062 Depth=1
	s_or_b32 exec_lo, exec_lo, s16
	v_lshlrev_b32_e32 v17, 16, v26
	s_delay_alu instid0(VALU_DEP_2) | instskip(SKIP_1) | instid1(VALU_DEP_3)
	v_lshlrev_b32_e32 v8, 20, v8
	v_lshl_add_u32 v16, v16, 23, 0x3c000000
	v_and_b32_e32 v17, 0x80000000, v17
	s_delay_alu instid0(VALU_DEP_1)
	v_or3_b32 v17, v8, v17, v16
	v_mov_b32_e32 v16, v9
.LBB266_1859:                           ;   in Loop: Header=BB266_1062 Depth=1
	s_or_b32 exec_lo, exec_lo, s10
.LBB266_1860:                           ;   in Loop: Header=BB266_1062 Depth=1
	s_delay_alu instid0(SALU_CYCLE_1)
	s_or_b32 exec_lo, exec_lo, s15
.LBB266_1861:                           ;   in Loop: Header=BB266_1062 Depth=1
	s_delay_alu instid0(SALU_CYCLE_1) | instskip(SKIP_4) | instid1(VALU_DEP_2)
	s_or_b32 exec_lo, exec_lo, s13
	v_mov_b32_e32 v20, 0
	v_lshrrev_b32_e32 v86, 16, v26
	v_mov_b32_e32 v21, 0
	s_mov_b32 s10, exec_lo
	v_and_b32_e32 v8, 0xff, v86
	s_delay_alu instid0(VALU_DEP_2) | instskip(NEXT) | instid1(VALU_DEP_2)
	v_dual_mov_b32 v18, v20 :: v_dual_mov_b32 v19, v21
	v_cmpx_ne_u16_e32 0, v8
	s_cbranch_execz .LBB266_1869
; %bb.1862:                             ;   in Loop: Header=BB266_1062 Depth=1
	v_bfrev_b32_e32 v18, 1
	v_mov_b32_e32 v19, 0
	s_mov_b32 s13, exec_lo
	v_cmpx_ne_u16_e32 0x80, v8
	s_cbranch_execz .LBB266_1868
; %bb.1863:                             ;   in Loop: Header=BB266_1062 Depth=1
	v_mov_b32_e32 v18, 0x7f800001
	v_bfe_u32 v87, v26, 16, 7
	v_mov_b32_e32 v19, 0
	s_mov_b32 s15, exec_lo
	s_delay_alu instid0(VALU_DEP_2)
	v_cmpx_ne_u32_e32 0x7f, v87
	s_cbranch_execz .LBB266_1867
; %bb.1864:                             ;   in Loop: Header=BB266_1062 Depth=1
	v_and_b32_e32 v8, 7, v86
	v_lshrrev_b32_e32 v18, 3, v87
	s_mov_b32 s16, exec_lo
	v_cmpx_gt_u32_e32 8, v87
; %bb.1865:                             ;   in Loop: Header=BB266_1062 Depth=1
	s_delay_alu instid0(VALU_DEP_3) | instskip(NEXT) | instid1(VALU_DEP_1)
	v_clz_i32_u32_e32 v18, v8
	v_min_u32_e32 v18, 32, v18
	s_delay_alu instid0(VALU_DEP_1) | instskip(SKIP_1) | instid1(VALU_DEP_2)
	v_subrev_nc_u32_e32 v19, 28, v18
	v_sub_nc_u32_e32 v18, 29, v18
	v_lshlrev_b64 v[141:142], v19, v[8:9]
	s_delay_alu instid0(VALU_DEP_1)
	v_and_b32_e32 v8, 7, v141
; %bb.1866:                             ;   in Loop: Header=BB266_1062 Depth=1
	s_or_b32 exec_lo, exec_lo, s16
	v_lshlrev_b32_e32 v19, 24, v86
	s_delay_alu instid0(VALU_DEP_2) | instskip(SKIP_1) | instid1(VALU_DEP_3)
	v_lshlrev_b32_e32 v8, 20, v8
	v_lshl_add_u32 v18, v18, 23, 0x3c000000
	v_and_b32_e32 v19, 0x80000000, v19
	s_delay_alu instid0(VALU_DEP_1) | instskip(NEXT) | instid1(VALU_DEP_1)
	v_or3_b32 v8, v8, v19, v18
	v_dual_mov_b32 v19, v9 :: v_dual_mov_b32 v18, v8
.LBB266_1867:                           ;   in Loop: Header=BB266_1062 Depth=1
	s_or_b32 exec_lo, exec_lo, s15
.LBB266_1868:                           ;   in Loop: Header=BB266_1062 Depth=1
	s_delay_alu instid0(SALU_CYCLE_1)
	s_or_b32 exec_lo, exec_lo, s13
.LBB266_1869:                           ;   in Loop: Header=BB266_1062 Depth=1
	s_delay_alu instid0(SALU_CYCLE_1) | instskip(NEXT) | instid1(SALU_CYCLE_1)
	s_or_b32 exec_lo, exec_lo, s10
	s_mov_b32 s13, exec_lo
	v_cmpx_lt_u32_e32 0xffffff, v26
	s_cbranch_execz .LBB266_1877
; %bb.1870:                             ;   in Loop: Header=BB266_1062 Depth=1
	v_lshrrev_b32_e32 v86, 24, v26
	v_dual_mov_b32 v21, s9 :: v_dual_mov_b32 v20, s8
	s_mov_b32 s15, exec_lo
	s_delay_alu instid0(VALU_DEP_2)
	v_cmpx_ne_u32_e32 0x80, v86
	s_cbranch_execz .LBB266_1876
; %bb.1871:                             ;   in Loop: Header=BB266_1062 Depth=1
	s_mov_b32 s10, s8
	v_bfe_u32 v26, v26, 24, 7
	v_dual_mov_b32 v21, s11 :: v_dual_mov_b32 v20, s10
	s_mov_b32 s10, exec_lo
	s_delay_alu instid0(VALU_DEP_2)
	v_cmpx_ne_u32_e32 0x7f, v26
	s_cbranch_execz .LBB266_1875
; %bb.1872:                             ;   in Loop: Header=BB266_1062 Depth=1
	v_and_b32_e32 v8, 7, v86
	v_lshrrev_b32_e32 v20, 3, v26
	s_mov_b32 s16, exec_lo
	v_cmpx_gt_u32_e32 8, v26
; %bb.1873:                             ;   in Loop: Header=BB266_1062 Depth=1
	s_delay_alu instid0(VALU_DEP_3) | instskip(NEXT) | instid1(VALU_DEP_1)
	v_clz_i32_u32_e32 v20, v8
	v_min_u32_e32 v20, 32, v20
	s_delay_alu instid0(VALU_DEP_1) | instskip(SKIP_1) | instid1(VALU_DEP_2)
	v_subrev_nc_u32_e32 v21, 28, v20
	v_sub_nc_u32_e32 v20, 29, v20
	v_lshlrev_b64 v[141:142], v21, v[8:9]
	s_delay_alu instid0(VALU_DEP_1)
	v_and_b32_e32 v8, 7, v141
; %bb.1874:                             ;   in Loop: Header=BB266_1062 Depth=1
	s_or_b32 exec_lo, exec_lo, s16
	v_lshlrev_b32_e32 v21, 24, v86
	s_delay_alu instid0(VALU_DEP_2) | instskip(SKIP_1) | instid1(VALU_DEP_3)
	v_lshlrev_b32_e32 v8, 20, v8
	v_lshl_add_u32 v20, v20, 23, 0x3c000000
	v_and_b32_e32 v21, 0x80000000, v21
	s_delay_alu instid0(VALU_DEP_1)
	v_or3_b32 v21, v8, v21, v20
	v_mov_b32_e32 v20, v9
.LBB266_1875:                           ;   in Loop: Header=BB266_1062 Depth=1
	s_or_b32 exec_lo, exec_lo, s10
.LBB266_1876:                           ;   in Loop: Header=BB266_1062 Depth=1
	s_delay_alu instid0(SALU_CYCLE_1)
	s_or_b32 exec_lo, exec_lo, s15
.LBB266_1877:                           ;   in Loop: Header=BB266_1062 Depth=1
	s_delay_alu instid0(SALU_CYCLE_1) | instskip(SKIP_4) | instid1(VALU_DEP_4)
	s_or_b32 exec_lo, exec_lo, s13
	v_or_b32_e32 v5, v17, v5
	v_or_b32_e32 v4, v16, v4
	;; [unrolled: 1-line block ×4, first 2 shown]
	v_mul_f32_e32 v152, v102, v5
	s_delay_alu instid0(VALU_DEP_4) | instskip(NEXT) | instid1(VALU_DEP_4)
	v_mul_f32_e32 v143, v102, v4
	v_mul_f32_e32 v141, v102, v8
	s_delay_alu instid0(VALU_DEP_4)
	v_mul_f32_e32 v142, v102, v16
	s_and_saveexec_b32 s10, vcc_lo
; %bb.1878:                             ;   in Loop: Header=BB266_1062 Depth=1
	v_cmp_lt_i32_e64 s0, v115, v47
	s_delay_alu instid0(VALU_DEP_1) | instskip(SKIP_1) | instid1(VALU_DEP_1)
	v_cndmask_b32_e64 v143, 0, v143, s0
	v_cmp_lt_i32_e64 s0, v118, v47
	v_cndmask_b32_e64 v152, 0, v152, s0
	v_cmp_lt_i32_e64 s0, v117, v47
	s_delay_alu instid0(VALU_DEP_1) | instskip(SKIP_1) | instid1(VALU_DEP_1)
	v_cndmask_b32_e64 v142, 0, v142, s0
	v_cmp_lt_i32_e64 s0, v116, v47
	v_cndmask_b32_e64 v141, 0, v141, s0
; %bb.1879:                             ;   in Loop: Header=BB266_1062 Depth=1
	s_or_b32 exec_lo, exec_lo, s10
	flat_load_b32 v26, v[14:15] offset:3072
	v_mov_b32_e32 v16, 0
	v_mov_b32_e32 v17, 0
	s_mov_b32 s10, exec_lo
	s_waitcnt vmcnt(0) lgkmcnt(0)
	v_and_b32_e32 v8, 0xff, v26
	s_delay_alu instid0(VALU_DEP_2) | instskip(NEXT) | instid1(VALU_DEP_2)
	v_dual_mov_b32 v4, v16 :: v_dual_mov_b32 v5, v17
	v_cmpx_ne_u16_e32 0, v8
	s_cbranch_execz .LBB266_1887
; %bb.1880:                             ;   in Loop: Header=BB266_1062 Depth=1
	v_bfrev_b32_e32 v4, 1
	v_mov_b32_e32 v5, 0
	s_mov_b32 s13, exec_lo
	v_cmpx_ne_u16_e32 0x80, v8
	s_cbranch_execz .LBB266_1886
; %bb.1881:                             ;   in Loop: Header=BB266_1062 Depth=1
	v_mov_b32_e32 v4, 0x7f800001
	v_dual_mov_b32 v5, 0 :: v_dual_and_b32 v18, 0x7f, v26
	s_mov_b32 s15, exec_lo
	s_delay_alu instid0(VALU_DEP_1)
	v_cmpx_ne_u32_e32 0x7f, v18
	s_cbranch_execz .LBB266_1885
; %bb.1882:                             ;   in Loop: Header=BB266_1062 Depth=1
	v_and_b32_e32 v8, 7, v26
	v_lshrrev_b32_e32 v4, 3, v18
	s_mov_b32 s16, exec_lo
	v_cmpx_gt_u32_e32 8, v18
; %bb.1883:                             ;   in Loop: Header=BB266_1062 Depth=1
	s_delay_alu instid0(VALU_DEP_3) | instskip(NEXT) | instid1(VALU_DEP_1)
	v_clz_i32_u32_e32 v4, v8
	v_min_u32_e32 v4, 32, v4
	s_delay_alu instid0(VALU_DEP_1) | instskip(SKIP_1) | instid1(VALU_DEP_2)
	v_subrev_nc_u32_e32 v5, 28, v4
	v_sub_nc_u32_e32 v4, 29, v4
	v_lshlrev_b64 v[18:19], v5, v[8:9]
	s_delay_alu instid0(VALU_DEP_1)
	v_and_b32_e32 v8, 7, v18
; %bb.1884:                             ;   in Loop: Header=BB266_1062 Depth=1
	s_or_b32 exec_lo, exec_lo, s16
	v_lshlrev_b32_e32 v5, 24, v26
	s_delay_alu instid0(VALU_DEP_2) | instskip(SKIP_1) | instid1(VALU_DEP_3)
	v_lshlrev_b32_e32 v8, 20, v8
	v_lshl_add_u32 v4, v4, 23, 0x3c000000
	v_and_b32_e32 v5, 0x80000000, v5
	s_delay_alu instid0(VALU_DEP_1) | instskip(NEXT) | instid1(VALU_DEP_1)
	v_or3_b32 v8, v8, v5, v4
	v_dual_mov_b32 v4, v8 :: v_dual_mov_b32 v5, v9
.LBB266_1885:                           ;   in Loop: Header=BB266_1062 Depth=1
	s_or_b32 exec_lo, exec_lo, s15
.LBB266_1886:                           ;   in Loop: Header=BB266_1062 Depth=1
	s_delay_alu instid0(SALU_CYCLE_1)
	s_or_b32 exec_lo, exec_lo, s13
.LBB266_1887:                           ;   in Loop: Header=BB266_1062 Depth=1
	s_delay_alu instid0(SALU_CYCLE_1) | instskip(SKIP_2) | instid1(VALU_DEP_1)
	s_or_b32 exec_lo, exec_lo, s10
	v_lshrrev_b16 v8, 8, v26
	s_mov_b32 s13, exec_lo
	v_cmpx_ne_u16_e32 0, v8
	s_cbranch_execz .LBB266_1895
; %bb.1888:                             ;   in Loop: Header=BB266_1062 Depth=1
	v_dual_mov_b32 v17, s9 :: v_dual_mov_b32 v16, s8
	s_mov_b32 s15, exec_lo
	v_cmpx_ne_u16_e32 0x80, v8
	s_cbranch_execz .LBB266_1894
; %bb.1889:                             ;   in Loop: Header=BB266_1062 Depth=1
	s_mov_b32 s10, s8
	v_dual_mov_b32 v17, s11 :: v_dual_and_b32 v8, 0xffff, v8
	v_mov_b32_e32 v16, s10
	s_mov_b32 s10, exec_lo
	s_delay_alu instid0(VALU_DEP_2) | instskip(NEXT) | instid1(VALU_DEP_1)
	v_and_b32_e32 v18, 0x7f, v8
	v_cmpx_ne_u32_e32 0x7f, v18
	s_cbranch_execz .LBB266_1893
; %bb.1890:                             ;   in Loop: Header=BB266_1062 Depth=1
	v_and_b32_e32 v8, 7, v8
	v_lshrrev_b32_e32 v16, 3, v18
	s_mov_b32 s16, exec_lo
	v_cmpx_gt_u32_e32 8, v18
; %bb.1891:                             ;   in Loop: Header=BB266_1062 Depth=1
	s_delay_alu instid0(VALU_DEP_3) | instskip(NEXT) | instid1(VALU_DEP_1)
	v_clz_i32_u32_e32 v16, v8
	v_min_u32_e32 v16, 32, v16
	s_delay_alu instid0(VALU_DEP_1) | instskip(SKIP_1) | instid1(VALU_DEP_2)
	v_subrev_nc_u32_e32 v17, 28, v16
	v_sub_nc_u32_e32 v16, 29, v16
	v_lshlrev_b64 v[17:18], v17, v[8:9]
	s_delay_alu instid0(VALU_DEP_1)
	v_and_b32_e32 v8, 7, v17
; %bb.1892:                             ;   in Loop: Header=BB266_1062 Depth=1
	s_or_b32 exec_lo, exec_lo, s16
	v_lshlrev_b32_e32 v17, 16, v26
	s_delay_alu instid0(VALU_DEP_2) | instskip(SKIP_1) | instid1(VALU_DEP_3)
	v_lshlrev_b32_e32 v8, 20, v8
	v_lshl_add_u32 v16, v16, 23, 0x3c000000
	v_and_b32_e32 v17, 0x80000000, v17
	s_delay_alu instid0(VALU_DEP_1)
	v_or3_b32 v17, v8, v17, v16
	v_mov_b32_e32 v16, v9
.LBB266_1893:                           ;   in Loop: Header=BB266_1062 Depth=1
	s_or_b32 exec_lo, exec_lo, s10
.LBB266_1894:                           ;   in Loop: Header=BB266_1062 Depth=1
	s_delay_alu instid0(SALU_CYCLE_1)
	s_or_b32 exec_lo, exec_lo, s15
.LBB266_1895:                           ;   in Loop: Header=BB266_1062 Depth=1
	s_delay_alu instid0(SALU_CYCLE_1) | instskip(SKIP_4) | instid1(VALU_DEP_2)
	s_or_b32 exec_lo, exec_lo, s13
	v_mov_b32_e32 v20, 0
	v_lshrrev_b32_e32 v86, 16, v26
	v_mov_b32_e32 v21, 0
	s_mov_b32 s10, exec_lo
	v_and_b32_e32 v8, 0xff, v86
	s_delay_alu instid0(VALU_DEP_2) | instskip(NEXT) | instid1(VALU_DEP_2)
	v_dual_mov_b32 v18, v20 :: v_dual_mov_b32 v19, v21
	v_cmpx_ne_u16_e32 0, v8
	s_cbranch_execz .LBB266_1903
; %bb.1896:                             ;   in Loop: Header=BB266_1062 Depth=1
	v_bfrev_b32_e32 v18, 1
	v_mov_b32_e32 v19, 0
	s_mov_b32 s13, exec_lo
	v_cmpx_ne_u16_e32 0x80, v8
	s_cbranch_execz .LBB266_1902
; %bb.1897:                             ;   in Loop: Header=BB266_1062 Depth=1
	v_mov_b32_e32 v18, 0x7f800001
	v_bfe_u32 v87, v26, 16, 7
	v_mov_b32_e32 v19, 0
	s_mov_b32 s15, exec_lo
	s_delay_alu instid0(VALU_DEP_2)
	v_cmpx_ne_u32_e32 0x7f, v87
	s_cbranch_execz .LBB266_1901
; %bb.1898:                             ;   in Loop: Header=BB266_1062 Depth=1
	v_and_b32_e32 v8, 7, v86
	v_lshrrev_b32_e32 v18, 3, v87
	s_mov_b32 s16, exec_lo
	v_cmpx_gt_u32_e32 8, v87
; %bb.1899:                             ;   in Loop: Header=BB266_1062 Depth=1
	s_delay_alu instid0(VALU_DEP_3) | instskip(NEXT) | instid1(VALU_DEP_1)
	v_clz_i32_u32_e32 v18, v8
	v_min_u32_e32 v18, 32, v18
	s_delay_alu instid0(VALU_DEP_1) | instskip(SKIP_1) | instid1(VALU_DEP_2)
	v_subrev_nc_u32_e32 v19, 28, v18
	v_sub_nc_u32_e32 v18, 29, v18
	v_lshlrev_b64 v[153:154], v19, v[8:9]
	s_delay_alu instid0(VALU_DEP_1)
	v_and_b32_e32 v8, 7, v153
; %bb.1900:                             ;   in Loop: Header=BB266_1062 Depth=1
	s_or_b32 exec_lo, exec_lo, s16
	v_lshlrev_b32_e32 v19, 24, v86
	s_delay_alu instid0(VALU_DEP_2) | instskip(SKIP_1) | instid1(VALU_DEP_3)
	v_lshlrev_b32_e32 v8, 20, v8
	v_lshl_add_u32 v18, v18, 23, 0x3c000000
	v_and_b32_e32 v19, 0x80000000, v19
	s_delay_alu instid0(VALU_DEP_1) | instskip(NEXT) | instid1(VALU_DEP_1)
	v_or3_b32 v8, v8, v19, v18
	v_dual_mov_b32 v19, v9 :: v_dual_mov_b32 v18, v8
.LBB266_1901:                           ;   in Loop: Header=BB266_1062 Depth=1
	s_or_b32 exec_lo, exec_lo, s15
.LBB266_1902:                           ;   in Loop: Header=BB266_1062 Depth=1
	s_delay_alu instid0(SALU_CYCLE_1)
	s_or_b32 exec_lo, exec_lo, s13
.LBB266_1903:                           ;   in Loop: Header=BB266_1062 Depth=1
	s_delay_alu instid0(SALU_CYCLE_1) | instskip(NEXT) | instid1(SALU_CYCLE_1)
	s_or_b32 exec_lo, exec_lo, s10
	s_mov_b32 s13, exec_lo
	v_cmpx_lt_u32_e32 0xffffff, v26
	s_cbranch_execz .LBB266_1911
; %bb.1904:                             ;   in Loop: Header=BB266_1062 Depth=1
	v_lshrrev_b32_e32 v86, 24, v26
	v_dual_mov_b32 v21, s9 :: v_dual_mov_b32 v20, s8
	s_mov_b32 s15, exec_lo
	s_delay_alu instid0(VALU_DEP_2)
	v_cmpx_ne_u32_e32 0x80, v86
	s_cbranch_execz .LBB266_1910
; %bb.1905:                             ;   in Loop: Header=BB266_1062 Depth=1
	s_mov_b32 s10, s8
	v_bfe_u32 v26, v26, 24, 7
	v_dual_mov_b32 v21, s11 :: v_dual_mov_b32 v20, s10
	s_mov_b32 s10, exec_lo
	s_delay_alu instid0(VALU_DEP_2)
	v_cmpx_ne_u32_e32 0x7f, v26
	s_cbranch_execz .LBB266_1909
; %bb.1906:                             ;   in Loop: Header=BB266_1062 Depth=1
	v_and_b32_e32 v8, 7, v86
	v_lshrrev_b32_e32 v20, 3, v26
	s_mov_b32 s16, exec_lo
	v_cmpx_gt_u32_e32 8, v26
; %bb.1907:                             ;   in Loop: Header=BB266_1062 Depth=1
	s_delay_alu instid0(VALU_DEP_3) | instskip(NEXT) | instid1(VALU_DEP_1)
	v_clz_i32_u32_e32 v20, v8
	v_min_u32_e32 v20, 32, v20
	s_delay_alu instid0(VALU_DEP_1) | instskip(SKIP_1) | instid1(VALU_DEP_2)
	v_subrev_nc_u32_e32 v21, 28, v20
	v_sub_nc_u32_e32 v20, 29, v20
	v_lshlrev_b64 v[153:154], v21, v[8:9]
	s_delay_alu instid0(VALU_DEP_1)
	v_and_b32_e32 v8, 7, v153
; %bb.1908:                             ;   in Loop: Header=BB266_1062 Depth=1
	s_or_b32 exec_lo, exec_lo, s16
	v_lshlrev_b32_e32 v21, 24, v86
	s_delay_alu instid0(VALU_DEP_2) | instskip(SKIP_1) | instid1(VALU_DEP_3)
	v_lshlrev_b32_e32 v8, 20, v8
	v_lshl_add_u32 v20, v20, 23, 0x3c000000
	v_and_b32_e32 v21, 0x80000000, v21
	s_delay_alu instid0(VALU_DEP_1)
	v_or3_b32 v21, v8, v21, v20
	v_mov_b32_e32 v20, v9
.LBB266_1909:                           ;   in Loop: Header=BB266_1062 Depth=1
	s_or_b32 exec_lo, exec_lo, s10
.LBB266_1910:                           ;   in Loop: Header=BB266_1062 Depth=1
	s_delay_alu instid0(SALU_CYCLE_1)
	s_or_b32 exec_lo, exec_lo, s15
.LBB266_1911:                           ;   in Loop: Header=BB266_1062 Depth=1
	s_delay_alu instid0(SALU_CYCLE_1) | instskip(SKIP_4) | instid1(VALU_DEP_4)
	s_or_b32 exec_lo, exec_lo, s13
	v_or_b32_e32 v5, v17, v5
	v_or_b32_e32 v4, v16, v4
	;; [unrolled: 1-line block ×4, first 2 shown]
	v_mul_f32_e32 v156, v102, v5
	s_delay_alu instid0(VALU_DEP_4) | instskip(NEXT) | instid1(VALU_DEP_4)
	v_mul_f32_e32 v155, v102, v4
	v_mul_f32_e32 v153, v102, v8
	s_delay_alu instid0(VALU_DEP_4)
	v_mul_f32_e32 v154, v102, v16
	s_and_saveexec_b32 s10, vcc_lo
; %bb.1912:                             ;   in Loop: Header=BB266_1062 Depth=1
	v_cmp_lt_i32_e64 s0, v115, v47
	s_delay_alu instid0(VALU_DEP_1) | instskip(SKIP_1) | instid1(VALU_DEP_1)
	v_cndmask_b32_e64 v155, 0, v155, s0
	v_cmp_lt_i32_e64 s0, v118, v47
	v_cndmask_b32_e64 v156, 0, v156, s0
	v_cmp_lt_i32_e64 s0, v117, v47
	s_delay_alu instid0(VALU_DEP_1) | instskip(SKIP_1) | instid1(VALU_DEP_1)
	v_cndmask_b32_e64 v154, 0, v154, s0
	v_cmp_lt_i32_e64 s0, v116, v47
	v_cndmask_b32_e64 v153, 0, v153, s0
; %bb.1913:                             ;   in Loop: Header=BB266_1062 Depth=1
	s_or_b32 exec_lo, exec_lo, s10
	flat_load_b32 v26, v[14:15] offset:3200
	v_mov_b32_e32 v16, 0
	v_mov_b32_e32 v17, 0
	s_mov_b32 s10, exec_lo
	s_waitcnt vmcnt(0) lgkmcnt(0)
	v_and_b32_e32 v8, 0xff, v26
	s_delay_alu instid0(VALU_DEP_2) | instskip(NEXT) | instid1(VALU_DEP_2)
	v_dual_mov_b32 v4, v16 :: v_dual_mov_b32 v5, v17
	v_cmpx_ne_u16_e32 0, v8
	s_cbranch_execz .LBB266_1921
; %bb.1914:                             ;   in Loop: Header=BB266_1062 Depth=1
	v_bfrev_b32_e32 v4, 1
	v_mov_b32_e32 v5, 0
	s_mov_b32 s13, exec_lo
	v_cmpx_ne_u16_e32 0x80, v8
	s_cbranch_execz .LBB266_1920
; %bb.1915:                             ;   in Loop: Header=BB266_1062 Depth=1
	v_mov_b32_e32 v4, 0x7f800001
	v_dual_mov_b32 v5, 0 :: v_dual_and_b32 v18, 0x7f, v26
	s_mov_b32 s15, exec_lo
	s_delay_alu instid0(VALU_DEP_1)
	v_cmpx_ne_u32_e32 0x7f, v18
	s_cbranch_execz .LBB266_1919
; %bb.1916:                             ;   in Loop: Header=BB266_1062 Depth=1
	v_and_b32_e32 v8, 7, v26
	v_lshrrev_b32_e32 v4, 3, v18
	s_mov_b32 s16, exec_lo
	v_cmpx_gt_u32_e32 8, v18
; %bb.1917:                             ;   in Loop: Header=BB266_1062 Depth=1
	s_delay_alu instid0(VALU_DEP_3) | instskip(NEXT) | instid1(VALU_DEP_1)
	v_clz_i32_u32_e32 v4, v8
	v_min_u32_e32 v4, 32, v4
	s_delay_alu instid0(VALU_DEP_1) | instskip(SKIP_1) | instid1(VALU_DEP_2)
	v_subrev_nc_u32_e32 v5, 28, v4
	v_sub_nc_u32_e32 v4, 29, v4
	v_lshlrev_b64 v[18:19], v5, v[8:9]
	s_delay_alu instid0(VALU_DEP_1)
	v_and_b32_e32 v8, 7, v18
; %bb.1918:                             ;   in Loop: Header=BB266_1062 Depth=1
	s_or_b32 exec_lo, exec_lo, s16
	v_lshlrev_b32_e32 v5, 24, v26
	s_delay_alu instid0(VALU_DEP_2) | instskip(SKIP_1) | instid1(VALU_DEP_3)
	v_lshlrev_b32_e32 v8, 20, v8
	v_lshl_add_u32 v4, v4, 23, 0x3c000000
	v_and_b32_e32 v5, 0x80000000, v5
	s_delay_alu instid0(VALU_DEP_1) | instskip(NEXT) | instid1(VALU_DEP_1)
	v_or3_b32 v8, v8, v5, v4
	v_dual_mov_b32 v4, v8 :: v_dual_mov_b32 v5, v9
.LBB266_1919:                           ;   in Loop: Header=BB266_1062 Depth=1
	s_or_b32 exec_lo, exec_lo, s15
.LBB266_1920:                           ;   in Loop: Header=BB266_1062 Depth=1
	s_delay_alu instid0(SALU_CYCLE_1)
	s_or_b32 exec_lo, exec_lo, s13
.LBB266_1921:                           ;   in Loop: Header=BB266_1062 Depth=1
	s_delay_alu instid0(SALU_CYCLE_1) | instskip(SKIP_2) | instid1(VALU_DEP_1)
	s_or_b32 exec_lo, exec_lo, s10
	v_lshrrev_b16 v8, 8, v26
	s_mov_b32 s13, exec_lo
	v_cmpx_ne_u16_e32 0, v8
	s_cbranch_execz .LBB266_1929
; %bb.1922:                             ;   in Loop: Header=BB266_1062 Depth=1
	v_dual_mov_b32 v17, s9 :: v_dual_mov_b32 v16, s8
	s_mov_b32 s15, exec_lo
	v_cmpx_ne_u16_e32 0x80, v8
	s_cbranch_execz .LBB266_1928
; %bb.1923:                             ;   in Loop: Header=BB266_1062 Depth=1
	s_mov_b32 s10, s8
	v_dual_mov_b32 v17, s11 :: v_dual_and_b32 v8, 0xffff, v8
	v_mov_b32_e32 v16, s10
	s_mov_b32 s10, exec_lo
	s_delay_alu instid0(VALU_DEP_2) | instskip(NEXT) | instid1(VALU_DEP_1)
	v_and_b32_e32 v18, 0x7f, v8
	v_cmpx_ne_u32_e32 0x7f, v18
	s_cbranch_execz .LBB266_1927
; %bb.1924:                             ;   in Loop: Header=BB266_1062 Depth=1
	v_and_b32_e32 v8, 7, v8
	v_lshrrev_b32_e32 v16, 3, v18
	s_mov_b32 s16, exec_lo
	v_cmpx_gt_u32_e32 8, v18
; %bb.1925:                             ;   in Loop: Header=BB266_1062 Depth=1
	s_delay_alu instid0(VALU_DEP_3) | instskip(NEXT) | instid1(VALU_DEP_1)
	v_clz_i32_u32_e32 v16, v8
	v_min_u32_e32 v16, 32, v16
	s_delay_alu instid0(VALU_DEP_1) | instskip(SKIP_1) | instid1(VALU_DEP_2)
	v_subrev_nc_u32_e32 v17, 28, v16
	v_sub_nc_u32_e32 v16, 29, v16
	v_lshlrev_b64 v[17:18], v17, v[8:9]
	s_delay_alu instid0(VALU_DEP_1)
	v_and_b32_e32 v8, 7, v17
; %bb.1926:                             ;   in Loop: Header=BB266_1062 Depth=1
	s_or_b32 exec_lo, exec_lo, s16
	v_lshlrev_b32_e32 v17, 16, v26
	s_delay_alu instid0(VALU_DEP_2) | instskip(SKIP_1) | instid1(VALU_DEP_3)
	v_lshlrev_b32_e32 v8, 20, v8
	v_lshl_add_u32 v16, v16, 23, 0x3c000000
	v_and_b32_e32 v17, 0x80000000, v17
	s_delay_alu instid0(VALU_DEP_1)
	v_or3_b32 v17, v8, v17, v16
	v_mov_b32_e32 v16, v9
.LBB266_1927:                           ;   in Loop: Header=BB266_1062 Depth=1
	s_or_b32 exec_lo, exec_lo, s10
.LBB266_1928:                           ;   in Loop: Header=BB266_1062 Depth=1
	s_delay_alu instid0(SALU_CYCLE_1)
	s_or_b32 exec_lo, exec_lo, s15
.LBB266_1929:                           ;   in Loop: Header=BB266_1062 Depth=1
	s_delay_alu instid0(SALU_CYCLE_1) | instskip(SKIP_4) | instid1(VALU_DEP_2)
	s_or_b32 exec_lo, exec_lo, s13
	v_mov_b32_e32 v20, 0
	v_lshrrev_b32_e32 v86, 16, v26
	v_mov_b32_e32 v21, 0
	s_mov_b32 s10, exec_lo
	v_and_b32_e32 v8, 0xff, v86
	s_delay_alu instid0(VALU_DEP_2) | instskip(NEXT) | instid1(VALU_DEP_2)
	v_dual_mov_b32 v18, v20 :: v_dual_mov_b32 v19, v21
	v_cmpx_ne_u16_e32 0, v8
	s_cbranch_execz .LBB266_1937
; %bb.1930:                             ;   in Loop: Header=BB266_1062 Depth=1
	v_bfrev_b32_e32 v18, 1
	v_mov_b32_e32 v19, 0
	s_mov_b32 s13, exec_lo
	v_cmpx_ne_u16_e32 0x80, v8
	s_cbranch_execz .LBB266_1936
; %bb.1931:                             ;   in Loop: Header=BB266_1062 Depth=1
	v_mov_b32_e32 v18, 0x7f800001
	v_bfe_u32 v87, v26, 16, 7
	v_mov_b32_e32 v19, 0
	s_mov_b32 s15, exec_lo
	s_delay_alu instid0(VALU_DEP_2)
	v_cmpx_ne_u32_e32 0x7f, v87
	s_cbranch_execz .LBB266_1935
; %bb.1932:                             ;   in Loop: Header=BB266_1062 Depth=1
	v_and_b32_e32 v8, 7, v86
	v_lshrrev_b32_e32 v18, 3, v87
	s_mov_b32 s16, exec_lo
	v_cmpx_gt_u32_e32 8, v87
; %bb.1933:                             ;   in Loop: Header=BB266_1062 Depth=1
	s_delay_alu instid0(VALU_DEP_3) | instskip(NEXT) | instid1(VALU_DEP_1)
	v_clz_i32_u32_e32 v18, v8
	v_min_u32_e32 v18, 32, v18
	s_delay_alu instid0(VALU_DEP_1) | instskip(SKIP_1) | instid1(VALU_DEP_2)
	v_subrev_nc_u32_e32 v19, 28, v18
	v_sub_nc_u32_e32 v18, 29, v18
	v_lshlrev_b64 v[157:158], v19, v[8:9]
	s_delay_alu instid0(VALU_DEP_1)
	v_and_b32_e32 v8, 7, v157
; %bb.1934:                             ;   in Loop: Header=BB266_1062 Depth=1
	s_or_b32 exec_lo, exec_lo, s16
	v_lshlrev_b32_e32 v19, 24, v86
	s_delay_alu instid0(VALU_DEP_2) | instskip(SKIP_1) | instid1(VALU_DEP_3)
	v_lshlrev_b32_e32 v8, 20, v8
	v_lshl_add_u32 v18, v18, 23, 0x3c000000
	v_and_b32_e32 v19, 0x80000000, v19
	s_delay_alu instid0(VALU_DEP_1) | instskip(NEXT) | instid1(VALU_DEP_1)
	v_or3_b32 v8, v8, v19, v18
	v_dual_mov_b32 v19, v9 :: v_dual_mov_b32 v18, v8
.LBB266_1935:                           ;   in Loop: Header=BB266_1062 Depth=1
	s_or_b32 exec_lo, exec_lo, s15
.LBB266_1936:                           ;   in Loop: Header=BB266_1062 Depth=1
	s_delay_alu instid0(SALU_CYCLE_1)
	s_or_b32 exec_lo, exec_lo, s13
.LBB266_1937:                           ;   in Loop: Header=BB266_1062 Depth=1
	s_delay_alu instid0(SALU_CYCLE_1) | instskip(NEXT) | instid1(SALU_CYCLE_1)
	s_or_b32 exec_lo, exec_lo, s10
	s_mov_b32 s13, exec_lo
	v_cmpx_lt_u32_e32 0xffffff, v26
	s_cbranch_execz .LBB266_1945
; %bb.1938:                             ;   in Loop: Header=BB266_1062 Depth=1
	v_lshrrev_b32_e32 v86, 24, v26
	v_dual_mov_b32 v21, s9 :: v_dual_mov_b32 v20, s8
	s_mov_b32 s15, exec_lo
	s_delay_alu instid0(VALU_DEP_2)
	v_cmpx_ne_u32_e32 0x80, v86
	s_cbranch_execz .LBB266_1944
; %bb.1939:                             ;   in Loop: Header=BB266_1062 Depth=1
	s_mov_b32 s10, s8
	v_bfe_u32 v26, v26, 24, 7
	v_dual_mov_b32 v21, s11 :: v_dual_mov_b32 v20, s10
	s_mov_b32 s10, exec_lo
	s_delay_alu instid0(VALU_DEP_2)
	v_cmpx_ne_u32_e32 0x7f, v26
	s_cbranch_execz .LBB266_1943
; %bb.1940:                             ;   in Loop: Header=BB266_1062 Depth=1
	v_and_b32_e32 v8, 7, v86
	v_lshrrev_b32_e32 v20, 3, v26
	s_mov_b32 s16, exec_lo
	v_cmpx_gt_u32_e32 8, v26
; %bb.1941:                             ;   in Loop: Header=BB266_1062 Depth=1
	s_delay_alu instid0(VALU_DEP_3) | instskip(NEXT) | instid1(VALU_DEP_1)
	v_clz_i32_u32_e32 v20, v8
	v_min_u32_e32 v20, 32, v20
	s_delay_alu instid0(VALU_DEP_1) | instskip(SKIP_1) | instid1(VALU_DEP_2)
	v_subrev_nc_u32_e32 v21, 28, v20
	v_sub_nc_u32_e32 v20, 29, v20
	v_lshlrev_b64 v[157:158], v21, v[8:9]
	s_delay_alu instid0(VALU_DEP_1)
	v_and_b32_e32 v8, 7, v157
; %bb.1942:                             ;   in Loop: Header=BB266_1062 Depth=1
	s_or_b32 exec_lo, exec_lo, s16
	v_lshlrev_b32_e32 v21, 24, v86
	s_delay_alu instid0(VALU_DEP_2) | instskip(SKIP_1) | instid1(VALU_DEP_3)
	v_lshlrev_b32_e32 v8, 20, v8
	v_lshl_add_u32 v20, v20, 23, 0x3c000000
	v_and_b32_e32 v21, 0x80000000, v21
	s_delay_alu instid0(VALU_DEP_1)
	v_or3_b32 v21, v8, v21, v20
	v_mov_b32_e32 v20, v9
.LBB266_1943:                           ;   in Loop: Header=BB266_1062 Depth=1
	s_or_b32 exec_lo, exec_lo, s10
.LBB266_1944:                           ;   in Loop: Header=BB266_1062 Depth=1
	s_delay_alu instid0(SALU_CYCLE_1)
	s_or_b32 exec_lo, exec_lo, s15
.LBB266_1945:                           ;   in Loop: Header=BB266_1062 Depth=1
	s_delay_alu instid0(SALU_CYCLE_1) | instskip(SKIP_4) | instid1(VALU_DEP_4)
	s_or_b32 exec_lo, exec_lo, s13
	v_or_b32_e32 v5, v17, v5
	v_or_b32_e32 v4, v16, v4
	;; [unrolled: 1-line block ×4, first 2 shown]
	v_mul_f32_e32 v168, v102, v5
	s_delay_alu instid0(VALU_DEP_4) | instskip(NEXT) | instid1(VALU_DEP_4)
	v_mul_f32_e32 v159, v102, v4
	v_mul_f32_e32 v157, v102, v8
	s_delay_alu instid0(VALU_DEP_4)
	v_mul_f32_e32 v158, v102, v16
	s_and_saveexec_b32 s10, vcc_lo
; %bb.1946:                             ;   in Loop: Header=BB266_1062 Depth=1
	v_cmp_lt_i32_e64 s0, v115, v47
	s_delay_alu instid0(VALU_DEP_1) | instskip(SKIP_1) | instid1(VALU_DEP_1)
	v_cndmask_b32_e64 v159, 0, v159, s0
	v_cmp_lt_i32_e64 s0, v118, v47
	v_cndmask_b32_e64 v168, 0, v168, s0
	v_cmp_lt_i32_e64 s0, v117, v47
	s_delay_alu instid0(VALU_DEP_1) | instskip(SKIP_1) | instid1(VALU_DEP_1)
	v_cndmask_b32_e64 v158, 0, v158, s0
	v_cmp_lt_i32_e64 s0, v116, v47
	v_cndmask_b32_e64 v157, 0, v157, s0
; %bb.1947:                             ;   in Loop: Header=BB266_1062 Depth=1
	s_or_b32 exec_lo, exec_lo, s10
	flat_load_b32 v26, v[14:15] offset:3328
	v_mov_b32_e32 v16, 0
	v_mov_b32_e32 v17, 0
	s_mov_b32 s10, exec_lo
	s_waitcnt vmcnt(0) lgkmcnt(0)
	v_and_b32_e32 v8, 0xff, v26
	s_delay_alu instid0(VALU_DEP_2) | instskip(NEXT) | instid1(VALU_DEP_2)
	v_dual_mov_b32 v4, v16 :: v_dual_mov_b32 v5, v17
	v_cmpx_ne_u16_e32 0, v8
	s_cbranch_execz .LBB266_1955
; %bb.1948:                             ;   in Loop: Header=BB266_1062 Depth=1
	v_bfrev_b32_e32 v4, 1
	v_mov_b32_e32 v5, 0
	s_mov_b32 s13, exec_lo
	v_cmpx_ne_u16_e32 0x80, v8
	s_cbranch_execz .LBB266_1954
; %bb.1949:                             ;   in Loop: Header=BB266_1062 Depth=1
	v_mov_b32_e32 v4, 0x7f800001
	v_dual_mov_b32 v5, 0 :: v_dual_and_b32 v18, 0x7f, v26
	s_mov_b32 s15, exec_lo
	s_delay_alu instid0(VALU_DEP_1)
	v_cmpx_ne_u32_e32 0x7f, v18
	s_cbranch_execz .LBB266_1953
; %bb.1950:                             ;   in Loop: Header=BB266_1062 Depth=1
	v_and_b32_e32 v8, 7, v26
	v_lshrrev_b32_e32 v4, 3, v18
	s_mov_b32 s16, exec_lo
	v_cmpx_gt_u32_e32 8, v18
; %bb.1951:                             ;   in Loop: Header=BB266_1062 Depth=1
	s_delay_alu instid0(VALU_DEP_3) | instskip(NEXT) | instid1(VALU_DEP_1)
	v_clz_i32_u32_e32 v4, v8
	v_min_u32_e32 v4, 32, v4
	s_delay_alu instid0(VALU_DEP_1) | instskip(SKIP_1) | instid1(VALU_DEP_2)
	v_subrev_nc_u32_e32 v5, 28, v4
	v_sub_nc_u32_e32 v4, 29, v4
	v_lshlrev_b64 v[18:19], v5, v[8:9]
	s_delay_alu instid0(VALU_DEP_1)
	v_and_b32_e32 v8, 7, v18
; %bb.1952:                             ;   in Loop: Header=BB266_1062 Depth=1
	s_or_b32 exec_lo, exec_lo, s16
	v_lshlrev_b32_e32 v5, 24, v26
	s_delay_alu instid0(VALU_DEP_2) | instskip(SKIP_1) | instid1(VALU_DEP_3)
	v_lshlrev_b32_e32 v8, 20, v8
	v_lshl_add_u32 v4, v4, 23, 0x3c000000
	v_and_b32_e32 v5, 0x80000000, v5
	s_delay_alu instid0(VALU_DEP_1) | instskip(NEXT) | instid1(VALU_DEP_1)
	v_or3_b32 v8, v8, v5, v4
	v_dual_mov_b32 v4, v8 :: v_dual_mov_b32 v5, v9
.LBB266_1953:                           ;   in Loop: Header=BB266_1062 Depth=1
	s_or_b32 exec_lo, exec_lo, s15
.LBB266_1954:                           ;   in Loop: Header=BB266_1062 Depth=1
	s_delay_alu instid0(SALU_CYCLE_1)
	s_or_b32 exec_lo, exec_lo, s13
.LBB266_1955:                           ;   in Loop: Header=BB266_1062 Depth=1
	s_delay_alu instid0(SALU_CYCLE_1) | instskip(SKIP_2) | instid1(VALU_DEP_1)
	s_or_b32 exec_lo, exec_lo, s10
	v_lshrrev_b16 v8, 8, v26
	s_mov_b32 s13, exec_lo
	v_cmpx_ne_u16_e32 0, v8
	s_cbranch_execz .LBB266_1963
; %bb.1956:                             ;   in Loop: Header=BB266_1062 Depth=1
	v_dual_mov_b32 v17, s9 :: v_dual_mov_b32 v16, s8
	s_mov_b32 s15, exec_lo
	v_cmpx_ne_u16_e32 0x80, v8
	s_cbranch_execz .LBB266_1962
; %bb.1957:                             ;   in Loop: Header=BB266_1062 Depth=1
	s_mov_b32 s10, s8
	v_dual_mov_b32 v17, s11 :: v_dual_and_b32 v8, 0xffff, v8
	v_mov_b32_e32 v16, s10
	s_mov_b32 s10, exec_lo
	s_delay_alu instid0(VALU_DEP_2) | instskip(NEXT) | instid1(VALU_DEP_1)
	v_and_b32_e32 v18, 0x7f, v8
	v_cmpx_ne_u32_e32 0x7f, v18
	s_cbranch_execz .LBB266_1961
; %bb.1958:                             ;   in Loop: Header=BB266_1062 Depth=1
	v_and_b32_e32 v8, 7, v8
	v_lshrrev_b32_e32 v16, 3, v18
	s_mov_b32 s16, exec_lo
	v_cmpx_gt_u32_e32 8, v18
; %bb.1959:                             ;   in Loop: Header=BB266_1062 Depth=1
	s_delay_alu instid0(VALU_DEP_3) | instskip(NEXT) | instid1(VALU_DEP_1)
	v_clz_i32_u32_e32 v16, v8
	v_min_u32_e32 v16, 32, v16
	s_delay_alu instid0(VALU_DEP_1) | instskip(SKIP_1) | instid1(VALU_DEP_2)
	v_subrev_nc_u32_e32 v17, 28, v16
	v_sub_nc_u32_e32 v16, 29, v16
	v_lshlrev_b64 v[17:18], v17, v[8:9]
	s_delay_alu instid0(VALU_DEP_1)
	v_and_b32_e32 v8, 7, v17
; %bb.1960:                             ;   in Loop: Header=BB266_1062 Depth=1
	s_or_b32 exec_lo, exec_lo, s16
	v_lshlrev_b32_e32 v17, 16, v26
	s_delay_alu instid0(VALU_DEP_2) | instskip(SKIP_1) | instid1(VALU_DEP_3)
	v_lshlrev_b32_e32 v8, 20, v8
	v_lshl_add_u32 v16, v16, 23, 0x3c000000
	v_and_b32_e32 v17, 0x80000000, v17
	s_delay_alu instid0(VALU_DEP_1)
	v_or3_b32 v17, v8, v17, v16
	v_mov_b32_e32 v16, v9
.LBB266_1961:                           ;   in Loop: Header=BB266_1062 Depth=1
	s_or_b32 exec_lo, exec_lo, s10
.LBB266_1962:                           ;   in Loop: Header=BB266_1062 Depth=1
	s_delay_alu instid0(SALU_CYCLE_1)
	s_or_b32 exec_lo, exec_lo, s15
.LBB266_1963:                           ;   in Loop: Header=BB266_1062 Depth=1
	s_delay_alu instid0(SALU_CYCLE_1) | instskip(SKIP_4) | instid1(VALU_DEP_1)
	s_or_b32 exec_lo, exec_lo, s13
	v_mov_b32_e32 v18, 0
	v_lshrrev_b32_e32 v86, 16, v26
	v_mov_b32_e32 v19, 0
	s_mov_b32 s10, exec_lo
	v_dual_mov_b32 v21, v19 :: v_dual_and_b32 v8, 0xff, v86
	v_mov_b32_e32 v20, v18
	s_delay_alu instid0(VALU_DEP_2)
	v_cmpx_ne_u16_e32 0, v8
	s_cbranch_execz .LBB266_1971
; %bb.1964:                             ;   in Loop: Header=BB266_1062 Depth=1
	v_bfrev_b32_e32 v20, 1
	v_mov_b32_e32 v21, 0
	s_mov_b32 s13, exec_lo
	v_cmpx_ne_u16_e32 0x80, v8
	s_cbranch_execz .LBB266_1970
; %bb.1965:                             ;   in Loop: Header=BB266_1062 Depth=1
	v_mov_b32_e32 v20, 0x7f800001
	v_bfe_u32 v87, v26, 16, 7
	v_mov_b32_e32 v21, 0
	s_mov_b32 s15, exec_lo
	s_delay_alu instid0(VALU_DEP_2)
	v_cmpx_ne_u32_e32 0x7f, v87
	s_cbranch_execz .LBB266_1969
; %bb.1966:                             ;   in Loop: Header=BB266_1062 Depth=1
	v_and_b32_e32 v8, 7, v86
	v_lshrrev_b32_e32 v20, 3, v87
	s_mov_b32 s16, exec_lo
	v_cmpx_gt_u32_e32 8, v87
; %bb.1967:                             ;   in Loop: Header=BB266_1062 Depth=1
	s_delay_alu instid0(VALU_DEP_3) | instskip(NEXT) | instid1(VALU_DEP_1)
	v_clz_i32_u32_e32 v20, v8
	v_min_u32_e32 v20, 32, v20
	s_delay_alu instid0(VALU_DEP_1) | instskip(SKIP_1) | instid1(VALU_DEP_2)
	v_subrev_nc_u32_e32 v21, 28, v20
	v_sub_nc_u32_e32 v20, 29, v20
	v_lshlrev_b64 v[169:170], v21, v[8:9]
	s_delay_alu instid0(VALU_DEP_1)
	v_and_b32_e32 v8, 7, v169
; %bb.1968:                             ;   in Loop: Header=BB266_1062 Depth=1
	s_or_b32 exec_lo, exec_lo, s16
	v_lshlrev_b32_e32 v21, 24, v86
	s_delay_alu instid0(VALU_DEP_2) | instskip(SKIP_1) | instid1(VALU_DEP_3)
	v_lshlrev_b32_e32 v8, 20, v8
	v_lshl_add_u32 v20, v20, 23, 0x3c000000
	v_and_b32_e32 v21, 0x80000000, v21
	s_delay_alu instid0(VALU_DEP_1) | instskip(NEXT) | instid1(VALU_DEP_1)
	v_or3_b32 v8, v8, v21, v20
	v_dual_mov_b32 v21, v9 :: v_dual_mov_b32 v20, v8
.LBB266_1969:                           ;   in Loop: Header=BB266_1062 Depth=1
	s_or_b32 exec_lo, exec_lo, s15
.LBB266_1970:                           ;   in Loop: Header=BB266_1062 Depth=1
	s_delay_alu instid0(SALU_CYCLE_1)
	s_or_b32 exec_lo, exec_lo, s13
.LBB266_1971:                           ;   in Loop: Header=BB266_1062 Depth=1
	s_delay_alu instid0(SALU_CYCLE_1) | instskip(NEXT) | instid1(SALU_CYCLE_1)
	s_or_b32 exec_lo, exec_lo, s10
	s_mov_b32 s13, exec_lo
	v_cmpx_lt_u32_e32 0xffffff, v26
	s_cbranch_execz .LBB266_1979
; %bb.1972:                             ;   in Loop: Header=BB266_1062 Depth=1
	v_lshrrev_b32_e32 v86, 24, v26
	v_dual_mov_b32 v19, s9 :: v_dual_mov_b32 v18, s8
	s_mov_b32 s15, exec_lo
	s_delay_alu instid0(VALU_DEP_2)
	v_cmpx_ne_u32_e32 0x80, v86
	s_cbranch_execz .LBB266_1978
; %bb.1973:                             ;   in Loop: Header=BB266_1062 Depth=1
	s_mov_b32 s10, s8
	v_bfe_u32 v26, v26, 24, 7
	v_dual_mov_b32 v19, s11 :: v_dual_mov_b32 v18, s10
	s_mov_b32 s10, exec_lo
	s_delay_alu instid0(VALU_DEP_2)
	v_cmpx_ne_u32_e32 0x7f, v26
	s_cbranch_execz .LBB266_1977
; %bb.1974:                             ;   in Loop: Header=BB266_1062 Depth=1
	v_and_b32_e32 v8, 7, v86
	v_lshrrev_b32_e32 v18, 3, v26
	s_mov_b32 s16, exec_lo
	v_cmpx_gt_u32_e32 8, v26
; %bb.1975:                             ;   in Loop: Header=BB266_1062 Depth=1
	s_delay_alu instid0(VALU_DEP_3) | instskip(NEXT) | instid1(VALU_DEP_1)
	v_clz_i32_u32_e32 v18, v8
	v_min_u32_e32 v18, 32, v18
	s_delay_alu instid0(VALU_DEP_1) | instskip(SKIP_1) | instid1(VALU_DEP_2)
	v_subrev_nc_u32_e32 v19, 28, v18
	v_sub_nc_u32_e32 v18, 29, v18
	v_lshlrev_b64 v[169:170], v19, v[8:9]
	s_delay_alu instid0(VALU_DEP_1)
	v_and_b32_e32 v8, 7, v169
; %bb.1976:                             ;   in Loop: Header=BB266_1062 Depth=1
	s_or_b32 exec_lo, exec_lo, s16
	v_lshlrev_b32_e32 v19, 24, v86
	s_delay_alu instid0(VALU_DEP_2) | instskip(SKIP_1) | instid1(VALU_DEP_3)
	v_lshlrev_b32_e32 v8, 20, v8
	v_lshl_add_u32 v18, v18, 23, 0x3c000000
	v_and_b32_e32 v19, 0x80000000, v19
	s_delay_alu instid0(VALU_DEP_1)
	v_or3_b32 v19, v8, v19, v18
	v_mov_b32_e32 v18, v9
.LBB266_1977:                           ;   in Loop: Header=BB266_1062 Depth=1
	s_or_b32 exec_lo, exec_lo, s10
.LBB266_1978:                           ;   in Loop: Header=BB266_1062 Depth=1
	s_delay_alu instid0(SALU_CYCLE_1)
	s_or_b32 exec_lo, exec_lo, s15
.LBB266_1979:                           ;   in Loop: Header=BB266_1062 Depth=1
	s_delay_alu instid0(SALU_CYCLE_1) | instskip(SKIP_4) | instid1(VALU_DEP_4)
	s_or_b32 exec_lo, exec_lo, s13
	v_or_b32_e32 v5, v17, v5
	v_or_b32_e32 v4, v16, v4
	;; [unrolled: 1-line block ×4, first 2 shown]
	v_mul_f32_e32 v172, v102, v5
	s_delay_alu instid0(VALU_DEP_4) | instskip(NEXT) | instid1(VALU_DEP_4)
	v_mul_f32_e32 v171, v102, v4
	v_mul_f32_e32 v169, v102, v8
	s_delay_alu instid0(VALU_DEP_4)
	v_mul_f32_e32 v170, v102, v16
	s_and_saveexec_b32 s10, vcc_lo
; %bb.1980:                             ;   in Loop: Header=BB266_1062 Depth=1
	v_cmp_lt_i32_e64 s0, v115, v47
	s_delay_alu instid0(VALU_DEP_1) | instskip(SKIP_1) | instid1(VALU_DEP_1)
	v_cndmask_b32_e64 v171, 0, v171, s0
	v_cmp_lt_i32_e64 s0, v118, v47
	v_cndmask_b32_e64 v172, 0, v172, s0
	v_cmp_lt_i32_e64 s0, v117, v47
	s_delay_alu instid0(VALU_DEP_1) | instskip(SKIP_1) | instid1(VALU_DEP_1)
	v_cndmask_b32_e64 v170, 0, v170, s0
	v_cmp_lt_i32_e64 s0, v116, v47
	v_cndmask_b32_e64 v169, 0, v169, s0
; %bb.1981:                             ;   in Loop: Header=BB266_1062 Depth=1
	s_or_b32 exec_lo, exec_lo, s10
	flat_load_b32 v26, v[14:15] offset:3456
	v_mov_b32_e32 v16, 0
	v_mov_b32_e32 v17, 0
	s_mov_b32 s10, exec_lo
	s_waitcnt vmcnt(0) lgkmcnt(0)
	v_and_b32_e32 v8, 0xff, v26
	s_delay_alu instid0(VALU_DEP_2) | instskip(NEXT) | instid1(VALU_DEP_2)
	v_dual_mov_b32 v4, v16 :: v_dual_mov_b32 v5, v17
	v_cmpx_ne_u16_e32 0, v8
	s_cbranch_execz .LBB266_1989
; %bb.1982:                             ;   in Loop: Header=BB266_1062 Depth=1
	v_bfrev_b32_e32 v4, 1
	v_mov_b32_e32 v5, 0
	s_mov_b32 s13, exec_lo
	v_cmpx_ne_u16_e32 0x80, v8
	s_cbranch_execz .LBB266_1988
; %bb.1983:                             ;   in Loop: Header=BB266_1062 Depth=1
	v_mov_b32_e32 v4, 0x7f800001
	v_dual_mov_b32 v5, 0 :: v_dual_and_b32 v18, 0x7f, v26
	s_mov_b32 s15, exec_lo
	s_delay_alu instid0(VALU_DEP_1)
	v_cmpx_ne_u32_e32 0x7f, v18
	s_cbranch_execz .LBB266_1987
; %bb.1984:                             ;   in Loop: Header=BB266_1062 Depth=1
	v_and_b32_e32 v8, 7, v26
	v_lshrrev_b32_e32 v4, 3, v18
	s_mov_b32 s16, exec_lo
	v_cmpx_gt_u32_e32 8, v18
; %bb.1985:                             ;   in Loop: Header=BB266_1062 Depth=1
	s_delay_alu instid0(VALU_DEP_3) | instskip(NEXT) | instid1(VALU_DEP_1)
	v_clz_i32_u32_e32 v4, v8
	v_min_u32_e32 v4, 32, v4
	s_delay_alu instid0(VALU_DEP_1) | instskip(SKIP_1) | instid1(VALU_DEP_2)
	v_subrev_nc_u32_e32 v5, 28, v4
	v_sub_nc_u32_e32 v4, 29, v4
	v_lshlrev_b64 v[18:19], v5, v[8:9]
	s_delay_alu instid0(VALU_DEP_1)
	v_and_b32_e32 v8, 7, v18
; %bb.1986:                             ;   in Loop: Header=BB266_1062 Depth=1
	s_or_b32 exec_lo, exec_lo, s16
	v_lshlrev_b32_e32 v5, 24, v26
	s_delay_alu instid0(VALU_DEP_2) | instskip(SKIP_1) | instid1(VALU_DEP_3)
	v_lshlrev_b32_e32 v8, 20, v8
	v_lshl_add_u32 v4, v4, 23, 0x3c000000
	v_and_b32_e32 v5, 0x80000000, v5
	s_delay_alu instid0(VALU_DEP_1) | instskip(NEXT) | instid1(VALU_DEP_1)
	v_or3_b32 v8, v8, v5, v4
	v_dual_mov_b32 v4, v8 :: v_dual_mov_b32 v5, v9
.LBB266_1987:                           ;   in Loop: Header=BB266_1062 Depth=1
	s_or_b32 exec_lo, exec_lo, s15
.LBB266_1988:                           ;   in Loop: Header=BB266_1062 Depth=1
	s_delay_alu instid0(SALU_CYCLE_1)
	s_or_b32 exec_lo, exec_lo, s13
.LBB266_1989:                           ;   in Loop: Header=BB266_1062 Depth=1
	s_delay_alu instid0(SALU_CYCLE_1) | instskip(SKIP_2) | instid1(VALU_DEP_1)
	s_or_b32 exec_lo, exec_lo, s10
	v_lshrrev_b16 v8, 8, v26
	s_mov_b32 s13, exec_lo
	v_cmpx_ne_u16_e32 0, v8
	s_cbranch_execz .LBB266_1997
; %bb.1990:                             ;   in Loop: Header=BB266_1062 Depth=1
	v_dual_mov_b32 v17, s9 :: v_dual_mov_b32 v16, s8
	s_mov_b32 s15, exec_lo
	v_cmpx_ne_u16_e32 0x80, v8
	s_cbranch_execz .LBB266_1996
; %bb.1991:                             ;   in Loop: Header=BB266_1062 Depth=1
	s_mov_b32 s10, s8
	v_dual_mov_b32 v17, s11 :: v_dual_and_b32 v8, 0xffff, v8
	v_mov_b32_e32 v16, s10
	s_mov_b32 s10, exec_lo
	s_delay_alu instid0(VALU_DEP_2) | instskip(NEXT) | instid1(VALU_DEP_1)
	v_and_b32_e32 v18, 0x7f, v8
	v_cmpx_ne_u32_e32 0x7f, v18
	s_cbranch_execz .LBB266_1995
; %bb.1992:                             ;   in Loop: Header=BB266_1062 Depth=1
	v_and_b32_e32 v8, 7, v8
	v_lshrrev_b32_e32 v16, 3, v18
	s_mov_b32 s16, exec_lo
	v_cmpx_gt_u32_e32 8, v18
; %bb.1993:                             ;   in Loop: Header=BB266_1062 Depth=1
	s_delay_alu instid0(VALU_DEP_3) | instskip(NEXT) | instid1(VALU_DEP_1)
	v_clz_i32_u32_e32 v16, v8
	v_min_u32_e32 v16, 32, v16
	s_delay_alu instid0(VALU_DEP_1) | instskip(SKIP_1) | instid1(VALU_DEP_2)
	v_subrev_nc_u32_e32 v17, 28, v16
	v_sub_nc_u32_e32 v16, 29, v16
	v_lshlrev_b64 v[17:18], v17, v[8:9]
	s_delay_alu instid0(VALU_DEP_1)
	v_and_b32_e32 v8, 7, v17
; %bb.1994:                             ;   in Loop: Header=BB266_1062 Depth=1
	s_or_b32 exec_lo, exec_lo, s16
	v_lshlrev_b32_e32 v17, 16, v26
	s_delay_alu instid0(VALU_DEP_2) | instskip(SKIP_1) | instid1(VALU_DEP_3)
	v_lshlrev_b32_e32 v8, 20, v8
	v_lshl_add_u32 v16, v16, 23, 0x3c000000
	v_and_b32_e32 v17, 0x80000000, v17
	s_delay_alu instid0(VALU_DEP_1)
	v_or3_b32 v17, v8, v17, v16
	v_mov_b32_e32 v16, v9
.LBB266_1995:                           ;   in Loop: Header=BB266_1062 Depth=1
	s_or_b32 exec_lo, exec_lo, s10
.LBB266_1996:                           ;   in Loop: Header=BB266_1062 Depth=1
	s_delay_alu instid0(SALU_CYCLE_1)
	s_or_b32 exec_lo, exec_lo, s15
.LBB266_1997:                           ;   in Loop: Header=BB266_1062 Depth=1
	s_delay_alu instid0(SALU_CYCLE_1) | instskip(SKIP_4) | instid1(VALU_DEP_1)
	s_or_b32 exec_lo, exec_lo, s13
	v_mov_b32_e32 v18, 0
	v_lshrrev_b32_e32 v86, 16, v26
	v_mov_b32_e32 v19, 0
	s_mov_b32 s10, exec_lo
	v_dual_mov_b32 v21, v19 :: v_dual_and_b32 v8, 0xff, v86
	v_mov_b32_e32 v20, v18
	s_delay_alu instid0(VALU_DEP_2)
	v_cmpx_ne_u16_e32 0, v8
	s_cbranch_execz .LBB266_2005
; %bb.1998:                             ;   in Loop: Header=BB266_1062 Depth=1
	v_bfrev_b32_e32 v20, 1
	v_mov_b32_e32 v21, 0
	s_mov_b32 s13, exec_lo
	v_cmpx_ne_u16_e32 0x80, v8
	s_cbranch_execz .LBB266_2004
; %bb.1999:                             ;   in Loop: Header=BB266_1062 Depth=1
	v_mov_b32_e32 v20, 0x7f800001
	v_bfe_u32 v87, v26, 16, 7
	v_mov_b32_e32 v21, 0
	s_mov_b32 s15, exec_lo
	s_delay_alu instid0(VALU_DEP_2)
	v_cmpx_ne_u32_e32 0x7f, v87
	s_cbranch_execz .LBB266_2003
; %bb.2000:                             ;   in Loop: Header=BB266_1062 Depth=1
	v_and_b32_e32 v8, 7, v86
	v_lshrrev_b32_e32 v20, 3, v87
	s_mov_b32 s16, exec_lo
	v_cmpx_gt_u32_e32 8, v87
; %bb.2001:                             ;   in Loop: Header=BB266_1062 Depth=1
	s_delay_alu instid0(VALU_DEP_3) | instskip(NEXT) | instid1(VALU_DEP_1)
	v_clz_i32_u32_e32 v20, v8
	v_min_u32_e32 v20, 32, v20
	s_delay_alu instid0(VALU_DEP_1) | instskip(SKIP_1) | instid1(VALU_DEP_2)
	v_subrev_nc_u32_e32 v21, 28, v20
	v_sub_nc_u32_e32 v20, 29, v20
	v_lshlrev_b64 v[173:174], v21, v[8:9]
	s_delay_alu instid0(VALU_DEP_1)
	v_and_b32_e32 v8, 7, v173
; %bb.2002:                             ;   in Loop: Header=BB266_1062 Depth=1
	s_or_b32 exec_lo, exec_lo, s16
	v_lshlrev_b32_e32 v21, 24, v86
	s_delay_alu instid0(VALU_DEP_2) | instskip(SKIP_1) | instid1(VALU_DEP_3)
	v_lshlrev_b32_e32 v8, 20, v8
	v_lshl_add_u32 v20, v20, 23, 0x3c000000
	v_and_b32_e32 v21, 0x80000000, v21
	s_delay_alu instid0(VALU_DEP_1) | instskip(NEXT) | instid1(VALU_DEP_1)
	v_or3_b32 v8, v8, v21, v20
	v_dual_mov_b32 v21, v9 :: v_dual_mov_b32 v20, v8
.LBB266_2003:                           ;   in Loop: Header=BB266_1062 Depth=1
	s_or_b32 exec_lo, exec_lo, s15
.LBB266_2004:                           ;   in Loop: Header=BB266_1062 Depth=1
	s_delay_alu instid0(SALU_CYCLE_1)
	s_or_b32 exec_lo, exec_lo, s13
.LBB266_2005:                           ;   in Loop: Header=BB266_1062 Depth=1
	s_delay_alu instid0(SALU_CYCLE_1) | instskip(NEXT) | instid1(SALU_CYCLE_1)
	s_or_b32 exec_lo, exec_lo, s10
	s_mov_b32 s13, exec_lo
	v_cmpx_lt_u32_e32 0xffffff, v26
	s_cbranch_execz .LBB266_2013
; %bb.2006:                             ;   in Loop: Header=BB266_1062 Depth=1
	v_lshrrev_b32_e32 v86, 24, v26
	v_dual_mov_b32 v19, s9 :: v_dual_mov_b32 v18, s8
	s_mov_b32 s15, exec_lo
	s_delay_alu instid0(VALU_DEP_2)
	v_cmpx_ne_u32_e32 0x80, v86
	s_cbranch_execz .LBB266_2012
; %bb.2007:                             ;   in Loop: Header=BB266_1062 Depth=1
	s_mov_b32 s10, s8
	v_bfe_u32 v26, v26, 24, 7
	v_dual_mov_b32 v19, s11 :: v_dual_mov_b32 v18, s10
	s_mov_b32 s10, exec_lo
	s_delay_alu instid0(VALU_DEP_2)
	v_cmpx_ne_u32_e32 0x7f, v26
	s_cbranch_execz .LBB266_2011
; %bb.2008:                             ;   in Loop: Header=BB266_1062 Depth=1
	v_and_b32_e32 v8, 7, v86
	v_lshrrev_b32_e32 v18, 3, v26
	s_mov_b32 s16, exec_lo
	v_cmpx_gt_u32_e32 8, v26
; %bb.2009:                             ;   in Loop: Header=BB266_1062 Depth=1
	s_delay_alu instid0(VALU_DEP_3) | instskip(NEXT) | instid1(VALU_DEP_1)
	v_clz_i32_u32_e32 v18, v8
	v_min_u32_e32 v18, 32, v18
	s_delay_alu instid0(VALU_DEP_1) | instskip(SKIP_1) | instid1(VALU_DEP_2)
	v_subrev_nc_u32_e32 v19, 28, v18
	v_sub_nc_u32_e32 v18, 29, v18
	v_lshlrev_b64 v[173:174], v19, v[8:9]
	s_delay_alu instid0(VALU_DEP_1)
	v_and_b32_e32 v8, 7, v173
; %bb.2010:                             ;   in Loop: Header=BB266_1062 Depth=1
	s_or_b32 exec_lo, exec_lo, s16
	v_lshlrev_b32_e32 v19, 24, v86
	s_delay_alu instid0(VALU_DEP_2) | instskip(SKIP_1) | instid1(VALU_DEP_3)
	v_lshlrev_b32_e32 v8, 20, v8
	v_lshl_add_u32 v18, v18, 23, 0x3c000000
	v_and_b32_e32 v19, 0x80000000, v19
	s_delay_alu instid0(VALU_DEP_1)
	v_or3_b32 v19, v8, v19, v18
	v_mov_b32_e32 v18, v9
.LBB266_2011:                           ;   in Loop: Header=BB266_1062 Depth=1
	s_or_b32 exec_lo, exec_lo, s10
.LBB266_2012:                           ;   in Loop: Header=BB266_1062 Depth=1
	s_delay_alu instid0(SALU_CYCLE_1)
	s_or_b32 exec_lo, exec_lo, s15
.LBB266_2013:                           ;   in Loop: Header=BB266_1062 Depth=1
	s_delay_alu instid0(SALU_CYCLE_1) | instskip(SKIP_4) | instid1(VALU_DEP_4)
	s_or_b32 exec_lo, exec_lo, s13
	v_or_b32_e32 v5, v17, v5
	v_or_b32_e32 v4, v16, v4
	;; [unrolled: 1-line block ×4, first 2 shown]
	v_mul_f32_e32 v184, v102, v5
	s_delay_alu instid0(VALU_DEP_4) | instskip(NEXT) | instid1(VALU_DEP_4)
	v_mul_f32_e32 v175, v102, v4
	v_mul_f32_e32 v173, v102, v8
	s_delay_alu instid0(VALU_DEP_4)
	v_mul_f32_e32 v174, v102, v16
	s_and_saveexec_b32 s10, vcc_lo
; %bb.2014:                             ;   in Loop: Header=BB266_1062 Depth=1
	v_cmp_lt_i32_e64 s0, v115, v47
	s_delay_alu instid0(VALU_DEP_1) | instskip(SKIP_1) | instid1(VALU_DEP_1)
	v_cndmask_b32_e64 v175, 0, v175, s0
	v_cmp_lt_i32_e64 s0, v118, v47
	v_cndmask_b32_e64 v184, 0, v184, s0
	v_cmp_lt_i32_e64 s0, v117, v47
	s_delay_alu instid0(VALU_DEP_1) | instskip(SKIP_1) | instid1(VALU_DEP_1)
	v_cndmask_b32_e64 v174, 0, v174, s0
	v_cmp_lt_i32_e64 s0, v116, v47
	v_cndmask_b32_e64 v173, 0, v173, s0
; %bb.2015:                             ;   in Loop: Header=BB266_1062 Depth=1
	s_or_b32 exec_lo, exec_lo, s10
	flat_load_b32 v26, v[14:15] offset:3584
	v_mov_b32_e32 v4, 0
	v_mov_b32_e32 v5, 0
	s_mov_b32 s10, exec_lo
	s_waitcnt vmcnt(0) lgkmcnt(0)
	s_delay_alu instid0(VALU_DEP_1) | instskip(SKIP_1) | instid1(VALU_DEP_2)
	v_dual_mov_b32 v17, v5 :: v_dual_and_b32 v8, 0xff, v26
	v_mov_b32_e32 v16, v4
	v_cmpx_ne_u16_e32 0, v8
	s_cbranch_execz .LBB266_2023
; %bb.2016:                             ;   in Loop: Header=BB266_1062 Depth=1
	v_bfrev_b32_e32 v16, 1
	v_mov_b32_e32 v17, 0
	s_mov_b32 s13, exec_lo
	v_cmpx_ne_u16_e32 0x80, v8
	s_cbranch_execz .LBB266_2022
; %bb.2017:                             ;   in Loop: Header=BB266_1062 Depth=1
	v_mov_b32_e32 v16, 0x7f800001
	v_dual_mov_b32 v17, 0 :: v_dual_and_b32 v18, 0x7f, v26
	s_mov_b32 s15, exec_lo
	s_delay_alu instid0(VALU_DEP_1)
	v_cmpx_ne_u32_e32 0x7f, v18
	s_cbranch_execz .LBB266_2021
; %bb.2018:                             ;   in Loop: Header=BB266_1062 Depth=1
	v_and_b32_e32 v8, 7, v26
	v_lshrrev_b32_e32 v16, 3, v18
	s_mov_b32 s16, exec_lo
	v_cmpx_gt_u32_e32 8, v18
; %bb.2019:                             ;   in Loop: Header=BB266_1062 Depth=1
	s_delay_alu instid0(VALU_DEP_3) | instskip(NEXT) | instid1(VALU_DEP_1)
	v_clz_i32_u32_e32 v16, v8
	v_min_u32_e32 v16, 32, v16
	s_delay_alu instid0(VALU_DEP_1) | instskip(SKIP_1) | instid1(VALU_DEP_2)
	v_subrev_nc_u32_e32 v17, 28, v16
	v_sub_nc_u32_e32 v16, 29, v16
	v_lshlrev_b64 v[17:18], v17, v[8:9]
	s_delay_alu instid0(VALU_DEP_1)
	v_and_b32_e32 v8, 7, v17
; %bb.2020:                             ;   in Loop: Header=BB266_1062 Depth=1
	s_or_b32 exec_lo, exec_lo, s16
	v_lshlrev_b32_e32 v17, 24, v26
	s_delay_alu instid0(VALU_DEP_2) | instskip(SKIP_1) | instid1(VALU_DEP_3)
	v_lshlrev_b32_e32 v8, 20, v8
	v_lshl_add_u32 v16, v16, 23, 0x3c000000
	v_and_b32_e32 v17, 0x80000000, v17
	s_delay_alu instid0(VALU_DEP_1) | instskip(NEXT) | instid1(VALU_DEP_1)
	v_or3_b32 v8, v8, v17, v16
	v_dual_mov_b32 v17, v9 :: v_dual_mov_b32 v16, v8
.LBB266_2021:                           ;   in Loop: Header=BB266_1062 Depth=1
	s_or_b32 exec_lo, exec_lo, s15
.LBB266_2022:                           ;   in Loop: Header=BB266_1062 Depth=1
	s_delay_alu instid0(SALU_CYCLE_1)
	s_or_b32 exec_lo, exec_lo, s13
.LBB266_2023:                           ;   in Loop: Header=BB266_1062 Depth=1
	s_delay_alu instid0(SALU_CYCLE_1) | instskip(SKIP_2) | instid1(VALU_DEP_1)
	s_or_b32 exec_lo, exec_lo, s10
	v_lshrrev_b16 v8, 8, v26
	s_mov_b32 s13, exec_lo
	v_cmpx_ne_u16_e32 0, v8
	s_cbranch_execz .LBB266_2031
; %bb.2024:                             ;   in Loop: Header=BB266_1062 Depth=1
	v_dual_mov_b32 v4, s8 :: v_dual_mov_b32 v5, s9
	s_mov_b32 s15, exec_lo
	v_cmpx_ne_u16_e32 0x80, v8
	s_cbranch_execz .LBB266_2030
; %bb.2025:                             ;   in Loop: Header=BB266_1062 Depth=1
	s_mov_b32 s10, s8
	v_and_b32_e32 v8, 0xffff, v8
	v_dual_mov_b32 v4, s10 :: v_dual_mov_b32 v5, s11
	s_mov_b32 s10, exec_lo
	s_delay_alu instid0(VALU_DEP_2) | instskip(NEXT) | instid1(VALU_DEP_1)
	v_and_b32_e32 v18, 0x7f, v8
	v_cmpx_ne_u32_e32 0x7f, v18
	s_cbranch_execz .LBB266_2029
; %bb.2026:                             ;   in Loop: Header=BB266_1062 Depth=1
	v_and_b32_e32 v8, 7, v8
	v_lshrrev_b32_e32 v4, 3, v18
	s_mov_b32 s16, exec_lo
	v_cmpx_gt_u32_e32 8, v18
; %bb.2027:                             ;   in Loop: Header=BB266_1062 Depth=1
	s_delay_alu instid0(VALU_DEP_3) | instskip(NEXT) | instid1(VALU_DEP_1)
	v_clz_i32_u32_e32 v4, v8
	v_min_u32_e32 v4, 32, v4
	s_delay_alu instid0(VALU_DEP_1) | instskip(SKIP_1) | instid1(VALU_DEP_2)
	v_subrev_nc_u32_e32 v5, 28, v4
	v_sub_nc_u32_e32 v4, 29, v4
	v_lshlrev_b64 v[18:19], v5, v[8:9]
	s_delay_alu instid0(VALU_DEP_1)
	v_and_b32_e32 v8, 7, v18
; %bb.2028:                             ;   in Loop: Header=BB266_1062 Depth=1
	s_or_b32 exec_lo, exec_lo, s16
	v_lshlrev_b32_e32 v5, 16, v26
	s_delay_alu instid0(VALU_DEP_2) | instskip(SKIP_1) | instid1(VALU_DEP_3)
	v_lshlrev_b32_e32 v8, 20, v8
	v_lshl_add_u32 v4, v4, 23, 0x3c000000
	v_and_b32_e32 v5, 0x80000000, v5
	s_delay_alu instid0(VALU_DEP_1)
	v_or3_b32 v5, v8, v5, v4
	v_mov_b32_e32 v4, v9
.LBB266_2029:                           ;   in Loop: Header=BB266_1062 Depth=1
	s_or_b32 exec_lo, exec_lo, s10
.LBB266_2030:                           ;   in Loop: Header=BB266_1062 Depth=1
	s_delay_alu instid0(SALU_CYCLE_1)
	s_or_b32 exec_lo, exec_lo, s15
.LBB266_2031:                           ;   in Loop: Header=BB266_1062 Depth=1
	s_delay_alu instid0(SALU_CYCLE_1) | instskip(SKIP_4) | instid1(VALU_DEP_1)
	s_or_b32 exec_lo, exec_lo, s13
	v_mov_b32_e32 v18, 0
	v_lshrrev_b32_e32 v86, 16, v26
	v_mov_b32_e32 v19, 0
	s_mov_b32 s10, exec_lo
	v_dual_mov_b32 v21, v19 :: v_dual_and_b32 v8, 0xff, v86
	v_mov_b32_e32 v20, v18
	s_delay_alu instid0(VALU_DEP_2)
	v_cmpx_ne_u16_e32 0, v8
	s_cbranch_execz .LBB266_2039
; %bb.2032:                             ;   in Loop: Header=BB266_1062 Depth=1
	v_bfrev_b32_e32 v20, 1
	v_mov_b32_e32 v21, 0
	s_mov_b32 s13, exec_lo
	v_cmpx_ne_u16_e32 0x80, v8
	s_cbranch_execz .LBB266_2038
; %bb.2033:                             ;   in Loop: Header=BB266_1062 Depth=1
	v_mov_b32_e32 v20, 0x7f800001
	v_bfe_u32 v87, v26, 16, 7
	v_mov_b32_e32 v21, 0
	s_mov_b32 s15, exec_lo
	s_delay_alu instid0(VALU_DEP_2)
	v_cmpx_ne_u32_e32 0x7f, v87
	s_cbranch_execz .LBB266_2037
; %bb.2034:                             ;   in Loop: Header=BB266_1062 Depth=1
	v_and_b32_e32 v8, 7, v86
	v_lshrrev_b32_e32 v20, 3, v87
	s_mov_b32 s16, exec_lo
	v_cmpx_gt_u32_e32 8, v87
; %bb.2035:                             ;   in Loop: Header=BB266_1062 Depth=1
	s_delay_alu instid0(VALU_DEP_3) | instskip(NEXT) | instid1(VALU_DEP_1)
	v_clz_i32_u32_e32 v20, v8
	v_min_u32_e32 v20, 32, v20
	s_delay_alu instid0(VALU_DEP_1) | instskip(SKIP_1) | instid1(VALU_DEP_2)
	v_subrev_nc_u32_e32 v21, 28, v20
	v_sub_nc_u32_e32 v20, 29, v20
	v_lshlrev_b64 v[185:186], v21, v[8:9]
	s_delay_alu instid0(VALU_DEP_1)
	v_and_b32_e32 v8, 7, v185
; %bb.2036:                             ;   in Loop: Header=BB266_1062 Depth=1
	s_or_b32 exec_lo, exec_lo, s16
	v_lshlrev_b32_e32 v21, 24, v86
	s_delay_alu instid0(VALU_DEP_2) | instskip(SKIP_1) | instid1(VALU_DEP_3)
	v_lshlrev_b32_e32 v8, 20, v8
	v_lshl_add_u32 v20, v20, 23, 0x3c000000
	v_and_b32_e32 v21, 0x80000000, v21
	s_delay_alu instid0(VALU_DEP_1) | instskip(NEXT) | instid1(VALU_DEP_1)
	v_or3_b32 v8, v8, v21, v20
	v_dual_mov_b32 v21, v9 :: v_dual_mov_b32 v20, v8
.LBB266_2037:                           ;   in Loop: Header=BB266_1062 Depth=1
	s_or_b32 exec_lo, exec_lo, s15
.LBB266_2038:                           ;   in Loop: Header=BB266_1062 Depth=1
	s_delay_alu instid0(SALU_CYCLE_1)
	s_or_b32 exec_lo, exec_lo, s13
.LBB266_2039:                           ;   in Loop: Header=BB266_1062 Depth=1
	s_delay_alu instid0(SALU_CYCLE_1) | instskip(NEXT) | instid1(SALU_CYCLE_1)
	s_or_b32 exec_lo, exec_lo, s10
	s_mov_b32 s13, exec_lo
	v_cmpx_lt_u32_e32 0xffffff, v26
	s_cbranch_execz .LBB266_2047
; %bb.2040:                             ;   in Loop: Header=BB266_1062 Depth=1
	v_lshrrev_b32_e32 v86, 24, v26
	v_dual_mov_b32 v19, s9 :: v_dual_mov_b32 v18, s8
	s_mov_b32 s15, exec_lo
	s_delay_alu instid0(VALU_DEP_2)
	v_cmpx_ne_u32_e32 0x80, v86
	s_cbranch_execz .LBB266_2046
; %bb.2041:                             ;   in Loop: Header=BB266_1062 Depth=1
	s_mov_b32 s10, s8
	v_bfe_u32 v26, v26, 24, 7
	v_dual_mov_b32 v19, s11 :: v_dual_mov_b32 v18, s10
	s_mov_b32 s10, exec_lo
	s_delay_alu instid0(VALU_DEP_2)
	v_cmpx_ne_u32_e32 0x7f, v26
	s_cbranch_execz .LBB266_2045
; %bb.2042:                             ;   in Loop: Header=BB266_1062 Depth=1
	v_and_b32_e32 v8, 7, v86
	v_lshrrev_b32_e32 v18, 3, v26
	s_mov_b32 s16, exec_lo
	v_cmpx_gt_u32_e32 8, v26
; %bb.2043:                             ;   in Loop: Header=BB266_1062 Depth=1
	s_delay_alu instid0(VALU_DEP_3) | instskip(NEXT) | instid1(VALU_DEP_1)
	v_clz_i32_u32_e32 v18, v8
	v_min_u32_e32 v18, 32, v18
	s_delay_alu instid0(VALU_DEP_1) | instskip(SKIP_1) | instid1(VALU_DEP_2)
	v_subrev_nc_u32_e32 v19, 28, v18
	v_sub_nc_u32_e32 v18, 29, v18
	v_lshlrev_b64 v[185:186], v19, v[8:9]
	s_delay_alu instid0(VALU_DEP_1)
	v_and_b32_e32 v8, 7, v185
; %bb.2044:                             ;   in Loop: Header=BB266_1062 Depth=1
	s_or_b32 exec_lo, exec_lo, s16
	v_lshlrev_b32_e32 v19, 24, v86
	s_delay_alu instid0(VALU_DEP_2) | instskip(SKIP_1) | instid1(VALU_DEP_3)
	v_lshlrev_b32_e32 v8, 20, v8
	v_lshl_add_u32 v18, v18, 23, 0x3c000000
	v_and_b32_e32 v19, 0x80000000, v19
	s_delay_alu instid0(VALU_DEP_1)
	v_or3_b32 v19, v8, v19, v18
	v_mov_b32_e32 v18, v9
.LBB266_2045:                           ;   in Loop: Header=BB266_1062 Depth=1
	s_or_b32 exec_lo, exec_lo, s10
.LBB266_2046:                           ;   in Loop: Header=BB266_1062 Depth=1
	s_delay_alu instid0(SALU_CYCLE_1)
	s_or_b32 exec_lo, exec_lo, s15
.LBB266_2047:                           ;   in Loop: Header=BB266_1062 Depth=1
	s_delay_alu instid0(SALU_CYCLE_1) | instskip(SKIP_4) | instid1(VALU_DEP_4)
	s_or_b32 exec_lo, exec_lo, s13
	v_or_b32_e32 v5, v5, v17
	v_or_b32_e32 v4, v4, v16
	;; [unrolled: 1-line block ×4, first 2 shown]
	v_mul_f32_e32 v188, v102, v5
	s_delay_alu instid0(VALU_DEP_4) | instskip(NEXT) | instid1(VALU_DEP_4)
	v_mul_f32_e32 v187, v102, v4
	v_mul_f32_e32 v185, v102, v8
	s_delay_alu instid0(VALU_DEP_4)
	v_mul_f32_e32 v186, v102, v16
	s_and_saveexec_b32 s10, vcc_lo
; %bb.2048:                             ;   in Loop: Header=BB266_1062 Depth=1
	v_cmp_lt_i32_e64 s0, v115, v47
	s_delay_alu instid0(VALU_DEP_1) | instskip(SKIP_1) | instid1(VALU_DEP_1)
	v_cndmask_b32_e64 v187, 0, v187, s0
	v_cmp_lt_i32_e64 s0, v118, v47
	v_cndmask_b32_e64 v188, 0, v188, s0
	v_cmp_lt_i32_e64 s0, v117, v47
	s_delay_alu instid0(VALU_DEP_1) | instskip(SKIP_1) | instid1(VALU_DEP_1)
	v_cndmask_b32_e64 v186, 0, v186, s0
	v_cmp_lt_i32_e64 s0, v116, v47
	v_cndmask_b32_e64 v185, 0, v185, s0
; %bb.2049:                             ;   in Loop: Header=BB266_1062 Depth=1
	s_or_b32 exec_lo, exec_lo, s10
	flat_load_b32 v26, v[14:15] offset:3712
	v_mov_b32_e32 v4, 0
	v_mov_b32_e32 v5, 0
	s_mov_b32 s10, exec_lo
	s_waitcnt vmcnt(0) lgkmcnt(0)
	s_delay_alu instid0(VALU_DEP_1) | instskip(SKIP_1) | instid1(VALU_DEP_2)
	v_dual_mov_b32 v17, v5 :: v_dual_and_b32 v8, 0xff, v26
	v_mov_b32_e32 v16, v4
	v_cmpx_ne_u16_e32 0, v8
	s_cbranch_execz .LBB266_2057
; %bb.2050:                             ;   in Loop: Header=BB266_1062 Depth=1
	v_bfrev_b32_e32 v16, 1
	v_mov_b32_e32 v17, 0
	s_mov_b32 s13, exec_lo
	v_cmpx_ne_u16_e32 0x80, v8
	s_cbranch_execz .LBB266_2056
; %bb.2051:                             ;   in Loop: Header=BB266_1062 Depth=1
	v_mov_b32_e32 v16, 0x7f800001
	v_dual_mov_b32 v17, 0 :: v_dual_and_b32 v18, 0x7f, v26
	s_mov_b32 s15, exec_lo
	s_delay_alu instid0(VALU_DEP_1)
	v_cmpx_ne_u32_e32 0x7f, v18
	s_cbranch_execz .LBB266_2055
; %bb.2052:                             ;   in Loop: Header=BB266_1062 Depth=1
	v_and_b32_e32 v8, 7, v26
	v_lshrrev_b32_e32 v16, 3, v18
	s_mov_b32 s16, exec_lo
	v_cmpx_gt_u32_e32 8, v18
; %bb.2053:                             ;   in Loop: Header=BB266_1062 Depth=1
	s_delay_alu instid0(VALU_DEP_3) | instskip(NEXT) | instid1(VALU_DEP_1)
	v_clz_i32_u32_e32 v16, v8
	v_min_u32_e32 v16, 32, v16
	s_delay_alu instid0(VALU_DEP_1) | instskip(SKIP_1) | instid1(VALU_DEP_2)
	v_subrev_nc_u32_e32 v17, 28, v16
	v_sub_nc_u32_e32 v16, 29, v16
	v_lshlrev_b64 v[17:18], v17, v[8:9]
	s_delay_alu instid0(VALU_DEP_1)
	v_and_b32_e32 v8, 7, v17
; %bb.2054:                             ;   in Loop: Header=BB266_1062 Depth=1
	s_or_b32 exec_lo, exec_lo, s16
	v_lshlrev_b32_e32 v17, 24, v26
	s_delay_alu instid0(VALU_DEP_2) | instskip(SKIP_1) | instid1(VALU_DEP_3)
	v_lshlrev_b32_e32 v8, 20, v8
	v_lshl_add_u32 v16, v16, 23, 0x3c000000
	v_and_b32_e32 v17, 0x80000000, v17
	s_delay_alu instid0(VALU_DEP_1) | instskip(NEXT) | instid1(VALU_DEP_1)
	v_or3_b32 v8, v8, v17, v16
	v_dual_mov_b32 v17, v9 :: v_dual_mov_b32 v16, v8
.LBB266_2055:                           ;   in Loop: Header=BB266_1062 Depth=1
	s_or_b32 exec_lo, exec_lo, s15
.LBB266_2056:                           ;   in Loop: Header=BB266_1062 Depth=1
	s_delay_alu instid0(SALU_CYCLE_1)
	s_or_b32 exec_lo, exec_lo, s13
.LBB266_2057:                           ;   in Loop: Header=BB266_1062 Depth=1
	s_delay_alu instid0(SALU_CYCLE_1) | instskip(SKIP_2) | instid1(VALU_DEP_1)
	s_or_b32 exec_lo, exec_lo, s10
	v_lshrrev_b16 v8, 8, v26
	s_mov_b32 s13, exec_lo
	v_cmpx_ne_u16_e32 0, v8
	s_cbranch_execz .LBB266_2065
; %bb.2058:                             ;   in Loop: Header=BB266_1062 Depth=1
	v_dual_mov_b32 v4, s8 :: v_dual_mov_b32 v5, s9
	s_mov_b32 s15, exec_lo
	v_cmpx_ne_u16_e32 0x80, v8
	s_cbranch_execz .LBB266_2064
; %bb.2059:                             ;   in Loop: Header=BB266_1062 Depth=1
	s_mov_b32 s10, s8
	v_and_b32_e32 v8, 0xffff, v8
	v_dual_mov_b32 v4, s10 :: v_dual_mov_b32 v5, s11
	s_mov_b32 s10, exec_lo
	s_delay_alu instid0(VALU_DEP_2) | instskip(NEXT) | instid1(VALU_DEP_1)
	v_and_b32_e32 v18, 0x7f, v8
	v_cmpx_ne_u32_e32 0x7f, v18
	s_cbranch_execz .LBB266_2063
; %bb.2060:                             ;   in Loop: Header=BB266_1062 Depth=1
	v_and_b32_e32 v8, 7, v8
	v_lshrrev_b32_e32 v4, 3, v18
	s_mov_b32 s16, exec_lo
	v_cmpx_gt_u32_e32 8, v18
; %bb.2061:                             ;   in Loop: Header=BB266_1062 Depth=1
	s_delay_alu instid0(VALU_DEP_3) | instskip(NEXT) | instid1(VALU_DEP_1)
	v_clz_i32_u32_e32 v4, v8
	v_min_u32_e32 v4, 32, v4
	s_delay_alu instid0(VALU_DEP_1) | instskip(SKIP_1) | instid1(VALU_DEP_2)
	v_subrev_nc_u32_e32 v5, 28, v4
	v_sub_nc_u32_e32 v4, 29, v4
	v_lshlrev_b64 v[18:19], v5, v[8:9]
	s_delay_alu instid0(VALU_DEP_1)
	v_and_b32_e32 v8, 7, v18
; %bb.2062:                             ;   in Loop: Header=BB266_1062 Depth=1
	s_or_b32 exec_lo, exec_lo, s16
	v_lshlrev_b32_e32 v5, 16, v26
	s_delay_alu instid0(VALU_DEP_2) | instskip(SKIP_1) | instid1(VALU_DEP_3)
	v_lshlrev_b32_e32 v8, 20, v8
	v_lshl_add_u32 v4, v4, 23, 0x3c000000
	v_and_b32_e32 v5, 0x80000000, v5
	s_delay_alu instid0(VALU_DEP_1)
	v_or3_b32 v5, v8, v5, v4
	v_mov_b32_e32 v4, v9
.LBB266_2063:                           ;   in Loop: Header=BB266_1062 Depth=1
	s_or_b32 exec_lo, exec_lo, s10
.LBB266_2064:                           ;   in Loop: Header=BB266_1062 Depth=1
	s_delay_alu instid0(SALU_CYCLE_1)
	s_or_b32 exec_lo, exec_lo, s15
.LBB266_2065:                           ;   in Loop: Header=BB266_1062 Depth=1
	s_delay_alu instid0(SALU_CYCLE_1) | instskip(SKIP_4) | instid1(VALU_DEP_1)
	s_or_b32 exec_lo, exec_lo, s13
	v_mov_b32_e32 v18, 0
	v_lshrrev_b32_e32 v86, 16, v26
	v_mov_b32_e32 v19, 0
	s_mov_b32 s10, exec_lo
	v_dual_mov_b32 v21, v19 :: v_dual_and_b32 v8, 0xff, v86
	v_mov_b32_e32 v20, v18
	s_delay_alu instid0(VALU_DEP_2)
	v_cmpx_ne_u16_e32 0, v8
	s_cbranch_execz .LBB266_2073
; %bb.2066:                             ;   in Loop: Header=BB266_1062 Depth=1
	v_bfrev_b32_e32 v20, 1
	v_mov_b32_e32 v21, 0
	s_mov_b32 s13, exec_lo
	v_cmpx_ne_u16_e32 0x80, v8
	s_cbranch_execz .LBB266_2072
; %bb.2067:                             ;   in Loop: Header=BB266_1062 Depth=1
	v_mov_b32_e32 v20, 0x7f800001
	v_bfe_u32 v87, v26, 16, 7
	v_mov_b32_e32 v21, 0
	s_mov_b32 s15, exec_lo
	s_delay_alu instid0(VALU_DEP_2)
	v_cmpx_ne_u32_e32 0x7f, v87
	s_cbranch_execz .LBB266_2071
; %bb.2068:                             ;   in Loop: Header=BB266_1062 Depth=1
	v_and_b32_e32 v8, 7, v86
	v_lshrrev_b32_e32 v20, 3, v87
	s_mov_b32 s16, exec_lo
	v_cmpx_gt_u32_e32 8, v87
; %bb.2069:                             ;   in Loop: Header=BB266_1062 Depth=1
	s_delay_alu instid0(VALU_DEP_3) | instskip(NEXT) | instid1(VALU_DEP_1)
	v_clz_i32_u32_e32 v20, v8
	v_min_u32_e32 v20, 32, v20
	s_delay_alu instid0(VALU_DEP_1) | instskip(SKIP_1) | instid1(VALU_DEP_2)
	v_subrev_nc_u32_e32 v21, 28, v20
	v_sub_nc_u32_e32 v20, 29, v20
	v_lshlrev_b64 v[189:190], v21, v[8:9]
	s_delay_alu instid0(VALU_DEP_1)
	v_and_b32_e32 v8, 7, v189
; %bb.2070:                             ;   in Loop: Header=BB266_1062 Depth=1
	s_or_b32 exec_lo, exec_lo, s16
	v_lshlrev_b32_e32 v21, 24, v86
	s_delay_alu instid0(VALU_DEP_2) | instskip(SKIP_1) | instid1(VALU_DEP_3)
	v_lshlrev_b32_e32 v8, 20, v8
	v_lshl_add_u32 v20, v20, 23, 0x3c000000
	v_and_b32_e32 v21, 0x80000000, v21
	s_delay_alu instid0(VALU_DEP_1) | instskip(NEXT) | instid1(VALU_DEP_1)
	v_or3_b32 v8, v8, v21, v20
	v_dual_mov_b32 v21, v9 :: v_dual_mov_b32 v20, v8
.LBB266_2071:                           ;   in Loop: Header=BB266_1062 Depth=1
	s_or_b32 exec_lo, exec_lo, s15
.LBB266_2072:                           ;   in Loop: Header=BB266_1062 Depth=1
	s_delay_alu instid0(SALU_CYCLE_1)
	s_or_b32 exec_lo, exec_lo, s13
.LBB266_2073:                           ;   in Loop: Header=BB266_1062 Depth=1
	s_delay_alu instid0(SALU_CYCLE_1) | instskip(NEXT) | instid1(SALU_CYCLE_1)
	s_or_b32 exec_lo, exec_lo, s10
	s_mov_b32 s13, exec_lo
	v_cmpx_lt_u32_e32 0xffffff, v26
	s_cbranch_execz .LBB266_2081
; %bb.2074:                             ;   in Loop: Header=BB266_1062 Depth=1
	v_lshrrev_b32_e32 v86, 24, v26
	v_dual_mov_b32 v19, s9 :: v_dual_mov_b32 v18, s8
	s_mov_b32 s15, exec_lo
	s_delay_alu instid0(VALU_DEP_2)
	v_cmpx_ne_u32_e32 0x80, v86
	s_cbranch_execz .LBB266_2080
; %bb.2075:                             ;   in Loop: Header=BB266_1062 Depth=1
	s_mov_b32 s10, s8
	v_bfe_u32 v26, v26, 24, 7
	v_dual_mov_b32 v19, s11 :: v_dual_mov_b32 v18, s10
	s_mov_b32 s10, exec_lo
	s_delay_alu instid0(VALU_DEP_2)
	v_cmpx_ne_u32_e32 0x7f, v26
	s_cbranch_execz .LBB266_2079
; %bb.2076:                             ;   in Loop: Header=BB266_1062 Depth=1
	v_and_b32_e32 v8, 7, v86
	v_lshrrev_b32_e32 v18, 3, v26
	s_mov_b32 s16, exec_lo
	v_cmpx_gt_u32_e32 8, v26
; %bb.2077:                             ;   in Loop: Header=BB266_1062 Depth=1
	s_delay_alu instid0(VALU_DEP_3) | instskip(NEXT) | instid1(VALU_DEP_1)
	v_clz_i32_u32_e32 v18, v8
	v_min_u32_e32 v18, 32, v18
	s_delay_alu instid0(VALU_DEP_1) | instskip(SKIP_1) | instid1(VALU_DEP_2)
	v_subrev_nc_u32_e32 v19, 28, v18
	v_sub_nc_u32_e32 v18, 29, v18
	v_lshlrev_b64 v[189:190], v19, v[8:9]
	s_delay_alu instid0(VALU_DEP_1)
	v_and_b32_e32 v8, 7, v189
; %bb.2078:                             ;   in Loop: Header=BB266_1062 Depth=1
	s_or_b32 exec_lo, exec_lo, s16
	v_lshlrev_b32_e32 v19, 24, v86
	s_delay_alu instid0(VALU_DEP_2) | instskip(SKIP_1) | instid1(VALU_DEP_3)
	v_lshlrev_b32_e32 v8, 20, v8
	v_lshl_add_u32 v18, v18, 23, 0x3c000000
	v_and_b32_e32 v19, 0x80000000, v19
	s_delay_alu instid0(VALU_DEP_1)
	v_or3_b32 v19, v8, v19, v18
	v_mov_b32_e32 v18, v9
.LBB266_2079:                           ;   in Loop: Header=BB266_1062 Depth=1
	s_or_b32 exec_lo, exec_lo, s10
.LBB266_2080:                           ;   in Loop: Header=BB266_1062 Depth=1
	s_delay_alu instid0(SALU_CYCLE_1)
	s_or_b32 exec_lo, exec_lo, s15
.LBB266_2081:                           ;   in Loop: Header=BB266_1062 Depth=1
	s_delay_alu instid0(SALU_CYCLE_1) | instskip(SKIP_4) | instid1(VALU_DEP_4)
	s_or_b32 exec_lo, exec_lo, s13
	v_or_b32_e32 v5, v5, v17
	v_or_b32_e32 v4, v4, v16
	;; [unrolled: 1-line block ×4, first 2 shown]
	v_mul_f32_e32 v190, v102, v5
	s_delay_alu instid0(VALU_DEP_4) | instskip(NEXT) | instid1(VALU_DEP_4)
	v_mul_f32_e32 v189, v102, v4
	v_mul_f32_e32 v20, v102, v8
	s_delay_alu instid0(VALU_DEP_4)
	v_mul_f32_e32 v21, v102, v16
	s_and_saveexec_b32 s10, vcc_lo
; %bb.2082:                             ;   in Loop: Header=BB266_1062 Depth=1
	v_cmp_lt_i32_e64 s0, v115, v47
	s_delay_alu instid0(VALU_DEP_1) | instskip(SKIP_1) | instid1(VALU_DEP_1)
	v_cndmask_b32_e64 v189, 0, v189, s0
	v_cmp_lt_i32_e64 s0, v118, v47
	v_cndmask_b32_e64 v190, 0, v190, s0
	v_cmp_lt_i32_e64 s0, v117, v47
	s_delay_alu instid0(VALU_DEP_1) | instskip(SKIP_1) | instid1(VALU_DEP_1)
	v_cndmask_b32_e64 v21, 0, v21, s0
	v_cmp_lt_i32_e64 s0, v116, v47
	v_cndmask_b32_e64 v20, 0, v20, s0
; %bb.2083:                             ;   in Loop: Header=BB266_1062 Depth=1
	s_or_b32 exec_lo, exec_lo, s10
	flat_load_b32 v26, v[14:15] offset:3840
	v_mov_b32_e32 v4, 0
	v_mov_b32_e32 v5, 0
	s_mov_b32 s10, exec_lo
	s_waitcnt vmcnt(0) lgkmcnt(0)
	s_delay_alu instid0(VALU_DEP_1) | instskip(SKIP_1) | instid1(VALU_DEP_2)
	v_dual_mov_b32 v15, v5 :: v_dual_and_b32 v8, 0xff, v26
	v_mov_b32_e32 v14, v4
	v_cmpx_ne_u16_e32 0, v8
	s_cbranch_execz .LBB266_2091
; %bb.2084:                             ;   in Loop: Header=BB266_1062 Depth=1
	v_bfrev_b32_e32 v14, 1
	v_mov_b32_e32 v15, 0
	s_mov_b32 s13, exec_lo
	v_cmpx_ne_u16_e32 0x80, v8
	s_cbranch_execz .LBB266_2090
; %bb.2085:                             ;   in Loop: Header=BB266_1062 Depth=1
	v_mov_b32_e32 v14, 0x7f800001
	v_dual_mov_b32 v15, 0 :: v_dual_and_b32 v16, 0x7f, v26
	s_mov_b32 s15, exec_lo
	s_delay_alu instid0(VALU_DEP_1)
	v_cmpx_ne_u32_e32 0x7f, v16
	s_cbranch_execz .LBB266_2089
; %bb.2086:                             ;   in Loop: Header=BB266_1062 Depth=1
	v_and_b32_e32 v8, 7, v26
	v_lshrrev_b32_e32 v14, 3, v16
	s_mov_b32 s16, exec_lo
	v_cmpx_gt_u32_e32 8, v16
; %bb.2087:                             ;   in Loop: Header=BB266_1062 Depth=1
	s_delay_alu instid0(VALU_DEP_3) | instskip(NEXT) | instid1(VALU_DEP_1)
	v_clz_i32_u32_e32 v14, v8
	v_min_u32_e32 v14, 32, v14
	s_delay_alu instid0(VALU_DEP_1) | instskip(SKIP_1) | instid1(VALU_DEP_2)
	v_subrev_nc_u32_e32 v15, 28, v14
	v_sub_nc_u32_e32 v14, 29, v14
	v_lshlrev_b64 v[15:16], v15, v[8:9]
	s_delay_alu instid0(VALU_DEP_1)
	v_and_b32_e32 v8, 7, v15
; %bb.2088:                             ;   in Loop: Header=BB266_1062 Depth=1
	s_or_b32 exec_lo, exec_lo, s16
	v_lshlrev_b32_e32 v15, 24, v26
	s_delay_alu instid0(VALU_DEP_2) | instskip(SKIP_1) | instid1(VALU_DEP_3)
	v_lshlrev_b32_e32 v8, 20, v8
	v_lshl_add_u32 v14, v14, 23, 0x3c000000
	v_and_b32_e32 v15, 0x80000000, v15
	s_delay_alu instid0(VALU_DEP_1) | instskip(NEXT) | instid1(VALU_DEP_1)
	v_or3_b32 v8, v8, v15, v14
	v_dual_mov_b32 v15, v9 :: v_dual_mov_b32 v14, v8
.LBB266_2089:                           ;   in Loop: Header=BB266_1062 Depth=1
	s_or_b32 exec_lo, exec_lo, s15
.LBB266_2090:                           ;   in Loop: Header=BB266_1062 Depth=1
	s_delay_alu instid0(SALU_CYCLE_1)
	s_or_b32 exec_lo, exec_lo, s13
.LBB266_2091:                           ;   in Loop: Header=BB266_1062 Depth=1
	s_delay_alu instid0(SALU_CYCLE_1) | instskip(SKIP_2) | instid1(VALU_DEP_1)
	s_or_b32 exec_lo, exec_lo, s10
	v_lshrrev_b16 v8, 8, v26
	s_mov_b32 s13, exec_lo
	v_cmpx_ne_u16_e32 0, v8
	s_cbranch_execz .LBB266_2099
; %bb.2092:                             ;   in Loop: Header=BB266_1062 Depth=1
	v_dual_mov_b32 v4, s8 :: v_dual_mov_b32 v5, s9
	s_mov_b32 s15, exec_lo
	v_cmpx_ne_u16_e32 0x80, v8
	s_cbranch_execz .LBB266_2098
; %bb.2093:                             ;   in Loop: Header=BB266_1062 Depth=1
	s_mov_b32 s10, s8
	v_and_b32_e32 v8, 0xffff, v8
	v_dual_mov_b32 v4, s10 :: v_dual_mov_b32 v5, s11
	s_mov_b32 s10, exec_lo
	s_delay_alu instid0(VALU_DEP_2) | instskip(NEXT) | instid1(VALU_DEP_1)
	v_and_b32_e32 v16, 0x7f, v8
	v_cmpx_ne_u32_e32 0x7f, v16
	s_cbranch_execz .LBB266_2097
; %bb.2094:                             ;   in Loop: Header=BB266_1062 Depth=1
	v_and_b32_e32 v8, 7, v8
	v_lshrrev_b32_e32 v4, 3, v16
	s_mov_b32 s16, exec_lo
	v_cmpx_gt_u32_e32 8, v16
; %bb.2095:                             ;   in Loop: Header=BB266_1062 Depth=1
	s_delay_alu instid0(VALU_DEP_3) | instskip(NEXT) | instid1(VALU_DEP_1)
	v_clz_i32_u32_e32 v4, v8
	v_min_u32_e32 v4, 32, v4
	s_delay_alu instid0(VALU_DEP_1) | instskip(SKIP_1) | instid1(VALU_DEP_2)
	v_subrev_nc_u32_e32 v5, 28, v4
	v_sub_nc_u32_e32 v4, 29, v4
	v_lshlrev_b64 v[16:17], v5, v[8:9]
	s_delay_alu instid0(VALU_DEP_1)
	v_and_b32_e32 v8, 7, v16
; %bb.2096:                             ;   in Loop: Header=BB266_1062 Depth=1
	s_or_b32 exec_lo, exec_lo, s16
	v_lshlrev_b32_e32 v5, 16, v26
	s_delay_alu instid0(VALU_DEP_2) | instskip(SKIP_1) | instid1(VALU_DEP_3)
	v_lshlrev_b32_e32 v8, 20, v8
	v_lshl_add_u32 v4, v4, 23, 0x3c000000
	v_and_b32_e32 v5, 0x80000000, v5
	s_delay_alu instid0(VALU_DEP_1)
	v_or3_b32 v5, v8, v5, v4
	v_mov_b32_e32 v4, v9
.LBB266_2097:                           ;   in Loop: Header=BB266_1062 Depth=1
	s_or_b32 exec_lo, exec_lo, s10
.LBB266_2098:                           ;   in Loop: Header=BB266_1062 Depth=1
	s_delay_alu instid0(SALU_CYCLE_1)
	s_or_b32 exec_lo, exec_lo, s15
.LBB266_2099:                           ;   in Loop: Header=BB266_1062 Depth=1
	s_delay_alu instid0(SALU_CYCLE_1) | instskip(SKIP_4) | instid1(VALU_DEP_1)
	s_or_b32 exec_lo, exec_lo, s13
	v_mov_b32_e32 v16, 0
	v_lshrrev_b32_e32 v86, 16, v26
	v_mov_b32_e32 v17, 0
	s_mov_b32 s10, exec_lo
	v_dual_mov_b32 v19, v17 :: v_dual_and_b32 v8, 0xff, v86
	v_mov_b32_e32 v18, v16
	s_delay_alu instid0(VALU_DEP_2)
	v_cmpx_ne_u16_e32 0, v8
	s_cbranch_execz .LBB266_2107
; %bb.2100:                             ;   in Loop: Header=BB266_1062 Depth=1
	v_bfrev_b32_e32 v18, 1
	v_mov_b32_e32 v19, 0
	s_mov_b32 s13, exec_lo
	v_cmpx_ne_u16_e32 0x80, v8
	s_cbranch_execz .LBB266_2106
; %bb.2101:                             ;   in Loop: Header=BB266_1062 Depth=1
	v_mov_b32_e32 v18, 0x7f800001
	v_bfe_u32 v87, v26, 16, 7
	v_mov_b32_e32 v19, 0
	s_mov_b32 s15, exec_lo
	s_delay_alu instid0(VALU_DEP_2)
	v_cmpx_ne_u32_e32 0x7f, v87
	s_cbranch_execz .LBB266_2105
; %bb.2102:                             ;   in Loop: Header=BB266_1062 Depth=1
	v_and_b32_e32 v8, 7, v86
	v_lshrrev_b32_e32 v18, 3, v87
	s_mov_b32 s16, exec_lo
	v_cmpx_gt_u32_e32 8, v87
	s_cbranch_execz .LBB266_2104
; %bb.2103:                             ;   in Loop: Header=BB266_1062 Depth=1
	v_clz_i32_u32_e32 v18, v8
	s_delay_alu instid0(VALU_DEP_1) | instskip(NEXT) | instid1(VALU_DEP_1)
	v_min_u32_e32 v18, 32, v18
	v_subrev_nc_u32_e32 v19, 28, v18
	v_sub_nc_u32_e32 v18, 29, v18
	s_delay_alu instid0(VALU_DEP_2)
	v_lshlrev_b64 v[96:97], v19, v[8:9]
	scratch_load_b32 v97, off, s32 offset:380 ; 4-byte Folded Reload
	v_and_b32_e32 v8, 7, v96
	scratch_load_b32 v96, off, s32 offset:372 ; 4-byte Folded Reload
.LBB266_2104:                           ;   in Loop: Header=BB266_1062 Depth=1
	s_or_b32 exec_lo, exec_lo, s16
	v_lshlrev_b32_e32 v19, 24, v86
	v_lshlrev_b32_e32 v8, 20, v8
	v_lshl_add_u32 v18, v18, 23, 0x3c000000
	s_delay_alu instid0(VALU_DEP_3) | instskip(NEXT) | instid1(VALU_DEP_1)
	v_and_b32_e32 v19, 0x80000000, v19
	v_or3_b32 v8, v8, v19, v18
	s_delay_alu instid0(VALU_DEP_1)
	v_dual_mov_b32 v19, v9 :: v_dual_mov_b32 v18, v8
.LBB266_2105:                           ;   in Loop: Header=BB266_1062 Depth=1
	s_or_b32 exec_lo, exec_lo, s15
.LBB266_2106:                           ;   in Loop: Header=BB266_1062 Depth=1
	s_delay_alu instid0(SALU_CYCLE_1)
	s_or_b32 exec_lo, exec_lo, s13
.LBB266_2107:                           ;   in Loop: Header=BB266_1062 Depth=1
	s_delay_alu instid0(SALU_CYCLE_1) | instskip(NEXT) | instid1(SALU_CYCLE_1)
	s_or_b32 exec_lo, exec_lo, s10
	s_mov_b32 s13, exec_lo
	v_cmpx_lt_u32_e32 0xffffff, v26
	s_cbranch_execz .LBB266_2115
; %bb.2108:                             ;   in Loop: Header=BB266_1062 Depth=1
	v_lshrrev_b32_e32 v86, 24, v26
	v_dual_mov_b32 v17, s9 :: v_dual_mov_b32 v16, s8
	s_mov_b32 s15, exec_lo
	s_delay_alu instid0(VALU_DEP_2)
	v_cmpx_ne_u32_e32 0x80, v86
	s_cbranch_execz .LBB266_2114
; %bb.2109:                             ;   in Loop: Header=BB266_1062 Depth=1
	s_mov_b32 s10, s8
	v_bfe_u32 v26, v26, 24, 7
	v_dual_mov_b32 v17, s11 :: v_dual_mov_b32 v16, s10
	s_mov_b32 s10, exec_lo
	s_delay_alu instid0(VALU_DEP_2)
	v_cmpx_ne_u32_e32 0x7f, v26
	s_cbranch_execz .LBB266_2113
; %bb.2110:                             ;   in Loop: Header=BB266_1062 Depth=1
	v_and_b32_e32 v8, 7, v86
	v_lshrrev_b32_e32 v16, 3, v26
	s_mov_b32 s16, exec_lo
	v_cmpx_gt_u32_e32 8, v26
	s_cbranch_execz .LBB266_2112
; %bb.2111:                             ;   in Loop: Header=BB266_1062 Depth=1
	v_clz_i32_u32_e32 v16, v8
	s_delay_alu instid0(VALU_DEP_1) | instskip(NEXT) | instid1(VALU_DEP_1)
	v_min_u32_e32 v16, 32, v16
	v_subrev_nc_u32_e32 v17, 28, v16
	v_sub_nc_u32_e32 v16, 29, v16
	s_waitcnt vmcnt(0)
	s_delay_alu instid0(VALU_DEP_2)
	v_lshlrev_b64 v[96:97], v17, v[8:9]
	scratch_load_b32 v97, off, s32 offset:380 ; 4-byte Folded Reload
	v_and_b32_e32 v8, 7, v96
	scratch_load_b32 v96, off, s32 offset:372 ; 4-byte Folded Reload
.LBB266_2112:                           ;   in Loop: Header=BB266_1062 Depth=1
	s_or_b32 exec_lo, exec_lo, s16
	v_lshlrev_b32_e32 v17, 24, v86
	v_lshlrev_b32_e32 v8, 20, v8
	v_lshl_add_u32 v16, v16, 23, 0x3c000000
	s_delay_alu instid0(VALU_DEP_3) | instskip(NEXT) | instid1(VALU_DEP_1)
	v_and_b32_e32 v17, 0x80000000, v17
	v_or3_b32 v17, v8, v17, v16
	v_mov_b32_e32 v16, v9
.LBB266_2113:                           ;   in Loop: Header=BB266_1062 Depth=1
	s_or_b32 exec_lo, exec_lo, s10
.LBB266_2114:                           ;   in Loop: Header=BB266_1062 Depth=1
	s_delay_alu instid0(SALU_CYCLE_1)
	s_or_b32 exec_lo, exec_lo, s15
.LBB266_2115:                           ;   in Loop: Header=BB266_1062 Depth=1
	s_delay_alu instid0(SALU_CYCLE_1) | instskip(SKIP_4) | instid1(VALU_DEP_4)
	s_or_b32 exec_lo, exec_lo, s13
	v_or_b32_e32 v5, v5, v15
	v_or_b32_e32 v4, v4, v14
	;; [unrolled: 1-line block ×4, first 2 shown]
	v_mul_f32_e32 v26, v102, v5
	s_delay_alu instid0(VALU_DEP_4) | instskip(NEXT) | instid1(VALU_DEP_4)
	v_mul_f32_e32 v191, v102, v4
	v_mul_f32_e32 v18, v102, v8
	s_delay_alu instid0(VALU_DEP_4)
	v_mul_f32_e32 v19, v102, v14
	s_and_saveexec_b32 s10, vcc_lo
; %bb.2116:                             ;   in Loop: Header=BB266_1062 Depth=1
	v_cmp_lt_i32_e64 s0, v115, v47
	s_delay_alu instid0(VALU_DEP_1) | instskip(SKIP_1) | instid1(VALU_DEP_1)
	v_cndmask_b32_e64 v191, 0, v191, s0
	v_cmp_lt_i32_e64 s0, v118, v47
	v_cndmask_b32_e64 v26, 0, v26, s0
	v_cmp_lt_i32_e64 s0, v117, v47
	s_delay_alu instid0(VALU_DEP_1) | instskip(SKIP_1) | instid1(VALU_DEP_1)
	v_cndmask_b32_e64 v19, 0, v19, s0
	v_cmp_lt_i32_e64 s0, v116, v47
	v_cndmask_b32_e64 v18, 0, v18, s0
; %bb.2117:                             ;   in Loop: Header=BB266_1062 Depth=1
	s_or_b32 exec_lo, exec_lo, s10
	scratch_load_b32 v4, off, s32 offset:364 ; 4-byte Folded Reload
	s_mov_b32 s10, exec_lo
	s_waitcnt vmcnt(0)
	v_add_co_u32 v4, s0, v12, v4
	s_delay_alu instid0(VALU_DEP_1) | instskip(SKIP_4) | instid1(VALU_DEP_1)
	v_add_co_ci_u32_e64 v5, s0, 0, v13, s0
	flat_load_b32 v86, v[4:5]
	v_mov_b32_e32 v4, 0
	s_waitcnt vmcnt(0) lgkmcnt(0)
	v_dual_mov_b32 v5, 0 :: v_dual_and_b32 v8, 0xff, v86
	v_dual_mov_b32 v13, v5 :: v_dual_mov_b32 v12, v4
	s_delay_alu instid0(VALU_DEP_2)
	v_cmpx_ne_u16_e32 0, v8
	s_cbranch_execz .LBB266_2125
; %bb.2118:                             ;   in Loop: Header=BB266_1062 Depth=1
	v_bfrev_b32_e32 v12, 1
	v_mov_b32_e32 v13, 0
	s_mov_b32 s13, exec_lo
	v_cmpx_ne_u16_e32 0x80, v8
	s_cbranch_execz .LBB266_2124
; %bb.2119:                             ;   in Loop: Header=BB266_1062 Depth=1
	v_mov_b32_e32 v12, 0x7f800001
	v_dual_mov_b32 v13, 0 :: v_dual_and_b32 v14, 0x7f, v86
	s_mov_b32 s15, exec_lo
	s_delay_alu instid0(VALU_DEP_1)
	v_cmpx_ne_u32_e32 0x7f, v14
	s_cbranch_execz .LBB266_2123
; %bb.2120:                             ;   in Loop: Header=BB266_1062 Depth=1
	v_and_b32_e32 v8, 7, v86
	v_lshrrev_b32_e32 v12, 3, v14
	s_mov_b32 s16, exec_lo
	v_cmpx_gt_u32_e32 8, v14
; %bb.2121:                             ;   in Loop: Header=BB266_1062 Depth=1
	s_delay_alu instid0(VALU_DEP_3) | instskip(NEXT) | instid1(VALU_DEP_1)
	v_clz_i32_u32_e32 v12, v8
	v_min_u32_e32 v12, 32, v12
	s_delay_alu instid0(VALU_DEP_1) | instskip(SKIP_1) | instid1(VALU_DEP_2)
	v_subrev_nc_u32_e32 v13, 28, v12
	v_sub_nc_u32_e32 v12, 29, v12
	v_lshlrev_b64 v[13:14], v13, v[8:9]
	s_delay_alu instid0(VALU_DEP_1)
	v_and_b32_e32 v8, 7, v13
; %bb.2122:                             ;   in Loop: Header=BB266_1062 Depth=1
	s_or_b32 exec_lo, exec_lo, s16
	v_lshlrev_b32_e32 v13, 24, v86
	s_delay_alu instid0(VALU_DEP_2) | instskip(SKIP_1) | instid1(VALU_DEP_3)
	v_lshlrev_b32_e32 v8, 20, v8
	v_lshl_add_u32 v12, v12, 23, 0x3c000000
	v_and_b32_e32 v13, 0x80000000, v13
	s_delay_alu instid0(VALU_DEP_1) | instskip(NEXT) | instid1(VALU_DEP_1)
	v_or3_b32 v8, v8, v13, v12
	v_dual_mov_b32 v13, v9 :: v_dual_mov_b32 v12, v8
.LBB266_2123:                           ;   in Loop: Header=BB266_1062 Depth=1
	s_or_b32 exec_lo, exec_lo, s15
.LBB266_2124:                           ;   in Loop: Header=BB266_1062 Depth=1
	s_delay_alu instid0(SALU_CYCLE_1)
	s_or_b32 exec_lo, exec_lo, s13
.LBB266_2125:                           ;   in Loop: Header=BB266_1062 Depth=1
	s_delay_alu instid0(SALU_CYCLE_1) | instskip(SKIP_2) | instid1(VALU_DEP_1)
	s_or_b32 exec_lo, exec_lo, s10
	v_lshrrev_b16 v8, 8, v86
	s_mov_b32 s13, exec_lo
	v_cmpx_ne_u16_e32 0, v8
	s_cbranch_execz .LBB266_2133
; %bb.2126:                             ;   in Loop: Header=BB266_1062 Depth=1
	v_dual_mov_b32 v4, s8 :: v_dual_mov_b32 v5, s9
	s_mov_b32 s15, exec_lo
	v_cmpx_ne_u16_e32 0x80, v8
	s_cbranch_execz .LBB266_2132
; %bb.2127:                             ;   in Loop: Header=BB266_1062 Depth=1
	s_mov_b32 s10, s8
	v_and_b32_e32 v8, 0xffff, v8
	v_dual_mov_b32 v4, s10 :: v_dual_mov_b32 v5, s11
	s_mov_b32 s10, exec_lo
	s_delay_alu instid0(VALU_DEP_2) | instskip(NEXT) | instid1(VALU_DEP_1)
	v_and_b32_e32 v14, 0x7f, v8
	v_cmpx_ne_u32_e32 0x7f, v14
	s_cbranch_execz .LBB266_2131
; %bb.2128:                             ;   in Loop: Header=BB266_1062 Depth=1
	v_and_b32_e32 v8, 7, v8
	v_lshrrev_b32_e32 v4, 3, v14
	s_mov_b32 s16, exec_lo
	v_cmpx_gt_u32_e32 8, v14
; %bb.2129:                             ;   in Loop: Header=BB266_1062 Depth=1
	s_delay_alu instid0(VALU_DEP_3) | instskip(NEXT) | instid1(VALU_DEP_1)
	v_clz_i32_u32_e32 v4, v8
	v_min_u32_e32 v4, 32, v4
	s_delay_alu instid0(VALU_DEP_1) | instskip(SKIP_1) | instid1(VALU_DEP_2)
	v_subrev_nc_u32_e32 v5, 28, v4
	v_sub_nc_u32_e32 v4, 29, v4
	v_lshlrev_b64 v[14:15], v5, v[8:9]
	s_delay_alu instid0(VALU_DEP_1)
	v_and_b32_e32 v8, 7, v14
; %bb.2130:                             ;   in Loop: Header=BB266_1062 Depth=1
	s_or_b32 exec_lo, exec_lo, s16
	v_lshlrev_b32_e32 v5, 16, v86
	s_delay_alu instid0(VALU_DEP_2) | instskip(SKIP_1) | instid1(VALU_DEP_3)
	v_lshlrev_b32_e32 v8, 20, v8
	v_lshl_add_u32 v4, v4, 23, 0x3c000000
	v_and_b32_e32 v5, 0x80000000, v5
	s_delay_alu instid0(VALU_DEP_1)
	v_or3_b32 v5, v8, v5, v4
	v_mov_b32_e32 v4, v9
.LBB266_2131:                           ;   in Loop: Header=BB266_1062 Depth=1
	s_or_b32 exec_lo, exec_lo, s10
.LBB266_2132:                           ;   in Loop: Header=BB266_1062 Depth=1
	s_delay_alu instid0(SALU_CYCLE_1)
	s_or_b32 exec_lo, exec_lo, s15
.LBB266_2133:                           ;   in Loop: Header=BB266_1062 Depth=1
	s_delay_alu instid0(SALU_CYCLE_1) | instskip(SKIP_4) | instid1(VALU_DEP_1)
	s_or_b32 exec_lo, exec_lo, s13
	v_mov_b32_e32 v14, 0
	v_lshrrev_b32_e32 v87, 16, v86
	v_mov_b32_e32 v15, 0
	s_mov_b32 s10, exec_lo
	v_dual_mov_b32 v17, v15 :: v_dual_and_b32 v8, 0xff, v87
	v_mov_b32_e32 v16, v14
	s_delay_alu instid0(VALU_DEP_2)
	v_cmpx_ne_u16_e32 0, v8
	s_cbranch_execz .LBB266_2141
; %bb.2134:                             ;   in Loop: Header=BB266_1062 Depth=1
	v_bfrev_b32_e32 v16, 1
	v_mov_b32_e32 v17, 0
	s_mov_b32 s13, exec_lo
	v_cmpx_ne_u16_e32 0x80, v8
	s_cbranch_execz .LBB266_2140
; %bb.2135:                             ;   in Loop: Header=BB266_1062 Depth=1
	v_mov_b32_e32 v16, 0x7f800001
	v_bfe_u32 v96, v86, 16, 7
	v_mov_b32_e32 v17, 0
	s_mov_b32 s15, exec_lo
	s_delay_alu instid0(VALU_DEP_2)
	v_cmpx_ne_u32_e32 0x7f, v96
	s_cbranch_execz .LBB266_2139
; %bb.2136:                             ;   in Loop: Header=BB266_1062 Depth=1
	v_and_b32_e32 v8, 7, v87
	v_lshrrev_b32_e32 v16, 3, v96
	s_mov_b32 s16, exec_lo
	v_cmpx_gt_u32_e32 8, v96
	s_cbranch_execz .LBB266_2138
; %bb.2137:                             ;   in Loop: Header=BB266_1062 Depth=1
	v_clz_i32_u32_e32 v16, v8
	s_delay_alu instid0(VALU_DEP_1) | instskip(NEXT) | instid1(VALU_DEP_1)
	v_min_u32_e32 v16, 32, v16
	v_subrev_nc_u32_e32 v17, 28, v16
	v_sub_nc_u32_e32 v16, 29, v16
	s_delay_alu instid0(VALU_DEP_2)
	v_lshlrev_b64 v[96:97], v17, v[8:9]
	scratch_load_b32 v97, off, s32 offset:380 ; 4-byte Folded Reload
	v_and_b32_e32 v8, 7, v96
.LBB266_2138:                           ;   in Loop: Header=BB266_1062 Depth=1
	s_or_b32 exec_lo, exec_lo, s16
	v_lshlrev_b32_e32 v17, 24, v87
	s_delay_alu instid0(VALU_DEP_2) | instskip(SKIP_1) | instid1(VALU_DEP_3)
	v_lshlrev_b32_e32 v8, 20, v8
	v_lshl_add_u32 v16, v16, 23, 0x3c000000
	v_and_b32_e32 v17, 0x80000000, v17
	s_delay_alu instid0(VALU_DEP_1) | instskip(NEXT) | instid1(VALU_DEP_1)
	v_or3_b32 v8, v8, v17, v16
	v_dual_mov_b32 v17, v9 :: v_dual_mov_b32 v16, v8
.LBB266_2139:                           ;   in Loop: Header=BB266_1062 Depth=1
	s_or_b32 exec_lo, exec_lo, s15
	scratch_load_b32 v96, off, s32 offset:372 ; 4-byte Folded Reload
.LBB266_2140:                           ;   in Loop: Header=BB266_1062 Depth=1
	s_or_b32 exec_lo, exec_lo, s13
.LBB266_2141:                           ;   in Loop: Header=BB266_1062 Depth=1
	s_delay_alu instid0(SALU_CYCLE_1) | instskip(NEXT) | instid1(SALU_CYCLE_1)
	s_or_b32 exec_lo, exec_lo, s10
	s_mov_b32 s13, exec_lo
	v_cmpx_lt_u32_e32 0xffffff, v86
	s_cbranch_execz .LBB266_2149
; %bb.2142:                             ;   in Loop: Header=BB266_1062 Depth=1
	v_lshrrev_b32_e32 v87, 24, v86
	v_dual_mov_b32 v15, s9 :: v_dual_mov_b32 v14, s8
	s_mov_b32 s15, exec_lo
	s_delay_alu instid0(VALU_DEP_2)
	v_cmpx_ne_u32_e32 0x80, v87
	s_cbranch_execz .LBB266_2148
; %bb.2143:                             ;   in Loop: Header=BB266_1062 Depth=1
	s_mov_b32 s10, s8
	v_bfe_u32 v86, v86, 24, 7
	v_dual_mov_b32 v15, s11 :: v_dual_mov_b32 v14, s10
	s_mov_b32 s10, exec_lo
	s_delay_alu instid0(VALU_DEP_2)
	v_cmpx_ne_u32_e32 0x7f, v86
	s_cbranch_execz .LBB266_2147
; %bb.2144:                             ;   in Loop: Header=BB266_1062 Depth=1
	v_and_b32_e32 v8, 7, v87
	v_lshrrev_b32_e32 v14, 3, v86
	s_mov_b32 s16, exec_lo
	v_cmpx_gt_u32_e32 8, v86
	s_cbranch_execz .LBB266_2146
; %bb.2145:                             ;   in Loop: Header=BB266_1062 Depth=1
	v_clz_i32_u32_e32 v14, v8
	s_delay_alu instid0(VALU_DEP_1) | instskip(NEXT) | instid1(VALU_DEP_1)
	v_min_u32_e32 v14, 32, v14
	v_subrev_nc_u32_e32 v15, 28, v14
	v_sub_nc_u32_e32 v14, 29, v14
	s_waitcnt vmcnt(0)
	s_delay_alu instid0(VALU_DEP_2)
	v_lshlrev_b64 v[96:97], v15, v[8:9]
	scratch_load_b32 v97, off, s32 offset:380 ; 4-byte Folded Reload
	v_and_b32_e32 v8, 7, v96
	scratch_load_b32 v96, off, s32 offset:372 ; 4-byte Folded Reload
.LBB266_2146:                           ;   in Loop: Header=BB266_1062 Depth=1
	s_or_b32 exec_lo, exec_lo, s16
	v_lshlrev_b32_e32 v15, 24, v87
	v_lshlrev_b32_e32 v8, 20, v8
	v_lshl_add_u32 v14, v14, 23, 0x3c000000
	s_delay_alu instid0(VALU_DEP_3) | instskip(NEXT) | instid1(VALU_DEP_1)
	v_and_b32_e32 v15, 0x80000000, v15
	v_or3_b32 v15, v8, v15, v14
	v_mov_b32_e32 v14, v9
.LBB266_2147:                           ;   in Loop: Header=BB266_1062 Depth=1
	s_or_b32 exec_lo, exec_lo, s10
.LBB266_2148:                           ;   in Loop: Header=BB266_1062 Depth=1
	s_delay_alu instid0(SALU_CYCLE_1)
	s_or_b32 exec_lo, exec_lo, s15
.LBB266_2149:                           ;   in Loop: Header=BB266_1062 Depth=1
	s_delay_alu instid0(SALU_CYCLE_1) | instskip(SKIP_4) | instid1(VALU_DEP_4)
	s_or_b32 exec_lo, exec_lo, s13
	v_or_b32_e32 v5, v5, v13
	v_or_b32_e32 v4, v4, v12
	;; [unrolled: 1-line block ×4, first 2 shown]
	v_mul_f32_e32 v12, v102, v5
	s_delay_alu instid0(VALU_DEP_4) | instskip(NEXT) | instid1(VALU_DEP_4)
	v_mul_f32_e32 v8, v102, v4
	v_mul_f32_e32 v4, v102, v13
	s_delay_alu instid0(VALU_DEP_4)
	v_mul_f32_e32 v5, v102, v14
	s_and_saveexec_b32 s0, vcc_lo
	s_cbranch_execz .LBB266_1060
; %bb.2150:                             ;   in Loop: Header=BB266_1062 Depth=1
	v_cmp_lt_i32_e32 vcc_lo, v115, v47
	v_cndmask_b32_e32 v8, 0, v8, vcc_lo
	v_cmp_lt_i32_e32 vcc_lo, v118, v47
	v_cndmask_b32_e32 v12, 0, v12, vcc_lo
	;; [unrolled: 2-line block ×4, first 2 shown]
	s_branch .LBB266_1060
.LBB266_2151:
	s_or_b32 exec_lo, exec_lo, s5
	scratch_load_b32 v96, off, s32 offset:388 ; 4-byte Folded Reload
.LBB266_2152:
	s_or_b32 exec_lo, exec_lo, s3
	ds_bpermute_b32 v2, v25, v82
	ds_bpermute_b32 v3, v25, v81
	;; [unrolled: 1-line block ×17, first 2 shown]
	s_waitcnt vmcnt(0) lgkmcnt(0)
	s_waitcnt_vscnt null, 0x0
	s_barrier
	buffer_gl0_inv
	v_dual_add_f32 v2, v82, v2 :: v_dual_add_f32 v3, v81, v3
	v_add_f32_e32 v4, v80, v4
	v_add_f32_e32 v0, v83, v0
	;; [unrolled: 1-line block ×4, first 2 shown]
	ds_bpermute_b32 v20, v24, v3
	ds_bpermute_b32 v21, v24, v4
	v_dual_add_f32 v6, v70, v6 :: v_dual_add_f32 v7, v69, v7
	ds_bpermute_b32 v17, v24, v0
	v_dual_add_f32 v10, v66, v10 :: v_dual_add_f32 v11, v65, v11
	ds_bpermute_b32 v18, v24, v1
	ds_bpermute_b32 v19, v24, v2
	v_dual_add_f32 v8, v68, v8 :: v_dual_add_f32 v9, v67, v9
	ds_bpermute_b32 v26, v24, v6
	ds_bpermute_b32 v65, v24, v10
	;; [unrolled: 1-line block ×4, first 2 shown]
	v_dual_add_f32 v12, v64, v12 :: v_dual_add_f32 v13, v55, v13
	ds_bpermute_b32 v64, v24, v9
	ds_bpermute_b32 v66, v24, v11
	s_waitcnt lgkmcnt(10)
	v_dual_add_f32 v14, v54, v14 :: v_dual_add_f32 v3, v3, v20
	s_waitcnt lgkmcnt(9)
	v_add_f32_e32 v4, v4, v21
	ds_bpermute_b32 v30, v24, v8
	ds_bpermute_b32 v67, v25, v39
	s_waitcnt lgkmcnt(10)
	v_add_f32_e32 v0, v0, v17
	ds_bpermute_b32 v21, v23, v3
	s_waitcnt lgkmcnt(10)
	v_dual_add_f32 v16, v52, v16 :: v_dual_add_f32 v1, v1, v18
	s_waitcnt lgkmcnt(9)
	v_add_f32_e32 v2, v2, v19
	ds_bpermute_b32 v18, v23, v0
	ds_bpermute_b32 v52, v25, v50
	s_waitcnt lgkmcnt(10)
	v_add_f32_e32 v6, v6, v26
	s_waitcnt lgkmcnt(9)
	v_add_f32_e32 v10, v10, v65
	ds_bpermute_b32 v19, v23, v1
	s_waitcnt lgkmcnt(9)
	v_add_f32_e32 v5, v5, v22
	s_waitcnt lgkmcnt(8)
	v_add_f32_e32 v7, v7, v27
	ds_bpermute_b32 v20, v23, v2
	ds_bpermute_b32 v22, v23, v4
	s_waitcnt lgkmcnt(8)
	v_add_f32_e32 v11, v11, v66
	v_add_f32_e32 v9, v9, v64
	ds_bpermute_b32 v27, v23, v6
	ds_bpermute_b32 v64, v23, v10
	s_waitcnt lgkmcnt(9)
	v_add_f32_e32 v8, v8, v30
	ds_bpermute_b32 v26, v23, v5
	v_add_f32_e32 v15, v53, v15
	s_waitcnt lgkmcnt(8)
	v_add_f32_e32 v3, v3, v21
	ds_bpermute_b32 v21, v24, v16
	ds_bpermute_b32 v30, v23, v7
	;; [unrolled: 1-line block ×3, first 2 shown]
	s_waitcnt lgkmcnt(10)
	v_add_f32_e32 v0, v0, v18
	ds_bpermute_b32 v53, v25, v49
	ds_bpermute_b32 v65, v23, v11
	;; [unrolled: 1-line block ×3, first 2 shown]
	s_waitcnt lgkmcnt(11)
	v_add_f32_e32 v1, v1, v19
	ds_bpermute_b32 v19, v24, v14
	ds_bpermute_b32 v54, v23, v8
	s_waitcnt lgkmcnt(12)
	v_add_f32_e32 v2, v2, v20
	s_waitcnt lgkmcnt(11)
	v_add_f32_e32 v4, v4, v22
	ds_bpermute_b32 v20, v24, v15
	ds_bpermute_b32 v22, v25, v51
	s_waitcnt lgkmcnt(12)
	v_add_f32_e32 v6, v6, v27
	s_waitcnt lgkmcnt(11)
	v_dual_add_f32 v10, v10, v64 :: v_dual_add_f32 v27, v39, v67
	s_waitcnt lgkmcnt(10)
	v_add_f32_e32 v5, v5, v26
	ds_bpermute_b32 v17, v24, v12
	ds_bpermute_b32 v18, v24, v13
	s_waitcnt lgkmcnt(11)
	v_dual_add_f32 v16, v16, v21 :: v_dual_add_f32 v21, v50, v52
	ds_bpermute_b32 v50, v24, v27
	ds_bpermute_b32 v52, v25, v37
	s_waitcnt lgkmcnt(12)
	v_add_f32_e32 v7, v7, v30
	s_waitcnt lgkmcnt(9)
	v_add_f32_e32 v11, v11, v65
	ds_bpermute_b32 v39, v24, v21
	s_waitcnt lgkmcnt(9)
	v_add_f32_e32 v26, v48, v66
	s_waitcnt lgkmcnt(8)
	v_add_f32_e32 v14, v14, v19
	;; [unrolled: 2-line block ×3, first 2 shown]
	ds_bpermute_b32 v54, v25, v35
	ds_bpermute_b32 v65, v25, v31
	s_waitcnt lgkmcnt(8)
	v_add_f32_e32 v15, v15, v20
	s_waitcnt lgkmcnt(7)
	v_add_f32_e32 v20, v51, v22
	v_add_f32_e32 v22, v49, v53
	ds_bpermute_b32 v19, v23, v14
	ds_bpermute_b32 v51, v25, v38
	v_add_f32_e32 v9, v9, v55
	ds_bpermute_b32 v53, v25, v36
	ds_bpermute_b32 v55, v25, v34
	;; [unrolled: 1-line block ×4, first 2 shown]
	s_waitcnt lgkmcnt(10)
	v_add_f32_e32 v27, v27, v50
	ds_bpermute_b32 v48, v24, v22
	s_waitcnt lgkmcnt(10)
	v_add_f32_e32 v37, v37, v52
	ds_bpermute_b32 v49, v24, v26
	;; [unrolled: 3-line block ×3, first 2 shown]
	v_dual_add_f32 v12, v12, v17 :: v_dual_add_f32 v13, v13, v18
	s_waitcnt lgkmcnt(10)
	v_add_f32_e32 v35, v35, v54
	ds_bpermute_b32 v39, v24, v37
	ds_bpermute_b32 v54, v23, v21
	;; [unrolled: 1-line block ×4, first 2 shown]
	s_waitcnt lgkmcnt(12)
	v_add_f32_e32 v14, v14, v19
	ds_bpermute_b32 v19, v25, v33
	ds_bpermute_b32 v25, v25, v28
	v_add_f32_e32 v31, v31, v65
	s_waitcnt lgkmcnt(12)
	v_add_f32_e32 v36, v36, v53
	ds_bpermute_b32 v65, v23, v27
	s_waitcnt lgkmcnt(10)
	v_add_f32_e32 v29, v29, v66
	s_load_b32 s3, s[6:7], 0x0
	s_waitcnt lgkmcnt(0)
	v_add_f32_e32 v22, v22, v48
	s_mov_b32 s0, exec_lo
	v_add_f32_e32 v26, v26, v49
	ds_bpermute_b32 v49, v24, v35
	v_add_f32_e32 v20, v20, v30
	v_add_f32_e32 v30, v38, v51
	ds_bpermute_b32 v51, v24, v31
	v_add_f32_e32 v34, v34, v55
	;; [unrolled: 3-line block ×3, first 2 shown]
	ds_bpermute_b32 v48, v24, v36
	v_dual_add_f32 v12, v12, v17 :: v_dual_add_f32 v13, v13, v18
	v_add_f32_e32 v19, v33, v19
	v_add_f32_e32 v25, v28, v25
	ds_bpermute_b32 v38, v24, v30
	ds_bpermute_b32 v17, v23, v15
	;; [unrolled: 1-line block ×7, first 2 shown]
	s_waitcnt lgkmcnt(10)
	v_add_f32_e32 v35, v35, v49
	ds_bpermute_b32 v50, v24, v34
	ds_bpermute_b32 v39, v23, v37
	s_waitcnt lgkmcnt(11)
	v_add_f32_e32 v31, v31, v51
	ds_bpermute_b32 v33, v24, v32
	ds_bpermute_b32 v24, v24, v25
	;; [unrolled: 1-line block ×3, first 2 shown]
	s_waitcnt lgkmcnt(12)
	v_add_f32_e32 v36, v36, v48
	ds_bpermute_b32 v66, v23, v31
	s_waitcnt lgkmcnt(11)
	v_dual_add_f32 v30, v30, v38 :: v_dual_add_f32 v15, v15, v17
	ds_bpermute_b32 v48, v23, v36
	s_waitcnt lgkmcnt(10)
	v_dual_add_f32 v28, v19, v28 :: v_dual_add_f32 v17, v20, v53
	s_waitcnt lgkmcnt(8)
	v_add_f32_e32 v16, v16, v18
	v_dual_add_f32 v18, v21, v54 :: v_dual_add_f32 v19, v22, v55
	s_waitcnt lgkmcnt(6)
	v_dual_add_f32 v34, v34, v50 :: v_dual_add_f32 v21, v27, v65
	v_add_f32_e32 v20, v26, v64
	s_waitcnt lgkmcnt(4)
	v_dual_add_f32 v32, v32, v33 :: v_dual_add_f32 v33, v29, v52
	ds_bpermute_b32 v38, v23, v30
	s_waitcnt lgkmcnt(4)
	v_add_f32_e32 v51, v25, v24
	ds_bpermute_b32 v50, v23, v34
	ds_bpermute_b32 v29, v23, v28
	;; [unrolled: 1-line block ×5, first 2 shown]
	v_add_f32_e32 v23, v37, v39
	s_waitcnt lgkmcnt(6)
	v_dual_add_f32 v25, v35, v49 :: v_dual_add_f32 v24, v36, v48
	scratch_load_b32 v36, off, s32 offset:1244 ; 4-byte Folded Reload
	s_waitcnt lgkmcnt(5)
	v_add_f32_e32 v22, v30, v38
	v_add_f32_e32 v30, v31, v66
	s_waitcnt lgkmcnt(3)
	v_dual_add_f32 v27, v34, v50 :: v_dual_add_f32 v28, v28, v29
	s_waitcnt lgkmcnt(2)
	v_add_f32_e32 v31, v33, v67
	s_clause 0x1
	scratch_load_b32 v34, off, s32 offset:1248
	scratch_load_b32 v33, off, s32 offset:692
	s_waitcnt lgkmcnt(1)
	v_add_f32_e32 v29, v32, v52
	s_waitcnt lgkmcnt(0)
	v_add_f32_e32 v32, v51, v68
	s_waitcnt vmcnt(2)
	v_and_b32_e32 v26, 0x3c7, v36
	s_waitcnt vmcnt(1)
	v_lshl_add_u32 v34, v34, 9, s3
	s_waitcnt vmcnt(0)
	v_lshrrev_b32_e32 v33, 3, v33
	v_cmpx_eq_u32_e32 64, v26
	s_cbranch_execz .LBB266_2154
; %bb.2153:
	s_delay_alu instid0(VALU_DEP_2) | instskip(NEXT) | instid1(VALU_DEP_1)
	v_lshlrev_b32_e32 v26, 2, v33
	v_add3_u32 v26, v34, v26, 0xfffffc00
	ds_store_2addr_b32 v26, v0, v1 offset1:4
	ds_store_2addr_b32 v26, v2, v3 offset0:8 offset1:12
	ds_store_2addr_b32 v26, v4, v5 offset0:16 offset1:20
	;; [unrolled: 1-line block ×15, first 2 shown]
.LBB266_2154:
	s_or_b32 exec_lo, exec_lo, s0
	v_cmp_eq_u32_e32 vcc_lo, 0, v96
	s_mov_b32 s5, exec_lo
	s_waitcnt lgkmcnt(0)
	s_barrier
	buffer_gl0_inv
	v_cmpx_gt_u32_e32 64, v36
	s_cbranch_execz .LBB266_2189
; %bb.2155:
	s_and_saveexec_b32 s0, vcc_lo
	s_cbranch_execnz .LBB266_2229
; %bb.2156:
	s_or_b32 exec_lo, exec_lo, s0
	s_and_saveexec_b32 s0, vcc_lo
	s_cbranch_execnz .LBB266_2230
.LBB266_2157:
	s_or_b32 exec_lo, exec_lo, s0
	s_and_saveexec_b32 s0, vcc_lo
	s_cbranch_execnz .LBB266_2231
.LBB266_2158:
	s_or_b32 exec_lo, exec_lo, s0
	s_and_saveexec_b32 s0, vcc_lo
	s_cbranch_execnz .LBB266_2232
.LBB266_2159:
	s_or_b32 exec_lo, exec_lo, s0
	s_and_saveexec_b32 s0, vcc_lo
	s_cbranch_execnz .LBB266_2233
.LBB266_2160:
	s_or_b32 exec_lo, exec_lo, s0
	s_and_saveexec_b32 s0, vcc_lo
	s_cbranch_execnz .LBB266_2234
.LBB266_2161:
	s_or_b32 exec_lo, exec_lo, s0
	s_and_saveexec_b32 s0, vcc_lo
	s_cbranch_execnz .LBB266_2235
.LBB266_2162:
	s_or_b32 exec_lo, exec_lo, s0
	s_and_saveexec_b32 s0, vcc_lo
	s_cbranch_execnz .LBB266_2236
.LBB266_2163:
	s_or_b32 exec_lo, exec_lo, s0
	s_and_saveexec_b32 s0, vcc_lo
	s_cbranch_execnz .LBB266_2237
.LBB266_2164:
	s_or_b32 exec_lo, exec_lo, s0
	s_and_saveexec_b32 s0, vcc_lo
	s_cbranch_execnz .LBB266_2238
.LBB266_2165:
	s_or_b32 exec_lo, exec_lo, s0
	s_and_saveexec_b32 s0, vcc_lo
	s_cbranch_execnz .LBB266_2239
.LBB266_2166:
	s_or_b32 exec_lo, exec_lo, s0
	s_and_saveexec_b32 s0, vcc_lo
	s_cbranch_execnz .LBB266_2240
.LBB266_2167:
	s_or_b32 exec_lo, exec_lo, s0
	s_and_saveexec_b32 s0, vcc_lo
	s_cbranch_execnz .LBB266_2241
.LBB266_2168:
	s_or_b32 exec_lo, exec_lo, s0
	s_and_saveexec_b32 s0, vcc_lo
	s_cbranch_execnz .LBB266_2242
.LBB266_2169:
	s_or_b32 exec_lo, exec_lo, s0
	s_and_saveexec_b32 s0, vcc_lo
	s_cbranch_execnz .LBB266_2243
.LBB266_2170:
	s_or_b32 exec_lo, exec_lo, s0
	s_and_saveexec_b32 s0, vcc_lo
	s_cbranch_execnz .LBB266_2244
.LBB266_2171:
	s_or_b32 exec_lo, exec_lo, s0
	s_and_saveexec_b32 s0, vcc_lo
	s_cbranch_execnz .LBB266_2245
.LBB266_2172:
	s_or_b32 exec_lo, exec_lo, s0
	s_and_saveexec_b32 s0, vcc_lo
	s_cbranch_execnz .LBB266_2246
.LBB266_2173:
	s_or_b32 exec_lo, exec_lo, s0
	s_and_saveexec_b32 s0, vcc_lo
	s_cbranch_execnz .LBB266_2247
.LBB266_2174:
	s_or_b32 exec_lo, exec_lo, s0
	s_and_saveexec_b32 s0, vcc_lo
	s_cbranch_execnz .LBB266_2248
.LBB266_2175:
	s_or_b32 exec_lo, exec_lo, s0
	s_and_saveexec_b32 s0, vcc_lo
	s_cbranch_execnz .LBB266_2249
.LBB266_2176:
	s_or_b32 exec_lo, exec_lo, s0
	s_and_saveexec_b32 s0, vcc_lo
	s_cbranch_execnz .LBB266_2250
.LBB266_2177:
	s_or_b32 exec_lo, exec_lo, s0
	s_and_saveexec_b32 s0, vcc_lo
	s_cbranch_execnz .LBB266_2251
.LBB266_2178:
	s_or_b32 exec_lo, exec_lo, s0
	s_and_saveexec_b32 s0, vcc_lo
	s_cbranch_execnz .LBB266_2252
.LBB266_2179:
	s_or_b32 exec_lo, exec_lo, s0
	s_and_saveexec_b32 s0, vcc_lo
	s_cbranch_execnz .LBB266_2253
.LBB266_2180:
	s_or_b32 exec_lo, exec_lo, s0
	s_and_saveexec_b32 s0, vcc_lo
	s_cbranch_execnz .LBB266_2254
.LBB266_2181:
	s_or_b32 exec_lo, exec_lo, s0
	s_and_saveexec_b32 s0, vcc_lo
	s_cbranch_execnz .LBB266_2255
.LBB266_2182:
	s_or_b32 exec_lo, exec_lo, s0
	s_and_saveexec_b32 s0, vcc_lo
	s_cbranch_execnz .LBB266_2256
.LBB266_2183:
	s_or_b32 exec_lo, exec_lo, s0
	s_and_saveexec_b32 s0, vcc_lo
	s_cbranch_execnz .LBB266_2257
.LBB266_2184:
	s_or_b32 exec_lo, exec_lo, s0
	s_and_saveexec_b32 s0, vcc_lo
	s_cbranch_execnz .LBB266_2258
.LBB266_2185:
	s_or_b32 exec_lo, exec_lo, s0
	s_and_saveexec_b32 s0, vcc_lo
	s_cbranch_execnz .LBB266_2259
.LBB266_2186:
	s_or_b32 exec_lo, exec_lo, s0
	s_and_saveexec_b32 s0, vcc_lo
	s_cbranch_execz .LBB266_2188
.LBB266_2187:
	v_lshl_add_u32 v26, v33, 2, v34
	ds_load_b32 v26, v26 offset:496
	s_waitcnt lgkmcnt(0)
	v_add_f32_e32 v32, v26, v32
.LBB266_2188:
	s_or_b32 exec_lo, exec_lo, s0
.LBB266_2189:
	s_delay_alu instid0(SALU_CYCLE_1)
	s_or_b32 exec_lo, exec_lo, s5
	v_and_b32_e32 v26, 0x3e7, v36
	s_mov_b32 s5, exec_lo
	s_barrier
	buffer_gl0_inv
	v_cmpx_eq_u32_e32 32, v26
	s_cbranch_execz .LBB266_2191
; %bb.2190:
	v_lshl_add_u32 v35, v33, 2, s3
	ds_store_2addr_b32 v35, v0, v1 offset1:4
	ds_store_2addr_b32 v35, v2, v3 offset0:8 offset1:12
	ds_store_2addr_b32 v35, v4, v5 offset0:16 offset1:20
	;; [unrolled: 1-line block ×15, first 2 shown]
.LBB266_2191:
	s_or_b32 exec_lo, exec_lo, s5
	s_delay_alu instid0(SALU_CYCLE_1)
	s_mov_b32 s3, exec_lo
	s_waitcnt lgkmcnt(0)
	s_barrier
	buffer_gl0_inv
	v_cmpx_gt_u32_e32 32, v36
	s_cbranch_execz .LBB266_2226
; %bb.2192:
	v_lshl_add_u32 v33, v33, 2, v34
	s_and_saveexec_b32 s0, vcc_lo
	s_cbranch_execnz .LBB266_2260
; %bb.2193:
	s_or_b32 exec_lo, exec_lo, s0
	s_and_saveexec_b32 s0, vcc_lo
	s_cbranch_execnz .LBB266_2261
.LBB266_2194:
	s_or_b32 exec_lo, exec_lo, s0
	s_and_saveexec_b32 s0, vcc_lo
	s_cbranch_execnz .LBB266_2262
.LBB266_2195:
	s_or_b32 exec_lo, exec_lo, s0
	s_and_saveexec_b32 s0, vcc_lo
	s_cbranch_execnz .LBB266_2263
.LBB266_2196:
	s_or_b32 exec_lo, exec_lo, s0
	s_and_saveexec_b32 s0, vcc_lo
	s_cbranch_execnz .LBB266_2264
.LBB266_2197:
	s_or_b32 exec_lo, exec_lo, s0
	s_and_saveexec_b32 s0, vcc_lo
	s_cbranch_execnz .LBB266_2265
.LBB266_2198:
	s_or_b32 exec_lo, exec_lo, s0
	s_and_saveexec_b32 s0, vcc_lo
	s_cbranch_execnz .LBB266_2266
.LBB266_2199:
	s_or_b32 exec_lo, exec_lo, s0
	s_and_saveexec_b32 s0, vcc_lo
	s_cbranch_execnz .LBB266_2267
.LBB266_2200:
	s_or_b32 exec_lo, exec_lo, s0
	s_and_saveexec_b32 s0, vcc_lo
	s_cbranch_execnz .LBB266_2268
.LBB266_2201:
	s_or_b32 exec_lo, exec_lo, s0
	s_and_saveexec_b32 s0, vcc_lo
	s_cbranch_execnz .LBB266_2269
.LBB266_2202:
	s_or_b32 exec_lo, exec_lo, s0
	s_and_saveexec_b32 s0, vcc_lo
	s_cbranch_execnz .LBB266_2270
.LBB266_2203:
	s_or_b32 exec_lo, exec_lo, s0
	s_and_saveexec_b32 s0, vcc_lo
	s_cbranch_execnz .LBB266_2271
.LBB266_2204:
	s_or_b32 exec_lo, exec_lo, s0
	s_and_saveexec_b32 s0, vcc_lo
	s_cbranch_execnz .LBB266_2272
.LBB266_2205:
	s_or_b32 exec_lo, exec_lo, s0
	s_and_saveexec_b32 s0, vcc_lo
	s_cbranch_execnz .LBB266_2273
.LBB266_2206:
	s_or_b32 exec_lo, exec_lo, s0
	s_and_saveexec_b32 s0, vcc_lo
	s_cbranch_execnz .LBB266_2274
.LBB266_2207:
	s_or_b32 exec_lo, exec_lo, s0
	s_and_saveexec_b32 s0, vcc_lo
	s_cbranch_execnz .LBB266_2275
.LBB266_2208:
	s_or_b32 exec_lo, exec_lo, s0
	s_and_saveexec_b32 s0, vcc_lo
	s_cbranch_execnz .LBB266_2276
.LBB266_2209:
	s_or_b32 exec_lo, exec_lo, s0
	s_and_saveexec_b32 s0, vcc_lo
	s_cbranch_execnz .LBB266_2277
.LBB266_2210:
	s_or_b32 exec_lo, exec_lo, s0
	s_and_saveexec_b32 s0, vcc_lo
	s_cbranch_execnz .LBB266_2278
.LBB266_2211:
	s_or_b32 exec_lo, exec_lo, s0
	s_and_saveexec_b32 s0, vcc_lo
	s_cbranch_execnz .LBB266_2279
.LBB266_2212:
	s_or_b32 exec_lo, exec_lo, s0
	s_and_saveexec_b32 s0, vcc_lo
	s_cbranch_execnz .LBB266_2280
.LBB266_2213:
	s_or_b32 exec_lo, exec_lo, s0
	s_and_saveexec_b32 s0, vcc_lo
	s_cbranch_execnz .LBB266_2281
.LBB266_2214:
	s_or_b32 exec_lo, exec_lo, s0
	s_and_saveexec_b32 s0, vcc_lo
	s_cbranch_execnz .LBB266_2282
.LBB266_2215:
	s_or_b32 exec_lo, exec_lo, s0
	s_and_saveexec_b32 s0, vcc_lo
	s_cbranch_execnz .LBB266_2283
.LBB266_2216:
	s_or_b32 exec_lo, exec_lo, s0
	s_and_saveexec_b32 s0, vcc_lo
	s_cbranch_execnz .LBB266_2284
.LBB266_2217:
	s_or_b32 exec_lo, exec_lo, s0
	s_and_saveexec_b32 s0, vcc_lo
	s_cbranch_execnz .LBB266_2285
.LBB266_2218:
	s_or_b32 exec_lo, exec_lo, s0
	s_and_saveexec_b32 s0, vcc_lo
	s_cbranch_execnz .LBB266_2286
.LBB266_2219:
	s_or_b32 exec_lo, exec_lo, s0
	s_and_saveexec_b32 s0, vcc_lo
	s_cbranch_execnz .LBB266_2287
.LBB266_2220:
	s_or_b32 exec_lo, exec_lo, s0
	s_and_saveexec_b32 s0, vcc_lo
	s_cbranch_execnz .LBB266_2288
.LBB266_2221:
	s_or_b32 exec_lo, exec_lo, s0
	s_and_saveexec_b32 s0, vcc_lo
	s_cbranch_execnz .LBB266_2289
.LBB266_2222:
	s_or_b32 exec_lo, exec_lo, s0
	s_and_saveexec_b32 s0, vcc_lo
	s_cbranch_execnz .LBB266_2290
.LBB266_2223:
	s_or_b32 exec_lo, exec_lo, s0
	s_and_saveexec_b32 s0, vcc_lo
	s_cbranch_execz .LBB266_2225
.LBB266_2224:
	ds_load_b32 v33, v33 offset:496
	s_waitcnt lgkmcnt(0)
	v_add_f32_e32 v32, v33, v32
.LBB266_2225:
	s_or_b32 exec_lo, exec_lo, s0
.LBB266_2226:
	s_delay_alu instid0(SALU_CYCLE_1)
	s_or_b32 exec_lo, exec_lo, s3
	v_cmp_eq_u32_e32 vcc_lo, 0, v26
	s_barrier
	buffer_gl0_inv
	s_and_b32 exec_lo, exec_lo, vcc_lo
	s_cbranch_execz .LBB266_2228
; %bb.2227:
	s_clause 0x1
	scratch_load_b32 v33, off, s32 offset:1256
	scratch_load_b32 v34, off, s32 offset:1252
	s_lshl_b32 s0, s2, 7
	s_mul_i32 s2, s4, s1
	s_lshl_b32 s4, s14, 7
	s_ashr_i32 s3, s2, 31
	s_ashr_i32 s5, s4, 31
	;; [unrolled: 1-line block ×3, first 2 shown]
	s_lshl_b64 s[2:3], s[2:3], 2
	s_lshl_b64 s[4:5], s[4:5], 2
	;; [unrolled: 1-line block ×3, first 2 shown]
	s_add_u32 s2, s4, s2
	s_addc_u32 s3, s5, s3
	s_add_u32 s0, s2, s0
	s_addc_u32 s1, s3, s1
	v_lshrrev_b32_e32 v26, 1, v36
	s_waitcnt vmcnt(1)
	v_add_co_u32 v33, vcc_lo, s0, v33
	s_waitcnt vmcnt(0)
	v_add_co_ci_u32_e32 v34, vcc_lo, s1, v34, vcc_lo
	s_delay_alu instid0(VALU_DEP_2) | instskip(NEXT) | instid1(VALU_DEP_2)
	v_add_co_u32 v33, vcc_lo, v33, v26
	v_add_co_ci_u32_e32 v34, vcc_lo, 0, v34, vcc_lo
	s_clause 0x1f
	flat_store_b32 v[33:34], v0
	flat_store_b32 v[33:34], v1 offset:16
	flat_store_b32 v[33:34], v2 offset:32
	;; [unrolled: 1-line block ×31, first 2 shown]
.LBB266_2228:
	s_or_b32 exec_lo, exec_lo, s18
	s_clause 0x1f
	scratch_load_b32 v191, off, s32 offset:8
	scratch_load_b32 v190, off, s32 offset:12
	;; [unrolled: 1-line block ×32, first 2 shown]
	s_clause 0x1f
	scratch_load_b32 v127, off, s32 offset:136
	scratch_load_b32 v126, off, s32 offset:140
	;; [unrolled: 1-line block ×32, first 2 shown]
	s_clause 0xf
	scratch_load_b32 v63, off, s32 offset:264
	scratch_load_b32 v62, off, s32 offset:268
	;; [unrolled: 1-line block ×16, first 2 shown]
	s_waitcnt vmcnt(0) lgkmcnt(0)
	s_setpc_b64 s[30:31]
.LBB266_2229:
	v_lshl_add_u32 v26, v33, 2, v34
	ds_load_b32 v26, v26
	s_waitcnt lgkmcnt(0)
	v_add_f32_e32 v0, v26, v0
	s_or_b32 exec_lo, exec_lo, s0
	s_and_saveexec_b32 s0, vcc_lo
	s_cbranch_execz .LBB266_2157
.LBB266_2230:
	v_lshl_add_u32 v26, v33, 2, v34
	ds_load_b32 v26, v26 offset:16
	s_waitcnt lgkmcnt(0)
	v_add_f32_e32 v1, v26, v1
	s_or_b32 exec_lo, exec_lo, s0
	s_and_saveexec_b32 s0, vcc_lo
	s_cbranch_execz .LBB266_2158
.LBB266_2231:
	v_lshl_add_u32 v26, v33, 2, v34
	ds_load_b32 v26, v26 offset:32
	s_waitcnt lgkmcnt(0)
	v_add_f32_e32 v2, v26, v2
	s_or_b32 exec_lo, exec_lo, s0
	s_and_saveexec_b32 s0, vcc_lo
	s_cbranch_execz .LBB266_2159
.LBB266_2232:
	v_lshl_add_u32 v26, v33, 2, v34
	ds_load_b32 v26, v26 offset:48
	s_waitcnt lgkmcnt(0)
	v_add_f32_e32 v3, v26, v3
	s_or_b32 exec_lo, exec_lo, s0
	s_and_saveexec_b32 s0, vcc_lo
	s_cbranch_execz .LBB266_2160
.LBB266_2233:
	v_lshl_add_u32 v26, v33, 2, v34
	ds_load_b32 v26, v26 offset:64
	s_waitcnt lgkmcnt(0)
	v_add_f32_e32 v4, v26, v4
	s_or_b32 exec_lo, exec_lo, s0
	s_and_saveexec_b32 s0, vcc_lo
	s_cbranch_execz .LBB266_2161
.LBB266_2234:
	v_lshl_add_u32 v26, v33, 2, v34
	ds_load_b32 v26, v26 offset:80
	s_waitcnt lgkmcnt(0)
	v_add_f32_e32 v5, v26, v5
	s_or_b32 exec_lo, exec_lo, s0
	s_and_saveexec_b32 s0, vcc_lo
	s_cbranch_execz .LBB266_2162
.LBB266_2235:
	v_lshl_add_u32 v26, v33, 2, v34
	ds_load_b32 v26, v26 offset:96
	s_waitcnt lgkmcnt(0)
	v_add_f32_e32 v6, v26, v6
	s_or_b32 exec_lo, exec_lo, s0
	s_and_saveexec_b32 s0, vcc_lo
	s_cbranch_execz .LBB266_2163
.LBB266_2236:
	v_lshl_add_u32 v26, v33, 2, v34
	ds_load_b32 v26, v26 offset:112
	s_waitcnt lgkmcnt(0)
	v_add_f32_e32 v7, v26, v7
	s_or_b32 exec_lo, exec_lo, s0
	s_and_saveexec_b32 s0, vcc_lo
	s_cbranch_execz .LBB266_2164
.LBB266_2237:
	v_lshl_add_u32 v26, v33, 2, v34
	ds_load_b32 v26, v26 offset:128
	s_waitcnt lgkmcnt(0)
	v_add_f32_e32 v8, v26, v8
	s_or_b32 exec_lo, exec_lo, s0
	s_and_saveexec_b32 s0, vcc_lo
	s_cbranch_execz .LBB266_2165
.LBB266_2238:
	v_lshl_add_u32 v26, v33, 2, v34
	ds_load_b32 v26, v26 offset:144
	s_waitcnt lgkmcnt(0)
	v_add_f32_e32 v9, v26, v9
	s_or_b32 exec_lo, exec_lo, s0
	s_and_saveexec_b32 s0, vcc_lo
	s_cbranch_execz .LBB266_2166
.LBB266_2239:
	v_lshl_add_u32 v26, v33, 2, v34
	ds_load_b32 v26, v26 offset:160
	s_waitcnt lgkmcnt(0)
	v_add_f32_e32 v10, v26, v10
	s_or_b32 exec_lo, exec_lo, s0
	s_and_saveexec_b32 s0, vcc_lo
	s_cbranch_execz .LBB266_2167
.LBB266_2240:
	v_lshl_add_u32 v26, v33, 2, v34
	ds_load_b32 v26, v26 offset:176
	s_waitcnt lgkmcnt(0)
	v_add_f32_e32 v11, v26, v11
	s_or_b32 exec_lo, exec_lo, s0
	s_and_saveexec_b32 s0, vcc_lo
	s_cbranch_execz .LBB266_2168
.LBB266_2241:
	v_lshl_add_u32 v26, v33, 2, v34
	ds_load_b32 v26, v26 offset:192
	s_waitcnt lgkmcnt(0)
	v_add_f32_e32 v12, v26, v12
	s_or_b32 exec_lo, exec_lo, s0
	s_and_saveexec_b32 s0, vcc_lo
	s_cbranch_execz .LBB266_2169
.LBB266_2242:
	v_lshl_add_u32 v26, v33, 2, v34
	ds_load_b32 v26, v26 offset:208
	s_waitcnt lgkmcnt(0)
	v_add_f32_e32 v13, v26, v13
	s_or_b32 exec_lo, exec_lo, s0
	s_and_saveexec_b32 s0, vcc_lo
	s_cbranch_execz .LBB266_2170
.LBB266_2243:
	v_lshl_add_u32 v26, v33, 2, v34
	ds_load_b32 v26, v26 offset:224
	s_waitcnt lgkmcnt(0)
	v_add_f32_e32 v14, v26, v14
	s_or_b32 exec_lo, exec_lo, s0
	s_and_saveexec_b32 s0, vcc_lo
	s_cbranch_execz .LBB266_2171
.LBB266_2244:
	v_lshl_add_u32 v26, v33, 2, v34
	ds_load_b32 v26, v26 offset:240
	s_waitcnt lgkmcnt(0)
	v_add_f32_e32 v15, v26, v15
	s_or_b32 exec_lo, exec_lo, s0
	s_and_saveexec_b32 s0, vcc_lo
	s_cbranch_execz .LBB266_2172
.LBB266_2245:
	v_lshl_add_u32 v26, v33, 2, v34
	ds_load_b32 v26, v26 offset:256
	s_waitcnt lgkmcnt(0)
	v_add_f32_e32 v16, v26, v16
	s_or_b32 exec_lo, exec_lo, s0
	s_and_saveexec_b32 s0, vcc_lo
	s_cbranch_execz .LBB266_2173
.LBB266_2246:
	v_lshl_add_u32 v26, v33, 2, v34
	ds_load_b32 v26, v26 offset:272
	s_waitcnt lgkmcnt(0)
	v_add_f32_e32 v17, v26, v17
	s_or_b32 exec_lo, exec_lo, s0
	s_and_saveexec_b32 s0, vcc_lo
	s_cbranch_execz .LBB266_2174
.LBB266_2247:
	v_lshl_add_u32 v26, v33, 2, v34
	ds_load_b32 v26, v26 offset:288
	s_waitcnt lgkmcnt(0)
	v_add_f32_e32 v18, v26, v18
	s_or_b32 exec_lo, exec_lo, s0
	s_and_saveexec_b32 s0, vcc_lo
	s_cbranch_execz .LBB266_2175
.LBB266_2248:
	v_lshl_add_u32 v26, v33, 2, v34
	ds_load_b32 v26, v26 offset:304
	s_waitcnt lgkmcnt(0)
	v_add_f32_e32 v19, v26, v19
	s_or_b32 exec_lo, exec_lo, s0
	s_and_saveexec_b32 s0, vcc_lo
	s_cbranch_execz .LBB266_2176
.LBB266_2249:
	v_lshl_add_u32 v26, v33, 2, v34
	ds_load_b32 v26, v26 offset:320
	s_waitcnt lgkmcnt(0)
	v_add_f32_e32 v20, v26, v20
	s_or_b32 exec_lo, exec_lo, s0
	s_and_saveexec_b32 s0, vcc_lo
	s_cbranch_execz .LBB266_2177
.LBB266_2250:
	v_lshl_add_u32 v26, v33, 2, v34
	ds_load_b32 v26, v26 offset:336
	s_waitcnt lgkmcnt(0)
	v_add_f32_e32 v21, v26, v21
	s_or_b32 exec_lo, exec_lo, s0
	s_and_saveexec_b32 s0, vcc_lo
	s_cbranch_execz .LBB266_2178
.LBB266_2251:
	v_lshl_add_u32 v26, v33, 2, v34
	ds_load_b32 v26, v26 offset:352
	s_waitcnt lgkmcnt(0)
	v_add_f32_e32 v22, v26, v22
	s_or_b32 exec_lo, exec_lo, s0
	s_and_saveexec_b32 s0, vcc_lo
	s_cbranch_execz .LBB266_2179
.LBB266_2252:
	v_lshl_add_u32 v26, v33, 2, v34
	ds_load_b32 v26, v26 offset:368
	s_waitcnt lgkmcnt(0)
	v_add_f32_e32 v23, v26, v23
	s_or_b32 exec_lo, exec_lo, s0
	s_and_saveexec_b32 s0, vcc_lo
	s_cbranch_execz .LBB266_2180
.LBB266_2253:
	v_lshl_add_u32 v26, v33, 2, v34
	ds_load_b32 v26, v26 offset:384
	s_waitcnt lgkmcnt(0)
	v_add_f32_e32 v24, v26, v24
	s_or_b32 exec_lo, exec_lo, s0
	s_and_saveexec_b32 s0, vcc_lo
	s_cbranch_execz .LBB266_2181
.LBB266_2254:
	v_lshl_add_u32 v26, v33, 2, v34
	ds_load_b32 v26, v26 offset:400
	s_waitcnt lgkmcnt(0)
	v_add_f32_e32 v25, v26, v25
	s_or_b32 exec_lo, exec_lo, s0
	s_and_saveexec_b32 s0, vcc_lo
	s_cbranch_execz .LBB266_2182
.LBB266_2255:
	v_lshl_add_u32 v26, v33, 2, v34
	ds_load_b32 v26, v26 offset:416
	s_waitcnt lgkmcnt(0)
	v_add_f32_e32 v27, v26, v27
	s_or_b32 exec_lo, exec_lo, s0
	s_and_saveexec_b32 s0, vcc_lo
	s_cbranch_execz .LBB266_2183
.LBB266_2256:
	v_lshl_add_u32 v26, v33, 2, v34
	ds_load_b32 v26, v26 offset:432
	s_waitcnt lgkmcnt(0)
	v_add_f32_e32 v28, v26, v28
	s_or_b32 exec_lo, exec_lo, s0
	s_and_saveexec_b32 s0, vcc_lo
	s_cbranch_execz .LBB266_2184
.LBB266_2257:
	v_lshl_add_u32 v26, v33, 2, v34
	ds_load_b32 v26, v26 offset:448
	s_waitcnt lgkmcnt(0)
	v_add_f32_e32 v29, v26, v29
	s_or_b32 exec_lo, exec_lo, s0
	s_and_saveexec_b32 s0, vcc_lo
	s_cbranch_execz .LBB266_2185
.LBB266_2258:
	v_lshl_add_u32 v26, v33, 2, v34
	ds_load_b32 v26, v26 offset:464
	s_waitcnt lgkmcnt(0)
	v_add_f32_e32 v30, v26, v30
	s_or_b32 exec_lo, exec_lo, s0
	s_and_saveexec_b32 s0, vcc_lo
	s_cbranch_execz .LBB266_2186
.LBB266_2259:
	v_lshl_add_u32 v26, v33, 2, v34
	ds_load_b32 v26, v26 offset:480
	s_waitcnt lgkmcnt(0)
	v_add_f32_e32 v31, v26, v31
	s_or_b32 exec_lo, exec_lo, s0
	s_and_saveexec_b32 s0, vcc_lo
	s_cbranch_execnz .LBB266_2187
	s_branch .LBB266_2188
.LBB266_2260:
	ds_load_b32 v34, v33
	s_waitcnt lgkmcnt(0)
	v_add_f32_e32 v0, v34, v0
	s_or_b32 exec_lo, exec_lo, s0
	s_and_saveexec_b32 s0, vcc_lo
	s_cbranch_execz .LBB266_2194
.LBB266_2261:
	ds_load_b32 v34, v33 offset:16
	s_waitcnt lgkmcnt(0)
	v_add_f32_e32 v1, v34, v1
	s_or_b32 exec_lo, exec_lo, s0
	s_and_saveexec_b32 s0, vcc_lo
	s_cbranch_execz .LBB266_2195
.LBB266_2262:
	ds_load_b32 v34, v33 offset:32
	s_waitcnt lgkmcnt(0)
	v_add_f32_e32 v2, v34, v2
	s_or_b32 exec_lo, exec_lo, s0
	s_and_saveexec_b32 s0, vcc_lo
	s_cbranch_execz .LBB266_2196
.LBB266_2263:
	ds_load_b32 v34, v33 offset:48
	s_waitcnt lgkmcnt(0)
	v_add_f32_e32 v3, v34, v3
	s_or_b32 exec_lo, exec_lo, s0
	s_and_saveexec_b32 s0, vcc_lo
	s_cbranch_execz .LBB266_2197
.LBB266_2264:
	ds_load_b32 v34, v33 offset:64
	s_waitcnt lgkmcnt(0)
	v_add_f32_e32 v4, v34, v4
	s_or_b32 exec_lo, exec_lo, s0
	s_and_saveexec_b32 s0, vcc_lo
	s_cbranch_execz .LBB266_2198
.LBB266_2265:
	ds_load_b32 v34, v33 offset:80
	s_waitcnt lgkmcnt(0)
	v_add_f32_e32 v5, v34, v5
	s_or_b32 exec_lo, exec_lo, s0
	s_and_saveexec_b32 s0, vcc_lo
	s_cbranch_execz .LBB266_2199
.LBB266_2266:
	ds_load_b32 v34, v33 offset:96
	s_waitcnt lgkmcnt(0)
	v_add_f32_e32 v6, v34, v6
	s_or_b32 exec_lo, exec_lo, s0
	s_and_saveexec_b32 s0, vcc_lo
	s_cbranch_execz .LBB266_2200
.LBB266_2267:
	ds_load_b32 v34, v33 offset:112
	s_waitcnt lgkmcnt(0)
	v_add_f32_e32 v7, v34, v7
	s_or_b32 exec_lo, exec_lo, s0
	s_and_saveexec_b32 s0, vcc_lo
	s_cbranch_execz .LBB266_2201
.LBB266_2268:
	ds_load_b32 v34, v33 offset:128
	s_waitcnt lgkmcnt(0)
	v_add_f32_e32 v8, v34, v8
	s_or_b32 exec_lo, exec_lo, s0
	s_and_saveexec_b32 s0, vcc_lo
	s_cbranch_execz .LBB266_2202
.LBB266_2269:
	ds_load_b32 v34, v33 offset:144
	s_waitcnt lgkmcnt(0)
	v_add_f32_e32 v9, v34, v9
	s_or_b32 exec_lo, exec_lo, s0
	s_and_saveexec_b32 s0, vcc_lo
	s_cbranch_execz .LBB266_2203
.LBB266_2270:
	ds_load_b32 v34, v33 offset:160
	s_waitcnt lgkmcnt(0)
	v_add_f32_e32 v10, v34, v10
	s_or_b32 exec_lo, exec_lo, s0
	s_and_saveexec_b32 s0, vcc_lo
	s_cbranch_execz .LBB266_2204
.LBB266_2271:
	ds_load_b32 v34, v33 offset:176
	s_waitcnt lgkmcnt(0)
	v_add_f32_e32 v11, v34, v11
	s_or_b32 exec_lo, exec_lo, s0
	s_and_saveexec_b32 s0, vcc_lo
	s_cbranch_execz .LBB266_2205
.LBB266_2272:
	ds_load_b32 v34, v33 offset:192
	s_waitcnt lgkmcnt(0)
	v_add_f32_e32 v12, v34, v12
	s_or_b32 exec_lo, exec_lo, s0
	s_and_saveexec_b32 s0, vcc_lo
	s_cbranch_execz .LBB266_2206
.LBB266_2273:
	ds_load_b32 v34, v33 offset:208
	s_waitcnt lgkmcnt(0)
	v_add_f32_e32 v13, v34, v13
	s_or_b32 exec_lo, exec_lo, s0
	s_and_saveexec_b32 s0, vcc_lo
	s_cbranch_execz .LBB266_2207
.LBB266_2274:
	ds_load_b32 v34, v33 offset:224
	s_waitcnt lgkmcnt(0)
	v_add_f32_e32 v14, v34, v14
	s_or_b32 exec_lo, exec_lo, s0
	s_and_saveexec_b32 s0, vcc_lo
	s_cbranch_execz .LBB266_2208
.LBB266_2275:
	ds_load_b32 v34, v33 offset:240
	s_waitcnt lgkmcnt(0)
	v_add_f32_e32 v15, v34, v15
	s_or_b32 exec_lo, exec_lo, s0
	s_and_saveexec_b32 s0, vcc_lo
	s_cbranch_execz .LBB266_2209
.LBB266_2276:
	ds_load_b32 v34, v33 offset:256
	s_waitcnt lgkmcnt(0)
	v_add_f32_e32 v16, v34, v16
	s_or_b32 exec_lo, exec_lo, s0
	s_and_saveexec_b32 s0, vcc_lo
	s_cbranch_execz .LBB266_2210
.LBB266_2277:
	ds_load_b32 v34, v33 offset:272
	s_waitcnt lgkmcnt(0)
	v_add_f32_e32 v17, v34, v17
	s_or_b32 exec_lo, exec_lo, s0
	s_and_saveexec_b32 s0, vcc_lo
	s_cbranch_execz .LBB266_2211
.LBB266_2278:
	ds_load_b32 v34, v33 offset:288
	s_waitcnt lgkmcnt(0)
	v_add_f32_e32 v18, v34, v18
	s_or_b32 exec_lo, exec_lo, s0
	s_and_saveexec_b32 s0, vcc_lo
	s_cbranch_execz .LBB266_2212
.LBB266_2279:
	ds_load_b32 v34, v33 offset:304
	s_waitcnt lgkmcnt(0)
	v_add_f32_e32 v19, v34, v19
	s_or_b32 exec_lo, exec_lo, s0
	s_and_saveexec_b32 s0, vcc_lo
	s_cbranch_execz .LBB266_2213
.LBB266_2280:
	ds_load_b32 v34, v33 offset:320
	s_waitcnt lgkmcnt(0)
	v_add_f32_e32 v20, v34, v20
	s_or_b32 exec_lo, exec_lo, s0
	s_and_saveexec_b32 s0, vcc_lo
	s_cbranch_execz .LBB266_2214
.LBB266_2281:
	ds_load_b32 v34, v33 offset:336
	s_waitcnt lgkmcnt(0)
	v_add_f32_e32 v21, v34, v21
	s_or_b32 exec_lo, exec_lo, s0
	s_and_saveexec_b32 s0, vcc_lo
	s_cbranch_execz .LBB266_2215
.LBB266_2282:
	ds_load_b32 v34, v33 offset:352
	s_waitcnt lgkmcnt(0)
	v_add_f32_e32 v22, v34, v22
	s_or_b32 exec_lo, exec_lo, s0
	s_and_saveexec_b32 s0, vcc_lo
	s_cbranch_execz .LBB266_2216
.LBB266_2283:
	ds_load_b32 v34, v33 offset:368
	s_waitcnt lgkmcnt(0)
	v_add_f32_e32 v23, v34, v23
	s_or_b32 exec_lo, exec_lo, s0
	s_and_saveexec_b32 s0, vcc_lo
	s_cbranch_execz .LBB266_2217
.LBB266_2284:
	ds_load_b32 v34, v33 offset:384
	s_waitcnt lgkmcnt(0)
	v_add_f32_e32 v24, v34, v24
	s_or_b32 exec_lo, exec_lo, s0
	s_and_saveexec_b32 s0, vcc_lo
	s_cbranch_execz .LBB266_2218
.LBB266_2285:
	ds_load_b32 v34, v33 offset:400
	s_waitcnt lgkmcnt(0)
	v_add_f32_e32 v25, v34, v25
	s_or_b32 exec_lo, exec_lo, s0
	s_and_saveexec_b32 s0, vcc_lo
	s_cbranch_execz .LBB266_2219
.LBB266_2286:
	ds_load_b32 v34, v33 offset:416
	s_waitcnt lgkmcnt(0)
	v_add_f32_e32 v27, v34, v27
	s_or_b32 exec_lo, exec_lo, s0
	s_and_saveexec_b32 s0, vcc_lo
	s_cbranch_execz .LBB266_2220
.LBB266_2287:
	ds_load_b32 v34, v33 offset:432
	s_waitcnt lgkmcnt(0)
	v_add_f32_e32 v28, v34, v28
	s_or_b32 exec_lo, exec_lo, s0
	s_and_saveexec_b32 s0, vcc_lo
	s_cbranch_execz .LBB266_2221
.LBB266_2288:
	ds_load_b32 v34, v33 offset:448
	s_waitcnt lgkmcnt(0)
	v_add_f32_e32 v29, v34, v29
	s_or_b32 exec_lo, exec_lo, s0
	s_and_saveexec_b32 s0, vcc_lo
	s_cbranch_execz .LBB266_2222
.LBB266_2289:
	ds_load_b32 v34, v33 offset:464
	s_waitcnt lgkmcnt(0)
	v_add_f32_e32 v30, v34, v30
	s_or_b32 exec_lo, exec_lo, s0
	s_and_saveexec_b32 s0, vcc_lo
	s_cbranch_execz .LBB266_2223
.LBB266_2290:
	ds_load_b32 v34, v33 offset:480
	s_waitcnt lgkmcnt(0)
	v_add_f32_e32 v31, v34, v31
	s_or_b32 exec_lo, exec_lo, s0
	s_and_saveexec_b32 s0, vcc_lo
	s_cbranch_execnz .LBB266_2224
	s_branch .LBB266_2225
.Lfunc_end266:
	.size	_ZN4vllm22paged_attention_kernelIfhLi128ELi32ELi128ELNS_18Fp8KVCacheDataTypeE1ELb1ELi512EEEvPfS2_PT_PKS3_PKT0_S9_ifPKiSB_iPKfiiiSD_SD_iiiii, .Lfunc_end266-_ZN4vllm22paged_attention_kernelIfhLi128ELi32ELi128ELNS_18Fp8KVCacheDataTypeE1ELb1ELi512EEEvPfS2_PT_PKS3_PKT0_S9_ifPKiSB_iPKfiiiSD_SD_iiiii
                                        ; -- End function
	.section	.AMDGPU.csdata,"",@progbits
; Function info:
; codeLenInByte = 79180
; NumSgprs: 35
; NumVgprs: 192
; ScratchSize: 1328
; MemoryBound: 0
	.section	.text._ZN4vllm25paged_attention_v2_kernelIfhLi128ELi32ELi128ELNS_18Fp8KVCacheDataTypeE1ELb1ELi512EEEvPfS2_PT_PKS3_PKT0_S9_ifPKiSB_iPKfiiiSD_SD_iiiii,"axG",@progbits,_ZN4vllm25paged_attention_v2_kernelIfhLi128ELi32ELi128ELNS_18Fp8KVCacheDataTypeE1ELb1ELi512EEEvPfS2_PT_PKS3_PKT0_S9_ifPKiSB_iPKfiiiSD_SD_iiiii,comdat
	.protected	_ZN4vllm25paged_attention_v2_kernelIfhLi128ELi32ELi128ELNS_18Fp8KVCacheDataTypeE1ELb1ELi512EEEvPfS2_PT_PKS3_PKT0_S9_ifPKiSB_iPKfiiiSD_SD_iiiii ; -- Begin function _ZN4vllm25paged_attention_v2_kernelIfhLi128ELi32ELi128ELNS_18Fp8KVCacheDataTypeE1ELb1ELi512EEEvPfS2_PT_PKS3_PKT0_S9_ifPKiSB_iPKfiiiSD_SD_iiiii
	.globl	_ZN4vllm25paged_attention_v2_kernelIfhLi128ELi32ELi128ELNS_18Fp8KVCacheDataTypeE1ELb1ELi512EEEvPfS2_PT_PKS3_PKT0_S9_ifPKiSB_iPKfiiiSD_SD_iiiii
	.p2align	8
	.type	_ZN4vllm25paged_attention_v2_kernelIfhLi128ELi32ELi128ELNS_18Fp8KVCacheDataTypeE1ELb1ELi512EEEvPfS2_PT_PKS3_PKT0_S9_ifPKiSB_iPKfiiiSD_SD_iiiii,@function
_ZN4vllm25paged_attention_v2_kernelIfhLi128ELi32ELi128ELNS_18Fp8KVCacheDataTypeE1ELb1ELi512EEEvPfS2_PT_PKS3_PKT0_S9_ifPKiSB_iPKfiiiSD_SD_iiiii: ; @_ZN4vllm25paged_attention_v2_kernelIfhLi128ELi32ELi128ELNS_18Fp8KVCacheDataTypeE1ELb1ELi512EEEvPfS2_PT_PKS3_PKT0_S9_ifPKiSB_iPKfiiiSD_SD_iiiii
; %bb.0:
	s_mov_b32 s12, s13
	s_clause 0x7
	s_load_b128 s[4:7], s[0:1], 0x78
	s_load_b32 s8, s[0:1], 0x88
	s_load_b256 s[24:31], s[0:1], 0x0
	s_load_b256 s[36:43], s[0:1], 0x20
	s_load_b64 s[2:3], s[0:1], 0x40
	s_load_b64 s[10:11], s[0:1], 0x50
	s_load_b32 s13, s[0:1], 0x48
	s_load_b256 s[16:23], s[0:1], 0x58
	s_mov_b32 s32, 0
	v_mov_b32_e32 v31, v0
	s_waitcnt lgkmcnt(0)
	v_dual_mov_b32 v1, s7 :: v_dual_mov_b32 v2, s8
	v_dual_mov_b32 v0, s24 :: v_dual_mov_b32 v3, s27
	;; [unrolled: 1-line block ×3, first 2 shown]
	v_mov_b32_e32 v6, s30
	scratch_store_b64 off, v[1:2], s32
	v_dual_mov_b32 v1, s25 :: v_dual_mov_b32 v2, s26
	v_dual_mov_b32 v7, s31 :: v_dual_mov_b32 v8, s36
	;; [unrolled: 1-line block ×13, first 2 shown]
	s_add_u32 s8, s0, 0x90
	s_addc_u32 s9, s1, 0
	s_mov_b32 s13, s14
	s_mov_b32 s14, s15
	s_movk_i32 s15, 0x42
	s_getpc_b64 s[0:1]
	s_add_u32 s0, s0, _ZN4vllm22paged_attention_kernelIfhLi128ELi32ELi128ELNS_18Fp8KVCacheDataTypeE1ELb1ELi512EEEvPfS2_PT_PKS3_PKT0_S9_ifPKiSB_iPKfiiiSD_SD_iiiii@rel32@lo+4
	s_addc_u32 s1, s1, _ZN4vllm22paged_attention_kernelIfhLi128ELi32ELi128ELNS_18Fp8KVCacheDataTypeE1ELb1ELi512EEEvPfS2_PT_PKS3_PKT0_S9_ifPKiSB_iPKfiiiSD_SD_iiiii@rel32@hi+12
	s_delay_alu instid0(SALU_CYCLE_1)
	s_swappc_b64 s[30:31], s[0:1]
	s_endpgm
	.section	.rodata,"a",@progbits
	.p2align	6, 0x0
	.amdhsa_kernel _ZN4vllm25paged_attention_v2_kernelIfhLi128ELi32ELi128ELNS_18Fp8KVCacheDataTypeE1ELb1ELi512EEEvPfS2_PT_PKS3_PKT0_S9_ifPKiSB_iPKfiiiSD_SD_iiiii
		.amdhsa_group_segment_fixed_size 544
		.amdhsa_private_segment_fixed_size 1328
		.amdhsa_kernarg_size 400
		.amdhsa_user_sgpr_count 13
		.amdhsa_user_sgpr_dispatch_ptr 0
		.amdhsa_user_sgpr_queue_ptr 0
		.amdhsa_user_sgpr_kernarg_segment_ptr 1
		.amdhsa_user_sgpr_dispatch_id 0
		.amdhsa_user_sgpr_private_segment_size 0
		.amdhsa_wavefront_size32 1
		.amdhsa_uses_dynamic_stack 0
		.amdhsa_enable_private_segment 1
		.amdhsa_system_sgpr_workgroup_id_x 1
		.amdhsa_system_sgpr_workgroup_id_y 1
		.amdhsa_system_sgpr_workgroup_id_z 1
		.amdhsa_system_sgpr_workgroup_info 0
		.amdhsa_system_vgpr_workitem_id 0
		.amdhsa_next_free_vgpr 192
		.amdhsa_next_free_sgpr 44
		.amdhsa_reserve_vcc 1
		.amdhsa_float_round_mode_32 0
		.amdhsa_float_round_mode_16_64 0
		.amdhsa_float_denorm_mode_32 3
		.amdhsa_float_denorm_mode_16_64 3
		.amdhsa_dx10_clamp 1
		.amdhsa_ieee_mode 1
		.amdhsa_fp16_overflow 0
		.amdhsa_workgroup_processor_mode 1
		.amdhsa_memory_ordered 1
		.amdhsa_forward_progress 0
		.amdhsa_shared_vgpr_count 0
		.amdhsa_exception_fp_ieee_invalid_op 0
		.amdhsa_exception_fp_denorm_src 0
		.amdhsa_exception_fp_ieee_div_zero 0
		.amdhsa_exception_fp_ieee_overflow 0
		.amdhsa_exception_fp_ieee_underflow 0
		.amdhsa_exception_fp_ieee_inexact 0
		.amdhsa_exception_int_div_zero 0
	.end_amdhsa_kernel
	.section	.text._ZN4vllm25paged_attention_v2_kernelIfhLi128ELi32ELi128ELNS_18Fp8KVCacheDataTypeE1ELb1ELi512EEEvPfS2_PT_PKS3_PKT0_S9_ifPKiSB_iPKfiiiSD_SD_iiiii,"axG",@progbits,_ZN4vllm25paged_attention_v2_kernelIfhLi128ELi32ELi128ELNS_18Fp8KVCacheDataTypeE1ELb1ELi512EEEvPfS2_PT_PKS3_PKT0_S9_ifPKiSB_iPKfiiiSD_SD_iiiii,comdat
.Lfunc_end267:
	.size	_ZN4vllm25paged_attention_v2_kernelIfhLi128ELi32ELi128ELNS_18Fp8KVCacheDataTypeE1ELb1ELi512EEEvPfS2_PT_PKS3_PKT0_S9_ifPKiSB_iPKfiiiSD_SD_iiiii, .Lfunc_end267-_ZN4vllm25paged_attention_v2_kernelIfhLi128ELi32ELi128ELNS_18Fp8KVCacheDataTypeE1ELb1ELi512EEEvPfS2_PT_PKS3_PKT0_S9_ifPKiSB_iPKfiiiSD_SD_iiiii
                                        ; -- End function
	.section	.AMDGPU.csdata,"",@progbits
; Kernel info:
; codeLenInByte = 280
; NumSgprs: 46
; NumVgprs: 192
; ScratchSize: 1328
; MemoryBound: 0
; FloatMode: 240
; IeeeMode: 1
; LDSByteSize: 544 bytes/workgroup (compile time only)
; SGPRBlocks: 5
; VGPRBlocks: 23
; NumSGPRsForWavesPerEU: 46
; NumVGPRsForWavesPerEU: 192
; Occupancy: 8
; WaveLimiterHint : 1
; COMPUTE_PGM_RSRC2:SCRATCH_EN: 1
; COMPUTE_PGM_RSRC2:USER_SGPR: 13
; COMPUTE_PGM_RSRC2:TRAP_HANDLER: 0
; COMPUTE_PGM_RSRC2:TGID_X_EN: 1
; COMPUTE_PGM_RSRC2:TGID_Y_EN: 1
; COMPUTE_PGM_RSRC2:TGID_Z_EN: 1
; COMPUTE_PGM_RSRC2:TIDIG_COMP_CNT: 0
	.text
	.p2align	2                               ; -- Begin function _ZN4vllm22paged_attention_kernelIfhLi192ELi32ELi128ELNS_18Fp8KVCacheDataTypeE1ELb1ELi512EEEvPfS2_PT_PKS3_PKT0_S9_ifPKiSB_iPKfiiiSD_SD_iiiii
	.type	_ZN4vllm22paged_attention_kernelIfhLi192ELi32ELi128ELNS_18Fp8KVCacheDataTypeE1ELb1ELi512EEEvPfS2_PT_PKS3_PKT0_S9_ifPKiSB_iPKfiiiSD_SD_iiiii,@function
_ZN4vllm22paged_attention_kernelIfhLi192ELi32ELi128ELNS_18Fp8KVCacheDataTypeE1ELb1ELi512EEEvPfS2_PT_PKS3_PKT0_S9_ifPKiSB_iPKfiiiSD_SD_iiiii: ; @_ZN4vllm22paged_attention_kernelIfhLi192ELi32ELi128ELNS_18Fp8KVCacheDataTypeE1ELb1ELi512EEEvPfS2_PT_PKS3_PKT0_S9_ifPKiSB_iPKfiiiSD_SD_iiiii
; %bb.0:
	s_waitcnt vmcnt(0) expcnt(0) lgkmcnt(0)
	s_clause 0x1f
	scratch_store_b32 off, v40, s32 offset:324
	; meta instruction
	scratch_store_b32 off, v41, s32 offset:320
	; meta instruction
	;; [unrolled: 2-line block ×31, first 2 shown]
	scratch_store_b32 off, v95, s32 offset:200
	s_clause 0x1f
	scratch_store_b32 off, v104, s32 offset:196
	; meta instruction
	scratch_store_b32 off, v105, s32 offset:192
	; meta instruction
	;; [unrolled: 2-line block ×31, first 2 shown]
	scratch_store_b32 off, v159, s32 offset:72
	s_clause 0xf
	scratch_store_b32 off, v168, s32 offset:68
	; meta instruction
	scratch_store_b32 off, v169, s32 offset:64
	; meta instruction
	;; [unrolled: 2-line block ×15, first 2 shown]
	scratch_store_b32 off, v191, s32 offset:8
	s_mov_b32 s4, s13
	s_ashr_i32 s5, s13, 31
	s_clause 0xa
	scratch_store_b32 off, v30, s32 offset:2188
	scratch_store_b64 off, v[26:27], s32 offset:1380
	scratch_store_b64 off, v[24:25], s32 offset:1388
	scratch_store_b32 off, v22, s32 offset:1200
	scratch_store_b32 off, v15, s32 offset:2192
	;; [unrolled: 1-line block ×8, first 2 shown]
	s_lshl_b64 s[0:1], s[4:5], 2
	v_mov_b32_e32 v15, v2
	v_add_co_u32 v4, vcc_lo, v16, s0
	v_add_co_ci_u32_e32 v5, vcc_lo, s1, v17, vcc_lo
	s_mov_b32 s10, s15
	s_lshl_b32 s15, s14, 9
	flat_load_b32 v35, v[4:5]
	s_clause 0x1
	scratch_load_b32 v2, off, s32 offset:4
	scratch_load_b32 v22, off, s32
	s_mov_b32 s5, exec_lo
	s_waitcnt vmcnt(2) lgkmcnt(0)
	v_cmpx_lt_i32_e64 s15, v35
	s_cbranch_execz .LBB268_3319
; %bb.1:
	s_clause 0x2
	scratch_store_b32 off, v3, s32 offset:2220
	scratch_store_b32 off, v0, s32 offset:2252
	;; [unrolled: 1-line block ×3, first 2 shown]
	v_sub_nc_u32_e32 v0, 0, v12
	s_clause 0x1
	s_load_b32 s0, s[8:9], 0x10
	s_load_b32 s1, s[8:9], 0x0
	s_delay_alu instid0(VALU_DEP_1) | instskip(NEXT) | instid1(VALU_DEP_1)
	v_max_i32_e32 v0, v12, v0
	v_cvt_f32_u32_e32 v1, v0
	v_sub_nc_u32_e32 v4, 0, v0
	s_delay_alu instid0(VALU_DEP_2) | instskip(SKIP_2) | instid1(SALU_CYCLE_1)
	v_rcp_iflag_f32_e32 v1, v1
	s_waitcnt lgkmcnt(0)
	s_lshr_b32 s0, s0, 16
	s_cmp_lg_u32 s0, 0
	s_waitcnt_depctr 0xfff
	v_mul_f32_e32 v1, 0x4f7ffffe, v1
	s_cselect_b32 s0, -1, 0
	s_delay_alu instid0(SALU_CYCLE_1) | instskip(NEXT) | instid1(VALU_DEP_1)
	s_cmp_lg_u32 s0, 0
	v_cvt_u32_f32_e32 v1, v1
	s_addc_u32 s18, s1, 0
	s_mov_b32 s1, exec_lo
	s_abs_i32 s0, s18
	s_delay_alu instid0(VALU_DEP_1) | instskip(NEXT) | instid1(VALU_DEP_1)
	v_mul_lo_u32 v4, v4, v1
	v_mul_hi_u32 v4, v1, v4
	s_delay_alu instid0(VALU_DEP_1) | instskip(NEXT) | instid1(VALU_DEP_1)
	v_add_nc_u32_e32 v1, v1, v4
	v_mul_hi_u32 v1, s0, v1
	s_delay_alu instid0(VALU_DEP_1) | instskip(SKIP_1) | instid1(VALU_DEP_2)
	v_mul_lo_u32 v4, v1, v0
	v_add_nc_u32_e32 v5, 1, v1
	v_sub_nc_u32_e32 v4, s0, v4
	s_abs_i32 s0, s12
	s_delay_alu instid0(VALU_DEP_1) | instskip(SKIP_1) | instid1(VALU_DEP_2)
	v_sub_nc_u32_e32 v10, v4, v0
	v_cmp_ge_u32_e32 vcc_lo, v4, v0
	v_dual_cndmask_b32 v1, v1, v5 :: v_dual_cndmask_b32 v4, v4, v10
	v_xor_b32_e32 v5, s18, v12
	s_delay_alu instid0(VALU_DEP_2) | instskip(NEXT) | instid1(VALU_DEP_3)
	v_add_nc_u32_e32 v10, 1, v1
	v_cmp_ge_u32_e32 vcc_lo, v4, v0
	s_delay_alu instid0(VALU_DEP_3) | instskip(NEXT) | instid1(VALU_DEP_3)
	v_ashrrev_i32_e32 v5, 31, v5
	v_cndmask_b32_e32 v0, v1, v10, vcc_lo
	s_delay_alu instid0(VALU_DEP_1) | instskip(NEXT) | instid1(VALU_DEP_1)
	v_xor_b32_e32 v0, v0, v5
	v_sub_nc_u32_e32 v5, v0, v5
	s_delay_alu instid0(VALU_DEP_1) | instskip(NEXT) | instid1(VALU_DEP_1)
	v_sub_nc_u32_e32 v0, 0, v5
	v_max_i32_e32 v4, v5, v0
	s_delay_alu instid0(VALU_DEP_1) | instskip(SKIP_1) | instid1(VALU_DEP_2)
	v_cvt_f32_u32_e32 v0, v4
	v_sub_nc_u32_e32 v1, 0, v4
	v_rcp_iflag_f32_e32 v0, v0
	s_waitcnt_depctr 0xfff
	v_mul_f32_e32 v0, 0x4f7ffffe, v0
	s_delay_alu instid0(VALU_DEP_1) | instskip(NEXT) | instid1(VALU_DEP_1)
	v_cvt_u32_f32_e32 v0, v0
	v_mul_lo_u32 v1, v1, v0
	s_delay_alu instid0(VALU_DEP_1) | instskip(NEXT) | instid1(VALU_DEP_1)
	v_mul_hi_u32 v1, v0, v1
	v_add_nc_u32_e32 v10, v0, v1
	s_delay_alu instid0(VALU_DEP_1)
	v_mad_u64_u32 v[0:1], null, s0, v10, 0
	v_mov_b32_e32 v0, 0
	scratch_store_b32 off, v0, s32 offset:1400 ; 4-byte Folded Spill
	v_cmpx_ne_u64_e32 0, v[19:20]
	s_cbranch_execz .LBB268_3
; %bb.2:
	s_ashr_i32 s13, s12, 31
	s_delay_alu instid0(SALU_CYCLE_1) | instskip(NEXT) | instid1(SALU_CYCLE_1)
	s_lshl_b64 s[2:3], s[12:13], 2
	v_add_co_u32 v10, vcc_lo, v19, s2
	v_add_co_ci_u32_e32 v11, vcc_lo, s3, v20, vcc_lo
	flat_load_b32 v0, v[10:11]
	s_waitcnt vmcnt(0) lgkmcnt(0)
	scratch_store_b32 off, v0, s32 offset:1400 ; 4-byte Folded Spill
.LBB268_3:
	s_or_b32 exec_lo, exec_lo, s1
	v_and_b32_e32 v10, 0x3ff, v31
	v_ashrrev_i32_e32 v0, 31, v5
	s_ashr_i32 s1, s12, 31
	s_mul_i32 s6, s12, 0xc0
	s_mov_b32 s2, exec_lo
	scratch_store_b32 off, v10, s32 offset:1376 ; 4-byte Folded Spill
	v_cmpx_gt_u32_e32 48, v10
	s_cbranch_execz .LBB268_5
; %bb.4:
	scratch_load_b32 v5, off, s32 offset:1376 ; 4-byte Folded Reload
	v_mul_lo_u32 v10, s4, v21
	s_ashr_i32 s7, s6, 31
	v_mov_b32_e32 v3, v15
	s_lshl_b64 s[16:17], s[6:7], 2
	s_delay_alu instid0(VALU_DEP_2) | instskip(NEXT) | instid1(VALU_DEP_1)
	v_ashrrev_i32_e32 v11, 31, v10
	v_lshlrev_b64 v[10:11], 2, v[10:11]
	s_waitcnt vmcnt(0)
	v_lshlrev_b32_e32 v17, 4, v5
	s_delay_alu instid0(VALU_DEP_2) | instskip(NEXT) | instid1(VALU_DEP_3)
	v_add_co_u32 v5, vcc_lo, v6, v10
	v_add_co_ci_u32_e32 v6, vcc_lo, v7, v11, vcc_lo
	s_delay_alu instid0(VALU_DEP_2) | instskip(NEXT) | instid1(VALU_DEP_2)
	v_add_co_u32 v5, vcc_lo, v5, s16
	v_add_co_ci_u32_e32 v6, vcc_lo, s17, v6, vcc_lo
	s_delay_alu instid0(VALU_DEP_2) | instskip(NEXT) | instid1(VALU_DEP_2)
	v_add_co_u32 v5, vcc_lo, v5, v17
	v_add_co_ci_u32_e32 v6, vcc_lo, 0, v6, vcc_lo
	flat_load_b128 v[13:16], v[5:6]
	s_waitcnt vmcnt(0) lgkmcnt(0)
	ds_store_b128 v17, v[13:16]
	v_mov_b32_e32 v15, v3
.LBB268_5:
	s_or_b32 exec_lo, exec_lo, s2
	s_waitcnt vmcnt(0)
	v_sub_nc_u32_e32 v5, 0, v22
	v_mul_lo_u32 v6, v1, v4
	v_xor_b32_e32 v14, s1, v0
	s_delay_alu instid0(VALU_DEP_3) | instskip(NEXT) | instid1(VALU_DEP_3)
	v_max_i32_e32 v10, v22, v5
	v_sub_nc_u32_e32 v6, s0, v6
	s_delay_alu instid0(VALU_DEP_2) | instskip(SKIP_1) | instid1(VALU_DEP_2)
	v_cvt_f32_u32_e32 v5, v10
	s_mov_b32 s0, exec_lo
	v_sub_nc_u32_e32 v11, v6, v4
	s_delay_alu instid0(VALU_DEP_2) | instskip(SKIP_3) | instid1(VALU_DEP_1)
	v_rcp_iflag_f32_e32 v5, v5
	v_cmp_ge_u32_e32 vcc_lo, v6, v4
	s_waitcnt_depctr 0xfff
	v_dual_cndmask_b32 v6, v6, v11 :: v_dual_mul_f32 v5, 0x4f7ffffe, v5
	v_cvt_u32_f32_e32 v7, v5
	v_sub_nc_u32_e32 v5, 0, v10
	s_delay_alu instid0(VALU_DEP_1) | instskip(NEXT) | instid1(VALU_DEP_1)
	v_mul_lo_u32 v13, v5, v7
	v_mul_hi_u32 v11, v7, v13
	s_delay_alu instid0(VALU_DEP_1)
	v_add_nc_u32_e32 v7, v7, v11
	scratch_store_b32 off, v10, s32 offset:344 ; 4-byte Folded Spill
	v_add_nc_u32_e32 v10, 1, v1
	scratch_store_b32 off, v7, s32 offset:364 ; 4-byte Folded Spill
	s_waitcnt lgkmcnt(0)
	s_waitcnt_vscnt null, 0x0
	v_cndmask_b32_e32 v1, v1, v10, vcc_lo
	v_cmp_ge_u32_e32 vcc_lo, v6, v4
	s_barrier
	buffer_gl0_inv
	v_add_nc_u32_e32 v10, 1, v1
	s_delay_alu instid0(VALU_DEP_1) | instskip(NEXT) | instid1(VALU_DEP_1)
	v_dual_cndmask_b32 v0, v1, v10 :: v_dual_add_nc_u32 v5, -1, v35
	v_sub_nc_u32_e32 v13, 0, v5
	s_delay_alu instid0(VALU_DEP_2) | instskip(NEXT) | instid1(VALU_DEP_2)
	v_xor_b32_e32 v6, v0, v14
	v_max_i32_e32 v4, v5, v13
	s_delay_alu instid0(VALU_DEP_1) | instskip(NEXT) | instid1(VALU_DEP_3)
	v_mad_u64_u32 v[0:1], null, v4, v7, 0
	v_sub_nc_u32_e32 v0, v6, v14
                                        ; implicit-def: $vgpr6
	scratch_store_b64 off, v[6:7], s32 offset:348 ; 8-byte Folded Spill
	v_cmpx_gt_i32_e32 0, v2
	s_xor_b32 s0, exec_lo, s0
	s_cbranch_execz .LBB268_7
; %bb.6:
	v_mad_u64_u32 v[6:7], null, v28, v12, v[0:1]
                                        ; implicit-def: $vgpr28
	s_delay_alu instid0(VALU_DEP_1) | instskip(NEXT) | instid1(VALU_DEP_1)
	v_mul_lo_u32 v2, v6, v2
	v_sub_nc_u32_e32 v2, 1, v2
	scratch_store_b64 off, v[2:3], s32 offset:348 ; 8-byte Folded Spill
                                        ; implicit-def: $vgpr2
.LBB268_7:
	s_or_saveexec_b32 s0, s0
	v_ashrrev_i32_e32 v5, 31, v5
	v_ashrrev_i32_e32 v3, 31, v22
	scratch_store_b32 off, v3, s32 offset:356 ; 4-byte Folded Spill
	s_xor_b32 exec_lo, exec_lo, s0
	s_cbranch_execz .LBB268_9
; %bb.8:
	v_mad_u64_u32 v[6:7], null, s18, v28, s[12:13]
	s_delay_alu instid0(VALU_DEP_1)
	v_mad_u64_u32 v[10:11], null, v6, v2, 1
	scratch_store_b64 off, v[10:11], s32 offset:348 ; 8-byte Folded Spill
.LBB268_9:
	s_or_b32 exec_lo, exec_lo, s0
	scratch_load_b32 v13, off, s32 offset:344 ; 4-byte Folded Reload
	s_clause 0x1
	s_load_b32 s19, s[8:9], 0x14
	s_load_b32 s7, s[8:9], 0x8
	s_clause 0x1
	scratch_load_b32 v7, off, s32 offset:356
	scratch_load_b32 v11, off, s32 offset:1376
	v_dual_mov_b32 v183, 0xff7fffff :: v_dual_add_nc_u32 v6, 1, v1
	s_lshl_b32 s13, s14, 4
	s_delay_alu instid0(SALU_CYCLE_1)
	s_add_i32 s0, s13, 16
	s_waitcnt vmcnt(2)
	v_mul_lo_u32 v2, v1, v13
	s_waitcnt vmcnt(1)
	v_xor_b32_e32 v5, v5, v7
	s_waitcnt vmcnt(0)
	v_lshrrev_b32_e32 v12, 5, v11
	s_delay_alu instid0(VALU_DEP_3) | instskip(SKIP_1) | instid1(VALU_DEP_2)
	v_sub_nc_u32_e32 v4, v4, v2
	v_mul_lo_u32 v2, s4, v18
	v_sub_nc_u32_e32 v10, v4, v13
	v_cmp_ge_u32_e32 vcc_lo, v4, v13
	s_delay_alu instid0(VALU_DEP_2) | instskip(NEXT) | instid1(VALU_DEP_1)
	v_dual_cndmask_b32 v4, v4, v10 :: v_dual_add_nc_u32 v3, 31, v35
	v_ashrrev_i32_e32 v7, 31, v3
	v_dual_cndmask_b32 v1, v1, v6 :: v_dual_and_b32 v10, 31, v11
	s_delay_alu instid0(VALU_DEP_3) | instskip(NEXT) | instid1(VALU_DEP_3)
	v_cmp_ge_u32_e32 vcc_lo, v4, v13
	v_lshrrev_b32_e32 v6, 27, v7
	s_delay_alu instid0(VALU_DEP_3) | instskip(SKIP_1) | instid1(VALU_DEP_3)
	v_add_nc_u32_e32 v7, 1, v1
	v_add_nc_u32_e32 v4, s13, v12
	;; [unrolled: 1-line block ×3, first 2 shown]
	v_mul_lo_u32 v6, v0, v23
	scratch_load_b32 v0, off, s32 offset:2188 ; 4-byte Folded Reload
	v_cndmask_b32_e32 v1, v1, v7, vcc_lo
	scratch_store_b32 off, v12, s32 offset:2184 ; 4-byte Folded Spill
	v_ashrrev_i32_e32 v7, 5, v3
	v_ashrrev_i32_e32 v3, 31, v2
	s_clause 0x1
	scratch_store_b32 off, v6, s32 offset:2232
	scratch_store_b32 off, v7, s32 offset:2256
	v_lshlrev_b64 v[2:3], 2, v[2:3]
	s_waitcnt vmcnt(0)
	v_sub_nc_u32_e32 v0, 0, v0
	scratch_store_b32 off, v0, s32 offset:2236 ; 4-byte Folded Spill
	v_xor_b32_e32 v0, v1, v5
	v_lshl_add_u32 v1, v12, 5, s15
	s_delay_alu instid0(VALU_DEP_2)
	v_sub_nc_u32_e32 v0, v0, v5
	v_ashrrev_i32_e32 v5, 31, v6
	scratch_store_b32 off, v1, s32 offset:2244 ; 4-byte Folded Spill
	v_min_i32_e32 v1, s0, v7
	v_sub_nc_u32_e32 v0, v0, v29
	scratch_store_b32 off, v5, s32 offset:2240 ; 4-byte Folded Spill
	v_ashrrev_i32_e32 v5, 31, v4
	s_clause 0x2
	scratch_store_b64 off, v[2:3], s32 offset:2224
	scratch_store_b64 off, v[4:5], s32 offset:328
	scratch_store_b32 off, v1, s32 offset:360
	v_cmp_lt_i32_e64 s0, v4, v1
	s_clause 0x1
	scratch_store_b32 off, v0, s32 offset:368
	scratch_store_b32 off, v10, s32 offset:1372
	v_lshlrev_b32_e32 v0, 2, v10
	scratch_store_b32 off, v0, s32 offset:2208 ; 4-byte Folded Spill
	s_and_saveexec_b32 s20, s0
	s_cbranch_execz .LBB268_1553
; %bb.10:
	scratch_store_b32 off, v15, s32 offset:2260 ; 4-byte Folded Spill
	s_clause 0x1
	scratch_load_b32 v0, off, s32 offset:2188
	scratch_load_b32 v1, off, s32 offset:2236
	s_ashr_i32 s11, s10, 31
	s_getpc_b64 s[2:3]
	s_add_u32 s2, s2, llvm.amdgcn.dynlds.offset.table@rel32@lo+4
	s_addc_u32 s3, s3, llvm.amdgcn.dynlds.offset.table@rel32@hi+12
	s_lshl_b64 s[16:17], s[10:11], 2
	s_mov_b32 s8, 0
	s_add_u32 s16, s16, s2
	s_addc_u32 s17, s17, s3
	s_brev_b32 s9, 1
	s_load_b32 s11, s[16:17], 0x0
	s_mov_b32 s3, 0x7f800001
	s_mov_b32 s21, s8
	v_mov_b32_e32 v183, 0xff7fffff
	s_waitcnt vmcnt(0)
	v_max_i32_e32 v5, v0, v1
	s_clause 0x2
	scratch_load_b32 v0, off, s32 offset:2232
	scratch_load_b32 v1, off, s32 offset:2240
	;; [unrolled: 1-line block ×3, first 2 shown]
	v_cvt_f32_u32_e32 v2, v5
	s_delay_alu instid0(VALU_DEP_1)
	v_rcp_iflag_f32_e32 v2, v2
	s_waitcnt vmcnt(2)
	v_add_co_u32 v0, vcc_lo, v8, v0
	s_waitcnt vmcnt(0)
	v_lshlrev_b32_e32 v3, 4, v4
	v_add_co_ci_u32_e32 v1, vcc_lo, v9, v1, vcc_lo
	s_delay_alu instid0(VALU_DEP_2) | instskip(NEXT) | instid1(VALU_DEP_2)
	v_add_co_u32 v0, vcc_lo, v0, v3
	v_add_co_ci_u32_e32 v1, vcc_lo, 0, v1, vcc_lo
	scratch_store_b64 off, v[0:1], s32 offset:1404 ; 8-byte Folded Spill
	v_mul_f32_e32 v0, 0x4f7ffffe, v2
	s_delay_alu instid0(VALU_DEP_1) | instskip(SKIP_1) | instid1(VALU_DEP_1)
	v_cvt_u32_f32_e32 v2, v0
	v_sub_nc_u32_e32 v0, 0, v5
	v_mul_lo_u32 v0, v0, v2
	s_delay_alu instid0(VALU_DEP_1) | instskip(NEXT) | instid1(VALU_DEP_1)
	v_mul_hi_u32 v3, v2, v0
	v_dual_mov_b32 v15, 0 :: v_dual_add_nc_u32 v2, v2, v3
	ds_load_b128 v[6:9], v15
	s_clause 0x1
	scratch_store_b32 off, v5, s32 offset:1204
	scratch_store_b32 off, v2, s32 offset:1208
	scratch_load_b64 v[2:3], off, s32 offset:2224 ; 8-byte Folded Reload
	s_waitcnt lgkmcnt(0)
	scratch_store_b128 off, v[6:9], s32 offset:1412 ; 16-byte Folded Spill
	ds_load_b128 v[6:9], v15 offset:16
	s_waitcnt lgkmcnt(0)
	scratch_store_b128 off, v[6:9], s32 offset:1428 ; 16-byte Folded Spill
	ds_load_b128 v[6:9], v15 offset:32
	;; [unrolled: 3-line block ×21, first 2 shown]
	s_waitcnt lgkmcnt(0)
	scratch_store_b128 off, v[5:8], s32 offset:1748 ; 16-byte Folded Spill
	scratch_load_b64 v[5:6], off, s32 offset:328 ; 8-byte Folded Reload
	s_waitcnt vmcnt(0)
	v_lshlrev_b64 v[0:1], 2, v[5:6]
	scratch_load_b32 v6, off, s32 offset:1400 ; 4-byte Folded Reload
	v_add_co_u32 v0, s1, v2, v0
	s_delay_alu instid0(VALU_DEP_1)
	v_add_co_ci_u32_e64 v1, s1, v3, v1, s1
	scratch_load_b32 v3, off, s32 offset:2196 ; 4-byte Folded Reload
	v_sub_nc_u32_e32 v2, v4, v35
	s_waitcnt vmcnt(0)
	v_add_co_u32 v3, s1, v3, v0
	scratch_load_b32 v0, off, s32 offset:2192 ; 4-byte Folded Reload
	s_waitcnt vmcnt(0)
	v_add_co_ci_u32_e64 v4, s1, v0, v1, s1
	s_clause 0x1
	scratch_load_b32 v0, off, s32 offset:2184
	scratch_load_b32 v1, off, s32 offset:2208
	v_cmp_neq_f32_e32 vcc_lo, 0, v6
	s_waitcnt vmcnt(1)
	v_lshl_add_u32 v26, v0, 5, s15
	s_waitcnt vmcnt(0)
	v_lshl_or_b32 v29, v0, 7, v1
	v_add_nc_u32_e32 v0, 1, v2
	scratch_store_b64 off, v[3:4], s32 offset:336 ; 8-byte Folded Spill
	v_mov_b32_e32 v2, v5
	ds_load_b128 v[3:6], v15 offset:352
	scratch_store_b32 off, v0, s32 offset:1764 ; 4-byte Folded Spill
	s_waitcnt lgkmcnt(0)
	scratch_store_b128 off, v[3:6], s32 offset:1768 ; 16-byte Folded Spill
	ds_load_b128 v[3:6], v15 offset:368
	s_waitcnt lgkmcnt(0)
	scratch_store_b128 off, v[3:6], s32 offset:1784 ; 16-byte Folded Spill
	ds_load_b128 v[3:6], v15 offset:384
	;; [unrolled: 3-line block ×25, first 2 shown]
	s_waitcnt lgkmcnt(0)
	scratch_store_b128 off, v[3:6], s32 offset:2168 ; 16-byte Folded Spill
	s_branch .LBB268_16
.LBB268_11:                             ;   in Loop: Header=BB268_16 Depth=1
	s_or_b32 exec_lo, exec_lo, s25
	v_lshlrev_b32_e32 v0, 24, v0
	s_delay_alu instid0(VALU_DEP_2) | instskip(SKIP_1) | instid1(VALU_DEP_3)
	v_lshlrev_b32_e32 v6, 20, v6
	v_lshl_add_u32 v1, v1, 23, 0x3c000000
	v_and_b32_e32 v0, 0x80000000, v0
	s_delay_alu instid0(VALU_DEP_1)
	v_or3_b32 v7, v6, v0, v1
	v_mov_b32_e32 v6, v15
.LBB268_12:                             ;   in Loop: Header=BB268_16 Depth=1
	s_or_b32 exec_lo, exec_lo, s2
.LBB268_13:                             ;   in Loop: Header=BB268_16 Depth=1
	s_delay_alu instid0(SALU_CYCLE_1)
	s_or_b32 exec_lo, exec_lo, s24
.LBB268_14:                             ;   in Loop: Header=BB268_16 Depth=1
	s_delay_alu instid0(SALU_CYCLE_1)
	s_or_b32 exec_lo, exec_lo, s23
	v_or_b32_e32 v0, v189, v161
	v_or_b32_e32 v161, v62, v22
	;; [unrolled: 1-line block ×5, first 2 shown]
	scratch_store_b32 off, v0, s32 offset:1216 ; 4-byte Folded Spill
	v_or_b32_e32 v0, v188, v160
	v_or_b32_e32 v160, v58, v20
	;; [unrolled: 1-line block ×5, first 2 shown]
	scratch_store_b32 off, v0, s32 offset:1224 ; 4-byte Folded Spill
	v_or_b32_e32 v0, v33, v39
	v_or_b32_e32 v33, v124, v66
	;; [unrolled: 1-line block ×3, first 2 shown]
	v_mul_f32_e32 v7, v44, v20
	v_or_b32_e32 v6, v6, v176
	scratch_store_b32 off, v0, s32 offset:1212 ; 4-byte Folded Spill
	v_or_b32_e32 v0, v32, v38
	v_or_b32_e32 v38, v125, v67
	;; [unrolled: 1-line block ×4, first 2 shown]
	scratch_store_b32 off, v0, s32 offset:1220 ; 4-byte Folded Spill
	v_or_b32_e32 v0, v169, v129
	scratch_store_b32 off, v0, s32 offset:1232 ; 4-byte Folded Spill
	v_or_b32_e32 v0, v168, v128
	v_or_b32_e32 v128, v47, v101
	scratch_store_b32 off, v0, s32 offset:1240 ; 4-byte Folded Spill
	v_or_b32_e32 v0, v173, v145
	;; [unrolled: 3-line block ×6, first 2 shown]
	scratch_store_b32 off, v0, s32 offset:1244 ; 4-byte Folded Spill
	v_or_b32_e32 v0, v156, v112
	v_or_b32_e32 v112, v46, v100
	scratch_store_b32 off, v0, s32 offset:1252 ; 4-byte Folded Spill
	v_or_b32_e32 v0, v65, v127
	v_or_b32_e32 v65, v162, v16
	v_or_b32_e32 v162, v118, v70
	scratch_store_b32 off, v0, s32 offset:1264 ; 4-byte Folded Spill
	v_or_b32_e32 v0, v64, v126
	v_or_b32_e32 v64, v28, v171
	v_or_b32_e32 v28, v119, v71
	scratch_store_b32 off, v0, s32 offset:1272 ; 4-byte Folded Spill
	v_or_b32_e32 v0, v81, v139
	scratch_store_b32 off, v0, s32 offset:1260 ; 4-byte Folded Spill
	v_or_b32_e32 v0, v80, v138
	v_or_b32_e32 v80, v186, v40
	scratch_store_b32 off, v0, s32 offset:1268 ; 4-byte Folded Spill
	v_or_b32_e32 v0, v107, v49
	v_or_b32_e32 v49, v155, v25
	;; [unrolled: 3-line block ×3, first 2 shown]
	scratch_store_b32 off, v0, s32 offset:1288 ; 4-byte Folded Spill
	v_or_b32_e32 v0, v111, v123
	scratch_store_b32 off, v0, s32 offset:1276 ; 4-byte Folded Spill
	v_or_b32_e32 v0, v110, v122
	;; [unrolled: 2-line block ×5, first 2 shown]
	v_or_b32_e32 v19, v108, v116
	scratch_store_b32 off, v0, s32 offset:1292 ; 4-byte Folded Spill
	v_or_b32_e32 v0, v94, v18
	scratch_store_b32 off, v0, s32 offset:1300 ; 4-byte Folded Spill
	;; [unrolled: 2-line block ×6, first 2 shown]
	v_or_b32_e32 v0, v59, v21
	v_or_b32_e32 v21, v135, v87
	scratch_store_b32 off, v0, s32 offset:1328 ; 4-byte Folded Spill
	v_or_b32_e32 v0, v63, v23
	scratch_store_b32 off, v0, s32 offset:1324 ; 4-byte Folded Spill
	v_or_b32_e32 v0, v191, v73
	scratch_store_b32 off, v0, s32 offset:1332 ; 4-byte Folded Spill
	v_or_b32_e32 v0, v163, v17
	v_or_b32_e32 v163, v121, v69
	scratch_store_b32 off, v0, s32 offset:1336 ; 4-byte Folded Spill
	v_or_b32_e32 v0, v27, v170
	v_or_b32_e32 v27, v55, v83
	scratch_store_b32 off, v0, s32 offset:1348 ; 4-byte Folded Spill
	;; [unrolled: 3-line block ×5, first 2 shown]
	v_or_b32_e32 v0, v159, v51
	scratch_store_b32 off, v0, s32 offset:1352 ; 4-byte Folded Spill
	v_or_b32_e32 v0, v137, v53
	scratch_store_b32 off, v0, s32 offset:1364 ; 4-byte Folded Spill
	;; [unrolled: 2-line block ×4, first 2 shown]
	scratch_load_b64 v[0:1], off, s32 offset:1184 ; 8-byte Folded Reload
	s_waitcnt vmcnt(0)
	v_or_b32_e32 v129, v93, v1
	v_or_b32_e32 v113, v92, v0
	scratch_load_b64 v[0:1], off, s32 offset:1192 ; 8-byte Folded Reload
	s_waitcnt vmcnt(0)
	v_or_b32_e32 v18, v105, v1
	v_or_b32_e32 v14, v104, v0
	;; [unrolled: 4-line block ×10, first 2 shown]
	s_clause 0x1
	scratch_load_b64 v[0:1], off, s32 offset:1088
	scratch_load_b64 v[4:5], off, s32 offset:1096
	s_waitcnt vmcnt(0)
	v_or_b32_e32 v133, v1, v5
	v_or_b32_e32 v181, v0, v4
	s_clause 0x1
	scratch_load_b64 v[0:1], off, s32 offset:1104
	scratch_load_b64 v[4:5], off, s32 offset:1112
	s_waitcnt vmcnt(0)
	v_or_b32_e32 v132, v1, v5
	v_or_b32_e32 v148, v0, v4
	;; [unrolled: 6-line block ×45, first 2 shown]
	s_clause 0x1
	scratch_load_b64 v[0:1], off, s32 offset:400
	scratch_load_b64 v[16:17], off, s32 offset:408
	s_load_b32 s2, s[16:17], 0x0
	s_waitcnt vmcnt(0)
	v_or_b32_e32 v4, v1, v17
	v_or_b32_e32 v23, v0, v16
	scratch_load_b64 v[0:1], off, s32 offset:376 ; 8-byte Folded Reload
	v_or_b32_e32 v16, v131, v3
	v_or_b32_e32 v17, v151, v103
	s_waitcnt vmcnt(0)
	v_or_b32_e32 v34, v61, v1
	v_or_b32_e32 v22, v60, v0
	v_dual_mov_b32 v0, v166 :: v_dual_mov_b32 v1, v167
	s_delay_alu instid0(VALU_DEP_1) | instskip(NEXT) | instid1(VALU_DEP_2)
	v_or_b32_e32 v167, v0, v10
	v_or_b32_e32 v166, v1, v11
	s_clause 0x1
	scratch_load_b128 v[8:11], off, s32 offset:1428
	scratch_load_b128 v[0:3], off, s32 offset:1412
	v_mul_f32_e32 v17, v44, v17
	s_waitcnt vmcnt(1)
	s_delay_alu instid0(VALU_DEP_1) | instskip(SKIP_2) | instid1(VALU_DEP_1)
	v_dual_mul_f32 v20, v44, v167 :: v_dual_mul_f32 v17, v9, v17
	v_mul_f32_e32 v7, v8, v7
	s_waitcnt vmcnt(0)
	v_fmac_f32_e32 v7, v0, v20
	v_mul_f32_e32 v20, v44, v166
	s_delay_alu instid0(VALU_DEP_1) | instskip(SKIP_3) | instid1(VALU_DEP_4)
	v_dual_fmac_f32 v17, v1, v20 :: v_dual_mul_f32 v20, v44, v146
	v_mul_f32_e32 v1, v44, v16
	v_mul_f32_e32 v0, v44, v26
	v_mov_b32_e32 v26, v179
	v_mul_f32_e32 v20, v10, v20
	s_delay_alu instid0(VALU_DEP_1) | instskip(SKIP_1) | instid1(VALU_DEP_1)
	v_fmac_f32_e32 v20, v2, v0
	v_mul_f32_e32 v0, v44, v21
	v_mul_f32_e32 v21, v11, v0
	scratch_load_b128 v[8:11], off, s32 offset:1444 ; 16-byte Folded Reload
	v_dual_mul_f32 v0, v44, v162 :: v_dual_fmac_f32 v21, v3, v1
	s_waitcnt vmcnt(0)
	s_delay_alu instid0(VALU_DEP_1) | instskip(SKIP_1) | instid1(VALU_DEP_1)
	v_fmac_f32_e32 v7, v8, v0
	v_mul_f32_e32 v0, v44, v28
	v_dual_fmac_f32 v17, v9, v0 :: v_dual_mul_f32 v0, v44, v182
	s_delay_alu instid0(VALU_DEP_1) | instskip(SKIP_1) | instid1(VALU_DEP_1)
	v_fmac_f32_e32 v20, v10, v0
	v_mul_f32_e32 v0, v44, v178
	v_fmac_f32_e32 v21, v11, v0
	scratch_load_b128 v[8:11], off, s32 offset:1460 ; 16-byte Folded Reload
	v_mul_f32_e32 v0, v44, v24
	s_waitcnt vmcnt(0)
	s_delay_alu instid0(VALU_DEP_1) | instskip(SKIP_1) | instid1(VALU_DEP_1)
	v_fmac_f32_e32 v7, v8, v0
	v_mul_f32_e32 v0, v44, v27
	v_dual_fmac_f32 v17, v9, v0 :: v_dual_mul_f32 v0, v44, v22
	s_delay_alu instid0(VALU_DEP_1) | instskip(SKIP_1) | instid1(VALU_DEP_1)
	v_fmac_f32_e32 v20, v10, v0
	v_mul_f32_e32 v0, v44, v34
	v_dual_fmac_f32 v21, v11, v0 :: v_dual_mul_f32 v0, v44, v191
	scratch_load_b128 v[8:11], off, s32 offset:1476 ; 16-byte Folded Reload
	s_waitcnt vmcnt(0)
	v_fmac_f32_e32 v7, v8, v0
	v_mul_f32_e32 v0, v44, v190
	s_delay_alu instid0(VALU_DEP_1) | instskip(NEXT) | instid1(VALU_DEP_1)
	v_dual_fmac_f32 v17, v9, v0 :: v_dual_mul_f32 v0, v44, v23
	v_fmac_f32_e32 v20, v10, v0
	v_mul_f32_e32 v0, v44, v4
	scratch_load_b128 v[1:4], off, s32 offset:1492 ; 16-byte Folded Reload
	v_dual_fmac_f32 v21, v11, v0 :: v_dual_mul_f32 v0, v44, v187
	scratch_load_b128 v[8:11], off, s32 offset:2168 ; 16-byte Folded Reload
	s_waitcnt vmcnt(1)
	v_dual_fmac_f32 v7, v1, v0 :: v_dual_mul_f32 v0, v44, v186
	s_delay_alu instid0(VALU_DEP_1) | instskip(NEXT) | instid1(VALU_DEP_1)
	v_dual_fmac_f32 v17, v2, v0 :: v_dual_mul_f32 v0, v44, v189
	v_fmac_f32_e32 v20, v3, v0
	v_mul_f32_e32 v0, v44, v188
	s_delay_alu instid0(VALU_DEP_1) | instskip(SKIP_3) | instid1(VALU_DEP_1)
	v_fmac_f32_e32 v21, v4, v0
	scratch_load_b128 v[1:4], off, s32 offset:1508 ; 16-byte Folded Reload
	v_mul_f32_e32 v0, v44, v173
	s_waitcnt vmcnt(0)
	v_fmac_f32_e32 v7, v1, v0
	v_mul_f32_e32 v0, v44, v172
	s_delay_alu instid0(VALU_DEP_1) | instskip(NEXT) | instid1(VALU_DEP_1)
	v_dual_fmac_f32 v17, v2, v0 :: v_dual_mul_f32 v0, v44, v175
	v_fmac_f32_e32 v20, v3, v0
	v_mul_f32_e32 v0, v44, v174
	s_delay_alu instid0(VALU_DEP_1) | instskip(SKIP_3) | instid1(VALU_DEP_1)
	v_fmac_f32_e32 v21, v4, v0
	scratch_load_b128 v[1:4], off, s32 offset:1524 ; 16-byte Folded Reload
	v_mul_f32_e32 v0, v44, v169
	s_waitcnt vmcnt(0)
	v_fmac_f32_e32 v7, v1, v0
	v_mul_f32_e32 v0, v44, v168
	;; [unrolled: 11-line block ×12, first 2 shown]
	s_delay_alu instid0(VALU_DEP_1) | instskip(NEXT) | instid1(VALU_DEP_1)
	v_dual_fmac_f32 v17, v2, v0 :: v_dual_mul_f32 v0, v44, v91
	v_fmac_f32_e32 v20, v3, v0
	v_mul_f32_e32 v0, v44, v90
	s_delay_alu instid0(VALU_DEP_1) | instskip(SKIP_3) | instid1(VALU_DEP_1)
	v_fmac_f32_e32 v21, v4, v0
	scratch_load_b128 v[1:4], off, s32 offset:1700 ; 16-byte Folded Reload
	v_mul_f32_e32 v0, v44, v78
	s_waitcnt vmcnt(0)
	v_dual_fmac_f32 v7, v1, v0 :: v_dual_mul_f32 v0, v44, v77
	s_delay_alu instid0(VALU_DEP_1) | instskip(NEXT) | instid1(VALU_DEP_1)
	v_dual_fmac_f32 v17, v2, v0 :: v_dual_mul_f32 v0, v44, v79
	v_fmac_f32_e32 v20, v3, v0
	v_mul_f32_e32 v0, v44, v76
	s_delay_alu instid0(VALU_DEP_1) | instskip(SKIP_3) | instid1(VALU_DEP_1)
	v_fmac_f32_e32 v21, v4, v0
	scratch_load_b128 v[1:4], off, s32 offset:1716 ; 16-byte Folded Reload
	v_mul_f32_e32 v0, v44, v75
	s_waitcnt vmcnt(0)
	v_dual_fmac_f32 v7, v1, v0 :: v_dual_mul_f32 v0, v44, v73
	;; [unrolled: 10-line block ×6, first 2 shown]
	s_delay_alu instid0(VALU_DEP_1) | instskip(SKIP_1) | instid1(VALU_DEP_1)
	v_fmac_f32_e32 v17, v2, v0
	v_mul_f32_e32 v0, v44, v52
	v_fmac_f32_e32 v20, v3, v0
	v_mul_f32_e32 v0, v44, v53
	s_delay_alu instid0(VALU_DEP_1) | instskip(SKIP_3) | instid1(VALU_DEP_1)
	v_fmac_f32_e32 v21, v4, v0
	scratch_load_b128 v[1:4], off, s32 offset:1800 ; 16-byte Folded Reload
	v_mul_f32_e32 v0, v44, v117
	s_waitcnt vmcnt(0)
	v_dual_fmac_f32 v7, v1, v0 :: v_dual_mul_f32 v0, v44, v69
	s_delay_alu instid0(VALU_DEP_1) | instskip(SKIP_1) | instid1(VALU_DEP_1)
	v_fmac_f32_e32 v17, v2, v0
	v_mul_f32_e32 v0, v44, v84
	v_fmac_f32_e32 v20, v3, v0
	v_mul_f32_e32 v0, v44, v68
	s_delay_alu instid0(VALU_DEP_1) | instskip(SKIP_4) | instid1(VALU_DEP_1)
	v_fmac_f32_e32 v21, v4, v0
	v_mul_f32_e32 v0, v44, v149
	scratch_load_b128 v[1:4], off, s32 offset:1816 ; 16-byte Folded Reload
	s_waitcnt vmcnt(0)
	v_dual_fmac_f32 v7, v1, v0 :: v_dual_mul_f32 v0, v44, v101
	v_fmac_f32_e32 v17, v2, v0
	v_mul_f32_e32 v0, v44, v116
	s_delay_alu instid0(VALU_DEP_1) | instskip(SKIP_1) | instid1(VALU_DEP_1)
	v_fmac_f32_e32 v20, v3, v0
	v_mul_f32_e32 v0, v44, v100
	v_fmac_f32_e32 v21, v4, v0
	v_mul_f32_e32 v0, v44, v181
	scratch_load_b128 v[1:4], off, s32 offset:1832 ; 16-byte Folded Reload
	s_waitcnt vmcnt(0)
	v_dual_fmac_f32 v7, v1, v0 :: v_dual_mul_f32 v0, v44, v133
	s_delay_alu instid0(VALU_DEP_1) | instskip(SKIP_1) | instid1(VALU_DEP_1)
	v_fmac_f32_e32 v17, v2, v0
	v_mul_f32_e32 v0, v44, v148
	v_fmac_f32_e32 v20, v3, v0
	v_mul_f32_e32 v0, v44, v132
	s_delay_alu instid0(VALU_DEP_1) | instskip(SKIP_4) | instid1(VALU_DEP_1)
	v_fmac_f32_e32 v21, v4, v0
	v_mul_f32_e32 v0, v44, v41
	scratch_load_b128 v[1:4], off, s32 offset:1848 ; 16-byte Folded Reload
	s_waitcnt vmcnt(0)
	v_dual_fmac_f32 v7, v1, v0 :: v_dual_mul_f32 v0, v44, v165
	v_fmac_f32_e32 v17, v2, v0
	v_mul_f32_e32 v0, v44, v180
	s_delay_alu instid0(VALU_DEP_1) | instskip(SKIP_1) | instid1(VALU_DEP_1)
	v_fmac_f32_e32 v20, v3, v0
	v_mul_f32_e32 v0, v44, v164
	v_fmac_f32_e32 v21, v4, v0
	scratch_load_b128 v[1:4], off, s32 offset:1864 ; 16-byte Folded Reload
	v_mul_f32_e32 v0, v44, v40
	s_waitcnt vmcnt(0)
	s_delay_alu instid0(VALU_DEP_1) | instskip(NEXT) | instid1(VALU_DEP_1)
	v_dual_fmac_f32 v7, v1, v0 :: v_dual_mul_f32 v0, v44, v50
	v_dual_fmac_f32 v17, v2, v0 :: v_dual_mul_f32 v0, v44, v51
	s_delay_alu instid0(VALU_DEP_1) | instskip(SKIP_1) | instid1(VALU_DEP_1)
	v_fmac_f32_e32 v20, v3, v0
	v_mul_f32_e32 v0, v44, v37
	v_fmac_f32_e32 v21, v4, v0
	scratch_load_b128 v[1:4], off, s32 offset:1880 ; 16-byte Folded Reload
	v_mul_f32_e32 v0, v44, v67
	s_waitcnt vmcnt(0)
	s_delay_alu instid0(VALU_DEP_1) | instskip(NEXT) | instid1(VALU_DEP_1)
	v_dual_fmac_f32 v7, v1, v0 :: v_dual_mul_f32 v0, v44, v31
	v_fmac_f32_e32 v17, v2, v0
	v_mul_f32_e32 v0, v44, v36
	s_delay_alu instid0(VALU_DEP_1) | instskip(SKIP_1) | instid1(VALU_DEP_1)
	v_fmac_f32_e32 v20, v3, v0
	v_mul_f32_e32 v0, v44, v30
	v_fmac_f32_e32 v21, v4, v0
	scratch_load_b128 v[1:4], off, s32 offset:1896 ; 16-byte Folded Reload
	v_mul_f32_e32 v0, v44, v12
	s_waitcnt vmcnt(0)
	s_delay_alu instid0(VALU_DEP_1) | instskip(NEXT) | instid1(VALU_DEP_1)
	v_dual_fmac_f32 v7, v1, v0 :: v_dual_mul_f32 v0, v44, v81
	v_dual_fmac_f32 v17, v2, v0 :: v_dual_mul_f32 v0, v44, v66
	s_delay_alu instid0(VALU_DEP_1) | instskip(SKIP_1) | instid1(VALU_DEP_1)
	v_fmac_f32_e32 v20, v3, v0
	v_mul_f32_e32 v0, v44, v13
	v_fmac_f32_e32 v21, v4, v0
	scratch_load_b128 v[1:4], off, s32 offset:1912 ; 16-byte Folded Reload
	v_mul_f32_e32 v0, v44, v113
	s_waitcnt vmcnt(0)
	s_delay_alu instid0(VALU_DEP_1) | instskip(NEXT) | instid1(VALU_DEP_1)
	v_dual_fmac_f32 v7, v1, v0 :: v_dual_mul_f32 v0, v44, v129
	v_dual_fmac_f32 v17, v2, v0 :: v_dual_mul_f32 v0, v44, v14
	;; [unrolled: 10-line block ×4, first 2 shown]
	s_delay_alu instid0(VALU_DEP_1) | instskip(SKIP_1) | instid1(VALU_DEP_1)
	v_fmac_f32_e32 v20, v3, v0
	v_mul_f32_e32 v0, v44, v38
	v_fmac_f32_e32 v21, v4, v0
	s_clause 0x1
	scratch_load_b32 v0, off, s32 offset:1368
	scratch_load_b128 v[1:4], off, s32 offset:1960
	s_waitcnt vmcnt(1)
	v_mul_f32_e32 v0, v44, v0
	s_waitcnt vmcnt(0)
	s_delay_alu instid0(VALU_DEP_1) | instskip(SKIP_3) | instid1(VALU_DEP_1)
	v_fmac_f32_e32 v7, v1, v0
	scratch_load_b32 v0, off, s32 offset:1364 ; 4-byte Folded Reload
	s_waitcnt vmcnt(0)
	v_mul_f32_e32 v0, v44, v0
	v_dual_fmac_f32 v17, v2, v0 :: v_dual_mul_f32 v0, v44, v39
	s_delay_alu instid0(VALU_DEP_1) | instskip(SKIP_3) | instid1(VALU_DEP_1)
	v_fmac_f32_e32 v20, v3, v0
	scratch_load_b32 v0, off, s32 offset:1360 ; 4-byte Folded Reload
	s_waitcnt vmcnt(0)
	v_mul_f32_e32 v0, v44, v0
	v_fmac_f32_e32 v21, v4, v0
	s_clause 0x1
	scratch_load_b32 v0, off, s32 offset:1356
	scratch_load_b128 v[1:4], off, s32 offset:1976
	s_waitcnt vmcnt(1)
	v_mul_f32_e32 v0, v44, v0
	s_waitcnt vmcnt(0)
	s_delay_alu instid0(VALU_DEP_1) | instskip(NEXT) | instid1(VALU_DEP_1)
	v_dual_fmac_f32 v7, v1, v0 :: v_dual_mul_f32 v0, v44, v49
	v_fmac_f32_e32 v17, v2, v0
	v_mul_f32_e32 v0, v44, v48
	s_delay_alu instid0(VALU_DEP_1) | instskip(SKIP_3) | instid1(VALU_DEP_1)
	v_fmac_f32_e32 v20, v3, v0
	scratch_load_b32 v0, off, s32 offset:1352 ; 4-byte Folded Reload
	s_waitcnt vmcnt(0)
	v_mul_f32_e32 v0, v44, v0
	v_fmac_f32_e32 v21, v4, v0
	s_clause 0x1
	scratch_load_b32 v0, off, s32 offset:1348
	scratch_load_b128 v[1:4], off, s32 offset:1992
	s_waitcnt vmcnt(1)
	v_mul_f32_e32 v0, v44, v0
	s_waitcnt vmcnt(0)
	s_delay_alu instid0(VALU_DEP_1) | instskip(SKIP_1) | instid1(VALU_DEP_1)
	v_fmac_f32_e32 v7, v1, v0
	v_mul_f32_e32 v0, v44, v64
	v_fmac_f32_e32 v17, v2, v0
	scratch_load_b32 v0, off, s32 offset:1344 ; 4-byte Folded Reload
	s_waitcnt vmcnt(0)
	v_mul_f32_e32 v0, v44, v0
	s_delay_alu instid0(VALU_DEP_1) | instskip(SKIP_3) | instid1(VALU_DEP_1)
	v_fmac_f32_e32 v20, v3, v0
	scratch_load_b32 v0, off, s32 offset:1340 ; 4-byte Folded Reload
	s_waitcnt vmcnt(0)
	v_mul_f32_e32 v0, v44, v0
	v_fmac_f32_e32 v21, v4, v0
	scratch_load_b128 v[1:4], off, s32 offset:2008 ; 16-byte Folded Reload
	v_mul_f32_e32 v0, v44, v65
	s_waitcnt vmcnt(0)
	s_delay_alu instid0(VALU_DEP_1) | instskip(SKIP_3) | instid1(VALU_DEP_1)
	v_fmac_f32_e32 v7, v1, v0
	scratch_load_b32 v0, off, s32 offset:1336 ; 4-byte Folded Reload
	s_waitcnt vmcnt(0)
	v_mul_f32_e32 v0, v44, v0
	v_fmac_f32_e32 v17, v2, v0
	v_mul_f32_e32 v0, v44, v80
	s_delay_alu instid0(VALU_DEP_1) | instskip(SKIP_1) | instid1(VALU_DEP_1)
	v_fmac_f32_e32 v20, v3, v0
	v_mul_f32_e32 v0, v44, v96
	v_fmac_f32_e32 v21, v4, v0
	scratch_load_b128 v[1:4], off, s32 offset:2024 ; 16-byte Folded Reload
	v_mul_f32_e32 v0, v44, v97
	s_waitcnt vmcnt(0)
	s_delay_alu instid0(VALU_DEP_1) | instskip(SKIP_3) | instid1(VALU_DEP_1)
	v_fmac_f32_e32 v7, v1, v0
	scratch_load_b32 v0, off, s32 offset:1332 ; 4-byte Folded Reload
	s_waitcnt vmcnt(0)
	v_mul_f32_e32 v0, v44, v0
	v_fmac_f32_e32 v17, v2, v0
	v_mul_f32_e32 v0, v44, v112
	s_delay_alu instid0(VALU_DEP_1) | instskip(SKIP_1) | instid1(VALU_DEP_1)
	v_fmac_f32_e32 v20, v3, v0
	v_mul_f32_e32 v0, v44, v128
	v_fmac_f32_e32 v21, v4, v0
	scratch_load_b128 v[1:4], off, s32 offset:2040 ; 16-byte Folded Reload
	v_mul_f32_e32 v0, v44, v160
	s_waitcnt vmcnt(0)
	s_delay_alu instid0(VALU_DEP_1) | instskip(SKIP_3) | instid1(VALU_DEP_1)
	v_fmac_f32_e32 v7, v1, v0
	scratch_load_b32 v0, off, s32 offset:1328 ; 4-byte Folded Reload
	s_waitcnt vmcnt(0)
	v_mul_f32_e32 v0, v44, v0
	v_dual_fmac_f32 v17, v2, v0 :: v_dual_mul_f32 v0, v44, v161
	s_delay_alu instid0(VALU_DEP_1) | instskip(SKIP_3) | instid1(VALU_DEP_1)
	v_fmac_f32_e32 v20, v3, v0
	scratch_load_b32 v0, off, s32 offset:1324 ; 4-byte Folded Reload
	s_waitcnt vmcnt(0)
	v_mul_f32_e32 v0, v44, v0
	v_fmac_f32_e32 v21, v4, v0
	s_clause 0x1
	scratch_load_b32 v0, off, s32 offset:1320
	scratch_load_b128 v[1:4], off, s32 offset:2056
	s_waitcnt vmcnt(1)
	v_mul_f32_e32 v0, v44, v0
	s_waitcnt vmcnt(0)
	s_delay_alu instid0(VALU_DEP_1) | instskip(SKIP_3) | instid1(VALU_DEP_1)
	v_fmac_f32_e32 v7, v1, v0
	scratch_load_b32 v0, off, s32 offset:1312 ; 4-byte Folded Reload
	s_waitcnt vmcnt(0)
	v_mul_f32_e32 v0, v44, v0
	v_fmac_f32_e32 v17, v2, v0
	scratch_load_b32 v0, off, s32 offset:1316 ; 4-byte Folded Reload
	s_waitcnt vmcnt(0)
	v_mul_f32_e32 v0, v44, v0
	s_delay_alu instid0(VALU_DEP_1) | instskip(SKIP_3) | instid1(VALU_DEP_1)
	v_fmac_f32_e32 v20, v3, v0
	scratch_load_b32 v0, off, s32 offset:1308 ; 4-byte Folded Reload
	s_waitcnt vmcnt(0)
	v_mul_f32_e32 v0, v44, v0
	v_fmac_f32_e32 v21, v4, v0
	s_clause 0x1
	scratch_load_b32 v0, off, s32 offset:1304
	scratch_load_b128 v[1:4], off, s32 offset:2072
	s_waitcnt vmcnt(1)
	v_mul_f32_e32 v0, v44, v0
	s_waitcnt vmcnt(0)
	s_delay_alu instid0(VALU_DEP_1) | instskip(SKIP_3) | instid1(VALU_DEP_1)
	v_fmac_f32_e32 v7, v1, v0
	scratch_load_b32 v0, off, s32 offset:1296 ; 4-byte Folded Reload
	s_waitcnt vmcnt(0)
	v_mul_f32_e32 v0, v44, v0
	v_fmac_f32_e32 v17, v2, v0
	scratch_load_b32 v0, off, s32 offset:1300 ; 4-byte Folded Reload
	s_waitcnt vmcnt(0)
	v_mul_f32_e32 v0, v44, v0
	s_delay_alu instid0(VALU_DEP_1) | instskip(SKIP_3) | instid1(VALU_DEP_1)
	v_fmac_f32_e32 v20, v3, v0
	scratch_load_b32 v0, off, s32 offset:1292 ; 4-byte Folded Reload
	s_waitcnt vmcnt(0)
	v_mul_f32_e32 v0, v44, v0
	v_fmac_f32_e32 v21, v4, v0
	s_clause 0x1
	scratch_load_b32 v0, off, s32 offset:1288
	scratch_load_b128 v[1:4], off, s32 offset:2088
	s_waitcnt vmcnt(1)
	v_mul_f32_e32 v0, v44, v0
	s_waitcnt vmcnt(0)
	s_delay_alu instid0(VALU_DEP_1) | instskip(SKIP_3) | instid1(VALU_DEP_1)
	v_fmac_f32_e32 v7, v1, v0
	scratch_load_b32 v0, off, s32 offset:1280 ; 4-byte Folded Reload
	s_waitcnt vmcnt(0)
	v_mul_f32_e32 v0, v44, v0
	v_fmac_f32_e32 v17, v2, v0
	scratch_load_b32 v0, off, s32 offset:1284 ; 4-byte Folded Reload
	s_waitcnt vmcnt(0)
	v_mul_f32_e32 v0, v44, v0
	s_delay_alu instid0(VALU_DEP_1) | instskip(SKIP_3) | instid1(VALU_DEP_1)
	v_fmac_f32_e32 v20, v3, v0
	scratch_load_b32 v0, off, s32 offset:1276 ; 4-byte Folded Reload
	s_waitcnt vmcnt(0)
	v_mul_f32_e32 v0, v44, v0
	v_fmac_f32_e32 v21, v4, v0
	s_clause 0x1
	scratch_load_b32 v0, off, s32 offset:1272
	scratch_load_b128 v[1:4], off, s32 offset:2104
	s_waitcnt vmcnt(1)
	v_mul_f32_e32 v0, v44, v0
	s_waitcnt vmcnt(0)
	s_delay_alu instid0(VALU_DEP_1) | instskip(SKIP_3) | instid1(VALU_DEP_1)
	v_fmac_f32_e32 v7, v1, v0
	scratch_load_b32 v0, off, s32 offset:1264 ; 4-byte Folded Reload
	s_waitcnt vmcnt(0)
	v_mul_f32_e32 v0, v44, v0
	v_fmac_f32_e32 v17, v2, v0
	scratch_load_b32 v0, off, s32 offset:1268 ; 4-byte Folded Reload
	s_waitcnt vmcnt(0)
	v_mul_f32_e32 v0, v44, v0
	s_delay_alu instid0(VALU_DEP_1) | instskip(SKIP_3) | instid1(VALU_DEP_1)
	v_fmac_f32_e32 v20, v3, v0
	scratch_load_b32 v0, off, s32 offset:1260 ; 4-byte Folded Reload
	s_waitcnt vmcnt(0)
	v_mul_f32_e32 v0, v44, v0
	v_fmac_f32_e32 v21, v4, v0
	s_clause 0x1
	scratch_load_b32 v0, off, s32 offset:1256
	scratch_load_b128 v[1:4], off, s32 offset:2120
	s_waitcnt vmcnt(1)
	v_mul_f32_e32 v0, v44, v0
	s_waitcnt vmcnt(0)
	s_delay_alu instid0(VALU_DEP_1) | instskip(SKIP_3) | instid1(VALU_DEP_1)
	v_fmac_f32_e32 v7, v1, v0
	scratch_load_b32 v0, off, s32 offset:1248 ; 4-byte Folded Reload
	s_waitcnt vmcnt(0)
	v_mul_f32_e32 v0, v44, v0
	v_fmac_f32_e32 v17, v2, v0
	scratch_load_b32 v0, off, s32 offset:1252 ; 4-byte Folded Reload
	s_waitcnt vmcnt(0)
	v_mul_f32_e32 v0, v44, v0
	s_delay_alu instid0(VALU_DEP_1) | instskip(SKIP_3) | instid1(VALU_DEP_1)
	v_fmac_f32_e32 v20, v3, v0
	scratch_load_b32 v0, off, s32 offset:1244 ; 4-byte Folded Reload
	s_waitcnt vmcnt(0)
	v_mul_f32_e32 v0, v44, v0
	v_fmac_f32_e32 v21, v4, v0
	s_clause 0x1
	scratch_load_b32 v0, off, s32 offset:1240
	scratch_load_b128 v[1:4], off, s32 offset:2136
	s_waitcnt vmcnt(1)
	v_mul_f32_e32 v0, v44, v0
	s_waitcnt vmcnt(0)
	s_delay_alu instid0(VALU_DEP_1) | instskip(SKIP_3) | instid1(VALU_DEP_1)
	v_fmac_f32_e32 v7, v1, v0
	scratch_load_b32 v0, off, s32 offset:1232 ; 4-byte Folded Reload
	s_waitcnt vmcnt(0)
	v_mul_f32_e32 v0, v44, v0
	v_fmac_f32_e32 v17, v2, v0
	scratch_load_b32 v0, off, s32 offset:1236 ; 4-byte Folded Reload
	s_waitcnt vmcnt(0)
	v_mul_f32_e32 v0, v44, v0
	s_delay_alu instid0(VALU_DEP_1) | instskip(SKIP_3) | instid1(VALU_DEP_1)
	v_fmac_f32_e32 v20, v3, v0
	scratch_load_b32 v0, off, s32 offset:1228 ; 4-byte Folded Reload
	s_waitcnt vmcnt(0)
	v_mul_f32_e32 v0, v44, v0
	v_fmac_f32_e32 v21, v4, v0
	s_clause 0x1
	scratch_load_b32 v0, off, s32 offset:1224
	scratch_load_b128 v[1:4], off, s32 offset:2152
	s_waitcnt vmcnt(1)
	v_mul_f32_e32 v0, v44, v0
	s_waitcnt vmcnt(0)
	s_delay_alu instid0(VALU_DEP_1) | instskip(SKIP_4) | instid1(VALU_DEP_1)
	v_fmac_f32_e32 v7, v1, v0
	scratch_load_b32 v0, off, s32 offset:1216 ; 4-byte Folded Reload
	v_mul_f32_e32 v1, v44, v6
	s_waitcnt vmcnt(0)
	v_mul_f32_e32 v0, v44, v0
	v_fmac_f32_e32 v17, v2, v0
	scratch_load_b32 v0, off, s32 offset:1220 ; 4-byte Folded Reload
	v_mul_f32_e32 v2, v44, v114
	s_waitcnt vmcnt(0)
	v_mul_f32_e32 v0, v44, v0
	s_delay_alu instid0(VALU_DEP_1) | instskip(SKIP_1) | instid1(VALU_DEP_1)
	v_fmac_f32_e32 v20, v3, v0
	v_mul_f32_e32 v0, v44, v184
	v_dual_fmac_f32 v20, v10, v1 :: v_dual_fmac_f32 v7, v8, v0
	v_mul_f32_e32 v0, v44, v115
	scratch_load_b32 v1, off, s32 offset:1764 ; 4-byte Folded Reload
	v_fmac_f32_e32 v17, v9, v0
	scratch_load_b32 v0, off, s32 offset:1212 ; 4-byte Folded Reload
	s_waitcnt vmcnt(0)
	v_dual_mul_f32 v0, v44, v0 :: v_dual_add_nc_u32 v1, v1, v26
	s_delay_alu instid0(VALU_DEP_1) | instskip(NEXT) | instid1(VALU_DEP_2)
	v_cvt_f32_i32_e32 v1, v1
	v_dual_fmac_f32 v21, v4, v0 :: v_dual_add_f32 v0, v7, v17
	s_delay_alu instid0(VALU_DEP_1) | instskip(SKIP_3) | instid1(VALU_DEP_1)
	v_fmac_f32_e32 v21, v11, v2
	scratch_load_b32 v2, off, s32 offset:1400 ; 4-byte Folded Reload
	v_add_f32_e32 v0, v20, v0
	s_waitcnt vmcnt(0)
	v_dual_add_f32 v0, v21, v0 :: v_dual_mul_f32 v1, v2, v1
	scratch_load_b32 v2, off, s32 offset:1396 ; 4-byte Folded Reload
	v_cndmask_b32_e32 v1, 0, v1, vcc_lo
	s_waitcnt vmcnt(0)
	s_delay_alu instid0(VALU_DEP_1) | instskip(SKIP_3) | instid1(VALU_DEP_1)
	v_fmac_f32_e32 v1, v0, v2
	scratch_load_b32 v0, off, s32 offset:1372 ; 4-byte Folded Reload
	s_waitcnt vmcnt(0)
	v_add_nc_u32_e32 v0, v0, v26
	v_cmp_lt_i32_e64 s1, v0, v35
	s_waitcnt lgkmcnt(0)
	v_add_nc_u32_e32 v0, s2, v29
	s_delay_alu instid0(VALU_DEP_2) | instskip(SKIP_2) | instid1(VALU_DEP_1)
	v_cndmask_b32_e64 v2, 0, v1, s1
	ds_store_b32 v0, v2
	v_max_f32_e32 v0, v183, v183
	v_max_f32_e32 v0, v0, v1
	s_delay_alu instid0(VALU_DEP_1)
	v_cndmask_b32_e64 v183, v183, v0, s1
.LBB268_15:                             ;   in Loop: Header=BB268_16 Depth=1
	s_or_b32 exec_lo, exec_lo, s22
	s_clause 0x1
	scratch_load_b32 v2, off, s32 offset:372
	scratch_load_b64 v[0:1], off, s32 offset:336
	v_add_nc_u32_e32 v26, 0x80, v26
	v_add_nc_u32_e32 v29, 0x200, v29
	s_waitcnt vmcnt(1)
	v_add_nc_u32_e32 v2, 4, v2
	s_waitcnt vmcnt(0)
	v_add_co_u32 v0, s1, v0, 16
	s_delay_alu instid0(VALU_DEP_1) | instskip(SKIP_4) | instid1(VALU_DEP_1)
	v_add_co_ci_u32_e64 v1, s1, 0, v1, s1
	scratch_store_b64 off, v[0:1], s32 offset:336 ; 8-byte Folded Spill
	scratch_load_b32 v0, off, s32 offset:360 ; 4-byte Folded Reload
	s_waitcnt vmcnt(0)
	v_cmp_ge_i32_e64 s1, v2, v0
	s_or_b32 s21, s1, s21
	s_delay_alu instid0(SALU_CYCLE_1)
	s_and_not1_b32 exec_lo, exec_lo, s21
	s_cbranch_execz .LBB268_1552
.LBB268_16:                             ; =>This Inner Loop Header: Depth=1
	s_clause 0x2
	scratch_load_b32 v1, off, s32 offset:364
	scratch_load_b32 v5, off, s32 offset:356
	;; [unrolled: 1-line block ×3, first 2 shown]
	v_sub_nc_u32_e32 v0, 0, v26
	scratch_store_b32 off, v2, s32 offset:372 ; 4-byte Folded Spill
	v_max_i32_e32 v0, v26, v0
	s_waitcnt vmcnt(2)
	s_delay_alu instid0(VALU_DEP_1) | instskip(SKIP_1) | instid1(VALU_DEP_1)
	v_mul_hi_u32 v1, v0, v1
	s_waitcnt vmcnt(0)
	v_mul_lo_u32 v2, v1, v4
	s_delay_alu instid0(VALU_DEP_1) | instskip(SKIP_1) | instid1(VALU_DEP_2)
	v_sub_nc_u32_e32 v0, v0, v2
	v_add_nc_u32_e32 v2, 1, v1
	v_sub_nc_u32_e32 v3, v0, v4
	v_cmp_ge_u32_e64 s1, v0, v4
	s_delay_alu instid0(VALU_DEP_1) | instskip(NEXT) | instid1(VALU_DEP_3)
	v_cndmask_b32_e64 v1, v1, v2, s1
	v_cndmask_b32_e64 v0, v0, v3, s1
	v_ashrrev_i32_e32 v2, 31, v26
	s_delay_alu instid0(VALU_DEP_3) | instskip(NEXT) | instid1(VALU_DEP_3)
	v_add_nc_u32_e32 v3, 1, v1
	v_cmp_ge_u32_e64 s1, v0, v4
	s_delay_alu instid0(VALU_DEP_3) | instskip(SKIP_4) | instid1(VALU_DEP_1)
	v_xor_b32_e32 v2, v2, v5
	scratch_load_b32 v4, off, s32 offset:1204 ; 4-byte Folded Reload
	v_cndmask_b32_e64 v0, v1, v3, s1
	scratch_load_b32 v3, off, s32 offset:1208 ; 4-byte Folded Reload
	v_xor_b32_e32 v0, v0, v2
	v_sub_nc_u32_e32 v0, v0, v2
	scratch_load_b64 v[1:2], off, s32 offset:348 ; 8-byte Folded Reload
	s_waitcnt vmcnt(0)
	v_add_nc_u32_e32 v1, v0, v1
	s_delay_alu instid0(VALU_DEP_1) | instskip(NEXT) | instid1(VALU_DEP_1)
	v_sub_nc_u32_e32 v2, 0, v1
	v_max_i32_e32 v2, v1, v2
	v_ashrrev_i32_e32 v1, 31, v1
	s_delay_alu instid0(VALU_DEP_2) | instskip(NEXT) | instid1(VALU_DEP_1)
	v_mul_hi_u32 v3, v2, v3
	v_mul_lo_u32 v3, v3, v4
	s_delay_alu instid0(VALU_DEP_1) | instskip(NEXT) | instid1(VALU_DEP_1)
	v_sub_nc_u32_e32 v2, v2, v3
	v_sub_nc_u32_e32 v3, v2, v4
	v_cmp_ge_u32_e64 s1, v2, v4
	s_delay_alu instid0(VALU_DEP_1) | instskip(NEXT) | instid1(VALU_DEP_1)
	v_cndmask_b32_e64 v2, v2, v3, s1
	v_sub_nc_u32_e32 v3, v2, v4
	v_cmp_ge_u32_e64 s1, v2, v4
	s_delay_alu instid0(VALU_DEP_1) | instskip(NEXT) | instid1(VALU_DEP_1)
	v_cndmask_b32_e64 v2, v2, v3, s1
	v_xor_b32_e32 v2, v2, v1
	s_delay_alu instid0(VALU_DEP_1) | instskip(NEXT) | instid1(VALU_DEP_1)
	v_sub_nc_u32_e32 v1, v2, v1
	v_cmp_ne_u32_e64 s1, 0, v1
	scratch_load_b32 v1, off, s32 offset:368 ; 4-byte Folded Reload
	s_waitcnt vmcnt(0)
	v_cmp_le_i32_e64 s2, v0, v1
	s_delay_alu instid0(VALU_DEP_1) | instskip(NEXT) | instid1(SALU_CYCLE_1)
	s_and_b32 s1, s1, s2
	s_and_saveexec_b32 s2, s1
	s_delay_alu instid0(SALU_CYCLE_1)
	s_xor_b32 s1, exec_lo, s2
	s_cbranch_execz .LBB268_18
; %bb.17:                               ;   in Loop: Header=BB268_16 Depth=1
	v_dual_mov_b32 v1, 0xff7fffff :: v_dual_add_nc_u32 v0, s11, v29
	ds_store_b32 v0, v1
.LBB268_18:                             ;   in Loop: Header=BB268_16 Depth=1
	s_and_not1_saveexec_b32 s22, s1
	s_cbranch_execz .LBB268_15
; %bb.19:                               ;   in Loop: Header=BB268_16 Depth=1
	scratch_load_b64 v[0:1], off, s32 offset:336 ; 8-byte Folded Reload
	s_mov_b32 s2, exec_lo
	s_waitcnt vmcnt(0)
	flat_load_b32 v0, v[0:1]
	s_clause 0x1
	scratch_load_b32 v1, off, s32 offset:1200
	scratch_load_b64 v[2:3], off, s32 offset:1404
	s_waitcnt vmcnt(0) lgkmcnt(0)
	v_mad_i64_i32 v[142:143], null, v0, v1, v[2:3]
	flat_load_b32 v0, v[142:143]
	scratch_load_b64 v[1:2], off, s32 offset:1388 ; 8-byte Folded Reload
	v_mov_b32_e32 v178, 0
	v_mov_b32_e32 v179, 0
	s_delay_alu instid0(VALU_DEP_1) | instskip(SKIP_4) | instid1(VALU_DEP_1)
	v_dual_mov_b32 v166, v178 :: v_dual_mov_b32 v167, v179
	s_waitcnt vmcnt(0)
	flat_load_b32 v44, v[1:2]
	s_waitcnt lgkmcnt(1)
	v_and_b32_e32 v1, 0xff, v0
	v_cmpx_ne_u16_e32 0, v1
	s_cbranch_execz .LBB268_27
; %bb.20:                               ;   in Loop: Header=BB268_16 Depth=1
	v_bfrev_b32_e32 v166, 1
	v_mov_b32_e32 v167, 0
	s_mov_b32 s23, exec_lo
	v_cmpx_ne_u16_e32 0x80, v1
	s_cbranch_execz .LBB268_26
; %bb.21:                               ;   in Loop: Header=BB268_16 Depth=1
	v_mov_b32_e32 v166, 0x7f800001
	v_dual_mov_b32 v167, 0 :: v_dual_and_b32 v2, 0x7f, v0
	s_mov_b32 s24, exec_lo
	s_delay_alu instid0(VALU_DEP_1)
	v_cmpx_ne_u32_e32 0x7f, v2
	s_cbranch_execz .LBB268_25
; %bb.22:                               ;   in Loop: Header=BB268_16 Depth=1
	v_and_b32_e32 v14, 7, v0
	v_lshrrev_b32_e32 v1, 3, v2
	s_mov_b32 s25, exec_lo
	v_cmpx_gt_u32_e32 8, v2
; %bb.23:                               ;   in Loop: Header=BB268_16 Depth=1
	s_delay_alu instid0(VALU_DEP_3) | instskip(NEXT) | instid1(VALU_DEP_1)
	v_clz_i32_u32_e32 v1, v14
	v_min_u32_e32 v1, 32, v1
	s_delay_alu instid0(VALU_DEP_1) | instskip(SKIP_1) | instid1(VALU_DEP_2)
	v_subrev_nc_u32_e32 v2, 28, v1
	v_sub_nc_u32_e32 v1, 29, v1
	v_lshlrev_b64 v[2:3], v2, v[14:15]
	s_delay_alu instid0(VALU_DEP_1)
	v_and_b32_e32 v14, 7, v2
; %bb.24:                               ;   in Loop: Header=BB268_16 Depth=1
	s_or_b32 exec_lo, exec_lo, s25
	v_lshlrev_b32_e32 v2, 24, v0
	s_delay_alu instid0(VALU_DEP_2) | instskip(SKIP_1) | instid1(VALU_DEP_3)
	v_lshlrev_b32_e32 v3, 20, v14
	v_lshl_add_u32 v1, v1, 23, 0x3c000000
	v_and_b32_e32 v2, 0x80000000, v2
	s_delay_alu instid0(VALU_DEP_1) | instskip(NEXT) | instid1(VALU_DEP_1)
	v_or3_b32 v14, v3, v2, v1
	v_dual_mov_b32 v167, v15 :: v_dual_mov_b32 v166, v14
.LBB268_25:                             ;   in Loop: Header=BB268_16 Depth=1
	s_or_b32 exec_lo, exec_lo, s24
.LBB268_26:                             ;   in Loop: Header=BB268_16 Depth=1
	s_delay_alu instid0(SALU_CYCLE_1)
	s_or_b32 exec_lo, exec_lo, s23
.LBB268_27:                             ;   in Loop: Header=BB268_16 Depth=1
	s_delay_alu instid0(SALU_CYCLE_1) | instskip(SKIP_2) | instid1(VALU_DEP_1)
	s_or_b32 exec_lo, exec_lo, s2
	v_lshrrev_b16 v1, 8, v0
	s_mov_b32 s23, exec_lo
	v_cmpx_ne_u16_e32 0, v1
	s_cbranch_execz .LBB268_35
; %bb.28:                               ;   in Loop: Header=BB268_16 Depth=1
	v_dual_mov_b32 v179, s9 :: v_dual_mov_b32 v178, s8
	s_mov_b32 s24, exec_lo
	v_cmpx_ne_u16_e32 0x80, v1
	s_cbranch_execz .LBB268_34
; %bb.29:                               ;   in Loop: Header=BB268_16 Depth=1
	s_mov_b32 s2, s8
	v_and_b32_e32 v1, 0xffff, v1
	v_dual_mov_b32 v179, s3 :: v_dual_mov_b32 v178, s2
	s_mov_b32 s2, exec_lo
	s_delay_alu instid0(VALU_DEP_2) | instskip(NEXT) | instid1(VALU_DEP_1)
	v_and_b32_e32 v2, 0x7f, v1
	v_cmpx_ne_u32_e32 0x7f, v2
	s_cbranch_execz .LBB268_33
; %bb.30:                               ;   in Loop: Header=BB268_16 Depth=1
	v_and_b32_e32 v14, 7, v1
	v_lshrrev_b32_e32 v1, 3, v2
	s_mov_b32 s25, exec_lo
	v_cmpx_gt_u32_e32 8, v2
; %bb.31:                               ;   in Loop: Header=BB268_16 Depth=1
	s_delay_alu instid0(VALU_DEP_3) | instskip(NEXT) | instid1(VALU_DEP_1)
	v_clz_i32_u32_e32 v1, v14
	v_min_u32_e32 v1, 32, v1
	s_delay_alu instid0(VALU_DEP_1) | instskip(SKIP_1) | instid1(VALU_DEP_2)
	v_subrev_nc_u32_e32 v2, 28, v1
	v_sub_nc_u32_e32 v1, 29, v1
	v_lshlrev_b64 v[2:3], v2, v[14:15]
	s_delay_alu instid0(VALU_DEP_1)
	v_and_b32_e32 v14, 7, v2
; %bb.32:                               ;   in Loop: Header=BB268_16 Depth=1
	s_or_b32 exec_lo, exec_lo, s25
	v_lshlrev_b32_e32 v2, 16, v0
	s_delay_alu instid0(VALU_DEP_2) | instskip(SKIP_1) | instid1(VALU_DEP_3)
	v_dual_mov_b32 v178, v15 :: v_dual_lshlrev_b32 v3, 20, v14
	v_lshl_add_u32 v1, v1, 23, 0x3c000000
	v_and_b32_e32 v2, 0x80000000, v2
	s_delay_alu instid0(VALU_DEP_1)
	v_or3_b32 v179, v3, v2, v1
.LBB268_33:                             ;   in Loop: Header=BB268_16 Depth=1
	s_or_b32 exec_lo, exec_lo, s2
.LBB268_34:                             ;   in Loop: Header=BB268_16 Depth=1
	s_delay_alu instid0(SALU_CYCLE_1)
	s_or_b32 exec_lo, exec_lo, s24
.LBB268_35:                             ;   in Loop: Header=BB268_16 Depth=1
	s_delay_alu instid0(SALU_CYCLE_1) | instskip(SKIP_4) | instid1(VALU_DEP_1)
	s_or_b32 exec_lo, exec_lo, s23
	v_mov_b32_e32 v10, 0
	v_lshrrev_b32_e32 v1, 16, v0
	v_mov_b32_e32 v11, 0
	s_mov_b32 s2, exec_lo
	v_dual_mov_b32 v131, v11 :: v_dual_and_b32 v2, 0xff, v1
	v_mov_b32_e32 v130, v10
	s_delay_alu instid0(VALU_DEP_2)
	v_cmpx_ne_u16_e32 0, v2
	s_cbranch_execz .LBB268_43
; %bb.36:                               ;   in Loop: Header=BB268_16 Depth=1
	v_bfrev_b32_e32 v130, 1
	v_mov_b32_e32 v131, 0
	s_mov_b32 s23, exec_lo
	v_cmpx_ne_u16_e32 0x80, v2
	s_cbranch_execz .LBB268_42
; %bb.37:                               ;   in Loop: Header=BB268_16 Depth=1
	v_mov_b32_e32 v130, 0x7f800001
	v_bfe_u32 v3, v0, 16, 7
	v_mov_b32_e32 v131, 0
	s_mov_b32 s24, exec_lo
	s_delay_alu instid0(VALU_DEP_2)
	v_cmpx_ne_u32_e32 0x7f, v3
	s_cbranch_execz .LBB268_41
; %bb.38:                               ;   in Loop: Header=BB268_16 Depth=1
	v_and_b32_e32 v14, 7, v1
	v_lshrrev_b32_e32 v2, 3, v3
	s_mov_b32 s25, exec_lo
	v_cmpx_gt_u32_e32 8, v3
; %bb.39:                               ;   in Loop: Header=BB268_16 Depth=1
	s_delay_alu instid0(VALU_DEP_3) | instskip(NEXT) | instid1(VALU_DEP_1)
	v_clz_i32_u32_e32 v2, v14
	v_min_u32_e32 v2, 32, v2
	s_delay_alu instid0(VALU_DEP_1) | instskip(SKIP_1) | instid1(VALU_DEP_2)
	v_subrev_nc_u32_e32 v3, 28, v2
	v_sub_nc_u32_e32 v2, 29, v2
	v_lshlrev_b64 v[3:4], v3, v[14:15]
	s_delay_alu instid0(VALU_DEP_1)
	v_and_b32_e32 v14, 7, v3
; %bb.40:                               ;   in Loop: Header=BB268_16 Depth=1
	s_or_b32 exec_lo, exec_lo, s25
	v_lshlrev_b32_e32 v1, 24, v1
	s_delay_alu instid0(VALU_DEP_2) | instskip(SKIP_1) | instid1(VALU_DEP_3)
	v_lshlrev_b32_e32 v3, 20, v14
	v_lshl_add_u32 v2, v2, 23, 0x3c000000
	v_and_b32_e32 v1, 0x80000000, v1
	s_delay_alu instid0(VALU_DEP_1) | instskip(NEXT) | instid1(VALU_DEP_1)
	v_or3_b32 v14, v3, v1, v2
	v_dual_mov_b32 v131, v15 :: v_dual_mov_b32 v130, v14
.LBB268_41:                             ;   in Loop: Header=BB268_16 Depth=1
	s_or_b32 exec_lo, exec_lo, s24
.LBB268_42:                             ;   in Loop: Header=BB268_16 Depth=1
	s_delay_alu instid0(SALU_CYCLE_1)
	s_or_b32 exec_lo, exec_lo, s23
.LBB268_43:                             ;   in Loop: Header=BB268_16 Depth=1
	s_delay_alu instid0(SALU_CYCLE_1) | instskip(NEXT) | instid1(SALU_CYCLE_1)
	s_or_b32 exec_lo, exec_lo, s2
	s_mov_b32 s23, exec_lo
	v_cmpx_lt_u32_e32 0xffffff, v0
	s_cbranch_execz .LBB268_51
; %bb.44:                               ;   in Loop: Header=BB268_16 Depth=1
	v_lshrrev_b32_e32 v1, 24, v0
	v_dual_mov_b32 v11, s9 :: v_dual_mov_b32 v10, s8
	s_mov_b32 s24, exec_lo
	s_delay_alu instid0(VALU_DEP_2)
	v_cmpx_ne_u32_e32 0x80, v1
	s_cbranch_execz .LBB268_50
; %bb.45:                               ;   in Loop: Header=BB268_16 Depth=1
	s_mov_b32 s2, s8
	v_bfe_u32 v2, v0, 24, 7
	v_dual_mov_b32 v11, s3 :: v_dual_mov_b32 v10, s2
	s_mov_b32 s2, exec_lo
	s_delay_alu instid0(VALU_DEP_2)
	v_cmpx_ne_u32_e32 0x7f, v2
	s_cbranch_execz .LBB268_49
; %bb.46:                               ;   in Loop: Header=BB268_16 Depth=1
	v_and_b32_e32 v14, 7, v1
	v_lshrrev_b32_e32 v0, 3, v2
	s_mov_b32 s25, exec_lo
	v_cmpx_gt_u32_e32 8, v2
; %bb.47:                               ;   in Loop: Header=BB268_16 Depth=1
	s_delay_alu instid0(VALU_DEP_3) | instskip(NEXT) | instid1(VALU_DEP_1)
	v_clz_i32_u32_e32 v0, v14
	v_min_u32_e32 v0, 32, v0
	s_delay_alu instid0(VALU_DEP_1) | instskip(SKIP_1) | instid1(VALU_DEP_2)
	v_subrev_nc_u32_e32 v2, 28, v0
	v_sub_nc_u32_e32 v0, 29, v0
	v_lshlrev_b64 v[2:3], v2, v[14:15]
	s_delay_alu instid0(VALU_DEP_1)
	v_and_b32_e32 v14, 7, v2
; %bb.48:                               ;   in Loop: Header=BB268_16 Depth=1
	s_or_b32 exec_lo, exec_lo, s25
	v_dual_mov_b32 v10, v15 :: v_dual_lshlrev_b32 v1, 24, v1
	s_delay_alu instid0(VALU_DEP_2) | instskip(SKIP_1) | instid1(VALU_DEP_3)
	v_lshlrev_b32_e32 v2, 20, v14
	v_lshl_add_u32 v0, v0, 23, 0x3c000000
	v_and_b32_e32 v1, 0x80000000, v1
	s_delay_alu instid0(VALU_DEP_1)
	v_or3_b32 v11, v2, v1, v0
.LBB268_49:                             ;   in Loop: Header=BB268_16 Depth=1
	s_or_b32 exec_lo, exec_lo, s2
.LBB268_50:                             ;   in Loop: Header=BB268_16 Depth=1
	s_delay_alu instid0(SALU_CYCLE_1)
	s_or_b32 exec_lo, exec_lo, s24
.LBB268_51:                             ;   in Loop: Header=BB268_16 Depth=1
	s_delay_alu instid0(SALU_CYCLE_1) | instskip(SKIP_3) | instid1(VALU_DEP_2)
	s_or_b32 exec_lo, exec_lo, s23
	flat_load_b32 v0, v[142:143] offset:4
	v_mov_b32_e32 v150, 0
	v_mov_b32_e32 v151, 0
	;; [unrolled: 1-line block ×3, first 2 shown]
	s_mov_b32 s2, exec_lo
	s_delay_alu instid0(VALU_DEP_2) | instskip(SKIP_2) | instid1(VALU_DEP_1)
	v_mov_b32_e32 v103, v151
	s_waitcnt vmcnt(0) lgkmcnt(0)
	v_and_b32_e32 v1, 0xff, v0
	v_cmpx_ne_u16_e32 0, v1
	s_cbranch_execz .LBB268_59
; %bb.52:                               ;   in Loop: Header=BB268_16 Depth=1
	v_bfrev_b32_e32 v102, 1
	v_mov_b32_e32 v103, 0
	s_mov_b32 s23, exec_lo
	v_cmpx_ne_u16_e32 0x80, v1
	s_cbranch_execz .LBB268_58
; %bb.53:                               ;   in Loop: Header=BB268_16 Depth=1
	v_mov_b32_e32 v102, 0x7f800001
	v_dual_mov_b32 v103, 0 :: v_dual_and_b32 v2, 0x7f, v0
	s_mov_b32 s24, exec_lo
	s_delay_alu instid0(VALU_DEP_1)
	v_cmpx_ne_u32_e32 0x7f, v2
	s_cbranch_execz .LBB268_57
; %bb.54:                               ;   in Loop: Header=BB268_16 Depth=1
	v_and_b32_e32 v14, 7, v0
	v_lshrrev_b32_e32 v1, 3, v2
	s_mov_b32 s25, exec_lo
	v_cmpx_gt_u32_e32 8, v2
; %bb.55:                               ;   in Loop: Header=BB268_16 Depth=1
	s_delay_alu instid0(VALU_DEP_3) | instskip(NEXT) | instid1(VALU_DEP_1)
	v_clz_i32_u32_e32 v1, v14
	v_min_u32_e32 v1, 32, v1
	s_delay_alu instid0(VALU_DEP_1) | instskip(SKIP_1) | instid1(VALU_DEP_2)
	v_subrev_nc_u32_e32 v2, 28, v1
	v_sub_nc_u32_e32 v1, 29, v1
	v_lshlrev_b64 v[2:3], v2, v[14:15]
	s_delay_alu instid0(VALU_DEP_1)
	v_and_b32_e32 v14, 7, v2
; %bb.56:                               ;   in Loop: Header=BB268_16 Depth=1
	s_or_b32 exec_lo, exec_lo, s25
	v_lshlrev_b32_e32 v2, 24, v0
	s_delay_alu instid0(VALU_DEP_2) | instskip(SKIP_1) | instid1(VALU_DEP_3)
	v_lshlrev_b32_e32 v3, 20, v14
	v_lshl_add_u32 v1, v1, 23, 0x3c000000
	v_and_b32_e32 v2, 0x80000000, v2
	s_delay_alu instid0(VALU_DEP_1) | instskip(NEXT) | instid1(VALU_DEP_1)
	v_or3_b32 v14, v3, v2, v1
	v_dual_mov_b32 v103, v15 :: v_dual_mov_b32 v102, v14
.LBB268_57:                             ;   in Loop: Header=BB268_16 Depth=1
	s_or_b32 exec_lo, exec_lo, s24
.LBB268_58:                             ;   in Loop: Header=BB268_16 Depth=1
	s_delay_alu instid0(SALU_CYCLE_1)
	s_or_b32 exec_lo, exec_lo, s23
.LBB268_59:                             ;   in Loop: Header=BB268_16 Depth=1
	s_delay_alu instid0(SALU_CYCLE_1) | instskip(SKIP_2) | instid1(VALU_DEP_1)
	s_or_b32 exec_lo, exec_lo, s2
	v_lshrrev_b16 v1, 8, v0
	s_mov_b32 s23, exec_lo
	v_cmpx_ne_u16_e32 0, v1
	s_cbranch_execz .LBB268_67
; %bb.60:                               ;   in Loop: Header=BB268_16 Depth=1
	v_dual_mov_b32 v151, s9 :: v_dual_mov_b32 v150, s8
	s_mov_b32 s24, exec_lo
	v_cmpx_ne_u16_e32 0x80, v1
	s_cbranch_execz .LBB268_66
; %bb.61:                               ;   in Loop: Header=BB268_16 Depth=1
	s_mov_b32 s2, s8
	v_and_b32_e32 v1, 0xffff, v1
	v_dual_mov_b32 v151, s3 :: v_dual_mov_b32 v150, s2
	s_mov_b32 s2, exec_lo
	s_delay_alu instid0(VALU_DEP_2) | instskip(NEXT) | instid1(VALU_DEP_1)
	v_and_b32_e32 v2, 0x7f, v1
	v_cmpx_ne_u32_e32 0x7f, v2
	s_cbranch_execz .LBB268_65
; %bb.62:                               ;   in Loop: Header=BB268_16 Depth=1
	v_and_b32_e32 v14, 7, v1
	v_lshrrev_b32_e32 v1, 3, v2
	s_mov_b32 s25, exec_lo
	v_cmpx_gt_u32_e32 8, v2
; %bb.63:                               ;   in Loop: Header=BB268_16 Depth=1
	s_delay_alu instid0(VALU_DEP_3) | instskip(NEXT) | instid1(VALU_DEP_1)
	v_clz_i32_u32_e32 v1, v14
	v_min_u32_e32 v1, 32, v1
	s_delay_alu instid0(VALU_DEP_1) | instskip(SKIP_1) | instid1(VALU_DEP_2)
	v_subrev_nc_u32_e32 v2, 28, v1
	v_sub_nc_u32_e32 v1, 29, v1
	v_lshlrev_b64 v[2:3], v2, v[14:15]
	s_delay_alu instid0(VALU_DEP_1)
	v_and_b32_e32 v14, 7, v2
; %bb.64:                               ;   in Loop: Header=BB268_16 Depth=1
	s_or_b32 exec_lo, exec_lo, s25
	v_lshlrev_b32_e32 v2, 16, v0
	s_delay_alu instid0(VALU_DEP_2) | instskip(SKIP_1) | instid1(VALU_DEP_3)
	v_dual_mov_b32 v150, v15 :: v_dual_lshlrev_b32 v3, 20, v14
	v_lshl_add_u32 v1, v1, 23, 0x3c000000
	v_and_b32_e32 v2, 0x80000000, v2
	s_delay_alu instid0(VALU_DEP_1)
	v_or3_b32 v151, v3, v2, v1
.LBB268_65:                             ;   in Loop: Header=BB268_16 Depth=1
	s_or_b32 exec_lo, exec_lo, s2
.LBB268_66:                             ;   in Loop: Header=BB268_16 Depth=1
	s_delay_alu instid0(SALU_CYCLE_1)
	s_or_b32 exec_lo, exec_lo, s24
.LBB268_67:                             ;   in Loop: Header=BB268_16 Depth=1
	s_delay_alu instid0(SALU_CYCLE_1) | instskip(SKIP_4) | instid1(VALU_DEP_2)
	s_or_b32 exec_lo, exec_lo, s23
	v_mov_b32_e32 v134, 0
	v_lshrrev_b32_e32 v1, 16, v0
	v_mov_b32_e32 v135, 0
	s_mov_b32 s2, exec_lo
	v_and_b32_e32 v2, 0xff, v1
	s_delay_alu instid0(VALU_DEP_2) | instskip(NEXT) | instid1(VALU_DEP_2)
	v_dual_mov_b32 v86, v134 :: v_dual_mov_b32 v87, v135
	v_cmpx_ne_u16_e32 0, v2
	s_cbranch_execz .LBB268_75
; %bb.68:                               ;   in Loop: Header=BB268_16 Depth=1
	v_bfrev_b32_e32 v86, 1
	v_mov_b32_e32 v87, 0
	s_mov_b32 s23, exec_lo
	v_cmpx_ne_u16_e32 0x80, v2
	s_cbranch_execz .LBB268_74
; %bb.69:                               ;   in Loop: Header=BB268_16 Depth=1
	v_mov_b32_e32 v86, 0x7f800001
	v_bfe_u32 v3, v0, 16, 7
	v_mov_b32_e32 v87, 0
	s_mov_b32 s24, exec_lo
	s_delay_alu instid0(VALU_DEP_2)
	v_cmpx_ne_u32_e32 0x7f, v3
	s_cbranch_execz .LBB268_73
; %bb.70:                               ;   in Loop: Header=BB268_16 Depth=1
	v_and_b32_e32 v14, 7, v1
	v_lshrrev_b32_e32 v2, 3, v3
	s_mov_b32 s25, exec_lo
	v_cmpx_gt_u32_e32 8, v3
; %bb.71:                               ;   in Loop: Header=BB268_16 Depth=1
	s_delay_alu instid0(VALU_DEP_3) | instskip(NEXT) | instid1(VALU_DEP_1)
	v_clz_i32_u32_e32 v2, v14
	v_min_u32_e32 v2, 32, v2
	s_delay_alu instid0(VALU_DEP_1) | instskip(SKIP_1) | instid1(VALU_DEP_2)
	v_subrev_nc_u32_e32 v3, 28, v2
	v_sub_nc_u32_e32 v2, 29, v2
	v_lshlrev_b64 v[3:4], v3, v[14:15]
	s_delay_alu instid0(VALU_DEP_1)
	v_and_b32_e32 v14, 7, v3
; %bb.72:                               ;   in Loop: Header=BB268_16 Depth=1
	s_or_b32 exec_lo, exec_lo, s25
	v_lshlrev_b32_e32 v1, 24, v1
	s_delay_alu instid0(VALU_DEP_2) | instskip(SKIP_1) | instid1(VALU_DEP_3)
	v_lshlrev_b32_e32 v3, 20, v14
	v_lshl_add_u32 v2, v2, 23, 0x3c000000
	v_and_b32_e32 v1, 0x80000000, v1
	s_delay_alu instid0(VALU_DEP_1) | instskip(NEXT) | instid1(VALU_DEP_1)
	v_or3_b32 v14, v3, v1, v2
	v_dual_mov_b32 v87, v15 :: v_dual_mov_b32 v86, v14
.LBB268_73:                             ;   in Loop: Header=BB268_16 Depth=1
	s_or_b32 exec_lo, exec_lo, s24
.LBB268_74:                             ;   in Loop: Header=BB268_16 Depth=1
	s_delay_alu instid0(SALU_CYCLE_1)
	s_or_b32 exec_lo, exec_lo, s23
.LBB268_75:                             ;   in Loop: Header=BB268_16 Depth=1
	s_delay_alu instid0(SALU_CYCLE_1) | instskip(NEXT) | instid1(SALU_CYCLE_1)
	s_or_b32 exec_lo, exec_lo, s2
	s_mov_b32 s23, exec_lo
	v_cmpx_lt_u32_e32 0xffffff, v0
	s_cbranch_execz .LBB268_83
; %bb.76:                               ;   in Loop: Header=BB268_16 Depth=1
	v_lshrrev_b32_e32 v1, 24, v0
	v_dual_mov_b32 v135, s9 :: v_dual_mov_b32 v134, s8
	s_mov_b32 s24, exec_lo
	s_delay_alu instid0(VALU_DEP_2)
	v_cmpx_ne_u32_e32 0x80, v1
	s_cbranch_execz .LBB268_82
; %bb.77:                               ;   in Loop: Header=BB268_16 Depth=1
	s_mov_b32 s2, s8
	v_bfe_u32 v2, v0, 24, 7
	v_dual_mov_b32 v135, s3 :: v_dual_mov_b32 v134, s2
	s_mov_b32 s2, exec_lo
	s_delay_alu instid0(VALU_DEP_2)
	v_cmpx_ne_u32_e32 0x7f, v2
	s_cbranch_execz .LBB268_81
; %bb.78:                               ;   in Loop: Header=BB268_16 Depth=1
	v_and_b32_e32 v14, 7, v1
	v_lshrrev_b32_e32 v0, 3, v2
	s_mov_b32 s25, exec_lo
	v_cmpx_gt_u32_e32 8, v2
; %bb.79:                               ;   in Loop: Header=BB268_16 Depth=1
	s_delay_alu instid0(VALU_DEP_3) | instskip(NEXT) | instid1(VALU_DEP_1)
	v_clz_i32_u32_e32 v0, v14
	v_min_u32_e32 v0, 32, v0
	s_delay_alu instid0(VALU_DEP_1) | instskip(SKIP_1) | instid1(VALU_DEP_2)
	v_subrev_nc_u32_e32 v2, 28, v0
	v_sub_nc_u32_e32 v0, 29, v0
	v_lshlrev_b64 v[2:3], v2, v[14:15]
	s_delay_alu instid0(VALU_DEP_1)
	v_and_b32_e32 v14, 7, v2
; %bb.80:                               ;   in Loop: Header=BB268_16 Depth=1
	s_or_b32 exec_lo, exec_lo, s25
	v_dual_mov_b32 v134, v15 :: v_dual_lshlrev_b32 v1, 24, v1
	s_delay_alu instid0(VALU_DEP_2) | instskip(SKIP_1) | instid1(VALU_DEP_3)
	v_lshlrev_b32_e32 v2, 20, v14
	v_lshl_add_u32 v0, v0, 23, 0x3c000000
	v_and_b32_e32 v1, 0x80000000, v1
	s_delay_alu instid0(VALU_DEP_1)
	v_or3_b32 v135, v2, v1, v0
.LBB268_81:                             ;   in Loop: Header=BB268_16 Depth=1
	s_or_b32 exec_lo, exec_lo, s2
.LBB268_82:                             ;   in Loop: Header=BB268_16 Depth=1
	s_delay_alu instid0(SALU_CYCLE_1)
	s_or_b32 exec_lo, exec_lo, s24
.LBB268_83:                             ;   in Loop: Header=BB268_16 Depth=1
	s_delay_alu instid0(SALU_CYCLE_1) | instskip(SKIP_3) | instid1(VALU_DEP_2)
	s_or_b32 exec_lo, exec_lo, s23
	flat_load_b32 v0, v[142:143] offset:8
	v_mov_b32_e32 v118, 0
	v_mov_b32_e32 v119, 0
	;; [unrolled: 1-line block ×3, first 2 shown]
	s_mov_b32 s2, exec_lo
	s_delay_alu instid0(VALU_DEP_2) | instskip(SKIP_2) | instid1(VALU_DEP_1)
	v_mov_b32_e32 v71, v119
	s_waitcnt vmcnt(0) lgkmcnt(0)
	v_and_b32_e32 v1, 0xff, v0
	v_cmpx_ne_u16_e32 0, v1
	s_cbranch_execz .LBB268_91
; %bb.84:                               ;   in Loop: Header=BB268_16 Depth=1
	v_bfrev_b32_e32 v70, 1
	v_mov_b32_e32 v71, 0
	s_mov_b32 s23, exec_lo
	v_cmpx_ne_u16_e32 0x80, v1
	s_cbranch_execz .LBB268_90
; %bb.85:                               ;   in Loop: Header=BB268_16 Depth=1
	v_mov_b32_e32 v70, 0x7f800001
	v_dual_mov_b32 v71, 0 :: v_dual_and_b32 v2, 0x7f, v0
	s_mov_b32 s24, exec_lo
	s_delay_alu instid0(VALU_DEP_1)
	v_cmpx_ne_u32_e32 0x7f, v2
	s_cbranch_execz .LBB268_89
; %bb.86:                               ;   in Loop: Header=BB268_16 Depth=1
	v_and_b32_e32 v14, 7, v0
	v_lshrrev_b32_e32 v1, 3, v2
	s_mov_b32 s25, exec_lo
	v_cmpx_gt_u32_e32 8, v2
; %bb.87:                               ;   in Loop: Header=BB268_16 Depth=1
	s_delay_alu instid0(VALU_DEP_3) | instskip(NEXT) | instid1(VALU_DEP_1)
	v_clz_i32_u32_e32 v1, v14
	v_min_u32_e32 v1, 32, v1
	s_delay_alu instid0(VALU_DEP_1) | instskip(SKIP_1) | instid1(VALU_DEP_2)
	v_subrev_nc_u32_e32 v2, 28, v1
	v_sub_nc_u32_e32 v1, 29, v1
	v_lshlrev_b64 v[2:3], v2, v[14:15]
	s_delay_alu instid0(VALU_DEP_1)
	v_and_b32_e32 v14, 7, v2
; %bb.88:                               ;   in Loop: Header=BB268_16 Depth=1
	s_or_b32 exec_lo, exec_lo, s25
	v_lshlrev_b32_e32 v2, 24, v0
	s_delay_alu instid0(VALU_DEP_2) | instskip(SKIP_1) | instid1(VALU_DEP_3)
	v_lshlrev_b32_e32 v3, 20, v14
	v_lshl_add_u32 v1, v1, 23, 0x3c000000
	v_and_b32_e32 v2, 0x80000000, v2
	s_delay_alu instid0(VALU_DEP_1) | instskip(NEXT) | instid1(VALU_DEP_1)
	v_or3_b32 v14, v3, v2, v1
	v_dual_mov_b32 v71, v15 :: v_dual_mov_b32 v70, v14
.LBB268_89:                             ;   in Loop: Header=BB268_16 Depth=1
	s_or_b32 exec_lo, exec_lo, s24
.LBB268_90:                             ;   in Loop: Header=BB268_16 Depth=1
	s_delay_alu instid0(SALU_CYCLE_1)
	s_or_b32 exec_lo, exec_lo, s23
.LBB268_91:                             ;   in Loop: Header=BB268_16 Depth=1
	s_delay_alu instid0(SALU_CYCLE_1) | instskip(SKIP_2) | instid1(VALU_DEP_1)
	s_or_b32 exec_lo, exec_lo, s2
	v_lshrrev_b16 v1, 8, v0
	s_mov_b32 s23, exec_lo
	v_cmpx_ne_u16_e32 0, v1
	s_cbranch_execz .LBB268_99
; %bb.92:                               ;   in Loop: Header=BB268_16 Depth=1
	v_dual_mov_b32 v119, s9 :: v_dual_mov_b32 v118, s8
	s_mov_b32 s24, exec_lo
	v_cmpx_ne_u16_e32 0x80, v1
	s_cbranch_execz .LBB268_98
; %bb.93:                               ;   in Loop: Header=BB268_16 Depth=1
	s_mov_b32 s2, s8
	v_and_b32_e32 v1, 0xffff, v1
	v_dual_mov_b32 v119, s3 :: v_dual_mov_b32 v118, s2
	s_mov_b32 s2, exec_lo
	s_delay_alu instid0(VALU_DEP_2) | instskip(NEXT) | instid1(VALU_DEP_1)
	v_and_b32_e32 v2, 0x7f, v1
	v_cmpx_ne_u32_e32 0x7f, v2
	s_cbranch_execz .LBB268_97
; %bb.94:                               ;   in Loop: Header=BB268_16 Depth=1
	v_and_b32_e32 v14, 7, v1
	v_lshrrev_b32_e32 v1, 3, v2
	s_mov_b32 s25, exec_lo
	v_cmpx_gt_u32_e32 8, v2
; %bb.95:                               ;   in Loop: Header=BB268_16 Depth=1
	s_delay_alu instid0(VALU_DEP_3) | instskip(NEXT) | instid1(VALU_DEP_1)
	v_clz_i32_u32_e32 v1, v14
	v_min_u32_e32 v1, 32, v1
	s_delay_alu instid0(VALU_DEP_1) | instskip(SKIP_1) | instid1(VALU_DEP_2)
	v_subrev_nc_u32_e32 v2, 28, v1
	v_sub_nc_u32_e32 v1, 29, v1
	v_lshlrev_b64 v[2:3], v2, v[14:15]
	s_delay_alu instid0(VALU_DEP_1)
	v_and_b32_e32 v14, 7, v2
; %bb.96:                               ;   in Loop: Header=BB268_16 Depth=1
	s_or_b32 exec_lo, exec_lo, s25
	v_lshlrev_b32_e32 v2, 16, v0
	s_delay_alu instid0(VALU_DEP_2) | instskip(SKIP_1) | instid1(VALU_DEP_3)
	v_dual_mov_b32 v118, v15 :: v_dual_lshlrev_b32 v3, 20, v14
	v_lshl_add_u32 v1, v1, 23, 0x3c000000
	v_and_b32_e32 v2, 0x80000000, v2
	s_delay_alu instid0(VALU_DEP_1)
	v_or3_b32 v119, v3, v2, v1
.LBB268_97:                             ;   in Loop: Header=BB268_16 Depth=1
	s_or_b32 exec_lo, exec_lo, s2
.LBB268_98:                             ;   in Loop: Header=BB268_16 Depth=1
	s_delay_alu instid0(SALU_CYCLE_1)
	s_or_b32 exec_lo, exec_lo, s24
.LBB268_99:                             ;   in Loop: Header=BB268_16 Depth=1
	s_delay_alu instid0(SALU_CYCLE_1) | instskip(SKIP_4) | instid1(VALU_DEP_2)
	s_or_b32 exec_lo, exec_lo, s23
	v_mov_b32_e32 v98, 0
	v_lshrrev_b32_e32 v1, 16, v0
	v_mov_b32_e32 v99, 0
	s_mov_b32 s2, exec_lo
	v_and_b32_e32 v2, 0xff, v1
	s_delay_alu instid0(VALU_DEP_2) | instskip(NEXT) | instid1(VALU_DEP_2)
	v_dual_mov_b32 v8, v98 :: v_dual_mov_b32 v9, v99
	v_cmpx_ne_u16_e32 0, v2
	s_cbranch_execz .LBB268_107
; %bb.100:                              ;   in Loop: Header=BB268_16 Depth=1
	v_bfrev_b32_e32 v8, 1
	v_mov_b32_e32 v9, 0
	s_mov_b32 s23, exec_lo
	v_cmpx_ne_u16_e32 0x80, v2
	s_cbranch_execz .LBB268_106
; %bb.101:                              ;   in Loop: Header=BB268_16 Depth=1
	v_mov_b32_e32 v8, 0x7f800001
	v_bfe_u32 v3, v0, 16, 7
	v_mov_b32_e32 v9, 0
	s_mov_b32 s24, exec_lo
	s_delay_alu instid0(VALU_DEP_2)
	v_cmpx_ne_u32_e32 0x7f, v3
	s_cbranch_execz .LBB268_105
; %bb.102:                              ;   in Loop: Header=BB268_16 Depth=1
	v_and_b32_e32 v14, 7, v1
	v_lshrrev_b32_e32 v2, 3, v3
	s_mov_b32 s25, exec_lo
	v_cmpx_gt_u32_e32 8, v3
; %bb.103:                              ;   in Loop: Header=BB268_16 Depth=1
	s_delay_alu instid0(VALU_DEP_3) | instskip(NEXT) | instid1(VALU_DEP_1)
	v_clz_i32_u32_e32 v2, v14
	v_min_u32_e32 v2, 32, v2
	s_delay_alu instid0(VALU_DEP_1) | instskip(SKIP_1) | instid1(VALU_DEP_2)
	v_subrev_nc_u32_e32 v3, 28, v2
	v_sub_nc_u32_e32 v2, 29, v2
	v_lshlrev_b64 v[3:4], v3, v[14:15]
	s_delay_alu instid0(VALU_DEP_1)
	v_and_b32_e32 v14, 7, v3
; %bb.104:                              ;   in Loop: Header=BB268_16 Depth=1
	s_or_b32 exec_lo, exec_lo, s25
	v_lshlrev_b32_e32 v1, 24, v1
	s_delay_alu instid0(VALU_DEP_2) | instskip(SKIP_1) | instid1(VALU_DEP_3)
	v_lshlrev_b32_e32 v3, 20, v14
	v_lshl_add_u32 v2, v2, 23, 0x3c000000
	v_and_b32_e32 v1, 0x80000000, v1
	s_delay_alu instid0(VALU_DEP_1) | instskip(NEXT) | instid1(VALU_DEP_1)
	v_or3_b32 v14, v3, v1, v2
	v_dual_mov_b32 v8, v14 :: v_dual_mov_b32 v9, v15
.LBB268_105:                            ;   in Loop: Header=BB268_16 Depth=1
	s_or_b32 exec_lo, exec_lo, s24
.LBB268_106:                            ;   in Loop: Header=BB268_16 Depth=1
	s_delay_alu instid0(SALU_CYCLE_1)
	s_or_b32 exec_lo, exec_lo, s23
.LBB268_107:                            ;   in Loop: Header=BB268_16 Depth=1
	s_delay_alu instid0(SALU_CYCLE_1) | instskip(NEXT) | instid1(SALU_CYCLE_1)
	s_or_b32 exec_lo, exec_lo, s2
	s_mov_b32 s23, exec_lo
	v_cmpx_lt_u32_e32 0xffffff, v0
	s_cbranch_execz .LBB268_115
; %bb.108:                              ;   in Loop: Header=BB268_16 Depth=1
	v_lshrrev_b32_e32 v1, 24, v0
	v_dual_mov_b32 v99, s9 :: v_dual_mov_b32 v98, s8
	s_mov_b32 s24, exec_lo
	s_delay_alu instid0(VALU_DEP_2)
	v_cmpx_ne_u32_e32 0x80, v1
	s_cbranch_execz .LBB268_114
; %bb.109:                              ;   in Loop: Header=BB268_16 Depth=1
	s_mov_b32 s2, s8
	v_bfe_u32 v2, v0, 24, 7
	v_dual_mov_b32 v99, s3 :: v_dual_mov_b32 v98, s2
	s_mov_b32 s2, exec_lo
	s_delay_alu instid0(VALU_DEP_2)
	v_cmpx_ne_u32_e32 0x7f, v2
	s_cbranch_execz .LBB268_113
; %bb.110:                              ;   in Loop: Header=BB268_16 Depth=1
	v_and_b32_e32 v14, 7, v1
	v_lshrrev_b32_e32 v0, 3, v2
	s_mov_b32 s25, exec_lo
	v_cmpx_gt_u32_e32 8, v2
; %bb.111:                              ;   in Loop: Header=BB268_16 Depth=1
	s_delay_alu instid0(VALU_DEP_3) | instskip(NEXT) | instid1(VALU_DEP_1)
	v_clz_i32_u32_e32 v0, v14
	v_min_u32_e32 v0, 32, v0
	s_delay_alu instid0(VALU_DEP_1) | instskip(SKIP_1) | instid1(VALU_DEP_2)
	v_subrev_nc_u32_e32 v2, 28, v0
	v_sub_nc_u32_e32 v0, 29, v0
	v_lshlrev_b64 v[2:3], v2, v[14:15]
	s_delay_alu instid0(VALU_DEP_1)
	v_and_b32_e32 v14, 7, v2
; %bb.112:                              ;   in Loop: Header=BB268_16 Depth=1
	s_or_b32 exec_lo, exec_lo, s25
	v_dual_mov_b32 v98, v15 :: v_dual_lshlrev_b32 v1, 24, v1
	s_delay_alu instid0(VALU_DEP_2) | instskip(SKIP_1) | instid1(VALU_DEP_3)
	v_lshlrev_b32_e32 v2, 20, v14
	v_lshl_add_u32 v0, v0, 23, 0x3c000000
	v_and_b32_e32 v1, 0x80000000, v1
	s_delay_alu instid0(VALU_DEP_1)
	v_or3_b32 v99, v2, v1, v0
.LBB268_113:                            ;   in Loop: Header=BB268_16 Depth=1
	s_or_b32 exec_lo, exec_lo, s2
.LBB268_114:                            ;   in Loop: Header=BB268_16 Depth=1
	s_delay_alu instid0(SALU_CYCLE_1)
	s_or_b32 exec_lo, exec_lo, s24
.LBB268_115:                            ;   in Loop: Header=BB268_16 Depth=1
	s_delay_alu instid0(SALU_CYCLE_1) | instskip(SKIP_4) | instid1(VALU_DEP_1)
	s_or_b32 exec_lo, exec_lo, s23
	flat_load_b32 v0, v[142:143] offset:12
	v_mov_b32_e32 v54, 0
	v_mov_b32_e32 v55, 0
	s_mov_b32 s2, exec_lo
	v_dual_mov_b32 v83, v55 :: v_dual_mov_b32 v82, v54
	s_waitcnt vmcnt(0) lgkmcnt(0)
	v_and_b32_e32 v1, 0xff, v0
	s_delay_alu instid0(VALU_DEP_1)
	v_cmpx_ne_u16_e32 0, v1
	s_cbranch_execz .LBB268_123
; %bb.116:                              ;   in Loop: Header=BB268_16 Depth=1
	v_bfrev_b32_e32 v82, 1
	v_mov_b32_e32 v83, 0
	s_mov_b32 s23, exec_lo
	v_cmpx_ne_u16_e32 0x80, v1
	s_cbranch_execz .LBB268_122
; %bb.117:                              ;   in Loop: Header=BB268_16 Depth=1
	v_mov_b32_e32 v82, 0x7f800001
	v_dual_mov_b32 v83, 0 :: v_dual_and_b32 v2, 0x7f, v0
	s_mov_b32 s24, exec_lo
	s_delay_alu instid0(VALU_DEP_1)
	v_cmpx_ne_u32_e32 0x7f, v2
	s_cbranch_execz .LBB268_121
; %bb.118:                              ;   in Loop: Header=BB268_16 Depth=1
	v_and_b32_e32 v14, 7, v0
	v_lshrrev_b32_e32 v1, 3, v2
	s_mov_b32 s25, exec_lo
	v_cmpx_gt_u32_e32 8, v2
; %bb.119:                              ;   in Loop: Header=BB268_16 Depth=1
	s_delay_alu instid0(VALU_DEP_3) | instskip(NEXT) | instid1(VALU_DEP_1)
	v_clz_i32_u32_e32 v1, v14
	v_min_u32_e32 v1, 32, v1
	s_delay_alu instid0(VALU_DEP_1) | instskip(SKIP_1) | instid1(VALU_DEP_2)
	v_subrev_nc_u32_e32 v2, 28, v1
	v_sub_nc_u32_e32 v1, 29, v1
	v_lshlrev_b64 v[2:3], v2, v[14:15]
	s_delay_alu instid0(VALU_DEP_1)
	v_and_b32_e32 v14, 7, v2
; %bb.120:                              ;   in Loop: Header=BB268_16 Depth=1
	s_or_b32 exec_lo, exec_lo, s25
	v_lshlrev_b32_e32 v2, 24, v0
	s_delay_alu instid0(VALU_DEP_2) | instskip(SKIP_1) | instid1(VALU_DEP_3)
	v_lshlrev_b32_e32 v3, 20, v14
	v_lshl_add_u32 v1, v1, 23, 0x3c000000
	v_and_b32_e32 v2, 0x80000000, v2
	s_delay_alu instid0(VALU_DEP_1) | instskip(NEXT) | instid1(VALU_DEP_1)
	v_or3_b32 v14, v3, v2, v1
	v_dual_mov_b32 v83, v15 :: v_dual_mov_b32 v82, v14
.LBB268_121:                            ;   in Loop: Header=BB268_16 Depth=1
	s_or_b32 exec_lo, exec_lo, s24
.LBB268_122:                            ;   in Loop: Header=BB268_16 Depth=1
	s_delay_alu instid0(SALU_CYCLE_1)
	s_or_b32 exec_lo, exec_lo, s23
.LBB268_123:                            ;   in Loop: Header=BB268_16 Depth=1
	s_delay_alu instid0(SALU_CYCLE_1) | instskip(SKIP_2) | instid1(VALU_DEP_1)
	s_or_b32 exec_lo, exec_lo, s2
	v_lshrrev_b16 v1, 8, v0
	s_mov_b32 s23, exec_lo
	v_cmpx_ne_u16_e32 0, v1
	s_cbranch_execz .LBB268_131
; %bb.124:                              ;   in Loop: Header=BB268_16 Depth=1
	v_dual_mov_b32 v55, s9 :: v_dual_mov_b32 v54, s8
	s_mov_b32 s24, exec_lo
	v_cmpx_ne_u16_e32 0x80, v1
	s_cbranch_execz .LBB268_130
; %bb.125:                              ;   in Loop: Header=BB268_16 Depth=1
	s_mov_b32 s2, s8
	v_and_b32_e32 v1, 0xffff, v1
	v_dual_mov_b32 v55, s3 :: v_dual_mov_b32 v54, s2
	s_mov_b32 s2, exec_lo
	s_delay_alu instid0(VALU_DEP_2) | instskip(NEXT) | instid1(VALU_DEP_1)
	v_and_b32_e32 v2, 0x7f, v1
	v_cmpx_ne_u32_e32 0x7f, v2
	s_cbranch_execz .LBB268_129
; %bb.126:                              ;   in Loop: Header=BB268_16 Depth=1
	v_and_b32_e32 v14, 7, v1
	v_lshrrev_b32_e32 v1, 3, v2
	s_mov_b32 s25, exec_lo
	v_cmpx_gt_u32_e32 8, v2
; %bb.127:                              ;   in Loop: Header=BB268_16 Depth=1
	s_delay_alu instid0(VALU_DEP_3) | instskip(NEXT) | instid1(VALU_DEP_1)
	v_clz_i32_u32_e32 v1, v14
	v_min_u32_e32 v1, 32, v1
	s_delay_alu instid0(VALU_DEP_1) | instskip(SKIP_1) | instid1(VALU_DEP_2)
	v_subrev_nc_u32_e32 v2, 28, v1
	v_sub_nc_u32_e32 v1, 29, v1
	v_lshlrev_b64 v[2:3], v2, v[14:15]
	s_delay_alu instid0(VALU_DEP_1)
	v_and_b32_e32 v14, 7, v2
; %bb.128:                              ;   in Loop: Header=BB268_16 Depth=1
	s_or_b32 exec_lo, exec_lo, s25
	v_lshlrev_b32_e32 v2, 16, v0
	s_delay_alu instid0(VALU_DEP_2) | instskip(SKIP_1) | instid1(VALU_DEP_3)
	v_dual_mov_b32 v54, v15 :: v_dual_lshlrev_b32 v3, 20, v14
	v_lshl_add_u32 v1, v1, 23, 0x3c000000
	v_and_b32_e32 v2, 0x80000000, v2
	s_delay_alu instid0(VALU_DEP_1)
	v_or3_b32 v55, v3, v2, v1
.LBB268_129:                            ;   in Loop: Header=BB268_16 Depth=1
	s_or_b32 exec_lo, exec_lo, s2
.LBB268_130:                            ;   in Loop: Header=BB268_16 Depth=1
	s_delay_alu instid0(SALU_CYCLE_1)
	s_or_b32 exec_lo, exec_lo, s24
.LBB268_131:                            ;   in Loop: Header=BB268_16 Depth=1
	s_delay_alu instid0(SALU_CYCLE_1) | instskip(SKIP_4) | instid1(VALU_DEP_3)
	s_or_b32 exec_lo, exec_lo, s23
	v_lshrrev_b32_e32 v1, 16, v0
	v_mov_b32_e32 v60, 0
	v_mov_b32_e32 v61, 0
	s_mov_b32 s2, exec_lo
	v_and_b32_e32 v2, 0xff, v1
	scratch_store_b64 off, v[60:61], s32 offset:376 ; 8-byte Folded Spill
	v_cmpx_ne_u16_e32 0, v2
	s_cbranch_execz .LBB268_139
; %bb.132:                              ;   in Loop: Header=BB268_16 Depth=1
	v_cmp_ne_u16_e64 s1, 0x80, v2
	v_bfrev_b32_e32 v2, 1
	v_mov_b32_e32 v3, 0
	scratch_store_b64 off, v[2:3], s32 offset:376 ; 8-byte Folded Spill
	s_and_saveexec_b32 s23, s1
	s_cbranch_execz .LBB268_138
; %bb.133:                              ;   in Loop: Header=BB268_16 Depth=1
	v_mov_b32_e32 v4, 0x7f800001
	v_bfe_u32 v3, v0, 16, 7
	v_mov_b32_e32 v5, 0
	s_mov_b32 s24, exec_lo
	scratch_store_b64 off, v[4:5], s32 offset:376 ; 8-byte Folded Spill
	v_cmpx_ne_u32_e32 0x7f, v3
	s_cbranch_execz .LBB268_137
; %bb.134:                              ;   in Loop: Header=BB268_16 Depth=1
	v_and_b32_e32 v14, 7, v1
	v_lshrrev_b32_e32 v2, 3, v3
	s_mov_b32 s25, exec_lo
	v_cmpx_gt_u32_e32 8, v3
; %bb.135:                              ;   in Loop: Header=BB268_16 Depth=1
	s_delay_alu instid0(VALU_DEP_3) | instskip(NEXT) | instid1(VALU_DEP_1)
	v_clz_i32_u32_e32 v2, v14
	v_min_u32_e32 v2, 32, v2
	s_delay_alu instid0(VALU_DEP_1) | instskip(SKIP_1) | instid1(VALU_DEP_2)
	v_subrev_nc_u32_e32 v3, 28, v2
	v_sub_nc_u32_e32 v2, 29, v2
	v_lshlrev_b64 v[3:4], v3, v[14:15]
	s_delay_alu instid0(VALU_DEP_1)
	v_and_b32_e32 v14, 7, v3
; %bb.136:                              ;   in Loop: Header=BB268_16 Depth=1
	s_or_b32 exec_lo, exec_lo, s25
	v_lshlrev_b32_e32 v1, 24, v1
	s_delay_alu instid0(VALU_DEP_2) | instskip(SKIP_1) | instid1(VALU_DEP_3)
	v_lshlrev_b32_e32 v3, 20, v14
	v_lshl_add_u32 v2, v2, 23, 0x3c000000
	v_and_b32_e32 v1, 0x80000000, v1
	s_delay_alu instid0(VALU_DEP_1)
	v_or3_b32 v14, v3, v1, v2
	scratch_store_b64 off, v[14:15], s32 offset:376 ; 8-byte Folded Spill
.LBB268_137:                            ;   in Loop: Header=BB268_16 Depth=1
	s_or_b32 exec_lo, exec_lo, s24
.LBB268_138:                            ;   in Loop: Header=BB268_16 Depth=1
	s_delay_alu instid0(SALU_CYCLE_1)
	s_or_b32 exec_lo, exec_lo, s23
.LBB268_139:                            ;   in Loop: Header=BB268_16 Depth=1
	s_delay_alu instid0(SALU_CYCLE_1) | instskip(NEXT) | instid1(SALU_CYCLE_1)
	s_or_b32 exec_lo, exec_lo, s2
	s_mov_b32 s23, exec_lo
	v_cmpx_lt_u32_e32 0xffffff, v0
	s_cbranch_execz .LBB268_147
; %bb.140:                              ;   in Loop: Header=BB268_16 Depth=1
	v_lshrrev_b32_e32 v1, 24, v0
	v_dual_mov_b32 v61, s9 :: v_dual_mov_b32 v60, s8
	s_mov_b32 s24, exec_lo
	s_delay_alu instid0(VALU_DEP_2)
	v_cmpx_ne_u32_e32 0x80, v1
	s_cbranch_execz .LBB268_146
; %bb.141:                              ;   in Loop: Header=BB268_16 Depth=1
	s_mov_b32 s2, s8
	v_bfe_u32 v2, v0, 24, 7
	v_dual_mov_b32 v61, s3 :: v_dual_mov_b32 v60, s2
	s_mov_b32 s2, exec_lo
	s_delay_alu instid0(VALU_DEP_2)
	v_cmpx_ne_u32_e32 0x7f, v2
	s_cbranch_execz .LBB268_145
; %bb.142:                              ;   in Loop: Header=BB268_16 Depth=1
	v_and_b32_e32 v14, 7, v1
	v_lshrrev_b32_e32 v0, 3, v2
	s_mov_b32 s25, exec_lo
	v_cmpx_gt_u32_e32 8, v2
; %bb.143:                              ;   in Loop: Header=BB268_16 Depth=1
	s_delay_alu instid0(VALU_DEP_3) | instskip(NEXT) | instid1(VALU_DEP_1)
	v_clz_i32_u32_e32 v0, v14
	v_min_u32_e32 v0, 32, v0
	s_delay_alu instid0(VALU_DEP_1) | instskip(SKIP_1) | instid1(VALU_DEP_2)
	v_subrev_nc_u32_e32 v2, 28, v0
	v_sub_nc_u32_e32 v0, 29, v0
	v_lshlrev_b64 v[2:3], v2, v[14:15]
	s_delay_alu instid0(VALU_DEP_1)
	v_and_b32_e32 v14, 7, v2
; %bb.144:                              ;   in Loop: Header=BB268_16 Depth=1
	s_or_b32 exec_lo, exec_lo, s25
	v_dual_mov_b32 v60, v15 :: v_dual_lshlrev_b32 v1, 24, v1
	s_delay_alu instid0(VALU_DEP_2) | instskip(SKIP_1) | instid1(VALU_DEP_3)
	v_lshlrev_b32_e32 v2, 20, v14
	v_lshl_add_u32 v0, v0, 23, 0x3c000000
	v_and_b32_e32 v1, 0x80000000, v1
	s_delay_alu instid0(VALU_DEP_1)
	v_or3_b32 v61, v2, v1, v0
.LBB268_145:                            ;   in Loop: Header=BB268_16 Depth=1
	s_or_b32 exec_lo, exec_lo, s2
.LBB268_146:                            ;   in Loop: Header=BB268_16 Depth=1
	s_delay_alu instid0(SALU_CYCLE_1)
	s_or_b32 exec_lo, exec_lo, s24
.LBB268_147:                            ;   in Loop: Header=BB268_16 Depth=1
	s_delay_alu instid0(SALU_CYCLE_1)
	s_or_b32 exec_lo, exec_lo, s23
	flat_load_b32 v0, v[142:143] offset:512
	v_mov_b32_e32 v2, 0
	v_mov_b32_e32 v3, 0
	s_mov_b32 s2, exec_lo
	s_clause 0x1
	scratch_store_b64 off, v[2:3], s32 offset:384
	scratch_store_b64 off, v[2:3], s32 offset:392
	s_waitcnt vmcnt(0) lgkmcnt(0)
	v_and_b32_e32 v1, 0xff, v0
	s_delay_alu instid0(VALU_DEP_1)
	v_cmpx_ne_u16_e32 0, v1
	s_cbranch_execz .LBB268_155
; %bb.148:                              ;   in Loop: Header=BB268_16 Depth=1
	v_cmp_ne_u16_e64 s1, 0x80, v1
	v_bfrev_b32_e32 v1, 1
	v_mov_b32_e32 v2, 0
	scratch_store_b64 off, v[1:2], s32 offset:392 ; 8-byte Folded Spill
	s_and_saveexec_b32 s23, s1
	s_cbranch_execz .LBB268_154
; %bb.149:                              ;   in Loop: Header=BB268_16 Depth=1
	v_mov_b32_e32 v3, 0x7f800001
	v_and_b32_e32 v2, 0x7f, v0
	v_mov_b32_e32 v4, 0
	s_mov_b32 s24, exec_lo
	scratch_store_b64 off, v[3:4], s32 offset:392 ; 8-byte Folded Spill
	v_cmpx_ne_u32_e32 0x7f, v2
	s_cbranch_execz .LBB268_153
; %bb.150:                              ;   in Loop: Header=BB268_16 Depth=1
	v_and_b32_e32 v14, 7, v0
	v_lshrrev_b32_e32 v1, 3, v2
	s_mov_b32 s25, exec_lo
	v_cmpx_gt_u32_e32 8, v2
; %bb.151:                              ;   in Loop: Header=BB268_16 Depth=1
	s_delay_alu instid0(VALU_DEP_3) | instskip(NEXT) | instid1(VALU_DEP_1)
	v_clz_i32_u32_e32 v1, v14
	v_min_u32_e32 v1, 32, v1
	s_delay_alu instid0(VALU_DEP_1) | instskip(SKIP_1) | instid1(VALU_DEP_2)
	v_subrev_nc_u32_e32 v2, 28, v1
	v_sub_nc_u32_e32 v1, 29, v1
	v_lshlrev_b64 v[2:3], v2, v[14:15]
	s_delay_alu instid0(VALU_DEP_1)
	v_and_b32_e32 v14, 7, v2
; %bb.152:                              ;   in Loop: Header=BB268_16 Depth=1
	s_or_b32 exec_lo, exec_lo, s25
	v_lshlrev_b32_e32 v2, 24, v0
	s_delay_alu instid0(VALU_DEP_2) | instskip(SKIP_1) | instid1(VALU_DEP_3)
	v_lshlrev_b32_e32 v3, 20, v14
	v_lshl_add_u32 v1, v1, 23, 0x3c000000
	v_and_b32_e32 v2, 0x80000000, v2
	s_delay_alu instid0(VALU_DEP_1)
	v_or3_b32 v14, v3, v2, v1
	scratch_store_b64 off, v[14:15], s32 offset:392 ; 8-byte Folded Spill
.LBB268_153:                            ;   in Loop: Header=BB268_16 Depth=1
	s_or_b32 exec_lo, exec_lo, s24
.LBB268_154:                            ;   in Loop: Header=BB268_16 Depth=1
	s_delay_alu instid0(SALU_CYCLE_1)
	s_or_b32 exec_lo, exec_lo, s23
.LBB268_155:                            ;   in Loop: Header=BB268_16 Depth=1
	s_delay_alu instid0(SALU_CYCLE_1) | instskip(SKIP_2) | instid1(VALU_DEP_1)
	s_or_b32 exec_lo, exec_lo, s2
	v_lshrrev_b16 v1, 8, v0
	s_mov_b32 s23, exec_lo
	v_cmpx_ne_u16_e32 0, v1
	s_cbranch_execz .LBB268_163
; %bb.156:                              ;   in Loop: Header=BB268_16 Depth=1
	v_dual_mov_b32 v2, s8 :: v_dual_mov_b32 v3, s9
	s_mov_b32 s24, exec_lo
	scratch_store_b64 off, v[2:3], s32 offset:384 ; 8-byte Folded Spill
	v_cmpx_ne_u16_e32 0x80, v1
	s_cbranch_execz .LBB268_162
; %bb.157:                              ;   in Loop: Header=BB268_16 Depth=1
	s_mov_b32 s2, s8
	v_dual_mov_b32 v4, s3 :: v_dual_and_b32 v1, 0xffff, v1
	v_mov_b32_e32 v3, s2
	s_mov_b32 s2, exec_lo
	s_delay_alu instid0(VALU_DEP_2)
	v_and_b32_e32 v2, 0x7f, v1
	scratch_store_b64 off, v[3:4], s32 offset:384 ; 8-byte Folded Spill
	v_cmpx_ne_u32_e32 0x7f, v2
	s_cbranch_execz .LBB268_161
; %bb.158:                              ;   in Loop: Header=BB268_16 Depth=1
	v_and_b32_e32 v14, 7, v1
	v_lshrrev_b32_e32 v1, 3, v2
	s_mov_b32 s25, exec_lo
	v_cmpx_gt_u32_e32 8, v2
; %bb.159:                              ;   in Loop: Header=BB268_16 Depth=1
	s_delay_alu instid0(VALU_DEP_3) | instskip(NEXT) | instid1(VALU_DEP_1)
	v_clz_i32_u32_e32 v1, v14
	v_min_u32_e32 v1, 32, v1
	s_delay_alu instid0(VALU_DEP_1) | instskip(SKIP_1) | instid1(VALU_DEP_2)
	v_subrev_nc_u32_e32 v2, 28, v1
	v_sub_nc_u32_e32 v1, 29, v1
	v_lshlrev_b64 v[2:3], v2, v[14:15]
	s_delay_alu instid0(VALU_DEP_1)
	v_and_b32_e32 v14, 7, v2
; %bb.160:                              ;   in Loop: Header=BB268_16 Depth=1
	s_or_b32 exec_lo, exec_lo, s25
	v_lshlrev_b32_e32 v2, 16, v0
	s_delay_alu instid0(VALU_DEP_2) | instskip(SKIP_1) | instid1(VALU_DEP_3)
	v_lshlrev_b32_e32 v3, 20, v14
	v_lshl_add_u32 v1, v1, 23, 0x3c000000
	v_and_b32_e32 v2, 0x80000000, v2
	s_delay_alu instid0(VALU_DEP_1)
	v_or3_b32 v2, v3, v2, v1
	v_mov_b32_e32 v1, v15
	scratch_store_b64 off, v[1:2], s32 offset:384 ; 8-byte Folded Spill
.LBB268_161:                            ;   in Loop: Header=BB268_16 Depth=1
	s_or_b32 exec_lo, exec_lo, s2
.LBB268_162:                            ;   in Loop: Header=BB268_16 Depth=1
	s_delay_alu instid0(SALU_CYCLE_1)
	s_or_b32 exec_lo, exec_lo, s24
.LBB268_163:                            ;   in Loop: Header=BB268_16 Depth=1
	s_delay_alu instid0(SALU_CYCLE_1)
	s_or_b32 exec_lo, exec_lo, s23
	v_lshrrev_b32_e32 v1, 16, v0
	v_mov_b32_e32 v3, 0
	v_mov_b32_e32 v4, 0
	s_mov_b32 s2, exec_lo
	s_clause 0x1
	scratch_store_b64 off, v[3:4], s32 offset:400
	scratch_store_b64 off, v[3:4], s32 offset:408
	v_and_b32_e32 v2, 0xff, v1
	s_delay_alu instid0(VALU_DEP_1)
	v_cmpx_ne_u16_e32 0, v2
	s_cbranch_execz .LBB268_171
; %bb.164:                              ;   in Loop: Header=BB268_16 Depth=1
	v_cmp_ne_u16_e64 s1, 0x80, v2
	v_bfrev_b32_e32 v2, 1
	v_mov_b32_e32 v3, 0
	scratch_store_b64 off, v[2:3], s32 offset:408 ; 8-byte Folded Spill
	s_and_saveexec_b32 s23, s1
	s_cbranch_execz .LBB268_170
; %bb.165:                              ;   in Loop: Header=BB268_16 Depth=1
	v_mov_b32_e32 v4, 0x7f800001
	v_bfe_u32 v3, v0, 16, 7
	v_mov_b32_e32 v5, 0
	s_mov_b32 s24, exec_lo
	scratch_store_b64 off, v[4:5], s32 offset:408 ; 8-byte Folded Spill
	v_cmpx_ne_u32_e32 0x7f, v3
	s_cbranch_execz .LBB268_169
; %bb.166:                              ;   in Loop: Header=BB268_16 Depth=1
	v_and_b32_e32 v14, 7, v1
	v_lshrrev_b32_e32 v2, 3, v3
	s_mov_b32 s25, exec_lo
	v_cmpx_gt_u32_e32 8, v3
; %bb.167:                              ;   in Loop: Header=BB268_16 Depth=1
	s_delay_alu instid0(VALU_DEP_3) | instskip(NEXT) | instid1(VALU_DEP_1)
	v_clz_i32_u32_e32 v2, v14
	v_min_u32_e32 v2, 32, v2
	s_delay_alu instid0(VALU_DEP_1) | instskip(SKIP_1) | instid1(VALU_DEP_2)
	v_subrev_nc_u32_e32 v3, 28, v2
	v_sub_nc_u32_e32 v2, 29, v2
	v_lshlrev_b64 v[3:4], v3, v[14:15]
	s_delay_alu instid0(VALU_DEP_1)
	v_and_b32_e32 v14, 7, v3
; %bb.168:                              ;   in Loop: Header=BB268_16 Depth=1
	s_or_b32 exec_lo, exec_lo, s25
	v_lshlrev_b32_e32 v1, 24, v1
	s_delay_alu instid0(VALU_DEP_2) | instskip(SKIP_1) | instid1(VALU_DEP_3)
	v_lshlrev_b32_e32 v3, 20, v14
	v_lshl_add_u32 v2, v2, 23, 0x3c000000
	v_and_b32_e32 v1, 0x80000000, v1
	s_delay_alu instid0(VALU_DEP_1)
	v_or3_b32 v14, v3, v1, v2
	scratch_store_b64 off, v[14:15], s32 offset:408 ; 8-byte Folded Spill
.LBB268_169:                            ;   in Loop: Header=BB268_16 Depth=1
	s_or_b32 exec_lo, exec_lo, s24
.LBB268_170:                            ;   in Loop: Header=BB268_16 Depth=1
	s_delay_alu instid0(SALU_CYCLE_1)
	s_or_b32 exec_lo, exec_lo, s23
.LBB268_171:                            ;   in Loop: Header=BB268_16 Depth=1
	s_delay_alu instid0(SALU_CYCLE_1) | instskip(NEXT) | instid1(SALU_CYCLE_1)
	s_or_b32 exec_lo, exec_lo, s2
	s_mov_b32 s23, exec_lo
	v_cmpx_lt_u32_e32 0xffffff, v0
	s_cbranch_execz .LBB268_179
; %bb.172:                              ;   in Loop: Header=BB268_16 Depth=1
	v_lshrrev_b32_e32 v1, 24, v0
	v_dual_mov_b32 v2, s8 :: v_dual_mov_b32 v3, s9
	s_mov_b32 s24, exec_lo
	scratch_store_b64 off, v[2:3], s32 offset:400 ; 8-byte Folded Spill
	v_cmpx_ne_u32_e32 0x80, v1
	s_cbranch_execz .LBB268_178
; %bb.173:                              ;   in Loop: Header=BB268_16 Depth=1
	s_mov_b32 s2, s8
	v_bfe_u32 v2, v0, 24, 7
	v_dual_mov_b32 v4, s3 :: v_dual_mov_b32 v3, s2
	s_mov_b32 s2, exec_lo
	scratch_store_b64 off, v[3:4], s32 offset:400 ; 8-byte Folded Spill
	v_cmpx_ne_u32_e32 0x7f, v2
	s_cbranch_execz .LBB268_177
; %bb.174:                              ;   in Loop: Header=BB268_16 Depth=1
	v_and_b32_e32 v14, 7, v1
	v_lshrrev_b32_e32 v0, 3, v2
	s_mov_b32 s25, exec_lo
	v_cmpx_gt_u32_e32 8, v2
; %bb.175:                              ;   in Loop: Header=BB268_16 Depth=1
	s_delay_alu instid0(VALU_DEP_3) | instskip(NEXT) | instid1(VALU_DEP_1)
	v_clz_i32_u32_e32 v0, v14
	v_min_u32_e32 v0, 32, v0
	s_delay_alu instid0(VALU_DEP_1) | instskip(SKIP_1) | instid1(VALU_DEP_2)
	v_subrev_nc_u32_e32 v2, 28, v0
	v_sub_nc_u32_e32 v0, 29, v0
	v_lshlrev_b64 v[2:3], v2, v[14:15]
	s_delay_alu instid0(VALU_DEP_1)
	v_and_b32_e32 v14, 7, v2
; %bb.176:                              ;   in Loop: Header=BB268_16 Depth=1
	s_or_b32 exec_lo, exec_lo, s25
	v_lshlrev_b32_e32 v1, 24, v1
	s_delay_alu instid0(VALU_DEP_2) | instskip(SKIP_1) | instid1(VALU_DEP_3)
	v_lshlrev_b32_e32 v2, 20, v14
	v_lshl_add_u32 v0, v0, 23, 0x3c000000
	v_and_b32_e32 v1, 0x80000000, v1
	s_delay_alu instid0(VALU_DEP_1)
	v_or3_b32 v1, v2, v1, v0
	v_mov_b32_e32 v0, v15
	scratch_store_b64 off, v[0:1], s32 offset:400 ; 8-byte Folded Spill
.LBB268_177:                            ;   in Loop: Header=BB268_16 Depth=1
	s_or_b32 exec_lo, exec_lo, s2
.LBB268_178:                            ;   in Loop: Header=BB268_16 Depth=1
	s_delay_alu instid0(SALU_CYCLE_1)
	s_or_b32 exec_lo, exec_lo, s24
.LBB268_179:                            ;   in Loop: Header=BB268_16 Depth=1
	s_delay_alu instid0(SALU_CYCLE_1)
	s_or_b32 exec_lo, exec_lo, s23
	flat_load_b32 v0, v[142:143] offset:516
	v_mov_b32_e32 v2, 0
	v_mov_b32_e32 v3, 0
	s_mov_b32 s2, exec_lo
	s_clause 0x1
	scratch_store_b64 off, v[2:3], s32 offset:416
	scratch_store_b64 off, v[2:3], s32 offset:424
	s_waitcnt vmcnt(0) lgkmcnt(0)
	v_and_b32_e32 v1, 0xff, v0
	s_delay_alu instid0(VALU_DEP_1)
	v_cmpx_ne_u16_e32 0, v1
	s_cbranch_execz .LBB268_187
; %bb.180:                              ;   in Loop: Header=BB268_16 Depth=1
	v_cmp_ne_u16_e64 s1, 0x80, v1
	v_bfrev_b32_e32 v1, 1
	v_mov_b32_e32 v2, 0
	scratch_store_b64 off, v[1:2], s32 offset:424 ; 8-byte Folded Spill
	s_and_saveexec_b32 s23, s1
	s_cbranch_execz .LBB268_186
; %bb.181:                              ;   in Loop: Header=BB268_16 Depth=1
	v_mov_b32_e32 v3, 0x7f800001
	v_and_b32_e32 v2, 0x7f, v0
	v_mov_b32_e32 v4, 0
	s_mov_b32 s24, exec_lo
	scratch_store_b64 off, v[3:4], s32 offset:424 ; 8-byte Folded Spill
	v_cmpx_ne_u32_e32 0x7f, v2
	s_cbranch_execz .LBB268_185
; %bb.182:                              ;   in Loop: Header=BB268_16 Depth=1
	v_and_b32_e32 v14, 7, v0
	v_lshrrev_b32_e32 v1, 3, v2
	s_mov_b32 s25, exec_lo
	v_cmpx_gt_u32_e32 8, v2
; %bb.183:                              ;   in Loop: Header=BB268_16 Depth=1
	s_delay_alu instid0(VALU_DEP_3) | instskip(NEXT) | instid1(VALU_DEP_1)
	v_clz_i32_u32_e32 v1, v14
	v_min_u32_e32 v1, 32, v1
	s_delay_alu instid0(VALU_DEP_1) | instskip(SKIP_1) | instid1(VALU_DEP_2)
	v_subrev_nc_u32_e32 v2, 28, v1
	v_sub_nc_u32_e32 v1, 29, v1
	v_lshlrev_b64 v[2:3], v2, v[14:15]
	s_delay_alu instid0(VALU_DEP_1)
	v_and_b32_e32 v14, 7, v2
; %bb.184:                              ;   in Loop: Header=BB268_16 Depth=1
	s_or_b32 exec_lo, exec_lo, s25
	v_lshlrev_b32_e32 v2, 24, v0
	s_delay_alu instid0(VALU_DEP_2) | instskip(SKIP_1) | instid1(VALU_DEP_3)
	v_lshlrev_b32_e32 v3, 20, v14
	v_lshl_add_u32 v1, v1, 23, 0x3c000000
	v_and_b32_e32 v2, 0x80000000, v2
	s_delay_alu instid0(VALU_DEP_1)
	v_or3_b32 v14, v3, v2, v1
	scratch_store_b64 off, v[14:15], s32 offset:424 ; 8-byte Folded Spill
.LBB268_185:                            ;   in Loop: Header=BB268_16 Depth=1
	s_or_b32 exec_lo, exec_lo, s24
.LBB268_186:                            ;   in Loop: Header=BB268_16 Depth=1
	s_delay_alu instid0(SALU_CYCLE_1)
	s_or_b32 exec_lo, exec_lo, s23
.LBB268_187:                            ;   in Loop: Header=BB268_16 Depth=1
	s_delay_alu instid0(SALU_CYCLE_1) | instskip(SKIP_2) | instid1(VALU_DEP_1)
	s_or_b32 exec_lo, exec_lo, s2
	v_lshrrev_b16 v1, 8, v0
	s_mov_b32 s23, exec_lo
	v_cmpx_ne_u16_e32 0, v1
	s_cbranch_execz .LBB268_195
; %bb.188:                              ;   in Loop: Header=BB268_16 Depth=1
	v_dual_mov_b32 v2, s8 :: v_dual_mov_b32 v3, s9
	s_mov_b32 s24, exec_lo
	scratch_store_b64 off, v[2:3], s32 offset:416 ; 8-byte Folded Spill
	v_cmpx_ne_u16_e32 0x80, v1
	s_cbranch_execz .LBB268_194
; %bb.189:                              ;   in Loop: Header=BB268_16 Depth=1
	s_mov_b32 s2, s8
	v_dual_mov_b32 v4, s3 :: v_dual_and_b32 v1, 0xffff, v1
	v_mov_b32_e32 v3, s2
	s_mov_b32 s2, exec_lo
	s_delay_alu instid0(VALU_DEP_2)
	v_and_b32_e32 v2, 0x7f, v1
	scratch_store_b64 off, v[3:4], s32 offset:416 ; 8-byte Folded Spill
	v_cmpx_ne_u32_e32 0x7f, v2
	s_cbranch_execz .LBB268_193
; %bb.190:                              ;   in Loop: Header=BB268_16 Depth=1
	v_and_b32_e32 v14, 7, v1
	v_lshrrev_b32_e32 v1, 3, v2
	s_mov_b32 s25, exec_lo
	v_cmpx_gt_u32_e32 8, v2
; %bb.191:                              ;   in Loop: Header=BB268_16 Depth=1
	s_delay_alu instid0(VALU_DEP_3) | instskip(NEXT) | instid1(VALU_DEP_1)
	v_clz_i32_u32_e32 v1, v14
	v_min_u32_e32 v1, 32, v1
	s_delay_alu instid0(VALU_DEP_1) | instskip(SKIP_1) | instid1(VALU_DEP_2)
	v_subrev_nc_u32_e32 v2, 28, v1
	v_sub_nc_u32_e32 v1, 29, v1
	v_lshlrev_b64 v[2:3], v2, v[14:15]
	s_delay_alu instid0(VALU_DEP_1)
	v_and_b32_e32 v14, 7, v2
; %bb.192:                              ;   in Loop: Header=BB268_16 Depth=1
	s_or_b32 exec_lo, exec_lo, s25
	v_lshlrev_b32_e32 v2, 16, v0
	s_delay_alu instid0(VALU_DEP_2) | instskip(SKIP_1) | instid1(VALU_DEP_3)
	v_lshlrev_b32_e32 v3, 20, v14
	v_lshl_add_u32 v1, v1, 23, 0x3c000000
	v_and_b32_e32 v2, 0x80000000, v2
	s_delay_alu instid0(VALU_DEP_1)
	v_or3_b32 v2, v3, v2, v1
	v_mov_b32_e32 v1, v15
	scratch_store_b64 off, v[1:2], s32 offset:416 ; 8-byte Folded Spill
.LBB268_193:                            ;   in Loop: Header=BB268_16 Depth=1
	s_or_b32 exec_lo, exec_lo, s2
.LBB268_194:                            ;   in Loop: Header=BB268_16 Depth=1
	s_delay_alu instid0(SALU_CYCLE_1)
	s_or_b32 exec_lo, exec_lo, s24
.LBB268_195:                            ;   in Loop: Header=BB268_16 Depth=1
	s_delay_alu instid0(SALU_CYCLE_1)
	s_or_b32 exec_lo, exec_lo, s23
	v_lshrrev_b32_e32 v1, 16, v0
	v_mov_b32_e32 v3, 0
	v_mov_b32_e32 v4, 0
	s_mov_b32 s2, exec_lo
	s_clause 0x1
	scratch_store_b64 off, v[3:4], s32 offset:432
	scratch_store_b64 off, v[3:4], s32 offset:440
	v_and_b32_e32 v2, 0xff, v1
	s_delay_alu instid0(VALU_DEP_1)
	v_cmpx_ne_u16_e32 0, v2
	s_cbranch_execz .LBB268_203
; %bb.196:                              ;   in Loop: Header=BB268_16 Depth=1
	v_cmp_ne_u16_e64 s1, 0x80, v2
	v_bfrev_b32_e32 v2, 1
	v_mov_b32_e32 v3, 0
	scratch_store_b64 off, v[2:3], s32 offset:440 ; 8-byte Folded Spill
	s_and_saveexec_b32 s23, s1
	s_cbranch_execz .LBB268_202
; %bb.197:                              ;   in Loop: Header=BB268_16 Depth=1
	v_mov_b32_e32 v4, 0x7f800001
	v_bfe_u32 v3, v0, 16, 7
	v_mov_b32_e32 v5, 0
	s_mov_b32 s24, exec_lo
	scratch_store_b64 off, v[4:5], s32 offset:440 ; 8-byte Folded Spill
	v_cmpx_ne_u32_e32 0x7f, v3
	s_cbranch_execz .LBB268_201
; %bb.198:                              ;   in Loop: Header=BB268_16 Depth=1
	v_and_b32_e32 v14, 7, v1
	v_lshrrev_b32_e32 v2, 3, v3
	s_mov_b32 s25, exec_lo
	v_cmpx_gt_u32_e32 8, v3
; %bb.199:                              ;   in Loop: Header=BB268_16 Depth=1
	s_delay_alu instid0(VALU_DEP_3) | instskip(NEXT) | instid1(VALU_DEP_1)
	v_clz_i32_u32_e32 v2, v14
	v_min_u32_e32 v2, 32, v2
	s_delay_alu instid0(VALU_DEP_1) | instskip(SKIP_1) | instid1(VALU_DEP_2)
	v_subrev_nc_u32_e32 v3, 28, v2
	v_sub_nc_u32_e32 v2, 29, v2
	v_lshlrev_b64 v[3:4], v3, v[14:15]
	s_delay_alu instid0(VALU_DEP_1)
	v_and_b32_e32 v14, 7, v3
; %bb.200:                              ;   in Loop: Header=BB268_16 Depth=1
	s_or_b32 exec_lo, exec_lo, s25
	v_lshlrev_b32_e32 v1, 24, v1
	s_delay_alu instid0(VALU_DEP_2) | instskip(SKIP_1) | instid1(VALU_DEP_3)
	v_lshlrev_b32_e32 v3, 20, v14
	v_lshl_add_u32 v2, v2, 23, 0x3c000000
	v_and_b32_e32 v1, 0x80000000, v1
	s_delay_alu instid0(VALU_DEP_1)
	v_or3_b32 v14, v3, v1, v2
	scratch_store_b64 off, v[14:15], s32 offset:440 ; 8-byte Folded Spill
.LBB268_201:                            ;   in Loop: Header=BB268_16 Depth=1
	s_or_b32 exec_lo, exec_lo, s24
.LBB268_202:                            ;   in Loop: Header=BB268_16 Depth=1
	s_delay_alu instid0(SALU_CYCLE_1)
	s_or_b32 exec_lo, exec_lo, s23
.LBB268_203:                            ;   in Loop: Header=BB268_16 Depth=1
	s_delay_alu instid0(SALU_CYCLE_1) | instskip(NEXT) | instid1(SALU_CYCLE_1)
	s_or_b32 exec_lo, exec_lo, s2
	s_mov_b32 s23, exec_lo
	v_cmpx_lt_u32_e32 0xffffff, v0
	s_cbranch_execz .LBB268_211
; %bb.204:                              ;   in Loop: Header=BB268_16 Depth=1
	v_lshrrev_b32_e32 v1, 24, v0
	v_dual_mov_b32 v2, s8 :: v_dual_mov_b32 v3, s9
	s_mov_b32 s24, exec_lo
	scratch_store_b64 off, v[2:3], s32 offset:432 ; 8-byte Folded Spill
	v_cmpx_ne_u32_e32 0x80, v1
	s_cbranch_execz .LBB268_210
; %bb.205:                              ;   in Loop: Header=BB268_16 Depth=1
	s_mov_b32 s2, s8
	v_bfe_u32 v2, v0, 24, 7
	v_dual_mov_b32 v4, s3 :: v_dual_mov_b32 v3, s2
	s_mov_b32 s2, exec_lo
	scratch_store_b64 off, v[3:4], s32 offset:432 ; 8-byte Folded Spill
	v_cmpx_ne_u32_e32 0x7f, v2
	s_cbranch_execz .LBB268_209
; %bb.206:                              ;   in Loop: Header=BB268_16 Depth=1
	v_and_b32_e32 v14, 7, v1
	v_lshrrev_b32_e32 v0, 3, v2
	s_mov_b32 s25, exec_lo
	v_cmpx_gt_u32_e32 8, v2
; %bb.207:                              ;   in Loop: Header=BB268_16 Depth=1
	s_delay_alu instid0(VALU_DEP_3) | instskip(NEXT) | instid1(VALU_DEP_1)
	v_clz_i32_u32_e32 v0, v14
	v_min_u32_e32 v0, 32, v0
	s_delay_alu instid0(VALU_DEP_1) | instskip(SKIP_1) | instid1(VALU_DEP_2)
	v_subrev_nc_u32_e32 v2, 28, v0
	v_sub_nc_u32_e32 v0, 29, v0
	v_lshlrev_b64 v[2:3], v2, v[14:15]
	s_delay_alu instid0(VALU_DEP_1)
	v_and_b32_e32 v14, 7, v2
; %bb.208:                              ;   in Loop: Header=BB268_16 Depth=1
	s_or_b32 exec_lo, exec_lo, s25
	v_lshlrev_b32_e32 v1, 24, v1
	s_delay_alu instid0(VALU_DEP_2) | instskip(SKIP_1) | instid1(VALU_DEP_3)
	v_lshlrev_b32_e32 v2, 20, v14
	v_lshl_add_u32 v0, v0, 23, 0x3c000000
	v_and_b32_e32 v1, 0x80000000, v1
	s_delay_alu instid0(VALU_DEP_1)
	v_or3_b32 v1, v2, v1, v0
	v_mov_b32_e32 v0, v15
	scratch_store_b64 off, v[0:1], s32 offset:432 ; 8-byte Folded Spill
.LBB268_209:                            ;   in Loop: Header=BB268_16 Depth=1
	s_or_b32 exec_lo, exec_lo, s2
.LBB268_210:                            ;   in Loop: Header=BB268_16 Depth=1
	s_delay_alu instid0(SALU_CYCLE_1)
	s_or_b32 exec_lo, exec_lo, s24
.LBB268_211:                            ;   in Loop: Header=BB268_16 Depth=1
	s_delay_alu instid0(SALU_CYCLE_1)
	s_or_b32 exec_lo, exec_lo, s23
	flat_load_b32 v0, v[142:143] offset:520
	v_mov_b32_e32 v2, 0
	v_mov_b32_e32 v3, 0
	s_mov_b32 s2, exec_lo
	s_clause 0x1
	scratch_store_b64 off, v[2:3], s32 offset:448
	scratch_store_b64 off, v[2:3], s32 offset:456
	s_waitcnt vmcnt(0) lgkmcnt(0)
	v_and_b32_e32 v1, 0xff, v0
	s_delay_alu instid0(VALU_DEP_1)
	v_cmpx_ne_u16_e32 0, v1
	s_cbranch_execz .LBB268_219
; %bb.212:                              ;   in Loop: Header=BB268_16 Depth=1
	v_cmp_ne_u16_e64 s1, 0x80, v1
	v_bfrev_b32_e32 v1, 1
	v_mov_b32_e32 v2, 0
	scratch_store_b64 off, v[1:2], s32 offset:456 ; 8-byte Folded Spill
	s_and_saveexec_b32 s23, s1
	s_cbranch_execz .LBB268_218
; %bb.213:                              ;   in Loop: Header=BB268_16 Depth=1
	v_mov_b32_e32 v3, 0x7f800001
	v_and_b32_e32 v2, 0x7f, v0
	v_mov_b32_e32 v4, 0
	s_mov_b32 s24, exec_lo
	scratch_store_b64 off, v[3:4], s32 offset:456 ; 8-byte Folded Spill
	v_cmpx_ne_u32_e32 0x7f, v2
	s_cbranch_execz .LBB268_217
; %bb.214:                              ;   in Loop: Header=BB268_16 Depth=1
	v_and_b32_e32 v14, 7, v0
	v_lshrrev_b32_e32 v1, 3, v2
	s_mov_b32 s25, exec_lo
	v_cmpx_gt_u32_e32 8, v2
; %bb.215:                              ;   in Loop: Header=BB268_16 Depth=1
	s_delay_alu instid0(VALU_DEP_3) | instskip(NEXT) | instid1(VALU_DEP_1)
	v_clz_i32_u32_e32 v1, v14
	v_min_u32_e32 v1, 32, v1
	s_delay_alu instid0(VALU_DEP_1) | instskip(SKIP_1) | instid1(VALU_DEP_2)
	v_subrev_nc_u32_e32 v2, 28, v1
	v_sub_nc_u32_e32 v1, 29, v1
	v_lshlrev_b64 v[2:3], v2, v[14:15]
	s_delay_alu instid0(VALU_DEP_1)
	v_and_b32_e32 v14, 7, v2
; %bb.216:                              ;   in Loop: Header=BB268_16 Depth=1
	s_or_b32 exec_lo, exec_lo, s25
	v_lshlrev_b32_e32 v2, 24, v0
	s_delay_alu instid0(VALU_DEP_2) | instskip(SKIP_1) | instid1(VALU_DEP_3)
	v_lshlrev_b32_e32 v3, 20, v14
	v_lshl_add_u32 v1, v1, 23, 0x3c000000
	v_and_b32_e32 v2, 0x80000000, v2
	s_delay_alu instid0(VALU_DEP_1)
	v_or3_b32 v14, v3, v2, v1
	scratch_store_b64 off, v[14:15], s32 offset:456 ; 8-byte Folded Spill
.LBB268_217:                            ;   in Loop: Header=BB268_16 Depth=1
	s_or_b32 exec_lo, exec_lo, s24
.LBB268_218:                            ;   in Loop: Header=BB268_16 Depth=1
	s_delay_alu instid0(SALU_CYCLE_1)
	s_or_b32 exec_lo, exec_lo, s23
.LBB268_219:                            ;   in Loop: Header=BB268_16 Depth=1
	s_delay_alu instid0(SALU_CYCLE_1) | instskip(SKIP_2) | instid1(VALU_DEP_1)
	s_or_b32 exec_lo, exec_lo, s2
	v_lshrrev_b16 v1, 8, v0
	s_mov_b32 s23, exec_lo
	v_cmpx_ne_u16_e32 0, v1
	s_cbranch_execz .LBB268_227
; %bb.220:                              ;   in Loop: Header=BB268_16 Depth=1
	v_dual_mov_b32 v2, s8 :: v_dual_mov_b32 v3, s9
	s_mov_b32 s24, exec_lo
	scratch_store_b64 off, v[2:3], s32 offset:448 ; 8-byte Folded Spill
	v_cmpx_ne_u16_e32 0x80, v1
	s_cbranch_execz .LBB268_226
; %bb.221:                              ;   in Loop: Header=BB268_16 Depth=1
	s_mov_b32 s2, s8
	v_dual_mov_b32 v4, s3 :: v_dual_and_b32 v1, 0xffff, v1
	v_mov_b32_e32 v3, s2
	s_mov_b32 s2, exec_lo
	s_delay_alu instid0(VALU_DEP_2)
	v_and_b32_e32 v2, 0x7f, v1
	scratch_store_b64 off, v[3:4], s32 offset:448 ; 8-byte Folded Spill
	v_cmpx_ne_u32_e32 0x7f, v2
	s_cbranch_execz .LBB268_225
; %bb.222:                              ;   in Loop: Header=BB268_16 Depth=1
	v_and_b32_e32 v14, 7, v1
	v_lshrrev_b32_e32 v1, 3, v2
	s_mov_b32 s25, exec_lo
	v_cmpx_gt_u32_e32 8, v2
; %bb.223:                              ;   in Loop: Header=BB268_16 Depth=1
	s_delay_alu instid0(VALU_DEP_3) | instskip(NEXT) | instid1(VALU_DEP_1)
	v_clz_i32_u32_e32 v1, v14
	v_min_u32_e32 v1, 32, v1
	s_delay_alu instid0(VALU_DEP_1) | instskip(SKIP_1) | instid1(VALU_DEP_2)
	v_subrev_nc_u32_e32 v2, 28, v1
	v_sub_nc_u32_e32 v1, 29, v1
	v_lshlrev_b64 v[2:3], v2, v[14:15]
	s_delay_alu instid0(VALU_DEP_1)
	v_and_b32_e32 v14, 7, v2
; %bb.224:                              ;   in Loop: Header=BB268_16 Depth=1
	s_or_b32 exec_lo, exec_lo, s25
	v_lshlrev_b32_e32 v2, 16, v0
	s_delay_alu instid0(VALU_DEP_2) | instskip(SKIP_1) | instid1(VALU_DEP_3)
	v_lshlrev_b32_e32 v3, 20, v14
	v_lshl_add_u32 v1, v1, 23, 0x3c000000
	v_and_b32_e32 v2, 0x80000000, v2
	s_delay_alu instid0(VALU_DEP_1)
	v_or3_b32 v2, v3, v2, v1
	v_mov_b32_e32 v1, v15
	scratch_store_b64 off, v[1:2], s32 offset:448 ; 8-byte Folded Spill
.LBB268_225:                            ;   in Loop: Header=BB268_16 Depth=1
	s_or_b32 exec_lo, exec_lo, s2
.LBB268_226:                            ;   in Loop: Header=BB268_16 Depth=1
	s_delay_alu instid0(SALU_CYCLE_1)
	s_or_b32 exec_lo, exec_lo, s24
.LBB268_227:                            ;   in Loop: Header=BB268_16 Depth=1
	s_delay_alu instid0(SALU_CYCLE_1)
	s_or_b32 exec_lo, exec_lo, s23
	v_lshrrev_b32_e32 v1, 16, v0
	v_mov_b32_e32 v3, 0
	v_mov_b32_e32 v4, 0
	s_mov_b32 s2, exec_lo
	s_clause 0x1
	scratch_store_b64 off, v[3:4], s32 offset:464
	scratch_store_b64 off, v[3:4], s32 offset:472
	v_and_b32_e32 v2, 0xff, v1
	s_delay_alu instid0(VALU_DEP_1)
	v_cmpx_ne_u16_e32 0, v2
	s_cbranch_execz .LBB268_235
; %bb.228:                              ;   in Loop: Header=BB268_16 Depth=1
	v_cmp_ne_u16_e64 s1, 0x80, v2
	v_bfrev_b32_e32 v2, 1
	v_mov_b32_e32 v3, 0
	scratch_store_b64 off, v[2:3], s32 offset:472 ; 8-byte Folded Spill
	s_and_saveexec_b32 s23, s1
	s_cbranch_execz .LBB268_234
; %bb.229:                              ;   in Loop: Header=BB268_16 Depth=1
	v_mov_b32_e32 v4, 0x7f800001
	v_bfe_u32 v3, v0, 16, 7
	v_mov_b32_e32 v5, 0
	s_mov_b32 s24, exec_lo
	scratch_store_b64 off, v[4:5], s32 offset:472 ; 8-byte Folded Spill
	v_cmpx_ne_u32_e32 0x7f, v3
	s_cbranch_execz .LBB268_233
; %bb.230:                              ;   in Loop: Header=BB268_16 Depth=1
	v_and_b32_e32 v14, 7, v1
	v_lshrrev_b32_e32 v2, 3, v3
	s_mov_b32 s25, exec_lo
	v_cmpx_gt_u32_e32 8, v3
; %bb.231:                              ;   in Loop: Header=BB268_16 Depth=1
	s_delay_alu instid0(VALU_DEP_3) | instskip(NEXT) | instid1(VALU_DEP_1)
	v_clz_i32_u32_e32 v2, v14
	v_min_u32_e32 v2, 32, v2
	s_delay_alu instid0(VALU_DEP_1) | instskip(SKIP_1) | instid1(VALU_DEP_2)
	v_subrev_nc_u32_e32 v3, 28, v2
	v_sub_nc_u32_e32 v2, 29, v2
	v_lshlrev_b64 v[3:4], v3, v[14:15]
	s_delay_alu instid0(VALU_DEP_1)
	v_and_b32_e32 v14, 7, v3
; %bb.232:                              ;   in Loop: Header=BB268_16 Depth=1
	s_or_b32 exec_lo, exec_lo, s25
	v_lshlrev_b32_e32 v1, 24, v1
	s_delay_alu instid0(VALU_DEP_2) | instskip(SKIP_1) | instid1(VALU_DEP_3)
	v_lshlrev_b32_e32 v3, 20, v14
	v_lshl_add_u32 v2, v2, 23, 0x3c000000
	v_and_b32_e32 v1, 0x80000000, v1
	s_delay_alu instid0(VALU_DEP_1)
	v_or3_b32 v14, v3, v1, v2
	scratch_store_b64 off, v[14:15], s32 offset:472 ; 8-byte Folded Spill
.LBB268_233:                            ;   in Loop: Header=BB268_16 Depth=1
	s_or_b32 exec_lo, exec_lo, s24
.LBB268_234:                            ;   in Loop: Header=BB268_16 Depth=1
	s_delay_alu instid0(SALU_CYCLE_1)
	s_or_b32 exec_lo, exec_lo, s23
.LBB268_235:                            ;   in Loop: Header=BB268_16 Depth=1
	s_delay_alu instid0(SALU_CYCLE_1) | instskip(NEXT) | instid1(SALU_CYCLE_1)
	s_or_b32 exec_lo, exec_lo, s2
	s_mov_b32 s23, exec_lo
	v_cmpx_lt_u32_e32 0xffffff, v0
	s_cbranch_execz .LBB268_243
; %bb.236:                              ;   in Loop: Header=BB268_16 Depth=1
	v_lshrrev_b32_e32 v1, 24, v0
	v_dual_mov_b32 v2, s8 :: v_dual_mov_b32 v3, s9
	s_mov_b32 s24, exec_lo
	scratch_store_b64 off, v[2:3], s32 offset:464 ; 8-byte Folded Spill
	v_cmpx_ne_u32_e32 0x80, v1
	s_cbranch_execz .LBB268_242
; %bb.237:                              ;   in Loop: Header=BB268_16 Depth=1
	s_mov_b32 s2, s8
	v_bfe_u32 v2, v0, 24, 7
	v_dual_mov_b32 v4, s3 :: v_dual_mov_b32 v3, s2
	s_mov_b32 s2, exec_lo
	scratch_store_b64 off, v[3:4], s32 offset:464 ; 8-byte Folded Spill
	v_cmpx_ne_u32_e32 0x7f, v2
	s_cbranch_execz .LBB268_241
; %bb.238:                              ;   in Loop: Header=BB268_16 Depth=1
	v_and_b32_e32 v14, 7, v1
	v_lshrrev_b32_e32 v0, 3, v2
	s_mov_b32 s25, exec_lo
	v_cmpx_gt_u32_e32 8, v2
; %bb.239:                              ;   in Loop: Header=BB268_16 Depth=1
	s_delay_alu instid0(VALU_DEP_3) | instskip(NEXT) | instid1(VALU_DEP_1)
	v_clz_i32_u32_e32 v0, v14
	v_min_u32_e32 v0, 32, v0
	s_delay_alu instid0(VALU_DEP_1) | instskip(SKIP_1) | instid1(VALU_DEP_2)
	v_subrev_nc_u32_e32 v2, 28, v0
	v_sub_nc_u32_e32 v0, 29, v0
	v_lshlrev_b64 v[2:3], v2, v[14:15]
	s_delay_alu instid0(VALU_DEP_1)
	v_and_b32_e32 v14, 7, v2
; %bb.240:                              ;   in Loop: Header=BB268_16 Depth=1
	s_or_b32 exec_lo, exec_lo, s25
	v_lshlrev_b32_e32 v1, 24, v1
	s_delay_alu instid0(VALU_DEP_2) | instskip(SKIP_1) | instid1(VALU_DEP_3)
	v_lshlrev_b32_e32 v2, 20, v14
	v_lshl_add_u32 v0, v0, 23, 0x3c000000
	v_and_b32_e32 v1, 0x80000000, v1
	s_delay_alu instid0(VALU_DEP_1)
	v_or3_b32 v1, v2, v1, v0
	v_mov_b32_e32 v0, v15
	scratch_store_b64 off, v[0:1], s32 offset:464 ; 8-byte Folded Spill
.LBB268_241:                            ;   in Loop: Header=BB268_16 Depth=1
	s_or_b32 exec_lo, exec_lo, s2
.LBB268_242:                            ;   in Loop: Header=BB268_16 Depth=1
	s_delay_alu instid0(SALU_CYCLE_1)
	s_or_b32 exec_lo, exec_lo, s24
.LBB268_243:                            ;   in Loop: Header=BB268_16 Depth=1
	s_delay_alu instid0(SALU_CYCLE_1)
	s_or_b32 exec_lo, exec_lo, s23
	flat_load_b32 v0, v[142:143] offset:524
	v_mov_b32_e32 v2, 0
	v_mov_b32_e32 v3, 0
	s_mov_b32 s2, exec_lo
	s_clause 0x1
	scratch_store_b64 off, v[2:3], s32 offset:480
	scratch_store_b64 off, v[2:3], s32 offset:488
	s_waitcnt vmcnt(0) lgkmcnt(0)
	v_and_b32_e32 v1, 0xff, v0
	s_delay_alu instid0(VALU_DEP_1)
	v_cmpx_ne_u16_e32 0, v1
	s_cbranch_execz .LBB268_251
; %bb.244:                              ;   in Loop: Header=BB268_16 Depth=1
	v_cmp_ne_u16_e64 s1, 0x80, v1
	v_bfrev_b32_e32 v1, 1
	v_mov_b32_e32 v2, 0
	scratch_store_b64 off, v[1:2], s32 offset:488 ; 8-byte Folded Spill
	s_and_saveexec_b32 s23, s1
	s_cbranch_execz .LBB268_250
; %bb.245:                              ;   in Loop: Header=BB268_16 Depth=1
	v_mov_b32_e32 v3, 0x7f800001
	v_and_b32_e32 v2, 0x7f, v0
	v_mov_b32_e32 v4, 0
	s_mov_b32 s24, exec_lo
	scratch_store_b64 off, v[3:4], s32 offset:488 ; 8-byte Folded Spill
	v_cmpx_ne_u32_e32 0x7f, v2
	s_cbranch_execz .LBB268_249
; %bb.246:                              ;   in Loop: Header=BB268_16 Depth=1
	v_and_b32_e32 v14, 7, v0
	v_lshrrev_b32_e32 v1, 3, v2
	s_mov_b32 s25, exec_lo
	v_cmpx_gt_u32_e32 8, v2
; %bb.247:                              ;   in Loop: Header=BB268_16 Depth=1
	s_delay_alu instid0(VALU_DEP_3) | instskip(NEXT) | instid1(VALU_DEP_1)
	v_clz_i32_u32_e32 v1, v14
	v_min_u32_e32 v1, 32, v1
	s_delay_alu instid0(VALU_DEP_1) | instskip(SKIP_1) | instid1(VALU_DEP_2)
	v_subrev_nc_u32_e32 v2, 28, v1
	v_sub_nc_u32_e32 v1, 29, v1
	v_lshlrev_b64 v[2:3], v2, v[14:15]
	s_delay_alu instid0(VALU_DEP_1)
	v_and_b32_e32 v14, 7, v2
; %bb.248:                              ;   in Loop: Header=BB268_16 Depth=1
	s_or_b32 exec_lo, exec_lo, s25
	v_lshlrev_b32_e32 v2, 24, v0
	s_delay_alu instid0(VALU_DEP_2) | instskip(SKIP_1) | instid1(VALU_DEP_3)
	v_lshlrev_b32_e32 v3, 20, v14
	v_lshl_add_u32 v1, v1, 23, 0x3c000000
	v_and_b32_e32 v2, 0x80000000, v2
	s_delay_alu instid0(VALU_DEP_1)
	v_or3_b32 v14, v3, v2, v1
	scratch_store_b64 off, v[14:15], s32 offset:488 ; 8-byte Folded Spill
.LBB268_249:                            ;   in Loop: Header=BB268_16 Depth=1
	s_or_b32 exec_lo, exec_lo, s24
.LBB268_250:                            ;   in Loop: Header=BB268_16 Depth=1
	s_delay_alu instid0(SALU_CYCLE_1)
	s_or_b32 exec_lo, exec_lo, s23
.LBB268_251:                            ;   in Loop: Header=BB268_16 Depth=1
	s_delay_alu instid0(SALU_CYCLE_1) | instskip(SKIP_2) | instid1(VALU_DEP_1)
	s_or_b32 exec_lo, exec_lo, s2
	v_lshrrev_b16 v1, 8, v0
	s_mov_b32 s23, exec_lo
	v_cmpx_ne_u16_e32 0, v1
	s_cbranch_execz .LBB268_259
; %bb.252:                              ;   in Loop: Header=BB268_16 Depth=1
	v_dual_mov_b32 v2, s8 :: v_dual_mov_b32 v3, s9
	s_mov_b32 s24, exec_lo
	scratch_store_b64 off, v[2:3], s32 offset:480 ; 8-byte Folded Spill
	v_cmpx_ne_u16_e32 0x80, v1
	s_cbranch_execz .LBB268_258
; %bb.253:                              ;   in Loop: Header=BB268_16 Depth=1
	s_mov_b32 s2, s8
	v_dual_mov_b32 v4, s3 :: v_dual_and_b32 v1, 0xffff, v1
	v_mov_b32_e32 v3, s2
	s_mov_b32 s2, exec_lo
	s_delay_alu instid0(VALU_DEP_2)
	v_and_b32_e32 v2, 0x7f, v1
	scratch_store_b64 off, v[3:4], s32 offset:480 ; 8-byte Folded Spill
	v_cmpx_ne_u32_e32 0x7f, v2
	s_cbranch_execz .LBB268_257
; %bb.254:                              ;   in Loop: Header=BB268_16 Depth=1
	v_and_b32_e32 v14, 7, v1
	v_lshrrev_b32_e32 v1, 3, v2
	s_mov_b32 s25, exec_lo
	v_cmpx_gt_u32_e32 8, v2
; %bb.255:                              ;   in Loop: Header=BB268_16 Depth=1
	s_delay_alu instid0(VALU_DEP_3) | instskip(NEXT) | instid1(VALU_DEP_1)
	v_clz_i32_u32_e32 v1, v14
	v_min_u32_e32 v1, 32, v1
	s_delay_alu instid0(VALU_DEP_1) | instskip(SKIP_1) | instid1(VALU_DEP_2)
	v_subrev_nc_u32_e32 v2, 28, v1
	v_sub_nc_u32_e32 v1, 29, v1
	v_lshlrev_b64 v[2:3], v2, v[14:15]
	s_delay_alu instid0(VALU_DEP_1)
	v_and_b32_e32 v14, 7, v2
; %bb.256:                              ;   in Loop: Header=BB268_16 Depth=1
	s_or_b32 exec_lo, exec_lo, s25
	v_lshlrev_b32_e32 v2, 16, v0
	s_delay_alu instid0(VALU_DEP_2) | instskip(SKIP_1) | instid1(VALU_DEP_3)
	v_lshlrev_b32_e32 v3, 20, v14
	v_lshl_add_u32 v1, v1, 23, 0x3c000000
	v_and_b32_e32 v2, 0x80000000, v2
	s_delay_alu instid0(VALU_DEP_1)
	v_or3_b32 v2, v3, v2, v1
	v_mov_b32_e32 v1, v15
	scratch_store_b64 off, v[1:2], s32 offset:480 ; 8-byte Folded Spill
.LBB268_257:                            ;   in Loop: Header=BB268_16 Depth=1
	s_or_b32 exec_lo, exec_lo, s2
.LBB268_258:                            ;   in Loop: Header=BB268_16 Depth=1
	s_delay_alu instid0(SALU_CYCLE_1)
	s_or_b32 exec_lo, exec_lo, s24
.LBB268_259:                            ;   in Loop: Header=BB268_16 Depth=1
	s_delay_alu instid0(SALU_CYCLE_1)
	s_or_b32 exec_lo, exec_lo, s23
	v_lshrrev_b32_e32 v1, 16, v0
	v_mov_b32_e32 v3, 0
	v_mov_b32_e32 v4, 0
	s_mov_b32 s2, exec_lo
	s_clause 0x1
	scratch_store_b64 off, v[3:4], s32 offset:496
	scratch_store_b64 off, v[3:4], s32 offset:504
	v_and_b32_e32 v2, 0xff, v1
	s_delay_alu instid0(VALU_DEP_1)
	v_cmpx_ne_u16_e32 0, v2
	s_cbranch_execz .LBB268_267
; %bb.260:                              ;   in Loop: Header=BB268_16 Depth=1
	v_cmp_ne_u16_e64 s1, 0x80, v2
	v_bfrev_b32_e32 v2, 1
	v_mov_b32_e32 v3, 0
	scratch_store_b64 off, v[2:3], s32 offset:504 ; 8-byte Folded Spill
	s_and_saveexec_b32 s23, s1
	s_cbranch_execz .LBB268_266
; %bb.261:                              ;   in Loop: Header=BB268_16 Depth=1
	v_mov_b32_e32 v4, 0x7f800001
	v_bfe_u32 v3, v0, 16, 7
	v_mov_b32_e32 v5, 0
	s_mov_b32 s24, exec_lo
	scratch_store_b64 off, v[4:5], s32 offset:504 ; 8-byte Folded Spill
	v_cmpx_ne_u32_e32 0x7f, v3
	s_cbranch_execz .LBB268_265
; %bb.262:                              ;   in Loop: Header=BB268_16 Depth=1
	v_and_b32_e32 v14, 7, v1
	v_lshrrev_b32_e32 v2, 3, v3
	s_mov_b32 s25, exec_lo
	v_cmpx_gt_u32_e32 8, v3
; %bb.263:                              ;   in Loop: Header=BB268_16 Depth=1
	s_delay_alu instid0(VALU_DEP_3) | instskip(NEXT) | instid1(VALU_DEP_1)
	v_clz_i32_u32_e32 v2, v14
	v_min_u32_e32 v2, 32, v2
	s_delay_alu instid0(VALU_DEP_1) | instskip(SKIP_1) | instid1(VALU_DEP_2)
	v_subrev_nc_u32_e32 v3, 28, v2
	v_sub_nc_u32_e32 v2, 29, v2
	v_lshlrev_b64 v[3:4], v3, v[14:15]
	s_delay_alu instid0(VALU_DEP_1)
	v_and_b32_e32 v14, 7, v3
; %bb.264:                              ;   in Loop: Header=BB268_16 Depth=1
	s_or_b32 exec_lo, exec_lo, s25
	v_lshlrev_b32_e32 v1, 24, v1
	s_delay_alu instid0(VALU_DEP_2) | instskip(SKIP_1) | instid1(VALU_DEP_3)
	v_lshlrev_b32_e32 v3, 20, v14
	v_lshl_add_u32 v2, v2, 23, 0x3c000000
	v_and_b32_e32 v1, 0x80000000, v1
	s_delay_alu instid0(VALU_DEP_1)
	v_or3_b32 v14, v3, v1, v2
	scratch_store_b64 off, v[14:15], s32 offset:504 ; 8-byte Folded Spill
.LBB268_265:                            ;   in Loop: Header=BB268_16 Depth=1
	s_or_b32 exec_lo, exec_lo, s24
.LBB268_266:                            ;   in Loop: Header=BB268_16 Depth=1
	s_delay_alu instid0(SALU_CYCLE_1)
	s_or_b32 exec_lo, exec_lo, s23
.LBB268_267:                            ;   in Loop: Header=BB268_16 Depth=1
	s_delay_alu instid0(SALU_CYCLE_1) | instskip(NEXT) | instid1(SALU_CYCLE_1)
	s_or_b32 exec_lo, exec_lo, s2
	s_mov_b32 s23, exec_lo
	v_cmpx_lt_u32_e32 0xffffff, v0
	s_cbranch_execz .LBB268_275
; %bb.268:                              ;   in Loop: Header=BB268_16 Depth=1
	v_lshrrev_b32_e32 v1, 24, v0
	v_dual_mov_b32 v2, s8 :: v_dual_mov_b32 v3, s9
	s_mov_b32 s24, exec_lo
	scratch_store_b64 off, v[2:3], s32 offset:496 ; 8-byte Folded Spill
	v_cmpx_ne_u32_e32 0x80, v1
	s_cbranch_execz .LBB268_274
; %bb.269:                              ;   in Loop: Header=BB268_16 Depth=1
	s_mov_b32 s2, s8
	v_bfe_u32 v2, v0, 24, 7
	v_dual_mov_b32 v4, s3 :: v_dual_mov_b32 v3, s2
	s_mov_b32 s2, exec_lo
	scratch_store_b64 off, v[3:4], s32 offset:496 ; 8-byte Folded Spill
	v_cmpx_ne_u32_e32 0x7f, v2
	s_cbranch_execz .LBB268_273
; %bb.270:                              ;   in Loop: Header=BB268_16 Depth=1
	v_and_b32_e32 v14, 7, v1
	v_lshrrev_b32_e32 v0, 3, v2
	s_mov_b32 s25, exec_lo
	v_cmpx_gt_u32_e32 8, v2
; %bb.271:                              ;   in Loop: Header=BB268_16 Depth=1
	s_delay_alu instid0(VALU_DEP_3) | instskip(NEXT) | instid1(VALU_DEP_1)
	v_clz_i32_u32_e32 v0, v14
	v_min_u32_e32 v0, 32, v0
	s_delay_alu instid0(VALU_DEP_1) | instskip(SKIP_1) | instid1(VALU_DEP_2)
	v_subrev_nc_u32_e32 v2, 28, v0
	v_sub_nc_u32_e32 v0, 29, v0
	v_lshlrev_b64 v[2:3], v2, v[14:15]
	s_delay_alu instid0(VALU_DEP_1)
	v_and_b32_e32 v14, 7, v2
; %bb.272:                              ;   in Loop: Header=BB268_16 Depth=1
	s_or_b32 exec_lo, exec_lo, s25
	v_lshlrev_b32_e32 v1, 24, v1
	s_delay_alu instid0(VALU_DEP_2) | instskip(SKIP_1) | instid1(VALU_DEP_3)
	v_lshlrev_b32_e32 v2, 20, v14
	v_lshl_add_u32 v0, v0, 23, 0x3c000000
	v_and_b32_e32 v1, 0x80000000, v1
	s_delay_alu instid0(VALU_DEP_1)
	v_or3_b32 v1, v2, v1, v0
	v_mov_b32_e32 v0, v15
	scratch_store_b64 off, v[0:1], s32 offset:496 ; 8-byte Folded Spill
.LBB268_273:                            ;   in Loop: Header=BB268_16 Depth=1
	s_or_b32 exec_lo, exec_lo, s2
.LBB268_274:                            ;   in Loop: Header=BB268_16 Depth=1
	s_delay_alu instid0(SALU_CYCLE_1)
	s_or_b32 exec_lo, exec_lo, s24
.LBB268_275:                            ;   in Loop: Header=BB268_16 Depth=1
	s_delay_alu instid0(SALU_CYCLE_1)
	s_or_b32 exec_lo, exec_lo, s23
	flat_load_b32 v0, v[142:143] offset:1024
	v_mov_b32_e32 v2, 0
	v_mov_b32_e32 v3, 0
	s_mov_b32 s2, exec_lo
	s_clause 0x1
	scratch_store_b64 off, v[2:3], s32 offset:512
	scratch_store_b64 off, v[2:3], s32 offset:520
	s_waitcnt vmcnt(0) lgkmcnt(0)
	v_and_b32_e32 v1, 0xff, v0
	s_delay_alu instid0(VALU_DEP_1)
	v_cmpx_ne_u16_e32 0, v1
	s_cbranch_execz .LBB268_283
; %bb.276:                              ;   in Loop: Header=BB268_16 Depth=1
	v_cmp_ne_u16_e64 s1, 0x80, v1
	v_bfrev_b32_e32 v1, 1
	v_mov_b32_e32 v2, 0
	scratch_store_b64 off, v[1:2], s32 offset:520 ; 8-byte Folded Spill
	s_and_saveexec_b32 s23, s1
	s_cbranch_execz .LBB268_282
; %bb.277:                              ;   in Loop: Header=BB268_16 Depth=1
	v_mov_b32_e32 v3, 0x7f800001
	v_and_b32_e32 v2, 0x7f, v0
	v_mov_b32_e32 v4, 0
	s_mov_b32 s24, exec_lo
	scratch_store_b64 off, v[3:4], s32 offset:520 ; 8-byte Folded Spill
	v_cmpx_ne_u32_e32 0x7f, v2
	s_cbranch_execz .LBB268_281
; %bb.278:                              ;   in Loop: Header=BB268_16 Depth=1
	v_and_b32_e32 v14, 7, v0
	v_lshrrev_b32_e32 v1, 3, v2
	s_mov_b32 s25, exec_lo
	v_cmpx_gt_u32_e32 8, v2
; %bb.279:                              ;   in Loop: Header=BB268_16 Depth=1
	s_delay_alu instid0(VALU_DEP_3) | instskip(NEXT) | instid1(VALU_DEP_1)
	v_clz_i32_u32_e32 v1, v14
	v_min_u32_e32 v1, 32, v1
	s_delay_alu instid0(VALU_DEP_1) | instskip(SKIP_1) | instid1(VALU_DEP_2)
	v_subrev_nc_u32_e32 v2, 28, v1
	v_sub_nc_u32_e32 v1, 29, v1
	v_lshlrev_b64 v[2:3], v2, v[14:15]
	s_delay_alu instid0(VALU_DEP_1)
	v_and_b32_e32 v14, 7, v2
; %bb.280:                              ;   in Loop: Header=BB268_16 Depth=1
	s_or_b32 exec_lo, exec_lo, s25
	v_lshlrev_b32_e32 v2, 24, v0
	s_delay_alu instid0(VALU_DEP_2) | instskip(SKIP_1) | instid1(VALU_DEP_3)
	v_lshlrev_b32_e32 v3, 20, v14
	v_lshl_add_u32 v1, v1, 23, 0x3c000000
	v_and_b32_e32 v2, 0x80000000, v2
	s_delay_alu instid0(VALU_DEP_1)
	v_or3_b32 v14, v3, v2, v1
	scratch_store_b64 off, v[14:15], s32 offset:520 ; 8-byte Folded Spill
.LBB268_281:                            ;   in Loop: Header=BB268_16 Depth=1
	s_or_b32 exec_lo, exec_lo, s24
.LBB268_282:                            ;   in Loop: Header=BB268_16 Depth=1
	s_delay_alu instid0(SALU_CYCLE_1)
	s_or_b32 exec_lo, exec_lo, s23
.LBB268_283:                            ;   in Loop: Header=BB268_16 Depth=1
	s_delay_alu instid0(SALU_CYCLE_1) | instskip(SKIP_2) | instid1(VALU_DEP_1)
	s_or_b32 exec_lo, exec_lo, s2
	v_lshrrev_b16 v1, 8, v0
	s_mov_b32 s23, exec_lo
	v_cmpx_ne_u16_e32 0, v1
	s_cbranch_execz .LBB268_291
; %bb.284:                              ;   in Loop: Header=BB268_16 Depth=1
	v_dual_mov_b32 v2, s8 :: v_dual_mov_b32 v3, s9
	s_mov_b32 s24, exec_lo
	scratch_store_b64 off, v[2:3], s32 offset:512 ; 8-byte Folded Spill
	v_cmpx_ne_u16_e32 0x80, v1
	s_cbranch_execz .LBB268_290
; %bb.285:                              ;   in Loop: Header=BB268_16 Depth=1
	s_mov_b32 s2, s8
	v_dual_mov_b32 v4, s3 :: v_dual_and_b32 v1, 0xffff, v1
	v_mov_b32_e32 v3, s2
	s_mov_b32 s2, exec_lo
	s_delay_alu instid0(VALU_DEP_2)
	v_and_b32_e32 v2, 0x7f, v1
	scratch_store_b64 off, v[3:4], s32 offset:512 ; 8-byte Folded Spill
	v_cmpx_ne_u32_e32 0x7f, v2
	s_cbranch_execz .LBB268_289
; %bb.286:                              ;   in Loop: Header=BB268_16 Depth=1
	v_and_b32_e32 v14, 7, v1
	v_lshrrev_b32_e32 v1, 3, v2
	s_mov_b32 s25, exec_lo
	v_cmpx_gt_u32_e32 8, v2
; %bb.287:                              ;   in Loop: Header=BB268_16 Depth=1
	s_delay_alu instid0(VALU_DEP_3) | instskip(NEXT) | instid1(VALU_DEP_1)
	v_clz_i32_u32_e32 v1, v14
	v_min_u32_e32 v1, 32, v1
	s_delay_alu instid0(VALU_DEP_1) | instskip(SKIP_1) | instid1(VALU_DEP_2)
	v_subrev_nc_u32_e32 v2, 28, v1
	v_sub_nc_u32_e32 v1, 29, v1
	v_lshlrev_b64 v[2:3], v2, v[14:15]
	s_delay_alu instid0(VALU_DEP_1)
	v_and_b32_e32 v14, 7, v2
; %bb.288:                              ;   in Loop: Header=BB268_16 Depth=1
	s_or_b32 exec_lo, exec_lo, s25
	v_lshlrev_b32_e32 v2, 16, v0
	s_delay_alu instid0(VALU_DEP_2) | instskip(SKIP_1) | instid1(VALU_DEP_3)
	v_lshlrev_b32_e32 v3, 20, v14
	v_lshl_add_u32 v1, v1, 23, 0x3c000000
	v_and_b32_e32 v2, 0x80000000, v2
	s_delay_alu instid0(VALU_DEP_1)
	v_or3_b32 v2, v3, v2, v1
	v_mov_b32_e32 v1, v15
	scratch_store_b64 off, v[1:2], s32 offset:512 ; 8-byte Folded Spill
.LBB268_289:                            ;   in Loop: Header=BB268_16 Depth=1
	s_or_b32 exec_lo, exec_lo, s2
.LBB268_290:                            ;   in Loop: Header=BB268_16 Depth=1
	s_delay_alu instid0(SALU_CYCLE_1)
	s_or_b32 exec_lo, exec_lo, s24
.LBB268_291:                            ;   in Loop: Header=BB268_16 Depth=1
	s_delay_alu instid0(SALU_CYCLE_1)
	s_or_b32 exec_lo, exec_lo, s23
	v_lshrrev_b32_e32 v1, 16, v0
	v_mov_b32_e32 v3, 0
	v_mov_b32_e32 v4, 0
	s_mov_b32 s2, exec_lo
	s_clause 0x1
	scratch_store_b64 off, v[3:4], s32 offset:528
	scratch_store_b64 off, v[3:4], s32 offset:536
	v_and_b32_e32 v2, 0xff, v1
	s_delay_alu instid0(VALU_DEP_1)
	v_cmpx_ne_u16_e32 0, v2
	s_cbranch_execz .LBB268_299
; %bb.292:                              ;   in Loop: Header=BB268_16 Depth=1
	v_cmp_ne_u16_e64 s1, 0x80, v2
	v_bfrev_b32_e32 v2, 1
	v_mov_b32_e32 v3, 0
	scratch_store_b64 off, v[2:3], s32 offset:536 ; 8-byte Folded Spill
	s_and_saveexec_b32 s23, s1
	s_cbranch_execz .LBB268_298
; %bb.293:                              ;   in Loop: Header=BB268_16 Depth=1
	v_mov_b32_e32 v4, 0x7f800001
	v_bfe_u32 v3, v0, 16, 7
	v_mov_b32_e32 v5, 0
	s_mov_b32 s24, exec_lo
	scratch_store_b64 off, v[4:5], s32 offset:536 ; 8-byte Folded Spill
	v_cmpx_ne_u32_e32 0x7f, v3
	s_cbranch_execz .LBB268_297
; %bb.294:                              ;   in Loop: Header=BB268_16 Depth=1
	v_and_b32_e32 v14, 7, v1
	v_lshrrev_b32_e32 v2, 3, v3
	s_mov_b32 s25, exec_lo
	v_cmpx_gt_u32_e32 8, v3
; %bb.295:                              ;   in Loop: Header=BB268_16 Depth=1
	s_delay_alu instid0(VALU_DEP_3) | instskip(NEXT) | instid1(VALU_DEP_1)
	v_clz_i32_u32_e32 v2, v14
	v_min_u32_e32 v2, 32, v2
	s_delay_alu instid0(VALU_DEP_1) | instskip(SKIP_1) | instid1(VALU_DEP_2)
	v_subrev_nc_u32_e32 v3, 28, v2
	v_sub_nc_u32_e32 v2, 29, v2
	v_lshlrev_b64 v[3:4], v3, v[14:15]
	s_delay_alu instid0(VALU_DEP_1)
	v_and_b32_e32 v14, 7, v3
; %bb.296:                              ;   in Loop: Header=BB268_16 Depth=1
	s_or_b32 exec_lo, exec_lo, s25
	v_lshlrev_b32_e32 v1, 24, v1
	s_delay_alu instid0(VALU_DEP_2) | instskip(SKIP_1) | instid1(VALU_DEP_3)
	v_lshlrev_b32_e32 v3, 20, v14
	v_lshl_add_u32 v2, v2, 23, 0x3c000000
	v_and_b32_e32 v1, 0x80000000, v1
	s_delay_alu instid0(VALU_DEP_1)
	v_or3_b32 v14, v3, v1, v2
	scratch_store_b64 off, v[14:15], s32 offset:536 ; 8-byte Folded Spill
.LBB268_297:                            ;   in Loop: Header=BB268_16 Depth=1
	s_or_b32 exec_lo, exec_lo, s24
.LBB268_298:                            ;   in Loop: Header=BB268_16 Depth=1
	s_delay_alu instid0(SALU_CYCLE_1)
	s_or_b32 exec_lo, exec_lo, s23
.LBB268_299:                            ;   in Loop: Header=BB268_16 Depth=1
	s_delay_alu instid0(SALU_CYCLE_1) | instskip(NEXT) | instid1(SALU_CYCLE_1)
	s_or_b32 exec_lo, exec_lo, s2
	s_mov_b32 s23, exec_lo
	v_cmpx_lt_u32_e32 0xffffff, v0
	s_cbranch_execz .LBB268_307
; %bb.300:                              ;   in Loop: Header=BB268_16 Depth=1
	v_lshrrev_b32_e32 v1, 24, v0
	v_dual_mov_b32 v2, s8 :: v_dual_mov_b32 v3, s9
	s_mov_b32 s24, exec_lo
	scratch_store_b64 off, v[2:3], s32 offset:528 ; 8-byte Folded Spill
	v_cmpx_ne_u32_e32 0x80, v1
	s_cbranch_execz .LBB268_306
; %bb.301:                              ;   in Loop: Header=BB268_16 Depth=1
	s_mov_b32 s2, s8
	v_bfe_u32 v2, v0, 24, 7
	v_dual_mov_b32 v4, s3 :: v_dual_mov_b32 v3, s2
	s_mov_b32 s2, exec_lo
	scratch_store_b64 off, v[3:4], s32 offset:528 ; 8-byte Folded Spill
	v_cmpx_ne_u32_e32 0x7f, v2
	s_cbranch_execz .LBB268_305
; %bb.302:                              ;   in Loop: Header=BB268_16 Depth=1
	v_and_b32_e32 v14, 7, v1
	v_lshrrev_b32_e32 v0, 3, v2
	s_mov_b32 s25, exec_lo
	v_cmpx_gt_u32_e32 8, v2
; %bb.303:                              ;   in Loop: Header=BB268_16 Depth=1
	s_delay_alu instid0(VALU_DEP_3) | instskip(NEXT) | instid1(VALU_DEP_1)
	v_clz_i32_u32_e32 v0, v14
	v_min_u32_e32 v0, 32, v0
	s_delay_alu instid0(VALU_DEP_1) | instskip(SKIP_1) | instid1(VALU_DEP_2)
	v_subrev_nc_u32_e32 v2, 28, v0
	v_sub_nc_u32_e32 v0, 29, v0
	v_lshlrev_b64 v[2:3], v2, v[14:15]
	s_delay_alu instid0(VALU_DEP_1)
	v_and_b32_e32 v14, 7, v2
; %bb.304:                              ;   in Loop: Header=BB268_16 Depth=1
	s_or_b32 exec_lo, exec_lo, s25
	v_lshlrev_b32_e32 v1, 24, v1
	s_delay_alu instid0(VALU_DEP_2) | instskip(SKIP_1) | instid1(VALU_DEP_3)
	v_lshlrev_b32_e32 v2, 20, v14
	v_lshl_add_u32 v0, v0, 23, 0x3c000000
	v_and_b32_e32 v1, 0x80000000, v1
	s_delay_alu instid0(VALU_DEP_1)
	v_or3_b32 v1, v2, v1, v0
	v_mov_b32_e32 v0, v15
	scratch_store_b64 off, v[0:1], s32 offset:528 ; 8-byte Folded Spill
.LBB268_305:                            ;   in Loop: Header=BB268_16 Depth=1
	s_or_b32 exec_lo, exec_lo, s2
.LBB268_306:                            ;   in Loop: Header=BB268_16 Depth=1
	s_delay_alu instid0(SALU_CYCLE_1)
	s_or_b32 exec_lo, exec_lo, s24
.LBB268_307:                            ;   in Loop: Header=BB268_16 Depth=1
	s_delay_alu instid0(SALU_CYCLE_1)
	s_or_b32 exec_lo, exec_lo, s23
	flat_load_b32 v0, v[142:143] offset:1028
	v_mov_b32_e32 v2, 0
	v_mov_b32_e32 v3, 0
	s_mov_b32 s2, exec_lo
	s_clause 0x1
	scratch_store_b64 off, v[2:3], s32 offset:544
	scratch_store_b64 off, v[2:3], s32 offset:552
	s_waitcnt vmcnt(0) lgkmcnt(0)
	v_and_b32_e32 v1, 0xff, v0
	s_delay_alu instid0(VALU_DEP_1)
	v_cmpx_ne_u16_e32 0, v1
	s_cbranch_execz .LBB268_315
; %bb.308:                              ;   in Loop: Header=BB268_16 Depth=1
	v_cmp_ne_u16_e64 s1, 0x80, v1
	v_bfrev_b32_e32 v1, 1
	v_mov_b32_e32 v2, 0
	scratch_store_b64 off, v[1:2], s32 offset:552 ; 8-byte Folded Spill
	s_and_saveexec_b32 s23, s1
	s_cbranch_execz .LBB268_314
; %bb.309:                              ;   in Loop: Header=BB268_16 Depth=1
	v_mov_b32_e32 v3, 0x7f800001
	v_and_b32_e32 v2, 0x7f, v0
	v_mov_b32_e32 v4, 0
	s_mov_b32 s24, exec_lo
	scratch_store_b64 off, v[3:4], s32 offset:552 ; 8-byte Folded Spill
	v_cmpx_ne_u32_e32 0x7f, v2
	s_cbranch_execz .LBB268_313
; %bb.310:                              ;   in Loop: Header=BB268_16 Depth=1
	v_and_b32_e32 v14, 7, v0
	v_lshrrev_b32_e32 v1, 3, v2
	s_mov_b32 s25, exec_lo
	v_cmpx_gt_u32_e32 8, v2
; %bb.311:                              ;   in Loop: Header=BB268_16 Depth=1
	s_delay_alu instid0(VALU_DEP_3) | instskip(NEXT) | instid1(VALU_DEP_1)
	v_clz_i32_u32_e32 v1, v14
	v_min_u32_e32 v1, 32, v1
	s_delay_alu instid0(VALU_DEP_1) | instskip(SKIP_1) | instid1(VALU_DEP_2)
	v_subrev_nc_u32_e32 v2, 28, v1
	v_sub_nc_u32_e32 v1, 29, v1
	v_lshlrev_b64 v[2:3], v2, v[14:15]
	s_delay_alu instid0(VALU_DEP_1)
	v_and_b32_e32 v14, 7, v2
; %bb.312:                              ;   in Loop: Header=BB268_16 Depth=1
	s_or_b32 exec_lo, exec_lo, s25
	v_lshlrev_b32_e32 v2, 24, v0
	s_delay_alu instid0(VALU_DEP_2) | instskip(SKIP_1) | instid1(VALU_DEP_3)
	v_lshlrev_b32_e32 v3, 20, v14
	v_lshl_add_u32 v1, v1, 23, 0x3c000000
	v_and_b32_e32 v2, 0x80000000, v2
	s_delay_alu instid0(VALU_DEP_1)
	v_or3_b32 v14, v3, v2, v1
	scratch_store_b64 off, v[14:15], s32 offset:552 ; 8-byte Folded Spill
.LBB268_313:                            ;   in Loop: Header=BB268_16 Depth=1
	s_or_b32 exec_lo, exec_lo, s24
.LBB268_314:                            ;   in Loop: Header=BB268_16 Depth=1
	s_delay_alu instid0(SALU_CYCLE_1)
	s_or_b32 exec_lo, exec_lo, s23
.LBB268_315:                            ;   in Loop: Header=BB268_16 Depth=1
	s_delay_alu instid0(SALU_CYCLE_1) | instskip(SKIP_2) | instid1(VALU_DEP_1)
	s_or_b32 exec_lo, exec_lo, s2
	v_lshrrev_b16 v1, 8, v0
	s_mov_b32 s23, exec_lo
	v_cmpx_ne_u16_e32 0, v1
	s_cbranch_execz .LBB268_323
; %bb.316:                              ;   in Loop: Header=BB268_16 Depth=1
	v_dual_mov_b32 v2, s8 :: v_dual_mov_b32 v3, s9
	s_mov_b32 s24, exec_lo
	scratch_store_b64 off, v[2:3], s32 offset:544 ; 8-byte Folded Spill
	v_cmpx_ne_u16_e32 0x80, v1
	s_cbranch_execz .LBB268_322
; %bb.317:                              ;   in Loop: Header=BB268_16 Depth=1
	s_mov_b32 s2, s8
	v_dual_mov_b32 v4, s3 :: v_dual_and_b32 v1, 0xffff, v1
	v_mov_b32_e32 v3, s2
	s_mov_b32 s2, exec_lo
	s_delay_alu instid0(VALU_DEP_2)
	v_and_b32_e32 v2, 0x7f, v1
	scratch_store_b64 off, v[3:4], s32 offset:544 ; 8-byte Folded Spill
	v_cmpx_ne_u32_e32 0x7f, v2
	s_cbranch_execz .LBB268_321
; %bb.318:                              ;   in Loop: Header=BB268_16 Depth=1
	v_and_b32_e32 v14, 7, v1
	v_lshrrev_b32_e32 v1, 3, v2
	s_mov_b32 s25, exec_lo
	v_cmpx_gt_u32_e32 8, v2
; %bb.319:                              ;   in Loop: Header=BB268_16 Depth=1
	s_delay_alu instid0(VALU_DEP_3) | instskip(NEXT) | instid1(VALU_DEP_1)
	v_clz_i32_u32_e32 v1, v14
	v_min_u32_e32 v1, 32, v1
	s_delay_alu instid0(VALU_DEP_1) | instskip(SKIP_1) | instid1(VALU_DEP_2)
	v_subrev_nc_u32_e32 v2, 28, v1
	v_sub_nc_u32_e32 v1, 29, v1
	v_lshlrev_b64 v[2:3], v2, v[14:15]
	s_delay_alu instid0(VALU_DEP_1)
	v_and_b32_e32 v14, 7, v2
; %bb.320:                              ;   in Loop: Header=BB268_16 Depth=1
	s_or_b32 exec_lo, exec_lo, s25
	v_lshlrev_b32_e32 v2, 16, v0
	s_delay_alu instid0(VALU_DEP_2) | instskip(SKIP_1) | instid1(VALU_DEP_3)
	v_lshlrev_b32_e32 v3, 20, v14
	v_lshl_add_u32 v1, v1, 23, 0x3c000000
	v_and_b32_e32 v2, 0x80000000, v2
	s_delay_alu instid0(VALU_DEP_1)
	v_or3_b32 v2, v3, v2, v1
	v_mov_b32_e32 v1, v15
	scratch_store_b64 off, v[1:2], s32 offset:544 ; 8-byte Folded Spill
.LBB268_321:                            ;   in Loop: Header=BB268_16 Depth=1
	s_or_b32 exec_lo, exec_lo, s2
.LBB268_322:                            ;   in Loop: Header=BB268_16 Depth=1
	s_delay_alu instid0(SALU_CYCLE_1)
	s_or_b32 exec_lo, exec_lo, s24
.LBB268_323:                            ;   in Loop: Header=BB268_16 Depth=1
	s_delay_alu instid0(SALU_CYCLE_1)
	s_or_b32 exec_lo, exec_lo, s23
	v_lshrrev_b32_e32 v1, 16, v0
	v_mov_b32_e32 v3, 0
	v_mov_b32_e32 v4, 0
	s_mov_b32 s2, exec_lo
	s_clause 0x1
	scratch_store_b64 off, v[3:4], s32 offset:560
	scratch_store_b64 off, v[3:4], s32 offset:568
	v_and_b32_e32 v2, 0xff, v1
	s_delay_alu instid0(VALU_DEP_1)
	v_cmpx_ne_u16_e32 0, v2
	s_cbranch_execz .LBB268_331
; %bb.324:                              ;   in Loop: Header=BB268_16 Depth=1
	v_cmp_ne_u16_e64 s1, 0x80, v2
	v_bfrev_b32_e32 v2, 1
	v_mov_b32_e32 v3, 0
	scratch_store_b64 off, v[2:3], s32 offset:568 ; 8-byte Folded Spill
	s_and_saveexec_b32 s23, s1
	s_cbranch_execz .LBB268_330
; %bb.325:                              ;   in Loop: Header=BB268_16 Depth=1
	v_mov_b32_e32 v4, 0x7f800001
	v_bfe_u32 v3, v0, 16, 7
	v_mov_b32_e32 v5, 0
	s_mov_b32 s24, exec_lo
	scratch_store_b64 off, v[4:5], s32 offset:568 ; 8-byte Folded Spill
	v_cmpx_ne_u32_e32 0x7f, v3
	s_cbranch_execz .LBB268_329
; %bb.326:                              ;   in Loop: Header=BB268_16 Depth=1
	v_and_b32_e32 v14, 7, v1
	v_lshrrev_b32_e32 v2, 3, v3
	s_mov_b32 s25, exec_lo
	v_cmpx_gt_u32_e32 8, v3
; %bb.327:                              ;   in Loop: Header=BB268_16 Depth=1
	s_delay_alu instid0(VALU_DEP_3) | instskip(NEXT) | instid1(VALU_DEP_1)
	v_clz_i32_u32_e32 v2, v14
	v_min_u32_e32 v2, 32, v2
	s_delay_alu instid0(VALU_DEP_1) | instskip(SKIP_1) | instid1(VALU_DEP_2)
	v_subrev_nc_u32_e32 v3, 28, v2
	v_sub_nc_u32_e32 v2, 29, v2
	v_lshlrev_b64 v[3:4], v3, v[14:15]
	s_delay_alu instid0(VALU_DEP_1)
	v_and_b32_e32 v14, 7, v3
; %bb.328:                              ;   in Loop: Header=BB268_16 Depth=1
	s_or_b32 exec_lo, exec_lo, s25
	v_lshlrev_b32_e32 v1, 24, v1
	s_delay_alu instid0(VALU_DEP_2) | instskip(SKIP_1) | instid1(VALU_DEP_3)
	v_lshlrev_b32_e32 v3, 20, v14
	v_lshl_add_u32 v2, v2, 23, 0x3c000000
	v_and_b32_e32 v1, 0x80000000, v1
	s_delay_alu instid0(VALU_DEP_1)
	v_or3_b32 v14, v3, v1, v2
	scratch_store_b64 off, v[14:15], s32 offset:568 ; 8-byte Folded Spill
.LBB268_329:                            ;   in Loop: Header=BB268_16 Depth=1
	s_or_b32 exec_lo, exec_lo, s24
.LBB268_330:                            ;   in Loop: Header=BB268_16 Depth=1
	s_delay_alu instid0(SALU_CYCLE_1)
	s_or_b32 exec_lo, exec_lo, s23
.LBB268_331:                            ;   in Loop: Header=BB268_16 Depth=1
	s_delay_alu instid0(SALU_CYCLE_1) | instskip(NEXT) | instid1(SALU_CYCLE_1)
	s_or_b32 exec_lo, exec_lo, s2
	s_mov_b32 s23, exec_lo
	v_cmpx_lt_u32_e32 0xffffff, v0
	s_cbranch_execz .LBB268_339
; %bb.332:                              ;   in Loop: Header=BB268_16 Depth=1
	v_lshrrev_b32_e32 v1, 24, v0
	v_dual_mov_b32 v2, s8 :: v_dual_mov_b32 v3, s9
	s_mov_b32 s24, exec_lo
	scratch_store_b64 off, v[2:3], s32 offset:560 ; 8-byte Folded Spill
	v_cmpx_ne_u32_e32 0x80, v1
	s_cbranch_execz .LBB268_338
; %bb.333:                              ;   in Loop: Header=BB268_16 Depth=1
	s_mov_b32 s2, s8
	v_bfe_u32 v2, v0, 24, 7
	v_dual_mov_b32 v4, s3 :: v_dual_mov_b32 v3, s2
	s_mov_b32 s2, exec_lo
	scratch_store_b64 off, v[3:4], s32 offset:560 ; 8-byte Folded Spill
	v_cmpx_ne_u32_e32 0x7f, v2
	s_cbranch_execz .LBB268_337
; %bb.334:                              ;   in Loop: Header=BB268_16 Depth=1
	v_and_b32_e32 v14, 7, v1
	v_lshrrev_b32_e32 v0, 3, v2
	s_mov_b32 s25, exec_lo
	v_cmpx_gt_u32_e32 8, v2
; %bb.335:                              ;   in Loop: Header=BB268_16 Depth=1
	s_delay_alu instid0(VALU_DEP_3) | instskip(NEXT) | instid1(VALU_DEP_1)
	v_clz_i32_u32_e32 v0, v14
	v_min_u32_e32 v0, 32, v0
	s_delay_alu instid0(VALU_DEP_1) | instskip(SKIP_1) | instid1(VALU_DEP_2)
	v_subrev_nc_u32_e32 v2, 28, v0
	v_sub_nc_u32_e32 v0, 29, v0
	v_lshlrev_b64 v[2:3], v2, v[14:15]
	s_delay_alu instid0(VALU_DEP_1)
	v_and_b32_e32 v14, 7, v2
; %bb.336:                              ;   in Loop: Header=BB268_16 Depth=1
	s_or_b32 exec_lo, exec_lo, s25
	v_lshlrev_b32_e32 v1, 24, v1
	s_delay_alu instid0(VALU_DEP_2) | instskip(SKIP_1) | instid1(VALU_DEP_3)
	v_lshlrev_b32_e32 v2, 20, v14
	v_lshl_add_u32 v0, v0, 23, 0x3c000000
	v_and_b32_e32 v1, 0x80000000, v1
	s_delay_alu instid0(VALU_DEP_1)
	v_or3_b32 v1, v2, v1, v0
	v_mov_b32_e32 v0, v15
	scratch_store_b64 off, v[0:1], s32 offset:560 ; 8-byte Folded Spill
.LBB268_337:                            ;   in Loop: Header=BB268_16 Depth=1
	s_or_b32 exec_lo, exec_lo, s2
.LBB268_338:                            ;   in Loop: Header=BB268_16 Depth=1
	s_delay_alu instid0(SALU_CYCLE_1)
	s_or_b32 exec_lo, exec_lo, s24
.LBB268_339:                            ;   in Loop: Header=BB268_16 Depth=1
	s_delay_alu instid0(SALU_CYCLE_1)
	s_or_b32 exec_lo, exec_lo, s23
	flat_load_b32 v0, v[142:143] offset:1032
	v_mov_b32_e32 v2, 0
	v_mov_b32_e32 v3, 0
	s_mov_b32 s2, exec_lo
	s_clause 0x1
	scratch_store_b64 off, v[2:3], s32 offset:576
	scratch_store_b64 off, v[2:3], s32 offset:584
	s_waitcnt vmcnt(0) lgkmcnt(0)
	v_and_b32_e32 v1, 0xff, v0
	s_delay_alu instid0(VALU_DEP_1)
	v_cmpx_ne_u16_e32 0, v1
	s_cbranch_execz .LBB268_347
; %bb.340:                              ;   in Loop: Header=BB268_16 Depth=1
	v_cmp_ne_u16_e64 s1, 0x80, v1
	v_bfrev_b32_e32 v1, 1
	v_mov_b32_e32 v2, 0
	scratch_store_b64 off, v[1:2], s32 offset:584 ; 8-byte Folded Spill
	s_and_saveexec_b32 s23, s1
	s_cbranch_execz .LBB268_346
; %bb.341:                              ;   in Loop: Header=BB268_16 Depth=1
	v_mov_b32_e32 v3, 0x7f800001
	v_and_b32_e32 v2, 0x7f, v0
	v_mov_b32_e32 v4, 0
	s_mov_b32 s24, exec_lo
	scratch_store_b64 off, v[3:4], s32 offset:584 ; 8-byte Folded Spill
	v_cmpx_ne_u32_e32 0x7f, v2
	s_cbranch_execz .LBB268_345
; %bb.342:                              ;   in Loop: Header=BB268_16 Depth=1
	v_and_b32_e32 v14, 7, v0
	v_lshrrev_b32_e32 v1, 3, v2
	s_mov_b32 s25, exec_lo
	v_cmpx_gt_u32_e32 8, v2
; %bb.343:                              ;   in Loop: Header=BB268_16 Depth=1
	s_delay_alu instid0(VALU_DEP_3) | instskip(NEXT) | instid1(VALU_DEP_1)
	v_clz_i32_u32_e32 v1, v14
	v_min_u32_e32 v1, 32, v1
	s_delay_alu instid0(VALU_DEP_1) | instskip(SKIP_1) | instid1(VALU_DEP_2)
	v_subrev_nc_u32_e32 v2, 28, v1
	v_sub_nc_u32_e32 v1, 29, v1
	v_lshlrev_b64 v[2:3], v2, v[14:15]
	s_delay_alu instid0(VALU_DEP_1)
	v_and_b32_e32 v14, 7, v2
; %bb.344:                              ;   in Loop: Header=BB268_16 Depth=1
	s_or_b32 exec_lo, exec_lo, s25
	v_lshlrev_b32_e32 v2, 24, v0
	s_delay_alu instid0(VALU_DEP_2) | instskip(SKIP_1) | instid1(VALU_DEP_3)
	v_lshlrev_b32_e32 v3, 20, v14
	v_lshl_add_u32 v1, v1, 23, 0x3c000000
	v_and_b32_e32 v2, 0x80000000, v2
	s_delay_alu instid0(VALU_DEP_1)
	v_or3_b32 v14, v3, v2, v1
	scratch_store_b64 off, v[14:15], s32 offset:584 ; 8-byte Folded Spill
.LBB268_345:                            ;   in Loop: Header=BB268_16 Depth=1
	s_or_b32 exec_lo, exec_lo, s24
.LBB268_346:                            ;   in Loop: Header=BB268_16 Depth=1
	s_delay_alu instid0(SALU_CYCLE_1)
	s_or_b32 exec_lo, exec_lo, s23
.LBB268_347:                            ;   in Loop: Header=BB268_16 Depth=1
	s_delay_alu instid0(SALU_CYCLE_1) | instskip(SKIP_2) | instid1(VALU_DEP_1)
	s_or_b32 exec_lo, exec_lo, s2
	v_lshrrev_b16 v1, 8, v0
	s_mov_b32 s23, exec_lo
	v_cmpx_ne_u16_e32 0, v1
	s_cbranch_execz .LBB268_355
; %bb.348:                              ;   in Loop: Header=BB268_16 Depth=1
	v_dual_mov_b32 v2, s8 :: v_dual_mov_b32 v3, s9
	s_mov_b32 s24, exec_lo
	scratch_store_b64 off, v[2:3], s32 offset:576 ; 8-byte Folded Spill
	v_cmpx_ne_u16_e32 0x80, v1
	s_cbranch_execz .LBB268_354
; %bb.349:                              ;   in Loop: Header=BB268_16 Depth=1
	s_mov_b32 s2, s8
	v_dual_mov_b32 v4, s3 :: v_dual_and_b32 v1, 0xffff, v1
	v_mov_b32_e32 v3, s2
	s_mov_b32 s2, exec_lo
	s_delay_alu instid0(VALU_DEP_2)
	v_and_b32_e32 v2, 0x7f, v1
	scratch_store_b64 off, v[3:4], s32 offset:576 ; 8-byte Folded Spill
	v_cmpx_ne_u32_e32 0x7f, v2
	s_cbranch_execz .LBB268_353
; %bb.350:                              ;   in Loop: Header=BB268_16 Depth=1
	v_and_b32_e32 v14, 7, v1
	v_lshrrev_b32_e32 v1, 3, v2
	s_mov_b32 s25, exec_lo
	v_cmpx_gt_u32_e32 8, v2
; %bb.351:                              ;   in Loop: Header=BB268_16 Depth=1
	s_delay_alu instid0(VALU_DEP_3) | instskip(NEXT) | instid1(VALU_DEP_1)
	v_clz_i32_u32_e32 v1, v14
	v_min_u32_e32 v1, 32, v1
	s_delay_alu instid0(VALU_DEP_1) | instskip(SKIP_1) | instid1(VALU_DEP_2)
	v_subrev_nc_u32_e32 v2, 28, v1
	v_sub_nc_u32_e32 v1, 29, v1
	v_lshlrev_b64 v[2:3], v2, v[14:15]
	s_delay_alu instid0(VALU_DEP_1)
	v_and_b32_e32 v14, 7, v2
; %bb.352:                              ;   in Loop: Header=BB268_16 Depth=1
	s_or_b32 exec_lo, exec_lo, s25
	v_lshlrev_b32_e32 v2, 16, v0
	s_delay_alu instid0(VALU_DEP_2) | instskip(SKIP_1) | instid1(VALU_DEP_3)
	v_lshlrev_b32_e32 v3, 20, v14
	v_lshl_add_u32 v1, v1, 23, 0x3c000000
	v_and_b32_e32 v2, 0x80000000, v2
	s_delay_alu instid0(VALU_DEP_1)
	v_or3_b32 v2, v3, v2, v1
	v_mov_b32_e32 v1, v15
	scratch_store_b64 off, v[1:2], s32 offset:576 ; 8-byte Folded Spill
.LBB268_353:                            ;   in Loop: Header=BB268_16 Depth=1
	s_or_b32 exec_lo, exec_lo, s2
.LBB268_354:                            ;   in Loop: Header=BB268_16 Depth=1
	s_delay_alu instid0(SALU_CYCLE_1)
	s_or_b32 exec_lo, exec_lo, s24
.LBB268_355:                            ;   in Loop: Header=BB268_16 Depth=1
	s_delay_alu instid0(SALU_CYCLE_1)
	s_or_b32 exec_lo, exec_lo, s23
	v_lshrrev_b32_e32 v1, 16, v0
	v_mov_b32_e32 v3, 0
	v_mov_b32_e32 v4, 0
	s_mov_b32 s2, exec_lo
	s_clause 0x1
	scratch_store_b64 off, v[3:4], s32 offset:592
	scratch_store_b64 off, v[3:4], s32 offset:600
	v_and_b32_e32 v2, 0xff, v1
	s_delay_alu instid0(VALU_DEP_1)
	v_cmpx_ne_u16_e32 0, v2
	s_cbranch_execz .LBB268_363
; %bb.356:                              ;   in Loop: Header=BB268_16 Depth=1
	v_cmp_ne_u16_e64 s1, 0x80, v2
	v_bfrev_b32_e32 v2, 1
	v_mov_b32_e32 v3, 0
	scratch_store_b64 off, v[2:3], s32 offset:600 ; 8-byte Folded Spill
	s_and_saveexec_b32 s23, s1
	s_cbranch_execz .LBB268_362
; %bb.357:                              ;   in Loop: Header=BB268_16 Depth=1
	v_mov_b32_e32 v4, 0x7f800001
	v_bfe_u32 v3, v0, 16, 7
	v_mov_b32_e32 v5, 0
	s_mov_b32 s24, exec_lo
	scratch_store_b64 off, v[4:5], s32 offset:600 ; 8-byte Folded Spill
	v_cmpx_ne_u32_e32 0x7f, v3
	s_cbranch_execz .LBB268_361
; %bb.358:                              ;   in Loop: Header=BB268_16 Depth=1
	v_and_b32_e32 v14, 7, v1
	v_lshrrev_b32_e32 v2, 3, v3
	s_mov_b32 s25, exec_lo
	v_cmpx_gt_u32_e32 8, v3
; %bb.359:                              ;   in Loop: Header=BB268_16 Depth=1
	s_delay_alu instid0(VALU_DEP_3) | instskip(NEXT) | instid1(VALU_DEP_1)
	v_clz_i32_u32_e32 v2, v14
	v_min_u32_e32 v2, 32, v2
	s_delay_alu instid0(VALU_DEP_1) | instskip(SKIP_1) | instid1(VALU_DEP_2)
	v_subrev_nc_u32_e32 v3, 28, v2
	v_sub_nc_u32_e32 v2, 29, v2
	v_lshlrev_b64 v[3:4], v3, v[14:15]
	s_delay_alu instid0(VALU_DEP_1)
	v_and_b32_e32 v14, 7, v3
; %bb.360:                              ;   in Loop: Header=BB268_16 Depth=1
	s_or_b32 exec_lo, exec_lo, s25
	v_lshlrev_b32_e32 v1, 24, v1
	s_delay_alu instid0(VALU_DEP_2) | instskip(SKIP_1) | instid1(VALU_DEP_3)
	v_lshlrev_b32_e32 v3, 20, v14
	v_lshl_add_u32 v2, v2, 23, 0x3c000000
	v_and_b32_e32 v1, 0x80000000, v1
	s_delay_alu instid0(VALU_DEP_1)
	v_or3_b32 v14, v3, v1, v2
	scratch_store_b64 off, v[14:15], s32 offset:600 ; 8-byte Folded Spill
.LBB268_361:                            ;   in Loop: Header=BB268_16 Depth=1
	s_or_b32 exec_lo, exec_lo, s24
.LBB268_362:                            ;   in Loop: Header=BB268_16 Depth=1
	s_delay_alu instid0(SALU_CYCLE_1)
	s_or_b32 exec_lo, exec_lo, s23
.LBB268_363:                            ;   in Loop: Header=BB268_16 Depth=1
	s_delay_alu instid0(SALU_CYCLE_1) | instskip(NEXT) | instid1(SALU_CYCLE_1)
	s_or_b32 exec_lo, exec_lo, s2
	s_mov_b32 s23, exec_lo
	v_cmpx_lt_u32_e32 0xffffff, v0
	s_cbranch_execz .LBB268_371
; %bb.364:                              ;   in Loop: Header=BB268_16 Depth=1
	v_lshrrev_b32_e32 v1, 24, v0
	v_dual_mov_b32 v2, s8 :: v_dual_mov_b32 v3, s9
	s_mov_b32 s24, exec_lo
	scratch_store_b64 off, v[2:3], s32 offset:592 ; 8-byte Folded Spill
	v_cmpx_ne_u32_e32 0x80, v1
	s_cbranch_execz .LBB268_370
; %bb.365:                              ;   in Loop: Header=BB268_16 Depth=1
	s_mov_b32 s2, s8
	v_bfe_u32 v2, v0, 24, 7
	v_dual_mov_b32 v4, s3 :: v_dual_mov_b32 v3, s2
	s_mov_b32 s2, exec_lo
	scratch_store_b64 off, v[3:4], s32 offset:592 ; 8-byte Folded Spill
	v_cmpx_ne_u32_e32 0x7f, v2
	s_cbranch_execz .LBB268_369
; %bb.366:                              ;   in Loop: Header=BB268_16 Depth=1
	v_and_b32_e32 v14, 7, v1
	v_lshrrev_b32_e32 v0, 3, v2
	s_mov_b32 s25, exec_lo
	v_cmpx_gt_u32_e32 8, v2
; %bb.367:                              ;   in Loop: Header=BB268_16 Depth=1
	s_delay_alu instid0(VALU_DEP_3) | instskip(NEXT) | instid1(VALU_DEP_1)
	v_clz_i32_u32_e32 v0, v14
	v_min_u32_e32 v0, 32, v0
	s_delay_alu instid0(VALU_DEP_1) | instskip(SKIP_1) | instid1(VALU_DEP_2)
	v_subrev_nc_u32_e32 v2, 28, v0
	v_sub_nc_u32_e32 v0, 29, v0
	v_lshlrev_b64 v[2:3], v2, v[14:15]
	s_delay_alu instid0(VALU_DEP_1)
	v_and_b32_e32 v14, 7, v2
; %bb.368:                              ;   in Loop: Header=BB268_16 Depth=1
	s_or_b32 exec_lo, exec_lo, s25
	v_lshlrev_b32_e32 v1, 24, v1
	s_delay_alu instid0(VALU_DEP_2) | instskip(SKIP_1) | instid1(VALU_DEP_3)
	v_lshlrev_b32_e32 v2, 20, v14
	v_lshl_add_u32 v0, v0, 23, 0x3c000000
	v_and_b32_e32 v1, 0x80000000, v1
	s_delay_alu instid0(VALU_DEP_1)
	v_or3_b32 v1, v2, v1, v0
	v_mov_b32_e32 v0, v15
	scratch_store_b64 off, v[0:1], s32 offset:592 ; 8-byte Folded Spill
.LBB268_369:                            ;   in Loop: Header=BB268_16 Depth=1
	s_or_b32 exec_lo, exec_lo, s2
.LBB268_370:                            ;   in Loop: Header=BB268_16 Depth=1
	s_delay_alu instid0(SALU_CYCLE_1)
	s_or_b32 exec_lo, exec_lo, s24
.LBB268_371:                            ;   in Loop: Header=BB268_16 Depth=1
	s_delay_alu instid0(SALU_CYCLE_1)
	s_or_b32 exec_lo, exec_lo, s23
	flat_load_b32 v0, v[142:143] offset:1036
	v_mov_b32_e32 v2, 0
	v_mov_b32_e32 v3, 0
	s_mov_b32 s2, exec_lo
	s_clause 0x1
	scratch_store_b64 off, v[2:3], s32 offset:608
	scratch_store_b64 off, v[2:3], s32 offset:616
	s_waitcnt vmcnt(0) lgkmcnt(0)
	v_and_b32_e32 v1, 0xff, v0
	s_delay_alu instid0(VALU_DEP_1)
	v_cmpx_ne_u16_e32 0, v1
	s_cbranch_execz .LBB268_379
; %bb.372:                              ;   in Loop: Header=BB268_16 Depth=1
	v_cmp_ne_u16_e64 s1, 0x80, v1
	v_bfrev_b32_e32 v1, 1
	v_mov_b32_e32 v2, 0
	scratch_store_b64 off, v[1:2], s32 offset:616 ; 8-byte Folded Spill
	s_and_saveexec_b32 s23, s1
	s_cbranch_execz .LBB268_378
; %bb.373:                              ;   in Loop: Header=BB268_16 Depth=1
	v_mov_b32_e32 v3, 0x7f800001
	v_and_b32_e32 v2, 0x7f, v0
	v_mov_b32_e32 v4, 0
	s_mov_b32 s24, exec_lo
	scratch_store_b64 off, v[3:4], s32 offset:616 ; 8-byte Folded Spill
	v_cmpx_ne_u32_e32 0x7f, v2
	s_cbranch_execz .LBB268_377
; %bb.374:                              ;   in Loop: Header=BB268_16 Depth=1
	v_and_b32_e32 v14, 7, v0
	v_lshrrev_b32_e32 v1, 3, v2
	s_mov_b32 s25, exec_lo
	v_cmpx_gt_u32_e32 8, v2
; %bb.375:                              ;   in Loop: Header=BB268_16 Depth=1
	s_delay_alu instid0(VALU_DEP_3) | instskip(NEXT) | instid1(VALU_DEP_1)
	v_clz_i32_u32_e32 v1, v14
	v_min_u32_e32 v1, 32, v1
	s_delay_alu instid0(VALU_DEP_1) | instskip(SKIP_1) | instid1(VALU_DEP_2)
	v_subrev_nc_u32_e32 v2, 28, v1
	v_sub_nc_u32_e32 v1, 29, v1
	v_lshlrev_b64 v[2:3], v2, v[14:15]
	s_delay_alu instid0(VALU_DEP_1)
	v_and_b32_e32 v14, 7, v2
; %bb.376:                              ;   in Loop: Header=BB268_16 Depth=1
	s_or_b32 exec_lo, exec_lo, s25
	v_lshlrev_b32_e32 v2, 24, v0
	s_delay_alu instid0(VALU_DEP_2) | instskip(SKIP_1) | instid1(VALU_DEP_3)
	v_lshlrev_b32_e32 v3, 20, v14
	v_lshl_add_u32 v1, v1, 23, 0x3c000000
	v_and_b32_e32 v2, 0x80000000, v2
	s_delay_alu instid0(VALU_DEP_1)
	v_or3_b32 v14, v3, v2, v1
	scratch_store_b64 off, v[14:15], s32 offset:616 ; 8-byte Folded Spill
.LBB268_377:                            ;   in Loop: Header=BB268_16 Depth=1
	s_or_b32 exec_lo, exec_lo, s24
.LBB268_378:                            ;   in Loop: Header=BB268_16 Depth=1
	s_delay_alu instid0(SALU_CYCLE_1)
	s_or_b32 exec_lo, exec_lo, s23
.LBB268_379:                            ;   in Loop: Header=BB268_16 Depth=1
	s_delay_alu instid0(SALU_CYCLE_1) | instskip(SKIP_2) | instid1(VALU_DEP_1)
	s_or_b32 exec_lo, exec_lo, s2
	v_lshrrev_b16 v1, 8, v0
	s_mov_b32 s23, exec_lo
	v_cmpx_ne_u16_e32 0, v1
	s_cbranch_execz .LBB268_387
; %bb.380:                              ;   in Loop: Header=BB268_16 Depth=1
	v_dual_mov_b32 v2, s8 :: v_dual_mov_b32 v3, s9
	s_mov_b32 s24, exec_lo
	scratch_store_b64 off, v[2:3], s32 offset:608 ; 8-byte Folded Spill
	v_cmpx_ne_u16_e32 0x80, v1
	s_cbranch_execz .LBB268_386
; %bb.381:                              ;   in Loop: Header=BB268_16 Depth=1
	s_mov_b32 s2, s8
	v_dual_mov_b32 v4, s3 :: v_dual_and_b32 v1, 0xffff, v1
	v_mov_b32_e32 v3, s2
	s_mov_b32 s2, exec_lo
	s_delay_alu instid0(VALU_DEP_2)
	v_and_b32_e32 v2, 0x7f, v1
	scratch_store_b64 off, v[3:4], s32 offset:608 ; 8-byte Folded Spill
	v_cmpx_ne_u32_e32 0x7f, v2
	s_cbranch_execz .LBB268_385
; %bb.382:                              ;   in Loop: Header=BB268_16 Depth=1
	v_and_b32_e32 v14, 7, v1
	v_lshrrev_b32_e32 v1, 3, v2
	s_mov_b32 s25, exec_lo
	v_cmpx_gt_u32_e32 8, v2
; %bb.383:                              ;   in Loop: Header=BB268_16 Depth=1
	s_delay_alu instid0(VALU_DEP_3) | instskip(NEXT) | instid1(VALU_DEP_1)
	v_clz_i32_u32_e32 v1, v14
	v_min_u32_e32 v1, 32, v1
	s_delay_alu instid0(VALU_DEP_1) | instskip(SKIP_1) | instid1(VALU_DEP_2)
	v_subrev_nc_u32_e32 v2, 28, v1
	v_sub_nc_u32_e32 v1, 29, v1
	v_lshlrev_b64 v[2:3], v2, v[14:15]
	s_delay_alu instid0(VALU_DEP_1)
	v_and_b32_e32 v14, 7, v2
; %bb.384:                              ;   in Loop: Header=BB268_16 Depth=1
	s_or_b32 exec_lo, exec_lo, s25
	v_lshlrev_b32_e32 v2, 16, v0
	s_delay_alu instid0(VALU_DEP_2) | instskip(SKIP_1) | instid1(VALU_DEP_3)
	v_lshlrev_b32_e32 v3, 20, v14
	v_lshl_add_u32 v1, v1, 23, 0x3c000000
	v_and_b32_e32 v2, 0x80000000, v2
	s_delay_alu instid0(VALU_DEP_1)
	v_or3_b32 v2, v3, v2, v1
	v_mov_b32_e32 v1, v15
	scratch_store_b64 off, v[1:2], s32 offset:608 ; 8-byte Folded Spill
.LBB268_385:                            ;   in Loop: Header=BB268_16 Depth=1
	s_or_b32 exec_lo, exec_lo, s2
.LBB268_386:                            ;   in Loop: Header=BB268_16 Depth=1
	s_delay_alu instid0(SALU_CYCLE_1)
	s_or_b32 exec_lo, exec_lo, s24
.LBB268_387:                            ;   in Loop: Header=BB268_16 Depth=1
	s_delay_alu instid0(SALU_CYCLE_1)
	s_or_b32 exec_lo, exec_lo, s23
	v_lshrrev_b32_e32 v1, 16, v0
	v_mov_b32_e32 v3, 0
	v_mov_b32_e32 v4, 0
	s_mov_b32 s2, exec_lo
	s_clause 0x1
	scratch_store_b64 off, v[3:4], s32 offset:624
	scratch_store_b64 off, v[3:4], s32 offset:632
	v_and_b32_e32 v2, 0xff, v1
	s_delay_alu instid0(VALU_DEP_1)
	v_cmpx_ne_u16_e32 0, v2
	s_cbranch_execz .LBB268_395
; %bb.388:                              ;   in Loop: Header=BB268_16 Depth=1
	v_cmp_ne_u16_e64 s1, 0x80, v2
	v_bfrev_b32_e32 v2, 1
	v_mov_b32_e32 v3, 0
	scratch_store_b64 off, v[2:3], s32 offset:632 ; 8-byte Folded Spill
	s_and_saveexec_b32 s23, s1
	s_cbranch_execz .LBB268_394
; %bb.389:                              ;   in Loop: Header=BB268_16 Depth=1
	v_mov_b32_e32 v4, 0x7f800001
	v_bfe_u32 v3, v0, 16, 7
	v_mov_b32_e32 v5, 0
	s_mov_b32 s24, exec_lo
	scratch_store_b64 off, v[4:5], s32 offset:632 ; 8-byte Folded Spill
	v_cmpx_ne_u32_e32 0x7f, v3
	s_cbranch_execz .LBB268_393
; %bb.390:                              ;   in Loop: Header=BB268_16 Depth=1
	v_and_b32_e32 v14, 7, v1
	v_lshrrev_b32_e32 v2, 3, v3
	s_mov_b32 s25, exec_lo
	v_cmpx_gt_u32_e32 8, v3
; %bb.391:                              ;   in Loop: Header=BB268_16 Depth=1
	s_delay_alu instid0(VALU_DEP_3) | instskip(NEXT) | instid1(VALU_DEP_1)
	v_clz_i32_u32_e32 v2, v14
	v_min_u32_e32 v2, 32, v2
	s_delay_alu instid0(VALU_DEP_1) | instskip(SKIP_1) | instid1(VALU_DEP_2)
	v_subrev_nc_u32_e32 v3, 28, v2
	v_sub_nc_u32_e32 v2, 29, v2
	v_lshlrev_b64 v[3:4], v3, v[14:15]
	s_delay_alu instid0(VALU_DEP_1)
	v_and_b32_e32 v14, 7, v3
; %bb.392:                              ;   in Loop: Header=BB268_16 Depth=1
	s_or_b32 exec_lo, exec_lo, s25
	v_lshlrev_b32_e32 v1, 24, v1
	s_delay_alu instid0(VALU_DEP_2) | instskip(SKIP_1) | instid1(VALU_DEP_3)
	v_lshlrev_b32_e32 v3, 20, v14
	v_lshl_add_u32 v2, v2, 23, 0x3c000000
	v_and_b32_e32 v1, 0x80000000, v1
	s_delay_alu instid0(VALU_DEP_1)
	v_or3_b32 v14, v3, v1, v2
	scratch_store_b64 off, v[14:15], s32 offset:632 ; 8-byte Folded Spill
.LBB268_393:                            ;   in Loop: Header=BB268_16 Depth=1
	s_or_b32 exec_lo, exec_lo, s24
.LBB268_394:                            ;   in Loop: Header=BB268_16 Depth=1
	s_delay_alu instid0(SALU_CYCLE_1)
	s_or_b32 exec_lo, exec_lo, s23
.LBB268_395:                            ;   in Loop: Header=BB268_16 Depth=1
	s_delay_alu instid0(SALU_CYCLE_1) | instskip(NEXT) | instid1(SALU_CYCLE_1)
	s_or_b32 exec_lo, exec_lo, s2
	s_mov_b32 s23, exec_lo
	v_cmpx_lt_u32_e32 0xffffff, v0
	s_cbranch_execz .LBB268_403
; %bb.396:                              ;   in Loop: Header=BB268_16 Depth=1
	v_lshrrev_b32_e32 v1, 24, v0
	v_dual_mov_b32 v2, s8 :: v_dual_mov_b32 v3, s9
	s_mov_b32 s24, exec_lo
	scratch_store_b64 off, v[2:3], s32 offset:624 ; 8-byte Folded Spill
	v_cmpx_ne_u32_e32 0x80, v1
	s_cbranch_execz .LBB268_402
; %bb.397:                              ;   in Loop: Header=BB268_16 Depth=1
	s_mov_b32 s2, s8
	v_bfe_u32 v2, v0, 24, 7
	v_dual_mov_b32 v4, s3 :: v_dual_mov_b32 v3, s2
	s_mov_b32 s2, exec_lo
	scratch_store_b64 off, v[3:4], s32 offset:624 ; 8-byte Folded Spill
	v_cmpx_ne_u32_e32 0x7f, v2
	s_cbranch_execz .LBB268_401
; %bb.398:                              ;   in Loop: Header=BB268_16 Depth=1
	v_and_b32_e32 v14, 7, v1
	v_lshrrev_b32_e32 v0, 3, v2
	s_mov_b32 s25, exec_lo
	v_cmpx_gt_u32_e32 8, v2
; %bb.399:                              ;   in Loop: Header=BB268_16 Depth=1
	s_delay_alu instid0(VALU_DEP_3) | instskip(NEXT) | instid1(VALU_DEP_1)
	v_clz_i32_u32_e32 v0, v14
	v_min_u32_e32 v0, 32, v0
	s_delay_alu instid0(VALU_DEP_1) | instskip(SKIP_1) | instid1(VALU_DEP_2)
	v_subrev_nc_u32_e32 v2, 28, v0
	v_sub_nc_u32_e32 v0, 29, v0
	v_lshlrev_b64 v[2:3], v2, v[14:15]
	s_delay_alu instid0(VALU_DEP_1)
	v_and_b32_e32 v14, 7, v2
; %bb.400:                              ;   in Loop: Header=BB268_16 Depth=1
	s_or_b32 exec_lo, exec_lo, s25
	v_lshlrev_b32_e32 v1, 24, v1
	s_delay_alu instid0(VALU_DEP_2) | instskip(SKIP_1) | instid1(VALU_DEP_3)
	v_lshlrev_b32_e32 v2, 20, v14
	v_lshl_add_u32 v0, v0, 23, 0x3c000000
	v_and_b32_e32 v1, 0x80000000, v1
	s_delay_alu instid0(VALU_DEP_1)
	v_or3_b32 v1, v2, v1, v0
	v_mov_b32_e32 v0, v15
	scratch_store_b64 off, v[0:1], s32 offset:624 ; 8-byte Folded Spill
.LBB268_401:                            ;   in Loop: Header=BB268_16 Depth=1
	s_or_b32 exec_lo, exec_lo, s2
.LBB268_402:                            ;   in Loop: Header=BB268_16 Depth=1
	s_delay_alu instid0(SALU_CYCLE_1)
	s_or_b32 exec_lo, exec_lo, s24
.LBB268_403:                            ;   in Loop: Header=BB268_16 Depth=1
	s_delay_alu instid0(SALU_CYCLE_1)
	s_or_b32 exec_lo, exec_lo, s23
	flat_load_b32 v0, v[142:143] offset:1536
	v_mov_b32_e32 v2, 0
	v_mov_b32_e32 v3, 0
	s_mov_b32 s2, exec_lo
	s_clause 0x1
	scratch_store_b64 off, v[2:3], s32 offset:640
	scratch_store_b64 off, v[2:3], s32 offset:648
	s_waitcnt vmcnt(0) lgkmcnt(0)
	v_and_b32_e32 v1, 0xff, v0
	s_delay_alu instid0(VALU_DEP_1)
	v_cmpx_ne_u16_e32 0, v1
	s_cbranch_execz .LBB268_411
; %bb.404:                              ;   in Loop: Header=BB268_16 Depth=1
	v_cmp_ne_u16_e64 s1, 0x80, v1
	v_bfrev_b32_e32 v1, 1
	v_mov_b32_e32 v2, 0
	scratch_store_b64 off, v[1:2], s32 offset:648 ; 8-byte Folded Spill
	s_and_saveexec_b32 s23, s1
	s_cbranch_execz .LBB268_410
; %bb.405:                              ;   in Loop: Header=BB268_16 Depth=1
	v_mov_b32_e32 v3, 0x7f800001
	v_and_b32_e32 v2, 0x7f, v0
	v_mov_b32_e32 v4, 0
	s_mov_b32 s24, exec_lo
	scratch_store_b64 off, v[3:4], s32 offset:648 ; 8-byte Folded Spill
	v_cmpx_ne_u32_e32 0x7f, v2
	s_cbranch_execz .LBB268_409
; %bb.406:                              ;   in Loop: Header=BB268_16 Depth=1
	v_and_b32_e32 v14, 7, v0
	v_lshrrev_b32_e32 v1, 3, v2
	s_mov_b32 s25, exec_lo
	v_cmpx_gt_u32_e32 8, v2
; %bb.407:                              ;   in Loop: Header=BB268_16 Depth=1
	s_delay_alu instid0(VALU_DEP_3) | instskip(NEXT) | instid1(VALU_DEP_1)
	v_clz_i32_u32_e32 v1, v14
	v_min_u32_e32 v1, 32, v1
	s_delay_alu instid0(VALU_DEP_1) | instskip(SKIP_1) | instid1(VALU_DEP_2)
	v_subrev_nc_u32_e32 v2, 28, v1
	v_sub_nc_u32_e32 v1, 29, v1
	v_lshlrev_b64 v[2:3], v2, v[14:15]
	s_delay_alu instid0(VALU_DEP_1)
	v_and_b32_e32 v14, 7, v2
; %bb.408:                              ;   in Loop: Header=BB268_16 Depth=1
	s_or_b32 exec_lo, exec_lo, s25
	v_lshlrev_b32_e32 v2, 24, v0
	s_delay_alu instid0(VALU_DEP_2) | instskip(SKIP_1) | instid1(VALU_DEP_3)
	v_lshlrev_b32_e32 v3, 20, v14
	v_lshl_add_u32 v1, v1, 23, 0x3c000000
	v_and_b32_e32 v2, 0x80000000, v2
	s_delay_alu instid0(VALU_DEP_1)
	v_or3_b32 v14, v3, v2, v1
	scratch_store_b64 off, v[14:15], s32 offset:648 ; 8-byte Folded Spill
.LBB268_409:                            ;   in Loop: Header=BB268_16 Depth=1
	s_or_b32 exec_lo, exec_lo, s24
.LBB268_410:                            ;   in Loop: Header=BB268_16 Depth=1
	s_delay_alu instid0(SALU_CYCLE_1)
	s_or_b32 exec_lo, exec_lo, s23
.LBB268_411:                            ;   in Loop: Header=BB268_16 Depth=1
	s_delay_alu instid0(SALU_CYCLE_1) | instskip(SKIP_2) | instid1(VALU_DEP_1)
	s_or_b32 exec_lo, exec_lo, s2
	v_lshrrev_b16 v1, 8, v0
	s_mov_b32 s23, exec_lo
	v_cmpx_ne_u16_e32 0, v1
	s_cbranch_execz .LBB268_419
; %bb.412:                              ;   in Loop: Header=BB268_16 Depth=1
	v_dual_mov_b32 v2, s8 :: v_dual_mov_b32 v3, s9
	s_mov_b32 s24, exec_lo
	scratch_store_b64 off, v[2:3], s32 offset:640 ; 8-byte Folded Spill
	v_cmpx_ne_u16_e32 0x80, v1
	s_cbranch_execz .LBB268_418
; %bb.413:                              ;   in Loop: Header=BB268_16 Depth=1
	s_mov_b32 s2, s8
	v_dual_mov_b32 v4, s3 :: v_dual_and_b32 v1, 0xffff, v1
	v_mov_b32_e32 v3, s2
	s_mov_b32 s2, exec_lo
	s_delay_alu instid0(VALU_DEP_2)
	v_and_b32_e32 v2, 0x7f, v1
	scratch_store_b64 off, v[3:4], s32 offset:640 ; 8-byte Folded Spill
	v_cmpx_ne_u32_e32 0x7f, v2
	s_cbranch_execz .LBB268_417
; %bb.414:                              ;   in Loop: Header=BB268_16 Depth=1
	v_and_b32_e32 v14, 7, v1
	v_lshrrev_b32_e32 v1, 3, v2
	s_mov_b32 s25, exec_lo
	v_cmpx_gt_u32_e32 8, v2
; %bb.415:                              ;   in Loop: Header=BB268_16 Depth=1
	s_delay_alu instid0(VALU_DEP_3) | instskip(NEXT) | instid1(VALU_DEP_1)
	v_clz_i32_u32_e32 v1, v14
	v_min_u32_e32 v1, 32, v1
	s_delay_alu instid0(VALU_DEP_1) | instskip(SKIP_1) | instid1(VALU_DEP_2)
	v_subrev_nc_u32_e32 v2, 28, v1
	v_sub_nc_u32_e32 v1, 29, v1
	v_lshlrev_b64 v[2:3], v2, v[14:15]
	s_delay_alu instid0(VALU_DEP_1)
	v_and_b32_e32 v14, 7, v2
; %bb.416:                              ;   in Loop: Header=BB268_16 Depth=1
	s_or_b32 exec_lo, exec_lo, s25
	v_lshlrev_b32_e32 v2, 16, v0
	s_delay_alu instid0(VALU_DEP_2) | instskip(SKIP_1) | instid1(VALU_DEP_3)
	v_lshlrev_b32_e32 v3, 20, v14
	v_lshl_add_u32 v1, v1, 23, 0x3c000000
	v_and_b32_e32 v2, 0x80000000, v2
	s_delay_alu instid0(VALU_DEP_1)
	v_or3_b32 v2, v3, v2, v1
	v_mov_b32_e32 v1, v15
	scratch_store_b64 off, v[1:2], s32 offset:640 ; 8-byte Folded Spill
.LBB268_417:                            ;   in Loop: Header=BB268_16 Depth=1
	s_or_b32 exec_lo, exec_lo, s2
.LBB268_418:                            ;   in Loop: Header=BB268_16 Depth=1
	s_delay_alu instid0(SALU_CYCLE_1)
	s_or_b32 exec_lo, exec_lo, s24
.LBB268_419:                            ;   in Loop: Header=BB268_16 Depth=1
	s_delay_alu instid0(SALU_CYCLE_1)
	s_or_b32 exec_lo, exec_lo, s23
	v_lshrrev_b32_e32 v1, 16, v0
	v_mov_b32_e32 v3, 0
	v_mov_b32_e32 v4, 0
	s_mov_b32 s2, exec_lo
	s_clause 0x1
	scratch_store_b64 off, v[3:4], s32 offset:656
	scratch_store_b64 off, v[3:4], s32 offset:664
	v_and_b32_e32 v2, 0xff, v1
	s_delay_alu instid0(VALU_DEP_1)
	v_cmpx_ne_u16_e32 0, v2
	s_cbranch_execz .LBB268_427
; %bb.420:                              ;   in Loop: Header=BB268_16 Depth=1
	v_cmp_ne_u16_e64 s1, 0x80, v2
	v_bfrev_b32_e32 v2, 1
	v_mov_b32_e32 v3, 0
	scratch_store_b64 off, v[2:3], s32 offset:664 ; 8-byte Folded Spill
	s_and_saveexec_b32 s23, s1
	s_cbranch_execz .LBB268_426
; %bb.421:                              ;   in Loop: Header=BB268_16 Depth=1
	v_mov_b32_e32 v4, 0x7f800001
	v_bfe_u32 v3, v0, 16, 7
	v_mov_b32_e32 v5, 0
	s_mov_b32 s24, exec_lo
	scratch_store_b64 off, v[4:5], s32 offset:664 ; 8-byte Folded Spill
	v_cmpx_ne_u32_e32 0x7f, v3
	s_cbranch_execz .LBB268_425
; %bb.422:                              ;   in Loop: Header=BB268_16 Depth=1
	v_and_b32_e32 v14, 7, v1
	v_lshrrev_b32_e32 v2, 3, v3
	s_mov_b32 s25, exec_lo
	v_cmpx_gt_u32_e32 8, v3
; %bb.423:                              ;   in Loop: Header=BB268_16 Depth=1
	s_delay_alu instid0(VALU_DEP_3) | instskip(NEXT) | instid1(VALU_DEP_1)
	v_clz_i32_u32_e32 v2, v14
	v_min_u32_e32 v2, 32, v2
	s_delay_alu instid0(VALU_DEP_1) | instskip(SKIP_1) | instid1(VALU_DEP_2)
	v_subrev_nc_u32_e32 v3, 28, v2
	v_sub_nc_u32_e32 v2, 29, v2
	v_lshlrev_b64 v[3:4], v3, v[14:15]
	s_delay_alu instid0(VALU_DEP_1)
	v_and_b32_e32 v14, 7, v3
; %bb.424:                              ;   in Loop: Header=BB268_16 Depth=1
	s_or_b32 exec_lo, exec_lo, s25
	v_lshlrev_b32_e32 v1, 24, v1
	s_delay_alu instid0(VALU_DEP_2) | instskip(SKIP_1) | instid1(VALU_DEP_3)
	v_lshlrev_b32_e32 v3, 20, v14
	v_lshl_add_u32 v2, v2, 23, 0x3c000000
	v_and_b32_e32 v1, 0x80000000, v1
	s_delay_alu instid0(VALU_DEP_1)
	v_or3_b32 v14, v3, v1, v2
	scratch_store_b64 off, v[14:15], s32 offset:664 ; 8-byte Folded Spill
.LBB268_425:                            ;   in Loop: Header=BB268_16 Depth=1
	s_or_b32 exec_lo, exec_lo, s24
.LBB268_426:                            ;   in Loop: Header=BB268_16 Depth=1
	s_delay_alu instid0(SALU_CYCLE_1)
	s_or_b32 exec_lo, exec_lo, s23
.LBB268_427:                            ;   in Loop: Header=BB268_16 Depth=1
	s_delay_alu instid0(SALU_CYCLE_1) | instskip(NEXT) | instid1(SALU_CYCLE_1)
	s_or_b32 exec_lo, exec_lo, s2
	s_mov_b32 s23, exec_lo
	v_cmpx_lt_u32_e32 0xffffff, v0
	s_cbranch_execz .LBB268_435
; %bb.428:                              ;   in Loop: Header=BB268_16 Depth=1
	v_lshrrev_b32_e32 v1, 24, v0
	v_dual_mov_b32 v2, s8 :: v_dual_mov_b32 v3, s9
	s_mov_b32 s24, exec_lo
	scratch_store_b64 off, v[2:3], s32 offset:656 ; 8-byte Folded Spill
	v_cmpx_ne_u32_e32 0x80, v1
	s_cbranch_execz .LBB268_434
; %bb.429:                              ;   in Loop: Header=BB268_16 Depth=1
	s_mov_b32 s2, s8
	v_bfe_u32 v2, v0, 24, 7
	v_dual_mov_b32 v4, s3 :: v_dual_mov_b32 v3, s2
	s_mov_b32 s2, exec_lo
	scratch_store_b64 off, v[3:4], s32 offset:656 ; 8-byte Folded Spill
	v_cmpx_ne_u32_e32 0x7f, v2
	s_cbranch_execz .LBB268_433
; %bb.430:                              ;   in Loop: Header=BB268_16 Depth=1
	v_and_b32_e32 v14, 7, v1
	v_lshrrev_b32_e32 v0, 3, v2
	s_mov_b32 s25, exec_lo
	v_cmpx_gt_u32_e32 8, v2
; %bb.431:                              ;   in Loop: Header=BB268_16 Depth=1
	s_delay_alu instid0(VALU_DEP_3) | instskip(NEXT) | instid1(VALU_DEP_1)
	v_clz_i32_u32_e32 v0, v14
	v_min_u32_e32 v0, 32, v0
	s_delay_alu instid0(VALU_DEP_1) | instskip(SKIP_1) | instid1(VALU_DEP_2)
	v_subrev_nc_u32_e32 v2, 28, v0
	v_sub_nc_u32_e32 v0, 29, v0
	v_lshlrev_b64 v[2:3], v2, v[14:15]
	s_delay_alu instid0(VALU_DEP_1)
	v_and_b32_e32 v14, 7, v2
; %bb.432:                              ;   in Loop: Header=BB268_16 Depth=1
	s_or_b32 exec_lo, exec_lo, s25
	v_lshlrev_b32_e32 v1, 24, v1
	s_delay_alu instid0(VALU_DEP_2) | instskip(SKIP_1) | instid1(VALU_DEP_3)
	v_lshlrev_b32_e32 v2, 20, v14
	v_lshl_add_u32 v0, v0, 23, 0x3c000000
	v_and_b32_e32 v1, 0x80000000, v1
	s_delay_alu instid0(VALU_DEP_1)
	v_or3_b32 v1, v2, v1, v0
	v_mov_b32_e32 v0, v15
	scratch_store_b64 off, v[0:1], s32 offset:656 ; 8-byte Folded Spill
.LBB268_433:                            ;   in Loop: Header=BB268_16 Depth=1
	s_or_b32 exec_lo, exec_lo, s2
.LBB268_434:                            ;   in Loop: Header=BB268_16 Depth=1
	s_delay_alu instid0(SALU_CYCLE_1)
	s_or_b32 exec_lo, exec_lo, s24
.LBB268_435:                            ;   in Loop: Header=BB268_16 Depth=1
	s_delay_alu instid0(SALU_CYCLE_1)
	s_or_b32 exec_lo, exec_lo, s23
	flat_load_b32 v0, v[142:143] offset:1540
	v_mov_b32_e32 v2, 0
	v_mov_b32_e32 v3, 0
	s_mov_b32 s2, exec_lo
	s_clause 0x1
	scratch_store_b64 off, v[2:3], s32 offset:672
	scratch_store_b64 off, v[2:3], s32 offset:680
	s_waitcnt vmcnt(0) lgkmcnt(0)
	v_and_b32_e32 v1, 0xff, v0
	s_delay_alu instid0(VALU_DEP_1)
	v_cmpx_ne_u16_e32 0, v1
	s_cbranch_execz .LBB268_443
; %bb.436:                              ;   in Loop: Header=BB268_16 Depth=1
	v_cmp_ne_u16_e64 s1, 0x80, v1
	v_bfrev_b32_e32 v1, 1
	v_mov_b32_e32 v2, 0
	scratch_store_b64 off, v[1:2], s32 offset:680 ; 8-byte Folded Spill
	s_and_saveexec_b32 s23, s1
	s_cbranch_execz .LBB268_442
; %bb.437:                              ;   in Loop: Header=BB268_16 Depth=1
	v_mov_b32_e32 v3, 0x7f800001
	v_and_b32_e32 v2, 0x7f, v0
	v_mov_b32_e32 v4, 0
	s_mov_b32 s24, exec_lo
	scratch_store_b64 off, v[3:4], s32 offset:680 ; 8-byte Folded Spill
	v_cmpx_ne_u32_e32 0x7f, v2
	s_cbranch_execz .LBB268_441
; %bb.438:                              ;   in Loop: Header=BB268_16 Depth=1
	v_and_b32_e32 v14, 7, v0
	v_lshrrev_b32_e32 v1, 3, v2
	s_mov_b32 s25, exec_lo
	v_cmpx_gt_u32_e32 8, v2
; %bb.439:                              ;   in Loop: Header=BB268_16 Depth=1
	s_delay_alu instid0(VALU_DEP_3) | instskip(NEXT) | instid1(VALU_DEP_1)
	v_clz_i32_u32_e32 v1, v14
	v_min_u32_e32 v1, 32, v1
	s_delay_alu instid0(VALU_DEP_1) | instskip(SKIP_1) | instid1(VALU_DEP_2)
	v_subrev_nc_u32_e32 v2, 28, v1
	v_sub_nc_u32_e32 v1, 29, v1
	v_lshlrev_b64 v[2:3], v2, v[14:15]
	s_delay_alu instid0(VALU_DEP_1)
	v_and_b32_e32 v14, 7, v2
; %bb.440:                              ;   in Loop: Header=BB268_16 Depth=1
	s_or_b32 exec_lo, exec_lo, s25
	v_lshlrev_b32_e32 v2, 24, v0
	s_delay_alu instid0(VALU_DEP_2) | instskip(SKIP_1) | instid1(VALU_DEP_3)
	v_lshlrev_b32_e32 v3, 20, v14
	v_lshl_add_u32 v1, v1, 23, 0x3c000000
	v_and_b32_e32 v2, 0x80000000, v2
	s_delay_alu instid0(VALU_DEP_1)
	v_or3_b32 v14, v3, v2, v1
	scratch_store_b64 off, v[14:15], s32 offset:680 ; 8-byte Folded Spill
.LBB268_441:                            ;   in Loop: Header=BB268_16 Depth=1
	s_or_b32 exec_lo, exec_lo, s24
.LBB268_442:                            ;   in Loop: Header=BB268_16 Depth=1
	s_delay_alu instid0(SALU_CYCLE_1)
	s_or_b32 exec_lo, exec_lo, s23
.LBB268_443:                            ;   in Loop: Header=BB268_16 Depth=1
	s_delay_alu instid0(SALU_CYCLE_1) | instskip(SKIP_2) | instid1(VALU_DEP_1)
	s_or_b32 exec_lo, exec_lo, s2
	v_lshrrev_b16 v1, 8, v0
	s_mov_b32 s23, exec_lo
	v_cmpx_ne_u16_e32 0, v1
	s_cbranch_execz .LBB268_451
; %bb.444:                              ;   in Loop: Header=BB268_16 Depth=1
	v_dual_mov_b32 v2, s8 :: v_dual_mov_b32 v3, s9
	s_mov_b32 s24, exec_lo
	scratch_store_b64 off, v[2:3], s32 offset:672 ; 8-byte Folded Spill
	v_cmpx_ne_u16_e32 0x80, v1
	s_cbranch_execz .LBB268_450
; %bb.445:                              ;   in Loop: Header=BB268_16 Depth=1
	s_mov_b32 s2, s8
	v_dual_mov_b32 v4, s3 :: v_dual_and_b32 v1, 0xffff, v1
	v_mov_b32_e32 v3, s2
	s_mov_b32 s2, exec_lo
	s_delay_alu instid0(VALU_DEP_2)
	v_and_b32_e32 v2, 0x7f, v1
	scratch_store_b64 off, v[3:4], s32 offset:672 ; 8-byte Folded Spill
	v_cmpx_ne_u32_e32 0x7f, v2
	s_cbranch_execz .LBB268_449
; %bb.446:                              ;   in Loop: Header=BB268_16 Depth=1
	v_and_b32_e32 v14, 7, v1
	v_lshrrev_b32_e32 v1, 3, v2
	s_mov_b32 s25, exec_lo
	v_cmpx_gt_u32_e32 8, v2
; %bb.447:                              ;   in Loop: Header=BB268_16 Depth=1
	s_delay_alu instid0(VALU_DEP_3) | instskip(NEXT) | instid1(VALU_DEP_1)
	v_clz_i32_u32_e32 v1, v14
	v_min_u32_e32 v1, 32, v1
	s_delay_alu instid0(VALU_DEP_1) | instskip(SKIP_1) | instid1(VALU_DEP_2)
	v_subrev_nc_u32_e32 v2, 28, v1
	v_sub_nc_u32_e32 v1, 29, v1
	v_lshlrev_b64 v[2:3], v2, v[14:15]
	s_delay_alu instid0(VALU_DEP_1)
	v_and_b32_e32 v14, 7, v2
; %bb.448:                              ;   in Loop: Header=BB268_16 Depth=1
	s_or_b32 exec_lo, exec_lo, s25
	v_lshlrev_b32_e32 v2, 16, v0
	s_delay_alu instid0(VALU_DEP_2) | instskip(SKIP_1) | instid1(VALU_DEP_3)
	v_lshlrev_b32_e32 v3, 20, v14
	v_lshl_add_u32 v1, v1, 23, 0x3c000000
	v_and_b32_e32 v2, 0x80000000, v2
	s_delay_alu instid0(VALU_DEP_1)
	v_or3_b32 v2, v3, v2, v1
	v_mov_b32_e32 v1, v15
	scratch_store_b64 off, v[1:2], s32 offset:672 ; 8-byte Folded Spill
.LBB268_449:                            ;   in Loop: Header=BB268_16 Depth=1
	s_or_b32 exec_lo, exec_lo, s2
.LBB268_450:                            ;   in Loop: Header=BB268_16 Depth=1
	s_delay_alu instid0(SALU_CYCLE_1)
	s_or_b32 exec_lo, exec_lo, s24
.LBB268_451:                            ;   in Loop: Header=BB268_16 Depth=1
	s_delay_alu instid0(SALU_CYCLE_1)
	s_or_b32 exec_lo, exec_lo, s23
	v_lshrrev_b32_e32 v1, 16, v0
	v_mov_b32_e32 v3, 0
	v_mov_b32_e32 v4, 0
	s_mov_b32 s2, exec_lo
	s_clause 0x1
	scratch_store_b64 off, v[3:4], s32 offset:688
	scratch_store_b64 off, v[3:4], s32 offset:696
	v_and_b32_e32 v2, 0xff, v1
	s_delay_alu instid0(VALU_DEP_1)
	v_cmpx_ne_u16_e32 0, v2
	s_cbranch_execz .LBB268_459
; %bb.452:                              ;   in Loop: Header=BB268_16 Depth=1
	v_cmp_ne_u16_e64 s1, 0x80, v2
	v_bfrev_b32_e32 v2, 1
	v_mov_b32_e32 v3, 0
	scratch_store_b64 off, v[2:3], s32 offset:696 ; 8-byte Folded Spill
	s_and_saveexec_b32 s23, s1
	s_cbranch_execz .LBB268_458
; %bb.453:                              ;   in Loop: Header=BB268_16 Depth=1
	v_mov_b32_e32 v4, 0x7f800001
	v_bfe_u32 v3, v0, 16, 7
	v_mov_b32_e32 v5, 0
	s_mov_b32 s24, exec_lo
	scratch_store_b64 off, v[4:5], s32 offset:696 ; 8-byte Folded Spill
	v_cmpx_ne_u32_e32 0x7f, v3
	s_cbranch_execz .LBB268_457
; %bb.454:                              ;   in Loop: Header=BB268_16 Depth=1
	v_and_b32_e32 v14, 7, v1
	v_lshrrev_b32_e32 v2, 3, v3
	s_mov_b32 s25, exec_lo
	v_cmpx_gt_u32_e32 8, v3
; %bb.455:                              ;   in Loop: Header=BB268_16 Depth=1
	s_delay_alu instid0(VALU_DEP_3) | instskip(NEXT) | instid1(VALU_DEP_1)
	v_clz_i32_u32_e32 v2, v14
	v_min_u32_e32 v2, 32, v2
	s_delay_alu instid0(VALU_DEP_1) | instskip(SKIP_1) | instid1(VALU_DEP_2)
	v_subrev_nc_u32_e32 v3, 28, v2
	v_sub_nc_u32_e32 v2, 29, v2
	v_lshlrev_b64 v[3:4], v3, v[14:15]
	s_delay_alu instid0(VALU_DEP_1)
	v_and_b32_e32 v14, 7, v3
; %bb.456:                              ;   in Loop: Header=BB268_16 Depth=1
	s_or_b32 exec_lo, exec_lo, s25
	v_lshlrev_b32_e32 v1, 24, v1
	s_delay_alu instid0(VALU_DEP_2) | instskip(SKIP_1) | instid1(VALU_DEP_3)
	v_lshlrev_b32_e32 v3, 20, v14
	v_lshl_add_u32 v2, v2, 23, 0x3c000000
	v_and_b32_e32 v1, 0x80000000, v1
	s_delay_alu instid0(VALU_DEP_1)
	v_or3_b32 v14, v3, v1, v2
	scratch_store_b64 off, v[14:15], s32 offset:696 ; 8-byte Folded Spill
.LBB268_457:                            ;   in Loop: Header=BB268_16 Depth=1
	s_or_b32 exec_lo, exec_lo, s24
.LBB268_458:                            ;   in Loop: Header=BB268_16 Depth=1
	s_delay_alu instid0(SALU_CYCLE_1)
	s_or_b32 exec_lo, exec_lo, s23
.LBB268_459:                            ;   in Loop: Header=BB268_16 Depth=1
	s_delay_alu instid0(SALU_CYCLE_1) | instskip(NEXT) | instid1(SALU_CYCLE_1)
	s_or_b32 exec_lo, exec_lo, s2
	s_mov_b32 s23, exec_lo
	v_cmpx_lt_u32_e32 0xffffff, v0
	s_cbranch_execz .LBB268_467
; %bb.460:                              ;   in Loop: Header=BB268_16 Depth=1
	v_lshrrev_b32_e32 v1, 24, v0
	v_dual_mov_b32 v2, s8 :: v_dual_mov_b32 v3, s9
	s_mov_b32 s24, exec_lo
	scratch_store_b64 off, v[2:3], s32 offset:688 ; 8-byte Folded Spill
	v_cmpx_ne_u32_e32 0x80, v1
	s_cbranch_execz .LBB268_466
; %bb.461:                              ;   in Loop: Header=BB268_16 Depth=1
	s_mov_b32 s2, s8
	v_bfe_u32 v2, v0, 24, 7
	v_dual_mov_b32 v4, s3 :: v_dual_mov_b32 v3, s2
	s_mov_b32 s2, exec_lo
	scratch_store_b64 off, v[3:4], s32 offset:688 ; 8-byte Folded Spill
	v_cmpx_ne_u32_e32 0x7f, v2
	s_cbranch_execz .LBB268_465
; %bb.462:                              ;   in Loop: Header=BB268_16 Depth=1
	v_and_b32_e32 v14, 7, v1
	v_lshrrev_b32_e32 v0, 3, v2
	s_mov_b32 s25, exec_lo
	v_cmpx_gt_u32_e32 8, v2
; %bb.463:                              ;   in Loop: Header=BB268_16 Depth=1
	s_delay_alu instid0(VALU_DEP_3) | instskip(NEXT) | instid1(VALU_DEP_1)
	v_clz_i32_u32_e32 v0, v14
	v_min_u32_e32 v0, 32, v0
	s_delay_alu instid0(VALU_DEP_1) | instskip(SKIP_1) | instid1(VALU_DEP_2)
	v_subrev_nc_u32_e32 v2, 28, v0
	v_sub_nc_u32_e32 v0, 29, v0
	v_lshlrev_b64 v[2:3], v2, v[14:15]
	s_delay_alu instid0(VALU_DEP_1)
	v_and_b32_e32 v14, 7, v2
; %bb.464:                              ;   in Loop: Header=BB268_16 Depth=1
	s_or_b32 exec_lo, exec_lo, s25
	v_lshlrev_b32_e32 v1, 24, v1
	s_delay_alu instid0(VALU_DEP_2) | instskip(SKIP_1) | instid1(VALU_DEP_3)
	v_lshlrev_b32_e32 v2, 20, v14
	v_lshl_add_u32 v0, v0, 23, 0x3c000000
	v_and_b32_e32 v1, 0x80000000, v1
	s_delay_alu instid0(VALU_DEP_1)
	v_or3_b32 v1, v2, v1, v0
	v_mov_b32_e32 v0, v15
	scratch_store_b64 off, v[0:1], s32 offset:688 ; 8-byte Folded Spill
.LBB268_465:                            ;   in Loop: Header=BB268_16 Depth=1
	s_or_b32 exec_lo, exec_lo, s2
.LBB268_466:                            ;   in Loop: Header=BB268_16 Depth=1
	s_delay_alu instid0(SALU_CYCLE_1)
	s_or_b32 exec_lo, exec_lo, s24
.LBB268_467:                            ;   in Loop: Header=BB268_16 Depth=1
	s_delay_alu instid0(SALU_CYCLE_1)
	s_or_b32 exec_lo, exec_lo, s23
	flat_load_b32 v0, v[142:143] offset:1544
	v_mov_b32_e32 v2, 0
	v_mov_b32_e32 v3, 0
	s_mov_b32 s2, exec_lo
	s_clause 0x1
	scratch_store_b64 off, v[2:3], s32 offset:704
	scratch_store_b64 off, v[2:3], s32 offset:712
	s_waitcnt vmcnt(0) lgkmcnt(0)
	v_and_b32_e32 v1, 0xff, v0
	s_delay_alu instid0(VALU_DEP_1)
	v_cmpx_ne_u16_e32 0, v1
	s_cbranch_execz .LBB268_475
; %bb.468:                              ;   in Loop: Header=BB268_16 Depth=1
	v_cmp_ne_u16_e64 s1, 0x80, v1
	v_bfrev_b32_e32 v1, 1
	v_mov_b32_e32 v2, 0
	scratch_store_b64 off, v[1:2], s32 offset:712 ; 8-byte Folded Spill
	s_and_saveexec_b32 s23, s1
	s_cbranch_execz .LBB268_474
; %bb.469:                              ;   in Loop: Header=BB268_16 Depth=1
	v_mov_b32_e32 v3, 0x7f800001
	v_and_b32_e32 v2, 0x7f, v0
	v_mov_b32_e32 v4, 0
	s_mov_b32 s24, exec_lo
	scratch_store_b64 off, v[3:4], s32 offset:712 ; 8-byte Folded Spill
	v_cmpx_ne_u32_e32 0x7f, v2
	s_cbranch_execz .LBB268_473
; %bb.470:                              ;   in Loop: Header=BB268_16 Depth=1
	v_and_b32_e32 v14, 7, v0
	v_lshrrev_b32_e32 v1, 3, v2
	s_mov_b32 s25, exec_lo
	v_cmpx_gt_u32_e32 8, v2
; %bb.471:                              ;   in Loop: Header=BB268_16 Depth=1
	s_delay_alu instid0(VALU_DEP_3) | instskip(NEXT) | instid1(VALU_DEP_1)
	v_clz_i32_u32_e32 v1, v14
	v_min_u32_e32 v1, 32, v1
	s_delay_alu instid0(VALU_DEP_1) | instskip(SKIP_1) | instid1(VALU_DEP_2)
	v_subrev_nc_u32_e32 v2, 28, v1
	v_sub_nc_u32_e32 v1, 29, v1
	v_lshlrev_b64 v[2:3], v2, v[14:15]
	s_delay_alu instid0(VALU_DEP_1)
	v_and_b32_e32 v14, 7, v2
; %bb.472:                              ;   in Loop: Header=BB268_16 Depth=1
	s_or_b32 exec_lo, exec_lo, s25
	v_lshlrev_b32_e32 v2, 24, v0
	s_delay_alu instid0(VALU_DEP_2) | instskip(SKIP_1) | instid1(VALU_DEP_3)
	v_lshlrev_b32_e32 v3, 20, v14
	v_lshl_add_u32 v1, v1, 23, 0x3c000000
	v_and_b32_e32 v2, 0x80000000, v2
	s_delay_alu instid0(VALU_DEP_1)
	v_or3_b32 v14, v3, v2, v1
	scratch_store_b64 off, v[14:15], s32 offset:712 ; 8-byte Folded Spill
.LBB268_473:                            ;   in Loop: Header=BB268_16 Depth=1
	s_or_b32 exec_lo, exec_lo, s24
.LBB268_474:                            ;   in Loop: Header=BB268_16 Depth=1
	s_delay_alu instid0(SALU_CYCLE_1)
	s_or_b32 exec_lo, exec_lo, s23
.LBB268_475:                            ;   in Loop: Header=BB268_16 Depth=1
	s_delay_alu instid0(SALU_CYCLE_1) | instskip(SKIP_2) | instid1(VALU_DEP_1)
	s_or_b32 exec_lo, exec_lo, s2
	v_lshrrev_b16 v1, 8, v0
	s_mov_b32 s23, exec_lo
	v_cmpx_ne_u16_e32 0, v1
	s_cbranch_execz .LBB268_483
; %bb.476:                              ;   in Loop: Header=BB268_16 Depth=1
	v_dual_mov_b32 v2, s8 :: v_dual_mov_b32 v3, s9
	s_mov_b32 s24, exec_lo
	scratch_store_b64 off, v[2:3], s32 offset:704 ; 8-byte Folded Spill
	v_cmpx_ne_u16_e32 0x80, v1
	s_cbranch_execz .LBB268_482
; %bb.477:                              ;   in Loop: Header=BB268_16 Depth=1
	s_mov_b32 s2, s8
	v_dual_mov_b32 v4, s3 :: v_dual_and_b32 v1, 0xffff, v1
	v_mov_b32_e32 v3, s2
	s_mov_b32 s2, exec_lo
	s_delay_alu instid0(VALU_DEP_2)
	v_and_b32_e32 v2, 0x7f, v1
	scratch_store_b64 off, v[3:4], s32 offset:704 ; 8-byte Folded Spill
	v_cmpx_ne_u32_e32 0x7f, v2
	s_cbranch_execz .LBB268_481
; %bb.478:                              ;   in Loop: Header=BB268_16 Depth=1
	v_and_b32_e32 v14, 7, v1
	v_lshrrev_b32_e32 v1, 3, v2
	s_mov_b32 s25, exec_lo
	v_cmpx_gt_u32_e32 8, v2
; %bb.479:                              ;   in Loop: Header=BB268_16 Depth=1
	s_delay_alu instid0(VALU_DEP_3) | instskip(NEXT) | instid1(VALU_DEP_1)
	v_clz_i32_u32_e32 v1, v14
	v_min_u32_e32 v1, 32, v1
	s_delay_alu instid0(VALU_DEP_1) | instskip(SKIP_1) | instid1(VALU_DEP_2)
	v_subrev_nc_u32_e32 v2, 28, v1
	v_sub_nc_u32_e32 v1, 29, v1
	v_lshlrev_b64 v[2:3], v2, v[14:15]
	s_delay_alu instid0(VALU_DEP_1)
	v_and_b32_e32 v14, 7, v2
; %bb.480:                              ;   in Loop: Header=BB268_16 Depth=1
	s_or_b32 exec_lo, exec_lo, s25
	v_lshlrev_b32_e32 v2, 16, v0
	s_delay_alu instid0(VALU_DEP_2) | instskip(SKIP_1) | instid1(VALU_DEP_3)
	v_lshlrev_b32_e32 v3, 20, v14
	v_lshl_add_u32 v1, v1, 23, 0x3c000000
	v_and_b32_e32 v2, 0x80000000, v2
	s_delay_alu instid0(VALU_DEP_1)
	v_or3_b32 v2, v3, v2, v1
	v_mov_b32_e32 v1, v15
	scratch_store_b64 off, v[1:2], s32 offset:704 ; 8-byte Folded Spill
.LBB268_481:                            ;   in Loop: Header=BB268_16 Depth=1
	s_or_b32 exec_lo, exec_lo, s2
.LBB268_482:                            ;   in Loop: Header=BB268_16 Depth=1
	s_delay_alu instid0(SALU_CYCLE_1)
	s_or_b32 exec_lo, exec_lo, s24
.LBB268_483:                            ;   in Loop: Header=BB268_16 Depth=1
	s_delay_alu instid0(SALU_CYCLE_1)
	s_or_b32 exec_lo, exec_lo, s23
	v_lshrrev_b32_e32 v1, 16, v0
	v_mov_b32_e32 v3, 0
	v_mov_b32_e32 v4, 0
	s_mov_b32 s2, exec_lo
	s_clause 0x1
	scratch_store_b64 off, v[3:4], s32 offset:720
	scratch_store_b64 off, v[3:4], s32 offset:728
	v_and_b32_e32 v2, 0xff, v1
	s_delay_alu instid0(VALU_DEP_1)
	v_cmpx_ne_u16_e32 0, v2
	s_cbranch_execz .LBB268_491
; %bb.484:                              ;   in Loop: Header=BB268_16 Depth=1
	v_cmp_ne_u16_e64 s1, 0x80, v2
	v_bfrev_b32_e32 v2, 1
	v_mov_b32_e32 v3, 0
	scratch_store_b64 off, v[2:3], s32 offset:728 ; 8-byte Folded Spill
	s_and_saveexec_b32 s23, s1
	s_cbranch_execz .LBB268_490
; %bb.485:                              ;   in Loop: Header=BB268_16 Depth=1
	v_mov_b32_e32 v4, 0x7f800001
	v_bfe_u32 v3, v0, 16, 7
	v_mov_b32_e32 v5, 0
	s_mov_b32 s24, exec_lo
	scratch_store_b64 off, v[4:5], s32 offset:728 ; 8-byte Folded Spill
	v_cmpx_ne_u32_e32 0x7f, v3
	s_cbranch_execz .LBB268_489
; %bb.486:                              ;   in Loop: Header=BB268_16 Depth=1
	v_and_b32_e32 v14, 7, v1
	v_lshrrev_b32_e32 v2, 3, v3
	s_mov_b32 s25, exec_lo
	v_cmpx_gt_u32_e32 8, v3
; %bb.487:                              ;   in Loop: Header=BB268_16 Depth=1
	s_delay_alu instid0(VALU_DEP_3) | instskip(NEXT) | instid1(VALU_DEP_1)
	v_clz_i32_u32_e32 v2, v14
	v_min_u32_e32 v2, 32, v2
	s_delay_alu instid0(VALU_DEP_1) | instskip(SKIP_1) | instid1(VALU_DEP_2)
	v_subrev_nc_u32_e32 v3, 28, v2
	v_sub_nc_u32_e32 v2, 29, v2
	v_lshlrev_b64 v[3:4], v3, v[14:15]
	s_delay_alu instid0(VALU_DEP_1)
	v_and_b32_e32 v14, 7, v3
; %bb.488:                              ;   in Loop: Header=BB268_16 Depth=1
	s_or_b32 exec_lo, exec_lo, s25
	v_lshlrev_b32_e32 v1, 24, v1
	s_delay_alu instid0(VALU_DEP_2) | instskip(SKIP_1) | instid1(VALU_DEP_3)
	v_lshlrev_b32_e32 v3, 20, v14
	v_lshl_add_u32 v2, v2, 23, 0x3c000000
	v_and_b32_e32 v1, 0x80000000, v1
	s_delay_alu instid0(VALU_DEP_1)
	v_or3_b32 v14, v3, v1, v2
	scratch_store_b64 off, v[14:15], s32 offset:728 ; 8-byte Folded Spill
.LBB268_489:                            ;   in Loop: Header=BB268_16 Depth=1
	s_or_b32 exec_lo, exec_lo, s24
.LBB268_490:                            ;   in Loop: Header=BB268_16 Depth=1
	s_delay_alu instid0(SALU_CYCLE_1)
	s_or_b32 exec_lo, exec_lo, s23
.LBB268_491:                            ;   in Loop: Header=BB268_16 Depth=1
	s_delay_alu instid0(SALU_CYCLE_1) | instskip(NEXT) | instid1(SALU_CYCLE_1)
	s_or_b32 exec_lo, exec_lo, s2
	s_mov_b32 s23, exec_lo
	v_cmpx_lt_u32_e32 0xffffff, v0
	s_cbranch_execz .LBB268_499
; %bb.492:                              ;   in Loop: Header=BB268_16 Depth=1
	v_lshrrev_b32_e32 v1, 24, v0
	v_dual_mov_b32 v2, s8 :: v_dual_mov_b32 v3, s9
	s_mov_b32 s24, exec_lo
	scratch_store_b64 off, v[2:3], s32 offset:720 ; 8-byte Folded Spill
	v_cmpx_ne_u32_e32 0x80, v1
	s_cbranch_execz .LBB268_498
; %bb.493:                              ;   in Loop: Header=BB268_16 Depth=1
	s_mov_b32 s2, s8
	v_bfe_u32 v2, v0, 24, 7
	v_dual_mov_b32 v4, s3 :: v_dual_mov_b32 v3, s2
	s_mov_b32 s2, exec_lo
	scratch_store_b64 off, v[3:4], s32 offset:720 ; 8-byte Folded Spill
	v_cmpx_ne_u32_e32 0x7f, v2
	s_cbranch_execz .LBB268_497
; %bb.494:                              ;   in Loop: Header=BB268_16 Depth=1
	v_and_b32_e32 v14, 7, v1
	v_lshrrev_b32_e32 v0, 3, v2
	s_mov_b32 s25, exec_lo
	v_cmpx_gt_u32_e32 8, v2
; %bb.495:                              ;   in Loop: Header=BB268_16 Depth=1
	s_delay_alu instid0(VALU_DEP_3) | instskip(NEXT) | instid1(VALU_DEP_1)
	v_clz_i32_u32_e32 v0, v14
	v_min_u32_e32 v0, 32, v0
	s_delay_alu instid0(VALU_DEP_1) | instskip(SKIP_1) | instid1(VALU_DEP_2)
	v_subrev_nc_u32_e32 v2, 28, v0
	v_sub_nc_u32_e32 v0, 29, v0
	v_lshlrev_b64 v[2:3], v2, v[14:15]
	s_delay_alu instid0(VALU_DEP_1)
	v_and_b32_e32 v14, 7, v2
; %bb.496:                              ;   in Loop: Header=BB268_16 Depth=1
	s_or_b32 exec_lo, exec_lo, s25
	v_lshlrev_b32_e32 v1, 24, v1
	s_delay_alu instid0(VALU_DEP_2) | instskip(SKIP_1) | instid1(VALU_DEP_3)
	v_lshlrev_b32_e32 v2, 20, v14
	v_lshl_add_u32 v0, v0, 23, 0x3c000000
	v_and_b32_e32 v1, 0x80000000, v1
	s_delay_alu instid0(VALU_DEP_1)
	v_or3_b32 v1, v2, v1, v0
	v_mov_b32_e32 v0, v15
	scratch_store_b64 off, v[0:1], s32 offset:720 ; 8-byte Folded Spill
.LBB268_497:                            ;   in Loop: Header=BB268_16 Depth=1
	s_or_b32 exec_lo, exec_lo, s2
.LBB268_498:                            ;   in Loop: Header=BB268_16 Depth=1
	s_delay_alu instid0(SALU_CYCLE_1)
	s_or_b32 exec_lo, exec_lo, s24
.LBB268_499:                            ;   in Loop: Header=BB268_16 Depth=1
	s_delay_alu instid0(SALU_CYCLE_1)
	s_or_b32 exec_lo, exec_lo, s23
	flat_load_b32 v0, v[142:143] offset:1548
	v_mov_b32_e32 v2, 0
	v_mov_b32_e32 v3, 0
	s_mov_b32 s2, exec_lo
	s_clause 0x1
	scratch_store_b64 off, v[2:3], s32 offset:736
	scratch_store_b64 off, v[2:3], s32 offset:744
	s_waitcnt vmcnt(0) lgkmcnt(0)
	v_and_b32_e32 v1, 0xff, v0
	s_delay_alu instid0(VALU_DEP_1)
	v_cmpx_ne_u16_e32 0, v1
	s_cbranch_execz .LBB268_507
; %bb.500:                              ;   in Loop: Header=BB268_16 Depth=1
	v_cmp_ne_u16_e64 s1, 0x80, v1
	v_bfrev_b32_e32 v1, 1
	v_mov_b32_e32 v2, 0
	scratch_store_b64 off, v[1:2], s32 offset:744 ; 8-byte Folded Spill
	s_and_saveexec_b32 s23, s1
	s_cbranch_execz .LBB268_506
; %bb.501:                              ;   in Loop: Header=BB268_16 Depth=1
	v_mov_b32_e32 v3, 0x7f800001
	v_and_b32_e32 v2, 0x7f, v0
	v_mov_b32_e32 v4, 0
	s_mov_b32 s24, exec_lo
	scratch_store_b64 off, v[3:4], s32 offset:744 ; 8-byte Folded Spill
	v_cmpx_ne_u32_e32 0x7f, v2
	s_cbranch_execz .LBB268_505
; %bb.502:                              ;   in Loop: Header=BB268_16 Depth=1
	v_and_b32_e32 v14, 7, v0
	v_lshrrev_b32_e32 v1, 3, v2
	s_mov_b32 s25, exec_lo
	v_cmpx_gt_u32_e32 8, v2
; %bb.503:                              ;   in Loop: Header=BB268_16 Depth=1
	s_delay_alu instid0(VALU_DEP_3) | instskip(NEXT) | instid1(VALU_DEP_1)
	v_clz_i32_u32_e32 v1, v14
	v_min_u32_e32 v1, 32, v1
	s_delay_alu instid0(VALU_DEP_1) | instskip(SKIP_1) | instid1(VALU_DEP_2)
	v_subrev_nc_u32_e32 v2, 28, v1
	v_sub_nc_u32_e32 v1, 29, v1
	v_lshlrev_b64 v[2:3], v2, v[14:15]
	s_delay_alu instid0(VALU_DEP_1)
	v_and_b32_e32 v14, 7, v2
; %bb.504:                              ;   in Loop: Header=BB268_16 Depth=1
	s_or_b32 exec_lo, exec_lo, s25
	v_lshlrev_b32_e32 v2, 24, v0
	s_delay_alu instid0(VALU_DEP_2) | instskip(SKIP_1) | instid1(VALU_DEP_3)
	v_lshlrev_b32_e32 v3, 20, v14
	v_lshl_add_u32 v1, v1, 23, 0x3c000000
	v_and_b32_e32 v2, 0x80000000, v2
	s_delay_alu instid0(VALU_DEP_1)
	v_or3_b32 v14, v3, v2, v1
	scratch_store_b64 off, v[14:15], s32 offset:744 ; 8-byte Folded Spill
.LBB268_505:                            ;   in Loop: Header=BB268_16 Depth=1
	s_or_b32 exec_lo, exec_lo, s24
.LBB268_506:                            ;   in Loop: Header=BB268_16 Depth=1
	s_delay_alu instid0(SALU_CYCLE_1)
	s_or_b32 exec_lo, exec_lo, s23
.LBB268_507:                            ;   in Loop: Header=BB268_16 Depth=1
	s_delay_alu instid0(SALU_CYCLE_1) | instskip(SKIP_2) | instid1(VALU_DEP_1)
	s_or_b32 exec_lo, exec_lo, s2
	v_lshrrev_b16 v1, 8, v0
	s_mov_b32 s23, exec_lo
	v_cmpx_ne_u16_e32 0, v1
	s_cbranch_execz .LBB268_515
; %bb.508:                              ;   in Loop: Header=BB268_16 Depth=1
	v_dual_mov_b32 v2, s8 :: v_dual_mov_b32 v3, s9
	s_mov_b32 s24, exec_lo
	scratch_store_b64 off, v[2:3], s32 offset:736 ; 8-byte Folded Spill
	v_cmpx_ne_u16_e32 0x80, v1
	s_cbranch_execz .LBB268_514
; %bb.509:                              ;   in Loop: Header=BB268_16 Depth=1
	s_mov_b32 s2, s8
	v_dual_mov_b32 v4, s3 :: v_dual_and_b32 v1, 0xffff, v1
	v_mov_b32_e32 v3, s2
	s_mov_b32 s2, exec_lo
	s_delay_alu instid0(VALU_DEP_2)
	v_and_b32_e32 v2, 0x7f, v1
	scratch_store_b64 off, v[3:4], s32 offset:736 ; 8-byte Folded Spill
	v_cmpx_ne_u32_e32 0x7f, v2
	s_cbranch_execz .LBB268_513
; %bb.510:                              ;   in Loop: Header=BB268_16 Depth=1
	v_and_b32_e32 v14, 7, v1
	v_lshrrev_b32_e32 v1, 3, v2
	s_mov_b32 s25, exec_lo
	v_cmpx_gt_u32_e32 8, v2
; %bb.511:                              ;   in Loop: Header=BB268_16 Depth=1
	s_delay_alu instid0(VALU_DEP_3) | instskip(NEXT) | instid1(VALU_DEP_1)
	v_clz_i32_u32_e32 v1, v14
	v_min_u32_e32 v1, 32, v1
	s_delay_alu instid0(VALU_DEP_1) | instskip(SKIP_1) | instid1(VALU_DEP_2)
	v_subrev_nc_u32_e32 v2, 28, v1
	v_sub_nc_u32_e32 v1, 29, v1
	v_lshlrev_b64 v[2:3], v2, v[14:15]
	s_delay_alu instid0(VALU_DEP_1)
	v_and_b32_e32 v14, 7, v2
; %bb.512:                              ;   in Loop: Header=BB268_16 Depth=1
	s_or_b32 exec_lo, exec_lo, s25
	v_lshlrev_b32_e32 v2, 16, v0
	s_delay_alu instid0(VALU_DEP_2) | instskip(SKIP_1) | instid1(VALU_DEP_3)
	v_lshlrev_b32_e32 v3, 20, v14
	v_lshl_add_u32 v1, v1, 23, 0x3c000000
	v_and_b32_e32 v2, 0x80000000, v2
	s_delay_alu instid0(VALU_DEP_1)
	v_or3_b32 v2, v3, v2, v1
	v_mov_b32_e32 v1, v15
	scratch_store_b64 off, v[1:2], s32 offset:736 ; 8-byte Folded Spill
.LBB268_513:                            ;   in Loop: Header=BB268_16 Depth=1
	s_or_b32 exec_lo, exec_lo, s2
.LBB268_514:                            ;   in Loop: Header=BB268_16 Depth=1
	s_delay_alu instid0(SALU_CYCLE_1)
	s_or_b32 exec_lo, exec_lo, s24
.LBB268_515:                            ;   in Loop: Header=BB268_16 Depth=1
	s_delay_alu instid0(SALU_CYCLE_1)
	s_or_b32 exec_lo, exec_lo, s23
	v_lshrrev_b32_e32 v1, 16, v0
	v_mov_b32_e32 v3, 0
	v_mov_b32_e32 v4, 0
	s_mov_b32 s2, exec_lo
	s_clause 0x1
	scratch_store_b64 off, v[3:4], s32 offset:752
	scratch_store_b64 off, v[3:4], s32 offset:760
	v_and_b32_e32 v2, 0xff, v1
	s_delay_alu instid0(VALU_DEP_1)
	v_cmpx_ne_u16_e32 0, v2
	s_cbranch_execz .LBB268_523
; %bb.516:                              ;   in Loop: Header=BB268_16 Depth=1
	v_cmp_ne_u16_e64 s1, 0x80, v2
	v_bfrev_b32_e32 v2, 1
	v_mov_b32_e32 v3, 0
	scratch_store_b64 off, v[2:3], s32 offset:760 ; 8-byte Folded Spill
	s_and_saveexec_b32 s23, s1
	s_cbranch_execz .LBB268_522
; %bb.517:                              ;   in Loop: Header=BB268_16 Depth=1
	v_mov_b32_e32 v4, 0x7f800001
	v_bfe_u32 v3, v0, 16, 7
	v_mov_b32_e32 v5, 0
	s_mov_b32 s24, exec_lo
	scratch_store_b64 off, v[4:5], s32 offset:760 ; 8-byte Folded Spill
	v_cmpx_ne_u32_e32 0x7f, v3
	s_cbranch_execz .LBB268_521
; %bb.518:                              ;   in Loop: Header=BB268_16 Depth=1
	v_and_b32_e32 v14, 7, v1
	v_lshrrev_b32_e32 v2, 3, v3
	s_mov_b32 s25, exec_lo
	v_cmpx_gt_u32_e32 8, v3
; %bb.519:                              ;   in Loop: Header=BB268_16 Depth=1
	s_delay_alu instid0(VALU_DEP_3) | instskip(NEXT) | instid1(VALU_DEP_1)
	v_clz_i32_u32_e32 v2, v14
	v_min_u32_e32 v2, 32, v2
	s_delay_alu instid0(VALU_DEP_1) | instskip(SKIP_1) | instid1(VALU_DEP_2)
	v_subrev_nc_u32_e32 v3, 28, v2
	v_sub_nc_u32_e32 v2, 29, v2
	v_lshlrev_b64 v[3:4], v3, v[14:15]
	s_delay_alu instid0(VALU_DEP_1)
	v_and_b32_e32 v14, 7, v3
; %bb.520:                              ;   in Loop: Header=BB268_16 Depth=1
	s_or_b32 exec_lo, exec_lo, s25
	v_lshlrev_b32_e32 v1, 24, v1
	s_delay_alu instid0(VALU_DEP_2) | instskip(SKIP_1) | instid1(VALU_DEP_3)
	v_lshlrev_b32_e32 v3, 20, v14
	v_lshl_add_u32 v2, v2, 23, 0x3c000000
	v_and_b32_e32 v1, 0x80000000, v1
	s_delay_alu instid0(VALU_DEP_1)
	v_or3_b32 v14, v3, v1, v2
	scratch_store_b64 off, v[14:15], s32 offset:760 ; 8-byte Folded Spill
.LBB268_521:                            ;   in Loop: Header=BB268_16 Depth=1
	s_or_b32 exec_lo, exec_lo, s24
.LBB268_522:                            ;   in Loop: Header=BB268_16 Depth=1
	s_delay_alu instid0(SALU_CYCLE_1)
	s_or_b32 exec_lo, exec_lo, s23
.LBB268_523:                            ;   in Loop: Header=BB268_16 Depth=1
	s_delay_alu instid0(SALU_CYCLE_1) | instskip(NEXT) | instid1(SALU_CYCLE_1)
	s_or_b32 exec_lo, exec_lo, s2
	s_mov_b32 s23, exec_lo
	v_cmpx_lt_u32_e32 0xffffff, v0
	s_cbranch_execz .LBB268_531
; %bb.524:                              ;   in Loop: Header=BB268_16 Depth=1
	v_lshrrev_b32_e32 v1, 24, v0
	v_dual_mov_b32 v2, s8 :: v_dual_mov_b32 v3, s9
	s_mov_b32 s24, exec_lo
	scratch_store_b64 off, v[2:3], s32 offset:752 ; 8-byte Folded Spill
	v_cmpx_ne_u32_e32 0x80, v1
	s_cbranch_execz .LBB268_530
; %bb.525:                              ;   in Loop: Header=BB268_16 Depth=1
	s_mov_b32 s2, s8
	v_bfe_u32 v2, v0, 24, 7
	v_dual_mov_b32 v4, s3 :: v_dual_mov_b32 v3, s2
	s_mov_b32 s2, exec_lo
	scratch_store_b64 off, v[3:4], s32 offset:752 ; 8-byte Folded Spill
	v_cmpx_ne_u32_e32 0x7f, v2
	s_cbranch_execz .LBB268_529
; %bb.526:                              ;   in Loop: Header=BB268_16 Depth=1
	v_and_b32_e32 v14, 7, v1
	v_lshrrev_b32_e32 v0, 3, v2
	s_mov_b32 s25, exec_lo
	v_cmpx_gt_u32_e32 8, v2
; %bb.527:                              ;   in Loop: Header=BB268_16 Depth=1
	s_delay_alu instid0(VALU_DEP_3) | instskip(NEXT) | instid1(VALU_DEP_1)
	v_clz_i32_u32_e32 v0, v14
	v_min_u32_e32 v0, 32, v0
	s_delay_alu instid0(VALU_DEP_1) | instskip(SKIP_1) | instid1(VALU_DEP_2)
	v_subrev_nc_u32_e32 v2, 28, v0
	v_sub_nc_u32_e32 v0, 29, v0
	v_lshlrev_b64 v[2:3], v2, v[14:15]
	s_delay_alu instid0(VALU_DEP_1)
	v_and_b32_e32 v14, 7, v2
; %bb.528:                              ;   in Loop: Header=BB268_16 Depth=1
	s_or_b32 exec_lo, exec_lo, s25
	v_lshlrev_b32_e32 v1, 24, v1
	s_delay_alu instid0(VALU_DEP_2) | instskip(SKIP_1) | instid1(VALU_DEP_3)
	v_lshlrev_b32_e32 v2, 20, v14
	v_lshl_add_u32 v0, v0, 23, 0x3c000000
	v_and_b32_e32 v1, 0x80000000, v1
	s_delay_alu instid0(VALU_DEP_1)
	v_or3_b32 v1, v2, v1, v0
	v_mov_b32_e32 v0, v15
	scratch_store_b64 off, v[0:1], s32 offset:752 ; 8-byte Folded Spill
.LBB268_529:                            ;   in Loop: Header=BB268_16 Depth=1
	s_or_b32 exec_lo, exec_lo, s2
.LBB268_530:                            ;   in Loop: Header=BB268_16 Depth=1
	s_delay_alu instid0(SALU_CYCLE_1)
	s_or_b32 exec_lo, exec_lo, s24
.LBB268_531:                            ;   in Loop: Header=BB268_16 Depth=1
	s_delay_alu instid0(SALU_CYCLE_1)
	s_or_b32 exec_lo, exec_lo, s23
	flat_load_b32 v0, v[142:143] offset:2048
	v_mov_b32_e32 v2, 0
	v_mov_b32_e32 v3, 0
	s_mov_b32 s2, exec_lo
	s_clause 0x1
	scratch_store_b64 off, v[2:3], s32 offset:768
	scratch_store_b64 off, v[2:3], s32 offset:776
	s_waitcnt vmcnt(0) lgkmcnt(0)
	v_and_b32_e32 v1, 0xff, v0
	s_delay_alu instid0(VALU_DEP_1)
	v_cmpx_ne_u16_e32 0, v1
	s_cbranch_execz .LBB268_539
; %bb.532:                              ;   in Loop: Header=BB268_16 Depth=1
	v_cmp_ne_u16_e64 s1, 0x80, v1
	v_bfrev_b32_e32 v1, 1
	v_mov_b32_e32 v2, 0
	scratch_store_b64 off, v[1:2], s32 offset:776 ; 8-byte Folded Spill
	s_and_saveexec_b32 s23, s1
	s_cbranch_execz .LBB268_538
; %bb.533:                              ;   in Loop: Header=BB268_16 Depth=1
	v_mov_b32_e32 v3, 0x7f800001
	v_and_b32_e32 v2, 0x7f, v0
	v_mov_b32_e32 v4, 0
	s_mov_b32 s24, exec_lo
	scratch_store_b64 off, v[3:4], s32 offset:776 ; 8-byte Folded Spill
	v_cmpx_ne_u32_e32 0x7f, v2
	s_cbranch_execz .LBB268_537
; %bb.534:                              ;   in Loop: Header=BB268_16 Depth=1
	v_and_b32_e32 v14, 7, v0
	v_lshrrev_b32_e32 v1, 3, v2
	s_mov_b32 s25, exec_lo
	v_cmpx_gt_u32_e32 8, v2
; %bb.535:                              ;   in Loop: Header=BB268_16 Depth=1
	s_delay_alu instid0(VALU_DEP_3) | instskip(NEXT) | instid1(VALU_DEP_1)
	v_clz_i32_u32_e32 v1, v14
	v_min_u32_e32 v1, 32, v1
	s_delay_alu instid0(VALU_DEP_1) | instskip(SKIP_1) | instid1(VALU_DEP_2)
	v_subrev_nc_u32_e32 v2, 28, v1
	v_sub_nc_u32_e32 v1, 29, v1
	v_lshlrev_b64 v[2:3], v2, v[14:15]
	s_delay_alu instid0(VALU_DEP_1)
	v_and_b32_e32 v14, 7, v2
; %bb.536:                              ;   in Loop: Header=BB268_16 Depth=1
	s_or_b32 exec_lo, exec_lo, s25
	v_lshlrev_b32_e32 v2, 24, v0
	s_delay_alu instid0(VALU_DEP_2) | instskip(SKIP_1) | instid1(VALU_DEP_3)
	v_lshlrev_b32_e32 v3, 20, v14
	v_lshl_add_u32 v1, v1, 23, 0x3c000000
	v_and_b32_e32 v2, 0x80000000, v2
	s_delay_alu instid0(VALU_DEP_1)
	v_or3_b32 v14, v3, v2, v1
	scratch_store_b64 off, v[14:15], s32 offset:776 ; 8-byte Folded Spill
.LBB268_537:                            ;   in Loop: Header=BB268_16 Depth=1
	s_or_b32 exec_lo, exec_lo, s24
.LBB268_538:                            ;   in Loop: Header=BB268_16 Depth=1
	s_delay_alu instid0(SALU_CYCLE_1)
	s_or_b32 exec_lo, exec_lo, s23
.LBB268_539:                            ;   in Loop: Header=BB268_16 Depth=1
	s_delay_alu instid0(SALU_CYCLE_1) | instskip(SKIP_2) | instid1(VALU_DEP_1)
	s_or_b32 exec_lo, exec_lo, s2
	v_lshrrev_b16 v1, 8, v0
	s_mov_b32 s23, exec_lo
	v_cmpx_ne_u16_e32 0, v1
	s_cbranch_execz .LBB268_547
; %bb.540:                              ;   in Loop: Header=BB268_16 Depth=1
	v_dual_mov_b32 v2, s8 :: v_dual_mov_b32 v3, s9
	s_mov_b32 s24, exec_lo
	scratch_store_b64 off, v[2:3], s32 offset:768 ; 8-byte Folded Spill
	v_cmpx_ne_u16_e32 0x80, v1
	s_cbranch_execz .LBB268_546
; %bb.541:                              ;   in Loop: Header=BB268_16 Depth=1
	s_mov_b32 s2, s8
	v_dual_mov_b32 v4, s3 :: v_dual_and_b32 v1, 0xffff, v1
	v_mov_b32_e32 v3, s2
	s_mov_b32 s2, exec_lo
	s_delay_alu instid0(VALU_DEP_2)
	v_and_b32_e32 v2, 0x7f, v1
	scratch_store_b64 off, v[3:4], s32 offset:768 ; 8-byte Folded Spill
	v_cmpx_ne_u32_e32 0x7f, v2
	s_cbranch_execz .LBB268_545
; %bb.542:                              ;   in Loop: Header=BB268_16 Depth=1
	v_and_b32_e32 v14, 7, v1
	v_lshrrev_b32_e32 v1, 3, v2
	s_mov_b32 s25, exec_lo
	v_cmpx_gt_u32_e32 8, v2
; %bb.543:                              ;   in Loop: Header=BB268_16 Depth=1
	s_delay_alu instid0(VALU_DEP_3) | instskip(NEXT) | instid1(VALU_DEP_1)
	v_clz_i32_u32_e32 v1, v14
	v_min_u32_e32 v1, 32, v1
	s_delay_alu instid0(VALU_DEP_1) | instskip(SKIP_1) | instid1(VALU_DEP_2)
	v_subrev_nc_u32_e32 v2, 28, v1
	v_sub_nc_u32_e32 v1, 29, v1
	v_lshlrev_b64 v[2:3], v2, v[14:15]
	s_delay_alu instid0(VALU_DEP_1)
	v_and_b32_e32 v14, 7, v2
; %bb.544:                              ;   in Loop: Header=BB268_16 Depth=1
	s_or_b32 exec_lo, exec_lo, s25
	v_lshlrev_b32_e32 v2, 16, v0
	s_delay_alu instid0(VALU_DEP_2) | instskip(SKIP_1) | instid1(VALU_DEP_3)
	v_lshlrev_b32_e32 v3, 20, v14
	v_lshl_add_u32 v1, v1, 23, 0x3c000000
	v_and_b32_e32 v2, 0x80000000, v2
	s_delay_alu instid0(VALU_DEP_1)
	v_or3_b32 v2, v3, v2, v1
	v_mov_b32_e32 v1, v15
	scratch_store_b64 off, v[1:2], s32 offset:768 ; 8-byte Folded Spill
.LBB268_545:                            ;   in Loop: Header=BB268_16 Depth=1
	s_or_b32 exec_lo, exec_lo, s2
.LBB268_546:                            ;   in Loop: Header=BB268_16 Depth=1
	s_delay_alu instid0(SALU_CYCLE_1)
	s_or_b32 exec_lo, exec_lo, s24
.LBB268_547:                            ;   in Loop: Header=BB268_16 Depth=1
	s_delay_alu instid0(SALU_CYCLE_1)
	s_or_b32 exec_lo, exec_lo, s23
	v_lshrrev_b32_e32 v1, 16, v0
	v_mov_b32_e32 v3, 0
	v_mov_b32_e32 v4, 0
	s_mov_b32 s2, exec_lo
	s_clause 0x1
	scratch_store_b64 off, v[3:4], s32 offset:784
	scratch_store_b64 off, v[3:4], s32 offset:792
	v_and_b32_e32 v2, 0xff, v1
	s_delay_alu instid0(VALU_DEP_1)
	v_cmpx_ne_u16_e32 0, v2
	s_cbranch_execz .LBB268_555
; %bb.548:                              ;   in Loop: Header=BB268_16 Depth=1
	v_cmp_ne_u16_e64 s1, 0x80, v2
	v_bfrev_b32_e32 v2, 1
	v_mov_b32_e32 v3, 0
	scratch_store_b64 off, v[2:3], s32 offset:792 ; 8-byte Folded Spill
	s_and_saveexec_b32 s23, s1
	s_cbranch_execz .LBB268_554
; %bb.549:                              ;   in Loop: Header=BB268_16 Depth=1
	v_mov_b32_e32 v4, 0x7f800001
	v_bfe_u32 v3, v0, 16, 7
	v_mov_b32_e32 v5, 0
	s_mov_b32 s24, exec_lo
	scratch_store_b64 off, v[4:5], s32 offset:792 ; 8-byte Folded Spill
	v_cmpx_ne_u32_e32 0x7f, v3
	s_cbranch_execz .LBB268_553
; %bb.550:                              ;   in Loop: Header=BB268_16 Depth=1
	v_and_b32_e32 v14, 7, v1
	v_lshrrev_b32_e32 v2, 3, v3
	s_mov_b32 s25, exec_lo
	v_cmpx_gt_u32_e32 8, v3
; %bb.551:                              ;   in Loop: Header=BB268_16 Depth=1
	s_delay_alu instid0(VALU_DEP_3) | instskip(NEXT) | instid1(VALU_DEP_1)
	v_clz_i32_u32_e32 v2, v14
	v_min_u32_e32 v2, 32, v2
	s_delay_alu instid0(VALU_DEP_1) | instskip(SKIP_1) | instid1(VALU_DEP_2)
	v_subrev_nc_u32_e32 v3, 28, v2
	v_sub_nc_u32_e32 v2, 29, v2
	v_lshlrev_b64 v[3:4], v3, v[14:15]
	s_delay_alu instid0(VALU_DEP_1)
	v_and_b32_e32 v14, 7, v3
; %bb.552:                              ;   in Loop: Header=BB268_16 Depth=1
	s_or_b32 exec_lo, exec_lo, s25
	v_lshlrev_b32_e32 v1, 24, v1
	s_delay_alu instid0(VALU_DEP_2) | instskip(SKIP_1) | instid1(VALU_DEP_3)
	v_lshlrev_b32_e32 v3, 20, v14
	v_lshl_add_u32 v2, v2, 23, 0x3c000000
	v_and_b32_e32 v1, 0x80000000, v1
	s_delay_alu instid0(VALU_DEP_1)
	v_or3_b32 v14, v3, v1, v2
	scratch_store_b64 off, v[14:15], s32 offset:792 ; 8-byte Folded Spill
.LBB268_553:                            ;   in Loop: Header=BB268_16 Depth=1
	s_or_b32 exec_lo, exec_lo, s24
.LBB268_554:                            ;   in Loop: Header=BB268_16 Depth=1
	s_delay_alu instid0(SALU_CYCLE_1)
	s_or_b32 exec_lo, exec_lo, s23
.LBB268_555:                            ;   in Loop: Header=BB268_16 Depth=1
	s_delay_alu instid0(SALU_CYCLE_1) | instskip(NEXT) | instid1(SALU_CYCLE_1)
	s_or_b32 exec_lo, exec_lo, s2
	s_mov_b32 s23, exec_lo
	v_cmpx_lt_u32_e32 0xffffff, v0
	s_cbranch_execz .LBB268_563
; %bb.556:                              ;   in Loop: Header=BB268_16 Depth=1
	v_lshrrev_b32_e32 v1, 24, v0
	v_dual_mov_b32 v2, s8 :: v_dual_mov_b32 v3, s9
	s_mov_b32 s24, exec_lo
	scratch_store_b64 off, v[2:3], s32 offset:784 ; 8-byte Folded Spill
	v_cmpx_ne_u32_e32 0x80, v1
	s_cbranch_execz .LBB268_562
; %bb.557:                              ;   in Loop: Header=BB268_16 Depth=1
	s_mov_b32 s2, s8
	v_bfe_u32 v2, v0, 24, 7
	v_dual_mov_b32 v4, s3 :: v_dual_mov_b32 v3, s2
	s_mov_b32 s2, exec_lo
	scratch_store_b64 off, v[3:4], s32 offset:784 ; 8-byte Folded Spill
	v_cmpx_ne_u32_e32 0x7f, v2
	s_cbranch_execz .LBB268_561
; %bb.558:                              ;   in Loop: Header=BB268_16 Depth=1
	v_and_b32_e32 v14, 7, v1
	v_lshrrev_b32_e32 v0, 3, v2
	s_mov_b32 s25, exec_lo
	v_cmpx_gt_u32_e32 8, v2
; %bb.559:                              ;   in Loop: Header=BB268_16 Depth=1
	s_delay_alu instid0(VALU_DEP_3) | instskip(NEXT) | instid1(VALU_DEP_1)
	v_clz_i32_u32_e32 v0, v14
	v_min_u32_e32 v0, 32, v0
	s_delay_alu instid0(VALU_DEP_1) | instskip(SKIP_1) | instid1(VALU_DEP_2)
	v_subrev_nc_u32_e32 v2, 28, v0
	v_sub_nc_u32_e32 v0, 29, v0
	v_lshlrev_b64 v[2:3], v2, v[14:15]
	s_delay_alu instid0(VALU_DEP_1)
	v_and_b32_e32 v14, 7, v2
; %bb.560:                              ;   in Loop: Header=BB268_16 Depth=1
	s_or_b32 exec_lo, exec_lo, s25
	v_lshlrev_b32_e32 v1, 24, v1
	s_delay_alu instid0(VALU_DEP_2) | instskip(SKIP_1) | instid1(VALU_DEP_3)
	v_lshlrev_b32_e32 v2, 20, v14
	v_lshl_add_u32 v0, v0, 23, 0x3c000000
	v_and_b32_e32 v1, 0x80000000, v1
	s_delay_alu instid0(VALU_DEP_1)
	v_or3_b32 v1, v2, v1, v0
	v_mov_b32_e32 v0, v15
	scratch_store_b64 off, v[0:1], s32 offset:784 ; 8-byte Folded Spill
.LBB268_561:                            ;   in Loop: Header=BB268_16 Depth=1
	s_or_b32 exec_lo, exec_lo, s2
.LBB268_562:                            ;   in Loop: Header=BB268_16 Depth=1
	s_delay_alu instid0(SALU_CYCLE_1)
	s_or_b32 exec_lo, exec_lo, s24
.LBB268_563:                            ;   in Loop: Header=BB268_16 Depth=1
	s_delay_alu instid0(SALU_CYCLE_1)
	s_or_b32 exec_lo, exec_lo, s23
	flat_load_b32 v0, v[142:143] offset:2052
	v_mov_b32_e32 v2, 0
	v_mov_b32_e32 v3, 0
	s_mov_b32 s2, exec_lo
	s_clause 0x1
	scratch_store_b64 off, v[2:3], s32 offset:800
	scratch_store_b64 off, v[2:3], s32 offset:808
	s_waitcnt vmcnt(0) lgkmcnt(0)
	v_and_b32_e32 v1, 0xff, v0
	s_delay_alu instid0(VALU_DEP_1)
	v_cmpx_ne_u16_e32 0, v1
	s_cbranch_execz .LBB268_571
; %bb.564:                              ;   in Loop: Header=BB268_16 Depth=1
	v_cmp_ne_u16_e64 s1, 0x80, v1
	v_bfrev_b32_e32 v1, 1
	v_mov_b32_e32 v2, 0
	scratch_store_b64 off, v[1:2], s32 offset:808 ; 8-byte Folded Spill
	s_and_saveexec_b32 s23, s1
	s_cbranch_execz .LBB268_570
; %bb.565:                              ;   in Loop: Header=BB268_16 Depth=1
	v_mov_b32_e32 v3, 0x7f800001
	v_and_b32_e32 v2, 0x7f, v0
	v_mov_b32_e32 v4, 0
	s_mov_b32 s24, exec_lo
	scratch_store_b64 off, v[3:4], s32 offset:808 ; 8-byte Folded Spill
	v_cmpx_ne_u32_e32 0x7f, v2
	s_cbranch_execz .LBB268_569
; %bb.566:                              ;   in Loop: Header=BB268_16 Depth=1
	v_and_b32_e32 v14, 7, v0
	v_lshrrev_b32_e32 v1, 3, v2
	s_mov_b32 s25, exec_lo
	v_cmpx_gt_u32_e32 8, v2
; %bb.567:                              ;   in Loop: Header=BB268_16 Depth=1
	s_delay_alu instid0(VALU_DEP_3) | instskip(NEXT) | instid1(VALU_DEP_1)
	v_clz_i32_u32_e32 v1, v14
	v_min_u32_e32 v1, 32, v1
	s_delay_alu instid0(VALU_DEP_1) | instskip(SKIP_1) | instid1(VALU_DEP_2)
	v_subrev_nc_u32_e32 v2, 28, v1
	v_sub_nc_u32_e32 v1, 29, v1
	v_lshlrev_b64 v[2:3], v2, v[14:15]
	s_delay_alu instid0(VALU_DEP_1)
	v_and_b32_e32 v14, 7, v2
; %bb.568:                              ;   in Loop: Header=BB268_16 Depth=1
	s_or_b32 exec_lo, exec_lo, s25
	v_lshlrev_b32_e32 v2, 24, v0
	s_delay_alu instid0(VALU_DEP_2) | instskip(SKIP_1) | instid1(VALU_DEP_3)
	v_lshlrev_b32_e32 v3, 20, v14
	v_lshl_add_u32 v1, v1, 23, 0x3c000000
	v_and_b32_e32 v2, 0x80000000, v2
	s_delay_alu instid0(VALU_DEP_1)
	v_or3_b32 v14, v3, v2, v1
	scratch_store_b64 off, v[14:15], s32 offset:808 ; 8-byte Folded Spill
.LBB268_569:                            ;   in Loop: Header=BB268_16 Depth=1
	s_or_b32 exec_lo, exec_lo, s24
.LBB268_570:                            ;   in Loop: Header=BB268_16 Depth=1
	s_delay_alu instid0(SALU_CYCLE_1)
	s_or_b32 exec_lo, exec_lo, s23
.LBB268_571:                            ;   in Loop: Header=BB268_16 Depth=1
	s_delay_alu instid0(SALU_CYCLE_1) | instskip(SKIP_2) | instid1(VALU_DEP_1)
	s_or_b32 exec_lo, exec_lo, s2
	v_lshrrev_b16 v1, 8, v0
	s_mov_b32 s23, exec_lo
	v_cmpx_ne_u16_e32 0, v1
	s_cbranch_execz .LBB268_579
; %bb.572:                              ;   in Loop: Header=BB268_16 Depth=1
	v_dual_mov_b32 v2, s8 :: v_dual_mov_b32 v3, s9
	s_mov_b32 s24, exec_lo
	scratch_store_b64 off, v[2:3], s32 offset:800 ; 8-byte Folded Spill
	v_cmpx_ne_u16_e32 0x80, v1
	s_cbranch_execz .LBB268_578
; %bb.573:                              ;   in Loop: Header=BB268_16 Depth=1
	s_mov_b32 s2, s8
	v_dual_mov_b32 v4, s3 :: v_dual_and_b32 v1, 0xffff, v1
	v_mov_b32_e32 v3, s2
	s_mov_b32 s2, exec_lo
	s_delay_alu instid0(VALU_DEP_2)
	v_and_b32_e32 v2, 0x7f, v1
	scratch_store_b64 off, v[3:4], s32 offset:800 ; 8-byte Folded Spill
	v_cmpx_ne_u32_e32 0x7f, v2
	s_cbranch_execz .LBB268_577
; %bb.574:                              ;   in Loop: Header=BB268_16 Depth=1
	v_and_b32_e32 v14, 7, v1
	v_lshrrev_b32_e32 v1, 3, v2
	s_mov_b32 s25, exec_lo
	v_cmpx_gt_u32_e32 8, v2
; %bb.575:                              ;   in Loop: Header=BB268_16 Depth=1
	s_delay_alu instid0(VALU_DEP_3) | instskip(NEXT) | instid1(VALU_DEP_1)
	v_clz_i32_u32_e32 v1, v14
	v_min_u32_e32 v1, 32, v1
	s_delay_alu instid0(VALU_DEP_1) | instskip(SKIP_1) | instid1(VALU_DEP_2)
	v_subrev_nc_u32_e32 v2, 28, v1
	v_sub_nc_u32_e32 v1, 29, v1
	v_lshlrev_b64 v[2:3], v2, v[14:15]
	s_delay_alu instid0(VALU_DEP_1)
	v_and_b32_e32 v14, 7, v2
; %bb.576:                              ;   in Loop: Header=BB268_16 Depth=1
	s_or_b32 exec_lo, exec_lo, s25
	v_lshlrev_b32_e32 v2, 16, v0
	s_delay_alu instid0(VALU_DEP_2) | instskip(SKIP_1) | instid1(VALU_DEP_3)
	v_lshlrev_b32_e32 v3, 20, v14
	v_lshl_add_u32 v1, v1, 23, 0x3c000000
	v_and_b32_e32 v2, 0x80000000, v2
	s_delay_alu instid0(VALU_DEP_1)
	v_or3_b32 v2, v3, v2, v1
	v_mov_b32_e32 v1, v15
	scratch_store_b64 off, v[1:2], s32 offset:800 ; 8-byte Folded Spill
.LBB268_577:                            ;   in Loop: Header=BB268_16 Depth=1
	s_or_b32 exec_lo, exec_lo, s2
.LBB268_578:                            ;   in Loop: Header=BB268_16 Depth=1
	s_delay_alu instid0(SALU_CYCLE_1)
	s_or_b32 exec_lo, exec_lo, s24
.LBB268_579:                            ;   in Loop: Header=BB268_16 Depth=1
	s_delay_alu instid0(SALU_CYCLE_1)
	s_or_b32 exec_lo, exec_lo, s23
	v_lshrrev_b32_e32 v1, 16, v0
	v_mov_b32_e32 v3, 0
	v_mov_b32_e32 v4, 0
	s_mov_b32 s2, exec_lo
	s_clause 0x1
	scratch_store_b64 off, v[3:4], s32 offset:816
	scratch_store_b64 off, v[3:4], s32 offset:824
	v_and_b32_e32 v2, 0xff, v1
	s_delay_alu instid0(VALU_DEP_1)
	v_cmpx_ne_u16_e32 0, v2
	s_cbranch_execz .LBB268_587
; %bb.580:                              ;   in Loop: Header=BB268_16 Depth=1
	v_cmp_ne_u16_e64 s1, 0x80, v2
	v_bfrev_b32_e32 v2, 1
	v_mov_b32_e32 v3, 0
	scratch_store_b64 off, v[2:3], s32 offset:824 ; 8-byte Folded Spill
	s_and_saveexec_b32 s23, s1
	s_cbranch_execz .LBB268_586
; %bb.581:                              ;   in Loop: Header=BB268_16 Depth=1
	v_mov_b32_e32 v4, 0x7f800001
	v_bfe_u32 v3, v0, 16, 7
	v_mov_b32_e32 v5, 0
	s_mov_b32 s24, exec_lo
	scratch_store_b64 off, v[4:5], s32 offset:824 ; 8-byte Folded Spill
	v_cmpx_ne_u32_e32 0x7f, v3
	s_cbranch_execz .LBB268_585
; %bb.582:                              ;   in Loop: Header=BB268_16 Depth=1
	v_and_b32_e32 v14, 7, v1
	v_lshrrev_b32_e32 v2, 3, v3
	s_mov_b32 s25, exec_lo
	v_cmpx_gt_u32_e32 8, v3
; %bb.583:                              ;   in Loop: Header=BB268_16 Depth=1
	s_delay_alu instid0(VALU_DEP_3) | instskip(NEXT) | instid1(VALU_DEP_1)
	v_clz_i32_u32_e32 v2, v14
	v_min_u32_e32 v2, 32, v2
	s_delay_alu instid0(VALU_DEP_1) | instskip(SKIP_1) | instid1(VALU_DEP_2)
	v_subrev_nc_u32_e32 v3, 28, v2
	v_sub_nc_u32_e32 v2, 29, v2
	v_lshlrev_b64 v[3:4], v3, v[14:15]
	s_delay_alu instid0(VALU_DEP_1)
	v_and_b32_e32 v14, 7, v3
; %bb.584:                              ;   in Loop: Header=BB268_16 Depth=1
	s_or_b32 exec_lo, exec_lo, s25
	v_lshlrev_b32_e32 v1, 24, v1
	s_delay_alu instid0(VALU_DEP_2) | instskip(SKIP_1) | instid1(VALU_DEP_3)
	v_lshlrev_b32_e32 v3, 20, v14
	v_lshl_add_u32 v2, v2, 23, 0x3c000000
	v_and_b32_e32 v1, 0x80000000, v1
	s_delay_alu instid0(VALU_DEP_1)
	v_or3_b32 v14, v3, v1, v2
	scratch_store_b64 off, v[14:15], s32 offset:824 ; 8-byte Folded Spill
.LBB268_585:                            ;   in Loop: Header=BB268_16 Depth=1
	s_or_b32 exec_lo, exec_lo, s24
.LBB268_586:                            ;   in Loop: Header=BB268_16 Depth=1
	s_delay_alu instid0(SALU_CYCLE_1)
	s_or_b32 exec_lo, exec_lo, s23
.LBB268_587:                            ;   in Loop: Header=BB268_16 Depth=1
	s_delay_alu instid0(SALU_CYCLE_1) | instskip(NEXT) | instid1(SALU_CYCLE_1)
	s_or_b32 exec_lo, exec_lo, s2
	s_mov_b32 s23, exec_lo
	v_cmpx_lt_u32_e32 0xffffff, v0
	s_cbranch_execz .LBB268_595
; %bb.588:                              ;   in Loop: Header=BB268_16 Depth=1
	v_lshrrev_b32_e32 v1, 24, v0
	v_dual_mov_b32 v2, s8 :: v_dual_mov_b32 v3, s9
	s_mov_b32 s24, exec_lo
	scratch_store_b64 off, v[2:3], s32 offset:816 ; 8-byte Folded Spill
	v_cmpx_ne_u32_e32 0x80, v1
	s_cbranch_execz .LBB268_594
; %bb.589:                              ;   in Loop: Header=BB268_16 Depth=1
	s_mov_b32 s2, s8
	v_bfe_u32 v2, v0, 24, 7
	v_dual_mov_b32 v4, s3 :: v_dual_mov_b32 v3, s2
	s_mov_b32 s2, exec_lo
	scratch_store_b64 off, v[3:4], s32 offset:816 ; 8-byte Folded Spill
	v_cmpx_ne_u32_e32 0x7f, v2
	s_cbranch_execz .LBB268_593
; %bb.590:                              ;   in Loop: Header=BB268_16 Depth=1
	v_and_b32_e32 v14, 7, v1
	v_lshrrev_b32_e32 v0, 3, v2
	s_mov_b32 s25, exec_lo
	v_cmpx_gt_u32_e32 8, v2
; %bb.591:                              ;   in Loop: Header=BB268_16 Depth=1
	s_delay_alu instid0(VALU_DEP_3) | instskip(NEXT) | instid1(VALU_DEP_1)
	v_clz_i32_u32_e32 v0, v14
	v_min_u32_e32 v0, 32, v0
	s_delay_alu instid0(VALU_DEP_1) | instskip(SKIP_1) | instid1(VALU_DEP_2)
	v_subrev_nc_u32_e32 v2, 28, v0
	v_sub_nc_u32_e32 v0, 29, v0
	v_lshlrev_b64 v[2:3], v2, v[14:15]
	s_delay_alu instid0(VALU_DEP_1)
	v_and_b32_e32 v14, 7, v2
; %bb.592:                              ;   in Loop: Header=BB268_16 Depth=1
	s_or_b32 exec_lo, exec_lo, s25
	v_lshlrev_b32_e32 v1, 24, v1
	s_delay_alu instid0(VALU_DEP_2) | instskip(SKIP_1) | instid1(VALU_DEP_3)
	v_lshlrev_b32_e32 v2, 20, v14
	v_lshl_add_u32 v0, v0, 23, 0x3c000000
	v_and_b32_e32 v1, 0x80000000, v1
	s_delay_alu instid0(VALU_DEP_1)
	v_or3_b32 v1, v2, v1, v0
	v_mov_b32_e32 v0, v15
	scratch_store_b64 off, v[0:1], s32 offset:816 ; 8-byte Folded Spill
.LBB268_593:                            ;   in Loop: Header=BB268_16 Depth=1
	s_or_b32 exec_lo, exec_lo, s2
.LBB268_594:                            ;   in Loop: Header=BB268_16 Depth=1
	s_delay_alu instid0(SALU_CYCLE_1)
	s_or_b32 exec_lo, exec_lo, s24
.LBB268_595:                            ;   in Loop: Header=BB268_16 Depth=1
	s_delay_alu instid0(SALU_CYCLE_1)
	s_or_b32 exec_lo, exec_lo, s23
	flat_load_b32 v0, v[142:143] offset:2056
	v_mov_b32_e32 v2, 0
	v_mov_b32_e32 v3, 0
	s_mov_b32 s2, exec_lo
	s_clause 0x1
	scratch_store_b64 off, v[2:3], s32 offset:832
	scratch_store_b64 off, v[2:3], s32 offset:840
	s_waitcnt vmcnt(0) lgkmcnt(0)
	v_and_b32_e32 v1, 0xff, v0
	s_delay_alu instid0(VALU_DEP_1)
	v_cmpx_ne_u16_e32 0, v1
	s_cbranch_execz .LBB268_603
; %bb.596:                              ;   in Loop: Header=BB268_16 Depth=1
	v_cmp_ne_u16_e64 s1, 0x80, v1
	v_bfrev_b32_e32 v1, 1
	v_mov_b32_e32 v2, 0
	scratch_store_b64 off, v[1:2], s32 offset:840 ; 8-byte Folded Spill
	s_and_saveexec_b32 s23, s1
	s_cbranch_execz .LBB268_602
; %bb.597:                              ;   in Loop: Header=BB268_16 Depth=1
	v_mov_b32_e32 v3, 0x7f800001
	v_and_b32_e32 v2, 0x7f, v0
	v_mov_b32_e32 v4, 0
	s_mov_b32 s24, exec_lo
	scratch_store_b64 off, v[3:4], s32 offset:840 ; 8-byte Folded Spill
	v_cmpx_ne_u32_e32 0x7f, v2
	s_cbranch_execz .LBB268_601
; %bb.598:                              ;   in Loop: Header=BB268_16 Depth=1
	v_and_b32_e32 v14, 7, v0
	v_lshrrev_b32_e32 v1, 3, v2
	s_mov_b32 s25, exec_lo
	v_cmpx_gt_u32_e32 8, v2
; %bb.599:                              ;   in Loop: Header=BB268_16 Depth=1
	s_delay_alu instid0(VALU_DEP_3) | instskip(NEXT) | instid1(VALU_DEP_1)
	v_clz_i32_u32_e32 v1, v14
	v_min_u32_e32 v1, 32, v1
	s_delay_alu instid0(VALU_DEP_1) | instskip(SKIP_1) | instid1(VALU_DEP_2)
	v_subrev_nc_u32_e32 v2, 28, v1
	v_sub_nc_u32_e32 v1, 29, v1
	v_lshlrev_b64 v[2:3], v2, v[14:15]
	s_delay_alu instid0(VALU_DEP_1)
	v_and_b32_e32 v14, 7, v2
; %bb.600:                              ;   in Loop: Header=BB268_16 Depth=1
	s_or_b32 exec_lo, exec_lo, s25
	v_lshlrev_b32_e32 v2, 24, v0
	s_delay_alu instid0(VALU_DEP_2) | instskip(SKIP_1) | instid1(VALU_DEP_3)
	v_lshlrev_b32_e32 v3, 20, v14
	v_lshl_add_u32 v1, v1, 23, 0x3c000000
	v_and_b32_e32 v2, 0x80000000, v2
	s_delay_alu instid0(VALU_DEP_1)
	v_or3_b32 v14, v3, v2, v1
	scratch_store_b64 off, v[14:15], s32 offset:840 ; 8-byte Folded Spill
.LBB268_601:                            ;   in Loop: Header=BB268_16 Depth=1
	s_or_b32 exec_lo, exec_lo, s24
.LBB268_602:                            ;   in Loop: Header=BB268_16 Depth=1
	s_delay_alu instid0(SALU_CYCLE_1)
	s_or_b32 exec_lo, exec_lo, s23
.LBB268_603:                            ;   in Loop: Header=BB268_16 Depth=1
	s_delay_alu instid0(SALU_CYCLE_1) | instskip(SKIP_2) | instid1(VALU_DEP_1)
	s_or_b32 exec_lo, exec_lo, s2
	v_lshrrev_b16 v1, 8, v0
	s_mov_b32 s23, exec_lo
	v_cmpx_ne_u16_e32 0, v1
	s_cbranch_execz .LBB268_611
; %bb.604:                              ;   in Loop: Header=BB268_16 Depth=1
	v_dual_mov_b32 v2, s8 :: v_dual_mov_b32 v3, s9
	s_mov_b32 s24, exec_lo
	scratch_store_b64 off, v[2:3], s32 offset:832 ; 8-byte Folded Spill
	v_cmpx_ne_u16_e32 0x80, v1
	s_cbranch_execz .LBB268_610
; %bb.605:                              ;   in Loop: Header=BB268_16 Depth=1
	s_mov_b32 s2, s8
	v_dual_mov_b32 v4, s3 :: v_dual_and_b32 v1, 0xffff, v1
	v_mov_b32_e32 v3, s2
	s_mov_b32 s2, exec_lo
	s_delay_alu instid0(VALU_DEP_2)
	v_and_b32_e32 v2, 0x7f, v1
	scratch_store_b64 off, v[3:4], s32 offset:832 ; 8-byte Folded Spill
	v_cmpx_ne_u32_e32 0x7f, v2
	s_cbranch_execz .LBB268_609
; %bb.606:                              ;   in Loop: Header=BB268_16 Depth=1
	v_and_b32_e32 v14, 7, v1
	v_lshrrev_b32_e32 v1, 3, v2
	s_mov_b32 s25, exec_lo
	v_cmpx_gt_u32_e32 8, v2
; %bb.607:                              ;   in Loop: Header=BB268_16 Depth=1
	s_delay_alu instid0(VALU_DEP_3) | instskip(NEXT) | instid1(VALU_DEP_1)
	v_clz_i32_u32_e32 v1, v14
	v_min_u32_e32 v1, 32, v1
	s_delay_alu instid0(VALU_DEP_1) | instskip(SKIP_1) | instid1(VALU_DEP_2)
	v_subrev_nc_u32_e32 v2, 28, v1
	v_sub_nc_u32_e32 v1, 29, v1
	v_lshlrev_b64 v[2:3], v2, v[14:15]
	s_delay_alu instid0(VALU_DEP_1)
	v_and_b32_e32 v14, 7, v2
; %bb.608:                              ;   in Loop: Header=BB268_16 Depth=1
	s_or_b32 exec_lo, exec_lo, s25
	v_lshlrev_b32_e32 v2, 16, v0
	s_delay_alu instid0(VALU_DEP_2) | instskip(SKIP_1) | instid1(VALU_DEP_3)
	v_lshlrev_b32_e32 v3, 20, v14
	v_lshl_add_u32 v1, v1, 23, 0x3c000000
	v_and_b32_e32 v2, 0x80000000, v2
	s_delay_alu instid0(VALU_DEP_1)
	v_or3_b32 v2, v3, v2, v1
	v_mov_b32_e32 v1, v15
	scratch_store_b64 off, v[1:2], s32 offset:832 ; 8-byte Folded Spill
.LBB268_609:                            ;   in Loop: Header=BB268_16 Depth=1
	s_or_b32 exec_lo, exec_lo, s2
.LBB268_610:                            ;   in Loop: Header=BB268_16 Depth=1
	s_delay_alu instid0(SALU_CYCLE_1)
	s_or_b32 exec_lo, exec_lo, s24
.LBB268_611:                            ;   in Loop: Header=BB268_16 Depth=1
	s_delay_alu instid0(SALU_CYCLE_1)
	s_or_b32 exec_lo, exec_lo, s23
	v_lshrrev_b32_e32 v1, 16, v0
	v_mov_b32_e32 v3, 0
	v_mov_b32_e32 v4, 0
	s_mov_b32 s2, exec_lo
	s_clause 0x1
	scratch_store_b64 off, v[3:4], s32 offset:848
	scratch_store_b64 off, v[3:4], s32 offset:856
	v_and_b32_e32 v2, 0xff, v1
	s_delay_alu instid0(VALU_DEP_1)
	v_cmpx_ne_u16_e32 0, v2
	s_cbranch_execz .LBB268_619
; %bb.612:                              ;   in Loop: Header=BB268_16 Depth=1
	v_cmp_ne_u16_e64 s1, 0x80, v2
	v_bfrev_b32_e32 v2, 1
	v_mov_b32_e32 v3, 0
	scratch_store_b64 off, v[2:3], s32 offset:856 ; 8-byte Folded Spill
	s_and_saveexec_b32 s23, s1
	s_cbranch_execz .LBB268_618
; %bb.613:                              ;   in Loop: Header=BB268_16 Depth=1
	v_mov_b32_e32 v4, 0x7f800001
	v_bfe_u32 v3, v0, 16, 7
	v_mov_b32_e32 v5, 0
	s_mov_b32 s24, exec_lo
	scratch_store_b64 off, v[4:5], s32 offset:856 ; 8-byte Folded Spill
	v_cmpx_ne_u32_e32 0x7f, v3
	s_cbranch_execz .LBB268_617
; %bb.614:                              ;   in Loop: Header=BB268_16 Depth=1
	v_and_b32_e32 v14, 7, v1
	v_lshrrev_b32_e32 v2, 3, v3
	s_mov_b32 s25, exec_lo
	v_cmpx_gt_u32_e32 8, v3
; %bb.615:                              ;   in Loop: Header=BB268_16 Depth=1
	s_delay_alu instid0(VALU_DEP_3) | instskip(NEXT) | instid1(VALU_DEP_1)
	v_clz_i32_u32_e32 v2, v14
	v_min_u32_e32 v2, 32, v2
	s_delay_alu instid0(VALU_DEP_1) | instskip(SKIP_1) | instid1(VALU_DEP_2)
	v_subrev_nc_u32_e32 v3, 28, v2
	v_sub_nc_u32_e32 v2, 29, v2
	v_lshlrev_b64 v[3:4], v3, v[14:15]
	s_delay_alu instid0(VALU_DEP_1)
	v_and_b32_e32 v14, 7, v3
; %bb.616:                              ;   in Loop: Header=BB268_16 Depth=1
	s_or_b32 exec_lo, exec_lo, s25
	v_lshlrev_b32_e32 v1, 24, v1
	s_delay_alu instid0(VALU_DEP_2) | instskip(SKIP_1) | instid1(VALU_DEP_3)
	v_lshlrev_b32_e32 v3, 20, v14
	v_lshl_add_u32 v2, v2, 23, 0x3c000000
	v_and_b32_e32 v1, 0x80000000, v1
	s_delay_alu instid0(VALU_DEP_1)
	v_or3_b32 v14, v3, v1, v2
	scratch_store_b64 off, v[14:15], s32 offset:856 ; 8-byte Folded Spill
.LBB268_617:                            ;   in Loop: Header=BB268_16 Depth=1
	s_or_b32 exec_lo, exec_lo, s24
.LBB268_618:                            ;   in Loop: Header=BB268_16 Depth=1
	s_delay_alu instid0(SALU_CYCLE_1)
	s_or_b32 exec_lo, exec_lo, s23
.LBB268_619:                            ;   in Loop: Header=BB268_16 Depth=1
	s_delay_alu instid0(SALU_CYCLE_1) | instskip(NEXT) | instid1(SALU_CYCLE_1)
	s_or_b32 exec_lo, exec_lo, s2
	s_mov_b32 s23, exec_lo
	v_cmpx_lt_u32_e32 0xffffff, v0
	s_cbranch_execz .LBB268_627
; %bb.620:                              ;   in Loop: Header=BB268_16 Depth=1
	v_lshrrev_b32_e32 v1, 24, v0
	v_dual_mov_b32 v2, s8 :: v_dual_mov_b32 v3, s9
	s_mov_b32 s24, exec_lo
	scratch_store_b64 off, v[2:3], s32 offset:848 ; 8-byte Folded Spill
	v_cmpx_ne_u32_e32 0x80, v1
	s_cbranch_execz .LBB268_626
; %bb.621:                              ;   in Loop: Header=BB268_16 Depth=1
	s_mov_b32 s2, s8
	v_bfe_u32 v2, v0, 24, 7
	v_dual_mov_b32 v4, s3 :: v_dual_mov_b32 v3, s2
	s_mov_b32 s2, exec_lo
	scratch_store_b64 off, v[3:4], s32 offset:848 ; 8-byte Folded Spill
	v_cmpx_ne_u32_e32 0x7f, v2
	s_cbranch_execz .LBB268_625
; %bb.622:                              ;   in Loop: Header=BB268_16 Depth=1
	v_and_b32_e32 v14, 7, v1
	v_lshrrev_b32_e32 v0, 3, v2
	s_mov_b32 s25, exec_lo
	v_cmpx_gt_u32_e32 8, v2
; %bb.623:                              ;   in Loop: Header=BB268_16 Depth=1
	s_delay_alu instid0(VALU_DEP_3) | instskip(NEXT) | instid1(VALU_DEP_1)
	v_clz_i32_u32_e32 v0, v14
	v_min_u32_e32 v0, 32, v0
	s_delay_alu instid0(VALU_DEP_1) | instskip(SKIP_1) | instid1(VALU_DEP_2)
	v_subrev_nc_u32_e32 v2, 28, v0
	v_sub_nc_u32_e32 v0, 29, v0
	v_lshlrev_b64 v[2:3], v2, v[14:15]
	s_delay_alu instid0(VALU_DEP_1)
	v_and_b32_e32 v14, 7, v2
; %bb.624:                              ;   in Loop: Header=BB268_16 Depth=1
	s_or_b32 exec_lo, exec_lo, s25
	v_lshlrev_b32_e32 v1, 24, v1
	s_delay_alu instid0(VALU_DEP_2) | instskip(SKIP_1) | instid1(VALU_DEP_3)
	v_lshlrev_b32_e32 v2, 20, v14
	v_lshl_add_u32 v0, v0, 23, 0x3c000000
	v_and_b32_e32 v1, 0x80000000, v1
	s_delay_alu instid0(VALU_DEP_1)
	v_or3_b32 v1, v2, v1, v0
	v_mov_b32_e32 v0, v15
	scratch_store_b64 off, v[0:1], s32 offset:848 ; 8-byte Folded Spill
.LBB268_625:                            ;   in Loop: Header=BB268_16 Depth=1
	s_or_b32 exec_lo, exec_lo, s2
.LBB268_626:                            ;   in Loop: Header=BB268_16 Depth=1
	s_delay_alu instid0(SALU_CYCLE_1)
	s_or_b32 exec_lo, exec_lo, s24
.LBB268_627:                            ;   in Loop: Header=BB268_16 Depth=1
	s_delay_alu instid0(SALU_CYCLE_1)
	s_or_b32 exec_lo, exec_lo, s23
	flat_load_b32 v0, v[142:143] offset:2060
	v_mov_b32_e32 v2, 0
	v_mov_b32_e32 v3, 0
	s_mov_b32 s2, exec_lo
	s_clause 0x1
	scratch_store_b64 off, v[2:3], s32 offset:864
	scratch_store_b64 off, v[2:3], s32 offset:872
	s_waitcnt vmcnt(0) lgkmcnt(0)
	v_and_b32_e32 v1, 0xff, v0
	s_delay_alu instid0(VALU_DEP_1)
	v_cmpx_ne_u16_e32 0, v1
	s_cbranch_execz .LBB268_635
; %bb.628:                              ;   in Loop: Header=BB268_16 Depth=1
	v_cmp_ne_u16_e64 s1, 0x80, v1
	v_bfrev_b32_e32 v1, 1
	v_mov_b32_e32 v2, 0
	scratch_store_b64 off, v[1:2], s32 offset:872 ; 8-byte Folded Spill
	s_and_saveexec_b32 s23, s1
	s_cbranch_execz .LBB268_634
; %bb.629:                              ;   in Loop: Header=BB268_16 Depth=1
	v_mov_b32_e32 v3, 0x7f800001
	v_and_b32_e32 v2, 0x7f, v0
	v_mov_b32_e32 v4, 0
	s_mov_b32 s24, exec_lo
	scratch_store_b64 off, v[3:4], s32 offset:872 ; 8-byte Folded Spill
	v_cmpx_ne_u32_e32 0x7f, v2
	s_cbranch_execz .LBB268_633
; %bb.630:                              ;   in Loop: Header=BB268_16 Depth=1
	v_and_b32_e32 v14, 7, v0
	v_lshrrev_b32_e32 v1, 3, v2
	s_mov_b32 s25, exec_lo
	v_cmpx_gt_u32_e32 8, v2
; %bb.631:                              ;   in Loop: Header=BB268_16 Depth=1
	s_delay_alu instid0(VALU_DEP_3) | instskip(NEXT) | instid1(VALU_DEP_1)
	v_clz_i32_u32_e32 v1, v14
	v_min_u32_e32 v1, 32, v1
	s_delay_alu instid0(VALU_DEP_1) | instskip(SKIP_1) | instid1(VALU_DEP_2)
	v_subrev_nc_u32_e32 v2, 28, v1
	v_sub_nc_u32_e32 v1, 29, v1
	v_lshlrev_b64 v[2:3], v2, v[14:15]
	s_delay_alu instid0(VALU_DEP_1)
	v_and_b32_e32 v14, 7, v2
; %bb.632:                              ;   in Loop: Header=BB268_16 Depth=1
	s_or_b32 exec_lo, exec_lo, s25
	v_lshlrev_b32_e32 v2, 24, v0
	s_delay_alu instid0(VALU_DEP_2) | instskip(SKIP_1) | instid1(VALU_DEP_3)
	v_lshlrev_b32_e32 v3, 20, v14
	v_lshl_add_u32 v1, v1, 23, 0x3c000000
	v_and_b32_e32 v2, 0x80000000, v2
	s_delay_alu instid0(VALU_DEP_1)
	v_or3_b32 v14, v3, v2, v1
	scratch_store_b64 off, v[14:15], s32 offset:872 ; 8-byte Folded Spill
.LBB268_633:                            ;   in Loop: Header=BB268_16 Depth=1
	s_or_b32 exec_lo, exec_lo, s24
.LBB268_634:                            ;   in Loop: Header=BB268_16 Depth=1
	s_delay_alu instid0(SALU_CYCLE_1)
	s_or_b32 exec_lo, exec_lo, s23
.LBB268_635:                            ;   in Loop: Header=BB268_16 Depth=1
	s_delay_alu instid0(SALU_CYCLE_1) | instskip(SKIP_2) | instid1(VALU_DEP_1)
	s_or_b32 exec_lo, exec_lo, s2
	v_lshrrev_b16 v1, 8, v0
	s_mov_b32 s23, exec_lo
	v_cmpx_ne_u16_e32 0, v1
	s_cbranch_execz .LBB268_643
; %bb.636:                              ;   in Loop: Header=BB268_16 Depth=1
	v_dual_mov_b32 v2, s8 :: v_dual_mov_b32 v3, s9
	s_mov_b32 s24, exec_lo
	scratch_store_b64 off, v[2:3], s32 offset:864 ; 8-byte Folded Spill
	v_cmpx_ne_u16_e32 0x80, v1
	s_cbranch_execz .LBB268_642
; %bb.637:                              ;   in Loop: Header=BB268_16 Depth=1
	s_mov_b32 s2, s8
	v_dual_mov_b32 v4, s3 :: v_dual_and_b32 v1, 0xffff, v1
	v_mov_b32_e32 v3, s2
	s_mov_b32 s2, exec_lo
	s_delay_alu instid0(VALU_DEP_2)
	v_and_b32_e32 v2, 0x7f, v1
	scratch_store_b64 off, v[3:4], s32 offset:864 ; 8-byte Folded Spill
	v_cmpx_ne_u32_e32 0x7f, v2
	s_cbranch_execz .LBB268_641
; %bb.638:                              ;   in Loop: Header=BB268_16 Depth=1
	v_and_b32_e32 v14, 7, v1
	v_lshrrev_b32_e32 v1, 3, v2
	s_mov_b32 s25, exec_lo
	v_cmpx_gt_u32_e32 8, v2
; %bb.639:                              ;   in Loop: Header=BB268_16 Depth=1
	s_delay_alu instid0(VALU_DEP_3) | instskip(NEXT) | instid1(VALU_DEP_1)
	v_clz_i32_u32_e32 v1, v14
	v_min_u32_e32 v1, 32, v1
	s_delay_alu instid0(VALU_DEP_1) | instskip(SKIP_1) | instid1(VALU_DEP_2)
	v_subrev_nc_u32_e32 v2, 28, v1
	v_sub_nc_u32_e32 v1, 29, v1
	v_lshlrev_b64 v[2:3], v2, v[14:15]
	s_delay_alu instid0(VALU_DEP_1)
	v_and_b32_e32 v14, 7, v2
; %bb.640:                              ;   in Loop: Header=BB268_16 Depth=1
	s_or_b32 exec_lo, exec_lo, s25
	v_lshlrev_b32_e32 v2, 16, v0
	s_delay_alu instid0(VALU_DEP_2) | instskip(SKIP_1) | instid1(VALU_DEP_3)
	v_lshlrev_b32_e32 v3, 20, v14
	v_lshl_add_u32 v1, v1, 23, 0x3c000000
	v_and_b32_e32 v2, 0x80000000, v2
	s_delay_alu instid0(VALU_DEP_1)
	v_or3_b32 v2, v3, v2, v1
	v_mov_b32_e32 v1, v15
	scratch_store_b64 off, v[1:2], s32 offset:864 ; 8-byte Folded Spill
.LBB268_641:                            ;   in Loop: Header=BB268_16 Depth=1
	s_or_b32 exec_lo, exec_lo, s2
.LBB268_642:                            ;   in Loop: Header=BB268_16 Depth=1
	s_delay_alu instid0(SALU_CYCLE_1)
	s_or_b32 exec_lo, exec_lo, s24
.LBB268_643:                            ;   in Loop: Header=BB268_16 Depth=1
	s_delay_alu instid0(SALU_CYCLE_1)
	s_or_b32 exec_lo, exec_lo, s23
	v_lshrrev_b32_e32 v1, 16, v0
	v_mov_b32_e32 v3, 0
	v_mov_b32_e32 v4, 0
	s_mov_b32 s2, exec_lo
	s_clause 0x1
	scratch_store_b64 off, v[3:4], s32 offset:880
	scratch_store_b64 off, v[3:4], s32 offset:888
	v_and_b32_e32 v2, 0xff, v1
	s_delay_alu instid0(VALU_DEP_1)
	v_cmpx_ne_u16_e32 0, v2
	s_cbranch_execz .LBB268_651
; %bb.644:                              ;   in Loop: Header=BB268_16 Depth=1
	v_cmp_ne_u16_e64 s1, 0x80, v2
	v_bfrev_b32_e32 v2, 1
	v_mov_b32_e32 v3, 0
	scratch_store_b64 off, v[2:3], s32 offset:888 ; 8-byte Folded Spill
	s_and_saveexec_b32 s23, s1
	s_cbranch_execz .LBB268_650
; %bb.645:                              ;   in Loop: Header=BB268_16 Depth=1
	v_mov_b32_e32 v4, 0x7f800001
	v_bfe_u32 v3, v0, 16, 7
	v_mov_b32_e32 v5, 0
	s_mov_b32 s24, exec_lo
	scratch_store_b64 off, v[4:5], s32 offset:888 ; 8-byte Folded Spill
	v_cmpx_ne_u32_e32 0x7f, v3
	s_cbranch_execz .LBB268_649
; %bb.646:                              ;   in Loop: Header=BB268_16 Depth=1
	v_and_b32_e32 v14, 7, v1
	v_lshrrev_b32_e32 v2, 3, v3
	s_mov_b32 s25, exec_lo
	v_cmpx_gt_u32_e32 8, v3
; %bb.647:                              ;   in Loop: Header=BB268_16 Depth=1
	s_delay_alu instid0(VALU_DEP_3) | instskip(NEXT) | instid1(VALU_DEP_1)
	v_clz_i32_u32_e32 v2, v14
	v_min_u32_e32 v2, 32, v2
	s_delay_alu instid0(VALU_DEP_1) | instskip(SKIP_1) | instid1(VALU_DEP_2)
	v_subrev_nc_u32_e32 v3, 28, v2
	v_sub_nc_u32_e32 v2, 29, v2
	v_lshlrev_b64 v[3:4], v3, v[14:15]
	s_delay_alu instid0(VALU_DEP_1)
	v_and_b32_e32 v14, 7, v3
; %bb.648:                              ;   in Loop: Header=BB268_16 Depth=1
	s_or_b32 exec_lo, exec_lo, s25
	v_lshlrev_b32_e32 v1, 24, v1
	s_delay_alu instid0(VALU_DEP_2) | instskip(SKIP_1) | instid1(VALU_DEP_3)
	v_lshlrev_b32_e32 v3, 20, v14
	v_lshl_add_u32 v2, v2, 23, 0x3c000000
	v_and_b32_e32 v1, 0x80000000, v1
	s_delay_alu instid0(VALU_DEP_1)
	v_or3_b32 v14, v3, v1, v2
	scratch_store_b64 off, v[14:15], s32 offset:888 ; 8-byte Folded Spill
.LBB268_649:                            ;   in Loop: Header=BB268_16 Depth=1
	s_or_b32 exec_lo, exec_lo, s24
.LBB268_650:                            ;   in Loop: Header=BB268_16 Depth=1
	s_delay_alu instid0(SALU_CYCLE_1)
	s_or_b32 exec_lo, exec_lo, s23
.LBB268_651:                            ;   in Loop: Header=BB268_16 Depth=1
	s_delay_alu instid0(SALU_CYCLE_1) | instskip(NEXT) | instid1(SALU_CYCLE_1)
	s_or_b32 exec_lo, exec_lo, s2
	s_mov_b32 s23, exec_lo
	v_cmpx_lt_u32_e32 0xffffff, v0
	s_cbranch_execz .LBB268_659
; %bb.652:                              ;   in Loop: Header=BB268_16 Depth=1
	v_lshrrev_b32_e32 v1, 24, v0
	v_dual_mov_b32 v2, s8 :: v_dual_mov_b32 v3, s9
	s_mov_b32 s24, exec_lo
	scratch_store_b64 off, v[2:3], s32 offset:880 ; 8-byte Folded Spill
	v_cmpx_ne_u32_e32 0x80, v1
	s_cbranch_execz .LBB268_658
; %bb.653:                              ;   in Loop: Header=BB268_16 Depth=1
	s_mov_b32 s2, s8
	v_bfe_u32 v2, v0, 24, 7
	v_dual_mov_b32 v4, s3 :: v_dual_mov_b32 v3, s2
	s_mov_b32 s2, exec_lo
	scratch_store_b64 off, v[3:4], s32 offset:880 ; 8-byte Folded Spill
	v_cmpx_ne_u32_e32 0x7f, v2
	s_cbranch_execz .LBB268_657
; %bb.654:                              ;   in Loop: Header=BB268_16 Depth=1
	v_and_b32_e32 v14, 7, v1
	v_lshrrev_b32_e32 v0, 3, v2
	s_mov_b32 s25, exec_lo
	v_cmpx_gt_u32_e32 8, v2
; %bb.655:                              ;   in Loop: Header=BB268_16 Depth=1
	s_delay_alu instid0(VALU_DEP_3) | instskip(NEXT) | instid1(VALU_DEP_1)
	v_clz_i32_u32_e32 v0, v14
	v_min_u32_e32 v0, 32, v0
	s_delay_alu instid0(VALU_DEP_1) | instskip(SKIP_1) | instid1(VALU_DEP_2)
	v_subrev_nc_u32_e32 v2, 28, v0
	v_sub_nc_u32_e32 v0, 29, v0
	v_lshlrev_b64 v[2:3], v2, v[14:15]
	s_delay_alu instid0(VALU_DEP_1)
	v_and_b32_e32 v14, 7, v2
; %bb.656:                              ;   in Loop: Header=BB268_16 Depth=1
	s_or_b32 exec_lo, exec_lo, s25
	v_lshlrev_b32_e32 v1, 24, v1
	s_delay_alu instid0(VALU_DEP_2) | instskip(SKIP_1) | instid1(VALU_DEP_3)
	v_lshlrev_b32_e32 v2, 20, v14
	v_lshl_add_u32 v0, v0, 23, 0x3c000000
	v_and_b32_e32 v1, 0x80000000, v1
	s_delay_alu instid0(VALU_DEP_1)
	v_or3_b32 v1, v2, v1, v0
	v_mov_b32_e32 v0, v15
	scratch_store_b64 off, v[0:1], s32 offset:880 ; 8-byte Folded Spill
.LBB268_657:                            ;   in Loop: Header=BB268_16 Depth=1
	s_or_b32 exec_lo, exec_lo, s2
.LBB268_658:                            ;   in Loop: Header=BB268_16 Depth=1
	s_delay_alu instid0(SALU_CYCLE_1)
	s_or_b32 exec_lo, exec_lo, s24
.LBB268_659:                            ;   in Loop: Header=BB268_16 Depth=1
	s_delay_alu instid0(SALU_CYCLE_1)
	s_or_b32 exec_lo, exec_lo, s23
	flat_load_b32 v0, v[142:143] offset:2560
	v_mov_b32_e32 v2, 0
	v_mov_b32_e32 v3, 0
	s_mov_b32 s2, exec_lo
	s_clause 0x1
	scratch_store_b64 off, v[2:3], s32 offset:896
	scratch_store_b64 off, v[2:3], s32 offset:904
	s_waitcnt vmcnt(0) lgkmcnt(0)
	v_and_b32_e32 v1, 0xff, v0
	s_delay_alu instid0(VALU_DEP_1)
	v_cmpx_ne_u16_e32 0, v1
	s_cbranch_execz .LBB268_667
; %bb.660:                              ;   in Loop: Header=BB268_16 Depth=1
	v_cmp_ne_u16_e64 s1, 0x80, v1
	v_bfrev_b32_e32 v1, 1
	v_mov_b32_e32 v2, 0
	scratch_store_b64 off, v[1:2], s32 offset:904 ; 8-byte Folded Spill
	s_and_saveexec_b32 s23, s1
	s_cbranch_execz .LBB268_666
; %bb.661:                              ;   in Loop: Header=BB268_16 Depth=1
	v_mov_b32_e32 v3, 0x7f800001
	v_and_b32_e32 v2, 0x7f, v0
	v_mov_b32_e32 v4, 0
	s_mov_b32 s24, exec_lo
	scratch_store_b64 off, v[3:4], s32 offset:904 ; 8-byte Folded Spill
	v_cmpx_ne_u32_e32 0x7f, v2
	s_cbranch_execz .LBB268_665
; %bb.662:                              ;   in Loop: Header=BB268_16 Depth=1
	v_and_b32_e32 v14, 7, v0
	v_lshrrev_b32_e32 v1, 3, v2
	s_mov_b32 s25, exec_lo
	v_cmpx_gt_u32_e32 8, v2
; %bb.663:                              ;   in Loop: Header=BB268_16 Depth=1
	s_delay_alu instid0(VALU_DEP_3) | instskip(NEXT) | instid1(VALU_DEP_1)
	v_clz_i32_u32_e32 v1, v14
	v_min_u32_e32 v1, 32, v1
	s_delay_alu instid0(VALU_DEP_1) | instskip(SKIP_1) | instid1(VALU_DEP_2)
	v_subrev_nc_u32_e32 v2, 28, v1
	v_sub_nc_u32_e32 v1, 29, v1
	v_lshlrev_b64 v[2:3], v2, v[14:15]
	s_delay_alu instid0(VALU_DEP_1)
	v_and_b32_e32 v14, 7, v2
; %bb.664:                              ;   in Loop: Header=BB268_16 Depth=1
	s_or_b32 exec_lo, exec_lo, s25
	v_lshlrev_b32_e32 v2, 24, v0
	s_delay_alu instid0(VALU_DEP_2) | instskip(SKIP_1) | instid1(VALU_DEP_3)
	v_lshlrev_b32_e32 v3, 20, v14
	v_lshl_add_u32 v1, v1, 23, 0x3c000000
	v_and_b32_e32 v2, 0x80000000, v2
	s_delay_alu instid0(VALU_DEP_1)
	v_or3_b32 v14, v3, v2, v1
	scratch_store_b64 off, v[14:15], s32 offset:904 ; 8-byte Folded Spill
.LBB268_665:                            ;   in Loop: Header=BB268_16 Depth=1
	s_or_b32 exec_lo, exec_lo, s24
.LBB268_666:                            ;   in Loop: Header=BB268_16 Depth=1
	s_delay_alu instid0(SALU_CYCLE_1)
	s_or_b32 exec_lo, exec_lo, s23
.LBB268_667:                            ;   in Loop: Header=BB268_16 Depth=1
	s_delay_alu instid0(SALU_CYCLE_1) | instskip(SKIP_2) | instid1(VALU_DEP_1)
	s_or_b32 exec_lo, exec_lo, s2
	v_lshrrev_b16 v1, 8, v0
	s_mov_b32 s23, exec_lo
	v_cmpx_ne_u16_e32 0, v1
	s_cbranch_execz .LBB268_675
; %bb.668:                              ;   in Loop: Header=BB268_16 Depth=1
	v_dual_mov_b32 v2, s8 :: v_dual_mov_b32 v3, s9
	s_mov_b32 s24, exec_lo
	scratch_store_b64 off, v[2:3], s32 offset:896 ; 8-byte Folded Spill
	v_cmpx_ne_u16_e32 0x80, v1
	s_cbranch_execz .LBB268_674
; %bb.669:                              ;   in Loop: Header=BB268_16 Depth=1
	s_mov_b32 s2, s8
	v_dual_mov_b32 v4, s3 :: v_dual_and_b32 v1, 0xffff, v1
	v_mov_b32_e32 v3, s2
	s_mov_b32 s2, exec_lo
	s_delay_alu instid0(VALU_DEP_2)
	v_and_b32_e32 v2, 0x7f, v1
	scratch_store_b64 off, v[3:4], s32 offset:896 ; 8-byte Folded Spill
	v_cmpx_ne_u32_e32 0x7f, v2
	s_cbranch_execz .LBB268_673
; %bb.670:                              ;   in Loop: Header=BB268_16 Depth=1
	v_and_b32_e32 v14, 7, v1
	v_lshrrev_b32_e32 v1, 3, v2
	s_mov_b32 s25, exec_lo
	v_cmpx_gt_u32_e32 8, v2
; %bb.671:                              ;   in Loop: Header=BB268_16 Depth=1
	s_delay_alu instid0(VALU_DEP_3) | instskip(NEXT) | instid1(VALU_DEP_1)
	v_clz_i32_u32_e32 v1, v14
	v_min_u32_e32 v1, 32, v1
	s_delay_alu instid0(VALU_DEP_1) | instskip(SKIP_1) | instid1(VALU_DEP_2)
	v_subrev_nc_u32_e32 v2, 28, v1
	v_sub_nc_u32_e32 v1, 29, v1
	v_lshlrev_b64 v[2:3], v2, v[14:15]
	s_delay_alu instid0(VALU_DEP_1)
	v_and_b32_e32 v14, 7, v2
; %bb.672:                              ;   in Loop: Header=BB268_16 Depth=1
	s_or_b32 exec_lo, exec_lo, s25
	v_lshlrev_b32_e32 v2, 16, v0
	s_delay_alu instid0(VALU_DEP_2) | instskip(SKIP_1) | instid1(VALU_DEP_3)
	v_lshlrev_b32_e32 v3, 20, v14
	v_lshl_add_u32 v1, v1, 23, 0x3c000000
	v_and_b32_e32 v2, 0x80000000, v2
	s_delay_alu instid0(VALU_DEP_1)
	v_or3_b32 v2, v3, v2, v1
	v_mov_b32_e32 v1, v15
	scratch_store_b64 off, v[1:2], s32 offset:896 ; 8-byte Folded Spill
.LBB268_673:                            ;   in Loop: Header=BB268_16 Depth=1
	s_or_b32 exec_lo, exec_lo, s2
.LBB268_674:                            ;   in Loop: Header=BB268_16 Depth=1
	s_delay_alu instid0(SALU_CYCLE_1)
	s_or_b32 exec_lo, exec_lo, s24
.LBB268_675:                            ;   in Loop: Header=BB268_16 Depth=1
	s_delay_alu instid0(SALU_CYCLE_1)
	s_or_b32 exec_lo, exec_lo, s23
	v_lshrrev_b32_e32 v1, 16, v0
	v_mov_b32_e32 v3, 0
	v_mov_b32_e32 v4, 0
	s_mov_b32 s2, exec_lo
	s_clause 0x1
	scratch_store_b64 off, v[3:4], s32 offset:912
	scratch_store_b64 off, v[3:4], s32 offset:920
	v_and_b32_e32 v2, 0xff, v1
	s_delay_alu instid0(VALU_DEP_1)
	v_cmpx_ne_u16_e32 0, v2
	s_cbranch_execz .LBB268_683
; %bb.676:                              ;   in Loop: Header=BB268_16 Depth=1
	v_cmp_ne_u16_e64 s1, 0x80, v2
	v_bfrev_b32_e32 v2, 1
	v_mov_b32_e32 v3, 0
	scratch_store_b64 off, v[2:3], s32 offset:920 ; 8-byte Folded Spill
	s_and_saveexec_b32 s23, s1
	s_cbranch_execz .LBB268_682
; %bb.677:                              ;   in Loop: Header=BB268_16 Depth=1
	v_mov_b32_e32 v4, 0x7f800001
	v_bfe_u32 v3, v0, 16, 7
	v_mov_b32_e32 v5, 0
	s_mov_b32 s24, exec_lo
	scratch_store_b64 off, v[4:5], s32 offset:920 ; 8-byte Folded Spill
	v_cmpx_ne_u32_e32 0x7f, v3
	s_cbranch_execz .LBB268_681
; %bb.678:                              ;   in Loop: Header=BB268_16 Depth=1
	v_and_b32_e32 v14, 7, v1
	v_lshrrev_b32_e32 v2, 3, v3
	s_mov_b32 s25, exec_lo
	v_cmpx_gt_u32_e32 8, v3
; %bb.679:                              ;   in Loop: Header=BB268_16 Depth=1
	s_delay_alu instid0(VALU_DEP_3) | instskip(NEXT) | instid1(VALU_DEP_1)
	v_clz_i32_u32_e32 v2, v14
	v_min_u32_e32 v2, 32, v2
	s_delay_alu instid0(VALU_DEP_1) | instskip(SKIP_1) | instid1(VALU_DEP_2)
	v_subrev_nc_u32_e32 v3, 28, v2
	v_sub_nc_u32_e32 v2, 29, v2
	v_lshlrev_b64 v[3:4], v3, v[14:15]
	s_delay_alu instid0(VALU_DEP_1)
	v_and_b32_e32 v14, 7, v3
; %bb.680:                              ;   in Loop: Header=BB268_16 Depth=1
	s_or_b32 exec_lo, exec_lo, s25
	v_lshlrev_b32_e32 v1, 24, v1
	s_delay_alu instid0(VALU_DEP_2) | instskip(SKIP_1) | instid1(VALU_DEP_3)
	v_lshlrev_b32_e32 v3, 20, v14
	v_lshl_add_u32 v2, v2, 23, 0x3c000000
	v_and_b32_e32 v1, 0x80000000, v1
	s_delay_alu instid0(VALU_DEP_1)
	v_or3_b32 v14, v3, v1, v2
	scratch_store_b64 off, v[14:15], s32 offset:920 ; 8-byte Folded Spill
.LBB268_681:                            ;   in Loop: Header=BB268_16 Depth=1
	s_or_b32 exec_lo, exec_lo, s24
.LBB268_682:                            ;   in Loop: Header=BB268_16 Depth=1
	s_delay_alu instid0(SALU_CYCLE_1)
	s_or_b32 exec_lo, exec_lo, s23
.LBB268_683:                            ;   in Loop: Header=BB268_16 Depth=1
	s_delay_alu instid0(SALU_CYCLE_1) | instskip(NEXT) | instid1(SALU_CYCLE_1)
	s_or_b32 exec_lo, exec_lo, s2
	s_mov_b32 s23, exec_lo
	v_cmpx_lt_u32_e32 0xffffff, v0
	s_cbranch_execz .LBB268_691
; %bb.684:                              ;   in Loop: Header=BB268_16 Depth=1
	v_lshrrev_b32_e32 v1, 24, v0
	v_dual_mov_b32 v2, s8 :: v_dual_mov_b32 v3, s9
	s_mov_b32 s24, exec_lo
	scratch_store_b64 off, v[2:3], s32 offset:912 ; 8-byte Folded Spill
	v_cmpx_ne_u32_e32 0x80, v1
	s_cbranch_execz .LBB268_690
; %bb.685:                              ;   in Loop: Header=BB268_16 Depth=1
	s_mov_b32 s2, s8
	v_bfe_u32 v2, v0, 24, 7
	v_dual_mov_b32 v4, s3 :: v_dual_mov_b32 v3, s2
	s_mov_b32 s2, exec_lo
	scratch_store_b64 off, v[3:4], s32 offset:912 ; 8-byte Folded Spill
	v_cmpx_ne_u32_e32 0x7f, v2
	s_cbranch_execz .LBB268_689
; %bb.686:                              ;   in Loop: Header=BB268_16 Depth=1
	v_and_b32_e32 v14, 7, v1
	v_lshrrev_b32_e32 v0, 3, v2
	s_mov_b32 s25, exec_lo
	v_cmpx_gt_u32_e32 8, v2
; %bb.687:                              ;   in Loop: Header=BB268_16 Depth=1
	s_delay_alu instid0(VALU_DEP_3) | instskip(NEXT) | instid1(VALU_DEP_1)
	v_clz_i32_u32_e32 v0, v14
	v_min_u32_e32 v0, 32, v0
	s_delay_alu instid0(VALU_DEP_1) | instskip(SKIP_1) | instid1(VALU_DEP_2)
	v_subrev_nc_u32_e32 v2, 28, v0
	v_sub_nc_u32_e32 v0, 29, v0
	v_lshlrev_b64 v[2:3], v2, v[14:15]
	s_delay_alu instid0(VALU_DEP_1)
	v_and_b32_e32 v14, 7, v2
; %bb.688:                              ;   in Loop: Header=BB268_16 Depth=1
	s_or_b32 exec_lo, exec_lo, s25
	v_lshlrev_b32_e32 v1, 24, v1
	s_delay_alu instid0(VALU_DEP_2) | instskip(SKIP_1) | instid1(VALU_DEP_3)
	v_lshlrev_b32_e32 v2, 20, v14
	v_lshl_add_u32 v0, v0, 23, 0x3c000000
	v_and_b32_e32 v1, 0x80000000, v1
	s_delay_alu instid0(VALU_DEP_1)
	v_or3_b32 v1, v2, v1, v0
	v_mov_b32_e32 v0, v15
	scratch_store_b64 off, v[0:1], s32 offset:912 ; 8-byte Folded Spill
.LBB268_689:                            ;   in Loop: Header=BB268_16 Depth=1
	s_or_b32 exec_lo, exec_lo, s2
.LBB268_690:                            ;   in Loop: Header=BB268_16 Depth=1
	s_delay_alu instid0(SALU_CYCLE_1)
	s_or_b32 exec_lo, exec_lo, s24
.LBB268_691:                            ;   in Loop: Header=BB268_16 Depth=1
	s_delay_alu instid0(SALU_CYCLE_1)
	s_or_b32 exec_lo, exec_lo, s23
	flat_load_b32 v0, v[142:143] offset:2564
	v_mov_b32_e32 v2, 0
	v_mov_b32_e32 v3, 0
	s_mov_b32 s2, exec_lo
	s_clause 0x1
	scratch_store_b64 off, v[2:3], s32 offset:928
	scratch_store_b64 off, v[2:3], s32 offset:936
	s_waitcnt vmcnt(0) lgkmcnt(0)
	v_and_b32_e32 v1, 0xff, v0
	s_delay_alu instid0(VALU_DEP_1)
	v_cmpx_ne_u16_e32 0, v1
	s_cbranch_execz .LBB268_699
; %bb.692:                              ;   in Loop: Header=BB268_16 Depth=1
	v_cmp_ne_u16_e64 s1, 0x80, v1
	v_bfrev_b32_e32 v1, 1
	v_mov_b32_e32 v2, 0
	scratch_store_b64 off, v[1:2], s32 offset:936 ; 8-byte Folded Spill
	s_and_saveexec_b32 s23, s1
	s_cbranch_execz .LBB268_698
; %bb.693:                              ;   in Loop: Header=BB268_16 Depth=1
	v_mov_b32_e32 v3, 0x7f800001
	v_and_b32_e32 v2, 0x7f, v0
	v_mov_b32_e32 v4, 0
	s_mov_b32 s24, exec_lo
	scratch_store_b64 off, v[3:4], s32 offset:936 ; 8-byte Folded Spill
	v_cmpx_ne_u32_e32 0x7f, v2
	s_cbranch_execz .LBB268_697
; %bb.694:                              ;   in Loop: Header=BB268_16 Depth=1
	v_and_b32_e32 v14, 7, v0
	v_lshrrev_b32_e32 v1, 3, v2
	s_mov_b32 s25, exec_lo
	v_cmpx_gt_u32_e32 8, v2
; %bb.695:                              ;   in Loop: Header=BB268_16 Depth=1
	s_delay_alu instid0(VALU_DEP_3) | instskip(NEXT) | instid1(VALU_DEP_1)
	v_clz_i32_u32_e32 v1, v14
	v_min_u32_e32 v1, 32, v1
	s_delay_alu instid0(VALU_DEP_1) | instskip(SKIP_1) | instid1(VALU_DEP_2)
	v_subrev_nc_u32_e32 v2, 28, v1
	v_sub_nc_u32_e32 v1, 29, v1
	v_lshlrev_b64 v[2:3], v2, v[14:15]
	s_delay_alu instid0(VALU_DEP_1)
	v_and_b32_e32 v14, 7, v2
; %bb.696:                              ;   in Loop: Header=BB268_16 Depth=1
	s_or_b32 exec_lo, exec_lo, s25
	v_lshlrev_b32_e32 v2, 24, v0
	s_delay_alu instid0(VALU_DEP_2) | instskip(SKIP_1) | instid1(VALU_DEP_3)
	v_lshlrev_b32_e32 v3, 20, v14
	v_lshl_add_u32 v1, v1, 23, 0x3c000000
	v_and_b32_e32 v2, 0x80000000, v2
	s_delay_alu instid0(VALU_DEP_1)
	v_or3_b32 v14, v3, v2, v1
	scratch_store_b64 off, v[14:15], s32 offset:936 ; 8-byte Folded Spill
.LBB268_697:                            ;   in Loop: Header=BB268_16 Depth=1
	s_or_b32 exec_lo, exec_lo, s24
.LBB268_698:                            ;   in Loop: Header=BB268_16 Depth=1
	s_delay_alu instid0(SALU_CYCLE_1)
	s_or_b32 exec_lo, exec_lo, s23
.LBB268_699:                            ;   in Loop: Header=BB268_16 Depth=1
	s_delay_alu instid0(SALU_CYCLE_1) | instskip(SKIP_2) | instid1(VALU_DEP_1)
	s_or_b32 exec_lo, exec_lo, s2
	v_lshrrev_b16 v1, 8, v0
	s_mov_b32 s23, exec_lo
	v_cmpx_ne_u16_e32 0, v1
	s_cbranch_execz .LBB268_707
; %bb.700:                              ;   in Loop: Header=BB268_16 Depth=1
	v_dual_mov_b32 v2, s8 :: v_dual_mov_b32 v3, s9
	s_mov_b32 s24, exec_lo
	scratch_store_b64 off, v[2:3], s32 offset:928 ; 8-byte Folded Spill
	v_cmpx_ne_u16_e32 0x80, v1
	s_cbranch_execz .LBB268_706
; %bb.701:                              ;   in Loop: Header=BB268_16 Depth=1
	s_mov_b32 s2, s8
	v_dual_mov_b32 v4, s3 :: v_dual_and_b32 v1, 0xffff, v1
	v_mov_b32_e32 v3, s2
	s_mov_b32 s2, exec_lo
	s_delay_alu instid0(VALU_DEP_2)
	v_and_b32_e32 v2, 0x7f, v1
	scratch_store_b64 off, v[3:4], s32 offset:928 ; 8-byte Folded Spill
	v_cmpx_ne_u32_e32 0x7f, v2
	s_cbranch_execz .LBB268_705
; %bb.702:                              ;   in Loop: Header=BB268_16 Depth=1
	v_and_b32_e32 v14, 7, v1
	v_lshrrev_b32_e32 v1, 3, v2
	s_mov_b32 s25, exec_lo
	v_cmpx_gt_u32_e32 8, v2
; %bb.703:                              ;   in Loop: Header=BB268_16 Depth=1
	s_delay_alu instid0(VALU_DEP_3) | instskip(NEXT) | instid1(VALU_DEP_1)
	v_clz_i32_u32_e32 v1, v14
	v_min_u32_e32 v1, 32, v1
	s_delay_alu instid0(VALU_DEP_1) | instskip(SKIP_1) | instid1(VALU_DEP_2)
	v_subrev_nc_u32_e32 v2, 28, v1
	v_sub_nc_u32_e32 v1, 29, v1
	v_lshlrev_b64 v[2:3], v2, v[14:15]
	s_delay_alu instid0(VALU_DEP_1)
	v_and_b32_e32 v14, 7, v2
; %bb.704:                              ;   in Loop: Header=BB268_16 Depth=1
	s_or_b32 exec_lo, exec_lo, s25
	v_lshlrev_b32_e32 v2, 16, v0
	s_delay_alu instid0(VALU_DEP_2) | instskip(SKIP_1) | instid1(VALU_DEP_3)
	v_lshlrev_b32_e32 v3, 20, v14
	v_lshl_add_u32 v1, v1, 23, 0x3c000000
	v_and_b32_e32 v2, 0x80000000, v2
	s_delay_alu instid0(VALU_DEP_1)
	v_or3_b32 v2, v3, v2, v1
	v_mov_b32_e32 v1, v15
	scratch_store_b64 off, v[1:2], s32 offset:928 ; 8-byte Folded Spill
.LBB268_705:                            ;   in Loop: Header=BB268_16 Depth=1
	s_or_b32 exec_lo, exec_lo, s2
.LBB268_706:                            ;   in Loop: Header=BB268_16 Depth=1
	s_delay_alu instid0(SALU_CYCLE_1)
	s_or_b32 exec_lo, exec_lo, s24
.LBB268_707:                            ;   in Loop: Header=BB268_16 Depth=1
	s_delay_alu instid0(SALU_CYCLE_1)
	s_or_b32 exec_lo, exec_lo, s23
	v_lshrrev_b32_e32 v1, 16, v0
	v_mov_b32_e32 v3, 0
	v_mov_b32_e32 v4, 0
	s_mov_b32 s2, exec_lo
	s_clause 0x1
	scratch_store_b64 off, v[3:4], s32 offset:944
	scratch_store_b64 off, v[3:4], s32 offset:952
	v_and_b32_e32 v2, 0xff, v1
	s_delay_alu instid0(VALU_DEP_1)
	v_cmpx_ne_u16_e32 0, v2
	s_cbranch_execz .LBB268_715
; %bb.708:                              ;   in Loop: Header=BB268_16 Depth=1
	v_cmp_ne_u16_e64 s1, 0x80, v2
	v_bfrev_b32_e32 v2, 1
	v_mov_b32_e32 v3, 0
	scratch_store_b64 off, v[2:3], s32 offset:952 ; 8-byte Folded Spill
	s_and_saveexec_b32 s23, s1
	s_cbranch_execz .LBB268_714
; %bb.709:                              ;   in Loop: Header=BB268_16 Depth=1
	v_mov_b32_e32 v4, 0x7f800001
	v_bfe_u32 v3, v0, 16, 7
	v_mov_b32_e32 v5, 0
	s_mov_b32 s24, exec_lo
	scratch_store_b64 off, v[4:5], s32 offset:952 ; 8-byte Folded Spill
	v_cmpx_ne_u32_e32 0x7f, v3
	s_cbranch_execz .LBB268_713
; %bb.710:                              ;   in Loop: Header=BB268_16 Depth=1
	v_and_b32_e32 v14, 7, v1
	v_lshrrev_b32_e32 v2, 3, v3
	s_mov_b32 s25, exec_lo
	v_cmpx_gt_u32_e32 8, v3
; %bb.711:                              ;   in Loop: Header=BB268_16 Depth=1
	s_delay_alu instid0(VALU_DEP_3) | instskip(NEXT) | instid1(VALU_DEP_1)
	v_clz_i32_u32_e32 v2, v14
	v_min_u32_e32 v2, 32, v2
	s_delay_alu instid0(VALU_DEP_1) | instskip(SKIP_1) | instid1(VALU_DEP_2)
	v_subrev_nc_u32_e32 v3, 28, v2
	v_sub_nc_u32_e32 v2, 29, v2
	v_lshlrev_b64 v[3:4], v3, v[14:15]
	s_delay_alu instid0(VALU_DEP_1)
	v_and_b32_e32 v14, 7, v3
; %bb.712:                              ;   in Loop: Header=BB268_16 Depth=1
	s_or_b32 exec_lo, exec_lo, s25
	v_lshlrev_b32_e32 v1, 24, v1
	s_delay_alu instid0(VALU_DEP_2) | instskip(SKIP_1) | instid1(VALU_DEP_3)
	v_lshlrev_b32_e32 v3, 20, v14
	v_lshl_add_u32 v2, v2, 23, 0x3c000000
	v_and_b32_e32 v1, 0x80000000, v1
	s_delay_alu instid0(VALU_DEP_1)
	v_or3_b32 v14, v3, v1, v2
	scratch_store_b64 off, v[14:15], s32 offset:952 ; 8-byte Folded Spill
.LBB268_713:                            ;   in Loop: Header=BB268_16 Depth=1
	s_or_b32 exec_lo, exec_lo, s24
.LBB268_714:                            ;   in Loop: Header=BB268_16 Depth=1
	s_delay_alu instid0(SALU_CYCLE_1)
	s_or_b32 exec_lo, exec_lo, s23
.LBB268_715:                            ;   in Loop: Header=BB268_16 Depth=1
	s_delay_alu instid0(SALU_CYCLE_1) | instskip(NEXT) | instid1(SALU_CYCLE_1)
	s_or_b32 exec_lo, exec_lo, s2
	s_mov_b32 s23, exec_lo
	v_cmpx_lt_u32_e32 0xffffff, v0
	s_cbranch_execz .LBB268_723
; %bb.716:                              ;   in Loop: Header=BB268_16 Depth=1
	v_lshrrev_b32_e32 v1, 24, v0
	v_dual_mov_b32 v2, s8 :: v_dual_mov_b32 v3, s9
	s_mov_b32 s24, exec_lo
	scratch_store_b64 off, v[2:3], s32 offset:944 ; 8-byte Folded Spill
	v_cmpx_ne_u32_e32 0x80, v1
	s_cbranch_execz .LBB268_722
; %bb.717:                              ;   in Loop: Header=BB268_16 Depth=1
	s_mov_b32 s2, s8
	v_bfe_u32 v2, v0, 24, 7
	v_dual_mov_b32 v4, s3 :: v_dual_mov_b32 v3, s2
	s_mov_b32 s2, exec_lo
	scratch_store_b64 off, v[3:4], s32 offset:944 ; 8-byte Folded Spill
	v_cmpx_ne_u32_e32 0x7f, v2
	s_cbranch_execz .LBB268_721
; %bb.718:                              ;   in Loop: Header=BB268_16 Depth=1
	v_and_b32_e32 v14, 7, v1
	v_lshrrev_b32_e32 v0, 3, v2
	s_mov_b32 s25, exec_lo
	v_cmpx_gt_u32_e32 8, v2
; %bb.719:                              ;   in Loop: Header=BB268_16 Depth=1
	s_delay_alu instid0(VALU_DEP_3) | instskip(NEXT) | instid1(VALU_DEP_1)
	v_clz_i32_u32_e32 v0, v14
	v_min_u32_e32 v0, 32, v0
	s_delay_alu instid0(VALU_DEP_1) | instskip(SKIP_1) | instid1(VALU_DEP_2)
	v_subrev_nc_u32_e32 v2, 28, v0
	v_sub_nc_u32_e32 v0, 29, v0
	v_lshlrev_b64 v[2:3], v2, v[14:15]
	s_delay_alu instid0(VALU_DEP_1)
	v_and_b32_e32 v14, 7, v2
; %bb.720:                              ;   in Loop: Header=BB268_16 Depth=1
	s_or_b32 exec_lo, exec_lo, s25
	v_lshlrev_b32_e32 v1, 24, v1
	s_delay_alu instid0(VALU_DEP_2) | instskip(SKIP_1) | instid1(VALU_DEP_3)
	v_lshlrev_b32_e32 v2, 20, v14
	v_lshl_add_u32 v0, v0, 23, 0x3c000000
	v_and_b32_e32 v1, 0x80000000, v1
	s_delay_alu instid0(VALU_DEP_1)
	v_or3_b32 v1, v2, v1, v0
	v_mov_b32_e32 v0, v15
	scratch_store_b64 off, v[0:1], s32 offset:944 ; 8-byte Folded Spill
.LBB268_721:                            ;   in Loop: Header=BB268_16 Depth=1
	s_or_b32 exec_lo, exec_lo, s2
.LBB268_722:                            ;   in Loop: Header=BB268_16 Depth=1
	s_delay_alu instid0(SALU_CYCLE_1)
	s_or_b32 exec_lo, exec_lo, s24
.LBB268_723:                            ;   in Loop: Header=BB268_16 Depth=1
	s_delay_alu instid0(SALU_CYCLE_1)
	s_or_b32 exec_lo, exec_lo, s23
	flat_load_b32 v2, v[142:143] offset:2568
	v_mov_b32_e32 v3, 0
	v_mov_b32_e32 v4, 0
	s_mov_b32 s2, exec_lo
	s_clause 0x1
	scratch_store_b64 off, v[3:4], s32 offset:960
	scratch_store_b64 off, v[3:4], s32 offset:968
	s_waitcnt vmcnt(0) lgkmcnt(0)
	v_and_b32_e32 v0, 0xff, v2
	s_delay_alu instid0(VALU_DEP_1)
	v_cmpx_ne_u16_e32 0, v0
	s_cbranch_execz .LBB268_731
; %bb.724:                              ;   in Loop: Header=BB268_16 Depth=1
	v_cmp_ne_u16_e64 s1, 0x80, v0
	v_bfrev_b32_e32 v0, 1
	v_mov_b32_e32 v1, 0
	scratch_store_b64 off, v[0:1], s32 offset:968 ; 8-byte Folded Spill
	s_and_saveexec_b32 s23, s1
	s_cbranch_execz .LBB268_730
; %bb.725:                              ;   in Loop: Header=BB268_16 Depth=1
	v_mov_b32_e32 v3, 0x7f800001
	v_dual_mov_b32 v4, 0 :: v_dual_and_b32 v1, 0x7f, v2
	s_mov_b32 s24, exec_lo
	scratch_store_b64 off, v[3:4], s32 offset:968 ; 8-byte Folded Spill
	v_cmpx_ne_u32_e32 0x7f, v1
	s_cbranch_execz .LBB268_729
; %bb.726:                              ;   in Loop: Header=BB268_16 Depth=1
	v_and_b32_e32 v14, 7, v2
	v_lshrrev_b32_e32 v0, 3, v1
	s_mov_b32 s25, exec_lo
	v_cmpx_gt_u32_e32 8, v1
; %bb.727:                              ;   in Loop: Header=BB268_16 Depth=1
	s_delay_alu instid0(VALU_DEP_3) | instskip(NEXT) | instid1(VALU_DEP_1)
	v_clz_i32_u32_e32 v0, v14
	v_min_u32_e32 v0, 32, v0
	s_delay_alu instid0(VALU_DEP_1) | instskip(SKIP_1) | instid1(VALU_DEP_2)
	v_subrev_nc_u32_e32 v1, 28, v0
	v_sub_nc_u32_e32 v0, 29, v0
	v_lshlrev_b64 v[3:4], v1, v[14:15]
	s_delay_alu instid0(VALU_DEP_1)
	v_and_b32_e32 v14, 7, v3
; %bb.728:                              ;   in Loop: Header=BB268_16 Depth=1
	s_or_b32 exec_lo, exec_lo, s25
	v_lshlrev_b32_e32 v1, 24, v2
	s_delay_alu instid0(VALU_DEP_2) | instskip(SKIP_1) | instid1(VALU_DEP_3)
	v_lshlrev_b32_e32 v3, 20, v14
	v_lshl_add_u32 v0, v0, 23, 0x3c000000
	v_and_b32_e32 v1, 0x80000000, v1
	s_delay_alu instid0(VALU_DEP_1)
	v_or3_b32 v14, v3, v1, v0
	scratch_store_b64 off, v[14:15], s32 offset:968 ; 8-byte Folded Spill
.LBB268_729:                            ;   in Loop: Header=BB268_16 Depth=1
	s_or_b32 exec_lo, exec_lo, s24
.LBB268_730:                            ;   in Loop: Header=BB268_16 Depth=1
	s_delay_alu instid0(SALU_CYCLE_1)
	s_or_b32 exec_lo, exec_lo, s23
.LBB268_731:                            ;   in Loop: Header=BB268_16 Depth=1
	s_delay_alu instid0(SALU_CYCLE_1) | instskip(SKIP_2) | instid1(VALU_DEP_1)
	s_or_b32 exec_lo, exec_lo, s2
	v_lshrrev_b16 v0, 8, v2
	s_mov_b32 s23, exec_lo
	v_cmpx_ne_u16_e32 0, v0
	s_cbranch_execz .LBB268_739
; %bb.732:                              ;   in Loop: Header=BB268_16 Depth=1
	v_dual_mov_b32 v3, s8 :: v_dual_mov_b32 v4, s9
	s_mov_b32 s24, exec_lo
	scratch_store_b64 off, v[3:4], s32 offset:960 ; 8-byte Folded Spill
	v_cmpx_ne_u16_e32 0x80, v0
	s_cbranch_execz .LBB268_738
; %bb.733:                              ;   in Loop: Header=BB268_16 Depth=1
	s_mov_b32 s2, s8
	v_and_b32_e32 v0, 0xffff, v0
	v_dual_mov_b32 v4, s3 :: v_dual_mov_b32 v3, s2
	s_mov_b32 s2, exec_lo
	s_delay_alu instid0(VALU_DEP_2)
	v_and_b32_e32 v1, 0x7f, v0
	scratch_store_b64 off, v[3:4], s32 offset:960 ; 8-byte Folded Spill
	v_cmpx_ne_u32_e32 0x7f, v1
	s_cbranch_execz .LBB268_737
; %bb.734:                              ;   in Loop: Header=BB268_16 Depth=1
	v_and_b32_e32 v14, 7, v0
	v_lshrrev_b32_e32 v0, 3, v1
	s_mov_b32 s25, exec_lo
	v_cmpx_gt_u32_e32 8, v1
; %bb.735:                              ;   in Loop: Header=BB268_16 Depth=1
	s_delay_alu instid0(VALU_DEP_3) | instskip(NEXT) | instid1(VALU_DEP_1)
	v_clz_i32_u32_e32 v0, v14
	v_min_u32_e32 v0, 32, v0
	s_delay_alu instid0(VALU_DEP_1) | instskip(SKIP_1) | instid1(VALU_DEP_2)
	v_subrev_nc_u32_e32 v1, 28, v0
	v_sub_nc_u32_e32 v0, 29, v0
	v_lshlrev_b64 v[3:4], v1, v[14:15]
	s_delay_alu instid0(VALU_DEP_1)
	v_and_b32_e32 v14, 7, v3
; %bb.736:                              ;   in Loop: Header=BB268_16 Depth=1
	s_or_b32 exec_lo, exec_lo, s25
	v_lshlrev_b32_e32 v1, 16, v2
	s_delay_alu instid0(VALU_DEP_2) | instskip(SKIP_1) | instid1(VALU_DEP_3)
	v_lshlrev_b32_e32 v3, 20, v14
	v_lshl_add_u32 v0, v0, 23, 0x3c000000
	v_and_b32_e32 v1, 0x80000000, v1
	s_delay_alu instid0(VALU_DEP_1)
	v_or3_b32 v1, v3, v1, v0
	v_mov_b32_e32 v0, v15
	scratch_store_b64 off, v[0:1], s32 offset:960 ; 8-byte Folded Spill
.LBB268_737:                            ;   in Loop: Header=BB268_16 Depth=1
	s_or_b32 exec_lo, exec_lo, s2
.LBB268_738:                            ;   in Loop: Header=BB268_16 Depth=1
	s_delay_alu instid0(SALU_CYCLE_1)
	s_or_b32 exec_lo, exec_lo, s24
.LBB268_739:                            ;   in Loop: Header=BB268_16 Depth=1
	s_delay_alu instid0(SALU_CYCLE_1) | instskip(SKIP_4) | instid1(VALU_DEP_3)
	s_or_b32 exec_lo, exec_lo, s23
	v_lshrrev_b32_e32 v3, 16, v2
	v_mov_b32_e32 v4, 0
	v_mov_b32_e32 v5, 0
	s_mov_b32 s2, exec_lo
	v_and_b32_e32 v0, 0xff, v3
	s_clause 0x1
	scratch_store_b64 off, v[4:5], s32 offset:976
	scratch_store_b64 off, v[4:5], s32 offset:984
	v_cmpx_ne_u16_e32 0, v0
	s_cbranch_execz .LBB268_747
; %bb.740:                              ;   in Loop: Header=BB268_16 Depth=1
	v_cmp_ne_u16_e64 s1, 0x80, v0
	v_bfrev_b32_e32 v0, 1
	v_mov_b32_e32 v1, 0
	scratch_store_b64 off, v[0:1], s32 offset:984 ; 8-byte Folded Spill
	s_and_saveexec_b32 s23, s1
	s_cbranch_execz .LBB268_746
; %bb.741:                              ;   in Loop: Header=BB268_16 Depth=1
	v_mov_b32_e32 v4, 0x7f800001
	v_bfe_u32 v1, v2, 16, 7
	v_mov_b32_e32 v5, 0
	s_mov_b32 s24, exec_lo
	scratch_store_b64 off, v[4:5], s32 offset:984 ; 8-byte Folded Spill
	v_cmpx_ne_u32_e32 0x7f, v1
	s_cbranch_execz .LBB268_745
; %bb.742:                              ;   in Loop: Header=BB268_16 Depth=1
	v_and_b32_e32 v14, 7, v3
	v_lshrrev_b32_e32 v0, 3, v1
	s_mov_b32 s25, exec_lo
	v_cmpx_gt_u32_e32 8, v1
; %bb.743:                              ;   in Loop: Header=BB268_16 Depth=1
	s_delay_alu instid0(VALU_DEP_3) | instskip(NEXT) | instid1(VALU_DEP_1)
	v_clz_i32_u32_e32 v0, v14
	v_min_u32_e32 v0, 32, v0
	s_delay_alu instid0(VALU_DEP_1) | instskip(SKIP_1) | instid1(VALU_DEP_2)
	v_subrev_nc_u32_e32 v1, 28, v0
	v_sub_nc_u32_e32 v0, 29, v0
	v_lshlrev_b64 v[4:5], v1, v[14:15]
	s_delay_alu instid0(VALU_DEP_1)
	v_and_b32_e32 v14, 7, v4
; %bb.744:                              ;   in Loop: Header=BB268_16 Depth=1
	s_or_b32 exec_lo, exec_lo, s25
	v_lshlrev_b32_e32 v1, 24, v3
	s_delay_alu instid0(VALU_DEP_2) | instskip(SKIP_1) | instid1(VALU_DEP_3)
	v_lshlrev_b32_e32 v3, 20, v14
	v_lshl_add_u32 v0, v0, 23, 0x3c000000
	v_and_b32_e32 v1, 0x80000000, v1
	s_delay_alu instid0(VALU_DEP_1)
	v_or3_b32 v14, v3, v1, v0
	scratch_store_b64 off, v[14:15], s32 offset:984 ; 8-byte Folded Spill
.LBB268_745:                            ;   in Loop: Header=BB268_16 Depth=1
	s_or_b32 exec_lo, exec_lo, s24
.LBB268_746:                            ;   in Loop: Header=BB268_16 Depth=1
	s_delay_alu instid0(SALU_CYCLE_1)
	s_or_b32 exec_lo, exec_lo, s23
.LBB268_747:                            ;   in Loop: Header=BB268_16 Depth=1
	s_delay_alu instid0(SALU_CYCLE_1) | instskip(NEXT) | instid1(SALU_CYCLE_1)
	s_or_b32 exec_lo, exec_lo, s2
	s_mov_b32 s23, exec_lo
	v_cmpx_lt_u32_e32 0xffffff, v2
	s_cbranch_execz .LBB268_755
; %bb.748:                              ;   in Loop: Header=BB268_16 Depth=1
	v_lshrrev_b32_e32 v0, 24, v2
	v_dual_mov_b32 v3, s8 :: v_dual_mov_b32 v4, s9
	s_mov_b32 s24, exec_lo
	scratch_store_b64 off, v[3:4], s32 offset:976 ; 8-byte Folded Spill
	v_cmpx_ne_u32_e32 0x80, v0
	s_cbranch_execz .LBB268_754
; %bb.749:                              ;   in Loop: Header=BB268_16 Depth=1
	s_mov_b32 s2, s8
	v_bfe_u32 v2, v2, 24, 7
	v_dual_mov_b32 v4, s3 :: v_dual_mov_b32 v3, s2
	s_mov_b32 s2, exec_lo
	scratch_store_b64 off, v[3:4], s32 offset:976 ; 8-byte Folded Spill
	v_cmpx_ne_u32_e32 0x7f, v2
	s_cbranch_execz .LBB268_753
; %bb.750:                              ;   in Loop: Header=BB268_16 Depth=1
	v_and_b32_e32 v14, 7, v0
	v_lshrrev_b32_e32 v1, 3, v2
	s_mov_b32 s25, exec_lo
	v_cmpx_gt_u32_e32 8, v2
; %bb.751:                              ;   in Loop: Header=BB268_16 Depth=1
	s_delay_alu instid0(VALU_DEP_3) | instskip(NEXT) | instid1(VALU_DEP_1)
	v_clz_i32_u32_e32 v1, v14
	v_min_u32_e32 v1, 32, v1
	s_delay_alu instid0(VALU_DEP_1) | instskip(SKIP_1) | instid1(VALU_DEP_2)
	v_subrev_nc_u32_e32 v2, 28, v1
	v_sub_nc_u32_e32 v1, 29, v1
	v_lshlrev_b64 v[2:3], v2, v[14:15]
	s_delay_alu instid0(VALU_DEP_1)
	v_and_b32_e32 v14, 7, v2
; %bb.752:                              ;   in Loop: Header=BB268_16 Depth=1
	s_or_b32 exec_lo, exec_lo, s25
	v_lshlrev_b32_e32 v0, 24, v0
	s_delay_alu instid0(VALU_DEP_2) | instskip(SKIP_1) | instid1(VALU_DEP_3)
	v_lshlrev_b32_e32 v2, 20, v14
	v_lshl_add_u32 v1, v1, 23, 0x3c000000
	v_and_b32_e32 v0, 0x80000000, v0
	s_delay_alu instid0(VALU_DEP_1)
	v_or3_b32 v1, v2, v0, v1
	v_mov_b32_e32 v0, v15
	scratch_store_b64 off, v[0:1], s32 offset:976 ; 8-byte Folded Spill
.LBB268_753:                            ;   in Loop: Header=BB268_16 Depth=1
	s_or_b32 exec_lo, exec_lo, s2
.LBB268_754:                            ;   in Loop: Header=BB268_16 Depth=1
	s_delay_alu instid0(SALU_CYCLE_1)
	s_or_b32 exec_lo, exec_lo, s24
.LBB268_755:                            ;   in Loop: Header=BB268_16 Depth=1
	s_delay_alu instid0(SALU_CYCLE_1)
	s_or_b32 exec_lo, exec_lo, s23
	flat_load_b32 v2, v[142:143] offset:2572
	v_mov_b32_e32 v3, 0
	v_mov_b32_e32 v4, 0
	s_mov_b32 s2, exec_lo
	s_clause 0x1
	scratch_store_b64 off, v[3:4], s32 offset:992
	scratch_store_b64 off, v[3:4], s32 offset:1000
	s_waitcnt vmcnt(0) lgkmcnt(0)
	v_and_b32_e32 v0, 0xff, v2
	s_delay_alu instid0(VALU_DEP_1)
	v_cmpx_ne_u16_e32 0, v0
	s_cbranch_execz .LBB268_763
; %bb.756:                              ;   in Loop: Header=BB268_16 Depth=1
	v_cmp_ne_u16_e64 s1, 0x80, v0
	v_bfrev_b32_e32 v0, 1
	v_mov_b32_e32 v1, 0
	scratch_store_b64 off, v[0:1], s32 offset:1000 ; 8-byte Folded Spill
	s_and_saveexec_b32 s23, s1
	s_cbranch_execz .LBB268_762
; %bb.757:                              ;   in Loop: Header=BB268_16 Depth=1
	v_mov_b32_e32 v3, 0x7f800001
	v_dual_mov_b32 v4, 0 :: v_dual_and_b32 v1, 0x7f, v2
	s_mov_b32 s24, exec_lo
	scratch_store_b64 off, v[3:4], s32 offset:1000 ; 8-byte Folded Spill
	v_cmpx_ne_u32_e32 0x7f, v1
	s_cbranch_execz .LBB268_761
; %bb.758:                              ;   in Loop: Header=BB268_16 Depth=1
	v_and_b32_e32 v14, 7, v2
	v_lshrrev_b32_e32 v0, 3, v1
	s_mov_b32 s25, exec_lo
	v_cmpx_gt_u32_e32 8, v1
; %bb.759:                              ;   in Loop: Header=BB268_16 Depth=1
	s_delay_alu instid0(VALU_DEP_3) | instskip(NEXT) | instid1(VALU_DEP_1)
	v_clz_i32_u32_e32 v0, v14
	v_min_u32_e32 v0, 32, v0
	s_delay_alu instid0(VALU_DEP_1) | instskip(SKIP_1) | instid1(VALU_DEP_2)
	v_subrev_nc_u32_e32 v1, 28, v0
	v_sub_nc_u32_e32 v0, 29, v0
	v_lshlrev_b64 v[3:4], v1, v[14:15]
	s_delay_alu instid0(VALU_DEP_1)
	v_and_b32_e32 v14, 7, v3
; %bb.760:                              ;   in Loop: Header=BB268_16 Depth=1
	s_or_b32 exec_lo, exec_lo, s25
	v_lshlrev_b32_e32 v1, 24, v2
	s_delay_alu instid0(VALU_DEP_2) | instskip(SKIP_1) | instid1(VALU_DEP_3)
	v_lshlrev_b32_e32 v3, 20, v14
	v_lshl_add_u32 v0, v0, 23, 0x3c000000
	v_and_b32_e32 v1, 0x80000000, v1
	s_delay_alu instid0(VALU_DEP_1)
	v_or3_b32 v14, v3, v1, v0
	scratch_store_b64 off, v[14:15], s32 offset:1000 ; 8-byte Folded Spill
.LBB268_761:                            ;   in Loop: Header=BB268_16 Depth=1
	s_or_b32 exec_lo, exec_lo, s24
.LBB268_762:                            ;   in Loop: Header=BB268_16 Depth=1
	s_delay_alu instid0(SALU_CYCLE_1)
	s_or_b32 exec_lo, exec_lo, s23
.LBB268_763:                            ;   in Loop: Header=BB268_16 Depth=1
	s_delay_alu instid0(SALU_CYCLE_1) | instskip(SKIP_2) | instid1(VALU_DEP_1)
	s_or_b32 exec_lo, exec_lo, s2
	v_lshrrev_b16 v0, 8, v2
	s_mov_b32 s23, exec_lo
	v_cmpx_ne_u16_e32 0, v0
	s_cbranch_execz .LBB268_771
; %bb.764:                              ;   in Loop: Header=BB268_16 Depth=1
	v_dual_mov_b32 v3, s8 :: v_dual_mov_b32 v4, s9
	s_mov_b32 s24, exec_lo
	scratch_store_b64 off, v[3:4], s32 offset:992 ; 8-byte Folded Spill
	v_cmpx_ne_u16_e32 0x80, v0
	s_cbranch_execz .LBB268_770
; %bb.765:                              ;   in Loop: Header=BB268_16 Depth=1
	s_mov_b32 s2, s8
	v_and_b32_e32 v0, 0xffff, v0
	v_dual_mov_b32 v4, s3 :: v_dual_mov_b32 v3, s2
	s_mov_b32 s2, exec_lo
	s_delay_alu instid0(VALU_DEP_2)
	v_and_b32_e32 v1, 0x7f, v0
	scratch_store_b64 off, v[3:4], s32 offset:992 ; 8-byte Folded Spill
	v_cmpx_ne_u32_e32 0x7f, v1
	s_cbranch_execz .LBB268_769
; %bb.766:                              ;   in Loop: Header=BB268_16 Depth=1
	v_and_b32_e32 v14, 7, v0
	v_lshrrev_b32_e32 v0, 3, v1
	s_mov_b32 s25, exec_lo
	v_cmpx_gt_u32_e32 8, v1
; %bb.767:                              ;   in Loop: Header=BB268_16 Depth=1
	s_delay_alu instid0(VALU_DEP_3) | instskip(NEXT) | instid1(VALU_DEP_1)
	v_clz_i32_u32_e32 v0, v14
	v_min_u32_e32 v0, 32, v0
	s_delay_alu instid0(VALU_DEP_1) | instskip(SKIP_1) | instid1(VALU_DEP_2)
	v_subrev_nc_u32_e32 v1, 28, v0
	v_sub_nc_u32_e32 v0, 29, v0
	v_lshlrev_b64 v[3:4], v1, v[14:15]
	s_delay_alu instid0(VALU_DEP_1)
	v_and_b32_e32 v14, 7, v3
; %bb.768:                              ;   in Loop: Header=BB268_16 Depth=1
	s_or_b32 exec_lo, exec_lo, s25
	v_lshlrev_b32_e32 v1, 16, v2
	s_delay_alu instid0(VALU_DEP_2) | instskip(SKIP_1) | instid1(VALU_DEP_3)
	v_lshlrev_b32_e32 v3, 20, v14
	v_lshl_add_u32 v0, v0, 23, 0x3c000000
	v_and_b32_e32 v1, 0x80000000, v1
	s_delay_alu instid0(VALU_DEP_1)
	v_or3_b32 v1, v3, v1, v0
	v_mov_b32_e32 v0, v15
	scratch_store_b64 off, v[0:1], s32 offset:992 ; 8-byte Folded Spill
.LBB268_769:                            ;   in Loop: Header=BB268_16 Depth=1
	s_or_b32 exec_lo, exec_lo, s2
.LBB268_770:                            ;   in Loop: Header=BB268_16 Depth=1
	s_delay_alu instid0(SALU_CYCLE_1)
	s_or_b32 exec_lo, exec_lo, s24
.LBB268_771:                            ;   in Loop: Header=BB268_16 Depth=1
	s_delay_alu instid0(SALU_CYCLE_1) | instskip(SKIP_4) | instid1(VALU_DEP_3)
	s_or_b32 exec_lo, exec_lo, s23
	v_lshrrev_b32_e32 v3, 16, v2
	v_mov_b32_e32 v4, 0
	v_mov_b32_e32 v5, 0
	s_mov_b32 s2, exec_lo
	v_and_b32_e32 v0, 0xff, v3
	s_clause 0x1
	scratch_store_b64 off, v[4:5], s32 offset:1008
	scratch_store_b64 off, v[4:5], s32 offset:1016
	v_cmpx_ne_u16_e32 0, v0
	s_cbranch_execz .LBB268_779
; %bb.772:                              ;   in Loop: Header=BB268_16 Depth=1
	v_cmp_ne_u16_e64 s1, 0x80, v0
	v_bfrev_b32_e32 v0, 1
	v_mov_b32_e32 v1, 0
	scratch_store_b64 off, v[0:1], s32 offset:1016 ; 8-byte Folded Spill
	s_and_saveexec_b32 s23, s1
	s_cbranch_execz .LBB268_778
; %bb.773:                              ;   in Loop: Header=BB268_16 Depth=1
	v_mov_b32_e32 v4, 0x7f800001
	v_bfe_u32 v1, v2, 16, 7
	v_mov_b32_e32 v5, 0
	s_mov_b32 s24, exec_lo
	scratch_store_b64 off, v[4:5], s32 offset:1016 ; 8-byte Folded Spill
	v_cmpx_ne_u32_e32 0x7f, v1
	s_cbranch_execz .LBB268_777
; %bb.774:                              ;   in Loop: Header=BB268_16 Depth=1
	v_and_b32_e32 v14, 7, v3
	v_lshrrev_b32_e32 v0, 3, v1
	s_mov_b32 s25, exec_lo
	v_cmpx_gt_u32_e32 8, v1
; %bb.775:                              ;   in Loop: Header=BB268_16 Depth=1
	s_delay_alu instid0(VALU_DEP_3) | instskip(NEXT) | instid1(VALU_DEP_1)
	v_clz_i32_u32_e32 v0, v14
	v_min_u32_e32 v0, 32, v0
	s_delay_alu instid0(VALU_DEP_1) | instskip(SKIP_1) | instid1(VALU_DEP_2)
	v_subrev_nc_u32_e32 v1, 28, v0
	v_sub_nc_u32_e32 v0, 29, v0
	v_lshlrev_b64 v[4:5], v1, v[14:15]
	s_delay_alu instid0(VALU_DEP_1)
	v_and_b32_e32 v14, 7, v4
; %bb.776:                              ;   in Loop: Header=BB268_16 Depth=1
	s_or_b32 exec_lo, exec_lo, s25
	v_lshlrev_b32_e32 v1, 24, v3
	s_delay_alu instid0(VALU_DEP_2) | instskip(SKIP_1) | instid1(VALU_DEP_3)
	v_lshlrev_b32_e32 v3, 20, v14
	v_lshl_add_u32 v0, v0, 23, 0x3c000000
	v_and_b32_e32 v1, 0x80000000, v1
	s_delay_alu instid0(VALU_DEP_1)
	v_or3_b32 v14, v3, v1, v0
	scratch_store_b64 off, v[14:15], s32 offset:1016 ; 8-byte Folded Spill
.LBB268_777:                            ;   in Loop: Header=BB268_16 Depth=1
	s_or_b32 exec_lo, exec_lo, s24
.LBB268_778:                            ;   in Loop: Header=BB268_16 Depth=1
	s_delay_alu instid0(SALU_CYCLE_1)
	s_or_b32 exec_lo, exec_lo, s23
.LBB268_779:                            ;   in Loop: Header=BB268_16 Depth=1
	s_delay_alu instid0(SALU_CYCLE_1) | instskip(NEXT) | instid1(SALU_CYCLE_1)
	s_or_b32 exec_lo, exec_lo, s2
	s_mov_b32 s23, exec_lo
	v_cmpx_lt_u32_e32 0xffffff, v2
	s_cbranch_execz .LBB268_787
; %bb.780:                              ;   in Loop: Header=BB268_16 Depth=1
	v_lshrrev_b32_e32 v0, 24, v2
	v_dual_mov_b32 v3, s8 :: v_dual_mov_b32 v4, s9
	s_mov_b32 s24, exec_lo
	scratch_store_b64 off, v[3:4], s32 offset:1008 ; 8-byte Folded Spill
	v_cmpx_ne_u32_e32 0x80, v0
	s_cbranch_execz .LBB268_786
; %bb.781:                              ;   in Loop: Header=BB268_16 Depth=1
	s_mov_b32 s2, s8
	v_bfe_u32 v2, v2, 24, 7
	v_dual_mov_b32 v4, s3 :: v_dual_mov_b32 v3, s2
	s_mov_b32 s2, exec_lo
	scratch_store_b64 off, v[3:4], s32 offset:1008 ; 8-byte Folded Spill
	v_cmpx_ne_u32_e32 0x7f, v2
	s_cbranch_execz .LBB268_785
; %bb.782:                              ;   in Loop: Header=BB268_16 Depth=1
	v_and_b32_e32 v14, 7, v0
	v_lshrrev_b32_e32 v1, 3, v2
	s_mov_b32 s25, exec_lo
	v_cmpx_gt_u32_e32 8, v2
; %bb.783:                              ;   in Loop: Header=BB268_16 Depth=1
	s_delay_alu instid0(VALU_DEP_3) | instskip(NEXT) | instid1(VALU_DEP_1)
	v_clz_i32_u32_e32 v1, v14
	v_min_u32_e32 v1, 32, v1
	s_delay_alu instid0(VALU_DEP_1) | instskip(SKIP_1) | instid1(VALU_DEP_2)
	v_subrev_nc_u32_e32 v2, 28, v1
	v_sub_nc_u32_e32 v1, 29, v1
	v_lshlrev_b64 v[2:3], v2, v[14:15]
	s_delay_alu instid0(VALU_DEP_1)
	v_and_b32_e32 v14, 7, v2
; %bb.784:                              ;   in Loop: Header=BB268_16 Depth=1
	s_or_b32 exec_lo, exec_lo, s25
	v_lshlrev_b32_e32 v0, 24, v0
	s_delay_alu instid0(VALU_DEP_2) | instskip(SKIP_1) | instid1(VALU_DEP_3)
	v_lshlrev_b32_e32 v2, 20, v14
	v_lshl_add_u32 v1, v1, 23, 0x3c000000
	v_and_b32_e32 v0, 0x80000000, v0
	s_delay_alu instid0(VALU_DEP_1)
	v_or3_b32 v1, v2, v0, v1
	v_mov_b32_e32 v0, v15
	scratch_store_b64 off, v[0:1], s32 offset:1008 ; 8-byte Folded Spill
.LBB268_785:                            ;   in Loop: Header=BB268_16 Depth=1
	s_or_b32 exec_lo, exec_lo, s2
.LBB268_786:                            ;   in Loop: Header=BB268_16 Depth=1
	s_delay_alu instid0(SALU_CYCLE_1)
	s_or_b32 exec_lo, exec_lo, s24
.LBB268_787:                            ;   in Loop: Header=BB268_16 Depth=1
	s_delay_alu instid0(SALU_CYCLE_1)
	s_or_b32 exec_lo, exec_lo, s23
	flat_load_b32 v2, v[142:143] offset:3072
	v_mov_b32_e32 v3, 0
	v_mov_b32_e32 v4, 0
	s_mov_b32 s2, exec_lo
	s_clause 0x1
	scratch_store_b64 off, v[3:4], s32 offset:1024
	scratch_store_b64 off, v[3:4], s32 offset:1032
	s_waitcnt vmcnt(0) lgkmcnt(0)
	v_and_b32_e32 v0, 0xff, v2
	s_delay_alu instid0(VALU_DEP_1)
	v_cmpx_ne_u16_e32 0, v0
	s_cbranch_execz .LBB268_795
; %bb.788:                              ;   in Loop: Header=BB268_16 Depth=1
	v_cmp_ne_u16_e64 s1, 0x80, v0
	v_bfrev_b32_e32 v0, 1
	v_mov_b32_e32 v1, 0
	scratch_store_b64 off, v[0:1], s32 offset:1032 ; 8-byte Folded Spill
	s_and_saveexec_b32 s23, s1
	s_cbranch_execz .LBB268_794
; %bb.789:                              ;   in Loop: Header=BB268_16 Depth=1
	v_mov_b32_e32 v3, 0x7f800001
	v_dual_mov_b32 v4, 0 :: v_dual_and_b32 v1, 0x7f, v2
	s_mov_b32 s24, exec_lo
	scratch_store_b64 off, v[3:4], s32 offset:1032 ; 8-byte Folded Spill
	v_cmpx_ne_u32_e32 0x7f, v1
	s_cbranch_execz .LBB268_793
; %bb.790:                              ;   in Loop: Header=BB268_16 Depth=1
	v_and_b32_e32 v14, 7, v2
	v_lshrrev_b32_e32 v0, 3, v1
	s_mov_b32 s25, exec_lo
	v_cmpx_gt_u32_e32 8, v1
; %bb.791:                              ;   in Loop: Header=BB268_16 Depth=1
	s_delay_alu instid0(VALU_DEP_3) | instskip(NEXT) | instid1(VALU_DEP_1)
	v_clz_i32_u32_e32 v0, v14
	v_min_u32_e32 v0, 32, v0
	s_delay_alu instid0(VALU_DEP_1) | instskip(SKIP_1) | instid1(VALU_DEP_2)
	v_subrev_nc_u32_e32 v1, 28, v0
	v_sub_nc_u32_e32 v0, 29, v0
	v_lshlrev_b64 v[3:4], v1, v[14:15]
	s_delay_alu instid0(VALU_DEP_1)
	v_and_b32_e32 v14, 7, v3
; %bb.792:                              ;   in Loop: Header=BB268_16 Depth=1
	s_or_b32 exec_lo, exec_lo, s25
	v_lshlrev_b32_e32 v1, 24, v2
	s_delay_alu instid0(VALU_DEP_2) | instskip(SKIP_1) | instid1(VALU_DEP_3)
	v_lshlrev_b32_e32 v3, 20, v14
	v_lshl_add_u32 v0, v0, 23, 0x3c000000
	v_and_b32_e32 v1, 0x80000000, v1
	s_delay_alu instid0(VALU_DEP_1)
	v_or3_b32 v14, v3, v1, v0
	scratch_store_b64 off, v[14:15], s32 offset:1032 ; 8-byte Folded Spill
.LBB268_793:                            ;   in Loop: Header=BB268_16 Depth=1
	s_or_b32 exec_lo, exec_lo, s24
.LBB268_794:                            ;   in Loop: Header=BB268_16 Depth=1
	s_delay_alu instid0(SALU_CYCLE_1)
	s_or_b32 exec_lo, exec_lo, s23
.LBB268_795:                            ;   in Loop: Header=BB268_16 Depth=1
	s_delay_alu instid0(SALU_CYCLE_1) | instskip(SKIP_2) | instid1(VALU_DEP_1)
	s_or_b32 exec_lo, exec_lo, s2
	v_lshrrev_b16 v0, 8, v2
	s_mov_b32 s23, exec_lo
	v_cmpx_ne_u16_e32 0, v0
	s_cbranch_execz .LBB268_803
; %bb.796:                              ;   in Loop: Header=BB268_16 Depth=1
	v_dual_mov_b32 v3, s8 :: v_dual_mov_b32 v4, s9
	s_mov_b32 s24, exec_lo
	scratch_store_b64 off, v[3:4], s32 offset:1024 ; 8-byte Folded Spill
	v_cmpx_ne_u16_e32 0x80, v0
	s_cbranch_execz .LBB268_802
; %bb.797:                              ;   in Loop: Header=BB268_16 Depth=1
	s_mov_b32 s2, s8
	v_and_b32_e32 v0, 0xffff, v0
	v_dual_mov_b32 v4, s3 :: v_dual_mov_b32 v3, s2
	s_mov_b32 s2, exec_lo
	s_delay_alu instid0(VALU_DEP_2)
	v_and_b32_e32 v1, 0x7f, v0
	scratch_store_b64 off, v[3:4], s32 offset:1024 ; 8-byte Folded Spill
	v_cmpx_ne_u32_e32 0x7f, v1
	s_cbranch_execz .LBB268_801
; %bb.798:                              ;   in Loop: Header=BB268_16 Depth=1
	v_and_b32_e32 v14, 7, v0
	v_lshrrev_b32_e32 v0, 3, v1
	s_mov_b32 s25, exec_lo
	v_cmpx_gt_u32_e32 8, v1
; %bb.799:                              ;   in Loop: Header=BB268_16 Depth=1
	s_delay_alu instid0(VALU_DEP_3) | instskip(NEXT) | instid1(VALU_DEP_1)
	v_clz_i32_u32_e32 v0, v14
	v_min_u32_e32 v0, 32, v0
	s_delay_alu instid0(VALU_DEP_1) | instskip(SKIP_1) | instid1(VALU_DEP_2)
	v_subrev_nc_u32_e32 v1, 28, v0
	v_sub_nc_u32_e32 v0, 29, v0
	v_lshlrev_b64 v[3:4], v1, v[14:15]
	s_delay_alu instid0(VALU_DEP_1)
	v_and_b32_e32 v14, 7, v3
; %bb.800:                              ;   in Loop: Header=BB268_16 Depth=1
	s_or_b32 exec_lo, exec_lo, s25
	v_lshlrev_b32_e32 v1, 16, v2
	s_delay_alu instid0(VALU_DEP_2) | instskip(SKIP_1) | instid1(VALU_DEP_3)
	v_lshlrev_b32_e32 v3, 20, v14
	v_lshl_add_u32 v0, v0, 23, 0x3c000000
	v_and_b32_e32 v1, 0x80000000, v1
	s_delay_alu instid0(VALU_DEP_1)
	v_or3_b32 v1, v3, v1, v0
	v_mov_b32_e32 v0, v15
	scratch_store_b64 off, v[0:1], s32 offset:1024 ; 8-byte Folded Spill
.LBB268_801:                            ;   in Loop: Header=BB268_16 Depth=1
	s_or_b32 exec_lo, exec_lo, s2
.LBB268_802:                            ;   in Loop: Header=BB268_16 Depth=1
	s_delay_alu instid0(SALU_CYCLE_1)
	s_or_b32 exec_lo, exec_lo, s24
.LBB268_803:                            ;   in Loop: Header=BB268_16 Depth=1
	s_delay_alu instid0(SALU_CYCLE_1) | instskip(SKIP_4) | instid1(VALU_DEP_3)
	s_or_b32 exec_lo, exec_lo, s23
	v_lshrrev_b32_e32 v3, 16, v2
	v_mov_b32_e32 v4, 0
	v_mov_b32_e32 v5, 0
	s_mov_b32 s2, exec_lo
	v_and_b32_e32 v0, 0xff, v3
	s_clause 0x1
	scratch_store_b64 off, v[4:5], s32 offset:1040
	scratch_store_b64 off, v[4:5], s32 offset:1048
	v_cmpx_ne_u16_e32 0, v0
	s_cbranch_execz .LBB268_811
; %bb.804:                              ;   in Loop: Header=BB268_16 Depth=1
	v_cmp_ne_u16_e64 s1, 0x80, v0
	v_bfrev_b32_e32 v0, 1
	v_mov_b32_e32 v1, 0
	scratch_store_b64 off, v[0:1], s32 offset:1048 ; 8-byte Folded Spill
	s_and_saveexec_b32 s23, s1
	s_cbranch_execz .LBB268_810
; %bb.805:                              ;   in Loop: Header=BB268_16 Depth=1
	v_mov_b32_e32 v4, 0x7f800001
	v_bfe_u32 v1, v2, 16, 7
	v_mov_b32_e32 v5, 0
	s_mov_b32 s24, exec_lo
	scratch_store_b64 off, v[4:5], s32 offset:1048 ; 8-byte Folded Spill
	v_cmpx_ne_u32_e32 0x7f, v1
	s_cbranch_execz .LBB268_809
; %bb.806:                              ;   in Loop: Header=BB268_16 Depth=1
	v_and_b32_e32 v14, 7, v3
	v_lshrrev_b32_e32 v0, 3, v1
	s_mov_b32 s25, exec_lo
	v_cmpx_gt_u32_e32 8, v1
; %bb.807:                              ;   in Loop: Header=BB268_16 Depth=1
	s_delay_alu instid0(VALU_DEP_3) | instskip(NEXT) | instid1(VALU_DEP_1)
	v_clz_i32_u32_e32 v0, v14
	v_min_u32_e32 v0, 32, v0
	s_delay_alu instid0(VALU_DEP_1) | instskip(SKIP_1) | instid1(VALU_DEP_2)
	v_subrev_nc_u32_e32 v1, 28, v0
	v_sub_nc_u32_e32 v0, 29, v0
	v_lshlrev_b64 v[4:5], v1, v[14:15]
	s_delay_alu instid0(VALU_DEP_1)
	v_and_b32_e32 v14, 7, v4
; %bb.808:                              ;   in Loop: Header=BB268_16 Depth=1
	s_or_b32 exec_lo, exec_lo, s25
	v_lshlrev_b32_e32 v1, 24, v3
	s_delay_alu instid0(VALU_DEP_2) | instskip(SKIP_1) | instid1(VALU_DEP_3)
	v_lshlrev_b32_e32 v3, 20, v14
	v_lshl_add_u32 v0, v0, 23, 0x3c000000
	v_and_b32_e32 v1, 0x80000000, v1
	s_delay_alu instid0(VALU_DEP_1)
	v_or3_b32 v14, v3, v1, v0
	scratch_store_b64 off, v[14:15], s32 offset:1048 ; 8-byte Folded Spill
.LBB268_809:                            ;   in Loop: Header=BB268_16 Depth=1
	s_or_b32 exec_lo, exec_lo, s24
.LBB268_810:                            ;   in Loop: Header=BB268_16 Depth=1
	s_delay_alu instid0(SALU_CYCLE_1)
	s_or_b32 exec_lo, exec_lo, s23
.LBB268_811:                            ;   in Loop: Header=BB268_16 Depth=1
	s_delay_alu instid0(SALU_CYCLE_1) | instskip(NEXT) | instid1(SALU_CYCLE_1)
	s_or_b32 exec_lo, exec_lo, s2
	s_mov_b32 s23, exec_lo
	v_cmpx_lt_u32_e32 0xffffff, v2
	s_cbranch_execz .LBB268_819
; %bb.812:                              ;   in Loop: Header=BB268_16 Depth=1
	v_lshrrev_b32_e32 v0, 24, v2
	v_dual_mov_b32 v3, s8 :: v_dual_mov_b32 v4, s9
	s_mov_b32 s24, exec_lo
	scratch_store_b64 off, v[3:4], s32 offset:1040 ; 8-byte Folded Spill
	v_cmpx_ne_u32_e32 0x80, v0
	s_cbranch_execz .LBB268_818
; %bb.813:                              ;   in Loop: Header=BB268_16 Depth=1
	s_mov_b32 s2, s8
	v_bfe_u32 v2, v2, 24, 7
	v_dual_mov_b32 v4, s3 :: v_dual_mov_b32 v3, s2
	s_mov_b32 s2, exec_lo
	scratch_store_b64 off, v[3:4], s32 offset:1040 ; 8-byte Folded Spill
	v_cmpx_ne_u32_e32 0x7f, v2
	s_cbranch_execz .LBB268_817
; %bb.814:                              ;   in Loop: Header=BB268_16 Depth=1
	v_and_b32_e32 v14, 7, v0
	v_lshrrev_b32_e32 v1, 3, v2
	s_mov_b32 s25, exec_lo
	v_cmpx_gt_u32_e32 8, v2
; %bb.815:                              ;   in Loop: Header=BB268_16 Depth=1
	s_delay_alu instid0(VALU_DEP_3) | instskip(NEXT) | instid1(VALU_DEP_1)
	v_clz_i32_u32_e32 v1, v14
	v_min_u32_e32 v1, 32, v1
	s_delay_alu instid0(VALU_DEP_1) | instskip(SKIP_1) | instid1(VALU_DEP_2)
	v_subrev_nc_u32_e32 v2, 28, v1
	v_sub_nc_u32_e32 v1, 29, v1
	v_lshlrev_b64 v[2:3], v2, v[14:15]
	s_delay_alu instid0(VALU_DEP_1)
	v_and_b32_e32 v14, 7, v2
; %bb.816:                              ;   in Loop: Header=BB268_16 Depth=1
	s_or_b32 exec_lo, exec_lo, s25
	v_lshlrev_b32_e32 v0, 24, v0
	s_delay_alu instid0(VALU_DEP_2) | instskip(SKIP_1) | instid1(VALU_DEP_3)
	v_lshlrev_b32_e32 v2, 20, v14
	v_lshl_add_u32 v1, v1, 23, 0x3c000000
	v_and_b32_e32 v0, 0x80000000, v0
	s_delay_alu instid0(VALU_DEP_1)
	v_or3_b32 v1, v2, v0, v1
	v_mov_b32_e32 v0, v15
	scratch_store_b64 off, v[0:1], s32 offset:1040 ; 8-byte Folded Spill
.LBB268_817:                            ;   in Loop: Header=BB268_16 Depth=1
	s_or_b32 exec_lo, exec_lo, s2
.LBB268_818:                            ;   in Loop: Header=BB268_16 Depth=1
	s_delay_alu instid0(SALU_CYCLE_1)
	s_or_b32 exec_lo, exec_lo, s24
.LBB268_819:                            ;   in Loop: Header=BB268_16 Depth=1
	s_delay_alu instid0(SALU_CYCLE_1)
	s_or_b32 exec_lo, exec_lo, s23
	flat_load_b32 v2, v[142:143] offset:3076
	v_mov_b32_e32 v3, 0
	v_mov_b32_e32 v4, 0
	s_mov_b32 s2, exec_lo
	s_clause 0x1
	scratch_store_b64 off, v[3:4], s32 offset:1056
	scratch_store_b64 off, v[3:4], s32 offset:1064
	s_waitcnt vmcnt(0) lgkmcnt(0)
	v_and_b32_e32 v0, 0xff, v2
	s_delay_alu instid0(VALU_DEP_1)
	v_cmpx_ne_u16_e32 0, v0
	s_cbranch_execz .LBB268_827
; %bb.820:                              ;   in Loop: Header=BB268_16 Depth=1
	v_cmp_ne_u16_e64 s1, 0x80, v0
	v_bfrev_b32_e32 v0, 1
	v_mov_b32_e32 v1, 0
	scratch_store_b64 off, v[0:1], s32 offset:1064 ; 8-byte Folded Spill
	s_and_saveexec_b32 s23, s1
	s_cbranch_execz .LBB268_826
; %bb.821:                              ;   in Loop: Header=BB268_16 Depth=1
	v_mov_b32_e32 v3, 0x7f800001
	v_dual_mov_b32 v4, 0 :: v_dual_and_b32 v1, 0x7f, v2
	s_mov_b32 s24, exec_lo
	scratch_store_b64 off, v[3:4], s32 offset:1064 ; 8-byte Folded Spill
	v_cmpx_ne_u32_e32 0x7f, v1
	s_cbranch_execz .LBB268_825
; %bb.822:                              ;   in Loop: Header=BB268_16 Depth=1
	v_and_b32_e32 v14, 7, v2
	v_lshrrev_b32_e32 v0, 3, v1
	s_mov_b32 s25, exec_lo
	v_cmpx_gt_u32_e32 8, v1
; %bb.823:                              ;   in Loop: Header=BB268_16 Depth=1
	s_delay_alu instid0(VALU_DEP_3) | instskip(NEXT) | instid1(VALU_DEP_1)
	v_clz_i32_u32_e32 v0, v14
	v_min_u32_e32 v0, 32, v0
	s_delay_alu instid0(VALU_DEP_1) | instskip(SKIP_1) | instid1(VALU_DEP_2)
	v_subrev_nc_u32_e32 v1, 28, v0
	v_sub_nc_u32_e32 v0, 29, v0
	v_lshlrev_b64 v[3:4], v1, v[14:15]
	s_delay_alu instid0(VALU_DEP_1)
	v_and_b32_e32 v14, 7, v3
; %bb.824:                              ;   in Loop: Header=BB268_16 Depth=1
	s_or_b32 exec_lo, exec_lo, s25
	v_lshlrev_b32_e32 v1, 24, v2
	s_delay_alu instid0(VALU_DEP_2) | instskip(SKIP_1) | instid1(VALU_DEP_3)
	v_lshlrev_b32_e32 v3, 20, v14
	v_lshl_add_u32 v0, v0, 23, 0x3c000000
	v_and_b32_e32 v1, 0x80000000, v1
	s_delay_alu instid0(VALU_DEP_1)
	v_or3_b32 v14, v3, v1, v0
	scratch_store_b64 off, v[14:15], s32 offset:1064 ; 8-byte Folded Spill
.LBB268_825:                            ;   in Loop: Header=BB268_16 Depth=1
	s_or_b32 exec_lo, exec_lo, s24
.LBB268_826:                            ;   in Loop: Header=BB268_16 Depth=1
	s_delay_alu instid0(SALU_CYCLE_1)
	s_or_b32 exec_lo, exec_lo, s23
.LBB268_827:                            ;   in Loop: Header=BB268_16 Depth=1
	s_delay_alu instid0(SALU_CYCLE_1) | instskip(SKIP_2) | instid1(VALU_DEP_1)
	s_or_b32 exec_lo, exec_lo, s2
	v_lshrrev_b16 v0, 8, v2
	s_mov_b32 s23, exec_lo
	v_cmpx_ne_u16_e32 0, v0
	s_cbranch_execz .LBB268_835
; %bb.828:                              ;   in Loop: Header=BB268_16 Depth=1
	v_dual_mov_b32 v3, s8 :: v_dual_mov_b32 v4, s9
	s_mov_b32 s24, exec_lo
	scratch_store_b64 off, v[3:4], s32 offset:1056 ; 8-byte Folded Spill
	v_cmpx_ne_u16_e32 0x80, v0
	s_cbranch_execz .LBB268_834
; %bb.829:                              ;   in Loop: Header=BB268_16 Depth=1
	s_mov_b32 s2, s8
	v_and_b32_e32 v0, 0xffff, v0
	v_dual_mov_b32 v4, s3 :: v_dual_mov_b32 v3, s2
	s_mov_b32 s2, exec_lo
	s_delay_alu instid0(VALU_DEP_2)
	v_and_b32_e32 v1, 0x7f, v0
	scratch_store_b64 off, v[3:4], s32 offset:1056 ; 8-byte Folded Spill
	v_cmpx_ne_u32_e32 0x7f, v1
	s_cbranch_execz .LBB268_833
; %bb.830:                              ;   in Loop: Header=BB268_16 Depth=1
	v_and_b32_e32 v14, 7, v0
	v_lshrrev_b32_e32 v0, 3, v1
	s_mov_b32 s25, exec_lo
	v_cmpx_gt_u32_e32 8, v1
; %bb.831:                              ;   in Loop: Header=BB268_16 Depth=1
	s_delay_alu instid0(VALU_DEP_3) | instskip(NEXT) | instid1(VALU_DEP_1)
	v_clz_i32_u32_e32 v0, v14
	v_min_u32_e32 v0, 32, v0
	s_delay_alu instid0(VALU_DEP_1) | instskip(SKIP_1) | instid1(VALU_DEP_2)
	v_subrev_nc_u32_e32 v1, 28, v0
	v_sub_nc_u32_e32 v0, 29, v0
	v_lshlrev_b64 v[3:4], v1, v[14:15]
	s_delay_alu instid0(VALU_DEP_1)
	v_and_b32_e32 v14, 7, v3
; %bb.832:                              ;   in Loop: Header=BB268_16 Depth=1
	s_or_b32 exec_lo, exec_lo, s25
	v_lshlrev_b32_e32 v1, 16, v2
	s_delay_alu instid0(VALU_DEP_2) | instskip(SKIP_1) | instid1(VALU_DEP_3)
	v_lshlrev_b32_e32 v3, 20, v14
	v_lshl_add_u32 v0, v0, 23, 0x3c000000
	v_and_b32_e32 v1, 0x80000000, v1
	s_delay_alu instid0(VALU_DEP_1)
	v_or3_b32 v1, v3, v1, v0
	v_mov_b32_e32 v0, v15
	scratch_store_b64 off, v[0:1], s32 offset:1056 ; 8-byte Folded Spill
.LBB268_833:                            ;   in Loop: Header=BB268_16 Depth=1
	s_or_b32 exec_lo, exec_lo, s2
.LBB268_834:                            ;   in Loop: Header=BB268_16 Depth=1
	s_delay_alu instid0(SALU_CYCLE_1)
	s_or_b32 exec_lo, exec_lo, s24
.LBB268_835:                            ;   in Loop: Header=BB268_16 Depth=1
	s_delay_alu instid0(SALU_CYCLE_1) | instskip(SKIP_4) | instid1(VALU_DEP_3)
	s_or_b32 exec_lo, exec_lo, s23
	v_lshrrev_b32_e32 v3, 16, v2
	v_mov_b32_e32 v4, 0
	v_mov_b32_e32 v5, 0
	s_mov_b32 s2, exec_lo
	v_and_b32_e32 v0, 0xff, v3
	s_clause 0x1
	scratch_store_b64 off, v[4:5], s32 offset:1072
	scratch_store_b64 off, v[4:5], s32 offset:1080
	v_cmpx_ne_u16_e32 0, v0
	s_cbranch_execz .LBB268_843
; %bb.836:                              ;   in Loop: Header=BB268_16 Depth=1
	v_cmp_ne_u16_e64 s1, 0x80, v0
	v_bfrev_b32_e32 v0, 1
	v_mov_b32_e32 v1, 0
	scratch_store_b64 off, v[0:1], s32 offset:1080 ; 8-byte Folded Spill
	s_and_saveexec_b32 s23, s1
	s_cbranch_execz .LBB268_842
; %bb.837:                              ;   in Loop: Header=BB268_16 Depth=1
	v_mov_b32_e32 v4, 0x7f800001
	v_bfe_u32 v1, v2, 16, 7
	v_mov_b32_e32 v5, 0
	s_mov_b32 s24, exec_lo
	scratch_store_b64 off, v[4:5], s32 offset:1080 ; 8-byte Folded Spill
	v_cmpx_ne_u32_e32 0x7f, v1
	s_cbranch_execz .LBB268_841
; %bb.838:                              ;   in Loop: Header=BB268_16 Depth=1
	v_and_b32_e32 v14, 7, v3
	v_lshrrev_b32_e32 v0, 3, v1
	s_mov_b32 s25, exec_lo
	v_cmpx_gt_u32_e32 8, v1
; %bb.839:                              ;   in Loop: Header=BB268_16 Depth=1
	s_delay_alu instid0(VALU_DEP_3) | instskip(NEXT) | instid1(VALU_DEP_1)
	v_clz_i32_u32_e32 v0, v14
	v_min_u32_e32 v0, 32, v0
	s_delay_alu instid0(VALU_DEP_1) | instskip(SKIP_1) | instid1(VALU_DEP_2)
	v_subrev_nc_u32_e32 v1, 28, v0
	v_sub_nc_u32_e32 v0, 29, v0
	v_lshlrev_b64 v[4:5], v1, v[14:15]
	s_delay_alu instid0(VALU_DEP_1)
	v_and_b32_e32 v14, 7, v4
; %bb.840:                              ;   in Loop: Header=BB268_16 Depth=1
	s_or_b32 exec_lo, exec_lo, s25
	v_lshlrev_b32_e32 v1, 24, v3
	s_delay_alu instid0(VALU_DEP_2) | instskip(SKIP_1) | instid1(VALU_DEP_3)
	v_lshlrev_b32_e32 v3, 20, v14
	v_lshl_add_u32 v0, v0, 23, 0x3c000000
	v_and_b32_e32 v1, 0x80000000, v1
	s_delay_alu instid0(VALU_DEP_1)
	v_or3_b32 v14, v3, v1, v0
	scratch_store_b64 off, v[14:15], s32 offset:1080 ; 8-byte Folded Spill
.LBB268_841:                            ;   in Loop: Header=BB268_16 Depth=1
	s_or_b32 exec_lo, exec_lo, s24
.LBB268_842:                            ;   in Loop: Header=BB268_16 Depth=1
	s_delay_alu instid0(SALU_CYCLE_1)
	s_or_b32 exec_lo, exec_lo, s23
.LBB268_843:                            ;   in Loop: Header=BB268_16 Depth=1
	s_delay_alu instid0(SALU_CYCLE_1) | instskip(NEXT) | instid1(SALU_CYCLE_1)
	s_or_b32 exec_lo, exec_lo, s2
	s_mov_b32 s23, exec_lo
	v_cmpx_lt_u32_e32 0xffffff, v2
	s_cbranch_execz .LBB268_851
; %bb.844:                              ;   in Loop: Header=BB268_16 Depth=1
	v_lshrrev_b32_e32 v0, 24, v2
	v_dual_mov_b32 v3, s8 :: v_dual_mov_b32 v4, s9
	s_mov_b32 s24, exec_lo
	scratch_store_b64 off, v[3:4], s32 offset:1072 ; 8-byte Folded Spill
	v_cmpx_ne_u32_e32 0x80, v0
	s_cbranch_execz .LBB268_850
; %bb.845:                              ;   in Loop: Header=BB268_16 Depth=1
	s_mov_b32 s2, s8
	v_bfe_u32 v2, v2, 24, 7
	v_dual_mov_b32 v4, s3 :: v_dual_mov_b32 v3, s2
	s_mov_b32 s2, exec_lo
	scratch_store_b64 off, v[3:4], s32 offset:1072 ; 8-byte Folded Spill
	v_cmpx_ne_u32_e32 0x7f, v2
	s_cbranch_execz .LBB268_849
; %bb.846:                              ;   in Loop: Header=BB268_16 Depth=1
	v_and_b32_e32 v14, 7, v0
	v_lshrrev_b32_e32 v1, 3, v2
	s_mov_b32 s25, exec_lo
	v_cmpx_gt_u32_e32 8, v2
; %bb.847:                              ;   in Loop: Header=BB268_16 Depth=1
	s_delay_alu instid0(VALU_DEP_3) | instskip(NEXT) | instid1(VALU_DEP_1)
	v_clz_i32_u32_e32 v1, v14
	v_min_u32_e32 v1, 32, v1
	s_delay_alu instid0(VALU_DEP_1) | instskip(SKIP_1) | instid1(VALU_DEP_2)
	v_subrev_nc_u32_e32 v2, 28, v1
	v_sub_nc_u32_e32 v1, 29, v1
	v_lshlrev_b64 v[2:3], v2, v[14:15]
	s_delay_alu instid0(VALU_DEP_1)
	v_and_b32_e32 v14, 7, v2
; %bb.848:                              ;   in Loop: Header=BB268_16 Depth=1
	s_or_b32 exec_lo, exec_lo, s25
	v_lshlrev_b32_e32 v0, 24, v0
	s_delay_alu instid0(VALU_DEP_2) | instskip(SKIP_1) | instid1(VALU_DEP_3)
	v_lshlrev_b32_e32 v2, 20, v14
	v_lshl_add_u32 v1, v1, 23, 0x3c000000
	v_and_b32_e32 v0, 0x80000000, v0
	s_delay_alu instid0(VALU_DEP_1)
	v_or3_b32 v1, v2, v0, v1
	v_mov_b32_e32 v0, v15
	scratch_store_b64 off, v[0:1], s32 offset:1072 ; 8-byte Folded Spill
.LBB268_849:                            ;   in Loop: Header=BB268_16 Depth=1
	s_or_b32 exec_lo, exec_lo, s2
.LBB268_850:                            ;   in Loop: Header=BB268_16 Depth=1
	s_delay_alu instid0(SALU_CYCLE_1)
	s_or_b32 exec_lo, exec_lo, s24
.LBB268_851:                            ;   in Loop: Header=BB268_16 Depth=1
	s_delay_alu instid0(SALU_CYCLE_1)
	s_or_b32 exec_lo, exec_lo, s23
	flat_load_b32 v2, v[142:143] offset:3080
	v_mov_b32_e32 v3, 0
	v_mov_b32_e32 v4, 0
	s_mov_b32 s2, exec_lo
	s_clause 0x1
	scratch_store_b64 off, v[3:4], s32 offset:1088
	scratch_store_b64 off, v[3:4], s32 offset:1096
	s_waitcnt vmcnt(0) lgkmcnt(0)
	v_and_b32_e32 v0, 0xff, v2
	s_delay_alu instid0(VALU_DEP_1)
	v_cmpx_ne_u16_e32 0, v0
	s_cbranch_execz .LBB268_859
; %bb.852:                              ;   in Loop: Header=BB268_16 Depth=1
	v_cmp_ne_u16_e64 s1, 0x80, v0
	v_bfrev_b32_e32 v0, 1
	v_mov_b32_e32 v1, 0
	scratch_store_b64 off, v[0:1], s32 offset:1096 ; 8-byte Folded Spill
	s_and_saveexec_b32 s23, s1
	s_cbranch_execz .LBB268_858
; %bb.853:                              ;   in Loop: Header=BB268_16 Depth=1
	v_mov_b32_e32 v3, 0x7f800001
	v_dual_mov_b32 v4, 0 :: v_dual_and_b32 v1, 0x7f, v2
	s_mov_b32 s24, exec_lo
	scratch_store_b64 off, v[3:4], s32 offset:1096 ; 8-byte Folded Spill
	v_cmpx_ne_u32_e32 0x7f, v1
	s_cbranch_execz .LBB268_857
; %bb.854:                              ;   in Loop: Header=BB268_16 Depth=1
	v_and_b32_e32 v14, 7, v2
	v_lshrrev_b32_e32 v0, 3, v1
	s_mov_b32 s25, exec_lo
	v_cmpx_gt_u32_e32 8, v1
; %bb.855:                              ;   in Loop: Header=BB268_16 Depth=1
	s_delay_alu instid0(VALU_DEP_3) | instskip(NEXT) | instid1(VALU_DEP_1)
	v_clz_i32_u32_e32 v0, v14
	v_min_u32_e32 v0, 32, v0
	s_delay_alu instid0(VALU_DEP_1) | instskip(SKIP_1) | instid1(VALU_DEP_2)
	v_subrev_nc_u32_e32 v1, 28, v0
	v_sub_nc_u32_e32 v0, 29, v0
	v_lshlrev_b64 v[3:4], v1, v[14:15]
	s_delay_alu instid0(VALU_DEP_1)
	v_and_b32_e32 v14, 7, v3
; %bb.856:                              ;   in Loop: Header=BB268_16 Depth=1
	s_or_b32 exec_lo, exec_lo, s25
	v_lshlrev_b32_e32 v1, 24, v2
	s_delay_alu instid0(VALU_DEP_2) | instskip(SKIP_1) | instid1(VALU_DEP_3)
	v_lshlrev_b32_e32 v3, 20, v14
	v_lshl_add_u32 v0, v0, 23, 0x3c000000
	v_and_b32_e32 v1, 0x80000000, v1
	s_delay_alu instid0(VALU_DEP_1)
	v_or3_b32 v14, v3, v1, v0
	scratch_store_b64 off, v[14:15], s32 offset:1096 ; 8-byte Folded Spill
.LBB268_857:                            ;   in Loop: Header=BB268_16 Depth=1
	s_or_b32 exec_lo, exec_lo, s24
.LBB268_858:                            ;   in Loop: Header=BB268_16 Depth=1
	s_delay_alu instid0(SALU_CYCLE_1)
	s_or_b32 exec_lo, exec_lo, s23
.LBB268_859:                            ;   in Loop: Header=BB268_16 Depth=1
	s_delay_alu instid0(SALU_CYCLE_1) | instskip(SKIP_2) | instid1(VALU_DEP_1)
	s_or_b32 exec_lo, exec_lo, s2
	v_lshrrev_b16 v0, 8, v2
	s_mov_b32 s23, exec_lo
	v_cmpx_ne_u16_e32 0, v0
	s_cbranch_execz .LBB268_867
; %bb.860:                              ;   in Loop: Header=BB268_16 Depth=1
	v_dual_mov_b32 v3, s8 :: v_dual_mov_b32 v4, s9
	s_mov_b32 s24, exec_lo
	scratch_store_b64 off, v[3:4], s32 offset:1088 ; 8-byte Folded Spill
	v_cmpx_ne_u16_e32 0x80, v0
	s_cbranch_execz .LBB268_866
; %bb.861:                              ;   in Loop: Header=BB268_16 Depth=1
	s_mov_b32 s2, s8
	v_and_b32_e32 v0, 0xffff, v0
	v_dual_mov_b32 v4, s3 :: v_dual_mov_b32 v3, s2
	s_mov_b32 s2, exec_lo
	s_delay_alu instid0(VALU_DEP_2)
	v_and_b32_e32 v1, 0x7f, v0
	scratch_store_b64 off, v[3:4], s32 offset:1088 ; 8-byte Folded Spill
	v_cmpx_ne_u32_e32 0x7f, v1
	s_cbranch_execz .LBB268_865
; %bb.862:                              ;   in Loop: Header=BB268_16 Depth=1
	v_and_b32_e32 v14, 7, v0
	v_lshrrev_b32_e32 v0, 3, v1
	s_mov_b32 s25, exec_lo
	v_cmpx_gt_u32_e32 8, v1
; %bb.863:                              ;   in Loop: Header=BB268_16 Depth=1
	s_delay_alu instid0(VALU_DEP_3) | instskip(NEXT) | instid1(VALU_DEP_1)
	v_clz_i32_u32_e32 v0, v14
	v_min_u32_e32 v0, 32, v0
	s_delay_alu instid0(VALU_DEP_1) | instskip(SKIP_1) | instid1(VALU_DEP_2)
	v_subrev_nc_u32_e32 v1, 28, v0
	v_sub_nc_u32_e32 v0, 29, v0
	v_lshlrev_b64 v[3:4], v1, v[14:15]
	s_delay_alu instid0(VALU_DEP_1)
	v_and_b32_e32 v14, 7, v3
; %bb.864:                              ;   in Loop: Header=BB268_16 Depth=1
	s_or_b32 exec_lo, exec_lo, s25
	v_lshlrev_b32_e32 v1, 16, v2
	s_delay_alu instid0(VALU_DEP_2) | instskip(SKIP_1) | instid1(VALU_DEP_3)
	v_lshlrev_b32_e32 v3, 20, v14
	v_lshl_add_u32 v0, v0, 23, 0x3c000000
	v_and_b32_e32 v1, 0x80000000, v1
	s_delay_alu instid0(VALU_DEP_1)
	v_or3_b32 v1, v3, v1, v0
	v_mov_b32_e32 v0, v15
	scratch_store_b64 off, v[0:1], s32 offset:1088 ; 8-byte Folded Spill
.LBB268_865:                            ;   in Loop: Header=BB268_16 Depth=1
	s_or_b32 exec_lo, exec_lo, s2
.LBB268_866:                            ;   in Loop: Header=BB268_16 Depth=1
	s_delay_alu instid0(SALU_CYCLE_1)
	s_or_b32 exec_lo, exec_lo, s24
.LBB268_867:                            ;   in Loop: Header=BB268_16 Depth=1
	s_delay_alu instid0(SALU_CYCLE_1) | instskip(SKIP_4) | instid1(VALU_DEP_3)
	s_or_b32 exec_lo, exec_lo, s23
	v_lshrrev_b32_e32 v3, 16, v2
	v_mov_b32_e32 v4, 0
	v_mov_b32_e32 v5, 0
	s_mov_b32 s2, exec_lo
	v_and_b32_e32 v0, 0xff, v3
	s_clause 0x1
	scratch_store_b64 off, v[4:5], s32 offset:1104
	scratch_store_b64 off, v[4:5], s32 offset:1112
	v_cmpx_ne_u16_e32 0, v0
	s_cbranch_execz .LBB268_875
; %bb.868:                              ;   in Loop: Header=BB268_16 Depth=1
	v_cmp_ne_u16_e64 s1, 0x80, v0
	v_bfrev_b32_e32 v0, 1
	v_mov_b32_e32 v1, 0
	scratch_store_b64 off, v[0:1], s32 offset:1112 ; 8-byte Folded Spill
	s_and_saveexec_b32 s23, s1
	s_cbranch_execz .LBB268_874
; %bb.869:                              ;   in Loop: Header=BB268_16 Depth=1
	v_mov_b32_e32 v4, 0x7f800001
	v_bfe_u32 v1, v2, 16, 7
	v_mov_b32_e32 v5, 0
	s_mov_b32 s24, exec_lo
	scratch_store_b64 off, v[4:5], s32 offset:1112 ; 8-byte Folded Spill
	v_cmpx_ne_u32_e32 0x7f, v1
	s_cbranch_execz .LBB268_873
; %bb.870:                              ;   in Loop: Header=BB268_16 Depth=1
	v_and_b32_e32 v14, 7, v3
	v_lshrrev_b32_e32 v0, 3, v1
	s_mov_b32 s25, exec_lo
	v_cmpx_gt_u32_e32 8, v1
; %bb.871:                              ;   in Loop: Header=BB268_16 Depth=1
	s_delay_alu instid0(VALU_DEP_3) | instskip(NEXT) | instid1(VALU_DEP_1)
	v_clz_i32_u32_e32 v0, v14
	v_min_u32_e32 v0, 32, v0
	s_delay_alu instid0(VALU_DEP_1) | instskip(SKIP_1) | instid1(VALU_DEP_2)
	v_subrev_nc_u32_e32 v1, 28, v0
	v_sub_nc_u32_e32 v0, 29, v0
	v_lshlrev_b64 v[4:5], v1, v[14:15]
	s_delay_alu instid0(VALU_DEP_1)
	v_and_b32_e32 v14, 7, v4
; %bb.872:                              ;   in Loop: Header=BB268_16 Depth=1
	s_or_b32 exec_lo, exec_lo, s25
	v_lshlrev_b32_e32 v1, 24, v3
	s_delay_alu instid0(VALU_DEP_2) | instskip(SKIP_1) | instid1(VALU_DEP_3)
	v_lshlrev_b32_e32 v3, 20, v14
	v_lshl_add_u32 v0, v0, 23, 0x3c000000
	v_and_b32_e32 v1, 0x80000000, v1
	s_delay_alu instid0(VALU_DEP_1)
	v_or3_b32 v14, v3, v1, v0
	scratch_store_b64 off, v[14:15], s32 offset:1112 ; 8-byte Folded Spill
.LBB268_873:                            ;   in Loop: Header=BB268_16 Depth=1
	s_or_b32 exec_lo, exec_lo, s24
.LBB268_874:                            ;   in Loop: Header=BB268_16 Depth=1
	s_delay_alu instid0(SALU_CYCLE_1)
	s_or_b32 exec_lo, exec_lo, s23
.LBB268_875:                            ;   in Loop: Header=BB268_16 Depth=1
	s_delay_alu instid0(SALU_CYCLE_1) | instskip(NEXT) | instid1(SALU_CYCLE_1)
	s_or_b32 exec_lo, exec_lo, s2
	s_mov_b32 s23, exec_lo
	v_cmpx_lt_u32_e32 0xffffff, v2
	s_cbranch_execz .LBB268_883
; %bb.876:                              ;   in Loop: Header=BB268_16 Depth=1
	v_lshrrev_b32_e32 v0, 24, v2
	v_dual_mov_b32 v3, s8 :: v_dual_mov_b32 v4, s9
	s_mov_b32 s24, exec_lo
	scratch_store_b64 off, v[3:4], s32 offset:1104 ; 8-byte Folded Spill
	v_cmpx_ne_u32_e32 0x80, v0
	s_cbranch_execz .LBB268_882
; %bb.877:                              ;   in Loop: Header=BB268_16 Depth=1
	s_mov_b32 s2, s8
	v_bfe_u32 v2, v2, 24, 7
	v_dual_mov_b32 v4, s3 :: v_dual_mov_b32 v3, s2
	s_mov_b32 s2, exec_lo
	scratch_store_b64 off, v[3:4], s32 offset:1104 ; 8-byte Folded Spill
	v_cmpx_ne_u32_e32 0x7f, v2
	s_cbranch_execz .LBB268_881
; %bb.878:                              ;   in Loop: Header=BB268_16 Depth=1
	v_and_b32_e32 v14, 7, v0
	v_lshrrev_b32_e32 v1, 3, v2
	s_mov_b32 s25, exec_lo
	v_cmpx_gt_u32_e32 8, v2
; %bb.879:                              ;   in Loop: Header=BB268_16 Depth=1
	s_delay_alu instid0(VALU_DEP_3) | instskip(NEXT) | instid1(VALU_DEP_1)
	v_clz_i32_u32_e32 v1, v14
	v_min_u32_e32 v1, 32, v1
	s_delay_alu instid0(VALU_DEP_1) | instskip(SKIP_1) | instid1(VALU_DEP_2)
	v_subrev_nc_u32_e32 v2, 28, v1
	v_sub_nc_u32_e32 v1, 29, v1
	v_lshlrev_b64 v[2:3], v2, v[14:15]
	s_delay_alu instid0(VALU_DEP_1)
	v_and_b32_e32 v14, 7, v2
; %bb.880:                              ;   in Loop: Header=BB268_16 Depth=1
	s_or_b32 exec_lo, exec_lo, s25
	v_lshlrev_b32_e32 v0, 24, v0
	s_delay_alu instid0(VALU_DEP_2) | instskip(SKIP_1) | instid1(VALU_DEP_3)
	v_lshlrev_b32_e32 v2, 20, v14
	v_lshl_add_u32 v1, v1, 23, 0x3c000000
	v_and_b32_e32 v0, 0x80000000, v0
	s_delay_alu instid0(VALU_DEP_1)
	v_or3_b32 v1, v2, v0, v1
	v_mov_b32_e32 v0, v15
	scratch_store_b64 off, v[0:1], s32 offset:1104 ; 8-byte Folded Spill
.LBB268_881:                            ;   in Loop: Header=BB268_16 Depth=1
	s_or_b32 exec_lo, exec_lo, s2
.LBB268_882:                            ;   in Loop: Header=BB268_16 Depth=1
	s_delay_alu instid0(SALU_CYCLE_1)
	s_or_b32 exec_lo, exec_lo, s24
.LBB268_883:                            ;   in Loop: Header=BB268_16 Depth=1
	s_delay_alu instid0(SALU_CYCLE_1)
	s_or_b32 exec_lo, exec_lo, s23
	flat_load_b32 v2, v[142:143] offset:3084
	v_mov_b32_e32 v164, 0
	v_mov_b32_e32 v165, 0
	s_mov_b32 s2, exec_lo
	s_waitcnt vmcnt(0) lgkmcnt(0)
	v_and_b32_e32 v0, 0xff, v2
	scratch_store_b64 off, v[164:165], s32 offset:1120 ; 8-byte Folded Spill
	v_cmpx_ne_u16_e32 0, v0
	s_cbranch_execz .LBB268_891
; %bb.884:                              ;   in Loop: Header=BB268_16 Depth=1
	v_cmp_ne_u16_e64 s1, 0x80, v0
	v_bfrev_b32_e32 v0, 1
	v_mov_b32_e32 v1, 0
	scratch_store_b64 off, v[0:1], s32 offset:1120 ; 8-byte Folded Spill
	s_and_saveexec_b32 s23, s1
	s_cbranch_execz .LBB268_890
; %bb.885:                              ;   in Loop: Header=BB268_16 Depth=1
	v_mov_b32_e32 v3, 0x7f800001
	v_dual_mov_b32 v4, 0 :: v_dual_and_b32 v1, 0x7f, v2
	s_mov_b32 s24, exec_lo
	scratch_store_b64 off, v[3:4], s32 offset:1120 ; 8-byte Folded Spill
	v_cmpx_ne_u32_e32 0x7f, v1
	s_cbranch_execz .LBB268_889
; %bb.886:                              ;   in Loop: Header=BB268_16 Depth=1
	v_and_b32_e32 v14, 7, v2
	v_lshrrev_b32_e32 v0, 3, v1
	s_mov_b32 s25, exec_lo
	v_cmpx_gt_u32_e32 8, v1
; %bb.887:                              ;   in Loop: Header=BB268_16 Depth=1
	s_delay_alu instid0(VALU_DEP_3) | instskip(NEXT) | instid1(VALU_DEP_1)
	v_clz_i32_u32_e32 v0, v14
	v_min_u32_e32 v0, 32, v0
	s_delay_alu instid0(VALU_DEP_1) | instskip(SKIP_1) | instid1(VALU_DEP_2)
	v_subrev_nc_u32_e32 v1, 28, v0
	v_sub_nc_u32_e32 v0, 29, v0
	v_lshlrev_b64 v[3:4], v1, v[14:15]
	s_delay_alu instid0(VALU_DEP_1)
	v_and_b32_e32 v14, 7, v3
; %bb.888:                              ;   in Loop: Header=BB268_16 Depth=1
	s_or_b32 exec_lo, exec_lo, s25
	v_lshlrev_b32_e32 v1, 24, v2
	s_delay_alu instid0(VALU_DEP_2) | instskip(SKIP_1) | instid1(VALU_DEP_3)
	v_lshlrev_b32_e32 v3, 20, v14
	v_lshl_add_u32 v0, v0, 23, 0x3c000000
	v_and_b32_e32 v1, 0x80000000, v1
	s_delay_alu instid0(VALU_DEP_1)
	v_or3_b32 v14, v3, v1, v0
	scratch_store_b64 off, v[14:15], s32 offset:1120 ; 8-byte Folded Spill
.LBB268_889:                            ;   in Loop: Header=BB268_16 Depth=1
	s_or_b32 exec_lo, exec_lo, s24
.LBB268_890:                            ;   in Loop: Header=BB268_16 Depth=1
	s_delay_alu instid0(SALU_CYCLE_1)
	s_or_b32 exec_lo, exec_lo, s23
.LBB268_891:                            ;   in Loop: Header=BB268_16 Depth=1
	s_delay_alu instid0(SALU_CYCLE_1) | instskip(SKIP_2) | instid1(VALU_DEP_1)
	s_or_b32 exec_lo, exec_lo, s2
	v_lshrrev_b16 v0, 8, v2
	s_mov_b32 s23, exec_lo
	v_cmpx_ne_u16_e32 0, v0
	s_cbranch_execz .LBB268_899
; %bb.892:                              ;   in Loop: Header=BB268_16 Depth=1
	v_dual_mov_b32 v165, s9 :: v_dual_mov_b32 v164, s8
	s_mov_b32 s24, exec_lo
	v_cmpx_ne_u16_e32 0x80, v0
	s_cbranch_execz .LBB268_898
; %bb.893:                              ;   in Loop: Header=BB268_16 Depth=1
	s_mov_b32 s2, s8
	v_dual_mov_b32 v165, s3 :: v_dual_and_b32 v0, 0xffff, v0
	v_mov_b32_e32 v164, s2
	s_mov_b32 s2, exec_lo
	s_delay_alu instid0(VALU_DEP_2) | instskip(NEXT) | instid1(VALU_DEP_1)
	v_and_b32_e32 v1, 0x7f, v0
	v_cmpx_ne_u32_e32 0x7f, v1
	s_cbranch_execz .LBB268_897
; %bb.894:                              ;   in Loop: Header=BB268_16 Depth=1
	v_and_b32_e32 v14, 7, v0
	v_lshrrev_b32_e32 v0, 3, v1
	s_mov_b32 s25, exec_lo
	v_cmpx_gt_u32_e32 8, v1
; %bb.895:                              ;   in Loop: Header=BB268_16 Depth=1
	s_delay_alu instid0(VALU_DEP_3) | instskip(NEXT) | instid1(VALU_DEP_1)
	v_clz_i32_u32_e32 v0, v14
	v_min_u32_e32 v0, 32, v0
	s_delay_alu instid0(VALU_DEP_1) | instskip(SKIP_1) | instid1(VALU_DEP_2)
	v_subrev_nc_u32_e32 v1, 28, v0
	v_sub_nc_u32_e32 v0, 29, v0
	v_lshlrev_b64 v[3:4], v1, v[14:15]
	s_delay_alu instid0(VALU_DEP_1)
	v_and_b32_e32 v14, 7, v3
; %bb.896:                              ;   in Loop: Header=BB268_16 Depth=1
	s_or_b32 exec_lo, exec_lo, s25
	v_dual_mov_b32 v164, v15 :: v_dual_lshlrev_b32 v1, 16, v2
	s_delay_alu instid0(VALU_DEP_2) | instskip(SKIP_1) | instid1(VALU_DEP_3)
	v_lshlrev_b32_e32 v3, 20, v14
	v_lshl_add_u32 v0, v0, 23, 0x3c000000
	v_and_b32_e32 v1, 0x80000000, v1
	s_delay_alu instid0(VALU_DEP_1)
	v_or3_b32 v165, v3, v1, v0
.LBB268_897:                            ;   in Loop: Header=BB268_16 Depth=1
	s_or_b32 exec_lo, exec_lo, s2
.LBB268_898:                            ;   in Loop: Header=BB268_16 Depth=1
	s_delay_alu instid0(SALU_CYCLE_1)
	s_or_b32 exec_lo, exec_lo, s24
.LBB268_899:                            ;   in Loop: Header=BB268_16 Depth=1
	s_delay_alu instid0(SALU_CYCLE_1) | instskip(SKIP_4) | instid1(VALU_DEP_3)
	s_or_b32 exec_lo, exec_lo, s23
	v_lshrrev_b32_e32 v3, 16, v2
	v_mov_b32_e32 v180, 0
	v_mov_b32_e32 v181, 0
	s_mov_b32 s2, exec_lo
	v_and_b32_e32 v0, 0xff, v3
	scratch_store_b64 off, v[180:181], s32 offset:1128 ; 8-byte Folded Spill
	v_cmpx_ne_u16_e32 0, v0
	s_cbranch_execz .LBB268_907
; %bb.900:                              ;   in Loop: Header=BB268_16 Depth=1
	v_cmp_ne_u16_e64 s1, 0x80, v0
	v_bfrev_b32_e32 v0, 1
	v_mov_b32_e32 v1, 0
	scratch_store_b64 off, v[0:1], s32 offset:1128 ; 8-byte Folded Spill
	s_and_saveexec_b32 s23, s1
	s_cbranch_execz .LBB268_906
; %bb.901:                              ;   in Loop: Header=BB268_16 Depth=1
	v_mov_b32_e32 v4, 0x7f800001
	v_bfe_u32 v1, v2, 16, 7
	v_mov_b32_e32 v5, 0
	s_mov_b32 s24, exec_lo
	scratch_store_b64 off, v[4:5], s32 offset:1128 ; 8-byte Folded Spill
	v_cmpx_ne_u32_e32 0x7f, v1
	s_cbranch_execz .LBB268_905
; %bb.902:                              ;   in Loop: Header=BB268_16 Depth=1
	v_and_b32_e32 v14, 7, v3
	v_lshrrev_b32_e32 v0, 3, v1
	s_mov_b32 s25, exec_lo
	v_cmpx_gt_u32_e32 8, v1
; %bb.903:                              ;   in Loop: Header=BB268_16 Depth=1
	s_delay_alu instid0(VALU_DEP_3) | instskip(NEXT) | instid1(VALU_DEP_1)
	v_clz_i32_u32_e32 v0, v14
	v_min_u32_e32 v0, 32, v0
	s_delay_alu instid0(VALU_DEP_1) | instskip(SKIP_1) | instid1(VALU_DEP_2)
	v_subrev_nc_u32_e32 v1, 28, v0
	v_sub_nc_u32_e32 v0, 29, v0
	v_lshlrev_b64 v[4:5], v1, v[14:15]
	s_delay_alu instid0(VALU_DEP_1)
	v_and_b32_e32 v14, 7, v4
; %bb.904:                              ;   in Loop: Header=BB268_16 Depth=1
	s_or_b32 exec_lo, exec_lo, s25
	v_lshlrev_b32_e32 v1, 24, v3
	s_delay_alu instid0(VALU_DEP_2) | instskip(SKIP_1) | instid1(VALU_DEP_3)
	v_lshlrev_b32_e32 v3, 20, v14
	v_lshl_add_u32 v0, v0, 23, 0x3c000000
	v_and_b32_e32 v1, 0x80000000, v1
	s_delay_alu instid0(VALU_DEP_1)
	v_or3_b32 v14, v3, v1, v0
	scratch_store_b64 off, v[14:15], s32 offset:1128 ; 8-byte Folded Spill
.LBB268_905:                            ;   in Loop: Header=BB268_16 Depth=1
	s_or_b32 exec_lo, exec_lo, s24
.LBB268_906:                            ;   in Loop: Header=BB268_16 Depth=1
	s_delay_alu instid0(SALU_CYCLE_1)
	s_or_b32 exec_lo, exec_lo, s23
.LBB268_907:                            ;   in Loop: Header=BB268_16 Depth=1
	s_delay_alu instid0(SALU_CYCLE_1) | instskip(NEXT) | instid1(SALU_CYCLE_1)
	s_or_b32 exec_lo, exec_lo, s2
	s_mov_b32 s23, exec_lo
	v_cmpx_lt_u32_e32 0xffffff, v2
	s_cbranch_execz .LBB268_915
; %bb.908:                              ;   in Loop: Header=BB268_16 Depth=1
	v_lshrrev_b32_e32 v0, 24, v2
	v_dual_mov_b32 v181, s9 :: v_dual_mov_b32 v180, s8
	s_mov_b32 s24, exec_lo
	s_delay_alu instid0(VALU_DEP_2)
	v_cmpx_ne_u32_e32 0x80, v0
	s_cbranch_execz .LBB268_914
; %bb.909:                              ;   in Loop: Header=BB268_16 Depth=1
	s_mov_b32 s2, s8
	v_bfe_u32 v2, v2, 24, 7
	v_dual_mov_b32 v181, s3 :: v_dual_mov_b32 v180, s2
	s_mov_b32 s2, exec_lo
	s_delay_alu instid0(VALU_DEP_2)
	v_cmpx_ne_u32_e32 0x7f, v2
	s_cbranch_execz .LBB268_913
; %bb.910:                              ;   in Loop: Header=BB268_16 Depth=1
	v_and_b32_e32 v14, 7, v0
	v_lshrrev_b32_e32 v1, 3, v2
	s_mov_b32 s25, exec_lo
	v_cmpx_gt_u32_e32 8, v2
; %bb.911:                              ;   in Loop: Header=BB268_16 Depth=1
	s_delay_alu instid0(VALU_DEP_3) | instskip(NEXT) | instid1(VALU_DEP_1)
	v_clz_i32_u32_e32 v1, v14
	v_min_u32_e32 v1, 32, v1
	s_delay_alu instid0(VALU_DEP_1) | instskip(SKIP_1) | instid1(VALU_DEP_2)
	v_subrev_nc_u32_e32 v2, 28, v1
	v_sub_nc_u32_e32 v1, 29, v1
	v_lshlrev_b64 v[2:3], v2, v[14:15]
	s_delay_alu instid0(VALU_DEP_1)
	v_and_b32_e32 v14, 7, v2
; %bb.912:                              ;   in Loop: Header=BB268_16 Depth=1
	s_or_b32 exec_lo, exec_lo, s25
	v_lshlrev_b32_e32 v0, 24, v0
	s_delay_alu instid0(VALU_DEP_2) | instskip(SKIP_2) | instid1(VALU_DEP_4)
	v_lshlrev_b32_e32 v2, 20, v14
	v_lshl_add_u32 v1, v1, 23, 0x3c000000
	v_mov_b32_e32 v180, v15
	v_and_b32_e32 v0, 0x80000000, v0
	s_delay_alu instid0(VALU_DEP_1)
	v_or3_b32 v181, v2, v0, v1
.LBB268_913:                            ;   in Loop: Header=BB268_16 Depth=1
	s_or_b32 exec_lo, exec_lo, s2
.LBB268_914:                            ;   in Loop: Header=BB268_16 Depth=1
	s_delay_alu instid0(SALU_CYCLE_1)
	s_or_b32 exec_lo, exec_lo, s24
.LBB268_915:                            ;   in Loop: Header=BB268_16 Depth=1
	s_delay_alu instid0(SALU_CYCLE_1)
	s_or_b32 exec_lo, exec_lo, s23
	flat_load_b32 v2, v[142:143] offset:3584
	v_mov_b32_e32 v42, 0
	v_mov_b32_e32 v43, 0
	s_mov_b32 s2, exec_lo
	s_waitcnt vmcnt(0) lgkmcnt(0)
	v_and_b32_e32 v0, 0xff, v2
	scratch_store_b64 off, v[42:43], s32 offset:1136 ; 8-byte Folded Spill
	v_cmpx_ne_u16_e32 0, v0
	s_cbranch_execz .LBB268_923
; %bb.916:                              ;   in Loop: Header=BB268_16 Depth=1
	v_cmp_ne_u16_e64 s1, 0x80, v0
	v_bfrev_b32_e32 v0, 1
	v_mov_b32_e32 v1, 0
	scratch_store_b64 off, v[0:1], s32 offset:1136 ; 8-byte Folded Spill
	s_and_saveexec_b32 s23, s1
	s_cbranch_execz .LBB268_922
; %bb.917:                              ;   in Loop: Header=BB268_16 Depth=1
	v_mov_b32_e32 v3, 0x7f800001
	v_dual_mov_b32 v4, 0 :: v_dual_and_b32 v1, 0x7f, v2
	s_mov_b32 s24, exec_lo
	scratch_store_b64 off, v[3:4], s32 offset:1136 ; 8-byte Folded Spill
	v_cmpx_ne_u32_e32 0x7f, v1
	s_cbranch_execz .LBB268_921
; %bb.918:                              ;   in Loop: Header=BB268_16 Depth=1
	v_and_b32_e32 v14, 7, v2
	v_lshrrev_b32_e32 v0, 3, v1
	s_mov_b32 s25, exec_lo
	v_cmpx_gt_u32_e32 8, v1
; %bb.919:                              ;   in Loop: Header=BB268_16 Depth=1
	s_delay_alu instid0(VALU_DEP_3) | instskip(NEXT) | instid1(VALU_DEP_1)
	v_clz_i32_u32_e32 v0, v14
	v_min_u32_e32 v0, 32, v0
	s_delay_alu instid0(VALU_DEP_1) | instskip(SKIP_1) | instid1(VALU_DEP_2)
	v_subrev_nc_u32_e32 v1, 28, v0
	v_sub_nc_u32_e32 v0, 29, v0
	v_lshlrev_b64 v[3:4], v1, v[14:15]
	s_delay_alu instid0(VALU_DEP_1)
	v_and_b32_e32 v14, 7, v3
; %bb.920:                              ;   in Loop: Header=BB268_16 Depth=1
	s_or_b32 exec_lo, exec_lo, s25
	v_lshlrev_b32_e32 v1, 24, v2
	s_delay_alu instid0(VALU_DEP_2) | instskip(SKIP_1) | instid1(VALU_DEP_3)
	v_lshlrev_b32_e32 v3, 20, v14
	v_lshl_add_u32 v0, v0, 23, 0x3c000000
	v_and_b32_e32 v1, 0x80000000, v1
	s_delay_alu instid0(VALU_DEP_1)
	v_or3_b32 v14, v3, v1, v0
	scratch_store_b64 off, v[14:15], s32 offset:1136 ; 8-byte Folded Spill
.LBB268_921:                            ;   in Loop: Header=BB268_16 Depth=1
	s_or_b32 exec_lo, exec_lo, s24
.LBB268_922:                            ;   in Loop: Header=BB268_16 Depth=1
	s_delay_alu instid0(SALU_CYCLE_1)
	s_or_b32 exec_lo, exec_lo, s23
.LBB268_923:                            ;   in Loop: Header=BB268_16 Depth=1
	s_delay_alu instid0(SALU_CYCLE_1) | instskip(SKIP_2) | instid1(VALU_DEP_1)
	s_or_b32 exec_lo, exec_lo, s2
	v_lshrrev_b16 v0, 8, v2
	s_mov_b32 s23, exec_lo
	v_cmpx_ne_u16_e32 0, v0
	s_cbranch_execz .LBB268_931
; %bb.924:                              ;   in Loop: Header=BB268_16 Depth=1
	v_dual_mov_b32 v43, s9 :: v_dual_mov_b32 v42, s8
	s_mov_b32 s24, exec_lo
	v_cmpx_ne_u16_e32 0x80, v0
	s_cbranch_execz .LBB268_930
; %bb.925:                              ;   in Loop: Header=BB268_16 Depth=1
	s_mov_b32 s2, s8
	v_dual_mov_b32 v43, s3 :: v_dual_and_b32 v0, 0xffff, v0
	v_mov_b32_e32 v42, s2
	s_mov_b32 s2, exec_lo
	s_delay_alu instid0(VALU_DEP_2) | instskip(NEXT) | instid1(VALU_DEP_1)
	v_and_b32_e32 v1, 0x7f, v0
	v_cmpx_ne_u32_e32 0x7f, v1
	s_cbranch_execz .LBB268_929
; %bb.926:                              ;   in Loop: Header=BB268_16 Depth=1
	v_and_b32_e32 v14, 7, v0
	v_lshrrev_b32_e32 v0, 3, v1
	s_mov_b32 s25, exec_lo
	v_cmpx_gt_u32_e32 8, v1
; %bb.927:                              ;   in Loop: Header=BB268_16 Depth=1
	s_delay_alu instid0(VALU_DEP_3) | instskip(NEXT) | instid1(VALU_DEP_1)
	v_clz_i32_u32_e32 v0, v14
	v_min_u32_e32 v0, 32, v0
	s_delay_alu instid0(VALU_DEP_1) | instskip(SKIP_1) | instid1(VALU_DEP_2)
	v_subrev_nc_u32_e32 v1, 28, v0
	v_sub_nc_u32_e32 v0, 29, v0
	v_lshlrev_b64 v[3:4], v1, v[14:15]
	s_delay_alu instid0(VALU_DEP_1)
	v_and_b32_e32 v14, 7, v3
; %bb.928:                              ;   in Loop: Header=BB268_16 Depth=1
	s_or_b32 exec_lo, exec_lo, s25
	v_dual_mov_b32 v42, v15 :: v_dual_lshlrev_b32 v1, 16, v2
	s_delay_alu instid0(VALU_DEP_2) | instskip(SKIP_1) | instid1(VALU_DEP_3)
	v_lshlrev_b32_e32 v3, 20, v14
	v_lshl_add_u32 v0, v0, 23, 0x3c000000
	v_and_b32_e32 v1, 0x80000000, v1
	s_delay_alu instid0(VALU_DEP_1)
	v_or3_b32 v43, v3, v1, v0
.LBB268_929:                            ;   in Loop: Header=BB268_16 Depth=1
	s_or_b32 exec_lo, exec_lo, s2
.LBB268_930:                            ;   in Loop: Header=BB268_16 Depth=1
	s_delay_alu instid0(SALU_CYCLE_1)
	s_or_b32 exec_lo, exec_lo, s24
.LBB268_931:                            ;   in Loop: Header=BB268_16 Depth=1
	s_delay_alu instid0(SALU_CYCLE_1) | instskip(SKIP_4) | instid1(VALU_DEP_3)
	s_or_b32 exec_lo, exec_lo, s23
	v_lshrrev_b32_e32 v3, 16, v2
	v_mov_b32_e32 v56, 0
	v_mov_b32_e32 v57, 0
	s_mov_b32 s2, exec_lo
	v_and_b32_e32 v0, 0xff, v3
	scratch_store_b64 off, v[56:57], s32 offset:1144 ; 8-byte Folded Spill
	v_cmpx_ne_u16_e32 0, v0
	s_cbranch_execz .LBB268_939
; %bb.932:                              ;   in Loop: Header=BB268_16 Depth=1
	v_cmp_ne_u16_e64 s1, 0x80, v0
	v_bfrev_b32_e32 v0, 1
	v_mov_b32_e32 v1, 0
	scratch_store_b64 off, v[0:1], s32 offset:1144 ; 8-byte Folded Spill
	s_and_saveexec_b32 s23, s1
	s_cbranch_execz .LBB268_938
; %bb.933:                              ;   in Loop: Header=BB268_16 Depth=1
	v_mov_b32_e32 v4, 0x7f800001
	v_bfe_u32 v1, v2, 16, 7
	v_mov_b32_e32 v5, 0
	s_mov_b32 s24, exec_lo
	scratch_store_b64 off, v[4:5], s32 offset:1144 ; 8-byte Folded Spill
	v_cmpx_ne_u32_e32 0x7f, v1
	s_cbranch_execz .LBB268_937
; %bb.934:                              ;   in Loop: Header=BB268_16 Depth=1
	v_and_b32_e32 v14, 7, v3
	v_lshrrev_b32_e32 v0, 3, v1
	s_mov_b32 s25, exec_lo
	v_cmpx_gt_u32_e32 8, v1
; %bb.935:                              ;   in Loop: Header=BB268_16 Depth=1
	s_delay_alu instid0(VALU_DEP_3) | instskip(NEXT) | instid1(VALU_DEP_1)
	v_clz_i32_u32_e32 v0, v14
	v_min_u32_e32 v0, 32, v0
	s_delay_alu instid0(VALU_DEP_1) | instskip(SKIP_1) | instid1(VALU_DEP_2)
	v_subrev_nc_u32_e32 v1, 28, v0
	v_sub_nc_u32_e32 v0, 29, v0
	v_lshlrev_b64 v[4:5], v1, v[14:15]
	s_delay_alu instid0(VALU_DEP_1)
	v_and_b32_e32 v14, 7, v4
; %bb.936:                              ;   in Loop: Header=BB268_16 Depth=1
	s_or_b32 exec_lo, exec_lo, s25
	v_lshlrev_b32_e32 v1, 24, v3
	s_delay_alu instid0(VALU_DEP_2) | instskip(SKIP_1) | instid1(VALU_DEP_3)
	v_lshlrev_b32_e32 v3, 20, v14
	v_lshl_add_u32 v0, v0, 23, 0x3c000000
	v_and_b32_e32 v1, 0x80000000, v1
	s_delay_alu instid0(VALU_DEP_1)
	v_or3_b32 v14, v3, v1, v0
	scratch_store_b64 off, v[14:15], s32 offset:1144 ; 8-byte Folded Spill
.LBB268_937:                            ;   in Loop: Header=BB268_16 Depth=1
	s_or_b32 exec_lo, exec_lo, s24
.LBB268_938:                            ;   in Loop: Header=BB268_16 Depth=1
	s_delay_alu instid0(SALU_CYCLE_1)
	s_or_b32 exec_lo, exec_lo, s23
.LBB268_939:                            ;   in Loop: Header=BB268_16 Depth=1
	s_delay_alu instid0(SALU_CYCLE_1) | instskip(NEXT) | instid1(SALU_CYCLE_1)
	s_or_b32 exec_lo, exec_lo, s2
	s_mov_b32 s23, exec_lo
	v_cmpx_lt_u32_e32 0xffffff, v2
	s_cbranch_execz .LBB268_947
; %bb.940:                              ;   in Loop: Header=BB268_16 Depth=1
	v_lshrrev_b32_e32 v0, 24, v2
	v_dual_mov_b32 v57, s9 :: v_dual_mov_b32 v56, s8
	s_mov_b32 s24, exec_lo
	s_delay_alu instid0(VALU_DEP_2)
	v_cmpx_ne_u32_e32 0x80, v0
	s_cbranch_execz .LBB268_946
; %bb.941:                              ;   in Loop: Header=BB268_16 Depth=1
	s_mov_b32 s2, s8
	v_bfe_u32 v2, v2, 24, 7
	v_dual_mov_b32 v57, s3 :: v_dual_mov_b32 v56, s2
	s_mov_b32 s2, exec_lo
	s_delay_alu instid0(VALU_DEP_2)
	v_cmpx_ne_u32_e32 0x7f, v2
	s_cbranch_execz .LBB268_945
; %bb.942:                              ;   in Loop: Header=BB268_16 Depth=1
	v_and_b32_e32 v14, 7, v0
	v_lshrrev_b32_e32 v1, 3, v2
	s_mov_b32 s25, exec_lo
	v_cmpx_gt_u32_e32 8, v2
; %bb.943:                              ;   in Loop: Header=BB268_16 Depth=1
	s_delay_alu instid0(VALU_DEP_3) | instskip(NEXT) | instid1(VALU_DEP_1)
	v_clz_i32_u32_e32 v1, v14
	v_min_u32_e32 v1, 32, v1
	s_delay_alu instid0(VALU_DEP_1) | instskip(SKIP_1) | instid1(VALU_DEP_2)
	v_subrev_nc_u32_e32 v2, 28, v1
	v_sub_nc_u32_e32 v1, 29, v1
	v_lshlrev_b64 v[2:3], v2, v[14:15]
	s_delay_alu instid0(VALU_DEP_1)
	v_and_b32_e32 v14, 7, v2
; %bb.944:                              ;   in Loop: Header=BB268_16 Depth=1
	s_or_b32 exec_lo, exec_lo, s25
	v_lshlrev_b32_e32 v0, 24, v0
	s_delay_alu instid0(VALU_DEP_2) | instskip(SKIP_2) | instid1(VALU_DEP_4)
	v_lshlrev_b32_e32 v2, 20, v14
	v_lshl_add_u32 v1, v1, 23, 0x3c000000
	v_mov_b32_e32 v56, v15
	v_and_b32_e32 v0, 0x80000000, v0
	s_delay_alu instid0(VALU_DEP_1)
	v_or3_b32 v57, v2, v0, v1
.LBB268_945:                            ;   in Loop: Header=BB268_16 Depth=1
	s_or_b32 exec_lo, exec_lo, s2
.LBB268_946:                            ;   in Loop: Header=BB268_16 Depth=1
	s_delay_alu instid0(SALU_CYCLE_1)
	s_or_b32 exec_lo, exec_lo, s24
.LBB268_947:                            ;   in Loop: Header=BB268_16 Depth=1
	s_delay_alu instid0(SALU_CYCLE_1)
	s_or_b32 exec_lo, exec_lo, s23
	flat_load_b32 v2, v[142:143] offset:3588
	v_mov_b32_e32 v30, 0
	v_mov_b32_e32 v31, 0
	s_mov_b32 s2, exec_lo
	s_waitcnt vmcnt(0) lgkmcnt(0)
	v_and_b32_e32 v0, 0xff, v2
	scratch_store_b64 off, v[30:31], s32 offset:1152 ; 8-byte Folded Spill
	v_cmpx_ne_u16_e32 0, v0
	s_cbranch_execz .LBB268_955
; %bb.948:                              ;   in Loop: Header=BB268_16 Depth=1
	v_cmp_ne_u16_e64 s1, 0x80, v0
	v_bfrev_b32_e32 v0, 1
	v_mov_b32_e32 v1, 0
	scratch_store_b64 off, v[0:1], s32 offset:1152 ; 8-byte Folded Spill
	s_and_saveexec_b32 s23, s1
	s_cbranch_execz .LBB268_954
; %bb.949:                              ;   in Loop: Header=BB268_16 Depth=1
	v_mov_b32_e32 v3, 0x7f800001
	v_dual_mov_b32 v4, 0 :: v_dual_and_b32 v1, 0x7f, v2
	s_mov_b32 s24, exec_lo
	scratch_store_b64 off, v[3:4], s32 offset:1152 ; 8-byte Folded Spill
	v_cmpx_ne_u32_e32 0x7f, v1
	s_cbranch_execz .LBB268_953
; %bb.950:                              ;   in Loop: Header=BB268_16 Depth=1
	v_and_b32_e32 v14, 7, v2
	v_lshrrev_b32_e32 v0, 3, v1
	s_mov_b32 s25, exec_lo
	v_cmpx_gt_u32_e32 8, v1
; %bb.951:                              ;   in Loop: Header=BB268_16 Depth=1
	s_delay_alu instid0(VALU_DEP_3) | instskip(NEXT) | instid1(VALU_DEP_1)
	v_clz_i32_u32_e32 v0, v14
	v_min_u32_e32 v0, 32, v0
	s_delay_alu instid0(VALU_DEP_1) | instskip(SKIP_1) | instid1(VALU_DEP_2)
	v_subrev_nc_u32_e32 v1, 28, v0
	v_sub_nc_u32_e32 v0, 29, v0
	v_lshlrev_b64 v[3:4], v1, v[14:15]
	s_delay_alu instid0(VALU_DEP_1)
	v_and_b32_e32 v14, 7, v3
; %bb.952:                              ;   in Loop: Header=BB268_16 Depth=1
	s_or_b32 exec_lo, exec_lo, s25
	v_lshlrev_b32_e32 v1, 24, v2
	s_delay_alu instid0(VALU_DEP_2) | instskip(SKIP_1) | instid1(VALU_DEP_3)
	v_lshlrev_b32_e32 v3, 20, v14
	v_lshl_add_u32 v0, v0, 23, 0x3c000000
	v_and_b32_e32 v1, 0x80000000, v1
	s_delay_alu instid0(VALU_DEP_1)
	v_or3_b32 v14, v3, v1, v0
	scratch_store_b64 off, v[14:15], s32 offset:1152 ; 8-byte Folded Spill
.LBB268_953:                            ;   in Loop: Header=BB268_16 Depth=1
	s_or_b32 exec_lo, exec_lo, s24
.LBB268_954:                            ;   in Loop: Header=BB268_16 Depth=1
	s_delay_alu instid0(SALU_CYCLE_1)
	s_or_b32 exec_lo, exec_lo, s23
.LBB268_955:                            ;   in Loop: Header=BB268_16 Depth=1
	s_delay_alu instid0(SALU_CYCLE_1) | instskip(SKIP_2) | instid1(VALU_DEP_1)
	s_or_b32 exec_lo, exec_lo, s2
	v_lshrrev_b16 v0, 8, v2
	s_mov_b32 s23, exec_lo
	v_cmpx_ne_u16_e32 0, v0
	s_cbranch_execz .LBB268_963
; %bb.956:                              ;   in Loop: Header=BB268_16 Depth=1
	v_dual_mov_b32 v31, s9 :: v_dual_mov_b32 v30, s8
	s_mov_b32 s24, exec_lo
	v_cmpx_ne_u16_e32 0x80, v0
	s_cbranch_execz .LBB268_962
; %bb.957:                              ;   in Loop: Header=BB268_16 Depth=1
	s_mov_b32 s2, s8
	v_dual_mov_b32 v31, s3 :: v_dual_and_b32 v0, 0xffff, v0
	v_mov_b32_e32 v30, s2
	s_mov_b32 s2, exec_lo
	s_delay_alu instid0(VALU_DEP_2) | instskip(NEXT) | instid1(VALU_DEP_1)
	v_and_b32_e32 v1, 0x7f, v0
	v_cmpx_ne_u32_e32 0x7f, v1
	s_cbranch_execz .LBB268_961
; %bb.958:                              ;   in Loop: Header=BB268_16 Depth=1
	v_and_b32_e32 v14, 7, v0
	v_lshrrev_b32_e32 v0, 3, v1
	s_mov_b32 s25, exec_lo
	v_cmpx_gt_u32_e32 8, v1
; %bb.959:                              ;   in Loop: Header=BB268_16 Depth=1
	s_delay_alu instid0(VALU_DEP_3) | instskip(NEXT) | instid1(VALU_DEP_1)
	v_clz_i32_u32_e32 v0, v14
	v_min_u32_e32 v0, 32, v0
	s_delay_alu instid0(VALU_DEP_1) | instskip(SKIP_1) | instid1(VALU_DEP_2)
	v_subrev_nc_u32_e32 v1, 28, v0
	v_sub_nc_u32_e32 v0, 29, v0
	v_lshlrev_b64 v[3:4], v1, v[14:15]
	s_delay_alu instid0(VALU_DEP_1)
	v_and_b32_e32 v14, 7, v3
; %bb.960:                              ;   in Loop: Header=BB268_16 Depth=1
	s_or_b32 exec_lo, exec_lo, s25
	v_dual_mov_b32 v30, v15 :: v_dual_lshlrev_b32 v1, 16, v2
	s_delay_alu instid0(VALU_DEP_2) | instskip(SKIP_1) | instid1(VALU_DEP_3)
	v_lshlrev_b32_e32 v3, 20, v14
	v_lshl_add_u32 v0, v0, 23, 0x3c000000
	v_and_b32_e32 v1, 0x80000000, v1
	s_delay_alu instid0(VALU_DEP_1)
	v_or3_b32 v31, v3, v1, v0
.LBB268_961:                            ;   in Loop: Header=BB268_16 Depth=1
	s_or_b32 exec_lo, exec_lo, s2
.LBB268_962:                            ;   in Loop: Header=BB268_16 Depth=1
	s_delay_alu instid0(SALU_CYCLE_1)
	s_or_b32 exec_lo, exec_lo, s24
.LBB268_963:                            ;   in Loop: Header=BB268_16 Depth=1
	s_delay_alu instid0(SALU_CYCLE_1) | instskip(SKIP_4) | instid1(VALU_DEP_3)
	s_or_b32 exec_lo, exec_lo, s23
	v_lshrrev_b32_e32 v3, 16, v2
	v_mov_b32_e32 v36, 0
	v_mov_b32_e32 v37, 0
	s_mov_b32 s2, exec_lo
	v_and_b32_e32 v0, 0xff, v3
	scratch_store_b64 off, v[36:37], s32 offset:1160 ; 8-byte Folded Spill
	v_cmpx_ne_u16_e32 0, v0
	s_cbranch_execz .LBB268_971
; %bb.964:                              ;   in Loop: Header=BB268_16 Depth=1
	v_cmp_ne_u16_e64 s1, 0x80, v0
	v_bfrev_b32_e32 v0, 1
	v_mov_b32_e32 v1, 0
	scratch_store_b64 off, v[0:1], s32 offset:1160 ; 8-byte Folded Spill
	s_and_saveexec_b32 s23, s1
	s_cbranch_execz .LBB268_970
; %bb.965:                              ;   in Loop: Header=BB268_16 Depth=1
	v_mov_b32_e32 v4, 0x7f800001
	v_bfe_u32 v1, v2, 16, 7
	v_mov_b32_e32 v5, 0
	s_mov_b32 s24, exec_lo
	scratch_store_b64 off, v[4:5], s32 offset:1160 ; 8-byte Folded Spill
	v_cmpx_ne_u32_e32 0x7f, v1
	s_cbranch_execz .LBB268_969
; %bb.966:                              ;   in Loop: Header=BB268_16 Depth=1
	v_and_b32_e32 v14, 7, v3
	v_lshrrev_b32_e32 v0, 3, v1
	s_mov_b32 s25, exec_lo
	v_cmpx_gt_u32_e32 8, v1
; %bb.967:                              ;   in Loop: Header=BB268_16 Depth=1
	s_delay_alu instid0(VALU_DEP_3) | instskip(NEXT) | instid1(VALU_DEP_1)
	v_clz_i32_u32_e32 v0, v14
	v_min_u32_e32 v0, 32, v0
	s_delay_alu instid0(VALU_DEP_1) | instskip(SKIP_1) | instid1(VALU_DEP_2)
	v_subrev_nc_u32_e32 v1, 28, v0
	v_sub_nc_u32_e32 v0, 29, v0
	v_lshlrev_b64 v[4:5], v1, v[14:15]
	s_delay_alu instid0(VALU_DEP_1)
	v_and_b32_e32 v14, 7, v4
; %bb.968:                              ;   in Loop: Header=BB268_16 Depth=1
	s_or_b32 exec_lo, exec_lo, s25
	v_lshlrev_b32_e32 v1, 24, v3
	s_delay_alu instid0(VALU_DEP_2) | instskip(SKIP_1) | instid1(VALU_DEP_3)
	v_lshlrev_b32_e32 v3, 20, v14
	v_lshl_add_u32 v0, v0, 23, 0x3c000000
	v_and_b32_e32 v1, 0x80000000, v1
	s_delay_alu instid0(VALU_DEP_1)
	v_or3_b32 v14, v3, v1, v0
	scratch_store_b64 off, v[14:15], s32 offset:1160 ; 8-byte Folded Spill
.LBB268_969:                            ;   in Loop: Header=BB268_16 Depth=1
	s_or_b32 exec_lo, exec_lo, s24
.LBB268_970:                            ;   in Loop: Header=BB268_16 Depth=1
	s_delay_alu instid0(SALU_CYCLE_1)
	s_or_b32 exec_lo, exec_lo, s23
.LBB268_971:                            ;   in Loop: Header=BB268_16 Depth=1
	s_delay_alu instid0(SALU_CYCLE_1) | instskip(NEXT) | instid1(SALU_CYCLE_1)
	s_or_b32 exec_lo, exec_lo, s2
	s_mov_b32 s23, exec_lo
	v_cmpx_lt_u32_e32 0xffffff, v2
	s_cbranch_execz .LBB268_979
; %bb.972:                              ;   in Loop: Header=BB268_16 Depth=1
	v_lshrrev_b32_e32 v0, 24, v2
	v_dual_mov_b32 v37, s9 :: v_dual_mov_b32 v36, s8
	s_mov_b32 s24, exec_lo
	s_delay_alu instid0(VALU_DEP_2)
	v_cmpx_ne_u32_e32 0x80, v0
	s_cbranch_execz .LBB268_978
; %bb.973:                              ;   in Loop: Header=BB268_16 Depth=1
	s_mov_b32 s2, s8
	v_bfe_u32 v2, v2, 24, 7
	v_dual_mov_b32 v37, s3 :: v_dual_mov_b32 v36, s2
	s_mov_b32 s2, exec_lo
	s_delay_alu instid0(VALU_DEP_2)
	v_cmpx_ne_u32_e32 0x7f, v2
	s_cbranch_execz .LBB268_977
; %bb.974:                              ;   in Loop: Header=BB268_16 Depth=1
	v_and_b32_e32 v14, 7, v0
	v_lshrrev_b32_e32 v1, 3, v2
	s_mov_b32 s25, exec_lo
	v_cmpx_gt_u32_e32 8, v2
; %bb.975:                              ;   in Loop: Header=BB268_16 Depth=1
	s_delay_alu instid0(VALU_DEP_3) | instskip(NEXT) | instid1(VALU_DEP_1)
	v_clz_i32_u32_e32 v1, v14
	v_min_u32_e32 v1, 32, v1
	s_delay_alu instid0(VALU_DEP_1) | instskip(SKIP_1) | instid1(VALU_DEP_2)
	v_subrev_nc_u32_e32 v2, 28, v1
	v_sub_nc_u32_e32 v1, 29, v1
	v_lshlrev_b64 v[2:3], v2, v[14:15]
	s_delay_alu instid0(VALU_DEP_1)
	v_and_b32_e32 v14, 7, v2
; %bb.976:                              ;   in Loop: Header=BB268_16 Depth=1
	s_or_b32 exec_lo, exec_lo, s25
	v_lshlrev_b32_e32 v0, 24, v0
	s_delay_alu instid0(VALU_DEP_2) | instskip(SKIP_2) | instid1(VALU_DEP_4)
	v_lshlrev_b32_e32 v2, 20, v14
	v_lshl_add_u32 v1, v1, 23, 0x3c000000
	v_mov_b32_e32 v36, v15
	v_and_b32_e32 v0, 0x80000000, v0
	s_delay_alu instid0(VALU_DEP_1)
	v_or3_b32 v37, v2, v0, v1
.LBB268_977:                            ;   in Loop: Header=BB268_16 Depth=1
	s_or_b32 exec_lo, exec_lo, s2
.LBB268_978:                            ;   in Loop: Header=BB268_16 Depth=1
	s_delay_alu instid0(SALU_CYCLE_1)
	s_or_b32 exec_lo, exec_lo, s24
.LBB268_979:                            ;   in Loop: Header=BB268_16 Depth=1
	s_delay_alu instid0(SALU_CYCLE_1)
	s_or_b32 exec_lo, exec_lo, s23
	flat_load_b32 v2, v[142:143] offset:3592
	v_mov_b32_e32 v76, 0
	v_mov_b32_e32 v77, 0
	s_mov_b32 s2, exec_lo
	s_waitcnt vmcnt(0) lgkmcnt(0)
	v_and_b32_e32 v0, 0xff, v2
	scratch_store_b64 off, v[76:77], s32 offset:1168 ; 8-byte Folded Spill
	v_cmpx_ne_u16_e32 0, v0
	s_cbranch_execz .LBB268_987
; %bb.980:                              ;   in Loop: Header=BB268_16 Depth=1
	v_cmp_ne_u16_e64 s1, 0x80, v0
	v_bfrev_b32_e32 v0, 1
	v_mov_b32_e32 v1, 0
	scratch_store_b64 off, v[0:1], s32 offset:1168 ; 8-byte Folded Spill
	s_and_saveexec_b32 s23, s1
	s_cbranch_execz .LBB268_986
; %bb.981:                              ;   in Loop: Header=BB268_16 Depth=1
	v_mov_b32_e32 v3, 0x7f800001
	v_dual_mov_b32 v4, 0 :: v_dual_and_b32 v1, 0x7f, v2
	s_mov_b32 s24, exec_lo
	scratch_store_b64 off, v[3:4], s32 offset:1168 ; 8-byte Folded Spill
	v_cmpx_ne_u32_e32 0x7f, v1
	s_cbranch_execz .LBB268_985
; %bb.982:                              ;   in Loop: Header=BB268_16 Depth=1
	v_and_b32_e32 v14, 7, v2
	v_lshrrev_b32_e32 v0, 3, v1
	s_mov_b32 s25, exec_lo
	v_cmpx_gt_u32_e32 8, v1
; %bb.983:                              ;   in Loop: Header=BB268_16 Depth=1
	s_delay_alu instid0(VALU_DEP_3) | instskip(NEXT) | instid1(VALU_DEP_1)
	v_clz_i32_u32_e32 v0, v14
	v_min_u32_e32 v0, 32, v0
	s_delay_alu instid0(VALU_DEP_1) | instskip(SKIP_1) | instid1(VALU_DEP_2)
	v_subrev_nc_u32_e32 v1, 28, v0
	v_sub_nc_u32_e32 v0, 29, v0
	v_lshlrev_b64 v[3:4], v1, v[14:15]
	s_delay_alu instid0(VALU_DEP_1)
	v_and_b32_e32 v14, 7, v3
; %bb.984:                              ;   in Loop: Header=BB268_16 Depth=1
	s_or_b32 exec_lo, exec_lo, s25
	v_lshlrev_b32_e32 v1, 24, v2
	s_delay_alu instid0(VALU_DEP_2) | instskip(SKIP_1) | instid1(VALU_DEP_3)
	v_lshlrev_b32_e32 v3, 20, v14
	v_lshl_add_u32 v0, v0, 23, 0x3c000000
	v_and_b32_e32 v1, 0x80000000, v1
	s_delay_alu instid0(VALU_DEP_1)
	v_or3_b32 v14, v3, v1, v0
	scratch_store_b64 off, v[14:15], s32 offset:1168 ; 8-byte Folded Spill
.LBB268_985:                            ;   in Loop: Header=BB268_16 Depth=1
	s_or_b32 exec_lo, exec_lo, s24
.LBB268_986:                            ;   in Loop: Header=BB268_16 Depth=1
	s_delay_alu instid0(SALU_CYCLE_1)
	s_or_b32 exec_lo, exec_lo, s23
.LBB268_987:                            ;   in Loop: Header=BB268_16 Depth=1
	s_delay_alu instid0(SALU_CYCLE_1) | instskip(SKIP_2) | instid1(VALU_DEP_1)
	s_or_b32 exec_lo, exec_lo, s2
	v_lshrrev_b16 v0, 8, v2
	s_mov_b32 s23, exec_lo
	v_cmpx_ne_u16_e32 0, v0
	s_cbranch_execz .LBB268_995
; %bb.988:                              ;   in Loop: Header=BB268_16 Depth=1
	v_dual_mov_b32 v77, s9 :: v_dual_mov_b32 v76, s8
	s_mov_b32 s24, exec_lo
	v_cmpx_ne_u16_e32 0x80, v0
	s_cbranch_execz .LBB268_994
; %bb.989:                              ;   in Loop: Header=BB268_16 Depth=1
	s_mov_b32 s2, s8
	v_dual_mov_b32 v77, s3 :: v_dual_and_b32 v0, 0xffff, v0
	v_mov_b32_e32 v76, s2
	s_mov_b32 s2, exec_lo
	s_delay_alu instid0(VALU_DEP_2) | instskip(NEXT) | instid1(VALU_DEP_1)
	v_and_b32_e32 v1, 0x7f, v0
	v_cmpx_ne_u32_e32 0x7f, v1
	s_cbranch_execz .LBB268_993
; %bb.990:                              ;   in Loop: Header=BB268_16 Depth=1
	v_and_b32_e32 v14, 7, v0
	v_lshrrev_b32_e32 v0, 3, v1
	s_mov_b32 s25, exec_lo
	v_cmpx_gt_u32_e32 8, v1
; %bb.991:                              ;   in Loop: Header=BB268_16 Depth=1
	s_delay_alu instid0(VALU_DEP_3) | instskip(NEXT) | instid1(VALU_DEP_1)
	v_clz_i32_u32_e32 v0, v14
	v_min_u32_e32 v0, 32, v0
	s_delay_alu instid0(VALU_DEP_1) | instskip(SKIP_1) | instid1(VALU_DEP_2)
	v_subrev_nc_u32_e32 v1, 28, v0
	v_sub_nc_u32_e32 v0, 29, v0
	v_lshlrev_b64 v[3:4], v1, v[14:15]
	s_delay_alu instid0(VALU_DEP_1)
	v_and_b32_e32 v14, 7, v3
; %bb.992:                              ;   in Loop: Header=BB268_16 Depth=1
	s_or_b32 exec_lo, exec_lo, s25
	v_dual_mov_b32 v76, v15 :: v_dual_lshlrev_b32 v1, 16, v2
	s_delay_alu instid0(VALU_DEP_2) | instskip(SKIP_1) | instid1(VALU_DEP_3)
	v_lshlrev_b32_e32 v3, 20, v14
	v_lshl_add_u32 v0, v0, 23, 0x3c000000
	v_and_b32_e32 v1, 0x80000000, v1
	s_delay_alu instid0(VALU_DEP_1)
	v_or3_b32 v77, v3, v1, v0
.LBB268_993:                            ;   in Loop: Header=BB268_16 Depth=1
	s_or_b32 exec_lo, exec_lo, s2
.LBB268_994:                            ;   in Loop: Header=BB268_16 Depth=1
	s_delay_alu instid0(SALU_CYCLE_1)
	s_or_b32 exec_lo, exec_lo, s24
.LBB268_995:                            ;   in Loop: Header=BB268_16 Depth=1
	s_delay_alu instid0(SALU_CYCLE_1) | instskip(SKIP_4) | instid1(VALU_DEP_3)
	s_or_b32 exec_lo, exec_lo, s23
	v_lshrrev_b32_e32 v3, 16, v2
	v_mov_b32_e32 v88, 0
	v_mov_b32_e32 v89, 0
	s_mov_b32 s2, exec_lo
	v_and_b32_e32 v0, 0xff, v3
	scratch_store_b64 off, v[88:89], s32 offset:1176 ; 8-byte Folded Spill
	v_cmpx_ne_u16_e32 0, v0
	s_cbranch_execz .LBB268_1003
; %bb.996:                              ;   in Loop: Header=BB268_16 Depth=1
	v_cmp_ne_u16_e64 s1, 0x80, v0
	v_bfrev_b32_e32 v0, 1
	v_mov_b32_e32 v1, 0
	scratch_store_b64 off, v[0:1], s32 offset:1176 ; 8-byte Folded Spill
	s_and_saveexec_b32 s23, s1
	s_cbranch_execz .LBB268_1002
; %bb.997:                              ;   in Loop: Header=BB268_16 Depth=1
	v_mov_b32_e32 v4, 0x7f800001
	v_bfe_u32 v1, v2, 16, 7
	v_mov_b32_e32 v5, 0
	s_mov_b32 s24, exec_lo
	scratch_store_b64 off, v[4:5], s32 offset:1176 ; 8-byte Folded Spill
	v_cmpx_ne_u32_e32 0x7f, v1
	s_cbranch_execz .LBB268_1001
; %bb.998:                              ;   in Loop: Header=BB268_16 Depth=1
	v_and_b32_e32 v14, 7, v3
	v_lshrrev_b32_e32 v0, 3, v1
	s_mov_b32 s25, exec_lo
	v_cmpx_gt_u32_e32 8, v1
; %bb.999:                              ;   in Loop: Header=BB268_16 Depth=1
	s_delay_alu instid0(VALU_DEP_3) | instskip(NEXT) | instid1(VALU_DEP_1)
	v_clz_i32_u32_e32 v0, v14
	v_min_u32_e32 v0, 32, v0
	s_delay_alu instid0(VALU_DEP_1) | instskip(SKIP_1) | instid1(VALU_DEP_2)
	v_subrev_nc_u32_e32 v1, 28, v0
	v_sub_nc_u32_e32 v0, 29, v0
	v_lshlrev_b64 v[4:5], v1, v[14:15]
	s_delay_alu instid0(VALU_DEP_1)
	v_and_b32_e32 v14, 7, v4
; %bb.1000:                             ;   in Loop: Header=BB268_16 Depth=1
	s_or_b32 exec_lo, exec_lo, s25
	v_lshlrev_b32_e32 v1, 24, v3
	s_delay_alu instid0(VALU_DEP_2) | instskip(SKIP_1) | instid1(VALU_DEP_3)
	v_lshlrev_b32_e32 v3, 20, v14
	v_lshl_add_u32 v0, v0, 23, 0x3c000000
	v_and_b32_e32 v1, 0x80000000, v1
	s_delay_alu instid0(VALU_DEP_1)
	v_or3_b32 v14, v3, v1, v0
	scratch_store_b64 off, v[14:15], s32 offset:1176 ; 8-byte Folded Spill
.LBB268_1001:                           ;   in Loop: Header=BB268_16 Depth=1
	s_or_b32 exec_lo, exec_lo, s24
.LBB268_1002:                           ;   in Loop: Header=BB268_16 Depth=1
	s_delay_alu instid0(SALU_CYCLE_1)
	s_or_b32 exec_lo, exec_lo, s23
.LBB268_1003:                           ;   in Loop: Header=BB268_16 Depth=1
	s_delay_alu instid0(SALU_CYCLE_1) | instskip(NEXT) | instid1(SALU_CYCLE_1)
	s_or_b32 exec_lo, exec_lo, s2
	s_mov_b32 s23, exec_lo
	v_cmpx_lt_u32_e32 0xffffff, v2
	s_cbranch_execz .LBB268_1011
; %bb.1004:                             ;   in Loop: Header=BB268_16 Depth=1
	v_lshrrev_b32_e32 v0, 24, v2
	v_dual_mov_b32 v89, s9 :: v_dual_mov_b32 v88, s8
	s_mov_b32 s24, exec_lo
	s_delay_alu instid0(VALU_DEP_2)
	v_cmpx_ne_u32_e32 0x80, v0
	s_cbranch_execz .LBB268_1010
; %bb.1005:                             ;   in Loop: Header=BB268_16 Depth=1
	s_mov_b32 s2, s8
	v_bfe_u32 v2, v2, 24, 7
	v_dual_mov_b32 v89, s3 :: v_dual_mov_b32 v88, s2
	s_mov_b32 s2, exec_lo
	s_delay_alu instid0(VALU_DEP_2)
	v_cmpx_ne_u32_e32 0x7f, v2
	s_cbranch_execz .LBB268_1009
; %bb.1006:                             ;   in Loop: Header=BB268_16 Depth=1
	v_and_b32_e32 v14, 7, v0
	v_lshrrev_b32_e32 v1, 3, v2
	s_mov_b32 s25, exec_lo
	v_cmpx_gt_u32_e32 8, v2
; %bb.1007:                             ;   in Loop: Header=BB268_16 Depth=1
	s_delay_alu instid0(VALU_DEP_3) | instskip(NEXT) | instid1(VALU_DEP_1)
	v_clz_i32_u32_e32 v1, v14
	v_min_u32_e32 v1, 32, v1
	s_delay_alu instid0(VALU_DEP_1) | instskip(SKIP_1) | instid1(VALU_DEP_2)
	v_subrev_nc_u32_e32 v2, 28, v1
	v_sub_nc_u32_e32 v1, 29, v1
	v_lshlrev_b64 v[2:3], v2, v[14:15]
	s_delay_alu instid0(VALU_DEP_1)
	v_and_b32_e32 v14, 7, v2
; %bb.1008:                             ;   in Loop: Header=BB268_16 Depth=1
	s_or_b32 exec_lo, exec_lo, s25
	v_lshlrev_b32_e32 v0, 24, v0
	s_delay_alu instid0(VALU_DEP_2) | instskip(SKIP_2) | instid1(VALU_DEP_4)
	v_lshlrev_b32_e32 v2, 20, v14
	v_lshl_add_u32 v1, v1, 23, 0x3c000000
	v_mov_b32_e32 v88, v15
	v_and_b32_e32 v0, 0x80000000, v0
	s_delay_alu instid0(VALU_DEP_1)
	v_or3_b32 v89, v2, v0, v1
.LBB268_1009:                           ;   in Loop: Header=BB268_16 Depth=1
	s_or_b32 exec_lo, exec_lo, s2
.LBB268_1010:                           ;   in Loop: Header=BB268_16 Depth=1
	s_delay_alu instid0(SALU_CYCLE_1)
	s_or_b32 exec_lo, exec_lo, s24
.LBB268_1011:                           ;   in Loop: Header=BB268_16 Depth=1
	s_delay_alu instid0(SALU_CYCLE_1)
	s_or_b32 exec_lo, exec_lo, s23
	flat_load_b32 v2, v[142:143] offset:3596
	v_mov_b32_e32 v92, 0
	v_mov_b32_e32 v93, 0
	s_mov_b32 s2, exec_lo
	s_waitcnt vmcnt(0) lgkmcnt(0)
	v_and_b32_e32 v0, 0xff, v2
	scratch_store_b64 off, v[92:93], s32 offset:1184 ; 8-byte Folded Spill
	v_cmpx_ne_u16_e32 0, v0
	s_cbranch_execz .LBB268_1019
; %bb.1012:                             ;   in Loop: Header=BB268_16 Depth=1
	v_cmp_ne_u16_e64 s1, 0x80, v0
	v_bfrev_b32_e32 v0, 1
	v_mov_b32_e32 v1, 0
	scratch_store_b64 off, v[0:1], s32 offset:1184 ; 8-byte Folded Spill
	s_and_saveexec_b32 s23, s1
	s_cbranch_execz .LBB268_1018
; %bb.1013:                             ;   in Loop: Header=BB268_16 Depth=1
	v_mov_b32_e32 v3, 0x7f800001
	v_dual_mov_b32 v4, 0 :: v_dual_and_b32 v1, 0x7f, v2
	s_mov_b32 s24, exec_lo
	scratch_store_b64 off, v[3:4], s32 offset:1184 ; 8-byte Folded Spill
	v_cmpx_ne_u32_e32 0x7f, v1
	s_cbranch_execz .LBB268_1017
; %bb.1014:                             ;   in Loop: Header=BB268_16 Depth=1
	v_and_b32_e32 v14, 7, v2
	v_lshrrev_b32_e32 v0, 3, v1
	s_mov_b32 s25, exec_lo
	v_cmpx_gt_u32_e32 8, v1
; %bb.1015:                             ;   in Loop: Header=BB268_16 Depth=1
	s_delay_alu instid0(VALU_DEP_3) | instskip(NEXT) | instid1(VALU_DEP_1)
	v_clz_i32_u32_e32 v0, v14
	v_min_u32_e32 v0, 32, v0
	s_delay_alu instid0(VALU_DEP_1) | instskip(SKIP_1) | instid1(VALU_DEP_2)
	v_subrev_nc_u32_e32 v1, 28, v0
	v_sub_nc_u32_e32 v0, 29, v0
	v_lshlrev_b64 v[3:4], v1, v[14:15]
	s_delay_alu instid0(VALU_DEP_1)
	v_and_b32_e32 v14, 7, v3
; %bb.1016:                             ;   in Loop: Header=BB268_16 Depth=1
	s_or_b32 exec_lo, exec_lo, s25
	v_lshlrev_b32_e32 v1, 24, v2
	s_delay_alu instid0(VALU_DEP_2) | instskip(SKIP_1) | instid1(VALU_DEP_3)
	v_lshlrev_b32_e32 v3, 20, v14
	v_lshl_add_u32 v0, v0, 23, 0x3c000000
	v_and_b32_e32 v1, 0x80000000, v1
	s_delay_alu instid0(VALU_DEP_1)
	v_or3_b32 v14, v3, v1, v0
	scratch_store_b64 off, v[14:15], s32 offset:1184 ; 8-byte Folded Spill
.LBB268_1017:                           ;   in Loop: Header=BB268_16 Depth=1
	s_or_b32 exec_lo, exec_lo, s24
.LBB268_1018:                           ;   in Loop: Header=BB268_16 Depth=1
	s_delay_alu instid0(SALU_CYCLE_1)
	s_or_b32 exec_lo, exec_lo, s23
.LBB268_1019:                           ;   in Loop: Header=BB268_16 Depth=1
	s_delay_alu instid0(SALU_CYCLE_1) | instskip(SKIP_2) | instid1(VALU_DEP_1)
	s_or_b32 exec_lo, exec_lo, s2
	v_lshrrev_b16 v0, 8, v2
	s_mov_b32 s23, exec_lo
	v_cmpx_ne_u16_e32 0, v0
	s_cbranch_execz .LBB268_1027
; %bb.1020:                             ;   in Loop: Header=BB268_16 Depth=1
	v_dual_mov_b32 v93, s9 :: v_dual_mov_b32 v92, s8
	s_mov_b32 s24, exec_lo
	v_cmpx_ne_u16_e32 0x80, v0
	s_cbranch_execz .LBB268_1026
; %bb.1021:                             ;   in Loop: Header=BB268_16 Depth=1
	s_mov_b32 s2, s8
	v_dual_mov_b32 v93, s3 :: v_dual_and_b32 v0, 0xffff, v0
	v_mov_b32_e32 v92, s2
	s_mov_b32 s2, exec_lo
	s_delay_alu instid0(VALU_DEP_2) | instskip(NEXT) | instid1(VALU_DEP_1)
	v_and_b32_e32 v1, 0x7f, v0
	v_cmpx_ne_u32_e32 0x7f, v1
	s_cbranch_execz .LBB268_1025
; %bb.1022:                             ;   in Loop: Header=BB268_16 Depth=1
	v_and_b32_e32 v14, 7, v0
	v_lshrrev_b32_e32 v0, 3, v1
	s_mov_b32 s25, exec_lo
	v_cmpx_gt_u32_e32 8, v1
; %bb.1023:                             ;   in Loop: Header=BB268_16 Depth=1
	s_delay_alu instid0(VALU_DEP_3) | instskip(NEXT) | instid1(VALU_DEP_1)
	v_clz_i32_u32_e32 v0, v14
	v_min_u32_e32 v0, 32, v0
	s_delay_alu instid0(VALU_DEP_1) | instskip(SKIP_1) | instid1(VALU_DEP_2)
	v_subrev_nc_u32_e32 v1, 28, v0
	v_sub_nc_u32_e32 v0, 29, v0
	v_lshlrev_b64 v[3:4], v1, v[14:15]
	s_delay_alu instid0(VALU_DEP_1)
	v_and_b32_e32 v14, 7, v3
; %bb.1024:                             ;   in Loop: Header=BB268_16 Depth=1
	s_or_b32 exec_lo, exec_lo, s25
	v_dual_mov_b32 v92, v15 :: v_dual_lshlrev_b32 v1, 16, v2
	s_delay_alu instid0(VALU_DEP_2) | instskip(SKIP_1) | instid1(VALU_DEP_3)
	v_lshlrev_b32_e32 v3, 20, v14
	v_lshl_add_u32 v0, v0, 23, 0x3c000000
	v_and_b32_e32 v1, 0x80000000, v1
	s_delay_alu instid0(VALU_DEP_1)
	v_or3_b32 v93, v3, v1, v0
.LBB268_1025:                           ;   in Loop: Header=BB268_16 Depth=1
	s_or_b32 exec_lo, exec_lo, s2
.LBB268_1026:                           ;   in Loop: Header=BB268_16 Depth=1
	s_delay_alu instid0(SALU_CYCLE_1)
	s_or_b32 exec_lo, exec_lo, s24
.LBB268_1027:                           ;   in Loop: Header=BB268_16 Depth=1
	s_delay_alu instid0(SALU_CYCLE_1) | instskip(SKIP_4) | instid1(VALU_DEP_3)
	s_or_b32 exec_lo, exec_lo, s23
	v_lshrrev_b32_e32 v3, 16, v2
	v_mov_b32_e32 v104, 0
	v_mov_b32_e32 v105, 0
	s_mov_b32 s2, exec_lo
	v_and_b32_e32 v0, 0xff, v3
	scratch_store_b64 off, v[104:105], s32 offset:1192 ; 8-byte Folded Spill
	v_cmpx_ne_u16_e32 0, v0
	s_cbranch_execz .LBB268_1035
; %bb.1028:                             ;   in Loop: Header=BB268_16 Depth=1
	v_cmp_ne_u16_e64 s1, 0x80, v0
	v_bfrev_b32_e32 v0, 1
	v_mov_b32_e32 v1, 0
	scratch_store_b64 off, v[0:1], s32 offset:1192 ; 8-byte Folded Spill
	s_and_saveexec_b32 s23, s1
	s_cbranch_execz .LBB268_1034
; %bb.1029:                             ;   in Loop: Header=BB268_16 Depth=1
	v_mov_b32_e32 v4, 0x7f800001
	v_bfe_u32 v1, v2, 16, 7
	v_mov_b32_e32 v5, 0
	s_mov_b32 s24, exec_lo
	scratch_store_b64 off, v[4:5], s32 offset:1192 ; 8-byte Folded Spill
	v_cmpx_ne_u32_e32 0x7f, v1
	s_cbranch_execz .LBB268_1033
; %bb.1030:                             ;   in Loop: Header=BB268_16 Depth=1
	v_and_b32_e32 v14, 7, v3
	v_lshrrev_b32_e32 v0, 3, v1
	s_mov_b32 s25, exec_lo
	v_cmpx_gt_u32_e32 8, v1
; %bb.1031:                             ;   in Loop: Header=BB268_16 Depth=1
	s_delay_alu instid0(VALU_DEP_3) | instskip(NEXT) | instid1(VALU_DEP_1)
	v_clz_i32_u32_e32 v0, v14
	v_min_u32_e32 v0, 32, v0
	s_delay_alu instid0(VALU_DEP_1) | instskip(SKIP_1) | instid1(VALU_DEP_2)
	v_subrev_nc_u32_e32 v1, 28, v0
	v_sub_nc_u32_e32 v0, 29, v0
	v_lshlrev_b64 v[4:5], v1, v[14:15]
	s_delay_alu instid0(VALU_DEP_1)
	v_and_b32_e32 v14, 7, v4
; %bb.1032:                             ;   in Loop: Header=BB268_16 Depth=1
	s_or_b32 exec_lo, exec_lo, s25
	v_lshlrev_b32_e32 v1, 24, v3
	s_delay_alu instid0(VALU_DEP_2) | instskip(SKIP_1) | instid1(VALU_DEP_3)
	v_lshlrev_b32_e32 v3, 20, v14
	v_lshl_add_u32 v0, v0, 23, 0x3c000000
	v_and_b32_e32 v1, 0x80000000, v1
	s_delay_alu instid0(VALU_DEP_1)
	v_or3_b32 v14, v3, v1, v0
	scratch_store_b64 off, v[14:15], s32 offset:1192 ; 8-byte Folded Spill
.LBB268_1033:                           ;   in Loop: Header=BB268_16 Depth=1
	s_or_b32 exec_lo, exec_lo, s24
.LBB268_1034:                           ;   in Loop: Header=BB268_16 Depth=1
	s_delay_alu instid0(SALU_CYCLE_1)
	s_or_b32 exec_lo, exec_lo, s23
.LBB268_1035:                           ;   in Loop: Header=BB268_16 Depth=1
	s_delay_alu instid0(SALU_CYCLE_1) | instskip(NEXT) | instid1(SALU_CYCLE_1)
	s_or_b32 exec_lo, exec_lo, s2
	s_mov_b32 s23, exec_lo
	v_cmpx_lt_u32_e32 0xffffff, v2
	s_cbranch_execz .LBB268_1043
; %bb.1036:                             ;   in Loop: Header=BB268_16 Depth=1
	v_lshrrev_b32_e32 v0, 24, v2
	v_dual_mov_b32 v105, s9 :: v_dual_mov_b32 v104, s8
	s_mov_b32 s24, exec_lo
	s_delay_alu instid0(VALU_DEP_2)
	v_cmpx_ne_u32_e32 0x80, v0
	s_cbranch_execz .LBB268_1042
; %bb.1037:                             ;   in Loop: Header=BB268_16 Depth=1
	s_mov_b32 s2, s8
	v_bfe_u32 v2, v2, 24, 7
	v_dual_mov_b32 v105, s3 :: v_dual_mov_b32 v104, s2
	s_mov_b32 s2, exec_lo
	s_delay_alu instid0(VALU_DEP_2)
	v_cmpx_ne_u32_e32 0x7f, v2
	s_cbranch_execz .LBB268_1041
; %bb.1038:                             ;   in Loop: Header=BB268_16 Depth=1
	v_and_b32_e32 v14, 7, v0
	v_lshrrev_b32_e32 v1, 3, v2
	s_mov_b32 s25, exec_lo
	v_cmpx_gt_u32_e32 8, v2
; %bb.1039:                             ;   in Loop: Header=BB268_16 Depth=1
	s_delay_alu instid0(VALU_DEP_3) | instskip(NEXT) | instid1(VALU_DEP_1)
	v_clz_i32_u32_e32 v1, v14
	v_min_u32_e32 v1, 32, v1
	s_delay_alu instid0(VALU_DEP_1) | instskip(SKIP_1) | instid1(VALU_DEP_2)
	v_subrev_nc_u32_e32 v2, 28, v1
	v_sub_nc_u32_e32 v1, 29, v1
	v_lshlrev_b64 v[2:3], v2, v[14:15]
	s_delay_alu instid0(VALU_DEP_1)
	v_and_b32_e32 v14, 7, v2
; %bb.1040:                             ;   in Loop: Header=BB268_16 Depth=1
	s_or_b32 exec_lo, exec_lo, s25
	v_lshlrev_b32_e32 v0, 24, v0
	s_delay_alu instid0(VALU_DEP_2) | instskip(SKIP_2) | instid1(VALU_DEP_4)
	v_lshlrev_b32_e32 v2, 20, v14
	v_lshl_add_u32 v1, v1, 23, 0x3c000000
	v_mov_b32_e32 v104, v15
	v_and_b32_e32 v0, 0x80000000, v0
	s_delay_alu instid0(VALU_DEP_1)
	v_or3_b32 v105, v2, v0, v1
.LBB268_1041:                           ;   in Loop: Header=BB268_16 Depth=1
	s_or_b32 exec_lo, exec_lo, s2
.LBB268_1042:                           ;   in Loop: Header=BB268_16 Depth=1
	s_delay_alu instid0(SALU_CYCLE_1)
	s_or_b32 exec_lo, exec_lo, s24
.LBB268_1043:                           ;   in Loop: Header=BB268_16 Depth=1
	s_delay_alu instid0(SALU_CYCLE_1) | instskip(SKIP_1) | instid1(VALU_DEP_1)
	s_or_b32 exec_lo, exec_lo, s23
	v_add_co_u32 v114, s1, 0x1000, v142
	v_add_co_ci_u32_e64 v115, s1, 0, v143, s1
	v_mov_b32_e32 v142, 0
	s_mov_b32 s2, exec_lo
	flat_load_b32 v2, v[114:115]
	s_waitcnt vmcnt(0) lgkmcnt(0)
	v_dual_mov_b32 v143, 0 :: v_dual_and_b32 v0, 0xff, v2
	s_delay_alu instid0(VALU_DEP_1) | instskip(NEXT) | instid1(VALU_DEP_2)
	v_dual_mov_b32 v84, v142 :: v_dual_mov_b32 v85, v143
	v_cmpx_ne_u16_e32 0, v0
	s_cbranch_execz .LBB268_1051
; %bb.1044:                             ;   in Loop: Header=BB268_16 Depth=1
	v_bfrev_b32_e32 v84, 1
	v_mov_b32_e32 v85, 0
	s_mov_b32 s23, exec_lo
	v_cmpx_ne_u16_e32 0x80, v0
	s_cbranch_execz .LBB268_1050
; %bb.1045:                             ;   in Loop: Header=BB268_16 Depth=1
	v_mov_b32_e32 v84, 0x7f800001
	v_and_b32_e32 v1, 0x7f, v2
	v_mov_b32_e32 v85, 0
	s_mov_b32 s24, exec_lo
	s_delay_alu instid0(VALU_DEP_2)
	v_cmpx_ne_u32_e32 0x7f, v1
	s_cbranch_execz .LBB268_1049
; %bb.1046:                             ;   in Loop: Header=BB268_16 Depth=1
	v_and_b32_e32 v14, 7, v2
	v_lshrrev_b32_e32 v0, 3, v1
	s_mov_b32 s25, exec_lo
	v_cmpx_gt_u32_e32 8, v1
; %bb.1047:                             ;   in Loop: Header=BB268_16 Depth=1
	s_delay_alu instid0(VALU_DEP_3) | instskip(NEXT) | instid1(VALU_DEP_1)
	v_clz_i32_u32_e32 v0, v14
	v_min_u32_e32 v0, 32, v0
	s_delay_alu instid0(VALU_DEP_1) | instskip(SKIP_1) | instid1(VALU_DEP_2)
	v_subrev_nc_u32_e32 v1, 28, v0
	v_sub_nc_u32_e32 v0, 29, v0
	v_lshlrev_b64 v[3:4], v1, v[14:15]
	s_delay_alu instid0(VALU_DEP_1)
	v_and_b32_e32 v14, 7, v3
; %bb.1048:                             ;   in Loop: Header=BB268_16 Depth=1
	s_or_b32 exec_lo, exec_lo, s25
	v_lshlrev_b32_e32 v1, 24, v2
	s_delay_alu instid0(VALU_DEP_2) | instskip(SKIP_1) | instid1(VALU_DEP_3)
	v_lshlrev_b32_e32 v3, 20, v14
	v_lshl_add_u32 v0, v0, 23, 0x3c000000
	v_and_b32_e32 v1, 0x80000000, v1
	s_delay_alu instid0(VALU_DEP_1) | instskip(NEXT) | instid1(VALU_DEP_1)
	v_or3_b32 v14, v3, v1, v0
	v_dual_mov_b32 v85, v15 :: v_dual_mov_b32 v84, v14
.LBB268_1049:                           ;   in Loop: Header=BB268_16 Depth=1
	s_or_b32 exec_lo, exec_lo, s24
.LBB268_1050:                           ;   in Loop: Header=BB268_16 Depth=1
	s_delay_alu instid0(SALU_CYCLE_1)
	s_or_b32 exec_lo, exec_lo, s23
.LBB268_1051:                           ;   in Loop: Header=BB268_16 Depth=1
	s_delay_alu instid0(SALU_CYCLE_1) | instskip(SKIP_2) | instid1(VALU_DEP_1)
	s_or_b32 exec_lo, exec_lo, s2
	v_lshrrev_b16 v0, 8, v2
	s_mov_b32 s23, exec_lo
	v_cmpx_ne_u16_e32 0, v0
	s_cbranch_execz .LBB268_1059
; %bb.1052:                             ;   in Loop: Header=BB268_16 Depth=1
	v_dual_mov_b32 v143, s9 :: v_dual_mov_b32 v142, s8
	s_mov_b32 s24, exec_lo
	v_cmpx_ne_u16_e32 0x80, v0
	s_cbranch_execz .LBB268_1058
; %bb.1053:                             ;   in Loop: Header=BB268_16 Depth=1
	s_mov_b32 s2, s8
	v_dual_mov_b32 v143, s3 :: v_dual_and_b32 v0, 0xffff, v0
	v_mov_b32_e32 v142, s2
	s_mov_b32 s2, exec_lo
	s_delay_alu instid0(VALU_DEP_2) | instskip(NEXT) | instid1(VALU_DEP_1)
	v_and_b32_e32 v1, 0x7f, v0
	v_cmpx_ne_u32_e32 0x7f, v1
	s_cbranch_execz .LBB268_1057
; %bb.1054:                             ;   in Loop: Header=BB268_16 Depth=1
	v_and_b32_e32 v14, 7, v0
	v_lshrrev_b32_e32 v0, 3, v1
	s_mov_b32 s25, exec_lo
	v_cmpx_gt_u32_e32 8, v1
; %bb.1055:                             ;   in Loop: Header=BB268_16 Depth=1
	s_delay_alu instid0(VALU_DEP_3) | instskip(NEXT) | instid1(VALU_DEP_1)
	v_clz_i32_u32_e32 v0, v14
	v_min_u32_e32 v0, 32, v0
	s_delay_alu instid0(VALU_DEP_1) | instskip(SKIP_1) | instid1(VALU_DEP_2)
	v_subrev_nc_u32_e32 v1, 28, v0
	v_sub_nc_u32_e32 v0, 29, v0
	v_lshlrev_b64 v[3:4], v1, v[14:15]
	s_delay_alu instid0(VALU_DEP_1)
	v_and_b32_e32 v14, 7, v3
; %bb.1056:                             ;   in Loop: Header=BB268_16 Depth=1
	s_or_b32 exec_lo, exec_lo, s25
	v_dual_mov_b32 v142, v15 :: v_dual_lshlrev_b32 v1, 16, v2
	s_delay_alu instid0(VALU_DEP_2) | instskip(SKIP_1) | instid1(VALU_DEP_3)
	v_lshlrev_b32_e32 v3, 20, v14
	v_lshl_add_u32 v0, v0, 23, 0x3c000000
	v_and_b32_e32 v1, 0x80000000, v1
	s_delay_alu instid0(VALU_DEP_1)
	v_or3_b32 v143, v3, v1, v0
.LBB268_1057:                           ;   in Loop: Header=BB268_16 Depth=1
	s_or_b32 exec_lo, exec_lo, s2
.LBB268_1058:                           ;   in Loop: Header=BB268_16 Depth=1
	s_delay_alu instid0(SALU_CYCLE_1)
	s_or_b32 exec_lo, exec_lo, s24
.LBB268_1059:                           ;   in Loop: Header=BB268_16 Depth=1
	s_delay_alu instid0(SALU_CYCLE_1) | instskip(SKIP_4) | instid1(VALU_DEP_1)
	s_or_b32 exec_lo, exec_lo, s23
	v_mov_b32_e32 v108, 0
	v_lshrrev_b32_e32 v3, 16, v2
	v_mov_b32_e32 v109, 0
	s_mov_b32 s2, exec_lo
	v_dual_mov_b32 v117, v109 :: v_dual_and_b32 v0, 0xff, v3
	v_mov_b32_e32 v116, v108
	s_delay_alu instid0(VALU_DEP_2)
	v_cmpx_ne_u16_e32 0, v0
	s_cbranch_execz .LBB268_1067
; %bb.1060:                             ;   in Loop: Header=BB268_16 Depth=1
	v_bfrev_b32_e32 v116, 1
	v_mov_b32_e32 v117, 0
	s_mov_b32 s23, exec_lo
	v_cmpx_ne_u16_e32 0x80, v0
	s_cbranch_execz .LBB268_1066
; %bb.1061:                             ;   in Loop: Header=BB268_16 Depth=1
	v_mov_b32_e32 v116, 0x7f800001
	v_bfe_u32 v1, v2, 16, 7
	v_mov_b32_e32 v117, 0
	s_mov_b32 s24, exec_lo
	s_delay_alu instid0(VALU_DEP_2)
	v_cmpx_ne_u32_e32 0x7f, v1
	s_cbranch_execz .LBB268_1065
; %bb.1062:                             ;   in Loop: Header=BB268_16 Depth=1
	v_and_b32_e32 v14, 7, v3
	v_lshrrev_b32_e32 v0, 3, v1
	s_mov_b32 s25, exec_lo
	v_cmpx_gt_u32_e32 8, v1
; %bb.1063:                             ;   in Loop: Header=BB268_16 Depth=1
	s_delay_alu instid0(VALU_DEP_3) | instskip(NEXT) | instid1(VALU_DEP_1)
	v_clz_i32_u32_e32 v0, v14
	v_min_u32_e32 v0, 32, v0
	s_delay_alu instid0(VALU_DEP_1) | instskip(SKIP_1) | instid1(VALU_DEP_2)
	v_subrev_nc_u32_e32 v1, 28, v0
	v_sub_nc_u32_e32 v0, 29, v0
	v_lshlrev_b64 v[4:5], v1, v[14:15]
	s_delay_alu instid0(VALU_DEP_1)
	v_and_b32_e32 v14, 7, v4
; %bb.1064:                             ;   in Loop: Header=BB268_16 Depth=1
	s_or_b32 exec_lo, exec_lo, s25
	v_lshlrev_b32_e32 v1, 24, v3
	s_delay_alu instid0(VALU_DEP_2) | instskip(SKIP_1) | instid1(VALU_DEP_3)
	v_lshlrev_b32_e32 v3, 20, v14
	v_lshl_add_u32 v0, v0, 23, 0x3c000000
	v_and_b32_e32 v1, 0x80000000, v1
	s_delay_alu instid0(VALU_DEP_1) | instskip(NEXT) | instid1(VALU_DEP_1)
	v_or3_b32 v14, v3, v1, v0
	v_dual_mov_b32 v117, v15 :: v_dual_mov_b32 v116, v14
.LBB268_1065:                           ;   in Loop: Header=BB268_16 Depth=1
	s_or_b32 exec_lo, exec_lo, s24
.LBB268_1066:                           ;   in Loop: Header=BB268_16 Depth=1
	s_delay_alu instid0(SALU_CYCLE_1)
	s_or_b32 exec_lo, exec_lo, s23
.LBB268_1067:                           ;   in Loop: Header=BB268_16 Depth=1
	s_delay_alu instid0(SALU_CYCLE_1) | instskip(NEXT) | instid1(SALU_CYCLE_1)
	s_or_b32 exec_lo, exec_lo, s2
	s_mov_b32 s23, exec_lo
	v_cmpx_lt_u32_e32 0xffffff, v2
	s_cbranch_execz .LBB268_1075
; %bb.1068:                             ;   in Loop: Header=BB268_16 Depth=1
	v_lshrrev_b32_e32 v0, 24, v2
	v_dual_mov_b32 v109, s9 :: v_dual_mov_b32 v108, s8
	s_mov_b32 s24, exec_lo
	s_delay_alu instid0(VALU_DEP_2)
	v_cmpx_ne_u32_e32 0x80, v0
	s_cbranch_execz .LBB268_1074
; %bb.1069:                             ;   in Loop: Header=BB268_16 Depth=1
	s_mov_b32 s2, s8
	v_bfe_u32 v2, v2, 24, 7
	v_dual_mov_b32 v109, s3 :: v_dual_mov_b32 v108, s2
	s_mov_b32 s2, exec_lo
	s_delay_alu instid0(VALU_DEP_2)
	v_cmpx_ne_u32_e32 0x7f, v2
	s_cbranch_execz .LBB268_1073
; %bb.1070:                             ;   in Loop: Header=BB268_16 Depth=1
	v_and_b32_e32 v14, 7, v0
	v_lshrrev_b32_e32 v1, 3, v2
	s_mov_b32 s25, exec_lo
	v_cmpx_gt_u32_e32 8, v2
; %bb.1071:                             ;   in Loop: Header=BB268_16 Depth=1
	s_delay_alu instid0(VALU_DEP_3) | instskip(NEXT) | instid1(VALU_DEP_1)
	v_clz_i32_u32_e32 v1, v14
	v_min_u32_e32 v1, 32, v1
	s_delay_alu instid0(VALU_DEP_1) | instskip(SKIP_1) | instid1(VALU_DEP_2)
	v_subrev_nc_u32_e32 v2, 28, v1
	v_sub_nc_u32_e32 v1, 29, v1
	v_lshlrev_b64 v[2:3], v2, v[14:15]
	s_delay_alu instid0(VALU_DEP_1)
	v_and_b32_e32 v14, 7, v2
; %bb.1072:                             ;   in Loop: Header=BB268_16 Depth=1
	s_or_b32 exec_lo, exec_lo, s25
	v_lshlrev_b32_e32 v0, 24, v0
	s_delay_alu instid0(VALU_DEP_2) | instskip(SKIP_2) | instid1(VALU_DEP_4)
	v_lshlrev_b32_e32 v2, 20, v14
	v_lshl_add_u32 v1, v1, 23, 0x3c000000
	v_mov_b32_e32 v108, v15
	v_and_b32_e32 v0, 0x80000000, v0
	s_delay_alu instid0(VALU_DEP_1)
	v_or3_b32 v109, v2, v0, v1
.LBB268_1073:                           ;   in Loop: Header=BB268_16 Depth=1
	s_or_b32 exec_lo, exec_lo, s2
.LBB268_1074:                           ;   in Loop: Header=BB268_16 Depth=1
	s_delay_alu instid0(SALU_CYCLE_1)
	s_or_b32 exec_lo, exec_lo, s24
.LBB268_1075:                           ;   in Loop: Header=BB268_16 Depth=1
	s_delay_alu instid0(SALU_CYCLE_1)
	s_or_b32 exec_lo, exec_lo, s23
	flat_load_b32 v2, v[114:115] offset:4
	v_mov_b32_e32 v120, 0
	v_mov_b32_e32 v121, 0
	s_mov_b32 s2, exec_lo
	s_waitcnt vmcnt(0) lgkmcnt(0)
	v_and_b32_e32 v0, 0xff, v2
	s_delay_alu instid0(VALU_DEP_2) | instskip(NEXT) | instid1(VALU_DEP_2)
	v_dual_mov_b32 v68, v120 :: v_dual_mov_b32 v69, v121
	v_cmpx_ne_u16_e32 0, v0
	s_cbranch_execz .LBB268_1083
; %bb.1076:                             ;   in Loop: Header=BB268_16 Depth=1
	v_bfrev_b32_e32 v68, 1
	v_mov_b32_e32 v69, 0
	s_mov_b32 s23, exec_lo
	v_cmpx_ne_u16_e32 0x80, v0
	s_cbranch_execz .LBB268_1082
; %bb.1077:                             ;   in Loop: Header=BB268_16 Depth=1
	v_mov_b32_e32 v68, 0x7f800001
	v_and_b32_e32 v1, 0x7f, v2
	v_mov_b32_e32 v69, 0
	s_mov_b32 s24, exec_lo
	s_delay_alu instid0(VALU_DEP_2)
	v_cmpx_ne_u32_e32 0x7f, v1
	s_cbranch_execz .LBB268_1081
; %bb.1078:                             ;   in Loop: Header=BB268_16 Depth=1
	v_and_b32_e32 v14, 7, v2
	v_lshrrev_b32_e32 v0, 3, v1
	s_mov_b32 s25, exec_lo
	v_cmpx_gt_u32_e32 8, v1
; %bb.1079:                             ;   in Loop: Header=BB268_16 Depth=1
	s_delay_alu instid0(VALU_DEP_3) | instskip(NEXT) | instid1(VALU_DEP_1)
	v_clz_i32_u32_e32 v0, v14
	v_min_u32_e32 v0, 32, v0
	s_delay_alu instid0(VALU_DEP_1) | instskip(SKIP_1) | instid1(VALU_DEP_2)
	v_subrev_nc_u32_e32 v1, 28, v0
	v_sub_nc_u32_e32 v0, 29, v0
	v_lshlrev_b64 v[3:4], v1, v[14:15]
	s_delay_alu instid0(VALU_DEP_1)
	v_and_b32_e32 v14, 7, v3
; %bb.1080:                             ;   in Loop: Header=BB268_16 Depth=1
	s_or_b32 exec_lo, exec_lo, s25
	v_lshlrev_b32_e32 v1, 24, v2
	s_delay_alu instid0(VALU_DEP_2) | instskip(SKIP_1) | instid1(VALU_DEP_3)
	v_lshlrev_b32_e32 v3, 20, v14
	v_lshl_add_u32 v0, v0, 23, 0x3c000000
	v_and_b32_e32 v1, 0x80000000, v1
	s_delay_alu instid0(VALU_DEP_1) | instskip(NEXT) | instid1(VALU_DEP_1)
	v_or3_b32 v14, v3, v1, v0
	v_dual_mov_b32 v69, v15 :: v_dual_mov_b32 v68, v14
.LBB268_1081:                           ;   in Loop: Header=BB268_16 Depth=1
	s_or_b32 exec_lo, exec_lo, s24
.LBB268_1082:                           ;   in Loop: Header=BB268_16 Depth=1
	s_delay_alu instid0(SALU_CYCLE_1)
	s_or_b32 exec_lo, exec_lo, s23
.LBB268_1083:                           ;   in Loop: Header=BB268_16 Depth=1
	s_delay_alu instid0(SALU_CYCLE_1) | instskip(SKIP_2) | instid1(VALU_DEP_1)
	s_or_b32 exec_lo, exec_lo, s2
	v_lshrrev_b16 v0, 8, v2
	s_mov_b32 s23, exec_lo
	v_cmpx_ne_u16_e32 0, v0
	s_cbranch_execz .LBB268_1091
; %bb.1084:                             ;   in Loop: Header=BB268_16 Depth=1
	v_dual_mov_b32 v121, s9 :: v_dual_mov_b32 v120, s8
	s_mov_b32 s24, exec_lo
	v_cmpx_ne_u16_e32 0x80, v0
	s_cbranch_execz .LBB268_1090
; %bb.1085:                             ;   in Loop: Header=BB268_16 Depth=1
	s_mov_b32 s2, s8
	v_dual_mov_b32 v121, s3 :: v_dual_and_b32 v0, 0xffff, v0
	v_mov_b32_e32 v120, s2
	s_mov_b32 s2, exec_lo
	s_delay_alu instid0(VALU_DEP_2) | instskip(NEXT) | instid1(VALU_DEP_1)
	v_and_b32_e32 v1, 0x7f, v0
	v_cmpx_ne_u32_e32 0x7f, v1
	s_cbranch_execz .LBB268_1089
; %bb.1086:                             ;   in Loop: Header=BB268_16 Depth=1
	v_and_b32_e32 v14, 7, v0
	v_lshrrev_b32_e32 v0, 3, v1
	s_mov_b32 s25, exec_lo
	v_cmpx_gt_u32_e32 8, v1
; %bb.1087:                             ;   in Loop: Header=BB268_16 Depth=1
	s_delay_alu instid0(VALU_DEP_3) | instskip(NEXT) | instid1(VALU_DEP_1)
	v_clz_i32_u32_e32 v0, v14
	v_min_u32_e32 v0, 32, v0
	s_delay_alu instid0(VALU_DEP_1) | instskip(SKIP_1) | instid1(VALU_DEP_2)
	v_subrev_nc_u32_e32 v1, 28, v0
	v_sub_nc_u32_e32 v0, 29, v0
	v_lshlrev_b64 v[3:4], v1, v[14:15]
	s_delay_alu instid0(VALU_DEP_1)
	v_and_b32_e32 v14, 7, v3
; %bb.1088:                             ;   in Loop: Header=BB268_16 Depth=1
	s_or_b32 exec_lo, exec_lo, s25
	v_dual_mov_b32 v120, v15 :: v_dual_lshlrev_b32 v1, 16, v2
	s_delay_alu instid0(VALU_DEP_2) | instskip(SKIP_1) | instid1(VALU_DEP_3)
	v_lshlrev_b32_e32 v3, 20, v14
	v_lshl_add_u32 v0, v0, 23, 0x3c000000
	v_and_b32_e32 v1, 0x80000000, v1
	s_delay_alu instid0(VALU_DEP_1)
	v_or3_b32 v121, v3, v1, v0
.LBB268_1089:                           ;   in Loop: Header=BB268_16 Depth=1
	s_or_b32 exec_lo, exec_lo, s2
.LBB268_1090:                           ;   in Loop: Header=BB268_16 Depth=1
	s_delay_alu instid0(SALU_CYCLE_1)
	s_or_b32 exec_lo, exec_lo, s24
.LBB268_1091:                           ;   in Loop: Header=BB268_16 Depth=1
	s_delay_alu instid0(SALU_CYCLE_1) | instskip(SKIP_4) | instid1(VALU_DEP_2)
	s_or_b32 exec_lo, exec_lo, s23
	v_mov_b32_e32 v124, 0
	v_lshrrev_b32_e32 v3, 16, v2
	v_mov_b32_e32 v125, 0
	s_mov_b32 s2, exec_lo
	v_and_b32_e32 v0, 0xff, v3
	s_delay_alu instid0(VALU_DEP_2) | instskip(NEXT) | instid1(VALU_DEP_2)
	v_dual_mov_b32 v66, v124 :: v_dual_mov_b32 v67, v125
	v_cmpx_ne_u16_e32 0, v0
	s_cbranch_execz .LBB268_1099
; %bb.1092:                             ;   in Loop: Header=BB268_16 Depth=1
	v_bfrev_b32_e32 v66, 1
	v_mov_b32_e32 v67, 0
	s_mov_b32 s23, exec_lo
	v_cmpx_ne_u16_e32 0x80, v0
	s_cbranch_execz .LBB268_1098
; %bb.1093:                             ;   in Loop: Header=BB268_16 Depth=1
	v_mov_b32_e32 v66, 0x7f800001
	v_bfe_u32 v1, v2, 16, 7
	v_mov_b32_e32 v67, 0
	s_mov_b32 s24, exec_lo
	s_delay_alu instid0(VALU_DEP_2)
	v_cmpx_ne_u32_e32 0x7f, v1
	s_cbranch_execz .LBB268_1097
; %bb.1094:                             ;   in Loop: Header=BB268_16 Depth=1
	v_and_b32_e32 v14, 7, v3
	v_lshrrev_b32_e32 v0, 3, v1
	s_mov_b32 s25, exec_lo
	v_cmpx_gt_u32_e32 8, v1
; %bb.1095:                             ;   in Loop: Header=BB268_16 Depth=1
	s_delay_alu instid0(VALU_DEP_3) | instskip(NEXT) | instid1(VALU_DEP_1)
	v_clz_i32_u32_e32 v0, v14
	v_min_u32_e32 v0, 32, v0
	s_delay_alu instid0(VALU_DEP_1) | instskip(SKIP_1) | instid1(VALU_DEP_2)
	v_subrev_nc_u32_e32 v1, 28, v0
	v_sub_nc_u32_e32 v0, 29, v0
	v_lshlrev_b64 v[4:5], v1, v[14:15]
	s_delay_alu instid0(VALU_DEP_1)
	v_and_b32_e32 v14, 7, v4
; %bb.1096:                             ;   in Loop: Header=BB268_16 Depth=1
	s_or_b32 exec_lo, exec_lo, s25
	v_lshlrev_b32_e32 v1, 24, v3
	s_delay_alu instid0(VALU_DEP_2) | instskip(SKIP_1) | instid1(VALU_DEP_3)
	v_lshlrev_b32_e32 v3, 20, v14
	v_lshl_add_u32 v0, v0, 23, 0x3c000000
	v_and_b32_e32 v1, 0x80000000, v1
	s_delay_alu instid0(VALU_DEP_1) | instskip(NEXT) | instid1(VALU_DEP_1)
	v_or3_b32 v14, v3, v1, v0
	v_dual_mov_b32 v67, v15 :: v_dual_mov_b32 v66, v14
.LBB268_1097:                           ;   in Loop: Header=BB268_16 Depth=1
	s_or_b32 exec_lo, exec_lo, s24
.LBB268_1098:                           ;   in Loop: Header=BB268_16 Depth=1
	s_delay_alu instid0(SALU_CYCLE_1)
	s_or_b32 exec_lo, exec_lo, s23
.LBB268_1099:                           ;   in Loop: Header=BB268_16 Depth=1
	s_delay_alu instid0(SALU_CYCLE_1) | instskip(NEXT) | instid1(SALU_CYCLE_1)
	s_or_b32 exec_lo, exec_lo, s2
	s_mov_b32 s23, exec_lo
	v_cmpx_lt_u32_e32 0xffffff, v2
	s_cbranch_execz .LBB268_1107
; %bb.1100:                             ;   in Loop: Header=BB268_16 Depth=1
	v_lshrrev_b32_e32 v0, 24, v2
	v_dual_mov_b32 v125, s9 :: v_dual_mov_b32 v124, s8
	s_mov_b32 s24, exec_lo
	s_delay_alu instid0(VALU_DEP_2)
	v_cmpx_ne_u32_e32 0x80, v0
	s_cbranch_execz .LBB268_1106
; %bb.1101:                             ;   in Loop: Header=BB268_16 Depth=1
	s_mov_b32 s2, s8
	v_bfe_u32 v2, v2, 24, 7
	v_dual_mov_b32 v125, s3 :: v_dual_mov_b32 v124, s2
	s_mov_b32 s2, exec_lo
	s_delay_alu instid0(VALU_DEP_2)
	v_cmpx_ne_u32_e32 0x7f, v2
	s_cbranch_execz .LBB268_1105
; %bb.1102:                             ;   in Loop: Header=BB268_16 Depth=1
	v_and_b32_e32 v14, 7, v0
	v_lshrrev_b32_e32 v1, 3, v2
	s_mov_b32 s25, exec_lo
	v_cmpx_gt_u32_e32 8, v2
; %bb.1103:                             ;   in Loop: Header=BB268_16 Depth=1
	s_delay_alu instid0(VALU_DEP_3) | instskip(NEXT) | instid1(VALU_DEP_1)
	v_clz_i32_u32_e32 v1, v14
	v_min_u32_e32 v1, 32, v1
	s_delay_alu instid0(VALU_DEP_1) | instskip(SKIP_1) | instid1(VALU_DEP_2)
	v_subrev_nc_u32_e32 v2, 28, v1
	v_sub_nc_u32_e32 v1, 29, v1
	v_lshlrev_b64 v[2:3], v2, v[14:15]
	s_delay_alu instid0(VALU_DEP_1)
	v_and_b32_e32 v14, 7, v2
; %bb.1104:                             ;   in Loop: Header=BB268_16 Depth=1
	s_or_b32 exec_lo, exec_lo, s25
	v_lshlrev_b32_e32 v0, 24, v0
	s_delay_alu instid0(VALU_DEP_2) | instskip(SKIP_2) | instid1(VALU_DEP_4)
	v_lshlrev_b32_e32 v2, 20, v14
	v_lshl_add_u32 v1, v1, 23, 0x3c000000
	v_mov_b32_e32 v124, v15
	v_and_b32_e32 v0, 0x80000000, v0
	s_delay_alu instid0(VALU_DEP_1)
	v_or3_b32 v125, v2, v0, v1
.LBB268_1105:                           ;   in Loop: Header=BB268_16 Depth=1
	s_or_b32 exec_lo, exec_lo, s2
.LBB268_1106:                           ;   in Loop: Header=BB268_16 Depth=1
	s_delay_alu instid0(SALU_CYCLE_1)
	s_or_b32 exec_lo, exec_lo, s24
.LBB268_1107:                           ;   in Loop: Header=BB268_16 Depth=1
	s_delay_alu instid0(SALU_CYCLE_1)
	s_or_b32 exec_lo, exec_lo, s23
	flat_load_b32 v2, v[114:115] offset:8
	v_mov_b32_e32 v136, 0
	v_mov_b32_e32 v137, 0
	s_mov_b32 s2, exec_lo
	s_waitcnt vmcnt(0) lgkmcnt(0)
	v_and_b32_e32 v0, 0xff, v2
	s_delay_alu instid0(VALU_DEP_2) | instskip(NEXT) | instid1(VALU_DEP_2)
	v_dual_mov_b32 v52, v136 :: v_dual_mov_b32 v53, v137
	v_cmpx_ne_u16_e32 0, v0
	s_cbranch_execz .LBB268_1115
; %bb.1108:                             ;   in Loop: Header=BB268_16 Depth=1
	v_bfrev_b32_e32 v52, 1
	v_mov_b32_e32 v53, 0
	s_mov_b32 s23, exec_lo
	v_cmpx_ne_u16_e32 0x80, v0
	s_cbranch_execz .LBB268_1114
; %bb.1109:                             ;   in Loop: Header=BB268_16 Depth=1
	v_mov_b32_e32 v52, 0x7f800001
	v_and_b32_e32 v1, 0x7f, v2
	v_mov_b32_e32 v53, 0
	s_mov_b32 s24, exec_lo
	s_delay_alu instid0(VALU_DEP_2)
	v_cmpx_ne_u32_e32 0x7f, v1
	s_cbranch_execz .LBB268_1113
; %bb.1110:                             ;   in Loop: Header=BB268_16 Depth=1
	v_and_b32_e32 v14, 7, v2
	v_lshrrev_b32_e32 v0, 3, v1
	s_mov_b32 s25, exec_lo
	v_cmpx_gt_u32_e32 8, v1
; %bb.1111:                             ;   in Loop: Header=BB268_16 Depth=1
	s_delay_alu instid0(VALU_DEP_3) | instskip(NEXT) | instid1(VALU_DEP_1)
	v_clz_i32_u32_e32 v0, v14
	v_min_u32_e32 v0, 32, v0
	s_delay_alu instid0(VALU_DEP_1) | instskip(SKIP_1) | instid1(VALU_DEP_2)
	v_subrev_nc_u32_e32 v1, 28, v0
	v_sub_nc_u32_e32 v0, 29, v0
	v_lshlrev_b64 v[3:4], v1, v[14:15]
	s_delay_alu instid0(VALU_DEP_1)
	v_and_b32_e32 v14, 7, v3
; %bb.1112:                             ;   in Loop: Header=BB268_16 Depth=1
	s_or_b32 exec_lo, exec_lo, s25
	v_lshlrev_b32_e32 v1, 24, v2
	s_delay_alu instid0(VALU_DEP_2) | instskip(SKIP_1) | instid1(VALU_DEP_3)
	v_lshlrev_b32_e32 v3, 20, v14
	v_lshl_add_u32 v0, v0, 23, 0x3c000000
	v_and_b32_e32 v1, 0x80000000, v1
	s_delay_alu instid0(VALU_DEP_1) | instskip(NEXT) | instid1(VALU_DEP_1)
	v_or3_b32 v14, v3, v1, v0
	v_dual_mov_b32 v53, v15 :: v_dual_mov_b32 v52, v14
.LBB268_1113:                           ;   in Loop: Header=BB268_16 Depth=1
	s_or_b32 exec_lo, exec_lo, s24
.LBB268_1114:                           ;   in Loop: Header=BB268_16 Depth=1
	s_delay_alu instid0(SALU_CYCLE_1)
	s_or_b32 exec_lo, exec_lo, s23
.LBB268_1115:                           ;   in Loop: Header=BB268_16 Depth=1
	s_delay_alu instid0(SALU_CYCLE_1) | instskip(SKIP_2) | instid1(VALU_DEP_1)
	s_or_b32 exec_lo, exec_lo, s2
	v_lshrrev_b16 v0, 8, v2
	s_mov_b32 s23, exec_lo
	v_cmpx_ne_u16_e32 0, v0
	s_cbranch_execz .LBB268_1123
; %bb.1116:                             ;   in Loop: Header=BB268_16 Depth=1
	v_dual_mov_b32 v137, s9 :: v_dual_mov_b32 v136, s8
	s_mov_b32 s24, exec_lo
	v_cmpx_ne_u16_e32 0x80, v0
	s_cbranch_execz .LBB268_1122
; %bb.1117:                             ;   in Loop: Header=BB268_16 Depth=1
	s_mov_b32 s2, s8
	v_dual_mov_b32 v137, s3 :: v_dual_and_b32 v0, 0xffff, v0
	v_mov_b32_e32 v136, s2
	s_mov_b32 s2, exec_lo
	s_delay_alu instid0(VALU_DEP_2) | instskip(NEXT) | instid1(VALU_DEP_1)
	v_and_b32_e32 v1, 0x7f, v0
	v_cmpx_ne_u32_e32 0x7f, v1
	s_cbranch_execz .LBB268_1121
; %bb.1118:                             ;   in Loop: Header=BB268_16 Depth=1
	v_and_b32_e32 v14, 7, v0
	v_lshrrev_b32_e32 v0, 3, v1
	s_mov_b32 s25, exec_lo
	v_cmpx_gt_u32_e32 8, v1
; %bb.1119:                             ;   in Loop: Header=BB268_16 Depth=1
	s_delay_alu instid0(VALU_DEP_3) | instskip(NEXT) | instid1(VALU_DEP_1)
	v_clz_i32_u32_e32 v0, v14
	v_min_u32_e32 v0, 32, v0
	s_delay_alu instid0(VALU_DEP_1) | instskip(SKIP_1) | instid1(VALU_DEP_2)
	v_subrev_nc_u32_e32 v1, 28, v0
	v_sub_nc_u32_e32 v0, 29, v0
	v_lshlrev_b64 v[3:4], v1, v[14:15]
	s_delay_alu instid0(VALU_DEP_1)
	v_and_b32_e32 v14, 7, v3
; %bb.1120:                             ;   in Loop: Header=BB268_16 Depth=1
	s_or_b32 exec_lo, exec_lo, s25
	v_dual_mov_b32 v136, v15 :: v_dual_lshlrev_b32 v1, 16, v2
	s_delay_alu instid0(VALU_DEP_2) | instskip(SKIP_1) | instid1(VALU_DEP_3)
	v_lshlrev_b32_e32 v3, 20, v14
	v_lshl_add_u32 v0, v0, 23, 0x3c000000
	v_and_b32_e32 v1, 0x80000000, v1
	s_delay_alu instid0(VALU_DEP_1)
	v_or3_b32 v137, v3, v1, v0
.LBB268_1121:                           ;   in Loop: Header=BB268_16 Depth=1
	s_or_b32 exec_lo, exec_lo, s2
.LBB268_1122:                           ;   in Loop: Header=BB268_16 Depth=1
	s_delay_alu instid0(SALU_CYCLE_1)
	s_or_b32 exec_lo, exec_lo, s24
.LBB268_1123:                           ;   in Loop: Header=BB268_16 Depth=1
	s_delay_alu instid0(SALU_CYCLE_1) | instskip(SKIP_4) | instid1(VALU_DEP_2)
	s_or_b32 exec_lo, exec_lo, s23
	v_mov_b32_e32 v140, 0
	v_lshrrev_b32_e32 v3, 16, v2
	v_mov_b32_e32 v141, 0
	s_mov_b32 s2, exec_lo
	v_and_b32_e32 v0, 0xff, v3
	s_delay_alu instid0(VALU_DEP_2) | instskip(NEXT) | instid1(VALU_DEP_2)
	v_dual_mov_b32 v132, v140 :: v_dual_mov_b32 v133, v141
	v_cmpx_ne_u16_e32 0, v0
	s_cbranch_execz .LBB268_1131
; %bb.1124:                             ;   in Loop: Header=BB268_16 Depth=1
	v_bfrev_b32_e32 v132, 1
	v_mov_b32_e32 v133, 0
	s_mov_b32 s23, exec_lo
	v_cmpx_ne_u16_e32 0x80, v0
	s_cbranch_execz .LBB268_1130
; %bb.1125:                             ;   in Loop: Header=BB268_16 Depth=1
	v_mov_b32_e32 v132, 0x7f800001
	v_bfe_u32 v1, v2, 16, 7
	v_mov_b32_e32 v133, 0
	s_mov_b32 s24, exec_lo
	s_delay_alu instid0(VALU_DEP_2)
	v_cmpx_ne_u32_e32 0x7f, v1
	s_cbranch_execz .LBB268_1129
; %bb.1126:                             ;   in Loop: Header=BB268_16 Depth=1
	v_and_b32_e32 v14, 7, v3
	v_lshrrev_b32_e32 v0, 3, v1
	s_mov_b32 s25, exec_lo
	v_cmpx_gt_u32_e32 8, v1
; %bb.1127:                             ;   in Loop: Header=BB268_16 Depth=1
	s_delay_alu instid0(VALU_DEP_3) | instskip(NEXT) | instid1(VALU_DEP_1)
	v_clz_i32_u32_e32 v0, v14
	v_min_u32_e32 v0, 32, v0
	s_delay_alu instid0(VALU_DEP_1) | instskip(SKIP_1) | instid1(VALU_DEP_2)
	v_subrev_nc_u32_e32 v1, 28, v0
	v_sub_nc_u32_e32 v0, 29, v0
	v_lshlrev_b64 v[4:5], v1, v[14:15]
	s_delay_alu instid0(VALU_DEP_1)
	v_and_b32_e32 v14, 7, v4
; %bb.1128:                             ;   in Loop: Header=BB268_16 Depth=1
	s_or_b32 exec_lo, exec_lo, s25
	v_lshlrev_b32_e32 v1, 24, v3
	s_delay_alu instid0(VALU_DEP_2) | instskip(SKIP_1) | instid1(VALU_DEP_3)
	v_lshlrev_b32_e32 v3, 20, v14
	v_lshl_add_u32 v0, v0, 23, 0x3c000000
	v_and_b32_e32 v1, 0x80000000, v1
	s_delay_alu instid0(VALU_DEP_1) | instskip(NEXT) | instid1(VALU_DEP_1)
	v_or3_b32 v14, v3, v1, v0
	v_dual_mov_b32 v133, v15 :: v_dual_mov_b32 v132, v14
.LBB268_1129:                           ;   in Loop: Header=BB268_16 Depth=1
	s_or_b32 exec_lo, exec_lo, s24
.LBB268_1130:                           ;   in Loop: Header=BB268_16 Depth=1
	s_delay_alu instid0(SALU_CYCLE_1)
	s_or_b32 exec_lo, exec_lo, s23
.LBB268_1131:                           ;   in Loop: Header=BB268_16 Depth=1
	s_delay_alu instid0(SALU_CYCLE_1) | instskip(NEXT) | instid1(SALU_CYCLE_1)
	s_or_b32 exec_lo, exec_lo, s2
	s_mov_b32 s23, exec_lo
	v_cmpx_lt_u32_e32 0xffffff, v2
	s_cbranch_execz .LBB268_1139
; %bb.1132:                             ;   in Loop: Header=BB268_16 Depth=1
	v_lshrrev_b32_e32 v0, 24, v2
	v_dual_mov_b32 v141, s9 :: v_dual_mov_b32 v140, s8
	s_mov_b32 s24, exec_lo
	s_delay_alu instid0(VALU_DEP_2)
	v_cmpx_ne_u32_e32 0x80, v0
	s_cbranch_execz .LBB268_1138
; %bb.1133:                             ;   in Loop: Header=BB268_16 Depth=1
	s_mov_b32 s2, s8
	v_bfe_u32 v2, v2, 24, 7
	v_dual_mov_b32 v141, s3 :: v_dual_mov_b32 v140, s2
	s_mov_b32 s2, exec_lo
	s_delay_alu instid0(VALU_DEP_2)
	v_cmpx_ne_u32_e32 0x7f, v2
	s_cbranch_execz .LBB268_1137
; %bb.1134:                             ;   in Loop: Header=BB268_16 Depth=1
	v_and_b32_e32 v14, 7, v0
	v_lshrrev_b32_e32 v1, 3, v2
	s_mov_b32 s25, exec_lo
	v_cmpx_gt_u32_e32 8, v2
; %bb.1135:                             ;   in Loop: Header=BB268_16 Depth=1
	s_delay_alu instid0(VALU_DEP_3) | instskip(NEXT) | instid1(VALU_DEP_1)
	v_clz_i32_u32_e32 v1, v14
	v_min_u32_e32 v1, 32, v1
	s_delay_alu instid0(VALU_DEP_1) | instskip(SKIP_1) | instid1(VALU_DEP_2)
	v_subrev_nc_u32_e32 v2, 28, v1
	v_sub_nc_u32_e32 v1, 29, v1
	v_lshlrev_b64 v[2:3], v2, v[14:15]
	s_delay_alu instid0(VALU_DEP_1)
	v_and_b32_e32 v14, 7, v2
; %bb.1136:                             ;   in Loop: Header=BB268_16 Depth=1
	s_or_b32 exec_lo, exec_lo, s25
	v_lshlrev_b32_e32 v0, 24, v0
	s_delay_alu instid0(VALU_DEP_2) | instskip(SKIP_2) | instid1(VALU_DEP_4)
	v_lshlrev_b32_e32 v2, 20, v14
	v_lshl_add_u32 v1, v1, 23, 0x3c000000
	v_mov_b32_e32 v140, v15
	v_and_b32_e32 v0, 0x80000000, v0
	s_delay_alu instid0(VALU_DEP_1)
	v_or3_b32 v141, v2, v0, v1
.LBB268_1137:                           ;   in Loop: Header=BB268_16 Depth=1
	s_or_b32 exec_lo, exec_lo, s2
.LBB268_1138:                           ;   in Loop: Header=BB268_16 Depth=1
	s_delay_alu instid0(SALU_CYCLE_1)
	s_or_b32 exec_lo, exec_lo, s24
.LBB268_1139:                           ;   in Loop: Header=BB268_16 Depth=1
	s_delay_alu instid0(SALU_CYCLE_1)
	s_or_b32 exec_lo, exec_lo, s23
	flat_load_b32 v2, v[114:115] offset:12
	v_mov_b32_e32 v154, 0
	v_mov_b32_e32 v155, 0
	s_mov_b32 s2, exec_lo
	s_waitcnt vmcnt(0) lgkmcnt(0)
	v_and_b32_e32 v0, 0xff, v2
	s_delay_alu instid0(VALU_DEP_2) | instskip(NEXT) | instid1(VALU_DEP_2)
	v_dual_mov_b32 v24, v154 :: v_dual_mov_b32 v25, v155
	v_cmpx_ne_u16_e32 0, v0
	s_cbranch_execz .LBB268_1147
; %bb.1140:                             ;   in Loop: Header=BB268_16 Depth=1
	v_bfrev_b32_e32 v24, 1
	v_mov_b32_e32 v25, 0
	s_mov_b32 s23, exec_lo
	v_cmpx_ne_u16_e32 0x80, v0
	s_cbranch_execz .LBB268_1146
; %bb.1141:                             ;   in Loop: Header=BB268_16 Depth=1
	v_mov_b32_e32 v24, 0x7f800001
	v_and_b32_e32 v1, 0x7f, v2
	v_mov_b32_e32 v25, 0
	s_mov_b32 s24, exec_lo
	s_delay_alu instid0(VALU_DEP_2)
	v_cmpx_ne_u32_e32 0x7f, v1
	s_cbranch_execz .LBB268_1145
; %bb.1142:                             ;   in Loop: Header=BB268_16 Depth=1
	v_and_b32_e32 v14, 7, v2
	v_lshrrev_b32_e32 v0, 3, v1
	s_mov_b32 s25, exec_lo
	v_cmpx_gt_u32_e32 8, v1
; %bb.1143:                             ;   in Loop: Header=BB268_16 Depth=1
	s_delay_alu instid0(VALU_DEP_3) | instskip(NEXT) | instid1(VALU_DEP_1)
	v_clz_i32_u32_e32 v0, v14
	v_min_u32_e32 v0, 32, v0
	s_delay_alu instid0(VALU_DEP_1) | instskip(SKIP_1) | instid1(VALU_DEP_2)
	v_subrev_nc_u32_e32 v1, 28, v0
	v_sub_nc_u32_e32 v0, 29, v0
	v_lshlrev_b64 v[3:4], v1, v[14:15]
	s_delay_alu instid0(VALU_DEP_1)
	v_and_b32_e32 v14, 7, v3
; %bb.1144:                             ;   in Loop: Header=BB268_16 Depth=1
	s_or_b32 exec_lo, exec_lo, s25
	v_lshlrev_b32_e32 v1, 24, v2
	s_delay_alu instid0(VALU_DEP_2) | instskip(SKIP_1) | instid1(VALU_DEP_3)
	v_lshlrev_b32_e32 v3, 20, v14
	v_lshl_add_u32 v0, v0, 23, 0x3c000000
	v_and_b32_e32 v1, 0x80000000, v1
	s_delay_alu instid0(VALU_DEP_1) | instskip(NEXT) | instid1(VALU_DEP_1)
	v_or3_b32 v14, v3, v1, v0
	v_dual_mov_b32 v25, v15 :: v_dual_mov_b32 v24, v14
.LBB268_1145:                           ;   in Loop: Header=BB268_16 Depth=1
	s_or_b32 exec_lo, exec_lo, s24
.LBB268_1146:                           ;   in Loop: Header=BB268_16 Depth=1
	s_delay_alu instid0(SALU_CYCLE_1)
	s_or_b32 exec_lo, exec_lo, s23
.LBB268_1147:                           ;   in Loop: Header=BB268_16 Depth=1
	s_delay_alu instid0(SALU_CYCLE_1) | instskip(SKIP_2) | instid1(VALU_DEP_1)
	s_or_b32 exec_lo, exec_lo, s2
	v_lshrrev_b16 v0, 8, v2
	s_mov_b32 s23, exec_lo
	v_cmpx_ne_u16_e32 0, v0
	s_cbranch_execz .LBB268_1155
; %bb.1148:                             ;   in Loop: Header=BB268_16 Depth=1
	v_dual_mov_b32 v155, s9 :: v_dual_mov_b32 v154, s8
	s_mov_b32 s24, exec_lo
	v_cmpx_ne_u16_e32 0x80, v0
	s_cbranch_execz .LBB268_1154
; %bb.1149:                             ;   in Loop: Header=BB268_16 Depth=1
	s_mov_b32 s2, s8
	v_dual_mov_b32 v155, s3 :: v_dual_and_b32 v0, 0xffff, v0
	v_mov_b32_e32 v154, s2
	s_mov_b32 s2, exec_lo
	s_delay_alu instid0(VALU_DEP_2) | instskip(NEXT) | instid1(VALU_DEP_1)
	v_and_b32_e32 v1, 0x7f, v0
	v_cmpx_ne_u32_e32 0x7f, v1
	s_cbranch_execz .LBB268_1153
; %bb.1150:                             ;   in Loop: Header=BB268_16 Depth=1
	v_and_b32_e32 v14, 7, v0
	v_lshrrev_b32_e32 v0, 3, v1
	s_mov_b32 s25, exec_lo
	v_cmpx_gt_u32_e32 8, v1
; %bb.1151:                             ;   in Loop: Header=BB268_16 Depth=1
	s_delay_alu instid0(VALU_DEP_3) | instskip(NEXT) | instid1(VALU_DEP_1)
	v_clz_i32_u32_e32 v0, v14
	v_min_u32_e32 v0, 32, v0
	s_delay_alu instid0(VALU_DEP_1) | instskip(SKIP_1) | instid1(VALU_DEP_2)
	v_subrev_nc_u32_e32 v1, 28, v0
	v_sub_nc_u32_e32 v0, 29, v0
	v_lshlrev_b64 v[3:4], v1, v[14:15]
	s_delay_alu instid0(VALU_DEP_1)
	v_and_b32_e32 v14, 7, v3
; %bb.1152:                             ;   in Loop: Header=BB268_16 Depth=1
	s_or_b32 exec_lo, exec_lo, s25
	v_dual_mov_b32 v154, v15 :: v_dual_lshlrev_b32 v1, 16, v2
	s_delay_alu instid0(VALU_DEP_2) | instskip(SKIP_1) | instid1(VALU_DEP_3)
	v_lshlrev_b32_e32 v3, 20, v14
	v_lshl_add_u32 v0, v0, 23, 0x3c000000
	v_and_b32_e32 v1, 0x80000000, v1
	s_delay_alu instid0(VALU_DEP_1)
	v_or3_b32 v155, v3, v1, v0
.LBB268_1153:                           ;   in Loop: Header=BB268_16 Depth=1
	s_or_b32 exec_lo, exec_lo, s2
.LBB268_1154:                           ;   in Loop: Header=BB268_16 Depth=1
	s_delay_alu instid0(SALU_CYCLE_1)
	s_or_b32 exec_lo, exec_lo, s24
.LBB268_1155:                           ;   in Loop: Header=BB268_16 Depth=1
	s_delay_alu instid0(SALU_CYCLE_1) | instskip(SKIP_4) | instid1(VALU_DEP_2)
	s_or_b32 exec_lo, exec_lo, s23
	v_mov_b32_e32 v158, 0
	v_lshrrev_b32_e32 v3, 16, v2
	v_mov_b32_e32 v159, 0
	s_mov_b32 s2, exec_lo
	v_and_b32_e32 v0, 0xff, v3
	s_delay_alu instid0(VALU_DEP_2) | instskip(NEXT) | instid1(VALU_DEP_2)
	v_dual_mov_b32 v50, v158 :: v_dual_mov_b32 v51, v159
	v_cmpx_ne_u16_e32 0, v0
	s_cbranch_execz .LBB268_1163
; %bb.1156:                             ;   in Loop: Header=BB268_16 Depth=1
	v_bfrev_b32_e32 v50, 1
	v_mov_b32_e32 v51, 0
	s_mov_b32 s23, exec_lo
	v_cmpx_ne_u16_e32 0x80, v0
	s_cbranch_execz .LBB268_1162
; %bb.1157:                             ;   in Loop: Header=BB268_16 Depth=1
	v_mov_b32_e32 v50, 0x7f800001
	v_bfe_u32 v1, v2, 16, 7
	v_mov_b32_e32 v51, 0
	s_mov_b32 s24, exec_lo
	s_delay_alu instid0(VALU_DEP_2)
	v_cmpx_ne_u32_e32 0x7f, v1
	s_cbranch_execz .LBB268_1161
; %bb.1158:                             ;   in Loop: Header=BB268_16 Depth=1
	v_and_b32_e32 v14, 7, v3
	v_lshrrev_b32_e32 v0, 3, v1
	s_mov_b32 s25, exec_lo
	v_cmpx_gt_u32_e32 8, v1
; %bb.1159:                             ;   in Loop: Header=BB268_16 Depth=1
	s_delay_alu instid0(VALU_DEP_3) | instskip(NEXT) | instid1(VALU_DEP_1)
	v_clz_i32_u32_e32 v0, v14
	v_min_u32_e32 v0, 32, v0
	s_delay_alu instid0(VALU_DEP_1) | instskip(SKIP_1) | instid1(VALU_DEP_2)
	v_subrev_nc_u32_e32 v1, 28, v0
	v_sub_nc_u32_e32 v0, 29, v0
	v_lshlrev_b64 v[4:5], v1, v[14:15]
	s_delay_alu instid0(VALU_DEP_1)
	v_and_b32_e32 v14, 7, v4
; %bb.1160:                             ;   in Loop: Header=BB268_16 Depth=1
	s_or_b32 exec_lo, exec_lo, s25
	v_lshlrev_b32_e32 v1, 24, v3
	s_delay_alu instid0(VALU_DEP_2) | instskip(SKIP_1) | instid1(VALU_DEP_3)
	v_lshlrev_b32_e32 v3, 20, v14
	v_lshl_add_u32 v0, v0, 23, 0x3c000000
	v_and_b32_e32 v1, 0x80000000, v1
	s_delay_alu instid0(VALU_DEP_1) | instskip(NEXT) | instid1(VALU_DEP_1)
	v_or3_b32 v14, v3, v1, v0
	v_dual_mov_b32 v51, v15 :: v_dual_mov_b32 v50, v14
.LBB268_1161:                           ;   in Loop: Header=BB268_16 Depth=1
	s_or_b32 exec_lo, exec_lo, s24
.LBB268_1162:                           ;   in Loop: Header=BB268_16 Depth=1
	s_delay_alu instid0(SALU_CYCLE_1)
	s_or_b32 exec_lo, exec_lo, s23
.LBB268_1163:                           ;   in Loop: Header=BB268_16 Depth=1
	s_delay_alu instid0(SALU_CYCLE_1) | instskip(NEXT) | instid1(SALU_CYCLE_1)
	s_or_b32 exec_lo, exec_lo, s2
	s_mov_b32 s23, exec_lo
	v_cmpx_lt_u32_e32 0xffffff, v2
	s_cbranch_execz .LBB268_1171
; %bb.1164:                             ;   in Loop: Header=BB268_16 Depth=1
	v_lshrrev_b32_e32 v0, 24, v2
	v_dual_mov_b32 v159, s9 :: v_dual_mov_b32 v158, s8
	s_mov_b32 s24, exec_lo
	s_delay_alu instid0(VALU_DEP_2)
	v_cmpx_ne_u32_e32 0x80, v0
	s_cbranch_execz .LBB268_1170
; %bb.1165:                             ;   in Loop: Header=BB268_16 Depth=1
	s_mov_b32 s2, s8
	v_bfe_u32 v2, v2, 24, 7
	v_dual_mov_b32 v159, s3 :: v_dual_mov_b32 v158, s2
	s_mov_b32 s2, exec_lo
	s_delay_alu instid0(VALU_DEP_2)
	v_cmpx_ne_u32_e32 0x7f, v2
	s_cbranch_execz .LBB268_1169
; %bb.1166:                             ;   in Loop: Header=BB268_16 Depth=1
	v_and_b32_e32 v14, 7, v0
	v_lshrrev_b32_e32 v1, 3, v2
	s_mov_b32 s25, exec_lo
	v_cmpx_gt_u32_e32 8, v2
; %bb.1167:                             ;   in Loop: Header=BB268_16 Depth=1
	s_delay_alu instid0(VALU_DEP_3) | instskip(NEXT) | instid1(VALU_DEP_1)
	v_clz_i32_u32_e32 v1, v14
	v_min_u32_e32 v1, 32, v1
	s_delay_alu instid0(VALU_DEP_1) | instskip(SKIP_1) | instid1(VALU_DEP_2)
	v_subrev_nc_u32_e32 v2, 28, v1
	v_sub_nc_u32_e32 v1, 29, v1
	v_lshlrev_b64 v[2:3], v2, v[14:15]
	s_delay_alu instid0(VALU_DEP_1)
	v_and_b32_e32 v14, 7, v2
; %bb.1168:                             ;   in Loop: Header=BB268_16 Depth=1
	s_or_b32 exec_lo, exec_lo, s25
	v_lshlrev_b32_e32 v0, 24, v0
	s_delay_alu instid0(VALU_DEP_2) | instskip(SKIP_2) | instid1(VALU_DEP_4)
	v_lshlrev_b32_e32 v2, 20, v14
	v_lshl_add_u32 v1, v1, 23, 0x3c000000
	v_mov_b32_e32 v158, v15
	v_and_b32_e32 v0, 0x80000000, v0
	s_delay_alu instid0(VALU_DEP_1)
	v_or3_b32 v159, v2, v0, v1
.LBB268_1169:                           ;   in Loop: Header=BB268_16 Depth=1
	s_or_b32 exec_lo, exec_lo, s2
.LBB268_1170:                           ;   in Loop: Header=BB268_16 Depth=1
	s_delay_alu instid0(SALU_CYCLE_1)
	s_or_b32 exec_lo, exec_lo, s24
.LBB268_1171:                           ;   in Loop: Header=BB268_16 Depth=1
	s_delay_alu instid0(SALU_CYCLE_1) | instskip(SKIP_4) | instid1(VALU_DEP_1)
	s_or_b32 exec_lo, exec_lo, s23
	flat_load_b32 v2, v[114:115] offset:512
	v_mov_b32_e32 v27, 0
	v_mov_b32_e32 v28, 0
	s_mov_b32 s2, exec_lo
	v_dual_mov_b32 v171, v28 :: v_dual_mov_b32 v170, v27
	s_waitcnt vmcnt(0) lgkmcnt(0)
	v_and_b32_e32 v0, 0xff, v2
	s_delay_alu instid0(VALU_DEP_1)
	v_cmpx_ne_u16_e32 0, v0
	s_cbranch_execz .LBB268_1179
; %bb.1172:                             ;   in Loop: Header=BB268_16 Depth=1
	v_bfrev_b32_e32 v170, 1
	v_mov_b32_e32 v171, 0
	s_mov_b32 s23, exec_lo
	v_cmpx_ne_u16_e32 0x80, v0
	s_cbranch_execz .LBB268_1178
; %bb.1173:                             ;   in Loop: Header=BB268_16 Depth=1
	v_mov_b32_e32 v170, 0x7f800001
	v_and_b32_e32 v1, 0x7f, v2
	v_mov_b32_e32 v171, 0
	s_mov_b32 s24, exec_lo
	s_delay_alu instid0(VALU_DEP_2)
	v_cmpx_ne_u32_e32 0x7f, v1
	s_cbranch_execz .LBB268_1177
; %bb.1174:                             ;   in Loop: Header=BB268_16 Depth=1
	v_and_b32_e32 v14, 7, v2
	v_lshrrev_b32_e32 v0, 3, v1
	s_mov_b32 s25, exec_lo
	v_cmpx_gt_u32_e32 8, v1
; %bb.1175:                             ;   in Loop: Header=BB268_16 Depth=1
	s_delay_alu instid0(VALU_DEP_3) | instskip(NEXT) | instid1(VALU_DEP_1)
	v_clz_i32_u32_e32 v0, v14
	v_min_u32_e32 v0, 32, v0
	s_delay_alu instid0(VALU_DEP_1) | instskip(SKIP_1) | instid1(VALU_DEP_2)
	v_subrev_nc_u32_e32 v1, 28, v0
	v_sub_nc_u32_e32 v0, 29, v0
	v_lshlrev_b64 v[3:4], v1, v[14:15]
	s_delay_alu instid0(VALU_DEP_1)
	v_and_b32_e32 v14, 7, v3
; %bb.1176:                             ;   in Loop: Header=BB268_16 Depth=1
	s_or_b32 exec_lo, exec_lo, s25
	v_lshlrev_b32_e32 v1, 24, v2
	s_delay_alu instid0(VALU_DEP_2) | instskip(SKIP_1) | instid1(VALU_DEP_3)
	v_lshlrev_b32_e32 v3, 20, v14
	v_lshl_add_u32 v0, v0, 23, 0x3c000000
	v_and_b32_e32 v1, 0x80000000, v1
	s_delay_alu instid0(VALU_DEP_1) | instskip(NEXT) | instid1(VALU_DEP_1)
	v_or3_b32 v14, v3, v1, v0
	v_dual_mov_b32 v171, v15 :: v_dual_mov_b32 v170, v14
.LBB268_1177:                           ;   in Loop: Header=BB268_16 Depth=1
	s_or_b32 exec_lo, exec_lo, s24
.LBB268_1178:                           ;   in Loop: Header=BB268_16 Depth=1
	s_delay_alu instid0(SALU_CYCLE_1)
	s_or_b32 exec_lo, exec_lo, s23
.LBB268_1179:                           ;   in Loop: Header=BB268_16 Depth=1
	s_delay_alu instid0(SALU_CYCLE_1) | instskip(SKIP_2) | instid1(VALU_DEP_1)
	s_or_b32 exec_lo, exec_lo, s2
	v_lshrrev_b16 v0, 8, v2
	s_mov_b32 s23, exec_lo
	v_cmpx_ne_u16_e32 0, v0
	s_cbranch_execz .LBB268_1187
; %bb.1180:                             ;   in Loop: Header=BB268_16 Depth=1
	v_dual_mov_b32 v28, s9 :: v_dual_mov_b32 v27, s8
	s_mov_b32 s24, exec_lo
	v_cmpx_ne_u16_e32 0x80, v0
	s_cbranch_execz .LBB268_1186
; %bb.1181:                             ;   in Loop: Header=BB268_16 Depth=1
	s_mov_b32 s2, s8
	v_and_b32_e32 v0, 0xffff, v0
	v_dual_mov_b32 v28, s3 :: v_dual_mov_b32 v27, s2
	s_mov_b32 s2, exec_lo
	s_delay_alu instid0(VALU_DEP_2) | instskip(NEXT) | instid1(VALU_DEP_1)
	v_and_b32_e32 v1, 0x7f, v0
	v_cmpx_ne_u32_e32 0x7f, v1
	s_cbranch_execz .LBB268_1185
; %bb.1182:                             ;   in Loop: Header=BB268_16 Depth=1
	v_and_b32_e32 v14, 7, v0
	v_lshrrev_b32_e32 v0, 3, v1
	s_mov_b32 s25, exec_lo
	v_cmpx_gt_u32_e32 8, v1
; %bb.1183:                             ;   in Loop: Header=BB268_16 Depth=1
	s_delay_alu instid0(VALU_DEP_3) | instskip(NEXT) | instid1(VALU_DEP_1)
	v_clz_i32_u32_e32 v0, v14
	v_min_u32_e32 v0, 32, v0
	s_delay_alu instid0(VALU_DEP_1) | instskip(SKIP_1) | instid1(VALU_DEP_2)
	v_subrev_nc_u32_e32 v1, 28, v0
	v_sub_nc_u32_e32 v0, 29, v0
	v_lshlrev_b64 v[3:4], v1, v[14:15]
	s_delay_alu instid0(VALU_DEP_1)
	v_and_b32_e32 v14, 7, v3
; %bb.1184:                             ;   in Loop: Header=BB268_16 Depth=1
	s_or_b32 exec_lo, exec_lo, s25
	v_lshlrev_b32_e32 v1, 16, v2
	s_delay_alu instid0(VALU_DEP_2) | instskip(SKIP_2) | instid1(VALU_DEP_4)
	v_lshlrev_b32_e32 v3, 20, v14
	v_lshl_add_u32 v0, v0, 23, 0x3c000000
	v_mov_b32_e32 v27, v15
	v_and_b32_e32 v1, 0x80000000, v1
	s_delay_alu instid0(VALU_DEP_1)
	v_or3_b32 v28, v3, v1, v0
.LBB268_1185:                           ;   in Loop: Header=BB268_16 Depth=1
	s_or_b32 exec_lo, exec_lo, s2
.LBB268_1186:                           ;   in Loop: Header=BB268_16 Depth=1
	s_delay_alu instid0(SALU_CYCLE_1)
	s_or_b32 exec_lo, exec_lo, s24
.LBB268_1187:                           ;   in Loop: Header=BB268_16 Depth=1
	s_delay_alu instid0(SALU_CYCLE_1) | instskip(SKIP_4) | instid1(VALU_DEP_1)
	s_or_b32 exec_lo, exec_lo, s23
	v_mov_b32_e32 v146, 0
	v_lshrrev_b32_e32 v3, 16, v2
	v_mov_b32_e32 v147, 0
	s_mov_b32 s2, exec_lo
	v_dual_mov_b32 v175, v147 :: v_dual_and_b32 v0, 0xff, v3
	v_mov_b32_e32 v174, v146
	s_delay_alu instid0(VALU_DEP_2)
	v_cmpx_ne_u16_e32 0, v0
	s_cbranch_execz .LBB268_1195
; %bb.1188:                             ;   in Loop: Header=BB268_16 Depth=1
	v_bfrev_b32_e32 v174, 1
	v_mov_b32_e32 v175, 0
	s_mov_b32 s23, exec_lo
	v_cmpx_ne_u16_e32 0x80, v0
	s_cbranch_execz .LBB268_1194
; %bb.1189:                             ;   in Loop: Header=BB268_16 Depth=1
	v_mov_b32_e32 v174, 0x7f800001
	v_bfe_u32 v1, v2, 16, 7
	v_mov_b32_e32 v175, 0
	s_mov_b32 s24, exec_lo
	s_delay_alu instid0(VALU_DEP_2)
	v_cmpx_ne_u32_e32 0x7f, v1
	s_cbranch_execz .LBB268_1193
; %bb.1190:                             ;   in Loop: Header=BB268_16 Depth=1
	v_and_b32_e32 v14, 7, v3
	v_lshrrev_b32_e32 v0, 3, v1
	s_mov_b32 s25, exec_lo
	v_cmpx_gt_u32_e32 8, v1
; %bb.1191:                             ;   in Loop: Header=BB268_16 Depth=1
	s_delay_alu instid0(VALU_DEP_3) | instskip(NEXT) | instid1(VALU_DEP_1)
	v_clz_i32_u32_e32 v0, v14
	v_min_u32_e32 v0, 32, v0
	s_delay_alu instid0(VALU_DEP_1) | instskip(SKIP_1) | instid1(VALU_DEP_2)
	v_subrev_nc_u32_e32 v1, 28, v0
	v_sub_nc_u32_e32 v0, 29, v0
	v_lshlrev_b64 v[4:5], v1, v[14:15]
	s_delay_alu instid0(VALU_DEP_1)
	v_and_b32_e32 v14, 7, v4
; %bb.1192:                             ;   in Loop: Header=BB268_16 Depth=1
	s_or_b32 exec_lo, exec_lo, s25
	v_lshlrev_b32_e32 v1, 24, v3
	s_delay_alu instid0(VALU_DEP_2) | instskip(SKIP_1) | instid1(VALU_DEP_3)
	v_lshlrev_b32_e32 v3, 20, v14
	v_lshl_add_u32 v0, v0, 23, 0x3c000000
	v_and_b32_e32 v1, 0x80000000, v1
	s_delay_alu instid0(VALU_DEP_1) | instskip(NEXT) | instid1(VALU_DEP_1)
	v_or3_b32 v14, v3, v1, v0
	v_dual_mov_b32 v175, v15 :: v_dual_mov_b32 v174, v14
.LBB268_1193:                           ;   in Loop: Header=BB268_16 Depth=1
	s_or_b32 exec_lo, exec_lo, s24
.LBB268_1194:                           ;   in Loop: Header=BB268_16 Depth=1
	s_delay_alu instid0(SALU_CYCLE_1)
	s_or_b32 exec_lo, exec_lo, s23
.LBB268_1195:                           ;   in Loop: Header=BB268_16 Depth=1
	s_delay_alu instid0(SALU_CYCLE_1) | instskip(NEXT) | instid1(SALU_CYCLE_1)
	s_or_b32 exec_lo, exec_lo, s2
	s_mov_b32 s23, exec_lo
	v_cmpx_lt_u32_e32 0xffffff, v2
	s_cbranch_execz .LBB268_1203
; %bb.1196:                             ;   in Loop: Header=BB268_16 Depth=1
	v_lshrrev_b32_e32 v0, 24, v2
	v_dual_mov_b32 v147, s9 :: v_dual_mov_b32 v146, s8
	s_mov_b32 s24, exec_lo
	s_delay_alu instid0(VALU_DEP_2)
	v_cmpx_ne_u32_e32 0x80, v0
	s_cbranch_execz .LBB268_1202
; %bb.1197:                             ;   in Loop: Header=BB268_16 Depth=1
	s_mov_b32 s2, s8
	v_bfe_u32 v2, v2, 24, 7
	v_dual_mov_b32 v147, s3 :: v_dual_mov_b32 v146, s2
	s_mov_b32 s2, exec_lo
	s_delay_alu instid0(VALU_DEP_2)
	v_cmpx_ne_u32_e32 0x7f, v2
	s_cbranch_execz .LBB268_1201
; %bb.1198:                             ;   in Loop: Header=BB268_16 Depth=1
	v_and_b32_e32 v14, 7, v0
	v_lshrrev_b32_e32 v1, 3, v2
	s_mov_b32 s25, exec_lo
	v_cmpx_gt_u32_e32 8, v2
; %bb.1199:                             ;   in Loop: Header=BB268_16 Depth=1
	s_delay_alu instid0(VALU_DEP_3) | instskip(NEXT) | instid1(VALU_DEP_1)
	v_clz_i32_u32_e32 v1, v14
	v_min_u32_e32 v1, 32, v1
	s_delay_alu instid0(VALU_DEP_1) | instskip(SKIP_1) | instid1(VALU_DEP_2)
	v_subrev_nc_u32_e32 v2, 28, v1
	v_sub_nc_u32_e32 v1, 29, v1
	v_lshlrev_b64 v[2:3], v2, v[14:15]
	s_delay_alu instid0(VALU_DEP_1)
	v_and_b32_e32 v14, 7, v2
; %bb.1200:                             ;   in Loop: Header=BB268_16 Depth=1
	s_or_b32 exec_lo, exec_lo, s25
	v_lshlrev_b32_e32 v0, 24, v0
	s_delay_alu instid0(VALU_DEP_2) | instskip(SKIP_2) | instid1(VALU_DEP_4)
	v_lshlrev_b32_e32 v2, 20, v14
	v_lshl_add_u32 v1, v1, 23, 0x3c000000
	v_mov_b32_e32 v146, v15
	v_and_b32_e32 v0, 0x80000000, v0
	s_delay_alu instid0(VALU_DEP_1)
	v_or3_b32 v147, v2, v0, v1
.LBB268_1201:                           ;   in Loop: Header=BB268_16 Depth=1
	s_or_b32 exec_lo, exec_lo, s2
.LBB268_1202:                           ;   in Loop: Header=BB268_16 Depth=1
	s_delay_alu instid0(SALU_CYCLE_1)
	s_or_b32 exec_lo, exec_lo, s24
.LBB268_1203:                           ;   in Loop: Header=BB268_16 Depth=1
	s_delay_alu instid0(SALU_CYCLE_1)
	s_or_b32 exec_lo, exec_lo, s23
	flat_load_b32 v2, v[114:115] offset:516
	v_mov_b32_e32 v162, 0
	v_mov_b32_e32 v163, 0
	s_mov_b32 s2, exec_lo
	s_waitcnt vmcnt(0) lgkmcnt(0)
	v_and_b32_e32 v0, 0xff, v2
	s_delay_alu instid0(VALU_DEP_2) | instskip(NEXT) | instid1(VALU_DEP_2)
	v_dual_mov_b32 v16, v162 :: v_dual_mov_b32 v17, v163
	v_cmpx_ne_u16_e32 0, v0
	s_cbranch_execz .LBB268_1211
; %bb.1204:                             ;   in Loop: Header=BB268_16 Depth=1
	v_bfrev_b32_e32 v16, 1
	v_mov_b32_e32 v17, 0
	s_mov_b32 s23, exec_lo
	v_cmpx_ne_u16_e32 0x80, v0
	s_cbranch_execz .LBB268_1210
; %bb.1205:                             ;   in Loop: Header=BB268_16 Depth=1
	v_mov_b32_e32 v16, 0x7f800001
	v_and_b32_e32 v1, 0x7f, v2
	v_mov_b32_e32 v17, 0
	s_mov_b32 s24, exec_lo
	s_delay_alu instid0(VALU_DEP_2)
	v_cmpx_ne_u32_e32 0x7f, v1
	s_cbranch_execz .LBB268_1209
; %bb.1206:                             ;   in Loop: Header=BB268_16 Depth=1
	v_and_b32_e32 v14, 7, v2
	v_lshrrev_b32_e32 v0, 3, v1
	s_mov_b32 s25, exec_lo
	v_cmpx_gt_u32_e32 8, v1
; %bb.1207:                             ;   in Loop: Header=BB268_16 Depth=1
	s_delay_alu instid0(VALU_DEP_3) | instskip(NEXT) | instid1(VALU_DEP_1)
	v_clz_i32_u32_e32 v0, v14
	v_min_u32_e32 v0, 32, v0
	s_delay_alu instid0(VALU_DEP_1) | instskip(SKIP_1) | instid1(VALU_DEP_2)
	v_subrev_nc_u32_e32 v1, 28, v0
	v_sub_nc_u32_e32 v0, 29, v0
	v_lshlrev_b64 v[3:4], v1, v[14:15]
	s_delay_alu instid0(VALU_DEP_1)
	v_and_b32_e32 v14, 7, v3
; %bb.1208:                             ;   in Loop: Header=BB268_16 Depth=1
	s_or_b32 exec_lo, exec_lo, s25
	v_lshlrev_b32_e32 v1, 24, v2
	s_delay_alu instid0(VALU_DEP_2) | instskip(SKIP_1) | instid1(VALU_DEP_3)
	v_lshlrev_b32_e32 v3, 20, v14
	v_lshl_add_u32 v0, v0, 23, 0x3c000000
	v_and_b32_e32 v1, 0x80000000, v1
	s_delay_alu instid0(VALU_DEP_1) | instskip(NEXT) | instid1(VALU_DEP_1)
	v_or3_b32 v14, v3, v1, v0
	v_dual_mov_b32 v17, v15 :: v_dual_mov_b32 v16, v14
.LBB268_1209:                           ;   in Loop: Header=BB268_16 Depth=1
	s_or_b32 exec_lo, exec_lo, s24
.LBB268_1210:                           ;   in Loop: Header=BB268_16 Depth=1
	s_delay_alu instid0(SALU_CYCLE_1)
	s_or_b32 exec_lo, exec_lo, s23
.LBB268_1211:                           ;   in Loop: Header=BB268_16 Depth=1
	s_delay_alu instid0(SALU_CYCLE_1) | instskip(SKIP_2) | instid1(VALU_DEP_1)
	s_or_b32 exec_lo, exec_lo, s2
	v_lshrrev_b16 v0, 8, v2
	s_mov_b32 s23, exec_lo
	v_cmpx_ne_u16_e32 0, v0
	s_cbranch_execz .LBB268_1219
; %bb.1212:                             ;   in Loop: Header=BB268_16 Depth=1
	v_dual_mov_b32 v163, s9 :: v_dual_mov_b32 v162, s8
	s_mov_b32 s24, exec_lo
	v_cmpx_ne_u16_e32 0x80, v0
	s_cbranch_execz .LBB268_1218
; %bb.1213:                             ;   in Loop: Header=BB268_16 Depth=1
	s_mov_b32 s2, s8
	v_dual_mov_b32 v163, s3 :: v_dual_and_b32 v0, 0xffff, v0
	v_mov_b32_e32 v162, s2
	s_mov_b32 s2, exec_lo
	s_delay_alu instid0(VALU_DEP_2) | instskip(NEXT) | instid1(VALU_DEP_1)
	v_and_b32_e32 v1, 0x7f, v0
	v_cmpx_ne_u32_e32 0x7f, v1
	s_cbranch_execz .LBB268_1217
; %bb.1214:                             ;   in Loop: Header=BB268_16 Depth=1
	v_and_b32_e32 v14, 7, v0
	v_lshrrev_b32_e32 v0, 3, v1
	s_mov_b32 s25, exec_lo
	v_cmpx_gt_u32_e32 8, v1
; %bb.1215:                             ;   in Loop: Header=BB268_16 Depth=1
	s_delay_alu instid0(VALU_DEP_3) | instskip(NEXT) | instid1(VALU_DEP_1)
	v_clz_i32_u32_e32 v0, v14
	v_min_u32_e32 v0, 32, v0
	s_delay_alu instid0(VALU_DEP_1) | instskip(SKIP_1) | instid1(VALU_DEP_2)
	v_subrev_nc_u32_e32 v1, 28, v0
	v_sub_nc_u32_e32 v0, 29, v0
	v_lshlrev_b64 v[3:4], v1, v[14:15]
	s_delay_alu instid0(VALU_DEP_1)
	v_and_b32_e32 v14, 7, v3
; %bb.1216:                             ;   in Loop: Header=BB268_16 Depth=1
	s_or_b32 exec_lo, exec_lo, s25
	v_dual_mov_b32 v162, v15 :: v_dual_lshlrev_b32 v1, 16, v2
	s_delay_alu instid0(VALU_DEP_2) | instskip(SKIP_1) | instid1(VALU_DEP_3)
	v_lshlrev_b32_e32 v3, 20, v14
	v_lshl_add_u32 v0, v0, 23, 0x3c000000
	v_and_b32_e32 v1, 0x80000000, v1
	s_delay_alu instid0(VALU_DEP_1)
	v_or3_b32 v163, v3, v1, v0
.LBB268_1217:                           ;   in Loop: Header=BB268_16 Depth=1
	s_or_b32 exec_lo, exec_lo, s2
.LBB268_1218:                           ;   in Loop: Header=BB268_16 Depth=1
	s_delay_alu instid0(SALU_CYCLE_1)
	s_or_b32 exec_lo, exec_lo, s24
.LBB268_1219:                           ;   in Loop: Header=BB268_16 Depth=1
	s_delay_alu instid0(SALU_CYCLE_1) | instskip(SKIP_4) | instid1(VALU_DEP_2)
	s_or_b32 exec_lo, exec_lo, s23
	v_mov_b32_e32 v186, 0
	v_lshrrev_b32_e32 v3, 16, v2
	v_mov_b32_e32 v187, 0
	s_mov_b32 s2, exec_lo
	v_and_b32_e32 v0, 0xff, v3
	s_delay_alu instid0(VALU_DEP_2) | instskip(NEXT) | instid1(VALU_DEP_2)
	v_dual_mov_b32 v40, v186 :: v_dual_mov_b32 v41, v187
	v_cmpx_ne_u16_e32 0, v0
	s_cbranch_execz .LBB268_1227
; %bb.1220:                             ;   in Loop: Header=BB268_16 Depth=1
	v_bfrev_b32_e32 v40, 1
	v_mov_b32_e32 v41, 0
	s_mov_b32 s23, exec_lo
	v_cmpx_ne_u16_e32 0x80, v0
	s_cbranch_execz .LBB268_1226
; %bb.1221:                             ;   in Loop: Header=BB268_16 Depth=1
	v_mov_b32_e32 v40, 0x7f800001
	v_bfe_u32 v1, v2, 16, 7
	v_mov_b32_e32 v41, 0
	s_mov_b32 s24, exec_lo
	s_delay_alu instid0(VALU_DEP_2)
	v_cmpx_ne_u32_e32 0x7f, v1
	s_cbranch_execz .LBB268_1225
; %bb.1222:                             ;   in Loop: Header=BB268_16 Depth=1
	v_and_b32_e32 v14, 7, v3
	v_lshrrev_b32_e32 v0, 3, v1
	s_mov_b32 s25, exec_lo
	v_cmpx_gt_u32_e32 8, v1
; %bb.1223:                             ;   in Loop: Header=BB268_16 Depth=1
	s_delay_alu instid0(VALU_DEP_3) | instskip(NEXT) | instid1(VALU_DEP_1)
	v_clz_i32_u32_e32 v0, v14
	v_min_u32_e32 v0, 32, v0
	s_delay_alu instid0(VALU_DEP_1) | instskip(SKIP_1) | instid1(VALU_DEP_2)
	v_subrev_nc_u32_e32 v1, 28, v0
	v_sub_nc_u32_e32 v0, 29, v0
	v_lshlrev_b64 v[4:5], v1, v[14:15]
	s_delay_alu instid0(VALU_DEP_1)
	v_and_b32_e32 v14, 7, v4
; %bb.1224:                             ;   in Loop: Header=BB268_16 Depth=1
	s_or_b32 exec_lo, exec_lo, s25
	v_lshlrev_b32_e32 v1, 24, v3
	s_delay_alu instid0(VALU_DEP_2) | instskip(SKIP_1) | instid1(VALU_DEP_3)
	v_lshlrev_b32_e32 v3, 20, v14
	v_lshl_add_u32 v0, v0, 23, 0x3c000000
	v_and_b32_e32 v1, 0x80000000, v1
	s_delay_alu instid0(VALU_DEP_1) | instskip(NEXT) | instid1(VALU_DEP_1)
	v_or3_b32 v14, v3, v1, v0
	v_dual_mov_b32 v41, v15 :: v_dual_mov_b32 v40, v14
.LBB268_1225:                           ;   in Loop: Header=BB268_16 Depth=1
	s_or_b32 exec_lo, exec_lo, s24
.LBB268_1226:                           ;   in Loop: Header=BB268_16 Depth=1
	s_delay_alu instid0(SALU_CYCLE_1)
	s_or_b32 exec_lo, exec_lo, s23
.LBB268_1227:                           ;   in Loop: Header=BB268_16 Depth=1
	s_delay_alu instid0(SALU_CYCLE_1) | instskip(NEXT) | instid1(SALU_CYCLE_1)
	s_or_b32 exec_lo, exec_lo, s2
	s_mov_b32 s23, exec_lo
	v_cmpx_lt_u32_e32 0xffffff, v2
	s_cbranch_execz .LBB268_1235
; %bb.1228:                             ;   in Loop: Header=BB268_16 Depth=1
	v_lshrrev_b32_e32 v0, 24, v2
	v_dual_mov_b32 v187, s9 :: v_dual_mov_b32 v186, s8
	s_mov_b32 s24, exec_lo
	s_delay_alu instid0(VALU_DEP_2)
	v_cmpx_ne_u32_e32 0x80, v0
	s_cbranch_execz .LBB268_1234
; %bb.1229:                             ;   in Loop: Header=BB268_16 Depth=1
	s_mov_b32 s2, s8
	v_bfe_u32 v2, v2, 24, 7
	v_dual_mov_b32 v187, s3 :: v_dual_mov_b32 v186, s2
	s_mov_b32 s2, exec_lo
	s_delay_alu instid0(VALU_DEP_2)
	v_cmpx_ne_u32_e32 0x7f, v2
	s_cbranch_execz .LBB268_1233
; %bb.1230:                             ;   in Loop: Header=BB268_16 Depth=1
	v_and_b32_e32 v14, 7, v0
	v_lshrrev_b32_e32 v1, 3, v2
	s_mov_b32 s25, exec_lo
	v_cmpx_gt_u32_e32 8, v2
; %bb.1231:                             ;   in Loop: Header=BB268_16 Depth=1
	s_delay_alu instid0(VALU_DEP_3) | instskip(NEXT) | instid1(VALU_DEP_1)
	v_clz_i32_u32_e32 v1, v14
	v_min_u32_e32 v1, 32, v1
	s_delay_alu instid0(VALU_DEP_1) | instskip(SKIP_1) | instid1(VALU_DEP_2)
	v_subrev_nc_u32_e32 v2, 28, v1
	v_sub_nc_u32_e32 v1, 29, v1
	v_lshlrev_b64 v[2:3], v2, v[14:15]
	s_delay_alu instid0(VALU_DEP_1)
	v_and_b32_e32 v14, 7, v2
; %bb.1232:                             ;   in Loop: Header=BB268_16 Depth=1
	s_or_b32 exec_lo, exec_lo, s25
	v_lshlrev_b32_e32 v0, 24, v0
	s_delay_alu instid0(VALU_DEP_2) | instskip(SKIP_2) | instid1(VALU_DEP_4)
	v_lshlrev_b32_e32 v2, 20, v14
	v_lshl_add_u32 v1, v1, 23, 0x3c000000
	v_mov_b32_e32 v186, v15
	v_and_b32_e32 v0, 0x80000000, v0
	s_delay_alu instid0(VALU_DEP_1)
	v_or3_b32 v187, v2, v0, v1
.LBB268_1233:                           ;   in Loop: Header=BB268_16 Depth=1
	s_or_b32 exec_lo, exec_lo, s2
.LBB268_1234:                           ;   in Loop: Header=BB268_16 Depth=1
	s_delay_alu instid0(SALU_CYCLE_1)
	s_or_b32 exec_lo, exec_lo, s24
.LBB268_1235:                           ;   in Loop: Header=BB268_16 Depth=1
	s_delay_alu instid0(SALU_CYCLE_1)
	s_or_b32 exec_lo, exec_lo, s23
	flat_load_b32 v2, v[114:115] offset:520
	v_mov_b32_e32 v190, 0
	v_mov_b32_e32 v191, 0
	s_mov_b32 s2, exec_lo
	s_waitcnt vmcnt(0) lgkmcnt(0)
	v_and_b32_e32 v0, 0xff, v2
	s_delay_alu instid0(VALU_DEP_2) | instskip(NEXT) | instid1(VALU_DEP_2)
	v_dual_mov_b32 v72, v190 :: v_dual_mov_b32 v73, v191
	v_cmpx_ne_u16_e32 0, v0
	s_cbranch_execz .LBB268_1243
; %bb.1236:                             ;   in Loop: Header=BB268_16 Depth=1
	v_bfrev_b32_e32 v72, 1
	v_mov_b32_e32 v73, 0
	s_mov_b32 s23, exec_lo
	v_cmpx_ne_u16_e32 0x80, v0
	s_cbranch_execz .LBB268_1242
; %bb.1237:                             ;   in Loop: Header=BB268_16 Depth=1
	v_mov_b32_e32 v72, 0x7f800001
	v_and_b32_e32 v1, 0x7f, v2
	v_mov_b32_e32 v73, 0
	s_mov_b32 s24, exec_lo
	s_delay_alu instid0(VALU_DEP_2)
	v_cmpx_ne_u32_e32 0x7f, v1
	s_cbranch_execz .LBB268_1241
; %bb.1238:                             ;   in Loop: Header=BB268_16 Depth=1
	v_and_b32_e32 v14, 7, v2
	v_lshrrev_b32_e32 v0, 3, v1
	s_mov_b32 s25, exec_lo
	v_cmpx_gt_u32_e32 8, v1
; %bb.1239:                             ;   in Loop: Header=BB268_16 Depth=1
	s_delay_alu instid0(VALU_DEP_3) | instskip(NEXT) | instid1(VALU_DEP_1)
	v_clz_i32_u32_e32 v0, v14
	v_min_u32_e32 v0, 32, v0
	s_delay_alu instid0(VALU_DEP_1) | instskip(SKIP_1) | instid1(VALU_DEP_2)
	v_subrev_nc_u32_e32 v1, 28, v0
	v_sub_nc_u32_e32 v0, 29, v0
	v_lshlrev_b64 v[3:4], v1, v[14:15]
	s_delay_alu instid0(VALU_DEP_1)
	v_and_b32_e32 v14, 7, v3
; %bb.1240:                             ;   in Loop: Header=BB268_16 Depth=1
	s_or_b32 exec_lo, exec_lo, s25
	v_lshlrev_b32_e32 v1, 24, v2
	s_delay_alu instid0(VALU_DEP_2) | instskip(SKIP_1) | instid1(VALU_DEP_3)
	v_lshlrev_b32_e32 v3, 20, v14
	v_lshl_add_u32 v0, v0, 23, 0x3c000000
	v_and_b32_e32 v1, 0x80000000, v1
	s_delay_alu instid0(VALU_DEP_1) | instskip(NEXT) | instid1(VALU_DEP_1)
	v_or3_b32 v14, v3, v1, v0
	v_dual_mov_b32 v73, v15 :: v_dual_mov_b32 v72, v14
.LBB268_1241:                           ;   in Loop: Header=BB268_16 Depth=1
	s_or_b32 exec_lo, exec_lo, s24
.LBB268_1242:                           ;   in Loop: Header=BB268_16 Depth=1
	s_delay_alu instid0(SALU_CYCLE_1)
	s_or_b32 exec_lo, exec_lo, s23
.LBB268_1243:                           ;   in Loop: Header=BB268_16 Depth=1
	s_delay_alu instid0(SALU_CYCLE_1) | instskip(SKIP_2) | instid1(VALU_DEP_1)
	s_or_b32 exec_lo, exec_lo, s2
	v_lshrrev_b16 v0, 8, v2
	s_mov_b32 s23, exec_lo
	v_cmpx_ne_u16_e32 0, v0
	s_cbranch_execz .LBB268_1251
; %bb.1244:                             ;   in Loop: Header=BB268_16 Depth=1
	v_dual_mov_b32 v191, s9 :: v_dual_mov_b32 v190, s8
	s_mov_b32 s24, exec_lo
	v_cmpx_ne_u16_e32 0x80, v0
	s_cbranch_execz .LBB268_1250
; %bb.1245:                             ;   in Loop: Header=BB268_16 Depth=1
	s_mov_b32 s2, s8
	v_dual_mov_b32 v191, s3 :: v_dual_and_b32 v0, 0xffff, v0
	v_mov_b32_e32 v190, s2
	s_mov_b32 s2, exec_lo
	s_delay_alu instid0(VALU_DEP_2) | instskip(NEXT) | instid1(VALU_DEP_1)
	v_and_b32_e32 v1, 0x7f, v0
	v_cmpx_ne_u32_e32 0x7f, v1
	s_cbranch_execz .LBB268_1249
; %bb.1246:                             ;   in Loop: Header=BB268_16 Depth=1
	v_and_b32_e32 v14, 7, v0
	v_lshrrev_b32_e32 v0, 3, v1
	s_mov_b32 s25, exec_lo
	v_cmpx_gt_u32_e32 8, v1
; %bb.1247:                             ;   in Loop: Header=BB268_16 Depth=1
	s_delay_alu instid0(VALU_DEP_3) | instskip(NEXT) | instid1(VALU_DEP_1)
	v_clz_i32_u32_e32 v0, v14
	v_min_u32_e32 v0, 32, v0
	s_delay_alu instid0(VALU_DEP_1) | instskip(SKIP_1) | instid1(VALU_DEP_2)
	v_subrev_nc_u32_e32 v1, 28, v0
	v_sub_nc_u32_e32 v0, 29, v0
	v_lshlrev_b64 v[3:4], v1, v[14:15]
	s_delay_alu instid0(VALU_DEP_1)
	v_and_b32_e32 v14, 7, v3
; %bb.1248:                             ;   in Loop: Header=BB268_16 Depth=1
	s_or_b32 exec_lo, exec_lo, s25
	v_dual_mov_b32 v190, v15 :: v_dual_lshlrev_b32 v1, 16, v2
	s_delay_alu instid0(VALU_DEP_2) | instskip(SKIP_1) | instid1(VALU_DEP_3)
	v_lshlrev_b32_e32 v3, 20, v14
	v_lshl_add_u32 v0, v0, 23, 0x3c000000
	v_and_b32_e32 v1, 0x80000000, v1
	s_delay_alu instid0(VALU_DEP_1)
	v_or3_b32 v191, v3, v1, v0
.LBB268_1249:                           ;   in Loop: Header=BB268_16 Depth=1
	s_or_b32 exec_lo, exec_lo, s2
.LBB268_1250:                           ;   in Loop: Header=BB268_16 Depth=1
	s_delay_alu instid0(SALU_CYCLE_1)
	s_or_b32 exec_lo, exec_lo, s24
.LBB268_1251:                           ;   in Loop: Header=BB268_16 Depth=1
	s_delay_alu instid0(SALU_CYCLE_1) | instskip(SKIP_4) | instid1(VALU_DEP_1)
	s_or_b32 exec_lo, exec_lo, s23
	v_mov_b32_e32 v46, 0
	v_lshrrev_b32_e32 v3, 16, v2
	v_mov_b32_e32 v47, 0
	s_mov_b32 s2, exec_lo
	v_dual_mov_b32 v101, v47 :: v_dual_and_b32 v0, 0xff, v3
	v_mov_b32_e32 v100, v46
	s_delay_alu instid0(VALU_DEP_2)
	v_cmpx_ne_u16_e32 0, v0
	s_cbranch_execz .LBB268_1259
; %bb.1252:                             ;   in Loop: Header=BB268_16 Depth=1
	v_bfrev_b32_e32 v100, 1
	v_mov_b32_e32 v101, 0
	s_mov_b32 s23, exec_lo
	v_cmpx_ne_u16_e32 0x80, v0
	s_cbranch_execz .LBB268_1258
; %bb.1253:                             ;   in Loop: Header=BB268_16 Depth=1
	v_mov_b32_e32 v100, 0x7f800001
	v_bfe_u32 v1, v2, 16, 7
	v_mov_b32_e32 v101, 0
	s_mov_b32 s24, exec_lo
	s_delay_alu instid0(VALU_DEP_2)
	v_cmpx_ne_u32_e32 0x7f, v1
	s_cbranch_execz .LBB268_1257
; %bb.1254:                             ;   in Loop: Header=BB268_16 Depth=1
	v_and_b32_e32 v14, 7, v3
	v_lshrrev_b32_e32 v0, 3, v1
	s_mov_b32 s25, exec_lo
	v_cmpx_gt_u32_e32 8, v1
; %bb.1255:                             ;   in Loop: Header=BB268_16 Depth=1
	s_delay_alu instid0(VALU_DEP_3) | instskip(NEXT) | instid1(VALU_DEP_1)
	v_clz_i32_u32_e32 v0, v14
	v_min_u32_e32 v0, 32, v0
	s_delay_alu instid0(VALU_DEP_1) | instskip(SKIP_1) | instid1(VALU_DEP_2)
	v_subrev_nc_u32_e32 v1, 28, v0
	v_sub_nc_u32_e32 v0, 29, v0
	v_lshlrev_b64 v[4:5], v1, v[14:15]
	s_delay_alu instid0(VALU_DEP_1)
	v_and_b32_e32 v14, 7, v4
; %bb.1256:                             ;   in Loop: Header=BB268_16 Depth=1
	s_or_b32 exec_lo, exec_lo, s25
	v_lshlrev_b32_e32 v1, 24, v3
	s_delay_alu instid0(VALU_DEP_2) | instskip(SKIP_1) | instid1(VALU_DEP_3)
	v_lshlrev_b32_e32 v3, 20, v14
	v_lshl_add_u32 v0, v0, 23, 0x3c000000
	v_and_b32_e32 v1, 0x80000000, v1
	s_delay_alu instid0(VALU_DEP_1) | instskip(NEXT) | instid1(VALU_DEP_1)
	v_or3_b32 v14, v3, v1, v0
	v_dual_mov_b32 v101, v15 :: v_dual_mov_b32 v100, v14
.LBB268_1257:                           ;   in Loop: Header=BB268_16 Depth=1
	s_or_b32 exec_lo, exec_lo, s24
.LBB268_1258:                           ;   in Loop: Header=BB268_16 Depth=1
	s_delay_alu instid0(SALU_CYCLE_1)
	s_or_b32 exec_lo, exec_lo, s23
.LBB268_1259:                           ;   in Loop: Header=BB268_16 Depth=1
	s_delay_alu instid0(SALU_CYCLE_1) | instskip(NEXT) | instid1(SALU_CYCLE_1)
	s_or_b32 exec_lo, exec_lo, s2
	s_mov_b32 s23, exec_lo
	v_cmpx_lt_u32_e32 0xffffff, v2
	s_cbranch_execz .LBB268_1267
; %bb.1260:                             ;   in Loop: Header=BB268_16 Depth=1
	v_lshrrev_b32_e32 v0, 24, v2
	v_dual_mov_b32 v47, s9 :: v_dual_mov_b32 v46, s8
	s_mov_b32 s24, exec_lo
	s_delay_alu instid0(VALU_DEP_2)
	v_cmpx_ne_u32_e32 0x80, v0
	s_cbranch_execz .LBB268_1266
; %bb.1261:                             ;   in Loop: Header=BB268_16 Depth=1
	s_mov_b32 s2, s8
	v_bfe_u32 v2, v2, 24, 7
	v_dual_mov_b32 v47, s3 :: v_dual_mov_b32 v46, s2
	s_mov_b32 s2, exec_lo
	s_delay_alu instid0(VALU_DEP_2)
	v_cmpx_ne_u32_e32 0x7f, v2
	s_cbranch_execz .LBB268_1265
; %bb.1262:                             ;   in Loop: Header=BB268_16 Depth=1
	v_and_b32_e32 v14, 7, v0
	v_lshrrev_b32_e32 v1, 3, v2
	s_mov_b32 s25, exec_lo
	v_cmpx_gt_u32_e32 8, v2
; %bb.1263:                             ;   in Loop: Header=BB268_16 Depth=1
	s_delay_alu instid0(VALU_DEP_3) | instskip(NEXT) | instid1(VALU_DEP_1)
	v_clz_i32_u32_e32 v1, v14
	v_min_u32_e32 v1, 32, v1
	s_delay_alu instid0(VALU_DEP_1) | instskip(SKIP_1) | instid1(VALU_DEP_2)
	v_subrev_nc_u32_e32 v2, 28, v1
	v_sub_nc_u32_e32 v1, 29, v1
	v_lshlrev_b64 v[2:3], v2, v[14:15]
	s_delay_alu instid0(VALU_DEP_1)
	v_and_b32_e32 v14, 7, v2
; %bb.1264:                             ;   in Loop: Header=BB268_16 Depth=1
	s_or_b32 exec_lo, exec_lo, s25
	v_lshlrev_b32_e32 v0, 24, v0
	s_delay_alu instid0(VALU_DEP_2) | instskip(SKIP_2) | instid1(VALU_DEP_4)
	v_lshlrev_b32_e32 v2, 20, v14
	v_lshl_add_u32 v1, v1, 23, 0x3c000000
	v_mov_b32_e32 v46, v15
	v_and_b32_e32 v0, 0x80000000, v0
	s_delay_alu instid0(VALU_DEP_1)
	v_or3_b32 v47, v2, v0, v1
.LBB268_1265:                           ;   in Loop: Header=BB268_16 Depth=1
	s_or_b32 exec_lo, exec_lo, s2
.LBB268_1266:                           ;   in Loop: Header=BB268_16 Depth=1
	s_delay_alu instid0(SALU_CYCLE_1)
	s_or_b32 exec_lo, exec_lo, s24
.LBB268_1267:                           ;   in Loop: Header=BB268_16 Depth=1
	s_delay_alu instid0(SALU_CYCLE_1)
	s_or_b32 exec_lo, exec_lo, s23
	flat_load_b32 v2, v[114:115] offset:524
	v_mov_b32_e32 v58, 0
	v_mov_b32_e32 v59, 0
	s_mov_b32 s2, exec_lo
	s_waitcnt vmcnt(0) lgkmcnt(0)
	v_and_b32_e32 v0, 0xff, v2
	s_delay_alu instid0(VALU_DEP_2) | instskip(NEXT) | instid1(VALU_DEP_2)
	v_dual_mov_b32 v20, v58 :: v_dual_mov_b32 v21, v59
	v_cmpx_ne_u16_e32 0, v0
	s_cbranch_execz .LBB268_1275
; %bb.1268:                             ;   in Loop: Header=BB268_16 Depth=1
	v_bfrev_b32_e32 v20, 1
	v_mov_b32_e32 v21, 0
	s_mov_b32 s23, exec_lo
	v_cmpx_ne_u16_e32 0x80, v0
	s_cbranch_execz .LBB268_1274
; %bb.1269:                             ;   in Loop: Header=BB268_16 Depth=1
	v_mov_b32_e32 v20, 0x7f800001
	v_and_b32_e32 v1, 0x7f, v2
	v_mov_b32_e32 v21, 0
	s_mov_b32 s24, exec_lo
	s_delay_alu instid0(VALU_DEP_2)
	v_cmpx_ne_u32_e32 0x7f, v1
	s_cbranch_execz .LBB268_1273
; %bb.1270:                             ;   in Loop: Header=BB268_16 Depth=1
	v_and_b32_e32 v14, 7, v2
	v_lshrrev_b32_e32 v0, 3, v1
	s_mov_b32 s25, exec_lo
	v_cmpx_gt_u32_e32 8, v1
; %bb.1271:                             ;   in Loop: Header=BB268_16 Depth=1
	s_delay_alu instid0(VALU_DEP_3) | instskip(NEXT) | instid1(VALU_DEP_1)
	v_clz_i32_u32_e32 v0, v14
	v_min_u32_e32 v0, 32, v0
	s_delay_alu instid0(VALU_DEP_1) | instskip(SKIP_1) | instid1(VALU_DEP_2)
	v_subrev_nc_u32_e32 v1, 28, v0
	v_sub_nc_u32_e32 v0, 29, v0
	v_lshlrev_b64 v[3:4], v1, v[14:15]
	s_delay_alu instid0(VALU_DEP_1)
	v_and_b32_e32 v14, 7, v3
; %bb.1272:                             ;   in Loop: Header=BB268_16 Depth=1
	s_or_b32 exec_lo, exec_lo, s25
	v_lshlrev_b32_e32 v1, 24, v2
	s_delay_alu instid0(VALU_DEP_2) | instskip(SKIP_1) | instid1(VALU_DEP_3)
	v_lshlrev_b32_e32 v3, 20, v14
	v_lshl_add_u32 v0, v0, 23, 0x3c000000
	v_and_b32_e32 v1, 0x80000000, v1
	s_delay_alu instid0(VALU_DEP_1) | instskip(NEXT) | instid1(VALU_DEP_1)
	v_or3_b32 v14, v3, v1, v0
	v_dual_mov_b32 v21, v15 :: v_dual_mov_b32 v20, v14
.LBB268_1273:                           ;   in Loop: Header=BB268_16 Depth=1
	s_or_b32 exec_lo, exec_lo, s24
.LBB268_1274:                           ;   in Loop: Header=BB268_16 Depth=1
	s_delay_alu instid0(SALU_CYCLE_1)
	s_or_b32 exec_lo, exec_lo, s23
.LBB268_1275:                           ;   in Loop: Header=BB268_16 Depth=1
	s_delay_alu instid0(SALU_CYCLE_1) | instskip(SKIP_2) | instid1(VALU_DEP_1)
	s_or_b32 exec_lo, exec_lo, s2
	v_lshrrev_b16 v0, 8, v2
	s_mov_b32 s23, exec_lo
	v_cmpx_ne_u16_e32 0, v0
	s_cbranch_execz .LBB268_1283
; %bb.1276:                             ;   in Loop: Header=BB268_16 Depth=1
	v_dual_mov_b32 v59, s9 :: v_dual_mov_b32 v58, s8
	s_mov_b32 s24, exec_lo
	v_cmpx_ne_u16_e32 0x80, v0
	s_cbranch_execz .LBB268_1282
; %bb.1277:                             ;   in Loop: Header=BB268_16 Depth=1
	s_mov_b32 s2, s8
	v_dual_mov_b32 v59, s3 :: v_dual_and_b32 v0, 0xffff, v0
	v_mov_b32_e32 v58, s2
	s_mov_b32 s2, exec_lo
	s_delay_alu instid0(VALU_DEP_2) | instskip(NEXT) | instid1(VALU_DEP_1)
	v_and_b32_e32 v1, 0x7f, v0
	v_cmpx_ne_u32_e32 0x7f, v1
	s_cbranch_execz .LBB268_1281
; %bb.1278:                             ;   in Loop: Header=BB268_16 Depth=1
	v_and_b32_e32 v14, 7, v0
	v_lshrrev_b32_e32 v0, 3, v1
	s_mov_b32 s25, exec_lo
	v_cmpx_gt_u32_e32 8, v1
; %bb.1279:                             ;   in Loop: Header=BB268_16 Depth=1
	s_delay_alu instid0(VALU_DEP_3) | instskip(NEXT) | instid1(VALU_DEP_1)
	v_clz_i32_u32_e32 v0, v14
	v_min_u32_e32 v0, 32, v0
	s_delay_alu instid0(VALU_DEP_1) | instskip(SKIP_1) | instid1(VALU_DEP_2)
	v_subrev_nc_u32_e32 v1, 28, v0
	v_sub_nc_u32_e32 v0, 29, v0
	v_lshlrev_b64 v[3:4], v1, v[14:15]
	s_delay_alu instid0(VALU_DEP_1)
	v_and_b32_e32 v14, 7, v3
; %bb.1280:                             ;   in Loop: Header=BB268_16 Depth=1
	s_or_b32 exec_lo, exec_lo, s25
	v_dual_mov_b32 v58, v15 :: v_dual_lshlrev_b32 v1, 16, v2
	s_delay_alu instid0(VALU_DEP_2) | instskip(SKIP_1) | instid1(VALU_DEP_3)
	v_lshlrev_b32_e32 v3, 20, v14
	v_lshl_add_u32 v0, v0, 23, 0x3c000000
	v_and_b32_e32 v1, 0x80000000, v1
	s_delay_alu instid0(VALU_DEP_1)
	v_or3_b32 v59, v3, v1, v0
.LBB268_1281:                           ;   in Loop: Header=BB268_16 Depth=1
	s_or_b32 exec_lo, exec_lo, s2
.LBB268_1282:                           ;   in Loop: Header=BB268_16 Depth=1
	s_delay_alu instid0(SALU_CYCLE_1)
	s_or_b32 exec_lo, exec_lo, s24
.LBB268_1283:                           ;   in Loop: Header=BB268_16 Depth=1
	s_delay_alu instid0(SALU_CYCLE_1) | instskip(SKIP_4) | instid1(VALU_DEP_2)
	s_or_b32 exec_lo, exec_lo, s23
	v_mov_b32_e32 v62, 0
	v_lshrrev_b32_e32 v3, 16, v2
	v_mov_b32_e32 v63, 0
	s_mov_b32 s2, exec_lo
	v_and_b32_e32 v0, 0xff, v3
	s_delay_alu instid0(VALU_DEP_2) | instskip(NEXT) | instid1(VALU_DEP_2)
	v_dual_mov_b32 v22, v62 :: v_dual_mov_b32 v23, v63
	v_cmpx_ne_u16_e32 0, v0
	s_cbranch_execz .LBB268_1291
; %bb.1284:                             ;   in Loop: Header=BB268_16 Depth=1
	v_bfrev_b32_e32 v22, 1
	v_mov_b32_e32 v23, 0
	s_mov_b32 s23, exec_lo
	v_cmpx_ne_u16_e32 0x80, v0
	s_cbranch_execz .LBB268_1290
; %bb.1285:                             ;   in Loop: Header=BB268_16 Depth=1
	v_mov_b32_e32 v22, 0x7f800001
	v_bfe_u32 v1, v2, 16, 7
	v_mov_b32_e32 v23, 0
	s_mov_b32 s24, exec_lo
	s_delay_alu instid0(VALU_DEP_2)
	v_cmpx_ne_u32_e32 0x7f, v1
	s_cbranch_execz .LBB268_1289
; %bb.1286:                             ;   in Loop: Header=BB268_16 Depth=1
	v_and_b32_e32 v14, 7, v3
	v_lshrrev_b32_e32 v0, 3, v1
	s_mov_b32 s25, exec_lo
	v_cmpx_gt_u32_e32 8, v1
; %bb.1287:                             ;   in Loop: Header=BB268_16 Depth=1
	s_delay_alu instid0(VALU_DEP_3) | instskip(NEXT) | instid1(VALU_DEP_1)
	v_clz_i32_u32_e32 v0, v14
	v_min_u32_e32 v0, 32, v0
	s_delay_alu instid0(VALU_DEP_1) | instskip(SKIP_1) | instid1(VALU_DEP_2)
	v_subrev_nc_u32_e32 v1, 28, v0
	v_sub_nc_u32_e32 v0, 29, v0
	v_lshlrev_b64 v[4:5], v1, v[14:15]
	s_delay_alu instid0(VALU_DEP_1)
	v_and_b32_e32 v14, 7, v4
; %bb.1288:                             ;   in Loop: Header=BB268_16 Depth=1
	s_or_b32 exec_lo, exec_lo, s25
	v_lshlrev_b32_e32 v1, 24, v3
	s_delay_alu instid0(VALU_DEP_2) | instskip(SKIP_1) | instid1(VALU_DEP_3)
	v_lshlrev_b32_e32 v3, 20, v14
	v_lshl_add_u32 v0, v0, 23, 0x3c000000
	v_and_b32_e32 v1, 0x80000000, v1
	s_delay_alu instid0(VALU_DEP_1) | instskip(NEXT) | instid1(VALU_DEP_1)
	v_or3_b32 v14, v3, v1, v0
	v_dual_mov_b32 v23, v15 :: v_dual_mov_b32 v22, v14
.LBB268_1289:                           ;   in Loop: Header=BB268_16 Depth=1
	s_or_b32 exec_lo, exec_lo, s24
.LBB268_1290:                           ;   in Loop: Header=BB268_16 Depth=1
	s_delay_alu instid0(SALU_CYCLE_1)
	s_or_b32 exec_lo, exec_lo, s23
.LBB268_1291:                           ;   in Loop: Header=BB268_16 Depth=1
	s_delay_alu instid0(SALU_CYCLE_1) | instskip(NEXT) | instid1(SALU_CYCLE_1)
	s_or_b32 exec_lo, exec_lo, s2
	s_mov_b32 s23, exec_lo
	v_cmpx_lt_u32_e32 0xffffff, v2
	s_cbranch_execz .LBB268_1299
; %bb.1292:                             ;   in Loop: Header=BB268_16 Depth=1
	v_lshrrev_b32_e32 v0, 24, v2
	v_dual_mov_b32 v63, s9 :: v_dual_mov_b32 v62, s8
	s_mov_b32 s24, exec_lo
	s_delay_alu instid0(VALU_DEP_2)
	v_cmpx_ne_u32_e32 0x80, v0
	s_cbranch_execz .LBB268_1298
; %bb.1293:                             ;   in Loop: Header=BB268_16 Depth=1
	s_mov_b32 s2, s8
	v_bfe_u32 v2, v2, 24, 7
	v_dual_mov_b32 v63, s3 :: v_dual_mov_b32 v62, s2
	s_mov_b32 s2, exec_lo
	s_delay_alu instid0(VALU_DEP_2)
	v_cmpx_ne_u32_e32 0x7f, v2
	s_cbranch_execz .LBB268_1297
; %bb.1294:                             ;   in Loop: Header=BB268_16 Depth=1
	v_and_b32_e32 v14, 7, v0
	v_lshrrev_b32_e32 v1, 3, v2
	s_mov_b32 s25, exec_lo
	v_cmpx_gt_u32_e32 8, v2
; %bb.1295:                             ;   in Loop: Header=BB268_16 Depth=1
	s_delay_alu instid0(VALU_DEP_3) | instskip(NEXT) | instid1(VALU_DEP_1)
	v_clz_i32_u32_e32 v1, v14
	v_min_u32_e32 v1, 32, v1
	s_delay_alu instid0(VALU_DEP_1) | instskip(SKIP_1) | instid1(VALU_DEP_2)
	v_subrev_nc_u32_e32 v2, 28, v1
	v_sub_nc_u32_e32 v1, 29, v1
	v_lshlrev_b64 v[2:3], v2, v[14:15]
	s_delay_alu instid0(VALU_DEP_1)
	v_and_b32_e32 v14, 7, v2
; %bb.1296:                             ;   in Loop: Header=BB268_16 Depth=1
	s_or_b32 exec_lo, exec_lo, s25
	v_lshlrev_b32_e32 v0, 24, v0
	s_delay_alu instid0(VALU_DEP_2) | instskip(SKIP_2) | instid1(VALU_DEP_4)
	v_lshlrev_b32_e32 v2, 20, v14
	v_lshl_add_u32 v1, v1, 23, 0x3c000000
	v_mov_b32_e32 v62, v15
	v_and_b32_e32 v0, 0x80000000, v0
	s_delay_alu instid0(VALU_DEP_1)
	v_or3_b32 v63, v2, v0, v1
.LBB268_1297:                           ;   in Loop: Header=BB268_16 Depth=1
	s_or_b32 exec_lo, exec_lo, s2
.LBB268_1298:                           ;   in Loop: Header=BB268_16 Depth=1
	s_delay_alu instid0(SALU_CYCLE_1)
	s_or_b32 exec_lo, exec_lo, s24
.LBB268_1299:                           ;   in Loop: Header=BB268_16 Depth=1
	s_delay_alu instid0(SALU_CYCLE_1)
	s_or_b32 exec_lo, exec_lo, s23
	flat_load_b32 v2, v[114:115] offset:1024
	v_mov_b32_e32 v4, 0
	v_mov_b32_e32 v5, 0
	s_mov_b32 s2, exec_lo
	s_waitcnt vmcnt(0) lgkmcnt(0)
	s_delay_alu instid0(VALU_DEP_1) | instskip(SKIP_1) | instid1(VALU_DEP_2)
	v_dual_mov_b32 v75, v5 :: v_dual_and_b32 v0, 0xff, v2
	v_mov_b32_e32 v74, v4
	v_cmpx_ne_u16_e32 0, v0
	s_cbranch_execz .LBB268_1307
; %bb.1300:                             ;   in Loop: Header=BB268_16 Depth=1
	v_bfrev_b32_e32 v74, 1
	v_mov_b32_e32 v75, 0
	s_mov_b32 s23, exec_lo
	v_cmpx_ne_u16_e32 0x80, v0
	s_cbranch_execz .LBB268_1306
; %bb.1301:                             ;   in Loop: Header=BB268_16 Depth=1
	v_mov_b32_e32 v74, 0x7f800001
	v_and_b32_e32 v1, 0x7f, v2
	v_mov_b32_e32 v75, 0
	s_mov_b32 s24, exec_lo
	s_delay_alu instid0(VALU_DEP_2)
	v_cmpx_ne_u32_e32 0x7f, v1
	s_cbranch_execz .LBB268_1305
; %bb.1302:                             ;   in Loop: Header=BB268_16 Depth=1
	v_and_b32_e32 v14, 7, v2
	v_lshrrev_b32_e32 v0, 3, v1
	s_mov_b32 s25, exec_lo
	v_cmpx_gt_u32_e32 8, v1
; %bb.1303:                             ;   in Loop: Header=BB268_16 Depth=1
	s_delay_alu instid0(VALU_DEP_3) | instskip(NEXT) | instid1(VALU_DEP_1)
	v_clz_i32_u32_e32 v0, v14
	v_min_u32_e32 v0, 32, v0
	s_delay_alu instid0(VALU_DEP_1) | instskip(SKIP_1) | instid1(VALU_DEP_2)
	v_subrev_nc_u32_e32 v1, 28, v0
	v_sub_nc_u32_e32 v0, 29, v0
	v_lshlrev_b64 v[6:7], v1, v[14:15]
	s_delay_alu instid0(VALU_DEP_1)
	v_and_b32_e32 v14, 7, v6
; %bb.1304:                             ;   in Loop: Header=BB268_16 Depth=1
	s_or_b32 exec_lo, exec_lo, s25
	v_lshlrev_b32_e32 v1, 24, v2
	s_delay_alu instid0(VALU_DEP_2) | instskip(SKIP_1) | instid1(VALU_DEP_3)
	v_lshlrev_b32_e32 v3, 20, v14
	v_lshl_add_u32 v0, v0, 23, 0x3c000000
	v_and_b32_e32 v1, 0x80000000, v1
	s_delay_alu instid0(VALU_DEP_1) | instskip(NEXT) | instid1(VALU_DEP_1)
	v_or3_b32 v14, v3, v1, v0
	v_dual_mov_b32 v75, v15 :: v_dual_mov_b32 v74, v14
.LBB268_1305:                           ;   in Loop: Header=BB268_16 Depth=1
	s_or_b32 exec_lo, exec_lo, s24
.LBB268_1306:                           ;   in Loop: Header=BB268_16 Depth=1
	s_delay_alu instid0(SALU_CYCLE_1)
	s_or_b32 exec_lo, exec_lo, s23
.LBB268_1307:                           ;   in Loop: Header=BB268_16 Depth=1
	s_delay_alu instid0(SALU_CYCLE_1) | instskip(SKIP_2) | instid1(VALU_DEP_1)
	s_or_b32 exec_lo, exec_lo, s2
	v_lshrrev_b16 v0, 8, v2
	s_mov_b32 s23, exec_lo
	v_cmpx_ne_u16_e32 0, v0
	s_cbranch_execz .LBB268_1315
; %bb.1308:                             ;   in Loop: Header=BB268_16 Depth=1
	v_dual_mov_b32 v4, s8 :: v_dual_mov_b32 v5, s9
	s_mov_b32 s24, exec_lo
	v_cmpx_ne_u16_e32 0x80, v0
	s_cbranch_execz .LBB268_1314
; %bb.1309:                             ;   in Loop: Header=BB268_16 Depth=1
	s_mov_b32 s2, s8
	v_dual_mov_b32 v5, s3 :: v_dual_and_b32 v0, 0xffff, v0
	v_mov_b32_e32 v4, s2
	s_mov_b32 s2, exec_lo
	s_delay_alu instid0(VALU_DEP_2) | instskip(NEXT) | instid1(VALU_DEP_1)
	v_and_b32_e32 v1, 0x7f, v0
	v_cmpx_ne_u32_e32 0x7f, v1
	s_cbranch_execz .LBB268_1313
; %bb.1310:                             ;   in Loop: Header=BB268_16 Depth=1
	v_and_b32_e32 v14, 7, v0
	v_lshrrev_b32_e32 v0, 3, v1
	s_mov_b32 s25, exec_lo
	v_cmpx_gt_u32_e32 8, v1
; %bb.1311:                             ;   in Loop: Header=BB268_16 Depth=1
	s_delay_alu instid0(VALU_DEP_3) | instskip(NEXT) | instid1(VALU_DEP_1)
	v_clz_i32_u32_e32 v0, v14
	v_min_u32_e32 v0, 32, v0
	s_delay_alu instid0(VALU_DEP_1) | instskip(SKIP_1) | instid1(VALU_DEP_2)
	v_subrev_nc_u32_e32 v1, 28, v0
	v_sub_nc_u32_e32 v0, 29, v0
	v_lshlrev_b64 v[3:4], v1, v[14:15]
	s_delay_alu instid0(VALU_DEP_1)
	v_and_b32_e32 v14, 7, v3
; %bb.1312:                             ;   in Loop: Header=BB268_16 Depth=1
	s_or_b32 exec_lo, exec_lo, s25
	v_dual_mov_b32 v4, v15 :: v_dual_lshlrev_b32 v1, 16, v2
	s_delay_alu instid0(VALU_DEP_2) | instskip(SKIP_1) | instid1(VALU_DEP_3)
	v_lshlrev_b32_e32 v3, 20, v14
	v_lshl_add_u32 v0, v0, 23, 0x3c000000
	v_and_b32_e32 v1, 0x80000000, v1
	s_delay_alu instid0(VALU_DEP_1)
	v_or3_b32 v5, v3, v1, v0
.LBB268_1313:                           ;   in Loop: Header=BB268_16 Depth=1
	s_or_b32 exec_lo, exec_lo, s2
.LBB268_1314:                           ;   in Loop: Header=BB268_16 Depth=1
	s_delay_alu instid0(SALU_CYCLE_1)
	s_or_b32 exec_lo, exec_lo, s24
.LBB268_1315:                           ;   in Loop: Header=BB268_16 Depth=1
	s_delay_alu instid0(SALU_CYCLE_1) | instskip(SKIP_4) | instid1(VALU_DEP_1)
	s_or_b32 exec_lo, exec_lo, s23
	v_mov_b32_e32 v12, 0
	v_lshrrev_b32_e32 v3, 16, v2
	v_mov_b32_e32 v13, 0
	s_mov_b32 s2, exec_lo
	v_dual_mov_b32 v79, v13 :: v_dual_and_b32 v0, 0xff, v3
	v_mov_b32_e32 v78, v12
	s_delay_alu instid0(VALU_DEP_2)
	v_cmpx_ne_u16_e32 0, v0
	s_cbranch_execz .LBB268_1323
; %bb.1316:                             ;   in Loop: Header=BB268_16 Depth=1
	v_bfrev_b32_e32 v78, 1
	v_mov_b32_e32 v79, 0
	s_mov_b32 s23, exec_lo
	v_cmpx_ne_u16_e32 0x80, v0
	s_cbranch_execz .LBB268_1322
; %bb.1317:                             ;   in Loop: Header=BB268_16 Depth=1
	v_mov_b32_e32 v78, 0x7f800001
	v_bfe_u32 v1, v2, 16, 7
	v_mov_b32_e32 v79, 0
	s_mov_b32 s24, exec_lo
	s_delay_alu instid0(VALU_DEP_2)
	v_cmpx_ne_u32_e32 0x7f, v1
	s_cbranch_execz .LBB268_1321
; %bb.1318:                             ;   in Loop: Header=BB268_16 Depth=1
	v_and_b32_e32 v14, 7, v3
	v_lshrrev_b32_e32 v0, 3, v1
	s_mov_b32 s25, exec_lo
	v_cmpx_gt_u32_e32 8, v1
; %bb.1319:                             ;   in Loop: Header=BB268_16 Depth=1
	s_delay_alu instid0(VALU_DEP_3) | instskip(NEXT) | instid1(VALU_DEP_1)
	v_clz_i32_u32_e32 v0, v14
	v_min_u32_e32 v0, 32, v0
	s_delay_alu instid0(VALU_DEP_1) | instskip(SKIP_1) | instid1(VALU_DEP_2)
	v_subrev_nc_u32_e32 v1, 28, v0
	v_sub_nc_u32_e32 v0, 29, v0
	v_lshlrev_b64 v[6:7], v1, v[14:15]
	s_delay_alu instid0(VALU_DEP_1)
	v_and_b32_e32 v14, 7, v6
; %bb.1320:                             ;   in Loop: Header=BB268_16 Depth=1
	s_or_b32 exec_lo, exec_lo, s25
	v_lshlrev_b32_e32 v1, 24, v3
	s_delay_alu instid0(VALU_DEP_2) | instskip(SKIP_1) | instid1(VALU_DEP_3)
	v_lshlrev_b32_e32 v3, 20, v14
	v_lshl_add_u32 v0, v0, 23, 0x3c000000
	v_and_b32_e32 v1, 0x80000000, v1
	s_delay_alu instid0(VALU_DEP_1) | instskip(NEXT) | instid1(VALU_DEP_1)
	v_or3_b32 v14, v3, v1, v0
	v_dual_mov_b32 v79, v15 :: v_dual_mov_b32 v78, v14
.LBB268_1321:                           ;   in Loop: Header=BB268_16 Depth=1
	s_or_b32 exec_lo, exec_lo, s24
.LBB268_1322:                           ;   in Loop: Header=BB268_16 Depth=1
	s_delay_alu instid0(SALU_CYCLE_1)
	s_or_b32 exec_lo, exec_lo, s23
.LBB268_1323:                           ;   in Loop: Header=BB268_16 Depth=1
	s_delay_alu instid0(SALU_CYCLE_1) | instskip(NEXT) | instid1(SALU_CYCLE_1)
	s_or_b32 exec_lo, exec_lo, s2
	s_mov_b32 s23, exec_lo
	v_cmpx_lt_u32_e32 0xffffff, v2
	s_cbranch_execz .LBB268_1331
; %bb.1324:                             ;   in Loop: Header=BB268_16 Depth=1
	v_lshrrev_b32_e32 v0, 24, v2
	v_dual_mov_b32 v13, s9 :: v_dual_mov_b32 v12, s8
	s_mov_b32 s24, exec_lo
	s_delay_alu instid0(VALU_DEP_2)
	v_cmpx_ne_u32_e32 0x80, v0
	s_cbranch_execz .LBB268_1330
; %bb.1325:                             ;   in Loop: Header=BB268_16 Depth=1
	s_mov_b32 s2, s8
	v_bfe_u32 v2, v2, 24, 7
	v_dual_mov_b32 v13, s3 :: v_dual_mov_b32 v12, s2
	s_mov_b32 s2, exec_lo
	s_delay_alu instid0(VALU_DEP_2)
	v_cmpx_ne_u32_e32 0x7f, v2
	s_cbranch_execz .LBB268_1329
; %bb.1326:                             ;   in Loop: Header=BB268_16 Depth=1
	v_and_b32_e32 v14, 7, v0
	v_lshrrev_b32_e32 v1, 3, v2
	s_mov_b32 s25, exec_lo
	v_cmpx_gt_u32_e32 8, v2
; %bb.1327:                             ;   in Loop: Header=BB268_16 Depth=1
	s_delay_alu instid0(VALU_DEP_3) | instskip(NEXT) | instid1(VALU_DEP_1)
	v_clz_i32_u32_e32 v1, v14
	v_min_u32_e32 v1, 32, v1
	s_delay_alu instid0(VALU_DEP_1) | instskip(SKIP_1) | instid1(VALU_DEP_2)
	v_subrev_nc_u32_e32 v2, 28, v1
	v_sub_nc_u32_e32 v1, 29, v1
	v_lshlrev_b64 v[2:3], v2, v[14:15]
	s_delay_alu instid0(VALU_DEP_1)
	v_and_b32_e32 v14, 7, v2
; %bb.1328:                             ;   in Loop: Header=BB268_16 Depth=1
	s_or_b32 exec_lo, exec_lo, s25
	v_lshlrev_b32_e32 v0, 24, v0
	s_delay_alu instid0(VALU_DEP_2) | instskip(SKIP_2) | instid1(VALU_DEP_4)
	v_lshlrev_b32_e32 v2, 20, v14
	v_lshl_add_u32 v1, v1, 23, 0x3c000000
	v_mov_b32_e32 v12, v15
	v_and_b32_e32 v0, 0x80000000, v0
	s_delay_alu instid0(VALU_DEP_1)
	v_or3_b32 v13, v2, v0, v1
.LBB268_1329:                           ;   in Loop: Header=BB268_16 Depth=1
	s_or_b32 exec_lo, exec_lo, s2
.LBB268_1330:                           ;   in Loop: Header=BB268_16 Depth=1
	s_delay_alu instid0(SALU_CYCLE_1)
	s_or_b32 exec_lo, exec_lo, s24
.LBB268_1331:                           ;   in Loop: Header=BB268_16 Depth=1
	s_delay_alu instid0(SALU_CYCLE_1)
	s_or_b32 exec_lo, exec_lo, s23
	flat_load_b32 v6, v[114:115] offset:1028
	v_mov_b32_e32 v90, 0
	v_mov_b32_e32 v91, 0
	s_mov_b32 s2, exec_lo
	s_waitcnt vmcnt(0) lgkmcnt(0)
	s_delay_alu instid0(VALU_DEP_1) | instskip(SKIP_1) | instid1(VALU_DEP_2)
	v_dual_mov_b32 v149, v91 :: v_dual_and_b32 v0, 0xff, v6
	v_mov_b32_e32 v148, v90
	v_cmpx_ne_u16_e32 0, v0
	s_cbranch_execz .LBB268_1339
; %bb.1332:                             ;   in Loop: Header=BB268_16 Depth=1
	v_bfrev_b32_e32 v148, 1
	v_mov_b32_e32 v149, 0
	s_mov_b32 s23, exec_lo
	v_cmpx_ne_u16_e32 0x80, v0
	s_cbranch_execz .LBB268_1338
; %bb.1333:                             ;   in Loop: Header=BB268_16 Depth=1
	v_mov_b32_e32 v148, 0x7f800001
	v_and_b32_e32 v1, 0x7f, v6
	v_mov_b32_e32 v149, 0
	s_mov_b32 s24, exec_lo
	s_delay_alu instid0(VALU_DEP_2)
	v_cmpx_ne_u32_e32 0x7f, v1
	s_cbranch_execz .LBB268_1337
; %bb.1334:                             ;   in Loop: Header=BB268_16 Depth=1
	v_and_b32_e32 v14, 7, v6
	v_lshrrev_b32_e32 v0, 3, v1
	s_mov_b32 s25, exec_lo
	v_cmpx_gt_u32_e32 8, v1
; %bb.1335:                             ;   in Loop: Header=BB268_16 Depth=1
	s_delay_alu instid0(VALU_DEP_3) | instskip(NEXT) | instid1(VALU_DEP_1)
	v_clz_i32_u32_e32 v0, v14
	v_min_u32_e32 v0, 32, v0
	s_delay_alu instid0(VALU_DEP_1) | instskip(SKIP_1) | instid1(VALU_DEP_2)
	v_subrev_nc_u32_e32 v1, 28, v0
	v_sub_nc_u32_e32 v0, 29, v0
	v_lshlrev_b64 v[1:2], v1, v[14:15]
	s_delay_alu instid0(VALU_DEP_1)
	v_and_b32_e32 v14, 7, v1
; %bb.1336:                             ;   in Loop: Header=BB268_16 Depth=1
	s_or_b32 exec_lo, exec_lo, s25
	v_lshlrev_b32_e32 v1, 24, v6
	s_delay_alu instid0(VALU_DEP_2) | instskip(SKIP_1) | instid1(VALU_DEP_3)
	v_lshlrev_b32_e32 v2, 20, v14
	v_lshl_add_u32 v0, v0, 23, 0x3c000000
	v_and_b32_e32 v1, 0x80000000, v1
	s_delay_alu instid0(VALU_DEP_1) | instskip(NEXT) | instid1(VALU_DEP_1)
	v_or3_b32 v14, v2, v1, v0
	v_dual_mov_b32 v149, v15 :: v_dual_mov_b32 v148, v14
.LBB268_1337:                           ;   in Loop: Header=BB268_16 Depth=1
	s_or_b32 exec_lo, exec_lo, s24
.LBB268_1338:                           ;   in Loop: Header=BB268_16 Depth=1
	s_delay_alu instid0(SALU_CYCLE_1)
	s_or_b32 exec_lo, exec_lo, s23
.LBB268_1339:                           ;   in Loop: Header=BB268_16 Depth=1
	s_delay_alu instid0(SALU_CYCLE_1) | instskip(SKIP_2) | instid1(VALU_DEP_1)
	s_or_b32 exec_lo, exec_lo, s2
	v_lshrrev_b16 v0, 8, v6
	s_mov_b32 s23, exec_lo
	v_cmpx_ne_u16_e32 0, v0
	s_cbranch_execz .LBB268_1347
; %bb.1340:                             ;   in Loop: Header=BB268_16 Depth=1
	v_dual_mov_b32 v91, s9 :: v_dual_mov_b32 v90, s8
	s_mov_b32 s24, exec_lo
	v_cmpx_ne_u16_e32 0x80, v0
	s_cbranch_execz .LBB268_1346
; %bb.1341:                             ;   in Loop: Header=BB268_16 Depth=1
	s_mov_b32 s2, s8
	v_dual_mov_b32 v91, s3 :: v_dual_and_b32 v0, 0xffff, v0
	v_mov_b32_e32 v90, s2
	s_mov_b32 s2, exec_lo
	s_delay_alu instid0(VALU_DEP_2) | instskip(NEXT) | instid1(VALU_DEP_1)
	v_and_b32_e32 v1, 0x7f, v0
	v_cmpx_ne_u32_e32 0x7f, v1
	s_cbranch_execz .LBB268_1345
; %bb.1342:                             ;   in Loop: Header=BB268_16 Depth=1
	v_and_b32_e32 v14, 7, v0
	v_lshrrev_b32_e32 v0, 3, v1
	s_mov_b32 s25, exec_lo
	v_cmpx_gt_u32_e32 8, v1
; %bb.1343:                             ;   in Loop: Header=BB268_16 Depth=1
	s_delay_alu instid0(VALU_DEP_3) | instskip(NEXT) | instid1(VALU_DEP_1)
	v_clz_i32_u32_e32 v0, v14
	v_min_u32_e32 v0, 32, v0
	s_delay_alu instid0(VALU_DEP_1) | instskip(SKIP_1) | instid1(VALU_DEP_2)
	v_subrev_nc_u32_e32 v1, 28, v0
	v_sub_nc_u32_e32 v0, 29, v0
	v_lshlrev_b64 v[18:19], v1, v[14:15]
	s_delay_alu instid0(VALU_DEP_1)
	v_and_b32_e32 v14, 7, v18
; %bb.1344:                             ;   in Loop: Header=BB268_16 Depth=1
	s_or_b32 exec_lo, exec_lo, s25
	v_dual_mov_b32 v90, v15 :: v_dual_lshlrev_b32 v1, 16, v6
	s_delay_alu instid0(VALU_DEP_2) | instskip(SKIP_1) | instid1(VALU_DEP_3)
	v_lshlrev_b32_e32 v7, 20, v14
	v_lshl_add_u32 v0, v0, 23, 0x3c000000
	v_and_b32_e32 v1, 0x80000000, v1
	s_delay_alu instid0(VALU_DEP_1)
	v_or3_b32 v91, v7, v1, v0
.LBB268_1345:                           ;   in Loop: Header=BB268_16 Depth=1
	s_or_b32 exec_lo, exec_lo, s2
.LBB268_1346:                           ;   in Loop: Header=BB268_16 Depth=1
	s_delay_alu instid0(SALU_CYCLE_1)
	s_or_b32 exec_lo, exec_lo, s24
.LBB268_1347:                           ;   in Loop: Header=BB268_16 Depth=1
	s_delay_alu instid0(SALU_CYCLE_1) | instskip(SKIP_4) | instid1(VALU_DEP_2)
	s_or_b32 exec_lo, exec_lo, s23
	v_mov_b32_e32 v94, 0
	v_lshrrev_b32_e32 v7, 16, v6
	v_mov_b32_e32 v95, 0
	s_mov_b32 s2, exec_lo
	v_and_b32_e32 v0, 0xff, v7
	s_delay_alu instid0(VALU_DEP_2) | instskip(NEXT) | instid1(VALU_DEP_2)
	v_dual_mov_b32 v18, v94 :: v_dual_mov_b32 v19, v95
	v_cmpx_ne_u16_e32 0, v0
	s_cbranch_execz .LBB268_1355
; %bb.1348:                             ;   in Loop: Header=BB268_16 Depth=1
	v_bfrev_b32_e32 v18, 1
	v_mov_b32_e32 v19, 0
	s_mov_b32 s23, exec_lo
	v_cmpx_ne_u16_e32 0x80, v0
	s_cbranch_execz .LBB268_1354
; %bb.1349:                             ;   in Loop: Header=BB268_16 Depth=1
	v_mov_b32_e32 v18, 0x7f800001
	v_bfe_u32 v1, v6, 16, 7
	v_mov_b32_e32 v19, 0
	s_mov_b32 s24, exec_lo
	s_delay_alu instid0(VALU_DEP_2)
	v_cmpx_ne_u32_e32 0x7f, v1
	s_cbranch_execz .LBB268_1353
; %bb.1350:                             ;   in Loop: Header=BB268_16 Depth=1
	v_and_b32_e32 v14, 7, v7
	v_lshrrev_b32_e32 v0, 3, v1
	s_mov_b32 s25, exec_lo
	v_cmpx_gt_u32_e32 8, v1
; %bb.1351:                             ;   in Loop: Header=BB268_16 Depth=1
	s_delay_alu instid0(VALU_DEP_3) | instskip(NEXT) | instid1(VALU_DEP_1)
	v_clz_i32_u32_e32 v0, v14
	v_min_u32_e32 v0, 32, v0
	s_delay_alu instid0(VALU_DEP_1) | instskip(SKIP_1) | instid1(VALU_DEP_2)
	v_subrev_nc_u32_e32 v1, 28, v0
	v_sub_nc_u32_e32 v0, 29, v0
	v_lshlrev_b64 v[18:19], v1, v[14:15]
	s_delay_alu instid0(VALU_DEP_1)
	v_and_b32_e32 v14, 7, v18
; %bb.1352:                             ;   in Loop: Header=BB268_16 Depth=1
	s_or_b32 exec_lo, exec_lo, s25
	v_lshlrev_b32_e32 v1, 24, v7
	s_delay_alu instid0(VALU_DEP_2) | instskip(SKIP_1) | instid1(VALU_DEP_3)
	v_lshlrev_b32_e32 v7, 20, v14
	v_lshl_add_u32 v0, v0, 23, 0x3c000000
	v_and_b32_e32 v1, 0x80000000, v1
	s_delay_alu instid0(VALU_DEP_1) | instskip(NEXT) | instid1(VALU_DEP_1)
	v_or3_b32 v14, v7, v1, v0
	v_dual_mov_b32 v19, v15 :: v_dual_mov_b32 v18, v14
.LBB268_1353:                           ;   in Loop: Header=BB268_16 Depth=1
	s_or_b32 exec_lo, exec_lo, s24
.LBB268_1354:                           ;   in Loop: Header=BB268_16 Depth=1
	s_delay_alu instid0(SALU_CYCLE_1)
	s_or_b32 exec_lo, exec_lo, s23
.LBB268_1355:                           ;   in Loop: Header=BB268_16 Depth=1
	s_delay_alu instid0(SALU_CYCLE_1) | instskip(NEXT) | instid1(SALU_CYCLE_1)
	s_or_b32 exec_lo, exec_lo, s2
	s_mov_b32 s23, exec_lo
	v_cmpx_lt_u32_e32 0xffffff, v6
	s_cbranch_execz .LBB268_1363
; %bb.1356:                             ;   in Loop: Header=BB268_16 Depth=1
	v_lshrrev_b32_e32 v0, 24, v6
	v_dual_mov_b32 v95, s9 :: v_dual_mov_b32 v94, s8
	s_mov_b32 s24, exec_lo
	s_delay_alu instid0(VALU_DEP_2)
	v_cmpx_ne_u32_e32 0x80, v0
	s_cbranch_execz .LBB268_1362
; %bb.1357:                             ;   in Loop: Header=BB268_16 Depth=1
	s_mov_b32 s2, s8
	v_bfe_u32 v6, v6, 24, 7
	v_dual_mov_b32 v95, s3 :: v_dual_mov_b32 v94, s2
	s_mov_b32 s2, exec_lo
	s_delay_alu instid0(VALU_DEP_2)
	v_cmpx_ne_u32_e32 0x7f, v6
	s_cbranch_execz .LBB268_1361
; %bb.1358:                             ;   in Loop: Header=BB268_16 Depth=1
	v_and_b32_e32 v14, 7, v0
	v_lshrrev_b32_e32 v1, 3, v6
	v_cmp_gt_u32_e64 s1, 8, v6
	s_delay_alu instid0(VALU_DEP_3) | instskip(NEXT) | instid1(VALU_DEP_2)
	v_dual_mov_b32 v6, v14 :: v_dual_mov_b32 v7, v15
	s_and_saveexec_b32 s25, s1
; %bb.1359:                             ;   in Loop: Header=BB268_16 Depth=1
	v_clz_i32_u32_e32 v1, v14
	s_delay_alu instid0(VALU_DEP_1) | instskip(NEXT) | instid1(VALU_DEP_1)
	v_min_u32_e32 v1, 32, v1
	v_subrev_nc_u32_e32 v6, 28, v1
	v_sub_nc_u32_e32 v1, 29, v1
	s_delay_alu instid0(VALU_DEP_2) | instskip(NEXT) | instid1(VALU_DEP_1)
	v_lshlrev_b64 v[6:7], v6, v[14:15]
	v_and_b32_e32 v6, 7, v6
; %bb.1360:                             ;   in Loop: Header=BB268_16 Depth=1
	s_or_b32 exec_lo, exec_lo, s25
	v_lshlrev_b32_e32 v0, 24, v0
	s_delay_alu instid0(VALU_DEP_2) | instskip(SKIP_2) | instid1(VALU_DEP_4)
	v_lshlrev_b32_e32 v6, 20, v6
	v_lshl_add_u32 v1, v1, 23, 0x3c000000
	v_mov_b32_e32 v94, v15
	v_and_b32_e32 v0, 0x80000000, v0
	s_delay_alu instid0(VALU_DEP_1)
	v_or3_b32 v95, v6, v0, v1
.LBB268_1361:                           ;   in Loop: Header=BB268_16 Depth=1
	s_or_b32 exec_lo, exec_lo, s2
.LBB268_1362:                           ;   in Loop: Header=BB268_16 Depth=1
	s_delay_alu instid0(SALU_CYCLE_1)
	s_or_b32 exec_lo, exec_lo, s24
.LBB268_1363:                           ;   in Loop: Header=BB268_16 Depth=1
	s_delay_alu instid0(SALU_CYCLE_1)
	s_or_b32 exec_lo, exec_lo, s23
	flat_load_b32 v32, v[114:115] offset:1032
	v_mov_b32_e32 v106, 0
	v_mov_b32_e32 v107, 0
	s_mov_b32 s2, exec_lo
	s_waitcnt vmcnt(0) lgkmcnt(0)
	v_and_b32_e32 v0, 0xff, v32
	s_delay_alu instid0(VALU_DEP_2) | instskip(NEXT) | instid1(VALU_DEP_2)
	v_dual_mov_b32 v48, v106 :: v_dual_mov_b32 v49, v107
	v_cmpx_ne_u16_e32 0, v0
	s_cbranch_execz .LBB268_1371
; %bb.1364:                             ;   in Loop: Header=BB268_16 Depth=1
	v_bfrev_b32_e32 v48, 1
	v_mov_b32_e32 v49, 0
	s_mov_b32 s23, exec_lo
	v_cmpx_ne_u16_e32 0x80, v0
	s_cbranch_execz .LBB268_1370
; %bb.1365:                             ;   in Loop: Header=BB268_16 Depth=1
	v_mov_b32_e32 v48, 0x7f800001
	v_and_b32_e32 v1, 0x7f, v32
	v_mov_b32_e32 v49, 0
	s_mov_b32 s24, exec_lo
	s_delay_alu instid0(VALU_DEP_2)
	v_cmpx_ne_u32_e32 0x7f, v1
	s_cbranch_execz .LBB268_1369
; %bb.1366:                             ;   in Loop: Header=BB268_16 Depth=1
	v_and_b32_e32 v14, 7, v32
	v_lshrrev_b32_e32 v0, 3, v1
	s_mov_b32 s25, exec_lo
	s_delay_alu instid0(VALU_DEP_2)
	v_dual_mov_b32 v6, v14 :: v_dual_mov_b32 v7, v15
	v_cmpx_gt_u32_e32 8, v1
; %bb.1367:                             ;   in Loop: Header=BB268_16 Depth=1
	v_clz_i32_u32_e32 v0, v14
	s_delay_alu instid0(VALU_DEP_1) | instskip(NEXT) | instid1(VALU_DEP_1)
	v_min_u32_e32 v0, 32, v0
	v_subrev_nc_u32_e32 v1, 28, v0
	v_sub_nc_u32_e32 v0, 29, v0
	s_delay_alu instid0(VALU_DEP_2) | instskip(NEXT) | instid1(VALU_DEP_1)
	v_lshlrev_b64 v[6:7], v1, v[14:15]
	v_and_b32_e32 v6, 7, v6
; %bb.1368:                             ;   in Loop: Header=BB268_16 Depth=1
	s_or_b32 exec_lo, exec_lo, s25
	v_lshlrev_b32_e32 v1, 24, v32
	s_delay_alu instid0(VALU_DEP_2) | instskip(SKIP_1) | instid1(VALU_DEP_3)
	v_lshlrev_b32_e32 v6, 20, v6
	v_lshl_add_u32 v0, v0, 23, 0x3c000000
	v_and_b32_e32 v1, 0x80000000, v1
	s_delay_alu instid0(VALU_DEP_1) | instskip(NEXT) | instid1(VALU_DEP_1)
	v_or3_b32 v14, v6, v1, v0
	v_dual_mov_b32 v49, v15 :: v_dual_mov_b32 v48, v14
.LBB268_1369:                           ;   in Loop: Header=BB268_16 Depth=1
	s_or_b32 exec_lo, exec_lo, s24
.LBB268_1370:                           ;   in Loop: Header=BB268_16 Depth=1
	s_delay_alu instid0(SALU_CYCLE_1)
	s_or_b32 exec_lo, exec_lo, s23
.LBB268_1371:                           ;   in Loop: Header=BB268_16 Depth=1
	s_delay_alu instid0(SALU_CYCLE_1) | instskip(SKIP_2) | instid1(VALU_DEP_1)
	s_or_b32 exec_lo, exec_lo, s2
	v_lshrrev_b16 v0, 8, v32
	s_mov_b32 s23, exec_lo
	v_cmpx_ne_u16_e32 0, v0
	s_cbranch_execz .LBB268_1379
; %bb.1372:                             ;   in Loop: Header=BB268_16 Depth=1
	v_dual_mov_b32 v107, s9 :: v_dual_mov_b32 v106, s8
	s_mov_b32 s24, exec_lo
	v_cmpx_ne_u16_e32 0x80, v0
	s_cbranch_execz .LBB268_1378
; %bb.1373:                             ;   in Loop: Header=BB268_16 Depth=1
	s_mov_b32 s2, s8
	v_dual_mov_b32 v107, s3 :: v_dual_and_b32 v0, 0xffff, v0
	v_mov_b32_e32 v106, s2
	s_mov_b32 s2, exec_lo
	s_delay_alu instid0(VALU_DEP_2) | instskip(NEXT) | instid1(VALU_DEP_1)
	v_and_b32_e32 v1, 0x7f, v0
	v_cmpx_ne_u32_e32 0x7f, v1
	s_cbranch_execz .LBB268_1377
; %bb.1374:                             ;   in Loop: Header=BB268_16 Depth=1
	v_and_b32_e32 v14, 7, v0
	v_lshrrev_b32_e32 v0, 3, v1
	s_mov_b32 s25, exec_lo
	s_delay_alu instid0(VALU_DEP_2)
	v_dual_mov_b32 v6, v14 :: v_dual_mov_b32 v7, v15
	v_cmpx_gt_u32_e32 8, v1
; %bb.1375:                             ;   in Loop: Header=BB268_16 Depth=1
	v_clz_i32_u32_e32 v0, v14
	s_delay_alu instid0(VALU_DEP_1) | instskip(NEXT) | instid1(VALU_DEP_1)
	v_min_u32_e32 v0, 32, v0
	v_subrev_nc_u32_e32 v1, 28, v0
	v_sub_nc_u32_e32 v0, 29, v0
	s_delay_alu instid0(VALU_DEP_2) | instskip(NEXT) | instid1(VALU_DEP_1)
	v_lshlrev_b64 v[6:7], v1, v[14:15]
	v_and_b32_e32 v6, 7, v6
; %bb.1376:                             ;   in Loop: Header=BB268_16 Depth=1
	s_or_b32 exec_lo, exec_lo, s25
	v_dual_mov_b32 v106, v15 :: v_dual_lshlrev_b32 v1, 16, v32
	s_delay_alu instid0(VALU_DEP_2) | instskip(SKIP_1) | instid1(VALU_DEP_3)
	v_lshlrev_b32_e32 v6, 20, v6
	v_lshl_add_u32 v0, v0, 23, 0x3c000000
	v_and_b32_e32 v1, 0x80000000, v1
	s_delay_alu instid0(VALU_DEP_1)
	v_or3_b32 v107, v6, v1, v0
.LBB268_1377:                           ;   in Loop: Header=BB268_16 Depth=1
	s_or_b32 exec_lo, exec_lo, s2
.LBB268_1378:                           ;   in Loop: Header=BB268_16 Depth=1
	s_delay_alu instid0(SALU_CYCLE_1)
	s_or_b32 exec_lo, exec_lo, s24
.LBB268_1379:                           ;   in Loop: Header=BB268_16 Depth=1
	s_delay_alu instid0(SALU_CYCLE_1) | instskip(SKIP_4) | instid1(VALU_DEP_1)
	s_or_b32 exec_lo, exec_lo, s23
	v_mov_b32_e32 v110, 0
	v_lshrrev_b32_e32 v33, 16, v32
	v_mov_b32_e32 v111, 0
	s_mov_b32 s2, exec_lo
	v_dual_mov_b32 v123, v111 :: v_dual_and_b32 v0, 0xff, v33
	v_mov_b32_e32 v122, v110
	s_delay_alu instid0(VALU_DEP_2)
	v_cmpx_ne_u16_e32 0, v0
	s_cbranch_execz .LBB268_1387
; %bb.1380:                             ;   in Loop: Header=BB268_16 Depth=1
	v_bfrev_b32_e32 v122, 1
	v_mov_b32_e32 v123, 0
	s_mov_b32 s23, exec_lo
	v_cmpx_ne_u16_e32 0x80, v0
	s_cbranch_execz .LBB268_1386
; %bb.1381:                             ;   in Loop: Header=BB268_16 Depth=1
	v_mov_b32_e32 v122, 0x7f800001
	v_bfe_u32 v1, v32, 16, 7
	v_mov_b32_e32 v123, 0
	s_mov_b32 s24, exec_lo
	s_delay_alu instid0(VALU_DEP_2)
	v_cmpx_ne_u32_e32 0x7f, v1
	s_cbranch_execz .LBB268_1385
; %bb.1382:                             ;   in Loop: Header=BB268_16 Depth=1
	v_and_b32_e32 v14, 7, v33
	v_lshrrev_b32_e32 v0, 3, v1
	s_mov_b32 s25, exec_lo
	s_delay_alu instid0(VALU_DEP_2)
	v_dual_mov_b32 v6, v14 :: v_dual_mov_b32 v7, v15
	v_cmpx_gt_u32_e32 8, v1
; %bb.1383:                             ;   in Loop: Header=BB268_16 Depth=1
	v_clz_i32_u32_e32 v0, v14
	s_delay_alu instid0(VALU_DEP_1) | instskip(NEXT) | instid1(VALU_DEP_1)
	v_min_u32_e32 v0, 32, v0
	v_subrev_nc_u32_e32 v1, 28, v0
	v_sub_nc_u32_e32 v0, 29, v0
	s_delay_alu instid0(VALU_DEP_2) | instskip(NEXT) | instid1(VALU_DEP_1)
	v_lshlrev_b64 v[6:7], v1, v[14:15]
	v_and_b32_e32 v6, 7, v6
; %bb.1384:                             ;   in Loop: Header=BB268_16 Depth=1
	s_or_b32 exec_lo, exec_lo, s25
	v_lshlrev_b32_e32 v1, 24, v33
	s_delay_alu instid0(VALU_DEP_2) | instskip(SKIP_1) | instid1(VALU_DEP_3)
	v_lshlrev_b32_e32 v6, 20, v6
	v_lshl_add_u32 v0, v0, 23, 0x3c000000
	v_and_b32_e32 v1, 0x80000000, v1
	s_delay_alu instid0(VALU_DEP_1) | instskip(NEXT) | instid1(VALU_DEP_1)
	v_or3_b32 v14, v6, v1, v0
	v_dual_mov_b32 v123, v15 :: v_dual_mov_b32 v122, v14
.LBB268_1385:                           ;   in Loop: Header=BB268_16 Depth=1
	s_or_b32 exec_lo, exec_lo, s24
.LBB268_1386:                           ;   in Loop: Header=BB268_16 Depth=1
	s_delay_alu instid0(SALU_CYCLE_1)
	s_or_b32 exec_lo, exec_lo, s23
.LBB268_1387:                           ;   in Loop: Header=BB268_16 Depth=1
	s_delay_alu instid0(SALU_CYCLE_1) | instskip(NEXT) | instid1(SALU_CYCLE_1)
	s_or_b32 exec_lo, exec_lo, s2
	s_mov_b32 s23, exec_lo
	v_cmpx_lt_u32_e32 0xffffff, v32
	s_cbranch_execz .LBB268_1395
; %bb.1388:                             ;   in Loop: Header=BB268_16 Depth=1
	v_lshrrev_b32_e32 v0, 24, v32
	v_dual_mov_b32 v111, s9 :: v_dual_mov_b32 v110, s8
	s_mov_b32 s24, exec_lo
	s_delay_alu instid0(VALU_DEP_2)
	v_cmpx_ne_u32_e32 0x80, v0
	s_cbranch_execz .LBB268_1394
; %bb.1389:                             ;   in Loop: Header=BB268_16 Depth=1
	s_mov_b32 s2, s8
	v_bfe_u32 v6, v32, 24, 7
	v_dual_mov_b32 v111, s3 :: v_dual_mov_b32 v110, s2
	s_mov_b32 s2, exec_lo
	s_delay_alu instid0(VALU_DEP_2)
	v_cmpx_ne_u32_e32 0x7f, v6
	s_cbranch_execz .LBB268_1393
; %bb.1390:                             ;   in Loop: Header=BB268_16 Depth=1
	v_and_b32_e32 v14, 7, v0
	v_lshrrev_b32_e32 v1, 3, v6
	v_cmp_gt_u32_e64 s1, 8, v6
	s_delay_alu instid0(VALU_DEP_3) | instskip(NEXT) | instid1(VALU_DEP_2)
	v_dual_mov_b32 v6, v14 :: v_dual_mov_b32 v7, v15
	s_and_saveexec_b32 s25, s1
; %bb.1391:                             ;   in Loop: Header=BB268_16 Depth=1
	v_clz_i32_u32_e32 v1, v14
	s_delay_alu instid0(VALU_DEP_1) | instskip(NEXT) | instid1(VALU_DEP_1)
	v_min_u32_e32 v1, 32, v1
	v_subrev_nc_u32_e32 v6, 28, v1
	v_sub_nc_u32_e32 v1, 29, v1
	s_delay_alu instid0(VALU_DEP_2) | instskip(NEXT) | instid1(VALU_DEP_1)
	v_lshlrev_b64 v[6:7], v6, v[14:15]
	v_and_b32_e32 v6, 7, v6
; %bb.1392:                             ;   in Loop: Header=BB268_16 Depth=1
	s_or_b32 exec_lo, exec_lo, s25
	v_lshlrev_b32_e32 v0, 24, v0
	s_delay_alu instid0(VALU_DEP_2) | instskip(SKIP_2) | instid1(VALU_DEP_4)
	v_lshlrev_b32_e32 v6, 20, v6
	v_lshl_add_u32 v1, v1, 23, 0x3c000000
	v_mov_b32_e32 v110, v15
	v_and_b32_e32 v0, 0x80000000, v0
	s_delay_alu instid0(VALU_DEP_1)
	v_or3_b32 v111, v6, v0, v1
.LBB268_1393:                           ;   in Loop: Header=BB268_16 Depth=1
	s_or_b32 exec_lo, exec_lo, s2
.LBB268_1394:                           ;   in Loop: Header=BB268_16 Depth=1
	s_delay_alu instid0(SALU_CYCLE_1)
	s_or_b32 exec_lo, exec_lo, s24
.LBB268_1395:                           ;   in Loop: Header=BB268_16 Depth=1
	s_delay_alu instid0(SALU_CYCLE_1)
	s_or_b32 exec_lo, exec_lo, s23
	flat_load_b32 v32, v[114:115] offset:1036
	v_mov_b32_e32 v64, 0
	v_mov_b32_e32 v65, 0
	s_mov_b32 s2, exec_lo
	s_waitcnt vmcnt(0) lgkmcnt(0)
	s_delay_alu instid0(VALU_DEP_1) | instskip(SKIP_1) | instid1(VALU_DEP_2)
	v_dual_mov_b32 v127, v65 :: v_dual_and_b32 v0, 0xff, v32
	v_mov_b32_e32 v126, v64
	v_cmpx_ne_u16_e32 0, v0
	s_cbranch_execz .LBB268_1403
; %bb.1396:                             ;   in Loop: Header=BB268_16 Depth=1
	v_bfrev_b32_e32 v126, 1
	v_mov_b32_e32 v127, 0
	s_mov_b32 s23, exec_lo
	v_cmpx_ne_u16_e32 0x80, v0
	s_cbranch_execz .LBB268_1402
; %bb.1397:                             ;   in Loop: Header=BB268_16 Depth=1
	v_mov_b32_e32 v126, 0x7f800001
	v_and_b32_e32 v1, 0x7f, v32
	v_mov_b32_e32 v127, 0
	s_mov_b32 s24, exec_lo
	s_delay_alu instid0(VALU_DEP_2)
	v_cmpx_ne_u32_e32 0x7f, v1
	s_cbranch_execz .LBB268_1401
; %bb.1398:                             ;   in Loop: Header=BB268_16 Depth=1
	v_and_b32_e32 v14, 7, v32
	v_lshrrev_b32_e32 v0, 3, v1
	s_mov_b32 s25, exec_lo
	s_delay_alu instid0(VALU_DEP_2)
	v_dual_mov_b32 v6, v14 :: v_dual_mov_b32 v7, v15
	v_cmpx_gt_u32_e32 8, v1
; %bb.1399:                             ;   in Loop: Header=BB268_16 Depth=1
	v_clz_i32_u32_e32 v0, v14
	s_delay_alu instid0(VALU_DEP_1) | instskip(NEXT) | instid1(VALU_DEP_1)
	v_min_u32_e32 v0, 32, v0
	v_subrev_nc_u32_e32 v1, 28, v0
	v_sub_nc_u32_e32 v0, 29, v0
	s_delay_alu instid0(VALU_DEP_2) | instskip(NEXT) | instid1(VALU_DEP_1)
	v_lshlrev_b64 v[6:7], v1, v[14:15]
	v_and_b32_e32 v6, 7, v6
; %bb.1400:                             ;   in Loop: Header=BB268_16 Depth=1
	s_or_b32 exec_lo, exec_lo, s25
	v_lshlrev_b32_e32 v1, 24, v32
	s_delay_alu instid0(VALU_DEP_2) | instskip(SKIP_1) | instid1(VALU_DEP_3)
	v_lshlrev_b32_e32 v6, 20, v6
	v_lshl_add_u32 v0, v0, 23, 0x3c000000
	v_and_b32_e32 v1, 0x80000000, v1
	s_delay_alu instid0(VALU_DEP_1) | instskip(NEXT) | instid1(VALU_DEP_1)
	v_or3_b32 v14, v6, v1, v0
	v_dual_mov_b32 v127, v15 :: v_dual_mov_b32 v126, v14
.LBB268_1401:                           ;   in Loop: Header=BB268_16 Depth=1
	s_or_b32 exec_lo, exec_lo, s24
.LBB268_1402:                           ;   in Loop: Header=BB268_16 Depth=1
	s_delay_alu instid0(SALU_CYCLE_1)
	s_or_b32 exec_lo, exec_lo, s23
.LBB268_1403:                           ;   in Loop: Header=BB268_16 Depth=1
	s_delay_alu instid0(SALU_CYCLE_1) | instskip(SKIP_2) | instid1(VALU_DEP_1)
	s_or_b32 exec_lo, exec_lo, s2
	v_lshrrev_b16 v0, 8, v32
	s_mov_b32 s23, exec_lo
	v_cmpx_ne_u16_e32 0, v0
	s_cbranch_execz .LBB268_1411
; %bb.1404:                             ;   in Loop: Header=BB268_16 Depth=1
	v_dual_mov_b32 v65, s9 :: v_dual_mov_b32 v64, s8
	s_mov_b32 s24, exec_lo
	v_cmpx_ne_u16_e32 0x80, v0
	s_cbranch_execz .LBB268_1410
; %bb.1405:                             ;   in Loop: Header=BB268_16 Depth=1
	s_mov_b32 s2, s8
	v_dual_mov_b32 v65, s3 :: v_dual_and_b32 v0, 0xffff, v0
	v_mov_b32_e32 v64, s2
	s_mov_b32 s2, exec_lo
	s_delay_alu instid0(VALU_DEP_2) | instskip(NEXT) | instid1(VALU_DEP_1)
	v_and_b32_e32 v1, 0x7f, v0
	v_cmpx_ne_u32_e32 0x7f, v1
	s_cbranch_execz .LBB268_1409
; %bb.1406:                             ;   in Loop: Header=BB268_16 Depth=1
	v_and_b32_e32 v14, 7, v0
	v_lshrrev_b32_e32 v0, 3, v1
	s_mov_b32 s25, exec_lo
	s_delay_alu instid0(VALU_DEP_2)
	v_dual_mov_b32 v6, v14 :: v_dual_mov_b32 v7, v15
	v_cmpx_gt_u32_e32 8, v1
; %bb.1407:                             ;   in Loop: Header=BB268_16 Depth=1
	v_clz_i32_u32_e32 v0, v14
	s_delay_alu instid0(VALU_DEP_1) | instskip(NEXT) | instid1(VALU_DEP_1)
	v_min_u32_e32 v0, 32, v0
	v_subrev_nc_u32_e32 v1, 28, v0
	v_sub_nc_u32_e32 v0, 29, v0
	s_delay_alu instid0(VALU_DEP_2) | instskip(NEXT) | instid1(VALU_DEP_1)
	v_lshlrev_b64 v[6:7], v1, v[14:15]
	v_and_b32_e32 v6, 7, v6
; %bb.1408:                             ;   in Loop: Header=BB268_16 Depth=1
	s_or_b32 exec_lo, exec_lo, s25
	v_dual_mov_b32 v64, v15 :: v_dual_lshlrev_b32 v1, 16, v32
	s_delay_alu instid0(VALU_DEP_2) | instskip(SKIP_1) | instid1(VALU_DEP_3)
	v_lshlrev_b32_e32 v6, 20, v6
	v_lshl_add_u32 v0, v0, 23, 0x3c000000
	v_and_b32_e32 v1, 0x80000000, v1
	s_delay_alu instid0(VALU_DEP_1)
	v_or3_b32 v65, v6, v1, v0
.LBB268_1409:                           ;   in Loop: Header=BB268_16 Depth=1
	s_or_b32 exec_lo, exec_lo, s2
.LBB268_1410:                           ;   in Loop: Header=BB268_16 Depth=1
	s_delay_alu instid0(SALU_CYCLE_1)
	s_or_b32 exec_lo, exec_lo, s24
.LBB268_1411:                           ;   in Loop: Header=BB268_16 Depth=1
	s_delay_alu instid0(SALU_CYCLE_1) | instskip(SKIP_4) | instid1(VALU_DEP_1)
	s_or_b32 exec_lo, exec_lo, s23
	v_mov_b32_e32 v80, 0
	v_lshrrev_b32_e32 v33, 16, v32
	v_mov_b32_e32 v81, 0
	s_mov_b32 s2, exec_lo
	v_dual_mov_b32 v139, v81 :: v_dual_and_b32 v0, 0xff, v33
	v_mov_b32_e32 v138, v80
	s_delay_alu instid0(VALU_DEP_2)
	v_cmpx_ne_u16_e32 0, v0
	s_cbranch_execz .LBB268_1419
; %bb.1412:                             ;   in Loop: Header=BB268_16 Depth=1
	v_bfrev_b32_e32 v138, 1
	v_mov_b32_e32 v139, 0
	s_mov_b32 s23, exec_lo
	v_cmpx_ne_u16_e32 0x80, v0
	s_cbranch_execz .LBB268_1418
; %bb.1413:                             ;   in Loop: Header=BB268_16 Depth=1
	v_mov_b32_e32 v138, 0x7f800001
	v_bfe_u32 v1, v32, 16, 7
	v_mov_b32_e32 v139, 0
	s_mov_b32 s24, exec_lo
	s_delay_alu instid0(VALU_DEP_2)
	v_cmpx_ne_u32_e32 0x7f, v1
	s_cbranch_execz .LBB268_1417
; %bb.1414:                             ;   in Loop: Header=BB268_16 Depth=1
	v_and_b32_e32 v14, 7, v33
	v_lshrrev_b32_e32 v0, 3, v1
	s_mov_b32 s25, exec_lo
	s_delay_alu instid0(VALU_DEP_2)
	v_dual_mov_b32 v6, v14 :: v_dual_mov_b32 v7, v15
	v_cmpx_gt_u32_e32 8, v1
; %bb.1415:                             ;   in Loop: Header=BB268_16 Depth=1
	v_clz_i32_u32_e32 v0, v14
	s_delay_alu instid0(VALU_DEP_1) | instskip(NEXT) | instid1(VALU_DEP_1)
	v_min_u32_e32 v0, 32, v0
	v_subrev_nc_u32_e32 v1, 28, v0
	v_sub_nc_u32_e32 v0, 29, v0
	s_delay_alu instid0(VALU_DEP_2) | instskip(NEXT) | instid1(VALU_DEP_1)
	v_lshlrev_b64 v[6:7], v1, v[14:15]
	v_and_b32_e32 v6, 7, v6
; %bb.1416:                             ;   in Loop: Header=BB268_16 Depth=1
	s_or_b32 exec_lo, exec_lo, s25
	v_lshlrev_b32_e32 v1, 24, v33
	s_delay_alu instid0(VALU_DEP_2) | instskip(SKIP_1) | instid1(VALU_DEP_3)
	v_lshlrev_b32_e32 v6, 20, v6
	v_lshl_add_u32 v0, v0, 23, 0x3c000000
	v_and_b32_e32 v1, 0x80000000, v1
	s_delay_alu instid0(VALU_DEP_1) | instskip(NEXT) | instid1(VALU_DEP_1)
	v_or3_b32 v14, v6, v1, v0
	v_dual_mov_b32 v139, v15 :: v_dual_mov_b32 v138, v14
.LBB268_1417:                           ;   in Loop: Header=BB268_16 Depth=1
	s_or_b32 exec_lo, exec_lo, s24
.LBB268_1418:                           ;   in Loop: Header=BB268_16 Depth=1
	s_delay_alu instid0(SALU_CYCLE_1)
	s_or_b32 exec_lo, exec_lo, s23
.LBB268_1419:                           ;   in Loop: Header=BB268_16 Depth=1
	s_delay_alu instid0(SALU_CYCLE_1) | instskip(NEXT) | instid1(SALU_CYCLE_1)
	s_or_b32 exec_lo, exec_lo, s2
	s_mov_b32 s23, exec_lo
	v_cmpx_lt_u32_e32 0xffffff, v32
	s_cbranch_execz .LBB268_1427
; %bb.1420:                             ;   in Loop: Header=BB268_16 Depth=1
	v_lshrrev_b32_e32 v0, 24, v32
	v_dual_mov_b32 v81, s9 :: v_dual_mov_b32 v80, s8
	s_mov_b32 s24, exec_lo
	s_delay_alu instid0(VALU_DEP_2)
	v_cmpx_ne_u32_e32 0x80, v0
	s_cbranch_execz .LBB268_1426
; %bb.1421:                             ;   in Loop: Header=BB268_16 Depth=1
	s_mov_b32 s2, s8
	v_bfe_u32 v6, v32, 24, 7
	v_dual_mov_b32 v81, s3 :: v_dual_mov_b32 v80, s2
	s_mov_b32 s2, exec_lo
	s_delay_alu instid0(VALU_DEP_2)
	v_cmpx_ne_u32_e32 0x7f, v6
	s_cbranch_execz .LBB268_1425
; %bb.1422:                             ;   in Loop: Header=BB268_16 Depth=1
	v_and_b32_e32 v14, 7, v0
	v_lshrrev_b32_e32 v1, 3, v6
	v_cmp_gt_u32_e64 s1, 8, v6
	s_delay_alu instid0(VALU_DEP_3) | instskip(NEXT) | instid1(VALU_DEP_2)
	v_dual_mov_b32 v6, v14 :: v_dual_mov_b32 v7, v15
	s_and_saveexec_b32 s25, s1
; %bb.1423:                             ;   in Loop: Header=BB268_16 Depth=1
	v_clz_i32_u32_e32 v1, v14
	s_delay_alu instid0(VALU_DEP_1) | instskip(NEXT) | instid1(VALU_DEP_1)
	v_min_u32_e32 v1, 32, v1
	v_subrev_nc_u32_e32 v6, 28, v1
	v_sub_nc_u32_e32 v1, 29, v1
	s_delay_alu instid0(VALU_DEP_2) | instskip(NEXT) | instid1(VALU_DEP_1)
	v_lshlrev_b64 v[6:7], v6, v[14:15]
	v_and_b32_e32 v6, 7, v6
; %bb.1424:                             ;   in Loop: Header=BB268_16 Depth=1
	s_or_b32 exec_lo, exec_lo, s25
	v_lshlrev_b32_e32 v0, 24, v0
	s_delay_alu instid0(VALU_DEP_2) | instskip(SKIP_2) | instid1(VALU_DEP_4)
	v_lshlrev_b32_e32 v6, 20, v6
	v_lshl_add_u32 v1, v1, 23, 0x3c000000
	v_mov_b32_e32 v80, v15
	v_and_b32_e32 v0, 0x80000000, v0
	s_delay_alu instid0(VALU_DEP_1)
	v_or3_b32 v81, v6, v0, v1
.LBB268_1425:                           ;   in Loop: Header=BB268_16 Depth=1
	s_or_b32 exec_lo, exec_lo, s2
.LBB268_1426:                           ;   in Loop: Header=BB268_16 Depth=1
	s_delay_alu instid0(SALU_CYCLE_1)
	s_or_b32 exec_lo, exec_lo, s24
.LBB268_1427:                           ;   in Loop: Header=BB268_16 Depth=1
	s_delay_alu instid0(SALU_CYCLE_1)
	s_or_b32 exec_lo, exec_lo, s23
	flat_load_b32 v32, v[114:115] offset:1536
	v_mov_b32_e32 v96, 0
	v_mov_b32_e32 v97, 0
	s_mov_b32 s2, exec_lo
	s_waitcnt vmcnt(0) lgkmcnt(0)
	s_delay_alu instid0(VALU_DEP_1) | instskip(SKIP_1) | instid1(VALU_DEP_2)
	v_dual_mov_b32 v153, v97 :: v_dual_and_b32 v0, 0xff, v32
	v_mov_b32_e32 v152, v96
	v_cmpx_ne_u16_e32 0, v0
	s_cbranch_execz .LBB268_1435
; %bb.1428:                             ;   in Loop: Header=BB268_16 Depth=1
	v_bfrev_b32_e32 v152, 1
	v_mov_b32_e32 v153, 0
	s_mov_b32 s23, exec_lo
	v_cmpx_ne_u16_e32 0x80, v0
	s_cbranch_execz .LBB268_1434
; %bb.1429:                             ;   in Loop: Header=BB268_16 Depth=1
	v_mov_b32_e32 v152, 0x7f800001
	v_and_b32_e32 v1, 0x7f, v32
	v_mov_b32_e32 v153, 0
	s_mov_b32 s24, exec_lo
	s_delay_alu instid0(VALU_DEP_2)
	v_cmpx_ne_u32_e32 0x7f, v1
	s_cbranch_execz .LBB268_1433
; %bb.1430:                             ;   in Loop: Header=BB268_16 Depth=1
	v_and_b32_e32 v14, 7, v32
	v_lshrrev_b32_e32 v0, 3, v1
	s_mov_b32 s25, exec_lo
	s_delay_alu instid0(VALU_DEP_2)
	v_dual_mov_b32 v6, v14 :: v_dual_mov_b32 v7, v15
	v_cmpx_gt_u32_e32 8, v1
; %bb.1431:                             ;   in Loop: Header=BB268_16 Depth=1
	v_clz_i32_u32_e32 v0, v14
	s_delay_alu instid0(VALU_DEP_1) | instskip(NEXT) | instid1(VALU_DEP_1)
	v_min_u32_e32 v0, 32, v0
	v_subrev_nc_u32_e32 v1, 28, v0
	v_sub_nc_u32_e32 v0, 29, v0
	s_delay_alu instid0(VALU_DEP_2) | instskip(NEXT) | instid1(VALU_DEP_1)
	v_lshlrev_b64 v[6:7], v1, v[14:15]
	v_and_b32_e32 v6, 7, v6
; %bb.1432:                             ;   in Loop: Header=BB268_16 Depth=1
	s_or_b32 exec_lo, exec_lo, s25
	v_lshlrev_b32_e32 v1, 24, v32
	s_delay_alu instid0(VALU_DEP_2) | instskip(SKIP_1) | instid1(VALU_DEP_3)
	v_lshlrev_b32_e32 v6, 20, v6
	v_lshl_add_u32 v0, v0, 23, 0x3c000000
	v_and_b32_e32 v1, 0x80000000, v1
	s_delay_alu instid0(VALU_DEP_1) | instskip(NEXT) | instid1(VALU_DEP_1)
	v_or3_b32 v14, v6, v1, v0
	v_dual_mov_b32 v153, v15 :: v_dual_mov_b32 v152, v14
.LBB268_1433:                           ;   in Loop: Header=BB268_16 Depth=1
	s_or_b32 exec_lo, exec_lo, s24
.LBB268_1434:                           ;   in Loop: Header=BB268_16 Depth=1
	s_delay_alu instid0(SALU_CYCLE_1)
	s_or_b32 exec_lo, exec_lo, s23
.LBB268_1435:                           ;   in Loop: Header=BB268_16 Depth=1
	s_delay_alu instid0(SALU_CYCLE_1) | instskip(SKIP_2) | instid1(VALU_DEP_1)
	s_or_b32 exec_lo, exec_lo, s2
	v_lshrrev_b16 v0, 8, v32
	s_mov_b32 s23, exec_lo
	v_cmpx_ne_u16_e32 0, v0
	s_cbranch_execz .LBB268_1443
; %bb.1436:                             ;   in Loop: Header=BB268_16 Depth=1
	v_dual_mov_b32 v97, s9 :: v_dual_mov_b32 v96, s8
	s_mov_b32 s24, exec_lo
	v_cmpx_ne_u16_e32 0x80, v0
	s_cbranch_execz .LBB268_1442
; %bb.1437:                             ;   in Loop: Header=BB268_16 Depth=1
	s_mov_b32 s2, s8
	v_dual_mov_b32 v97, s3 :: v_dual_and_b32 v0, 0xffff, v0
	v_mov_b32_e32 v96, s2
	s_mov_b32 s2, exec_lo
	s_delay_alu instid0(VALU_DEP_2) | instskip(NEXT) | instid1(VALU_DEP_1)
	v_and_b32_e32 v1, 0x7f, v0
	v_cmpx_ne_u32_e32 0x7f, v1
	s_cbranch_execz .LBB268_1441
; %bb.1438:                             ;   in Loop: Header=BB268_16 Depth=1
	v_and_b32_e32 v14, 7, v0
	v_lshrrev_b32_e32 v0, 3, v1
	s_mov_b32 s25, exec_lo
	s_delay_alu instid0(VALU_DEP_2)
	v_dual_mov_b32 v6, v14 :: v_dual_mov_b32 v7, v15
	v_cmpx_gt_u32_e32 8, v1
; %bb.1439:                             ;   in Loop: Header=BB268_16 Depth=1
	v_clz_i32_u32_e32 v0, v14
	s_delay_alu instid0(VALU_DEP_1) | instskip(NEXT) | instid1(VALU_DEP_1)
	v_min_u32_e32 v0, 32, v0
	v_subrev_nc_u32_e32 v1, 28, v0
	v_sub_nc_u32_e32 v0, 29, v0
	s_delay_alu instid0(VALU_DEP_2) | instskip(NEXT) | instid1(VALU_DEP_1)
	v_lshlrev_b64 v[6:7], v1, v[14:15]
	v_and_b32_e32 v6, 7, v6
; %bb.1440:                             ;   in Loop: Header=BB268_16 Depth=1
	s_or_b32 exec_lo, exec_lo, s25
	v_dual_mov_b32 v96, v15 :: v_dual_lshlrev_b32 v1, 16, v32
	s_delay_alu instid0(VALU_DEP_2) | instskip(SKIP_1) | instid1(VALU_DEP_3)
	v_lshlrev_b32_e32 v6, 20, v6
	v_lshl_add_u32 v0, v0, 23, 0x3c000000
	v_and_b32_e32 v1, 0x80000000, v1
	s_delay_alu instid0(VALU_DEP_1)
	v_or3_b32 v97, v6, v1, v0
.LBB268_1441:                           ;   in Loop: Header=BB268_16 Depth=1
	s_or_b32 exec_lo, exec_lo, s2
.LBB268_1442:                           ;   in Loop: Header=BB268_16 Depth=1
	s_delay_alu instid0(SALU_CYCLE_1)
	s_or_b32 exec_lo, exec_lo, s24
.LBB268_1443:                           ;   in Loop: Header=BB268_16 Depth=1
	s_delay_alu instid0(SALU_CYCLE_1) | instskip(SKIP_4) | instid1(VALU_DEP_2)
	s_or_b32 exec_lo, exec_lo, s23
	v_mov_b32_e32 v156, 0
	v_lshrrev_b32_e32 v33, 16, v32
	v_mov_b32_e32 v157, 0
	s_mov_b32 s2, exec_lo
	v_and_b32_e32 v0, 0xff, v33
	s_delay_alu instid0(VALU_DEP_2) | instskip(NEXT) | instid1(VALU_DEP_2)
	v_dual_mov_b32 v112, v156 :: v_dual_mov_b32 v113, v157
	v_cmpx_ne_u16_e32 0, v0
	s_cbranch_execz .LBB268_1451
; %bb.1444:                             ;   in Loop: Header=BB268_16 Depth=1
	v_bfrev_b32_e32 v112, 1
	v_mov_b32_e32 v113, 0
	s_mov_b32 s23, exec_lo
	v_cmpx_ne_u16_e32 0x80, v0
	s_cbranch_execz .LBB268_1450
; %bb.1445:                             ;   in Loop: Header=BB268_16 Depth=1
	v_mov_b32_e32 v112, 0x7f800001
	v_bfe_u32 v1, v32, 16, 7
	v_mov_b32_e32 v113, 0
	s_mov_b32 s24, exec_lo
	s_delay_alu instid0(VALU_DEP_2)
	v_cmpx_ne_u32_e32 0x7f, v1
	s_cbranch_execz .LBB268_1449
; %bb.1446:                             ;   in Loop: Header=BB268_16 Depth=1
	v_and_b32_e32 v14, 7, v33
	v_lshrrev_b32_e32 v0, 3, v1
	s_mov_b32 s25, exec_lo
	s_delay_alu instid0(VALU_DEP_2)
	v_dual_mov_b32 v6, v14 :: v_dual_mov_b32 v7, v15
	v_cmpx_gt_u32_e32 8, v1
; %bb.1447:                             ;   in Loop: Header=BB268_16 Depth=1
	v_clz_i32_u32_e32 v0, v14
	s_delay_alu instid0(VALU_DEP_1) | instskip(NEXT) | instid1(VALU_DEP_1)
	v_min_u32_e32 v0, 32, v0
	v_subrev_nc_u32_e32 v1, 28, v0
	v_sub_nc_u32_e32 v0, 29, v0
	s_delay_alu instid0(VALU_DEP_2) | instskip(NEXT) | instid1(VALU_DEP_1)
	v_lshlrev_b64 v[6:7], v1, v[14:15]
	v_and_b32_e32 v6, 7, v6
; %bb.1448:                             ;   in Loop: Header=BB268_16 Depth=1
	s_or_b32 exec_lo, exec_lo, s25
	v_lshlrev_b32_e32 v1, 24, v33
	s_delay_alu instid0(VALU_DEP_2) | instskip(SKIP_1) | instid1(VALU_DEP_3)
	v_lshlrev_b32_e32 v6, 20, v6
	v_lshl_add_u32 v0, v0, 23, 0x3c000000
	v_and_b32_e32 v1, 0x80000000, v1
	s_delay_alu instid0(VALU_DEP_1) | instskip(NEXT) | instid1(VALU_DEP_1)
	v_or3_b32 v14, v6, v1, v0
	v_dual_mov_b32 v113, v15 :: v_dual_mov_b32 v112, v14
.LBB268_1449:                           ;   in Loop: Header=BB268_16 Depth=1
	s_or_b32 exec_lo, exec_lo, s24
.LBB268_1450:                           ;   in Loop: Header=BB268_16 Depth=1
	s_delay_alu instid0(SALU_CYCLE_1)
	s_or_b32 exec_lo, exec_lo, s23
.LBB268_1451:                           ;   in Loop: Header=BB268_16 Depth=1
	s_delay_alu instid0(SALU_CYCLE_1) | instskip(NEXT) | instid1(SALU_CYCLE_1)
	s_or_b32 exec_lo, exec_lo, s2
	s_mov_b32 s23, exec_lo
	v_cmpx_lt_u32_e32 0xffffff, v32
	s_cbranch_execz .LBB268_1459
; %bb.1452:                             ;   in Loop: Header=BB268_16 Depth=1
	v_lshrrev_b32_e32 v0, 24, v32
	v_dual_mov_b32 v157, s9 :: v_dual_mov_b32 v156, s8
	s_mov_b32 s24, exec_lo
	s_delay_alu instid0(VALU_DEP_2)
	v_cmpx_ne_u32_e32 0x80, v0
	s_cbranch_execz .LBB268_1458
; %bb.1453:                             ;   in Loop: Header=BB268_16 Depth=1
	s_mov_b32 s2, s8
	v_bfe_u32 v6, v32, 24, 7
	v_dual_mov_b32 v157, s3 :: v_dual_mov_b32 v156, s2
	s_mov_b32 s2, exec_lo
	s_delay_alu instid0(VALU_DEP_2)
	v_cmpx_ne_u32_e32 0x7f, v6
	s_cbranch_execz .LBB268_1457
; %bb.1454:                             ;   in Loop: Header=BB268_16 Depth=1
	v_and_b32_e32 v14, 7, v0
	v_lshrrev_b32_e32 v1, 3, v6
	v_cmp_gt_u32_e64 s1, 8, v6
	s_delay_alu instid0(VALU_DEP_3) | instskip(NEXT) | instid1(VALU_DEP_2)
	v_dual_mov_b32 v6, v14 :: v_dual_mov_b32 v7, v15
	s_and_saveexec_b32 s25, s1
; %bb.1455:                             ;   in Loop: Header=BB268_16 Depth=1
	v_clz_i32_u32_e32 v1, v14
	s_delay_alu instid0(VALU_DEP_1) | instskip(NEXT) | instid1(VALU_DEP_1)
	v_min_u32_e32 v1, 32, v1
	v_subrev_nc_u32_e32 v6, 28, v1
	v_sub_nc_u32_e32 v1, 29, v1
	s_delay_alu instid0(VALU_DEP_2) | instskip(NEXT) | instid1(VALU_DEP_1)
	v_lshlrev_b64 v[6:7], v6, v[14:15]
	v_and_b32_e32 v6, 7, v6
; %bb.1456:                             ;   in Loop: Header=BB268_16 Depth=1
	s_or_b32 exec_lo, exec_lo, s25
	v_lshlrev_b32_e32 v0, 24, v0
	s_delay_alu instid0(VALU_DEP_2) | instskip(SKIP_2) | instid1(VALU_DEP_4)
	v_lshlrev_b32_e32 v6, 20, v6
	v_lshl_add_u32 v1, v1, 23, 0x3c000000
	v_mov_b32_e32 v156, v15
	v_and_b32_e32 v0, 0x80000000, v0
	s_delay_alu instid0(VALU_DEP_1)
	v_or3_b32 v157, v6, v0, v1
.LBB268_1457:                           ;   in Loop: Header=BB268_16 Depth=1
	s_or_b32 exec_lo, exec_lo, s2
.LBB268_1458:                           ;   in Loop: Header=BB268_16 Depth=1
	s_delay_alu instid0(SALU_CYCLE_1)
	s_or_b32 exec_lo, exec_lo, s24
.LBB268_1459:                           ;   in Loop: Header=BB268_16 Depth=1
	s_delay_alu instid0(SALU_CYCLE_1)
	s_or_b32 exec_lo, exec_lo, s23
	flat_load_b32 v32, v[114:115] offset:1540
	v_mov_b32_e32 v168, 0
	v_mov_b32_e32 v169, 0
	s_mov_b32 s2, exec_lo
	s_waitcnt vmcnt(0) lgkmcnt(0)
	v_and_b32_e32 v0, 0xff, v32
	s_delay_alu instid0(VALU_DEP_2) | instskip(NEXT) | instid1(VALU_DEP_2)
	v_dual_mov_b32 v128, v168 :: v_dual_mov_b32 v129, v169
	v_cmpx_ne_u16_e32 0, v0
	s_cbranch_execz .LBB268_1467
; %bb.1460:                             ;   in Loop: Header=BB268_16 Depth=1
	v_bfrev_b32_e32 v128, 1
	v_mov_b32_e32 v129, 0
	s_mov_b32 s23, exec_lo
	v_cmpx_ne_u16_e32 0x80, v0
	s_cbranch_execz .LBB268_1466
; %bb.1461:                             ;   in Loop: Header=BB268_16 Depth=1
	v_mov_b32_e32 v128, 0x7f800001
	v_and_b32_e32 v1, 0x7f, v32
	v_mov_b32_e32 v129, 0
	s_mov_b32 s24, exec_lo
	s_delay_alu instid0(VALU_DEP_2)
	v_cmpx_ne_u32_e32 0x7f, v1
	s_cbranch_execz .LBB268_1465
; %bb.1462:                             ;   in Loop: Header=BB268_16 Depth=1
	v_and_b32_e32 v14, 7, v32
	v_lshrrev_b32_e32 v0, 3, v1
	s_mov_b32 s25, exec_lo
	s_delay_alu instid0(VALU_DEP_2)
	v_dual_mov_b32 v6, v14 :: v_dual_mov_b32 v7, v15
	v_cmpx_gt_u32_e32 8, v1
; %bb.1463:                             ;   in Loop: Header=BB268_16 Depth=1
	v_clz_i32_u32_e32 v0, v14
	s_delay_alu instid0(VALU_DEP_1) | instskip(NEXT) | instid1(VALU_DEP_1)
	v_min_u32_e32 v0, 32, v0
	v_subrev_nc_u32_e32 v1, 28, v0
	v_sub_nc_u32_e32 v0, 29, v0
	s_delay_alu instid0(VALU_DEP_2) | instskip(NEXT) | instid1(VALU_DEP_1)
	v_lshlrev_b64 v[6:7], v1, v[14:15]
	v_and_b32_e32 v6, 7, v6
; %bb.1464:                             ;   in Loop: Header=BB268_16 Depth=1
	s_or_b32 exec_lo, exec_lo, s25
	v_lshlrev_b32_e32 v1, 24, v32
	s_delay_alu instid0(VALU_DEP_2) | instskip(SKIP_1) | instid1(VALU_DEP_3)
	v_lshlrev_b32_e32 v6, 20, v6
	v_lshl_add_u32 v0, v0, 23, 0x3c000000
	v_and_b32_e32 v1, 0x80000000, v1
	s_delay_alu instid0(VALU_DEP_1) | instskip(NEXT) | instid1(VALU_DEP_1)
	v_or3_b32 v14, v6, v1, v0
	v_dual_mov_b32 v129, v15 :: v_dual_mov_b32 v128, v14
.LBB268_1465:                           ;   in Loop: Header=BB268_16 Depth=1
	s_or_b32 exec_lo, exec_lo, s24
.LBB268_1466:                           ;   in Loop: Header=BB268_16 Depth=1
	s_delay_alu instid0(SALU_CYCLE_1)
	s_or_b32 exec_lo, exec_lo, s23
.LBB268_1467:                           ;   in Loop: Header=BB268_16 Depth=1
	s_delay_alu instid0(SALU_CYCLE_1) | instskip(SKIP_2) | instid1(VALU_DEP_1)
	s_or_b32 exec_lo, exec_lo, s2
	v_lshrrev_b16 v0, 8, v32
	s_mov_b32 s23, exec_lo
	v_cmpx_ne_u16_e32 0, v0
	s_cbranch_execz .LBB268_1475
; %bb.1468:                             ;   in Loop: Header=BB268_16 Depth=1
	v_dual_mov_b32 v169, s9 :: v_dual_mov_b32 v168, s8
	s_mov_b32 s24, exec_lo
	v_cmpx_ne_u16_e32 0x80, v0
	s_cbranch_execz .LBB268_1474
; %bb.1469:                             ;   in Loop: Header=BB268_16 Depth=1
	s_mov_b32 s2, s8
	v_dual_mov_b32 v169, s3 :: v_dual_and_b32 v0, 0xffff, v0
	v_mov_b32_e32 v168, s2
	s_mov_b32 s2, exec_lo
	s_delay_alu instid0(VALU_DEP_2) | instskip(NEXT) | instid1(VALU_DEP_1)
	v_and_b32_e32 v1, 0x7f, v0
	v_cmpx_ne_u32_e32 0x7f, v1
	s_cbranch_execz .LBB268_1473
; %bb.1470:                             ;   in Loop: Header=BB268_16 Depth=1
	v_and_b32_e32 v14, 7, v0
	v_lshrrev_b32_e32 v0, 3, v1
	s_mov_b32 s25, exec_lo
	s_delay_alu instid0(VALU_DEP_2)
	v_dual_mov_b32 v6, v14 :: v_dual_mov_b32 v7, v15
	v_cmpx_gt_u32_e32 8, v1
; %bb.1471:                             ;   in Loop: Header=BB268_16 Depth=1
	v_clz_i32_u32_e32 v0, v14
	s_delay_alu instid0(VALU_DEP_1) | instskip(NEXT) | instid1(VALU_DEP_1)
	v_min_u32_e32 v0, 32, v0
	v_subrev_nc_u32_e32 v1, 28, v0
	v_sub_nc_u32_e32 v0, 29, v0
	s_delay_alu instid0(VALU_DEP_2) | instskip(NEXT) | instid1(VALU_DEP_1)
	v_lshlrev_b64 v[6:7], v1, v[14:15]
	v_and_b32_e32 v6, 7, v6
; %bb.1472:                             ;   in Loop: Header=BB268_16 Depth=1
	s_or_b32 exec_lo, exec_lo, s25
	v_dual_mov_b32 v168, v15 :: v_dual_lshlrev_b32 v1, 16, v32
	s_delay_alu instid0(VALU_DEP_2) | instskip(SKIP_1) | instid1(VALU_DEP_3)
	v_lshlrev_b32_e32 v6, 20, v6
	v_lshl_add_u32 v0, v0, 23, 0x3c000000
	v_and_b32_e32 v1, 0x80000000, v1
	s_delay_alu instid0(VALU_DEP_1)
	v_or3_b32 v169, v6, v1, v0
.LBB268_1473:                           ;   in Loop: Header=BB268_16 Depth=1
	s_or_b32 exec_lo, exec_lo, s2
.LBB268_1474:                           ;   in Loop: Header=BB268_16 Depth=1
	s_delay_alu instid0(SALU_CYCLE_1)
	s_or_b32 exec_lo, exec_lo, s24
.LBB268_1475:                           ;   in Loop: Header=BB268_16 Depth=1
	s_delay_alu instid0(SALU_CYCLE_1) | instskip(SKIP_4) | instid1(VALU_DEP_2)
	s_or_b32 exec_lo, exec_lo, s23
	v_mov_b32_e32 v172, 0
	v_lshrrev_b32_e32 v33, 16, v32
	v_mov_b32_e32 v173, 0
	s_mov_b32 s2, exec_lo
	v_and_b32_e32 v0, 0xff, v33
	s_delay_alu instid0(VALU_DEP_2) | instskip(NEXT) | instid1(VALU_DEP_2)
	v_dual_mov_b32 v144, v172 :: v_dual_mov_b32 v145, v173
	v_cmpx_ne_u16_e32 0, v0
	s_cbranch_execz .LBB268_1483
; %bb.1476:                             ;   in Loop: Header=BB268_16 Depth=1
	v_bfrev_b32_e32 v144, 1
	v_mov_b32_e32 v145, 0
	s_mov_b32 s23, exec_lo
	v_cmpx_ne_u16_e32 0x80, v0
	s_cbranch_execz .LBB268_1482
; %bb.1477:                             ;   in Loop: Header=BB268_16 Depth=1
	v_mov_b32_e32 v144, 0x7f800001
	v_bfe_u32 v1, v32, 16, 7
	v_mov_b32_e32 v145, 0
	s_mov_b32 s24, exec_lo
	s_delay_alu instid0(VALU_DEP_2)
	v_cmpx_ne_u32_e32 0x7f, v1
	s_cbranch_execz .LBB268_1481
; %bb.1478:                             ;   in Loop: Header=BB268_16 Depth=1
	v_and_b32_e32 v14, 7, v33
	v_lshrrev_b32_e32 v0, 3, v1
	s_mov_b32 s25, exec_lo
	s_delay_alu instid0(VALU_DEP_2)
	v_dual_mov_b32 v6, v14 :: v_dual_mov_b32 v7, v15
	v_cmpx_gt_u32_e32 8, v1
; %bb.1479:                             ;   in Loop: Header=BB268_16 Depth=1
	v_clz_i32_u32_e32 v0, v14
	s_delay_alu instid0(VALU_DEP_1) | instskip(NEXT) | instid1(VALU_DEP_1)
	v_min_u32_e32 v0, 32, v0
	v_subrev_nc_u32_e32 v1, 28, v0
	v_sub_nc_u32_e32 v0, 29, v0
	s_delay_alu instid0(VALU_DEP_2) | instskip(NEXT) | instid1(VALU_DEP_1)
	v_lshlrev_b64 v[6:7], v1, v[14:15]
	v_and_b32_e32 v6, 7, v6
; %bb.1480:                             ;   in Loop: Header=BB268_16 Depth=1
	s_or_b32 exec_lo, exec_lo, s25
	v_lshlrev_b32_e32 v1, 24, v33
	s_delay_alu instid0(VALU_DEP_2) | instskip(SKIP_1) | instid1(VALU_DEP_3)
	v_lshlrev_b32_e32 v6, 20, v6
	v_lshl_add_u32 v0, v0, 23, 0x3c000000
	v_and_b32_e32 v1, 0x80000000, v1
	s_delay_alu instid0(VALU_DEP_1) | instskip(NEXT) | instid1(VALU_DEP_1)
	v_or3_b32 v14, v6, v1, v0
	v_dual_mov_b32 v145, v15 :: v_dual_mov_b32 v144, v14
.LBB268_1481:                           ;   in Loop: Header=BB268_16 Depth=1
	s_or_b32 exec_lo, exec_lo, s24
.LBB268_1482:                           ;   in Loop: Header=BB268_16 Depth=1
	s_delay_alu instid0(SALU_CYCLE_1)
	s_or_b32 exec_lo, exec_lo, s23
.LBB268_1483:                           ;   in Loop: Header=BB268_16 Depth=1
	s_delay_alu instid0(SALU_CYCLE_1) | instskip(NEXT) | instid1(SALU_CYCLE_1)
	s_or_b32 exec_lo, exec_lo, s2
	s_mov_b32 s23, exec_lo
	v_cmpx_lt_u32_e32 0xffffff, v32
	s_cbranch_execz .LBB268_1491
; %bb.1484:                             ;   in Loop: Header=BB268_16 Depth=1
	v_lshrrev_b32_e32 v0, 24, v32
	v_dual_mov_b32 v173, s9 :: v_dual_mov_b32 v172, s8
	s_mov_b32 s24, exec_lo
	s_delay_alu instid0(VALU_DEP_2)
	v_cmpx_ne_u32_e32 0x80, v0
	s_cbranch_execz .LBB268_1490
; %bb.1485:                             ;   in Loop: Header=BB268_16 Depth=1
	s_mov_b32 s2, s8
	v_bfe_u32 v6, v32, 24, 7
	v_dual_mov_b32 v173, s3 :: v_dual_mov_b32 v172, s2
	s_mov_b32 s2, exec_lo
	s_delay_alu instid0(VALU_DEP_2)
	v_cmpx_ne_u32_e32 0x7f, v6
	s_cbranch_execz .LBB268_1489
; %bb.1486:                             ;   in Loop: Header=BB268_16 Depth=1
	v_and_b32_e32 v14, 7, v0
	v_lshrrev_b32_e32 v1, 3, v6
	v_cmp_gt_u32_e64 s1, 8, v6
	s_delay_alu instid0(VALU_DEP_3) | instskip(NEXT) | instid1(VALU_DEP_2)
	v_dual_mov_b32 v6, v14 :: v_dual_mov_b32 v7, v15
	s_and_saveexec_b32 s25, s1
; %bb.1487:                             ;   in Loop: Header=BB268_16 Depth=1
	v_clz_i32_u32_e32 v1, v14
	s_delay_alu instid0(VALU_DEP_1) | instskip(NEXT) | instid1(VALU_DEP_1)
	v_min_u32_e32 v1, 32, v1
	v_subrev_nc_u32_e32 v6, 28, v1
	v_sub_nc_u32_e32 v1, 29, v1
	s_delay_alu instid0(VALU_DEP_2) | instskip(NEXT) | instid1(VALU_DEP_1)
	v_lshlrev_b64 v[6:7], v6, v[14:15]
	v_and_b32_e32 v6, 7, v6
; %bb.1488:                             ;   in Loop: Header=BB268_16 Depth=1
	s_or_b32 exec_lo, exec_lo, s25
	v_lshlrev_b32_e32 v0, 24, v0
	s_delay_alu instid0(VALU_DEP_2) | instskip(SKIP_2) | instid1(VALU_DEP_4)
	v_lshlrev_b32_e32 v6, 20, v6
	v_lshl_add_u32 v1, v1, 23, 0x3c000000
	v_mov_b32_e32 v172, v15
	v_and_b32_e32 v0, 0x80000000, v0
	s_delay_alu instid0(VALU_DEP_1)
	v_or3_b32 v173, v6, v0, v1
.LBB268_1489:                           ;   in Loop: Header=BB268_16 Depth=1
	s_or_b32 exec_lo, exec_lo, s2
.LBB268_1490:                           ;   in Loop: Header=BB268_16 Depth=1
	s_delay_alu instid0(SALU_CYCLE_1)
	s_or_b32 exec_lo, exec_lo, s24
.LBB268_1491:                           ;   in Loop: Header=BB268_16 Depth=1
	s_delay_alu instid0(SALU_CYCLE_1)
	s_or_b32 exec_lo, exec_lo, s23
	flat_load_b32 v176, v[114:115] offset:1544
	v_mov_b32_e32 v188, 0
	v_mov_b32_e32 v189, 0
	s_mov_b32 s2, exec_lo
	s_waitcnt vmcnt(0) lgkmcnt(0)
	v_and_b32_e32 v0, 0xff, v176
	s_delay_alu instid0(VALU_DEP_2) | instskip(NEXT) | instid1(VALU_DEP_2)
	v_dual_mov_b32 v160, v188 :: v_dual_mov_b32 v161, v189
	v_cmpx_ne_u16_e32 0, v0
	s_cbranch_execz .LBB268_1499
; %bb.1492:                             ;   in Loop: Header=BB268_16 Depth=1
	v_bfrev_b32_e32 v160, 1
	v_mov_b32_e32 v161, 0
	s_mov_b32 s23, exec_lo
	v_cmpx_ne_u16_e32 0x80, v0
	s_cbranch_execz .LBB268_1498
; %bb.1493:                             ;   in Loop: Header=BB268_16 Depth=1
	v_mov_b32_e32 v160, 0x7f800001
	v_and_b32_e32 v1, 0x7f, v176
	v_mov_b32_e32 v161, 0
	s_mov_b32 s24, exec_lo
	s_delay_alu instid0(VALU_DEP_2)
	v_cmpx_ne_u32_e32 0x7f, v1
	s_cbranch_execz .LBB268_1497
; %bb.1494:                             ;   in Loop: Header=BB268_16 Depth=1
	v_and_b32_e32 v14, 7, v176
	v_lshrrev_b32_e32 v0, 3, v1
	s_mov_b32 s25, exec_lo
	s_delay_alu instid0(VALU_DEP_2)
	v_dual_mov_b32 v6, v14 :: v_dual_mov_b32 v7, v15
	v_cmpx_gt_u32_e32 8, v1
; %bb.1495:                             ;   in Loop: Header=BB268_16 Depth=1
	v_clz_i32_u32_e32 v0, v14
	s_delay_alu instid0(VALU_DEP_1) | instskip(NEXT) | instid1(VALU_DEP_1)
	v_min_u32_e32 v0, 32, v0
	v_subrev_nc_u32_e32 v1, 28, v0
	v_sub_nc_u32_e32 v0, 29, v0
	s_delay_alu instid0(VALU_DEP_2) | instskip(NEXT) | instid1(VALU_DEP_1)
	v_lshlrev_b64 v[6:7], v1, v[14:15]
	v_and_b32_e32 v6, 7, v6
; %bb.1496:                             ;   in Loop: Header=BB268_16 Depth=1
	s_or_b32 exec_lo, exec_lo, s25
	v_lshlrev_b32_e32 v1, 24, v176
	s_delay_alu instid0(VALU_DEP_2) | instskip(SKIP_1) | instid1(VALU_DEP_3)
	v_lshlrev_b32_e32 v6, 20, v6
	v_lshl_add_u32 v0, v0, 23, 0x3c000000
	v_and_b32_e32 v1, 0x80000000, v1
	s_delay_alu instid0(VALU_DEP_1) | instskip(NEXT) | instid1(VALU_DEP_1)
	v_or3_b32 v14, v6, v1, v0
	v_dual_mov_b32 v161, v15 :: v_dual_mov_b32 v160, v14
.LBB268_1497:                           ;   in Loop: Header=BB268_16 Depth=1
	s_or_b32 exec_lo, exec_lo, s24
.LBB268_1498:                           ;   in Loop: Header=BB268_16 Depth=1
	s_delay_alu instid0(SALU_CYCLE_1)
	s_or_b32 exec_lo, exec_lo, s23
.LBB268_1499:                           ;   in Loop: Header=BB268_16 Depth=1
	s_delay_alu instid0(SALU_CYCLE_1) | instskip(SKIP_2) | instid1(VALU_DEP_1)
	s_or_b32 exec_lo, exec_lo, s2
	v_lshrrev_b16 v0, 8, v176
	s_mov_b32 s23, exec_lo
	v_cmpx_ne_u16_e32 0, v0
	s_cbranch_execz .LBB268_1507
; %bb.1500:                             ;   in Loop: Header=BB268_16 Depth=1
	v_dual_mov_b32 v189, s9 :: v_dual_mov_b32 v188, s8
	s_mov_b32 s24, exec_lo
	v_cmpx_ne_u16_e32 0x80, v0
	s_cbranch_execz .LBB268_1506
; %bb.1501:                             ;   in Loop: Header=BB268_16 Depth=1
	s_mov_b32 s2, s8
	v_dual_mov_b32 v189, s3 :: v_dual_and_b32 v0, 0xffff, v0
	v_mov_b32_e32 v188, s2
	s_mov_b32 s2, exec_lo
	s_delay_alu instid0(VALU_DEP_2) | instskip(NEXT) | instid1(VALU_DEP_1)
	v_and_b32_e32 v1, 0x7f, v0
	v_cmpx_ne_u32_e32 0x7f, v1
	s_cbranch_execz .LBB268_1505
; %bb.1502:                             ;   in Loop: Header=BB268_16 Depth=1
	v_and_b32_e32 v14, 7, v0
	v_lshrrev_b32_e32 v0, 3, v1
	s_mov_b32 s25, exec_lo
	s_delay_alu instid0(VALU_DEP_2)
	v_dual_mov_b32 v6, v14 :: v_dual_mov_b32 v7, v15
	v_cmpx_gt_u32_e32 8, v1
; %bb.1503:                             ;   in Loop: Header=BB268_16 Depth=1
	v_clz_i32_u32_e32 v0, v14
	s_delay_alu instid0(VALU_DEP_1) | instskip(NEXT) | instid1(VALU_DEP_1)
	v_min_u32_e32 v0, 32, v0
	v_subrev_nc_u32_e32 v1, 28, v0
	v_sub_nc_u32_e32 v0, 29, v0
	s_delay_alu instid0(VALU_DEP_2) | instskip(NEXT) | instid1(VALU_DEP_1)
	v_lshlrev_b64 v[6:7], v1, v[14:15]
	v_and_b32_e32 v6, 7, v6
; %bb.1504:                             ;   in Loop: Header=BB268_16 Depth=1
	s_or_b32 exec_lo, exec_lo, s25
	v_dual_mov_b32 v188, v15 :: v_dual_lshlrev_b32 v1, 16, v176
	s_delay_alu instid0(VALU_DEP_2) | instskip(SKIP_1) | instid1(VALU_DEP_3)
	v_lshlrev_b32_e32 v6, 20, v6
	v_lshl_add_u32 v0, v0, 23, 0x3c000000
	v_and_b32_e32 v1, 0x80000000, v1
	s_delay_alu instid0(VALU_DEP_1)
	v_or3_b32 v189, v6, v1, v0
.LBB268_1505:                           ;   in Loop: Header=BB268_16 Depth=1
	s_or_b32 exec_lo, exec_lo, s2
.LBB268_1506:                           ;   in Loop: Header=BB268_16 Depth=1
	s_delay_alu instid0(SALU_CYCLE_1)
	s_or_b32 exec_lo, exec_lo, s24
.LBB268_1507:                           ;   in Loop: Header=BB268_16 Depth=1
	s_delay_alu instid0(SALU_CYCLE_1) | instskip(SKIP_4) | instid1(VALU_DEP_1)
	s_or_b32 exec_lo, exec_lo, s23
	v_mov_b32_e32 v32, 0
	v_lshrrev_b32_e32 v177, 16, v176
	v_mov_b32_e32 v33, 0
	s_mov_b32 s2, exec_lo
	v_dual_mov_b32 v39, v33 :: v_dual_and_b32 v0, 0xff, v177
	v_mov_b32_e32 v38, v32
	s_delay_alu instid0(VALU_DEP_2)
	v_cmpx_ne_u16_e32 0, v0
	s_cbranch_execz .LBB268_1515
; %bb.1508:                             ;   in Loop: Header=BB268_16 Depth=1
	v_bfrev_b32_e32 v38, 1
	v_mov_b32_e32 v39, 0
	s_mov_b32 s23, exec_lo
	v_cmpx_ne_u16_e32 0x80, v0
	s_cbranch_execz .LBB268_1514
; %bb.1509:                             ;   in Loop: Header=BB268_16 Depth=1
	v_mov_b32_e32 v38, 0x7f800001
	v_bfe_u32 v1, v176, 16, 7
	v_mov_b32_e32 v39, 0
	s_mov_b32 s24, exec_lo
	s_delay_alu instid0(VALU_DEP_2)
	v_cmpx_ne_u32_e32 0x7f, v1
	s_cbranch_execz .LBB268_1513
; %bb.1510:                             ;   in Loop: Header=BB268_16 Depth=1
	v_and_b32_e32 v14, 7, v177
	v_lshrrev_b32_e32 v0, 3, v1
	s_mov_b32 s25, exec_lo
	s_delay_alu instid0(VALU_DEP_2)
	v_dual_mov_b32 v6, v14 :: v_dual_mov_b32 v7, v15
	v_cmpx_gt_u32_e32 8, v1
; %bb.1511:                             ;   in Loop: Header=BB268_16 Depth=1
	v_clz_i32_u32_e32 v0, v14
	s_delay_alu instid0(VALU_DEP_1) | instskip(NEXT) | instid1(VALU_DEP_1)
	v_min_u32_e32 v0, 32, v0
	v_subrev_nc_u32_e32 v1, 28, v0
	v_sub_nc_u32_e32 v0, 29, v0
	s_delay_alu instid0(VALU_DEP_2) | instskip(NEXT) | instid1(VALU_DEP_1)
	v_lshlrev_b64 v[6:7], v1, v[14:15]
	v_and_b32_e32 v6, 7, v6
; %bb.1512:                             ;   in Loop: Header=BB268_16 Depth=1
	s_or_b32 exec_lo, exec_lo, s25
	v_lshlrev_b32_e32 v1, 24, v177
	s_delay_alu instid0(VALU_DEP_2) | instskip(SKIP_1) | instid1(VALU_DEP_3)
	v_lshlrev_b32_e32 v6, 20, v6
	v_lshl_add_u32 v0, v0, 23, 0x3c000000
	v_and_b32_e32 v1, 0x80000000, v1
	s_delay_alu instid0(VALU_DEP_1) | instskip(NEXT) | instid1(VALU_DEP_1)
	v_or3_b32 v14, v6, v1, v0
	v_dual_mov_b32 v39, v15 :: v_dual_mov_b32 v38, v14
.LBB268_1513:                           ;   in Loop: Header=BB268_16 Depth=1
	s_or_b32 exec_lo, exec_lo, s24
.LBB268_1514:                           ;   in Loop: Header=BB268_16 Depth=1
	s_delay_alu instid0(SALU_CYCLE_1)
	s_or_b32 exec_lo, exec_lo, s23
.LBB268_1515:                           ;   in Loop: Header=BB268_16 Depth=1
	s_delay_alu instid0(SALU_CYCLE_1) | instskip(NEXT) | instid1(SALU_CYCLE_1)
	s_or_b32 exec_lo, exec_lo, s2
	s_mov_b32 s23, exec_lo
	v_cmpx_lt_u32_e32 0xffffff, v176
	s_cbranch_execz .LBB268_1523
; %bb.1516:                             ;   in Loop: Header=BB268_16 Depth=1
	v_lshrrev_b32_e32 v0, 24, v176
	v_dual_mov_b32 v33, s9 :: v_dual_mov_b32 v32, s8
	s_mov_b32 s24, exec_lo
	s_delay_alu instid0(VALU_DEP_2)
	v_cmpx_ne_u32_e32 0x80, v0
	s_cbranch_execz .LBB268_1522
; %bb.1517:                             ;   in Loop: Header=BB268_16 Depth=1
	s_mov_b32 s2, s8
	v_bfe_u32 v6, v176, 24, 7
	v_dual_mov_b32 v33, s3 :: v_dual_mov_b32 v32, s2
	s_mov_b32 s2, exec_lo
	s_delay_alu instid0(VALU_DEP_2)
	v_cmpx_ne_u32_e32 0x7f, v6
	s_cbranch_execz .LBB268_1521
; %bb.1518:                             ;   in Loop: Header=BB268_16 Depth=1
	v_and_b32_e32 v14, 7, v0
	v_lshrrev_b32_e32 v1, 3, v6
	v_cmp_gt_u32_e64 s1, 8, v6
	s_delay_alu instid0(VALU_DEP_3) | instskip(NEXT) | instid1(VALU_DEP_2)
	v_dual_mov_b32 v6, v14 :: v_dual_mov_b32 v7, v15
	s_and_saveexec_b32 s25, s1
; %bb.1519:                             ;   in Loop: Header=BB268_16 Depth=1
	v_clz_i32_u32_e32 v1, v14
	s_delay_alu instid0(VALU_DEP_1) | instskip(NEXT) | instid1(VALU_DEP_1)
	v_min_u32_e32 v1, 32, v1
	v_subrev_nc_u32_e32 v6, 28, v1
	v_sub_nc_u32_e32 v1, 29, v1
	s_delay_alu instid0(VALU_DEP_2) | instskip(NEXT) | instid1(VALU_DEP_1)
	v_lshlrev_b64 v[6:7], v6, v[14:15]
	v_and_b32_e32 v6, 7, v6
; %bb.1520:                             ;   in Loop: Header=BB268_16 Depth=1
	s_or_b32 exec_lo, exec_lo, s25
	v_lshlrev_b32_e32 v0, 24, v0
	s_delay_alu instid0(VALU_DEP_2) | instskip(SKIP_2) | instid1(VALU_DEP_4)
	v_lshlrev_b32_e32 v6, 20, v6
	v_lshl_add_u32 v1, v1, 23, 0x3c000000
	v_mov_b32_e32 v32, v15
	v_and_b32_e32 v0, 0x80000000, v0
	s_delay_alu instid0(VALU_DEP_1)
	v_or3_b32 v33, v6, v0, v1
.LBB268_1521:                           ;   in Loop: Header=BB268_16 Depth=1
	s_or_b32 exec_lo, exec_lo, s2
.LBB268_1522:                           ;   in Loop: Header=BB268_16 Depth=1
	s_delay_alu instid0(SALU_CYCLE_1)
	s_or_b32 exec_lo, exec_lo, s24
.LBB268_1523:                           ;   in Loop: Header=BB268_16 Depth=1
	s_delay_alu instid0(SALU_CYCLE_1)
	s_or_b32 exec_lo, exec_lo, s23
	flat_load_b32 v45, v[114:115] offset:1548
	v_mov_b32_e32 v114, 0
	v_mov_b32_e32 v115, 0
	s_mov_b32 s2, exec_lo
	s_waitcnt vmcnt(0) lgkmcnt(0)
	s_delay_alu instid0(VALU_DEP_1) | instskip(SKIP_1) | instid1(VALU_DEP_2)
	v_dual_mov_b32 v185, v115 :: v_dual_and_b32 v0, 0xff, v45
	v_mov_b32_e32 v184, v114
	v_cmpx_ne_u16_e32 0, v0
	s_cbranch_execz .LBB268_1531
; %bb.1524:                             ;   in Loop: Header=BB268_16 Depth=1
	v_bfrev_b32_e32 v184, 1
	v_mov_b32_e32 v185, 0
	s_mov_b32 s23, exec_lo
	v_cmpx_ne_u16_e32 0x80, v0
	s_cbranch_execz .LBB268_1530
; %bb.1525:                             ;   in Loop: Header=BB268_16 Depth=1
	v_mov_b32_e32 v184, 0x7f800001
	v_and_b32_e32 v1, 0x7f, v45
	v_mov_b32_e32 v185, 0
	s_mov_b32 s24, exec_lo
	s_delay_alu instid0(VALU_DEP_2)
	v_cmpx_ne_u32_e32 0x7f, v1
	s_cbranch_execz .LBB268_1529
; %bb.1526:                             ;   in Loop: Header=BB268_16 Depth=1
	v_and_b32_e32 v14, 7, v45
	v_lshrrev_b32_e32 v0, 3, v1
	s_mov_b32 s25, exec_lo
	s_delay_alu instid0(VALU_DEP_2)
	v_dual_mov_b32 v6, v14 :: v_dual_mov_b32 v7, v15
	v_cmpx_gt_u32_e32 8, v1
; %bb.1527:                             ;   in Loop: Header=BB268_16 Depth=1
	v_clz_i32_u32_e32 v0, v14
	s_delay_alu instid0(VALU_DEP_1) | instskip(NEXT) | instid1(VALU_DEP_1)
	v_min_u32_e32 v0, 32, v0
	v_subrev_nc_u32_e32 v1, 28, v0
	v_sub_nc_u32_e32 v0, 29, v0
	s_delay_alu instid0(VALU_DEP_2) | instskip(NEXT) | instid1(VALU_DEP_1)
	v_lshlrev_b64 v[6:7], v1, v[14:15]
	v_and_b32_e32 v6, 7, v6
; %bb.1528:                             ;   in Loop: Header=BB268_16 Depth=1
	s_or_b32 exec_lo, exec_lo, s25
	v_lshlrev_b32_e32 v1, 24, v45
	s_delay_alu instid0(VALU_DEP_2) | instskip(SKIP_1) | instid1(VALU_DEP_3)
	v_lshlrev_b32_e32 v6, 20, v6
	v_lshl_add_u32 v0, v0, 23, 0x3c000000
	v_and_b32_e32 v1, 0x80000000, v1
	s_delay_alu instid0(VALU_DEP_1) | instskip(NEXT) | instid1(VALU_DEP_1)
	v_or3_b32 v14, v6, v1, v0
	v_dual_mov_b32 v185, v15 :: v_dual_mov_b32 v184, v14
.LBB268_1529:                           ;   in Loop: Header=BB268_16 Depth=1
	s_or_b32 exec_lo, exec_lo, s24
.LBB268_1530:                           ;   in Loop: Header=BB268_16 Depth=1
	s_delay_alu instid0(SALU_CYCLE_1)
	s_or_b32 exec_lo, exec_lo, s23
.LBB268_1531:                           ;   in Loop: Header=BB268_16 Depth=1
	s_delay_alu instid0(SALU_CYCLE_1) | instskip(SKIP_2) | instid1(VALU_DEP_1)
	s_or_b32 exec_lo, exec_lo, s2
	v_lshrrev_b16 v0, 8, v45
	s_mov_b32 s23, exec_lo
	v_cmpx_ne_u16_e32 0, v0
	s_cbranch_execz .LBB268_1539
; %bb.1532:                             ;   in Loop: Header=BB268_16 Depth=1
	v_dual_mov_b32 v115, s9 :: v_dual_mov_b32 v114, s8
	s_mov_b32 s24, exec_lo
	v_cmpx_ne_u16_e32 0x80, v0
	s_cbranch_execz .LBB268_1538
; %bb.1533:                             ;   in Loop: Header=BB268_16 Depth=1
	s_mov_b32 s2, s8
	v_dual_mov_b32 v115, s3 :: v_dual_and_b32 v0, 0xffff, v0
	v_mov_b32_e32 v114, s2
	s_mov_b32 s2, exec_lo
	s_delay_alu instid0(VALU_DEP_2) | instskip(NEXT) | instid1(VALU_DEP_1)
	v_and_b32_e32 v1, 0x7f, v0
	v_cmpx_ne_u32_e32 0x7f, v1
	s_cbranch_execz .LBB268_1537
; %bb.1534:                             ;   in Loop: Header=BB268_16 Depth=1
	v_and_b32_e32 v14, 7, v0
	v_lshrrev_b32_e32 v0, 3, v1
	s_mov_b32 s25, exec_lo
	s_delay_alu instid0(VALU_DEP_2)
	v_dual_mov_b32 v6, v14 :: v_dual_mov_b32 v7, v15
	v_cmpx_gt_u32_e32 8, v1
; %bb.1535:                             ;   in Loop: Header=BB268_16 Depth=1
	v_clz_i32_u32_e32 v0, v14
	s_delay_alu instid0(VALU_DEP_1) | instskip(NEXT) | instid1(VALU_DEP_1)
	v_min_u32_e32 v0, 32, v0
	v_subrev_nc_u32_e32 v1, 28, v0
	v_sub_nc_u32_e32 v0, 29, v0
	s_delay_alu instid0(VALU_DEP_2) | instskip(NEXT) | instid1(VALU_DEP_1)
	v_lshlrev_b64 v[6:7], v1, v[14:15]
	v_and_b32_e32 v6, 7, v6
; %bb.1536:                             ;   in Loop: Header=BB268_16 Depth=1
	s_or_b32 exec_lo, exec_lo, s25
	v_dual_mov_b32 v114, v15 :: v_dual_lshlrev_b32 v1, 16, v45
	s_delay_alu instid0(VALU_DEP_2) | instskip(SKIP_1) | instid1(VALU_DEP_3)
	v_lshlrev_b32_e32 v6, 20, v6
	v_lshl_add_u32 v0, v0, 23, 0x3c000000
	v_and_b32_e32 v1, 0x80000000, v1
	s_delay_alu instid0(VALU_DEP_1)
	v_or3_b32 v115, v6, v1, v0
.LBB268_1537:                           ;   in Loop: Header=BB268_16 Depth=1
	s_or_b32 exec_lo, exec_lo, s2
.LBB268_1538:                           ;   in Loop: Header=BB268_16 Depth=1
	s_delay_alu instid0(SALU_CYCLE_1)
	s_or_b32 exec_lo, exec_lo, s24
.LBB268_1539:                           ;   in Loop: Header=BB268_16 Depth=1
	s_delay_alu instid0(SALU_CYCLE_1) | instskip(SKIP_4) | instid1(VALU_DEP_3)
	s_or_b32 exec_lo, exec_lo, s23
	v_lshrrev_b32_e32 v0, 16, v45
	v_mov_b32_e32 v6, 0
	v_mov_b32_e32 v7, 0
	s_mov_b32 s2, exec_lo
	v_and_b32_e32 v1, 0xff, v0
	s_delay_alu instid0(VALU_DEP_2) | instskip(NEXT) | instid1(VALU_DEP_2)
	v_dual_mov_b32 v177, v7 :: v_dual_mov_b32 v176, v6
	v_cmpx_ne_u16_e32 0, v1
	s_cbranch_execz .LBB268_1547
; %bb.1540:                             ;   in Loop: Header=BB268_16 Depth=1
	v_bfrev_b32_e32 v176, 1
	v_mov_b32_e32 v177, 0
	s_mov_b32 s23, exec_lo
	v_cmpx_ne_u16_e32 0x80, v1
	s_cbranch_execz .LBB268_1546
; %bb.1541:                             ;   in Loop: Header=BB268_16 Depth=1
	v_mov_b32_e32 v176, 0x7f800001
	v_dual_mov_b32 v2, v60 :: v_dual_mov_b32 v3, v61
	v_bfe_u32 v60, v45, 16, 7
	v_mov_b32_e32 v177, 0
	s_mov_b32 s24, exec_lo
	s_delay_alu instid0(VALU_DEP_2)
	v_cmpx_ne_u32_e32 0x7f, v60
	s_cbranch_execz .LBB268_1545
; %bb.1542:                             ;   in Loop: Header=BB268_16 Depth=1
	v_and_b32_e32 v14, 7, v0
	v_lshrrev_b32_e32 v1, 3, v60
	v_mov_b32_e32 v177, v15
	s_mov_b32 s25, exec_lo
	s_delay_alu instid0(VALU_DEP_3)
	v_mov_b32_e32 v176, v14
	v_cmpx_gt_u32_e32 8, v60
; %bb.1543:                             ;   in Loop: Header=BB268_16 Depth=1
	v_clz_i32_u32_e32 v1, v14
	s_delay_alu instid0(VALU_DEP_1) | instskip(NEXT) | instid1(VALU_DEP_1)
	v_min_u32_e32 v1, 32, v1
	v_subrev_nc_u32_e32 v176, 28, v1
	v_sub_nc_u32_e32 v1, 29, v1
	s_delay_alu instid0(VALU_DEP_2) | instskip(NEXT) | instid1(VALU_DEP_1)
	v_lshlrev_b64 v[176:177], v176, v[14:15]
	v_and_b32_e32 v176, 7, v176
; %bb.1544:                             ;   in Loop: Header=BB268_16 Depth=1
	s_or_b32 exec_lo, exec_lo, s25
	v_lshlrev_b32_e32 v0, 24, v0
	s_delay_alu instid0(VALU_DEP_2) | instskip(SKIP_1) | instid1(VALU_DEP_3)
	v_lshlrev_b32_e32 v14, 20, v176
	v_lshl_add_u32 v1, v1, 23, 0x3c000000
	v_and_b32_e32 v0, 0x80000000, v0
	s_delay_alu instid0(VALU_DEP_1) | instskip(NEXT) | instid1(VALU_DEP_1)
	v_or3_b32 v14, v14, v0, v1
	v_dual_mov_b32 v177, v15 :: v_dual_mov_b32 v176, v14
.LBB268_1545:                           ;   in Loop: Header=BB268_16 Depth=1
	s_or_b32 exec_lo, exec_lo, s24
	v_dual_mov_b32 v61, v3 :: v_dual_mov_b32 v60, v2
.LBB268_1546:                           ;   in Loop: Header=BB268_16 Depth=1
	s_or_b32 exec_lo, exec_lo, s23
.LBB268_1547:                           ;   in Loop: Header=BB268_16 Depth=1
	s_delay_alu instid0(SALU_CYCLE_1)
	s_or_b32 exec_lo, exec_lo, s2
	v_dual_mov_b32 v2, v130 :: v_dual_mov_b32 v3, v131
	v_dual_mov_b32 v131, v11 :: v_dual_mov_b32 v130, v10
	;; [unrolled: 1-line block ×4, first 2 shown]
	v_mov_b32_e32 v179, v26
	s_mov_b32 s23, exec_lo
	v_cmpx_lt_u32_e32 0xffffff, v45
	s_cbranch_execz .LBB268_14
; %bb.1548:                             ;   in Loop: Header=BB268_16 Depth=1
	v_lshrrev_b32_e32 v0, 24, v45
	v_dual_mov_b32 v6, s8 :: v_dual_mov_b32 v7, s9
	s_mov_b32 s24, exec_lo
	s_delay_alu instid0(VALU_DEP_2)
	v_cmpx_ne_u32_e32 0x80, v0
	s_cbranch_execz .LBB268_13
; %bb.1549:                             ;   in Loop: Header=BB268_16 Depth=1
	s_mov_b32 s2, s8
	v_bfe_u32 v45, v45, 24, 7
	v_dual_mov_b32 v7, s3 :: v_dual_mov_b32 v6, s2
	s_mov_b32 s2, exec_lo
	s_delay_alu instid0(VALU_DEP_2)
	v_cmpx_ne_u32_e32 0x7f, v45
	s_cbranch_execz .LBB268_12
; %bb.1550:                             ;   in Loop: Header=BB268_16 Depth=1
	v_and_b32_e32 v14, 7, v0
	v_lshrrev_b32_e32 v1, 3, v45
	s_mov_b32 s25, exec_lo
	s_delay_alu instid0(VALU_DEP_2)
	v_dual_mov_b32 v6, v14 :: v_dual_mov_b32 v7, v15
	v_cmpx_gt_u32_e32 8, v45
	s_cbranch_execz .LBB268_11
; %bb.1551:                             ;   in Loop: Header=BB268_16 Depth=1
	v_clz_i32_u32_e32 v1, v14
	s_delay_alu instid0(VALU_DEP_1) | instskip(NEXT) | instid1(VALU_DEP_1)
	v_min_u32_e32 v1, 32, v1
	v_subrev_nc_u32_e32 v6, 28, v1
	v_sub_nc_u32_e32 v1, 29, v1
	s_delay_alu instid0(VALU_DEP_2) | instskip(NEXT) | instid1(VALU_DEP_1)
	v_lshlrev_b64 v[6:7], v6, v[14:15]
	v_and_b32_e32 v6, 7, v6
	s_branch .LBB268_11
.LBB268_1552:
	s_or_b32 exec_lo, exec_lo, s21
	scratch_load_b32 v15, off, s32 offset:2260 ; 4-byte Folded Reload
.LBB268_1553:
	s_or_b32 exec_lo, exec_lo, s20
	v_mbcnt_lo_u32_b32 v0, -1, 0
	s_waitcnt lgkmcnt(0)
	s_lshr_b32 s8, s19, 16
	v_max_f32_e32 v4, v183, v183
	s_delay_alu instid0(VALU_DEP_2) | instskip(SKIP_2) | instid1(VALU_DEP_3)
	v_xor_b32_e32 v1, 16, v0
	v_xor_b32_e32 v3, 8, v0
	v_xor_b32_e32 v5, 4, v0
	v_cmp_gt_i32_e32 vcc_lo, 32, v1
	v_cndmask_b32_e32 v1, v0, v1, vcc_lo
	s_delay_alu instid0(VALU_DEP_4) | instskip(NEXT) | instid1(VALU_DEP_2)
	v_cmp_gt_i32_e32 vcc_lo, 32, v3
	v_dual_cndmask_b32 v3, v0, v3 :: v_dual_lshlrev_b32 v2, 2, v1
	v_cmp_gt_i32_e32 vcc_lo, 32, v5
	ds_bpermute_b32 v1, v2, v183
	v_lshlrev_b32_e32 v3, 2, v3
	v_cndmask_b32_e32 v5, v0, v5, vcc_lo
	s_delay_alu instid0(VALU_DEP_1) | instskip(SKIP_1) | instid1(VALU_DEP_1)
	v_lshlrev_b32_e32 v69, 2, v5
	v_xor_b32_e32 v5, 2, v0
	v_cmp_gt_i32_e32 vcc_lo, 32, v5
	v_cndmask_b32_e32 v5, v0, v5, vcc_lo
	s_waitcnt lgkmcnt(0)
	v_max_f32_e32 v1, v1, v1
	s_delay_alu instid0(VALU_DEP_2) | instskip(SKIP_1) | instid1(VALU_DEP_3)
	v_lshlrev_b32_e32 v82, 2, v5
	v_xor_b32_e32 v5, 1, v0
	v_max_f32_e32 v1, v4, v1
	s_delay_alu instid0(VALU_DEP_2) | instskip(SKIP_2) | instid1(VALU_DEP_1)
	v_cmp_gt_i32_e32 vcc_lo, 32, v5
	ds_bpermute_b32 v4, v3, v1
	v_cndmask_b32_e32 v5, v0, v5, vcc_lo
	v_lshlrev_b32_e32 v98, 2, v5
	s_waitcnt lgkmcnt(0)
	v_max_f32_e32 v4, v4, v4
	s_delay_alu instid0(VALU_DEP_1) | instskip(SKIP_3) | instid1(VALU_DEP_1)
	v_max_f32_e32 v1, v1, v4
	ds_bpermute_b32 v4, v69, v1
	s_waitcnt lgkmcnt(0)
	v_max_f32_e32 v4, v4, v4
	v_max_f32_e32 v1, v1, v4
	ds_bpermute_b32 v4, v82, v1
	s_waitcnt lgkmcnt(0)
	v_max_f32_e32 v4, v4, v4
	s_delay_alu instid0(VALU_DEP_1)
	v_max_f32_e32 v0, v1, v4
	scratch_load_b32 v4, off, s32 offset:1372 ; 4-byte Folded Reload
	ds_bpermute_b32 v1, v98, v0
	s_waitcnt vmcnt(0)
	v_cmp_eq_u32_e32 vcc_lo, 0, v4
	scratch_load_b32 v4, off, s32 offset:2184 ; 4-byte Folded Reload
	s_waitcnt vmcnt(0)
	v_lshlrev_b32_e32 v4, 2, v4
	s_and_saveexec_b32 s1, vcc_lo
	s_cbranch_execz .LBB268_1555
; %bb.1554:
	s_waitcnt lgkmcnt(0)
	v_dual_max_f32 v1, v1, v1 :: v_dual_max_f32 v0, v0, v0
	s_delay_alu instid0(VALU_DEP_1)
	v_max_f32_e32 v0, v0, v1
	ds_store_b32 v4, v0 offset:768
.LBB268_1555:
	s_or_b32 exec_lo, exec_lo, s1
	scratch_load_b32 v0, off, s32 offset:1372 ; 4-byte Folded Reload
	s_waitcnt vmcnt(0) lgkmcnt(0)
	s_waitcnt_vscnt null, 0x0
	s_barrier
	buffer_gl0_inv
	v_cmp_gt_u32_e64 s1, 4, v0
	v_mov_b32_e32 v0, 0xff7fffff
	s_delay_alu instid0(VALU_DEP_2)
	s_and_saveexec_b32 s2, s1
	s_cbranch_execz .LBB268_1557
; %bb.1556:
	scratch_load_b32 v0, off, s32 offset:2208 ; 4-byte Folded Reload
	s_waitcnt vmcnt(0)
	ds_load_b32 v0, v0 offset:768
.LBB268_1557:
	s_or_b32 exec_lo, exec_lo, s2
	scratch_load_b32 v5, off, s32 offset:360 ; 4-byte Folded Reload
	s_waitcnt lgkmcnt(0)
	ds_bpermute_b32 v1, v82, v0
	s_waitcnt lgkmcnt(0)
	v_dual_max_f32 v0, v0, v0 :: v_dual_max_f32 v1, v1, v1
	s_delay_alu instid0(VALU_DEP_1)
	v_max_f32_e32 v0, v0, v1
	s_waitcnt vmcnt(0)
	v_subrev_nc_u32_e32 v6, s13, v5
	v_mov_b32_e32 v5, 0
	ds_bpermute_b32 v1, v98, v0
	s_waitcnt lgkmcnt(0)
	v_max_f32_e32 v1, v1, v1
	s_delay_alu instid0(VALU_DEP_1) | instskip(SKIP_4) | instid1(VALU_DEP_1)
	v_max_f32_e32 v0, v0, v1
	v_lshl_add_u32 v1, v6, 5, s15
	scratch_load_b32 v6, off, s32 offset:1376 ; 4-byte Folded Reload
	ds_bpermute_b32 v0, v5, v0
	v_min_i32_e32 v1, v1, v35
	v_subrev_nc_u32_e32 v1, s15, v1
	s_waitcnt vmcnt(0)
	s_delay_alu instid0(VALU_DEP_1) | instskip(NEXT) | instid1(VALU_DEP_1)
	v_cmp_lt_i32_e64 s2, v6, v1
	s_and_saveexec_b32 s9, s2
	s_cbranch_execz .LBB268_1561
; %bb.1558:
	scratch_load_b32 v7, off, s32 offset:1376 ; 4-byte Folded Reload
	s_getpc_b64 s[16:17]
	s_add_u32 s16, s16, llvm.amdgcn.dynlds.offset.table@rel32@lo+4
	s_addc_u32 s17, s17, llvm.amdgcn.dynlds.offset.table@rel32@hi+12
	s_ashr_i32 s11, s10, 31
	v_mov_b32_e32 v5, 0
	s_lshl_b64 s[20:21], s[10:11], 2
	s_mov_b32 s11, 0
	s_add_u32 s16, s20, s16
	s_addc_u32 s17, s21, s17
	s_load_b32 s3, s[16:17], 0x0
	s_waitcnt vmcnt(0) lgkmcnt(0)
	v_lshl_add_u32 v6, v7, 2, s3
	.p2align	6
.LBB268_1559:                           ; =>This Inner Loop Header: Depth=1
	ds_load_b32 v8, v6
	v_add_nc_u32_e32 v7, 0x80, v7
	s_delay_alu instid0(VALU_DEP_1) | instskip(NEXT) | instid1(VALU_DEP_1)
	v_cmp_ge_i32_e64 s3, v7, v1
	s_or_b32 s11, s3, s11
	s_waitcnt lgkmcnt(0)
	v_sub_f32_e32 v8, v8, v0
	s_delay_alu instid0(VALU_DEP_1) | instskip(NEXT) | instid1(VALU_DEP_1)
	v_mul_f32_e32 v8, 0x3fb8aa3b, v8
	v_exp_f32_e32 v8, v8
	ds_store_b32 v6, v8
	v_dual_add_f32 v5, v5, v8 :: v_dual_add_nc_u32 v6, 0x200, v6
	s_and_not1_b32 exec_lo, exec_lo, s11
	s_cbranch_execnz .LBB268_1559
; %bb.1560:
	s_or_b32 exec_lo, exec_lo, s11
.LBB268_1561:
	s_delay_alu instid0(SALU_CYCLE_1)
	s_or_b32 exec_lo, exec_lo, s9
	ds_bpermute_b32 v2, v2, v5
	s_waitcnt lgkmcnt(0)
	v_add_f32_e32 v2, v5, v2
	ds_bpermute_b32 v3, v3, v2
	s_waitcnt lgkmcnt(0)
	v_add_f32_e32 v2, v2, v3
	;; [unrolled: 3-line block ×5, first 2 shown]
	s_and_saveexec_b32 s3, vcc_lo
	s_cbranch_execz .LBB268_1563
; %bb.1562:
	ds_store_b32 v4, v2 offset:784
.LBB268_1563:
	s_or_b32 exec_lo, exec_lo, s3
	s_waitcnt lgkmcnt(0)
	s_barrier
	buffer_gl0_inv
	s_and_saveexec_b32 s3, s1
	s_cbranch_execz .LBB268_1565
; %bb.1564:
	scratch_load_b32 v2, off, s32 offset:2208 ; 4-byte Folded Reload
	s_waitcnt vmcnt(0)
	ds_load_b32 v2, v2 offset:784
.LBB268_1565:
	s_or_b32 exec_lo, exec_lo, s3
	s_waitcnt lgkmcnt(0)
	ds_bpermute_b32 v3, v82, v2
	s_waitcnt lgkmcnt(0)
	v_add_f32_e32 v2, v2, v3
	ds_bpermute_b32 v3, v98, v2
	s_waitcnt lgkmcnt(0)
	v_dual_add_f32 v2, v2, v3 :: v_dual_mov_b32 v3, 0
	ds_bpermute_b32 v2, v3, v2
	s_and_saveexec_b32 s1, s2
	s_cbranch_execz .LBB268_1568
; %bb.1566:
	s_waitcnt lgkmcnt(0)
	v_add_f32_e32 v4, 0x358637bd, v2
	s_getpc_b64 s[2:3]
	s_add_u32 s2, s2, llvm.amdgcn.dynlds.offset.table@rel32@lo+4
	s_addc_u32 s3, s3, llvm.amdgcn.dynlds.offset.table@rel32@hi+12
	s_ashr_i32 s11, s10, 31
	s_delay_alu instid0(SALU_CYCLE_1) | instskip(SKIP_4) | instid1(VALU_DEP_1)
	s_lshl_b64 s[16:17], s[10:11], 2
	v_div_scale_f32 v3, null, v4, v4, 1.0
	s_add_u32 s2, s16, s2
	s_addc_u32 s3, s17, s3
	s_load_b32 s2, s[2:3], 0x0
	v_rcp_f32_e32 v5, v3
	s_waitcnt_depctr 0xfff
	v_fma_f32 v6, -v3, v5, 1.0
	s_delay_alu instid0(VALU_DEP_1) | instskip(SKIP_1) | instid1(VALU_DEP_1)
	v_fmac_f32_e32 v5, v6, v5
	v_div_scale_f32 v7, vcc_lo, 1.0, v4, 1.0
	v_mul_f32_e32 v6, v7, v5
	s_delay_alu instid0(VALU_DEP_1) | instskip(NEXT) | instid1(VALU_DEP_1)
	v_fma_f32 v8, -v3, v6, v7
	v_fmac_f32_e32 v6, v8, v5
	s_delay_alu instid0(VALU_DEP_1) | instskip(NEXT) | instid1(VALU_DEP_1)
	v_fma_f32 v3, -v3, v6, v7
	v_div_fmas_f32 v5, v3, v5, v6
	scratch_load_b32 v6, off, s32 offset:1376 ; 4-byte Folded Reload
	v_div_fixup_f32 v4, v5, v4, 1.0
	s_waitcnt vmcnt(0) lgkmcnt(0)
	v_lshl_add_u32 v3, v6, 2, s2
	v_mov_b32_e32 v5, v6
	s_mov_b32 s2, 0
.LBB268_1567:                           ; =>This Inner Loop Header: Depth=1
	ds_load_b32 v6, v3
	s_waitcnt lgkmcnt(0)
	v_dual_mul_f32 v6, v4, v6 :: v_dual_add_nc_u32 v5, 0x80, v5
	s_delay_alu instid0(VALU_DEP_1) | instskip(SKIP_3) | instid1(SALU_CYCLE_1)
	v_cmp_ge_i32_e32 vcc_lo, v5, v1
	ds_store_b32 v3, v6
	v_add_nc_u32_e32 v3, 0x200, v3
	s_or_b32 s2, vcc_lo, s2
	s_and_not1_b32 exec_lo, exec_lo, s2
	s_cbranch_execnz .LBB268_1567
.LBB268_1568:
	s_or_b32 exec_lo, exec_lo, s1
	scratch_load_b32 v1, off, s32 offset:1376 ; 4-byte Folded Reload
	v_cmp_ne_u16_e64 s1, s8, 0
	s_waitcnt vmcnt(0) lgkmcnt(0)
	s_barrier
	buffer_gl0_inv
	s_cmp_lg_u32 s1, 0
	s_addc_u32 s1, s7, 0
	v_cmp_eq_u32_e32 vcc_lo, 0, v1
	s_mov_b32 s2, exec_lo
	scratch_load_b32 v1, off, s32 offset:2220 ; 4-byte Folded Reload
	s_and_b32 s3, s2, vcc_lo
	s_delay_alu instid0(SALU_CYCLE_1)
	s_mov_b32 exec_lo, s3
	s_cbranch_execz .LBB268_1570
; %bb.1569:
	s_mul_i32 s3, s1, s4
	s_mul_i32 s8, s1, s12
	;; [unrolled: 1-line block ×3, first 2 shown]
	s_ashr_i32 s9, s8, 31
	s_ashr_i32 s15, s14, 31
	;; [unrolled: 1-line block ×3, first 2 shown]
	s_lshl_b64 s[8:9], s[8:9], 2
	s_lshl_b64 s[16:17], s[14:15], 2
	;; [unrolled: 1-line block ×3, first 2 shown]
	s_add_u32 s3, s16, s8
	s_addc_u32 s7, s17, s9
	s_add_u32 s3, s3, s12
	s_addc_u32 s7, s7, s13
	v_add_co_u32 v3, vcc_lo, s3, v15
	s_waitcnt vmcnt(0)
	v_add_co_ci_u32_e32 v4, vcc_lo, s7, v1, vcc_lo
	scratch_load_b32 v1, off, s32 offset:2252 ; 4-byte Folded Reload
	s_waitcnt vmcnt(0)
	v_add_co_u32 v5, vcc_lo, s3, v1
	scratch_load_b32 v1, off, s32 offset:2248 ; 4-byte Folded Reload
	s_waitcnt vmcnt(0)
	v_add_co_ci_u32_e32 v6, vcc_lo, s7, v1, vcc_lo
	flat_store_b32 v[3:4], v0
	flat_store_b32 v[5:6], v2
.LBB268_1570:
	s_or_b32 exec_lo, exec_lo, s2
	scratch_load_b32 v0, off, s32 offset:1376 ; 4-byte Folded Reload
	s_ashr_i32 s11, s10, 31
	s_getpc_b64 s[2:3]
	s_add_u32 s2, s2, llvm.amdgcn.dynlds.offset.table@rel32@lo+4
	s_addc_u32 s3, s3, llvm.amdgcn.dynlds.offset.table@rel32@hi+12
	s_lshl_b64 s[8:9], s[10:11], 2
	v_dual_mov_b32 v13, 0 :: v_dual_mov_b32 v28, 0
	v_dual_mov_b32 v7, 0 :: v_dual_mov_b32 v24, 0
	;; [unrolled: 1-line block ×23, first 2 shown]
	v_mov_b32_e32 v71, 0
	s_add_u32 s2, s8, s2
	s_addc_u32 s3, s9, s3
	s_mov_b32 s8, 0
	s_waitcnt vmcnt(0)
	v_dual_mov_b32 v6, 0 :: v_dual_and_b32 v99, 7, v0
	s_and_saveexec_b32 s7, s0
	s_cbranch_execz .LBB268_3208
; %bb.1571:
	s_clause 0x2
	scratch_store_b32 off, v69, s32 offset:1136
	scratch_store_b32 off, v82, s32 offset:1128
	;; [unrolled: 1-line block ×3, first 2 shown]
	s_clause 0x1
	scratch_load_b32 v0, off, s32 offset:2188
	scratch_load_b32 v1, off, s32 offset:2236
	s_load_b32 s0, s[2:3], 0x0
	v_mov_b32_e32 v16, 0
	s_brev_b32 s9, 1
	s_mov_b32 s11, 0x7f800001
	s_mov_b32 s12, s8
	v_dual_mov_b32 v9, 0 :: v_dual_mov_b32 v72, 0
	v_mov_b32_e32 v17, 0
	v_mov_b32_e32 v13, 0
	s_waitcnt vmcnt(0)
	v_max_i32_e32 v116, v0, v1
	s_clause 0x2
	scratch_load_b32 v0, off, s32 offset:1376
	scratch_load_b32 v1, off, s32 offset:2204
	;; [unrolled: 1-line block ×3, first 2 shown]
	s_waitcnt vmcnt(2)
	v_lshlrev_b32_e32 v2, 2, v0
	s_waitcnt vmcnt(0)
	v_add_co_u32 v3, vcc_lo, v1, v3
	s_clause 0x1
	scratch_load_b32 v1, off, s32 offset:2200
	scratch_load_b32 v4, off, s32 offset:2240
	v_cvt_f32_u32_e32 v0, v116
	v_and_b32_e32 v5, 28, v2
	v_and_b32_e32 v6, 0x7c, v2
	v_or_b32_e32 v2, 0xf80, v2
	scratch_load_b64 v[7:8], off, s32 offset:2224 ; 8-byte Folded Reload
	scratch_store_b32 off, v5, s32 offset:968 ; 4-byte Folded Spill
	scratch_load_b32 v5, off, s32 offset:2184 ; 4-byte Folded Reload
	s_waitcnt vmcnt(2)
	v_add_co_ci_u32_e32 v4, vcc_lo, v1, v4, vcc_lo
	scratch_store_b64 off, v[3:4], s32 offset:952 ; 8-byte Folded Spill
	v_rcp_iflag_f32_e32 v3, v0
	scratch_load_b32 v0, off, s32 offset:2256 ; 4-byte Folded Reload
	scratch_store_b32 off, v99, s32 offset:1144 ; 4-byte Folded Spill
	v_lshlrev_b32_e32 v4, 4, v99
	s_waitcnt vmcnt(1)
	s_delay_alu instid0(VALU_DEP_1) | instskip(SKIP_1) | instid1(VALU_DEP_1)
	v_lshl_or_b32 v4, v5, 7, v4
	s_waitcnt lgkmcnt(0)
	v_dual_mul_f32 v3, 0x4f7ffffe, v3 :: v_dual_add_nc_u32 v162, s0, v4
	s_delay_alu instid0(VALU_DEP_1)
	v_cvt_u32_f32_e32 v3, v3
	s_waitcnt vmcnt(0)
	v_add_nc_u32_e32 v0, -1, v0
	scratch_store_b32 off, v0, s32 offset:960 ; 4-byte Folded Spill
	scratch_load_b64 v[0:1], off, s32 offset:328 ; 8-byte Folded Reload
	s_waitcnt vmcnt(0)
	v_lshlrev_b64 v[0:1], 2, v[0:1]
	s_delay_alu instid0(VALU_DEP_1)
	v_add_co_u32 v0, vcc_lo, v7, v0
	v_mov_b32_e32 v7, 0
	v_or_b32_e32 v5, 0x1000, v6
	scratch_store_b32 off, v2, s32 offset:984 ; 4-byte Folded Spill
	v_add_co_ci_u32_e32 v1, vcc_lo, v8, v1, vcc_lo
	v_sub_nc_u32_e32 v2, 0, v116
	scratch_store_b32 off, v5, s32 offset:992 ; 4-byte Folded Spill
	v_or_b32_e32 v5, 0x1080, v6
	v_mul_lo_u32 v2, v2, v3
	scratch_store_b32 off, v5, s32 offset:1000 ; 4-byte Folded Spill
	v_or_b32_e32 v5, 0x1100, v6
	scratch_store_b32 off, v5, s32 offset:1008 ; 4-byte Folded Spill
	v_or_b32_e32 v5, 0x1180, v6
	v_mul_hi_u32 v2, v3, v2
	scratch_store_b32 off, v5, s32 offset:1016 ; 4-byte Folded Spill
	v_or_b32_e32 v5, 0x1200, v6
	scratch_store_b32 off, v5, s32 offset:1024 ; 4-byte Folded Spill
	v_or_b32_e32 v5, 0x1280, v6
	;; [unrolled: 2-line block ×11, first 2 shown]
	s_clause 0x1
	scratch_store_b32 off, v5, s32 offset:1104
	scratch_store_b32 off, v6, s32 offset:976
	v_or_b32_e32 v5, 0x1780, v6
	v_mov_b32_e32 v6, 0
	scratch_store_b32 off, v5, s32 offset:1112 ; 4-byte Folded Spill
	scratch_load_b32 v5, off, s32 offset:2196 ; 4-byte Folded Reload
	s_waitcnt vmcnt(0)
	v_add_co_u32 v10, vcc_lo, v5, v0
	s_clause 0x1
	scratch_load_b32 v0, off, s32 offset:2192
	scratch_load_b32 v5, off, s32 offset:2244
	s_waitcnt vmcnt(1)
	v_add_co_ci_u32_e32 v11, vcc_lo, v0, v1, vcc_lo
	v_add_nc_u32_e32 v0, v3, v2
	scratch_store_b32 off, v0, s32 offset:904 ; 4-byte Folded Spill
	v_mov_b32_e32 v0, 0
	scratch_store_b32 off, v0, s32 offset:568 ; 4-byte Folded Spill
	v_mov_b32_e32 v0, 0
	;; [unrolled: 2-line block ×42, first 2 shown]
	scratch_store_b32 off, v0, s32 offset:896 ; 4-byte Folded Spill
	s_branch .LBB268_1574
.LBB268_1572:                           ;   in Loop: Header=BB268_1574 Depth=1
	s_or_b32 exec_lo, exec_lo, s0
	v_mul_f32_e32 v15, v1, v44
	v_mul_f32_e32 v14, v1, v56
	;; [unrolled: 1-line block ×3, first 2 shown]
	s_delay_alu instid0(VALU_DEP_3) | instskip(NEXT) | instid1(VALU_DEP_3)
	v_dual_mul_f32 v12, v1, v12 :: v_dual_fmac_f32 v15, v0, v43
	v_dual_mul_f32 v13, v1, v58 :: v_dual_fmac_f32 v14, v0, v47
	s_delay_alu instid0(VALU_DEP_3) | instskip(NEXT) | instid1(VALU_DEP_3)
	v_fmac_f32_e32 v6, v0, v161
	v_dual_fmac_f32 v12, v0, v8 :: v_dual_fmac_f32 v15, v2, v27
	s_delay_alu instid0(VALU_DEP_3) | instskip(SKIP_1) | instid1(VALU_DEP_3)
	v_dual_fmac_f32 v13, v0, v57 :: v_dual_fmac_f32 v14, v2, v46
	v_mul_f32_e32 v16, v1, v41
	v_dual_fmac_f32 v6, v2, v119 :: v_dual_fmac_f32 v15, v3, v42
	s_delay_alu instid0(VALU_DEP_3)
	v_fmac_f32_e32 v13, v2, v19
	scratch_load_b32 v19, off, s32 offset:568 ; 4-byte Folded Reload
	v_fmac_f32_e32 v16, v0, v40
	v_fmac_f32_e32 v14, v3, v45
	;; [unrolled: 1-line block ×4, first 2 shown]
	v_mul_f32_e32 v18, v1, v166
	v_fmac_f32_e32 v16, v2, v179
	v_fmac_f32_e32 v12, v2, v5
	s_delay_alu instid0(VALU_DEP_3) | instskip(NEXT) | instid1(VALU_DEP_3)
	v_fmac_f32_e32 v18, v0, v165
	v_fmac_f32_e32 v16, v3, v178
	s_delay_alu instid0(VALU_DEP_3) | instskip(NEXT) | instid1(VALU_DEP_3)
	v_fmac_f32_e32 v12, v3, v4
	v_fmac_f32_e32 v18, v2, v164
	s_delay_alu instid0(VALU_DEP_2) | instskip(NEXT) | instid1(VALU_DEP_2)
	v_add_f32_e32 v72, v72, v12
	v_fmac_f32_e32 v18, v3, v163
	s_waitcnt vmcnt(0)
	v_add_f32_e32 v19, v19, v13
	scratch_load_b32 v13, off, s32 offset:576 ; 4-byte Folded Reload
	s_waitcnt vmcnt(0)
	v_add_f32_e32 v13, v13, v14
	v_mul_f32_e32 v14, v1, v112
	v_mul_f32_e32 v17, v1, v177
	s_clause 0x1
	scratch_store_b32 off, v19, s32 offset:568
	scratch_store_b32 off, v13, s32 offset:576
	v_fmac_f32_e32 v14, v0, v103
	v_fmac_f32_e32 v17, v0, v176
	scratch_load_b32 v13, off, s32 offset:584 ; 4-byte Folded Reload
	v_fmac_f32_e32 v14, v2, v102
	s_delay_alu instid0(VALU_DEP_1) | instskip(NEXT) | instid1(VALU_DEP_1)
	v_dual_fmac_f32 v17, v2, v23 :: v_dual_fmac_f32 v14, v3, v101
	v_fmac_f32_e32 v17, v3, v22
	s_waitcnt vmcnt(0)
	v_add_f32_e32 v13, v13, v15
	scratch_load_b32 v15, off, s32 offset:592 ; 4-byte Folded Reload
	s_waitcnt vmcnt(0)
	v_add_f32_e32 v15, v15, v16
	scratch_store_b32 off, v13, s32 offset:584 ; 4-byte Folded Spill
	v_mul_f32_e32 v13, v1, v24
	s_delay_alu instid0(VALU_DEP_1) | instskip(NEXT) | instid1(VALU_DEP_1)
	v_dual_mul_f32 v16, v1, v80 :: v_dual_fmac_f32 v13, v0, v115
	v_fmac_f32_e32 v16, v0, v71
	scratch_store_b32 off, v15, s32 offset:592 ; 4-byte Folded Spill
	scratch_load_b32 v15, off, s32 offset:600 ; 4-byte Folded Reload
	v_fmac_f32_e32 v13, v2, v114
	s_delay_alu instid0(VALU_DEP_1) | instskip(NEXT) | instid1(VALU_DEP_1)
	v_dual_fmac_f32 v16, v2, v70 :: v_dual_fmac_f32 v13, v3, v113
	v_fmac_f32_e32 v16, v3, v69
	s_waitcnt vmcnt(0)
	v_add_f32_e32 v15, v15, v17
	scratch_store_b32 off, v15, s32 offset:600 ; 4-byte Folded Spill
	scratch_load_b32 v15, off, s32 offset:608 ; 4-byte Folded Reload
	s_waitcnt vmcnt(0)
	v_add_f32_e32 v15, v15, v18
	scratch_load_b32 v18, off, s32 offset:632 ; 4-byte Folded Reload
	scratch_store_b32 off, v15, s32 offset:608 ; 4-byte Folded Spill
	scratch_load_b32 v15, off, s32 offset:616 ; 4-byte Folded Reload
	s_waitcnt vmcnt(0)
	v_add_f32_e32 v15, v15, v13
	scratch_load_b32 v13, off, s32 offset:624 ; 4-byte Folded Reload
	s_waitcnt vmcnt(0)
	v_add_f32_e32 v13, v13, v14
	v_mul_f32_e32 v14, v1, v96
	s_delay_alu instid0(VALU_DEP_1) | instskip(NEXT) | instid1(VALU_DEP_1)
	v_fmac_f32_e32 v14, v0, v87
	v_fmac_f32_e32 v14, v2, v86
	s_delay_alu instid0(VALU_DEP_1) | instskip(SKIP_4) | instid1(VALU_DEP_1)
	v_fmac_f32_e32 v14, v3, v85
	s_clause 0x1
	scratch_store_b32 off, v15, s32 offset:616
	scratch_store_b32 off, v13, s32 offset:624
	v_mul_f32_e32 v13, v1, v100
	v_fmac_f32_e32 v13, v0, v99
	s_delay_alu instid0(VALU_DEP_1) | instskip(NEXT) | instid1(VALU_DEP_1)
	v_fmac_f32_e32 v13, v2, v98
	v_fmac_f32_e32 v13, v3, v97
	s_delay_alu instid0(VALU_DEP_1)
	v_add_f32_e32 v18, v18, v13
	scratch_load_b32 v13, off, s32 offset:640 ; 4-byte Folded Reload
	scratch_store_b32 off, v18, s32 offset:632 ; 4-byte Folded Spill
	scratch_load_b32 v18, off, s32 offset:672 ; 4-byte Folded Reload
	s_waitcnt vmcnt(1)
	v_add_f32_e32 v13, v13, v14
	v_mul_f32_e32 v14, v1, v52
	v_mul_f32_e32 v15, v1, v84
	scratch_store_b32 off, v13, s32 offset:640 ; 4-byte Folded Spill
	v_fmac_f32_e32 v14, v0, v51
	scratch_load_b32 v13, off, s32 offset:648 ; 4-byte Folded Reload
	v_dual_fmac_f32 v15, v0, v83 :: v_dual_fmac_f32 v14, v2, v50
	s_delay_alu instid0(VALU_DEP_1) | instskip(NEXT) | instid1(VALU_DEP_1)
	v_dual_fmac_f32 v15, v2, v82 :: v_dual_fmac_f32 v14, v3, v49
	v_fmac_f32_e32 v15, v3, v81
	s_waitcnt vmcnt(0)
	s_delay_alu instid0(VALU_DEP_1)
	v_add_f32_e32 v13, v13, v15
	scratch_store_b32 off, v13, s32 offset:648 ; 4-byte Folded Spill
	scratch_load_b32 v13, off, s32 offset:656 ; 4-byte Folded Reload
	s_waitcnt vmcnt(0)
	v_add_f32_e32 v13, v13, v16
	v_mul_f32_e32 v16, v1, v36
	v_mul_f32_e32 v17, v1, v68
	scratch_store_b32 off, v13, s32 offset:656 ; 4-byte Folded Spill
	v_fmac_f32_e32 v16, v0, v26
	scratch_load_b32 v13, off, s32 offset:664 ; 4-byte Folded Reload
	v_dual_fmac_f32 v17, v0, v67 :: v_dual_fmac_f32 v16, v2, v34
	s_delay_alu instid0(VALU_DEP_1) | instskip(NEXT) | instid1(VALU_DEP_1)
	v_dual_fmac_f32 v17, v2, v66 :: v_dual_fmac_f32 v16, v3, v33
	v_fmac_f32_e32 v17, v3, v65
	s_waitcnt vmcnt(0)
	s_delay_alu instid0(VALU_DEP_1) | instskip(SKIP_2) | instid1(VALU_DEP_1)
	v_add_f32_e32 v13, v13, v17
	scratch_store_b32 off, v13, s32 offset:664 ; 4-byte Folded Spill
	v_mul_f32_e32 v13, v1, v64
	v_fmac_f32_e32 v13, v0, v55
	s_delay_alu instid0(VALU_DEP_1) | instskip(NEXT) | instid1(VALU_DEP_1)
	v_fmac_f32_e32 v13, v2, v54
	v_fmac_f32_e32 v13, v3, v53
	s_delay_alu instid0(VALU_DEP_1)
	v_dual_mul_f32 v15, v1, v48 :: v_dual_add_f32 v18, v18, v13
	scratch_load_b32 v13, off, s32 offset:680 ; 4-byte Folded Reload
	s_waitcnt vmcnt(0)
	v_add_f32_e32 v13, v13, v14
	scratch_store_b32 off, v18, s32 offset:672 ; 4-byte Folded Spill
	v_mul_f32_e32 v14, v1, v151
	scratch_load_b32 v18, off, s32 offset:536 ; 4-byte Folded Reload
	scratch_store_b32 off, v13, s32 offset:680 ; 4-byte Folded Spill
	scratch_load_b32 v13, off, s32 offset:688 ; 4-byte Folded Reload
	v_fmac_f32_e32 v14, v0, v150
	s_delay_alu instid0(VALU_DEP_1) | instskip(NEXT) | instid1(VALU_DEP_1)
	v_dual_fmac_f32 v14, v2, v149 :: v_dual_fmac_f32 v15, v0, v39
	v_dual_fmac_f32 v14, v3, v148 :: v_dual_fmac_f32 v15, v2, v38
	v_mul_f32_e32 v17, v1, v32
	s_delay_alu instid0(VALU_DEP_2) | instskip(SKIP_1) | instid1(VALU_DEP_1)
	v_fmac_f32_e32 v15, v3, v37
	s_waitcnt vmcnt(0)
	v_add_f32_e32 v13, v13, v15
	v_mul_f32_e32 v15, v1, v147
	scratch_store_b32 off, v13, s32 offset:688 ; 4-byte Folded Spill
	scratch_load_b32 v13, off, s32 offset:696 ; 4-byte Folded Reload
	s_waitcnt vmcnt(0)
	v_add_f32_e32 v13, v13, v16
	v_mul_f32_e32 v16, v1, v135
	scratch_store_b32 off, v13, s32 offset:696 ; 4-byte Folded Spill
	scratch_load_b32 v13, off, s32 offset:704 ; 4-byte Folded Reload
	v_fmac_f32_e32 v16, v0, v134
	s_delay_alu instid0(VALU_DEP_1) | instskip(NEXT) | instid1(VALU_DEP_1)
	v_dual_fmac_f32 v16, v2, v133 :: v_dual_fmac_f32 v17, v0, v31
	v_dual_fmac_f32 v16, v3, v132 :: v_dual_fmac_f32 v17, v2, v21
	s_delay_alu instid0(VALU_DEP_1) | instskip(SKIP_1) | instid1(VALU_DEP_1)
	v_fmac_f32_e32 v17, v3, v20
	s_waitcnt vmcnt(0)
	v_add_f32_e32 v13, v13, v17
	scratch_load_b32 v17, off, s32 offset:920 ; 4-byte Folded Reload
	scratch_store_b32 off, v13, s32 offset:704 ; 4-byte Folded Spill
	v_mul_f32_e32 v13, v1, v30
	s_delay_alu instid0(VALU_DEP_1) | instskip(NEXT) | instid1(VALU_DEP_1)
	v_fmac_f32_e32 v13, v0, v29
	v_fmac_f32_e32 v13, v2, v28
	s_delay_alu instid0(VALU_DEP_1)
	v_fmac_f32_e32 v13, v3, v7
	scratch_load_b32 v7, off, s32 offset:712 ; 4-byte Folded Reload
	s_waitcnt vmcnt(0)
	v_add_f32_e32 v7, v7, v13
	v_mul_f32_e32 v13, v1, v190
	scratch_store_b32 off, v7, s32 offset:712 ; 4-byte Folded Spill
	scratch_load_b32 v7, off, s32 offset:720 ; 4-byte Folded Reload
	v_fmac_f32_e32 v13, v0, v189
	s_delay_alu instid0(VALU_DEP_1) | instskip(NEXT) | instid1(VALU_DEP_1)
	v_fmac_f32_e32 v13, v2, v188
	v_fmac_f32_e32 v13, v3, v187
	;; [unrolled: 1-line block ×3, first 2 shown]
	s_delay_alu instid0(VALU_DEP_1) | instskip(NEXT) | instid1(VALU_DEP_1)
	v_fmac_f32_e32 v15, v2, v145
	v_fmac_f32_e32 v15, v3, v144
	s_waitcnt vmcnt(0)
	v_add_f32_e32 v7, v7, v6
	scratch_load_b32 v6, off, s32 offset:728 ; 4-byte Folded Reload
	s_waitcnt vmcnt(0)
	v_add_f32_e32 v6, v6, v14
	scratch_store_b32 off, v7, s32 offset:720 ; 4-byte Folded Spill
	v_mul_f32_e32 v7, v1, v118
	v_mul_f32_e32 v14, v1, v186
	scratch_store_b32 off, v6, s32 offset:728 ; 4-byte Folded Spill
	scratch_load_b32 v6, off, s32 offset:736 ; 4-byte Folded Reload
	v_fmac_f32_e32 v7, v0, v117
	v_fmac_f32_e32 v14, v0, v185
	s_delay_alu instid0(VALU_DEP_1) | instskip(NEXT) | instid1(VALU_DEP_1)
	v_fmac_f32_e32 v14, v2, v184
	v_fmac_f32_e32 v14, v3, v175
	s_waitcnt vmcnt(0)
	v_add_f32_e32 v6, v6, v15
	scratch_store_b32 off, v6, s32 offset:736 ; 4-byte Folded Spill
	scratch_load_b32 v6, off, s32 offset:744 ; 4-byte Folded Reload
	s_waitcnt vmcnt(0)
	v_add_f32_e32 v6, v6, v16
	scratch_load_b32 v16, off, s32 offset:752 ; 4-byte Folded Reload
	scratch_store_b32 off, v6, s32 offset:744 ; 4-byte Folded Spill
	v_mul_f32_e32 v6, v1, v131
	s_delay_alu instid0(VALU_DEP_1) | instskip(NEXT) | instid1(VALU_DEP_1)
	v_fmac_f32_e32 v6, v0, v130
	v_fmac_f32_e32 v6, v2, v129
	s_delay_alu instid0(VALU_DEP_1) | instskip(SKIP_1) | instid1(VALU_DEP_1)
	v_fmac_f32_e32 v6, v3, v128
	s_waitcnt vmcnt(0)
	v_add_f32_e32 v16, v16, v6
	scratch_load_b32 v6, off, s32 offset:760 ; 4-byte Folded Reload
	scratch_store_b32 off, v16, s32 offset:752 ; 4-byte Folded Spill
	scratch_load_b32 v16, off, s32 offset:792 ; 4-byte Folded Reload
	v_fmac_f32_e32 v7, v2, v25
	s_delay_alu instid0(VALU_DEP_1) | instskip(SKIP_1) | instid1(VALU_DEP_1)
	v_fmac_f32_e32 v7, v3, v191
	s_waitcnt vmcnt(1)
	v_dual_add_f32 v6, v6, v7 :: v_dual_mul_f32 v7, v1, v158
	scratch_store_b32 off, v6, s32 offset:760 ; 4-byte Folded Spill
	scratch_load_b32 v6, off, s32 offset:768 ; 4-byte Folded Reload
	v_fmac_f32_e32 v7, v0, v157
	s_delay_alu instid0(VALU_DEP_1) | instskip(NEXT) | instid1(VALU_DEP_1)
	v_fmac_f32_e32 v7, v2, v156
	v_fmac_f32_e32 v7, v3, v155
	s_waitcnt vmcnt(0)
	v_dual_mul_f32 v15, v1, v174 :: v_dual_add_f32 v6, v6, v13
	v_mul_f32_e32 v13, v1, v154
	scratch_store_b32 off, v6, s32 offset:768 ; 4-byte Folded Spill
	scratch_load_b32 v6, off, s32 offset:776 ; 4-byte Folded Reload
	v_fmac_f32_e32 v13, v0, v153
	s_delay_alu instid0(VALU_DEP_1) | instskip(SKIP_1) | instid1(VALU_DEP_1)
	v_fmac_f32_e32 v13, v2, v152
	s_waitcnt vmcnt(0)
	v_dual_fmac_f32 v13, v3, v143 :: v_dual_add_f32 v6, v6, v14
	v_mul_f32_e32 v14, v1, v142
	scratch_store_b32 off, v6, s32 offset:776 ; 4-byte Folded Spill
	scratch_load_b32 v6, off, s32 offset:784 ; 4-byte Folded Reload
	v_fmac_f32_e32 v14, v0, v141
	s_delay_alu instid0(VALU_DEP_1) | instskip(NEXT) | instid1(VALU_DEP_1)
	v_fmac_f32_e32 v14, v2, v140
	v_dual_fmac_f32 v14, v3, v139 :: v_dual_fmac_f32 v15, v0, v173
	s_delay_alu instid0(VALU_DEP_1) | instskip(NEXT) | instid1(VALU_DEP_1)
	v_fmac_f32_e32 v15, v2, v172
	v_fmac_f32_e32 v15, v3, v171
	s_waitcnt vmcnt(0)
	s_delay_alu instid0(VALU_DEP_1) | instskip(SKIP_2) | instid1(VALU_DEP_1)
	v_add_f32_e32 v6, v6, v15
	scratch_store_b32 off, v6, s32 offset:784 ; 4-byte Folded Spill
	v_mul_f32_e32 v6, v1, v170
	v_fmac_f32_e32 v6, v0, v169
	s_delay_alu instid0(VALU_DEP_1) | instskip(NEXT) | instid1(VALU_DEP_1)
	v_fmac_f32_e32 v6, v2, v168
	v_fmac_f32_e32 v6, v3, v159
	s_delay_alu instid0(VALU_DEP_1)
	v_add_f32_e32 v16, v16, v6
	scratch_load_b32 v6, off, s32 offset:800 ; 4-byte Folded Reload
	scratch_store_b32 off, v16, s32 offset:792 ; 4-byte Folded Spill
	scratch_load_b32 v16, off, s32 offset:912 ; 4-byte Folded Reload
	s_waitcnt vmcnt(1)
	v_dual_add_f32 v6, v6, v7 :: v_dual_mul_f32 v7, v1, v122
	scratch_store_b32 off, v6, s32 offset:800 ; 4-byte Folded Spill
	scratch_load_b32 v6, off, s32 offset:808 ; 4-byte Folded Reload
	v_fmac_f32_e32 v7, v0, v121
	s_delay_alu instid0(VALU_DEP_1) | instskip(SKIP_1) | instid1(VALU_DEP_1)
	v_fmac_f32_e32 v7, v2, v120
	s_waitcnt vmcnt(0)
	v_dual_fmac_f32 v7, v3, v111 :: v_dual_add_f32 v6, v6, v13
	v_mul_f32_e32 v13, v1, v110
	scratch_store_b32 off, v6, s32 offset:808 ; 4-byte Folded Spill
	scratch_load_b32 v6, off, s32 offset:816 ; 4-byte Folded Reload
	v_fmac_f32_e32 v13, v0, v109
	s_delay_alu instid0(VALU_DEP_1) | instskip(SKIP_1) | instid1(VALU_DEP_1)
	v_fmac_f32_e32 v13, v2, v108
	s_waitcnt vmcnt(0)
	v_dual_fmac_f32 v13, v3, v107 :: v_dual_add_f32 v6, v6, v14
	v_mul_f32_e32 v14, v1, v106
	scratch_store_b32 off, v6, s32 offset:816 ; 4-byte Folded Spill
	v_mul_f32_e32 v6, v1, v126
	v_fmac_f32_e32 v14, v0, v105
	s_delay_alu instid0(VALU_DEP_2) | instskip(NEXT) | instid1(VALU_DEP_2)
	v_fmac_f32_e32 v6, v0, v125
	v_dual_fmac_f32 v14, v2, v104 :: v_dual_mul_f32 v15, v1, v138
	s_delay_alu instid0(VALU_DEP_2) | instskip(NEXT) | instid1(VALU_DEP_2)
	v_fmac_f32_e32 v6, v2, v124
	v_fmac_f32_e32 v14, v3, v95
	s_delay_alu instid0(VALU_DEP_2) | instskip(NEXT) | instid1(VALU_DEP_1)
	v_fmac_f32_e32 v6, v3, v123
	v_add_f32_e32 v17, v17, v6
	scratch_load_b32 v6, off, s32 offset:824 ; 4-byte Folded Reload
	s_waitcnt vmcnt(0)
	v_dual_fmac_f32 v15, v0, v137 :: v_dual_add_f32 v6, v6, v7
	s_delay_alu instid0(VALU_DEP_1) | instskip(SKIP_3) | instid1(VALU_DEP_1)
	v_fmac_f32_e32 v15, v2, v136
	scratch_store_b32 off, v6, s32 offset:824 ; 4-byte Folded Spill
	scratch_load_b32 v6, off, s32 offset:832 ; 4-byte Folded Reload
	v_fmac_f32_e32 v15, v3, v127
	v_dual_add_f32 v16, v16, v15 :: v_dual_mul_f32 v15, v1, v94
	s_delay_alu instid0(VALU_DEP_1) | instskip(NEXT) | instid1(VALU_DEP_1)
	v_fmac_f32_e32 v15, v0, v93
	v_fmac_f32_e32 v15, v2, v92
	s_waitcnt vmcnt(0)
	s_delay_alu instid0(VALU_DEP_1)
	v_dual_fmac_f32 v15, v3, v91 :: v_dual_add_f32 v6, v6, v13
	v_mul_f32_e32 v13, v1, v74
	scratch_store_b32 off, v6, s32 offset:832 ; 4-byte Folded Spill
	scratch_load_b32 v6, off, s32 offset:840 ; 4-byte Folded Reload
	s_waitcnt vmcnt(0)
	v_dual_fmac_f32 v13, v0, v73 :: v_dual_add_f32 v6, v6, v14
	scratch_load_b32 v14, off, s32 offset:544 ; 4-byte Folded Reload
	scratch_store_b32 off, v6, s32 offset:840 ; 4-byte Folded Spill
	scratch_load_b32 v6, off, s32 offset:848 ; 4-byte Folded Reload
	s_waitcnt vmcnt(1)
	v_mul_f32_e32 v14, v1, v14
	s_waitcnt vmcnt(0)
	v_add_f32_e32 v6, v6, v15
	scratch_load_b32 v15, off, s32 offset:512 ; 4-byte Folded Reload
	v_fmac_f32_e32 v14, v0, v18
	scratch_load_b32 v18, off, s32 offset:504 ; 4-byte Folded Reload
	scratch_store_b32 off, v6, s32 offset:848 ; 4-byte Folded Spill
	v_mul_f32_e32 v6, v1, v90
	s_delay_alu instid0(VALU_DEP_1) | instskip(NEXT) | instid1(VALU_DEP_1)
	v_fmac_f32_e32 v6, v0, v89
	v_fmac_f32_e32 v6, v2, v88
	s_delay_alu instid0(VALU_DEP_1) | instskip(SKIP_3) | instid1(VALU_DEP_1)
	v_fmac_f32_e32 v6, v3, v79
	s_waitcnt vmcnt(1)
	v_mul_f32_e32 v15, v1, v15
	s_waitcnt vmcnt(0)
	v_fmac_f32_e32 v15, v0, v18
	scratch_load_b32 v18, off, s32 offset:560 ; 4-byte Folded Reload
	s_waitcnt vmcnt(0)
	v_fmac_f32_e32 v13, v2, v18
	scratch_load_b32 v18, off, s32 offset:528 ; 4-byte Folded Reload
	s_waitcnt vmcnt(0)
	v_fmac_f32_e32 v14, v2, v18
	scratch_load_b32 v18, off, s32 offset:496 ; 4-byte Folded Reload
	s_waitcnt vmcnt(0)
	v_fmac_f32_e32 v15, v2, v18
	scratch_load_b32 v18, off, s32 offset:552 ; 4-byte Folded Reload
	s_waitcnt vmcnt(0)
	v_fmac_f32_e32 v13, v3, v18
	scratch_load_b32 v18, off, s32 offset:520 ; 4-byte Folded Reload
	s_waitcnt vmcnt(0)
	v_fmac_f32_e32 v14, v3, v18
	scratch_load_b32 v18, off, s32 offset:488 ; 4-byte Folded Reload
	s_waitcnt vmcnt(0)
	v_fmac_f32_e32 v15, v3, v18
	scratch_load_b32 v18, off, s32 offset:856 ; 4-byte Folded Reload
	v_mul_f32_e32 v7, v1, v78
	s_delay_alu instid0(VALU_DEP_1) | instskip(NEXT) | instid1(VALU_DEP_1)
	v_fmac_f32_e32 v7, v0, v77
	v_fmac_f32_e32 v7, v2, v76
	s_waitcnt vmcnt(0)
	s_delay_alu instid0(VALU_DEP_1)
	v_dual_fmac_f32 v7, v3, v75 :: v_dual_add_f32 v18, v18, v6
	scratch_load_b32 v6, off, s32 offset:864 ; 4-byte Folded Reload
	s_waitcnt vmcnt(0)
	v_add_f32_e32 v6, v6, v7
	scratch_store_b32 off, v18, s32 offset:856 ; 4-byte Folded Spill
	scratch_load_b32 v7, off, s32 offset:456 ; 4-byte Folded Reload
	scratch_store_b32 off, v6, s32 offset:864 ; 4-byte Folded Spill
	scratch_load_b32 v6, off, s32 offset:872 ; 4-byte Folded Reload
	s_waitcnt vmcnt(0)
	v_add_f32_e32 v6, v6, v13
	scratch_load_b32 v13, off, s32 offset:424 ; 4-byte Folded Reload
	v_mul_f32_e32 v7, v1, v7
	scratch_store_b32 off, v6, s32 offset:872 ; 4-byte Folded Spill
	scratch_load_b32 v6, off, s32 offset:880 ; 4-byte Folded Reload
	s_waitcnt vmcnt(0)
	v_add_f32_e32 v6, v6, v14
	scratch_load_b32 v14, off, s32 offset:392 ; 4-byte Folded Reload
	v_mul_f32_e32 v13, v1, v13
	scratch_store_b32 off, v6, s32 offset:880 ; 4-byte Folded Spill
	scratch_load_b32 v6, off, s32 offset:888 ; 4-byte Folded Reload
	s_waitcnt vmcnt(1)
	v_mul_f32_e32 v14, v1, v14
	s_waitcnt vmcnt(0)
	v_add_f32_e32 v6, v6, v15
	scratch_store_b32 off, v6, s32 offset:888 ; 4-byte Folded Spill
	scratch_load_b32 v6, off, s32 offset:480 ; 4-byte Folded Reload
	s_waitcnt vmcnt(0)
	v_mul_f32_e32 v6, v1, v6
	scratch_load_b32 v1, off, s32 offset:336 ; 4-byte Folded Reload
	s_waitcnt vmcnt(0)
	v_fmac_f32_e32 v6, v0, v1
	scratch_load_b32 v1, off, s32 offset:448 ; 4-byte Folded Reload
	s_waitcnt vmcnt(0)
	v_fmac_f32_e32 v7, v0, v1
	;; [unrolled: 3-line block ×12, first 2 shown]
	scratch_load_b32 v0, off, s32 offset:928 ; 4-byte Folded Reload
	s_waitcnt vmcnt(0)
	v_add_f32_e32 v6, v0, v6
	scratch_load_b32 v0, off, s32 offset:936 ; 4-byte Folded Reload
	s_waitcnt vmcnt(0)
	v_add_f32_e32 v7, v0, v7
	;; [unrolled: 3-line block ×3, first 2 shown]
	scratch_load_b32 v13, off, s32 offset:944 ; 4-byte Folded Reload
	scratch_store_b32 off, v0, s32 offset:896 ; 4-byte Folded Spill
	s_waitcnt vmcnt(0)
	v_add_f32_e32 v13, v13, v14
.LBB268_1573:                           ;   in Loop: Header=BB268_1574 Depth=1
	s_or_b32 exec_lo, exec_lo, s13
	scratch_load_b64 v[0:1], off, s32 offset:328 ; 8-byte Folded Reload
	v_add_co_u32 v10, s0, v10, 16
	s_delay_alu instid0(VALU_DEP_1) | instskip(SKIP_1) | instid1(VALU_DEP_1)
	v_add_co_ci_u32_e64 v11, s0, 0, v11, s0
	v_dual_mov_b32 v5, v63 :: v_dual_add_nc_u32 v162, 0x200, v162
	v_add_nc_u32_e32 v5, 0x80, v5
	s_waitcnt vmcnt(0)
	v_mov_b32_e32 v1, v0
	s_delay_alu instid0(VALU_DEP_1) | instskip(NEXT) | instid1(VALU_DEP_1)
	v_add_nc_u32_e32 v1, 4, v1
	v_mov_b32_e32 v0, v1
	scratch_store_b64 off, v[0:1], s32 offset:328 ; 8-byte Folded Spill
	scratch_load_b32 v0, off, s32 offset:360 ; 4-byte Folded Reload
	s_waitcnt vmcnt(0)
	v_cmp_ge_i32_e32 vcc_lo, v1, v0
	s_or_b32 s12, vcc_lo, s12
	s_delay_alu instid0(SALU_CYCLE_1)
	s_and_not1_b32 exec_lo, exec_lo, s12
	s_cbranch_execz .LBB268_3207
.LBB268_1574:                           ; =>This Inner Loop Header: Depth=1
	s_clause 0x1
	scratch_load_b32 v1, off, s32 offset:364
	scratch_load_b32 v4, off, s32 offset:344
	s_waitcnt vmcnt(2)
	v_sub_nc_u32_e32 v0, 0, v5
	v_mov_b32_e32 v63, v5
	s_delay_alu instid0(VALU_DEP_2) | instskip(SKIP_1) | instid1(VALU_DEP_1)
	v_max_i32_e32 v0, v5, v0
	s_waitcnt vmcnt(1)
	v_mul_hi_u32 v1, v0, v1
	s_waitcnt vmcnt(0)
	s_delay_alu instid0(VALU_DEP_1) | instskip(NEXT) | instid1(VALU_DEP_1)
	v_mul_lo_u32 v2, v1, v4
	v_sub_nc_u32_e32 v0, v0, v2
	v_add_nc_u32_e32 v2, 1, v1
	s_delay_alu instid0(VALU_DEP_2) | instskip(SKIP_1) | instid1(VALU_DEP_1)
	v_cmp_ge_u32_e32 vcc_lo, v0, v4
	v_sub_nc_u32_e32 v3, v0, v4
	v_dual_cndmask_b32 v1, v1, v2 :: v_dual_cndmask_b32 v0, v0, v3
	v_ashrrev_i32_e32 v2, 31, v5
	scratch_load_b32 v5, off, s32 offset:356 ; 4-byte Folded Reload
	v_add_nc_u32_e32 v3, 1, v1
	v_cmp_ge_u32_e32 vcc_lo, v0, v4
	s_delay_alu instid0(VALU_DEP_2) | instskip(SKIP_3) | instid1(VALU_DEP_1)
	v_cndmask_b32_e32 v0, v1, v3, vcc_lo
	scratch_load_b32 v3, off, s32 offset:904 ; 4-byte Folded Reload
	s_waitcnt vmcnt(1)
	v_xor_b32_e32 v2, v2, v5
	v_xor_b32_e32 v0, v0, v2
	s_delay_alu instid0(VALU_DEP_1) | instskip(SKIP_3) | instid1(VALU_DEP_1)
	v_sub_nc_u32_e32 v0, v0, v2
	scratch_load_b64 v[1:2], off, s32 offset:348 ; 8-byte Folded Reload
	s_waitcnt vmcnt(0)
	v_add_nc_u32_e32 v1, v0, v1
	v_sub_nc_u32_e32 v2, 0, v1
	s_delay_alu instid0(VALU_DEP_1) | instskip(NEXT) | instid1(VALU_DEP_1)
	v_max_i32_e32 v2, v1, v2
	v_mul_hi_u32 v3, v2, v3
	s_delay_alu instid0(VALU_DEP_1) | instskip(NEXT) | instid1(VALU_DEP_1)
	v_mul_lo_u32 v3, v3, v116
	v_sub_nc_u32_e32 v2, v2, v3
	s_delay_alu instid0(VALU_DEP_1) | instskip(SKIP_1) | instid1(VALU_DEP_2)
	v_sub_nc_u32_e32 v3, v2, v116
	v_cmp_ge_u32_e32 vcc_lo, v2, v116
	v_cndmask_b32_e32 v2, v2, v3, vcc_lo
	v_ashrrev_i32_e32 v1, 31, v1
	s_delay_alu instid0(VALU_DEP_2) | instskip(SKIP_1) | instid1(VALU_DEP_2)
	v_sub_nc_u32_e32 v3, v2, v116
	v_cmp_ge_u32_e32 vcc_lo, v2, v116
	v_cndmask_b32_e32 v2, v2, v3, vcc_lo
	s_delay_alu instid0(VALU_DEP_1) | instskip(NEXT) | instid1(VALU_DEP_1)
	v_xor_b32_e32 v2, v2, v1
	v_sub_nc_u32_e32 v1, v2, v1
	s_delay_alu instid0(VALU_DEP_1) | instskip(SKIP_3) | instid1(VALU_DEP_1)
	v_cmp_eq_u32_e32 vcc_lo, 0, v1
	scratch_load_b32 v1, off, s32 offset:368 ; 4-byte Folded Reload
	s_waitcnt vmcnt(0)
	v_cmp_gt_i32_e64 s0, v0, v1
	s_or_b32 s0, vcc_lo, s0
	s_delay_alu instid0(SALU_CYCLE_1)
	s_and_saveexec_b32 s13, s0
	s_cbranch_execz .LBB268_1573
; %bb.1575:                             ;   in Loop: Header=BB268_1574 Depth=1
	s_clause 0x4
	scratch_store_b32 off, v13, s32 offset:944
	scratch_store_b32 off, v7, s32 offset:936
	;; [unrolled: 1-line block ×5, first 2 shown]
	flat_load_b32 v0, v[10:11]
	s_clause 0x1
	scratch_load_b32 v1, off, s32 offset:1200
	scratch_load_b64 v[2:3], off, s32 offset:952
	s_mov_b32 s0, exec_lo
	s_waitcnt vmcnt(0) lgkmcnt(0)
	v_mad_i64_i32 v[12:13], null, v0, v1, v[2:3]
	scratch_load_b32 v0, off, s32 offset:976 ; 4-byte Folded Reload
	s_waitcnt vmcnt(0)
	v_add_co_u32 v14, vcc_lo, v12, v0
	v_add_co_ci_u32_e32 v15, vcc_lo, 0, v13, vcc_lo
	flat_load_b32 v6, v[14:15]
	scratch_load_b64 v[0:1], off, s32 offset:1380 ; 8-byte Folded Reload
	v_mov_b32_e32 v16, 0
	v_mov_b32_e32 v17, 0
	s_delay_alu instid0(VALU_DEP_1)
	v_dual_mov_b32 v4, v16 :: v_dual_mov_b32 v5, v17
	s_waitcnt vmcnt(1) lgkmcnt(0)
	v_and_b32_e32 v7, 0xff, v6
	s_waitcnt vmcnt(0)
	flat_load_b32 v167, v[0:1]
	ds_load_b128 v[0:3], v162
	v_cmpx_ne_u16_e32 0, v7
	s_cbranch_execz .LBB268_1583
; %bb.1576:                             ;   in Loop: Header=BB268_1574 Depth=1
	v_bfrev_b32_e32 v4, 1
	v_mov_b32_e32 v5, 0
	s_mov_b32 s10, exec_lo
	v_cmpx_ne_u16_e32 0x80, v7
	s_cbranch_execz .LBB268_1582
; %bb.1577:                             ;   in Loop: Header=BB268_1574 Depth=1
	v_mov_b32_e32 v4, 0x7f800001
	v_and_b32_e32 v7, 0x7f, v6
	v_mov_b32_e32 v5, 0
	s_mov_b32 s15, exec_lo
	s_delay_alu instid0(VALU_DEP_2)
	v_cmpx_ne_u32_e32 0x7f, v7
	s_cbranch_execz .LBB268_1581
; %bb.1578:                             ;   in Loop: Header=BB268_1574 Depth=1
	v_and_b32_e32 v8, 7, v6
	v_lshrrev_b32_e32 v4, 3, v7
	s_mov_b32 s16, exec_lo
	v_cmpx_gt_u32_e32 8, v7
; %bb.1579:                             ;   in Loop: Header=BB268_1574 Depth=1
	s_delay_alu instid0(VALU_DEP_3) | instskip(NEXT) | instid1(VALU_DEP_1)
	v_clz_i32_u32_e32 v4, v8
	v_min_u32_e32 v4, 32, v4
	s_delay_alu instid0(VALU_DEP_1) | instskip(SKIP_1) | instid1(VALU_DEP_2)
	v_subrev_nc_u32_e32 v5, 28, v4
	v_sub_nc_u32_e32 v4, 29, v4
	v_lshlrev_b64 v[7:8], v5, v[8:9]
	s_delay_alu instid0(VALU_DEP_1)
	v_and_b32_e32 v8, 7, v7
; %bb.1580:                             ;   in Loop: Header=BB268_1574 Depth=1
	s_or_b32 exec_lo, exec_lo, s16
	v_lshlrev_b32_e32 v5, 24, v6
	s_delay_alu instid0(VALU_DEP_2) | instskip(SKIP_1) | instid1(VALU_DEP_3)
	v_lshlrev_b32_e32 v7, 20, v8
	v_lshl_add_u32 v4, v4, 23, 0x3c000000
	v_and_b32_e32 v5, 0x80000000, v5
	s_delay_alu instid0(VALU_DEP_1) | instskip(NEXT) | instid1(VALU_DEP_1)
	v_or3_b32 v8, v7, v5, v4
	v_dual_mov_b32 v4, v8 :: v_dual_mov_b32 v5, v9
.LBB268_1581:                           ;   in Loop: Header=BB268_1574 Depth=1
	s_or_b32 exec_lo, exec_lo, s15
.LBB268_1582:                           ;   in Loop: Header=BB268_1574 Depth=1
	s_delay_alu instid0(SALU_CYCLE_1)
	s_or_b32 exec_lo, exec_lo, s10
.LBB268_1583:                           ;   in Loop: Header=BB268_1574 Depth=1
	s_delay_alu instid0(SALU_CYCLE_1) | instskip(SKIP_2) | instid1(VALU_DEP_1)
	s_or_b32 exec_lo, exec_lo, s0
	v_lshrrev_b16 v7, 8, v6
	s_mov_b32 s0, exec_lo
	v_cmpx_ne_u16_e32 0, v7
	s_cbranch_execz .LBB268_1591
; %bb.1584:                             ;   in Loop: Header=BB268_1574 Depth=1
	v_dual_mov_b32 v17, s9 :: v_dual_mov_b32 v16, s8
	s_mov_b32 s15, exec_lo
	v_cmpx_ne_u16_e32 0x80, v7
	s_cbranch_execz .LBB268_1590
; %bb.1585:                             ;   in Loop: Header=BB268_1574 Depth=1
	s_mov_b32 s10, s8
	v_and_b32_e32 v7, 0xffff, v7
	v_dual_mov_b32 v17, s11 :: v_dual_mov_b32 v16, s10
	s_mov_b32 s10, exec_lo
	s_delay_alu instid0(VALU_DEP_2) | instskip(NEXT) | instid1(VALU_DEP_1)
	v_and_b32_e32 v18, 0x7f, v7
	v_cmpx_ne_u32_e32 0x7f, v18
	s_cbranch_execz .LBB268_1589
; %bb.1586:                             ;   in Loop: Header=BB268_1574 Depth=1
	v_and_b32_e32 v8, 7, v7
	v_lshrrev_b32_e32 v7, 3, v18
	s_mov_b32 s16, exec_lo
	v_cmpx_gt_u32_e32 8, v18
; %bb.1587:                             ;   in Loop: Header=BB268_1574 Depth=1
	s_delay_alu instid0(VALU_DEP_3) | instskip(NEXT) | instid1(VALU_DEP_1)
	v_clz_i32_u32_e32 v7, v8
	v_min_u32_e32 v7, 32, v7
	s_delay_alu instid0(VALU_DEP_1) | instskip(SKIP_1) | instid1(VALU_DEP_2)
	v_subrev_nc_u32_e32 v16, 28, v7
	v_sub_nc_u32_e32 v7, 29, v7
	v_lshlrev_b64 v[16:17], v16, v[8:9]
	s_delay_alu instid0(VALU_DEP_1)
	v_and_b32_e32 v8, 7, v16
; %bb.1588:                             ;   in Loop: Header=BB268_1574 Depth=1
	s_or_b32 exec_lo, exec_lo, s16
	v_lshlrev_b32_e32 v16, 16, v6
	s_delay_alu instid0(VALU_DEP_2) | instskip(SKIP_1) | instid1(VALU_DEP_3)
	v_lshlrev_b32_e32 v8, 20, v8
	v_lshl_add_u32 v7, v7, 23, 0x3c000000
	v_and_b32_e32 v16, 0x80000000, v16
	s_delay_alu instid0(VALU_DEP_1)
	v_or3_b32 v17, v8, v16, v7
	v_mov_b32_e32 v16, v9
.LBB268_1589:                           ;   in Loop: Header=BB268_1574 Depth=1
	s_or_b32 exec_lo, exec_lo, s10
.LBB268_1590:                           ;   in Loop: Header=BB268_1574 Depth=1
	s_delay_alu instid0(SALU_CYCLE_1)
	s_or_b32 exec_lo, exec_lo, s15
.LBB268_1591:                           ;   in Loop: Header=BB268_1574 Depth=1
	s_delay_alu instid0(SALU_CYCLE_1) | instskip(SKIP_4) | instid1(VALU_DEP_2)
	s_or_b32 exec_lo, exec_lo, s0
	v_mov_b32_e32 v20, 0
	v_lshrrev_b32_e32 v7, 16, v6
	v_mov_b32_e32 v21, 0
	s_mov_b32 s0, exec_lo
	v_and_b32_e32 v8, 0xff, v7
	s_delay_alu instid0(VALU_DEP_2) | instskip(NEXT) | instid1(VALU_DEP_2)
	v_dual_mov_b32 v18, v20 :: v_dual_mov_b32 v19, v21
	v_cmpx_ne_u16_e32 0, v8
	s_cbranch_execz .LBB268_1599
; %bb.1592:                             ;   in Loop: Header=BB268_1574 Depth=1
	v_bfrev_b32_e32 v18, 1
	v_mov_b32_e32 v19, 0
	s_mov_b32 s10, exec_lo
	v_cmpx_ne_u16_e32 0x80, v8
	s_cbranch_execz .LBB268_1598
; %bb.1593:                             ;   in Loop: Header=BB268_1574 Depth=1
	v_mov_b32_e32 v18, 0x7f800001
	v_bfe_u32 v22, v6, 16, 7
	v_mov_b32_e32 v19, 0
	s_mov_b32 s15, exec_lo
	s_delay_alu instid0(VALU_DEP_2)
	v_cmpx_ne_u32_e32 0x7f, v22
	s_cbranch_execz .LBB268_1597
; %bb.1594:                             ;   in Loop: Header=BB268_1574 Depth=1
	v_and_b32_e32 v8, 7, v7
	v_lshrrev_b32_e32 v18, 3, v22
	s_mov_b32 s16, exec_lo
	v_cmpx_gt_u32_e32 8, v22
; %bb.1595:                             ;   in Loop: Header=BB268_1574 Depth=1
	s_delay_alu instid0(VALU_DEP_3) | instskip(NEXT) | instid1(VALU_DEP_1)
	v_clz_i32_u32_e32 v18, v8
	v_min_u32_e32 v18, 32, v18
	s_delay_alu instid0(VALU_DEP_1) | instskip(SKIP_1) | instid1(VALU_DEP_2)
	v_subrev_nc_u32_e32 v19, 28, v18
	v_sub_nc_u32_e32 v18, 29, v18
	v_lshlrev_b64 v[22:23], v19, v[8:9]
	s_delay_alu instid0(VALU_DEP_1)
	v_and_b32_e32 v8, 7, v22
; %bb.1596:                             ;   in Loop: Header=BB268_1574 Depth=1
	s_or_b32 exec_lo, exec_lo, s16
	v_lshlrev_b32_e32 v7, 24, v7
	s_delay_alu instid0(VALU_DEP_2) | instskip(SKIP_1) | instid1(VALU_DEP_3)
	v_lshlrev_b32_e32 v8, 20, v8
	v_lshl_add_u32 v18, v18, 23, 0x3c000000
	v_and_b32_e32 v7, 0x80000000, v7
	s_delay_alu instid0(VALU_DEP_1) | instskip(NEXT) | instid1(VALU_DEP_1)
	v_or3_b32 v8, v8, v7, v18
	v_dual_mov_b32 v19, v9 :: v_dual_mov_b32 v18, v8
.LBB268_1597:                           ;   in Loop: Header=BB268_1574 Depth=1
	s_or_b32 exec_lo, exec_lo, s15
.LBB268_1598:                           ;   in Loop: Header=BB268_1574 Depth=1
	s_delay_alu instid0(SALU_CYCLE_1)
	s_or_b32 exec_lo, exec_lo, s10
.LBB268_1599:                           ;   in Loop: Header=BB268_1574 Depth=1
	s_delay_alu instid0(SALU_CYCLE_1) | instskip(NEXT) | instid1(SALU_CYCLE_1)
	s_or_b32 exec_lo, exec_lo, s0
	s_mov_b32 s0, exec_lo
	v_cmpx_lt_u32_e32 0xffffff, v6
	s_cbranch_execz .LBB268_1607
; %bb.1600:                             ;   in Loop: Header=BB268_1574 Depth=1
	v_lshrrev_b32_e32 v7, 24, v6
	v_dual_mov_b32 v21, s9 :: v_dual_mov_b32 v20, s8
	s_mov_b32 s15, exec_lo
	s_delay_alu instid0(VALU_DEP_2)
	v_cmpx_ne_u32_e32 0x80, v7
	s_cbranch_execz .LBB268_1606
; %bb.1601:                             ;   in Loop: Header=BB268_1574 Depth=1
	s_mov_b32 s10, s8
	v_bfe_u32 v22, v6, 24, 7
	v_dual_mov_b32 v21, s11 :: v_dual_mov_b32 v20, s10
	s_mov_b32 s10, exec_lo
	s_delay_alu instid0(VALU_DEP_2)
	v_cmpx_ne_u32_e32 0x7f, v22
	s_cbranch_execz .LBB268_1605
; %bb.1602:                             ;   in Loop: Header=BB268_1574 Depth=1
	v_and_b32_e32 v8, 7, v7
	v_lshrrev_b32_e32 v6, 3, v22
	s_mov_b32 s16, exec_lo
	v_cmpx_gt_u32_e32 8, v22
; %bb.1603:                             ;   in Loop: Header=BB268_1574 Depth=1
	s_delay_alu instid0(VALU_DEP_3) | instskip(NEXT) | instid1(VALU_DEP_1)
	v_clz_i32_u32_e32 v6, v8
	v_min_u32_e32 v6, 32, v6
	s_delay_alu instid0(VALU_DEP_1) | instskip(SKIP_1) | instid1(VALU_DEP_2)
	v_subrev_nc_u32_e32 v20, 28, v6
	v_sub_nc_u32_e32 v6, 29, v6
	v_lshlrev_b64 v[20:21], v20, v[8:9]
	s_delay_alu instid0(VALU_DEP_1)
	v_and_b32_e32 v8, 7, v20
; %bb.1604:                             ;   in Loop: Header=BB268_1574 Depth=1
	s_or_b32 exec_lo, exec_lo, s16
	v_dual_mov_b32 v20, v9 :: v_dual_lshlrev_b32 v7, 24, v7
	s_delay_alu instid0(VALU_DEP_2) | instskip(SKIP_1) | instid1(VALU_DEP_3)
	v_lshlrev_b32_e32 v8, 20, v8
	v_lshl_add_u32 v6, v6, 23, 0x3c000000
	v_and_b32_e32 v7, 0x80000000, v7
	s_delay_alu instid0(VALU_DEP_1)
	v_or3_b32 v21, v8, v7, v6
.LBB268_1605:                           ;   in Loop: Header=BB268_1574 Depth=1
	s_or_b32 exec_lo, exec_lo, s10
.LBB268_1606:                           ;   in Loop: Header=BB268_1574 Depth=1
	s_delay_alu instid0(SALU_CYCLE_1)
	s_or_b32 exec_lo, exec_lo, s15
.LBB268_1607:                           ;   in Loop: Header=BB268_1574 Depth=1
	s_delay_alu instid0(SALU_CYCLE_1)
	s_or_b32 exec_lo, exec_lo, s0
	scratch_load_b32 v6, off, s32 offset:968 ; 4-byte Folded Reload
	v_or_b32_e32 v5, v17, v5
	v_or_b32_e32 v4, v16, v4
	s_clause 0x1
	scratch_load_b64 v[16:17], off, s32 offset:328
	scratch_load_b32 v8, off, s32 offset:960
	v_or_b32_e32 v7, v20, v18
	s_waitcnt vmcnt(3) lgkmcnt(1)
	v_mul_f32_e32 v5, v167, v5
	v_mul_f32_e32 v4, v167, v4
	scratch_store_b32 off, v4, s32 offset:384 ; 4-byte Folded Spill
	s_waitcnt vmcnt(2)
	v_add_nc_u32_e32 v180, v6, v63
	v_or_b32_e32 v6, v21, v19
	s_waitcnt vmcnt(0)
	v_cmp_eq_u32_e32 vcc_lo, v8, v16
	s_delay_alu instid0(VALU_DEP_2)
	v_dual_mul_f32 v4, v167, v6 :: v_dual_add_nc_u32 v183, 1, v180
	scratch_store_b32 off, v5, s32 offset:392 ; 4-byte Folded Spill
	v_add_nc_u32_e32 v182, 2, v180
	v_add_nc_u32_e32 v181, 3, v180
	scratch_store_b32 off, v4, s32 offset:372 ; 4-byte Folded Spill
	v_mul_f32_e32 v4, v167, v7
	scratch_store_b32 off, v4, s32 offset:376 ; 4-byte Folded Spill
	s_and_saveexec_b32 s10, vcc_lo
	s_cbranch_execz .LBB268_1609
; %bb.1608:                             ;   in Loop: Header=BB268_1574 Depth=1
	scratch_load_b32 v4, off, s32 offset:384 ; 4-byte Folded Reload
	v_cmp_lt_i32_e64 s0, v180, v35
	s_waitcnt vmcnt(0)
	s_delay_alu instid0(VALU_DEP_1)
	v_cndmask_b32_e64 v4, 0, v4, s0
	v_cmp_lt_i32_e64 s0, v183, v35
	scratch_store_b32 off, v4, s32 offset:384 ; 4-byte Folded Spill
	scratch_load_b32 v4, off, s32 offset:392 ; 4-byte Folded Reload
	s_waitcnt vmcnt(0)
	v_cndmask_b32_e64 v4, 0, v4, s0
	v_cmp_lt_i32_e64 s0, v182, v35
	scratch_store_b32 off, v4, s32 offset:392 ; 4-byte Folded Spill
	scratch_load_b32 v4, off, s32 offset:376 ; 4-byte Folded Reload
	s_waitcnt vmcnt(0)
	;; [unrolled: 5-line block ×3, first 2 shown]
	v_cndmask_b32_e64 v4, 0, v4, s0
	scratch_store_b32 off, v4, s32 offset:372 ; 4-byte Folded Spill
.LBB268_1609:                           ;   in Loop: Header=BB268_1574 Depth=1
	s_or_b32 exec_lo, exec_lo, s10
	flat_load_b32 v6, v[14:15] offset:128
	v_mov_b32_e32 v16, 0
	v_mov_b32_e32 v17, 0
	s_delay_alu instid0(VALU_DEP_2) | instskip(SKIP_1) | instid1(VALU_DEP_2)
	v_mov_b32_e32 v4, v16
	s_mov_b32 s10, exec_lo
	v_mov_b32_e32 v5, v17
	s_waitcnt vmcnt(0) lgkmcnt(0)
	v_and_b32_e32 v7, 0xff, v6
	s_delay_alu instid0(VALU_DEP_1)
	v_cmpx_ne_u16_e32 0, v7
	s_cbranch_execz .LBB268_1617
; %bb.1610:                             ;   in Loop: Header=BB268_1574 Depth=1
	v_bfrev_b32_e32 v4, 1
	v_mov_b32_e32 v5, 0
	s_mov_b32 s15, exec_lo
	v_cmpx_ne_u16_e32 0x80, v7
	s_cbranch_execz .LBB268_1616
; %bb.1611:                             ;   in Loop: Header=BB268_1574 Depth=1
	v_mov_b32_e32 v4, 0x7f800001
	v_and_b32_e32 v7, 0x7f, v6
	v_mov_b32_e32 v5, 0
	s_mov_b32 s16, exec_lo
	s_delay_alu instid0(VALU_DEP_2)
	v_cmpx_ne_u32_e32 0x7f, v7
	s_cbranch_execz .LBB268_1615
; %bb.1612:                             ;   in Loop: Header=BB268_1574 Depth=1
	v_and_b32_e32 v8, 7, v6
	v_lshrrev_b32_e32 v4, 3, v7
	s_mov_b32 s17, exec_lo
	v_cmpx_gt_u32_e32 8, v7
; %bb.1613:                             ;   in Loop: Header=BB268_1574 Depth=1
	s_delay_alu instid0(VALU_DEP_3) | instskip(NEXT) | instid1(VALU_DEP_1)
	v_clz_i32_u32_e32 v4, v8
	v_min_u32_e32 v4, 32, v4
	s_delay_alu instid0(VALU_DEP_1) | instskip(SKIP_1) | instid1(VALU_DEP_2)
	v_subrev_nc_u32_e32 v5, 28, v4
	v_sub_nc_u32_e32 v4, 29, v4
	v_lshlrev_b64 v[7:8], v5, v[8:9]
	s_delay_alu instid0(VALU_DEP_1)
	v_and_b32_e32 v8, 7, v7
; %bb.1614:                             ;   in Loop: Header=BB268_1574 Depth=1
	s_or_b32 exec_lo, exec_lo, s17
	v_lshlrev_b32_e32 v5, 24, v6
	s_delay_alu instid0(VALU_DEP_2) | instskip(SKIP_1) | instid1(VALU_DEP_3)
	v_lshlrev_b32_e32 v7, 20, v8
	v_lshl_add_u32 v4, v4, 23, 0x3c000000
	v_and_b32_e32 v5, 0x80000000, v5
	s_delay_alu instid0(VALU_DEP_1) | instskip(NEXT) | instid1(VALU_DEP_1)
	v_or3_b32 v8, v7, v5, v4
	v_dual_mov_b32 v4, v8 :: v_dual_mov_b32 v5, v9
.LBB268_1615:                           ;   in Loop: Header=BB268_1574 Depth=1
	s_or_b32 exec_lo, exec_lo, s16
.LBB268_1616:                           ;   in Loop: Header=BB268_1574 Depth=1
	s_delay_alu instid0(SALU_CYCLE_1)
	s_or_b32 exec_lo, exec_lo, s15
.LBB268_1617:                           ;   in Loop: Header=BB268_1574 Depth=1
	s_delay_alu instid0(SALU_CYCLE_1) | instskip(SKIP_2) | instid1(VALU_DEP_1)
	s_or_b32 exec_lo, exec_lo, s10
	v_lshrrev_b16 v7, 8, v6
	s_mov_b32 s15, exec_lo
	v_cmpx_ne_u16_e32 0, v7
	s_cbranch_execz .LBB268_1625
; %bb.1618:                             ;   in Loop: Header=BB268_1574 Depth=1
	v_dual_mov_b32 v17, s9 :: v_dual_mov_b32 v16, s8
	s_mov_b32 s16, exec_lo
	v_cmpx_ne_u16_e32 0x80, v7
	s_cbranch_execz .LBB268_1624
; %bb.1619:                             ;   in Loop: Header=BB268_1574 Depth=1
	s_mov_b32 s10, s8
	v_and_b32_e32 v7, 0xffff, v7
	v_dual_mov_b32 v17, s11 :: v_dual_mov_b32 v16, s10
	s_mov_b32 s10, exec_lo
	s_delay_alu instid0(VALU_DEP_2) | instskip(NEXT) | instid1(VALU_DEP_1)
	v_and_b32_e32 v18, 0x7f, v7
	v_cmpx_ne_u32_e32 0x7f, v18
	s_cbranch_execz .LBB268_1623
; %bb.1620:                             ;   in Loop: Header=BB268_1574 Depth=1
	v_and_b32_e32 v8, 7, v7
	v_lshrrev_b32_e32 v7, 3, v18
	s_mov_b32 s17, exec_lo
	v_cmpx_gt_u32_e32 8, v18
; %bb.1621:                             ;   in Loop: Header=BB268_1574 Depth=1
	s_delay_alu instid0(VALU_DEP_3) | instskip(NEXT) | instid1(VALU_DEP_1)
	v_clz_i32_u32_e32 v7, v8
	v_min_u32_e32 v7, 32, v7
	s_delay_alu instid0(VALU_DEP_1) | instskip(SKIP_1) | instid1(VALU_DEP_2)
	v_subrev_nc_u32_e32 v16, 28, v7
	v_sub_nc_u32_e32 v7, 29, v7
	v_lshlrev_b64 v[16:17], v16, v[8:9]
	s_delay_alu instid0(VALU_DEP_1)
	v_and_b32_e32 v8, 7, v16
; %bb.1622:                             ;   in Loop: Header=BB268_1574 Depth=1
	s_or_b32 exec_lo, exec_lo, s17
	v_lshlrev_b32_e32 v16, 16, v6
	s_delay_alu instid0(VALU_DEP_2) | instskip(SKIP_1) | instid1(VALU_DEP_3)
	v_lshlrev_b32_e32 v8, 20, v8
	v_lshl_add_u32 v7, v7, 23, 0x3c000000
	v_and_b32_e32 v16, 0x80000000, v16
	s_delay_alu instid0(VALU_DEP_1)
	v_or3_b32 v17, v8, v16, v7
	v_mov_b32_e32 v16, v9
.LBB268_1623:                           ;   in Loop: Header=BB268_1574 Depth=1
	s_or_b32 exec_lo, exec_lo, s10
.LBB268_1624:                           ;   in Loop: Header=BB268_1574 Depth=1
	s_delay_alu instid0(SALU_CYCLE_1)
	s_or_b32 exec_lo, exec_lo, s16
.LBB268_1625:                           ;   in Loop: Header=BB268_1574 Depth=1
	s_delay_alu instid0(SALU_CYCLE_1) | instskip(SKIP_4) | instid1(VALU_DEP_2)
	s_or_b32 exec_lo, exec_lo, s15
	v_mov_b32_e32 v20, 0
	v_lshrrev_b32_e32 v7, 16, v6
	v_mov_b32_e32 v21, 0
	s_mov_b32 s10, exec_lo
	v_and_b32_e32 v8, 0xff, v7
	s_delay_alu instid0(VALU_DEP_2) | instskip(NEXT) | instid1(VALU_DEP_2)
	v_dual_mov_b32 v18, v20 :: v_dual_mov_b32 v19, v21
	v_cmpx_ne_u16_e32 0, v8
	s_cbranch_execz .LBB268_1633
; %bb.1626:                             ;   in Loop: Header=BB268_1574 Depth=1
	v_bfrev_b32_e32 v18, 1
	v_mov_b32_e32 v19, 0
	s_mov_b32 s15, exec_lo
	v_cmpx_ne_u16_e32 0x80, v8
	s_cbranch_execz .LBB268_1632
; %bb.1627:                             ;   in Loop: Header=BB268_1574 Depth=1
	v_mov_b32_e32 v18, 0x7f800001
	v_bfe_u32 v22, v6, 16, 7
	v_mov_b32_e32 v19, 0
	s_mov_b32 s16, exec_lo
	s_delay_alu instid0(VALU_DEP_2)
	v_cmpx_ne_u32_e32 0x7f, v22
	s_cbranch_execz .LBB268_1631
; %bb.1628:                             ;   in Loop: Header=BB268_1574 Depth=1
	v_and_b32_e32 v8, 7, v7
	v_lshrrev_b32_e32 v18, 3, v22
	s_mov_b32 s17, exec_lo
	v_cmpx_gt_u32_e32 8, v22
; %bb.1629:                             ;   in Loop: Header=BB268_1574 Depth=1
	s_delay_alu instid0(VALU_DEP_3) | instskip(NEXT) | instid1(VALU_DEP_1)
	v_clz_i32_u32_e32 v18, v8
	v_min_u32_e32 v18, 32, v18
	s_delay_alu instid0(VALU_DEP_1) | instskip(SKIP_1) | instid1(VALU_DEP_2)
	v_subrev_nc_u32_e32 v19, 28, v18
	v_sub_nc_u32_e32 v18, 29, v18
	v_lshlrev_b64 v[22:23], v19, v[8:9]
	s_delay_alu instid0(VALU_DEP_1)
	v_and_b32_e32 v8, 7, v22
; %bb.1630:                             ;   in Loop: Header=BB268_1574 Depth=1
	s_or_b32 exec_lo, exec_lo, s17
	v_lshlrev_b32_e32 v7, 24, v7
	s_delay_alu instid0(VALU_DEP_2) | instskip(SKIP_1) | instid1(VALU_DEP_3)
	v_lshlrev_b32_e32 v8, 20, v8
	v_lshl_add_u32 v18, v18, 23, 0x3c000000
	v_and_b32_e32 v7, 0x80000000, v7
	s_delay_alu instid0(VALU_DEP_1) | instskip(NEXT) | instid1(VALU_DEP_1)
	v_or3_b32 v8, v8, v7, v18
	v_dual_mov_b32 v19, v9 :: v_dual_mov_b32 v18, v8
.LBB268_1631:                           ;   in Loop: Header=BB268_1574 Depth=1
	s_or_b32 exec_lo, exec_lo, s16
.LBB268_1632:                           ;   in Loop: Header=BB268_1574 Depth=1
	s_delay_alu instid0(SALU_CYCLE_1)
	s_or_b32 exec_lo, exec_lo, s15
.LBB268_1633:                           ;   in Loop: Header=BB268_1574 Depth=1
	s_delay_alu instid0(SALU_CYCLE_1) | instskip(NEXT) | instid1(SALU_CYCLE_1)
	s_or_b32 exec_lo, exec_lo, s10
	s_mov_b32 s15, exec_lo
	v_cmpx_lt_u32_e32 0xffffff, v6
	s_cbranch_execz .LBB268_1641
; %bb.1634:                             ;   in Loop: Header=BB268_1574 Depth=1
	v_lshrrev_b32_e32 v7, 24, v6
	v_dual_mov_b32 v21, s9 :: v_dual_mov_b32 v20, s8
	s_mov_b32 s16, exec_lo
	s_delay_alu instid0(VALU_DEP_2)
	v_cmpx_ne_u32_e32 0x80, v7
	s_cbranch_execz .LBB268_1640
; %bb.1635:                             ;   in Loop: Header=BB268_1574 Depth=1
	s_mov_b32 s10, s8
	v_bfe_u32 v22, v6, 24, 7
	v_dual_mov_b32 v21, s11 :: v_dual_mov_b32 v20, s10
	s_mov_b32 s10, exec_lo
	s_delay_alu instid0(VALU_DEP_2)
	v_cmpx_ne_u32_e32 0x7f, v22
	s_cbranch_execz .LBB268_1639
; %bb.1636:                             ;   in Loop: Header=BB268_1574 Depth=1
	v_and_b32_e32 v8, 7, v7
	v_lshrrev_b32_e32 v6, 3, v22
	s_mov_b32 s17, exec_lo
	v_cmpx_gt_u32_e32 8, v22
; %bb.1637:                             ;   in Loop: Header=BB268_1574 Depth=1
	s_delay_alu instid0(VALU_DEP_3) | instskip(NEXT) | instid1(VALU_DEP_1)
	v_clz_i32_u32_e32 v6, v8
	v_min_u32_e32 v6, 32, v6
	s_delay_alu instid0(VALU_DEP_1) | instskip(SKIP_1) | instid1(VALU_DEP_2)
	v_subrev_nc_u32_e32 v20, 28, v6
	v_sub_nc_u32_e32 v6, 29, v6
	v_lshlrev_b64 v[20:21], v20, v[8:9]
	s_delay_alu instid0(VALU_DEP_1)
	v_and_b32_e32 v8, 7, v20
; %bb.1638:                             ;   in Loop: Header=BB268_1574 Depth=1
	s_or_b32 exec_lo, exec_lo, s17
	v_dual_mov_b32 v20, v9 :: v_dual_lshlrev_b32 v7, 24, v7
	s_delay_alu instid0(VALU_DEP_2) | instskip(SKIP_1) | instid1(VALU_DEP_3)
	v_lshlrev_b32_e32 v8, 20, v8
	v_lshl_add_u32 v6, v6, 23, 0x3c000000
	v_and_b32_e32 v7, 0x80000000, v7
	s_delay_alu instid0(VALU_DEP_1)
	v_or3_b32 v21, v8, v7, v6
.LBB268_1639:                           ;   in Loop: Header=BB268_1574 Depth=1
	s_or_b32 exec_lo, exec_lo, s10
.LBB268_1640:                           ;   in Loop: Header=BB268_1574 Depth=1
	s_delay_alu instid0(SALU_CYCLE_1)
	s_or_b32 exec_lo, exec_lo, s16
.LBB268_1641:                           ;   in Loop: Header=BB268_1574 Depth=1
	s_delay_alu instid0(SALU_CYCLE_1) | instskip(SKIP_4) | instid1(VALU_DEP_4)
	s_or_b32 exec_lo, exec_lo, s15
	v_or_b32_e32 v4, v16, v4
	v_or_b32_e32 v5, v17, v5
	;; [unrolled: 1-line block ×4, first 2 shown]
	v_mul_f32_e32 v4, v167, v4
	s_delay_alu instid0(VALU_DEP_4)
	v_mul_f32_e32 v5, v167, v5
	scratch_store_b32 off, v4, s32 offset:416 ; 4-byte Folded Spill
	v_mul_f32_e32 v4, v167, v6
	s_clause 0x1
	scratch_store_b32 off, v5, s32 offset:424
	scratch_store_b32 off, v4, s32 offset:400
	v_mul_f32_e32 v4, v167, v7
	scratch_store_b32 off, v4, s32 offset:408 ; 4-byte Folded Spill
	s_and_saveexec_b32 s10, vcc_lo
	s_cbranch_execz .LBB268_1643
; %bb.1642:                             ;   in Loop: Header=BB268_1574 Depth=1
	scratch_load_b32 v4, off, s32 offset:416 ; 4-byte Folded Reload
	v_cmp_lt_i32_e64 s0, v180, v35
	s_waitcnt vmcnt(0)
	s_delay_alu instid0(VALU_DEP_1)
	v_cndmask_b32_e64 v4, 0, v4, s0
	v_cmp_lt_i32_e64 s0, v183, v35
	scratch_store_b32 off, v4, s32 offset:416 ; 4-byte Folded Spill
	scratch_load_b32 v4, off, s32 offset:424 ; 4-byte Folded Reload
	s_waitcnt vmcnt(0)
	v_cndmask_b32_e64 v4, 0, v4, s0
	v_cmp_lt_i32_e64 s0, v182, v35
	scratch_store_b32 off, v4, s32 offset:424 ; 4-byte Folded Spill
	scratch_load_b32 v4, off, s32 offset:408 ; 4-byte Folded Reload
	s_waitcnt vmcnt(0)
	;; [unrolled: 5-line block ×3, first 2 shown]
	v_cndmask_b32_e64 v4, 0, v4, s0
	scratch_store_b32 off, v4, s32 offset:400 ; 4-byte Folded Spill
.LBB268_1643:                           ;   in Loop: Header=BB268_1574 Depth=1
	s_or_b32 exec_lo, exec_lo, s10
	flat_load_b32 v6, v[14:15] offset:256
	v_mov_b32_e32 v16, 0
	v_mov_b32_e32 v17, 0
	s_delay_alu instid0(VALU_DEP_2) | instskip(SKIP_1) | instid1(VALU_DEP_2)
	v_mov_b32_e32 v4, v16
	s_mov_b32 s10, exec_lo
	v_mov_b32_e32 v5, v17
	s_waitcnt vmcnt(0) lgkmcnt(0)
	v_and_b32_e32 v7, 0xff, v6
	s_delay_alu instid0(VALU_DEP_1)
	v_cmpx_ne_u16_e32 0, v7
	s_cbranch_execz .LBB268_1651
; %bb.1644:                             ;   in Loop: Header=BB268_1574 Depth=1
	v_bfrev_b32_e32 v4, 1
	v_mov_b32_e32 v5, 0
	s_mov_b32 s15, exec_lo
	v_cmpx_ne_u16_e32 0x80, v7
	s_cbranch_execz .LBB268_1650
; %bb.1645:                             ;   in Loop: Header=BB268_1574 Depth=1
	v_mov_b32_e32 v4, 0x7f800001
	v_and_b32_e32 v7, 0x7f, v6
	v_mov_b32_e32 v5, 0
	s_mov_b32 s16, exec_lo
	s_delay_alu instid0(VALU_DEP_2)
	v_cmpx_ne_u32_e32 0x7f, v7
	s_cbranch_execz .LBB268_1649
; %bb.1646:                             ;   in Loop: Header=BB268_1574 Depth=1
	v_and_b32_e32 v8, 7, v6
	v_lshrrev_b32_e32 v4, 3, v7
	s_mov_b32 s17, exec_lo
	v_cmpx_gt_u32_e32 8, v7
; %bb.1647:                             ;   in Loop: Header=BB268_1574 Depth=1
	s_delay_alu instid0(VALU_DEP_3) | instskip(NEXT) | instid1(VALU_DEP_1)
	v_clz_i32_u32_e32 v4, v8
	v_min_u32_e32 v4, 32, v4
	s_delay_alu instid0(VALU_DEP_1) | instskip(SKIP_1) | instid1(VALU_DEP_2)
	v_subrev_nc_u32_e32 v5, 28, v4
	v_sub_nc_u32_e32 v4, 29, v4
	v_lshlrev_b64 v[7:8], v5, v[8:9]
	s_delay_alu instid0(VALU_DEP_1)
	v_and_b32_e32 v8, 7, v7
; %bb.1648:                             ;   in Loop: Header=BB268_1574 Depth=1
	s_or_b32 exec_lo, exec_lo, s17
	v_lshlrev_b32_e32 v5, 24, v6
	s_delay_alu instid0(VALU_DEP_2) | instskip(SKIP_1) | instid1(VALU_DEP_3)
	v_lshlrev_b32_e32 v7, 20, v8
	v_lshl_add_u32 v4, v4, 23, 0x3c000000
	v_and_b32_e32 v5, 0x80000000, v5
	s_delay_alu instid0(VALU_DEP_1) | instskip(NEXT) | instid1(VALU_DEP_1)
	v_or3_b32 v8, v7, v5, v4
	v_dual_mov_b32 v4, v8 :: v_dual_mov_b32 v5, v9
.LBB268_1649:                           ;   in Loop: Header=BB268_1574 Depth=1
	s_or_b32 exec_lo, exec_lo, s16
.LBB268_1650:                           ;   in Loop: Header=BB268_1574 Depth=1
	s_delay_alu instid0(SALU_CYCLE_1)
	s_or_b32 exec_lo, exec_lo, s15
.LBB268_1651:                           ;   in Loop: Header=BB268_1574 Depth=1
	s_delay_alu instid0(SALU_CYCLE_1) | instskip(SKIP_2) | instid1(VALU_DEP_1)
	s_or_b32 exec_lo, exec_lo, s10
	v_lshrrev_b16 v7, 8, v6
	s_mov_b32 s15, exec_lo
	v_cmpx_ne_u16_e32 0, v7
	s_cbranch_execz .LBB268_1659
; %bb.1652:                             ;   in Loop: Header=BB268_1574 Depth=1
	v_dual_mov_b32 v17, s9 :: v_dual_mov_b32 v16, s8
	s_mov_b32 s16, exec_lo
	v_cmpx_ne_u16_e32 0x80, v7
	s_cbranch_execz .LBB268_1658
; %bb.1653:                             ;   in Loop: Header=BB268_1574 Depth=1
	s_mov_b32 s10, s8
	v_and_b32_e32 v7, 0xffff, v7
	v_dual_mov_b32 v17, s11 :: v_dual_mov_b32 v16, s10
	s_mov_b32 s10, exec_lo
	s_delay_alu instid0(VALU_DEP_2) | instskip(NEXT) | instid1(VALU_DEP_1)
	v_and_b32_e32 v18, 0x7f, v7
	v_cmpx_ne_u32_e32 0x7f, v18
	s_cbranch_execz .LBB268_1657
; %bb.1654:                             ;   in Loop: Header=BB268_1574 Depth=1
	v_and_b32_e32 v8, 7, v7
	v_lshrrev_b32_e32 v7, 3, v18
	s_mov_b32 s17, exec_lo
	v_cmpx_gt_u32_e32 8, v18
; %bb.1655:                             ;   in Loop: Header=BB268_1574 Depth=1
	s_delay_alu instid0(VALU_DEP_3) | instskip(NEXT) | instid1(VALU_DEP_1)
	v_clz_i32_u32_e32 v7, v8
	v_min_u32_e32 v7, 32, v7
	s_delay_alu instid0(VALU_DEP_1) | instskip(SKIP_1) | instid1(VALU_DEP_2)
	v_subrev_nc_u32_e32 v16, 28, v7
	v_sub_nc_u32_e32 v7, 29, v7
	v_lshlrev_b64 v[16:17], v16, v[8:9]
	s_delay_alu instid0(VALU_DEP_1)
	v_and_b32_e32 v8, 7, v16
; %bb.1656:                             ;   in Loop: Header=BB268_1574 Depth=1
	s_or_b32 exec_lo, exec_lo, s17
	v_lshlrev_b32_e32 v16, 16, v6
	s_delay_alu instid0(VALU_DEP_2) | instskip(SKIP_1) | instid1(VALU_DEP_3)
	v_lshlrev_b32_e32 v8, 20, v8
	v_lshl_add_u32 v7, v7, 23, 0x3c000000
	v_and_b32_e32 v16, 0x80000000, v16
	s_delay_alu instid0(VALU_DEP_1)
	v_or3_b32 v17, v8, v16, v7
	v_mov_b32_e32 v16, v9
.LBB268_1657:                           ;   in Loop: Header=BB268_1574 Depth=1
	s_or_b32 exec_lo, exec_lo, s10
.LBB268_1658:                           ;   in Loop: Header=BB268_1574 Depth=1
	s_delay_alu instid0(SALU_CYCLE_1)
	s_or_b32 exec_lo, exec_lo, s16
.LBB268_1659:                           ;   in Loop: Header=BB268_1574 Depth=1
	s_delay_alu instid0(SALU_CYCLE_1) | instskip(SKIP_4) | instid1(VALU_DEP_2)
	s_or_b32 exec_lo, exec_lo, s15
	v_mov_b32_e32 v20, 0
	v_lshrrev_b32_e32 v7, 16, v6
	v_mov_b32_e32 v21, 0
	s_mov_b32 s10, exec_lo
	v_and_b32_e32 v8, 0xff, v7
	s_delay_alu instid0(VALU_DEP_2) | instskip(NEXT) | instid1(VALU_DEP_2)
	v_dual_mov_b32 v18, v20 :: v_dual_mov_b32 v19, v21
	v_cmpx_ne_u16_e32 0, v8
	s_cbranch_execz .LBB268_1667
; %bb.1660:                             ;   in Loop: Header=BB268_1574 Depth=1
	v_bfrev_b32_e32 v18, 1
	v_mov_b32_e32 v19, 0
	s_mov_b32 s15, exec_lo
	v_cmpx_ne_u16_e32 0x80, v8
	s_cbranch_execz .LBB268_1666
; %bb.1661:                             ;   in Loop: Header=BB268_1574 Depth=1
	v_mov_b32_e32 v18, 0x7f800001
	v_bfe_u32 v22, v6, 16, 7
	v_mov_b32_e32 v19, 0
	s_mov_b32 s16, exec_lo
	s_delay_alu instid0(VALU_DEP_2)
	v_cmpx_ne_u32_e32 0x7f, v22
	s_cbranch_execz .LBB268_1665
; %bb.1662:                             ;   in Loop: Header=BB268_1574 Depth=1
	v_and_b32_e32 v8, 7, v7
	v_lshrrev_b32_e32 v18, 3, v22
	s_mov_b32 s17, exec_lo
	v_cmpx_gt_u32_e32 8, v22
; %bb.1663:                             ;   in Loop: Header=BB268_1574 Depth=1
	s_delay_alu instid0(VALU_DEP_3) | instskip(NEXT) | instid1(VALU_DEP_1)
	v_clz_i32_u32_e32 v18, v8
	v_min_u32_e32 v18, 32, v18
	s_delay_alu instid0(VALU_DEP_1) | instskip(SKIP_1) | instid1(VALU_DEP_2)
	v_subrev_nc_u32_e32 v19, 28, v18
	v_sub_nc_u32_e32 v18, 29, v18
	v_lshlrev_b64 v[22:23], v19, v[8:9]
	s_delay_alu instid0(VALU_DEP_1)
	v_and_b32_e32 v8, 7, v22
; %bb.1664:                             ;   in Loop: Header=BB268_1574 Depth=1
	s_or_b32 exec_lo, exec_lo, s17
	v_lshlrev_b32_e32 v7, 24, v7
	s_delay_alu instid0(VALU_DEP_2) | instskip(SKIP_1) | instid1(VALU_DEP_3)
	v_lshlrev_b32_e32 v8, 20, v8
	v_lshl_add_u32 v18, v18, 23, 0x3c000000
	v_and_b32_e32 v7, 0x80000000, v7
	s_delay_alu instid0(VALU_DEP_1) | instskip(NEXT) | instid1(VALU_DEP_1)
	v_or3_b32 v8, v8, v7, v18
	v_dual_mov_b32 v19, v9 :: v_dual_mov_b32 v18, v8
.LBB268_1665:                           ;   in Loop: Header=BB268_1574 Depth=1
	s_or_b32 exec_lo, exec_lo, s16
.LBB268_1666:                           ;   in Loop: Header=BB268_1574 Depth=1
	s_delay_alu instid0(SALU_CYCLE_1)
	s_or_b32 exec_lo, exec_lo, s15
.LBB268_1667:                           ;   in Loop: Header=BB268_1574 Depth=1
	s_delay_alu instid0(SALU_CYCLE_1) | instskip(NEXT) | instid1(SALU_CYCLE_1)
	s_or_b32 exec_lo, exec_lo, s10
	s_mov_b32 s15, exec_lo
	v_cmpx_lt_u32_e32 0xffffff, v6
	s_cbranch_execz .LBB268_1675
; %bb.1668:                             ;   in Loop: Header=BB268_1574 Depth=1
	v_lshrrev_b32_e32 v7, 24, v6
	v_dual_mov_b32 v21, s9 :: v_dual_mov_b32 v20, s8
	s_mov_b32 s16, exec_lo
	s_delay_alu instid0(VALU_DEP_2)
	v_cmpx_ne_u32_e32 0x80, v7
	s_cbranch_execz .LBB268_1674
; %bb.1669:                             ;   in Loop: Header=BB268_1574 Depth=1
	s_mov_b32 s10, s8
	v_bfe_u32 v22, v6, 24, 7
	v_dual_mov_b32 v21, s11 :: v_dual_mov_b32 v20, s10
	s_mov_b32 s10, exec_lo
	s_delay_alu instid0(VALU_DEP_2)
	v_cmpx_ne_u32_e32 0x7f, v22
	s_cbranch_execz .LBB268_1673
; %bb.1670:                             ;   in Loop: Header=BB268_1574 Depth=1
	v_and_b32_e32 v8, 7, v7
	v_lshrrev_b32_e32 v6, 3, v22
	s_mov_b32 s17, exec_lo
	v_cmpx_gt_u32_e32 8, v22
; %bb.1671:                             ;   in Loop: Header=BB268_1574 Depth=1
	s_delay_alu instid0(VALU_DEP_3) | instskip(NEXT) | instid1(VALU_DEP_1)
	v_clz_i32_u32_e32 v6, v8
	v_min_u32_e32 v6, 32, v6
	s_delay_alu instid0(VALU_DEP_1) | instskip(SKIP_1) | instid1(VALU_DEP_2)
	v_subrev_nc_u32_e32 v20, 28, v6
	v_sub_nc_u32_e32 v6, 29, v6
	v_lshlrev_b64 v[20:21], v20, v[8:9]
	s_delay_alu instid0(VALU_DEP_1)
	v_and_b32_e32 v8, 7, v20
; %bb.1672:                             ;   in Loop: Header=BB268_1574 Depth=1
	s_or_b32 exec_lo, exec_lo, s17
	v_dual_mov_b32 v20, v9 :: v_dual_lshlrev_b32 v7, 24, v7
	s_delay_alu instid0(VALU_DEP_2) | instskip(SKIP_1) | instid1(VALU_DEP_3)
	v_lshlrev_b32_e32 v8, 20, v8
	v_lshl_add_u32 v6, v6, 23, 0x3c000000
	v_and_b32_e32 v7, 0x80000000, v7
	s_delay_alu instid0(VALU_DEP_1)
	v_or3_b32 v21, v8, v7, v6
.LBB268_1673:                           ;   in Loop: Header=BB268_1574 Depth=1
	s_or_b32 exec_lo, exec_lo, s10
.LBB268_1674:                           ;   in Loop: Header=BB268_1574 Depth=1
	s_delay_alu instid0(SALU_CYCLE_1)
	s_or_b32 exec_lo, exec_lo, s16
.LBB268_1675:                           ;   in Loop: Header=BB268_1574 Depth=1
	s_delay_alu instid0(SALU_CYCLE_1) | instskip(SKIP_4) | instid1(VALU_DEP_4)
	s_or_b32 exec_lo, exec_lo, s15
	v_or_b32_e32 v4, v16, v4
	v_or_b32_e32 v5, v17, v5
	;; [unrolled: 1-line block ×4, first 2 shown]
	v_mul_f32_e32 v4, v167, v4
	s_delay_alu instid0(VALU_DEP_4)
	v_mul_f32_e32 v5, v167, v5
	scratch_store_b32 off, v4, s32 offset:448 ; 4-byte Folded Spill
	v_mul_f32_e32 v4, v167, v6
	s_clause 0x1
	scratch_store_b32 off, v5, s32 offset:456
	scratch_store_b32 off, v4, s32 offset:432
	v_mul_f32_e32 v4, v167, v7
	scratch_store_b32 off, v4, s32 offset:440 ; 4-byte Folded Spill
	s_and_saveexec_b32 s10, vcc_lo
	s_cbranch_execz .LBB268_1677
; %bb.1676:                             ;   in Loop: Header=BB268_1574 Depth=1
	scratch_load_b32 v4, off, s32 offset:448 ; 4-byte Folded Reload
	v_cmp_lt_i32_e64 s0, v180, v35
	s_waitcnt vmcnt(0)
	s_delay_alu instid0(VALU_DEP_1)
	v_cndmask_b32_e64 v4, 0, v4, s0
	v_cmp_lt_i32_e64 s0, v183, v35
	scratch_store_b32 off, v4, s32 offset:448 ; 4-byte Folded Spill
	scratch_load_b32 v4, off, s32 offset:456 ; 4-byte Folded Reload
	s_waitcnt vmcnt(0)
	v_cndmask_b32_e64 v4, 0, v4, s0
	v_cmp_lt_i32_e64 s0, v182, v35
	scratch_store_b32 off, v4, s32 offset:456 ; 4-byte Folded Spill
	scratch_load_b32 v4, off, s32 offset:440 ; 4-byte Folded Reload
	s_waitcnt vmcnt(0)
	;; [unrolled: 5-line block ×3, first 2 shown]
	v_cndmask_b32_e64 v4, 0, v4, s0
	scratch_store_b32 off, v4, s32 offset:432 ; 4-byte Folded Spill
.LBB268_1677:                           ;   in Loop: Header=BB268_1574 Depth=1
	s_or_b32 exec_lo, exec_lo, s10
	flat_load_b32 v6, v[14:15] offset:384
	v_mov_b32_e32 v16, 0
	v_mov_b32_e32 v17, 0
	s_delay_alu instid0(VALU_DEP_2) | instskip(SKIP_1) | instid1(VALU_DEP_2)
	v_mov_b32_e32 v4, v16
	s_mov_b32 s10, exec_lo
	v_mov_b32_e32 v5, v17
	s_waitcnt vmcnt(0) lgkmcnt(0)
	v_and_b32_e32 v7, 0xff, v6
	s_delay_alu instid0(VALU_DEP_1)
	v_cmpx_ne_u16_e32 0, v7
	s_cbranch_execz .LBB268_1685
; %bb.1678:                             ;   in Loop: Header=BB268_1574 Depth=1
	v_bfrev_b32_e32 v4, 1
	v_mov_b32_e32 v5, 0
	s_mov_b32 s15, exec_lo
	v_cmpx_ne_u16_e32 0x80, v7
	s_cbranch_execz .LBB268_1684
; %bb.1679:                             ;   in Loop: Header=BB268_1574 Depth=1
	v_mov_b32_e32 v4, 0x7f800001
	v_and_b32_e32 v7, 0x7f, v6
	v_mov_b32_e32 v5, 0
	s_mov_b32 s16, exec_lo
	s_delay_alu instid0(VALU_DEP_2)
	v_cmpx_ne_u32_e32 0x7f, v7
	s_cbranch_execz .LBB268_1683
; %bb.1680:                             ;   in Loop: Header=BB268_1574 Depth=1
	v_and_b32_e32 v8, 7, v6
	v_lshrrev_b32_e32 v4, 3, v7
	s_mov_b32 s17, exec_lo
	v_cmpx_gt_u32_e32 8, v7
; %bb.1681:                             ;   in Loop: Header=BB268_1574 Depth=1
	s_delay_alu instid0(VALU_DEP_3) | instskip(NEXT) | instid1(VALU_DEP_1)
	v_clz_i32_u32_e32 v4, v8
	v_min_u32_e32 v4, 32, v4
	s_delay_alu instid0(VALU_DEP_1) | instskip(SKIP_1) | instid1(VALU_DEP_2)
	v_subrev_nc_u32_e32 v5, 28, v4
	v_sub_nc_u32_e32 v4, 29, v4
	v_lshlrev_b64 v[7:8], v5, v[8:9]
	s_delay_alu instid0(VALU_DEP_1)
	v_and_b32_e32 v8, 7, v7
; %bb.1682:                             ;   in Loop: Header=BB268_1574 Depth=1
	s_or_b32 exec_lo, exec_lo, s17
	v_lshlrev_b32_e32 v5, 24, v6
	s_delay_alu instid0(VALU_DEP_2) | instskip(SKIP_1) | instid1(VALU_DEP_3)
	v_lshlrev_b32_e32 v7, 20, v8
	v_lshl_add_u32 v4, v4, 23, 0x3c000000
	v_and_b32_e32 v5, 0x80000000, v5
	s_delay_alu instid0(VALU_DEP_1) | instskip(NEXT) | instid1(VALU_DEP_1)
	v_or3_b32 v8, v7, v5, v4
	v_dual_mov_b32 v4, v8 :: v_dual_mov_b32 v5, v9
.LBB268_1683:                           ;   in Loop: Header=BB268_1574 Depth=1
	s_or_b32 exec_lo, exec_lo, s16
.LBB268_1684:                           ;   in Loop: Header=BB268_1574 Depth=1
	s_delay_alu instid0(SALU_CYCLE_1)
	s_or_b32 exec_lo, exec_lo, s15
.LBB268_1685:                           ;   in Loop: Header=BB268_1574 Depth=1
	s_delay_alu instid0(SALU_CYCLE_1) | instskip(SKIP_2) | instid1(VALU_DEP_1)
	s_or_b32 exec_lo, exec_lo, s10
	v_lshrrev_b16 v7, 8, v6
	s_mov_b32 s15, exec_lo
	v_cmpx_ne_u16_e32 0, v7
	s_cbranch_execz .LBB268_1693
; %bb.1686:                             ;   in Loop: Header=BB268_1574 Depth=1
	v_dual_mov_b32 v17, s9 :: v_dual_mov_b32 v16, s8
	s_mov_b32 s16, exec_lo
	v_cmpx_ne_u16_e32 0x80, v7
	s_cbranch_execz .LBB268_1692
; %bb.1687:                             ;   in Loop: Header=BB268_1574 Depth=1
	s_mov_b32 s10, s8
	v_and_b32_e32 v7, 0xffff, v7
	v_dual_mov_b32 v17, s11 :: v_dual_mov_b32 v16, s10
	s_mov_b32 s10, exec_lo
	s_delay_alu instid0(VALU_DEP_2) | instskip(NEXT) | instid1(VALU_DEP_1)
	v_and_b32_e32 v18, 0x7f, v7
	v_cmpx_ne_u32_e32 0x7f, v18
	s_cbranch_execz .LBB268_1691
; %bb.1688:                             ;   in Loop: Header=BB268_1574 Depth=1
	v_and_b32_e32 v8, 7, v7
	v_lshrrev_b32_e32 v7, 3, v18
	s_mov_b32 s17, exec_lo
	v_cmpx_gt_u32_e32 8, v18
; %bb.1689:                             ;   in Loop: Header=BB268_1574 Depth=1
	s_delay_alu instid0(VALU_DEP_3) | instskip(NEXT) | instid1(VALU_DEP_1)
	v_clz_i32_u32_e32 v7, v8
	v_min_u32_e32 v7, 32, v7
	s_delay_alu instid0(VALU_DEP_1) | instskip(SKIP_1) | instid1(VALU_DEP_2)
	v_subrev_nc_u32_e32 v16, 28, v7
	v_sub_nc_u32_e32 v7, 29, v7
	v_lshlrev_b64 v[16:17], v16, v[8:9]
	s_delay_alu instid0(VALU_DEP_1)
	v_and_b32_e32 v8, 7, v16
; %bb.1690:                             ;   in Loop: Header=BB268_1574 Depth=1
	s_or_b32 exec_lo, exec_lo, s17
	v_lshlrev_b32_e32 v16, 16, v6
	s_delay_alu instid0(VALU_DEP_2) | instskip(SKIP_1) | instid1(VALU_DEP_3)
	v_lshlrev_b32_e32 v8, 20, v8
	v_lshl_add_u32 v7, v7, 23, 0x3c000000
	v_and_b32_e32 v16, 0x80000000, v16
	s_delay_alu instid0(VALU_DEP_1)
	v_or3_b32 v17, v8, v16, v7
	v_mov_b32_e32 v16, v9
.LBB268_1691:                           ;   in Loop: Header=BB268_1574 Depth=1
	s_or_b32 exec_lo, exec_lo, s10
.LBB268_1692:                           ;   in Loop: Header=BB268_1574 Depth=1
	s_delay_alu instid0(SALU_CYCLE_1)
	s_or_b32 exec_lo, exec_lo, s16
.LBB268_1693:                           ;   in Loop: Header=BB268_1574 Depth=1
	s_delay_alu instid0(SALU_CYCLE_1) | instskip(SKIP_4) | instid1(VALU_DEP_2)
	s_or_b32 exec_lo, exec_lo, s15
	v_mov_b32_e32 v20, 0
	v_lshrrev_b32_e32 v7, 16, v6
	v_mov_b32_e32 v21, 0
	s_mov_b32 s10, exec_lo
	v_and_b32_e32 v8, 0xff, v7
	s_delay_alu instid0(VALU_DEP_2) | instskip(NEXT) | instid1(VALU_DEP_2)
	v_dual_mov_b32 v18, v20 :: v_dual_mov_b32 v19, v21
	v_cmpx_ne_u16_e32 0, v8
	s_cbranch_execz .LBB268_1701
; %bb.1694:                             ;   in Loop: Header=BB268_1574 Depth=1
	v_bfrev_b32_e32 v18, 1
	v_mov_b32_e32 v19, 0
	s_mov_b32 s15, exec_lo
	v_cmpx_ne_u16_e32 0x80, v8
	s_cbranch_execz .LBB268_1700
; %bb.1695:                             ;   in Loop: Header=BB268_1574 Depth=1
	v_mov_b32_e32 v18, 0x7f800001
	v_bfe_u32 v22, v6, 16, 7
	v_mov_b32_e32 v19, 0
	s_mov_b32 s16, exec_lo
	s_delay_alu instid0(VALU_DEP_2)
	v_cmpx_ne_u32_e32 0x7f, v22
	s_cbranch_execz .LBB268_1699
; %bb.1696:                             ;   in Loop: Header=BB268_1574 Depth=1
	v_and_b32_e32 v8, 7, v7
	v_lshrrev_b32_e32 v18, 3, v22
	s_mov_b32 s17, exec_lo
	v_cmpx_gt_u32_e32 8, v22
; %bb.1697:                             ;   in Loop: Header=BB268_1574 Depth=1
	s_delay_alu instid0(VALU_DEP_3) | instskip(NEXT) | instid1(VALU_DEP_1)
	v_clz_i32_u32_e32 v18, v8
	v_min_u32_e32 v18, 32, v18
	s_delay_alu instid0(VALU_DEP_1) | instskip(SKIP_1) | instid1(VALU_DEP_2)
	v_subrev_nc_u32_e32 v19, 28, v18
	v_sub_nc_u32_e32 v18, 29, v18
	v_lshlrev_b64 v[22:23], v19, v[8:9]
	s_delay_alu instid0(VALU_DEP_1)
	v_and_b32_e32 v8, 7, v22
; %bb.1698:                             ;   in Loop: Header=BB268_1574 Depth=1
	s_or_b32 exec_lo, exec_lo, s17
	v_lshlrev_b32_e32 v7, 24, v7
	s_delay_alu instid0(VALU_DEP_2) | instskip(SKIP_1) | instid1(VALU_DEP_3)
	v_lshlrev_b32_e32 v8, 20, v8
	v_lshl_add_u32 v18, v18, 23, 0x3c000000
	v_and_b32_e32 v7, 0x80000000, v7
	s_delay_alu instid0(VALU_DEP_1) | instskip(NEXT) | instid1(VALU_DEP_1)
	v_or3_b32 v8, v8, v7, v18
	v_dual_mov_b32 v19, v9 :: v_dual_mov_b32 v18, v8
.LBB268_1699:                           ;   in Loop: Header=BB268_1574 Depth=1
	s_or_b32 exec_lo, exec_lo, s16
.LBB268_1700:                           ;   in Loop: Header=BB268_1574 Depth=1
	s_delay_alu instid0(SALU_CYCLE_1)
	s_or_b32 exec_lo, exec_lo, s15
.LBB268_1701:                           ;   in Loop: Header=BB268_1574 Depth=1
	s_delay_alu instid0(SALU_CYCLE_1) | instskip(NEXT) | instid1(SALU_CYCLE_1)
	s_or_b32 exec_lo, exec_lo, s10
	s_mov_b32 s15, exec_lo
	v_cmpx_lt_u32_e32 0xffffff, v6
	s_cbranch_execz .LBB268_1709
; %bb.1702:                             ;   in Loop: Header=BB268_1574 Depth=1
	v_lshrrev_b32_e32 v7, 24, v6
	v_dual_mov_b32 v21, s9 :: v_dual_mov_b32 v20, s8
	s_mov_b32 s16, exec_lo
	s_delay_alu instid0(VALU_DEP_2)
	v_cmpx_ne_u32_e32 0x80, v7
	s_cbranch_execz .LBB268_1708
; %bb.1703:                             ;   in Loop: Header=BB268_1574 Depth=1
	s_mov_b32 s10, s8
	v_bfe_u32 v22, v6, 24, 7
	v_dual_mov_b32 v21, s11 :: v_dual_mov_b32 v20, s10
	s_mov_b32 s10, exec_lo
	s_delay_alu instid0(VALU_DEP_2)
	v_cmpx_ne_u32_e32 0x7f, v22
	s_cbranch_execz .LBB268_1707
; %bb.1704:                             ;   in Loop: Header=BB268_1574 Depth=1
	v_and_b32_e32 v8, 7, v7
	v_lshrrev_b32_e32 v6, 3, v22
	s_mov_b32 s17, exec_lo
	v_cmpx_gt_u32_e32 8, v22
; %bb.1705:                             ;   in Loop: Header=BB268_1574 Depth=1
	s_delay_alu instid0(VALU_DEP_3) | instskip(NEXT) | instid1(VALU_DEP_1)
	v_clz_i32_u32_e32 v6, v8
	v_min_u32_e32 v6, 32, v6
	s_delay_alu instid0(VALU_DEP_1) | instskip(SKIP_1) | instid1(VALU_DEP_2)
	v_subrev_nc_u32_e32 v20, 28, v6
	v_sub_nc_u32_e32 v6, 29, v6
	v_lshlrev_b64 v[20:21], v20, v[8:9]
	s_delay_alu instid0(VALU_DEP_1)
	v_and_b32_e32 v8, 7, v20
; %bb.1706:                             ;   in Loop: Header=BB268_1574 Depth=1
	s_or_b32 exec_lo, exec_lo, s17
	v_dual_mov_b32 v20, v9 :: v_dual_lshlrev_b32 v7, 24, v7
	s_delay_alu instid0(VALU_DEP_2) | instskip(SKIP_1) | instid1(VALU_DEP_3)
	v_lshlrev_b32_e32 v8, 20, v8
	v_lshl_add_u32 v6, v6, 23, 0x3c000000
	v_and_b32_e32 v7, 0x80000000, v7
	s_delay_alu instid0(VALU_DEP_1)
	v_or3_b32 v21, v8, v7, v6
.LBB268_1707:                           ;   in Loop: Header=BB268_1574 Depth=1
	s_or_b32 exec_lo, exec_lo, s10
.LBB268_1708:                           ;   in Loop: Header=BB268_1574 Depth=1
	s_delay_alu instid0(SALU_CYCLE_1)
	s_or_b32 exec_lo, exec_lo, s16
.LBB268_1709:                           ;   in Loop: Header=BB268_1574 Depth=1
	s_delay_alu instid0(SALU_CYCLE_1) | instskip(SKIP_4) | instid1(VALU_DEP_4)
	s_or_b32 exec_lo, exec_lo, s15
	v_or_b32_e32 v5, v17, v5
	v_or_b32_e32 v4, v16, v4
	;; [unrolled: 1-line block ×4, first 2 shown]
	v_mul_f32_e32 v5, v167, v5
	s_delay_alu instid0(VALU_DEP_4)
	v_mul_f32_e32 v4, v167, v4
	s_clause 0x1
	scratch_store_b32 off, v5, s32 offset:480
	scratch_store_b32 off, v4, s32 offset:336
	v_mul_f32_e32 v4, v167, v6
	scratch_store_b32 off, v4, s32 offset:464 ; 4-byte Folded Spill
	v_mul_f32_e32 v4, v167, v7
	scratch_store_b32 off, v4, s32 offset:472 ; 4-byte Folded Spill
	s_and_saveexec_b32 s10, vcc_lo
	s_cbranch_execz .LBB268_1711
; %bb.1710:                             ;   in Loop: Header=BB268_1574 Depth=1
	scratch_load_b32 v4, off, s32 offset:336 ; 4-byte Folded Reload
	v_cmp_lt_i32_e64 s0, v180, v35
	s_waitcnt vmcnt(0)
	s_delay_alu instid0(VALU_DEP_1)
	v_cndmask_b32_e64 v4, 0, v4, s0
	v_cmp_lt_i32_e64 s0, v183, v35
	scratch_store_b32 off, v4, s32 offset:336 ; 4-byte Folded Spill
	scratch_load_b32 v4, off, s32 offset:480 ; 4-byte Folded Reload
	s_waitcnt vmcnt(0)
	v_cndmask_b32_e64 v4, 0, v4, s0
	v_cmp_lt_i32_e64 s0, v182, v35
	scratch_store_b32 off, v4, s32 offset:480 ; 4-byte Folded Spill
	scratch_load_b32 v4, off, s32 offset:472 ; 4-byte Folded Reload
	s_waitcnt vmcnt(0)
	;; [unrolled: 5-line block ×3, first 2 shown]
	v_cndmask_b32_e64 v4, 0, v4, s0
	scratch_store_b32 off, v4, s32 offset:464 ; 4-byte Folded Spill
.LBB268_1711:                           ;   in Loop: Header=BB268_1574 Depth=1
	s_or_b32 exec_lo, exec_lo, s10
	flat_load_b32 v6, v[14:15] offset:512
	v_mov_b32_e32 v16, 0
	v_mov_b32_e32 v17, 0
	s_delay_alu instid0(VALU_DEP_2) | instskip(SKIP_1) | instid1(VALU_DEP_2)
	v_mov_b32_e32 v4, v16
	s_mov_b32 s10, exec_lo
	v_mov_b32_e32 v5, v17
	s_waitcnt vmcnt(0) lgkmcnt(0)
	v_and_b32_e32 v7, 0xff, v6
	s_delay_alu instid0(VALU_DEP_1)
	v_cmpx_ne_u16_e32 0, v7
	s_cbranch_execz .LBB268_1719
; %bb.1712:                             ;   in Loop: Header=BB268_1574 Depth=1
	v_bfrev_b32_e32 v4, 1
	v_mov_b32_e32 v5, 0
	s_mov_b32 s15, exec_lo
	v_cmpx_ne_u16_e32 0x80, v7
	s_cbranch_execz .LBB268_1718
; %bb.1713:                             ;   in Loop: Header=BB268_1574 Depth=1
	v_mov_b32_e32 v4, 0x7f800001
	v_and_b32_e32 v7, 0x7f, v6
	v_mov_b32_e32 v5, 0
	s_mov_b32 s16, exec_lo
	s_delay_alu instid0(VALU_DEP_2)
	v_cmpx_ne_u32_e32 0x7f, v7
	s_cbranch_execz .LBB268_1717
; %bb.1714:                             ;   in Loop: Header=BB268_1574 Depth=1
	v_and_b32_e32 v8, 7, v6
	v_lshrrev_b32_e32 v4, 3, v7
	s_mov_b32 s17, exec_lo
	v_cmpx_gt_u32_e32 8, v7
; %bb.1715:                             ;   in Loop: Header=BB268_1574 Depth=1
	s_delay_alu instid0(VALU_DEP_3) | instskip(NEXT) | instid1(VALU_DEP_1)
	v_clz_i32_u32_e32 v4, v8
	v_min_u32_e32 v4, 32, v4
	s_delay_alu instid0(VALU_DEP_1) | instskip(SKIP_1) | instid1(VALU_DEP_2)
	v_subrev_nc_u32_e32 v5, 28, v4
	v_sub_nc_u32_e32 v4, 29, v4
	v_lshlrev_b64 v[7:8], v5, v[8:9]
	s_delay_alu instid0(VALU_DEP_1)
	v_and_b32_e32 v8, 7, v7
; %bb.1716:                             ;   in Loop: Header=BB268_1574 Depth=1
	s_or_b32 exec_lo, exec_lo, s17
	v_lshlrev_b32_e32 v5, 24, v6
	s_delay_alu instid0(VALU_DEP_2) | instskip(SKIP_1) | instid1(VALU_DEP_3)
	v_lshlrev_b32_e32 v7, 20, v8
	v_lshl_add_u32 v4, v4, 23, 0x3c000000
	v_and_b32_e32 v5, 0x80000000, v5
	s_delay_alu instid0(VALU_DEP_1) | instskip(NEXT) | instid1(VALU_DEP_1)
	v_or3_b32 v8, v7, v5, v4
	v_dual_mov_b32 v4, v8 :: v_dual_mov_b32 v5, v9
.LBB268_1717:                           ;   in Loop: Header=BB268_1574 Depth=1
	s_or_b32 exec_lo, exec_lo, s16
.LBB268_1718:                           ;   in Loop: Header=BB268_1574 Depth=1
	s_delay_alu instid0(SALU_CYCLE_1)
	s_or_b32 exec_lo, exec_lo, s15
.LBB268_1719:                           ;   in Loop: Header=BB268_1574 Depth=1
	s_delay_alu instid0(SALU_CYCLE_1) | instskip(SKIP_2) | instid1(VALU_DEP_1)
	s_or_b32 exec_lo, exec_lo, s10
	v_lshrrev_b16 v7, 8, v6
	s_mov_b32 s15, exec_lo
	v_cmpx_ne_u16_e32 0, v7
	s_cbranch_execz .LBB268_1727
; %bb.1720:                             ;   in Loop: Header=BB268_1574 Depth=1
	v_dual_mov_b32 v17, s9 :: v_dual_mov_b32 v16, s8
	s_mov_b32 s16, exec_lo
	v_cmpx_ne_u16_e32 0x80, v7
	s_cbranch_execz .LBB268_1726
; %bb.1721:                             ;   in Loop: Header=BB268_1574 Depth=1
	s_mov_b32 s10, s8
	v_and_b32_e32 v7, 0xffff, v7
	v_dual_mov_b32 v17, s11 :: v_dual_mov_b32 v16, s10
	s_mov_b32 s10, exec_lo
	s_delay_alu instid0(VALU_DEP_2) | instskip(NEXT) | instid1(VALU_DEP_1)
	v_and_b32_e32 v18, 0x7f, v7
	v_cmpx_ne_u32_e32 0x7f, v18
	s_cbranch_execz .LBB268_1725
; %bb.1722:                             ;   in Loop: Header=BB268_1574 Depth=1
	v_and_b32_e32 v8, 7, v7
	v_lshrrev_b32_e32 v7, 3, v18
	s_mov_b32 s17, exec_lo
	v_cmpx_gt_u32_e32 8, v18
; %bb.1723:                             ;   in Loop: Header=BB268_1574 Depth=1
	s_delay_alu instid0(VALU_DEP_3) | instskip(NEXT) | instid1(VALU_DEP_1)
	v_clz_i32_u32_e32 v7, v8
	v_min_u32_e32 v7, 32, v7
	s_delay_alu instid0(VALU_DEP_1) | instskip(SKIP_1) | instid1(VALU_DEP_2)
	v_subrev_nc_u32_e32 v16, 28, v7
	v_sub_nc_u32_e32 v7, 29, v7
	v_lshlrev_b64 v[16:17], v16, v[8:9]
	s_delay_alu instid0(VALU_DEP_1)
	v_and_b32_e32 v8, 7, v16
; %bb.1724:                             ;   in Loop: Header=BB268_1574 Depth=1
	s_or_b32 exec_lo, exec_lo, s17
	v_lshlrev_b32_e32 v16, 16, v6
	s_delay_alu instid0(VALU_DEP_2) | instskip(SKIP_1) | instid1(VALU_DEP_3)
	v_lshlrev_b32_e32 v8, 20, v8
	v_lshl_add_u32 v7, v7, 23, 0x3c000000
	v_and_b32_e32 v16, 0x80000000, v16
	s_delay_alu instid0(VALU_DEP_1)
	v_or3_b32 v17, v8, v16, v7
	v_mov_b32_e32 v16, v9
.LBB268_1725:                           ;   in Loop: Header=BB268_1574 Depth=1
	s_or_b32 exec_lo, exec_lo, s10
.LBB268_1726:                           ;   in Loop: Header=BB268_1574 Depth=1
	s_delay_alu instid0(SALU_CYCLE_1)
	s_or_b32 exec_lo, exec_lo, s16
.LBB268_1727:                           ;   in Loop: Header=BB268_1574 Depth=1
	s_delay_alu instid0(SALU_CYCLE_1) | instskip(SKIP_4) | instid1(VALU_DEP_2)
	s_or_b32 exec_lo, exec_lo, s15
	v_mov_b32_e32 v20, 0
	v_lshrrev_b32_e32 v7, 16, v6
	v_mov_b32_e32 v21, 0
	s_mov_b32 s10, exec_lo
	v_and_b32_e32 v8, 0xff, v7
	s_delay_alu instid0(VALU_DEP_2) | instskip(NEXT) | instid1(VALU_DEP_2)
	v_dual_mov_b32 v18, v20 :: v_dual_mov_b32 v19, v21
	v_cmpx_ne_u16_e32 0, v8
	s_cbranch_execz .LBB268_1735
; %bb.1728:                             ;   in Loop: Header=BB268_1574 Depth=1
	v_bfrev_b32_e32 v18, 1
	v_mov_b32_e32 v19, 0
	s_mov_b32 s15, exec_lo
	v_cmpx_ne_u16_e32 0x80, v8
	s_cbranch_execz .LBB268_1734
; %bb.1729:                             ;   in Loop: Header=BB268_1574 Depth=1
	v_mov_b32_e32 v18, 0x7f800001
	v_bfe_u32 v22, v6, 16, 7
	v_mov_b32_e32 v19, 0
	s_mov_b32 s16, exec_lo
	s_delay_alu instid0(VALU_DEP_2)
	v_cmpx_ne_u32_e32 0x7f, v22
	s_cbranch_execz .LBB268_1733
; %bb.1730:                             ;   in Loop: Header=BB268_1574 Depth=1
	v_and_b32_e32 v8, 7, v7
	v_lshrrev_b32_e32 v18, 3, v22
	s_mov_b32 s17, exec_lo
	v_cmpx_gt_u32_e32 8, v22
; %bb.1731:                             ;   in Loop: Header=BB268_1574 Depth=1
	s_delay_alu instid0(VALU_DEP_3) | instskip(NEXT) | instid1(VALU_DEP_1)
	v_clz_i32_u32_e32 v18, v8
	v_min_u32_e32 v18, 32, v18
	s_delay_alu instid0(VALU_DEP_1) | instskip(SKIP_1) | instid1(VALU_DEP_2)
	v_subrev_nc_u32_e32 v19, 28, v18
	v_sub_nc_u32_e32 v18, 29, v18
	v_lshlrev_b64 v[22:23], v19, v[8:9]
	s_delay_alu instid0(VALU_DEP_1)
	v_and_b32_e32 v8, 7, v22
; %bb.1732:                             ;   in Loop: Header=BB268_1574 Depth=1
	s_or_b32 exec_lo, exec_lo, s17
	v_lshlrev_b32_e32 v7, 24, v7
	s_delay_alu instid0(VALU_DEP_2) | instskip(SKIP_1) | instid1(VALU_DEP_3)
	v_lshlrev_b32_e32 v8, 20, v8
	v_lshl_add_u32 v18, v18, 23, 0x3c000000
	v_and_b32_e32 v7, 0x80000000, v7
	s_delay_alu instid0(VALU_DEP_1) | instskip(NEXT) | instid1(VALU_DEP_1)
	v_or3_b32 v8, v8, v7, v18
	v_dual_mov_b32 v19, v9 :: v_dual_mov_b32 v18, v8
.LBB268_1733:                           ;   in Loop: Header=BB268_1574 Depth=1
	s_or_b32 exec_lo, exec_lo, s16
.LBB268_1734:                           ;   in Loop: Header=BB268_1574 Depth=1
	s_delay_alu instid0(SALU_CYCLE_1)
	s_or_b32 exec_lo, exec_lo, s15
.LBB268_1735:                           ;   in Loop: Header=BB268_1574 Depth=1
	s_delay_alu instid0(SALU_CYCLE_1) | instskip(NEXT) | instid1(SALU_CYCLE_1)
	s_or_b32 exec_lo, exec_lo, s10
	s_mov_b32 s15, exec_lo
	v_cmpx_lt_u32_e32 0xffffff, v6
	s_cbranch_execz .LBB268_1743
; %bb.1736:                             ;   in Loop: Header=BB268_1574 Depth=1
	v_lshrrev_b32_e32 v7, 24, v6
	v_dual_mov_b32 v21, s9 :: v_dual_mov_b32 v20, s8
	s_mov_b32 s16, exec_lo
	s_delay_alu instid0(VALU_DEP_2)
	v_cmpx_ne_u32_e32 0x80, v7
	s_cbranch_execz .LBB268_1742
; %bb.1737:                             ;   in Loop: Header=BB268_1574 Depth=1
	s_mov_b32 s10, s8
	v_bfe_u32 v22, v6, 24, 7
	v_dual_mov_b32 v21, s11 :: v_dual_mov_b32 v20, s10
	s_mov_b32 s10, exec_lo
	s_delay_alu instid0(VALU_DEP_2)
	v_cmpx_ne_u32_e32 0x7f, v22
	s_cbranch_execz .LBB268_1741
; %bb.1738:                             ;   in Loop: Header=BB268_1574 Depth=1
	v_and_b32_e32 v8, 7, v7
	v_lshrrev_b32_e32 v6, 3, v22
	s_mov_b32 s17, exec_lo
	v_cmpx_gt_u32_e32 8, v22
; %bb.1739:                             ;   in Loop: Header=BB268_1574 Depth=1
	s_delay_alu instid0(VALU_DEP_3) | instskip(NEXT) | instid1(VALU_DEP_1)
	v_clz_i32_u32_e32 v6, v8
	v_min_u32_e32 v6, 32, v6
	s_delay_alu instid0(VALU_DEP_1) | instskip(SKIP_1) | instid1(VALU_DEP_2)
	v_subrev_nc_u32_e32 v20, 28, v6
	v_sub_nc_u32_e32 v6, 29, v6
	v_lshlrev_b64 v[20:21], v20, v[8:9]
	s_delay_alu instid0(VALU_DEP_1)
	v_and_b32_e32 v8, 7, v20
; %bb.1740:                             ;   in Loop: Header=BB268_1574 Depth=1
	s_or_b32 exec_lo, exec_lo, s17
	v_dual_mov_b32 v20, v9 :: v_dual_lshlrev_b32 v7, 24, v7
	s_delay_alu instid0(VALU_DEP_2) | instskip(SKIP_1) | instid1(VALU_DEP_3)
	v_lshlrev_b32_e32 v8, 20, v8
	v_lshl_add_u32 v6, v6, 23, 0x3c000000
	v_and_b32_e32 v7, 0x80000000, v7
	s_delay_alu instid0(VALU_DEP_1)
	v_or3_b32 v21, v8, v7, v6
.LBB268_1741:                           ;   in Loop: Header=BB268_1574 Depth=1
	s_or_b32 exec_lo, exec_lo, s10
.LBB268_1742:                           ;   in Loop: Header=BB268_1574 Depth=1
	s_delay_alu instid0(SALU_CYCLE_1)
	s_or_b32 exec_lo, exec_lo, s16
.LBB268_1743:                           ;   in Loop: Header=BB268_1574 Depth=1
	s_delay_alu instid0(SALU_CYCLE_1) | instskip(SKIP_4) | instid1(VALU_DEP_4)
	s_or_b32 exec_lo, exec_lo, s15
	v_or_b32_e32 v4, v16, v4
	v_or_b32_e32 v5, v17, v5
	;; [unrolled: 1-line block ×4, first 2 shown]
	v_mul_f32_e32 v4, v167, v4
	s_delay_alu instid0(VALU_DEP_4)
	v_mul_f32_e32 v5, v167, v5
	scratch_store_b32 off, v4, s32 offset:504 ; 4-byte Folded Spill
	v_mul_f32_e32 v4, v167, v6
	s_clause 0x1
	scratch_store_b32 off, v5, s32 offset:512
	scratch_store_b32 off, v4, s32 offset:488
	v_mul_f32_e32 v4, v167, v7
	scratch_store_b32 off, v4, s32 offset:496 ; 4-byte Folded Spill
	s_and_saveexec_b32 s10, vcc_lo
	s_cbranch_execz .LBB268_1745
; %bb.1744:                             ;   in Loop: Header=BB268_1574 Depth=1
	scratch_load_b32 v4, off, s32 offset:504 ; 4-byte Folded Reload
	v_cmp_lt_i32_e64 s0, v180, v35
	s_waitcnt vmcnt(0)
	s_delay_alu instid0(VALU_DEP_1)
	v_cndmask_b32_e64 v4, 0, v4, s0
	v_cmp_lt_i32_e64 s0, v183, v35
	scratch_store_b32 off, v4, s32 offset:504 ; 4-byte Folded Spill
	scratch_load_b32 v4, off, s32 offset:512 ; 4-byte Folded Reload
	s_waitcnt vmcnt(0)
	v_cndmask_b32_e64 v4, 0, v4, s0
	v_cmp_lt_i32_e64 s0, v182, v35
	scratch_store_b32 off, v4, s32 offset:512 ; 4-byte Folded Spill
	scratch_load_b32 v4, off, s32 offset:496 ; 4-byte Folded Reload
	s_waitcnt vmcnt(0)
	;; [unrolled: 5-line block ×3, first 2 shown]
	v_cndmask_b32_e64 v4, 0, v4, s0
	scratch_store_b32 off, v4, s32 offset:488 ; 4-byte Folded Spill
.LBB268_1745:                           ;   in Loop: Header=BB268_1574 Depth=1
	s_or_b32 exec_lo, exec_lo, s10
	flat_load_b32 v6, v[14:15] offset:640
	v_mov_b32_e32 v16, 0
	v_mov_b32_e32 v17, 0
	s_delay_alu instid0(VALU_DEP_2) | instskip(SKIP_1) | instid1(VALU_DEP_2)
	v_mov_b32_e32 v4, v16
	s_mov_b32 s10, exec_lo
	v_mov_b32_e32 v5, v17
	s_waitcnt vmcnt(0) lgkmcnt(0)
	v_and_b32_e32 v7, 0xff, v6
	s_delay_alu instid0(VALU_DEP_1)
	v_cmpx_ne_u16_e32 0, v7
	s_cbranch_execz .LBB268_1753
; %bb.1746:                             ;   in Loop: Header=BB268_1574 Depth=1
	v_bfrev_b32_e32 v4, 1
	v_mov_b32_e32 v5, 0
	s_mov_b32 s15, exec_lo
	v_cmpx_ne_u16_e32 0x80, v7
	s_cbranch_execz .LBB268_1752
; %bb.1747:                             ;   in Loop: Header=BB268_1574 Depth=1
	v_mov_b32_e32 v4, 0x7f800001
	v_and_b32_e32 v7, 0x7f, v6
	v_mov_b32_e32 v5, 0
	s_mov_b32 s16, exec_lo
	s_delay_alu instid0(VALU_DEP_2)
	v_cmpx_ne_u32_e32 0x7f, v7
	s_cbranch_execz .LBB268_1751
; %bb.1748:                             ;   in Loop: Header=BB268_1574 Depth=1
	v_and_b32_e32 v8, 7, v6
	v_lshrrev_b32_e32 v4, 3, v7
	s_mov_b32 s17, exec_lo
	v_cmpx_gt_u32_e32 8, v7
; %bb.1749:                             ;   in Loop: Header=BB268_1574 Depth=1
	s_delay_alu instid0(VALU_DEP_3) | instskip(NEXT) | instid1(VALU_DEP_1)
	v_clz_i32_u32_e32 v4, v8
	v_min_u32_e32 v4, 32, v4
	s_delay_alu instid0(VALU_DEP_1) | instskip(SKIP_1) | instid1(VALU_DEP_2)
	v_subrev_nc_u32_e32 v5, 28, v4
	v_sub_nc_u32_e32 v4, 29, v4
	v_lshlrev_b64 v[7:8], v5, v[8:9]
	s_delay_alu instid0(VALU_DEP_1)
	v_and_b32_e32 v8, 7, v7
; %bb.1750:                             ;   in Loop: Header=BB268_1574 Depth=1
	s_or_b32 exec_lo, exec_lo, s17
	v_lshlrev_b32_e32 v5, 24, v6
	s_delay_alu instid0(VALU_DEP_2) | instskip(SKIP_1) | instid1(VALU_DEP_3)
	v_lshlrev_b32_e32 v7, 20, v8
	v_lshl_add_u32 v4, v4, 23, 0x3c000000
	v_and_b32_e32 v5, 0x80000000, v5
	s_delay_alu instid0(VALU_DEP_1) | instskip(NEXT) | instid1(VALU_DEP_1)
	v_or3_b32 v8, v7, v5, v4
	v_dual_mov_b32 v4, v8 :: v_dual_mov_b32 v5, v9
.LBB268_1751:                           ;   in Loop: Header=BB268_1574 Depth=1
	s_or_b32 exec_lo, exec_lo, s16
.LBB268_1752:                           ;   in Loop: Header=BB268_1574 Depth=1
	s_delay_alu instid0(SALU_CYCLE_1)
	s_or_b32 exec_lo, exec_lo, s15
.LBB268_1753:                           ;   in Loop: Header=BB268_1574 Depth=1
	s_delay_alu instid0(SALU_CYCLE_1) | instskip(SKIP_2) | instid1(VALU_DEP_1)
	s_or_b32 exec_lo, exec_lo, s10
	v_lshrrev_b16 v7, 8, v6
	s_mov_b32 s15, exec_lo
	v_cmpx_ne_u16_e32 0, v7
	s_cbranch_execz .LBB268_1761
; %bb.1754:                             ;   in Loop: Header=BB268_1574 Depth=1
	v_dual_mov_b32 v17, s9 :: v_dual_mov_b32 v16, s8
	s_mov_b32 s16, exec_lo
	v_cmpx_ne_u16_e32 0x80, v7
	s_cbranch_execz .LBB268_1760
; %bb.1755:                             ;   in Loop: Header=BB268_1574 Depth=1
	s_mov_b32 s10, s8
	v_and_b32_e32 v7, 0xffff, v7
	v_dual_mov_b32 v17, s11 :: v_dual_mov_b32 v16, s10
	s_mov_b32 s10, exec_lo
	s_delay_alu instid0(VALU_DEP_2) | instskip(NEXT) | instid1(VALU_DEP_1)
	v_and_b32_e32 v18, 0x7f, v7
	v_cmpx_ne_u32_e32 0x7f, v18
	s_cbranch_execz .LBB268_1759
; %bb.1756:                             ;   in Loop: Header=BB268_1574 Depth=1
	v_and_b32_e32 v8, 7, v7
	v_lshrrev_b32_e32 v7, 3, v18
	s_mov_b32 s17, exec_lo
	v_cmpx_gt_u32_e32 8, v18
; %bb.1757:                             ;   in Loop: Header=BB268_1574 Depth=1
	s_delay_alu instid0(VALU_DEP_3) | instskip(NEXT) | instid1(VALU_DEP_1)
	v_clz_i32_u32_e32 v7, v8
	v_min_u32_e32 v7, 32, v7
	s_delay_alu instid0(VALU_DEP_1) | instskip(SKIP_1) | instid1(VALU_DEP_2)
	v_subrev_nc_u32_e32 v16, 28, v7
	v_sub_nc_u32_e32 v7, 29, v7
	v_lshlrev_b64 v[16:17], v16, v[8:9]
	s_delay_alu instid0(VALU_DEP_1)
	v_and_b32_e32 v8, 7, v16
; %bb.1758:                             ;   in Loop: Header=BB268_1574 Depth=1
	s_or_b32 exec_lo, exec_lo, s17
	v_lshlrev_b32_e32 v16, 16, v6
	s_delay_alu instid0(VALU_DEP_2) | instskip(SKIP_1) | instid1(VALU_DEP_3)
	v_lshlrev_b32_e32 v8, 20, v8
	v_lshl_add_u32 v7, v7, 23, 0x3c000000
	v_and_b32_e32 v16, 0x80000000, v16
	s_delay_alu instid0(VALU_DEP_1)
	v_or3_b32 v17, v8, v16, v7
	v_mov_b32_e32 v16, v9
.LBB268_1759:                           ;   in Loop: Header=BB268_1574 Depth=1
	s_or_b32 exec_lo, exec_lo, s10
.LBB268_1760:                           ;   in Loop: Header=BB268_1574 Depth=1
	s_delay_alu instid0(SALU_CYCLE_1)
	s_or_b32 exec_lo, exec_lo, s16
.LBB268_1761:                           ;   in Loop: Header=BB268_1574 Depth=1
	s_delay_alu instid0(SALU_CYCLE_1) | instskip(SKIP_4) | instid1(VALU_DEP_2)
	s_or_b32 exec_lo, exec_lo, s15
	v_mov_b32_e32 v20, 0
	v_lshrrev_b32_e32 v7, 16, v6
	v_mov_b32_e32 v21, 0
	s_mov_b32 s10, exec_lo
	v_and_b32_e32 v8, 0xff, v7
	s_delay_alu instid0(VALU_DEP_2) | instskip(NEXT) | instid1(VALU_DEP_2)
	v_dual_mov_b32 v18, v20 :: v_dual_mov_b32 v19, v21
	v_cmpx_ne_u16_e32 0, v8
	s_cbranch_execz .LBB268_1769
; %bb.1762:                             ;   in Loop: Header=BB268_1574 Depth=1
	v_bfrev_b32_e32 v18, 1
	v_mov_b32_e32 v19, 0
	s_mov_b32 s15, exec_lo
	v_cmpx_ne_u16_e32 0x80, v8
	s_cbranch_execz .LBB268_1768
; %bb.1763:                             ;   in Loop: Header=BB268_1574 Depth=1
	v_mov_b32_e32 v18, 0x7f800001
	v_bfe_u32 v22, v6, 16, 7
	v_mov_b32_e32 v19, 0
	s_mov_b32 s16, exec_lo
	s_delay_alu instid0(VALU_DEP_2)
	v_cmpx_ne_u32_e32 0x7f, v22
	s_cbranch_execz .LBB268_1767
; %bb.1764:                             ;   in Loop: Header=BB268_1574 Depth=1
	v_and_b32_e32 v8, 7, v7
	v_lshrrev_b32_e32 v18, 3, v22
	s_mov_b32 s17, exec_lo
	v_cmpx_gt_u32_e32 8, v22
; %bb.1765:                             ;   in Loop: Header=BB268_1574 Depth=1
	s_delay_alu instid0(VALU_DEP_3) | instskip(NEXT) | instid1(VALU_DEP_1)
	v_clz_i32_u32_e32 v18, v8
	v_min_u32_e32 v18, 32, v18
	s_delay_alu instid0(VALU_DEP_1) | instskip(SKIP_1) | instid1(VALU_DEP_2)
	v_subrev_nc_u32_e32 v19, 28, v18
	v_sub_nc_u32_e32 v18, 29, v18
	v_lshlrev_b64 v[22:23], v19, v[8:9]
	s_delay_alu instid0(VALU_DEP_1)
	v_and_b32_e32 v8, 7, v22
; %bb.1766:                             ;   in Loop: Header=BB268_1574 Depth=1
	s_or_b32 exec_lo, exec_lo, s17
	v_lshlrev_b32_e32 v7, 24, v7
	s_delay_alu instid0(VALU_DEP_2) | instskip(SKIP_1) | instid1(VALU_DEP_3)
	v_lshlrev_b32_e32 v8, 20, v8
	v_lshl_add_u32 v18, v18, 23, 0x3c000000
	v_and_b32_e32 v7, 0x80000000, v7
	s_delay_alu instid0(VALU_DEP_1) | instskip(NEXT) | instid1(VALU_DEP_1)
	v_or3_b32 v8, v8, v7, v18
	v_dual_mov_b32 v19, v9 :: v_dual_mov_b32 v18, v8
.LBB268_1767:                           ;   in Loop: Header=BB268_1574 Depth=1
	s_or_b32 exec_lo, exec_lo, s16
.LBB268_1768:                           ;   in Loop: Header=BB268_1574 Depth=1
	s_delay_alu instid0(SALU_CYCLE_1)
	s_or_b32 exec_lo, exec_lo, s15
.LBB268_1769:                           ;   in Loop: Header=BB268_1574 Depth=1
	s_delay_alu instid0(SALU_CYCLE_1) | instskip(NEXT) | instid1(SALU_CYCLE_1)
	s_or_b32 exec_lo, exec_lo, s10
	s_mov_b32 s15, exec_lo
	v_cmpx_lt_u32_e32 0xffffff, v6
	s_cbranch_execz .LBB268_1777
; %bb.1770:                             ;   in Loop: Header=BB268_1574 Depth=1
	v_lshrrev_b32_e32 v7, 24, v6
	v_dual_mov_b32 v21, s9 :: v_dual_mov_b32 v20, s8
	s_mov_b32 s16, exec_lo
	s_delay_alu instid0(VALU_DEP_2)
	v_cmpx_ne_u32_e32 0x80, v7
	s_cbranch_execz .LBB268_1776
; %bb.1771:                             ;   in Loop: Header=BB268_1574 Depth=1
	s_mov_b32 s10, s8
	v_bfe_u32 v22, v6, 24, 7
	v_dual_mov_b32 v21, s11 :: v_dual_mov_b32 v20, s10
	s_mov_b32 s10, exec_lo
	s_delay_alu instid0(VALU_DEP_2)
	v_cmpx_ne_u32_e32 0x7f, v22
	s_cbranch_execz .LBB268_1775
; %bb.1772:                             ;   in Loop: Header=BB268_1574 Depth=1
	v_and_b32_e32 v8, 7, v7
	v_lshrrev_b32_e32 v6, 3, v22
	s_mov_b32 s17, exec_lo
	v_cmpx_gt_u32_e32 8, v22
; %bb.1773:                             ;   in Loop: Header=BB268_1574 Depth=1
	s_delay_alu instid0(VALU_DEP_3) | instskip(NEXT) | instid1(VALU_DEP_1)
	v_clz_i32_u32_e32 v6, v8
	v_min_u32_e32 v6, 32, v6
	s_delay_alu instid0(VALU_DEP_1) | instskip(SKIP_1) | instid1(VALU_DEP_2)
	v_subrev_nc_u32_e32 v20, 28, v6
	v_sub_nc_u32_e32 v6, 29, v6
	v_lshlrev_b64 v[20:21], v20, v[8:9]
	s_delay_alu instid0(VALU_DEP_1)
	v_and_b32_e32 v8, 7, v20
; %bb.1774:                             ;   in Loop: Header=BB268_1574 Depth=1
	s_or_b32 exec_lo, exec_lo, s17
	v_dual_mov_b32 v20, v9 :: v_dual_lshlrev_b32 v7, 24, v7
	s_delay_alu instid0(VALU_DEP_2) | instskip(SKIP_1) | instid1(VALU_DEP_3)
	v_lshlrev_b32_e32 v8, 20, v8
	v_lshl_add_u32 v6, v6, 23, 0x3c000000
	v_and_b32_e32 v7, 0x80000000, v7
	s_delay_alu instid0(VALU_DEP_1)
	v_or3_b32 v21, v8, v7, v6
.LBB268_1775:                           ;   in Loop: Header=BB268_1574 Depth=1
	s_or_b32 exec_lo, exec_lo, s10
.LBB268_1776:                           ;   in Loop: Header=BB268_1574 Depth=1
	s_delay_alu instid0(SALU_CYCLE_1)
	s_or_b32 exec_lo, exec_lo, s16
.LBB268_1777:                           ;   in Loop: Header=BB268_1574 Depth=1
	s_delay_alu instid0(SALU_CYCLE_1) | instskip(SKIP_4) | instid1(VALU_DEP_4)
	s_or_b32 exec_lo, exec_lo, s15
	v_or_b32_e32 v4, v16, v4
	v_or_b32_e32 v5, v17, v5
	;; [unrolled: 1-line block ×4, first 2 shown]
	v_mul_f32_e32 v4, v167, v4
	s_delay_alu instid0(VALU_DEP_4)
	v_mul_f32_e32 v5, v167, v5
	scratch_store_b32 off, v4, s32 offset:536 ; 4-byte Folded Spill
	v_mul_f32_e32 v4, v167, v6
	s_clause 0x1
	scratch_store_b32 off, v5, s32 offset:544
	scratch_store_b32 off, v4, s32 offset:520
	v_mul_f32_e32 v4, v167, v7
	scratch_store_b32 off, v4, s32 offset:528 ; 4-byte Folded Spill
	s_and_saveexec_b32 s10, vcc_lo
	s_cbranch_execz .LBB268_1779
; %bb.1778:                             ;   in Loop: Header=BB268_1574 Depth=1
	scratch_load_b32 v4, off, s32 offset:536 ; 4-byte Folded Reload
	v_cmp_lt_i32_e64 s0, v180, v35
	s_waitcnt vmcnt(0)
	s_delay_alu instid0(VALU_DEP_1)
	v_cndmask_b32_e64 v4, 0, v4, s0
	v_cmp_lt_i32_e64 s0, v183, v35
	scratch_store_b32 off, v4, s32 offset:536 ; 4-byte Folded Spill
	scratch_load_b32 v4, off, s32 offset:544 ; 4-byte Folded Reload
	s_waitcnt vmcnt(0)
	v_cndmask_b32_e64 v4, 0, v4, s0
	v_cmp_lt_i32_e64 s0, v182, v35
	scratch_store_b32 off, v4, s32 offset:544 ; 4-byte Folded Spill
	scratch_load_b32 v4, off, s32 offset:528 ; 4-byte Folded Reload
	s_waitcnt vmcnt(0)
	;; [unrolled: 5-line block ×3, first 2 shown]
	v_cndmask_b32_e64 v4, 0, v4, s0
	scratch_store_b32 off, v4, s32 offset:520 ; 4-byte Folded Spill
.LBB268_1779:                           ;   in Loop: Header=BB268_1574 Depth=1
	s_or_b32 exec_lo, exec_lo, s10
	flat_load_b32 v6, v[14:15] offset:768
	v_mov_b32_e32 v16, 0
	v_mov_b32_e32 v17, 0
	s_delay_alu instid0(VALU_DEP_2) | instskip(SKIP_1) | instid1(VALU_DEP_2)
	v_mov_b32_e32 v4, v16
	s_mov_b32 s10, exec_lo
	v_mov_b32_e32 v5, v17
	s_waitcnt vmcnt(0) lgkmcnt(0)
	v_and_b32_e32 v7, 0xff, v6
	s_delay_alu instid0(VALU_DEP_1)
	v_cmpx_ne_u16_e32 0, v7
	s_cbranch_execz .LBB268_1787
; %bb.1780:                             ;   in Loop: Header=BB268_1574 Depth=1
	v_bfrev_b32_e32 v4, 1
	v_mov_b32_e32 v5, 0
	s_mov_b32 s15, exec_lo
	v_cmpx_ne_u16_e32 0x80, v7
	s_cbranch_execz .LBB268_1786
; %bb.1781:                             ;   in Loop: Header=BB268_1574 Depth=1
	v_mov_b32_e32 v4, 0x7f800001
	v_and_b32_e32 v7, 0x7f, v6
	v_mov_b32_e32 v5, 0
	s_mov_b32 s16, exec_lo
	s_delay_alu instid0(VALU_DEP_2)
	v_cmpx_ne_u32_e32 0x7f, v7
	s_cbranch_execz .LBB268_1785
; %bb.1782:                             ;   in Loop: Header=BB268_1574 Depth=1
	v_and_b32_e32 v8, 7, v6
	v_lshrrev_b32_e32 v4, 3, v7
	s_mov_b32 s17, exec_lo
	v_cmpx_gt_u32_e32 8, v7
; %bb.1783:                             ;   in Loop: Header=BB268_1574 Depth=1
	s_delay_alu instid0(VALU_DEP_3) | instskip(NEXT) | instid1(VALU_DEP_1)
	v_clz_i32_u32_e32 v4, v8
	v_min_u32_e32 v4, 32, v4
	s_delay_alu instid0(VALU_DEP_1) | instskip(SKIP_1) | instid1(VALU_DEP_2)
	v_subrev_nc_u32_e32 v5, 28, v4
	v_sub_nc_u32_e32 v4, 29, v4
	v_lshlrev_b64 v[7:8], v5, v[8:9]
	s_delay_alu instid0(VALU_DEP_1)
	v_and_b32_e32 v8, 7, v7
; %bb.1784:                             ;   in Loop: Header=BB268_1574 Depth=1
	s_or_b32 exec_lo, exec_lo, s17
	v_lshlrev_b32_e32 v5, 24, v6
	s_delay_alu instid0(VALU_DEP_2) | instskip(SKIP_1) | instid1(VALU_DEP_3)
	v_lshlrev_b32_e32 v7, 20, v8
	v_lshl_add_u32 v4, v4, 23, 0x3c000000
	v_and_b32_e32 v5, 0x80000000, v5
	s_delay_alu instid0(VALU_DEP_1) | instskip(NEXT) | instid1(VALU_DEP_1)
	v_or3_b32 v8, v7, v5, v4
	v_dual_mov_b32 v4, v8 :: v_dual_mov_b32 v5, v9
.LBB268_1785:                           ;   in Loop: Header=BB268_1574 Depth=1
	s_or_b32 exec_lo, exec_lo, s16
.LBB268_1786:                           ;   in Loop: Header=BB268_1574 Depth=1
	s_delay_alu instid0(SALU_CYCLE_1)
	s_or_b32 exec_lo, exec_lo, s15
.LBB268_1787:                           ;   in Loop: Header=BB268_1574 Depth=1
	s_delay_alu instid0(SALU_CYCLE_1) | instskip(SKIP_2) | instid1(VALU_DEP_1)
	s_or_b32 exec_lo, exec_lo, s10
	v_lshrrev_b16 v7, 8, v6
	s_mov_b32 s15, exec_lo
	v_cmpx_ne_u16_e32 0, v7
	s_cbranch_execz .LBB268_1795
; %bb.1788:                             ;   in Loop: Header=BB268_1574 Depth=1
	v_dual_mov_b32 v17, s9 :: v_dual_mov_b32 v16, s8
	s_mov_b32 s16, exec_lo
	v_cmpx_ne_u16_e32 0x80, v7
	s_cbranch_execz .LBB268_1794
; %bb.1789:                             ;   in Loop: Header=BB268_1574 Depth=1
	s_mov_b32 s10, s8
	v_and_b32_e32 v7, 0xffff, v7
	v_dual_mov_b32 v17, s11 :: v_dual_mov_b32 v16, s10
	s_mov_b32 s10, exec_lo
	s_delay_alu instid0(VALU_DEP_2) | instskip(NEXT) | instid1(VALU_DEP_1)
	v_and_b32_e32 v18, 0x7f, v7
	v_cmpx_ne_u32_e32 0x7f, v18
	s_cbranch_execz .LBB268_1793
; %bb.1790:                             ;   in Loop: Header=BB268_1574 Depth=1
	v_and_b32_e32 v8, 7, v7
	v_lshrrev_b32_e32 v7, 3, v18
	s_mov_b32 s17, exec_lo
	v_cmpx_gt_u32_e32 8, v18
; %bb.1791:                             ;   in Loop: Header=BB268_1574 Depth=1
	s_delay_alu instid0(VALU_DEP_3) | instskip(NEXT) | instid1(VALU_DEP_1)
	v_clz_i32_u32_e32 v7, v8
	v_min_u32_e32 v7, 32, v7
	s_delay_alu instid0(VALU_DEP_1) | instskip(SKIP_1) | instid1(VALU_DEP_2)
	v_subrev_nc_u32_e32 v16, 28, v7
	v_sub_nc_u32_e32 v7, 29, v7
	v_lshlrev_b64 v[16:17], v16, v[8:9]
	s_delay_alu instid0(VALU_DEP_1)
	v_and_b32_e32 v8, 7, v16
; %bb.1792:                             ;   in Loop: Header=BB268_1574 Depth=1
	s_or_b32 exec_lo, exec_lo, s17
	v_lshlrev_b32_e32 v16, 16, v6
	s_delay_alu instid0(VALU_DEP_2) | instskip(SKIP_1) | instid1(VALU_DEP_3)
	v_lshlrev_b32_e32 v8, 20, v8
	v_lshl_add_u32 v7, v7, 23, 0x3c000000
	v_and_b32_e32 v16, 0x80000000, v16
	s_delay_alu instid0(VALU_DEP_1)
	v_or3_b32 v17, v8, v16, v7
	v_mov_b32_e32 v16, v9
.LBB268_1793:                           ;   in Loop: Header=BB268_1574 Depth=1
	s_or_b32 exec_lo, exec_lo, s10
.LBB268_1794:                           ;   in Loop: Header=BB268_1574 Depth=1
	s_delay_alu instid0(SALU_CYCLE_1)
	s_or_b32 exec_lo, exec_lo, s16
.LBB268_1795:                           ;   in Loop: Header=BB268_1574 Depth=1
	s_delay_alu instid0(SALU_CYCLE_1) | instskip(SKIP_4) | instid1(VALU_DEP_2)
	s_or_b32 exec_lo, exec_lo, s15
	v_mov_b32_e32 v20, 0
	v_lshrrev_b32_e32 v7, 16, v6
	v_mov_b32_e32 v21, 0
	s_mov_b32 s10, exec_lo
	v_and_b32_e32 v8, 0xff, v7
	s_delay_alu instid0(VALU_DEP_2) | instskip(NEXT) | instid1(VALU_DEP_2)
	v_dual_mov_b32 v18, v20 :: v_dual_mov_b32 v19, v21
	v_cmpx_ne_u16_e32 0, v8
	s_cbranch_execz .LBB268_1803
; %bb.1796:                             ;   in Loop: Header=BB268_1574 Depth=1
	v_bfrev_b32_e32 v18, 1
	v_mov_b32_e32 v19, 0
	s_mov_b32 s15, exec_lo
	v_cmpx_ne_u16_e32 0x80, v8
	s_cbranch_execz .LBB268_1802
; %bb.1797:                             ;   in Loop: Header=BB268_1574 Depth=1
	v_mov_b32_e32 v18, 0x7f800001
	v_bfe_u32 v22, v6, 16, 7
	v_mov_b32_e32 v19, 0
	s_mov_b32 s16, exec_lo
	s_delay_alu instid0(VALU_DEP_2)
	v_cmpx_ne_u32_e32 0x7f, v22
	s_cbranch_execz .LBB268_1801
; %bb.1798:                             ;   in Loop: Header=BB268_1574 Depth=1
	v_and_b32_e32 v8, 7, v7
	v_lshrrev_b32_e32 v18, 3, v22
	s_mov_b32 s17, exec_lo
	v_cmpx_gt_u32_e32 8, v22
; %bb.1799:                             ;   in Loop: Header=BB268_1574 Depth=1
	s_delay_alu instid0(VALU_DEP_3) | instskip(NEXT) | instid1(VALU_DEP_1)
	v_clz_i32_u32_e32 v18, v8
	v_min_u32_e32 v18, 32, v18
	s_delay_alu instid0(VALU_DEP_1) | instskip(SKIP_1) | instid1(VALU_DEP_2)
	v_subrev_nc_u32_e32 v19, 28, v18
	v_sub_nc_u32_e32 v18, 29, v18
	v_lshlrev_b64 v[22:23], v19, v[8:9]
	s_delay_alu instid0(VALU_DEP_1)
	v_and_b32_e32 v8, 7, v22
; %bb.1800:                             ;   in Loop: Header=BB268_1574 Depth=1
	s_or_b32 exec_lo, exec_lo, s17
	v_lshlrev_b32_e32 v7, 24, v7
	s_delay_alu instid0(VALU_DEP_2) | instskip(SKIP_1) | instid1(VALU_DEP_3)
	v_lshlrev_b32_e32 v8, 20, v8
	v_lshl_add_u32 v18, v18, 23, 0x3c000000
	v_and_b32_e32 v7, 0x80000000, v7
	s_delay_alu instid0(VALU_DEP_1) | instskip(NEXT) | instid1(VALU_DEP_1)
	v_or3_b32 v8, v8, v7, v18
	v_dual_mov_b32 v19, v9 :: v_dual_mov_b32 v18, v8
.LBB268_1801:                           ;   in Loop: Header=BB268_1574 Depth=1
	s_or_b32 exec_lo, exec_lo, s16
.LBB268_1802:                           ;   in Loop: Header=BB268_1574 Depth=1
	s_delay_alu instid0(SALU_CYCLE_1)
	s_or_b32 exec_lo, exec_lo, s15
.LBB268_1803:                           ;   in Loop: Header=BB268_1574 Depth=1
	s_delay_alu instid0(SALU_CYCLE_1) | instskip(NEXT) | instid1(SALU_CYCLE_1)
	s_or_b32 exec_lo, exec_lo, s10
	s_mov_b32 s15, exec_lo
	v_cmpx_lt_u32_e32 0xffffff, v6
	s_cbranch_execz .LBB268_1811
; %bb.1804:                             ;   in Loop: Header=BB268_1574 Depth=1
	v_lshrrev_b32_e32 v7, 24, v6
	v_dual_mov_b32 v21, s9 :: v_dual_mov_b32 v20, s8
	s_mov_b32 s16, exec_lo
	s_delay_alu instid0(VALU_DEP_2)
	v_cmpx_ne_u32_e32 0x80, v7
	s_cbranch_execz .LBB268_1810
; %bb.1805:                             ;   in Loop: Header=BB268_1574 Depth=1
	s_mov_b32 s10, s8
	v_bfe_u32 v22, v6, 24, 7
	v_dual_mov_b32 v21, s11 :: v_dual_mov_b32 v20, s10
	s_mov_b32 s10, exec_lo
	s_delay_alu instid0(VALU_DEP_2)
	v_cmpx_ne_u32_e32 0x7f, v22
	s_cbranch_execz .LBB268_1809
; %bb.1806:                             ;   in Loop: Header=BB268_1574 Depth=1
	v_and_b32_e32 v8, 7, v7
	v_lshrrev_b32_e32 v6, 3, v22
	s_mov_b32 s17, exec_lo
	v_cmpx_gt_u32_e32 8, v22
; %bb.1807:                             ;   in Loop: Header=BB268_1574 Depth=1
	s_delay_alu instid0(VALU_DEP_3) | instskip(NEXT) | instid1(VALU_DEP_1)
	v_clz_i32_u32_e32 v6, v8
	v_min_u32_e32 v6, 32, v6
	s_delay_alu instid0(VALU_DEP_1) | instskip(SKIP_1) | instid1(VALU_DEP_2)
	v_subrev_nc_u32_e32 v20, 28, v6
	v_sub_nc_u32_e32 v6, 29, v6
	v_lshlrev_b64 v[20:21], v20, v[8:9]
	s_delay_alu instid0(VALU_DEP_1)
	v_and_b32_e32 v8, 7, v20
; %bb.1808:                             ;   in Loop: Header=BB268_1574 Depth=1
	s_or_b32 exec_lo, exec_lo, s17
	v_dual_mov_b32 v20, v9 :: v_dual_lshlrev_b32 v7, 24, v7
	s_delay_alu instid0(VALU_DEP_2) | instskip(SKIP_1) | instid1(VALU_DEP_3)
	v_lshlrev_b32_e32 v8, 20, v8
	v_lshl_add_u32 v6, v6, 23, 0x3c000000
	v_and_b32_e32 v7, 0x80000000, v7
	s_delay_alu instid0(VALU_DEP_1)
	v_or3_b32 v21, v8, v7, v6
.LBB268_1809:                           ;   in Loop: Header=BB268_1574 Depth=1
	s_or_b32 exec_lo, exec_lo, s10
.LBB268_1810:                           ;   in Loop: Header=BB268_1574 Depth=1
	s_delay_alu instid0(SALU_CYCLE_1)
	s_or_b32 exec_lo, exec_lo, s16
.LBB268_1811:                           ;   in Loop: Header=BB268_1574 Depth=1
	s_delay_alu instid0(SALU_CYCLE_1) | instskip(SKIP_4) | instid1(VALU_DEP_4)
	s_or_b32 exec_lo, exec_lo, s15
	v_or_b32_e32 v4, v16, v4
	v_or_b32_e32 v6, v21, v19
	;; [unrolled: 1-line block ×4, first 2 shown]
	v_mul_f32_e32 v73, v167, v4
	s_delay_alu instid0(VALU_DEP_4) | instskip(NEXT) | instid1(VALU_DEP_4)
	v_mul_f32_e32 v4, v167, v6
	v_mul_f32_e32 v74, v167, v5
	scratch_store_b32 off, v4, s32 offset:552 ; 4-byte Folded Spill
	v_mul_f32_e32 v4, v167, v7
	scratch_store_b32 off, v4, s32 offset:560 ; 4-byte Folded Spill
	s_and_saveexec_b32 s10, vcc_lo
	s_cbranch_execz .LBB268_1813
; %bb.1812:                             ;   in Loop: Header=BB268_1574 Depth=1
	scratch_load_b32 v4, off, s32 offset:560 ; 4-byte Folded Reload
	v_cmp_lt_i32_e64 s0, v180, v35
	s_delay_alu instid0(VALU_DEP_1) | instskip(SKIP_1) | instid1(VALU_DEP_1)
	v_cndmask_b32_e64 v73, 0, v73, s0
	v_cmp_lt_i32_e64 s0, v183, v35
	v_cndmask_b32_e64 v74, 0, v74, s0
	v_cmp_lt_i32_e64 s0, v182, v35
	s_waitcnt vmcnt(0)
	s_delay_alu instid0(VALU_DEP_1)
	v_cndmask_b32_e64 v4, 0, v4, s0
	v_cmp_lt_i32_e64 s0, v181, v35
	scratch_store_b32 off, v4, s32 offset:560 ; 4-byte Folded Spill
	scratch_load_b32 v4, off, s32 offset:552 ; 4-byte Folded Reload
	s_waitcnt vmcnt(0)
	v_cndmask_b32_e64 v4, 0, v4, s0
	scratch_store_b32 off, v4, s32 offset:552 ; 4-byte Folded Spill
.LBB268_1813:                           ;   in Loop: Header=BB268_1574 Depth=1
	s_or_b32 exec_lo, exec_lo, s10
	flat_load_b32 v6, v[14:15] offset:896
	v_mov_b32_e32 v16, 0
	v_mov_b32_e32 v17, 0
	s_delay_alu instid0(VALU_DEP_2) | instskip(SKIP_1) | instid1(VALU_DEP_2)
	v_mov_b32_e32 v4, v16
	s_mov_b32 s10, exec_lo
	v_mov_b32_e32 v5, v17
	s_waitcnt vmcnt(0) lgkmcnt(0)
	v_and_b32_e32 v7, 0xff, v6
	s_delay_alu instid0(VALU_DEP_1)
	v_cmpx_ne_u16_e32 0, v7
	s_cbranch_execz .LBB268_1821
; %bb.1814:                             ;   in Loop: Header=BB268_1574 Depth=1
	v_bfrev_b32_e32 v4, 1
	v_mov_b32_e32 v5, 0
	s_mov_b32 s15, exec_lo
	v_cmpx_ne_u16_e32 0x80, v7
	s_cbranch_execz .LBB268_1820
; %bb.1815:                             ;   in Loop: Header=BB268_1574 Depth=1
	v_mov_b32_e32 v4, 0x7f800001
	v_and_b32_e32 v7, 0x7f, v6
	v_mov_b32_e32 v5, 0
	s_mov_b32 s16, exec_lo
	s_delay_alu instid0(VALU_DEP_2)
	v_cmpx_ne_u32_e32 0x7f, v7
	s_cbranch_execz .LBB268_1819
; %bb.1816:                             ;   in Loop: Header=BB268_1574 Depth=1
	v_and_b32_e32 v8, 7, v6
	v_lshrrev_b32_e32 v4, 3, v7
	s_mov_b32 s17, exec_lo
	v_cmpx_gt_u32_e32 8, v7
; %bb.1817:                             ;   in Loop: Header=BB268_1574 Depth=1
	s_delay_alu instid0(VALU_DEP_3) | instskip(NEXT) | instid1(VALU_DEP_1)
	v_clz_i32_u32_e32 v4, v8
	v_min_u32_e32 v4, 32, v4
	s_delay_alu instid0(VALU_DEP_1) | instskip(SKIP_1) | instid1(VALU_DEP_2)
	v_subrev_nc_u32_e32 v5, 28, v4
	v_sub_nc_u32_e32 v4, 29, v4
	v_lshlrev_b64 v[7:8], v5, v[8:9]
	s_delay_alu instid0(VALU_DEP_1)
	v_and_b32_e32 v8, 7, v7
; %bb.1818:                             ;   in Loop: Header=BB268_1574 Depth=1
	s_or_b32 exec_lo, exec_lo, s17
	v_lshlrev_b32_e32 v5, 24, v6
	s_delay_alu instid0(VALU_DEP_2) | instskip(SKIP_1) | instid1(VALU_DEP_3)
	v_lshlrev_b32_e32 v7, 20, v8
	v_lshl_add_u32 v4, v4, 23, 0x3c000000
	v_and_b32_e32 v5, 0x80000000, v5
	s_delay_alu instid0(VALU_DEP_1) | instskip(NEXT) | instid1(VALU_DEP_1)
	v_or3_b32 v8, v7, v5, v4
	v_dual_mov_b32 v4, v8 :: v_dual_mov_b32 v5, v9
.LBB268_1819:                           ;   in Loop: Header=BB268_1574 Depth=1
	s_or_b32 exec_lo, exec_lo, s16
.LBB268_1820:                           ;   in Loop: Header=BB268_1574 Depth=1
	s_delay_alu instid0(SALU_CYCLE_1)
	s_or_b32 exec_lo, exec_lo, s15
.LBB268_1821:                           ;   in Loop: Header=BB268_1574 Depth=1
	s_delay_alu instid0(SALU_CYCLE_1) | instskip(SKIP_2) | instid1(VALU_DEP_1)
	s_or_b32 exec_lo, exec_lo, s10
	v_lshrrev_b16 v7, 8, v6
	s_mov_b32 s15, exec_lo
	v_cmpx_ne_u16_e32 0, v7
	s_cbranch_execz .LBB268_1829
; %bb.1822:                             ;   in Loop: Header=BB268_1574 Depth=1
	v_dual_mov_b32 v17, s9 :: v_dual_mov_b32 v16, s8
	s_mov_b32 s16, exec_lo
	v_cmpx_ne_u16_e32 0x80, v7
	s_cbranch_execz .LBB268_1828
; %bb.1823:                             ;   in Loop: Header=BB268_1574 Depth=1
	s_mov_b32 s10, s8
	v_and_b32_e32 v7, 0xffff, v7
	v_dual_mov_b32 v17, s11 :: v_dual_mov_b32 v16, s10
	s_mov_b32 s10, exec_lo
	s_delay_alu instid0(VALU_DEP_2) | instskip(NEXT) | instid1(VALU_DEP_1)
	v_and_b32_e32 v18, 0x7f, v7
	v_cmpx_ne_u32_e32 0x7f, v18
	s_cbranch_execz .LBB268_1827
; %bb.1824:                             ;   in Loop: Header=BB268_1574 Depth=1
	v_and_b32_e32 v8, 7, v7
	v_lshrrev_b32_e32 v7, 3, v18
	s_mov_b32 s17, exec_lo
	v_cmpx_gt_u32_e32 8, v18
; %bb.1825:                             ;   in Loop: Header=BB268_1574 Depth=1
	s_delay_alu instid0(VALU_DEP_3) | instskip(NEXT) | instid1(VALU_DEP_1)
	v_clz_i32_u32_e32 v7, v8
	v_min_u32_e32 v7, 32, v7
	s_delay_alu instid0(VALU_DEP_1) | instskip(SKIP_1) | instid1(VALU_DEP_2)
	v_subrev_nc_u32_e32 v16, 28, v7
	v_sub_nc_u32_e32 v7, 29, v7
	v_lshlrev_b64 v[16:17], v16, v[8:9]
	s_delay_alu instid0(VALU_DEP_1)
	v_and_b32_e32 v8, 7, v16
; %bb.1826:                             ;   in Loop: Header=BB268_1574 Depth=1
	s_or_b32 exec_lo, exec_lo, s17
	v_lshlrev_b32_e32 v16, 16, v6
	s_delay_alu instid0(VALU_DEP_2) | instskip(SKIP_1) | instid1(VALU_DEP_3)
	v_lshlrev_b32_e32 v8, 20, v8
	v_lshl_add_u32 v7, v7, 23, 0x3c000000
	v_and_b32_e32 v16, 0x80000000, v16
	s_delay_alu instid0(VALU_DEP_1)
	v_or3_b32 v17, v8, v16, v7
	v_mov_b32_e32 v16, v9
.LBB268_1827:                           ;   in Loop: Header=BB268_1574 Depth=1
	s_or_b32 exec_lo, exec_lo, s10
.LBB268_1828:                           ;   in Loop: Header=BB268_1574 Depth=1
	s_delay_alu instid0(SALU_CYCLE_1)
	s_or_b32 exec_lo, exec_lo, s16
.LBB268_1829:                           ;   in Loop: Header=BB268_1574 Depth=1
	s_delay_alu instid0(SALU_CYCLE_1) | instskip(SKIP_4) | instid1(VALU_DEP_2)
	s_or_b32 exec_lo, exec_lo, s15
	v_mov_b32_e32 v20, 0
	v_lshrrev_b32_e32 v7, 16, v6
	v_mov_b32_e32 v21, 0
	s_mov_b32 s10, exec_lo
	v_and_b32_e32 v8, 0xff, v7
	s_delay_alu instid0(VALU_DEP_2) | instskip(NEXT) | instid1(VALU_DEP_2)
	v_dual_mov_b32 v18, v20 :: v_dual_mov_b32 v19, v21
	v_cmpx_ne_u16_e32 0, v8
	s_cbranch_execz .LBB268_1837
; %bb.1830:                             ;   in Loop: Header=BB268_1574 Depth=1
	v_bfrev_b32_e32 v18, 1
	v_mov_b32_e32 v19, 0
	s_mov_b32 s15, exec_lo
	v_cmpx_ne_u16_e32 0x80, v8
	s_cbranch_execz .LBB268_1836
; %bb.1831:                             ;   in Loop: Header=BB268_1574 Depth=1
	v_mov_b32_e32 v18, 0x7f800001
	v_bfe_u32 v22, v6, 16, 7
	v_mov_b32_e32 v19, 0
	s_mov_b32 s16, exec_lo
	s_delay_alu instid0(VALU_DEP_2)
	v_cmpx_ne_u32_e32 0x7f, v22
	s_cbranch_execz .LBB268_1835
; %bb.1832:                             ;   in Loop: Header=BB268_1574 Depth=1
	v_and_b32_e32 v8, 7, v7
	v_lshrrev_b32_e32 v18, 3, v22
	s_mov_b32 s17, exec_lo
	v_cmpx_gt_u32_e32 8, v22
; %bb.1833:                             ;   in Loop: Header=BB268_1574 Depth=1
	s_delay_alu instid0(VALU_DEP_3) | instskip(NEXT) | instid1(VALU_DEP_1)
	v_clz_i32_u32_e32 v18, v8
	v_min_u32_e32 v18, 32, v18
	s_delay_alu instid0(VALU_DEP_1) | instskip(SKIP_1) | instid1(VALU_DEP_2)
	v_subrev_nc_u32_e32 v19, 28, v18
	v_sub_nc_u32_e32 v18, 29, v18
	v_lshlrev_b64 v[22:23], v19, v[8:9]
	s_delay_alu instid0(VALU_DEP_1)
	v_and_b32_e32 v8, 7, v22
; %bb.1834:                             ;   in Loop: Header=BB268_1574 Depth=1
	s_or_b32 exec_lo, exec_lo, s17
	v_lshlrev_b32_e32 v7, 24, v7
	s_delay_alu instid0(VALU_DEP_2) | instskip(SKIP_1) | instid1(VALU_DEP_3)
	v_lshlrev_b32_e32 v8, 20, v8
	v_lshl_add_u32 v18, v18, 23, 0x3c000000
	v_and_b32_e32 v7, 0x80000000, v7
	s_delay_alu instid0(VALU_DEP_1) | instskip(NEXT) | instid1(VALU_DEP_1)
	v_or3_b32 v8, v8, v7, v18
	v_dual_mov_b32 v19, v9 :: v_dual_mov_b32 v18, v8
.LBB268_1835:                           ;   in Loop: Header=BB268_1574 Depth=1
	s_or_b32 exec_lo, exec_lo, s16
.LBB268_1836:                           ;   in Loop: Header=BB268_1574 Depth=1
	s_delay_alu instid0(SALU_CYCLE_1)
	s_or_b32 exec_lo, exec_lo, s15
.LBB268_1837:                           ;   in Loop: Header=BB268_1574 Depth=1
	s_delay_alu instid0(SALU_CYCLE_1) | instskip(NEXT) | instid1(SALU_CYCLE_1)
	s_or_b32 exec_lo, exec_lo, s10
	s_mov_b32 s15, exec_lo
	v_cmpx_lt_u32_e32 0xffffff, v6
	s_cbranch_execz .LBB268_1845
; %bb.1838:                             ;   in Loop: Header=BB268_1574 Depth=1
	v_lshrrev_b32_e32 v7, 24, v6
	v_dual_mov_b32 v21, s9 :: v_dual_mov_b32 v20, s8
	s_mov_b32 s16, exec_lo
	s_delay_alu instid0(VALU_DEP_2)
	v_cmpx_ne_u32_e32 0x80, v7
	s_cbranch_execz .LBB268_1844
; %bb.1839:                             ;   in Loop: Header=BB268_1574 Depth=1
	s_mov_b32 s10, s8
	v_bfe_u32 v22, v6, 24, 7
	v_dual_mov_b32 v21, s11 :: v_dual_mov_b32 v20, s10
	s_mov_b32 s10, exec_lo
	s_delay_alu instid0(VALU_DEP_2)
	v_cmpx_ne_u32_e32 0x7f, v22
	s_cbranch_execz .LBB268_1843
; %bb.1840:                             ;   in Loop: Header=BB268_1574 Depth=1
	v_and_b32_e32 v8, 7, v7
	v_lshrrev_b32_e32 v6, 3, v22
	s_mov_b32 s17, exec_lo
	v_cmpx_gt_u32_e32 8, v22
; %bb.1841:                             ;   in Loop: Header=BB268_1574 Depth=1
	s_delay_alu instid0(VALU_DEP_3) | instskip(NEXT) | instid1(VALU_DEP_1)
	v_clz_i32_u32_e32 v6, v8
	v_min_u32_e32 v6, 32, v6
	s_delay_alu instid0(VALU_DEP_1) | instskip(SKIP_1) | instid1(VALU_DEP_2)
	v_subrev_nc_u32_e32 v20, 28, v6
	v_sub_nc_u32_e32 v6, 29, v6
	v_lshlrev_b64 v[20:21], v20, v[8:9]
	s_delay_alu instid0(VALU_DEP_1)
	v_and_b32_e32 v8, 7, v20
; %bb.1842:                             ;   in Loop: Header=BB268_1574 Depth=1
	s_or_b32 exec_lo, exec_lo, s17
	v_dual_mov_b32 v20, v9 :: v_dual_lshlrev_b32 v7, 24, v7
	s_delay_alu instid0(VALU_DEP_2) | instskip(SKIP_1) | instid1(VALU_DEP_3)
	v_lshlrev_b32_e32 v8, 20, v8
	v_lshl_add_u32 v6, v6, 23, 0x3c000000
	v_and_b32_e32 v7, 0x80000000, v7
	s_delay_alu instid0(VALU_DEP_1)
	v_or3_b32 v21, v8, v7, v6
.LBB268_1843:                           ;   in Loop: Header=BB268_1574 Depth=1
	s_or_b32 exec_lo, exec_lo, s10
.LBB268_1844:                           ;   in Loop: Header=BB268_1574 Depth=1
	s_delay_alu instid0(SALU_CYCLE_1)
	s_or_b32 exec_lo, exec_lo, s16
.LBB268_1845:                           ;   in Loop: Header=BB268_1574 Depth=1
	s_delay_alu instid0(SALU_CYCLE_1) | instskip(SKIP_4) | instid1(VALU_DEP_4)
	s_or_b32 exec_lo, exec_lo, s15
	v_or_b32_e32 v5, v17, v5
	v_or_b32_e32 v4, v16, v4
	;; [unrolled: 1-line block ×4, first 2 shown]
	v_mul_f32_e32 v78, v167, v5
	s_delay_alu instid0(VALU_DEP_4) | instskip(NEXT) | instid1(VALU_DEP_4)
	v_mul_f32_e32 v77, v167, v4
	v_mul_f32_e32 v75, v167, v6
	s_delay_alu instid0(VALU_DEP_4)
	v_mul_f32_e32 v76, v167, v7
	s_and_saveexec_b32 s10, vcc_lo
; %bb.1846:                             ;   in Loop: Header=BB268_1574 Depth=1
	v_cmp_lt_i32_e64 s0, v180, v35
	s_delay_alu instid0(VALU_DEP_1) | instskip(SKIP_1) | instid1(VALU_DEP_1)
	v_cndmask_b32_e64 v77, 0, v77, s0
	v_cmp_lt_i32_e64 s0, v183, v35
	v_cndmask_b32_e64 v78, 0, v78, s0
	v_cmp_lt_i32_e64 s0, v182, v35
	s_delay_alu instid0(VALU_DEP_1) | instskip(SKIP_1) | instid1(VALU_DEP_1)
	v_cndmask_b32_e64 v76, 0, v76, s0
	v_cmp_lt_i32_e64 s0, v181, v35
	v_cndmask_b32_e64 v75, 0, v75, s0
; %bb.1847:                             ;   in Loop: Header=BB268_1574 Depth=1
	s_or_b32 exec_lo, exec_lo, s10
	flat_load_b32 v6, v[14:15] offset:1024
	v_mov_b32_e32 v16, 0
	v_mov_b32_e32 v17, 0
	s_delay_alu instid0(VALU_DEP_2) | instskip(SKIP_1) | instid1(VALU_DEP_2)
	v_mov_b32_e32 v4, v16
	s_mov_b32 s10, exec_lo
	v_mov_b32_e32 v5, v17
	s_waitcnt vmcnt(0) lgkmcnt(0)
	v_and_b32_e32 v7, 0xff, v6
	s_delay_alu instid0(VALU_DEP_1)
	v_cmpx_ne_u16_e32 0, v7
	s_cbranch_execz .LBB268_1855
; %bb.1848:                             ;   in Loop: Header=BB268_1574 Depth=1
	v_bfrev_b32_e32 v4, 1
	v_mov_b32_e32 v5, 0
	s_mov_b32 s15, exec_lo
	v_cmpx_ne_u16_e32 0x80, v7
	s_cbranch_execz .LBB268_1854
; %bb.1849:                             ;   in Loop: Header=BB268_1574 Depth=1
	v_mov_b32_e32 v4, 0x7f800001
	v_and_b32_e32 v7, 0x7f, v6
	v_mov_b32_e32 v5, 0
	s_mov_b32 s16, exec_lo
	s_delay_alu instid0(VALU_DEP_2)
	v_cmpx_ne_u32_e32 0x7f, v7
	s_cbranch_execz .LBB268_1853
; %bb.1850:                             ;   in Loop: Header=BB268_1574 Depth=1
	v_and_b32_e32 v8, 7, v6
	v_lshrrev_b32_e32 v4, 3, v7
	s_mov_b32 s17, exec_lo
	v_cmpx_gt_u32_e32 8, v7
; %bb.1851:                             ;   in Loop: Header=BB268_1574 Depth=1
	s_delay_alu instid0(VALU_DEP_3) | instskip(NEXT) | instid1(VALU_DEP_1)
	v_clz_i32_u32_e32 v4, v8
	v_min_u32_e32 v4, 32, v4
	s_delay_alu instid0(VALU_DEP_1) | instskip(SKIP_1) | instid1(VALU_DEP_2)
	v_subrev_nc_u32_e32 v5, 28, v4
	v_sub_nc_u32_e32 v4, 29, v4
	v_lshlrev_b64 v[7:8], v5, v[8:9]
	s_delay_alu instid0(VALU_DEP_1)
	v_and_b32_e32 v8, 7, v7
; %bb.1852:                             ;   in Loop: Header=BB268_1574 Depth=1
	s_or_b32 exec_lo, exec_lo, s17
	v_lshlrev_b32_e32 v5, 24, v6
	s_delay_alu instid0(VALU_DEP_2) | instskip(SKIP_1) | instid1(VALU_DEP_3)
	v_lshlrev_b32_e32 v7, 20, v8
	v_lshl_add_u32 v4, v4, 23, 0x3c000000
	v_and_b32_e32 v5, 0x80000000, v5
	s_delay_alu instid0(VALU_DEP_1) | instskip(NEXT) | instid1(VALU_DEP_1)
	v_or3_b32 v8, v7, v5, v4
	v_dual_mov_b32 v4, v8 :: v_dual_mov_b32 v5, v9
.LBB268_1853:                           ;   in Loop: Header=BB268_1574 Depth=1
	s_or_b32 exec_lo, exec_lo, s16
.LBB268_1854:                           ;   in Loop: Header=BB268_1574 Depth=1
	s_delay_alu instid0(SALU_CYCLE_1)
	s_or_b32 exec_lo, exec_lo, s15
.LBB268_1855:                           ;   in Loop: Header=BB268_1574 Depth=1
	s_delay_alu instid0(SALU_CYCLE_1) | instskip(SKIP_2) | instid1(VALU_DEP_1)
	s_or_b32 exec_lo, exec_lo, s10
	v_lshrrev_b16 v7, 8, v6
	s_mov_b32 s15, exec_lo
	v_cmpx_ne_u16_e32 0, v7
	s_cbranch_execz .LBB268_1863
; %bb.1856:                             ;   in Loop: Header=BB268_1574 Depth=1
	v_dual_mov_b32 v17, s9 :: v_dual_mov_b32 v16, s8
	s_mov_b32 s16, exec_lo
	v_cmpx_ne_u16_e32 0x80, v7
	s_cbranch_execz .LBB268_1862
; %bb.1857:                             ;   in Loop: Header=BB268_1574 Depth=1
	s_mov_b32 s10, s8
	v_and_b32_e32 v7, 0xffff, v7
	v_dual_mov_b32 v17, s11 :: v_dual_mov_b32 v16, s10
	s_mov_b32 s10, exec_lo
	s_delay_alu instid0(VALU_DEP_2) | instskip(NEXT) | instid1(VALU_DEP_1)
	v_and_b32_e32 v18, 0x7f, v7
	v_cmpx_ne_u32_e32 0x7f, v18
	s_cbranch_execz .LBB268_1861
; %bb.1858:                             ;   in Loop: Header=BB268_1574 Depth=1
	v_and_b32_e32 v8, 7, v7
	v_lshrrev_b32_e32 v7, 3, v18
	s_mov_b32 s17, exec_lo
	v_cmpx_gt_u32_e32 8, v18
; %bb.1859:                             ;   in Loop: Header=BB268_1574 Depth=1
	s_delay_alu instid0(VALU_DEP_3) | instskip(NEXT) | instid1(VALU_DEP_1)
	v_clz_i32_u32_e32 v7, v8
	v_min_u32_e32 v7, 32, v7
	s_delay_alu instid0(VALU_DEP_1) | instskip(SKIP_1) | instid1(VALU_DEP_2)
	v_subrev_nc_u32_e32 v16, 28, v7
	v_sub_nc_u32_e32 v7, 29, v7
	v_lshlrev_b64 v[16:17], v16, v[8:9]
	s_delay_alu instid0(VALU_DEP_1)
	v_and_b32_e32 v8, 7, v16
; %bb.1860:                             ;   in Loop: Header=BB268_1574 Depth=1
	s_or_b32 exec_lo, exec_lo, s17
	v_lshlrev_b32_e32 v16, 16, v6
	s_delay_alu instid0(VALU_DEP_2) | instskip(SKIP_1) | instid1(VALU_DEP_3)
	v_lshlrev_b32_e32 v8, 20, v8
	v_lshl_add_u32 v7, v7, 23, 0x3c000000
	v_and_b32_e32 v16, 0x80000000, v16
	s_delay_alu instid0(VALU_DEP_1)
	v_or3_b32 v17, v8, v16, v7
	v_mov_b32_e32 v16, v9
.LBB268_1861:                           ;   in Loop: Header=BB268_1574 Depth=1
	s_or_b32 exec_lo, exec_lo, s10
.LBB268_1862:                           ;   in Loop: Header=BB268_1574 Depth=1
	s_delay_alu instid0(SALU_CYCLE_1)
	s_or_b32 exec_lo, exec_lo, s16
.LBB268_1863:                           ;   in Loop: Header=BB268_1574 Depth=1
	s_delay_alu instid0(SALU_CYCLE_1) | instskip(SKIP_4) | instid1(VALU_DEP_2)
	s_or_b32 exec_lo, exec_lo, s15
	v_mov_b32_e32 v20, 0
	v_lshrrev_b32_e32 v7, 16, v6
	v_mov_b32_e32 v21, 0
	s_mov_b32 s10, exec_lo
	v_and_b32_e32 v8, 0xff, v7
	s_delay_alu instid0(VALU_DEP_2) | instskip(NEXT) | instid1(VALU_DEP_2)
	v_dual_mov_b32 v18, v20 :: v_dual_mov_b32 v19, v21
	v_cmpx_ne_u16_e32 0, v8
	s_cbranch_execz .LBB268_1871
; %bb.1864:                             ;   in Loop: Header=BB268_1574 Depth=1
	v_bfrev_b32_e32 v18, 1
	v_mov_b32_e32 v19, 0
	s_mov_b32 s15, exec_lo
	v_cmpx_ne_u16_e32 0x80, v8
	s_cbranch_execz .LBB268_1870
; %bb.1865:                             ;   in Loop: Header=BB268_1574 Depth=1
	v_mov_b32_e32 v18, 0x7f800001
	v_bfe_u32 v22, v6, 16, 7
	v_mov_b32_e32 v19, 0
	s_mov_b32 s16, exec_lo
	s_delay_alu instid0(VALU_DEP_2)
	v_cmpx_ne_u32_e32 0x7f, v22
	s_cbranch_execz .LBB268_1869
; %bb.1866:                             ;   in Loop: Header=BB268_1574 Depth=1
	v_and_b32_e32 v8, 7, v7
	v_lshrrev_b32_e32 v18, 3, v22
	s_mov_b32 s17, exec_lo
	v_cmpx_gt_u32_e32 8, v22
; %bb.1867:                             ;   in Loop: Header=BB268_1574 Depth=1
	s_delay_alu instid0(VALU_DEP_3) | instskip(NEXT) | instid1(VALU_DEP_1)
	v_clz_i32_u32_e32 v18, v8
	v_min_u32_e32 v18, 32, v18
	s_delay_alu instid0(VALU_DEP_1) | instskip(SKIP_1) | instid1(VALU_DEP_2)
	v_subrev_nc_u32_e32 v19, 28, v18
	v_sub_nc_u32_e32 v18, 29, v18
	v_lshlrev_b64 v[22:23], v19, v[8:9]
	s_delay_alu instid0(VALU_DEP_1)
	v_and_b32_e32 v8, 7, v22
; %bb.1868:                             ;   in Loop: Header=BB268_1574 Depth=1
	s_or_b32 exec_lo, exec_lo, s17
	v_lshlrev_b32_e32 v7, 24, v7
	s_delay_alu instid0(VALU_DEP_2) | instskip(SKIP_1) | instid1(VALU_DEP_3)
	v_lshlrev_b32_e32 v8, 20, v8
	v_lshl_add_u32 v18, v18, 23, 0x3c000000
	v_and_b32_e32 v7, 0x80000000, v7
	s_delay_alu instid0(VALU_DEP_1) | instskip(NEXT) | instid1(VALU_DEP_1)
	v_or3_b32 v8, v8, v7, v18
	v_dual_mov_b32 v19, v9 :: v_dual_mov_b32 v18, v8
.LBB268_1869:                           ;   in Loop: Header=BB268_1574 Depth=1
	s_or_b32 exec_lo, exec_lo, s16
.LBB268_1870:                           ;   in Loop: Header=BB268_1574 Depth=1
	s_delay_alu instid0(SALU_CYCLE_1)
	s_or_b32 exec_lo, exec_lo, s15
.LBB268_1871:                           ;   in Loop: Header=BB268_1574 Depth=1
	s_delay_alu instid0(SALU_CYCLE_1) | instskip(NEXT) | instid1(SALU_CYCLE_1)
	s_or_b32 exec_lo, exec_lo, s10
	s_mov_b32 s15, exec_lo
	v_cmpx_lt_u32_e32 0xffffff, v6
	s_cbranch_execz .LBB268_1879
; %bb.1872:                             ;   in Loop: Header=BB268_1574 Depth=1
	v_lshrrev_b32_e32 v7, 24, v6
	v_dual_mov_b32 v21, s9 :: v_dual_mov_b32 v20, s8
	s_mov_b32 s16, exec_lo
	s_delay_alu instid0(VALU_DEP_2)
	v_cmpx_ne_u32_e32 0x80, v7
	s_cbranch_execz .LBB268_1878
; %bb.1873:                             ;   in Loop: Header=BB268_1574 Depth=1
	s_mov_b32 s10, s8
	v_bfe_u32 v22, v6, 24, 7
	v_dual_mov_b32 v21, s11 :: v_dual_mov_b32 v20, s10
	s_mov_b32 s10, exec_lo
	s_delay_alu instid0(VALU_DEP_2)
	v_cmpx_ne_u32_e32 0x7f, v22
	s_cbranch_execz .LBB268_1877
; %bb.1874:                             ;   in Loop: Header=BB268_1574 Depth=1
	v_and_b32_e32 v8, 7, v7
	v_lshrrev_b32_e32 v6, 3, v22
	s_mov_b32 s17, exec_lo
	v_cmpx_gt_u32_e32 8, v22
; %bb.1875:                             ;   in Loop: Header=BB268_1574 Depth=1
	s_delay_alu instid0(VALU_DEP_3) | instskip(NEXT) | instid1(VALU_DEP_1)
	v_clz_i32_u32_e32 v6, v8
	v_min_u32_e32 v6, 32, v6
	s_delay_alu instid0(VALU_DEP_1) | instskip(SKIP_1) | instid1(VALU_DEP_2)
	v_subrev_nc_u32_e32 v20, 28, v6
	v_sub_nc_u32_e32 v6, 29, v6
	v_lshlrev_b64 v[20:21], v20, v[8:9]
	s_delay_alu instid0(VALU_DEP_1)
	v_and_b32_e32 v8, 7, v20
; %bb.1876:                             ;   in Loop: Header=BB268_1574 Depth=1
	s_or_b32 exec_lo, exec_lo, s17
	v_dual_mov_b32 v20, v9 :: v_dual_lshlrev_b32 v7, 24, v7
	s_delay_alu instid0(VALU_DEP_2) | instskip(SKIP_1) | instid1(VALU_DEP_3)
	v_lshlrev_b32_e32 v8, 20, v8
	v_lshl_add_u32 v6, v6, 23, 0x3c000000
	v_and_b32_e32 v7, 0x80000000, v7
	s_delay_alu instid0(VALU_DEP_1)
	v_or3_b32 v21, v8, v7, v6
.LBB268_1877:                           ;   in Loop: Header=BB268_1574 Depth=1
	s_or_b32 exec_lo, exec_lo, s10
.LBB268_1878:                           ;   in Loop: Header=BB268_1574 Depth=1
	s_delay_alu instid0(SALU_CYCLE_1)
	s_or_b32 exec_lo, exec_lo, s16
.LBB268_1879:                           ;   in Loop: Header=BB268_1574 Depth=1
	s_delay_alu instid0(SALU_CYCLE_1) | instskip(SKIP_4) | instid1(VALU_DEP_4)
	s_or_b32 exec_lo, exec_lo, s15
	v_or_b32_e32 v5, v17, v5
	v_or_b32_e32 v4, v16, v4
	;; [unrolled: 1-line block ×4, first 2 shown]
	v_mul_f32_e32 v90, v167, v5
	s_delay_alu instid0(VALU_DEP_4) | instskip(NEXT) | instid1(VALU_DEP_4)
	v_mul_f32_e32 v89, v167, v4
	v_mul_f32_e32 v79, v167, v6
	s_delay_alu instid0(VALU_DEP_4)
	v_mul_f32_e32 v88, v167, v7
	s_and_saveexec_b32 s10, vcc_lo
; %bb.1880:                             ;   in Loop: Header=BB268_1574 Depth=1
	v_cmp_lt_i32_e64 s0, v180, v35
	s_delay_alu instid0(VALU_DEP_1) | instskip(SKIP_1) | instid1(VALU_DEP_1)
	v_cndmask_b32_e64 v89, 0, v89, s0
	v_cmp_lt_i32_e64 s0, v183, v35
	v_cndmask_b32_e64 v90, 0, v90, s0
	v_cmp_lt_i32_e64 s0, v182, v35
	s_delay_alu instid0(VALU_DEP_1) | instskip(SKIP_1) | instid1(VALU_DEP_1)
	v_cndmask_b32_e64 v88, 0, v88, s0
	v_cmp_lt_i32_e64 s0, v181, v35
	v_cndmask_b32_e64 v79, 0, v79, s0
; %bb.1881:                             ;   in Loop: Header=BB268_1574 Depth=1
	s_or_b32 exec_lo, exec_lo, s10
	flat_load_b32 v6, v[14:15] offset:1152
	v_mov_b32_e32 v16, 0
	v_mov_b32_e32 v17, 0
	s_delay_alu instid0(VALU_DEP_2) | instskip(SKIP_1) | instid1(VALU_DEP_2)
	v_mov_b32_e32 v4, v16
	s_mov_b32 s10, exec_lo
	v_mov_b32_e32 v5, v17
	s_waitcnt vmcnt(0) lgkmcnt(0)
	v_and_b32_e32 v7, 0xff, v6
	s_delay_alu instid0(VALU_DEP_1)
	v_cmpx_ne_u16_e32 0, v7
	s_cbranch_execz .LBB268_1889
; %bb.1882:                             ;   in Loop: Header=BB268_1574 Depth=1
	v_bfrev_b32_e32 v4, 1
	v_mov_b32_e32 v5, 0
	s_mov_b32 s15, exec_lo
	v_cmpx_ne_u16_e32 0x80, v7
	s_cbranch_execz .LBB268_1888
; %bb.1883:                             ;   in Loop: Header=BB268_1574 Depth=1
	v_mov_b32_e32 v4, 0x7f800001
	v_and_b32_e32 v7, 0x7f, v6
	v_mov_b32_e32 v5, 0
	s_mov_b32 s16, exec_lo
	s_delay_alu instid0(VALU_DEP_2)
	v_cmpx_ne_u32_e32 0x7f, v7
	s_cbranch_execz .LBB268_1887
; %bb.1884:                             ;   in Loop: Header=BB268_1574 Depth=1
	v_and_b32_e32 v8, 7, v6
	v_lshrrev_b32_e32 v4, 3, v7
	s_mov_b32 s17, exec_lo
	v_cmpx_gt_u32_e32 8, v7
; %bb.1885:                             ;   in Loop: Header=BB268_1574 Depth=1
	s_delay_alu instid0(VALU_DEP_3) | instskip(NEXT) | instid1(VALU_DEP_1)
	v_clz_i32_u32_e32 v4, v8
	v_min_u32_e32 v4, 32, v4
	s_delay_alu instid0(VALU_DEP_1) | instskip(SKIP_1) | instid1(VALU_DEP_2)
	v_subrev_nc_u32_e32 v5, 28, v4
	v_sub_nc_u32_e32 v4, 29, v4
	v_lshlrev_b64 v[7:8], v5, v[8:9]
	s_delay_alu instid0(VALU_DEP_1)
	v_and_b32_e32 v8, 7, v7
; %bb.1886:                             ;   in Loop: Header=BB268_1574 Depth=1
	s_or_b32 exec_lo, exec_lo, s17
	v_lshlrev_b32_e32 v5, 24, v6
	s_delay_alu instid0(VALU_DEP_2) | instskip(SKIP_1) | instid1(VALU_DEP_3)
	v_lshlrev_b32_e32 v7, 20, v8
	v_lshl_add_u32 v4, v4, 23, 0x3c000000
	v_and_b32_e32 v5, 0x80000000, v5
	s_delay_alu instid0(VALU_DEP_1) | instskip(NEXT) | instid1(VALU_DEP_1)
	v_or3_b32 v8, v7, v5, v4
	v_dual_mov_b32 v4, v8 :: v_dual_mov_b32 v5, v9
.LBB268_1887:                           ;   in Loop: Header=BB268_1574 Depth=1
	s_or_b32 exec_lo, exec_lo, s16
.LBB268_1888:                           ;   in Loop: Header=BB268_1574 Depth=1
	s_delay_alu instid0(SALU_CYCLE_1)
	s_or_b32 exec_lo, exec_lo, s15
.LBB268_1889:                           ;   in Loop: Header=BB268_1574 Depth=1
	s_delay_alu instid0(SALU_CYCLE_1) | instskip(SKIP_2) | instid1(VALU_DEP_1)
	s_or_b32 exec_lo, exec_lo, s10
	v_lshrrev_b16 v7, 8, v6
	s_mov_b32 s15, exec_lo
	v_cmpx_ne_u16_e32 0, v7
	s_cbranch_execz .LBB268_1897
; %bb.1890:                             ;   in Loop: Header=BB268_1574 Depth=1
	v_dual_mov_b32 v17, s9 :: v_dual_mov_b32 v16, s8
	s_mov_b32 s16, exec_lo
	v_cmpx_ne_u16_e32 0x80, v7
	s_cbranch_execz .LBB268_1896
; %bb.1891:                             ;   in Loop: Header=BB268_1574 Depth=1
	s_mov_b32 s10, s8
	v_and_b32_e32 v7, 0xffff, v7
	v_dual_mov_b32 v17, s11 :: v_dual_mov_b32 v16, s10
	s_mov_b32 s10, exec_lo
	s_delay_alu instid0(VALU_DEP_2) | instskip(NEXT) | instid1(VALU_DEP_1)
	v_and_b32_e32 v18, 0x7f, v7
	v_cmpx_ne_u32_e32 0x7f, v18
	s_cbranch_execz .LBB268_1895
; %bb.1892:                             ;   in Loop: Header=BB268_1574 Depth=1
	v_and_b32_e32 v8, 7, v7
	v_lshrrev_b32_e32 v7, 3, v18
	s_mov_b32 s17, exec_lo
	v_cmpx_gt_u32_e32 8, v18
; %bb.1893:                             ;   in Loop: Header=BB268_1574 Depth=1
	s_delay_alu instid0(VALU_DEP_3) | instskip(NEXT) | instid1(VALU_DEP_1)
	v_clz_i32_u32_e32 v7, v8
	v_min_u32_e32 v7, 32, v7
	s_delay_alu instid0(VALU_DEP_1) | instskip(SKIP_1) | instid1(VALU_DEP_2)
	v_subrev_nc_u32_e32 v16, 28, v7
	v_sub_nc_u32_e32 v7, 29, v7
	v_lshlrev_b64 v[16:17], v16, v[8:9]
	s_delay_alu instid0(VALU_DEP_1)
	v_and_b32_e32 v8, 7, v16
; %bb.1894:                             ;   in Loop: Header=BB268_1574 Depth=1
	s_or_b32 exec_lo, exec_lo, s17
	v_lshlrev_b32_e32 v16, 16, v6
	s_delay_alu instid0(VALU_DEP_2) | instskip(SKIP_1) | instid1(VALU_DEP_3)
	v_lshlrev_b32_e32 v8, 20, v8
	v_lshl_add_u32 v7, v7, 23, 0x3c000000
	v_and_b32_e32 v16, 0x80000000, v16
	s_delay_alu instid0(VALU_DEP_1)
	v_or3_b32 v17, v8, v16, v7
	v_mov_b32_e32 v16, v9
.LBB268_1895:                           ;   in Loop: Header=BB268_1574 Depth=1
	s_or_b32 exec_lo, exec_lo, s10
.LBB268_1896:                           ;   in Loop: Header=BB268_1574 Depth=1
	s_delay_alu instid0(SALU_CYCLE_1)
	s_or_b32 exec_lo, exec_lo, s16
.LBB268_1897:                           ;   in Loop: Header=BB268_1574 Depth=1
	s_delay_alu instid0(SALU_CYCLE_1) | instskip(SKIP_4) | instid1(VALU_DEP_2)
	s_or_b32 exec_lo, exec_lo, s15
	v_mov_b32_e32 v20, 0
	v_lshrrev_b32_e32 v7, 16, v6
	v_mov_b32_e32 v21, 0
	s_mov_b32 s10, exec_lo
	v_and_b32_e32 v8, 0xff, v7
	s_delay_alu instid0(VALU_DEP_2) | instskip(NEXT) | instid1(VALU_DEP_2)
	v_dual_mov_b32 v18, v20 :: v_dual_mov_b32 v19, v21
	v_cmpx_ne_u16_e32 0, v8
	s_cbranch_execz .LBB268_1905
; %bb.1898:                             ;   in Loop: Header=BB268_1574 Depth=1
	v_bfrev_b32_e32 v18, 1
	v_mov_b32_e32 v19, 0
	s_mov_b32 s15, exec_lo
	v_cmpx_ne_u16_e32 0x80, v8
	s_cbranch_execz .LBB268_1904
; %bb.1899:                             ;   in Loop: Header=BB268_1574 Depth=1
	v_mov_b32_e32 v18, 0x7f800001
	v_bfe_u32 v22, v6, 16, 7
	v_mov_b32_e32 v19, 0
	s_mov_b32 s16, exec_lo
	s_delay_alu instid0(VALU_DEP_2)
	v_cmpx_ne_u32_e32 0x7f, v22
	s_cbranch_execz .LBB268_1903
; %bb.1900:                             ;   in Loop: Header=BB268_1574 Depth=1
	v_and_b32_e32 v8, 7, v7
	v_lshrrev_b32_e32 v18, 3, v22
	s_mov_b32 s17, exec_lo
	v_cmpx_gt_u32_e32 8, v22
; %bb.1901:                             ;   in Loop: Header=BB268_1574 Depth=1
	s_delay_alu instid0(VALU_DEP_3) | instskip(NEXT) | instid1(VALU_DEP_1)
	v_clz_i32_u32_e32 v18, v8
	v_min_u32_e32 v18, 32, v18
	s_delay_alu instid0(VALU_DEP_1) | instskip(SKIP_1) | instid1(VALU_DEP_2)
	v_subrev_nc_u32_e32 v19, 28, v18
	v_sub_nc_u32_e32 v18, 29, v18
	v_lshlrev_b64 v[22:23], v19, v[8:9]
	s_delay_alu instid0(VALU_DEP_1)
	v_and_b32_e32 v8, 7, v22
; %bb.1902:                             ;   in Loop: Header=BB268_1574 Depth=1
	s_or_b32 exec_lo, exec_lo, s17
	v_lshlrev_b32_e32 v7, 24, v7
	s_delay_alu instid0(VALU_DEP_2) | instskip(SKIP_1) | instid1(VALU_DEP_3)
	v_lshlrev_b32_e32 v8, 20, v8
	v_lshl_add_u32 v18, v18, 23, 0x3c000000
	v_and_b32_e32 v7, 0x80000000, v7
	s_delay_alu instid0(VALU_DEP_1) | instskip(NEXT) | instid1(VALU_DEP_1)
	v_or3_b32 v8, v8, v7, v18
	v_dual_mov_b32 v19, v9 :: v_dual_mov_b32 v18, v8
.LBB268_1903:                           ;   in Loop: Header=BB268_1574 Depth=1
	s_or_b32 exec_lo, exec_lo, s16
.LBB268_1904:                           ;   in Loop: Header=BB268_1574 Depth=1
	s_delay_alu instid0(SALU_CYCLE_1)
	s_or_b32 exec_lo, exec_lo, s15
.LBB268_1905:                           ;   in Loop: Header=BB268_1574 Depth=1
	s_delay_alu instid0(SALU_CYCLE_1) | instskip(NEXT) | instid1(SALU_CYCLE_1)
	s_or_b32 exec_lo, exec_lo, s10
	s_mov_b32 s15, exec_lo
	v_cmpx_lt_u32_e32 0xffffff, v6
	s_cbranch_execz .LBB268_1913
; %bb.1906:                             ;   in Loop: Header=BB268_1574 Depth=1
	v_lshrrev_b32_e32 v7, 24, v6
	v_dual_mov_b32 v21, s9 :: v_dual_mov_b32 v20, s8
	s_mov_b32 s16, exec_lo
	s_delay_alu instid0(VALU_DEP_2)
	v_cmpx_ne_u32_e32 0x80, v7
	s_cbranch_execz .LBB268_1912
; %bb.1907:                             ;   in Loop: Header=BB268_1574 Depth=1
	s_mov_b32 s10, s8
	v_bfe_u32 v22, v6, 24, 7
	v_dual_mov_b32 v21, s11 :: v_dual_mov_b32 v20, s10
	s_mov_b32 s10, exec_lo
	s_delay_alu instid0(VALU_DEP_2)
	v_cmpx_ne_u32_e32 0x7f, v22
	s_cbranch_execz .LBB268_1911
; %bb.1908:                             ;   in Loop: Header=BB268_1574 Depth=1
	v_and_b32_e32 v8, 7, v7
	v_lshrrev_b32_e32 v6, 3, v22
	s_mov_b32 s17, exec_lo
	v_cmpx_gt_u32_e32 8, v22
; %bb.1909:                             ;   in Loop: Header=BB268_1574 Depth=1
	s_delay_alu instid0(VALU_DEP_3) | instskip(NEXT) | instid1(VALU_DEP_1)
	v_clz_i32_u32_e32 v6, v8
	v_min_u32_e32 v6, 32, v6
	s_delay_alu instid0(VALU_DEP_1) | instskip(SKIP_1) | instid1(VALU_DEP_2)
	v_subrev_nc_u32_e32 v20, 28, v6
	v_sub_nc_u32_e32 v6, 29, v6
	v_lshlrev_b64 v[20:21], v20, v[8:9]
	s_delay_alu instid0(VALU_DEP_1)
	v_and_b32_e32 v8, 7, v20
; %bb.1910:                             ;   in Loop: Header=BB268_1574 Depth=1
	s_or_b32 exec_lo, exec_lo, s17
	v_dual_mov_b32 v20, v9 :: v_dual_lshlrev_b32 v7, 24, v7
	s_delay_alu instid0(VALU_DEP_2) | instskip(SKIP_1) | instid1(VALU_DEP_3)
	v_lshlrev_b32_e32 v8, 20, v8
	v_lshl_add_u32 v6, v6, 23, 0x3c000000
	v_and_b32_e32 v7, 0x80000000, v7
	s_delay_alu instid0(VALU_DEP_1)
	v_or3_b32 v21, v8, v7, v6
.LBB268_1911:                           ;   in Loop: Header=BB268_1574 Depth=1
	s_or_b32 exec_lo, exec_lo, s10
.LBB268_1912:                           ;   in Loop: Header=BB268_1574 Depth=1
	s_delay_alu instid0(SALU_CYCLE_1)
	s_or_b32 exec_lo, exec_lo, s16
.LBB268_1913:                           ;   in Loop: Header=BB268_1574 Depth=1
	s_delay_alu instid0(SALU_CYCLE_1) | instskip(SKIP_4) | instid1(VALU_DEP_4)
	s_or_b32 exec_lo, exec_lo, s15
	v_or_b32_e32 v5, v17, v5
	v_or_b32_e32 v4, v16, v4
	;; [unrolled: 1-line block ×4, first 2 shown]
	v_mul_f32_e32 v94, v167, v5
	s_delay_alu instid0(VALU_DEP_4) | instskip(NEXT) | instid1(VALU_DEP_4)
	v_mul_f32_e32 v93, v167, v4
	v_mul_f32_e32 v91, v167, v6
	s_delay_alu instid0(VALU_DEP_4)
	v_mul_f32_e32 v92, v167, v7
	s_and_saveexec_b32 s10, vcc_lo
; %bb.1914:                             ;   in Loop: Header=BB268_1574 Depth=1
	v_cmp_lt_i32_e64 s0, v180, v35
	s_delay_alu instid0(VALU_DEP_1) | instskip(SKIP_1) | instid1(VALU_DEP_1)
	v_cndmask_b32_e64 v93, 0, v93, s0
	v_cmp_lt_i32_e64 s0, v183, v35
	v_cndmask_b32_e64 v94, 0, v94, s0
	v_cmp_lt_i32_e64 s0, v182, v35
	s_delay_alu instid0(VALU_DEP_1) | instskip(SKIP_1) | instid1(VALU_DEP_1)
	v_cndmask_b32_e64 v92, 0, v92, s0
	v_cmp_lt_i32_e64 s0, v181, v35
	v_cndmask_b32_e64 v91, 0, v91, s0
; %bb.1915:                             ;   in Loop: Header=BB268_1574 Depth=1
	s_or_b32 exec_lo, exec_lo, s10
	flat_load_b32 v6, v[14:15] offset:1280
	v_mov_b32_e32 v16, 0
	v_mov_b32_e32 v17, 0
	s_delay_alu instid0(VALU_DEP_2) | instskip(SKIP_1) | instid1(VALU_DEP_2)
	v_mov_b32_e32 v4, v16
	s_mov_b32 s10, exec_lo
	v_mov_b32_e32 v5, v17
	s_waitcnt vmcnt(0) lgkmcnt(0)
	v_and_b32_e32 v7, 0xff, v6
	s_delay_alu instid0(VALU_DEP_1)
	v_cmpx_ne_u16_e32 0, v7
	s_cbranch_execz .LBB268_1923
; %bb.1916:                             ;   in Loop: Header=BB268_1574 Depth=1
	v_bfrev_b32_e32 v4, 1
	v_mov_b32_e32 v5, 0
	s_mov_b32 s15, exec_lo
	v_cmpx_ne_u16_e32 0x80, v7
	s_cbranch_execz .LBB268_1922
; %bb.1917:                             ;   in Loop: Header=BB268_1574 Depth=1
	v_mov_b32_e32 v4, 0x7f800001
	v_and_b32_e32 v7, 0x7f, v6
	v_mov_b32_e32 v5, 0
	s_mov_b32 s16, exec_lo
	s_delay_alu instid0(VALU_DEP_2)
	v_cmpx_ne_u32_e32 0x7f, v7
	s_cbranch_execz .LBB268_1921
; %bb.1918:                             ;   in Loop: Header=BB268_1574 Depth=1
	v_and_b32_e32 v8, 7, v6
	v_lshrrev_b32_e32 v4, 3, v7
	s_mov_b32 s17, exec_lo
	v_cmpx_gt_u32_e32 8, v7
; %bb.1919:                             ;   in Loop: Header=BB268_1574 Depth=1
	s_delay_alu instid0(VALU_DEP_3) | instskip(NEXT) | instid1(VALU_DEP_1)
	v_clz_i32_u32_e32 v4, v8
	v_min_u32_e32 v4, 32, v4
	s_delay_alu instid0(VALU_DEP_1) | instskip(SKIP_1) | instid1(VALU_DEP_2)
	v_subrev_nc_u32_e32 v5, 28, v4
	v_sub_nc_u32_e32 v4, 29, v4
	v_lshlrev_b64 v[7:8], v5, v[8:9]
	s_delay_alu instid0(VALU_DEP_1)
	v_and_b32_e32 v8, 7, v7
; %bb.1920:                             ;   in Loop: Header=BB268_1574 Depth=1
	s_or_b32 exec_lo, exec_lo, s17
	v_lshlrev_b32_e32 v5, 24, v6
	s_delay_alu instid0(VALU_DEP_2) | instskip(SKIP_1) | instid1(VALU_DEP_3)
	v_lshlrev_b32_e32 v7, 20, v8
	v_lshl_add_u32 v4, v4, 23, 0x3c000000
	v_and_b32_e32 v5, 0x80000000, v5
	s_delay_alu instid0(VALU_DEP_1) | instskip(NEXT) | instid1(VALU_DEP_1)
	v_or3_b32 v8, v7, v5, v4
	v_dual_mov_b32 v4, v8 :: v_dual_mov_b32 v5, v9
.LBB268_1921:                           ;   in Loop: Header=BB268_1574 Depth=1
	s_or_b32 exec_lo, exec_lo, s16
.LBB268_1922:                           ;   in Loop: Header=BB268_1574 Depth=1
	s_delay_alu instid0(SALU_CYCLE_1)
	s_or_b32 exec_lo, exec_lo, s15
.LBB268_1923:                           ;   in Loop: Header=BB268_1574 Depth=1
	s_delay_alu instid0(SALU_CYCLE_1) | instskip(SKIP_2) | instid1(VALU_DEP_1)
	s_or_b32 exec_lo, exec_lo, s10
	v_lshrrev_b16 v7, 8, v6
	s_mov_b32 s15, exec_lo
	v_cmpx_ne_u16_e32 0, v7
	s_cbranch_execz .LBB268_1931
; %bb.1924:                             ;   in Loop: Header=BB268_1574 Depth=1
	v_dual_mov_b32 v17, s9 :: v_dual_mov_b32 v16, s8
	s_mov_b32 s16, exec_lo
	v_cmpx_ne_u16_e32 0x80, v7
	s_cbranch_execz .LBB268_1930
; %bb.1925:                             ;   in Loop: Header=BB268_1574 Depth=1
	s_mov_b32 s10, s8
	v_and_b32_e32 v7, 0xffff, v7
	v_dual_mov_b32 v17, s11 :: v_dual_mov_b32 v16, s10
	s_mov_b32 s10, exec_lo
	s_delay_alu instid0(VALU_DEP_2) | instskip(NEXT) | instid1(VALU_DEP_1)
	v_and_b32_e32 v18, 0x7f, v7
	v_cmpx_ne_u32_e32 0x7f, v18
	s_cbranch_execz .LBB268_1929
; %bb.1926:                             ;   in Loop: Header=BB268_1574 Depth=1
	v_and_b32_e32 v8, 7, v7
	v_lshrrev_b32_e32 v7, 3, v18
	s_mov_b32 s17, exec_lo
	v_cmpx_gt_u32_e32 8, v18
; %bb.1927:                             ;   in Loop: Header=BB268_1574 Depth=1
	s_delay_alu instid0(VALU_DEP_3) | instskip(NEXT) | instid1(VALU_DEP_1)
	v_clz_i32_u32_e32 v7, v8
	v_min_u32_e32 v7, 32, v7
	s_delay_alu instid0(VALU_DEP_1) | instskip(SKIP_1) | instid1(VALU_DEP_2)
	v_subrev_nc_u32_e32 v16, 28, v7
	v_sub_nc_u32_e32 v7, 29, v7
	v_lshlrev_b64 v[16:17], v16, v[8:9]
	s_delay_alu instid0(VALU_DEP_1)
	v_and_b32_e32 v8, 7, v16
; %bb.1928:                             ;   in Loop: Header=BB268_1574 Depth=1
	s_or_b32 exec_lo, exec_lo, s17
	v_lshlrev_b32_e32 v16, 16, v6
	s_delay_alu instid0(VALU_DEP_2) | instskip(SKIP_1) | instid1(VALU_DEP_3)
	v_lshlrev_b32_e32 v8, 20, v8
	v_lshl_add_u32 v7, v7, 23, 0x3c000000
	v_and_b32_e32 v16, 0x80000000, v16
	s_delay_alu instid0(VALU_DEP_1)
	v_or3_b32 v17, v8, v16, v7
	v_mov_b32_e32 v16, v9
.LBB268_1929:                           ;   in Loop: Header=BB268_1574 Depth=1
	s_or_b32 exec_lo, exec_lo, s10
.LBB268_1930:                           ;   in Loop: Header=BB268_1574 Depth=1
	s_delay_alu instid0(SALU_CYCLE_1)
	s_or_b32 exec_lo, exec_lo, s16
.LBB268_1931:                           ;   in Loop: Header=BB268_1574 Depth=1
	s_delay_alu instid0(SALU_CYCLE_1) | instskip(SKIP_4) | instid1(VALU_DEP_2)
	s_or_b32 exec_lo, exec_lo, s15
	v_mov_b32_e32 v20, 0
	v_lshrrev_b32_e32 v7, 16, v6
	v_mov_b32_e32 v21, 0
	s_mov_b32 s10, exec_lo
	v_and_b32_e32 v8, 0xff, v7
	s_delay_alu instid0(VALU_DEP_2) | instskip(NEXT) | instid1(VALU_DEP_2)
	v_dual_mov_b32 v18, v20 :: v_dual_mov_b32 v19, v21
	v_cmpx_ne_u16_e32 0, v8
	s_cbranch_execz .LBB268_1939
; %bb.1932:                             ;   in Loop: Header=BB268_1574 Depth=1
	v_bfrev_b32_e32 v18, 1
	v_mov_b32_e32 v19, 0
	s_mov_b32 s15, exec_lo
	v_cmpx_ne_u16_e32 0x80, v8
	s_cbranch_execz .LBB268_1938
; %bb.1933:                             ;   in Loop: Header=BB268_1574 Depth=1
	v_mov_b32_e32 v18, 0x7f800001
	v_bfe_u32 v22, v6, 16, 7
	v_mov_b32_e32 v19, 0
	s_mov_b32 s16, exec_lo
	s_delay_alu instid0(VALU_DEP_2)
	v_cmpx_ne_u32_e32 0x7f, v22
	s_cbranch_execz .LBB268_1937
; %bb.1934:                             ;   in Loop: Header=BB268_1574 Depth=1
	v_and_b32_e32 v8, 7, v7
	v_lshrrev_b32_e32 v18, 3, v22
	s_mov_b32 s17, exec_lo
	v_cmpx_gt_u32_e32 8, v22
; %bb.1935:                             ;   in Loop: Header=BB268_1574 Depth=1
	s_delay_alu instid0(VALU_DEP_3) | instskip(NEXT) | instid1(VALU_DEP_1)
	v_clz_i32_u32_e32 v18, v8
	v_min_u32_e32 v18, 32, v18
	s_delay_alu instid0(VALU_DEP_1) | instskip(SKIP_1) | instid1(VALU_DEP_2)
	v_subrev_nc_u32_e32 v19, 28, v18
	v_sub_nc_u32_e32 v18, 29, v18
	v_lshlrev_b64 v[22:23], v19, v[8:9]
	s_delay_alu instid0(VALU_DEP_1)
	v_and_b32_e32 v8, 7, v22
; %bb.1936:                             ;   in Loop: Header=BB268_1574 Depth=1
	s_or_b32 exec_lo, exec_lo, s17
	v_lshlrev_b32_e32 v7, 24, v7
	s_delay_alu instid0(VALU_DEP_2) | instskip(SKIP_1) | instid1(VALU_DEP_3)
	v_lshlrev_b32_e32 v8, 20, v8
	v_lshl_add_u32 v18, v18, 23, 0x3c000000
	v_and_b32_e32 v7, 0x80000000, v7
	s_delay_alu instid0(VALU_DEP_1) | instskip(NEXT) | instid1(VALU_DEP_1)
	v_or3_b32 v8, v8, v7, v18
	v_dual_mov_b32 v19, v9 :: v_dual_mov_b32 v18, v8
.LBB268_1937:                           ;   in Loop: Header=BB268_1574 Depth=1
	s_or_b32 exec_lo, exec_lo, s16
.LBB268_1938:                           ;   in Loop: Header=BB268_1574 Depth=1
	s_delay_alu instid0(SALU_CYCLE_1)
	s_or_b32 exec_lo, exec_lo, s15
.LBB268_1939:                           ;   in Loop: Header=BB268_1574 Depth=1
	s_delay_alu instid0(SALU_CYCLE_1) | instskip(NEXT) | instid1(SALU_CYCLE_1)
	s_or_b32 exec_lo, exec_lo, s10
	s_mov_b32 s15, exec_lo
	v_cmpx_lt_u32_e32 0xffffff, v6
	s_cbranch_execz .LBB268_1947
; %bb.1940:                             ;   in Loop: Header=BB268_1574 Depth=1
	v_lshrrev_b32_e32 v7, 24, v6
	v_dual_mov_b32 v21, s9 :: v_dual_mov_b32 v20, s8
	s_mov_b32 s16, exec_lo
	s_delay_alu instid0(VALU_DEP_2)
	v_cmpx_ne_u32_e32 0x80, v7
	s_cbranch_execz .LBB268_1946
; %bb.1941:                             ;   in Loop: Header=BB268_1574 Depth=1
	s_mov_b32 s10, s8
	v_bfe_u32 v22, v6, 24, 7
	v_dual_mov_b32 v21, s11 :: v_dual_mov_b32 v20, s10
	s_mov_b32 s10, exec_lo
	s_delay_alu instid0(VALU_DEP_2)
	v_cmpx_ne_u32_e32 0x7f, v22
	s_cbranch_execz .LBB268_1945
; %bb.1942:                             ;   in Loop: Header=BB268_1574 Depth=1
	v_and_b32_e32 v8, 7, v7
	v_lshrrev_b32_e32 v6, 3, v22
	s_mov_b32 s17, exec_lo
	v_cmpx_gt_u32_e32 8, v22
; %bb.1943:                             ;   in Loop: Header=BB268_1574 Depth=1
	s_delay_alu instid0(VALU_DEP_3) | instskip(NEXT) | instid1(VALU_DEP_1)
	v_clz_i32_u32_e32 v6, v8
	v_min_u32_e32 v6, 32, v6
	s_delay_alu instid0(VALU_DEP_1) | instskip(SKIP_1) | instid1(VALU_DEP_2)
	v_subrev_nc_u32_e32 v20, 28, v6
	v_sub_nc_u32_e32 v6, 29, v6
	v_lshlrev_b64 v[20:21], v20, v[8:9]
	s_delay_alu instid0(VALU_DEP_1)
	v_and_b32_e32 v8, 7, v20
; %bb.1944:                             ;   in Loop: Header=BB268_1574 Depth=1
	s_or_b32 exec_lo, exec_lo, s17
	v_dual_mov_b32 v20, v9 :: v_dual_lshlrev_b32 v7, 24, v7
	s_delay_alu instid0(VALU_DEP_2) | instskip(SKIP_1) | instid1(VALU_DEP_3)
	v_lshlrev_b32_e32 v8, 20, v8
	v_lshl_add_u32 v6, v6, 23, 0x3c000000
	v_and_b32_e32 v7, 0x80000000, v7
	s_delay_alu instid0(VALU_DEP_1)
	v_or3_b32 v21, v8, v7, v6
.LBB268_1945:                           ;   in Loop: Header=BB268_1574 Depth=1
	s_or_b32 exec_lo, exec_lo, s10
.LBB268_1946:                           ;   in Loop: Header=BB268_1574 Depth=1
	s_delay_alu instid0(SALU_CYCLE_1)
	s_or_b32 exec_lo, exec_lo, s16
.LBB268_1947:                           ;   in Loop: Header=BB268_1574 Depth=1
	s_delay_alu instid0(SALU_CYCLE_1) | instskip(SKIP_4) | instid1(VALU_DEP_4)
	s_or_b32 exec_lo, exec_lo, s15
	v_or_b32_e32 v5, v17, v5
	v_or_b32_e32 v4, v16, v4
	;; [unrolled: 1-line block ×4, first 2 shown]
	v_mul_f32_e32 v106, v167, v5
	s_delay_alu instid0(VALU_DEP_4) | instskip(NEXT) | instid1(VALU_DEP_4)
	v_mul_f32_e32 v105, v167, v4
	v_mul_f32_e32 v95, v167, v6
	s_delay_alu instid0(VALU_DEP_4)
	v_mul_f32_e32 v104, v167, v7
	s_and_saveexec_b32 s10, vcc_lo
; %bb.1948:                             ;   in Loop: Header=BB268_1574 Depth=1
	v_cmp_lt_i32_e64 s0, v180, v35
	s_delay_alu instid0(VALU_DEP_1) | instskip(SKIP_1) | instid1(VALU_DEP_1)
	v_cndmask_b32_e64 v105, 0, v105, s0
	v_cmp_lt_i32_e64 s0, v183, v35
	v_cndmask_b32_e64 v106, 0, v106, s0
	v_cmp_lt_i32_e64 s0, v182, v35
	s_delay_alu instid0(VALU_DEP_1) | instskip(SKIP_1) | instid1(VALU_DEP_1)
	v_cndmask_b32_e64 v104, 0, v104, s0
	v_cmp_lt_i32_e64 s0, v181, v35
	v_cndmask_b32_e64 v95, 0, v95, s0
; %bb.1949:                             ;   in Loop: Header=BB268_1574 Depth=1
	s_or_b32 exec_lo, exec_lo, s10
	flat_load_b32 v6, v[14:15] offset:1408
	v_mov_b32_e32 v16, 0
	v_mov_b32_e32 v17, 0
	s_delay_alu instid0(VALU_DEP_2) | instskip(SKIP_1) | instid1(VALU_DEP_2)
	v_mov_b32_e32 v4, v16
	s_mov_b32 s10, exec_lo
	v_mov_b32_e32 v5, v17
	s_waitcnt vmcnt(0) lgkmcnt(0)
	v_and_b32_e32 v7, 0xff, v6
	s_delay_alu instid0(VALU_DEP_1)
	v_cmpx_ne_u16_e32 0, v7
	s_cbranch_execz .LBB268_1957
; %bb.1950:                             ;   in Loop: Header=BB268_1574 Depth=1
	v_bfrev_b32_e32 v4, 1
	v_mov_b32_e32 v5, 0
	s_mov_b32 s15, exec_lo
	v_cmpx_ne_u16_e32 0x80, v7
	s_cbranch_execz .LBB268_1956
; %bb.1951:                             ;   in Loop: Header=BB268_1574 Depth=1
	v_mov_b32_e32 v4, 0x7f800001
	v_and_b32_e32 v7, 0x7f, v6
	v_mov_b32_e32 v5, 0
	s_mov_b32 s16, exec_lo
	s_delay_alu instid0(VALU_DEP_2)
	v_cmpx_ne_u32_e32 0x7f, v7
	s_cbranch_execz .LBB268_1955
; %bb.1952:                             ;   in Loop: Header=BB268_1574 Depth=1
	v_and_b32_e32 v8, 7, v6
	v_lshrrev_b32_e32 v4, 3, v7
	s_mov_b32 s17, exec_lo
	v_cmpx_gt_u32_e32 8, v7
; %bb.1953:                             ;   in Loop: Header=BB268_1574 Depth=1
	s_delay_alu instid0(VALU_DEP_3) | instskip(NEXT) | instid1(VALU_DEP_1)
	v_clz_i32_u32_e32 v4, v8
	v_min_u32_e32 v4, 32, v4
	s_delay_alu instid0(VALU_DEP_1) | instskip(SKIP_1) | instid1(VALU_DEP_2)
	v_subrev_nc_u32_e32 v5, 28, v4
	v_sub_nc_u32_e32 v4, 29, v4
	v_lshlrev_b64 v[7:8], v5, v[8:9]
	s_delay_alu instid0(VALU_DEP_1)
	v_and_b32_e32 v8, 7, v7
; %bb.1954:                             ;   in Loop: Header=BB268_1574 Depth=1
	s_or_b32 exec_lo, exec_lo, s17
	v_lshlrev_b32_e32 v5, 24, v6
	s_delay_alu instid0(VALU_DEP_2) | instskip(SKIP_1) | instid1(VALU_DEP_3)
	v_lshlrev_b32_e32 v7, 20, v8
	v_lshl_add_u32 v4, v4, 23, 0x3c000000
	v_and_b32_e32 v5, 0x80000000, v5
	s_delay_alu instid0(VALU_DEP_1) | instskip(NEXT) | instid1(VALU_DEP_1)
	v_or3_b32 v8, v7, v5, v4
	v_dual_mov_b32 v4, v8 :: v_dual_mov_b32 v5, v9
.LBB268_1955:                           ;   in Loop: Header=BB268_1574 Depth=1
	s_or_b32 exec_lo, exec_lo, s16
.LBB268_1956:                           ;   in Loop: Header=BB268_1574 Depth=1
	s_delay_alu instid0(SALU_CYCLE_1)
	s_or_b32 exec_lo, exec_lo, s15
.LBB268_1957:                           ;   in Loop: Header=BB268_1574 Depth=1
	s_delay_alu instid0(SALU_CYCLE_1) | instskip(SKIP_2) | instid1(VALU_DEP_1)
	s_or_b32 exec_lo, exec_lo, s10
	v_lshrrev_b16 v7, 8, v6
	s_mov_b32 s15, exec_lo
	v_cmpx_ne_u16_e32 0, v7
	s_cbranch_execz .LBB268_1965
; %bb.1958:                             ;   in Loop: Header=BB268_1574 Depth=1
	v_dual_mov_b32 v17, s9 :: v_dual_mov_b32 v16, s8
	s_mov_b32 s16, exec_lo
	v_cmpx_ne_u16_e32 0x80, v7
	s_cbranch_execz .LBB268_1964
; %bb.1959:                             ;   in Loop: Header=BB268_1574 Depth=1
	s_mov_b32 s10, s8
	v_and_b32_e32 v7, 0xffff, v7
	v_dual_mov_b32 v17, s11 :: v_dual_mov_b32 v16, s10
	s_mov_b32 s10, exec_lo
	s_delay_alu instid0(VALU_DEP_2) | instskip(NEXT) | instid1(VALU_DEP_1)
	v_and_b32_e32 v18, 0x7f, v7
	v_cmpx_ne_u32_e32 0x7f, v18
	s_cbranch_execz .LBB268_1963
; %bb.1960:                             ;   in Loop: Header=BB268_1574 Depth=1
	v_and_b32_e32 v8, 7, v7
	v_lshrrev_b32_e32 v7, 3, v18
	s_mov_b32 s17, exec_lo
	v_cmpx_gt_u32_e32 8, v18
; %bb.1961:                             ;   in Loop: Header=BB268_1574 Depth=1
	s_delay_alu instid0(VALU_DEP_3) | instskip(NEXT) | instid1(VALU_DEP_1)
	v_clz_i32_u32_e32 v7, v8
	v_min_u32_e32 v7, 32, v7
	s_delay_alu instid0(VALU_DEP_1) | instskip(SKIP_1) | instid1(VALU_DEP_2)
	v_subrev_nc_u32_e32 v16, 28, v7
	v_sub_nc_u32_e32 v7, 29, v7
	v_lshlrev_b64 v[16:17], v16, v[8:9]
	s_delay_alu instid0(VALU_DEP_1)
	v_and_b32_e32 v8, 7, v16
; %bb.1962:                             ;   in Loop: Header=BB268_1574 Depth=1
	s_or_b32 exec_lo, exec_lo, s17
	v_lshlrev_b32_e32 v16, 16, v6
	s_delay_alu instid0(VALU_DEP_2) | instskip(SKIP_1) | instid1(VALU_DEP_3)
	v_lshlrev_b32_e32 v8, 20, v8
	v_lshl_add_u32 v7, v7, 23, 0x3c000000
	v_and_b32_e32 v16, 0x80000000, v16
	s_delay_alu instid0(VALU_DEP_1)
	v_or3_b32 v17, v8, v16, v7
	v_mov_b32_e32 v16, v9
.LBB268_1963:                           ;   in Loop: Header=BB268_1574 Depth=1
	s_or_b32 exec_lo, exec_lo, s10
.LBB268_1964:                           ;   in Loop: Header=BB268_1574 Depth=1
	s_delay_alu instid0(SALU_CYCLE_1)
	s_or_b32 exec_lo, exec_lo, s16
.LBB268_1965:                           ;   in Loop: Header=BB268_1574 Depth=1
	s_delay_alu instid0(SALU_CYCLE_1) | instskip(SKIP_4) | instid1(VALU_DEP_2)
	s_or_b32 exec_lo, exec_lo, s15
	v_mov_b32_e32 v20, 0
	v_lshrrev_b32_e32 v7, 16, v6
	v_mov_b32_e32 v21, 0
	s_mov_b32 s10, exec_lo
	v_and_b32_e32 v8, 0xff, v7
	s_delay_alu instid0(VALU_DEP_2) | instskip(NEXT) | instid1(VALU_DEP_2)
	v_dual_mov_b32 v18, v20 :: v_dual_mov_b32 v19, v21
	v_cmpx_ne_u16_e32 0, v8
	s_cbranch_execz .LBB268_1973
; %bb.1966:                             ;   in Loop: Header=BB268_1574 Depth=1
	v_bfrev_b32_e32 v18, 1
	v_mov_b32_e32 v19, 0
	s_mov_b32 s15, exec_lo
	v_cmpx_ne_u16_e32 0x80, v8
	s_cbranch_execz .LBB268_1972
; %bb.1967:                             ;   in Loop: Header=BB268_1574 Depth=1
	v_mov_b32_e32 v18, 0x7f800001
	v_bfe_u32 v22, v6, 16, 7
	v_mov_b32_e32 v19, 0
	s_mov_b32 s16, exec_lo
	s_delay_alu instid0(VALU_DEP_2)
	v_cmpx_ne_u32_e32 0x7f, v22
	s_cbranch_execz .LBB268_1971
; %bb.1968:                             ;   in Loop: Header=BB268_1574 Depth=1
	v_and_b32_e32 v8, 7, v7
	v_lshrrev_b32_e32 v18, 3, v22
	s_mov_b32 s17, exec_lo
	v_cmpx_gt_u32_e32 8, v22
; %bb.1969:                             ;   in Loop: Header=BB268_1574 Depth=1
	s_delay_alu instid0(VALU_DEP_3) | instskip(NEXT) | instid1(VALU_DEP_1)
	v_clz_i32_u32_e32 v18, v8
	v_min_u32_e32 v18, 32, v18
	s_delay_alu instid0(VALU_DEP_1) | instskip(SKIP_1) | instid1(VALU_DEP_2)
	v_subrev_nc_u32_e32 v19, 28, v18
	v_sub_nc_u32_e32 v18, 29, v18
	v_lshlrev_b64 v[22:23], v19, v[8:9]
	s_delay_alu instid0(VALU_DEP_1)
	v_and_b32_e32 v8, 7, v22
; %bb.1970:                             ;   in Loop: Header=BB268_1574 Depth=1
	s_or_b32 exec_lo, exec_lo, s17
	v_lshlrev_b32_e32 v7, 24, v7
	s_delay_alu instid0(VALU_DEP_2) | instskip(SKIP_1) | instid1(VALU_DEP_3)
	v_lshlrev_b32_e32 v8, 20, v8
	v_lshl_add_u32 v18, v18, 23, 0x3c000000
	v_and_b32_e32 v7, 0x80000000, v7
	s_delay_alu instid0(VALU_DEP_1) | instskip(NEXT) | instid1(VALU_DEP_1)
	v_or3_b32 v8, v8, v7, v18
	v_dual_mov_b32 v19, v9 :: v_dual_mov_b32 v18, v8
.LBB268_1971:                           ;   in Loop: Header=BB268_1574 Depth=1
	s_or_b32 exec_lo, exec_lo, s16
.LBB268_1972:                           ;   in Loop: Header=BB268_1574 Depth=1
	s_delay_alu instid0(SALU_CYCLE_1)
	s_or_b32 exec_lo, exec_lo, s15
.LBB268_1973:                           ;   in Loop: Header=BB268_1574 Depth=1
	s_delay_alu instid0(SALU_CYCLE_1) | instskip(NEXT) | instid1(SALU_CYCLE_1)
	s_or_b32 exec_lo, exec_lo, s10
	s_mov_b32 s15, exec_lo
	v_cmpx_lt_u32_e32 0xffffff, v6
	s_cbranch_execz .LBB268_1981
; %bb.1974:                             ;   in Loop: Header=BB268_1574 Depth=1
	v_lshrrev_b32_e32 v7, 24, v6
	v_dual_mov_b32 v21, s9 :: v_dual_mov_b32 v20, s8
	s_mov_b32 s16, exec_lo
	s_delay_alu instid0(VALU_DEP_2)
	v_cmpx_ne_u32_e32 0x80, v7
	s_cbranch_execz .LBB268_1980
; %bb.1975:                             ;   in Loop: Header=BB268_1574 Depth=1
	s_mov_b32 s10, s8
	v_bfe_u32 v22, v6, 24, 7
	v_dual_mov_b32 v21, s11 :: v_dual_mov_b32 v20, s10
	s_mov_b32 s10, exec_lo
	s_delay_alu instid0(VALU_DEP_2)
	v_cmpx_ne_u32_e32 0x7f, v22
	s_cbranch_execz .LBB268_1979
; %bb.1976:                             ;   in Loop: Header=BB268_1574 Depth=1
	v_and_b32_e32 v8, 7, v7
	v_lshrrev_b32_e32 v6, 3, v22
	s_mov_b32 s17, exec_lo
	v_cmpx_gt_u32_e32 8, v22
; %bb.1977:                             ;   in Loop: Header=BB268_1574 Depth=1
	s_delay_alu instid0(VALU_DEP_3) | instskip(NEXT) | instid1(VALU_DEP_1)
	v_clz_i32_u32_e32 v6, v8
	v_min_u32_e32 v6, 32, v6
	s_delay_alu instid0(VALU_DEP_1) | instskip(SKIP_1) | instid1(VALU_DEP_2)
	v_subrev_nc_u32_e32 v20, 28, v6
	v_sub_nc_u32_e32 v6, 29, v6
	v_lshlrev_b64 v[20:21], v20, v[8:9]
	s_delay_alu instid0(VALU_DEP_1)
	v_and_b32_e32 v8, 7, v20
; %bb.1978:                             ;   in Loop: Header=BB268_1574 Depth=1
	s_or_b32 exec_lo, exec_lo, s17
	v_dual_mov_b32 v20, v9 :: v_dual_lshlrev_b32 v7, 24, v7
	s_delay_alu instid0(VALU_DEP_2) | instskip(SKIP_1) | instid1(VALU_DEP_3)
	v_lshlrev_b32_e32 v8, 20, v8
	v_lshl_add_u32 v6, v6, 23, 0x3c000000
	v_and_b32_e32 v7, 0x80000000, v7
	s_delay_alu instid0(VALU_DEP_1)
	v_or3_b32 v21, v8, v7, v6
.LBB268_1979:                           ;   in Loop: Header=BB268_1574 Depth=1
	s_or_b32 exec_lo, exec_lo, s10
.LBB268_1980:                           ;   in Loop: Header=BB268_1574 Depth=1
	s_delay_alu instid0(SALU_CYCLE_1)
	s_or_b32 exec_lo, exec_lo, s16
.LBB268_1981:                           ;   in Loop: Header=BB268_1574 Depth=1
	s_delay_alu instid0(SALU_CYCLE_1) | instskip(SKIP_4) | instid1(VALU_DEP_4)
	s_or_b32 exec_lo, exec_lo, s15
	v_or_b32_e32 v5, v17, v5
	v_or_b32_e32 v4, v16, v4
	;; [unrolled: 1-line block ×4, first 2 shown]
	v_mul_f32_e32 v110, v167, v5
	s_delay_alu instid0(VALU_DEP_4) | instskip(NEXT) | instid1(VALU_DEP_4)
	v_mul_f32_e32 v109, v167, v4
	v_mul_f32_e32 v107, v167, v6
	s_delay_alu instid0(VALU_DEP_4)
	v_mul_f32_e32 v108, v167, v7
	s_and_saveexec_b32 s10, vcc_lo
; %bb.1982:                             ;   in Loop: Header=BB268_1574 Depth=1
	v_cmp_lt_i32_e64 s0, v180, v35
	s_delay_alu instid0(VALU_DEP_1) | instskip(SKIP_1) | instid1(VALU_DEP_1)
	v_cndmask_b32_e64 v109, 0, v109, s0
	v_cmp_lt_i32_e64 s0, v183, v35
	v_cndmask_b32_e64 v110, 0, v110, s0
	v_cmp_lt_i32_e64 s0, v182, v35
	s_delay_alu instid0(VALU_DEP_1) | instskip(SKIP_1) | instid1(VALU_DEP_1)
	v_cndmask_b32_e64 v108, 0, v108, s0
	v_cmp_lt_i32_e64 s0, v181, v35
	v_cndmask_b32_e64 v107, 0, v107, s0
; %bb.1983:                             ;   in Loop: Header=BB268_1574 Depth=1
	s_or_b32 exec_lo, exec_lo, s10
	flat_load_b32 v6, v[14:15] offset:1536
	v_mov_b32_e32 v16, 0
	v_mov_b32_e32 v17, 0
	s_delay_alu instid0(VALU_DEP_2) | instskip(SKIP_1) | instid1(VALU_DEP_2)
	v_mov_b32_e32 v4, v16
	s_mov_b32 s10, exec_lo
	v_mov_b32_e32 v5, v17
	s_waitcnt vmcnt(0) lgkmcnt(0)
	v_and_b32_e32 v7, 0xff, v6
	s_delay_alu instid0(VALU_DEP_1)
	v_cmpx_ne_u16_e32 0, v7
	s_cbranch_execz .LBB268_1991
; %bb.1984:                             ;   in Loop: Header=BB268_1574 Depth=1
	v_bfrev_b32_e32 v4, 1
	v_mov_b32_e32 v5, 0
	s_mov_b32 s15, exec_lo
	v_cmpx_ne_u16_e32 0x80, v7
	s_cbranch_execz .LBB268_1990
; %bb.1985:                             ;   in Loop: Header=BB268_1574 Depth=1
	v_mov_b32_e32 v4, 0x7f800001
	v_and_b32_e32 v7, 0x7f, v6
	v_mov_b32_e32 v5, 0
	s_mov_b32 s16, exec_lo
	s_delay_alu instid0(VALU_DEP_2)
	v_cmpx_ne_u32_e32 0x7f, v7
	s_cbranch_execz .LBB268_1989
; %bb.1986:                             ;   in Loop: Header=BB268_1574 Depth=1
	v_and_b32_e32 v8, 7, v6
	v_lshrrev_b32_e32 v4, 3, v7
	s_mov_b32 s17, exec_lo
	v_cmpx_gt_u32_e32 8, v7
; %bb.1987:                             ;   in Loop: Header=BB268_1574 Depth=1
	s_delay_alu instid0(VALU_DEP_3) | instskip(NEXT) | instid1(VALU_DEP_1)
	v_clz_i32_u32_e32 v4, v8
	v_min_u32_e32 v4, 32, v4
	s_delay_alu instid0(VALU_DEP_1) | instskip(SKIP_1) | instid1(VALU_DEP_2)
	v_subrev_nc_u32_e32 v5, 28, v4
	v_sub_nc_u32_e32 v4, 29, v4
	v_lshlrev_b64 v[7:8], v5, v[8:9]
	s_delay_alu instid0(VALU_DEP_1)
	v_and_b32_e32 v8, 7, v7
; %bb.1988:                             ;   in Loop: Header=BB268_1574 Depth=1
	s_or_b32 exec_lo, exec_lo, s17
	v_lshlrev_b32_e32 v5, 24, v6
	s_delay_alu instid0(VALU_DEP_2) | instskip(SKIP_1) | instid1(VALU_DEP_3)
	v_lshlrev_b32_e32 v7, 20, v8
	v_lshl_add_u32 v4, v4, 23, 0x3c000000
	v_and_b32_e32 v5, 0x80000000, v5
	s_delay_alu instid0(VALU_DEP_1) | instskip(NEXT) | instid1(VALU_DEP_1)
	v_or3_b32 v8, v7, v5, v4
	v_dual_mov_b32 v4, v8 :: v_dual_mov_b32 v5, v9
.LBB268_1989:                           ;   in Loop: Header=BB268_1574 Depth=1
	s_or_b32 exec_lo, exec_lo, s16
.LBB268_1990:                           ;   in Loop: Header=BB268_1574 Depth=1
	s_delay_alu instid0(SALU_CYCLE_1)
	s_or_b32 exec_lo, exec_lo, s15
.LBB268_1991:                           ;   in Loop: Header=BB268_1574 Depth=1
	s_delay_alu instid0(SALU_CYCLE_1) | instskip(SKIP_2) | instid1(VALU_DEP_1)
	s_or_b32 exec_lo, exec_lo, s10
	v_lshrrev_b16 v7, 8, v6
	s_mov_b32 s15, exec_lo
	v_cmpx_ne_u16_e32 0, v7
	s_cbranch_execz .LBB268_1999
; %bb.1992:                             ;   in Loop: Header=BB268_1574 Depth=1
	v_dual_mov_b32 v17, s9 :: v_dual_mov_b32 v16, s8
	s_mov_b32 s16, exec_lo
	v_cmpx_ne_u16_e32 0x80, v7
	s_cbranch_execz .LBB268_1998
; %bb.1993:                             ;   in Loop: Header=BB268_1574 Depth=1
	s_mov_b32 s10, s8
	v_and_b32_e32 v7, 0xffff, v7
	v_dual_mov_b32 v17, s11 :: v_dual_mov_b32 v16, s10
	s_mov_b32 s10, exec_lo
	s_delay_alu instid0(VALU_DEP_2) | instskip(NEXT) | instid1(VALU_DEP_1)
	v_and_b32_e32 v18, 0x7f, v7
	v_cmpx_ne_u32_e32 0x7f, v18
	s_cbranch_execz .LBB268_1997
; %bb.1994:                             ;   in Loop: Header=BB268_1574 Depth=1
	v_and_b32_e32 v8, 7, v7
	v_lshrrev_b32_e32 v7, 3, v18
	s_mov_b32 s17, exec_lo
	v_cmpx_gt_u32_e32 8, v18
; %bb.1995:                             ;   in Loop: Header=BB268_1574 Depth=1
	s_delay_alu instid0(VALU_DEP_3) | instskip(NEXT) | instid1(VALU_DEP_1)
	v_clz_i32_u32_e32 v7, v8
	v_min_u32_e32 v7, 32, v7
	s_delay_alu instid0(VALU_DEP_1) | instskip(SKIP_1) | instid1(VALU_DEP_2)
	v_subrev_nc_u32_e32 v16, 28, v7
	v_sub_nc_u32_e32 v7, 29, v7
	v_lshlrev_b64 v[16:17], v16, v[8:9]
	s_delay_alu instid0(VALU_DEP_1)
	v_and_b32_e32 v8, 7, v16
; %bb.1996:                             ;   in Loop: Header=BB268_1574 Depth=1
	s_or_b32 exec_lo, exec_lo, s17
	v_lshlrev_b32_e32 v16, 16, v6
	s_delay_alu instid0(VALU_DEP_2) | instskip(SKIP_1) | instid1(VALU_DEP_3)
	v_lshlrev_b32_e32 v8, 20, v8
	v_lshl_add_u32 v7, v7, 23, 0x3c000000
	v_and_b32_e32 v16, 0x80000000, v16
	s_delay_alu instid0(VALU_DEP_1)
	v_or3_b32 v17, v8, v16, v7
	v_mov_b32_e32 v16, v9
.LBB268_1997:                           ;   in Loop: Header=BB268_1574 Depth=1
	s_or_b32 exec_lo, exec_lo, s10
.LBB268_1998:                           ;   in Loop: Header=BB268_1574 Depth=1
	s_delay_alu instid0(SALU_CYCLE_1)
	s_or_b32 exec_lo, exec_lo, s16
.LBB268_1999:                           ;   in Loop: Header=BB268_1574 Depth=1
	s_delay_alu instid0(SALU_CYCLE_1) | instskip(SKIP_4) | instid1(VALU_DEP_2)
	s_or_b32 exec_lo, exec_lo, s15
	v_mov_b32_e32 v20, 0
	v_lshrrev_b32_e32 v7, 16, v6
	v_mov_b32_e32 v21, 0
	s_mov_b32 s10, exec_lo
	v_and_b32_e32 v8, 0xff, v7
	s_delay_alu instid0(VALU_DEP_2) | instskip(NEXT) | instid1(VALU_DEP_2)
	v_dual_mov_b32 v18, v20 :: v_dual_mov_b32 v19, v21
	v_cmpx_ne_u16_e32 0, v8
	s_cbranch_execz .LBB268_2007
; %bb.2000:                             ;   in Loop: Header=BB268_1574 Depth=1
	v_bfrev_b32_e32 v18, 1
	v_mov_b32_e32 v19, 0
	s_mov_b32 s15, exec_lo
	v_cmpx_ne_u16_e32 0x80, v8
	s_cbranch_execz .LBB268_2006
; %bb.2001:                             ;   in Loop: Header=BB268_1574 Depth=1
	v_mov_b32_e32 v18, 0x7f800001
	v_bfe_u32 v22, v6, 16, 7
	v_mov_b32_e32 v19, 0
	s_mov_b32 s16, exec_lo
	s_delay_alu instid0(VALU_DEP_2)
	v_cmpx_ne_u32_e32 0x7f, v22
	s_cbranch_execz .LBB268_2005
; %bb.2002:                             ;   in Loop: Header=BB268_1574 Depth=1
	v_and_b32_e32 v8, 7, v7
	v_lshrrev_b32_e32 v18, 3, v22
	s_mov_b32 s17, exec_lo
	v_cmpx_gt_u32_e32 8, v22
; %bb.2003:                             ;   in Loop: Header=BB268_1574 Depth=1
	s_delay_alu instid0(VALU_DEP_3) | instskip(NEXT) | instid1(VALU_DEP_1)
	v_clz_i32_u32_e32 v18, v8
	v_min_u32_e32 v18, 32, v18
	s_delay_alu instid0(VALU_DEP_1) | instskip(SKIP_1) | instid1(VALU_DEP_2)
	v_subrev_nc_u32_e32 v19, 28, v18
	v_sub_nc_u32_e32 v18, 29, v18
	v_lshlrev_b64 v[22:23], v19, v[8:9]
	s_delay_alu instid0(VALU_DEP_1)
	v_and_b32_e32 v8, 7, v22
; %bb.2004:                             ;   in Loop: Header=BB268_1574 Depth=1
	s_or_b32 exec_lo, exec_lo, s17
	v_lshlrev_b32_e32 v7, 24, v7
	s_delay_alu instid0(VALU_DEP_2) | instskip(SKIP_1) | instid1(VALU_DEP_3)
	v_lshlrev_b32_e32 v8, 20, v8
	v_lshl_add_u32 v18, v18, 23, 0x3c000000
	v_and_b32_e32 v7, 0x80000000, v7
	s_delay_alu instid0(VALU_DEP_1) | instskip(NEXT) | instid1(VALU_DEP_1)
	v_or3_b32 v8, v8, v7, v18
	v_dual_mov_b32 v19, v9 :: v_dual_mov_b32 v18, v8
.LBB268_2005:                           ;   in Loop: Header=BB268_1574 Depth=1
	s_or_b32 exec_lo, exec_lo, s16
.LBB268_2006:                           ;   in Loop: Header=BB268_1574 Depth=1
	s_delay_alu instid0(SALU_CYCLE_1)
	s_or_b32 exec_lo, exec_lo, s15
.LBB268_2007:                           ;   in Loop: Header=BB268_1574 Depth=1
	s_delay_alu instid0(SALU_CYCLE_1) | instskip(NEXT) | instid1(SALU_CYCLE_1)
	s_or_b32 exec_lo, exec_lo, s10
	s_mov_b32 s15, exec_lo
	v_cmpx_lt_u32_e32 0xffffff, v6
	s_cbranch_execz .LBB268_2015
; %bb.2008:                             ;   in Loop: Header=BB268_1574 Depth=1
	v_lshrrev_b32_e32 v7, 24, v6
	v_dual_mov_b32 v21, s9 :: v_dual_mov_b32 v20, s8
	s_mov_b32 s16, exec_lo
	s_delay_alu instid0(VALU_DEP_2)
	v_cmpx_ne_u32_e32 0x80, v7
	s_cbranch_execz .LBB268_2014
; %bb.2009:                             ;   in Loop: Header=BB268_1574 Depth=1
	s_mov_b32 s10, s8
	v_bfe_u32 v22, v6, 24, 7
	v_dual_mov_b32 v21, s11 :: v_dual_mov_b32 v20, s10
	s_mov_b32 s10, exec_lo
	s_delay_alu instid0(VALU_DEP_2)
	v_cmpx_ne_u32_e32 0x7f, v22
	s_cbranch_execz .LBB268_2013
; %bb.2010:                             ;   in Loop: Header=BB268_1574 Depth=1
	v_and_b32_e32 v8, 7, v7
	v_lshrrev_b32_e32 v6, 3, v22
	s_mov_b32 s17, exec_lo
	v_cmpx_gt_u32_e32 8, v22
; %bb.2011:                             ;   in Loop: Header=BB268_1574 Depth=1
	s_delay_alu instid0(VALU_DEP_3) | instskip(NEXT) | instid1(VALU_DEP_1)
	v_clz_i32_u32_e32 v6, v8
	v_min_u32_e32 v6, 32, v6
	s_delay_alu instid0(VALU_DEP_1) | instskip(SKIP_1) | instid1(VALU_DEP_2)
	v_subrev_nc_u32_e32 v20, 28, v6
	v_sub_nc_u32_e32 v6, 29, v6
	v_lshlrev_b64 v[20:21], v20, v[8:9]
	s_delay_alu instid0(VALU_DEP_1)
	v_and_b32_e32 v8, 7, v20
; %bb.2012:                             ;   in Loop: Header=BB268_1574 Depth=1
	s_or_b32 exec_lo, exec_lo, s17
	v_dual_mov_b32 v20, v9 :: v_dual_lshlrev_b32 v7, 24, v7
	s_delay_alu instid0(VALU_DEP_2) | instskip(SKIP_1) | instid1(VALU_DEP_3)
	v_lshlrev_b32_e32 v8, 20, v8
	v_lshl_add_u32 v6, v6, 23, 0x3c000000
	v_and_b32_e32 v7, 0x80000000, v7
	s_delay_alu instid0(VALU_DEP_1)
	v_or3_b32 v21, v8, v7, v6
.LBB268_2013:                           ;   in Loop: Header=BB268_1574 Depth=1
	s_or_b32 exec_lo, exec_lo, s10
.LBB268_2014:                           ;   in Loop: Header=BB268_1574 Depth=1
	s_delay_alu instid0(SALU_CYCLE_1)
	s_or_b32 exec_lo, exec_lo, s16
.LBB268_2015:                           ;   in Loop: Header=BB268_1574 Depth=1
	s_delay_alu instid0(SALU_CYCLE_1) | instskip(SKIP_4) | instid1(VALU_DEP_4)
	s_or_b32 exec_lo, exec_lo, s15
	v_or_b32_e32 v5, v17, v5
	v_or_b32_e32 v4, v16, v4
	;; [unrolled: 1-line block ×4, first 2 shown]
	v_mul_f32_e32 v122, v167, v5
	s_delay_alu instid0(VALU_DEP_4) | instskip(NEXT) | instid1(VALU_DEP_4)
	v_mul_f32_e32 v121, v167, v4
	v_mul_f32_e32 v111, v167, v6
	s_delay_alu instid0(VALU_DEP_4)
	v_mul_f32_e32 v120, v167, v7
	s_and_saveexec_b32 s10, vcc_lo
; %bb.2016:                             ;   in Loop: Header=BB268_1574 Depth=1
	v_cmp_lt_i32_e64 s0, v180, v35
	s_delay_alu instid0(VALU_DEP_1) | instskip(SKIP_1) | instid1(VALU_DEP_1)
	v_cndmask_b32_e64 v121, 0, v121, s0
	v_cmp_lt_i32_e64 s0, v183, v35
	v_cndmask_b32_e64 v122, 0, v122, s0
	v_cmp_lt_i32_e64 s0, v182, v35
	s_delay_alu instid0(VALU_DEP_1) | instskip(SKIP_1) | instid1(VALU_DEP_1)
	v_cndmask_b32_e64 v120, 0, v120, s0
	v_cmp_lt_i32_e64 s0, v181, v35
	v_cndmask_b32_e64 v111, 0, v111, s0
; %bb.2017:                             ;   in Loop: Header=BB268_1574 Depth=1
	s_or_b32 exec_lo, exec_lo, s10
	flat_load_b32 v6, v[14:15] offset:1664
	v_mov_b32_e32 v16, 0
	v_mov_b32_e32 v17, 0
	s_delay_alu instid0(VALU_DEP_2) | instskip(SKIP_1) | instid1(VALU_DEP_2)
	v_mov_b32_e32 v4, v16
	s_mov_b32 s10, exec_lo
	v_mov_b32_e32 v5, v17
	s_waitcnt vmcnt(0) lgkmcnt(0)
	v_and_b32_e32 v7, 0xff, v6
	s_delay_alu instid0(VALU_DEP_1)
	v_cmpx_ne_u16_e32 0, v7
	s_cbranch_execz .LBB268_2025
; %bb.2018:                             ;   in Loop: Header=BB268_1574 Depth=1
	v_bfrev_b32_e32 v4, 1
	v_mov_b32_e32 v5, 0
	s_mov_b32 s15, exec_lo
	v_cmpx_ne_u16_e32 0x80, v7
	s_cbranch_execz .LBB268_2024
; %bb.2019:                             ;   in Loop: Header=BB268_1574 Depth=1
	v_mov_b32_e32 v4, 0x7f800001
	v_and_b32_e32 v7, 0x7f, v6
	v_mov_b32_e32 v5, 0
	s_mov_b32 s16, exec_lo
	s_delay_alu instid0(VALU_DEP_2)
	v_cmpx_ne_u32_e32 0x7f, v7
	s_cbranch_execz .LBB268_2023
; %bb.2020:                             ;   in Loop: Header=BB268_1574 Depth=1
	v_and_b32_e32 v8, 7, v6
	v_lshrrev_b32_e32 v4, 3, v7
	s_mov_b32 s17, exec_lo
	v_cmpx_gt_u32_e32 8, v7
; %bb.2021:                             ;   in Loop: Header=BB268_1574 Depth=1
	s_delay_alu instid0(VALU_DEP_3) | instskip(NEXT) | instid1(VALU_DEP_1)
	v_clz_i32_u32_e32 v4, v8
	v_min_u32_e32 v4, 32, v4
	s_delay_alu instid0(VALU_DEP_1) | instskip(SKIP_1) | instid1(VALU_DEP_2)
	v_subrev_nc_u32_e32 v5, 28, v4
	v_sub_nc_u32_e32 v4, 29, v4
	v_lshlrev_b64 v[7:8], v5, v[8:9]
	s_delay_alu instid0(VALU_DEP_1)
	v_and_b32_e32 v8, 7, v7
; %bb.2022:                             ;   in Loop: Header=BB268_1574 Depth=1
	s_or_b32 exec_lo, exec_lo, s17
	v_lshlrev_b32_e32 v5, 24, v6
	s_delay_alu instid0(VALU_DEP_2) | instskip(SKIP_1) | instid1(VALU_DEP_3)
	v_lshlrev_b32_e32 v7, 20, v8
	v_lshl_add_u32 v4, v4, 23, 0x3c000000
	v_and_b32_e32 v5, 0x80000000, v5
	s_delay_alu instid0(VALU_DEP_1) | instskip(NEXT) | instid1(VALU_DEP_1)
	v_or3_b32 v8, v7, v5, v4
	v_dual_mov_b32 v4, v8 :: v_dual_mov_b32 v5, v9
.LBB268_2023:                           ;   in Loop: Header=BB268_1574 Depth=1
	s_or_b32 exec_lo, exec_lo, s16
.LBB268_2024:                           ;   in Loop: Header=BB268_1574 Depth=1
	s_delay_alu instid0(SALU_CYCLE_1)
	s_or_b32 exec_lo, exec_lo, s15
.LBB268_2025:                           ;   in Loop: Header=BB268_1574 Depth=1
	s_delay_alu instid0(SALU_CYCLE_1) | instskip(SKIP_2) | instid1(VALU_DEP_1)
	s_or_b32 exec_lo, exec_lo, s10
	v_lshrrev_b16 v7, 8, v6
	s_mov_b32 s15, exec_lo
	v_cmpx_ne_u16_e32 0, v7
	s_cbranch_execz .LBB268_2033
; %bb.2026:                             ;   in Loop: Header=BB268_1574 Depth=1
	v_dual_mov_b32 v17, s9 :: v_dual_mov_b32 v16, s8
	s_mov_b32 s16, exec_lo
	v_cmpx_ne_u16_e32 0x80, v7
	s_cbranch_execz .LBB268_2032
; %bb.2027:                             ;   in Loop: Header=BB268_1574 Depth=1
	s_mov_b32 s10, s8
	v_and_b32_e32 v7, 0xffff, v7
	v_dual_mov_b32 v17, s11 :: v_dual_mov_b32 v16, s10
	s_mov_b32 s10, exec_lo
	s_delay_alu instid0(VALU_DEP_2) | instskip(NEXT) | instid1(VALU_DEP_1)
	v_and_b32_e32 v18, 0x7f, v7
	v_cmpx_ne_u32_e32 0x7f, v18
	s_cbranch_execz .LBB268_2031
; %bb.2028:                             ;   in Loop: Header=BB268_1574 Depth=1
	v_and_b32_e32 v8, 7, v7
	v_lshrrev_b32_e32 v7, 3, v18
	s_mov_b32 s17, exec_lo
	v_cmpx_gt_u32_e32 8, v18
; %bb.2029:                             ;   in Loop: Header=BB268_1574 Depth=1
	s_delay_alu instid0(VALU_DEP_3) | instskip(NEXT) | instid1(VALU_DEP_1)
	v_clz_i32_u32_e32 v7, v8
	v_min_u32_e32 v7, 32, v7
	s_delay_alu instid0(VALU_DEP_1) | instskip(SKIP_1) | instid1(VALU_DEP_2)
	v_subrev_nc_u32_e32 v16, 28, v7
	v_sub_nc_u32_e32 v7, 29, v7
	v_lshlrev_b64 v[16:17], v16, v[8:9]
	s_delay_alu instid0(VALU_DEP_1)
	v_and_b32_e32 v8, 7, v16
; %bb.2030:                             ;   in Loop: Header=BB268_1574 Depth=1
	s_or_b32 exec_lo, exec_lo, s17
	v_lshlrev_b32_e32 v16, 16, v6
	s_delay_alu instid0(VALU_DEP_2) | instskip(SKIP_1) | instid1(VALU_DEP_3)
	v_lshlrev_b32_e32 v8, 20, v8
	v_lshl_add_u32 v7, v7, 23, 0x3c000000
	v_and_b32_e32 v16, 0x80000000, v16
	s_delay_alu instid0(VALU_DEP_1)
	v_or3_b32 v17, v8, v16, v7
	v_mov_b32_e32 v16, v9
.LBB268_2031:                           ;   in Loop: Header=BB268_1574 Depth=1
	s_or_b32 exec_lo, exec_lo, s10
.LBB268_2032:                           ;   in Loop: Header=BB268_1574 Depth=1
	s_delay_alu instid0(SALU_CYCLE_1)
	s_or_b32 exec_lo, exec_lo, s16
.LBB268_2033:                           ;   in Loop: Header=BB268_1574 Depth=1
	s_delay_alu instid0(SALU_CYCLE_1) | instskip(SKIP_4) | instid1(VALU_DEP_2)
	s_or_b32 exec_lo, exec_lo, s15
	v_mov_b32_e32 v20, 0
	v_lshrrev_b32_e32 v7, 16, v6
	v_mov_b32_e32 v21, 0
	s_mov_b32 s10, exec_lo
	v_and_b32_e32 v8, 0xff, v7
	s_delay_alu instid0(VALU_DEP_2) | instskip(NEXT) | instid1(VALU_DEP_2)
	v_dual_mov_b32 v18, v20 :: v_dual_mov_b32 v19, v21
	v_cmpx_ne_u16_e32 0, v8
	s_cbranch_execz .LBB268_2041
; %bb.2034:                             ;   in Loop: Header=BB268_1574 Depth=1
	v_bfrev_b32_e32 v18, 1
	v_mov_b32_e32 v19, 0
	s_mov_b32 s15, exec_lo
	v_cmpx_ne_u16_e32 0x80, v8
	s_cbranch_execz .LBB268_2040
; %bb.2035:                             ;   in Loop: Header=BB268_1574 Depth=1
	v_mov_b32_e32 v18, 0x7f800001
	v_bfe_u32 v22, v6, 16, 7
	v_mov_b32_e32 v19, 0
	s_mov_b32 s16, exec_lo
	s_delay_alu instid0(VALU_DEP_2)
	v_cmpx_ne_u32_e32 0x7f, v22
	s_cbranch_execz .LBB268_2039
; %bb.2036:                             ;   in Loop: Header=BB268_1574 Depth=1
	v_and_b32_e32 v8, 7, v7
	v_lshrrev_b32_e32 v18, 3, v22
	s_mov_b32 s17, exec_lo
	v_cmpx_gt_u32_e32 8, v22
; %bb.2037:                             ;   in Loop: Header=BB268_1574 Depth=1
	s_delay_alu instid0(VALU_DEP_3) | instskip(NEXT) | instid1(VALU_DEP_1)
	v_clz_i32_u32_e32 v18, v8
	v_min_u32_e32 v18, 32, v18
	s_delay_alu instid0(VALU_DEP_1) | instskip(SKIP_1) | instid1(VALU_DEP_2)
	v_subrev_nc_u32_e32 v19, 28, v18
	v_sub_nc_u32_e32 v18, 29, v18
	v_lshlrev_b64 v[22:23], v19, v[8:9]
	s_delay_alu instid0(VALU_DEP_1)
	v_and_b32_e32 v8, 7, v22
; %bb.2038:                             ;   in Loop: Header=BB268_1574 Depth=1
	s_or_b32 exec_lo, exec_lo, s17
	v_lshlrev_b32_e32 v7, 24, v7
	s_delay_alu instid0(VALU_DEP_2) | instskip(SKIP_1) | instid1(VALU_DEP_3)
	v_lshlrev_b32_e32 v8, 20, v8
	v_lshl_add_u32 v18, v18, 23, 0x3c000000
	v_and_b32_e32 v7, 0x80000000, v7
	s_delay_alu instid0(VALU_DEP_1) | instskip(NEXT) | instid1(VALU_DEP_1)
	v_or3_b32 v8, v8, v7, v18
	v_dual_mov_b32 v19, v9 :: v_dual_mov_b32 v18, v8
.LBB268_2039:                           ;   in Loop: Header=BB268_1574 Depth=1
	s_or_b32 exec_lo, exec_lo, s16
.LBB268_2040:                           ;   in Loop: Header=BB268_1574 Depth=1
	s_delay_alu instid0(SALU_CYCLE_1)
	s_or_b32 exec_lo, exec_lo, s15
.LBB268_2041:                           ;   in Loop: Header=BB268_1574 Depth=1
	s_delay_alu instid0(SALU_CYCLE_1) | instskip(NEXT) | instid1(SALU_CYCLE_1)
	s_or_b32 exec_lo, exec_lo, s10
	s_mov_b32 s15, exec_lo
	v_cmpx_lt_u32_e32 0xffffff, v6
	s_cbranch_execz .LBB268_2049
; %bb.2042:                             ;   in Loop: Header=BB268_1574 Depth=1
	v_lshrrev_b32_e32 v7, 24, v6
	v_dual_mov_b32 v21, s9 :: v_dual_mov_b32 v20, s8
	s_mov_b32 s16, exec_lo
	s_delay_alu instid0(VALU_DEP_2)
	v_cmpx_ne_u32_e32 0x80, v7
	s_cbranch_execz .LBB268_2048
; %bb.2043:                             ;   in Loop: Header=BB268_1574 Depth=1
	s_mov_b32 s10, s8
	v_bfe_u32 v22, v6, 24, 7
	v_dual_mov_b32 v21, s11 :: v_dual_mov_b32 v20, s10
	s_mov_b32 s10, exec_lo
	s_delay_alu instid0(VALU_DEP_2)
	v_cmpx_ne_u32_e32 0x7f, v22
	s_cbranch_execz .LBB268_2047
; %bb.2044:                             ;   in Loop: Header=BB268_1574 Depth=1
	v_and_b32_e32 v8, 7, v7
	v_lshrrev_b32_e32 v6, 3, v22
	s_mov_b32 s17, exec_lo
	v_cmpx_gt_u32_e32 8, v22
; %bb.2045:                             ;   in Loop: Header=BB268_1574 Depth=1
	s_delay_alu instid0(VALU_DEP_3) | instskip(NEXT) | instid1(VALU_DEP_1)
	v_clz_i32_u32_e32 v6, v8
	v_min_u32_e32 v6, 32, v6
	s_delay_alu instid0(VALU_DEP_1) | instskip(SKIP_1) | instid1(VALU_DEP_2)
	v_subrev_nc_u32_e32 v20, 28, v6
	v_sub_nc_u32_e32 v6, 29, v6
	v_lshlrev_b64 v[20:21], v20, v[8:9]
	s_delay_alu instid0(VALU_DEP_1)
	v_and_b32_e32 v8, 7, v20
; %bb.2046:                             ;   in Loop: Header=BB268_1574 Depth=1
	s_or_b32 exec_lo, exec_lo, s17
	v_dual_mov_b32 v20, v9 :: v_dual_lshlrev_b32 v7, 24, v7
	s_delay_alu instid0(VALU_DEP_2) | instskip(SKIP_1) | instid1(VALU_DEP_3)
	v_lshlrev_b32_e32 v8, 20, v8
	v_lshl_add_u32 v6, v6, 23, 0x3c000000
	v_and_b32_e32 v7, 0x80000000, v7
	s_delay_alu instid0(VALU_DEP_1)
	v_or3_b32 v21, v8, v7, v6
.LBB268_2047:                           ;   in Loop: Header=BB268_1574 Depth=1
	s_or_b32 exec_lo, exec_lo, s10
.LBB268_2048:                           ;   in Loop: Header=BB268_1574 Depth=1
	s_delay_alu instid0(SALU_CYCLE_1)
	s_or_b32 exec_lo, exec_lo, s16
.LBB268_2049:                           ;   in Loop: Header=BB268_1574 Depth=1
	s_delay_alu instid0(SALU_CYCLE_1) | instskip(SKIP_4) | instid1(VALU_DEP_4)
	s_or_b32 exec_lo, exec_lo, s15
	v_or_b32_e32 v5, v17, v5
	v_or_b32_e32 v4, v16, v4
	;; [unrolled: 1-line block ×4, first 2 shown]
	v_mul_f32_e32 v126, v167, v5
	s_delay_alu instid0(VALU_DEP_4) | instskip(NEXT) | instid1(VALU_DEP_4)
	v_mul_f32_e32 v125, v167, v4
	v_mul_f32_e32 v123, v167, v6
	s_delay_alu instid0(VALU_DEP_4)
	v_mul_f32_e32 v124, v167, v7
	s_and_saveexec_b32 s10, vcc_lo
; %bb.2050:                             ;   in Loop: Header=BB268_1574 Depth=1
	v_cmp_lt_i32_e64 s0, v180, v35
	s_delay_alu instid0(VALU_DEP_1) | instskip(SKIP_1) | instid1(VALU_DEP_1)
	v_cndmask_b32_e64 v125, 0, v125, s0
	v_cmp_lt_i32_e64 s0, v183, v35
	v_cndmask_b32_e64 v126, 0, v126, s0
	v_cmp_lt_i32_e64 s0, v182, v35
	s_delay_alu instid0(VALU_DEP_1) | instskip(SKIP_1) | instid1(VALU_DEP_1)
	v_cndmask_b32_e64 v124, 0, v124, s0
	v_cmp_lt_i32_e64 s0, v181, v35
	v_cndmask_b32_e64 v123, 0, v123, s0
; %bb.2051:                             ;   in Loop: Header=BB268_1574 Depth=1
	s_or_b32 exec_lo, exec_lo, s10
	flat_load_b32 v6, v[14:15] offset:1792
	v_mov_b32_e32 v16, 0
	v_mov_b32_e32 v17, 0
	s_delay_alu instid0(VALU_DEP_2) | instskip(SKIP_1) | instid1(VALU_DEP_2)
	v_mov_b32_e32 v4, v16
	s_mov_b32 s10, exec_lo
	v_mov_b32_e32 v5, v17
	s_waitcnt vmcnt(0) lgkmcnt(0)
	v_and_b32_e32 v7, 0xff, v6
	s_delay_alu instid0(VALU_DEP_1)
	v_cmpx_ne_u16_e32 0, v7
	s_cbranch_execz .LBB268_2059
; %bb.2052:                             ;   in Loop: Header=BB268_1574 Depth=1
	v_bfrev_b32_e32 v4, 1
	v_mov_b32_e32 v5, 0
	s_mov_b32 s15, exec_lo
	v_cmpx_ne_u16_e32 0x80, v7
	s_cbranch_execz .LBB268_2058
; %bb.2053:                             ;   in Loop: Header=BB268_1574 Depth=1
	v_mov_b32_e32 v4, 0x7f800001
	v_and_b32_e32 v7, 0x7f, v6
	v_mov_b32_e32 v5, 0
	s_mov_b32 s16, exec_lo
	s_delay_alu instid0(VALU_DEP_2)
	v_cmpx_ne_u32_e32 0x7f, v7
	s_cbranch_execz .LBB268_2057
; %bb.2054:                             ;   in Loop: Header=BB268_1574 Depth=1
	v_and_b32_e32 v8, 7, v6
	v_lshrrev_b32_e32 v4, 3, v7
	s_mov_b32 s17, exec_lo
	v_cmpx_gt_u32_e32 8, v7
; %bb.2055:                             ;   in Loop: Header=BB268_1574 Depth=1
	s_delay_alu instid0(VALU_DEP_3) | instskip(NEXT) | instid1(VALU_DEP_1)
	v_clz_i32_u32_e32 v4, v8
	v_min_u32_e32 v4, 32, v4
	s_delay_alu instid0(VALU_DEP_1) | instskip(SKIP_1) | instid1(VALU_DEP_2)
	v_subrev_nc_u32_e32 v5, 28, v4
	v_sub_nc_u32_e32 v4, 29, v4
	v_lshlrev_b64 v[7:8], v5, v[8:9]
	s_delay_alu instid0(VALU_DEP_1)
	v_and_b32_e32 v8, 7, v7
; %bb.2056:                             ;   in Loop: Header=BB268_1574 Depth=1
	s_or_b32 exec_lo, exec_lo, s17
	v_lshlrev_b32_e32 v5, 24, v6
	s_delay_alu instid0(VALU_DEP_2) | instskip(SKIP_1) | instid1(VALU_DEP_3)
	v_lshlrev_b32_e32 v7, 20, v8
	v_lshl_add_u32 v4, v4, 23, 0x3c000000
	v_and_b32_e32 v5, 0x80000000, v5
	s_delay_alu instid0(VALU_DEP_1) | instskip(NEXT) | instid1(VALU_DEP_1)
	v_or3_b32 v8, v7, v5, v4
	v_dual_mov_b32 v4, v8 :: v_dual_mov_b32 v5, v9
.LBB268_2057:                           ;   in Loop: Header=BB268_1574 Depth=1
	s_or_b32 exec_lo, exec_lo, s16
.LBB268_2058:                           ;   in Loop: Header=BB268_1574 Depth=1
	s_delay_alu instid0(SALU_CYCLE_1)
	s_or_b32 exec_lo, exec_lo, s15
.LBB268_2059:                           ;   in Loop: Header=BB268_1574 Depth=1
	s_delay_alu instid0(SALU_CYCLE_1) | instskip(SKIP_2) | instid1(VALU_DEP_1)
	s_or_b32 exec_lo, exec_lo, s10
	v_lshrrev_b16 v7, 8, v6
	s_mov_b32 s15, exec_lo
	v_cmpx_ne_u16_e32 0, v7
	s_cbranch_execz .LBB268_2067
; %bb.2060:                             ;   in Loop: Header=BB268_1574 Depth=1
	v_dual_mov_b32 v17, s9 :: v_dual_mov_b32 v16, s8
	s_mov_b32 s16, exec_lo
	v_cmpx_ne_u16_e32 0x80, v7
	s_cbranch_execz .LBB268_2066
; %bb.2061:                             ;   in Loop: Header=BB268_1574 Depth=1
	s_mov_b32 s10, s8
	v_and_b32_e32 v7, 0xffff, v7
	v_dual_mov_b32 v17, s11 :: v_dual_mov_b32 v16, s10
	s_mov_b32 s10, exec_lo
	s_delay_alu instid0(VALU_DEP_2) | instskip(NEXT) | instid1(VALU_DEP_1)
	v_and_b32_e32 v18, 0x7f, v7
	v_cmpx_ne_u32_e32 0x7f, v18
	s_cbranch_execz .LBB268_2065
; %bb.2062:                             ;   in Loop: Header=BB268_1574 Depth=1
	v_and_b32_e32 v8, 7, v7
	v_lshrrev_b32_e32 v7, 3, v18
	s_mov_b32 s17, exec_lo
	v_cmpx_gt_u32_e32 8, v18
; %bb.2063:                             ;   in Loop: Header=BB268_1574 Depth=1
	s_delay_alu instid0(VALU_DEP_3) | instskip(NEXT) | instid1(VALU_DEP_1)
	v_clz_i32_u32_e32 v7, v8
	v_min_u32_e32 v7, 32, v7
	s_delay_alu instid0(VALU_DEP_1) | instskip(SKIP_1) | instid1(VALU_DEP_2)
	v_subrev_nc_u32_e32 v16, 28, v7
	v_sub_nc_u32_e32 v7, 29, v7
	v_lshlrev_b64 v[16:17], v16, v[8:9]
	s_delay_alu instid0(VALU_DEP_1)
	v_and_b32_e32 v8, 7, v16
; %bb.2064:                             ;   in Loop: Header=BB268_1574 Depth=1
	s_or_b32 exec_lo, exec_lo, s17
	v_lshlrev_b32_e32 v16, 16, v6
	s_delay_alu instid0(VALU_DEP_2) | instskip(SKIP_1) | instid1(VALU_DEP_3)
	v_lshlrev_b32_e32 v8, 20, v8
	v_lshl_add_u32 v7, v7, 23, 0x3c000000
	v_and_b32_e32 v16, 0x80000000, v16
	s_delay_alu instid0(VALU_DEP_1)
	v_or3_b32 v17, v8, v16, v7
	v_mov_b32_e32 v16, v9
.LBB268_2065:                           ;   in Loop: Header=BB268_1574 Depth=1
	s_or_b32 exec_lo, exec_lo, s10
.LBB268_2066:                           ;   in Loop: Header=BB268_1574 Depth=1
	s_delay_alu instid0(SALU_CYCLE_1)
	s_or_b32 exec_lo, exec_lo, s16
.LBB268_2067:                           ;   in Loop: Header=BB268_1574 Depth=1
	s_delay_alu instid0(SALU_CYCLE_1) | instskip(SKIP_4) | instid1(VALU_DEP_2)
	s_or_b32 exec_lo, exec_lo, s15
	v_mov_b32_e32 v20, 0
	v_lshrrev_b32_e32 v7, 16, v6
	v_mov_b32_e32 v21, 0
	s_mov_b32 s10, exec_lo
	v_and_b32_e32 v8, 0xff, v7
	s_delay_alu instid0(VALU_DEP_2) | instskip(NEXT) | instid1(VALU_DEP_2)
	v_dual_mov_b32 v18, v20 :: v_dual_mov_b32 v19, v21
	v_cmpx_ne_u16_e32 0, v8
	s_cbranch_execz .LBB268_2075
; %bb.2068:                             ;   in Loop: Header=BB268_1574 Depth=1
	v_bfrev_b32_e32 v18, 1
	v_mov_b32_e32 v19, 0
	s_mov_b32 s15, exec_lo
	v_cmpx_ne_u16_e32 0x80, v8
	s_cbranch_execz .LBB268_2074
; %bb.2069:                             ;   in Loop: Header=BB268_1574 Depth=1
	v_mov_b32_e32 v18, 0x7f800001
	v_bfe_u32 v22, v6, 16, 7
	v_mov_b32_e32 v19, 0
	s_mov_b32 s16, exec_lo
	s_delay_alu instid0(VALU_DEP_2)
	v_cmpx_ne_u32_e32 0x7f, v22
	s_cbranch_execz .LBB268_2073
; %bb.2070:                             ;   in Loop: Header=BB268_1574 Depth=1
	v_and_b32_e32 v8, 7, v7
	v_lshrrev_b32_e32 v18, 3, v22
	s_mov_b32 s17, exec_lo
	v_cmpx_gt_u32_e32 8, v22
; %bb.2071:                             ;   in Loop: Header=BB268_1574 Depth=1
	s_delay_alu instid0(VALU_DEP_3) | instskip(NEXT) | instid1(VALU_DEP_1)
	v_clz_i32_u32_e32 v18, v8
	v_min_u32_e32 v18, 32, v18
	s_delay_alu instid0(VALU_DEP_1) | instskip(SKIP_1) | instid1(VALU_DEP_2)
	v_subrev_nc_u32_e32 v19, 28, v18
	v_sub_nc_u32_e32 v18, 29, v18
	v_lshlrev_b64 v[22:23], v19, v[8:9]
	s_delay_alu instid0(VALU_DEP_1)
	v_and_b32_e32 v8, 7, v22
; %bb.2072:                             ;   in Loop: Header=BB268_1574 Depth=1
	s_or_b32 exec_lo, exec_lo, s17
	v_lshlrev_b32_e32 v7, 24, v7
	s_delay_alu instid0(VALU_DEP_2) | instskip(SKIP_1) | instid1(VALU_DEP_3)
	v_lshlrev_b32_e32 v8, 20, v8
	v_lshl_add_u32 v18, v18, 23, 0x3c000000
	v_and_b32_e32 v7, 0x80000000, v7
	s_delay_alu instid0(VALU_DEP_1) | instskip(NEXT) | instid1(VALU_DEP_1)
	v_or3_b32 v8, v8, v7, v18
	v_dual_mov_b32 v19, v9 :: v_dual_mov_b32 v18, v8
.LBB268_2073:                           ;   in Loop: Header=BB268_1574 Depth=1
	s_or_b32 exec_lo, exec_lo, s16
.LBB268_2074:                           ;   in Loop: Header=BB268_1574 Depth=1
	s_delay_alu instid0(SALU_CYCLE_1)
	s_or_b32 exec_lo, exec_lo, s15
.LBB268_2075:                           ;   in Loop: Header=BB268_1574 Depth=1
	s_delay_alu instid0(SALU_CYCLE_1) | instskip(NEXT) | instid1(SALU_CYCLE_1)
	s_or_b32 exec_lo, exec_lo, s10
	s_mov_b32 s15, exec_lo
	v_cmpx_lt_u32_e32 0xffffff, v6
	s_cbranch_execz .LBB268_2083
; %bb.2076:                             ;   in Loop: Header=BB268_1574 Depth=1
	v_lshrrev_b32_e32 v7, 24, v6
	v_dual_mov_b32 v21, s9 :: v_dual_mov_b32 v20, s8
	s_mov_b32 s16, exec_lo
	s_delay_alu instid0(VALU_DEP_2)
	v_cmpx_ne_u32_e32 0x80, v7
	s_cbranch_execz .LBB268_2082
; %bb.2077:                             ;   in Loop: Header=BB268_1574 Depth=1
	s_mov_b32 s10, s8
	v_bfe_u32 v22, v6, 24, 7
	v_dual_mov_b32 v21, s11 :: v_dual_mov_b32 v20, s10
	s_mov_b32 s10, exec_lo
	s_delay_alu instid0(VALU_DEP_2)
	v_cmpx_ne_u32_e32 0x7f, v22
	s_cbranch_execz .LBB268_2081
; %bb.2078:                             ;   in Loop: Header=BB268_1574 Depth=1
	v_and_b32_e32 v8, 7, v7
	v_lshrrev_b32_e32 v6, 3, v22
	s_mov_b32 s17, exec_lo
	v_cmpx_gt_u32_e32 8, v22
; %bb.2079:                             ;   in Loop: Header=BB268_1574 Depth=1
	s_delay_alu instid0(VALU_DEP_3) | instskip(NEXT) | instid1(VALU_DEP_1)
	v_clz_i32_u32_e32 v6, v8
	v_min_u32_e32 v6, 32, v6
	s_delay_alu instid0(VALU_DEP_1) | instskip(SKIP_1) | instid1(VALU_DEP_2)
	v_subrev_nc_u32_e32 v20, 28, v6
	v_sub_nc_u32_e32 v6, 29, v6
	v_lshlrev_b64 v[20:21], v20, v[8:9]
	s_delay_alu instid0(VALU_DEP_1)
	v_and_b32_e32 v8, 7, v20
; %bb.2080:                             ;   in Loop: Header=BB268_1574 Depth=1
	s_or_b32 exec_lo, exec_lo, s17
	v_dual_mov_b32 v20, v9 :: v_dual_lshlrev_b32 v7, 24, v7
	s_delay_alu instid0(VALU_DEP_2) | instskip(SKIP_1) | instid1(VALU_DEP_3)
	v_lshlrev_b32_e32 v8, 20, v8
	v_lshl_add_u32 v6, v6, 23, 0x3c000000
	v_and_b32_e32 v7, 0x80000000, v7
	s_delay_alu instid0(VALU_DEP_1)
	v_or3_b32 v21, v8, v7, v6
.LBB268_2081:                           ;   in Loop: Header=BB268_1574 Depth=1
	s_or_b32 exec_lo, exec_lo, s10
.LBB268_2082:                           ;   in Loop: Header=BB268_1574 Depth=1
	s_delay_alu instid0(SALU_CYCLE_1)
	s_or_b32 exec_lo, exec_lo, s16
.LBB268_2083:                           ;   in Loop: Header=BB268_1574 Depth=1
	s_delay_alu instid0(SALU_CYCLE_1) | instskip(SKIP_4) | instid1(VALU_DEP_4)
	s_or_b32 exec_lo, exec_lo, s15
	v_or_b32_e32 v5, v17, v5
	v_or_b32_e32 v4, v16, v4
	;; [unrolled: 1-line block ×4, first 2 shown]
	v_mul_f32_e32 v138, v167, v5
	s_delay_alu instid0(VALU_DEP_4) | instskip(NEXT) | instid1(VALU_DEP_4)
	v_mul_f32_e32 v137, v167, v4
	v_mul_f32_e32 v127, v167, v6
	s_delay_alu instid0(VALU_DEP_4)
	v_mul_f32_e32 v136, v167, v7
	s_and_saveexec_b32 s10, vcc_lo
; %bb.2084:                             ;   in Loop: Header=BB268_1574 Depth=1
	v_cmp_lt_i32_e64 s0, v180, v35
	s_delay_alu instid0(VALU_DEP_1) | instskip(SKIP_1) | instid1(VALU_DEP_1)
	v_cndmask_b32_e64 v137, 0, v137, s0
	v_cmp_lt_i32_e64 s0, v183, v35
	v_cndmask_b32_e64 v138, 0, v138, s0
	v_cmp_lt_i32_e64 s0, v182, v35
	s_delay_alu instid0(VALU_DEP_1) | instskip(SKIP_1) | instid1(VALU_DEP_1)
	v_cndmask_b32_e64 v136, 0, v136, s0
	v_cmp_lt_i32_e64 s0, v181, v35
	v_cndmask_b32_e64 v127, 0, v127, s0
; %bb.2085:                             ;   in Loop: Header=BB268_1574 Depth=1
	s_or_b32 exec_lo, exec_lo, s10
	flat_load_b32 v6, v[14:15] offset:1920
	v_mov_b32_e32 v16, 0
	v_mov_b32_e32 v17, 0
	s_delay_alu instid0(VALU_DEP_2) | instskip(SKIP_1) | instid1(VALU_DEP_2)
	v_mov_b32_e32 v4, v16
	s_mov_b32 s10, exec_lo
	v_mov_b32_e32 v5, v17
	s_waitcnt vmcnt(0) lgkmcnt(0)
	v_and_b32_e32 v7, 0xff, v6
	s_delay_alu instid0(VALU_DEP_1)
	v_cmpx_ne_u16_e32 0, v7
	s_cbranch_execz .LBB268_2093
; %bb.2086:                             ;   in Loop: Header=BB268_1574 Depth=1
	v_bfrev_b32_e32 v4, 1
	v_mov_b32_e32 v5, 0
	s_mov_b32 s15, exec_lo
	v_cmpx_ne_u16_e32 0x80, v7
	s_cbranch_execz .LBB268_2092
; %bb.2087:                             ;   in Loop: Header=BB268_1574 Depth=1
	v_mov_b32_e32 v4, 0x7f800001
	v_and_b32_e32 v7, 0x7f, v6
	v_mov_b32_e32 v5, 0
	s_mov_b32 s16, exec_lo
	s_delay_alu instid0(VALU_DEP_2)
	v_cmpx_ne_u32_e32 0x7f, v7
	s_cbranch_execz .LBB268_2091
; %bb.2088:                             ;   in Loop: Header=BB268_1574 Depth=1
	v_and_b32_e32 v8, 7, v6
	v_lshrrev_b32_e32 v4, 3, v7
	s_mov_b32 s17, exec_lo
	v_cmpx_gt_u32_e32 8, v7
; %bb.2089:                             ;   in Loop: Header=BB268_1574 Depth=1
	s_delay_alu instid0(VALU_DEP_3) | instskip(NEXT) | instid1(VALU_DEP_1)
	v_clz_i32_u32_e32 v4, v8
	v_min_u32_e32 v4, 32, v4
	s_delay_alu instid0(VALU_DEP_1) | instskip(SKIP_1) | instid1(VALU_DEP_2)
	v_subrev_nc_u32_e32 v5, 28, v4
	v_sub_nc_u32_e32 v4, 29, v4
	v_lshlrev_b64 v[7:8], v5, v[8:9]
	s_delay_alu instid0(VALU_DEP_1)
	v_and_b32_e32 v8, 7, v7
; %bb.2090:                             ;   in Loop: Header=BB268_1574 Depth=1
	s_or_b32 exec_lo, exec_lo, s17
	v_lshlrev_b32_e32 v5, 24, v6
	s_delay_alu instid0(VALU_DEP_2) | instskip(SKIP_1) | instid1(VALU_DEP_3)
	v_lshlrev_b32_e32 v7, 20, v8
	v_lshl_add_u32 v4, v4, 23, 0x3c000000
	v_and_b32_e32 v5, 0x80000000, v5
	s_delay_alu instid0(VALU_DEP_1) | instskip(NEXT) | instid1(VALU_DEP_1)
	v_or3_b32 v8, v7, v5, v4
	v_dual_mov_b32 v4, v8 :: v_dual_mov_b32 v5, v9
.LBB268_2091:                           ;   in Loop: Header=BB268_1574 Depth=1
	s_or_b32 exec_lo, exec_lo, s16
.LBB268_2092:                           ;   in Loop: Header=BB268_1574 Depth=1
	s_delay_alu instid0(SALU_CYCLE_1)
	s_or_b32 exec_lo, exec_lo, s15
.LBB268_2093:                           ;   in Loop: Header=BB268_1574 Depth=1
	s_delay_alu instid0(SALU_CYCLE_1) | instskip(SKIP_2) | instid1(VALU_DEP_1)
	s_or_b32 exec_lo, exec_lo, s10
	v_lshrrev_b16 v7, 8, v6
	s_mov_b32 s15, exec_lo
	v_cmpx_ne_u16_e32 0, v7
	s_cbranch_execz .LBB268_2101
; %bb.2094:                             ;   in Loop: Header=BB268_1574 Depth=1
	v_dual_mov_b32 v17, s9 :: v_dual_mov_b32 v16, s8
	s_mov_b32 s16, exec_lo
	v_cmpx_ne_u16_e32 0x80, v7
	s_cbranch_execz .LBB268_2100
; %bb.2095:                             ;   in Loop: Header=BB268_1574 Depth=1
	s_mov_b32 s10, s8
	v_and_b32_e32 v7, 0xffff, v7
	v_dual_mov_b32 v17, s11 :: v_dual_mov_b32 v16, s10
	s_mov_b32 s10, exec_lo
	s_delay_alu instid0(VALU_DEP_2) | instskip(NEXT) | instid1(VALU_DEP_1)
	v_and_b32_e32 v18, 0x7f, v7
	v_cmpx_ne_u32_e32 0x7f, v18
	s_cbranch_execz .LBB268_2099
; %bb.2096:                             ;   in Loop: Header=BB268_1574 Depth=1
	v_and_b32_e32 v8, 7, v7
	v_lshrrev_b32_e32 v7, 3, v18
	s_mov_b32 s17, exec_lo
	v_cmpx_gt_u32_e32 8, v18
; %bb.2097:                             ;   in Loop: Header=BB268_1574 Depth=1
	s_delay_alu instid0(VALU_DEP_3) | instskip(NEXT) | instid1(VALU_DEP_1)
	v_clz_i32_u32_e32 v7, v8
	v_min_u32_e32 v7, 32, v7
	s_delay_alu instid0(VALU_DEP_1) | instskip(SKIP_1) | instid1(VALU_DEP_2)
	v_subrev_nc_u32_e32 v16, 28, v7
	v_sub_nc_u32_e32 v7, 29, v7
	v_lshlrev_b64 v[16:17], v16, v[8:9]
	s_delay_alu instid0(VALU_DEP_1)
	v_and_b32_e32 v8, 7, v16
; %bb.2098:                             ;   in Loop: Header=BB268_1574 Depth=1
	s_or_b32 exec_lo, exec_lo, s17
	v_lshlrev_b32_e32 v16, 16, v6
	s_delay_alu instid0(VALU_DEP_2) | instskip(SKIP_1) | instid1(VALU_DEP_3)
	v_lshlrev_b32_e32 v8, 20, v8
	v_lshl_add_u32 v7, v7, 23, 0x3c000000
	v_and_b32_e32 v16, 0x80000000, v16
	s_delay_alu instid0(VALU_DEP_1)
	v_or3_b32 v17, v8, v16, v7
	v_mov_b32_e32 v16, v9
.LBB268_2099:                           ;   in Loop: Header=BB268_1574 Depth=1
	s_or_b32 exec_lo, exec_lo, s10
.LBB268_2100:                           ;   in Loop: Header=BB268_1574 Depth=1
	s_delay_alu instid0(SALU_CYCLE_1)
	s_or_b32 exec_lo, exec_lo, s16
.LBB268_2101:                           ;   in Loop: Header=BB268_1574 Depth=1
	s_delay_alu instid0(SALU_CYCLE_1) | instskip(SKIP_4) | instid1(VALU_DEP_2)
	s_or_b32 exec_lo, exec_lo, s15
	v_mov_b32_e32 v20, 0
	v_lshrrev_b32_e32 v7, 16, v6
	v_mov_b32_e32 v21, 0
	s_mov_b32 s10, exec_lo
	v_and_b32_e32 v8, 0xff, v7
	s_delay_alu instid0(VALU_DEP_2) | instskip(NEXT) | instid1(VALU_DEP_2)
	v_dual_mov_b32 v18, v20 :: v_dual_mov_b32 v19, v21
	v_cmpx_ne_u16_e32 0, v8
	s_cbranch_execz .LBB268_2109
; %bb.2102:                             ;   in Loop: Header=BB268_1574 Depth=1
	v_bfrev_b32_e32 v18, 1
	v_mov_b32_e32 v19, 0
	s_mov_b32 s15, exec_lo
	v_cmpx_ne_u16_e32 0x80, v8
	s_cbranch_execz .LBB268_2108
; %bb.2103:                             ;   in Loop: Header=BB268_1574 Depth=1
	v_mov_b32_e32 v18, 0x7f800001
	v_bfe_u32 v22, v6, 16, 7
	v_mov_b32_e32 v19, 0
	s_mov_b32 s16, exec_lo
	s_delay_alu instid0(VALU_DEP_2)
	v_cmpx_ne_u32_e32 0x7f, v22
	s_cbranch_execz .LBB268_2107
; %bb.2104:                             ;   in Loop: Header=BB268_1574 Depth=1
	v_and_b32_e32 v8, 7, v7
	v_lshrrev_b32_e32 v18, 3, v22
	s_mov_b32 s17, exec_lo
	v_cmpx_gt_u32_e32 8, v22
; %bb.2105:                             ;   in Loop: Header=BB268_1574 Depth=1
	s_delay_alu instid0(VALU_DEP_3) | instskip(NEXT) | instid1(VALU_DEP_1)
	v_clz_i32_u32_e32 v18, v8
	v_min_u32_e32 v18, 32, v18
	s_delay_alu instid0(VALU_DEP_1) | instskip(SKIP_1) | instid1(VALU_DEP_2)
	v_subrev_nc_u32_e32 v19, 28, v18
	v_sub_nc_u32_e32 v18, 29, v18
	v_lshlrev_b64 v[22:23], v19, v[8:9]
	s_delay_alu instid0(VALU_DEP_1)
	v_and_b32_e32 v8, 7, v22
; %bb.2106:                             ;   in Loop: Header=BB268_1574 Depth=1
	s_or_b32 exec_lo, exec_lo, s17
	v_lshlrev_b32_e32 v7, 24, v7
	s_delay_alu instid0(VALU_DEP_2) | instskip(SKIP_1) | instid1(VALU_DEP_3)
	v_lshlrev_b32_e32 v8, 20, v8
	v_lshl_add_u32 v18, v18, 23, 0x3c000000
	v_and_b32_e32 v7, 0x80000000, v7
	s_delay_alu instid0(VALU_DEP_1) | instskip(NEXT) | instid1(VALU_DEP_1)
	v_or3_b32 v8, v8, v7, v18
	v_dual_mov_b32 v19, v9 :: v_dual_mov_b32 v18, v8
.LBB268_2107:                           ;   in Loop: Header=BB268_1574 Depth=1
	s_or_b32 exec_lo, exec_lo, s16
.LBB268_2108:                           ;   in Loop: Header=BB268_1574 Depth=1
	s_delay_alu instid0(SALU_CYCLE_1)
	s_or_b32 exec_lo, exec_lo, s15
.LBB268_2109:                           ;   in Loop: Header=BB268_1574 Depth=1
	s_delay_alu instid0(SALU_CYCLE_1) | instskip(NEXT) | instid1(SALU_CYCLE_1)
	s_or_b32 exec_lo, exec_lo, s10
	s_mov_b32 s15, exec_lo
	v_cmpx_lt_u32_e32 0xffffff, v6
	s_cbranch_execz .LBB268_2117
; %bb.2110:                             ;   in Loop: Header=BB268_1574 Depth=1
	v_lshrrev_b32_e32 v7, 24, v6
	v_dual_mov_b32 v21, s9 :: v_dual_mov_b32 v20, s8
	s_mov_b32 s16, exec_lo
	s_delay_alu instid0(VALU_DEP_2)
	v_cmpx_ne_u32_e32 0x80, v7
	s_cbranch_execz .LBB268_2116
; %bb.2111:                             ;   in Loop: Header=BB268_1574 Depth=1
	s_mov_b32 s10, s8
	v_bfe_u32 v22, v6, 24, 7
	v_dual_mov_b32 v21, s11 :: v_dual_mov_b32 v20, s10
	s_mov_b32 s10, exec_lo
	s_delay_alu instid0(VALU_DEP_2)
	v_cmpx_ne_u32_e32 0x7f, v22
	s_cbranch_execz .LBB268_2115
; %bb.2112:                             ;   in Loop: Header=BB268_1574 Depth=1
	v_and_b32_e32 v8, 7, v7
	v_lshrrev_b32_e32 v6, 3, v22
	s_mov_b32 s17, exec_lo
	v_cmpx_gt_u32_e32 8, v22
; %bb.2113:                             ;   in Loop: Header=BB268_1574 Depth=1
	s_delay_alu instid0(VALU_DEP_3) | instskip(NEXT) | instid1(VALU_DEP_1)
	v_clz_i32_u32_e32 v6, v8
	v_min_u32_e32 v6, 32, v6
	s_delay_alu instid0(VALU_DEP_1) | instskip(SKIP_1) | instid1(VALU_DEP_2)
	v_subrev_nc_u32_e32 v20, 28, v6
	v_sub_nc_u32_e32 v6, 29, v6
	v_lshlrev_b64 v[20:21], v20, v[8:9]
	s_delay_alu instid0(VALU_DEP_1)
	v_and_b32_e32 v8, 7, v20
; %bb.2114:                             ;   in Loop: Header=BB268_1574 Depth=1
	s_or_b32 exec_lo, exec_lo, s17
	v_dual_mov_b32 v20, v9 :: v_dual_lshlrev_b32 v7, 24, v7
	s_delay_alu instid0(VALU_DEP_2) | instskip(SKIP_1) | instid1(VALU_DEP_3)
	v_lshlrev_b32_e32 v8, 20, v8
	v_lshl_add_u32 v6, v6, 23, 0x3c000000
	v_and_b32_e32 v7, 0x80000000, v7
	s_delay_alu instid0(VALU_DEP_1)
	v_or3_b32 v21, v8, v7, v6
.LBB268_2115:                           ;   in Loop: Header=BB268_1574 Depth=1
	s_or_b32 exec_lo, exec_lo, s10
.LBB268_2116:                           ;   in Loop: Header=BB268_1574 Depth=1
	s_delay_alu instid0(SALU_CYCLE_1)
	s_or_b32 exec_lo, exec_lo, s16
.LBB268_2117:                           ;   in Loop: Header=BB268_1574 Depth=1
	s_delay_alu instid0(SALU_CYCLE_1) | instskip(SKIP_4) | instid1(VALU_DEP_4)
	s_or_b32 exec_lo, exec_lo, s15
	v_or_b32_e32 v5, v17, v5
	v_or_b32_e32 v4, v16, v4
	;; [unrolled: 1-line block ×4, first 2 shown]
	v_mul_f32_e32 v142, v167, v5
	s_delay_alu instid0(VALU_DEP_4) | instskip(NEXT) | instid1(VALU_DEP_4)
	v_mul_f32_e32 v141, v167, v4
	v_mul_f32_e32 v139, v167, v6
	s_delay_alu instid0(VALU_DEP_4)
	v_mul_f32_e32 v140, v167, v7
	s_and_saveexec_b32 s10, vcc_lo
; %bb.2118:                             ;   in Loop: Header=BB268_1574 Depth=1
	v_cmp_lt_i32_e64 s0, v180, v35
	s_delay_alu instid0(VALU_DEP_1) | instskip(SKIP_1) | instid1(VALU_DEP_1)
	v_cndmask_b32_e64 v141, 0, v141, s0
	v_cmp_lt_i32_e64 s0, v183, v35
	v_cndmask_b32_e64 v142, 0, v142, s0
	v_cmp_lt_i32_e64 s0, v182, v35
	s_delay_alu instid0(VALU_DEP_1) | instskip(SKIP_1) | instid1(VALU_DEP_1)
	v_cndmask_b32_e64 v140, 0, v140, s0
	v_cmp_lt_i32_e64 s0, v181, v35
	v_cndmask_b32_e64 v139, 0, v139, s0
; %bb.2119:                             ;   in Loop: Header=BB268_1574 Depth=1
	s_or_b32 exec_lo, exec_lo, s10
	flat_load_b32 v6, v[14:15] offset:2048
	v_mov_b32_e32 v16, 0
	v_mov_b32_e32 v17, 0
	s_delay_alu instid0(VALU_DEP_2) | instskip(SKIP_1) | instid1(VALU_DEP_2)
	v_mov_b32_e32 v4, v16
	s_mov_b32 s10, exec_lo
	v_mov_b32_e32 v5, v17
	s_waitcnt vmcnt(0) lgkmcnt(0)
	v_and_b32_e32 v7, 0xff, v6
	s_delay_alu instid0(VALU_DEP_1)
	v_cmpx_ne_u16_e32 0, v7
	s_cbranch_execz .LBB268_2127
; %bb.2120:                             ;   in Loop: Header=BB268_1574 Depth=1
	v_bfrev_b32_e32 v4, 1
	v_mov_b32_e32 v5, 0
	s_mov_b32 s15, exec_lo
	v_cmpx_ne_u16_e32 0x80, v7
	s_cbranch_execz .LBB268_2126
; %bb.2121:                             ;   in Loop: Header=BB268_1574 Depth=1
	v_mov_b32_e32 v4, 0x7f800001
	v_and_b32_e32 v7, 0x7f, v6
	v_mov_b32_e32 v5, 0
	s_mov_b32 s16, exec_lo
	s_delay_alu instid0(VALU_DEP_2)
	v_cmpx_ne_u32_e32 0x7f, v7
	s_cbranch_execz .LBB268_2125
; %bb.2122:                             ;   in Loop: Header=BB268_1574 Depth=1
	v_and_b32_e32 v8, 7, v6
	v_lshrrev_b32_e32 v4, 3, v7
	s_mov_b32 s17, exec_lo
	v_cmpx_gt_u32_e32 8, v7
; %bb.2123:                             ;   in Loop: Header=BB268_1574 Depth=1
	s_delay_alu instid0(VALU_DEP_3) | instskip(NEXT) | instid1(VALU_DEP_1)
	v_clz_i32_u32_e32 v4, v8
	v_min_u32_e32 v4, 32, v4
	s_delay_alu instid0(VALU_DEP_1) | instskip(SKIP_1) | instid1(VALU_DEP_2)
	v_subrev_nc_u32_e32 v5, 28, v4
	v_sub_nc_u32_e32 v4, 29, v4
	v_lshlrev_b64 v[7:8], v5, v[8:9]
	s_delay_alu instid0(VALU_DEP_1)
	v_and_b32_e32 v8, 7, v7
; %bb.2124:                             ;   in Loop: Header=BB268_1574 Depth=1
	s_or_b32 exec_lo, exec_lo, s17
	v_lshlrev_b32_e32 v5, 24, v6
	s_delay_alu instid0(VALU_DEP_2) | instskip(SKIP_1) | instid1(VALU_DEP_3)
	v_lshlrev_b32_e32 v7, 20, v8
	v_lshl_add_u32 v4, v4, 23, 0x3c000000
	v_and_b32_e32 v5, 0x80000000, v5
	s_delay_alu instid0(VALU_DEP_1) | instskip(NEXT) | instid1(VALU_DEP_1)
	v_or3_b32 v8, v7, v5, v4
	v_dual_mov_b32 v4, v8 :: v_dual_mov_b32 v5, v9
.LBB268_2125:                           ;   in Loop: Header=BB268_1574 Depth=1
	s_or_b32 exec_lo, exec_lo, s16
.LBB268_2126:                           ;   in Loop: Header=BB268_1574 Depth=1
	s_delay_alu instid0(SALU_CYCLE_1)
	s_or_b32 exec_lo, exec_lo, s15
.LBB268_2127:                           ;   in Loop: Header=BB268_1574 Depth=1
	s_delay_alu instid0(SALU_CYCLE_1) | instskip(SKIP_2) | instid1(VALU_DEP_1)
	s_or_b32 exec_lo, exec_lo, s10
	v_lshrrev_b16 v7, 8, v6
	s_mov_b32 s15, exec_lo
	v_cmpx_ne_u16_e32 0, v7
	s_cbranch_execz .LBB268_2135
; %bb.2128:                             ;   in Loop: Header=BB268_1574 Depth=1
	v_dual_mov_b32 v17, s9 :: v_dual_mov_b32 v16, s8
	s_mov_b32 s16, exec_lo
	v_cmpx_ne_u16_e32 0x80, v7
	s_cbranch_execz .LBB268_2134
; %bb.2129:                             ;   in Loop: Header=BB268_1574 Depth=1
	s_mov_b32 s10, s8
	v_and_b32_e32 v7, 0xffff, v7
	v_dual_mov_b32 v17, s11 :: v_dual_mov_b32 v16, s10
	s_mov_b32 s10, exec_lo
	s_delay_alu instid0(VALU_DEP_2) | instskip(NEXT) | instid1(VALU_DEP_1)
	v_and_b32_e32 v18, 0x7f, v7
	v_cmpx_ne_u32_e32 0x7f, v18
	s_cbranch_execz .LBB268_2133
; %bb.2130:                             ;   in Loop: Header=BB268_1574 Depth=1
	v_and_b32_e32 v8, 7, v7
	v_lshrrev_b32_e32 v7, 3, v18
	s_mov_b32 s17, exec_lo
	v_cmpx_gt_u32_e32 8, v18
; %bb.2131:                             ;   in Loop: Header=BB268_1574 Depth=1
	s_delay_alu instid0(VALU_DEP_3) | instskip(NEXT) | instid1(VALU_DEP_1)
	v_clz_i32_u32_e32 v7, v8
	v_min_u32_e32 v7, 32, v7
	s_delay_alu instid0(VALU_DEP_1) | instskip(SKIP_1) | instid1(VALU_DEP_2)
	v_subrev_nc_u32_e32 v16, 28, v7
	v_sub_nc_u32_e32 v7, 29, v7
	v_lshlrev_b64 v[16:17], v16, v[8:9]
	s_delay_alu instid0(VALU_DEP_1)
	v_and_b32_e32 v8, 7, v16
; %bb.2132:                             ;   in Loop: Header=BB268_1574 Depth=1
	s_or_b32 exec_lo, exec_lo, s17
	v_lshlrev_b32_e32 v16, 16, v6
	s_delay_alu instid0(VALU_DEP_2) | instskip(SKIP_1) | instid1(VALU_DEP_3)
	v_lshlrev_b32_e32 v8, 20, v8
	v_lshl_add_u32 v7, v7, 23, 0x3c000000
	v_and_b32_e32 v16, 0x80000000, v16
	s_delay_alu instid0(VALU_DEP_1)
	v_or3_b32 v17, v8, v16, v7
	v_mov_b32_e32 v16, v9
.LBB268_2133:                           ;   in Loop: Header=BB268_1574 Depth=1
	s_or_b32 exec_lo, exec_lo, s10
.LBB268_2134:                           ;   in Loop: Header=BB268_1574 Depth=1
	s_delay_alu instid0(SALU_CYCLE_1)
	s_or_b32 exec_lo, exec_lo, s16
.LBB268_2135:                           ;   in Loop: Header=BB268_1574 Depth=1
	s_delay_alu instid0(SALU_CYCLE_1) | instskip(SKIP_4) | instid1(VALU_DEP_2)
	s_or_b32 exec_lo, exec_lo, s15
	v_mov_b32_e32 v20, 0
	v_lshrrev_b32_e32 v7, 16, v6
	v_mov_b32_e32 v21, 0
	s_mov_b32 s10, exec_lo
	v_and_b32_e32 v8, 0xff, v7
	s_delay_alu instid0(VALU_DEP_2) | instskip(NEXT) | instid1(VALU_DEP_2)
	v_dual_mov_b32 v18, v20 :: v_dual_mov_b32 v19, v21
	v_cmpx_ne_u16_e32 0, v8
	s_cbranch_execz .LBB268_2143
; %bb.2136:                             ;   in Loop: Header=BB268_1574 Depth=1
	v_bfrev_b32_e32 v18, 1
	v_mov_b32_e32 v19, 0
	s_mov_b32 s15, exec_lo
	v_cmpx_ne_u16_e32 0x80, v8
	s_cbranch_execz .LBB268_2142
; %bb.2137:                             ;   in Loop: Header=BB268_1574 Depth=1
	v_mov_b32_e32 v18, 0x7f800001
	v_bfe_u32 v22, v6, 16, 7
	v_mov_b32_e32 v19, 0
	s_mov_b32 s16, exec_lo
	s_delay_alu instid0(VALU_DEP_2)
	v_cmpx_ne_u32_e32 0x7f, v22
	s_cbranch_execz .LBB268_2141
; %bb.2138:                             ;   in Loop: Header=BB268_1574 Depth=1
	v_and_b32_e32 v8, 7, v7
	v_lshrrev_b32_e32 v18, 3, v22
	s_mov_b32 s17, exec_lo
	v_cmpx_gt_u32_e32 8, v22
; %bb.2139:                             ;   in Loop: Header=BB268_1574 Depth=1
	s_delay_alu instid0(VALU_DEP_3) | instskip(NEXT) | instid1(VALU_DEP_1)
	v_clz_i32_u32_e32 v18, v8
	v_min_u32_e32 v18, 32, v18
	s_delay_alu instid0(VALU_DEP_1) | instskip(SKIP_1) | instid1(VALU_DEP_2)
	v_subrev_nc_u32_e32 v19, 28, v18
	v_sub_nc_u32_e32 v18, 29, v18
	v_lshlrev_b64 v[22:23], v19, v[8:9]
	s_delay_alu instid0(VALU_DEP_1)
	v_and_b32_e32 v8, 7, v22
; %bb.2140:                             ;   in Loop: Header=BB268_1574 Depth=1
	s_or_b32 exec_lo, exec_lo, s17
	v_lshlrev_b32_e32 v7, 24, v7
	s_delay_alu instid0(VALU_DEP_2) | instskip(SKIP_1) | instid1(VALU_DEP_3)
	v_lshlrev_b32_e32 v8, 20, v8
	v_lshl_add_u32 v18, v18, 23, 0x3c000000
	v_and_b32_e32 v7, 0x80000000, v7
	s_delay_alu instid0(VALU_DEP_1) | instskip(NEXT) | instid1(VALU_DEP_1)
	v_or3_b32 v8, v8, v7, v18
	v_dual_mov_b32 v19, v9 :: v_dual_mov_b32 v18, v8
.LBB268_2141:                           ;   in Loop: Header=BB268_1574 Depth=1
	s_or_b32 exec_lo, exec_lo, s16
.LBB268_2142:                           ;   in Loop: Header=BB268_1574 Depth=1
	s_delay_alu instid0(SALU_CYCLE_1)
	s_or_b32 exec_lo, exec_lo, s15
.LBB268_2143:                           ;   in Loop: Header=BB268_1574 Depth=1
	s_delay_alu instid0(SALU_CYCLE_1) | instskip(NEXT) | instid1(SALU_CYCLE_1)
	s_or_b32 exec_lo, exec_lo, s10
	s_mov_b32 s15, exec_lo
	v_cmpx_lt_u32_e32 0xffffff, v6
	s_cbranch_execz .LBB268_2151
; %bb.2144:                             ;   in Loop: Header=BB268_1574 Depth=1
	v_lshrrev_b32_e32 v7, 24, v6
	v_dual_mov_b32 v21, s9 :: v_dual_mov_b32 v20, s8
	s_mov_b32 s16, exec_lo
	s_delay_alu instid0(VALU_DEP_2)
	v_cmpx_ne_u32_e32 0x80, v7
	s_cbranch_execz .LBB268_2150
; %bb.2145:                             ;   in Loop: Header=BB268_1574 Depth=1
	s_mov_b32 s10, s8
	v_bfe_u32 v22, v6, 24, 7
	v_dual_mov_b32 v21, s11 :: v_dual_mov_b32 v20, s10
	s_mov_b32 s10, exec_lo
	s_delay_alu instid0(VALU_DEP_2)
	v_cmpx_ne_u32_e32 0x7f, v22
	s_cbranch_execz .LBB268_2149
; %bb.2146:                             ;   in Loop: Header=BB268_1574 Depth=1
	v_and_b32_e32 v8, 7, v7
	v_lshrrev_b32_e32 v6, 3, v22
	s_mov_b32 s17, exec_lo
	v_cmpx_gt_u32_e32 8, v22
; %bb.2147:                             ;   in Loop: Header=BB268_1574 Depth=1
	s_delay_alu instid0(VALU_DEP_3) | instskip(NEXT) | instid1(VALU_DEP_1)
	v_clz_i32_u32_e32 v6, v8
	v_min_u32_e32 v6, 32, v6
	s_delay_alu instid0(VALU_DEP_1) | instskip(SKIP_1) | instid1(VALU_DEP_2)
	v_subrev_nc_u32_e32 v20, 28, v6
	v_sub_nc_u32_e32 v6, 29, v6
	v_lshlrev_b64 v[20:21], v20, v[8:9]
	s_delay_alu instid0(VALU_DEP_1)
	v_and_b32_e32 v8, 7, v20
; %bb.2148:                             ;   in Loop: Header=BB268_1574 Depth=1
	s_or_b32 exec_lo, exec_lo, s17
	v_dual_mov_b32 v20, v9 :: v_dual_lshlrev_b32 v7, 24, v7
	s_delay_alu instid0(VALU_DEP_2) | instskip(SKIP_1) | instid1(VALU_DEP_3)
	v_lshlrev_b32_e32 v8, 20, v8
	v_lshl_add_u32 v6, v6, 23, 0x3c000000
	v_and_b32_e32 v7, 0x80000000, v7
	s_delay_alu instid0(VALU_DEP_1)
	v_or3_b32 v21, v8, v7, v6
.LBB268_2149:                           ;   in Loop: Header=BB268_1574 Depth=1
	s_or_b32 exec_lo, exec_lo, s10
.LBB268_2150:                           ;   in Loop: Header=BB268_1574 Depth=1
	s_delay_alu instid0(SALU_CYCLE_1)
	s_or_b32 exec_lo, exec_lo, s16
.LBB268_2151:                           ;   in Loop: Header=BB268_1574 Depth=1
	s_delay_alu instid0(SALU_CYCLE_1) | instskip(SKIP_4) | instid1(VALU_DEP_4)
	s_or_b32 exec_lo, exec_lo, s15
	v_or_b32_e32 v5, v17, v5
	v_or_b32_e32 v4, v16, v4
	;; [unrolled: 1-line block ×4, first 2 shown]
	v_mul_f32_e32 v154, v167, v5
	s_delay_alu instid0(VALU_DEP_4) | instskip(NEXT) | instid1(VALU_DEP_4)
	v_mul_f32_e32 v153, v167, v4
	v_mul_f32_e32 v143, v167, v6
	s_delay_alu instid0(VALU_DEP_4)
	v_mul_f32_e32 v152, v167, v7
	s_and_saveexec_b32 s10, vcc_lo
; %bb.2152:                             ;   in Loop: Header=BB268_1574 Depth=1
	v_cmp_lt_i32_e64 s0, v180, v35
	s_delay_alu instid0(VALU_DEP_1) | instskip(SKIP_1) | instid1(VALU_DEP_1)
	v_cndmask_b32_e64 v153, 0, v153, s0
	v_cmp_lt_i32_e64 s0, v183, v35
	v_cndmask_b32_e64 v154, 0, v154, s0
	v_cmp_lt_i32_e64 s0, v182, v35
	s_delay_alu instid0(VALU_DEP_1) | instskip(SKIP_1) | instid1(VALU_DEP_1)
	v_cndmask_b32_e64 v152, 0, v152, s0
	v_cmp_lt_i32_e64 s0, v181, v35
	v_cndmask_b32_e64 v143, 0, v143, s0
; %bb.2153:                             ;   in Loop: Header=BB268_1574 Depth=1
	s_or_b32 exec_lo, exec_lo, s10
	flat_load_b32 v6, v[14:15] offset:2176
	v_mov_b32_e32 v16, 0
	v_mov_b32_e32 v17, 0
	s_delay_alu instid0(VALU_DEP_2) | instskip(SKIP_1) | instid1(VALU_DEP_2)
	v_mov_b32_e32 v4, v16
	s_mov_b32 s10, exec_lo
	v_mov_b32_e32 v5, v17
	s_waitcnt vmcnt(0) lgkmcnt(0)
	v_and_b32_e32 v7, 0xff, v6
	s_delay_alu instid0(VALU_DEP_1)
	v_cmpx_ne_u16_e32 0, v7
	s_cbranch_execz .LBB268_2161
; %bb.2154:                             ;   in Loop: Header=BB268_1574 Depth=1
	v_bfrev_b32_e32 v4, 1
	v_mov_b32_e32 v5, 0
	s_mov_b32 s15, exec_lo
	v_cmpx_ne_u16_e32 0x80, v7
	s_cbranch_execz .LBB268_2160
; %bb.2155:                             ;   in Loop: Header=BB268_1574 Depth=1
	v_mov_b32_e32 v4, 0x7f800001
	v_and_b32_e32 v7, 0x7f, v6
	v_mov_b32_e32 v5, 0
	s_mov_b32 s16, exec_lo
	s_delay_alu instid0(VALU_DEP_2)
	v_cmpx_ne_u32_e32 0x7f, v7
	s_cbranch_execz .LBB268_2159
; %bb.2156:                             ;   in Loop: Header=BB268_1574 Depth=1
	v_and_b32_e32 v8, 7, v6
	v_lshrrev_b32_e32 v4, 3, v7
	s_mov_b32 s17, exec_lo
	v_cmpx_gt_u32_e32 8, v7
; %bb.2157:                             ;   in Loop: Header=BB268_1574 Depth=1
	s_delay_alu instid0(VALU_DEP_3) | instskip(NEXT) | instid1(VALU_DEP_1)
	v_clz_i32_u32_e32 v4, v8
	v_min_u32_e32 v4, 32, v4
	s_delay_alu instid0(VALU_DEP_1) | instskip(SKIP_1) | instid1(VALU_DEP_2)
	v_subrev_nc_u32_e32 v5, 28, v4
	v_sub_nc_u32_e32 v4, 29, v4
	v_lshlrev_b64 v[7:8], v5, v[8:9]
	s_delay_alu instid0(VALU_DEP_1)
	v_and_b32_e32 v8, 7, v7
; %bb.2158:                             ;   in Loop: Header=BB268_1574 Depth=1
	s_or_b32 exec_lo, exec_lo, s17
	v_lshlrev_b32_e32 v5, 24, v6
	s_delay_alu instid0(VALU_DEP_2) | instskip(SKIP_1) | instid1(VALU_DEP_3)
	v_lshlrev_b32_e32 v7, 20, v8
	v_lshl_add_u32 v4, v4, 23, 0x3c000000
	v_and_b32_e32 v5, 0x80000000, v5
	s_delay_alu instid0(VALU_DEP_1) | instskip(NEXT) | instid1(VALU_DEP_1)
	v_or3_b32 v8, v7, v5, v4
	v_dual_mov_b32 v4, v8 :: v_dual_mov_b32 v5, v9
.LBB268_2159:                           ;   in Loop: Header=BB268_1574 Depth=1
	s_or_b32 exec_lo, exec_lo, s16
.LBB268_2160:                           ;   in Loop: Header=BB268_1574 Depth=1
	s_delay_alu instid0(SALU_CYCLE_1)
	s_or_b32 exec_lo, exec_lo, s15
.LBB268_2161:                           ;   in Loop: Header=BB268_1574 Depth=1
	s_delay_alu instid0(SALU_CYCLE_1) | instskip(SKIP_2) | instid1(VALU_DEP_1)
	s_or_b32 exec_lo, exec_lo, s10
	v_lshrrev_b16 v7, 8, v6
	s_mov_b32 s15, exec_lo
	v_cmpx_ne_u16_e32 0, v7
	s_cbranch_execz .LBB268_2169
; %bb.2162:                             ;   in Loop: Header=BB268_1574 Depth=1
	v_dual_mov_b32 v17, s9 :: v_dual_mov_b32 v16, s8
	s_mov_b32 s16, exec_lo
	v_cmpx_ne_u16_e32 0x80, v7
	s_cbranch_execz .LBB268_2168
; %bb.2163:                             ;   in Loop: Header=BB268_1574 Depth=1
	s_mov_b32 s10, s8
	v_and_b32_e32 v7, 0xffff, v7
	v_dual_mov_b32 v17, s11 :: v_dual_mov_b32 v16, s10
	s_mov_b32 s10, exec_lo
	s_delay_alu instid0(VALU_DEP_2) | instskip(NEXT) | instid1(VALU_DEP_1)
	v_and_b32_e32 v18, 0x7f, v7
	v_cmpx_ne_u32_e32 0x7f, v18
	s_cbranch_execz .LBB268_2167
; %bb.2164:                             ;   in Loop: Header=BB268_1574 Depth=1
	v_and_b32_e32 v8, 7, v7
	v_lshrrev_b32_e32 v7, 3, v18
	s_mov_b32 s17, exec_lo
	v_cmpx_gt_u32_e32 8, v18
; %bb.2165:                             ;   in Loop: Header=BB268_1574 Depth=1
	s_delay_alu instid0(VALU_DEP_3) | instskip(NEXT) | instid1(VALU_DEP_1)
	v_clz_i32_u32_e32 v7, v8
	v_min_u32_e32 v7, 32, v7
	s_delay_alu instid0(VALU_DEP_1) | instskip(SKIP_1) | instid1(VALU_DEP_2)
	v_subrev_nc_u32_e32 v16, 28, v7
	v_sub_nc_u32_e32 v7, 29, v7
	v_lshlrev_b64 v[16:17], v16, v[8:9]
	s_delay_alu instid0(VALU_DEP_1)
	v_and_b32_e32 v8, 7, v16
; %bb.2166:                             ;   in Loop: Header=BB268_1574 Depth=1
	s_or_b32 exec_lo, exec_lo, s17
	v_lshlrev_b32_e32 v16, 16, v6
	s_delay_alu instid0(VALU_DEP_2) | instskip(SKIP_1) | instid1(VALU_DEP_3)
	v_lshlrev_b32_e32 v8, 20, v8
	v_lshl_add_u32 v7, v7, 23, 0x3c000000
	v_and_b32_e32 v16, 0x80000000, v16
	s_delay_alu instid0(VALU_DEP_1)
	v_or3_b32 v17, v8, v16, v7
	v_mov_b32_e32 v16, v9
.LBB268_2167:                           ;   in Loop: Header=BB268_1574 Depth=1
	s_or_b32 exec_lo, exec_lo, s10
.LBB268_2168:                           ;   in Loop: Header=BB268_1574 Depth=1
	s_delay_alu instid0(SALU_CYCLE_1)
	s_or_b32 exec_lo, exec_lo, s16
.LBB268_2169:                           ;   in Loop: Header=BB268_1574 Depth=1
	s_delay_alu instid0(SALU_CYCLE_1) | instskip(SKIP_4) | instid1(VALU_DEP_2)
	s_or_b32 exec_lo, exec_lo, s15
	v_mov_b32_e32 v20, 0
	v_lshrrev_b32_e32 v7, 16, v6
	v_mov_b32_e32 v21, 0
	s_mov_b32 s10, exec_lo
	v_and_b32_e32 v8, 0xff, v7
	s_delay_alu instid0(VALU_DEP_2) | instskip(NEXT) | instid1(VALU_DEP_2)
	v_dual_mov_b32 v18, v20 :: v_dual_mov_b32 v19, v21
	v_cmpx_ne_u16_e32 0, v8
	s_cbranch_execz .LBB268_2177
; %bb.2170:                             ;   in Loop: Header=BB268_1574 Depth=1
	v_bfrev_b32_e32 v18, 1
	v_mov_b32_e32 v19, 0
	s_mov_b32 s15, exec_lo
	v_cmpx_ne_u16_e32 0x80, v8
	s_cbranch_execz .LBB268_2176
; %bb.2171:                             ;   in Loop: Header=BB268_1574 Depth=1
	v_mov_b32_e32 v18, 0x7f800001
	v_bfe_u32 v22, v6, 16, 7
	v_mov_b32_e32 v19, 0
	s_mov_b32 s16, exec_lo
	s_delay_alu instid0(VALU_DEP_2)
	v_cmpx_ne_u32_e32 0x7f, v22
	s_cbranch_execz .LBB268_2175
; %bb.2172:                             ;   in Loop: Header=BB268_1574 Depth=1
	v_and_b32_e32 v8, 7, v7
	v_lshrrev_b32_e32 v18, 3, v22
	s_mov_b32 s17, exec_lo
	v_cmpx_gt_u32_e32 8, v22
; %bb.2173:                             ;   in Loop: Header=BB268_1574 Depth=1
	s_delay_alu instid0(VALU_DEP_3) | instskip(NEXT) | instid1(VALU_DEP_1)
	v_clz_i32_u32_e32 v18, v8
	v_min_u32_e32 v18, 32, v18
	s_delay_alu instid0(VALU_DEP_1) | instskip(SKIP_1) | instid1(VALU_DEP_2)
	v_subrev_nc_u32_e32 v19, 28, v18
	v_sub_nc_u32_e32 v18, 29, v18
	v_lshlrev_b64 v[22:23], v19, v[8:9]
	s_delay_alu instid0(VALU_DEP_1)
	v_and_b32_e32 v8, 7, v22
; %bb.2174:                             ;   in Loop: Header=BB268_1574 Depth=1
	s_or_b32 exec_lo, exec_lo, s17
	v_lshlrev_b32_e32 v7, 24, v7
	s_delay_alu instid0(VALU_DEP_2) | instskip(SKIP_1) | instid1(VALU_DEP_3)
	v_lshlrev_b32_e32 v8, 20, v8
	v_lshl_add_u32 v18, v18, 23, 0x3c000000
	v_and_b32_e32 v7, 0x80000000, v7
	s_delay_alu instid0(VALU_DEP_1) | instskip(NEXT) | instid1(VALU_DEP_1)
	v_or3_b32 v8, v8, v7, v18
	v_dual_mov_b32 v19, v9 :: v_dual_mov_b32 v18, v8
.LBB268_2175:                           ;   in Loop: Header=BB268_1574 Depth=1
	s_or_b32 exec_lo, exec_lo, s16
.LBB268_2176:                           ;   in Loop: Header=BB268_1574 Depth=1
	s_delay_alu instid0(SALU_CYCLE_1)
	s_or_b32 exec_lo, exec_lo, s15
.LBB268_2177:                           ;   in Loop: Header=BB268_1574 Depth=1
	s_delay_alu instid0(SALU_CYCLE_1) | instskip(NEXT) | instid1(SALU_CYCLE_1)
	s_or_b32 exec_lo, exec_lo, s10
	s_mov_b32 s15, exec_lo
	v_cmpx_lt_u32_e32 0xffffff, v6
	s_cbranch_execz .LBB268_2185
; %bb.2178:                             ;   in Loop: Header=BB268_1574 Depth=1
	v_lshrrev_b32_e32 v7, 24, v6
	v_dual_mov_b32 v21, s9 :: v_dual_mov_b32 v20, s8
	s_mov_b32 s16, exec_lo
	s_delay_alu instid0(VALU_DEP_2)
	v_cmpx_ne_u32_e32 0x80, v7
	s_cbranch_execz .LBB268_2184
; %bb.2179:                             ;   in Loop: Header=BB268_1574 Depth=1
	s_mov_b32 s10, s8
	v_bfe_u32 v22, v6, 24, 7
	v_dual_mov_b32 v21, s11 :: v_dual_mov_b32 v20, s10
	s_mov_b32 s10, exec_lo
	s_delay_alu instid0(VALU_DEP_2)
	v_cmpx_ne_u32_e32 0x7f, v22
	s_cbranch_execz .LBB268_2183
; %bb.2180:                             ;   in Loop: Header=BB268_1574 Depth=1
	v_and_b32_e32 v8, 7, v7
	v_lshrrev_b32_e32 v6, 3, v22
	s_mov_b32 s17, exec_lo
	v_cmpx_gt_u32_e32 8, v22
; %bb.2181:                             ;   in Loop: Header=BB268_1574 Depth=1
	s_delay_alu instid0(VALU_DEP_3) | instskip(NEXT) | instid1(VALU_DEP_1)
	v_clz_i32_u32_e32 v6, v8
	v_min_u32_e32 v6, 32, v6
	s_delay_alu instid0(VALU_DEP_1) | instskip(SKIP_1) | instid1(VALU_DEP_2)
	v_subrev_nc_u32_e32 v20, 28, v6
	v_sub_nc_u32_e32 v6, 29, v6
	v_lshlrev_b64 v[20:21], v20, v[8:9]
	s_delay_alu instid0(VALU_DEP_1)
	v_and_b32_e32 v8, 7, v20
; %bb.2182:                             ;   in Loop: Header=BB268_1574 Depth=1
	s_or_b32 exec_lo, exec_lo, s17
	v_dual_mov_b32 v20, v9 :: v_dual_lshlrev_b32 v7, 24, v7
	s_delay_alu instid0(VALU_DEP_2) | instskip(SKIP_1) | instid1(VALU_DEP_3)
	v_lshlrev_b32_e32 v8, 20, v8
	v_lshl_add_u32 v6, v6, 23, 0x3c000000
	v_and_b32_e32 v7, 0x80000000, v7
	s_delay_alu instid0(VALU_DEP_1)
	v_or3_b32 v21, v8, v7, v6
.LBB268_2183:                           ;   in Loop: Header=BB268_1574 Depth=1
	s_or_b32 exec_lo, exec_lo, s10
.LBB268_2184:                           ;   in Loop: Header=BB268_1574 Depth=1
	s_delay_alu instid0(SALU_CYCLE_1)
	s_or_b32 exec_lo, exec_lo, s16
.LBB268_2185:                           ;   in Loop: Header=BB268_1574 Depth=1
	s_delay_alu instid0(SALU_CYCLE_1) | instskip(SKIP_4) | instid1(VALU_DEP_4)
	s_or_b32 exec_lo, exec_lo, s15
	v_or_b32_e32 v5, v17, v5
	v_or_b32_e32 v4, v16, v4
	;; [unrolled: 1-line block ×4, first 2 shown]
	v_mul_f32_e32 v158, v167, v5
	s_delay_alu instid0(VALU_DEP_4) | instskip(NEXT) | instid1(VALU_DEP_4)
	v_mul_f32_e32 v157, v167, v4
	v_mul_f32_e32 v155, v167, v6
	s_delay_alu instid0(VALU_DEP_4)
	v_mul_f32_e32 v156, v167, v7
	s_and_saveexec_b32 s10, vcc_lo
; %bb.2186:                             ;   in Loop: Header=BB268_1574 Depth=1
	v_cmp_lt_i32_e64 s0, v180, v35
	s_delay_alu instid0(VALU_DEP_1) | instskip(SKIP_1) | instid1(VALU_DEP_1)
	v_cndmask_b32_e64 v157, 0, v157, s0
	v_cmp_lt_i32_e64 s0, v183, v35
	v_cndmask_b32_e64 v158, 0, v158, s0
	v_cmp_lt_i32_e64 s0, v182, v35
	s_delay_alu instid0(VALU_DEP_1) | instskip(SKIP_1) | instid1(VALU_DEP_1)
	v_cndmask_b32_e64 v156, 0, v156, s0
	v_cmp_lt_i32_e64 s0, v181, v35
	v_cndmask_b32_e64 v155, 0, v155, s0
; %bb.2187:                             ;   in Loop: Header=BB268_1574 Depth=1
	s_or_b32 exec_lo, exec_lo, s10
	flat_load_b32 v6, v[14:15] offset:2304
	v_mov_b32_e32 v16, 0
	v_mov_b32_e32 v17, 0
	s_delay_alu instid0(VALU_DEP_2) | instskip(SKIP_1) | instid1(VALU_DEP_2)
	v_mov_b32_e32 v4, v16
	s_mov_b32 s10, exec_lo
	v_mov_b32_e32 v5, v17
	s_waitcnt vmcnt(0) lgkmcnt(0)
	v_and_b32_e32 v7, 0xff, v6
	s_delay_alu instid0(VALU_DEP_1)
	v_cmpx_ne_u16_e32 0, v7
	s_cbranch_execz .LBB268_2195
; %bb.2188:                             ;   in Loop: Header=BB268_1574 Depth=1
	v_bfrev_b32_e32 v4, 1
	v_mov_b32_e32 v5, 0
	s_mov_b32 s15, exec_lo
	v_cmpx_ne_u16_e32 0x80, v7
	s_cbranch_execz .LBB268_2194
; %bb.2189:                             ;   in Loop: Header=BB268_1574 Depth=1
	v_mov_b32_e32 v4, 0x7f800001
	v_and_b32_e32 v7, 0x7f, v6
	v_mov_b32_e32 v5, 0
	s_mov_b32 s16, exec_lo
	s_delay_alu instid0(VALU_DEP_2)
	v_cmpx_ne_u32_e32 0x7f, v7
	s_cbranch_execz .LBB268_2193
; %bb.2190:                             ;   in Loop: Header=BB268_1574 Depth=1
	v_and_b32_e32 v8, 7, v6
	v_lshrrev_b32_e32 v4, 3, v7
	s_mov_b32 s17, exec_lo
	v_cmpx_gt_u32_e32 8, v7
; %bb.2191:                             ;   in Loop: Header=BB268_1574 Depth=1
	s_delay_alu instid0(VALU_DEP_3) | instskip(NEXT) | instid1(VALU_DEP_1)
	v_clz_i32_u32_e32 v4, v8
	v_min_u32_e32 v4, 32, v4
	s_delay_alu instid0(VALU_DEP_1) | instskip(SKIP_1) | instid1(VALU_DEP_2)
	v_subrev_nc_u32_e32 v5, 28, v4
	v_sub_nc_u32_e32 v4, 29, v4
	v_lshlrev_b64 v[7:8], v5, v[8:9]
	s_delay_alu instid0(VALU_DEP_1)
	v_and_b32_e32 v8, 7, v7
; %bb.2192:                             ;   in Loop: Header=BB268_1574 Depth=1
	s_or_b32 exec_lo, exec_lo, s17
	v_lshlrev_b32_e32 v5, 24, v6
	s_delay_alu instid0(VALU_DEP_2) | instskip(SKIP_1) | instid1(VALU_DEP_3)
	v_lshlrev_b32_e32 v7, 20, v8
	v_lshl_add_u32 v4, v4, 23, 0x3c000000
	v_and_b32_e32 v5, 0x80000000, v5
	s_delay_alu instid0(VALU_DEP_1) | instskip(NEXT) | instid1(VALU_DEP_1)
	v_or3_b32 v8, v7, v5, v4
	v_dual_mov_b32 v4, v8 :: v_dual_mov_b32 v5, v9
.LBB268_2193:                           ;   in Loop: Header=BB268_1574 Depth=1
	s_or_b32 exec_lo, exec_lo, s16
.LBB268_2194:                           ;   in Loop: Header=BB268_1574 Depth=1
	s_delay_alu instid0(SALU_CYCLE_1)
	s_or_b32 exec_lo, exec_lo, s15
.LBB268_2195:                           ;   in Loop: Header=BB268_1574 Depth=1
	s_delay_alu instid0(SALU_CYCLE_1) | instskip(SKIP_2) | instid1(VALU_DEP_1)
	s_or_b32 exec_lo, exec_lo, s10
	v_lshrrev_b16 v7, 8, v6
	s_mov_b32 s15, exec_lo
	v_cmpx_ne_u16_e32 0, v7
	s_cbranch_execz .LBB268_2203
; %bb.2196:                             ;   in Loop: Header=BB268_1574 Depth=1
	v_dual_mov_b32 v17, s9 :: v_dual_mov_b32 v16, s8
	s_mov_b32 s16, exec_lo
	v_cmpx_ne_u16_e32 0x80, v7
	s_cbranch_execz .LBB268_2202
; %bb.2197:                             ;   in Loop: Header=BB268_1574 Depth=1
	s_mov_b32 s10, s8
	v_and_b32_e32 v7, 0xffff, v7
	v_dual_mov_b32 v17, s11 :: v_dual_mov_b32 v16, s10
	s_mov_b32 s10, exec_lo
	s_delay_alu instid0(VALU_DEP_2) | instskip(NEXT) | instid1(VALU_DEP_1)
	v_and_b32_e32 v18, 0x7f, v7
	v_cmpx_ne_u32_e32 0x7f, v18
	s_cbranch_execz .LBB268_2201
; %bb.2198:                             ;   in Loop: Header=BB268_1574 Depth=1
	v_and_b32_e32 v8, 7, v7
	v_lshrrev_b32_e32 v7, 3, v18
	s_mov_b32 s17, exec_lo
	v_cmpx_gt_u32_e32 8, v18
; %bb.2199:                             ;   in Loop: Header=BB268_1574 Depth=1
	s_delay_alu instid0(VALU_DEP_3) | instskip(NEXT) | instid1(VALU_DEP_1)
	v_clz_i32_u32_e32 v7, v8
	v_min_u32_e32 v7, 32, v7
	s_delay_alu instid0(VALU_DEP_1) | instskip(SKIP_1) | instid1(VALU_DEP_2)
	v_subrev_nc_u32_e32 v16, 28, v7
	v_sub_nc_u32_e32 v7, 29, v7
	v_lshlrev_b64 v[16:17], v16, v[8:9]
	s_delay_alu instid0(VALU_DEP_1)
	v_and_b32_e32 v8, 7, v16
; %bb.2200:                             ;   in Loop: Header=BB268_1574 Depth=1
	s_or_b32 exec_lo, exec_lo, s17
	v_lshlrev_b32_e32 v16, 16, v6
	s_delay_alu instid0(VALU_DEP_2) | instskip(SKIP_1) | instid1(VALU_DEP_3)
	v_lshlrev_b32_e32 v8, 20, v8
	v_lshl_add_u32 v7, v7, 23, 0x3c000000
	v_and_b32_e32 v16, 0x80000000, v16
	s_delay_alu instid0(VALU_DEP_1)
	v_or3_b32 v17, v8, v16, v7
	v_mov_b32_e32 v16, v9
.LBB268_2201:                           ;   in Loop: Header=BB268_1574 Depth=1
	s_or_b32 exec_lo, exec_lo, s10
.LBB268_2202:                           ;   in Loop: Header=BB268_1574 Depth=1
	s_delay_alu instid0(SALU_CYCLE_1)
	s_or_b32 exec_lo, exec_lo, s16
.LBB268_2203:                           ;   in Loop: Header=BB268_1574 Depth=1
	s_delay_alu instid0(SALU_CYCLE_1) | instskip(SKIP_4) | instid1(VALU_DEP_1)
	s_or_b32 exec_lo, exec_lo, s15
	v_mov_b32_e32 v18, 0
	v_lshrrev_b32_e32 v7, 16, v6
	v_mov_b32_e32 v19, 0
	s_mov_b32 s10, exec_lo
	v_dual_mov_b32 v21, v19 :: v_dual_and_b32 v8, 0xff, v7
	v_mov_b32_e32 v20, v18
	s_delay_alu instid0(VALU_DEP_2)
	v_cmpx_ne_u16_e32 0, v8
	s_cbranch_execz .LBB268_2211
; %bb.2204:                             ;   in Loop: Header=BB268_1574 Depth=1
	v_bfrev_b32_e32 v20, 1
	v_mov_b32_e32 v21, 0
	s_mov_b32 s15, exec_lo
	v_cmpx_ne_u16_e32 0x80, v8
	s_cbranch_execz .LBB268_2210
; %bb.2205:                             ;   in Loop: Header=BB268_1574 Depth=1
	v_mov_b32_e32 v20, 0x7f800001
	v_bfe_u32 v22, v6, 16, 7
	v_mov_b32_e32 v21, 0
	s_mov_b32 s16, exec_lo
	s_delay_alu instid0(VALU_DEP_2)
	v_cmpx_ne_u32_e32 0x7f, v22
	s_cbranch_execz .LBB268_2209
; %bb.2206:                             ;   in Loop: Header=BB268_1574 Depth=1
	v_and_b32_e32 v8, 7, v7
	v_lshrrev_b32_e32 v20, 3, v22
	s_mov_b32 s17, exec_lo
	v_cmpx_gt_u32_e32 8, v22
; %bb.2207:                             ;   in Loop: Header=BB268_1574 Depth=1
	s_delay_alu instid0(VALU_DEP_3) | instskip(NEXT) | instid1(VALU_DEP_1)
	v_clz_i32_u32_e32 v20, v8
	v_min_u32_e32 v20, 32, v20
	s_delay_alu instid0(VALU_DEP_1) | instskip(SKIP_1) | instid1(VALU_DEP_2)
	v_subrev_nc_u32_e32 v21, 28, v20
	v_sub_nc_u32_e32 v20, 29, v20
	v_lshlrev_b64 v[21:22], v21, v[8:9]
	s_delay_alu instid0(VALU_DEP_1)
	v_and_b32_e32 v8, 7, v21
; %bb.2208:                             ;   in Loop: Header=BB268_1574 Depth=1
	s_or_b32 exec_lo, exec_lo, s17
	v_lshlrev_b32_e32 v7, 24, v7
	s_delay_alu instid0(VALU_DEP_2) | instskip(SKIP_1) | instid1(VALU_DEP_3)
	v_lshlrev_b32_e32 v8, 20, v8
	v_lshl_add_u32 v20, v20, 23, 0x3c000000
	v_and_b32_e32 v7, 0x80000000, v7
	s_delay_alu instid0(VALU_DEP_1) | instskip(NEXT) | instid1(VALU_DEP_1)
	v_or3_b32 v8, v8, v7, v20
	v_dual_mov_b32 v21, v9 :: v_dual_mov_b32 v20, v8
.LBB268_2209:                           ;   in Loop: Header=BB268_1574 Depth=1
	s_or_b32 exec_lo, exec_lo, s16
.LBB268_2210:                           ;   in Loop: Header=BB268_1574 Depth=1
	s_delay_alu instid0(SALU_CYCLE_1)
	s_or_b32 exec_lo, exec_lo, s15
.LBB268_2211:                           ;   in Loop: Header=BB268_1574 Depth=1
	s_delay_alu instid0(SALU_CYCLE_1) | instskip(NEXT) | instid1(SALU_CYCLE_1)
	s_or_b32 exec_lo, exec_lo, s10
	s_mov_b32 s15, exec_lo
	v_cmpx_lt_u32_e32 0xffffff, v6
	s_cbranch_execz .LBB268_2219
; %bb.2212:                             ;   in Loop: Header=BB268_1574 Depth=1
	v_lshrrev_b32_e32 v7, 24, v6
	v_dual_mov_b32 v19, s9 :: v_dual_mov_b32 v18, s8
	s_mov_b32 s16, exec_lo
	s_delay_alu instid0(VALU_DEP_2)
	v_cmpx_ne_u32_e32 0x80, v7
	s_cbranch_execz .LBB268_2218
; %bb.2213:                             ;   in Loop: Header=BB268_1574 Depth=1
	s_mov_b32 s10, s8
	v_bfe_u32 v22, v6, 24, 7
	v_dual_mov_b32 v19, s11 :: v_dual_mov_b32 v18, s10
	s_mov_b32 s10, exec_lo
	s_delay_alu instid0(VALU_DEP_2)
	v_cmpx_ne_u32_e32 0x7f, v22
	s_cbranch_execz .LBB268_2217
; %bb.2214:                             ;   in Loop: Header=BB268_1574 Depth=1
	v_and_b32_e32 v8, 7, v7
	v_lshrrev_b32_e32 v6, 3, v22
	s_mov_b32 s17, exec_lo
	v_cmpx_gt_u32_e32 8, v22
; %bb.2215:                             ;   in Loop: Header=BB268_1574 Depth=1
	s_delay_alu instid0(VALU_DEP_3) | instskip(NEXT) | instid1(VALU_DEP_1)
	v_clz_i32_u32_e32 v6, v8
	v_min_u32_e32 v6, 32, v6
	s_delay_alu instid0(VALU_DEP_1) | instskip(SKIP_1) | instid1(VALU_DEP_2)
	v_subrev_nc_u32_e32 v18, 28, v6
	v_sub_nc_u32_e32 v6, 29, v6
	v_lshlrev_b64 v[18:19], v18, v[8:9]
	s_delay_alu instid0(VALU_DEP_1)
	v_and_b32_e32 v8, 7, v18
; %bb.2216:                             ;   in Loop: Header=BB268_1574 Depth=1
	s_or_b32 exec_lo, exec_lo, s17
	v_dual_mov_b32 v18, v9 :: v_dual_lshlrev_b32 v7, 24, v7
	s_delay_alu instid0(VALU_DEP_2) | instskip(SKIP_1) | instid1(VALU_DEP_3)
	v_lshlrev_b32_e32 v8, 20, v8
	v_lshl_add_u32 v6, v6, 23, 0x3c000000
	v_and_b32_e32 v7, 0x80000000, v7
	s_delay_alu instid0(VALU_DEP_1)
	v_or3_b32 v19, v8, v7, v6
.LBB268_2217:                           ;   in Loop: Header=BB268_1574 Depth=1
	s_or_b32 exec_lo, exec_lo, s10
.LBB268_2218:                           ;   in Loop: Header=BB268_1574 Depth=1
	s_delay_alu instid0(SALU_CYCLE_1)
	s_or_b32 exec_lo, exec_lo, s16
.LBB268_2219:                           ;   in Loop: Header=BB268_1574 Depth=1
	s_delay_alu instid0(SALU_CYCLE_1) | instskip(SKIP_4) | instid1(VALU_DEP_4)
	s_or_b32 exec_lo, exec_lo, s15
	v_or_b32_e32 v5, v17, v5
	v_or_b32_e32 v4, v16, v4
	;; [unrolled: 1-line block ×4, first 2 shown]
	v_mul_f32_e32 v170, v167, v5
	s_delay_alu instid0(VALU_DEP_4) | instskip(NEXT) | instid1(VALU_DEP_4)
	v_mul_f32_e32 v169, v167, v4
	v_mul_f32_e32 v159, v167, v6
	s_delay_alu instid0(VALU_DEP_4)
	v_mul_f32_e32 v168, v167, v7
	s_and_saveexec_b32 s10, vcc_lo
; %bb.2220:                             ;   in Loop: Header=BB268_1574 Depth=1
	v_cmp_lt_i32_e64 s0, v180, v35
	s_delay_alu instid0(VALU_DEP_1) | instskip(SKIP_1) | instid1(VALU_DEP_1)
	v_cndmask_b32_e64 v169, 0, v169, s0
	v_cmp_lt_i32_e64 s0, v183, v35
	v_cndmask_b32_e64 v170, 0, v170, s0
	v_cmp_lt_i32_e64 s0, v182, v35
	s_delay_alu instid0(VALU_DEP_1) | instskip(SKIP_1) | instid1(VALU_DEP_1)
	v_cndmask_b32_e64 v168, 0, v168, s0
	v_cmp_lt_i32_e64 s0, v181, v35
	v_cndmask_b32_e64 v159, 0, v159, s0
; %bb.2221:                             ;   in Loop: Header=BB268_1574 Depth=1
	s_or_b32 exec_lo, exec_lo, s10
	flat_load_b32 v6, v[14:15] offset:2432
	v_mov_b32_e32 v16, 0
	v_mov_b32_e32 v17, 0
	s_delay_alu instid0(VALU_DEP_2) | instskip(SKIP_1) | instid1(VALU_DEP_2)
	v_mov_b32_e32 v4, v16
	s_mov_b32 s10, exec_lo
	v_mov_b32_e32 v5, v17
	s_waitcnt vmcnt(0) lgkmcnt(0)
	v_and_b32_e32 v7, 0xff, v6
	s_delay_alu instid0(VALU_DEP_1)
	v_cmpx_ne_u16_e32 0, v7
	s_cbranch_execz .LBB268_2229
; %bb.2222:                             ;   in Loop: Header=BB268_1574 Depth=1
	v_bfrev_b32_e32 v4, 1
	v_mov_b32_e32 v5, 0
	s_mov_b32 s15, exec_lo
	v_cmpx_ne_u16_e32 0x80, v7
	s_cbranch_execz .LBB268_2228
; %bb.2223:                             ;   in Loop: Header=BB268_1574 Depth=1
	v_mov_b32_e32 v4, 0x7f800001
	v_and_b32_e32 v7, 0x7f, v6
	v_mov_b32_e32 v5, 0
	s_mov_b32 s16, exec_lo
	s_delay_alu instid0(VALU_DEP_2)
	v_cmpx_ne_u32_e32 0x7f, v7
	s_cbranch_execz .LBB268_2227
; %bb.2224:                             ;   in Loop: Header=BB268_1574 Depth=1
	v_and_b32_e32 v8, 7, v6
	v_lshrrev_b32_e32 v4, 3, v7
	s_mov_b32 s17, exec_lo
	v_cmpx_gt_u32_e32 8, v7
; %bb.2225:                             ;   in Loop: Header=BB268_1574 Depth=1
	s_delay_alu instid0(VALU_DEP_3) | instskip(NEXT) | instid1(VALU_DEP_1)
	v_clz_i32_u32_e32 v4, v8
	v_min_u32_e32 v4, 32, v4
	s_delay_alu instid0(VALU_DEP_1) | instskip(SKIP_1) | instid1(VALU_DEP_2)
	v_subrev_nc_u32_e32 v5, 28, v4
	v_sub_nc_u32_e32 v4, 29, v4
	v_lshlrev_b64 v[7:8], v5, v[8:9]
	s_delay_alu instid0(VALU_DEP_1)
	v_and_b32_e32 v8, 7, v7
; %bb.2226:                             ;   in Loop: Header=BB268_1574 Depth=1
	s_or_b32 exec_lo, exec_lo, s17
	v_lshlrev_b32_e32 v5, 24, v6
	s_delay_alu instid0(VALU_DEP_2) | instskip(SKIP_1) | instid1(VALU_DEP_3)
	v_lshlrev_b32_e32 v7, 20, v8
	v_lshl_add_u32 v4, v4, 23, 0x3c000000
	v_and_b32_e32 v5, 0x80000000, v5
	s_delay_alu instid0(VALU_DEP_1) | instskip(NEXT) | instid1(VALU_DEP_1)
	v_or3_b32 v8, v7, v5, v4
	v_dual_mov_b32 v4, v8 :: v_dual_mov_b32 v5, v9
.LBB268_2227:                           ;   in Loop: Header=BB268_1574 Depth=1
	s_or_b32 exec_lo, exec_lo, s16
.LBB268_2228:                           ;   in Loop: Header=BB268_1574 Depth=1
	s_delay_alu instid0(SALU_CYCLE_1)
	s_or_b32 exec_lo, exec_lo, s15
.LBB268_2229:                           ;   in Loop: Header=BB268_1574 Depth=1
	s_delay_alu instid0(SALU_CYCLE_1) | instskip(SKIP_2) | instid1(VALU_DEP_1)
	s_or_b32 exec_lo, exec_lo, s10
	v_lshrrev_b16 v7, 8, v6
	s_mov_b32 s15, exec_lo
	v_cmpx_ne_u16_e32 0, v7
	s_cbranch_execz .LBB268_2237
; %bb.2230:                             ;   in Loop: Header=BB268_1574 Depth=1
	v_dual_mov_b32 v17, s9 :: v_dual_mov_b32 v16, s8
	s_mov_b32 s16, exec_lo
	v_cmpx_ne_u16_e32 0x80, v7
	s_cbranch_execz .LBB268_2236
; %bb.2231:                             ;   in Loop: Header=BB268_1574 Depth=1
	s_mov_b32 s10, s8
	v_and_b32_e32 v7, 0xffff, v7
	v_dual_mov_b32 v17, s11 :: v_dual_mov_b32 v16, s10
	s_mov_b32 s10, exec_lo
	s_delay_alu instid0(VALU_DEP_2) | instskip(NEXT) | instid1(VALU_DEP_1)
	v_and_b32_e32 v18, 0x7f, v7
	v_cmpx_ne_u32_e32 0x7f, v18
	s_cbranch_execz .LBB268_2235
; %bb.2232:                             ;   in Loop: Header=BB268_1574 Depth=1
	v_and_b32_e32 v8, 7, v7
	v_lshrrev_b32_e32 v7, 3, v18
	s_mov_b32 s17, exec_lo
	v_cmpx_gt_u32_e32 8, v18
; %bb.2233:                             ;   in Loop: Header=BB268_1574 Depth=1
	s_delay_alu instid0(VALU_DEP_3) | instskip(NEXT) | instid1(VALU_DEP_1)
	v_clz_i32_u32_e32 v7, v8
	v_min_u32_e32 v7, 32, v7
	s_delay_alu instid0(VALU_DEP_1) | instskip(SKIP_1) | instid1(VALU_DEP_2)
	v_subrev_nc_u32_e32 v16, 28, v7
	v_sub_nc_u32_e32 v7, 29, v7
	v_lshlrev_b64 v[16:17], v16, v[8:9]
	s_delay_alu instid0(VALU_DEP_1)
	v_and_b32_e32 v8, 7, v16
; %bb.2234:                             ;   in Loop: Header=BB268_1574 Depth=1
	s_or_b32 exec_lo, exec_lo, s17
	v_lshlrev_b32_e32 v16, 16, v6
	s_delay_alu instid0(VALU_DEP_2) | instskip(SKIP_1) | instid1(VALU_DEP_3)
	v_lshlrev_b32_e32 v8, 20, v8
	v_lshl_add_u32 v7, v7, 23, 0x3c000000
	v_and_b32_e32 v16, 0x80000000, v16
	s_delay_alu instid0(VALU_DEP_1)
	v_or3_b32 v17, v8, v16, v7
	v_mov_b32_e32 v16, v9
.LBB268_2235:                           ;   in Loop: Header=BB268_1574 Depth=1
	s_or_b32 exec_lo, exec_lo, s10
.LBB268_2236:                           ;   in Loop: Header=BB268_1574 Depth=1
	s_delay_alu instid0(SALU_CYCLE_1)
	s_or_b32 exec_lo, exec_lo, s16
.LBB268_2237:                           ;   in Loop: Header=BB268_1574 Depth=1
	s_delay_alu instid0(SALU_CYCLE_1) | instskip(SKIP_4) | instid1(VALU_DEP_1)
	s_or_b32 exec_lo, exec_lo, s15
	v_mov_b32_e32 v18, 0
	v_lshrrev_b32_e32 v7, 16, v6
	v_mov_b32_e32 v19, 0
	s_mov_b32 s10, exec_lo
	v_dual_mov_b32 v21, v19 :: v_dual_and_b32 v8, 0xff, v7
	v_mov_b32_e32 v20, v18
	s_delay_alu instid0(VALU_DEP_2)
	v_cmpx_ne_u16_e32 0, v8
	s_cbranch_execz .LBB268_2245
; %bb.2238:                             ;   in Loop: Header=BB268_1574 Depth=1
	v_bfrev_b32_e32 v20, 1
	v_mov_b32_e32 v21, 0
	s_mov_b32 s15, exec_lo
	v_cmpx_ne_u16_e32 0x80, v8
	s_cbranch_execz .LBB268_2244
; %bb.2239:                             ;   in Loop: Header=BB268_1574 Depth=1
	v_mov_b32_e32 v20, 0x7f800001
	v_bfe_u32 v22, v6, 16, 7
	v_mov_b32_e32 v21, 0
	s_mov_b32 s16, exec_lo
	s_delay_alu instid0(VALU_DEP_2)
	v_cmpx_ne_u32_e32 0x7f, v22
	s_cbranch_execz .LBB268_2243
; %bb.2240:                             ;   in Loop: Header=BB268_1574 Depth=1
	v_and_b32_e32 v8, 7, v7
	v_lshrrev_b32_e32 v20, 3, v22
	s_mov_b32 s17, exec_lo
	v_cmpx_gt_u32_e32 8, v22
; %bb.2241:                             ;   in Loop: Header=BB268_1574 Depth=1
	s_delay_alu instid0(VALU_DEP_3) | instskip(NEXT) | instid1(VALU_DEP_1)
	v_clz_i32_u32_e32 v20, v8
	v_min_u32_e32 v20, 32, v20
	s_delay_alu instid0(VALU_DEP_1) | instskip(SKIP_1) | instid1(VALU_DEP_2)
	v_subrev_nc_u32_e32 v21, 28, v20
	v_sub_nc_u32_e32 v20, 29, v20
	v_lshlrev_b64 v[21:22], v21, v[8:9]
	s_delay_alu instid0(VALU_DEP_1)
	v_and_b32_e32 v8, 7, v21
; %bb.2242:                             ;   in Loop: Header=BB268_1574 Depth=1
	s_or_b32 exec_lo, exec_lo, s17
	v_lshlrev_b32_e32 v7, 24, v7
	s_delay_alu instid0(VALU_DEP_2) | instskip(SKIP_1) | instid1(VALU_DEP_3)
	v_lshlrev_b32_e32 v8, 20, v8
	v_lshl_add_u32 v20, v20, 23, 0x3c000000
	v_and_b32_e32 v7, 0x80000000, v7
	s_delay_alu instid0(VALU_DEP_1) | instskip(NEXT) | instid1(VALU_DEP_1)
	v_or3_b32 v8, v8, v7, v20
	v_dual_mov_b32 v21, v9 :: v_dual_mov_b32 v20, v8
.LBB268_2243:                           ;   in Loop: Header=BB268_1574 Depth=1
	s_or_b32 exec_lo, exec_lo, s16
.LBB268_2244:                           ;   in Loop: Header=BB268_1574 Depth=1
	s_delay_alu instid0(SALU_CYCLE_1)
	s_or_b32 exec_lo, exec_lo, s15
.LBB268_2245:                           ;   in Loop: Header=BB268_1574 Depth=1
	s_delay_alu instid0(SALU_CYCLE_1) | instskip(NEXT) | instid1(SALU_CYCLE_1)
	s_or_b32 exec_lo, exec_lo, s10
	s_mov_b32 s15, exec_lo
	v_cmpx_lt_u32_e32 0xffffff, v6
	s_cbranch_execz .LBB268_2253
; %bb.2246:                             ;   in Loop: Header=BB268_1574 Depth=1
	v_lshrrev_b32_e32 v7, 24, v6
	v_dual_mov_b32 v19, s9 :: v_dual_mov_b32 v18, s8
	s_mov_b32 s16, exec_lo
	s_delay_alu instid0(VALU_DEP_2)
	v_cmpx_ne_u32_e32 0x80, v7
	s_cbranch_execz .LBB268_2252
; %bb.2247:                             ;   in Loop: Header=BB268_1574 Depth=1
	s_mov_b32 s10, s8
	v_bfe_u32 v22, v6, 24, 7
	v_dual_mov_b32 v19, s11 :: v_dual_mov_b32 v18, s10
	s_mov_b32 s10, exec_lo
	s_delay_alu instid0(VALU_DEP_2)
	v_cmpx_ne_u32_e32 0x7f, v22
	s_cbranch_execz .LBB268_2251
; %bb.2248:                             ;   in Loop: Header=BB268_1574 Depth=1
	v_and_b32_e32 v8, 7, v7
	v_lshrrev_b32_e32 v6, 3, v22
	s_mov_b32 s17, exec_lo
	v_cmpx_gt_u32_e32 8, v22
; %bb.2249:                             ;   in Loop: Header=BB268_1574 Depth=1
	s_delay_alu instid0(VALU_DEP_3) | instskip(NEXT) | instid1(VALU_DEP_1)
	v_clz_i32_u32_e32 v6, v8
	v_min_u32_e32 v6, 32, v6
	s_delay_alu instid0(VALU_DEP_1) | instskip(SKIP_1) | instid1(VALU_DEP_2)
	v_subrev_nc_u32_e32 v18, 28, v6
	v_sub_nc_u32_e32 v6, 29, v6
	v_lshlrev_b64 v[18:19], v18, v[8:9]
	s_delay_alu instid0(VALU_DEP_1)
	v_and_b32_e32 v8, 7, v18
; %bb.2250:                             ;   in Loop: Header=BB268_1574 Depth=1
	s_or_b32 exec_lo, exec_lo, s17
	v_dual_mov_b32 v18, v9 :: v_dual_lshlrev_b32 v7, 24, v7
	s_delay_alu instid0(VALU_DEP_2) | instskip(SKIP_1) | instid1(VALU_DEP_3)
	v_lshlrev_b32_e32 v8, 20, v8
	v_lshl_add_u32 v6, v6, 23, 0x3c000000
	v_and_b32_e32 v7, 0x80000000, v7
	s_delay_alu instid0(VALU_DEP_1)
	v_or3_b32 v19, v8, v7, v6
.LBB268_2251:                           ;   in Loop: Header=BB268_1574 Depth=1
	s_or_b32 exec_lo, exec_lo, s10
.LBB268_2252:                           ;   in Loop: Header=BB268_1574 Depth=1
	s_delay_alu instid0(SALU_CYCLE_1)
	s_or_b32 exec_lo, exec_lo, s16
.LBB268_2253:                           ;   in Loop: Header=BB268_1574 Depth=1
	s_delay_alu instid0(SALU_CYCLE_1) | instskip(SKIP_4) | instid1(VALU_DEP_4)
	s_or_b32 exec_lo, exec_lo, s15
	v_or_b32_e32 v5, v17, v5
	v_or_b32_e32 v4, v16, v4
	;; [unrolled: 1-line block ×4, first 2 shown]
	v_mul_f32_e32 v174, v167, v5
	s_delay_alu instid0(VALU_DEP_4) | instskip(NEXT) | instid1(VALU_DEP_4)
	v_mul_f32_e32 v173, v167, v4
	v_mul_f32_e32 v171, v167, v6
	s_delay_alu instid0(VALU_DEP_4)
	v_mul_f32_e32 v172, v167, v7
	s_and_saveexec_b32 s10, vcc_lo
; %bb.2254:                             ;   in Loop: Header=BB268_1574 Depth=1
	v_cmp_lt_i32_e64 s0, v180, v35
	s_delay_alu instid0(VALU_DEP_1) | instskip(SKIP_1) | instid1(VALU_DEP_1)
	v_cndmask_b32_e64 v173, 0, v173, s0
	v_cmp_lt_i32_e64 s0, v183, v35
	v_cndmask_b32_e64 v174, 0, v174, s0
	v_cmp_lt_i32_e64 s0, v182, v35
	s_delay_alu instid0(VALU_DEP_1) | instskip(SKIP_1) | instid1(VALU_DEP_1)
	v_cndmask_b32_e64 v172, 0, v172, s0
	v_cmp_lt_i32_e64 s0, v181, v35
	v_cndmask_b32_e64 v171, 0, v171, s0
; %bb.2255:                             ;   in Loop: Header=BB268_1574 Depth=1
	s_or_b32 exec_lo, exec_lo, s10
	flat_load_b32 v6, v[14:15] offset:2560
	v_mov_b32_e32 v4, 0
	v_mov_b32_e32 v5, 0
	s_mov_b32 s10, exec_lo
	s_delay_alu instid0(VALU_DEP_1) | instskip(SKIP_2) | instid1(VALU_DEP_1)
	v_dual_mov_b32 v17, v5 :: v_dual_mov_b32 v16, v4
	s_waitcnt vmcnt(0) lgkmcnt(0)
	v_and_b32_e32 v7, 0xff, v6
	v_cmpx_ne_u16_e32 0, v7
	s_cbranch_execz .LBB268_2263
; %bb.2256:                             ;   in Loop: Header=BB268_1574 Depth=1
	v_bfrev_b32_e32 v16, 1
	v_mov_b32_e32 v17, 0
	s_mov_b32 s15, exec_lo
	v_cmpx_ne_u16_e32 0x80, v7
	s_cbranch_execz .LBB268_2262
; %bb.2257:                             ;   in Loop: Header=BB268_1574 Depth=1
	v_mov_b32_e32 v16, 0x7f800001
	v_dual_mov_b32 v17, 0 :: v_dual_and_b32 v18, 0x7f, v6
	s_mov_b32 s16, exec_lo
	s_delay_alu instid0(VALU_DEP_1)
	v_cmpx_ne_u32_e32 0x7f, v18
	s_cbranch_execz .LBB268_2261
; %bb.2258:                             ;   in Loop: Header=BB268_1574 Depth=1
	v_and_b32_e32 v8, 7, v6
	v_lshrrev_b32_e32 v7, 3, v18
	s_mov_b32 s17, exec_lo
	v_cmpx_gt_u32_e32 8, v18
; %bb.2259:                             ;   in Loop: Header=BB268_1574 Depth=1
	s_delay_alu instid0(VALU_DEP_3) | instskip(NEXT) | instid1(VALU_DEP_1)
	v_clz_i32_u32_e32 v7, v8
	v_min_u32_e32 v7, 32, v7
	s_delay_alu instid0(VALU_DEP_1) | instskip(SKIP_1) | instid1(VALU_DEP_2)
	v_subrev_nc_u32_e32 v16, 28, v7
	v_sub_nc_u32_e32 v7, 29, v7
	v_lshlrev_b64 v[16:17], v16, v[8:9]
	s_delay_alu instid0(VALU_DEP_1)
	v_and_b32_e32 v8, 7, v16
; %bb.2260:                             ;   in Loop: Header=BB268_1574 Depth=1
	s_or_b32 exec_lo, exec_lo, s17
	v_lshlrev_b32_e32 v16, 24, v6
	s_delay_alu instid0(VALU_DEP_2) | instskip(SKIP_1) | instid1(VALU_DEP_3)
	v_lshlrev_b32_e32 v8, 20, v8
	v_lshl_add_u32 v7, v7, 23, 0x3c000000
	v_and_b32_e32 v16, 0x80000000, v16
	s_delay_alu instid0(VALU_DEP_1) | instskip(NEXT) | instid1(VALU_DEP_1)
	v_or3_b32 v8, v8, v16, v7
	v_dual_mov_b32 v17, v9 :: v_dual_mov_b32 v16, v8
.LBB268_2261:                           ;   in Loop: Header=BB268_1574 Depth=1
	s_or_b32 exec_lo, exec_lo, s16
.LBB268_2262:                           ;   in Loop: Header=BB268_1574 Depth=1
	s_delay_alu instid0(SALU_CYCLE_1)
	s_or_b32 exec_lo, exec_lo, s15
.LBB268_2263:                           ;   in Loop: Header=BB268_1574 Depth=1
	s_delay_alu instid0(SALU_CYCLE_1) | instskip(SKIP_2) | instid1(VALU_DEP_1)
	s_or_b32 exec_lo, exec_lo, s10
	v_lshrrev_b16 v7, 8, v6
	s_mov_b32 s15, exec_lo
	v_cmpx_ne_u16_e32 0, v7
	s_cbranch_execz .LBB268_2271
; %bb.2264:                             ;   in Loop: Header=BB268_1574 Depth=1
	v_dual_mov_b32 v4, s8 :: v_dual_mov_b32 v5, s9
	s_mov_b32 s16, exec_lo
	v_cmpx_ne_u16_e32 0x80, v7
	s_cbranch_execz .LBB268_2270
; %bb.2265:                             ;   in Loop: Header=BB268_1574 Depth=1
	s_mov_b32 s10, s8
	v_and_b32_e32 v8, 0xffff, v7
	v_dual_mov_b32 v4, s10 :: v_dual_mov_b32 v5, s11
	s_mov_b32 s10, exec_lo
	s_delay_alu instid0(VALU_DEP_2) | instskip(NEXT) | instid1(VALU_DEP_1)
	v_and_b32_e32 v7, 0x7f, v8
	v_cmpx_ne_u32_e32 0x7f, v7
	s_cbranch_execz .LBB268_2269
; %bb.2266:                             ;   in Loop: Header=BB268_1574 Depth=1
	v_and_b32_e32 v8, 7, v8
	v_lshrrev_b32_e32 v4, 3, v7
	s_mov_b32 s17, exec_lo
	v_cmpx_gt_u32_e32 8, v7
; %bb.2267:                             ;   in Loop: Header=BB268_1574 Depth=1
	s_delay_alu instid0(VALU_DEP_3) | instskip(NEXT) | instid1(VALU_DEP_1)
	v_clz_i32_u32_e32 v4, v8
	v_min_u32_e32 v4, 32, v4
	s_delay_alu instid0(VALU_DEP_1) | instskip(SKIP_1) | instid1(VALU_DEP_2)
	v_subrev_nc_u32_e32 v5, 28, v4
	v_sub_nc_u32_e32 v4, 29, v4
	v_lshlrev_b64 v[7:8], v5, v[8:9]
	s_delay_alu instid0(VALU_DEP_1)
	v_and_b32_e32 v8, 7, v7
; %bb.2268:                             ;   in Loop: Header=BB268_1574 Depth=1
	s_or_b32 exec_lo, exec_lo, s17
	v_lshlrev_b32_e32 v5, 16, v6
	s_delay_alu instid0(VALU_DEP_2) | instskip(SKIP_1) | instid1(VALU_DEP_3)
	v_lshlrev_b32_e32 v7, 20, v8
	v_lshl_add_u32 v4, v4, 23, 0x3c000000
	v_and_b32_e32 v5, 0x80000000, v5
	s_delay_alu instid0(VALU_DEP_1)
	v_or3_b32 v5, v7, v5, v4
	v_mov_b32_e32 v4, v9
.LBB268_2269:                           ;   in Loop: Header=BB268_1574 Depth=1
	s_or_b32 exec_lo, exec_lo, s10
.LBB268_2270:                           ;   in Loop: Header=BB268_1574 Depth=1
	s_delay_alu instid0(SALU_CYCLE_1)
	s_or_b32 exec_lo, exec_lo, s16
.LBB268_2271:                           ;   in Loop: Header=BB268_1574 Depth=1
	s_delay_alu instid0(SALU_CYCLE_1) | instskip(SKIP_4) | instid1(VALU_DEP_1)
	s_or_b32 exec_lo, exec_lo, s15
	v_mov_b32_e32 v18, 0
	v_lshrrev_b32_e32 v7, 16, v6
	v_mov_b32_e32 v19, 0
	s_mov_b32 s10, exec_lo
	v_dual_mov_b32 v21, v19 :: v_dual_and_b32 v8, 0xff, v7
	v_mov_b32_e32 v20, v18
	s_delay_alu instid0(VALU_DEP_2)
	v_cmpx_ne_u16_e32 0, v8
	s_cbranch_execz .LBB268_2279
; %bb.2272:                             ;   in Loop: Header=BB268_1574 Depth=1
	v_bfrev_b32_e32 v20, 1
	v_mov_b32_e32 v21, 0
	s_mov_b32 s15, exec_lo
	v_cmpx_ne_u16_e32 0x80, v8
	s_cbranch_execz .LBB268_2278
; %bb.2273:                             ;   in Loop: Header=BB268_1574 Depth=1
	v_mov_b32_e32 v20, 0x7f800001
	v_bfe_u32 v22, v6, 16, 7
	v_mov_b32_e32 v21, 0
	s_mov_b32 s16, exec_lo
	s_delay_alu instid0(VALU_DEP_2)
	v_cmpx_ne_u32_e32 0x7f, v22
	s_cbranch_execz .LBB268_2277
; %bb.2274:                             ;   in Loop: Header=BB268_1574 Depth=1
	v_and_b32_e32 v8, 7, v7
	v_lshrrev_b32_e32 v20, 3, v22
	s_mov_b32 s17, exec_lo
	v_cmpx_gt_u32_e32 8, v22
; %bb.2275:                             ;   in Loop: Header=BB268_1574 Depth=1
	s_delay_alu instid0(VALU_DEP_3) | instskip(NEXT) | instid1(VALU_DEP_1)
	v_clz_i32_u32_e32 v20, v8
	v_min_u32_e32 v20, 32, v20
	s_delay_alu instid0(VALU_DEP_1) | instskip(SKIP_1) | instid1(VALU_DEP_2)
	v_subrev_nc_u32_e32 v21, 28, v20
	v_sub_nc_u32_e32 v20, 29, v20
	v_lshlrev_b64 v[21:22], v21, v[8:9]
	s_delay_alu instid0(VALU_DEP_1)
	v_and_b32_e32 v8, 7, v21
; %bb.2276:                             ;   in Loop: Header=BB268_1574 Depth=1
	s_or_b32 exec_lo, exec_lo, s17
	v_lshlrev_b32_e32 v7, 24, v7
	s_delay_alu instid0(VALU_DEP_2) | instskip(SKIP_1) | instid1(VALU_DEP_3)
	v_lshlrev_b32_e32 v8, 20, v8
	v_lshl_add_u32 v20, v20, 23, 0x3c000000
	v_and_b32_e32 v7, 0x80000000, v7
	s_delay_alu instid0(VALU_DEP_1) | instskip(NEXT) | instid1(VALU_DEP_1)
	v_or3_b32 v8, v8, v7, v20
	v_dual_mov_b32 v21, v9 :: v_dual_mov_b32 v20, v8
.LBB268_2277:                           ;   in Loop: Header=BB268_1574 Depth=1
	s_or_b32 exec_lo, exec_lo, s16
.LBB268_2278:                           ;   in Loop: Header=BB268_1574 Depth=1
	s_delay_alu instid0(SALU_CYCLE_1)
	s_or_b32 exec_lo, exec_lo, s15
.LBB268_2279:                           ;   in Loop: Header=BB268_1574 Depth=1
	s_delay_alu instid0(SALU_CYCLE_1) | instskip(NEXT) | instid1(SALU_CYCLE_1)
	s_or_b32 exec_lo, exec_lo, s10
	s_mov_b32 s15, exec_lo
	v_cmpx_lt_u32_e32 0xffffff, v6
	s_cbranch_execz .LBB268_2287
; %bb.2280:                             ;   in Loop: Header=BB268_1574 Depth=1
	v_lshrrev_b32_e32 v7, 24, v6
	v_dual_mov_b32 v19, s9 :: v_dual_mov_b32 v18, s8
	s_mov_b32 s16, exec_lo
	s_delay_alu instid0(VALU_DEP_2)
	v_cmpx_ne_u32_e32 0x80, v7
	s_cbranch_execz .LBB268_2286
; %bb.2281:                             ;   in Loop: Header=BB268_1574 Depth=1
	s_mov_b32 s10, s8
	v_bfe_u32 v22, v6, 24, 7
	v_dual_mov_b32 v19, s11 :: v_dual_mov_b32 v18, s10
	s_mov_b32 s10, exec_lo
	s_delay_alu instid0(VALU_DEP_2)
	v_cmpx_ne_u32_e32 0x7f, v22
	s_cbranch_execz .LBB268_2285
; %bb.2282:                             ;   in Loop: Header=BB268_1574 Depth=1
	v_and_b32_e32 v8, 7, v7
	v_lshrrev_b32_e32 v6, 3, v22
	s_mov_b32 s17, exec_lo
	v_cmpx_gt_u32_e32 8, v22
; %bb.2283:                             ;   in Loop: Header=BB268_1574 Depth=1
	s_delay_alu instid0(VALU_DEP_3) | instskip(NEXT) | instid1(VALU_DEP_1)
	v_clz_i32_u32_e32 v6, v8
	v_min_u32_e32 v6, 32, v6
	s_delay_alu instid0(VALU_DEP_1) | instskip(SKIP_1) | instid1(VALU_DEP_2)
	v_subrev_nc_u32_e32 v18, 28, v6
	v_sub_nc_u32_e32 v6, 29, v6
	v_lshlrev_b64 v[18:19], v18, v[8:9]
	s_delay_alu instid0(VALU_DEP_1)
	v_and_b32_e32 v8, 7, v18
; %bb.2284:                             ;   in Loop: Header=BB268_1574 Depth=1
	s_or_b32 exec_lo, exec_lo, s17
	v_dual_mov_b32 v18, v9 :: v_dual_lshlrev_b32 v7, 24, v7
	s_delay_alu instid0(VALU_DEP_2) | instskip(SKIP_1) | instid1(VALU_DEP_3)
	v_lshlrev_b32_e32 v8, 20, v8
	v_lshl_add_u32 v6, v6, 23, 0x3c000000
	v_and_b32_e32 v7, 0x80000000, v7
	s_delay_alu instid0(VALU_DEP_1)
	v_or3_b32 v19, v8, v7, v6
.LBB268_2285:                           ;   in Loop: Header=BB268_1574 Depth=1
	s_or_b32 exec_lo, exec_lo, s10
.LBB268_2286:                           ;   in Loop: Header=BB268_1574 Depth=1
	s_delay_alu instid0(SALU_CYCLE_1)
	s_or_b32 exec_lo, exec_lo, s16
.LBB268_2287:                           ;   in Loop: Header=BB268_1574 Depth=1
	s_delay_alu instid0(SALU_CYCLE_1) | instskip(SKIP_4) | instid1(VALU_DEP_4)
	s_or_b32 exec_lo, exec_lo, s15
	v_or_b32_e32 v5, v5, v17
	v_or_b32_e32 v4, v4, v16
	;; [unrolled: 1-line block ×4, first 2 shown]
	v_mul_f32_e32 v186, v167, v5
	s_delay_alu instid0(VALU_DEP_4) | instskip(NEXT) | instid1(VALU_DEP_4)
	v_mul_f32_e32 v185, v167, v4
	v_mul_f32_e32 v175, v167, v6
	s_delay_alu instid0(VALU_DEP_4)
	v_mul_f32_e32 v184, v167, v7
	s_and_saveexec_b32 s10, vcc_lo
; %bb.2288:                             ;   in Loop: Header=BB268_1574 Depth=1
	v_cmp_lt_i32_e64 s0, v180, v35
	s_delay_alu instid0(VALU_DEP_1) | instskip(SKIP_1) | instid1(VALU_DEP_1)
	v_cndmask_b32_e64 v185, 0, v185, s0
	v_cmp_lt_i32_e64 s0, v183, v35
	v_cndmask_b32_e64 v186, 0, v186, s0
	v_cmp_lt_i32_e64 s0, v182, v35
	s_delay_alu instid0(VALU_DEP_1) | instskip(SKIP_1) | instid1(VALU_DEP_1)
	v_cndmask_b32_e64 v184, 0, v184, s0
	v_cmp_lt_i32_e64 s0, v181, v35
	v_cndmask_b32_e64 v175, 0, v175, s0
; %bb.2289:                             ;   in Loop: Header=BB268_1574 Depth=1
	s_or_b32 exec_lo, exec_lo, s10
	flat_load_b32 v6, v[14:15] offset:2688
	v_mov_b32_e32 v4, 0
	v_mov_b32_e32 v5, 0
	s_mov_b32 s10, exec_lo
	s_delay_alu instid0(VALU_DEP_1) | instskip(SKIP_2) | instid1(VALU_DEP_1)
	v_dual_mov_b32 v17, v5 :: v_dual_mov_b32 v16, v4
	s_waitcnt vmcnt(0) lgkmcnt(0)
	v_and_b32_e32 v7, 0xff, v6
	v_cmpx_ne_u16_e32 0, v7
	s_cbranch_execz .LBB268_2297
; %bb.2290:                             ;   in Loop: Header=BB268_1574 Depth=1
	v_bfrev_b32_e32 v16, 1
	v_mov_b32_e32 v17, 0
	s_mov_b32 s15, exec_lo
	v_cmpx_ne_u16_e32 0x80, v7
	s_cbranch_execz .LBB268_2296
; %bb.2291:                             ;   in Loop: Header=BB268_1574 Depth=1
	v_mov_b32_e32 v16, 0x7f800001
	v_dual_mov_b32 v17, 0 :: v_dual_and_b32 v18, 0x7f, v6
	s_mov_b32 s16, exec_lo
	s_delay_alu instid0(VALU_DEP_1)
	v_cmpx_ne_u32_e32 0x7f, v18
	s_cbranch_execz .LBB268_2295
; %bb.2292:                             ;   in Loop: Header=BB268_1574 Depth=1
	v_and_b32_e32 v8, 7, v6
	v_lshrrev_b32_e32 v7, 3, v18
	s_mov_b32 s17, exec_lo
	v_cmpx_gt_u32_e32 8, v18
; %bb.2293:                             ;   in Loop: Header=BB268_1574 Depth=1
	s_delay_alu instid0(VALU_DEP_3) | instskip(NEXT) | instid1(VALU_DEP_1)
	v_clz_i32_u32_e32 v7, v8
	v_min_u32_e32 v7, 32, v7
	s_delay_alu instid0(VALU_DEP_1) | instskip(SKIP_1) | instid1(VALU_DEP_2)
	v_subrev_nc_u32_e32 v16, 28, v7
	v_sub_nc_u32_e32 v7, 29, v7
	v_lshlrev_b64 v[16:17], v16, v[8:9]
	s_delay_alu instid0(VALU_DEP_1)
	v_and_b32_e32 v8, 7, v16
; %bb.2294:                             ;   in Loop: Header=BB268_1574 Depth=1
	s_or_b32 exec_lo, exec_lo, s17
	v_lshlrev_b32_e32 v16, 24, v6
	s_delay_alu instid0(VALU_DEP_2) | instskip(SKIP_1) | instid1(VALU_DEP_3)
	v_lshlrev_b32_e32 v8, 20, v8
	v_lshl_add_u32 v7, v7, 23, 0x3c000000
	v_and_b32_e32 v16, 0x80000000, v16
	s_delay_alu instid0(VALU_DEP_1) | instskip(NEXT) | instid1(VALU_DEP_1)
	v_or3_b32 v8, v8, v16, v7
	v_dual_mov_b32 v17, v9 :: v_dual_mov_b32 v16, v8
.LBB268_2295:                           ;   in Loop: Header=BB268_1574 Depth=1
	s_or_b32 exec_lo, exec_lo, s16
.LBB268_2296:                           ;   in Loop: Header=BB268_1574 Depth=1
	s_delay_alu instid0(SALU_CYCLE_1)
	s_or_b32 exec_lo, exec_lo, s15
.LBB268_2297:                           ;   in Loop: Header=BB268_1574 Depth=1
	s_delay_alu instid0(SALU_CYCLE_1) | instskip(SKIP_2) | instid1(VALU_DEP_1)
	s_or_b32 exec_lo, exec_lo, s10
	v_lshrrev_b16 v7, 8, v6
	s_mov_b32 s15, exec_lo
	v_cmpx_ne_u16_e32 0, v7
	s_cbranch_execz .LBB268_2305
; %bb.2298:                             ;   in Loop: Header=BB268_1574 Depth=1
	v_dual_mov_b32 v4, s8 :: v_dual_mov_b32 v5, s9
	s_mov_b32 s16, exec_lo
	v_cmpx_ne_u16_e32 0x80, v7
	s_cbranch_execz .LBB268_2304
; %bb.2299:                             ;   in Loop: Header=BB268_1574 Depth=1
	s_mov_b32 s10, s8
	v_and_b32_e32 v8, 0xffff, v7
	v_dual_mov_b32 v4, s10 :: v_dual_mov_b32 v5, s11
	s_mov_b32 s10, exec_lo
	s_delay_alu instid0(VALU_DEP_2) | instskip(NEXT) | instid1(VALU_DEP_1)
	v_and_b32_e32 v7, 0x7f, v8
	v_cmpx_ne_u32_e32 0x7f, v7
	s_cbranch_execz .LBB268_2303
; %bb.2300:                             ;   in Loop: Header=BB268_1574 Depth=1
	v_and_b32_e32 v8, 7, v8
	v_lshrrev_b32_e32 v4, 3, v7
	s_mov_b32 s17, exec_lo
	v_cmpx_gt_u32_e32 8, v7
; %bb.2301:                             ;   in Loop: Header=BB268_1574 Depth=1
	s_delay_alu instid0(VALU_DEP_3) | instskip(NEXT) | instid1(VALU_DEP_1)
	v_clz_i32_u32_e32 v4, v8
	v_min_u32_e32 v4, 32, v4
	s_delay_alu instid0(VALU_DEP_1) | instskip(SKIP_1) | instid1(VALU_DEP_2)
	v_subrev_nc_u32_e32 v5, 28, v4
	v_sub_nc_u32_e32 v4, 29, v4
	v_lshlrev_b64 v[7:8], v5, v[8:9]
	s_delay_alu instid0(VALU_DEP_1)
	v_and_b32_e32 v8, 7, v7
; %bb.2302:                             ;   in Loop: Header=BB268_1574 Depth=1
	s_or_b32 exec_lo, exec_lo, s17
	v_lshlrev_b32_e32 v5, 16, v6
	s_delay_alu instid0(VALU_DEP_2) | instskip(SKIP_1) | instid1(VALU_DEP_3)
	v_lshlrev_b32_e32 v7, 20, v8
	v_lshl_add_u32 v4, v4, 23, 0x3c000000
	v_and_b32_e32 v5, 0x80000000, v5
	s_delay_alu instid0(VALU_DEP_1)
	v_or3_b32 v5, v7, v5, v4
	v_mov_b32_e32 v4, v9
.LBB268_2303:                           ;   in Loop: Header=BB268_1574 Depth=1
	s_or_b32 exec_lo, exec_lo, s10
.LBB268_2304:                           ;   in Loop: Header=BB268_1574 Depth=1
	s_delay_alu instid0(SALU_CYCLE_1)
	s_or_b32 exec_lo, exec_lo, s16
.LBB268_2305:                           ;   in Loop: Header=BB268_1574 Depth=1
	s_delay_alu instid0(SALU_CYCLE_1) | instskip(SKIP_4) | instid1(VALU_DEP_1)
	s_or_b32 exec_lo, exec_lo, s15
	v_mov_b32_e32 v18, 0
	v_lshrrev_b32_e32 v7, 16, v6
	v_mov_b32_e32 v19, 0
	s_mov_b32 s10, exec_lo
	v_dual_mov_b32 v21, v19 :: v_dual_and_b32 v8, 0xff, v7
	v_mov_b32_e32 v20, v18
	s_delay_alu instid0(VALU_DEP_2)
	v_cmpx_ne_u16_e32 0, v8
	s_cbranch_execz .LBB268_2313
; %bb.2306:                             ;   in Loop: Header=BB268_1574 Depth=1
	v_bfrev_b32_e32 v20, 1
	v_mov_b32_e32 v21, 0
	s_mov_b32 s15, exec_lo
	v_cmpx_ne_u16_e32 0x80, v8
	s_cbranch_execz .LBB268_2312
; %bb.2307:                             ;   in Loop: Header=BB268_1574 Depth=1
	v_mov_b32_e32 v20, 0x7f800001
	v_bfe_u32 v22, v6, 16, 7
	v_mov_b32_e32 v21, 0
	s_mov_b32 s16, exec_lo
	s_delay_alu instid0(VALU_DEP_2)
	v_cmpx_ne_u32_e32 0x7f, v22
	s_cbranch_execz .LBB268_2311
; %bb.2308:                             ;   in Loop: Header=BB268_1574 Depth=1
	v_and_b32_e32 v8, 7, v7
	v_lshrrev_b32_e32 v20, 3, v22
	s_mov_b32 s17, exec_lo
	v_cmpx_gt_u32_e32 8, v22
; %bb.2309:                             ;   in Loop: Header=BB268_1574 Depth=1
	s_delay_alu instid0(VALU_DEP_3) | instskip(NEXT) | instid1(VALU_DEP_1)
	v_clz_i32_u32_e32 v20, v8
	v_min_u32_e32 v20, 32, v20
	s_delay_alu instid0(VALU_DEP_1) | instskip(SKIP_1) | instid1(VALU_DEP_2)
	v_subrev_nc_u32_e32 v21, 28, v20
	v_sub_nc_u32_e32 v20, 29, v20
	v_lshlrev_b64 v[21:22], v21, v[8:9]
	s_delay_alu instid0(VALU_DEP_1)
	v_and_b32_e32 v8, 7, v21
; %bb.2310:                             ;   in Loop: Header=BB268_1574 Depth=1
	s_or_b32 exec_lo, exec_lo, s17
	v_lshlrev_b32_e32 v7, 24, v7
	s_delay_alu instid0(VALU_DEP_2) | instskip(SKIP_1) | instid1(VALU_DEP_3)
	v_lshlrev_b32_e32 v8, 20, v8
	v_lshl_add_u32 v20, v20, 23, 0x3c000000
	v_and_b32_e32 v7, 0x80000000, v7
	s_delay_alu instid0(VALU_DEP_1) | instskip(NEXT) | instid1(VALU_DEP_1)
	v_or3_b32 v8, v8, v7, v20
	v_dual_mov_b32 v21, v9 :: v_dual_mov_b32 v20, v8
.LBB268_2311:                           ;   in Loop: Header=BB268_1574 Depth=1
	s_or_b32 exec_lo, exec_lo, s16
.LBB268_2312:                           ;   in Loop: Header=BB268_1574 Depth=1
	s_delay_alu instid0(SALU_CYCLE_1)
	s_or_b32 exec_lo, exec_lo, s15
.LBB268_2313:                           ;   in Loop: Header=BB268_1574 Depth=1
	s_delay_alu instid0(SALU_CYCLE_1) | instskip(NEXT) | instid1(SALU_CYCLE_1)
	s_or_b32 exec_lo, exec_lo, s10
	s_mov_b32 s15, exec_lo
	v_cmpx_lt_u32_e32 0xffffff, v6
	s_cbranch_execz .LBB268_2321
; %bb.2314:                             ;   in Loop: Header=BB268_1574 Depth=1
	v_lshrrev_b32_e32 v7, 24, v6
	v_dual_mov_b32 v19, s9 :: v_dual_mov_b32 v18, s8
	s_mov_b32 s16, exec_lo
	s_delay_alu instid0(VALU_DEP_2)
	v_cmpx_ne_u32_e32 0x80, v7
	s_cbranch_execz .LBB268_2320
; %bb.2315:                             ;   in Loop: Header=BB268_1574 Depth=1
	s_mov_b32 s10, s8
	v_bfe_u32 v22, v6, 24, 7
	v_dual_mov_b32 v19, s11 :: v_dual_mov_b32 v18, s10
	s_mov_b32 s10, exec_lo
	s_delay_alu instid0(VALU_DEP_2)
	v_cmpx_ne_u32_e32 0x7f, v22
	s_cbranch_execz .LBB268_2319
; %bb.2316:                             ;   in Loop: Header=BB268_1574 Depth=1
	v_and_b32_e32 v8, 7, v7
	v_lshrrev_b32_e32 v6, 3, v22
	s_mov_b32 s17, exec_lo
	v_cmpx_gt_u32_e32 8, v22
; %bb.2317:                             ;   in Loop: Header=BB268_1574 Depth=1
	s_delay_alu instid0(VALU_DEP_3) | instskip(NEXT) | instid1(VALU_DEP_1)
	v_clz_i32_u32_e32 v6, v8
	v_min_u32_e32 v6, 32, v6
	s_delay_alu instid0(VALU_DEP_1) | instskip(SKIP_1) | instid1(VALU_DEP_2)
	v_subrev_nc_u32_e32 v18, 28, v6
	v_sub_nc_u32_e32 v6, 29, v6
	v_lshlrev_b64 v[18:19], v18, v[8:9]
	s_delay_alu instid0(VALU_DEP_1)
	v_and_b32_e32 v8, 7, v18
; %bb.2318:                             ;   in Loop: Header=BB268_1574 Depth=1
	s_or_b32 exec_lo, exec_lo, s17
	v_dual_mov_b32 v18, v9 :: v_dual_lshlrev_b32 v7, 24, v7
	s_delay_alu instid0(VALU_DEP_2) | instskip(SKIP_1) | instid1(VALU_DEP_3)
	v_lshlrev_b32_e32 v8, 20, v8
	v_lshl_add_u32 v6, v6, 23, 0x3c000000
	v_and_b32_e32 v7, 0x80000000, v7
	s_delay_alu instid0(VALU_DEP_1)
	v_or3_b32 v19, v8, v7, v6
.LBB268_2319:                           ;   in Loop: Header=BB268_1574 Depth=1
	s_or_b32 exec_lo, exec_lo, s10
.LBB268_2320:                           ;   in Loop: Header=BB268_1574 Depth=1
	s_delay_alu instid0(SALU_CYCLE_1)
	s_or_b32 exec_lo, exec_lo, s16
.LBB268_2321:                           ;   in Loop: Header=BB268_1574 Depth=1
	s_delay_alu instid0(SALU_CYCLE_1) | instskip(SKIP_4) | instid1(VALU_DEP_4)
	s_or_b32 exec_lo, exec_lo, s15
	v_or_b32_e32 v5, v5, v17
	v_or_b32_e32 v4, v4, v16
	;; [unrolled: 1-line block ×4, first 2 shown]
	v_mul_f32_e32 v190, v167, v5
	s_delay_alu instid0(VALU_DEP_4) | instskip(NEXT) | instid1(VALU_DEP_4)
	v_mul_f32_e32 v189, v167, v4
	v_mul_f32_e32 v187, v167, v6
	s_delay_alu instid0(VALU_DEP_4)
	v_mul_f32_e32 v188, v167, v7
	s_and_saveexec_b32 s10, vcc_lo
; %bb.2322:                             ;   in Loop: Header=BB268_1574 Depth=1
	v_cmp_lt_i32_e64 s0, v180, v35
	s_delay_alu instid0(VALU_DEP_1) | instskip(SKIP_1) | instid1(VALU_DEP_1)
	v_cndmask_b32_e64 v189, 0, v189, s0
	v_cmp_lt_i32_e64 s0, v183, v35
	v_cndmask_b32_e64 v190, 0, v190, s0
	v_cmp_lt_i32_e64 s0, v182, v35
	s_delay_alu instid0(VALU_DEP_1) | instskip(SKIP_1) | instid1(VALU_DEP_1)
	v_cndmask_b32_e64 v188, 0, v188, s0
	v_cmp_lt_i32_e64 s0, v181, v35
	v_cndmask_b32_e64 v187, 0, v187, s0
; %bb.2323:                             ;   in Loop: Header=BB268_1574 Depth=1
	s_or_b32 exec_lo, exec_lo, s10
	flat_load_b32 v6, v[14:15] offset:2816
	v_mov_b32_e32 v4, 0
	v_mov_b32_e32 v5, 0
	s_mov_b32 s10, exec_lo
	s_delay_alu instid0(VALU_DEP_1) | instskip(SKIP_2) | instid1(VALU_DEP_1)
	v_dual_mov_b32 v17, v5 :: v_dual_mov_b32 v16, v4
	s_waitcnt vmcnt(0) lgkmcnt(0)
	v_and_b32_e32 v7, 0xff, v6
	v_cmpx_ne_u16_e32 0, v7
	s_cbranch_execz .LBB268_2331
; %bb.2324:                             ;   in Loop: Header=BB268_1574 Depth=1
	v_bfrev_b32_e32 v16, 1
	v_mov_b32_e32 v17, 0
	s_mov_b32 s15, exec_lo
	v_cmpx_ne_u16_e32 0x80, v7
	s_cbranch_execz .LBB268_2330
; %bb.2325:                             ;   in Loop: Header=BB268_1574 Depth=1
	v_mov_b32_e32 v16, 0x7f800001
	v_dual_mov_b32 v17, 0 :: v_dual_and_b32 v18, 0x7f, v6
	s_mov_b32 s16, exec_lo
	s_delay_alu instid0(VALU_DEP_1)
	v_cmpx_ne_u32_e32 0x7f, v18
	s_cbranch_execz .LBB268_2329
; %bb.2326:                             ;   in Loop: Header=BB268_1574 Depth=1
	v_and_b32_e32 v8, 7, v6
	v_lshrrev_b32_e32 v7, 3, v18
	s_mov_b32 s17, exec_lo
	v_cmpx_gt_u32_e32 8, v18
; %bb.2327:                             ;   in Loop: Header=BB268_1574 Depth=1
	s_delay_alu instid0(VALU_DEP_3) | instskip(NEXT) | instid1(VALU_DEP_1)
	v_clz_i32_u32_e32 v7, v8
	v_min_u32_e32 v7, 32, v7
	s_delay_alu instid0(VALU_DEP_1) | instskip(SKIP_1) | instid1(VALU_DEP_2)
	v_subrev_nc_u32_e32 v16, 28, v7
	v_sub_nc_u32_e32 v7, 29, v7
	v_lshlrev_b64 v[16:17], v16, v[8:9]
	s_delay_alu instid0(VALU_DEP_1)
	v_and_b32_e32 v8, 7, v16
; %bb.2328:                             ;   in Loop: Header=BB268_1574 Depth=1
	s_or_b32 exec_lo, exec_lo, s17
	v_lshlrev_b32_e32 v16, 24, v6
	s_delay_alu instid0(VALU_DEP_2) | instskip(SKIP_1) | instid1(VALU_DEP_3)
	v_lshlrev_b32_e32 v8, 20, v8
	v_lshl_add_u32 v7, v7, 23, 0x3c000000
	v_and_b32_e32 v16, 0x80000000, v16
	s_delay_alu instid0(VALU_DEP_1) | instskip(NEXT) | instid1(VALU_DEP_1)
	v_or3_b32 v8, v8, v16, v7
	v_dual_mov_b32 v17, v9 :: v_dual_mov_b32 v16, v8
.LBB268_2329:                           ;   in Loop: Header=BB268_1574 Depth=1
	s_or_b32 exec_lo, exec_lo, s16
.LBB268_2330:                           ;   in Loop: Header=BB268_1574 Depth=1
	s_delay_alu instid0(SALU_CYCLE_1)
	s_or_b32 exec_lo, exec_lo, s15
.LBB268_2331:                           ;   in Loop: Header=BB268_1574 Depth=1
	s_delay_alu instid0(SALU_CYCLE_1) | instskip(SKIP_2) | instid1(VALU_DEP_1)
	s_or_b32 exec_lo, exec_lo, s10
	v_lshrrev_b16 v7, 8, v6
	s_mov_b32 s15, exec_lo
	v_cmpx_ne_u16_e32 0, v7
	s_cbranch_execz .LBB268_2339
; %bb.2332:                             ;   in Loop: Header=BB268_1574 Depth=1
	v_dual_mov_b32 v4, s8 :: v_dual_mov_b32 v5, s9
	s_mov_b32 s16, exec_lo
	v_cmpx_ne_u16_e32 0x80, v7
	s_cbranch_execz .LBB268_2338
; %bb.2333:                             ;   in Loop: Header=BB268_1574 Depth=1
	s_mov_b32 s10, s8
	v_and_b32_e32 v8, 0xffff, v7
	v_dual_mov_b32 v4, s10 :: v_dual_mov_b32 v5, s11
	s_mov_b32 s10, exec_lo
	s_delay_alu instid0(VALU_DEP_2) | instskip(NEXT) | instid1(VALU_DEP_1)
	v_and_b32_e32 v7, 0x7f, v8
	v_cmpx_ne_u32_e32 0x7f, v7
	s_cbranch_execz .LBB268_2337
; %bb.2334:                             ;   in Loop: Header=BB268_1574 Depth=1
	v_and_b32_e32 v8, 7, v8
	v_lshrrev_b32_e32 v4, 3, v7
	s_mov_b32 s17, exec_lo
	v_cmpx_gt_u32_e32 8, v7
; %bb.2335:                             ;   in Loop: Header=BB268_1574 Depth=1
	s_delay_alu instid0(VALU_DEP_3) | instskip(NEXT) | instid1(VALU_DEP_1)
	v_clz_i32_u32_e32 v4, v8
	v_min_u32_e32 v4, 32, v4
	s_delay_alu instid0(VALU_DEP_1) | instskip(SKIP_1) | instid1(VALU_DEP_2)
	v_subrev_nc_u32_e32 v5, 28, v4
	v_sub_nc_u32_e32 v4, 29, v4
	v_lshlrev_b64 v[7:8], v5, v[8:9]
	s_delay_alu instid0(VALU_DEP_1)
	v_and_b32_e32 v8, 7, v7
; %bb.2336:                             ;   in Loop: Header=BB268_1574 Depth=1
	s_or_b32 exec_lo, exec_lo, s17
	v_lshlrev_b32_e32 v5, 16, v6
	s_delay_alu instid0(VALU_DEP_2) | instskip(SKIP_1) | instid1(VALU_DEP_3)
	v_lshlrev_b32_e32 v7, 20, v8
	v_lshl_add_u32 v4, v4, 23, 0x3c000000
	v_and_b32_e32 v5, 0x80000000, v5
	s_delay_alu instid0(VALU_DEP_1)
	v_or3_b32 v5, v7, v5, v4
	v_mov_b32_e32 v4, v9
.LBB268_2337:                           ;   in Loop: Header=BB268_1574 Depth=1
	s_or_b32 exec_lo, exec_lo, s10
.LBB268_2338:                           ;   in Loop: Header=BB268_1574 Depth=1
	s_delay_alu instid0(SALU_CYCLE_1)
	s_or_b32 exec_lo, exec_lo, s16
.LBB268_2339:                           ;   in Loop: Header=BB268_1574 Depth=1
	s_delay_alu instid0(SALU_CYCLE_1) | instskip(SKIP_4) | instid1(VALU_DEP_1)
	s_or_b32 exec_lo, exec_lo, s15
	v_mov_b32_e32 v18, 0
	v_lshrrev_b32_e32 v7, 16, v6
	v_mov_b32_e32 v19, 0
	s_mov_b32 s10, exec_lo
	v_dual_mov_b32 v21, v19 :: v_dual_and_b32 v8, 0xff, v7
	v_mov_b32_e32 v20, v18
	s_delay_alu instid0(VALU_DEP_2)
	v_cmpx_ne_u16_e32 0, v8
	s_cbranch_execz .LBB268_2347
; %bb.2340:                             ;   in Loop: Header=BB268_1574 Depth=1
	v_bfrev_b32_e32 v20, 1
	v_mov_b32_e32 v21, 0
	s_mov_b32 s15, exec_lo
	v_cmpx_ne_u16_e32 0x80, v8
	s_cbranch_execz .LBB268_2346
; %bb.2341:                             ;   in Loop: Header=BB268_1574 Depth=1
	v_mov_b32_e32 v20, 0x7f800001
	v_bfe_u32 v22, v6, 16, 7
	v_mov_b32_e32 v21, 0
	s_mov_b32 s16, exec_lo
	s_delay_alu instid0(VALU_DEP_2)
	v_cmpx_ne_u32_e32 0x7f, v22
	s_cbranch_execz .LBB268_2345
; %bb.2342:                             ;   in Loop: Header=BB268_1574 Depth=1
	v_and_b32_e32 v8, 7, v7
	v_lshrrev_b32_e32 v20, 3, v22
	s_mov_b32 s17, exec_lo
	v_cmpx_gt_u32_e32 8, v22
; %bb.2343:                             ;   in Loop: Header=BB268_1574 Depth=1
	s_delay_alu instid0(VALU_DEP_3) | instskip(NEXT) | instid1(VALU_DEP_1)
	v_clz_i32_u32_e32 v20, v8
	v_min_u32_e32 v20, 32, v20
	s_delay_alu instid0(VALU_DEP_1) | instskip(SKIP_1) | instid1(VALU_DEP_2)
	v_subrev_nc_u32_e32 v21, 28, v20
	v_sub_nc_u32_e32 v20, 29, v20
	v_lshlrev_b64 v[21:22], v21, v[8:9]
	s_delay_alu instid0(VALU_DEP_1)
	v_and_b32_e32 v8, 7, v21
; %bb.2344:                             ;   in Loop: Header=BB268_1574 Depth=1
	s_or_b32 exec_lo, exec_lo, s17
	v_lshlrev_b32_e32 v7, 24, v7
	s_delay_alu instid0(VALU_DEP_2) | instskip(SKIP_1) | instid1(VALU_DEP_3)
	v_lshlrev_b32_e32 v8, 20, v8
	v_lshl_add_u32 v20, v20, 23, 0x3c000000
	v_and_b32_e32 v7, 0x80000000, v7
	s_delay_alu instid0(VALU_DEP_1) | instskip(NEXT) | instid1(VALU_DEP_1)
	v_or3_b32 v8, v8, v7, v20
	v_dual_mov_b32 v21, v9 :: v_dual_mov_b32 v20, v8
.LBB268_2345:                           ;   in Loop: Header=BB268_1574 Depth=1
	s_or_b32 exec_lo, exec_lo, s16
.LBB268_2346:                           ;   in Loop: Header=BB268_1574 Depth=1
	s_delay_alu instid0(SALU_CYCLE_1)
	s_or_b32 exec_lo, exec_lo, s15
.LBB268_2347:                           ;   in Loop: Header=BB268_1574 Depth=1
	s_delay_alu instid0(SALU_CYCLE_1) | instskip(NEXT) | instid1(SALU_CYCLE_1)
	s_or_b32 exec_lo, exec_lo, s10
	s_mov_b32 s15, exec_lo
	v_cmpx_lt_u32_e32 0xffffff, v6
	s_cbranch_execz .LBB268_2355
; %bb.2348:                             ;   in Loop: Header=BB268_1574 Depth=1
	v_lshrrev_b32_e32 v7, 24, v6
	v_dual_mov_b32 v19, s9 :: v_dual_mov_b32 v18, s8
	s_mov_b32 s16, exec_lo
	s_delay_alu instid0(VALU_DEP_2)
	v_cmpx_ne_u32_e32 0x80, v7
	s_cbranch_execz .LBB268_2354
; %bb.2349:                             ;   in Loop: Header=BB268_1574 Depth=1
	s_mov_b32 s10, s8
	v_bfe_u32 v22, v6, 24, 7
	v_dual_mov_b32 v19, s11 :: v_dual_mov_b32 v18, s10
	s_mov_b32 s10, exec_lo
	s_delay_alu instid0(VALU_DEP_2)
	v_cmpx_ne_u32_e32 0x7f, v22
	s_cbranch_execz .LBB268_2353
; %bb.2350:                             ;   in Loop: Header=BB268_1574 Depth=1
	v_and_b32_e32 v8, 7, v7
	v_lshrrev_b32_e32 v6, 3, v22
	s_mov_b32 s17, exec_lo
	v_cmpx_gt_u32_e32 8, v22
; %bb.2351:                             ;   in Loop: Header=BB268_1574 Depth=1
	s_delay_alu instid0(VALU_DEP_3) | instskip(NEXT) | instid1(VALU_DEP_1)
	v_clz_i32_u32_e32 v6, v8
	v_min_u32_e32 v6, 32, v6
	s_delay_alu instid0(VALU_DEP_1) | instskip(SKIP_1) | instid1(VALU_DEP_2)
	v_subrev_nc_u32_e32 v18, 28, v6
	v_sub_nc_u32_e32 v6, 29, v6
	v_lshlrev_b64 v[18:19], v18, v[8:9]
	s_delay_alu instid0(VALU_DEP_1)
	v_and_b32_e32 v8, 7, v18
; %bb.2352:                             ;   in Loop: Header=BB268_1574 Depth=1
	s_or_b32 exec_lo, exec_lo, s17
	v_dual_mov_b32 v18, v9 :: v_dual_lshlrev_b32 v7, 24, v7
	s_delay_alu instid0(VALU_DEP_2) | instskip(SKIP_1) | instid1(VALU_DEP_3)
	v_lshlrev_b32_e32 v8, 20, v8
	v_lshl_add_u32 v6, v6, 23, 0x3c000000
	v_and_b32_e32 v7, 0x80000000, v7
	s_delay_alu instid0(VALU_DEP_1)
	v_or3_b32 v19, v8, v7, v6
.LBB268_2353:                           ;   in Loop: Header=BB268_1574 Depth=1
	s_or_b32 exec_lo, exec_lo, s10
.LBB268_2354:                           ;   in Loop: Header=BB268_1574 Depth=1
	s_delay_alu instid0(SALU_CYCLE_1)
	s_or_b32 exec_lo, exec_lo, s16
.LBB268_2355:                           ;   in Loop: Header=BB268_1574 Depth=1
	s_delay_alu instid0(SALU_CYCLE_1) | instskip(SKIP_4) | instid1(VALU_DEP_4)
	s_or_b32 exec_lo, exec_lo, s15
	v_or_b32_e32 v5, v5, v17
	v_or_b32_e32 v4, v4, v16
	;; [unrolled: 1-line block ×4, first 2 shown]
	v_mul_f32_e32 v118, v167, v5
	s_delay_alu instid0(VALU_DEP_4) | instskip(NEXT) | instid1(VALU_DEP_4)
	v_mul_f32_e32 v117, v167, v4
	v_mul_f32_e32 v191, v167, v6
	s_delay_alu instid0(VALU_DEP_4)
	v_mul_f32_e32 v25, v167, v7
	s_and_saveexec_b32 s10, vcc_lo
; %bb.2356:                             ;   in Loop: Header=BB268_1574 Depth=1
	v_cmp_lt_i32_e64 s0, v180, v35
	s_delay_alu instid0(VALU_DEP_1) | instskip(SKIP_1) | instid1(VALU_DEP_1)
	v_cndmask_b32_e64 v117, 0, v117, s0
	v_cmp_lt_i32_e64 s0, v183, v35
	v_cndmask_b32_e64 v118, 0, v118, s0
	v_cmp_lt_i32_e64 s0, v182, v35
	s_delay_alu instid0(VALU_DEP_1) | instskip(SKIP_1) | instid1(VALU_DEP_1)
	v_cndmask_b32_e64 v25, 0, v25, s0
	v_cmp_lt_i32_e64 s0, v181, v35
	v_cndmask_b32_e64 v191, 0, v191, s0
; %bb.2357:                             ;   in Loop: Header=BB268_1574 Depth=1
	s_or_b32 exec_lo, exec_lo, s10
	flat_load_b32 v6, v[14:15] offset:2944
	v_mov_b32_e32 v4, 0
	v_mov_b32_e32 v5, 0
	s_mov_b32 s10, exec_lo
	s_delay_alu instid0(VALU_DEP_1) | instskip(SKIP_2) | instid1(VALU_DEP_1)
	v_dual_mov_b32 v17, v5 :: v_dual_mov_b32 v16, v4
	s_waitcnt vmcnt(0) lgkmcnt(0)
	v_and_b32_e32 v7, 0xff, v6
	v_cmpx_ne_u16_e32 0, v7
	s_cbranch_execz .LBB268_2365
; %bb.2358:                             ;   in Loop: Header=BB268_1574 Depth=1
	v_bfrev_b32_e32 v16, 1
	v_mov_b32_e32 v17, 0
	s_mov_b32 s15, exec_lo
	v_cmpx_ne_u16_e32 0x80, v7
	s_cbranch_execz .LBB268_2364
; %bb.2359:                             ;   in Loop: Header=BB268_1574 Depth=1
	v_mov_b32_e32 v16, 0x7f800001
	v_dual_mov_b32 v17, 0 :: v_dual_and_b32 v18, 0x7f, v6
	s_mov_b32 s16, exec_lo
	s_delay_alu instid0(VALU_DEP_1)
	v_cmpx_ne_u32_e32 0x7f, v18
	s_cbranch_execz .LBB268_2363
; %bb.2360:                             ;   in Loop: Header=BB268_1574 Depth=1
	v_and_b32_e32 v8, 7, v6
	v_lshrrev_b32_e32 v7, 3, v18
	s_mov_b32 s17, exec_lo
	v_cmpx_gt_u32_e32 8, v18
; %bb.2361:                             ;   in Loop: Header=BB268_1574 Depth=1
	s_delay_alu instid0(VALU_DEP_3) | instskip(NEXT) | instid1(VALU_DEP_1)
	v_clz_i32_u32_e32 v7, v8
	v_min_u32_e32 v7, 32, v7
	s_delay_alu instid0(VALU_DEP_1) | instskip(SKIP_1) | instid1(VALU_DEP_2)
	v_subrev_nc_u32_e32 v16, 28, v7
	v_sub_nc_u32_e32 v7, 29, v7
	v_lshlrev_b64 v[16:17], v16, v[8:9]
	s_delay_alu instid0(VALU_DEP_1)
	v_and_b32_e32 v8, 7, v16
; %bb.2362:                             ;   in Loop: Header=BB268_1574 Depth=1
	s_or_b32 exec_lo, exec_lo, s17
	v_lshlrev_b32_e32 v16, 24, v6
	s_delay_alu instid0(VALU_DEP_2) | instskip(SKIP_1) | instid1(VALU_DEP_3)
	v_lshlrev_b32_e32 v8, 20, v8
	v_lshl_add_u32 v7, v7, 23, 0x3c000000
	v_and_b32_e32 v16, 0x80000000, v16
	s_delay_alu instid0(VALU_DEP_1) | instskip(NEXT) | instid1(VALU_DEP_1)
	v_or3_b32 v8, v8, v16, v7
	v_dual_mov_b32 v17, v9 :: v_dual_mov_b32 v16, v8
.LBB268_2363:                           ;   in Loop: Header=BB268_1574 Depth=1
	s_or_b32 exec_lo, exec_lo, s16
.LBB268_2364:                           ;   in Loop: Header=BB268_1574 Depth=1
	s_delay_alu instid0(SALU_CYCLE_1)
	s_or_b32 exec_lo, exec_lo, s15
.LBB268_2365:                           ;   in Loop: Header=BB268_1574 Depth=1
	s_delay_alu instid0(SALU_CYCLE_1) | instskip(SKIP_2) | instid1(VALU_DEP_1)
	s_or_b32 exec_lo, exec_lo, s10
	v_lshrrev_b16 v7, 8, v6
	s_mov_b32 s15, exec_lo
	v_cmpx_ne_u16_e32 0, v7
	s_cbranch_execz .LBB268_2373
; %bb.2366:                             ;   in Loop: Header=BB268_1574 Depth=1
	v_dual_mov_b32 v4, s8 :: v_dual_mov_b32 v5, s9
	s_mov_b32 s16, exec_lo
	v_cmpx_ne_u16_e32 0x80, v7
	s_cbranch_execz .LBB268_2372
; %bb.2367:                             ;   in Loop: Header=BB268_1574 Depth=1
	s_mov_b32 s10, s8
	v_and_b32_e32 v8, 0xffff, v7
	v_dual_mov_b32 v4, s10 :: v_dual_mov_b32 v5, s11
	s_mov_b32 s10, exec_lo
	s_delay_alu instid0(VALU_DEP_2) | instskip(NEXT) | instid1(VALU_DEP_1)
	v_and_b32_e32 v7, 0x7f, v8
	v_cmpx_ne_u32_e32 0x7f, v7
	s_cbranch_execz .LBB268_2371
; %bb.2368:                             ;   in Loop: Header=BB268_1574 Depth=1
	v_and_b32_e32 v8, 7, v8
	v_lshrrev_b32_e32 v4, 3, v7
	s_mov_b32 s17, exec_lo
	v_cmpx_gt_u32_e32 8, v7
; %bb.2369:                             ;   in Loop: Header=BB268_1574 Depth=1
	s_delay_alu instid0(VALU_DEP_3) | instskip(NEXT) | instid1(VALU_DEP_1)
	v_clz_i32_u32_e32 v4, v8
	v_min_u32_e32 v4, 32, v4
	s_delay_alu instid0(VALU_DEP_1) | instskip(SKIP_1) | instid1(VALU_DEP_2)
	v_subrev_nc_u32_e32 v5, 28, v4
	v_sub_nc_u32_e32 v4, 29, v4
	v_lshlrev_b64 v[7:8], v5, v[8:9]
	s_delay_alu instid0(VALU_DEP_1)
	v_and_b32_e32 v8, 7, v7
; %bb.2370:                             ;   in Loop: Header=BB268_1574 Depth=1
	s_or_b32 exec_lo, exec_lo, s17
	v_lshlrev_b32_e32 v5, 16, v6
	s_delay_alu instid0(VALU_DEP_2) | instskip(SKIP_1) | instid1(VALU_DEP_3)
	v_lshlrev_b32_e32 v7, 20, v8
	v_lshl_add_u32 v4, v4, 23, 0x3c000000
	v_and_b32_e32 v5, 0x80000000, v5
	s_delay_alu instid0(VALU_DEP_1)
	v_or3_b32 v5, v7, v5, v4
	v_mov_b32_e32 v4, v9
.LBB268_2371:                           ;   in Loop: Header=BB268_1574 Depth=1
	s_or_b32 exec_lo, exec_lo, s10
.LBB268_2372:                           ;   in Loop: Header=BB268_1574 Depth=1
	s_delay_alu instid0(SALU_CYCLE_1)
	s_or_b32 exec_lo, exec_lo, s16
.LBB268_2373:                           ;   in Loop: Header=BB268_1574 Depth=1
	s_delay_alu instid0(SALU_CYCLE_1) | instskip(SKIP_4) | instid1(VALU_DEP_1)
	s_or_b32 exec_lo, exec_lo, s15
	v_mov_b32_e32 v18, 0
	v_lshrrev_b32_e32 v7, 16, v6
	v_mov_b32_e32 v19, 0
	s_mov_b32 s10, exec_lo
	v_dual_mov_b32 v21, v19 :: v_dual_and_b32 v8, 0xff, v7
	v_mov_b32_e32 v20, v18
	s_delay_alu instid0(VALU_DEP_2)
	v_cmpx_ne_u16_e32 0, v8
	s_cbranch_execz .LBB268_2381
; %bb.2374:                             ;   in Loop: Header=BB268_1574 Depth=1
	v_bfrev_b32_e32 v20, 1
	v_mov_b32_e32 v21, 0
	s_mov_b32 s15, exec_lo
	v_cmpx_ne_u16_e32 0x80, v8
	s_cbranch_execz .LBB268_2380
; %bb.2375:                             ;   in Loop: Header=BB268_1574 Depth=1
	v_mov_b32_e32 v20, 0x7f800001
	v_bfe_u32 v22, v6, 16, 7
	v_mov_b32_e32 v21, 0
	s_mov_b32 s16, exec_lo
	s_delay_alu instid0(VALU_DEP_2)
	v_cmpx_ne_u32_e32 0x7f, v22
	s_cbranch_execz .LBB268_2379
; %bb.2376:                             ;   in Loop: Header=BB268_1574 Depth=1
	v_and_b32_e32 v8, 7, v7
	v_lshrrev_b32_e32 v20, 3, v22
	s_mov_b32 s17, exec_lo
	v_cmpx_gt_u32_e32 8, v22
; %bb.2377:                             ;   in Loop: Header=BB268_1574 Depth=1
	s_delay_alu instid0(VALU_DEP_3) | instskip(NEXT) | instid1(VALU_DEP_1)
	v_clz_i32_u32_e32 v20, v8
	v_min_u32_e32 v20, 32, v20
	s_delay_alu instid0(VALU_DEP_1) | instskip(SKIP_1) | instid1(VALU_DEP_2)
	v_subrev_nc_u32_e32 v21, 28, v20
	v_sub_nc_u32_e32 v20, 29, v20
	v_lshlrev_b64 v[21:22], v21, v[8:9]
	s_delay_alu instid0(VALU_DEP_1)
	v_and_b32_e32 v8, 7, v21
; %bb.2378:                             ;   in Loop: Header=BB268_1574 Depth=1
	s_or_b32 exec_lo, exec_lo, s17
	v_lshlrev_b32_e32 v7, 24, v7
	s_delay_alu instid0(VALU_DEP_2) | instskip(SKIP_1) | instid1(VALU_DEP_3)
	v_lshlrev_b32_e32 v8, 20, v8
	v_lshl_add_u32 v20, v20, 23, 0x3c000000
	v_and_b32_e32 v7, 0x80000000, v7
	s_delay_alu instid0(VALU_DEP_1) | instskip(NEXT) | instid1(VALU_DEP_1)
	v_or3_b32 v8, v8, v7, v20
	v_dual_mov_b32 v21, v9 :: v_dual_mov_b32 v20, v8
.LBB268_2379:                           ;   in Loop: Header=BB268_1574 Depth=1
	s_or_b32 exec_lo, exec_lo, s16
.LBB268_2380:                           ;   in Loop: Header=BB268_1574 Depth=1
	s_delay_alu instid0(SALU_CYCLE_1)
	s_or_b32 exec_lo, exec_lo, s15
.LBB268_2381:                           ;   in Loop: Header=BB268_1574 Depth=1
	s_delay_alu instid0(SALU_CYCLE_1) | instskip(NEXT) | instid1(SALU_CYCLE_1)
	s_or_b32 exec_lo, exec_lo, s10
	s_mov_b32 s15, exec_lo
	v_cmpx_lt_u32_e32 0xffffff, v6
	s_cbranch_execz .LBB268_2389
; %bb.2382:                             ;   in Loop: Header=BB268_1574 Depth=1
	v_lshrrev_b32_e32 v7, 24, v6
	v_dual_mov_b32 v19, s9 :: v_dual_mov_b32 v18, s8
	s_mov_b32 s16, exec_lo
	s_delay_alu instid0(VALU_DEP_2)
	v_cmpx_ne_u32_e32 0x80, v7
	s_cbranch_execz .LBB268_2388
; %bb.2383:                             ;   in Loop: Header=BB268_1574 Depth=1
	s_mov_b32 s10, s8
	v_bfe_u32 v22, v6, 24, 7
	v_dual_mov_b32 v19, s11 :: v_dual_mov_b32 v18, s10
	s_mov_b32 s10, exec_lo
	s_delay_alu instid0(VALU_DEP_2)
	v_cmpx_ne_u32_e32 0x7f, v22
	s_cbranch_execz .LBB268_2387
; %bb.2384:                             ;   in Loop: Header=BB268_1574 Depth=1
	v_and_b32_e32 v8, 7, v7
	v_lshrrev_b32_e32 v6, 3, v22
	s_mov_b32 s17, exec_lo
	v_cmpx_gt_u32_e32 8, v22
; %bb.2385:                             ;   in Loop: Header=BB268_1574 Depth=1
	s_delay_alu instid0(VALU_DEP_3) | instskip(NEXT) | instid1(VALU_DEP_1)
	v_clz_i32_u32_e32 v6, v8
	v_min_u32_e32 v6, 32, v6
	s_delay_alu instid0(VALU_DEP_1) | instskip(SKIP_1) | instid1(VALU_DEP_2)
	v_subrev_nc_u32_e32 v18, 28, v6
	v_sub_nc_u32_e32 v6, 29, v6
	v_lshlrev_b64 v[18:19], v18, v[8:9]
	s_delay_alu instid0(VALU_DEP_1)
	v_and_b32_e32 v8, 7, v18
; %bb.2386:                             ;   in Loop: Header=BB268_1574 Depth=1
	s_or_b32 exec_lo, exec_lo, s17
	v_dual_mov_b32 v18, v9 :: v_dual_lshlrev_b32 v7, 24, v7
	s_delay_alu instid0(VALU_DEP_2) | instskip(SKIP_1) | instid1(VALU_DEP_3)
	v_lshlrev_b32_e32 v8, 20, v8
	v_lshl_add_u32 v6, v6, 23, 0x3c000000
	v_and_b32_e32 v7, 0x80000000, v7
	s_delay_alu instid0(VALU_DEP_1)
	v_or3_b32 v19, v8, v7, v6
.LBB268_2387:                           ;   in Loop: Header=BB268_1574 Depth=1
	s_or_b32 exec_lo, exec_lo, s10
.LBB268_2388:                           ;   in Loop: Header=BB268_1574 Depth=1
	s_delay_alu instid0(SALU_CYCLE_1)
	s_or_b32 exec_lo, exec_lo, s16
.LBB268_2389:                           ;   in Loop: Header=BB268_1574 Depth=1
	s_delay_alu instid0(SALU_CYCLE_1) | instskip(SKIP_4) | instid1(VALU_DEP_4)
	s_or_b32 exec_lo, exec_lo, s15
	v_or_b32_e32 v5, v5, v17
	v_or_b32_e32 v4, v4, v16
	;; [unrolled: 1-line block ×4, first 2 shown]
	v_mul_f32_e32 v131, v167, v5
	s_delay_alu instid0(VALU_DEP_4) | instskip(NEXT) | instid1(VALU_DEP_4)
	v_mul_f32_e32 v130, v167, v4
	v_mul_f32_e32 v128, v167, v6
	s_delay_alu instid0(VALU_DEP_4)
	v_mul_f32_e32 v129, v167, v7
	s_and_saveexec_b32 s10, vcc_lo
; %bb.2390:                             ;   in Loop: Header=BB268_1574 Depth=1
	v_cmp_lt_i32_e64 s0, v180, v35
	s_delay_alu instid0(VALU_DEP_1) | instskip(SKIP_1) | instid1(VALU_DEP_1)
	v_cndmask_b32_e64 v130, 0, v130, s0
	v_cmp_lt_i32_e64 s0, v183, v35
	v_cndmask_b32_e64 v131, 0, v131, s0
	v_cmp_lt_i32_e64 s0, v182, v35
	s_delay_alu instid0(VALU_DEP_1) | instskip(SKIP_1) | instid1(VALU_DEP_1)
	v_cndmask_b32_e64 v129, 0, v129, s0
	v_cmp_lt_i32_e64 s0, v181, v35
	v_cndmask_b32_e64 v128, 0, v128, s0
; %bb.2391:                             ;   in Loop: Header=BB268_1574 Depth=1
	s_or_b32 exec_lo, exec_lo, s10
	flat_load_b32 v6, v[14:15] offset:3072
	v_mov_b32_e32 v4, 0
	v_mov_b32_e32 v5, 0
	s_mov_b32 s10, exec_lo
	s_delay_alu instid0(VALU_DEP_1) | instskip(SKIP_2) | instid1(VALU_DEP_1)
	v_dual_mov_b32 v17, v5 :: v_dual_mov_b32 v16, v4
	s_waitcnt vmcnt(0) lgkmcnt(0)
	v_and_b32_e32 v7, 0xff, v6
	v_cmpx_ne_u16_e32 0, v7
	s_cbranch_execz .LBB268_2399
; %bb.2392:                             ;   in Loop: Header=BB268_1574 Depth=1
	v_bfrev_b32_e32 v16, 1
	v_mov_b32_e32 v17, 0
	s_mov_b32 s15, exec_lo
	v_cmpx_ne_u16_e32 0x80, v7
	s_cbranch_execz .LBB268_2398
; %bb.2393:                             ;   in Loop: Header=BB268_1574 Depth=1
	v_mov_b32_e32 v16, 0x7f800001
	v_dual_mov_b32 v17, 0 :: v_dual_and_b32 v18, 0x7f, v6
	s_mov_b32 s16, exec_lo
	s_delay_alu instid0(VALU_DEP_1)
	v_cmpx_ne_u32_e32 0x7f, v18
	s_cbranch_execz .LBB268_2397
; %bb.2394:                             ;   in Loop: Header=BB268_1574 Depth=1
	v_and_b32_e32 v8, 7, v6
	v_lshrrev_b32_e32 v7, 3, v18
	s_mov_b32 s17, exec_lo
	v_cmpx_gt_u32_e32 8, v18
; %bb.2395:                             ;   in Loop: Header=BB268_1574 Depth=1
	s_delay_alu instid0(VALU_DEP_3) | instskip(NEXT) | instid1(VALU_DEP_1)
	v_clz_i32_u32_e32 v7, v8
	v_min_u32_e32 v7, 32, v7
	s_delay_alu instid0(VALU_DEP_1) | instskip(SKIP_1) | instid1(VALU_DEP_2)
	v_subrev_nc_u32_e32 v16, 28, v7
	v_sub_nc_u32_e32 v7, 29, v7
	v_lshlrev_b64 v[16:17], v16, v[8:9]
	s_delay_alu instid0(VALU_DEP_1)
	v_and_b32_e32 v8, 7, v16
; %bb.2396:                             ;   in Loop: Header=BB268_1574 Depth=1
	s_or_b32 exec_lo, exec_lo, s17
	v_lshlrev_b32_e32 v16, 24, v6
	s_delay_alu instid0(VALU_DEP_2) | instskip(SKIP_1) | instid1(VALU_DEP_3)
	v_lshlrev_b32_e32 v8, 20, v8
	v_lshl_add_u32 v7, v7, 23, 0x3c000000
	v_and_b32_e32 v16, 0x80000000, v16
	s_delay_alu instid0(VALU_DEP_1) | instskip(NEXT) | instid1(VALU_DEP_1)
	v_or3_b32 v8, v8, v16, v7
	v_dual_mov_b32 v17, v9 :: v_dual_mov_b32 v16, v8
.LBB268_2397:                           ;   in Loop: Header=BB268_1574 Depth=1
	s_or_b32 exec_lo, exec_lo, s16
.LBB268_2398:                           ;   in Loop: Header=BB268_1574 Depth=1
	s_delay_alu instid0(SALU_CYCLE_1)
	s_or_b32 exec_lo, exec_lo, s15
.LBB268_2399:                           ;   in Loop: Header=BB268_1574 Depth=1
	s_delay_alu instid0(SALU_CYCLE_1) | instskip(SKIP_2) | instid1(VALU_DEP_1)
	s_or_b32 exec_lo, exec_lo, s10
	v_lshrrev_b16 v7, 8, v6
	s_mov_b32 s15, exec_lo
	v_cmpx_ne_u16_e32 0, v7
	s_cbranch_execz .LBB268_2407
; %bb.2400:                             ;   in Loop: Header=BB268_1574 Depth=1
	v_dual_mov_b32 v4, s8 :: v_dual_mov_b32 v5, s9
	s_mov_b32 s16, exec_lo
	v_cmpx_ne_u16_e32 0x80, v7
	s_cbranch_execz .LBB268_2406
; %bb.2401:                             ;   in Loop: Header=BB268_1574 Depth=1
	s_mov_b32 s10, s8
	v_and_b32_e32 v8, 0xffff, v7
	v_dual_mov_b32 v4, s10 :: v_dual_mov_b32 v5, s11
	s_mov_b32 s10, exec_lo
	s_delay_alu instid0(VALU_DEP_2) | instskip(NEXT) | instid1(VALU_DEP_1)
	v_and_b32_e32 v7, 0x7f, v8
	v_cmpx_ne_u32_e32 0x7f, v7
	s_cbranch_execz .LBB268_2405
; %bb.2402:                             ;   in Loop: Header=BB268_1574 Depth=1
	v_and_b32_e32 v8, 7, v8
	v_lshrrev_b32_e32 v4, 3, v7
	s_mov_b32 s17, exec_lo
	v_cmpx_gt_u32_e32 8, v7
; %bb.2403:                             ;   in Loop: Header=BB268_1574 Depth=1
	s_delay_alu instid0(VALU_DEP_3) | instskip(NEXT) | instid1(VALU_DEP_1)
	v_clz_i32_u32_e32 v4, v8
	v_min_u32_e32 v4, 32, v4
	s_delay_alu instid0(VALU_DEP_1) | instskip(SKIP_1) | instid1(VALU_DEP_2)
	v_subrev_nc_u32_e32 v5, 28, v4
	v_sub_nc_u32_e32 v4, 29, v4
	v_lshlrev_b64 v[7:8], v5, v[8:9]
	s_delay_alu instid0(VALU_DEP_1)
	v_and_b32_e32 v8, 7, v7
; %bb.2404:                             ;   in Loop: Header=BB268_1574 Depth=1
	s_or_b32 exec_lo, exec_lo, s17
	v_lshlrev_b32_e32 v5, 16, v6
	s_delay_alu instid0(VALU_DEP_2) | instskip(SKIP_1) | instid1(VALU_DEP_3)
	v_lshlrev_b32_e32 v7, 20, v8
	v_lshl_add_u32 v4, v4, 23, 0x3c000000
	v_and_b32_e32 v5, 0x80000000, v5
	s_delay_alu instid0(VALU_DEP_1)
	v_or3_b32 v5, v7, v5, v4
	v_mov_b32_e32 v4, v9
.LBB268_2405:                           ;   in Loop: Header=BB268_1574 Depth=1
	s_or_b32 exec_lo, exec_lo, s10
.LBB268_2406:                           ;   in Loop: Header=BB268_1574 Depth=1
	s_delay_alu instid0(SALU_CYCLE_1)
	s_or_b32 exec_lo, exec_lo, s16
.LBB268_2407:                           ;   in Loop: Header=BB268_1574 Depth=1
	s_delay_alu instid0(SALU_CYCLE_1) | instskip(SKIP_4) | instid1(VALU_DEP_1)
	s_or_b32 exec_lo, exec_lo, s15
	v_mov_b32_e32 v18, 0
	v_lshrrev_b32_e32 v7, 16, v6
	v_mov_b32_e32 v19, 0
	s_mov_b32 s10, exec_lo
	v_dual_mov_b32 v21, v19 :: v_dual_and_b32 v8, 0xff, v7
	v_mov_b32_e32 v20, v18
	s_delay_alu instid0(VALU_DEP_2)
	v_cmpx_ne_u16_e32 0, v8
	s_cbranch_execz .LBB268_2415
; %bb.2408:                             ;   in Loop: Header=BB268_1574 Depth=1
	v_bfrev_b32_e32 v20, 1
	v_mov_b32_e32 v21, 0
	s_mov_b32 s15, exec_lo
	v_cmpx_ne_u16_e32 0x80, v8
	s_cbranch_execz .LBB268_2414
; %bb.2409:                             ;   in Loop: Header=BB268_1574 Depth=1
	v_mov_b32_e32 v20, 0x7f800001
	v_bfe_u32 v22, v6, 16, 7
	v_mov_b32_e32 v21, 0
	s_mov_b32 s16, exec_lo
	s_delay_alu instid0(VALU_DEP_2)
	v_cmpx_ne_u32_e32 0x7f, v22
	s_cbranch_execz .LBB268_2413
; %bb.2410:                             ;   in Loop: Header=BB268_1574 Depth=1
	v_and_b32_e32 v8, 7, v7
	v_lshrrev_b32_e32 v20, 3, v22
	s_mov_b32 s17, exec_lo
	v_cmpx_gt_u32_e32 8, v22
; %bb.2411:                             ;   in Loop: Header=BB268_1574 Depth=1
	s_delay_alu instid0(VALU_DEP_3) | instskip(NEXT) | instid1(VALU_DEP_1)
	v_clz_i32_u32_e32 v20, v8
	v_min_u32_e32 v20, 32, v20
	s_delay_alu instid0(VALU_DEP_1) | instskip(SKIP_1) | instid1(VALU_DEP_2)
	v_subrev_nc_u32_e32 v21, 28, v20
	v_sub_nc_u32_e32 v20, 29, v20
	v_lshlrev_b64 v[21:22], v21, v[8:9]
	s_delay_alu instid0(VALU_DEP_1)
	v_and_b32_e32 v8, 7, v21
; %bb.2412:                             ;   in Loop: Header=BB268_1574 Depth=1
	s_or_b32 exec_lo, exec_lo, s17
	v_lshlrev_b32_e32 v7, 24, v7
	s_delay_alu instid0(VALU_DEP_2) | instskip(SKIP_1) | instid1(VALU_DEP_3)
	v_lshlrev_b32_e32 v8, 20, v8
	v_lshl_add_u32 v20, v20, 23, 0x3c000000
	v_and_b32_e32 v7, 0x80000000, v7
	s_delay_alu instid0(VALU_DEP_1) | instskip(NEXT) | instid1(VALU_DEP_1)
	v_or3_b32 v8, v8, v7, v20
	v_dual_mov_b32 v21, v9 :: v_dual_mov_b32 v20, v8
.LBB268_2413:                           ;   in Loop: Header=BB268_1574 Depth=1
	s_or_b32 exec_lo, exec_lo, s16
.LBB268_2414:                           ;   in Loop: Header=BB268_1574 Depth=1
	s_delay_alu instid0(SALU_CYCLE_1)
	s_or_b32 exec_lo, exec_lo, s15
.LBB268_2415:                           ;   in Loop: Header=BB268_1574 Depth=1
	s_delay_alu instid0(SALU_CYCLE_1) | instskip(NEXT) | instid1(SALU_CYCLE_1)
	s_or_b32 exec_lo, exec_lo, s10
	s_mov_b32 s15, exec_lo
	v_cmpx_lt_u32_e32 0xffffff, v6
	s_cbranch_execz .LBB268_2423
; %bb.2416:                             ;   in Loop: Header=BB268_1574 Depth=1
	v_lshrrev_b32_e32 v7, 24, v6
	v_dual_mov_b32 v19, s9 :: v_dual_mov_b32 v18, s8
	s_mov_b32 s16, exec_lo
	s_delay_alu instid0(VALU_DEP_2)
	v_cmpx_ne_u32_e32 0x80, v7
	s_cbranch_execz .LBB268_2422
; %bb.2417:                             ;   in Loop: Header=BB268_1574 Depth=1
	s_mov_b32 s10, s8
	v_bfe_u32 v22, v6, 24, 7
	v_dual_mov_b32 v19, s11 :: v_dual_mov_b32 v18, s10
	s_mov_b32 s10, exec_lo
	s_delay_alu instid0(VALU_DEP_2)
	v_cmpx_ne_u32_e32 0x7f, v22
	s_cbranch_execz .LBB268_2421
; %bb.2418:                             ;   in Loop: Header=BB268_1574 Depth=1
	v_and_b32_e32 v8, 7, v7
	v_lshrrev_b32_e32 v6, 3, v22
	s_mov_b32 s17, exec_lo
	v_cmpx_gt_u32_e32 8, v22
; %bb.2419:                             ;   in Loop: Header=BB268_1574 Depth=1
	s_delay_alu instid0(VALU_DEP_3) | instskip(NEXT) | instid1(VALU_DEP_1)
	v_clz_i32_u32_e32 v6, v8
	v_min_u32_e32 v6, 32, v6
	s_delay_alu instid0(VALU_DEP_1) | instskip(SKIP_1) | instid1(VALU_DEP_2)
	v_subrev_nc_u32_e32 v18, 28, v6
	v_sub_nc_u32_e32 v6, 29, v6
	v_lshlrev_b64 v[18:19], v18, v[8:9]
	s_delay_alu instid0(VALU_DEP_1)
	v_and_b32_e32 v8, 7, v18
; %bb.2420:                             ;   in Loop: Header=BB268_1574 Depth=1
	s_or_b32 exec_lo, exec_lo, s17
	v_dual_mov_b32 v18, v9 :: v_dual_lshlrev_b32 v7, 24, v7
	s_delay_alu instid0(VALU_DEP_2) | instskip(SKIP_1) | instid1(VALU_DEP_3)
	v_lshlrev_b32_e32 v8, 20, v8
	v_lshl_add_u32 v6, v6, 23, 0x3c000000
	v_and_b32_e32 v7, 0x80000000, v7
	s_delay_alu instid0(VALU_DEP_1)
	v_or3_b32 v19, v8, v7, v6
.LBB268_2421:                           ;   in Loop: Header=BB268_1574 Depth=1
	s_or_b32 exec_lo, exec_lo, s10
.LBB268_2422:                           ;   in Loop: Header=BB268_1574 Depth=1
	s_delay_alu instid0(SALU_CYCLE_1)
	s_or_b32 exec_lo, exec_lo, s16
.LBB268_2423:                           ;   in Loop: Header=BB268_1574 Depth=1
	s_delay_alu instid0(SALU_CYCLE_1) | instskip(SKIP_4) | instid1(VALU_DEP_4)
	s_or_b32 exec_lo, exec_lo, s15
	v_or_b32_e32 v5, v5, v17
	v_or_b32_e32 v4, v4, v16
	;; [unrolled: 1-line block ×4, first 2 shown]
	v_mul_f32_e32 v135, v167, v5
	s_delay_alu instid0(VALU_DEP_4) | instskip(NEXT) | instid1(VALU_DEP_4)
	v_mul_f32_e32 v134, v167, v4
	v_mul_f32_e32 v132, v167, v6
	s_delay_alu instid0(VALU_DEP_4)
	v_mul_f32_e32 v133, v167, v7
	s_and_saveexec_b32 s10, vcc_lo
; %bb.2424:                             ;   in Loop: Header=BB268_1574 Depth=1
	v_cmp_lt_i32_e64 s0, v180, v35
	s_delay_alu instid0(VALU_DEP_1) | instskip(SKIP_1) | instid1(VALU_DEP_1)
	v_cndmask_b32_e64 v134, 0, v134, s0
	v_cmp_lt_i32_e64 s0, v183, v35
	v_cndmask_b32_e64 v135, 0, v135, s0
	v_cmp_lt_i32_e64 s0, v182, v35
	s_delay_alu instid0(VALU_DEP_1) | instskip(SKIP_1) | instid1(VALU_DEP_1)
	v_cndmask_b32_e64 v133, 0, v133, s0
	v_cmp_lt_i32_e64 s0, v181, v35
	v_cndmask_b32_e64 v132, 0, v132, s0
; %bb.2425:                             ;   in Loop: Header=BB268_1574 Depth=1
	s_or_b32 exec_lo, exec_lo, s10
	flat_load_b32 v6, v[14:15] offset:3200
	v_mov_b32_e32 v4, 0
	v_mov_b32_e32 v5, 0
	s_mov_b32 s10, exec_lo
	s_delay_alu instid0(VALU_DEP_1) | instskip(SKIP_2) | instid1(VALU_DEP_1)
	v_dual_mov_b32 v17, v5 :: v_dual_mov_b32 v16, v4
	s_waitcnt vmcnt(0) lgkmcnt(0)
	v_and_b32_e32 v7, 0xff, v6
	v_cmpx_ne_u16_e32 0, v7
	s_cbranch_execz .LBB268_2433
; %bb.2426:                             ;   in Loop: Header=BB268_1574 Depth=1
	v_bfrev_b32_e32 v16, 1
	v_mov_b32_e32 v17, 0
	s_mov_b32 s15, exec_lo
	v_cmpx_ne_u16_e32 0x80, v7
	s_cbranch_execz .LBB268_2432
; %bb.2427:                             ;   in Loop: Header=BB268_1574 Depth=1
	v_mov_b32_e32 v16, 0x7f800001
	v_dual_mov_b32 v17, 0 :: v_dual_and_b32 v18, 0x7f, v6
	s_mov_b32 s16, exec_lo
	s_delay_alu instid0(VALU_DEP_1)
	v_cmpx_ne_u32_e32 0x7f, v18
	s_cbranch_execz .LBB268_2431
; %bb.2428:                             ;   in Loop: Header=BB268_1574 Depth=1
	v_and_b32_e32 v8, 7, v6
	v_lshrrev_b32_e32 v7, 3, v18
	s_mov_b32 s17, exec_lo
	v_cmpx_gt_u32_e32 8, v18
; %bb.2429:                             ;   in Loop: Header=BB268_1574 Depth=1
	s_delay_alu instid0(VALU_DEP_3) | instskip(NEXT) | instid1(VALU_DEP_1)
	v_clz_i32_u32_e32 v7, v8
	v_min_u32_e32 v7, 32, v7
	s_delay_alu instid0(VALU_DEP_1) | instskip(SKIP_1) | instid1(VALU_DEP_2)
	v_subrev_nc_u32_e32 v16, 28, v7
	v_sub_nc_u32_e32 v7, 29, v7
	v_lshlrev_b64 v[16:17], v16, v[8:9]
	s_delay_alu instid0(VALU_DEP_1)
	v_and_b32_e32 v8, 7, v16
; %bb.2430:                             ;   in Loop: Header=BB268_1574 Depth=1
	s_or_b32 exec_lo, exec_lo, s17
	v_lshlrev_b32_e32 v16, 24, v6
	s_delay_alu instid0(VALU_DEP_2) | instskip(SKIP_1) | instid1(VALU_DEP_3)
	v_lshlrev_b32_e32 v8, 20, v8
	v_lshl_add_u32 v7, v7, 23, 0x3c000000
	v_and_b32_e32 v16, 0x80000000, v16
	s_delay_alu instid0(VALU_DEP_1) | instskip(NEXT) | instid1(VALU_DEP_1)
	v_or3_b32 v8, v8, v16, v7
	v_dual_mov_b32 v17, v9 :: v_dual_mov_b32 v16, v8
.LBB268_2431:                           ;   in Loop: Header=BB268_1574 Depth=1
	s_or_b32 exec_lo, exec_lo, s16
.LBB268_2432:                           ;   in Loop: Header=BB268_1574 Depth=1
	s_delay_alu instid0(SALU_CYCLE_1)
	s_or_b32 exec_lo, exec_lo, s15
.LBB268_2433:                           ;   in Loop: Header=BB268_1574 Depth=1
	s_delay_alu instid0(SALU_CYCLE_1) | instskip(SKIP_2) | instid1(VALU_DEP_1)
	s_or_b32 exec_lo, exec_lo, s10
	v_lshrrev_b16 v7, 8, v6
	s_mov_b32 s15, exec_lo
	v_cmpx_ne_u16_e32 0, v7
	s_cbranch_execz .LBB268_2441
; %bb.2434:                             ;   in Loop: Header=BB268_1574 Depth=1
	v_dual_mov_b32 v4, s8 :: v_dual_mov_b32 v5, s9
	s_mov_b32 s16, exec_lo
	v_cmpx_ne_u16_e32 0x80, v7
	s_cbranch_execz .LBB268_2440
; %bb.2435:                             ;   in Loop: Header=BB268_1574 Depth=1
	s_mov_b32 s10, s8
	v_and_b32_e32 v8, 0xffff, v7
	v_dual_mov_b32 v4, s10 :: v_dual_mov_b32 v5, s11
	s_mov_b32 s10, exec_lo
	s_delay_alu instid0(VALU_DEP_2) | instskip(NEXT) | instid1(VALU_DEP_1)
	v_and_b32_e32 v7, 0x7f, v8
	v_cmpx_ne_u32_e32 0x7f, v7
	s_cbranch_execz .LBB268_2439
; %bb.2436:                             ;   in Loop: Header=BB268_1574 Depth=1
	v_and_b32_e32 v8, 7, v8
	v_lshrrev_b32_e32 v4, 3, v7
	s_mov_b32 s17, exec_lo
	v_cmpx_gt_u32_e32 8, v7
; %bb.2437:                             ;   in Loop: Header=BB268_1574 Depth=1
	s_delay_alu instid0(VALU_DEP_3) | instskip(NEXT) | instid1(VALU_DEP_1)
	v_clz_i32_u32_e32 v4, v8
	v_min_u32_e32 v4, 32, v4
	s_delay_alu instid0(VALU_DEP_1) | instskip(SKIP_1) | instid1(VALU_DEP_2)
	v_subrev_nc_u32_e32 v5, 28, v4
	v_sub_nc_u32_e32 v4, 29, v4
	v_lshlrev_b64 v[7:8], v5, v[8:9]
	s_delay_alu instid0(VALU_DEP_1)
	v_and_b32_e32 v8, 7, v7
; %bb.2438:                             ;   in Loop: Header=BB268_1574 Depth=1
	s_or_b32 exec_lo, exec_lo, s17
	v_lshlrev_b32_e32 v5, 16, v6
	s_delay_alu instid0(VALU_DEP_2) | instskip(SKIP_1) | instid1(VALU_DEP_3)
	v_lshlrev_b32_e32 v7, 20, v8
	v_lshl_add_u32 v4, v4, 23, 0x3c000000
	v_and_b32_e32 v5, 0x80000000, v5
	s_delay_alu instid0(VALU_DEP_1)
	v_or3_b32 v5, v7, v5, v4
	v_mov_b32_e32 v4, v9
.LBB268_2439:                           ;   in Loop: Header=BB268_1574 Depth=1
	s_or_b32 exec_lo, exec_lo, s10
.LBB268_2440:                           ;   in Loop: Header=BB268_1574 Depth=1
	s_delay_alu instid0(SALU_CYCLE_1)
	s_or_b32 exec_lo, exec_lo, s16
.LBB268_2441:                           ;   in Loop: Header=BB268_1574 Depth=1
	s_delay_alu instid0(SALU_CYCLE_1) | instskip(SKIP_4) | instid1(VALU_DEP_1)
	s_or_b32 exec_lo, exec_lo, s15
	v_mov_b32_e32 v18, 0
	v_lshrrev_b32_e32 v7, 16, v6
	v_mov_b32_e32 v19, 0
	s_mov_b32 s10, exec_lo
	v_dual_mov_b32 v21, v19 :: v_dual_and_b32 v8, 0xff, v7
	v_mov_b32_e32 v20, v18
	s_delay_alu instid0(VALU_DEP_2)
	v_cmpx_ne_u16_e32 0, v8
	s_cbranch_execz .LBB268_2449
; %bb.2442:                             ;   in Loop: Header=BB268_1574 Depth=1
	v_bfrev_b32_e32 v20, 1
	v_mov_b32_e32 v21, 0
	s_mov_b32 s15, exec_lo
	v_cmpx_ne_u16_e32 0x80, v8
	s_cbranch_execz .LBB268_2448
; %bb.2443:                             ;   in Loop: Header=BB268_1574 Depth=1
	v_mov_b32_e32 v20, 0x7f800001
	v_bfe_u32 v22, v6, 16, 7
	v_mov_b32_e32 v21, 0
	s_mov_b32 s16, exec_lo
	s_delay_alu instid0(VALU_DEP_2)
	v_cmpx_ne_u32_e32 0x7f, v22
	s_cbranch_execz .LBB268_2447
; %bb.2444:                             ;   in Loop: Header=BB268_1574 Depth=1
	v_and_b32_e32 v8, 7, v7
	v_lshrrev_b32_e32 v20, 3, v22
	s_mov_b32 s17, exec_lo
	v_cmpx_gt_u32_e32 8, v22
; %bb.2445:                             ;   in Loop: Header=BB268_1574 Depth=1
	s_delay_alu instid0(VALU_DEP_3) | instskip(NEXT) | instid1(VALU_DEP_1)
	v_clz_i32_u32_e32 v20, v8
	v_min_u32_e32 v20, 32, v20
	s_delay_alu instid0(VALU_DEP_1) | instskip(SKIP_1) | instid1(VALU_DEP_2)
	v_subrev_nc_u32_e32 v21, 28, v20
	v_sub_nc_u32_e32 v20, 29, v20
	v_lshlrev_b64 v[21:22], v21, v[8:9]
	s_delay_alu instid0(VALU_DEP_1)
	v_and_b32_e32 v8, 7, v21
; %bb.2446:                             ;   in Loop: Header=BB268_1574 Depth=1
	s_or_b32 exec_lo, exec_lo, s17
	v_lshlrev_b32_e32 v7, 24, v7
	s_delay_alu instid0(VALU_DEP_2) | instskip(SKIP_1) | instid1(VALU_DEP_3)
	v_lshlrev_b32_e32 v8, 20, v8
	v_lshl_add_u32 v20, v20, 23, 0x3c000000
	v_and_b32_e32 v7, 0x80000000, v7
	s_delay_alu instid0(VALU_DEP_1) | instskip(NEXT) | instid1(VALU_DEP_1)
	v_or3_b32 v8, v8, v7, v20
	v_dual_mov_b32 v21, v9 :: v_dual_mov_b32 v20, v8
.LBB268_2447:                           ;   in Loop: Header=BB268_1574 Depth=1
	s_or_b32 exec_lo, exec_lo, s16
.LBB268_2448:                           ;   in Loop: Header=BB268_1574 Depth=1
	s_delay_alu instid0(SALU_CYCLE_1)
	s_or_b32 exec_lo, exec_lo, s15
.LBB268_2449:                           ;   in Loop: Header=BB268_1574 Depth=1
	s_delay_alu instid0(SALU_CYCLE_1) | instskip(NEXT) | instid1(SALU_CYCLE_1)
	s_or_b32 exec_lo, exec_lo, s10
	s_mov_b32 s15, exec_lo
	v_cmpx_lt_u32_e32 0xffffff, v6
	s_cbranch_execz .LBB268_2457
; %bb.2450:                             ;   in Loop: Header=BB268_1574 Depth=1
	v_lshrrev_b32_e32 v7, 24, v6
	v_dual_mov_b32 v19, s9 :: v_dual_mov_b32 v18, s8
	s_mov_b32 s16, exec_lo
	s_delay_alu instid0(VALU_DEP_2)
	v_cmpx_ne_u32_e32 0x80, v7
	s_cbranch_execz .LBB268_2456
; %bb.2451:                             ;   in Loop: Header=BB268_1574 Depth=1
	s_mov_b32 s10, s8
	v_bfe_u32 v22, v6, 24, 7
	v_dual_mov_b32 v19, s11 :: v_dual_mov_b32 v18, s10
	s_mov_b32 s10, exec_lo
	s_delay_alu instid0(VALU_DEP_2)
	v_cmpx_ne_u32_e32 0x7f, v22
	s_cbranch_execz .LBB268_2455
; %bb.2452:                             ;   in Loop: Header=BB268_1574 Depth=1
	v_and_b32_e32 v8, 7, v7
	v_lshrrev_b32_e32 v6, 3, v22
	s_mov_b32 s17, exec_lo
	v_cmpx_gt_u32_e32 8, v22
; %bb.2453:                             ;   in Loop: Header=BB268_1574 Depth=1
	s_delay_alu instid0(VALU_DEP_3) | instskip(NEXT) | instid1(VALU_DEP_1)
	v_clz_i32_u32_e32 v6, v8
	v_min_u32_e32 v6, 32, v6
	s_delay_alu instid0(VALU_DEP_1) | instskip(SKIP_1) | instid1(VALU_DEP_2)
	v_subrev_nc_u32_e32 v18, 28, v6
	v_sub_nc_u32_e32 v6, 29, v6
	v_lshlrev_b64 v[18:19], v18, v[8:9]
	s_delay_alu instid0(VALU_DEP_1)
	v_and_b32_e32 v8, 7, v18
; %bb.2454:                             ;   in Loop: Header=BB268_1574 Depth=1
	s_or_b32 exec_lo, exec_lo, s17
	v_dual_mov_b32 v18, v9 :: v_dual_lshlrev_b32 v7, 24, v7
	s_delay_alu instid0(VALU_DEP_2) | instskip(SKIP_1) | instid1(VALU_DEP_3)
	v_lshlrev_b32_e32 v8, 20, v8
	v_lshl_add_u32 v6, v6, 23, 0x3c000000
	v_and_b32_e32 v7, 0x80000000, v7
	s_delay_alu instid0(VALU_DEP_1)
	v_or3_b32 v19, v8, v7, v6
.LBB268_2455:                           ;   in Loop: Header=BB268_1574 Depth=1
	s_or_b32 exec_lo, exec_lo, s10
.LBB268_2456:                           ;   in Loop: Header=BB268_1574 Depth=1
	s_delay_alu instid0(SALU_CYCLE_1)
	s_or_b32 exec_lo, exec_lo, s16
.LBB268_2457:                           ;   in Loop: Header=BB268_1574 Depth=1
	s_delay_alu instid0(SALU_CYCLE_1) | instskip(SKIP_4) | instid1(VALU_DEP_4)
	s_or_b32 exec_lo, exec_lo, s15
	v_or_b32_e32 v5, v5, v17
	v_or_b32_e32 v4, v4, v16
	;; [unrolled: 1-line block ×4, first 2 shown]
	v_mul_f32_e32 v147, v167, v5
	s_delay_alu instid0(VALU_DEP_4) | instskip(NEXT) | instid1(VALU_DEP_4)
	v_mul_f32_e32 v146, v167, v4
	v_mul_f32_e32 v144, v167, v6
	s_delay_alu instid0(VALU_DEP_4)
	v_mul_f32_e32 v145, v167, v7
	s_and_saveexec_b32 s10, vcc_lo
; %bb.2458:                             ;   in Loop: Header=BB268_1574 Depth=1
	v_cmp_lt_i32_e64 s0, v180, v35
	s_delay_alu instid0(VALU_DEP_1) | instskip(SKIP_1) | instid1(VALU_DEP_1)
	v_cndmask_b32_e64 v146, 0, v146, s0
	v_cmp_lt_i32_e64 s0, v183, v35
	v_cndmask_b32_e64 v147, 0, v147, s0
	v_cmp_lt_i32_e64 s0, v182, v35
	s_delay_alu instid0(VALU_DEP_1) | instskip(SKIP_1) | instid1(VALU_DEP_1)
	v_cndmask_b32_e64 v145, 0, v145, s0
	v_cmp_lt_i32_e64 s0, v181, v35
	v_cndmask_b32_e64 v144, 0, v144, s0
; %bb.2459:                             ;   in Loop: Header=BB268_1574 Depth=1
	s_or_b32 exec_lo, exec_lo, s10
	flat_load_b32 v6, v[14:15] offset:3328
	v_mov_b32_e32 v4, 0
	v_mov_b32_e32 v5, 0
	s_mov_b32 s10, exec_lo
	s_delay_alu instid0(VALU_DEP_1) | instskip(SKIP_2) | instid1(VALU_DEP_1)
	v_dual_mov_b32 v17, v5 :: v_dual_mov_b32 v16, v4
	s_waitcnt vmcnt(0) lgkmcnt(0)
	v_and_b32_e32 v7, 0xff, v6
	v_cmpx_ne_u16_e32 0, v7
	s_cbranch_execz .LBB268_2467
; %bb.2460:                             ;   in Loop: Header=BB268_1574 Depth=1
	v_bfrev_b32_e32 v16, 1
	v_mov_b32_e32 v17, 0
	s_mov_b32 s15, exec_lo
	v_cmpx_ne_u16_e32 0x80, v7
	s_cbranch_execz .LBB268_2466
; %bb.2461:                             ;   in Loop: Header=BB268_1574 Depth=1
	v_mov_b32_e32 v16, 0x7f800001
	v_dual_mov_b32 v17, 0 :: v_dual_and_b32 v18, 0x7f, v6
	s_mov_b32 s16, exec_lo
	s_delay_alu instid0(VALU_DEP_1)
	v_cmpx_ne_u32_e32 0x7f, v18
	s_cbranch_execz .LBB268_2465
; %bb.2462:                             ;   in Loop: Header=BB268_1574 Depth=1
	v_and_b32_e32 v8, 7, v6
	v_lshrrev_b32_e32 v7, 3, v18
	s_mov_b32 s17, exec_lo
	v_cmpx_gt_u32_e32 8, v18
; %bb.2463:                             ;   in Loop: Header=BB268_1574 Depth=1
	s_delay_alu instid0(VALU_DEP_3) | instskip(NEXT) | instid1(VALU_DEP_1)
	v_clz_i32_u32_e32 v7, v8
	v_min_u32_e32 v7, 32, v7
	s_delay_alu instid0(VALU_DEP_1) | instskip(SKIP_1) | instid1(VALU_DEP_2)
	v_subrev_nc_u32_e32 v16, 28, v7
	v_sub_nc_u32_e32 v7, 29, v7
	v_lshlrev_b64 v[16:17], v16, v[8:9]
	s_delay_alu instid0(VALU_DEP_1)
	v_and_b32_e32 v8, 7, v16
; %bb.2464:                             ;   in Loop: Header=BB268_1574 Depth=1
	s_or_b32 exec_lo, exec_lo, s17
	v_lshlrev_b32_e32 v16, 24, v6
	s_delay_alu instid0(VALU_DEP_2) | instskip(SKIP_1) | instid1(VALU_DEP_3)
	v_lshlrev_b32_e32 v8, 20, v8
	v_lshl_add_u32 v7, v7, 23, 0x3c000000
	v_and_b32_e32 v16, 0x80000000, v16
	s_delay_alu instid0(VALU_DEP_1) | instskip(NEXT) | instid1(VALU_DEP_1)
	v_or3_b32 v8, v8, v16, v7
	v_dual_mov_b32 v17, v9 :: v_dual_mov_b32 v16, v8
.LBB268_2465:                           ;   in Loop: Header=BB268_1574 Depth=1
	s_or_b32 exec_lo, exec_lo, s16
.LBB268_2466:                           ;   in Loop: Header=BB268_1574 Depth=1
	s_delay_alu instid0(SALU_CYCLE_1)
	s_or_b32 exec_lo, exec_lo, s15
.LBB268_2467:                           ;   in Loop: Header=BB268_1574 Depth=1
	s_delay_alu instid0(SALU_CYCLE_1) | instskip(SKIP_2) | instid1(VALU_DEP_1)
	s_or_b32 exec_lo, exec_lo, s10
	v_lshrrev_b16 v7, 8, v6
	s_mov_b32 s15, exec_lo
	v_cmpx_ne_u16_e32 0, v7
	s_cbranch_execz .LBB268_2475
; %bb.2468:                             ;   in Loop: Header=BB268_1574 Depth=1
	v_dual_mov_b32 v4, s8 :: v_dual_mov_b32 v5, s9
	s_mov_b32 s16, exec_lo
	v_cmpx_ne_u16_e32 0x80, v7
	s_cbranch_execz .LBB268_2474
; %bb.2469:                             ;   in Loop: Header=BB268_1574 Depth=1
	s_mov_b32 s10, s8
	v_and_b32_e32 v8, 0xffff, v7
	v_dual_mov_b32 v4, s10 :: v_dual_mov_b32 v5, s11
	s_mov_b32 s10, exec_lo
	s_delay_alu instid0(VALU_DEP_2) | instskip(NEXT) | instid1(VALU_DEP_1)
	v_and_b32_e32 v7, 0x7f, v8
	v_cmpx_ne_u32_e32 0x7f, v7
	s_cbranch_execz .LBB268_2473
; %bb.2470:                             ;   in Loop: Header=BB268_1574 Depth=1
	v_and_b32_e32 v8, 7, v8
	v_lshrrev_b32_e32 v4, 3, v7
	s_mov_b32 s17, exec_lo
	v_cmpx_gt_u32_e32 8, v7
; %bb.2471:                             ;   in Loop: Header=BB268_1574 Depth=1
	s_delay_alu instid0(VALU_DEP_3) | instskip(NEXT) | instid1(VALU_DEP_1)
	v_clz_i32_u32_e32 v4, v8
	v_min_u32_e32 v4, 32, v4
	s_delay_alu instid0(VALU_DEP_1) | instskip(SKIP_1) | instid1(VALU_DEP_2)
	v_subrev_nc_u32_e32 v5, 28, v4
	v_sub_nc_u32_e32 v4, 29, v4
	v_lshlrev_b64 v[7:8], v5, v[8:9]
	s_delay_alu instid0(VALU_DEP_1)
	v_and_b32_e32 v8, 7, v7
; %bb.2472:                             ;   in Loop: Header=BB268_1574 Depth=1
	s_or_b32 exec_lo, exec_lo, s17
	v_lshlrev_b32_e32 v5, 16, v6
	s_delay_alu instid0(VALU_DEP_2) | instskip(SKIP_1) | instid1(VALU_DEP_3)
	v_lshlrev_b32_e32 v7, 20, v8
	v_lshl_add_u32 v4, v4, 23, 0x3c000000
	v_and_b32_e32 v5, 0x80000000, v5
	s_delay_alu instid0(VALU_DEP_1)
	v_or3_b32 v5, v7, v5, v4
	v_mov_b32_e32 v4, v9
.LBB268_2473:                           ;   in Loop: Header=BB268_1574 Depth=1
	s_or_b32 exec_lo, exec_lo, s10
.LBB268_2474:                           ;   in Loop: Header=BB268_1574 Depth=1
	s_delay_alu instid0(SALU_CYCLE_1)
	s_or_b32 exec_lo, exec_lo, s16
.LBB268_2475:                           ;   in Loop: Header=BB268_1574 Depth=1
	s_delay_alu instid0(SALU_CYCLE_1) | instskip(SKIP_4) | instid1(VALU_DEP_1)
	s_or_b32 exec_lo, exec_lo, s15
	v_mov_b32_e32 v18, 0
	v_lshrrev_b32_e32 v7, 16, v6
	v_mov_b32_e32 v19, 0
	s_mov_b32 s10, exec_lo
	v_dual_mov_b32 v21, v19 :: v_dual_and_b32 v8, 0xff, v7
	v_mov_b32_e32 v20, v18
	s_delay_alu instid0(VALU_DEP_2)
	v_cmpx_ne_u16_e32 0, v8
	s_cbranch_execz .LBB268_2483
; %bb.2476:                             ;   in Loop: Header=BB268_1574 Depth=1
	v_bfrev_b32_e32 v20, 1
	v_mov_b32_e32 v21, 0
	s_mov_b32 s15, exec_lo
	v_cmpx_ne_u16_e32 0x80, v8
	s_cbranch_execz .LBB268_2482
; %bb.2477:                             ;   in Loop: Header=BB268_1574 Depth=1
	v_mov_b32_e32 v20, 0x7f800001
	v_bfe_u32 v22, v6, 16, 7
	v_mov_b32_e32 v21, 0
	s_mov_b32 s16, exec_lo
	s_delay_alu instid0(VALU_DEP_2)
	v_cmpx_ne_u32_e32 0x7f, v22
	s_cbranch_execz .LBB268_2481
; %bb.2478:                             ;   in Loop: Header=BB268_1574 Depth=1
	v_and_b32_e32 v8, 7, v7
	v_lshrrev_b32_e32 v20, 3, v22
	s_mov_b32 s17, exec_lo
	v_cmpx_gt_u32_e32 8, v22
; %bb.2479:                             ;   in Loop: Header=BB268_1574 Depth=1
	s_delay_alu instid0(VALU_DEP_3) | instskip(NEXT) | instid1(VALU_DEP_1)
	v_clz_i32_u32_e32 v20, v8
	v_min_u32_e32 v20, 32, v20
	s_delay_alu instid0(VALU_DEP_1) | instskip(SKIP_1) | instid1(VALU_DEP_2)
	v_subrev_nc_u32_e32 v21, 28, v20
	v_sub_nc_u32_e32 v20, 29, v20
	v_lshlrev_b64 v[21:22], v21, v[8:9]
	s_delay_alu instid0(VALU_DEP_1)
	v_and_b32_e32 v8, 7, v21
; %bb.2480:                             ;   in Loop: Header=BB268_1574 Depth=1
	s_or_b32 exec_lo, exec_lo, s17
	v_lshlrev_b32_e32 v7, 24, v7
	s_delay_alu instid0(VALU_DEP_2) | instskip(SKIP_1) | instid1(VALU_DEP_3)
	v_lshlrev_b32_e32 v8, 20, v8
	v_lshl_add_u32 v20, v20, 23, 0x3c000000
	v_and_b32_e32 v7, 0x80000000, v7
	s_delay_alu instid0(VALU_DEP_1) | instskip(NEXT) | instid1(VALU_DEP_1)
	v_or3_b32 v8, v8, v7, v20
	v_dual_mov_b32 v21, v9 :: v_dual_mov_b32 v20, v8
.LBB268_2481:                           ;   in Loop: Header=BB268_1574 Depth=1
	s_or_b32 exec_lo, exec_lo, s16
.LBB268_2482:                           ;   in Loop: Header=BB268_1574 Depth=1
	s_delay_alu instid0(SALU_CYCLE_1)
	s_or_b32 exec_lo, exec_lo, s15
.LBB268_2483:                           ;   in Loop: Header=BB268_1574 Depth=1
	s_delay_alu instid0(SALU_CYCLE_1) | instskip(NEXT) | instid1(SALU_CYCLE_1)
	s_or_b32 exec_lo, exec_lo, s10
	s_mov_b32 s15, exec_lo
	v_cmpx_lt_u32_e32 0xffffff, v6
	s_cbranch_execz .LBB268_2491
; %bb.2484:                             ;   in Loop: Header=BB268_1574 Depth=1
	v_lshrrev_b32_e32 v7, 24, v6
	v_dual_mov_b32 v19, s9 :: v_dual_mov_b32 v18, s8
	s_mov_b32 s16, exec_lo
	s_delay_alu instid0(VALU_DEP_2)
	v_cmpx_ne_u32_e32 0x80, v7
	s_cbranch_execz .LBB268_2490
; %bb.2485:                             ;   in Loop: Header=BB268_1574 Depth=1
	s_mov_b32 s10, s8
	v_bfe_u32 v22, v6, 24, 7
	v_dual_mov_b32 v19, s11 :: v_dual_mov_b32 v18, s10
	s_mov_b32 s10, exec_lo
	s_delay_alu instid0(VALU_DEP_2)
	v_cmpx_ne_u32_e32 0x7f, v22
	s_cbranch_execz .LBB268_2489
; %bb.2486:                             ;   in Loop: Header=BB268_1574 Depth=1
	v_and_b32_e32 v8, 7, v7
	v_lshrrev_b32_e32 v6, 3, v22
	s_mov_b32 s17, exec_lo
	v_cmpx_gt_u32_e32 8, v22
; %bb.2487:                             ;   in Loop: Header=BB268_1574 Depth=1
	s_delay_alu instid0(VALU_DEP_3) | instskip(NEXT) | instid1(VALU_DEP_1)
	v_clz_i32_u32_e32 v6, v8
	v_min_u32_e32 v6, 32, v6
	s_delay_alu instid0(VALU_DEP_1) | instskip(SKIP_1) | instid1(VALU_DEP_2)
	v_subrev_nc_u32_e32 v18, 28, v6
	v_sub_nc_u32_e32 v6, 29, v6
	v_lshlrev_b64 v[18:19], v18, v[8:9]
	s_delay_alu instid0(VALU_DEP_1)
	v_and_b32_e32 v8, 7, v18
; %bb.2488:                             ;   in Loop: Header=BB268_1574 Depth=1
	s_or_b32 exec_lo, exec_lo, s17
	v_dual_mov_b32 v18, v9 :: v_dual_lshlrev_b32 v7, 24, v7
	s_delay_alu instid0(VALU_DEP_2) | instskip(SKIP_1) | instid1(VALU_DEP_3)
	v_lshlrev_b32_e32 v8, 20, v8
	v_lshl_add_u32 v6, v6, 23, 0x3c000000
	v_and_b32_e32 v7, 0x80000000, v7
	s_delay_alu instid0(VALU_DEP_1)
	v_or3_b32 v19, v8, v7, v6
.LBB268_2489:                           ;   in Loop: Header=BB268_1574 Depth=1
	s_or_b32 exec_lo, exec_lo, s10
.LBB268_2490:                           ;   in Loop: Header=BB268_1574 Depth=1
	s_delay_alu instid0(SALU_CYCLE_1)
	s_or_b32 exec_lo, exec_lo, s16
.LBB268_2491:                           ;   in Loop: Header=BB268_1574 Depth=1
	s_delay_alu instid0(SALU_CYCLE_1) | instskip(SKIP_4) | instid1(VALU_DEP_4)
	s_or_b32 exec_lo, exec_lo, s15
	v_or_b32_e32 v5, v5, v17
	v_or_b32_e32 v4, v4, v16
	v_or_b32_e32 v6, v19, v21
	v_or_b32_e32 v7, v18, v20
	v_mul_f32_e32 v151, v167, v5
	s_delay_alu instid0(VALU_DEP_4) | instskip(NEXT) | instid1(VALU_DEP_4)
	v_mul_f32_e32 v150, v167, v4
	v_mul_f32_e32 v148, v167, v6
	s_delay_alu instid0(VALU_DEP_4)
	v_mul_f32_e32 v149, v167, v7
	s_and_saveexec_b32 s10, vcc_lo
; %bb.2492:                             ;   in Loop: Header=BB268_1574 Depth=1
	v_cmp_lt_i32_e64 s0, v180, v35
	s_delay_alu instid0(VALU_DEP_1) | instskip(SKIP_1) | instid1(VALU_DEP_1)
	v_cndmask_b32_e64 v150, 0, v150, s0
	v_cmp_lt_i32_e64 s0, v183, v35
	v_cndmask_b32_e64 v151, 0, v151, s0
	v_cmp_lt_i32_e64 s0, v182, v35
	s_delay_alu instid0(VALU_DEP_1) | instskip(SKIP_1) | instid1(VALU_DEP_1)
	v_cndmask_b32_e64 v149, 0, v149, s0
	v_cmp_lt_i32_e64 s0, v181, v35
	v_cndmask_b32_e64 v148, 0, v148, s0
; %bb.2493:                             ;   in Loop: Header=BB268_1574 Depth=1
	s_or_b32 exec_lo, exec_lo, s10
	flat_load_b32 v6, v[14:15] offset:3456
	v_mov_b32_e32 v4, 0
	v_mov_b32_e32 v5, 0
	s_mov_b32 s10, exec_lo
	s_delay_alu instid0(VALU_DEP_1) | instskip(SKIP_2) | instid1(VALU_DEP_1)
	v_dual_mov_b32 v17, v5 :: v_dual_mov_b32 v16, v4
	s_waitcnt vmcnt(0) lgkmcnt(0)
	v_and_b32_e32 v7, 0xff, v6
	v_cmpx_ne_u16_e32 0, v7
	s_cbranch_execz .LBB268_2501
; %bb.2494:                             ;   in Loop: Header=BB268_1574 Depth=1
	v_bfrev_b32_e32 v16, 1
	v_mov_b32_e32 v17, 0
	s_mov_b32 s15, exec_lo
	v_cmpx_ne_u16_e32 0x80, v7
	s_cbranch_execz .LBB268_2500
; %bb.2495:                             ;   in Loop: Header=BB268_1574 Depth=1
	v_mov_b32_e32 v16, 0x7f800001
	v_dual_mov_b32 v17, 0 :: v_dual_and_b32 v18, 0x7f, v6
	s_mov_b32 s16, exec_lo
	s_delay_alu instid0(VALU_DEP_1)
	v_cmpx_ne_u32_e32 0x7f, v18
	s_cbranch_execz .LBB268_2499
; %bb.2496:                             ;   in Loop: Header=BB268_1574 Depth=1
	v_and_b32_e32 v8, 7, v6
	v_lshrrev_b32_e32 v7, 3, v18
	s_mov_b32 s17, exec_lo
	v_cmpx_gt_u32_e32 8, v18
; %bb.2497:                             ;   in Loop: Header=BB268_1574 Depth=1
	s_delay_alu instid0(VALU_DEP_3) | instskip(NEXT) | instid1(VALU_DEP_1)
	v_clz_i32_u32_e32 v7, v8
	v_min_u32_e32 v7, 32, v7
	s_delay_alu instid0(VALU_DEP_1) | instskip(SKIP_1) | instid1(VALU_DEP_2)
	v_subrev_nc_u32_e32 v16, 28, v7
	v_sub_nc_u32_e32 v7, 29, v7
	v_lshlrev_b64 v[16:17], v16, v[8:9]
	s_delay_alu instid0(VALU_DEP_1)
	v_and_b32_e32 v8, 7, v16
; %bb.2498:                             ;   in Loop: Header=BB268_1574 Depth=1
	s_or_b32 exec_lo, exec_lo, s17
	v_lshlrev_b32_e32 v16, 24, v6
	s_delay_alu instid0(VALU_DEP_2) | instskip(SKIP_1) | instid1(VALU_DEP_3)
	v_lshlrev_b32_e32 v8, 20, v8
	v_lshl_add_u32 v7, v7, 23, 0x3c000000
	v_and_b32_e32 v16, 0x80000000, v16
	s_delay_alu instid0(VALU_DEP_1) | instskip(NEXT) | instid1(VALU_DEP_1)
	v_or3_b32 v8, v8, v16, v7
	v_dual_mov_b32 v17, v9 :: v_dual_mov_b32 v16, v8
.LBB268_2499:                           ;   in Loop: Header=BB268_1574 Depth=1
	s_or_b32 exec_lo, exec_lo, s16
.LBB268_2500:                           ;   in Loop: Header=BB268_1574 Depth=1
	s_delay_alu instid0(SALU_CYCLE_1)
	s_or_b32 exec_lo, exec_lo, s15
.LBB268_2501:                           ;   in Loop: Header=BB268_1574 Depth=1
	s_delay_alu instid0(SALU_CYCLE_1) | instskip(SKIP_2) | instid1(VALU_DEP_1)
	s_or_b32 exec_lo, exec_lo, s10
	v_lshrrev_b16 v7, 8, v6
	s_mov_b32 s15, exec_lo
	v_cmpx_ne_u16_e32 0, v7
	s_cbranch_execz .LBB268_2509
; %bb.2502:                             ;   in Loop: Header=BB268_1574 Depth=1
	v_dual_mov_b32 v4, s8 :: v_dual_mov_b32 v5, s9
	s_mov_b32 s16, exec_lo
	v_cmpx_ne_u16_e32 0x80, v7
	s_cbranch_execz .LBB268_2508
; %bb.2503:                             ;   in Loop: Header=BB268_1574 Depth=1
	s_mov_b32 s10, s8
	v_and_b32_e32 v8, 0xffff, v7
	v_dual_mov_b32 v4, s10 :: v_dual_mov_b32 v5, s11
	s_mov_b32 s10, exec_lo
	s_delay_alu instid0(VALU_DEP_2) | instskip(NEXT) | instid1(VALU_DEP_1)
	v_and_b32_e32 v7, 0x7f, v8
	v_cmpx_ne_u32_e32 0x7f, v7
	s_cbranch_execz .LBB268_2507
; %bb.2504:                             ;   in Loop: Header=BB268_1574 Depth=1
	v_and_b32_e32 v8, 7, v8
	v_lshrrev_b32_e32 v4, 3, v7
	s_mov_b32 s17, exec_lo
	v_cmpx_gt_u32_e32 8, v7
; %bb.2505:                             ;   in Loop: Header=BB268_1574 Depth=1
	s_delay_alu instid0(VALU_DEP_3) | instskip(NEXT) | instid1(VALU_DEP_1)
	v_clz_i32_u32_e32 v4, v8
	v_min_u32_e32 v4, 32, v4
	s_delay_alu instid0(VALU_DEP_1) | instskip(SKIP_1) | instid1(VALU_DEP_2)
	v_subrev_nc_u32_e32 v5, 28, v4
	v_sub_nc_u32_e32 v4, 29, v4
	v_lshlrev_b64 v[7:8], v5, v[8:9]
	s_delay_alu instid0(VALU_DEP_1)
	v_and_b32_e32 v8, 7, v7
; %bb.2506:                             ;   in Loop: Header=BB268_1574 Depth=1
	s_or_b32 exec_lo, exec_lo, s17
	v_lshlrev_b32_e32 v5, 16, v6
	s_delay_alu instid0(VALU_DEP_2) | instskip(SKIP_1) | instid1(VALU_DEP_3)
	v_lshlrev_b32_e32 v7, 20, v8
	v_lshl_add_u32 v4, v4, 23, 0x3c000000
	v_and_b32_e32 v5, 0x80000000, v5
	s_delay_alu instid0(VALU_DEP_1)
	v_or3_b32 v5, v7, v5, v4
	v_mov_b32_e32 v4, v9
.LBB268_2507:                           ;   in Loop: Header=BB268_1574 Depth=1
	s_or_b32 exec_lo, exec_lo, s10
.LBB268_2508:                           ;   in Loop: Header=BB268_1574 Depth=1
	s_delay_alu instid0(SALU_CYCLE_1)
	s_or_b32 exec_lo, exec_lo, s16
.LBB268_2509:                           ;   in Loop: Header=BB268_1574 Depth=1
	s_delay_alu instid0(SALU_CYCLE_1) | instskip(SKIP_4) | instid1(VALU_DEP_1)
	s_or_b32 exec_lo, exec_lo, s15
	v_mov_b32_e32 v18, 0
	v_lshrrev_b32_e32 v7, 16, v6
	v_mov_b32_e32 v19, 0
	s_mov_b32 s10, exec_lo
	v_dual_mov_b32 v21, v19 :: v_dual_and_b32 v8, 0xff, v7
	v_mov_b32_e32 v20, v18
	s_delay_alu instid0(VALU_DEP_2)
	v_cmpx_ne_u16_e32 0, v8
	s_cbranch_execz .LBB268_2517
; %bb.2510:                             ;   in Loop: Header=BB268_1574 Depth=1
	v_bfrev_b32_e32 v20, 1
	v_mov_b32_e32 v21, 0
	s_mov_b32 s15, exec_lo
	v_cmpx_ne_u16_e32 0x80, v8
	s_cbranch_execz .LBB268_2516
; %bb.2511:                             ;   in Loop: Header=BB268_1574 Depth=1
	v_mov_b32_e32 v20, 0x7f800001
	v_bfe_u32 v22, v6, 16, 7
	v_mov_b32_e32 v21, 0
	s_mov_b32 s16, exec_lo
	s_delay_alu instid0(VALU_DEP_2)
	v_cmpx_ne_u32_e32 0x7f, v22
	s_cbranch_execz .LBB268_2515
; %bb.2512:                             ;   in Loop: Header=BB268_1574 Depth=1
	v_and_b32_e32 v8, 7, v7
	v_lshrrev_b32_e32 v20, 3, v22
	s_mov_b32 s17, exec_lo
	v_cmpx_gt_u32_e32 8, v22
; %bb.2513:                             ;   in Loop: Header=BB268_1574 Depth=1
	s_delay_alu instid0(VALU_DEP_3) | instskip(NEXT) | instid1(VALU_DEP_1)
	v_clz_i32_u32_e32 v20, v8
	v_min_u32_e32 v20, 32, v20
	s_delay_alu instid0(VALU_DEP_1) | instskip(SKIP_1) | instid1(VALU_DEP_2)
	v_subrev_nc_u32_e32 v21, 28, v20
	v_sub_nc_u32_e32 v20, 29, v20
	v_lshlrev_b64 v[21:22], v21, v[8:9]
	s_delay_alu instid0(VALU_DEP_1)
	v_and_b32_e32 v8, 7, v21
; %bb.2514:                             ;   in Loop: Header=BB268_1574 Depth=1
	s_or_b32 exec_lo, exec_lo, s17
	v_lshlrev_b32_e32 v7, 24, v7
	s_delay_alu instid0(VALU_DEP_2) | instskip(SKIP_1) | instid1(VALU_DEP_3)
	v_lshlrev_b32_e32 v8, 20, v8
	v_lshl_add_u32 v20, v20, 23, 0x3c000000
	v_and_b32_e32 v7, 0x80000000, v7
	s_delay_alu instid0(VALU_DEP_1) | instskip(NEXT) | instid1(VALU_DEP_1)
	v_or3_b32 v8, v8, v7, v20
	v_dual_mov_b32 v21, v9 :: v_dual_mov_b32 v20, v8
.LBB268_2515:                           ;   in Loop: Header=BB268_1574 Depth=1
	s_or_b32 exec_lo, exec_lo, s16
.LBB268_2516:                           ;   in Loop: Header=BB268_1574 Depth=1
	s_delay_alu instid0(SALU_CYCLE_1)
	s_or_b32 exec_lo, exec_lo, s15
.LBB268_2517:                           ;   in Loop: Header=BB268_1574 Depth=1
	s_delay_alu instid0(SALU_CYCLE_1) | instskip(NEXT) | instid1(SALU_CYCLE_1)
	s_or_b32 exec_lo, exec_lo, s10
	s_mov_b32 s15, exec_lo
	v_cmpx_lt_u32_e32 0xffffff, v6
	s_cbranch_execz .LBB268_2525
; %bb.2518:                             ;   in Loop: Header=BB268_1574 Depth=1
	v_lshrrev_b32_e32 v7, 24, v6
	v_dual_mov_b32 v19, s9 :: v_dual_mov_b32 v18, s8
	s_mov_b32 s16, exec_lo
	s_delay_alu instid0(VALU_DEP_2)
	v_cmpx_ne_u32_e32 0x80, v7
	s_cbranch_execz .LBB268_2524
; %bb.2519:                             ;   in Loop: Header=BB268_1574 Depth=1
	s_mov_b32 s10, s8
	v_bfe_u32 v22, v6, 24, 7
	v_dual_mov_b32 v19, s11 :: v_dual_mov_b32 v18, s10
	s_mov_b32 s10, exec_lo
	s_delay_alu instid0(VALU_DEP_2)
	v_cmpx_ne_u32_e32 0x7f, v22
	s_cbranch_execz .LBB268_2523
; %bb.2520:                             ;   in Loop: Header=BB268_1574 Depth=1
	v_and_b32_e32 v8, 7, v7
	v_lshrrev_b32_e32 v6, 3, v22
	s_mov_b32 s17, exec_lo
	v_cmpx_gt_u32_e32 8, v22
; %bb.2521:                             ;   in Loop: Header=BB268_1574 Depth=1
	s_delay_alu instid0(VALU_DEP_3) | instskip(NEXT) | instid1(VALU_DEP_1)
	v_clz_i32_u32_e32 v6, v8
	v_min_u32_e32 v6, 32, v6
	s_delay_alu instid0(VALU_DEP_1) | instskip(SKIP_1) | instid1(VALU_DEP_2)
	v_subrev_nc_u32_e32 v18, 28, v6
	v_sub_nc_u32_e32 v6, 29, v6
	v_lshlrev_b64 v[18:19], v18, v[8:9]
	s_delay_alu instid0(VALU_DEP_1)
	v_and_b32_e32 v8, 7, v18
; %bb.2522:                             ;   in Loop: Header=BB268_1574 Depth=1
	s_or_b32 exec_lo, exec_lo, s17
	v_dual_mov_b32 v18, v9 :: v_dual_lshlrev_b32 v7, 24, v7
	s_delay_alu instid0(VALU_DEP_2) | instskip(SKIP_1) | instid1(VALU_DEP_3)
	v_lshlrev_b32_e32 v8, 20, v8
	v_lshl_add_u32 v6, v6, 23, 0x3c000000
	v_and_b32_e32 v7, 0x80000000, v7
	s_delay_alu instid0(VALU_DEP_1)
	v_or3_b32 v19, v8, v7, v6
.LBB268_2523:                           ;   in Loop: Header=BB268_1574 Depth=1
	s_or_b32 exec_lo, exec_lo, s10
.LBB268_2524:                           ;   in Loop: Header=BB268_1574 Depth=1
	s_delay_alu instid0(SALU_CYCLE_1)
	s_or_b32 exec_lo, exec_lo, s16
.LBB268_2525:                           ;   in Loop: Header=BB268_1574 Depth=1
	s_delay_alu instid0(SALU_CYCLE_1) | instskip(SKIP_4) | instid1(VALU_DEP_4)
	s_or_b32 exec_lo, exec_lo, s15
	v_or_b32_e32 v5, v5, v17
	v_or_b32_e32 v4, v4, v16
	;; [unrolled: 1-line block ×4, first 2 shown]
	v_mul_f32_e32 v6, v167, v5
	s_delay_alu instid0(VALU_DEP_4) | instskip(NEXT) | instid1(VALU_DEP_4)
	v_mul_f32_e32 v161, v167, v4
	v_mul_f32_e32 v160, v167, v7
	s_delay_alu instid0(VALU_DEP_4)
	v_mul_f32_e32 v119, v167, v8
	s_and_saveexec_b32 s10, vcc_lo
; %bb.2526:                             ;   in Loop: Header=BB268_1574 Depth=1
	v_cmp_lt_i32_e64 s0, v180, v35
	s_delay_alu instid0(VALU_DEP_1) | instskip(SKIP_1) | instid1(VALU_DEP_1)
	v_cndmask_b32_e64 v161, 0, v161, s0
	v_cmp_lt_i32_e64 s0, v183, v35
	v_cndmask_b32_e64 v6, 0, v6, s0
	v_cmp_lt_i32_e64 s0, v182, v35
	s_delay_alu instid0(VALU_DEP_1) | instskip(SKIP_1) | instid1(VALU_DEP_1)
	v_cndmask_b32_e64 v119, 0, v119, s0
	v_cmp_lt_i32_e64 s0, v181, v35
	v_cndmask_b32_e64 v160, 0, v160, s0
; %bb.2527:                             ;   in Loop: Header=BB268_1574 Depth=1
	s_or_b32 exec_lo, exec_lo, s10
	flat_load_b32 v7, v[14:15] offset:3584
	v_mov_b32_e32 v4, 0
	v_mov_b32_e32 v5, 0
	s_mov_b32 s10, exec_lo
	s_waitcnt vmcnt(0) lgkmcnt(0)
	s_delay_alu instid0(VALU_DEP_1) | instskip(SKIP_1) | instid1(VALU_DEP_2)
	v_dual_mov_b32 v17, v5 :: v_dual_and_b32 v8, 0xff, v7
	v_mov_b32_e32 v16, v4
	v_cmpx_ne_u16_e32 0, v8
	s_cbranch_execz .LBB268_2535
; %bb.2528:                             ;   in Loop: Header=BB268_1574 Depth=1
	v_bfrev_b32_e32 v16, 1
	v_mov_b32_e32 v17, 0
	s_mov_b32 s15, exec_lo
	v_cmpx_ne_u16_e32 0x80, v8
	s_cbranch_execz .LBB268_2534
; %bb.2529:                             ;   in Loop: Header=BB268_1574 Depth=1
	v_mov_b32_e32 v16, 0x7f800001
	v_dual_mov_b32 v17, 0 :: v_dual_and_b32 v18, 0x7f, v7
	s_mov_b32 s16, exec_lo
	s_delay_alu instid0(VALU_DEP_1)
	v_cmpx_ne_u32_e32 0x7f, v18
	s_cbranch_execz .LBB268_2533
; %bb.2530:                             ;   in Loop: Header=BB268_1574 Depth=1
	v_and_b32_e32 v8, 7, v7
	v_lshrrev_b32_e32 v16, 3, v18
	s_mov_b32 s17, exec_lo
	v_cmpx_gt_u32_e32 8, v18
; %bb.2531:                             ;   in Loop: Header=BB268_1574 Depth=1
	s_delay_alu instid0(VALU_DEP_3) | instskip(NEXT) | instid1(VALU_DEP_1)
	v_clz_i32_u32_e32 v16, v8
	v_min_u32_e32 v16, 32, v16
	s_delay_alu instid0(VALU_DEP_1) | instskip(SKIP_1) | instid1(VALU_DEP_2)
	v_subrev_nc_u32_e32 v17, 28, v16
	v_sub_nc_u32_e32 v16, 29, v16
	v_lshlrev_b64 v[17:18], v17, v[8:9]
	s_delay_alu instid0(VALU_DEP_1)
	v_and_b32_e32 v8, 7, v17
; %bb.2532:                             ;   in Loop: Header=BB268_1574 Depth=1
	s_or_b32 exec_lo, exec_lo, s17
	v_lshlrev_b32_e32 v17, 24, v7
	s_delay_alu instid0(VALU_DEP_2) | instskip(SKIP_1) | instid1(VALU_DEP_3)
	v_lshlrev_b32_e32 v8, 20, v8
	v_lshl_add_u32 v16, v16, 23, 0x3c000000
	v_and_b32_e32 v17, 0x80000000, v17
	s_delay_alu instid0(VALU_DEP_1) | instskip(NEXT) | instid1(VALU_DEP_1)
	v_or3_b32 v8, v8, v17, v16
	v_dual_mov_b32 v17, v9 :: v_dual_mov_b32 v16, v8
.LBB268_2533:                           ;   in Loop: Header=BB268_1574 Depth=1
	s_or_b32 exec_lo, exec_lo, s16
.LBB268_2534:                           ;   in Loop: Header=BB268_1574 Depth=1
	s_delay_alu instid0(SALU_CYCLE_1)
	s_or_b32 exec_lo, exec_lo, s15
.LBB268_2535:                           ;   in Loop: Header=BB268_1574 Depth=1
	s_delay_alu instid0(SALU_CYCLE_1) | instskip(SKIP_2) | instid1(VALU_DEP_1)
	s_or_b32 exec_lo, exec_lo, s10
	v_lshrrev_b16 v8, 8, v7
	s_mov_b32 s15, exec_lo
	v_cmpx_ne_u16_e32 0, v8
	s_cbranch_execz .LBB268_2543
; %bb.2536:                             ;   in Loop: Header=BB268_1574 Depth=1
	v_dual_mov_b32 v4, s8 :: v_dual_mov_b32 v5, s9
	s_mov_b32 s16, exec_lo
	v_cmpx_ne_u16_e32 0x80, v8
	s_cbranch_execz .LBB268_2542
; %bb.2537:                             ;   in Loop: Header=BB268_1574 Depth=1
	s_mov_b32 s10, s8
	v_and_b32_e32 v8, 0xffff, v8
	v_dual_mov_b32 v4, s10 :: v_dual_mov_b32 v5, s11
	s_mov_b32 s10, exec_lo
	s_delay_alu instid0(VALU_DEP_2) | instskip(NEXT) | instid1(VALU_DEP_1)
	v_and_b32_e32 v18, 0x7f, v8
	v_cmpx_ne_u32_e32 0x7f, v18
	s_cbranch_execz .LBB268_2541
; %bb.2538:                             ;   in Loop: Header=BB268_1574 Depth=1
	v_and_b32_e32 v8, 7, v8
	v_lshrrev_b32_e32 v4, 3, v18
	s_mov_b32 s17, exec_lo
	v_cmpx_gt_u32_e32 8, v18
; %bb.2539:                             ;   in Loop: Header=BB268_1574 Depth=1
	s_delay_alu instid0(VALU_DEP_3) | instskip(NEXT) | instid1(VALU_DEP_1)
	v_clz_i32_u32_e32 v4, v8
	v_min_u32_e32 v4, 32, v4
	s_delay_alu instid0(VALU_DEP_1) | instskip(SKIP_1) | instid1(VALU_DEP_2)
	v_subrev_nc_u32_e32 v5, 28, v4
	v_sub_nc_u32_e32 v4, 29, v4
	v_lshlrev_b64 v[18:19], v5, v[8:9]
	s_delay_alu instid0(VALU_DEP_1)
	v_and_b32_e32 v8, 7, v18
; %bb.2540:                             ;   in Loop: Header=BB268_1574 Depth=1
	s_or_b32 exec_lo, exec_lo, s17
	v_lshlrev_b32_e32 v5, 16, v7
	s_delay_alu instid0(VALU_DEP_2) | instskip(SKIP_1) | instid1(VALU_DEP_3)
	v_lshlrev_b32_e32 v8, 20, v8
	v_lshl_add_u32 v4, v4, 23, 0x3c000000
	v_and_b32_e32 v5, 0x80000000, v5
	s_delay_alu instid0(VALU_DEP_1)
	v_or3_b32 v5, v8, v5, v4
	v_mov_b32_e32 v4, v9
.LBB268_2541:                           ;   in Loop: Header=BB268_1574 Depth=1
	s_or_b32 exec_lo, exec_lo, s10
.LBB268_2542:                           ;   in Loop: Header=BB268_1574 Depth=1
	s_delay_alu instid0(SALU_CYCLE_1)
	s_or_b32 exec_lo, exec_lo, s16
.LBB268_2543:                           ;   in Loop: Header=BB268_1574 Depth=1
	s_delay_alu instid0(SALU_CYCLE_1) | instskip(SKIP_4) | instid1(VALU_DEP_1)
	s_or_b32 exec_lo, exec_lo, s15
	v_mov_b32_e32 v18, 0
	v_lshrrev_b32_e32 v22, 16, v7
	v_mov_b32_e32 v19, 0
	s_mov_b32 s10, exec_lo
	v_dual_mov_b32 v21, v19 :: v_dual_and_b32 v8, 0xff, v22
	v_mov_b32_e32 v20, v18
	s_delay_alu instid0(VALU_DEP_2)
	v_cmpx_ne_u16_e32 0, v8
	s_cbranch_execz .LBB268_2551
; %bb.2544:                             ;   in Loop: Header=BB268_1574 Depth=1
	v_bfrev_b32_e32 v20, 1
	v_mov_b32_e32 v21, 0
	s_mov_b32 s15, exec_lo
	v_cmpx_ne_u16_e32 0x80, v8
	s_cbranch_execz .LBB268_2550
; %bb.2545:                             ;   in Loop: Header=BB268_1574 Depth=1
	v_mov_b32_e32 v20, 0x7f800001
	v_bfe_u32 v23, v7, 16, 7
	v_mov_b32_e32 v21, 0
	s_mov_b32 s16, exec_lo
	s_delay_alu instid0(VALU_DEP_2)
	v_cmpx_ne_u32_e32 0x7f, v23
	s_cbranch_execz .LBB268_2549
; %bb.2546:                             ;   in Loop: Header=BB268_1574 Depth=1
	v_and_b32_e32 v8, 7, v22
	v_lshrrev_b32_e32 v20, 3, v23
	s_mov_b32 s17, exec_lo
	v_cmpx_gt_u32_e32 8, v23
; %bb.2547:                             ;   in Loop: Header=BB268_1574 Depth=1
	s_delay_alu instid0(VALU_DEP_3) | instskip(NEXT) | instid1(VALU_DEP_1)
	v_clz_i32_u32_e32 v20, v8
	v_min_u32_e32 v20, 32, v20
	s_delay_alu instid0(VALU_DEP_1) | instskip(SKIP_1) | instid1(VALU_DEP_2)
	v_subrev_nc_u32_e32 v21, 28, v20
	v_sub_nc_u32_e32 v20, 29, v20
	v_lshlrev_b64 v[23:24], v21, v[8:9]
	s_delay_alu instid0(VALU_DEP_1)
	v_and_b32_e32 v8, 7, v23
; %bb.2548:                             ;   in Loop: Header=BB268_1574 Depth=1
	s_or_b32 exec_lo, exec_lo, s17
	v_lshlrev_b32_e32 v21, 24, v22
	s_delay_alu instid0(VALU_DEP_2) | instskip(SKIP_1) | instid1(VALU_DEP_3)
	v_lshlrev_b32_e32 v8, 20, v8
	v_lshl_add_u32 v20, v20, 23, 0x3c000000
	v_and_b32_e32 v21, 0x80000000, v21
	s_delay_alu instid0(VALU_DEP_1) | instskip(NEXT) | instid1(VALU_DEP_1)
	v_or3_b32 v8, v8, v21, v20
	v_dual_mov_b32 v21, v9 :: v_dual_mov_b32 v20, v8
.LBB268_2549:                           ;   in Loop: Header=BB268_1574 Depth=1
	s_or_b32 exec_lo, exec_lo, s16
.LBB268_2550:                           ;   in Loop: Header=BB268_1574 Depth=1
	s_delay_alu instid0(SALU_CYCLE_1)
	s_or_b32 exec_lo, exec_lo, s15
.LBB268_2551:                           ;   in Loop: Header=BB268_1574 Depth=1
	s_delay_alu instid0(SALU_CYCLE_1) | instskip(NEXT) | instid1(SALU_CYCLE_1)
	s_or_b32 exec_lo, exec_lo, s10
	s_mov_b32 s15, exec_lo
	v_cmpx_lt_u32_e32 0xffffff, v7
	s_cbranch_execz .LBB268_2559
; %bb.2552:                             ;   in Loop: Header=BB268_1574 Depth=1
	v_lshrrev_b32_e32 v22, 24, v7
	v_dual_mov_b32 v19, s9 :: v_dual_mov_b32 v18, s8
	s_mov_b32 s16, exec_lo
	s_delay_alu instid0(VALU_DEP_2)
	v_cmpx_ne_u32_e32 0x80, v22
	s_cbranch_execz .LBB268_2558
; %bb.2553:                             ;   in Loop: Header=BB268_1574 Depth=1
	s_mov_b32 s10, s8
	v_bfe_u32 v23, v7, 24, 7
	v_dual_mov_b32 v19, s11 :: v_dual_mov_b32 v18, s10
	s_mov_b32 s10, exec_lo
	s_delay_alu instid0(VALU_DEP_2)
	v_cmpx_ne_u32_e32 0x7f, v23
	s_cbranch_execz .LBB268_2557
; %bb.2554:                             ;   in Loop: Header=BB268_1574 Depth=1
	v_and_b32_e32 v8, 7, v22
	v_lshrrev_b32_e32 v7, 3, v23
	s_mov_b32 s17, exec_lo
	v_cmpx_gt_u32_e32 8, v23
; %bb.2555:                             ;   in Loop: Header=BB268_1574 Depth=1
	s_delay_alu instid0(VALU_DEP_3) | instskip(NEXT) | instid1(VALU_DEP_1)
	v_clz_i32_u32_e32 v7, v8
	v_min_u32_e32 v7, 32, v7
	s_delay_alu instid0(VALU_DEP_1) | instskip(SKIP_1) | instid1(VALU_DEP_2)
	v_subrev_nc_u32_e32 v18, 28, v7
	v_sub_nc_u32_e32 v7, 29, v7
	v_lshlrev_b64 v[18:19], v18, v[8:9]
	s_delay_alu instid0(VALU_DEP_1)
	v_and_b32_e32 v8, 7, v18
; %bb.2556:                             ;   in Loop: Header=BB268_1574 Depth=1
	s_or_b32 exec_lo, exec_lo, s17
	v_lshlrev_b32_e32 v18, 24, v22
	s_delay_alu instid0(VALU_DEP_2) | instskip(SKIP_1) | instid1(VALU_DEP_3)
	v_lshlrev_b32_e32 v8, 20, v8
	v_lshl_add_u32 v7, v7, 23, 0x3c000000
	v_and_b32_e32 v18, 0x80000000, v18
	s_delay_alu instid0(VALU_DEP_1)
	v_or3_b32 v19, v8, v18, v7
	v_mov_b32_e32 v18, v9
.LBB268_2557:                           ;   in Loop: Header=BB268_1574 Depth=1
	s_or_b32 exec_lo, exec_lo, s10
.LBB268_2558:                           ;   in Loop: Header=BB268_1574 Depth=1
	s_delay_alu instid0(SALU_CYCLE_1)
	s_or_b32 exec_lo, exec_lo, s16
.LBB268_2559:                           ;   in Loop: Header=BB268_1574 Depth=1
	s_delay_alu instid0(SALU_CYCLE_1) | instskip(SKIP_4) | instid1(VALU_DEP_4)
	s_or_b32 exec_lo, exec_lo, s15
	v_or_b32_e32 v5, v5, v17
	v_or_b32_e32 v4, v4, v16
	;; [unrolled: 1-line block ×4, first 2 shown]
	v_mul_f32_e32 v30, v167, v5
	s_delay_alu instid0(VALU_DEP_4) | instskip(NEXT) | instid1(VALU_DEP_4)
	v_mul_f32_e32 v29, v167, v4
	v_mul_f32_e32 v7, v167, v7
	s_delay_alu instid0(VALU_DEP_4)
	v_mul_f32_e32 v28, v167, v8
	s_and_saveexec_b32 s10, vcc_lo
; %bb.2560:                             ;   in Loop: Header=BB268_1574 Depth=1
	v_cmp_lt_i32_e64 s0, v180, v35
	s_delay_alu instid0(VALU_DEP_1) | instskip(SKIP_1) | instid1(VALU_DEP_1)
	v_cndmask_b32_e64 v29, 0, v29, s0
	v_cmp_lt_i32_e64 s0, v183, v35
	v_cndmask_b32_e64 v30, 0, v30, s0
	v_cmp_lt_i32_e64 s0, v182, v35
	s_delay_alu instid0(VALU_DEP_1) | instskip(SKIP_1) | instid1(VALU_DEP_1)
	v_cndmask_b32_e64 v28, 0, v28, s0
	v_cmp_lt_i32_e64 s0, v181, v35
	v_cndmask_b32_e64 v7, 0, v7, s0
; %bb.2561:                             ;   in Loop: Header=BB268_1574 Depth=1
	s_or_b32 exec_lo, exec_lo, s10
	flat_load_b32 v22, v[14:15] offset:3712
	v_mov_b32_e32 v4, 0
	v_mov_b32_e32 v5, 0
	s_mov_b32 s10, exec_lo
	s_waitcnt vmcnt(0) lgkmcnt(0)
	s_delay_alu instid0(VALU_DEP_1) | instskip(SKIP_1) | instid1(VALU_DEP_2)
	v_dual_mov_b32 v17, v5 :: v_dual_and_b32 v8, 0xff, v22
	v_mov_b32_e32 v16, v4
	v_cmpx_ne_u16_e32 0, v8
	s_cbranch_execz .LBB268_2569
; %bb.2562:                             ;   in Loop: Header=BB268_1574 Depth=1
	v_bfrev_b32_e32 v16, 1
	v_mov_b32_e32 v17, 0
	s_mov_b32 s15, exec_lo
	v_cmpx_ne_u16_e32 0x80, v8
	s_cbranch_execz .LBB268_2568
; %bb.2563:                             ;   in Loop: Header=BB268_1574 Depth=1
	v_mov_b32_e32 v16, 0x7f800001
	v_dual_mov_b32 v17, 0 :: v_dual_and_b32 v18, 0x7f, v22
	s_mov_b32 s16, exec_lo
	s_delay_alu instid0(VALU_DEP_1)
	v_cmpx_ne_u32_e32 0x7f, v18
	s_cbranch_execz .LBB268_2567
; %bb.2564:                             ;   in Loop: Header=BB268_1574 Depth=1
	v_and_b32_e32 v8, 7, v22
	v_lshrrev_b32_e32 v16, 3, v18
	s_mov_b32 s17, exec_lo
	v_cmpx_gt_u32_e32 8, v18
; %bb.2565:                             ;   in Loop: Header=BB268_1574 Depth=1
	s_delay_alu instid0(VALU_DEP_3) | instskip(NEXT) | instid1(VALU_DEP_1)
	v_clz_i32_u32_e32 v16, v8
	v_min_u32_e32 v16, 32, v16
	s_delay_alu instid0(VALU_DEP_1) | instskip(SKIP_1) | instid1(VALU_DEP_2)
	v_subrev_nc_u32_e32 v17, 28, v16
	v_sub_nc_u32_e32 v16, 29, v16
	v_lshlrev_b64 v[17:18], v17, v[8:9]
	s_delay_alu instid0(VALU_DEP_1)
	v_and_b32_e32 v8, 7, v17
; %bb.2566:                             ;   in Loop: Header=BB268_1574 Depth=1
	s_or_b32 exec_lo, exec_lo, s17
	v_lshlrev_b32_e32 v17, 24, v22
	s_delay_alu instid0(VALU_DEP_2) | instskip(SKIP_1) | instid1(VALU_DEP_3)
	v_lshlrev_b32_e32 v8, 20, v8
	v_lshl_add_u32 v16, v16, 23, 0x3c000000
	v_and_b32_e32 v17, 0x80000000, v17
	s_delay_alu instid0(VALU_DEP_1) | instskip(NEXT) | instid1(VALU_DEP_1)
	v_or3_b32 v8, v8, v17, v16
	v_dual_mov_b32 v17, v9 :: v_dual_mov_b32 v16, v8
.LBB268_2567:                           ;   in Loop: Header=BB268_1574 Depth=1
	s_or_b32 exec_lo, exec_lo, s16
.LBB268_2568:                           ;   in Loop: Header=BB268_1574 Depth=1
	s_delay_alu instid0(SALU_CYCLE_1)
	s_or_b32 exec_lo, exec_lo, s15
.LBB268_2569:                           ;   in Loop: Header=BB268_1574 Depth=1
	s_delay_alu instid0(SALU_CYCLE_1) | instskip(SKIP_2) | instid1(VALU_DEP_1)
	s_or_b32 exec_lo, exec_lo, s10
	v_lshrrev_b16 v8, 8, v22
	s_mov_b32 s15, exec_lo
	v_cmpx_ne_u16_e32 0, v8
	s_cbranch_execz .LBB268_2577
; %bb.2570:                             ;   in Loop: Header=BB268_1574 Depth=1
	v_dual_mov_b32 v4, s8 :: v_dual_mov_b32 v5, s9
	s_mov_b32 s16, exec_lo
	v_cmpx_ne_u16_e32 0x80, v8
	s_cbranch_execz .LBB268_2576
; %bb.2571:                             ;   in Loop: Header=BB268_1574 Depth=1
	s_mov_b32 s10, s8
	v_and_b32_e32 v8, 0xffff, v8
	v_dual_mov_b32 v4, s10 :: v_dual_mov_b32 v5, s11
	s_mov_b32 s10, exec_lo
	s_delay_alu instid0(VALU_DEP_2) | instskip(NEXT) | instid1(VALU_DEP_1)
	v_and_b32_e32 v18, 0x7f, v8
	v_cmpx_ne_u32_e32 0x7f, v18
	s_cbranch_execz .LBB268_2575
; %bb.2572:                             ;   in Loop: Header=BB268_1574 Depth=1
	v_and_b32_e32 v8, 7, v8
	v_lshrrev_b32_e32 v4, 3, v18
	s_mov_b32 s17, exec_lo
	v_cmpx_gt_u32_e32 8, v18
; %bb.2573:                             ;   in Loop: Header=BB268_1574 Depth=1
	s_delay_alu instid0(VALU_DEP_3) | instskip(NEXT) | instid1(VALU_DEP_1)
	v_clz_i32_u32_e32 v4, v8
	v_min_u32_e32 v4, 32, v4
	s_delay_alu instid0(VALU_DEP_1) | instskip(SKIP_1) | instid1(VALU_DEP_2)
	v_subrev_nc_u32_e32 v5, 28, v4
	v_sub_nc_u32_e32 v4, 29, v4
	v_lshlrev_b64 v[18:19], v5, v[8:9]
	s_delay_alu instid0(VALU_DEP_1)
	v_and_b32_e32 v8, 7, v18
; %bb.2574:                             ;   in Loop: Header=BB268_1574 Depth=1
	s_or_b32 exec_lo, exec_lo, s17
	v_lshlrev_b32_e32 v5, 16, v22
	s_delay_alu instid0(VALU_DEP_2) | instskip(SKIP_1) | instid1(VALU_DEP_3)
	v_lshlrev_b32_e32 v8, 20, v8
	v_lshl_add_u32 v4, v4, 23, 0x3c000000
	v_and_b32_e32 v5, 0x80000000, v5
	s_delay_alu instid0(VALU_DEP_1)
	v_or3_b32 v5, v8, v5, v4
	v_mov_b32_e32 v4, v9
.LBB268_2575:                           ;   in Loop: Header=BB268_1574 Depth=1
	s_or_b32 exec_lo, exec_lo, s10
.LBB268_2576:                           ;   in Loop: Header=BB268_1574 Depth=1
	s_delay_alu instid0(SALU_CYCLE_1)
	s_or_b32 exec_lo, exec_lo, s16
.LBB268_2577:                           ;   in Loop: Header=BB268_1574 Depth=1
	s_delay_alu instid0(SALU_CYCLE_1) | instskip(SKIP_4) | instid1(VALU_DEP_1)
	s_or_b32 exec_lo, exec_lo, s15
	v_mov_b32_e32 v18, 0
	v_lshrrev_b32_e32 v23, 16, v22
	v_mov_b32_e32 v19, 0
	s_mov_b32 s10, exec_lo
	v_dual_mov_b32 v21, v19 :: v_dual_and_b32 v8, 0xff, v23
	v_mov_b32_e32 v20, v18
	s_delay_alu instid0(VALU_DEP_2)
	v_cmpx_ne_u16_e32 0, v8
	s_cbranch_execz .LBB268_2585
; %bb.2578:                             ;   in Loop: Header=BB268_1574 Depth=1
	v_bfrev_b32_e32 v20, 1
	v_mov_b32_e32 v21, 0
	s_mov_b32 s15, exec_lo
	v_cmpx_ne_u16_e32 0x80, v8
	s_cbranch_execz .LBB268_2584
; %bb.2579:                             ;   in Loop: Header=BB268_1574 Depth=1
	v_mov_b32_e32 v20, 0x7f800001
	v_bfe_u32 v24, v22, 16, 7
	v_mov_b32_e32 v21, 0
	s_mov_b32 s16, exec_lo
	s_delay_alu instid0(VALU_DEP_2)
	v_cmpx_ne_u32_e32 0x7f, v24
	s_cbranch_execz .LBB268_2583
; %bb.2580:                             ;   in Loop: Header=BB268_1574 Depth=1
	v_and_b32_e32 v8, 7, v23
	v_lshrrev_b32_e32 v20, 3, v24
	s_mov_b32 s17, exec_lo
	v_cmpx_gt_u32_e32 8, v24
; %bb.2581:                             ;   in Loop: Header=BB268_1574 Depth=1
	s_delay_alu instid0(VALU_DEP_3) | instskip(NEXT) | instid1(VALU_DEP_1)
	v_clz_i32_u32_e32 v20, v8
	v_min_u32_e32 v20, 32, v20
	s_delay_alu instid0(VALU_DEP_1) | instskip(SKIP_1) | instid1(VALU_DEP_2)
	v_subrev_nc_u32_e32 v21, 28, v20
	v_sub_nc_u32_e32 v20, 29, v20
	v_lshlrev_b64 v[31:32], v21, v[8:9]
	s_delay_alu instid0(VALU_DEP_1)
	v_and_b32_e32 v8, 7, v31
; %bb.2582:                             ;   in Loop: Header=BB268_1574 Depth=1
	s_or_b32 exec_lo, exec_lo, s17
	v_lshlrev_b32_e32 v21, 24, v23
	s_delay_alu instid0(VALU_DEP_2) | instskip(SKIP_1) | instid1(VALU_DEP_3)
	v_lshlrev_b32_e32 v8, 20, v8
	v_lshl_add_u32 v20, v20, 23, 0x3c000000
	v_and_b32_e32 v21, 0x80000000, v21
	s_delay_alu instid0(VALU_DEP_1) | instskip(NEXT) | instid1(VALU_DEP_1)
	v_or3_b32 v8, v8, v21, v20
	v_dual_mov_b32 v21, v9 :: v_dual_mov_b32 v20, v8
.LBB268_2583:                           ;   in Loop: Header=BB268_1574 Depth=1
	s_or_b32 exec_lo, exec_lo, s16
.LBB268_2584:                           ;   in Loop: Header=BB268_1574 Depth=1
	s_delay_alu instid0(SALU_CYCLE_1)
	s_or_b32 exec_lo, exec_lo, s15
.LBB268_2585:                           ;   in Loop: Header=BB268_1574 Depth=1
	s_delay_alu instid0(SALU_CYCLE_1) | instskip(NEXT) | instid1(SALU_CYCLE_1)
	s_or_b32 exec_lo, exec_lo, s10
	s_mov_b32 s15, exec_lo
	v_cmpx_lt_u32_e32 0xffffff, v22
	s_cbranch_execz .LBB268_2593
; %bb.2586:                             ;   in Loop: Header=BB268_1574 Depth=1
	v_lshrrev_b32_e32 v23, 24, v22
	v_dual_mov_b32 v19, s9 :: v_dual_mov_b32 v18, s8
	s_mov_b32 s16, exec_lo
	s_delay_alu instid0(VALU_DEP_2)
	v_cmpx_ne_u32_e32 0x80, v23
	s_cbranch_execz .LBB268_2592
; %bb.2587:                             ;   in Loop: Header=BB268_1574 Depth=1
	s_mov_b32 s10, s8
	v_bfe_u32 v22, v22, 24, 7
	v_dual_mov_b32 v19, s11 :: v_dual_mov_b32 v18, s10
	s_mov_b32 s10, exec_lo
	s_delay_alu instid0(VALU_DEP_2)
	v_cmpx_ne_u32_e32 0x7f, v22
	s_cbranch_execz .LBB268_2591
; %bb.2588:                             ;   in Loop: Header=BB268_1574 Depth=1
	v_and_b32_e32 v8, 7, v23
	v_lshrrev_b32_e32 v18, 3, v22
	s_mov_b32 s17, exec_lo
	v_cmpx_gt_u32_e32 8, v22
; %bb.2589:                             ;   in Loop: Header=BB268_1574 Depth=1
	s_delay_alu instid0(VALU_DEP_3) | instskip(NEXT) | instid1(VALU_DEP_1)
	v_clz_i32_u32_e32 v18, v8
	v_min_u32_e32 v18, 32, v18
	s_delay_alu instid0(VALU_DEP_1) | instskip(SKIP_1) | instid1(VALU_DEP_2)
	v_subrev_nc_u32_e32 v19, 28, v18
	v_sub_nc_u32_e32 v18, 29, v18
	v_lshlrev_b64 v[31:32], v19, v[8:9]
	s_delay_alu instid0(VALU_DEP_1)
	v_and_b32_e32 v8, 7, v31
; %bb.2590:                             ;   in Loop: Header=BB268_1574 Depth=1
	s_or_b32 exec_lo, exec_lo, s17
	v_lshlrev_b32_e32 v19, 24, v23
	s_delay_alu instid0(VALU_DEP_2) | instskip(SKIP_1) | instid1(VALU_DEP_3)
	v_lshlrev_b32_e32 v8, 20, v8
	v_lshl_add_u32 v18, v18, 23, 0x3c000000
	v_and_b32_e32 v19, 0x80000000, v19
	s_delay_alu instid0(VALU_DEP_1)
	v_or3_b32 v19, v8, v19, v18
	v_mov_b32_e32 v18, v9
.LBB268_2591:                           ;   in Loop: Header=BB268_1574 Depth=1
	s_or_b32 exec_lo, exec_lo, s10
.LBB268_2592:                           ;   in Loop: Header=BB268_1574 Depth=1
	s_delay_alu instid0(SALU_CYCLE_1)
	s_or_b32 exec_lo, exec_lo, s16
.LBB268_2593:                           ;   in Loop: Header=BB268_1574 Depth=1
	s_delay_alu instid0(SALU_CYCLE_1) | instskip(SKIP_4) | instid1(VALU_DEP_4)
	s_or_b32 exec_lo, exec_lo, s15
	v_or_b32_e32 v5, v5, v17
	v_or_b32_e32 v4, v4, v16
	;; [unrolled: 1-line block ×4, first 2 shown]
	v_mul_f32_e32 v32, v167, v5
	s_delay_alu instid0(VALU_DEP_4) | instskip(NEXT) | instid1(VALU_DEP_4)
	v_mul_f32_e32 v31, v167, v4
	v_mul_f32_e32 v20, v167, v8
	s_delay_alu instid0(VALU_DEP_4)
	v_mul_f32_e32 v21, v167, v16
	s_and_saveexec_b32 s10, vcc_lo
; %bb.2594:                             ;   in Loop: Header=BB268_1574 Depth=1
	v_cmp_lt_i32_e64 s0, v180, v35
	s_delay_alu instid0(VALU_DEP_1) | instskip(SKIP_1) | instid1(VALU_DEP_1)
	v_cndmask_b32_e64 v31, 0, v31, s0
	v_cmp_lt_i32_e64 s0, v183, v35
	v_cndmask_b32_e64 v32, 0, v32, s0
	v_cmp_lt_i32_e64 s0, v182, v35
	s_delay_alu instid0(VALU_DEP_1) | instskip(SKIP_1) | instid1(VALU_DEP_1)
	v_cndmask_b32_e64 v21, 0, v21, s0
	v_cmp_lt_i32_e64 s0, v181, v35
	v_cndmask_b32_e64 v20, 0, v20, s0
; %bb.2595:                             ;   in Loop: Header=BB268_1574 Depth=1
	s_or_b32 exec_lo, exec_lo, s10
	flat_load_b32 v22, v[14:15] offset:3840
	v_mov_b32_e32 v4, 0
	v_mov_b32_e32 v5, 0
	s_mov_b32 s10, exec_lo
	s_waitcnt vmcnt(0) lgkmcnt(0)
	s_delay_alu instid0(VALU_DEP_1) | instskip(SKIP_1) | instid1(VALU_DEP_2)
	v_dual_mov_b32 v15, v5 :: v_dual_and_b32 v8, 0xff, v22
	v_mov_b32_e32 v14, v4
	v_cmpx_ne_u16_e32 0, v8
	s_cbranch_execz .LBB268_2603
; %bb.2596:                             ;   in Loop: Header=BB268_1574 Depth=1
	v_bfrev_b32_e32 v14, 1
	v_mov_b32_e32 v15, 0
	s_mov_b32 s15, exec_lo
	v_cmpx_ne_u16_e32 0x80, v8
	s_cbranch_execz .LBB268_2602
; %bb.2597:                             ;   in Loop: Header=BB268_1574 Depth=1
	v_mov_b32_e32 v14, 0x7f800001
	v_dual_mov_b32 v15, 0 :: v_dual_and_b32 v16, 0x7f, v22
	s_mov_b32 s16, exec_lo
	s_delay_alu instid0(VALU_DEP_1)
	v_cmpx_ne_u32_e32 0x7f, v16
	s_cbranch_execz .LBB268_2601
; %bb.2598:                             ;   in Loop: Header=BB268_1574 Depth=1
	v_and_b32_e32 v8, 7, v22
	v_lshrrev_b32_e32 v14, 3, v16
	s_mov_b32 s17, exec_lo
	v_cmpx_gt_u32_e32 8, v16
; %bb.2599:                             ;   in Loop: Header=BB268_1574 Depth=1
	s_delay_alu instid0(VALU_DEP_3) | instskip(NEXT) | instid1(VALU_DEP_1)
	v_clz_i32_u32_e32 v14, v8
	v_min_u32_e32 v14, 32, v14
	s_delay_alu instid0(VALU_DEP_1) | instskip(SKIP_1) | instid1(VALU_DEP_2)
	v_subrev_nc_u32_e32 v15, 28, v14
	v_sub_nc_u32_e32 v14, 29, v14
	v_lshlrev_b64 v[15:16], v15, v[8:9]
	s_delay_alu instid0(VALU_DEP_1)
	v_and_b32_e32 v8, 7, v15
; %bb.2600:                             ;   in Loop: Header=BB268_1574 Depth=1
	s_or_b32 exec_lo, exec_lo, s17
	v_lshlrev_b32_e32 v15, 24, v22
	s_delay_alu instid0(VALU_DEP_2) | instskip(SKIP_1) | instid1(VALU_DEP_3)
	v_lshlrev_b32_e32 v8, 20, v8
	v_lshl_add_u32 v14, v14, 23, 0x3c000000
	v_and_b32_e32 v15, 0x80000000, v15
	s_delay_alu instid0(VALU_DEP_1) | instskip(NEXT) | instid1(VALU_DEP_1)
	v_or3_b32 v8, v8, v15, v14
	v_dual_mov_b32 v15, v9 :: v_dual_mov_b32 v14, v8
.LBB268_2601:                           ;   in Loop: Header=BB268_1574 Depth=1
	s_or_b32 exec_lo, exec_lo, s16
.LBB268_2602:                           ;   in Loop: Header=BB268_1574 Depth=1
	s_delay_alu instid0(SALU_CYCLE_1)
	s_or_b32 exec_lo, exec_lo, s15
.LBB268_2603:                           ;   in Loop: Header=BB268_1574 Depth=1
	s_delay_alu instid0(SALU_CYCLE_1) | instskip(SKIP_2) | instid1(VALU_DEP_1)
	s_or_b32 exec_lo, exec_lo, s10
	v_lshrrev_b16 v8, 8, v22
	s_mov_b32 s15, exec_lo
	v_cmpx_ne_u16_e32 0, v8
	s_cbranch_execz .LBB268_2611
; %bb.2604:                             ;   in Loop: Header=BB268_1574 Depth=1
	v_dual_mov_b32 v4, s8 :: v_dual_mov_b32 v5, s9
	s_mov_b32 s16, exec_lo
	v_cmpx_ne_u16_e32 0x80, v8
	s_cbranch_execz .LBB268_2610
; %bb.2605:                             ;   in Loop: Header=BB268_1574 Depth=1
	s_mov_b32 s10, s8
	v_and_b32_e32 v8, 0xffff, v8
	v_dual_mov_b32 v4, s10 :: v_dual_mov_b32 v5, s11
	s_mov_b32 s10, exec_lo
	s_delay_alu instid0(VALU_DEP_2) | instskip(NEXT) | instid1(VALU_DEP_1)
	v_and_b32_e32 v16, 0x7f, v8
	v_cmpx_ne_u32_e32 0x7f, v16
	s_cbranch_execz .LBB268_2609
; %bb.2606:                             ;   in Loop: Header=BB268_1574 Depth=1
	v_and_b32_e32 v8, 7, v8
	v_lshrrev_b32_e32 v4, 3, v16
	s_mov_b32 s17, exec_lo
	v_cmpx_gt_u32_e32 8, v16
; %bb.2607:                             ;   in Loop: Header=BB268_1574 Depth=1
	s_delay_alu instid0(VALU_DEP_3) | instskip(NEXT) | instid1(VALU_DEP_1)
	v_clz_i32_u32_e32 v4, v8
	v_min_u32_e32 v4, 32, v4
	s_delay_alu instid0(VALU_DEP_1) | instskip(SKIP_1) | instid1(VALU_DEP_2)
	v_subrev_nc_u32_e32 v5, 28, v4
	v_sub_nc_u32_e32 v4, 29, v4
	v_lshlrev_b64 v[16:17], v5, v[8:9]
	s_delay_alu instid0(VALU_DEP_1)
	v_and_b32_e32 v8, 7, v16
; %bb.2608:                             ;   in Loop: Header=BB268_1574 Depth=1
	s_or_b32 exec_lo, exec_lo, s17
	v_lshlrev_b32_e32 v5, 16, v22
	s_delay_alu instid0(VALU_DEP_2) | instskip(SKIP_1) | instid1(VALU_DEP_3)
	v_lshlrev_b32_e32 v8, 20, v8
	v_lshl_add_u32 v4, v4, 23, 0x3c000000
	v_and_b32_e32 v5, 0x80000000, v5
	s_delay_alu instid0(VALU_DEP_1)
	v_or3_b32 v5, v8, v5, v4
	v_mov_b32_e32 v4, v9
.LBB268_2609:                           ;   in Loop: Header=BB268_1574 Depth=1
	s_or_b32 exec_lo, exec_lo, s10
.LBB268_2610:                           ;   in Loop: Header=BB268_1574 Depth=1
	s_delay_alu instid0(SALU_CYCLE_1)
	s_or_b32 exec_lo, exec_lo, s16
.LBB268_2611:                           ;   in Loop: Header=BB268_1574 Depth=1
	s_delay_alu instid0(SALU_CYCLE_1) | instskip(SKIP_4) | instid1(VALU_DEP_1)
	s_or_b32 exec_lo, exec_lo, s15
	v_mov_b32_e32 v16, 0
	v_lshrrev_b32_e32 v23, 16, v22
	v_mov_b32_e32 v17, 0
	s_mov_b32 s10, exec_lo
	v_dual_mov_b32 v19, v17 :: v_dual_and_b32 v8, 0xff, v23
	v_mov_b32_e32 v18, v16
	s_delay_alu instid0(VALU_DEP_2)
	v_cmpx_ne_u16_e32 0, v8
	s_cbranch_execz .LBB268_2619
; %bb.2612:                             ;   in Loop: Header=BB268_1574 Depth=1
	v_bfrev_b32_e32 v18, 1
	v_mov_b32_e32 v19, 0
	s_mov_b32 s15, exec_lo
	v_cmpx_ne_u16_e32 0x80, v8
	s_cbranch_execz .LBB268_2618
; %bb.2613:                             ;   in Loop: Header=BB268_1574 Depth=1
	v_mov_b32_e32 v18, 0x7f800001
	v_bfe_u32 v24, v22, 16, 7
	v_mov_b32_e32 v19, 0
	s_mov_b32 s16, exec_lo
	s_delay_alu instid0(VALU_DEP_2)
	v_cmpx_ne_u32_e32 0x7f, v24
	s_cbranch_execz .LBB268_2617
; %bb.2614:                             ;   in Loop: Header=BB268_1574 Depth=1
	v_and_b32_e32 v8, 7, v23
	v_lshrrev_b32_e32 v18, 3, v24
	s_mov_b32 s17, exec_lo
	v_cmpx_gt_u32_e32 8, v24
; %bb.2615:                             ;   in Loop: Header=BB268_1574 Depth=1
	s_delay_alu instid0(VALU_DEP_3) | instskip(NEXT) | instid1(VALU_DEP_1)
	v_clz_i32_u32_e32 v18, v8
	v_min_u32_e32 v18, 32, v18
	s_delay_alu instid0(VALU_DEP_1) | instskip(SKIP_1) | instid1(VALU_DEP_2)
	v_subrev_nc_u32_e32 v19, 28, v18
	v_sub_nc_u32_e32 v18, 29, v18
	v_lshlrev_b64 v[33:34], v19, v[8:9]
	s_delay_alu instid0(VALU_DEP_1)
	v_and_b32_e32 v8, 7, v33
; %bb.2616:                             ;   in Loop: Header=BB268_1574 Depth=1
	s_or_b32 exec_lo, exec_lo, s17
	v_lshlrev_b32_e32 v19, 24, v23
	s_delay_alu instid0(VALU_DEP_2) | instskip(SKIP_1) | instid1(VALU_DEP_3)
	v_lshlrev_b32_e32 v8, 20, v8
	v_lshl_add_u32 v18, v18, 23, 0x3c000000
	v_and_b32_e32 v19, 0x80000000, v19
	s_delay_alu instid0(VALU_DEP_1) | instskip(NEXT) | instid1(VALU_DEP_1)
	v_or3_b32 v8, v8, v19, v18
	v_dual_mov_b32 v19, v9 :: v_dual_mov_b32 v18, v8
.LBB268_2617:                           ;   in Loop: Header=BB268_1574 Depth=1
	s_or_b32 exec_lo, exec_lo, s16
.LBB268_2618:                           ;   in Loop: Header=BB268_1574 Depth=1
	s_delay_alu instid0(SALU_CYCLE_1)
	s_or_b32 exec_lo, exec_lo, s15
.LBB268_2619:                           ;   in Loop: Header=BB268_1574 Depth=1
	s_delay_alu instid0(SALU_CYCLE_1) | instskip(NEXT) | instid1(SALU_CYCLE_1)
	s_or_b32 exec_lo, exec_lo, s10
	s_mov_b32 s15, exec_lo
	v_cmpx_lt_u32_e32 0xffffff, v22
	s_cbranch_execz .LBB268_2627
; %bb.2620:                             ;   in Loop: Header=BB268_1574 Depth=1
	v_lshrrev_b32_e32 v23, 24, v22
	v_dual_mov_b32 v17, s9 :: v_dual_mov_b32 v16, s8
	s_mov_b32 s16, exec_lo
	s_delay_alu instid0(VALU_DEP_2)
	v_cmpx_ne_u32_e32 0x80, v23
	s_cbranch_execz .LBB268_2626
; %bb.2621:                             ;   in Loop: Header=BB268_1574 Depth=1
	s_mov_b32 s10, s8
	v_bfe_u32 v22, v22, 24, 7
	v_dual_mov_b32 v17, s11 :: v_dual_mov_b32 v16, s10
	s_mov_b32 s10, exec_lo
	s_delay_alu instid0(VALU_DEP_2)
	v_cmpx_ne_u32_e32 0x7f, v22
	s_cbranch_execz .LBB268_2625
; %bb.2622:                             ;   in Loop: Header=BB268_1574 Depth=1
	v_and_b32_e32 v8, 7, v23
	v_lshrrev_b32_e32 v16, 3, v22
	s_mov_b32 s17, exec_lo
	v_cmpx_gt_u32_e32 8, v22
; %bb.2623:                             ;   in Loop: Header=BB268_1574 Depth=1
	s_delay_alu instid0(VALU_DEP_3) | instskip(NEXT) | instid1(VALU_DEP_1)
	v_clz_i32_u32_e32 v16, v8
	v_min_u32_e32 v16, 32, v16
	s_delay_alu instid0(VALU_DEP_1) | instskip(SKIP_1) | instid1(VALU_DEP_2)
	v_subrev_nc_u32_e32 v17, 28, v16
	v_sub_nc_u32_e32 v16, 29, v16
	v_lshlrev_b64 v[33:34], v17, v[8:9]
	s_delay_alu instid0(VALU_DEP_1)
	v_and_b32_e32 v8, 7, v33
; %bb.2624:                             ;   in Loop: Header=BB268_1574 Depth=1
	s_or_b32 exec_lo, exec_lo, s17
	v_lshlrev_b32_e32 v17, 24, v23
	s_delay_alu instid0(VALU_DEP_2) | instskip(SKIP_1) | instid1(VALU_DEP_3)
	v_lshlrev_b32_e32 v8, 20, v8
	v_lshl_add_u32 v16, v16, 23, 0x3c000000
	v_and_b32_e32 v17, 0x80000000, v17
	s_delay_alu instid0(VALU_DEP_1)
	v_or3_b32 v17, v8, v17, v16
	v_mov_b32_e32 v16, v9
.LBB268_2625:                           ;   in Loop: Header=BB268_1574 Depth=1
	s_or_b32 exec_lo, exec_lo, s10
.LBB268_2626:                           ;   in Loop: Header=BB268_1574 Depth=1
	s_delay_alu instid0(SALU_CYCLE_1)
	s_or_b32 exec_lo, exec_lo, s16
.LBB268_2627:                           ;   in Loop: Header=BB268_1574 Depth=1
	s_delay_alu instid0(SALU_CYCLE_1) | instskip(SKIP_4) | instid1(VALU_DEP_4)
	s_or_b32 exec_lo, exec_lo, s15
	v_or_b32_e32 v5, v5, v15
	v_or_b32_e32 v4, v4, v14
	;; [unrolled: 1-line block ×4, first 2 shown]
	v_mul_f32_e32 v36, v167, v5
	s_delay_alu instid0(VALU_DEP_4) | instskip(NEXT) | instid1(VALU_DEP_4)
	v_mul_f32_e32 v26, v167, v4
	v_mul_f32_e32 v33, v167, v8
	s_delay_alu instid0(VALU_DEP_4)
	v_mul_f32_e32 v34, v167, v14
	s_and_saveexec_b32 s10, vcc_lo
; %bb.2628:                             ;   in Loop: Header=BB268_1574 Depth=1
	v_cmp_lt_i32_e64 s0, v180, v35
	s_delay_alu instid0(VALU_DEP_1) | instskip(SKIP_1) | instid1(VALU_DEP_1)
	v_cndmask_b32_e64 v26, 0, v26, s0
	v_cmp_lt_i32_e64 s0, v183, v35
	v_cndmask_b32_e64 v36, 0, v36, s0
	v_cmp_lt_i32_e64 s0, v182, v35
	s_delay_alu instid0(VALU_DEP_1) | instskip(SKIP_1) | instid1(VALU_DEP_1)
	v_cndmask_b32_e64 v34, 0, v34, s0
	v_cmp_lt_i32_e64 s0, v181, v35
	v_cndmask_b32_e64 v33, 0, v33, s0
; %bb.2629:                             ;   in Loop: Header=BB268_1574 Depth=1
	s_or_b32 exec_lo, exec_lo, s10
	scratch_load_b32 v4, off, s32 offset:984 ; 4-byte Folded Reload
	s_mov_b32 s10, exec_lo
	s_waitcnt vmcnt(0)
	v_add_co_u32 v4, s0, v12, v4
	s_delay_alu instid0(VALU_DEP_1) | instskip(SKIP_4) | instid1(VALU_DEP_1)
	v_add_co_ci_u32_e64 v5, s0, 0, v13, s0
	flat_load_b32 v22, v[4:5]
	v_mov_b32_e32 v4, 0
	s_waitcnt vmcnt(0) lgkmcnt(0)
	v_dual_mov_b32 v5, 0 :: v_dual_and_b32 v8, 0xff, v22
	v_dual_mov_b32 v15, v5 :: v_dual_mov_b32 v14, v4
	s_delay_alu instid0(VALU_DEP_2)
	v_cmpx_ne_u16_e32 0, v8
	s_cbranch_execz .LBB268_2637
; %bb.2630:                             ;   in Loop: Header=BB268_1574 Depth=1
	v_bfrev_b32_e32 v14, 1
	v_mov_b32_e32 v15, 0
	s_mov_b32 s15, exec_lo
	v_cmpx_ne_u16_e32 0x80, v8
	s_cbranch_execz .LBB268_2636
; %bb.2631:                             ;   in Loop: Header=BB268_1574 Depth=1
	v_mov_b32_e32 v14, 0x7f800001
	v_dual_mov_b32 v15, 0 :: v_dual_and_b32 v16, 0x7f, v22
	s_mov_b32 s16, exec_lo
	s_delay_alu instid0(VALU_DEP_1)
	v_cmpx_ne_u32_e32 0x7f, v16
	s_cbranch_execz .LBB268_2635
; %bb.2632:                             ;   in Loop: Header=BB268_1574 Depth=1
	v_and_b32_e32 v8, 7, v22
	v_lshrrev_b32_e32 v14, 3, v16
	s_mov_b32 s17, exec_lo
	v_cmpx_gt_u32_e32 8, v16
; %bb.2633:                             ;   in Loop: Header=BB268_1574 Depth=1
	s_delay_alu instid0(VALU_DEP_3) | instskip(NEXT) | instid1(VALU_DEP_1)
	v_clz_i32_u32_e32 v14, v8
	v_min_u32_e32 v14, 32, v14
	s_delay_alu instid0(VALU_DEP_1) | instskip(SKIP_1) | instid1(VALU_DEP_2)
	v_subrev_nc_u32_e32 v15, 28, v14
	v_sub_nc_u32_e32 v14, 29, v14
	v_lshlrev_b64 v[15:16], v15, v[8:9]
	s_delay_alu instid0(VALU_DEP_1)
	v_and_b32_e32 v8, 7, v15
; %bb.2634:                             ;   in Loop: Header=BB268_1574 Depth=1
	s_or_b32 exec_lo, exec_lo, s17
	v_lshlrev_b32_e32 v15, 24, v22
	s_delay_alu instid0(VALU_DEP_2) | instskip(SKIP_1) | instid1(VALU_DEP_3)
	v_lshlrev_b32_e32 v8, 20, v8
	v_lshl_add_u32 v14, v14, 23, 0x3c000000
	v_and_b32_e32 v15, 0x80000000, v15
	s_delay_alu instid0(VALU_DEP_1) | instskip(NEXT) | instid1(VALU_DEP_1)
	v_or3_b32 v8, v8, v15, v14
	v_dual_mov_b32 v15, v9 :: v_dual_mov_b32 v14, v8
.LBB268_2635:                           ;   in Loop: Header=BB268_1574 Depth=1
	s_or_b32 exec_lo, exec_lo, s16
.LBB268_2636:                           ;   in Loop: Header=BB268_1574 Depth=1
	s_delay_alu instid0(SALU_CYCLE_1)
	s_or_b32 exec_lo, exec_lo, s15
.LBB268_2637:                           ;   in Loop: Header=BB268_1574 Depth=1
	s_delay_alu instid0(SALU_CYCLE_1) | instskip(SKIP_2) | instid1(VALU_DEP_1)
	s_or_b32 exec_lo, exec_lo, s10
	v_lshrrev_b16 v8, 8, v22
	s_mov_b32 s15, exec_lo
	v_cmpx_ne_u16_e32 0, v8
	s_cbranch_execz .LBB268_2645
; %bb.2638:                             ;   in Loop: Header=BB268_1574 Depth=1
	v_dual_mov_b32 v4, s8 :: v_dual_mov_b32 v5, s9
	s_mov_b32 s16, exec_lo
	v_cmpx_ne_u16_e32 0x80, v8
	s_cbranch_execz .LBB268_2644
; %bb.2639:                             ;   in Loop: Header=BB268_1574 Depth=1
	s_mov_b32 s10, s8
	v_and_b32_e32 v8, 0xffff, v8
	v_dual_mov_b32 v4, s10 :: v_dual_mov_b32 v5, s11
	s_mov_b32 s10, exec_lo
	s_delay_alu instid0(VALU_DEP_2) | instskip(NEXT) | instid1(VALU_DEP_1)
	v_and_b32_e32 v16, 0x7f, v8
	v_cmpx_ne_u32_e32 0x7f, v16
	s_cbranch_execz .LBB268_2643
; %bb.2640:                             ;   in Loop: Header=BB268_1574 Depth=1
	v_and_b32_e32 v8, 7, v8
	v_lshrrev_b32_e32 v4, 3, v16
	s_mov_b32 s17, exec_lo
	v_cmpx_gt_u32_e32 8, v16
; %bb.2641:                             ;   in Loop: Header=BB268_1574 Depth=1
	s_delay_alu instid0(VALU_DEP_3) | instskip(NEXT) | instid1(VALU_DEP_1)
	v_clz_i32_u32_e32 v4, v8
	v_min_u32_e32 v4, 32, v4
	s_delay_alu instid0(VALU_DEP_1) | instskip(SKIP_1) | instid1(VALU_DEP_2)
	v_subrev_nc_u32_e32 v5, 28, v4
	v_sub_nc_u32_e32 v4, 29, v4
	v_lshlrev_b64 v[16:17], v5, v[8:9]
	s_delay_alu instid0(VALU_DEP_1)
	v_and_b32_e32 v8, 7, v16
; %bb.2642:                             ;   in Loop: Header=BB268_1574 Depth=1
	s_or_b32 exec_lo, exec_lo, s17
	v_lshlrev_b32_e32 v5, 16, v22
	s_delay_alu instid0(VALU_DEP_2) | instskip(SKIP_1) | instid1(VALU_DEP_3)
	v_lshlrev_b32_e32 v8, 20, v8
	v_lshl_add_u32 v4, v4, 23, 0x3c000000
	v_and_b32_e32 v5, 0x80000000, v5
	s_delay_alu instid0(VALU_DEP_1)
	v_or3_b32 v5, v8, v5, v4
	v_mov_b32_e32 v4, v9
.LBB268_2643:                           ;   in Loop: Header=BB268_1574 Depth=1
	s_or_b32 exec_lo, exec_lo, s10
.LBB268_2644:                           ;   in Loop: Header=BB268_1574 Depth=1
	s_delay_alu instid0(SALU_CYCLE_1)
	s_or_b32 exec_lo, exec_lo, s16
.LBB268_2645:                           ;   in Loop: Header=BB268_1574 Depth=1
	s_delay_alu instid0(SALU_CYCLE_1) | instskip(SKIP_4) | instid1(VALU_DEP_1)
	s_or_b32 exec_lo, exec_lo, s15
	v_mov_b32_e32 v16, 0
	v_lshrrev_b32_e32 v23, 16, v22
	v_mov_b32_e32 v17, 0
	s_mov_b32 s10, exec_lo
	v_dual_mov_b32 v19, v17 :: v_dual_and_b32 v8, 0xff, v23
	v_mov_b32_e32 v18, v16
	s_delay_alu instid0(VALU_DEP_2)
	v_cmpx_ne_u16_e32 0, v8
	s_cbranch_execz .LBB268_2653
; %bb.2646:                             ;   in Loop: Header=BB268_1574 Depth=1
	v_bfrev_b32_e32 v18, 1
	v_mov_b32_e32 v19, 0
	s_mov_b32 s15, exec_lo
	v_cmpx_ne_u16_e32 0x80, v8
	s_cbranch_execz .LBB268_2652
; %bb.2647:                             ;   in Loop: Header=BB268_1574 Depth=1
	v_mov_b32_e32 v18, 0x7f800001
	v_bfe_u32 v24, v22, 16, 7
	v_mov_b32_e32 v19, 0
	s_mov_b32 s16, exec_lo
	s_delay_alu instid0(VALU_DEP_2)
	v_cmpx_ne_u32_e32 0x7f, v24
	s_cbranch_execz .LBB268_2651
; %bb.2648:                             ;   in Loop: Header=BB268_1574 Depth=1
	v_and_b32_e32 v8, 7, v23
	v_lshrrev_b32_e32 v18, 3, v24
	s_mov_b32 s17, exec_lo
	v_cmpx_gt_u32_e32 8, v24
; %bb.2649:                             ;   in Loop: Header=BB268_1574 Depth=1
	s_delay_alu instid0(VALU_DEP_3) | instskip(NEXT) | instid1(VALU_DEP_1)
	v_clz_i32_u32_e32 v18, v8
	v_min_u32_e32 v18, 32, v18
	s_delay_alu instid0(VALU_DEP_1) | instskip(SKIP_1) | instid1(VALU_DEP_2)
	v_subrev_nc_u32_e32 v19, 28, v18
	v_sub_nc_u32_e32 v18, 29, v18
	v_lshlrev_b64 v[37:38], v19, v[8:9]
	s_delay_alu instid0(VALU_DEP_1)
	v_and_b32_e32 v8, 7, v37
; %bb.2650:                             ;   in Loop: Header=BB268_1574 Depth=1
	s_or_b32 exec_lo, exec_lo, s17
	v_lshlrev_b32_e32 v19, 24, v23
	s_delay_alu instid0(VALU_DEP_2) | instskip(SKIP_1) | instid1(VALU_DEP_3)
	v_lshlrev_b32_e32 v8, 20, v8
	v_lshl_add_u32 v18, v18, 23, 0x3c000000
	v_and_b32_e32 v19, 0x80000000, v19
	s_delay_alu instid0(VALU_DEP_1) | instskip(NEXT) | instid1(VALU_DEP_1)
	v_or3_b32 v8, v8, v19, v18
	v_dual_mov_b32 v19, v9 :: v_dual_mov_b32 v18, v8
.LBB268_2651:                           ;   in Loop: Header=BB268_1574 Depth=1
	s_or_b32 exec_lo, exec_lo, s16
.LBB268_2652:                           ;   in Loop: Header=BB268_1574 Depth=1
	s_delay_alu instid0(SALU_CYCLE_1)
	s_or_b32 exec_lo, exec_lo, s15
.LBB268_2653:                           ;   in Loop: Header=BB268_1574 Depth=1
	s_delay_alu instid0(SALU_CYCLE_1) | instskip(NEXT) | instid1(SALU_CYCLE_1)
	s_or_b32 exec_lo, exec_lo, s10
	s_mov_b32 s15, exec_lo
	v_cmpx_lt_u32_e32 0xffffff, v22
	s_cbranch_execz .LBB268_2661
; %bb.2654:                             ;   in Loop: Header=BB268_1574 Depth=1
	v_lshrrev_b32_e32 v23, 24, v22
	v_dual_mov_b32 v17, s9 :: v_dual_mov_b32 v16, s8
	s_mov_b32 s16, exec_lo
	s_delay_alu instid0(VALU_DEP_2)
	v_cmpx_ne_u32_e32 0x80, v23
	s_cbranch_execz .LBB268_2660
; %bb.2655:                             ;   in Loop: Header=BB268_1574 Depth=1
	s_mov_b32 s10, s8
	v_bfe_u32 v22, v22, 24, 7
	v_dual_mov_b32 v17, s11 :: v_dual_mov_b32 v16, s10
	s_mov_b32 s10, exec_lo
	s_delay_alu instid0(VALU_DEP_2)
	v_cmpx_ne_u32_e32 0x7f, v22
	s_cbranch_execz .LBB268_2659
; %bb.2656:                             ;   in Loop: Header=BB268_1574 Depth=1
	v_and_b32_e32 v8, 7, v23
	v_lshrrev_b32_e32 v16, 3, v22
	s_mov_b32 s17, exec_lo
	v_cmpx_gt_u32_e32 8, v22
; %bb.2657:                             ;   in Loop: Header=BB268_1574 Depth=1
	s_delay_alu instid0(VALU_DEP_3) | instskip(NEXT) | instid1(VALU_DEP_1)
	v_clz_i32_u32_e32 v16, v8
	v_min_u32_e32 v16, 32, v16
	s_delay_alu instid0(VALU_DEP_1) | instskip(SKIP_1) | instid1(VALU_DEP_2)
	v_subrev_nc_u32_e32 v17, 28, v16
	v_sub_nc_u32_e32 v16, 29, v16
	v_lshlrev_b64 v[37:38], v17, v[8:9]
	s_delay_alu instid0(VALU_DEP_1)
	v_and_b32_e32 v8, 7, v37
; %bb.2658:                             ;   in Loop: Header=BB268_1574 Depth=1
	s_or_b32 exec_lo, exec_lo, s17
	v_lshlrev_b32_e32 v17, 24, v23
	s_delay_alu instid0(VALU_DEP_2) | instskip(SKIP_1) | instid1(VALU_DEP_3)
	v_lshlrev_b32_e32 v8, 20, v8
	v_lshl_add_u32 v16, v16, 23, 0x3c000000
	v_and_b32_e32 v17, 0x80000000, v17
	s_delay_alu instid0(VALU_DEP_1)
	v_or3_b32 v17, v8, v17, v16
	v_mov_b32_e32 v16, v9
.LBB268_2659:                           ;   in Loop: Header=BB268_1574 Depth=1
	s_or_b32 exec_lo, exec_lo, s10
.LBB268_2660:                           ;   in Loop: Header=BB268_1574 Depth=1
	s_delay_alu instid0(SALU_CYCLE_1)
	s_or_b32 exec_lo, exec_lo, s16
.LBB268_2661:                           ;   in Loop: Header=BB268_1574 Depth=1
	s_delay_alu instid0(SALU_CYCLE_1) | instskip(SKIP_4) | instid1(VALU_DEP_4)
	s_or_b32 exec_lo, exec_lo, s15
	v_or_b32_e32 v5, v5, v15
	v_or_b32_e32 v4, v4, v14
	;; [unrolled: 1-line block ×4, first 2 shown]
	v_mul_f32_e32 v48, v167, v5
	s_delay_alu instid0(VALU_DEP_4) | instskip(NEXT) | instid1(VALU_DEP_4)
	v_mul_f32_e32 v39, v167, v4
	v_mul_f32_e32 v37, v167, v8
	s_delay_alu instid0(VALU_DEP_4)
	v_mul_f32_e32 v38, v167, v14
	s_and_saveexec_b32 s10, vcc_lo
; %bb.2662:                             ;   in Loop: Header=BB268_1574 Depth=1
	v_cmp_lt_i32_e64 s0, v180, v35
	s_delay_alu instid0(VALU_DEP_1) | instskip(SKIP_1) | instid1(VALU_DEP_1)
	v_cndmask_b32_e64 v39, 0, v39, s0
	v_cmp_lt_i32_e64 s0, v183, v35
	v_cndmask_b32_e64 v48, 0, v48, s0
	v_cmp_lt_i32_e64 s0, v182, v35
	s_delay_alu instid0(VALU_DEP_1) | instskip(SKIP_1) | instid1(VALU_DEP_1)
	v_cndmask_b32_e64 v38, 0, v38, s0
	v_cmp_lt_i32_e64 s0, v181, v35
	v_cndmask_b32_e64 v37, 0, v37, s0
; %bb.2663:                             ;   in Loop: Header=BB268_1574 Depth=1
	s_or_b32 exec_lo, exec_lo, s10
	scratch_load_b32 v4, off, s32 offset:992 ; 4-byte Folded Reload
	s_mov_b32 s10, exec_lo
	s_waitcnt vmcnt(0)
	v_add_co_u32 v4, s0, v12, v4
	s_delay_alu instid0(VALU_DEP_1) | instskip(SKIP_4) | instid1(VALU_DEP_1)
	v_add_co_ci_u32_e64 v5, s0, 0, v13, s0
	flat_load_b32 v22, v[4:5]
	v_mov_b32_e32 v4, 0
	s_waitcnt vmcnt(0) lgkmcnt(0)
	v_dual_mov_b32 v5, 0 :: v_dual_and_b32 v8, 0xff, v22
	v_dual_mov_b32 v15, v5 :: v_dual_mov_b32 v14, v4
	s_delay_alu instid0(VALU_DEP_2)
	v_cmpx_ne_u16_e32 0, v8
	s_cbranch_execz .LBB268_2671
; %bb.2664:                             ;   in Loop: Header=BB268_1574 Depth=1
	v_bfrev_b32_e32 v14, 1
	v_mov_b32_e32 v15, 0
	s_mov_b32 s15, exec_lo
	v_cmpx_ne_u16_e32 0x80, v8
	s_cbranch_execz .LBB268_2670
; %bb.2665:                             ;   in Loop: Header=BB268_1574 Depth=1
	v_mov_b32_e32 v14, 0x7f800001
	v_dual_mov_b32 v15, 0 :: v_dual_and_b32 v16, 0x7f, v22
	s_mov_b32 s16, exec_lo
	s_delay_alu instid0(VALU_DEP_1)
	v_cmpx_ne_u32_e32 0x7f, v16
	s_cbranch_execz .LBB268_2669
; %bb.2666:                             ;   in Loop: Header=BB268_1574 Depth=1
	v_and_b32_e32 v8, 7, v22
	v_lshrrev_b32_e32 v14, 3, v16
	s_mov_b32 s17, exec_lo
	v_cmpx_gt_u32_e32 8, v16
; %bb.2667:                             ;   in Loop: Header=BB268_1574 Depth=1
	s_delay_alu instid0(VALU_DEP_3) | instskip(NEXT) | instid1(VALU_DEP_1)
	v_clz_i32_u32_e32 v14, v8
	v_min_u32_e32 v14, 32, v14
	s_delay_alu instid0(VALU_DEP_1) | instskip(SKIP_1) | instid1(VALU_DEP_2)
	v_subrev_nc_u32_e32 v15, 28, v14
	v_sub_nc_u32_e32 v14, 29, v14
	v_lshlrev_b64 v[15:16], v15, v[8:9]
	s_delay_alu instid0(VALU_DEP_1)
	v_and_b32_e32 v8, 7, v15
; %bb.2668:                             ;   in Loop: Header=BB268_1574 Depth=1
	s_or_b32 exec_lo, exec_lo, s17
	v_lshlrev_b32_e32 v15, 24, v22
	s_delay_alu instid0(VALU_DEP_2) | instskip(SKIP_1) | instid1(VALU_DEP_3)
	v_lshlrev_b32_e32 v8, 20, v8
	v_lshl_add_u32 v14, v14, 23, 0x3c000000
	v_and_b32_e32 v15, 0x80000000, v15
	s_delay_alu instid0(VALU_DEP_1) | instskip(NEXT) | instid1(VALU_DEP_1)
	v_or3_b32 v8, v8, v15, v14
	v_dual_mov_b32 v15, v9 :: v_dual_mov_b32 v14, v8
.LBB268_2669:                           ;   in Loop: Header=BB268_1574 Depth=1
	s_or_b32 exec_lo, exec_lo, s16
.LBB268_2670:                           ;   in Loop: Header=BB268_1574 Depth=1
	s_delay_alu instid0(SALU_CYCLE_1)
	s_or_b32 exec_lo, exec_lo, s15
.LBB268_2671:                           ;   in Loop: Header=BB268_1574 Depth=1
	s_delay_alu instid0(SALU_CYCLE_1) | instskip(SKIP_2) | instid1(VALU_DEP_1)
	s_or_b32 exec_lo, exec_lo, s10
	v_lshrrev_b16 v8, 8, v22
	s_mov_b32 s15, exec_lo
	v_cmpx_ne_u16_e32 0, v8
	s_cbranch_execz .LBB268_2679
; %bb.2672:                             ;   in Loop: Header=BB268_1574 Depth=1
	v_dual_mov_b32 v4, s8 :: v_dual_mov_b32 v5, s9
	s_mov_b32 s16, exec_lo
	v_cmpx_ne_u16_e32 0x80, v8
	s_cbranch_execz .LBB268_2678
; %bb.2673:                             ;   in Loop: Header=BB268_1574 Depth=1
	s_mov_b32 s10, s8
	v_and_b32_e32 v8, 0xffff, v8
	v_dual_mov_b32 v4, s10 :: v_dual_mov_b32 v5, s11
	s_mov_b32 s10, exec_lo
	s_delay_alu instid0(VALU_DEP_2) | instskip(NEXT) | instid1(VALU_DEP_1)
	v_and_b32_e32 v16, 0x7f, v8
	v_cmpx_ne_u32_e32 0x7f, v16
	s_cbranch_execz .LBB268_2677
; %bb.2674:                             ;   in Loop: Header=BB268_1574 Depth=1
	v_and_b32_e32 v8, 7, v8
	v_lshrrev_b32_e32 v4, 3, v16
	s_mov_b32 s17, exec_lo
	v_cmpx_gt_u32_e32 8, v16
; %bb.2675:                             ;   in Loop: Header=BB268_1574 Depth=1
	s_delay_alu instid0(VALU_DEP_3) | instskip(NEXT) | instid1(VALU_DEP_1)
	v_clz_i32_u32_e32 v4, v8
	v_min_u32_e32 v4, 32, v4
	s_delay_alu instid0(VALU_DEP_1) | instskip(SKIP_1) | instid1(VALU_DEP_2)
	v_subrev_nc_u32_e32 v5, 28, v4
	v_sub_nc_u32_e32 v4, 29, v4
	v_lshlrev_b64 v[16:17], v5, v[8:9]
	s_delay_alu instid0(VALU_DEP_1)
	v_and_b32_e32 v8, 7, v16
; %bb.2676:                             ;   in Loop: Header=BB268_1574 Depth=1
	s_or_b32 exec_lo, exec_lo, s17
	v_lshlrev_b32_e32 v5, 16, v22
	s_delay_alu instid0(VALU_DEP_2) | instskip(SKIP_1) | instid1(VALU_DEP_3)
	v_lshlrev_b32_e32 v8, 20, v8
	v_lshl_add_u32 v4, v4, 23, 0x3c000000
	v_and_b32_e32 v5, 0x80000000, v5
	s_delay_alu instid0(VALU_DEP_1)
	v_or3_b32 v5, v8, v5, v4
	v_mov_b32_e32 v4, v9
.LBB268_2677:                           ;   in Loop: Header=BB268_1574 Depth=1
	s_or_b32 exec_lo, exec_lo, s10
.LBB268_2678:                           ;   in Loop: Header=BB268_1574 Depth=1
	s_delay_alu instid0(SALU_CYCLE_1)
	s_or_b32 exec_lo, exec_lo, s16
.LBB268_2679:                           ;   in Loop: Header=BB268_1574 Depth=1
	s_delay_alu instid0(SALU_CYCLE_1) | instskip(SKIP_4) | instid1(VALU_DEP_1)
	s_or_b32 exec_lo, exec_lo, s15
	v_mov_b32_e32 v16, 0
	v_lshrrev_b32_e32 v23, 16, v22
	v_mov_b32_e32 v17, 0
	s_mov_b32 s10, exec_lo
	v_dual_mov_b32 v19, v17 :: v_dual_and_b32 v8, 0xff, v23
	v_mov_b32_e32 v18, v16
	s_delay_alu instid0(VALU_DEP_2)
	v_cmpx_ne_u16_e32 0, v8
	s_cbranch_execz .LBB268_2687
; %bb.2680:                             ;   in Loop: Header=BB268_1574 Depth=1
	v_bfrev_b32_e32 v18, 1
	v_mov_b32_e32 v19, 0
	s_mov_b32 s15, exec_lo
	v_cmpx_ne_u16_e32 0x80, v8
	s_cbranch_execz .LBB268_2686
; %bb.2681:                             ;   in Loop: Header=BB268_1574 Depth=1
	v_mov_b32_e32 v18, 0x7f800001
	v_bfe_u32 v24, v22, 16, 7
	v_mov_b32_e32 v19, 0
	s_mov_b32 s16, exec_lo
	s_delay_alu instid0(VALU_DEP_2)
	v_cmpx_ne_u32_e32 0x7f, v24
	s_cbranch_execz .LBB268_2685
; %bb.2682:                             ;   in Loop: Header=BB268_1574 Depth=1
	v_and_b32_e32 v8, 7, v23
	v_lshrrev_b32_e32 v18, 3, v24
	s_mov_b32 s17, exec_lo
	v_cmpx_gt_u32_e32 8, v24
; %bb.2683:                             ;   in Loop: Header=BB268_1574 Depth=1
	s_delay_alu instid0(VALU_DEP_3) | instskip(NEXT) | instid1(VALU_DEP_1)
	v_clz_i32_u32_e32 v18, v8
	v_min_u32_e32 v18, 32, v18
	s_delay_alu instid0(VALU_DEP_1) | instskip(SKIP_1) | instid1(VALU_DEP_2)
	v_subrev_nc_u32_e32 v19, 28, v18
	v_sub_nc_u32_e32 v18, 29, v18
	v_lshlrev_b64 v[49:50], v19, v[8:9]
	s_delay_alu instid0(VALU_DEP_1)
	v_and_b32_e32 v8, 7, v49
; %bb.2684:                             ;   in Loop: Header=BB268_1574 Depth=1
	s_or_b32 exec_lo, exec_lo, s17
	v_lshlrev_b32_e32 v19, 24, v23
	s_delay_alu instid0(VALU_DEP_2) | instskip(SKIP_1) | instid1(VALU_DEP_3)
	v_lshlrev_b32_e32 v8, 20, v8
	v_lshl_add_u32 v18, v18, 23, 0x3c000000
	v_and_b32_e32 v19, 0x80000000, v19
	s_delay_alu instid0(VALU_DEP_1) | instskip(NEXT) | instid1(VALU_DEP_1)
	v_or3_b32 v8, v8, v19, v18
	v_dual_mov_b32 v19, v9 :: v_dual_mov_b32 v18, v8
.LBB268_2685:                           ;   in Loop: Header=BB268_1574 Depth=1
	s_or_b32 exec_lo, exec_lo, s16
.LBB268_2686:                           ;   in Loop: Header=BB268_1574 Depth=1
	s_delay_alu instid0(SALU_CYCLE_1)
	s_or_b32 exec_lo, exec_lo, s15
.LBB268_2687:                           ;   in Loop: Header=BB268_1574 Depth=1
	s_delay_alu instid0(SALU_CYCLE_1) | instskip(NEXT) | instid1(SALU_CYCLE_1)
	s_or_b32 exec_lo, exec_lo, s10
	s_mov_b32 s15, exec_lo
	v_cmpx_lt_u32_e32 0xffffff, v22
	s_cbranch_execz .LBB268_2695
; %bb.2688:                             ;   in Loop: Header=BB268_1574 Depth=1
	v_lshrrev_b32_e32 v23, 24, v22
	v_dual_mov_b32 v17, s9 :: v_dual_mov_b32 v16, s8
	s_mov_b32 s16, exec_lo
	s_delay_alu instid0(VALU_DEP_2)
	v_cmpx_ne_u32_e32 0x80, v23
	s_cbranch_execz .LBB268_2694
; %bb.2689:                             ;   in Loop: Header=BB268_1574 Depth=1
	s_mov_b32 s10, s8
	v_bfe_u32 v22, v22, 24, 7
	v_dual_mov_b32 v17, s11 :: v_dual_mov_b32 v16, s10
	s_mov_b32 s10, exec_lo
	s_delay_alu instid0(VALU_DEP_2)
	v_cmpx_ne_u32_e32 0x7f, v22
	s_cbranch_execz .LBB268_2693
; %bb.2690:                             ;   in Loop: Header=BB268_1574 Depth=1
	v_and_b32_e32 v8, 7, v23
	v_lshrrev_b32_e32 v16, 3, v22
	s_mov_b32 s17, exec_lo
	v_cmpx_gt_u32_e32 8, v22
; %bb.2691:                             ;   in Loop: Header=BB268_1574 Depth=1
	s_delay_alu instid0(VALU_DEP_3) | instskip(NEXT) | instid1(VALU_DEP_1)
	v_clz_i32_u32_e32 v16, v8
	v_min_u32_e32 v16, 32, v16
	s_delay_alu instid0(VALU_DEP_1) | instskip(SKIP_1) | instid1(VALU_DEP_2)
	v_subrev_nc_u32_e32 v17, 28, v16
	v_sub_nc_u32_e32 v16, 29, v16
	v_lshlrev_b64 v[49:50], v17, v[8:9]
	s_delay_alu instid0(VALU_DEP_1)
	v_and_b32_e32 v8, 7, v49
; %bb.2692:                             ;   in Loop: Header=BB268_1574 Depth=1
	s_or_b32 exec_lo, exec_lo, s17
	v_lshlrev_b32_e32 v17, 24, v23
	s_delay_alu instid0(VALU_DEP_2) | instskip(SKIP_1) | instid1(VALU_DEP_3)
	v_lshlrev_b32_e32 v8, 20, v8
	v_lshl_add_u32 v16, v16, 23, 0x3c000000
	v_and_b32_e32 v17, 0x80000000, v17
	s_delay_alu instid0(VALU_DEP_1)
	v_or3_b32 v17, v8, v17, v16
	v_mov_b32_e32 v16, v9
.LBB268_2693:                           ;   in Loop: Header=BB268_1574 Depth=1
	s_or_b32 exec_lo, exec_lo, s10
.LBB268_2694:                           ;   in Loop: Header=BB268_1574 Depth=1
	s_delay_alu instid0(SALU_CYCLE_1)
	s_or_b32 exec_lo, exec_lo, s16
.LBB268_2695:                           ;   in Loop: Header=BB268_1574 Depth=1
	s_delay_alu instid0(SALU_CYCLE_1) | instskip(SKIP_4) | instid1(VALU_DEP_4)
	s_or_b32 exec_lo, exec_lo, s15
	v_or_b32_e32 v5, v5, v15
	v_or_b32_e32 v4, v4, v14
	;; [unrolled: 1-line block ×4, first 2 shown]
	v_mul_f32_e32 v52, v167, v5
	s_delay_alu instid0(VALU_DEP_4) | instskip(NEXT) | instid1(VALU_DEP_4)
	v_mul_f32_e32 v51, v167, v4
	v_mul_f32_e32 v49, v167, v8
	s_delay_alu instid0(VALU_DEP_4)
	v_mul_f32_e32 v50, v167, v14
	s_and_saveexec_b32 s10, vcc_lo
; %bb.2696:                             ;   in Loop: Header=BB268_1574 Depth=1
	v_cmp_lt_i32_e64 s0, v180, v35
	s_delay_alu instid0(VALU_DEP_1) | instskip(SKIP_1) | instid1(VALU_DEP_1)
	v_cndmask_b32_e64 v51, 0, v51, s0
	v_cmp_lt_i32_e64 s0, v183, v35
	v_cndmask_b32_e64 v52, 0, v52, s0
	v_cmp_lt_i32_e64 s0, v182, v35
	s_delay_alu instid0(VALU_DEP_1) | instskip(SKIP_1) | instid1(VALU_DEP_1)
	v_cndmask_b32_e64 v50, 0, v50, s0
	v_cmp_lt_i32_e64 s0, v181, v35
	v_cndmask_b32_e64 v49, 0, v49, s0
; %bb.2697:                             ;   in Loop: Header=BB268_1574 Depth=1
	s_or_b32 exec_lo, exec_lo, s10
	scratch_load_b32 v4, off, s32 offset:1000 ; 4-byte Folded Reload
	s_mov_b32 s10, exec_lo
	s_waitcnt vmcnt(0)
	v_add_co_u32 v4, s0, v12, v4
	s_delay_alu instid0(VALU_DEP_1) | instskip(SKIP_4) | instid1(VALU_DEP_1)
	v_add_co_ci_u32_e64 v5, s0, 0, v13, s0
	flat_load_b32 v22, v[4:5]
	v_mov_b32_e32 v4, 0
	s_waitcnt vmcnt(0) lgkmcnt(0)
	v_dual_mov_b32 v5, 0 :: v_dual_and_b32 v8, 0xff, v22
	v_dual_mov_b32 v15, v5 :: v_dual_mov_b32 v14, v4
	s_delay_alu instid0(VALU_DEP_2)
	v_cmpx_ne_u16_e32 0, v8
	s_cbranch_execz .LBB268_2705
; %bb.2698:                             ;   in Loop: Header=BB268_1574 Depth=1
	v_bfrev_b32_e32 v14, 1
	v_mov_b32_e32 v15, 0
	s_mov_b32 s15, exec_lo
	v_cmpx_ne_u16_e32 0x80, v8
	s_cbranch_execz .LBB268_2704
; %bb.2699:                             ;   in Loop: Header=BB268_1574 Depth=1
	v_mov_b32_e32 v14, 0x7f800001
	v_dual_mov_b32 v15, 0 :: v_dual_and_b32 v16, 0x7f, v22
	s_mov_b32 s16, exec_lo
	s_delay_alu instid0(VALU_DEP_1)
	v_cmpx_ne_u32_e32 0x7f, v16
	s_cbranch_execz .LBB268_2703
; %bb.2700:                             ;   in Loop: Header=BB268_1574 Depth=1
	v_and_b32_e32 v8, 7, v22
	v_lshrrev_b32_e32 v14, 3, v16
	s_mov_b32 s17, exec_lo
	v_cmpx_gt_u32_e32 8, v16
; %bb.2701:                             ;   in Loop: Header=BB268_1574 Depth=1
	s_delay_alu instid0(VALU_DEP_3) | instskip(NEXT) | instid1(VALU_DEP_1)
	v_clz_i32_u32_e32 v14, v8
	v_min_u32_e32 v14, 32, v14
	s_delay_alu instid0(VALU_DEP_1) | instskip(SKIP_1) | instid1(VALU_DEP_2)
	v_subrev_nc_u32_e32 v15, 28, v14
	v_sub_nc_u32_e32 v14, 29, v14
	v_lshlrev_b64 v[15:16], v15, v[8:9]
	s_delay_alu instid0(VALU_DEP_1)
	v_and_b32_e32 v8, 7, v15
; %bb.2702:                             ;   in Loop: Header=BB268_1574 Depth=1
	s_or_b32 exec_lo, exec_lo, s17
	v_lshlrev_b32_e32 v15, 24, v22
	s_delay_alu instid0(VALU_DEP_2) | instskip(SKIP_1) | instid1(VALU_DEP_3)
	v_lshlrev_b32_e32 v8, 20, v8
	v_lshl_add_u32 v14, v14, 23, 0x3c000000
	v_and_b32_e32 v15, 0x80000000, v15
	s_delay_alu instid0(VALU_DEP_1) | instskip(NEXT) | instid1(VALU_DEP_1)
	v_or3_b32 v8, v8, v15, v14
	v_dual_mov_b32 v15, v9 :: v_dual_mov_b32 v14, v8
.LBB268_2703:                           ;   in Loop: Header=BB268_1574 Depth=1
	s_or_b32 exec_lo, exec_lo, s16
.LBB268_2704:                           ;   in Loop: Header=BB268_1574 Depth=1
	s_delay_alu instid0(SALU_CYCLE_1)
	s_or_b32 exec_lo, exec_lo, s15
.LBB268_2705:                           ;   in Loop: Header=BB268_1574 Depth=1
	s_delay_alu instid0(SALU_CYCLE_1) | instskip(SKIP_2) | instid1(VALU_DEP_1)
	s_or_b32 exec_lo, exec_lo, s10
	v_lshrrev_b16 v8, 8, v22
	s_mov_b32 s15, exec_lo
	v_cmpx_ne_u16_e32 0, v8
	s_cbranch_execz .LBB268_2713
; %bb.2706:                             ;   in Loop: Header=BB268_1574 Depth=1
	v_dual_mov_b32 v4, s8 :: v_dual_mov_b32 v5, s9
	s_mov_b32 s16, exec_lo
	v_cmpx_ne_u16_e32 0x80, v8
	s_cbranch_execz .LBB268_2712
; %bb.2707:                             ;   in Loop: Header=BB268_1574 Depth=1
	s_mov_b32 s10, s8
	v_and_b32_e32 v8, 0xffff, v8
	v_dual_mov_b32 v4, s10 :: v_dual_mov_b32 v5, s11
	s_mov_b32 s10, exec_lo
	s_delay_alu instid0(VALU_DEP_2) | instskip(NEXT) | instid1(VALU_DEP_1)
	v_and_b32_e32 v16, 0x7f, v8
	v_cmpx_ne_u32_e32 0x7f, v16
	s_cbranch_execz .LBB268_2711
; %bb.2708:                             ;   in Loop: Header=BB268_1574 Depth=1
	v_and_b32_e32 v8, 7, v8
	v_lshrrev_b32_e32 v4, 3, v16
	s_mov_b32 s17, exec_lo
	v_cmpx_gt_u32_e32 8, v16
; %bb.2709:                             ;   in Loop: Header=BB268_1574 Depth=1
	s_delay_alu instid0(VALU_DEP_3) | instskip(NEXT) | instid1(VALU_DEP_1)
	v_clz_i32_u32_e32 v4, v8
	v_min_u32_e32 v4, 32, v4
	s_delay_alu instid0(VALU_DEP_1) | instskip(SKIP_1) | instid1(VALU_DEP_2)
	v_subrev_nc_u32_e32 v5, 28, v4
	v_sub_nc_u32_e32 v4, 29, v4
	v_lshlrev_b64 v[16:17], v5, v[8:9]
	s_delay_alu instid0(VALU_DEP_1)
	v_and_b32_e32 v8, 7, v16
; %bb.2710:                             ;   in Loop: Header=BB268_1574 Depth=1
	s_or_b32 exec_lo, exec_lo, s17
	v_lshlrev_b32_e32 v5, 16, v22
	s_delay_alu instid0(VALU_DEP_2) | instskip(SKIP_1) | instid1(VALU_DEP_3)
	v_lshlrev_b32_e32 v8, 20, v8
	v_lshl_add_u32 v4, v4, 23, 0x3c000000
	v_and_b32_e32 v5, 0x80000000, v5
	s_delay_alu instid0(VALU_DEP_1)
	v_or3_b32 v5, v8, v5, v4
	v_mov_b32_e32 v4, v9
.LBB268_2711:                           ;   in Loop: Header=BB268_1574 Depth=1
	s_or_b32 exec_lo, exec_lo, s10
.LBB268_2712:                           ;   in Loop: Header=BB268_1574 Depth=1
	s_delay_alu instid0(SALU_CYCLE_1)
	s_or_b32 exec_lo, exec_lo, s16
.LBB268_2713:                           ;   in Loop: Header=BB268_1574 Depth=1
	s_delay_alu instid0(SALU_CYCLE_1) | instskip(SKIP_4) | instid1(VALU_DEP_1)
	s_or_b32 exec_lo, exec_lo, s15
	v_mov_b32_e32 v16, 0
	v_lshrrev_b32_e32 v23, 16, v22
	v_mov_b32_e32 v17, 0
	s_mov_b32 s10, exec_lo
	v_dual_mov_b32 v19, v17 :: v_dual_and_b32 v8, 0xff, v23
	v_mov_b32_e32 v18, v16
	s_delay_alu instid0(VALU_DEP_2)
	v_cmpx_ne_u16_e32 0, v8
	s_cbranch_execz .LBB268_2721
; %bb.2714:                             ;   in Loop: Header=BB268_1574 Depth=1
	v_bfrev_b32_e32 v18, 1
	v_mov_b32_e32 v19, 0
	s_mov_b32 s15, exec_lo
	v_cmpx_ne_u16_e32 0x80, v8
	s_cbranch_execz .LBB268_2720
; %bb.2715:                             ;   in Loop: Header=BB268_1574 Depth=1
	v_mov_b32_e32 v18, 0x7f800001
	v_bfe_u32 v24, v22, 16, 7
	v_mov_b32_e32 v19, 0
	s_mov_b32 s16, exec_lo
	s_delay_alu instid0(VALU_DEP_2)
	v_cmpx_ne_u32_e32 0x7f, v24
	s_cbranch_execz .LBB268_2719
; %bb.2716:                             ;   in Loop: Header=BB268_1574 Depth=1
	v_and_b32_e32 v8, 7, v23
	v_lshrrev_b32_e32 v18, 3, v24
	s_mov_b32 s17, exec_lo
	v_cmpx_gt_u32_e32 8, v24
; %bb.2717:                             ;   in Loop: Header=BB268_1574 Depth=1
	s_delay_alu instid0(VALU_DEP_3) | instskip(NEXT) | instid1(VALU_DEP_1)
	v_clz_i32_u32_e32 v18, v8
	v_min_u32_e32 v18, 32, v18
	s_delay_alu instid0(VALU_DEP_1) | instskip(SKIP_1) | instid1(VALU_DEP_2)
	v_subrev_nc_u32_e32 v19, 28, v18
	v_sub_nc_u32_e32 v18, 29, v18
	v_lshlrev_b64 v[53:54], v19, v[8:9]
	s_delay_alu instid0(VALU_DEP_1)
	v_and_b32_e32 v8, 7, v53
; %bb.2718:                             ;   in Loop: Header=BB268_1574 Depth=1
	s_or_b32 exec_lo, exec_lo, s17
	v_lshlrev_b32_e32 v19, 24, v23
	s_delay_alu instid0(VALU_DEP_2) | instskip(SKIP_1) | instid1(VALU_DEP_3)
	v_lshlrev_b32_e32 v8, 20, v8
	v_lshl_add_u32 v18, v18, 23, 0x3c000000
	v_and_b32_e32 v19, 0x80000000, v19
	s_delay_alu instid0(VALU_DEP_1) | instskip(NEXT) | instid1(VALU_DEP_1)
	v_or3_b32 v8, v8, v19, v18
	v_dual_mov_b32 v19, v9 :: v_dual_mov_b32 v18, v8
.LBB268_2719:                           ;   in Loop: Header=BB268_1574 Depth=1
	s_or_b32 exec_lo, exec_lo, s16
.LBB268_2720:                           ;   in Loop: Header=BB268_1574 Depth=1
	s_delay_alu instid0(SALU_CYCLE_1)
	s_or_b32 exec_lo, exec_lo, s15
.LBB268_2721:                           ;   in Loop: Header=BB268_1574 Depth=1
	s_delay_alu instid0(SALU_CYCLE_1) | instskip(NEXT) | instid1(SALU_CYCLE_1)
	s_or_b32 exec_lo, exec_lo, s10
	s_mov_b32 s15, exec_lo
	v_cmpx_lt_u32_e32 0xffffff, v22
	s_cbranch_execz .LBB268_2729
; %bb.2722:                             ;   in Loop: Header=BB268_1574 Depth=1
	v_lshrrev_b32_e32 v23, 24, v22
	v_dual_mov_b32 v17, s9 :: v_dual_mov_b32 v16, s8
	s_mov_b32 s16, exec_lo
	s_delay_alu instid0(VALU_DEP_2)
	v_cmpx_ne_u32_e32 0x80, v23
	s_cbranch_execz .LBB268_2728
; %bb.2723:                             ;   in Loop: Header=BB268_1574 Depth=1
	s_mov_b32 s10, s8
	v_bfe_u32 v24, v22, 24, 7
	v_dual_mov_b32 v17, s11 :: v_dual_mov_b32 v16, s10
	s_mov_b32 s10, exec_lo
	s_delay_alu instid0(VALU_DEP_2)
	v_cmpx_ne_u32_e32 0x7f, v24
	s_cbranch_execz .LBB268_2727
; %bb.2724:                             ;   in Loop: Header=BB268_1574 Depth=1
	v_and_b32_e32 v8, 7, v23
	v_lshrrev_b32_e32 v22, 3, v24
	v_mov_b32_e32 v17, v9
	s_mov_b32 s17, exec_lo
	s_delay_alu instid0(VALU_DEP_3)
	v_mov_b32_e32 v16, v8
	v_cmpx_gt_u32_e32 8, v24
; %bb.2725:                             ;   in Loop: Header=BB268_1574 Depth=1
	v_clz_i32_u32_e32 v16, v8
	s_delay_alu instid0(VALU_DEP_1) | instskip(NEXT) | instid1(VALU_DEP_1)
	v_min_u32_e32 v22, 32, v16
	v_subrev_nc_u32_e32 v16, 28, v22
	v_sub_nc_u32_e32 v22, 29, v22
	s_delay_alu instid0(VALU_DEP_2) | instskip(NEXT) | instid1(VALU_DEP_1)
	v_lshlrev_b64 v[16:17], v16, v[8:9]
	v_and_b32_e32 v16, 7, v16
; %bb.2726:                             ;   in Loop: Header=BB268_1574 Depth=1
	s_or_b32 exec_lo, exec_lo, s17
	v_lshlrev_b32_e32 v8, 24, v23
	s_delay_alu instid0(VALU_DEP_2) | instskip(SKIP_1) | instid1(VALU_DEP_3)
	v_lshlrev_b32_e32 v16, 20, v16
	v_lshl_add_u32 v17, v22, 23, 0x3c000000
	v_and_b32_e32 v8, 0x80000000, v8
	s_delay_alu instid0(VALU_DEP_1)
	v_or3_b32 v17, v16, v8, v17
	v_mov_b32_e32 v16, v9
.LBB268_2727:                           ;   in Loop: Header=BB268_1574 Depth=1
	s_or_b32 exec_lo, exec_lo, s10
.LBB268_2728:                           ;   in Loop: Header=BB268_1574 Depth=1
	s_delay_alu instid0(SALU_CYCLE_1)
	s_or_b32 exec_lo, exec_lo, s16
.LBB268_2729:                           ;   in Loop: Header=BB268_1574 Depth=1
	s_delay_alu instid0(SALU_CYCLE_1) | instskip(SKIP_4) | instid1(VALU_DEP_4)
	s_or_b32 exec_lo, exec_lo, s15
	v_or_b32_e32 v5, v5, v15
	v_or_b32_e32 v4, v4, v14
	;; [unrolled: 1-line block ×4, first 2 shown]
	v_mul_f32_e32 v64, v167, v5
	s_delay_alu instid0(VALU_DEP_4) | instskip(NEXT) | instid1(VALU_DEP_4)
	v_mul_f32_e32 v55, v167, v4
	v_mul_f32_e32 v53, v167, v8
	s_delay_alu instid0(VALU_DEP_4)
	v_mul_f32_e32 v54, v167, v14
	s_and_saveexec_b32 s10, vcc_lo
; %bb.2730:                             ;   in Loop: Header=BB268_1574 Depth=1
	v_cmp_lt_i32_e64 s0, v180, v35
	s_delay_alu instid0(VALU_DEP_1) | instskip(SKIP_1) | instid1(VALU_DEP_1)
	v_cndmask_b32_e64 v55, 0, v55, s0
	v_cmp_lt_i32_e64 s0, v183, v35
	v_cndmask_b32_e64 v64, 0, v64, s0
	v_cmp_lt_i32_e64 s0, v182, v35
	s_delay_alu instid0(VALU_DEP_1) | instskip(SKIP_1) | instid1(VALU_DEP_1)
	v_cndmask_b32_e64 v54, 0, v54, s0
	v_cmp_lt_i32_e64 s0, v181, v35
	v_cndmask_b32_e64 v53, 0, v53, s0
; %bb.2731:                             ;   in Loop: Header=BB268_1574 Depth=1
	s_or_b32 exec_lo, exec_lo, s10
	scratch_load_b32 v4, off, s32 offset:1008 ; 4-byte Folded Reload
	s_mov_b32 s10, exec_lo
	s_waitcnt vmcnt(0)
	v_add_co_u32 v4, s0, v12, v4
	s_delay_alu instid0(VALU_DEP_1) | instskip(SKIP_4) | instid1(VALU_DEP_1)
	v_add_co_ci_u32_e64 v5, s0, 0, v13, s0
	flat_load_b32 v22, v[4:5]
	v_mov_b32_e32 v4, 0
	s_waitcnt vmcnt(0) lgkmcnt(0)
	v_dual_mov_b32 v5, 0 :: v_dual_and_b32 v8, 0xff, v22
	v_dual_mov_b32 v15, v5 :: v_dual_mov_b32 v14, v4
	s_delay_alu instid0(VALU_DEP_2)
	v_cmpx_ne_u16_e32 0, v8
	s_cbranch_execz .LBB268_2739
; %bb.2732:                             ;   in Loop: Header=BB268_1574 Depth=1
	v_bfrev_b32_e32 v14, 1
	v_mov_b32_e32 v15, 0
	s_mov_b32 s15, exec_lo
	v_cmpx_ne_u16_e32 0x80, v8
	s_cbranch_execz .LBB268_2738
; %bb.2733:                             ;   in Loop: Header=BB268_1574 Depth=1
	v_mov_b32_e32 v14, 0x7f800001
	v_and_b32_e32 v17, 0x7f, v22
	v_mov_b32_e32 v15, 0
	s_mov_b32 s16, exec_lo
	s_delay_alu instid0(VALU_DEP_2)
	v_cmpx_ne_u32_e32 0x7f, v17
	s_cbranch_execz .LBB268_2737
; %bb.2734:                             ;   in Loop: Header=BB268_1574 Depth=1
	v_and_b32_e32 v8, 7, v22
	v_lshrrev_b32_e32 v16, 3, v17
	v_mov_b32_e32 v15, v9
	s_mov_b32 s17, exec_lo
	s_delay_alu instid0(VALU_DEP_3)
	v_mov_b32_e32 v14, v8
	v_cmpx_gt_u32_e32 8, v17
; %bb.2735:                             ;   in Loop: Header=BB268_1574 Depth=1
	v_clz_i32_u32_e32 v14, v8
	s_delay_alu instid0(VALU_DEP_1) | instskip(NEXT) | instid1(VALU_DEP_1)
	v_min_u32_e32 v16, 32, v14
	v_subrev_nc_u32_e32 v14, 28, v16
	v_sub_nc_u32_e32 v16, 29, v16
	s_delay_alu instid0(VALU_DEP_2) | instskip(NEXT) | instid1(VALU_DEP_1)
	v_lshlrev_b64 v[14:15], v14, v[8:9]
	v_and_b32_e32 v14, 7, v14
; %bb.2736:                             ;   in Loop: Header=BB268_1574 Depth=1
	s_or_b32 exec_lo, exec_lo, s17
	v_lshlrev_b32_e32 v8, 24, v22
	s_delay_alu instid0(VALU_DEP_2) | instskip(SKIP_1) | instid1(VALU_DEP_3)
	v_lshlrev_b32_e32 v14, 20, v14
	v_lshl_add_u32 v15, v16, 23, 0x3c000000
	v_and_b32_e32 v8, 0x80000000, v8
	s_delay_alu instid0(VALU_DEP_1) | instskip(NEXT) | instid1(VALU_DEP_1)
	v_or3_b32 v8, v14, v8, v15
	v_dual_mov_b32 v15, v9 :: v_dual_mov_b32 v14, v8
.LBB268_2737:                           ;   in Loop: Header=BB268_1574 Depth=1
	s_or_b32 exec_lo, exec_lo, s16
.LBB268_2738:                           ;   in Loop: Header=BB268_1574 Depth=1
	s_delay_alu instid0(SALU_CYCLE_1)
	s_or_b32 exec_lo, exec_lo, s15
.LBB268_2739:                           ;   in Loop: Header=BB268_1574 Depth=1
	s_delay_alu instid0(SALU_CYCLE_1) | instskip(SKIP_2) | instid1(VALU_DEP_1)
	s_or_b32 exec_lo, exec_lo, s10
	v_lshrrev_b16 v8, 8, v22
	s_mov_b32 s15, exec_lo
	v_cmpx_ne_u16_e32 0, v8
	s_cbranch_execz .LBB268_2747
; %bb.2740:                             ;   in Loop: Header=BB268_1574 Depth=1
	v_dual_mov_b32 v4, s8 :: v_dual_mov_b32 v5, s9
	s_mov_b32 s16, exec_lo
	v_cmpx_ne_u16_e32 0x80, v8
	s_cbranch_execz .LBB268_2746
; %bb.2741:                             ;   in Loop: Header=BB268_1574 Depth=1
	s_mov_b32 s10, s8
	v_and_b32_e32 v8, 0xffff, v8
	v_dual_mov_b32 v4, s10 :: v_dual_mov_b32 v5, s11
	s_mov_b32 s10, exec_lo
	s_delay_alu instid0(VALU_DEP_2) | instskip(NEXT) | instid1(VALU_DEP_1)
	v_and_b32_e32 v17, 0x7f, v8
	v_cmpx_ne_u32_e32 0x7f, v17
	s_cbranch_execz .LBB268_2745
; %bb.2742:                             ;   in Loop: Header=BB268_1574 Depth=1
	v_and_b32_e32 v8, 7, v8
	v_lshrrev_b32_e32 v16, 3, v17
	s_mov_b32 s17, exec_lo
	s_delay_alu instid0(VALU_DEP_2)
	v_dual_mov_b32 v4, v8 :: v_dual_mov_b32 v5, v9
	v_cmpx_gt_u32_e32 8, v17
; %bb.2743:                             ;   in Loop: Header=BB268_1574 Depth=1
	v_clz_i32_u32_e32 v4, v8
	s_delay_alu instid0(VALU_DEP_1) | instskip(NEXT) | instid1(VALU_DEP_1)
	v_min_u32_e32 v16, 32, v4
	v_subrev_nc_u32_e32 v4, 28, v16
	v_sub_nc_u32_e32 v16, 29, v16
	s_delay_alu instid0(VALU_DEP_2) | instskip(NEXT) | instid1(VALU_DEP_1)
	v_lshlrev_b64 v[4:5], v4, v[8:9]
	v_and_b32_e32 v4, 7, v4
; %bb.2744:                             ;   in Loop: Header=BB268_1574 Depth=1
	s_or_b32 exec_lo, exec_lo, s17
	v_lshlrev_b32_e32 v5, 16, v22
	s_delay_alu instid0(VALU_DEP_2) | instskip(SKIP_1) | instid1(VALU_DEP_3)
	v_lshlrev_b32_e32 v4, 20, v4
	v_lshl_add_u32 v8, v16, 23, 0x3c000000
	v_and_b32_e32 v5, 0x80000000, v5
	s_delay_alu instid0(VALU_DEP_1)
	v_or3_b32 v5, v4, v5, v8
	v_mov_b32_e32 v4, v9
.LBB268_2745:                           ;   in Loop: Header=BB268_1574 Depth=1
	s_or_b32 exec_lo, exec_lo, s10
.LBB268_2746:                           ;   in Loop: Header=BB268_1574 Depth=1
	s_delay_alu instid0(SALU_CYCLE_1)
	s_or_b32 exec_lo, exec_lo, s16
.LBB268_2747:                           ;   in Loop: Header=BB268_1574 Depth=1
	s_delay_alu instid0(SALU_CYCLE_1) | instskip(SKIP_4) | instid1(VALU_DEP_1)
	s_or_b32 exec_lo, exec_lo, s15
	v_mov_b32_e32 v16, 0
	v_lshrrev_b32_e32 v23, 16, v22
	v_mov_b32_e32 v17, 0
	s_mov_b32 s10, exec_lo
	v_dual_mov_b32 v19, v17 :: v_dual_and_b32 v8, 0xff, v23
	v_mov_b32_e32 v18, v16
	s_delay_alu instid0(VALU_DEP_2)
	v_cmpx_ne_u16_e32 0, v8
	s_cbranch_execz .LBB268_2755
; %bb.2748:                             ;   in Loop: Header=BB268_1574 Depth=1
	v_bfrev_b32_e32 v18, 1
	v_mov_b32_e32 v19, 0
	s_mov_b32 s15, exec_lo
	v_cmpx_ne_u16_e32 0x80, v8
	s_cbranch_execz .LBB268_2754
; %bb.2749:                             ;   in Loop: Header=BB268_1574 Depth=1
	v_mov_b32_e32 v18, 0x7f800001
	v_bfe_u32 v27, v22, 16, 7
	v_mov_b32_e32 v19, 0
	s_mov_b32 s16, exec_lo
	s_delay_alu instid0(VALU_DEP_2)
	v_cmpx_ne_u32_e32 0x7f, v27
	s_cbranch_execz .LBB268_2753
; %bb.2750:                             ;   in Loop: Header=BB268_1574 Depth=1
	v_and_b32_e32 v8, 7, v23
	v_lshrrev_b32_e32 v24, 3, v27
	v_mov_b32_e32 v19, v9
	s_mov_b32 s17, exec_lo
	s_delay_alu instid0(VALU_DEP_3)
	v_mov_b32_e32 v18, v8
	v_cmpx_gt_u32_e32 8, v27
; %bb.2751:                             ;   in Loop: Header=BB268_1574 Depth=1
	v_clz_i32_u32_e32 v18, v8
	s_delay_alu instid0(VALU_DEP_1) | instskip(NEXT) | instid1(VALU_DEP_1)
	v_min_u32_e32 v24, 32, v18
	v_subrev_nc_u32_e32 v18, 28, v24
	v_sub_nc_u32_e32 v24, 29, v24
	s_delay_alu instid0(VALU_DEP_2) | instskip(NEXT) | instid1(VALU_DEP_1)
	v_lshlrev_b64 v[18:19], v18, v[8:9]
	v_and_b32_e32 v18, 7, v18
; %bb.2752:                             ;   in Loop: Header=BB268_1574 Depth=1
	s_or_b32 exec_lo, exec_lo, s17
	v_lshlrev_b32_e32 v8, 24, v23
	s_delay_alu instid0(VALU_DEP_2) | instskip(SKIP_1) | instid1(VALU_DEP_3)
	v_lshlrev_b32_e32 v18, 20, v18
	v_lshl_add_u32 v19, v24, 23, 0x3c000000
	v_and_b32_e32 v8, 0x80000000, v8
	s_delay_alu instid0(VALU_DEP_1) | instskip(NEXT) | instid1(VALU_DEP_1)
	v_or3_b32 v8, v18, v8, v19
	v_dual_mov_b32 v19, v9 :: v_dual_mov_b32 v18, v8
.LBB268_2753:                           ;   in Loop: Header=BB268_1574 Depth=1
	s_or_b32 exec_lo, exec_lo, s16
.LBB268_2754:                           ;   in Loop: Header=BB268_1574 Depth=1
	s_delay_alu instid0(SALU_CYCLE_1)
	s_or_b32 exec_lo, exec_lo, s15
.LBB268_2755:                           ;   in Loop: Header=BB268_1574 Depth=1
	s_delay_alu instid0(SALU_CYCLE_1) | instskip(NEXT) | instid1(SALU_CYCLE_1)
	s_or_b32 exec_lo, exec_lo, s10
	s_mov_b32 s15, exec_lo
	v_cmpx_lt_u32_e32 0xffffff, v22
	s_cbranch_execz .LBB268_2763
; %bb.2756:                             ;   in Loop: Header=BB268_1574 Depth=1
	v_lshrrev_b32_e32 v23, 24, v22
	v_dual_mov_b32 v17, s9 :: v_dual_mov_b32 v16, s8
	s_mov_b32 s16, exec_lo
	s_delay_alu instid0(VALU_DEP_2)
	v_cmpx_ne_u32_e32 0x80, v23
	s_cbranch_execz .LBB268_2762
; %bb.2757:                             ;   in Loop: Header=BB268_1574 Depth=1
	s_mov_b32 s10, s8
	v_bfe_u32 v24, v22, 24, 7
	v_dual_mov_b32 v17, s11 :: v_dual_mov_b32 v16, s10
	s_mov_b32 s10, exec_lo
	s_delay_alu instid0(VALU_DEP_2)
	v_cmpx_ne_u32_e32 0x7f, v24
	s_cbranch_execz .LBB268_2761
; %bb.2758:                             ;   in Loop: Header=BB268_1574 Depth=1
	v_and_b32_e32 v8, 7, v23
	v_lshrrev_b32_e32 v22, 3, v24
	v_mov_b32_e32 v17, v9
	s_mov_b32 s17, exec_lo
	s_delay_alu instid0(VALU_DEP_3)
	v_mov_b32_e32 v16, v8
	v_cmpx_gt_u32_e32 8, v24
; %bb.2759:                             ;   in Loop: Header=BB268_1574 Depth=1
	v_clz_i32_u32_e32 v16, v8
	s_delay_alu instid0(VALU_DEP_1) | instskip(NEXT) | instid1(VALU_DEP_1)
	v_min_u32_e32 v22, 32, v16
	v_subrev_nc_u32_e32 v16, 28, v22
	v_sub_nc_u32_e32 v22, 29, v22
	s_delay_alu instid0(VALU_DEP_2) | instskip(NEXT) | instid1(VALU_DEP_1)
	v_lshlrev_b64 v[16:17], v16, v[8:9]
	v_and_b32_e32 v16, 7, v16
; %bb.2760:                             ;   in Loop: Header=BB268_1574 Depth=1
	s_or_b32 exec_lo, exec_lo, s17
	v_lshlrev_b32_e32 v8, 24, v23
	s_delay_alu instid0(VALU_DEP_2) | instskip(SKIP_1) | instid1(VALU_DEP_3)
	v_lshlrev_b32_e32 v16, 20, v16
	v_lshl_add_u32 v17, v22, 23, 0x3c000000
	v_and_b32_e32 v8, 0x80000000, v8
	s_delay_alu instid0(VALU_DEP_1)
	v_or3_b32 v17, v16, v8, v17
	v_mov_b32_e32 v16, v9
.LBB268_2761:                           ;   in Loop: Header=BB268_1574 Depth=1
	s_or_b32 exec_lo, exec_lo, s10
.LBB268_2762:                           ;   in Loop: Header=BB268_1574 Depth=1
	s_delay_alu instid0(SALU_CYCLE_1)
	s_or_b32 exec_lo, exec_lo, s16
.LBB268_2763:                           ;   in Loop: Header=BB268_1574 Depth=1
	s_delay_alu instid0(SALU_CYCLE_1) | instskip(SKIP_4) | instid1(VALU_DEP_4)
	s_or_b32 exec_lo, exec_lo, s15
	v_or_b32_e32 v5, v5, v15
	v_or_b32_e32 v4, v4, v14
	;; [unrolled: 1-line block ×4, first 2 shown]
	v_mul_f32_e32 v68, v167, v5
	s_delay_alu instid0(VALU_DEP_4) | instskip(NEXT) | instid1(VALU_DEP_4)
	v_mul_f32_e32 v67, v167, v4
	v_mul_f32_e32 v65, v167, v8
	s_delay_alu instid0(VALU_DEP_4)
	v_mul_f32_e32 v66, v167, v14
	s_and_saveexec_b32 s10, vcc_lo
; %bb.2764:                             ;   in Loop: Header=BB268_1574 Depth=1
	v_cmp_lt_i32_e64 s0, v180, v35
	s_delay_alu instid0(VALU_DEP_1) | instskip(SKIP_1) | instid1(VALU_DEP_1)
	v_cndmask_b32_e64 v67, 0, v67, s0
	v_cmp_lt_i32_e64 s0, v183, v35
	v_cndmask_b32_e64 v68, 0, v68, s0
	v_cmp_lt_i32_e64 s0, v182, v35
	s_delay_alu instid0(VALU_DEP_1) | instskip(SKIP_1) | instid1(VALU_DEP_1)
	v_cndmask_b32_e64 v66, 0, v66, s0
	v_cmp_lt_i32_e64 s0, v181, v35
	v_cndmask_b32_e64 v65, 0, v65, s0
; %bb.2765:                             ;   in Loop: Header=BB268_1574 Depth=1
	s_or_b32 exec_lo, exec_lo, s10
	scratch_load_b32 v4, off, s32 offset:1016 ; 4-byte Folded Reload
	s_mov_b32 s10, exec_lo
	s_waitcnt vmcnt(0)
	v_add_co_u32 v4, s0, v12, v4
	s_delay_alu instid0(VALU_DEP_1) | instskip(SKIP_4) | instid1(VALU_DEP_1)
	v_add_co_ci_u32_e64 v5, s0, 0, v13, s0
	flat_load_b32 v22, v[4:5]
	v_mov_b32_e32 v4, 0
	s_waitcnt vmcnt(0) lgkmcnt(0)
	v_dual_mov_b32 v5, 0 :: v_dual_and_b32 v8, 0xff, v22
	v_dual_mov_b32 v15, v5 :: v_dual_mov_b32 v14, v4
	s_delay_alu instid0(VALU_DEP_2)
	v_cmpx_ne_u16_e32 0, v8
	s_cbranch_execz .LBB268_2773
; %bb.2766:                             ;   in Loop: Header=BB268_1574 Depth=1
	v_bfrev_b32_e32 v14, 1
	v_mov_b32_e32 v15, 0
	s_mov_b32 s15, exec_lo
	v_cmpx_ne_u16_e32 0x80, v8
	s_cbranch_execz .LBB268_2772
; %bb.2767:                             ;   in Loop: Header=BB268_1574 Depth=1
	v_mov_b32_e32 v14, 0x7f800001
	v_and_b32_e32 v17, 0x7f, v22
	v_mov_b32_e32 v15, 0
	s_mov_b32 s16, exec_lo
	s_delay_alu instid0(VALU_DEP_2)
	v_cmpx_ne_u32_e32 0x7f, v17
	s_cbranch_execz .LBB268_2771
; %bb.2768:                             ;   in Loop: Header=BB268_1574 Depth=1
	v_and_b32_e32 v8, 7, v22
	v_lshrrev_b32_e32 v16, 3, v17
	v_mov_b32_e32 v15, v9
	s_mov_b32 s17, exec_lo
	s_delay_alu instid0(VALU_DEP_3)
	v_mov_b32_e32 v14, v8
	v_cmpx_gt_u32_e32 8, v17
; %bb.2769:                             ;   in Loop: Header=BB268_1574 Depth=1
	v_clz_i32_u32_e32 v14, v8
	s_delay_alu instid0(VALU_DEP_1) | instskip(NEXT) | instid1(VALU_DEP_1)
	v_min_u32_e32 v16, 32, v14
	v_subrev_nc_u32_e32 v14, 28, v16
	v_sub_nc_u32_e32 v16, 29, v16
	s_delay_alu instid0(VALU_DEP_2) | instskip(NEXT) | instid1(VALU_DEP_1)
	v_lshlrev_b64 v[14:15], v14, v[8:9]
	v_and_b32_e32 v14, 7, v14
; %bb.2770:                             ;   in Loop: Header=BB268_1574 Depth=1
	s_or_b32 exec_lo, exec_lo, s17
	v_lshlrev_b32_e32 v8, 24, v22
	s_delay_alu instid0(VALU_DEP_2) | instskip(SKIP_1) | instid1(VALU_DEP_3)
	v_lshlrev_b32_e32 v14, 20, v14
	v_lshl_add_u32 v15, v16, 23, 0x3c000000
	v_and_b32_e32 v8, 0x80000000, v8
	s_delay_alu instid0(VALU_DEP_1) | instskip(NEXT) | instid1(VALU_DEP_1)
	v_or3_b32 v8, v14, v8, v15
	v_dual_mov_b32 v15, v9 :: v_dual_mov_b32 v14, v8
.LBB268_2771:                           ;   in Loop: Header=BB268_1574 Depth=1
	s_or_b32 exec_lo, exec_lo, s16
.LBB268_2772:                           ;   in Loop: Header=BB268_1574 Depth=1
	s_delay_alu instid0(SALU_CYCLE_1)
	s_or_b32 exec_lo, exec_lo, s15
.LBB268_2773:                           ;   in Loop: Header=BB268_1574 Depth=1
	s_delay_alu instid0(SALU_CYCLE_1) | instskip(SKIP_2) | instid1(VALU_DEP_1)
	s_or_b32 exec_lo, exec_lo, s10
	v_lshrrev_b16 v8, 8, v22
	s_mov_b32 s15, exec_lo
	v_cmpx_ne_u16_e32 0, v8
	s_cbranch_execz .LBB268_2781
; %bb.2774:                             ;   in Loop: Header=BB268_1574 Depth=1
	v_dual_mov_b32 v4, s8 :: v_dual_mov_b32 v5, s9
	s_mov_b32 s16, exec_lo
	v_cmpx_ne_u16_e32 0x80, v8
	s_cbranch_execz .LBB268_2780
; %bb.2775:                             ;   in Loop: Header=BB268_1574 Depth=1
	s_mov_b32 s10, s8
	v_and_b32_e32 v8, 0xffff, v8
	v_dual_mov_b32 v4, s10 :: v_dual_mov_b32 v5, s11
	s_mov_b32 s10, exec_lo
	s_delay_alu instid0(VALU_DEP_2) | instskip(NEXT) | instid1(VALU_DEP_1)
	v_and_b32_e32 v17, 0x7f, v8
	v_cmpx_ne_u32_e32 0x7f, v17
	s_cbranch_execz .LBB268_2779
; %bb.2776:                             ;   in Loop: Header=BB268_1574 Depth=1
	v_and_b32_e32 v8, 7, v8
	v_lshrrev_b32_e32 v16, 3, v17
	s_mov_b32 s17, exec_lo
	s_delay_alu instid0(VALU_DEP_2)
	v_dual_mov_b32 v4, v8 :: v_dual_mov_b32 v5, v9
	v_cmpx_gt_u32_e32 8, v17
; %bb.2777:                             ;   in Loop: Header=BB268_1574 Depth=1
	v_clz_i32_u32_e32 v4, v8
	s_delay_alu instid0(VALU_DEP_1) | instskip(NEXT) | instid1(VALU_DEP_1)
	v_min_u32_e32 v16, 32, v4
	v_subrev_nc_u32_e32 v4, 28, v16
	v_sub_nc_u32_e32 v16, 29, v16
	s_delay_alu instid0(VALU_DEP_2) | instskip(NEXT) | instid1(VALU_DEP_1)
	v_lshlrev_b64 v[4:5], v4, v[8:9]
	v_and_b32_e32 v4, 7, v4
; %bb.2778:                             ;   in Loop: Header=BB268_1574 Depth=1
	s_or_b32 exec_lo, exec_lo, s17
	v_lshlrev_b32_e32 v5, 16, v22
	s_delay_alu instid0(VALU_DEP_2) | instskip(SKIP_1) | instid1(VALU_DEP_3)
	v_lshlrev_b32_e32 v4, 20, v4
	v_lshl_add_u32 v8, v16, 23, 0x3c000000
	v_and_b32_e32 v5, 0x80000000, v5
	s_delay_alu instid0(VALU_DEP_1)
	v_or3_b32 v5, v4, v5, v8
	v_mov_b32_e32 v4, v9
.LBB268_2779:                           ;   in Loop: Header=BB268_1574 Depth=1
	s_or_b32 exec_lo, exec_lo, s10
.LBB268_2780:                           ;   in Loop: Header=BB268_1574 Depth=1
	s_delay_alu instid0(SALU_CYCLE_1)
	s_or_b32 exec_lo, exec_lo, s16
.LBB268_2781:                           ;   in Loop: Header=BB268_1574 Depth=1
	s_delay_alu instid0(SALU_CYCLE_1) | instskip(SKIP_4) | instid1(VALU_DEP_1)
	s_or_b32 exec_lo, exec_lo, s15
	v_mov_b32_e32 v16, 0
	v_lshrrev_b32_e32 v23, 16, v22
	v_mov_b32_e32 v17, 0
	s_mov_b32 s10, exec_lo
	v_dual_mov_b32 v19, v17 :: v_dual_and_b32 v8, 0xff, v23
	v_mov_b32_e32 v18, v16
	s_delay_alu instid0(VALU_DEP_2)
	v_cmpx_ne_u16_e32 0, v8
	s_cbranch_execz .LBB268_2789
; %bb.2782:                             ;   in Loop: Header=BB268_1574 Depth=1
	v_bfrev_b32_e32 v18, 1
	v_mov_b32_e32 v19, 0
	s_mov_b32 s15, exec_lo
	v_cmpx_ne_u16_e32 0x80, v8
	s_cbranch_execz .LBB268_2788
; %bb.2783:                             ;   in Loop: Header=BB268_1574 Depth=1
	v_mov_b32_e32 v18, 0x7f800001
	v_bfe_u32 v27, v22, 16, 7
	v_mov_b32_e32 v19, 0
	s_mov_b32 s16, exec_lo
	s_delay_alu instid0(VALU_DEP_2)
	v_cmpx_ne_u32_e32 0x7f, v27
	s_cbranch_execz .LBB268_2787
; %bb.2784:                             ;   in Loop: Header=BB268_1574 Depth=1
	v_and_b32_e32 v8, 7, v23
	v_lshrrev_b32_e32 v24, 3, v27
	v_mov_b32_e32 v19, v9
	s_mov_b32 s17, exec_lo
	s_delay_alu instid0(VALU_DEP_3)
	v_mov_b32_e32 v18, v8
	v_cmpx_gt_u32_e32 8, v27
; %bb.2785:                             ;   in Loop: Header=BB268_1574 Depth=1
	v_clz_i32_u32_e32 v18, v8
	s_delay_alu instid0(VALU_DEP_1) | instskip(NEXT) | instid1(VALU_DEP_1)
	v_min_u32_e32 v24, 32, v18
	v_subrev_nc_u32_e32 v18, 28, v24
	v_sub_nc_u32_e32 v24, 29, v24
	s_delay_alu instid0(VALU_DEP_2) | instskip(NEXT) | instid1(VALU_DEP_1)
	v_lshlrev_b64 v[18:19], v18, v[8:9]
	v_and_b32_e32 v18, 7, v18
; %bb.2786:                             ;   in Loop: Header=BB268_1574 Depth=1
	s_or_b32 exec_lo, exec_lo, s17
	v_lshlrev_b32_e32 v8, 24, v23
	s_delay_alu instid0(VALU_DEP_2) | instskip(SKIP_1) | instid1(VALU_DEP_3)
	v_lshlrev_b32_e32 v18, 20, v18
	v_lshl_add_u32 v19, v24, 23, 0x3c000000
	v_and_b32_e32 v8, 0x80000000, v8
	s_delay_alu instid0(VALU_DEP_1) | instskip(NEXT) | instid1(VALU_DEP_1)
	v_or3_b32 v8, v18, v8, v19
	v_dual_mov_b32 v19, v9 :: v_dual_mov_b32 v18, v8
.LBB268_2787:                           ;   in Loop: Header=BB268_1574 Depth=1
	s_or_b32 exec_lo, exec_lo, s16
.LBB268_2788:                           ;   in Loop: Header=BB268_1574 Depth=1
	s_delay_alu instid0(SALU_CYCLE_1)
	s_or_b32 exec_lo, exec_lo, s15
.LBB268_2789:                           ;   in Loop: Header=BB268_1574 Depth=1
	s_delay_alu instid0(SALU_CYCLE_1) | instskip(NEXT) | instid1(SALU_CYCLE_1)
	s_or_b32 exec_lo, exec_lo, s10
	s_mov_b32 s15, exec_lo
	v_cmpx_lt_u32_e32 0xffffff, v22
	s_cbranch_execz .LBB268_2797
; %bb.2790:                             ;   in Loop: Header=BB268_1574 Depth=1
	v_lshrrev_b32_e32 v23, 24, v22
	v_dual_mov_b32 v17, s9 :: v_dual_mov_b32 v16, s8
	s_mov_b32 s16, exec_lo
	s_delay_alu instid0(VALU_DEP_2)
	v_cmpx_ne_u32_e32 0x80, v23
	s_cbranch_execz .LBB268_2796
; %bb.2791:                             ;   in Loop: Header=BB268_1574 Depth=1
	s_mov_b32 s10, s8
	v_bfe_u32 v24, v22, 24, 7
	v_dual_mov_b32 v17, s11 :: v_dual_mov_b32 v16, s10
	s_mov_b32 s10, exec_lo
	s_delay_alu instid0(VALU_DEP_2)
	v_cmpx_ne_u32_e32 0x7f, v24
	s_cbranch_execz .LBB268_2795
; %bb.2792:                             ;   in Loop: Header=BB268_1574 Depth=1
	v_and_b32_e32 v8, 7, v23
	v_lshrrev_b32_e32 v22, 3, v24
	v_mov_b32_e32 v17, v9
	s_mov_b32 s17, exec_lo
	s_delay_alu instid0(VALU_DEP_3)
	v_mov_b32_e32 v16, v8
	v_cmpx_gt_u32_e32 8, v24
; %bb.2793:                             ;   in Loop: Header=BB268_1574 Depth=1
	v_clz_i32_u32_e32 v16, v8
	s_delay_alu instid0(VALU_DEP_1) | instskip(NEXT) | instid1(VALU_DEP_1)
	v_min_u32_e32 v22, 32, v16
	v_subrev_nc_u32_e32 v16, 28, v22
	v_sub_nc_u32_e32 v22, 29, v22
	s_delay_alu instid0(VALU_DEP_2) | instskip(NEXT) | instid1(VALU_DEP_1)
	v_lshlrev_b64 v[16:17], v16, v[8:9]
	v_and_b32_e32 v16, 7, v16
; %bb.2794:                             ;   in Loop: Header=BB268_1574 Depth=1
	s_or_b32 exec_lo, exec_lo, s17
	v_lshlrev_b32_e32 v8, 24, v23
	s_delay_alu instid0(VALU_DEP_2) | instskip(SKIP_1) | instid1(VALU_DEP_3)
	v_lshlrev_b32_e32 v16, 20, v16
	v_lshl_add_u32 v17, v22, 23, 0x3c000000
	v_and_b32_e32 v8, 0x80000000, v8
	s_delay_alu instid0(VALU_DEP_1)
	v_or3_b32 v17, v16, v8, v17
	v_mov_b32_e32 v16, v9
.LBB268_2795:                           ;   in Loop: Header=BB268_1574 Depth=1
	s_or_b32 exec_lo, exec_lo, s10
.LBB268_2796:                           ;   in Loop: Header=BB268_1574 Depth=1
	s_delay_alu instid0(SALU_CYCLE_1)
	s_or_b32 exec_lo, exec_lo, s16
.LBB268_2797:                           ;   in Loop: Header=BB268_1574 Depth=1
	s_delay_alu instid0(SALU_CYCLE_1) | instskip(SKIP_4) | instid1(VALU_DEP_4)
	s_or_b32 exec_lo, exec_lo, s15
	v_or_b32_e32 v5, v5, v15
	v_or_b32_e32 v4, v4, v14
	;; [unrolled: 1-line block ×4, first 2 shown]
	v_mul_f32_e32 v80, v167, v5
	s_delay_alu instid0(VALU_DEP_4) | instskip(NEXT) | instid1(VALU_DEP_4)
	v_mul_f32_e32 v71, v167, v4
	v_mul_f32_e32 v69, v167, v8
	s_delay_alu instid0(VALU_DEP_4)
	v_mul_f32_e32 v70, v167, v14
	s_and_saveexec_b32 s10, vcc_lo
; %bb.2798:                             ;   in Loop: Header=BB268_1574 Depth=1
	v_cmp_lt_i32_e64 s0, v180, v35
	s_delay_alu instid0(VALU_DEP_1) | instskip(SKIP_1) | instid1(VALU_DEP_1)
	v_cndmask_b32_e64 v71, 0, v71, s0
	v_cmp_lt_i32_e64 s0, v183, v35
	v_cndmask_b32_e64 v80, 0, v80, s0
	v_cmp_lt_i32_e64 s0, v182, v35
	s_delay_alu instid0(VALU_DEP_1) | instskip(SKIP_1) | instid1(VALU_DEP_1)
	v_cndmask_b32_e64 v70, 0, v70, s0
	v_cmp_lt_i32_e64 s0, v181, v35
	v_cndmask_b32_e64 v69, 0, v69, s0
; %bb.2799:                             ;   in Loop: Header=BB268_1574 Depth=1
	s_or_b32 exec_lo, exec_lo, s10
	scratch_load_b32 v4, off, s32 offset:1024 ; 4-byte Folded Reload
	s_mov_b32 s10, exec_lo
	s_waitcnt vmcnt(0)
	v_add_co_u32 v4, s0, v12, v4
	s_delay_alu instid0(VALU_DEP_1) | instskip(SKIP_4) | instid1(VALU_DEP_1)
	v_add_co_ci_u32_e64 v5, s0, 0, v13, s0
	flat_load_b32 v22, v[4:5]
	v_mov_b32_e32 v4, 0
	s_waitcnt vmcnt(0) lgkmcnt(0)
	v_dual_mov_b32 v5, 0 :: v_dual_and_b32 v8, 0xff, v22
	v_dual_mov_b32 v15, v5 :: v_dual_mov_b32 v14, v4
	s_delay_alu instid0(VALU_DEP_2)
	v_cmpx_ne_u16_e32 0, v8
	s_cbranch_execz .LBB268_2807
; %bb.2800:                             ;   in Loop: Header=BB268_1574 Depth=1
	v_bfrev_b32_e32 v14, 1
	v_mov_b32_e32 v15, 0
	s_mov_b32 s15, exec_lo
	v_cmpx_ne_u16_e32 0x80, v8
	s_cbranch_execz .LBB268_2806
; %bb.2801:                             ;   in Loop: Header=BB268_1574 Depth=1
	v_mov_b32_e32 v14, 0x7f800001
	v_and_b32_e32 v17, 0x7f, v22
	v_mov_b32_e32 v15, 0
	s_mov_b32 s16, exec_lo
	s_delay_alu instid0(VALU_DEP_2)
	v_cmpx_ne_u32_e32 0x7f, v17
	s_cbranch_execz .LBB268_2805
; %bb.2802:                             ;   in Loop: Header=BB268_1574 Depth=1
	v_and_b32_e32 v8, 7, v22
	v_lshrrev_b32_e32 v16, 3, v17
	v_mov_b32_e32 v15, v9
	s_mov_b32 s17, exec_lo
	s_delay_alu instid0(VALU_DEP_3)
	v_mov_b32_e32 v14, v8
	v_cmpx_gt_u32_e32 8, v17
; %bb.2803:                             ;   in Loop: Header=BB268_1574 Depth=1
	v_clz_i32_u32_e32 v14, v8
	s_delay_alu instid0(VALU_DEP_1) | instskip(NEXT) | instid1(VALU_DEP_1)
	v_min_u32_e32 v16, 32, v14
	v_subrev_nc_u32_e32 v14, 28, v16
	v_sub_nc_u32_e32 v16, 29, v16
	s_delay_alu instid0(VALU_DEP_2) | instskip(NEXT) | instid1(VALU_DEP_1)
	v_lshlrev_b64 v[14:15], v14, v[8:9]
	v_and_b32_e32 v14, 7, v14
; %bb.2804:                             ;   in Loop: Header=BB268_1574 Depth=1
	s_or_b32 exec_lo, exec_lo, s17
	v_lshlrev_b32_e32 v8, 24, v22
	s_delay_alu instid0(VALU_DEP_2) | instskip(SKIP_1) | instid1(VALU_DEP_3)
	v_lshlrev_b32_e32 v14, 20, v14
	v_lshl_add_u32 v15, v16, 23, 0x3c000000
	v_and_b32_e32 v8, 0x80000000, v8
	s_delay_alu instid0(VALU_DEP_1) | instskip(NEXT) | instid1(VALU_DEP_1)
	v_or3_b32 v8, v14, v8, v15
	v_dual_mov_b32 v15, v9 :: v_dual_mov_b32 v14, v8
.LBB268_2805:                           ;   in Loop: Header=BB268_1574 Depth=1
	s_or_b32 exec_lo, exec_lo, s16
.LBB268_2806:                           ;   in Loop: Header=BB268_1574 Depth=1
	s_delay_alu instid0(SALU_CYCLE_1)
	s_or_b32 exec_lo, exec_lo, s15
.LBB268_2807:                           ;   in Loop: Header=BB268_1574 Depth=1
	s_delay_alu instid0(SALU_CYCLE_1) | instskip(SKIP_2) | instid1(VALU_DEP_1)
	s_or_b32 exec_lo, exec_lo, s10
	v_lshrrev_b16 v8, 8, v22
	s_mov_b32 s15, exec_lo
	v_cmpx_ne_u16_e32 0, v8
	s_cbranch_execz .LBB268_2815
; %bb.2808:                             ;   in Loop: Header=BB268_1574 Depth=1
	v_dual_mov_b32 v4, s8 :: v_dual_mov_b32 v5, s9
	s_mov_b32 s16, exec_lo
	v_cmpx_ne_u16_e32 0x80, v8
	s_cbranch_execz .LBB268_2814
; %bb.2809:                             ;   in Loop: Header=BB268_1574 Depth=1
	s_mov_b32 s10, s8
	v_and_b32_e32 v8, 0xffff, v8
	v_dual_mov_b32 v4, s10 :: v_dual_mov_b32 v5, s11
	s_mov_b32 s10, exec_lo
	s_delay_alu instid0(VALU_DEP_2) | instskip(NEXT) | instid1(VALU_DEP_1)
	v_and_b32_e32 v17, 0x7f, v8
	v_cmpx_ne_u32_e32 0x7f, v17
	s_cbranch_execz .LBB268_2813
; %bb.2810:                             ;   in Loop: Header=BB268_1574 Depth=1
	v_and_b32_e32 v8, 7, v8
	v_lshrrev_b32_e32 v16, 3, v17
	s_mov_b32 s17, exec_lo
	s_delay_alu instid0(VALU_DEP_2)
	v_dual_mov_b32 v4, v8 :: v_dual_mov_b32 v5, v9
	v_cmpx_gt_u32_e32 8, v17
; %bb.2811:                             ;   in Loop: Header=BB268_1574 Depth=1
	v_clz_i32_u32_e32 v4, v8
	s_delay_alu instid0(VALU_DEP_1) | instskip(NEXT) | instid1(VALU_DEP_1)
	v_min_u32_e32 v16, 32, v4
	v_subrev_nc_u32_e32 v4, 28, v16
	v_sub_nc_u32_e32 v16, 29, v16
	s_delay_alu instid0(VALU_DEP_2) | instskip(NEXT) | instid1(VALU_DEP_1)
	v_lshlrev_b64 v[4:5], v4, v[8:9]
	v_and_b32_e32 v4, 7, v4
; %bb.2812:                             ;   in Loop: Header=BB268_1574 Depth=1
	s_or_b32 exec_lo, exec_lo, s17
	v_lshlrev_b32_e32 v5, 16, v22
	s_delay_alu instid0(VALU_DEP_2) | instskip(SKIP_1) | instid1(VALU_DEP_3)
	v_lshlrev_b32_e32 v4, 20, v4
	v_lshl_add_u32 v8, v16, 23, 0x3c000000
	v_and_b32_e32 v5, 0x80000000, v5
	s_delay_alu instid0(VALU_DEP_1)
	v_or3_b32 v5, v4, v5, v8
	v_mov_b32_e32 v4, v9
.LBB268_2813:                           ;   in Loop: Header=BB268_1574 Depth=1
	s_or_b32 exec_lo, exec_lo, s10
.LBB268_2814:                           ;   in Loop: Header=BB268_1574 Depth=1
	s_delay_alu instid0(SALU_CYCLE_1)
	s_or_b32 exec_lo, exec_lo, s16
.LBB268_2815:                           ;   in Loop: Header=BB268_1574 Depth=1
	s_delay_alu instid0(SALU_CYCLE_1) | instskip(SKIP_4) | instid1(VALU_DEP_1)
	s_or_b32 exec_lo, exec_lo, s15
	v_mov_b32_e32 v16, 0
	v_lshrrev_b32_e32 v23, 16, v22
	v_mov_b32_e32 v17, 0
	s_mov_b32 s10, exec_lo
	v_dual_mov_b32 v19, v17 :: v_dual_and_b32 v8, 0xff, v23
	v_mov_b32_e32 v18, v16
	s_delay_alu instid0(VALU_DEP_2)
	v_cmpx_ne_u16_e32 0, v8
	s_cbranch_execz .LBB268_2823
; %bb.2816:                             ;   in Loop: Header=BB268_1574 Depth=1
	v_bfrev_b32_e32 v18, 1
	v_mov_b32_e32 v19, 0
	s_mov_b32 s15, exec_lo
	v_cmpx_ne_u16_e32 0x80, v8
	s_cbranch_execz .LBB268_2822
; %bb.2817:                             ;   in Loop: Header=BB268_1574 Depth=1
	v_mov_b32_e32 v18, 0x7f800001
	v_bfe_u32 v27, v22, 16, 7
	v_mov_b32_e32 v19, 0
	s_mov_b32 s16, exec_lo
	s_delay_alu instid0(VALU_DEP_2)
	v_cmpx_ne_u32_e32 0x7f, v27
	s_cbranch_execz .LBB268_2821
; %bb.2818:                             ;   in Loop: Header=BB268_1574 Depth=1
	v_and_b32_e32 v8, 7, v23
	v_lshrrev_b32_e32 v24, 3, v27
	v_mov_b32_e32 v19, v9
	s_mov_b32 s17, exec_lo
	s_delay_alu instid0(VALU_DEP_3)
	v_mov_b32_e32 v18, v8
	v_cmpx_gt_u32_e32 8, v27
; %bb.2819:                             ;   in Loop: Header=BB268_1574 Depth=1
	v_clz_i32_u32_e32 v18, v8
	s_delay_alu instid0(VALU_DEP_1) | instskip(NEXT) | instid1(VALU_DEP_1)
	v_min_u32_e32 v24, 32, v18
	v_subrev_nc_u32_e32 v18, 28, v24
	v_sub_nc_u32_e32 v24, 29, v24
	s_delay_alu instid0(VALU_DEP_2) | instskip(NEXT) | instid1(VALU_DEP_1)
	v_lshlrev_b64 v[18:19], v18, v[8:9]
	v_and_b32_e32 v18, 7, v18
; %bb.2820:                             ;   in Loop: Header=BB268_1574 Depth=1
	s_or_b32 exec_lo, exec_lo, s17
	v_lshlrev_b32_e32 v8, 24, v23
	s_delay_alu instid0(VALU_DEP_2) | instskip(SKIP_1) | instid1(VALU_DEP_3)
	v_lshlrev_b32_e32 v18, 20, v18
	v_lshl_add_u32 v19, v24, 23, 0x3c000000
	v_and_b32_e32 v8, 0x80000000, v8
	s_delay_alu instid0(VALU_DEP_1) | instskip(NEXT) | instid1(VALU_DEP_1)
	v_or3_b32 v8, v18, v8, v19
	v_dual_mov_b32 v19, v9 :: v_dual_mov_b32 v18, v8
.LBB268_2821:                           ;   in Loop: Header=BB268_1574 Depth=1
	s_or_b32 exec_lo, exec_lo, s16
.LBB268_2822:                           ;   in Loop: Header=BB268_1574 Depth=1
	s_delay_alu instid0(SALU_CYCLE_1)
	s_or_b32 exec_lo, exec_lo, s15
.LBB268_2823:                           ;   in Loop: Header=BB268_1574 Depth=1
	s_delay_alu instid0(SALU_CYCLE_1) | instskip(NEXT) | instid1(SALU_CYCLE_1)
	s_or_b32 exec_lo, exec_lo, s10
	s_mov_b32 s15, exec_lo
	v_cmpx_lt_u32_e32 0xffffff, v22
	s_cbranch_execz .LBB268_2831
; %bb.2824:                             ;   in Loop: Header=BB268_1574 Depth=1
	v_lshrrev_b32_e32 v23, 24, v22
	v_dual_mov_b32 v17, s9 :: v_dual_mov_b32 v16, s8
	s_mov_b32 s16, exec_lo
	s_delay_alu instid0(VALU_DEP_2)
	v_cmpx_ne_u32_e32 0x80, v23
	s_cbranch_execz .LBB268_2830
; %bb.2825:                             ;   in Loop: Header=BB268_1574 Depth=1
	s_mov_b32 s10, s8
	v_bfe_u32 v24, v22, 24, 7
	v_dual_mov_b32 v17, s11 :: v_dual_mov_b32 v16, s10
	s_mov_b32 s10, exec_lo
	s_delay_alu instid0(VALU_DEP_2)
	v_cmpx_ne_u32_e32 0x7f, v24
	s_cbranch_execz .LBB268_2829
; %bb.2826:                             ;   in Loop: Header=BB268_1574 Depth=1
	v_and_b32_e32 v8, 7, v23
	v_lshrrev_b32_e32 v22, 3, v24
	v_mov_b32_e32 v17, v9
	s_mov_b32 s17, exec_lo
	s_delay_alu instid0(VALU_DEP_3)
	v_mov_b32_e32 v16, v8
	v_cmpx_gt_u32_e32 8, v24
; %bb.2827:                             ;   in Loop: Header=BB268_1574 Depth=1
	v_clz_i32_u32_e32 v16, v8
	s_delay_alu instid0(VALU_DEP_1) | instskip(NEXT) | instid1(VALU_DEP_1)
	v_min_u32_e32 v22, 32, v16
	v_subrev_nc_u32_e32 v16, 28, v22
	v_sub_nc_u32_e32 v22, 29, v22
	s_delay_alu instid0(VALU_DEP_2) | instskip(NEXT) | instid1(VALU_DEP_1)
	v_lshlrev_b64 v[16:17], v16, v[8:9]
	v_and_b32_e32 v16, 7, v16
; %bb.2828:                             ;   in Loop: Header=BB268_1574 Depth=1
	s_or_b32 exec_lo, exec_lo, s17
	v_lshlrev_b32_e32 v8, 24, v23
	s_delay_alu instid0(VALU_DEP_2) | instskip(SKIP_1) | instid1(VALU_DEP_3)
	v_lshlrev_b32_e32 v16, 20, v16
	v_lshl_add_u32 v17, v22, 23, 0x3c000000
	v_and_b32_e32 v8, 0x80000000, v8
	s_delay_alu instid0(VALU_DEP_1)
	v_or3_b32 v17, v16, v8, v17
	v_mov_b32_e32 v16, v9
.LBB268_2829:                           ;   in Loop: Header=BB268_1574 Depth=1
	s_or_b32 exec_lo, exec_lo, s10
.LBB268_2830:                           ;   in Loop: Header=BB268_1574 Depth=1
	s_delay_alu instid0(SALU_CYCLE_1)
	s_or_b32 exec_lo, exec_lo, s16
.LBB268_2831:                           ;   in Loop: Header=BB268_1574 Depth=1
	s_delay_alu instid0(SALU_CYCLE_1) | instskip(SKIP_4) | instid1(VALU_DEP_4)
	s_or_b32 exec_lo, exec_lo, s15
	v_or_b32_e32 v5, v5, v15
	v_or_b32_e32 v4, v4, v14
	;; [unrolled: 1-line block ×4, first 2 shown]
	v_mul_f32_e32 v84, v167, v5
	s_delay_alu instid0(VALU_DEP_4) | instskip(NEXT) | instid1(VALU_DEP_4)
	v_mul_f32_e32 v83, v167, v4
	v_mul_f32_e32 v81, v167, v8
	s_delay_alu instid0(VALU_DEP_4)
	v_mul_f32_e32 v82, v167, v14
	s_and_saveexec_b32 s10, vcc_lo
; %bb.2832:                             ;   in Loop: Header=BB268_1574 Depth=1
	v_cmp_lt_i32_e64 s0, v180, v35
	s_delay_alu instid0(VALU_DEP_1) | instskip(SKIP_1) | instid1(VALU_DEP_1)
	v_cndmask_b32_e64 v83, 0, v83, s0
	v_cmp_lt_i32_e64 s0, v183, v35
	v_cndmask_b32_e64 v84, 0, v84, s0
	v_cmp_lt_i32_e64 s0, v182, v35
	s_delay_alu instid0(VALU_DEP_1) | instskip(SKIP_1) | instid1(VALU_DEP_1)
	v_cndmask_b32_e64 v82, 0, v82, s0
	v_cmp_lt_i32_e64 s0, v181, v35
	v_cndmask_b32_e64 v81, 0, v81, s0
; %bb.2833:                             ;   in Loop: Header=BB268_1574 Depth=1
	s_or_b32 exec_lo, exec_lo, s10
	scratch_load_b32 v4, off, s32 offset:1032 ; 4-byte Folded Reload
	s_mov_b32 s10, exec_lo
	s_waitcnt vmcnt(0)
	v_add_co_u32 v4, s0, v12, v4
	s_delay_alu instid0(VALU_DEP_1) | instskip(SKIP_4) | instid1(VALU_DEP_1)
	v_add_co_ci_u32_e64 v5, s0, 0, v13, s0
	flat_load_b32 v22, v[4:5]
	v_mov_b32_e32 v4, 0
	s_waitcnt vmcnt(0) lgkmcnt(0)
	v_dual_mov_b32 v5, 0 :: v_dual_and_b32 v8, 0xff, v22
	v_dual_mov_b32 v15, v5 :: v_dual_mov_b32 v14, v4
	s_delay_alu instid0(VALU_DEP_2)
	v_cmpx_ne_u16_e32 0, v8
	s_cbranch_execz .LBB268_2841
; %bb.2834:                             ;   in Loop: Header=BB268_1574 Depth=1
	v_bfrev_b32_e32 v14, 1
	v_mov_b32_e32 v15, 0
	s_mov_b32 s15, exec_lo
	v_cmpx_ne_u16_e32 0x80, v8
	s_cbranch_execz .LBB268_2840
; %bb.2835:                             ;   in Loop: Header=BB268_1574 Depth=1
	v_mov_b32_e32 v14, 0x7f800001
	v_and_b32_e32 v17, 0x7f, v22
	v_mov_b32_e32 v15, 0
	s_mov_b32 s16, exec_lo
	s_delay_alu instid0(VALU_DEP_2)
	v_cmpx_ne_u32_e32 0x7f, v17
	s_cbranch_execz .LBB268_2839
; %bb.2836:                             ;   in Loop: Header=BB268_1574 Depth=1
	v_and_b32_e32 v8, 7, v22
	v_lshrrev_b32_e32 v16, 3, v17
	v_mov_b32_e32 v15, v9
	s_mov_b32 s17, exec_lo
	s_delay_alu instid0(VALU_DEP_3)
	v_mov_b32_e32 v14, v8
	v_cmpx_gt_u32_e32 8, v17
; %bb.2837:                             ;   in Loop: Header=BB268_1574 Depth=1
	v_clz_i32_u32_e32 v14, v8
	s_delay_alu instid0(VALU_DEP_1) | instskip(NEXT) | instid1(VALU_DEP_1)
	v_min_u32_e32 v16, 32, v14
	v_subrev_nc_u32_e32 v14, 28, v16
	v_sub_nc_u32_e32 v16, 29, v16
	s_delay_alu instid0(VALU_DEP_2) | instskip(NEXT) | instid1(VALU_DEP_1)
	v_lshlrev_b64 v[14:15], v14, v[8:9]
	v_and_b32_e32 v14, 7, v14
; %bb.2838:                             ;   in Loop: Header=BB268_1574 Depth=1
	s_or_b32 exec_lo, exec_lo, s17
	v_lshlrev_b32_e32 v8, 24, v22
	s_delay_alu instid0(VALU_DEP_2) | instskip(SKIP_1) | instid1(VALU_DEP_3)
	v_lshlrev_b32_e32 v14, 20, v14
	v_lshl_add_u32 v15, v16, 23, 0x3c000000
	v_and_b32_e32 v8, 0x80000000, v8
	s_delay_alu instid0(VALU_DEP_1) | instskip(NEXT) | instid1(VALU_DEP_1)
	v_or3_b32 v8, v14, v8, v15
	v_dual_mov_b32 v15, v9 :: v_dual_mov_b32 v14, v8
.LBB268_2839:                           ;   in Loop: Header=BB268_1574 Depth=1
	s_or_b32 exec_lo, exec_lo, s16
.LBB268_2840:                           ;   in Loop: Header=BB268_1574 Depth=1
	s_delay_alu instid0(SALU_CYCLE_1)
	s_or_b32 exec_lo, exec_lo, s15
.LBB268_2841:                           ;   in Loop: Header=BB268_1574 Depth=1
	s_delay_alu instid0(SALU_CYCLE_1) | instskip(SKIP_2) | instid1(VALU_DEP_1)
	s_or_b32 exec_lo, exec_lo, s10
	v_lshrrev_b16 v8, 8, v22
	s_mov_b32 s15, exec_lo
	v_cmpx_ne_u16_e32 0, v8
	s_cbranch_execz .LBB268_2849
; %bb.2842:                             ;   in Loop: Header=BB268_1574 Depth=1
	v_dual_mov_b32 v4, s8 :: v_dual_mov_b32 v5, s9
	s_mov_b32 s16, exec_lo
	v_cmpx_ne_u16_e32 0x80, v8
	s_cbranch_execz .LBB268_2848
; %bb.2843:                             ;   in Loop: Header=BB268_1574 Depth=1
	s_mov_b32 s10, s8
	v_and_b32_e32 v8, 0xffff, v8
	v_dual_mov_b32 v4, s10 :: v_dual_mov_b32 v5, s11
	s_mov_b32 s10, exec_lo
	s_delay_alu instid0(VALU_DEP_2) | instskip(NEXT) | instid1(VALU_DEP_1)
	v_and_b32_e32 v17, 0x7f, v8
	v_cmpx_ne_u32_e32 0x7f, v17
	s_cbranch_execz .LBB268_2847
; %bb.2844:                             ;   in Loop: Header=BB268_1574 Depth=1
	v_and_b32_e32 v8, 7, v8
	v_lshrrev_b32_e32 v16, 3, v17
	s_mov_b32 s17, exec_lo
	s_delay_alu instid0(VALU_DEP_2)
	v_dual_mov_b32 v4, v8 :: v_dual_mov_b32 v5, v9
	v_cmpx_gt_u32_e32 8, v17
; %bb.2845:                             ;   in Loop: Header=BB268_1574 Depth=1
	v_clz_i32_u32_e32 v4, v8
	s_delay_alu instid0(VALU_DEP_1) | instskip(NEXT) | instid1(VALU_DEP_1)
	v_min_u32_e32 v16, 32, v4
	v_subrev_nc_u32_e32 v4, 28, v16
	v_sub_nc_u32_e32 v16, 29, v16
	s_delay_alu instid0(VALU_DEP_2) | instskip(NEXT) | instid1(VALU_DEP_1)
	v_lshlrev_b64 v[4:5], v4, v[8:9]
	v_and_b32_e32 v4, 7, v4
; %bb.2846:                             ;   in Loop: Header=BB268_1574 Depth=1
	s_or_b32 exec_lo, exec_lo, s17
	v_lshlrev_b32_e32 v5, 16, v22
	s_delay_alu instid0(VALU_DEP_2) | instskip(SKIP_1) | instid1(VALU_DEP_3)
	v_lshlrev_b32_e32 v4, 20, v4
	v_lshl_add_u32 v8, v16, 23, 0x3c000000
	v_and_b32_e32 v5, 0x80000000, v5
	s_delay_alu instid0(VALU_DEP_1)
	v_or3_b32 v5, v4, v5, v8
	v_mov_b32_e32 v4, v9
.LBB268_2847:                           ;   in Loop: Header=BB268_1574 Depth=1
	s_or_b32 exec_lo, exec_lo, s10
.LBB268_2848:                           ;   in Loop: Header=BB268_1574 Depth=1
	s_delay_alu instid0(SALU_CYCLE_1)
	s_or_b32 exec_lo, exec_lo, s16
.LBB268_2849:                           ;   in Loop: Header=BB268_1574 Depth=1
	s_delay_alu instid0(SALU_CYCLE_1) | instskip(SKIP_4) | instid1(VALU_DEP_1)
	s_or_b32 exec_lo, exec_lo, s15
	v_mov_b32_e32 v16, 0
	v_lshrrev_b32_e32 v23, 16, v22
	v_mov_b32_e32 v17, 0
	s_mov_b32 s10, exec_lo
	v_dual_mov_b32 v19, v17 :: v_dual_and_b32 v8, 0xff, v23
	v_mov_b32_e32 v18, v16
	s_delay_alu instid0(VALU_DEP_2)
	v_cmpx_ne_u16_e32 0, v8
	s_cbranch_execz .LBB268_2857
; %bb.2850:                             ;   in Loop: Header=BB268_1574 Depth=1
	v_bfrev_b32_e32 v18, 1
	v_mov_b32_e32 v19, 0
	s_mov_b32 s15, exec_lo
	v_cmpx_ne_u16_e32 0x80, v8
	s_cbranch_execz .LBB268_2856
; %bb.2851:                             ;   in Loop: Header=BB268_1574 Depth=1
	v_mov_b32_e32 v18, 0x7f800001
	v_bfe_u32 v27, v22, 16, 7
	v_mov_b32_e32 v19, 0
	s_mov_b32 s16, exec_lo
	s_delay_alu instid0(VALU_DEP_2)
	v_cmpx_ne_u32_e32 0x7f, v27
	s_cbranch_execz .LBB268_2855
; %bb.2852:                             ;   in Loop: Header=BB268_1574 Depth=1
	v_and_b32_e32 v8, 7, v23
	v_lshrrev_b32_e32 v24, 3, v27
	v_mov_b32_e32 v19, v9
	s_mov_b32 s17, exec_lo
	s_delay_alu instid0(VALU_DEP_3)
	v_mov_b32_e32 v18, v8
	v_cmpx_gt_u32_e32 8, v27
; %bb.2853:                             ;   in Loop: Header=BB268_1574 Depth=1
	v_clz_i32_u32_e32 v18, v8
	s_delay_alu instid0(VALU_DEP_1) | instskip(NEXT) | instid1(VALU_DEP_1)
	v_min_u32_e32 v24, 32, v18
	v_subrev_nc_u32_e32 v18, 28, v24
	v_sub_nc_u32_e32 v24, 29, v24
	s_delay_alu instid0(VALU_DEP_2) | instskip(NEXT) | instid1(VALU_DEP_1)
	v_lshlrev_b64 v[18:19], v18, v[8:9]
	v_and_b32_e32 v18, 7, v18
; %bb.2854:                             ;   in Loop: Header=BB268_1574 Depth=1
	s_or_b32 exec_lo, exec_lo, s17
	v_lshlrev_b32_e32 v8, 24, v23
	s_delay_alu instid0(VALU_DEP_2) | instskip(SKIP_1) | instid1(VALU_DEP_3)
	v_lshlrev_b32_e32 v18, 20, v18
	v_lshl_add_u32 v19, v24, 23, 0x3c000000
	v_and_b32_e32 v8, 0x80000000, v8
	s_delay_alu instid0(VALU_DEP_1) | instskip(NEXT) | instid1(VALU_DEP_1)
	v_or3_b32 v8, v18, v8, v19
	v_dual_mov_b32 v19, v9 :: v_dual_mov_b32 v18, v8
.LBB268_2855:                           ;   in Loop: Header=BB268_1574 Depth=1
	s_or_b32 exec_lo, exec_lo, s16
.LBB268_2856:                           ;   in Loop: Header=BB268_1574 Depth=1
	s_delay_alu instid0(SALU_CYCLE_1)
	s_or_b32 exec_lo, exec_lo, s15
.LBB268_2857:                           ;   in Loop: Header=BB268_1574 Depth=1
	s_delay_alu instid0(SALU_CYCLE_1) | instskip(NEXT) | instid1(SALU_CYCLE_1)
	s_or_b32 exec_lo, exec_lo, s10
	s_mov_b32 s15, exec_lo
	v_cmpx_lt_u32_e32 0xffffff, v22
	s_cbranch_execz .LBB268_2865
; %bb.2858:                             ;   in Loop: Header=BB268_1574 Depth=1
	v_lshrrev_b32_e32 v23, 24, v22
	v_dual_mov_b32 v17, s9 :: v_dual_mov_b32 v16, s8
	s_mov_b32 s16, exec_lo
	s_delay_alu instid0(VALU_DEP_2)
	v_cmpx_ne_u32_e32 0x80, v23
	s_cbranch_execz .LBB268_2864
; %bb.2859:                             ;   in Loop: Header=BB268_1574 Depth=1
	s_mov_b32 s10, s8
	v_bfe_u32 v24, v22, 24, 7
	v_dual_mov_b32 v17, s11 :: v_dual_mov_b32 v16, s10
	s_mov_b32 s10, exec_lo
	s_delay_alu instid0(VALU_DEP_2)
	v_cmpx_ne_u32_e32 0x7f, v24
	s_cbranch_execz .LBB268_2863
; %bb.2860:                             ;   in Loop: Header=BB268_1574 Depth=1
	v_and_b32_e32 v8, 7, v23
	v_lshrrev_b32_e32 v22, 3, v24
	v_mov_b32_e32 v17, v9
	s_mov_b32 s17, exec_lo
	s_delay_alu instid0(VALU_DEP_3)
	v_mov_b32_e32 v16, v8
	v_cmpx_gt_u32_e32 8, v24
; %bb.2861:                             ;   in Loop: Header=BB268_1574 Depth=1
	v_clz_i32_u32_e32 v16, v8
	s_delay_alu instid0(VALU_DEP_1) | instskip(NEXT) | instid1(VALU_DEP_1)
	v_min_u32_e32 v22, 32, v16
	v_subrev_nc_u32_e32 v16, 28, v22
	v_sub_nc_u32_e32 v22, 29, v22
	s_delay_alu instid0(VALU_DEP_2) | instskip(NEXT) | instid1(VALU_DEP_1)
	v_lshlrev_b64 v[16:17], v16, v[8:9]
	v_and_b32_e32 v16, 7, v16
; %bb.2862:                             ;   in Loop: Header=BB268_1574 Depth=1
	s_or_b32 exec_lo, exec_lo, s17
	v_lshlrev_b32_e32 v8, 24, v23
	s_delay_alu instid0(VALU_DEP_2) | instskip(SKIP_1) | instid1(VALU_DEP_3)
	v_lshlrev_b32_e32 v16, 20, v16
	v_lshl_add_u32 v17, v22, 23, 0x3c000000
	v_and_b32_e32 v8, 0x80000000, v8
	s_delay_alu instid0(VALU_DEP_1)
	v_or3_b32 v17, v16, v8, v17
	v_mov_b32_e32 v16, v9
.LBB268_2863:                           ;   in Loop: Header=BB268_1574 Depth=1
	s_or_b32 exec_lo, exec_lo, s10
.LBB268_2864:                           ;   in Loop: Header=BB268_1574 Depth=1
	s_delay_alu instid0(SALU_CYCLE_1)
	s_or_b32 exec_lo, exec_lo, s16
.LBB268_2865:                           ;   in Loop: Header=BB268_1574 Depth=1
	s_delay_alu instid0(SALU_CYCLE_1) | instskip(SKIP_4) | instid1(VALU_DEP_4)
	s_or_b32 exec_lo, exec_lo, s15
	v_or_b32_e32 v5, v5, v15
	v_or_b32_e32 v4, v4, v14
	;; [unrolled: 1-line block ×4, first 2 shown]
	v_mul_f32_e32 v96, v167, v5
	s_delay_alu instid0(VALU_DEP_4) | instskip(NEXT) | instid1(VALU_DEP_4)
	v_mul_f32_e32 v87, v167, v4
	v_mul_f32_e32 v85, v167, v8
	s_delay_alu instid0(VALU_DEP_4)
	v_mul_f32_e32 v86, v167, v14
	s_and_saveexec_b32 s10, vcc_lo
; %bb.2866:                             ;   in Loop: Header=BB268_1574 Depth=1
	v_cmp_lt_i32_e64 s0, v180, v35
	s_delay_alu instid0(VALU_DEP_1) | instskip(SKIP_1) | instid1(VALU_DEP_1)
	v_cndmask_b32_e64 v87, 0, v87, s0
	v_cmp_lt_i32_e64 s0, v183, v35
	v_cndmask_b32_e64 v96, 0, v96, s0
	v_cmp_lt_i32_e64 s0, v182, v35
	s_delay_alu instid0(VALU_DEP_1) | instskip(SKIP_1) | instid1(VALU_DEP_1)
	v_cndmask_b32_e64 v86, 0, v86, s0
	v_cmp_lt_i32_e64 s0, v181, v35
	v_cndmask_b32_e64 v85, 0, v85, s0
; %bb.2867:                             ;   in Loop: Header=BB268_1574 Depth=1
	s_or_b32 exec_lo, exec_lo, s10
	scratch_load_b32 v4, off, s32 offset:1040 ; 4-byte Folded Reload
	s_mov_b32 s10, exec_lo
	s_waitcnt vmcnt(0)
	v_add_co_u32 v4, s0, v12, v4
	s_delay_alu instid0(VALU_DEP_1) | instskip(SKIP_4) | instid1(VALU_DEP_1)
	v_add_co_ci_u32_e64 v5, s0, 0, v13, s0
	flat_load_b32 v22, v[4:5]
	v_mov_b32_e32 v4, 0
	s_waitcnt vmcnt(0) lgkmcnt(0)
	v_dual_mov_b32 v5, 0 :: v_dual_and_b32 v8, 0xff, v22
	v_dual_mov_b32 v15, v5 :: v_dual_mov_b32 v14, v4
	s_delay_alu instid0(VALU_DEP_2)
	v_cmpx_ne_u16_e32 0, v8
	s_cbranch_execz .LBB268_2875
; %bb.2868:                             ;   in Loop: Header=BB268_1574 Depth=1
	v_bfrev_b32_e32 v14, 1
	v_mov_b32_e32 v15, 0
	s_mov_b32 s15, exec_lo
	v_cmpx_ne_u16_e32 0x80, v8
	s_cbranch_execz .LBB268_2874
; %bb.2869:                             ;   in Loop: Header=BB268_1574 Depth=1
	v_mov_b32_e32 v14, 0x7f800001
	v_and_b32_e32 v17, 0x7f, v22
	v_mov_b32_e32 v15, 0
	s_mov_b32 s16, exec_lo
	s_delay_alu instid0(VALU_DEP_2)
	v_cmpx_ne_u32_e32 0x7f, v17
	s_cbranch_execz .LBB268_2873
; %bb.2870:                             ;   in Loop: Header=BB268_1574 Depth=1
	v_and_b32_e32 v8, 7, v22
	v_lshrrev_b32_e32 v16, 3, v17
	v_mov_b32_e32 v15, v9
	s_mov_b32 s17, exec_lo
	s_delay_alu instid0(VALU_DEP_3)
	v_mov_b32_e32 v14, v8
	v_cmpx_gt_u32_e32 8, v17
; %bb.2871:                             ;   in Loop: Header=BB268_1574 Depth=1
	v_clz_i32_u32_e32 v14, v8
	s_delay_alu instid0(VALU_DEP_1) | instskip(NEXT) | instid1(VALU_DEP_1)
	v_min_u32_e32 v16, 32, v14
	v_subrev_nc_u32_e32 v14, 28, v16
	v_sub_nc_u32_e32 v16, 29, v16
	s_delay_alu instid0(VALU_DEP_2) | instskip(NEXT) | instid1(VALU_DEP_1)
	v_lshlrev_b64 v[14:15], v14, v[8:9]
	v_and_b32_e32 v14, 7, v14
; %bb.2872:                             ;   in Loop: Header=BB268_1574 Depth=1
	s_or_b32 exec_lo, exec_lo, s17
	v_lshlrev_b32_e32 v8, 24, v22
	s_delay_alu instid0(VALU_DEP_2) | instskip(SKIP_1) | instid1(VALU_DEP_3)
	v_lshlrev_b32_e32 v14, 20, v14
	v_lshl_add_u32 v15, v16, 23, 0x3c000000
	v_and_b32_e32 v8, 0x80000000, v8
	s_delay_alu instid0(VALU_DEP_1) | instskip(NEXT) | instid1(VALU_DEP_1)
	v_or3_b32 v8, v14, v8, v15
	v_dual_mov_b32 v15, v9 :: v_dual_mov_b32 v14, v8
.LBB268_2873:                           ;   in Loop: Header=BB268_1574 Depth=1
	s_or_b32 exec_lo, exec_lo, s16
.LBB268_2874:                           ;   in Loop: Header=BB268_1574 Depth=1
	s_delay_alu instid0(SALU_CYCLE_1)
	s_or_b32 exec_lo, exec_lo, s15
.LBB268_2875:                           ;   in Loop: Header=BB268_1574 Depth=1
	s_delay_alu instid0(SALU_CYCLE_1) | instskip(SKIP_2) | instid1(VALU_DEP_1)
	s_or_b32 exec_lo, exec_lo, s10
	v_lshrrev_b16 v8, 8, v22
	s_mov_b32 s15, exec_lo
	v_cmpx_ne_u16_e32 0, v8
	s_cbranch_execz .LBB268_2883
; %bb.2876:                             ;   in Loop: Header=BB268_1574 Depth=1
	v_dual_mov_b32 v4, s8 :: v_dual_mov_b32 v5, s9
	s_mov_b32 s16, exec_lo
	v_cmpx_ne_u16_e32 0x80, v8
	s_cbranch_execz .LBB268_2882
; %bb.2877:                             ;   in Loop: Header=BB268_1574 Depth=1
	s_mov_b32 s10, s8
	v_and_b32_e32 v8, 0xffff, v8
	v_dual_mov_b32 v4, s10 :: v_dual_mov_b32 v5, s11
	s_mov_b32 s10, exec_lo
	s_delay_alu instid0(VALU_DEP_2) | instskip(NEXT) | instid1(VALU_DEP_1)
	v_and_b32_e32 v17, 0x7f, v8
	v_cmpx_ne_u32_e32 0x7f, v17
	s_cbranch_execz .LBB268_2881
; %bb.2878:                             ;   in Loop: Header=BB268_1574 Depth=1
	v_and_b32_e32 v8, 7, v8
	v_lshrrev_b32_e32 v16, 3, v17
	s_mov_b32 s17, exec_lo
	s_delay_alu instid0(VALU_DEP_2)
	v_dual_mov_b32 v4, v8 :: v_dual_mov_b32 v5, v9
	v_cmpx_gt_u32_e32 8, v17
; %bb.2879:                             ;   in Loop: Header=BB268_1574 Depth=1
	v_clz_i32_u32_e32 v4, v8
	s_delay_alu instid0(VALU_DEP_1) | instskip(NEXT) | instid1(VALU_DEP_1)
	v_min_u32_e32 v16, 32, v4
	v_subrev_nc_u32_e32 v4, 28, v16
	v_sub_nc_u32_e32 v16, 29, v16
	s_delay_alu instid0(VALU_DEP_2) | instskip(NEXT) | instid1(VALU_DEP_1)
	v_lshlrev_b64 v[4:5], v4, v[8:9]
	v_and_b32_e32 v4, 7, v4
; %bb.2880:                             ;   in Loop: Header=BB268_1574 Depth=1
	s_or_b32 exec_lo, exec_lo, s17
	v_lshlrev_b32_e32 v5, 16, v22
	s_delay_alu instid0(VALU_DEP_2) | instskip(SKIP_1) | instid1(VALU_DEP_3)
	v_lshlrev_b32_e32 v4, 20, v4
	v_lshl_add_u32 v8, v16, 23, 0x3c000000
	v_and_b32_e32 v5, 0x80000000, v5
	s_delay_alu instid0(VALU_DEP_1)
	v_or3_b32 v5, v4, v5, v8
	v_mov_b32_e32 v4, v9
.LBB268_2881:                           ;   in Loop: Header=BB268_1574 Depth=1
	s_or_b32 exec_lo, exec_lo, s10
.LBB268_2882:                           ;   in Loop: Header=BB268_1574 Depth=1
	s_delay_alu instid0(SALU_CYCLE_1)
	s_or_b32 exec_lo, exec_lo, s16
.LBB268_2883:                           ;   in Loop: Header=BB268_1574 Depth=1
	s_delay_alu instid0(SALU_CYCLE_1) | instskip(SKIP_4) | instid1(VALU_DEP_1)
	s_or_b32 exec_lo, exec_lo, s15
	v_mov_b32_e32 v16, 0
	v_lshrrev_b32_e32 v23, 16, v22
	v_mov_b32_e32 v17, 0
	s_mov_b32 s10, exec_lo
	v_dual_mov_b32 v19, v17 :: v_dual_and_b32 v8, 0xff, v23
	v_mov_b32_e32 v18, v16
	s_delay_alu instid0(VALU_DEP_2)
	v_cmpx_ne_u16_e32 0, v8
	s_cbranch_execz .LBB268_2891
; %bb.2884:                             ;   in Loop: Header=BB268_1574 Depth=1
	v_bfrev_b32_e32 v18, 1
	v_mov_b32_e32 v19, 0
	s_mov_b32 s15, exec_lo
	v_cmpx_ne_u16_e32 0x80, v8
	s_cbranch_execz .LBB268_2890
; %bb.2885:                             ;   in Loop: Header=BB268_1574 Depth=1
	v_mov_b32_e32 v18, 0x7f800001
	v_bfe_u32 v27, v22, 16, 7
	v_mov_b32_e32 v19, 0
	s_mov_b32 s16, exec_lo
	s_delay_alu instid0(VALU_DEP_2)
	v_cmpx_ne_u32_e32 0x7f, v27
	s_cbranch_execz .LBB268_2889
; %bb.2886:                             ;   in Loop: Header=BB268_1574 Depth=1
	v_and_b32_e32 v8, 7, v23
	v_lshrrev_b32_e32 v24, 3, v27
	v_mov_b32_e32 v19, v9
	s_mov_b32 s17, exec_lo
	s_delay_alu instid0(VALU_DEP_3)
	v_mov_b32_e32 v18, v8
	v_cmpx_gt_u32_e32 8, v27
; %bb.2887:                             ;   in Loop: Header=BB268_1574 Depth=1
	v_clz_i32_u32_e32 v18, v8
	s_delay_alu instid0(VALU_DEP_1) | instskip(NEXT) | instid1(VALU_DEP_1)
	v_min_u32_e32 v24, 32, v18
	v_subrev_nc_u32_e32 v18, 28, v24
	v_sub_nc_u32_e32 v24, 29, v24
	s_delay_alu instid0(VALU_DEP_2) | instskip(NEXT) | instid1(VALU_DEP_1)
	v_lshlrev_b64 v[18:19], v18, v[8:9]
	v_and_b32_e32 v18, 7, v18
; %bb.2888:                             ;   in Loop: Header=BB268_1574 Depth=1
	s_or_b32 exec_lo, exec_lo, s17
	v_lshlrev_b32_e32 v8, 24, v23
	s_delay_alu instid0(VALU_DEP_2) | instskip(SKIP_1) | instid1(VALU_DEP_3)
	v_lshlrev_b32_e32 v18, 20, v18
	v_lshl_add_u32 v19, v24, 23, 0x3c000000
	v_and_b32_e32 v8, 0x80000000, v8
	s_delay_alu instid0(VALU_DEP_1) | instskip(NEXT) | instid1(VALU_DEP_1)
	v_or3_b32 v8, v18, v8, v19
	v_dual_mov_b32 v19, v9 :: v_dual_mov_b32 v18, v8
.LBB268_2889:                           ;   in Loop: Header=BB268_1574 Depth=1
	s_or_b32 exec_lo, exec_lo, s16
.LBB268_2890:                           ;   in Loop: Header=BB268_1574 Depth=1
	s_delay_alu instid0(SALU_CYCLE_1)
	s_or_b32 exec_lo, exec_lo, s15
.LBB268_2891:                           ;   in Loop: Header=BB268_1574 Depth=1
	s_delay_alu instid0(SALU_CYCLE_1) | instskip(NEXT) | instid1(SALU_CYCLE_1)
	s_or_b32 exec_lo, exec_lo, s10
	s_mov_b32 s15, exec_lo
	v_cmpx_lt_u32_e32 0xffffff, v22
	s_cbranch_execz .LBB268_2899
; %bb.2892:                             ;   in Loop: Header=BB268_1574 Depth=1
	v_lshrrev_b32_e32 v23, 24, v22
	v_dual_mov_b32 v17, s9 :: v_dual_mov_b32 v16, s8
	s_mov_b32 s16, exec_lo
	s_delay_alu instid0(VALU_DEP_2)
	v_cmpx_ne_u32_e32 0x80, v23
	s_cbranch_execz .LBB268_2898
; %bb.2893:                             ;   in Loop: Header=BB268_1574 Depth=1
	s_mov_b32 s10, s8
	v_bfe_u32 v24, v22, 24, 7
	v_dual_mov_b32 v17, s11 :: v_dual_mov_b32 v16, s10
	s_mov_b32 s10, exec_lo
	s_delay_alu instid0(VALU_DEP_2)
	v_cmpx_ne_u32_e32 0x7f, v24
	s_cbranch_execz .LBB268_2897
; %bb.2894:                             ;   in Loop: Header=BB268_1574 Depth=1
	v_and_b32_e32 v8, 7, v23
	v_lshrrev_b32_e32 v22, 3, v24
	v_mov_b32_e32 v17, v9
	s_mov_b32 s17, exec_lo
	s_delay_alu instid0(VALU_DEP_3)
	v_mov_b32_e32 v16, v8
	v_cmpx_gt_u32_e32 8, v24
; %bb.2895:                             ;   in Loop: Header=BB268_1574 Depth=1
	v_clz_i32_u32_e32 v16, v8
	s_delay_alu instid0(VALU_DEP_1) | instskip(NEXT) | instid1(VALU_DEP_1)
	v_min_u32_e32 v22, 32, v16
	v_subrev_nc_u32_e32 v16, 28, v22
	v_sub_nc_u32_e32 v22, 29, v22
	s_delay_alu instid0(VALU_DEP_2) | instskip(NEXT) | instid1(VALU_DEP_1)
	v_lshlrev_b64 v[16:17], v16, v[8:9]
	v_and_b32_e32 v16, 7, v16
; %bb.2896:                             ;   in Loop: Header=BB268_1574 Depth=1
	s_or_b32 exec_lo, exec_lo, s17
	v_lshlrev_b32_e32 v8, 24, v23
	s_delay_alu instid0(VALU_DEP_2) | instskip(SKIP_1) | instid1(VALU_DEP_3)
	v_lshlrev_b32_e32 v16, 20, v16
	v_lshl_add_u32 v17, v22, 23, 0x3c000000
	v_and_b32_e32 v8, 0x80000000, v8
	s_delay_alu instid0(VALU_DEP_1)
	v_or3_b32 v17, v16, v8, v17
	v_mov_b32_e32 v16, v9
.LBB268_2897:                           ;   in Loop: Header=BB268_1574 Depth=1
	s_or_b32 exec_lo, exec_lo, s10
.LBB268_2898:                           ;   in Loop: Header=BB268_1574 Depth=1
	s_delay_alu instid0(SALU_CYCLE_1)
	s_or_b32 exec_lo, exec_lo, s16
.LBB268_2899:                           ;   in Loop: Header=BB268_1574 Depth=1
	s_delay_alu instid0(SALU_CYCLE_1) | instskip(SKIP_4) | instid1(VALU_DEP_4)
	s_or_b32 exec_lo, exec_lo, s15
	v_or_b32_e32 v5, v5, v15
	v_or_b32_e32 v4, v4, v14
	;; [unrolled: 1-line block ×4, first 2 shown]
	v_mul_f32_e32 v100, v167, v5
	s_delay_alu instid0(VALU_DEP_4) | instskip(NEXT) | instid1(VALU_DEP_4)
	v_mul_f32_e32 v99, v167, v4
	v_mul_f32_e32 v97, v167, v8
	s_delay_alu instid0(VALU_DEP_4)
	v_mul_f32_e32 v98, v167, v14
	s_and_saveexec_b32 s10, vcc_lo
; %bb.2900:                             ;   in Loop: Header=BB268_1574 Depth=1
	v_cmp_lt_i32_e64 s0, v180, v35
	s_delay_alu instid0(VALU_DEP_1) | instskip(SKIP_1) | instid1(VALU_DEP_1)
	v_cndmask_b32_e64 v99, 0, v99, s0
	v_cmp_lt_i32_e64 s0, v183, v35
	v_cndmask_b32_e64 v100, 0, v100, s0
	v_cmp_lt_i32_e64 s0, v182, v35
	s_delay_alu instid0(VALU_DEP_1) | instskip(SKIP_1) | instid1(VALU_DEP_1)
	v_cndmask_b32_e64 v98, 0, v98, s0
	v_cmp_lt_i32_e64 s0, v181, v35
	v_cndmask_b32_e64 v97, 0, v97, s0
; %bb.2901:                             ;   in Loop: Header=BB268_1574 Depth=1
	s_or_b32 exec_lo, exec_lo, s10
	scratch_load_b32 v4, off, s32 offset:1048 ; 4-byte Folded Reload
	s_mov_b32 s10, exec_lo
	s_waitcnt vmcnt(0)
	v_add_co_u32 v4, s0, v12, v4
	s_delay_alu instid0(VALU_DEP_1) | instskip(SKIP_4) | instid1(VALU_DEP_1)
	v_add_co_ci_u32_e64 v5, s0, 0, v13, s0
	flat_load_b32 v22, v[4:5]
	v_mov_b32_e32 v4, 0
	s_waitcnt vmcnt(0) lgkmcnt(0)
	v_dual_mov_b32 v5, 0 :: v_dual_and_b32 v8, 0xff, v22
	v_dual_mov_b32 v15, v5 :: v_dual_mov_b32 v14, v4
	s_delay_alu instid0(VALU_DEP_2)
	v_cmpx_ne_u16_e32 0, v8
	s_cbranch_execz .LBB268_2909
; %bb.2902:                             ;   in Loop: Header=BB268_1574 Depth=1
	v_bfrev_b32_e32 v14, 1
	v_mov_b32_e32 v15, 0
	s_mov_b32 s15, exec_lo
	v_cmpx_ne_u16_e32 0x80, v8
	s_cbranch_execz .LBB268_2908
; %bb.2903:                             ;   in Loop: Header=BB268_1574 Depth=1
	v_mov_b32_e32 v14, 0x7f800001
	v_and_b32_e32 v17, 0x7f, v22
	v_mov_b32_e32 v15, 0
	s_mov_b32 s16, exec_lo
	s_delay_alu instid0(VALU_DEP_2)
	v_cmpx_ne_u32_e32 0x7f, v17
	s_cbranch_execz .LBB268_2907
; %bb.2904:                             ;   in Loop: Header=BB268_1574 Depth=1
	v_and_b32_e32 v8, 7, v22
	v_lshrrev_b32_e32 v16, 3, v17
	v_mov_b32_e32 v15, v9
	s_mov_b32 s17, exec_lo
	s_delay_alu instid0(VALU_DEP_3)
	v_mov_b32_e32 v14, v8
	v_cmpx_gt_u32_e32 8, v17
; %bb.2905:                             ;   in Loop: Header=BB268_1574 Depth=1
	v_clz_i32_u32_e32 v14, v8
	s_delay_alu instid0(VALU_DEP_1) | instskip(NEXT) | instid1(VALU_DEP_1)
	v_min_u32_e32 v16, 32, v14
	v_subrev_nc_u32_e32 v14, 28, v16
	v_sub_nc_u32_e32 v16, 29, v16
	s_delay_alu instid0(VALU_DEP_2) | instskip(NEXT) | instid1(VALU_DEP_1)
	v_lshlrev_b64 v[14:15], v14, v[8:9]
	v_and_b32_e32 v14, 7, v14
; %bb.2906:                             ;   in Loop: Header=BB268_1574 Depth=1
	s_or_b32 exec_lo, exec_lo, s17
	v_lshlrev_b32_e32 v8, 24, v22
	s_delay_alu instid0(VALU_DEP_2) | instskip(SKIP_1) | instid1(VALU_DEP_3)
	v_lshlrev_b32_e32 v14, 20, v14
	v_lshl_add_u32 v15, v16, 23, 0x3c000000
	v_and_b32_e32 v8, 0x80000000, v8
	s_delay_alu instid0(VALU_DEP_1) | instskip(NEXT) | instid1(VALU_DEP_1)
	v_or3_b32 v8, v14, v8, v15
	v_dual_mov_b32 v15, v9 :: v_dual_mov_b32 v14, v8
.LBB268_2907:                           ;   in Loop: Header=BB268_1574 Depth=1
	s_or_b32 exec_lo, exec_lo, s16
.LBB268_2908:                           ;   in Loop: Header=BB268_1574 Depth=1
	s_delay_alu instid0(SALU_CYCLE_1)
	s_or_b32 exec_lo, exec_lo, s15
.LBB268_2909:                           ;   in Loop: Header=BB268_1574 Depth=1
	s_delay_alu instid0(SALU_CYCLE_1) | instskip(SKIP_2) | instid1(VALU_DEP_1)
	s_or_b32 exec_lo, exec_lo, s10
	v_lshrrev_b16 v8, 8, v22
	s_mov_b32 s15, exec_lo
	v_cmpx_ne_u16_e32 0, v8
	s_cbranch_execz .LBB268_2917
; %bb.2910:                             ;   in Loop: Header=BB268_1574 Depth=1
	v_dual_mov_b32 v4, s8 :: v_dual_mov_b32 v5, s9
	s_mov_b32 s16, exec_lo
	v_cmpx_ne_u16_e32 0x80, v8
	s_cbranch_execz .LBB268_2916
; %bb.2911:                             ;   in Loop: Header=BB268_1574 Depth=1
	s_mov_b32 s10, s8
	v_and_b32_e32 v8, 0xffff, v8
	v_dual_mov_b32 v4, s10 :: v_dual_mov_b32 v5, s11
	s_mov_b32 s10, exec_lo
	s_delay_alu instid0(VALU_DEP_2) | instskip(NEXT) | instid1(VALU_DEP_1)
	v_and_b32_e32 v17, 0x7f, v8
	v_cmpx_ne_u32_e32 0x7f, v17
	s_cbranch_execz .LBB268_2915
; %bb.2912:                             ;   in Loop: Header=BB268_1574 Depth=1
	v_and_b32_e32 v8, 7, v8
	v_lshrrev_b32_e32 v16, 3, v17
	s_mov_b32 s17, exec_lo
	s_delay_alu instid0(VALU_DEP_2)
	v_dual_mov_b32 v4, v8 :: v_dual_mov_b32 v5, v9
	v_cmpx_gt_u32_e32 8, v17
; %bb.2913:                             ;   in Loop: Header=BB268_1574 Depth=1
	v_clz_i32_u32_e32 v4, v8
	s_delay_alu instid0(VALU_DEP_1) | instskip(NEXT) | instid1(VALU_DEP_1)
	v_min_u32_e32 v16, 32, v4
	v_subrev_nc_u32_e32 v4, 28, v16
	v_sub_nc_u32_e32 v16, 29, v16
	s_delay_alu instid0(VALU_DEP_2) | instskip(NEXT) | instid1(VALU_DEP_1)
	v_lshlrev_b64 v[4:5], v4, v[8:9]
	v_and_b32_e32 v4, 7, v4
; %bb.2914:                             ;   in Loop: Header=BB268_1574 Depth=1
	s_or_b32 exec_lo, exec_lo, s17
	v_lshlrev_b32_e32 v5, 16, v22
	s_delay_alu instid0(VALU_DEP_2) | instskip(SKIP_1) | instid1(VALU_DEP_3)
	v_lshlrev_b32_e32 v4, 20, v4
	v_lshl_add_u32 v8, v16, 23, 0x3c000000
	v_and_b32_e32 v5, 0x80000000, v5
	s_delay_alu instid0(VALU_DEP_1)
	v_or3_b32 v5, v4, v5, v8
	v_mov_b32_e32 v4, v9
.LBB268_2915:                           ;   in Loop: Header=BB268_1574 Depth=1
	s_or_b32 exec_lo, exec_lo, s10
.LBB268_2916:                           ;   in Loop: Header=BB268_1574 Depth=1
	s_delay_alu instid0(SALU_CYCLE_1)
	s_or_b32 exec_lo, exec_lo, s16
.LBB268_2917:                           ;   in Loop: Header=BB268_1574 Depth=1
	s_delay_alu instid0(SALU_CYCLE_1) | instskip(SKIP_4) | instid1(VALU_DEP_1)
	s_or_b32 exec_lo, exec_lo, s15
	v_mov_b32_e32 v16, 0
	v_lshrrev_b32_e32 v23, 16, v22
	v_mov_b32_e32 v17, 0
	s_mov_b32 s10, exec_lo
	v_dual_mov_b32 v19, v17 :: v_dual_and_b32 v8, 0xff, v23
	v_mov_b32_e32 v18, v16
	s_delay_alu instid0(VALU_DEP_2)
	v_cmpx_ne_u16_e32 0, v8
	s_cbranch_execz .LBB268_2925
; %bb.2918:                             ;   in Loop: Header=BB268_1574 Depth=1
	v_bfrev_b32_e32 v18, 1
	v_mov_b32_e32 v19, 0
	s_mov_b32 s15, exec_lo
	v_cmpx_ne_u16_e32 0x80, v8
	s_cbranch_execz .LBB268_2924
; %bb.2919:                             ;   in Loop: Header=BB268_1574 Depth=1
	v_mov_b32_e32 v18, 0x7f800001
	v_bfe_u32 v27, v22, 16, 7
	v_mov_b32_e32 v19, 0
	s_mov_b32 s16, exec_lo
	s_delay_alu instid0(VALU_DEP_2)
	v_cmpx_ne_u32_e32 0x7f, v27
	s_cbranch_execz .LBB268_2923
; %bb.2920:                             ;   in Loop: Header=BB268_1574 Depth=1
	v_and_b32_e32 v8, 7, v23
	v_lshrrev_b32_e32 v24, 3, v27
	v_mov_b32_e32 v19, v9
	s_mov_b32 s17, exec_lo
	s_delay_alu instid0(VALU_DEP_3)
	v_mov_b32_e32 v18, v8
	v_cmpx_gt_u32_e32 8, v27
; %bb.2921:                             ;   in Loop: Header=BB268_1574 Depth=1
	v_clz_i32_u32_e32 v18, v8
	s_delay_alu instid0(VALU_DEP_1) | instskip(NEXT) | instid1(VALU_DEP_1)
	v_min_u32_e32 v24, 32, v18
	v_subrev_nc_u32_e32 v18, 28, v24
	v_sub_nc_u32_e32 v24, 29, v24
	s_delay_alu instid0(VALU_DEP_2) | instskip(NEXT) | instid1(VALU_DEP_1)
	v_lshlrev_b64 v[18:19], v18, v[8:9]
	v_and_b32_e32 v18, 7, v18
; %bb.2922:                             ;   in Loop: Header=BB268_1574 Depth=1
	s_or_b32 exec_lo, exec_lo, s17
	v_lshlrev_b32_e32 v8, 24, v23
	s_delay_alu instid0(VALU_DEP_2) | instskip(SKIP_1) | instid1(VALU_DEP_3)
	v_lshlrev_b32_e32 v18, 20, v18
	v_lshl_add_u32 v19, v24, 23, 0x3c000000
	v_and_b32_e32 v8, 0x80000000, v8
	s_delay_alu instid0(VALU_DEP_1) | instskip(NEXT) | instid1(VALU_DEP_1)
	v_or3_b32 v8, v18, v8, v19
	v_dual_mov_b32 v19, v9 :: v_dual_mov_b32 v18, v8
.LBB268_2923:                           ;   in Loop: Header=BB268_1574 Depth=1
	s_or_b32 exec_lo, exec_lo, s16
.LBB268_2924:                           ;   in Loop: Header=BB268_1574 Depth=1
	s_delay_alu instid0(SALU_CYCLE_1)
	s_or_b32 exec_lo, exec_lo, s15
.LBB268_2925:                           ;   in Loop: Header=BB268_1574 Depth=1
	s_delay_alu instid0(SALU_CYCLE_1) | instskip(NEXT) | instid1(SALU_CYCLE_1)
	s_or_b32 exec_lo, exec_lo, s10
	s_mov_b32 s15, exec_lo
	v_cmpx_lt_u32_e32 0xffffff, v22
	s_cbranch_execz .LBB268_2933
; %bb.2926:                             ;   in Loop: Header=BB268_1574 Depth=1
	v_lshrrev_b32_e32 v23, 24, v22
	v_dual_mov_b32 v17, s9 :: v_dual_mov_b32 v16, s8
	s_mov_b32 s16, exec_lo
	s_delay_alu instid0(VALU_DEP_2)
	v_cmpx_ne_u32_e32 0x80, v23
	s_cbranch_execz .LBB268_2932
; %bb.2927:                             ;   in Loop: Header=BB268_1574 Depth=1
	s_mov_b32 s10, s8
	v_bfe_u32 v24, v22, 24, 7
	v_dual_mov_b32 v17, s11 :: v_dual_mov_b32 v16, s10
	s_mov_b32 s10, exec_lo
	s_delay_alu instid0(VALU_DEP_2)
	v_cmpx_ne_u32_e32 0x7f, v24
	s_cbranch_execz .LBB268_2931
; %bb.2928:                             ;   in Loop: Header=BB268_1574 Depth=1
	v_and_b32_e32 v8, 7, v23
	v_lshrrev_b32_e32 v22, 3, v24
	v_mov_b32_e32 v17, v9
	s_mov_b32 s17, exec_lo
	s_delay_alu instid0(VALU_DEP_3)
	v_mov_b32_e32 v16, v8
	v_cmpx_gt_u32_e32 8, v24
; %bb.2929:                             ;   in Loop: Header=BB268_1574 Depth=1
	v_clz_i32_u32_e32 v16, v8
	s_delay_alu instid0(VALU_DEP_1) | instskip(NEXT) | instid1(VALU_DEP_1)
	v_min_u32_e32 v22, 32, v16
	v_subrev_nc_u32_e32 v16, 28, v22
	v_sub_nc_u32_e32 v22, 29, v22
	s_delay_alu instid0(VALU_DEP_2) | instskip(NEXT) | instid1(VALU_DEP_1)
	v_lshlrev_b64 v[16:17], v16, v[8:9]
	v_and_b32_e32 v16, 7, v16
; %bb.2930:                             ;   in Loop: Header=BB268_1574 Depth=1
	s_or_b32 exec_lo, exec_lo, s17
	v_lshlrev_b32_e32 v8, 24, v23
	s_delay_alu instid0(VALU_DEP_2) | instskip(SKIP_1) | instid1(VALU_DEP_3)
	v_lshlrev_b32_e32 v16, 20, v16
	v_lshl_add_u32 v17, v22, 23, 0x3c000000
	v_and_b32_e32 v8, 0x80000000, v8
	s_delay_alu instid0(VALU_DEP_1)
	v_or3_b32 v17, v16, v8, v17
	v_mov_b32_e32 v16, v9
.LBB268_2931:                           ;   in Loop: Header=BB268_1574 Depth=1
	s_or_b32 exec_lo, exec_lo, s10
.LBB268_2932:                           ;   in Loop: Header=BB268_1574 Depth=1
	s_delay_alu instid0(SALU_CYCLE_1)
	s_or_b32 exec_lo, exec_lo, s16
.LBB268_2933:                           ;   in Loop: Header=BB268_1574 Depth=1
	s_delay_alu instid0(SALU_CYCLE_1) | instskip(SKIP_4) | instid1(VALU_DEP_4)
	s_or_b32 exec_lo, exec_lo, s15
	v_or_b32_e32 v5, v5, v15
	v_or_b32_e32 v4, v4, v14
	;; [unrolled: 1-line block ×4, first 2 shown]
	v_mul_f32_e32 v112, v167, v5
	s_delay_alu instid0(VALU_DEP_4) | instskip(NEXT) | instid1(VALU_DEP_4)
	v_mul_f32_e32 v103, v167, v4
	v_mul_f32_e32 v101, v167, v8
	s_delay_alu instid0(VALU_DEP_4)
	v_mul_f32_e32 v102, v167, v14
	s_and_saveexec_b32 s10, vcc_lo
; %bb.2934:                             ;   in Loop: Header=BB268_1574 Depth=1
	v_cmp_lt_i32_e64 s0, v180, v35
	s_delay_alu instid0(VALU_DEP_1) | instskip(SKIP_1) | instid1(VALU_DEP_1)
	v_cndmask_b32_e64 v103, 0, v103, s0
	v_cmp_lt_i32_e64 s0, v183, v35
	v_cndmask_b32_e64 v112, 0, v112, s0
	v_cmp_lt_i32_e64 s0, v182, v35
	s_delay_alu instid0(VALU_DEP_1) | instskip(SKIP_1) | instid1(VALU_DEP_1)
	v_cndmask_b32_e64 v102, 0, v102, s0
	v_cmp_lt_i32_e64 s0, v181, v35
	v_cndmask_b32_e64 v101, 0, v101, s0
; %bb.2935:                             ;   in Loop: Header=BB268_1574 Depth=1
	s_or_b32 exec_lo, exec_lo, s10
	scratch_load_b32 v4, off, s32 offset:1056 ; 4-byte Folded Reload
	s_mov_b32 s10, exec_lo
	s_waitcnt vmcnt(0)
	v_add_co_u32 v4, s0, v12, v4
	s_delay_alu instid0(VALU_DEP_1) | instskip(SKIP_4) | instid1(VALU_DEP_1)
	v_add_co_ci_u32_e64 v5, s0, 0, v13, s0
	flat_load_b32 v22, v[4:5]
	v_mov_b32_e32 v4, 0
	s_waitcnt vmcnt(0) lgkmcnt(0)
	v_dual_mov_b32 v5, 0 :: v_dual_and_b32 v8, 0xff, v22
	v_dual_mov_b32 v15, v5 :: v_dual_mov_b32 v14, v4
	s_delay_alu instid0(VALU_DEP_2)
	v_cmpx_ne_u16_e32 0, v8
	s_cbranch_execz .LBB268_2943
; %bb.2936:                             ;   in Loop: Header=BB268_1574 Depth=1
	v_bfrev_b32_e32 v14, 1
	v_mov_b32_e32 v15, 0
	s_mov_b32 s15, exec_lo
	v_cmpx_ne_u16_e32 0x80, v8
	s_cbranch_execz .LBB268_2942
; %bb.2937:                             ;   in Loop: Header=BB268_1574 Depth=1
	v_mov_b32_e32 v14, 0x7f800001
	v_and_b32_e32 v17, 0x7f, v22
	v_mov_b32_e32 v15, 0
	s_mov_b32 s16, exec_lo
	s_delay_alu instid0(VALU_DEP_2)
	v_cmpx_ne_u32_e32 0x7f, v17
	s_cbranch_execz .LBB268_2941
; %bb.2938:                             ;   in Loop: Header=BB268_1574 Depth=1
	v_and_b32_e32 v8, 7, v22
	v_lshrrev_b32_e32 v16, 3, v17
	v_mov_b32_e32 v15, v9
	s_mov_b32 s17, exec_lo
	s_delay_alu instid0(VALU_DEP_3)
	v_mov_b32_e32 v14, v8
	v_cmpx_gt_u32_e32 8, v17
; %bb.2939:                             ;   in Loop: Header=BB268_1574 Depth=1
	v_clz_i32_u32_e32 v14, v8
	s_delay_alu instid0(VALU_DEP_1) | instskip(NEXT) | instid1(VALU_DEP_1)
	v_min_u32_e32 v16, 32, v14
	v_subrev_nc_u32_e32 v14, 28, v16
	v_sub_nc_u32_e32 v16, 29, v16
	s_delay_alu instid0(VALU_DEP_2) | instskip(NEXT) | instid1(VALU_DEP_1)
	v_lshlrev_b64 v[14:15], v14, v[8:9]
	v_and_b32_e32 v14, 7, v14
; %bb.2940:                             ;   in Loop: Header=BB268_1574 Depth=1
	s_or_b32 exec_lo, exec_lo, s17
	v_lshlrev_b32_e32 v8, 24, v22
	s_delay_alu instid0(VALU_DEP_2) | instskip(SKIP_1) | instid1(VALU_DEP_3)
	v_lshlrev_b32_e32 v14, 20, v14
	v_lshl_add_u32 v15, v16, 23, 0x3c000000
	v_and_b32_e32 v8, 0x80000000, v8
	s_delay_alu instid0(VALU_DEP_1) | instskip(NEXT) | instid1(VALU_DEP_1)
	v_or3_b32 v8, v14, v8, v15
	v_dual_mov_b32 v15, v9 :: v_dual_mov_b32 v14, v8
.LBB268_2941:                           ;   in Loop: Header=BB268_1574 Depth=1
	s_or_b32 exec_lo, exec_lo, s16
.LBB268_2942:                           ;   in Loop: Header=BB268_1574 Depth=1
	s_delay_alu instid0(SALU_CYCLE_1)
	s_or_b32 exec_lo, exec_lo, s15
.LBB268_2943:                           ;   in Loop: Header=BB268_1574 Depth=1
	s_delay_alu instid0(SALU_CYCLE_1) | instskip(SKIP_2) | instid1(VALU_DEP_1)
	s_or_b32 exec_lo, exec_lo, s10
	v_lshrrev_b16 v8, 8, v22
	s_mov_b32 s15, exec_lo
	v_cmpx_ne_u16_e32 0, v8
	s_cbranch_execz .LBB268_2951
; %bb.2944:                             ;   in Loop: Header=BB268_1574 Depth=1
	v_dual_mov_b32 v4, s8 :: v_dual_mov_b32 v5, s9
	s_mov_b32 s16, exec_lo
	v_cmpx_ne_u16_e32 0x80, v8
	s_cbranch_execz .LBB268_2950
; %bb.2945:                             ;   in Loop: Header=BB268_1574 Depth=1
	s_mov_b32 s10, s8
	v_and_b32_e32 v8, 0xffff, v8
	v_dual_mov_b32 v4, s10 :: v_dual_mov_b32 v5, s11
	s_mov_b32 s10, exec_lo
	s_delay_alu instid0(VALU_DEP_2) | instskip(NEXT) | instid1(VALU_DEP_1)
	v_and_b32_e32 v17, 0x7f, v8
	v_cmpx_ne_u32_e32 0x7f, v17
	s_cbranch_execz .LBB268_2949
; %bb.2946:                             ;   in Loop: Header=BB268_1574 Depth=1
	v_and_b32_e32 v8, 7, v8
	v_lshrrev_b32_e32 v16, 3, v17
	s_mov_b32 s17, exec_lo
	s_delay_alu instid0(VALU_DEP_2)
	v_dual_mov_b32 v4, v8 :: v_dual_mov_b32 v5, v9
	v_cmpx_gt_u32_e32 8, v17
; %bb.2947:                             ;   in Loop: Header=BB268_1574 Depth=1
	v_clz_i32_u32_e32 v4, v8
	s_delay_alu instid0(VALU_DEP_1) | instskip(NEXT) | instid1(VALU_DEP_1)
	v_min_u32_e32 v16, 32, v4
	v_subrev_nc_u32_e32 v4, 28, v16
	v_sub_nc_u32_e32 v16, 29, v16
	s_delay_alu instid0(VALU_DEP_2) | instskip(NEXT) | instid1(VALU_DEP_1)
	v_lshlrev_b64 v[4:5], v4, v[8:9]
	v_and_b32_e32 v4, 7, v4
; %bb.2948:                             ;   in Loop: Header=BB268_1574 Depth=1
	s_or_b32 exec_lo, exec_lo, s17
	v_lshlrev_b32_e32 v5, 16, v22
	s_delay_alu instid0(VALU_DEP_2) | instskip(SKIP_1) | instid1(VALU_DEP_3)
	v_lshlrev_b32_e32 v4, 20, v4
	v_lshl_add_u32 v8, v16, 23, 0x3c000000
	v_and_b32_e32 v5, 0x80000000, v5
	s_delay_alu instid0(VALU_DEP_1)
	v_or3_b32 v5, v4, v5, v8
	v_mov_b32_e32 v4, v9
.LBB268_2949:                           ;   in Loop: Header=BB268_1574 Depth=1
	s_or_b32 exec_lo, exec_lo, s10
.LBB268_2950:                           ;   in Loop: Header=BB268_1574 Depth=1
	s_delay_alu instid0(SALU_CYCLE_1)
	s_or_b32 exec_lo, exec_lo, s16
.LBB268_2951:                           ;   in Loop: Header=BB268_1574 Depth=1
	s_delay_alu instid0(SALU_CYCLE_1) | instskip(SKIP_4) | instid1(VALU_DEP_1)
	s_or_b32 exec_lo, exec_lo, s15
	v_mov_b32_e32 v16, 0
	v_lshrrev_b32_e32 v23, 16, v22
	v_mov_b32_e32 v17, 0
	s_mov_b32 s10, exec_lo
	v_dual_mov_b32 v19, v17 :: v_dual_and_b32 v8, 0xff, v23
	v_mov_b32_e32 v18, v16
	s_delay_alu instid0(VALU_DEP_2)
	v_cmpx_ne_u16_e32 0, v8
	s_cbranch_execz .LBB268_2959
; %bb.2952:                             ;   in Loop: Header=BB268_1574 Depth=1
	v_bfrev_b32_e32 v18, 1
	v_mov_b32_e32 v19, 0
	s_mov_b32 s15, exec_lo
	v_cmpx_ne_u16_e32 0x80, v8
	s_cbranch_execz .LBB268_2958
; %bb.2953:                             ;   in Loop: Header=BB268_1574 Depth=1
	v_mov_b32_e32 v18, 0x7f800001
	v_bfe_u32 v27, v22, 16, 7
	v_mov_b32_e32 v19, 0
	s_mov_b32 s16, exec_lo
	s_delay_alu instid0(VALU_DEP_2)
	v_cmpx_ne_u32_e32 0x7f, v27
	s_cbranch_execz .LBB268_2957
; %bb.2954:                             ;   in Loop: Header=BB268_1574 Depth=1
	v_and_b32_e32 v8, 7, v23
	v_lshrrev_b32_e32 v24, 3, v27
	v_mov_b32_e32 v19, v9
	s_mov_b32 s17, exec_lo
	s_delay_alu instid0(VALU_DEP_3)
	v_mov_b32_e32 v18, v8
	v_cmpx_gt_u32_e32 8, v27
; %bb.2955:                             ;   in Loop: Header=BB268_1574 Depth=1
	v_clz_i32_u32_e32 v18, v8
	s_delay_alu instid0(VALU_DEP_1) | instskip(NEXT) | instid1(VALU_DEP_1)
	v_min_u32_e32 v24, 32, v18
	v_subrev_nc_u32_e32 v18, 28, v24
	v_sub_nc_u32_e32 v24, 29, v24
	s_delay_alu instid0(VALU_DEP_2) | instskip(NEXT) | instid1(VALU_DEP_1)
	v_lshlrev_b64 v[18:19], v18, v[8:9]
	v_and_b32_e32 v18, 7, v18
; %bb.2956:                             ;   in Loop: Header=BB268_1574 Depth=1
	s_or_b32 exec_lo, exec_lo, s17
	v_lshlrev_b32_e32 v8, 24, v23
	s_delay_alu instid0(VALU_DEP_2) | instskip(SKIP_1) | instid1(VALU_DEP_3)
	v_lshlrev_b32_e32 v18, 20, v18
	v_lshl_add_u32 v19, v24, 23, 0x3c000000
	v_and_b32_e32 v8, 0x80000000, v8
	s_delay_alu instid0(VALU_DEP_1) | instskip(NEXT) | instid1(VALU_DEP_1)
	v_or3_b32 v8, v18, v8, v19
	v_dual_mov_b32 v19, v9 :: v_dual_mov_b32 v18, v8
.LBB268_2957:                           ;   in Loop: Header=BB268_1574 Depth=1
	s_or_b32 exec_lo, exec_lo, s16
.LBB268_2958:                           ;   in Loop: Header=BB268_1574 Depth=1
	s_delay_alu instid0(SALU_CYCLE_1)
	s_or_b32 exec_lo, exec_lo, s15
.LBB268_2959:                           ;   in Loop: Header=BB268_1574 Depth=1
	s_delay_alu instid0(SALU_CYCLE_1) | instskip(NEXT) | instid1(SALU_CYCLE_1)
	s_or_b32 exec_lo, exec_lo, s10
	s_mov_b32 s15, exec_lo
	v_cmpx_lt_u32_e32 0xffffff, v22
	s_cbranch_execz .LBB268_2967
; %bb.2960:                             ;   in Loop: Header=BB268_1574 Depth=1
	v_lshrrev_b32_e32 v23, 24, v22
	v_dual_mov_b32 v17, s9 :: v_dual_mov_b32 v16, s8
	s_mov_b32 s16, exec_lo
	s_delay_alu instid0(VALU_DEP_2)
	v_cmpx_ne_u32_e32 0x80, v23
	s_cbranch_execz .LBB268_2966
; %bb.2961:                             ;   in Loop: Header=BB268_1574 Depth=1
	s_mov_b32 s10, s8
	v_bfe_u32 v24, v22, 24, 7
	v_dual_mov_b32 v17, s11 :: v_dual_mov_b32 v16, s10
	s_mov_b32 s10, exec_lo
	s_delay_alu instid0(VALU_DEP_2)
	v_cmpx_ne_u32_e32 0x7f, v24
	s_cbranch_execz .LBB268_2965
; %bb.2962:                             ;   in Loop: Header=BB268_1574 Depth=1
	v_and_b32_e32 v8, 7, v23
	v_lshrrev_b32_e32 v22, 3, v24
	v_mov_b32_e32 v17, v9
	s_mov_b32 s17, exec_lo
	s_delay_alu instid0(VALU_DEP_3)
	v_mov_b32_e32 v16, v8
	v_cmpx_gt_u32_e32 8, v24
; %bb.2963:                             ;   in Loop: Header=BB268_1574 Depth=1
	v_clz_i32_u32_e32 v16, v8
	s_delay_alu instid0(VALU_DEP_1) | instskip(NEXT) | instid1(VALU_DEP_1)
	v_min_u32_e32 v22, 32, v16
	v_subrev_nc_u32_e32 v16, 28, v22
	v_sub_nc_u32_e32 v22, 29, v22
	s_delay_alu instid0(VALU_DEP_2) | instskip(NEXT) | instid1(VALU_DEP_1)
	v_lshlrev_b64 v[16:17], v16, v[8:9]
	v_and_b32_e32 v16, 7, v16
; %bb.2964:                             ;   in Loop: Header=BB268_1574 Depth=1
	s_or_b32 exec_lo, exec_lo, s17
	v_lshlrev_b32_e32 v8, 24, v23
	s_delay_alu instid0(VALU_DEP_2) | instskip(SKIP_1) | instid1(VALU_DEP_3)
	v_lshlrev_b32_e32 v16, 20, v16
	v_lshl_add_u32 v17, v22, 23, 0x3c000000
	v_and_b32_e32 v8, 0x80000000, v8
	s_delay_alu instid0(VALU_DEP_1)
	v_or3_b32 v17, v16, v8, v17
	v_mov_b32_e32 v16, v9
.LBB268_2965:                           ;   in Loop: Header=BB268_1574 Depth=1
	s_or_b32 exec_lo, exec_lo, s10
.LBB268_2966:                           ;   in Loop: Header=BB268_1574 Depth=1
	s_delay_alu instid0(SALU_CYCLE_1)
	s_or_b32 exec_lo, exec_lo, s16
.LBB268_2967:                           ;   in Loop: Header=BB268_1574 Depth=1
	s_delay_alu instid0(SALU_CYCLE_1) | instskip(SKIP_4) | instid1(VALU_DEP_4)
	s_or_b32 exec_lo, exec_lo, s15
	v_or_b32_e32 v5, v5, v15
	v_or_b32_e32 v4, v4, v14
	;; [unrolled: 1-line block ×4, first 2 shown]
	v_mul_f32_e32 v24, v167, v5
	s_delay_alu instid0(VALU_DEP_4) | instskip(NEXT) | instid1(VALU_DEP_4)
	v_mul_f32_e32 v115, v167, v4
	v_mul_f32_e32 v113, v167, v8
	s_delay_alu instid0(VALU_DEP_4)
	v_mul_f32_e32 v114, v167, v14
	s_and_saveexec_b32 s10, vcc_lo
; %bb.2968:                             ;   in Loop: Header=BB268_1574 Depth=1
	v_cmp_lt_i32_e64 s0, v180, v35
	s_delay_alu instid0(VALU_DEP_1) | instskip(SKIP_1) | instid1(VALU_DEP_1)
	v_cndmask_b32_e64 v115, 0, v115, s0
	v_cmp_lt_i32_e64 s0, v183, v35
	v_cndmask_b32_e64 v24, 0, v24, s0
	v_cmp_lt_i32_e64 s0, v182, v35
	s_delay_alu instid0(VALU_DEP_1) | instskip(SKIP_1) | instid1(VALU_DEP_1)
	v_cndmask_b32_e64 v114, 0, v114, s0
	v_cmp_lt_i32_e64 s0, v181, v35
	v_cndmask_b32_e64 v113, 0, v113, s0
; %bb.2969:                             ;   in Loop: Header=BB268_1574 Depth=1
	s_or_b32 exec_lo, exec_lo, s10
	scratch_load_b32 v4, off, s32 offset:1064 ; 4-byte Folded Reload
	s_mov_b32 s10, exec_lo
	s_waitcnt vmcnt(0)
	v_add_co_u32 v4, s0, v12, v4
	s_delay_alu instid0(VALU_DEP_1) | instskip(SKIP_4) | instid1(VALU_DEP_1)
	v_add_co_ci_u32_e64 v5, s0, 0, v13, s0
	flat_load_b32 v22, v[4:5]
	v_mov_b32_e32 v4, 0
	s_waitcnt vmcnt(0) lgkmcnt(0)
	v_dual_mov_b32 v5, 0 :: v_dual_and_b32 v8, 0xff, v22
	v_dual_mov_b32 v15, v5 :: v_dual_mov_b32 v14, v4
	s_delay_alu instid0(VALU_DEP_2)
	v_cmpx_ne_u16_e32 0, v8
	s_cbranch_execz .LBB268_2977
; %bb.2970:                             ;   in Loop: Header=BB268_1574 Depth=1
	v_bfrev_b32_e32 v14, 1
	v_mov_b32_e32 v15, 0
	s_mov_b32 s15, exec_lo
	v_cmpx_ne_u16_e32 0x80, v8
	s_cbranch_execz .LBB268_2976
; %bb.2971:                             ;   in Loop: Header=BB268_1574 Depth=1
	v_mov_b32_e32 v14, 0x7f800001
	v_and_b32_e32 v17, 0x7f, v22
	v_mov_b32_e32 v15, 0
	s_mov_b32 s16, exec_lo
	s_delay_alu instid0(VALU_DEP_2)
	v_cmpx_ne_u32_e32 0x7f, v17
	s_cbranch_execz .LBB268_2975
; %bb.2972:                             ;   in Loop: Header=BB268_1574 Depth=1
	v_and_b32_e32 v8, 7, v22
	v_lshrrev_b32_e32 v16, 3, v17
	v_mov_b32_e32 v15, v9
	s_mov_b32 s17, exec_lo
	s_delay_alu instid0(VALU_DEP_3)
	v_mov_b32_e32 v14, v8
	v_cmpx_gt_u32_e32 8, v17
; %bb.2973:                             ;   in Loop: Header=BB268_1574 Depth=1
	v_clz_i32_u32_e32 v14, v8
	s_delay_alu instid0(VALU_DEP_1) | instskip(NEXT) | instid1(VALU_DEP_1)
	v_min_u32_e32 v16, 32, v14
	v_subrev_nc_u32_e32 v14, 28, v16
	v_sub_nc_u32_e32 v16, 29, v16
	s_delay_alu instid0(VALU_DEP_2) | instskip(NEXT) | instid1(VALU_DEP_1)
	v_lshlrev_b64 v[14:15], v14, v[8:9]
	v_and_b32_e32 v14, 7, v14
; %bb.2974:                             ;   in Loop: Header=BB268_1574 Depth=1
	s_or_b32 exec_lo, exec_lo, s17
	v_lshlrev_b32_e32 v8, 24, v22
	s_delay_alu instid0(VALU_DEP_2) | instskip(SKIP_1) | instid1(VALU_DEP_3)
	v_lshlrev_b32_e32 v14, 20, v14
	v_lshl_add_u32 v15, v16, 23, 0x3c000000
	v_and_b32_e32 v8, 0x80000000, v8
	s_delay_alu instid0(VALU_DEP_1) | instskip(NEXT) | instid1(VALU_DEP_1)
	v_or3_b32 v8, v14, v8, v15
	v_dual_mov_b32 v15, v9 :: v_dual_mov_b32 v14, v8
.LBB268_2975:                           ;   in Loop: Header=BB268_1574 Depth=1
	s_or_b32 exec_lo, exec_lo, s16
.LBB268_2976:                           ;   in Loop: Header=BB268_1574 Depth=1
	s_delay_alu instid0(SALU_CYCLE_1)
	s_or_b32 exec_lo, exec_lo, s15
.LBB268_2977:                           ;   in Loop: Header=BB268_1574 Depth=1
	s_delay_alu instid0(SALU_CYCLE_1) | instskip(SKIP_2) | instid1(VALU_DEP_1)
	s_or_b32 exec_lo, exec_lo, s10
	v_lshrrev_b16 v8, 8, v22
	s_mov_b32 s15, exec_lo
	v_cmpx_ne_u16_e32 0, v8
	s_cbranch_execz .LBB268_2985
; %bb.2978:                             ;   in Loop: Header=BB268_1574 Depth=1
	v_dual_mov_b32 v4, s8 :: v_dual_mov_b32 v5, s9
	s_mov_b32 s16, exec_lo
	v_cmpx_ne_u16_e32 0x80, v8
	s_cbranch_execz .LBB268_2984
; %bb.2979:                             ;   in Loop: Header=BB268_1574 Depth=1
	s_mov_b32 s10, s8
	v_and_b32_e32 v8, 0xffff, v8
	v_dual_mov_b32 v4, s10 :: v_dual_mov_b32 v5, s11
	s_mov_b32 s10, exec_lo
	s_delay_alu instid0(VALU_DEP_2) | instskip(NEXT) | instid1(VALU_DEP_1)
	v_and_b32_e32 v17, 0x7f, v8
	v_cmpx_ne_u32_e32 0x7f, v17
	s_cbranch_execz .LBB268_2983
; %bb.2980:                             ;   in Loop: Header=BB268_1574 Depth=1
	v_and_b32_e32 v8, 7, v8
	v_lshrrev_b32_e32 v16, 3, v17
	s_mov_b32 s17, exec_lo
	s_delay_alu instid0(VALU_DEP_2)
	v_dual_mov_b32 v4, v8 :: v_dual_mov_b32 v5, v9
	v_cmpx_gt_u32_e32 8, v17
; %bb.2981:                             ;   in Loop: Header=BB268_1574 Depth=1
	v_clz_i32_u32_e32 v4, v8
	s_delay_alu instid0(VALU_DEP_1) | instskip(NEXT) | instid1(VALU_DEP_1)
	v_min_u32_e32 v16, 32, v4
	v_subrev_nc_u32_e32 v4, 28, v16
	v_sub_nc_u32_e32 v16, 29, v16
	s_delay_alu instid0(VALU_DEP_2) | instskip(NEXT) | instid1(VALU_DEP_1)
	v_lshlrev_b64 v[4:5], v4, v[8:9]
	v_and_b32_e32 v4, 7, v4
; %bb.2982:                             ;   in Loop: Header=BB268_1574 Depth=1
	s_or_b32 exec_lo, exec_lo, s17
	v_lshlrev_b32_e32 v5, 16, v22
	s_delay_alu instid0(VALU_DEP_2) | instskip(SKIP_1) | instid1(VALU_DEP_3)
	v_lshlrev_b32_e32 v4, 20, v4
	v_lshl_add_u32 v8, v16, 23, 0x3c000000
	v_and_b32_e32 v5, 0x80000000, v5
	s_delay_alu instid0(VALU_DEP_1)
	v_or3_b32 v5, v4, v5, v8
	v_mov_b32_e32 v4, v9
.LBB268_2983:                           ;   in Loop: Header=BB268_1574 Depth=1
	s_or_b32 exec_lo, exec_lo, s10
.LBB268_2984:                           ;   in Loop: Header=BB268_1574 Depth=1
	s_delay_alu instid0(SALU_CYCLE_1)
	s_or_b32 exec_lo, exec_lo, s16
.LBB268_2985:                           ;   in Loop: Header=BB268_1574 Depth=1
	s_delay_alu instid0(SALU_CYCLE_1) | instskip(SKIP_4) | instid1(VALU_DEP_1)
	s_or_b32 exec_lo, exec_lo, s15
	v_mov_b32_e32 v16, 0
	v_lshrrev_b32_e32 v23, 16, v22
	v_mov_b32_e32 v17, 0
	s_mov_b32 s10, exec_lo
	v_dual_mov_b32 v19, v17 :: v_dual_and_b32 v8, 0xff, v23
	v_mov_b32_e32 v18, v16
	s_delay_alu instid0(VALU_DEP_2)
	v_cmpx_ne_u16_e32 0, v8
	s_cbranch_execz .LBB268_2993
; %bb.2986:                             ;   in Loop: Header=BB268_1574 Depth=1
	v_bfrev_b32_e32 v18, 1
	v_mov_b32_e32 v19, 0
	s_mov_b32 s15, exec_lo
	v_cmpx_ne_u16_e32 0x80, v8
	s_cbranch_execz .LBB268_2992
; %bb.2987:                             ;   in Loop: Header=BB268_1574 Depth=1
	v_mov_b32_e32 v18, 0x7f800001
	v_bfe_u32 v163, v22, 16, 7
	v_mov_b32_e32 v19, 0
	s_mov_b32 s16, exec_lo
	s_delay_alu instid0(VALU_DEP_2)
	v_cmpx_ne_u32_e32 0x7f, v163
	s_cbranch_execz .LBB268_2991
; %bb.2988:                             ;   in Loop: Header=BB268_1574 Depth=1
	v_and_b32_e32 v8, 7, v23
	v_lshrrev_b32_e32 v27, 3, v163
	v_mov_b32_e32 v19, v9
	s_mov_b32 s17, exec_lo
	s_delay_alu instid0(VALU_DEP_3)
	v_mov_b32_e32 v18, v8
	v_cmpx_gt_u32_e32 8, v163
; %bb.2989:                             ;   in Loop: Header=BB268_1574 Depth=1
	v_clz_i32_u32_e32 v18, v8
	s_delay_alu instid0(VALU_DEP_1) | instskip(NEXT) | instid1(VALU_DEP_1)
	v_min_u32_e32 v27, 32, v18
	v_subrev_nc_u32_e32 v18, 28, v27
	v_sub_nc_u32_e32 v27, 29, v27
	s_delay_alu instid0(VALU_DEP_2) | instskip(NEXT) | instid1(VALU_DEP_1)
	v_lshlrev_b64 v[18:19], v18, v[8:9]
	v_and_b32_e32 v18, 7, v18
; %bb.2990:                             ;   in Loop: Header=BB268_1574 Depth=1
	s_or_b32 exec_lo, exec_lo, s17
	v_lshlrev_b32_e32 v8, 24, v23
	s_delay_alu instid0(VALU_DEP_2) | instskip(SKIP_1) | instid1(VALU_DEP_3)
	v_lshlrev_b32_e32 v18, 20, v18
	v_lshl_add_u32 v19, v27, 23, 0x3c000000
	v_and_b32_e32 v8, 0x80000000, v8
	s_delay_alu instid0(VALU_DEP_1) | instskip(NEXT) | instid1(VALU_DEP_1)
	v_or3_b32 v8, v18, v8, v19
	v_dual_mov_b32 v19, v9 :: v_dual_mov_b32 v18, v8
.LBB268_2991:                           ;   in Loop: Header=BB268_1574 Depth=1
	s_or_b32 exec_lo, exec_lo, s16
.LBB268_2992:                           ;   in Loop: Header=BB268_1574 Depth=1
	s_delay_alu instid0(SALU_CYCLE_1)
	s_or_b32 exec_lo, exec_lo, s15
.LBB268_2993:                           ;   in Loop: Header=BB268_1574 Depth=1
	s_delay_alu instid0(SALU_CYCLE_1) | instskip(NEXT) | instid1(SALU_CYCLE_1)
	s_or_b32 exec_lo, exec_lo, s10
	s_mov_b32 s15, exec_lo
	v_cmpx_lt_u32_e32 0xffffff, v22
	s_cbranch_execz .LBB268_3001
; %bb.2994:                             ;   in Loop: Header=BB268_1574 Depth=1
	v_lshrrev_b32_e32 v23, 24, v22
	v_dual_mov_b32 v17, s9 :: v_dual_mov_b32 v16, s8
	s_mov_b32 s16, exec_lo
	s_delay_alu instid0(VALU_DEP_2)
	v_cmpx_ne_u32_e32 0x80, v23
	s_cbranch_execz .LBB268_3000
; %bb.2995:                             ;   in Loop: Header=BB268_1574 Depth=1
	s_mov_b32 s10, s8
	v_bfe_u32 v27, v22, 24, 7
	v_dual_mov_b32 v17, s11 :: v_dual_mov_b32 v16, s10
	s_mov_b32 s10, exec_lo
	s_delay_alu instid0(VALU_DEP_2)
	v_cmpx_ne_u32_e32 0x7f, v27
	s_cbranch_execz .LBB268_2999
; %bb.2996:                             ;   in Loop: Header=BB268_1574 Depth=1
	v_and_b32_e32 v8, 7, v23
	v_lshrrev_b32_e32 v22, 3, v27
	v_mov_b32_e32 v17, v9
	s_mov_b32 s17, exec_lo
	s_delay_alu instid0(VALU_DEP_3)
	v_mov_b32_e32 v16, v8
	v_cmpx_gt_u32_e32 8, v27
; %bb.2997:                             ;   in Loop: Header=BB268_1574 Depth=1
	v_clz_i32_u32_e32 v16, v8
	s_delay_alu instid0(VALU_DEP_1) | instskip(NEXT) | instid1(VALU_DEP_1)
	v_min_u32_e32 v22, 32, v16
	v_subrev_nc_u32_e32 v16, 28, v22
	v_sub_nc_u32_e32 v22, 29, v22
	s_delay_alu instid0(VALU_DEP_2) | instskip(NEXT) | instid1(VALU_DEP_1)
	v_lshlrev_b64 v[16:17], v16, v[8:9]
	v_and_b32_e32 v16, 7, v16
; %bb.2998:                             ;   in Loop: Header=BB268_1574 Depth=1
	s_or_b32 exec_lo, exec_lo, s17
	v_lshlrev_b32_e32 v8, 24, v23
	s_delay_alu instid0(VALU_DEP_2) | instskip(SKIP_1) | instid1(VALU_DEP_3)
	v_lshlrev_b32_e32 v16, 20, v16
	v_lshl_add_u32 v17, v22, 23, 0x3c000000
	v_and_b32_e32 v8, 0x80000000, v8
	s_delay_alu instid0(VALU_DEP_1)
	v_or3_b32 v17, v16, v8, v17
	v_mov_b32_e32 v16, v9
.LBB268_2999:                           ;   in Loop: Header=BB268_1574 Depth=1
	s_or_b32 exec_lo, exec_lo, s10
.LBB268_3000:                           ;   in Loop: Header=BB268_1574 Depth=1
	s_delay_alu instid0(SALU_CYCLE_1)
	s_or_b32 exec_lo, exec_lo, s16
.LBB268_3001:                           ;   in Loop: Header=BB268_1574 Depth=1
	s_delay_alu instid0(SALU_CYCLE_1) | instskip(SKIP_4) | instid1(VALU_DEP_4)
	s_or_b32 exec_lo, exec_lo, s15
	v_or_b32_e32 v5, v5, v15
	v_or_b32_e32 v4, v4, v14
	;; [unrolled: 1-line block ×4, first 2 shown]
	v_mul_f32_e32 v166, v167, v5
	s_delay_alu instid0(VALU_DEP_4) | instskip(NEXT) | instid1(VALU_DEP_4)
	v_mul_f32_e32 v165, v167, v4
	v_mul_f32_e32 v163, v167, v8
	s_delay_alu instid0(VALU_DEP_4)
	v_mul_f32_e32 v164, v167, v14
	s_and_saveexec_b32 s10, vcc_lo
; %bb.3002:                             ;   in Loop: Header=BB268_1574 Depth=1
	v_cmp_lt_i32_e64 s0, v180, v35
	s_delay_alu instid0(VALU_DEP_1) | instskip(SKIP_1) | instid1(VALU_DEP_1)
	v_cndmask_b32_e64 v165, 0, v165, s0
	v_cmp_lt_i32_e64 s0, v183, v35
	v_cndmask_b32_e64 v166, 0, v166, s0
	v_cmp_lt_i32_e64 s0, v182, v35
	s_delay_alu instid0(VALU_DEP_1) | instskip(SKIP_1) | instid1(VALU_DEP_1)
	v_cndmask_b32_e64 v164, 0, v164, s0
	v_cmp_lt_i32_e64 s0, v181, v35
	v_cndmask_b32_e64 v163, 0, v163, s0
; %bb.3003:                             ;   in Loop: Header=BB268_1574 Depth=1
	s_or_b32 exec_lo, exec_lo, s10
	scratch_load_b32 v4, off, s32 offset:1072 ; 4-byte Folded Reload
	s_mov_b32 s10, exec_lo
	s_waitcnt vmcnt(0)
	v_add_co_u32 v4, s0, v12, v4
	s_delay_alu instid0(VALU_DEP_1) | instskip(SKIP_4) | instid1(VALU_DEP_1)
	v_add_co_ci_u32_e64 v5, s0, 0, v13, s0
	flat_load_b32 v22, v[4:5]
	v_mov_b32_e32 v4, 0
	s_waitcnt vmcnt(0) lgkmcnt(0)
	v_dual_mov_b32 v5, 0 :: v_dual_and_b32 v8, 0xff, v22
	v_dual_mov_b32 v15, v5 :: v_dual_mov_b32 v14, v4
	s_delay_alu instid0(VALU_DEP_2)
	v_cmpx_ne_u16_e32 0, v8
	s_cbranch_execz .LBB268_3011
; %bb.3004:                             ;   in Loop: Header=BB268_1574 Depth=1
	v_bfrev_b32_e32 v14, 1
	v_mov_b32_e32 v15, 0
	s_mov_b32 s15, exec_lo
	v_cmpx_ne_u16_e32 0x80, v8
	s_cbranch_execz .LBB268_3010
; %bb.3005:                             ;   in Loop: Header=BB268_1574 Depth=1
	v_mov_b32_e32 v14, 0x7f800001
	v_and_b32_e32 v17, 0x7f, v22
	v_mov_b32_e32 v15, 0
	s_mov_b32 s16, exec_lo
	s_delay_alu instid0(VALU_DEP_2)
	v_cmpx_ne_u32_e32 0x7f, v17
	s_cbranch_execz .LBB268_3009
; %bb.3006:                             ;   in Loop: Header=BB268_1574 Depth=1
	v_and_b32_e32 v8, 7, v22
	v_lshrrev_b32_e32 v16, 3, v17
	v_mov_b32_e32 v15, v9
	s_mov_b32 s17, exec_lo
	s_delay_alu instid0(VALU_DEP_3)
	v_mov_b32_e32 v14, v8
	v_cmpx_gt_u32_e32 8, v17
; %bb.3007:                             ;   in Loop: Header=BB268_1574 Depth=1
	v_clz_i32_u32_e32 v14, v8
	s_delay_alu instid0(VALU_DEP_1) | instskip(NEXT) | instid1(VALU_DEP_1)
	v_min_u32_e32 v16, 32, v14
	v_subrev_nc_u32_e32 v14, 28, v16
	v_sub_nc_u32_e32 v16, 29, v16
	s_delay_alu instid0(VALU_DEP_2) | instskip(NEXT) | instid1(VALU_DEP_1)
	v_lshlrev_b64 v[14:15], v14, v[8:9]
	v_and_b32_e32 v14, 7, v14
; %bb.3008:                             ;   in Loop: Header=BB268_1574 Depth=1
	s_or_b32 exec_lo, exec_lo, s17
	v_lshlrev_b32_e32 v8, 24, v22
	s_delay_alu instid0(VALU_DEP_2) | instskip(SKIP_1) | instid1(VALU_DEP_3)
	v_lshlrev_b32_e32 v14, 20, v14
	v_lshl_add_u32 v15, v16, 23, 0x3c000000
	v_and_b32_e32 v8, 0x80000000, v8
	s_delay_alu instid0(VALU_DEP_1) | instskip(NEXT) | instid1(VALU_DEP_1)
	v_or3_b32 v8, v14, v8, v15
	v_dual_mov_b32 v15, v9 :: v_dual_mov_b32 v14, v8
.LBB268_3009:                           ;   in Loop: Header=BB268_1574 Depth=1
	s_or_b32 exec_lo, exec_lo, s16
.LBB268_3010:                           ;   in Loop: Header=BB268_1574 Depth=1
	s_delay_alu instid0(SALU_CYCLE_1)
	s_or_b32 exec_lo, exec_lo, s15
.LBB268_3011:                           ;   in Loop: Header=BB268_1574 Depth=1
	s_delay_alu instid0(SALU_CYCLE_1) | instskip(SKIP_2) | instid1(VALU_DEP_1)
	s_or_b32 exec_lo, exec_lo, s10
	v_lshrrev_b16 v8, 8, v22
	s_mov_b32 s15, exec_lo
	v_cmpx_ne_u16_e32 0, v8
	s_cbranch_execz .LBB268_3019
; %bb.3012:                             ;   in Loop: Header=BB268_1574 Depth=1
	v_dual_mov_b32 v4, s8 :: v_dual_mov_b32 v5, s9
	s_mov_b32 s16, exec_lo
	v_cmpx_ne_u16_e32 0x80, v8
	s_cbranch_execz .LBB268_3018
; %bb.3013:                             ;   in Loop: Header=BB268_1574 Depth=1
	s_mov_b32 s10, s8
	v_and_b32_e32 v8, 0xffff, v8
	v_dual_mov_b32 v4, s10 :: v_dual_mov_b32 v5, s11
	s_mov_b32 s10, exec_lo
	s_delay_alu instid0(VALU_DEP_2) | instskip(NEXT) | instid1(VALU_DEP_1)
	v_and_b32_e32 v17, 0x7f, v8
	v_cmpx_ne_u32_e32 0x7f, v17
	s_cbranch_execz .LBB268_3017
; %bb.3014:                             ;   in Loop: Header=BB268_1574 Depth=1
	v_and_b32_e32 v8, 7, v8
	v_lshrrev_b32_e32 v16, 3, v17
	s_mov_b32 s17, exec_lo
	s_delay_alu instid0(VALU_DEP_2)
	v_dual_mov_b32 v4, v8 :: v_dual_mov_b32 v5, v9
	v_cmpx_gt_u32_e32 8, v17
; %bb.3015:                             ;   in Loop: Header=BB268_1574 Depth=1
	v_clz_i32_u32_e32 v4, v8
	s_delay_alu instid0(VALU_DEP_1) | instskip(NEXT) | instid1(VALU_DEP_1)
	v_min_u32_e32 v16, 32, v4
	v_subrev_nc_u32_e32 v4, 28, v16
	v_sub_nc_u32_e32 v16, 29, v16
	s_delay_alu instid0(VALU_DEP_2) | instskip(NEXT) | instid1(VALU_DEP_1)
	v_lshlrev_b64 v[4:5], v4, v[8:9]
	v_and_b32_e32 v4, 7, v4
; %bb.3016:                             ;   in Loop: Header=BB268_1574 Depth=1
	s_or_b32 exec_lo, exec_lo, s17
	v_lshlrev_b32_e32 v5, 16, v22
	s_delay_alu instid0(VALU_DEP_2) | instskip(SKIP_1) | instid1(VALU_DEP_3)
	v_lshlrev_b32_e32 v4, 20, v4
	v_lshl_add_u32 v8, v16, 23, 0x3c000000
	v_and_b32_e32 v5, 0x80000000, v5
	s_delay_alu instid0(VALU_DEP_1)
	v_or3_b32 v5, v4, v5, v8
	v_mov_b32_e32 v4, v9
.LBB268_3017:                           ;   in Loop: Header=BB268_1574 Depth=1
	s_or_b32 exec_lo, exec_lo, s10
.LBB268_3018:                           ;   in Loop: Header=BB268_1574 Depth=1
	s_delay_alu instid0(SALU_CYCLE_1)
	s_or_b32 exec_lo, exec_lo, s16
.LBB268_3019:                           ;   in Loop: Header=BB268_1574 Depth=1
	s_delay_alu instid0(SALU_CYCLE_1) | instskip(SKIP_4) | instid1(VALU_DEP_1)
	s_or_b32 exec_lo, exec_lo, s15
	v_mov_b32_e32 v16, 0
	v_lshrrev_b32_e32 v23, 16, v22
	v_mov_b32_e32 v17, 0
	s_mov_b32 s10, exec_lo
	v_dual_mov_b32 v19, v17 :: v_dual_and_b32 v8, 0xff, v23
	v_mov_b32_e32 v18, v16
	s_delay_alu instid0(VALU_DEP_2)
	v_cmpx_ne_u16_e32 0, v8
	s_cbranch_execz .LBB268_3027
; %bb.3020:                             ;   in Loop: Header=BB268_1574 Depth=1
	v_bfrev_b32_e32 v18, 1
	v_mov_b32_e32 v19, 0
	s_mov_b32 s15, exec_lo
	v_cmpx_ne_u16_e32 0x80, v8
	s_cbranch_execz .LBB268_3026
; %bb.3021:                             ;   in Loop: Header=BB268_1574 Depth=1
	v_mov_b32_e32 v18, 0x7f800001
	v_bfe_u32 v176, v22, 16, 7
	v_mov_b32_e32 v19, 0
	s_mov_b32 s16, exec_lo
	s_delay_alu instid0(VALU_DEP_2)
	v_cmpx_ne_u32_e32 0x7f, v176
	s_cbranch_execz .LBB268_3025
; %bb.3022:                             ;   in Loop: Header=BB268_1574 Depth=1
	v_and_b32_e32 v8, 7, v23
	v_lshrrev_b32_e32 v27, 3, v176
	v_mov_b32_e32 v19, v9
	s_mov_b32 s17, exec_lo
	s_delay_alu instid0(VALU_DEP_3)
	v_mov_b32_e32 v18, v8
	v_cmpx_gt_u32_e32 8, v176
; %bb.3023:                             ;   in Loop: Header=BB268_1574 Depth=1
	v_clz_i32_u32_e32 v18, v8
	s_delay_alu instid0(VALU_DEP_1) | instskip(NEXT) | instid1(VALU_DEP_1)
	v_min_u32_e32 v27, 32, v18
	v_subrev_nc_u32_e32 v18, 28, v27
	v_sub_nc_u32_e32 v27, 29, v27
	s_delay_alu instid0(VALU_DEP_2) | instskip(NEXT) | instid1(VALU_DEP_1)
	v_lshlrev_b64 v[18:19], v18, v[8:9]
	v_and_b32_e32 v18, 7, v18
; %bb.3024:                             ;   in Loop: Header=BB268_1574 Depth=1
	s_or_b32 exec_lo, exec_lo, s17
	v_lshlrev_b32_e32 v8, 24, v23
	s_delay_alu instid0(VALU_DEP_2) | instskip(SKIP_1) | instid1(VALU_DEP_3)
	v_lshlrev_b32_e32 v18, 20, v18
	v_lshl_add_u32 v19, v27, 23, 0x3c000000
	v_and_b32_e32 v8, 0x80000000, v8
	s_delay_alu instid0(VALU_DEP_1) | instskip(NEXT) | instid1(VALU_DEP_1)
	v_or3_b32 v8, v18, v8, v19
	v_dual_mov_b32 v19, v9 :: v_dual_mov_b32 v18, v8
.LBB268_3025:                           ;   in Loop: Header=BB268_1574 Depth=1
	s_or_b32 exec_lo, exec_lo, s16
.LBB268_3026:                           ;   in Loop: Header=BB268_1574 Depth=1
	s_delay_alu instid0(SALU_CYCLE_1)
	s_or_b32 exec_lo, exec_lo, s15
.LBB268_3027:                           ;   in Loop: Header=BB268_1574 Depth=1
	s_delay_alu instid0(SALU_CYCLE_1) | instskip(NEXT) | instid1(SALU_CYCLE_1)
	s_or_b32 exec_lo, exec_lo, s10
	s_mov_b32 s15, exec_lo
	v_cmpx_lt_u32_e32 0xffffff, v22
	s_cbranch_execz .LBB268_3035
; %bb.3028:                             ;   in Loop: Header=BB268_1574 Depth=1
	v_lshrrev_b32_e32 v23, 24, v22
	v_dual_mov_b32 v17, s9 :: v_dual_mov_b32 v16, s8
	s_mov_b32 s16, exec_lo
	s_delay_alu instid0(VALU_DEP_2)
	v_cmpx_ne_u32_e32 0x80, v23
	s_cbranch_execz .LBB268_3034
; %bb.3029:                             ;   in Loop: Header=BB268_1574 Depth=1
	s_mov_b32 s10, s8
	v_bfe_u32 v27, v22, 24, 7
	v_dual_mov_b32 v17, s11 :: v_dual_mov_b32 v16, s10
	s_mov_b32 s10, exec_lo
	s_delay_alu instid0(VALU_DEP_2)
	v_cmpx_ne_u32_e32 0x7f, v27
	s_cbranch_execz .LBB268_3033
; %bb.3030:                             ;   in Loop: Header=BB268_1574 Depth=1
	v_and_b32_e32 v8, 7, v23
	v_lshrrev_b32_e32 v22, 3, v27
	v_mov_b32_e32 v17, v9
	s_mov_b32 s17, exec_lo
	s_delay_alu instid0(VALU_DEP_3)
	v_mov_b32_e32 v16, v8
	v_cmpx_gt_u32_e32 8, v27
; %bb.3031:                             ;   in Loop: Header=BB268_1574 Depth=1
	v_clz_i32_u32_e32 v16, v8
	s_delay_alu instid0(VALU_DEP_1) | instskip(NEXT) | instid1(VALU_DEP_1)
	v_min_u32_e32 v22, 32, v16
	v_subrev_nc_u32_e32 v16, 28, v22
	v_sub_nc_u32_e32 v22, 29, v22
	s_delay_alu instid0(VALU_DEP_2) | instskip(NEXT) | instid1(VALU_DEP_1)
	v_lshlrev_b64 v[16:17], v16, v[8:9]
	v_and_b32_e32 v16, 7, v16
; %bb.3032:                             ;   in Loop: Header=BB268_1574 Depth=1
	s_or_b32 exec_lo, exec_lo, s17
	v_lshlrev_b32_e32 v8, 24, v23
	s_delay_alu instid0(VALU_DEP_2) | instskip(SKIP_1) | instid1(VALU_DEP_3)
	v_lshlrev_b32_e32 v16, 20, v16
	v_lshl_add_u32 v17, v22, 23, 0x3c000000
	v_and_b32_e32 v8, 0x80000000, v8
	s_delay_alu instid0(VALU_DEP_1)
	v_or3_b32 v17, v16, v8, v17
	v_mov_b32_e32 v16, v9
.LBB268_3033:                           ;   in Loop: Header=BB268_1574 Depth=1
	s_or_b32 exec_lo, exec_lo, s10
.LBB268_3034:                           ;   in Loop: Header=BB268_1574 Depth=1
	s_delay_alu instid0(SALU_CYCLE_1)
	s_or_b32 exec_lo, exec_lo, s16
.LBB268_3035:                           ;   in Loop: Header=BB268_1574 Depth=1
	s_delay_alu instid0(SALU_CYCLE_1) | instskip(SKIP_4) | instid1(VALU_DEP_4)
	s_or_b32 exec_lo, exec_lo, s15
	v_or_b32_e32 v5, v5, v15
	v_or_b32_e32 v4, v4, v14
	;; [unrolled: 1-line block ×4, first 2 shown]
	v_mul_f32_e32 v177, v167, v5
	s_delay_alu instid0(VALU_DEP_4) | instskip(NEXT) | instid1(VALU_DEP_4)
	v_mul_f32_e32 v176, v167, v4
	v_mul_f32_e32 v22, v167, v8
	s_delay_alu instid0(VALU_DEP_4)
	v_mul_f32_e32 v23, v167, v14
	s_and_saveexec_b32 s10, vcc_lo
; %bb.3036:                             ;   in Loop: Header=BB268_1574 Depth=1
	v_cmp_lt_i32_e64 s0, v180, v35
	s_delay_alu instid0(VALU_DEP_1) | instskip(SKIP_1) | instid1(VALU_DEP_1)
	v_cndmask_b32_e64 v176, 0, v176, s0
	v_cmp_lt_i32_e64 s0, v183, v35
	v_cndmask_b32_e64 v177, 0, v177, s0
	v_cmp_lt_i32_e64 s0, v182, v35
	s_delay_alu instid0(VALU_DEP_1) | instskip(SKIP_1) | instid1(VALU_DEP_1)
	v_cndmask_b32_e64 v23, 0, v23, s0
	v_cmp_lt_i32_e64 s0, v181, v35
	v_cndmask_b32_e64 v22, 0, v22, s0
; %bb.3037:                             ;   in Loop: Header=BB268_1574 Depth=1
	s_or_b32 exec_lo, exec_lo, s10
	scratch_load_b32 v4, off, s32 offset:1080 ; 4-byte Folded Reload
	s_mov_b32 s10, exec_lo
	s_waitcnt vmcnt(0)
	v_add_co_u32 v4, s0, v12, v4
	s_delay_alu instid0(VALU_DEP_1) | instskip(SKIP_4) | instid1(VALU_DEP_1)
	v_add_co_ci_u32_e64 v5, s0, 0, v13, s0
	flat_load_b32 v27, v[4:5]
	v_mov_b32_e32 v4, 0
	s_waitcnt vmcnt(0) lgkmcnt(0)
	v_dual_mov_b32 v5, 0 :: v_dual_and_b32 v8, 0xff, v27
	v_dual_mov_b32 v15, v5 :: v_dual_mov_b32 v14, v4
	s_delay_alu instid0(VALU_DEP_2)
	v_cmpx_ne_u16_e32 0, v8
	s_cbranch_execz .LBB268_3045
; %bb.3038:                             ;   in Loop: Header=BB268_1574 Depth=1
	v_bfrev_b32_e32 v14, 1
	v_mov_b32_e32 v15, 0
	s_mov_b32 s15, exec_lo
	v_cmpx_ne_u16_e32 0x80, v8
	s_cbranch_execz .LBB268_3044
; %bb.3039:                             ;   in Loop: Header=BB268_1574 Depth=1
	v_mov_b32_e32 v14, 0x7f800001
	v_and_b32_e32 v17, 0x7f, v27
	v_mov_b32_e32 v15, 0
	s_mov_b32 s16, exec_lo
	s_delay_alu instid0(VALU_DEP_2)
	v_cmpx_ne_u32_e32 0x7f, v17
	s_cbranch_execz .LBB268_3043
; %bb.3040:                             ;   in Loop: Header=BB268_1574 Depth=1
	v_and_b32_e32 v8, 7, v27
	v_lshrrev_b32_e32 v16, 3, v17
	v_mov_b32_e32 v15, v9
	s_mov_b32 s17, exec_lo
	s_delay_alu instid0(VALU_DEP_3)
	v_mov_b32_e32 v14, v8
	v_cmpx_gt_u32_e32 8, v17
; %bb.3041:                             ;   in Loop: Header=BB268_1574 Depth=1
	v_clz_i32_u32_e32 v14, v8
	s_delay_alu instid0(VALU_DEP_1) | instskip(NEXT) | instid1(VALU_DEP_1)
	v_min_u32_e32 v16, 32, v14
	v_subrev_nc_u32_e32 v14, 28, v16
	v_sub_nc_u32_e32 v16, 29, v16
	s_delay_alu instid0(VALU_DEP_2) | instskip(NEXT) | instid1(VALU_DEP_1)
	v_lshlrev_b64 v[14:15], v14, v[8:9]
	v_and_b32_e32 v14, 7, v14
; %bb.3042:                             ;   in Loop: Header=BB268_1574 Depth=1
	s_or_b32 exec_lo, exec_lo, s17
	v_lshlrev_b32_e32 v8, 24, v27
	s_delay_alu instid0(VALU_DEP_2) | instskip(SKIP_1) | instid1(VALU_DEP_3)
	v_lshlrev_b32_e32 v14, 20, v14
	v_lshl_add_u32 v15, v16, 23, 0x3c000000
	v_and_b32_e32 v8, 0x80000000, v8
	s_delay_alu instid0(VALU_DEP_1) | instskip(NEXT) | instid1(VALU_DEP_1)
	v_or3_b32 v8, v14, v8, v15
	v_dual_mov_b32 v15, v9 :: v_dual_mov_b32 v14, v8
.LBB268_3043:                           ;   in Loop: Header=BB268_1574 Depth=1
	s_or_b32 exec_lo, exec_lo, s16
.LBB268_3044:                           ;   in Loop: Header=BB268_1574 Depth=1
	s_delay_alu instid0(SALU_CYCLE_1)
	s_or_b32 exec_lo, exec_lo, s15
.LBB268_3045:                           ;   in Loop: Header=BB268_1574 Depth=1
	s_delay_alu instid0(SALU_CYCLE_1) | instskip(SKIP_2) | instid1(VALU_DEP_1)
	s_or_b32 exec_lo, exec_lo, s10
	v_lshrrev_b16 v8, 8, v27
	s_mov_b32 s15, exec_lo
	v_cmpx_ne_u16_e32 0, v8
	s_cbranch_execz .LBB268_3053
; %bb.3046:                             ;   in Loop: Header=BB268_1574 Depth=1
	v_dual_mov_b32 v4, s8 :: v_dual_mov_b32 v5, s9
	s_mov_b32 s16, exec_lo
	v_cmpx_ne_u16_e32 0x80, v8
	s_cbranch_execz .LBB268_3052
; %bb.3047:                             ;   in Loop: Header=BB268_1574 Depth=1
	s_mov_b32 s10, s8
	v_and_b32_e32 v8, 0xffff, v8
	v_dual_mov_b32 v4, s10 :: v_dual_mov_b32 v5, s11
	s_mov_b32 s10, exec_lo
	s_delay_alu instid0(VALU_DEP_2) | instskip(NEXT) | instid1(VALU_DEP_1)
	v_and_b32_e32 v17, 0x7f, v8
	v_cmpx_ne_u32_e32 0x7f, v17
	s_cbranch_execz .LBB268_3051
; %bb.3048:                             ;   in Loop: Header=BB268_1574 Depth=1
	v_and_b32_e32 v8, 7, v8
	v_lshrrev_b32_e32 v16, 3, v17
	s_mov_b32 s17, exec_lo
	s_delay_alu instid0(VALU_DEP_2)
	v_dual_mov_b32 v4, v8 :: v_dual_mov_b32 v5, v9
	v_cmpx_gt_u32_e32 8, v17
; %bb.3049:                             ;   in Loop: Header=BB268_1574 Depth=1
	v_clz_i32_u32_e32 v4, v8
	s_delay_alu instid0(VALU_DEP_1) | instskip(NEXT) | instid1(VALU_DEP_1)
	v_min_u32_e32 v16, 32, v4
	v_subrev_nc_u32_e32 v4, 28, v16
	v_sub_nc_u32_e32 v16, 29, v16
	s_delay_alu instid0(VALU_DEP_2) | instskip(NEXT) | instid1(VALU_DEP_1)
	v_lshlrev_b64 v[4:5], v4, v[8:9]
	v_and_b32_e32 v4, 7, v4
; %bb.3050:                             ;   in Loop: Header=BB268_1574 Depth=1
	s_or_b32 exec_lo, exec_lo, s17
	v_lshlrev_b32_e32 v5, 16, v27
	s_delay_alu instid0(VALU_DEP_2) | instskip(SKIP_1) | instid1(VALU_DEP_3)
	v_lshlrev_b32_e32 v4, 20, v4
	v_lshl_add_u32 v8, v16, 23, 0x3c000000
	v_and_b32_e32 v5, 0x80000000, v5
	s_delay_alu instid0(VALU_DEP_1)
	v_or3_b32 v5, v4, v5, v8
	v_mov_b32_e32 v4, v9
.LBB268_3051:                           ;   in Loop: Header=BB268_1574 Depth=1
	s_or_b32 exec_lo, exec_lo, s10
.LBB268_3052:                           ;   in Loop: Header=BB268_1574 Depth=1
	s_delay_alu instid0(SALU_CYCLE_1)
	s_or_b32 exec_lo, exec_lo, s16
.LBB268_3053:                           ;   in Loop: Header=BB268_1574 Depth=1
	s_delay_alu instid0(SALU_CYCLE_1) | instskip(SKIP_4) | instid1(VALU_DEP_1)
	s_or_b32 exec_lo, exec_lo, s15
	v_mov_b32_e32 v16, 0
	v_lshrrev_b32_e32 v178, 16, v27
	v_mov_b32_e32 v17, 0
	s_mov_b32 s10, exec_lo
	v_dual_mov_b32 v19, v17 :: v_dual_and_b32 v8, 0xff, v178
	v_mov_b32_e32 v18, v16
	s_delay_alu instid0(VALU_DEP_2)
	v_cmpx_ne_u16_e32 0, v8
	s_cbranch_execz .LBB268_3061
; %bb.3054:                             ;   in Loop: Header=BB268_1574 Depth=1
	v_bfrev_b32_e32 v18, 1
	v_mov_b32_e32 v19, 0
	s_mov_b32 s15, exec_lo
	v_cmpx_ne_u16_e32 0x80, v8
	s_cbranch_execz .LBB268_3060
; %bb.3055:                             ;   in Loop: Header=BB268_1574 Depth=1
	v_mov_b32_e32 v18, 0x7f800001
	v_bfe_u32 v40, v27, 16, 7
	v_mov_b32_e32 v19, 0
	s_mov_b32 s16, exec_lo
	s_delay_alu instid0(VALU_DEP_2)
	v_cmpx_ne_u32_e32 0x7f, v40
	s_cbranch_execz .LBB268_3059
; %bb.3056:                             ;   in Loop: Header=BB268_1574 Depth=1
	v_and_b32_e32 v8, 7, v178
	v_lshrrev_b32_e32 v179, 3, v40
	v_mov_b32_e32 v19, v9
	s_mov_b32 s17, exec_lo
	s_delay_alu instid0(VALU_DEP_3)
	v_mov_b32_e32 v18, v8
	v_cmpx_gt_u32_e32 8, v40
; %bb.3057:                             ;   in Loop: Header=BB268_1574 Depth=1
	v_clz_i32_u32_e32 v18, v8
	s_delay_alu instid0(VALU_DEP_1) | instskip(NEXT) | instid1(VALU_DEP_1)
	v_min_u32_e32 v179, 32, v18
	v_subrev_nc_u32_e32 v18, 28, v179
	v_sub_nc_u32_e32 v179, 29, v179
	s_delay_alu instid0(VALU_DEP_2) | instskip(NEXT) | instid1(VALU_DEP_1)
	v_lshlrev_b64 v[18:19], v18, v[8:9]
	v_and_b32_e32 v18, 7, v18
; %bb.3058:                             ;   in Loop: Header=BB268_1574 Depth=1
	s_or_b32 exec_lo, exec_lo, s17
	v_lshlrev_b32_e32 v8, 24, v178
	s_delay_alu instid0(VALU_DEP_2) | instskip(SKIP_1) | instid1(VALU_DEP_3)
	v_lshlrev_b32_e32 v18, 20, v18
	v_lshl_add_u32 v19, v179, 23, 0x3c000000
	v_and_b32_e32 v8, 0x80000000, v8
	s_delay_alu instid0(VALU_DEP_1) | instskip(NEXT) | instid1(VALU_DEP_1)
	v_or3_b32 v8, v18, v8, v19
	v_dual_mov_b32 v19, v9 :: v_dual_mov_b32 v18, v8
.LBB268_3059:                           ;   in Loop: Header=BB268_1574 Depth=1
	s_or_b32 exec_lo, exec_lo, s16
.LBB268_3060:                           ;   in Loop: Header=BB268_1574 Depth=1
	s_delay_alu instid0(SALU_CYCLE_1)
	s_or_b32 exec_lo, exec_lo, s15
.LBB268_3061:                           ;   in Loop: Header=BB268_1574 Depth=1
	s_delay_alu instid0(SALU_CYCLE_1) | instskip(NEXT) | instid1(SALU_CYCLE_1)
	s_or_b32 exec_lo, exec_lo, s10
	s_mov_b32 s15, exec_lo
	v_cmpx_lt_u32_e32 0xffffff, v27
	s_cbranch_execz .LBB268_3069
; %bb.3062:                             ;   in Loop: Header=BB268_1574 Depth=1
	v_lshrrev_b32_e32 v178, 24, v27
	v_dual_mov_b32 v17, s9 :: v_dual_mov_b32 v16, s8
	s_mov_b32 s16, exec_lo
	s_delay_alu instid0(VALU_DEP_2)
	v_cmpx_ne_u32_e32 0x80, v178
	s_cbranch_execz .LBB268_3068
; %bb.3063:                             ;   in Loop: Header=BB268_1574 Depth=1
	s_mov_b32 s10, s8
	v_bfe_u32 v179, v27, 24, 7
	v_dual_mov_b32 v17, s11 :: v_dual_mov_b32 v16, s10
	s_mov_b32 s10, exec_lo
	s_delay_alu instid0(VALU_DEP_2)
	v_cmpx_ne_u32_e32 0x7f, v179
	s_cbranch_execz .LBB268_3067
; %bb.3064:                             ;   in Loop: Header=BB268_1574 Depth=1
	v_and_b32_e32 v8, 7, v178
	v_lshrrev_b32_e32 v27, 3, v179
	v_mov_b32_e32 v17, v9
	s_mov_b32 s17, exec_lo
	s_delay_alu instid0(VALU_DEP_3)
	v_mov_b32_e32 v16, v8
	v_cmpx_gt_u32_e32 8, v179
; %bb.3065:                             ;   in Loop: Header=BB268_1574 Depth=1
	v_clz_i32_u32_e32 v16, v8
	s_delay_alu instid0(VALU_DEP_1) | instskip(NEXT) | instid1(VALU_DEP_1)
	v_min_u32_e32 v27, 32, v16
	v_subrev_nc_u32_e32 v16, 28, v27
	v_sub_nc_u32_e32 v27, 29, v27
	s_delay_alu instid0(VALU_DEP_2) | instskip(NEXT) | instid1(VALU_DEP_1)
	v_lshlrev_b64 v[16:17], v16, v[8:9]
	v_and_b32_e32 v16, 7, v16
; %bb.3066:                             ;   in Loop: Header=BB268_1574 Depth=1
	s_or_b32 exec_lo, exec_lo, s17
	v_lshlrev_b32_e32 v8, 24, v178
	s_delay_alu instid0(VALU_DEP_2) | instskip(SKIP_1) | instid1(VALU_DEP_3)
	v_lshlrev_b32_e32 v16, 20, v16
	v_lshl_add_u32 v17, v27, 23, 0x3c000000
	v_and_b32_e32 v8, 0x80000000, v8
	s_delay_alu instid0(VALU_DEP_1)
	v_or3_b32 v17, v16, v8, v17
	v_mov_b32_e32 v16, v9
.LBB268_3067:                           ;   in Loop: Header=BB268_1574 Depth=1
	s_or_b32 exec_lo, exec_lo, s10
.LBB268_3068:                           ;   in Loop: Header=BB268_1574 Depth=1
	s_delay_alu instid0(SALU_CYCLE_1)
	s_or_b32 exec_lo, exec_lo, s16
.LBB268_3069:                           ;   in Loop: Header=BB268_1574 Depth=1
	s_delay_alu instid0(SALU_CYCLE_1) | instskip(SKIP_4) | instid1(VALU_DEP_4)
	s_or_b32 exec_lo, exec_lo, s15
	v_or_b32_e32 v5, v5, v15
	v_or_b32_e32 v4, v4, v14
	;; [unrolled: 1-line block ×4, first 2 shown]
	v_mul_f32_e32 v41, v167, v5
	s_delay_alu instid0(VALU_DEP_4) | instskip(NEXT) | instid1(VALU_DEP_4)
	v_mul_f32_e32 v40, v167, v4
	v_mul_f32_e32 v178, v167, v8
	s_delay_alu instid0(VALU_DEP_4)
	v_mul_f32_e32 v179, v167, v14
	s_and_saveexec_b32 s10, vcc_lo
; %bb.3070:                             ;   in Loop: Header=BB268_1574 Depth=1
	v_cmp_lt_i32_e64 s0, v180, v35
	s_delay_alu instid0(VALU_DEP_1) | instskip(SKIP_1) | instid1(VALU_DEP_1)
	v_cndmask_b32_e64 v40, 0, v40, s0
	v_cmp_lt_i32_e64 s0, v183, v35
	v_cndmask_b32_e64 v41, 0, v41, s0
	v_cmp_lt_i32_e64 s0, v182, v35
	s_delay_alu instid0(VALU_DEP_1) | instskip(SKIP_1) | instid1(VALU_DEP_1)
	v_cndmask_b32_e64 v179, 0, v179, s0
	v_cmp_lt_i32_e64 s0, v181, v35
	v_cndmask_b32_e64 v178, 0, v178, s0
; %bb.3071:                             ;   in Loop: Header=BB268_1574 Depth=1
	s_or_b32 exec_lo, exec_lo, s10
	scratch_load_b32 v4, off, s32 offset:1088 ; 4-byte Folded Reload
	s_mov_b32 s10, exec_lo
	s_waitcnt vmcnt(0)
	v_add_co_u32 v4, s0, v12, v4
	s_delay_alu instid0(VALU_DEP_1) | instskip(SKIP_4) | instid1(VALU_DEP_1)
	v_add_co_ci_u32_e64 v5, s0, 0, v13, s0
	flat_load_b32 v27, v[4:5]
	v_mov_b32_e32 v4, 0
	s_waitcnt vmcnt(0) lgkmcnt(0)
	v_dual_mov_b32 v5, 0 :: v_dual_and_b32 v8, 0xff, v27
	v_dual_mov_b32 v15, v5 :: v_dual_mov_b32 v14, v4
	s_delay_alu instid0(VALU_DEP_2)
	v_cmpx_ne_u16_e32 0, v8
	s_cbranch_execz .LBB268_3079
; %bb.3072:                             ;   in Loop: Header=BB268_1574 Depth=1
	v_bfrev_b32_e32 v14, 1
	v_mov_b32_e32 v15, 0
	s_mov_b32 s15, exec_lo
	v_cmpx_ne_u16_e32 0x80, v8
	s_cbranch_execz .LBB268_3078
; %bb.3073:                             ;   in Loop: Header=BB268_1574 Depth=1
	v_mov_b32_e32 v14, 0x7f800001
	v_and_b32_e32 v17, 0x7f, v27
	v_mov_b32_e32 v15, 0
	s_mov_b32 s16, exec_lo
	s_delay_alu instid0(VALU_DEP_2)
	v_cmpx_ne_u32_e32 0x7f, v17
	s_cbranch_execz .LBB268_3077
; %bb.3074:                             ;   in Loop: Header=BB268_1574 Depth=1
	v_and_b32_e32 v8, 7, v27
	v_lshrrev_b32_e32 v16, 3, v17
	v_mov_b32_e32 v15, v9
	s_mov_b32 s17, exec_lo
	s_delay_alu instid0(VALU_DEP_3)
	v_mov_b32_e32 v14, v8
	v_cmpx_gt_u32_e32 8, v17
; %bb.3075:                             ;   in Loop: Header=BB268_1574 Depth=1
	v_clz_i32_u32_e32 v14, v8
	s_delay_alu instid0(VALU_DEP_1) | instskip(NEXT) | instid1(VALU_DEP_1)
	v_min_u32_e32 v16, 32, v14
	v_subrev_nc_u32_e32 v14, 28, v16
	v_sub_nc_u32_e32 v16, 29, v16
	s_delay_alu instid0(VALU_DEP_2) | instskip(NEXT) | instid1(VALU_DEP_1)
	v_lshlrev_b64 v[14:15], v14, v[8:9]
	v_and_b32_e32 v14, 7, v14
; %bb.3076:                             ;   in Loop: Header=BB268_1574 Depth=1
	s_or_b32 exec_lo, exec_lo, s17
	v_lshlrev_b32_e32 v8, 24, v27
	s_delay_alu instid0(VALU_DEP_2) | instskip(SKIP_1) | instid1(VALU_DEP_3)
	v_lshlrev_b32_e32 v14, 20, v14
	v_lshl_add_u32 v15, v16, 23, 0x3c000000
	v_and_b32_e32 v8, 0x80000000, v8
	s_delay_alu instid0(VALU_DEP_1) | instskip(NEXT) | instid1(VALU_DEP_1)
	v_or3_b32 v8, v14, v8, v15
	v_dual_mov_b32 v15, v9 :: v_dual_mov_b32 v14, v8
.LBB268_3077:                           ;   in Loop: Header=BB268_1574 Depth=1
	s_or_b32 exec_lo, exec_lo, s16
.LBB268_3078:                           ;   in Loop: Header=BB268_1574 Depth=1
	s_delay_alu instid0(SALU_CYCLE_1)
	s_or_b32 exec_lo, exec_lo, s15
.LBB268_3079:                           ;   in Loop: Header=BB268_1574 Depth=1
	s_delay_alu instid0(SALU_CYCLE_1) | instskip(SKIP_2) | instid1(VALU_DEP_1)
	s_or_b32 exec_lo, exec_lo, s10
	v_lshrrev_b16 v8, 8, v27
	s_mov_b32 s15, exec_lo
	v_cmpx_ne_u16_e32 0, v8
	s_cbranch_execz .LBB268_3087
; %bb.3080:                             ;   in Loop: Header=BB268_1574 Depth=1
	v_dual_mov_b32 v4, s8 :: v_dual_mov_b32 v5, s9
	s_mov_b32 s16, exec_lo
	v_cmpx_ne_u16_e32 0x80, v8
	s_cbranch_execz .LBB268_3086
; %bb.3081:                             ;   in Loop: Header=BB268_1574 Depth=1
	s_mov_b32 s10, s8
	v_and_b32_e32 v8, 0xffff, v8
	v_dual_mov_b32 v4, s10 :: v_dual_mov_b32 v5, s11
	s_mov_b32 s10, exec_lo
	s_delay_alu instid0(VALU_DEP_2) | instskip(NEXT) | instid1(VALU_DEP_1)
	v_and_b32_e32 v17, 0x7f, v8
	v_cmpx_ne_u32_e32 0x7f, v17
	s_cbranch_execz .LBB268_3085
; %bb.3082:                             ;   in Loop: Header=BB268_1574 Depth=1
	v_and_b32_e32 v8, 7, v8
	v_lshrrev_b32_e32 v16, 3, v17
	s_mov_b32 s17, exec_lo
	s_delay_alu instid0(VALU_DEP_2)
	v_dual_mov_b32 v4, v8 :: v_dual_mov_b32 v5, v9
	v_cmpx_gt_u32_e32 8, v17
; %bb.3083:                             ;   in Loop: Header=BB268_1574 Depth=1
	v_clz_i32_u32_e32 v4, v8
	s_delay_alu instid0(VALU_DEP_1) | instskip(NEXT) | instid1(VALU_DEP_1)
	v_min_u32_e32 v16, 32, v4
	v_subrev_nc_u32_e32 v4, 28, v16
	v_sub_nc_u32_e32 v16, 29, v16
	s_delay_alu instid0(VALU_DEP_2) | instskip(NEXT) | instid1(VALU_DEP_1)
	v_lshlrev_b64 v[4:5], v4, v[8:9]
	v_and_b32_e32 v4, 7, v4
; %bb.3084:                             ;   in Loop: Header=BB268_1574 Depth=1
	s_or_b32 exec_lo, exec_lo, s17
	v_lshlrev_b32_e32 v5, 16, v27
	s_delay_alu instid0(VALU_DEP_2) | instskip(SKIP_1) | instid1(VALU_DEP_3)
	v_lshlrev_b32_e32 v4, 20, v4
	v_lshl_add_u32 v8, v16, 23, 0x3c000000
	v_and_b32_e32 v5, 0x80000000, v5
	s_delay_alu instid0(VALU_DEP_1)
	v_or3_b32 v5, v4, v5, v8
	v_mov_b32_e32 v4, v9
.LBB268_3085:                           ;   in Loop: Header=BB268_1574 Depth=1
	s_or_b32 exec_lo, exec_lo, s10
.LBB268_3086:                           ;   in Loop: Header=BB268_1574 Depth=1
	s_delay_alu instid0(SALU_CYCLE_1)
	s_or_b32 exec_lo, exec_lo, s16
.LBB268_3087:                           ;   in Loop: Header=BB268_1574 Depth=1
	s_delay_alu instid0(SALU_CYCLE_1) | instskip(SKIP_4) | instid1(VALU_DEP_1)
	s_or_b32 exec_lo, exec_lo, s15
	v_mov_b32_e32 v16, 0
	v_lshrrev_b32_e32 v42, 16, v27
	v_mov_b32_e32 v17, 0
	s_mov_b32 s10, exec_lo
	v_dual_mov_b32 v19, v17 :: v_dual_and_b32 v8, 0xff, v42
	v_mov_b32_e32 v18, v16
	s_delay_alu instid0(VALU_DEP_2)
	v_cmpx_ne_u16_e32 0, v8
	s_cbranch_execz .LBB268_3095
; %bb.3088:                             ;   in Loop: Header=BB268_1574 Depth=1
	v_bfrev_b32_e32 v18, 1
	v_mov_b32_e32 v19, 0
	s_mov_b32 s15, exec_lo
	v_cmpx_ne_u16_e32 0x80, v8
	s_cbranch_execz .LBB268_3094
; %bb.3089:                             ;   in Loop: Header=BB268_1574 Depth=1
	v_mov_b32_e32 v18, 0x7f800001
	v_bfe_u32 v44, v27, 16, 7
	v_mov_b32_e32 v19, 0
	s_mov_b32 s16, exec_lo
	s_delay_alu instid0(VALU_DEP_2)
	v_cmpx_ne_u32_e32 0x7f, v44
	s_cbranch_execz .LBB268_3093
; %bb.3090:                             ;   in Loop: Header=BB268_1574 Depth=1
	v_and_b32_e32 v8, 7, v42
	v_lshrrev_b32_e32 v43, 3, v44
	v_mov_b32_e32 v19, v9
	s_mov_b32 s17, exec_lo
	s_delay_alu instid0(VALU_DEP_3)
	v_mov_b32_e32 v18, v8
	v_cmpx_gt_u32_e32 8, v44
; %bb.3091:                             ;   in Loop: Header=BB268_1574 Depth=1
	v_clz_i32_u32_e32 v18, v8
	s_delay_alu instid0(VALU_DEP_1) | instskip(NEXT) | instid1(VALU_DEP_1)
	v_min_u32_e32 v43, 32, v18
	v_subrev_nc_u32_e32 v18, 28, v43
	v_sub_nc_u32_e32 v43, 29, v43
	s_delay_alu instid0(VALU_DEP_2) | instskip(NEXT) | instid1(VALU_DEP_1)
	v_lshlrev_b64 v[18:19], v18, v[8:9]
	v_and_b32_e32 v18, 7, v18
; %bb.3092:                             ;   in Loop: Header=BB268_1574 Depth=1
	s_or_b32 exec_lo, exec_lo, s17
	v_lshlrev_b32_e32 v8, 24, v42
	s_delay_alu instid0(VALU_DEP_2) | instskip(SKIP_1) | instid1(VALU_DEP_3)
	v_lshlrev_b32_e32 v18, 20, v18
	v_lshl_add_u32 v19, v43, 23, 0x3c000000
	v_and_b32_e32 v8, 0x80000000, v8
	s_delay_alu instid0(VALU_DEP_1) | instskip(NEXT) | instid1(VALU_DEP_1)
	v_or3_b32 v8, v18, v8, v19
	v_dual_mov_b32 v19, v9 :: v_dual_mov_b32 v18, v8
.LBB268_3093:                           ;   in Loop: Header=BB268_1574 Depth=1
	s_or_b32 exec_lo, exec_lo, s16
.LBB268_3094:                           ;   in Loop: Header=BB268_1574 Depth=1
	s_delay_alu instid0(SALU_CYCLE_1)
	s_or_b32 exec_lo, exec_lo, s15
.LBB268_3095:                           ;   in Loop: Header=BB268_1574 Depth=1
	s_delay_alu instid0(SALU_CYCLE_1) | instskip(NEXT) | instid1(SALU_CYCLE_1)
	s_or_b32 exec_lo, exec_lo, s10
	s_mov_b32 s15, exec_lo
	v_cmpx_lt_u32_e32 0xffffff, v27
	s_cbranch_execz .LBB268_3103
; %bb.3096:                             ;   in Loop: Header=BB268_1574 Depth=1
	v_lshrrev_b32_e32 v42, 24, v27
	v_dual_mov_b32 v17, s9 :: v_dual_mov_b32 v16, s8
	s_mov_b32 s16, exec_lo
	s_delay_alu instid0(VALU_DEP_2)
	v_cmpx_ne_u32_e32 0x80, v42
	s_cbranch_execz .LBB268_3102
; %bb.3097:                             ;   in Loop: Header=BB268_1574 Depth=1
	s_mov_b32 s10, s8
	v_bfe_u32 v43, v27, 24, 7
	v_dual_mov_b32 v17, s11 :: v_dual_mov_b32 v16, s10
	s_mov_b32 s10, exec_lo
	s_delay_alu instid0(VALU_DEP_2)
	v_cmpx_ne_u32_e32 0x7f, v43
	s_cbranch_execz .LBB268_3101
; %bb.3098:                             ;   in Loop: Header=BB268_1574 Depth=1
	v_and_b32_e32 v8, 7, v42
	v_lshrrev_b32_e32 v27, 3, v43
	v_mov_b32_e32 v17, v9
	s_mov_b32 s17, exec_lo
	s_delay_alu instid0(VALU_DEP_3)
	v_mov_b32_e32 v16, v8
	v_cmpx_gt_u32_e32 8, v43
; %bb.3099:                             ;   in Loop: Header=BB268_1574 Depth=1
	v_clz_i32_u32_e32 v16, v8
	s_delay_alu instid0(VALU_DEP_1) | instskip(NEXT) | instid1(VALU_DEP_1)
	v_min_u32_e32 v27, 32, v16
	v_subrev_nc_u32_e32 v16, 28, v27
	v_sub_nc_u32_e32 v27, 29, v27
	s_delay_alu instid0(VALU_DEP_2) | instskip(NEXT) | instid1(VALU_DEP_1)
	v_lshlrev_b64 v[16:17], v16, v[8:9]
	v_and_b32_e32 v16, 7, v16
; %bb.3100:                             ;   in Loop: Header=BB268_1574 Depth=1
	s_or_b32 exec_lo, exec_lo, s17
	v_lshlrev_b32_e32 v8, 24, v42
	s_delay_alu instid0(VALU_DEP_2) | instskip(SKIP_1) | instid1(VALU_DEP_3)
	v_lshlrev_b32_e32 v16, 20, v16
	v_lshl_add_u32 v17, v27, 23, 0x3c000000
	v_and_b32_e32 v8, 0x80000000, v8
	s_delay_alu instid0(VALU_DEP_1)
	v_or3_b32 v17, v16, v8, v17
	v_mov_b32_e32 v16, v9
.LBB268_3101:                           ;   in Loop: Header=BB268_1574 Depth=1
	s_or_b32 exec_lo, exec_lo, s10
.LBB268_3102:                           ;   in Loop: Header=BB268_1574 Depth=1
	s_delay_alu instid0(SALU_CYCLE_1)
	s_or_b32 exec_lo, exec_lo, s16
.LBB268_3103:                           ;   in Loop: Header=BB268_1574 Depth=1
	s_delay_alu instid0(SALU_CYCLE_1) | instskip(SKIP_4) | instid1(VALU_DEP_4)
	s_or_b32 exec_lo, exec_lo, s15
	v_or_b32_e32 v5, v5, v15
	v_or_b32_e32 v4, v4, v14
	;; [unrolled: 1-line block ×4, first 2 shown]
	v_mul_f32_e32 v44, v167, v5
	s_delay_alu instid0(VALU_DEP_4) | instskip(NEXT) | instid1(VALU_DEP_4)
	v_mul_f32_e32 v43, v167, v4
	v_mul_f32_e32 v42, v167, v8
	s_delay_alu instid0(VALU_DEP_4)
	v_mul_f32_e32 v27, v167, v14
	s_and_saveexec_b32 s10, vcc_lo
; %bb.3104:                             ;   in Loop: Header=BB268_1574 Depth=1
	v_cmp_lt_i32_e64 s0, v180, v35
	s_delay_alu instid0(VALU_DEP_1) | instskip(SKIP_1) | instid1(VALU_DEP_1)
	v_cndmask_b32_e64 v43, 0, v43, s0
	v_cmp_lt_i32_e64 s0, v183, v35
	v_cndmask_b32_e64 v44, 0, v44, s0
	v_cmp_lt_i32_e64 s0, v182, v35
	s_delay_alu instid0(VALU_DEP_1) | instskip(SKIP_1) | instid1(VALU_DEP_1)
	v_cndmask_b32_e64 v27, 0, v27, s0
	v_cmp_lt_i32_e64 s0, v181, v35
	v_cndmask_b32_e64 v42, 0, v42, s0
; %bb.3105:                             ;   in Loop: Header=BB268_1574 Depth=1
	s_or_b32 exec_lo, exec_lo, s10
	scratch_load_b32 v4, off, s32 offset:1096 ; 4-byte Folded Reload
	s_mov_b32 s10, exec_lo
	s_waitcnt vmcnt(0)
	v_add_co_u32 v4, s0, v12, v4
	s_delay_alu instid0(VALU_DEP_1) | instskip(SKIP_4) | instid1(VALU_DEP_1)
	v_add_co_ci_u32_e64 v5, s0, 0, v13, s0
	flat_load_b32 v45, v[4:5]
	v_mov_b32_e32 v4, 0
	s_waitcnt vmcnt(0) lgkmcnt(0)
	v_dual_mov_b32 v5, 0 :: v_dual_and_b32 v8, 0xff, v45
	v_dual_mov_b32 v15, v5 :: v_dual_mov_b32 v14, v4
	s_delay_alu instid0(VALU_DEP_2)
	v_cmpx_ne_u16_e32 0, v8
	s_cbranch_execz .LBB268_3113
; %bb.3106:                             ;   in Loop: Header=BB268_1574 Depth=1
	v_bfrev_b32_e32 v14, 1
	v_mov_b32_e32 v15, 0
	s_mov_b32 s15, exec_lo
	v_cmpx_ne_u16_e32 0x80, v8
	s_cbranch_execz .LBB268_3112
; %bb.3107:                             ;   in Loop: Header=BB268_1574 Depth=1
	v_mov_b32_e32 v14, 0x7f800001
	v_and_b32_e32 v17, 0x7f, v45
	v_mov_b32_e32 v15, 0
	s_mov_b32 s16, exec_lo
	s_delay_alu instid0(VALU_DEP_2)
	v_cmpx_ne_u32_e32 0x7f, v17
	s_cbranch_execz .LBB268_3111
; %bb.3108:                             ;   in Loop: Header=BB268_1574 Depth=1
	v_and_b32_e32 v8, 7, v45
	v_lshrrev_b32_e32 v16, 3, v17
	v_mov_b32_e32 v15, v9
	s_mov_b32 s17, exec_lo
	s_delay_alu instid0(VALU_DEP_3)
	v_mov_b32_e32 v14, v8
	v_cmpx_gt_u32_e32 8, v17
; %bb.3109:                             ;   in Loop: Header=BB268_1574 Depth=1
	v_clz_i32_u32_e32 v14, v8
	s_delay_alu instid0(VALU_DEP_1) | instskip(NEXT) | instid1(VALU_DEP_1)
	v_min_u32_e32 v16, 32, v14
	v_subrev_nc_u32_e32 v14, 28, v16
	v_sub_nc_u32_e32 v16, 29, v16
	s_delay_alu instid0(VALU_DEP_2) | instskip(NEXT) | instid1(VALU_DEP_1)
	v_lshlrev_b64 v[14:15], v14, v[8:9]
	v_and_b32_e32 v14, 7, v14
; %bb.3110:                             ;   in Loop: Header=BB268_1574 Depth=1
	s_or_b32 exec_lo, exec_lo, s17
	v_lshlrev_b32_e32 v8, 24, v45
	s_delay_alu instid0(VALU_DEP_2) | instskip(SKIP_1) | instid1(VALU_DEP_3)
	v_lshlrev_b32_e32 v14, 20, v14
	v_lshl_add_u32 v15, v16, 23, 0x3c000000
	v_and_b32_e32 v8, 0x80000000, v8
	s_delay_alu instid0(VALU_DEP_1) | instskip(NEXT) | instid1(VALU_DEP_1)
	v_or3_b32 v8, v14, v8, v15
	v_dual_mov_b32 v15, v9 :: v_dual_mov_b32 v14, v8
.LBB268_3111:                           ;   in Loop: Header=BB268_1574 Depth=1
	s_or_b32 exec_lo, exec_lo, s16
.LBB268_3112:                           ;   in Loop: Header=BB268_1574 Depth=1
	s_delay_alu instid0(SALU_CYCLE_1)
	s_or_b32 exec_lo, exec_lo, s15
.LBB268_3113:                           ;   in Loop: Header=BB268_1574 Depth=1
	s_delay_alu instid0(SALU_CYCLE_1) | instskip(SKIP_2) | instid1(VALU_DEP_1)
	s_or_b32 exec_lo, exec_lo, s10
	v_lshrrev_b16 v8, 8, v45
	s_mov_b32 s15, exec_lo
	v_cmpx_ne_u16_e32 0, v8
	s_cbranch_execz .LBB268_3121
; %bb.3114:                             ;   in Loop: Header=BB268_1574 Depth=1
	v_dual_mov_b32 v4, s8 :: v_dual_mov_b32 v5, s9
	s_mov_b32 s16, exec_lo
	v_cmpx_ne_u16_e32 0x80, v8
	s_cbranch_execz .LBB268_3120
; %bb.3115:                             ;   in Loop: Header=BB268_1574 Depth=1
	s_mov_b32 s10, s8
	v_and_b32_e32 v8, 0xffff, v8
	v_dual_mov_b32 v4, s10 :: v_dual_mov_b32 v5, s11
	s_mov_b32 s10, exec_lo
	s_delay_alu instid0(VALU_DEP_2) | instskip(NEXT) | instid1(VALU_DEP_1)
	v_and_b32_e32 v17, 0x7f, v8
	v_cmpx_ne_u32_e32 0x7f, v17
	s_cbranch_execz .LBB268_3119
; %bb.3116:                             ;   in Loop: Header=BB268_1574 Depth=1
	v_and_b32_e32 v8, 7, v8
	v_lshrrev_b32_e32 v16, 3, v17
	s_mov_b32 s17, exec_lo
	s_delay_alu instid0(VALU_DEP_2)
	v_dual_mov_b32 v4, v8 :: v_dual_mov_b32 v5, v9
	v_cmpx_gt_u32_e32 8, v17
; %bb.3117:                             ;   in Loop: Header=BB268_1574 Depth=1
	v_clz_i32_u32_e32 v4, v8
	s_delay_alu instid0(VALU_DEP_1) | instskip(NEXT) | instid1(VALU_DEP_1)
	v_min_u32_e32 v16, 32, v4
	v_subrev_nc_u32_e32 v4, 28, v16
	v_sub_nc_u32_e32 v16, 29, v16
	s_delay_alu instid0(VALU_DEP_2) | instskip(NEXT) | instid1(VALU_DEP_1)
	v_lshlrev_b64 v[4:5], v4, v[8:9]
	v_and_b32_e32 v4, 7, v4
; %bb.3118:                             ;   in Loop: Header=BB268_1574 Depth=1
	s_or_b32 exec_lo, exec_lo, s17
	v_lshlrev_b32_e32 v5, 16, v45
	s_delay_alu instid0(VALU_DEP_2) | instskip(SKIP_1) | instid1(VALU_DEP_3)
	v_lshlrev_b32_e32 v4, 20, v4
	v_lshl_add_u32 v8, v16, 23, 0x3c000000
	v_and_b32_e32 v5, 0x80000000, v5
	s_delay_alu instid0(VALU_DEP_1)
	v_or3_b32 v5, v4, v5, v8
	v_mov_b32_e32 v4, v9
.LBB268_3119:                           ;   in Loop: Header=BB268_1574 Depth=1
	s_or_b32 exec_lo, exec_lo, s10
.LBB268_3120:                           ;   in Loop: Header=BB268_1574 Depth=1
	s_delay_alu instid0(SALU_CYCLE_1)
	s_or_b32 exec_lo, exec_lo, s16
.LBB268_3121:                           ;   in Loop: Header=BB268_1574 Depth=1
	s_delay_alu instid0(SALU_CYCLE_1) | instskip(SKIP_4) | instid1(VALU_DEP_1)
	s_or_b32 exec_lo, exec_lo, s15
	v_mov_b32_e32 v16, 0
	v_lshrrev_b32_e32 v46, 16, v45
	v_mov_b32_e32 v17, 0
	s_mov_b32 s10, exec_lo
	v_dual_mov_b32 v19, v17 :: v_dual_and_b32 v8, 0xff, v46
	v_mov_b32_e32 v18, v16
	s_delay_alu instid0(VALU_DEP_2)
	v_cmpx_ne_u16_e32 0, v8
	s_cbranch_execz .LBB268_3129
; %bb.3122:                             ;   in Loop: Header=BB268_1574 Depth=1
	v_bfrev_b32_e32 v18, 1
	v_mov_b32_e32 v19, 0
	s_mov_b32 s15, exec_lo
	v_cmpx_ne_u16_e32 0x80, v8
	s_cbranch_execz .LBB268_3128
; %bb.3123:                             ;   in Loop: Header=BB268_1574 Depth=1
	v_mov_b32_e32 v18, 0x7f800001
	v_bfe_u32 v56, v45, 16, 7
	v_mov_b32_e32 v19, 0
	s_mov_b32 s16, exec_lo
	s_delay_alu instid0(VALU_DEP_2)
	v_cmpx_ne_u32_e32 0x7f, v56
	s_cbranch_execz .LBB268_3127
; %bb.3124:                             ;   in Loop: Header=BB268_1574 Depth=1
	v_and_b32_e32 v8, 7, v46
	v_lshrrev_b32_e32 v47, 3, v56
	v_mov_b32_e32 v19, v9
	s_mov_b32 s17, exec_lo
	s_delay_alu instid0(VALU_DEP_3)
	v_mov_b32_e32 v18, v8
	v_cmpx_gt_u32_e32 8, v56
; %bb.3125:                             ;   in Loop: Header=BB268_1574 Depth=1
	v_clz_i32_u32_e32 v18, v8
	s_delay_alu instid0(VALU_DEP_1) | instskip(NEXT) | instid1(VALU_DEP_1)
	v_min_u32_e32 v47, 32, v18
	v_subrev_nc_u32_e32 v18, 28, v47
	v_sub_nc_u32_e32 v47, 29, v47
	s_delay_alu instid0(VALU_DEP_2) | instskip(NEXT) | instid1(VALU_DEP_1)
	v_lshlrev_b64 v[18:19], v18, v[8:9]
	v_and_b32_e32 v18, 7, v18
; %bb.3126:                             ;   in Loop: Header=BB268_1574 Depth=1
	s_or_b32 exec_lo, exec_lo, s17
	v_lshlrev_b32_e32 v8, 24, v46
	s_delay_alu instid0(VALU_DEP_2) | instskip(SKIP_1) | instid1(VALU_DEP_3)
	v_lshlrev_b32_e32 v18, 20, v18
	v_lshl_add_u32 v19, v47, 23, 0x3c000000
	v_and_b32_e32 v8, 0x80000000, v8
	s_delay_alu instid0(VALU_DEP_1) | instskip(NEXT) | instid1(VALU_DEP_1)
	v_or3_b32 v8, v18, v8, v19
	v_dual_mov_b32 v19, v9 :: v_dual_mov_b32 v18, v8
.LBB268_3127:                           ;   in Loop: Header=BB268_1574 Depth=1
	s_or_b32 exec_lo, exec_lo, s16
.LBB268_3128:                           ;   in Loop: Header=BB268_1574 Depth=1
	s_delay_alu instid0(SALU_CYCLE_1)
	s_or_b32 exec_lo, exec_lo, s15
.LBB268_3129:                           ;   in Loop: Header=BB268_1574 Depth=1
	s_delay_alu instid0(SALU_CYCLE_1) | instskip(NEXT) | instid1(SALU_CYCLE_1)
	s_or_b32 exec_lo, exec_lo, s10
	s_mov_b32 s15, exec_lo
	v_cmpx_lt_u32_e32 0xffffff, v45
	s_cbranch_execz .LBB268_3137
; %bb.3130:                             ;   in Loop: Header=BB268_1574 Depth=1
	v_lshrrev_b32_e32 v46, 24, v45
	v_dual_mov_b32 v17, s9 :: v_dual_mov_b32 v16, s8
	s_mov_b32 s16, exec_lo
	s_delay_alu instid0(VALU_DEP_2)
	v_cmpx_ne_u32_e32 0x80, v46
	s_cbranch_execz .LBB268_3136
; %bb.3131:                             ;   in Loop: Header=BB268_1574 Depth=1
	s_mov_b32 s10, s8
	v_bfe_u32 v47, v45, 24, 7
	v_dual_mov_b32 v17, s11 :: v_dual_mov_b32 v16, s10
	s_mov_b32 s10, exec_lo
	s_delay_alu instid0(VALU_DEP_2)
	v_cmpx_ne_u32_e32 0x7f, v47
	s_cbranch_execz .LBB268_3135
; %bb.3132:                             ;   in Loop: Header=BB268_1574 Depth=1
	v_and_b32_e32 v8, 7, v46
	v_lshrrev_b32_e32 v45, 3, v47
	v_mov_b32_e32 v17, v9
	s_mov_b32 s17, exec_lo
	s_delay_alu instid0(VALU_DEP_3)
	v_mov_b32_e32 v16, v8
	v_cmpx_gt_u32_e32 8, v47
; %bb.3133:                             ;   in Loop: Header=BB268_1574 Depth=1
	v_clz_i32_u32_e32 v16, v8
	s_delay_alu instid0(VALU_DEP_1) | instskip(NEXT) | instid1(VALU_DEP_1)
	v_min_u32_e32 v45, 32, v16
	v_subrev_nc_u32_e32 v16, 28, v45
	v_sub_nc_u32_e32 v45, 29, v45
	s_delay_alu instid0(VALU_DEP_2) | instskip(NEXT) | instid1(VALU_DEP_1)
	v_lshlrev_b64 v[16:17], v16, v[8:9]
	v_and_b32_e32 v16, 7, v16
; %bb.3134:                             ;   in Loop: Header=BB268_1574 Depth=1
	s_or_b32 exec_lo, exec_lo, s17
	v_lshlrev_b32_e32 v8, 24, v46
	s_delay_alu instid0(VALU_DEP_2) | instskip(SKIP_1) | instid1(VALU_DEP_3)
	v_lshlrev_b32_e32 v16, 20, v16
	v_lshl_add_u32 v17, v45, 23, 0x3c000000
	v_and_b32_e32 v8, 0x80000000, v8
	s_delay_alu instid0(VALU_DEP_1)
	v_or3_b32 v17, v16, v8, v17
	v_mov_b32_e32 v16, v9
.LBB268_3135:                           ;   in Loop: Header=BB268_1574 Depth=1
	s_or_b32 exec_lo, exec_lo, s10
.LBB268_3136:                           ;   in Loop: Header=BB268_1574 Depth=1
	s_delay_alu instid0(SALU_CYCLE_1)
	s_or_b32 exec_lo, exec_lo, s16
.LBB268_3137:                           ;   in Loop: Header=BB268_1574 Depth=1
	s_delay_alu instid0(SALU_CYCLE_1) | instskip(SKIP_4) | instid1(VALU_DEP_4)
	s_or_b32 exec_lo, exec_lo, s15
	v_or_b32_e32 v5, v5, v15
	v_or_b32_e32 v4, v4, v14
	;; [unrolled: 1-line block ×4, first 2 shown]
	v_mul_f32_e32 v56, v167, v5
	s_delay_alu instid0(VALU_DEP_4) | instskip(NEXT) | instid1(VALU_DEP_4)
	v_mul_f32_e32 v47, v167, v4
	v_mul_f32_e32 v45, v167, v8
	s_delay_alu instid0(VALU_DEP_4)
	v_mul_f32_e32 v46, v167, v14
	s_and_saveexec_b32 s10, vcc_lo
; %bb.3138:                             ;   in Loop: Header=BB268_1574 Depth=1
	v_cmp_lt_i32_e64 s0, v180, v35
	s_delay_alu instid0(VALU_DEP_1) | instskip(SKIP_1) | instid1(VALU_DEP_1)
	v_cndmask_b32_e64 v47, 0, v47, s0
	v_cmp_lt_i32_e64 s0, v183, v35
	v_cndmask_b32_e64 v56, 0, v56, s0
	v_cmp_lt_i32_e64 s0, v182, v35
	s_delay_alu instid0(VALU_DEP_1) | instskip(SKIP_1) | instid1(VALU_DEP_1)
	v_cndmask_b32_e64 v46, 0, v46, s0
	v_cmp_lt_i32_e64 s0, v181, v35
	v_cndmask_b32_e64 v45, 0, v45, s0
; %bb.3139:                             ;   in Loop: Header=BB268_1574 Depth=1
	s_or_b32 exec_lo, exec_lo, s10
	scratch_load_b32 v4, off, s32 offset:1104 ; 4-byte Folded Reload
	s_mov_b32 s10, exec_lo
	s_waitcnt vmcnt(0)
	v_add_co_u32 v4, s0, v12, v4
	s_delay_alu instid0(VALU_DEP_1) | instskip(SKIP_4) | instid1(VALU_DEP_1)
	v_add_co_ci_u32_e64 v5, s0, 0, v13, s0
	flat_load_b32 v57, v[4:5]
	v_mov_b32_e32 v4, 0
	s_waitcnt vmcnt(0) lgkmcnt(0)
	v_dual_mov_b32 v5, 0 :: v_dual_and_b32 v8, 0xff, v57
	v_dual_mov_b32 v15, v5 :: v_dual_mov_b32 v14, v4
	s_delay_alu instid0(VALU_DEP_2)
	v_cmpx_ne_u16_e32 0, v8
	s_cbranch_execz .LBB268_3147
; %bb.3140:                             ;   in Loop: Header=BB268_1574 Depth=1
	v_bfrev_b32_e32 v14, 1
	v_mov_b32_e32 v15, 0
	s_mov_b32 s15, exec_lo
	v_cmpx_ne_u16_e32 0x80, v8
	s_cbranch_execz .LBB268_3146
; %bb.3141:                             ;   in Loop: Header=BB268_1574 Depth=1
	v_mov_b32_e32 v14, 0x7f800001
	v_and_b32_e32 v17, 0x7f, v57
	v_mov_b32_e32 v15, 0
	s_mov_b32 s16, exec_lo
	s_delay_alu instid0(VALU_DEP_2)
	v_cmpx_ne_u32_e32 0x7f, v17
	s_cbranch_execz .LBB268_3145
; %bb.3142:                             ;   in Loop: Header=BB268_1574 Depth=1
	v_and_b32_e32 v8, 7, v57
	v_lshrrev_b32_e32 v16, 3, v17
	v_mov_b32_e32 v15, v9
	s_mov_b32 s17, exec_lo
	s_delay_alu instid0(VALU_DEP_3)
	v_mov_b32_e32 v14, v8
	v_cmpx_gt_u32_e32 8, v17
; %bb.3143:                             ;   in Loop: Header=BB268_1574 Depth=1
	v_clz_i32_u32_e32 v14, v8
	s_delay_alu instid0(VALU_DEP_1) | instskip(NEXT) | instid1(VALU_DEP_1)
	v_min_u32_e32 v16, 32, v14
	v_subrev_nc_u32_e32 v14, 28, v16
	v_sub_nc_u32_e32 v16, 29, v16
	s_delay_alu instid0(VALU_DEP_2) | instskip(NEXT) | instid1(VALU_DEP_1)
	v_lshlrev_b64 v[14:15], v14, v[8:9]
	v_and_b32_e32 v14, 7, v14
; %bb.3144:                             ;   in Loop: Header=BB268_1574 Depth=1
	s_or_b32 exec_lo, exec_lo, s17
	v_lshlrev_b32_e32 v8, 24, v57
	s_delay_alu instid0(VALU_DEP_2) | instskip(SKIP_1) | instid1(VALU_DEP_3)
	v_lshlrev_b32_e32 v14, 20, v14
	v_lshl_add_u32 v15, v16, 23, 0x3c000000
	v_and_b32_e32 v8, 0x80000000, v8
	s_delay_alu instid0(VALU_DEP_1) | instskip(NEXT) | instid1(VALU_DEP_1)
	v_or3_b32 v8, v14, v8, v15
	v_dual_mov_b32 v15, v9 :: v_dual_mov_b32 v14, v8
.LBB268_3145:                           ;   in Loop: Header=BB268_1574 Depth=1
	s_or_b32 exec_lo, exec_lo, s16
.LBB268_3146:                           ;   in Loop: Header=BB268_1574 Depth=1
	s_delay_alu instid0(SALU_CYCLE_1)
	s_or_b32 exec_lo, exec_lo, s15
.LBB268_3147:                           ;   in Loop: Header=BB268_1574 Depth=1
	s_delay_alu instid0(SALU_CYCLE_1) | instskip(SKIP_2) | instid1(VALU_DEP_1)
	s_or_b32 exec_lo, exec_lo, s10
	v_lshrrev_b16 v8, 8, v57
	s_mov_b32 s15, exec_lo
	v_cmpx_ne_u16_e32 0, v8
	s_cbranch_execz .LBB268_3155
; %bb.3148:                             ;   in Loop: Header=BB268_1574 Depth=1
	v_dual_mov_b32 v4, s8 :: v_dual_mov_b32 v5, s9
	s_mov_b32 s16, exec_lo
	v_cmpx_ne_u16_e32 0x80, v8
	s_cbranch_execz .LBB268_3154
; %bb.3149:                             ;   in Loop: Header=BB268_1574 Depth=1
	s_mov_b32 s10, s8
	v_and_b32_e32 v8, 0xffff, v8
	v_dual_mov_b32 v4, s10 :: v_dual_mov_b32 v5, s11
	s_mov_b32 s10, exec_lo
	s_delay_alu instid0(VALU_DEP_2) | instskip(NEXT) | instid1(VALU_DEP_1)
	v_and_b32_e32 v17, 0x7f, v8
	v_cmpx_ne_u32_e32 0x7f, v17
	s_cbranch_execz .LBB268_3153
; %bb.3150:                             ;   in Loop: Header=BB268_1574 Depth=1
	v_and_b32_e32 v8, 7, v8
	v_lshrrev_b32_e32 v16, 3, v17
	s_mov_b32 s17, exec_lo
	s_delay_alu instid0(VALU_DEP_2)
	v_dual_mov_b32 v4, v8 :: v_dual_mov_b32 v5, v9
	v_cmpx_gt_u32_e32 8, v17
; %bb.3151:                             ;   in Loop: Header=BB268_1574 Depth=1
	v_clz_i32_u32_e32 v4, v8
	s_delay_alu instid0(VALU_DEP_1) | instskip(NEXT) | instid1(VALU_DEP_1)
	v_min_u32_e32 v16, 32, v4
	v_subrev_nc_u32_e32 v4, 28, v16
	v_sub_nc_u32_e32 v16, 29, v16
	s_delay_alu instid0(VALU_DEP_2) | instskip(NEXT) | instid1(VALU_DEP_1)
	v_lshlrev_b64 v[4:5], v4, v[8:9]
	v_and_b32_e32 v4, 7, v4
; %bb.3152:                             ;   in Loop: Header=BB268_1574 Depth=1
	s_or_b32 exec_lo, exec_lo, s17
	v_lshlrev_b32_e32 v5, 16, v57
	s_delay_alu instid0(VALU_DEP_2) | instskip(SKIP_1) | instid1(VALU_DEP_3)
	v_lshlrev_b32_e32 v4, 20, v4
	v_lshl_add_u32 v8, v16, 23, 0x3c000000
	v_and_b32_e32 v5, 0x80000000, v5
	s_delay_alu instid0(VALU_DEP_1)
	v_or3_b32 v5, v4, v5, v8
	v_mov_b32_e32 v4, v9
.LBB268_3153:                           ;   in Loop: Header=BB268_1574 Depth=1
	s_or_b32 exec_lo, exec_lo, s10
.LBB268_3154:                           ;   in Loop: Header=BB268_1574 Depth=1
	s_delay_alu instid0(SALU_CYCLE_1)
	s_or_b32 exec_lo, exec_lo, s16
.LBB268_3155:                           ;   in Loop: Header=BB268_1574 Depth=1
	s_delay_alu instid0(SALU_CYCLE_1) | instskip(SKIP_4) | instid1(VALU_DEP_1)
	s_or_b32 exec_lo, exec_lo, s15
	v_mov_b32_e32 v16, 0
	v_lshrrev_b32_e32 v58, 16, v57
	v_mov_b32_e32 v17, 0
	s_mov_b32 s10, exec_lo
	v_dual_mov_b32 v19, v17 :: v_dual_and_b32 v8, 0xff, v58
	v_mov_b32_e32 v18, v16
	s_delay_alu instid0(VALU_DEP_2)
	v_cmpx_ne_u16_e32 0, v8
	s_cbranch_execz .LBB268_3163
; %bb.3156:                             ;   in Loop: Header=BB268_1574 Depth=1
	v_bfrev_b32_e32 v18, 1
	v_mov_b32_e32 v19, 0
	s_mov_b32 s15, exec_lo
	v_cmpx_ne_u16_e32 0x80, v8
	s_cbranch_execz .LBB268_3162
; %bb.3157:                             ;   in Loop: Header=BB268_1574 Depth=1
	v_mov_b32_e32 v18, 0x7f800001
	v_bfe_u32 v60, v57, 16, 7
	v_mov_b32_e32 v19, 0
	s_mov_b32 s16, exec_lo
	s_delay_alu instid0(VALU_DEP_2)
	v_cmpx_ne_u32_e32 0x7f, v60
	s_cbranch_execz .LBB268_3161
; %bb.3158:                             ;   in Loop: Header=BB268_1574 Depth=1
	v_and_b32_e32 v8, 7, v58
	v_lshrrev_b32_e32 v59, 3, v60
	v_mov_b32_e32 v19, v9
	s_mov_b32 s17, exec_lo
	s_delay_alu instid0(VALU_DEP_3)
	v_mov_b32_e32 v18, v8
	v_cmpx_gt_u32_e32 8, v60
; %bb.3159:                             ;   in Loop: Header=BB268_1574 Depth=1
	v_clz_i32_u32_e32 v18, v8
	s_delay_alu instid0(VALU_DEP_1) | instskip(NEXT) | instid1(VALU_DEP_1)
	v_min_u32_e32 v59, 32, v18
	v_subrev_nc_u32_e32 v18, 28, v59
	v_sub_nc_u32_e32 v59, 29, v59
	s_delay_alu instid0(VALU_DEP_2) | instskip(NEXT) | instid1(VALU_DEP_1)
	v_lshlrev_b64 v[18:19], v18, v[8:9]
	v_and_b32_e32 v18, 7, v18
; %bb.3160:                             ;   in Loop: Header=BB268_1574 Depth=1
	s_or_b32 exec_lo, exec_lo, s17
	v_lshlrev_b32_e32 v8, 24, v58
	s_delay_alu instid0(VALU_DEP_2) | instskip(SKIP_1) | instid1(VALU_DEP_3)
	v_lshlrev_b32_e32 v18, 20, v18
	v_lshl_add_u32 v19, v59, 23, 0x3c000000
	v_and_b32_e32 v8, 0x80000000, v8
	s_delay_alu instid0(VALU_DEP_1) | instskip(NEXT) | instid1(VALU_DEP_1)
	v_or3_b32 v8, v18, v8, v19
	v_dual_mov_b32 v19, v9 :: v_dual_mov_b32 v18, v8
.LBB268_3161:                           ;   in Loop: Header=BB268_1574 Depth=1
	s_or_b32 exec_lo, exec_lo, s16
.LBB268_3162:                           ;   in Loop: Header=BB268_1574 Depth=1
	s_delay_alu instid0(SALU_CYCLE_1)
	s_or_b32 exec_lo, exec_lo, s15
.LBB268_3163:                           ;   in Loop: Header=BB268_1574 Depth=1
	s_delay_alu instid0(SALU_CYCLE_1) | instskip(NEXT) | instid1(SALU_CYCLE_1)
	s_or_b32 exec_lo, exec_lo, s10
	s_mov_b32 s15, exec_lo
	v_cmpx_lt_u32_e32 0xffffff, v57
	s_cbranch_execz .LBB268_3171
; %bb.3164:                             ;   in Loop: Header=BB268_1574 Depth=1
	v_lshrrev_b32_e32 v58, 24, v57
	v_dual_mov_b32 v17, s9 :: v_dual_mov_b32 v16, s8
	s_mov_b32 s16, exec_lo
	s_delay_alu instid0(VALU_DEP_2)
	v_cmpx_ne_u32_e32 0x80, v58
	s_cbranch_execz .LBB268_3170
; %bb.3165:                             ;   in Loop: Header=BB268_1574 Depth=1
	s_mov_b32 s10, s8
	v_bfe_u32 v59, v57, 24, 7
	v_dual_mov_b32 v17, s11 :: v_dual_mov_b32 v16, s10
	s_mov_b32 s10, exec_lo
	s_delay_alu instid0(VALU_DEP_2)
	v_cmpx_ne_u32_e32 0x7f, v59
	s_cbranch_execz .LBB268_3169
; %bb.3166:                             ;   in Loop: Header=BB268_1574 Depth=1
	v_and_b32_e32 v8, 7, v58
	v_lshrrev_b32_e32 v57, 3, v59
	v_mov_b32_e32 v17, v9
	s_mov_b32 s17, exec_lo
	s_delay_alu instid0(VALU_DEP_3)
	v_mov_b32_e32 v16, v8
	v_cmpx_gt_u32_e32 8, v59
; %bb.3167:                             ;   in Loop: Header=BB268_1574 Depth=1
	v_clz_i32_u32_e32 v16, v8
	s_delay_alu instid0(VALU_DEP_1) | instskip(NEXT) | instid1(VALU_DEP_1)
	v_min_u32_e32 v57, 32, v16
	v_subrev_nc_u32_e32 v16, 28, v57
	v_sub_nc_u32_e32 v57, 29, v57
	s_delay_alu instid0(VALU_DEP_2) | instskip(NEXT) | instid1(VALU_DEP_1)
	v_lshlrev_b64 v[16:17], v16, v[8:9]
	v_and_b32_e32 v16, 7, v16
; %bb.3168:                             ;   in Loop: Header=BB268_1574 Depth=1
	s_or_b32 exec_lo, exec_lo, s17
	v_lshlrev_b32_e32 v8, 24, v58
	s_delay_alu instid0(VALU_DEP_2) | instskip(SKIP_1) | instid1(VALU_DEP_3)
	v_lshlrev_b32_e32 v16, 20, v16
	v_lshl_add_u32 v17, v57, 23, 0x3c000000
	v_and_b32_e32 v8, 0x80000000, v8
	s_delay_alu instid0(VALU_DEP_1)
	v_or3_b32 v17, v16, v8, v17
	v_mov_b32_e32 v16, v9
.LBB268_3169:                           ;   in Loop: Header=BB268_1574 Depth=1
	s_or_b32 exec_lo, exec_lo, s10
.LBB268_3170:                           ;   in Loop: Header=BB268_1574 Depth=1
	s_delay_alu instid0(SALU_CYCLE_1)
	s_or_b32 exec_lo, exec_lo, s16
.LBB268_3171:                           ;   in Loop: Header=BB268_1574 Depth=1
	s_delay_alu instid0(SALU_CYCLE_1) | instskip(SKIP_4) | instid1(VALU_DEP_4)
	s_or_b32 exec_lo, exec_lo, s15
	v_or_b32_e32 v5, v5, v15
	v_or_b32_e32 v4, v4, v14
	;; [unrolled: 1-line block ×4, first 2 shown]
	v_mul_f32_e32 v58, v167, v5
	s_delay_alu instid0(VALU_DEP_4) | instskip(NEXT) | instid1(VALU_DEP_4)
	v_mul_f32_e32 v57, v167, v4
	v_mul_f32_e32 v18, v167, v8
	s_delay_alu instid0(VALU_DEP_4)
	v_mul_f32_e32 v19, v167, v14
	s_and_saveexec_b32 s10, vcc_lo
; %bb.3172:                             ;   in Loop: Header=BB268_1574 Depth=1
	v_cmp_lt_i32_e64 s0, v180, v35
	s_delay_alu instid0(VALU_DEP_1) | instskip(SKIP_1) | instid1(VALU_DEP_1)
	v_cndmask_b32_e64 v57, 0, v57, s0
	v_cmp_lt_i32_e64 s0, v183, v35
	v_cndmask_b32_e64 v58, 0, v58, s0
	v_cmp_lt_i32_e64 s0, v182, v35
	s_delay_alu instid0(VALU_DEP_1) | instskip(SKIP_1) | instid1(VALU_DEP_1)
	v_cndmask_b32_e64 v19, 0, v19, s0
	v_cmp_lt_i32_e64 s0, v181, v35
	v_cndmask_b32_e64 v18, 0, v18, s0
; %bb.3173:                             ;   in Loop: Header=BB268_1574 Depth=1
	s_or_b32 exec_lo, exec_lo, s10
	scratch_load_b32 v4, off, s32 offset:1112 ; 4-byte Folded Reload
	s_mov_b32 s10, exec_lo
	s_waitcnt vmcnt(0)
	v_add_co_u32 v4, s0, v12, v4
	s_delay_alu instid0(VALU_DEP_1) | instskip(SKIP_4) | instid1(VALU_DEP_1)
	v_add_co_ci_u32_e64 v5, s0, 0, v13, s0
	flat_load_b32 v59, v[4:5]
	v_mov_b32_e32 v4, 0
	s_waitcnt vmcnt(0) lgkmcnt(0)
	v_dual_mov_b32 v5, 0 :: v_dual_and_b32 v8, 0xff, v59
	v_dual_mov_b32 v13, v5 :: v_dual_mov_b32 v12, v4
	s_delay_alu instid0(VALU_DEP_2)
	v_cmpx_ne_u16_e32 0, v8
	s_cbranch_execz .LBB268_3181
; %bb.3174:                             ;   in Loop: Header=BB268_1574 Depth=1
	v_bfrev_b32_e32 v12, 1
	v_mov_b32_e32 v13, 0
	s_mov_b32 s15, exec_lo
	v_cmpx_ne_u16_e32 0x80, v8
	s_cbranch_execz .LBB268_3180
; %bb.3175:                             ;   in Loop: Header=BB268_1574 Depth=1
	v_mov_b32_e32 v12, 0x7f800001
	v_and_b32_e32 v15, 0x7f, v59
	v_mov_b32_e32 v13, 0
	s_mov_b32 s16, exec_lo
	s_delay_alu instid0(VALU_DEP_2)
	v_cmpx_ne_u32_e32 0x7f, v15
	s_cbranch_execz .LBB268_3179
; %bb.3176:                             ;   in Loop: Header=BB268_1574 Depth=1
	v_and_b32_e32 v8, 7, v59
	v_lshrrev_b32_e32 v14, 3, v15
	v_mov_b32_e32 v13, v9
	s_mov_b32 s17, exec_lo
	s_delay_alu instid0(VALU_DEP_3)
	v_mov_b32_e32 v12, v8
	v_cmpx_gt_u32_e32 8, v15
; %bb.3177:                             ;   in Loop: Header=BB268_1574 Depth=1
	v_clz_i32_u32_e32 v12, v8
	s_delay_alu instid0(VALU_DEP_1) | instskip(NEXT) | instid1(VALU_DEP_1)
	v_min_u32_e32 v14, 32, v12
	v_subrev_nc_u32_e32 v12, 28, v14
	v_sub_nc_u32_e32 v14, 29, v14
	s_delay_alu instid0(VALU_DEP_2) | instskip(NEXT) | instid1(VALU_DEP_1)
	v_lshlrev_b64 v[12:13], v12, v[8:9]
	v_and_b32_e32 v12, 7, v12
; %bb.3178:                             ;   in Loop: Header=BB268_1574 Depth=1
	s_or_b32 exec_lo, exec_lo, s17
	v_lshlrev_b32_e32 v8, 24, v59
	s_delay_alu instid0(VALU_DEP_2) | instskip(SKIP_1) | instid1(VALU_DEP_3)
	v_lshlrev_b32_e32 v12, 20, v12
	v_lshl_add_u32 v13, v14, 23, 0x3c000000
	v_and_b32_e32 v8, 0x80000000, v8
	s_delay_alu instid0(VALU_DEP_1) | instskip(NEXT) | instid1(VALU_DEP_1)
	v_or3_b32 v8, v12, v8, v13
	v_dual_mov_b32 v13, v9 :: v_dual_mov_b32 v12, v8
.LBB268_3179:                           ;   in Loop: Header=BB268_1574 Depth=1
	s_or_b32 exec_lo, exec_lo, s16
.LBB268_3180:                           ;   in Loop: Header=BB268_1574 Depth=1
	s_delay_alu instid0(SALU_CYCLE_1)
	s_or_b32 exec_lo, exec_lo, s15
.LBB268_3181:                           ;   in Loop: Header=BB268_1574 Depth=1
	s_delay_alu instid0(SALU_CYCLE_1) | instskip(SKIP_2) | instid1(VALU_DEP_1)
	s_or_b32 exec_lo, exec_lo, s10
	v_lshrrev_b16 v8, 8, v59
	s_mov_b32 s15, exec_lo
	v_cmpx_ne_u16_e32 0, v8
	s_cbranch_execz .LBB268_3189
; %bb.3182:                             ;   in Loop: Header=BB268_1574 Depth=1
	v_dual_mov_b32 v4, s8 :: v_dual_mov_b32 v5, s9
	s_mov_b32 s16, exec_lo
	v_cmpx_ne_u16_e32 0x80, v8
	s_cbranch_execz .LBB268_3188
; %bb.3183:                             ;   in Loop: Header=BB268_1574 Depth=1
	s_mov_b32 s10, s8
	v_and_b32_e32 v8, 0xffff, v8
	v_dual_mov_b32 v4, s10 :: v_dual_mov_b32 v5, s11
	s_mov_b32 s10, exec_lo
	s_delay_alu instid0(VALU_DEP_2) | instskip(NEXT) | instid1(VALU_DEP_1)
	v_and_b32_e32 v15, 0x7f, v8
	v_cmpx_ne_u32_e32 0x7f, v15
	s_cbranch_execz .LBB268_3187
; %bb.3184:                             ;   in Loop: Header=BB268_1574 Depth=1
	v_and_b32_e32 v8, 7, v8
	v_lshrrev_b32_e32 v14, 3, v15
	s_mov_b32 s17, exec_lo
	s_delay_alu instid0(VALU_DEP_2)
	v_dual_mov_b32 v4, v8 :: v_dual_mov_b32 v5, v9
	v_cmpx_gt_u32_e32 8, v15
; %bb.3185:                             ;   in Loop: Header=BB268_1574 Depth=1
	v_clz_i32_u32_e32 v4, v8
	s_delay_alu instid0(VALU_DEP_1) | instskip(NEXT) | instid1(VALU_DEP_1)
	v_min_u32_e32 v14, 32, v4
	v_subrev_nc_u32_e32 v4, 28, v14
	v_sub_nc_u32_e32 v14, 29, v14
	s_delay_alu instid0(VALU_DEP_2) | instskip(NEXT) | instid1(VALU_DEP_1)
	v_lshlrev_b64 v[4:5], v4, v[8:9]
	v_and_b32_e32 v4, 7, v4
; %bb.3186:                             ;   in Loop: Header=BB268_1574 Depth=1
	s_or_b32 exec_lo, exec_lo, s17
	v_lshlrev_b32_e32 v5, 16, v59
	s_delay_alu instid0(VALU_DEP_2) | instskip(SKIP_1) | instid1(VALU_DEP_3)
	v_lshlrev_b32_e32 v4, 20, v4
	v_lshl_add_u32 v8, v14, 23, 0x3c000000
	v_and_b32_e32 v5, 0x80000000, v5
	s_delay_alu instid0(VALU_DEP_1)
	v_or3_b32 v5, v4, v5, v8
	v_mov_b32_e32 v4, v9
.LBB268_3187:                           ;   in Loop: Header=BB268_1574 Depth=1
	s_or_b32 exec_lo, exec_lo, s10
.LBB268_3188:                           ;   in Loop: Header=BB268_1574 Depth=1
	s_delay_alu instid0(SALU_CYCLE_1)
	s_or_b32 exec_lo, exec_lo, s16
.LBB268_3189:                           ;   in Loop: Header=BB268_1574 Depth=1
	s_delay_alu instid0(SALU_CYCLE_1) | instskip(SKIP_4) | instid1(VALU_DEP_1)
	s_or_b32 exec_lo, exec_lo, s15
	v_mov_b32_e32 v14, 0
	v_lshrrev_b32_e32 v60, 16, v59
	v_mov_b32_e32 v15, 0
	s_mov_b32 s10, exec_lo
	v_dual_mov_b32 v17, v15 :: v_dual_and_b32 v8, 0xff, v60
	v_mov_b32_e32 v16, v14
	s_delay_alu instid0(VALU_DEP_2)
	v_cmpx_ne_u16_e32 0, v8
	s_cbranch_execz .LBB268_3197
; %bb.3190:                             ;   in Loop: Header=BB268_1574 Depth=1
	v_bfrev_b32_e32 v16, 1
	v_mov_b32_e32 v17, 0
	s_mov_b32 s15, exec_lo
	v_cmpx_ne_u16_e32 0x80, v8
	s_cbranch_execz .LBB268_3196
; %bb.3191:                             ;   in Loop: Header=BB268_1574 Depth=1
	v_mov_b32_e32 v16, 0x7f800001
	v_bfe_u32 v62, v59, 16, 7
	v_mov_b32_e32 v17, 0
	s_mov_b32 s16, exec_lo
	s_delay_alu instid0(VALU_DEP_2)
	v_cmpx_ne_u32_e32 0x7f, v62
	s_cbranch_execz .LBB268_3195
; %bb.3192:                             ;   in Loop: Header=BB268_1574 Depth=1
	v_and_b32_e32 v8, 7, v60
	v_lshrrev_b32_e32 v61, 3, v62
	v_mov_b32_e32 v17, v9
	s_mov_b32 s17, exec_lo
	s_delay_alu instid0(VALU_DEP_3)
	v_mov_b32_e32 v16, v8
	v_cmpx_gt_u32_e32 8, v62
; %bb.3193:                             ;   in Loop: Header=BB268_1574 Depth=1
	v_clz_i32_u32_e32 v16, v8
	s_delay_alu instid0(VALU_DEP_1) | instskip(NEXT) | instid1(VALU_DEP_1)
	v_min_u32_e32 v61, 32, v16
	v_subrev_nc_u32_e32 v16, 28, v61
	v_sub_nc_u32_e32 v61, 29, v61
	s_delay_alu instid0(VALU_DEP_2) | instskip(NEXT) | instid1(VALU_DEP_1)
	v_lshlrev_b64 v[16:17], v16, v[8:9]
	v_and_b32_e32 v16, 7, v16
; %bb.3194:                             ;   in Loop: Header=BB268_1574 Depth=1
	s_or_b32 exec_lo, exec_lo, s17
	v_lshlrev_b32_e32 v8, 24, v60
	s_delay_alu instid0(VALU_DEP_2) | instskip(SKIP_1) | instid1(VALU_DEP_3)
	v_lshlrev_b32_e32 v16, 20, v16
	v_lshl_add_u32 v17, v61, 23, 0x3c000000
	v_and_b32_e32 v8, 0x80000000, v8
	s_delay_alu instid0(VALU_DEP_1) | instskip(NEXT) | instid1(VALU_DEP_1)
	v_or3_b32 v8, v16, v8, v17
	v_dual_mov_b32 v17, v9 :: v_dual_mov_b32 v16, v8
.LBB268_3195:                           ;   in Loop: Header=BB268_1574 Depth=1
	s_or_b32 exec_lo, exec_lo, s16
.LBB268_3196:                           ;   in Loop: Header=BB268_1574 Depth=1
	s_delay_alu instid0(SALU_CYCLE_1)
	s_or_b32 exec_lo, exec_lo, s15
.LBB268_3197:                           ;   in Loop: Header=BB268_1574 Depth=1
	s_delay_alu instid0(SALU_CYCLE_1) | instskip(NEXT) | instid1(SALU_CYCLE_1)
	s_or_b32 exec_lo, exec_lo, s10
	s_mov_b32 s15, exec_lo
	v_cmpx_lt_u32_e32 0xffffff, v59
	s_cbranch_execz .LBB268_3205
; %bb.3198:                             ;   in Loop: Header=BB268_1574 Depth=1
	v_lshrrev_b32_e32 v60, 24, v59
	v_dual_mov_b32 v15, s9 :: v_dual_mov_b32 v14, s8
	s_mov_b32 s16, exec_lo
	s_delay_alu instid0(VALU_DEP_2)
	v_cmpx_ne_u32_e32 0x80, v60
	s_cbranch_execz .LBB268_3204
; %bb.3199:                             ;   in Loop: Header=BB268_1574 Depth=1
	s_mov_b32 s10, s8
	v_bfe_u32 v61, v59, 24, 7
	v_dual_mov_b32 v15, s11 :: v_dual_mov_b32 v14, s10
	s_mov_b32 s10, exec_lo
	s_delay_alu instid0(VALU_DEP_2)
	v_cmpx_ne_u32_e32 0x7f, v61
	s_cbranch_execz .LBB268_3203
; %bb.3200:                             ;   in Loop: Header=BB268_1574 Depth=1
	v_and_b32_e32 v8, 7, v60
	v_lshrrev_b32_e32 v59, 3, v61
	v_mov_b32_e32 v15, v9
	s_mov_b32 s17, exec_lo
	s_delay_alu instid0(VALU_DEP_3)
	v_mov_b32_e32 v14, v8
	v_cmpx_gt_u32_e32 8, v61
; %bb.3201:                             ;   in Loop: Header=BB268_1574 Depth=1
	v_clz_i32_u32_e32 v14, v8
	s_delay_alu instid0(VALU_DEP_1) | instskip(NEXT) | instid1(VALU_DEP_1)
	v_min_u32_e32 v59, 32, v14
	v_subrev_nc_u32_e32 v14, 28, v59
	v_sub_nc_u32_e32 v59, 29, v59
	s_delay_alu instid0(VALU_DEP_2) | instskip(NEXT) | instid1(VALU_DEP_1)
	v_lshlrev_b64 v[14:15], v14, v[8:9]
	v_and_b32_e32 v14, 7, v14
; %bb.3202:                             ;   in Loop: Header=BB268_1574 Depth=1
	s_or_b32 exec_lo, exec_lo, s17
	v_lshlrev_b32_e32 v8, 24, v60
	s_delay_alu instid0(VALU_DEP_2) | instskip(SKIP_1) | instid1(VALU_DEP_3)
	v_lshlrev_b32_e32 v14, 20, v14
	v_lshl_add_u32 v15, v59, 23, 0x3c000000
	v_and_b32_e32 v8, 0x80000000, v8
	s_delay_alu instid0(VALU_DEP_1)
	v_or3_b32 v15, v14, v8, v15
	v_mov_b32_e32 v14, v9
.LBB268_3203:                           ;   in Loop: Header=BB268_1574 Depth=1
	s_or_b32 exec_lo, exec_lo, s10
.LBB268_3204:                           ;   in Loop: Header=BB268_1574 Depth=1
	s_delay_alu instid0(SALU_CYCLE_1)
	s_or_b32 exec_lo, exec_lo, s16
.LBB268_3205:                           ;   in Loop: Header=BB268_1574 Depth=1
	s_delay_alu instid0(SALU_CYCLE_1) | instskip(SKIP_4) | instid1(VALU_DEP_4)
	s_or_b32 exec_lo, exec_lo, s15
	v_or_b32_e32 v5, v5, v13
	v_or_b32_e32 v4, v4, v12
	;; [unrolled: 1-line block ×4, first 2 shown]
	v_mul_f32_e32 v12, v167, v5
	s_delay_alu instid0(VALU_DEP_4) | instskip(NEXT) | instid1(VALU_DEP_4)
	v_mul_f32_e32 v8, v167, v4
	v_mul_f32_e32 v4, v167, v13
	s_delay_alu instid0(VALU_DEP_4)
	v_mul_f32_e32 v5, v167, v14
	s_and_saveexec_b32 s0, vcc_lo
	s_cbranch_execz .LBB268_1572
; %bb.3206:                             ;   in Loop: Header=BB268_1574 Depth=1
	v_cmp_lt_i32_e32 vcc_lo, v180, v35
	v_cndmask_b32_e32 v8, 0, v8, vcc_lo
	v_cmp_lt_i32_e32 vcc_lo, v183, v35
	v_cndmask_b32_e32 v12, 0, v12, vcc_lo
	;; [unrolled: 2-line block ×4, first 2 shown]
	s_branch .LBB268_1572
.LBB268_3207:
	s_or_b32 exec_lo, exec_lo, s12
	s_clause 0x1f
	scratch_load_b32 v98, off, s32 offset:1120
	scratch_load_b32 v82, off, s32 offset:1128
	;; [unrolled: 1-line block ×32, first 2 shown]
	s_clause 0xd
	scratch_load_b32 v101, off, s32 offset:792
	scratch_load_b32 v36, off, s32 offset:800
	;; [unrolled: 1-line block ×14, first 2 shown]
.LBB268_3208:
	s_or_b32 exec_lo, exec_lo, s7
	s_waitcnt vmcnt(43)
	ds_bpermute_b32 v0, v69, v13
	ds_bpermute_b32 v2, v69, v7
	s_waitcnt vmcnt(0)
	ds_bpermute_b32 v1, v69, v28
	ds_bpermute_b32 v3, v69, v6
	v_dual_mov_b32 v25, v6 :: v_dual_mov_b32 v26, v7
	ds_bpermute_b32 v7, v69, v15
	ds_bpermute_b32 v4, v69, v24
	;; [unrolled: 1-line block ×4, first 2 shown]
	v_mov_b32_e32 v27, v13
	ds_bpermute_b32 v6, v69, v22
	ds_bpermute_b32 v9, v69, v21
	ds_bpermute_b32 v10, v69, v20
	ds_bpermute_b32 v11, v69, v19
	ds_bpermute_b32 v12, v69, v29
	ds_bpermute_b32 v13, v69, v17
	v_mov_b32_e32 v65, v16
	ds_bpermute_b32 v14, v69, v16
	s_waitcnt lgkmcnt(0)
	s_waitcnt_vscnt null, 0x0
	v_mov_b32_e32 v66, v17
	v_add_f32_e32 v2, v26, v2
	v_dual_add_f32 v0, v27, v0 :: v_dual_add_f32 v1, v28, v1
	v_add_f32_e32 v3, v25, v3
	ds_bpermute_b32 v27, v69, v51
	v_add_f32_e32 v7, v15, v7
	ds_bpermute_b32 v15, v82, v0
	ds_bpermute_b32 v17, v82, v2
	v_add_f32_e32 v4, v24, v4
	v_add_f32_e32 v8, v18, v8
	ds_bpermute_b32 v18, v82, v3
	v_dual_add_f32 v5, v23, v5 :: v_dual_add_f32 v6, v22, v6
	ds_bpermute_b32 v16, v82, v1
	v_dual_add_f32 v9, v21, v9 :: v_dual_add_f32 v10, v20, v10
	v_dual_add_f32 v11, v19, v11 :: v_dual_add_f32 v12, v29, v12
	ds_bpermute_b32 v19, v82, v4
	ds_bpermute_b32 v20, v82, v5
	ds_bpermute_b32 v21, v82, v6
	ds_bpermute_b32 v23, v82, v8
	ds_bpermute_b32 v29, v69, v36
	ds_bpermute_b32 v24, v82, v9
	ds_bpermute_b32 v25, v82, v10
	ds_bpermute_b32 v28, v69, v31
	s_waitcnt lgkmcnt(11)
	v_add_f32_e32 v0, v0, v15
	s_waitcnt lgkmcnt(10)
	v_add_f32_e32 v2, v2, v17
	ds_bpermute_b32 v15, v82, v12
	ds_bpermute_b32 v22, v82, v7
	s_waitcnt lgkmcnt(11)
	v_add_f32_e32 v3, v3, v18
	ds_bpermute_b32 v26, v82, v11
	ds_bpermute_b32 v18, v98, v2
	s_waitcnt lgkmcnt(12)
	v_add_f32_e32 v1, v1, v16
	ds_bpermute_b32 v16, v98, v0
	v_add_f32_e32 v14, v65, v14
	ds_bpermute_b32 v65, v69, v68
	s_waitcnt lgkmcnt(0)
	s_barrier
	v_dual_add_f32 v4, v4, v19 :: v_dual_add_f32 v5, v5, v20
	v_add_f32_e32 v6, v6, v21
	ds_bpermute_b32 v17, v98, v1
	v_dual_add_f32 v8, v8, v23 :: v_dual_add_f32 v9, v9, v24
	ds_bpermute_b32 v21, v98, v5
	v_add_f32_e32 v13, v66, v13
	ds_bpermute_b32 v19, v98, v3
	v_add_f32_e32 v29, v36, v29
	v_add_f32_e32 v12, v12, v15
	;; [unrolled: 1-line block ×3, first 2 shown]
	ds_bpermute_b32 v27, v82, v14
	ds_bpermute_b32 v24, v98, v8
	v_add_f32_e32 v2, v2, v18
	ds_bpermute_b32 v18, v82, v13
	v_dual_add_f32 v10, v10, v25 :: v_dual_add_f32 v11, v11, v26
	v_add_f32_e32 v0, v0, v16
	v_add_f32_e32 v16, v31, v28
	;; [unrolled: 1-line block ×3, first 2 shown]
	ds_bpermute_b32 v26, v98, v10
	ds_bpermute_b32 v28, v82, v15
	;; [unrolled: 1-line block ×5, first 2 shown]
	s_waitcnt lgkmcnt(9)
	v_add_f32_e32 v5, v5, v21
	ds_bpermute_b32 v31, v82, v16
	ds_bpermute_b32 v25, v98, v9
	;; [unrolled: 1-line block ×3, first 2 shown]
	v_add_f32_e32 v1, v1, v17
	ds_bpermute_b32 v17, v98, v12
	s_waitcnt lgkmcnt(12)
	v_add_f32_e32 v3, v3, v19
	ds_bpermute_b32 v19, v82, v29
	ds_bpermute_b32 v21, v69, v34
	s_waitcnt lgkmcnt(11)
	v_dual_add_f32 v13, v13, v18 :: v_dual_add_f32 v14, v14, v27
	v_add_f32_e32 v8, v8, v24
	ds_bpermute_b32 v27, v69, v50
	ds_bpermute_b32 v66, v69, v67
	;; [unrolled: 1-line block ×4, first 2 shown]
	s_waitcnt lgkmcnt(13)
	v_dual_add_f32 v10, v10, v26 :: v_dual_add_f32 v15, v15, v28
	s_waitcnt lgkmcnt(12)
	v_add_f32_e32 v4, v4, v20
	s_waitcnt lgkmcnt(10)
	v_dual_add_f32 v6, v6, v22 :: v_dual_add_f32 v7, v7, v23
	s_waitcnt lgkmcnt(8)
	v_dual_add_f32 v16, v16, v31 :: v_dual_add_f32 v9, v9, v25
	s_waitcnt lgkmcnt(7)
	v_add_f32_e32 v11, v11, v30
	ds_bpermute_b32 v20, v69, v101
	s_waitcnt lgkmcnt(7)
	v_add_f32_e32 v12, v12, v17
	ds_bpermute_b32 v22, v69, v33
	ds_bpermute_b32 v23, v69, v32
	;; [unrolled: 1-line block ×4, first 2 shown]
	s_waitcnt lgkmcnt(10)
	v_add_f32_e32 v19, v29, v19
	ds_bpermute_b32 v28, v69, v49
	ds_bpermute_b32 v29, v69, v48
	s_waitcnt lgkmcnt(11)
	v_add_f32_e32 v21, v34, v21
	ds_bpermute_b32 v26, v98, v16
	s_waitcnt lgkmcnt(8)
	v_add_f32_e32 v14, v14, v24
	ds_bpermute_b32 v31, v98, v19
	v_dual_add_f32 v13, v13, v18 :: v_dual_add_f32 v24, v50, v27
	ds_bpermute_b32 v30, v69, v39
	ds_bpermute_b32 v34, v82, v21
	s_waitcnt lgkmcnt(0)
	buffer_gl0_inv
	s_load_b32 s0, s[2:3], 0x0
	v_cmp_eq_u32_e32 vcc_lo, 0, v99
	v_add_f32_e32 v20, v101, v20
	s_mov_b32 s2, exec_lo
	v_dual_add_f32 v22, v33, v22 :: v_dual_add_f32 v23, v32, v23
	ds_bpermute_b32 v32, v69, v38
	v_add_f32_e32 v15, v15, v25
	v_add_f32_e32 v37, v37, v17
	;; [unrolled: 1-line block ×3, first 2 shown]
	ds_bpermute_b32 v33, v82, v20
	ds_bpermute_b32 v35, v82, v22
	v_add_f32_e32 v16, v16, v26
	v_add_f32_e32 v26, v48, v29
	ds_bpermute_b32 v36, v82, v23
	ds_bpermute_b32 v18, v82, v37
	;; [unrolled: 1-line block ×3, first 2 shown]
	v_add_f32_e32 v27, v39, v30
	ds_bpermute_b32 v29, v82, v26
	v_add_f32_e32 v17, v19, v31
	ds_bpermute_b32 v19, v82, v24
	;; [unrolled: 2-line block ×3, first 2 shown]
	s_waitcnt lgkmcnt(0)
	v_dual_add_f32 v31, v38, v32 :: v_dual_add_f32 v20, v20, v33
	ds_bpermute_b32 v33, v69, v55
	ds_bpermute_b32 v30, v82, v27
	v_add_f32_e32 v22, v22, v35
	ds_bpermute_b32 v35, v69, v53
	v_add_f32_e32 v23, v23, v36
	;; [unrolled: 2-line block ×3, first 2 shown]
	ds_bpermute_b32 v18, v69, v64
	ds_bpermute_b32 v38, v98, v20
	v_add_f32_e32 v24, v24, v19
	ds_bpermute_b32 v32, v82, v31
	ds_bpermute_b32 v48, v98, v22
	v_add_f32_e32 v25, v25, v28
	ds_bpermute_b32 v39, v98, v21
	v_add_f32_e32 v26, v26, v29
	ds_bpermute_b32 v29, v98, v24
	ds_bpermute_b32 v50, v98, v26
	s_waitcnt lgkmcnt(9)
	v_add_f32_e32 v27, v27, v30
	s_waitcnt lgkmcnt(6)
	v_add_f32_e32 v64, v64, v18
	ds_bpermute_b32 v30, v98, v25
	s_waitcnt lgkmcnt(5)
	v_dual_add_f32 v18, v20, v38 :: v_dual_add_f32 v31, v31, v32
	v_add_f32_e32 v32, v55, v33
	ds_bpermute_b32 v28, v98, v37
	v_dual_add_f32 v33, v54, v34 :: v_dual_add_f32 v34, v53, v35
	ds_bpermute_b32 v49, v98, v23
	v_add_f32_e32 v35, v52, v36
	ds_bpermute_b32 v52, v82, v32
	ds_bpermute_b32 v36, v98, v31
	s_waitcnt lgkmcnt(8)
	v_add_f32_e32 v20, v22, v48
	ds_bpermute_b32 v51, v98, v27
	ds_bpermute_b32 v54, v82, v34
	s_waitcnt lgkmcnt(9)
	v_add_f32_e32 v19, v21, v39
	ds_bpermute_b32 v39, v69, v100
	ds_bpermute_b32 v38, v82, v64
	;; [unrolled: 1-line block ×3, first 2 shown]
	s_waitcnt lgkmcnt(8)
	v_add_f32_e32 v22, v37, v28
	ds_bpermute_b32 v53, v82, v33
	s_waitcnt lgkmcnt(8)
	v_add_f32_e32 v21, v23, v49
	ds_bpermute_b32 v49, v69, v96
	s_waitcnt lgkmcnt(8)
	v_add_f32_e32 v28, v32, v52
	v_dual_add_f32 v23, v24, v29 :: v_dual_add_f32 v24, v25, v30
	ds_bpermute_b32 v55, v82, v35
	s_waitcnt lgkmcnt(7)
	v_dual_add_f32 v25, v26, v50 :: v_dual_add_f32 v26, v27, v51
	v_add_f32_e32 v27, v31, v36
	ds_bpermute_b32 v31, v98, v28
	s_waitcnt lgkmcnt(6)
	v_dual_add_f32 v30, v34, v54 :: v_dual_add_f32 v37, v100, v39
	s_waitcnt lgkmcnt(5)
	v_add_f32_e32 v36, v64, v38
	s_waitcnt lgkmcnt(4)
	v_add_f32_e32 v38, v97, v48
	v_add_f32_e32 v48, v68, v65
	ds_bpermute_b32 v34, v98, v30
	ds_bpermute_b32 v50, v82, v37
	;; [unrolled: 1-line block ×3, first 2 shown]
	s_waitcnt lgkmcnt(6)
	v_add_f32_e32 v29, v33, v53
	ds_bpermute_b32 v51, v82, v38
	ds_bpermute_b32 v65, v69, v85
	s_waitcnt lgkmcnt(7)
	v_add_f32_e32 v39, v96, v49
	v_add_f32_e32 v49, v67, v66
	ds_bpermute_b32 v33, v98, v29
	ds_bpermute_b32 v53, v82, v48
	s_waitcnt lgkmcnt(8)
	v_add_f32_e32 v32, v35, v55
	ds_bpermute_b32 v55, v69, v87
	ds_bpermute_b32 v67, v69, v83
	ds_bpermute_b32 v66, v69, v84
	s_waitcnt lgkmcnt(10)
	v_add_f32_e32 v28, v28, v31
	ds_bpermute_b32 v54, v82, v49
	;; [unrolled: 5-line block ×3, first 2 shown]
	s_waitcnt lgkmcnt(12)
	v_add_f32_e32 v37, v37, v50
	ds_bpermute_b32 v34, v69, v80
	s_waitcnt lgkmcnt(11)
	v_add_f32_e32 v38, v38, v51
	v_add_f32_e32 v51, v86, v64
	s_waitcnt lgkmcnt(9)
	v_add_f32_e32 v29, v29, v33
	ds_bpermute_b32 v33, v69, v81
	s_waitcnt lgkmcnt(9)
	v_add_f32_e32 v48, v48, v53
	s_waitcnt lgkmcnt(6)
	v_dual_add_f32 v50, v87, v55 :: v_dual_add_f32 v53, v84, v66
	ds_bpermute_b32 v84, v98, v38
	s_waitcnt lgkmcnt(6)
	v_add_f32_e32 v49, v49, v54
	ds_bpermute_b32 v55, v82, v50
	s_waitcnt lgkmcnt(6)
	v_add_f32_e32 v31, v32, v35
	ds_bpermute_b32 v35, v69, v71
	ds_bpermute_b32 v69, v69, v72
	v_add_f32_e32 v54, v83, v67
	s_waitcnt lgkmcnt(6)
	v_dual_add_f32 v39, v39, v52 :: v_dual_add_f32 v52, v85, v65
	s_waitcnt lgkmcnt(5)
	v_add_f32_e32 v34, v80, v34
	ds_bpermute_b32 v64, v82, v51
	ds_bpermute_b32 v67, v82, v54
	v_add_f32_e32 v68, v70, v68
	ds_bpermute_b32 v65, v82, v52
	ds_bpermute_b32 v32, v98, v36
	s_waitcnt lgkmcnt(8)
	v_add_f32_e32 v33, v81, v33
	ds_bpermute_b32 v66, v82, v53
	ds_bpermute_b32 v81, v82, v68
	;; [unrolled: 1-line block ×6, first 2 shown]
	s_waitcnt lgkmcnt(12)
	v_add_f32_e32 v50, v50, v55
	ds_bpermute_b32 v70, v82, v33
	s_waitcnt lgkmcnt(12)
	v_add_f32_e32 v35, v71, v35
	s_waitcnt lgkmcnt(11)
	v_add_f32_e32 v69, v72, v69
	ds_bpermute_b32 v71, v82, v34
	ds_bpermute_b32 v55, v98, v50
	s_waitcnt lgkmcnt(11)
	v_dual_add_f32 v51, v51, v64 :: v_dual_add_f32 v54, v54, v67
	s_waitcnt lgkmcnt(10)
	v_add_f32_e32 v52, v52, v65
	ds_bpermute_b32 v80, v82, v35
	ds_bpermute_b32 v82, v82, v69
	s_waitcnt lgkmcnt(10)
	v_dual_add_f32 v53, v53, v66 :: v_dual_add_f32 v32, v36, v32
	ds_bpermute_b32 v65, v98, v52
	s_waitcnt lgkmcnt(10)
	v_add_f32_e32 v68, v68, v81
	s_waitcnt lgkmcnt(7)
	v_add_f32_e32 v36, v48, v86
	ds_bpermute_b32 v67, v98, v54
	s_waitcnt lgkmcnt(6)
	v_add_f32_e32 v70, v33, v70
	ds_bpermute_b32 v64, v98, v51
	v_add_f32_e32 v33, v37, v83
	s_waitcnt lgkmcnt(6)
	v_add_f32_e32 v71, v34, v71
	v_dual_add_f32 v34, v38, v84 :: v_dual_add_f32 v37, v49, v87
	s_waitcnt lgkmcnt(5)
	v_add_f32_e32 v38, v50, v55
	scratch_load_b32 v55, off, s32 offset:1376 ; 4-byte Folded Reload
	ds_bpermute_b32 v81, v98, v70
	ds_bpermute_b32 v97, v98, v68
	s_waitcnt lgkmcnt(5)
	v_dual_add_f32 v80, v35, v80 :: v_dual_add_f32 v69, v69, v82
	v_add_f32_e32 v35, v39, v85
	ds_bpermute_b32 v66, v98, v53
	s_waitcnt lgkmcnt(5)
	v_add_f32_e32 v48, v52, v65
	scratch_load_b32 v65, off, s32 offset:2184 ; 4-byte Folded Reload
	ds_bpermute_b32 v82, v98, v71
	ds_bpermute_b32 v96, v98, v80
	;; [unrolled: 1-line block ×3, first 2 shown]
	s_waitcnt lgkmcnt(6)
	v_dual_add_f32 v50, v54, v67 :: v_dual_add_f32 v39, v51, v64
	scratch_load_b32 v64, off, s32 offset:1372 ; 4-byte Folded Reload
	s_waitcnt lgkmcnt(5)
	v_add_f32_e32 v51, v70, v81
	s_waitcnt lgkmcnt(3)
	v_dual_add_f32 v54, v68, v97 :: v_dual_add_f32 v49, v53, v66
	s_waitcnt lgkmcnt(1)
	v_dual_add_f32 v52, v71, v82 :: v_dual_add_f32 v53, v80, v96
	s_waitcnt vmcnt(2) lgkmcnt(0)
	v_dual_add_f32 v55, v69, v98 :: v_dual_and_b32 v66, 0x3c0, v55
	s_waitcnt vmcnt(1)
	v_mad_u32_u24 v65, 0x300, v65, s0
	s_waitcnt vmcnt(0)
	v_lshrrev_b32_e32 v64, 3, v64
	v_cmpx_eq_u32_e32 64, v66
	s_cbranch_execz .LBB268_3211
; %bb.3209:
	s_and_b32 exec_lo, exec_lo, vcc_lo
	s_cbranch_execz .LBB268_3211
; %bb.3210:
	v_lshlrev_b32_e32 v66, 2, v64
	s_delay_alu instid0(VALU_DEP_1)
	v_add3_u32 v66, v65, v66, 0xfffffa00
	ds_store_2addr_b32 v66, v0, v1 offset1:4
	ds_store_2addr_b32 v66, v2, v3 offset0:8 offset1:12
	ds_store_2addr_b32 v66, v4, v5 offset0:16 offset1:20
	;; [unrolled: 1-line block ×23, first 2 shown]
.LBB268_3211:
	s_or_b32 exec_lo, exec_lo, s2
	scratch_load_b32 v66, off, s32 offset:1376 ; 4-byte Folded Reload
	s_mov_b32 s2, exec_lo
	s_waitcnt vmcnt(0) lgkmcnt(0)
	s_barrier
	buffer_gl0_inv
	v_cmpx_gt_u32_e32 64, v66
	s_cbranch_execz .LBB268_3262
; %bb.3212:
	s_and_saveexec_b32 s0, vcc_lo
	s_cbranch_execnz .LBB268_3320
; %bb.3213:
	s_or_b32 exec_lo, exec_lo, s0
	s_and_saveexec_b32 s0, vcc_lo
	s_cbranch_execnz .LBB268_3321
.LBB268_3214:
	s_or_b32 exec_lo, exec_lo, s0
	s_and_saveexec_b32 s0, vcc_lo
	s_cbranch_execnz .LBB268_3322
.LBB268_3215:
	s_or_b32 exec_lo, exec_lo, s0
	s_and_saveexec_b32 s0, vcc_lo
	s_cbranch_execnz .LBB268_3323
.LBB268_3216:
	s_or_b32 exec_lo, exec_lo, s0
	s_and_saveexec_b32 s0, vcc_lo
	s_cbranch_execnz .LBB268_3324
.LBB268_3217:
	s_or_b32 exec_lo, exec_lo, s0
	s_and_saveexec_b32 s0, vcc_lo
	s_cbranch_execnz .LBB268_3325
.LBB268_3218:
	s_or_b32 exec_lo, exec_lo, s0
	s_and_saveexec_b32 s0, vcc_lo
	s_cbranch_execnz .LBB268_3326
.LBB268_3219:
	s_or_b32 exec_lo, exec_lo, s0
	s_and_saveexec_b32 s0, vcc_lo
	s_cbranch_execnz .LBB268_3327
.LBB268_3220:
	s_or_b32 exec_lo, exec_lo, s0
	s_and_saveexec_b32 s0, vcc_lo
	s_cbranch_execnz .LBB268_3328
.LBB268_3221:
	s_or_b32 exec_lo, exec_lo, s0
	s_and_saveexec_b32 s0, vcc_lo
	s_cbranch_execnz .LBB268_3329
.LBB268_3222:
	s_or_b32 exec_lo, exec_lo, s0
	s_and_saveexec_b32 s0, vcc_lo
	s_cbranch_execnz .LBB268_3330
.LBB268_3223:
	s_or_b32 exec_lo, exec_lo, s0
	s_and_saveexec_b32 s0, vcc_lo
	s_cbranch_execnz .LBB268_3331
.LBB268_3224:
	s_or_b32 exec_lo, exec_lo, s0
	s_and_saveexec_b32 s0, vcc_lo
	s_cbranch_execnz .LBB268_3332
.LBB268_3225:
	s_or_b32 exec_lo, exec_lo, s0
	s_and_saveexec_b32 s0, vcc_lo
	s_cbranch_execnz .LBB268_3333
.LBB268_3226:
	s_or_b32 exec_lo, exec_lo, s0
	s_and_saveexec_b32 s0, vcc_lo
	s_cbranch_execnz .LBB268_3334
.LBB268_3227:
	s_or_b32 exec_lo, exec_lo, s0
	s_and_saveexec_b32 s0, vcc_lo
	s_cbranch_execnz .LBB268_3335
.LBB268_3228:
	s_or_b32 exec_lo, exec_lo, s0
	s_and_saveexec_b32 s0, vcc_lo
	s_cbranch_execnz .LBB268_3336
.LBB268_3229:
	s_or_b32 exec_lo, exec_lo, s0
	s_and_saveexec_b32 s0, vcc_lo
	s_cbranch_execnz .LBB268_3337
.LBB268_3230:
	s_or_b32 exec_lo, exec_lo, s0
	s_and_saveexec_b32 s0, vcc_lo
	s_cbranch_execnz .LBB268_3338
.LBB268_3231:
	s_or_b32 exec_lo, exec_lo, s0
	s_and_saveexec_b32 s0, vcc_lo
	s_cbranch_execnz .LBB268_3339
.LBB268_3232:
	s_or_b32 exec_lo, exec_lo, s0
	s_and_saveexec_b32 s0, vcc_lo
	s_cbranch_execnz .LBB268_3340
.LBB268_3233:
	s_or_b32 exec_lo, exec_lo, s0
	s_and_saveexec_b32 s0, vcc_lo
	s_cbranch_execnz .LBB268_3341
.LBB268_3234:
	s_or_b32 exec_lo, exec_lo, s0
	s_and_saveexec_b32 s0, vcc_lo
	s_cbranch_execnz .LBB268_3342
.LBB268_3235:
	s_or_b32 exec_lo, exec_lo, s0
	s_and_saveexec_b32 s0, vcc_lo
	s_cbranch_execnz .LBB268_3343
.LBB268_3236:
	s_or_b32 exec_lo, exec_lo, s0
	s_and_saveexec_b32 s0, vcc_lo
	s_cbranch_execnz .LBB268_3344
.LBB268_3237:
	s_or_b32 exec_lo, exec_lo, s0
	s_and_saveexec_b32 s0, vcc_lo
	s_cbranch_execnz .LBB268_3345
.LBB268_3238:
	s_or_b32 exec_lo, exec_lo, s0
	s_and_saveexec_b32 s0, vcc_lo
	s_cbranch_execnz .LBB268_3346
.LBB268_3239:
	s_or_b32 exec_lo, exec_lo, s0
	s_and_saveexec_b32 s0, vcc_lo
	s_cbranch_execnz .LBB268_3347
.LBB268_3240:
	s_or_b32 exec_lo, exec_lo, s0
	s_and_saveexec_b32 s0, vcc_lo
	s_cbranch_execnz .LBB268_3348
.LBB268_3241:
	s_or_b32 exec_lo, exec_lo, s0
	s_and_saveexec_b32 s0, vcc_lo
	s_cbranch_execnz .LBB268_3349
.LBB268_3242:
	s_or_b32 exec_lo, exec_lo, s0
	s_and_saveexec_b32 s0, vcc_lo
	s_cbranch_execnz .LBB268_3350
.LBB268_3243:
	s_or_b32 exec_lo, exec_lo, s0
	s_and_saveexec_b32 s0, vcc_lo
	s_cbranch_execnz .LBB268_3351
.LBB268_3244:
	s_or_b32 exec_lo, exec_lo, s0
	s_and_saveexec_b32 s0, vcc_lo
	s_cbranch_execnz .LBB268_3352
.LBB268_3245:
	s_or_b32 exec_lo, exec_lo, s0
	s_and_saveexec_b32 s0, vcc_lo
	s_cbranch_execnz .LBB268_3353
.LBB268_3246:
	s_or_b32 exec_lo, exec_lo, s0
	s_and_saveexec_b32 s0, vcc_lo
	s_cbranch_execnz .LBB268_3354
.LBB268_3247:
	s_or_b32 exec_lo, exec_lo, s0
	s_and_saveexec_b32 s0, vcc_lo
	s_cbranch_execnz .LBB268_3355
.LBB268_3248:
	s_or_b32 exec_lo, exec_lo, s0
	s_and_saveexec_b32 s0, vcc_lo
	s_cbranch_execnz .LBB268_3356
.LBB268_3249:
	s_or_b32 exec_lo, exec_lo, s0
	s_and_saveexec_b32 s0, vcc_lo
	s_cbranch_execnz .LBB268_3357
.LBB268_3250:
	s_or_b32 exec_lo, exec_lo, s0
	s_and_saveexec_b32 s0, vcc_lo
	s_cbranch_execnz .LBB268_3358
.LBB268_3251:
	s_or_b32 exec_lo, exec_lo, s0
	s_and_saveexec_b32 s0, vcc_lo
	s_cbranch_execnz .LBB268_3359
.LBB268_3252:
	s_or_b32 exec_lo, exec_lo, s0
	s_and_saveexec_b32 s0, vcc_lo
	s_cbranch_execnz .LBB268_3360
.LBB268_3253:
	s_or_b32 exec_lo, exec_lo, s0
	s_and_saveexec_b32 s0, vcc_lo
	s_cbranch_execnz .LBB268_3361
.LBB268_3254:
	s_or_b32 exec_lo, exec_lo, s0
	s_and_saveexec_b32 s0, vcc_lo
	s_cbranch_execnz .LBB268_3362
.LBB268_3255:
	s_or_b32 exec_lo, exec_lo, s0
	s_and_saveexec_b32 s0, vcc_lo
	s_cbranch_execnz .LBB268_3363
.LBB268_3256:
	s_or_b32 exec_lo, exec_lo, s0
	s_and_saveexec_b32 s0, vcc_lo
	s_cbranch_execnz .LBB268_3364
.LBB268_3257:
	s_or_b32 exec_lo, exec_lo, s0
	s_and_saveexec_b32 s0, vcc_lo
	s_cbranch_execnz .LBB268_3365
.LBB268_3258:
	s_or_b32 exec_lo, exec_lo, s0
	s_and_saveexec_b32 s0, vcc_lo
	s_cbranch_execnz .LBB268_3366
.LBB268_3259:
	s_or_b32 exec_lo, exec_lo, s0
	s_and_saveexec_b32 s0, vcc_lo
	s_cbranch_execz .LBB268_3261
.LBB268_3260:
	v_lshl_add_u32 v66, v64, 2, v65
	ds_load_b32 v66, v66 offset:752
	s_waitcnt lgkmcnt(0)
	v_add_f32_e32 v55, v66, v55
.LBB268_3261:
	s_or_b32 exec_lo, exec_lo, s0
.LBB268_3262:
	s_delay_alu instid0(SALU_CYCLE_1)
	s_or_b32 exec_lo, exec_lo, s2
	scratch_load_b32 v66, off, s32 offset:1376 ; 4-byte Folded Reload
	s_mov_b32 s2, exec_lo
	s_waitcnt vmcnt(0)
	s_barrier
	buffer_gl0_inv
	v_and_b32_e32 v66, 0x3e0, v66
	s_delay_alu instid0(VALU_DEP_1)
	v_cmpx_eq_u32_e32 32, v66
	s_cbranch_execz .LBB268_3265
; %bb.3263:
	s_and_b32 exec_lo, exec_lo, vcc_lo
	s_cbranch_execz .LBB268_3265
; %bb.3264:
	v_lshlrev_b32_e32 v66, 2, v64
	s_delay_alu instid0(VALU_DEP_1)
	v_add3_u32 v66, v65, v66, 0xfffffd00
	ds_store_2addr_b32 v66, v0, v1 offset1:4
	ds_store_2addr_b32 v66, v2, v3 offset0:8 offset1:12
	ds_store_2addr_b32 v66, v4, v5 offset0:16 offset1:20
	;; [unrolled: 1-line block ×23, first 2 shown]
.LBB268_3265:
	s_or_b32 exec_lo, exec_lo, s2
	scratch_load_b32 v66, off, s32 offset:1376 ; 4-byte Folded Reload
	s_waitcnt vmcnt(0) lgkmcnt(0)
	s_barrier
	buffer_gl0_inv
	v_cmp_gt_u32_e64 s0, 32, v66
	s_delay_alu instid0(VALU_DEP_1)
	s_and_saveexec_b32 s2, s0
	s_cbranch_execz .LBB268_3316
; %bb.3266:
	v_lshl_add_u32 v64, v64, 2, v65
	s_and_saveexec_b32 s3, vcc_lo
	s_cbranch_execnz .LBB268_3367
; %bb.3267:
	s_or_b32 exec_lo, exec_lo, s3
	s_and_saveexec_b32 s3, vcc_lo
	s_cbranch_execnz .LBB268_3368
.LBB268_3268:
	s_or_b32 exec_lo, exec_lo, s3
	s_and_saveexec_b32 s3, vcc_lo
	s_cbranch_execnz .LBB268_3369
.LBB268_3269:
	s_or_b32 exec_lo, exec_lo, s3
	s_and_saveexec_b32 s3, vcc_lo
	s_cbranch_execnz .LBB268_3370
.LBB268_3270:
	s_or_b32 exec_lo, exec_lo, s3
	s_and_saveexec_b32 s3, vcc_lo
	s_cbranch_execnz .LBB268_3371
.LBB268_3271:
	s_or_b32 exec_lo, exec_lo, s3
	s_and_saveexec_b32 s3, vcc_lo
	s_cbranch_execnz .LBB268_3372
.LBB268_3272:
	s_or_b32 exec_lo, exec_lo, s3
	s_and_saveexec_b32 s3, vcc_lo
	s_cbranch_execnz .LBB268_3373
.LBB268_3273:
	s_or_b32 exec_lo, exec_lo, s3
	s_and_saveexec_b32 s3, vcc_lo
	s_cbranch_execnz .LBB268_3374
.LBB268_3274:
	s_or_b32 exec_lo, exec_lo, s3
	s_and_saveexec_b32 s3, vcc_lo
	s_cbranch_execnz .LBB268_3375
.LBB268_3275:
	s_or_b32 exec_lo, exec_lo, s3
	s_and_saveexec_b32 s3, vcc_lo
	s_cbranch_execnz .LBB268_3376
.LBB268_3276:
	s_or_b32 exec_lo, exec_lo, s3
	s_and_saveexec_b32 s3, vcc_lo
	s_cbranch_execnz .LBB268_3377
.LBB268_3277:
	s_or_b32 exec_lo, exec_lo, s3
	s_and_saveexec_b32 s3, vcc_lo
	s_cbranch_execnz .LBB268_3378
.LBB268_3278:
	s_or_b32 exec_lo, exec_lo, s3
	s_and_saveexec_b32 s3, vcc_lo
	s_cbranch_execnz .LBB268_3379
.LBB268_3279:
	s_or_b32 exec_lo, exec_lo, s3
	s_and_saveexec_b32 s3, vcc_lo
	s_cbranch_execnz .LBB268_3380
.LBB268_3280:
	s_or_b32 exec_lo, exec_lo, s3
	s_and_saveexec_b32 s3, vcc_lo
	s_cbranch_execnz .LBB268_3381
.LBB268_3281:
	s_or_b32 exec_lo, exec_lo, s3
	s_and_saveexec_b32 s3, vcc_lo
	s_cbranch_execnz .LBB268_3382
.LBB268_3282:
	s_or_b32 exec_lo, exec_lo, s3
	s_and_saveexec_b32 s3, vcc_lo
	s_cbranch_execnz .LBB268_3383
.LBB268_3283:
	s_or_b32 exec_lo, exec_lo, s3
	s_and_saveexec_b32 s3, vcc_lo
	s_cbranch_execnz .LBB268_3384
.LBB268_3284:
	s_or_b32 exec_lo, exec_lo, s3
	s_and_saveexec_b32 s3, vcc_lo
	s_cbranch_execnz .LBB268_3385
.LBB268_3285:
	s_or_b32 exec_lo, exec_lo, s3
	s_and_saveexec_b32 s3, vcc_lo
	s_cbranch_execnz .LBB268_3386
.LBB268_3286:
	s_or_b32 exec_lo, exec_lo, s3
	s_and_saveexec_b32 s3, vcc_lo
	s_cbranch_execnz .LBB268_3387
.LBB268_3287:
	s_or_b32 exec_lo, exec_lo, s3
	s_and_saveexec_b32 s3, vcc_lo
	s_cbranch_execnz .LBB268_3388
.LBB268_3288:
	s_or_b32 exec_lo, exec_lo, s3
	s_and_saveexec_b32 s3, vcc_lo
	s_cbranch_execnz .LBB268_3389
.LBB268_3289:
	s_or_b32 exec_lo, exec_lo, s3
	s_and_saveexec_b32 s3, vcc_lo
	s_cbranch_execnz .LBB268_3390
.LBB268_3290:
	s_or_b32 exec_lo, exec_lo, s3
	s_and_saveexec_b32 s3, vcc_lo
	s_cbranch_execnz .LBB268_3391
.LBB268_3291:
	s_or_b32 exec_lo, exec_lo, s3
	s_and_saveexec_b32 s3, vcc_lo
	s_cbranch_execnz .LBB268_3392
.LBB268_3292:
	s_or_b32 exec_lo, exec_lo, s3
	s_and_saveexec_b32 s3, vcc_lo
	s_cbranch_execnz .LBB268_3393
.LBB268_3293:
	s_or_b32 exec_lo, exec_lo, s3
	s_and_saveexec_b32 s3, vcc_lo
	s_cbranch_execnz .LBB268_3394
.LBB268_3294:
	s_or_b32 exec_lo, exec_lo, s3
	s_and_saveexec_b32 s3, vcc_lo
	s_cbranch_execnz .LBB268_3395
.LBB268_3295:
	s_or_b32 exec_lo, exec_lo, s3
	s_and_saveexec_b32 s3, vcc_lo
	s_cbranch_execnz .LBB268_3396
.LBB268_3296:
	s_or_b32 exec_lo, exec_lo, s3
	s_and_saveexec_b32 s3, vcc_lo
	s_cbranch_execnz .LBB268_3397
.LBB268_3297:
	s_or_b32 exec_lo, exec_lo, s3
	s_and_saveexec_b32 s3, vcc_lo
	s_cbranch_execnz .LBB268_3398
.LBB268_3298:
	s_or_b32 exec_lo, exec_lo, s3
	s_and_saveexec_b32 s3, vcc_lo
	s_cbranch_execnz .LBB268_3399
.LBB268_3299:
	s_or_b32 exec_lo, exec_lo, s3
	s_and_saveexec_b32 s3, vcc_lo
	s_cbranch_execnz .LBB268_3400
.LBB268_3300:
	s_or_b32 exec_lo, exec_lo, s3
	s_and_saveexec_b32 s3, vcc_lo
	s_cbranch_execnz .LBB268_3401
.LBB268_3301:
	s_or_b32 exec_lo, exec_lo, s3
	s_and_saveexec_b32 s3, vcc_lo
	s_cbranch_execnz .LBB268_3402
.LBB268_3302:
	s_or_b32 exec_lo, exec_lo, s3
	s_and_saveexec_b32 s3, vcc_lo
	s_cbranch_execnz .LBB268_3403
.LBB268_3303:
	s_or_b32 exec_lo, exec_lo, s3
	s_and_saveexec_b32 s3, vcc_lo
	s_cbranch_execnz .LBB268_3404
.LBB268_3304:
	s_or_b32 exec_lo, exec_lo, s3
	s_and_saveexec_b32 s3, vcc_lo
	s_cbranch_execnz .LBB268_3405
.LBB268_3305:
	s_or_b32 exec_lo, exec_lo, s3
	s_and_saveexec_b32 s3, vcc_lo
	s_cbranch_execnz .LBB268_3406
.LBB268_3306:
	s_or_b32 exec_lo, exec_lo, s3
	s_and_saveexec_b32 s3, vcc_lo
	s_cbranch_execnz .LBB268_3407
.LBB268_3307:
	s_or_b32 exec_lo, exec_lo, s3
	s_and_saveexec_b32 s3, vcc_lo
	s_cbranch_execnz .LBB268_3408
.LBB268_3308:
	s_or_b32 exec_lo, exec_lo, s3
	s_and_saveexec_b32 s3, vcc_lo
	s_cbranch_execnz .LBB268_3409
.LBB268_3309:
	s_or_b32 exec_lo, exec_lo, s3
	s_and_saveexec_b32 s3, vcc_lo
	s_cbranch_execnz .LBB268_3410
.LBB268_3310:
	s_or_b32 exec_lo, exec_lo, s3
	s_and_saveexec_b32 s3, vcc_lo
	s_cbranch_execnz .LBB268_3411
.LBB268_3311:
	s_or_b32 exec_lo, exec_lo, s3
	s_and_saveexec_b32 s3, vcc_lo
	s_cbranch_execnz .LBB268_3412
.LBB268_3312:
	s_or_b32 exec_lo, exec_lo, s3
	s_and_saveexec_b32 s3, vcc_lo
	s_cbranch_execnz .LBB268_3413
.LBB268_3313:
	s_or_b32 exec_lo, exec_lo, s3
	s_and_saveexec_b32 s3, vcc_lo
	s_cbranch_execz .LBB268_3315
.LBB268_3314:
	ds_load_b32 v64, v64 offset:752
	s_waitcnt lgkmcnt(0)
	v_add_f32_e32 v55, v64, v55
.LBB268_3315:
	s_or_b32 exec_lo, exec_lo, s3
.LBB268_3316:
	s_delay_alu instid0(SALU_CYCLE_1)
	s_or_b32 exec_lo, exec_lo, s2
	s_barrier
	buffer_gl0_inv
	s_and_b32 exec_lo, exec_lo, s0
	s_cbranch_execz .LBB268_3319
; %bb.3317:
	s_and_b32 exec_lo, exec_lo, vcc_lo
	s_cbranch_execz .LBB268_3319
; %bb.3318:
	s_clause 0x2
	scratch_load_b32 v64, off, s32 offset:1376
	scratch_load_b32 v66, off, s32 offset:2212
	scratch_load_b32 v65, off, s32 offset:2216
	s_mul_i32 s2, s1, s4
	s_mul_i32 s0, s6, s1
	;; [unrolled: 1-line block ×5, first 2 shown]
	s_ashr_i32 s1, s0, 31
	s_ashr_i32 s3, s2, 31
	;; [unrolled: 1-line block ×3, first 2 shown]
	s_lshl_b64 s[0:1], s[0:1], 2
	s_lshl_b64 s[2:3], s[2:3], 2
	;; [unrolled: 1-line block ×3, first 2 shown]
	s_add_u32 s0, s2, s0
	s_addc_u32 s1, s3, s1
	s_add_u32 s0, s0, s6
	s_addc_u32 s1, s1, s7
	s_waitcnt vmcnt(2)
	v_lshrrev_b32_e32 v64, 1, v64
	s_waitcnt vmcnt(0)
	v_add_co_u32 v65, vcc_lo, s0, v65
	v_add_co_ci_u32_e32 v66, vcc_lo, s1, v66, vcc_lo
	s_delay_alu instid0(VALU_DEP_3) | instskip(NEXT) | instid1(VALU_DEP_1)
	v_and_b32_e32 v64, 0x1fc, v64
	v_add_co_u32 v64, vcc_lo, v65, v64
	s_delay_alu instid0(VALU_DEP_3)
	v_add_co_ci_u32_e32 v65, vcc_lo, 0, v66, vcc_lo
	s_clause 0x1f
	flat_store_b32 v[64:65], v0
	flat_store_b32 v[64:65], v1 offset:16
	flat_store_b32 v[64:65], v2 offset:32
	;; [unrolled: 1-line block ×31, first 2 shown]
	s_clause 0xf
	flat_store_b32 v[64:65], v32 offset:512
	flat_store_b32 v[64:65], v33 offset:528
	;; [unrolled: 1-line block ×16, first 2 shown]
.LBB268_3319:
	s_or_b32 exec_lo, exec_lo, s5
	s_clause 0x1f
	scratch_load_b32 v191, off, s32 offset:8
	scratch_load_b32 v190, off, s32 offset:12
	;; [unrolled: 1-line block ×32, first 2 shown]
	s_clause 0x1f
	scratch_load_b32 v127, off, s32 offset:136
	scratch_load_b32 v126, off, s32 offset:140
	;; [unrolled: 1-line block ×32, first 2 shown]
	s_clause 0xf
	scratch_load_b32 v63, off, s32 offset:264
	scratch_load_b32 v62, off, s32 offset:268
	;; [unrolled: 1-line block ×16, first 2 shown]
	s_waitcnt vmcnt(0) lgkmcnt(0)
	s_setpc_b64 s[30:31]
.LBB268_3320:
	v_lshl_add_u32 v66, v64, 2, v65
	ds_load_b32 v66, v66
	s_waitcnt lgkmcnt(0)
	v_add_f32_e32 v0, v66, v0
	s_or_b32 exec_lo, exec_lo, s0
	s_and_saveexec_b32 s0, vcc_lo
	s_cbranch_execz .LBB268_3214
.LBB268_3321:
	v_lshl_add_u32 v66, v64, 2, v65
	ds_load_b32 v66, v66 offset:16
	s_waitcnt lgkmcnt(0)
	v_add_f32_e32 v1, v66, v1
	s_or_b32 exec_lo, exec_lo, s0
	s_and_saveexec_b32 s0, vcc_lo
	s_cbranch_execz .LBB268_3215
.LBB268_3322:
	v_lshl_add_u32 v66, v64, 2, v65
	ds_load_b32 v66, v66 offset:32
	s_waitcnt lgkmcnt(0)
	v_add_f32_e32 v2, v66, v2
	s_or_b32 exec_lo, exec_lo, s0
	s_and_saveexec_b32 s0, vcc_lo
	s_cbranch_execz .LBB268_3216
.LBB268_3323:
	v_lshl_add_u32 v66, v64, 2, v65
	ds_load_b32 v66, v66 offset:48
	s_waitcnt lgkmcnt(0)
	v_add_f32_e32 v3, v66, v3
	s_or_b32 exec_lo, exec_lo, s0
	s_and_saveexec_b32 s0, vcc_lo
	s_cbranch_execz .LBB268_3217
.LBB268_3324:
	v_lshl_add_u32 v66, v64, 2, v65
	ds_load_b32 v66, v66 offset:64
	s_waitcnt lgkmcnt(0)
	v_add_f32_e32 v4, v66, v4
	s_or_b32 exec_lo, exec_lo, s0
	s_and_saveexec_b32 s0, vcc_lo
	s_cbranch_execz .LBB268_3218
.LBB268_3325:
	v_lshl_add_u32 v66, v64, 2, v65
	ds_load_b32 v66, v66 offset:80
	s_waitcnt lgkmcnt(0)
	v_add_f32_e32 v5, v66, v5
	s_or_b32 exec_lo, exec_lo, s0
	s_and_saveexec_b32 s0, vcc_lo
	s_cbranch_execz .LBB268_3219
.LBB268_3326:
	v_lshl_add_u32 v66, v64, 2, v65
	ds_load_b32 v66, v66 offset:96
	s_waitcnt lgkmcnt(0)
	v_add_f32_e32 v6, v66, v6
	s_or_b32 exec_lo, exec_lo, s0
	s_and_saveexec_b32 s0, vcc_lo
	s_cbranch_execz .LBB268_3220
.LBB268_3327:
	v_lshl_add_u32 v66, v64, 2, v65
	ds_load_b32 v66, v66 offset:112
	s_waitcnt lgkmcnt(0)
	v_add_f32_e32 v7, v66, v7
	s_or_b32 exec_lo, exec_lo, s0
	s_and_saveexec_b32 s0, vcc_lo
	s_cbranch_execz .LBB268_3221
.LBB268_3328:
	v_lshl_add_u32 v66, v64, 2, v65
	ds_load_b32 v66, v66 offset:128
	s_waitcnt lgkmcnt(0)
	v_add_f32_e32 v8, v66, v8
	s_or_b32 exec_lo, exec_lo, s0
	s_and_saveexec_b32 s0, vcc_lo
	s_cbranch_execz .LBB268_3222
.LBB268_3329:
	v_lshl_add_u32 v66, v64, 2, v65
	ds_load_b32 v66, v66 offset:144
	s_waitcnt lgkmcnt(0)
	v_add_f32_e32 v9, v66, v9
	s_or_b32 exec_lo, exec_lo, s0
	s_and_saveexec_b32 s0, vcc_lo
	s_cbranch_execz .LBB268_3223
.LBB268_3330:
	v_lshl_add_u32 v66, v64, 2, v65
	ds_load_b32 v66, v66 offset:160
	s_waitcnt lgkmcnt(0)
	v_add_f32_e32 v10, v66, v10
	s_or_b32 exec_lo, exec_lo, s0
	s_and_saveexec_b32 s0, vcc_lo
	s_cbranch_execz .LBB268_3224
.LBB268_3331:
	v_lshl_add_u32 v66, v64, 2, v65
	ds_load_b32 v66, v66 offset:176
	s_waitcnt lgkmcnt(0)
	v_add_f32_e32 v11, v66, v11
	s_or_b32 exec_lo, exec_lo, s0
	s_and_saveexec_b32 s0, vcc_lo
	s_cbranch_execz .LBB268_3225
.LBB268_3332:
	v_lshl_add_u32 v66, v64, 2, v65
	ds_load_b32 v66, v66 offset:192
	s_waitcnt lgkmcnt(0)
	v_add_f32_e32 v12, v66, v12
	s_or_b32 exec_lo, exec_lo, s0
	s_and_saveexec_b32 s0, vcc_lo
	s_cbranch_execz .LBB268_3226
.LBB268_3333:
	v_lshl_add_u32 v66, v64, 2, v65
	ds_load_b32 v66, v66 offset:208
	s_waitcnt lgkmcnt(0)
	v_add_f32_e32 v13, v66, v13
	s_or_b32 exec_lo, exec_lo, s0
	s_and_saveexec_b32 s0, vcc_lo
	s_cbranch_execz .LBB268_3227
.LBB268_3334:
	v_lshl_add_u32 v66, v64, 2, v65
	ds_load_b32 v66, v66 offset:224
	s_waitcnt lgkmcnt(0)
	v_add_f32_e32 v14, v66, v14
	s_or_b32 exec_lo, exec_lo, s0
	s_and_saveexec_b32 s0, vcc_lo
	s_cbranch_execz .LBB268_3228
.LBB268_3335:
	v_lshl_add_u32 v66, v64, 2, v65
	ds_load_b32 v66, v66 offset:240
	s_waitcnt lgkmcnt(0)
	v_add_f32_e32 v15, v66, v15
	s_or_b32 exec_lo, exec_lo, s0
	s_and_saveexec_b32 s0, vcc_lo
	s_cbranch_execz .LBB268_3229
.LBB268_3336:
	v_lshl_add_u32 v66, v64, 2, v65
	ds_load_b32 v66, v66 offset:256
	s_waitcnt lgkmcnt(0)
	v_add_f32_e32 v16, v66, v16
	s_or_b32 exec_lo, exec_lo, s0
	s_and_saveexec_b32 s0, vcc_lo
	s_cbranch_execz .LBB268_3230
.LBB268_3337:
	v_lshl_add_u32 v66, v64, 2, v65
	ds_load_b32 v66, v66 offset:272
	s_waitcnt lgkmcnt(0)
	v_add_f32_e32 v17, v66, v17
	s_or_b32 exec_lo, exec_lo, s0
	s_and_saveexec_b32 s0, vcc_lo
	s_cbranch_execz .LBB268_3231
.LBB268_3338:
	v_lshl_add_u32 v66, v64, 2, v65
	ds_load_b32 v66, v66 offset:288
	s_waitcnt lgkmcnt(0)
	v_add_f32_e32 v18, v66, v18
	s_or_b32 exec_lo, exec_lo, s0
	s_and_saveexec_b32 s0, vcc_lo
	s_cbranch_execz .LBB268_3232
.LBB268_3339:
	v_lshl_add_u32 v66, v64, 2, v65
	ds_load_b32 v66, v66 offset:304
	s_waitcnt lgkmcnt(0)
	v_add_f32_e32 v19, v66, v19
	s_or_b32 exec_lo, exec_lo, s0
	s_and_saveexec_b32 s0, vcc_lo
	s_cbranch_execz .LBB268_3233
.LBB268_3340:
	v_lshl_add_u32 v66, v64, 2, v65
	ds_load_b32 v66, v66 offset:320
	s_waitcnt lgkmcnt(0)
	v_add_f32_e32 v20, v66, v20
	s_or_b32 exec_lo, exec_lo, s0
	s_and_saveexec_b32 s0, vcc_lo
	s_cbranch_execz .LBB268_3234
.LBB268_3341:
	v_lshl_add_u32 v66, v64, 2, v65
	ds_load_b32 v66, v66 offset:336
	s_waitcnt lgkmcnt(0)
	v_add_f32_e32 v21, v66, v21
	s_or_b32 exec_lo, exec_lo, s0
	s_and_saveexec_b32 s0, vcc_lo
	s_cbranch_execz .LBB268_3235
.LBB268_3342:
	v_lshl_add_u32 v66, v64, 2, v65
	ds_load_b32 v66, v66 offset:352
	s_waitcnt lgkmcnt(0)
	v_add_f32_e32 v22, v66, v22
	s_or_b32 exec_lo, exec_lo, s0
	s_and_saveexec_b32 s0, vcc_lo
	s_cbranch_execz .LBB268_3236
.LBB268_3343:
	v_lshl_add_u32 v66, v64, 2, v65
	ds_load_b32 v66, v66 offset:368
	s_waitcnt lgkmcnt(0)
	v_add_f32_e32 v23, v66, v23
	s_or_b32 exec_lo, exec_lo, s0
	s_and_saveexec_b32 s0, vcc_lo
	s_cbranch_execz .LBB268_3237
.LBB268_3344:
	v_lshl_add_u32 v66, v64, 2, v65
	ds_load_b32 v66, v66 offset:384
	s_waitcnt lgkmcnt(0)
	v_add_f32_e32 v24, v66, v24
	s_or_b32 exec_lo, exec_lo, s0
	s_and_saveexec_b32 s0, vcc_lo
	s_cbranch_execz .LBB268_3238
.LBB268_3345:
	v_lshl_add_u32 v66, v64, 2, v65
	ds_load_b32 v66, v66 offset:400
	s_waitcnt lgkmcnt(0)
	v_add_f32_e32 v25, v66, v25
	s_or_b32 exec_lo, exec_lo, s0
	s_and_saveexec_b32 s0, vcc_lo
	s_cbranch_execz .LBB268_3239
.LBB268_3346:
	v_lshl_add_u32 v66, v64, 2, v65
	ds_load_b32 v66, v66 offset:416
	s_waitcnt lgkmcnt(0)
	v_add_f32_e32 v26, v66, v26
	s_or_b32 exec_lo, exec_lo, s0
	s_and_saveexec_b32 s0, vcc_lo
	s_cbranch_execz .LBB268_3240
.LBB268_3347:
	v_lshl_add_u32 v66, v64, 2, v65
	ds_load_b32 v66, v66 offset:432
	s_waitcnt lgkmcnt(0)
	v_add_f32_e32 v27, v66, v27
	s_or_b32 exec_lo, exec_lo, s0
	s_and_saveexec_b32 s0, vcc_lo
	s_cbranch_execz .LBB268_3241
.LBB268_3348:
	v_lshl_add_u32 v66, v64, 2, v65
	ds_load_b32 v66, v66 offset:448
	s_waitcnt lgkmcnt(0)
	v_add_f32_e32 v28, v66, v28
	s_or_b32 exec_lo, exec_lo, s0
	s_and_saveexec_b32 s0, vcc_lo
	s_cbranch_execz .LBB268_3242
.LBB268_3349:
	v_lshl_add_u32 v66, v64, 2, v65
	ds_load_b32 v66, v66 offset:464
	s_waitcnt lgkmcnt(0)
	v_add_f32_e32 v29, v66, v29
	s_or_b32 exec_lo, exec_lo, s0
	s_and_saveexec_b32 s0, vcc_lo
	s_cbranch_execz .LBB268_3243
.LBB268_3350:
	v_lshl_add_u32 v66, v64, 2, v65
	ds_load_b32 v66, v66 offset:480
	s_waitcnt lgkmcnt(0)
	v_add_f32_e32 v30, v66, v30
	s_or_b32 exec_lo, exec_lo, s0
	s_and_saveexec_b32 s0, vcc_lo
	s_cbranch_execz .LBB268_3244
.LBB268_3351:
	v_lshl_add_u32 v66, v64, 2, v65
	ds_load_b32 v66, v66 offset:496
	s_waitcnt lgkmcnt(0)
	v_add_f32_e32 v31, v66, v31
	s_or_b32 exec_lo, exec_lo, s0
	s_and_saveexec_b32 s0, vcc_lo
	s_cbranch_execz .LBB268_3245
.LBB268_3352:
	v_lshl_add_u32 v66, v64, 2, v65
	ds_load_b32 v66, v66 offset:512
	s_waitcnt lgkmcnt(0)
	v_add_f32_e32 v32, v66, v32
	s_or_b32 exec_lo, exec_lo, s0
	s_and_saveexec_b32 s0, vcc_lo
	s_cbranch_execz .LBB268_3246
.LBB268_3353:
	v_lshl_add_u32 v66, v64, 2, v65
	ds_load_b32 v66, v66 offset:528
	s_waitcnt lgkmcnt(0)
	v_add_f32_e32 v33, v66, v33
	s_or_b32 exec_lo, exec_lo, s0
	s_and_saveexec_b32 s0, vcc_lo
	s_cbranch_execz .LBB268_3247
.LBB268_3354:
	v_lshl_add_u32 v66, v64, 2, v65
	ds_load_b32 v66, v66 offset:544
	s_waitcnt lgkmcnt(0)
	v_add_f32_e32 v34, v66, v34
	s_or_b32 exec_lo, exec_lo, s0
	s_and_saveexec_b32 s0, vcc_lo
	s_cbranch_execz .LBB268_3248
.LBB268_3355:
	v_lshl_add_u32 v66, v64, 2, v65
	ds_load_b32 v66, v66 offset:560
	s_waitcnt lgkmcnt(0)
	v_add_f32_e32 v35, v66, v35
	s_or_b32 exec_lo, exec_lo, s0
	s_and_saveexec_b32 s0, vcc_lo
	s_cbranch_execz .LBB268_3249
.LBB268_3356:
	v_lshl_add_u32 v66, v64, 2, v65
	ds_load_b32 v66, v66 offset:576
	s_waitcnt lgkmcnt(0)
	v_add_f32_e32 v36, v66, v36
	s_or_b32 exec_lo, exec_lo, s0
	s_and_saveexec_b32 s0, vcc_lo
	s_cbranch_execz .LBB268_3250
.LBB268_3357:
	v_lshl_add_u32 v66, v64, 2, v65
	ds_load_b32 v66, v66 offset:592
	s_waitcnt lgkmcnt(0)
	v_add_f32_e32 v37, v66, v37
	s_or_b32 exec_lo, exec_lo, s0
	s_and_saveexec_b32 s0, vcc_lo
	s_cbranch_execz .LBB268_3251
.LBB268_3358:
	v_lshl_add_u32 v66, v64, 2, v65
	ds_load_b32 v66, v66 offset:608
	s_waitcnt lgkmcnt(0)
	v_add_f32_e32 v38, v66, v38
	s_or_b32 exec_lo, exec_lo, s0
	s_and_saveexec_b32 s0, vcc_lo
	s_cbranch_execz .LBB268_3252
.LBB268_3359:
	v_lshl_add_u32 v66, v64, 2, v65
	ds_load_b32 v66, v66 offset:624
	s_waitcnt lgkmcnt(0)
	v_add_f32_e32 v39, v66, v39
	s_or_b32 exec_lo, exec_lo, s0
	s_and_saveexec_b32 s0, vcc_lo
	s_cbranch_execz .LBB268_3253
.LBB268_3360:
	v_lshl_add_u32 v66, v64, 2, v65
	ds_load_b32 v66, v66 offset:640
	s_waitcnt lgkmcnt(0)
	v_add_f32_e32 v48, v66, v48
	s_or_b32 exec_lo, exec_lo, s0
	s_and_saveexec_b32 s0, vcc_lo
	s_cbranch_execz .LBB268_3254
.LBB268_3361:
	v_lshl_add_u32 v66, v64, 2, v65
	ds_load_b32 v66, v66 offset:656
	s_waitcnt lgkmcnt(0)
	v_add_f32_e32 v49, v66, v49
	s_or_b32 exec_lo, exec_lo, s0
	s_and_saveexec_b32 s0, vcc_lo
	s_cbranch_execz .LBB268_3255
.LBB268_3362:
	v_lshl_add_u32 v66, v64, 2, v65
	ds_load_b32 v66, v66 offset:672
	s_waitcnt lgkmcnt(0)
	v_add_f32_e32 v50, v66, v50
	s_or_b32 exec_lo, exec_lo, s0
	s_and_saveexec_b32 s0, vcc_lo
	s_cbranch_execz .LBB268_3256
.LBB268_3363:
	v_lshl_add_u32 v66, v64, 2, v65
	ds_load_b32 v66, v66 offset:688
	s_waitcnt lgkmcnt(0)
	v_add_f32_e32 v51, v66, v51
	s_or_b32 exec_lo, exec_lo, s0
	s_and_saveexec_b32 s0, vcc_lo
	s_cbranch_execz .LBB268_3257
.LBB268_3364:
	v_lshl_add_u32 v66, v64, 2, v65
	ds_load_b32 v66, v66 offset:704
	s_waitcnt lgkmcnt(0)
	v_add_f32_e32 v52, v66, v52
	s_or_b32 exec_lo, exec_lo, s0
	s_and_saveexec_b32 s0, vcc_lo
	s_cbranch_execz .LBB268_3258
.LBB268_3365:
	v_lshl_add_u32 v66, v64, 2, v65
	ds_load_b32 v66, v66 offset:720
	s_waitcnt lgkmcnt(0)
	v_add_f32_e32 v53, v66, v53
	s_or_b32 exec_lo, exec_lo, s0
	s_and_saveexec_b32 s0, vcc_lo
	s_cbranch_execz .LBB268_3259
.LBB268_3366:
	v_lshl_add_u32 v66, v64, 2, v65
	ds_load_b32 v66, v66 offset:736
	s_waitcnt lgkmcnt(0)
	v_add_f32_e32 v54, v66, v54
	s_or_b32 exec_lo, exec_lo, s0
	s_and_saveexec_b32 s0, vcc_lo
	s_cbranch_execnz .LBB268_3260
	s_branch .LBB268_3261
.LBB268_3367:
	ds_load_b32 v65, v64
	s_waitcnt lgkmcnt(0)
	v_add_f32_e32 v0, v65, v0
	s_or_b32 exec_lo, exec_lo, s3
	s_and_saveexec_b32 s3, vcc_lo
	s_cbranch_execz .LBB268_3268
.LBB268_3368:
	ds_load_b32 v65, v64 offset:16
	s_waitcnt lgkmcnt(0)
	v_add_f32_e32 v1, v65, v1
	s_or_b32 exec_lo, exec_lo, s3
	s_and_saveexec_b32 s3, vcc_lo
	s_cbranch_execz .LBB268_3269
.LBB268_3369:
	ds_load_b32 v65, v64 offset:32
	s_waitcnt lgkmcnt(0)
	v_add_f32_e32 v2, v65, v2
	s_or_b32 exec_lo, exec_lo, s3
	s_and_saveexec_b32 s3, vcc_lo
	s_cbranch_execz .LBB268_3270
.LBB268_3370:
	ds_load_b32 v65, v64 offset:48
	s_waitcnt lgkmcnt(0)
	v_add_f32_e32 v3, v65, v3
	s_or_b32 exec_lo, exec_lo, s3
	s_and_saveexec_b32 s3, vcc_lo
	s_cbranch_execz .LBB268_3271
.LBB268_3371:
	ds_load_b32 v65, v64 offset:64
	s_waitcnt lgkmcnt(0)
	v_add_f32_e32 v4, v65, v4
	s_or_b32 exec_lo, exec_lo, s3
	s_and_saveexec_b32 s3, vcc_lo
	s_cbranch_execz .LBB268_3272
.LBB268_3372:
	ds_load_b32 v65, v64 offset:80
	s_waitcnt lgkmcnt(0)
	v_add_f32_e32 v5, v65, v5
	s_or_b32 exec_lo, exec_lo, s3
	s_and_saveexec_b32 s3, vcc_lo
	s_cbranch_execz .LBB268_3273
.LBB268_3373:
	ds_load_b32 v65, v64 offset:96
	s_waitcnt lgkmcnt(0)
	v_add_f32_e32 v6, v65, v6
	s_or_b32 exec_lo, exec_lo, s3
	s_and_saveexec_b32 s3, vcc_lo
	s_cbranch_execz .LBB268_3274
.LBB268_3374:
	ds_load_b32 v65, v64 offset:112
	s_waitcnt lgkmcnt(0)
	v_add_f32_e32 v7, v65, v7
	s_or_b32 exec_lo, exec_lo, s3
	s_and_saveexec_b32 s3, vcc_lo
	s_cbranch_execz .LBB268_3275
.LBB268_3375:
	ds_load_b32 v65, v64 offset:128
	s_waitcnt lgkmcnt(0)
	v_add_f32_e32 v8, v65, v8
	s_or_b32 exec_lo, exec_lo, s3
	s_and_saveexec_b32 s3, vcc_lo
	s_cbranch_execz .LBB268_3276
.LBB268_3376:
	ds_load_b32 v65, v64 offset:144
	s_waitcnt lgkmcnt(0)
	v_add_f32_e32 v9, v65, v9
	s_or_b32 exec_lo, exec_lo, s3
	s_and_saveexec_b32 s3, vcc_lo
	s_cbranch_execz .LBB268_3277
.LBB268_3377:
	ds_load_b32 v65, v64 offset:160
	s_waitcnt lgkmcnt(0)
	v_add_f32_e32 v10, v65, v10
	s_or_b32 exec_lo, exec_lo, s3
	s_and_saveexec_b32 s3, vcc_lo
	s_cbranch_execz .LBB268_3278
.LBB268_3378:
	ds_load_b32 v65, v64 offset:176
	s_waitcnt lgkmcnt(0)
	v_add_f32_e32 v11, v65, v11
	s_or_b32 exec_lo, exec_lo, s3
	s_and_saveexec_b32 s3, vcc_lo
	s_cbranch_execz .LBB268_3279
.LBB268_3379:
	ds_load_b32 v65, v64 offset:192
	s_waitcnt lgkmcnt(0)
	v_add_f32_e32 v12, v65, v12
	s_or_b32 exec_lo, exec_lo, s3
	s_and_saveexec_b32 s3, vcc_lo
	s_cbranch_execz .LBB268_3280
.LBB268_3380:
	ds_load_b32 v65, v64 offset:208
	s_waitcnt lgkmcnt(0)
	v_add_f32_e32 v13, v65, v13
	s_or_b32 exec_lo, exec_lo, s3
	s_and_saveexec_b32 s3, vcc_lo
	s_cbranch_execz .LBB268_3281
.LBB268_3381:
	ds_load_b32 v65, v64 offset:224
	s_waitcnt lgkmcnt(0)
	v_add_f32_e32 v14, v65, v14
	s_or_b32 exec_lo, exec_lo, s3
	s_and_saveexec_b32 s3, vcc_lo
	s_cbranch_execz .LBB268_3282
.LBB268_3382:
	ds_load_b32 v65, v64 offset:240
	s_waitcnt lgkmcnt(0)
	v_add_f32_e32 v15, v65, v15
	s_or_b32 exec_lo, exec_lo, s3
	s_and_saveexec_b32 s3, vcc_lo
	s_cbranch_execz .LBB268_3283
.LBB268_3383:
	ds_load_b32 v65, v64 offset:256
	s_waitcnt lgkmcnt(0)
	v_add_f32_e32 v16, v65, v16
	s_or_b32 exec_lo, exec_lo, s3
	s_and_saveexec_b32 s3, vcc_lo
	s_cbranch_execz .LBB268_3284
.LBB268_3384:
	ds_load_b32 v65, v64 offset:272
	s_waitcnt lgkmcnt(0)
	v_add_f32_e32 v17, v65, v17
	s_or_b32 exec_lo, exec_lo, s3
	s_and_saveexec_b32 s3, vcc_lo
	s_cbranch_execz .LBB268_3285
.LBB268_3385:
	ds_load_b32 v65, v64 offset:288
	s_waitcnt lgkmcnt(0)
	v_add_f32_e32 v18, v65, v18
	s_or_b32 exec_lo, exec_lo, s3
	s_and_saveexec_b32 s3, vcc_lo
	s_cbranch_execz .LBB268_3286
.LBB268_3386:
	ds_load_b32 v65, v64 offset:304
	s_waitcnt lgkmcnt(0)
	v_add_f32_e32 v19, v65, v19
	s_or_b32 exec_lo, exec_lo, s3
	s_and_saveexec_b32 s3, vcc_lo
	s_cbranch_execz .LBB268_3287
.LBB268_3387:
	ds_load_b32 v65, v64 offset:320
	s_waitcnt lgkmcnt(0)
	v_add_f32_e32 v20, v65, v20
	s_or_b32 exec_lo, exec_lo, s3
	s_and_saveexec_b32 s3, vcc_lo
	s_cbranch_execz .LBB268_3288
.LBB268_3388:
	ds_load_b32 v65, v64 offset:336
	s_waitcnt lgkmcnt(0)
	v_add_f32_e32 v21, v65, v21
	s_or_b32 exec_lo, exec_lo, s3
	s_and_saveexec_b32 s3, vcc_lo
	s_cbranch_execz .LBB268_3289
.LBB268_3389:
	ds_load_b32 v65, v64 offset:352
	s_waitcnt lgkmcnt(0)
	v_add_f32_e32 v22, v65, v22
	s_or_b32 exec_lo, exec_lo, s3
	s_and_saveexec_b32 s3, vcc_lo
	s_cbranch_execz .LBB268_3290
.LBB268_3390:
	ds_load_b32 v65, v64 offset:368
	s_waitcnt lgkmcnt(0)
	v_add_f32_e32 v23, v65, v23
	s_or_b32 exec_lo, exec_lo, s3
	s_and_saveexec_b32 s3, vcc_lo
	s_cbranch_execz .LBB268_3291
.LBB268_3391:
	ds_load_b32 v65, v64 offset:384
	s_waitcnt lgkmcnt(0)
	v_add_f32_e32 v24, v65, v24
	s_or_b32 exec_lo, exec_lo, s3
	s_and_saveexec_b32 s3, vcc_lo
	s_cbranch_execz .LBB268_3292
.LBB268_3392:
	ds_load_b32 v65, v64 offset:400
	s_waitcnt lgkmcnt(0)
	v_add_f32_e32 v25, v65, v25
	s_or_b32 exec_lo, exec_lo, s3
	s_and_saveexec_b32 s3, vcc_lo
	s_cbranch_execz .LBB268_3293
.LBB268_3393:
	ds_load_b32 v65, v64 offset:416
	s_waitcnt lgkmcnt(0)
	v_add_f32_e32 v26, v65, v26
	s_or_b32 exec_lo, exec_lo, s3
	s_and_saveexec_b32 s3, vcc_lo
	s_cbranch_execz .LBB268_3294
.LBB268_3394:
	ds_load_b32 v65, v64 offset:432
	s_waitcnt lgkmcnt(0)
	v_add_f32_e32 v27, v65, v27
	s_or_b32 exec_lo, exec_lo, s3
	s_and_saveexec_b32 s3, vcc_lo
	s_cbranch_execz .LBB268_3295
.LBB268_3395:
	ds_load_b32 v65, v64 offset:448
	s_waitcnt lgkmcnt(0)
	v_add_f32_e32 v28, v65, v28
	s_or_b32 exec_lo, exec_lo, s3
	s_and_saveexec_b32 s3, vcc_lo
	s_cbranch_execz .LBB268_3296
.LBB268_3396:
	ds_load_b32 v65, v64 offset:464
	s_waitcnt lgkmcnt(0)
	v_add_f32_e32 v29, v65, v29
	s_or_b32 exec_lo, exec_lo, s3
	s_and_saveexec_b32 s3, vcc_lo
	s_cbranch_execz .LBB268_3297
.LBB268_3397:
	ds_load_b32 v65, v64 offset:480
	s_waitcnt lgkmcnt(0)
	v_add_f32_e32 v30, v65, v30
	s_or_b32 exec_lo, exec_lo, s3
	s_and_saveexec_b32 s3, vcc_lo
	s_cbranch_execz .LBB268_3298
.LBB268_3398:
	ds_load_b32 v65, v64 offset:496
	s_waitcnt lgkmcnt(0)
	v_add_f32_e32 v31, v65, v31
	s_or_b32 exec_lo, exec_lo, s3
	s_and_saveexec_b32 s3, vcc_lo
	s_cbranch_execz .LBB268_3299
.LBB268_3399:
	ds_load_b32 v65, v64 offset:512
	s_waitcnt lgkmcnt(0)
	v_add_f32_e32 v32, v65, v32
	s_or_b32 exec_lo, exec_lo, s3
	s_and_saveexec_b32 s3, vcc_lo
	s_cbranch_execz .LBB268_3300
.LBB268_3400:
	ds_load_b32 v65, v64 offset:528
	s_waitcnt lgkmcnt(0)
	v_add_f32_e32 v33, v65, v33
	s_or_b32 exec_lo, exec_lo, s3
	s_and_saveexec_b32 s3, vcc_lo
	s_cbranch_execz .LBB268_3301
.LBB268_3401:
	ds_load_b32 v65, v64 offset:544
	s_waitcnt lgkmcnt(0)
	v_add_f32_e32 v34, v65, v34
	s_or_b32 exec_lo, exec_lo, s3
	s_and_saveexec_b32 s3, vcc_lo
	s_cbranch_execz .LBB268_3302
.LBB268_3402:
	ds_load_b32 v65, v64 offset:560
	s_waitcnt lgkmcnt(0)
	v_add_f32_e32 v35, v65, v35
	s_or_b32 exec_lo, exec_lo, s3
	s_and_saveexec_b32 s3, vcc_lo
	s_cbranch_execz .LBB268_3303
.LBB268_3403:
	ds_load_b32 v65, v64 offset:576
	s_waitcnt lgkmcnt(0)
	v_add_f32_e32 v36, v65, v36
	s_or_b32 exec_lo, exec_lo, s3
	s_and_saveexec_b32 s3, vcc_lo
	s_cbranch_execz .LBB268_3304
.LBB268_3404:
	ds_load_b32 v65, v64 offset:592
	s_waitcnt lgkmcnt(0)
	v_add_f32_e32 v37, v65, v37
	s_or_b32 exec_lo, exec_lo, s3
	s_and_saveexec_b32 s3, vcc_lo
	s_cbranch_execz .LBB268_3305
.LBB268_3405:
	ds_load_b32 v65, v64 offset:608
	s_waitcnt lgkmcnt(0)
	v_add_f32_e32 v38, v65, v38
	s_or_b32 exec_lo, exec_lo, s3
	s_and_saveexec_b32 s3, vcc_lo
	s_cbranch_execz .LBB268_3306
.LBB268_3406:
	ds_load_b32 v65, v64 offset:624
	s_waitcnt lgkmcnt(0)
	v_add_f32_e32 v39, v65, v39
	s_or_b32 exec_lo, exec_lo, s3
	s_and_saveexec_b32 s3, vcc_lo
	s_cbranch_execz .LBB268_3307
.LBB268_3407:
	ds_load_b32 v65, v64 offset:640
	s_waitcnt lgkmcnt(0)
	v_add_f32_e32 v48, v65, v48
	s_or_b32 exec_lo, exec_lo, s3
	s_and_saveexec_b32 s3, vcc_lo
	s_cbranch_execz .LBB268_3308
.LBB268_3408:
	ds_load_b32 v65, v64 offset:656
	s_waitcnt lgkmcnt(0)
	v_add_f32_e32 v49, v65, v49
	s_or_b32 exec_lo, exec_lo, s3
	s_and_saveexec_b32 s3, vcc_lo
	s_cbranch_execz .LBB268_3309
.LBB268_3409:
	ds_load_b32 v65, v64 offset:672
	s_waitcnt lgkmcnt(0)
	v_add_f32_e32 v50, v65, v50
	s_or_b32 exec_lo, exec_lo, s3
	s_and_saveexec_b32 s3, vcc_lo
	s_cbranch_execz .LBB268_3310
.LBB268_3410:
	ds_load_b32 v65, v64 offset:688
	s_waitcnt lgkmcnt(0)
	v_add_f32_e32 v51, v65, v51
	s_or_b32 exec_lo, exec_lo, s3
	s_and_saveexec_b32 s3, vcc_lo
	s_cbranch_execz .LBB268_3311
.LBB268_3411:
	ds_load_b32 v65, v64 offset:704
	s_waitcnt lgkmcnt(0)
	v_add_f32_e32 v52, v65, v52
	s_or_b32 exec_lo, exec_lo, s3
	s_and_saveexec_b32 s3, vcc_lo
	s_cbranch_execz .LBB268_3312
.LBB268_3412:
	ds_load_b32 v65, v64 offset:720
	s_waitcnt lgkmcnt(0)
	v_add_f32_e32 v53, v65, v53
	s_or_b32 exec_lo, exec_lo, s3
	s_and_saveexec_b32 s3, vcc_lo
	s_cbranch_execz .LBB268_3313
.LBB268_3413:
	ds_load_b32 v65, v64 offset:736
	s_waitcnt lgkmcnt(0)
	v_add_f32_e32 v54, v65, v54
	s_or_b32 exec_lo, exec_lo, s3
	s_and_saveexec_b32 s3, vcc_lo
	s_cbranch_execnz .LBB268_3314
	s_branch .LBB268_3315
.Lfunc_end268:
	.size	_ZN4vllm22paged_attention_kernelIfhLi192ELi32ELi128ELNS_18Fp8KVCacheDataTypeE1ELb1ELi512EEEvPfS2_PT_PKS3_PKT0_S9_ifPKiSB_iPKfiiiSD_SD_iiiii, .Lfunc_end268-_ZN4vllm22paged_attention_kernelIfhLi192ELi32ELi128ELNS_18Fp8KVCacheDataTypeE1ELb1ELi512EEEvPfS2_PT_PKS3_PKT0_S9_ifPKiSB_iPKfiiiSD_SD_iiiii
                                        ; -- End function
	.section	.AMDGPU.csdata,"",@progbits
; Function info:
; codeLenInByte = 122704
; NumSgprs: 35
; NumVgprs: 192
; ScratchSize: 2268
; MemoryBound: 0
	.section	.text._ZN4vllm25paged_attention_v2_kernelIfhLi192ELi32ELi128ELNS_18Fp8KVCacheDataTypeE1ELb1ELi512EEEvPfS2_PT_PKS3_PKT0_S9_ifPKiSB_iPKfiiiSD_SD_iiiii,"axG",@progbits,_ZN4vllm25paged_attention_v2_kernelIfhLi192ELi32ELi128ELNS_18Fp8KVCacheDataTypeE1ELb1ELi512EEEvPfS2_PT_PKS3_PKT0_S9_ifPKiSB_iPKfiiiSD_SD_iiiii,comdat
	.protected	_ZN4vllm25paged_attention_v2_kernelIfhLi192ELi32ELi128ELNS_18Fp8KVCacheDataTypeE1ELb1ELi512EEEvPfS2_PT_PKS3_PKT0_S9_ifPKiSB_iPKfiiiSD_SD_iiiii ; -- Begin function _ZN4vllm25paged_attention_v2_kernelIfhLi192ELi32ELi128ELNS_18Fp8KVCacheDataTypeE1ELb1ELi512EEEvPfS2_PT_PKS3_PKT0_S9_ifPKiSB_iPKfiiiSD_SD_iiiii
	.globl	_ZN4vllm25paged_attention_v2_kernelIfhLi192ELi32ELi128ELNS_18Fp8KVCacheDataTypeE1ELb1ELi512EEEvPfS2_PT_PKS3_PKT0_S9_ifPKiSB_iPKfiiiSD_SD_iiiii
	.p2align	8
	.type	_ZN4vllm25paged_attention_v2_kernelIfhLi192ELi32ELi128ELNS_18Fp8KVCacheDataTypeE1ELb1ELi512EEEvPfS2_PT_PKS3_PKT0_S9_ifPKiSB_iPKfiiiSD_SD_iiiii,@function
_ZN4vllm25paged_attention_v2_kernelIfhLi192ELi32ELi128ELNS_18Fp8KVCacheDataTypeE1ELb1ELi512EEEvPfS2_PT_PKS3_PKT0_S9_ifPKiSB_iPKfiiiSD_SD_iiiii: ; @_ZN4vllm25paged_attention_v2_kernelIfhLi192ELi32ELi128ELNS_18Fp8KVCacheDataTypeE1ELb1ELi512EEEvPfS2_PT_PKS3_PKT0_S9_ifPKiSB_iPKfiiiSD_SD_iiiii
; %bb.0:
	s_mov_b32 s12, s13
	s_clause 0x7
	s_load_b128 s[4:7], s[0:1], 0x78
	s_load_b32 s8, s[0:1], 0x88
	s_load_b256 s[24:31], s[0:1], 0x0
	s_load_b256 s[36:43], s[0:1], 0x20
	s_load_b64 s[2:3], s[0:1], 0x40
	s_load_b64 s[10:11], s[0:1], 0x50
	s_load_b32 s13, s[0:1], 0x48
	s_load_b256 s[16:23], s[0:1], 0x58
	s_mov_b32 s32, 0
	v_mov_b32_e32 v31, v0
	s_waitcnt lgkmcnt(0)
	v_dual_mov_b32 v1, s7 :: v_dual_mov_b32 v2, s8
	v_dual_mov_b32 v0, s24 :: v_dual_mov_b32 v3, s27
	;; [unrolled: 1-line block ×3, first 2 shown]
	v_mov_b32_e32 v6, s30
	scratch_store_b64 off, v[1:2], s32
	v_dual_mov_b32 v1, s25 :: v_dual_mov_b32 v2, s26
	v_dual_mov_b32 v7, s31 :: v_dual_mov_b32 v8, s36
	;; [unrolled: 1-line block ×13, first 2 shown]
	s_add_u32 s8, s0, 0x90
	s_addc_u32 s9, s1, 0
	s_mov_b32 s13, s14
	s_mov_b32 s14, s15
	s_movk_i32 s15, 0x46
	s_getpc_b64 s[0:1]
	s_add_u32 s0, s0, _ZN4vllm22paged_attention_kernelIfhLi192ELi32ELi128ELNS_18Fp8KVCacheDataTypeE1ELb1ELi512EEEvPfS2_PT_PKS3_PKT0_S9_ifPKiSB_iPKfiiiSD_SD_iiiii@rel32@lo+4
	s_addc_u32 s1, s1, _ZN4vllm22paged_attention_kernelIfhLi192ELi32ELi128ELNS_18Fp8KVCacheDataTypeE1ELb1ELi512EEEvPfS2_PT_PKS3_PKT0_S9_ifPKiSB_iPKfiiiSD_SD_iiiii@rel32@hi+12
	s_delay_alu instid0(SALU_CYCLE_1)
	s_swappc_b64 s[30:31], s[0:1]
	s_endpgm
	.section	.rodata,"a",@progbits
	.p2align	6, 0x0
	.amdhsa_kernel _ZN4vllm25paged_attention_v2_kernelIfhLi192ELi32ELi128ELNS_18Fp8KVCacheDataTypeE1ELb1ELi512EEEvPfS2_PT_PKS3_PKT0_S9_ifPKiSB_iPKfiiiSD_SD_iiiii
		.amdhsa_group_segment_fixed_size 800
		.amdhsa_private_segment_fixed_size 2268
		.amdhsa_kernarg_size 400
		.amdhsa_user_sgpr_count 13
		.amdhsa_user_sgpr_dispatch_ptr 0
		.amdhsa_user_sgpr_queue_ptr 0
		.amdhsa_user_sgpr_kernarg_segment_ptr 1
		.amdhsa_user_sgpr_dispatch_id 0
		.amdhsa_user_sgpr_private_segment_size 0
		.amdhsa_wavefront_size32 1
		.amdhsa_uses_dynamic_stack 0
		.amdhsa_enable_private_segment 1
		.amdhsa_system_sgpr_workgroup_id_x 1
		.amdhsa_system_sgpr_workgroup_id_y 1
		.amdhsa_system_sgpr_workgroup_id_z 1
		.amdhsa_system_sgpr_workgroup_info 0
		.amdhsa_system_vgpr_workitem_id 0
		.amdhsa_next_free_vgpr 192
		.amdhsa_next_free_sgpr 44
		.amdhsa_reserve_vcc 1
		.amdhsa_float_round_mode_32 0
		.amdhsa_float_round_mode_16_64 0
		.amdhsa_float_denorm_mode_32 3
		.amdhsa_float_denorm_mode_16_64 3
		.amdhsa_dx10_clamp 1
		.amdhsa_ieee_mode 1
		.amdhsa_fp16_overflow 0
		.amdhsa_workgroup_processor_mode 1
		.amdhsa_memory_ordered 1
		.amdhsa_forward_progress 0
		.amdhsa_shared_vgpr_count 0
		.amdhsa_exception_fp_ieee_invalid_op 0
		.amdhsa_exception_fp_denorm_src 0
		.amdhsa_exception_fp_ieee_div_zero 0
		.amdhsa_exception_fp_ieee_overflow 0
		.amdhsa_exception_fp_ieee_underflow 0
		.amdhsa_exception_fp_ieee_inexact 0
		.amdhsa_exception_int_div_zero 0
	.end_amdhsa_kernel
	.section	.text._ZN4vllm25paged_attention_v2_kernelIfhLi192ELi32ELi128ELNS_18Fp8KVCacheDataTypeE1ELb1ELi512EEEvPfS2_PT_PKS3_PKT0_S9_ifPKiSB_iPKfiiiSD_SD_iiiii,"axG",@progbits,_ZN4vllm25paged_attention_v2_kernelIfhLi192ELi32ELi128ELNS_18Fp8KVCacheDataTypeE1ELb1ELi512EEEvPfS2_PT_PKS3_PKT0_S9_ifPKiSB_iPKfiiiSD_SD_iiiii,comdat
.Lfunc_end269:
	.size	_ZN4vllm25paged_attention_v2_kernelIfhLi192ELi32ELi128ELNS_18Fp8KVCacheDataTypeE1ELb1ELi512EEEvPfS2_PT_PKS3_PKT0_S9_ifPKiSB_iPKfiiiSD_SD_iiiii, .Lfunc_end269-_ZN4vllm25paged_attention_v2_kernelIfhLi192ELi32ELi128ELNS_18Fp8KVCacheDataTypeE1ELb1ELi512EEEvPfS2_PT_PKS3_PKT0_S9_ifPKiSB_iPKfiiiSD_SD_iiiii
                                        ; -- End function
	.section	.AMDGPU.csdata,"",@progbits
; Kernel info:
; codeLenInByte = 280
; NumSgprs: 46
; NumVgprs: 192
; ScratchSize: 2268
; MemoryBound: 0
; FloatMode: 240
; IeeeMode: 1
; LDSByteSize: 800 bytes/workgroup (compile time only)
; SGPRBlocks: 5
; VGPRBlocks: 23
; NumSGPRsForWavesPerEU: 46
; NumVGPRsForWavesPerEU: 192
; Occupancy: 8
; WaveLimiterHint : 1
; COMPUTE_PGM_RSRC2:SCRATCH_EN: 1
; COMPUTE_PGM_RSRC2:USER_SGPR: 13
; COMPUTE_PGM_RSRC2:TRAP_HANDLER: 0
; COMPUTE_PGM_RSRC2:TGID_X_EN: 1
; COMPUTE_PGM_RSRC2:TGID_Y_EN: 1
; COMPUTE_PGM_RSRC2:TGID_Z_EN: 1
; COMPUTE_PGM_RSRC2:TIDIG_COMP_CNT: 0
	.text
	.p2align	2                               ; -- Begin function _ZN4vllm22paged_attention_kernelIfhLi256ELi32ELi128ELNS_18Fp8KVCacheDataTypeE1ELb1ELi512EEEvPfS2_PT_PKS3_PKT0_S9_ifPKiSB_iPKfiiiSD_SD_iiiii
	.type	_ZN4vllm22paged_attention_kernelIfhLi256ELi32ELi128ELNS_18Fp8KVCacheDataTypeE1ELb1ELi512EEEvPfS2_PT_PKS3_PKT0_S9_ifPKiSB_iPKfiiiSD_SD_iiiii,@function
_ZN4vllm22paged_attention_kernelIfhLi256ELi32ELi128ELNS_18Fp8KVCacheDataTypeE1ELb1ELi512EEEvPfS2_PT_PKS3_PKT0_S9_ifPKiSB_iPKfiiiSD_SD_iiiii: ; @_ZN4vllm22paged_attention_kernelIfhLi256ELi32ELi128ELNS_18Fp8KVCacheDataTypeE1ELb1ELi512EEEvPfS2_PT_PKS3_PKT0_S9_ifPKiSB_iPKfiiiSD_SD_iiiii
; %bb.0:
	s_waitcnt vmcnt(0) expcnt(0) lgkmcnt(0)
	s_clause 0x1f
	scratch_store_b32 off, v40, s32 offset:324
	; meta instruction
	scratch_store_b32 off, v41, s32 offset:320
	; meta instruction
	;; [unrolled: 2-line block ×31, first 2 shown]
	scratch_store_b32 off, v95, s32 offset:200
	s_clause 0x1f
	scratch_store_b32 off, v104, s32 offset:196
	; meta instruction
	scratch_store_b32 off, v105, s32 offset:192
	; meta instruction
	;; [unrolled: 2-line block ×31, first 2 shown]
	scratch_store_b32 off, v159, s32 offset:72
	s_clause 0xf
	scratch_store_b32 off, v168, s32 offset:68
	; meta instruction
	scratch_store_b32 off, v169, s32 offset:64
	; meta instruction
	;; [unrolled: 2-line block ×15, first 2 shown]
	scratch_store_b32 off, v191, s32 offset:8
	s_mov_b32 s4, s13
	s_ashr_i32 s5, s13, 31
	s_clause 0x6
	scratch_store_b32 off, v30, s32 offset:3100
	scratch_store_b64 off, v[26:27], s32 offset:2348
	scratch_store_b64 off, v[24:25], s32 offset:2028
	scratch_store_b32 off, v22, s32 offset:1880
	scratch_store_b32 off, v15, s32 offset:3104
	;; [unrolled: 1-line block ×4, first 2 shown]
	s_lshl_b64 s[0:1], s[4:5], 2
	s_clause 0x4
	scratch_store_b32 off, v10, s32 offset:3112
	scratch_store_b32 off, v5, s32 offset:3128
	;; [unrolled: 1-line block ×5, first 2 shown]
	v_add_co_u32 v2, vcc_lo, v16, s0
	v_add_co_ci_u32_e32 v3, vcc_lo, s1, v17, vcc_lo
	v_mov_b32_e32 v15, v11
	s_mov_b32 s10, s15
	flat_load_b32 v4, v[2:3]
	s_clause 0x1
	scratch_load_b32 v2, off, s32 offset:4
	scratch_load_b32 v3, off, s32
	s_lshl_b32 s15, s14, 9
	s_mov_b32 s5, exec_lo
	s_waitcnt vmcnt(2) lgkmcnt(0)
	scratch_store_b32 off, v4, s32 offset:1724 ; 4-byte Folded Spill
	v_cmpx_lt_i32_e64 s15, v4
	s_cbranch_execnz .LBB270_1
; %bb.4149:
	s_getpc_b64 s[26:27]
.Lpost_getpc0:
	s_add_u32 s26, s26, (.LBB270_4148-.Lpost_getpc0)&4294967295
	s_addc_u32 s27, s27, (.LBB270_4148-.Lpost_getpc0)>>32
	s_setpc_b64 s[26:27]
.LBB270_1:
	s_clause 0x1
	scratch_store_b32 off, v0, s32 offset:3160
	scratch_store_b32 off, v1, s32 offset:3156
	v_sub_nc_u32_e32 v0, 0, v12
	s_clause 0x1
	s_load_b32 s0, s[8:9], 0x10
	s_load_b32 s1, s[8:9], 0x0
	s_delay_alu instid0(VALU_DEP_1) | instskip(NEXT) | instid1(VALU_DEP_1)
	v_max_i32_e32 v0, v12, v0
	v_cvt_f32_u32_e32 v1, v0
	v_sub_nc_u32_e32 v4, 0, v0
	s_delay_alu instid0(VALU_DEP_2) | instskip(SKIP_2) | instid1(SALU_CYCLE_1)
	v_rcp_iflag_f32_e32 v1, v1
	s_waitcnt lgkmcnt(0)
	s_lshr_b32 s0, s0, 16
	s_cmp_lg_u32 s0, 0
	s_waitcnt_depctr 0xfff
	v_mul_f32_e32 v1, 0x4f7ffffe, v1
	s_cselect_b32 s0, -1, 0
	s_delay_alu instid0(SALU_CYCLE_1) | instskip(NEXT) | instid1(VALU_DEP_1)
	s_cmp_lg_u32 s0, 0
	v_cvt_u32_f32_e32 v1, v1
	s_addc_u32 s18, s1, 0
	s_mov_b32 s1, exec_lo
	s_abs_i32 s0, s18
	s_delay_alu instid0(VALU_DEP_1) | instskip(NEXT) | instid1(VALU_DEP_1)
	v_mul_lo_u32 v4, v4, v1
	v_mul_hi_u32 v4, v1, v4
	s_delay_alu instid0(VALU_DEP_1) | instskip(NEXT) | instid1(VALU_DEP_1)
	v_add_nc_u32_e32 v1, v1, v4
	v_mul_hi_u32 v1, s0, v1
	s_delay_alu instid0(VALU_DEP_1) | instskip(SKIP_1) | instid1(VALU_DEP_2)
	v_mul_lo_u32 v4, v1, v0
	v_add_nc_u32_e32 v5, 1, v1
	v_sub_nc_u32_e32 v4, s0, v4
	s_abs_i32 s0, s12
	s_delay_alu instid0(VALU_DEP_1) | instskip(SKIP_1) | instid1(VALU_DEP_2)
	v_sub_nc_u32_e32 v10, v4, v0
	v_cmp_ge_u32_e32 vcc_lo, v4, v0
	v_dual_cndmask_b32 v1, v1, v5 :: v_dual_cndmask_b32 v4, v4, v10
	v_xor_b32_e32 v5, s18, v12
	s_delay_alu instid0(VALU_DEP_2) | instskip(NEXT) | instid1(VALU_DEP_3)
	v_add_nc_u32_e32 v10, 1, v1
	v_cmp_ge_u32_e32 vcc_lo, v4, v0
	s_delay_alu instid0(VALU_DEP_3) | instskip(NEXT) | instid1(VALU_DEP_3)
	v_ashrrev_i32_e32 v5, 31, v5
	v_cndmask_b32_e32 v0, v1, v10, vcc_lo
	s_delay_alu instid0(VALU_DEP_1) | instskip(NEXT) | instid1(VALU_DEP_1)
	v_xor_b32_e32 v0, v0, v5
	v_sub_nc_u32_e32 v5, v0, v5
	s_delay_alu instid0(VALU_DEP_1) | instskip(NEXT) | instid1(VALU_DEP_1)
	v_sub_nc_u32_e32 v0, 0, v5
	v_max_i32_e32 v4, v5, v0
	s_delay_alu instid0(VALU_DEP_1) | instskip(SKIP_1) | instid1(VALU_DEP_2)
	v_cvt_f32_u32_e32 v0, v4
	v_sub_nc_u32_e32 v1, 0, v4
	v_rcp_iflag_f32_e32 v0, v0
	s_waitcnt_depctr 0xfff
	v_mul_f32_e32 v0, 0x4f7ffffe, v0
	s_delay_alu instid0(VALU_DEP_1) | instskip(NEXT) | instid1(VALU_DEP_1)
	v_cvt_u32_f32_e32 v0, v0
	v_mul_lo_u32 v1, v1, v0
	s_delay_alu instid0(VALU_DEP_1) | instskip(NEXT) | instid1(VALU_DEP_1)
	v_mul_hi_u32 v1, v0, v1
	v_add_nc_u32_e32 v10, v0, v1
	s_delay_alu instid0(VALU_DEP_1)
	v_mad_u64_u32 v[0:1], null, s0, v10, 0
	v_mov_b32_e32 v0, 0
	scratch_store_b32 off, v0, s32 offset:2040 ; 4-byte Folded Spill
	v_cmpx_ne_u64_e32 0, v[19:20]
	s_cbranch_execz .LBB270_3
; %bb.2:
	s_ashr_i32 s13, s12, 31
	s_delay_alu instid0(SALU_CYCLE_1) | instskip(NEXT) | instid1(SALU_CYCLE_1)
	s_lshl_b64 s[2:3], s[12:13], 2
	v_add_co_u32 v10, vcc_lo, v19, s2
	v_add_co_ci_u32_e32 v11, vcc_lo, s3, v20, vcc_lo
	flat_load_b32 v0, v[10:11]
	s_waitcnt vmcnt(0) lgkmcnt(0)
	scratch_store_b32 off, v0, s32 offset:2040 ; 4-byte Folded Spill
.LBB270_3:
	s_or_b32 exec_lo, exec_lo, s1
	v_and_b32_e32 v10, 0x3ff, v31
	v_ashrrev_i32_e32 v0, 31, v5
	s_ashr_i32 s1, s12, 31
	s_lshl_b32 s6, s12, 8
	s_mov_b32 s2, exec_lo
	scratch_store_b32 off, v10, s32 offset:2344 ; 4-byte Folded Spill
	v_cmpx_gt_u32_e32 64, v10
	s_cbranch_execz .LBB270_5
; %bb.4:
	scratch_load_b32 v5, off, s32 offset:2344 ; 4-byte Folded Reload
	v_mul_lo_u32 v10, s4, v21
	s_ashr_i32 s7, s6, 31
	s_delay_alu instid0(SALU_CYCLE_1) | instskip(NEXT) | instid1(VALU_DEP_1)
	s_lshl_b64 s[16:17], s[6:7], 2
	v_ashrrev_i32_e32 v11, 31, v10
	s_delay_alu instid0(VALU_DEP_1) | instskip(SKIP_2) | instid1(VALU_DEP_2)
	v_lshlrev_b64 v[10:11], 2, v[10:11]
	s_waitcnt vmcnt(0)
	v_lshlrev_b32_e32 v17, 4, v5
	v_add_co_u32 v5, vcc_lo, v6, v10
	s_delay_alu instid0(VALU_DEP_3) | instskip(SKIP_1) | instid1(VALU_DEP_3)
	v_add_co_ci_u32_e32 v6, vcc_lo, v7, v11, vcc_lo
	v_mov_b32_e32 v7, v15
	v_add_co_u32 v5, vcc_lo, v5, s16
	s_delay_alu instid0(VALU_DEP_3) | instskip(NEXT) | instid1(VALU_DEP_2)
	v_add_co_ci_u32_e32 v6, vcc_lo, s17, v6, vcc_lo
	v_add_co_u32 v5, vcc_lo, v5, v17
	s_delay_alu instid0(VALU_DEP_2)
	v_add_co_ci_u32_e32 v6, vcc_lo, 0, v6, vcc_lo
	flat_load_b128 v[13:16], v[5:6]
	s_waitcnt vmcnt(0) lgkmcnt(0)
	ds_store_b128 v17, v[13:16]
	v_mov_b32_e32 v15, v7
.LBB270_5:
	s_or_b32 exec_lo, exec_lo, s2
	s_waitcnt vmcnt(0)
	v_sub_nc_u32_e32 v5, 0, v3
	v_mul_lo_u32 v6, v1, v4
	v_xor_b32_e32 v14, s1, v0
	s_delay_alu instid0(VALU_DEP_3) | instskip(NEXT) | instid1(VALU_DEP_3)
	v_max_i32_e32 v10, v3, v5
	v_sub_nc_u32_e32 v6, s0, v6
	s_delay_alu instid0(VALU_DEP_2) | instskip(SKIP_1) | instid1(VALU_DEP_2)
	v_cvt_f32_u32_e32 v5, v10
	s_mov_b32 s0, exec_lo
	v_sub_nc_u32_e32 v11, v6, v4
	s_delay_alu instid0(VALU_DEP_2) | instskip(SKIP_3) | instid1(VALU_DEP_1)
	v_rcp_iflag_f32_e32 v5, v5
	v_cmp_ge_u32_e32 vcc_lo, v6, v4
	s_waitcnt_depctr 0xfff
	v_dual_cndmask_b32 v6, v6, v11 :: v_dual_mul_f32 v5, 0x4f7ffffe, v5
	v_cvt_u32_f32_e32 v7, v5
	v_sub_nc_u32_e32 v5, 0, v10
	s_delay_alu instid0(VALU_DEP_1) | instskip(SKIP_2) | instid1(VALU_DEP_1)
	v_mul_lo_u32 v13, v5, v7
	scratch_load_b32 v5, off, s32 offset:1724 ; 4-byte Folded Reload
	v_mul_hi_u32 v11, v7, v13
	v_add_nc_u32_e32 v7, v7, v11
	scratch_store_b32 off, v10, s32 offset:352 ; 4-byte Folded Spill
	v_add_nc_u32_e32 v10, 1, v1
	scratch_store_b32 off, v7, s32 offset:372 ; 4-byte Folded Spill
	s_waitcnt vmcnt(0) lgkmcnt(0)
	s_waitcnt_vscnt null, 0x0
	v_cndmask_b32_e32 v1, v1, v10, vcc_lo
	v_cmp_ge_u32_e32 vcc_lo, v6, v4
	s_barrier
	buffer_gl0_inv
	v_add_nc_u32_e32 v10, 1, v1
	s_delay_alu instid0(VALU_DEP_1) | instskip(NEXT) | instid1(VALU_DEP_1)
	v_cndmask_b32_e32 v0, v1, v10, vcc_lo
	v_xor_b32_e32 v6, v0, v14
	v_add_nc_u32_e32 v5, -1, v5
	s_delay_alu instid0(VALU_DEP_1) | instskip(NEXT) | instid1(VALU_DEP_1)
	v_sub_nc_u32_e32 v13, 0, v5
	v_max_i32_e32 v4, v5, v13
	s_delay_alu instid0(VALU_DEP_1)
	v_mad_u64_u32 v[0:1], null, v4, v7, 0
	v_sub_nc_u32_e32 v0, v6, v14
                                        ; implicit-def: $vgpr6
	scratch_store_b64 off, v[6:7], s32 offset:356 ; 8-byte Folded Spill
	v_cmpx_gt_i32_e32 0, v2
	s_xor_b32 s0, exec_lo, s0
	s_cbranch_execz .LBB270_7
; %bb.6:
	v_mad_u64_u32 v[6:7], null, v28, v12, v[0:1]
                                        ; implicit-def: $vgpr28
	s_delay_alu instid0(VALU_DEP_1) | instskip(NEXT) | instid1(VALU_DEP_1)
	v_mul_lo_u32 v2, v6, v2
	v_sub_nc_u32_e32 v2, 1, v2
	scratch_store_b64 off, v[2:3], s32 offset:356 ; 8-byte Folded Spill
                                        ; implicit-def: $vgpr2
.LBB270_7:
	s_or_saveexec_b32 s0, s0
	v_ashrrev_i32_e32 v5, 31, v5
	v_ashrrev_i32_e32 v3, 31, v3
	scratch_store_b32 off, v3, s32 offset:364 ; 4-byte Folded Spill
	s_xor_b32 exec_lo, exec_lo, s0
	s_cbranch_execz .LBB270_9
; %bb.8:
	v_mad_u64_u32 v[6:7], null, s18, v28, s[12:13]
	s_delay_alu instid0(VALU_DEP_1)
	v_mad_u64_u32 v[10:11], null, v6, v2, 1
	scratch_store_b64 off, v[10:11], s32 offset:356 ; 8-byte Folded Spill
.LBB270_9:
	s_or_b32 exec_lo, exec_lo, s0
	scratch_load_b32 v13, off, s32 offset:352 ; 4-byte Folded Reload
	s_clause 0x1
	s_load_b32 s19, s[8:9], 0x14
	s_load_b32 s7, s[8:9], 0x8
	s_clause 0x2
	scratch_load_b32 v3, off, s32 offset:1724
	scratch_load_b32 v11, off, s32 offset:2344
	;; [unrolled: 1-line block ×3, first 2 shown]
	v_add_nc_u32_e32 v6, 1, v1
	s_lshl_b32 s13, s14, 4
	s_delay_alu instid0(SALU_CYCLE_1)
	s_add_i32 s0, s13, 16
	s_waitcnt vmcnt(3)
	v_mul_lo_u32 v2, v1, v13
	s_waitcnt vmcnt(1)
	v_lshrrev_b32_e32 v12, 5, v11
	s_waitcnt vmcnt(0)
	v_xor_b32_e32 v5, v5, v7
	s_delay_alu instid0(VALU_DEP_3) | instskip(SKIP_1) | instid1(VALU_DEP_2)
	v_sub_nc_u32_e32 v4, v4, v2
	v_mul_lo_u32 v2, s4, v18
	v_sub_nc_u32_e32 v10, v4, v13
	v_cmp_ge_u32_e32 vcc_lo, v4, v13
	s_delay_alu instid0(VALU_DEP_2) | instskip(NEXT) | instid1(VALU_DEP_1)
	v_dual_cndmask_b32 v4, v4, v10 :: v_dual_add_nc_u32 v3, 31, v3
	v_ashrrev_i32_e32 v7, 31, v3
	v_dual_mov_b32 v11, 0xff7fffff :: v_dual_and_b32 v10, 31, v11
	v_cndmask_b32_e32 v1, v1, v6, vcc_lo
	s_delay_alu instid0(VALU_DEP_4) | instskip(SKIP_2) | instid1(VALU_DEP_4)
	v_cmp_ge_u32_e32 vcc_lo, v4, v13
	v_add_nc_u32_e32 v4, s13, v12
	v_lshrrev_b32_e32 v6, 27, v7
	v_add_nc_u32_e32 v7, 1, v1
	s_delay_alu instid0(VALU_DEP_2)
	v_add_nc_u32_e32 v3, v3, v6
	v_mul_lo_u32 v6, v0, v23
	scratch_load_b32 v0, off, s32 offset:3100 ; 4-byte Folded Reload
	v_cndmask_b32_e32 v1, v1, v7, vcc_lo
	v_ashrrev_i32_e32 v7, 5, v3
	v_ashrrev_i32_e32 v3, 31, v2
	scratch_store_b32 off, v7, s32 offset:3164 ; 4-byte Folded Spill
	v_lshlrev_b64 v[2:3], 2, v[2:3]
	s_waitcnt vmcnt(0)
	v_sub_nc_u32_e32 v0, 0, v0
	scratch_store_b32 off, v0, s32 offset:3148 ; 4-byte Folded Spill
	v_xor_b32_e32 v0, v1, v5
	v_lshl_add_u32 v1, v12, 5, s15
	scratch_store_b32 off, v12, s32 offset:3096 ; 4-byte Folded Spill
	v_sub_nc_u32_e32 v0, v0, v5
	v_ashrrev_i32_e32 v5, 31, v6
	s_clause 0x1
	scratch_store_b32 off, v6, s32 offset:3144
	scratch_store_b32 off, v1, s32 offset:336
	v_min_i32_e32 v1, s0, v7
	v_sub_nc_u32_e32 v0, v0, v29
	scratch_store_b32 off, v5, s32 offset:3152 ; 4-byte Folded Spill
	v_ashrrev_i32_e32 v5, 31, v4
	s_clause 0x2
	scratch_store_b64 off, v[2:3], s32 offset:3136
	scratch_store_b64 off, v[4:5], s32 offset:328
	scratch_store_b32 off, v1, s32 offset:368
	v_cmp_lt_i32_e64 s0, v4, v1
	s_clause 0x1
	scratch_store_b32 off, v0, s32 offset:376
	scratch_store_b32 off, v10, s32 offset:2340
	v_lshlrev_b32_e32 v0, 2, v10
	scratch_store_b32 off, v0, s32 offset:3124 ; 4-byte Folded Spill
	s_and_saveexec_b32 s20, s0
	s_cbranch_execz .LBB270_2065
; %bb.10:
	s_clause 0x2
	scratch_load_b32 v0, off, s32 offset:3144
	scratch_load_b32 v1, off, s32 offset:3152
	scratch_load_b32 v4, off, s32 offset:2340
	s_ashr_i32 s11, s10, 31
	s_getpc_b64 s[2:3]
	s_add_u32 s2, s2, llvm.amdgcn.dynlds.offset.table@rel32@lo+4
	s_addc_u32 s3, s3, llvm.amdgcn.dynlds.offset.table@rel32@hi+12
	s_lshl_b64 s[16:17], s[10:11], 2
	s_mov_b32 s8, 0
	s_add_u32 s16, s16, s2
	s_addc_u32 s17, s17, s3
	s_brev_b32 s9, 1
	s_mov_b32 s3, 0x7f800001
	s_mov_b32 s21, s8
	v_mov_b32_e32 v11, 0xff7fffff
	s_waitcnt vmcnt(2)
	v_add_co_u32 v0, vcc_lo, v8, v0
	s_waitcnt vmcnt(0)
	v_lshlrev_b32_e32 v2, 4, v4
	v_add_co_ci_u32_e32 v1, vcc_lo, v9, v1, vcc_lo
	s_delay_alu instid0(VALU_DEP_2) | instskip(NEXT) | instid1(VALU_DEP_2)
	v_add_co_u32 v0, vcc_lo, v0, v2
	v_add_co_ci_u32_e32 v1, vcc_lo, 0, v1, vcc_lo
	scratch_store_b32 off, v15, s32 offset:3168 ; 4-byte Folded Spill
	v_mov_b32_e32 v15, 0
	scratch_store_b64 off, v[0:1], s32 offset:2044 ; 8-byte Folded Spill
	ds_load_b128 v[0:3], v15
	s_waitcnt lgkmcnt(0)
	scratch_store_b128 off, v[0:3], s32 offset:2052 ; 16-byte Folded Spill
	ds_load_b128 v[0:3], v15 offset:16
	s_waitcnt lgkmcnt(0)
	scratch_store_b128 off, v[0:3], s32 offset:2068 ; 16-byte Folded Spill
	ds_load_b128 v[0:3], v15 offset:32
	;; [unrolled: 3-line block ×7, first 2 shown]
	s_waitcnt lgkmcnt(0)
	scratch_store_b128 off, v[0:3], s32 offset:2164 ; 16-byte Folded Spill
	s_clause 0x1
	scratch_load_b32 v0, off, s32 offset:3100
	scratch_load_b32 v1, off, s32 offset:3148
	ds_load_b128 v[5:8], v15 offset:128
	ds_load_b128 v[16:19], v15 offset:640
	s_load_b32 s11, s[16:17], 0x0
	s_waitcnt lgkmcnt(0)
	scratch_store_b128 off, v[16:19], s32 offset:2712 ; 16-byte Folded Spill
	ds_load_b128 v[16:19], v15 offset:656
	s_waitcnt lgkmcnt(0)
	scratch_store_b128 off, v[16:19], s32 offset:2728 ; 16-byte Folded Spill
	ds_load_b128 v[16:19], v15 offset:672
	;; [unrolled: 3-line block ×15, first 2 shown]
	s_waitcnt vmcnt(0)
	v_max_i32_e32 v1, v0, v1
	s_delay_alu instid0(VALU_DEP_1) | instskip(NEXT) | instid1(VALU_DEP_1)
	v_cvt_f32_u32_e32 v0, v1
	v_rcp_iflag_f32_e32 v0, v0
	s_waitcnt lgkmcnt(0)
	scratch_store_b128 off, v[16:19], s32 offset:2952 ; 16-byte Folded Spill
	ds_load_b128 v[16:19], v15 offset:896
	v_mul_f32_e32 v0, 0x4f7ffffe, v0
	s_delay_alu instid0(VALU_DEP_1) | instskip(SKIP_1) | instid1(VALU_DEP_1)
	v_cvt_u32_f32_e32 v2, v0
	v_sub_nc_u32_e32 v0, 0, v1
	v_mul_lo_u32 v0, v0, v2
	s_waitcnt lgkmcnt(0)
	scratch_store_b128 off, v[16:19], s32 offset:2968 ; 16-byte Folded Spill
	v_mul_hi_u32 v3, v2, v0
	ds_load_b128 v[16:19], v15 offset:912
	v_add_nc_u32_e32 v2, v2, v3
	s_clause 0x1
	scratch_store_b32 off, v1, s32 offset:1700
	scratch_store_b128 off, v[5:8], s32 offset:2180
	ds_load_b128 v[5:8], v15 offset:144
	scratch_store_b32 off, v2, s32 offset:1708 ; 4-byte Folded Spill
	scratch_load_b64 v[2:3], off, s32 offset:3136 ; 8-byte Folded Reload
	s_waitcnt lgkmcnt(1)
	scratch_store_b128 off, v[16:19], s32 offset:2984 ; 16-byte Folded Spill
	ds_load_b128 v[16:19], v15 offset:928
	s_waitcnt lgkmcnt(1)
	scratch_store_b128 off, v[5:8], s32 offset:2196 ; 16-byte Folded Spill
	ds_load_b128 v[5:8], v15 offset:160
	;; [unrolled: 3-line block ×12, first 2 shown]
	s_waitcnt lgkmcnt(1)
	scratch_store_b128 off, v[16:19], s32 offset:3080 ; 16-byte Folded Spill
	s_waitcnt lgkmcnt(0)
	scratch_store_b128 off, v[5:8], s32 offset:2292 ; 16-byte Folded Spill
	ds_load_b128 v[5:8], v15 offset:256
	s_waitcnt lgkmcnt(0)
	scratch_store_b128 off, v[5:8], s32 offset:2308 ; 16-byte Folded Spill
	ds_load_b128 v[5:8], v15 offset:272
	;; [unrolled: 3-line block ×24, first 2 shown]
	s_waitcnt lgkmcnt(0)
	scratch_store_b128 off, v[5:8], s32 offset:2692 ; 16-byte Folded Spill
	scratch_load_b64 v[5:6], off, s32 offset:328 ; 8-byte Folded Reload
	s_waitcnt vmcnt(0)
	v_lshlrev_b64 v[0:1], 2, v[5:6]
	scratch_load_b32 v6, off, s32 offset:2040 ; 4-byte Folded Reload
	v_add_co_u32 v0, s1, v2, v0
	s_delay_alu instid0(VALU_DEP_1)
	v_add_co_ci_u32_e64 v1, s1, v3, v1, s1
	scratch_load_b32 v3, off, s32 offset:3108 ; 4-byte Folded Reload
	s_waitcnt vmcnt(0)
	v_add_co_u32 v3, s1, v3, v0
	s_clause 0x1
	scratch_load_b32 v0, off, s32 offset:3104
	scratch_load_b32 v2, off, s32 offset:1724
	v_cmp_neq_f32_e32 vcc_lo, 0, v6
	s_waitcnt vmcnt(0)
	v_sub_nc_u32_e32 v2, v4, v2
	v_add_co_ci_u32_e64 v4, s1, v0, v1, s1
	s_clause 0x1
	scratch_load_b32 v0, off, s32 offset:3096
	scratch_load_b32 v1, off, s32 offset:3124
	s_waitcnt vmcnt(1)
	v_lshl_add_u32 v6, v0, 5, s15
	s_waitcnt vmcnt(0)
	v_lshl_or_b32 v7, v0, 7, v1
	v_add_nc_u32_e32 v0, 1, v2
	v_mov_b32_e32 v2, v5
	s_clause 0x1
	scratch_store_b64 off, v[3:4], s32 offset:340
	scratch_store_b32 off, v0, s32 offset:2708
	s_branch .LBB270_16
.LBB270_11:                             ;   in Loop: Header=BB270_16 Depth=1
	s_or_b32 exec_lo, exec_lo, s25
	v_lshlrev_b32_e32 v14, 24, v122
	s_delay_alu instid0(VALU_DEP_2) | instskip(SKIP_1) | instid1(VALU_DEP_3)
	v_lshlrev_b32_e32 v112, 20, v112
	v_lshl_add_u32 v113, v111, 23, 0x3c000000
	v_and_b32_e32 v14, 0x80000000, v14
	s_delay_alu instid0(VALU_DEP_1)
	v_or3_b32 v113, v112, v14, v113
	v_mov_b32_e32 v112, v15
.LBB270_12:                             ;   in Loop: Header=BB270_16 Depth=1
	s_or_b32 exec_lo, exec_lo, s2
.LBB270_13:                             ;   in Loop: Header=BB270_16 Depth=1
	s_delay_alu instid0(SALU_CYCLE_1)
	s_or_b32 exec_lo, exec_lo, s24
.LBB270_14:                             ;   in Loop: Header=BB270_16 Depth=1
	s_delay_alu instid0(SALU_CYCLE_1)
	s_or_b32 exec_lo, exec_lo, s23
	v_or_b32_e32 v2, v116, v2
	v_or_b32_e32 v0, v0, v70
	;; [unrolled: 1-line block ×6, first 2 shown]
	scratch_store_b32 off, v0, s32 offset:1976 ; 4-byte Folded Spill
	v_or_b32_e32 v0, v27, v87
	scratch_store_b32 off, v2, s32 offset:1744 ; 4-byte Folded Spill
	v_or_b32_e32 v2, v59, v73
	v_or_b32_e32 v13, v113, v13
	;; [unrolled: 1-line block ×3, first 2 shown]
	scratch_store_b32 off, v0, s32 offset:1964 ; 4-byte Folded Spill
	v_or_b32_e32 v0, v26, v86
	scratch_store_b32 off, v2, s32 offset:1756 ; 4-byte Folded Spill
	v_or_b32_e32 v2, v58, v72
	v_or_b32_e32 v25, v25, v42
	scratch_store_b32 off, v0, s32 offset:1972 ; 4-byte Folded Spill
	v_or_b32_e32 v0, v65, v115
	scratch_store_b32 off, v2, s32 offset:1764 ; 4-byte Folded Spill
	v_or_b32_e32 v2, v63, v37
	scratch_store_b32 off, v0, s32 offset:1984 ; 4-byte Folded Spill
	v_or_b32_e32 v0, v64, v114
	s_clause 0x1
	scratch_store_b32 off, v2, s32 offset:1752
	scratch_store_b32 off, v1, s32 offset:1968
	v_or_b32_e32 v2, v62, v36
	scratch_store_b32 off, v0, s32 offset:1996 ; 4-byte Folded Spill
	v_or_b32_e32 v0, v51, v69
	scratch_store_b32 off, v2, s32 offset:1760 ; 4-byte Folded Spill
	v_or_b32_e32 v2, v45, v21
	v_or_b32_e32 v45, v32, v152
	scratch_store_b32 off, v0, s32 offset:1980 ; 4-byte Folded Spill
	v_or_b32_e32 v0, v50, v68
	scratch_store_b32 off, v2, s32 offset:1772 ; 4-byte Folded Spill
	;; [unrolled: 2-line block ×4, first 2 shown]
	v_or_b32_e32 v2, v47, v57
	v_or_b32_e32 v47, v33, v153
	scratch_store_b32 off, v0, s32 offset:2004 ; 4-byte Folded Spill
	v_or_b32_e32 v0, v30, v184
	scratch_store_b32 off, v2, s32 offset:1768 ; 4-byte Folded Spill
	v_or_b32_e32 v2, v46, v56
	v_or_b32_e32 v56, v4, v66
	scratch_store_b32 off, v0, s32 offset:2012 ; 4-byte Folded Spill
	v_or_b32_e32 v0, v53, v127
	scratch_store_b32 off, v2, s32 offset:1776 ; 4-byte Folded Spill
	;; [unrolled: 2-line block ×11, first 2 shown]
	scratch_load_b64 v[0:1], off, s32 offset:1692 ; 8-byte Folded Reload
	scratch_store_b32 off, v2, s32 offset:1804 ; 4-byte Folded Spill
	v_or_b32_e32 v2, v16, v154
	scratch_store_b32 off, v2, s32 offset:1812 ; 4-byte Folded Spill
	v_or_b32_e32 v2, v49, v167
	;; [unrolled: 2-line block ×39, first 2 shown]
	scratch_store_b32 off, v2, s32 offset:1956 ; 4-byte Folded Spill
	s_waitcnt vmcnt(0)
	v_or_b32_e32 v46, v19, v1
	v_or_b32_e32 v44, v18, v0
	scratch_load_b64 v[0:1], off, s32 offset:1676 ; 8-byte Folded Reload
	s_waitcnt vmcnt(0)
	v_or_b32_e32 v182, v105, v1
	v_or_b32_e32 v178, v104, v0
	scratch_load_b64 v[0:1], off, s32 offset:1684 ; 8-byte Folded Reload
	;; [unrolled: 4-line block ×8, first 2 shown]
	s_waitcnt vmcnt(0)
	v_or_b32_e32 v1, v175, v1
	v_or_b32_e32 v0, v174, v0
	s_clause 0x2
	scratch_store_b32 off, v1, s32 offset:1628
	scratch_store_b32 off, v0, s32 offset:1636
	;; [unrolled: 1-line block ×3, first 2 shown]
	scratch_load_b64 v[0:1], off, s32 offset:1612 ; 8-byte Folded Reload
	s_waitcnt vmcnt(0)
	v_or_b32_e32 v1, v135, v1
	scratch_store_b32 off, v14, s32 offset:1740 ; 4-byte Folded Spill
	v_or_b32_e32 v116, v134, v0
	v_or_b32_e32 v14, v100, v28
	scratch_store_b32 off, v1, s32 offset:1644 ; 4-byte Folded Spill
	scratch_load_b64 v[0:1], off, s32 offset:1620 ; 8-byte Folded Reload
	scratch_store_b32 off, v14, s32 offset:1748 ; 4-byte Folded Spill
	s_waitcnt vmcnt(0)
	v_or_b32_e32 v117, v161, v1
	v_or_b32_e32 v75, v160, v0
	s_clause 0x1
	scratch_load_b64 v[0:1], off, s32 offset:1588
	scratch_load_b64 v[2:3], off, s32 offset:1596
	s_waitcnt vmcnt(0)
	v_or_b32_e32 v101, v1, v3
	v_or_b32_e32 v99, v0, v2
	scratch_load_b64 v[0:1], off, s32 offset:1604 ; 8-byte Folded Reload
	s_waitcnt vmcnt(0)
	v_or_b32_e32 v115, v139, v1
	v_or_b32_e32 v100, v138, v0
	s_clause 0x1
	scratch_load_b64 v[0:1], off, s32 offset:1556
	scratch_load_b64 v[2:3], off, s32 offset:1564
	s_waitcnt vmcnt(0)
	v_or_b32_e32 v85, v1, v3
	v_or_b32_e32 v71, v0, v2
	s_clause 0x1
	scratch_load_b64 v[0:1], off, s32 offset:1572
	scratch_load_b64 v[2:3], off, s32 offset:1580
	;; [unrolled: 6-line block ×5, first 2 shown]
	s_waitcnt vmcnt(0)
	v_or_b32_e32 v1, v1, v3
	v_or_b32_e32 v0, v0, v2
	s_clause 0x1
	scratch_store_b32 off, v1, s32 offset:1524
	scratch_store_b32 off, v0, s32 offset:1500
	s_clause 0x1
	scratch_load_b64 v[0:1], off, s32 offset:1508
	scratch_load_b64 v[2:3], off, s32 offset:1516
	s_waitcnt vmcnt(0)
	v_or_b32_e32 v0, v0, v2
	v_or_b32_e32 v53, v1, v3
	scratch_store_b32 off, v0, s32 offset:1492 ; 4-byte Folded Spill
	s_clause 0x1
	scratch_load_b64 v[0:1], off, s32 offset:1460
	scratch_load_b64 v[2:3], off, s32 offset:1468
	s_waitcnt vmcnt(0)
	v_or_b32_e32 v60, v1, v3
	v_or_b32_e32 v62, v0, v2
	s_clause 0x1
	scratch_load_b64 v[0:1], off, s32 offset:1476
	scratch_load_b64 v[2:3], off, s32 offset:1484
	s_waitcnt vmcnt(0)
	v_or_b32_e32 v1, v1, v3
	v_or_b32_e32 v61, v0, v2
	scratch_store_b32 off, v1, s32 offset:1460 ; 4-byte Folded Spill
	s_clause 0x1
	scratch_load_b64 v[0:1], off, s32 offset:1428
	scratch_load_b64 v[2:3], off, s32 offset:1436
	s_waitcnt vmcnt(0)
	v_or_b32_e32 v72, v1, v3
	v_or_b32_e32 v76, v0, v2
	s_clause 0x1
	scratch_load_b64 v[0:1], off, s32 offset:1444
	scratch_load_b64 v[2:3], off, s32 offset:1452
	s_waitcnt vmcnt(0)
	v_or_b32_e32 v63, v1, v3
	v_or_b32_e32 v73, v0, v2
	;; [unrolled: 6-line block ×55, first 2 shown]
	s_clause 0x1
	scratch_load_b64 v[0:1], off, s32 offset:580
	scratch_load_b64 v[2:3], off, s32 offset:588
	v_mul_f32_e32 v50, v123, v50
	s_waitcnt vmcnt(0)
	v_or_b32_e32 v67, v1, v3
	v_or_b32_e32 v68, v0, v2
	s_clause 0x1
	scratch_load_b64 v[0:1], off, s32 offset:532
	scratch_load_b64 v[2:3], off, s32 offset:540
	s_waitcnt vmcnt(0)
	v_or_b32_e32 v86, v1, v3
	v_or_b32_e32 v98, v0, v2
	s_clause 0x1
	scratch_load_b64 v[0:1], off, s32 offset:548
	scratch_load_b64 v[2:3], off, s32 offset:556
	;; [unrolled: 6-line block ×4, first 2 shown]
	v_mul_f32_e32 v80, v123, v80
	s_waitcnt vmcnt(0)
	v_or_b32_e32 v134, v1, v3
	v_or_b32_e32 v146, v0, v2
	s_clause 0x1
	scratch_load_b64 v[0:1], off, s32 offset:468
	scratch_load_b64 v[2:3], off, s32 offset:476
	s_waitcnt vmcnt(0)
	v_or_b32_e32 v147, v1, v3
	v_or_b32_e32 v148, v0, v2
	s_clause 0x1
	scratch_load_b64 v[0:1], off, s32 offset:484
	scratch_load_b64 v[2:3], off, s32 offset:492
	s_waitcnt vmcnt(0)
	v_or_b32_e32 v149, v1, v3
	v_or_b32_e32 v83, v0, v2
	s_clause 0x1
	scratch_load_b64 v[0:1], off, s32 offset:436
	scratch_load_b64 v[2:3], off, s32 offset:444
	v_mul_f32_e32 v83, v123, v83
	s_waitcnt vmcnt(0)
	v_or_b32_e32 v84, v1, v3
	v_or_b32_e32 v150, v0, v2
	s_clause 0x1
	scratch_load_b64 v[0:1], off, s32 offset:452
	scratch_load_b64 v[2:3], off, s32 offset:460
	v_mul_f32_e32 v84, v123, v84
	s_waitcnt vmcnt(0)
	v_or_b32_e32 v161, v1, v3
	v_or_b32_e32 v162, v0, v2
	s_clause 0x1
	scratch_load_b64 v[0:1], off, s32 offset:404
	scratch_load_b64 v[2:3], off, s32 offset:412
	s_waitcnt vmcnt(0)
	v_or_b32_e32 v177, v1, v3
	v_or_b32_e32 v163, v0, v2
	s_clause 0x1
	scratch_load_b64 v[0:1], off, s32 offset:420
	scratch_load_b64 v[2:3], off, s32 offset:428
	s_waitcnt vmcnt(0)
	v_or_b32_e32 v164, v1, v3
	v_or_b32_e32 v165, v0, v2
	scratch_load_b64 v[0:1], off, s32 offset:380 ; 8-byte Folded Reload
	s_waitcnt vmcnt(0)
	v_or_b32_e32 v180, v7, v1
	v_or_b32_e32 v96, v6, v0
	s_clause 0x2
	scratch_load_b64 v[0:1], off, s32 offset:388
	scratch_load_b64 v[2:3], off, s32 offset:396
	scratch_load_b128 v[4:7], off, s32 offset:2068
	v_mul_f32_e32 v113, v123, v180
	s_waitcnt vmcnt(1)
	v_or_b32_e32 v97, v1, v3
	v_or_b32_e32 v40, v0, v2
	scratch_load_b128 v[0:3], off, s32 offset:2052 ; 16-byte Folded Reload
	v_mul_f32_e32 v24, v123, v163
	v_mul_f32_e32 v97, v123, v97
	;; [unrolled: 1-line block ×4, first 2 shown]
	s_waitcnt vmcnt(1)
	v_mul_f32_e32 v24, v4, v24
	s_waitcnt vmcnt(0)
	s_delay_alu instid0(VALU_DEP_1) | instskip(SKIP_1) | instid1(VALU_DEP_1)
	v_fmac_f32_e32 v24, v0, v96
	v_mul_f32_e32 v96, v123, v177
	v_mul_f32_e32 v112, v5, v96
	;; [unrolled: 1-line block ×3, first 2 shown]
	s_delay_alu instid0(VALU_DEP_1) | instskip(NEXT) | instid1(VALU_DEP_1)
	v_dual_fmac_f32 v112, v1, v113 :: v_dual_mul_f32 v113, v6, v96
	v_dual_mul_f32 v96, v123, v164 :: v_dual_fmac_f32 v113, v2, v163
	s_delay_alu instid0(VALU_DEP_1) | instskip(SKIP_1) | instid1(VALU_DEP_2)
	v_mul_f32_e32 v177, v7, v96
	v_mul_f32_e32 v96, v123, v150
	v_fmac_f32_e32 v177, v3, v97
	scratch_load_b128 v[0:3], off, s32 offset:2084 ; 16-byte Folded Reload
	s_waitcnt vmcnt(0)
	v_fmac_f32_e32 v112, v1, v84
	v_mul_f32_e32 v84, v123, v162
	v_fmac_f32_e32 v24, v0, v96
	s_delay_alu instid0(VALU_DEP_2) | instskip(NEXT) | instid1(VALU_DEP_1)
	v_dual_fmac_f32 v113, v2, v84 :: v_dual_mul_f32 v84, v123, v161
	v_fmac_f32_e32 v177, v3, v84
	scratch_load_b128 v[0:3], off, s32 offset:2100 ; 16-byte Folded Reload
	s_waitcnt vmcnt(0)
	v_dual_mul_f32 v84, v123, v148 :: v_dual_fmac_f32 v113, v2, v83
	s_delay_alu instid0(VALU_DEP_1) | instskip(SKIP_1) | instid1(VALU_DEP_1)
	v_dual_mul_f32 v83, v123, v149 :: v_dual_fmac_f32 v24, v0, v84
	v_mul_f32_e32 v84, v123, v147
	v_dual_fmac_f32 v177, v3, v83 :: v_dual_fmac_f32 v112, v1, v84
	scratch_load_b128 v[0:3], off, s32 offset:2116 ; 16-byte Folded Reload
	s_waitcnt vmcnt(0)
	v_fmac_f32_e32 v24, v0, v80
	v_mul_f32_e32 v80, v123, v130
	s_delay_alu instid0(VALU_DEP_1) | instskip(SKIP_1) | instid1(VALU_DEP_1)
	v_fmac_f32_e32 v112, v1, v80
	v_mul_f32_e32 v80, v123, v146
	v_dual_fmac_f32 v113, v2, v80 :: v_dual_mul_f32 v80, v123, v134
	s_delay_alu instid0(VALU_DEP_1) | instskip(SKIP_3) | instid1(VALU_DEP_1)
	v_fmac_f32_e32 v177, v3, v80
	scratch_load_b128 v[0:3], off, s32 offset:2132 ; 16-byte Folded Reload
	v_mul_f32_e32 v80, v123, v98
	s_waitcnt vmcnt(0)
	v_fmac_f32_e32 v24, v0, v80
	v_mul_f32_e32 v80, v123, v86
	s_delay_alu instid0(VALU_DEP_1) | instskip(SKIP_1) | instid1(VALU_DEP_1)
	v_fmac_f32_e32 v112, v1, v80
	v_mul_f32_e32 v80, v123, v118
	v_dual_fmac_f32 v113, v2, v80 :: v_dual_mul_f32 v80, v123, v102
	s_delay_alu instid0(VALU_DEP_1)
	v_fmac_f32_e32 v177, v3, v80
	scratch_load_b128 v[0:3], off, s32 offset:2148 ; 16-byte Folded Reload
	v_mul_f32_e32 v80, v123, v82
	s_waitcnt vmcnt(0)
	v_fmac_f32_e32 v112, v1, v50
	v_mul_f32_e32 v50, v123, v68
	s_delay_alu instid0(VALU_DEP_1) | instskip(SKIP_1) | instid1(VALU_DEP_1)
	v_dual_fmac_f32 v24, v0, v80 :: v_dual_fmac_f32 v113, v2, v50
	v_mul_f32_e32 v50, v123, v67
	v_fmac_f32_e32 v177, v3, v50
	scratch_load_b128 v[0:3], off, s32 offset:2164 ; 16-byte Folded Reload
	v_mul_f32_e32 v50, v123, v65
	s_waitcnt vmcnt(0)
	s_delay_alu instid0(VALU_DEP_1) | instskip(SKIP_1) | instid1(VALU_DEP_1)
	v_fmac_f32_e32 v24, v0, v50
	v_mul_f32_e32 v50, v123, v52
	v_fmac_f32_e32 v112, v1, v50
	v_mul_f32_e32 v50, v123, v70
	s_delay_alu instid0(VALU_DEP_1) | instskip(SKIP_1) | instid1(VALU_DEP_1)
	v_fmac_f32_e32 v113, v2, v50
	v_mul_f32_e32 v50, v123, v66
	v_fmac_f32_e32 v177, v3, v50
	scratch_load_b128 v[0:3], off, s32 offset:2180 ; 16-byte Folded Reload
	v_mul_f32_e32 v50, v123, v74
	s_waitcnt vmcnt(0)
	s_delay_alu instid0(VALU_DEP_1) | instskip(SKIP_1) | instid1(VALU_DEP_1)
	v_fmac_f32_e32 v24, v0, v50
	v_mul_f32_e32 v0, v123, v114
	v_fmac_f32_e32 v112, v1, v0
	v_mul_f32_e32 v0, v123, v54
	s_delay_alu instid0(VALU_DEP_1) | instskip(SKIP_1) | instid1(VALU_DEP_1)
	v_fmac_f32_e32 v113, v2, v0
	;; [unrolled: 12-line block ×3, first 2 shown]
	v_mul_f32_e32 v0, v123, v160
	v_fmac_f32_e32 v177, v4, v0
	scratch_load_b128 v[1:4], off, s32 offset:2212 ; 16-byte Folded Reload
	v_mul_f32_e32 v0, v123, v8
	scratch_load_b128 v[5:8], off, s32 offset:3080 ; 16-byte Folded Reload
	s_waitcnt vmcnt(1)
	v_fmac_f32_e32 v24, v1, v0
	v_mul_f32_e32 v0, v123, v10
	s_delay_alu instid0(VALU_DEP_1) | instskip(SKIP_1) | instid1(VALU_DEP_1)
	v_fmac_f32_e32 v112, v2, v0
	v_mul_f32_e32 v0, v123, v9
	v_fmac_f32_e32 v113, v3, v0
	v_mul_f32_e32 v0, v123, v11
	s_delay_alu instid0(VALU_DEP_1) | instskip(SKIP_3) | instid1(VALU_DEP_1)
	v_fmac_f32_e32 v177, v4, v0
	scratch_load_b128 v[1:4], off, s32 offset:2228 ; 16-byte Folded Reload
	v_mul_f32_e32 v0, v123, v14
	s_waitcnt vmcnt(0)
	v_fmac_f32_e32 v24, v1, v0
	v_mul_f32_e32 v0, v123, v17
	s_delay_alu instid0(VALU_DEP_1) | instskip(SKIP_1) | instid1(VALU_DEP_1)
	v_fmac_f32_e32 v112, v2, v0
	v_mul_f32_e32 v0, v123, v16
	v_fmac_f32_e32 v113, v3, v0
	v_mul_f32_e32 v0, v123, v18
	s_delay_alu instid0(VALU_DEP_1) | instskip(SKIP_3) | instid1(VALU_DEP_1)
	v_fmac_f32_e32 v177, v4, v0
	scratch_load_b128 v[1:4], off, s32 offset:2244 ; 16-byte Folded Reload
	v_mul_f32_e32 v0, v123, v19
	;; [unrolled: 12-line block ×23, first 2 shown]
	s_waitcnt vmcnt(0)
	v_fmac_f32_e32 v24, v1, v0
	v_mul_f32_e32 v0, v123, v72
	s_delay_alu instid0(VALU_DEP_1) | instskip(SKIP_1) | instid1(VALU_DEP_1)
	v_fmac_f32_e32 v112, v2, v0
	v_mul_f32_e32 v0, v123, v73
	v_fmac_f32_e32 v113, v3, v0
	v_mul_f32_e32 v0, v123, v63
	s_delay_alu instid0(VALU_DEP_1) | instskip(SKIP_4) | instid1(VALU_DEP_1)
	v_dual_fmac_f32 v177, v4, v0 :: v_dual_mul_f32 v0, v123, v62
	scratch_load_b128 v[1:4], off, s32 offset:2612 ; 16-byte Folded Reload
	s_waitcnt vmcnt(0)
	v_fmac_f32_e32 v24, v1, v0
	v_mul_f32_e32 v0, v123, v60
	v_fmac_f32_e32 v112, v2, v0
	v_mul_f32_e32 v0, v123, v61
	s_delay_alu instid0(VALU_DEP_1) | instskip(SKIP_3) | instid1(VALU_DEP_1)
	v_fmac_f32_e32 v113, v3, v0
	scratch_load_b32 v0, off, s32 offset:1460 ; 4-byte Folded Reload
	s_waitcnt vmcnt(0)
	v_mul_f32_e32 v0, v123, v0
	v_fmac_f32_e32 v177, v4, v0
	s_clause 0x1
	scratch_load_b32 v0, off, s32 offset:1500
	scratch_load_b128 v[1:4], off, s32 offset:2628
	s_waitcnt vmcnt(1)
	v_mul_f32_e32 v0, v123, v0
	s_waitcnt vmcnt(0)
	s_delay_alu instid0(VALU_DEP_1) | instskip(SKIP_3) | instid1(VALU_DEP_1)
	v_fmac_f32_e32 v24, v1, v0
	scratch_load_b32 v0, off, s32 offset:1524 ; 4-byte Folded Reload
	s_waitcnt vmcnt(0)
	v_mul_f32_e32 v0, v123, v0
	v_fmac_f32_e32 v112, v2, v0
	scratch_load_b32 v0, off, s32 offset:1492 ; 4-byte Folded Reload
	s_waitcnt vmcnt(0)
	v_mul_f32_e32 v0, v123, v0
	s_delay_alu instid0(VALU_DEP_1) | instskip(SKIP_1) | instid1(VALU_DEP_1)
	v_fmac_f32_e32 v113, v3, v0
	v_mul_f32_e32 v0, v123, v53
	v_dual_fmac_f32 v177, v4, v0 :: v_dual_mul_f32 v0, v123, v135
	scratch_load_b128 v[1:4], off, s32 offset:2644 ; 16-byte Folded Reload
	s_waitcnt vmcnt(0)
	v_fmac_f32_e32 v24, v1, v0
	v_mul_f32_e32 v0, v123, v181
	s_delay_alu instid0(VALU_DEP_1) | instskip(SKIP_1) | instid1(VALU_DEP_1)
	v_fmac_f32_e32 v112, v2, v0
	v_mul_f32_e32 v0, v123, v55
	v_fmac_f32_e32 v113, v3, v0
	v_mul_f32_e32 v0, v123, v69
	s_delay_alu instid0(VALU_DEP_1) | instskip(SKIP_4) | instid1(VALU_DEP_1)
	v_dual_fmac_f32 v177, v4, v0 :: v_dual_mul_f32 v0, v123, v71
	scratch_load_b128 v[1:4], off, s32 offset:2660 ; 16-byte Folded Reload
	s_waitcnt vmcnt(0)
	v_fmac_f32_e32 v24, v1, v0
	v_mul_f32_e32 v0, v123, v85
	v_fmac_f32_e32 v112, v2, v0
	v_mul_f32_e32 v0, v123, v81
	s_delay_alu instid0(VALU_DEP_1) | instskip(SKIP_1) | instid1(VALU_DEP_1)
	v_fmac_f32_e32 v113, v3, v0
	v_mul_f32_e32 v0, v123, v87
	v_dual_fmac_f32 v177, v4, v0 :: v_dual_mul_f32 v0, v123, v99
	scratch_load_b128 v[1:4], off, s32 offset:2676 ; 16-byte Folded Reload
	s_waitcnt vmcnt(0)
	v_fmac_f32_e32 v24, v1, v0
	v_mul_f32_e32 v0, v123, v101
	s_delay_alu instid0(VALU_DEP_1) | instskip(SKIP_1) | instid1(VALU_DEP_1)
	v_fmac_f32_e32 v112, v2, v0
	v_mul_f32_e32 v0, v123, v100
	v_fmac_f32_e32 v113, v3, v0
	v_mul_f32_e32 v0, v123, v115
	s_delay_alu instid0(VALU_DEP_1) | instskip(SKIP_3) | instid1(VALU_DEP_1)
	v_fmac_f32_e32 v177, v4, v0
	scratch_load_b128 v[1:4], off, s32 offset:2692 ; 16-byte Folded Reload
	v_mul_f32_e32 v0, v123, v116
	s_waitcnt vmcnt(0)
	v_fmac_f32_e32 v24, v1, v0
	scratch_load_b32 v0, off, s32 offset:1644 ; 4-byte Folded Reload
	s_waitcnt vmcnt(0)
	v_mul_f32_e32 v0, v123, v0
	s_delay_alu instid0(VALU_DEP_1) | instskip(SKIP_1) | instid1(VALU_DEP_1)
	v_fmac_f32_e32 v112, v2, v0
	v_mul_f32_e32 v0, v123, v75
	v_fmac_f32_e32 v113, v3, v0
	v_mul_f32_e32 v0, v123, v117
	s_delay_alu instid0(VALU_DEP_1) | instskip(SKIP_3) | instid1(VALU_DEP_1)
	v_fmac_f32_e32 v177, v4, v0
	scratch_load_b128 v[1:4], off, s32 offset:2712 ; 16-byte Folded Reload
	v_mul_f32_e32 v0, v123, v128
	s_waitcnt vmcnt(0)
	v_fmac_f32_e32 v24, v1, v0
	v_mul_f32_e32 v0, v123, v129
	s_delay_alu instid0(VALU_DEP_1) | instskip(SKIP_3) | instid1(VALU_DEP_1)
	v_fmac_f32_e32 v112, v2, v0
	scratch_load_b32 v0, off, s32 offset:1636 ; 4-byte Folded Reload
	s_waitcnt vmcnt(0)
	v_mul_f32_e32 v0, v123, v0
	v_fmac_f32_e32 v113, v3, v0
	scratch_load_b32 v0, off, s32 offset:1628 ; 4-byte Folded Reload
	s_waitcnt vmcnt(0)
	v_mul_f32_e32 v0, v123, v0
	s_delay_alu instid0(VALU_DEP_1) | instskip(SKIP_4) | instid1(VALU_DEP_1)
	v_dual_fmac_f32 v177, v4, v0 :: v_dual_mul_f32 v0, v123, v131
	scratch_load_b128 v[1:4], off, s32 offset:2728 ; 16-byte Folded Reload
	s_waitcnt vmcnt(0)
	v_fmac_f32_e32 v24, v1, v0
	v_mul_f32_e32 v0, v123, v133
	v_fmac_f32_e32 v112, v2, v0
	v_mul_f32_e32 v0, v123, v132
	s_delay_alu instid0(VALU_DEP_1) | instskip(SKIP_1) | instid1(VALU_DEP_1)
	v_fmac_f32_e32 v113, v3, v0
	v_mul_f32_e32 v0, v123, v144
	v_dual_fmac_f32 v177, v4, v0 :: v_dual_mul_f32 v0, v123, v145
	scratch_load_b128 v[1:4], off, s32 offset:2744 ; 16-byte Folded Reload
	s_waitcnt vmcnt(0)
	v_fmac_f32_e32 v24, v1, v0
	v_mul_f32_e32 v0, v123, v166
	s_delay_alu instid0(VALU_DEP_1) | instskip(SKIP_1) | instid1(VALU_DEP_1)
	v_fmac_f32_e32 v112, v2, v0
	v_mul_f32_e32 v0, v123, v151
	v_fmac_f32_e32 v113, v3, v0
	v_mul_f32_e32 v0, v123, v167
	s_delay_alu instid0(VALU_DEP_1) | instskip(SKIP_4) | instid1(VALU_DEP_1)
	v_dual_fmac_f32 v177, v4, v0 :: v_dual_mul_f32 v0, v123, v178
	scratch_load_b128 v[1:4], off, s32 offset:2760 ; 16-byte Folded Reload
	s_waitcnt vmcnt(0)
	v_fmac_f32_e32 v24, v1, v0
	v_mul_f32_e32 v0, v123, v182
	v_fmac_f32_e32 v112, v2, v0
	v_mul_f32_e32 v0, v123, v179
	s_delay_alu instid0(VALU_DEP_1) | instskip(SKIP_1) | instid1(VALU_DEP_1)
	v_fmac_f32_e32 v113, v3, v0
	v_mul_f32_e32 v0, v123, v183
	v_fmac_f32_e32 v177, v4, v0
	scratch_load_b128 v[1:4], off, s32 offset:2776 ; 16-byte Folded Reload
	v_mul_f32_e32 v0, v123, v44
	s_waitcnt vmcnt(0)
	s_delay_alu instid0(VALU_DEP_1) | instskip(SKIP_1) | instid1(VALU_DEP_1)
	v_fmac_f32_e32 v24, v1, v0
	v_mul_f32_e32 v0, v123, v46
	v_fmac_f32_e32 v112, v2, v0
	v_mul_f32_e32 v0, v123, v45
	s_delay_alu instid0(VALU_DEP_1) | instskip(SKIP_1) | instid1(VALU_DEP_1)
	v_fmac_f32_e32 v113, v3, v0
	v_mul_f32_e32 v0, v123, v47
	v_fmac_f32_e32 v177, v4, v0
	scratch_load_b128 v[1:4], off, s32 offset:2792 ; 16-byte Folded Reload
	v_mul_f32_e32 v0, v123, v56
	s_waitcnt vmcnt(0)
	s_delay_alu instid0(VALU_DEP_1) | instskip(SKIP_3) | instid1(VALU_DEP_1)
	v_fmac_f32_e32 v24, v1, v0
	scratch_load_b32 v0, off, s32 offset:2020 ; 4-byte Folded Reload
	s_waitcnt vmcnt(0)
	v_mul_f32_e32 v0, v123, v0
	v_fmac_f32_e32 v112, v2, v0
	scratch_load_b32 v0, off, s32 offset:2024 ; 4-byte Folded Reload
	s_waitcnt vmcnt(0)
	v_mul_f32_e32 v0, v123, v0
	s_delay_alu instid0(VALU_DEP_1) | instskip(SKIP_3) | instid1(VALU_DEP_1)
	v_fmac_f32_e32 v113, v3, v0
	scratch_load_b32 v0, off, s32 offset:2016 ; 4-byte Folded Reload
	s_waitcnt vmcnt(0)
	v_mul_f32_e32 v0, v123, v0
	v_fmac_f32_e32 v177, v4, v0
	s_clause 0x1
	scratch_load_b32 v0, off, s32 offset:2012
	scratch_load_b128 v[1:4], off, s32 offset:2808
	s_waitcnt vmcnt(1)
	v_mul_f32_e32 v0, v123, v0
	s_waitcnt vmcnt(0)
	s_delay_alu instid0(VALU_DEP_1) | instskip(SKIP_3) | instid1(VALU_DEP_1)
	v_fmac_f32_e32 v24, v1, v0
	scratch_load_b32 v0, off, s32 offset:2004 ; 4-byte Folded Reload
	s_waitcnt vmcnt(0)
	v_mul_f32_e32 v0, v123, v0
	v_fmac_f32_e32 v112, v2, v0
	scratch_load_b32 v0, off, s32 offset:2008 ; 4-byte Folded Reload
	s_waitcnt vmcnt(0)
	v_mul_f32_e32 v0, v123, v0
	s_delay_alu instid0(VALU_DEP_1) | instskip(SKIP_3) | instid1(VALU_DEP_1)
	v_fmac_f32_e32 v113, v3, v0
	scratch_load_b32 v0, off, s32 offset:2000 ; 4-byte Folded Reload
	s_waitcnt vmcnt(0)
	v_mul_f32_e32 v0, v123, v0
	v_fmac_f32_e32 v177, v4, v0
	s_clause 0x1
	scratch_load_b32 v0, off, s32 offset:1996
	scratch_load_b128 v[1:4], off, s32 offset:2824
	s_waitcnt vmcnt(1)
	;; [unrolled: 21-line block ×17, first 2 shown]
	v_mul_f32_e32 v0, v123, v0
	s_waitcnt vmcnt(0)
	s_delay_alu instid0(VALU_DEP_1) | instskip(SKIP_4) | instid1(VALU_DEP_1)
	v_fmac_f32_e32 v24, v1, v0
	scratch_load_b32 v0, off, s32 offset:1740 ; 4-byte Folded Reload
	v_mul_f32_e32 v1, v123, v12
	s_waitcnt vmcnt(0)
	v_mul_f32_e32 v0, v123, v0
	v_fmac_f32_e32 v112, v2, v0
	scratch_load_b32 v0, off, s32 offset:1744 ; 4-byte Folded Reload
	v_mul_f32_e32 v2, v123, v13
	s_waitcnt vmcnt(0)
	v_mul_f32_e32 v0, v123, v0
	s_delay_alu instid0(VALU_DEP_1) | instskip(SKIP_1) | instid1(VALU_DEP_1)
	v_fmac_f32_e32 v113, v3, v0
	v_mul_f32_e32 v0, v123, v41
	v_dual_fmac_f32 v113, v7, v1 :: v_dual_fmac_f32 v24, v5, v0
	v_mul_f32_e32 v0, v123, v25
	s_delay_alu instid0(VALU_DEP_1)
	v_fmac_f32_e32 v112, v6, v0
	s_clause 0x2
	scratch_load_b32 v0, off, s32 offset:1736
	scratch_load_b32 v6, off, s32 offset:1728
	;; [unrolled: 1-line block ×3, first 2 shown]
	s_load_b32 s2, s[16:17], 0x0
	s_clause 0x1
	scratch_load_b32 v7, off, s32 offset:1732
	scratch_load_b32 v11, off, s32 offset:1716
	s_waitcnt vmcnt(2)
	v_dual_mul_f32 v0, v123, v0 :: v_dual_add_nc_u32 v1, v1, v6
	s_delay_alu instid0(VALU_DEP_1) | instskip(NEXT) | instid1(VALU_DEP_2)
	v_fmac_f32_e32 v177, v4, v0
	v_cvt_f32_i32_e32 v1, v1
	v_add_f32_e32 v0, v24, v112
	s_delay_alu instid0(VALU_DEP_3) | instskip(SKIP_3) | instid1(VALU_DEP_1)
	v_fmac_f32_e32 v177, v8, v2
	scratch_load_b32 v2, off, s32 offset:2040 ; 4-byte Folded Reload
	v_add_f32_e32 v0, v113, v0
	s_waitcnt vmcnt(0)
	v_dual_add_f32 v0, v177, v0 :: v_dual_mul_f32 v1, v2, v1
	scratch_load_b32 v2, off, s32 offset:2036 ; 4-byte Folded Reload
	v_cndmask_b32_e32 v1, 0, v1, vcc_lo
	s_waitcnt vmcnt(0)
	s_delay_alu instid0(VALU_DEP_1)
	v_fmac_f32_e32 v1, v0, v2
	s_clause 0x1
	scratch_load_b32 v0, off, s32 offset:2340
	scratch_load_b32 v2, off, s32 offset:1724
	s_waitcnt vmcnt(1)
	v_add_nc_u32_e32 v0, v0, v6
	s_waitcnt vmcnt(0)
	s_delay_alu instid0(VALU_DEP_1) | instskip(SKIP_2) | instid1(VALU_DEP_2)
	v_cmp_lt_i32_e64 s1, v0, v2
	s_waitcnt lgkmcnt(0)
	v_add_nc_u32_e32 v0, s2, v7
	v_cndmask_b32_e64 v2, 0, v1, s1
	ds_store_b32 v0, v2
	v_max_f32_e32 v0, v11, v11
	s_delay_alu instid0(VALU_DEP_1) | instskip(NEXT) | instid1(VALU_DEP_1)
	v_max_f32_e32 v0, v0, v1
	v_cndmask_b32_e64 v11, v11, v0, s1
.LBB270_15:                             ;   in Loop: Header=BB270_16 Depth=1
	s_or_b32 exec_lo, exec_lo, s22
	s_clause 0x1
	scratch_load_b32 v2, off, s32 offset:348
	scratch_load_b64 v[0:1], off, s32 offset:340
	v_add_nc_u32_e32 v6, 0x80, v6
	v_add_nc_u32_e32 v7, 0x200, v7
	s_waitcnt vmcnt(1)
	v_add_nc_u32_e32 v2, 4, v2
	s_waitcnt vmcnt(0)
	v_add_co_u32 v0, s1, v0, 16
	s_delay_alu instid0(VALU_DEP_1) | instskip(SKIP_4) | instid1(VALU_DEP_1)
	v_add_co_ci_u32_e64 v1, s1, 0, v1, s1
	scratch_store_b64 off, v[0:1], s32 offset:340 ; 8-byte Folded Spill
	scratch_load_b32 v0, off, s32 offset:368 ; 4-byte Folded Reload
	s_waitcnt vmcnt(0)
	v_cmp_ge_i32_e64 s1, v2, v0
	s_or_b32 s21, s1, s21
	s_delay_alu instid0(SALU_CYCLE_1)
	s_and_not1_b32 exec_lo, exec_lo, s21
	s_cbranch_execz .LBB270_2064
.LBB270_16:                             ; =>This Inner Loop Header: Depth=1
	s_clause 0x2
	scratch_load_b32 v1, off, s32 offset:372
	scratch_load_b32 v5, off, s32 offset:364
	;; [unrolled: 1-line block ×3, first 2 shown]
	v_sub_nc_u32_e32 v0, 0, v6
	scratch_store_b32 off, v2, s32 offset:348 ; 4-byte Folded Spill
	v_max_i32_e32 v0, v6, v0
	s_waitcnt vmcnt(2)
	s_delay_alu instid0(VALU_DEP_1) | instskip(SKIP_1) | instid1(VALU_DEP_1)
	v_mul_hi_u32 v1, v0, v1
	s_waitcnt vmcnt(0)
	v_mul_lo_u32 v2, v1, v4
	s_delay_alu instid0(VALU_DEP_1) | instskip(SKIP_1) | instid1(VALU_DEP_2)
	v_sub_nc_u32_e32 v0, v0, v2
	v_add_nc_u32_e32 v2, 1, v1
	v_sub_nc_u32_e32 v3, v0, v4
	v_cmp_ge_u32_e64 s1, v0, v4
	s_delay_alu instid0(VALU_DEP_1) | instskip(NEXT) | instid1(VALU_DEP_3)
	v_cndmask_b32_e64 v1, v1, v2, s1
	v_cndmask_b32_e64 v0, v0, v3, s1
	v_ashrrev_i32_e32 v2, 31, v6
	s_delay_alu instid0(VALU_DEP_3) | instskip(NEXT) | instid1(VALU_DEP_3)
	v_add_nc_u32_e32 v3, 1, v1
	v_cmp_ge_u32_e64 s1, v0, v4
	s_delay_alu instid0(VALU_DEP_3) | instskip(SKIP_4) | instid1(VALU_DEP_1)
	v_xor_b32_e32 v2, v2, v5
	scratch_load_b32 v4, off, s32 offset:1700 ; 4-byte Folded Reload
	v_cndmask_b32_e64 v0, v1, v3, s1
	scratch_load_b32 v3, off, s32 offset:1708 ; 4-byte Folded Reload
	v_xor_b32_e32 v0, v0, v2
	v_sub_nc_u32_e32 v0, v0, v2
	scratch_load_b64 v[1:2], off, s32 offset:356 ; 8-byte Folded Reload
	s_waitcnt vmcnt(0)
	v_add_nc_u32_e32 v1, v0, v1
	s_delay_alu instid0(VALU_DEP_1) | instskip(NEXT) | instid1(VALU_DEP_1)
	v_sub_nc_u32_e32 v2, 0, v1
	v_max_i32_e32 v2, v1, v2
	v_ashrrev_i32_e32 v1, 31, v1
	s_delay_alu instid0(VALU_DEP_2) | instskip(NEXT) | instid1(VALU_DEP_1)
	v_mul_hi_u32 v3, v2, v3
	v_mul_lo_u32 v3, v3, v4
	s_delay_alu instid0(VALU_DEP_1) | instskip(NEXT) | instid1(VALU_DEP_1)
	v_sub_nc_u32_e32 v2, v2, v3
	v_sub_nc_u32_e32 v3, v2, v4
	v_cmp_ge_u32_e64 s1, v2, v4
	s_delay_alu instid0(VALU_DEP_1) | instskip(NEXT) | instid1(VALU_DEP_1)
	v_cndmask_b32_e64 v2, v2, v3, s1
	v_sub_nc_u32_e32 v3, v2, v4
	v_cmp_ge_u32_e64 s1, v2, v4
	s_delay_alu instid0(VALU_DEP_1) | instskip(NEXT) | instid1(VALU_DEP_1)
	v_cndmask_b32_e64 v2, v2, v3, s1
	v_xor_b32_e32 v2, v2, v1
	s_delay_alu instid0(VALU_DEP_1) | instskip(NEXT) | instid1(VALU_DEP_1)
	v_sub_nc_u32_e32 v1, v2, v1
	v_cmp_ne_u32_e64 s1, 0, v1
	scratch_load_b32 v1, off, s32 offset:376 ; 4-byte Folded Reload
	s_waitcnt vmcnt(0)
	v_cmp_le_i32_e64 s2, v0, v1
	s_delay_alu instid0(VALU_DEP_1) | instskip(NEXT) | instid1(SALU_CYCLE_1)
	s_and_b32 s1, s1, s2
	s_and_saveexec_b32 s2, s1
	s_delay_alu instid0(SALU_CYCLE_1)
	s_xor_b32 s1, exec_lo, s2
	s_cbranch_execz .LBB270_18
; %bb.17:                               ;   in Loop: Header=BB270_16 Depth=1
	v_dual_mov_b32 v1, 0xff7fffff :: v_dual_add_nc_u32 v0, s11, v7
	ds_store_b32 v0, v1
.LBB270_18:                             ;   in Loop: Header=BB270_16 Depth=1
	s_and_not1_saveexec_b32 s22, s1
	s_cbranch_execz .LBB270_15
; %bb.19:                               ;   in Loop: Header=BB270_16 Depth=1
	s_clause 0x2
	scratch_store_b32 off, v7, s32 offset:1732
	scratch_store_b32 off, v6, s32 offset:1728
	;; [unrolled: 1-line block ×3, first 2 shown]
	scratch_load_b64 v[0:1], off, s32 offset:340 ; 8-byte Folded Reload
	s_mov_b32 s2, exec_lo
	s_waitcnt vmcnt(0)
	flat_load_b32 v0, v[0:1]
	s_clause 0x1
	scratch_load_b32 v1, off, s32 offset:1880
	scratch_load_b64 v[2:3], off, s32 offset:2044
	s_waitcnt vmcnt(0) lgkmcnt(0)
	v_mad_i64_i32 v[52:53], null, v0, v1, v[2:3]
	flat_load_b32 v0, v[52:53]
	scratch_load_b64 v[1:2], off, s32 offset:2028 ; 8-byte Folded Reload
	v_mov_b32_e32 v136, 0
	v_mov_b32_e32 v137, 0
	scratch_store_b64 off, v[136:137], s32 offset:380 ; 8-byte Folded Spill
	s_waitcnt vmcnt(0)
	flat_load_b32 v123, v[1:2]
	s_waitcnt lgkmcnt(1)
	v_and_b32_e32 v1, 0xff, v0
	s_delay_alu instid0(VALU_DEP_1)
	v_cmpx_ne_u16_e32 0, v1
	s_cbranch_execz .LBB270_27
; %bb.20:                               ;   in Loop: Header=BB270_16 Depth=1
	v_cmp_ne_u16_e64 s1, 0x80, v1
	v_bfrev_b32_e32 v1, 1
	v_mov_b32_e32 v2, 0
	scratch_store_b64 off, v[1:2], s32 offset:380 ; 8-byte Folded Spill
	s_and_saveexec_b32 s23, s1
	s_cbranch_execz .LBB270_26
; %bb.21:                               ;   in Loop: Header=BB270_16 Depth=1
	v_mov_b32_e32 v3, 0x7f800001
	v_and_b32_e32 v2, 0x7f, v0
	v_mov_b32_e32 v4, 0
	s_mov_b32 s24, exec_lo
	scratch_store_b64 off, v[3:4], s32 offset:380 ; 8-byte Folded Spill
	v_cmpx_ne_u32_e32 0x7f, v2
	s_cbranch_execz .LBB270_25
; %bb.22:                               ;   in Loop: Header=BB270_16 Depth=1
	v_and_b32_e32 v14, 7, v0
	v_lshrrev_b32_e32 v1, 3, v2
	s_mov_b32 s25, exec_lo
	v_cmpx_gt_u32_e32 8, v2
; %bb.23:                               ;   in Loop: Header=BB270_16 Depth=1
	s_delay_alu instid0(VALU_DEP_3) | instskip(NEXT) | instid1(VALU_DEP_1)
	v_clz_i32_u32_e32 v1, v14
	v_min_u32_e32 v1, 32, v1
	s_delay_alu instid0(VALU_DEP_1) | instskip(SKIP_1) | instid1(VALU_DEP_2)
	v_subrev_nc_u32_e32 v2, 28, v1
	v_sub_nc_u32_e32 v1, 29, v1
	v_lshlrev_b64 v[2:3], v2, v[14:15]
	s_delay_alu instid0(VALU_DEP_1)
	v_and_b32_e32 v14, 7, v2
; %bb.24:                               ;   in Loop: Header=BB270_16 Depth=1
	s_or_b32 exec_lo, exec_lo, s25
	v_lshlrev_b32_e32 v2, 24, v0
	s_delay_alu instid0(VALU_DEP_2) | instskip(SKIP_1) | instid1(VALU_DEP_3)
	v_lshlrev_b32_e32 v3, 20, v14
	v_lshl_add_u32 v1, v1, 23, 0x3c000000
	v_and_b32_e32 v2, 0x80000000, v2
	s_delay_alu instid0(VALU_DEP_1)
	v_or3_b32 v14, v3, v2, v1
	scratch_store_b64 off, v[14:15], s32 offset:380 ; 8-byte Folded Spill
.LBB270_25:                             ;   in Loop: Header=BB270_16 Depth=1
	s_or_b32 exec_lo, exec_lo, s24
.LBB270_26:                             ;   in Loop: Header=BB270_16 Depth=1
	s_delay_alu instid0(SALU_CYCLE_1)
	s_or_b32 exec_lo, exec_lo, s23
.LBB270_27:                             ;   in Loop: Header=BB270_16 Depth=1
	s_delay_alu instid0(SALU_CYCLE_1) | instskip(SKIP_2) | instid1(VALU_DEP_1)
	s_or_b32 exec_lo, exec_lo, s2
	v_lshrrev_b16 v1, 8, v0
	s_mov_b32 s23, exec_lo
	v_cmpx_ne_u16_e32 0, v1
	s_cbranch_execz .LBB270_35
; %bb.28:                               ;   in Loop: Header=BB270_16 Depth=1
	v_dual_mov_b32 v137, s9 :: v_dual_mov_b32 v136, s8
	s_mov_b32 s24, exec_lo
	v_cmpx_ne_u16_e32 0x80, v1
	s_cbranch_execz .LBB270_34
; %bb.29:                               ;   in Loop: Header=BB270_16 Depth=1
	s_mov_b32 s2, s8
	v_and_b32_e32 v1, 0xffff, v1
	v_dual_mov_b32 v137, s3 :: v_dual_mov_b32 v136, s2
	s_mov_b32 s2, exec_lo
	s_delay_alu instid0(VALU_DEP_2) | instskip(NEXT) | instid1(VALU_DEP_1)
	v_and_b32_e32 v2, 0x7f, v1
	v_cmpx_ne_u32_e32 0x7f, v2
	s_cbranch_execz .LBB270_33
; %bb.30:                               ;   in Loop: Header=BB270_16 Depth=1
	v_and_b32_e32 v14, 7, v1
	v_lshrrev_b32_e32 v1, 3, v2
	s_mov_b32 s25, exec_lo
	v_cmpx_gt_u32_e32 8, v2
; %bb.31:                               ;   in Loop: Header=BB270_16 Depth=1
	s_delay_alu instid0(VALU_DEP_3) | instskip(NEXT) | instid1(VALU_DEP_1)
	v_clz_i32_u32_e32 v1, v14
	v_min_u32_e32 v1, 32, v1
	s_delay_alu instid0(VALU_DEP_1) | instskip(SKIP_1) | instid1(VALU_DEP_2)
	v_subrev_nc_u32_e32 v2, 28, v1
	v_sub_nc_u32_e32 v1, 29, v1
	v_lshlrev_b64 v[2:3], v2, v[14:15]
	s_delay_alu instid0(VALU_DEP_1)
	v_and_b32_e32 v14, 7, v2
; %bb.32:                               ;   in Loop: Header=BB270_16 Depth=1
	s_or_b32 exec_lo, exec_lo, s25
	v_lshlrev_b32_e32 v2, 16, v0
	s_delay_alu instid0(VALU_DEP_2) | instskip(SKIP_1) | instid1(VALU_DEP_3)
	v_dual_mov_b32 v136, v15 :: v_dual_lshlrev_b32 v3, 20, v14
	v_lshl_add_u32 v1, v1, 23, 0x3c000000
	v_and_b32_e32 v2, 0x80000000, v2
	s_delay_alu instid0(VALU_DEP_1)
	v_or3_b32 v137, v3, v2, v1
.LBB270_33:                             ;   in Loop: Header=BB270_16 Depth=1
	s_or_b32 exec_lo, exec_lo, s2
.LBB270_34:                             ;   in Loop: Header=BB270_16 Depth=1
	s_delay_alu instid0(SALU_CYCLE_1)
	s_or_b32 exec_lo, exec_lo, s24
.LBB270_35:                             ;   in Loop: Header=BB270_16 Depth=1
	s_delay_alu instid0(SALU_CYCLE_1)
	s_or_b32 exec_lo, exec_lo, s23
	v_lshrrev_b32_e32 v1, 16, v0
	v_mov_b32_e32 v3, 0
	v_mov_b32_e32 v4, 0
	s_mov_b32 s2, exec_lo
	s_clause 0x1
	scratch_store_b64 off, v[3:4], s32 offset:388
	scratch_store_b64 off, v[3:4], s32 offset:396
	v_and_b32_e32 v2, 0xff, v1
	s_delay_alu instid0(VALU_DEP_1)
	v_cmpx_ne_u16_e32 0, v2
	s_cbranch_execz .LBB270_43
; %bb.36:                               ;   in Loop: Header=BB270_16 Depth=1
	v_cmp_ne_u16_e64 s1, 0x80, v2
	v_bfrev_b32_e32 v2, 1
	v_mov_b32_e32 v3, 0
	scratch_store_b64 off, v[2:3], s32 offset:396 ; 8-byte Folded Spill
	s_and_saveexec_b32 s23, s1
	s_cbranch_execz .LBB270_42
; %bb.37:                               ;   in Loop: Header=BB270_16 Depth=1
	v_mov_b32_e32 v4, 0x7f800001
	v_bfe_u32 v3, v0, 16, 7
	v_mov_b32_e32 v5, 0
	s_mov_b32 s24, exec_lo
	scratch_store_b64 off, v[4:5], s32 offset:396 ; 8-byte Folded Spill
	v_cmpx_ne_u32_e32 0x7f, v3
	s_cbranch_execz .LBB270_41
; %bb.38:                               ;   in Loop: Header=BB270_16 Depth=1
	v_and_b32_e32 v14, 7, v1
	v_lshrrev_b32_e32 v2, 3, v3
	s_mov_b32 s25, exec_lo
	v_cmpx_gt_u32_e32 8, v3
; %bb.39:                               ;   in Loop: Header=BB270_16 Depth=1
	s_delay_alu instid0(VALU_DEP_3) | instskip(NEXT) | instid1(VALU_DEP_1)
	v_clz_i32_u32_e32 v2, v14
	v_min_u32_e32 v2, 32, v2
	s_delay_alu instid0(VALU_DEP_1) | instskip(SKIP_1) | instid1(VALU_DEP_2)
	v_subrev_nc_u32_e32 v3, 28, v2
	v_sub_nc_u32_e32 v2, 29, v2
	v_lshlrev_b64 v[3:4], v3, v[14:15]
	s_delay_alu instid0(VALU_DEP_1)
	v_and_b32_e32 v14, 7, v3
; %bb.40:                               ;   in Loop: Header=BB270_16 Depth=1
	s_or_b32 exec_lo, exec_lo, s25
	v_lshlrev_b32_e32 v1, 24, v1
	s_delay_alu instid0(VALU_DEP_2) | instskip(SKIP_1) | instid1(VALU_DEP_3)
	v_lshlrev_b32_e32 v3, 20, v14
	v_lshl_add_u32 v2, v2, 23, 0x3c000000
	v_and_b32_e32 v1, 0x80000000, v1
	s_delay_alu instid0(VALU_DEP_1)
	v_or3_b32 v14, v3, v1, v2
	scratch_store_b64 off, v[14:15], s32 offset:396 ; 8-byte Folded Spill
.LBB270_41:                             ;   in Loop: Header=BB270_16 Depth=1
	s_or_b32 exec_lo, exec_lo, s24
.LBB270_42:                             ;   in Loop: Header=BB270_16 Depth=1
	s_delay_alu instid0(SALU_CYCLE_1)
	s_or_b32 exec_lo, exec_lo, s23
.LBB270_43:                             ;   in Loop: Header=BB270_16 Depth=1
	s_delay_alu instid0(SALU_CYCLE_1) | instskip(NEXT) | instid1(SALU_CYCLE_1)
	s_or_b32 exec_lo, exec_lo, s2
	s_mov_b32 s23, exec_lo
	v_cmpx_lt_u32_e32 0xffffff, v0
	s_cbranch_execz .LBB270_51
; %bb.44:                               ;   in Loop: Header=BB270_16 Depth=1
	v_lshrrev_b32_e32 v1, 24, v0
	v_dual_mov_b32 v2, s8 :: v_dual_mov_b32 v3, s9
	s_mov_b32 s24, exec_lo
	scratch_store_b64 off, v[2:3], s32 offset:388 ; 8-byte Folded Spill
	v_cmpx_ne_u32_e32 0x80, v1
	s_cbranch_execz .LBB270_50
; %bb.45:                               ;   in Loop: Header=BB270_16 Depth=1
	s_mov_b32 s2, s8
	v_bfe_u32 v2, v0, 24, 7
	v_dual_mov_b32 v4, s3 :: v_dual_mov_b32 v3, s2
	s_mov_b32 s2, exec_lo
	scratch_store_b64 off, v[3:4], s32 offset:388 ; 8-byte Folded Spill
	v_cmpx_ne_u32_e32 0x7f, v2
	s_cbranch_execz .LBB270_49
; %bb.46:                               ;   in Loop: Header=BB270_16 Depth=1
	v_and_b32_e32 v14, 7, v1
	v_lshrrev_b32_e32 v0, 3, v2
	s_mov_b32 s25, exec_lo
	v_cmpx_gt_u32_e32 8, v2
; %bb.47:                               ;   in Loop: Header=BB270_16 Depth=1
	s_delay_alu instid0(VALU_DEP_3) | instskip(NEXT) | instid1(VALU_DEP_1)
	v_clz_i32_u32_e32 v0, v14
	v_min_u32_e32 v0, 32, v0
	s_delay_alu instid0(VALU_DEP_1) | instskip(SKIP_1) | instid1(VALU_DEP_2)
	v_subrev_nc_u32_e32 v2, 28, v0
	v_sub_nc_u32_e32 v0, 29, v0
	v_lshlrev_b64 v[2:3], v2, v[14:15]
	s_delay_alu instid0(VALU_DEP_1)
	v_and_b32_e32 v14, 7, v2
; %bb.48:                               ;   in Loop: Header=BB270_16 Depth=1
	s_or_b32 exec_lo, exec_lo, s25
	v_lshlrev_b32_e32 v1, 24, v1
	s_delay_alu instid0(VALU_DEP_2) | instskip(SKIP_1) | instid1(VALU_DEP_3)
	v_lshlrev_b32_e32 v2, 20, v14
	v_lshl_add_u32 v0, v0, 23, 0x3c000000
	v_and_b32_e32 v1, 0x80000000, v1
	s_delay_alu instid0(VALU_DEP_1)
	v_or3_b32 v1, v2, v1, v0
	v_mov_b32_e32 v0, v15
	scratch_store_b64 off, v[0:1], s32 offset:388 ; 8-byte Folded Spill
.LBB270_49:                             ;   in Loop: Header=BB270_16 Depth=1
	s_or_b32 exec_lo, exec_lo, s2
.LBB270_50:                             ;   in Loop: Header=BB270_16 Depth=1
	s_delay_alu instid0(SALU_CYCLE_1)
	s_or_b32 exec_lo, exec_lo, s24
.LBB270_51:                             ;   in Loop: Header=BB270_16 Depth=1
	s_delay_alu instid0(SALU_CYCLE_1)
	s_or_b32 exec_lo, exec_lo, s23
	flat_load_b32 v0, v[52:53] offset:4
	v_mov_b32_e32 v2, 0
	v_mov_b32_e32 v3, 0
	s_mov_b32 s2, exec_lo
	s_clause 0x1
	scratch_store_b64 off, v[2:3], s32 offset:404
	scratch_store_b64 off, v[2:3], s32 offset:412
	s_waitcnt vmcnt(0) lgkmcnt(0)
	v_and_b32_e32 v1, 0xff, v0
	s_delay_alu instid0(VALU_DEP_1)
	v_cmpx_ne_u16_e32 0, v1
	s_cbranch_execz .LBB270_59
; %bb.52:                               ;   in Loop: Header=BB270_16 Depth=1
	v_cmp_ne_u16_e64 s1, 0x80, v1
	v_bfrev_b32_e32 v1, 1
	v_mov_b32_e32 v2, 0
	scratch_store_b64 off, v[1:2], s32 offset:412 ; 8-byte Folded Spill
	s_and_saveexec_b32 s23, s1
	s_cbranch_execz .LBB270_58
; %bb.53:                               ;   in Loop: Header=BB270_16 Depth=1
	v_mov_b32_e32 v3, 0x7f800001
	v_and_b32_e32 v2, 0x7f, v0
	v_mov_b32_e32 v4, 0
	s_mov_b32 s24, exec_lo
	scratch_store_b64 off, v[3:4], s32 offset:412 ; 8-byte Folded Spill
	v_cmpx_ne_u32_e32 0x7f, v2
	s_cbranch_execz .LBB270_57
; %bb.54:                               ;   in Loop: Header=BB270_16 Depth=1
	v_and_b32_e32 v14, 7, v0
	v_lshrrev_b32_e32 v1, 3, v2
	s_mov_b32 s25, exec_lo
	v_cmpx_gt_u32_e32 8, v2
; %bb.55:                               ;   in Loop: Header=BB270_16 Depth=1
	s_delay_alu instid0(VALU_DEP_3) | instskip(NEXT) | instid1(VALU_DEP_1)
	v_clz_i32_u32_e32 v1, v14
	v_min_u32_e32 v1, 32, v1
	s_delay_alu instid0(VALU_DEP_1) | instskip(SKIP_1) | instid1(VALU_DEP_2)
	v_subrev_nc_u32_e32 v2, 28, v1
	v_sub_nc_u32_e32 v1, 29, v1
	v_lshlrev_b64 v[2:3], v2, v[14:15]
	s_delay_alu instid0(VALU_DEP_1)
	v_and_b32_e32 v14, 7, v2
; %bb.56:                               ;   in Loop: Header=BB270_16 Depth=1
	s_or_b32 exec_lo, exec_lo, s25
	v_lshlrev_b32_e32 v2, 24, v0
	s_delay_alu instid0(VALU_DEP_2) | instskip(SKIP_1) | instid1(VALU_DEP_3)
	v_lshlrev_b32_e32 v3, 20, v14
	v_lshl_add_u32 v1, v1, 23, 0x3c000000
	v_and_b32_e32 v2, 0x80000000, v2
	s_delay_alu instid0(VALU_DEP_1)
	v_or3_b32 v14, v3, v2, v1
	scratch_store_b64 off, v[14:15], s32 offset:412 ; 8-byte Folded Spill
.LBB270_57:                             ;   in Loop: Header=BB270_16 Depth=1
	s_or_b32 exec_lo, exec_lo, s24
.LBB270_58:                             ;   in Loop: Header=BB270_16 Depth=1
	s_delay_alu instid0(SALU_CYCLE_1)
	s_or_b32 exec_lo, exec_lo, s23
.LBB270_59:                             ;   in Loop: Header=BB270_16 Depth=1
	s_delay_alu instid0(SALU_CYCLE_1) | instskip(SKIP_2) | instid1(VALU_DEP_1)
	s_or_b32 exec_lo, exec_lo, s2
	v_lshrrev_b16 v1, 8, v0
	s_mov_b32 s23, exec_lo
	v_cmpx_ne_u16_e32 0, v1
	s_cbranch_execz .LBB270_67
; %bb.60:                               ;   in Loop: Header=BB270_16 Depth=1
	v_dual_mov_b32 v2, s8 :: v_dual_mov_b32 v3, s9
	s_mov_b32 s24, exec_lo
	scratch_store_b64 off, v[2:3], s32 offset:404 ; 8-byte Folded Spill
	v_cmpx_ne_u16_e32 0x80, v1
	s_cbranch_execz .LBB270_66
; %bb.61:                               ;   in Loop: Header=BB270_16 Depth=1
	s_mov_b32 s2, s8
	v_dual_mov_b32 v4, s3 :: v_dual_and_b32 v1, 0xffff, v1
	v_mov_b32_e32 v3, s2
	s_mov_b32 s2, exec_lo
	s_delay_alu instid0(VALU_DEP_2)
	v_and_b32_e32 v2, 0x7f, v1
	scratch_store_b64 off, v[3:4], s32 offset:404 ; 8-byte Folded Spill
	v_cmpx_ne_u32_e32 0x7f, v2
	s_cbranch_execz .LBB270_65
; %bb.62:                               ;   in Loop: Header=BB270_16 Depth=1
	v_and_b32_e32 v14, 7, v1
	v_lshrrev_b32_e32 v1, 3, v2
	s_mov_b32 s25, exec_lo
	v_cmpx_gt_u32_e32 8, v2
; %bb.63:                               ;   in Loop: Header=BB270_16 Depth=1
	s_delay_alu instid0(VALU_DEP_3) | instskip(NEXT) | instid1(VALU_DEP_1)
	v_clz_i32_u32_e32 v1, v14
	v_min_u32_e32 v1, 32, v1
	s_delay_alu instid0(VALU_DEP_1) | instskip(SKIP_1) | instid1(VALU_DEP_2)
	v_subrev_nc_u32_e32 v2, 28, v1
	v_sub_nc_u32_e32 v1, 29, v1
	v_lshlrev_b64 v[2:3], v2, v[14:15]
	s_delay_alu instid0(VALU_DEP_1)
	v_and_b32_e32 v14, 7, v2
; %bb.64:                               ;   in Loop: Header=BB270_16 Depth=1
	s_or_b32 exec_lo, exec_lo, s25
	v_lshlrev_b32_e32 v2, 16, v0
	s_delay_alu instid0(VALU_DEP_2) | instskip(SKIP_1) | instid1(VALU_DEP_3)
	v_lshlrev_b32_e32 v3, 20, v14
	v_lshl_add_u32 v1, v1, 23, 0x3c000000
	v_and_b32_e32 v2, 0x80000000, v2
	s_delay_alu instid0(VALU_DEP_1)
	v_or3_b32 v2, v3, v2, v1
	v_mov_b32_e32 v1, v15
	scratch_store_b64 off, v[1:2], s32 offset:404 ; 8-byte Folded Spill
.LBB270_65:                             ;   in Loop: Header=BB270_16 Depth=1
	s_or_b32 exec_lo, exec_lo, s2
.LBB270_66:                             ;   in Loop: Header=BB270_16 Depth=1
	s_delay_alu instid0(SALU_CYCLE_1)
	s_or_b32 exec_lo, exec_lo, s24
.LBB270_67:                             ;   in Loop: Header=BB270_16 Depth=1
	s_delay_alu instid0(SALU_CYCLE_1)
	s_or_b32 exec_lo, exec_lo, s23
	v_lshrrev_b32_e32 v1, 16, v0
	v_mov_b32_e32 v3, 0
	v_mov_b32_e32 v4, 0
	s_mov_b32 s2, exec_lo
	s_clause 0x1
	scratch_store_b64 off, v[3:4], s32 offset:420
	scratch_store_b64 off, v[3:4], s32 offset:428
	v_and_b32_e32 v2, 0xff, v1
	s_delay_alu instid0(VALU_DEP_1)
	v_cmpx_ne_u16_e32 0, v2
	s_cbranch_execz .LBB270_75
; %bb.68:                               ;   in Loop: Header=BB270_16 Depth=1
	v_cmp_ne_u16_e64 s1, 0x80, v2
	v_bfrev_b32_e32 v2, 1
	v_mov_b32_e32 v3, 0
	scratch_store_b64 off, v[2:3], s32 offset:428 ; 8-byte Folded Spill
	s_and_saveexec_b32 s23, s1
	s_cbranch_execz .LBB270_74
; %bb.69:                               ;   in Loop: Header=BB270_16 Depth=1
	v_mov_b32_e32 v4, 0x7f800001
	v_bfe_u32 v3, v0, 16, 7
	v_mov_b32_e32 v5, 0
	s_mov_b32 s24, exec_lo
	scratch_store_b64 off, v[4:5], s32 offset:428 ; 8-byte Folded Spill
	v_cmpx_ne_u32_e32 0x7f, v3
	s_cbranch_execz .LBB270_73
; %bb.70:                               ;   in Loop: Header=BB270_16 Depth=1
	v_and_b32_e32 v14, 7, v1
	v_lshrrev_b32_e32 v2, 3, v3
	s_mov_b32 s25, exec_lo
	v_cmpx_gt_u32_e32 8, v3
; %bb.71:                               ;   in Loop: Header=BB270_16 Depth=1
	s_delay_alu instid0(VALU_DEP_3) | instskip(NEXT) | instid1(VALU_DEP_1)
	v_clz_i32_u32_e32 v2, v14
	v_min_u32_e32 v2, 32, v2
	s_delay_alu instid0(VALU_DEP_1) | instskip(SKIP_1) | instid1(VALU_DEP_2)
	v_subrev_nc_u32_e32 v3, 28, v2
	v_sub_nc_u32_e32 v2, 29, v2
	v_lshlrev_b64 v[3:4], v3, v[14:15]
	s_delay_alu instid0(VALU_DEP_1)
	v_and_b32_e32 v14, 7, v3
; %bb.72:                               ;   in Loop: Header=BB270_16 Depth=1
	s_or_b32 exec_lo, exec_lo, s25
	v_lshlrev_b32_e32 v1, 24, v1
	s_delay_alu instid0(VALU_DEP_2) | instskip(SKIP_1) | instid1(VALU_DEP_3)
	v_lshlrev_b32_e32 v3, 20, v14
	v_lshl_add_u32 v2, v2, 23, 0x3c000000
	v_and_b32_e32 v1, 0x80000000, v1
	s_delay_alu instid0(VALU_DEP_1)
	v_or3_b32 v14, v3, v1, v2
	scratch_store_b64 off, v[14:15], s32 offset:428 ; 8-byte Folded Spill
.LBB270_73:                             ;   in Loop: Header=BB270_16 Depth=1
	s_or_b32 exec_lo, exec_lo, s24
.LBB270_74:                             ;   in Loop: Header=BB270_16 Depth=1
	s_delay_alu instid0(SALU_CYCLE_1)
	s_or_b32 exec_lo, exec_lo, s23
.LBB270_75:                             ;   in Loop: Header=BB270_16 Depth=1
	s_delay_alu instid0(SALU_CYCLE_1) | instskip(NEXT) | instid1(SALU_CYCLE_1)
	s_or_b32 exec_lo, exec_lo, s2
	s_mov_b32 s23, exec_lo
	v_cmpx_lt_u32_e32 0xffffff, v0
	s_cbranch_execz .LBB270_83
; %bb.76:                               ;   in Loop: Header=BB270_16 Depth=1
	v_lshrrev_b32_e32 v1, 24, v0
	v_dual_mov_b32 v2, s8 :: v_dual_mov_b32 v3, s9
	s_mov_b32 s24, exec_lo
	scratch_store_b64 off, v[2:3], s32 offset:420 ; 8-byte Folded Spill
	v_cmpx_ne_u32_e32 0x80, v1
	s_cbranch_execz .LBB270_82
; %bb.77:                               ;   in Loop: Header=BB270_16 Depth=1
	s_mov_b32 s2, s8
	v_bfe_u32 v2, v0, 24, 7
	v_dual_mov_b32 v4, s3 :: v_dual_mov_b32 v3, s2
	s_mov_b32 s2, exec_lo
	scratch_store_b64 off, v[3:4], s32 offset:420 ; 8-byte Folded Spill
	v_cmpx_ne_u32_e32 0x7f, v2
	s_cbranch_execz .LBB270_81
; %bb.78:                               ;   in Loop: Header=BB270_16 Depth=1
	v_and_b32_e32 v14, 7, v1
	v_lshrrev_b32_e32 v0, 3, v2
	s_mov_b32 s25, exec_lo
	v_cmpx_gt_u32_e32 8, v2
; %bb.79:                               ;   in Loop: Header=BB270_16 Depth=1
	s_delay_alu instid0(VALU_DEP_3) | instskip(NEXT) | instid1(VALU_DEP_1)
	v_clz_i32_u32_e32 v0, v14
	v_min_u32_e32 v0, 32, v0
	s_delay_alu instid0(VALU_DEP_1) | instskip(SKIP_1) | instid1(VALU_DEP_2)
	v_subrev_nc_u32_e32 v2, 28, v0
	v_sub_nc_u32_e32 v0, 29, v0
	v_lshlrev_b64 v[2:3], v2, v[14:15]
	s_delay_alu instid0(VALU_DEP_1)
	v_and_b32_e32 v14, 7, v2
; %bb.80:                               ;   in Loop: Header=BB270_16 Depth=1
	s_or_b32 exec_lo, exec_lo, s25
	v_lshlrev_b32_e32 v1, 24, v1
	s_delay_alu instid0(VALU_DEP_2) | instskip(SKIP_1) | instid1(VALU_DEP_3)
	v_lshlrev_b32_e32 v2, 20, v14
	v_lshl_add_u32 v0, v0, 23, 0x3c000000
	v_and_b32_e32 v1, 0x80000000, v1
	s_delay_alu instid0(VALU_DEP_1)
	v_or3_b32 v1, v2, v1, v0
	v_mov_b32_e32 v0, v15
	scratch_store_b64 off, v[0:1], s32 offset:420 ; 8-byte Folded Spill
.LBB270_81:                             ;   in Loop: Header=BB270_16 Depth=1
	s_or_b32 exec_lo, exec_lo, s2
.LBB270_82:                             ;   in Loop: Header=BB270_16 Depth=1
	s_delay_alu instid0(SALU_CYCLE_1)
	s_or_b32 exec_lo, exec_lo, s24
.LBB270_83:                             ;   in Loop: Header=BB270_16 Depth=1
	s_delay_alu instid0(SALU_CYCLE_1)
	s_or_b32 exec_lo, exec_lo, s23
	flat_load_b32 v0, v[52:53] offset:8
	v_mov_b32_e32 v2, 0
	v_mov_b32_e32 v3, 0
	s_mov_b32 s2, exec_lo
	s_clause 0x1
	scratch_store_b64 off, v[2:3], s32 offset:436
	scratch_store_b64 off, v[2:3], s32 offset:444
	s_waitcnt vmcnt(0) lgkmcnt(0)
	v_and_b32_e32 v1, 0xff, v0
	s_delay_alu instid0(VALU_DEP_1)
	v_cmpx_ne_u16_e32 0, v1
	s_cbranch_execz .LBB270_91
; %bb.84:                               ;   in Loop: Header=BB270_16 Depth=1
	v_cmp_ne_u16_e64 s1, 0x80, v1
	v_bfrev_b32_e32 v1, 1
	v_mov_b32_e32 v2, 0
	scratch_store_b64 off, v[1:2], s32 offset:444 ; 8-byte Folded Spill
	s_and_saveexec_b32 s23, s1
	s_cbranch_execz .LBB270_90
; %bb.85:                               ;   in Loop: Header=BB270_16 Depth=1
	v_mov_b32_e32 v3, 0x7f800001
	v_and_b32_e32 v2, 0x7f, v0
	v_mov_b32_e32 v4, 0
	s_mov_b32 s24, exec_lo
	scratch_store_b64 off, v[3:4], s32 offset:444 ; 8-byte Folded Spill
	v_cmpx_ne_u32_e32 0x7f, v2
	s_cbranch_execz .LBB270_89
; %bb.86:                               ;   in Loop: Header=BB270_16 Depth=1
	v_and_b32_e32 v14, 7, v0
	v_lshrrev_b32_e32 v1, 3, v2
	s_mov_b32 s25, exec_lo
	v_cmpx_gt_u32_e32 8, v2
; %bb.87:                               ;   in Loop: Header=BB270_16 Depth=1
	s_delay_alu instid0(VALU_DEP_3) | instskip(NEXT) | instid1(VALU_DEP_1)
	v_clz_i32_u32_e32 v1, v14
	v_min_u32_e32 v1, 32, v1
	s_delay_alu instid0(VALU_DEP_1) | instskip(SKIP_1) | instid1(VALU_DEP_2)
	v_subrev_nc_u32_e32 v2, 28, v1
	v_sub_nc_u32_e32 v1, 29, v1
	v_lshlrev_b64 v[2:3], v2, v[14:15]
	s_delay_alu instid0(VALU_DEP_1)
	v_and_b32_e32 v14, 7, v2
; %bb.88:                               ;   in Loop: Header=BB270_16 Depth=1
	s_or_b32 exec_lo, exec_lo, s25
	v_lshlrev_b32_e32 v2, 24, v0
	s_delay_alu instid0(VALU_DEP_2) | instskip(SKIP_1) | instid1(VALU_DEP_3)
	v_lshlrev_b32_e32 v3, 20, v14
	v_lshl_add_u32 v1, v1, 23, 0x3c000000
	v_and_b32_e32 v2, 0x80000000, v2
	s_delay_alu instid0(VALU_DEP_1)
	v_or3_b32 v14, v3, v2, v1
	scratch_store_b64 off, v[14:15], s32 offset:444 ; 8-byte Folded Spill
.LBB270_89:                             ;   in Loop: Header=BB270_16 Depth=1
	s_or_b32 exec_lo, exec_lo, s24
.LBB270_90:                             ;   in Loop: Header=BB270_16 Depth=1
	s_delay_alu instid0(SALU_CYCLE_1)
	s_or_b32 exec_lo, exec_lo, s23
.LBB270_91:                             ;   in Loop: Header=BB270_16 Depth=1
	s_delay_alu instid0(SALU_CYCLE_1) | instskip(SKIP_2) | instid1(VALU_DEP_1)
	s_or_b32 exec_lo, exec_lo, s2
	v_lshrrev_b16 v1, 8, v0
	s_mov_b32 s23, exec_lo
	v_cmpx_ne_u16_e32 0, v1
	s_cbranch_execz .LBB270_99
; %bb.92:                               ;   in Loop: Header=BB270_16 Depth=1
	v_dual_mov_b32 v2, s8 :: v_dual_mov_b32 v3, s9
	s_mov_b32 s24, exec_lo
	scratch_store_b64 off, v[2:3], s32 offset:436 ; 8-byte Folded Spill
	v_cmpx_ne_u16_e32 0x80, v1
	s_cbranch_execz .LBB270_98
; %bb.93:                               ;   in Loop: Header=BB270_16 Depth=1
	s_mov_b32 s2, s8
	v_dual_mov_b32 v4, s3 :: v_dual_and_b32 v1, 0xffff, v1
	v_mov_b32_e32 v3, s2
	s_mov_b32 s2, exec_lo
	s_delay_alu instid0(VALU_DEP_2)
	v_and_b32_e32 v2, 0x7f, v1
	scratch_store_b64 off, v[3:4], s32 offset:436 ; 8-byte Folded Spill
	v_cmpx_ne_u32_e32 0x7f, v2
	s_cbranch_execz .LBB270_97
; %bb.94:                               ;   in Loop: Header=BB270_16 Depth=1
	v_and_b32_e32 v14, 7, v1
	v_lshrrev_b32_e32 v1, 3, v2
	s_mov_b32 s25, exec_lo
	v_cmpx_gt_u32_e32 8, v2
; %bb.95:                               ;   in Loop: Header=BB270_16 Depth=1
	s_delay_alu instid0(VALU_DEP_3) | instskip(NEXT) | instid1(VALU_DEP_1)
	v_clz_i32_u32_e32 v1, v14
	v_min_u32_e32 v1, 32, v1
	s_delay_alu instid0(VALU_DEP_1) | instskip(SKIP_1) | instid1(VALU_DEP_2)
	v_subrev_nc_u32_e32 v2, 28, v1
	v_sub_nc_u32_e32 v1, 29, v1
	v_lshlrev_b64 v[2:3], v2, v[14:15]
	s_delay_alu instid0(VALU_DEP_1)
	v_and_b32_e32 v14, 7, v2
; %bb.96:                               ;   in Loop: Header=BB270_16 Depth=1
	s_or_b32 exec_lo, exec_lo, s25
	v_lshlrev_b32_e32 v2, 16, v0
	s_delay_alu instid0(VALU_DEP_2) | instskip(SKIP_1) | instid1(VALU_DEP_3)
	v_lshlrev_b32_e32 v3, 20, v14
	v_lshl_add_u32 v1, v1, 23, 0x3c000000
	v_and_b32_e32 v2, 0x80000000, v2
	s_delay_alu instid0(VALU_DEP_1)
	v_or3_b32 v2, v3, v2, v1
	v_mov_b32_e32 v1, v15
	scratch_store_b64 off, v[1:2], s32 offset:436 ; 8-byte Folded Spill
.LBB270_97:                             ;   in Loop: Header=BB270_16 Depth=1
	s_or_b32 exec_lo, exec_lo, s2
.LBB270_98:                             ;   in Loop: Header=BB270_16 Depth=1
	s_delay_alu instid0(SALU_CYCLE_1)
	s_or_b32 exec_lo, exec_lo, s24
.LBB270_99:                             ;   in Loop: Header=BB270_16 Depth=1
	s_delay_alu instid0(SALU_CYCLE_1)
	s_or_b32 exec_lo, exec_lo, s23
	v_lshrrev_b32_e32 v1, 16, v0
	v_mov_b32_e32 v3, 0
	v_mov_b32_e32 v4, 0
	s_mov_b32 s2, exec_lo
	s_clause 0x1
	scratch_store_b64 off, v[3:4], s32 offset:452
	scratch_store_b64 off, v[3:4], s32 offset:460
	v_and_b32_e32 v2, 0xff, v1
	s_delay_alu instid0(VALU_DEP_1)
	v_cmpx_ne_u16_e32 0, v2
	s_cbranch_execz .LBB270_107
; %bb.100:                              ;   in Loop: Header=BB270_16 Depth=1
	v_cmp_ne_u16_e64 s1, 0x80, v2
	v_bfrev_b32_e32 v2, 1
	v_mov_b32_e32 v3, 0
	scratch_store_b64 off, v[2:3], s32 offset:460 ; 8-byte Folded Spill
	s_and_saveexec_b32 s23, s1
	s_cbranch_execz .LBB270_106
; %bb.101:                              ;   in Loop: Header=BB270_16 Depth=1
	v_mov_b32_e32 v4, 0x7f800001
	v_bfe_u32 v3, v0, 16, 7
	v_mov_b32_e32 v5, 0
	s_mov_b32 s24, exec_lo
	scratch_store_b64 off, v[4:5], s32 offset:460 ; 8-byte Folded Spill
	v_cmpx_ne_u32_e32 0x7f, v3
	s_cbranch_execz .LBB270_105
; %bb.102:                              ;   in Loop: Header=BB270_16 Depth=1
	v_and_b32_e32 v14, 7, v1
	v_lshrrev_b32_e32 v2, 3, v3
	s_mov_b32 s25, exec_lo
	v_cmpx_gt_u32_e32 8, v3
; %bb.103:                              ;   in Loop: Header=BB270_16 Depth=1
	s_delay_alu instid0(VALU_DEP_3) | instskip(NEXT) | instid1(VALU_DEP_1)
	v_clz_i32_u32_e32 v2, v14
	v_min_u32_e32 v2, 32, v2
	s_delay_alu instid0(VALU_DEP_1) | instskip(SKIP_1) | instid1(VALU_DEP_2)
	v_subrev_nc_u32_e32 v3, 28, v2
	v_sub_nc_u32_e32 v2, 29, v2
	v_lshlrev_b64 v[3:4], v3, v[14:15]
	s_delay_alu instid0(VALU_DEP_1)
	v_and_b32_e32 v14, 7, v3
; %bb.104:                              ;   in Loop: Header=BB270_16 Depth=1
	s_or_b32 exec_lo, exec_lo, s25
	v_lshlrev_b32_e32 v1, 24, v1
	s_delay_alu instid0(VALU_DEP_2) | instskip(SKIP_1) | instid1(VALU_DEP_3)
	v_lshlrev_b32_e32 v3, 20, v14
	v_lshl_add_u32 v2, v2, 23, 0x3c000000
	v_and_b32_e32 v1, 0x80000000, v1
	s_delay_alu instid0(VALU_DEP_1)
	v_or3_b32 v14, v3, v1, v2
	scratch_store_b64 off, v[14:15], s32 offset:460 ; 8-byte Folded Spill
.LBB270_105:                            ;   in Loop: Header=BB270_16 Depth=1
	s_or_b32 exec_lo, exec_lo, s24
.LBB270_106:                            ;   in Loop: Header=BB270_16 Depth=1
	s_delay_alu instid0(SALU_CYCLE_1)
	s_or_b32 exec_lo, exec_lo, s23
.LBB270_107:                            ;   in Loop: Header=BB270_16 Depth=1
	s_delay_alu instid0(SALU_CYCLE_1) | instskip(NEXT) | instid1(SALU_CYCLE_1)
	s_or_b32 exec_lo, exec_lo, s2
	s_mov_b32 s23, exec_lo
	v_cmpx_lt_u32_e32 0xffffff, v0
	s_cbranch_execz .LBB270_115
; %bb.108:                              ;   in Loop: Header=BB270_16 Depth=1
	v_lshrrev_b32_e32 v1, 24, v0
	v_dual_mov_b32 v2, s8 :: v_dual_mov_b32 v3, s9
	s_mov_b32 s24, exec_lo
	scratch_store_b64 off, v[2:3], s32 offset:452 ; 8-byte Folded Spill
	v_cmpx_ne_u32_e32 0x80, v1
	s_cbranch_execz .LBB270_114
; %bb.109:                              ;   in Loop: Header=BB270_16 Depth=1
	s_mov_b32 s2, s8
	v_bfe_u32 v2, v0, 24, 7
	v_dual_mov_b32 v4, s3 :: v_dual_mov_b32 v3, s2
	s_mov_b32 s2, exec_lo
	scratch_store_b64 off, v[3:4], s32 offset:452 ; 8-byte Folded Spill
	v_cmpx_ne_u32_e32 0x7f, v2
	s_cbranch_execz .LBB270_113
; %bb.110:                              ;   in Loop: Header=BB270_16 Depth=1
	v_and_b32_e32 v14, 7, v1
	v_lshrrev_b32_e32 v0, 3, v2
	s_mov_b32 s25, exec_lo
	v_cmpx_gt_u32_e32 8, v2
; %bb.111:                              ;   in Loop: Header=BB270_16 Depth=1
	s_delay_alu instid0(VALU_DEP_3) | instskip(NEXT) | instid1(VALU_DEP_1)
	v_clz_i32_u32_e32 v0, v14
	v_min_u32_e32 v0, 32, v0
	s_delay_alu instid0(VALU_DEP_1) | instskip(SKIP_1) | instid1(VALU_DEP_2)
	v_subrev_nc_u32_e32 v2, 28, v0
	v_sub_nc_u32_e32 v0, 29, v0
	v_lshlrev_b64 v[2:3], v2, v[14:15]
	s_delay_alu instid0(VALU_DEP_1)
	v_and_b32_e32 v14, 7, v2
; %bb.112:                              ;   in Loop: Header=BB270_16 Depth=1
	s_or_b32 exec_lo, exec_lo, s25
	v_lshlrev_b32_e32 v1, 24, v1
	s_delay_alu instid0(VALU_DEP_2) | instskip(SKIP_1) | instid1(VALU_DEP_3)
	v_lshlrev_b32_e32 v2, 20, v14
	v_lshl_add_u32 v0, v0, 23, 0x3c000000
	v_and_b32_e32 v1, 0x80000000, v1
	s_delay_alu instid0(VALU_DEP_1)
	v_or3_b32 v1, v2, v1, v0
	v_mov_b32_e32 v0, v15
	scratch_store_b64 off, v[0:1], s32 offset:452 ; 8-byte Folded Spill
.LBB270_113:                            ;   in Loop: Header=BB270_16 Depth=1
	s_or_b32 exec_lo, exec_lo, s2
.LBB270_114:                            ;   in Loop: Header=BB270_16 Depth=1
	s_delay_alu instid0(SALU_CYCLE_1)
	s_or_b32 exec_lo, exec_lo, s24
.LBB270_115:                            ;   in Loop: Header=BB270_16 Depth=1
	s_delay_alu instid0(SALU_CYCLE_1)
	s_or_b32 exec_lo, exec_lo, s23
	flat_load_b32 v0, v[52:53] offset:12
	v_mov_b32_e32 v2, 0
	v_mov_b32_e32 v3, 0
	s_mov_b32 s2, exec_lo
	s_clause 0x1
	scratch_store_b64 off, v[2:3], s32 offset:468
	scratch_store_b64 off, v[2:3], s32 offset:476
	s_waitcnt vmcnt(0) lgkmcnt(0)
	v_and_b32_e32 v1, 0xff, v0
	s_delay_alu instid0(VALU_DEP_1)
	v_cmpx_ne_u16_e32 0, v1
	s_cbranch_execz .LBB270_123
; %bb.116:                              ;   in Loop: Header=BB270_16 Depth=1
	v_cmp_ne_u16_e64 s1, 0x80, v1
	v_bfrev_b32_e32 v1, 1
	v_mov_b32_e32 v2, 0
	scratch_store_b64 off, v[1:2], s32 offset:476 ; 8-byte Folded Spill
	s_and_saveexec_b32 s23, s1
	s_cbranch_execz .LBB270_122
; %bb.117:                              ;   in Loop: Header=BB270_16 Depth=1
	v_mov_b32_e32 v3, 0x7f800001
	v_and_b32_e32 v2, 0x7f, v0
	v_mov_b32_e32 v4, 0
	s_mov_b32 s24, exec_lo
	scratch_store_b64 off, v[3:4], s32 offset:476 ; 8-byte Folded Spill
	v_cmpx_ne_u32_e32 0x7f, v2
	s_cbranch_execz .LBB270_121
; %bb.118:                              ;   in Loop: Header=BB270_16 Depth=1
	v_and_b32_e32 v14, 7, v0
	v_lshrrev_b32_e32 v1, 3, v2
	s_mov_b32 s25, exec_lo
	v_cmpx_gt_u32_e32 8, v2
; %bb.119:                              ;   in Loop: Header=BB270_16 Depth=1
	s_delay_alu instid0(VALU_DEP_3) | instskip(NEXT) | instid1(VALU_DEP_1)
	v_clz_i32_u32_e32 v1, v14
	v_min_u32_e32 v1, 32, v1
	s_delay_alu instid0(VALU_DEP_1) | instskip(SKIP_1) | instid1(VALU_DEP_2)
	v_subrev_nc_u32_e32 v2, 28, v1
	v_sub_nc_u32_e32 v1, 29, v1
	v_lshlrev_b64 v[2:3], v2, v[14:15]
	s_delay_alu instid0(VALU_DEP_1)
	v_and_b32_e32 v14, 7, v2
; %bb.120:                              ;   in Loop: Header=BB270_16 Depth=1
	s_or_b32 exec_lo, exec_lo, s25
	v_lshlrev_b32_e32 v2, 24, v0
	s_delay_alu instid0(VALU_DEP_2) | instskip(SKIP_1) | instid1(VALU_DEP_3)
	v_lshlrev_b32_e32 v3, 20, v14
	v_lshl_add_u32 v1, v1, 23, 0x3c000000
	v_and_b32_e32 v2, 0x80000000, v2
	s_delay_alu instid0(VALU_DEP_1)
	v_or3_b32 v14, v3, v2, v1
	scratch_store_b64 off, v[14:15], s32 offset:476 ; 8-byte Folded Spill
.LBB270_121:                            ;   in Loop: Header=BB270_16 Depth=1
	s_or_b32 exec_lo, exec_lo, s24
.LBB270_122:                            ;   in Loop: Header=BB270_16 Depth=1
	s_delay_alu instid0(SALU_CYCLE_1)
	s_or_b32 exec_lo, exec_lo, s23
.LBB270_123:                            ;   in Loop: Header=BB270_16 Depth=1
	s_delay_alu instid0(SALU_CYCLE_1) | instskip(SKIP_2) | instid1(VALU_DEP_1)
	s_or_b32 exec_lo, exec_lo, s2
	v_lshrrev_b16 v1, 8, v0
	s_mov_b32 s23, exec_lo
	v_cmpx_ne_u16_e32 0, v1
	s_cbranch_execz .LBB270_131
; %bb.124:                              ;   in Loop: Header=BB270_16 Depth=1
	v_dual_mov_b32 v2, s8 :: v_dual_mov_b32 v3, s9
	s_mov_b32 s24, exec_lo
	scratch_store_b64 off, v[2:3], s32 offset:468 ; 8-byte Folded Spill
	v_cmpx_ne_u16_e32 0x80, v1
	s_cbranch_execz .LBB270_130
; %bb.125:                              ;   in Loop: Header=BB270_16 Depth=1
	s_mov_b32 s2, s8
	v_dual_mov_b32 v4, s3 :: v_dual_and_b32 v1, 0xffff, v1
	v_mov_b32_e32 v3, s2
	s_mov_b32 s2, exec_lo
	s_delay_alu instid0(VALU_DEP_2)
	v_and_b32_e32 v2, 0x7f, v1
	scratch_store_b64 off, v[3:4], s32 offset:468 ; 8-byte Folded Spill
	v_cmpx_ne_u32_e32 0x7f, v2
	s_cbranch_execz .LBB270_129
; %bb.126:                              ;   in Loop: Header=BB270_16 Depth=1
	v_and_b32_e32 v14, 7, v1
	v_lshrrev_b32_e32 v1, 3, v2
	s_mov_b32 s25, exec_lo
	v_cmpx_gt_u32_e32 8, v2
; %bb.127:                              ;   in Loop: Header=BB270_16 Depth=1
	s_delay_alu instid0(VALU_DEP_3) | instskip(NEXT) | instid1(VALU_DEP_1)
	v_clz_i32_u32_e32 v1, v14
	v_min_u32_e32 v1, 32, v1
	s_delay_alu instid0(VALU_DEP_1) | instskip(SKIP_1) | instid1(VALU_DEP_2)
	v_subrev_nc_u32_e32 v2, 28, v1
	v_sub_nc_u32_e32 v1, 29, v1
	v_lshlrev_b64 v[2:3], v2, v[14:15]
	s_delay_alu instid0(VALU_DEP_1)
	v_and_b32_e32 v14, 7, v2
; %bb.128:                              ;   in Loop: Header=BB270_16 Depth=1
	s_or_b32 exec_lo, exec_lo, s25
	v_lshlrev_b32_e32 v2, 16, v0
	s_delay_alu instid0(VALU_DEP_2) | instskip(SKIP_1) | instid1(VALU_DEP_3)
	v_lshlrev_b32_e32 v3, 20, v14
	v_lshl_add_u32 v1, v1, 23, 0x3c000000
	v_and_b32_e32 v2, 0x80000000, v2
	s_delay_alu instid0(VALU_DEP_1)
	v_or3_b32 v2, v3, v2, v1
	v_mov_b32_e32 v1, v15
	scratch_store_b64 off, v[1:2], s32 offset:468 ; 8-byte Folded Spill
.LBB270_129:                            ;   in Loop: Header=BB270_16 Depth=1
	s_or_b32 exec_lo, exec_lo, s2
.LBB270_130:                            ;   in Loop: Header=BB270_16 Depth=1
	s_delay_alu instid0(SALU_CYCLE_1)
	s_or_b32 exec_lo, exec_lo, s24
.LBB270_131:                            ;   in Loop: Header=BB270_16 Depth=1
	s_delay_alu instid0(SALU_CYCLE_1)
	s_or_b32 exec_lo, exec_lo, s23
	v_lshrrev_b32_e32 v1, 16, v0
	v_mov_b32_e32 v3, 0
	v_mov_b32_e32 v4, 0
	s_mov_b32 s2, exec_lo
	s_clause 0x1
	scratch_store_b64 off, v[3:4], s32 offset:484
	scratch_store_b64 off, v[3:4], s32 offset:492
	v_and_b32_e32 v2, 0xff, v1
	s_delay_alu instid0(VALU_DEP_1)
	v_cmpx_ne_u16_e32 0, v2
	s_cbranch_execz .LBB270_139
; %bb.132:                              ;   in Loop: Header=BB270_16 Depth=1
	v_cmp_ne_u16_e64 s1, 0x80, v2
	v_bfrev_b32_e32 v2, 1
	v_mov_b32_e32 v3, 0
	scratch_store_b64 off, v[2:3], s32 offset:492 ; 8-byte Folded Spill
	s_and_saveexec_b32 s23, s1
	s_cbranch_execz .LBB270_138
; %bb.133:                              ;   in Loop: Header=BB270_16 Depth=1
	v_mov_b32_e32 v4, 0x7f800001
	v_bfe_u32 v3, v0, 16, 7
	v_mov_b32_e32 v5, 0
	s_mov_b32 s24, exec_lo
	scratch_store_b64 off, v[4:5], s32 offset:492 ; 8-byte Folded Spill
	v_cmpx_ne_u32_e32 0x7f, v3
	s_cbranch_execz .LBB270_137
; %bb.134:                              ;   in Loop: Header=BB270_16 Depth=1
	v_and_b32_e32 v14, 7, v1
	v_lshrrev_b32_e32 v2, 3, v3
	s_mov_b32 s25, exec_lo
	v_cmpx_gt_u32_e32 8, v3
; %bb.135:                              ;   in Loop: Header=BB270_16 Depth=1
	s_delay_alu instid0(VALU_DEP_3) | instskip(NEXT) | instid1(VALU_DEP_1)
	v_clz_i32_u32_e32 v2, v14
	v_min_u32_e32 v2, 32, v2
	s_delay_alu instid0(VALU_DEP_1) | instskip(SKIP_1) | instid1(VALU_DEP_2)
	v_subrev_nc_u32_e32 v3, 28, v2
	v_sub_nc_u32_e32 v2, 29, v2
	v_lshlrev_b64 v[3:4], v3, v[14:15]
	s_delay_alu instid0(VALU_DEP_1)
	v_and_b32_e32 v14, 7, v3
; %bb.136:                              ;   in Loop: Header=BB270_16 Depth=1
	s_or_b32 exec_lo, exec_lo, s25
	v_lshlrev_b32_e32 v1, 24, v1
	s_delay_alu instid0(VALU_DEP_2) | instskip(SKIP_1) | instid1(VALU_DEP_3)
	v_lshlrev_b32_e32 v3, 20, v14
	v_lshl_add_u32 v2, v2, 23, 0x3c000000
	v_and_b32_e32 v1, 0x80000000, v1
	s_delay_alu instid0(VALU_DEP_1)
	v_or3_b32 v14, v3, v1, v2
	scratch_store_b64 off, v[14:15], s32 offset:492 ; 8-byte Folded Spill
.LBB270_137:                            ;   in Loop: Header=BB270_16 Depth=1
	s_or_b32 exec_lo, exec_lo, s24
.LBB270_138:                            ;   in Loop: Header=BB270_16 Depth=1
	s_delay_alu instid0(SALU_CYCLE_1)
	s_or_b32 exec_lo, exec_lo, s23
.LBB270_139:                            ;   in Loop: Header=BB270_16 Depth=1
	s_delay_alu instid0(SALU_CYCLE_1) | instskip(NEXT) | instid1(SALU_CYCLE_1)
	s_or_b32 exec_lo, exec_lo, s2
	s_mov_b32 s23, exec_lo
	v_cmpx_lt_u32_e32 0xffffff, v0
	s_cbranch_execz .LBB270_147
; %bb.140:                              ;   in Loop: Header=BB270_16 Depth=1
	v_lshrrev_b32_e32 v1, 24, v0
	v_dual_mov_b32 v2, s8 :: v_dual_mov_b32 v3, s9
	s_mov_b32 s24, exec_lo
	scratch_store_b64 off, v[2:3], s32 offset:484 ; 8-byte Folded Spill
	v_cmpx_ne_u32_e32 0x80, v1
	s_cbranch_execz .LBB270_146
; %bb.141:                              ;   in Loop: Header=BB270_16 Depth=1
	s_mov_b32 s2, s8
	v_bfe_u32 v2, v0, 24, 7
	v_dual_mov_b32 v4, s3 :: v_dual_mov_b32 v3, s2
	s_mov_b32 s2, exec_lo
	scratch_store_b64 off, v[3:4], s32 offset:484 ; 8-byte Folded Spill
	v_cmpx_ne_u32_e32 0x7f, v2
	s_cbranch_execz .LBB270_145
; %bb.142:                              ;   in Loop: Header=BB270_16 Depth=1
	v_and_b32_e32 v14, 7, v1
	v_lshrrev_b32_e32 v0, 3, v2
	s_mov_b32 s25, exec_lo
	v_cmpx_gt_u32_e32 8, v2
; %bb.143:                              ;   in Loop: Header=BB270_16 Depth=1
	s_delay_alu instid0(VALU_DEP_3) | instskip(NEXT) | instid1(VALU_DEP_1)
	v_clz_i32_u32_e32 v0, v14
	v_min_u32_e32 v0, 32, v0
	s_delay_alu instid0(VALU_DEP_1) | instskip(SKIP_1) | instid1(VALU_DEP_2)
	v_subrev_nc_u32_e32 v2, 28, v0
	v_sub_nc_u32_e32 v0, 29, v0
	v_lshlrev_b64 v[2:3], v2, v[14:15]
	s_delay_alu instid0(VALU_DEP_1)
	v_and_b32_e32 v14, 7, v2
; %bb.144:                              ;   in Loop: Header=BB270_16 Depth=1
	s_or_b32 exec_lo, exec_lo, s25
	v_lshlrev_b32_e32 v1, 24, v1
	s_delay_alu instid0(VALU_DEP_2) | instskip(SKIP_1) | instid1(VALU_DEP_3)
	v_lshlrev_b32_e32 v2, 20, v14
	v_lshl_add_u32 v0, v0, 23, 0x3c000000
	v_and_b32_e32 v1, 0x80000000, v1
	s_delay_alu instid0(VALU_DEP_1)
	v_or3_b32 v1, v2, v1, v0
	v_mov_b32_e32 v0, v15
	scratch_store_b64 off, v[0:1], s32 offset:484 ; 8-byte Folded Spill
.LBB270_145:                            ;   in Loop: Header=BB270_16 Depth=1
	s_or_b32 exec_lo, exec_lo, s2
.LBB270_146:                            ;   in Loop: Header=BB270_16 Depth=1
	s_delay_alu instid0(SALU_CYCLE_1)
	s_or_b32 exec_lo, exec_lo, s24
.LBB270_147:                            ;   in Loop: Header=BB270_16 Depth=1
	s_delay_alu instid0(SALU_CYCLE_1)
	s_or_b32 exec_lo, exec_lo, s23
	flat_load_b32 v0, v[52:53] offset:512
	v_mov_b32_e32 v2, 0
	v_mov_b32_e32 v3, 0
	s_mov_b32 s2, exec_lo
	s_clause 0x1
	scratch_store_b64 off, v[2:3], s32 offset:500
	scratch_store_b64 off, v[2:3], s32 offset:508
	s_waitcnt vmcnt(0) lgkmcnt(0)
	v_and_b32_e32 v1, 0xff, v0
	s_delay_alu instid0(VALU_DEP_1)
	v_cmpx_ne_u16_e32 0, v1
	s_cbranch_execz .LBB270_155
; %bb.148:                              ;   in Loop: Header=BB270_16 Depth=1
	v_cmp_ne_u16_e64 s1, 0x80, v1
	v_bfrev_b32_e32 v1, 1
	v_mov_b32_e32 v2, 0
	scratch_store_b64 off, v[1:2], s32 offset:508 ; 8-byte Folded Spill
	s_and_saveexec_b32 s23, s1
	s_cbranch_execz .LBB270_154
; %bb.149:                              ;   in Loop: Header=BB270_16 Depth=1
	v_mov_b32_e32 v3, 0x7f800001
	v_and_b32_e32 v2, 0x7f, v0
	v_mov_b32_e32 v4, 0
	s_mov_b32 s24, exec_lo
	scratch_store_b64 off, v[3:4], s32 offset:508 ; 8-byte Folded Spill
	v_cmpx_ne_u32_e32 0x7f, v2
	s_cbranch_execz .LBB270_153
; %bb.150:                              ;   in Loop: Header=BB270_16 Depth=1
	v_and_b32_e32 v14, 7, v0
	v_lshrrev_b32_e32 v1, 3, v2
	s_mov_b32 s25, exec_lo
	v_cmpx_gt_u32_e32 8, v2
; %bb.151:                              ;   in Loop: Header=BB270_16 Depth=1
	s_delay_alu instid0(VALU_DEP_3) | instskip(NEXT) | instid1(VALU_DEP_1)
	v_clz_i32_u32_e32 v1, v14
	v_min_u32_e32 v1, 32, v1
	s_delay_alu instid0(VALU_DEP_1) | instskip(SKIP_1) | instid1(VALU_DEP_2)
	v_subrev_nc_u32_e32 v2, 28, v1
	v_sub_nc_u32_e32 v1, 29, v1
	v_lshlrev_b64 v[2:3], v2, v[14:15]
	s_delay_alu instid0(VALU_DEP_1)
	v_and_b32_e32 v14, 7, v2
; %bb.152:                              ;   in Loop: Header=BB270_16 Depth=1
	s_or_b32 exec_lo, exec_lo, s25
	v_lshlrev_b32_e32 v2, 24, v0
	s_delay_alu instid0(VALU_DEP_2) | instskip(SKIP_1) | instid1(VALU_DEP_3)
	v_lshlrev_b32_e32 v3, 20, v14
	v_lshl_add_u32 v1, v1, 23, 0x3c000000
	v_and_b32_e32 v2, 0x80000000, v2
	s_delay_alu instid0(VALU_DEP_1)
	v_or3_b32 v14, v3, v2, v1
	scratch_store_b64 off, v[14:15], s32 offset:508 ; 8-byte Folded Spill
.LBB270_153:                            ;   in Loop: Header=BB270_16 Depth=1
	s_or_b32 exec_lo, exec_lo, s24
.LBB270_154:                            ;   in Loop: Header=BB270_16 Depth=1
	s_delay_alu instid0(SALU_CYCLE_1)
	s_or_b32 exec_lo, exec_lo, s23
.LBB270_155:                            ;   in Loop: Header=BB270_16 Depth=1
	s_delay_alu instid0(SALU_CYCLE_1) | instskip(SKIP_2) | instid1(VALU_DEP_1)
	s_or_b32 exec_lo, exec_lo, s2
	v_lshrrev_b16 v1, 8, v0
	s_mov_b32 s23, exec_lo
	v_cmpx_ne_u16_e32 0, v1
	s_cbranch_execz .LBB270_163
; %bb.156:                              ;   in Loop: Header=BB270_16 Depth=1
	v_dual_mov_b32 v2, s8 :: v_dual_mov_b32 v3, s9
	s_mov_b32 s24, exec_lo
	scratch_store_b64 off, v[2:3], s32 offset:500 ; 8-byte Folded Spill
	v_cmpx_ne_u16_e32 0x80, v1
	s_cbranch_execz .LBB270_162
; %bb.157:                              ;   in Loop: Header=BB270_16 Depth=1
	s_mov_b32 s2, s8
	v_dual_mov_b32 v4, s3 :: v_dual_and_b32 v1, 0xffff, v1
	v_mov_b32_e32 v3, s2
	s_mov_b32 s2, exec_lo
	s_delay_alu instid0(VALU_DEP_2)
	v_and_b32_e32 v2, 0x7f, v1
	scratch_store_b64 off, v[3:4], s32 offset:500 ; 8-byte Folded Spill
	v_cmpx_ne_u32_e32 0x7f, v2
	s_cbranch_execz .LBB270_161
; %bb.158:                              ;   in Loop: Header=BB270_16 Depth=1
	v_and_b32_e32 v14, 7, v1
	v_lshrrev_b32_e32 v1, 3, v2
	s_mov_b32 s25, exec_lo
	v_cmpx_gt_u32_e32 8, v2
; %bb.159:                              ;   in Loop: Header=BB270_16 Depth=1
	s_delay_alu instid0(VALU_DEP_3) | instskip(NEXT) | instid1(VALU_DEP_1)
	v_clz_i32_u32_e32 v1, v14
	v_min_u32_e32 v1, 32, v1
	s_delay_alu instid0(VALU_DEP_1) | instskip(SKIP_1) | instid1(VALU_DEP_2)
	v_subrev_nc_u32_e32 v2, 28, v1
	v_sub_nc_u32_e32 v1, 29, v1
	v_lshlrev_b64 v[2:3], v2, v[14:15]
	s_delay_alu instid0(VALU_DEP_1)
	v_and_b32_e32 v14, 7, v2
; %bb.160:                              ;   in Loop: Header=BB270_16 Depth=1
	s_or_b32 exec_lo, exec_lo, s25
	v_lshlrev_b32_e32 v2, 16, v0
	s_delay_alu instid0(VALU_DEP_2) | instskip(SKIP_1) | instid1(VALU_DEP_3)
	v_lshlrev_b32_e32 v3, 20, v14
	v_lshl_add_u32 v1, v1, 23, 0x3c000000
	v_and_b32_e32 v2, 0x80000000, v2
	s_delay_alu instid0(VALU_DEP_1)
	v_or3_b32 v2, v3, v2, v1
	v_mov_b32_e32 v1, v15
	scratch_store_b64 off, v[1:2], s32 offset:500 ; 8-byte Folded Spill
.LBB270_161:                            ;   in Loop: Header=BB270_16 Depth=1
	s_or_b32 exec_lo, exec_lo, s2
.LBB270_162:                            ;   in Loop: Header=BB270_16 Depth=1
	s_delay_alu instid0(SALU_CYCLE_1)
	s_or_b32 exec_lo, exec_lo, s24
.LBB270_163:                            ;   in Loop: Header=BB270_16 Depth=1
	s_delay_alu instid0(SALU_CYCLE_1)
	s_or_b32 exec_lo, exec_lo, s23
	v_lshrrev_b32_e32 v1, 16, v0
	v_mov_b32_e32 v3, 0
	v_mov_b32_e32 v4, 0
	s_mov_b32 s2, exec_lo
	s_clause 0x1
	scratch_store_b64 off, v[3:4], s32 offset:516
	scratch_store_b64 off, v[3:4], s32 offset:524
	v_and_b32_e32 v2, 0xff, v1
	s_delay_alu instid0(VALU_DEP_1)
	v_cmpx_ne_u16_e32 0, v2
	s_cbranch_execz .LBB270_171
; %bb.164:                              ;   in Loop: Header=BB270_16 Depth=1
	v_cmp_ne_u16_e64 s1, 0x80, v2
	v_bfrev_b32_e32 v2, 1
	v_mov_b32_e32 v3, 0
	scratch_store_b64 off, v[2:3], s32 offset:524 ; 8-byte Folded Spill
	s_and_saveexec_b32 s23, s1
	s_cbranch_execz .LBB270_170
; %bb.165:                              ;   in Loop: Header=BB270_16 Depth=1
	v_mov_b32_e32 v4, 0x7f800001
	v_bfe_u32 v3, v0, 16, 7
	v_mov_b32_e32 v5, 0
	s_mov_b32 s24, exec_lo
	scratch_store_b64 off, v[4:5], s32 offset:524 ; 8-byte Folded Spill
	v_cmpx_ne_u32_e32 0x7f, v3
	s_cbranch_execz .LBB270_169
; %bb.166:                              ;   in Loop: Header=BB270_16 Depth=1
	v_and_b32_e32 v14, 7, v1
	v_lshrrev_b32_e32 v2, 3, v3
	s_mov_b32 s25, exec_lo
	v_cmpx_gt_u32_e32 8, v3
; %bb.167:                              ;   in Loop: Header=BB270_16 Depth=1
	s_delay_alu instid0(VALU_DEP_3) | instskip(NEXT) | instid1(VALU_DEP_1)
	v_clz_i32_u32_e32 v2, v14
	v_min_u32_e32 v2, 32, v2
	s_delay_alu instid0(VALU_DEP_1) | instskip(SKIP_1) | instid1(VALU_DEP_2)
	v_subrev_nc_u32_e32 v3, 28, v2
	v_sub_nc_u32_e32 v2, 29, v2
	v_lshlrev_b64 v[3:4], v3, v[14:15]
	s_delay_alu instid0(VALU_DEP_1)
	v_and_b32_e32 v14, 7, v3
; %bb.168:                              ;   in Loop: Header=BB270_16 Depth=1
	s_or_b32 exec_lo, exec_lo, s25
	v_lshlrev_b32_e32 v1, 24, v1
	s_delay_alu instid0(VALU_DEP_2) | instskip(SKIP_1) | instid1(VALU_DEP_3)
	v_lshlrev_b32_e32 v3, 20, v14
	v_lshl_add_u32 v2, v2, 23, 0x3c000000
	v_and_b32_e32 v1, 0x80000000, v1
	s_delay_alu instid0(VALU_DEP_1)
	v_or3_b32 v14, v3, v1, v2
	scratch_store_b64 off, v[14:15], s32 offset:524 ; 8-byte Folded Spill
.LBB270_169:                            ;   in Loop: Header=BB270_16 Depth=1
	s_or_b32 exec_lo, exec_lo, s24
.LBB270_170:                            ;   in Loop: Header=BB270_16 Depth=1
	s_delay_alu instid0(SALU_CYCLE_1)
	s_or_b32 exec_lo, exec_lo, s23
.LBB270_171:                            ;   in Loop: Header=BB270_16 Depth=1
	s_delay_alu instid0(SALU_CYCLE_1) | instskip(NEXT) | instid1(SALU_CYCLE_1)
	s_or_b32 exec_lo, exec_lo, s2
	s_mov_b32 s23, exec_lo
	v_cmpx_lt_u32_e32 0xffffff, v0
	s_cbranch_execz .LBB270_179
; %bb.172:                              ;   in Loop: Header=BB270_16 Depth=1
	v_lshrrev_b32_e32 v1, 24, v0
	v_dual_mov_b32 v2, s8 :: v_dual_mov_b32 v3, s9
	s_mov_b32 s24, exec_lo
	scratch_store_b64 off, v[2:3], s32 offset:516 ; 8-byte Folded Spill
	v_cmpx_ne_u32_e32 0x80, v1
	s_cbranch_execz .LBB270_178
; %bb.173:                              ;   in Loop: Header=BB270_16 Depth=1
	s_mov_b32 s2, s8
	v_bfe_u32 v2, v0, 24, 7
	v_dual_mov_b32 v4, s3 :: v_dual_mov_b32 v3, s2
	s_mov_b32 s2, exec_lo
	scratch_store_b64 off, v[3:4], s32 offset:516 ; 8-byte Folded Spill
	v_cmpx_ne_u32_e32 0x7f, v2
	s_cbranch_execz .LBB270_177
; %bb.174:                              ;   in Loop: Header=BB270_16 Depth=1
	v_and_b32_e32 v14, 7, v1
	v_lshrrev_b32_e32 v0, 3, v2
	s_mov_b32 s25, exec_lo
	v_cmpx_gt_u32_e32 8, v2
; %bb.175:                              ;   in Loop: Header=BB270_16 Depth=1
	s_delay_alu instid0(VALU_DEP_3) | instskip(NEXT) | instid1(VALU_DEP_1)
	v_clz_i32_u32_e32 v0, v14
	v_min_u32_e32 v0, 32, v0
	s_delay_alu instid0(VALU_DEP_1) | instskip(SKIP_1) | instid1(VALU_DEP_2)
	v_subrev_nc_u32_e32 v2, 28, v0
	v_sub_nc_u32_e32 v0, 29, v0
	v_lshlrev_b64 v[2:3], v2, v[14:15]
	s_delay_alu instid0(VALU_DEP_1)
	v_and_b32_e32 v14, 7, v2
; %bb.176:                              ;   in Loop: Header=BB270_16 Depth=1
	s_or_b32 exec_lo, exec_lo, s25
	v_lshlrev_b32_e32 v1, 24, v1
	s_delay_alu instid0(VALU_DEP_2) | instskip(SKIP_1) | instid1(VALU_DEP_3)
	v_lshlrev_b32_e32 v2, 20, v14
	v_lshl_add_u32 v0, v0, 23, 0x3c000000
	v_and_b32_e32 v1, 0x80000000, v1
	s_delay_alu instid0(VALU_DEP_1)
	v_or3_b32 v1, v2, v1, v0
	v_mov_b32_e32 v0, v15
	scratch_store_b64 off, v[0:1], s32 offset:516 ; 8-byte Folded Spill
.LBB270_177:                            ;   in Loop: Header=BB270_16 Depth=1
	s_or_b32 exec_lo, exec_lo, s2
.LBB270_178:                            ;   in Loop: Header=BB270_16 Depth=1
	s_delay_alu instid0(SALU_CYCLE_1)
	s_or_b32 exec_lo, exec_lo, s24
.LBB270_179:                            ;   in Loop: Header=BB270_16 Depth=1
	s_delay_alu instid0(SALU_CYCLE_1)
	s_or_b32 exec_lo, exec_lo, s23
	flat_load_b32 v0, v[52:53] offset:516
	v_mov_b32_e32 v2, 0
	v_mov_b32_e32 v3, 0
	s_mov_b32 s2, exec_lo
	s_clause 0x1
	scratch_store_b64 off, v[2:3], s32 offset:532
	scratch_store_b64 off, v[2:3], s32 offset:540
	s_waitcnt vmcnt(0) lgkmcnt(0)
	v_and_b32_e32 v1, 0xff, v0
	s_delay_alu instid0(VALU_DEP_1)
	v_cmpx_ne_u16_e32 0, v1
	s_cbranch_execz .LBB270_187
; %bb.180:                              ;   in Loop: Header=BB270_16 Depth=1
	v_cmp_ne_u16_e64 s1, 0x80, v1
	v_bfrev_b32_e32 v1, 1
	v_mov_b32_e32 v2, 0
	scratch_store_b64 off, v[1:2], s32 offset:540 ; 8-byte Folded Spill
	s_and_saveexec_b32 s23, s1
	s_cbranch_execz .LBB270_186
; %bb.181:                              ;   in Loop: Header=BB270_16 Depth=1
	v_mov_b32_e32 v3, 0x7f800001
	v_and_b32_e32 v2, 0x7f, v0
	v_mov_b32_e32 v4, 0
	s_mov_b32 s24, exec_lo
	scratch_store_b64 off, v[3:4], s32 offset:540 ; 8-byte Folded Spill
	v_cmpx_ne_u32_e32 0x7f, v2
	s_cbranch_execz .LBB270_185
; %bb.182:                              ;   in Loop: Header=BB270_16 Depth=1
	v_and_b32_e32 v14, 7, v0
	v_lshrrev_b32_e32 v1, 3, v2
	s_mov_b32 s25, exec_lo
	v_cmpx_gt_u32_e32 8, v2
; %bb.183:                              ;   in Loop: Header=BB270_16 Depth=1
	s_delay_alu instid0(VALU_DEP_3) | instskip(NEXT) | instid1(VALU_DEP_1)
	v_clz_i32_u32_e32 v1, v14
	v_min_u32_e32 v1, 32, v1
	s_delay_alu instid0(VALU_DEP_1) | instskip(SKIP_1) | instid1(VALU_DEP_2)
	v_subrev_nc_u32_e32 v2, 28, v1
	v_sub_nc_u32_e32 v1, 29, v1
	v_lshlrev_b64 v[2:3], v2, v[14:15]
	s_delay_alu instid0(VALU_DEP_1)
	v_and_b32_e32 v14, 7, v2
; %bb.184:                              ;   in Loop: Header=BB270_16 Depth=1
	s_or_b32 exec_lo, exec_lo, s25
	v_lshlrev_b32_e32 v2, 24, v0
	s_delay_alu instid0(VALU_DEP_2) | instskip(SKIP_1) | instid1(VALU_DEP_3)
	v_lshlrev_b32_e32 v3, 20, v14
	v_lshl_add_u32 v1, v1, 23, 0x3c000000
	v_and_b32_e32 v2, 0x80000000, v2
	s_delay_alu instid0(VALU_DEP_1)
	v_or3_b32 v14, v3, v2, v1
	scratch_store_b64 off, v[14:15], s32 offset:540 ; 8-byte Folded Spill
.LBB270_185:                            ;   in Loop: Header=BB270_16 Depth=1
	s_or_b32 exec_lo, exec_lo, s24
.LBB270_186:                            ;   in Loop: Header=BB270_16 Depth=1
	s_delay_alu instid0(SALU_CYCLE_1)
	s_or_b32 exec_lo, exec_lo, s23
.LBB270_187:                            ;   in Loop: Header=BB270_16 Depth=1
	s_delay_alu instid0(SALU_CYCLE_1) | instskip(SKIP_2) | instid1(VALU_DEP_1)
	s_or_b32 exec_lo, exec_lo, s2
	v_lshrrev_b16 v1, 8, v0
	s_mov_b32 s23, exec_lo
	v_cmpx_ne_u16_e32 0, v1
	s_cbranch_execz .LBB270_195
; %bb.188:                              ;   in Loop: Header=BB270_16 Depth=1
	v_dual_mov_b32 v2, s8 :: v_dual_mov_b32 v3, s9
	s_mov_b32 s24, exec_lo
	scratch_store_b64 off, v[2:3], s32 offset:532 ; 8-byte Folded Spill
	v_cmpx_ne_u16_e32 0x80, v1
	s_cbranch_execz .LBB270_194
; %bb.189:                              ;   in Loop: Header=BB270_16 Depth=1
	s_mov_b32 s2, s8
	v_dual_mov_b32 v4, s3 :: v_dual_and_b32 v1, 0xffff, v1
	v_mov_b32_e32 v3, s2
	s_mov_b32 s2, exec_lo
	s_delay_alu instid0(VALU_DEP_2)
	v_and_b32_e32 v2, 0x7f, v1
	scratch_store_b64 off, v[3:4], s32 offset:532 ; 8-byte Folded Spill
	v_cmpx_ne_u32_e32 0x7f, v2
	s_cbranch_execz .LBB270_193
; %bb.190:                              ;   in Loop: Header=BB270_16 Depth=1
	v_and_b32_e32 v14, 7, v1
	v_lshrrev_b32_e32 v1, 3, v2
	s_mov_b32 s25, exec_lo
	v_cmpx_gt_u32_e32 8, v2
; %bb.191:                              ;   in Loop: Header=BB270_16 Depth=1
	s_delay_alu instid0(VALU_DEP_3) | instskip(NEXT) | instid1(VALU_DEP_1)
	v_clz_i32_u32_e32 v1, v14
	v_min_u32_e32 v1, 32, v1
	s_delay_alu instid0(VALU_DEP_1) | instskip(SKIP_1) | instid1(VALU_DEP_2)
	v_subrev_nc_u32_e32 v2, 28, v1
	v_sub_nc_u32_e32 v1, 29, v1
	v_lshlrev_b64 v[2:3], v2, v[14:15]
	s_delay_alu instid0(VALU_DEP_1)
	v_and_b32_e32 v14, 7, v2
; %bb.192:                              ;   in Loop: Header=BB270_16 Depth=1
	s_or_b32 exec_lo, exec_lo, s25
	v_lshlrev_b32_e32 v2, 16, v0
	s_delay_alu instid0(VALU_DEP_2) | instskip(SKIP_1) | instid1(VALU_DEP_3)
	v_lshlrev_b32_e32 v3, 20, v14
	v_lshl_add_u32 v1, v1, 23, 0x3c000000
	v_and_b32_e32 v2, 0x80000000, v2
	s_delay_alu instid0(VALU_DEP_1)
	v_or3_b32 v2, v3, v2, v1
	v_mov_b32_e32 v1, v15
	scratch_store_b64 off, v[1:2], s32 offset:532 ; 8-byte Folded Spill
.LBB270_193:                            ;   in Loop: Header=BB270_16 Depth=1
	s_or_b32 exec_lo, exec_lo, s2
.LBB270_194:                            ;   in Loop: Header=BB270_16 Depth=1
	s_delay_alu instid0(SALU_CYCLE_1)
	s_or_b32 exec_lo, exec_lo, s24
.LBB270_195:                            ;   in Loop: Header=BB270_16 Depth=1
	s_delay_alu instid0(SALU_CYCLE_1)
	s_or_b32 exec_lo, exec_lo, s23
	v_lshrrev_b32_e32 v1, 16, v0
	v_mov_b32_e32 v3, 0
	v_mov_b32_e32 v4, 0
	s_mov_b32 s2, exec_lo
	s_clause 0x1
	scratch_store_b64 off, v[3:4], s32 offset:548
	scratch_store_b64 off, v[3:4], s32 offset:556
	v_and_b32_e32 v2, 0xff, v1
	s_delay_alu instid0(VALU_DEP_1)
	v_cmpx_ne_u16_e32 0, v2
	s_cbranch_execz .LBB270_203
; %bb.196:                              ;   in Loop: Header=BB270_16 Depth=1
	v_cmp_ne_u16_e64 s1, 0x80, v2
	v_bfrev_b32_e32 v2, 1
	v_mov_b32_e32 v3, 0
	scratch_store_b64 off, v[2:3], s32 offset:556 ; 8-byte Folded Spill
	s_and_saveexec_b32 s23, s1
	s_cbranch_execz .LBB270_202
; %bb.197:                              ;   in Loop: Header=BB270_16 Depth=1
	v_mov_b32_e32 v4, 0x7f800001
	v_bfe_u32 v3, v0, 16, 7
	v_mov_b32_e32 v5, 0
	s_mov_b32 s24, exec_lo
	scratch_store_b64 off, v[4:5], s32 offset:556 ; 8-byte Folded Spill
	v_cmpx_ne_u32_e32 0x7f, v3
	s_cbranch_execz .LBB270_201
; %bb.198:                              ;   in Loop: Header=BB270_16 Depth=1
	v_and_b32_e32 v14, 7, v1
	v_lshrrev_b32_e32 v2, 3, v3
	s_mov_b32 s25, exec_lo
	v_cmpx_gt_u32_e32 8, v3
; %bb.199:                              ;   in Loop: Header=BB270_16 Depth=1
	s_delay_alu instid0(VALU_DEP_3) | instskip(NEXT) | instid1(VALU_DEP_1)
	v_clz_i32_u32_e32 v2, v14
	v_min_u32_e32 v2, 32, v2
	s_delay_alu instid0(VALU_DEP_1) | instskip(SKIP_1) | instid1(VALU_DEP_2)
	v_subrev_nc_u32_e32 v3, 28, v2
	v_sub_nc_u32_e32 v2, 29, v2
	v_lshlrev_b64 v[3:4], v3, v[14:15]
	s_delay_alu instid0(VALU_DEP_1)
	v_and_b32_e32 v14, 7, v3
; %bb.200:                              ;   in Loop: Header=BB270_16 Depth=1
	s_or_b32 exec_lo, exec_lo, s25
	v_lshlrev_b32_e32 v1, 24, v1
	s_delay_alu instid0(VALU_DEP_2) | instskip(SKIP_1) | instid1(VALU_DEP_3)
	v_lshlrev_b32_e32 v3, 20, v14
	v_lshl_add_u32 v2, v2, 23, 0x3c000000
	v_and_b32_e32 v1, 0x80000000, v1
	s_delay_alu instid0(VALU_DEP_1)
	v_or3_b32 v14, v3, v1, v2
	scratch_store_b64 off, v[14:15], s32 offset:556 ; 8-byte Folded Spill
.LBB270_201:                            ;   in Loop: Header=BB270_16 Depth=1
	s_or_b32 exec_lo, exec_lo, s24
.LBB270_202:                            ;   in Loop: Header=BB270_16 Depth=1
	s_delay_alu instid0(SALU_CYCLE_1)
	s_or_b32 exec_lo, exec_lo, s23
.LBB270_203:                            ;   in Loop: Header=BB270_16 Depth=1
	s_delay_alu instid0(SALU_CYCLE_1) | instskip(NEXT) | instid1(SALU_CYCLE_1)
	s_or_b32 exec_lo, exec_lo, s2
	s_mov_b32 s23, exec_lo
	v_cmpx_lt_u32_e32 0xffffff, v0
	s_cbranch_execz .LBB270_211
; %bb.204:                              ;   in Loop: Header=BB270_16 Depth=1
	v_lshrrev_b32_e32 v1, 24, v0
	v_dual_mov_b32 v2, s8 :: v_dual_mov_b32 v3, s9
	s_mov_b32 s24, exec_lo
	scratch_store_b64 off, v[2:3], s32 offset:548 ; 8-byte Folded Spill
	v_cmpx_ne_u32_e32 0x80, v1
	s_cbranch_execz .LBB270_210
; %bb.205:                              ;   in Loop: Header=BB270_16 Depth=1
	s_mov_b32 s2, s8
	v_bfe_u32 v2, v0, 24, 7
	v_dual_mov_b32 v4, s3 :: v_dual_mov_b32 v3, s2
	s_mov_b32 s2, exec_lo
	scratch_store_b64 off, v[3:4], s32 offset:548 ; 8-byte Folded Spill
	v_cmpx_ne_u32_e32 0x7f, v2
	s_cbranch_execz .LBB270_209
; %bb.206:                              ;   in Loop: Header=BB270_16 Depth=1
	v_and_b32_e32 v14, 7, v1
	v_lshrrev_b32_e32 v0, 3, v2
	s_mov_b32 s25, exec_lo
	v_cmpx_gt_u32_e32 8, v2
; %bb.207:                              ;   in Loop: Header=BB270_16 Depth=1
	s_delay_alu instid0(VALU_DEP_3) | instskip(NEXT) | instid1(VALU_DEP_1)
	v_clz_i32_u32_e32 v0, v14
	v_min_u32_e32 v0, 32, v0
	s_delay_alu instid0(VALU_DEP_1) | instskip(SKIP_1) | instid1(VALU_DEP_2)
	v_subrev_nc_u32_e32 v2, 28, v0
	v_sub_nc_u32_e32 v0, 29, v0
	v_lshlrev_b64 v[2:3], v2, v[14:15]
	s_delay_alu instid0(VALU_DEP_1)
	v_and_b32_e32 v14, 7, v2
; %bb.208:                              ;   in Loop: Header=BB270_16 Depth=1
	s_or_b32 exec_lo, exec_lo, s25
	v_lshlrev_b32_e32 v1, 24, v1
	s_delay_alu instid0(VALU_DEP_2) | instskip(SKIP_1) | instid1(VALU_DEP_3)
	v_lshlrev_b32_e32 v2, 20, v14
	v_lshl_add_u32 v0, v0, 23, 0x3c000000
	v_and_b32_e32 v1, 0x80000000, v1
	s_delay_alu instid0(VALU_DEP_1)
	v_or3_b32 v1, v2, v1, v0
	v_mov_b32_e32 v0, v15
	scratch_store_b64 off, v[0:1], s32 offset:548 ; 8-byte Folded Spill
.LBB270_209:                            ;   in Loop: Header=BB270_16 Depth=1
	s_or_b32 exec_lo, exec_lo, s2
.LBB270_210:                            ;   in Loop: Header=BB270_16 Depth=1
	s_delay_alu instid0(SALU_CYCLE_1)
	s_or_b32 exec_lo, exec_lo, s24
.LBB270_211:                            ;   in Loop: Header=BB270_16 Depth=1
	s_delay_alu instid0(SALU_CYCLE_1)
	s_or_b32 exec_lo, exec_lo, s23
	flat_load_b32 v0, v[52:53] offset:520
	v_mov_b32_e32 v2, 0
	v_mov_b32_e32 v3, 0
	s_mov_b32 s2, exec_lo
	s_clause 0x1
	scratch_store_b64 off, v[2:3], s32 offset:564
	scratch_store_b64 off, v[2:3], s32 offset:572
	s_waitcnt vmcnt(0) lgkmcnt(0)
	v_and_b32_e32 v1, 0xff, v0
	s_delay_alu instid0(VALU_DEP_1)
	v_cmpx_ne_u16_e32 0, v1
	s_cbranch_execz .LBB270_219
; %bb.212:                              ;   in Loop: Header=BB270_16 Depth=1
	v_cmp_ne_u16_e64 s1, 0x80, v1
	v_bfrev_b32_e32 v1, 1
	v_mov_b32_e32 v2, 0
	scratch_store_b64 off, v[1:2], s32 offset:572 ; 8-byte Folded Spill
	s_and_saveexec_b32 s23, s1
	s_cbranch_execz .LBB270_218
; %bb.213:                              ;   in Loop: Header=BB270_16 Depth=1
	v_mov_b32_e32 v3, 0x7f800001
	v_and_b32_e32 v2, 0x7f, v0
	v_mov_b32_e32 v4, 0
	s_mov_b32 s24, exec_lo
	scratch_store_b64 off, v[3:4], s32 offset:572 ; 8-byte Folded Spill
	v_cmpx_ne_u32_e32 0x7f, v2
	s_cbranch_execz .LBB270_217
; %bb.214:                              ;   in Loop: Header=BB270_16 Depth=1
	v_and_b32_e32 v14, 7, v0
	v_lshrrev_b32_e32 v1, 3, v2
	s_mov_b32 s25, exec_lo
	v_cmpx_gt_u32_e32 8, v2
; %bb.215:                              ;   in Loop: Header=BB270_16 Depth=1
	s_delay_alu instid0(VALU_DEP_3) | instskip(NEXT) | instid1(VALU_DEP_1)
	v_clz_i32_u32_e32 v1, v14
	v_min_u32_e32 v1, 32, v1
	s_delay_alu instid0(VALU_DEP_1) | instskip(SKIP_1) | instid1(VALU_DEP_2)
	v_subrev_nc_u32_e32 v2, 28, v1
	v_sub_nc_u32_e32 v1, 29, v1
	v_lshlrev_b64 v[2:3], v2, v[14:15]
	s_delay_alu instid0(VALU_DEP_1)
	v_and_b32_e32 v14, 7, v2
; %bb.216:                              ;   in Loop: Header=BB270_16 Depth=1
	s_or_b32 exec_lo, exec_lo, s25
	v_lshlrev_b32_e32 v2, 24, v0
	s_delay_alu instid0(VALU_DEP_2) | instskip(SKIP_1) | instid1(VALU_DEP_3)
	v_lshlrev_b32_e32 v3, 20, v14
	v_lshl_add_u32 v1, v1, 23, 0x3c000000
	v_and_b32_e32 v2, 0x80000000, v2
	s_delay_alu instid0(VALU_DEP_1)
	v_or3_b32 v14, v3, v2, v1
	scratch_store_b64 off, v[14:15], s32 offset:572 ; 8-byte Folded Spill
.LBB270_217:                            ;   in Loop: Header=BB270_16 Depth=1
	s_or_b32 exec_lo, exec_lo, s24
.LBB270_218:                            ;   in Loop: Header=BB270_16 Depth=1
	s_delay_alu instid0(SALU_CYCLE_1)
	s_or_b32 exec_lo, exec_lo, s23
.LBB270_219:                            ;   in Loop: Header=BB270_16 Depth=1
	s_delay_alu instid0(SALU_CYCLE_1) | instskip(SKIP_2) | instid1(VALU_DEP_1)
	s_or_b32 exec_lo, exec_lo, s2
	v_lshrrev_b16 v1, 8, v0
	s_mov_b32 s23, exec_lo
	v_cmpx_ne_u16_e32 0, v1
	s_cbranch_execz .LBB270_227
; %bb.220:                              ;   in Loop: Header=BB270_16 Depth=1
	v_dual_mov_b32 v2, s8 :: v_dual_mov_b32 v3, s9
	s_mov_b32 s24, exec_lo
	scratch_store_b64 off, v[2:3], s32 offset:564 ; 8-byte Folded Spill
	v_cmpx_ne_u16_e32 0x80, v1
	s_cbranch_execz .LBB270_226
; %bb.221:                              ;   in Loop: Header=BB270_16 Depth=1
	s_mov_b32 s2, s8
	v_dual_mov_b32 v4, s3 :: v_dual_and_b32 v1, 0xffff, v1
	v_mov_b32_e32 v3, s2
	s_mov_b32 s2, exec_lo
	s_delay_alu instid0(VALU_DEP_2)
	v_and_b32_e32 v2, 0x7f, v1
	scratch_store_b64 off, v[3:4], s32 offset:564 ; 8-byte Folded Spill
	v_cmpx_ne_u32_e32 0x7f, v2
	s_cbranch_execz .LBB270_225
; %bb.222:                              ;   in Loop: Header=BB270_16 Depth=1
	v_and_b32_e32 v14, 7, v1
	v_lshrrev_b32_e32 v1, 3, v2
	s_mov_b32 s25, exec_lo
	v_cmpx_gt_u32_e32 8, v2
; %bb.223:                              ;   in Loop: Header=BB270_16 Depth=1
	s_delay_alu instid0(VALU_DEP_3) | instskip(NEXT) | instid1(VALU_DEP_1)
	v_clz_i32_u32_e32 v1, v14
	v_min_u32_e32 v1, 32, v1
	s_delay_alu instid0(VALU_DEP_1) | instskip(SKIP_1) | instid1(VALU_DEP_2)
	v_subrev_nc_u32_e32 v2, 28, v1
	v_sub_nc_u32_e32 v1, 29, v1
	v_lshlrev_b64 v[2:3], v2, v[14:15]
	s_delay_alu instid0(VALU_DEP_1)
	v_and_b32_e32 v14, 7, v2
; %bb.224:                              ;   in Loop: Header=BB270_16 Depth=1
	s_or_b32 exec_lo, exec_lo, s25
	v_lshlrev_b32_e32 v2, 16, v0
	s_delay_alu instid0(VALU_DEP_2) | instskip(SKIP_1) | instid1(VALU_DEP_3)
	v_lshlrev_b32_e32 v3, 20, v14
	v_lshl_add_u32 v1, v1, 23, 0x3c000000
	v_and_b32_e32 v2, 0x80000000, v2
	s_delay_alu instid0(VALU_DEP_1)
	v_or3_b32 v2, v3, v2, v1
	v_mov_b32_e32 v1, v15
	scratch_store_b64 off, v[1:2], s32 offset:564 ; 8-byte Folded Spill
.LBB270_225:                            ;   in Loop: Header=BB270_16 Depth=1
	s_or_b32 exec_lo, exec_lo, s2
.LBB270_226:                            ;   in Loop: Header=BB270_16 Depth=1
	s_delay_alu instid0(SALU_CYCLE_1)
	s_or_b32 exec_lo, exec_lo, s24
.LBB270_227:                            ;   in Loop: Header=BB270_16 Depth=1
	s_delay_alu instid0(SALU_CYCLE_1)
	s_or_b32 exec_lo, exec_lo, s23
	v_lshrrev_b32_e32 v1, 16, v0
	v_mov_b32_e32 v3, 0
	v_mov_b32_e32 v4, 0
	s_mov_b32 s2, exec_lo
	s_clause 0x1
	scratch_store_b64 off, v[3:4], s32 offset:580
	scratch_store_b64 off, v[3:4], s32 offset:588
	v_and_b32_e32 v2, 0xff, v1
	s_delay_alu instid0(VALU_DEP_1)
	v_cmpx_ne_u16_e32 0, v2
	s_cbranch_execz .LBB270_235
; %bb.228:                              ;   in Loop: Header=BB270_16 Depth=1
	v_cmp_ne_u16_e64 s1, 0x80, v2
	v_bfrev_b32_e32 v2, 1
	v_mov_b32_e32 v3, 0
	scratch_store_b64 off, v[2:3], s32 offset:588 ; 8-byte Folded Spill
	s_and_saveexec_b32 s23, s1
	s_cbranch_execz .LBB270_234
; %bb.229:                              ;   in Loop: Header=BB270_16 Depth=1
	v_mov_b32_e32 v4, 0x7f800001
	v_bfe_u32 v3, v0, 16, 7
	v_mov_b32_e32 v5, 0
	s_mov_b32 s24, exec_lo
	scratch_store_b64 off, v[4:5], s32 offset:588 ; 8-byte Folded Spill
	v_cmpx_ne_u32_e32 0x7f, v3
	s_cbranch_execz .LBB270_233
; %bb.230:                              ;   in Loop: Header=BB270_16 Depth=1
	v_and_b32_e32 v14, 7, v1
	v_lshrrev_b32_e32 v2, 3, v3
	s_mov_b32 s25, exec_lo
	v_cmpx_gt_u32_e32 8, v3
; %bb.231:                              ;   in Loop: Header=BB270_16 Depth=1
	s_delay_alu instid0(VALU_DEP_3) | instskip(NEXT) | instid1(VALU_DEP_1)
	v_clz_i32_u32_e32 v2, v14
	v_min_u32_e32 v2, 32, v2
	s_delay_alu instid0(VALU_DEP_1) | instskip(SKIP_1) | instid1(VALU_DEP_2)
	v_subrev_nc_u32_e32 v3, 28, v2
	v_sub_nc_u32_e32 v2, 29, v2
	v_lshlrev_b64 v[3:4], v3, v[14:15]
	s_delay_alu instid0(VALU_DEP_1)
	v_and_b32_e32 v14, 7, v3
; %bb.232:                              ;   in Loop: Header=BB270_16 Depth=1
	s_or_b32 exec_lo, exec_lo, s25
	v_lshlrev_b32_e32 v1, 24, v1
	s_delay_alu instid0(VALU_DEP_2) | instskip(SKIP_1) | instid1(VALU_DEP_3)
	v_lshlrev_b32_e32 v3, 20, v14
	v_lshl_add_u32 v2, v2, 23, 0x3c000000
	v_and_b32_e32 v1, 0x80000000, v1
	s_delay_alu instid0(VALU_DEP_1)
	v_or3_b32 v14, v3, v1, v2
	scratch_store_b64 off, v[14:15], s32 offset:588 ; 8-byte Folded Spill
.LBB270_233:                            ;   in Loop: Header=BB270_16 Depth=1
	s_or_b32 exec_lo, exec_lo, s24
.LBB270_234:                            ;   in Loop: Header=BB270_16 Depth=1
	s_delay_alu instid0(SALU_CYCLE_1)
	s_or_b32 exec_lo, exec_lo, s23
.LBB270_235:                            ;   in Loop: Header=BB270_16 Depth=1
	s_delay_alu instid0(SALU_CYCLE_1) | instskip(NEXT) | instid1(SALU_CYCLE_1)
	s_or_b32 exec_lo, exec_lo, s2
	s_mov_b32 s23, exec_lo
	v_cmpx_lt_u32_e32 0xffffff, v0
	s_cbranch_execz .LBB270_243
; %bb.236:                              ;   in Loop: Header=BB270_16 Depth=1
	v_lshrrev_b32_e32 v1, 24, v0
	v_dual_mov_b32 v2, s8 :: v_dual_mov_b32 v3, s9
	s_mov_b32 s24, exec_lo
	scratch_store_b64 off, v[2:3], s32 offset:580 ; 8-byte Folded Spill
	v_cmpx_ne_u32_e32 0x80, v1
	s_cbranch_execz .LBB270_242
; %bb.237:                              ;   in Loop: Header=BB270_16 Depth=1
	s_mov_b32 s2, s8
	v_bfe_u32 v2, v0, 24, 7
	v_dual_mov_b32 v4, s3 :: v_dual_mov_b32 v3, s2
	s_mov_b32 s2, exec_lo
	scratch_store_b64 off, v[3:4], s32 offset:580 ; 8-byte Folded Spill
	v_cmpx_ne_u32_e32 0x7f, v2
	s_cbranch_execz .LBB270_241
; %bb.238:                              ;   in Loop: Header=BB270_16 Depth=1
	v_and_b32_e32 v14, 7, v1
	v_lshrrev_b32_e32 v0, 3, v2
	s_mov_b32 s25, exec_lo
	v_cmpx_gt_u32_e32 8, v2
; %bb.239:                              ;   in Loop: Header=BB270_16 Depth=1
	s_delay_alu instid0(VALU_DEP_3) | instskip(NEXT) | instid1(VALU_DEP_1)
	v_clz_i32_u32_e32 v0, v14
	v_min_u32_e32 v0, 32, v0
	s_delay_alu instid0(VALU_DEP_1) | instskip(SKIP_1) | instid1(VALU_DEP_2)
	v_subrev_nc_u32_e32 v2, 28, v0
	v_sub_nc_u32_e32 v0, 29, v0
	v_lshlrev_b64 v[2:3], v2, v[14:15]
	s_delay_alu instid0(VALU_DEP_1)
	v_and_b32_e32 v14, 7, v2
; %bb.240:                              ;   in Loop: Header=BB270_16 Depth=1
	s_or_b32 exec_lo, exec_lo, s25
	v_lshlrev_b32_e32 v1, 24, v1
	s_delay_alu instid0(VALU_DEP_2) | instskip(SKIP_1) | instid1(VALU_DEP_3)
	v_lshlrev_b32_e32 v2, 20, v14
	v_lshl_add_u32 v0, v0, 23, 0x3c000000
	v_and_b32_e32 v1, 0x80000000, v1
	s_delay_alu instid0(VALU_DEP_1)
	v_or3_b32 v1, v2, v1, v0
	v_mov_b32_e32 v0, v15
	scratch_store_b64 off, v[0:1], s32 offset:580 ; 8-byte Folded Spill
.LBB270_241:                            ;   in Loop: Header=BB270_16 Depth=1
	s_or_b32 exec_lo, exec_lo, s2
.LBB270_242:                            ;   in Loop: Header=BB270_16 Depth=1
	s_delay_alu instid0(SALU_CYCLE_1)
	s_or_b32 exec_lo, exec_lo, s24
.LBB270_243:                            ;   in Loop: Header=BB270_16 Depth=1
	s_delay_alu instid0(SALU_CYCLE_1)
	s_or_b32 exec_lo, exec_lo, s23
	flat_load_b32 v0, v[52:53] offset:524
	v_mov_b32_e32 v2, 0
	v_mov_b32_e32 v3, 0
	s_mov_b32 s2, exec_lo
	s_clause 0x1
	scratch_store_b64 off, v[2:3], s32 offset:596
	scratch_store_b64 off, v[2:3], s32 offset:604
	s_waitcnt vmcnt(0) lgkmcnt(0)
	v_and_b32_e32 v1, 0xff, v0
	s_delay_alu instid0(VALU_DEP_1)
	v_cmpx_ne_u16_e32 0, v1
	s_cbranch_execz .LBB270_251
; %bb.244:                              ;   in Loop: Header=BB270_16 Depth=1
	v_cmp_ne_u16_e64 s1, 0x80, v1
	v_bfrev_b32_e32 v1, 1
	v_mov_b32_e32 v2, 0
	scratch_store_b64 off, v[1:2], s32 offset:604 ; 8-byte Folded Spill
	s_and_saveexec_b32 s23, s1
	s_cbranch_execz .LBB270_250
; %bb.245:                              ;   in Loop: Header=BB270_16 Depth=1
	v_mov_b32_e32 v3, 0x7f800001
	v_and_b32_e32 v2, 0x7f, v0
	v_mov_b32_e32 v4, 0
	s_mov_b32 s24, exec_lo
	scratch_store_b64 off, v[3:4], s32 offset:604 ; 8-byte Folded Spill
	v_cmpx_ne_u32_e32 0x7f, v2
	s_cbranch_execz .LBB270_249
; %bb.246:                              ;   in Loop: Header=BB270_16 Depth=1
	v_and_b32_e32 v14, 7, v0
	v_lshrrev_b32_e32 v1, 3, v2
	s_mov_b32 s25, exec_lo
	v_cmpx_gt_u32_e32 8, v2
; %bb.247:                              ;   in Loop: Header=BB270_16 Depth=1
	s_delay_alu instid0(VALU_DEP_3) | instskip(NEXT) | instid1(VALU_DEP_1)
	v_clz_i32_u32_e32 v1, v14
	v_min_u32_e32 v1, 32, v1
	s_delay_alu instid0(VALU_DEP_1) | instskip(SKIP_1) | instid1(VALU_DEP_2)
	v_subrev_nc_u32_e32 v2, 28, v1
	v_sub_nc_u32_e32 v1, 29, v1
	v_lshlrev_b64 v[2:3], v2, v[14:15]
	s_delay_alu instid0(VALU_DEP_1)
	v_and_b32_e32 v14, 7, v2
; %bb.248:                              ;   in Loop: Header=BB270_16 Depth=1
	s_or_b32 exec_lo, exec_lo, s25
	v_lshlrev_b32_e32 v2, 24, v0
	s_delay_alu instid0(VALU_DEP_2) | instskip(SKIP_1) | instid1(VALU_DEP_3)
	v_lshlrev_b32_e32 v3, 20, v14
	v_lshl_add_u32 v1, v1, 23, 0x3c000000
	v_and_b32_e32 v2, 0x80000000, v2
	s_delay_alu instid0(VALU_DEP_1)
	v_or3_b32 v14, v3, v2, v1
	scratch_store_b64 off, v[14:15], s32 offset:604 ; 8-byte Folded Spill
.LBB270_249:                            ;   in Loop: Header=BB270_16 Depth=1
	s_or_b32 exec_lo, exec_lo, s24
.LBB270_250:                            ;   in Loop: Header=BB270_16 Depth=1
	s_delay_alu instid0(SALU_CYCLE_1)
	s_or_b32 exec_lo, exec_lo, s23
.LBB270_251:                            ;   in Loop: Header=BB270_16 Depth=1
	s_delay_alu instid0(SALU_CYCLE_1) | instskip(SKIP_2) | instid1(VALU_DEP_1)
	s_or_b32 exec_lo, exec_lo, s2
	v_lshrrev_b16 v1, 8, v0
	s_mov_b32 s23, exec_lo
	v_cmpx_ne_u16_e32 0, v1
	s_cbranch_execz .LBB270_259
; %bb.252:                              ;   in Loop: Header=BB270_16 Depth=1
	v_dual_mov_b32 v2, s8 :: v_dual_mov_b32 v3, s9
	s_mov_b32 s24, exec_lo
	scratch_store_b64 off, v[2:3], s32 offset:596 ; 8-byte Folded Spill
	v_cmpx_ne_u16_e32 0x80, v1
	s_cbranch_execz .LBB270_258
; %bb.253:                              ;   in Loop: Header=BB270_16 Depth=1
	s_mov_b32 s2, s8
	v_dual_mov_b32 v4, s3 :: v_dual_and_b32 v1, 0xffff, v1
	v_mov_b32_e32 v3, s2
	s_mov_b32 s2, exec_lo
	s_delay_alu instid0(VALU_DEP_2)
	v_and_b32_e32 v2, 0x7f, v1
	scratch_store_b64 off, v[3:4], s32 offset:596 ; 8-byte Folded Spill
	v_cmpx_ne_u32_e32 0x7f, v2
	s_cbranch_execz .LBB270_257
; %bb.254:                              ;   in Loop: Header=BB270_16 Depth=1
	v_and_b32_e32 v14, 7, v1
	v_lshrrev_b32_e32 v1, 3, v2
	s_mov_b32 s25, exec_lo
	v_cmpx_gt_u32_e32 8, v2
; %bb.255:                              ;   in Loop: Header=BB270_16 Depth=1
	s_delay_alu instid0(VALU_DEP_3) | instskip(NEXT) | instid1(VALU_DEP_1)
	v_clz_i32_u32_e32 v1, v14
	v_min_u32_e32 v1, 32, v1
	s_delay_alu instid0(VALU_DEP_1) | instskip(SKIP_1) | instid1(VALU_DEP_2)
	v_subrev_nc_u32_e32 v2, 28, v1
	v_sub_nc_u32_e32 v1, 29, v1
	v_lshlrev_b64 v[2:3], v2, v[14:15]
	s_delay_alu instid0(VALU_DEP_1)
	v_and_b32_e32 v14, 7, v2
; %bb.256:                              ;   in Loop: Header=BB270_16 Depth=1
	s_or_b32 exec_lo, exec_lo, s25
	v_lshlrev_b32_e32 v2, 16, v0
	s_delay_alu instid0(VALU_DEP_2) | instskip(SKIP_1) | instid1(VALU_DEP_3)
	v_lshlrev_b32_e32 v3, 20, v14
	v_lshl_add_u32 v1, v1, 23, 0x3c000000
	v_and_b32_e32 v2, 0x80000000, v2
	s_delay_alu instid0(VALU_DEP_1)
	v_or3_b32 v2, v3, v2, v1
	v_mov_b32_e32 v1, v15
	scratch_store_b64 off, v[1:2], s32 offset:596 ; 8-byte Folded Spill
.LBB270_257:                            ;   in Loop: Header=BB270_16 Depth=1
	s_or_b32 exec_lo, exec_lo, s2
.LBB270_258:                            ;   in Loop: Header=BB270_16 Depth=1
	s_delay_alu instid0(SALU_CYCLE_1)
	s_or_b32 exec_lo, exec_lo, s24
.LBB270_259:                            ;   in Loop: Header=BB270_16 Depth=1
	s_delay_alu instid0(SALU_CYCLE_1)
	s_or_b32 exec_lo, exec_lo, s23
	v_lshrrev_b32_e32 v1, 16, v0
	v_mov_b32_e32 v3, 0
	v_mov_b32_e32 v4, 0
	s_mov_b32 s2, exec_lo
	s_clause 0x1
	scratch_store_b64 off, v[3:4], s32 offset:612
	scratch_store_b64 off, v[3:4], s32 offset:620
	v_and_b32_e32 v2, 0xff, v1
	s_delay_alu instid0(VALU_DEP_1)
	v_cmpx_ne_u16_e32 0, v2
	s_cbranch_execz .LBB270_267
; %bb.260:                              ;   in Loop: Header=BB270_16 Depth=1
	v_cmp_ne_u16_e64 s1, 0x80, v2
	v_bfrev_b32_e32 v2, 1
	v_mov_b32_e32 v3, 0
	scratch_store_b64 off, v[2:3], s32 offset:620 ; 8-byte Folded Spill
	s_and_saveexec_b32 s23, s1
	s_cbranch_execz .LBB270_266
; %bb.261:                              ;   in Loop: Header=BB270_16 Depth=1
	v_mov_b32_e32 v4, 0x7f800001
	v_bfe_u32 v3, v0, 16, 7
	v_mov_b32_e32 v5, 0
	s_mov_b32 s24, exec_lo
	scratch_store_b64 off, v[4:5], s32 offset:620 ; 8-byte Folded Spill
	v_cmpx_ne_u32_e32 0x7f, v3
	s_cbranch_execz .LBB270_265
; %bb.262:                              ;   in Loop: Header=BB270_16 Depth=1
	v_and_b32_e32 v14, 7, v1
	v_lshrrev_b32_e32 v2, 3, v3
	s_mov_b32 s25, exec_lo
	v_cmpx_gt_u32_e32 8, v3
; %bb.263:                              ;   in Loop: Header=BB270_16 Depth=1
	s_delay_alu instid0(VALU_DEP_3) | instskip(NEXT) | instid1(VALU_DEP_1)
	v_clz_i32_u32_e32 v2, v14
	v_min_u32_e32 v2, 32, v2
	s_delay_alu instid0(VALU_DEP_1) | instskip(SKIP_1) | instid1(VALU_DEP_2)
	v_subrev_nc_u32_e32 v3, 28, v2
	v_sub_nc_u32_e32 v2, 29, v2
	v_lshlrev_b64 v[3:4], v3, v[14:15]
	s_delay_alu instid0(VALU_DEP_1)
	v_and_b32_e32 v14, 7, v3
; %bb.264:                              ;   in Loop: Header=BB270_16 Depth=1
	s_or_b32 exec_lo, exec_lo, s25
	v_lshlrev_b32_e32 v1, 24, v1
	s_delay_alu instid0(VALU_DEP_2) | instskip(SKIP_1) | instid1(VALU_DEP_3)
	v_lshlrev_b32_e32 v3, 20, v14
	v_lshl_add_u32 v2, v2, 23, 0x3c000000
	v_and_b32_e32 v1, 0x80000000, v1
	s_delay_alu instid0(VALU_DEP_1)
	v_or3_b32 v14, v3, v1, v2
	scratch_store_b64 off, v[14:15], s32 offset:620 ; 8-byte Folded Spill
.LBB270_265:                            ;   in Loop: Header=BB270_16 Depth=1
	s_or_b32 exec_lo, exec_lo, s24
.LBB270_266:                            ;   in Loop: Header=BB270_16 Depth=1
	s_delay_alu instid0(SALU_CYCLE_1)
	s_or_b32 exec_lo, exec_lo, s23
.LBB270_267:                            ;   in Loop: Header=BB270_16 Depth=1
	s_delay_alu instid0(SALU_CYCLE_1) | instskip(NEXT) | instid1(SALU_CYCLE_1)
	s_or_b32 exec_lo, exec_lo, s2
	s_mov_b32 s23, exec_lo
	v_cmpx_lt_u32_e32 0xffffff, v0
	s_cbranch_execz .LBB270_275
; %bb.268:                              ;   in Loop: Header=BB270_16 Depth=1
	v_lshrrev_b32_e32 v1, 24, v0
	v_dual_mov_b32 v2, s8 :: v_dual_mov_b32 v3, s9
	s_mov_b32 s24, exec_lo
	scratch_store_b64 off, v[2:3], s32 offset:612 ; 8-byte Folded Spill
	v_cmpx_ne_u32_e32 0x80, v1
	s_cbranch_execz .LBB270_274
; %bb.269:                              ;   in Loop: Header=BB270_16 Depth=1
	s_mov_b32 s2, s8
	v_bfe_u32 v2, v0, 24, 7
	v_dual_mov_b32 v4, s3 :: v_dual_mov_b32 v3, s2
	s_mov_b32 s2, exec_lo
	scratch_store_b64 off, v[3:4], s32 offset:612 ; 8-byte Folded Spill
	v_cmpx_ne_u32_e32 0x7f, v2
	s_cbranch_execz .LBB270_273
; %bb.270:                              ;   in Loop: Header=BB270_16 Depth=1
	v_and_b32_e32 v14, 7, v1
	v_lshrrev_b32_e32 v0, 3, v2
	s_mov_b32 s25, exec_lo
	v_cmpx_gt_u32_e32 8, v2
; %bb.271:                              ;   in Loop: Header=BB270_16 Depth=1
	s_delay_alu instid0(VALU_DEP_3) | instskip(NEXT) | instid1(VALU_DEP_1)
	v_clz_i32_u32_e32 v0, v14
	v_min_u32_e32 v0, 32, v0
	s_delay_alu instid0(VALU_DEP_1) | instskip(SKIP_1) | instid1(VALU_DEP_2)
	v_subrev_nc_u32_e32 v2, 28, v0
	v_sub_nc_u32_e32 v0, 29, v0
	v_lshlrev_b64 v[2:3], v2, v[14:15]
	s_delay_alu instid0(VALU_DEP_1)
	v_and_b32_e32 v14, 7, v2
; %bb.272:                              ;   in Loop: Header=BB270_16 Depth=1
	s_or_b32 exec_lo, exec_lo, s25
	v_lshlrev_b32_e32 v1, 24, v1
	s_delay_alu instid0(VALU_DEP_2) | instskip(SKIP_1) | instid1(VALU_DEP_3)
	v_lshlrev_b32_e32 v2, 20, v14
	v_lshl_add_u32 v0, v0, 23, 0x3c000000
	v_and_b32_e32 v1, 0x80000000, v1
	s_delay_alu instid0(VALU_DEP_1)
	v_or3_b32 v1, v2, v1, v0
	v_mov_b32_e32 v0, v15
	scratch_store_b64 off, v[0:1], s32 offset:612 ; 8-byte Folded Spill
.LBB270_273:                            ;   in Loop: Header=BB270_16 Depth=1
	s_or_b32 exec_lo, exec_lo, s2
.LBB270_274:                            ;   in Loop: Header=BB270_16 Depth=1
	s_delay_alu instid0(SALU_CYCLE_1)
	s_or_b32 exec_lo, exec_lo, s24
.LBB270_275:                            ;   in Loop: Header=BB270_16 Depth=1
	s_delay_alu instid0(SALU_CYCLE_1)
	s_or_b32 exec_lo, exec_lo, s23
	flat_load_b32 v0, v[52:53] offset:1024
	v_mov_b32_e32 v2, 0
	v_mov_b32_e32 v3, 0
	s_mov_b32 s2, exec_lo
	s_clause 0x1
	scratch_store_b64 off, v[2:3], s32 offset:628
	scratch_store_b64 off, v[2:3], s32 offset:636
	s_waitcnt vmcnt(0) lgkmcnt(0)
	v_and_b32_e32 v1, 0xff, v0
	s_delay_alu instid0(VALU_DEP_1)
	v_cmpx_ne_u16_e32 0, v1
	s_cbranch_execz .LBB270_283
; %bb.276:                              ;   in Loop: Header=BB270_16 Depth=1
	v_cmp_ne_u16_e64 s1, 0x80, v1
	v_bfrev_b32_e32 v1, 1
	v_mov_b32_e32 v2, 0
	scratch_store_b64 off, v[1:2], s32 offset:636 ; 8-byte Folded Spill
	s_and_saveexec_b32 s23, s1
	s_cbranch_execz .LBB270_282
; %bb.277:                              ;   in Loop: Header=BB270_16 Depth=1
	v_mov_b32_e32 v3, 0x7f800001
	v_and_b32_e32 v2, 0x7f, v0
	v_mov_b32_e32 v4, 0
	s_mov_b32 s24, exec_lo
	scratch_store_b64 off, v[3:4], s32 offset:636 ; 8-byte Folded Spill
	v_cmpx_ne_u32_e32 0x7f, v2
	s_cbranch_execz .LBB270_281
; %bb.278:                              ;   in Loop: Header=BB270_16 Depth=1
	v_and_b32_e32 v14, 7, v0
	v_lshrrev_b32_e32 v1, 3, v2
	s_mov_b32 s25, exec_lo
	v_cmpx_gt_u32_e32 8, v2
; %bb.279:                              ;   in Loop: Header=BB270_16 Depth=1
	s_delay_alu instid0(VALU_DEP_3) | instskip(NEXT) | instid1(VALU_DEP_1)
	v_clz_i32_u32_e32 v1, v14
	v_min_u32_e32 v1, 32, v1
	s_delay_alu instid0(VALU_DEP_1) | instskip(SKIP_1) | instid1(VALU_DEP_2)
	v_subrev_nc_u32_e32 v2, 28, v1
	v_sub_nc_u32_e32 v1, 29, v1
	v_lshlrev_b64 v[2:3], v2, v[14:15]
	s_delay_alu instid0(VALU_DEP_1)
	v_and_b32_e32 v14, 7, v2
; %bb.280:                              ;   in Loop: Header=BB270_16 Depth=1
	s_or_b32 exec_lo, exec_lo, s25
	v_lshlrev_b32_e32 v2, 24, v0
	s_delay_alu instid0(VALU_DEP_2) | instskip(SKIP_1) | instid1(VALU_DEP_3)
	v_lshlrev_b32_e32 v3, 20, v14
	v_lshl_add_u32 v1, v1, 23, 0x3c000000
	v_and_b32_e32 v2, 0x80000000, v2
	s_delay_alu instid0(VALU_DEP_1)
	v_or3_b32 v14, v3, v2, v1
	scratch_store_b64 off, v[14:15], s32 offset:636 ; 8-byte Folded Spill
.LBB270_281:                            ;   in Loop: Header=BB270_16 Depth=1
	s_or_b32 exec_lo, exec_lo, s24
.LBB270_282:                            ;   in Loop: Header=BB270_16 Depth=1
	s_delay_alu instid0(SALU_CYCLE_1)
	s_or_b32 exec_lo, exec_lo, s23
.LBB270_283:                            ;   in Loop: Header=BB270_16 Depth=1
	s_delay_alu instid0(SALU_CYCLE_1) | instskip(SKIP_2) | instid1(VALU_DEP_1)
	s_or_b32 exec_lo, exec_lo, s2
	v_lshrrev_b16 v1, 8, v0
	s_mov_b32 s23, exec_lo
	v_cmpx_ne_u16_e32 0, v1
	s_cbranch_execz .LBB270_291
; %bb.284:                              ;   in Loop: Header=BB270_16 Depth=1
	v_dual_mov_b32 v2, s8 :: v_dual_mov_b32 v3, s9
	s_mov_b32 s24, exec_lo
	scratch_store_b64 off, v[2:3], s32 offset:628 ; 8-byte Folded Spill
	v_cmpx_ne_u16_e32 0x80, v1
	s_cbranch_execz .LBB270_290
; %bb.285:                              ;   in Loop: Header=BB270_16 Depth=1
	s_mov_b32 s2, s8
	v_dual_mov_b32 v4, s3 :: v_dual_and_b32 v1, 0xffff, v1
	v_mov_b32_e32 v3, s2
	s_mov_b32 s2, exec_lo
	s_delay_alu instid0(VALU_DEP_2)
	v_and_b32_e32 v2, 0x7f, v1
	scratch_store_b64 off, v[3:4], s32 offset:628 ; 8-byte Folded Spill
	v_cmpx_ne_u32_e32 0x7f, v2
	s_cbranch_execz .LBB270_289
; %bb.286:                              ;   in Loop: Header=BB270_16 Depth=1
	v_and_b32_e32 v14, 7, v1
	v_lshrrev_b32_e32 v1, 3, v2
	s_mov_b32 s25, exec_lo
	v_cmpx_gt_u32_e32 8, v2
; %bb.287:                              ;   in Loop: Header=BB270_16 Depth=1
	s_delay_alu instid0(VALU_DEP_3) | instskip(NEXT) | instid1(VALU_DEP_1)
	v_clz_i32_u32_e32 v1, v14
	v_min_u32_e32 v1, 32, v1
	s_delay_alu instid0(VALU_DEP_1) | instskip(SKIP_1) | instid1(VALU_DEP_2)
	v_subrev_nc_u32_e32 v2, 28, v1
	v_sub_nc_u32_e32 v1, 29, v1
	v_lshlrev_b64 v[2:3], v2, v[14:15]
	s_delay_alu instid0(VALU_DEP_1)
	v_and_b32_e32 v14, 7, v2
; %bb.288:                              ;   in Loop: Header=BB270_16 Depth=1
	s_or_b32 exec_lo, exec_lo, s25
	v_lshlrev_b32_e32 v2, 16, v0
	s_delay_alu instid0(VALU_DEP_2) | instskip(SKIP_1) | instid1(VALU_DEP_3)
	v_lshlrev_b32_e32 v3, 20, v14
	v_lshl_add_u32 v1, v1, 23, 0x3c000000
	v_and_b32_e32 v2, 0x80000000, v2
	s_delay_alu instid0(VALU_DEP_1)
	v_or3_b32 v2, v3, v2, v1
	v_mov_b32_e32 v1, v15
	scratch_store_b64 off, v[1:2], s32 offset:628 ; 8-byte Folded Spill
.LBB270_289:                            ;   in Loop: Header=BB270_16 Depth=1
	s_or_b32 exec_lo, exec_lo, s2
.LBB270_290:                            ;   in Loop: Header=BB270_16 Depth=1
	s_delay_alu instid0(SALU_CYCLE_1)
	s_or_b32 exec_lo, exec_lo, s24
.LBB270_291:                            ;   in Loop: Header=BB270_16 Depth=1
	s_delay_alu instid0(SALU_CYCLE_1)
	s_or_b32 exec_lo, exec_lo, s23
	v_lshrrev_b32_e32 v1, 16, v0
	v_mov_b32_e32 v3, 0
	v_mov_b32_e32 v4, 0
	s_mov_b32 s2, exec_lo
	s_clause 0x1
	scratch_store_b64 off, v[3:4], s32 offset:644
	scratch_store_b64 off, v[3:4], s32 offset:652
	v_and_b32_e32 v2, 0xff, v1
	s_delay_alu instid0(VALU_DEP_1)
	v_cmpx_ne_u16_e32 0, v2
	s_cbranch_execz .LBB270_299
; %bb.292:                              ;   in Loop: Header=BB270_16 Depth=1
	v_cmp_ne_u16_e64 s1, 0x80, v2
	v_bfrev_b32_e32 v2, 1
	v_mov_b32_e32 v3, 0
	scratch_store_b64 off, v[2:3], s32 offset:652 ; 8-byte Folded Spill
	s_and_saveexec_b32 s23, s1
	s_cbranch_execz .LBB270_298
; %bb.293:                              ;   in Loop: Header=BB270_16 Depth=1
	v_mov_b32_e32 v4, 0x7f800001
	v_bfe_u32 v3, v0, 16, 7
	v_mov_b32_e32 v5, 0
	s_mov_b32 s24, exec_lo
	scratch_store_b64 off, v[4:5], s32 offset:652 ; 8-byte Folded Spill
	v_cmpx_ne_u32_e32 0x7f, v3
	s_cbranch_execz .LBB270_297
; %bb.294:                              ;   in Loop: Header=BB270_16 Depth=1
	v_and_b32_e32 v14, 7, v1
	v_lshrrev_b32_e32 v2, 3, v3
	s_mov_b32 s25, exec_lo
	v_cmpx_gt_u32_e32 8, v3
; %bb.295:                              ;   in Loop: Header=BB270_16 Depth=1
	s_delay_alu instid0(VALU_DEP_3) | instskip(NEXT) | instid1(VALU_DEP_1)
	v_clz_i32_u32_e32 v2, v14
	v_min_u32_e32 v2, 32, v2
	s_delay_alu instid0(VALU_DEP_1) | instskip(SKIP_1) | instid1(VALU_DEP_2)
	v_subrev_nc_u32_e32 v3, 28, v2
	v_sub_nc_u32_e32 v2, 29, v2
	v_lshlrev_b64 v[3:4], v3, v[14:15]
	s_delay_alu instid0(VALU_DEP_1)
	v_and_b32_e32 v14, 7, v3
; %bb.296:                              ;   in Loop: Header=BB270_16 Depth=1
	s_or_b32 exec_lo, exec_lo, s25
	v_lshlrev_b32_e32 v1, 24, v1
	s_delay_alu instid0(VALU_DEP_2) | instskip(SKIP_1) | instid1(VALU_DEP_3)
	v_lshlrev_b32_e32 v3, 20, v14
	v_lshl_add_u32 v2, v2, 23, 0x3c000000
	v_and_b32_e32 v1, 0x80000000, v1
	s_delay_alu instid0(VALU_DEP_1)
	v_or3_b32 v14, v3, v1, v2
	scratch_store_b64 off, v[14:15], s32 offset:652 ; 8-byte Folded Spill
.LBB270_297:                            ;   in Loop: Header=BB270_16 Depth=1
	s_or_b32 exec_lo, exec_lo, s24
.LBB270_298:                            ;   in Loop: Header=BB270_16 Depth=1
	s_delay_alu instid0(SALU_CYCLE_1)
	s_or_b32 exec_lo, exec_lo, s23
.LBB270_299:                            ;   in Loop: Header=BB270_16 Depth=1
	s_delay_alu instid0(SALU_CYCLE_1) | instskip(NEXT) | instid1(SALU_CYCLE_1)
	s_or_b32 exec_lo, exec_lo, s2
	s_mov_b32 s23, exec_lo
	v_cmpx_lt_u32_e32 0xffffff, v0
	s_cbranch_execz .LBB270_307
; %bb.300:                              ;   in Loop: Header=BB270_16 Depth=1
	v_lshrrev_b32_e32 v1, 24, v0
	v_dual_mov_b32 v2, s8 :: v_dual_mov_b32 v3, s9
	s_mov_b32 s24, exec_lo
	scratch_store_b64 off, v[2:3], s32 offset:644 ; 8-byte Folded Spill
	v_cmpx_ne_u32_e32 0x80, v1
	s_cbranch_execz .LBB270_306
; %bb.301:                              ;   in Loop: Header=BB270_16 Depth=1
	s_mov_b32 s2, s8
	v_bfe_u32 v2, v0, 24, 7
	v_dual_mov_b32 v4, s3 :: v_dual_mov_b32 v3, s2
	s_mov_b32 s2, exec_lo
	scratch_store_b64 off, v[3:4], s32 offset:644 ; 8-byte Folded Spill
	v_cmpx_ne_u32_e32 0x7f, v2
	s_cbranch_execz .LBB270_305
; %bb.302:                              ;   in Loop: Header=BB270_16 Depth=1
	v_and_b32_e32 v14, 7, v1
	v_lshrrev_b32_e32 v0, 3, v2
	s_mov_b32 s25, exec_lo
	v_cmpx_gt_u32_e32 8, v2
; %bb.303:                              ;   in Loop: Header=BB270_16 Depth=1
	s_delay_alu instid0(VALU_DEP_3) | instskip(NEXT) | instid1(VALU_DEP_1)
	v_clz_i32_u32_e32 v0, v14
	v_min_u32_e32 v0, 32, v0
	s_delay_alu instid0(VALU_DEP_1) | instskip(SKIP_1) | instid1(VALU_DEP_2)
	v_subrev_nc_u32_e32 v2, 28, v0
	v_sub_nc_u32_e32 v0, 29, v0
	v_lshlrev_b64 v[2:3], v2, v[14:15]
	s_delay_alu instid0(VALU_DEP_1)
	v_and_b32_e32 v14, 7, v2
; %bb.304:                              ;   in Loop: Header=BB270_16 Depth=1
	s_or_b32 exec_lo, exec_lo, s25
	v_lshlrev_b32_e32 v1, 24, v1
	s_delay_alu instid0(VALU_DEP_2) | instskip(SKIP_1) | instid1(VALU_DEP_3)
	v_lshlrev_b32_e32 v2, 20, v14
	v_lshl_add_u32 v0, v0, 23, 0x3c000000
	v_and_b32_e32 v1, 0x80000000, v1
	s_delay_alu instid0(VALU_DEP_1)
	v_or3_b32 v1, v2, v1, v0
	v_mov_b32_e32 v0, v15
	scratch_store_b64 off, v[0:1], s32 offset:644 ; 8-byte Folded Spill
.LBB270_305:                            ;   in Loop: Header=BB270_16 Depth=1
	s_or_b32 exec_lo, exec_lo, s2
.LBB270_306:                            ;   in Loop: Header=BB270_16 Depth=1
	s_delay_alu instid0(SALU_CYCLE_1)
	s_or_b32 exec_lo, exec_lo, s24
.LBB270_307:                            ;   in Loop: Header=BB270_16 Depth=1
	s_delay_alu instid0(SALU_CYCLE_1)
	s_or_b32 exec_lo, exec_lo, s23
	flat_load_b32 v0, v[52:53] offset:1028
	v_mov_b32_e32 v2, 0
	v_mov_b32_e32 v3, 0
	s_mov_b32 s2, exec_lo
	s_clause 0x1
	scratch_store_b64 off, v[2:3], s32 offset:660
	scratch_store_b64 off, v[2:3], s32 offset:668
	s_waitcnt vmcnt(0) lgkmcnt(0)
	v_and_b32_e32 v1, 0xff, v0
	s_delay_alu instid0(VALU_DEP_1)
	v_cmpx_ne_u16_e32 0, v1
	s_cbranch_execz .LBB270_315
; %bb.308:                              ;   in Loop: Header=BB270_16 Depth=1
	v_cmp_ne_u16_e64 s1, 0x80, v1
	v_bfrev_b32_e32 v1, 1
	v_mov_b32_e32 v2, 0
	scratch_store_b64 off, v[1:2], s32 offset:668 ; 8-byte Folded Spill
	s_and_saveexec_b32 s23, s1
	s_cbranch_execz .LBB270_314
; %bb.309:                              ;   in Loop: Header=BB270_16 Depth=1
	v_mov_b32_e32 v3, 0x7f800001
	v_and_b32_e32 v2, 0x7f, v0
	v_mov_b32_e32 v4, 0
	s_mov_b32 s24, exec_lo
	scratch_store_b64 off, v[3:4], s32 offset:668 ; 8-byte Folded Spill
	v_cmpx_ne_u32_e32 0x7f, v2
	s_cbranch_execz .LBB270_313
; %bb.310:                              ;   in Loop: Header=BB270_16 Depth=1
	v_and_b32_e32 v14, 7, v0
	v_lshrrev_b32_e32 v1, 3, v2
	s_mov_b32 s25, exec_lo
	v_cmpx_gt_u32_e32 8, v2
; %bb.311:                              ;   in Loop: Header=BB270_16 Depth=1
	s_delay_alu instid0(VALU_DEP_3) | instskip(NEXT) | instid1(VALU_DEP_1)
	v_clz_i32_u32_e32 v1, v14
	v_min_u32_e32 v1, 32, v1
	s_delay_alu instid0(VALU_DEP_1) | instskip(SKIP_1) | instid1(VALU_DEP_2)
	v_subrev_nc_u32_e32 v2, 28, v1
	v_sub_nc_u32_e32 v1, 29, v1
	v_lshlrev_b64 v[2:3], v2, v[14:15]
	s_delay_alu instid0(VALU_DEP_1)
	v_and_b32_e32 v14, 7, v2
; %bb.312:                              ;   in Loop: Header=BB270_16 Depth=1
	s_or_b32 exec_lo, exec_lo, s25
	v_lshlrev_b32_e32 v2, 24, v0
	s_delay_alu instid0(VALU_DEP_2) | instskip(SKIP_1) | instid1(VALU_DEP_3)
	v_lshlrev_b32_e32 v3, 20, v14
	v_lshl_add_u32 v1, v1, 23, 0x3c000000
	v_and_b32_e32 v2, 0x80000000, v2
	s_delay_alu instid0(VALU_DEP_1)
	v_or3_b32 v14, v3, v2, v1
	scratch_store_b64 off, v[14:15], s32 offset:668 ; 8-byte Folded Spill
.LBB270_313:                            ;   in Loop: Header=BB270_16 Depth=1
	s_or_b32 exec_lo, exec_lo, s24
.LBB270_314:                            ;   in Loop: Header=BB270_16 Depth=1
	s_delay_alu instid0(SALU_CYCLE_1)
	s_or_b32 exec_lo, exec_lo, s23
.LBB270_315:                            ;   in Loop: Header=BB270_16 Depth=1
	s_delay_alu instid0(SALU_CYCLE_1) | instskip(SKIP_2) | instid1(VALU_DEP_1)
	s_or_b32 exec_lo, exec_lo, s2
	v_lshrrev_b16 v1, 8, v0
	s_mov_b32 s23, exec_lo
	v_cmpx_ne_u16_e32 0, v1
	s_cbranch_execz .LBB270_323
; %bb.316:                              ;   in Loop: Header=BB270_16 Depth=1
	v_dual_mov_b32 v2, s8 :: v_dual_mov_b32 v3, s9
	s_mov_b32 s24, exec_lo
	scratch_store_b64 off, v[2:3], s32 offset:660 ; 8-byte Folded Spill
	v_cmpx_ne_u16_e32 0x80, v1
	s_cbranch_execz .LBB270_322
; %bb.317:                              ;   in Loop: Header=BB270_16 Depth=1
	s_mov_b32 s2, s8
	v_dual_mov_b32 v4, s3 :: v_dual_and_b32 v1, 0xffff, v1
	v_mov_b32_e32 v3, s2
	s_mov_b32 s2, exec_lo
	s_delay_alu instid0(VALU_DEP_2)
	v_and_b32_e32 v2, 0x7f, v1
	scratch_store_b64 off, v[3:4], s32 offset:660 ; 8-byte Folded Spill
	v_cmpx_ne_u32_e32 0x7f, v2
	s_cbranch_execz .LBB270_321
; %bb.318:                              ;   in Loop: Header=BB270_16 Depth=1
	v_and_b32_e32 v14, 7, v1
	v_lshrrev_b32_e32 v1, 3, v2
	s_mov_b32 s25, exec_lo
	v_cmpx_gt_u32_e32 8, v2
; %bb.319:                              ;   in Loop: Header=BB270_16 Depth=1
	s_delay_alu instid0(VALU_DEP_3) | instskip(NEXT) | instid1(VALU_DEP_1)
	v_clz_i32_u32_e32 v1, v14
	v_min_u32_e32 v1, 32, v1
	s_delay_alu instid0(VALU_DEP_1) | instskip(SKIP_1) | instid1(VALU_DEP_2)
	v_subrev_nc_u32_e32 v2, 28, v1
	v_sub_nc_u32_e32 v1, 29, v1
	v_lshlrev_b64 v[2:3], v2, v[14:15]
	s_delay_alu instid0(VALU_DEP_1)
	v_and_b32_e32 v14, 7, v2
; %bb.320:                              ;   in Loop: Header=BB270_16 Depth=1
	s_or_b32 exec_lo, exec_lo, s25
	v_lshlrev_b32_e32 v2, 16, v0
	s_delay_alu instid0(VALU_DEP_2) | instskip(SKIP_1) | instid1(VALU_DEP_3)
	v_lshlrev_b32_e32 v3, 20, v14
	v_lshl_add_u32 v1, v1, 23, 0x3c000000
	v_and_b32_e32 v2, 0x80000000, v2
	s_delay_alu instid0(VALU_DEP_1)
	v_or3_b32 v2, v3, v2, v1
	v_mov_b32_e32 v1, v15
	scratch_store_b64 off, v[1:2], s32 offset:660 ; 8-byte Folded Spill
.LBB270_321:                            ;   in Loop: Header=BB270_16 Depth=1
	s_or_b32 exec_lo, exec_lo, s2
.LBB270_322:                            ;   in Loop: Header=BB270_16 Depth=1
	s_delay_alu instid0(SALU_CYCLE_1)
	s_or_b32 exec_lo, exec_lo, s24
.LBB270_323:                            ;   in Loop: Header=BB270_16 Depth=1
	s_delay_alu instid0(SALU_CYCLE_1)
	s_or_b32 exec_lo, exec_lo, s23
	v_lshrrev_b32_e32 v1, 16, v0
	v_mov_b32_e32 v3, 0
	v_mov_b32_e32 v4, 0
	s_mov_b32 s2, exec_lo
	s_clause 0x1
	scratch_store_b64 off, v[3:4], s32 offset:676
	scratch_store_b64 off, v[3:4], s32 offset:684
	v_and_b32_e32 v2, 0xff, v1
	s_delay_alu instid0(VALU_DEP_1)
	v_cmpx_ne_u16_e32 0, v2
	s_cbranch_execz .LBB270_331
; %bb.324:                              ;   in Loop: Header=BB270_16 Depth=1
	v_cmp_ne_u16_e64 s1, 0x80, v2
	v_bfrev_b32_e32 v2, 1
	v_mov_b32_e32 v3, 0
	scratch_store_b64 off, v[2:3], s32 offset:684 ; 8-byte Folded Spill
	s_and_saveexec_b32 s23, s1
	s_cbranch_execz .LBB270_330
; %bb.325:                              ;   in Loop: Header=BB270_16 Depth=1
	v_mov_b32_e32 v4, 0x7f800001
	v_bfe_u32 v3, v0, 16, 7
	v_mov_b32_e32 v5, 0
	s_mov_b32 s24, exec_lo
	scratch_store_b64 off, v[4:5], s32 offset:684 ; 8-byte Folded Spill
	v_cmpx_ne_u32_e32 0x7f, v3
	s_cbranch_execz .LBB270_329
; %bb.326:                              ;   in Loop: Header=BB270_16 Depth=1
	v_and_b32_e32 v14, 7, v1
	v_lshrrev_b32_e32 v2, 3, v3
	s_mov_b32 s25, exec_lo
	v_cmpx_gt_u32_e32 8, v3
; %bb.327:                              ;   in Loop: Header=BB270_16 Depth=1
	s_delay_alu instid0(VALU_DEP_3) | instskip(NEXT) | instid1(VALU_DEP_1)
	v_clz_i32_u32_e32 v2, v14
	v_min_u32_e32 v2, 32, v2
	s_delay_alu instid0(VALU_DEP_1) | instskip(SKIP_1) | instid1(VALU_DEP_2)
	v_subrev_nc_u32_e32 v3, 28, v2
	v_sub_nc_u32_e32 v2, 29, v2
	v_lshlrev_b64 v[3:4], v3, v[14:15]
	s_delay_alu instid0(VALU_DEP_1)
	v_and_b32_e32 v14, 7, v3
; %bb.328:                              ;   in Loop: Header=BB270_16 Depth=1
	s_or_b32 exec_lo, exec_lo, s25
	v_lshlrev_b32_e32 v1, 24, v1
	s_delay_alu instid0(VALU_DEP_2) | instskip(SKIP_1) | instid1(VALU_DEP_3)
	v_lshlrev_b32_e32 v3, 20, v14
	v_lshl_add_u32 v2, v2, 23, 0x3c000000
	v_and_b32_e32 v1, 0x80000000, v1
	s_delay_alu instid0(VALU_DEP_1)
	v_or3_b32 v14, v3, v1, v2
	scratch_store_b64 off, v[14:15], s32 offset:684 ; 8-byte Folded Spill
.LBB270_329:                            ;   in Loop: Header=BB270_16 Depth=1
	s_or_b32 exec_lo, exec_lo, s24
.LBB270_330:                            ;   in Loop: Header=BB270_16 Depth=1
	s_delay_alu instid0(SALU_CYCLE_1)
	s_or_b32 exec_lo, exec_lo, s23
.LBB270_331:                            ;   in Loop: Header=BB270_16 Depth=1
	s_delay_alu instid0(SALU_CYCLE_1) | instskip(NEXT) | instid1(SALU_CYCLE_1)
	s_or_b32 exec_lo, exec_lo, s2
	s_mov_b32 s23, exec_lo
	v_cmpx_lt_u32_e32 0xffffff, v0
	s_cbranch_execz .LBB270_339
; %bb.332:                              ;   in Loop: Header=BB270_16 Depth=1
	v_lshrrev_b32_e32 v1, 24, v0
	v_dual_mov_b32 v2, s8 :: v_dual_mov_b32 v3, s9
	s_mov_b32 s24, exec_lo
	scratch_store_b64 off, v[2:3], s32 offset:676 ; 8-byte Folded Spill
	v_cmpx_ne_u32_e32 0x80, v1
	s_cbranch_execz .LBB270_338
; %bb.333:                              ;   in Loop: Header=BB270_16 Depth=1
	s_mov_b32 s2, s8
	v_bfe_u32 v2, v0, 24, 7
	v_dual_mov_b32 v4, s3 :: v_dual_mov_b32 v3, s2
	s_mov_b32 s2, exec_lo
	scratch_store_b64 off, v[3:4], s32 offset:676 ; 8-byte Folded Spill
	v_cmpx_ne_u32_e32 0x7f, v2
	s_cbranch_execz .LBB270_337
; %bb.334:                              ;   in Loop: Header=BB270_16 Depth=1
	v_and_b32_e32 v14, 7, v1
	v_lshrrev_b32_e32 v0, 3, v2
	s_mov_b32 s25, exec_lo
	v_cmpx_gt_u32_e32 8, v2
; %bb.335:                              ;   in Loop: Header=BB270_16 Depth=1
	s_delay_alu instid0(VALU_DEP_3) | instskip(NEXT) | instid1(VALU_DEP_1)
	v_clz_i32_u32_e32 v0, v14
	v_min_u32_e32 v0, 32, v0
	s_delay_alu instid0(VALU_DEP_1) | instskip(SKIP_1) | instid1(VALU_DEP_2)
	v_subrev_nc_u32_e32 v2, 28, v0
	v_sub_nc_u32_e32 v0, 29, v0
	v_lshlrev_b64 v[2:3], v2, v[14:15]
	s_delay_alu instid0(VALU_DEP_1)
	v_and_b32_e32 v14, 7, v2
; %bb.336:                              ;   in Loop: Header=BB270_16 Depth=1
	s_or_b32 exec_lo, exec_lo, s25
	v_lshlrev_b32_e32 v1, 24, v1
	s_delay_alu instid0(VALU_DEP_2) | instskip(SKIP_1) | instid1(VALU_DEP_3)
	v_lshlrev_b32_e32 v2, 20, v14
	v_lshl_add_u32 v0, v0, 23, 0x3c000000
	v_and_b32_e32 v1, 0x80000000, v1
	s_delay_alu instid0(VALU_DEP_1)
	v_or3_b32 v1, v2, v1, v0
	v_mov_b32_e32 v0, v15
	scratch_store_b64 off, v[0:1], s32 offset:676 ; 8-byte Folded Spill
.LBB270_337:                            ;   in Loop: Header=BB270_16 Depth=1
	s_or_b32 exec_lo, exec_lo, s2
.LBB270_338:                            ;   in Loop: Header=BB270_16 Depth=1
	s_delay_alu instid0(SALU_CYCLE_1)
	s_or_b32 exec_lo, exec_lo, s24
.LBB270_339:                            ;   in Loop: Header=BB270_16 Depth=1
	s_delay_alu instid0(SALU_CYCLE_1)
	s_or_b32 exec_lo, exec_lo, s23
	flat_load_b32 v0, v[52:53] offset:1032
	v_mov_b32_e32 v2, 0
	v_mov_b32_e32 v3, 0
	s_mov_b32 s2, exec_lo
	s_clause 0x1
	scratch_store_b64 off, v[2:3], s32 offset:692
	scratch_store_b64 off, v[2:3], s32 offset:700
	s_waitcnt vmcnt(0) lgkmcnt(0)
	v_and_b32_e32 v1, 0xff, v0
	s_delay_alu instid0(VALU_DEP_1)
	v_cmpx_ne_u16_e32 0, v1
	s_cbranch_execz .LBB270_347
; %bb.340:                              ;   in Loop: Header=BB270_16 Depth=1
	v_cmp_ne_u16_e64 s1, 0x80, v1
	v_bfrev_b32_e32 v1, 1
	v_mov_b32_e32 v2, 0
	scratch_store_b64 off, v[1:2], s32 offset:700 ; 8-byte Folded Spill
	s_and_saveexec_b32 s23, s1
	s_cbranch_execz .LBB270_346
; %bb.341:                              ;   in Loop: Header=BB270_16 Depth=1
	v_mov_b32_e32 v3, 0x7f800001
	v_and_b32_e32 v2, 0x7f, v0
	v_mov_b32_e32 v4, 0
	s_mov_b32 s24, exec_lo
	scratch_store_b64 off, v[3:4], s32 offset:700 ; 8-byte Folded Spill
	v_cmpx_ne_u32_e32 0x7f, v2
	s_cbranch_execz .LBB270_345
; %bb.342:                              ;   in Loop: Header=BB270_16 Depth=1
	v_and_b32_e32 v14, 7, v0
	v_lshrrev_b32_e32 v1, 3, v2
	s_mov_b32 s25, exec_lo
	v_cmpx_gt_u32_e32 8, v2
; %bb.343:                              ;   in Loop: Header=BB270_16 Depth=1
	s_delay_alu instid0(VALU_DEP_3) | instskip(NEXT) | instid1(VALU_DEP_1)
	v_clz_i32_u32_e32 v1, v14
	v_min_u32_e32 v1, 32, v1
	s_delay_alu instid0(VALU_DEP_1) | instskip(SKIP_1) | instid1(VALU_DEP_2)
	v_subrev_nc_u32_e32 v2, 28, v1
	v_sub_nc_u32_e32 v1, 29, v1
	v_lshlrev_b64 v[2:3], v2, v[14:15]
	s_delay_alu instid0(VALU_DEP_1)
	v_and_b32_e32 v14, 7, v2
; %bb.344:                              ;   in Loop: Header=BB270_16 Depth=1
	s_or_b32 exec_lo, exec_lo, s25
	v_lshlrev_b32_e32 v2, 24, v0
	s_delay_alu instid0(VALU_DEP_2) | instskip(SKIP_1) | instid1(VALU_DEP_3)
	v_lshlrev_b32_e32 v3, 20, v14
	v_lshl_add_u32 v1, v1, 23, 0x3c000000
	v_and_b32_e32 v2, 0x80000000, v2
	s_delay_alu instid0(VALU_DEP_1)
	v_or3_b32 v14, v3, v2, v1
	scratch_store_b64 off, v[14:15], s32 offset:700 ; 8-byte Folded Spill
.LBB270_345:                            ;   in Loop: Header=BB270_16 Depth=1
	s_or_b32 exec_lo, exec_lo, s24
.LBB270_346:                            ;   in Loop: Header=BB270_16 Depth=1
	s_delay_alu instid0(SALU_CYCLE_1)
	s_or_b32 exec_lo, exec_lo, s23
.LBB270_347:                            ;   in Loop: Header=BB270_16 Depth=1
	s_delay_alu instid0(SALU_CYCLE_1) | instskip(SKIP_2) | instid1(VALU_DEP_1)
	s_or_b32 exec_lo, exec_lo, s2
	v_lshrrev_b16 v1, 8, v0
	s_mov_b32 s23, exec_lo
	v_cmpx_ne_u16_e32 0, v1
	s_cbranch_execz .LBB270_355
; %bb.348:                              ;   in Loop: Header=BB270_16 Depth=1
	v_dual_mov_b32 v2, s8 :: v_dual_mov_b32 v3, s9
	s_mov_b32 s24, exec_lo
	scratch_store_b64 off, v[2:3], s32 offset:692 ; 8-byte Folded Spill
	v_cmpx_ne_u16_e32 0x80, v1
	s_cbranch_execz .LBB270_354
; %bb.349:                              ;   in Loop: Header=BB270_16 Depth=1
	s_mov_b32 s2, s8
	v_dual_mov_b32 v4, s3 :: v_dual_and_b32 v1, 0xffff, v1
	v_mov_b32_e32 v3, s2
	s_mov_b32 s2, exec_lo
	s_delay_alu instid0(VALU_DEP_2)
	v_and_b32_e32 v2, 0x7f, v1
	scratch_store_b64 off, v[3:4], s32 offset:692 ; 8-byte Folded Spill
	v_cmpx_ne_u32_e32 0x7f, v2
	s_cbranch_execz .LBB270_353
; %bb.350:                              ;   in Loop: Header=BB270_16 Depth=1
	v_and_b32_e32 v14, 7, v1
	v_lshrrev_b32_e32 v1, 3, v2
	s_mov_b32 s25, exec_lo
	v_cmpx_gt_u32_e32 8, v2
; %bb.351:                              ;   in Loop: Header=BB270_16 Depth=1
	s_delay_alu instid0(VALU_DEP_3) | instskip(NEXT) | instid1(VALU_DEP_1)
	v_clz_i32_u32_e32 v1, v14
	v_min_u32_e32 v1, 32, v1
	s_delay_alu instid0(VALU_DEP_1) | instskip(SKIP_1) | instid1(VALU_DEP_2)
	v_subrev_nc_u32_e32 v2, 28, v1
	v_sub_nc_u32_e32 v1, 29, v1
	v_lshlrev_b64 v[2:3], v2, v[14:15]
	s_delay_alu instid0(VALU_DEP_1)
	v_and_b32_e32 v14, 7, v2
; %bb.352:                              ;   in Loop: Header=BB270_16 Depth=1
	s_or_b32 exec_lo, exec_lo, s25
	v_lshlrev_b32_e32 v2, 16, v0
	s_delay_alu instid0(VALU_DEP_2) | instskip(SKIP_1) | instid1(VALU_DEP_3)
	v_lshlrev_b32_e32 v3, 20, v14
	v_lshl_add_u32 v1, v1, 23, 0x3c000000
	v_and_b32_e32 v2, 0x80000000, v2
	s_delay_alu instid0(VALU_DEP_1)
	v_or3_b32 v2, v3, v2, v1
	v_mov_b32_e32 v1, v15
	scratch_store_b64 off, v[1:2], s32 offset:692 ; 8-byte Folded Spill
.LBB270_353:                            ;   in Loop: Header=BB270_16 Depth=1
	s_or_b32 exec_lo, exec_lo, s2
.LBB270_354:                            ;   in Loop: Header=BB270_16 Depth=1
	s_delay_alu instid0(SALU_CYCLE_1)
	s_or_b32 exec_lo, exec_lo, s24
.LBB270_355:                            ;   in Loop: Header=BB270_16 Depth=1
	s_delay_alu instid0(SALU_CYCLE_1)
	s_or_b32 exec_lo, exec_lo, s23
	v_lshrrev_b32_e32 v1, 16, v0
	v_mov_b32_e32 v3, 0
	v_mov_b32_e32 v4, 0
	s_mov_b32 s2, exec_lo
	s_clause 0x1
	scratch_store_b64 off, v[3:4], s32 offset:708
	scratch_store_b64 off, v[3:4], s32 offset:716
	v_and_b32_e32 v2, 0xff, v1
	s_delay_alu instid0(VALU_DEP_1)
	v_cmpx_ne_u16_e32 0, v2
	s_cbranch_execz .LBB270_363
; %bb.356:                              ;   in Loop: Header=BB270_16 Depth=1
	v_cmp_ne_u16_e64 s1, 0x80, v2
	v_bfrev_b32_e32 v2, 1
	v_mov_b32_e32 v3, 0
	scratch_store_b64 off, v[2:3], s32 offset:716 ; 8-byte Folded Spill
	s_and_saveexec_b32 s23, s1
	s_cbranch_execz .LBB270_362
; %bb.357:                              ;   in Loop: Header=BB270_16 Depth=1
	v_mov_b32_e32 v4, 0x7f800001
	v_bfe_u32 v3, v0, 16, 7
	v_mov_b32_e32 v5, 0
	s_mov_b32 s24, exec_lo
	scratch_store_b64 off, v[4:5], s32 offset:716 ; 8-byte Folded Spill
	v_cmpx_ne_u32_e32 0x7f, v3
	s_cbranch_execz .LBB270_361
; %bb.358:                              ;   in Loop: Header=BB270_16 Depth=1
	v_and_b32_e32 v14, 7, v1
	v_lshrrev_b32_e32 v2, 3, v3
	s_mov_b32 s25, exec_lo
	v_cmpx_gt_u32_e32 8, v3
; %bb.359:                              ;   in Loop: Header=BB270_16 Depth=1
	s_delay_alu instid0(VALU_DEP_3) | instskip(NEXT) | instid1(VALU_DEP_1)
	v_clz_i32_u32_e32 v2, v14
	v_min_u32_e32 v2, 32, v2
	s_delay_alu instid0(VALU_DEP_1) | instskip(SKIP_1) | instid1(VALU_DEP_2)
	v_subrev_nc_u32_e32 v3, 28, v2
	v_sub_nc_u32_e32 v2, 29, v2
	v_lshlrev_b64 v[3:4], v3, v[14:15]
	s_delay_alu instid0(VALU_DEP_1)
	v_and_b32_e32 v14, 7, v3
; %bb.360:                              ;   in Loop: Header=BB270_16 Depth=1
	s_or_b32 exec_lo, exec_lo, s25
	v_lshlrev_b32_e32 v1, 24, v1
	s_delay_alu instid0(VALU_DEP_2) | instskip(SKIP_1) | instid1(VALU_DEP_3)
	v_lshlrev_b32_e32 v3, 20, v14
	v_lshl_add_u32 v2, v2, 23, 0x3c000000
	v_and_b32_e32 v1, 0x80000000, v1
	s_delay_alu instid0(VALU_DEP_1)
	v_or3_b32 v14, v3, v1, v2
	scratch_store_b64 off, v[14:15], s32 offset:716 ; 8-byte Folded Spill
.LBB270_361:                            ;   in Loop: Header=BB270_16 Depth=1
	s_or_b32 exec_lo, exec_lo, s24
.LBB270_362:                            ;   in Loop: Header=BB270_16 Depth=1
	s_delay_alu instid0(SALU_CYCLE_1)
	s_or_b32 exec_lo, exec_lo, s23
.LBB270_363:                            ;   in Loop: Header=BB270_16 Depth=1
	s_delay_alu instid0(SALU_CYCLE_1) | instskip(NEXT) | instid1(SALU_CYCLE_1)
	s_or_b32 exec_lo, exec_lo, s2
	s_mov_b32 s23, exec_lo
	v_cmpx_lt_u32_e32 0xffffff, v0
	s_cbranch_execz .LBB270_371
; %bb.364:                              ;   in Loop: Header=BB270_16 Depth=1
	v_lshrrev_b32_e32 v1, 24, v0
	v_dual_mov_b32 v2, s8 :: v_dual_mov_b32 v3, s9
	s_mov_b32 s24, exec_lo
	scratch_store_b64 off, v[2:3], s32 offset:708 ; 8-byte Folded Spill
	v_cmpx_ne_u32_e32 0x80, v1
	s_cbranch_execz .LBB270_370
; %bb.365:                              ;   in Loop: Header=BB270_16 Depth=1
	s_mov_b32 s2, s8
	v_bfe_u32 v2, v0, 24, 7
	v_dual_mov_b32 v4, s3 :: v_dual_mov_b32 v3, s2
	s_mov_b32 s2, exec_lo
	scratch_store_b64 off, v[3:4], s32 offset:708 ; 8-byte Folded Spill
	v_cmpx_ne_u32_e32 0x7f, v2
	s_cbranch_execz .LBB270_369
; %bb.366:                              ;   in Loop: Header=BB270_16 Depth=1
	v_and_b32_e32 v14, 7, v1
	v_lshrrev_b32_e32 v0, 3, v2
	s_mov_b32 s25, exec_lo
	v_cmpx_gt_u32_e32 8, v2
; %bb.367:                              ;   in Loop: Header=BB270_16 Depth=1
	s_delay_alu instid0(VALU_DEP_3) | instskip(NEXT) | instid1(VALU_DEP_1)
	v_clz_i32_u32_e32 v0, v14
	v_min_u32_e32 v0, 32, v0
	s_delay_alu instid0(VALU_DEP_1) | instskip(SKIP_1) | instid1(VALU_DEP_2)
	v_subrev_nc_u32_e32 v2, 28, v0
	v_sub_nc_u32_e32 v0, 29, v0
	v_lshlrev_b64 v[2:3], v2, v[14:15]
	s_delay_alu instid0(VALU_DEP_1)
	v_and_b32_e32 v14, 7, v2
; %bb.368:                              ;   in Loop: Header=BB270_16 Depth=1
	s_or_b32 exec_lo, exec_lo, s25
	v_lshlrev_b32_e32 v1, 24, v1
	s_delay_alu instid0(VALU_DEP_2) | instskip(SKIP_1) | instid1(VALU_DEP_3)
	v_lshlrev_b32_e32 v2, 20, v14
	v_lshl_add_u32 v0, v0, 23, 0x3c000000
	v_and_b32_e32 v1, 0x80000000, v1
	s_delay_alu instid0(VALU_DEP_1)
	v_or3_b32 v1, v2, v1, v0
	v_mov_b32_e32 v0, v15
	scratch_store_b64 off, v[0:1], s32 offset:708 ; 8-byte Folded Spill
.LBB270_369:                            ;   in Loop: Header=BB270_16 Depth=1
	s_or_b32 exec_lo, exec_lo, s2
.LBB270_370:                            ;   in Loop: Header=BB270_16 Depth=1
	s_delay_alu instid0(SALU_CYCLE_1)
	s_or_b32 exec_lo, exec_lo, s24
.LBB270_371:                            ;   in Loop: Header=BB270_16 Depth=1
	s_delay_alu instid0(SALU_CYCLE_1)
	s_or_b32 exec_lo, exec_lo, s23
	flat_load_b32 v0, v[52:53] offset:1036
	v_mov_b32_e32 v2, 0
	v_mov_b32_e32 v3, 0
	s_mov_b32 s2, exec_lo
	s_clause 0x1
	scratch_store_b64 off, v[2:3], s32 offset:724
	scratch_store_b64 off, v[2:3], s32 offset:732
	s_waitcnt vmcnt(0) lgkmcnt(0)
	v_and_b32_e32 v1, 0xff, v0
	s_delay_alu instid0(VALU_DEP_1)
	v_cmpx_ne_u16_e32 0, v1
	s_cbranch_execz .LBB270_379
; %bb.372:                              ;   in Loop: Header=BB270_16 Depth=1
	v_cmp_ne_u16_e64 s1, 0x80, v1
	v_bfrev_b32_e32 v1, 1
	v_mov_b32_e32 v2, 0
	scratch_store_b64 off, v[1:2], s32 offset:732 ; 8-byte Folded Spill
	s_and_saveexec_b32 s23, s1
	s_cbranch_execz .LBB270_378
; %bb.373:                              ;   in Loop: Header=BB270_16 Depth=1
	v_mov_b32_e32 v3, 0x7f800001
	v_and_b32_e32 v2, 0x7f, v0
	v_mov_b32_e32 v4, 0
	s_mov_b32 s24, exec_lo
	scratch_store_b64 off, v[3:4], s32 offset:732 ; 8-byte Folded Spill
	v_cmpx_ne_u32_e32 0x7f, v2
	s_cbranch_execz .LBB270_377
; %bb.374:                              ;   in Loop: Header=BB270_16 Depth=1
	v_and_b32_e32 v14, 7, v0
	v_lshrrev_b32_e32 v1, 3, v2
	s_mov_b32 s25, exec_lo
	v_cmpx_gt_u32_e32 8, v2
; %bb.375:                              ;   in Loop: Header=BB270_16 Depth=1
	s_delay_alu instid0(VALU_DEP_3) | instskip(NEXT) | instid1(VALU_DEP_1)
	v_clz_i32_u32_e32 v1, v14
	v_min_u32_e32 v1, 32, v1
	s_delay_alu instid0(VALU_DEP_1) | instskip(SKIP_1) | instid1(VALU_DEP_2)
	v_subrev_nc_u32_e32 v2, 28, v1
	v_sub_nc_u32_e32 v1, 29, v1
	v_lshlrev_b64 v[2:3], v2, v[14:15]
	s_delay_alu instid0(VALU_DEP_1)
	v_and_b32_e32 v14, 7, v2
; %bb.376:                              ;   in Loop: Header=BB270_16 Depth=1
	s_or_b32 exec_lo, exec_lo, s25
	v_lshlrev_b32_e32 v2, 24, v0
	s_delay_alu instid0(VALU_DEP_2) | instskip(SKIP_1) | instid1(VALU_DEP_3)
	v_lshlrev_b32_e32 v3, 20, v14
	v_lshl_add_u32 v1, v1, 23, 0x3c000000
	v_and_b32_e32 v2, 0x80000000, v2
	s_delay_alu instid0(VALU_DEP_1)
	v_or3_b32 v14, v3, v2, v1
	scratch_store_b64 off, v[14:15], s32 offset:732 ; 8-byte Folded Spill
.LBB270_377:                            ;   in Loop: Header=BB270_16 Depth=1
	s_or_b32 exec_lo, exec_lo, s24
.LBB270_378:                            ;   in Loop: Header=BB270_16 Depth=1
	s_delay_alu instid0(SALU_CYCLE_1)
	s_or_b32 exec_lo, exec_lo, s23
.LBB270_379:                            ;   in Loop: Header=BB270_16 Depth=1
	s_delay_alu instid0(SALU_CYCLE_1) | instskip(SKIP_2) | instid1(VALU_DEP_1)
	s_or_b32 exec_lo, exec_lo, s2
	v_lshrrev_b16 v1, 8, v0
	s_mov_b32 s23, exec_lo
	v_cmpx_ne_u16_e32 0, v1
	s_cbranch_execz .LBB270_387
; %bb.380:                              ;   in Loop: Header=BB270_16 Depth=1
	v_dual_mov_b32 v2, s8 :: v_dual_mov_b32 v3, s9
	s_mov_b32 s24, exec_lo
	scratch_store_b64 off, v[2:3], s32 offset:724 ; 8-byte Folded Spill
	v_cmpx_ne_u16_e32 0x80, v1
	s_cbranch_execz .LBB270_386
; %bb.381:                              ;   in Loop: Header=BB270_16 Depth=1
	s_mov_b32 s2, s8
	v_dual_mov_b32 v4, s3 :: v_dual_and_b32 v1, 0xffff, v1
	v_mov_b32_e32 v3, s2
	s_mov_b32 s2, exec_lo
	s_delay_alu instid0(VALU_DEP_2)
	v_and_b32_e32 v2, 0x7f, v1
	scratch_store_b64 off, v[3:4], s32 offset:724 ; 8-byte Folded Spill
	v_cmpx_ne_u32_e32 0x7f, v2
	s_cbranch_execz .LBB270_385
; %bb.382:                              ;   in Loop: Header=BB270_16 Depth=1
	v_and_b32_e32 v14, 7, v1
	v_lshrrev_b32_e32 v1, 3, v2
	s_mov_b32 s25, exec_lo
	v_cmpx_gt_u32_e32 8, v2
; %bb.383:                              ;   in Loop: Header=BB270_16 Depth=1
	s_delay_alu instid0(VALU_DEP_3) | instskip(NEXT) | instid1(VALU_DEP_1)
	v_clz_i32_u32_e32 v1, v14
	v_min_u32_e32 v1, 32, v1
	s_delay_alu instid0(VALU_DEP_1) | instskip(SKIP_1) | instid1(VALU_DEP_2)
	v_subrev_nc_u32_e32 v2, 28, v1
	v_sub_nc_u32_e32 v1, 29, v1
	v_lshlrev_b64 v[2:3], v2, v[14:15]
	s_delay_alu instid0(VALU_DEP_1)
	v_and_b32_e32 v14, 7, v2
; %bb.384:                              ;   in Loop: Header=BB270_16 Depth=1
	s_or_b32 exec_lo, exec_lo, s25
	v_lshlrev_b32_e32 v2, 16, v0
	s_delay_alu instid0(VALU_DEP_2) | instskip(SKIP_1) | instid1(VALU_DEP_3)
	v_lshlrev_b32_e32 v3, 20, v14
	v_lshl_add_u32 v1, v1, 23, 0x3c000000
	v_and_b32_e32 v2, 0x80000000, v2
	s_delay_alu instid0(VALU_DEP_1)
	v_or3_b32 v2, v3, v2, v1
	v_mov_b32_e32 v1, v15
	scratch_store_b64 off, v[1:2], s32 offset:724 ; 8-byte Folded Spill
.LBB270_385:                            ;   in Loop: Header=BB270_16 Depth=1
	s_or_b32 exec_lo, exec_lo, s2
.LBB270_386:                            ;   in Loop: Header=BB270_16 Depth=1
	s_delay_alu instid0(SALU_CYCLE_1)
	s_or_b32 exec_lo, exec_lo, s24
.LBB270_387:                            ;   in Loop: Header=BB270_16 Depth=1
	s_delay_alu instid0(SALU_CYCLE_1)
	s_or_b32 exec_lo, exec_lo, s23
	v_lshrrev_b32_e32 v1, 16, v0
	v_mov_b32_e32 v3, 0
	v_mov_b32_e32 v4, 0
	s_mov_b32 s2, exec_lo
	s_clause 0x1
	scratch_store_b64 off, v[3:4], s32 offset:740
	scratch_store_b64 off, v[3:4], s32 offset:748
	v_and_b32_e32 v2, 0xff, v1
	s_delay_alu instid0(VALU_DEP_1)
	v_cmpx_ne_u16_e32 0, v2
	s_cbranch_execz .LBB270_395
; %bb.388:                              ;   in Loop: Header=BB270_16 Depth=1
	v_cmp_ne_u16_e64 s1, 0x80, v2
	v_bfrev_b32_e32 v2, 1
	v_mov_b32_e32 v3, 0
	scratch_store_b64 off, v[2:3], s32 offset:748 ; 8-byte Folded Spill
	s_and_saveexec_b32 s23, s1
	s_cbranch_execz .LBB270_394
; %bb.389:                              ;   in Loop: Header=BB270_16 Depth=1
	v_mov_b32_e32 v4, 0x7f800001
	v_bfe_u32 v3, v0, 16, 7
	v_mov_b32_e32 v5, 0
	s_mov_b32 s24, exec_lo
	scratch_store_b64 off, v[4:5], s32 offset:748 ; 8-byte Folded Spill
	v_cmpx_ne_u32_e32 0x7f, v3
	s_cbranch_execz .LBB270_393
; %bb.390:                              ;   in Loop: Header=BB270_16 Depth=1
	v_and_b32_e32 v14, 7, v1
	v_lshrrev_b32_e32 v2, 3, v3
	s_mov_b32 s25, exec_lo
	v_cmpx_gt_u32_e32 8, v3
; %bb.391:                              ;   in Loop: Header=BB270_16 Depth=1
	s_delay_alu instid0(VALU_DEP_3) | instskip(NEXT) | instid1(VALU_DEP_1)
	v_clz_i32_u32_e32 v2, v14
	v_min_u32_e32 v2, 32, v2
	s_delay_alu instid0(VALU_DEP_1) | instskip(SKIP_1) | instid1(VALU_DEP_2)
	v_subrev_nc_u32_e32 v3, 28, v2
	v_sub_nc_u32_e32 v2, 29, v2
	v_lshlrev_b64 v[3:4], v3, v[14:15]
	s_delay_alu instid0(VALU_DEP_1)
	v_and_b32_e32 v14, 7, v3
; %bb.392:                              ;   in Loop: Header=BB270_16 Depth=1
	s_or_b32 exec_lo, exec_lo, s25
	v_lshlrev_b32_e32 v1, 24, v1
	s_delay_alu instid0(VALU_DEP_2) | instskip(SKIP_1) | instid1(VALU_DEP_3)
	v_lshlrev_b32_e32 v3, 20, v14
	v_lshl_add_u32 v2, v2, 23, 0x3c000000
	v_and_b32_e32 v1, 0x80000000, v1
	s_delay_alu instid0(VALU_DEP_1)
	v_or3_b32 v14, v3, v1, v2
	scratch_store_b64 off, v[14:15], s32 offset:748 ; 8-byte Folded Spill
.LBB270_393:                            ;   in Loop: Header=BB270_16 Depth=1
	s_or_b32 exec_lo, exec_lo, s24
.LBB270_394:                            ;   in Loop: Header=BB270_16 Depth=1
	s_delay_alu instid0(SALU_CYCLE_1)
	s_or_b32 exec_lo, exec_lo, s23
.LBB270_395:                            ;   in Loop: Header=BB270_16 Depth=1
	s_delay_alu instid0(SALU_CYCLE_1) | instskip(NEXT) | instid1(SALU_CYCLE_1)
	s_or_b32 exec_lo, exec_lo, s2
	s_mov_b32 s23, exec_lo
	v_cmpx_lt_u32_e32 0xffffff, v0
	s_cbranch_execz .LBB270_403
; %bb.396:                              ;   in Loop: Header=BB270_16 Depth=1
	v_lshrrev_b32_e32 v1, 24, v0
	v_dual_mov_b32 v2, s8 :: v_dual_mov_b32 v3, s9
	s_mov_b32 s24, exec_lo
	scratch_store_b64 off, v[2:3], s32 offset:740 ; 8-byte Folded Spill
	v_cmpx_ne_u32_e32 0x80, v1
	s_cbranch_execz .LBB270_402
; %bb.397:                              ;   in Loop: Header=BB270_16 Depth=1
	s_mov_b32 s2, s8
	v_bfe_u32 v2, v0, 24, 7
	v_dual_mov_b32 v4, s3 :: v_dual_mov_b32 v3, s2
	s_mov_b32 s2, exec_lo
	scratch_store_b64 off, v[3:4], s32 offset:740 ; 8-byte Folded Spill
	v_cmpx_ne_u32_e32 0x7f, v2
	s_cbranch_execz .LBB270_401
; %bb.398:                              ;   in Loop: Header=BB270_16 Depth=1
	v_and_b32_e32 v14, 7, v1
	v_lshrrev_b32_e32 v0, 3, v2
	s_mov_b32 s25, exec_lo
	v_cmpx_gt_u32_e32 8, v2
; %bb.399:                              ;   in Loop: Header=BB270_16 Depth=1
	s_delay_alu instid0(VALU_DEP_3) | instskip(NEXT) | instid1(VALU_DEP_1)
	v_clz_i32_u32_e32 v0, v14
	v_min_u32_e32 v0, 32, v0
	s_delay_alu instid0(VALU_DEP_1) | instskip(SKIP_1) | instid1(VALU_DEP_2)
	v_subrev_nc_u32_e32 v2, 28, v0
	v_sub_nc_u32_e32 v0, 29, v0
	v_lshlrev_b64 v[2:3], v2, v[14:15]
	s_delay_alu instid0(VALU_DEP_1)
	v_and_b32_e32 v14, 7, v2
; %bb.400:                              ;   in Loop: Header=BB270_16 Depth=1
	s_or_b32 exec_lo, exec_lo, s25
	v_lshlrev_b32_e32 v1, 24, v1
	s_delay_alu instid0(VALU_DEP_2) | instskip(SKIP_1) | instid1(VALU_DEP_3)
	v_lshlrev_b32_e32 v2, 20, v14
	v_lshl_add_u32 v0, v0, 23, 0x3c000000
	v_and_b32_e32 v1, 0x80000000, v1
	s_delay_alu instid0(VALU_DEP_1)
	v_or3_b32 v1, v2, v1, v0
	v_mov_b32_e32 v0, v15
	scratch_store_b64 off, v[0:1], s32 offset:740 ; 8-byte Folded Spill
.LBB270_401:                            ;   in Loop: Header=BB270_16 Depth=1
	s_or_b32 exec_lo, exec_lo, s2
.LBB270_402:                            ;   in Loop: Header=BB270_16 Depth=1
	s_delay_alu instid0(SALU_CYCLE_1)
	s_or_b32 exec_lo, exec_lo, s24
.LBB270_403:                            ;   in Loop: Header=BB270_16 Depth=1
	s_delay_alu instid0(SALU_CYCLE_1)
	s_or_b32 exec_lo, exec_lo, s23
	flat_load_b32 v0, v[52:53] offset:1536
	v_mov_b32_e32 v2, 0
	v_mov_b32_e32 v3, 0
	s_mov_b32 s2, exec_lo
	s_clause 0x1
	scratch_store_b64 off, v[2:3], s32 offset:756
	scratch_store_b64 off, v[2:3], s32 offset:764
	s_waitcnt vmcnt(0) lgkmcnt(0)
	v_and_b32_e32 v1, 0xff, v0
	s_delay_alu instid0(VALU_DEP_1)
	v_cmpx_ne_u16_e32 0, v1
	s_cbranch_execz .LBB270_411
; %bb.404:                              ;   in Loop: Header=BB270_16 Depth=1
	v_cmp_ne_u16_e64 s1, 0x80, v1
	v_bfrev_b32_e32 v1, 1
	v_mov_b32_e32 v2, 0
	scratch_store_b64 off, v[1:2], s32 offset:764 ; 8-byte Folded Spill
	s_and_saveexec_b32 s23, s1
	s_cbranch_execz .LBB270_410
; %bb.405:                              ;   in Loop: Header=BB270_16 Depth=1
	v_mov_b32_e32 v3, 0x7f800001
	v_and_b32_e32 v2, 0x7f, v0
	v_mov_b32_e32 v4, 0
	s_mov_b32 s24, exec_lo
	scratch_store_b64 off, v[3:4], s32 offset:764 ; 8-byte Folded Spill
	v_cmpx_ne_u32_e32 0x7f, v2
	s_cbranch_execz .LBB270_409
; %bb.406:                              ;   in Loop: Header=BB270_16 Depth=1
	v_and_b32_e32 v14, 7, v0
	v_lshrrev_b32_e32 v1, 3, v2
	s_mov_b32 s25, exec_lo
	v_cmpx_gt_u32_e32 8, v2
; %bb.407:                              ;   in Loop: Header=BB270_16 Depth=1
	s_delay_alu instid0(VALU_DEP_3) | instskip(NEXT) | instid1(VALU_DEP_1)
	v_clz_i32_u32_e32 v1, v14
	v_min_u32_e32 v1, 32, v1
	s_delay_alu instid0(VALU_DEP_1) | instskip(SKIP_1) | instid1(VALU_DEP_2)
	v_subrev_nc_u32_e32 v2, 28, v1
	v_sub_nc_u32_e32 v1, 29, v1
	v_lshlrev_b64 v[2:3], v2, v[14:15]
	s_delay_alu instid0(VALU_DEP_1)
	v_and_b32_e32 v14, 7, v2
; %bb.408:                              ;   in Loop: Header=BB270_16 Depth=1
	s_or_b32 exec_lo, exec_lo, s25
	v_lshlrev_b32_e32 v2, 24, v0
	s_delay_alu instid0(VALU_DEP_2) | instskip(SKIP_1) | instid1(VALU_DEP_3)
	v_lshlrev_b32_e32 v3, 20, v14
	v_lshl_add_u32 v1, v1, 23, 0x3c000000
	v_and_b32_e32 v2, 0x80000000, v2
	s_delay_alu instid0(VALU_DEP_1)
	v_or3_b32 v14, v3, v2, v1
	scratch_store_b64 off, v[14:15], s32 offset:764 ; 8-byte Folded Spill
.LBB270_409:                            ;   in Loop: Header=BB270_16 Depth=1
	s_or_b32 exec_lo, exec_lo, s24
.LBB270_410:                            ;   in Loop: Header=BB270_16 Depth=1
	s_delay_alu instid0(SALU_CYCLE_1)
	s_or_b32 exec_lo, exec_lo, s23
.LBB270_411:                            ;   in Loop: Header=BB270_16 Depth=1
	s_delay_alu instid0(SALU_CYCLE_1) | instskip(SKIP_2) | instid1(VALU_DEP_1)
	s_or_b32 exec_lo, exec_lo, s2
	v_lshrrev_b16 v1, 8, v0
	s_mov_b32 s23, exec_lo
	v_cmpx_ne_u16_e32 0, v1
	s_cbranch_execz .LBB270_419
; %bb.412:                              ;   in Loop: Header=BB270_16 Depth=1
	v_dual_mov_b32 v2, s8 :: v_dual_mov_b32 v3, s9
	s_mov_b32 s24, exec_lo
	scratch_store_b64 off, v[2:3], s32 offset:756 ; 8-byte Folded Spill
	v_cmpx_ne_u16_e32 0x80, v1
	s_cbranch_execz .LBB270_418
; %bb.413:                              ;   in Loop: Header=BB270_16 Depth=1
	s_mov_b32 s2, s8
	v_dual_mov_b32 v4, s3 :: v_dual_and_b32 v1, 0xffff, v1
	v_mov_b32_e32 v3, s2
	s_mov_b32 s2, exec_lo
	s_delay_alu instid0(VALU_DEP_2)
	v_and_b32_e32 v2, 0x7f, v1
	scratch_store_b64 off, v[3:4], s32 offset:756 ; 8-byte Folded Spill
	v_cmpx_ne_u32_e32 0x7f, v2
	s_cbranch_execz .LBB270_417
; %bb.414:                              ;   in Loop: Header=BB270_16 Depth=1
	v_and_b32_e32 v14, 7, v1
	v_lshrrev_b32_e32 v1, 3, v2
	s_mov_b32 s25, exec_lo
	v_cmpx_gt_u32_e32 8, v2
; %bb.415:                              ;   in Loop: Header=BB270_16 Depth=1
	s_delay_alu instid0(VALU_DEP_3) | instskip(NEXT) | instid1(VALU_DEP_1)
	v_clz_i32_u32_e32 v1, v14
	v_min_u32_e32 v1, 32, v1
	s_delay_alu instid0(VALU_DEP_1) | instskip(SKIP_1) | instid1(VALU_DEP_2)
	v_subrev_nc_u32_e32 v2, 28, v1
	v_sub_nc_u32_e32 v1, 29, v1
	v_lshlrev_b64 v[2:3], v2, v[14:15]
	s_delay_alu instid0(VALU_DEP_1)
	v_and_b32_e32 v14, 7, v2
; %bb.416:                              ;   in Loop: Header=BB270_16 Depth=1
	s_or_b32 exec_lo, exec_lo, s25
	v_lshlrev_b32_e32 v2, 16, v0
	s_delay_alu instid0(VALU_DEP_2) | instskip(SKIP_1) | instid1(VALU_DEP_3)
	v_lshlrev_b32_e32 v3, 20, v14
	v_lshl_add_u32 v1, v1, 23, 0x3c000000
	v_and_b32_e32 v2, 0x80000000, v2
	s_delay_alu instid0(VALU_DEP_1)
	v_or3_b32 v2, v3, v2, v1
	v_mov_b32_e32 v1, v15
	scratch_store_b64 off, v[1:2], s32 offset:756 ; 8-byte Folded Spill
.LBB270_417:                            ;   in Loop: Header=BB270_16 Depth=1
	s_or_b32 exec_lo, exec_lo, s2
.LBB270_418:                            ;   in Loop: Header=BB270_16 Depth=1
	s_delay_alu instid0(SALU_CYCLE_1)
	s_or_b32 exec_lo, exec_lo, s24
.LBB270_419:                            ;   in Loop: Header=BB270_16 Depth=1
	s_delay_alu instid0(SALU_CYCLE_1)
	s_or_b32 exec_lo, exec_lo, s23
	v_lshrrev_b32_e32 v1, 16, v0
	v_mov_b32_e32 v3, 0
	v_mov_b32_e32 v4, 0
	s_mov_b32 s2, exec_lo
	s_clause 0x1
	scratch_store_b64 off, v[3:4], s32 offset:772
	scratch_store_b64 off, v[3:4], s32 offset:780
	v_and_b32_e32 v2, 0xff, v1
	s_delay_alu instid0(VALU_DEP_1)
	v_cmpx_ne_u16_e32 0, v2
	s_cbranch_execz .LBB270_427
; %bb.420:                              ;   in Loop: Header=BB270_16 Depth=1
	v_cmp_ne_u16_e64 s1, 0x80, v2
	v_bfrev_b32_e32 v2, 1
	v_mov_b32_e32 v3, 0
	scratch_store_b64 off, v[2:3], s32 offset:780 ; 8-byte Folded Spill
	s_and_saveexec_b32 s23, s1
	s_cbranch_execz .LBB270_426
; %bb.421:                              ;   in Loop: Header=BB270_16 Depth=1
	v_mov_b32_e32 v4, 0x7f800001
	v_bfe_u32 v3, v0, 16, 7
	v_mov_b32_e32 v5, 0
	s_mov_b32 s24, exec_lo
	scratch_store_b64 off, v[4:5], s32 offset:780 ; 8-byte Folded Spill
	v_cmpx_ne_u32_e32 0x7f, v3
	s_cbranch_execz .LBB270_425
; %bb.422:                              ;   in Loop: Header=BB270_16 Depth=1
	v_and_b32_e32 v14, 7, v1
	v_lshrrev_b32_e32 v2, 3, v3
	s_mov_b32 s25, exec_lo
	v_cmpx_gt_u32_e32 8, v3
; %bb.423:                              ;   in Loop: Header=BB270_16 Depth=1
	s_delay_alu instid0(VALU_DEP_3) | instskip(NEXT) | instid1(VALU_DEP_1)
	v_clz_i32_u32_e32 v2, v14
	v_min_u32_e32 v2, 32, v2
	s_delay_alu instid0(VALU_DEP_1) | instskip(SKIP_1) | instid1(VALU_DEP_2)
	v_subrev_nc_u32_e32 v3, 28, v2
	v_sub_nc_u32_e32 v2, 29, v2
	v_lshlrev_b64 v[3:4], v3, v[14:15]
	s_delay_alu instid0(VALU_DEP_1)
	v_and_b32_e32 v14, 7, v3
; %bb.424:                              ;   in Loop: Header=BB270_16 Depth=1
	s_or_b32 exec_lo, exec_lo, s25
	v_lshlrev_b32_e32 v1, 24, v1
	s_delay_alu instid0(VALU_DEP_2) | instskip(SKIP_1) | instid1(VALU_DEP_3)
	v_lshlrev_b32_e32 v3, 20, v14
	v_lshl_add_u32 v2, v2, 23, 0x3c000000
	v_and_b32_e32 v1, 0x80000000, v1
	s_delay_alu instid0(VALU_DEP_1)
	v_or3_b32 v14, v3, v1, v2
	scratch_store_b64 off, v[14:15], s32 offset:780 ; 8-byte Folded Spill
.LBB270_425:                            ;   in Loop: Header=BB270_16 Depth=1
	s_or_b32 exec_lo, exec_lo, s24
.LBB270_426:                            ;   in Loop: Header=BB270_16 Depth=1
	s_delay_alu instid0(SALU_CYCLE_1)
	s_or_b32 exec_lo, exec_lo, s23
.LBB270_427:                            ;   in Loop: Header=BB270_16 Depth=1
	s_delay_alu instid0(SALU_CYCLE_1) | instskip(NEXT) | instid1(SALU_CYCLE_1)
	s_or_b32 exec_lo, exec_lo, s2
	s_mov_b32 s23, exec_lo
	v_cmpx_lt_u32_e32 0xffffff, v0
	s_cbranch_execz .LBB270_435
; %bb.428:                              ;   in Loop: Header=BB270_16 Depth=1
	v_lshrrev_b32_e32 v1, 24, v0
	v_dual_mov_b32 v2, s8 :: v_dual_mov_b32 v3, s9
	s_mov_b32 s24, exec_lo
	scratch_store_b64 off, v[2:3], s32 offset:772 ; 8-byte Folded Spill
	v_cmpx_ne_u32_e32 0x80, v1
	s_cbranch_execz .LBB270_434
; %bb.429:                              ;   in Loop: Header=BB270_16 Depth=1
	s_mov_b32 s2, s8
	v_bfe_u32 v2, v0, 24, 7
	v_dual_mov_b32 v4, s3 :: v_dual_mov_b32 v3, s2
	s_mov_b32 s2, exec_lo
	scratch_store_b64 off, v[3:4], s32 offset:772 ; 8-byte Folded Spill
	v_cmpx_ne_u32_e32 0x7f, v2
	s_cbranch_execz .LBB270_433
; %bb.430:                              ;   in Loop: Header=BB270_16 Depth=1
	v_and_b32_e32 v14, 7, v1
	v_lshrrev_b32_e32 v0, 3, v2
	s_mov_b32 s25, exec_lo
	v_cmpx_gt_u32_e32 8, v2
; %bb.431:                              ;   in Loop: Header=BB270_16 Depth=1
	s_delay_alu instid0(VALU_DEP_3) | instskip(NEXT) | instid1(VALU_DEP_1)
	v_clz_i32_u32_e32 v0, v14
	v_min_u32_e32 v0, 32, v0
	s_delay_alu instid0(VALU_DEP_1) | instskip(SKIP_1) | instid1(VALU_DEP_2)
	v_subrev_nc_u32_e32 v2, 28, v0
	v_sub_nc_u32_e32 v0, 29, v0
	v_lshlrev_b64 v[2:3], v2, v[14:15]
	s_delay_alu instid0(VALU_DEP_1)
	v_and_b32_e32 v14, 7, v2
; %bb.432:                              ;   in Loop: Header=BB270_16 Depth=1
	s_or_b32 exec_lo, exec_lo, s25
	v_lshlrev_b32_e32 v1, 24, v1
	s_delay_alu instid0(VALU_DEP_2) | instskip(SKIP_1) | instid1(VALU_DEP_3)
	v_lshlrev_b32_e32 v2, 20, v14
	v_lshl_add_u32 v0, v0, 23, 0x3c000000
	v_and_b32_e32 v1, 0x80000000, v1
	s_delay_alu instid0(VALU_DEP_1)
	v_or3_b32 v1, v2, v1, v0
	v_mov_b32_e32 v0, v15
	scratch_store_b64 off, v[0:1], s32 offset:772 ; 8-byte Folded Spill
.LBB270_433:                            ;   in Loop: Header=BB270_16 Depth=1
	s_or_b32 exec_lo, exec_lo, s2
.LBB270_434:                            ;   in Loop: Header=BB270_16 Depth=1
	s_delay_alu instid0(SALU_CYCLE_1)
	s_or_b32 exec_lo, exec_lo, s24
.LBB270_435:                            ;   in Loop: Header=BB270_16 Depth=1
	s_delay_alu instid0(SALU_CYCLE_1)
	s_or_b32 exec_lo, exec_lo, s23
	flat_load_b32 v0, v[52:53] offset:1540
	v_mov_b32_e32 v2, 0
	v_mov_b32_e32 v3, 0
	s_mov_b32 s2, exec_lo
	s_clause 0x1
	scratch_store_b64 off, v[2:3], s32 offset:788
	scratch_store_b64 off, v[2:3], s32 offset:796
	s_waitcnt vmcnt(0) lgkmcnt(0)
	v_and_b32_e32 v1, 0xff, v0
	s_delay_alu instid0(VALU_DEP_1)
	v_cmpx_ne_u16_e32 0, v1
	s_cbranch_execz .LBB270_443
; %bb.436:                              ;   in Loop: Header=BB270_16 Depth=1
	v_cmp_ne_u16_e64 s1, 0x80, v1
	v_bfrev_b32_e32 v1, 1
	v_mov_b32_e32 v2, 0
	scratch_store_b64 off, v[1:2], s32 offset:796 ; 8-byte Folded Spill
	s_and_saveexec_b32 s23, s1
	s_cbranch_execz .LBB270_442
; %bb.437:                              ;   in Loop: Header=BB270_16 Depth=1
	v_mov_b32_e32 v3, 0x7f800001
	v_and_b32_e32 v2, 0x7f, v0
	v_mov_b32_e32 v4, 0
	s_mov_b32 s24, exec_lo
	scratch_store_b64 off, v[3:4], s32 offset:796 ; 8-byte Folded Spill
	v_cmpx_ne_u32_e32 0x7f, v2
	s_cbranch_execz .LBB270_441
; %bb.438:                              ;   in Loop: Header=BB270_16 Depth=1
	v_and_b32_e32 v14, 7, v0
	v_lshrrev_b32_e32 v1, 3, v2
	s_mov_b32 s25, exec_lo
	v_cmpx_gt_u32_e32 8, v2
; %bb.439:                              ;   in Loop: Header=BB270_16 Depth=1
	s_delay_alu instid0(VALU_DEP_3) | instskip(NEXT) | instid1(VALU_DEP_1)
	v_clz_i32_u32_e32 v1, v14
	v_min_u32_e32 v1, 32, v1
	s_delay_alu instid0(VALU_DEP_1) | instskip(SKIP_1) | instid1(VALU_DEP_2)
	v_subrev_nc_u32_e32 v2, 28, v1
	v_sub_nc_u32_e32 v1, 29, v1
	v_lshlrev_b64 v[2:3], v2, v[14:15]
	s_delay_alu instid0(VALU_DEP_1)
	v_and_b32_e32 v14, 7, v2
; %bb.440:                              ;   in Loop: Header=BB270_16 Depth=1
	s_or_b32 exec_lo, exec_lo, s25
	v_lshlrev_b32_e32 v2, 24, v0
	s_delay_alu instid0(VALU_DEP_2) | instskip(SKIP_1) | instid1(VALU_DEP_3)
	v_lshlrev_b32_e32 v3, 20, v14
	v_lshl_add_u32 v1, v1, 23, 0x3c000000
	v_and_b32_e32 v2, 0x80000000, v2
	s_delay_alu instid0(VALU_DEP_1)
	v_or3_b32 v14, v3, v2, v1
	scratch_store_b64 off, v[14:15], s32 offset:796 ; 8-byte Folded Spill
.LBB270_441:                            ;   in Loop: Header=BB270_16 Depth=1
	s_or_b32 exec_lo, exec_lo, s24
.LBB270_442:                            ;   in Loop: Header=BB270_16 Depth=1
	s_delay_alu instid0(SALU_CYCLE_1)
	s_or_b32 exec_lo, exec_lo, s23
.LBB270_443:                            ;   in Loop: Header=BB270_16 Depth=1
	s_delay_alu instid0(SALU_CYCLE_1) | instskip(SKIP_2) | instid1(VALU_DEP_1)
	s_or_b32 exec_lo, exec_lo, s2
	v_lshrrev_b16 v1, 8, v0
	s_mov_b32 s23, exec_lo
	v_cmpx_ne_u16_e32 0, v1
	s_cbranch_execz .LBB270_451
; %bb.444:                              ;   in Loop: Header=BB270_16 Depth=1
	v_dual_mov_b32 v2, s8 :: v_dual_mov_b32 v3, s9
	s_mov_b32 s24, exec_lo
	scratch_store_b64 off, v[2:3], s32 offset:788 ; 8-byte Folded Spill
	v_cmpx_ne_u16_e32 0x80, v1
	s_cbranch_execz .LBB270_450
; %bb.445:                              ;   in Loop: Header=BB270_16 Depth=1
	s_mov_b32 s2, s8
	v_dual_mov_b32 v4, s3 :: v_dual_and_b32 v1, 0xffff, v1
	v_mov_b32_e32 v3, s2
	s_mov_b32 s2, exec_lo
	s_delay_alu instid0(VALU_DEP_2)
	v_and_b32_e32 v2, 0x7f, v1
	scratch_store_b64 off, v[3:4], s32 offset:788 ; 8-byte Folded Spill
	v_cmpx_ne_u32_e32 0x7f, v2
	s_cbranch_execz .LBB270_449
; %bb.446:                              ;   in Loop: Header=BB270_16 Depth=1
	v_and_b32_e32 v14, 7, v1
	v_lshrrev_b32_e32 v1, 3, v2
	s_mov_b32 s25, exec_lo
	v_cmpx_gt_u32_e32 8, v2
; %bb.447:                              ;   in Loop: Header=BB270_16 Depth=1
	s_delay_alu instid0(VALU_DEP_3) | instskip(NEXT) | instid1(VALU_DEP_1)
	v_clz_i32_u32_e32 v1, v14
	v_min_u32_e32 v1, 32, v1
	s_delay_alu instid0(VALU_DEP_1) | instskip(SKIP_1) | instid1(VALU_DEP_2)
	v_subrev_nc_u32_e32 v2, 28, v1
	v_sub_nc_u32_e32 v1, 29, v1
	v_lshlrev_b64 v[2:3], v2, v[14:15]
	s_delay_alu instid0(VALU_DEP_1)
	v_and_b32_e32 v14, 7, v2
; %bb.448:                              ;   in Loop: Header=BB270_16 Depth=1
	s_or_b32 exec_lo, exec_lo, s25
	v_lshlrev_b32_e32 v2, 16, v0
	s_delay_alu instid0(VALU_DEP_2) | instskip(SKIP_1) | instid1(VALU_DEP_3)
	v_lshlrev_b32_e32 v3, 20, v14
	v_lshl_add_u32 v1, v1, 23, 0x3c000000
	v_and_b32_e32 v2, 0x80000000, v2
	s_delay_alu instid0(VALU_DEP_1)
	v_or3_b32 v2, v3, v2, v1
	v_mov_b32_e32 v1, v15
	scratch_store_b64 off, v[1:2], s32 offset:788 ; 8-byte Folded Spill
.LBB270_449:                            ;   in Loop: Header=BB270_16 Depth=1
	s_or_b32 exec_lo, exec_lo, s2
.LBB270_450:                            ;   in Loop: Header=BB270_16 Depth=1
	s_delay_alu instid0(SALU_CYCLE_1)
	s_or_b32 exec_lo, exec_lo, s24
.LBB270_451:                            ;   in Loop: Header=BB270_16 Depth=1
	s_delay_alu instid0(SALU_CYCLE_1)
	s_or_b32 exec_lo, exec_lo, s23
	v_lshrrev_b32_e32 v1, 16, v0
	v_mov_b32_e32 v3, 0
	v_mov_b32_e32 v4, 0
	s_mov_b32 s2, exec_lo
	s_clause 0x1
	scratch_store_b64 off, v[3:4], s32 offset:804
	scratch_store_b64 off, v[3:4], s32 offset:812
	v_and_b32_e32 v2, 0xff, v1
	s_delay_alu instid0(VALU_DEP_1)
	v_cmpx_ne_u16_e32 0, v2
	s_cbranch_execz .LBB270_459
; %bb.452:                              ;   in Loop: Header=BB270_16 Depth=1
	v_cmp_ne_u16_e64 s1, 0x80, v2
	v_bfrev_b32_e32 v2, 1
	v_mov_b32_e32 v3, 0
	scratch_store_b64 off, v[2:3], s32 offset:812 ; 8-byte Folded Spill
	s_and_saveexec_b32 s23, s1
	s_cbranch_execz .LBB270_458
; %bb.453:                              ;   in Loop: Header=BB270_16 Depth=1
	v_mov_b32_e32 v4, 0x7f800001
	v_bfe_u32 v3, v0, 16, 7
	v_mov_b32_e32 v5, 0
	s_mov_b32 s24, exec_lo
	scratch_store_b64 off, v[4:5], s32 offset:812 ; 8-byte Folded Spill
	v_cmpx_ne_u32_e32 0x7f, v3
	s_cbranch_execz .LBB270_457
; %bb.454:                              ;   in Loop: Header=BB270_16 Depth=1
	v_and_b32_e32 v14, 7, v1
	v_lshrrev_b32_e32 v2, 3, v3
	s_mov_b32 s25, exec_lo
	v_cmpx_gt_u32_e32 8, v3
; %bb.455:                              ;   in Loop: Header=BB270_16 Depth=1
	s_delay_alu instid0(VALU_DEP_3) | instskip(NEXT) | instid1(VALU_DEP_1)
	v_clz_i32_u32_e32 v2, v14
	v_min_u32_e32 v2, 32, v2
	s_delay_alu instid0(VALU_DEP_1) | instskip(SKIP_1) | instid1(VALU_DEP_2)
	v_subrev_nc_u32_e32 v3, 28, v2
	v_sub_nc_u32_e32 v2, 29, v2
	v_lshlrev_b64 v[3:4], v3, v[14:15]
	s_delay_alu instid0(VALU_DEP_1)
	v_and_b32_e32 v14, 7, v3
; %bb.456:                              ;   in Loop: Header=BB270_16 Depth=1
	s_or_b32 exec_lo, exec_lo, s25
	v_lshlrev_b32_e32 v1, 24, v1
	s_delay_alu instid0(VALU_DEP_2) | instskip(SKIP_1) | instid1(VALU_DEP_3)
	v_lshlrev_b32_e32 v3, 20, v14
	v_lshl_add_u32 v2, v2, 23, 0x3c000000
	v_and_b32_e32 v1, 0x80000000, v1
	s_delay_alu instid0(VALU_DEP_1)
	v_or3_b32 v14, v3, v1, v2
	scratch_store_b64 off, v[14:15], s32 offset:812 ; 8-byte Folded Spill
.LBB270_457:                            ;   in Loop: Header=BB270_16 Depth=1
	s_or_b32 exec_lo, exec_lo, s24
.LBB270_458:                            ;   in Loop: Header=BB270_16 Depth=1
	s_delay_alu instid0(SALU_CYCLE_1)
	s_or_b32 exec_lo, exec_lo, s23
.LBB270_459:                            ;   in Loop: Header=BB270_16 Depth=1
	s_delay_alu instid0(SALU_CYCLE_1) | instskip(NEXT) | instid1(SALU_CYCLE_1)
	s_or_b32 exec_lo, exec_lo, s2
	s_mov_b32 s23, exec_lo
	v_cmpx_lt_u32_e32 0xffffff, v0
	s_cbranch_execz .LBB270_467
; %bb.460:                              ;   in Loop: Header=BB270_16 Depth=1
	v_lshrrev_b32_e32 v1, 24, v0
	v_dual_mov_b32 v2, s8 :: v_dual_mov_b32 v3, s9
	s_mov_b32 s24, exec_lo
	scratch_store_b64 off, v[2:3], s32 offset:804 ; 8-byte Folded Spill
	v_cmpx_ne_u32_e32 0x80, v1
	s_cbranch_execz .LBB270_466
; %bb.461:                              ;   in Loop: Header=BB270_16 Depth=1
	s_mov_b32 s2, s8
	v_bfe_u32 v2, v0, 24, 7
	v_dual_mov_b32 v4, s3 :: v_dual_mov_b32 v3, s2
	s_mov_b32 s2, exec_lo
	scratch_store_b64 off, v[3:4], s32 offset:804 ; 8-byte Folded Spill
	v_cmpx_ne_u32_e32 0x7f, v2
	s_cbranch_execz .LBB270_465
; %bb.462:                              ;   in Loop: Header=BB270_16 Depth=1
	v_and_b32_e32 v14, 7, v1
	v_lshrrev_b32_e32 v0, 3, v2
	s_mov_b32 s25, exec_lo
	v_cmpx_gt_u32_e32 8, v2
; %bb.463:                              ;   in Loop: Header=BB270_16 Depth=1
	s_delay_alu instid0(VALU_DEP_3) | instskip(NEXT) | instid1(VALU_DEP_1)
	v_clz_i32_u32_e32 v0, v14
	v_min_u32_e32 v0, 32, v0
	s_delay_alu instid0(VALU_DEP_1) | instskip(SKIP_1) | instid1(VALU_DEP_2)
	v_subrev_nc_u32_e32 v2, 28, v0
	v_sub_nc_u32_e32 v0, 29, v0
	v_lshlrev_b64 v[2:3], v2, v[14:15]
	s_delay_alu instid0(VALU_DEP_1)
	v_and_b32_e32 v14, 7, v2
; %bb.464:                              ;   in Loop: Header=BB270_16 Depth=1
	s_or_b32 exec_lo, exec_lo, s25
	v_lshlrev_b32_e32 v1, 24, v1
	s_delay_alu instid0(VALU_DEP_2) | instskip(SKIP_1) | instid1(VALU_DEP_3)
	v_lshlrev_b32_e32 v2, 20, v14
	v_lshl_add_u32 v0, v0, 23, 0x3c000000
	v_and_b32_e32 v1, 0x80000000, v1
	s_delay_alu instid0(VALU_DEP_1)
	v_or3_b32 v1, v2, v1, v0
	v_mov_b32_e32 v0, v15
	scratch_store_b64 off, v[0:1], s32 offset:804 ; 8-byte Folded Spill
.LBB270_465:                            ;   in Loop: Header=BB270_16 Depth=1
	s_or_b32 exec_lo, exec_lo, s2
.LBB270_466:                            ;   in Loop: Header=BB270_16 Depth=1
	s_delay_alu instid0(SALU_CYCLE_1)
	s_or_b32 exec_lo, exec_lo, s24
.LBB270_467:                            ;   in Loop: Header=BB270_16 Depth=1
	s_delay_alu instid0(SALU_CYCLE_1)
	s_or_b32 exec_lo, exec_lo, s23
	flat_load_b32 v0, v[52:53] offset:1544
	v_mov_b32_e32 v2, 0
	v_mov_b32_e32 v3, 0
	s_mov_b32 s2, exec_lo
	s_clause 0x1
	scratch_store_b64 off, v[2:3], s32 offset:820
	scratch_store_b64 off, v[2:3], s32 offset:828
	s_waitcnt vmcnt(0) lgkmcnt(0)
	v_and_b32_e32 v1, 0xff, v0
	s_delay_alu instid0(VALU_DEP_1)
	v_cmpx_ne_u16_e32 0, v1
	s_cbranch_execz .LBB270_475
; %bb.468:                              ;   in Loop: Header=BB270_16 Depth=1
	v_cmp_ne_u16_e64 s1, 0x80, v1
	v_bfrev_b32_e32 v1, 1
	v_mov_b32_e32 v2, 0
	scratch_store_b64 off, v[1:2], s32 offset:828 ; 8-byte Folded Spill
	s_and_saveexec_b32 s23, s1
	s_cbranch_execz .LBB270_474
; %bb.469:                              ;   in Loop: Header=BB270_16 Depth=1
	v_mov_b32_e32 v3, 0x7f800001
	v_and_b32_e32 v2, 0x7f, v0
	v_mov_b32_e32 v4, 0
	s_mov_b32 s24, exec_lo
	scratch_store_b64 off, v[3:4], s32 offset:828 ; 8-byte Folded Spill
	v_cmpx_ne_u32_e32 0x7f, v2
	s_cbranch_execz .LBB270_473
; %bb.470:                              ;   in Loop: Header=BB270_16 Depth=1
	v_and_b32_e32 v14, 7, v0
	v_lshrrev_b32_e32 v1, 3, v2
	s_mov_b32 s25, exec_lo
	v_cmpx_gt_u32_e32 8, v2
; %bb.471:                              ;   in Loop: Header=BB270_16 Depth=1
	s_delay_alu instid0(VALU_DEP_3) | instskip(NEXT) | instid1(VALU_DEP_1)
	v_clz_i32_u32_e32 v1, v14
	v_min_u32_e32 v1, 32, v1
	s_delay_alu instid0(VALU_DEP_1) | instskip(SKIP_1) | instid1(VALU_DEP_2)
	v_subrev_nc_u32_e32 v2, 28, v1
	v_sub_nc_u32_e32 v1, 29, v1
	v_lshlrev_b64 v[2:3], v2, v[14:15]
	s_delay_alu instid0(VALU_DEP_1)
	v_and_b32_e32 v14, 7, v2
; %bb.472:                              ;   in Loop: Header=BB270_16 Depth=1
	s_or_b32 exec_lo, exec_lo, s25
	v_lshlrev_b32_e32 v2, 24, v0
	s_delay_alu instid0(VALU_DEP_2) | instskip(SKIP_1) | instid1(VALU_DEP_3)
	v_lshlrev_b32_e32 v3, 20, v14
	v_lshl_add_u32 v1, v1, 23, 0x3c000000
	v_and_b32_e32 v2, 0x80000000, v2
	s_delay_alu instid0(VALU_DEP_1)
	v_or3_b32 v14, v3, v2, v1
	scratch_store_b64 off, v[14:15], s32 offset:828 ; 8-byte Folded Spill
.LBB270_473:                            ;   in Loop: Header=BB270_16 Depth=1
	s_or_b32 exec_lo, exec_lo, s24
.LBB270_474:                            ;   in Loop: Header=BB270_16 Depth=1
	s_delay_alu instid0(SALU_CYCLE_1)
	s_or_b32 exec_lo, exec_lo, s23
.LBB270_475:                            ;   in Loop: Header=BB270_16 Depth=1
	s_delay_alu instid0(SALU_CYCLE_1) | instskip(SKIP_2) | instid1(VALU_DEP_1)
	s_or_b32 exec_lo, exec_lo, s2
	v_lshrrev_b16 v1, 8, v0
	s_mov_b32 s23, exec_lo
	v_cmpx_ne_u16_e32 0, v1
	s_cbranch_execz .LBB270_483
; %bb.476:                              ;   in Loop: Header=BB270_16 Depth=1
	v_dual_mov_b32 v2, s8 :: v_dual_mov_b32 v3, s9
	s_mov_b32 s24, exec_lo
	scratch_store_b64 off, v[2:3], s32 offset:820 ; 8-byte Folded Spill
	v_cmpx_ne_u16_e32 0x80, v1
	s_cbranch_execz .LBB270_482
; %bb.477:                              ;   in Loop: Header=BB270_16 Depth=1
	s_mov_b32 s2, s8
	v_dual_mov_b32 v4, s3 :: v_dual_and_b32 v1, 0xffff, v1
	v_mov_b32_e32 v3, s2
	s_mov_b32 s2, exec_lo
	s_delay_alu instid0(VALU_DEP_2)
	v_and_b32_e32 v2, 0x7f, v1
	scratch_store_b64 off, v[3:4], s32 offset:820 ; 8-byte Folded Spill
	v_cmpx_ne_u32_e32 0x7f, v2
	s_cbranch_execz .LBB270_481
; %bb.478:                              ;   in Loop: Header=BB270_16 Depth=1
	v_and_b32_e32 v14, 7, v1
	v_lshrrev_b32_e32 v1, 3, v2
	s_mov_b32 s25, exec_lo
	v_cmpx_gt_u32_e32 8, v2
; %bb.479:                              ;   in Loop: Header=BB270_16 Depth=1
	s_delay_alu instid0(VALU_DEP_3) | instskip(NEXT) | instid1(VALU_DEP_1)
	v_clz_i32_u32_e32 v1, v14
	v_min_u32_e32 v1, 32, v1
	s_delay_alu instid0(VALU_DEP_1) | instskip(SKIP_1) | instid1(VALU_DEP_2)
	v_subrev_nc_u32_e32 v2, 28, v1
	v_sub_nc_u32_e32 v1, 29, v1
	v_lshlrev_b64 v[2:3], v2, v[14:15]
	s_delay_alu instid0(VALU_DEP_1)
	v_and_b32_e32 v14, 7, v2
; %bb.480:                              ;   in Loop: Header=BB270_16 Depth=1
	s_or_b32 exec_lo, exec_lo, s25
	v_lshlrev_b32_e32 v2, 16, v0
	s_delay_alu instid0(VALU_DEP_2) | instskip(SKIP_1) | instid1(VALU_DEP_3)
	v_lshlrev_b32_e32 v3, 20, v14
	v_lshl_add_u32 v1, v1, 23, 0x3c000000
	v_and_b32_e32 v2, 0x80000000, v2
	s_delay_alu instid0(VALU_DEP_1)
	v_or3_b32 v2, v3, v2, v1
	v_mov_b32_e32 v1, v15
	scratch_store_b64 off, v[1:2], s32 offset:820 ; 8-byte Folded Spill
.LBB270_481:                            ;   in Loop: Header=BB270_16 Depth=1
	s_or_b32 exec_lo, exec_lo, s2
.LBB270_482:                            ;   in Loop: Header=BB270_16 Depth=1
	s_delay_alu instid0(SALU_CYCLE_1)
	s_or_b32 exec_lo, exec_lo, s24
.LBB270_483:                            ;   in Loop: Header=BB270_16 Depth=1
	s_delay_alu instid0(SALU_CYCLE_1)
	s_or_b32 exec_lo, exec_lo, s23
	v_lshrrev_b32_e32 v1, 16, v0
	v_mov_b32_e32 v3, 0
	v_mov_b32_e32 v4, 0
	s_mov_b32 s2, exec_lo
	s_clause 0x1
	scratch_store_b64 off, v[3:4], s32 offset:836
	scratch_store_b64 off, v[3:4], s32 offset:844
	v_and_b32_e32 v2, 0xff, v1
	s_delay_alu instid0(VALU_DEP_1)
	v_cmpx_ne_u16_e32 0, v2
	s_cbranch_execz .LBB270_491
; %bb.484:                              ;   in Loop: Header=BB270_16 Depth=1
	v_cmp_ne_u16_e64 s1, 0x80, v2
	v_bfrev_b32_e32 v2, 1
	v_mov_b32_e32 v3, 0
	scratch_store_b64 off, v[2:3], s32 offset:844 ; 8-byte Folded Spill
	s_and_saveexec_b32 s23, s1
	s_cbranch_execz .LBB270_490
; %bb.485:                              ;   in Loop: Header=BB270_16 Depth=1
	v_mov_b32_e32 v4, 0x7f800001
	v_bfe_u32 v3, v0, 16, 7
	v_mov_b32_e32 v5, 0
	s_mov_b32 s24, exec_lo
	scratch_store_b64 off, v[4:5], s32 offset:844 ; 8-byte Folded Spill
	v_cmpx_ne_u32_e32 0x7f, v3
	s_cbranch_execz .LBB270_489
; %bb.486:                              ;   in Loop: Header=BB270_16 Depth=1
	v_and_b32_e32 v14, 7, v1
	v_lshrrev_b32_e32 v2, 3, v3
	s_mov_b32 s25, exec_lo
	v_cmpx_gt_u32_e32 8, v3
; %bb.487:                              ;   in Loop: Header=BB270_16 Depth=1
	s_delay_alu instid0(VALU_DEP_3) | instskip(NEXT) | instid1(VALU_DEP_1)
	v_clz_i32_u32_e32 v2, v14
	v_min_u32_e32 v2, 32, v2
	s_delay_alu instid0(VALU_DEP_1) | instskip(SKIP_1) | instid1(VALU_DEP_2)
	v_subrev_nc_u32_e32 v3, 28, v2
	v_sub_nc_u32_e32 v2, 29, v2
	v_lshlrev_b64 v[3:4], v3, v[14:15]
	s_delay_alu instid0(VALU_DEP_1)
	v_and_b32_e32 v14, 7, v3
; %bb.488:                              ;   in Loop: Header=BB270_16 Depth=1
	s_or_b32 exec_lo, exec_lo, s25
	v_lshlrev_b32_e32 v1, 24, v1
	s_delay_alu instid0(VALU_DEP_2) | instskip(SKIP_1) | instid1(VALU_DEP_3)
	v_lshlrev_b32_e32 v3, 20, v14
	v_lshl_add_u32 v2, v2, 23, 0x3c000000
	v_and_b32_e32 v1, 0x80000000, v1
	s_delay_alu instid0(VALU_DEP_1)
	v_or3_b32 v14, v3, v1, v2
	scratch_store_b64 off, v[14:15], s32 offset:844 ; 8-byte Folded Spill
.LBB270_489:                            ;   in Loop: Header=BB270_16 Depth=1
	s_or_b32 exec_lo, exec_lo, s24
.LBB270_490:                            ;   in Loop: Header=BB270_16 Depth=1
	s_delay_alu instid0(SALU_CYCLE_1)
	s_or_b32 exec_lo, exec_lo, s23
.LBB270_491:                            ;   in Loop: Header=BB270_16 Depth=1
	s_delay_alu instid0(SALU_CYCLE_1) | instskip(NEXT) | instid1(SALU_CYCLE_1)
	s_or_b32 exec_lo, exec_lo, s2
	s_mov_b32 s23, exec_lo
	v_cmpx_lt_u32_e32 0xffffff, v0
	s_cbranch_execz .LBB270_499
; %bb.492:                              ;   in Loop: Header=BB270_16 Depth=1
	v_lshrrev_b32_e32 v1, 24, v0
	v_dual_mov_b32 v2, s8 :: v_dual_mov_b32 v3, s9
	s_mov_b32 s24, exec_lo
	scratch_store_b64 off, v[2:3], s32 offset:836 ; 8-byte Folded Spill
	v_cmpx_ne_u32_e32 0x80, v1
	s_cbranch_execz .LBB270_498
; %bb.493:                              ;   in Loop: Header=BB270_16 Depth=1
	s_mov_b32 s2, s8
	v_bfe_u32 v2, v0, 24, 7
	v_dual_mov_b32 v4, s3 :: v_dual_mov_b32 v3, s2
	s_mov_b32 s2, exec_lo
	scratch_store_b64 off, v[3:4], s32 offset:836 ; 8-byte Folded Spill
	v_cmpx_ne_u32_e32 0x7f, v2
	s_cbranch_execz .LBB270_497
; %bb.494:                              ;   in Loop: Header=BB270_16 Depth=1
	v_and_b32_e32 v14, 7, v1
	v_lshrrev_b32_e32 v0, 3, v2
	s_mov_b32 s25, exec_lo
	v_cmpx_gt_u32_e32 8, v2
; %bb.495:                              ;   in Loop: Header=BB270_16 Depth=1
	s_delay_alu instid0(VALU_DEP_3) | instskip(NEXT) | instid1(VALU_DEP_1)
	v_clz_i32_u32_e32 v0, v14
	v_min_u32_e32 v0, 32, v0
	s_delay_alu instid0(VALU_DEP_1) | instskip(SKIP_1) | instid1(VALU_DEP_2)
	v_subrev_nc_u32_e32 v2, 28, v0
	v_sub_nc_u32_e32 v0, 29, v0
	v_lshlrev_b64 v[2:3], v2, v[14:15]
	s_delay_alu instid0(VALU_DEP_1)
	v_and_b32_e32 v14, 7, v2
; %bb.496:                              ;   in Loop: Header=BB270_16 Depth=1
	s_or_b32 exec_lo, exec_lo, s25
	v_lshlrev_b32_e32 v1, 24, v1
	s_delay_alu instid0(VALU_DEP_2) | instskip(SKIP_1) | instid1(VALU_DEP_3)
	v_lshlrev_b32_e32 v2, 20, v14
	v_lshl_add_u32 v0, v0, 23, 0x3c000000
	v_and_b32_e32 v1, 0x80000000, v1
	s_delay_alu instid0(VALU_DEP_1)
	v_or3_b32 v1, v2, v1, v0
	v_mov_b32_e32 v0, v15
	scratch_store_b64 off, v[0:1], s32 offset:836 ; 8-byte Folded Spill
.LBB270_497:                            ;   in Loop: Header=BB270_16 Depth=1
	s_or_b32 exec_lo, exec_lo, s2
.LBB270_498:                            ;   in Loop: Header=BB270_16 Depth=1
	s_delay_alu instid0(SALU_CYCLE_1)
	s_or_b32 exec_lo, exec_lo, s24
.LBB270_499:                            ;   in Loop: Header=BB270_16 Depth=1
	s_delay_alu instid0(SALU_CYCLE_1)
	s_or_b32 exec_lo, exec_lo, s23
	flat_load_b32 v0, v[52:53] offset:1548
	v_mov_b32_e32 v2, 0
	v_mov_b32_e32 v3, 0
	s_mov_b32 s2, exec_lo
	s_clause 0x1
	scratch_store_b64 off, v[2:3], s32 offset:852
	scratch_store_b64 off, v[2:3], s32 offset:860
	s_waitcnt vmcnt(0) lgkmcnt(0)
	v_and_b32_e32 v1, 0xff, v0
	s_delay_alu instid0(VALU_DEP_1)
	v_cmpx_ne_u16_e32 0, v1
	s_cbranch_execz .LBB270_507
; %bb.500:                              ;   in Loop: Header=BB270_16 Depth=1
	v_cmp_ne_u16_e64 s1, 0x80, v1
	v_bfrev_b32_e32 v1, 1
	v_mov_b32_e32 v2, 0
	scratch_store_b64 off, v[1:2], s32 offset:860 ; 8-byte Folded Spill
	s_and_saveexec_b32 s23, s1
	s_cbranch_execz .LBB270_506
; %bb.501:                              ;   in Loop: Header=BB270_16 Depth=1
	v_mov_b32_e32 v3, 0x7f800001
	v_and_b32_e32 v2, 0x7f, v0
	v_mov_b32_e32 v4, 0
	s_mov_b32 s24, exec_lo
	scratch_store_b64 off, v[3:4], s32 offset:860 ; 8-byte Folded Spill
	v_cmpx_ne_u32_e32 0x7f, v2
	s_cbranch_execz .LBB270_505
; %bb.502:                              ;   in Loop: Header=BB270_16 Depth=1
	v_and_b32_e32 v14, 7, v0
	v_lshrrev_b32_e32 v1, 3, v2
	s_mov_b32 s25, exec_lo
	v_cmpx_gt_u32_e32 8, v2
; %bb.503:                              ;   in Loop: Header=BB270_16 Depth=1
	s_delay_alu instid0(VALU_DEP_3) | instskip(NEXT) | instid1(VALU_DEP_1)
	v_clz_i32_u32_e32 v1, v14
	v_min_u32_e32 v1, 32, v1
	s_delay_alu instid0(VALU_DEP_1) | instskip(SKIP_1) | instid1(VALU_DEP_2)
	v_subrev_nc_u32_e32 v2, 28, v1
	v_sub_nc_u32_e32 v1, 29, v1
	v_lshlrev_b64 v[2:3], v2, v[14:15]
	s_delay_alu instid0(VALU_DEP_1)
	v_and_b32_e32 v14, 7, v2
; %bb.504:                              ;   in Loop: Header=BB270_16 Depth=1
	s_or_b32 exec_lo, exec_lo, s25
	v_lshlrev_b32_e32 v2, 24, v0
	s_delay_alu instid0(VALU_DEP_2) | instskip(SKIP_1) | instid1(VALU_DEP_3)
	v_lshlrev_b32_e32 v3, 20, v14
	v_lshl_add_u32 v1, v1, 23, 0x3c000000
	v_and_b32_e32 v2, 0x80000000, v2
	s_delay_alu instid0(VALU_DEP_1)
	v_or3_b32 v14, v3, v2, v1
	scratch_store_b64 off, v[14:15], s32 offset:860 ; 8-byte Folded Spill
.LBB270_505:                            ;   in Loop: Header=BB270_16 Depth=1
	s_or_b32 exec_lo, exec_lo, s24
.LBB270_506:                            ;   in Loop: Header=BB270_16 Depth=1
	s_delay_alu instid0(SALU_CYCLE_1)
	s_or_b32 exec_lo, exec_lo, s23
.LBB270_507:                            ;   in Loop: Header=BB270_16 Depth=1
	s_delay_alu instid0(SALU_CYCLE_1) | instskip(SKIP_2) | instid1(VALU_DEP_1)
	s_or_b32 exec_lo, exec_lo, s2
	v_lshrrev_b16 v1, 8, v0
	s_mov_b32 s23, exec_lo
	v_cmpx_ne_u16_e32 0, v1
	s_cbranch_execz .LBB270_515
; %bb.508:                              ;   in Loop: Header=BB270_16 Depth=1
	v_dual_mov_b32 v2, s8 :: v_dual_mov_b32 v3, s9
	s_mov_b32 s24, exec_lo
	scratch_store_b64 off, v[2:3], s32 offset:852 ; 8-byte Folded Spill
	v_cmpx_ne_u16_e32 0x80, v1
	s_cbranch_execz .LBB270_514
; %bb.509:                              ;   in Loop: Header=BB270_16 Depth=1
	s_mov_b32 s2, s8
	v_dual_mov_b32 v4, s3 :: v_dual_and_b32 v1, 0xffff, v1
	v_mov_b32_e32 v3, s2
	s_mov_b32 s2, exec_lo
	s_delay_alu instid0(VALU_DEP_2)
	v_and_b32_e32 v2, 0x7f, v1
	scratch_store_b64 off, v[3:4], s32 offset:852 ; 8-byte Folded Spill
	v_cmpx_ne_u32_e32 0x7f, v2
	s_cbranch_execz .LBB270_513
; %bb.510:                              ;   in Loop: Header=BB270_16 Depth=1
	v_and_b32_e32 v14, 7, v1
	v_lshrrev_b32_e32 v1, 3, v2
	s_mov_b32 s25, exec_lo
	v_cmpx_gt_u32_e32 8, v2
; %bb.511:                              ;   in Loop: Header=BB270_16 Depth=1
	s_delay_alu instid0(VALU_DEP_3) | instskip(NEXT) | instid1(VALU_DEP_1)
	v_clz_i32_u32_e32 v1, v14
	v_min_u32_e32 v1, 32, v1
	s_delay_alu instid0(VALU_DEP_1) | instskip(SKIP_1) | instid1(VALU_DEP_2)
	v_subrev_nc_u32_e32 v2, 28, v1
	v_sub_nc_u32_e32 v1, 29, v1
	v_lshlrev_b64 v[2:3], v2, v[14:15]
	s_delay_alu instid0(VALU_DEP_1)
	v_and_b32_e32 v14, 7, v2
; %bb.512:                              ;   in Loop: Header=BB270_16 Depth=1
	s_or_b32 exec_lo, exec_lo, s25
	v_lshlrev_b32_e32 v2, 16, v0
	s_delay_alu instid0(VALU_DEP_2) | instskip(SKIP_1) | instid1(VALU_DEP_3)
	v_lshlrev_b32_e32 v3, 20, v14
	v_lshl_add_u32 v1, v1, 23, 0x3c000000
	v_and_b32_e32 v2, 0x80000000, v2
	s_delay_alu instid0(VALU_DEP_1)
	v_or3_b32 v2, v3, v2, v1
	v_mov_b32_e32 v1, v15
	scratch_store_b64 off, v[1:2], s32 offset:852 ; 8-byte Folded Spill
.LBB270_513:                            ;   in Loop: Header=BB270_16 Depth=1
	s_or_b32 exec_lo, exec_lo, s2
.LBB270_514:                            ;   in Loop: Header=BB270_16 Depth=1
	s_delay_alu instid0(SALU_CYCLE_1)
	s_or_b32 exec_lo, exec_lo, s24
.LBB270_515:                            ;   in Loop: Header=BB270_16 Depth=1
	s_delay_alu instid0(SALU_CYCLE_1)
	s_or_b32 exec_lo, exec_lo, s23
	v_lshrrev_b32_e32 v1, 16, v0
	v_mov_b32_e32 v3, 0
	v_mov_b32_e32 v4, 0
	s_mov_b32 s2, exec_lo
	s_clause 0x1
	scratch_store_b64 off, v[3:4], s32 offset:868
	scratch_store_b64 off, v[3:4], s32 offset:876
	v_and_b32_e32 v2, 0xff, v1
	s_delay_alu instid0(VALU_DEP_1)
	v_cmpx_ne_u16_e32 0, v2
	s_cbranch_execz .LBB270_523
; %bb.516:                              ;   in Loop: Header=BB270_16 Depth=1
	v_cmp_ne_u16_e64 s1, 0x80, v2
	v_bfrev_b32_e32 v2, 1
	v_mov_b32_e32 v3, 0
	scratch_store_b64 off, v[2:3], s32 offset:876 ; 8-byte Folded Spill
	s_and_saveexec_b32 s23, s1
	s_cbranch_execz .LBB270_522
; %bb.517:                              ;   in Loop: Header=BB270_16 Depth=1
	v_mov_b32_e32 v4, 0x7f800001
	v_bfe_u32 v3, v0, 16, 7
	v_mov_b32_e32 v5, 0
	s_mov_b32 s24, exec_lo
	scratch_store_b64 off, v[4:5], s32 offset:876 ; 8-byte Folded Spill
	v_cmpx_ne_u32_e32 0x7f, v3
	s_cbranch_execz .LBB270_521
; %bb.518:                              ;   in Loop: Header=BB270_16 Depth=1
	v_and_b32_e32 v14, 7, v1
	v_lshrrev_b32_e32 v2, 3, v3
	s_mov_b32 s25, exec_lo
	v_cmpx_gt_u32_e32 8, v3
; %bb.519:                              ;   in Loop: Header=BB270_16 Depth=1
	s_delay_alu instid0(VALU_DEP_3) | instskip(NEXT) | instid1(VALU_DEP_1)
	v_clz_i32_u32_e32 v2, v14
	v_min_u32_e32 v2, 32, v2
	s_delay_alu instid0(VALU_DEP_1) | instskip(SKIP_1) | instid1(VALU_DEP_2)
	v_subrev_nc_u32_e32 v3, 28, v2
	v_sub_nc_u32_e32 v2, 29, v2
	v_lshlrev_b64 v[3:4], v3, v[14:15]
	s_delay_alu instid0(VALU_DEP_1)
	v_and_b32_e32 v14, 7, v3
; %bb.520:                              ;   in Loop: Header=BB270_16 Depth=1
	s_or_b32 exec_lo, exec_lo, s25
	v_lshlrev_b32_e32 v1, 24, v1
	s_delay_alu instid0(VALU_DEP_2) | instskip(SKIP_1) | instid1(VALU_DEP_3)
	v_lshlrev_b32_e32 v3, 20, v14
	v_lshl_add_u32 v2, v2, 23, 0x3c000000
	v_and_b32_e32 v1, 0x80000000, v1
	s_delay_alu instid0(VALU_DEP_1)
	v_or3_b32 v14, v3, v1, v2
	scratch_store_b64 off, v[14:15], s32 offset:876 ; 8-byte Folded Spill
.LBB270_521:                            ;   in Loop: Header=BB270_16 Depth=1
	s_or_b32 exec_lo, exec_lo, s24
.LBB270_522:                            ;   in Loop: Header=BB270_16 Depth=1
	s_delay_alu instid0(SALU_CYCLE_1)
	s_or_b32 exec_lo, exec_lo, s23
.LBB270_523:                            ;   in Loop: Header=BB270_16 Depth=1
	s_delay_alu instid0(SALU_CYCLE_1) | instskip(NEXT) | instid1(SALU_CYCLE_1)
	s_or_b32 exec_lo, exec_lo, s2
	s_mov_b32 s23, exec_lo
	v_cmpx_lt_u32_e32 0xffffff, v0
	s_cbranch_execz .LBB270_531
; %bb.524:                              ;   in Loop: Header=BB270_16 Depth=1
	v_lshrrev_b32_e32 v1, 24, v0
	v_dual_mov_b32 v2, s8 :: v_dual_mov_b32 v3, s9
	s_mov_b32 s24, exec_lo
	scratch_store_b64 off, v[2:3], s32 offset:868 ; 8-byte Folded Spill
	v_cmpx_ne_u32_e32 0x80, v1
	s_cbranch_execz .LBB270_530
; %bb.525:                              ;   in Loop: Header=BB270_16 Depth=1
	s_mov_b32 s2, s8
	v_bfe_u32 v2, v0, 24, 7
	v_dual_mov_b32 v4, s3 :: v_dual_mov_b32 v3, s2
	s_mov_b32 s2, exec_lo
	scratch_store_b64 off, v[3:4], s32 offset:868 ; 8-byte Folded Spill
	v_cmpx_ne_u32_e32 0x7f, v2
	s_cbranch_execz .LBB270_529
; %bb.526:                              ;   in Loop: Header=BB270_16 Depth=1
	v_and_b32_e32 v14, 7, v1
	v_lshrrev_b32_e32 v0, 3, v2
	s_mov_b32 s25, exec_lo
	v_cmpx_gt_u32_e32 8, v2
; %bb.527:                              ;   in Loop: Header=BB270_16 Depth=1
	s_delay_alu instid0(VALU_DEP_3) | instskip(NEXT) | instid1(VALU_DEP_1)
	v_clz_i32_u32_e32 v0, v14
	v_min_u32_e32 v0, 32, v0
	s_delay_alu instid0(VALU_DEP_1) | instskip(SKIP_1) | instid1(VALU_DEP_2)
	v_subrev_nc_u32_e32 v2, 28, v0
	v_sub_nc_u32_e32 v0, 29, v0
	v_lshlrev_b64 v[2:3], v2, v[14:15]
	s_delay_alu instid0(VALU_DEP_1)
	v_and_b32_e32 v14, 7, v2
; %bb.528:                              ;   in Loop: Header=BB270_16 Depth=1
	s_or_b32 exec_lo, exec_lo, s25
	v_lshlrev_b32_e32 v1, 24, v1
	s_delay_alu instid0(VALU_DEP_2) | instskip(SKIP_1) | instid1(VALU_DEP_3)
	v_lshlrev_b32_e32 v2, 20, v14
	v_lshl_add_u32 v0, v0, 23, 0x3c000000
	v_and_b32_e32 v1, 0x80000000, v1
	s_delay_alu instid0(VALU_DEP_1)
	v_or3_b32 v1, v2, v1, v0
	v_mov_b32_e32 v0, v15
	scratch_store_b64 off, v[0:1], s32 offset:868 ; 8-byte Folded Spill
.LBB270_529:                            ;   in Loop: Header=BB270_16 Depth=1
	s_or_b32 exec_lo, exec_lo, s2
.LBB270_530:                            ;   in Loop: Header=BB270_16 Depth=1
	s_delay_alu instid0(SALU_CYCLE_1)
	s_or_b32 exec_lo, exec_lo, s24
.LBB270_531:                            ;   in Loop: Header=BB270_16 Depth=1
	s_delay_alu instid0(SALU_CYCLE_1)
	s_or_b32 exec_lo, exec_lo, s23
	flat_load_b32 v0, v[52:53] offset:2048
	v_mov_b32_e32 v2, 0
	v_mov_b32_e32 v3, 0
	s_mov_b32 s2, exec_lo
	s_clause 0x1
	scratch_store_b64 off, v[2:3], s32 offset:884
	scratch_store_b64 off, v[2:3], s32 offset:892
	s_waitcnt vmcnt(0) lgkmcnt(0)
	v_and_b32_e32 v1, 0xff, v0
	s_delay_alu instid0(VALU_DEP_1)
	v_cmpx_ne_u16_e32 0, v1
	s_cbranch_execz .LBB270_539
; %bb.532:                              ;   in Loop: Header=BB270_16 Depth=1
	v_cmp_ne_u16_e64 s1, 0x80, v1
	v_bfrev_b32_e32 v1, 1
	v_mov_b32_e32 v2, 0
	scratch_store_b64 off, v[1:2], s32 offset:892 ; 8-byte Folded Spill
	s_and_saveexec_b32 s23, s1
	s_cbranch_execz .LBB270_538
; %bb.533:                              ;   in Loop: Header=BB270_16 Depth=1
	v_mov_b32_e32 v3, 0x7f800001
	v_and_b32_e32 v2, 0x7f, v0
	v_mov_b32_e32 v4, 0
	s_mov_b32 s24, exec_lo
	scratch_store_b64 off, v[3:4], s32 offset:892 ; 8-byte Folded Spill
	v_cmpx_ne_u32_e32 0x7f, v2
	s_cbranch_execz .LBB270_537
; %bb.534:                              ;   in Loop: Header=BB270_16 Depth=1
	v_and_b32_e32 v14, 7, v0
	v_lshrrev_b32_e32 v1, 3, v2
	s_mov_b32 s25, exec_lo
	v_cmpx_gt_u32_e32 8, v2
; %bb.535:                              ;   in Loop: Header=BB270_16 Depth=1
	s_delay_alu instid0(VALU_DEP_3) | instskip(NEXT) | instid1(VALU_DEP_1)
	v_clz_i32_u32_e32 v1, v14
	v_min_u32_e32 v1, 32, v1
	s_delay_alu instid0(VALU_DEP_1) | instskip(SKIP_1) | instid1(VALU_DEP_2)
	v_subrev_nc_u32_e32 v2, 28, v1
	v_sub_nc_u32_e32 v1, 29, v1
	v_lshlrev_b64 v[2:3], v2, v[14:15]
	s_delay_alu instid0(VALU_DEP_1)
	v_and_b32_e32 v14, 7, v2
; %bb.536:                              ;   in Loop: Header=BB270_16 Depth=1
	s_or_b32 exec_lo, exec_lo, s25
	v_lshlrev_b32_e32 v2, 24, v0
	s_delay_alu instid0(VALU_DEP_2) | instskip(SKIP_1) | instid1(VALU_DEP_3)
	v_lshlrev_b32_e32 v3, 20, v14
	v_lshl_add_u32 v1, v1, 23, 0x3c000000
	v_and_b32_e32 v2, 0x80000000, v2
	s_delay_alu instid0(VALU_DEP_1)
	v_or3_b32 v14, v3, v2, v1
	scratch_store_b64 off, v[14:15], s32 offset:892 ; 8-byte Folded Spill
.LBB270_537:                            ;   in Loop: Header=BB270_16 Depth=1
	s_or_b32 exec_lo, exec_lo, s24
.LBB270_538:                            ;   in Loop: Header=BB270_16 Depth=1
	s_delay_alu instid0(SALU_CYCLE_1)
	s_or_b32 exec_lo, exec_lo, s23
.LBB270_539:                            ;   in Loop: Header=BB270_16 Depth=1
	s_delay_alu instid0(SALU_CYCLE_1) | instskip(SKIP_2) | instid1(VALU_DEP_1)
	s_or_b32 exec_lo, exec_lo, s2
	v_lshrrev_b16 v1, 8, v0
	s_mov_b32 s23, exec_lo
	v_cmpx_ne_u16_e32 0, v1
	s_cbranch_execz .LBB270_547
; %bb.540:                              ;   in Loop: Header=BB270_16 Depth=1
	v_dual_mov_b32 v2, s8 :: v_dual_mov_b32 v3, s9
	s_mov_b32 s24, exec_lo
	scratch_store_b64 off, v[2:3], s32 offset:884 ; 8-byte Folded Spill
	v_cmpx_ne_u16_e32 0x80, v1
	s_cbranch_execz .LBB270_546
; %bb.541:                              ;   in Loop: Header=BB270_16 Depth=1
	s_mov_b32 s2, s8
	v_dual_mov_b32 v4, s3 :: v_dual_and_b32 v1, 0xffff, v1
	v_mov_b32_e32 v3, s2
	s_mov_b32 s2, exec_lo
	s_delay_alu instid0(VALU_DEP_2)
	v_and_b32_e32 v2, 0x7f, v1
	scratch_store_b64 off, v[3:4], s32 offset:884 ; 8-byte Folded Spill
	v_cmpx_ne_u32_e32 0x7f, v2
	s_cbranch_execz .LBB270_545
; %bb.542:                              ;   in Loop: Header=BB270_16 Depth=1
	v_and_b32_e32 v14, 7, v1
	v_lshrrev_b32_e32 v1, 3, v2
	s_mov_b32 s25, exec_lo
	v_cmpx_gt_u32_e32 8, v2
; %bb.543:                              ;   in Loop: Header=BB270_16 Depth=1
	s_delay_alu instid0(VALU_DEP_3) | instskip(NEXT) | instid1(VALU_DEP_1)
	v_clz_i32_u32_e32 v1, v14
	v_min_u32_e32 v1, 32, v1
	s_delay_alu instid0(VALU_DEP_1) | instskip(SKIP_1) | instid1(VALU_DEP_2)
	v_subrev_nc_u32_e32 v2, 28, v1
	v_sub_nc_u32_e32 v1, 29, v1
	v_lshlrev_b64 v[2:3], v2, v[14:15]
	s_delay_alu instid0(VALU_DEP_1)
	v_and_b32_e32 v14, 7, v2
; %bb.544:                              ;   in Loop: Header=BB270_16 Depth=1
	s_or_b32 exec_lo, exec_lo, s25
	v_lshlrev_b32_e32 v2, 16, v0
	s_delay_alu instid0(VALU_DEP_2) | instskip(SKIP_1) | instid1(VALU_DEP_3)
	v_lshlrev_b32_e32 v3, 20, v14
	v_lshl_add_u32 v1, v1, 23, 0x3c000000
	v_and_b32_e32 v2, 0x80000000, v2
	s_delay_alu instid0(VALU_DEP_1)
	v_or3_b32 v2, v3, v2, v1
	v_mov_b32_e32 v1, v15
	scratch_store_b64 off, v[1:2], s32 offset:884 ; 8-byte Folded Spill
.LBB270_545:                            ;   in Loop: Header=BB270_16 Depth=1
	s_or_b32 exec_lo, exec_lo, s2
.LBB270_546:                            ;   in Loop: Header=BB270_16 Depth=1
	s_delay_alu instid0(SALU_CYCLE_1)
	s_or_b32 exec_lo, exec_lo, s24
.LBB270_547:                            ;   in Loop: Header=BB270_16 Depth=1
	s_delay_alu instid0(SALU_CYCLE_1)
	s_or_b32 exec_lo, exec_lo, s23
	v_lshrrev_b32_e32 v1, 16, v0
	v_mov_b32_e32 v3, 0
	v_mov_b32_e32 v4, 0
	s_mov_b32 s2, exec_lo
	s_clause 0x1
	scratch_store_b64 off, v[3:4], s32 offset:900
	scratch_store_b64 off, v[3:4], s32 offset:908
	v_and_b32_e32 v2, 0xff, v1
	s_delay_alu instid0(VALU_DEP_1)
	v_cmpx_ne_u16_e32 0, v2
	s_cbranch_execz .LBB270_555
; %bb.548:                              ;   in Loop: Header=BB270_16 Depth=1
	v_cmp_ne_u16_e64 s1, 0x80, v2
	v_bfrev_b32_e32 v2, 1
	v_mov_b32_e32 v3, 0
	scratch_store_b64 off, v[2:3], s32 offset:908 ; 8-byte Folded Spill
	s_and_saveexec_b32 s23, s1
	s_cbranch_execz .LBB270_554
; %bb.549:                              ;   in Loop: Header=BB270_16 Depth=1
	v_mov_b32_e32 v4, 0x7f800001
	v_bfe_u32 v3, v0, 16, 7
	v_mov_b32_e32 v5, 0
	s_mov_b32 s24, exec_lo
	scratch_store_b64 off, v[4:5], s32 offset:908 ; 8-byte Folded Spill
	v_cmpx_ne_u32_e32 0x7f, v3
	s_cbranch_execz .LBB270_553
; %bb.550:                              ;   in Loop: Header=BB270_16 Depth=1
	v_and_b32_e32 v14, 7, v1
	v_lshrrev_b32_e32 v2, 3, v3
	s_mov_b32 s25, exec_lo
	v_cmpx_gt_u32_e32 8, v3
; %bb.551:                              ;   in Loop: Header=BB270_16 Depth=1
	s_delay_alu instid0(VALU_DEP_3) | instskip(NEXT) | instid1(VALU_DEP_1)
	v_clz_i32_u32_e32 v2, v14
	v_min_u32_e32 v2, 32, v2
	s_delay_alu instid0(VALU_DEP_1) | instskip(SKIP_1) | instid1(VALU_DEP_2)
	v_subrev_nc_u32_e32 v3, 28, v2
	v_sub_nc_u32_e32 v2, 29, v2
	v_lshlrev_b64 v[3:4], v3, v[14:15]
	s_delay_alu instid0(VALU_DEP_1)
	v_and_b32_e32 v14, 7, v3
; %bb.552:                              ;   in Loop: Header=BB270_16 Depth=1
	s_or_b32 exec_lo, exec_lo, s25
	v_lshlrev_b32_e32 v1, 24, v1
	s_delay_alu instid0(VALU_DEP_2) | instskip(SKIP_1) | instid1(VALU_DEP_3)
	v_lshlrev_b32_e32 v3, 20, v14
	v_lshl_add_u32 v2, v2, 23, 0x3c000000
	v_and_b32_e32 v1, 0x80000000, v1
	s_delay_alu instid0(VALU_DEP_1)
	v_or3_b32 v14, v3, v1, v2
	scratch_store_b64 off, v[14:15], s32 offset:908 ; 8-byte Folded Spill
.LBB270_553:                            ;   in Loop: Header=BB270_16 Depth=1
	s_or_b32 exec_lo, exec_lo, s24
.LBB270_554:                            ;   in Loop: Header=BB270_16 Depth=1
	s_delay_alu instid0(SALU_CYCLE_1)
	s_or_b32 exec_lo, exec_lo, s23
.LBB270_555:                            ;   in Loop: Header=BB270_16 Depth=1
	s_delay_alu instid0(SALU_CYCLE_1) | instskip(NEXT) | instid1(SALU_CYCLE_1)
	s_or_b32 exec_lo, exec_lo, s2
	s_mov_b32 s23, exec_lo
	v_cmpx_lt_u32_e32 0xffffff, v0
	s_cbranch_execz .LBB270_563
; %bb.556:                              ;   in Loop: Header=BB270_16 Depth=1
	v_lshrrev_b32_e32 v1, 24, v0
	v_dual_mov_b32 v2, s8 :: v_dual_mov_b32 v3, s9
	s_mov_b32 s24, exec_lo
	scratch_store_b64 off, v[2:3], s32 offset:900 ; 8-byte Folded Spill
	v_cmpx_ne_u32_e32 0x80, v1
	s_cbranch_execz .LBB270_562
; %bb.557:                              ;   in Loop: Header=BB270_16 Depth=1
	s_mov_b32 s2, s8
	v_bfe_u32 v2, v0, 24, 7
	v_dual_mov_b32 v4, s3 :: v_dual_mov_b32 v3, s2
	s_mov_b32 s2, exec_lo
	scratch_store_b64 off, v[3:4], s32 offset:900 ; 8-byte Folded Spill
	v_cmpx_ne_u32_e32 0x7f, v2
	s_cbranch_execz .LBB270_561
; %bb.558:                              ;   in Loop: Header=BB270_16 Depth=1
	v_and_b32_e32 v14, 7, v1
	v_lshrrev_b32_e32 v0, 3, v2
	s_mov_b32 s25, exec_lo
	v_cmpx_gt_u32_e32 8, v2
; %bb.559:                              ;   in Loop: Header=BB270_16 Depth=1
	s_delay_alu instid0(VALU_DEP_3) | instskip(NEXT) | instid1(VALU_DEP_1)
	v_clz_i32_u32_e32 v0, v14
	v_min_u32_e32 v0, 32, v0
	s_delay_alu instid0(VALU_DEP_1) | instskip(SKIP_1) | instid1(VALU_DEP_2)
	v_subrev_nc_u32_e32 v2, 28, v0
	v_sub_nc_u32_e32 v0, 29, v0
	v_lshlrev_b64 v[2:3], v2, v[14:15]
	s_delay_alu instid0(VALU_DEP_1)
	v_and_b32_e32 v14, 7, v2
; %bb.560:                              ;   in Loop: Header=BB270_16 Depth=1
	s_or_b32 exec_lo, exec_lo, s25
	v_lshlrev_b32_e32 v1, 24, v1
	s_delay_alu instid0(VALU_DEP_2) | instskip(SKIP_1) | instid1(VALU_DEP_3)
	v_lshlrev_b32_e32 v2, 20, v14
	v_lshl_add_u32 v0, v0, 23, 0x3c000000
	v_and_b32_e32 v1, 0x80000000, v1
	s_delay_alu instid0(VALU_DEP_1)
	v_or3_b32 v1, v2, v1, v0
	v_mov_b32_e32 v0, v15
	scratch_store_b64 off, v[0:1], s32 offset:900 ; 8-byte Folded Spill
.LBB270_561:                            ;   in Loop: Header=BB270_16 Depth=1
	s_or_b32 exec_lo, exec_lo, s2
.LBB270_562:                            ;   in Loop: Header=BB270_16 Depth=1
	s_delay_alu instid0(SALU_CYCLE_1)
	s_or_b32 exec_lo, exec_lo, s24
.LBB270_563:                            ;   in Loop: Header=BB270_16 Depth=1
	s_delay_alu instid0(SALU_CYCLE_1)
	s_or_b32 exec_lo, exec_lo, s23
	flat_load_b32 v0, v[52:53] offset:2052
	v_mov_b32_e32 v2, 0
	v_mov_b32_e32 v3, 0
	s_mov_b32 s2, exec_lo
	s_clause 0x1
	scratch_store_b64 off, v[2:3], s32 offset:916
	scratch_store_b64 off, v[2:3], s32 offset:924
	s_waitcnt vmcnt(0) lgkmcnt(0)
	v_and_b32_e32 v1, 0xff, v0
	s_delay_alu instid0(VALU_DEP_1)
	v_cmpx_ne_u16_e32 0, v1
	s_cbranch_execz .LBB270_571
; %bb.564:                              ;   in Loop: Header=BB270_16 Depth=1
	v_cmp_ne_u16_e64 s1, 0x80, v1
	v_bfrev_b32_e32 v1, 1
	v_mov_b32_e32 v2, 0
	scratch_store_b64 off, v[1:2], s32 offset:924 ; 8-byte Folded Spill
	s_and_saveexec_b32 s23, s1
	s_cbranch_execz .LBB270_570
; %bb.565:                              ;   in Loop: Header=BB270_16 Depth=1
	v_mov_b32_e32 v3, 0x7f800001
	v_and_b32_e32 v2, 0x7f, v0
	v_mov_b32_e32 v4, 0
	s_mov_b32 s24, exec_lo
	scratch_store_b64 off, v[3:4], s32 offset:924 ; 8-byte Folded Spill
	v_cmpx_ne_u32_e32 0x7f, v2
	s_cbranch_execz .LBB270_569
; %bb.566:                              ;   in Loop: Header=BB270_16 Depth=1
	v_and_b32_e32 v14, 7, v0
	v_lshrrev_b32_e32 v1, 3, v2
	s_mov_b32 s25, exec_lo
	v_cmpx_gt_u32_e32 8, v2
; %bb.567:                              ;   in Loop: Header=BB270_16 Depth=1
	s_delay_alu instid0(VALU_DEP_3) | instskip(NEXT) | instid1(VALU_DEP_1)
	v_clz_i32_u32_e32 v1, v14
	v_min_u32_e32 v1, 32, v1
	s_delay_alu instid0(VALU_DEP_1) | instskip(SKIP_1) | instid1(VALU_DEP_2)
	v_subrev_nc_u32_e32 v2, 28, v1
	v_sub_nc_u32_e32 v1, 29, v1
	v_lshlrev_b64 v[2:3], v2, v[14:15]
	s_delay_alu instid0(VALU_DEP_1)
	v_and_b32_e32 v14, 7, v2
; %bb.568:                              ;   in Loop: Header=BB270_16 Depth=1
	s_or_b32 exec_lo, exec_lo, s25
	v_lshlrev_b32_e32 v2, 24, v0
	s_delay_alu instid0(VALU_DEP_2) | instskip(SKIP_1) | instid1(VALU_DEP_3)
	v_lshlrev_b32_e32 v3, 20, v14
	v_lshl_add_u32 v1, v1, 23, 0x3c000000
	v_and_b32_e32 v2, 0x80000000, v2
	s_delay_alu instid0(VALU_DEP_1)
	v_or3_b32 v14, v3, v2, v1
	scratch_store_b64 off, v[14:15], s32 offset:924 ; 8-byte Folded Spill
.LBB270_569:                            ;   in Loop: Header=BB270_16 Depth=1
	s_or_b32 exec_lo, exec_lo, s24
.LBB270_570:                            ;   in Loop: Header=BB270_16 Depth=1
	s_delay_alu instid0(SALU_CYCLE_1)
	s_or_b32 exec_lo, exec_lo, s23
.LBB270_571:                            ;   in Loop: Header=BB270_16 Depth=1
	s_delay_alu instid0(SALU_CYCLE_1) | instskip(SKIP_2) | instid1(VALU_DEP_1)
	s_or_b32 exec_lo, exec_lo, s2
	v_lshrrev_b16 v1, 8, v0
	s_mov_b32 s23, exec_lo
	v_cmpx_ne_u16_e32 0, v1
	s_cbranch_execz .LBB270_579
; %bb.572:                              ;   in Loop: Header=BB270_16 Depth=1
	v_dual_mov_b32 v2, s8 :: v_dual_mov_b32 v3, s9
	s_mov_b32 s24, exec_lo
	scratch_store_b64 off, v[2:3], s32 offset:916 ; 8-byte Folded Spill
	v_cmpx_ne_u16_e32 0x80, v1
	s_cbranch_execz .LBB270_578
; %bb.573:                              ;   in Loop: Header=BB270_16 Depth=1
	s_mov_b32 s2, s8
	v_dual_mov_b32 v4, s3 :: v_dual_and_b32 v1, 0xffff, v1
	v_mov_b32_e32 v3, s2
	s_mov_b32 s2, exec_lo
	s_delay_alu instid0(VALU_DEP_2)
	v_and_b32_e32 v2, 0x7f, v1
	scratch_store_b64 off, v[3:4], s32 offset:916 ; 8-byte Folded Spill
	v_cmpx_ne_u32_e32 0x7f, v2
	s_cbranch_execz .LBB270_577
; %bb.574:                              ;   in Loop: Header=BB270_16 Depth=1
	v_and_b32_e32 v14, 7, v1
	v_lshrrev_b32_e32 v1, 3, v2
	s_mov_b32 s25, exec_lo
	v_cmpx_gt_u32_e32 8, v2
; %bb.575:                              ;   in Loop: Header=BB270_16 Depth=1
	s_delay_alu instid0(VALU_DEP_3) | instskip(NEXT) | instid1(VALU_DEP_1)
	v_clz_i32_u32_e32 v1, v14
	v_min_u32_e32 v1, 32, v1
	s_delay_alu instid0(VALU_DEP_1) | instskip(SKIP_1) | instid1(VALU_DEP_2)
	v_subrev_nc_u32_e32 v2, 28, v1
	v_sub_nc_u32_e32 v1, 29, v1
	v_lshlrev_b64 v[2:3], v2, v[14:15]
	s_delay_alu instid0(VALU_DEP_1)
	v_and_b32_e32 v14, 7, v2
; %bb.576:                              ;   in Loop: Header=BB270_16 Depth=1
	s_or_b32 exec_lo, exec_lo, s25
	v_lshlrev_b32_e32 v2, 16, v0
	s_delay_alu instid0(VALU_DEP_2) | instskip(SKIP_1) | instid1(VALU_DEP_3)
	v_lshlrev_b32_e32 v3, 20, v14
	v_lshl_add_u32 v1, v1, 23, 0x3c000000
	v_and_b32_e32 v2, 0x80000000, v2
	s_delay_alu instid0(VALU_DEP_1)
	v_or3_b32 v2, v3, v2, v1
	v_mov_b32_e32 v1, v15
	scratch_store_b64 off, v[1:2], s32 offset:916 ; 8-byte Folded Spill
.LBB270_577:                            ;   in Loop: Header=BB270_16 Depth=1
	s_or_b32 exec_lo, exec_lo, s2
.LBB270_578:                            ;   in Loop: Header=BB270_16 Depth=1
	s_delay_alu instid0(SALU_CYCLE_1)
	s_or_b32 exec_lo, exec_lo, s24
.LBB270_579:                            ;   in Loop: Header=BB270_16 Depth=1
	s_delay_alu instid0(SALU_CYCLE_1)
	s_or_b32 exec_lo, exec_lo, s23
	v_lshrrev_b32_e32 v1, 16, v0
	v_mov_b32_e32 v3, 0
	v_mov_b32_e32 v4, 0
	s_mov_b32 s2, exec_lo
	s_clause 0x1
	scratch_store_b64 off, v[3:4], s32 offset:932
	scratch_store_b64 off, v[3:4], s32 offset:940
	v_and_b32_e32 v2, 0xff, v1
	s_delay_alu instid0(VALU_DEP_1)
	v_cmpx_ne_u16_e32 0, v2
	s_cbranch_execz .LBB270_587
; %bb.580:                              ;   in Loop: Header=BB270_16 Depth=1
	v_cmp_ne_u16_e64 s1, 0x80, v2
	v_bfrev_b32_e32 v2, 1
	v_mov_b32_e32 v3, 0
	scratch_store_b64 off, v[2:3], s32 offset:940 ; 8-byte Folded Spill
	s_and_saveexec_b32 s23, s1
	s_cbranch_execz .LBB270_586
; %bb.581:                              ;   in Loop: Header=BB270_16 Depth=1
	v_mov_b32_e32 v4, 0x7f800001
	v_bfe_u32 v3, v0, 16, 7
	v_mov_b32_e32 v5, 0
	s_mov_b32 s24, exec_lo
	scratch_store_b64 off, v[4:5], s32 offset:940 ; 8-byte Folded Spill
	v_cmpx_ne_u32_e32 0x7f, v3
	s_cbranch_execz .LBB270_585
; %bb.582:                              ;   in Loop: Header=BB270_16 Depth=1
	v_and_b32_e32 v14, 7, v1
	v_lshrrev_b32_e32 v2, 3, v3
	s_mov_b32 s25, exec_lo
	v_cmpx_gt_u32_e32 8, v3
; %bb.583:                              ;   in Loop: Header=BB270_16 Depth=1
	s_delay_alu instid0(VALU_DEP_3) | instskip(NEXT) | instid1(VALU_DEP_1)
	v_clz_i32_u32_e32 v2, v14
	v_min_u32_e32 v2, 32, v2
	s_delay_alu instid0(VALU_DEP_1) | instskip(SKIP_1) | instid1(VALU_DEP_2)
	v_subrev_nc_u32_e32 v3, 28, v2
	v_sub_nc_u32_e32 v2, 29, v2
	v_lshlrev_b64 v[3:4], v3, v[14:15]
	s_delay_alu instid0(VALU_DEP_1)
	v_and_b32_e32 v14, 7, v3
; %bb.584:                              ;   in Loop: Header=BB270_16 Depth=1
	s_or_b32 exec_lo, exec_lo, s25
	v_lshlrev_b32_e32 v1, 24, v1
	s_delay_alu instid0(VALU_DEP_2) | instskip(SKIP_1) | instid1(VALU_DEP_3)
	v_lshlrev_b32_e32 v3, 20, v14
	v_lshl_add_u32 v2, v2, 23, 0x3c000000
	v_and_b32_e32 v1, 0x80000000, v1
	s_delay_alu instid0(VALU_DEP_1)
	v_or3_b32 v14, v3, v1, v2
	scratch_store_b64 off, v[14:15], s32 offset:940 ; 8-byte Folded Spill
.LBB270_585:                            ;   in Loop: Header=BB270_16 Depth=1
	s_or_b32 exec_lo, exec_lo, s24
.LBB270_586:                            ;   in Loop: Header=BB270_16 Depth=1
	s_delay_alu instid0(SALU_CYCLE_1)
	s_or_b32 exec_lo, exec_lo, s23
.LBB270_587:                            ;   in Loop: Header=BB270_16 Depth=1
	s_delay_alu instid0(SALU_CYCLE_1) | instskip(NEXT) | instid1(SALU_CYCLE_1)
	s_or_b32 exec_lo, exec_lo, s2
	s_mov_b32 s23, exec_lo
	v_cmpx_lt_u32_e32 0xffffff, v0
	s_cbranch_execz .LBB270_595
; %bb.588:                              ;   in Loop: Header=BB270_16 Depth=1
	v_lshrrev_b32_e32 v1, 24, v0
	v_dual_mov_b32 v2, s8 :: v_dual_mov_b32 v3, s9
	s_mov_b32 s24, exec_lo
	scratch_store_b64 off, v[2:3], s32 offset:932 ; 8-byte Folded Spill
	v_cmpx_ne_u32_e32 0x80, v1
	s_cbranch_execz .LBB270_594
; %bb.589:                              ;   in Loop: Header=BB270_16 Depth=1
	s_mov_b32 s2, s8
	v_bfe_u32 v2, v0, 24, 7
	v_dual_mov_b32 v4, s3 :: v_dual_mov_b32 v3, s2
	s_mov_b32 s2, exec_lo
	scratch_store_b64 off, v[3:4], s32 offset:932 ; 8-byte Folded Spill
	v_cmpx_ne_u32_e32 0x7f, v2
	s_cbranch_execz .LBB270_593
; %bb.590:                              ;   in Loop: Header=BB270_16 Depth=1
	v_and_b32_e32 v14, 7, v1
	v_lshrrev_b32_e32 v0, 3, v2
	s_mov_b32 s25, exec_lo
	v_cmpx_gt_u32_e32 8, v2
; %bb.591:                              ;   in Loop: Header=BB270_16 Depth=1
	s_delay_alu instid0(VALU_DEP_3) | instskip(NEXT) | instid1(VALU_DEP_1)
	v_clz_i32_u32_e32 v0, v14
	v_min_u32_e32 v0, 32, v0
	s_delay_alu instid0(VALU_DEP_1) | instskip(SKIP_1) | instid1(VALU_DEP_2)
	v_subrev_nc_u32_e32 v2, 28, v0
	v_sub_nc_u32_e32 v0, 29, v0
	v_lshlrev_b64 v[2:3], v2, v[14:15]
	s_delay_alu instid0(VALU_DEP_1)
	v_and_b32_e32 v14, 7, v2
; %bb.592:                              ;   in Loop: Header=BB270_16 Depth=1
	s_or_b32 exec_lo, exec_lo, s25
	v_lshlrev_b32_e32 v1, 24, v1
	s_delay_alu instid0(VALU_DEP_2) | instskip(SKIP_1) | instid1(VALU_DEP_3)
	v_lshlrev_b32_e32 v2, 20, v14
	v_lshl_add_u32 v0, v0, 23, 0x3c000000
	v_and_b32_e32 v1, 0x80000000, v1
	s_delay_alu instid0(VALU_DEP_1)
	v_or3_b32 v1, v2, v1, v0
	v_mov_b32_e32 v0, v15
	scratch_store_b64 off, v[0:1], s32 offset:932 ; 8-byte Folded Spill
.LBB270_593:                            ;   in Loop: Header=BB270_16 Depth=1
	s_or_b32 exec_lo, exec_lo, s2
.LBB270_594:                            ;   in Loop: Header=BB270_16 Depth=1
	s_delay_alu instid0(SALU_CYCLE_1)
	s_or_b32 exec_lo, exec_lo, s24
.LBB270_595:                            ;   in Loop: Header=BB270_16 Depth=1
	s_delay_alu instid0(SALU_CYCLE_1)
	s_or_b32 exec_lo, exec_lo, s23
	flat_load_b32 v0, v[52:53] offset:2056
	v_mov_b32_e32 v2, 0
	v_mov_b32_e32 v3, 0
	s_mov_b32 s2, exec_lo
	s_clause 0x1
	scratch_store_b64 off, v[2:3], s32 offset:948
	scratch_store_b64 off, v[2:3], s32 offset:956
	s_waitcnt vmcnt(0) lgkmcnt(0)
	v_and_b32_e32 v1, 0xff, v0
	s_delay_alu instid0(VALU_DEP_1)
	v_cmpx_ne_u16_e32 0, v1
	s_cbranch_execz .LBB270_603
; %bb.596:                              ;   in Loop: Header=BB270_16 Depth=1
	v_cmp_ne_u16_e64 s1, 0x80, v1
	v_bfrev_b32_e32 v1, 1
	v_mov_b32_e32 v2, 0
	scratch_store_b64 off, v[1:2], s32 offset:956 ; 8-byte Folded Spill
	s_and_saveexec_b32 s23, s1
	s_cbranch_execz .LBB270_602
; %bb.597:                              ;   in Loop: Header=BB270_16 Depth=1
	v_mov_b32_e32 v3, 0x7f800001
	v_and_b32_e32 v2, 0x7f, v0
	v_mov_b32_e32 v4, 0
	s_mov_b32 s24, exec_lo
	scratch_store_b64 off, v[3:4], s32 offset:956 ; 8-byte Folded Spill
	v_cmpx_ne_u32_e32 0x7f, v2
	s_cbranch_execz .LBB270_601
; %bb.598:                              ;   in Loop: Header=BB270_16 Depth=1
	v_and_b32_e32 v14, 7, v0
	v_lshrrev_b32_e32 v1, 3, v2
	s_mov_b32 s25, exec_lo
	v_cmpx_gt_u32_e32 8, v2
; %bb.599:                              ;   in Loop: Header=BB270_16 Depth=1
	s_delay_alu instid0(VALU_DEP_3) | instskip(NEXT) | instid1(VALU_DEP_1)
	v_clz_i32_u32_e32 v1, v14
	v_min_u32_e32 v1, 32, v1
	s_delay_alu instid0(VALU_DEP_1) | instskip(SKIP_1) | instid1(VALU_DEP_2)
	v_subrev_nc_u32_e32 v2, 28, v1
	v_sub_nc_u32_e32 v1, 29, v1
	v_lshlrev_b64 v[2:3], v2, v[14:15]
	s_delay_alu instid0(VALU_DEP_1)
	v_and_b32_e32 v14, 7, v2
; %bb.600:                              ;   in Loop: Header=BB270_16 Depth=1
	s_or_b32 exec_lo, exec_lo, s25
	v_lshlrev_b32_e32 v2, 24, v0
	s_delay_alu instid0(VALU_DEP_2) | instskip(SKIP_1) | instid1(VALU_DEP_3)
	v_lshlrev_b32_e32 v3, 20, v14
	v_lshl_add_u32 v1, v1, 23, 0x3c000000
	v_and_b32_e32 v2, 0x80000000, v2
	s_delay_alu instid0(VALU_DEP_1)
	v_or3_b32 v14, v3, v2, v1
	scratch_store_b64 off, v[14:15], s32 offset:956 ; 8-byte Folded Spill
.LBB270_601:                            ;   in Loop: Header=BB270_16 Depth=1
	s_or_b32 exec_lo, exec_lo, s24
.LBB270_602:                            ;   in Loop: Header=BB270_16 Depth=1
	s_delay_alu instid0(SALU_CYCLE_1)
	s_or_b32 exec_lo, exec_lo, s23
.LBB270_603:                            ;   in Loop: Header=BB270_16 Depth=1
	s_delay_alu instid0(SALU_CYCLE_1) | instskip(SKIP_2) | instid1(VALU_DEP_1)
	s_or_b32 exec_lo, exec_lo, s2
	v_lshrrev_b16 v1, 8, v0
	s_mov_b32 s23, exec_lo
	v_cmpx_ne_u16_e32 0, v1
	s_cbranch_execz .LBB270_611
; %bb.604:                              ;   in Loop: Header=BB270_16 Depth=1
	v_dual_mov_b32 v2, s8 :: v_dual_mov_b32 v3, s9
	s_mov_b32 s24, exec_lo
	scratch_store_b64 off, v[2:3], s32 offset:948 ; 8-byte Folded Spill
	v_cmpx_ne_u16_e32 0x80, v1
	s_cbranch_execz .LBB270_610
; %bb.605:                              ;   in Loop: Header=BB270_16 Depth=1
	s_mov_b32 s2, s8
	v_dual_mov_b32 v4, s3 :: v_dual_and_b32 v1, 0xffff, v1
	v_mov_b32_e32 v3, s2
	s_mov_b32 s2, exec_lo
	s_delay_alu instid0(VALU_DEP_2)
	v_and_b32_e32 v2, 0x7f, v1
	scratch_store_b64 off, v[3:4], s32 offset:948 ; 8-byte Folded Spill
	v_cmpx_ne_u32_e32 0x7f, v2
	s_cbranch_execz .LBB270_609
; %bb.606:                              ;   in Loop: Header=BB270_16 Depth=1
	v_and_b32_e32 v14, 7, v1
	v_lshrrev_b32_e32 v1, 3, v2
	s_mov_b32 s25, exec_lo
	v_cmpx_gt_u32_e32 8, v2
; %bb.607:                              ;   in Loop: Header=BB270_16 Depth=1
	s_delay_alu instid0(VALU_DEP_3) | instskip(NEXT) | instid1(VALU_DEP_1)
	v_clz_i32_u32_e32 v1, v14
	v_min_u32_e32 v1, 32, v1
	s_delay_alu instid0(VALU_DEP_1) | instskip(SKIP_1) | instid1(VALU_DEP_2)
	v_subrev_nc_u32_e32 v2, 28, v1
	v_sub_nc_u32_e32 v1, 29, v1
	v_lshlrev_b64 v[2:3], v2, v[14:15]
	s_delay_alu instid0(VALU_DEP_1)
	v_and_b32_e32 v14, 7, v2
; %bb.608:                              ;   in Loop: Header=BB270_16 Depth=1
	s_or_b32 exec_lo, exec_lo, s25
	v_lshlrev_b32_e32 v2, 16, v0
	s_delay_alu instid0(VALU_DEP_2) | instskip(SKIP_1) | instid1(VALU_DEP_3)
	v_lshlrev_b32_e32 v3, 20, v14
	v_lshl_add_u32 v1, v1, 23, 0x3c000000
	v_and_b32_e32 v2, 0x80000000, v2
	s_delay_alu instid0(VALU_DEP_1)
	v_or3_b32 v2, v3, v2, v1
	v_mov_b32_e32 v1, v15
	scratch_store_b64 off, v[1:2], s32 offset:948 ; 8-byte Folded Spill
.LBB270_609:                            ;   in Loop: Header=BB270_16 Depth=1
	s_or_b32 exec_lo, exec_lo, s2
.LBB270_610:                            ;   in Loop: Header=BB270_16 Depth=1
	s_delay_alu instid0(SALU_CYCLE_1)
	s_or_b32 exec_lo, exec_lo, s24
.LBB270_611:                            ;   in Loop: Header=BB270_16 Depth=1
	s_delay_alu instid0(SALU_CYCLE_1)
	s_or_b32 exec_lo, exec_lo, s23
	v_lshrrev_b32_e32 v1, 16, v0
	v_mov_b32_e32 v3, 0
	v_mov_b32_e32 v4, 0
	s_mov_b32 s2, exec_lo
	s_clause 0x1
	scratch_store_b64 off, v[3:4], s32 offset:964
	scratch_store_b64 off, v[3:4], s32 offset:972
	v_and_b32_e32 v2, 0xff, v1
	s_delay_alu instid0(VALU_DEP_1)
	v_cmpx_ne_u16_e32 0, v2
	s_cbranch_execz .LBB270_619
; %bb.612:                              ;   in Loop: Header=BB270_16 Depth=1
	v_cmp_ne_u16_e64 s1, 0x80, v2
	v_bfrev_b32_e32 v2, 1
	v_mov_b32_e32 v3, 0
	scratch_store_b64 off, v[2:3], s32 offset:972 ; 8-byte Folded Spill
	s_and_saveexec_b32 s23, s1
	s_cbranch_execz .LBB270_618
; %bb.613:                              ;   in Loop: Header=BB270_16 Depth=1
	v_mov_b32_e32 v4, 0x7f800001
	v_bfe_u32 v3, v0, 16, 7
	v_mov_b32_e32 v5, 0
	s_mov_b32 s24, exec_lo
	scratch_store_b64 off, v[4:5], s32 offset:972 ; 8-byte Folded Spill
	v_cmpx_ne_u32_e32 0x7f, v3
	s_cbranch_execz .LBB270_617
; %bb.614:                              ;   in Loop: Header=BB270_16 Depth=1
	v_and_b32_e32 v14, 7, v1
	v_lshrrev_b32_e32 v2, 3, v3
	s_mov_b32 s25, exec_lo
	v_cmpx_gt_u32_e32 8, v3
; %bb.615:                              ;   in Loop: Header=BB270_16 Depth=1
	s_delay_alu instid0(VALU_DEP_3) | instskip(NEXT) | instid1(VALU_DEP_1)
	v_clz_i32_u32_e32 v2, v14
	v_min_u32_e32 v2, 32, v2
	s_delay_alu instid0(VALU_DEP_1) | instskip(SKIP_1) | instid1(VALU_DEP_2)
	v_subrev_nc_u32_e32 v3, 28, v2
	v_sub_nc_u32_e32 v2, 29, v2
	v_lshlrev_b64 v[3:4], v3, v[14:15]
	s_delay_alu instid0(VALU_DEP_1)
	v_and_b32_e32 v14, 7, v3
; %bb.616:                              ;   in Loop: Header=BB270_16 Depth=1
	s_or_b32 exec_lo, exec_lo, s25
	v_lshlrev_b32_e32 v1, 24, v1
	s_delay_alu instid0(VALU_DEP_2) | instskip(SKIP_1) | instid1(VALU_DEP_3)
	v_lshlrev_b32_e32 v3, 20, v14
	v_lshl_add_u32 v2, v2, 23, 0x3c000000
	v_and_b32_e32 v1, 0x80000000, v1
	s_delay_alu instid0(VALU_DEP_1)
	v_or3_b32 v14, v3, v1, v2
	scratch_store_b64 off, v[14:15], s32 offset:972 ; 8-byte Folded Spill
.LBB270_617:                            ;   in Loop: Header=BB270_16 Depth=1
	s_or_b32 exec_lo, exec_lo, s24
.LBB270_618:                            ;   in Loop: Header=BB270_16 Depth=1
	s_delay_alu instid0(SALU_CYCLE_1)
	s_or_b32 exec_lo, exec_lo, s23
.LBB270_619:                            ;   in Loop: Header=BB270_16 Depth=1
	s_delay_alu instid0(SALU_CYCLE_1) | instskip(NEXT) | instid1(SALU_CYCLE_1)
	s_or_b32 exec_lo, exec_lo, s2
	s_mov_b32 s23, exec_lo
	v_cmpx_lt_u32_e32 0xffffff, v0
	s_cbranch_execz .LBB270_627
; %bb.620:                              ;   in Loop: Header=BB270_16 Depth=1
	v_lshrrev_b32_e32 v1, 24, v0
	v_dual_mov_b32 v2, s8 :: v_dual_mov_b32 v3, s9
	s_mov_b32 s24, exec_lo
	scratch_store_b64 off, v[2:3], s32 offset:964 ; 8-byte Folded Spill
	v_cmpx_ne_u32_e32 0x80, v1
	s_cbranch_execz .LBB270_626
; %bb.621:                              ;   in Loop: Header=BB270_16 Depth=1
	s_mov_b32 s2, s8
	v_bfe_u32 v2, v0, 24, 7
	v_dual_mov_b32 v4, s3 :: v_dual_mov_b32 v3, s2
	s_mov_b32 s2, exec_lo
	scratch_store_b64 off, v[3:4], s32 offset:964 ; 8-byte Folded Spill
	v_cmpx_ne_u32_e32 0x7f, v2
	s_cbranch_execz .LBB270_625
; %bb.622:                              ;   in Loop: Header=BB270_16 Depth=1
	v_and_b32_e32 v14, 7, v1
	v_lshrrev_b32_e32 v0, 3, v2
	s_mov_b32 s25, exec_lo
	v_cmpx_gt_u32_e32 8, v2
; %bb.623:                              ;   in Loop: Header=BB270_16 Depth=1
	s_delay_alu instid0(VALU_DEP_3) | instskip(NEXT) | instid1(VALU_DEP_1)
	v_clz_i32_u32_e32 v0, v14
	v_min_u32_e32 v0, 32, v0
	s_delay_alu instid0(VALU_DEP_1) | instskip(SKIP_1) | instid1(VALU_DEP_2)
	v_subrev_nc_u32_e32 v2, 28, v0
	v_sub_nc_u32_e32 v0, 29, v0
	v_lshlrev_b64 v[2:3], v2, v[14:15]
	s_delay_alu instid0(VALU_DEP_1)
	v_and_b32_e32 v14, 7, v2
; %bb.624:                              ;   in Loop: Header=BB270_16 Depth=1
	s_or_b32 exec_lo, exec_lo, s25
	v_lshlrev_b32_e32 v1, 24, v1
	s_delay_alu instid0(VALU_DEP_2) | instskip(SKIP_1) | instid1(VALU_DEP_3)
	v_lshlrev_b32_e32 v2, 20, v14
	v_lshl_add_u32 v0, v0, 23, 0x3c000000
	v_and_b32_e32 v1, 0x80000000, v1
	s_delay_alu instid0(VALU_DEP_1)
	v_or3_b32 v1, v2, v1, v0
	v_mov_b32_e32 v0, v15
	scratch_store_b64 off, v[0:1], s32 offset:964 ; 8-byte Folded Spill
.LBB270_625:                            ;   in Loop: Header=BB270_16 Depth=1
	s_or_b32 exec_lo, exec_lo, s2
.LBB270_626:                            ;   in Loop: Header=BB270_16 Depth=1
	s_delay_alu instid0(SALU_CYCLE_1)
	s_or_b32 exec_lo, exec_lo, s24
.LBB270_627:                            ;   in Loop: Header=BB270_16 Depth=1
	s_delay_alu instid0(SALU_CYCLE_1)
	s_or_b32 exec_lo, exec_lo, s23
	flat_load_b32 v0, v[52:53] offset:2060
	v_mov_b32_e32 v2, 0
	v_mov_b32_e32 v3, 0
	s_mov_b32 s2, exec_lo
	s_clause 0x1
	scratch_store_b64 off, v[2:3], s32 offset:980
	scratch_store_b64 off, v[2:3], s32 offset:988
	s_waitcnt vmcnt(0) lgkmcnt(0)
	v_and_b32_e32 v1, 0xff, v0
	s_delay_alu instid0(VALU_DEP_1)
	v_cmpx_ne_u16_e32 0, v1
	s_cbranch_execz .LBB270_635
; %bb.628:                              ;   in Loop: Header=BB270_16 Depth=1
	v_cmp_ne_u16_e64 s1, 0x80, v1
	v_bfrev_b32_e32 v1, 1
	v_mov_b32_e32 v2, 0
	scratch_store_b64 off, v[1:2], s32 offset:988 ; 8-byte Folded Spill
	s_and_saveexec_b32 s23, s1
	s_cbranch_execz .LBB270_634
; %bb.629:                              ;   in Loop: Header=BB270_16 Depth=1
	v_mov_b32_e32 v3, 0x7f800001
	v_and_b32_e32 v2, 0x7f, v0
	v_mov_b32_e32 v4, 0
	s_mov_b32 s24, exec_lo
	scratch_store_b64 off, v[3:4], s32 offset:988 ; 8-byte Folded Spill
	v_cmpx_ne_u32_e32 0x7f, v2
	s_cbranch_execz .LBB270_633
; %bb.630:                              ;   in Loop: Header=BB270_16 Depth=1
	v_and_b32_e32 v14, 7, v0
	v_lshrrev_b32_e32 v1, 3, v2
	s_mov_b32 s25, exec_lo
	v_cmpx_gt_u32_e32 8, v2
; %bb.631:                              ;   in Loop: Header=BB270_16 Depth=1
	s_delay_alu instid0(VALU_DEP_3) | instskip(NEXT) | instid1(VALU_DEP_1)
	v_clz_i32_u32_e32 v1, v14
	v_min_u32_e32 v1, 32, v1
	s_delay_alu instid0(VALU_DEP_1) | instskip(SKIP_1) | instid1(VALU_DEP_2)
	v_subrev_nc_u32_e32 v2, 28, v1
	v_sub_nc_u32_e32 v1, 29, v1
	v_lshlrev_b64 v[2:3], v2, v[14:15]
	s_delay_alu instid0(VALU_DEP_1)
	v_and_b32_e32 v14, 7, v2
; %bb.632:                              ;   in Loop: Header=BB270_16 Depth=1
	s_or_b32 exec_lo, exec_lo, s25
	v_lshlrev_b32_e32 v2, 24, v0
	s_delay_alu instid0(VALU_DEP_2) | instskip(SKIP_1) | instid1(VALU_DEP_3)
	v_lshlrev_b32_e32 v3, 20, v14
	v_lshl_add_u32 v1, v1, 23, 0x3c000000
	v_and_b32_e32 v2, 0x80000000, v2
	s_delay_alu instid0(VALU_DEP_1)
	v_or3_b32 v14, v3, v2, v1
	scratch_store_b64 off, v[14:15], s32 offset:988 ; 8-byte Folded Spill
.LBB270_633:                            ;   in Loop: Header=BB270_16 Depth=1
	s_or_b32 exec_lo, exec_lo, s24
.LBB270_634:                            ;   in Loop: Header=BB270_16 Depth=1
	s_delay_alu instid0(SALU_CYCLE_1)
	s_or_b32 exec_lo, exec_lo, s23
.LBB270_635:                            ;   in Loop: Header=BB270_16 Depth=1
	s_delay_alu instid0(SALU_CYCLE_1) | instskip(SKIP_2) | instid1(VALU_DEP_1)
	s_or_b32 exec_lo, exec_lo, s2
	v_lshrrev_b16 v1, 8, v0
	s_mov_b32 s23, exec_lo
	v_cmpx_ne_u16_e32 0, v1
	s_cbranch_execz .LBB270_643
; %bb.636:                              ;   in Loop: Header=BB270_16 Depth=1
	v_dual_mov_b32 v2, s8 :: v_dual_mov_b32 v3, s9
	s_mov_b32 s24, exec_lo
	scratch_store_b64 off, v[2:3], s32 offset:980 ; 8-byte Folded Spill
	v_cmpx_ne_u16_e32 0x80, v1
	s_cbranch_execz .LBB270_642
; %bb.637:                              ;   in Loop: Header=BB270_16 Depth=1
	s_mov_b32 s2, s8
	v_dual_mov_b32 v4, s3 :: v_dual_and_b32 v1, 0xffff, v1
	v_mov_b32_e32 v3, s2
	s_mov_b32 s2, exec_lo
	s_delay_alu instid0(VALU_DEP_2)
	v_and_b32_e32 v2, 0x7f, v1
	scratch_store_b64 off, v[3:4], s32 offset:980 ; 8-byte Folded Spill
	v_cmpx_ne_u32_e32 0x7f, v2
	s_cbranch_execz .LBB270_641
; %bb.638:                              ;   in Loop: Header=BB270_16 Depth=1
	v_and_b32_e32 v14, 7, v1
	v_lshrrev_b32_e32 v1, 3, v2
	s_mov_b32 s25, exec_lo
	v_cmpx_gt_u32_e32 8, v2
; %bb.639:                              ;   in Loop: Header=BB270_16 Depth=1
	s_delay_alu instid0(VALU_DEP_3) | instskip(NEXT) | instid1(VALU_DEP_1)
	v_clz_i32_u32_e32 v1, v14
	v_min_u32_e32 v1, 32, v1
	s_delay_alu instid0(VALU_DEP_1) | instskip(SKIP_1) | instid1(VALU_DEP_2)
	v_subrev_nc_u32_e32 v2, 28, v1
	v_sub_nc_u32_e32 v1, 29, v1
	v_lshlrev_b64 v[2:3], v2, v[14:15]
	s_delay_alu instid0(VALU_DEP_1)
	v_and_b32_e32 v14, 7, v2
; %bb.640:                              ;   in Loop: Header=BB270_16 Depth=1
	s_or_b32 exec_lo, exec_lo, s25
	v_lshlrev_b32_e32 v2, 16, v0
	s_delay_alu instid0(VALU_DEP_2) | instskip(SKIP_1) | instid1(VALU_DEP_3)
	v_lshlrev_b32_e32 v3, 20, v14
	v_lshl_add_u32 v1, v1, 23, 0x3c000000
	v_and_b32_e32 v2, 0x80000000, v2
	s_delay_alu instid0(VALU_DEP_1)
	v_or3_b32 v2, v3, v2, v1
	v_mov_b32_e32 v1, v15
	scratch_store_b64 off, v[1:2], s32 offset:980 ; 8-byte Folded Spill
.LBB270_641:                            ;   in Loop: Header=BB270_16 Depth=1
	s_or_b32 exec_lo, exec_lo, s2
.LBB270_642:                            ;   in Loop: Header=BB270_16 Depth=1
	s_delay_alu instid0(SALU_CYCLE_1)
	s_or_b32 exec_lo, exec_lo, s24
.LBB270_643:                            ;   in Loop: Header=BB270_16 Depth=1
	s_delay_alu instid0(SALU_CYCLE_1)
	s_or_b32 exec_lo, exec_lo, s23
	v_lshrrev_b32_e32 v1, 16, v0
	v_mov_b32_e32 v3, 0
	v_mov_b32_e32 v4, 0
	s_mov_b32 s2, exec_lo
	s_clause 0x1
	scratch_store_b64 off, v[3:4], s32 offset:996
	scratch_store_b64 off, v[3:4], s32 offset:1004
	v_and_b32_e32 v2, 0xff, v1
	s_delay_alu instid0(VALU_DEP_1)
	v_cmpx_ne_u16_e32 0, v2
	s_cbranch_execz .LBB270_651
; %bb.644:                              ;   in Loop: Header=BB270_16 Depth=1
	v_cmp_ne_u16_e64 s1, 0x80, v2
	v_bfrev_b32_e32 v2, 1
	v_mov_b32_e32 v3, 0
	scratch_store_b64 off, v[2:3], s32 offset:1004 ; 8-byte Folded Spill
	s_and_saveexec_b32 s23, s1
	s_cbranch_execz .LBB270_650
; %bb.645:                              ;   in Loop: Header=BB270_16 Depth=1
	v_mov_b32_e32 v4, 0x7f800001
	v_bfe_u32 v3, v0, 16, 7
	v_mov_b32_e32 v5, 0
	s_mov_b32 s24, exec_lo
	scratch_store_b64 off, v[4:5], s32 offset:1004 ; 8-byte Folded Spill
	v_cmpx_ne_u32_e32 0x7f, v3
	s_cbranch_execz .LBB270_649
; %bb.646:                              ;   in Loop: Header=BB270_16 Depth=1
	v_and_b32_e32 v14, 7, v1
	v_lshrrev_b32_e32 v2, 3, v3
	s_mov_b32 s25, exec_lo
	v_cmpx_gt_u32_e32 8, v3
; %bb.647:                              ;   in Loop: Header=BB270_16 Depth=1
	s_delay_alu instid0(VALU_DEP_3) | instskip(NEXT) | instid1(VALU_DEP_1)
	v_clz_i32_u32_e32 v2, v14
	v_min_u32_e32 v2, 32, v2
	s_delay_alu instid0(VALU_DEP_1) | instskip(SKIP_1) | instid1(VALU_DEP_2)
	v_subrev_nc_u32_e32 v3, 28, v2
	v_sub_nc_u32_e32 v2, 29, v2
	v_lshlrev_b64 v[3:4], v3, v[14:15]
	s_delay_alu instid0(VALU_DEP_1)
	v_and_b32_e32 v14, 7, v3
; %bb.648:                              ;   in Loop: Header=BB270_16 Depth=1
	s_or_b32 exec_lo, exec_lo, s25
	v_lshlrev_b32_e32 v1, 24, v1
	s_delay_alu instid0(VALU_DEP_2) | instskip(SKIP_1) | instid1(VALU_DEP_3)
	v_lshlrev_b32_e32 v3, 20, v14
	v_lshl_add_u32 v2, v2, 23, 0x3c000000
	v_and_b32_e32 v1, 0x80000000, v1
	s_delay_alu instid0(VALU_DEP_1)
	v_or3_b32 v14, v3, v1, v2
	scratch_store_b64 off, v[14:15], s32 offset:1004 ; 8-byte Folded Spill
.LBB270_649:                            ;   in Loop: Header=BB270_16 Depth=1
	s_or_b32 exec_lo, exec_lo, s24
.LBB270_650:                            ;   in Loop: Header=BB270_16 Depth=1
	s_delay_alu instid0(SALU_CYCLE_1)
	s_or_b32 exec_lo, exec_lo, s23
.LBB270_651:                            ;   in Loop: Header=BB270_16 Depth=1
	s_delay_alu instid0(SALU_CYCLE_1) | instskip(NEXT) | instid1(SALU_CYCLE_1)
	s_or_b32 exec_lo, exec_lo, s2
	s_mov_b32 s23, exec_lo
	v_cmpx_lt_u32_e32 0xffffff, v0
	s_cbranch_execz .LBB270_659
; %bb.652:                              ;   in Loop: Header=BB270_16 Depth=1
	v_lshrrev_b32_e32 v1, 24, v0
	v_dual_mov_b32 v2, s8 :: v_dual_mov_b32 v3, s9
	s_mov_b32 s24, exec_lo
	scratch_store_b64 off, v[2:3], s32 offset:996 ; 8-byte Folded Spill
	v_cmpx_ne_u32_e32 0x80, v1
	s_cbranch_execz .LBB270_658
; %bb.653:                              ;   in Loop: Header=BB270_16 Depth=1
	s_mov_b32 s2, s8
	v_bfe_u32 v2, v0, 24, 7
	v_dual_mov_b32 v4, s3 :: v_dual_mov_b32 v3, s2
	s_mov_b32 s2, exec_lo
	scratch_store_b64 off, v[3:4], s32 offset:996 ; 8-byte Folded Spill
	v_cmpx_ne_u32_e32 0x7f, v2
	s_cbranch_execz .LBB270_657
; %bb.654:                              ;   in Loop: Header=BB270_16 Depth=1
	v_and_b32_e32 v14, 7, v1
	v_lshrrev_b32_e32 v0, 3, v2
	s_mov_b32 s25, exec_lo
	v_cmpx_gt_u32_e32 8, v2
; %bb.655:                              ;   in Loop: Header=BB270_16 Depth=1
	s_delay_alu instid0(VALU_DEP_3) | instskip(NEXT) | instid1(VALU_DEP_1)
	v_clz_i32_u32_e32 v0, v14
	v_min_u32_e32 v0, 32, v0
	s_delay_alu instid0(VALU_DEP_1) | instskip(SKIP_1) | instid1(VALU_DEP_2)
	v_subrev_nc_u32_e32 v2, 28, v0
	v_sub_nc_u32_e32 v0, 29, v0
	v_lshlrev_b64 v[2:3], v2, v[14:15]
	s_delay_alu instid0(VALU_DEP_1)
	v_and_b32_e32 v14, 7, v2
; %bb.656:                              ;   in Loop: Header=BB270_16 Depth=1
	s_or_b32 exec_lo, exec_lo, s25
	v_lshlrev_b32_e32 v1, 24, v1
	s_delay_alu instid0(VALU_DEP_2) | instskip(SKIP_1) | instid1(VALU_DEP_3)
	v_lshlrev_b32_e32 v2, 20, v14
	v_lshl_add_u32 v0, v0, 23, 0x3c000000
	v_and_b32_e32 v1, 0x80000000, v1
	s_delay_alu instid0(VALU_DEP_1)
	v_or3_b32 v1, v2, v1, v0
	v_mov_b32_e32 v0, v15
	scratch_store_b64 off, v[0:1], s32 offset:996 ; 8-byte Folded Spill
.LBB270_657:                            ;   in Loop: Header=BB270_16 Depth=1
	s_or_b32 exec_lo, exec_lo, s2
.LBB270_658:                            ;   in Loop: Header=BB270_16 Depth=1
	s_delay_alu instid0(SALU_CYCLE_1)
	s_or_b32 exec_lo, exec_lo, s24
.LBB270_659:                            ;   in Loop: Header=BB270_16 Depth=1
	s_delay_alu instid0(SALU_CYCLE_1)
	s_or_b32 exec_lo, exec_lo, s23
	flat_load_b32 v0, v[52:53] offset:2560
	v_mov_b32_e32 v2, 0
	v_mov_b32_e32 v3, 0
	s_mov_b32 s2, exec_lo
	s_clause 0x1
	scratch_store_b64 off, v[2:3], s32 offset:1012
	scratch_store_b64 off, v[2:3], s32 offset:1020
	s_waitcnt vmcnt(0) lgkmcnt(0)
	v_and_b32_e32 v1, 0xff, v0
	s_delay_alu instid0(VALU_DEP_1)
	v_cmpx_ne_u16_e32 0, v1
	s_cbranch_execz .LBB270_667
; %bb.660:                              ;   in Loop: Header=BB270_16 Depth=1
	v_cmp_ne_u16_e64 s1, 0x80, v1
	v_bfrev_b32_e32 v1, 1
	v_mov_b32_e32 v2, 0
	scratch_store_b64 off, v[1:2], s32 offset:1020 ; 8-byte Folded Spill
	s_and_saveexec_b32 s23, s1
	s_cbranch_execz .LBB270_666
; %bb.661:                              ;   in Loop: Header=BB270_16 Depth=1
	v_mov_b32_e32 v3, 0x7f800001
	v_and_b32_e32 v2, 0x7f, v0
	v_mov_b32_e32 v4, 0
	s_mov_b32 s24, exec_lo
	scratch_store_b64 off, v[3:4], s32 offset:1020 ; 8-byte Folded Spill
	v_cmpx_ne_u32_e32 0x7f, v2
	s_cbranch_execz .LBB270_665
; %bb.662:                              ;   in Loop: Header=BB270_16 Depth=1
	v_and_b32_e32 v14, 7, v0
	v_lshrrev_b32_e32 v1, 3, v2
	s_mov_b32 s25, exec_lo
	v_cmpx_gt_u32_e32 8, v2
; %bb.663:                              ;   in Loop: Header=BB270_16 Depth=1
	s_delay_alu instid0(VALU_DEP_3) | instskip(NEXT) | instid1(VALU_DEP_1)
	v_clz_i32_u32_e32 v1, v14
	v_min_u32_e32 v1, 32, v1
	s_delay_alu instid0(VALU_DEP_1) | instskip(SKIP_1) | instid1(VALU_DEP_2)
	v_subrev_nc_u32_e32 v2, 28, v1
	v_sub_nc_u32_e32 v1, 29, v1
	v_lshlrev_b64 v[2:3], v2, v[14:15]
	s_delay_alu instid0(VALU_DEP_1)
	v_and_b32_e32 v14, 7, v2
; %bb.664:                              ;   in Loop: Header=BB270_16 Depth=1
	s_or_b32 exec_lo, exec_lo, s25
	v_lshlrev_b32_e32 v2, 24, v0
	s_delay_alu instid0(VALU_DEP_2) | instskip(SKIP_1) | instid1(VALU_DEP_3)
	v_lshlrev_b32_e32 v3, 20, v14
	v_lshl_add_u32 v1, v1, 23, 0x3c000000
	v_and_b32_e32 v2, 0x80000000, v2
	s_delay_alu instid0(VALU_DEP_1)
	v_or3_b32 v14, v3, v2, v1
	scratch_store_b64 off, v[14:15], s32 offset:1020 ; 8-byte Folded Spill
.LBB270_665:                            ;   in Loop: Header=BB270_16 Depth=1
	s_or_b32 exec_lo, exec_lo, s24
.LBB270_666:                            ;   in Loop: Header=BB270_16 Depth=1
	s_delay_alu instid0(SALU_CYCLE_1)
	s_or_b32 exec_lo, exec_lo, s23
.LBB270_667:                            ;   in Loop: Header=BB270_16 Depth=1
	s_delay_alu instid0(SALU_CYCLE_1) | instskip(SKIP_2) | instid1(VALU_DEP_1)
	s_or_b32 exec_lo, exec_lo, s2
	v_lshrrev_b16 v1, 8, v0
	s_mov_b32 s23, exec_lo
	v_cmpx_ne_u16_e32 0, v1
	s_cbranch_execz .LBB270_675
; %bb.668:                              ;   in Loop: Header=BB270_16 Depth=1
	v_dual_mov_b32 v2, s8 :: v_dual_mov_b32 v3, s9
	s_mov_b32 s24, exec_lo
	scratch_store_b64 off, v[2:3], s32 offset:1012 ; 8-byte Folded Spill
	v_cmpx_ne_u16_e32 0x80, v1
	s_cbranch_execz .LBB270_674
; %bb.669:                              ;   in Loop: Header=BB270_16 Depth=1
	s_mov_b32 s2, s8
	v_dual_mov_b32 v4, s3 :: v_dual_and_b32 v1, 0xffff, v1
	v_mov_b32_e32 v3, s2
	s_mov_b32 s2, exec_lo
	s_delay_alu instid0(VALU_DEP_2)
	v_and_b32_e32 v2, 0x7f, v1
	scratch_store_b64 off, v[3:4], s32 offset:1012 ; 8-byte Folded Spill
	v_cmpx_ne_u32_e32 0x7f, v2
	s_cbranch_execz .LBB270_673
; %bb.670:                              ;   in Loop: Header=BB270_16 Depth=1
	v_and_b32_e32 v14, 7, v1
	v_lshrrev_b32_e32 v1, 3, v2
	s_mov_b32 s25, exec_lo
	v_cmpx_gt_u32_e32 8, v2
; %bb.671:                              ;   in Loop: Header=BB270_16 Depth=1
	s_delay_alu instid0(VALU_DEP_3) | instskip(NEXT) | instid1(VALU_DEP_1)
	v_clz_i32_u32_e32 v1, v14
	v_min_u32_e32 v1, 32, v1
	s_delay_alu instid0(VALU_DEP_1) | instskip(SKIP_1) | instid1(VALU_DEP_2)
	v_subrev_nc_u32_e32 v2, 28, v1
	v_sub_nc_u32_e32 v1, 29, v1
	v_lshlrev_b64 v[2:3], v2, v[14:15]
	s_delay_alu instid0(VALU_DEP_1)
	v_and_b32_e32 v14, 7, v2
; %bb.672:                              ;   in Loop: Header=BB270_16 Depth=1
	s_or_b32 exec_lo, exec_lo, s25
	v_lshlrev_b32_e32 v2, 16, v0
	s_delay_alu instid0(VALU_DEP_2) | instskip(SKIP_1) | instid1(VALU_DEP_3)
	v_lshlrev_b32_e32 v3, 20, v14
	v_lshl_add_u32 v1, v1, 23, 0x3c000000
	v_and_b32_e32 v2, 0x80000000, v2
	s_delay_alu instid0(VALU_DEP_1)
	v_or3_b32 v2, v3, v2, v1
	v_mov_b32_e32 v1, v15
	scratch_store_b64 off, v[1:2], s32 offset:1012 ; 8-byte Folded Spill
.LBB270_673:                            ;   in Loop: Header=BB270_16 Depth=1
	s_or_b32 exec_lo, exec_lo, s2
.LBB270_674:                            ;   in Loop: Header=BB270_16 Depth=1
	s_delay_alu instid0(SALU_CYCLE_1)
	s_or_b32 exec_lo, exec_lo, s24
.LBB270_675:                            ;   in Loop: Header=BB270_16 Depth=1
	s_delay_alu instid0(SALU_CYCLE_1)
	s_or_b32 exec_lo, exec_lo, s23
	v_lshrrev_b32_e32 v1, 16, v0
	v_mov_b32_e32 v3, 0
	v_mov_b32_e32 v4, 0
	s_mov_b32 s2, exec_lo
	s_clause 0x1
	scratch_store_b64 off, v[3:4], s32 offset:1028
	scratch_store_b64 off, v[3:4], s32 offset:1036
	v_and_b32_e32 v2, 0xff, v1
	s_delay_alu instid0(VALU_DEP_1)
	v_cmpx_ne_u16_e32 0, v2
	s_cbranch_execz .LBB270_683
; %bb.676:                              ;   in Loop: Header=BB270_16 Depth=1
	v_cmp_ne_u16_e64 s1, 0x80, v2
	v_bfrev_b32_e32 v2, 1
	v_mov_b32_e32 v3, 0
	scratch_store_b64 off, v[2:3], s32 offset:1036 ; 8-byte Folded Spill
	s_and_saveexec_b32 s23, s1
	s_cbranch_execz .LBB270_682
; %bb.677:                              ;   in Loop: Header=BB270_16 Depth=1
	v_mov_b32_e32 v4, 0x7f800001
	v_bfe_u32 v3, v0, 16, 7
	v_mov_b32_e32 v5, 0
	s_mov_b32 s24, exec_lo
	scratch_store_b64 off, v[4:5], s32 offset:1036 ; 8-byte Folded Spill
	v_cmpx_ne_u32_e32 0x7f, v3
	s_cbranch_execz .LBB270_681
; %bb.678:                              ;   in Loop: Header=BB270_16 Depth=1
	v_and_b32_e32 v14, 7, v1
	v_lshrrev_b32_e32 v2, 3, v3
	s_mov_b32 s25, exec_lo
	v_cmpx_gt_u32_e32 8, v3
; %bb.679:                              ;   in Loop: Header=BB270_16 Depth=1
	s_delay_alu instid0(VALU_DEP_3) | instskip(NEXT) | instid1(VALU_DEP_1)
	v_clz_i32_u32_e32 v2, v14
	v_min_u32_e32 v2, 32, v2
	s_delay_alu instid0(VALU_DEP_1) | instskip(SKIP_1) | instid1(VALU_DEP_2)
	v_subrev_nc_u32_e32 v3, 28, v2
	v_sub_nc_u32_e32 v2, 29, v2
	v_lshlrev_b64 v[3:4], v3, v[14:15]
	s_delay_alu instid0(VALU_DEP_1)
	v_and_b32_e32 v14, 7, v3
; %bb.680:                              ;   in Loop: Header=BB270_16 Depth=1
	s_or_b32 exec_lo, exec_lo, s25
	v_lshlrev_b32_e32 v1, 24, v1
	s_delay_alu instid0(VALU_DEP_2) | instskip(SKIP_1) | instid1(VALU_DEP_3)
	v_lshlrev_b32_e32 v3, 20, v14
	v_lshl_add_u32 v2, v2, 23, 0x3c000000
	v_and_b32_e32 v1, 0x80000000, v1
	s_delay_alu instid0(VALU_DEP_1)
	v_or3_b32 v14, v3, v1, v2
	scratch_store_b64 off, v[14:15], s32 offset:1036 ; 8-byte Folded Spill
.LBB270_681:                            ;   in Loop: Header=BB270_16 Depth=1
	s_or_b32 exec_lo, exec_lo, s24
.LBB270_682:                            ;   in Loop: Header=BB270_16 Depth=1
	s_delay_alu instid0(SALU_CYCLE_1)
	s_or_b32 exec_lo, exec_lo, s23
.LBB270_683:                            ;   in Loop: Header=BB270_16 Depth=1
	s_delay_alu instid0(SALU_CYCLE_1) | instskip(NEXT) | instid1(SALU_CYCLE_1)
	s_or_b32 exec_lo, exec_lo, s2
	s_mov_b32 s23, exec_lo
	v_cmpx_lt_u32_e32 0xffffff, v0
	s_cbranch_execz .LBB270_691
; %bb.684:                              ;   in Loop: Header=BB270_16 Depth=1
	v_lshrrev_b32_e32 v1, 24, v0
	v_dual_mov_b32 v2, s8 :: v_dual_mov_b32 v3, s9
	s_mov_b32 s24, exec_lo
	scratch_store_b64 off, v[2:3], s32 offset:1028 ; 8-byte Folded Spill
	v_cmpx_ne_u32_e32 0x80, v1
	s_cbranch_execz .LBB270_690
; %bb.685:                              ;   in Loop: Header=BB270_16 Depth=1
	s_mov_b32 s2, s8
	v_bfe_u32 v2, v0, 24, 7
	v_dual_mov_b32 v4, s3 :: v_dual_mov_b32 v3, s2
	s_mov_b32 s2, exec_lo
	scratch_store_b64 off, v[3:4], s32 offset:1028 ; 8-byte Folded Spill
	v_cmpx_ne_u32_e32 0x7f, v2
	s_cbranch_execz .LBB270_689
; %bb.686:                              ;   in Loop: Header=BB270_16 Depth=1
	v_and_b32_e32 v14, 7, v1
	v_lshrrev_b32_e32 v0, 3, v2
	s_mov_b32 s25, exec_lo
	v_cmpx_gt_u32_e32 8, v2
; %bb.687:                              ;   in Loop: Header=BB270_16 Depth=1
	s_delay_alu instid0(VALU_DEP_3) | instskip(NEXT) | instid1(VALU_DEP_1)
	v_clz_i32_u32_e32 v0, v14
	v_min_u32_e32 v0, 32, v0
	s_delay_alu instid0(VALU_DEP_1) | instskip(SKIP_1) | instid1(VALU_DEP_2)
	v_subrev_nc_u32_e32 v2, 28, v0
	v_sub_nc_u32_e32 v0, 29, v0
	v_lshlrev_b64 v[2:3], v2, v[14:15]
	s_delay_alu instid0(VALU_DEP_1)
	v_and_b32_e32 v14, 7, v2
; %bb.688:                              ;   in Loop: Header=BB270_16 Depth=1
	s_or_b32 exec_lo, exec_lo, s25
	v_lshlrev_b32_e32 v1, 24, v1
	s_delay_alu instid0(VALU_DEP_2) | instskip(SKIP_1) | instid1(VALU_DEP_3)
	v_lshlrev_b32_e32 v2, 20, v14
	v_lshl_add_u32 v0, v0, 23, 0x3c000000
	v_and_b32_e32 v1, 0x80000000, v1
	s_delay_alu instid0(VALU_DEP_1)
	v_or3_b32 v1, v2, v1, v0
	v_mov_b32_e32 v0, v15
	scratch_store_b64 off, v[0:1], s32 offset:1028 ; 8-byte Folded Spill
.LBB270_689:                            ;   in Loop: Header=BB270_16 Depth=1
	s_or_b32 exec_lo, exec_lo, s2
.LBB270_690:                            ;   in Loop: Header=BB270_16 Depth=1
	s_delay_alu instid0(SALU_CYCLE_1)
	s_or_b32 exec_lo, exec_lo, s24
.LBB270_691:                            ;   in Loop: Header=BB270_16 Depth=1
	s_delay_alu instid0(SALU_CYCLE_1)
	s_or_b32 exec_lo, exec_lo, s23
	flat_load_b32 v0, v[52:53] offset:2564
	v_mov_b32_e32 v2, 0
	v_mov_b32_e32 v3, 0
	s_mov_b32 s2, exec_lo
	s_clause 0x1
	scratch_store_b64 off, v[2:3], s32 offset:1044
	scratch_store_b64 off, v[2:3], s32 offset:1052
	s_waitcnt vmcnt(0) lgkmcnt(0)
	v_and_b32_e32 v1, 0xff, v0
	s_delay_alu instid0(VALU_DEP_1)
	v_cmpx_ne_u16_e32 0, v1
	s_cbranch_execz .LBB270_699
; %bb.692:                              ;   in Loop: Header=BB270_16 Depth=1
	v_cmp_ne_u16_e64 s1, 0x80, v1
	v_bfrev_b32_e32 v1, 1
	v_mov_b32_e32 v2, 0
	scratch_store_b64 off, v[1:2], s32 offset:1052 ; 8-byte Folded Spill
	s_and_saveexec_b32 s23, s1
	s_cbranch_execz .LBB270_698
; %bb.693:                              ;   in Loop: Header=BB270_16 Depth=1
	v_mov_b32_e32 v3, 0x7f800001
	v_and_b32_e32 v2, 0x7f, v0
	v_mov_b32_e32 v4, 0
	s_mov_b32 s24, exec_lo
	scratch_store_b64 off, v[3:4], s32 offset:1052 ; 8-byte Folded Spill
	v_cmpx_ne_u32_e32 0x7f, v2
	s_cbranch_execz .LBB270_697
; %bb.694:                              ;   in Loop: Header=BB270_16 Depth=1
	v_and_b32_e32 v14, 7, v0
	v_lshrrev_b32_e32 v1, 3, v2
	s_mov_b32 s25, exec_lo
	v_cmpx_gt_u32_e32 8, v2
; %bb.695:                              ;   in Loop: Header=BB270_16 Depth=1
	s_delay_alu instid0(VALU_DEP_3) | instskip(NEXT) | instid1(VALU_DEP_1)
	v_clz_i32_u32_e32 v1, v14
	v_min_u32_e32 v1, 32, v1
	s_delay_alu instid0(VALU_DEP_1) | instskip(SKIP_1) | instid1(VALU_DEP_2)
	v_subrev_nc_u32_e32 v2, 28, v1
	v_sub_nc_u32_e32 v1, 29, v1
	v_lshlrev_b64 v[2:3], v2, v[14:15]
	s_delay_alu instid0(VALU_DEP_1)
	v_and_b32_e32 v14, 7, v2
; %bb.696:                              ;   in Loop: Header=BB270_16 Depth=1
	s_or_b32 exec_lo, exec_lo, s25
	v_lshlrev_b32_e32 v2, 24, v0
	s_delay_alu instid0(VALU_DEP_2) | instskip(SKIP_1) | instid1(VALU_DEP_3)
	v_lshlrev_b32_e32 v3, 20, v14
	v_lshl_add_u32 v1, v1, 23, 0x3c000000
	v_and_b32_e32 v2, 0x80000000, v2
	s_delay_alu instid0(VALU_DEP_1)
	v_or3_b32 v14, v3, v2, v1
	scratch_store_b64 off, v[14:15], s32 offset:1052 ; 8-byte Folded Spill
.LBB270_697:                            ;   in Loop: Header=BB270_16 Depth=1
	s_or_b32 exec_lo, exec_lo, s24
.LBB270_698:                            ;   in Loop: Header=BB270_16 Depth=1
	s_delay_alu instid0(SALU_CYCLE_1)
	s_or_b32 exec_lo, exec_lo, s23
.LBB270_699:                            ;   in Loop: Header=BB270_16 Depth=1
	s_delay_alu instid0(SALU_CYCLE_1) | instskip(SKIP_2) | instid1(VALU_DEP_1)
	s_or_b32 exec_lo, exec_lo, s2
	v_lshrrev_b16 v1, 8, v0
	s_mov_b32 s23, exec_lo
	v_cmpx_ne_u16_e32 0, v1
	s_cbranch_execz .LBB270_707
; %bb.700:                              ;   in Loop: Header=BB270_16 Depth=1
	v_dual_mov_b32 v2, s8 :: v_dual_mov_b32 v3, s9
	s_mov_b32 s24, exec_lo
	scratch_store_b64 off, v[2:3], s32 offset:1044 ; 8-byte Folded Spill
	v_cmpx_ne_u16_e32 0x80, v1
	s_cbranch_execz .LBB270_706
; %bb.701:                              ;   in Loop: Header=BB270_16 Depth=1
	s_mov_b32 s2, s8
	v_dual_mov_b32 v4, s3 :: v_dual_and_b32 v1, 0xffff, v1
	v_mov_b32_e32 v3, s2
	s_mov_b32 s2, exec_lo
	s_delay_alu instid0(VALU_DEP_2)
	v_and_b32_e32 v2, 0x7f, v1
	scratch_store_b64 off, v[3:4], s32 offset:1044 ; 8-byte Folded Spill
	v_cmpx_ne_u32_e32 0x7f, v2
	s_cbranch_execz .LBB270_705
; %bb.702:                              ;   in Loop: Header=BB270_16 Depth=1
	v_and_b32_e32 v14, 7, v1
	v_lshrrev_b32_e32 v1, 3, v2
	s_mov_b32 s25, exec_lo
	v_cmpx_gt_u32_e32 8, v2
; %bb.703:                              ;   in Loop: Header=BB270_16 Depth=1
	s_delay_alu instid0(VALU_DEP_3) | instskip(NEXT) | instid1(VALU_DEP_1)
	v_clz_i32_u32_e32 v1, v14
	v_min_u32_e32 v1, 32, v1
	s_delay_alu instid0(VALU_DEP_1) | instskip(SKIP_1) | instid1(VALU_DEP_2)
	v_subrev_nc_u32_e32 v2, 28, v1
	v_sub_nc_u32_e32 v1, 29, v1
	v_lshlrev_b64 v[2:3], v2, v[14:15]
	s_delay_alu instid0(VALU_DEP_1)
	v_and_b32_e32 v14, 7, v2
; %bb.704:                              ;   in Loop: Header=BB270_16 Depth=1
	s_or_b32 exec_lo, exec_lo, s25
	v_lshlrev_b32_e32 v2, 16, v0
	s_delay_alu instid0(VALU_DEP_2) | instskip(SKIP_1) | instid1(VALU_DEP_3)
	v_lshlrev_b32_e32 v3, 20, v14
	v_lshl_add_u32 v1, v1, 23, 0x3c000000
	v_and_b32_e32 v2, 0x80000000, v2
	s_delay_alu instid0(VALU_DEP_1)
	v_or3_b32 v2, v3, v2, v1
	v_mov_b32_e32 v1, v15
	scratch_store_b64 off, v[1:2], s32 offset:1044 ; 8-byte Folded Spill
.LBB270_705:                            ;   in Loop: Header=BB270_16 Depth=1
	s_or_b32 exec_lo, exec_lo, s2
.LBB270_706:                            ;   in Loop: Header=BB270_16 Depth=1
	s_delay_alu instid0(SALU_CYCLE_1)
	s_or_b32 exec_lo, exec_lo, s24
.LBB270_707:                            ;   in Loop: Header=BB270_16 Depth=1
	s_delay_alu instid0(SALU_CYCLE_1)
	s_or_b32 exec_lo, exec_lo, s23
	v_lshrrev_b32_e32 v1, 16, v0
	v_mov_b32_e32 v3, 0
	v_mov_b32_e32 v4, 0
	s_mov_b32 s2, exec_lo
	s_clause 0x1
	scratch_store_b64 off, v[3:4], s32 offset:1060
	scratch_store_b64 off, v[3:4], s32 offset:1068
	v_and_b32_e32 v2, 0xff, v1
	s_delay_alu instid0(VALU_DEP_1)
	v_cmpx_ne_u16_e32 0, v2
	s_cbranch_execz .LBB270_715
; %bb.708:                              ;   in Loop: Header=BB270_16 Depth=1
	v_cmp_ne_u16_e64 s1, 0x80, v2
	v_bfrev_b32_e32 v2, 1
	v_mov_b32_e32 v3, 0
	scratch_store_b64 off, v[2:3], s32 offset:1068 ; 8-byte Folded Spill
	s_and_saveexec_b32 s23, s1
	s_cbranch_execz .LBB270_714
; %bb.709:                              ;   in Loop: Header=BB270_16 Depth=1
	v_mov_b32_e32 v4, 0x7f800001
	v_bfe_u32 v3, v0, 16, 7
	v_mov_b32_e32 v5, 0
	s_mov_b32 s24, exec_lo
	scratch_store_b64 off, v[4:5], s32 offset:1068 ; 8-byte Folded Spill
	v_cmpx_ne_u32_e32 0x7f, v3
	s_cbranch_execz .LBB270_713
; %bb.710:                              ;   in Loop: Header=BB270_16 Depth=1
	v_and_b32_e32 v14, 7, v1
	v_lshrrev_b32_e32 v2, 3, v3
	s_mov_b32 s25, exec_lo
	v_cmpx_gt_u32_e32 8, v3
; %bb.711:                              ;   in Loop: Header=BB270_16 Depth=1
	s_delay_alu instid0(VALU_DEP_3) | instskip(NEXT) | instid1(VALU_DEP_1)
	v_clz_i32_u32_e32 v2, v14
	v_min_u32_e32 v2, 32, v2
	s_delay_alu instid0(VALU_DEP_1) | instskip(SKIP_1) | instid1(VALU_DEP_2)
	v_subrev_nc_u32_e32 v3, 28, v2
	v_sub_nc_u32_e32 v2, 29, v2
	v_lshlrev_b64 v[3:4], v3, v[14:15]
	s_delay_alu instid0(VALU_DEP_1)
	v_and_b32_e32 v14, 7, v3
; %bb.712:                              ;   in Loop: Header=BB270_16 Depth=1
	s_or_b32 exec_lo, exec_lo, s25
	v_lshlrev_b32_e32 v1, 24, v1
	s_delay_alu instid0(VALU_DEP_2) | instskip(SKIP_1) | instid1(VALU_DEP_3)
	v_lshlrev_b32_e32 v3, 20, v14
	v_lshl_add_u32 v2, v2, 23, 0x3c000000
	v_and_b32_e32 v1, 0x80000000, v1
	s_delay_alu instid0(VALU_DEP_1)
	v_or3_b32 v14, v3, v1, v2
	scratch_store_b64 off, v[14:15], s32 offset:1068 ; 8-byte Folded Spill
.LBB270_713:                            ;   in Loop: Header=BB270_16 Depth=1
	s_or_b32 exec_lo, exec_lo, s24
.LBB270_714:                            ;   in Loop: Header=BB270_16 Depth=1
	s_delay_alu instid0(SALU_CYCLE_1)
	s_or_b32 exec_lo, exec_lo, s23
.LBB270_715:                            ;   in Loop: Header=BB270_16 Depth=1
	s_delay_alu instid0(SALU_CYCLE_1) | instskip(NEXT) | instid1(SALU_CYCLE_1)
	s_or_b32 exec_lo, exec_lo, s2
	s_mov_b32 s23, exec_lo
	v_cmpx_lt_u32_e32 0xffffff, v0
	s_cbranch_execz .LBB270_723
; %bb.716:                              ;   in Loop: Header=BB270_16 Depth=1
	v_lshrrev_b32_e32 v1, 24, v0
	v_dual_mov_b32 v2, s8 :: v_dual_mov_b32 v3, s9
	s_mov_b32 s24, exec_lo
	scratch_store_b64 off, v[2:3], s32 offset:1060 ; 8-byte Folded Spill
	v_cmpx_ne_u32_e32 0x80, v1
	s_cbranch_execz .LBB270_722
; %bb.717:                              ;   in Loop: Header=BB270_16 Depth=1
	s_mov_b32 s2, s8
	v_bfe_u32 v2, v0, 24, 7
	v_dual_mov_b32 v4, s3 :: v_dual_mov_b32 v3, s2
	s_mov_b32 s2, exec_lo
	scratch_store_b64 off, v[3:4], s32 offset:1060 ; 8-byte Folded Spill
	v_cmpx_ne_u32_e32 0x7f, v2
	s_cbranch_execz .LBB270_721
; %bb.718:                              ;   in Loop: Header=BB270_16 Depth=1
	v_and_b32_e32 v14, 7, v1
	v_lshrrev_b32_e32 v0, 3, v2
	s_mov_b32 s25, exec_lo
	v_cmpx_gt_u32_e32 8, v2
; %bb.719:                              ;   in Loop: Header=BB270_16 Depth=1
	s_delay_alu instid0(VALU_DEP_3) | instskip(NEXT) | instid1(VALU_DEP_1)
	v_clz_i32_u32_e32 v0, v14
	v_min_u32_e32 v0, 32, v0
	s_delay_alu instid0(VALU_DEP_1) | instskip(SKIP_1) | instid1(VALU_DEP_2)
	v_subrev_nc_u32_e32 v2, 28, v0
	v_sub_nc_u32_e32 v0, 29, v0
	v_lshlrev_b64 v[2:3], v2, v[14:15]
	s_delay_alu instid0(VALU_DEP_1)
	v_and_b32_e32 v14, 7, v2
; %bb.720:                              ;   in Loop: Header=BB270_16 Depth=1
	s_or_b32 exec_lo, exec_lo, s25
	v_lshlrev_b32_e32 v1, 24, v1
	s_delay_alu instid0(VALU_DEP_2) | instskip(SKIP_1) | instid1(VALU_DEP_3)
	v_lshlrev_b32_e32 v2, 20, v14
	v_lshl_add_u32 v0, v0, 23, 0x3c000000
	v_and_b32_e32 v1, 0x80000000, v1
	s_delay_alu instid0(VALU_DEP_1)
	v_or3_b32 v1, v2, v1, v0
	v_mov_b32_e32 v0, v15
	scratch_store_b64 off, v[0:1], s32 offset:1060 ; 8-byte Folded Spill
.LBB270_721:                            ;   in Loop: Header=BB270_16 Depth=1
	s_or_b32 exec_lo, exec_lo, s2
.LBB270_722:                            ;   in Loop: Header=BB270_16 Depth=1
	s_delay_alu instid0(SALU_CYCLE_1)
	s_or_b32 exec_lo, exec_lo, s24
.LBB270_723:                            ;   in Loop: Header=BB270_16 Depth=1
	s_delay_alu instid0(SALU_CYCLE_1)
	s_or_b32 exec_lo, exec_lo, s23
	flat_load_b32 v0, v[52:53] offset:2568
	v_mov_b32_e32 v2, 0
	v_mov_b32_e32 v3, 0
	s_mov_b32 s2, exec_lo
	s_clause 0x1
	scratch_store_b64 off, v[2:3], s32 offset:1076
	scratch_store_b64 off, v[2:3], s32 offset:1084
	s_waitcnt vmcnt(0) lgkmcnt(0)
	v_and_b32_e32 v1, 0xff, v0
	s_delay_alu instid0(VALU_DEP_1)
	v_cmpx_ne_u16_e32 0, v1
	s_cbranch_execz .LBB270_731
; %bb.724:                              ;   in Loop: Header=BB270_16 Depth=1
	v_cmp_ne_u16_e64 s1, 0x80, v1
	v_bfrev_b32_e32 v1, 1
	v_mov_b32_e32 v2, 0
	scratch_store_b64 off, v[1:2], s32 offset:1084 ; 8-byte Folded Spill
	s_and_saveexec_b32 s23, s1
	s_cbranch_execz .LBB270_730
; %bb.725:                              ;   in Loop: Header=BB270_16 Depth=1
	v_mov_b32_e32 v3, 0x7f800001
	v_and_b32_e32 v2, 0x7f, v0
	v_mov_b32_e32 v4, 0
	s_mov_b32 s24, exec_lo
	scratch_store_b64 off, v[3:4], s32 offset:1084 ; 8-byte Folded Spill
	v_cmpx_ne_u32_e32 0x7f, v2
	s_cbranch_execz .LBB270_729
; %bb.726:                              ;   in Loop: Header=BB270_16 Depth=1
	v_and_b32_e32 v14, 7, v0
	v_lshrrev_b32_e32 v1, 3, v2
	s_mov_b32 s25, exec_lo
	v_cmpx_gt_u32_e32 8, v2
; %bb.727:                              ;   in Loop: Header=BB270_16 Depth=1
	s_delay_alu instid0(VALU_DEP_3) | instskip(NEXT) | instid1(VALU_DEP_1)
	v_clz_i32_u32_e32 v1, v14
	v_min_u32_e32 v1, 32, v1
	s_delay_alu instid0(VALU_DEP_1) | instskip(SKIP_1) | instid1(VALU_DEP_2)
	v_subrev_nc_u32_e32 v2, 28, v1
	v_sub_nc_u32_e32 v1, 29, v1
	v_lshlrev_b64 v[2:3], v2, v[14:15]
	s_delay_alu instid0(VALU_DEP_1)
	v_and_b32_e32 v14, 7, v2
; %bb.728:                              ;   in Loop: Header=BB270_16 Depth=1
	s_or_b32 exec_lo, exec_lo, s25
	v_lshlrev_b32_e32 v2, 24, v0
	s_delay_alu instid0(VALU_DEP_2) | instskip(SKIP_1) | instid1(VALU_DEP_3)
	v_lshlrev_b32_e32 v3, 20, v14
	v_lshl_add_u32 v1, v1, 23, 0x3c000000
	v_and_b32_e32 v2, 0x80000000, v2
	s_delay_alu instid0(VALU_DEP_1)
	v_or3_b32 v14, v3, v2, v1
	scratch_store_b64 off, v[14:15], s32 offset:1084 ; 8-byte Folded Spill
.LBB270_729:                            ;   in Loop: Header=BB270_16 Depth=1
	s_or_b32 exec_lo, exec_lo, s24
.LBB270_730:                            ;   in Loop: Header=BB270_16 Depth=1
	s_delay_alu instid0(SALU_CYCLE_1)
	s_or_b32 exec_lo, exec_lo, s23
.LBB270_731:                            ;   in Loop: Header=BB270_16 Depth=1
	s_delay_alu instid0(SALU_CYCLE_1) | instskip(SKIP_2) | instid1(VALU_DEP_1)
	s_or_b32 exec_lo, exec_lo, s2
	v_lshrrev_b16 v1, 8, v0
	s_mov_b32 s23, exec_lo
	v_cmpx_ne_u16_e32 0, v1
	s_cbranch_execz .LBB270_739
; %bb.732:                              ;   in Loop: Header=BB270_16 Depth=1
	v_dual_mov_b32 v2, s8 :: v_dual_mov_b32 v3, s9
	s_mov_b32 s24, exec_lo
	scratch_store_b64 off, v[2:3], s32 offset:1076 ; 8-byte Folded Spill
	v_cmpx_ne_u16_e32 0x80, v1
	s_cbranch_execz .LBB270_738
; %bb.733:                              ;   in Loop: Header=BB270_16 Depth=1
	s_mov_b32 s2, s8
	v_dual_mov_b32 v4, s3 :: v_dual_and_b32 v1, 0xffff, v1
	v_mov_b32_e32 v3, s2
	s_mov_b32 s2, exec_lo
	s_delay_alu instid0(VALU_DEP_2)
	v_and_b32_e32 v2, 0x7f, v1
	scratch_store_b64 off, v[3:4], s32 offset:1076 ; 8-byte Folded Spill
	v_cmpx_ne_u32_e32 0x7f, v2
	s_cbranch_execz .LBB270_737
; %bb.734:                              ;   in Loop: Header=BB270_16 Depth=1
	v_and_b32_e32 v14, 7, v1
	v_lshrrev_b32_e32 v1, 3, v2
	s_mov_b32 s25, exec_lo
	v_cmpx_gt_u32_e32 8, v2
; %bb.735:                              ;   in Loop: Header=BB270_16 Depth=1
	s_delay_alu instid0(VALU_DEP_3) | instskip(NEXT) | instid1(VALU_DEP_1)
	v_clz_i32_u32_e32 v1, v14
	v_min_u32_e32 v1, 32, v1
	s_delay_alu instid0(VALU_DEP_1) | instskip(SKIP_1) | instid1(VALU_DEP_2)
	v_subrev_nc_u32_e32 v2, 28, v1
	v_sub_nc_u32_e32 v1, 29, v1
	v_lshlrev_b64 v[2:3], v2, v[14:15]
	s_delay_alu instid0(VALU_DEP_1)
	v_and_b32_e32 v14, 7, v2
; %bb.736:                              ;   in Loop: Header=BB270_16 Depth=1
	s_or_b32 exec_lo, exec_lo, s25
	v_lshlrev_b32_e32 v2, 16, v0
	s_delay_alu instid0(VALU_DEP_2) | instskip(SKIP_1) | instid1(VALU_DEP_3)
	v_lshlrev_b32_e32 v3, 20, v14
	v_lshl_add_u32 v1, v1, 23, 0x3c000000
	v_and_b32_e32 v2, 0x80000000, v2
	s_delay_alu instid0(VALU_DEP_1)
	v_or3_b32 v2, v3, v2, v1
	v_mov_b32_e32 v1, v15
	scratch_store_b64 off, v[1:2], s32 offset:1076 ; 8-byte Folded Spill
.LBB270_737:                            ;   in Loop: Header=BB270_16 Depth=1
	s_or_b32 exec_lo, exec_lo, s2
.LBB270_738:                            ;   in Loop: Header=BB270_16 Depth=1
	s_delay_alu instid0(SALU_CYCLE_1)
	s_or_b32 exec_lo, exec_lo, s24
.LBB270_739:                            ;   in Loop: Header=BB270_16 Depth=1
	s_delay_alu instid0(SALU_CYCLE_1)
	s_or_b32 exec_lo, exec_lo, s23
	v_lshrrev_b32_e32 v1, 16, v0
	v_mov_b32_e32 v3, 0
	v_mov_b32_e32 v4, 0
	s_mov_b32 s2, exec_lo
	s_clause 0x1
	scratch_store_b64 off, v[3:4], s32 offset:1092
	scratch_store_b64 off, v[3:4], s32 offset:1100
	v_and_b32_e32 v2, 0xff, v1
	s_delay_alu instid0(VALU_DEP_1)
	v_cmpx_ne_u16_e32 0, v2
	s_cbranch_execz .LBB270_747
; %bb.740:                              ;   in Loop: Header=BB270_16 Depth=1
	v_cmp_ne_u16_e64 s1, 0x80, v2
	v_bfrev_b32_e32 v2, 1
	v_mov_b32_e32 v3, 0
	scratch_store_b64 off, v[2:3], s32 offset:1100 ; 8-byte Folded Spill
	s_and_saveexec_b32 s23, s1
	s_cbranch_execz .LBB270_746
; %bb.741:                              ;   in Loop: Header=BB270_16 Depth=1
	v_mov_b32_e32 v4, 0x7f800001
	v_bfe_u32 v3, v0, 16, 7
	v_mov_b32_e32 v5, 0
	s_mov_b32 s24, exec_lo
	scratch_store_b64 off, v[4:5], s32 offset:1100 ; 8-byte Folded Spill
	v_cmpx_ne_u32_e32 0x7f, v3
	s_cbranch_execz .LBB270_745
; %bb.742:                              ;   in Loop: Header=BB270_16 Depth=1
	v_and_b32_e32 v14, 7, v1
	v_lshrrev_b32_e32 v2, 3, v3
	s_mov_b32 s25, exec_lo
	v_cmpx_gt_u32_e32 8, v3
; %bb.743:                              ;   in Loop: Header=BB270_16 Depth=1
	s_delay_alu instid0(VALU_DEP_3) | instskip(NEXT) | instid1(VALU_DEP_1)
	v_clz_i32_u32_e32 v2, v14
	v_min_u32_e32 v2, 32, v2
	s_delay_alu instid0(VALU_DEP_1) | instskip(SKIP_1) | instid1(VALU_DEP_2)
	v_subrev_nc_u32_e32 v3, 28, v2
	v_sub_nc_u32_e32 v2, 29, v2
	v_lshlrev_b64 v[3:4], v3, v[14:15]
	s_delay_alu instid0(VALU_DEP_1)
	v_and_b32_e32 v14, 7, v3
; %bb.744:                              ;   in Loop: Header=BB270_16 Depth=1
	s_or_b32 exec_lo, exec_lo, s25
	v_lshlrev_b32_e32 v1, 24, v1
	s_delay_alu instid0(VALU_DEP_2) | instskip(SKIP_1) | instid1(VALU_DEP_3)
	v_lshlrev_b32_e32 v3, 20, v14
	v_lshl_add_u32 v2, v2, 23, 0x3c000000
	v_and_b32_e32 v1, 0x80000000, v1
	s_delay_alu instid0(VALU_DEP_1)
	v_or3_b32 v14, v3, v1, v2
	scratch_store_b64 off, v[14:15], s32 offset:1100 ; 8-byte Folded Spill
.LBB270_745:                            ;   in Loop: Header=BB270_16 Depth=1
	s_or_b32 exec_lo, exec_lo, s24
.LBB270_746:                            ;   in Loop: Header=BB270_16 Depth=1
	s_delay_alu instid0(SALU_CYCLE_1)
	s_or_b32 exec_lo, exec_lo, s23
.LBB270_747:                            ;   in Loop: Header=BB270_16 Depth=1
	s_delay_alu instid0(SALU_CYCLE_1) | instskip(NEXT) | instid1(SALU_CYCLE_1)
	s_or_b32 exec_lo, exec_lo, s2
	s_mov_b32 s23, exec_lo
	v_cmpx_lt_u32_e32 0xffffff, v0
	s_cbranch_execz .LBB270_755
; %bb.748:                              ;   in Loop: Header=BB270_16 Depth=1
	v_lshrrev_b32_e32 v1, 24, v0
	v_dual_mov_b32 v2, s8 :: v_dual_mov_b32 v3, s9
	s_mov_b32 s24, exec_lo
	scratch_store_b64 off, v[2:3], s32 offset:1092 ; 8-byte Folded Spill
	v_cmpx_ne_u32_e32 0x80, v1
	s_cbranch_execz .LBB270_754
; %bb.749:                              ;   in Loop: Header=BB270_16 Depth=1
	s_mov_b32 s2, s8
	v_bfe_u32 v2, v0, 24, 7
	v_dual_mov_b32 v4, s3 :: v_dual_mov_b32 v3, s2
	s_mov_b32 s2, exec_lo
	scratch_store_b64 off, v[3:4], s32 offset:1092 ; 8-byte Folded Spill
	v_cmpx_ne_u32_e32 0x7f, v2
	s_cbranch_execz .LBB270_753
; %bb.750:                              ;   in Loop: Header=BB270_16 Depth=1
	v_and_b32_e32 v14, 7, v1
	v_lshrrev_b32_e32 v0, 3, v2
	s_mov_b32 s25, exec_lo
	v_cmpx_gt_u32_e32 8, v2
; %bb.751:                              ;   in Loop: Header=BB270_16 Depth=1
	s_delay_alu instid0(VALU_DEP_3) | instskip(NEXT) | instid1(VALU_DEP_1)
	v_clz_i32_u32_e32 v0, v14
	v_min_u32_e32 v0, 32, v0
	s_delay_alu instid0(VALU_DEP_1) | instskip(SKIP_1) | instid1(VALU_DEP_2)
	v_subrev_nc_u32_e32 v2, 28, v0
	v_sub_nc_u32_e32 v0, 29, v0
	v_lshlrev_b64 v[2:3], v2, v[14:15]
	s_delay_alu instid0(VALU_DEP_1)
	v_and_b32_e32 v14, 7, v2
; %bb.752:                              ;   in Loop: Header=BB270_16 Depth=1
	s_or_b32 exec_lo, exec_lo, s25
	v_lshlrev_b32_e32 v1, 24, v1
	s_delay_alu instid0(VALU_DEP_2) | instskip(SKIP_1) | instid1(VALU_DEP_3)
	v_lshlrev_b32_e32 v2, 20, v14
	v_lshl_add_u32 v0, v0, 23, 0x3c000000
	v_and_b32_e32 v1, 0x80000000, v1
	s_delay_alu instid0(VALU_DEP_1)
	v_or3_b32 v1, v2, v1, v0
	v_mov_b32_e32 v0, v15
	scratch_store_b64 off, v[0:1], s32 offset:1092 ; 8-byte Folded Spill
.LBB270_753:                            ;   in Loop: Header=BB270_16 Depth=1
	s_or_b32 exec_lo, exec_lo, s2
.LBB270_754:                            ;   in Loop: Header=BB270_16 Depth=1
	s_delay_alu instid0(SALU_CYCLE_1)
	s_or_b32 exec_lo, exec_lo, s24
.LBB270_755:                            ;   in Loop: Header=BB270_16 Depth=1
	s_delay_alu instid0(SALU_CYCLE_1)
	s_or_b32 exec_lo, exec_lo, s23
	flat_load_b32 v0, v[52:53] offset:2572
	v_mov_b32_e32 v2, 0
	v_mov_b32_e32 v3, 0
	s_mov_b32 s2, exec_lo
	s_clause 0x1
	scratch_store_b64 off, v[2:3], s32 offset:1108
	scratch_store_b64 off, v[2:3], s32 offset:1116
	s_waitcnt vmcnt(0) lgkmcnt(0)
	v_and_b32_e32 v1, 0xff, v0
	s_delay_alu instid0(VALU_DEP_1)
	v_cmpx_ne_u16_e32 0, v1
	s_cbranch_execz .LBB270_763
; %bb.756:                              ;   in Loop: Header=BB270_16 Depth=1
	v_cmp_ne_u16_e64 s1, 0x80, v1
	v_bfrev_b32_e32 v1, 1
	v_mov_b32_e32 v2, 0
	scratch_store_b64 off, v[1:2], s32 offset:1116 ; 8-byte Folded Spill
	s_and_saveexec_b32 s23, s1
	s_cbranch_execz .LBB270_762
; %bb.757:                              ;   in Loop: Header=BB270_16 Depth=1
	v_mov_b32_e32 v3, 0x7f800001
	v_and_b32_e32 v2, 0x7f, v0
	v_mov_b32_e32 v4, 0
	s_mov_b32 s24, exec_lo
	scratch_store_b64 off, v[3:4], s32 offset:1116 ; 8-byte Folded Spill
	v_cmpx_ne_u32_e32 0x7f, v2
	s_cbranch_execz .LBB270_761
; %bb.758:                              ;   in Loop: Header=BB270_16 Depth=1
	v_and_b32_e32 v14, 7, v0
	v_lshrrev_b32_e32 v1, 3, v2
	s_mov_b32 s25, exec_lo
	v_cmpx_gt_u32_e32 8, v2
; %bb.759:                              ;   in Loop: Header=BB270_16 Depth=1
	s_delay_alu instid0(VALU_DEP_3) | instskip(NEXT) | instid1(VALU_DEP_1)
	v_clz_i32_u32_e32 v1, v14
	v_min_u32_e32 v1, 32, v1
	s_delay_alu instid0(VALU_DEP_1) | instskip(SKIP_1) | instid1(VALU_DEP_2)
	v_subrev_nc_u32_e32 v2, 28, v1
	v_sub_nc_u32_e32 v1, 29, v1
	v_lshlrev_b64 v[2:3], v2, v[14:15]
	s_delay_alu instid0(VALU_DEP_1)
	v_and_b32_e32 v14, 7, v2
; %bb.760:                              ;   in Loop: Header=BB270_16 Depth=1
	s_or_b32 exec_lo, exec_lo, s25
	v_lshlrev_b32_e32 v2, 24, v0
	s_delay_alu instid0(VALU_DEP_2) | instskip(SKIP_1) | instid1(VALU_DEP_3)
	v_lshlrev_b32_e32 v3, 20, v14
	v_lshl_add_u32 v1, v1, 23, 0x3c000000
	v_and_b32_e32 v2, 0x80000000, v2
	s_delay_alu instid0(VALU_DEP_1)
	v_or3_b32 v14, v3, v2, v1
	scratch_store_b64 off, v[14:15], s32 offset:1116 ; 8-byte Folded Spill
.LBB270_761:                            ;   in Loop: Header=BB270_16 Depth=1
	s_or_b32 exec_lo, exec_lo, s24
.LBB270_762:                            ;   in Loop: Header=BB270_16 Depth=1
	s_delay_alu instid0(SALU_CYCLE_1)
	s_or_b32 exec_lo, exec_lo, s23
.LBB270_763:                            ;   in Loop: Header=BB270_16 Depth=1
	s_delay_alu instid0(SALU_CYCLE_1) | instskip(SKIP_2) | instid1(VALU_DEP_1)
	s_or_b32 exec_lo, exec_lo, s2
	v_lshrrev_b16 v1, 8, v0
	s_mov_b32 s23, exec_lo
	v_cmpx_ne_u16_e32 0, v1
	s_cbranch_execz .LBB270_771
; %bb.764:                              ;   in Loop: Header=BB270_16 Depth=1
	v_dual_mov_b32 v2, s8 :: v_dual_mov_b32 v3, s9
	s_mov_b32 s24, exec_lo
	scratch_store_b64 off, v[2:3], s32 offset:1108 ; 8-byte Folded Spill
	v_cmpx_ne_u16_e32 0x80, v1
	s_cbranch_execz .LBB270_770
; %bb.765:                              ;   in Loop: Header=BB270_16 Depth=1
	s_mov_b32 s2, s8
	v_dual_mov_b32 v4, s3 :: v_dual_and_b32 v1, 0xffff, v1
	v_mov_b32_e32 v3, s2
	s_mov_b32 s2, exec_lo
	s_delay_alu instid0(VALU_DEP_2)
	v_and_b32_e32 v2, 0x7f, v1
	scratch_store_b64 off, v[3:4], s32 offset:1108 ; 8-byte Folded Spill
	v_cmpx_ne_u32_e32 0x7f, v2
	s_cbranch_execz .LBB270_769
; %bb.766:                              ;   in Loop: Header=BB270_16 Depth=1
	v_and_b32_e32 v14, 7, v1
	v_lshrrev_b32_e32 v1, 3, v2
	s_mov_b32 s25, exec_lo
	v_cmpx_gt_u32_e32 8, v2
; %bb.767:                              ;   in Loop: Header=BB270_16 Depth=1
	s_delay_alu instid0(VALU_DEP_3) | instskip(NEXT) | instid1(VALU_DEP_1)
	v_clz_i32_u32_e32 v1, v14
	v_min_u32_e32 v1, 32, v1
	s_delay_alu instid0(VALU_DEP_1) | instskip(SKIP_1) | instid1(VALU_DEP_2)
	v_subrev_nc_u32_e32 v2, 28, v1
	v_sub_nc_u32_e32 v1, 29, v1
	v_lshlrev_b64 v[2:3], v2, v[14:15]
	s_delay_alu instid0(VALU_DEP_1)
	v_and_b32_e32 v14, 7, v2
; %bb.768:                              ;   in Loop: Header=BB270_16 Depth=1
	s_or_b32 exec_lo, exec_lo, s25
	v_lshlrev_b32_e32 v2, 16, v0
	s_delay_alu instid0(VALU_DEP_2) | instskip(SKIP_1) | instid1(VALU_DEP_3)
	v_lshlrev_b32_e32 v3, 20, v14
	v_lshl_add_u32 v1, v1, 23, 0x3c000000
	v_and_b32_e32 v2, 0x80000000, v2
	s_delay_alu instid0(VALU_DEP_1)
	v_or3_b32 v2, v3, v2, v1
	v_mov_b32_e32 v1, v15
	scratch_store_b64 off, v[1:2], s32 offset:1108 ; 8-byte Folded Spill
.LBB270_769:                            ;   in Loop: Header=BB270_16 Depth=1
	s_or_b32 exec_lo, exec_lo, s2
.LBB270_770:                            ;   in Loop: Header=BB270_16 Depth=1
	s_delay_alu instid0(SALU_CYCLE_1)
	s_or_b32 exec_lo, exec_lo, s24
.LBB270_771:                            ;   in Loop: Header=BB270_16 Depth=1
	s_delay_alu instid0(SALU_CYCLE_1)
	s_or_b32 exec_lo, exec_lo, s23
	v_lshrrev_b32_e32 v1, 16, v0
	v_mov_b32_e32 v3, 0
	v_mov_b32_e32 v4, 0
	s_mov_b32 s2, exec_lo
	s_clause 0x1
	scratch_store_b64 off, v[3:4], s32 offset:1124
	scratch_store_b64 off, v[3:4], s32 offset:1132
	v_and_b32_e32 v2, 0xff, v1
	s_delay_alu instid0(VALU_DEP_1)
	v_cmpx_ne_u16_e32 0, v2
	s_cbranch_execz .LBB270_779
; %bb.772:                              ;   in Loop: Header=BB270_16 Depth=1
	v_cmp_ne_u16_e64 s1, 0x80, v2
	v_bfrev_b32_e32 v2, 1
	v_mov_b32_e32 v3, 0
	scratch_store_b64 off, v[2:3], s32 offset:1132 ; 8-byte Folded Spill
	s_and_saveexec_b32 s23, s1
	s_cbranch_execz .LBB270_778
; %bb.773:                              ;   in Loop: Header=BB270_16 Depth=1
	v_mov_b32_e32 v4, 0x7f800001
	v_bfe_u32 v3, v0, 16, 7
	v_mov_b32_e32 v5, 0
	s_mov_b32 s24, exec_lo
	scratch_store_b64 off, v[4:5], s32 offset:1132 ; 8-byte Folded Spill
	v_cmpx_ne_u32_e32 0x7f, v3
	s_cbranch_execz .LBB270_777
; %bb.774:                              ;   in Loop: Header=BB270_16 Depth=1
	v_and_b32_e32 v14, 7, v1
	v_lshrrev_b32_e32 v2, 3, v3
	s_mov_b32 s25, exec_lo
	v_cmpx_gt_u32_e32 8, v3
; %bb.775:                              ;   in Loop: Header=BB270_16 Depth=1
	s_delay_alu instid0(VALU_DEP_3) | instskip(NEXT) | instid1(VALU_DEP_1)
	v_clz_i32_u32_e32 v2, v14
	v_min_u32_e32 v2, 32, v2
	s_delay_alu instid0(VALU_DEP_1) | instskip(SKIP_1) | instid1(VALU_DEP_2)
	v_subrev_nc_u32_e32 v3, 28, v2
	v_sub_nc_u32_e32 v2, 29, v2
	v_lshlrev_b64 v[3:4], v3, v[14:15]
	s_delay_alu instid0(VALU_DEP_1)
	v_and_b32_e32 v14, 7, v3
; %bb.776:                              ;   in Loop: Header=BB270_16 Depth=1
	s_or_b32 exec_lo, exec_lo, s25
	v_lshlrev_b32_e32 v1, 24, v1
	s_delay_alu instid0(VALU_DEP_2) | instskip(SKIP_1) | instid1(VALU_DEP_3)
	v_lshlrev_b32_e32 v3, 20, v14
	v_lshl_add_u32 v2, v2, 23, 0x3c000000
	v_and_b32_e32 v1, 0x80000000, v1
	s_delay_alu instid0(VALU_DEP_1)
	v_or3_b32 v14, v3, v1, v2
	scratch_store_b64 off, v[14:15], s32 offset:1132 ; 8-byte Folded Spill
.LBB270_777:                            ;   in Loop: Header=BB270_16 Depth=1
	s_or_b32 exec_lo, exec_lo, s24
.LBB270_778:                            ;   in Loop: Header=BB270_16 Depth=1
	s_delay_alu instid0(SALU_CYCLE_1)
	s_or_b32 exec_lo, exec_lo, s23
.LBB270_779:                            ;   in Loop: Header=BB270_16 Depth=1
	s_delay_alu instid0(SALU_CYCLE_1) | instskip(NEXT) | instid1(SALU_CYCLE_1)
	s_or_b32 exec_lo, exec_lo, s2
	s_mov_b32 s23, exec_lo
	v_cmpx_lt_u32_e32 0xffffff, v0
	s_cbranch_execz .LBB270_787
; %bb.780:                              ;   in Loop: Header=BB270_16 Depth=1
	v_lshrrev_b32_e32 v1, 24, v0
	v_dual_mov_b32 v2, s8 :: v_dual_mov_b32 v3, s9
	s_mov_b32 s24, exec_lo
	scratch_store_b64 off, v[2:3], s32 offset:1124 ; 8-byte Folded Spill
	v_cmpx_ne_u32_e32 0x80, v1
	s_cbranch_execz .LBB270_786
; %bb.781:                              ;   in Loop: Header=BB270_16 Depth=1
	s_mov_b32 s2, s8
	v_bfe_u32 v2, v0, 24, 7
	v_dual_mov_b32 v4, s3 :: v_dual_mov_b32 v3, s2
	s_mov_b32 s2, exec_lo
	scratch_store_b64 off, v[3:4], s32 offset:1124 ; 8-byte Folded Spill
	v_cmpx_ne_u32_e32 0x7f, v2
	s_cbranch_execz .LBB270_785
; %bb.782:                              ;   in Loop: Header=BB270_16 Depth=1
	v_and_b32_e32 v14, 7, v1
	v_lshrrev_b32_e32 v0, 3, v2
	s_mov_b32 s25, exec_lo
	v_cmpx_gt_u32_e32 8, v2
; %bb.783:                              ;   in Loop: Header=BB270_16 Depth=1
	s_delay_alu instid0(VALU_DEP_3) | instskip(NEXT) | instid1(VALU_DEP_1)
	v_clz_i32_u32_e32 v0, v14
	v_min_u32_e32 v0, 32, v0
	s_delay_alu instid0(VALU_DEP_1) | instskip(SKIP_1) | instid1(VALU_DEP_2)
	v_subrev_nc_u32_e32 v2, 28, v0
	v_sub_nc_u32_e32 v0, 29, v0
	v_lshlrev_b64 v[2:3], v2, v[14:15]
	s_delay_alu instid0(VALU_DEP_1)
	v_and_b32_e32 v14, 7, v2
; %bb.784:                              ;   in Loop: Header=BB270_16 Depth=1
	s_or_b32 exec_lo, exec_lo, s25
	v_lshlrev_b32_e32 v1, 24, v1
	s_delay_alu instid0(VALU_DEP_2) | instskip(SKIP_1) | instid1(VALU_DEP_3)
	v_lshlrev_b32_e32 v2, 20, v14
	v_lshl_add_u32 v0, v0, 23, 0x3c000000
	v_and_b32_e32 v1, 0x80000000, v1
	s_delay_alu instid0(VALU_DEP_1)
	v_or3_b32 v1, v2, v1, v0
	v_mov_b32_e32 v0, v15
	scratch_store_b64 off, v[0:1], s32 offset:1124 ; 8-byte Folded Spill
.LBB270_785:                            ;   in Loop: Header=BB270_16 Depth=1
	s_or_b32 exec_lo, exec_lo, s2
.LBB270_786:                            ;   in Loop: Header=BB270_16 Depth=1
	s_delay_alu instid0(SALU_CYCLE_1)
	s_or_b32 exec_lo, exec_lo, s24
.LBB270_787:                            ;   in Loop: Header=BB270_16 Depth=1
	s_delay_alu instid0(SALU_CYCLE_1)
	s_or_b32 exec_lo, exec_lo, s23
	flat_load_b32 v0, v[52:53] offset:3072
	v_mov_b32_e32 v2, 0
	v_mov_b32_e32 v3, 0
	s_mov_b32 s2, exec_lo
	s_clause 0x1
	scratch_store_b64 off, v[2:3], s32 offset:1140
	scratch_store_b64 off, v[2:3], s32 offset:1148
	s_waitcnt vmcnt(0) lgkmcnt(0)
	v_and_b32_e32 v1, 0xff, v0
	s_delay_alu instid0(VALU_DEP_1)
	v_cmpx_ne_u16_e32 0, v1
	s_cbranch_execz .LBB270_795
; %bb.788:                              ;   in Loop: Header=BB270_16 Depth=1
	v_cmp_ne_u16_e64 s1, 0x80, v1
	v_bfrev_b32_e32 v1, 1
	v_mov_b32_e32 v2, 0
	scratch_store_b64 off, v[1:2], s32 offset:1148 ; 8-byte Folded Spill
	s_and_saveexec_b32 s23, s1
	s_cbranch_execz .LBB270_794
; %bb.789:                              ;   in Loop: Header=BB270_16 Depth=1
	v_mov_b32_e32 v3, 0x7f800001
	v_and_b32_e32 v2, 0x7f, v0
	v_mov_b32_e32 v4, 0
	s_mov_b32 s24, exec_lo
	scratch_store_b64 off, v[3:4], s32 offset:1148 ; 8-byte Folded Spill
	v_cmpx_ne_u32_e32 0x7f, v2
	s_cbranch_execz .LBB270_793
; %bb.790:                              ;   in Loop: Header=BB270_16 Depth=1
	v_and_b32_e32 v14, 7, v0
	v_lshrrev_b32_e32 v1, 3, v2
	s_mov_b32 s25, exec_lo
	v_cmpx_gt_u32_e32 8, v2
; %bb.791:                              ;   in Loop: Header=BB270_16 Depth=1
	s_delay_alu instid0(VALU_DEP_3) | instskip(NEXT) | instid1(VALU_DEP_1)
	v_clz_i32_u32_e32 v1, v14
	v_min_u32_e32 v1, 32, v1
	s_delay_alu instid0(VALU_DEP_1) | instskip(SKIP_1) | instid1(VALU_DEP_2)
	v_subrev_nc_u32_e32 v2, 28, v1
	v_sub_nc_u32_e32 v1, 29, v1
	v_lshlrev_b64 v[2:3], v2, v[14:15]
	s_delay_alu instid0(VALU_DEP_1)
	v_and_b32_e32 v14, 7, v2
; %bb.792:                              ;   in Loop: Header=BB270_16 Depth=1
	s_or_b32 exec_lo, exec_lo, s25
	v_lshlrev_b32_e32 v2, 24, v0
	s_delay_alu instid0(VALU_DEP_2) | instskip(SKIP_1) | instid1(VALU_DEP_3)
	v_lshlrev_b32_e32 v3, 20, v14
	v_lshl_add_u32 v1, v1, 23, 0x3c000000
	v_and_b32_e32 v2, 0x80000000, v2
	s_delay_alu instid0(VALU_DEP_1)
	v_or3_b32 v14, v3, v2, v1
	scratch_store_b64 off, v[14:15], s32 offset:1148 ; 8-byte Folded Spill
.LBB270_793:                            ;   in Loop: Header=BB270_16 Depth=1
	s_or_b32 exec_lo, exec_lo, s24
.LBB270_794:                            ;   in Loop: Header=BB270_16 Depth=1
	s_delay_alu instid0(SALU_CYCLE_1)
	s_or_b32 exec_lo, exec_lo, s23
.LBB270_795:                            ;   in Loop: Header=BB270_16 Depth=1
	s_delay_alu instid0(SALU_CYCLE_1) | instskip(SKIP_2) | instid1(VALU_DEP_1)
	s_or_b32 exec_lo, exec_lo, s2
	v_lshrrev_b16 v1, 8, v0
	s_mov_b32 s23, exec_lo
	v_cmpx_ne_u16_e32 0, v1
	s_cbranch_execz .LBB270_803
; %bb.796:                              ;   in Loop: Header=BB270_16 Depth=1
	v_dual_mov_b32 v2, s8 :: v_dual_mov_b32 v3, s9
	s_mov_b32 s24, exec_lo
	scratch_store_b64 off, v[2:3], s32 offset:1140 ; 8-byte Folded Spill
	v_cmpx_ne_u16_e32 0x80, v1
	s_cbranch_execz .LBB270_802
; %bb.797:                              ;   in Loop: Header=BB270_16 Depth=1
	s_mov_b32 s2, s8
	v_dual_mov_b32 v4, s3 :: v_dual_and_b32 v1, 0xffff, v1
	v_mov_b32_e32 v3, s2
	s_mov_b32 s2, exec_lo
	s_delay_alu instid0(VALU_DEP_2)
	v_and_b32_e32 v2, 0x7f, v1
	scratch_store_b64 off, v[3:4], s32 offset:1140 ; 8-byte Folded Spill
	v_cmpx_ne_u32_e32 0x7f, v2
	s_cbranch_execz .LBB270_801
; %bb.798:                              ;   in Loop: Header=BB270_16 Depth=1
	v_and_b32_e32 v14, 7, v1
	v_lshrrev_b32_e32 v1, 3, v2
	s_mov_b32 s25, exec_lo
	v_cmpx_gt_u32_e32 8, v2
; %bb.799:                              ;   in Loop: Header=BB270_16 Depth=1
	s_delay_alu instid0(VALU_DEP_3) | instskip(NEXT) | instid1(VALU_DEP_1)
	v_clz_i32_u32_e32 v1, v14
	v_min_u32_e32 v1, 32, v1
	s_delay_alu instid0(VALU_DEP_1) | instskip(SKIP_1) | instid1(VALU_DEP_2)
	v_subrev_nc_u32_e32 v2, 28, v1
	v_sub_nc_u32_e32 v1, 29, v1
	v_lshlrev_b64 v[2:3], v2, v[14:15]
	s_delay_alu instid0(VALU_DEP_1)
	v_and_b32_e32 v14, 7, v2
; %bb.800:                              ;   in Loop: Header=BB270_16 Depth=1
	s_or_b32 exec_lo, exec_lo, s25
	v_lshlrev_b32_e32 v2, 16, v0
	s_delay_alu instid0(VALU_DEP_2) | instskip(SKIP_1) | instid1(VALU_DEP_3)
	v_lshlrev_b32_e32 v3, 20, v14
	v_lshl_add_u32 v1, v1, 23, 0x3c000000
	v_and_b32_e32 v2, 0x80000000, v2
	s_delay_alu instid0(VALU_DEP_1)
	v_or3_b32 v2, v3, v2, v1
	v_mov_b32_e32 v1, v15
	scratch_store_b64 off, v[1:2], s32 offset:1140 ; 8-byte Folded Spill
.LBB270_801:                            ;   in Loop: Header=BB270_16 Depth=1
	s_or_b32 exec_lo, exec_lo, s2
.LBB270_802:                            ;   in Loop: Header=BB270_16 Depth=1
	s_delay_alu instid0(SALU_CYCLE_1)
	s_or_b32 exec_lo, exec_lo, s24
.LBB270_803:                            ;   in Loop: Header=BB270_16 Depth=1
	s_delay_alu instid0(SALU_CYCLE_1)
	s_or_b32 exec_lo, exec_lo, s23
	v_lshrrev_b32_e32 v1, 16, v0
	v_mov_b32_e32 v3, 0
	v_mov_b32_e32 v4, 0
	s_mov_b32 s2, exec_lo
	s_clause 0x1
	scratch_store_b64 off, v[3:4], s32 offset:1156
	scratch_store_b64 off, v[3:4], s32 offset:1164
	v_and_b32_e32 v2, 0xff, v1
	s_delay_alu instid0(VALU_DEP_1)
	v_cmpx_ne_u16_e32 0, v2
	s_cbranch_execz .LBB270_811
; %bb.804:                              ;   in Loop: Header=BB270_16 Depth=1
	v_cmp_ne_u16_e64 s1, 0x80, v2
	v_bfrev_b32_e32 v2, 1
	v_mov_b32_e32 v3, 0
	scratch_store_b64 off, v[2:3], s32 offset:1164 ; 8-byte Folded Spill
	s_and_saveexec_b32 s23, s1
	s_cbranch_execz .LBB270_810
; %bb.805:                              ;   in Loop: Header=BB270_16 Depth=1
	v_mov_b32_e32 v4, 0x7f800001
	v_bfe_u32 v3, v0, 16, 7
	v_mov_b32_e32 v5, 0
	s_mov_b32 s24, exec_lo
	scratch_store_b64 off, v[4:5], s32 offset:1164 ; 8-byte Folded Spill
	v_cmpx_ne_u32_e32 0x7f, v3
	s_cbranch_execz .LBB270_809
; %bb.806:                              ;   in Loop: Header=BB270_16 Depth=1
	v_and_b32_e32 v14, 7, v1
	v_lshrrev_b32_e32 v2, 3, v3
	s_mov_b32 s25, exec_lo
	v_cmpx_gt_u32_e32 8, v3
; %bb.807:                              ;   in Loop: Header=BB270_16 Depth=1
	s_delay_alu instid0(VALU_DEP_3) | instskip(NEXT) | instid1(VALU_DEP_1)
	v_clz_i32_u32_e32 v2, v14
	v_min_u32_e32 v2, 32, v2
	s_delay_alu instid0(VALU_DEP_1) | instskip(SKIP_1) | instid1(VALU_DEP_2)
	v_subrev_nc_u32_e32 v3, 28, v2
	v_sub_nc_u32_e32 v2, 29, v2
	v_lshlrev_b64 v[3:4], v3, v[14:15]
	s_delay_alu instid0(VALU_DEP_1)
	v_and_b32_e32 v14, 7, v3
; %bb.808:                              ;   in Loop: Header=BB270_16 Depth=1
	s_or_b32 exec_lo, exec_lo, s25
	v_lshlrev_b32_e32 v1, 24, v1
	s_delay_alu instid0(VALU_DEP_2) | instskip(SKIP_1) | instid1(VALU_DEP_3)
	v_lshlrev_b32_e32 v3, 20, v14
	v_lshl_add_u32 v2, v2, 23, 0x3c000000
	v_and_b32_e32 v1, 0x80000000, v1
	s_delay_alu instid0(VALU_DEP_1)
	v_or3_b32 v14, v3, v1, v2
	scratch_store_b64 off, v[14:15], s32 offset:1164 ; 8-byte Folded Spill
.LBB270_809:                            ;   in Loop: Header=BB270_16 Depth=1
	s_or_b32 exec_lo, exec_lo, s24
.LBB270_810:                            ;   in Loop: Header=BB270_16 Depth=1
	s_delay_alu instid0(SALU_CYCLE_1)
	s_or_b32 exec_lo, exec_lo, s23
.LBB270_811:                            ;   in Loop: Header=BB270_16 Depth=1
	s_delay_alu instid0(SALU_CYCLE_1) | instskip(NEXT) | instid1(SALU_CYCLE_1)
	s_or_b32 exec_lo, exec_lo, s2
	s_mov_b32 s23, exec_lo
	v_cmpx_lt_u32_e32 0xffffff, v0
	s_cbranch_execz .LBB270_819
; %bb.812:                              ;   in Loop: Header=BB270_16 Depth=1
	v_lshrrev_b32_e32 v1, 24, v0
	v_dual_mov_b32 v2, s8 :: v_dual_mov_b32 v3, s9
	s_mov_b32 s24, exec_lo
	scratch_store_b64 off, v[2:3], s32 offset:1156 ; 8-byte Folded Spill
	v_cmpx_ne_u32_e32 0x80, v1
	s_cbranch_execz .LBB270_818
; %bb.813:                              ;   in Loop: Header=BB270_16 Depth=1
	s_mov_b32 s2, s8
	v_bfe_u32 v2, v0, 24, 7
	v_dual_mov_b32 v4, s3 :: v_dual_mov_b32 v3, s2
	s_mov_b32 s2, exec_lo
	scratch_store_b64 off, v[3:4], s32 offset:1156 ; 8-byte Folded Spill
	v_cmpx_ne_u32_e32 0x7f, v2
	s_cbranch_execz .LBB270_817
; %bb.814:                              ;   in Loop: Header=BB270_16 Depth=1
	v_and_b32_e32 v14, 7, v1
	v_lshrrev_b32_e32 v0, 3, v2
	s_mov_b32 s25, exec_lo
	v_cmpx_gt_u32_e32 8, v2
; %bb.815:                              ;   in Loop: Header=BB270_16 Depth=1
	s_delay_alu instid0(VALU_DEP_3) | instskip(NEXT) | instid1(VALU_DEP_1)
	v_clz_i32_u32_e32 v0, v14
	v_min_u32_e32 v0, 32, v0
	s_delay_alu instid0(VALU_DEP_1) | instskip(SKIP_1) | instid1(VALU_DEP_2)
	v_subrev_nc_u32_e32 v2, 28, v0
	v_sub_nc_u32_e32 v0, 29, v0
	v_lshlrev_b64 v[2:3], v2, v[14:15]
	s_delay_alu instid0(VALU_DEP_1)
	v_and_b32_e32 v14, 7, v2
; %bb.816:                              ;   in Loop: Header=BB270_16 Depth=1
	s_or_b32 exec_lo, exec_lo, s25
	v_lshlrev_b32_e32 v1, 24, v1
	s_delay_alu instid0(VALU_DEP_2) | instskip(SKIP_1) | instid1(VALU_DEP_3)
	v_lshlrev_b32_e32 v2, 20, v14
	v_lshl_add_u32 v0, v0, 23, 0x3c000000
	v_and_b32_e32 v1, 0x80000000, v1
	s_delay_alu instid0(VALU_DEP_1)
	v_or3_b32 v1, v2, v1, v0
	v_mov_b32_e32 v0, v15
	scratch_store_b64 off, v[0:1], s32 offset:1156 ; 8-byte Folded Spill
.LBB270_817:                            ;   in Loop: Header=BB270_16 Depth=1
	s_or_b32 exec_lo, exec_lo, s2
.LBB270_818:                            ;   in Loop: Header=BB270_16 Depth=1
	s_delay_alu instid0(SALU_CYCLE_1)
	s_or_b32 exec_lo, exec_lo, s24
.LBB270_819:                            ;   in Loop: Header=BB270_16 Depth=1
	s_delay_alu instid0(SALU_CYCLE_1)
	s_or_b32 exec_lo, exec_lo, s23
	flat_load_b32 v0, v[52:53] offset:3076
	v_mov_b32_e32 v2, 0
	v_mov_b32_e32 v3, 0
	s_mov_b32 s2, exec_lo
	s_clause 0x1
	scratch_store_b64 off, v[2:3], s32 offset:1172
	scratch_store_b64 off, v[2:3], s32 offset:1180
	s_waitcnt vmcnt(0) lgkmcnt(0)
	v_and_b32_e32 v1, 0xff, v0
	s_delay_alu instid0(VALU_DEP_1)
	v_cmpx_ne_u16_e32 0, v1
	s_cbranch_execz .LBB270_827
; %bb.820:                              ;   in Loop: Header=BB270_16 Depth=1
	v_cmp_ne_u16_e64 s1, 0x80, v1
	v_bfrev_b32_e32 v1, 1
	v_mov_b32_e32 v2, 0
	scratch_store_b64 off, v[1:2], s32 offset:1180 ; 8-byte Folded Spill
	s_and_saveexec_b32 s23, s1
	s_cbranch_execz .LBB270_826
; %bb.821:                              ;   in Loop: Header=BB270_16 Depth=1
	v_mov_b32_e32 v3, 0x7f800001
	v_and_b32_e32 v2, 0x7f, v0
	v_mov_b32_e32 v4, 0
	s_mov_b32 s24, exec_lo
	scratch_store_b64 off, v[3:4], s32 offset:1180 ; 8-byte Folded Spill
	v_cmpx_ne_u32_e32 0x7f, v2
	s_cbranch_execz .LBB270_825
; %bb.822:                              ;   in Loop: Header=BB270_16 Depth=1
	v_and_b32_e32 v14, 7, v0
	v_lshrrev_b32_e32 v1, 3, v2
	s_mov_b32 s25, exec_lo
	v_cmpx_gt_u32_e32 8, v2
; %bb.823:                              ;   in Loop: Header=BB270_16 Depth=1
	s_delay_alu instid0(VALU_DEP_3) | instskip(NEXT) | instid1(VALU_DEP_1)
	v_clz_i32_u32_e32 v1, v14
	v_min_u32_e32 v1, 32, v1
	s_delay_alu instid0(VALU_DEP_1) | instskip(SKIP_1) | instid1(VALU_DEP_2)
	v_subrev_nc_u32_e32 v2, 28, v1
	v_sub_nc_u32_e32 v1, 29, v1
	v_lshlrev_b64 v[2:3], v2, v[14:15]
	s_delay_alu instid0(VALU_DEP_1)
	v_and_b32_e32 v14, 7, v2
; %bb.824:                              ;   in Loop: Header=BB270_16 Depth=1
	s_or_b32 exec_lo, exec_lo, s25
	v_lshlrev_b32_e32 v2, 24, v0
	s_delay_alu instid0(VALU_DEP_2) | instskip(SKIP_1) | instid1(VALU_DEP_3)
	v_lshlrev_b32_e32 v3, 20, v14
	v_lshl_add_u32 v1, v1, 23, 0x3c000000
	v_and_b32_e32 v2, 0x80000000, v2
	s_delay_alu instid0(VALU_DEP_1)
	v_or3_b32 v14, v3, v2, v1
	scratch_store_b64 off, v[14:15], s32 offset:1180 ; 8-byte Folded Spill
.LBB270_825:                            ;   in Loop: Header=BB270_16 Depth=1
	s_or_b32 exec_lo, exec_lo, s24
.LBB270_826:                            ;   in Loop: Header=BB270_16 Depth=1
	s_delay_alu instid0(SALU_CYCLE_1)
	s_or_b32 exec_lo, exec_lo, s23
.LBB270_827:                            ;   in Loop: Header=BB270_16 Depth=1
	s_delay_alu instid0(SALU_CYCLE_1) | instskip(SKIP_2) | instid1(VALU_DEP_1)
	s_or_b32 exec_lo, exec_lo, s2
	v_lshrrev_b16 v1, 8, v0
	s_mov_b32 s23, exec_lo
	v_cmpx_ne_u16_e32 0, v1
	s_cbranch_execz .LBB270_835
; %bb.828:                              ;   in Loop: Header=BB270_16 Depth=1
	v_dual_mov_b32 v2, s8 :: v_dual_mov_b32 v3, s9
	s_mov_b32 s24, exec_lo
	scratch_store_b64 off, v[2:3], s32 offset:1172 ; 8-byte Folded Spill
	v_cmpx_ne_u16_e32 0x80, v1
	s_cbranch_execz .LBB270_834
; %bb.829:                              ;   in Loop: Header=BB270_16 Depth=1
	s_mov_b32 s2, s8
	v_dual_mov_b32 v4, s3 :: v_dual_and_b32 v1, 0xffff, v1
	v_mov_b32_e32 v3, s2
	s_mov_b32 s2, exec_lo
	s_delay_alu instid0(VALU_DEP_2)
	v_and_b32_e32 v2, 0x7f, v1
	scratch_store_b64 off, v[3:4], s32 offset:1172 ; 8-byte Folded Spill
	v_cmpx_ne_u32_e32 0x7f, v2
	s_cbranch_execz .LBB270_833
; %bb.830:                              ;   in Loop: Header=BB270_16 Depth=1
	v_and_b32_e32 v14, 7, v1
	v_lshrrev_b32_e32 v1, 3, v2
	s_mov_b32 s25, exec_lo
	v_cmpx_gt_u32_e32 8, v2
; %bb.831:                              ;   in Loop: Header=BB270_16 Depth=1
	s_delay_alu instid0(VALU_DEP_3) | instskip(NEXT) | instid1(VALU_DEP_1)
	v_clz_i32_u32_e32 v1, v14
	v_min_u32_e32 v1, 32, v1
	s_delay_alu instid0(VALU_DEP_1) | instskip(SKIP_1) | instid1(VALU_DEP_2)
	v_subrev_nc_u32_e32 v2, 28, v1
	v_sub_nc_u32_e32 v1, 29, v1
	v_lshlrev_b64 v[2:3], v2, v[14:15]
	s_delay_alu instid0(VALU_DEP_1)
	v_and_b32_e32 v14, 7, v2
; %bb.832:                              ;   in Loop: Header=BB270_16 Depth=1
	s_or_b32 exec_lo, exec_lo, s25
	v_lshlrev_b32_e32 v2, 16, v0
	s_delay_alu instid0(VALU_DEP_2) | instskip(SKIP_1) | instid1(VALU_DEP_3)
	v_lshlrev_b32_e32 v3, 20, v14
	v_lshl_add_u32 v1, v1, 23, 0x3c000000
	v_and_b32_e32 v2, 0x80000000, v2
	s_delay_alu instid0(VALU_DEP_1)
	v_or3_b32 v2, v3, v2, v1
	v_mov_b32_e32 v1, v15
	scratch_store_b64 off, v[1:2], s32 offset:1172 ; 8-byte Folded Spill
.LBB270_833:                            ;   in Loop: Header=BB270_16 Depth=1
	s_or_b32 exec_lo, exec_lo, s2
.LBB270_834:                            ;   in Loop: Header=BB270_16 Depth=1
	s_delay_alu instid0(SALU_CYCLE_1)
	s_or_b32 exec_lo, exec_lo, s24
.LBB270_835:                            ;   in Loop: Header=BB270_16 Depth=1
	s_delay_alu instid0(SALU_CYCLE_1)
	s_or_b32 exec_lo, exec_lo, s23
	v_lshrrev_b32_e32 v1, 16, v0
	v_mov_b32_e32 v3, 0
	v_mov_b32_e32 v4, 0
	s_mov_b32 s2, exec_lo
	s_clause 0x1
	scratch_store_b64 off, v[3:4], s32 offset:1188
	scratch_store_b64 off, v[3:4], s32 offset:1196
	v_and_b32_e32 v2, 0xff, v1
	s_delay_alu instid0(VALU_DEP_1)
	v_cmpx_ne_u16_e32 0, v2
	s_cbranch_execz .LBB270_843
; %bb.836:                              ;   in Loop: Header=BB270_16 Depth=1
	v_cmp_ne_u16_e64 s1, 0x80, v2
	v_bfrev_b32_e32 v2, 1
	v_mov_b32_e32 v3, 0
	scratch_store_b64 off, v[2:3], s32 offset:1196 ; 8-byte Folded Spill
	s_and_saveexec_b32 s23, s1
	s_cbranch_execz .LBB270_842
; %bb.837:                              ;   in Loop: Header=BB270_16 Depth=1
	v_mov_b32_e32 v4, 0x7f800001
	v_bfe_u32 v3, v0, 16, 7
	v_mov_b32_e32 v5, 0
	s_mov_b32 s24, exec_lo
	scratch_store_b64 off, v[4:5], s32 offset:1196 ; 8-byte Folded Spill
	v_cmpx_ne_u32_e32 0x7f, v3
	s_cbranch_execz .LBB270_841
; %bb.838:                              ;   in Loop: Header=BB270_16 Depth=1
	v_and_b32_e32 v14, 7, v1
	v_lshrrev_b32_e32 v2, 3, v3
	s_mov_b32 s25, exec_lo
	v_cmpx_gt_u32_e32 8, v3
; %bb.839:                              ;   in Loop: Header=BB270_16 Depth=1
	s_delay_alu instid0(VALU_DEP_3) | instskip(NEXT) | instid1(VALU_DEP_1)
	v_clz_i32_u32_e32 v2, v14
	v_min_u32_e32 v2, 32, v2
	s_delay_alu instid0(VALU_DEP_1) | instskip(SKIP_1) | instid1(VALU_DEP_2)
	v_subrev_nc_u32_e32 v3, 28, v2
	v_sub_nc_u32_e32 v2, 29, v2
	v_lshlrev_b64 v[3:4], v3, v[14:15]
	s_delay_alu instid0(VALU_DEP_1)
	v_and_b32_e32 v14, 7, v3
; %bb.840:                              ;   in Loop: Header=BB270_16 Depth=1
	s_or_b32 exec_lo, exec_lo, s25
	v_lshlrev_b32_e32 v1, 24, v1
	s_delay_alu instid0(VALU_DEP_2) | instskip(SKIP_1) | instid1(VALU_DEP_3)
	v_lshlrev_b32_e32 v3, 20, v14
	v_lshl_add_u32 v2, v2, 23, 0x3c000000
	v_and_b32_e32 v1, 0x80000000, v1
	s_delay_alu instid0(VALU_DEP_1)
	v_or3_b32 v14, v3, v1, v2
	scratch_store_b64 off, v[14:15], s32 offset:1196 ; 8-byte Folded Spill
.LBB270_841:                            ;   in Loop: Header=BB270_16 Depth=1
	s_or_b32 exec_lo, exec_lo, s24
.LBB270_842:                            ;   in Loop: Header=BB270_16 Depth=1
	s_delay_alu instid0(SALU_CYCLE_1)
	s_or_b32 exec_lo, exec_lo, s23
.LBB270_843:                            ;   in Loop: Header=BB270_16 Depth=1
	s_delay_alu instid0(SALU_CYCLE_1) | instskip(NEXT) | instid1(SALU_CYCLE_1)
	s_or_b32 exec_lo, exec_lo, s2
	s_mov_b32 s23, exec_lo
	v_cmpx_lt_u32_e32 0xffffff, v0
	s_cbranch_execz .LBB270_851
; %bb.844:                              ;   in Loop: Header=BB270_16 Depth=1
	v_lshrrev_b32_e32 v1, 24, v0
	v_dual_mov_b32 v2, s8 :: v_dual_mov_b32 v3, s9
	s_mov_b32 s24, exec_lo
	scratch_store_b64 off, v[2:3], s32 offset:1188 ; 8-byte Folded Spill
	v_cmpx_ne_u32_e32 0x80, v1
	s_cbranch_execz .LBB270_850
; %bb.845:                              ;   in Loop: Header=BB270_16 Depth=1
	s_mov_b32 s2, s8
	v_bfe_u32 v2, v0, 24, 7
	v_dual_mov_b32 v4, s3 :: v_dual_mov_b32 v3, s2
	s_mov_b32 s2, exec_lo
	scratch_store_b64 off, v[3:4], s32 offset:1188 ; 8-byte Folded Spill
	v_cmpx_ne_u32_e32 0x7f, v2
	s_cbranch_execz .LBB270_849
; %bb.846:                              ;   in Loop: Header=BB270_16 Depth=1
	v_and_b32_e32 v14, 7, v1
	v_lshrrev_b32_e32 v0, 3, v2
	s_mov_b32 s25, exec_lo
	v_cmpx_gt_u32_e32 8, v2
; %bb.847:                              ;   in Loop: Header=BB270_16 Depth=1
	s_delay_alu instid0(VALU_DEP_3) | instskip(NEXT) | instid1(VALU_DEP_1)
	v_clz_i32_u32_e32 v0, v14
	v_min_u32_e32 v0, 32, v0
	s_delay_alu instid0(VALU_DEP_1) | instskip(SKIP_1) | instid1(VALU_DEP_2)
	v_subrev_nc_u32_e32 v2, 28, v0
	v_sub_nc_u32_e32 v0, 29, v0
	v_lshlrev_b64 v[2:3], v2, v[14:15]
	s_delay_alu instid0(VALU_DEP_1)
	v_and_b32_e32 v14, 7, v2
; %bb.848:                              ;   in Loop: Header=BB270_16 Depth=1
	s_or_b32 exec_lo, exec_lo, s25
	v_lshlrev_b32_e32 v1, 24, v1
	s_delay_alu instid0(VALU_DEP_2) | instskip(SKIP_1) | instid1(VALU_DEP_3)
	v_lshlrev_b32_e32 v2, 20, v14
	v_lshl_add_u32 v0, v0, 23, 0x3c000000
	v_and_b32_e32 v1, 0x80000000, v1
	s_delay_alu instid0(VALU_DEP_1)
	v_or3_b32 v1, v2, v1, v0
	v_mov_b32_e32 v0, v15
	scratch_store_b64 off, v[0:1], s32 offset:1188 ; 8-byte Folded Spill
.LBB270_849:                            ;   in Loop: Header=BB270_16 Depth=1
	s_or_b32 exec_lo, exec_lo, s2
.LBB270_850:                            ;   in Loop: Header=BB270_16 Depth=1
	s_delay_alu instid0(SALU_CYCLE_1)
	s_or_b32 exec_lo, exec_lo, s24
.LBB270_851:                            ;   in Loop: Header=BB270_16 Depth=1
	s_delay_alu instid0(SALU_CYCLE_1)
	s_or_b32 exec_lo, exec_lo, s23
	flat_load_b32 v0, v[52:53] offset:3080
	v_mov_b32_e32 v2, 0
	v_mov_b32_e32 v3, 0
	s_mov_b32 s2, exec_lo
	s_clause 0x1
	scratch_store_b64 off, v[2:3], s32 offset:1204
	scratch_store_b64 off, v[2:3], s32 offset:1212
	s_waitcnt vmcnt(0) lgkmcnt(0)
	v_and_b32_e32 v1, 0xff, v0
	s_delay_alu instid0(VALU_DEP_1)
	v_cmpx_ne_u16_e32 0, v1
	s_cbranch_execz .LBB270_859
; %bb.852:                              ;   in Loop: Header=BB270_16 Depth=1
	v_cmp_ne_u16_e64 s1, 0x80, v1
	v_bfrev_b32_e32 v1, 1
	v_mov_b32_e32 v2, 0
	scratch_store_b64 off, v[1:2], s32 offset:1212 ; 8-byte Folded Spill
	s_and_saveexec_b32 s23, s1
	s_cbranch_execz .LBB270_858
; %bb.853:                              ;   in Loop: Header=BB270_16 Depth=1
	v_mov_b32_e32 v3, 0x7f800001
	v_and_b32_e32 v2, 0x7f, v0
	v_mov_b32_e32 v4, 0
	s_mov_b32 s24, exec_lo
	scratch_store_b64 off, v[3:4], s32 offset:1212 ; 8-byte Folded Spill
	v_cmpx_ne_u32_e32 0x7f, v2
	s_cbranch_execz .LBB270_857
; %bb.854:                              ;   in Loop: Header=BB270_16 Depth=1
	v_and_b32_e32 v14, 7, v0
	v_lshrrev_b32_e32 v1, 3, v2
	s_mov_b32 s25, exec_lo
	v_cmpx_gt_u32_e32 8, v2
; %bb.855:                              ;   in Loop: Header=BB270_16 Depth=1
	s_delay_alu instid0(VALU_DEP_3) | instskip(NEXT) | instid1(VALU_DEP_1)
	v_clz_i32_u32_e32 v1, v14
	v_min_u32_e32 v1, 32, v1
	s_delay_alu instid0(VALU_DEP_1) | instskip(SKIP_1) | instid1(VALU_DEP_2)
	v_subrev_nc_u32_e32 v2, 28, v1
	v_sub_nc_u32_e32 v1, 29, v1
	v_lshlrev_b64 v[2:3], v2, v[14:15]
	s_delay_alu instid0(VALU_DEP_1)
	v_and_b32_e32 v14, 7, v2
; %bb.856:                              ;   in Loop: Header=BB270_16 Depth=1
	s_or_b32 exec_lo, exec_lo, s25
	v_lshlrev_b32_e32 v2, 24, v0
	s_delay_alu instid0(VALU_DEP_2) | instskip(SKIP_1) | instid1(VALU_DEP_3)
	v_lshlrev_b32_e32 v3, 20, v14
	v_lshl_add_u32 v1, v1, 23, 0x3c000000
	v_and_b32_e32 v2, 0x80000000, v2
	s_delay_alu instid0(VALU_DEP_1)
	v_or3_b32 v14, v3, v2, v1
	scratch_store_b64 off, v[14:15], s32 offset:1212 ; 8-byte Folded Spill
.LBB270_857:                            ;   in Loop: Header=BB270_16 Depth=1
	s_or_b32 exec_lo, exec_lo, s24
.LBB270_858:                            ;   in Loop: Header=BB270_16 Depth=1
	s_delay_alu instid0(SALU_CYCLE_1)
	s_or_b32 exec_lo, exec_lo, s23
.LBB270_859:                            ;   in Loop: Header=BB270_16 Depth=1
	s_delay_alu instid0(SALU_CYCLE_1) | instskip(SKIP_2) | instid1(VALU_DEP_1)
	s_or_b32 exec_lo, exec_lo, s2
	v_lshrrev_b16 v1, 8, v0
	s_mov_b32 s23, exec_lo
	v_cmpx_ne_u16_e32 0, v1
	s_cbranch_execz .LBB270_867
; %bb.860:                              ;   in Loop: Header=BB270_16 Depth=1
	v_dual_mov_b32 v2, s8 :: v_dual_mov_b32 v3, s9
	s_mov_b32 s24, exec_lo
	scratch_store_b64 off, v[2:3], s32 offset:1204 ; 8-byte Folded Spill
	v_cmpx_ne_u16_e32 0x80, v1
	s_cbranch_execz .LBB270_866
; %bb.861:                              ;   in Loop: Header=BB270_16 Depth=1
	s_mov_b32 s2, s8
	v_dual_mov_b32 v4, s3 :: v_dual_and_b32 v1, 0xffff, v1
	v_mov_b32_e32 v3, s2
	s_mov_b32 s2, exec_lo
	s_delay_alu instid0(VALU_DEP_2)
	v_and_b32_e32 v2, 0x7f, v1
	scratch_store_b64 off, v[3:4], s32 offset:1204 ; 8-byte Folded Spill
	v_cmpx_ne_u32_e32 0x7f, v2
	s_cbranch_execz .LBB270_865
; %bb.862:                              ;   in Loop: Header=BB270_16 Depth=1
	v_and_b32_e32 v14, 7, v1
	v_lshrrev_b32_e32 v1, 3, v2
	s_mov_b32 s25, exec_lo
	v_cmpx_gt_u32_e32 8, v2
; %bb.863:                              ;   in Loop: Header=BB270_16 Depth=1
	s_delay_alu instid0(VALU_DEP_3) | instskip(NEXT) | instid1(VALU_DEP_1)
	v_clz_i32_u32_e32 v1, v14
	v_min_u32_e32 v1, 32, v1
	s_delay_alu instid0(VALU_DEP_1) | instskip(SKIP_1) | instid1(VALU_DEP_2)
	v_subrev_nc_u32_e32 v2, 28, v1
	v_sub_nc_u32_e32 v1, 29, v1
	v_lshlrev_b64 v[2:3], v2, v[14:15]
	s_delay_alu instid0(VALU_DEP_1)
	v_and_b32_e32 v14, 7, v2
; %bb.864:                              ;   in Loop: Header=BB270_16 Depth=1
	s_or_b32 exec_lo, exec_lo, s25
	v_lshlrev_b32_e32 v2, 16, v0
	s_delay_alu instid0(VALU_DEP_2) | instskip(SKIP_1) | instid1(VALU_DEP_3)
	v_lshlrev_b32_e32 v3, 20, v14
	v_lshl_add_u32 v1, v1, 23, 0x3c000000
	v_and_b32_e32 v2, 0x80000000, v2
	s_delay_alu instid0(VALU_DEP_1)
	v_or3_b32 v2, v3, v2, v1
	v_mov_b32_e32 v1, v15
	scratch_store_b64 off, v[1:2], s32 offset:1204 ; 8-byte Folded Spill
.LBB270_865:                            ;   in Loop: Header=BB270_16 Depth=1
	s_or_b32 exec_lo, exec_lo, s2
.LBB270_866:                            ;   in Loop: Header=BB270_16 Depth=1
	s_delay_alu instid0(SALU_CYCLE_1)
	s_or_b32 exec_lo, exec_lo, s24
.LBB270_867:                            ;   in Loop: Header=BB270_16 Depth=1
	s_delay_alu instid0(SALU_CYCLE_1)
	s_or_b32 exec_lo, exec_lo, s23
	v_lshrrev_b32_e32 v1, 16, v0
	v_mov_b32_e32 v3, 0
	v_mov_b32_e32 v4, 0
	s_mov_b32 s2, exec_lo
	s_clause 0x1
	scratch_store_b64 off, v[3:4], s32 offset:1220
	scratch_store_b64 off, v[3:4], s32 offset:1228
	v_and_b32_e32 v2, 0xff, v1
	s_delay_alu instid0(VALU_DEP_1)
	v_cmpx_ne_u16_e32 0, v2
	s_cbranch_execz .LBB270_875
; %bb.868:                              ;   in Loop: Header=BB270_16 Depth=1
	v_cmp_ne_u16_e64 s1, 0x80, v2
	v_bfrev_b32_e32 v2, 1
	v_mov_b32_e32 v3, 0
	scratch_store_b64 off, v[2:3], s32 offset:1228 ; 8-byte Folded Spill
	s_and_saveexec_b32 s23, s1
	s_cbranch_execz .LBB270_874
; %bb.869:                              ;   in Loop: Header=BB270_16 Depth=1
	v_mov_b32_e32 v4, 0x7f800001
	v_bfe_u32 v3, v0, 16, 7
	v_mov_b32_e32 v5, 0
	s_mov_b32 s24, exec_lo
	scratch_store_b64 off, v[4:5], s32 offset:1228 ; 8-byte Folded Spill
	v_cmpx_ne_u32_e32 0x7f, v3
	s_cbranch_execz .LBB270_873
; %bb.870:                              ;   in Loop: Header=BB270_16 Depth=1
	v_and_b32_e32 v14, 7, v1
	v_lshrrev_b32_e32 v2, 3, v3
	s_mov_b32 s25, exec_lo
	v_cmpx_gt_u32_e32 8, v3
; %bb.871:                              ;   in Loop: Header=BB270_16 Depth=1
	s_delay_alu instid0(VALU_DEP_3) | instskip(NEXT) | instid1(VALU_DEP_1)
	v_clz_i32_u32_e32 v2, v14
	v_min_u32_e32 v2, 32, v2
	s_delay_alu instid0(VALU_DEP_1) | instskip(SKIP_1) | instid1(VALU_DEP_2)
	v_subrev_nc_u32_e32 v3, 28, v2
	v_sub_nc_u32_e32 v2, 29, v2
	v_lshlrev_b64 v[3:4], v3, v[14:15]
	s_delay_alu instid0(VALU_DEP_1)
	v_and_b32_e32 v14, 7, v3
; %bb.872:                              ;   in Loop: Header=BB270_16 Depth=1
	s_or_b32 exec_lo, exec_lo, s25
	v_lshlrev_b32_e32 v1, 24, v1
	s_delay_alu instid0(VALU_DEP_2) | instskip(SKIP_1) | instid1(VALU_DEP_3)
	v_lshlrev_b32_e32 v3, 20, v14
	v_lshl_add_u32 v2, v2, 23, 0x3c000000
	v_and_b32_e32 v1, 0x80000000, v1
	s_delay_alu instid0(VALU_DEP_1)
	v_or3_b32 v14, v3, v1, v2
	scratch_store_b64 off, v[14:15], s32 offset:1228 ; 8-byte Folded Spill
.LBB270_873:                            ;   in Loop: Header=BB270_16 Depth=1
	s_or_b32 exec_lo, exec_lo, s24
.LBB270_874:                            ;   in Loop: Header=BB270_16 Depth=1
	s_delay_alu instid0(SALU_CYCLE_1)
	s_or_b32 exec_lo, exec_lo, s23
.LBB270_875:                            ;   in Loop: Header=BB270_16 Depth=1
	s_delay_alu instid0(SALU_CYCLE_1) | instskip(NEXT) | instid1(SALU_CYCLE_1)
	s_or_b32 exec_lo, exec_lo, s2
	s_mov_b32 s23, exec_lo
	v_cmpx_lt_u32_e32 0xffffff, v0
	s_cbranch_execz .LBB270_883
; %bb.876:                              ;   in Loop: Header=BB270_16 Depth=1
	v_lshrrev_b32_e32 v1, 24, v0
	v_dual_mov_b32 v2, s8 :: v_dual_mov_b32 v3, s9
	s_mov_b32 s24, exec_lo
	scratch_store_b64 off, v[2:3], s32 offset:1220 ; 8-byte Folded Spill
	v_cmpx_ne_u32_e32 0x80, v1
	s_cbranch_execz .LBB270_882
; %bb.877:                              ;   in Loop: Header=BB270_16 Depth=1
	s_mov_b32 s2, s8
	v_bfe_u32 v2, v0, 24, 7
	v_dual_mov_b32 v4, s3 :: v_dual_mov_b32 v3, s2
	s_mov_b32 s2, exec_lo
	scratch_store_b64 off, v[3:4], s32 offset:1220 ; 8-byte Folded Spill
	v_cmpx_ne_u32_e32 0x7f, v2
	s_cbranch_execz .LBB270_881
; %bb.878:                              ;   in Loop: Header=BB270_16 Depth=1
	v_and_b32_e32 v14, 7, v1
	v_lshrrev_b32_e32 v0, 3, v2
	s_mov_b32 s25, exec_lo
	v_cmpx_gt_u32_e32 8, v2
; %bb.879:                              ;   in Loop: Header=BB270_16 Depth=1
	s_delay_alu instid0(VALU_DEP_3) | instskip(NEXT) | instid1(VALU_DEP_1)
	v_clz_i32_u32_e32 v0, v14
	v_min_u32_e32 v0, 32, v0
	s_delay_alu instid0(VALU_DEP_1) | instskip(SKIP_1) | instid1(VALU_DEP_2)
	v_subrev_nc_u32_e32 v2, 28, v0
	v_sub_nc_u32_e32 v0, 29, v0
	v_lshlrev_b64 v[2:3], v2, v[14:15]
	s_delay_alu instid0(VALU_DEP_1)
	v_and_b32_e32 v14, 7, v2
; %bb.880:                              ;   in Loop: Header=BB270_16 Depth=1
	s_or_b32 exec_lo, exec_lo, s25
	v_lshlrev_b32_e32 v1, 24, v1
	s_delay_alu instid0(VALU_DEP_2) | instskip(SKIP_1) | instid1(VALU_DEP_3)
	v_lshlrev_b32_e32 v2, 20, v14
	v_lshl_add_u32 v0, v0, 23, 0x3c000000
	v_and_b32_e32 v1, 0x80000000, v1
	s_delay_alu instid0(VALU_DEP_1)
	v_or3_b32 v1, v2, v1, v0
	v_mov_b32_e32 v0, v15
	scratch_store_b64 off, v[0:1], s32 offset:1220 ; 8-byte Folded Spill
.LBB270_881:                            ;   in Loop: Header=BB270_16 Depth=1
	s_or_b32 exec_lo, exec_lo, s2
.LBB270_882:                            ;   in Loop: Header=BB270_16 Depth=1
	s_delay_alu instid0(SALU_CYCLE_1)
	s_or_b32 exec_lo, exec_lo, s24
.LBB270_883:                            ;   in Loop: Header=BB270_16 Depth=1
	s_delay_alu instid0(SALU_CYCLE_1)
	s_or_b32 exec_lo, exec_lo, s23
	flat_load_b32 v0, v[52:53] offset:3084
	v_mov_b32_e32 v2, 0
	v_mov_b32_e32 v3, 0
	s_mov_b32 s2, exec_lo
	s_clause 0x1
	scratch_store_b64 off, v[2:3], s32 offset:1236
	scratch_store_b64 off, v[2:3], s32 offset:1244
	s_waitcnt vmcnt(0) lgkmcnt(0)
	v_and_b32_e32 v1, 0xff, v0
	s_delay_alu instid0(VALU_DEP_1)
	v_cmpx_ne_u16_e32 0, v1
	s_cbranch_execz .LBB270_891
; %bb.884:                              ;   in Loop: Header=BB270_16 Depth=1
	v_cmp_ne_u16_e64 s1, 0x80, v1
	v_bfrev_b32_e32 v1, 1
	v_mov_b32_e32 v2, 0
	scratch_store_b64 off, v[1:2], s32 offset:1244 ; 8-byte Folded Spill
	s_and_saveexec_b32 s23, s1
	s_cbranch_execz .LBB270_890
; %bb.885:                              ;   in Loop: Header=BB270_16 Depth=1
	v_mov_b32_e32 v3, 0x7f800001
	v_and_b32_e32 v2, 0x7f, v0
	v_mov_b32_e32 v4, 0
	s_mov_b32 s24, exec_lo
	scratch_store_b64 off, v[3:4], s32 offset:1244 ; 8-byte Folded Spill
	v_cmpx_ne_u32_e32 0x7f, v2
	s_cbranch_execz .LBB270_889
; %bb.886:                              ;   in Loop: Header=BB270_16 Depth=1
	v_and_b32_e32 v14, 7, v0
	v_lshrrev_b32_e32 v1, 3, v2
	s_mov_b32 s25, exec_lo
	v_cmpx_gt_u32_e32 8, v2
; %bb.887:                              ;   in Loop: Header=BB270_16 Depth=1
	s_delay_alu instid0(VALU_DEP_3) | instskip(NEXT) | instid1(VALU_DEP_1)
	v_clz_i32_u32_e32 v1, v14
	v_min_u32_e32 v1, 32, v1
	s_delay_alu instid0(VALU_DEP_1) | instskip(SKIP_1) | instid1(VALU_DEP_2)
	v_subrev_nc_u32_e32 v2, 28, v1
	v_sub_nc_u32_e32 v1, 29, v1
	v_lshlrev_b64 v[2:3], v2, v[14:15]
	s_delay_alu instid0(VALU_DEP_1)
	v_and_b32_e32 v14, 7, v2
; %bb.888:                              ;   in Loop: Header=BB270_16 Depth=1
	s_or_b32 exec_lo, exec_lo, s25
	v_lshlrev_b32_e32 v2, 24, v0
	s_delay_alu instid0(VALU_DEP_2) | instskip(SKIP_1) | instid1(VALU_DEP_3)
	v_lshlrev_b32_e32 v3, 20, v14
	v_lshl_add_u32 v1, v1, 23, 0x3c000000
	v_and_b32_e32 v2, 0x80000000, v2
	s_delay_alu instid0(VALU_DEP_1)
	v_or3_b32 v14, v3, v2, v1
	scratch_store_b64 off, v[14:15], s32 offset:1244 ; 8-byte Folded Spill
.LBB270_889:                            ;   in Loop: Header=BB270_16 Depth=1
	s_or_b32 exec_lo, exec_lo, s24
.LBB270_890:                            ;   in Loop: Header=BB270_16 Depth=1
	s_delay_alu instid0(SALU_CYCLE_1)
	s_or_b32 exec_lo, exec_lo, s23
.LBB270_891:                            ;   in Loop: Header=BB270_16 Depth=1
	s_delay_alu instid0(SALU_CYCLE_1) | instskip(SKIP_2) | instid1(VALU_DEP_1)
	s_or_b32 exec_lo, exec_lo, s2
	v_lshrrev_b16 v1, 8, v0
	s_mov_b32 s23, exec_lo
	v_cmpx_ne_u16_e32 0, v1
	s_cbranch_execz .LBB270_899
; %bb.892:                              ;   in Loop: Header=BB270_16 Depth=1
	v_dual_mov_b32 v2, s8 :: v_dual_mov_b32 v3, s9
	s_mov_b32 s24, exec_lo
	scratch_store_b64 off, v[2:3], s32 offset:1236 ; 8-byte Folded Spill
	v_cmpx_ne_u16_e32 0x80, v1
	s_cbranch_execz .LBB270_898
; %bb.893:                              ;   in Loop: Header=BB270_16 Depth=1
	s_mov_b32 s2, s8
	v_dual_mov_b32 v4, s3 :: v_dual_and_b32 v1, 0xffff, v1
	v_mov_b32_e32 v3, s2
	s_mov_b32 s2, exec_lo
	s_delay_alu instid0(VALU_DEP_2)
	v_and_b32_e32 v2, 0x7f, v1
	scratch_store_b64 off, v[3:4], s32 offset:1236 ; 8-byte Folded Spill
	v_cmpx_ne_u32_e32 0x7f, v2
	s_cbranch_execz .LBB270_897
; %bb.894:                              ;   in Loop: Header=BB270_16 Depth=1
	v_and_b32_e32 v14, 7, v1
	v_lshrrev_b32_e32 v1, 3, v2
	s_mov_b32 s25, exec_lo
	v_cmpx_gt_u32_e32 8, v2
; %bb.895:                              ;   in Loop: Header=BB270_16 Depth=1
	s_delay_alu instid0(VALU_DEP_3) | instskip(NEXT) | instid1(VALU_DEP_1)
	v_clz_i32_u32_e32 v1, v14
	v_min_u32_e32 v1, 32, v1
	s_delay_alu instid0(VALU_DEP_1) | instskip(SKIP_1) | instid1(VALU_DEP_2)
	v_subrev_nc_u32_e32 v2, 28, v1
	v_sub_nc_u32_e32 v1, 29, v1
	v_lshlrev_b64 v[2:3], v2, v[14:15]
	s_delay_alu instid0(VALU_DEP_1)
	v_and_b32_e32 v14, 7, v2
; %bb.896:                              ;   in Loop: Header=BB270_16 Depth=1
	s_or_b32 exec_lo, exec_lo, s25
	v_lshlrev_b32_e32 v2, 16, v0
	s_delay_alu instid0(VALU_DEP_2) | instskip(SKIP_1) | instid1(VALU_DEP_3)
	v_lshlrev_b32_e32 v3, 20, v14
	v_lshl_add_u32 v1, v1, 23, 0x3c000000
	v_and_b32_e32 v2, 0x80000000, v2
	s_delay_alu instid0(VALU_DEP_1)
	v_or3_b32 v2, v3, v2, v1
	v_mov_b32_e32 v1, v15
	scratch_store_b64 off, v[1:2], s32 offset:1236 ; 8-byte Folded Spill
.LBB270_897:                            ;   in Loop: Header=BB270_16 Depth=1
	s_or_b32 exec_lo, exec_lo, s2
.LBB270_898:                            ;   in Loop: Header=BB270_16 Depth=1
	s_delay_alu instid0(SALU_CYCLE_1)
	s_or_b32 exec_lo, exec_lo, s24
.LBB270_899:                            ;   in Loop: Header=BB270_16 Depth=1
	s_delay_alu instid0(SALU_CYCLE_1)
	s_or_b32 exec_lo, exec_lo, s23
	v_lshrrev_b32_e32 v1, 16, v0
	v_mov_b32_e32 v3, 0
	v_mov_b32_e32 v4, 0
	s_mov_b32 s2, exec_lo
	s_clause 0x1
	scratch_store_b64 off, v[3:4], s32 offset:1252
	scratch_store_b64 off, v[3:4], s32 offset:1260
	v_and_b32_e32 v2, 0xff, v1
	s_delay_alu instid0(VALU_DEP_1)
	v_cmpx_ne_u16_e32 0, v2
	s_cbranch_execz .LBB270_907
; %bb.900:                              ;   in Loop: Header=BB270_16 Depth=1
	v_cmp_ne_u16_e64 s1, 0x80, v2
	v_bfrev_b32_e32 v2, 1
	v_mov_b32_e32 v3, 0
	scratch_store_b64 off, v[2:3], s32 offset:1260 ; 8-byte Folded Spill
	s_and_saveexec_b32 s23, s1
	s_cbranch_execz .LBB270_906
; %bb.901:                              ;   in Loop: Header=BB270_16 Depth=1
	v_mov_b32_e32 v4, 0x7f800001
	v_bfe_u32 v3, v0, 16, 7
	v_mov_b32_e32 v5, 0
	s_mov_b32 s24, exec_lo
	scratch_store_b64 off, v[4:5], s32 offset:1260 ; 8-byte Folded Spill
	v_cmpx_ne_u32_e32 0x7f, v3
	s_cbranch_execz .LBB270_905
; %bb.902:                              ;   in Loop: Header=BB270_16 Depth=1
	v_and_b32_e32 v14, 7, v1
	v_lshrrev_b32_e32 v2, 3, v3
	s_mov_b32 s25, exec_lo
	v_cmpx_gt_u32_e32 8, v3
; %bb.903:                              ;   in Loop: Header=BB270_16 Depth=1
	s_delay_alu instid0(VALU_DEP_3) | instskip(NEXT) | instid1(VALU_DEP_1)
	v_clz_i32_u32_e32 v2, v14
	v_min_u32_e32 v2, 32, v2
	s_delay_alu instid0(VALU_DEP_1) | instskip(SKIP_1) | instid1(VALU_DEP_2)
	v_subrev_nc_u32_e32 v3, 28, v2
	v_sub_nc_u32_e32 v2, 29, v2
	v_lshlrev_b64 v[3:4], v3, v[14:15]
	s_delay_alu instid0(VALU_DEP_1)
	v_and_b32_e32 v14, 7, v3
; %bb.904:                              ;   in Loop: Header=BB270_16 Depth=1
	s_or_b32 exec_lo, exec_lo, s25
	v_lshlrev_b32_e32 v1, 24, v1
	s_delay_alu instid0(VALU_DEP_2) | instskip(SKIP_1) | instid1(VALU_DEP_3)
	v_lshlrev_b32_e32 v3, 20, v14
	v_lshl_add_u32 v2, v2, 23, 0x3c000000
	v_and_b32_e32 v1, 0x80000000, v1
	s_delay_alu instid0(VALU_DEP_1)
	v_or3_b32 v14, v3, v1, v2
	scratch_store_b64 off, v[14:15], s32 offset:1260 ; 8-byte Folded Spill
.LBB270_905:                            ;   in Loop: Header=BB270_16 Depth=1
	s_or_b32 exec_lo, exec_lo, s24
.LBB270_906:                            ;   in Loop: Header=BB270_16 Depth=1
	s_delay_alu instid0(SALU_CYCLE_1)
	s_or_b32 exec_lo, exec_lo, s23
.LBB270_907:                            ;   in Loop: Header=BB270_16 Depth=1
	s_delay_alu instid0(SALU_CYCLE_1) | instskip(NEXT) | instid1(SALU_CYCLE_1)
	s_or_b32 exec_lo, exec_lo, s2
	s_mov_b32 s23, exec_lo
	v_cmpx_lt_u32_e32 0xffffff, v0
	s_cbranch_execz .LBB270_915
; %bb.908:                              ;   in Loop: Header=BB270_16 Depth=1
	v_lshrrev_b32_e32 v1, 24, v0
	v_dual_mov_b32 v2, s8 :: v_dual_mov_b32 v3, s9
	s_mov_b32 s24, exec_lo
	scratch_store_b64 off, v[2:3], s32 offset:1252 ; 8-byte Folded Spill
	v_cmpx_ne_u32_e32 0x80, v1
	s_cbranch_execz .LBB270_914
; %bb.909:                              ;   in Loop: Header=BB270_16 Depth=1
	s_mov_b32 s2, s8
	v_bfe_u32 v2, v0, 24, 7
	v_dual_mov_b32 v4, s3 :: v_dual_mov_b32 v3, s2
	s_mov_b32 s2, exec_lo
	scratch_store_b64 off, v[3:4], s32 offset:1252 ; 8-byte Folded Spill
	v_cmpx_ne_u32_e32 0x7f, v2
	s_cbranch_execz .LBB270_913
; %bb.910:                              ;   in Loop: Header=BB270_16 Depth=1
	v_and_b32_e32 v14, 7, v1
	v_lshrrev_b32_e32 v0, 3, v2
	s_mov_b32 s25, exec_lo
	v_cmpx_gt_u32_e32 8, v2
; %bb.911:                              ;   in Loop: Header=BB270_16 Depth=1
	s_delay_alu instid0(VALU_DEP_3) | instskip(NEXT) | instid1(VALU_DEP_1)
	v_clz_i32_u32_e32 v0, v14
	v_min_u32_e32 v0, 32, v0
	s_delay_alu instid0(VALU_DEP_1) | instskip(SKIP_1) | instid1(VALU_DEP_2)
	v_subrev_nc_u32_e32 v2, 28, v0
	v_sub_nc_u32_e32 v0, 29, v0
	v_lshlrev_b64 v[2:3], v2, v[14:15]
	s_delay_alu instid0(VALU_DEP_1)
	v_and_b32_e32 v14, 7, v2
; %bb.912:                              ;   in Loop: Header=BB270_16 Depth=1
	s_or_b32 exec_lo, exec_lo, s25
	v_lshlrev_b32_e32 v1, 24, v1
	s_delay_alu instid0(VALU_DEP_2) | instskip(SKIP_1) | instid1(VALU_DEP_3)
	v_lshlrev_b32_e32 v2, 20, v14
	v_lshl_add_u32 v0, v0, 23, 0x3c000000
	v_and_b32_e32 v1, 0x80000000, v1
	s_delay_alu instid0(VALU_DEP_1)
	v_or3_b32 v1, v2, v1, v0
	v_mov_b32_e32 v0, v15
	scratch_store_b64 off, v[0:1], s32 offset:1252 ; 8-byte Folded Spill
.LBB270_913:                            ;   in Loop: Header=BB270_16 Depth=1
	s_or_b32 exec_lo, exec_lo, s2
.LBB270_914:                            ;   in Loop: Header=BB270_16 Depth=1
	s_delay_alu instid0(SALU_CYCLE_1)
	s_or_b32 exec_lo, exec_lo, s24
.LBB270_915:                            ;   in Loop: Header=BB270_16 Depth=1
	s_delay_alu instid0(SALU_CYCLE_1)
	s_or_b32 exec_lo, exec_lo, s23
	flat_load_b32 v0, v[52:53] offset:3584
	v_mov_b32_e32 v2, 0
	v_mov_b32_e32 v3, 0
	s_mov_b32 s2, exec_lo
	s_clause 0x1
	scratch_store_b64 off, v[2:3], s32 offset:1268
	scratch_store_b64 off, v[2:3], s32 offset:1276
	s_waitcnt vmcnt(0) lgkmcnt(0)
	v_and_b32_e32 v1, 0xff, v0
	s_delay_alu instid0(VALU_DEP_1)
	v_cmpx_ne_u16_e32 0, v1
	s_cbranch_execz .LBB270_923
; %bb.916:                              ;   in Loop: Header=BB270_16 Depth=1
	v_cmp_ne_u16_e64 s1, 0x80, v1
	v_bfrev_b32_e32 v1, 1
	v_mov_b32_e32 v2, 0
	scratch_store_b64 off, v[1:2], s32 offset:1276 ; 8-byte Folded Spill
	s_and_saveexec_b32 s23, s1
	s_cbranch_execz .LBB270_922
; %bb.917:                              ;   in Loop: Header=BB270_16 Depth=1
	v_mov_b32_e32 v3, 0x7f800001
	v_and_b32_e32 v2, 0x7f, v0
	v_mov_b32_e32 v4, 0
	s_mov_b32 s24, exec_lo
	scratch_store_b64 off, v[3:4], s32 offset:1276 ; 8-byte Folded Spill
	v_cmpx_ne_u32_e32 0x7f, v2
	s_cbranch_execz .LBB270_921
; %bb.918:                              ;   in Loop: Header=BB270_16 Depth=1
	v_and_b32_e32 v14, 7, v0
	v_lshrrev_b32_e32 v1, 3, v2
	s_mov_b32 s25, exec_lo
	v_cmpx_gt_u32_e32 8, v2
; %bb.919:                              ;   in Loop: Header=BB270_16 Depth=1
	s_delay_alu instid0(VALU_DEP_3) | instskip(NEXT) | instid1(VALU_DEP_1)
	v_clz_i32_u32_e32 v1, v14
	v_min_u32_e32 v1, 32, v1
	s_delay_alu instid0(VALU_DEP_1) | instskip(SKIP_1) | instid1(VALU_DEP_2)
	v_subrev_nc_u32_e32 v2, 28, v1
	v_sub_nc_u32_e32 v1, 29, v1
	v_lshlrev_b64 v[2:3], v2, v[14:15]
	s_delay_alu instid0(VALU_DEP_1)
	v_and_b32_e32 v14, 7, v2
; %bb.920:                              ;   in Loop: Header=BB270_16 Depth=1
	s_or_b32 exec_lo, exec_lo, s25
	v_lshlrev_b32_e32 v2, 24, v0
	s_delay_alu instid0(VALU_DEP_2) | instskip(SKIP_1) | instid1(VALU_DEP_3)
	v_lshlrev_b32_e32 v3, 20, v14
	v_lshl_add_u32 v1, v1, 23, 0x3c000000
	v_and_b32_e32 v2, 0x80000000, v2
	s_delay_alu instid0(VALU_DEP_1)
	v_or3_b32 v14, v3, v2, v1
	scratch_store_b64 off, v[14:15], s32 offset:1276 ; 8-byte Folded Spill
.LBB270_921:                            ;   in Loop: Header=BB270_16 Depth=1
	s_or_b32 exec_lo, exec_lo, s24
.LBB270_922:                            ;   in Loop: Header=BB270_16 Depth=1
	s_delay_alu instid0(SALU_CYCLE_1)
	s_or_b32 exec_lo, exec_lo, s23
.LBB270_923:                            ;   in Loop: Header=BB270_16 Depth=1
	s_delay_alu instid0(SALU_CYCLE_1) | instskip(SKIP_2) | instid1(VALU_DEP_1)
	s_or_b32 exec_lo, exec_lo, s2
	v_lshrrev_b16 v1, 8, v0
	s_mov_b32 s23, exec_lo
	v_cmpx_ne_u16_e32 0, v1
	s_cbranch_execz .LBB270_931
; %bb.924:                              ;   in Loop: Header=BB270_16 Depth=1
	v_dual_mov_b32 v2, s8 :: v_dual_mov_b32 v3, s9
	s_mov_b32 s24, exec_lo
	scratch_store_b64 off, v[2:3], s32 offset:1268 ; 8-byte Folded Spill
	v_cmpx_ne_u16_e32 0x80, v1
	s_cbranch_execz .LBB270_930
; %bb.925:                              ;   in Loop: Header=BB270_16 Depth=1
	s_mov_b32 s2, s8
	v_dual_mov_b32 v4, s3 :: v_dual_and_b32 v1, 0xffff, v1
	v_mov_b32_e32 v3, s2
	s_mov_b32 s2, exec_lo
	s_delay_alu instid0(VALU_DEP_2)
	v_and_b32_e32 v2, 0x7f, v1
	scratch_store_b64 off, v[3:4], s32 offset:1268 ; 8-byte Folded Spill
	v_cmpx_ne_u32_e32 0x7f, v2
	s_cbranch_execz .LBB270_929
; %bb.926:                              ;   in Loop: Header=BB270_16 Depth=1
	v_and_b32_e32 v14, 7, v1
	v_lshrrev_b32_e32 v1, 3, v2
	s_mov_b32 s25, exec_lo
	v_cmpx_gt_u32_e32 8, v2
; %bb.927:                              ;   in Loop: Header=BB270_16 Depth=1
	s_delay_alu instid0(VALU_DEP_3) | instskip(NEXT) | instid1(VALU_DEP_1)
	v_clz_i32_u32_e32 v1, v14
	v_min_u32_e32 v1, 32, v1
	s_delay_alu instid0(VALU_DEP_1) | instskip(SKIP_1) | instid1(VALU_DEP_2)
	v_subrev_nc_u32_e32 v2, 28, v1
	v_sub_nc_u32_e32 v1, 29, v1
	v_lshlrev_b64 v[2:3], v2, v[14:15]
	s_delay_alu instid0(VALU_DEP_1)
	v_and_b32_e32 v14, 7, v2
; %bb.928:                              ;   in Loop: Header=BB270_16 Depth=1
	s_or_b32 exec_lo, exec_lo, s25
	v_lshlrev_b32_e32 v2, 16, v0
	s_delay_alu instid0(VALU_DEP_2) | instskip(SKIP_1) | instid1(VALU_DEP_3)
	v_lshlrev_b32_e32 v3, 20, v14
	v_lshl_add_u32 v1, v1, 23, 0x3c000000
	v_and_b32_e32 v2, 0x80000000, v2
	s_delay_alu instid0(VALU_DEP_1)
	v_or3_b32 v2, v3, v2, v1
	v_mov_b32_e32 v1, v15
	scratch_store_b64 off, v[1:2], s32 offset:1268 ; 8-byte Folded Spill
.LBB270_929:                            ;   in Loop: Header=BB270_16 Depth=1
	s_or_b32 exec_lo, exec_lo, s2
.LBB270_930:                            ;   in Loop: Header=BB270_16 Depth=1
	s_delay_alu instid0(SALU_CYCLE_1)
	s_or_b32 exec_lo, exec_lo, s24
.LBB270_931:                            ;   in Loop: Header=BB270_16 Depth=1
	s_delay_alu instid0(SALU_CYCLE_1)
	s_or_b32 exec_lo, exec_lo, s23
	v_lshrrev_b32_e32 v1, 16, v0
	v_mov_b32_e32 v3, 0
	v_mov_b32_e32 v4, 0
	s_mov_b32 s2, exec_lo
	s_clause 0x1
	scratch_store_b64 off, v[3:4], s32 offset:1284
	scratch_store_b64 off, v[3:4], s32 offset:1292
	v_and_b32_e32 v2, 0xff, v1
	s_delay_alu instid0(VALU_DEP_1)
	v_cmpx_ne_u16_e32 0, v2
	s_cbranch_execz .LBB270_939
; %bb.932:                              ;   in Loop: Header=BB270_16 Depth=1
	v_cmp_ne_u16_e64 s1, 0x80, v2
	v_bfrev_b32_e32 v2, 1
	v_mov_b32_e32 v3, 0
	scratch_store_b64 off, v[2:3], s32 offset:1292 ; 8-byte Folded Spill
	s_and_saveexec_b32 s23, s1
	s_cbranch_execz .LBB270_938
; %bb.933:                              ;   in Loop: Header=BB270_16 Depth=1
	v_mov_b32_e32 v4, 0x7f800001
	v_bfe_u32 v3, v0, 16, 7
	v_mov_b32_e32 v5, 0
	s_mov_b32 s24, exec_lo
	scratch_store_b64 off, v[4:5], s32 offset:1292 ; 8-byte Folded Spill
	v_cmpx_ne_u32_e32 0x7f, v3
	s_cbranch_execz .LBB270_937
; %bb.934:                              ;   in Loop: Header=BB270_16 Depth=1
	v_and_b32_e32 v14, 7, v1
	v_lshrrev_b32_e32 v2, 3, v3
	s_mov_b32 s25, exec_lo
	v_cmpx_gt_u32_e32 8, v3
; %bb.935:                              ;   in Loop: Header=BB270_16 Depth=1
	s_delay_alu instid0(VALU_DEP_3) | instskip(NEXT) | instid1(VALU_DEP_1)
	v_clz_i32_u32_e32 v2, v14
	v_min_u32_e32 v2, 32, v2
	s_delay_alu instid0(VALU_DEP_1) | instskip(SKIP_1) | instid1(VALU_DEP_2)
	v_subrev_nc_u32_e32 v3, 28, v2
	v_sub_nc_u32_e32 v2, 29, v2
	v_lshlrev_b64 v[3:4], v3, v[14:15]
	s_delay_alu instid0(VALU_DEP_1)
	v_and_b32_e32 v14, 7, v3
; %bb.936:                              ;   in Loop: Header=BB270_16 Depth=1
	s_or_b32 exec_lo, exec_lo, s25
	v_lshlrev_b32_e32 v1, 24, v1
	s_delay_alu instid0(VALU_DEP_2) | instskip(SKIP_1) | instid1(VALU_DEP_3)
	v_lshlrev_b32_e32 v3, 20, v14
	v_lshl_add_u32 v2, v2, 23, 0x3c000000
	v_and_b32_e32 v1, 0x80000000, v1
	s_delay_alu instid0(VALU_DEP_1)
	v_or3_b32 v14, v3, v1, v2
	scratch_store_b64 off, v[14:15], s32 offset:1292 ; 8-byte Folded Spill
.LBB270_937:                            ;   in Loop: Header=BB270_16 Depth=1
	s_or_b32 exec_lo, exec_lo, s24
.LBB270_938:                            ;   in Loop: Header=BB270_16 Depth=1
	s_delay_alu instid0(SALU_CYCLE_1)
	s_or_b32 exec_lo, exec_lo, s23
.LBB270_939:                            ;   in Loop: Header=BB270_16 Depth=1
	s_delay_alu instid0(SALU_CYCLE_1) | instskip(NEXT) | instid1(SALU_CYCLE_1)
	s_or_b32 exec_lo, exec_lo, s2
	s_mov_b32 s23, exec_lo
	v_cmpx_lt_u32_e32 0xffffff, v0
	s_cbranch_execz .LBB270_947
; %bb.940:                              ;   in Loop: Header=BB270_16 Depth=1
	v_lshrrev_b32_e32 v1, 24, v0
	v_dual_mov_b32 v2, s8 :: v_dual_mov_b32 v3, s9
	s_mov_b32 s24, exec_lo
	scratch_store_b64 off, v[2:3], s32 offset:1284 ; 8-byte Folded Spill
	v_cmpx_ne_u32_e32 0x80, v1
	s_cbranch_execz .LBB270_946
; %bb.941:                              ;   in Loop: Header=BB270_16 Depth=1
	s_mov_b32 s2, s8
	v_bfe_u32 v2, v0, 24, 7
	v_dual_mov_b32 v4, s3 :: v_dual_mov_b32 v3, s2
	s_mov_b32 s2, exec_lo
	scratch_store_b64 off, v[3:4], s32 offset:1284 ; 8-byte Folded Spill
	v_cmpx_ne_u32_e32 0x7f, v2
	s_cbranch_execz .LBB270_945
; %bb.942:                              ;   in Loop: Header=BB270_16 Depth=1
	v_and_b32_e32 v14, 7, v1
	v_lshrrev_b32_e32 v0, 3, v2
	s_mov_b32 s25, exec_lo
	v_cmpx_gt_u32_e32 8, v2
; %bb.943:                              ;   in Loop: Header=BB270_16 Depth=1
	s_delay_alu instid0(VALU_DEP_3) | instskip(NEXT) | instid1(VALU_DEP_1)
	v_clz_i32_u32_e32 v0, v14
	v_min_u32_e32 v0, 32, v0
	s_delay_alu instid0(VALU_DEP_1) | instskip(SKIP_1) | instid1(VALU_DEP_2)
	v_subrev_nc_u32_e32 v2, 28, v0
	v_sub_nc_u32_e32 v0, 29, v0
	v_lshlrev_b64 v[2:3], v2, v[14:15]
	s_delay_alu instid0(VALU_DEP_1)
	v_and_b32_e32 v14, 7, v2
; %bb.944:                              ;   in Loop: Header=BB270_16 Depth=1
	s_or_b32 exec_lo, exec_lo, s25
	v_lshlrev_b32_e32 v1, 24, v1
	s_delay_alu instid0(VALU_DEP_2) | instskip(SKIP_1) | instid1(VALU_DEP_3)
	v_lshlrev_b32_e32 v2, 20, v14
	v_lshl_add_u32 v0, v0, 23, 0x3c000000
	v_and_b32_e32 v1, 0x80000000, v1
	s_delay_alu instid0(VALU_DEP_1)
	v_or3_b32 v1, v2, v1, v0
	v_mov_b32_e32 v0, v15
	scratch_store_b64 off, v[0:1], s32 offset:1284 ; 8-byte Folded Spill
.LBB270_945:                            ;   in Loop: Header=BB270_16 Depth=1
	s_or_b32 exec_lo, exec_lo, s2
.LBB270_946:                            ;   in Loop: Header=BB270_16 Depth=1
	s_delay_alu instid0(SALU_CYCLE_1)
	s_or_b32 exec_lo, exec_lo, s24
.LBB270_947:                            ;   in Loop: Header=BB270_16 Depth=1
	s_delay_alu instid0(SALU_CYCLE_1)
	s_or_b32 exec_lo, exec_lo, s23
	flat_load_b32 v0, v[52:53] offset:3588
	v_mov_b32_e32 v2, 0
	v_mov_b32_e32 v3, 0
	s_mov_b32 s2, exec_lo
	s_clause 0x1
	scratch_store_b64 off, v[2:3], s32 offset:1300
	scratch_store_b64 off, v[2:3], s32 offset:1308
	s_waitcnt vmcnt(0) lgkmcnt(0)
	v_and_b32_e32 v1, 0xff, v0
	s_delay_alu instid0(VALU_DEP_1)
	v_cmpx_ne_u16_e32 0, v1
	s_cbranch_execz .LBB270_955
; %bb.948:                              ;   in Loop: Header=BB270_16 Depth=1
	v_cmp_ne_u16_e64 s1, 0x80, v1
	v_bfrev_b32_e32 v1, 1
	v_mov_b32_e32 v2, 0
	scratch_store_b64 off, v[1:2], s32 offset:1308 ; 8-byte Folded Spill
	s_and_saveexec_b32 s23, s1
	s_cbranch_execz .LBB270_954
; %bb.949:                              ;   in Loop: Header=BB270_16 Depth=1
	v_mov_b32_e32 v3, 0x7f800001
	v_and_b32_e32 v2, 0x7f, v0
	v_mov_b32_e32 v4, 0
	s_mov_b32 s24, exec_lo
	scratch_store_b64 off, v[3:4], s32 offset:1308 ; 8-byte Folded Spill
	v_cmpx_ne_u32_e32 0x7f, v2
	s_cbranch_execz .LBB270_953
; %bb.950:                              ;   in Loop: Header=BB270_16 Depth=1
	v_and_b32_e32 v14, 7, v0
	v_lshrrev_b32_e32 v1, 3, v2
	s_mov_b32 s25, exec_lo
	v_cmpx_gt_u32_e32 8, v2
; %bb.951:                              ;   in Loop: Header=BB270_16 Depth=1
	s_delay_alu instid0(VALU_DEP_3) | instskip(NEXT) | instid1(VALU_DEP_1)
	v_clz_i32_u32_e32 v1, v14
	v_min_u32_e32 v1, 32, v1
	s_delay_alu instid0(VALU_DEP_1) | instskip(SKIP_1) | instid1(VALU_DEP_2)
	v_subrev_nc_u32_e32 v2, 28, v1
	v_sub_nc_u32_e32 v1, 29, v1
	v_lshlrev_b64 v[2:3], v2, v[14:15]
	s_delay_alu instid0(VALU_DEP_1)
	v_and_b32_e32 v14, 7, v2
; %bb.952:                              ;   in Loop: Header=BB270_16 Depth=1
	s_or_b32 exec_lo, exec_lo, s25
	v_lshlrev_b32_e32 v2, 24, v0
	s_delay_alu instid0(VALU_DEP_2) | instskip(SKIP_1) | instid1(VALU_DEP_3)
	v_lshlrev_b32_e32 v3, 20, v14
	v_lshl_add_u32 v1, v1, 23, 0x3c000000
	v_and_b32_e32 v2, 0x80000000, v2
	s_delay_alu instid0(VALU_DEP_1)
	v_or3_b32 v14, v3, v2, v1
	scratch_store_b64 off, v[14:15], s32 offset:1308 ; 8-byte Folded Spill
.LBB270_953:                            ;   in Loop: Header=BB270_16 Depth=1
	s_or_b32 exec_lo, exec_lo, s24
.LBB270_954:                            ;   in Loop: Header=BB270_16 Depth=1
	s_delay_alu instid0(SALU_CYCLE_1)
	s_or_b32 exec_lo, exec_lo, s23
.LBB270_955:                            ;   in Loop: Header=BB270_16 Depth=1
	s_delay_alu instid0(SALU_CYCLE_1) | instskip(SKIP_2) | instid1(VALU_DEP_1)
	s_or_b32 exec_lo, exec_lo, s2
	v_lshrrev_b16 v1, 8, v0
	s_mov_b32 s23, exec_lo
	v_cmpx_ne_u16_e32 0, v1
	s_cbranch_execz .LBB270_963
; %bb.956:                              ;   in Loop: Header=BB270_16 Depth=1
	v_dual_mov_b32 v2, s8 :: v_dual_mov_b32 v3, s9
	s_mov_b32 s24, exec_lo
	scratch_store_b64 off, v[2:3], s32 offset:1300 ; 8-byte Folded Spill
	v_cmpx_ne_u16_e32 0x80, v1
	s_cbranch_execz .LBB270_962
; %bb.957:                              ;   in Loop: Header=BB270_16 Depth=1
	s_mov_b32 s2, s8
	v_dual_mov_b32 v4, s3 :: v_dual_and_b32 v1, 0xffff, v1
	v_mov_b32_e32 v3, s2
	s_mov_b32 s2, exec_lo
	s_delay_alu instid0(VALU_DEP_2)
	v_and_b32_e32 v2, 0x7f, v1
	scratch_store_b64 off, v[3:4], s32 offset:1300 ; 8-byte Folded Spill
	v_cmpx_ne_u32_e32 0x7f, v2
	s_cbranch_execz .LBB270_961
; %bb.958:                              ;   in Loop: Header=BB270_16 Depth=1
	v_and_b32_e32 v14, 7, v1
	v_lshrrev_b32_e32 v1, 3, v2
	s_mov_b32 s25, exec_lo
	v_cmpx_gt_u32_e32 8, v2
; %bb.959:                              ;   in Loop: Header=BB270_16 Depth=1
	s_delay_alu instid0(VALU_DEP_3) | instskip(NEXT) | instid1(VALU_DEP_1)
	v_clz_i32_u32_e32 v1, v14
	v_min_u32_e32 v1, 32, v1
	s_delay_alu instid0(VALU_DEP_1) | instskip(SKIP_1) | instid1(VALU_DEP_2)
	v_subrev_nc_u32_e32 v2, 28, v1
	v_sub_nc_u32_e32 v1, 29, v1
	v_lshlrev_b64 v[2:3], v2, v[14:15]
	s_delay_alu instid0(VALU_DEP_1)
	v_and_b32_e32 v14, 7, v2
; %bb.960:                              ;   in Loop: Header=BB270_16 Depth=1
	s_or_b32 exec_lo, exec_lo, s25
	v_lshlrev_b32_e32 v2, 16, v0
	s_delay_alu instid0(VALU_DEP_2) | instskip(SKIP_1) | instid1(VALU_DEP_3)
	v_lshlrev_b32_e32 v3, 20, v14
	v_lshl_add_u32 v1, v1, 23, 0x3c000000
	v_and_b32_e32 v2, 0x80000000, v2
	s_delay_alu instid0(VALU_DEP_1)
	v_or3_b32 v2, v3, v2, v1
	v_mov_b32_e32 v1, v15
	scratch_store_b64 off, v[1:2], s32 offset:1300 ; 8-byte Folded Spill
.LBB270_961:                            ;   in Loop: Header=BB270_16 Depth=1
	s_or_b32 exec_lo, exec_lo, s2
.LBB270_962:                            ;   in Loop: Header=BB270_16 Depth=1
	s_delay_alu instid0(SALU_CYCLE_1)
	s_or_b32 exec_lo, exec_lo, s24
.LBB270_963:                            ;   in Loop: Header=BB270_16 Depth=1
	s_delay_alu instid0(SALU_CYCLE_1)
	s_or_b32 exec_lo, exec_lo, s23
	v_lshrrev_b32_e32 v1, 16, v0
	v_mov_b32_e32 v3, 0
	v_mov_b32_e32 v4, 0
	s_mov_b32 s2, exec_lo
	s_clause 0x1
	scratch_store_b64 off, v[3:4], s32 offset:1316
	scratch_store_b64 off, v[3:4], s32 offset:1324
	v_and_b32_e32 v2, 0xff, v1
	s_delay_alu instid0(VALU_DEP_1)
	v_cmpx_ne_u16_e32 0, v2
	s_cbranch_execz .LBB270_971
; %bb.964:                              ;   in Loop: Header=BB270_16 Depth=1
	v_cmp_ne_u16_e64 s1, 0x80, v2
	v_bfrev_b32_e32 v2, 1
	v_mov_b32_e32 v3, 0
	scratch_store_b64 off, v[2:3], s32 offset:1324 ; 8-byte Folded Spill
	s_and_saveexec_b32 s23, s1
	s_cbranch_execz .LBB270_970
; %bb.965:                              ;   in Loop: Header=BB270_16 Depth=1
	v_mov_b32_e32 v4, 0x7f800001
	v_bfe_u32 v3, v0, 16, 7
	v_mov_b32_e32 v5, 0
	s_mov_b32 s24, exec_lo
	scratch_store_b64 off, v[4:5], s32 offset:1324 ; 8-byte Folded Spill
	v_cmpx_ne_u32_e32 0x7f, v3
	s_cbranch_execz .LBB270_969
; %bb.966:                              ;   in Loop: Header=BB270_16 Depth=1
	v_and_b32_e32 v14, 7, v1
	v_lshrrev_b32_e32 v2, 3, v3
	s_mov_b32 s25, exec_lo
	v_cmpx_gt_u32_e32 8, v3
; %bb.967:                              ;   in Loop: Header=BB270_16 Depth=1
	s_delay_alu instid0(VALU_DEP_3) | instskip(NEXT) | instid1(VALU_DEP_1)
	v_clz_i32_u32_e32 v2, v14
	v_min_u32_e32 v2, 32, v2
	s_delay_alu instid0(VALU_DEP_1) | instskip(SKIP_1) | instid1(VALU_DEP_2)
	v_subrev_nc_u32_e32 v3, 28, v2
	v_sub_nc_u32_e32 v2, 29, v2
	v_lshlrev_b64 v[3:4], v3, v[14:15]
	s_delay_alu instid0(VALU_DEP_1)
	v_and_b32_e32 v14, 7, v3
; %bb.968:                              ;   in Loop: Header=BB270_16 Depth=1
	s_or_b32 exec_lo, exec_lo, s25
	v_lshlrev_b32_e32 v1, 24, v1
	s_delay_alu instid0(VALU_DEP_2) | instskip(SKIP_1) | instid1(VALU_DEP_3)
	v_lshlrev_b32_e32 v3, 20, v14
	v_lshl_add_u32 v2, v2, 23, 0x3c000000
	v_and_b32_e32 v1, 0x80000000, v1
	s_delay_alu instid0(VALU_DEP_1)
	v_or3_b32 v14, v3, v1, v2
	scratch_store_b64 off, v[14:15], s32 offset:1324 ; 8-byte Folded Spill
.LBB270_969:                            ;   in Loop: Header=BB270_16 Depth=1
	s_or_b32 exec_lo, exec_lo, s24
.LBB270_970:                            ;   in Loop: Header=BB270_16 Depth=1
	s_delay_alu instid0(SALU_CYCLE_1)
	s_or_b32 exec_lo, exec_lo, s23
.LBB270_971:                            ;   in Loop: Header=BB270_16 Depth=1
	s_delay_alu instid0(SALU_CYCLE_1) | instskip(NEXT) | instid1(SALU_CYCLE_1)
	s_or_b32 exec_lo, exec_lo, s2
	s_mov_b32 s23, exec_lo
	v_cmpx_lt_u32_e32 0xffffff, v0
	s_cbranch_execz .LBB270_979
; %bb.972:                              ;   in Loop: Header=BB270_16 Depth=1
	v_lshrrev_b32_e32 v1, 24, v0
	v_dual_mov_b32 v2, s8 :: v_dual_mov_b32 v3, s9
	s_mov_b32 s24, exec_lo
	scratch_store_b64 off, v[2:3], s32 offset:1316 ; 8-byte Folded Spill
	v_cmpx_ne_u32_e32 0x80, v1
	s_cbranch_execz .LBB270_978
; %bb.973:                              ;   in Loop: Header=BB270_16 Depth=1
	s_mov_b32 s2, s8
	v_bfe_u32 v2, v0, 24, 7
	v_dual_mov_b32 v4, s3 :: v_dual_mov_b32 v3, s2
	s_mov_b32 s2, exec_lo
	scratch_store_b64 off, v[3:4], s32 offset:1316 ; 8-byte Folded Spill
	v_cmpx_ne_u32_e32 0x7f, v2
	s_cbranch_execz .LBB270_977
; %bb.974:                              ;   in Loop: Header=BB270_16 Depth=1
	v_and_b32_e32 v14, 7, v1
	v_lshrrev_b32_e32 v0, 3, v2
	s_mov_b32 s25, exec_lo
	v_cmpx_gt_u32_e32 8, v2
; %bb.975:                              ;   in Loop: Header=BB270_16 Depth=1
	s_delay_alu instid0(VALU_DEP_3) | instskip(NEXT) | instid1(VALU_DEP_1)
	v_clz_i32_u32_e32 v0, v14
	v_min_u32_e32 v0, 32, v0
	s_delay_alu instid0(VALU_DEP_1) | instskip(SKIP_1) | instid1(VALU_DEP_2)
	v_subrev_nc_u32_e32 v2, 28, v0
	v_sub_nc_u32_e32 v0, 29, v0
	v_lshlrev_b64 v[2:3], v2, v[14:15]
	s_delay_alu instid0(VALU_DEP_1)
	v_and_b32_e32 v14, 7, v2
; %bb.976:                              ;   in Loop: Header=BB270_16 Depth=1
	s_or_b32 exec_lo, exec_lo, s25
	v_lshlrev_b32_e32 v1, 24, v1
	s_delay_alu instid0(VALU_DEP_2) | instskip(SKIP_1) | instid1(VALU_DEP_3)
	v_lshlrev_b32_e32 v2, 20, v14
	v_lshl_add_u32 v0, v0, 23, 0x3c000000
	v_and_b32_e32 v1, 0x80000000, v1
	s_delay_alu instid0(VALU_DEP_1)
	v_or3_b32 v1, v2, v1, v0
	v_mov_b32_e32 v0, v15
	scratch_store_b64 off, v[0:1], s32 offset:1316 ; 8-byte Folded Spill
.LBB270_977:                            ;   in Loop: Header=BB270_16 Depth=1
	s_or_b32 exec_lo, exec_lo, s2
.LBB270_978:                            ;   in Loop: Header=BB270_16 Depth=1
	s_delay_alu instid0(SALU_CYCLE_1)
	s_or_b32 exec_lo, exec_lo, s24
.LBB270_979:                            ;   in Loop: Header=BB270_16 Depth=1
	s_delay_alu instid0(SALU_CYCLE_1)
	s_or_b32 exec_lo, exec_lo, s23
	flat_load_b32 v0, v[52:53] offset:3592
	v_mov_b32_e32 v2, 0
	v_mov_b32_e32 v3, 0
	s_mov_b32 s2, exec_lo
	s_clause 0x1
	scratch_store_b64 off, v[2:3], s32 offset:1332
	scratch_store_b64 off, v[2:3], s32 offset:1340
	s_waitcnt vmcnt(0) lgkmcnt(0)
	v_and_b32_e32 v1, 0xff, v0
	s_delay_alu instid0(VALU_DEP_1)
	v_cmpx_ne_u16_e32 0, v1
	s_cbranch_execz .LBB270_987
; %bb.980:                              ;   in Loop: Header=BB270_16 Depth=1
	v_cmp_ne_u16_e64 s1, 0x80, v1
	v_bfrev_b32_e32 v1, 1
	v_mov_b32_e32 v2, 0
	scratch_store_b64 off, v[1:2], s32 offset:1340 ; 8-byte Folded Spill
	s_and_saveexec_b32 s23, s1
	s_cbranch_execz .LBB270_986
; %bb.981:                              ;   in Loop: Header=BB270_16 Depth=1
	v_mov_b32_e32 v3, 0x7f800001
	v_and_b32_e32 v2, 0x7f, v0
	v_mov_b32_e32 v4, 0
	s_mov_b32 s24, exec_lo
	scratch_store_b64 off, v[3:4], s32 offset:1340 ; 8-byte Folded Spill
	v_cmpx_ne_u32_e32 0x7f, v2
	s_cbranch_execz .LBB270_985
; %bb.982:                              ;   in Loop: Header=BB270_16 Depth=1
	v_and_b32_e32 v14, 7, v0
	v_lshrrev_b32_e32 v1, 3, v2
	s_mov_b32 s25, exec_lo
	v_cmpx_gt_u32_e32 8, v2
; %bb.983:                              ;   in Loop: Header=BB270_16 Depth=1
	s_delay_alu instid0(VALU_DEP_3) | instskip(NEXT) | instid1(VALU_DEP_1)
	v_clz_i32_u32_e32 v1, v14
	v_min_u32_e32 v1, 32, v1
	s_delay_alu instid0(VALU_DEP_1) | instskip(SKIP_1) | instid1(VALU_DEP_2)
	v_subrev_nc_u32_e32 v2, 28, v1
	v_sub_nc_u32_e32 v1, 29, v1
	v_lshlrev_b64 v[2:3], v2, v[14:15]
	s_delay_alu instid0(VALU_DEP_1)
	v_and_b32_e32 v14, 7, v2
; %bb.984:                              ;   in Loop: Header=BB270_16 Depth=1
	s_or_b32 exec_lo, exec_lo, s25
	v_lshlrev_b32_e32 v2, 24, v0
	s_delay_alu instid0(VALU_DEP_2) | instskip(SKIP_1) | instid1(VALU_DEP_3)
	v_lshlrev_b32_e32 v3, 20, v14
	v_lshl_add_u32 v1, v1, 23, 0x3c000000
	v_and_b32_e32 v2, 0x80000000, v2
	s_delay_alu instid0(VALU_DEP_1)
	v_or3_b32 v14, v3, v2, v1
	scratch_store_b64 off, v[14:15], s32 offset:1340 ; 8-byte Folded Spill
.LBB270_985:                            ;   in Loop: Header=BB270_16 Depth=1
	s_or_b32 exec_lo, exec_lo, s24
.LBB270_986:                            ;   in Loop: Header=BB270_16 Depth=1
	s_delay_alu instid0(SALU_CYCLE_1)
	s_or_b32 exec_lo, exec_lo, s23
.LBB270_987:                            ;   in Loop: Header=BB270_16 Depth=1
	s_delay_alu instid0(SALU_CYCLE_1) | instskip(SKIP_2) | instid1(VALU_DEP_1)
	s_or_b32 exec_lo, exec_lo, s2
	v_lshrrev_b16 v1, 8, v0
	s_mov_b32 s23, exec_lo
	v_cmpx_ne_u16_e32 0, v1
	s_cbranch_execz .LBB270_995
; %bb.988:                              ;   in Loop: Header=BB270_16 Depth=1
	v_dual_mov_b32 v2, s8 :: v_dual_mov_b32 v3, s9
	s_mov_b32 s24, exec_lo
	scratch_store_b64 off, v[2:3], s32 offset:1332 ; 8-byte Folded Spill
	v_cmpx_ne_u16_e32 0x80, v1
	s_cbranch_execz .LBB270_994
; %bb.989:                              ;   in Loop: Header=BB270_16 Depth=1
	s_mov_b32 s2, s8
	v_dual_mov_b32 v4, s3 :: v_dual_and_b32 v1, 0xffff, v1
	v_mov_b32_e32 v3, s2
	s_mov_b32 s2, exec_lo
	s_delay_alu instid0(VALU_DEP_2)
	v_and_b32_e32 v2, 0x7f, v1
	scratch_store_b64 off, v[3:4], s32 offset:1332 ; 8-byte Folded Spill
	v_cmpx_ne_u32_e32 0x7f, v2
	s_cbranch_execz .LBB270_993
; %bb.990:                              ;   in Loop: Header=BB270_16 Depth=1
	v_and_b32_e32 v14, 7, v1
	v_lshrrev_b32_e32 v1, 3, v2
	s_mov_b32 s25, exec_lo
	v_cmpx_gt_u32_e32 8, v2
; %bb.991:                              ;   in Loop: Header=BB270_16 Depth=1
	s_delay_alu instid0(VALU_DEP_3) | instskip(NEXT) | instid1(VALU_DEP_1)
	v_clz_i32_u32_e32 v1, v14
	v_min_u32_e32 v1, 32, v1
	s_delay_alu instid0(VALU_DEP_1) | instskip(SKIP_1) | instid1(VALU_DEP_2)
	v_subrev_nc_u32_e32 v2, 28, v1
	v_sub_nc_u32_e32 v1, 29, v1
	v_lshlrev_b64 v[2:3], v2, v[14:15]
	s_delay_alu instid0(VALU_DEP_1)
	v_and_b32_e32 v14, 7, v2
; %bb.992:                              ;   in Loop: Header=BB270_16 Depth=1
	s_or_b32 exec_lo, exec_lo, s25
	v_lshlrev_b32_e32 v2, 16, v0
	s_delay_alu instid0(VALU_DEP_2) | instskip(SKIP_1) | instid1(VALU_DEP_3)
	v_lshlrev_b32_e32 v3, 20, v14
	v_lshl_add_u32 v1, v1, 23, 0x3c000000
	v_and_b32_e32 v2, 0x80000000, v2
	s_delay_alu instid0(VALU_DEP_1)
	v_or3_b32 v2, v3, v2, v1
	v_mov_b32_e32 v1, v15
	scratch_store_b64 off, v[1:2], s32 offset:1332 ; 8-byte Folded Spill
.LBB270_993:                            ;   in Loop: Header=BB270_16 Depth=1
	s_or_b32 exec_lo, exec_lo, s2
.LBB270_994:                            ;   in Loop: Header=BB270_16 Depth=1
	s_delay_alu instid0(SALU_CYCLE_1)
	s_or_b32 exec_lo, exec_lo, s24
.LBB270_995:                            ;   in Loop: Header=BB270_16 Depth=1
	s_delay_alu instid0(SALU_CYCLE_1)
	s_or_b32 exec_lo, exec_lo, s23
	v_lshrrev_b32_e32 v1, 16, v0
	v_mov_b32_e32 v3, 0
	v_mov_b32_e32 v4, 0
	s_mov_b32 s2, exec_lo
	s_clause 0x1
	scratch_store_b64 off, v[3:4], s32 offset:1348
	scratch_store_b64 off, v[3:4], s32 offset:1356
	v_and_b32_e32 v2, 0xff, v1
	s_delay_alu instid0(VALU_DEP_1)
	v_cmpx_ne_u16_e32 0, v2
	s_cbranch_execz .LBB270_1003
; %bb.996:                              ;   in Loop: Header=BB270_16 Depth=1
	v_cmp_ne_u16_e64 s1, 0x80, v2
	v_bfrev_b32_e32 v2, 1
	v_mov_b32_e32 v3, 0
	scratch_store_b64 off, v[2:3], s32 offset:1356 ; 8-byte Folded Spill
	s_and_saveexec_b32 s23, s1
	s_cbranch_execz .LBB270_1002
; %bb.997:                              ;   in Loop: Header=BB270_16 Depth=1
	v_mov_b32_e32 v4, 0x7f800001
	v_bfe_u32 v3, v0, 16, 7
	v_mov_b32_e32 v5, 0
	s_mov_b32 s24, exec_lo
	scratch_store_b64 off, v[4:5], s32 offset:1356 ; 8-byte Folded Spill
	v_cmpx_ne_u32_e32 0x7f, v3
	s_cbranch_execz .LBB270_1001
; %bb.998:                              ;   in Loop: Header=BB270_16 Depth=1
	v_and_b32_e32 v14, 7, v1
	v_lshrrev_b32_e32 v2, 3, v3
	s_mov_b32 s25, exec_lo
	v_cmpx_gt_u32_e32 8, v3
; %bb.999:                              ;   in Loop: Header=BB270_16 Depth=1
	s_delay_alu instid0(VALU_DEP_3) | instskip(NEXT) | instid1(VALU_DEP_1)
	v_clz_i32_u32_e32 v2, v14
	v_min_u32_e32 v2, 32, v2
	s_delay_alu instid0(VALU_DEP_1) | instskip(SKIP_1) | instid1(VALU_DEP_2)
	v_subrev_nc_u32_e32 v3, 28, v2
	v_sub_nc_u32_e32 v2, 29, v2
	v_lshlrev_b64 v[3:4], v3, v[14:15]
	s_delay_alu instid0(VALU_DEP_1)
	v_and_b32_e32 v14, 7, v3
; %bb.1000:                             ;   in Loop: Header=BB270_16 Depth=1
	s_or_b32 exec_lo, exec_lo, s25
	v_lshlrev_b32_e32 v1, 24, v1
	s_delay_alu instid0(VALU_DEP_2) | instskip(SKIP_1) | instid1(VALU_DEP_3)
	v_lshlrev_b32_e32 v3, 20, v14
	v_lshl_add_u32 v2, v2, 23, 0x3c000000
	v_and_b32_e32 v1, 0x80000000, v1
	s_delay_alu instid0(VALU_DEP_1)
	v_or3_b32 v14, v3, v1, v2
	scratch_store_b64 off, v[14:15], s32 offset:1356 ; 8-byte Folded Spill
.LBB270_1001:                           ;   in Loop: Header=BB270_16 Depth=1
	s_or_b32 exec_lo, exec_lo, s24
.LBB270_1002:                           ;   in Loop: Header=BB270_16 Depth=1
	s_delay_alu instid0(SALU_CYCLE_1)
	s_or_b32 exec_lo, exec_lo, s23
.LBB270_1003:                           ;   in Loop: Header=BB270_16 Depth=1
	s_delay_alu instid0(SALU_CYCLE_1) | instskip(NEXT) | instid1(SALU_CYCLE_1)
	s_or_b32 exec_lo, exec_lo, s2
	s_mov_b32 s23, exec_lo
	v_cmpx_lt_u32_e32 0xffffff, v0
	s_cbranch_execz .LBB270_1011
; %bb.1004:                             ;   in Loop: Header=BB270_16 Depth=1
	v_lshrrev_b32_e32 v1, 24, v0
	v_dual_mov_b32 v2, s8 :: v_dual_mov_b32 v3, s9
	s_mov_b32 s24, exec_lo
	scratch_store_b64 off, v[2:3], s32 offset:1348 ; 8-byte Folded Spill
	v_cmpx_ne_u32_e32 0x80, v1
	s_cbranch_execz .LBB270_1010
; %bb.1005:                             ;   in Loop: Header=BB270_16 Depth=1
	s_mov_b32 s2, s8
	v_bfe_u32 v2, v0, 24, 7
	v_dual_mov_b32 v4, s3 :: v_dual_mov_b32 v3, s2
	s_mov_b32 s2, exec_lo
	scratch_store_b64 off, v[3:4], s32 offset:1348 ; 8-byte Folded Spill
	v_cmpx_ne_u32_e32 0x7f, v2
	s_cbranch_execz .LBB270_1009
; %bb.1006:                             ;   in Loop: Header=BB270_16 Depth=1
	v_and_b32_e32 v14, 7, v1
	v_lshrrev_b32_e32 v0, 3, v2
	s_mov_b32 s25, exec_lo
	v_cmpx_gt_u32_e32 8, v2
; %bb.1007:                             ;   in Loop: Header=BB270_16 Depth=1
	s_delay_alu instid0(VALU_DEP_3) | instskip(NEXT) | instid1(VALU_DEP_1)
	v_clz_i32_u32_e32 v0, v14
	v_min_u32_e32 v0, 32, v0
	s_delay_alu instid0(VALU_DEP_1) | instskip(SKIP_1) | instid1(VALU_DEP_2)
	v_subrev_nc_u32_e32 v2, 28, v0
	v_sub_nc_u32_e32 v0, 29, v0
	v_lshlrev_b64 v[2:3], v2, v[14:15]
	s_delay_alu instid0(VALU_DEP_1)
	v_and_b32_e32 v14, 7, v2
; %bb.1008:                             ;   in Loop: Header=BB270_16 Depth=1
	s_or_b32 exec_lo, exec_lo, s25
	v_lshlrev_b32_e32 v1, 24, v1
	s_delay_alu instid0(VALU_DEP_2) | instskip(SKIP_1) | instid1(VALU_DEP_3)
	v_lshlrev_b32_e32 v2, 20, v14
	v_lshl_add_u32 v0, v0, 23, 0x3c000000
	v_and_b32_e32 v1, 0x80000000, v1
	s_delay_alu instid0(VALU_DEP_1)
	v_or3_b32 v1, v2, v1, v0
	v_mov_b32_e32 v0, v15
	scratch_store_b64 off, v[0:1], s32 offset:1348 ; 8-byte Folded Spill
.LBB270_1009:                           ;   in Loop: Header=BB270_16 Depth=1
	s_or_b32 exec_lo, exec_lo, s2
.LBB270_1010:                           ;   in Loop: Header=BB270_16 Depth=1
	s_delay_alu instid0(SALU_CYCLE_1)
	s_or_b32 exec_lo, exec_lo, s24
.LBB270_1011:                           ;   in Loop: Header=BB270_16 Depth=1
	s_delay_alu instid0(SALU_CYCLE_1)
	s_or_b32 exec_lo, exec_lo, s23
	flat_load_b32 v0, v[52:53] offset:3596
	v_mov_b32_e32 v2, 0
	v_mov_b32_e32 v3, 0
	s_mov_b32 s2, exec_lo
	s_clause 0x1
	scratch_store_b64 off, v[2:3], s32 offset:1364
	scratch_store_b64 off, v[2:3], s32 offset:1372
	s_waitcnt vmcnt(0) lgkmcnt(0)
	v_and_b32_e32 v1, 0xff, v0
	s_delay_alu instid0(VALU_DEP_1)
	v_cmpx_ne_u16_e32 0, v1
	s_cbranch_execz .LBB270_1019
; %bb.1012:                             ;   in Loop: Header=BB270_16 Depth=1
	v_cmp_ne_u16_e64 s1, 0x80, v1
	v_bfrev_b32_e32 v1, 1
	v_mov_b32_e32 v2, 0
	scratch_store_b64 off, v[1:2], s32 offset:1372 ; 8-byte Folded Spill
	s_and_saveexec_b32 s23, s1
	s_cbranch_execz .LBB270_1018
; %bb.1013:                             ;   in Loop: Header=BB270_16 Depth=1
	v_mov_b32_e32 v3, 0x7f800001
	v_and_b32_e32 v2, 0x7f, v0
	v_mov_b32_e32 v4, 0
	s_mov_b32 s24, exec_lo
	scratch_store_b64 off, v[3:4], s32 offset:1372 ; 8-byte Folded Spill
	v_cmpx_ne_u32_e32 0x7f, v2
	s_cbranch_execz .LBB270_1017
; %bb.1014:                             ;   in Loop: Header=BB270_16 Depth=1
	v_and_b32_e32 v14, 7, v0
	v_lshrrev_b32_e32 v1, 3, v2
	s_mov_b32 s25, exec_lo
	v_cmpx_gt_u32_e32 8, v2
; %bb.1015:                             ;   in Loop: Header=BB270_16 Depth=1
	s_delay_alu instid0(VALU_DEP_3) | instskip(NEXT) | instid1(VALU_DEP_1)
	v_clz_i32_u32_e32 v1, v14
	v_min_u32_e32 v1, 32, v1
	s_delay_alu instid0(VALU_DEP_1) | instskip(SKIP_1) | instid1(VALU_DEP_2)
	v_subrev_nc_u32_e32 v2, 28, v1
	v_sub_nc_u32_e32 v1, 29, v1
	v_lshlrev_b64 v[2:3], v2, v[14:15]
	s_delay_alu instid0(VALU_DEP_1)
	v_and_b32_e32 v14, 7, v2
; %bb.1016:                             ;   in Loop: Header=BB270_16 Depth=1
	s_or_b32 exec_lo, exec_lo, s25
	v_lshlrev_b32_e32 v2, 24, v0
	s_delay_alu instid0(VALU_DEP_2) | instskip(SKIP_1) | instid1(VALU_DEP_3)
	v_lshlrev_b32_e32 v3, 20, v14
	v_lshl_add_u32 v1, v1, 23, 0x3c000000
	v_and_b32_e32 v2, 0x80000000, v2
	s_delay_alu instid0(VALU_DEP_1)
	v_or3_b32 v14, v3, v2, v1
	scratch_store_b64 off, v[14:15], s32 offset:1372 ; 8-byte Folded Spill
.LBB270_1017:                           ;   in Loop: Header=BB270_16 Depth=1
	s_or_b32 exec_lo, exec_lo, s24
.LBB270_1018:                           ;   in Loop: Header=BB270_16 Depth=1
	s_delay_alu instid0(SALU_CYCLE_1)
	s_or_b32 exec_lo, exec_lo, s23
.LBB270_1019:                           ;   in Loop: Header=BB270_16 Depth=1
	s_delay_alu instid0(SALU_CYCLE_1) | instskip(SKIP_2) | instid1(VALU_DEP_1)
	s_or_b32 exec_lo, exec_lo, s2
	v_lshrrev_b16 v1, 8, v0
	s_mov_b32 s23, exec_lo
	v_cmpx_ne_u16_e32 0, v1
	s_cbranch_execz .LBB270_1027
; %bb.1020:                             ;   in Loop: Header=BB270_16 Depth=1
	v_dual_mov_b32 v2, s8 :: v_dual_mov_b32 v3, s9
	s_mov_b32 s24, exec_lo
	scratch_store_b64 off, v[2:3], s32 offset:1364 ; 8-byte Folded Spill
	v_cmpx_ne_u16_e32 0x80, v1
	s_cbranch_execz .LBB270_1026
; %bb.1021:                             ;   in Loop: Header=BB270_16 Depth=1
	s_mov_b32 s2, s8
	v_dual_mov_b32 v4, s3 :: v_dual_and_b32 v1, 0xffff, v1
	v_mov_b32_e32 v3, s2
	s_mov_b32 s2, exec_lo
	s_delay_alu instid0(VALU_DEP_2)
	v_and_b32_e32 v2, 0x7f, v1
	scratch_store_b64 off, v[3:4], s32 offset:1364 ; 8-byte Folded Spill
	v_cmpx_ne_u32_e32 0x7f, v2
	s_cbranch_execz .LBB270_1025
; %bb.1022:                             ;   in Loop: Header=BB270_16 Depth=1
	v_and_b32_e32 v14, 7, v1
	v_lshrrev_b32_e32 v1, 3, v2
	s_mov_b32 s25, exec_lo
	v_cmpx_gt_u32_e32 8, v2
; %bb.1023:                             ;   in Loop: Header=BB270_16 Depth=1
	s_delay_alu instid0(VALU_DEP_3) | instskip(NEXT) | instid1(VALU_DEP_1)
	v_clz_i32_u32_e32 v1, v14
	v_min_u32_e32 v1, 32, v1
	s_delay_alu instid0(VALU_DEP_1) | instskip(SKIP_1) | instid1(VALU_DEP_2)
	v_subrev_nc_u32_e32 v2, 28, v1
	v_sub_nc_u32_e32 v1, 29, v1
	v_lshlrev_b64 v[2:3], v2, v[14:15]
	s_delay_alu instid0(VALU_DEP_1)
	v_and_b32_e32 v14, 7, v2
; %bb.1024:                             ;   in Loop: Header=BB270_16 Depth=1
	s_or_b32 exec_lo, exec_lo, s25
	v_lshlrev_b32_e32 v2, 16, v0
	s_delay_alu instid0(VALU_DEP_2) | instskip(SKIP_1) | instid1(VALU_DEP_3)
	v_lshlrev_b32_e32 v3, 20, v14
	v_lshl_add_u32 v1, v1, 23, 0x3c000000
	v_and_b32_e32 v2, 0x80000000, v2
	s_delay_alu instid0(VALU_DEP_1)
	v_or3_b32 v2, v3, v2, v1
	v_mov_b32_e32 v1, v15
	scratch_store_b64 off, v[1:2], s32 offset:1364 ; 8-byte Folded Spill
.LBB270_1025:                           ;   in Loop: Header=BB270_16 Depth=1
	s_or_b32 exec_lo, exec_lo, s2
.LBB270_1026:                           ;   in Loop: Header=BB270_16 Depth=1
	s_delay_alu instid0(SALU_CYCLE_1)
	s_or_b32 exec_lo, exec_lo, s24
.LBB270_1027:                           ;   in Loop: Header=BB270_16 Depth=1
	s_delay_alu instid0(SALU_CYCLE_1)
	s_or_b32 exec_lo, exec_lo, s23
	v_lshrrev_b32_e32 v1, 16, v0
	v_mov_b32_e32 v3, 0
	v_mov_b32_e32 v4, 0
	s_mov_b32 s2, exec_lo
	s_clause 0x1
	scratch_store_b64 off, v[3:4], s32 offset:1380
	scratch_store_b64 off, v[3:4], s32 offset:1388
	v_and_b32_e32 v2, 0xff, v1
	s_delay_alu instid0(VALU_DEP_1)
	v_cmpx_ne_u16_e32 0, v2
	s_cbranch_execz .LBB270_1035
; %bb.1028:                             ;   in Loop: Header=BB270_16 Depth=1
	v_cmp_ne_u16_e64 s1, 0x80, v2
	v_bfrev_b32_e32 v2, 1
	v_mov_b32_e32 v3, 0
	scratch_store_b64 off, v[2:3], s32 offset:1388 ; 8-byte Folded Spill
	s_and_saveexec_b32 s23, s1
	s_cbranch_execz .LBB270_1034
; %bb.1029:                             ;   in Loop: Header=BB270_16 Depth=1
	v_mov_b32_e32 v4, 0x7f800001
	v_bfe_u32 v3, v0, 16, 7
	v_mov_b32_e32 v5, 0
	s_mov_b32 s24, exec_lo
	scratch_store_b64 off, v[4:5], s32 offset:1388 ; 8-byte Folded Spill
	v_cmpx_ne_u32_e32 0x7f, v3
	s_cbranch_execz .LBB270_1033
; %bb.1030:                             ;   in Loop: Header=BB270_16 Depth=1
	v_and_b32_e32 v14, 7, v1
	v_lshrrev_b32_e32 v2, 3, v3
	s_mov_b32 s25, exec_lo
	v_cmpx_gt_u32_e32 8, v3
; %bb.1031:                             ;   in Loop: Header=BB270_16 Depth=1
	s_delay_alu instid0(VALU_DEP_3) | instskip(NEXT) | instid1(VALU_DEP_1)
	v_clz_i32_u32_e32 v2, v14
	v_min_u32_e32 v2, 32, v2
	s_delay_alu instid0(VALU_DEP_1) | instskip(SKIP_1) | instid1(VALU_DEP_2)
	v_subrev_nc_u32_e32 v3, 28, v2
	v_sub_nc_u32_e32 v2, 29, v2
	v_lshlrev_b64 v[3:4], v3, v[14:15]
	s_delay_alu instid0(VALU_DEP_1)
	v_and_b32_e32 v14, 7, v3
; %bb.1032:                             ;   in Loop: Header=BB270_16 Depth=1
	s_or_b32 exec_lo, exec_lo, s25
	v_lshlrev_b32_e32 v1, 24, v1
	s_delay_alu instid0(VALU_DEP_2) | instskip(SKIP_1) | instid1(VALU_DEP_3)
	v_lshlrev_b32_e32 v3, 20, v14
	v_lshl_add_u32 v2, v2, 23, 0x3c000000
	v_and_b32_e32 v1, 0x80000000, v1
	s_delay_alu instid0(VALU_DEP_1)
	v_or3_b32 v14, v3, v1, v2
	scratch_store_b64 off, v[14:15], s32 offset:1388 ; 8-byte Folded Spill
.LBB270_1033:                           ;   in Loop: Header=BB270_16 Depth=1
	s_or_b32 exec_lo, exec_lo, s24
.LBB270_1034:                           ;   in Loop: Header=BB270_16 Depth=1
	s_delay_alu instid0(SALU_CYCLE_1)
	s_or_b32 exec_lo, exec_lo, s23
.LBB270_1035:                           ;   in Loop: Header=BB270_16 Depth=1
	s_delay_alu instid0(SALU_CYCLE_1) | instskip(NEXT) | instid1(SALU_CYCLE_1)
	s_or_b32 exec_lo, exec_lo, s2
	s_mov_b32 s23, exec_lo
	v_cmpx_lt_u32_e32 0xffffff, v0
	s_cbranch_execz .LBB270_1043
; %bb.1036:                             ;   in Loop: Header=BB270_16 Depth=1
	v_lshrrev_b32_e32 v1, 24, v0
	v_dual_mov_b32 v2, s8 :: v_dual_mov_b32 v3, s9
	s_mov_b32 s24, exec_lo
	scratch_store_b64 off, v[2:3], s32 offset:1380 ; 8-byte Folded Spill
	v_cmpx_ne_u32_e32 0x80, v1
	s_cbranch_execz .LBB270_1042
; %bb.1037:                             ;   in Loop: Header=BB270_16 Depth=1
	s_mov_b32 s2, s8
	v_bfe_u32 v2, v0, 24, 7
	v_dual_mov_b32 v4, s3 :: v_dual_mov_b32 v3, s2
	s_mov_b32 s2, exec_lo
	scratch_store_b64 off, v[3:4], s32 offset:1380 ; 8-byte Folded Spill
	v_cmpx_ne_u32_e32 0x7f, v2
	s_cbranch_execz .LBB270_1041
; %bb.1038:                             ;   in Loop: Header=BB270_16 Depth=1
	v_and_b32_e32 v14, 7, v1
	v_lshrrev_b32_e32 v0, 3, v2
	s_mov_b32 s25, exec_lo
	v_cmpx_gt_u32_e32 8, v2
; %bb.1039:                             ;   in Loop: Header=BB270_16 Depth=1
	s_delay_alu instid0(VALU_DEP_3) | instskip(NEXT) | instid1(VALU_DEP_1)
	v_clz_i32_u32_e32 v0, v14
	v_min_u32_e32 v0, 32, v0
	s_delay_alu instid0(VALU_DEP_1) | instskip(SKIP_1) | instid1(VALU_DEP_2)
	v_subrev_nc_u32_e32 v2, 28, v0
	v_sub_nc_u32_e32 v0, 29, v0
	v_lshlrev_b64 v[2:3], v2, v[14:15]
	s_delay_alu instid0(VALU_DEP_1)
	v_and_b32_e32 v14, 7, v2
; %bb.1040:                             ;   in Loop: Header=BB270_16 Depth=1
	s_or_b32 exec_lo, exec_lo, s25
	v_lshlrev_b32_e32 v1, 24, v1
	s_delay_alu instid0(VALU_DEP_2) | instskip(SKIP_1) | instid1(VALU_DEP_3)
	v_lshlrev_b32_e32 v2, 20, v14
	v_lshl_add_u32 v0, v0, 23, 0x3c000000
	v_and_b32_e32 v1, 0x80000000, v1
	s_delay_alu instid0(VALU_DEP_1)
	v_or3_b32 v1, v2, v1, v0
	v_mov_b32_e32 v0, v15
	scratch_store_b64 off, v[0:1], s32 offset:1380 ; 8-byte Folded Spill
.LBB270_1041:                           ;   in Loop: Header=BB270_16 Depth=1
	s_or_b32 exec_lo, exec_lo, s2
.LBB270_1042:                           ;   in Loop: Header=BB270_16 Depth=1
	s_delay_alu instid0(SALU_CYCLE_1)
	s_or_b32 exec_lo, exec_lo, s24
.LBB270_1043:                           ;   in Loop: Header=BB270_16 Depth=1
	s_delay_alu instid0(SALU_CYCLE_1) | instskip(SKIP_1) | instid1(VALU_DEP_1)
	s_or_b32 exec_lo, exec_lo, s23
	v_add_co_u32 v24, s1, 0x1000, v52
	v_add_co_ci_u32_e64 v25, s1, 0, v53, s1
	s_mov_b32 s2, exec_lo
	flat_load_b32 v0, v[24:25]
	v_mov_b32_e32 v2, 0
	v_mov_b32_e32 v3, 0
	s_clause 0x1
	scratch_store_b64 off, v[2:3], s32 offset:1396
	scratch_store_b64 off, v[2:3], s32 offset:1404
	s_waitcnt vmcnt(0) lgkmcnt(0)
	v_and_b32_e32 v1, 0xff, v0
	s_delay_alu instid0(VALU_DEP_1)
	v_cmpx_ne_u16_e32 0, v1
	s_cbranch_execz .LBB270_1051
; %bb.1044:                             ;   in Loop: Header=BB270_16 Depth=1
	v_cmp_ne_u16_e64 s1, 0x80, v1
	v_bfrev_b32_e32 v1, 1
	v_mov_b32_e32 v2, 0
	scratch_store_b64 off, v[1:2], s32 offset:1404 ; 8-byte Folded Spill
	s_and_saveexec_b32 s23, s1
	s_cbranch_execz .LBB270_1050
; %bb.1045:                             ;   in Loop: Header=BB270_16 Depth=1
	v_mov_b32_e32 v3, 0x7f800001
	v_and_b32_e32 v2, 0x7f, v0
	v_mov_b32_e32 v4, 0
	s_mov_b32 s24, exec_lo
	scratch_store_b64 off, v[3:4], s32 offset:1404 ; 8-byte Folded Spill
	v_cmpx_ne_u32_e32 0x7f, v2
	s_cbranch_execz .LBB270_1049
; %bb.1046:                             ;   in Loop: Header=BB270_16 Depth=1
	v_and_b32_e32 v14, 7, v0
	v_lshrrev_b32_e32 v1, 3, v2
	s_mov_b32 s25, exec_lo
	v_cmpx_gt_u32_e32 8, v2
; %bb.1047:                             ;   in Loop: Header=BB270_16 Depth=1
	s_delay_alu instid0(VALU_DEP_3) | instskip(NEXT) | instid1(VALU_DEP_1)
	v_clz_i32_u32_e32 v1, v14
	v_min_u32_e32 v1, 32, v1
	s_delay_alu instid0(VALU_DEP_1) | instskip(SKIP_1) | instid1(VALU_DEP_2)
	v_subrev_nc_u32_e32 v2, 28, v1
	v_sub_nc_u32_e32 v1, 29, v1
	v_lshlrev_b64 v[2:3], v2, v[14:15]
	s_delay_alu instid0(VALU_DEP_1)
	v_and_b32_e32 v14, 7, v2
; %bb.1048:                             ;   in Loop: Header=BB270_16 Depth=1
	s_or_b32 exec_lo, exec_lo, s25
	v_lshlrev_b32_e32 v2, 24, v0
	s_delay_alu instid0(VALU_DEP_2) | instskip(SKIP_1) | instid1(VALU_DEP_3)
	v_lshlrev_b32_e32 v3, 20, v14
	v_lshl_add_u32 v1, v1, 23, 0x3c000000
	v_and_b32_e32 v2, 0x80000000, v2
	s_delay_alu instid0(VALU_DEP_1)
	v_or3_b32 v14, v3, v2, v1
	scratch_store_b64 off, v[14:15], s32 offset:1404 ; 8-byte Folded Spill
.LBB270_1049:                           ;   in Loop: Header=BB270_16 Depth=1
	s_or_b32 exec_lo, exec_lo, s24
.LBB270_1050:                           ;   in Loop: Header=BB270_16 Depth=1
	s_delay_alu instid0(SALU_CYCLE_1)
	s_or_b32 exec_lo, exec_lo, s23
.LBB270_1051:                           ;   in Loop: Header=BB270_16 Depth=1
	s_delay_alu instid0(SALU_CYCLE_1) | instskip(SKIP_2) | instid1(VALU_DEP_1)
	s_or_b32 exec_lo, exec_lo, s2
	v_lshrrev_b16 v1, 8, v0
	s_mov_b32 s23, exec_lo
	v_cmpx_ne_u16_e32 0, v1
	s_cbranch_execz .LBB270_1059
; %bb.1052:                             ;   in Loop: Header=BB270_16 Depth=1
	v_dual_mov_b32 v2, s8 :: v_dual_mov_b32 v3, s9
	s_mov_b32 s24, exec_lo
	scratch_store_b64 off, v[2:3], s32 offset:1396 ; 8-byte Folded Spill
	v_cmpx_ne_u16_e32 0x80, v1
	s_cbranch_execz .LBB270_1058
; %bb.1053:                             ;   in Loop: Header=BB270_16 Depth=1
	s_mov_b32 s2, s8
	v_dual_mov_b32 v4, s3 :: v_dual_and_b32 v1, 0xffff, v1
	v_mov_b32_e32 v3, s2
	s_mov_b32 s2, exec_lo
	s_delay_alu instid0(VALU_DEP_2)
	v_and_b32_e32 v2, 0x7f, v1
	scratch_store_b64 off, v[3:4], s32 offset:1396 ; 8-byte Folded Spill
	v_cmpx_ne_u32_e32 0x7f, v2
	s_cbranch_execz .LBB270_1057
; %bb.1054:                             ;   in Loop: Header=BB270_16 Depth=1
	v_and_b32_e32 v14, 7, v1
	v_lshrrev_b32_e32 v1, 3, v2
	s_mov_b32 s25, exec_lo
	v_cmpx_gt_u32_e32 8, v2
; %bb.1055:                             ;   in Loop: Header=BB270_16 Depth=1
	s_delay_alu instid0(VALU_DEP_3) | instskip(NEXT) | instid1(VALU_DEP_1)
	v_clz_i32_u32_e32 v1, v14
	v_min_u32_e32 v1, 32, v1
	s_delay_alu instid0(VALU_DEP_1) | instskip(SKIP_1) | instid1(VALU_DEP_2)
	v_subrev_nc_u32_e32 v2, 28, v1
	v_sub_nc_u32_e32 v1, 29, v1
	v_lshlrev_b64 v[2:3], v2, v[14:15]
	s_delay_alu instid0(VALU_DEP_1)
	v_and_b32_e32 v14, 7, v2
; %bb.1056:                             ;   in Loop: Header=BB270_16 Depth=1
	s_or_b32 exec_lo, exec_lo, s25
	v_lshlrev_b32_e32 v2, 16, v0
	s_delay_alu instid0(VALU_DEP_2) | instskip(SKIP_1) | instid1(VALU_DEP_3)
	v_lshlrev_b32_e32 v3, 20, v14
	v_lshl_add_u32 v1, v1, 23, 0x3c000000
	v_and_b32_e32 v2, 0x80000000, v2
	s_delay_alu instid0(VALU_DEP_1)
	v_or3_b32 v2, v3, v2, v1
	v_mov_b32_e32 v1, v15
	scratch_store_b64 off, v[1:2], s32 offset:1396 ; 8-byte Folded Spill
.LBB270_1057:                           ;   in Loop: Header=BB270_16 Depth=1
	s_or_b32 exec_lo, exec_lo, s2
.LBB270_1058:                           ;   in Loop: Header=BB270_16 Depth=1
	s_delay_alu instid0(SALU_CYCLE_1)
	s_or_b32 exec_lo, exec_lo, s24
.LBB270_1059:                           ;   in Loop: Header=BB270_16 Depth=1
	s_delay_alu instid0(SALU_CYCLE_1)
	s_or_b32 exec_lo, exec_lo, s23
	v_lshrrev_b32_e32 v1, 16, v0
	v_mov_b32_e32 v3, 0
	v_mov_b32_e32 v4, 0
	s_mov_b32 s2, exec_lo
	s_clause 0x1
	scratch_store_b64 off, v[3:4], s32 offset:1412
	scratch_store_b64 off, v[3:4], s32 offset:1420
	v_and_b32_e32 v2, 0xff, v1
	s_delay_alu instid0(VALU_DEP_1)
	v_cmpx_ne_u16_e32 0, v2
	s_cbranch_execz .LBB270_1067
; %bb.1060:                             ;   in Loop: Header=BB270_16 Depth=1
	v_cmp_ne_u16_e64 s1, 0x80, v2
	v_bfrev_b32_e32 v2, 1
	v_mov_b32_e32 v3, 0
	scratch_store_b64 off, v[2:3], s32 offset:1420 ; 8-byte Folded Spill
	s_and_saveexec_b32 s23, s1
	s_cbranch_execz .LBB270_1066
; %bb.1061:                             ;   in Loop: Header=BB270_16 Depth=1
	v_mov_b32_e32 v4, 0x7f800001
	v_bfe_u32 v3, v0, 16, 7
	v_mov_b32_e32 v5, 0
	s_mov_b32 s24, exec_lo
	scratch_store_b64 off, v[4:5], s32 offset:1420 ; 8-byte Folded Spill
	v_cmpx_ne_u32_e32 0x7f, v3
	s_cbranch_execz .LBB270_1065
; %bb.1062:                             ;   in Loop: Header=BB270_16 Depth=1
	v_and_b32_e32 v14, 7, v1
	v_lshrrev_b32_e32 v2, 3, v3
	s_mov_b32 s25, exec_lo
	v_cmpx_gt_u32_e32 8, v3
; %bb.1063:                             ;   in Loop: Header=BB270_16 Depth=1
	s_delay_alu instid0(VALU_DEP_3) | instskip(NEXT) | instid1(VALU_DEP_1)
	v_clz_i32_u32_e32 v2, v14
	v_min_u32_e32 v2, 32, v2
	s_delay_alu instid0(VALU_DEP_1) | instskip(SKIP_1) | instid1(VALU_DEP_2)
	v_subrev_nc_u32_e32 v3, 28, v2
	v_sub_nc_u32_e32 v2, 29, v2
	v_lshlrev_b64 v[3:4], v3, v[14:15]
	s_delay_alu instid0(VALU_DEP_1)
	v_and_b32_e32 v14, 7, v3
; %bb.1064:                             ;   in Loop: Header=BB270_16 Depth=1
	s_or_b32 exec_lo, exec_lo, s25
	v_lshlrev_b32_e32 v1, 24, v1
	s_delay_alu instid0(VALU_DEP_2) | instskip(SKIP_1) | instid1(VALU_DEP_3)
	v_lshlrev_b32_e32 v3, 20, v14
	v_lshl_add_u32 v2, v2, 23, 0x3c000000
	v_and_b32_e32 v1, 0x80000000, v1
	s_delay_alu instid0(VALU_DEP_1)
	v_or3_b32 v14, v3, v1, v2
	scratch_store_b64 off, v[14:15], s32 offset:1420 ; 8-byte Folded Spill
.LBB270_1065:                           ;   in Loop: Header=BB270_16 Depth=1
	s_or_b32 exec_lo, exec_lo, s24
.LBB270_1066:                           ;   in Loop: Header=BB270_16 Depth=1
	s_delay_alu instid0(SALU_CYCLE_1)
	s_or_b32 exec_lo, exec_lo, s23
.LBB270_1067:                           ;   in Loop: Header=BB270_16 Depth=1
	s_delay_alu instid0(SALU_CYCLE_1) | instskip(NEXT) | instid1(SALU_CYCLE_1)
	s_or_b32 exec_lo, exec_lo, s2
	s_mov_b32 s23, exec_lo
	v_cmpx_lt_u32_e32 0xffffff, v0
	s_cbranch_execz .LBB270_1075
; %bb.1068:                             ;   in Loop: Header=BB270_16 Depth=1
	v_lshrrev_b32_e32 v1, 24, v0
	v_dual_mov_b32 v2, s8 :: v_dual_mov_b32 v3, s9
	s_mov_b32 s24, exec_lo
	scratch_store_b64 off, v[2:3], s32 offset:1412 ; 8-byte Folded Spill
	v_cmpx_ne_u32_e32 0x80, v1
	s_cbranch_execz .LBB270_1074
; %bb.1069:                             ;   in Loop: Header=BB270_16 Depth=1
	s_mov_b32 s2, s8
	v_bfe_u32 v2, v0, 24, 7
	v_dual_mov_b32 v4, s3 :: v_dual_mov_b32 v3, s2
	s_mov_b32 s2, exec_lo
	scratch_store_b64 off, v[3:4], s32 offset:1412 ; 8-byte Folded Spill
	v_cmpx_ne_u32_e32 0x7f, v2
	s_cbranch_execz .LBB270_1073
; %bb.1070:                             ;   in Loop: Header=BB270_16 Depth=1
	v_and_b32_e32 v14, 7, v1
	v_lshrrev_b32_e32 v0, 3, v2
	s_mov_b32 s25, exec_lo
	v_cmpx_gt_u32_e32 8, v2
; %bb.1071:                             ;   in Loop: Header=BB270_16 Depth=1
	s_delay_alu instid0(VALU_DEP_3) | instskip(NEXT) | instid1(VALU_DEP_1)
	v_clz_i32_u32_e32 v0, v14
	v_min_u32_e32 v0, 32, v0
	s_delay_alu instid0(VALU_DEP_1) | instskip(SKIP_1) | instid1(VALU_DEP_2)
	v_subrev_nc_u32_e32 v2, 28, v0
	v_sub_nc_u32_e32 v0, 29, v0
	v_lshlrev_b64 v[2:3], v2, v[14:15]
	s_delay_alu instid0(VALU_DEP_1)
	v_and_b32_e32 v14, 7, v2
; %bb.1072:                             ;   in Loop: Header=BB270_16 Depth=1
	s_or_b32 exec_lo, exec_lo, s25
	v_lshlrev_b32_e32 v1, 24, v1
	s_delay_alu instid0(VALU_DEP_2) | instskip(SKIP_1) | instid1(VALU_DEP_3)
	v_lshlrev_b32_e32 v2, 20, v14
	v_lshl_add_u32 v0, v0, 23, 0x3c000000
	v_and_b32_e32 v1, 0x80000000, v1
	s_delay_alu instid0(VALU_DEP_1)
	v_or3_b32 v1, v2, v1, v0
	v_mov_b32_e32 v0, v15
	scratch_store_b64 off, v[0:1], s32 offset:1412 ; 8-byte Folded Spill
.LBB270_1073:                           ;   in Loop: Header=BB270_16 Depth=1
	s_or_b32 exec_lo, exec_lo, s2
.LBB270_1074:                           ;   in Loop: Header=BB270_16 Depth=1
	s_delay_alu instid0(SALU_CYCLE_1)
	s_or_b32 exec_lo, exec_lo, s24
.LBB270_1075:                           ;   in Loop: Header=BB270_16 Depth=1
	s_delay_alu instid0(SALU_CYCLE_1)
	s_or_b32 exec_lo, exec_lo, s23
	flat_load_b32 v0, v[24:25] offset:4
	v_mov_b32_e32 v2, 0
	v_mov_b32_e32 v3, 0
	s_mov_b32 s2, exec_lo
	s_clause 0x1
	scratch_store_b64 off, v[2:3], s32 offset:1428
	scratch_store_b64 off, v[2:3], s32 offset:1436
	s_waitcnt vmcnt(0) lgkmcnt(0)
	v_and_b32_e32 v1, 0xff, v0
	s_delay_alu instid0(VALU_DEP_1)
	v_cmpx_ne_u16_e32 0, v1
	s_cbranch_execz .LBB270_1083
; %bb.1076:                             ;   in Loop: Header=BB270_16 Depth=1
	v_cmp_ne_u16_e64 s1, 0x80, v1
	v_bfrev_b32_e32 v1, 1
	v_mov_b32_e32 v2, 0
	scratch_store_b64 off, v[1:2], s32 offset:1436 ; 8-byte Folded Spill
	s_and_saveexec_b32 s23, s1
	s_cbranch_execz .LBB270_1082
; %bb.1077:                             ;   in Loop: Header=BB270_16 Depth=1
	v_mov_b32_e32 v3, 0x7f800001
	v_and_b32_e32 v2, 0x7f, v0
	v_mov_b32_e32 v4, 0
	s_mov_b32 s24, exec_lo
	scratch_store_b64 off, v[3:4], s32 offset:1436 ; 8-byte Folded Spill
	v_cmpx_ne_u32_e32 0x7f, v2
	s_cbranch_execz .LBB270_1081
; %bb.1078:                             ;   in Loop: Header=BB270_16 Depth=1
	v_and_b32_e32 v14, 7, v0
	v_lshrrev_b32_e32 v1, 3, v2
	s_mov_b32 s25, exec_lo
	v_cmpx_gt_u32_e32 8, v2
; %bb.1079:                             ;   in Loop: Header=BB270_16 Depth=1
	s_delay_alu instid0(VALU_DEP_3) | instskip(NEXT) | instid1(VALU_DEP_1)
	v_clz_i32_u32_e32 v1, v14
	v_min_u32_e32 v1, 32, v1
	s_delay_alu instid0(VALU_DEP_1) | instskip(SKIP_1) | instid1(VALU_DEP_2)
	v_subrev_nc_u32_e32 v2, 28, v1
	v_sub_nc_u32_e32 v1, 29, v1
	v_lshlrev_b64 v[2:3], v2, v[14:15]
	s_delay_alu instid0(VALU_DEP_1)
	v_and_b32_e32 v14, 7, v2
; %bb.1080:                             ;   in Loop: Header=BB270_16 Depth=1
	s_or_b32 exec_lo, exec_lo, s25
	v_lshlrev_b32_e32 v2, 24, v0
	s_delay_alu instid0(VALU_DEP_2) | instskip(SKIP_1) | instid1(VALU_DEP_3)
	v_lshlrev_b32_e32 v3, 20, v14
	v_lshl_add_u32 v1, v1, 23, 0x3c000000
	v_and_b32_e32 v2, 0x80000000, v2
	s_delay_alu instid0(VALU_DEP_1)
	v_or3_b32 v14, v3, v2, v1
	scratch_store_b64 off, v[14:15], s32 offset:1436 ; 8-byte Folded Spill
.LBB270_1081:                           ;   in Loop: Header=BB270_16 Depth=1
	s_or_b32 exec_lo, exec_lo, s24
.LBB270_1082:                           ;   in Loop: Header=BB270_16 Depth=1
	s_delay_alu instid0(SALU_CYCLE_1)
	s_or_b32 exec_lo, exec_lo, s23
.LBB270_1083:                           ;   in Loop: Header=BB270_16 Depth=1
	s_delay_alu instid0(SALU_CYCLE_1) | instskip(SKIP_2) | instid1(VALU_DEP_1)
	s_or_b32 exec_lo, exec_lo, s2
	v_lshrrev_b16 v1, 8, v0
	s_mov_b32 s23, exec_lo
	v_cmpx_ne_u16_e32 0, v1
	s_cbranch_execz .LBB270_1091
; %bb.1084:                             ;   in Loop: Header=BB270_16 Depth=1
	v_dual_mov_b32 v2, s8 :: v_dual_mov_b32 v3, s9
	s_mov_b32 s24, exec_lo
	scratch_store_b64 off, v[2:3], s32 offset:1428 ; 8-byte Folded Spill
	v_cmpx_ne_u16_e32 0x80, v1
	s_cbranch_execz .LBB270_1090
; %bb.1085:                             ;   in Loop: Header=BB270_16 Depth=1
	s_mov_b32 s2, s8
	v_dual_mov_b32 v4, s3 :: v_dual_and_b32 v1, 0xffff, v1
	v_mov_b32_e32 v3, s2
	s_mov_b32 s2, exec_lo
	s_delay_alu instid0(VALU_DEP_2)
	v_and_b32_e32 v2, 0x7f, v1
	scratch_store_b64 off, v[3:4], s32 offset:1428 ; 8-byte Folded Spill
	v_cmpx_ne_u32_e32 0x7f, v2
	s_cbranch_execz .LBB270_1089
; %bb.1086:                             ;   in Loop: Header=BB270_16 Depth=1
	v_and_b32_e32 v14, 7, v1
	v_lshrrev_b32_e32 v1, 3, v2
	s_mov_b32 s25, exec_lo
	v_cmpx_gt_u32_e32 8, v2
; %bb.1087:                             ;   in Loop: Header=BB270_16 Depth=1
	s_delay_alu instid0(VALU_DEP_3) | instskip(NEXT) | instid1(VALU_DEP_1)
	v_clz_i32_u32_e32 v1, v14
	v_min_u32_e32 v1, 32, v1
	s_delay_alu instid0(VALU_DEP_1) | instskip(SKIP_1) | instid1(VALU_DEP_2)
	v_subrev_nc_u32_e32 v2, 28, v1
	v_sub_nc_u32_e32 v1, 29, v1
	v_lshlrev_b64 v[2:3], v2, v[14:15]
	s_delay_alu instid0(VALU_DEP_1)
	v_and_b32_e32 v14, 7, v2
; %bb.1088:                             ;   in Loop: Header=BB270_16 Depth=1
	s_or_b32 exec_lo, exec_lo, s25
	v_lshlrev_b32_e32 v2, 16, v0
	s_delay_alu instid0(VALU_DEP_2) | instskip(SKIP_1) | instid1(VALU_DEP_3)
	v_lshlrev_b32_e32 v3, 20, v14
	v_lshl_add_u32 v1, v1, 23, 0x3c000000
	v_and_b32_e32 v2, 0x80000000, v2
	s_delay_alu instid0(VALU_DEP_1)
	v_or3_b32 v2, v3, v2, v1
	v_mov_b32_e32 v1, v15
	scratch_store_b64 off, v[1:2], s32 offset:1428 ; 8-byte Folded Spill
.LBB270_1089:                           ;   in Loop: Header=BB270_16 Depth=1
	s_or_b32 exec_lo, exec_lo, s2
.LBB270_1090:                           ;   in Loop: Header=BB270_16 Depth=1
	s_delay_alu instid0(SALU_CYCLE_1)
	s_or_b32 exec_lo, exec_lo, s24
.LBB270_1091:                           ;   in Loop: Header=BB270_16 Depth=1
	s_delay_alu instid0(SALU_CYCLE_1)
	s_or_b32 exec_lo, exec_lo, s23
	v_lshrrev_b32_e32 v1, 16, v0
	v_mov_b32_e32 v3, 0
	v_mov_b32_e32 v4, 0
	s_mov_b32 s2, exec_lo
	s_clause 0x1
	scratch_store_b64 off, v[3:4], s32 offset:1444
	scratch_store_b64 off, v[3:4], s32 offset:1452
	v_and_b32_e32 v2, 0xff, v1
	s_delay_alu instid0(VALU_DEP_1)
	v_cmpx_ne_u16_e32 0, v2
	s_cbranch_execz .LBB270_1099
; %bb.1092:                             ;   in Loop: Header=BB270_16 Depth=1
	v_cmp_ne_u16_e64 s1, 0x80, v2
	v_bfrev_b32_e32 v2, 1
	v_mov_b32_e32 v3, 0
	scratch_store_b64 off, v[2:3], s32 offset:1452 ; 8-byte Folded Spill
	s_and_saveexec_b32 s23, s1
	s_cbranch_execz .LBB270_1098
; %bb.1093:                             ;   in Loop: Header=BB270_16 Depth=1
	v_mov_b32_e32 v4, 0x7f800001
	v_bfe_u32 v3, v0, 16, 7
	v_mov_b32_e32 v5, 0
	s_mov_b32 s24, exec_lo
	scratch_store_b64 off, v[4:5], s32 offset:1452 ; 8-byte Folded Spill
	v_cmpx_ne_u32_e32 0x7f, v3
	s_cbranch_execz .LBB270_1097
; %bb.1094:                             ;   in Loop: Header=BB270_16 Depth=1
	v_and_b32_e32 v14, 7, v1
	v_lshrrev_b32_e32 v2, 3, v3
	s_mov_b32 s25, exec_lo
	v_cmpx_gt_u32_e32 8, v3
; %bb.1095:                             ;   in Loop: Header=BB270_16 Depth=1
	s_delay_alu instid0(VALU_DEP_3) | instskip(NEXT) | instid1(VALU_DEP_1)
	v_clz_i32_u32_e32 v2, v14
	v_min_u32_e32 v2, 32, v2
	s_delay_alu instid0(VALU_DEP_1) | instskip(SKIP_1) | instid1(VALU_DEP_2)
	v_subrev_nc_u32_e32 v3, 28, v2
	v_sub_nc_u32_e32 v2, 29, v2
	v_lshlrev_b64 v[3:4], v3, v[14:15]
	s_delay_alu instid0(VALU_DEP_1)
	v_and_b32_e32 v14, 7, v3
; %bb.1096:                             ;   in Loop: Header=BB270_16 Depth=1
	s_or_b32 exec_lo, exec_lo, s25
	v_lshlrev_b32_e32 v1, 24, v1
	s_delay_alu instid0(VALU_DEP_2) | instskip(SKIP_1) | instid1(VALU_DEP_3)
	v_lshlrev_b32_e32 v3, 20, v14
	v_lshl_add_u32 v2, v2, 23, 0x3c000000
	v_and_b32_e32 v1, 0x80000000, v1
	s_delay_alu instid0(VALU_DEP_1)
	v_or3_b32 v14, v3, v1, v2
	scratch_store_b64 off, v[14:15], s32 offset:1452 ; 8-byte Folded Spill
.LBB270_1097:                           ;   in Loop: Header=BB270_16 Depth=1
	s_or_b32 exec_lo, exec_lo, s24
.LBB270_1098:                           ;   in Loop: Header=BB270_16 Depth=1
	s_delay_alu instid0(SALU_CYCLE_1)
	s_or_b32 exec_lo, exec_lo, s23
.LBB270_1099:                           ;   in Loop: Header=BB270_16 Depth=1
	s_delay_alu instid0(SALU_CYCLE_1) | instskip(NEXT) | instid1(SALU_CYCLE_1)
	s_or_b32 exec_lo, exec_lo, s2
	s_mov_b32 s23, exec_lo
	v_cmpx_lt_u32_e32 0xffffff, v0
	s_cbranch_execz .LBB270_1107
; %bb.1100:                             ;   in Loop: Header=BB270_16 Depth=1
	v_lshrrev_b32_e32 v1, 24, v0
	v_dual_mov_b32 v2, s8 :: v_dual_mov_b32 v3, s9
	s_mov_b32 s24, exec_lo
	scratch_store_b64 off, v[2:3], s32 offset:1444 ; 8-byte Folded Spill
	v_cmpx_ne_u32_e32 0x80, v1
	s_cbranch_execz .LBB270_1106
; %bb.1101:                             ;   in Loop: Header=BB270_16 Depth=1
	s_mov_b32 s2, s8
	v_bfe_u32 v2, v0, 24, 7
	v_dual_mov_b32 v4, s3 :: v_dual_mov_b32 v3, s2
	s_mov_b32 s2, exec_lo
	scratch_store_b64 off, v[3:4], s32 offset:1444 ; 8-byte Folded Spill
	v_cmpx_ne_u32_e32 0x7f, v2
	s_cbranch_execz .LBB270_1105
; %bb.1102:                             ;   in Loop: Header=BB270_16 Depth=1
	v_and_b32_e32 v14, 7, v1
	v_lshrrev_b32_e32 v0, 3, v2
	s_mov_b32 s25, exec_lo
	v_cmpx_gt_u32_e32 8, v2
; %bb.1103:                             ;   in Loop: Header=BB270_16 Depth=1
	s_delay_alu instid0(VALU_DEP_3) | instskip(NEXT) | instid1(VALU_DEP_1)
	v_clz_i32_u32_e32 v0, v14
	v_min_u32_e32 v0, 32, v0
	s_delay_alu instid0(VALU_DEP_1) | instskip(SKIP_1) | instid1(VALU_DEP_2)
	v_subrev_nc_u32_e32 v2, 28, v0
	v_sub_nc_u32_e32 v0, 29, v0
	v_lshlrev_b64 v[2:3], v2, v[14:15]
	s_delay_alu instid0(VALU_DEP_1)
	v_and_b32_e32 v14, 7, v2
; %bb.1104:                             ;   in Loop: Header=BB270_16 Depth=1
	s_or_b32 exec_lo, exec_lo, s25
	v_lshlrev_b32_e32 v1, 24, v1
	s_delay_alu instid0(VALU_DEP_2) | instskip(SKIP_1) | instid1(VALU_DEP_3)
	v_lshlrev_b32_e32 v2, 20, v14
	v_lshl_add_u32 v0, v0, 23, 0x3c000000
	v_and_b32_e32 v1, 0x80000000, v1
	s_delay_alu instid0(VALU_DEP_1)
	v_or3_b32 v1, v2, v1, v0
	v_mov_b32_e32 v0, v15
	scratch_store_b64 off, v[0:1], s32 offset:1444 ; 8-byte Folded Spill
.LBB270_1105:                           ;   in Loop: Header=BB270_16 Depth=1
	s_or_b32 exec_lo, exec_lo, s2
.LBB270_1106:                           ;   in Loop: Header=BB270_16 Depth=1
	s_delay_alu instid0(SALU_CYCLE_1)
	s_or_b32 exec_lo, exec_lo, s24
.LBB270_1107:                           ;   in Loop: Header=BB270_16 Depth=1
	s_delay_alu instid0(SALU_CYCLE_1)
	s_or_b32 exec_lo, exec_lo, s23
	flat_load_b32 v0, v[24:25] offset:8
	v_mov_b32_e32 v2, 0
	v_mov_b32_e32 v3, 0
	s_mov_b32 s2, exec_lo
	s_clause 0x1
	scratch_store_b64 off, v[2:3], s32 offset:1460
	scratch_store_b64 off, v[2:3], s32 offset:1468
	s_waitcnt vmcnt(0) lgkmcnt(0)
	v_and_b32_e32 v1, 0xff, v0
	s_delay_alu instid0(VALU_DEP_1)
	v_cmpx_ne_u16_e32 0, v1
	s_cbranch_execz .LBB270_1115
; %bb.1108:                             ;   in Loop: Header=BB270_16 Depth=1
	v_cmp_ne_u16_e64 s1, 0x80, v1
	v_bfrev_b32_e32 v1, 1
	v_mov_b32_e32 v2, 0
	scratch_store_b64 off, v[1:2], s32 offset:1468 ; 8-byte Folded Spill
	s_and_saveexec_b32 s23, s1
	s_cbranch_execz .LBB270_1114
; %bb.1109:                             ;   in Loop: Header=BB270_16 Depth=1
	v_mov_b32_e32 v3, 0x7f800001
	v_and_b32_e32 v2, 0x7f, v0
	v_mov_b32_e32 v4, 0
	s_mov_b32 s24, exec_lo
	scratch_store_b64 off, v[3:4], s32 offset:1468 ; 8-byte Folded Spill
	v_cmpx_ne_u32_e32 0x7f, v2
	s_cbranch_execz .LBB270_1113
; %bb.1110:                             ;   in Loop: Header=BB270_16 Depth=1
	v_and_b32_e32 v14, 7, v0
	v_lshrrev_b32_e32 v1, 3, v2
	s_mov_b32 s25, exec_lo
	v_cmpx_gt_u32_e32 8, v2
; %bb.1111:                             ;   in Loop: Header=BB270_16 Depth=1
	s_delay_alu instid0(VALU_DEP_3) | instskip(NEXT) | instid1(VALU_DEP_1)
	v_clz_i32_u32_e32 v1, v14
	v_min_u32_e32 v1, 32, v1
	s_delay_alu instid0(VALU_DEP_1) | instskip(SKIP_1) | instid1(VALU_DEP_2)
	v_subrev_nc_u32_e32 v2, 28, v1
	v_sub_nc_u32_e32 v1, 29, v1
	v_lshlrev_b64 v[2:3], v2, v[14:15]
	s_delay_alu instid0(VALU_DEP_1)
	v_and_b32_e32 v14, 7, v2
; %bb.1112:                             ;   in Loop: Header=BB270_16 Depth=1
	s_or_b32 exec_lo, exec_lo, s25
	v_lshlrev_b32_e32 v2, 24, v0
	s_delay_alu instid0(VALU_DEP_2) | instskip(SKIP_1) | instid1(VALU_DEP_3)
	v_lshlrev_b32_e32 v3, 20, v14
	v_lshl_add_u32 v1, v1, 23, 0x3c000000
	v_and_b32_e32 v2, 0x80000000, v2
	s_delay_alu instid0(VALU_DEP_1)
	v_or3_b32 v14, v3, v2, v1
	scratch_store_b64 off, v[14:15], s32 offset:1468 ; 8-byte Folded Spill
.LBB270_1113:                           ;   in Loop: Header=BB270_16 Depth=1
	s_or_b32 exec_lo, exec_lo, s24
.LBB270_1114:                           ;   in Loop: Header=BB270_16 Depth=1
	s_delay_alu instid0(SALU_CYCLE_1)
	s_or_b32 exec_lo, exec_lo, s23
.LBB270_1115:                           ;   in Loop: Header=BB270_16 Depth=1
	s_delay_alu instid0(SALU_CYCLE_1) | instskip(SKIP_2) | instid1(VALU_DEP_1)
	s_or_b32 exec_lo, exec_lo, s2
	v_lshrrev_b16 v1, 8, v0
	s_mov_b32 s23, exec_lo
	v_cmpx_ne_u16_e32 0, v1
	s_cbranch_execz .LBB270_1123
; %bb.1116:                             ;   in Loop: Header=BB270_16 Depth=1
	v_dual_mov_b32 v2, s8 :: v_dual_mov_b32 v3, s9
	s_mov_b32 s24, exec_lo
	scratch_store_b64 off, v[2:3], s32 offset:1460 ; 8-byte Folded Spill
	v_cmpx_ne_u16_e32 0x80, v1
	s_cbranch_execz .LBB270_1122
; %bb.1117:                             ;   in Loop: Header=BB270_16 Depth=1
	s_mov_b32 s2, s8
	v_dual_mov_b32 v4, s3 :: v_dual_and_b32 v1, 0xffff, v1
	v_mov_b32_e32 v3, s2
	s_mov_b32 s2, exec_lo
	s_delay_alu instid0(VALU_DEP_2)
	v_and_b32_e32 v2, 0x7f, v1
	scratch_store_b64 off, v[3:4], s32 offset:1460 ; 8-byte Folded Spill
	v_cmpx_ne_u32_e32 0x7f, v2
	s_cbranch_execz .LBB270_1121
; %bb.1118:                             ;   in Loop: Header=BB270_16 Depth=1
	v_and_b32_e32 v14, 7, v1
	v_lshrrev_b32_e32 v1, 3, v2
	s_mov_b32 s25, exec_lo
	v_cmpx_gt_u32_e32 8, v2
; %bb.1119:                             ;   in Loop: Header=BB270_16 Depth=1
	s_delay_alu instid0(VALU_DEP_3) | instskip(NEXT) | instid1(VALU_DEP_1)
	v_clz_i32_u32_e32 v1, v14
	v_min_u32_e32 v1, 32, v1
	s_delay_alu instid0(VALU_DEP_1) | instskip(SKIP_1) | instid1(VALU_DEP_2)
	v_subrev_nc_u32_e32 v2, 28, v1
	v_sub_nc_u32_e32 v1, 29, v1
	v_lshlrev_b64 v[2:3], v2, v[14:15]
	s_delay_alu instid0(VALU_DEP_1)
	v_and_b32_e32 v14, 7, v2
; %bb.1120:                             ;   in Loop: Header=BB270_16 Depth=1
	s_or_b32 exec_lo, exec_lo, s25
	v_lshlrev_b32_e32 v2, 16, v0
	s_delay_alu instid0(VALU_DEP_2) | instskip(SKIP_1) | instid1(VALU_DEP_3)
	v_lshlrev_b32_e32 v3, 20, v14
	v_lshl_add_u32 v1, v1, 23, 0x3c000000
	v_and_b32_e32 v2, 0x80000000, v2
	s_delay_alu instid0(VALU_DEP_1)
	v_or3_b32 v2, v3, v2, v1
	v_mov_b32_e32 v1, v15
	scratch_store_b64 off, v[1:2], s32 offset:1460 ; 8-byte Folded Spill
.LBB270_1121:                           ;   in Loop: Header=BB270_16 Depth=1
	s_or_b32 exec_lo, exec_lo, s2
.LBB270_1122:                           ;   in Loop: Header=BB270_16 Depth=1
	s_delay_alu instid0(SALU_CYCLE_1)
	s_or_b32 exec_lo, exec_lo, s24
.LBB270_1123:                           ;   in Loop: Header=BB270_16 Depth=1
	s_delay_alu instid0(SALU_CYCLE_1)
	s_or_b32 exec_lo, exec_lo, s23
	v_lshrrev_b32_e32 v1, 16, v0
	v_mov_b32_e32 v3, 0
	v_mov_b32_e32 v4, 0
	s_mov_b32 s2, exec_lo
	s_clause 0x1
	scratch_store_b64 off, v[3:4], s32 offset:1476
	scratch_store_b64 off, v[3:4], s32 offset:1484
	v_and_b32_e32 v2, 0xff, v1
	s_delay_alu instid0(VALU_DEP_1)
	v_cmpx_ne_u16_e32 0, v2
	s_cbranch_execz .LBB270_1131
; %bb.1124:                             ;   in Loop: Header=BB270_16 Depth=1
	v_cmp_ne_u16_e64 s1, 0x80, v2
	v_bfrev_b32_e32 v2, 1
	v_mov_b32_e32 v3, 0
	scratch_store_b64 off, v[2:3], s32 offset:1484 ; 8-byte Folded Spill
	s_and_saveexec_b32 s23, s1
	s_cbranch_execz .LBB270_1130
; %bb.1125:                             ;   in Loop: Header=BB270_16 Depth=1
	v_mov_b32_e32 v4, 0x7f800001
	v_bfe_u32 v3, v0, 16, 7
	v_mov_b32_e32 v5, 0
	s_mov_b32 s24, exec_lo
	scratch_store_b64 off, v[4:5], s32 offset:1484 ; 8-byte Folded Spill
	v_cmpx_ne_u32_e32 0x7f, v3
	s_cbranch_execz .LBB270_1129
; %bb.1126:                             ;   in Loop: Header=BB270_16 Depth=1
	v_and_b32_e32 v14, 7, v1
	v_lshrrev_b32_e32 v2, 3, v3
	s_mov_b32 s25, exec_lo
	v_cmpx_gt_u32_e32 8, v3
; %bb.1127:                             ;   in Loop: Header=BB270_16 Depth=1
	s_delay_alu instid0(VALU_DEP_3) | instskip(NEXT) | instid1(VALU_DEP_1)
	v_clz_i32_u32_e32 v2, v14
	v_min_u32_e32 v2, 32, v2
	s_delay_alu instid0(VALU_DEP_1) | instskip(SKIP_1) | instid1(VALU_DEP_2)
	v_subrev_nc_u32_e32 v3, 28, v2
	v_sub_nc_u32_e32 v2, 29, v2
	v_lshlrev_b64 v[3:4], v3, v[14:15]
	s_delay_alu instid0(VALU_DEP_1)
	v_and_b32_e32 v14, 7, v3
; %bb.1128:                             ;   in Loop: Header=BB270_16 Depth=1
	s_or_b32 exec_lo, exec_lo, s25
	v_lshlrev_b32_e32 v1, 24, v1
	s_delay_alu instid0(VALU_DEP_2) | instskip(SKIP_1) | instid1(VALU_DEP_3)
	v_lshlrev_b32_e32 v3, 20, v14
	v_lshl_add_u32 v2, v2, 23, 0x3c000000
	v_and_b32_e32 v1, 0x80000000, v1
	s_delay_alu instid0(VALU_DEP_1)
	v_or3_b32 v14, v3, v1, v2
	scratch_store_b64 off, v[14:15], s32 offset:1484 ; 8-byte Folded Spill
.LBB270_1129:                           ;   in Loop: Header=BB270_16 Depth=1
	s_or_b32 exec_lo, exec_lo, s24
.LBB270_1130:                           ;   in Loop: Header=BB270_16 Depth=1
	s_delay_alu instid0(SALU_CYCLE_1)
	s_or_b32 exec_lo, exec_lo, s23
.LBB270_1131:                           ;   in Loop: Header=BB270_16 Depth=1
	s_delay_alu instid0(SALU_CYCLE_1) | instskip(NEXT) | instid1(SALU_CYCLE_1)
	s_or_b32 exec_lo, exec_lo, s2
	s_mov_b32 s23, exec_lo
	v_cmpx_lt_u32_e32 0xffffff, v0
	s_cbranch_execz .LBB270_1139
; %bb.1132:                             ;   in Loop: Header=BB270_16 Depth=1
	v_lshrrev_b32_e32 v1, 24, v0
	v_dual_mov_b32 v2, s8 :: v_dual_mov_b32 v3, s9
	s_mov_b32 s24, exec_lo
	scratch_store_b64 off, v[2:3], s32 offset:1476 ; 8-byte Folded Spill
	v_cmpx_ne_u32_e32 0x80, v1
	s_cbranch_execz .LBB270_1138
; %bb.1133:                             ;   in Loop: Header=BB270_16 Depth=1
	s_mov_b32 s2, s8
	v_bfe_u32 v2, v0, 24, 7
	v_dual_mov_b32 v4, s3 :: v_dual_mov_b32 v3, s2
	s_mov_b32 s2, exec_lo
	scratch_store_b64 off, v[3:4], s32 offset:1476 ; 8-byte Folded Spill
	v_cmpx_ne_u32_e32 0x7f, v2
	s_cbranch_execz .LBB270_1137
; %bb.1134:                             ;   in Loop: Header=BB270_16 Depth=1
	v_and_b32_e32 v14, 7, v1
	v_lshrrev_b32_e32 v0, 3, v2
	s_mov_b32 s25, exec_lo
	v_cmpx_gt_u32_e32 8, v2
; %bb.1135:                             ;   in Loop: Header=BB270_16 Depth=1
	s_delay_alu instid0(VALU_DEP_3) | instskip(NEXT) | instid1(VALU_DEP_1)
	v_clz_i32_u32_e32 v0, v14
	v_min_u32_e32 v0, 32, v0
	s_delay_alu instid0(VALU_DEP_1) | instskip(SKIP_1) | instid1(VALU_DEP_2)
	v_subrev_nc_u32_e32 v2, 28, v0
	v_sub_nc_u32_e32 v0, 29, v0
	v_lshlrev_b64 v[2:3], v2, v[14:15]
	s_delay_alu instid0(VALU_DEP_1)
	v_and_b32_e32 v14, 7, v2
; %bb.1136:                             ;   in Loop: Header=BB270_16 Depth=1
	s_or_b32 exec_lo, exec_lo, s25
	v_lshlrev_b32_e32 v1, 24, v1
	s_delay_alu instid0(VALU_DEP_2) | instskip(SKIP_1) | instid1(VALU_DEP_3)
	v_lshlrev_b32_e32 v2, 20, v14
	v_lshl_add_u32 v0, v0, 23, 0x3c000000
	v_and_b32_e32 v1, 0x80000000, v1
	s_delay_alu instid0(VALU_DEP_1)
	v_or3_b32 v1, v2, v1, v0
	v_mov_b32_e32 v0, v15
	scratch_store_b64 off, v[0:1], s32 offset:1476 ; 8-byte Folded Spill
.LBB270_1137:                           ;   in Loop: Header=BB270_16 Depth=1
	s_or_b32 exec_lo, exec_lo, s2
.LBB270_1138:                           ;   in Loop: Header=BB270_16 Depth=1
	s_delay_alu instid0(SALU_CYCLE_1)
	s_or_b32 exec_lo, exec_lo, s24
.LBB270_1139:                           ;   in Loop: Header=BB270_16 Depth=1
	s_delay_alu instid0(SALU_CYCLE_1)
	s_or_b32 exec_lo, exec_lo, s23
	flat_load_b32 v0, v[24:25] offset:12
	v_mov_b32_e32 v2, 0
	v_mov_b32_e32 v3, 0
	s_mov_b32 s2, exec_lo
	s_clause 0x1
	scratch_store_b64 off, v[2:3], s32 offset:1492
	scratch_store_b64 off, v[2:3], s32 offset:1500
	s_waitcnt vmcnt(0) lgkmcnt(0)
	v_and_b32_e32 v1, 0xff, v0
	s_delay_alu instid0(VALU_DEP_1)
	v_cmpx_ne_u16_e32 0, v1
	s_cbranch_execz .LBB270_1147
; %bb.1140:                             ;   in Loop: Header=BB270_16 Depth=1
	v_cmp_ne_u16_e64 s1, 0x80, v1
	v_bfrev_b32_e32 v1, 1
	v_mov_b32_e32 v2, 0
	scratch_store_b64 off, v[1:2], s32 offset:1500 ; 8-byte Folded Spill
	s_and_saveexec_b32 s23, s1
	s_cbranch_execz .LBB270_1146
; %bb.1141:                             ;   in Loop: Header=BB270_16 Depth=1
	v_mov_b32_e32 v3, 0x7f800001
	v_and_b32_e32 v2, 0x7f, v0
	v_mov_b32_e32 v4, 0
	s_mov_b32 s24, exec_lo
	scratch_store_b64 off, v[3:4], s32 offset:1500 ; 8-byte Folded Spill
	v_cmpx_ne_u32_e32 0x7f, v2
	s_cbranch_execz .LBB270_1145
; %bb.1142:                             ;   in Loop: Header=BB270_16 Depth=1
	v_and_b32_e32 v14, 7, v0
	v_lshrrev_b32_e32 v1, 3, v2
	s_mov_b32 s25, exec_lo
	v_cmpx_gt_u32_e32 8, v2
; %bb.1143:                             ;   in Loop: Header=BB270_16 Depth=1
	s_delay_alu instid0(VALU_DEP_3) | instskip(NEXT) | instid1(VALU_DEP_1)
	v_clz_i32_u32_e32 v1, v14
	v_min_u32_e32 v1, 32, v1
	s_delay_alu instid0(VALU_DEP_1) | instskip(SKIP_1) | instid1(VALU_DEP_2)
	v_subrev_nc_u32_e32 v2, 28, v1
	v_sub_nc_u32_e32 v1, 29, v1
	v_lshlrev_b64 v[2:3], v2, v[14:15]
	s_delay_alu instid0(VALU_DEP_1)
	v_and_b32_e32 v14, 7, v2
; %bb.1144:                             ;   in Loop: Header=BB270_16 Depth=1
	s_or_b32 exec_lo, exec_lo, s25
	v_lshlrev_b32_e32 v2, 24, v0
	s_delay_alu instid0(VALU_DEP_2) | instskip(SKIP_1) | instid1(VALU_DEP_3)
	v_lshlrev_b32_e32 v3, 20, v14
	v_lshl_add_u32 v1, v1, 23, 0x3c000000
	v_and_b32_e32 v2, 0x80000000, v2
	s_delay_alu instid0(VALU_DEP_1)
	v_or3_b32 v14, v3, v2, v1
	scratch_store_b64 off, v[14:15], s32 offset:1500 ; 8-byte Folded Spill
.LBB270_1145:                           ;   in Loop: Header=BB270_16 Depth=1
	s_or_b32 exec_lo, exec_lo, s24
.LBB270_1146:                           ;   in Loop: Header=BB270_16 Depth=1
	s_delay_alu instid0(SALU_CYCLE_1)
	s_or_b32 exec_lo, exec_lo, s23
.LBB270_1147:                           ;   in Loop: Header=BB270_16 Depth=1
	s_delay_alu instid0(SALU_CYCLE_1) | instskip(SKIP_2) | instid1(VALU_DEP_1)
	s_or_b32 exec_lo, exec_lo, s2
	v_lshrrev_b16 v1, 8, v0
	s_mov_b32 s23, exec_lo
	v_cmpx_ne_u16_e32 0, v1
	s_cbranch_execz .LBB270_1155
; %bb.1148:                             ;   in Loop: Header=BB270_16 Depth=1
	v_dual_mov_b32 v2, s8 :: v_dual_mov_b32 v3, s9
	s_mov_b32 s24, exec_lo
	scratch_store_b64 off, v[2:3], s32 offset:1492 ; 8-byte Folded Spill
	v_cmpx_ne_u16_e32 0x80, v1
	s_cbranch_execz .LBB270_1154
; %bb.1149:                             ;   in Loop: Header=BB270_16 Depth=1
	s_mov_b32 s2, s8
	v_dual_mov_b32 v4, s3 :: v_dual_and_b32 v1, 0xffff, v1
	v_mov_b32_e32 v3, s2
	s_mov_b32 s2, exec_lo
	s_delay_alu instid0(VALU_DEP_2)
	v_and_b32_e32 v2, 0x7f, v1
	scratch_store_b64 off, v[3:4], s32 offset:1492 ; 8-byte Folded Spill
	v_cmpx_ne_u32_e32 0x7f, v2
	s_cbranch_execz .LBB270_1153
; %bb.1150:                             ;   in Loop: Header=BB270_16 Depth=1
	v_and_b32_e32 v14, 7, v1
	v_lshrrev_b32_e32 v1, 3, v2
	s_mov_b32 s25, exec_lo
	v_cmpx_gt_u32_e32 8, v2
; %bb.1151:                             ;   in Loop: Header=BB270_16 Depth=1
	s_delay_alu instid0(VALU_DEP_3) | instskip(NEXT) | instid1(VALU_DEP_1)
	v_clz_i32_u32_e32 v1, v14
	v_min_u32_e32 v1, 32, v1
	s_delay_alu instid0(VALU_DEP_1) | instskip(SKIP_1) | instid1(VALU_DEP_2)
	v_subrev_nc_u32_e32 v2, 28, v1
	v_sub_nc_u32_e32 v1, 29, v1
	v_lshlrev_b64 v[2:3], v2, v[14:15]
	s_delay_alu instid0(VALU_DEP_1)
	v_and_b32_e32 v14, 7, v2
; %bb.1152:                             ;   in Loop: Header=BB270_16 Depth=1
	s_or_b32 exec_lo, exec_lo, s25
	v_lshlrev_b32_e32 v2, 16, v0
	s_delay_alu instid0(VALU_DEP_2) | instskip(SKIP_1) | instid1(VALU_DEP_3)
	v_lshlrev_b32_e32 v3, 20, v14
	v_lshl_add_u32 v1, v1, 23, 0x3c000000
	v_and_b32_e32 v2, 0x80000000, v2
	s_delay_alu instid0(VALU_DEP_1)
	v_or3_b32 v2, v3, v2, v1
	v_mov_b32_e32 v1, v15
	scratch_store_b64 off, v[1:2], s32 offset:1492 ; 8-byte Folded Spill
.LBB270_1153:                           ;   in Loop: Header=BB270_16 Depth=1
	s_or_b32 exec_lo, exec_lo, s2
.LBB270_1154:                           ;   in Loop: Header=BB270_16 Depth=1
	s_delay_alu instid0(SALU_CYCLE_1)
	s_or_b32 exec_lo, exec_lo, s24
.LBB270_1155:                           ;   in Loop: Header=BB270_16 Depth=1
	s_delay_alu instid0(SALU_CYCLE_1)
	s_or_b32 exec_lo, exec_lo, s23
	v_lshrrev_b32_e32 v1, 16, v0
	v_mov_b32_e32 v3, 0
	v_mov_b32_e32 v4, 0
	s_mov_b32 s2, exec_lo
	s_clause 0x1
	scratch_store_b64 off, v[3:4], s32 offset:1508
	scratch_store_b64 off, v[3:4], s32 offset:1516
	v_and_b32_e32 v2, 0xff, v1
	s_delay_alu instid0(VALU_DEP_1)
	v_cmpx_ne_u16_e32 0, v2
	s_cbranch_execz .LBB270_1163
; %bb.1156:                             ;   in Loop: Header=BB270_16 Depth=1
	v_cmp_ne_u16_e64 s1, 0x80, v2
	v_bfrev_b32_e32 v2, 1
	v_mov_b32_e32 v3, 0
	scratch_store_b64 off, v[2:3], s32 offset:1516 ; 8-byte Folded Spill
	s_and_saveexec_b32 s23, s1
	s_cbranch_execz .LBB270_1162
; %bb.1157:                             ;   in Loop: Header=BB270_16 Depth=1
	v_mov_b32_e32 v4, 0x7f800001
	v_bfe_u32 v3, v0, 16, 7
	v_mov_b32_e32 v5, 0
	s_mov_b32 s24, exec_lo
	scratch_store_b64 off, v[4:5], s32 offset:1516 ; 8-byte Folded Spill
	v_cmpx_ne_u32_e32 0x7f, v3
	s_cbranch_execz .LBB270_1161
; %bb.1158:                             ;   in Loop: Header=BB270_16 Depth=1
	v_and_b32_e32 v14, 7, v1
	v_lshrrev_b32_e32 v2, 3, v3
	s_mov_b32 s25, exec_lo
	v_cmpx_gt_u32_e32 8, v3
; %bb.1159:                             ;   in Loop: Header=BB270_16 Depth=1
	s_delay_alu instid0(VALU_DEP_3) | instskip(NEXT) | instid1(VALU_DEP_1)
	v_clz_i32_u32_e32 v2, v14
	v_min_u32_e32 v2, 32, v2
	s_delay_alu instid0(VALU_DEP_1) | instskip(SKIP_1) | instid1(VALU_DEP_2)
	v_subrev_nc_u32_e32 v3, 28, v2
	v_sub_nc_u32_e32 v2, 29, v2
	v_lshlrev_b64 v[3:4], v3, v[14:15]
	s_delay_alu instid0(VALU_DEP_1)
	v_and_b32_e32 v14, 7, v3
; %bb.1160:                             ;   in Loop: Header=BB270_16 Depth=1
	s_or_b32 exec_lo, exec_lo, s25
	v_lshlrev_b32_e32 v1, 24, v1
	s_delay_alu instid0(VALU_DEP_2) | instskip(SKIP_1) | instid1(VALU_DEP_3)
	v_lshlrev_b32_e32 v3, 20, v14
	v_lshl_add_u32 v2, v2, 23, 0x3c000000
	v_and_b32_e32 v1, 0x80000000, v1
	s_delay_alu instid0(VALU_DEP_1)
	v_or3_b32 v14, v3, v1, v2
	scratch_store_b64 off, v[14:15], s32 offset:1516 ; 8-byte Folded Spill
.LBB270_1161:                           ;   in Loop: Header=BB270_16 Depth=1
	s_or_b32 exec_lo, exec_lo, s24
.LBB270_1162:                           ;   in Loop: Header=BB270_16 Depth=1
	s_delay_alu instid0(SALU_CYCLE_1)
	s_or_b32 exec_lo, exec_lo, s23
.LBB270_1163:                           ;   in Loop: Header=BB270_16 Depth=1
	s_delay_alu instid0(SALU_CYCLE_1) | instskip(NEXT) | instid1(SALU_CYCLE_1)
	s_or_b32 exec_lo, exec_lo, s2
	s_mov_b32 s23, exec_lo
	v_cmpx_lt_u32_e32 0xffffff, v0
	s_cbranch_execz .LBB270_1171
; %bb.1164:                             ;   in Loop: Header=BB270_16 Depth=1
	v_lshrrev_b32_e32 v1, 24, v0
	v_dual_mov_b32 v2, s8 :: v_dual_mov_b32 v3, s9
	s_mov_b32 s24, exec_lo
	scratch_store_b64 off, v[2:3], s32 offset:1508 ; 8-byte Folded Spill
	v_cmpx_ne_u32_e32 0x80, v1
	s_cbranch_execz .LBB270_1170
; %bb.1165:                             ;   in Loop: Header=BB270_16 Depth=1
	s_mov_b32 s2, s8
	v_bfe_u32 v2, v0, 24, 7
	v_dual_mov_b32 v4, s3 :: v_dual_mov_b32 v3, s2
	s_mov_b32 s2, exec_lo
	scratch_store_b64 off, v[3:4], s32 offset:1508 ; 8-byte Folded Spill
	v_cmpx_ne_u32_e32 0x7f, v2
	s_cbranch_execz .LBB270_1169
; %bb.1166:                             ;   in Loop: Header=BB270_16 Depth=1
	v_and_b32_e32 v14, 7, v1
	v_lshrrev_b32_e32 v0, 3, v2
	s_mov_b32 s25, exec_lo
	v_cmpx_gt_u32_e32 8, v2
; %bb.1167:                             ;   in Loop: Header=BB270_16 Depth=1
	s_delay_alu instid0(VALU_DEP_3) | instskip(NEXT) | instid1(VALU_DEP_1)
	v_clz_i32_u32_e32 v0, v14
	v_min_u32_e32 v0, 32, v0
	s_delay_alu instid0(VALU_DEP_1) | instskip(SKIP_1) | instid1(VALU_DEP_2)
	v_subrev_nc_u32_e32 v2, 28, v0
	v_sub_nc_u32_e32 v0, 29, v0
	v_lshlrev_b64 v[2:3], v2, v[14:15]
	s_delay_alu instid0(VALU_DEP_1)
	v_and_b32_e32 v14, 7, v2
; %bb.1168:                             ;   in Loop: Header=BB270_16 Depth=1
	s_or_b32 exec_lo, exec_lo, s25
	v_lshlrev_b32_e32 v1, 24, v1
	s_delay_alu instid0(VALU_DEP_2) | instskip(SKIP_1) | instid1(VALU_DEP_3)
	v_lshlrev_b32_e32 v2, 20, v14
	v_lshl_add_u32 v0, v0, 23, 0x3c000000
	v_and_b32_e32 v1, 0x80000000, v1
	s_delay_alu instid0(VALU_DEP_1)
	v_or3_b32 v1, v2, v1, v0
	v_mov_b32_e32 v0, v15
	scratch_store_b64 off, v[0:1], s32 offset:1508 ; 8-byte Folded Spill
.LBB270_1169:                           ;   in Loop: Header=BB270_16 Depth=1
	s_or_b32 exec_lo, exec_lo, s2
.LBB270_1170:                           ;   in Loop: Header=BB270_16 Depth=1
	s_delay_alu instid0(SALU_CYCLE_1)
	s_or_b32 exec_lo, exec_lo, s24
.LBB270_1171:                           ;   in Loop: Header=BB270_16 Depth=1
	s_delay_alu instid0(SALU_CYCLE_1)
	s_or_b32 exec_lo, exec_lo, s23
	flat_load_b32 v0, v[24:25] offset:512
	v_mov_b32_e32 v2, 0
	v_mov_b32_e32 v3, 0
	s_mov_b32 s2, exec_lo
	s_clause 0x1
	scratch_store_b64 off, v[2:3], s32 offset:1524
	scratch_store_b64 off, v[2:3], s32 offset:1532
	s_waitcnt vmcnt(0) lgkmcnt(0)
	v_and_b32_e32 v1, 0xff, v0
	s_delay_alu instid0(VALU_DEP_1)
	v_cmpx_ne_u16_e32 0, v1
	s_cbranch_execz .LBB270_1179
; %bb.1172:                             ;   in Loop: Header=BB270_16 Depth=1
	v_cmp_ne_u16_e64 s1, 0x80, v1
	v_bfrev_b32_e32 v1, 1
	v_mov_b32_e32 v2, 0
	scratch_store_b64 off, v[1:2], s32 offset:1532 ; 8-byte Folded Spill
	s_and_saveexec_b32 s23, s1
	s_cbranch_execz .LBB270_1178
; %bb.1173:                             ;   in Loop: Header=BB270_16 Depth=1
	v_mov_b32_e32 v3, 0x7f800001
	v_and_b32_e32 v2, 0x7f, v0
	v_mov_b32_e32 v4, 0
	s_mov_b32 s24, exec_lo
	scratch_store_b64 off, v[3:4], s32 offset:1532 ; 8-byte Folded Spill
	v_cmpx_ne_u32_e32 0x7f, v2
	s_cbranch_execz .LBB270_1177
; %bb.1174:                             ;   in Loop: Header=BB270_16 Depth=1
	v_and_b32_e32 v14, 7, v0
	v_lshrrev_b32_e32 v1, 3, v2
	s_mov_b32 s25, exec_lo
	v_cmpx_gt_u32_e32 8, v2
; %bb.1175:                             ;   in Loop: Header=BB270_16 Depth=1
	s_delay_alu instid0(VALU_DEP_3) | instskip(NEXT) | instid1(VALU_DEP_1)
	v_clz_i32_u32_e32 v1, v14
	v_min_u32_e32 v1, 32, v1
	s_delay_alu instid0(VALU_DEP_1) | instskip(SKIP_1) | instid1(VALU_DEP_2)
	v_subrev_nc_u32_e32 v2, 28, v1
	v_sub_nc_u32_e32 v1, 29, v1
	v_lshlrev_b64 v[2:3], v2, v[14:15]
	s_delay_alu instid0(VALU_DEP_1)
	v_and_b32_e32 v14, 7, v2
; %bb.1176:                             ;   in Loop: Header=BB270_16 Depth=1
	s_or_b32 exec_lo, exec_lo, s25
	v_lshlrev_b32_e32 v2, 24, v0
	s_delay_alu instid0(VALU_DEP_2) | instskip(SKIP_1) | instid1(VALU_DEP_3)
	v_lshlrev_b32_e32 v3, 20, v14
	v_lshl_add_u32 v1, v1, 23, 0x3c000000
	v_and_b32_e32 v2, 0x80000000, v2
	s_delay_alu instid0(VALU_DEP_1)
	v_or3_b32 v14, v3, v2, v1
	scratch_store_b64 off, v[14:15], s32 offset:1532 ; 8-byte Folded Spill
.LBB270_1177:                           ;   in Loop: Header=BB270_16 Depth=1
	s_or_b32 exec_lo, exec_lo, s24
.LBB270_1178:                           ;   in Loop: Header=BB270_16 Depth=1
	s_delay_alu instid0(SALU_CYCLE_1)
	s_or_b32 exec_lo, exec_lo, s23
.LBB270_1179:                           ;   in Loop: Header=BB270_16 Depth=1
	s_delay_alu instid0(SALU_CYCLE_1) | instskip(SKIP_2) | instid1(VALU_DEP_1)
	s_or_b32 exec_lo, exec_lo, s2
	v_lshrrev_b16 v1, 8, v0
	s_mov_b32 s23, exec_lo
	v_cmpx_ne_u16_e32 0, v1
	s_cbranch_execz .LBB270_1187
; %bb.1180:                             ;   in Loop: Header=BB270_16 Depth=1
	v_dual_mov_b32 v2, s8 :: v_dual_mov_b32 v3, s9
	s_mov_b32 s24, exec_lo
	scratch_store_b64 off, v[2:3], s32 offset:1524 ; 8-byte Folded Spill
	v_cmpx_ne_u16_e32 0x80, v1
	s_cbranch_execz .LBB270_1186
; %bb.1181:                             ;   in Loop: Header=BB270_16 Depth=1
	s_mov_b32 s2, s8
	v_dual_mov_b32 v4, s3 :: v_dual_and_b32 v1, 0xffff, v1
	v_mov_b32_e32 v3, s2
	s_mov_b32 s2, exec_lo
	s_delay_alu instid0(VALU_DEP_2)
	v_and_b32_e32 v2, 0x7f, v1
	scratch_store_b64 off, v[3:4], s32 offset:1524 ; 8-byte Folded Spill
	v_cmpx_ne_u32_e32 0x7f, v2
	s_cbranch_execz .LBB270_1185
; %bb.1182:                             ;   in Loop: Header=BB270_16 Depth=1
	v_and_b32_e32 v14, 7, v1
	v_lshrrev_b32_e32 v1, 3, v2
	s_mov_b32 s25, exec_lo
	v_cmpx_gt_u32_e32 8, v2
; %bb.1183:                             ;   in Loop: Header=BB270_16 Depth=1
	s_delay_alu instid0(VALU_DEP_3) | instskip(NEXT) | instid1(VALU_DEP_1)
	v_clz_i32_u32_e32 v1, v14
	v_min_u32_e32 v1, 32, v1
	s_delay_alu instid0(VALU_DEP_1) | instskip(SKIP_1) | instid1(VALU_DEP_2)
	v_subrev_nc_u32_e32 v2, 28, v1
	v_sub_nc_u32_e32 v1, 29, v1
	v_lshlrev_b64 v[2:3], v2, v[14:15]
	s_delay_alu instid0(VALU_DEP_1)
	v_and_b32_e32 v14, 7, v2
; %bb.1184:                             ;   in Loop: Header=BB270_16 Depth=1
	s_or_b32 exec_lo, exec_lo, s25
	v_lshlrev_b32_e32 v2, 16, v0
	s_delay_alu instid0(VALU_DEP_2) | instskip(SKIP_1) | instid1(VALU_DEP_3)
	v_lshlrev_b32_e32 v3, 20, v14
	v_lshl_add_u32 v1, v1, 23, 0x3c000000
	v_and_b32_e32 v2, 0x80000000, v2
	s_delay_alu instid0(VALU_DEP_1)
	v_or3_b32 v2, v3, v2, v1
	v_mov_b32_e32 v1, v15
	scratch_store_b64 off, v[1:2], s32 offset:1524 ; 8-byte Folded Spill
.LBB270_1185:                           ;   in Loop: Header=BB270_16 Depth=1
	s_or_b32 exec_lo, exec_lo, s2
.LBB270_1186:                           ;   in Loop: Header=BB270_16 Depth=1
	s_delay_alu instid0(SALU_CYCLE_1)
	s_or_b32 exec_lo, exec_lo, s24
.LBB270_1187:                           ;   in Loop: Header=BB270_16 Depth=1
	s_delay_alu instid0(SALU_CYCLE_1)
	s_or_b32 exec_lo, exec_lo, s23
	v_lshrrev_b32_e32 v1, 16, v0
	v_mov_b32_e32 v3, 0
	v_mov_b32_e32 v4, 0
	s_mov_b32 s2, exec_lo
	s_clause 0x1
	scratch_store_b64 off, v[3:4], s32 offset:1540
	scratch_store_b64 off, v[3:4], s32 offset:1548
	v_and_b32_e32 v2, 0xff, v1
	s_delay_alu instid0(VALU_DEP_1)
	v_cmpx_ne_u16_e32 0, v2
	s_cbranch_execz .LBB270_1195
; %bb.1188:                             ;   in Loop: Header=BB270_16 Depth=1
	v_cmp_ne_u16_e64 s1, 0x80, v2
	v_bfrev_b32_e32 v2, 1
	v_mov_b32_e32 v3, 0
	scratch_store_b64 off, v[2:3], s32 offset:1548 ; 8-byte Folded Spill
	s_and_saveexec_b32 s23, s1
	s_cbranch_execz .LBB270_1194
; %bb.1189:                             ;   in Loop: Header=BB270_16 Depth=1
	v_mov_b32_e32 v4, 0x7f800001
	v_bfe_u32 v3, v0, 16, 7
	v_mov_b32_e32 v5, 0
	s_mov_b32 s24, exec_lo
	scratch_store_b64 off, v[4:5], s32 offset:1548 ; 8-byte Folded Spill
	v_cmpx_ne_u32_e32 0x7f, v3
	s_cbranch_execz .LBB270_1193
; %bb.1190:                             ;   in Loop: Header=BB270_16 Depth=1
	v_and_b32_e32 v14, 7, v1
	v_lshrrev_b32_e32 v2, 3, v3
	s_mov_b32 s25, exec_lo
	v_cmpx_gt_u32_e32 8, v3
; %bb.1191:                             ;   in Loop: Header=BB270_16 Depth=1
	s_delay_alu instid0(VALU_DEP_3) | instskip(NEXT) | instid1(VALU_DEP_1)
	v_clz_i32_u32_e32 v2, v14
	v_min_u32_e32 v2, 32, v2
	s_delay_alu instid0(VALU_DEP_1) | instskip(SKIP_1) | instid1(VALU_DEP_2)
	v_subrev_nc_u32_e32 v3, 28, v2
	v_sub_nc_u32_e32 v2, 29, v2
	v_lshlrev_b64 v[3:4], v3, v[14:15]
	s_delay_alu instid0(VALU_DEP_1)
	v_and_b32_e32 v14, 7, v3
; %bb.1192:                             ;   in Loop: Header=BB270_16 Depth=1
	s_or_b32 exec_lo, exec_lo, s25
	v_lshlrev_b32_e32 v1, 24, v1
	s_delay_alu instid0(VALU_DEP_2) | instskip(SKIP_1) | instid1(VALU_DEP_3)
	v_lshlrev_b32_e32 v3, 20, v14
	v_lshl_add_u32 v2, v2, 23, 0x3c000000
	v_and_b32_e32 v1, 0x80000000, v1
	s_delay_alu instid0(VALU_DEP_1)
	v_or3_b32 v14, v3, v1, v2
	scratch_store_b64 off, v[14:15], s32 offset:1548 ; 8-byte Folded Spill
.LBB270_1193:                           ;   in Loop: Header=BB270_16 Depth=1
	s_or_b32 exec_lo, exec_lo, s24
.LBB270_1194:                           ;   in Loop: Header=BB270_16 Depth=1
	s_delay_alu instid0(SALU_CYCLE_1)
	s_or_b32 exec_lo, exec_lo, s23
.LBB270_1195:                           ;   in Loop: Header=BB270_16 Depth=1
	s_delay_alu instid0(SALU_CYCLE_1) | instskip(NEXT) | instid1(SALU_CYCLE_1)
	s_or_b32 exec_lo, exec_lo, s2
	s_mov_b32 s23, exec_lo
	v_cmpx_lt_u32_e32 0xffffff, v0
	s_cbranch_execz .LBB270_1203
; %bb.1196:                             ;   in Loop: Header=BB270_16 Depth=1
	v_lshrrev_b32_e32 v1, 24, v0
	v_dual_mov_b32 v2, s8 :: v_dual_mov_b32 v3, s9
	s_mov_b32 s24, exec_lo
	scratch_store_b64 off, v[2:3], s32 offset:1540 ; 8-byte Folded Spill
	v_cmpx_ne_u32_e32 0x80, v1
	s_cbranch_execz .LBB270_1202
; %bb.1197:                             ;   in Loop: Header=BB270_16 Depth=1
	s_mov_b32 s2, s8
	v_bfe_u32 v2, v0, 24, 7
	v_dual_mov_b32 v4, s3 :: v_dual_mov_b32 v3, s2
	s_mov_b32 s2, exec_lo
	scratch_store_b64 off, v[3:4], s32 offset:1540 ; 8-byte Folded Spill
	v_cmpx_ne_u32_e32 0x7f, v2
	s_cbranch_execz .LBB270_1201
; %bb.1198:                             ;   in Loop: Header=BB270_16 Depth=1
	v_and_b32_e32 v14, 7, v1
	v_lshrrev_b32_e32 v0, 3, v2
	s_mov_b32 s25, exec_lo
	v_cmpx_gt_u32_e32 8, v2
; %bb.1199:                             ;   in Loop: Header=BB270_16 Depth=1
	s_delay_alu instid0(VALU_DEP_3) | instskip(NEXT) | instid1(VALU_DEP_1)
	v_clz_i32_u32_e32 v0, v14
	v_min_u32_e32 v0, 32, v0
	s_delay_alu instid0(VALU_DEP_1) | instskip(SKIP_1) | instid1(VALU_DEP_2)
	v_subrev_nc_u32_e32 v2, 28, v0
	v_sub_nc_u32_e32 v0, 29, v0
	v_lshlrev_b64 v[2:3], v2, v[14:15]
	s_delay_alu instid0(VALU_DEP_1)
	v_and_b32_e32 v14, 7, v2
; %bb.1200:                             ;   in Loop: Header=BB270_16 Depth=1
	s_or_b32 exec_lo, exec_lo, s25
	v_lshlrev_b32_e32 v1, 24, v1
	s_delay_alu instid0(VALU_DEP_2) | instskip(SKIP_1) | instid1(VALU_DEP_3)
	v_lshlrev_b32_e32 v2, 20, v14
	v_lshl_add_u32 v0, v0, 23, 0x3c000000
	v_and_b32_e32 v1, 0x80000000, v1
	s_delay_alu instid0(VALU_DEP_1)
	v_or3_b32 v1, v2, v1, v0
	v_mov_b32_e32 v0, v15
	scratch_store_b64 off, v[0:1], s32 offset:1540 ; 8-byte Folded Spill
.LBB270_1201:                           ;   in Loop: Header=BB270_16 Depth=1
	s_or_b32 exec_lo, exec_lo, s2
.LBB270_1202:                           ;   in Loop: Header=BB270_16 Depth=1
	s_delay_alu instid0(SALU_CYCLE_1)
	s_or_b32 exec_lo, exec_lo, s24
.LBB270_1203:                           ;   in Loop: Header=BB270_16 Depth=1
	s_delay_alu instid0(SALU_CYCLE_1)
	s_or_b32 exec_lo, exec_lo, s23
	flat_load_b32 v0, v[24:25] offset:516
	v_mov_b32_e32 v2, 0
	v_mov_b32_e32 v3, 0
	s_mov_b32 s2, exec_lo
	s_clause 0x1
	scratch_store_b64 off, v[2:3], s32 offset:1556
	scratch_store_b64 off, v[2:3], s32 offset:1564
	s_waitcnt vmcnt(0) lgkmcnt(0)
	v_and_b32_e32 v1, 0xff, v0
	s_delay_alu instid0(VALU_DEP_1)
	v_cmpx_ne_u16_e32 0, v1
	s_cbranch_execz .LBB270_1211
; %bb.1204:                             ;   in Loop: Header=BB270_16 Depth=1
	v_cmp_ne_u16_e64 s1, 0x80, v1
	v_bfrev_b32_e32 v1, 1
	v_mov_b32_e32 v2, 0
	scratch_store_b64 off, v[1:2], s32 offset:1564 ; 8-byte Folded Spill
	s_and_saveexec_b32 s23, s1
	s_cbranch_execz .LBB270_1210
; %bb.1205:                             ;   in Loop: Header=BB270_16 Depth=1
	v_mov_b32_e32 v3, 0x7f800001
	v_and_b32_e32 v2, 0x7f, v0
	v_mov_b32_e32 v4, 0
	s_mov_b32 s24, exec_lo
	scratch_store_b64 off, v[3:4], s32 offset:1564 ; 8-byte Folded Spill
	v_cmpx_ne_u32_e32 0x7f, v2
	s_cbranch_execz .LBB270_1209
; %bb.1206:                             ;   in Loop: Header=BB270_16 Depth=1
	v_and_b32_e32 v14, 7, v0
	v_lshrrev_b32_e32 v1, 3, v2
	s_mov_b32 s25, exec_lo
	v_cmpx_gt_u32_e32 8, v2
; %bb.1207:                             ;   in Loop: Header=BB270_16 Depth=1
	s_delay_alu instid0(VALU_DEP_3) | instskip(NEXT) | instid1(VALU_DEP_1)
	v_clz_i32_u32_e32 v1, v14
	v_min_u32_e32 v1, 32, v1
	s_delay_alu instid0(VALU_DEP_1) | instskip(SKIP_1) | instid1(VALU_DEP_2)
	v_subrev_nc_u32_e32 v2, 28, v1
	v_sub_nc_u32_e32 v1, 29, v1
	v_lshlrev_b64 v[2:3], v2, v[14:15]
	s_delay_alu instid0(VALU_DEP_1)
	v_and_b32_e32 v14, 7, v2
; %bb.1208:                             ;   in Loop: Header=BB270_16 Depth=1
	s_or_b32 exec_lo, exec_lo, s25
	v_lshlrev_b32_e32 v2, 24, v0
	s_delay_alu instid0(VALU_DEP_2) | instskip(SKIP_1) | instid1(VALU_DEP_3)
	v_lshlrev_b32_e32 v3, 20, v14
	v_lshl_add_u32 v1, v1, 23, 0x3c000000
	v_and_b32_e32 v2, 0x80000000, v2
	s_delay_alu instid0(VALU_DEP_1)
	v_or3_b32 v14, v3, v2, v1
	scratch_store_b64 off, v[14:15], s32 offset:1564 ; 8-byte Folded Spill
.LBB270_1209:                           ;   in Loop: Header=BB270_16 Depth=1
	s_or_b32 exec_lo, exec_lo, s24
.LBB270_1210:                           ;   in Loop: Header=BB270_16 Depth=1
	s_delay_alu instid0(SALU_CYCLE_1)
	s_or_b32 exec_lo, exec_lo, s23
.LBB270_1211:                           ;   in Loop: Header=BB270_16 Depth=1
	s_delay_alu instid0(SALU_CYCLE_1) | instskip(SKIP_2) | instid1(VALU_DEP_1)
	s_or_b32 exec_lo, exec_lo, s2
	v_lshrrev_b16 v1, 8, v0
	s_mov_b32 s23, exec_lo
	v_cmpx_ne_u16_e32 0, v1
	s_cbranch_execz .LBB270_1219
; %bb.1212:                             ;   in Loop: Header=BB270_16 Depth=1
	v_dual_mov_b32 v2, s8 :: v_dual_mov_b32 v3, s9
	s_mov_b32 s24, exec_lo
	scratch_store_b64 off, v[2:3], s32 offset:1556 ; 8-byte Folded Spill
	v_cmpx_ne_u16_e32 0x80, v1
	s_cbranch_execz .LBB270_1218
; %bb.1213:                             ;   in Loop: Header=BB270_16 Depth=1
	s_mov_b32 s2, s8
	v_dual_mov_b32 v4, s3 :: v_dual_and_b32 v1, 0xffff, v1
	v_mov_b32_e32 v3, s2
	s_mov_b32 s2, exec_lo
	s_delay_alu instid0(VALU_DEP_2)
	v_and_b32_e32 v2, 0x7f, v1
	scratch_store_b64 off, v[3:4], s32 offset:1556 ; 8-byte Folded Spill
	v_cmpx_ne_u32_e32 0x7f, v2
	s_cbranch_execz .LBB270_1217
; %bb.1214:                             ;   in Loop: Header=BB270_16 Depth=1
	v_and_b32_e32 v14, 7, v1
	v_lshrrev_b32_e32 v1, 3, v2
	s_mov_b32 s25, exec_lo
	v_cmpx_gt_u32_e32 8, v2
; %bb.1215:                             ;   in Loop: Header=BB270_16 Depth=1
	s_delay_alu instid0(VALU_DEP_3) | instskip(NEXT) | instid1(VALU_DEP_1)
	v_clz_i32_u32_e32 v1, v14
	v_min_u32_e32 v1, 32, v1
	s_delay_alu instid0(VALU_DEP_1) | instskip(SKIP_1) | instid1(VALU_DEP_2)
	v_subrev_nc_u32_e32 v2, 28, v1
	v_sub_nc_u32_e32 v1, 29, v1
	v_lshlrev_b64 v[2:3], v2, v[14:15]
	s_delay_alu instid0(VALU_DEP_1)
	v_and_b32_e32 v14, 7, v2
; %bb.1216:                             ;   in Loop: Header=BB270_16 Depth=1
	s_or_b32 exec_lo, exec_lo, s25
	v_lshlrev_b32_e32 v2, 16, v0
	s_delay_alu instid0(VALU_DEP_2) | instskip(SKIP_1) | instid1(VALU_DEP_3)
	v_lshlrev_b32_e32 v3, 20, v14
	v_lshl_add_u32 v1, v1, 23, 0x3c000000
	v_and_b32_e32 v2, 0x80000000, v2
	s_delay_alu instid0(VALU_DEP_1)
	v_or3_b32 v2, v3, v2, v1
	v_mov_b32_e32 v1, v15
	scratch_store_b64 off, v[1:2], s32 offset:1556 ; 8-byte Folded Spill
.LBB270_1217:                           ;   in Loop: Header=BB270_16 Depth=1
	s_or_b32 exec_lo, exec_lo, s2
.LBB270_1218:                           ;   in Loop: Header=BB270_16 Depth=1
	s_delay_alu instid0(SALU_CYCLE_1)
	s_or_b32 exec_lo, exec_lo, s24
.LBB270_1219:                           ;   in Loop: Header=BB270_16 Depth=1
	s_delay_alu instid0(SALU_CYCLE_1)
	s_or_b32 exec_lo, exec_lo, s23
	v_lshrrev_b32_e32 v1, 16, v0
	v_mov_b32_e32 v3, 0
	v_mov_b32_e32 v4, 0
	s_mov_b32 s2, exec_lo
	s_clause 0x1
	scratch_store_b64 off, v[3:4], s32 offset:1572
	scratch_store_b64 off, v[3:4], s32 offset:1580
	v_and_b32_e32 v2, 0xff, v1
	s_delay_alu instid0(VALU_DEP_1)
	v_cmpx_ne_u16_e32 0, v2
	s_cbranch_execz .LBB270_1227
; %bb.1220:                             ;   in Loop: Header=BB270_16 Depth=1
	v_cmp_ne_u16_e64 s1, 0x80, v2
	v_bfrev_b32_e32 v2, 1
	v_mov_b32_e32 v3, 0
	scratch_store_b64 off, v[2:3], s32 offset:1580 ; 8-byte Folded Spill
	s_and_saveexec_b32 s23, s1
	s_cbranch_execz .LBB270_1226
; %bb.1221:                             ;   in Loop: Header=BB270_16 Depth=1
	v_mov_b32_e32 v4, 0x7f800001
	v_bfe_u32 v3, v0, 16, 7
	v_mov_b32_e32 v5, 0
	s_mov_b32 s24, exec_lo
	scratch_store_b64 off, v[4:5], s32 offset:1580 ; 8-byte Folded Spill
	v_cmpx_ne_u32_e32 0x7f, v3
	s_cbranch_execz .LBB270_1225
; %bb.1222:                             ;   in Loop: Header=BB270_16 Depth=1
	v_and_b32_e32 v14, 7, v1
	v_lshrrev_b32_e32 v2, 3, v3
	s_mov_b32 s25, exec_lo
	v_cmpx_gt_u32_e32 8, v3
; %bb.1223:                             ;   in Loop: Header=BB270_16 Depth=1
	s_delay_alu instid0(VALU_DEP_3) | instskip(NEXT) | instid1(VALU_DEP_1)
	v_clz_i32_u32_e32 v2, v14
	v_min_u32_e32 v2, 32, v2
	s_delay_alu instid0(VALU_DEP_1) | instskip(SKIP_1) | instid1(VALU_DEP_2)
	v_subrev_nc_u32_e32 v3, 28, v2
	v_sub_nc_u32_e32 v2, 29, v2
	v_lshlrev_b64 v[3:4], v3, v[14:15]
	s_delay_alu instid0(VALU_DEP_1)
	v_and_b32_e32 v14, 7, v3
; %bb.1224:                             ;   in Loop: Header=BB270_16 Depth=1
	s_or_b32 exec_lo, exec_lo, s25
	v_lshlrev_b32_e32 v1, 24, v1
	s_delay_alu instid0(VALU_DEP_2) | instskip(SKIP_1) | instid1(VALU_DEP_3)
	v_lshlrev_b32_e32 v3, 20, v14
	v_lshl_add_u32 v2, v2, 23, 0x3c000000
	v_and_b32_e32 v1, 0x80000000, v1
	s_delay_alu instid0(VALU_DEP_1)
	v_or3_b32 v14, v3, v1, v2
	scratch_store_b64 off, v[14:15], s32 offset:1580 ; 8-byte Folded Spill
.LBB270_1225:                           ;   in Loop: Header=BB270_16 Depth=1
	s_or_b32 exec_lo, exec_lo, s24
.LBB270_1226:                           ;   in Loop: Header=BB270_16 Depth=1
	s_delay_alu instid0(SALU_CYCLE_1)
	s_or_b32 exec_lo, exec_lo, s23
.LBB270_1227:                           ;   in Loop: Header=BB270_16 Depth=1
	s_delay_alu instid0(SALU_CYCLE_1) | instskip(NEXT) | instid1(SALU_CYCLE_1)
	s_or_b32 exec_lo, exec_lo, s2
	s_mov_b32 s23, exec_lo
	v_cmpx_lt_u32_e32 0xffffff, v0
	s_cbranch_execz .LBB270_1235
; %bb.1228:                             ;   in Loop: Header=BB270_16 Depth=1
	v_lshrrev_b32_e32 v1, 24, v0
	v_dual_mov_b32 v2, s8 :: v_dual_mov_b32 v3, s9
	s_mov_b32 s24, exec_lo
	scratch_store_b64 off, v[2:3], s32 offset:1572 ; 8-byte Folded Spill
	v_cmpx_ne_u32_e32 0x80, v1
	s_cbranch_execz .LBB270_1234
; %bb.1229:                             ;   in Loop: Header=BB270_16 Depth=1
	s_mov_b32 s2, s8
	v_bfe_u32 v2, v0, 24, 7
	v_dual_mov_b32 v4, s3 :: v_dual_mov_b32 v3, s2
	s_mov_b32 s2, exec_lo
	scratch_store_b64 off, v[3:4], s32 offset:1572 ; 8-byte Folded Spill
	v_cmpx_ne_u32_e32 0x7f, v2
	s_cbranch_execz .LBB270_1233
; %bb.1230:                             ;   in Loop: Header=BB270_16 Depth=1
	v_and_b32_e32 v14, 7, v1
	v_lshrrev_b32_e32 v0, 3, v2
	s_mov_b32 s25, exec_lo
	v_cmpx_gt_u32_e32 8, v2
; %bb.1231:                             ;   in Loop: Header=BB270_16 Depth=1
	s_delay_alu instid0(VALU_DEP_3) | instskip(NEXT) | instid1(VALU_DEP_1)
	v_clz_i32_u32_e32 v0, v14
	v_min_u32_e32 v0, 32, v0
	s_delay_alu instid0(VALU_DEP_1) | instskip(SKIP_1) | instid1(VALU_DEP_2)
	v_subrev_nc_u32_e32 v2, 28, v0
	v_sub_nc_u32_e32 v0, 29, v0
	v_lshlrev_b64 v[2:3], v2, v[14:15]
	s_delay_alu instid0(VALU_DEP_1)
	v_and_b32_e32 v14, 7, v2
; %bb.1232:                             ;   in Loop: Header=BB270_16 Depth=1
	s_or_b32 exec_lo, exec_lo, s25
	v_lshlrev_b32_e32 v1, 24, v1
	s_delay_alu instid0(VALU_DEP_2) | instskip(SKIP_1) | instid1(VALU_DEP_3)
	v_lshlrev_b32_e32 v2, 20, v14
	v_lshl_add_u32 v0, v0, 23, 0x3c000000
	v_and_b32_e32 v1, 0x80000000, v1
	s_delay_alu instid0(VALU_DEP_1)
	v_or3_b32 v1, v2, v1, v0
	v_mov_b32_e32 v0, v15
	scratch_store_b64 off, v[0:1], s32 offset:1572 ; 8-byte Folded Spill
.LBB270_1233:                           ;   in Loop: Header=BB270_16 Depth=1
	s_or_b32 exec_lo, exec_lo, s2
.LBB270_1234:                           ;   in Loop: Header=BB270_16 Depth=1
	s_delay_alu instid0(SALU_CYCLE_1)
	s_or_b32 exec_lo, exec_lo, s24
.LBB270_1235:                           ;   in Loop: Header=BB270_16 Depth=1
	s_delay_alu instid0(SALU_CYCLE_1)
	s_or_b32 exec_lo, exec_lo, s23
	flat_load_b32 v0, v[24:25] offset:520
	v_mov_b32_e32 v2, 0
	v_mov_b32_e32 v3, 0
	s_mov_b32 s2, exec_lo
	s_clause 0x1
	scratch_store_b64 off, v[2:3], s32 offset:1588
	scratch_store_b64 off, v[2:3], s32 offset:1596
	s_waitcnt vmcnt(0) lgkmcnt(0)
	v_and_b32_e32 v1, 0xff, v0
	s_delay_alu instid0(VALU_DEP_1)
	v_cmpx_ne_u16_e32 0, v1
	s_cbranch_execz .LBB270_1243
; %bb.1236:                             ;   in Loop: Header=BB270_16 Depth=1
	v_cmp_ne_u16_e64 s1, 0x80, v1
	v_bfrev_b32_e32 v1, 1
	v_mov_b32_e32 v2, 0
	scratch_store_b64 off, v[1:2], s32 offset:1596 ; 8-byte Folded Spill
	s_and_saveexec_b32 s23, s1
	s_cbranch_execz .LBB270_1242
; %bb.1237:                             ;   in Loop: Header=BB270_16 Depth=1
	v_mov_b32_e32 v3, 0x7f800001
	v_and_b32_e32 v2, 0x7f, v0
	v_mov_b32_e32 v4, 0
	s_mov_b32 s24, exec_lo
	scratch_store_b64 off, v[3:4], s32 offset:1596 ; 8-byte Folded Spill
	v_cmpx_ne_u32_e32 0x7f, v2
	s_cbranch_execz .LBB270_1241
; %bb.1238:                             ;   in Loop: Header=BB270_16 Depth=1
	v_and_b32_e32 v14, 7, v0
	v_lshrrev_b32_e32 v1, 3, v2
	s_mov_b32 s25, exec_lo
	v_cmpx_gt_u32_e32 8, v2
; %bb.1239:                             ;   in Loop: Header=BB270_16 Depth=1
	s_delay_alu instid0(VALU_DEP_3) | instskip(NEXT) | instid1(VALU_DEP_1)
	v_clz_i32_u32_e32 v1, v14
	v_min_u32_e32 v1, 32, v1
	s_delay_alu instid0(VALU_DEP_1) | instskip(SKIP_1) | instid1(VALU_DEP_2)
	v_subrev_nc_u32_e32 v2, 28, v1
	v_sub_nc_u32_e32 v1, 29, v1
	v_lshlrev_b64 v[2:3], v2, v[14:15]
	s_delay_alu instid0(VALU_DEP_1)
	v_and_b32_e32 v14, 7, v2
; %bb.1240:                             ;   in Loop: Header=BB270_16 Depth=1
	s_or_b32 exec_lo, exec_lo, s25
	v_lshlrev_b32_e32 v2, 24, v0
	s_delay_alu instid0(VALU_DEP_2) | instskip(SKIP_1) | instid1(VALU_DEP_3)
	v_lshlrev_b32_e32 v3, 20, v14
	v_lshl_add_u32 v1, v1, 23, 0x3c000000
	v_and_b32_e32 v2, 0x80000000, v2
	s_delay_alu instid0(VALU_DEP_1)
	v_or3_b32 v14, v3, v2, v1
	scratch_store_b64 off, v[14:15], s32 offset:1596 ; 8-byte Folded Spill
.LBB270_1241:                           ;   in Loop: Header=BB270_16 Depth=1
	s_or_b32 exec_lo, exec_lo, s24
.LBB270_1242:                           ;   in Loop: Header=BB270_16 Depth=1
	s_delay_alu instid0(SALU_CYCLE_1)
	s_or_b32 exec_lo, exec_lo, s23
.LBB270_1243:                           ;   in Loop: Header=BB270_16 Depth=1
	s_delay_alu instid0(SALU_CYCLE_1) | instskip(SKIP_2) | instid1(VALU_DEP_1)
	s_or_b32 exec_lo, exec_lo, s2
	v_lshrrev_b16 v1, 8, v0
	s_mov_b32 s23, exec_lo
	v_cmpx_ne_u16_e32 0, v1
	s_cbranch_execz .LBB270_1251
; %bb.1244:                             ;   in Loop: Header=BB270_16 Depth=1
	v_dual_mov_b32 v2, s8 :: v_dual_mov_b32 v3, s9
	s_mov_b32 s24, exec_lo
	scratch_store_b64 off, v[2:3], s32 offset:1588 ; 8-byte Folded Spill
	v_cmpx_ne_u16_e32 0x80, v1
	s_cbranch_execz .LBB270_1250
; %bb.1245:                             ;   in Loop: Header=BB270_16 Depth=1
	s_mov_b32 s2, s8
	v_dual_mov_b32 v4, s3 :: v_dual_and_b32 v1, 0xffff, v1
	v_mov_b32_e32 v3, s2
	s_mov_b32 s2, exec_lo
	s_delay_alu instid0(VALU_DEP_2)
	v_and_b32_e32 v2, 0x7f, v1
	scratch_store_b64 off, v[3:4], s32 offset:1588 ; 8-byte Folded Spill
	v_cmpx_ne_u32_e32 0x7f, v2
	s_cbranch_execz .LBB270_1249
; %bb.1246:                             ;   in Loop: Header=BB270_16 Depth=1
	v_and_b32_e32 v14, 7, v1
	v_lshrrev_b32_e32 v1, 3, v2
	s_mov_b32 s25, exec_lo
	v_cmpx_gt_u32_e32 8, v2
; %bb.1247:                             ;   in Loop: Header=BB270_16 Depth=1
	s_delay_alu instid0(VALU_DEP_3) | instskip(NEXT) | instid1(VALU_DEP_1)
	v_clz_i32_u32_e32 v1, v14
	v_min_u32_e32 v1, 32, v1
	s_delay_alu instid0(VALU_DEP_1) | instskip(SKIP_1) | instid1(VALU_DEP_2)
	v_subrev_nc_u32_e32 v2, 28, v1
	v_sub_nc_u32_e32 v1, 29, v1
	v_lshlrev_b64 v[2:3], v2, v[14:15]
	s_delay_alu instid0(VALU_DEP_1)
	v_and_b32_e32 v14, 7, v2
; %bb.1248:                             ;   in Loop: Header=BB270_16 Depth=1
	s_or_b32 exec_lo, exec_lo, s25
	v_lshlrev_b32_e32 v2, 16, v0
	s_delay_alu instid0(VALU_DEP_2) | instskip(SKIP_1) | instid1(VALU_DEP_3)
	v_lshlrev_b32_e32 v3, 20, v14
	v_lshl_add_u32 v1, v1, 23, 0x3c000000
	v_and_b32_e32 v2, 0x80000000, v2
	s_delay_alu instid0(VALU_DEP_1)
	v_or3_b32 v2, v3, v2, v1
	v_mov_b32_e32 v1, v15
	scratch_store_b64 off, v[1:2], s32 offset:1588 ; 8-byte Folded Spill
.LBB270_1249:                           ;   in Loop: Header=BB270_16 Depth=1
	s_or_b32 exec_lo, exec_lo, s2
.LBB270_1250:                           ;   in Loop: Header=BB270_16 Depth=1
	s_delay_alu instid0(SALU_CYCLE_1)
	s_or_b32 exec_lo, exec_lo, s24
.LBB270_1251:                           ;   in Loop: Header=BB270_16 Depth=1
	s_delay_alu instid0(SALU_CYCLE_1) | instskip(SKIP_4) | instid1(VALU_DEP_3)
	s_or_b32 exec_lo, exec_lo, s23
	v_lshrrev_b32_e32 v1, 16, v0
	v_mov_b32_e32 v138, 0
	v_mov_b32_e32 v139, 0
	s_mov_b32 s2, exec_lo
	v_and_b32_e32 v2, 0xff, v1
	scratch_store_b64 off, v[138:139], s32 offset:1604 ; 8-byte Folded Spill
	v_cmpx_ne_u16_e32 0, v2
	s_cbranch_execz .LBB270_1259
; %bb.1252:                             ;   in Loop: Header=BB270_16 Depth=1
	v_cmp_ne_u16_e64 s1, 0x80, v2
	v_bfrev_b32_e32 v2, 1
	v_mov_b32_e32 v3, 0
	scratch_store_b64 off, v[2:3], s32 offset:1604 ; 8-byte Folded Spill
	s_and_saveexec_b32 s23, s1
	s_cbranch_execz .LBB270_1258
; %bb.1253:                             ;   in Loop: Header=BB270_16 Depth=1
	v_mov_b32_e32 v4, 0x7f800001
	v_bfe_u32 v3, v0, 16, 7
	v_mov_b32_e32 v5, 0
	s_mov_b32 s24, exec_lo
	scratch_store_b64 off, v[4:5], s32 offset:1604 ; 8-byte Folded Spill
	v_cmpx_ne_u32_e32 0x7f, v3
	s_cbranch_execz .LBB270_1257
; %bb.1254:                             ;   in Loop: Header=BB270_16 Depth=1
	v_and_b32_e32 v14, 7, v1
	v_lshrrev_b32_e32 v2, 3, v3
	s_mov_b32 s25, exec_lo
	v_cmpx_gt_u32_e32 8, v3
; %bb.1255:                             ;   in Loop: Header=BB270_16 Depth=1
	s_delay_alu instid0(VALU_DEP_3) | instskip(NEXT) | instid1(VALU_DEP_1)
	v_clz_i32_u32_e32 v2, v14
	v_min_u32_e32 v2, 32, v2
	s_delay_alu instid0(VALU_DEP_1) | instskip(SKIP_1) | instid1(VALU_DEP_2)
	v_subrev_nc_u32_e32 v3, 28, v2
	v_sub_nc_u32_e32 v2, 29, v2
	v_lshlrev_b64 v[3:4], v3, v[14:15]
	s_delay_alu instid0(VALU_DEP_1)
	v_and_b32_e32 v14, 7, v3
; %bb.1256:                             ;   in Loop: Header=BB270_16 Depth=1
	s_or_b32 exec_lo, exec_lo, s25
	v_lshlrev_b32_e32 v1, 24, v1
	s_delay_alu instid0(VALU_DEP_2) | instskip(SKIP_1) | instid1(VALU_DEP_3)
	v_lshlrev_b32_e32 v3, 20, v14
	v_lshl_add_u32 v2, v2, 23, 0x3c000000
	v_and_b32_e32 v1, 0x80000000, v1
	s_delay_alu instid0(VALU_DEP_1)
	v_or3_b32 v14, v3, v1, v2
	scratch_store_b64 off, v[14:15], s32 offset:1604 ; 8-byte Folded Spill
.LBB270_1257:                           ;   in Loop: Header=BB270_16 Depth=1
	s_or_b32 exec_lo, exec_lo, s24
.LBB270_1258:                           ;   in Loop: Header=BB270_16 Depth=1
	s_delay_alu instid0(SALU_CYCLE_1)
	s_or_b32 exec_lo, exec_lo, s23
.LBB270_1259:                           ;   in Loop: Header=BB270_16 Depth=1
	s_delay_alu instid0(SALU_CYCLE_1) | instskip(NEXT) | instid1(SALU_CYCLE_1)
	s_or_b32 exec_lo, exec_lo, s2
	s_mov_b32 s23, exec_lo
	v_cmpx_lt_u32_e32 0xffffff, v0
	s_cbranch_execz .LBB270_1267
; %bb.1260:                             ;   in Loop: Header=BB270_16 Depth=1
	v_lshrrev_b32_e32 v1, 24, v0
	v_dual_mov_b32 v139, s9 :: v_dual_mov_b32 v138, s8
	s_mov_b32 s24, exec_lo
	s_delay_alu instid0(VALU_DEP_2)
	v_cmpx_ne_u32_e32 0x80, v1
	s_cbranch_execz .LBB270_1266
; %bb.1261:                             ;   in Loop: Header=BB270_16 Depth=1
	s_mov_b32 s2, s8
	v_bfe_u32 v2, v0, 24, 7
	v_dual_mov_b32 v139, s3 :: v_dual_mov_b32 v138, s2
	s_mov_b32 s2, exec_lo
	s_delay_alu instid0(VALU_DEP_2)
	v_cmpx_ne_u32_e32 0x7f, v2
	s_cbranch_execz .LBB270_1265
; %bb.1262:                             ;   in Loop: Header=BB270_16 Depth=1
	v_and_b32_e32 v14, 7, v1
	v_lshrrev_b32_e32 v0, 3, v2
	s_mov_b32 s25, exec_lo
	v_cmpx_gt_u32_e32 8, v2
; %bb.1263:                             ;   in Loop: Header=BB270_16 Depth=1
	s_delay_alu instid0(VALU_DEP_3) | instskip(NEXT) | instid1(VALU_DEP_1)
	v_clz_i32_u32_e32 v0, v14
	v_min_u32_e32 v0, 32, v0
	s_delay_alu instid0(VALU_DEP_1) | instskip(SKIP_1) | instid1(VALU_DEP_2)
	v_subrev_nc_u32_e32 v2, 28, v0
	v_sub_nc_u32_e32 v0, 29, v0
	v_lshlrev_b64 v[2:3], v2, v[14:15]
	s_delay_alu instid0(VALU_DEP_1)
	v_and_b32_e32 v14, 7, v2
; %bb.1264:                             ;   in Loop: Header=BB270_16 Depth=1
	s_or_b32 exec_lo, exec_lo, s25
	v_dual_mov_b32 v138, v15 :: v_dual_lshlrev_b32 v1, 24, v1
	s_delay_alu instid0(VALU_DEP_2) | instskip(SKIP_1) | instid1(VALU_DEP_3)
	v_lshlrev_b32_e32 v2, 20, v14
	v_lshl_add_u32 v0, v0, 23, 0x3c000000
	v_and_b32_e32 v1, 0x80000000, v1
	s_delay_alu instid0(VALU_DEP_1)
	v_or3_b32 v139, v2, v1, v0
.LBB270_1265:                           ;   in Loop: Header=BB270_16 Depth=1
	s_or_b32 exec_lo, exec_lo, s2
.LBB270_1266:                           ;   in Loop: Header=BB270_16 Depth=1
	s_delay_alu instid0(SALU_CYCLE_1)
	s_or_b32 exec_lo, exec_lo, s24
.LBB270_1267:                           ;   in Loop: Header=BB270_16 Depth=1
	s_delay_alu instid0(SALU_CYCLE_1)
	s_or_b32 exec_lo, exec_lo, s23
	flat_load_b32 v0, v[24:25] offset:524
	v_mov_b32_e32 v134, 0
	v_mov_b32_e32 v135, 0
	s_mov_b32 s2, exec_lo
	scratch_store_b64 off, v[134:135], s32 offset:1612 ; 8-byte Folded Spill
	s_waitcnt vmcnt(0) lgkmcnt(0)
	v_and_b32_e32 v1, 0xff, v0
	s_delay_alu instid0(VALU_DEP_1)
	v_cmpx_ne_u16_e32 0, v1
	s_cbranch_execz .LBB270_1275
; %bb.1268:                             ;   in Loop: Header=BB270_16 Depth=1
	v_cmp_ne_u16_e64 s1, 0x80, v1
	v_bfrev_b32_e32 v1, 1
	v_mov_b32_e32 v2, 0
	scratch_store_b64 off, v[1:2], s32 offset:1612 ; 8-byte Folded Spill
	s_and_saveexec_b32 s23, s1
	s_cbranch_execz .LBB270_1274
; %bb.1269:                             ;   in Loop: Header=BB270_16 Depth=1
	v_mov_b32_e32 v3, 0x7f800001
	v_and_b32_e32 v2, 0x7f, v0
	v_mov_b32_e32 v4, 0
	s_mov_b32 s24, exec_lo
	scratch_store_b64 off, v[3:4], s32 offset:1612 ; 8-byte Folded Spill
	v_cmpx_ne_u32_e32 0x7f, v2
	s_cbranch_execz .LBB270_1273
; %bb.1270:                             ;   in Loop: Header=BB270_16 Depth=1
	v_and_b32_e32 v14, 7, v0
	v_lshrrev_b32_e32 v1, 3, v2
	s_mov_b32 s25, exec_lo
	v_cmpx_gt_u32_e32 8, v2
; %bb.1271:                             ;   in Loop: Header=BB270_16 Depth=1
	s_delay_alu instid0(VALU_DEP_3) | instskip(NEXT) | instid1(VALU_DEP_1)
	v_clz_i32_u32_e32 v1, v14
	v_min_u32_e32 v1, 32, v1
	s_delay_alu instid0(VALU_DEP_1) | instskip(SKIP_1) | instid1(VALU_DEP_2)
	v_subrev_nc_u32_e32 v2, 28, v1
	v_sub_nc_u32_e32 v1, 29, v1
	v_lshlrev_b64 v[2:3], v2, v[14:15]
	s_delay_alu instid0(VALU_DEP_1)
	v_and_b32_e32 v14, 7, v2
; %bb.1272:                             ;   in Loop: Header=BB270_16 Depth=1
	s_or_b32 exec_lo, exec_lo, s25
	v_lshlrev_b32_e32 v2, 24, v0
	s_delay_alu instid0(VALU_DEP_2) | instskip(SKIP_1) | instid1(VALU_DEP_3)
	v_lshlrev_b32_e32 v3, 20, v14
	v_lshl_add_u32 v1, v1, 23, 0x3c000000
	v_and_b32_e32 v2, 0x80000000, v2
	s_delay_alu instid0(VALU_DEP_1)
	v_or3_b32 v14, v3, v2, v1
	scratch_store_b64 off, v[14:15], s32 offset:1612 ; 8-byte Folded Spill
.LBB270_1273:                           ;   in Loop: Header=BB270_16 Depth=1
	s_or_b32 exec_lo, exec_lo, s24
.LBB270_1274:                           ;   in Loop: Header=BB270_16 Depth=1
	s_delay_alu instid0(SALU_CYCLE_1)
	s_or_b32 exec_lo, exec_lo, s23
.LBB270_1275:                           ;   in Loop: Header=BB270_16 Depth=1
	s_delay_alu instid0(SALU_CYCLE_1) | instskip(SKIP_2) | instid1(VALU_DEP_1)
	s_or_b32 exec_lo, exec_lo, s2
	v_lshrrev_b16 v1, 8, v0
	s_mov_b32 s23, exec_lo
	v_cmpx_ne_u16_e32 0, v1
	s_cbranch_execz .LBB270_1283
; %bb.1276:                             ;   in Loop: Header=BB270_16 Depth=1
	v_dual_mov_b32 v135, s9 :: v_dual_mov_b32 v134, s8
	s_mov_b32 s24, exec_lo
	v_cmpx_ne_u16_e32 0x80, v1
	s_cbranch_execz .LBB270_1282
; %bb.1277:                             ;   in Loop: Header=BB270_16 Depth=1
	s_mov_b32 s2, s8
	v_and_b32_e32 v1, 0xffff, v1
	v_dual_mov_b32 v135, s3 :: v_dual_mov_b32 v134, s2
	s_mov_b32 s2, exec_lo
	s_delay_alu instid0(VALU_DEP_2) | instskip(NEXT) | instid1(VALU_DEP_1)
	v_and_b32_e32 v2, 0x7f, v1
	v_cmpx_ne_u32_e32 0x7f, v2
	s_cbranch_execz .LBB270_1281
; %bb.1278:                             ;   in Loop: Header=BB270_16 Depth=1
	v_and_b32_e32 v14, 7, v1
	v_lshrrev_b32_e32 v1, 3, v2
	s_mov_b32 s25, exec_lo
	v_cmpx_gt_u32_e32 8, v2
; %bb.1279:                             ;   in Loop: Header=BB270_16 Depth=1
	s_delay_alu instid0(VALU_DEP_3) | instskip(NEXT) | instid1(VALU_DEP_1)
	v_clz_i32_u32_e32 v1, v14
	v_min_u32_e32 v1, 32, v1
	s_delay_alu instid0(VALU_DEP_1) | instskip(SKIP_1) | instid1(VALU_DEP_2)
	v_subrev_nc_u32_e32 v2, 28, v1
	v_sub_nc_u32_e32 v1, 29, v1
	v_lshlrev_b64 v[2:3], v2, v[14:15]
	s_delay_alu instid0(VALU_DEP_1)
	v_and_b32_e32 v14, 7, v2
; %bb.1280:                             ;   in Loop: Header=BB270_16 Depth=1
	s_or_b32 exec_lo, exec_lo, s25
	v_lshlrev_b32_e32 v2, 16, v0
	s_delay_alu instid0(VALU_DEP_2) | instskip(SKIP_1) | instid1(VALU_DEP_3)
	v_dual_mov_b32 v134, v15 :: v_dual_lshlrev_b32 v3, 20, v14
	v_lshl_add_u32 v1, v1, 23, 0x3c000000
	v_and_b32_e32 v2, 0x80000000, v2
	s_delay_alu instid0(VALU_DEP_1)
	v_or3_b32 v135, v3, v2, v1
.LBB270_1281:                           ;   in Loop: Header=BB270_16 Depth=1
	s_or_b32 exec_lo, exec_lo, s2
.LBB270_1282:                           ;   in Loop: Header=BB270_16 Depth=1
	s_delay_alu instid0(SALU_CYCLE_1)
	s_or_b32 exec_lo, exec_lo, s24
.LBB270_1283:                           ;   in Loop: Header=BB270_16 Depth=1
	s_delay_alu instid0(SALU_CYCLE_1) | instskip(SKIP_4) | instid1(VALU_DEP_3)
	s_or_b32 exec_lo, exec_lo, s23
	v_lshrrev_b32_e32 v1, 16, v0
	v_mov_b32_e32 v160, 0
	v_mov_b32_e32 v161, 0
	s_mov_b32 s2, exec_lo
	v_and_b32_e32 v2, 0xff, v1
	scratch_store_b64 off, v[160:161], s32 offset:1620 ; 8-byte Folded Spill
	v_cmpx_ne_u16_e32 0, v2
	s_cbranch_execz .LBB270_1291
; %bb.1284:                             ;   in Loop: Header=BB270_16 Depth=1
	v_cmp_ne_u16_e64 s1, 0x80, v2
	v_bfrev_b32_e32 v2, 1
	v_mov_b32_e32 v3, 0
	scratch_store_b64 off, v[2:3], s32 offset:1620 ; 8-byte Folded Spill
	s_and_saveexec_b32 s23, s1
	s_cbranch_execz .LBB270_1290
; %bb.1285:                             ;   in Loop: Header=BB270_16 Depth=1
	v_mov_b32_e32 v4, 0x7f800001
	v_bfe_u32 v3, v0, 16, 7
	v_mov_b32_e32 v5, 0
	s_mov_b32 s24, exec_lo
	scratch_store_b64 off, v[4:5], s32 offset:1620 ; 8-byte Folded Spill
	v_cmpx_ne_u32_e32 0x7f, v3
	s_cbranch_execz .LBB270_1289
; %bb.1286:                             ;   in Loop: Header=BB270_16 Depth=1
	v_and_b32_e32 v14, 7, v1
	v_lshrrev_b32_e32 v2, 3, v3
	s_mov_b32 s25, exec_lo
	v_cmpx_gt_u32_e32 8, v3
; %bb.1287:                             ;   in Loop: Header=BB270_16 Depth=1
	s_delay_alu instid0(VALU_DEP_3) | instskip(NEXT) | instid1(VALU_DEP_1)
	v_clz_i32_u32_e32 v2, v14
	v_min_u32_e32 v2, 32, v2
	s_delay_alu instid0(VALU_DEP_1) | instskip(SKIP_1) | instid1(VALU_DEP_2)
	v_subrev_nc_u32_e32 v3, 28, v2
	v_sub_nc_u32_e32 v2, 29, v2
	v_lshlrev_b64 v[3:4], v3, v[14:15]
	s_delay_alu instid0(VALU_DEP_1)
	v_and_b32_e32 v14, 7, v3
; %bb.1288:                             ;   in Loop: Header=BB270_16 Depth=1
	s_or_b32 exec_lo, exec_lo, s25
	v_lshlrev_b32_e32 v1, 24, v1
	s_delay_alu instid0(VALU_DEP_2) | instskip(SKIP_1) | instid1(VALU_DEP_3)
	v_lshlrev_b32_e32 v3, 20, v14
	v_lshl_add_u32 v2, v2, 23, 0x3c000000
	v_and_b32_e32 v1, 0x80000000, v1
	s_delay_alu instid0(VALU_DEP_1)
	v_or3_b32 v14, v3, v1, v2
	scratch_store_b64 off, v[14:15], s32 offset:1620 ; 8-byte Folded Spill
.LBB270_1289:                           ;   in Loop: Header=BB270_16 Depth=1
	s_or_b32 exec_lo, exec_lo, s24
.LBB270_1290:                           ;   in Loop: Header=BB270_16 Depth=1
	s_delay_alu instid0(SALU_CYCLE_1)
	s_or_b32 exec_lo, exec_lo, s23
.LBB270_1291:                           ;   in Loop: Header=BB270_16 Depth=1
	s_delay_alu instid0(SALU_CYCLE_1) | instskip(NEXT) | instid1(SALU_CYCLE_1)
	s_or_b32 exec_lo, exec_lo, s2
	s_mov_b32 s23, exec_lo
	v_cmpx_lt_u32_e32 0xffffff, v0
	s_cbranch_execz .LBB270_1299
; %bb.1292:                             ;   in Loop: Header=BB270_16 Depth=1
	v_lshrrev_b32_e32 v1, 24, v0
	v_dual_mov_b32 v161, s9 :: v_dual_mov_b32 v160, s8
	s_mov_b32 s24, exec_lo
	s_delay_alu instid0(VALU_DEP_2)
	v_cmpx_ne_u32_e32 0x80, v1
	s_cbranch_execz .LBB270_1298
; %bb.1293:                             ;   in Loop: Header=BB270_16 Depth=1
	s_mov_b32 s2, s8
	v_bfe_u32 v2, v0, 24, 7
	v_dual_mov_b32 v161, s3 :: v_dual_mov_b32 v160, s2
	s_mov_b32 s2, exec_lo
	s_delay_alu instid0(VALU_DEP_2)
	v_cmpx_ne_u32_e32 0x7f, v2
	s_cbranch_execz .LBB270_1297
; %bb.1294:                             ;   in Loop: Header=BB270_16 Depth=1
	v_and_b32_e32 v14, 7, v1
	v_lshrrev_b32_e32 v0, 3, v2
	s_mov_b32 s25, exec_lo
	v_cmpx_gt_u32_e32 8, v2
; %bb.1295:                             ;   in Loop: Header=BB270_16 Depth=1
	s_delay_alu instid0(VALU_DEP_3) | instskip(NEXT) | instid1(VALU_DEP_1)
	v_clz_i32_u32_e32 v0, v14
	v_min_u32_e32 v0, 32, v0
	s_delay_alu instid0(VALU_DEP_1) | instskip(SKIP_1) | instid1(VALU_DEP_2)
	v_subrev_nc_u32_e32 v2, 28, v0
	v_sub_nc_u32_e32 v0, 29, v0
	v_lshlrev_b64 v[2:3], v2, v[14:15]
	s_delay_alu instid0(VALU_DEP_1)
	v_and_b32_e32 v14, 7, v2
; %bb.1296:                             ;   in Loop: Header=BB270_16 Depth=1
	s_or_b32 exec_lo, exec_lo, s25
	v_dual_mov_b32 v160, v15 :: v_dual_lshlrev_b32 v1, 24, v1
	s_delay_alu instid0(VALU_DEP_2) | instskip(SKIP_1) | instid1(VALU_DEP_3)
	v_lshlrev_b32_e32 v2, 20, v14
	v_lshl_add_u32 v0, v0, 23, 0x3c000000
	v_and_b32_e32 v1, 0x80000000, v1
	s_delay_alu instid0(VALU_DEP_1)
	v_or3_b32 v161, v2, v1, v0
.LBB270_1297:                           ;   in Loop: Header=BB270_16 Depth=1
	s_or_b32 exec_lo, exec_lo, s2
.LBB270_1298:                           ;   in Loop: Header=BB270_16 Depth=1
	s_delay_alu instid0(SALU_CYCLE_1)
	s_or_b32 exec_lo, exec_lo, s24
.LBB270_1299:                           ;   in Loop: Header=BB270_16 Depth=1
	s_delay_alu instid0(SALU_CYCLE_1)
	s_or_b32 exec_lo, exec_lo, s23
	flat_load_b32 v0, v[24:25] offset:1024
	v_mov_b32_e32 v162, 0
	v_mov_b32_e32 v163, 0
	s_mov_b32 s2, exec_lo
	scratch_store_b64 off, v[162:163], s32 offset:1628 ; 8-byte Folded Spill
	s_waitcnt vmcnt(0) lgkmcnt(0)
	v_and_b32_e32 v1, 0xff, v0
	s_delay_alu instid0(VALU_DEP_1)
	v_cmpx_ne_u16_e32 0, v1
	s_cbranch_execz .LBB270_1307
; %bb.1300:                             ;   in Loop: Header=BB270_16 Depth=1
	v_cmp_ne_u16_e64 s1, 0x80, v1
	v_bfrev_b32_e32 v1, 1
	v_mov_b32_e32 v2, 0
	scratch_store_b64 off, v[1:2], s32 offset:1628 ; 8-byte Folded Spill
	s_and_saveexec_b32 s23, s1
	s_cbranch_execz .LBB270_1306
; %bb.1301:                             ;   in Loop: Header=BB270_16 Depth=1
	v_mov_b32_e32 v3, 0x7f800001
	v_and_b32_e32 v2, 0x7f, v0
	v_mov_b32_e32 v4, 0
	s_mov_b32 s24, exec_lo
	scratch_store_b64 off, v[3:4], s32 offset:1628 ; 8-byte Folded Spill
	v_cmpx_ne_u32_e32 0x7f, v2
	s_cbranch_execz .LBB270_1305
; %bb.1302:                             ;   in Loop: Header=BB270_16 Depth=1
	v_and_b32_e32 v14, 7, v0
	v_lshrrev_b32_e32 v1, 3, v2
	s_mov_b32 s25, exec_lo
	v_cmpx_gt_u32_e32 8, v2
; %bb.1303:                             ;   in Loop: Header=BB270_16 Depth=1
	s_delay_alu instid0(VALU_DEP_3) | instskip(NEXT) | instid1(VALU_DEP_1)
	v_clz_i32_u32_e32 v1, v14
	v_min_u32_e32 v1, 32, v1
	s_delay_alu instid0(VALU_DEP_1) | instskip(SKIP_1) | instid1(VALU_DEP_2)
	v_subrev_nc_u32_e32 v2, 28, v1
	v_sub_nc_u32_e32 v1, 29, v1
	v_lshlrev_b64 v[2:3], v2, v[14:15]
	s_delay_alu instid0(VALU_DEP_1)
	v_and_b32_e32 v14, 7, v2
; %bb.1304:                             ;   in Loop: Header=BB270_16 Depth=1
	s_or_b32 exec_lo, exec_lo, s25
	v_lshlrev_b32_e32 v2, 24, v0
	s_delay_alu instid0(VALU_DEP_2) | instskip(SKIP_1) | instid1(VALU_DEP_3)
	v_lshlrev_b32_e32 v3, 20, v14
	v_lshl_add_u32 v1, v1, 23, 0x3c000000
	v_and_b32_e32 v2, 0x80000000, v2
	s_delay_alu instid0(VALU_DEP_1)
	v_or3_b32 v14, v3, v2, v1
	scratch_store_b64 off, v[14:15], s32 offset:1628 ; 8-byte Folded Spill
.LBB270_1305:                           ;   in Loop: Header=BB270_16 Depth=1
	s_or_b32 exec_lo, exec_lo, s24
.LBB270_1306:                           ;   in Loop: Header=BB270_16 Depth=1
	s_delay_alu instid0(SALU_CYCLE_1)
	s_or_b32 exec_lo, exec_lo, s23
.LBB270_1307:                           ;   in Loop: Header=BB270_16 Depth=1
	s_delay_alu instid0(SALU_CYCLE_1) | instskip(SKIP_2) | instid1(VALU_DEP_1)
	s_or_b32 exec_lo, exec_lo, s2
	v_lshrrev_b16 v1, 8, v0
	s_mov_b32 s23, exec_lo
	v_cmpx_ne_u16_e32 0, v1
	s_cbranch_execz .LBB270_1315
; %bb.1308:                             ;   in Loop: Header=BB270_16 Depth=1
	v_dual_mov_b32 v163, s9 :: v_dual_mov_b32 v162, s8
	s_mov_b32 s24, exec_lo
	v_cmpx_ne_u16_e32 0x80, v1
	s_cbranch_execz .LBB270_1314
; %bb.1309:                             ;   in Loop: Header=BB270_16 Depth=1
	s_mov_b32 s2, s8
	v_and_b32_e32 v1, 0xffff, v1
	v_dual_mov_b32 v163, s3 :: v_dual_mov_b32 v162, s2
	s_mov_b32 s2, exec_lo
	s_delay_alu instid0(VALU_DEP_2) | instskip(NEXT) | instid1(VALU_DEP_1)
	v_and_b32_e32 v2, 0x7f, v1
	v_cmpx_ne_u32_e32 0x7f, v2
	s_cbranch_execz .LBB270_1313
; %bb.1310:                             ;   in Loop: Header=BB270_16 Depth=1
	v_and_b32_e32 v14, 7, v1
	v_lshrrev_b32_e32 v1, 3, v2
	s_mov_b32 s25, exec_lo
	v_cmpx_gt_u32_e32 8, v2
; %bb.1311:                             ;   in Loop: Header=BB270_16 Depth=1
	s_delay_alu instid0(VALU_DEP_3) | instskip(NEXT) | instid1(VALU_DEP_1)
	v_clz_i32_u32_e32 v1, v14
	v_min_u32_e32 v1, 32, v1
	s_delay_alu instid0(VALU_DEP_1) | instskip(SKIP_1) | instid1(VALU_DEP_2)
	v_subrev_nc_u32_e32 v2, 28, v1
	v_sub_nc_u32_e32 v1, 29, v1
	v_lshlrev_b64 v[2:3], v2, v[14:15]
	s_delay_alu instid0(VALU_DEP_1)
	v_and_b32_e32 v14, 7, v2
; %bb.1312:                             ;   in Loop: Header=BB270_16 Depth=1
	s_or_b32 exec_lo, exec_lo, s25
	v_lshlrev_b32_e32 v2, 16, v0
	s_delay_alu instid0(VALU_DEP_2) | instskip(SKIP_1) | instid1(VALU_DEP_3)
	v_dual_mov_b32 v162, v15 :: v_dual_lshlrev_b32 v3, 20, v14
	v_lshl_add_u32 v1, v1, 23, 0x3c000000
	v_and_b32_e32 v2, 0x80000000, v2
	s_delay_alu instid0(VALU_DEP_1)
	v_or3_b32 v163, v3, v2, v1
.LBB270_1313:                           ;   in Loop: Header=BB270_16 Depth=1
	s_or_b32 exec_lo, exec_lo, s2
.LBB270_1314:                           ;   in Loop: Header=BB270_16 Depth=1
	s_delay_alu instid0(SALU_CYCLE_1)
	s_or_b32 exec_lo, exec_lo, s24
.LBB270_1315:                           ;   in Loop: Header=BB270_16 Depth=1
	s_delay_alu instid0(SALU_CYCLE_1) | instskip(SKIP_4) | instid1(VALU_DEP_3)
	s_or_b32 exec_lo, exec_lo, s23
	v_lshrrev_b32_e32 v1, 16, v0
	v_mov_b32_e32 v174, 0
	v_mov_b32_e32 v175, 0
	s_mov_b32 s2, exec_lo
	v_and_b32_e32 v2, 0xff, v1
	scratch_store_b64 off, v[174:175], s32 offset:1636 ; 8-byte Folded Spill
	v_cmpx_ne_u16_e32 0, v2
	s_cbranch_execz .LBB270_1323
; %bb.1316:                             ;   in Loop: Header=BB270_16 Depth=1
	v_cmp_ne_u16_e64 s1, 0x80, v2
	v_bfrev_b32_e32 v2, 1
	v_mov_b32_e32 v3, 0
	scratch_store_b64 off, v[2:3], s32 offset:1636 ; 8-byte Folded Spill
	s_and_saveexec_b32 s23, s1
	s_cbranch_execz .LBB270_1322
; %bb.1317:                             ;   in Loop: Header=BB270_16 Depth=1
	v_mov_b32_e32 v4, 0x7f800001
	v_bfe_u32 v3, v0, 16, 7
	v_mov_b32_e32 v5, 0
	s_mov_b32 s24, exec_lo
	scratch_store_b64 off, v[4:5], s32 offset:1636 ; 8-byte Folded Spill
	v_cmpx_ne_u32_e32 0x7f, v3
	s_cbranch_execz .LBB270_1321
; %bb.1318:                             ;   in Loop: Header=BB270_16 Depth=1
	v_and_b32_e32 v14, 7, v1
	v_lshrrev_b32_e32 v2, 3, v3
	s_mov_b32 s25, exec_lo
	v_cmpx_gt_u32_e32 8, v3
; %bb.1319:                             ;   in Loop: Header=BB270_16 Depth=1
	s_delay_alu instid0(VALU_DEP_3) | instskip(NEXT) | instid1(VALU_DEP_1)
	v_clz_i32_u32_e32 v2, v14
	v_min_u32_e32 v2, 32, v2
	s_delay_alu instid0(VALU_DEP_1) | instskip(SKIP_1) | instid1(VALU_DEP_2)
	v_subrev_nc_u32_e32 v3, 28, v2
	v_sub_nc_u32_e32 v2, 29, v2
	v_lshlrev_b64 v[3:4], v3, v[14:15]
	s_delay_alu instid0(VALU_DEP_1)
	v_and_b32_e32 v14, 7, v3
; %bb.1320:                             ;   in Loop: Header=BB270_16 Depth=1
	s_or_b32 exec_lo, exec_lo, s25
	v_lshlrev_b32_e32 v1, 24, v1
	s_delay_alu instid0(VALU_DEP_2) | instskip(SKIP_1) | instid1(VALU_DEP_3)
	v_lshlrev_b32_e32 v3, 20, v14
	v_lshl_add_u32 v2, v2, 23, 0x3c000000
	v_and_b32_e32 v1, 0x80000000, v1
	s_delay_alu instid0(VALU_DEP_1)
	v_or3_b32 v14, v3, v1, v2
	scratch_store_b64 off, v[14:15], s32 offset:1636 ; 8-byte Folded Spill
.LBB270_1321:                           ;   in Loop: Header=BB270_16 Depth=1
	s_or_b32 exec_lo, exec_lo, s24
.LBB270_1322:                           ;   in Loop: Header=BB270_16 Depth=1
	s_delay_alu instid0(SALU_CYCLE_1)
	s_or_b32 exec_lo, exec_lo, s23
.LBB270_1323:                           ;   in Loop: Header=BB270_16 Depth=1
	s_delay_alu instid0(SALU_CYCLE_1) | instskip(NEXT) | instid1(SALU_CYCLE_1)
	s_or_b32 exec_lo, exec_lo, s2
	s_mov_b32 s23, exec_lo
	v_cmpx_lt_u32_e32 0xffffff, v0
	s_cbranch_execz .LBB270_1331
; %bb.1324:                             ;   in Loop: Header=BB270_16 Depth=1
	v_lshrrev_b32_e32 v1, 24, v0
	v_dual_mov_b32 v175, s9 :: v_dual_mov_b32 v174, s8
	s_mov_b32 s24, exec_lo
	s_delay_alu instid0(VALU_DEP_2)
	v_cmpx_ne_u32_e32 0x80, v1
	s_cbranch_execz .LBB270_1330
; %bb.1325:                             ;   in Loop: Header=BB270_16 Depth=1
	s_mov_b32 s2, s8
	v_bfe_u32 v2, v0, 24, 7
	v_dual_mov_b32 v175, s3 :: v_dual_mov_b32 v174, s2
	s_mov_b32 s2, exec_lo
	s_delay_alu instid0(VALU_DEP_2)
	v_cmpx_ne_u32_e32 0x7f, v2
	s_cbranch_execz .LBB270_1329
; %bb.1326:                             ;   in Loop: Header=BB270_16 Depth=1
	v_and_b32_e32 v14, 7, v1
	v_lshrrev_b32_e32 v0, 3, v2
	s_mov_b32 s25, exec_lo
	v_cmpx_gt_u32_e32 8, v2
; %bb.1327:                             ;   in Loop: Header=BB270_16 Depth=1
	s_delay_alu instid0(VALU_DEP_3) | instskip(NEXT) | instid1(VALU_DEP_1)
	v_clz_i32_u32_e32 v0, v14
	v_min_u32_e32 v0, 32, v0
	s_delay_alu instid0(VALU_DEP_1) | instskip(SKIP_1) | instid1(VALU_DEP_2)
	v_subrev_nc_u32_e32 v2, 28, v0
	v_sub_nc_u32_e32 v0, 29, v0
	v_lshlrev_b64 v[2:3], v2, v[14:15]
	s_delay_alu instid0(VALU_DEP_1)
	v_and_b32_e32 v14, 7, v2
; %bb.1328:                             ;   in Loop: Header=BB270_16 Depth=1
	s_or_b32 exec_lo, exec_lo, s25
	v_dual_mov_b32 v174, v15 :: v_dual_lshlrev_b32 v1, 24, v1
	s_delay_alu instid0(VALU_DEP_2) | instskip(SKIP_1) | instid1(VALU_DEP_3)
	v_lshlrev_b32_e32 v2, 20, v14
	v_lshl_add_u32 v0, v0, 23, 0x3c000000
	v_and_b32_e32 v1, 0x80000000, v1
	s_delay_alu instid0(VALU_DEP_1)
	v_or3_b32 v175, v2, v1, v0
.LBB270_1329:                           ;   in Loop: Header=BB270_16 Depth=1
	s_or_b32 exec_lo, exec_lo, s2
.LBB270_1330:                           ;   in Loop: Header=BB270_16 Depth=1
	s_delay_alu instid0(SALU_CYCLE_1)
	s_or_b32 exec_lo, exec_lo, s24
.LBB270_1331:                           ;   in Loop: Header=BB270_16 Depth=1
	s_delay_alu instid0(SALU_CYCLE_1)
	s_or_b32 exec_lo, exec_lo, s23
	flat_load_b32 v0, v[24:25] offset:1028
	v_mov_b32_e32 v186, 0
	v_mov_b32_e32 v187, 0
	s_mov_b32 s2, exec_lo
	scratch_store_b64 off, v[186:187], s32 offset:1644 ; 8-byte Folded Spill
	s_waitcnt vmcnt(0) lgkmcnt(0)
	v_and_b32_e32 v1, 0xff, v0
	s_delay_alu instid0(VALU_DEP_1)
	v_cmpx_ne_u16_e32 0, v1
	s_cbranch_execz .LBB270_1339
; %bb.1332:                             ;   in Loop: Header=BB270_16 Depth=1
	v_cmp_ne_u16_e64 s1, 0x80, v1
	v_bfrev_b32_e32 v1, 1
	v_mov_b32_e32 v2, 0
	scratch_store_b64 off, v[1:2], s32 offset:1644 ; 8-byte Folded Spill
	s_and_saveexec_b32 s23, s1
	s_cbranch_execz .LBB270_1338
; %bb.1333:                             ;   in Loop: Header=BB270_16 Depth=1
	v_mov_b32_e32 v3, 0x7f800001
	v_and_b32_e32 v2, 0x7f, v0
	v_mov_b32_e32 v4, 0
	s_mov_b32 s24, exec_lo
	scratch_store_b64 off, v[3:4], s32 offset:1644 ; 8-byte Folded Spill
	v_cmpx_ne_u32_e32 0x7f, v2
	s_cbranch_execz .LBB270_1337
; %bb.1334:                             ;   in Loop: Header=BB270_16 Depth=1
	v_and_b32_e32 v14, 7, v0
	v_lshrrev_b32_e32 v1, 3, v2
	s_mov_b32 s25, exec_lo
	v_cmpx_gt_u32_e32 8, v2
; %bb.1335:                             ;   in Loop: Header=BB270_16 Depth=1
	s_delay_alu instid0(VALU_DEP_3) | instskip(NEXT) | instid1(VALU_DEP_1)
	v_clz_i32_u32_e32 v1, v14
	v_min_u32_e32 v1, 32, v1
	s_delay_alu instid0(VALU_DEP_1) | instskip(SKIP_1) | instid1(VALU_DEP_2)
	v_subrev_nc_u32_e32 v2, 28, v1
	v_sub_nc_u32_e32 v1, 29, v1
	v_lshlrev_b64 v[2:3], v2, v[14:15]
	s_delay_alu instid0(VALU_DEP_1)
	v_and_b32_e32 v14, 7, v2
; %bb.1336:                             ;   in Loop: Header=BB270_16 Depth=1
	s_or_b32 exec_lo, exec_lo, s25
	v_lshlrev_b32_e32 v2, 24, v0
	s_delay_alu instid0(VALU_DEP_2) | instskip(SKIP_1) | instid1(VALU_DEP_3)
	v_lshlrev_b32_e32 v3, 20, v14
	v_lshl_add_u32 v1, v1, 23, 0x3c000000
	v_and_b32_e32 v2, 0x80000000, v2
	s_delay_alu instid0(VALU_DEP_1)
	v_or3_b32 v14, v3, v2, v1
	scratch_store_b64 off, v[14:15], s32 offset:1644 ; 8-byte Folded Spill
.LBB270_1337:                           ;   in Loop: Header=BB270_16 Depth=1
	s_or_b32 exec_lo, exec_lo, s24
.LBB270_1338:                           ;   in Loop: Header=BB270_16 Depth=1
	s_delay_alu instid0(SALU_CYCLE_1)
	s_or_b32 exec_lo, exec_lo, s23
.LBB270_1339:                           ;   in Loop: Header=BB270_16 Depth=1
	s_delay_alu instid0(SALU_CYCLE_1) | instskip(SKIP_2) | instid1(VALU_DEP_1)
	s_or_b32 exec_lo, exec_lo, s2
	v_lshrrev_b16 v1, 8, v0
	s_mov_b32 s23, exec_lo
	v_cmpx_ne_u16_e32 0, v1
	s_cbranch_execz .LBB270_1347
; %bb.1340:                             ;   in Loop: Header=BB270_16 Depth=1
	v_dual_mov_b32 v187, s9 :: v_dual_mov_b32 v186, s8
	s_mov_b32 s24, exec_lo
	v_cmpx_ne_u16_e32 0x80, v1
	s_cbranch_execz .LBB270_1346
; %bb.1341:                             ;   in Loop: Header=BB270_16 Depth=1
	s_mov_b32 s2, s8
	v_and_b32_e32 v1, 0xffff, v1
	v_dual_mov_b32 v187, s3 :: v_dual_mov_b32 v186, s2
	s_mov_b32 s2, exec_lo
	s_delay_alu instid0(VALU_DEP_2) | instskip(NEXT) | instid1(VALU_DEP_1)
	v_and_b32_e32 v2, 0x7f, v1
	v_cmpx_ne_u32_e32 0x7f, v2
	s_cbranch_execz .LBB270_1345
; %bb.1342:                             ;   in Loop: Header=BB270_16 Depth=1
	v_and_b32_e32 v14, 7, v1
	v_lshrrev_b32_e32 v1, 3, v2
	s_mov_b32 s25, exec_lo
	v_cmpx_gt_u32_e32 8, v2
; %bb.1343:                             ;   in Loop: Header=BB270_16 Depth=1
	s_delay_alu instid0(VALU_DEP_3) | instskip(NEXT) | instid1(VALU_DEP_1)
	v_clz_i32_u32_e32 v1, v14
	v_min_u32_e32 v1, 32, v1
	s_delay_alu instid0(VALU_DEP_1) | instskip(SKIP_1) | instid1(VALU_DEP_2)
	v_subrev_nc_u32_e32 v2, 28, v1
	v_sub_nc_u32_e32 v1, 29, v1
	v_lshlrev_b64 v[2:3], v2, v[14:15]
	s_delay_alu instid0(VALU_DEP_1)
	v_and_b32_e32 v14, 7, v2
; %bb.1344:                             ;   in Loop: Header=BB270_16 Depth=1
	s_or_b32 exec_lo, exec_lo, s25
	v_lshlrev_b32_e32 v2, 16, v0
	s_delay_alu instid0(VALU_DEP_2) | instskip(SKIP_1) | instid1(VALU_DEP_3)
	v_dual_mov_b32 v186, v15 :: v_dual_lshlrev_b32 v3, 20, v14
	v_lshl_add_u32 v1, v1, 23, 0x3c000000
	v_and_b32_e32 v2, 0x80000000, v2
	s_delay_alu instid0(VALU_DEP_1)
	v_or3_b32 v187, v3, v2, v1
.LBB270_1345:                           ;   in Loop: Header=BB270_16 Depth=1
	s_or_b32 exec_lo, exec_lo, s2
.LBB270_1346:                           ;   in Loop: Header=BB270_16 Depth=1
	s_delay_alu instid0(SALU_CYCLE_1)
	s_or_b32 exec_lo, exec_lo, s24
.LBB270_1347:                           ;   in Loop: Header=BB270_16 Depth=1
	s_delay_alu instid0(SALU_CYCLE_1) | instskip(SKIP_4) | instid1(VALU_DEP_3)
	s_or_b32 exec_lo, exec_lo, s23
	v_lshrrev_b32_e32 v1, 16, v0
	v_mov_b32_e32 v190, 0
	v_mov_b32_e32 v191, 0
	s_mov_b32 s2, exec_lo
	v_and_b32_e32 v2, 0xff, v1
	scratch_store_b64 off, v[190:191], s32 offset:1652 ; 8-byte Folded Spill
	v_cmpx_ne_u16_e32 0, v2
	s_cbranch_execz .LBB270_1355
; %bb.1348:                             ;   in Loop: Header=BB270_16 Depth=1
	v_cmp_ne_u16_e64 s1, 0x80, v2
	v_bfrev_b32_e32 v2, 1
	v_mov_b32_e32 v3, 0
	scratch_store_b64 off, v[2:3], s32 offset:1652 ; 8-byte Folded Spill
	s_and_saveexec_b32 s23, s1
	s_cbranch_execz .LBB270_1354
; %bb.1349:                             ;   in Loop: Header=BB270_16 Depth=1
	v_mov_b32_e32 v4, 0x7f800001
	v_bfe_u32 v3, v0, 16, 7
	v_mov_b32_e32 v5, 0
	s_mov_b32 s24, exec_lo
	scratch_store_b64 off, v[4:5], s32 offset:1652 ; 8-byte Folded Spill
	v_cmpx_ne_u32_e32 0x7f, v3
	s_cbranch_execz .LBB270_1353
; %bb.1350:                             ;   in Loop: Header=BB270_16 Depth=1
	v_and_b32_e32 v14, 7, v1
	v_lshrrev_b32_e32 v2, 3, v3
	s_mov_b32 s25, exec_lo
	v_cmpx_gt_u32_e32 8, v3
; %bb.1351:                             ;   in Loop: Header=BB270_16 Depth=1
	s_delay_alu instid0(VALU_DEP_3) | instskip(NEXT) | instid1(VALU_DEP_1)
	v_clz_i32_u32_e32 v2, v14
	v_min_u32_e32 v2, 32, v2
	s_delay_alu instid0(VALU_DEP_1) | instskip(SKIP_1) | instid1(VALU_DEP_2)
	v_subrev_nc_u32_e32 v3, 28, v2
	v_sub_nc_u32_e32 v2, 29, v2
	v_lshlrev_b64 v[3:4], v3, v[14:15]
	s_delay_alu instid0(VALU_DEP_1)
	v_and_b32_e32 v14, 7, v3
; %bb.1352:                             ;   in Loop: Header=BB270_16 Depth=1
	s_or_b32 exec_lo, exec_lo, s25
	v_lshlrev_b32_e32 v1, 24, v1
	s_delay_alu instid0(VALU_DEP_2) | instskip(SKIP_1) | instid1(VALU_DEP_3)
	v_lshlrev_b32_e32 v3, 20, v14
	v_lshl_add_u32 v2, v2, 23, 0x3c000000
	v_and_b32_e32 v1, 0x80000000, v1
	s_delay_alu instid0(VALU_DEP_1)
	v_or3_b32 v14, v3, v1, v2
	scratch_store_b64 off, v[14:15], s32 offset:1652 ; 8-byte Folded Spill
.LBB270_1353:                           ;   in Loop: Header=BB270_16 Depth=1
	s_or_b32 exec_lo, exec_lo, s24
.LBB270_1354:                           ;   in Loop: Header=BB270_16 Depth=1
	s_delay_alu instid0(SALU_CYCLE_1)
	s_or_b32 exec_lo, exec_lo, s23
.LBB270_1355:                           ;   in Loop: Header=BB270_16 Depth=1
	s_delay_alu instid0(SALU_CYCLE_1) | instskip(NEXT) | instid1(SALU_CYCLE_1)
	s_or_b32 exec_lo, exec_lo, s2
	s_mov_b32 s23, exec_lo
	v_cmpx_lt_u32_e32 0xffffff, v0
	s_cbranch_execz .LBB270_1363
; %bb.1356:                             ;   in Loop: Header=BB270_16 Depth=1
	v_lshrrev_b32_e32 v2, 24, v0
	v_dual_mov_b32 v191, s9 :: v_dual_mov_b32 v190, s8
	s_mov_b32 s24, exec_lo
	s_delay_alu instid0(VALU_DEP_2)
	v_cmpx_ne_u32_e32 0x80, v2
	s_cbranch_execz .LBB270_1362
; %bb.1357:                             ;   in Loop: Header=BB270_16 Depth=1
	s_mov_b32 s2, s8
	v_bfe_u32 v0, v0, 24, 7
	v_dual_mov_b32 v191, s3 :: v_dual_mov_b32 v190, s2
	s_mov_b32 s2, exec_lo
	s_delay_alu instid0(VALU_DEP_2)
	v_cmpx_ne_u32_e32 0x7f, v0
	s_cbranch_execz .LBB270_1361
; %bb.1358:                             ;   in Loop: Header=BB270_16 Depth=1
	v_and_b32_e32 v14, 7, v2
	v_lshrrev_b32_e32 v3, 3, v0
	v_cmp_gt_u32_e64 s1, 8, v0
	s_delay_alu instid0(VALU_DEP_3) | instskip(NEXT) | instid1(VALU_DEP_2)
	v_dual_mov_b32 v0, v14 :: v_dual_mov_b32 v1, v15
	s_and_saveexec_b32 s25, s1
; %bb.1359:                             ;   in Loop: Header=BB270_16 Depth=1
	v_clz_i32_u32_e32 v0, v14
	s_delay_alu instid0(VALU_DEP_1) | instskip(NEXT) | instid1(VALU_DEP_1)
	v_min_u32_e32 v3, 32, v0
	v_subrev_nc_u32_e32 v0, 28, v3
	v_sub_nc_u32_e32 v3, 29, v3
	s_delay_alu instid0(VALU_DEP_2) | instskip(NEXT) | instid1(VALU_DEP_1)
	v_lshlrev_b64 v[0:1], v0, v[14:15]
	v_and_b32_e32 v0, 7, v0
; %bb.1360:                             ;   in Loop: Header=BB270_16 Depth=1
	s_or_b32 exec_lo, exec_lo, s25
	v_dual_mov_b32 v190, v15 :: v_dual_lshlrev_b32 v1, 24, v2
	s_delay_alu instid0(VALU_DEP_2) | instskip(SKIP_1) | instid1(VALU_DEP_3)
	v_lshlrev_b32_e32 v0, 20, v0
	v_lshl_add_u32 v2, v3, 23, 0x3c000000
	v_and_b32_e32 v1, 0x80000000, v1
	s_delay_alu instid0(VALU_DEP_1)
	v_or3_b32 v191, v0, v1, v2
.LBB270_1361:                           ;   in Loop: Header=BB270_16 Depth=1
	s_or_b32 exec_lo, exec_lo, s2
.LBB270_1362:                           ;   in Loop: Header=BB270_16 Depth=1
	s_delay_alu instid0(SALU_CYCLE_1)
	s_or_b32 exec_lo, exec_lo, s24
.LBB270_1363:                           ;   in Loop: Header=BB270_16 Depth=1
	s_delay_alu instid0(SALU_CYCLE_1)
	s_or_b32 exec_lo, exec_lo, s23
	flat_load_b32 v2, v[24:25] offset:1032
	v_mov_b32_e32 v8, 0
	v_mov_b32_e32 v9, 0
	s_mov_b32 s2, exec_lo
	s_waitcnt vmcnt(0) lgkmcnt(0)
	v_and_b32_e32 v0, 0xff, v2
	scratch_store_b64 off, v[8:9], s32 offset:1660 ; 8-byte Folded Spill
	v_cmpx_ne_u16_e32 0, v0
	s_cbranch_execz .LBB270_1371
; %bb.1364:                             ;   in Loop: Header=BB270_16 Depth=1
	v_cmp_ne_u16_e64 s1, 0x80, v0
	v_bfrev_b32_e32 v0, 1
	v_mov_b32_e32 v1, 0
	scratch_store_b64 off, v[0:1], s32 offset:1660 ; 8-byte Folded Spill
	s_and_saveexec_b32 s23, s1
	s_cbranch_execz .LBB270_1370
; %bb.1365:                             ;   in Loop: Header=BB270_16 Depth=1
	v_mov_b32_e32 v3, 0x7f800001
	v_and_b32_e32 v0, 0x7f, v2
	v_mov_b32_e32 v4, 0
	s_mov_b32 s24, exec_lo
	scratch_store_b64 off, v[3:4], s32 offset:1660 ; 8-byte Folded Spill
	v_cmpx_ne_u32_e32 0x7f, v0
	s_cbranch_execz .LBB270_1369
; %bb.1366:                             ;   in Loop: Header=BB270_16 Depth=1
	v_and_b32_e32 v14, 7, v2
	v_lshrrev_b32_e32 v3, 3, v0
	v_cmp_gt_u32_e64 s1, 8, v0
	s_delay_alu instid0(VALU_DEP_3) | instskip(NEXT) | instid1(VALU_DEP_2)
	v_dual_mov_b32 v0, v14 :: v_dual_mov_b32 v1, v15
	s_and_saveexec_b32 s25, s1
; %bb.1367:                             ;   in Loop: Header=BB270_16 Depth=1
	v_clz_i32_u32_e32 v0, v14
	s_delay_alu instid0(VALU_DEP_1) | instskip(NEXT) | instid1(VALU_DEP_1)
	v_min_u32_e32 v3, 32, v0
	v_subrev_nc_u32_e32 v0, 28, v3
	v_sub_nc_u32_e32 v3, 29, v3
	s_delay_alu instid0(VALU_DEP_2) | instskip(NEXT) | instid1(VALU_DEP_1)
	v_lshlrev_b64 v[0:1], v0, v[14:15]
	v_and_b32_e32 v0, 7, v0
; %bb.1368:                             ;   in Loop: Header=BB270_16 Depth=1
	s_or_b32 exec_lo, exec_lo, s25
	v_lshlrev_b32_e32 v1, 24, v2
	s_delay_alu instid0(VALU_DEP_2) | instskip(SKIP_1) | instid1(VALU_DEP_3)
	v_lshlrev_b32_e32 v0, 20, v0
	v_lshl_add_u32 v3, v3, 23, 0x3c000000
	v_and_b32_e32 v1, 0x80000000, v1
	s_delay_alu instid0(VALU_DEP_1)
	v_or3_b32 v14, v0, v1, v3
	scratch_store_b64 off, v[14:15], s32 offset:1660 ; 8-byte Folded Spill
.LBB270_1369:                           ;   in Loop: Header=BB270_16 Depth=1
	s_or_b32 exec_lo, exec_lo, s24
.LBB270_1370:                           ;   in Loop: Header=BB270_16 Depth=1
	s_delay_alu instid0(SALU_CYCLE_1)
	s_or_b32 exec_lo, exec_lo, s23
.LBB270_1371:                           ;   in Loop: Header=BB270_16 Depth=1
	s_delay_alu instid0(SALU_CYCLE_1) | instskip(SKIP_2) | instid1(VALU_DEP_1)
	s_or_b32 exec_lo, exec_lo, s2
	v_lshrrev_b16 v0, 8, v2
	s_mov_b32 s23, exec_lo
	v_cmpx_ne_u16_e32 0, v0
	s_cbranch_execz .LBB270_1379
; %bb.1372:                             ;   in Loop: Header=BB270_16 Depth=1
	v_dual_mov_b32 v8, s8 :: v_dual_mov_b32 v9, s9
	s_mov_b32 s24, exec_lo
	v_cmpx_ne_u16_e32 0x80, v0
	s_cbranch_execz .LBB270_1378
; %bb.1373:                             ;   in Loop: Header=BB270_16 Depth=1
	s_mov_b32 s2, s8
	v_and_b32_e32 v1, 0xffff, v0
	v_dual_mov_b32 v9, s3 :: v_dual_mov_b32 v8, s2
	s_mov_b32 s2, exec_lo
	s_delay_alu instid0(VALU_DEP_2) | instskip(NEXT) | instid1(VALU_DEP_1)
	v_and_b32_e32 v0, 0x7f, v1
	v_cmpx_ne_u32_e32 0x7f, v0
	s_cbranch_execz .LBB270_1377
; %bb.1374:                             ;   in Loop: Header=BB270_16 Depth=1
	v_and_b32_e32 v14, 7, v1
	v_lshrrev_b32_e32 v3, 3, v0
	v_cmp_gt_u32_e64 s1, 8, v0
	s_delay_alu instid0(VALU_DEP_3) | instskip(NEXT) | instid1(VALU_DEP_2)
	v_dual_mov_b32 v0, v14 :: v_dual_mov_b32 v1, v15
	s_and_saveexec_b32 s25, s1
; %bb.1375:                             ;   in Loop: Header=BB270_16 Depth=1
	v_clz_i32_u32_e32 v0, v14
	s_delay_alu instid0(VALU_DEP_1) | instskip(NEXT) | instid1(VALU_DEP_1)
	v_min_u32_e32 v3, 32, v0
	v_subrev_nc_u32_e32 v0, 28, v3
	v_sub_nc_u32_e32 v3, 29, v3
	s_delay_alu instid0(VALU_DEP_2) | instskip(NEXT) | instid1(VALU_DEP_1)
	v_lshlrev_b64 v[0:1], v0, v[14:15]
	v_and_b32_e32 v0, 7, v0
; %bb.1376:                             ;   in Loop: Header=BB270_16 Depth=1
	s_or_b32 exec_lo, exec_lo, s25
	v_dual_mov_b32 v8, v15 :: v_dual_lshlrev_b32 v1, 16, v2
	s_delay_alu instid0(VALU_DEP_2) | instskip(SKIP_1) | instid1(VALU_DEP_3)
	v_lshlrev_b32_e32 v0, 20, v0
	v_lshl_add_u32 v3, v3, 23, 0x3c000000
	v_and_b32_e32 v1, 0x80000000, v1
	s_delay_alu instid0(VALU_DEP_1)
	v_or3_b32 v9, v0, v1, v3
.LBB270_1377:                           ;   in Loop: Header=BB270_16 Depth=1
	s_or_b32 exec_lo, exec_lo, s2
.LBB270_1378:                           ;   in Loop: Header=BB270_16 Depth=1
	s_delay_alu instid0(SALU_CYCLE_1)
	s_or_b32 exec_lo, exec_lo, s24
.LBB270_1379:                           ;   in Loop: Header=BB270_16 Depth=1
	s_delay_alu instid0(SALU_CYCLE_1) | instskip(SKIP_4) | instid1(VALU_DEP_3)
	s_or_b32 exec_lo, exec_lo, s23
	v_lshrrev_b32_e32 v3, 16, v2
	v_mov_b32_e32 v88, 0
	v_mov_b32_e32 v89, 0
	s_mov_b32 s2, exec_lo
	v_and_b32_e32 v0, 0xff, v3
	scratch_store_b64 off, v[88:89], s32 offset:1668 ; 8-byte Folded Spill
	v_cmpx_ne_u16_e32 0, v0
	s_cbranch_execz .LBB270_1387
; %bb.1380:                             ;   in Loop: Header=BB270_16 Depth=1
	v_cmp_ne_u16_e64 s1, 0x80, v0
	v_bfrev_b32_e32 v0, 1
	v_mov_b32_e32 v1, 0
	scratch_store_b64 off, v[0:1], s32 offset:1668 ; 8-byte Folded Spill
	s_and_saveexec_b32 s23, s1
	s_cbranch_execz .LBB270_1386
; %bb.1381:                             ;   in Loop: Header=BB270_16 Depth=1
	v_mov_b32_e32 v4, 0x7f800001
	v_bfe_u32 v0, v2, 16, 7
	v_mov_b32_e32 v5, 0
	s_mov_b32 s24, exec_lo
	scratch_store_b64 off, v[4:5], s32 offset:1668 ; 8-byte Folded Spill
	v_cmpx_ne_u32_e32 0x7f, v0
	s_cbranch_execz .LBB270_1385
; %bb.1382:                             ;   in Loop: Header=BB270_16 Depth=1
	v_and_b32_e32 v14, 7, v3
	v_lshrrev_b32_e32 v4, 3, v0
	v_cmp_gt_u32_e64 s1, 8, v0
	s_delay_alu instid0(VALU_DEP_3) | instskip(NEXT) | instid1(VALU_DEP_2)
	v_dual_mov_b32 v0, v14 :: v_dual_mov_b32 v1, v15
	s_and_saveexec_b32 s25, s1
; %bb.1383:                             ;   in Loop: Header=BB270_16 Depth=1
	v_clz_i32_u32_e32 v0, v14
	s_delay_alu instid0(VALU_DEP_1) | instskip(NEXT) | instid1(VALU_DEP_1)
	v_min_u32_e32 v4, 32, v0
	v_subrev_nc_u32_e32 v0, 28, v4
	v_sub_nc_u32_e32 v4, 29, v4
	s_delay_alu instid0(VALU_DEP_2) | instskip(NEXT) | instid1(VALU_DEP_1)
	v_lshlrev_b64 v[0:1], v0, v[14:15]
	v_and_b32_e32 v0, 7, v0
; %bb.1384:                             ;   in Loop: Header=BB270_16 Depth=1
	s_or_b32 exec_lo, exec_lo, s25
	v_lshlrev_b32_e32 v1, 24, v3
	s_delay_alu instid0(VALU_DEP_2) | instskip(SKIP_1) | instid1(VALU_DEP_3)
	v_lshlrev_b32_e32 v0, 20, v0
	v_lshl_add_u32 v3, v4, 23, 0x3c000000
	v_and_b32_e32 v1, 0x80000000, v1
	s_delay_alu instid0(VALU_DEP_1)
	v_or3_b32 v14, v0, v1, v3
	scratch_store_b64 off, v[14:15], s32 offset:1668 ; 8-byte Folded Spill
.LBB270_1385:                           ;   in Loop: Header=BB270_16 Depth=1
	s_or_b32 exec_lo, exec_lo, s24
.LBB270_1386:                           ;   in Loop: Header=BB270_16 Depth=1
	s_delay_alu instid0(SALU_CYCLE_1)
	s_or_b32 exec_lo, exec_lo, s23
.LBB270_1387:                           ;   in Loop: Header=BB270_16 Depth=1
	s_delay_alu instid0(SALU_CYCLE_1) | instskip(NEXT) | instid1(SALU_CYCLE_1)
	s_or_b32 exec_lo, exec_lo, s2
	s_mov_b32 s23, exec_lo
	v_cmpx_lt_u32_e32 0xffffff, v2
	s_cbranch_execz .LBB270_1395
; %bb.1388:                             ;   in Loop: Header=BB270_16 Depth=1
	v_lshrrev_b32_e32 v3, 24, v2
	v_dual_mov_b32 v89, s9 :: v_dual_mov_b32 v88, s8
	s_mov_b32 s24, exec_lo
	s_delay_alu instid0(VALU_DEP_2)
	v_cmpx_ne_u32_e32 0x80, v3
	s_cbranch_execz .LBB270_1394
; %bb.1389:                             ;   in Loop: Header=BB270_16 Depth=1
	s_mov_b32 s2, s8
	v_bfe_u32 v0, v2, 24, 7
	v_dual_mov_b32 v89, s3 :: v_dual_mov_b32 v88, s2
	s_mov_b32 s2, exec_lo
	s_delay_alu instid0(VALU_DEP_2)
	v_cmpx_ne_u32_e32 0x7f, v0
	s_cbranch_execz .LBB270_1393
; %bb.1390:                             ;   in Loop: Header=BB270_16 Depth=1
	v_and_b32_e32 v14, 7, v3
	v_lshrrev_b32_e32 v2, 3, v0
	v_cmp_gt_u32_e64 s1, 8, v0
	s_delay_alu instid0(VALU_DEP_3) | instskip(NEXT) | instid1(VALU_DEP_2)
	v_dual_mov_b32 v0, v14 :: v_dual_mov_b32 v1, v15
	s_and_saveexec_b32 s25, s1
; %bb.1391:                             ;   in Loop: Header=BB270_16 Depth=1
	v_clz_i32_u32_e32 v0, v14
	s_delay_alu instid0(VALU_DEP_1) | instskip(NEXT) | instid1(VALU_DEP_1)
	v_min_u32_e32 v2, 32, v0
	v_subrev_nc_u32_e32 v0, 28, v2
	v_sub_nc_u32_e32 v2, 29, v2
	s_delay_alu instid0(VALU_DEP_2) | instskip(NEXT) | instid1(VALU_DEP_1)
	v_lshlrev_b64 v[0:1], v0, v[14:15]
	v_and_b32_e32 v0, 7, v0
; %bb.1392:                             ;   in Loop: Header=BB270_16 Depth=1
	s_or_b32 exec_lo, exec_lo, s25
	v_dual_mov_b32 v88, v15 :: v_dual_lshlrev_b32 v1, 24, v3
	s_delay_alu instid0(VALU_DEP_2) | instskip(SKIP_1) | instid1(VALU_DEP_3)
	v_lshlrev_b32_e32 v0, 20, v0
	v_lshl_add_u32 v2, v2, 23, 0x3c000000
	v_and_b32_e32 v1, 0x80000000, v1
	s_delay_alu instid0(VALU_DEP_1)
	v_or3_b32 v89, v0, v1, v2
.LBB270_1393:                           ;   in Loop: Header=BB270_16 Depth=1
	s_or_b32 exec_lo, exec_lo, s2
.LBB270_1394:                           ;   in Loop: Header=BB270_16 Depth=1
	s_delay_alu instid0(SALU_CYCLE_1)
	s_or_b32 exec_lo, exec_lo, s24
.LBB270_1395:                           ;   in Loop: Header=BB270_16 Depth=1
	s_delay_alu instid0(SALU_CYCLE_1)
	s_or_b32 exec_lo, exec_lo, s23
	flat_load_b32 v2, v[24:25] offset:1036
	v_mov_b32_e32 v104, 0
	v_mov_b32_e32 v105, 0
	s_mov_b32 s2, exec_lo
	s_waitcnt vmcnt(0) lgkmcnt(0)
	v_and_b32_e32 v0, 0xff, v2
	scratch_store_b64 off, v[104:105], s32 offset:1676 ; 8-byte Folded Spill
	v_cmpx_ne_u16_e32 0, v0
	s_cbranch_execz .LBB270_1403
; %bb.1396:                             ;   in Loop: Header=BB270_16 Depth=1
	v_cmp_ne_u16_e64 s1, 0x80, v0
	v_bfrev_b32_e32 v0, 1
	v_mov_b32_e32 v1, 0
	scratch_store_b64 off, v[0:1], s32 offset:1676 ; 8-byte Folded Spill
	s_and_saveexec_b32 s23, s1
	s_cbranch_execz .LBB270_1402
; %bb.1397:                             ;   in Loop: Header=BB270_16 Depth=1
	v_mov_b32_e32 v3, 0x7f800001
	v_and_b32_e32 v0, 0x7f, v2
	v_mov_b32_e32 v4, 0
	s_mov_b32 s24, exec_lo
	scratch_store_b64 off, v[3:4], s32 offset:1676 ; 8-byte Folded Spill
	v_cmpx_ne_u32_e32 0x7f, v0
	s_cbranch_execz .LBB270_1401
; %bb.1398:                             ;   in Loop: Header=BB270_16 Depth=1
	v_and_b32_e32 v14, 7, v2
	v_lshrrev_b32_e32 v3, 3, v0
	v_cmp_gt_u32_e64 s1, 8, v0
	s_delay_alu instid0(VALU_DEP_3) | instskip(NEXT) | instid1(VALU_DEP_2)
	v_dual_mov_b32 v0, v14 :: v_dual_mov_b32 v1, v15
	s_and_saveexec_b32 s25, s1
; %bb.1399:                             ;   in Loop: Header=BB270_16 Depth=1
	v_clz_i32_u32_e32 v0, v14
	s_delay_alu instid0(VALU_DEP_1) | instskip(NEXT) | instid1(VALU_DEP_1)
	v_min_u32_e32 v3, 32, v0
	v_subrev_nc_u32_e32 v0, 28, v3
	v_sub_nc_u32_e32 v3, 29, v3
	s_delay_alu instid0(VALU_DEP_2) | instskip(NEXT) | instid1(VALU_DEP_1)
	v_lshlrev_b64 v[0:1], v0, v[14:15]
	v_and_b32_e32 v0, 7, v0
; %bb.1400:                             ;   in Loop: Header=BB270_16 Depth=1
	s_or_b32 exec_lo, exec_lo, s25
	v_lshlrev_b32_e32 v1, 24, v2
	s_delay_alu instid0(VALU_DEP_2) | instskip(SKIP_1) | instid1(VALU_DEP_3)
	v_lshlrev_b32_e32 v0, 20, v0
	v_lshl_add_u32 v3, v3, 23, 0x3c000000
	v_and_b32_e32 v1, 0x80000000, v1
	s_delay_alu instid0(VALU_DEP_1)
	v_or3_b32 v14, v0, v1, v3
	scratch_store_b64 off, v[14:15], s32 offset:1676 ; 8-byte Folded Spill
.LBB270_1401:                           ;   in Loop: Header=BB270_16 Depth=1
	s_or_b32 exec_lo, exec_lo, s24
.LBB270_1402:                           ;   in Loop: Header=BB270_16 Depth=1
	s_delay_alu instid0(SALU_CYCLE_1)
	s_or_b32 exec_lo, exec_lo, s23
.LBB270_1403:                           ;   in Loop: Header=BB270_16 Depth=1
	s_delay_alu instid0(SALU_CYCLE_1) | instskip(SKIP_2) | instid1(VALU_DEP_1)
	s_or_b32 exec_lo, exec_lo, s2
	v_lshrrev_b16 v0, 8, v2
	s_mov_b32 s23, exec_lo
	v_cmpx_ne_u16_e32 0, v0
	s_cbranch_execz .LBB270_1411
; %bb.1404:                             ;   in Loop: Header=BB270_16 Depth=1
	v_dual_mov_b32 v105, s9 :: v_dual_mov_b32 v104, s8
	s_mov_b32 s24, exec_lo
	v_cmpx_ne_u16_e32 0x80, v0
	s_cbranch_execz .LBB270_1410
; %bb.1405:                             ;   in Loop: Header=BB270_16 Depth=1
	s_mov_b32 s2, s8
	v_and_b32_e32 v1, 0xffff, v0
	v_dual_mov_b32 v105, s3 :: v_dual_mov_b32 v104, s2
	s_mov_b32 s2, exec_lo
	s_delay_alu instid0(VALU_DEP_2) | instskip(NEXT) | instid1(VALU_DEP_1)
	v_and_b32_e32 v0, 0x7f, v1
	v_cmpx_ne_u32_e32 0x7f, v0
	s_cbranch_execz .LBB270_1409
; %bb.1406:                             ;   in Loop: Header=BB270_16 Depth=1
	v_and_b32_e32 v14, 7, v1
	v_lshrrev_b32_e32 v3, 3, v0
	v_cmp_gt_u32_e64 s1, 8, v0
	s_delay_alu instid0(VALU_DEP_3) | instskip(NEXT) | instid1(VALU_DEP_2)
	v_dual_mov_b32 v0, v14 :: v_dual_mov_b32 v1, v15
	s_and_saveexec_b32 s25, s1
; %bb.1407:                             ;   in Loop: Header=BB270_16 Depth=1
	v_clz_i32_u32_e32 v0, v14
	s_delay_alu instid0(VALU_DEP_1) | instskip(NEXT) | instid1(VALU_DEP_1)
	v_min_u32_e32 v3, 32, v0
	v_subrev_nc_u32_e32 v0, 28, v3
	v_sub_nc_u32_e32 v3, 29, v3
	s_delay_alu instid0(VALU_DEP_2) | instskip(NEXT) | instid1(VALU_DEP_1)
	v_lshlrev_b64 v[0:1], v0, v[14:15]
	v_and_b32_e32 v0, 7, v0
; %bb.1408:                             ;   in Loop: Header=BB270_16 Depth=1
	s_or_b32 exec_lo, exec_lo, s25
	v_dual_mov_b32 v104, v15 :: v_dual_lshlrev_b32 v1, 16, v2
	s_delay_alu instid0(VALU_DEP_2) | instskip(SKIP_1) | instid1(VALU_DEP_3)
	v_lshlrev_b32_e32 v0, 20, v0
	v_lshl_add_u32 v3, v3, 23, 0x3c000000
	v_and_b32_e32 v1, 0x80000000, v1
	s_delay_alu instid0(VALU_DEP_1)
	v_or3_b32 v105, v0, v1, v3
.LBB270_1409:                           ;   in Loop: Header=BB270_16 Depth=1
	s_or_b32 exec_lo, exec_lo, s2
.LBB270_1410:                           ;   in Loop: Header=BB270_16 Depth=1
	s_delay_alu instid0(SALU_CYCLE_1)
	s_or_b32 exec_lo, exec_lo, s24
.LBB270_1411:                           ;   in Loop: Header=BB270_16 Depth=1
	s_delay_alu instid0(SALU_CYCLE_1) | instskip(SKIP_4) | instid1(VALU_DEP_3)
	s_or_b32 exec_lo, exec_lo, s23
	v_lshrrev_b32_e32 v3, 16, v2
	v_mov_b32_e32 v120, 0
	v_mov_b32_e32 v121, 0
	s_mov_b32 s2, exec_lo
	v_and_b32_e32 v0, 0xff, v3
	scratch_store_b64 off, v[120:121], s32 offset:1684 ; 8-byte Folded Spill
	v_cmpx_ne_u16_e32 0, v0
	s_cbranch_execz .LBB270_1419
; %bb.1412:                             ;   in Loop: Header=BB270_16 Depth=1
	v_cmp_ne_u16_e64 s1, 0x80, v0
	v_bfrev_b32_e32 v0, 1
	v_mov_b32_e32 v1, 0
	scratch_store_b64 off, v[0:1], s32 offset:1684 ; 8-byte Folded Spill
	s_and_saveexec_b32 s23, s1
	s_cbranch_execz .LBB270_1418
; %bb.1413:                             ;   in Loop: Header=BB270_16 Depth=1
	v_mov_b32_e32 v4, 0x7f800001
	v_bfe_u32 v0, v2, 16, 7
	v_mov_b32_e32 v5, 0
	s_mov_b32 s24, exec_lo
	scratch_store_b64 off, v[4:5], s32 offset:1684 ; 8-byte Folded Spill
	v_cmpx_ne_u32_e32 0x7f, v0
	s_cbranch_execz .LBB270_1417
; %bb.1414:                             ;   in Loop: Header=BB270_16 Depth=1
	v_and_b32_e32 v14, 7, v3
	v_lshrrev_b32_e32 v4, 3, v0
	v_cmp_gt_u32_e64 s1, 8, v0
	s_delay_alu instid0(VALU_DEP_3) | instskip(NEXT) | instid1(VALU_DEP_2)
	v_dual_mov_b32 v0, v14 :: v_dual_mov_b32 v1, v15
	s_and_saveexec_b32 s25, s1
; %bb.1415:                             ;   in Loop: Header=BB270_16 Depth=1
	v_clz_i32_u32_e32 v0, v14
	s_delay_alu instid0(VALU_DEP_1) | instskip(NEXT) | instid1(VALU_DEP_1)
	v_min_u32_e32 v4, 32, v0
	v_subrev_nc_u32_e32 v0, 28, v4
	v_sub_nc_u32_e32 v4, 29, v4
	s_delay_alu instid0(VALU_DEP_2) | instskip(NEXT) | instid1(VALU_DEP_1)
	v_lshlrev_b64 v[0:1], v0, v[14:15]
	v_and_b32_e32 v0, 7, v0
; %bb.1416:                             ;   in Loop: Header=BB270_16 Depth=1
	s_or_b32 exec_lo, exec_lo, s25
	v_lshlrev_b32_e32 v1, 24, v3
	s_delay_alu instid0(VALU_DEP_2) | instskip(SKIP_1) | instid1(VALU_DEP_3)
	v_lshlrev_b32_e32 v0, 20, v0
	v_lshl_add_u32 v3, v4, 23, 0x3c000000
	v_and_b32_e32 v1, 0x80000000, v1
	s_delay_alu instid0(VALU_DEP_1)
	v_or3_b32 v14, v0, v1, v3
	scratch_store_b64 off, v[14:15], s32 offset:1684 ; 8-byte Folded Spill
.LBB270_1417:                           ;   in Loop: Header=BB270_16 Depth=1
	s_or_b32 exec_lo, exec_lo, s24
.LBB270_1418:                           ;   in Loop: Header=BB270_16 Depth=1
	s_delay_alu instid0(SALU_CYCLE_1)
	s_or_b32 exec_lo, exec_lo, s23
.LBB270_1419:                           ;   in Loop: Header=BB270_16 Depth=1
	s_delay_alu instid0(SALU_CYCLE_1) | instskip(NEXT) | instid1(SALU_CYCLE_1)
	s_or_b32 exec_lo, exec_lo, s2
	s_mov_b32 s23, exec_lo
	v_cmpx_lt_u32_e32 0xffffff, v2
	s_cbranch_execz .LBB270_1427
; %bb.1420:                             ;   in Loop: Header=BB270_16 Depth=1
	v_lshrrev_b32_e32 v3, 24, v2
	v_dual_mov_b32 v121, s9 :: v_dual_mov_b32 v120, s8
	s_mov_b32 s24, exec_lo
	s_delay_alu instid0(VALU_DEP_2)
	v_cmpx_ne_u32_e32 0x80, v3
	s_cbranch_execz .LBB270_1426
; %bb.1421:                             ;   in Loop: Header=BB270_16 Depth=1
	s_mov_b32 s2, s8
	v_bfe_u32 v0, v2, 24, 7
	v_dual_mov_b32 v121, s3 :: v_dual_mov_b32 v120, s2
	s_mov_b32 s2, exec_lo
	s_delay_alu instid0(VALU_DEP_2)
	v_cmpx_ne_u32_e32 0x7f, v0
	s_cbranch_execz .LBB270_1425
; %bb.1422:                             ;   in Loop: Header=BB270_16 Depth=1
	v_and_b32_e32 v14, 7, v3
	v_lshrrev_b32_e32 v2, 3, v0
	v_cmp_gt_u32_e64 s1, 8, v0
	s_delay_alu instid0(VALU_DEP_3) | instskip(NEXT) | instid1(VALU_DEP_2)
	v_dual_mov_b32 v0, v14 :: v_dual_mov_b32 v1, v15
	s_and_saveexec_b32 s25, s1
; %bb.1423:                             ;   in Loop: Header=BB270_16 Depth=1
	v_clz_i32_u32_e32 v0, v14
	s_delay_alu instid0(VALU_DEP_1) | instskip(NEXT) | instid1(VALU_DEP_1)
	v_min_u32_e32 v2, 32, v0
	v_subrev_nc_u32_e32 v0, 28, v2
	v_sub_nc_u32_e32 v2, 29, v2
	s_delay_alu instid0(VALU_DEP_2) | instskip(NEXT) | instid1(VALU_DEP_1)
	v_lshlrev_b64 v[0:1], v0, v[14:15]
	v_and_b32_e32 v0, 7, v0
; %bb.1424:                             ;   in Loop: Header=BB270_16 Depth=1
	s_or_b32 exec_lo, exec_lo, s25
	v_dual_mov_b32 v120, v15 :: v_dual_lshlrev_b32 v1, 24, v3
	s_delay_alu instid0(VALU_DEP_2) | instskip(SKIP_1) | instid1(VALU_DEP_3)
	v_lshlrev_b32_e32 v0, 20, v0
	v_lshl_add_u32 v2, v2, 23, 0x3c000000
	v_and_b32_e32 v1, 0x80000000, v1
	s_delay_alu instid0(VALU_DEP_1)
	v_or3_b32 v121, v0, v1, v2
.LBB270_1425:                           ;   in Loop: Header=BB270_16 Depth=1
	s_or_b32 exec_lo, exec_lo, s2
.LBB270_1426:                           ;   in Loop: Header=BB270_16 Depth=1
	s_delay_alu instid0(SALU_CYCLE_1)
	s_or_b32 exec_lo, exec_lo, s24
.LBB270_1427:                           ;   in Loop: Header=BB270_16 Depth=1
	s_delay_alu instid0(SALU_CYCLE_1)
	s_or_b32 exec_lo, exec_lo, s23
	flat_load_b32 v2, v[24:25] offset:1536
	v_mov_b32_e32 v18, 0
	v_mov_b32_e32 v19, 0
	s_mov_b32 s2, exec_lo
	s_waitcnt vmcnt(0) lgkmcnt(0)
	v_and_b32_e32 v0, 0xff, v2
	scratch_store_b64 off, v[18:19], s32 offset:1692 ; 8-byte Folded Spill
	v_cmpx_ne_u16_e32 0, v0
	s_cbranch_execz .LBB270_1435
; %bb.1428:                             ;   in Loop: Header=BB270_16 Depth=1
	v_cmp_ne_u16_e64 s1, 0x80, v0
	v_bfrev_b32_e32 v0, 1
	v_mov_b32_e32 v1, 0
	scratch_store_b64 off, v[0:1], s32 offset:1692 ; 8-byte Folded Spill
	s_and_saveexec_b32 s23, s1
	s_cbranch_execz .LBB270_1434
; %bb.1429:                             ;   in Loop: Header=BB270_16 Depth=1
	v_mov_b32_e32 v3, 0x7f800001
	v_and_b32_e32 v0, 0x7f, v2
	v_mov_b32_e32 v4, 0
	s_mov_b32 s24, exec_lo
	scratch_store_b64 off, v[3:4], s32 offset:1692 ; 8-byte Folded Spill
	v_cmpx_ne_u32_e32 0x7f, v0
	s_cbranch_execz .LBB270_1433
; %bb.1430:                             ;   in Loop: Header=BB270_16 Depth=1
	v_and_b32_e32 v14, 7, v2
	v_lshrrev_b32_e32 v3, 3, v0
	v_cmp_gt_u32_e64 s1, 8, v0
	s_delay_alu instid0(VALU_DEP_3) | instskip(NEXT) | instid1(VALU_DEP_2)
	v_dual_mov_b32 v0, v14 :: v_dual_mov_b32 v1, v15
	s_and_saveexec_b32 s25, s1
; %bb.1431:                             ;   in Loop: Header=BB270_16 Depth=1
	v_clz_i32_u32_e32 v0, v14
	s_delay_alu instid0(VALU_DEP_1) | instskip(NEXT) | instid1(VALU_DEP_1)
	v_min_u32_e32 v3, 32, v0
	v_subrev_nc_u32_e32 v0, 28, v3
	v_sub_nc_u32_e32 v3, 29, v3
	s_delay_alu instid0(VALU_DEP_2) | instskip(NEXT) | instid1(VALU_DEP_1)
	v_lshlrev_b64 v[0:1], v0, v[14:15]
	v_and_b32_e32 v0, 7, v0
; %bb.1432:                             ;   in Loop: Header=BB270_16 Depth=1
	s_or_b32 exec_lo, exec_lo, s25
	v_lshlrev_b32_e32 v1, 24, v2
	s_delay_alu instid0(VALU_DEP_2) | instskip(SKIP_1) | instid1(VALU_DEP_3)
	v_lshlrev_b32_e32 v0, 20, v0
	v_lshl_add_u32 v3, v3, 23, 0x3c000000
	v_and_b32_e32 v1, 0x80000000, v1
	s_delay_alu instid0(VALU_DEP_1)
	v_or3_b32 v14, v0, v1, v3
	scratch_store_b64 off, v[14:15], s32 offset:1692 ; 8-byte Folded Spill
.LBB270_1433:                           ;   in Loop: Header=BB270_16 Depth=1
	s_or_b32 exec_lo, exec_lo, s24
.LBB270_1434:                           ;   in Loop: Header=BB270_16 Depth=1
	s_delay_alu instid0(SALU_CYCLE_1)
	s_or_b32 exec_lo, exec_lo, s23
.LBB270_1435:                           ;   in Loop: Header=BB270_16 Depth=1
	s_delay_alu instid0(SALU_CYCLE_1) | instskip(SKIP_2) | instid1(VALU_DEP_1)
	s_or_b32 exec_lo, exec_lo, s2
	v_lshrrev_b16 v0, 8, v2
	s_mov_b32 s23, exec_lo
	v_cmpx_ne_u16_e32 0, v0
	s_cbranch_execz .LBB270_1443
; %bb.1436:                             ;   in Loop: Header=BB270_16 Depth=1
	v_dual_mov_b32 v19, s9 :: v_dual_mov_b32 v18, s8
	s_mov_b32 s24, exec_lo
	v_cmpx_ne_u16_e32 0x80, v0
	s_cbranch_execz .LBB270_1442
; %bb.1437:                             ;   in Loop: Header=BB270_16 Depth=1
	s_mov_b32 s2, s8
	v_and_b32_e32 v1, 0xffff, v0
	v_dual_mov_b32 v19, s3 :: v_dual_mov_b32 v18, s2
	s_mov_b32 s2, exec_lo
	s_delay_alu instid0(VALU_DEP_2) | instskip(NEXT) | instid1(VALU_DEP_1)
	v_and_b32_e32 v0, 0x7f, v1
	v_cmpx_ne_u32_e32 0x7f, v0
	s_cbranch_execz .LBB270_1441
; %bb.1438:                             ;   in Loop: Header=BB270_16 Depth=1
	v_and_b32_e32 v14, 7, v1
	v_lshrrev_b32_e32 v3, 3, v0
	v_cmp_gt_u32_e64 s1, 8, v0
	s_delay_alu instid0(VALU_DEP_3) | instskip(NEXT) | instid1(VALU_DEP_2)
	v_dual_mov_b32 v0, v14 :: v_dual_mov_b32 v1, v15
	s_and_saveexec_b32 s25, s1
; %bb.1439:                             ;   in Loop: Header=BB270_16 Depth=1
	v_clz_i32_u32_e32 v0, v14
	s_delay_alu instid0(VALU_DEP_1) | instskip(NEXT) | instid1(VALU_DEP_1)
	v_min_u32_e32 v3, 32, v0
	v_subrev_nc_u32_e32 v0, 28, v3
	v_sub_nc_u32_e32 v3, 29, v3
	s_delay_alu instid0(VALU_DEP_2) | instskip(NEXT) | instid1(VALU_DEP_1)
	v_lshlrev_b64 v[0:1], v0, v[14:15]
	v_and_b32_e32 v0, 7, v0
; %bb.1440:                             ;   in Loop: Header=BB270_16 Depth=1
	s_or_b32 exec_lo, exec_lo, s25
	v_dual_mov_b32 v18, v15 :: v_dual_lshlrev_b32 v1, 16, v2
	s_delay_alu instid0(VALU_DEP_2) | instskip(SKIP_1) | instid1(VALU_DEP_3)
	v_lshlrev_b32_e32 v0, 20, v0
	v_lshl_add_u32 v3, v3, 23, 0x3c000000
	v_and_b32_e32 v1, 0x80000000, v1
	s_delay_alu instid0(VALU_DEP_1)
	v_or3_b32 v19, v0, v1, v3
.LBB270_1441:                           ;   in Loop: Header=BB270_16 Depth=1
	s_or_b32 exec_lo, exec_lo, s2
.LBB270_1442:                           ;   in Loop: Header=BB270_16 Depth=1
	s_delay_alu instid0(SALU_CYCLE_1)
	s_or_b32 exec_lo, exec_lo, s24
.LBB270_1443:                           ;   in Loop: Header=BB270_16 Depth=1
	s_delay_alu instid0(SALU_CYCLE_1) | instskip(SKIP_4) | instid1(VALU_DEP_1)
	s_or_b32 exec_lo, exec_lo, s23
	v_mov_b32_e32 v32, 0
	v_lshrrev_b32_e32 v3, 16, v2
	v_mov_b32_e32 v33, 0
	s_mov_b32 s2, exec_lo
	v_dual_mov_b32 v153, v33 :: v_dual_and_b32 v0, 0xff, v3
	v_mov_b32_e32 v152, v32
	s_delay_alu instid0(VALU_DEP_2)
	v_cmpx_ne_u16_e32 0, v0
	s_cbranch_execz .LBB270_1451
; %bb.1444:                             ;   in Loop: Header=BB270_16 Depth=1
	v_bfrev_b32_e32 v152, 1
	v_mov_b32_e32 v153, 0
	s_mov_b32 s23, exec_lo
	v_cmpx_ne_u16_e32 0x80, v0
	s_cbranch_execz .LBB270_1450
; %bb.1445:                             ;   in Loop: Header=BB270_16 Depth=1
	v_mov_b32_e32 v152, 0x7f800001
	v_bfe_u32 v0, v2, 16, 7
	v_mov_b32_e32 v153, 0
	s_mov_b32 s24, exec_lo
	s_delay_alu instid0(VALU_DEP_2)
	v_cmpx_ne_u32_e32 0x7f, v0
	s_cbranch_execz .LBB270_1449
; %bb.1446:                             ;   in Loop: Header=BB270_16 Depth=1
	v_and_b32_e32 v14, 7, v3
	v_lshrrev_b32_e32 v4, 3, v0
	v_cmp_gt_u32_e64 s1, 8, v0
	s_delay_alu instid0(VALU_DEP_3) | instskip(NEXT) | instid1(VALU_DEP_2)
	v_dual_mov_b32 v0, v14 :: v_dual_mov_b32 v1, v15
	s_and_saveexec_b32 s25, s1
; %bb.1447:                             ;   in Loop: Header=BB270_16 Depth=1
	v_clz_i32_u32_e32 v0, v14
	s_delay_alu instid0(VALU_DEP_1) | instskip(NEXT) | instid1(VALU_DEP_1)
	v_min_u32_e32 v4, 32, v0
	v_subrev_nc_u32_e32 v0, 28, v4
	v_sub_nc_u32_e32 v4, 29, v4
	s_delay_alu instid0(VALU_DEP_2) | instskip(NEXT) | instid1(VALU_DEP_1)
	v_lshlrev_b64 v[0:1], v0, v[14:15]
	v_and_b32_e32 v0, 7, v0
; %bb.1448:                             ;   in Loop: Header=BB270_16 Depth=1
	s_or_b32 exec_lo, exec_lo, s25
	v_lshlrev_b32_e32 v1, 24, v3
	s_delay_alu instid0(VALU_DEP_2) | instskip(SKIP_1) | instid1(VALU_DEP_3)
	v_lshlrev_b32_e32 v0, 20, v0
	v_lshl_add_u32 v3, v4, 23, 0x3c000000
	v_and_b32_e32 v1, 0x80000000, v1
	s_delay_alu instid0(VALU_DEP_1) | instskip(NEXT) | instid1(VALU_DEP_1)
	v_or3_b32 v14, v0, v1, v3
	v_dual_mov_b32 v153, v15 :: v_dual_mov_b32 v152, v14
.LBB270_1449:                           ;   in Loop: Header=BB270_16 Depth=1
	s_or_b32 exec_lo, exec_lo, s24
.LBB270_1450:                           ;   in Loop: Header=BB270_16 Depth=1
	s_delay_alu instid0(SALU_CYCLE_1)
	s_or_b32 exec_lo, exec_lo, s23
.LBB270_1451:                           ;   in Loop: Header=BB270_16 Depth=1
	s_delay_alu instid0(SALU_CYCLE_1) | instskip(NEXT) | instid1(SALU_CYCLE_1)
	s_or_b32 exec_lo, exec_lo, s2
	s_mov_b32 s23, exec_lo
	v_cmpx_lt_u32_e32 0xffffff, v2
	s_cbranch_execz .LBB270_1459
; %bb.1452:                             ;   in Loop: Header=BB270_16 Depth=1
	v_lshrrev_b32_e32 v3, 24, v2
	v_dual_mov_b32 v33, s9 :: v_dual_mov_b32 v32, s8
	s_mov_b32 s24, exec_lo
	s_delay_alu instid0(VALU_DEP_2)
	v_cmpx_ne_u32_e32 0x80, v3
	s_cbranch_execz .LBB270_1458
; %bb.1453:                             ;   in Loop: Header=BB270_16 Depth=1
	s_mov_b32 s2, s8
	v_bfe_u32 v0, v2, 24, 7
	v_dual_mov_b32 v33, s3 :: v_dual_mov_b32 v32, s2
	s_mov_b32 s2, exec_lo
	s_delay_alu instid0(VALU_DEP_2)
	v_cmpx_ne_u32_e32 0x7f, v0
	s_cbranch_execz .LBB270_1457
; %bb.1454:                             ;   in Loop: Header=BB270_16 Depth=1
	v_and_b32_e32 v14, 7, v3
	v_lshrrev_b32_e32 v2, 3, v0
	v_cmp_gt_u32_e64 s1, 8, v0
	s_delay_alu instid0(VALU_DEP_3) | instskip(NEXT) | instid1(VALU_DEP_2)
	v_dual_mov_b32 v0, v14 :: v_dual_mov_b32 v1, v15
	s_and_saveexec_b32 s25, s1
; %bb.1455:                             ;   in Loop: Header=BB270_16 Depth=1
	v_clz_i32_u32_e32 v0, v14
	s_delay_alu instid0(VALU_DEP_1) | instskip(NEXT) | instid1(VALU_DEP_1)
	v_min_u32_e32 v2, 32, v0
	v_subrev_nc_u32_e32 v0, 28, v2
	v_sub_nc_u32_e32 v2, 29, v2
	s_delay_alu instid0(VALU_DEP_2) | instskip(NEXT) | instid1(VALU_DEP_1)
	v_lshlrev_b64 v[0:1], v0, v[14:15]
	v_and_b32_e32 v0, 7, v0
; %bb.1456:                             ;   in Loop: Header=BB270_16 Depth=1
	s_or_b32 exec_lo, exec_lo, s25
	v_dual_mov_b32 v32, v15 :: v_dual_lshlrev_b32 v1, 24, v3
	s_delay_alu instid0(VALU_DEP_2) | instskip(SKIP_1) | instid1(VALU_DEP_3)
	v_lshlrev_b32_e32 v0, 20, v0
	v_lshl_add_u32 v2, v2, 23, 0x3c000000
	v_and_b32_e32 v1, 0x80000000, v1
	s_delay_alu instid0(VALU_DEP_1)
	v_or3_b32 v33, v0, v1, v2
.LBB270_1457:                           ;   in Loop: Header=BB270_16 Depth=1
	s_or_b32 exec_lo, exec_lo, s2
.LBB270_1458:                           ;   in Loop: Header=BB270_16 Depth=1
	s_delay_alu instid0(SALU_CYCLE_1)
	s_or_b32 exec_lo, exec_lo, s24
.LBB270_1459:                           ;   in Loop: Header=BB270_16 Depth=1
	s_delay_alu instid0(SALU_CYCLE_1)
	s_or_b32 exec_lo, exec_lo, s23
	flat_load_b32 v2, v[24:25] offset:1540
	v_mov_b32_e32 v4, 0
	v_mov_b32_e32 v5, 0
	s_mov_b32 s2, exec_lo
	s_waitcnt vmcnt(0) lgkmcnt(0)
	s_delay_alu instid0(VALU_DEP_1) | instskip(SKIP_1) | instid1(VALU_DEP_2)
	v_dual_mov_b32 v67, v5 :: v_dual_and_b32 v0, 0xff, v2
	v_mov_b32_e32 v66, v4
	v_cmpx_ne_u16_e32 0, v0
	s_cbranch_execz .LBB270_1467
; %bb.1460:                             ;   in Loop: Header=BB270_16 Depth=1
	v_bfrev_b32_e32 v66, 1
	v_mov_b32_e32 v67, 0
	s_mov_b32 s23, exec_lo
	v_cmpx_ne_u16_e32 0x80, v0
	s_cbranch_execz .LBB270_1466
; %bb.1461:                             ;   in Loop: Header=BB270_16 Depth=1
	v_mov_b32_e32 v66, 0x7f800001
	v_dual_mov_b32 v67, 0 :: v_dual_and_b32 v0, 0x7f, v2
	s_mov_b32 s24, exec_lo
	s_delay_alu instid0(VALU_DEP_1)
	v_cmpx_ne_u32_e32 0x7f, v0
	s_cbranch_execz .LBB270_1465
; %bb.1462:                             ;   in Loop: Header=BB270_16 Depth=1
	v_and_b32_e32 v14, 7, v2
	v_lshrrev_b32_e32 v3, 3, v0
	v_cmp_gt_u32_e64 s1, 8, v0
	s_delay_alu instid0(VALU_DEP_3) | instskip(NEXT) | instid1(VALU_DEP_2)
	v_dual_mov_b32 v0, v14 :: v_dual_mov_b32 v1, v15
	s_and_saveexec_b32 s25, s1
; %bb.1463:                             ;   in Loop: Header=BB270_16 Depth=1
	v_clz_i32_u32_e32 v0, v14
	s_delay_alu instid0(VALU_DEP_1) | instskip(NEXT) | instid1(VALU_DEP_1)
	v_min_u32_e32 v3, 32, v0
	v_subrev_nc_u32_e32 v0, 28, v3
	v_sub_nc_u32_e32 v3, 29, v3
	s_delay_alu instid0(VALU_DEP_2) | instskip(NEXT) | instid1(VALU_DEP_1)
	v_lshlrev_b64 v[0:1], v0, v[14:15]
	v_and_b32_e32 v0, 7, v0
; %bb.1464:                             ;   in Loop: Header=BB270_16 Depth=1
	s_or_b32 exec_lo, exec_lo, s25
	v_lshlrev_b32_e32 v1, 24, v2
	s_delay_alu instid0(VALU_DEP_2) | instskip(SKIP_1) | instid1(VALU_DEP_3)
	v_lshlrev_b32_e32 v0, 20, v0
	v_lshl_add_u32 v3, v3, 23, 0x3c000000
	v_and_b32_e32 v1, 0x80000000, v1
	s_delay_alu instid0(VALU_DEP_1) | instskip(NEXT) | instid1(VALU_DEP_1)
	v_or3_b32 v14, v0, v1, v3
	v_dual_mov_b32 v67, v15 :: v_dual_mov_b32 v66, v14
.LBB270_1465:                           ;   in Loop: Header=BB270_16 Depth=1
	s_or_b32 exec_lo, exec_lo, s24
.LBB270_1466:                           ;   in Loop: Header=BB270_16 Depth=1
	s_delay_alu instid0(SALU_CYCLE_1)
	s_or_b32 exec_lo, exec_lo, s23
.LBB270_1467:                           ;   in Loop: Header=BB270_16 Depth=1
	s_delay_alu instid0(SALU_CYCLE_1) | instskip(SKIP_2) | instid1(VALU_DEP_1)
	s_or_b32 exec_lo, exec_lo, s2
	v_lshrrev_b16 v0, 8, v2
	s_mov_b32 s23, exec_lo
	v_cmpx_ne_u16_e32 0, v0
	s_cbranch_execz .LBB270_1475
; %bb.1468:                             ;   in Loop: Header=BB270_16 Depth=1
	v_dual_mov_b32 v4, s8 :: v_dual_mov_b32 v5, s9
	s_mov_b32 s24, exec_lo
	v_cmpx_ne_u16_e32 0x80, v0
	s_cbranch_execz .LBB270_1474
; %bb.1469:                             ;   in Loop: Header=BB270_16 Depth=1
	s_mov_b32 s2, s8
	v_and_b32_e32 v1, 0xffff, v0
	v_dual_mov_b32 v5, s3 :: v_dual_mov_b32 v4, s2
	s_mov_b32 s2, exec_lo
	s_delay_alu instid0(VALU_DEP_2) | instskip(NEXT) | instid1(VALU_DEP_1)
	v_and_b32_e32 v0, 0x7f, v1
	v_cmpx_ne_u32_e32 0x7f, v0
	s_cbranch_execz .LBB270_1473
; %bb.1470:                             ;   in Loop: Header=BB270_16 Depth=1
	v_and_b32_e32 v14, 7, v1
	v_lshrrev_b32_e32 v3, 3, v0
	v_cmp_gt_u32_e64 s1, 8, v0
	s_delay_alu instid0(VALU_DEP_3) | instskip(NEXT) | instid1(VALU_DEP_2)
	v_dual_mov_b32 v0, v14 :: v_dual_mov_b32 v1, v15
	s_and_saveexec_b32 s25, s1
; %bb.1471:                             ;   in Loop: Header=BB270_16 Depth=1
	v_clz_i32_u32_e32 v0, v14
	s_delay_alu instid0(VALU_DEP_1) | instskip(NEXT) | instid1(VALU_DEP_1)
	v_min_u32_e32 v3, 32, v0
	v_subrev_nc_u32_e32 v0, 28, v3
	v_sub_nc_u32_e32 v3, 29, v3
	s_delay_alu instid0(VALU_DEP_2) | instskip(NEXT) | instid1(VALU_DEP_1)
	v_lshlrev_b64 v[0:1], v0, v[14:15]
	v_and_b32_e32 v0, 7, v0
; %bb.1472:                             ;   in Loop: Header=BB270_16 Depth=1
	s_or_b32 exec_lo, exec_lo, s25
	v_dual_mov_b32 v4, v15 :: v_dual_lshlrev_b32 v1, 16, v2
	s_delay_alu instid0(VALU_DEP_2) | instskip(SKIP_1) | instid1(VALU_DEP_3)
	v_lshlrev_b32_e32 v0, 20, v0
	v_lshl_add_u32 v3, v3, 23, 0x3c000000
	v_and_b32_e32 v1, 0x80000000, v1
	s_delay_alu instid0(VALU_DEP_1)
	v_or3_b32 v5, v0, v1, v3
.LBB270_1473:                           ;   in Loop: Header=BB270_16 Depth=1
	s_or_b32 exec_lo, exec_lo, s2
.LBB270_1474:                           ;   in Loop: Header=BB270_16 Depth=1
	s_delay_alu instid0(SALU_CYCLE_1)
	s_or_b32 exec_lo, exec_lo, s24
.LBB270_1475:                           ;   in Loop: Header=BB270_16 Depth=1
	s_delay_alu instid0(SALU_CYCLE_1) | instskip(SKIP_4) | instid1(VALU_DEP_1)
	s_or_b32 exec_lo, exec_lo, s23
	v_mov_b32_e32 v168, 0
	v_lshrrev_b32_e32 v3, 16, v2
	v_mov_b32_e32 v169, 0
	s_mov_b32 s2, exec_lo
	v_dual_mov_b32 v181, v169 :: v_dual_and_b32 v0, 0xff, v3
	v_mov_b32_e32 v180, v168
	s_delay_alu instid0(VALU_DEP_2)
	v_cmpx_ne_u16_e32 0, v0
	s_cbranch_execz .LBB270_1483
; %bb.1476:                             ;   in Loop: Header=BB270_16 Depth=1
	v_bfrev_b32_e32 v180, 1
	v_mov_b32_e32 v181, 0
	s_mov_b32 s23, exec_lo
	v_cmpx_ne_u16_e32 0x80, v0
	s_cbranch_execz .LBB270_1482
; %bb.1477:                             ;   in Loop: Header=BB270_16 Depth=1
	v_mov_b32_e32 v180, 0x7f800001
	v_bfe_u32 v0, v2, 16, 7
	v_mov_b32_e32 v181, 0
	s_mov_b32 s24, exec_lo
	s_delay_alu instid0(VALU_DEP_2)
	v_cmpx_ne_u32_e32 0x7f, v0
	s_cbranch_execz .LBB270_1481
; %bb.1478:                             ;   in Loop: Header=BB270_16 Depth=1
	v_and_b32_e32 v14, 7, v3
	v_lshrrev_b32_e32 v6, 3, v0
	v_cmp_gt_u32_e64 s1, 8, v0
	s_delay_alu instid0(VALU_DEP_3) | instskip(NEXT) | instid1(VALU_DEP_2)
	v_dual_mov_b32 v0, v14 :: v_dual_mov_b32 v1, v15
	s_and_saveexec_b32 s25, s1
; %bb.1479:                             ;   in Loop: Header=BB270_16 Depth=1
	v_clz_i32_u32_e32 v0, v14
	s_delay_alu instid0(VALU_DEP_1) | instskip(NEXT) | instid1(VALU_DEP_1)
	v_min_u32_e32 v6, 32, v0
	v_subrev_nc_u32_e32 v0, 28, v6
	v_sub_nc_u32_e32 v6, 29, v6
	s_delay_alu instid0(VALU_DEP_2) | instskip(NEXT) | instid1(VALU_DEP_1)
	v_lshlrev_b64 v[0:1], v0, v[14:15]
	v_and_b32_e32 v0, 7, v0
; %bb.1480:                             ;   in Loop: Header=BB270_16 Depth=1
	s_or_b32 exec_lo, exec_lo, s25
	v_lshlrev_b32_e32 v1, 24, v3
	s_delay_alu instid0(VALU_DEP_2) | instskip(SKIP_1) | instid1(VALU_DEP_3)
	v_lshlrev_b32_e32 v0, 20, v0
	v_lshl_add_u32 v3, v6, 23, 0x3c000000
	v_and_b32_e32 v1, 0x80000000, v1
	s_delay_alu instid0(VALU_DEP_1) | instskip(NEXT) | instid1(VALU_DEP_1)
	v_or3_b32 v14, v0, v1, v3
	v_dual_mov_b32 v181, v15 :: v_dual_mov_b32 v180, v14
.LBB270_1481:                           ;   in Loop: Header=BB270_16 Depth=1
	s_or_b32 exec_lo, exec_lo, s24
.LBB270_1482:                           ;   in Loop: Header=BB270_16 Depth=1
	s_delay_alu instid0(SALU_CYCLE_1)
	s_or_b32 exec_lo, exec_lo, s23
.LBB270_1483:                           ;   in Loop: Header=BB270_16 Depth=1
	s_delay_alu instid0(SALU_CYCLE_1) | instskip(NEXT) | instid1(SALU_CYCLE_1)
	s_or_b32 exec_lo, exec_lo, s2
	s_mov_b32 s23, exec_lo
	v_cmpx_lt_u32_e32 0xffffff, v2
	s_cbranch_execz .LBB270_1491
; %bb.1484:                             ;   in Loop: Header=BB270_16 Depth=1
	v_lshrrev_b32_e32 v3, 24, v2
	v_dual_mov_b32 v169, s9 :: v_dual_mov_b32 v168, s8
	s_mov_b32 s24, exec_lo
	s_delay_alu instid0(VALU_DEP_2)
	v_cmpx_ne_u32_e32 0x80, v3
	s_cbranch_execz .LBB270_1490
; %bb.1485:                             ;   in Loop: Header=BB270_16 Depth=1
	s_mov_b32 s2, s8
	v_bfe_u32 v0, v2, 24, 7
	v_dual_mov_b32 v169, s3 :: v_dual_mov_b32 v168, s2
	s_mov_b32 s2, exec_lo
	s_delay_alu instid0(VALU_DEP_2)
	v_cmpx_ne_u32_e32 0x7f, v0
	s_cbranch_execz .LBB270_1489
; %bb.1486:                             ;   in Loop: Header=BB270_16 Depth=1
	v_and_b32_e32 v14, 7, v3
	v_lshrrev_b32_e32 v2, 3, v0
	v_cmp_gt_u32_e64 s1, 8, v0
	s_delay_alu instid0(VALU_DEP_3) | instskip(NEXT) | instid1(VALU_DEP_2)
	v_dual_mov_b32 v0, v14 :: v_dual_mov_b32 v1, v15
	s_and_saveexec_b32 s25, s1
; %bb.1487:                             ;   in Loop: Header=BB270_16 Depth=1
	v_clz_i32_u32_e32 v0, v14
	s_delay_alu instid0(VALU_DEP_1) | instskip(NEXT) | instid1(VALU_DEP_1)
	v_min_u32_e32 v2, 32, v0
	v_subrev_nc_u32_e32 v0, 28, v2
	v_sub_nc_u32_e32 v2, 29, v2
	s_delay_alu instid0(VALU_DEP_2) | instskip(NEXT) | instid1(VALU_DEP_1)
	v_lshlrev_b64 v[0:1], v0, v[14:15]
	v_and_b32_e32 v0, 7, v0
; %bb.1488:                             ;   in Loop: Header=BB270_16 Depth=1
	s_or_b32 exec_lo, exec_lo, s25
	v_dual_mov_b32 v168, v15 :: v_dual_lshlrev_b32 v1, 24, v3
	s_delay_alu instid0(VALU_DEP_2) | instskip(SKIP_1) | instid1(VALU_DEP_3)
	v_lshlrev_b32_e32 v0, 20, v0
	v_lshl_add_u32 v2, v2, 23, 0x3c000000
	v_and_b32_e32 v1, 0x80000000, v1
	s_delay_alu instid0(VALU_DEP_1)
	v_or3_b32 v169, v0, v1, v2
.LBB270_1489:                           ;   in Loop: Header=BB270_16 Depth=1
	s_or_b32 exec_lo, exec_lo, s2
.LBB270_1490:                           ;   in Loop: Header=BB270_16 Depth=1
	s_delay_alu instid0(SALU_CYCLE_1)
	s_or_b32 exec_lo, exec_lo, s24
.LBB270_1491:                           ;   in Loop: Header=BB270_16 Depth=1
	s_delay_alu instid0(SALU_CYCLE_1)
	s_or_b32 exec_lo, exec_lo, s23
	flat_load_b32 v2, v[24:25] offset:1544
	v_mov_b32_e32 v30, 0
	v_mov_b32_e32 v31, 0
	s_mov_b32 s2, exec_lo
	s_waitcnt vmcnt(0) lgkmcnt(0)
	s_delay_alu instid0(VALU_DEP_1) | instskip(SKIP_1) | instid1(VALU_DEP_2)
	v_dual_mov_b32 v185, v31 :: v_dual_and_b32 v0, 0xff, v2
	v_mov_b32_e32 v184, v30
	v_cmpx_ne_u16_e32 0, v0
	s_cbranch_execz .LBB270_1499
; %bb.1492:                             ;   in Loop: Header=BB270_16 Depth=1
	v_bfrev_b32_e32 v184, 1
	v_mov_b32_e32 v185, 0
	s_mov_b32 s23, exec_lo
	v_cmpx_ne_u16_e32 0x80, v0
	s_cbranch_execz .LBB270_1498
; %bb.1493:                             ;   in Loop: Header=BB270_16 Depth=1
	v_mov_b32_e32 v184, 0x7f800001
	v_dual_mov_b32 v185, 0 :: v_dual_and_b32 v0, 0x7f, v2
	s_mov_b32 s24, exec_lo
	s_delay_alu instid0(VALU_DEP_1)
	v_cmpx_ne_u32_e32 0x7f, v0
	s_cbranch_execz .LBB270_1497
; %bb.1494:                             ;   in Loop: Header=BB270_16 Depth=1
	v_and_b32_e32 v14, 7, v2
	v_lshrrev_b32_e32 v3, 3, v0
	v_cmp_gt_u32_e64 s1, 8, v0
	s_delay_alu instid0(VALU_DEP_3) | instskip(NEXT) | instid1(VALU_DEP_2)
	v_dual_mov_b32 v0, v14 :: v_dual_mov_b32 v1, v15
	s_and_saveexec_b32 s25, s1
; %bb.1495:                             ;   in Loop: Header=BB270_16 Depth=1
	v_clz_i32_u32_e32 v0, v14
	s_delay_alu instid0(VALU_DEP_1) | instskip(NEXT) | instid1(VALU_DEP_1)
	v_min_u32_e32 v3, 32, v0
	v_subrev_nc_u32_e32 v0, 28, v3
	v_sub_nc_u32_e32 v3, 29, v3
	s_delay_alu instid0(VALU_DEP_2) | instskip(NEXT) | instid1(VALU_DEP_1)
	v_lshlrev_b64 v[0:1], v0, v[14:15]
	v_and_b32_e32 v0, 7, v0
; %bb.1496:                             ;   in Loop: Header=BB270_16 Depth=1
	s_or_b32 exec_lo, exec_lo, s25
	v_lshlrev_b32_e32 v1, 24, v2
	s_delay_alu instid0(VALU_DEP_2) | instskip(SKIP_1) | instid1(VALU_DEP_3)
	v_lshlrev_b32_e32 v0, 20, v0
	v_lshl_add_u32 v3, v3, 23, 0x3c000000
	v_and_b32_e32 v1, 0x80000000, v1
	s_delay_alu instid0(VALU_DEP_1) | instskip(NEXT) | instid1(VALU_DEP_1)
	v_or3_b32 v14, v0, v1, v3
	v_dual_mov_b32 v185, v15 :: v_dual_mov_b32 v184, v14
.LBB270_1497:                           ;   in Loop: Header=BB270_16 Depth=1
	s_or_b32 exec_lo, exec_lo, s24
.LBB270_1498:                           ;   in Loop: Header=BB270_16 Depth=1
	s_delay_alu instid0(SALU_CYCLE_1)
	s_or_b32 exec_lo, exec_lo, s23
.LBB270_1499:                           ;   in Loop: Header=BB270_16 Depth=1
	s_delay_alu instid0(SALU_CYCLE_1) | instskip(SKIP_2) | instid1(VALU_DEP_1)
	s_or_b32 exec_lo, exec_lo, s2
	v_lshrrev_b16 v0, 8, v2
	s_mov_b32 s23, exec_lo
	v_cmpx_ne_u16_e32 0, v0
	s_cbranch_execz .LBB270_1507
; %bb.1500:                             ;   in Loop: Header=BB270_16 Depth=1
	v_dual_mov_b32 v31, s9 :: v_dual_mov_b32 v30, s8
	s_mov_b32 s24, exec_lo
	v_cmpx_ne_u16_e32 0x80, v0
	s_cbranch_execz .LBB270_1506
; %bb.1501:                             ;   in Loop: Header=BB270_16 Depth=1
	s_mov_b32 s2, s8
	v_and_b32_e32 v1, 0xffff, v0
	v_dual_mov_b32 v31, s3 :: v_dual_mov_b32 v30, s2
	s_mov_b32 s2, exec_lo
	s_delay_alu instid0(VALU_DEP_2) | instskip(NEXT) | instid1(VALU_DEP_1)
	v_and_b32_e32 v0, 0x7f, v1
	v_cmpx_ne_u32_e32 0x7f, v0
	s_cbranch_execz .LBB270_1505
; %bb.1502:                             ;   in Loop: Header=BB270_16 Depth=1
	v_and_b32_e32 v14, 7, v1
	v_lshrrev_b32_e32 v3, 3, v0
	v_cmp_gt_u32_e64 s1, 8, v0
	s_delay_alu instid0(VALU_DEP_3) | instskip(NEXT) | instid1(VALU_DEP_2)
	v_dual_mov_b32 v0, v14 :: v_dual_mov_b32 v1, v15
	s_and_saveexec_b32 s25, s1
; %bb.1503:                             ;   in Loop: Header=BB270_16 Depth=1
	v_clz_i32_u32_e32 v0, v14
	s_delay_alu instid0(VALU_DEP_1) | instskip(NEXT) | instid1(VALU_DEP_1)
	v_min_u32_e32 v3, 32, v0
	v_subrev_nc_u32_e32 v0, 28, v3
	v_sub_nc_u32_e32 v3, 29, v3
	s_delay_alu instid0(VALU_DEP_2) | instskip(NEXT) | instid1(VALU_DEP_1)
	v_lshlrev_b64 v[0:1], v0, v[14:15]
	v_and_b32_e32 v0, 7, v0
; %bb.1504:                             ;   in Loop: Header=BB270_16 Depth=1
	s_or_b32 exec_lo, exec_lo, s25
	v_dual_mov_b32 v30, v15 :: v_dual_lshlrev_b32 v1, 16, v2
	s_delay_alu instid0(VALU_DEP_2) | instskip(SKIP_1) | instid1(VALU_DEP_3)
	v_lshlrev_b32_e32 v0, 20, v0
	v_lshl_add_u32 v3, v3, 23, 0x3c000000
	v_and_b32_e32 v1, 0x80000000, v1
	s_delay_alu instid0(VALU_DEP_1)
	v_or3_b32 v31, v0, v1, v3
.LBB270_1505:                           ;   in Loop: Header=BB270_16 Depth=1
	s_or_b32 exec_lo, exec_lo, s2
.LBB270_1506:                           ;   in Loop: Header=BB270_16 Depth=1
	s_delay_alu instid0(SALU_CYCLE_1)
	s_or_b32 exec_lo, exec_lo, s24
.LBB270_1507:                           ;   in Loop: Header=BB270_16 Depth=1
	s_delay_alu instid0(SALU_CYCLE_1) | instskip(SKIP_4) | instid1(VALU_DEP_1)
	s_or_b32 exec_lo, exec_lo, s23
	v_mov_b32_e32 v52, 0
	v_lshrrev_b32_e32 v3, 16, v2
	v_mov_b32_e32 v53, 0
	s_mov_b32 s2, exec_lo
	v_dual_mov_b32 v127, v53 :: v_dual_and_b32 v0, 0xff, v3
	v_mov_b32_e32 v126, v52
	s_delay_alu instid0(VALU_DEP_2)
	v_cmpx_ne_u16_e32 0, v0
	s_cbranch_execz .LBB270_1515
; %bb.1508:                             ;   in Loop: Header=BB270_16 Depth=1
	v_bfrev_b32_e32 v126, 1
	v_mov_b32_e32 v127, 0
	s_mov_b32 s23, exec_lo
	v_cmpx_ne_u16_e32 0x80, v0
	s_cbranch_execz .LBB270_1514
; %bb.1509:                             ;   in Loop: Header=BB270_16 Depth=1
	v_mov_b32_e32 v126, 0x7f800001
	v_bfe_u32 v0, v2, 16, 7
	v_mov_b32_e32 v127, 0
	s_mov_b32 s24, exec_lo
	s_delay_alu instid0(VALU_DEP_2)
	v_cmpx_ne_u32_e32 0x7f, v0
	s_cbranch_execz .LBB270_1513
; %bb.1510:                             ;   in Loop: Header=BB270_16 Depth=1
	v_and_b32_e32 v14, 7, v3
	v_lshrrev_b32_e32 v6, 3, v0
	v_cmp_gt_u32_e64 s1, 8, v0
	s_delay_alu instid0(VALU_DEP_3) | instskip(NEXT) | instid1(VALU_DEP_2)
	v_dual_mov_b32 v0, v14 :: v_dual_mov_b32 v1, v15
	s_and_saveexec_b32 s25, s1
; %bb.1511:                             ;   in Loop: Header=BB270_16 Depth=1
	v_clz_i32_u32_e32 v0, v14
	s_delay_alu instid0(VALU_DEP_1) | instskip(NEXT) | instid1(VALU_DEP_1)
	v_min_u32_e32 v6, 32, v0
	v_subrev_nc_u32_e32 v0, 28, v6
	v_sub_nc_u32_e32 v6, 29, v6
	s_delay_alu instid0(VALU_DEP_2) | instskip(NEXT) | instid1(VALU_DEP_1)
	v_lshlrev_b64 v[0:1], v0, v[14:15]
	v_and_b32_e32 v0, 7, v0
; %bb.1512:                             ;   in Loop: Header=BB270_16 Depth=1
	s_or_b32 exec_lo, exec_lo, s25
	v_lshlrev_b32_e32 v1, 24, v3
	s_delay_alu instid0(VALU_DEP_2) | instskip(SKIP_1) | instid1(VALU_DEP_3)
	v_lshlrev_b32_e32 v0, 20, v0
	v_lshl_add_u32 v3, v6, 23, 0x3c000000
	v_and_b32_e32 v1, 0x80000000, v1
	s_delay_alu instid0(VALU_DEP_1) | instskip(NEXT) | instid1(VALU_DEP_1)
	v_or3_b32 v14, v0, v1, v3
	v_dual_mov_b32 v127, v15 :: v_dual_mov_b32 v126, v14
.LBB270_1513:                           ;   in Loop: Header=BB270_16 Depth=1
	s_or_b32 exec_lo, exec_lo, s24
.LBB270_1514:                           ;   in Loop: Header=BB270_16 Depth=1
	s_delay_alu instid0(SALU_CYCLE_1)
	s_or_b32 exec_lo, exec_lo, s23
.LBB270_1515:                           ;   in Loop: Header=BB270_16 Depth=1
	s_delay_alu instid0(SALU_CYCLE_1) | instskip(NEXT) | instid1(SALU_CYCLE_1)
	s_or_b32 exec_lo, exec_lo, s2
	s_mov_b32 s23, exec_lo
	v_cmpx_lt_u32_e32 0xffffff, v2
	s_cbranch_execz .LBB270_1523
; %bb.1516:                             ;   in Loop: Header=BB270_16 Depth=1
	v_lshrrev_b32_e32 v3, 24, v2
	v_dual_mov_b32 v53, s9 :: v_dual_mov_b32 v52, s8
	s_mov_b32 s24, exec_lo
	s_delay_alu instid0(VALU_DEP_2)
	v_cmpx_ne_u32_e32 0x80, v3
	s_cbranch_execz .LBB270_1522
; %bb.1517:                             ;   in Loop: Header=BB270_16 Depth=1
	s_mov_b32 s2, s8
	v_bfe_u32 v0, v2, 24, 7
	v_dual_mov_b32 v53, s3 :: v_dual_mov_b32 v52, s2
	s_mov_b32 s2, exec_lo
	s_delay_alu instid0(VALU_DEP_2)
	v_cmpx_ne_u32_e32 0x7f, v0
	s_cbranch_execz .LBB270_1521
; %bb.1518:                             ;   in Loop: Header=BB270_16 Depth=1
	v_and_b32_e32 v14, 7, v3
	v_lshrrev_b32_e32 v2, 3, v0
	v_cmp_gt_u32_e64 s1, 8, v0
	s_delay_alu instid0(VALU_DEP_3) | instskip(NEXT) | instid1(VALU_DEP_2)
	v_dual_mov_b32 v0, v14 :: v_dual_mov_b32 v1, v15
	s_and_saveexec_b32 s25, s1
; %bb.1519:                             ;   in Loop: Header=BB270_16 Depth=1
	v_clz_i32_u32_e32 v0, v14
	s_delay_alu instid0(VALU_DEP_1) | instskip(NEXT) | instid1(VALU_DEP_1)
	v_min_u32_e32 v2, 32, v0
	v_subrev_nc_u32_e32 v0, 28, v2
	v_sub_nc_u32_e32 v2, 29, v2
	s_delay_alu instid0(VALU_DEP_2) | instskip(NEXT) | instid1(VALU_DEP_1)
	v_lshlrev_b64 v[0:1], v0, v[14:15]
	v_and_b32_e32 v0, 7, v0
; %bb.1520:                             ;   in Loop: Header=BB270_16 Depth=1
	s_or_b32 exec_lo, exec_lo, s25
	v_dual_mov_b32 v52, v15 :: v_dual_lshlrev_b32 v1, 24, v3
	s_delay_alu instid0(VALU_DEP_2) | instskip(SKIP_1) | instid1(VALU_DEP_3)
	v_lshlrev_b32_e32 v0, 20, v0
	v_lshl_add_u32 v2, v2, 23, 0x3c000000
	v_and_b32_e32 v1, 0x80000000, v1
	s_delay_alu instid0(VALU_DEP_1)
	v_or3_b32 v53, v0, v1, v2
.LBB270_1521:                           ;   in Loop: Header=BB270_16 Depth=1
	s_or_b32 exec_lo, exec_lo, s2
.LBB270_1522:                           ;   in Loop: Header=BB270_16 Depth=1
	s_delay_alu instid0(SALU_CYCLE_1)
	s_or_b32 exec_lo, exec_lo, s24
.LBB270_1523:                           ;   in Loop: Header=BB270_16 Depth=1
	s_delay_alu instid0(SALU_CYCLE_1)
	s_or_b32 exec_lo, exec_lo, s23
	flat_load_b32 v2, v[24:25] offset:1548
	v_mov_b32_e32 v64, 0
	v_mov_b32_e32 v65, 0
	s_mov_b32 s2, exec_lo
	s_waitcnt vmcnt(0) lgkmcnt(0)
	s_delay_alu instid0(VALU_DEP_1) | instskip(SKIP_1) | instid1(VALU_DEP_2)
	v_dual_mov_b32 v115, v65 :: v_dual_and_b32 v0, 0xff, v2
	v_mov_b32_e32 v114, v64
	v_cmpx_ne_u16_e32 0, v0
	s_cbranch_execz .LBB270_1531
; %bb.1524:                             ;   in Loop: Header=BB270_16 Depth=1
	v_bfrev_b32_e32 v114, 1
	v_mov_b32_e32 v115, 0
	s_mov_b32 s23, exec_lo
	v_cmpx_ne_u16_e32 0x80, v0
	s_cbranch_execz .LBB270_1530
; %bb.1525:                             ;   in Loop: Header=BB270_16 Depth=1
	v_mov_b32_e32 v114, 0x7f800001
	v_dual_mov_b32 v115, 0 :: v_dual_and_b32 v0, 0x7f, v2
	s_mov_b32 s24, exec_lo
	s_delay_alu instid0(VALU_DEP_1)
	v_cmpx_ne_u32_e32 0x7f, v0
	s_cbranch_execz .LBB270_1529
; %bb.1526:                             ;   in Loop: Header=BB270_16 Depth=1
	v_and_b32_e32 v14, 7, v2
	v_lshrrev_b32_e32 v3, 3, v0
	v_cmp_gt_u32_e64 s1, 8, v0
	s_delay_alu instid0(VALU_DEP_3) | instskip(NEXT) | instid1(VALU_DEP_2)
	v_dual_mov_b32 v0, v14 :: v_dual_mov_b32 v1, v15
	s_and_saveexec_b32 s25, s1
; %bb.1527:                             ;   in Loop: Header=BB270_16 Depth=1
	v_clz_i32_u32_e32 v0, v14
	s_delay_alu instid0(VALU_DEP_1) | instskip(NEXT) | instid1(VALU_DEP_1)
	v_min_u32_e32 v3, 32, v0
	v_subrev_nc_u32_e32 v0, 28, v3
	v_sub_nc_u32_e32 v3, 29, v3
	s_delay_alu instid0(VALU_DEP_2) | instskip(NEXT) | instid1(VALU_DEP_1)
	v_lshlrev_b64 v[0:1], v0, v[14:15]
	v_and_b32_e32 v0, 7, v0
; %bb.1528:                             ;   in Loop: Header=BB270_16 Depth=1
	s_or_b32 exec_lo, exec_lo, s25
	v_lshlrev_b32_e32 v1, 24, v2
	s_delay_alu instid0(VALU_DEP_2) | instskip(SKIP_1) | instid1(VALU_DEP_3)
	v_lshlrev_b32_e32 v0, 20, v0
	v_lshl_add_u32 v3, v3, 23, 0x3c000000
	v_and_b32_e32 v1, 0x80000000, v1
	s_delay_alu instid0(VALU_DEP_1) | instskip(NEXT) | instid1(VALU_DEP_1)
	v_or3_b32 v14, v0, v1, v3
	v_dual_mov_b32 v115, v15 :: v_dual_mov_b32 v114, v14
.LBB270_1529:                           ;   in Loop: Header=BB270_16 Depth=1
	s_or_b32 exec_lo, exec_lo, s24
.LBB270_1530:                           ;   in Loop: Header=BB270_16 Depth=1
	s_delay_alu instid0(SALU_CYCLE_1)
	s_or_b32 exec_lo, exec_lo, s23
.LBB270_1531:                           ;   in Loop: Header=BB270_16 Depth=1
	s_delay_alu instid0(SALU_CYCLE_1) | instskip(SKIP_2) | instid1(VALU_DEP_1)
	s_or_b32 exec_lo, exec_lo, s2
	v_lshrrev_b16 v0, 8, v2
	s_mov_b32 s23, exec_lo
	v_cmpx_ne_u16_e32 0, v0
	s_cbranch_execz .LBB270_1539
; %bb.1532:                             ;   in Loop: Header=BB270_16 Depth=1
	v_dual_mov_b32 v65, s9 :: v_dual_mov_b32 v64, s8
	s_mov_b32 s24, exec_lo
	v_cmpx_ne_u16_e32 0x80, v0
	s_cbranch_execz .LBB270_1538
; %bb.1533:                             ;   in Loop: Header=BB270_16 Depth=1
	s_mov_b32 s2, s8
	v_and_b32_e32 v1, 0xffff, v0
	v_dual_mov_b32 v65, s3 :: v_dual_mov_b32 v64, s2
	s_mov_b32 s2, exec_lo
	s_delay_alu instid0(VALU_DEP_2) | instskip(NEXT) | instid1(VALU_DEP_1)
	v_and_b32_e32 v0, 0x7f, v1
	v_cmpx_ne_u32_e32 0x7f, v0
	s_cbranch_execz .LBB270_1537
; %bb.1534:                             ;   in Loop: Header=BB270_16 Depth=1
	v_and_b32_e32 v14, 7, v1
	v_lshrrev_b32_e32 v3, 3, v0
	v_cmp_gt_u32_e64 s1, 8, v0
	s_delay_alu instid0(VALU_DEP_3) | instskip(NEXT) | instid1(VALU_DEP_2)
	v_dual_mov_b32 v0, v14 :: v_dual_mov_b32 v1, v15
	s_and_saveexec_b32 s25, s1
; %bb.1535:                             ;   in Loop: Header=BB270_16 Depth=1
	v_clz_i32_u32_e32 v0, v14
	s_delay_alu instid0(VALU_DEP_1) | instskip(NEXT) | instid1(VALU_DEP_1)
	v_min_u32_e32 v3, 32, v0
	v_subrev_nc_u32_e32 v0, 28, v3
	v_sub_nc_u32_e32 v3, 29, v3
	s_delay_alu instid0(VALU_DEP_2) | instskip(NEXT) | instid1(VALU_DEP_1)
	v_lshlrev_b64 v[0:1], v0, v[14:15]
	v_and_b32_e32 v0, 7, v0
; %bb.1536:                             ;   in Loop: Header=BB270_16 Depth=1
	s_or_b32 exec_lo, exec_lo, s25
	v_dual_mov_b32 v64, v15 :: v_dual_lshlrev_b32 v1, 16, v2
	s_delay_alu instid0(VALU_DEP_2) | instskip(SKIP_1) | instid1(VALU_DEP_3)
	v_lshlrev_b32_e32 v0, 20, v0
	v_lshl_add_u32 v3, v3, 23, 0x3c000000
	v_and_b32_e32 v1, 0x80000000, v1
	s_delay_alu instid0(VALU_DEP_1)
	v_or3_b32 v65, v0, v1, v3
.LBB270_1537:                           ;   in Loop: Header=BB270_16 Depth=1
	s_or_b32 exec_lo, exec_lo, s2
.LBB270_1538:                           ;   in Loop: Header=BB270_16 Depth=1
	s_delay_alu instid0(SALU_CYCLE_1)
	s_or_b32 exec_lo, exec_lo, s24
.LBB270_1539:                           ;   in Loop: Header=BB270_16 Depth=1
	s_delay_alu instid0(SALU_CYCLE_1) | instskip(SKIP_4) | instid1(VALU_DEP_1)
	s_or_b32 exec_lo, exec_lo, s23
	v_mov_b32_e32 v50, 0
	v_lshrrev_b32_e32 v3, 16, v2
	v_mov_b32_e32 v51, 0
	s_mov_b32 s2, exec_lo
	v_dual_mov_b32 v69, v51 :: v_dual_and_b32 v0, 0xff, v3
	v_mov_b32_e32 v68, v50
	s_delay_alu instid0(VALU_DEP_2)
	v_cmpx_ne_u16_e32 0, v0
	s_cbranch_execz .LBB270_1547
; %bb.1540:                             ;   in Loop: Header=BB270_16 Depth=1
	v_bfrev_b32_e32 v68, 1
	v_mov_b32_e32 v69, 0
	s_mov_b32 s23, exec_lo
	v_cmpx_ne_u16_e32 0x80, v0
	s_cbranch_execz .LBB270_1546
; %bb.1541:                             ;   in Loop: Header=BB270_16 Depth=1
	v_mov_b32_e32 v68, 0x7f800001
	v_bfe_u32 v0, v2, 16, 7
	v_mov_b32_e32 v69, 0
	s_mov_b32 s24, exec_lo
	s_delay_alu instid0(VALU_DEP_2)
	v_cmpx_ne_u32_e32 0x7f, v0
	s_cbranch_execz .LBB270_1545
; %bb.1542:                             ;   in Loop: Header=BB270_16 Depth=1
	v_and_b32_e32 v14, 7, v3
	v_lshrrev_b32_e32 v10, 3, v0
	v_cmp_gt_u32_e64 s1, 8, v0
	s_delay_alu instid0(VALU_DEP_3) | instskip(NEXT) | instid1(VALU_DEP_2)
	v_dual_mov_b32 v0, v14 :: v_dual_mov_b32 v1, v15
	s_and_saveexec_b32 s25, s1
; %bb.1543:                             ;   in Loop: Header=BB270_16 Depth=1
	v_clz_i32_u32_e32 v0, v14
	s_delay_alu instid0(VALU_DEP_1) | instskip(NEXT) | instid1(VALU_DEP_1)
	v_min_u32_e32 v10, 32, v0
	v_subrev_nc_u32_e32 v0, 28, v10
	v_sub_nc_u32_e32 v10, 29, v10
	s_delay_alu instid0(VALU_DEP_2) | instskip(NEXT) | instid1(VALU_DEP_1)
	v_lshlrev_b64 v[0:1], v0, v[14:15]
	v_and_b32_e32 v0, 7, v0
; %bb.1544:                             ;   in Loop: Header=BB270_16 Depth=1
	s_or_b32 exec_lo, exec_lo, s25
	v_lshlrev_b32_e32 v1, 24, v3
	s_delay_alu instid0(VALU_DEP_2) | instskip(SKIP_1) | instid1(VALU_DEP_3)
	v_lshlrev_b32_e32 v0, 20, v0
	v_lshl_add_u32 v3, v10, 23, 0x3c000000
	v_and_b32_e32 v1, 0x80000000, v1
	s_delay_alu instid0(VALU_DEP_1) | instskip(NEXT) | instid1(VALU_DEP_1)
	v_or3_b32 v14, v0, v1, v3
	v_dual_mov_b32 v69, v15 :: v_dual_mov_b32 v68, v14
.LBB270_1545:                           ;   in Loop: Header=BB270_16 Depth=1
	s_or_b32 exec_lo, exec_lo, s24
.LBB270_1546:                           ;   in Loop: Header=BB270_16 Depth=1
	s_delay_alu instid0(SALU_CYCLE_1)
	s_or_b32 exec_lo, exec_lo, s23
.LBB270_1547:                           ;   in Loop: Header=BB270_16 Depth=1
	s_delay_alu instid0(SALU_CYCLE_1) | instskip(NEXT) | instid1(SALU_CYCLE_1)
	s_or_b32 exec_lo, exec_lo, s2
	s_mov_b32 s23, exec_lo
	v_cmpx_lt_u32_e32 0xffffff, v2
	s_cbranch_execz .LBB270_1555
; %bb.1548:                             ;   in Loop: Header=BB270_16 Depth=1
	v_lshrrev_b32_e32 v3, 24, v2
	v_dual_mov_b32 v51, s9 :: v_dual_mov_b32 v50, s8
	s_mov_b32 s24, exec_lo
	s_delay_alu instid0(VALU_DEP_2)
	v_cmpx_ne_u32_e32 0x80, v3
	s_cbranch_execz .LBB270_1554
; %bb.1549:                             ;   in Loop: Header=BB270_16 Depth=1
	s_mov_b32 s2, s8
	v_bfe_u32 v0, v2, 24, 7
	v_dual_mov_b32 v51, s3 :: v_dual_mov_b32 v50, s2
	s_mov_b32 s2, exec_lo
	s_delay_alu instid0(VALU_DEP_2)
	v_cmpx_ne_u32_e32 0x7f, v0
	s_cbranch_execz .LBB270_1553
; %bb.1550:                             ;   in Loop: Header=BB270_16 Depth=1
	v_and_b32_e32 v14, 7, v3
	v_lshrrev_b32_e32 v2, 3, v0
	v_cmp_gt_u32_e64 s1, 8, v0
	s_delay_alu instid0(VALU_DEP_3) | instskip(NEXT) | instid1(VALU_DEP_2)
	v_dual_mov_b32 v0, v14 :: v_dual_mov_b32 v1, v15
	s_and_saveexec_b32 s25, s1
; %bb.1551:                             ;   in Loop: Header=BB270_16 Depth=1
	v_clz_i32_u32_e32 v0, v14
	s_delay_alu instid0(VALU_DEP_1) | instskip(NEXT) | instid1(VALU_DEP_1)
	v_min_u32_e32 v2, 32, v0
	v_subrev_nc_u32_e32 v0, 28, v2
	v_sub_nc_u32_e32 v2, 29, v2
	s_delay_alu instid0(VALU_DEP_2) | instskip(NEXT) | instid1(VALU_DEP_1)
	v_lshlrev_b64 v[0:1], v0, v[14:15]
	v_and_b32_e32 v0, 7, v0
; %bb.1552:                             ;   in Loop: Header=BB270_16 Depth=1
	s_or_b32 exec_lo, exec_lo, s25
	v_dual_mov_b32 v50, v15 :: v_dual_lshlrev_b32 v1, 24, v3
	s_delay_alu instid0(VALU_DEP_2) | instskip(SKIP_1) | instid1(VALU_DEP_3)
	v_lshlrev_b32_e32 v0, 20, v0
	v_lshl_add_u32 v2, v2, 23, 0x3c000000
	v_and_b32_e32 v1, 0x80000000, v1
	s_delay_alu instid0(VALU_DEP_1)
	v_or3_b32 v51, v0, v1, v2
.LBB270_1553:                           ;   in Loop: Header=BB270_16 Depth=1
	s_or_b32 exec_lo, exec_lo, s2
.LBB270_1554:                           ;   in Loop: Header=BB270_16 Depth=1
	s_delay_alu instid0(SALU_CYCLE_1)
	s_or_b32 exec_lo, exec_lo, s24
.LBB270_1555:                           ;   in Loop: Header=BB270_16 Depth=1
	s_delay_alu instid0(SALU_CYCLE_1)
	s_or_b32 exec_lo, exec_lo, s23
	flat_load_b32 v10, v[24:25] offset:2048
	v_mov_b32_e32 v0, 0
	v_mov_b32_e32 v1, 0
	s_mov_b32 s2, exec_lo
	s_waitcnt vmcnt(0) lgkmcnt(0)
	s_delay_alu instid0(VALU_DEP_1) | instskip(SKIP_1) | instid1(VALU_DEP_2)
	v_dual_mov_b32 v71, v1 :: v_dual_and_b32 v2, 0xff, v10
	v_mov_b32_e32 v70, v0
	v_cmpx_ne_u16_e32 0, v2
	s_cbranch_execz .LBB270_1563
; %bb.1556:                             ;   in Loop: Header=BB270_16 Depth=1
	v_bfrev_b32_e32 v70, 1
	v_mov_b32_e32 v71, 0
	s_mov_b32 s23, exec_lo
	v_cmpx_ne_u16_e32 0x80, v2
	s_cbranch_execz .LBB270_1562
; %bb.1557:                             ;   in Loop: Header=BB270_16 Depth=1
	v_mov_b32_e32 v70, 0x7f800001
	v_dual_mov_b32 v71, 0 :: v_dual_and_b32 v2, 0x7f, v10
	s_mov_b32 s24, exec_lo
	s_delay_alu instid0(VALU_DEP_1)
	v_cmpx_ne_u32_e32 0x7f, v2
	s_cbranch_execz .LBB270_1561
; %bb.1558:                             ;   in Loop: Header=BB270_16 Depth=1
	v_and_b32_e32 v14, 7, v10
	v_lshrrev_b32_e32 v11, 3, v2
	v_cmp_gt_u32_e64 s1, 8, v2
	s_delay_alu instid0(VALU_DEP_3) | instskip(NEXT) | instid1(VALU_DEP_2)
	v_dual_mov_b32 v2, v14 :: v_dual_mov_b32 v3, v15
	s_and_saveexec_b32 s25, s1
; %bb.1559:                             ;   in Loop: Header=BB270_16 Depth=1
	v_clz_i32_u32_e32 v2, v14
	s_delay_alu instid0(VALU_DEP_1) | instskip(NEXT) | instid1(VALU_DEP_1)
	v_min_u32_e32 v11, 32, v2
	v_subrev_nc_u32_e32 v2, 28, v11
	v_sub_nc_u32_e32 v11, 29, v11
	s_delay_alu instid0(VALU_DEP_2) | instskip(NEXT) | instid1(VALU_DEP_1)
	v_lshlrev_b64 v[2:3], v2, v[14:15]
	v_and_b32_e32 v2, 7, v2
; %bb.1560:                             ;   in Loop: Header=BB270_16 Depth=1
	s_or_b32 exec_lo, exec_lo, s25
	v_lshlrev_b32_e32 v3, 24, v10
	s_delay_alu instid0(VALU_DEP_2) | instskip(SKIP_1) | instid1(VALU_DEP_3)
	v_lshlrev_b32_e32 v2, 20, v2
	v_lshl_add_u32 v11, v11, 23, 0x3c000000
	v_and_b32_e32 v3, 0x80000000, v3
	s_delay_alu instid0(VALU_DEP_1) | instskip(NEXT) | instid1(VALU_DEP_1)
	v_or3_b32 v14, v2, v3, v11
	v_dual_mov_b32 v71, v15 :: v_dual_mov_b32 v70, v14
.LBB270_1561:                           ;   in Loop: Header=BB270_16 Depth=1
	s_or_b32 exec_lo, exec_lo, s24
.LBB270_1562:                           ;   in Loop: Header=BB270_16 Depth=1
	s_delay_alu instid0(SALU_CYCLE_1)
	s_or_b32 exec_lo, exec_lo, s23
.LBB270_1563:                           ;   in Loop: Header=BB270_16 Depth=1
	s_delay_alu instid0(SALU_CYCLE_1) | instskip(SKIP_2) | instid1(VALU_DEP_1)
	s_or_b32 exec_lo, exec_lo, s2
	v_lshrrev_b16 v2, 8, v10
	s_mov_b32 s23, exec_lo
	v_cmpx_ne_u16_e32 0, v2
	s_cbranch_execz .LBB270_1571
; %bb.1564:                             ;   in Loop: Header=BB270_16 Depth=1
	v_dual_mov_b32 v0, s8 :: v_dual_mov_b32 v1, s9
	s_mov_b32 s24, exec_lo
	v_cmpx_ne_u16_e32 0x80, v2
	s_cbranch_execz .LBB270_1570
; %bb.1565:                             ;   in Loop: Header=BB270_16 Depth=1
	s_mov_b32 s2, s8
	v_and_b32_e32 v2, 0xffff, v2
	v_dual_mov_b32 v0, s2 :: v_dual_mov_b32 v1, s3
	s_mov_b32 s2, exec_lo
	s_delay_alu instid0(VALU_DEP_2) | instskip(NEXT) | instid1(VALU_DEP_1)
	v_and_b32_e32 v3, 0x7f, v2
	v_cmpx_ne_u32_e32 0x7f, v3
	s_cbranch_execz .LBB270_1569
; %bb.1566:                             ;   in Loop: Header=BB270_16 Depth=1
	v_and_b32_e32 v14, 7, v2
	v_lshrrev_b32_e32 v2, 3, v3
	s_mov_b32 s25, exec_lo
	s_delay_alu instid0(VALU_DEP_2)
	v_dual_mov_b32 v0, v14 :: v_dual_mov_b32 v1, v15
	v_cmpx_gt_u32_e32 8, v3
; %bb.1567:                             ;   in Loop: Header=BB270_16 Depth=1
	v_clz_i32_u32_e32 v0, v14
	s_delay_alu instid0(VALU_DEP_1) | instskip(NEXT) | instid1(VALU_DEP_1)
	v_min_u32_e32 v2, 32, v0
	v_subrev_nc_u32_e32 v0, 28, v2
	v_sub_nc_u32_e32 v2, 29, v2
	s_delay_alu instid0(VALU_DEP_2) | instskip(NEXT) | instid1(VALU_DEP_1)
	v_lshlrev_b64 v[0:1], v0, v[14:15]
	v_and_b32_e32 v0, 7, v0
; %bb.1568:                             ;   in Loop: Header=BB270_16 Depth=1
	s_or_b32 exec_lo, exec_lo, s25
	v_lshlrev_b32_e32 v1, 16, v10
	s_delay_alu instid0(VALU_DEP_2) | instskip(SKIP_1) | instid1(VALU_DEP_3)
	v_lshlrev_b32_e32 v0, 20, v0
	v_lshl_add_u32 v2, v2, 23, 0x3c000000
	v_and_b32_e32 v1, 0x80000000, v1
	s_delay_alu instid0(VALU_DEP_1)
	v_or3_b32 v1, v0, v1, v2
	v_mov_b32_e32 v0, v15
.LBB270_1569:                           ;   in Loop: Header=BB270_16 Depth=1
	s_or_b32 exec_lo, exec_lo, s2
.LBB270_1570:                           ;   in Loop: Header=BB270_16 Depth=1
	s_delay_alu instid0(SALU_CYCLE_1)
	s_or_b32 exec_lo, exec_lo, s24
.LBB270_1571:                           ;   in Loop: Header=BB270_16 Depth=1
	s_delay_alu instid0(SALU_CYCLE_1) | instskip(SKIP_4) | instid1(VALU_DEP_1)
	s_or_b32 exec_lo, exec_lo, s23
	v_mov_b32_e32 v26, 0
	v_lshrrev_b32_e32 v11, 16, v10
	v_mov_b32_e32 v27, 0
	s_mov_b32 s2, exec_lo
	v_dual_mov_b32 v87, v27 :: v_dual_and_b32 v2, 0xff, v11
	v_mov_b32_e32 v86, v26
	s_delay_alu instid0(VALU_DEP_2)
	v_cmpx_ne_u16_e32 0, v2
	s_cbranch_execz .LBB270_1579
; %bb.1572:                             ;   in Loop: Header=BB270_16 Depth=1
	v_bfrev_b32_e32 v86, 1
	v_mov_b32_e32 v87, 0
	s_mov_b32 s23, exec_lo
	v_cmpx_ne_u16_e32 0x80, v2
	s_cbranch_execz .LBB270_1578
; %bb.1573:                             ;   in Loop: Header=BB270_16 Depth=1
	v_mov_b32_e32 v86, 0x7f800001
	v_bfe_u32 v2, v10, 16, 7
	v_mov_b32_e32 v87, 0
	s_mov_b32 s24, exec_lo
	s_delay_alu instid0(VALU_DEP_2)
	v_cmpx_ne_u32_e32 0x7f, v2
	s_cbranch_execz .LBB270_1577
; %bb.1574:                             ;   in Loop: Header=BB270_16 Depth=1
	v_and_b32_e32 v14, 7, v11
	v_lshrrev_b32_e32 v12, 3, v2
	v_cmp_gt_u32_e64 s1, 8, v2
	s_delay_alu instid0(VALU_DEP_3) | instskip(NEXT) | instid1(VALU_DEP_2)
	v_dual_mov_b32 v2, v14 :: v_dual_mov_b32 v3, v15
	s_and_saveexec_b32 s25, s1
; %bb.1575:                             ;   in Loop: Header=BB270_16 Depth=1
	v_clz_i32_u32_e32 v2, v14
	s_delay_alu instid0(VALU_DEP_1) | instskip(NEXT) | instid1(VALU_DEP_1)
	v_min_u32_e32 v12, 32, v2
	v_subrev_nc_u32_e32 v2, 28, v12
	v_sub_nc_u32_e32 v12, 29, v12
	s_delay_alu instid0(VALU_DEP_2) | instskip(NEXT) | instid1(VALU_DEP_1)
	v_lshlrev_b64 v[2:3], v2, v[14:15]
	v_and_b32_e32 v2, 7, v2
; %bb.1576:                             ;   in Loop: Header=BB270_16 Depth=1
	s_or_b32 exec_lo, exec_lo, s25
	v_lshlrev_b32_e32 v3, 24, v11
	s_delay_alu instid0(VALU_DEP_2) | instskip(SKIP_1) | instid1(VALU_DEP_3)
	v_lshlrev_b32_e32 v2, 20, v2
	v_lshl_add_u32 v11, v12, 23, 0x3c000000
	v_and_b32_e32 v3, 0x80000000, v3
	s_delay_alu instid0(VALU_DEP_1) | instskip(NEXT) | instid1(VALU_DEP_1)
	v_or3_b32 v14, v2, v3, v11
	v_dual_mov_b32 v87, v15 :: v_dual_mov_b32 v86, v14
.LBB270_1577:                           ;   in Loop: Header=BB270_16 Depth=1
	s_or_b32 exec_lo, exec_lo, s24
.LBB270_1578:                           ;   in Loop: Header=BB270_16 Depth=1
	s_delay_alu instid0(SALU_CYCLE_1)
	s_or_b32 exec_lo, exec_lo, s23
.LBB270_1579:                           ;   in Loop: Header=BB270_16 Depth=1
	s_delay_alu instid0(SALU_CYCLE_1) | instskip(NEXT) | instid1(SALU_CYCLE_1)
	s_or_b32 exec_lo, exec_lo, s2
	s_mov_b32 s23, exec_lo
	v_cmpx_lt_u32_e32 0xffffff, v10
	s_cbranch_execz .LBB270_1587
; %bb.1580:                             ;   in Loop: Header=BB270_16 Depth=1
	v_lshrrev_b32_e32 v11, 24, v10
	v_dual_mov_b32 v27, s9 :: v_dual_mov_b32 v26, s8
	s_mov_b32 s24, exec_lo
	s_delay_alu instid0(VALU_DEP_2)
	v_cmpx_ne_u32_e32 0x80, v11
	s_cbranch_execz .LBB270_1586
; %bb.1581:                             ;   in Loop: Header=BB270_16 Depth=1
	s_mov_b32 s2, s8
	v_bfe_u32 v2, v10, 24, 7
	v_dual_mov_b32 v27, s3 :: v_dual_mov_b32 v26, s2
	s_mov_b32 s2, exec_lo
	s_delay_alu instid0(VALU_DEP_2)
	v_cmpx_ne_u32_e32 0x7f, v2
	s_cbranch_execz .LBB270_1585
; %bb.1582:                             ;   in Loop: Header=BB270_16 Depth=1
	v_and_b32_e32 v14, 7, v11
	v_lshrrev_b32_e32 v10, 3, v2
	v_cmp_gt_u32_e64 s1, 8, v2
	s_delay_alu instid0(VALU_DEP_3) | instskip(NEXT) | instid1(VALU_DEP_2)
	v_dual_mov_b32 v2, v14 :: v_dual_mov_b32 v3, v15
	s_and_saveexec_b32 s25, s1
; %bb.1583:                             ;   in Loop: Header=BB270_16 Depth=1
	v_clz_i32_u32_e32 v2, v14
	s_delay_alu instid0(VALU_DEP_1) | instskip(NEXT) | instid1(VALU_DEP_1)
	v_min_u32_e32 v10, 32, v2
	v_subrev_nc_u32_e32 v2, 28, v10
	v_sub_nc_u32_e32 v10, 29, v10
	s_delay_alu instid0(VALU_DEP_2) | instskip(NEXT) | instid1(VALU_DEP_1)
	v_lshlrev_b64 v[2:3], v2, v[14:15]
	v_and_b32_e32 v2, 7, v2
; %bb.1584:                             ;   in Loop: Header=BB270_16 Depth=1
	s_or_b32 exec_lo, exec_lo, s25
	v_dual_mov_b32 v26, v15 :: v_dual_lshlrev_b32 v3, 24, v11
	s_delay_alu instid0(VALU_DEP_2) | instskip(SKIP_1) | instid1(VALU_DEP_3)
	v_lshlrev_b32_e32 v2, 20, v2
	v_lshl_add_u32 v10, v10, 23, 0x3c000000
	v_and_b32_e32 v3, 0x80000000, v3
	s_delay_alu instid0(VALU_DEP_1)
	v_or3_b32 v27, v2, v3, v10
.LBB270_1585:                           ;   in Loop: Header=BB270_16 Depth=1
	s_or_b32 exec_lo, exec_lo, s2
.LBB270_1586:                           ;   in Loop: Header=BB270_16 Depth=1
	s_delay_alu instid0(SALU_CYCLE_1)
	s_or_b32 exec_lo, exec_lo, s24
.LBB270_1587:                           ;   in Loop: Header=BB270_16 Depth=1
	s_delay_alu instid0(SALU_CYCLE_1)
	s_or_b32 exec_lo, exec_lo, s23
	flat_load_b32 v10, v[24:25] offset:2052
	v_mov_b32_e32 v84, 0
	v_mov_b32_e32 v85, 0
	s_mov_b32 s2, exec_lo
	s_waitcnt vmcnt(0) lgkmcnt(0)
	v_and_b32_e32 v2, 0xff, v10
	s_delay_alu instid0(VALU_DEP_2) | instskip(NEXT) | instid1(VALU_DEP_2)
	v_dual_mov_b32 v74, v84 :: v_dual_mov_b32 v75, v85
	v_cmpx_ne_u16_e32 0, v2
	s_cbranch_execz .LBB270_1595
; %bb.1588:                             ;   in Loop: Header=BB270_16 Depth=1
	v_bfrev_b32_e32 v74, 1
	v_mov_b32_e32 v75, 0
	s_mov_b32 s23, exec_lo
	v_cmpx_ne_u16_e32 0x80, v2
	s_cbranch_execz .LBB270_1594
; %bb.1589:                             ;   in Loop: Header=BB270_16 Depth=1
	v_mov_b32_e32 v74, 0x7f800001
	v_dual_mov_b32 v75, 0 :: v_dual_and_b32 v2, 0x7f, v10
	s_mov_b32 s24, exec_lo
	s_delay_alu instid0(VALU_DEP_1)
	v_cmpx_ne_u32_e32 0x7f, v2
	s_cbranch_execz .LBB270_1593
; %bb.1590:                             ;   in Loop: Header=BB270_16 Depth=1
	v_and_b32_e32 v14, 7, v10
	v_lshrrev_b32_e32 v11, 3, v2
	v_cmp_gt_u32_e64 s1, 8, v2
	s_delay_alu instid0(VALU_DEP_3) | instskip(NEXT) | instid1(VALU_DEP_2)
	v_dual_mov_b32 v2, v14 :: v_dual_mov_b32 v3, v15
	s_and_saveexec_b32 s25, s1
; %bb.1591:                             ;   in Loop: Header=BB270_16 Depth=1
	v_clz_i32_u32_e32 v2, v14
	s_delay_alu instid0(VALU_DEP_1) | instskip(NEXT) | instid1(VALU_DEP_1)
	v_min_u32_e32 v11, 32, v2
	v_subrev_nc_u32_e32 v2, 28, v11
	v_sub_nc_u32_e32 v11, 29, v11
	s_delay_alu instid0(VALU_DEP_2) | instskip(NEXT) | instid1(VALU_DEP_1)
	v_lshlrev_b64 v[2:3], v2, v[14:15]
	v_and_b32_e32 v2, 7, v2
; %bb.1592:                             ;   in Loop: Header=BB270_16 Depth=1
	s_or_b32 exec_lo, exec_lo, s25
	v_lshlrev_b32_e32 v3, 24, v10
	s_delay_alu instid0(VALU_DEP_2) | instskip(SKIP_1) | instid1(VALU_DEP_3)
	v_lshlrev_b32_e32 v2, 20, v2
	v_lshl_add_u32 v11, v11, 23, 0x3c000000
	v_and_b32_e32 v3, 0x80000000, v3
	s_delay_alu instid0(VALU_DEP_1) | instskip(NEXT) | instid1(VALU_DEP_1)
	v_or3_b32 v14, v2, v3, v11
	v_dual_mov_b32 v75, v15 :: v_dual_mov_b32 v74, v14
.LBB270_1593:                           ;   in Loop: Header=BB270_16 Depth=1
	s_or_b32 exec_lo, exec_lo, s24
.LBB270_1594:                           ;   in Loop: Header=BB270_16 Depth=1
	s_delay_alu instid0(SALU_CYCLE_1)
	s_or_b32 exec_lo, exec_lo, s23
.LBB270_1595:                           ;   in Loop: Header=BB270_16 Depth=1
	s_delay_alu instid0(SALU_CYCLE_1) | instskip(SKIP_2) | instid1(VALU_DEP_1)
	s_or_b32 exec_lo, exec_lo, s2
	v_lshrrev_b16 v2, 8, v10
	s_mov_b32 s23, exec_lo
	v_cmpx_ne_u16_e32 0, v2
	s_cbranch_execz .LBB270_1603
; %bb.1596:                             ;   in Loop: Header=BB270_16 Depth=1
	v_dual_mov_b32 v85, s9 :: v_dual_mov_b32 v84, s8
	s_mov_b32 s24, exec_lo
	v_cmpx_ne_u16_e32 0x80, v2
	s_cbranch_execz .LBB270_1602
; %bb.1597:                             ;   in Loop: Header=BB270_16 Depth=1
	s_mov_b32 s2, s8
	v_and_b32_e32 v3, 0xffff, v2
	v_dual_mov_b32 v85, s3 :: v_dual_mov_b32 v84, s2
	s_mov_b32 s2, exec_lo
	s_delay_alu instid0(VALU_DEP_2) | instskip(NEXT) | instid1(VALU_DEP_1)
	v_and_b32_e32 v2, 0x7f, v3
	v_cmpx_ne_u32_e32 0x7f, v2
	s_cbranch_execz .LBB270_1601
; %bb.1598:                             ;   in Loop: Header=BB270_16 Depth=1
	v_and_b32_e32 v14, 7, v3
	v_lshrrev_b32_e32 v11, 3, v2
	v_cmp_gt_u32_e64 s1, 8, v2
	s_delay_alu instid0(VALU_DEP_3) | instskip(NEXT) | instid1(VALU_DEP_2)
	v_dual_mov_b32 v2, v14 :: v_dual_mov_b32 v3, v15
	s_and_saveexec_b32 s25, s1
; %bb.1599:                             ;   in Loop: Header=BB270_16 Depth=1
	v_clz_i32_u32_e32 v2, v14
	s_delay_alu instid0(VALU_DEP_1) | instskip(NEXT) | instid1(VALU_DEP_1)
	v_min_u32_e32 v11, 32, v2
	v_subrev_nc_u32_e32 v2, 28, v11
	v_sub_nc_u32_e32 v11, 29, v11
	s_delay_alu instid0(VALU_DEP_2) | instskip(NEXT) | instid1(VALU_DEP_1)
	v_lshlrev_b64 v[2:3], v2, v[14:15]
	v_and_b32_e32 v2, 7, v2
; %bb.1600:                             ;   in Loop: Header=BB270_16 Depth=1
	s_or_b32 exec_lo, exec_lo, s25
	v_dual_mov_b32 v84, v15 :: v_dual_lshlrev_b32 v3, 16, v10
	s_delay_alu instid0(VALU_DEP_2) | instskip(SKIP_1) | instid1(VALU_DEP_3)
	v_lshlrev_b32_e32 v2, 20, v2
	v_lshl_add_u32 v11, v11, 23, 0x3c000000
	v_and_b32_e32 v3, 0x80000000, v3
	s_delay_alu instid0(VALU_DEP_1)
	v_or3_b32 v85, v2, v3, v11
.LBB270_1601:                           ;   in Loop: Header=BB270_16 Depth=1
	s_or_b32 exec_lo, exec_lo, s2
.LBB270_1602:                           ;   in Loop: Header=BB270_16 Depth=1
	s_delay_alu instid0(SALU_CYCLE_1)
	s_or_b32 exec_lo, exec_lo, s24
.LBB270_1603:                           ;   in Loop: Header=BB270_16 Depth=1
	s_delay_alu instid0(SALU_CYCLE_1) | instskip(SKIP_4) | instid1(VALU_DEP_1)
	s_or_b32 exec_lo, exec_lo, s23
	v_mov_b32_e32 v96, 0
	v_lshrrev_b32_e32 v11, 16, v10
	v_mov_b32_e32 v97, 0
	s_mov_b32 s2, exec_lo
	v_dual_mov_b32 v99, v97 :: v_dual_and_b32 v2, 0xff, v11
	v_mov_b32_e32 v98, v96
	s_delay_alu instid0(VALU_DEP_2)
	v_cmpx_ne_u16_e32 0, v2
	s_cbranch_execz .LBB270_1611
; %bb.1604:                             ;   in Loop: Header=BB270_16 Depth=1
	v_bfrev_b32_e32 v98, 1
	v_mov_b32_e32 v99, 0
	s_mov_b32 s23, exec_lo
	v_cmpx_ne_u16_e32 0x80, v2
	s_cbranch_execz .LBB270_1610
; %bb.1605:                             ;   in Loop: Header=BB270_16 Depth=1
	v_mov_b32_e32 v98, 0x7f800001
	v_bfe_u32 v2, v10, 16, 7
	v_mov_b32_e32 v99, 0
	s_mov_b32 s24, exec_lo
	s_delay_alu instid0(VALU_DEP_2)
	v_cmpx_ne_u32_e32 0x7f, v2
	s_cbranch_execz .LBB270_1609
; %bb.1606:                             ;   in Loop: Header=BB270_16 Depth=1
	v_and_b32_e32 v14, 7, v11
	v_lshrrev_b32_e32 v12, 3, v2
	v_cmp_gt_u32_e64 s1, 8, v2
	s_delay_alu instid0(VALU_DEP_3) | instskip(NEXT) | instid1(VALU_DEP_2)
	v_dual_mov_b32 v2, v14 :: v_dual_mov_b32 v3, v15
	s_and_saveexec_b32 s25, s1
; %bb.1607:                             ;   in Loop: Header=BB270_16 Depth=1
	v_clz_i32_u32_e32 v2, v14
	s_delay_alu instid0(VALU_DEP_1) | instskip(NEXT) | instid1(VALU_DEP_1)
	v_min_u32_e32 v12, 32, v2
	v_subrev_nc_u32_e32 v2, 28, v12
	v_sub_nc_u32_e32 v12, 29, v12
	s_delay_alu instid0(VALU_DEP_2) | instskip(NEXT) | instid1(VALU_DEP_1)
	v_lshlrev_b64 v[2:3], v2, v[14:15]
	v_and_b32_e32 v2, 7, v2
; %bb.1608:                             ;   in Loop: Header=BB270_16 Depth=1
	s_or_b32 exec_lo, exec_lo, s25
	v_lshlrev_b32_e32 v3, 24, v11
	s_delay_alu instid0(VALU_DEP_2) | instskip(SKIP_1) | instid1(VALU_DEP_3)
	v_lshlrev_b32_e32 v2, 20, v2
	v_lshl_add_u32 v11, v12, 23, 0x3c000000
	v_and_b32_e32 v3, 0x80000000, v3
	s_delay_alu instid0(VALU_DEP_1) | instskip(NEXT) | instid1(VALU_DEP_1)
	v_or3_b32 v14, v2, v3, v11
	v_dual_mov_b32 v99, v15 :: v_dual_mov_b32 v98, v14
.LBB270_1609:                           ;   in Loop: Header=BB270_16 Depth=1
	s_or_b32 exec_lo, exec_lo, s24
.LBB270_1610:                           ;   in Loop: Header=BB270_16 Depth=1
	s_delay_alu instid0(SALU_CYCLE_1)
	s_or_b32 exec_lo, exec_lo, s23
.LBB270_1611:                           ;   in Loop: Header=BB270_16 Depth=1
	s_delay_alu instid0(SALU_CYCLE_1) | instskip(NEXT) | instid1(SALU_CYCLE_1)
	s_or_b32 exec_lo, exec_lo, s2
	s_mov_b32 s23, exec_lo
	v_cmpx_lt_u32_e32 0xffffff, v10
	s_cbranch_execz .LBB270_1619
; %bb.1612:                             ;   in Loop: Header=BB270_16 Depth=1
	v_lshrrev_b32_e32 v11, 24, v10
	v_dual_mov_b32 v97, s9 :: v_dual_mov_b32 v96, s8
	s_mov_b32 s24, exec_lo
	s_delay_alu instid0(VALU_DEP_2)
	v_cmpx_ne_u32_e32 0x80, v11
	s_cbranch_execz .LBB270_1618
; %bb.1613:                             ;   in Loop: Header=BB270_16 Depth=1
	s_mov_b32 s2, s8
	v_bfe_u32 v2, v10, 24, 7
	v_dual_mov_b32 v97, s3 :: v_dual_mov_b32 v96, s2
	s_mov_b32 s2, exec_lo
	s_delay_alu instid0(VALU_DEP_2)
	v_cmpx_ne_u32_e32 0x7f, v2
	s_cbranch_execz .LBB270_1617
; %bb.1614:                             ;   in Loop: Header=BB270_16 Depth=1
	v_and_b32_e32 v14, 7, v11
	v_lshrrev_b32_e32 v10, 3, v2
	v_cmp_gt_u32_e64 s1, 8, v2
	s_delay_alu instid0(VALU_DEP_3) | instskip(NEXT) | instid1(VALU_DEP_2)
	v_dual_mov_b32 v2, v14 :: v_dual_mov_b32 v3, v15
	s_and_saveexec_b32 s25, s1
; %bb.1615:                             ;   in Loop: Header=BB270_16 Depth=1
	v_clz_i32_u32_e32 v2, v14
	s_delay_alu instid0(VALU_DEP_1) | instskip(NEXT) | instid1(VALU_DEP_1)
	v_min_u32_e32 v10, 32, v2
	v_subrev_nc_u32_e32 v2, 28, v10
	v_sub_nc_u32_e32 v10, 29, v10
	s_delay_alu instid0(VALU_DEP_2) | instskip(NEXT) | instid1(VALU_DEP_1)
	v_lshlrev_b64 v[2:3], v2, v[14:15]
	v_and_b32_e32 v2, 7, v2
; %bb.1616:                             ;   in Loop: Header=BB270_16 Depth=1
	s_or_b32 exec_lo, exec_lo, s25
	v_dual_mov_b32 v96, v15 :: v_dual_lshlrev_b32 v3, 24, v11
	s_delay_alu instid0(VALU_DEP_2) | instskip(SKIP_1) | instid1(VALU_DEP_3)
	v_lshlrev_b32_e32 v2, 20, v2
	v_lshl_add_u32 v10, v10, 23, 0x3c000000
	v_and_b32_e32 v3, 0x80000000, v3
	s_delay_alu instid0(VALU_DEP_1)
	v_or3_b32 v97, v2, v3, v10
.LBB270_1617:                           ;   in Loop: Header=BB270_16 Depth=1
	s_or_b32 exec_lo, exec_lo, s2
.LBB270_1618:                           ;   in Loop: Header=BB270_16 Depth=1
	s_delay_alu instid0(SALU_CYCLE_1)
	s_or_b32 exec_lo, exec_lo, s24
.LBB270_1619:                           ;   in Loop: Header=BB270_16 Depth=1
	s_delay_alu instid0(SALU_CYCLE_1)
	s_or_b32 exec_lo, exec_lo, s23
	flat_load_b32 v10, v[24:25] offset:2056
	v_mov_b32_e32 v102, 0
	v_mov_b32_e32 v103, 0
	s_mov_b32 s2, exec_lo
	s_waitcnt vmcnt(0) lgkmcnt(0)
	v_and_b32_e32 v2, 0xff, v10
	s_delay_alu instid0(VALU_DEP_2) | instskip(NEXT) | instid1(VALU_DEP_2)
	v_dual_mov_b32 v54, v102 :: v_dual_mov_b32 v55, v103
	v_cmpx_ne_u16_e32 0, v2
	s_cbranch_execz .LBB270_1627
; %bb.1620:                             ;   in Loop: Header=BB270_16 Depth=1
	v_bfrev_b32_e32 v54, 1
	v_mov_b32_e32 v55, 0
	s_mov_b32 s23, exec_lo
	v_cmpx_ne_u16_e32 0x80, v2
	s_cbranch_execz .LBB270_1626
; %bb.1621:                             ;   in Loop: Header=BB270_16 Depth=1
	v_mov_b32_e32 v54, 0x7f800001
	v_dual_mov_b32 v55, 0 :: v_dual_and_b32 v2, 0x7f, v10
	s_mov_b32 s24, exec_lo
	s_delay_alu instid0(VALU_DEP_1)
	v_cmpx_ne_u32_e32 0x7f, v2
	s_cbranch_execz .LBB270_1625
; %bb.1622:                             ;   in Loop: Header=BB270_16 Depth=1
	v_and_b32_e32 v14, 7, v10
	v_lshrrev_b32_e32 v11, 3, v2
	v_cmp_gt_u32_e64 s1, 8, v2
	s_delay_alu instid0(VALU_DEP_3) | instskip(NEXT) | instid1(VALU_DEP_2)
	v_dual_mov_b32 v2, v14 :: v_dual_mov_b32 v3, v15
	s_and_saveexec_b32 s25, s1
; %bb.1623:                             ;   in Loop: Header=BB270_16 Depth=1
	v_clz_i32_u32_e32 v2, v14
	s_delay_alu instid0(VALU_DEP_1) | instskip(NEXT) | instid1(VALU_DEP_1)
	v_min_u32_e32 v11, 32, v2
	v_subrev_nc_u32_e32 v2, 28, v11
	v_sub_nc_u32_e32 v11, 29, v11
	s_delay_alu instid0(VALU_DEP_2) | instskip(NEXT) | instid1(VALU_DEP_1)
	v_lshlrev_b64 v[2:3], v2, v[14:15]
	v_and_b32_e32 v2, 7, v2
; %bb.1624:                             ;   in Loop: Header=BB270_16 Depth=1
	s_or_b32 exec_lo, exec_lo, s25
	v_lshlrev_b32_e32 v3, 24, v10
	s_delay_alu instid0(VALU_DEP_2) | instskip(SKIP_1) | instid1(VALU_DEP_3)
	v_lshlrev_b32_e32 v2, 20, v2
	v_lshl_add_u32 v11, v11, 23, 0x3c000000
	v_and_b32_e32 v3, 0x80000000, v3
	s_delay_alu instid0(VALU_DEP_1) | instskip(NEXT) | instid1(VALU_DEP_1)
	v_or3_b32 v14, v2, v3, v11
	v_dual_mov_b32 v55, v15 :: v_dual_mov_b32 v54, v14
.LBB270_1625:                           ;   in Loop: Header=BB270_16 Depth=1
	s_or_b32 exec_lo, exec_lo, s24
.LBB270_1626:                           ;   in Loop: Header=BB270_16 Depth=1
	s_delay_alu instid0(SALU_CYCLE_1)
	s_or_b32 exec_lo, exec_lo, s23
.LBB270_1627:                           ;   in Loop: Header=BB270_16 Depth=1
	s_delay_alu instid0(SALU_CYCLE_1) | instskip(SKIP_2) | instid1(VALU_DEP_1)
	s_or_b32 exec_lo, exec_lo, s2
	v_lshrrev_b16 v2, 8, v10
	s_mov_b32 s23, exec_lo
	v_cmpx_ne_u16_e32 0, v2
	s_cbranch_execz .LBB270_1635
; %bb.1628:                             ;   in Loop: Header=BB270_16 Depth=1
	v_dual_mov_b32 v103, s9 :: v_dual_mov_b32 v102, s8
	s_mov_b32 s24, exec_lo
	v_cmpx_ne_u16_e32 0x80, v2
	s_cbranch_execz .LBB270_1634
; %bb.1629:                             ;   in Loop: Header=BB270_16 Depth=1
	s_mov_b32 s2, s8
	v_and_b32_e32 v3, 0xffff, v2
	v_dual_mov_b32 v103, s3 :: v_dual_mov_b32 v102, s2
	s_mov_b32 s2, exec_lo
	s_delay_alu instid0(VALU_DEP_2) | instskip(NEXT) | instid1(VALU_DEP_1)
	v_and_b32_e32 v2, 0x7f, v3
	v_cmpx_ne_u32_e32 0x7f, v2
	s_cbranch_execz .LBB270_1633
; %bb.1630:                             ;   in Loop: Header=BB270_16 Depth=1
	v_and_b32_e32 v14, 7, v3
	v_lshrrev_b32_e32 v11, 3, v2
	v_cmp_gt_u32_e64 s1, 8, v2
	s_delay_alu instid0(VALU_DEP_3) | instskip(NEXT) | instid1(VALU_DEP_2)
	v_dual_mov_b32 v2, v14 :: v_dual_mov_b32 v3, v15
	s_and_saveexec_b32 s25, s1
; %bb.1631:                             ;   in Loop: Header=BB270_16 Depth=1
	v_clz_i32_u32_e32 v2, v14
	s_delay_alu instid0(VALU_DEP_1) | instskip(NEXT) | instid1(VALU_DEP_1)
	v_min_u32_e32 v11, 32, v2
	v_subrev_nc_u32_e32 v2, 28, v11
	v_sub_nc_u32_e32 v11, 29, v11
	s_delay_alu instid0(VALU_DEP_2) | instskip(NEXT) | instid1(VALU_DEP_1)
	v_lshlrev_b64 v[2:3], v2, v[14:15]
	v_and_b32_e32 v2, 7, v2
; %bb.1632:                             ;   in Loop: Header=BB270_16 Depth=1
	s_or_b32 exec_lo, exec_lo, s25
	v_dual_mov_b32 v102, v15 :: v_dual_lshlrev_b32 v3, 16, v10
	s_delay_alu instid0(VALU_DEP_2) | instskip(SKIP_1) | instid1(VALU_DEP_3)
	v_lshlrev_b32_e32 v2, 20, v2
	v_lshl_add_u32 v11, v11, 23, 0x3c000000
	v_and_b32_e32 v3, 0x80000000, v3
	s_delay_alu instid0(VALU_DEP_1)
	v_or3_b32 v103, v2, v3, v11
.LBB270_1633:                           ;   in Loop: Header=BB270_16 Depth=1
	s_or_b32 exec_lo, exec_lo, s2
.LBB270_1634:                           ;   in Loop: Header=BB270_16 Depth=1
	s_delay_alu instid0(SALU_CYCLE_1)
	s_or_b32 exec_lo, exec_lo, s24
.LBB270_1635:                           ;   in Loop: Header=BB270_16 Depth=1
	s_delay_alu instid0(SALU_CYCLE_1) | instskip(SKIP_4) | instid1(VALU_DEP_2)
	s_or_b32 exec_lo, exec_lo, s23
	v_mov_b32_e32 v80, 0
	v_lshrrev_b32_e32 v11, 16, v10
	v_mov_b32_e32 v81, 0
	s_mov_b32 s2, exec_lo
	v_and_b32_e32 v2, 0xff, v11
	s_delay_alu instid0(VALU_DEP_2) | instskip(NEXT) | instid1(VALU_DEP_2)
	v_dual_mov_b32 v22, v80 :: v_dual_mov_b32 v23, v81
	v_cmpx_ne_u16_e32 0, v2
	s_cbranch_execz .LBB270_1643
; %bb.1636:                             ;   in Loop: Header=BB270_16 Depth=1
	v_bfrev_b32_e32 v22, 1
	v_mov_b32_e32 v23, 0
	s_mov_b32 s23, exec_lo
	v_cmpx_ne_u16_e32 0x80, v2
	s_cbranch_execz .LBB270_1642
; %bb.1637:                             ;   in Loop: Header=BB270_16 Depth=1
	v_mov_b32_e32 v22, 0x7f800001
	v_bfe_u32 v2, v10, 16, 7
	v_mov_b32_e32 v23, 0
	s_mov_b32 s24, exec_lo
	s_delay_alu instid0(VALU_DEP_2)
	v_cmpx_ne_u32_e32 0x7f, v2
	s_cbranch_execz .LBB270_1641
; %bb.1638:                             ;   in Loop: Header=BB270_16 Depth=1
	v_and_b32_e32 v14, 7, v11
	v_lshrrev_b32_e32 v12, 3, v2
	v_cmp_gt_u32_e64 s1, 8, v2
	s_delay_alu instid0(VALU_DEP_3) | instskip(NEXT) | instid1(VALU_DEP_2)
	v_dual_mov_b32 v2, v14 :: v_dual_mov_b32 v3, v15
	s_and_saveexec_b32 s25, s1
; %bb.1639:                             ;   in Loop: Header=BB270_16 Depth=1
	v_clz_i32_u32_e32 v2, v14
	s_delay_alu instid0(VALU_DEP_1) | instskip(NEXT) | instid1(VALU_DEP_1)
	v_min_u32_e32 v12, 32, v2
	v_subrev_nc_u32_e32 v2, 28, v12
	v_sub_nc_u32_e32 v12, 29, v12
	s_delay_alu instid0(VALU_DEP_2) | instskip(NEXT) | instid1(VALU_DEP_1)
	v_lshlrev_b64 v[2:3], v2, v[14:15]
	v_and_b32_e32 v2, 7, v2
; %bb.1640:                             ;   in Loop: Header=BB270_16 Depth=1
	s_or_b32 exec_lo, exec_lo, s25
	v_lshlrev_b32_e32 v3, 24, v11
	s_delay_alu instid0(VALU_DEP_2) | instskip(SKIP_1) | instid1(VALU_DEP_3)
	v_lshlrev_b32_e32 v2, 20, v2
	v_lshl_add_u32 v11, v12, 23, 0x3c000000
	v_and_b32_e32 v3, 0x80000000, v3
	s_delay_alu instid0(VALU_DEP_1) | instskip(NEXT) | instid1(VALU_DEP_1)
	v_or3_b32 v14, v2, v3, v11
	v_dual_mov_b32 v23, v15 :: v_dual_mov_b32 v22, v14
.LBB270_1641:                           ;   in Loop: Header=BB270_16 Depth=1
	s_or_b32 exec_lo, exec_lo, s24
.LBB270_1642:                           ;   in Loop: Header=BB270_16 Depth=1
	s_delay_alu instid0(SALU_CYCLE_1)
	s_or_b32 exec_lo, exec_lo, s23
.LBB270_1643:                           ;   in Loop: Header=BB270_16 Depth=1
	s_delay_alu instid0(SALU_CYCLE_1) | instskip(NEXT) | instid1(SALU_CYCLE_1)
	s_or_b32 exec_lo, exec_lo, s2
	s_mov_b32 s23, exec_lo
	v_cmpx_lt_u32_e32 0xffffff, v10
	s_cbranch_execz .LBB270_1651
; %bb.1644:                             ;   in Loop: Header=BB270_16 Depth=1
	v_lshrrev_b32_e32 v11, 24, v10
	v_dual_mov_b32 v81, s9 :: v_dual_mov_b32 v80, s8
	s_mov_b32 s24, exec_lo
	s_delay_alu instid0(VALU_DEP_2)
	v_cmpx_ne_u32_e32 0x80, v11
	s_cbranch_execz .LBB270_1650
; %bb.1645:                             ;   in Loop: Header=BB270_16 Depth=1
	s_mov_b32 s2, s8
	v_bfe_u32 v2, v10, 24, 7
	v_dual_mov_b32 v81, s3 :: v_dual_mov_b32 v80, s2
	s_mov_b32 s2, exec_lo
	s_delay_alu instid0(VALU_DEP_2)
	v_cmpx_ne_u32_e32 0x7f, v2
	s_cbranch_execz .LBB270_1649
; %bb.1646:                             ;   in Loop: Header=BB270_16 Depth=1
	v_and_b32_e32 v14, 7, v11
	v_lshrrev_b32_e32 v10, 3, v2
	v_cmp_gt_u32_e64 s1, 8, v2
	s_delay_alu instid0(VALU_DEP_3) | instskip(NEXT) | instid1(VALU_DEP_2)
	v_dual_mov_b32 v2, v14 :: v_dual_mov_b32 v3, v15
	s_and_saveexec_b32 s25, s1
; %bb.1647:                             ;   in Loop: Header=BB270_16 Depth=1
	v_clz_i32_u32_e32 v2, v14
	s_delay_alu instid0(VALU_DEP_1) | instskip(NEXT) | instid1(VALU_DEP_1)
	v_min_u32_e32 v10, 32, v2
	v_subrev_nc_u32_e32 v2, 28, v10
	v_sub_nc_u32_e32 v10, 29, v10
	s_delay_alu instid0(VALU_DEP_2) | instskip(NEXT) | instid1(VALU_DEP_1)
	v_lshlrev_b64 v[2:3], v2, v[14:15]
	v_and_b32_e32 v2, 7, v2
; %bb.1648:                             ;   in Loop: Header=BB270_16 Depth=1
	s_or_b32 exec_lo, exec_lo, s25
	v_dual_mov_b32 v80, v15 :: v_dual_lshlrev_b32 v3, 24, v11
	s_delay_alu instid0(VALU_DEP_2) | instskip(SKIP_1) | instid1(VALU_DEP_3)
	v_lshlrev_b32_e32 v2, 20, v2
	v_lshl_add_u32 v10, v10, 23, 0x3c000000
	v_and_b32_e32 v3, 0x80000000, v3
	s_delay_alu instid0(VALU_DEP_1)
	v_or3_b32 v81, v2, v3, v10
.LBB270_1649:                           ;   in Loop: Header=BB270_16 Depth=1
	s_or_b32 exec_lo, exec_lo, s2
.LBB270_1650:                           ;   in Loop: Header=BB270_16 Depth=1
	s_delay_alu instid0(SALU_CYCLE_1)
	s_or_b32 exec_lo, exec_lo, s24
.LBB270_1651:                           ;   in Loop: Header=BB270_16 Depth=1
	s_delay_alu instid0(SALU_CYCLE_1)
	s_or_b32 exec_lo, exec_lo, s23
	flat_load_b32 v10, v[24:25] offset:2060
	v_mov_b32_e32 v130, 0
	v_mov_b32_e32 v131, 0
	s_mov_b32 s2, exec_lo
	s_waitcnt vmcnt(0) lgkmcnt(0)
	s_delay_alu instid0(VALU_DEP_1) | instskip(SKIP_1) | instid1(VALU_DEP_2)
	v_dual_mov_b32 v147, v131 :: v_dual_and_b32 v2, 0xff, v10
	v_mov_b32_e32 v146, v130
	v_cmpx_ne_u16_e32 0, v2
	s_cbranch_execz .LBB270_1659
; %bb.1652:                             ;   in Loop: Header=BB270_16 Depth=1
	v_bfrev_b32_e32 v146, 1
	v_mov_b32_e32 v147, 0
	s_mov_b32 s23, exec_lo
	v_cmpx_ne_u16_e32 0x80, v2
	s_cbranch_execz .LBB270_1658
; %bb.1653:                             ;   in Loop: Header=BB270_16 Depth=1
	v_mov_b32_e32 v146, 0x7f800001
	v_dual_mov_b32 v147, 0 :: v_dual_and_b32 v2, 0x7f, v10
	s_mov_b32 s24, exec_lo
	s_delay_alu instid0(VALU_DEP_1)
	v_cmpx_ne_u32_e32 0x7f, v2
	s_cbranch_execz .LBB270_1657
; %bb.1654:                             ;   in Loop: Header=BB270_16 Depth=1
	v_and_b32_e32 v14, 7, v10
	v_lshrrev_b32_e32 v11, 3, v2
	v_cmp_gt_u32_e64 s1, 8, v2
	s_delay_alu instid0(VALU_DEP_3) | instskip(NEXT) | instid1(VALU_DEP_2)
	v_dual_mov_b32 v2, v14 :: v_dual_mov_b32 v3, v15
	s_and_saveexec_b32 s25, s1
; %bb.1655:                             ;   in Loop: Header=BB270_16 Depth=1
	v_clz_i32_u32_e32 v2, v14
	s_delay_alu instid0(VALU_DEP_1) | instskip(NEXT) | instid1(VALU_DEP_1)
	v_min_u32_e32 v11, 32, v2
	v_subrev_nc_u32_e32 v2, 28, v11
	v_sub_nc_u32_e32 v11, 29, v11
	s_delay_alu instid0(VALU_DEP_2) | instskip(NEXT) | instid1(VALU_DEP_1)
	v_lshlrev_b64 v[2:3], v2, v[14:15]
	v_and_b32_e32 v2, 7, v2
; %bb.1656:                             ;   in Loop: Header=BB270_16 Depth=1
	s_or_b32 exec_lo, exec_lo, s25
	v_lshlrev_b32_e32 v3, 24, v10
	s_delay_alu instid0(VALU_DEP_2) | instskip(SKIP_1) | instid1(VALU_DEP_3)
	v_lshlrev_b32_e32 v2, 20, v2
	v_lshl_add_u32 v11, v11, 23, 0x3c000000
	v_and_b32_e32 v3, 0x80000000, v3
	s_delay_alu instid0(VALU_DEP_1) | instskip(NEXT) | instid1(VALU_DEP_1)
	v_or3_b32 v14, v2, v3, v11
	v_dual_mov_b32 v147, v15 :: v_dual_mov_b32 v146, v14
.LBB270_1657:                           ;   in Loop: Header=BB270_16 Depth=1
	s_or_b32 exec_lo, exec_lo, s24
.LBB270_1658:                           ;   in Loop: Header=BB270_16 Depth=1
	s_delay_alu instid0(SALU_CYCLE_1)
	s_or_b32 exec_lo, exec_lo, s23
.LBB270_1659:                           ;   in Loop: Header=BB270_16 Depth=1
	s_delay_alu instid0(SALU_CYCLE_1) | instskip(SKIP_2) | instid1(VALU_DEP_1)
	s_or_b32 exec_lo, exec_lo, s2
	v_lshrrev_b16 v2, 8, v10
	s_mov_b32 s23, exec_lo
	v_cmpx_ne_u16_e32 0, v2
	s_cbranch_execz .LBB270_1667
; %bb.1660:                             ;   in Loop: Header=BB270_16 Depth=1
	v_dual_mov_b32 v131, s9 :: v_dual_mov_b32 v130, s8
	s_mov_b32 s24, exec_lo
	v_cmpx_ne_u16_e32 0x80, v2
	s_cbranch_execz .LBB270_1666
; %bb.1661:                             ;   in Loop: Header=BB270_16 Depth=1
	s_mov_b32 s2, s8
	v_and_b32_e32 v3, 0xffff, v2
	v_dual_mov_b32 v131, s3 :: v_dual_mov_b32 v130, s2
	s_mov_b32 s2, exec_lo
	s_delay_alu instid0(VALU_DEP_2) | instskip(NEXT) | instid1(VALU_DEP_1)
	v_and_b32_e32 v2, 0x7f, v3
	v_cmpx_ne_u32_e32 0x7f, v2
	s_cbranch_execz .LBB270_1665
; %bb.1662:                             ;   in Loop: Header=BB270_16 Depth=1
	v_and_b32_e32 v14, 7, v3
	v_lshrrev_b32_e32 v11, 3, v2
	v_cmp_gt_u32_e64 s1, 8, v2
	s_delay_alu instid0(VALU_DEP_3) | instskip(NEXT) | instid1(VALU_DEP_2)
	v_dual_mov_b32 v2, v14 :: v_dual_mov_b32 v3, v15
	s_and_saveexec_b32 s25, s1
; %bb.1663:                             ;   in Loop: Header=BB270_16 Depth=1
	v_clz_i32_u32_e32 v2, v14
	s_delay_alu instid0(VALU_DEP_1) | instskip(NEXT) | instid1(VALU_DEP_1)
	v_min_u32_e32 v11, 32, v2
	v_subrev_nc_u32_e32 v2, 28, v11
	v_sub_nc_u32_e32 v11, 29, v11
	s_delay_alu instid0(VALU_DEP_2) | instskip(NEXT) | instid1(VALU_DEP_1)
	v_lshlrev_b64 v[2:3], v2, v[14:15]
	v_and_b32_e32 v2, 7, v2
; %bb.1664:                             ;   in Loop: Header=BB270_16 Depth=1
	s_or_b32 exec_lo, exec_lo, s25
	v_dual_mov_b32 v130, v15 :: v_dual_lshlrev_b32 v3, 16, v10
	s_delay_alu instid0(VALU_DEP_2) | instskip(SKIP_1) | instid1(VALU_DEP_3)
	v_lshlrev_b32_e32 v2, 20, v2
	v_lshl_add_u32 v11, v11, 23, 0x3c000000
	v_and_b32_e32 v3, 0x80000000, v3
	s_delay_alu instid0(VALU_DEP_1)
	v_or3_b32 v131, v2, v3, v11
.LBB270_1665:                           ;   in Loop: Header=BB270_16 Depth=1
	s_or_b32 exec_lo, exec_lo, s2
.LBB270_1666:                           ;   in Loop: Header=BB270_16 Depth=1
	s_delay_alu instid0(SALU_CYCLE_1)
	s_or_b32 exec_lo, exec_lo, s24
.LBB270_1667:                           ;   in Loop: Header=BB270_16 Depth=1
	s_delay_alu instid0(SALU_CYCLE_1) | instskip(SKIP_4) | instid1(VALU_DEP_1)
	s_or_b32 exec_lo, exec_lo, s23
	v_mov_b32_e32 v148, 0
	v_lshrrev_b32_e32 v11, 16, v10
	v_mov_b32_e32 v149, 0
	s_mov_b32 s2, exec_lo
	v_dual_mov_b32 v177, v149 :: v_dual_and_b32 v2, 0xff, v11
	v_mov_b32_e32 v176, v148
	s_delay_alu instid0(VALU_DEP_2)
	v_cmpx_ne_u16_e32 0, v2
	s_cbranch_execz .LBB270_1675
; %bb.1668:                             ;   in Loop: Header=BB270_16 Depth=1
	v_bfrev_b32_e32 v176, 1
	v_mov_b32_e32 v177, 0
	s_mov_b32 s23, exec_lo
	v_cmpx_ne_u16_e32 0x80, v2
	s_cbranch_execz .LBB270_1674
; %bb.1669:                             ;   in Loop: Header=BB270_16 Depth=1
	v_mov_b32_e32 v176, 0x7f800001
	v_bfe_u32 v2, v10, 16, 7
	v_mov_b32_e32 v177, 0
	s_mov_b32 s24, exec_lo
	s_delay_alu instid0(VALU_DEP_2)
	v_cmpx_ne_u32_e32 0x7f, v2
	s_cbranch_execz .LBB270_1673
; %bb.1670:                             ;   in Loop: Header=BB270_16 Depth=1
	v_and_b32_e32 v14, 7, v11
	v_lshrrev_b32_e32 v12, 3, v2
	v_cmp_gt_u32_e64 s1, 8, v2
	s_delay_alu instid0(VALU_DEP_3) | instskip(NEXT) | instid1(VALU_DEP_2)
	v_dual_mov_b32 v2, v14 :: v_dual_mov_b32 v3, v15
	s_and_saveexec_b32 s25, s1
; %bb.1671:                             ;   in Loop: Header=BB270_16 Depth=1
	v_clz_i32_u32_e32 v2, v14
	s_delay_alu instid0(VALU_DEP_1) | instskip(NEXT) | instid1(VALU_DEP_1)
	v_min_u32_e32 v12, 32, v2
	v_subrev_nc_u32_e32 v2, 28, v12
	v_sub_nc_u32_e32 v12, 29, v12
	s_delay_alu instid0(VALU_DEP_2) | instskip(NEXT) | instid1(VALU_DEP_1)
	v_lshlrev_b64 v[2:3], v2, v[14:15]
	v_and_b32_e32 v2, 7, v2
; %bb.1672:                             ;   in Loop: Header=BB270_16 Depth=1
	s_or_b32 exec_lo, exec_lo, s25
	v_lshlrev_b32_e32 v3, 24, v11
	s_delay_alu instid0(VALU_DEP_2) | instskip(SKIP_1) | instid1(VALU_DEP_3)
	v_lshlrev_b32_e32 v2, 20, v2
	v_lshl_add_u32 v11, v12, 23, 0x3c000000
	v_and_b32_e32 v3, 0x80000000, v3
	s_delay_alu instid0(VALU_DEP_1) | instskip(NEXT) | instid1(VALU_DEP_1)
	v_or3_b32 v14, v2, v3, v11
	v_dual_mov_b32 v177, v15 :: v_dual_mov_b32 v176, v14
.LBB270_1673:                           ;   in Loop: Header=BB270_16 Depth=1
	s_or_b32 exec_lo, exec_lo, s24
.LBB270_1674:                           ;   in Loop: Header=BB270_16 Depth=1
	s_delay_alu instid0(SALU_CYCLE_1)
	s_or_b32 exec_lo, exec_lo, s23
.LBB270_1675:                           ;   in Loop: Header=BB270_16 Depth=1
	s_delay_alu instid0(SALU_CYCLE_1) | instskip(NEXT) | instid1(SALU_CYCLE_1)
	s_or_b32 exec_lo, exec_lo, s2
	s_mov_b32 s23, exec_lo
	v_cmpx_lt_u32_e32 0xffffff, v10
	s_cbranch_execz .LBB270_1683
; %bb.1676:                             ;   in Loop: Header=BB270_16 Depth=1
	v_lshrrev_b32_e32 v11, 24, v10
	v_dual_mov_b32 v149, s9 :: v_dual_mov_b32 v148, s8
	s_mov_b32 s24, exec_lo
	s_delay_alu instid0(VALU_DEP_2)
	v_cmpx_ne_u32_e32 0x80, v11
	s_cbranch_execz .LBB270_1682
; %bb.1677:                             ;   in Loop: Header=BB270_16 Depth=1
	s_mov_b32 s2, s8
	v_bfe_u32 v2, v10, 24, 7
	v_dual_mov_b32 v149, s3 :: v_dual_mov_b32 v148, s2
	s_mov_b32 s2, exec_lo
	s_delay_alu instid0(VALU_DEP_2)
	v_cmpx_ne_u32_e32 0x7f, v2
	s_cbranch_execz .LBB270_1681
; %bb.1678:                             ;   in Loop: Header=BB270_16 Depth=1
	v_and_b32_e32 v14, 7, v11
	v_lshrrev_b32_e32 v10, 3, v2
	v_cmp_gt_u32_e64 s1, 8, v2
	s_delay_alu instid0(VALU_DEP_3) | instskip(NEXT) | instid1(VALU_DEP_2)
	v_dual_mov_b32 v2, v14 :: v_dual_mov_b32 v3, v15
	s_and_saveexec_b32 s25, s1
; %bb.1679:                             ;   in Loop: Header=BB270_16 Depth=1
	v_clz_i32_u32_e32 v2, v14
	s_delay_alu instid0(VALU_DEP_1) | instskip(NEXT) | instid1(VALU_DEP_1)
	v_min_u32_e32 v10, 32, v2
	v_subrev_nc_u32_e32 v2, 28, v10
	v_sub_nc_u32_e32 v10, 29, v10
	s_delay_alu instid0(VALU_DEP_2) | instskip(NEXT) | instid1(VALU_DEP_1)
	v_lshlrev_b64 v[2:3], v2, v[14:15]
	v_and_b32_e32 v2, 7, v2
; %bb.1680:                             ;   in Loop: Header=BB270_16 Depth=1
	s_or_b32 exec_lo, exec_lo, s25
	v_dual_mov_b32 v148, v15 :: v_dual_lshlrev_b32 v3, 24, v11
	s_delay_alu instid0(VALU_DEP_2) | instskip(SKIP_1) | instid1(VALU_DEP_3)
	v_lshlrev_b32_e32 v2, 20, v2
	v_lshl_add_u32 v10, v10, 23, 0x3c000000
	v_and_b32_e32 v3, 0x80000000, v3
	s_delay_alu instid0(VALU_DEP_1)
	v_or3_b32 v149, v2, v3, v10
.LBB270_1681:                           ;   in Loop: Header=BB270_16 Depth=1
	s_or_b32 exec_lo, exec_lo, s2
.LBB270_1682:                           ;   in Loop: Header=BB270_16 Depth=1
	s_delay_alu instid0(SALU_CYCLE_1)
	s_or_b32 exec_lo, exec_lo, s24
.LBB270_1683:                           ;   in Loop: Header=BB270_16 Depth=1
	s_delay_alu instid0(SALU_CYCLE_1)
	s_or_b32 exec_lo, exec_lo, s23
	flat_load_b32 v10, v[24:25] offset:2560
	v_mov_b32_e32 v118, 0
	v_mov_b32_e32 v119, 0
	s_mov_b32 s2, exec_lo
	s_waitcnt vmcnt(0) lgkmcnt(0)
	s_delay_alu instid0(VALU_DEP_1) | instskip(SKIP_1) | instid1(VALU_DEP_2)
	v_dual_mov_b32 v151, v119 :: v_dual_and_b32 v2, 0xff, v10
	v_mov_b32_e32 v150, v118
	v_cmpx_ne_u16_e32 0, v2
	s_cbranch_execz .LBB270_1691
; %bb.1684:                             ;   in Loop: Header=BB270_16 Depth=1
	v_bfrev_b32_e32 v150, 1
	v_mov_b32_e32 v151, 0
	s_mov_b32 s23, exec_lo
	v_cmpx_ne_u16_e32 0x80, v2
	s_cbranch_execz .LBB270_1690
; %bb.1685:                             ;   in Loop: Header=BB270_16 Depth=1
	v_mov_b32_e32 v150, 0x7f800001
	v_dual_mov_b32 v151, 0 :: v_dual_and_b32 v2, 0x7f, v10
	s_mov_b32 s24, exec_lo
	s_delay_alu instid0(VALU_DEP_1)
	v_cmpx_ne_u32_e32 0x7f, v2
	s_cbranch_execz .LBB270_1689
; %bb.1686:                             ;   in Loop: Header=BB270_16 Depth=1
	v_and_b32_e32 v14, 7, v10
	v_lshrrev_b32_e32 v11, 3, v2
	v_cmp_gt_u32_e64 s1, 8, v2
	s_delay_alu instid0(VALU_DEP_3) | instskip(NEXT) | instid1(VALU_DEP_2)
	v_dual_mov_b32 v2, v14 :: v_dual_mov_b32 v3, v15
	s_and_saveexec_b32 s25, s1
; %bb.1687:                             ;   in Loop: Header=BB270_16 Depth=1
	v_clz_i32_u32_e32 v2, v14
	s_delay_alu instid0(VALU_DEP_1) | instskip(NEXT) | instid1(VALU_DEP_1)
	v_min_u32_e32 v11, 32, v2
	v_subrev_nc_u32_e32 v2, 28, v11
	v_sub_nc_u32_e32 v11, 29, v11
	s_delay_alu instid0(VALU_DEP_2) | instskip(NEXT) | instid1(VALU_DEP_1)
	v_lshlrev_b64 v[2:3], v2, v[14:15]
	v_and_b32_e32 v2, 7, v2
; %bb.1688:                             ;   in Loop: Header=BB270_16 Depth=1
	s_or_b32 exec_lo, exec_lo, s25
	v_lshlrev_b32_e32 v3, 24, v10
	s_delay_alu instid0(VALU_DEP_2) | instskip(SKIP_1) | instid1(VALU_DEP_3)
	v_lshlrev_b32_e32 v2, 20, v2
	v_lshl_add_u32 v11, v11, 23, 0x3c000000
	v_and_b32_e32 v3, 0x80000000, v3
	s_delay_alu instid0(VALU_DEP_1) | instskip(NEXT) | instid1(VALU_DEP_1)
	v_or3_b32 v14, v2, v3, v11
	v_dual_mov_b32 v151, v15 :: v_dual_mov_b32 v150, v14
.LBB270_1689:                           ;   in Loop: Header=BB270_16 Depth=1
	s_or_b32 exec_lo, exec_lo, s24
.LBB270_1690:                           ;   in Loop: Header=BB270_16 Depth=1
	s_delay_alu instid0(SALU_CYCLE_1)
	s_or_b32 exec_lo, exec_lo, s23
.LBB270_1691:                           ;   in Loop: Header=BB270_16 Depth=1
	s_delay_alu instid0(SALU_CYCLE_1) | instskip(SKIP_2) | instid1(VALU_DEP_1)
	s_or_b32 exec_lo, exec_lo, s2
	v_lshrrev_b16 v2, 8, v10
	s_mov_b32 s23, exec_lo
	v_cmpx_ne_u16_e32 0, v2
	s_cbranch_execz .LBB270_1699
; %bb.1692:                             ;   in Loop: Header=BB270_16 Depth=1
	v_dual_mov_b32 v119, s9 :: v_dual_mov_b32 v118, s8
	s_mov_b32 s24, exec_lo
	v_cmpx_ne_u16_e32 0x80, v2
	s_cbranch_execz .LBB270_1698
; %bb.1693:                             ;   in Loop: Header=BB270_16 Depth=1
	s_mov_b32 s2, s8
	v_and_b32_e32 v3, 0xffff, v2
	v_dual_mov_b32 v119, s3 :: v_dual_mov_b32 v118, s2
	s_mov_b32 s2, exec_lo
	s_delay_alu instid0(VALU_DEP_2) | instskip(NEXT) | instid1(VALU_DEP_1)
	v_and_b32_e32 v2, 0x7f, v3
	v_cmpx_ne_u32_e32 0x7f, v2
	s_cbranch_execz .LBB270_1697
; %bb.1694:                             ;   in Loop: Header=BB270_16 Depth=1
	v_and_b32_e32 v14, 7, v3
	v_lshrrev_b32_e32 v11, 3, v2
	v_cmp_gt_u32_e64 s1, 8, v2
	s_delay_alu instid0(VALU_DEP_3) | instskip(NEXT) | instid1(VALU_DEP_2)
	v_dual_mov_b32 v2, v14 :: v_dual_mov_b32 v3, v15
	s_and_saveexec_b32 s25, s1
; %bb.1695:                             ;   in Loop: Header=BB270_16 Depth=1
	v_clz_i32_u32_e32 v2, v14
	s_delay_alu instid0(VALU_DEP_1) | instskip(NEXT) | instid1(VALU_DEP_1)
	v_min_u32_e32 v11, 32, v2
	v_subrev_nc_u32_e32 v2, 28, v11
	v_sub_nc_u32_e32 v11, 29, v11
	s_delay_alu instid0(VALU_DEP_2) | instskip(NEXT) | instid1(VALU_DEP_1)
	v_lshlrev_b64 v[2:3], v2, v[14:15]
	v_and_b32_e32 v2, 7, v2
; %bb.1696:                             ;   in Loop: Header=BB270_16 Depth=1
	s_or_b32 exec_lo, exec_lo, s25
	v_dual_mov_b32 v118, v15 :: v_dual_lshlrev_b32 v3, 16, v10
	s_delay_alu instid0(VALU_DEP_2) | instskip(SKIP_1) | instid1(VALU_DEP_3)
	v_lshlrev_b32_e32 v2, 20, v2
	v_lshl_add_u32 v11, v11, 23, 0x3c000000
	v_and_b32_e32 v3, 0x80000000, v3
	s_delay_alu instid0(VALU_DEP_1)
	v_or3_b32 v119, v2, v3, v11
.LBB270_1697:                           ;   in Loop: Header=BB270_16 Depth=1
	s_or_b32 exec_lo, exec_lo, s2
.LBB270_1698:                           ;   in Loop: Header=BB270_16 Depth=1
	s_delay_alu instid0(SALU_CYCLE_1)
	s_or_b32 exec_lo, exec_lo, s24
.LBB270_1699:                           ;   in Loop: Header=BB270_16 Depth=1
	s_delay_alu instid0(SALU_CYCLE_1) | instskip(SKIP_4) | instid1(VALU_DEP_2)
	s_or_b32 exec_lo, exec_lo, s23
	v_mov_b32_e32 v82, 0
	v_lshrrev_b32_e32 v11, 16, v10
	v_mov_b32_e32 v83, 0
	s_mov_b32 s2, exec_lo
	v_and_b32_e32 v2, 0xff, v11
	s_delay_alu instid0(VALU_DEP_2) | instskip(NEXT) | instid1(VALU_DEP_2)
	v_dual_mov_b32 v38, v82 :: v_dual_mov_b32 v39, v83
	v_cmpx_ne_u16_e32 0, v2
	s_cbranch_execz .LBB270_1707
; %bb.1700:                             ;   in Loop: Header=BB270_16 Depth=1
	v_bfrev_b32_e32 v38, 1
	v_mov_b32_e32 v39, 0
	s_mov_b32 s23, exec_lo
	v_cmpx_ne_u16_e32 0x80, v2
	s_cbranch_execz .LBB270_1706
; %bb.1701:                             ;   in Loop: Header=BB270_16 Depth=1
	v_mov_b32_e32 v38, 0x7f800001
	v_bfe_u32 v2, v10, 16, 7
	v_mov_b32_e32 v39, 0
	s_mov_b32 s24, exec_lo
	s_delay_alu instid0(VALU_DEP_2)
	v_cmpx_ne_u32_e32 0x7f, v2
	s_cbranch_execz .LBB270_1705
; %bb.1702:                             ;   in Loop: Header=BB270_16 Depth=1
	v_and_b32_e32 v14, 7, v11
	v_lshrrev_b32_e32 v12, 3, v2
	v_cmp_gt_u32_e64 s1, 8, v2
	s_delay_alu instid0(VALU_DEP_3) | instskip(NEXT) | instid1(VALU_DEP_2)
	v_dual_mov_b32 v2, v14 :: v_dual_mov_b32 v3, v15
	s_and_saveexec_b32 s25, s1
; %bb.1703:                             ;   in Loop: Header=BB270_16 Depth=1
	v_clz_i32_u32_e32 v2, v14
	s_delay_alu instid0(VALU_DEP_1) | instskip(NEXT) | instid1(VALU_DEP_1)
	v_min_u32_e32 v12, 32, v2
	v_subrev_nc_u32_e32 v2, 28, v12
	v_sub_nc_u32_e32 v12, 29, v12
	s_delay_alu instid0(VALU_DEP_2) | instskip(NEXT) | instid1(VALU_DEP_1)
	v_lshlrev_b64 v[2:3], v2, v[14:15]
	v_and_b32_e32 v2, 7, v2
; %bb.1704:                             ;   in Loop: Header=BB270_16 Depth=1
	s_or_b32 exec_lo, exec_lo, s25
	v_lshlrev_b32_e32 v3, 24, v11
	s_delay_alu instid0(VALU_DEP_2) | instskip(SKIP_1) | instid1(VALU_DEP_3)
	v_lshlrev_b32_e32 v2, 20, v2
	v_lshl_add_u32 v11, v12, 23, 0x3c000000
	v_and_b32_e32 v3, 0x80000000, v3
	s_delay_alu instid0(VALU_DEP_1) | instskip(NEXT) | instid1(VALU_DEP_1)
	v_or3_b32 v14, v2, v3, v11
	v_dual_mov_b32 v39, v15 :: v_dual_mov_b32 v38, v14
.LBB270_1705:                           ;   in Loop: Header=BB270_16 Depth=1
	s_or_b32 exec_lo, exec_lo, s24
.LBB270_1706:                           ;   in Loop: Header=BB270_16 Depth=1
	s_delay_alu instid0(SALU_CYCLE_1)
	s_or_b32 exec_lo, exec_lo, s23
.LBB270_1707:                           ;   in Loop: Header=BB270_16 Depth=1
	s_delay_alu instid0(SALU_CYCLE_1) | instskip(NEXT) | instid1(SALU_CYCLE_1)
	s_or_b32 exec_lo, exec_lo, s2
	s_mov_b32 s23, exec_lo
	v_cmpx_lt_u32_e32 0xffffff, v10
	s_cbranch_execz .LBB270_1715
; %bb.1708:                             ;   in Loop: Header=BB270_16 Depth=1
	v_lshrrev_b32_e32 v11, 24, v10
	v_dual_mov_b32 v83, s9 :: v_dual_mov_b32 v82, s8
	s_mov_b32 s24, exec_lo
	s_delay_alu instid0(VALU_DEP_2)
	v_cmpx_ne_u32_e32 0x80, v11
	s_cbranch_execz .LBB270_1714
; %bb.1709:                             ;   in Loop: Header=BB270_16 Depth=1
	s_mov_b32 s2, s8
	v_bfe_u32 v2, v10, 24, 7
	v_dual_mov_b32 v83, s3 :: v_dual_mov_b32 v82, s2
	s_mov_b32 s2, exec_lo
	s_delay_alu instid0(VALU_DEP_2)
	v_cmpx_ne_u32_e32 0x7f, v2
	s_cbranch_execz .LBB270_1713
; %bb.1710:                             ;   in Loop: Header=BB270_16 Depth=1
	v_and_b32_e32 v14, 7, v11
	v_lshrrev_b32_e32 v10, 3, v2
	v_cmp_gt_u32_e64 s1, 8, v2
	s_delay_alu instid0(VALU_DEP_3) | instskip(NEXT) | instid1(VALU_DEP_2)
	v_dual_mov_b32 v2, v14 :: v_dual_mov_b32 v3, v15
	s_and_saveexec_b32 s25, s1
; %bb.1711:                             ;   in Loop: Header=BB270_16 Depth=1
	v_clz_i32_u32_e32 v2, v14
	s_delay_alu instid0(VALU_DEP_1) | instskip(NEXT) | instid1(VALU_DEP_1)
	v_min_u32_e32 v10, 32, v2
	v_subrev_nc_u32_e32 v2, 28, v10
	v_sub_nc_u32_e32 v10, 29, v10
	s_delay_alu instid0(VALU_DEP_2) | instskip(NEXT) | instid1(VALU_DEP_1)
	v_lshlrev_b64 v[2:3], v2, v[14:15]
	v_and_b32_e32 v2, 7, v2
; %bb.1712:                             ;   in Loop: Header=BB270_16 Depth=1
	s_or_b32 exec_lo, exec_lo, s25
	v_dual_mov_b32 v82, v15 :: v_dual_lshlrev_b32 v3, 24, v11
	s_delay_alu instid0(VALU_DEP_2) | instskip(SKIP_1) | instid1(VALU_DEP_3)
	v_lshlrev_b32_e32 v2, 20, v2
	v_lshl_add_u32 v10, v10, 23, 0x3c000000
	v_and_b32_e32 v3, 0x80000000, v3
	s_delay_alu instid0(VALU_DEP_1)
	v_or3_b32 v83, v2, v3, v10
.LBB270_1713:                           ;   in Loop: Header=BB270_16 Depth=1
	s_or_b32 exec_lo, exec_lo, s2
.LBB270_1714:                           ;   in Loop: Header=BB270_16 Depth=1
	s_delay_alu instid0(SALU_CYCLE_1)
	s_or_b32 exec_lo, exec_lo, s24
.LBB270_1715:                           ;   in Loop: Header=BB270_16 Depth=1
	s_delay_alu instid0(SALU_CYCLE_1)
	s_or_b32 exec_lo, exec_lo, s23
	flat_load_b32 v10, v[24:25] offset:2564
	v_mov_b32_e32 v164, 0
	v_mov_b32_e32 v165, 0
	s_mov_b32 s2, exec_lo
	s_waitcnt vmcnt(0) lgkmcnt(0)
	v_and_b32_e32 v2, 0xff, v10
	s_delay_alu instid0(VALU_DEP_2) | instskip(NEXT) | instid1(VALU_DEP_2)
	v_dual_mov_b32 v60, v164 :: v_dual_mov_b32 v61, v165
	v_cmpx_ne_u16_e32 0, v2
	s_cbranch_execz .LBB270_1723
; %bb.1716:                             ;   in Loop: Header=BB270_16 Depth=1
	v_bfrev_b32_e32 v60, 1
	v_mov_b32_e32 v61, 0
	s_mov_b32 s23, exec_lo
	v_cmpx_ne_u16_e32 0x80, v2
	s_cbranch_execz .LBB270_1722
; %bb.1717:                             ;   in Loop: Header=BB270_16 Depth=1
	v_mov_b32_e32 v60, 0x7f800001
	v_dual_mov_b32 v61, 0 :: v_dual_and_b32 v2, 0x7f, v10
	s_mov_b32 s24, exec_lo
	s_delay_alu instid0(VALU_DEP_1)
	v_cmpx_ne_u32_e32 0x7f, v2
	s_cbranch_execz .LBB270_1721
; %bb.1718:                             ;   in Loop: Header=BB270_16 Depth=1
	v_and_b32_e32 v14, 7, v10
	v_lshrrev_b32_e32 v11, 3, v2
	v_cmp_gt_u32_e64 s1, 8, v2
	s_delay_alu instid0(VALU_DEP_3) | instskip(NEXT) | instid1(VALU_DEP_2)
	v_dual_mov_b32 v2, v14 :: v_dual_mov_b32 v3, v15
	s_and_saveexec_b32 s25, s1
; %bb.1719:                             ;   in Loop: Header=BB270_16 Depth=1
	v_clz_i32_u32_e32 v2, v14
	s_delay_alu instid0(VALU_DEP_1) | instskip(NEXT) | instid1(VALU_DEP_1)
	v_min_u32_e32 v11, 32, v2
	v_subrev_nc_u32_e32 v2, 28, v11
	v_sub_nc_u32_e32 v11, 29, v11
	s_delay_alu instid0(VALU_DEP_2) | instskip(NEXT) | instid1(VALU_DEP_1)
	v_lshlrev_b64 v[2:3], v2, v[14:15]
	v_and_b32_e32 v2, 7, v2
; %bb.1720:                             ;   in Loop: Header=BB270_16 Depth=1
	s_or_b32 exec_lo, exec_lo, s25
	v_lshlrev_b32_e32 v3, 24, v10
	s_delay_alu instid0(VALU_DEP_2) | instskip(SKIP_1) | instid1(VALU_DEP_3)
	v_lshlrev_b32_e32 v2, 20, v2
	v_lshl_add_u32 v11, v11, 23, 0x3c000000
	v_and_b32_e32 v3, 0x80000000, v3
	s_delay_alu instid0(VALU_DEP_1) | instskip(NEXT) | instid1(VALU_DEP_1)
	v_or3_b32 v14, v2, v3, v11
	v_dual_mov_b32 v61, v15 :: v_dual_mov_b32 v60, v14
.LBB270_1721:                           ;   in Loop: Header=BB270_16 Depth=1
	s_or_b32 exec_lo, exec_lo, s24
.LBB270_1722:                           ;   in Loop: Header=BB270_16 Depth=1
	s_delay_alu instid0(SALU_CYCLE_1)
	s_or_b32 exec_lo, exec_lo, s23
.LBB270_1723:                           ;   in Loop: Header=BB270_16 Depth=1
	s_delay_alu instid0(SALU_CYCLE_1) | instskip(SKIP_2) | instid1(VALU_DEP_1)
	s_or_b32 exec_lo, exec_lo, s2
	v_lshrrev_b16 v2, 8, v10
	s_mov_b32 s23, exec_lo
	v_cmpx_ne_u16_e32 0, v2
	s_cbranch_execz .LBB270_1731
; %bb.1724:                             ;   in Loop: Header=BB270_16 Depth=1
	v_dual_mov_b32 v165, s9 :: v_dual_mov_b32 v164, s8
	s_mov_b32 s24, exec_lo
	v_cmpx_ne_u16_e32 0x80, v2
	s_cbranch_execz .LBB270_1730
; %bb.1725:                             ;   in Loop: Header=BB270_16 Depth=1
	s_mov_b32 s2, s8
	v_and_b32_e32 v3, 0xffff, v2
	v_dual_mov_b32 v165, s3 :: v_dual_mov_b32 v164, s2
	s_mov_b32 s2, exec_lo
	s_delay_alu instid0(VALU_DEP_2) | instskip(NEXT) | instid1(VALU_DEP_1)
	v_and_b32_e32 v2, 0x7f, v3
	v_cmpx_ne_u32_e32 0x7f, v2
	s_cbranch_execz .LBB270_1729
; %bb.1726:                             ;   in Loop: Header=BB270_16 Depth=1
	v_and_b32_e32 v14, 7, v3
	v_lshrrev_b32_e32 v11, 3, v2
	v_cmp_gt_u32_e64 s1, 8, v2
	s_delay_alu instid0(VALU_DEP_3) | instskip(NEXT) | instid1(VALU_DEP_2)
	v_dual_mov_b32 v2, v14 :: v_dual_mov_b32 v3, v15
	s_and_saveexec_b32 s25, s1
; %bb.1727:                             ;   in Loop: Header=BB270_16 Depth=1
	v_clz_i32_u32_e32 v2, v14
	s_delay_alu instid0(VALU_DEP_1) | instskip(NEXT) | instid1(VALU_DEP_1)
	v_min_u32_e32 v11, 32, v2
	v_subrev_nc_u32_e32 v2, 28, v11
	v_sub_nc_u32_e32 v11, 29, v11
	s_delay_alu instid0(VALU_DEP_2) | instskip(NEXT) | instid1(VALU_DEP_1)
	v_lshlrev_b64 v[2:3], v2, v[14:15]
	v_and_b32_e32 v2, 7, v2
; %bb.1728:                             ;   in Loop: Header=BB270_16 Depth=1
	s_or_b32 exec_lo, exec_lo, s25
	v_dual_mov_b32 v164, v15 :: v_dual_lshlrev_b32 v3, 16, v10
	s_delay_alu instid0(VALU_DEP_2) | instskip(SKIP_1) | instid1(VALU_DEP_3)
	v_lshlrev_b32_e32 v2, 20, v2
	v_lshl_add_u32 v11, v11, 23, 0x3c000000
	v_and_b32_e32 v3, 0x80000000, v3
	s_delay_alu instid0(VALU_DEP_1)
	v_or3_b32 v165, v2, v3, v11
.LBB270_1729:                           ;   in Loop: Header=BB270_16 Depth=1
	s_or_b32 exec_lo, exec_lo, s2
.LBB270_1730:                           ;   in Loop: Header=BB270_16 Depth=1
	s_delay_alu instid0(SALU_CYCLE_1)
	s_or_b32 exec_lo, exec_lo, s24
.LBB270_1731:                           ;   in Loop: Header=BB270_16 Depth=1
	s_delay_alu instid0(SALU_CYCLE_1) | instskip(SKIP_4) | instid1(VALU_DEP_1)
	s_or_b32 exec_lo, exec_lo, s23
	v_mov_b32_e32 v76, 0
	v_lshrrev_b32_e32 v11, 16, v10
	v_mov_b32_e32 v77, 0
	s_mov_b32 s2, exec_lo
	v_dual_mov_b32 v79, v77 :: v_dual_and_b32 v2, 0xff, v11
	v_mov_b32_e32 v78, v76
	s_delay_alu instid0(VALU_DEP_2)
	v_cmpx_ne_u16_e32 0, v2
	s_cbranch_execz .LBB270_1739
; %bb.1732:                             ;   in Loop: Header=BB270_16 Depth=1
	v_bfrev_b32_e32 v78, 1
	v_mov_b32_e32 v79, 0
	s_mov_b32 s23, exec_lo
	v_cmpx_ne_u16_e32 0x80, v2
	s_cbranch_execz .LBB270_1738
; %bb.1733:                             ;   in Loop: Header=BB270_16 Depth=1
	v_mov_b32_e32 v78, 0x7f800001
	v_bfe_u32 v2, v10, 16, 7
	v_mov_b32_e32 v79, 0
	s_mov_b32 s24, exec_lo
	s_delay_alu instid0(VALU_DEP_2)
	v_cmpx_ne_u32_e32 0x7f, v2
	s_cbranch_execz .LBB270_1737
; %bb.1734:                             ;   in Loop: Header=BB270_16 Depth=1
	v_and_b32_e32 v14, 7, v11
	v_lshrrev_b32_e32 v12, 3, v2
	v_cmp_gt_u32_e64 s1, 8, v2
	s_delay_alu instid0(VALU_DEP_3) | instskip(NEXT) | instid1(VALU_DEP_2)
	v_dual_mov_b32 v2, v14 :: v_dual_mov_b32 v3, v15
	s_and_saveexec_b32 s25, s1
; %bb.1735:                             ;   in Loop: Header=BB270_16 Depth=1
	v_clz_i32_u32_e32 v2, v14
	s_delay_alu instid0(VALU_DEP_1) | instskip(NEXT) | instid1(VALU_DEP_1)
	v_min_u32_e32 v12, 32, v2
	v_subrev_nc_u32_e32 v2, 28, v12
	v_sub_nc_u32_e32 v12, 29, v12
	s_delay_alu instid0(VALU_DEP_2) | instskip(NEXT) | instid1(VALU_DEP_1)
	v_lshlrev_b64 v[2:3], v2, v[14:15]
	v_and_b32_e32 v2, 7, v2
; %bb.1736:                             ;   in Loop: Header=BB270_16 Depth=1
	s_or_b32 exec_lo, exec_lo, s25
	v_lshlrev_b32_e32 v3, 24, v11
	s_delay_alu instid0(VALU_DEP_2) | instskip(SKIP_1) | instid1(VALU_DEP_3)
	v_lshlrev_b32_e32 v2, 20, v2
	v_lshl_add_u32 v11, v12, 23, 0x3c000000
	v_and_b32_e32 v3, 0x80000000, v3
	s_delay_alu instid0(VALU_DEP_1) | instskip(NEXT) | instid1(VALU_DEP_1)
	v_or3_b32 v14, v2, v3, v11
	v_dual_mov_b32 v79, v15 :: v_dual_mov_b32 v78, v14
.LBB270_1737:                           ;   in Loop: Header=BB270_16 Depth=1
	s_or_b32 exec_lo, exec_lo, s24
.LBB270_1738:                           ;   in Loop: Header=BB270_16 Depth=1
	s_delay_alu instid0(SALU_CYCLE_1)
	s_or_b32 exec_lo, exec_lo, s23
.LBB270_1739:                           ;   in Loop: Header=BB270_16 Depth=1
	s_delay_alu instid0(SALU_CYCLE_1) | instskip(NEXT) | instid1(SALU_CYCLE_1)
	s_or_b32 exec_lo, exec_lo, s2
	s_mov_b32 s23, exec_lo
	v_cmpx_lt_u32_e32 0xffffff, v10
	s_cbranch_execz .LBB270_1747
; %bb.1740:                             ;   in Loop: Header=BB270_16 Depth=1
	v_lshrrev_b32_e32 v11, 24, v10
	v_dual_mov_b32 v77, s9 :: v_dual_mov_b32 v76, s8
	s_mov_b32 s24, exec_lo
	s_delay_alu instid0(VALU_DEP_2)
	v_cmpx_ne_u32_e32 0x80, v11
	s_cbranch_execz .LBB270_1746
; %bb.1741:                             ;   in Loop: Header=BB270_16 Depth=1
	s_mov_b32 s2, s8
	v_bfe_u32 v2, v10, 24, 7
	v_dual_mov_b32 v77, s3 :: v_dual_mov_b32 v76, s2
	s_mov_b32 s2, exec_lo
	s_delay_alu instid0(VALU_DEP_2)
	v_cmpx_ne_u32_e32 0x7f, v2
	s_cbranch_execz .LBB270_1745
; %bb.1742:                             ;   in Loop: Header=BB270_16 Depth=1
	v_and_b32_e32 v14, 7, v11
	v_lshrrev_b32_e32 v10, 3, v2
	v_cmp_gt_u32_e64 s1, 8, v2
	s_delay_alu instid0(VALU_DEP_3) | instskip(NEXT) | instid1(VALU_DEP_2)
	v_dual_mov_b32 v2, v14 :: v_dual_mov_b32 v3, v15
	s_and_saveexec_b32 s25, s1
; %bb.1743:                             ;   in Loop: Header=BB270_16 Depth=1
	v_clz_i32_u32_e32 v2, v14
	s_delay_alu instid0(VALU_DEP_1) | instskip(NEXT) | instid1(VALU_DEP_1)
	v_min_u32_e32 v10, 32, v2
	v_subrev_nc_u32_e32 v2, 28, v10
	v_sub_nc_u32_e32 v10, 29, v10
	s_delay_alu instid0(VALU_DEP_2) | instskip(NEXT) | instid1(VALU_DEP_1)
	v_lshlrev_b64 v[2:3], v2, v[14:15]
	v_and_b32_e32 v2, 7, v2
; %bb.1744:                             ;   in Loop: Header=BB270_16 Depth=1
	s_or_b32 exec_lo, exec_lo, s25
	v_dual_mov_b32 v76, v15 :: v_dual_lshlrev_b32 v3, 24, v11
	s_delay_alu instid0(VALU_DEP_2) | instskip(SKIP_1) | instid1(VALU_DEP_3)
	v_lshlrev_b32_e32 v2, 20, v2
	v_lshl_add_u32 v10, v10, 23, 0x3c000000
	v_and_b32_e32 v3, 0x80000000, v3
	s_delay_alu instid0(VALU_DEP_1)
	v_or3_b32 v77, v2, v3, v10
.LBB270_1745:                           ;   in Loop: Header=BB270_16 Depth=1
	s_or_b32 exec_lo, exec_lo, s2
.LBB270_1746:                           ;   in Loop: Header=BB270_16 Depth=1
	s_delay_alu instid0(SALU_CYCLE_1)
	s_or_b32 exec_lo, exec_lo, s24
.LBB270_1747:                           ;   in Loop: Header=BB270_16 Depth=1
	s_delay_alu instid0(SALU_CYCLE_1)
	s_or_b32 exec_lo, exec_lo, s23
	flat_load_b32 v10, v[24:25] offset:2568
	v_mov_b32_e32 v92, 0
	v_mov_b32_e32 v93, 0
	s_mov_b32 s2, exec_lo
	s_waitcnt vmcnt(0) lgkmcnt(0)
	v_and_b32_e32 v2, 0xff, v10
	s_delay_alu instid0(VALU_DEP_2) | instskip(NEXT) | instid1(VALU_DEP_2)
	v_dual_mov_b32 v90, v92 :: v_dual_mov_b32 v91, v93
	v_cmpx_ne_u16_e32 0, v2
	s_cbranch_execz .LBB270_1755
; %bb.1748:                             ;   in Loop: Header=BB270_16 Depth=1
	v_bfrev_b32_e32 v90, 1
	v_mov_b32_e32 v91, 0
	s_mov_b32 s23, exec_lo
	v_cmpx_ne_u16_e32 0x80, v2
	s_cbranch_execz .LBB270_1754
; %bb.1749:                             ;   in Loop: Header=BB270_16 Depth=1
	v_mov_b32_e32 v90, 0x7f800001
	v_dual_mov_b32 v91, 0 :: v_dual_and_b32 v2, 0x7f, v10
	s_mov_b32 s24, exec_lo
	s_delay_alu instid0(VALU_DEP_1)
	v_cmpx_ne_u32_e32 0x7f, v2
	s_cbranch_execz .LBB270_1753
; %bb.1750:                             ;   in Loop: Header=BB270_16 Depth=1
	v_and_b32_e32 v14, 7, v10
	v_lshrrev_b32_e32 v11, 3, v2
	v_cmp_gt_u32_e64 s1, 8, v2
	s_delay_alu instid0(VALU_DEP_3) | instskip(NEXT) | instid1(VALU_DEP_2)
	v_dual_mov_b32 v2, v14 :: v_dual_mov_b32 v3, v15
	s_and_saveexec_b32 s25, s1
; %bb.1751:                             ;   in Loop: Header=BB270_16 Depth=1
	v_clz_i32_u32_e32 v2, v14
	s_delay_alu instid0(VALU_DEP_1) | instskip(NEXT) | instid1(VALU_DEP_1)
	v_min_u32_e32 v11, 32, v2
	v_subrev_nc_u32_e32 v2, 28, v11
	v_sub_nc_u32_e32 v11, 29, v11
	s_delay_alu instid0(VALU_DEP_2) | instskip(NEXT) | instid1(VALU_DEP_1)
	v_lshlrev_b64 v[2:3], v2, v[14:15]
	v_and_b32_e32 v2, 7, v2
; %bb.1752:                             ;   in Loop: Header=BB270_16 Depth=1
	s_or_b32 exec_lo, exec_lo, s25
	v_lshlrev_b32_e32 v3, 24, v10
	s_delay_alu instid0(VALU_DEP_2) | instskip(SKIP_1) | instid1(VALU_DEP_3)
	v_lshlrev_b32_e32 v2, 20, v2
	v_lshl_add_u32 v11, v11, 23, 0x3c000000
	v_and_b32_e32 v3, 0x80000000, v3
	s_delay_alu instid0(VALU_DEP_1) | instskip(NEXT) | instid1(VALU_DEP_1)
	v_or3_b32 v14, v2, v3, v11
	v_dual_mov_b32 v91, v15 :: v_dual_mov_b32 v90, v14
.LBB270_1753:                           ;   in Loop: Header=BB270_16 Depth=1
	s_or_b32 exec_lo, exec_lo, s24
.LBB270_1754:                           ;   in Loop: Header=BB270_16 Depth=1
	s_delay_alu instid0(SALU_CYCLE_1)
	s_or_b32 exec_lo, exec_lo, s23
.LBB270_1755:                           ;   in Loop: Header=BB270_16 Depth=1
	s_delay_alu instid0(SALU_CYCLE_1) | instskip(SKIP_2) | instid1(VALU_DEP_1)
	s_or_b32 exec_lo, exec_lo, s2
	v_lshrrev_b16 v2, 8, v10
	s_mov_b32 s23, exec_lo
	v_cmpx_ne_u16_e32 0, v2
	s_cbranch_execz .LBB270_1763
; %bb.1756:                             ;   in Loop: Header=BB270_16 Depth=1
	v_dual_mov_b32 v93, s9 :: v_dual_mov_b32 v92, s8
	s_mov_b32 s24, exec_lo
	v_cmpx_ne_u16_e32 0x80, v2
	s_cbranch_execz .LBB270_1762
; %bb.1757:                             ;   in Loop: Header=BB270_16 Depth=1
	s_mov_b32 s2, s8
	v_and_b32_e32 v3, 0xffff, v2
	v_dual_mov_b32 v93, s3 :: v_dual_mov_b32 v92, s2
	s_mov_b32 s2, exec_lo
	s_delay_alu instid0(VALU_DEP_2) | instskip(NEXT) | instid1(VALU_DEP_1)
	v_and_b32_e32 v2, 0x7f, v3
	v_cmpx_ne_u32_e32 0x7f, v2
	s_cbranch_execz .LBB270_1761
; %bb.1758:                             ;   in Loop: Header=BB270_16 Depth=1
	v_and_b32_e32 v14, 7, v3
	v_lshrrev_b32_e32 v11, 3, v2
	v_cmp_gt_u32_e64 s1, 8, v2
	s_delay_alu instid0(VALU_DEP_3) | instskip(NEXT) | instid1(VALU_DEP_2)
	v_dual_mov_b32 v2, v14 :: v_dual_mov_b32 v3, v15
	s_and_saveexec_b32 s25, s1
; %bb.1759:                             ;   in Loop: Header=BB270_16 Depth=1
	v_clz_i32_u32_e32 v2, v14
	s_delay_alu instid0(VALU_DEP_1) | instskip(NEXT) | instid1(VALU_DEP_1)
	v_min_u32_e32 v11, 32, v2
	v_subrev_nc_u32_e32 v2, 28, v11
	v_sub_nc_u32_e32 v11, 29, v11
	s_delay_alu instid0(VALU_DEP_2) | instskip(NEXT) | instid1(VALU_DEP_1)
	v_lshlrev_b64 v[2:3], v2, v[14:15]
	v_and_b32_e32 v2, 7, v2
; %bb.1760:                             ;   in Loop: Header=BB270_16 Depth=1
	s_or_b32 exec_lo, exec_lo, s25
	v_dual_mov_b32 v92, v15 :: v_dual_lshlrev_b32 v3, 16, v10
	s_delay_alu instid0(VALU_DEP_2) | instskip(SKIP_1) | instid1(VALU_DEP_3)
	v_lshlrev_b32_e32 v2, 20, v2
	v_lshl_add_u32 v11, v11, 23, 0x3c000000
	v_and_b32_e32 v3, 0x80000000, v3
	s_delay_alu instid0(VALU_DEP_1)
	v_or3_b32 v93, v2, v3, v11
.LBB270_1761:                           ;   in Loop: Header=BB270_16 Depth=1
	s_or_b32 exec_lo, exec_lo, s2
.LBB270_1762:                           ;   in Loop: Header=BB270_16 Depth=1
	s_delay_alu instid0(SALU_CYCLE_1)
	s_or_b32 exec_lo, exec_lo, s24
.LBB270_1763:                           ;   in Loop: Header=BB270_16 Depth=1
	s_delay_alu instid0(SALU_CYCLE_1) | instskip(SKIP_4) | instid1(VALU_DEP_2)
	s_or_b32 exec_lo, exec_lo, s23
	v_mov_b32_e32 v108, 0
	v_lshrrev_b32_e32 v11, 16, v10
	v_mov_b32_e32 v109, 0
	s_mov_b32 s2, exec_lo
	v_and_b32_e32 v2, 0xff, v11
	s_delay_alu instid0(VALU_DEP_2) | instskip(NEXT) | instid1(VALU_DEP_2)
	v_dual_mov_b32 v94, v108 :: v_dual_mov_b32 v95, v109
	v_cmpx_ne_u16_e32 0, v2
	s_cbranch_execz .LBB270_1771
; %bb.1764:                             ;   in Loop: Header=BB270_16 Depth=1
	v_bfrev_b32_e32 v94, 1
	v_mov_b32_e32 v95, 0
	s_mov_b32 s23, exec_lo
	v_cmpx_ne_u16_e32 0x80, v2
	s_cbranch_execz .LBB270_1770
; %bb.1765:                             ;   in Loop: Header=BB270_16 Depth=1
	v_mov_b32_e32 v94, 0x7f800001
	v_bfe_u32 v2, v10, 16, 7
	v_mov_b32_e32 v95, 0
	s_mov_b32 s24, exec_lo
	s_delay_alu instid0(VALU_DEP_2)
	v_cmpx_ne_u32_e32 0x7f, v2
	s_cbranch_execz .LBB270_1769
; %bb.1766:                             ;   in Loop: Header=BB270_16 Depth=1
	v_and_b32_e32 v14, 7, v11
	v_lshrrev_b32_e32 v12, 3, v2
	v_cmp_gt_u32_e64 s1, 8, v2
	s_delay_alu instid0(VALU_DEP_3) | instskip(NEXT) | instid1(VALU_DEP_2)
	v_dual_mov_b32 v2, v14 :: v_dual_mov_b32 v3, v15
	s_and_saveexec_b32 s25, s1
; %bb.1767:                             ;   in Loop: Header=BB270_16 Depth=1
	v_clz_i32_u32_e32 v2, v14
	s_delay_alu instid0(VALU_DEP_1) | instskip(NEXT) | instid1(VALU_DEP_1)
	v_min_u32_e32 v12, 32, v2
	v_subrev_nc_u32_e32 v2, 28, v12
	v_sub_nc_u32_e32 v12, 29, v12
	s_delay_alu instid0(VALU_DEP_2) | instskip(NEXT) | instid1(VALU_DEP_1)
	v_lshlrev_b64 v[2:3], v2, v[14:15]
	v_and_b32_e32 v2, 7, v2
; %bb.1768:                             ;   in Loop: Header=BB270_16 Depth=1
	s_or_b32 exec_lo, exec_lo, s25
	v_lshlrev_b32_e32 v3, 24, v11
	s_delay_alu instid0(VALU_DEP_2) | instskip(SKIP_1) | instid1(VALU_DEP_3)
	v_lshlrev_b32_e32 v2, 20, v2
	v_lshl_add_u32 v11, v12, 23, 0x3c000000
	v_and_b32_e32 v3, 0x80000000, v3
	s_delay_alu instid0(VALU_DEP_1) | instskip(NEXT) | instid1(VALU_DEP_1)
	v_or3_b32 v14, v2, v3, v11
	v_dual_mov_b32 v95, v15 :: v_dual_mov_b32 v94, v14
.LBB270_1769:                           ;   in Loop: Header=BB270_16 Depth=1
	s_or_b32 exec_lo, exec_lo, s24
.LBB270_1770:                           ;   in Loop: Header=BB270_16 Depth=1
	s_delay_alu instid0(SALU_CYCLE_1)
	s_or_b32 exec_lo, exec_lo, s23
.LBB270_1771:                           ;   in Loop: Header=BB270_16 Depth=1
	s_delay_alu instid0(SALU_CYCLE_1) | instskip(NEXT) | instid1(SALU_CYCLE_1)
	s_or_b32 exec_lo, exec_lo, s2
	s_mov_b32 s23, exec_lo
	v_cmpx_lt_u32_e32 0xffffff, v10
	s_cbranch_execz .LBB270_1779
; %bb.1772:                             ;   in Loop: Header=BB270_16 Depth=1
	v_lshrrev_b32_e32 v11, 24, v10
	v_dual_mov_b32 v109, s9 :: v_dual_mov_b32 v108, s8
	s_mov_b32 s24, exec_lo
	s_delay_alu instid0(VALU_DEP_2)
	v_cmpx_ne_u32_e32 0x80, v11
	s_cbranch_execz .LBB270_1778
; %bb.1773:                             ;   in Loop: Header=BB270_16 Depth=1
	s_mov_b32 s2, s8
	v_bfe_u32 v2, v10, 24, 7
	v_dual_mov_b32 v109, s3 :: v_dual_mov_b32 v108, s2
	s_mov_b32 s2, exec_lo
	s_delay_alu instid0(VALU_DEP_2)
	v_cmpx_ne_u32_e32 0x7f, v2
	s_cbranch_execz .LBB270_1777
; %bb.1774:                             ;   in Loop: Header=BB270_16 Depth=1
	v_and_b32_e32 v14, 7, v11
	v_lshrrev_b32_e32 v10, 3, v2
	v_cmp_gt_u32_e64 s1, 8, v2
	s_delay_alu instid0(VALU_DEP_3) | instskip(NEXT) | instid1(VALU_DEP_2)
	v_dual_mov_b32 v2, v14 :: v_dual_mov_b32 v3, v15
	s_and_saveexec_b32 s25, s1
; %bb.1775:                             ;   in Loop: Header=BB270_16 Depth=1
	v_clz_i32_u32_e32 v2, v14
	s_delay_alu instid0(VALU_DEP_1) | instskip(NEXT) | instid1(VALU_DEP_1)
	v_min_u32_e32 v10, 32, v2
	v_subrev_nc_u32_e32 v2, 28, v10
	v_sub_nc_u32_e32 v10, 29, v10
	s_delay_alu instid0(VALU_DEP_2) | instskip(NEXT) | instid1(VALU_DEP_1)
	v_lshlrev_b64 v[2:3], v2, v[14:15]
	v_and_b32_e32 v2, 7, v2
; %bb.1776:                             ;   in Loop: Header=BB270_16 Depth=1
	s_or_b32 exec_lo, exec_lo, s25
	v_dual_mov_b32 v108, v15 :: v_dual_lshlrev_b32 v3, 24, v11
	s_delay_alu instid0(VALU_DEP_2) | instskip(SKIP_1) | instid1(VALU_DEP_3)
	v_lshlrev_b32_e32 v2, 20, v2
	v_lshl_add_u32 v10, v10, 23, 0x3c000000
	v_and_b32_e32 v3, 0x80000000, v3
	s_delay_alu instid0(VALU_DEP_1)
	v_or3_b32 v109, v2, v3, v10
.LBB270_1777:                           ;   in Loop: Header=BB270_16 Depth=1
	s_or_b32 exec_lo, exec_lo, s2
.LBB270_1778:                           ;   in Loop: Header=BB270_16 Depth=1
	s_delay_alu instid0(SALU_CYCLE_1)
	s_or_b32 exec_lo, exec_lo, s24
.LBB270_1779:                           ;   in Loop: Header=BB270_16 Depth=1
	s_delay_alu instid0(SALU_CYCLE_1)
	s_or_b32 exec_lo, exec_lo, s23
	flat_load_b32 v10, v[24:25] offset:2572
	v_mov_b32_e32 v124, 0
	v_mov_b32_e32 v125, 0
	s_mov_b32 s2, exec_lo
	s_waitcnt vmcnt(0) lgkmcnt(0)
	s_delay_alu instid0(VALU_DEP_1) | instskip(SKIP_1) | instid1(VALU_DEP_2)
	v_dual_mov_b32 v141, v125 :: v_dual_and_b32 v2, 0xff, v10
	v_mov_b32_e32 v140, v124
	v_cmpx_ne_u16_e32 0, v2
	s_cbranch_execz .LBB270_1787
; %bb.1780:                             ;   in Loop: Header=BB270_16 Depth=1
	v_bfrev_b32_e32 v140, 1
	v_mov_b32_e32 v141, 0
	s_mov_b32 s23, exec_lo
	v_cmpx_ne_u16_e32 0x80, v2
	s_cbranch_execz .LBB270_1786
; %bb.1781:                             ;   in Loop: Header=BB270_16 Depth=1
	v_mov_b32_e32 v140, 0x7f800001
	v_dual_mov_b32 v141, 0 :: v_dual_and_b32 v2, 0x7f, v10
	s_mov_b32 s24, exec_lo
	s_delay_alu instid0(VALU_DEP_1)
	v_cmpx_ne_u32_e32 0x7f, v2
	s_cbranch_execz .LBB270_1785
; %bb.1782:                             ;   in Loop: Header=BB270_16 Depth=1
	v_and_b32_e32 v14, 7, v10
	v_lshrrev_b32_e32 v11, 3, v2
	v_cmp_gt_u32_e64 s1, 8, v2
	s_delay_alu instid0(VALU_DEP_3) | instskip(NEXT) | instid1(VALU_DEP_2)
	v_dual_mov_b32 v2, v14 :: v_dual_mov_b32 v3, v15
	s_and_saveexec_b32 s25, s1
; %bb.1783:                             ;   in Loop: Header=BB270_16 Depth=1
	v_clz_i32_u32_e32 v2, v14
	s_delay_alu instid0(VALU_DEP_1) | instskip(NEXT) | instid1(VALU_DEP_1)
	v_min_u32_e32 v11, 32, v2
	v_subrev_nc_u32_e32 v2, 28, v11
	v_sub_nc_u32_e32 v11, 29, v11
	s_delay_alu instid0(VALU_DEP_2) | instskip(NEXT) | instid1(VALU_DEP_1)
	v_lshlrev_b64 v[2:3], v2, v[14:15]
	v_and_b32_e32 v2, 7, v2
; %bb.1784:                             ;   in Loop: Header=BB270_16 Depth=1
	s_or_b32 exec_lo, exec_lo, s25
	v_lshlrev_b32_e32 v3, 24, v10
	s_delay_alu instid0(VALU_DEP_2) | instskip(SKIP_1) | instid1(VALU_DEP_3)
	v_lshlrev_b32_e32 v2, 20, v2
	v_lshl_add_u32 v11, v11, 23, 0x3c000000
	v_and_b32_e32 v3, 0x80000000, v3
	s_delay_alu instid0(VALU_DEP_1) | instskip(NEXT) | instid1(VALU_DEP_1)
	v_or3_b32 v14, v2, v3, v11
	v_dual_mov_b32 v141, v15 :: v_dual_mov_b32 v140, v14
.LBB270_1785:                           ;   in Loop: Header=BB270_16 Depth=1
	s_or_b32 exec_lo, exec_lo, s24
.LBB270_1786:                           ;   in Loop: Header=BB270_16 Depth=1
	s_delay_alu instid0(SALU_CYCLE_1)
	s_or_b32 exec_lo, exec_lo, s23
.LBB270_1787:                           ;   in Loop: Header=BB270_16 Depth=1
	s_delay_alu instid0(SALU_CYCLE_1) | instskip(SKIP_2) | instid1(VALU_DEP_1)
	s_or_b32 exec_lo, exec_lo, s2
	v_lshrrev_b16 v2, 8, v10
	s_mov_b32 s23, exec_lo
	v_cmpx_ne_u16_e32 0, v2
	s_cbranch_execz .LBB270_1795
; %bb.1788:                             ;   in Loop: Header=BB270_16 Depth=1
	v_dual_mov_b32 v125, s9 :: v_dual_mov_b32 v124, s8
	s_mov_b32 s24, exec_lo
	v_cmpx_ne_u16_e32 0x80, v2
	s_cbranch_execz .LBB270_1794
; %bb.1789:                             ;   in Loop: Header=BB270_16 Depth=1
	s_mov_b32 s2, s8
	v_and_b32_e32 v3, 0xffff, v2
	v_dual_mov_b32 v125, s3 :: v_dual_mov_b32 v124, s2
	s_mov_b32 s2, exec_lo
	s_delay_alu instid0(VALU_DEP_2) | instskip(NEXT) | instid1(VALU_DEP_1)
	v_and_b32_e32 v2, 0x7f, v3
	v_cmpx_ne_u32_e32 0x7f, v2
	s_cbranch_execz .LBB270_1793
; %bb.1790:                             ;   in Loop: Header=BB270_16 Depth=1
	v_and_b32_e32 v14, 7, v3
	v_lshrrev_b32_e32 v11, 3, v2
	v_cmp_gt_u32_e64 s1, 8, v2
	s_delay_alu instid0(VALU_DEP_3) | instskip(NEXT) | instid1(VALU_DEP_2)
	v_dual_mov_b32 v2, v14 :: v_dual_mov_b32 v3, v15
	s_and_saveexec_b32 s25, s1
; %bb.1791:                             ;   in Loop: Header=BB270_16 Depth=1
	v_clz_i32_u32_e32 v2, v14
	s_delay_alu instid0(VALU_DEP_1) | instskip(NEXT) | instid1(VALU_DEP_1)
	v_min_u32_e32 v11, 32, v2
	v_subrev_nc_u32_e32 v2, 28, v11
	v_sub_nc_u32_e32 v11, 29, v11
	s_delay_alu instid0(VALU_DEP_2) | instskip(NEXT) | instid1(VALU_DEP_1)
	v_lshlrev_b64 v[2:3], v2, v[14:15]
	v_and_b32_e32 v2, 7, v2
; %bb.1792:                             ;   in Loop: Header=BB270_16 Depth=1
	s_or_b32 exec_lo, exec_lo, s25
	v_dual_mov_b32 v124, v15 :: v_dual_lshlrev_b32 v3, 16, v10
	s_delay_alu instid0(VALU_DEP_2) | instskip(SKIP_1) | instid1(VALU_DEP_3)
	v_lshlrev_b32_e32 v2, 20, v2
	v_lshl_add_u32 v11, v11, 23, 0x3c000000
	v_and_b32_e32 v3, 0x80000000, v3
	s_delay_alu instid0(VALU_DEP_1)
	v_or3_b32 v125, v2, v3, v11
.LBB270_1793:                           ;   in Loop: Header=BB270_16 Depth=1
	s_or_b32 exec_lo, exec_lo, s2
.LBB270_1794:                           ;   in Loop: Header=BB270_16 Depth=1
	s_delay_alu instid0(SALU_CYCLE_1)
	s_or_b32 exec_lo, exec_lo, s24
.LBB270_1795:                           ;   in Loop: Header=BB270_16 Depth=1
	s_delay_alu instid0(SALU_CYCLE_1) | instskip(SKIP_4) | instid1(VALU_DEP_1)
	s_or_b32 exec_lo, exec_lo, s23
	v_mov_b32_e32 v106, 0
	v_lshrrev_b32_e32 v11, 16, v10
	v_mov_b32_e32 v107, 0
	s_mov_b32 s2, exec_lo
	v_dual_mov_b32 v157, v107 :: v_dual_and_b32 v2, 0xff, v11
	v_mov_b32_e32 v156, v106
	s_delay_alu instid0(VALU_DEP_2)
	v_cmpx_ne_u16_e32 0, v2
	s_cbranch_execz .LBB270_1803
; %bb.1796:                             ;   in Loop: Header=BB270_16 Depth=1
	v_bfrev_b32_e32 v156, 1
	v_mov_b32_e32 v157, 0
	s_mov_b32 s23, exec_lo
	v_cmpx_ne_u16_e32 0x80, v2
	s_cbranch_execz .LBB270_1802
; %bb.1797:                             ;   in Loop: Header=BB270_16 Depth=1
	v_mov_b32_e32 v156, 0x7f800001
	v_bfe_u32 v2, v10, 16, 7
	v_mov_b32_e32 v157, 0
	s_mov_b32 s24, exec_lo
	s_delay_alu instid0(VALU_DEP_2)
	v_cmpx_ne_u32_e32 0x7f, v2
	s_cbranch_execz .LBB270_1801
; %bb.1798:                             ;   in Loop: Header=BB270_16 Depth=1
	v_and_b32_e32 v14, 7, v11
	v_lshrrev_b32_e32 v12, 3, v2
	v_cmp_gt_u32_e64 s1, 8, v2
	s_delay_alu instid0(VALU_DEP_3) | instskip(NEXT) | instid1(VALU_DEP_2)
	v_dual_mov_b32 v2, v14 :: v_dual_mov_b32 v3, v15
	s_and_saveexec_b32 s25, s1
; %bb.1799:                             ;   in Loop: Header=BB270_16 Depth=1
	v_clz_i32_u32_e32 v2, v14
	s_delay_alu instid0(VALU_DEP_1) | instskip(NEXT) | instid1(VALU_DEP_1)
	v_min_u32_e32 v12, 32, v2
	v_subrev_nc_u32_e32 v2, 28, v12
	v_sub_nc_u32_e32 v12, 29, v12
	s_delay_alu instid0(VALU_DEP_2) | instskip(NEXT) | instid1(VALU_DEP_1)
	v_lshlrev_b64 v[2:3], v2, v[14:15]
	v_and_b32_e32 v2, 7, v2
; %bb.1800:                             ;   in Loop: Header=BB270_16 Depth=1
	s_or_b32 exec_lo, exec_lo, s25
	v_lshlrev_b32_e32 v3, 24, v11
	s_delay_alu instid0(VALU_DEP_2) | instskip(SKIP_1) | instid1(VALU_DEP_3)
	v_lshlrev_b32_e32 v2, 20, v2
	v_lshl_add_u32 v11, v12, 23, 0x3c000000
	v_and_b32_e32 v3, 0x80000000, v3
	s_delay_alu instid0(VALU_DEP_1) | instskip(NEXT) | instid1(VALU_DEP_1)
	v_or3_b32 v14, v2, v3, v11
	v_dual_mov_b32 v157, v15 :: v_dual_mov_b32 v156, v14
.LBB270_1801:                           ;   in Loop: Header=BB270_16 Depth=1
	s_or_b32 exec_lo, exec_lo, s24
.LBB270_1802:                           ;   in Loop: Header=BB270_16 Depth=1
	s_delay_alu instid0(SALU_CYCLE_1)
	s_or_b32 exec_lo, exec_lo, s23
.LBB270_1803:                           ;   in Loop: Header=BB270_16 Depth=1
	s_delay_alu instid0(SALU_CYCLE_1) | instskip(NEXT) | instid1(SALU_CYCLE_1)
	s_or_b32 exec_lo, exec_lo, s2
	s_mov_b32 s23, exec_lo
	v_cmpx_lt_u32_e32 0xffffff, v10
	s_cbranch_execz .LBB270_1811
; %bb.1804:                             ;   in Loop: Header=BB270_16 Depth=1
	v_lshrrev_b32_e32 v11, 24, v10
	v_dual_mov_b32 v107, s9 :: v_dual_mov_b32 v106, s8
	s_mov_b32 s24, exec_lo
	s_delay_alu instid0(VALU_DEP_2)
	v_cmpx_ne_u32_e32 0x80, v11
	s_cbranch_execz .LBB270_1810
; %bb.1805:                             ;   in Loop: Header=BB270_16 Depth=1
	s_mov_b32 s2, s8
	v_bfe_u32 v2, v10, 24, 7
	v_dual_mov_b32 v107, s3 :: v_dual_mov_b32 v106, s2
	s_mov_b32 s2, exec_lo
	s_delay_alu instid0(VALU_DEP_2)
	v_cmpx_ne_u32_e32 0x7f, v2
	s_cbranch_execz .LBB270_1809
; %bb.1806:                             ;   in Loop: Header=BB270_16 Depth=1
	v_and_b32_e32 v14, 7, v11
	v_lshrrev_b32_e32 v10, 3, v2
	v_cmp_gt_u32_e64 s1, 8, v2
	s_delay_alu instid0(VALU_DEP_3) | instskip(NEXT) | instid1(VALU_DEP_2)
	v_dual_mov_b32 v2, v14 :: v_dual_mov_b32 v3, v15
	s_and_saveexec_b32 s25, s1
; %bb.1807:                             ;   in Loop: Header=BB270_16 Depth=1
	v_clz_i32_u32_e32 v2, v14
	s_delay_alu instid0(VALU_DEP_1) | instskip(NEXT) | instid1(VALU_DEP_1)
	v_min_u32_e32 v10, 32, v2
	v_subrev_nc_u32_e32 v2, 28, v10
	v_sub_nc_u32_e32 v10, 29, v10
	s_delay_alu instid0(VALU_DEP_2) | instskip(NEXT) | instid1(VALU_DEP_1)
	v_lshlrev_b64 v[2:3], v2, v[14:15]
	v_and_b32_e32 v2, 7, v2
; %bb.1808:                             ;   in Loop: Header=BB270_16 Depth=1
	s_or_b32 exec_lo, exec_lo, s25
	v_dual_mov_b32 v106, v15 :: v_dual_lshlrev_b32 v3, 24, v11
	s_delay_alu instid0(VALU_DEP_2) | instskip(SKIP_1) | instid1(VALU_DEP_3)
	v_lshlrev_b32_e32 v2, 20, v2
	v_lshl_add_u32 v10, v10, 23, 0x3c000000
	v_and_b32_e32 v3, 0x80000000, v3
	s_delay_alu instid0(VALU_DEP_1)
	v_or3_b32 v107, v2, v3, v10
.LBB270_1809:                           ;   in Loop: Header=BB270_16 Depth=1
	s_or_b32 exec_lo, exec_lo, s2
.LBB270_1810:                           ;   in Loop: Header=BB270_16 Depth=1
	s_delay_alu instid0(SALU_CYCLE_1)
	s_or_b32 exec_lo, exec_lo, s24
.LBB270_1811:                           ;   in Loop: Header=BB270_16 Depth=1
	s_delay_alu instid0(SALU_CYCLE_1)
	s_or_b32 exec_lo, exec_lo, s23
	flat_load_b32 v10, v[24:25] offset:3072
	v_mov_b32_e32 v128, 0
	v_mov_b32_e32 v129, 0
	s_mov_b32 s2, exec_lo
	s_waitcnt vmcnt(0) lgkmcnt(0)
	s_delay_alu instid0(VALU_DEP_1) | instskip(SKIP_1) | instid1(VALU_DEP_2)
	v_dual_mov_b32 v173, v129 :: v_dual_and_b32 v2, 0xff, v10
	v_mov_b32_e32 v172, v128
	v_cmpx_ne_u16_e32 0, v2
	s_cbranch_execz .LBB270_1819
; %bb.1812:                             ;   in Loop: Header=BB270_16 Depth=1
	v_bfrev_b32_e32 v172, 1
	v_mov_b32_e32 v173, 0
	s_mov_b32 s23, exec_lo
	v_cmpx_ne_u16_e32 0x80, v2
	s_cbranch_execz .LBB270_1818
; %bb.1813:                             ;   in Loop: Header=BB270_16 Depth=1
	v_mov_b32_e32 v172, 0x7f800001
	v_dual_mov_b32 v173, 0 :: v_dual_and_b32 v2, 0x7f, v10
	s_mov_b32 s24, exec_lo
	s_delay_alu instid0(VALU_DEP_1)
	v_cmpx_ne_u32_e32 0x7f, v2
	s_cbranch_execz .LBB270_1817
; %bb.1814:                             ;   in Loop: Header=BB270_16 Depth=1
	v_and_b32_e32 v14, 7, v10
	v_lshrrev_b32_e32 v11, 3, v2
	v_cmp_gt_u32_e64 s1, 8, v2
	s_delay_alu instid0(VALU_DEP_3) | instskip(NEXT) | instid1(VALU_DEP_2)
	v_dual_mov_b32 v2, v14 :: v_dual_mov_b32 v3, v15
	s_and_saveexec_b32 s25, s1
; %bb.1815:                             ;   in Loop: Header=BB270_16 Depth=1
	v_clz_i32_u32_e32 v2, v14
	s_delay_alu instid0(VALU_DEP_1) | instskip(NEXT) | instid1(VALU_DEP_1)
	v_min_u32_e32 v11, 32, v2
	v_subrev_nc_u32_e32 v2, 28, v11
	v_sub_nc_u32_e32 v11, 29, v11
	s_delay_alu instid0(VALU_DEP_2) | instskip(NEXT) | instid1(VALU_DEP_1)
	v_lshlrev_b64 v[2:3], v2, v[14:15]
	v_and_b32_e32 v2, 7, v2
; %bb.1816:                             ;   in Loop: Header=BB270_16 Depth=1
	s_or_b32 exec_lo, exec_lo, s25
	v_lshlrev_b32_e32 v3, 24, v10
	s_delay_alu instid0(VALU_DEP_2) | instskip(SKIP_1) | instid1(VALU_DEP_3)
	v_lshlrev_b32_e32 v2, 20, v2
	v_lshl_add_u32 v11, v11, 23, 0x3c000000
	v_and_b32_e32 v3, 0x80000000, v3
	s_delay_alu instid0(VALU_DEP_1) | instskip(NEXT) | instid1(VALU_DEP_1)
	v_or3_b32 v14, v2, v3, v11
	v_dual_mov_b32 v173, v15 :: v_dual_mov_b32 v172, v14
.LBB270_1817:                           ;   in Loop: Header=BB270_16 Depth=1
	s_or_b32 exec_lo, exec_lo, s24
.LBB270_1818:                           ;   in Loop: Header=BB270_16 Depth=1
	s_delay_alu instid0(SALU_CYCLE_1)
	s_or_b32 exec_lo, exec_lo, s23
.LBB270_1819:                           ;   in Loop: Header=BB270_16 Depth=1
	s_delay_alu instid0(SALU_CYCLE_1) | instskip(SKIP_2) | instid1(VALU_DEP_1)
	s_or_b32 exec_lo, exec_lo, s2
	v_lshrrev_b16 v2, 8, v10
	s_mov_b32 s23, exec_lo
	v_cmpx_ne_u16_e32 0, v2
	s_cbranch_execz .LBB270_1827
; %bb.1820:                             ;   in Loop: Header=BB270_16 Depth=1
	v_dual_mov_b32 v129, s9 :: v_dual_mov_b32 v128, s8
	s_mov_b32 s24, exec_lo
	v_cmpx_ne_u16_e32 0x80, v2
	s_cbranch_execz .LBB270_1826
; %bb.1821:                             ;   in Loop: Header=BB270_16 Depth=1
	s_mov_b32 s2, s8
	v_and_b32_e32 v3, 0xffff, v2
	v_dual_mov_b32 v129, s3 :: v_dual_mov_b32 v128, s2
	s_mov_b32 s2, exec_lo
	s_delay_alu instid0(VALU_DEP_2) | instskip(NEXT) | instid1(VALU_DEP_1)
	v_and_b32_e32 v2, 0x7f, v3
	v_cmpx_ne_u32_e32 0x7f, v2
	s_cbranch_execz .LBB270_1825
; %bb.1822:                             ;   in Loop: Header=BB270_16 Depth=1
	v_and_b32_e32 v14, 7, v3
	v_lshrrev_b32_e32 v11, 3, v2
	v_cmp_gt_u32_e64 s1, 8, v2
	s_delay_alu instid0(VALU_DEP_3) | instskip(NEXT) | instid1(VALU_DEP_2)
	v_dual_mov_b32 v2, v14 :: v_dual_mov_b32 v3, v15
	s_and_saveexec_b32 s25, s1
; %bb.1823:                             ;   in Loop: Header=BB270_16 Depth=1
	v_clz_i32_u32_e32 v2, v14
	s_delay_alu instid0(VALU_DEP_1) | instskip(NEXT) | instid1(VALU_DEP_1)
	v_min_u32_e32 v11, 32, v2
	v_subrev_nc_u32_e32 v2, 28, v11
	v_sub_nc_u32_e32 v11, 29, v11
	s_delay_alu instid0(VALU_DEP_2) | instskip(NEXT) | instid1(VALU_DEP_1)
	v_lshlrev_b64 v[2:3], v2, v[14:15]
	v_and_b32_e32 v2, 7, v2
; %bb.1824:                             ;   in Loop: Header=BB270_16 Depth=1
	s_or_b32 exec_lo, exec_lo, s25
	v_dual_mov_b32 v128, v15 :: v_dual_lshlrev_b32 v3, 16, v10
	s_delay_alu instid0(VALU_DEP_2) | instskip(SKIP_1) | instid1(VALU_DEP_3)
	v_lshlrev_b32_e32 v2, 20, v2
	v_lshl_add_u32 v11, v11, 23, 0x3c000000
	v_and_b32_e32 v3, 0x80000000, v3
	s_delay_alu instid0(VALU_DEP_1)
	v_or3_b32 v129, v2, v3, v11
.LBB270_1825:                           ;   in Loop: Header=BB270_16 Depth=1
	s_or_b32 exec_lo, exec_lo, s2
.LBB270_1826:                           ;   in Loop: Header=BB270_16 Depth=1
	s_delay_alu instid0(SALU_CYCLE_1)
	s_or_b32 exec_lo, exec_lo, s24
.LBB270_1827:                           ;   in Loop: Header=BB270_16 Depth=1
	s_delay_alu instid0(SALU_CYCLE_1) | instskip(SKIP_4) | instid1(VALU_DEP_1)
	s_or_b32 exec_lo, exec_lo, s23
	v_mov_b32_e32 v132, 0
	v_lshrrev_b32_e32 v11, 16, v10
	v_mov_b32_e32 v133, 0
	s_mov_b32 s2, exec_lo
	v_dual_mov_b32 v189, v133 :: v_dual_and_b32 v2, 0xff, v11
	v_mov_b32_e32 v188, v132
	s_delay_alu instid0(VALU_DEP_2)
	v_cmpx_ne_u16_e32 0, v2
	s_cbranch_execz .LBB270_1835
; %bb.1828:                             ;   in Loop: Header=BB270_16 Depth=1
	v_bfrev_b32_e32 v188, 1
	v_mov_b32_e32 v189, 0
	s_mov_b32 s23, exec_lo
	v_cmpx_ne_u16_e32 0x80, v2
	s_cbranch_execz .LBB270_1834
; %bb.1829:                             ;   in Loop: Header=BB270_16 Depth=1
	v_mov_b32_e32 v188, 0x7f800001
	v_bfe_u32 v2, v10, 16, 7
	v_mov_b32_e32 v189, 0
	s_mov_b32 s24, exec_lo
	s_delay_alu instid0(VALU_DEP_2)
	v_cmpx_ne_u32_e32 0x7f, v2
	s_cbranch_execz .LBB270_1833
; %bb.1830:                             ;   in Loop: Header=BB270_16 Depth=1
	v_and_b32_e32 v14, 7, v11
	v_lshrrev_b32_e32 v12, 3, v2
	v_cmp_gt_u32_e64 s1, 8, v2
	s_delay_alu instid0(VALU_DEP_3) | instskip(NEXT) | instid1(VALU_DEP_2)
	v_dual_mov_b32 v2, v14 :: v_dual_mov_b32 v3, v15
	s_and_saveexec_b32 s25, s1
; %bb.1831:                             ;   in Loop: Header=BB270_16 Depth=1
	v_clz_i32_u32_e32 v2, v14
	s_delay_alu instid0(VALU_DEP_1) | instskip(NEXT) | instid1(VALU_DEP_1)
	v_min_u32_e32 v12, 32, v2
	v_subrev_nc_u32_e32 v2, 28, v12
	v_sub_nc_u32_e32 v12, 29, v12
	s_delay_alu instid0(VALU_DEP_2) | instskip(NEXT) | instid1(VALU_DEP_1)
	v_lshlrev_b64 v[2:3], v2, v[14:15]
	v_and_b32_e32 v2, 7, v2
; %bb.1832:                             ;   in Loop: Header=BB270_16 Depth=1
	s_or_b32 exec_lo, exec_lo, s25
	v_lshlrev_b32_e32 v3, 24, v11
	s_delay_alu instid0(VALU_DEP_2) | instskip(SKIP_1) | instid1(VALU_DEP_3)
	v_lshlrev_b32_e32 v2, 20, v2
	v_lshl_add_u32 v11, v12, 23, 0x3c000000
	v_and_b32_e32 v3, 0x80000000, v3
	s_delay_alu instid0(VALU_DEP_1) | instskip(NEXT) | instid1(VALU_DEP_1)
	v_or3_b32 v14, v2, v3, v11
	v_dual_mov_b32 v189, v15 :: v_dual_mov_b32 v188, v14
.LBB270_1833:                           ;   in Loop: Header=BB270_16 Depth=1
	s_or_b32 exec_lo, exec_lo, s24
.LBB270_1834:                           ;   in Loop: Header=BB270_16 Depth=1
	s_delay_alu instid0(SALU_CYCLE_1)
	s_or_b32 exec_lo, exec_lo, s23
.LBB270_1835:                           ;   in Loop: Header=BB270_16 Depth=1
	s_delay_alu instid0(SALU_CYCLE_1) | instskip(NEXT) | instid1(SALU_CYCLE_1)
	s_or_b32 exec_lo, exec_lo, s2
	s_mov_b32 s23, exec_lo
	v_cmpx_lt_u32_e32 0xffffff, v10
	s_cbranch_execz .LBB270_1843
; %bb.1836:                             ;   in Loop: Header=BB270_16 Depth=1
	v_lshrrev_b32_e32 v11, 24, v10
	v_dual_mov_b32 v133, s9 :: v_dual_mov_b32 v132, s8
	s_mov_b32 s24, exec_lo
	s_delay_alu instid0(VALU_DEP_2)
	v_cmpx_ne_u32_e32 0x80, v11
	s_cbranch_execz .LBB270_1842
; %bb.1837:                             ;   in Loop: Header=BB270_16 Depth=1
	s_mov_b32 s2, s8
	v_bfe_u32 v2, v10, 24, 7
	v_dual_mov_b32 v133, s3 :: v_dual_mov_b32 v132, s2
	s_mov_b32 s2, exec_lo
	s_delay_alu instid0(VALU_DEP_2)
	v_cmpx_ne_u32_e32 0x7f, v2
	s_cbranch_execz .LBB270_1841
; %bb.1838:                             ;   in Loop: Header=BB270_16 Depth=1
	v_and_b32_e32 v14, 7, v11
	v_lshrrev_b32_e32 v10, 3, v2
	v_cmp_gt_u32_e64 s1, 8, v2
	s_delay_alu instid0(VALU_DEP_3) | instskip(NEXT) | instid1(VALU_DEP_2)
	v_dual_mov_b32 v2, v14 :: v_dual_mov_b32 v3, v15
	s_and_saveexec_b32 s25, s1
; %bb.1839:                             ;   in Loop: Header=BB270_16 Depth=1
	v_clz_i32_u32_e32 v2, v14
	s_delay_alu instid0(VALU_DEP_1) | instskip(NEXT) | instid1(VALU_DEP_1)
	v_min_u32_e32 v10, 32, v2
	v_subrev_nc_u32_e32 v2, 28, v10
	v_sub_nc_u32_e32 v10, 29, v10
	s_delay_alu instid0(VALU_DEP_2) | instskip(NEXT) | instid1(VALU_DEP_1)
	v_lshlrev_b64 v[2:3], v2, v[14:15]
	v_and_b32_e32 v2, 7, v2
; %bb.1840:                             ;   in Loop: Header=BB270_16 Depth=1
	s_or_b32 exec_lo, exec_lo, s25
	v_dual_mov_b32 v132, v15 :: v_dual_lshlrev_b32 v3, 24, v11
	s_delay_alu instid0(VALU_DEP_2) | instskip(SKIP_1) | instid1(VALU_DEP_3)
	v_lshlrev_b32_e32 v2, 20, v2
	v_lshl_add_u32 v10, v10, 23, 0x3c000000
	v_and_b32_e32 v3, 0x80000000, v3
	s_delay_alu instid0(VALU_DEP_1)
	v_or3_b32 v133, v2, v3, v10
.LBB270_1841:                           ;   in Loop: Header=BB270_16 Depth=1
	s_or_b32 exec_lo, exec_lo, s2
.LBB270_1842:                           ;   in Loop: Header=BB270_16 Depth=1
	s_delay_alu instid0(SALU_CYCLE_1)
	s_or_b32 exec_lo, exec_lo, s24
.LBB270_1843:                           ;   in Loop: Header=BB270_16 Depth=1
	s_delay_alu instid0(SALU_CYCLE_1)
	s_or_b32 exec_lo, exec_lo, s23
	flat_load_b32 v12, v[24:25] offset:3076
	v_mov_b32_e32 v34, 0
	v_mov_b32_e32 v35, 0
	s_mov_b32 s2, exec_lo
	s_waitcnt vmcnt(0) lgkmcnt(0)
	s_delay_alu instid0(VALU_DEP_1) | instskip(SKIP_1) | instid1(VALU_DEP_2)
	v_dual_mov_b32 v145, v35 :: v_dual_and_b32 v2, 0xff, v12
	v_mov_b32_e32 v144, v34
	v_cmpx_ne_u16_e32 0, v2
	s_cbranch_execz .LBB270_1851
; %bb.1844:                             ;   in Loop: Header=BB270_16 Depth=1
	v_bfrev_b32_e32 v144, 1
	v_mov_b32_e32 v145, 0
	s_mov_b32 s23, exec_lo
	v_cmpx_ne_u16_e32 0x80, v2
	s_cbranch_execz .LBB270_1850
; %bb.1845:                             ;   in Loop: Header=BB270_16 Depth=1
	v_mov_b32_e32 v144, 0x7f800001
	v_dual_mov_b32 v145, 0 :: v_dual_and_b32 v2, 0x7f, v12
	s_mov_b32 s24, exec_lo
	s_delay_alu instid0(VALU_DEP_1)
	v_cmpx_ne_u32_e32 0x7f, v2
	s_cbranch_execz .LBB270_1849
; %bb.1846:                             ;   in Loop: Header=BB270_16 Depth=1
	v_and_b32_e32 v14, 7, v12
	v_lshrrev_b32_e32 v10, 3, v2
	v_cmp_gt_u32_e64 s1, 8, v2
	s_delay_alu instid0(VALU_DEP_3) | instskip(NEXT) | instid1(VALU_DEP_2)
	v_dual_mov_b32 v2, v14 :: v_dual_mov_b32 v3, v15
	s_and_saveexec_b32 s25, s1
; %bb.1847:                             ;   in Loop: Header=BB270_16 Depth=1
	v_clz_i32_u32_e32 v2, v14
	s_delay_alu instid0(VALU_DEP_1) | instskip(NEXT) | instid1(VALU_DEP_1)
	v_min_u32_e32 v10, 32, v2
	v_subrev_nc_u32_e32 v2, 28, v10
	v_sub_nc_u32_e32 v10, 29, v10
	s_delay_alu instid0(VALU_DEP_2) | instskip(NEXT) | instid1(VALU_DEP_1)
	v_lshlrev_b64 v[2:3], v2, v[14:15]
	v_and_b32_e32 v2, 7, v2
; %bb.1848:                             ;   in Loop: Header=BB270_16 Depth=1
	s_or_b32 exec_lo, exec_lo, s25
	v_lshlrev_b32_e32 v3, 24, v12
	s_delay_alu instid0(VALU_DEP_2) | instskip(SKIP_1) | instid1(VALU_DEP_3)
	v_lshlrev_b32_e32 v2, 20, v2
	v_lshl_add_u32 v10, v10, 23, 0x3c000000
	v_and_b32_e32 v3, 0x80000000, v3
	s_delay_alu instid0(VALU_DEP_1) | instskip(NEXT) | instid1(VALU_DEP_1)
	v_or3_b32 v14, v2, v3, v10
	v_dual_mov_b32 v145, v15 :: v_dual_mov_b32 v144, v14
.LBB270_1849:                           ;   in Loop: Header=BB270_16 Depth=1
	s_or_b32 exec_lo, exec_lo, s24
.LBB270_1850:                           ;   in Loop: Header=BB270_16 Depth=1
	s_delay_alu instid0(SALU_CYCLE_1)
	s_or_b32 exec_lo, exec_lo, s23
.LBB270_1851:                           ;   in Loop: Header=BB270_16 Depth=1
	s_delay_alu instid0(SALU_CYCLE_1) | instskip(SKIP_2) | instid1(VALU_DEP_1)
	s_or_b32 exec_lo, exec_lo, s2
	v_lshrrev_b16 v2, 8, v12
	s_mov_b32 s23, exec_lo
	v_cmpx_ne_u16_e32 0, v2
	s_cbranch_execz .LBB270_1859
; %bb.1852:                             ;   in Loop: Header=BB270_16 Depth=1
	v_dual_mov_b32 v35, s9 :: v_dual_mov_b32 v34, s8
	s_mov_b32 s24, exec_lo
	v_cmpx_ne_u16_e32 0x80, v2
	s_cbranch_execz .LBB270_1858
; %bb.1853:                             ;   in Loop: Header=BB270_16 Depth=1
	s_mov_b32 s2, s8
	v_and_b32_e32 v3, 0xffff, v2
	v_dual_mov_b32 v35, s3 :: v_dual_mov_b32 v34, s2
	s_mov_b32 s2, exec_lo
	s_delay_alu instid0(VALU_DEP_2) | instskip(NEXT) | instid1(VALU_DEP_1)
	v_and_b32_e32 v2, 0x7f, v3
	v_cmpx_ne_u32_e32 0x7f, v2
	s_cbranch_execz .LBB270_1857
; %bb.1854:                             ;   in Loop: Header=BB270_16 Depth=1
	v_and_b32_e32 v14, 7, v3
	v_lshrrev_b32_e32 v10, 3, v2
	v_cmp_gt_u32_e64 s1, 8, v2
	s_delay_alu instid0(VALU_DEP_3) | instskip(NEXT) | instid1(VALU_DEP_2)
	v_dual_mov_b32 v2, v14 :: v_dual_mov_b32 v3, v15
	s_and_saveexec_b32 s25, s1
; %bb.1855:                             ;   in Loop: Header=BB270_16 Depth=1
	v_clz_i32_u32_e32 v2, v14
	s_delay_alu instid0(VALU_DEP_1) | instskip(NEXT) | instid1(VALU_DEP_1)
	v_min_u32_e32 v10, 32, v2
	v_subrev_nc_u32_e32 v2, 28, v10
	v_sub_nc_u32_e32 v10, 29, v10
	s_delay_alu instid0(VALU_DEP_2) | instskip(NEXT) | instid1(VALU_DEP_1)
	v_lshlrev_b64 v[2:3], v2, v[14:15]
	v_and_b32_e32 v2, 7, v2
; %bb.1856:                             ;   in Loop: Header=BB270_16 Depth=1
	s_or_b32 exec_lo, exec_lo, s25
	v_dual_mov_b32 v34, v15 :: v_dual_lshlrev_b32 v3, 16, v12
	s_delay_alu instid0(VALU_DEP_2) | instskip(SKIP_1) | instid1(VALU_DEP_3)
	v_lshlrev_b32_e32 v2, 20, v2
	v_lshl_add_u32 v10, v10, 23, 0x3c000000
	v_and_b32_e32 v3, 0x80000000, v3
	s_delay_alu instid0(VALU_DEP_1)
	v_or3_b32 v35, v2, v3, v10
.LBB270_1857:                           ;   in Loop: Header=BB270_16 Depth=1
	s_or_b32 exec_lo, exec_lo, s2
.LBB270_1858:                           ;   in Loop: Header=BB270_16 Depth=1
	s_delay_alu instid0(SALU_CYCLE_1)
	s_or_b32 exec_lo, exec_lo, s24
.LBB270_1859:                           ;   in Loop: Header=BB270_16 Depth=1
	s_delay_alu instid0(SALU_CYCLE_1) | instskip(SKIP_4) | instid1(VALU_DEP_1)
	s_or_b32 exec_lo, exec_lo, s23
	v_mov_b32_e32 v10, 0
	v_lshrrev_b32_e32 v13, 16, v12
	v_mov_b32_e32 v11, 0
	s_mov_b32 s2, exec_lo
	v_dual_mov_b32 v143, v11 :: v_dual_and_b32 v2, 0xff, v13
	v_mov_b32_e32 v142, v10
	s_delay_alu instid0(VALU_DEP_2)
	v_cmpx_ne_u16_e32 0, v2
	s_cbranch_execz .LBB270_1867
; %bb.1860:                             ;   in Loop: Header=BB270_16 Depth=1
	v_bfrev_b32_e32 v142, 1
	v_mov_b32_e32 v143, 0
	s_mov_b32 s23, exec_lo
	v_cmpx_ne_u16_e32 0x80, v2
	s_cbranch_execz .LBB270_1866
; %bb.1861:                             ;   in Loop: Header=BB270_16 Depth=1
	v_mov_b32_e32 v142, 0x7f800001
	v_bfe_u32 v2, v12, 16, 7
	v_mov_b32_e32 v143, 0
	s_mov_b32 s24, exec_lo
	s_delay_alu instid0(VALU_DEP_2)
	v_cmpx_ne_u32_e32 0x7f, v2
	s_cbranch_execz .LBB270_1865
; %bb.1862:                             ;   in Loop: Header=BB270_16 Depth=1
	v_and_b32_e32 v14, 7, v13
	v_lshrrev_b32_e32 v16, 3, v2
	v_cmp_gt_u32_e64 s1, 8, v2
	s_delay_alu instid0(VALU_DEP_3) | instskip(NEXT) | instid1(VALU_DEP_2)
	v_dual_mov_b32 v2, v14 :: v_dual_mov_b32 v3, v15
	s_and_saveexec_b32 s25, s1
; %bb.1863:                             ;   in Loop: Header=BB270_16 Depth=1
	v_clz_i32_u32_e32 v2, v14
	s_delay_alu instid0(VALU_DEP_1) | instskip(NEXT) | instid1(VALU_DEP_1)
	v_min_u32_e32 v16, 32, v2
	v_subrev_nc_u32_e32 v2, 28, v16
	v_sub_nc_u32_e32 v16, 29, v16
	s_delay_alu instid0(VALU_DEP_2) | instskip(NEXT) | instid1(VALU_DEP_1)
	v_lshlrev_b64 v[2:3], v2, v[14:15]
	v_and_b32_e32 v2, 7, v2
; %bb.1864:                             ;   in Loop: Header=BB270_16 Depth=1
	s_or_b32 exec_lo, exec_lo, s25
	v_lshlrev_b32_e32 v3, 24, v13
	s_delay_alu instid0(VALU_DEP_2) | instskip(SKIP_1) | instid1(VALU_DEP_3)
	v_lshlrev_b32_e32 v2, 20, v2
	v_lshl_add_u32 v13, v16, 23, 0x3c000000
	v_and_b32_e32 v3, 0x80000000, v3
	s_delay_alu instid0(VALU_DEP_1) | instskip(NEXT) | instid1(VALU_DEP_1)
	v_or3_b32 v14, v2, v3, v13
	v_dual_mov_b32 v143, v15 :: v_dual_mov_b32 v142, v14
.LBB270_1865:                           ;   in Loop: Header=BB270_16 Depth=1
	s_or_b32 exec_lo, exec_lo, s24
.LBB270_1866:                           ;   in Loop: Header=BB270_16 Depth=1
	s_delay_alu instid0(SALU_CYCLE_1)
	s_or_b32 exec_lo, exec_lo, s23
.LBB270_1867:                           ;   in Loop: Header=BB270_16 Depth=1
	s_delay_alu instid0(SALU_CYCLE_1) | instskip(NEXT) | instid1(SALU_CYCLE_1)
	s_or_b32 exec_lo, exec_lo, s2
	s_mov_b32 s23, exec_lo
	v_cmpx_lt_u32_e32 0xffffff, v12
	s_cbranch_execz .LBB270_1875
; %bb.1868:                             ;   in Loop: Header=BB270_16 Depth=1
	v_lshrrev_b32_e32 v13, 24, v12
	v_dual_mov_b32 v11, s9 :: v_dual_mov_b32 v10, s8
	s_mov_b32 s24, exec_lo
	s_delay_alu instid0(VALU_DEP_2)
	v_cmpx_ne_u32_e32 0x80, v13
	s_cbranch_execz .LBB270_1874
; %bb.1869:                             ;   in Loop: Header=BB270_16 Depth=1
	s_mov_b32 s2, s8
	v_bfe_u32 v2, v12, 24, 7
	v_dual_mov_b32 v11, s3 :: v_dual_mov_b32 v10, s2
	s_mov_b32 s2, exec_lo
	s_delay_alu instid0(VALU_DEP_2)
	v_cmpx_ne_u32_e32 0x7f, v2
	s_cbranch_execz .LBB270_1873
; %bb.1870:                             ;   in Loop: Header=BB270_16 Depth=1
	v_and_b32_e32 v14, 7, v13
	v_lshrrev_b32_e32 v10, 3, v2
	v_cmp_gt_u32_e64 s1, 8, v2
	s_delay_alu instid0(VALU_DEP_3) | instskip(NEXT) | instid1(VALU_DEP_2)
	v_dual_mov_b32 v2, v14 :: v_dual_mov_b32 v3, v15
	s_and_saveexec_b32 s25, s1
; %bb.1871:                             ;   in Loop: Header=BB270_16 Depth=1
	v_clz_i32_u32_e32 v2, v14
	s_delay_alu instid0(VALU_DEP_1) | instskip(NEXT) | instid1(VALU_DEP_1)
	v_min_u32_e32 v10, 32, v2
	v_subrev_nc_u32_e32 v2, 28, v10
	v_sub_nc_u32_e32 v10, 29, v10
	s_delay_alu instid0(VALU_DEP_2) | instskip(NEXT) | instid1(VALU_DEP_1)
	v_lshlrev_b64 v[2:3], v2, v[14:15]
	v_and_b32_e32 v2, 7, v2
; %bb.1872:                             ;   in Loop: Header=BB270_16 Depth=1
	s_or_b32 exec_lo, exec_lo, s25
	v_lshlrev_b32_e32 v3, 24, v13
	s_delay_alu instid0(VALU_DEP_2) | instskip(SKIP_1) | instid1(VALU_DEP_3)
	v_lshlrev_b32_e32 v2, 20, v2
	v_lshl_add_u32 v10, v10, 23, 0x3c000000
	v_and_b32_e32 v3, 0x80000000, v3
	s_delay_alu instid0(VALU_DEP_1)
	v_or3_b32 v11, v2, v3, v10
	v_mov_b32_e32 v10, v15
.LBB270_1873:                           ;   in Loop: Header=BB270_16 Depth=1
	s_or_b32 exec_lo, exec_lo, s2
.LBB270_1874:                           ;   in Loop: Header=BB270_16 Depth=1
	s_delay_alu instid0(SALU_CYCLE_1)
	s_or_b32 exec_lo, exec_lo, s24
.LBB270_1875:                           ;   in Loop: Header=BB270_16 Depth=1
	s_delay_alu instid0(SALU_CYCLE_1)
	s_or_b32 exec_lo, exec_lo, s23
	flat_load_b32 v12, v[24:25] offset:3080
	v_mov_b32_e32 v16, 0
	v_mov_b32_e32 v17, 0
	s_mov_b32 s2, exec_lo
	s_waitcnt vmcnt(0) lgkmcnt(0)
	s_delay_alu instid0(VALU_DEP_1) | instskip(SKIP_1) | instid1(VALU_DEP_2)
	v_dual_mov_b32 v155, v17 :: v_dual_and_b32 v2, 0xff, v12
	v_mov_b32_e32 v154, v16
	v_cmpx_ne_u16_e32 0, v2
	s_cbranch_execz .LBB270_1883
; %bb.1876:                             ;   in Loop: Header=BB270_16 Depth=1
	v_bfrev_b32_e32 v154, 1
	v_mov_b32_e32 v155, 0
	s_mov_b32 s23, exec_lo
	v_cmpx_ne_u16_e32 0x80, v2
	s_cbranch_execz .LBB270_1882
; %bb.1877:                             ;   in Loop: Header=BB270_16 Depth=1
	v_mov_b32_e32 v154, 0x7f800001
	v_dual_mov_b32 v155, 0 :: v_dual_and_b32 v2, 0x7f, v12
	s_mov_b32 s24, exec_lo
	s_delay_alu instid0(VALU_DEP_1)
	v_cmpx_ne_u32_e32 0x7f, v2
	s_cbranch_execz .LBB270_1881
; %bb.1878:                             ;   in Loop: Header=BB270_16 Depth=1
	v_and_b32_e32 v14, 7, v12
	v_lshrrev_b32_e32 v13, 3, v2
	v_cmp_gt_u32_e64 s1, 8, v2
	s_delay_alu instid0(VALU_DEP_3) | instskip(NEXT) | instid1(VALU_DEP_2)
	v_dual_mov_b32 v2, v14 :: v_dual_mov_b32 v3, v15
	s_and_saveexec_b32 s25, s1
; %bb.1879:                             ;   in Loop: Header=BB270_16 Depth=1
	v_clz_i32_u32_e32 v2, v14
	s_delay_alu instid0(VALU_DEP_1) | instskip(NEXT) | instid1(VALU_DEP_1)
	v_min_u32_e32 v13, 32, v2
	v_subrev_nc_u32_e32 v2, 28, v13
	v_sub_nc_u32_e32 v13, 29, v13
	s_delay_alu instid0(VALU_DEP_2) | instskip(NEXT) | instid1(VALU_DEP_1)
	v_lshlrev_b64 v[2:3], v2, v[14:15]
	v_and_b32_e32 v2, 7, v2
; %bb.1880:                             ;   in Loop: Header=BB270_16 Depth=1
	s_or_b32 exec_lo, exec_lo, s25
	v_lshlrev_b32_e32 v3, 24, v12
	s_delay_alu instid0(VALU_DEP_2) | instskip(SKIP_1) | instid1(VALU_DEP_3)
	v_lshlrev_b32_e32 v2, 20, v2
	v_lshl_add_u32 v13, v13, 23, 0x3c000000
	v_and_b32_e32 v3, 0x80000000, v3
	s_delay_alu instid0(VALU_DEP_1) | instskip(NEXT) | instid1(VALU_DEP_1)
	v_or3_b32 v14, v2, v3, v13
	v_dual_mov_b32 v155, v15 :: v_dual_mov_b32 v154, v14
.LBB270_1881:                           ;   in Loop: Header=BB270_16 Depth=1
	s_or_b32 exec_lo, exec_lo, s24
.LBB270_1882:                           ;   in Loop: Header=BB270_16 Depth=1
	s_delay_alu instid0(SALU_CYCLE_1)
	s_or_b32 exec_lo, exec_lo, s23
.LBB270_1883:                           ;   in Loop: Header=BB270_16 Depth=1
	s_delay_alu instid0(SALU_CYCLE_1) | instskip(SKIP_2) | instid1(VALU_DEP_1)
	s_or_b32 exec_lo, exec_lo, s2
	v_lshrrev_b16 v2, 8, v12
	s_mov_b32 s23, exec_lo
	v_cmpx_ne_u16_e32 0, v2
	s_cbranch_execz .LBB270_1891
; %bb.1884:                             ;   in Loop: Header=BB270_16 Depth=1
	v_dual_mov_b32 v17, s9 :: v_dual_mov_b32 v16, s8
	s_mov_b32 s24, exec_lo
	v_cmpx_ne_u16_e32 0x80, v2
	s_cbranch_execz .LBB270_1890
; %bb.1885:                             ;   in Loop: Header=BB270_16 Depth=1
	s_mov_b32 s2, s8
	v_and_b32_e32 v3, 0xffff, v2
	v_dual_mov_b32 v17, s3 :: v_dual_mov_b32 v16, s2
	s_mov_b32 s2, exec_lo
	s_delay_alu instid0(VALU_DEP_2) | instskip(NEXT) | instid1(VALU_DEP_1)
	v_and_b32_e32 v2, 0x7f, v3
	v_cmpx_ne_u32_e32 0x7f, v2
	s_cbranch_execz .LBB270_1889
; %bb.1886:                             ;   in Loop: Header=BB270_16 Depth=1
	v_and_b32_e32 v14, 7, v3
	v_lshrrev_b32_e32 v13, 3, v2
	v_cmp_gt_u32_e64 s1, 8, v2
	s_delay_alu instid0(VALU_DEP_3) | instskip(NEXT) | instid1(VALU_DEP_2)
	v_dual_mov_b32 v2, v14 :: v_dual_mov_b32 v3, v15
	s_and_saveexec_b32 s25, s1
; %bb.1887:                             ;   in Loop: Header=BB270_16 Depth=1
	v_clz_i32_u32_e32 v2, v14
	s_delay_alu instid0(VALU_DEP_1) | instskip(NEXT) | instid1(VALU_DEP_1)
	v_min_u32_e32 v13, 32, v2
	v_subrev_nc_u32_e32 v2, 28, v13
	v_sub_nc_u32_e32 v13, 29, v13
	s_delay_alu instid0(VALU_DEP_2) | instskip(NEXT) | instid1(VALU_DEP_1)
	v_lshlrev_b64 v[2:3], v2, v[14:15]
	v_and_b32_e32 v2, 7, v2
; %bb.1888:                             ;   in Loop: Header=BB270_16 Depth=1
	s_or_b32 exec_lo, exec_lo, s25
	v_dual_mov_b32 v16, v15 :: v_dual_lshlrev_b32 v3, 16, v12
	s_delay_alu instid0(VALU_DEP_2) | instskip(SKIP_1) | instid1(VALU_DEP_3)
	v_lshlrev_b32_e32 v2, 20, v2
	v_lshl_add_u32 v13, v13, 23, 0x3c000000
	v_and_b32_e32 v3, 0x80000000, v3
	s_delay_alu instid0(VALU_DEP_1)
	v_or3_b32 v17, v2, v3, v13
.LBB270_1889:                           ;   in Loop: Header=BB270_16 Depth=1
	s_or_b32 exec_lo, exec_lo, s2
.LBB270_1890:                           ;   in Loop: Header=BB270_16 Depth=1
	s_delay_alu instid0(SALU_CYCLE_1)
	s_or_b32 exec_lo, exec_lo, s24
.LBB270_1891:                           ;   in Loop: Header=BB270_16 Depth=1
	s_delay_alu instid0(SALU_CYCLE_1) | instskip(SKIP_4) | instid1(VALU_DEP_1)
	s_or_b32 exec_lo, exec_lo, s23
	v_mov_b32_e32 v48, 0
	v_lshrrev_b32_e32 v13, 16, v12
	v_mov_b32_e32 v49, 0
	s_mov_b32 s2, exec_lo
	v_dual_mov_b32 v167, v49 :: v_dual_and_b32 v2, 0xff, v13
	v_mov_b32_e32 v166, v48
	s_delay_alu instid0(VALU_DEP_2)
	v_cmpx_ne_u16_e32 0, v2
	s_cbranch_execz .LBB270_1899
; %bb.1892:                             ;   in Loop: Header=BB270_16 Depth=1
	v_bfrev_b32_e32 v166, 1
	v_mov_b32_e32 v167, 0
	s_mov_b32 s23, exec_lo
	v_cmpx_ne_u16_e32 0x80, v2
	s_cbranch_execz .LBB270_1898
; %bb.1893:                             ;   in Loop: Header=BB270_16 Depth=1
	v_mov_b32_e32 v166, 0x7f800001
	v_bfe_u32 v2, v12, 16, 7
	v_mov_b32_e32 v167, 0
	s_mov_b32 s24, exec_lo
	s_delay_alu instid0(VALU_DEP_2)
	v_cmpx_ne_u32_e32 0x7f, v2
	s_cbranch_execz .LBB270_1897
; %bb.1894:                             ;   in Loop: Header=BB270_16 Depth=1
	v_and_b32_e32 v14, 7, v13
	v_lshrrev_b32_e32 v20, 3, v2
	v_cmp_gt_u32_e64 s1, 8, v2
	s_delay_alu instid0(VALU_DEP_3) | instskip(NEXT) | instid1(VALU_DEP_2)
	v_dual_mov_b32 v2, v14 :: v_dual_mov_b32 v3, v15
	s_and_saveexec_b32 s25, s1
; %bb.1895:                             ;   in Loop: Header=BB270_16 Depth=1
	v_clz_i32_u32_e32 v2, v14
	s_delay_alu instid0(VALU_DEP_1) | instskip(NEXT) | instid1(VALU_DEP_1)
	v_min_u32_e32 v20, 32, v2
	v_subrev_nc_u32_e32 v2, 28, v20
	v_sub_nc_u32_e32 v20, 29, v20
	s_delay_alu instid0(VALU_DEP_2) | instskip(NEXT) | instid1(VALU_DEP_1)
	v_lshlrev_b64 v[2:3], v2, v[14:15]
	v_and_b32_e32 v2, 7, v2
; %bb.1896:                             ;   in Loop: Header=BB270_16 Depth=1
	s_or_b32 exec_lo, exec_lo, s25
	v_lshlrev_b32_e32 v3, 24, v13
	s_delay_alu instid0(VALU_DEP_2) | instskip(SKIP_1) | instid1(VALU_DEP_3)
	v_lshlrev_b32_e32 v2, 20, v2
	v_lshl_add_u32 v13, v20, 23, 0x3c000000
	v_and_b32_e32 v3, 0x80000000, v3
	s_delay_alu instid0(VALU_DEP_1) | instskip(NEXT) | instid1(VALU_DEP_1)
	v_or3_b32 v14, v2, v3, v13
	v_dual_mov_b32 v167, v15 :: v_dual_mov_b32 v166, v14
.LBB270_1897:                           ;   in Loop: Header=BB270_16 Depth=1
	s_or_b32 exec_lo, exec_lo, s24
.LBB270_1898:                           ;   in Loop: Header=BB270_16 Depth=1
	s_delay_alu instid0(SALU_CYCLE_1)
	s_or_b32 exec_lo, exec_lo, s23
.LBB270_1899:                           ;   in Loop: Header=BB270_16 Depth=1
	s_delay_alu instid0(SALU_CYCLE_1) | instskip(NEXT) | instid1(SALU_CYCLE_1)
	s_or_b32 exec_lo, exec_lo, s2
	s_mov_b32 s23, exec_lo
	v_cmpx_lt_u32_e32 0xffffff, v12
	s_cbranch_execz .LBB270_1907
; %bb.1900:                             ;   in Loop: Header=BB270_16 Depth=1
	v_lshrrev_b32_e32 v13, 24, v12
	v_dual_mov_b32 v49, s9 :: v_dual_mov_b32 v48, s8
	s_mov_b32 s24, exec_lo
	s_delay_alu instid0(VALU_DEP_2)
	v_cmpx_ne_u32_e32 0x80, v13
	s_cbranch_execz .LBB270_1906
; %bb.1901:                             ;   in Loop: Header=BB270_16 Depth=1
	s_mov_b32 s2, s8
	v_bfe_u32 v2, v12, 24, 7
	v_dual_mov_b32 v49, s3 :: v_dual_mov_b32 v48, s2
	s_mov_b32 s2, exec_lo
	s_delay_alu instid0(VALU_DEP_2)
	v_cmpx_ne_u32_e32 0x7f, v2
	s_cbranch_execz .LBB270_1905
; %bb.1902:                             ;   in Loop: Header=BB270_16 Depth=1
	v_and_b32_e32 v14, 7, v13
	v_lshrrev_b32_e32 v12, 3, v2
	v_cmp_gt_u32_e64 s1, 8, v2
	s_delay_alu instid0(VALU_DEP_3) | instskip(NEXT) | instid1(VALU_DEP_2)
	v_dual_mov_b32 v2, v14 :: v_dual_mov_b32 v3, v15
	s_and_saveexec_b32 s25, s1
; %bb.1903:                             ;   in Loop: Header=BB270_16 Depth=1
	v_clz_i32_u32_e32 v2, v14
	s_delay_alu instid0(VALU_DEP_1) | instskip(NEXT) | instid1(VALU_DEP_1)
	v_min_u32_e32 v12, 32, v2
	v_subrev_nc_u32_e32 v2, 28, v12
	v_sub_nc_u32_e32 v12, 29, v12
	s_delay_alu instid0(VALU_DEP_2) | instskip(NEXT) | instid1(VALU_DEP_1)
	v_lshlrev_b64 v[2:3], v2, v[14:15]
	v_and_b32_e32 v2, 7, v2
; %bb.1904:                             ;   in Loop: Header=BB270_16 Depth=1
	s_or_b32 exec_lo, exec_lo, s25
	v_dual_mov_b32 v48, v15 :: v_dual_lshlrev_b32 v3, 24, v13
	s_delay_alu instid0(VALU_DEP_2) | instskip(SKIP_1) | instid1(VALU_DEP_3)
	v_lshlrev_b32_e32 v2, 20, v2
	v_lshl_add_u32 v12, v12, 23, 0x3c000000
	v_and_b32_e32 v3, 0x80000000, v3
	s_delay_alu instid0(VALU_DEP_1)
	v_or3_b32 v49, v2, v3, v12
.LBB270_1905:                           ;   in Loop: Header=BB270_16 Depth=1
	s_or_b32 exec_lo, exec_lo, s2
.LBB270_1906:                           ;   in Loop: Header=BB270_16 Depth=1
	s_delay_alu instid0(SALU_CYCLE_1)
	s_or_b32 exec_lo, exec_lo, s24
.LBB270_1907:                           ;   in Loop: Header=BB270_16 Depth=1
	s_delay_alu instid0(SALU_CYCLE_1)
	s_or_b32 exec_lo, exec_lo, s23
	flat_load_b32 v12, v[24:25] offset:3084
	v_mov_b32_e32 v158, 0
	v_mov_b32_e32 v159, 0
	s_mov_b32 s2, exec_lo
	s_waitcnt vmcnt(0) lgkmcnt(0)
	s_delay_alu instid0(VALU_DEP_1) | instskip(SKIP_1) | instid1(VALU_DEP_2)
	v_dual_mov_b32 v179, v159 :: v_dual_and_b32 v2, 0xff, v12
	v_mov_b32_e32 v178, v158
	v_cmpx_ne_u16_e32 0, v2
	s_cbranch_execz .LBB270_1915
; %bb.1908:                             ;   in Loop: Header=BB270_16 Depth=1
	v_bfrev_b32_e32 v178, 1
	v_mov_b32_e32 v179, 0
	s_mov_b32 s23, exec_lo
	v_cmpx_ne_u16_e32 0x80, v2
	s_cbranch_execz .LBB270_1914
; %bb.1909:                             ;   in Loop: Header=BB270_16 Depth=1
	v_mov_b32_e32 v178, 0x7f800001
	v_dual_mov_b32 v179, 0 :: v_dual_and_b32 v2, 0x7f, v12
	s_mov_b32 s24, exec_lo
	s_delay_alu instid0(VALU_DEP_1)
	v_cmpx_ne_u32_e32 0x7f, v2
	s_cbranch_execz .LBB270_1913
; %bb.1910:                             ;   in Loop: Header=BB270_16 Depth=1
	v_and_b32_e32 v14, 7, v12
	v_lshrrev_b32_e32 v13, 3, v2
	v_cmp_gt_u32_e64 s1, 8, v2
	s_delay_alu instid0(VALU_DEP_3) | instskip(NEXT) | instid1(VALU_DEP_2)
	v_dual_mov_b32 v2, v14 :: v_dual_mov_b32 v3, v15
	s_and_saveexec_b32 s25, s1
; %bb.1911:                             ;   in Loop: Header=BB270_16 Depth=1
	v_clz_i32_u32_e32 v2, v14
	s_delay_alu instid0(VALU_DEP_1) | instskip(NEXT) | instid1(VALU_DEP_1)
	v_min_u32_e32 v13, 32, v2
	v_subrev_nc_u32_e32 v2, 28, v13
	v_sub_nc_u32_e32 v13, 29, v13
	s_delay_alu instid0(VALU_DEP_2) | instskip(NEXT) | instid1(VALU_DEP_1)
	v_lshlrev_b64 v[2:3], v2, v[14:15]
	v_and_b32_e32 v2, 7, v2
; %bb.1912:                             ;   in Loop: Header=BB270_16 Depth=1
	s_or_b32 exec_lo, exec_lo, s25
	v_lshlrev_b32_e32 v3, 24, v12
	s_delay_alu instid0(VALU_DEP_2) | instskip(SKIP_1) | instid1(VALU_DEP_3)
	v_lshlrev_b32_e32 v2, 20, v2
	v_lshl_add_u32 v13, v13, 23, 0x3c000000
	v_and_b32_e32 v3, 0x80000000, v3
	s_delay_alu instid0(VALU_DEP_1) | instskip(NEXT) | instid1(VALU_DEP_1)
	v_or3_b32 v14, v2, v3, v13
	v_dual_mov_b32 v179, v15 :: v_dual_mov_b32 v178, v14
.LBB270_1913:                           ;   in Loop: Header=BB270_16 Depth=1
	s_or_b32 exec_lo, exec_lo, s24
.LBB270_1914:                           ;   in Loop: Header=BB270_16 Depth=1
	s_delay_alu instid0(SALU_CYCLE_1)
	s_or_b32 exec_lo, exec_lo, s23
.LBB270_1915:                           ;   in Loop: Header=BB270_16 Depth=1
	s_delay_alu instid0(SALU_CYCLE_1) | instskip(SKIP_2) | instid1(VALU_DEP_1)
	s_or_b32 exec_lo, exec_lo, s2
	v_lshrrev_b16 v2, 8, v12
	s_mov_b32 s23, exec_lo
	v_cmpx_ne_u16_e32 0, v2
	s_cbranch_execz .LBB270_1923
; %bb.1916:                             ;   in Loop: Header=BB270_16 Depth=1
	v_dual_mov_b32 v159, s9 :: v_dual_mov_b32 v158, s8
	s_mov_b32 s24, exec_lo
	v_cmpx_ne_u16_e32 0x80, v2
	s_cbranch_execz .LBB270_1922
; %bb.1917:                             ;   in Loop: Header=BB270_16 Depth=1
	s_mov_b32 s2, s8
	v_and_b32_e32 v3, 0xffff, v2
	v_dual_mov_b32 v159, s3 :: v_dual_mov_b32 v158, s2
	s_mov_b32 s2, exec_lo
	s_delay_alu instid0(VALU_DEP_2) | instskip(NEXT) | instid1(VALU_DEP_1)
	v_and_b32_e32 v2, 0x7f, v3
	v_cmpx_ne_u32_e32 0x7f, v2
	s_cbranch_execz .LBB270_1921
; %bb.1918:                             ;   in Loop: Header=BB270_16 Depth=1
	v_and_b32_e32 v14, 7, v3
	v_lshrrev_b32_e32 v13, 3, v2
	v_cmp_gt_u32_e64 s1, 8, v2
	s_delay_alu instid0(VALU_DEP_3) | instskip(NEXT) | instid1(VALU_DEP_2)
	v_dual_mov_b32 v2, v14 :: v_dual_mov_b32 v3, v15
	s_and_saveexec_b32 s25, s1
; %bb.1919:                             ;   in Loop: Header=BB270_16 Depth=1
	v_clz_i32_u32_e32 v2, v14
	s_delay_alu instid0(VALU_DEP_1) | instskip(NEXT) | instid1(VALU_DEP_1)
	v_min_u32_e32 v13, 32, v2
	v_subrev_nc_u32_e32 v2, 28, v13
	v_sub_nc_u32_e32 v13, 29, v13
	s_delay_alu instid0(VALU_DEP_2) | instskip(NEXT) | instid1(VALU_DEP_1)
	v_lshlrev_b64 v[2:3], v2, v[14:15]
	v_and_b32_e32 v2, 7, v2
; %bb.1920:                             ;   in Loop: Header=BB270_16 Depth=1
	s_or_b32 exec_lo, exec_lo, s25
	v_dual_mov_b32 v158, v15 :: v_dual_lshlrev_b32 v3, 16, v12
	s_delay_alu instid0(VALU_DEP_2) | instskip(SKIP_1) | instid1(VALU_DEP_3)
	v_lshlrev_b32_e32 v2, 20, v2
	v_lshl_add_u32 v13, v13, 23, 0x3c000000
	v_and_b32_e32 v3, 0x80000000, v3
	s_delay_alu instid0(VALU_DEP_1)
	v_or3_b32 v159, v2, v3, v13
.LBB270_1921:                           ;   in Loop: Header=BB270_16 Depth=1
	s_or_b32 exec_lo, exec_lo, s2
.LBB270_1922:                           ;   in Loop: Header=BB270_16 Depth=1
	s_delay_alu instid0(SALU_CYCLE_1)
	s_or_b32 exec_lo, exec_lo, s24
.LBB270_1923:                           ;   in Loop: Header=BB270_16 Depth=1
	s_delay_alu instid0(SALU_CYCLE_1) | instskip(SKIP_4) | instid1(VALU_DEP_1)
	s_or_b32 exec_lo, exec_lo, s23
	v_mov_b32_e32 v170, 0
	v_lshrrev_b32_e32 v13, 16, v12
	v_mov_b32_e32 v171, 0
	s_mov_b32 s2, exec_lo
	v_dual_mov_b32 v183, v171 :: v_dual_and_b32 v2, 0xff, v13
	v_mov_b32_e32 v182, v170
	s_delay_alu instid0(VALU_DEP_2)
	v_cmpx_ne_u16_e32 0, v2
	s_cbranch_execz .LBB270_1931
; %bb.1924:                             ;   in Loop: Header=BB270_16 Depth=1
	v_bfrev_b32_e32 v182, 1
	v_mov_b32_e32 v183, 0
	s_mov_b32 s23, exec_lo
	v_cmpx_ne_u16_e32 0x80, v2
	s_cbranch_execz .LBB270_1930
; %bb.1925:                             ;   in Loop: Header=BB270_16 Depth=1
	v_mov_b32_e32 v182, 0x7f800001
	v_bfe_u32 v2, v12, 16, 7
	v_mov_b32_e32 v183, 0
	s_mov_b32 s24, exec_lo
	s_delay_alu instid0(VALU_DEP_2)
	v_cmpx_ne_u32_e32 0x7f, v2
	s_cbranch_execz .LBB270_1929
; %bb.1926:                             ;   in Loop: Header=BB270_16 Depth=1
	v_and_b32_e32 v14, 7, v13
	v_lshrrev_b32_e32 v20, 3, v2
	v_cmp_gt_u32_e64 s1, 8, v2
	s_delay_alu instid0(VALU_DEP_3) | instskip(NEXT) | instid1(VALU_DEP_2)
	v_dual_mov_b32 v2, v14 :: v_dual_mov_b32 v3, v15
	s_and_saveexec_b32 s25, s1
; %bb.1927:                             ;   in Loop: Header=BB270_16 Depth=1
	v_clz_i32_u32_e32 v2, v14
	s_delay_alu instid0(VALU_DEP_1) | instskip(NEXT) | instid1(VALU_DEP_1)
	v_min_u32_e32 v20, 32, v2
	v_subrev_nc_u32_e32 v2, 28, v20
	v_sub_nc_u32_e32 v20, 29, v20
	s_delay_alu instid0(VALU_DEP_2) | instskip(NEXT) | instid1(VALU_DEP_1)
	v_lshlrev_b64 v[2:3], v2, v[14:15]
	v_and_b32_e32 v2, 7, v2
; %bb.1928:                             ;   in Loop: Header=BB270_16 Depth=1
	s_or_b32 exec_lo, exec_lo, s25
	v_lshlrev_b32_e32 v3, 24, v13
	s_delay_alu instid0(VALU_DEP_2) | instskip(SKIP_1) | instid1(VALU_DEP_3)
	v_lshlrev_b32_e32 v2, 20, v2
	v_lshl_add_u32 v13, v20, 23, 0x3c000000
	v_and_b32_e32 v3, 0x80000000, v3
	s_delay_alu instid0(VALU_DEP_1) | instskip(NEXT) | instid1(VALU_DEP_1)
	v_or3_b32 v14, v2, v3, v13
	v_dual_mov_b32 v183, v15 :: v_dual_mov_b32 v182, v14
.LBB270_1929:                           ;   in Loop: Header=BB270_16 Depth=1
	s_or_b32 exec_lo, exec_lo, s24
.LBB270_1930:                           ;   in Loop: Header=BB270_16 Depth=1
	s_delay_alu instid0(SALU_CYCLE_1)
	s_or_b32 exec_lo, exec_lo, s23
.LBB270_1931:                           ;   in Loop: Header=BB270_16 Depth=1
	s_delay_alu instid0(SALU_CYCLE_1) | instskip(NEXT) | instid1(SALU_CYCLE_1)
	s_or_b32 exec_lo, exec_lo, s2
	s_mov_b32 s23, exec_lo
	v_cmpx_lt_u32_e32 0xffffff, v12
	s_cbranch_execz .LBB270_1939
; %bb.1932:                             ;   in Loop: Header=BB270_16 Depth=1
	v_lshrrev_b32_e32 v13, 24, v12
	v_dual_mov_b32 v171, s9 :: v_dual_mov_b32 v170, s8
	s_mov_b32 s24, exec_lo
	s_delay_alu instid0(VALU_DEP_2)
	v_cmpx_ne_u32_e32 0x80, v13
	s_cbranch_execz .LBB270_1938
; %bb.1933:                             ;   in Loop: Header=BB270_16 Depth=1
	s_mov_b32 s2, s8
	v_bfe_u32 v2, v12, 24, 7
	v_dual_mov_b32 v171, s3 :: v_dual_mov_b32 v170, s2
	s_mov_b32 s2, exec_lo
	s_delay_alu instid0(VALU_DEP_2)
	v_cmpx_ne_u32_e32 0x7f, v2
	s_cbranch_execz .LBB270_1937
; %bb.1934:                             ;   in Loop: Header=BB270_16 Depth=1
	v_and_b32_e32 v14, 7, v13
	v_lshrrev_b32_e32 v12, 3, v2
	v_cmp_gt_u32_e64 s1, 8, v2
	s_delay_alu instid0(VALU_DEP_3) | instskip(NEXT) | instid1(VALU_DEP_2)
	v_dual_mov_b32 v2, v14 :: v_dual_mov_b32 v3, v15
	s_and_saveexec_b32 s25, s1
; %bb.1935:                             ;   in Loop: Header=BB270_16 Depth=1
	v_clz_i32_u32_e32 v2, v14
	s_delay_alu instid0(VALU_DEP_1) | instskip(NEXT) | instid1(VALU_DEP_1)
	v_min_u32_e32 v12, 32, v2
	v_subrev_nc_u32_e32 v2, 28, v12
	v_sub_nc_u32_e32 v12, 29, v12
	s_delay_alu instid0(VALU_DEP_2) | instskip(NEXT) | instid1(VALU_DEP_1)
	v_lshlrev_b64 v[2:3], v2, v[14:15]
	v_and_b32_e32 v2, 7, v2
; %bb.1936:                             ;   in Loop: Header=BB270_16 Depth=1
	s_or_b32 exec_lo, exec_lo, s25
	v_dual_mov_b32 v170, v15 :: v_dual_lshlrev_b32 v3, 24, v13
	s_delay_alu instid0(VALU_DEP_2) | instskip(SKIP_1) | instid1(VALU_DEP_3)
	v_lshlrev_b32_e32 v2, 20, v2
	v_lshl_add_u32 v12, v12, 23, 0x3c000000
	v_and_b32_e32 v3, 0x80000000, v3
	s_delay_alu instid0(VALU_DEP_1)
	v_or3_b32 v171, v2, v3, v12
.LBB270_1937:                           ;   in Loop: Header=BB270_16 Depth=1
	s_or_b32 exec_lo, exec_lo, s2
.LBB270_1938:                           ;   in Loop: Header=BB270_16 Depth=1
	s_delay_alu instid0(SALU_CYCLE_1)
	s_or_b32 exec_lo, exec_lo, s24
.LBB270_1939:                           ;   in Loop: Header=BB270_16 Depth=1
	s_delay_alu instid0(SALU_CYCLE_1)
	s_or_b32 exec_lo, exec_lo, s23
	flat_load_b32 v12, v[24:25] offset:3584
	v_mov_b32_e32 v44, 0
	v_mov_b32_e32 v45, 0
	s_mov_b32 s2, exec_lo
	s_waitcnt vmcnt(0) lgkmcnt(0)
	v_and_b32_e32 v2, 0xff, v12
	s_delay_alu instid0(VALU_DEP_2) | instskip(NEXT) | instid1(VALU_DEP_2)
	v_dual_mov_b32 v20, v44 :: v_dual_mov_b32 v21, v45
	v_cmpx_ne_u16_e32 0, v2
	s_cbranch_execz .LBB270_1947
; %bb.1940:                             ;   in Loop: Header=BB270_16 Depth=1
	v_bfrev_b32_e32 v20, 1
	v_mov_b32_e32 v21, 0
	s_mov_b32 s23, exec_lo
	v_cmpx_ne_u16_e32 0x80, v2
	s_cbranch_execz .LBB270_1946
; %bb.1941:                             ;   in Loop: Header=BB270_16 Depth=1
	v_mov_b32_e32 v20, 0x7f800001
	v_dual_mov_b32 v21, 0 :: v_dual_and_b32 v2, 0x7f, v12
	s_mov_b32 s24, exec_lo
	s_delay_alu instid0(VALU_DEP_1)
	v_cmpx_ne_u32_e32 0x7f, v2
	s_cbranch_execz .LBB270_1945
; %bb.1942:                             ;   in Loop: Header=BB270_16 Depth=1
	v_and_b32_e32 v14, 7, v12
	v_lshrrev_b32_e32 v13, 3, v2
	v_cmp_gt_u32_e64 s1, 8, v2
	s_delay_alu instid0(VALU_DEP_3) | instskip(NEXT) | instid1(VALU_DEP_2)
	v_dual_mov_b32 v2, v14 :: v_dual_mov_b32 v3, v15
	s_and_saveexec_b32 s25, s1
; %bb.1943:                             ;   in Loop: Header=BB270_16 Depth=1
	v_clz_i32_u32_e32 v2, v14
	s_delay_alu instid0(VALU_DEP_1) | instskip(NEXT) | instid1(VALU_DEP_1)
	v_min_u32_e32 v13, 32, v2
	v_subrev_nc_u32_e32 v2, 28, v13
	v_sub_nc_u32_e32 v13, 29, v13
	s_delay_alu instid0(VALU_DEP_2) | instskip(NEXT) | instid1(VALU_DEP_1)
	v_lshlrev_b64 v[2:3], v2, v[14:15]
	v_and_b32_e32 v2, 7, v2
; %bb.1944:                             ;   in Loop: Header=BB270_16 Depth=1
	s_or_b32 exec_lo, exec_lo, s25
	v_lshlrev_b32_e32 v3, 24, v12
	s_delay_alu instid0(VALU_DEP_2) | instskip(SKIP_1) | instid1(VALU_DEP_3)
	v_lshlrev_b32_e32 v2, 20, v2
	v_lshl_add_u32 v13, v13, 23, 0x3c000000
	v_and_b32_e32 v3, 0x80000000, v3
	s_delay_alu instid0(VALU_DEP_1) | instskip(NEXT) | instid1(VALU_DEP_1)
	v_or3_b32 v14, v2, v3, v13
	v_dual_mov_b32 v21, v15 :: v_dual_mov_b32 v20, v14
.LBB270_1945:                           ;   in Loop: Header=BB270_16 Depth=1
	s_or_b32 exec_lo, exec_lo, s24
.LBB270_1946:                           ;   in Loop: Header=BB270_16 Depth=1
	s_delay_alu instid0(SALU_CYCLE_1)
	s_or_b32 exec_lo, exec_lo, s23
.LBB270_1947:                           ;   in Loop: Header=BB270_16 Depth=1
	s_delay_alu instid0(SALU_CYCLE_1) | instskip(SKIP_2) | instid1(VALU_DEP_1)
	s_or_b32 exec_lo, exec_lo, s2
	v_lshrrev_b16 v2, 8, v12
	s_mov_b32 s23, exec_lo
	v_cmpx_ne_u16_e32 0, v2
	s_cbranch_execz .LBB270_1955
; %bb.1948:                             ;   in Loop: Header=BB270_16 Depth=1
	v_dual_mov_b32 v45, s9 :: v_dual_mov_b32 v44, s8
	s_mov_b32 s24, exec_lo
	v_cmpx_ne_u16_e32 0x80, v2
	s_cbranch_execz .LBB270_1954
; %bb.1949:                             ;   in Loop: Header=BB270_16 Depth=1
	s_mov_b32 s2, s8
	v_and_b32_e32 v3, 0xffff, v2
	v_dual_mov_b32 v45, s3 :: v_dual_mov_b32 v44, s2
	s_mov_b32 s2, exec_lo
	s_delay_alu instid0(VALU_DEP_2) | instskip(NEXT) | instid1(VALU_DEP_1)
	v_and_b32_e32 v2, 0x7f, v3
	v_cmpx_ne_u32_e32 0x7f, v2
	s_cbranch_execz .LBB270_1953
; %bb.1950:                             ;   in Loop: Header=BB270_16 Depth=1
	v_and_b32_e32 v14, 7, v3
	v_lshrrev_b32_e32 v13, 3, v2
	v_cmp_gt_u32_e64 s1, 8, v2
	s_delay_alu instid0(VALU_DEP_3) | instskip(NEXT) | instid1(VALU_DEP_2)
	v_dual_mov_b32 v2, v14 :: v_dual_mov_b32 v3, v15
	s_and_saveexec_b32 s25, s1
; %bb.1951:                             ;   in Loop: Header=BB270_16 Depth=1
	v_clz_i32_u32_e32 v2, v14
	s_delay_alu instid0(VALU_DEP_1) | instskip(NEXT) | instid1(VALU_DEP_1)
	v_min_u32_e32 v13, 32, v2
	v_subrev_nc_u32_e32 v2, 28, v13
	v_sub_nc_u32_e32 v13, 29, v13
	s_delay_alu instid0(VALU_DEP_2) | instskip(NEXT) | instid1(VALU_DEP_1)
	v_lshlrev_b64 v[2:3], v2, v[14:15]
	v_and_b32_e32 v2, 7, v2
; %bb.1952:                             ;   in Loop: Header=BB270_16 Depth=1
	s_or_b32 exec_lo, exec_lo, s25
	v_dual_mov_b32 v44, v15 :: v_dual_lshlrev_b32 v3, 16, v12
	s_delay_alu instid0(VALU_DEP_2) | instskip(SKIP_1) | instid1(VALU_DEP_3)
	v_lshlrev_b32_e32 v2, 20, v2
	v_lshl_add_u32 v13, v13, 23, 0x3c000000
	v_and_b32_e32 v3, 0x80000000, v3
	s_delay_alu instid0(VALU_DEP_1)
	v_or3_b32 v45, v2, v3, v13
.LBB270_1953:                           ;   in Loop: Header=BB270_16 Depth=1
	s_or_b32 exec_lo, exec_lo, s2
.LBB270_1954:                           ;   in Loop: Header=BB270_16 Depth=1
	s_delay_alu instid0(SALU_CYCLE_1)
	s_or_b32 exec_lo, exec_lo, s24
.LBB270_1955:                           ;   in Loop: Header=BB270_16 Depth=1
	s_delay_alu instid0(SALU_CYCLE_1) | instskip(SKIP_4) | instid1(VALU_DEP_1)
	s_or_b32 exec_lo, exec_lo, s23
	v_mov_b32_e32 v46, 0
	v_lshrrev_b32_e32 v13, 16, v12
	v_mov_b32_e32 v47, 0
	s_mov_b32 s2, exec_lo
	v_dual_mov_b32 v57, v47 :: v_dual_and_b32 v2, 0xff, v13
	v_mov_b32_e32 v56, v46
	s_delay_alu instid0(VALU_DEP_2)
	v_cmpx_ne_u16_e32 0, v2
	s_cbranch_execz .LBB270_1963
; %bb.1956:                             ;   in Loop: Header=BB270_16 Depth=1
	v_bfrev_b32_e32 v56, 1
	v_mov_b32_e32 v57, 0
	s_mov_b32 s23, exec_lo
	v_cmpx_ne_u16_e32 0x80, v2
	s_cbranch_execz .LBB270_1962
; %bb.1957:                             ;   in Loop: Header=BB270_16 Depth=1
	v_mov_b32_e32 v56, 0x7f800001
	v_bfe_u32 v2, v12, 16, 7
	v_mov_b32_e32 v57, 0
	s_mov_b32 s24, exec_lo
	s_delay_alu instid0(VALU_DEP_2)
	v_cmpx_ne_u32_e32 0x7f, v2
	s_cbranch_execz .LBB270_1961
; %bb.1958:                             ;   in Loop: Header=BB270_16 Depth=1
	v_and_b32_e32 v14, 7, v13
	v_lshrrev_b32_e32 v28, 3, v2
	v_cmp_gt_u32_e64 s1, 8, v2
	s_delay_alu instid0(VALU_DEP_3) | instskip(NEXT) | instid1(VALU_DEP_2)
	v_dual_mov_b32 v2, v14 :: v_dual_mov_b32 v3, v15
	s_and_saveexec_b32 s25, s1
; %bb.1959:                             ;   in Loop: Header=BB270_16 Depth=1
	v_clz_i32_u32_e32 v2, v14
	s_delay_alu instid0(VALU_DEP_1) | instskip(NEXT) | instid1(VALU_DEP_1)
	v_min_u32_e32 v28, 32, v2
	v_subrev_nc_u32_e32 v2, 28, v28
	v_sub_nc_u32_e32 v28, 29, v28
	s_delay_alu instid0(VALU_DEP_2) | instskip(NEXT) | instid1(VALU_DEP_1)
	v_lshlrev_b64 v[2:3], v2, v[14:15]
	v_and_b32_e32 v2, 7, v2
; %bb.1960:                             ;   in Loop: Header=BB270_16 Depth=1
	s_or_b32 exec_lo, exec_lo, s25
	v_lshlrev_b32_e32 v3, 24, v13
	s_delay_alu instid0(VALU_DEP_2) | instskip(SKIP_1) | instid1(VALU_DEP_3)
	v_lshlrev_b32_e32 v2, 20, v2
	v_lshl_add_u32 v13, v28, 23, 0x3c000000
	v_and_b32_e32 v3, 0x80000000, v3
	s_delay_alu instid0(VALU_DEP_1) | instskip(NEXT) | instid1(VALU_DEP_1)
	v_or3_b32 v14, v2, v3, v13
	v_dual_mov_b32 v57, v15 :: v_dual_mov_b32 v56, v14
.LBB270_1961:                           ;   in Loop: Header=BB270_16 Depth=1
	s_or_b32 exec_lo, exec_lo, s24
.LBB270_1962:                           ;   in Loop: Header=BB270_16 Depth=1
	s_delay_alu instid0(SALU_CYCLE_1)
	s_or_b32 exec_lo, exec_lo, s23
.LBB270_1963:                           ;   in Loop: Header=BB270_16 Depth=1
	s_delay_alu instid0(SALU_CYCLE_1) | instskip(NEXT) | instid1(SALU_CYCLE_1)
	s_or_b32 exec_lo, exec_lo, s2
	s_mov_b32 s23, exec_lo
	v_cmpx_lt_u32_e32 0xffffff, v12
	s_cbranch_execz .LBB270_1971
; %bb.1964:                             ;   in Loop: Header=BB270_16 Depth=1
	v_lshrrev_b32_e32 v13, 24, v12
	v_dual_mov_b32 v47, s9 :: v_dual_mov_b32 v46, s8
	s_mov_b32 s24, exec_lo
	s_delay_alu instid0(VALU_DEP_2)
	v_cmpx_ne_u32_e32 0x80, v13
	s_cbranch_execz .LBB270_1970
; %bb.1965:                             ;   in Loop: Header=BB270_16 Depth=1
	s_mov_b32 s2, s8
	v_bfe_u32 v2, v12, 24, 7
	v_dual_mov_b32 v47, s3 :: v_dual_mov_b32 v46, s2
	s_mov_b32 s2, exec_lo
	s_delay_alu instid0(VALU_DEP_2)
	v_cmpx_ne_u32_e32 0x7f, v2
	s_cbranch_execz .LBB270_1969
; %bb.1966:                             ;   in Loop: Header=BB270_16 Depth=1
	v_and_b32_e32 v14, 7, v13
	v_lshrrev_b32_e32 v12, 3, v2
	v_cmp_gt_u32_e64 s1, 8, v2
	s_delay_alu instid0(VALU_DEP_3) | instskip(NEXT) | instid1(VALU_DEP_2)
	v_dual_mov_b32 v2, v14 :: v_dual_mov_b32 v3, v15
	s_and_saveexec_b32 s25, s1
; %bb.1967:                             ;   in Loop: Header=BB270_16 Depth=1
	v_clz_i32_u32_e32 v2, v14
	s_delay_alu instid0(VALU_DEP_1) | instskip(NEXT) | instid1(VALU_DEP_1)
	v_min_u32_e32 v12, 32, v2
	v_subrev_nc_u32_e32 v2, 28, v12
	v_sub_nc_u32_e32 v12, 29, v12
	s_delay_alu instid0(VALU_DEP_2) | instskip(NEXT) | instid1(VALU_DEP_1)
	v_lshlrev_b64 v[2:3], v2, v[14:15]
	v_and_b32_e32 v2, 7, v2
; %bb.1968:                             ;   in Loop: Header=BB270_16 Depth=1
	s_or_b32 exec_lo, exec_lo, s25
	v_dual_mov_b32 v46, v15 :: v_dual_lshlrev_b32 v3, 24, v13
	s_delay_alu instid0(VALU_DEP_2) | instskip(SKIP_1) | instid1(VALU_DEP_3)
	v_lshlrev_b32_e32 v2, 20, v2
	v_lshl_add_u32 v12, v12, 23, 0x3c000000
	v_and_b32_e32 v3, 0x80000000, v3
	s_delay_alu instid0(VALU_DEP_1)
	v_or3_b32 v47, v2, v3, v12
.LBB270_1969:                           ;   in Loop: Header=BB270_16 Depth=1
	s_or_b32 exec_lo, exec_lo, s2
.LBB270_1970:                           ;   in Loop: Header=BB270_16 Depth=1
	s_delay_alu instid0(SALU_CYCLE_1)
	s_or_b32 exec_lo, exec_lo, s24
.LBB270_1971:                           ;   in Loop: Header=BB270_16 Depth=1
	s_delay_alu instid0(SALU_CYCLE_1)
	s_or_b32 exec_lo, exec_lo, s23
	flat_load_b32 v12, v[24:25] offset:3588
	v_mov_b32_e32 v58, 0
	v_mov_b32_e32 v59, 0
	s_mov_b32 s2, exec_lo
	s_waitcnt vmcnt(0) lgkmcnt(0)
	s_delay_alu instid0(VALU_DEP_1) | instskip(SKIP_1) | instid1(VALU_DEP_2)
	v_dual_mov_b32 v73, v59 :: v_dual_and_b32 v2, 0xff, v12
	v_mov_b32_e32 v72, v58
	v_cmpx_ne_u16_e32 0, v2
	s_cbranch_execz .LBB270_1979
; %bb.1972:                             ;   in Loop: Header=BB270_16 Depth=1
	v_bfrev_b32_e32 v72, 1
	v_mov_b32_e32 v73, 0
	s_mov_b32 s23, exec_lo
	v_cmpx_ne_u16_e32 0x80, v2
	s_cbranch_execz .LBB270_1978
; %bb.1973:                             ;   in Loop: Header=BB270_16 Depth=1
	v_mov_b32_e32 v72, 0x7f800001
	v_dual_mov_b32 v73, 0 :: v_dual_and_b32 v2, 0x7f, v12
	s_mov_b32 s24, exec_lo
	s_delay_alu instid0(VALU_DEP_1)
	v_cmpx_ne_u32_e32 0x7f, v2
	s_cbranch_execz .LBB270_1977
; %bb.1974:                             ;   in Loop: Header=BB270_16 Depth=1
	v_and_b32_e32 v14, 7, v12
	v_lshrrev_b32_e32 v13, 3, v2
	v_cmp_gt_u32_e64 s1, 8, v2
	s_delay_alu instid0(VALU_DEP_3) | instskip(NEXT) | instid1(VALU_DEP_2)
	v_dual_mov_b32 v2, v14 :: v_dual_mov_b32 v3, v15
	s_and_saveexec_b32 s25, s1
; %bb.1975:                             ;   in Loop: Header=BB270_16 Depth=1
	v_clz_i32_u32_e32 v2, v14
	s_delay_alu instid0(VALU_DEP_1) | instskip(NEXT) | instid1(VALU_DEP_1)
	v_min_u32_e32 v13, 32, v2
	v_subrev_nc_u32_e32 v2, 28, v13
	v_sub_nc_u32_e32 v13, 29, v13
	s_delay_alu instid0(VALU_DEP_2) | instskip(NEXT) | instid1(VALU_DEP_1)
	v_lshlrev_b64 v[2:3], v2, v[14:15]
	v_and_b32_e32 v2, 7, v2
; %bb.1976:                             ;   in Loop: Header=BB270_16 Depth=1
	s_or_b32 exec_lo, exec_lo, s25
	v_lshlrev_b32_e32 v3, 24, v12
	s_delay_alu instid0(VALU_DEP_2) | instskip(SKIP_1) | instid1(VALU_DEP_3)
	v_lshlrev_b32_e32 v2, 20, v2
	v_lshl_add_u32 v13, v13, 23, 0x3c000000
	v_and_b32_e32 v3, 0x80000000, v3
	s_delay_alu instid0(VALU_DEP_1) | instskip(NEXT) | instid1(VALU_DEP_1)
	v_or3_b32 v14, v2, v3, v13
	v_dual_mov_b32 v73, v15 :: v_dual_mov_b32 v72, v14
.LBB270_1977:                           ;   in Loop: Header=BB270_16 Depth=1
	s_or_b32 exec_lo, exec_lo, s24
.LBB270_1978:                           ;   in Loop: Header=BB270_16 Depth=1
	s_delay_alu instid0(SALU_CYCLE_1)
	s_or_b32 exec_lo, exec_lo, s23
.LBB270_1979:                           ;   in Loop: Header=BB270_16 Depth=1
	s_delay_alu instid0(SALU_CYCLE_1) | instskip(SKIP_2) | instid1(VALU_DEP_1)
	s_or_b32 exec_lo, exec_lo, s2
	v_lshrrev_b16 v2, 8, v12
	s_mov_b32 s23, exec_lo
	v_cmpx_ne_u16_e32 0, v2
	s_cbranch_execz .LBB270_1987
; %bb.1980:                             ;   in Loop: Header=BB270_16 Depth=1
	v_dual_mov_b32 v59, s9 :: v_dual_mov_b32 v58, s8
	s_mov_b32 s24, exec_lo
	v_cmpx_ne_u16_e32 0x80, v2
	s_cbranch_execz .LBB270_1986
; %bb.1981:                             ;   in Loop: Header=BB270_16 Depth=1
	s_mov_b32 s2, s8
	v_and_b32_e32 v3, 0xffff, v2
	v_dual_mov_b32 v59, s3 :: v_dual_mov_b32 v58, s2
	s_mov_b32 s2, exec_lo
	s_delay_alu instid0(VALU_DEP_2) | instskip(NEXT) | instid1(VALU_DEP_1)
	v_and_b32_e32 v2, 0x7f, v3
	v_cmpx_ne_u32_e32 0x7f, v2
	s_cbranch_execz .LBB270_1985
; %bb.1982:                             ;   in Loop: Header=BB270_16 Depth=1
	v_and_b32_e32 v14, 7, v3
	v_lshrrev_b32_e32 v13, 3, v2
	v_cmp_gt_u32_e64 s1, 8, v2
	s_delay_alu instid0(VALU_DEP_3) | instskip(NEXT) | instid1(VALU_DEP_2)
	v_dual_mov_b32 v2, v14 :: v_dual_mov_b32 v3, v15
	s_and_saveexec_b32 s25, s1
; %bb.1983:                             ;   in Loop: Header=BB270_16 Depth=1
	v_clz_i32_u32_e32 v2, v14
	s_delay_alu instid0(VALU_DEP_1) | instskip(NEXT) | instid1(VALU_DEP_1)
	v_min_u32_e32 v13, 32, v2
	v_subrev_nc_u32_e32 v2, 28, v13
	v_sub_nc_u32_e32 v13, 29, v13
	s_delay_alu instid0(VALU_DEP_2) | instskip(NEXT) | instid1(VALU_DEP_1)
	v_lshlrev_b64 v[2:3], v2, v[14:15]
	v_and_b32_e32 v2, 7, v2
; %bb.1984:                             ;   in Loop: Header=BB270_16 Depth=1
	s_or_b32 exec_lo, exec_lo, s25
	v_dual_mov_b32 v58, v15 :: v_dual_lshlrev_b32 v3, 16, v12
	s_delay_alu instid0(VALU_DEP_2) | instskip(SKIP_1) | instid1(VALU_DEP_3)
	v_lshlrev_b32_e32 v2, 20, v2
	v_lshl_add_u32 v13, v13, 23, 0x3c000000
	v_and_b32_e32 v3, 0x80000000, v3
	s_delay_alu instid0(VALU_DEP_1)
	v_or3_b32 v59, v2, v3, v13
.LBB270_1985:                           ;   in Loop: Header=BB270_16 Depth=1
	s_or_b32 exec_lo, exec_lo, s2
.LBB270_1986:                           ;   in Loop: Header=BB270_16 Depth=1
	s_delay_alu instid0(SALU_CYCLE_1)
	s_or_b32 exec_lo, exec_lo, s24
.LBB270_1987:                           ;   in Loop: Header=BB270_16 Depth=1
	s_delay_alu instid0(SALU_CYCLE_1) | instskip(SKIP_4) | instid1(VALU_DEP_2)
	s_or_b32 exec_lo, exec_lo, s23
	v_mov_b32_e32 v62, 0
	v_lshrrev_b32_e32 v13, 16, v12
	v_mov_b32_e32 v63, 0
	s_mov_b32 s2, exec_lo
	v_and_b32_e32 v2, 0xff, v13
	s_delay_alu instid0(VALU_DEP_2) | instskip(NEXT) | instid1(VALU_DEP_2)
	v_dual_mov_b32 v36, v62 :: v_dual_mov_b32 v37, v63
	v_cmpx_ne_u16_e32 0, v2
	s_cbranch_execz .LBB270_1995
; %bb.1988:                             ;   in Loop: Header=BB270_16 Depth=1
	v_bfrev_b32_e32 v36, 1
	v_mov_b32_e32 v37, 0
	s_mov_b32 s23, exec_lo
	v_cmpx_ne_u16_e32 0x80, v2
	s_cbranch_execz .LBB270_1994
; %bb.1989:                             ;   in Loop: Header=BB270_16 Depth=1
	v_mov_b32_e32 v36, 0x7f800001
	v_bfe_u32 v2, v12, 16, 7
	v_mov_b32_e32 v37, 0
	s_mov_b32 s24, exec_lo
	s_delay_alu instid0(VALU_DEP_2)
	v_cmpx_ne_u32_e32 0x7f, v2
	s_cbranch_execz .LBB270_1993
; %bb.1990:                             ;   in Loop: Header=BB270_16 Depth=1
	v_and_b32_e32 v14, 7, v13
	v_lshrrev_b32_e32 v28, 3, v2
	v_cmp_gt_u32_e64 s1, 8, v2
	s_delay_alu instid0(VALU_DEP_3) | instskip(NEXT) | instid1(VALU_DEP_2)
	v_dual_mov_b32 v2, v14 :: v_dual_mov_b32 v3, v15
	s_and_saveexec_b32 s25, s1
; %bb.1991:                             ;   in Loop: Header=BB270_16 Depth=1
	v_clz_i32_u32_e32 v2, v14
	s_delay_alu instid0(VALU_DEP_1) | instskip(NEXT) | instid1(VALU_DEP_1)
	v_min_u32_e32 v28, 32, v2
	v_subrev_nc_u32_e32 v2, 28, v28
	v_sub_nc_u32_e32 v28, 29, v28
	s_delay_alu instid0(VALU_DEP_2) | instskip(NEXT) | instid1(VALU_DEP_1)
	v_lshlrev_b64 v[2:3], v2, v[14:15]
	v_and_b32_e32 v2, 7, v2
; %bb.1992:                             ;   in Loop: Header=BB270_16 Depth=1
	s_or_b32 exec_lo, exec_lo, s25
	v_lshlrev_b32_e32 v3, 24, v13
	s_delay_alu instid0(VALU_DEP_2) | instskip(SKIP_1) | instid1(VALU_DEP_3)
	v_lshlrev_b32_e32 v2, 20, v2
	v_lshl_add_u32 v13, v28, 23, 0x3c000000
	v_and_b32_e32 v3, 0x80000000, v3
	s_delay_alu instid0(VALU_DEP_1) | instskip(NEXT) | instid1(VALU_DEP_1)
	v_or3_b32 v14, v2, v3, v13
	v_dual_mov_b32 v37, v15 :: v_dual_mov_b32 v36, v14
.LBB270_1993:                           ;   in Loop: Header=BB270_16 Depth=1
	s_or_b32 exec_lo, exec_lo, s24
.LBB270_1994:                           ;   in Loop: Header=BB270_16 Depth=1
	s_delay_alu instid0(SALU_CYCLE_1)
	s_or_b32 exec_lo, exec_lo, s23
.LBB270_1995:                           ;   in Loop: Header=BB270_16 Depth=1
	s_delay_alu instid0(SALU_CYCLE_1) | instskip(NEXT) | instid1(SALU_CYCLE_1)
	s_or_b32 exec_lo, exec_lo, s2
	s_mov_b32 s23, exec_lo
	v_cmpx_lt_u32_e32 0xffffff, v12
	s_cbranch_execz .LBB270_2003
; %bb.1996:                             ;   in Loop: Header=BB270_16 Depth=1
	v_lshrrev_b32_e32 v13, 24, v12
	v_dual_mov_b32 v63, s9 :: v_dual_mov_b32 v62, s8
	s_mov_b32 s24, exec_lo
	s_delay_alu instid0(VALU_DEP_2)
	v_cmpx_ne_u32_e32 0x80, v13
	s_cbranch_execz .LBB270_2002
; %bb.1997:                             ;   in Loop: Header=BB270_16 Depth=1
	s_mov_b32 s2, s8
	v_bfe_u32 v2, v12, 24, 7
	v_dual_mov_b32 v63, s3 :: v_dual_mov_b32 v62, s2
	s_mov_b32 s2, exec_lo
	s_delay_alu instid0(VALU_DEP_2)
	v_cmpx_ne_u32_e32 0x7f, v2
	s_cbranch_execz .LBB270_2001
; %bb.1998:                             ;   in Loop: Header=BB270_16 Depth=1
	v_and_b32_e32 v14, 7, v13
	v_lshrrev_b32_e32 v12, 3, v2
	v_cmp_gt_u32_e64 s1, 8, v2
	s_delay_alu instid0(VALU_DEP_3) | instskip(NEXT) | instid1(VALU_DEP_2)
	v_dual_mov_b32 v2, v14 :: v_dual_mov_b32 v3, v15
	s_and_saveexec_b32 s25, s1
; %bb.1999:                             ;   in Loop: Header=BB270_16 Depth=1
	v_clz_i32_u32_e32 v2, v14
	s_delay_alu instid0(VALU_DEP_1) | instskip(NEXT) | instid1(VALU_DEP_1)
	v_min_u32_e32 v12, 32, v2
	v_subrev_nc_u32_e32 v2, 28, v12
	v_sub_nc_u32_e32 v12, 29, v12
	s_delay_alu instid0(VALU_DEP_2) | instskip(NEXT) | instid1(VALU_DEP_1)
	v_lshlrev_b64 v[2:3], v2, v[14:15]
	v_and_b32_e32 v2, 7, v2
; %bb.2000:                             ;   in Loop: Header=BB270_16 Depth=1
	s_or_b32 exec_lo, exec_lo, s25
	v_dual_mov_b32 v62, v15 :: v_dual_lshlrev_b32 v3, 24, v13
	s_delay_alu instid0(VALU_DEP_2) | instskip(SKIP_1) | instid1(VALU_DEP_3)
	v_lshlrev_b32_e32 v2, 20, v2
	v_lshl_add_u32 v12, v12, 23, 0x3c000000
	v_and_b32_e32 v3, 0x80000000, v3
	s_delay_alu instid0(VALU_DEP_1)
	v_or3_b32 v63, v2, v3, v12
.LBB270_2001:                           ;   in Loop: Header=BB270_16 Depth=1
	s_or_b32 exec_lo, exec_lo, s2
.LBB270_2002:                           ;   in Loop: Header=BB270_16 Depth=1
	s_delay_alu instid0(SALU_CYCLE_1)
	s_or_b32 exec_lo, exec_lo, s24
.LBB270_2003:                           ;   in Loop: Header=BB270_16 Depth=1
	s_delay_alu instid0(SALU_CYCLE_1)
	s_or_b32 exec_lo, exec_lo, s23
	flat_load_b32 v12, v[24:25] offset:3592
	v_mov_b32_e32 v100, 0
	v_mov_b32_e32 v101, 0
	s_mov_b32 s2, exec_lo
	s_waitcnt vmcnt(0) lgkmcnt(0)
	v_and_b32_e32 v2, 0xff, v12
	s_delay_alu instid0(VALU_DEP_2) | instskip(NEXT) | instid1(VALU_DEP_2)
	v_dual_mov_b32 v28, v100 :: v_dual_mov_b32 v29, v101
	v_cmpx_ne_u16_e32 0, v2
	s_cbranch_execz .LBB270_2011
; %bb.2004:                             ;   in Loop: Header=BB270_16 Depth=1
	v_bfrev_b32_e32 v28, 1
	v_mov_b32_e32 v29, 0
	s_mov_b32 s23, exec_lo
	v_cmpx_ne_u16_e32 0x80, v2
	s_cbranch_execz .LBB270_2010
; %bb.2005:                             ;   in Loop: Header=BB270_16 Depth=1
	v_mov_b32_e32 v28, 0x7f800001
	v_dual_mov_b32 v29, 0 :: v_dual_and_b32 v2, 0x7f, v12
	s_mov_b32 s24, exec_lo
	s_delay_alu instid0(VALU_DEP_1)
	v_cmpx_ne_u32_e32 0x7f, v2
	s_cbranch_execz .LBB270_2009
; %bb.2006:                             ;   in Loop: Header=BB270_16 Depth=1
	v_and_b32_e32 v14, 7, v12
	v_lshrrev_b32_e32 v13, 3, v2
	v_cmp_gt_u32_e64 s1, 8, v2
	s_delay_alu instid0(VALU_DEP_3) | instskip(NEXT) | instid1(VALU_DEP_2)
	v_dual_mov_b32 v2, v14 :: v_dual_mov_b32 v3, v15
	s_and_saveexec_b32 s25, s1
; %bb.2007:                             ;   in Loop: Header=BB270_16 Depth=1
	v_clz_i32_u32_e32 v2, v14
	s_delay_alu instid0(VALU_DEP_1) | instskip(NEXT) | instid1(VALU_DEP_1)
	v_min_u32_e32 v13, 32, v2
	v_subrev_nc_u32_e32 v2, 28, v13
	v_sub_nc_u32_e32 v13, 29, v13
	s_delay_alu instid0(VALU_DEP_2) | instskip(NEXT) | instid1(VALU_DEP_1)
	v_lshlrev_b64 v[2:3], v2, v[14:15]
	v_and_b32_e32 v2, 7, v2
; %bb.2008:                             ;   in Loop: Header=BB270_16 Depth=1
	s_or_b32 exec_lo, exec_lo, s25
	v_lshlrev_b32_e32 v3, 24, v12
	s_delay_alu instid0(VALU_DEP_2) | instskip(SKIP_1) | instid1(VALU_DEP_3)
	v_lshlrev_b32_e32 v2, 20, v2
	v_lshl_add_u32 v13, v13, 23, 0x3c000000
	v_and_b32_e32 v3, 0x80000000, v3
	s_delay_alu instid0(VALU_DEP_1) | instskip(NEXT) | instid1(VALU_DEP_1)
	v_or3_b32 v14, v2, v3, v13
	v_dual_mov_b32 v29, v15 :: v_dual_mov_b32 v28, v14
.LBB270_2009:                           ;   in Loop: Header=BB270_16 Depth=1
	s_or_b32 exec_lo, exec_lo, s24
.LBB270_2010:                           ;   in Loop: Header=BB270_16 Depth=1
	s_delay_alu instid0(SALU_CYCLE_1)
	s_or_b32 exec_lo, exec_lo, s23
.LBB270_2011:                           ;   in Loop: Header=BB270_16 Depth=1
	s_delay_alu instid0(SALU_CYCLE_1) | instskip(SKIP_2) | instid1(VALU_DEP_1)
	s_or_b32 exec_lo, exec_lo, s2
	v_lshrrev_b16 v2, 8, v12
	s_mov_b32 s23, exec_lo
	v_cmpx_ne_u16_e32 0, v2
	s_cbranch_execz .LBB270_2019
; %bb.2012:                             ;   in Loop: Header=BB270_16 Depth=1
	v_dual_mov_b32 v101, s9 :: v_dual_mov_b32 v100, s8
	s_mov_b32 s24, exec_lo
	v_cmpx_ne_u16_e32 0x80, v2
	s_cbranch_execz .LBB270_2018
; %bb.2013:                             ;   in Loop: Header=BB270_16 Depth=1
	s_mov_b32 s2, s8
	v_and_b32_e32 v3, 0xffff, v2
	v_dual_mov_b32 v101, s3 :: v_dual_mov_b32 v100, s2
	s_mov_b32 s2, exec_lo
	s_delay_alu instid0(VALU_DEP_2) | instskip(NEXT) | instid1(VALU_DEP_1)
	v_and_b32_e32 v2, 0x7f, v3
	v_cmpx_ne_u32_e32 0x7f, v2
	s_cbranch_execz .LBB270_2017
; %bb.2014:                             ;   in Loop: Header=BB270_16 Depth=1
	v_and_b32_e32 v14, 7, v3
	v_lshrrev_b32_e32 v13, 3, v2
	v_cmp_gt_u32_e64 s1, 8, v2
	s_delay_alu instid0(VALU_DEP_3) | instskip(NEXT) | instid1(VALU_DEP_2)
	v_dual_mov_b32 v2, v14 :: v_dual_mov_b32 v3, v15
	s_and_saveexec_b32 s25, s1
; %bb.2015:                             ;   in Loop: Header=BB270_16 Depth=1
	v_clz_i32_u32_e32 v2, v14
	s_delay_alu instid0(VALU_DEP_1) | instskip(NEXT) | instid1(VALU_DEP_1)
	v_min_u32_e32 v13, 32, v2
	v_subrev_nc_u32_e32 v2, 28, v13
	v_sub_nc_u32_e32 v13, 29, v13
	s_delay_alu instid0(VALU_DEP_2) | instskip(NEXT) | instid1(VALU_DEP_1)
	v_lshlrev_b64 v[2:3], v2, v[14:15]
	v_and_b32_e32 v2, 7, v2
; %bb.2016:                             ;   in Loop: Header=BB270_16 Depth=1
	s_or_b32 exec_lo, exec_lo, s25
	v_dual_mov_b32 v100, v15 :: v_dual_lshlrev_b32 v3, 16, v12
	s_delay_alu instid0(VALU_DEP_2) | instskip(SKIP_1) | instid1(VALU_DEP_3)
	v_lshlrev_b32_e32 v2, 20, v2
	v_lshl_add_u32 v13, v13, 23, 0x3c000000
	v_and_b32_e32 v3, 0x80000000, v3
	s_delay_alu instid0(VALU_DEP_1)
	v_or3_b32 v101, v2, v3, v13
.LBB270_2017:                           ;   in Loop: Header=BB270_16 Depth=1
	s_or_b32 exec_lo, exec_lo, s2
.LBB270_2018:                           ;   in Loop: Header=BB270_16 Depth=1
	s_delay_alu instid0(SALU_CYCLE_1)
	s_or_b32 exec_lo, exec_lo, s24
.LBB270_2019:                           ;   in Loop: Header=BB270_16 Depth=1
	s_delay_alu instid0(SALU_CYCLE_1) | instskip(SKIP_4) | instid1(VALU_DEP_2)
	s_or_b32 exec_lo, exec_lo, s23
	v_mov_b32_e32 v116, 0
	v_lshrrev_b32_e32 v13, 16, v12
	v_mov_b32_e32 v117, 0
	s_mov_b32 s2, exec_lo
	v_and_b32_e32 v14, 0xff, v13
	s_delay_alu instid0(VALU_DEP_2) | instskip(NEXT) | instid1(VALU_DEP_2)
	v_dual_mov_b32 v2, v116 :: v_dual_mov_b32 v3, v117
	v_cmpx_ne_u16_e32 0, v14
	s_cbranch_execz .LBB270_2027
; %bb.2020:                             ;   in Loop: Header=BB270_16 Depth=1
	v_bfrev_b32_e32 v2, 1
	v_mov_b32_e32 v3, 0
	s_mov_b32 s23, exec_lo
	v_cmpx_ne_u16_e32 0x80, v14
	s_cbranch_execz .LBB270_2026
; %bb.2021:                             ;   in Loop: Header=BB270_16 Depth=1
	v_mov_b32_e32 v2, 0x7f800001
	v_bfe_u32 v113, v12, 16, 7
	v_mov_b32_e32 v3, 0
	s_mov_b32 s24, exec_lo
	s_delay_alu instid0(VALU_DEP_2)
	v_cmpx_ne_u32_e32 0x7f, v113
	s_cbranch_execz .LBB270_2025
; %bb.2022:                             ;   in Loop: Header=BB270_16 Depth=1
	v_and_b32_e32 v14, 7, v13
	v_lshrrev_b32_e32 v112, 3, v113
	s_mov_b32 s25, exec_lo
	s_delay_alu instid0(VALU_DEP_2)
	v_dual_mov_b32 v2, v14 :: v_dual_mov_b32 v3, v15
	v_cmpx_gt_u32_e32 8, v113
; %bb.2023:                             ;   in Loop: Header=BB270_16 Depth=1
	v_clz_i32_u32_e32 v2, v14
	s_delay_alu instid0(VALU_DEP_1) | instskip(NEXT) | instid1(VALU_DEP_1)
	v_min_u32_e32 v112, 32, v2
	v_subrev_nc_u32_e32 v2, 28, v112
	v_sub_nc_u32_e32 v112, 29, v112
	s_delay_alu instid0(VALU_DEP_2) | instskip(NEXT) | instid1(VALU_DEP_1)
	v_lshlrev_b64 v[2:3], v2, v[14:15]
	v_and_b32_e32 v2, 7, v2
; %bb.2024:                             ;   in Loop: Header=BB270_16 Depth=1
	s_or_b32 exec_lo, exec_lo, s25
	v_lshlrev_b32_e32 v3, 24, v13
	s_delay_alu instid0(VALU_DEP_2) | instskip(SKIP_1) | instid1(VALU_DEP_3)
	v_lshlrev_b32_e32 v2, 20, v2
	v_lshl_add_u32 v13, v112, 23, 0x3c000000
	v_and_b32_e32 v3, 0x80000000, v3
	s_delay_alu instid0(VALU_DEP_1) | instskip(NEXT) | instid1(VALU_DEP_1)
	v_or3_b32 v14, v2, v3, v13
	v_dual_mov_b32 v2, v14 :: v_dual_mov_b32 v3, v15
.LBB270_2025:                           ;   in Loop: Header=BB270_16 Depth=1
	s_or_b32 exec_lo, exec_lo, s24
.LBB270_2026:                           ;   in Loop: Header=BB270_16 Depth=1
	s_delay_alu instid0(SALU_CYCLE_1)
	s_or_b32 exec_lo, exec_lo, s23
.LBB270_2027:                           ;   in Loop: Header=BB270_16 Depth=1
	s_delay_alu instid0(SALU_CYCLE_1) | instskip(NEXT) | instid1(SALU_CYCLE_1)
	s_or_b32 exec_lo, exec_lo, s2
	s_mov_b32 s23, exec_lo
	v_cmpx_lt_u32_e32 0xffffff, v12
	s_cbranch_execz .LBB270_2035
; %bb.2028:                             ;   in Loop: Header=BB270_16 Depth=1
	v_lshrrev_b32_e32 v112, 24, v12
	v_dual_mov_b32 v117, s9 :: v_dual_mov_b32 v116, s8
	s_mov_b32 s24, exec_lo
	s_delay_alu instid0(VALU_DEP_2)
	v_cmpx_ne_u32_e32 0x80, v112
	s_cbranch_execz .LBB270_2034
; %bb.2029:                             ;   in Loop: Header=BB270_16 Depth=1
	s_mov_b32 s2, s8
	v_bfe_u32 v12, v12, 24, 7
	v_dual_mov_b32 v117, s3 :: v_dual_mov_b32 v116, s2
	s_mov_b32 s2, exec_lo
	s_delay_alu instid0(VALU_DEP_2)
	v_cmpx_ne_u32_e32 0x7f, v12
	s_cbranch_execz .LBB270_2033
; %bb.2030:                             ;   in Loop: Header=BB270_16 Depth=1
	v_and_b32_e32 v14, 7, v112
	v_lshrrev_b32_e32 v113, 3, v12
	v_cmp_gt_u32_e64 s1, 8, v12
	s_delay_alu instid0(VALU_DEP_3) | instskip(NEXT) | instid1(VALU_DEP_2)
	v_dual_mov_b32 v12, v14 :: v_dual_mov_b32 v13, v15
	s_and_saveexec_b32 s25, s1
; %bb.2031:                             ;   in Loop: Header=BB270_16 Depth=1
	v_clz_i32_u32_e32 v12, v14
	s_delay_alu instid0(VALU_DEP_1) | instskip(NEXT) | instid1(VALU_DEP_1)
	v_min_u32_e32 v113, 32, v12
	v_subrev_nc_u32_e32 v12, 28, v113
	v_sub_nc_u32_e32 v113, 29, v113
	s_delay_alu instid0(VALU_DEP_2) | instskip(NEXT) | instid1(VALU_DEP_1)
	v_lshlrev_b64 v[12:13], v12, v[14:15]
	v_and_b32_e32 v12, 7, v12
; %bb.2032:                             ;   in Loop: Header=BB270_16 Depth=1
	s_or_b32 exec_lo, exec_lo, s25
	v_dual_mov_b32 v116, v15 :: v_dual_lshlrev_b32 v13, 24, v112
	s_delay_alu instid0(VALU_DEP_2) | instskip(SKIP_1) | instid1(VALU_DEP_3)
	v_lshlrev_b32_e32 v12, 20, v12
	v_lshl_add_u32 v14, v113, 23, 0x3c000000
	v_and_b32_e32 v13, 0x80000000, v13
	s_delay_alu instid0(VALU_DEP_1)
	v_or3_b32 v117, v12, v13, v14
.LBB270_2033:                           ;   in Loop: Header=BB270_16 Depth=1
	s_or_b32 exec_lo, exec_lo, s2
.LBB270_2034:                           ;   in Loop: Header=BB270_16 Depth=1
	s_delay_alu instid0(SALU_CYCLE_1)
	s_or_b32 exec_lo, exec_lo, s24
.LBB270_2035:                           ;   in Loop: Header=BB270_16 Depth=1
	s_delay_alu instid0(SALU_CYCLE_1)
	s_or_b32 exec_lo, exec_lo, s23
	flat_load_b32 v111, v[24:25] offset:3596
	v_mov_b32_e32 v24, 0
	v_mov_b32_e32 v25, 0
	s_mov_b32 s2, exec_lo
	s_waitcnt vmcnt(0) lgkmcnt(0)
	v_and_b32_e32 v12, 0xff, v111
	s_delay_alu instid0(VALU_DEP_2) | instskip(NEXT) | instid1(VALU_DEP_2)
	v_dual_mov_b32 v42, v25 :: v_dual_mov_b32 v41, v24
	v_cmpx_ne_u16_e32 0, v12
	s_cbranch_execz .LBB270_2043
; %bb.2036:                             ;   in Loop: Header=BB270_16 Depth=1
	v_bfrev_b32_e32 v41, 1
	v_mov_b32_e32 v42, 0
	s_mov_b32 s23, exec_lo
	v_cmpx_ne_u16_e32 0x80, v12
	s_cbranch_execz .LBB270_2042
; %bb.2037:                             ;   in Loop: Header=BB270_16 Depth=1
	v_mov_b32_e32 v41, 0x7f800001
	v_and_b32_e32 v12, 0x7f, v111
	v_mov_b32_e32 v42, 0
	s_mov_b32 s24, exec_lo
	s_delay_alu instid0(VALU_DEP_2)
	v_cmpx_ne_u32_e32 0x7f, v12
	s_cbranch_execz .LBB270_2041
; %bb.2038:                             ;   in Loop: Header=BB270_16 Depth=1
	v_and_b32_e32 v14, 7, v111
	v_lshrrev_b32_e32 v112, 3, v12
	v_cmp_gt_u32_e64 s1, 8, v12
	s_delay_alu instid0(VALU_DEP_3) | instskip(NEXT) | instid1(VALU_DEP_2)
	v_dual_mov_b32 v12, v14 :: v_dual_mov_b32 v13, v15
	s_and_saveexec_b32 s25, s1
; %bb.2039:                             ;   in Loop: Header=BB270_16 Depth=1
	v_clz_i32_u32_e32 v12, v14
	s_delay_alu instid0(VALU_DEP_1) | instskip(NEXT) | instid1(VALU_DEP_1)
	v_min_u32_e32 v112, 32, v12
	v_subrev_nc_u32_e32 v12, 28, v112
	v_sub_nc_u32_e32 v112, 29, v112
	s_delay_alu instid0(VALU_DEP_2) | instskip(NEXT) | instid1(VALU_DEP_1)
	v_lshlrev_b64 v[12:13], v12, v[14:15]
	v_and_b32_e32 v12, 7, v12
; %bb.2040:                             ;   in Loop: Header=BB270_16 Depth=1
	s_or_b32 exec_lo, exec_lo, s25
	v_lshlrev_b32_e32 v13, 24, v111
	s_delay_alu instid0(VALU_DEP_2) | instskip(SKIP_1) | instid1(VALU_DEP_3)
	v_lshlrev_b32_e32 v12, 20, v12
	v_lshl_add_u32 v14, v112, 23, 0x3c000000
	v_and_b32_e32 v13, 0x80000000, v13
	s_delay_alu instid0(VALU_DEP_1) | instskip(NEXT) | instid1(VALU_DEP_1)
	v_or3_b32 v14, v12, v13, v14
	v_dual_mov_b32 v42, v15 :: v_dual_mov_b32 v41, v14
.LBB270_2041:                           ;   in Loop: Header=BB270_16 Depth=1
	s_or_b32 exec_lo, exec_lo, s24
.LBB270_2042:                           ;   in Loop: Header=BB270_16 Depth=1
	s_delay_alu instid0(SALU_CYCLE_1)
	s_or_b32 exec_lo, exec_lo, s23
.LBB270_2043:                           ;   in Loop: Header=BB270_16 Depth=1
	s_delay_alu instid0(SALU_CYCLE_1) | instskip(SKIP_2) | instid1(VALU_DEP_1)
	s_or_b32 exec_lo, exec_lo, s2
	v_lshrrev_b16 v12, 8, v111
	s_mov_b32 s23, exec_lo
	v_cmpx_ne_u16_e32 0, v12
	s_cbranch_execz .LBB270_2051
; %bb.2044:                             ;   in Loop: Header=BB270_16 Depth=1
	v_dual_mov_b32 v25, s9 :: v_dual_mov_b32 v24, s8
	s_mov_b32 s24, exec_lo
	v_cmpx_ne_u16_e32 0x80, v12
	s_cbranch_execz .LBB270_2050
; %bb.2045:                             ;   in Loop: Header=BB270_16 Depth=1
	s_mov_b32 s2, s8
	v_and_b32_e32 v13, 0xffff, v12
	v_dual_mov_b32 v25, s3 :: v_dual_mov_b32 v24, s2
	s_mov_b32 s2, exec_lo
	s_delay_alu instid0(VALU_DEP_2) | instskip(NEXT) | instid1(VALU_DEP_1)
	v_and_b32_e32 v12, 0x7f, v13
	v_cmpx_ne_u32_e32 0x7f, v12
	s_cbranch_execz .LBB270_2049
; %bb.2046:                             ;   in Loop: Header=BB270_16 Depth=1
	v_and_b32_e32 v14, 7, v13
	v_lshrrev_b32_e32 v24, 3, v12
	v_cmp_gt_u32_e64 s1, 8, v12
	s_delay_alu instid0(VALU_DEP_3) | instskip(NEXT) | instid1(VALU_DEP_2)
	v_dual_mov_b32 v12, v14 :: v_dual_mov_b32 v13, v15
	s_and_saveexec_b32 s25, s1
; %bb.2047:                             ;   in Loop: Header=BB270_16 Depth=1
	v_clz_i32_u32_e32 v12, v14
	s_delay_alu instid0(VALU_DEP_1) | instskip(NEXT) | instid1(VALU_DEP_1)
	v_min_u32_e32 v24, 32, v12
	v_subrev_nc_u32_e32 v12, 28, v24
	v_sub_nc_u32_e32 v24, 29, v24
	s_delay_alu instid0(VALU_DEP_2) | instskip(NEXT) | instid1(VALU_DEP_1)
	v_lshlrev_b64 v[12:13], v12, v[14:15]
	v_and_b32_e32 v12, 7, v12
; %bb.2048:                             ;   in Loop: Header=BB270_16 Depth=1
	s_or_b32 exec_lo, exec_lo, s25
	v_lshlrev_b32_e32 v13, 16, v111
	s_delay_alu instid0(VALU_DEP_2) | instskip(SKIP_1) | instid1(VALU_DEP_3)
	v_lshlrev_b32_e32 v12, 20, v12
	v_lshl_add_u32 v14, v24, 23, 0x3c000000
	v_dual_mov_b32 v24, v15 :: v_dual_and_b32 v13, 0x80000000, v13
	s_delay_alu instid0(VALU_DEP_1)
	v_or3_b32 v25, v12, v13, v14
.LBB270_2049:                           ;   in Loop: Header=BB270_16 Depth=1
	s_or_b32 exec_lo, exec_lo, s2
.LBB270_2050:                           ;   in Loop: Header=BB270_16 Depth=1
	s_delay_alu instid0(SALU_CYCLE_1)
	s_or_b32 exec_lo, exec_lo, s24
.LBB270_2051:                           ;   in Loop: Header=BB270_16 Depth=1
	s_delay_alu instid0(SALU_CYCLE_1) | instskip(SKIP_4) | instid1(VALU_DEP_2)
	s_or_b32 exec_lo, exec_lo, s23
	v_mov_b32_e32 v112, 0
	v_lshrrev_b32_e32 v122, 16, v111
	v_mov_b32_e32 v113, 0
	s_mov_b32 s2, exec_lo
	v_and_b32_e32 v14, 0xff, v122
	s_delay_alu instid0(VALU_DEP_2) | instskip(NEXT) | instid1(VALU_DEP_2)
	v_dual_mov_b32 v12, v112 :: v_dual_mov_b32 v13, v113
	v_cmpx_ne_u16_e32 0, v14
	s_cbranch_execz .LBB270_2059
; %bb.2052:                             ;   in Loop: Header=BB270_16 Depth=1
	v_bfrev_b32_e32 v12, 1
	v_mov_b32_e32 v13, 0
	s_mov_b32 s23, exec_lo
	v_cmpx_ne_u16_e32 0x80, v14
	s_cbranch_execz .LBB270_2058
; %bb.2053:                             ;   in Loop: Header=BB270_16 Depth=1
	v_mov_b32_e32 v12, 0x7f800001
	v_dual_mov_b32 v6, v136 :: v_dual_mov_b32 v7, v137
	v_bfe_u32 v137, v111, 16, 7
	v_mov_b32_e32 v13, 0
	s_mov_b32 s24, exec_lo
	s_delay_alu instid0(VALU_DEP_2)
	v_cmpx_ne_u32_e32 0x7f, v137
	s_cbranch_execz .LBB270_2057
; %bb.2054:                             ;   in Loop: Header=BB270_16 Depth=1
	v_and_b32_e32 v14, 7, v122
	v_lshrrev_b32_e32 v136, 3, v137
	s_mov_b32 s25, exec_lo
	s_delay_alu instid0(VALU_DEP_2)
	v_dual_mov_b32 v12, v14 :: v_dual_mov_b32 v13, v15
	v_cmpx_gt_u32_e32 8, v137
; %bb.2055:                             ;   in Loop: Header=BB270_16 Depth=1
	v_clz_i32_u32_e32 v12, v14
	s_delay_alu instid0(VALU_DEP_1) | instskip(NEXT) | instid1(VALU_DEP_1)
	v_min_u32_e32 v136, 32, v12
	v_subrev_nc_u32_e32 v12, 28, v136
	v_sub_nc_u32_e32 v136, 29, v136
	s_delay_alu instid0(VALU_DEP_2) | instskip(NEXT) | instid1(VALU_DEP_1)
	v_lshlrev_b64 v[12:13], v12, v[14:15]
	v_and_b32_e32 v12, 7, v12
; %bb.2056:                             ;   in Loop: Header=BB270_16 Depth=1
	s_or_b32 exec_lo, exec_lo, s25
	v_lshlrev_b32_e32 v13, 24, v122
	s_delay_alu instid0(VALU_DEP_2) | instskip(SKIP_1) | instid1(VALU_DEP_3)
	v_lshlrev_b32_e32 v12, 20, v12
	v_lshl_add_u32 v14, v136, 23, 0x3c000000
	v_and_b32_e32 v13, 0x80000000, v13
	s_delay_alu instid0(VALU_DEP_1) | instskip(NEXT) | instid1(VALU_DEP_1)
	v_or3_b32 v14, v12, v13, v14
	v_dual_mov_b32 v12, v14 :: v_dual_mov_b32 v13, v15
.LBB270_2057:                           ;   in Loop: Header=BB270_16 Depth=1
	s_or_b32 exec_lo, exec_lo, s24
	v_dual_mov_b32 v137, v7 :: v_dual_mov_b32 v136, v6
.LBB270_2058:                           ;   in Loop: Header=BB270_16 Depth=1
	s_or_b32 exec_lo, exec_lo, s23
.LBB270_2059:                           ;   in Loop: Header=BB270_16 Depth=1
	s_delay_alu instid0(SALU_CYCLE_1) | instskip(NEXT) | instid1(VALU_DEP_1)
	s_or_b32 exec_lo, exec_lo, s2
	v_dual_mov_b32 v6, v136 :: v_dual_mov_b32 v7, v137
	s_mov_b32 s23, exec_lo
	v_cmpx_lt_u32_e32 0xffffff, v111
	s_cbranch_execz .LBB270_14
; %bb.2060:                             ;   in Loop: Header=BB270_16 Depth=1
	v_lshrrev_b32_e32 v122, 24, v111
	v_dual_mov_b32 v113, s9 :: v_dual_mov_b32 v112, s8
	s_mov_b32 s24, exec_lo
	s_delay_alu instid0(VALU_DEP_2)
	v_cmpx_ne_u32_e32 0x80, v122
	s_cbranch_execz .LBB270_13
; %bb.2061:                             ;   in Loop: Header=BB270_16 Depth=1
	s_mov_b32 s2, s8
	v_bfe_u32 v136, v111, 24, 7
	v_dual_mov_b32 v113, s3 :: v_dual_mov_b32 v112, s2
	s_mov_b32 s2, exec_lo
	s_delay_alu instid0(VALU_DEP_2)
	v_cmpx_ne_u32_e32 0x7f, v136
	s_cbranch_execz .LBB270_12
; %bb.2062:                             ;   in Loop: Header=BB270_16 Depth=1
	v_and_b32_e32 v14, 7, v122
	v_lshrrev_b32_e32 v111, 3, v136
	v_mov_b32_e32 v113, v15
	s_mov_b32 s25, exec_lo
	s_delay_alu instid0(VALU_DEP_3)
	v_mov_b32_e32 v112, v14
	v_cmpx_gt_u32_e32 8, v136
	s_cbranch_execz .LBB270_11
; %bb.2063:                             ;   in Loop: Header=BB270_16 Depth=1
	v_clz_i32_u32_e32 v112, v14
	s_delay_alu instid0(VALU_DEP_1) | instskip(NEXT) | instid1(VALU_DEP_1)
	v_min_u32_e32 v111, 32, v112
	v_subrev_nc_u32_e32 v112, 28, v111
	v_sub_nc_u32_e32 v111, 29, v111
	s_delay_alu instid0(VALU_DEP_2) | instskip(NEXT) | instid1(VALU_DEP_1)
	v_lshlrev_b64 v[112:113], v112, v[14:15]
	v_and_b32_e32 v112, 7, v112
	s_branch .LBB270_11
.LBB270_2064:
	s_or_b32 exec_lo, exec_lo, s21
	scratch_load_b32 v15, off, s32 offset:3168 ; 4-byte Folded Reload
.LBB270_2065:
	s_or_b32 exec_lo, exec_lo, s20
	v_mbcnt_lo_u32_b32 v0, -1, 0
	s_waitcnt lgkmcnt(0)
	s_lshr_b32 s8, s19, 16
	v_max_f32_e32 v4, v11, v11
	s_delay_alu instid0(VALU_DEP_2) | instskip(SKIP_2) | instid1(VALU_DEP_3)
	v_xor_b32_e32 v1, 16, v0
	v_xor_b32_e32 v3, 8, v0
	;; [unrolled: 1-line block ×3, first 2 shown]
	v_cmp_gt_i32_e32 vcc_lo, 32, v1
	v_cndmask_b32_e32 v1, v0, v1, vcc_lo
	s_delay_alu instid0(VALU_DEP_4) | instskip(NEXT) | instid1(VALU_DEP_2)
	v_cmp_gt_i32_e32 vcc_lo, 32, v3
	v_dual_cndmask_b32 v3, v0, v3 :: v_dual_lshlrev_b32 v2, 2, v1
	v_cmp_gt_i32_e32 vcc_lo, 32, v5
	ds_bpermute_b32 v1, v2, v11
	v_lshlrev_b32_e32 v3, 2, v3
	v_cndmask_b32_e32 v5, v0, v5, vcc_lo
	s_delay_alu instid0(VALU_DEP_1) | instskip(SKIP_3) | instid1(VALU_DEP_1)
	v_lshlrev_b32_e32 v5, 2, v5
	scratch_store_b32 off, v5, s32 offset:2952 ; 4-byte Folded Spill
	s_waitcnt lgkmcnt(0)
	v_max_f32_e32 v1, v1, v1
	v_max_f32_e32 v1, v4, v1
	ds_bpermute_b32 v4, v3, v1
	s_waitcnt lgkmcnt(0)
	v_max_f32_e32 v4, v4, v4
	s_delay_alu instid0(VALU_DEP_1) | instskip(SKIP_2) | instid1(VALU_DEP_1)
	v_max_f32_e32 v1, v1, v4
	ds_bpermute_b32 v4, v5, v1
	v_xor_b32_e32 v5, 2, v0
	v_cmp_gt_i32_e32 vcc_lo, 32, v5
	v_cndmask_b32_e32 v5, v0, v5, vcc_lo
	s_delay_alu instid0(VALU_DEP_1) | instskip(SKIP_3) | instid1(VALU_DEP_2)
	v_lshlrev_b32_e32 v6, 2, v5
	v_xor_b32_e32 v5, 1, v0
	s_waitcnt lgkmcnt(0)
	v_max_f32_e32 v4, v4, v4
	v_cmp_gt_i32_e32 vcc_lo, 32, v5
	s_delay_alu instid0(VALU_DEP_2) | instskip(SKIP_4) | instid1(VALU_DEP_1)
	v_max_f32_e32 v1, v1, v4
	v_cndmask_b32_e32 v5, v0, v5, vcc_lo
	ds_bpermute_b32 v4, v6, v1
	s_waitcnt lgkmcnt(0)
	v_dual_max_f32 v4, v4, v4 :: v_dual_lshlrev_b32 v9, 2, v5
	v_max_f32_e32 v0, v1, v4
	scratch_load_b32 v4, off, s32 offset:2340 ; 4-byte Folded Reload
	ds_bpermute_b32 v1, v9, v0
	s_waitcnt vmcnt(0)
	v_cmp_eq_u32_e32 vcc_lo, 0, v4
	scratch_load_b32 v4, off, s32 offset:3096 ; 4-byte Folded Reload
	s_waitcnt vmcnt(0)
	v_lshlrev_b32_e32 v4, 2, v4
	s_and_saveexec_b32 s1, vcc_lo
	s_cbranch_execz .LBB270_2067
; %bb.2066:
	s_waitcnt lgkmcnt(0)
	v_dual_max_f32 v1, v1, v1 :: v_dual_max_f32 v0, v0, v0
	s_delay_alu instid0(VALU_DEP_1)
	v_max_f32_e32 v0, v0, v1
	ds_store_b32 v4, v0 offset:1024
.LBB270_2067:
	s_or_b32 exec_lo, exec_lo, s1
	scratch_load_b32 v0, off, s32 offset:2340 ; 4-byte Folded Reload
	s_waitcnt vmcnt(0) lgkmcnt(0)
	s_waitcnt_vscnt null, 0x0
	s_barrier
	buffer_gl0_inv
	v_cmp_gt_u32_e64 s1, 4, v0
	v_mov_b32_e32 v0, 0xff7fffff
	s_delay_alu instid0(VALU_DEP_2)
	s_and_saveexec_b32 s2, s1
	s_cbranch_execz .LBB270_2069
; %bb.2068:
	scratch_load_b32 v0, off, s32 offset:3124 ; 4-byte Folded Reload
	s_waitcnt vmcnt(0)
	ds_load_b32 v0, v0 offset:1024
.LBB270_2069:
	s_or_b32 exec_lo, exec_lo, s2
	scratch_load_b32 v5, off, s32 offset:368 ; 4-byte Folded Reload
	s_waitcnt lgkmcnt(0)
	ds_bpermute_b32 v1, v6, v0
	v_max_f32_e32 v0, v0, v0
	scratch_store_b32 off, v6, s32 offset:2936 ; 4-byte Folded Spill
	s_waitcnt lgkmcnt(0)
	v_max_f32_e32 v1, v1, v1
	s_delay_alu instid0(VALU_DEP_1)
	v_max_f32_e32 v0, v0, v1
	s_waitcnt vmcnt(0)
	v_subrev_nc_u32_e32 v6, s13, v5
	v_mov_b32_e32 v5, 0
	ds_bpermute_b32 v1, v9, v0
	s_waitcnt lgkmcnt(0)
	v_max_f32_e32 v1, v1, v1
	s_delay_alu instid0(VALU_DEP_1)
	v_max_f32_e32 v0, v0, v1
	v_lshl_add_u32 v1, v6, 5, s15
	scratch_load_b32 v6, off, s32 offset:1724 ; 4-byte Folded Reload
	ds_bpermute_b32 v0, v5, v0
	s_waitcnt vmcnt(0)
	v_min_i32_e32 v1, v1, v6
	scratch_load_b32 v6, off, s32 offset:2344 ; 4-byte Folded Reload
	v_subrev_nc_u32_e32 v1, s15, v1
	s_waitcnt vmcnt(0)
	s_delay_alu instid0(VALU_DEP_1) | instskip(NEXT) | instid1(VALU_DEP_1)
	v_cmp_lt_i32_e64 s2, v6, v1
	s_and_saveexec_b32 s9, s2
	s_cbranch_execz .LBB270_2073
; %bb.2070:
	scratch_load_b32 v7, off, s32 offset:2344 ; 4-byte Folded Reload
	s_getpc_b64 s[16:17]
	s_add_u32 s16, s16, llvm.amdgcn.dynlds.offset.table@rel32@lo+4
	s_addc_u32 s17, s17, llvm.amdgcn.dynlds.offset.table@rel32@hi+12
	s_ashr_i32 s11, s10, 31
	v_mov_b32_e32 v5, 0
	s_lshl_b64 s[20:21], s[10:11], 2
	s_mov_b32 s11, 0
	s_add_u32 s16, s20, s16
	s_addc_u32 s17, s21, s17
	s_load_b32 s3, s[16:17], 0x0
	s_waitcnt vmcnt(0) lgkmcnt(0)
	v_lshl_add_u32 v6, v7, 2, s3
	.p2align	6
.LBB270_2071:                           ; =>This Inner Loop Header: Depth=1
	ds_load_b32 v8, v6
	v_add_nc_u32_e32 v7, 0x80, v7
	s_delay_alu instid0(VALU_DEP_1) | instskip(NEXT) | instid1(VALU_DEP_1)
	v_cmp_ge_i32_e64 s3, v7, v1
	s_or_b32 s11, s3, s11
	s_waitcnt lgkmcnt(0)
	v_sub_f32_e32 v8, v8, v0
	s_delay_alu instid0(VALU_DEP_1) | instskip(NEXT) | instid1(VALU_DEP_1)
	v_mul_f32_e32 v8, 0x3fb8aa3b, v8
	v_exp_f32_e32 v8, v8
	ds_store_b32 v6, v8
	v_dual_add_f32 v5, v5, v8 :: v_dual_add_nc_u32 v6, 0x200, v6
	s_and_not1_b32 exec_lo, exec_lo, s11
	s_cbranch_execnz .LBB270_2071
; %bb.2072:
	s_or_b32 exec_lo, exec_lo, s11
.LBB270_2073:
	s_delay_alu instid0(SALU_CYCLE_1)
	s_or_b32 exec_lo, exec_lo, s9
	ds_bpermute_b32 v2, v2, v5
	s_waitcnt lgkmcnt(0)
	v_add_f32_e32 v2, v5, v2
	scratch_load_b32 v5, off, s32 offset:2936 ; 4-byte Folded Reload
	ds_bpermute_b32 v3, v3, v2
	s_waitcnt lgkmcnt(0)
	v_add_f32_e32 v2, v2, v3
	scratch_load_b32 v3, off, s32 offset:2952 ; 4-byte Folded Reload
	s_waitcnt vmcnt(0)
	ds_bpermute_b32 v3, v3, v2
	s_waitcnt lgkmcnt(0)
	v_add_f32_e32 v2, v2, v3
	ds_bpermute_b32 v3, v5, v2
	s_waitcnt lgkmcnt(0)
	v_add_f32_e32 v2, v2, v3
	;; [unrolled: 3-line block ×3, first 2 shown]
	s_and_saveexec_b32 s3, vcc_lo
	s_cbranch_execz .LBB270_2075
; %bb.2074:
	ds_store_b32 v4, v2 offset:1040
.LBB270_2075:
	s_or_b32 exec_lo, exec_lo, s3
	s_waitcnt lgkmcnt(0)
	s_waitcnt_vscnt null, 0x0
	s_barrier
	buffer_gl0_inv
	s_and_saveexec_b32 s3, s1
	s_cbranch_execz .LBB270_2077
; %bb.2076:
	scratch_load_b32 v2, off, s32 offset:3124 ; 4-byte Folded Reload
	s_waitcnt vmcnt(0)
	ds_load_b32 v2, v2 offset:1040
.LBB270_2077:
	s_or_b32 exec_lo, exec_lo, s3
	s_waitcnt lgkmcnt(0)
	ds_bpermute_b32 v3, v5, v2
	s_waitcnt lgkmcnt(0)
	v_add_f32_e32 v2, v2, v3
	ds_bpermute_b32 v3, v9, v2
	s_waitcnt lgkmcnt(0)
	v_dual_add_f32 v2, v2, v3 :: v_dual_mov_b32 v3, 0
	ds_bpermute_b32 v2, v3, v2
	s_and_saveexec_b32 s1, s2
	s_cbranch_execz .LBB270_2080
; %bb.2078:
	s_waitcnt lgkmcnt(0)
	v_add_f32_e32 v4, 0x358637bd, v2
	s_getpc_b64 s[2:3]
	s_add_u32 s2, s2, llvm.amdgcn.dynlds.offset.table@rel32@lo+4
	s_addc_u32 s3, s3, llvm.amdgcn.dynlds.offset.table@rel32@hi+12
	s_ashr_i32 s11, s10, 31
	s_delay_alu instid0(SALU_CYCLE_1) | instskip(SKIP_4) | instid1(VALU_DEP_1)
	s_lshl_b64 s[16:17], s[10:11], 2
	v_div_scale_f32 v3, null, v4, v4, 1.0
	s_add_u32 s2, s16, s2
	s_addc_u32 s3, s17, s3
	s_load_b32 s2, s[2:3], 0x0
	v_rcp_f32_e32 v5, v3
	s_waitcnt_depctr 0xfff
	v_fma_f32 v6, -v3, v5, 1.0
	s_delay_alu instid0(VALU_DEP_1) | instskip(SKIP_1) | instid1(VALU_DEP_1)
	v_fmac_f32_e32 v5, v6, v5
	v_div_scale_f32 v7, vcc_lo, 1.0, v4, 1.0
	v_mul_f32_e32 v6, v7, v5
	s_delay_alu instid0(VALU_DEP_1) | instskip(NEXT) | instid1(VALU_DEP_1)
	v_fma_f32 v8, -v3, v6, v7
	v_fmac_f32_e32 v6, v8, v5
	s_delay_alu instid0(VALU_DEP_1) | instskip(NEXT) | instid1(VALU_DEP_1)
	v_fma_f32 v3, -v3, v6, v7
	v_div_fmas_f32 v5, v3, v5, v6
	scratch_load_b32 v6, off, s32 offset:2344 ; 4-byte Folded Reload
	v_div_fixup_f32 v4, v5, v4, 1.0
	s_waitcnt vmcnt(0) lgkmcnt(0)
	v_lshl_add_u32 v3, v6, 2, s2
	v_mov_b32_e32 v5, v6
	s_mov_b32 s2, 0
.LBB270_2079:                           ; =>This Inner Loop Header: Depth=1
	ds_load_b32 v6, v3
	s_waitcnt lgkmcnt(0)
	v_dual_mul_f32 v6, v4, v6 :: v_dual_add_nc_u32 v5, 0x80, v5
	s_delay_alu instid0(VALU_DEP_1) | instskip(SKIP_3) | instid1(SALU_CYCLE_1)
	v_cmp_ge_i32_e32 vcc_lo, v5, v1
	ds_store_b32 v3, v6
	v_add_nc_u32_e32 v3, 0x200, v3
	s_or_b32 s2, vcc_lo, s2
	s_and_not1_b32 exec_lo, exec_lo, s2
	s_cbranch_execnz .LBB270_2079
.LBB270_2080:
	s_or_b32 exec_lo, exec_lo, s1
	scratch_load_b32 v1, off, s32 offset:2344 ; 4-byte Folded Reload
	v_cmp_ne_u16_e64 s1, s8, 0
	s_waitcnt vmcnt(0) lgkmcnt(0)
	s_barrier
	buffer_gl0_inv
	s_cmp_lg_u32 s1, 0
	s_mov_b32 s1, exec_lo
	s_addc_u32 s7, s7, 0
	v_cmpx_eq_u32_e32 0, v1
	s_cbranch_execz .LBB270_2082
; %bb.2081:
	scratch_load_b32 v1, off, s32 offset:3120 ; 4-byte Folded Reload
	s_mul_i32 s3, s7, s4
	s_mul_i32 s2, s7, s12
	;; [unrolled: 1-line block ×3, first 2 shown]
	s_ashr_i32 s3, s2, 31
	s_ashr_i32 s15, s14, 31
	;; [unrolled: 1-line block ×3, first 2 shown]
	s_lshl_b64 s[2:3], s[2:3], 2
	s_lshl_b64 s[12:13], s[14:15], 2
	;; [unrolled: 1-line block ×3, first 2 shown]
	s_add_u32 s2, s12, s2
	s_addc_u32 s3, s13, s3
	s_add_u32 s2, s2, s8
	s_addc_u32 s3, s3, s9
	s_waitcnt vmcnt(0)
	v_add_co_u32 v3, vcc_lo, s2, v1
	scratch_load_b32 v1, off, s32 offset:3116 ; 4-byte Folded Reload
	s_waitcnt vmcnt(0)
	v_add_co_ci_u32_e32 v4, vcc_lo, s3, v1, vcc_lo
	scratch_load_b32 v1, off, s32 offset:3160 ; 4-byte Folded Reload
	s_waitcnt vmcnt(0)
	v_add_co_u32 v5, vcc_lo, s2, v1
	scratch_load_b32 v1, off, s32 offset:3156 ; 4-byte Folded Reload
	s_waitcnt vmcnt(0)
	v_add_co_ci_u32_e32 v6, vcc_lo, s3, v1, vcc_lo
	flat_store_b32 v[3:4], v0
	flat_store_b32 v[5:6], v2
.LBB270_2082:
	s_or_b32 exec_lo, exec_lo, s1
	scratch_load_b32 v0, off, s32 offset:2344 ; 4-byte Folded Reload
	v_mov_b32_e32 v19, 0
	s_ashr_i32 s11, s10, 31
	s_getpc_b64 s[2:3]
	s_add_u32 s2, s2, llvm.amdgcn.dynlds.offset.table@rel32@lo+4
	s_addc_u32 s3, s3, llvm.amdgcn.dynlds.offset.table@rel32@hi+12
	s_lshl_b64 s[8:9], s[10:11], 2
	v_dual_mov_b32 v20, 0 :: v_dual_mov_b32 v17, 0
	v_dual_mov_b32 v18, 0 :: v_dual_mov_b32 v35, 0
	;; [unrolled: 1-line block ×8, first 2 shown]
	v_mov_b32_e32 v34, 0
	v_mov_b32_e32 v32, 0
	;; [unrolled: 1-line block ×5, first 2 shown]
	s_add_u32 s8, s8, s2
	s_addc_u32 s9, s9, s3
	s_mov_b32 s10, 0
	v_mov_b32_e32 v39, 0
	v_mov_b32_e32 v33, 0
	;; [unrolled: 1-line block ×3, first 2 shown]
	s_waitcnt vmcnt(0)
	v_dual_mov_b32 v123, 0 :: v_dual_and_b32 v0, 7, v0
	scratch_store_b32 off, v0, s32 offset:2968 ; 4-byte Folded Spill
	v_mov_b32_e32 v0, 0
	scratch_store_b32 off, v0, s32 offset:1876 ; 4-byte Folded Spill
	v_mov_b32_e32 v0, 0
	;; [unrolled: 2-line block ×38, first 2 shown]
	s_clause 0x1
	scratch_store_b32 off, v9, s32 offset:2984
	scratch_store_b32 off, v0, s32 offset:1728
	s_mov_b32 s15, exec_lo
	scratch_load_b32 v5, off, s32 offset:336 ; 4-byte Folded Reload
	s_and_b32 s0, s15, s0
	s_delay_alu instid0(SALU_CYCLE_1)
	s_mov_b32 exec_lo, s0
	s_cbranch_execz .LBB270_4136
; %bb.2083:
	scratch_load_b32 v0, off, s32 offset:2344 ; 4-byte Folded Reload
	s_load_b32 s0, s[8:9], 0x0
	v_dual_mov_b32 v128, 0 :: v_dual_mov_b32 v31, 0
	v_mov_b32_e32 v38, 0
	v_mov_b32_e32 v30, 0
	;; [unrolled: 1-line block ×12, first 2 shown]
	s_brev_b32 s11, 1
	s_mov_b32 s13, 0x7f800001
	s_mov_b32 s16, s10
	v_mov_b32_e32 v9, 0
	v_mov_b32_e32 v29, 0
	;; [unrolled: 1-line block ×12, first 2 shown]
	s_waitcnt vmcnt(0)
	v_dual_mov_b32 v19, 0 :: v_dual_lshlrev_b32 v2, 2, v0
	s_clause 0x1
	scratch_load_b32 v0, off, s32 offset:3100
	scratch_load_b32 v1, off, s32 offset:3148
	v_and_b32_e32 v6, 0x7c, v2
	s_waitcnt vmcnt(0)
	v_max_i32_e32 v1, v0, v1
	v_and_b32_e32 v0, 28, v2
	scratch_store_b32 off, v0, s32 offset:2356 ; 4-byte Folded Spill
	s_clause 0x1
	scratch_load_b32 v0, off, s32 offset:3112
	scratch_load_b32 v3, off, s32 offset:3144
	s_waitcnt vmcnt(0)
	v_add_co_u32 v3, vcc_lo, v0, v3
	scratch_load_b32 v0, off, s32 offset:3152 ; 4-byte Folded Reload
	s_waitcnt vmcnt(0)
	v_add_co_ci_u32_e32 v4, vcc_lo, v15, v0, vcc_lo
	scratch_load_b32 v0, off, s32 offset:3164 ; 4-byte Folded Reload
	s_waitcnt vmcnt(0)
	v_add_nc_u32_e32 v0, -1, v0
	scratch_store_b64 off, v[3:4], s32 offset:2372 ; 8-byte Folded Spill
	v_or_b32_e32 v3, 0xf80, v2
	v_or_b32_e32 v2, 0x1f80, v2
	scratch_store_b32 off, v0, s32 offset:2404 ; 4-byte Folded Spill
	v_cvt_f32_u32_e32 v0, v1
	s_clause 0x1
	scratch_store_b32 off, v3, s32 offset:2420
	scratch_store_b32 off, v2, s32 offset:2920
	v_or_b32_e32 v3, 0x1000, v6
	v_rcp_iflag_f32_e32 v0, v0
	scratch_store_b32 off, v3, s32 offset:2436 ; 4-byte Folded Spill
	v_or_b32_e32 v3, 0x1080, v6
	scratch_store_b32 off, v3, s32 offset:2452 ; 4-byte Folded Spill
	v_or_b32_e32 v3, 0x1100, v6
	v_mul_f32_e32 v0, 0x4f7ffffe, v0
	scratch_store_b32 off, v3, s32 offset:2468 ; 4-byte Folded Spill
	v_or_b32_e32 v3, 0x1180, v6
	scratch_store_b32 off, v3, s32 offset:2484 ; 4-byte Folded Spill
	v_or_b32_e32 v3, 0x1200, v6
	scratch_store_b32 off, v3, s32 offset:2500 ; 4-byte Folded Spill
	v_or_b32_e32 v3, 0x1280, v6
	scratch_store_b32 off, v3, s32 offset:2516 ; 4-byte Folded Spill
	v_or_b32_e32 v3, 0x1300, v6
	scratch_store_b32 off, v3, s32 offset:2532 ; 4-byte Folded Spill
	v_or_b32_e32 v3, 0x1380, v6
	scratch_store_b32 off, v3, s32 offset:2548 ; 4-byte Folded Spill
	v_or_b32_e32 v3, 0x1400, v6
	scratch_store_b32 off, v3, s32 offset:2564 ; 4-byte Folded Spill
	v_or_b32_e32 v3, 0x1480, v6
	scratch_store_b32 off, v3, s32 offset:2580 ; 4-byte Folded Spill
	v_or_b32_e32 v3, 0x1500, v6
	scratch_store_b32 off, v3, s32 offset:2596 ; 4-byte Folded Spill
	v_or_b32_e32 v3, 0x1580, v6
	scratch_store_b32 off, v3, s32 offset:2612 ; 4-byte Folded Spill
	v_or_b32_e32 v3, 0x1600, v6
	scratch_store_b32 off, v3, s32 offset:2628 ; 4-byte Folded Spill
	v_or_b32_e32 v3, 0x1680, v6
	scratch_store_b32 off, v3, s32 offset:2644 ; 4-byte Folded Spill
	v_or_b32_e32 v3, 0x1700, v6
	scratch_store_b32 off, v3, s32 offset:2660 ; 4-byte Folded Spill
	v_cvt_u32_f32_e32 v3, v0
	v_sub_nc_u32_e32 v0, 0, v1
	s_delay_alu instid0(VALU_DEP_1) | instskip(NEXT) | instid1(VALU_DEP_1)
	v_mul_lo_u32 v0, v0, v3
	v_mul_hi_u32 v4, v3, v0
	v_or_b32_e32 v0, 0x1d00, v6
	scratch_store_b32 off, v0, s32 offset:2840 ; 4-byte Folded Spill
	v_or_b32_e32 v0, 0x1d80, v6
	v_add_nc_u32_e32 v2, v3, v4
	scratch_store_b32 off, v1, s32 offset:1884 ; 4-byte Folded Spill
	v_or_b32_e32 v1, 0x1780, v6
	scratch_load_b64 v[3:4], off, s32 offset:3136 ; 8-byte Folded Reload
	s_clause 0x1
	scratch_store_b32 off, v0, s32 offset:2856
	scratch_store_b32 off, v2, s32 offset:1888
	v_or_b32_e32 v0, 0x1e00, v6
	scratch_store_b32 off, v1, s32 offset:2676 ; 4-byte Folded Spill
	v_or_b32_e32 v1, 0x1800, v6
	scratch_load_b32 v2, off, s32 offset:2968 ; 4-byte Folded Reload
	scratch_store_b32 off, v0, s32 offset:2872 ; 4-byte Folded Spill
	v_or_b32_e32 v0, 0x1e80, v6
	scratch_store_b32 off, v1, s32 offset:2692 ; 4-byte Folded Spill
	v_or_b32_e32 v1, 0x1880, v6
	s_clause 0x1
	scratch_store_b32 off, v0, s32 offset:2888
	scratch_store_b32 off, v1, s32 offset:2708
	v_or_b32_e32 v1, 0x1900, v6
	scratch_store_b32 off, v1, s32 offset:2712 ; 4-byte Folded Spill
	v_or_b32_e32 v1, 0x1980, v6
	scratch_store_b32 off, v1, s32 offset:2728 ; 4-byte Folded Spill
	;; [unrolled: 2-line block ×8, first 2 shown]
	scratch_load_b64 v[0:1], off, s32 offset:328 ; 8-byte Folded Reload
	s_waitcnt vmcnt(1)
	v_lshlrev_b32_e32 v2, 4, v2
	s_waitcnt vmcnt(0)
	v_lshlrev_b64 v[0:1], 2, v[0:1]
	s_delay_alu instid0(VALU_DEP_1)
	v_add_co_u32 v0, vcc_lo, v3, v0
	scratch_load_b32 v3, off, s32 offset:3096 ; 4-byte Folded Reload
	v_add_co_ci_u32_e32 v1, vcc_lo, v4, v1, vcc_lo
	s_waitcnt vmcnt(0)
	v_lshl_or_b32 v2, v3, 7, v2
	scratch_load_b32 v3, off, s32 offset:3108 ; 4-byte Folded Reload
	s_waitcnt vmcnt(0)
	v_add_co_u32 v0, vcc_lo, v3, v0
	scratch_load_b32 v3, off, s32 offset:3104 ; 4-byte Folded Reload
	s_waitcnt vmcnt(0)
	v_add_co_ci_u32_e32 v1, vcc_lo, v3, v1, vcc_lo
	scratch_store_b32 off, v6, s32 offset:2388 ; 4-byte Folded Spill
	v_or_b32_e32 v6, 0x1f00, v6
	scratch_store_b64 off, v[0:1], s32 offset:340 ; 8-byte Folded Spill
	s_waitcnt lgkmcnt(0)
	v_add_nc_u32_e32 v0, s0, v2
	s_clause 0x1
	scratch_store_b32 off, v6, s32 offset:2904
	scratch_store_b32 off, v0, s32 offset:348
	v_mov_b32_e32 v0, 0
	scratch_store_b32 off, v0, s32 offset:1728 ; 4-byte Folded Spill
	v_mov_b32_e32 v0, 0
	scratch_store_b32 off, v0, s32 offset:1732 ; 4-byte Folded Spill
	;; [unrolled: 2-line block ×38, first 2 shown]
	s_branch .LBB270_2089
.LBB270_2084:                           ;   in Loop: Header=BB270_2089 Depth=1
	s_or_b32 exec_lo, exec_lo, s3
	v_lshlrev_b32_e32 v8, 24, v20
	s_delay_alu instid0(VALU_DEP_2) | instskip(SKIP_2) | instid1(VALU_DEP_4)
	v_lshlrev_b32_e32 v20, 20, v102
	v_lshl_add_u32 v21, v21, 23, 0x3c000000
	v_mov_b32_e32 v102, v9
	v_and_b32_e32 v8, 0x80000000, v8
	s_delay_alu instid0(VALU_DEP_1)
	v_or3_b32 v103, v20, v8, v21
.LBB270_2085:                           ;   in Loop: Header=BB270_2089 Depth=1
	s_or_b32 exec_lo, exec_lo, s2
.LBB270_2086:                           ;   in Loop: Header=BB270_2089 Depth=1
	s_delay_alu instid0(SALU_CYCLE_1)
	s_or_b32 exec_lo, exec_lo, s1
.LBB270_2087:                           ;   in Loop: Header=BB270_2089 Depth=1
	s_delay_alu instid0(SALU_CYCLE_1)
	s_or_b32 exec_lo, exec_lo, s0
	v_or_b32_e32 v8, v93, v143
	v_or_b32_e32 v93, v159, v105
	;; [unrolled: 1-line block ×4, first 2 shown]
	scratch_store_b32 off, v8, s32 offset:1996 ; 4-byte Folded Spill
	v_or_b32_e32 v8, v92, v142
	v_or_b32_e32 v92, v158, v104
	scratch_store_b32 off, v8, s32 offset:1992 ; 4-byte Folded Spill
	v_or_b32_e32 v8, v147, v149
	scratch_store_b32 off, v8, s32 offset:2004 ; 4-byte Folded Spill
	;; [unrolled: 2-line block ×4, first 2 shown]
	v_or_b32_e32 v8, v129, v131
	v_or_b32_e32 v131, v135, v151
	;; [unrolled: 1-line block ×5, first 2 shown]
	scratch_store_b32 off, v8, s32 offset:2020 ; 4-byte Folded Spill
	v_or_b32_e32 v8, v128, v130
	v_or_b32_e32 v130, v165, v183
	;; [unrolled: 1-line block ×4, first 2 shown]
	scratch_store_b32 off, v8, s32 offset:2012 ; 4-byte Folded Spill
	v_or_b32_e32 v8, v133, v145
	v_or_b32_e32 v145, v41, v176
	scratch_store_b32 off, v8, s32 offset:2008 ; 4-byte Folded Spill
	v_or_b32_e32 v8, v132, v144
	v_or_b32_e32 v132, v164, v182
	;; [unrolled: 1-line block ×5, first 2 shown]
	scratch_store_b32 off, v8, s32 offset:2044 ; 4-byte Folded Spill
	v_or_b32_e32 v8, v95, v44
	v_mul_f32_e32 v144, v47, v144
	v_mul_f32_e32 v28, v47, v28
	scratch_store_b32 off, v8, s32 offset:2036 ; 4-byte Folded Spill
	v_or_b32_e32 v8, v94, v43
	scratch_store_b32 off, v8, s32 offset:2028 ; 4-byte Folded Spill
	v_or_b32_e32 v8, v117, v57
	v_or_b32_e32 v117, v152, v156
	scratch_store_b32 off, v8, s32 offset:2024 ; 4-byte Folded Spill
	v_or_b32_e32 v8, v116, v56
	v_or_b32_e32 v116, v33, v112
	;; [unrolled: 1-line block ×3, first 2 shown]
	scratch_store_b32 off, v8, s32 offset:2084 ; 4-byte Folded Spill
	v_or_b32_e32 v8, v65, v79
	v_or_b32_e32 v65, v188, v108
	v_mul_f32_e32 v33, v47, v33
	scratch_store_b32 off, v8, s32 offset:2068 ; 4-byte Folded Spill
	v_or_b32_e32 v8, v64, v78
	v_or_b32_e32 v64, v75, v185
	v_mul_f32_e32 v65, v47, v65
	scratch_store_b32 off, v8, s32 offset:2052 ; 4-byte Folded Spill
	v_or_b32_e32 v8, v40, v91
	scratch_store_b32 off, v8, s32 offset:2040 ; 4-byte Folded Spill
	v_or_b32_e32 v8, v39, v90
	v_or_b32_e32 v39, v74, v184
	scratch_store_b32 off, v8, s32 offset:2132 ; 4-byte Folded Spill
	v_or_b32_e32 v8, v13, v71
	v_or_b32_e32 v71, v98, v6
	;; [unrolled: 1-line block ×3, first 2 shown]
	scratch_store_b32 off, v8, s32 offset:2148 ; 4-byte Folded Spill
	v_or_b32_e32 v8, v12, v70
	v_or_b32_e32 v70, v52, v106
	v_or_b32_e32 v52, v4, v25
	v_mul_f32_e32 v71, v47, v71
	scratch_store_b32 off, v8, s32 offset:2116 ; 4-byte Folded Spill
	v_or_b32_e32 v8, v30, v83
	v_or_b32_e32 v30, v58, v168
	v_or_b32_e32 v83, v34, v113
	v_or_b32_e32 v34, v141, v11
	v_mul_f32_e32 v70, v47, v70
	scratch_store_b32 off, v8, s32 offset:2100 ; 4-byte Folded Spill
	v_or_b32_e32 v8, v29, v82
	;; [unrolled: 6-line block ×3, first 2 shown]
	v_mul_f32_e32 v30, v47, v30
	scratch_store_b32 off, v8, s32 offset:2212 ; 4-byte Folded Spill
	v_or_b32_e32 v8, v45, v186
	scratch_store_b32 off, v8, s32 offset:2180 ; 4-byte Folded Spill
	v_or_b32_e32 v8, v55, v67
	v_or_b32_e32 v67, v99, v7
	;; [unrolled: 1-line block ×3, first 2 shown]
	scratch_store_b32 off, v8, s32 offset:2164 ; 4-byte Folded Spill
	v_or_b32_e32 v8, v54, v66
	v_or_b32_e32 v66, v5, v26
	scratch_load_b64 v[4:5], off, s32 offset:1644 ; 8-byte Folded Reload
	v_or_b32_e32 v54, v62, v172
	v_or_b32_e32 v26, v85, v121
	scratch_store_b32 off, v8, s32 offset:2260 ; 4-byte Folded Spill
	v_or_b32_e32 v8, v170, v27
	v_or_b32_e32 v27, v140, v10
	v_mul_f32_e32 v54, v47, v54
	v_mul_f32_e32 v26, v47, v26
	scratch_store_b32 off, v8, s32 offset:2244 ; 4-byte Folded Spill
	v_or_b32_e32 v8, v42, v177
	v_mul_f32_e32 v27, v47, v27
	scratch_store_b32 off, v8, s32 offset:2228 ; 4-byte Folded Spill
	v_or_b32_e32 v8, v155, v19
	scratch_store_b32 off, v8, s32 offset:2276 ; 4-byte Folded Spill
	v_or_b32_e32 v8, v134, v150
	v_or_b32_e32 v134, v59, v169
	;; [unrolled: 1-line block ×3, first 2 shown]
	scratch_store_b32 off, v8, s32 offset:2308 ; 4-byte Folded Spill
	v_or_b32_e32 v8, v161, v167
	scratch_store_b32 off, v8, s32 offset:2292 ; 4-byte Folded Spill
	v_or_b32_e32 v8, v119, v127
	v_or_b32_e32 v119, v137, v87
	scratch_store_b32 off, v8, s32 offset:2324 ; 4-byte Folded Spill
	s_waitcnt vmcnt(0)
	v_or_b32_e32 v19, v179, v5
	v_or_b32_e32 v22, v178, v4
	scratch_load_b64 v[4:5], off, s32 offset:1652 ; 8-byte Folded Reload
	v_mul_f32_e32 v19, v47, v19
	s_waitcnt vmcnt(0)
	v_or_b32_e32 v24, v24, v5
	v_or_b32_e32 v165, v23, v4
	scratch_load_b64 v[4:5], off, s32 offset:1628 ; 8-byte Folded Reload
	s_waitcnt vmcnt(0)
	v_or_b32_e32 v161, v77, v5
	v_or_b32_e32 v151, v76, v4
	scratch_load_b64 v[4:5], off, s32 offset:1636 ; 8-byte Folded Reload
	;; [unrolled: 4-line block ×4, first 2 shown]
	v_mul_f32_e32 v18, v47, v18
	s_waitcnt vmcnt(0)
	v_or_b32_e32 v100, v73, v5
	v_or_b32_e32 v176, v72, v4
	scratch_load_b64 v[4:5], off, s32 offset:1596 ; 8-byte Folded Reload
	s_waitcnt vmcnt(0)
	v_or_b32_e32 v177, v51, v5
	v_or_b32_e32 v17, v50, v4
	scratch_load_b64 v[4:5], off, s32 offset:1604 ; 8-byte Folded Reload
	v_mul_f32_e32 v17, v47, v17
	s_waitcnt vmcnt(0)
	v_or_b32_e32 v99, v49, v5
	v_or_b32_e32 v49, v48, v4
	scratch_load_b64 v[4:5], off, s32 offset:1580 ; 8-byte Folded Reload
	s_waitcnt vmcnt(0)
	v_or_b32_e32 v13, v163, v5
	v_or_b32_e32 v15, v162, v4
	scratch_load_b64 v[4:5], off, s32 offset:1588 ; 8-byte Folded Reload
	v_mul_f32_e32 v13, v47, v13
	v_mul_f32_e32 v15, v47, v15
	s_waitcnt vmcnt(0)
	v_or_b32_e32 v51, v81, v5
	v_or_b32_e32 v179, v80, v4
	scratch_load_b64 v[4:5], off, s32 offset:1564 ; 8-byte Folded Reload
	s_waitcnt vmcnt(0)
	v_or_b32_e32 v81, v191, v5
	v_or_b32_e32 v80, v190, v4
	scratch_load_b64 v[4:5], off, s32 offset:1572 ; 8-byte Folded Reload
	s_waitcnt vmcnt(0)
	v_or_b32_e32 v32, v115, v5
	v_or_b32_e32 v183, v114, v4
	s_clause 0x1
	scratch_load_b64 v[4:5], off, s32 offset:1540
	scratch_load_b64 v[6:7], off, s32 offset:1548
	s_waitcnt vmcnt(0)
	v_or_b32_e32 v182, v5, v7
	v_or_b32_e32 v178, v4, v6
	scratch_load_b64 v[4:5], off, s32 offset:1556 ; 8-byte Folded Reload
	s_waitcnt vmcnt(0)
	v_or_b32_e32 v115, v181, v5
	v_or_b32_e32 v40, v180, v4
	s_clause 0x1
	scratch_load_b64 v[4:5], off, s32 offset:1516
	scratch_load_b64 v[6:7], off, s32 offset:1524
	s_waitcnt vmcnt(0)
	v_or_b32_e32 v41, v5, v7
	v_or_b32_e32 v181, v4, v6
	s_clause 0x1
	scratch_load_b64 v[4:5], off, s32 offset:1716
	scratch_load_b64 v[6:7], off, s32 offset:1532
	;; [unrolled: 6-line block ×39, first 2 shown]
	v_mul_f32_e32 v12, v47, v12
	s_waitcnt vmcnt(0)
	v_or_b32_e32 v69, v5, v7
	v_or_b32_e32 v191, v4, v6
	s_clause 0x1
	scratch_load_b64 v[4:5], off, s32 offset:972
	scratch_load_b64 v[6:7], off, s32 offset:980
	s_waitcnt vmcnt(0)
	v_or_b32_e32 v190, v5, v7
	v_or_b32_e32 v16, v4, v6
	s_clause 0x1
	scratch_load_b64 v[4:5], off, s32 offset:924
	scratch_load_b64 v[6:7], off, s32 offset:932
	;; [unrolled: 6-line block ×8, first 2 shown]
	v_mul_f32_e32 v10, v47, v10
	v_mul_f32_e32 v6, v47, v6
	s_waitcnt vmcnt(0)
	v_or_b32_e32 v162, v5, v8
	v_or_b32_e32 v31, v4, v7
	s_clause 0x3
	scratch_load_b64 v[4:5], off, s32 offset:844
	scratch_load_b64 v[7:8], off, s32 offset:852
	;; [unrolled: 1-line block ×4, first 2 shown]
	s_waitcnt vmcnt(2)
	v_or_b32_e32 v14, v5, v8
	v_or_b32_e32 v5, v4, v7
	s_waitcnt vmcnt(0)
	v_or_b32_e32 v7, v114, v147
	v_or_b32_e32 v8, v113, v146
	s_clause 0x1
	scratch_load_b64 v[113:114], off, s32 offset:812
	scratch_load_b64 v[146:147], off, s32 offset:820
	s_waitcnt vmcnt(0)
	v_or_b32_e32 v163, v114, v147
	v_or_b32_e32 v4, v113, v146
	s_clause 0x1
	scratch_load_b64 v[113:114], off, s32 offset:764
	scratch_load_b64 v[146:147], off, s32 offset:772
	v_mul_f32_e32 v4, v47, v4
	s_waitcnt vmcnt(0)
	v_or_b32_e32 v50, v114, v147
	v_or_b32_e32 v21, v113, v146
	s_clause 0x1
	scratch_load_b64 v[113:114], off, s32 offset:780
	scratch_load_b64 v[146:147], off, s32 offset:788
	s_waitcnt vmcnt(0)
	v_or_b32_e32 v96, v114, v147
	s_clause 0x1
	scratch_load_b32 v114, off, s32 offset:336
	scratch_load_b32 v133, off, s32 offset:2356
	v_or_b32_e32 v48, v113, v146
	v_mul_f32_e32 v113, v47, v93
	s_clause 0x1
	scratch_load_b64 v[146:147], off, s32 offset:328
	scratch_load_b32 v147, off, s32 offset:2404
	s_waitcnt vmcnt(2)
	v_add_nc_u32_e32 v114, v133, v114
	scratch_load_b32 v133, off, s32 offset:1724 ; 4-byte Folded Reload
	s_waitcnt vmcnt(1)
	v_cmp_eq_u32_e32 vcc_lo, v147, v146
	scratch_load_b32 v146, off, s32 offset:1996 ; 4-byte Folded Reload
	v_add_nc_u32_e32 v93, 3, v114
	v_dual_mul_f32 v52, v47, v52 :: v_dual_add_nc_u32 v149, 1, v114
	v_mul_f32_e32 v67, v47, v67
	v_mul_f32_e32 v53, v47, v53
	;; [unrolled: 1-line block ×5, first 2 shown]
	s_waitcnt vmcnt(1)
	v_cmp_lt_i32_e64 s0, v93, v133
	v_cmp_lt_i32_e64 s3, v149, v133
	;; [unrolled: 1-line block ×3, first 2 shown]
	s_delay_alu instid0(VALU_DEP_3) | instskip(NEXT) | instid1(VALU_DEP_1)
	v_cndmask_b32_e64 v93, 0, v113, s0
	v_cndmask_b32_e32 v113, v113, v93, vcc_lo
	v_dual_mul_f32 v93, v47, v92 :: v_dual_add_nc_u32 v92, 2, v114
	s_delay_alu instid0(VALU_DEP_1) | instskip(SKIP_3) | instid1(VALU_DEP_1)
	v_cmp_lt_i32_e64 s1, v92, v133
	scratch_load_b32 v133, off, s32 offset:2004 ; 4-byte Folded Reload
	v_cndmask_b32_e64 v92, 0, v93, s1
	s_waitcnt vmcnt(1)
	v_dual_cndmask_b32 v92, v93, v92 :: v_dual_mul_f32 v93, v47, v146
	scratch_load_b32 v146, off, s32 offset:1992 ; 4-byte Folded Reload
	v_cndmask_b32_e64 v149, 0, v93, s3
	s_delay_alu instid0(VALU_DEP_1) | instskip(NEXT) | instid1(VALU_DEP_1)
	v_cndmask_b32_e32 v149, v93, v149, vcc_lo
	v_mul_f32_e32 v149, v1, v149
	s_waitcnt vmcnt(0)
	v_mul_f32_e32 v93, v47, v146
	s_delay_alu instid0(VALU_DEP_1) | instskip(NEXT) | instid1(VALU_DEP_1)
	v_cndmask_b32_e64 v114, 0, v93, s2
	v_cndmask_b32_e32 v114, v93, v114, vcc_lo
	s_delay_alu instid0(VALU_DEP_1) | instskip(SKIP_2) | instid1(VALU_DEP_1)
	v_fmac_f32_e32 v149, v0, v114
	scratch_load_b32 v114, off, s32 offset:2016 ; 4-byte Folded Reload
	v_fmac_f32_e32 v149, v2, v92
	v_fmac_f32_e32 v149, v3, v113
	scratch_load_b32 v113, off, s32 offset:2084 ; 4-byte Folded Reload
	s_waitcnt vmcnt(1)
	v_mul_f32_e32 v114, v47, v114
	s_delay_alu instid0(VALU_DEP_1) | instskip(NEXT) | instid1(VALU_DEP_1)
	v_cndmask_b32_e64 v92, 0, v114, s1
	v_cndmask_b32_e32 v114, v114, v92, vcc_lo
	v_mul_f32_e32 v92, v47, v133
	scratch_load_b32 v133, off, s32 offset:2000 ; 4-byte Folded Reload
	s_waitcnt vmcnt(1)
	v_mul_f32_e32 v113, v47, v113
	v_cndmask_b32_e64 v93, 0, v92, s3
	s_delay_alu instid0(VALU_DEP_1) | instskip(NEXT) | instid1(VALU_DEP_1)
	v_dual_cndmask_b32 v92, v92, v93 :: v_dual_mul_f32 v93, v47, v148
	v_mul_f32_e32 v92, v1, v92
	s_delay_alu instid0(VALU_DEP_2) | instskip(NEXT) | instid1(VALU_DEP_1)
	v_cndmask_b32_e64 v148, 0, v93, s2
	v_cndmask_b32_e32 v148, v93, v148, vcc_lo
	s_delay_alu instid0(VALU_DEP_1) | instskip(NEXT) | instid1(VALU_DEP_1)
	v_fmac_f32_e32 v92, v0, v148
	v_fmac_f32_e32 v92, v2, v114
	scratch_load_b32 v114, off, s32 offset:2044 ; 4-byte Folded Reload
	s_waitcnt vmcnt(1)
	v_mul_f32_e32 v148, v47, v133
	scratch_load_b32 v133, off, s32 offset:2020 ; 4-byte Folded Reload
	v_cndmask_b32_e64 v93, 0, v148, s0
	s_delay_alu instid0(VALU_DEP_1) | instskip(SKIP_2) | instid1(VALU_DEP_1)
	v_cndmask_b32_e32 v148, v148, v93, vcc_lo
	s_waitcnt vmcnt(1)
	v_mul_f32_e32 v114, v47, v114
	v_cndmask_b32_e64 v93, 0, v114, s1
	s_delay_alu instid0(VALU_DEP_1) | instskip(SKIP_4) | instid1(VALU_DEP_1)
	v_cndmask_b32_e32 v114, v114, v93, vcc_lo
	s_waitcnt vmcnt(0)
	v_mul_f32_e32 v93, v47, v133
	scratch_load_b32 v133, off, s32 offset:2012 ; 4-byte Folded Reload
	v_cndmask_b32_e64 v147, 0, v93, s3
	v_cndmask_b32_e32 v147, v93, v147, vcc_lo
	s_delay_alu instid0(VALU_DEP_1) | instskip(SKIP_4) | instid1(VALU_DEP_1)
	v_dual_mul_f32 v147, v1, v147 :: v_dual_fmac_f32 v92, v3, v148
	s_waitcnt vmcnt(0)
	v_mul_f32_e32 v93, v47, v133
	scratch_load_b32 v133, off, s32 offset:2008 ; 4-byte Folded Reload
	v_cndmask_b32_e64 v146, 0, v93, s2
	v_cndmask_b32_e32 v146, v93, v146, vcc_lo
	s_delay_alu instid0(VALU_DEP_1) | instskip(NEXT) | instid1(VALU_DEP_1)
	v_fmac_f32_e32 v147, v0, v146
	v_fmac_f32_e32 v147, v2, v114
	v_cndmask_b32_e64 v114, 0, v113, s1
	s_delay_alu instid0(VALU_DEP_1)
	v_cndmask_b32_e32 v113, v113, v114, vcc_lo
	scratch_load_b32 v114, off, s32 offset:2036 ; 4-byte Folded Reload
	s_waitcnt vmcnt(1)
	v_mul_f32_e32 v146, v47, v133
	scratch_load_b32 v133, off, s32 offset:2028 ; 4-byte Folded Reload
	v_cndmask_b32_e64 v93, 0, v146, s0
	s_delay_alu instid0(VALU_DEP_1) | instskip(NEXT) | instid1(VALU_DEP_1)
	v_cndmask_b32_e32 v146, v146, v93, vcc_lo
	v_fmac_f32_e32 v147, v3, v146
	s_waitcnt vmcnt(1)
	v_mul_f32_e32 v114, v47, v114
	s_delay_alu instid0(VALU_DEP_1) | instskip(NEXT) | instid1(VALU_DEP_1)
	v_cndmask_b32_e64 v146, 0, v114, s3
	v_cndmask_b32_e32 v114, v114, v146, vcc_lo
	s_delay_alu instid0(VALU_DEP_1) | instskip(SKIP_4) | instid1(VALU_DEP_1)
	v_mul_f32_e32 v114, v1, v114
	s_waitcnt vmcnt(0)
	v_mul_f32_e32 v146, v47, v133
	scratch_load_b32 v133, off, s32 offset:2024 ; 4-byte Folded Reload
	v_cndmask_b32_e64 v148, 0, v146, s2
	v_cndmask_b32_e32 v146, v146, v148, vcc_lo
	s_delay_alu instid0(VALU_DEP_1) | instskip(NEXT) | instid1(VALU_DEP_1)
	v_fmac_f32_e32 v114, v0, v146
	v_fmac_f32_e32 v114, v2, v113
	scratch_load_b32 v113, off, s32 offset:1728 ; 4-byte Folded Reload
	s_waitcnt vmcnt(1)
	v_mul_f32_e32 v146, v47, v133
	scratch_load_b32 v133, off, s32 offset:2068 ; 4-byte Folded Reload
	v_cndmask_b32_e64 v148, 0, v146, s0
	s_delay_alu instid0(VALU_DEP_1) | instskip(SKIP_1) | instid1(VALU_DEP_1)
	v_cndmask_b32_e32 v146, v146, v148, vcc_lo
	s_waitcnt vmcnt(1)
	v_dual_fmac_f32 v114, v3, v146 :: v_dual_add_f32 v113, v113, v149
	scratch_store_b32 off, v113, s32 offset:1728 ; 4-byte Folded Spill
	scratch_load_b32 v113, off, s32 offset:1732 ; 4-byte Folded Reload
	s_waitcnt vmcnt(0)
	v_add_f32_e32 v113, v113, v92
	scratch_store_b32 off, v113, s32 offset:1732 ; 4-byte Folded Spill
	scratch_load_b32 v113, off, s32 offset:1736 ; 4-byte Folded Reload
	s_waitcnt vmcnt(0)
	v_add_f32_e32 v113, v113, v147
	scratch_store_b32 off, v113, s32 offset:1736 ; 4-byte Folded Spill
	scratch_load_b32 v113, off, s32 offset:2132 ; 4-byte Folded Reload
	s_waitcnt vmcnt(0)
	v_mul_f32_e32 v113, v47, v113
	s_delay_alu instid0(VALU_DEP_1) | instskip(NEXT) | instid1(VALU_DEP_1)
	v_cndmask_b32_e64 v146, 0, v113, s1
	v_dual_cndmask_b32 v113, v113, v146 :: v_dual_mul_f32 v146, v47, v133
	scratch_load_b32 v133, off, s32 offset:2052 ; 4-byte Folded Reload
	v_cndmask_b32_e64 v147, 0, v146, s3
	s_waitcnt vmcnt(0)
	s_delay_alu instid0(VALU_DEP_1) | instskip(SKIP_3) | instid1(VALU_DEP_1)
	v_dual_cndmask_b32 v146, v146, v147 :: v_dual_mul_f32 v147, v47, v133
	scratch_load_b32 v133, off, s32 offset:2040 ; 4-byte Folded Reload
	v_mul_f32_e32 v146, v1, v146
	v_cndmask_b32_e64 v148, 0, v147, s2
	v_cndmask_b32_e32 v147, v147, v148, vcc_lo
	s_delay_alu instid0(VALU_DEP_1) | instskip(NEXT) | instid1(VALU_DEP_1)
	v_fmac_f32_e32 v146, v0, v147
	v_fmac_f32_e32 v146, v2, v113
	scratch_load_b32 v113, off, s32 offset:2196 ; 4-byte Folded Reload
	s_waitcnt vmcnt(1)
	v_mul_f32_e32 v147, v47, v133
	scratch_load_b32 v133, off, s32 offset:2148 ; 4-byte Folded Reload
	v_cndmask_b32_e64 v148, 0, v147, s0
	s_delay_alu instid0(VALU_DEP_1) | instskip(SKIP_2) | instid1(VALU_DEP_1)
	v_cndmask_b32_e32 v147, v147, v148, vcc_lo
	s_waitcnt vmcnt(1)
	v_mul_f32_e32 v113, v47, v113
	v_cndmask_b32_e64 v148, 0, v113, s1
	s_waitcnt vmcnt(0)
	s_delay_alu instid0(VALU_DEP_1) | instskip(SKIP_2) | instid1(VALU_DEP_1)
	v_dual_cndmask_b32 v113, v113, v148 :: v_dual_mul_f32 v148, v47, v133
	scratch_load_b32 v133, off, s32 offset:2116 ; 4-byte Folded Reload
	v_cndmask_b32_e64 v149, 0, v148, s3
	v_cndmask_b32_e32 v148, v148, v149, vcc_lo
	s_waitcnt vmcnt(0)
	s_delay_alu instid0(VALU_DEP_1) | instskip(SKIP_2) | instid1(VALU_DEP_1)
	v_dual_mul_f32 v148, v1, v148 :: v_dual_mul_f32 v149, v47, v133
	scratch_load_b32 v133, off, s32 offset:2100 ; 4-byte Folded Reload
	v_cndmask_b32_e64 v92, 0, v149, s2
	v_cndmask_b32_e32 v149, v149, v92, vcc_lo
	s_delay_alu instid0(VALU_DEP_1) | instskip(NEXT) | instid1(VALU_DEP_1)
	v_fmac_f32_e32 v148, v0, v149
	v_fmac_f32_e32 v148, v2, v113
	scratch_load_b32 v113, off, s32 offset:2260 ; 4-byte Folded Reload
	s_waitcnt vmcnt(1)
	v_mul_f32_e32 v149, v47, v133
	scratch_load_b32 v133, off, s32 offset:2212 ; 4-byte Folded Reload
	v_cndmask_b32_e64 v92, 0, v149, s0
	s_delay_alu instid0(VALU_DEP_1) | instskip(NEXT) | instid1(VALU_DEP_1)
	v_cndmask_b32_e32 v149, v149, v92, vcc_lo
	v_fmac_f32_e32 v148, v3, v149
	s_waitcnt vmcnt(1)
	v_mul_f32_e32 v113, v47, v113
	s_delay_alu instid0(VALU_DEP_1) | instskip(SKIP_1) | instid1(VALU_DEP_1)
	v_cndmask_b32_e64 v92, 0, v113, s1
	s_waitcnt vmcnt(0)
	v_dual_cndmask_b32 v113, v113, v92 :: v_dual_mul_f32 v92, v47, v133
	scratch_load_b32 v133, off, s32 offset:2180 ; 4-byte Folded Reload
	v_cndmask_b32_e64 v93, 0, v92, s3
	s_delay_alu instid0(VALU_DEP_1) | instskip(SKIP_1) | instid1(VALU_DEP_1)
	v_cndmask_b32_e32 v92, v92, v93, vcc_lo
	s_waitcnt vmcnt(0)
	v_dual_mul_f32 v92, v1, v92 :: v_dual_mul_f32 v93, v47, v133
	s_delay_alu instid0(VALU_DEP_1) | instskip(NEXT) | instid1(VALU_DEP_1)
	v_cndmask_b32_e64 v133, 0, v93, s2
	v_cndmask_b32_e32 v133, v93, v133, vcc_lo
	s_delay_alu instid0(VALU_DEP_1) | instskip(SKIP_3) | instid1(VALU_DEP_1)
	v_fmac_f32_e32 v92, v0, v133
	scratch_load_b32 v133, off, s32 offset:2164 ; 4-byte Folded Reload
	v_fmac_f32_e32 v92, v2, v113
	v_mul_f32_e32 v113, v47, v145
	v_cndmask_b32_e64 v145, 0, v113, s1
	s_delay_alu instid0(VALU_DEP_1) | instskip(SKIP_1) | instid1(VALU_DEP_1)
	v_cndmask_b32_e32 v113, v113, v145, vcc_lo
	v_cndmask_b32_e64 v145, 0, v144, s3
	v_cndmask_b32_e32 v144, v144, v145, vcc_lo
	scratch_load_b32 v145, off, s32 offset:2244 ; 4-byte Folded Reload
	s_waitcnt vmcnt(1)
	v_dual_mul_f32 v144, v1, v144 :: v_dual_mul_f32 v133, v47, v133
	s_delay_alu instid0(VALU_DEP_1) | instskip(NEXT) | instid1(VALU_DEP_1)
	v_cndmask_b32_e64 v93, 0, v133, s0
	v_cndmask_b32_e32 v133, v133, v93, vcc_lo
	s_waitcnt vmcnt(0)
	v_mul_f32_e32 v145, v47, v145
	s_delay_alu instid0(VALU_DEP_1) | instskip(NEXT) | instid1(VALU_DEP_1)
	v_cndmask_b32_e64 v93, 0, v145, s2
	v_cndmask_b32_e32 v145, v145, v93, vcc_lo
	s_delay_alu instid0(VALU_DEP_1)
	v_fmac_f32_e32 v144, v0, v145
	scratch_load_b32 v145, off, s32 offset:2228 ; 4-byte Folded Reload
	v_fmac_f32_e32 v144, v2, v113
	scratch_load_b32 v113, off, s32 offset:1740 ; 4-byte Folded Reload
	s_waitcnt vmcnt(1)
	v_mul_f32_e32 v145, v47, v145
	s_waitcnt vmcnt(0)
	v_dual_add_f32 v113, v113, v114 :: v_dual_fmac_f32 v146, v3, v147
	v_fmac_f32_e32 v92, v3, v133
	s_delay_alu instid0(VALU_DEP_3) | instskip(SKIP_4) | instid1(VALU_DEP_1)
	v_cndmask_b32_e64 v93, 0, v145, s0
	scratch_store_b32 off, v113, s32 offset:1740 ; 4-byte Folded Spill
	v_mul_f32_e32 v113, v47, v129
	scratch_load_b32 v129, off, s32 offset:2276 ; 4-byte Folded Reload
	v_cndmask_b32_e64 v114, 0, v113, s1
	v_cndmask_b32_e32 v113, v113, v114, vcc_lo
	v_mul_f32_e32 v114, v47, v130
	s_delay_alu instid0(VALU_DEP_1) | instskip(NEXT) | instid1(VALU_DEP_1)
	v_cndmask_b32_e64 v130, 0, v114, s3
	v_cndmask_b32_e32 v114, v114, v130, vcc_lo
	v_mul_f32_e32 v130, v47, v132
	s_delay_alu instid0(VALU_DEP_2) | instskip(NEXT) | instid1(VALU_DEP_2)
	v_mul_f32_e32 v114, v1, v114
	v_cndmask_b32_e64 v132, 0, v130, s2
	s_delay_alu instid0(VALU_DEP_1) | instskip(NEXT) | instid1(VALU_DEP_1)
	v_cndmask_b32_e32 v130, v130, v132, vcc_lo
	v_fmac_f32_e32 v114, v0, v130
	s_delay_alu instid0(VALU_DEP_1) | instskip(SKIP_3) | instid1(VALU_DEP_1)
	v_fmac_f32_e32 v114, v2, v113
	scratch_load_b32 v113, off, s32 offset:1744 ; 4-byte Folded Reload
	s_waitcnt vmcnt(1)
	v_mul_f32_e32 v130, v47, v129
	v_cndmask_b32_e64 v132, 0, v130, s0
	s_delay_alu instid0(VALU_DEP_1) | instskip(NEXT) | instid1(VALU_DEP_1)
	v_dual_cndmask_b32 v130, v130, v132 :: v_dual_cndmask_b32 v145, v145, v93
	v_fmac_f32_e32 v114, v3, v130
	s_waitcnt vmcnt(0)
	s_delay_alu instid0(VALU_DEP_2)
	v_dual_fmac_f32 v144, v3, v145 :: v_dual_add_f32 v113, v113, v146
	scratch_store_b32 off, v113, s32 offset:1744 ; 4-byte Folded Spill
	scratch_load_b32 v113, off, s32 offset:1748 ; 4-byte Folded Reload
	s_waitcnt vmcnt(0)
	v_add_f32_e32 v113, v113, v148
	scratch_store_b32 off, v113, s32 offset:1748 ; 4-byte Folded Spill
	scratch_load_b32 v113, off, s32 offset:1752 ; 4-byte Folded Reload
	s_waitcnt vmcnt(0)
	v_add_f32_e32 v113, v113, v92
	;; [unrolled: 4-line block ×3, first 2 shown]
	scratch_store_b32 off, v113, s32 offset:1756 ; 4-byte Folded Spill
	v_mul_f32_e32 v113, v47, v128
	scratch_load_b32 v128, off, s32 offset:2308 ; 4-byte Folded Reload
	v_cndmask_b32_e64 v130, 0, v113, s1
	s_delay_alu instid0(VALU_DEP_1) | instskip(NEXT) | instid1(VALU_DEP_1)
	v_dual_cndmask_b32 v113, v113, v130 :: v_dual_mul_f32 v130, v47, v131
	v_cndmask_b32_e64 v132, 0, v130, s3
	s_delay_alu instid0(VALU_DEP_1) | instskip(SKIP_1) | instid1(VALU_DEP_1)
	v_cndmask_b32_e32 v130, v130, v132, vcc_lo
	s_waitcnt vmcnt(0)
	v_dual_mul_f32 v130, v1, v130 :: v_dual_mul_f32 v129, v47, v128
	scratch_load_b32 v128, off, s32 offset:2292 ; 4-byte Folded Reload
	v_cndmask_b32_e64 v132, 0, v129, s2
	s_delay_alu instid0(VALU_DEP_1) | instskip(NEXT) | instid1(VALU_DEP_1)
	v_cndmask_b32_e32 v129, v129, v132, vcc_lo
	v_fmac_f32_e32 v130, v0, v129
	s_delay_alu instid0(VALU_DEP_1) | instskip(NEXT) | instid1(VALU_DEP_1)
	v_dual_fmac_f32 v130, v2, v113 :: v_dual_mul_f32 v113, v47, v118
	v_cndmask_b32_e64 v118, 0, v113, s1
	s_delay_alu instid0(VALU_DEP_1) | instskip(SKIP_4) | instid1(VALU_DEP_2)
	v_cndmask_b32_e32 v113, v113, v118, vcc_lo
	v_mul_f32_e32 v118, v47, v150
	s_waitcnt vmcnt(0)
	v_mul_f32_e32 v129, v47, v128
	v_mul_f32_e32 v128, v47, v164
	v_cndmask_b32_e64 v131, 0, v129, s0
	s_delay_alu instid0(VALU_DEP_1) | instskip(SKIP_1) | instid1(VALU_DEP_1)
	v_cndmask_b32_e32 v129, v129, v131, vcc_lo
	v_cndmask_b32_e64 v131, 0, v118, s3
	v_cndmask_b32_e32 v118, v118, v131, vcc_lo
	v_cndmask_b32_e64 v131, 0, v128, s2
	s_delay_alu instid0(VALU_DEP_2) | instskip(NEXT) | instid1(VALU_DEP_2)
	v_mul_f32_e32 v118, v1, v118
	v_cndmask_b32_e32 v128, v128, v131, vcc_lo
	s_delay_alu instid0(VALU_DEP_1) | instskip(SKIP_3) | instid1(VALU_DEP_1)
	v_fmac_f32_e32 v118, v0, v128
	scratch_load_b32 v128, off, s32 offset:2324 ; 4-byte Folded Reload
	v_fmac_f32_e32 v118, v2, v113
	v_cndmask_b32_e64 v113, 0, v70, s1
	v_cndmask_b32_e32 v70, v70, v113, vcc_lo
	v_cndmask_b32_e64 v113, 0, v83, s3
	s_delay_alu instid0(VALU_DEP_1) | instskip(SKIP_3) | instid1(VALU_DEP_4)
	v_cndmask_b32_e32 v83, v83, v113, vcc_lo
	v_mul_f32_e32 v113, v47, v116
	v_fmac_f32_e32 v130, v3, v129
	v_mul_f32_e32 v55, v47, v55
	v_mul_f32_e32 v83, v1, v83
	s_delay_alu instid0(VALU_DEP_4) | instskip(NEXT) | instid1(VALU_DEP_1)
	v_cndmask_b32_e64 v116, 0, v113, s2
	v_cndmask_b32_e32 v113, v113, v116, vcc_lo
	s_delay_alu instid0(VALU_DEP_1) | instskip(SKIP_1) | instid1(VALU_DEP_2)
	v_fmac_f32_e32 v83, v0, v113
	v_mul_f32_e32 v113, v47, v135
	v_fmac_f32_e32 v83, v2, v70
	v_mul_f32_e32 v70, v47, v98
	s_delay_alu instid0(VALU_DEP_3) | instskip(NEXT) | instid1(VALU_DEP_2)
	v_cndmask_b32_e64 v116, 0, v113, s0
	v_cndmask_b32_e64 v98, 0, v70, s1
	s_delay_alu instid0(VALU_DEP_1) | instskip(NEXT) | instid1(VALU_DEP_1)
	v_dual_cndmask_b32 v113, v113, v116 :: v_dual_cndmask_b32 v70, v70, v98
	v_fmac_f32_e32 v83, v3, v113
	v_cndmask_b32_e64 v98, 0, v67, s3
	s_delay_alu instid0(VALU_DEP_1) | instskip(SKIP_1) | instid1(VALU_DEP_2)
	v_cndmask_b32_e32 v67, v67, v98, vcc_lo
	v_cndmask_b32_e64 v98, 0, v71, s2
	v_mul_f32_e32 v67, v1, v67
	s_delay_alu instid0(VALU_DEP_2) | instskip(NEXT) | instid1(VALU_DEP_1)
	v_cndmask_b32_e32 v71, v71, v98, vcc_lo
	v_fmac_f32_e32 v67, v0, v71
	v_mul_f32_e32 v71, v47, v82
	s_delay_alu instid0(VALU_DEP_2) | instskip(SKIP_1) | instid1(VALU_DEP_3)
	v_fmac_f32_e32 v67, v2, v70
	v_cndmask_b32_e64 v70, 0, v52, s1
	v_cndmask_b32_e64 v82, 0, v71, s0
	s_delay_alu instid0(VALU_DEP_2) | instskip(SKIP_1) | instid1(VALU_DEP_1)
	v_cndmask_b32_e32 v52, v52, v70, vcc_lo
	v_cndmask_b32_e64 v70, 0, v55, s3
	v_cndmask_b32_e32 v55, v55, v70, vcc_lo
	v_cndmask_b32_e64 v70, 0, v65, s2
	s_delay_alu instid0(VALU_DEP_2) | instskip(NEXT) | instid1(VALU_DEP_2)
	v_mul_f32_e32 v55, v1, v55
	v_cndmask_b32_e32 v65, v65, v70, vcc_lo
	s_delay_alu instid0(VALU_DEP_1) | instskip(SKIP_1) | instid1(VALU_DEP_2)
	v_fmac_f32_e32 v55, v0, v65
	v_mul_f32_e32 v65, v47, v66
	v_fmac_f32_e32 v55, v2, v52
	scratch_load_b32 v52, off, s32 offset:1760 ; 4-byte Folded Reload
	v_cndmask_b32_e64 v66, 0, v65, s0
	s_delay_alu instid0(VALU_DEP_1) | instskip(NEXT) | instid1(VALU_DEP_1)
	v_cndmask_b32_e32 v65, v65, v66, vcc_lo
	v_fmac_f32_e32 v55, v3, v65
	s_waitcnt vmcnt(1)
	v_mul_f32_e32 v128, v47, v128
	s_delay_alu instid0(VALU_DEP_1) | instskip(NEXT) | instid1(VALU_DEP_1)
	v_cndmask_b32_e64 v131, 0, v128, s0
	v_cndmask_b32_e32 v128, v128, v131, vcc_lo
	s_delay_alu instid0(VALU_DEP_1)
	v_fmac_f32_e32 v118, v3, v128
	s_waitcnt vmcnt(0)
	v_add_f32_e32 v52, v52, v130
	scratch_store_b32 off, v52, s32 offset:1760 ; 4-byte Folded Spill
	scratch_load_b32 v52, off, s32 offset:1764 ; 4-byte Folded Reload
	s_waitcnt vmcnt(0)
	v_add_f32_e32 v52, v52, v118
	scratch_store_b32 off, v52, s32 offset:1764 ; 4-byte Folded Spill
	scratch_load_b32 v52, off, s32 offset:1768 ; 4-byte Folded Reload
	s_waitcnt vmcnt(0)
	v_dual_cndmask_b32 v71, v71, v82 :: v_dual_add_f32 v52, v52, v83
	s_delay_alu instid0(VALU_DEP_1)
	v_fmac_f32_e32 v67, v3, v71
	scratch_store_b32 off, v52, s32 offset:1768 ; 4-byte Folded Spill
	scratch_load_b32 v52, off, s32 offset:1772 ; 4-byte Folded Reload
	s_waitcnt vmcnt(0)
	v_dual_add_f32 v123, v123, v114 :: v_dual_add_f32 v52, v52, v67
	scratch_store_b32 off, v52, s32 offset:1772 ; 4-byte Folded Spill
	v_mul_f32_e32 v52, v47, v39
	v_mul_f32_e32 v39, v47, v134
	s_delay_alu instid0(VALU_DEP_2) | instskip(NEXT) | instid1(VALU_DEP_1)
	v_cndmask_b32_e64 v65, 0, v52, s1
	v_cndmask_b32_e32 v52, v52, v65, vcc_lo
	v_cndmask_b32_e64 v65, 0, v53, s3
	s_delay_alu instid0(VALU_DEP_1) | instskip(NEXT) | instid1(VALU_DEP_1)
	v_cndmask_b32_e32 v53, v53, v65, vcc_lo
	v_mul_f32_e32 v53, v1, v53
	v_cndmask_b32_e64 v65, 0, v54, s2
	s_delay_alu instid0(VALU_DEP_1) | instskip(NEXT) | instid1(VALU_DEP_1)
	v_cndmask_b32_e32 v54, v54, v65, vcc_lo
	v_dual_fmac_f32 v53, v0, v54 :: v_dual_mul_f32 v54, v47, v64
	s_delay_alu instid0(VALU_DEP_1) | instskip(SKIP_1) | instid1(VALU_DEP_3)
	v_fmac_f32_e32 v53, v2, v52
	v_cndmask_b32_e64 v52, 0, v30, s1
	v_cndmask_b32_e64 v64, 0, v54, s0
	s_delay_alu instid0(VALU_DEP_2) | instskip(SKIP_1) | instid1(VALU_DEP_3)
	v_cndmask_b32_e32 v30, v30, v52, vcc_lo
	v_mul_f32_e32 v52, v47, v101
	v_cndmask_b32_e32 v54, v54, v64, vcc_lo
	s_delay_alu instid0(VALU_DEP_2) | instskip(NEXT) | instid1(VALU_DEP_1)
	v_cndmask_b32_e64 v64, 0, v52, s3
	v_dual_fmac_f32 v53, v3, v54 :: v_dual_cndmask_b32 v52, v52, v64
	v_mul_f32_e32 v64, v47, v117
	s_delay_alu instid0(VALU_DEP_2) | instskip(NEXT) | instid1(VALU_DEP_2)
	v_mul_f32_e32 v52, v1, v52
	v_cndmask_b32_e64 v65, 0, v64, s2
	s_delay_alu instid0(VALU_DEP_1) | instskip(NEXT) | instid1(VALU_DEP_1)
	v_cndmask_b32_e32 v64, v64, v65, vcc_lo
	v_fmac_f32_e32 v52, v0, v64
	v_cndmask_b32_e64 v64, 0, v39, s0
	s_delay_alu instid0(VALU_DEP_1) | instskip(SKIP_1) | instid1(VALU_DEP_2)
	v_dual_fmac_f32 v52, v2, v30 :: v_dual_cndmask_b32 v39, v39, v64
	v_cndmask_b32_e64 v30, 0, v27, s1
	v_fmac_f32_e32 v52, v3, v39
	s_delay_alu instid0(VALU_DEP_2) | instskip(SKIP_3) | instid1(VALU_DEP_1)
	v_cndmask_b32_e32 v27, v27, v30, vcc_lo
	v_mul_f32_e32 v30, v47, v119
	scratch_load_b32 v39, off, s32 offset:1916 ; 4-byte Folded Reload
	v_cndmask_b32_e64 v64, 0, v30, s3
	v_cndmask_b32_e32 v30, v30, v64, vcc_lo
	s_delay_alu instid0(VALU_DEP_1) | instskip(SKIP_1) | instid1(VALU_DEP_1)
	v_mul_f32_e32 v30, v1, v30
	v_cndmask_b32_e64 v64, 0, v33, s2
	v_cndmask_b32_e32 v33, v33, v64, vcc_lo
	s_delay_alu instid0(VALU_DEP_1) | instskip(NEXT) | instid1(VALU_DEP_1)
	v_dual_fmac_f32 v30, v0, v33 :: v_dual_mul_f32 v33, v47, v34
	v_fmac_f32_e32 v30, v2, v27
	s_delay_alu instid0(VALU_DEP_2) | instskip(SKIP_1) | instid1(VALU_DEP_2)
	v_cndmask_b32_e64 v34, 0, v33, s0
	v_mul_f32_e32 v27, v47, v160
	v_cndmask_b32_e32 v33, v33, v34, vcc_lo
	s_delay_alu instid0(VALU_DEP_2) | instskip(NEXT) | instid1(VALU_DEP_1)
	v_cndmask_b32_e64 v34, 0, v27, s1
	v_cndmask_b32_e32 v27, v27, v34, vcc_lo
	v_cndmask_b32_e64 v34, 0, v26, s3
	s_delay_alu instid0(VALU_DEP_4) | instskip(SKIP_3) | instid1(VALU_DEP_2)
	v_fmac_f32_e32 v30, v3, v33
	scratch_load_b32 v33, off, s32 offset:1908 ; 4-byte Folded Reload
	v_cndmask_b32_e32 v26, v26, v34, vcc_lo
	v_cndmask_b32_e64 v34, 0, v28, s2
	v_mul_f32_e32 v26, v1, v26
	s_delay_alu instid0(VALU_DEP_2) | instskip(SKIP_3) | instid1(VALU_DEP_2)
	v_cndmask_b32_e32 v28, v28, v34, vcc_lo
	scratch_load_b32 v34, off, s32 offset:1912 ; 4-byte Folded Reload
	v_fmac_f32_e32 v26, v0, v28
	v_mul_f32_e32 v28, v47, v29
	v_fmac_f32_e32 v26, v2, v27
	s_delay_alu instid0(VALU_DEP_2)
	v_cndmask_b32_e64 v29, 0, v28, s0
	scratch_load_b32 v27, off, s32 offset:1776 ; 4-byte Folded Reload
	v_cndmask_b32_e32 v28, v28, v29, vcc_lo
	scratch_load_b32 v29, off, s32 offset:1896 ; 4-byte Folded Reload
	v_fmac_f32_e32 v26, v3, v28
	s_waitcnt vmcnt(1)
	v_add_f32_e32 v27, v27, v55
	scratch_store_b32 off, v27, s32 offset:1776 ; 4-byte Folded Spill
	v_mul_f32_e32 v27, v47, v165
	s_delay_alu instid0(VALU_DEP_1) | instskip(NEXT) | instid1(VALU_DEP_1)
	v_cndmask_b32_e64 v28, 0, v27, s1
	v_cndmask_b32_e32 v27, v27, v28, vcc_lo
	v_cndmask_b32_e64 v28, 0, v19, s3
	s_delay_alu instid0(VALU_DEP_1) | instskip(SKIP_1) | instid1(VALU_DEP_1)
	v_cndmask_b32_e32 v19, v19, v28, vcc_lo
	v_cndmask_b32_e64 v28, 0, v22, s2
	v_dual_mul_f32 v19, v1, v19 :: v_dual_cndmask_b32 v22, v22, v28
	s_delay_alu instid0(VALU_DEP_1) | instskip(NEXT) | instid1(VALU_DEP_1)
	v_dual_fmac_f32 v19, v0, v22 :: v_dual_mul_f32 v22, v47, v24
	v_fmac_f32_e32 v19, v2, v27
	s_delay_alu instid0(VALU_DEP_2) | instskip(NEXT) | instid1(VALU_DEP_1)
	v_cndmask_b32_e64 v24, 0, v22, s0
	v_cndmask_b32_e32 v22, v22, v24, vcc_lo
	scratch_load_b32 v24, off, s32 offset:1780 ; 4-byte Folded Reload
	v_fmac_f32_e32 v19, v3, v22
	v_mul_f32_e32 v22, v47, v166
	s_waitcnt vmcnt(1)
	s_delay_alu instid0(VALU_DEP_2)
	v_dual_mul_f32 v20, v47, v20 :: v_dual_add_f32 v29, v29, v19
	s_waitcnt vmcnt(0)
	v_add_f32_e32 v24, v24, v53
	scratch_store_b32 off, v24, s32 offset:1780 ; 4-byte Folded Spill
	scratch_load_b32 v24, off, s32 offset:1784 ; 4-byte Folded Reload
	s_waitcnt vmcnt(0)
	v_add_f32_e32 v24, v24, v52
	scratch_store_b32 off, v24, s32 offset:1784 ; 4-byte Folded Spill
	scratch_load_b32 v24, off, s32 offset:1788 ; 4-byte Folded Reload
	s_waitcnt vmcnt(0)
	v_add_f32_e32 v24, v24, v30
	scratch_load_b32 v30, off, s32 offset:1900 ; 4-byte Folded Reload
	scratch_store_b32 off, v24, s32 offset:1788 ; 4-byte Folded Spill
	scratch_load_b32 v24, off, s32 offset:1792 ; 4-byte Folded Reload
	s_waitcnt vmcnt(0)
	v_add_f32_e32 v24, v24, v26
	scratch_store_b32 off, v24, s32 offset:1792 ; 4-byte Folded Spill
	v_cndmask_b32_e64 v24, 0, v22, s1
	s_delay_alu instid0(VALU_DEP_1) | instskip(SKIP_1) | instid1(VALU_DEP_1)
	v_cndmask_b32_e32 v22, v22, v24, vcc_lo
	v_mul_f32_e32 v24, v47, v161
	v_cndmask_b32_e64 v26, 0, v24, s3
	s_delay_alu instid0(VALU_DEP_1) | instskip(SKIP_1) | instid1(VALU_DEP_2)
	v_cndmask_b32_e32 v24, v24, v26, vcc_lo
	v_mul_f32_e32 v26, v47, v151
	v_mul_f32_e32 v24, v1, v24
	s_delay_alu instid0(VALU_DEP_2) | instskip(NEXT) | instid1(VALU_DEP_1)
	v_cndmask_b32_e64 v27, 0, v26, s2
	v_cndmask_b32_e32 v26, v26, v27, vcc_lo
	s_delay_alu instid0(VALU_DEP_1) | instskip(SKIP_1) | instid1(VALU_DEP_2)
	v_fmac_f32_e32 v24, v0, v26
	v_cndmask_b32_e64 v26, 0, v20, s0
	v_fmac_f32_e32 v24, v2, v22
	v_mul_f32_e32 v22, v47, v176
	s_delay_alu instid0(VALU_DEP_3) | instskip(NEXT) | instid1(VALU_DEP_2)
	v_cndmask_b32_e32 v20, v20, v26, vcc_lo
	v_cndmask_b32_e64 v26, 0, v22, s1
	s_delay_alu instid0(VALU_DEP_1) | instskip(SKIP_1) | instid1(VALU_DEP_1)
	v_cndmask_b32_e32 v22, v22, v26, vcc_lo
	v_mul_f32_e32 v26, v47, v167
	v_cndmask_b32_e64 v27, 0, v26, s3
	s_delay_alu instid0(VALU_DEP_1) | instskip(SKIP_1) | instid1(VALU_DEP_2)
	v_cndmask_b32_e32 v26, v26, v27, vcc_lo
	v_cndmask_b32_e64 v27, 0, v18, s2
	v_mul_f32_e32 v26, v1, v26
	s_delay_alu instid0(VALU_DEP_2) | instskip(NEXT) | instid1(VALU_DEP_1)
	v_cndmask_b32_e32 v18, v18, v27, vcc_lo
	v_fmac_f32_e32 v26, v0, v18
	v_mul_f32_e32 v18, v47, v100
	s_delay_alu instid0(VALU_DEP_2) | instskip(NEXT) | instid1(VALU_DEP_2)
	v_fmac_f32_e32 v26, v2, v22
	v_cndmask_b32_e64 v27, 0, v18, s0
	v_mul_f32_e32 v22, v47, v49
	scratch_load_b32 v49, off, s32 offset:1920 ; 4-byte Folded Reload
	v_cndmask_b32_e32 v18, v18, v27, vcc_lo
	v_cndmask_b32_e64 v27, 0, v22, s1
	s_delay_alu instid0(VALU_DEP_2) | instskip(NEXT) | instid1(VALU_DEP_2)
	v_fmac_f32_e32 v26, v3, v18
	v_dual_cndmask_b32 v22, v22, v27 :: v_dual_mul_f32 v27, v47, v177
	s_delay_alu instid0(VALU_DEP_1) | instskip(NEXT) | instid1(VALU_DEP_1)
	v_cndmask_b32_e64 v28, 0, v27, s3
	v_cndmask_b32_e32 v27, v27, v28, vcc_lo
	v_cndmask_b32_e64 v28, 0, v17, s2
	s_delay_alu instid0(VALU_DEP_2) | instskip(NEXT) | instid1(VALU_DEP_2)
	v_mul_f32_e32 v27, v1, v27
	v_cndmask_b32_e32 v17, v17, v28, vcc_lo
	s_delay_alu instid0(VALU_DEP_1) | instskip(SKIP_1) | instid1(VALU_DEP_2)
	v_fmac_f32_e32 v27, v0, v17
	v_mul_f32_e32 v17, v47, v99
	v_fmac_f32_e32 v27, v2, v22
	s_delay_alu instid0(VALU_DEP_2) | instskip(NEXT) | instid1(VALU_DEP_1)
	v_cndmask_b32_e64 v28, 0, v17, s0
	v_dual_mul_f32 v22, v47, v179 :: v_dual_cndmask_b32 v17, v17, v28
	s_delay_alu instid0(VALU_DEP_1) | instskip(NEXT) | instid1(VALU_DEP_1)
	v_cndmask_b32_e64 v28, 0, v22, s1
	v_dual_fmac_f32 v27, v3, v17 :: v_dual_cndmask_b32 v22, v22, v28
	v_cndmask_b32_e64 v28, 0, v13, s3
	s_delay_alu instid0(VALU_DEP_1) | instskip(SKIP_1) | instid1(VALU_DEP_2)
	v_cndmask_b32_e32 v13, v13, v28, vcc_lo
	v_cndmask_b32_e64 v28, 0, v15, s2
	v_mul_f32_e32 v13, v1, v13
	s_delay_alu instid0(VALU_DEP_2) | instskip(NEXT) | instid1(VALU_DEP_1)
	v_cndmask_b32_e32 v15, v15, v28, vcc_lo
	v_fmac_f32_e32 v13, v0, v15
	v_mul_f32_e32 v15, v47, v51
	scratch_load_b32 v51, off, s32 offset:1924 ; 4-byte Folded Reload
	v_fmac_f32_e32 v13, v2, v22
	v_cndmask_b32_e64 v28, 0, v15, s0
	s_delay_alu instid0(VALU_DEP_1) | instskip(NEXT) | instid1(VALU_DEP_1)
	v_cndmask_b32_e32 v15, v15, v28, vcc_lo
	v_fmac_f32_e32 v13, v3, v15
	v_mul_f32_e32 v15, v47, v183
	s_delay_alu instid0(VALU_DEP_2) | instskip(NEXT) | instid1(VALU_DEP_2)
	v_add_f32_e32 v33, v33, v13
	v_cndmask_b32_e64 v17, 0, v15, s1
	v_mul_f32_e32 v13, v47, v40
	s_delay_alu instid0(VALU_DEP_2) | instskip(SKIP_1) | instid1(VALU_DEP_1)
	v_cndmask_b32_e32 v15, v15, v17, vcc_lo
	v_mul_f32_e32 v17, v47, v81
	v_cndmask_b32_e64 v18, 0, v17, s3
	s_delay_alu instid0(VALU_DEP_1) | instskip(NEXT) | instid1(VALU_DEP_1)
	v_dual_cndmask_b32 v17, v17, v18 :: v_dual_mul_f32 v18, v47, v80
	v_mul_f32_e32 v17, v1, v17
	s_delay_alu instid0(VALU_DEP_2) | instskip(NEXT) | instid1(VALU_DEP_1)
	v_cndmask_b32_e64 v19, 0, v18, s2
	v_cndmask_b32_e32 v18, v18, v19, vcc_lo
	s_delay_alu instid0(VALU_DEP_1) | instskip(SKIP_4) | instid1(VALU_DEP_2)
	v_dual_fmac_f32 v17, v0, v18 :: v_dual_mul_f32 v18, v47, v32
	scratch_load_b32 v32, off, s32 offset:1904 ; 4-byte Folded Reload
	v_fmac_f32_e32 v17, v2, v15
	v_cndmask_b32_e64 v19, 0, v18, s0
	v_cndmask_b32_e64 v15, 0, v13, s1
	v_cndmask_b32_e32 v18, v18, v19, vcc_lo
	s_delay_alu instid0(VALU_DEP_2) | instskip(SKIP_1) | instid1(VALU_DEP_3)
	v_cndmask_b32_e32 v13, v13, v15, vcc_lo
	v_mul_f32_e32 v15, v47, v182
	v_fmac_f32_e32 v17, v3, v18
	s_delay_alu instid0(VALU_DEP_2) | instskip(NEXT) | instid1(VALU_DEP_1)
	v_cndmask_b32_e64 v18, 0, v15, s3
	v_cndmask_b32_e32 v15, v15, v18, vcc_lo
	s_delay_alu instid0(VALU_DEP_1) | instskip(NEXT) | instid1(VALU_DEP_1)
	v_dual_mul_f32 v18, v47, v178 :: v_dual_mul_f32 v15, v1, v15
	v_cndmask_b32_e64 v19, 0, v18, s2
	s_delay_alu instid0(VALU_DEP_1) | instskip(NEXT) | instid1(VALU_DEP_1)
	v_cndmask_b32_e32 v18, v18, v19, vcc_lo
	v_dual_fmac_f32 v15, v0, v18 :: v_dual_mul_f32 v18, v47, v115
	s_delay_alu instid0(VALU_DEP_1) | instskip(NEXT) | instid1(VALU_DEP_2)
	v_dual_fmac_f32 v24, v3, v20 :: v_dual_fmac_f32 v15, v2, v13
	v_cndmask_b32_e64 v19, 0, v18, s0
	v_mul_f32_e32 v13, v47, v44
	s_delay_alu instid0(VALU_DEP_3) | instskip(NEXT) | instid1(VALU_DEP_3)
	v_add_f32_e32 v38, v38, v24
	v_cndmask_b32_e32 v18, v18, v19, vcc_lo
	s_delay_alu instid0(VALU_DEP_3) | instskip(NEXT) | instid1(VALU_DEP_1)
	v_cndmask_b32_e64 v19, 0, v13, s1
	v_cndmask_b32_e32 v13, v13, v19, vcc_lo
	v_mul_f32_e32 v19, v47, v41
	s_delay_alu instid0(VALU_DEP_1) | instskip(NEXT) | instid1(VALU_DEP_1)
	v_cndmask_b32_e64 v20, 0, v19, s3
	v_dual_add_f32 v30, v30, v26 :: v_dual_cndmask_b32 v19, v19, v20
	s_delay_alu instid0(VALU_DEP_1) | instskip(NEXT) | instid1(VALU_DEP_1)
	v_dual_mul_f32 v20, v47, v181 :: v_dual_mul_f32 v19, v1, v19
	v_cndmask_b32_e64 v22, 0, v20, s2
	s_delay_alu instid0(VALU_DEP_1) | instskip(NEXT) | instid1(VALU_DEP_1)
	v_cndmask_b32_e32 v20, v20, v22, vcc_lo
	v_fmac_f32_e32 v19, v0, v20
	s_delay_alu instid0(VALU_DEP_1) | instskip(NEXT) | instid1(VALU_DEP_1)
	v_dual_mul_f32 v20, v47, v180 :: v_dual_fmac_f32 v19, v2, v13
	v_cndmask_b32_e64 v22, 0, v20, s0
	s_delay_alu instid0(VALU_DEP_1) | instskip(NEXT) | instid1(VALU_DEP_1)
	v_dual_mul_f32 v13, v47, v57 :: v_dual_cndmask_b32 v20, v20, v22
	v_cndmask_b32_e64 v22, 0, v13, s1
	s_delay_alu instid0(VALU_DEP_1) | instskip(NEXT) | instid1(VALU_DEP_1)
	v_dual_cndmask_b32 v13, v13, v22 :: v_dual_mul_f32 v22, v47, v45
	v_cndmask_b32_e64 v24, 0, v22, s3
	s_delay_alu instid0(VALU_DEP_1) | instskip(SKIP_1) | instid1(VALU_DEP_2)
	v_cndmask_b32_e32 v22, v22, v24, vcc_lo
	v_mul_f32_e32 v24, v47, v43
	v_mul_f32_e32 v22, v1, v22
	s_delay_alu instid0(VALU_DEP_2) | instskip(NEXT) | instid1(VALU_DEP_1)
	v_cndmask_b32_e64 v26, 0, v24, s2
	v_cndmask_b32_e32 v24, v24, v26, vcc_lo
	s_delay_alu instid0(VALU_DEP_1) | instskip(SKIP_1) | instid1(VALU_DEP_2)
	v_fmac_f32_e32 v22, v0, v24
	v_mul_f32_e32 v24, v47, v42
	v_fmac_f32_e32 v22, v2, v13
	s_delay_alu instid0(VALU_DEP_2) | instskip(NEXT) | instid1(VALU_DEP_1)
	v_cndmask_b32_e64 v26, 0, v24, s0
	v_dual_mul_f32 v13, v47, v72 :: v_dual_cndmask_b32 v24, v24, v26
	s_delay_alu instid0(VALU_DEP_1) | instskip(NEXT) | instid1(VALU_DEP_1)
	v_cndmask_b32_e64 v26, 0, v13, s1
	v_cndmask_b32_e32 v13, v13, v26, vcc_lo
	v_mul_f32_e32 v26, v47, v58
	s_waitcnt vmcnt(0)
	v_add_f32_e32 v32, v32, v27
	s_delay_alu instid0(VALU_DEP_2) | instskip(NEXT) | instid1(VALU_DEP_1)
	v_cndmask_b32_e64 v27, 0, v26, s3
	v_dual_cndmask_b32 v26, v26, v27 :: v_dual_mul_f32 v27, v47, v56
	v_fmac_f32_e32 v15, v3, v18
	s_delay_alu instid0(VALU_DEP_2) | instskip(NEXT) | instid1(VALU_DEP_3)
	v_mul_f32_e32 v26, v1, v26
	v_cndmask_b32_e64 v28, 0, v27, s2
	s_delay_alu instid0(VALU_DEP_3) | instskip(NEXT) | instid1(VALU_DEP_2)
	v_add_f32_e32 v39, v39, v15
	v_cndmask_b32_e32 v27, v27, v28, vcc_lo
	s_delay_alu instid0(VALU_DEP_1) | instskip(NEXT) | instid1(VALU_DEP_1)
	v_dual_fmac_f32 v26, v0, v27 :: v_dual_mul_f32 v27, v47, v46
	v_fmac_f32_e32 v26, v2, v13
	s_delay_alu instid0(VALU_DEP_2) | instskip(SKIP_1) | instid1(VALU_DEP_2)
	v_cndmask_b32_e64 v28, 0, v27, s0
	v_mul_f32_e32 v13, v47, v74
	v_cndmask_b32_e32 v27, v27, v28, vcc_lo
	v_fmac_f32_e32 v19, v3, v20
	s_delay_alu instid0(VALU_DEP_2) | instskip(SKIP_2) | instid1(VALU_DEP_1)
	v_fmac_f32_e32 v26, v3, v27
	v_add_f32_e32 v34, v34, v17
	v_cndmask_b32_e64 v17, 0, v13, s1
	v_cndmask_b32_e32 v13, v13, v17, vcc_lo
	v_mul_f32_e32 v17, v47, v61
	s_delay_alu instid0(VALU_DEP_1) | instskip(NEXT) | instid1(VALU_DEP_1)
	v_cndmask_b32_e64 v18, 0, v17, s3
	v_dual_cndmask_b32 v17, v17, v18 :: v_dual_mul_f32 v18, v47, v60
	s_delay_alu instid0(VALU_DEP_1) | instskip(NEXT) | instid1(VALU_DEP_2)
	v_mul_f32_e32 v17, v1, v17
	v_cndmask_b32_e64 v20, 0, v18, s2
	s_delay_alu instid0(VALU_DEP_1) | instskip(NEXT) | instid1(VALU_DEP_1)
	v_cndmask_b32_e32 v18, v18, v20, vcc_lo
	v_dual_fmac_f32 v17, v0, v18 :: v_dual_mul_f32 v18, v47, v59
	s_delay_alu instid0(VALU_DEP_1) | instskip(SKIP_2) | instid1(VALU_DEP_1)
	v_fmac_f32_e32 v17, v2, v13
	scratch_load_b32 v13, off, s32 offset:1796 ; 4-byte Folded Reload
	v_cndmask_b32_e64 v20, 0, v18, s0
	v_dual_add_f32 v49, v49, v19 :: v_dual_cndmask_b32 v18, v18, v20
	s_delay_alu instid0(VALU_DEP_1) | instskip(SKIP_4) | instid1(VALU_DEP_1)
	v_fmac_f32_e32 v17, v3, v18
	s_waitcnt vmcnt(0)
	v_add_f32_e32 v13, v13, v26
	scratch_store_b32 off, v13, s32 offset:1796 ; 4-byte Folded Spill
	v_mul_f32_e32 v13, v47, v77
	v_cndmask_b32_e64 v15, 0, v13, s1
	s_delay_alu instid0(VALU_DEP_1) | instskip(SKIP_1) | instid1(VALU_DEP_1)
	v_cndmask_b32_e32 v13, v13, v15, vcc_lo
	v_mul_f32_e32 v15, v47, v73
	v_cndmask_b32_e64 v18, 0, v15, s3
	s_delay_alu instid0(VALU_DEP_1) | instskip(SKIP_1) | instid1(VALU_DEP_1)
	v_cndmask_b32_e32 v15, v15, v18, vcc_lo
	v_mul_f32_e32 v18, v47, v63
	v_cndmask_b32_e64 v19, 0, v18, s2
	s_delay_alu instid0(VALU_DEP_1) | instskip(NEXT) | instid1(VALU_DEP_4)
	v_cndmask_b32_e32 v18, v18, v19, vcc_lo
	v_dual_fmac_f32 v22, v3, v24 :: v_dual_mul_f32 v15, v1, v15
	s_delay_alu instid0(VALU_DEP_1) | instskip(NEXT) | instid1(VALU_DEP_2)
	v_add_f32_e32 v51, v51, v22
	v_fmac_f32_e32 v15, v0, v18
	s_delay_alu instid0(VALU_DEP_1) | instskip(SKIP_2) | instid1(VALU_DEP_1)
	v_fmac_f32_e32 v15, v2, v13
	v_mul_f32_e32 v13, v47, v89
	v_mul_f32_e32 v18, v47, v62
	v_cndmask_b32_e64 v19, 0, v18, s0
	s_delay_alu instid0(VALU_DEP_1) | instskip(NEXT) | instid1(VALU_DEP_4)
	v_cndmask_b32_e32 v18, v18, v19, vcc_lo
	v_cndmask_b32_e64 v19, 0, v13, s1
	s_delay_alu instid0(VALU_DEP_1) | instskip(SKIP_1) | instid1(VALU_DEP_4)
	v_cndmask_b32_e32 v13, v13, v19, vcc_lo
	v_mul_f32_e32 v19, v47, v78
	v_fmac_f32_e32 v15, v3, v18
	s_delay_alu instid0(VALU_DEP_2) | instskip(NEXT) | instid1(VALU_DEP_1)
	v_cndmask_b32_e64 v20, 0, v19, s3
	v_cndmask_b32_e32 v19, v19, v20, vcc_lo
	v_mul_f32_e32 v20, v47, v76
	s_delay_alu instid0(VALU_DEP_1) | instskip(NEXT) | instid1(VALU_DEP_1)
	v_cndmask_b32_e64 v22, 0, v20, s2
	v_dual_cndmask_b32 v20, v20, v22 :: v_dual_mul_f32 v19, v1, v19
	s_delay_alu instid0(VALU_DEP_1) | instskip(NEXT) | instid1(VALU_DEP_1)
	v_fmac_f32_e32 v19, v0, v20
	v_fmac_f32_e32 v19, v2, v13
	v_mul_f32_e32 v13, v47, v95
	v_mul_f32_e32 v20, v47, v75
	s_delay_alu instid0(VALU_DEP_1) | instskip(NEXT) | instid1(VALU_DEP_1)
	v_cndmask_b32_e64 v22, 0, v20, s0
	v_cndmask_b32_e32 v20, v20, v22, vcc_lo
	s_delay_alu instid0(VALU_DEP_4) | instskip(NEXT) | instid1(VALU_DEP_1)
	v_cndmask_b32_e64 v22, 0, v13, s1
	v_cndmask_b32_e32 v13, v13, v22, vcc_lo
	v_mul_f32_e32 v22, v47, v90
	s_delay_alu instid0(VALU_DEP_1) | instskip(NEXT) | instid1(VALU_DEP_1)
	v_cndmask_b32_e64 v24, 0, v22, s3
	v_cndmask_b32_e32 v22, v22, v24, vcc_lo
	v_mul_f32_e32 v24, v47, v88
	s_delay_alu instid0(VALU_DEP_2) | instskip(NEXT) | instid1(VALU_DEP_2)
	v_mul_f32_e32 v22, v1, v22
	v_cndmask_b32_e64 v26, 0, v24, s2
	s_delay_alu instid0(VALU_DEP_1) | instskip(NEXT) | instid1(VALU_DEP_1)
	v_cndmask_b32_e32 v24, v24, v26, vcc_lo
	v_fmac_f32_e32 v22, v0, v24
	v_mul_f32_e32 v24, v47, v79
	s_delay_alu instid0(VALU_DEP_2) | instskip(NEXT) | instid1(VALU_DEP_2)
	v_fmac_f32_e32 v22, v2, v13
	v_cndmask_b32_e64 v26, 0, v24, s0
	v_mul_f32_e32 v13, v47, v110
	s_delay_alu instid0(VALU_DEP_2) | instskip(NEXT) | instid1(VALU_DEP_2)
	v_cndmask_b32_e32 v24, v24, v26, vcc_lo
	v_cndmask_b32_e64 v26, 0, v13, s1
	s_delay_alu instid0(VALU_DEP_1) | instskip(NEXT) | instid1(VALU_DEP_1)
	v_dual_cndmask_b32 v13, v13, v26 :: v_dual_mul_f32 v26, v47, v104
	v_cndmask_b32_e64 v27, 0, v26, s3
	s_delay_alu instid0(VALU_DEP_1) | instskip(NEXT) | instid1(VALU_DEP_1)
	v_dual_cndmask_b32 v26, v26, v27 :: v_dual_mul_f32 v27, v47, v94
	v_mul_f32_e32 v26, v1, v26
	s_delay_alu instid0(VALU_DEP_2) | instskip(NEXT) | instid1(VALU_DEP_1)
	v_cndmask_b32_e64 v28, 0, v27, s2
	v_cndmask_b32_e32 v27, v27, v28, vcc_lo
	s_delay_alu instid0(VALU_DEP_1) | instskip(NEXT) | instid1(VALU_DEP_1)
	v_dual_fmac_f32 v19, v3, v20 :: v_dual_fmac_f32 v26, v0, v27
	v_dual_mul_f32 v27, v47, v91 :: v_dual_fmac_f32 v26, v2, v13
	scratch_load_b32 v13, off, s32 offset:1800 ; 4-byte Folded Reload
	v_cndmask_b32_e64 v28, 0, v27, s0
	s_delay_alu instid0(VALU_DEP_1) | instskip(SKIP_4) | instid1(VALU_DEP_1)
	v_cndmask_b32_e32 v27, v27, v28, vcc_lo
	s_waitcnt vmcnt(0)
	v_add_f32_e32 v13, v13, v17
	scratch_store_b32 off, v13, s32 offset:1800 ; 4-byte Folded Spill
	v_mul_f32_e32 v13, v47, v120
	v_cndmask_b32_e64 v17, 0, v13, s1
	s_delay_alu instid0(VALU_DEP_1) | instskip(SKIP_1) | instid1(VALU_DEP_1)
	v_cndmask_b32_e32 v13, v13, v17, vcc_lo
	v_mul_f32_e32 v17, v47, v107
	v_cndmask_b32_e64 v18, 0, v17, s3
	s_delay_alu instid0(VALU_DEP_1) | instskip(NEXT) | instid1(VALU_DEP_1)
	v_cndmask_b32_e32 v17, v17, v18, vcc_lo
	v_dual_mul_f32 v18, v47, v106 :: v_dual_mul_f32 v17, v1, v17
	s_delay_alu instid0(VALU_DEP_1) | instskip(NEXT) | instid1(VALU_DEP_1)
	v_cndmask_b32_e64 v20, 0, v18, s2
	v_cndmask_b32_e32 v18, v18, v20, vcc_lo
	s_delay_alu instid0(VALU_DEP_1) | instskip(NEXT) | instid1(VALU_DEP_1)
	v_dual_fmac_f32 v22, v3, v24 :: v_dual_fmac_f32 v17, v0, v18
	v_dual_fmac_f32 v26, v3, v27 :: v_dual_fmac_f32 v17, v2, v13
	scratch_load_b32 v13, off, s32 offset:1804 ; 4-byte Folded Reload
	s_waitcnt vmcnt(0)
	v_add_f32_e32 v13, v13, v15
	scratch_store_b32 off, v13, s32 offset:1804 ; 4-byte Folded Spill
	scratch_load_b32 v13, off, s32 offset:1808 ; 4-byte Folded Reload
	s_waitcnt vmcnt(0)
	v_add_f32_e32 v13, v13, v19
	scratch_store_b32 off, v13, s32 offset:1808 ; 4-byte Folded Spill
	scratch_load_b32 v13, off, s32 offset:1812 ; 4-byte Folded Reload
	s_waitcnt vmcnt(0)
	v_dual_mul_f32 v18, v47, v105 :: v_dual_add_f32 v13, v13, v22
	s_delay_alu instid0(VALU_DEP_1) | instskip(SKIP_4) | instid1(VALU_DEP_1)
	v_cndmask_b32_e64 v20, 0, v18, s0
	scratch_store_b32 off, v13, s32 offset:1812 ; 4-byte Folded Spill
	scratch_load_b32 v13, off, s32 offset:1816 ; 4-byte Folded Reload
	s_waitcnt vmcnt(0)
	v_dual_cndmask_b32 v18, v18, v20 :: v_dual_add_f32 v13, v13, v26
	v_fmac_f32_e32 v17, v3, v18
	scratch_store_b32 off, v13, s32 offset:1816 ; 4-byte Folded Spill
	v_mul_f32_e32 v13, v47, v125
	s_delay_alu instid0(VALU_DEP_1) | instskip(NEXT) | instid1(VALU_DEP_1)
	v_cndmask_b32_e64 v15, 0, v13, s1
	v_cndmask_b32_e32 v13, v13, v15, vcc_lo
	v_mul_f32_e32 v15, v47, v111
	s_delay_alu instid0(VALU_DEP_1) | instskip(NEXT) | instid1(VALU_DEP_1)
	v_cndmask_b32_e64 v18, 0, v15, s3
	v_cndmask_b32_e32 v15, v15, v18, vcc_lo
	s_delay_alu instid0(VALU_DEP_1) | instskip(NEXT) | instid1(VALU_DEP_1)
	v_dual_mul_f32 v18, v47, v109 :: v_dual_mul_f32 v15, v1, v15
	v_cndmask_b32_e64 v19, 0, v18, s2
	s_delay_alu instid0(VALU_DEP_1) | instskip(NEXT) | instid1(VALU_DEP_1)
	v_cndmask_b32_e32 v18, v18, v19, vcc_lo
	v_dual_fmac_f32 v15, v0, v18 :: v_dual_mul_f32 v18, v47, v108
	s_delay_alu instid0(VALU_DEP_1) | instskip(NEXT) | instid1(VALU_DEP_2)
	v_fmac_f32_e32 v15, v2, v13
	v_cndmask_b32_e64 v19, 0, v18, s0
	s_delay_alu instid0(VALU_DEP_1) | instskip(NEXT) | instid1(VALU_DEP_1)
	v_dual_mul_f32 v13, v47, v137 :: v_dual_cndmask_b32 v18, v18, v19
	v_cndmask_b32_e64 v19, 0, v13, s1
	s_delay_alu instid0(VALU_DEP_1) | instskip(SKIP_1) | instid1(VALU_DEP_1)
	v_cndmask_b32_e32 v13, v13, v19, vcc_lo
	v_mul_f32_e32 v19, v47, v126
	v_cndmask_b32_e64 v20, 0, v19, s3
	s_delay_alu instid0(VALU_DEP_1) | instskip(NEXT) | instid1(VALU_DEP_1)
	v_cndmask_b32_e32 v19, v19, v20, vcc_lo
	v_dual_mul_f32 v20, v47, v124 :: v_dual_mul_f32 v19, v1, v19
	s_delay_alu instid0(VALU_DEP_1) | instskip(NEXT) | instid1(VALU_DEP_1)
	v_cndmask_b32_e64 v22, 0, v20, s2
	v_cndmask_b32_e32 v20, v20, v22, vcc_lo
	s_delay_alu instid0(VALU_DEP_1) | instskip(NEXT) | instid1(VALU_DEP_1)
	v_dual_fmac_f32 v19, v0, v20 :: v_dual_mul_f32 v20, v47, v121
	v_fmac_f32_e32 v19, v2, v13
	s_delay_alu instid0(VALU_DEP_2) | instskip(NEXT) | instid1(VALU_DEP_1)
	v_cndmask_b32_e64 v22, 0, v20, s0
	v_dual_mul_f32 v13, v47, v141 :: v_dual_cndmask_b32 v20, v20, v22
	s_delay_alu instid0(VALU_DEP_1) | instskip(SKIP_1) | instid1(VALU_DEP_2)
	v_cndmask_b32_e64 v22, 0, v13, s1
	v_fmac_f32_e32 v15, v3, v18
	v_cndmask_b32_e32 v13, v13, v22, vcc_lo
	v_mul_f32_e32 v22, v47, v138
	s_delay_alu instid0(VALU_DEP_1) | instskip(NEXT) | instid1(VALU_DEP_1)
	v_cndmask_b32_e64 v24, 0, v22, s3
	v_cndmask_b32_e32 v22, v22, v24, vcc_lo
	v_mul_f32_e32 v24, v47, v136
	s_delay_alu instid0(VALU_DEP_2) | instskip(NEXT) | instid1(VALU_DEP_2)
	v_dual_fmac_f32 v19, v3, v20 :: v_dual_mul_f32 v22, v1, v22
	v_cndmask_b32_e64 v26, 0, v24, s2
	s_delay_alu instid0(VALU_DEP_1) | instskip(NEXT) | instid1(VALU_DEP_1)
	v_cndmask_b32_e32 v24, v24, v26, vcc_lo
	v_fmac_f32_e32 v22, v0, v24
	v_mul_f32_e32 v24, v47, v127
	s_delay_alu instid0(VALU_DEP_2) | instskip(NEXT) | instid1(VALU_DEP_2)
	v_dual_fmac_f32 v22, v2, v13 :: v_dual_mul_f32 v13, v47, v156
	v_cndmask_b32_e64 v26, 0, v24, s0
	s_delay_alu instid0(VALU_DEP_1) | instskip(NEXT) | instid1(VALU_DEP_3)
	v_cndmask_b32_e32 v24, v24, v26, vcc_lo
	v_cndmask_b32_e64 v26, 0, v13, s1
	s_delay_alu instid0(VALU_DEP_1) | instskip(SKIP_1) | instid1(VALU_DEP_1)
	v_cndmask_b32_e32 v13, v13, v26, vcc_lo
	v_mul_f32_e32 v26, v47, v142
	v_cndmask_b32_e64 v27, 0, v26, s3
	s_delay_alu instid0(VALU_DEP_1) | instskip(NEXT) | instid1(VALU_DEP_1)
	v_dual_cndmask_b32 v26, v26, v27 :: v_dual_mul_f32 v27, v47, v140
	v_mul_f32_e32 v26, v1, v26
	s_delay_alu instid0(VALU_DEP_2) | instskip(NEXT) | instid1(VALU_DEP_1)
	v_cndmask_b32_e64 v28, 0, v27, s2
	v_cndmask_b32_e32 v27, v27, v28, vcc_lo
	s_delay_alu instid0(VALU_DEP_1) | instskip(NEXT) | instid1(VALU_DEP_1)
	v_fmac_f32_e32 v26, v0, v27
	v_fmac_f32_e32 v26, v2, v13
	scratch_load_b32 v13, off, s32 offset:1820 ; 4-byte Folded Reload
	s_waitcnt vmcnt(0)
	v_add_f32_e32 v13, v13, v17
	scratch_store_b32 off, v13, s32 offset:1820 ; 4-byte Folded Spill
	v_mul_f32_e32 v13, v47, v158
	s_delay_alu instid0(VALU_DEP_1) | instskip(NEXT) | instid1(VALU_DEP_1)
	v_cndmask_b32_e64 v17, 0, v13, s1
	v_dual_fmac_f32 v22, v3, v24 :: v_dual_cndmask_b32 v13, v13, v17
	v_mul_f32_e32 v17, v47, v153
	s_delay_alu instid0(VALU_DEP_1) | instskip(NEXT) | instid1(VALU_DEP_1)
	v_cndmask_b32_e64 v18, 0, v17, s3
	v_dual_cndmask_b32 v17, v17, v18 :: v_dual_mul_f32 v18, v47, v152
	s_delay_alu instid0(VALU_DEP_1) | instskip(NEXT) | instid1(VALU_DEP_2)
	v_mul_f32_e32 v17, v1, v17
	v_cndmask_b32_e64 v20, 0, v18, s2
	s_delay_alu instid0(VALU_DEP_1) | instskip(NEXT) | instid1(VALU_DEP_1)
	v_dual_mul_f32 v27, v47, v139 :: v_dual_cndmask_b32 v18, v18, v20
	v_cndmask_b32_e64 v28, 0, v27, s0
	s_delay_alu instid0(VALU_DEP_2) | instskip(NEXT) | instid1(VALU_DEP_2)
	v_dual_fmac_f32 v17, v0, v18 :: v_dual_mul_f32 v18, v47, v143
	v_cndmask_b32_e32 v27, v27, v28, vcc_lo
	s_delay_alu instid0(VALU_DEP_2) | instskip(SKIP_3) | instid1(VALU_DEP_1)
	v_fmac_f32_e32 v17, v2, v13
	scratch_load_b32 v13, off, s32 offset:1824 ; 4-byte Folded Reload
	v_fmac_f32_e32 v26, v3, v27
	v_cndmask_b32_e64 v20, 0, v18, s0
	v_cndmask_b32_e32 v18, v18, v20, vcc_lo
	s_delay_alu instid0(VALU_DEP_1)
	v_fmac_f32_e32 v17, v3, v18
	s_waitcnt vmcnt(0)
	v_add_f32_e32 v13, v13, v15
	scratch_store_b32 off, v13, s32 offset:1824 ; 4-byte Folded Spill
	scratch_load_b32 v13, off, s32 offset:1828 ; 4-byte Folded Reload
	s_waitcnt vmcnt(0)
	v_add_f32_e32 v13, v13, v19
	scratch_store_b32 off, v13, s32 offset:1828 ; 4-byte Folded Spill
	scratch_load_b32 v13, off, s32 offset:1832 ; 4-byte Folded Reload
	;; [unrolled: 4-line block ×3, first 2 shown]
	s_waitcnt vmcnt(0)
	v_add_f32_e32 v13, v13, v26
	scratch_store_b32 off, v13, s32 offset:1836 ; 4-byte Folded Spill
	v_mul_f32_e32 v13, v47, v169
	s_delay_alu instid0(VALU_DEP_1) | instskip(NEXT) | instid1(VALU_DEP_1)
	v_cndmask_b32_e64 v15, 0, v13, s1
	v_cndmask_b32_e32 v13, v13, v15, vcc_lo
	v_mul_f32_e32 v15, v47, v157
	s_delay_alu instid0(VALU_DEP_1) | instskip(NEXT) | instid1(VALU_DEP_1)
	v_cndmask_b32_e64 v18, 0, v15, s3
	v_cndmask_b32_e32 v15, v15, v18, vcc_lo
	v_mul_f32_e32 v18, v47, v155
	s_delay_alu instid0(VALU_DEP_2) | instskip(NEXT) | instid1(VALU_DEP_2)
	v_mul_f32_e32 v15, v1, v15
	v_cndmask_b32_e64 v19, 0, v18, s2
	s_delay_alu instid0(VALU_DEP_1) | instskip(NEXT) | instid1(VALU_DEP_1)
	v_cndmask_b32_e32 v18, v18, v19, vcc_lo
	v_fmac_f32_e32 v15, v0, v18
	s_delay_alu instid0(VALU_DEP_1) | instskip(NEXT) | instid1(VALU_DEP_1)
	v_dual_mul_f32 v18, v47, v154 :: v_dual_fmac_f32 v15, v2, v13
	v_cndmask_b32_e64 v19, 0, v18, s0
	s_delay_alu instid0(VALU_DEP_1) | instskip(NEXT) | instid1(VALU_DEP_1)
	v_dual_mul_f32 v13, v47, v173 :: v_dual_cndmask_b32 v18, v18, v19
	v_cndmask_b32_e64 v19, 0, v13, s1
	s_delay_alu instid0(VALU_DEP_1) | instskip(SKIP_1) | instid1(VALU_DEP_1)
	v_cndmask_b32_e32 v13, v13, v19, vcc_lo
	v_mul_f32_e32 v19, v47, v170
	v_cndmask_b32_e64 v20, 0, v19, s3
	s_delay_alu instid0(VALU_DEP_1) | instskip(NEXT) | instid1(VALU_DEP_1)
	v_cndmask_b32_e32 v19, v19, v20, vcc_lo
	v_dual_mul_f32 v20, v47, v168 :: v_dual_mul_f32 v19, v1, v19
	s_delay_alu instid0(VALU_DEP_1) | instskip(NEXT) | instid1(VALU_DEP_1)
	v_cndmask_b32_e64 v22, 0, v20, s2
	v_cndmask_b32_e32 v20, v20, v22, vcc_lo
	s_delay_alu instid0(VALU_DEP_1) | instskip(NEXT) | instid1(VALU_DEP_1)
	v_dual_fmac_f32 v19, v0, v20 :: v_dual_mul_f32 v20, v47, v159
	v_fmac_f32_e32 v19, v2, v13
	s_delay_alu instid0(VALU_DEP_2) | instskip(NEXT) | instid1(VALU_DEP_1)
	v_cndmask_b32_e64 v22, 0, v20, s0
	v_dual_mul_f32 v13, v47, v185 :: v_dual_cndmask_b32 v20, v20, v22
	s_delay_alu instid0(VALU_DEP_1) | instskip(NEXT) | instid1(VALU_DEP_1)
	v_cndmask_b32_e64 v22, 0, v13, s1
	v_cndmask_b32_e32 v13, v13, v22, vcc_lo
	v_mul_f32_e32 v22, v47, v174
	s_delay_alu instid0(VALU_DEP_1) | instskip(NEXT) | instid1(VALU_DEP_1)
	v_cndmask_b32_e64 v24, 0, v22, s3
	v_cndmask_b32_e32 v22, v22, v24, vcc_lo
	v_mul_f32_e32 v24, v47, v172
	s_delay_alu instid0(VALU_DEP_2) | instskip(NEXT) | instid1(VALU_DEP_2)
	v_mul_f32_e32 v22, v1, v22
	v_cndmask_b32_e64 v26, 0, v24, s2
	s_delay_alu instid0(VALU_DEP_1) | instskip(NEXT) | instid1(VALU_DEP_1)
	v_cndmask_b32_e32 v24, v24, v26, vcc_lo
	v_fmac_f32_e32 v22, v0, v24
	v_mul_f32_e32 v24, v47, v171
	s_delay_alu instid0(VALU_DEP_2) | instskip(NEXT) | instid1(VALU_DEP_2)
	v_fmac_f32_e32 v22, v2, v13
	v_cndmask_b32_e64 v26, 0, v24, s0
	s_delay_alu instid0(VALU_DEP_1) | instskip(SKIP_1) | instid1(VALU_DEP_2)
	v_cndmask_b32_e32 v24, v24, v26, vcc_lo
	v_fmac_f32_e32 v15, v3, v18
	v_fmac_f32_e32 v22, v3, v24
	;; [unrolled: 1-line block ×3, first 2 shown]
	v_mul_f32_e32 v13, v47, v68
	s_delay_alu instid0(VALU_DEP_1) | instskip(NEXT) | instid1(VALU_DEP_1)
	v_cndmask_b32_e64 v26, 0, v13, s1
	v_cndmask_b32_e32 v13, v13, v26, vcc_lo
	v_mul_f32_e32 v26, v47, v186
	s_delay_alu instid0(VALU_DEP_1) | instskip(NEXT) | instid1(VALU_DEP_1)
	v_cndmask_b32_e64 v27, 0, v26, s3
	v_dual_cndmask_b32 v26, v26, v27 :: v_dual_mul_f32 v27, v47, v184
	s_delay_alu instid0(VALU_DEP_1) | instskip(NEXT) | instid1(VALU_DEP_2)
	v_mul_f32_e32 v26, v1, v26
	v_cndmask_b32_e64 v28, 0, v27, s2
	s_delay_alu instid0(VALU_DEP_1) | instskip(NEXT) | instid1(VALU_DEP_1)
	v_cndmask_b32_e32 v27, v27, v28, vcc_lo
	v_fmac_f32_e32 v26, v0, v27
	s_delay_alu instid0(VALU_DEP_1)
	v_fmac_f32_e32 v26, v2, v13
	scratch_load_b32 v13, off, s32 offset:1840 ; 4-byte Folded Reload
	s_waitcnt vmcnt(0)
	v_add_f32_e32 v13, v13, v17
	scratch_store_b32 off, v13, s32 offset:1840 ; 4-byte Folded Spill
	v_cndmask_b32_e64 v13, 0, v12, s1
	s_delay_alu instid0(VALU_DEP_1) | instskip(SKIP_1) | instid1(VALU_DEP_1)
	v_cndmask_b32_e32 v12, v12, v13, vcc_lo
	v_mul_f32_e32 v13, v47, v189
	v_cndmask_b32_e64 v17, 0, v13, s3
	s_delay_alu instid0(VALU_DEP_1) | instskip(SKIP_1) | instid1(VALU_DEP_2)
	v_cndmask_b32_e32 v13, v13, v17, vcc_lo
	v_mul_f32_e32 v17, v47, v188
	v_mul_f32_e32 v13, v1, v13
	s_delay_alu instid0(VALU_DEP_2) | instskip(NEXT) | instid1(VALU_DEP_1)
	v_cndmask_b32_e64 v18, 0, v17, s2
	v_cndmask_b32_e32 v17, v17, v18, vcc_lo
	s_delay_alu instid0(VALU_DEP_1) | instskip(SKIP_1) | instid1(VALU_DEP_2)
	v_fmac_f32_e32 v13, v0, v17
	v_mul_f32_e32 v17, v47, v187
	v_fmac_f32_e32 v13, v2, v12
	scratch_load_b32 v12, off, s32 offset:1844 ; 4-byte Folded Reload
	v_cndmask_b32_e64 v18, 0, v17, s0
	s_delay_alu instid0(VALU_DEP_1) | instskip(SKIP_1) | instid1(VALU_DEP_1)
	v_cndmask_b32_e32 v17, v17, v18, vcc_lo
	s_waitcnt vmcnt(0)
	v_dual_fmac_f32 v13, v3, v17 :: v_dual_add_f32 v12, v12, v15
	scratch_store_b32 off, v12, s32 offset:1844 ; 4-byte Folded Spill
	scratch_load_b32 v12, off, s32 offset:1848 ; 4-byte Folded Reload
	s_waitcnt vmcnt(0)
	v_add_f32_e32 v12, v12, v19
	scratch_store_b32 off, v12, s32 offset:1848 ; 4-byte Folded Spill
	scratch_load_b32 v12, off, s32 offset:1852 ; 4-byte Folded Reload
	s_waitcnt vmcnt(0)
	v_add_f32_e32 v12, v12, v22
	scratch_store_b32 off, v12, s32 offset:1852 ; 4-byte Folded Spill
	scratch_load_b32 v12, off, s32 offset:1856 ; 4-byte Folded Reload
	v_mul_f32_e32 v27, v47, v175
	s_delay_alu instid0(VALU_DEP_1) | instskip(NEXT) | instid1(VALU_DEP_1)
	v_cndmask_b32_e64 v28, 0, v27, s0
	v_cndmask_b32_e32 v27, v27, v28, vcc_lo
	s_delay_alu instid0(VALU_DEP_1) | instskip(SKIP_1) | instid1(VALU_DEP_1)
	v_fmac_f32_e32 v26, v3, v27
	s_waitcnt vmcnt(0)
	v_add_f32_e32 v12, v12, v26
	scratch_store_b32 off, v12, s32 offset:1856 ; 4-byte Folded Spill
	v_mul_f32_e32 v12, v47, v16
	s_delay_alu instid0(VALU_DEP_1) | instskip(NEXT) | instid1(VALU_DEP_1)
	v_cndmask_b32_e64 v15, 0, v12, s1
	v_dual_cndmask_b32 v12, v12, v15 :: v_dual_mul_f32 v15, v47, v69
	s_delay_alu instid0(VALU_DEP_1) | instskip(NEXT) | instid1(VALU_DEP_1)
	v_cndmask_b32_e64 v16, 0, v15, s3
	v_cndmask_b32_e32 v15, v15, v16, vcc_lo
	v_mul_f32_e32 v16, v47, v191
	s_delay_alu instid0(VALU_DEP_2) | instskip(NEXT) | instid1(VALU_DEP_2)
	v_mul_f32_e32 v15, v1, v15
	v_cndmask_b32_e64 v17, 0, v16, s2
	s_delay_alu instid0(VALU_DEP_1) | instskip(NEXT) | instid1(VALU_DEP_1)
	v_cndmask_b32_e32 v16, v16, v17, vcc_lo
	v_dual_fmac_f32 v15, v0, v16 :: v_dual_mul_f32 v16, v47, v190
	s_delay_alu instid0(VALU_DEP_1) | instskip(NEXT) | instid1(VALU_DEP_2)
	v_fmac_f32_e32 v15, v2, v12
	v_cndmask_b32_e64 v17, 0, v16, s0
	v_mul_f32_e32 v12, v47, v86
	s_delay_alu instid0(VALU_DEP_2) | instskip(NEXT) | instid1(VALU_DEP_2)
	v_cndmask_b32_e32 v16, v16, v17, vcc_lo
	v_cndmask_b32_e64 v17, 0, v12, s1
	s_delay_alu instid0(VALU_DEP_1) | instskip(SKIP_1) | instid1(VALU_DEP_1)
	v_cndmask_b32_e32 v12, v12, v17, vcc_lo
	v_mul_f32_e32 v17, v47, v25
	v_cndmask_b32_e64 v18, 0, v17, s3
	s_delay_alu instid0(VALU_DEP_1) | instskip(NEXT) | instid1(VALU_DEP_1)
	v_dual_cndmask_b32 v17, v17, v18 :: v_dual_mul_f32 v18, v47, v84
	v_mul_f32_e32 v17, v1, v17
	s_delay_alu instid0(VALU_DEP_2) | instskip(NEXT) | instid1(VALU_DEP_1)
	v_cndmask_b32_e64 v19, 0, v18, s2
	v_cndmask_b32_e32 v18, v18, v19, vcc_lo
	s_delay_alu instid0(VALU_DEP_1) | instskip(NEXT) | instid1(VALU_DEP_1)
	v_fmac_f32_e32 v17, v0, v18
	v_dual_mul_f32 v18, v47, v122 :: v_dual_fmac_f32 v17, v2, v12
	s_delay_alu instid0(VALU_DEP_1) | instskip(SKIP_1) | instid1(VALU_DEP_2)
	v_cndmask_b32_e64 v19, 0, v18, s0
	v_mul_f32_e32 v12, v47, v112
	v_cndmask_b32_e32 v18, v18, v19, vcc_lo
	s_delay_alu instid0(VALU_DEP_2) | instskip(NEXT) | instid1(VALU_DEP_1)
	v_cndmask_b32_e64 v19, 0, v12, s1
	v_cndmask_b32_e32 v12, v12, v19, vcc_lo
	v_mul_f32_e32 v19, v47, v87
	s_delay_alu instid0(VALU_DEP_1) | instskip(NEXT) | instid1(VALU_DEP_1)
	v_cndmask_b32_e64 v20, 0, v19, s3
	v_cndmask_b32_e32 v19, v19, v20, vcc_lo
	s_delay_alu instid0(VALU_DEP_1) | instskip(NEXT) | instid1(VALU_DEP_1)
	v_dual_mul_f32 v20, v47, v85 :: v_dual_mul_f32 v19, v1, v19
	v_cndmask_b32_e64 v22, 0, v20, s2
	s_delay_alu instid0(VALU_DEP_1) | instskip(NEXT) | instid1(VALU_DEP_1)
	v_cndmask_b32_e32 v20, v20, v22, vcc_lo
	v_fmac_f32_e32 v19, v0, v20
	v_cndmask_b32_e64 v20, 0, v11, s0
	s_delay_alu instid0(VALU_DEP_2) | instskip(SKIP_1) | instid1(VALU_DEP_3)
	v_fmac_f32_e32 v19, v2, v12
	v_cndmask_b32_e64 v12, 0, v6, s1
	v_cndmask_b32_e32 v11, v11, v20, vcc_lo
	s_delay_alu instid0(VALU_DEP_2) | instskip(SKIP_1) | instid1(VALU_DEP_1)
	v_cndmask_b32_e32 v6, v6, v12, vcc_lo
	v_mul_f32_e32 v12, v47, v23
	v_cndmask_b32_e64 v20, 0, v12, s3
	s_delay_alu instid0(VALU_DEP_1) | instskip(SKIP_1) | instid1(VALU_DEP_2)
	v_cndmask_b32_e32 v12, v12, v20, vcc_lo
	v_mul_f32_e32 v20, v47, v35
	v_mul_f32_e32 v12, v1, v12
	s_delay_alu instid0(VALU_DEP_2) | instskip(NEXT) | instid1(VALU_DEP_1)
	v_cndmask_b32_e64 v22, 0, v20, s2
	v_cndmask_b32_e32 v20, v20, v22, vcc_lo
	s_delay_alu instid0(VALU_DEP_1) | instskip(SKIP_1) | instid1(VALU_DEP_2)
	v_fmac_f32_e32 v12, v0, v20
	v_cndmask_b32_e64 v20, 0, v10, s0
	v_fmac_f32_e32 v12, v2, v6
	scratch_load_b32 v6, off, s32 offset:1860 ; 4-byte Folded Reload
	v_cndmask_b32_e32 v10, v10, v20, vcc_lo
	s_delay_alu instid0(VALU_DEP_1) | instskip(SKIP_4) | instid1(VALU_DEP_1)
	v_fmac_f32_e32 v12, v3, v10
	s_waitcnt vmcnt(0)
	v_add_f32_e32 v6, v6, v13
	scratch_store_b32 off, v6, s32 offset:1860 ; 4-byte Folded Spill
	v_cndmask_b32_e64 v6, 0, v5, s1
	v_cndmask_b32_e32 v5, v5, v6, vcc_lo
	v_mul_f32_e32 v6, v47, v162
	s_delay_alu instid0(VALU_DEP_1) | instskip(NEXT) | instid1(VALU_DEP_1)
	v_cndmask_b32_e64 v10, 0, v6, s3
	v_cndmask_b32_e32 v6, v6, v10, vcc_lo
	v_mul_f32_e32 v10, v47, v31
	scratch_load_b32 v31, off, s32 offset:1928 ; 4-byte Folded Reload
	v_dual_mul_f32 v6, v1, v6 :: v_dual_fmac_f32 v19, v3, v11
	v_cndmask_b32_e64 v11, 0, v10, s2
	s_delay_alu instid0(VALU_DEP_1) | instskip(NEXT) | instid1(VALU_DEP_1)
	v_dual_fmac_f32 v15, v3, v16 :: v_dual_cndmask_b32 v10, v10, v11
	v_fmac_f32_e32 v6, v0, v10
	s_delay_alu instid0(VALU_DEP_1)
	v_fmac_f32_e32 v6, v2, v5
	scratch_load_b32 v5, off, s32 offset:1864 ; 4-byte Folded Reload
	s_waitcnt vmcnt(0)
	v_add_f32_e32 v5, v5, v15
	scratch_store_b32 off, v5, s32 offset:1864 ; 4-byte Folded Spill
	scratch_load_b32 v5, off, s32 offset:1868 ; 4-byte Folded Reload
	v_mul_f32_e32 v10, v47, v14
	s_delay_alu instid0(VALU_DEP_1) | instskip(NEXT) | instid1(VALU_DEP_1)
	v_cndmask_b32_e64 v11, 0, v10, s0
	v_dual_fmac_f32 v17, v3, v18 :: v_dual_cndmask_b32 v10, v10, v11
	s_waitcnt vmcnt(0)
	s_delay_alu instid0(VALU_DEP_1)
	v_add_f32_e32 v5, v5, v17
	scratch_store_b32 off, v5, s32 offset:1868 ; 4-byte Folded Spill
	scratch_load_b32 v5, off, s32 offset:1872 ; 4-byte Folded Reload
	s_waitcnt vmcnt(0)
	v_dual_add_f32 v5, v5, v19 :: v_dual_fmac_f32 v6, v3, v10
	v_mul_f32_e32 v10, v47, v21
	scratch_store_b32 off, v5, s32 offset:1872 ; 4-byte Folded Spill
	scratch_load_b32 v5, off, s32 offset:1876 ; 4-byte Folded Reload
	v_add_f32_e32 v97, v97, v6
	v_cndmask_b32_e64 v13, 0, v10, s2
	s_delay_alu instid0(VALU_DEP_1) | instskip(SKIP_4) | instid1(VALU_DEP_1)
	v_cndmask_b32_e32 v13, v10, v13, vcc_lo
	s_waitcnt vmcnt(0)
	v_add_f32_e32 v5, v5, v12
	scratch_store_b32 off, v5, s32 offset:1876 ; 4-byte Folded Spill
	v_cndmask_b32_e64 v5, 0, v4, s1
	v_dual_cndmask_b32 v4, v4, v5 :: v_dual_mul_f32 v5, v47, v7
	s_delay_alu instid0(VALU_DEP_1) | instskip(NEXT) | instid1(VALU_DEP_1)
	v_cndmask_b32_e64 v7, 0, v5, s3
	v_cndmask_b32_e32 v5, v5, v7, vcc_lo
	v_mul_f32_e32 v7, v47, v8
	s_delay_alu instid0(VALU_DEP_2) | instskip(NEXT) | instid1(VALU_DEP_2)
	v_mul_f32_e32 v5, v1, v5
	v_cndmask_b32_e64 v8, 0, v7, s2
	s_delay_alu instid0(VALU_DEP_1) | instskip(SKIP_1) | instid1(VALU_DEP_2)
	v_cndmask_b32_e32 v7, v7, v8, vcc_lo
	v_mul_f32_e32 v8, v47, v163
	v_fmac_f32_e32 v5, v0, v7
	s_delay_alu instid0(VALU_DEP_2) | instskip(NEXT) | instid1(VALU_DEP_1)
	v_cndmask_b32_e64 v7, 0, v8, s0
	v_cndmask_b32_e32 v6, v8, v7, vcc_lo
	v_mul_f32_e32 v8, v47, v48
	s_delay_alu instid0(VALU_DEP_4) | instskip(SKIP_1) | instid1(VALU_DEP_3)
	v_dual_fmac_f32 v5, v2, v4 :: v_dual_mul_f32 v4, v47, v50
	v_mul_f32_e32 v7, v47, v96
	v_cndmask_b32_e64 v12, 0, v8, s1
	s_delay_alu instid0(VALU_DEP_3) | instskip(NEXT) | instid1(VALU_DEP_4)
	v_fmac_f32_e32 v5, v3, v6
	v_cndmask_b32_e64 v6, 0, v4, s3
	s_delay_alu instid0(VALU_DEP_4) | instskip(NEXT) | instid1(VALU_DEP_4)
	v_cndmask_b32_e64 v11, 0, v7, s0
	v_cndmask_b32_e32 v12, v8, v12, vcc_lo
	s_delay_alu instid0(VALU_DEP_3) | instskip(NEXT) | instid1(VALU_DEP_1)
	v_dual_cndmask_b32 v4, v4, v6 :: v_dual_add_f32 v31, v31, v5
	v_mul_f32_e32 v4, v1, v4
	s_delay_alu instid0(VALU_DEP_1)
	v_dual_fmac_f32 v4, v0, v13 :: v_dual_cndmask_b32 v5, v7, v11
	s_clause 0x1
	scratch_load_b64 v[10:11], off, s32 offset:732
	scratch_load_b64 v[14:15], off, s32 offset:740
	v_fmac_f32_e32 v4, v2, v12
	s_waitcnt vmcnt(0)
	v_or_b32_e32 v8, v11, v15
	s_clause 0x1
	scratch_load_b64 v[15:16], off, s32 offset:748
	scratch_load_b64 v[17:18], off, s32 offset:756
	v_or_b32_e32 v10, v10, v14
	v_mul_f32_e32 v8, v47, v8
	s_delay_alu instid0(VALU_DEP_1) | instskip(NEXT) | instid1(VALU_DEP_1)
	v_cndmask_b32_e64 v11, 0, v8, s3
	v_cndmask_b32_e32 v8, v8, v11, vcc_lo
	s_delay_alu instid0(VALU_DEP_1) | instskip(SKIP_3) | instid1(VALU_DEP_2)
	v_mul_f32_e32 v8, v1, v8
	s_waitcnt vmcnt(0)
	v_or_b32_e32 v6, v16, v18
	v_or_b32_e32 v7, v15, v17
	v_mul_f32_e32 v6, v47, v6
	s_delay_alu instid0(VALU_DEP_2) | instskip(NEXT) | instid1(VALU_DEP_2)
	v_mul_f32_e32 v7, v47, v7
	v_cndmask_b32_e64 v12, 0, v6, s0
	v_mul_f32_e32 v10, v47, v10
	s_delay_alu instid0(VALU_DEP_3) | instskip(NEXT) | instid1(VALU_DEP_3)
	v_cndmask_b32_e64 v13, 0, v7, s1
	v_dual_fmac_f32 v4, v3, v5 :: v_dual_cndmask_b32 v5, v6, v12
	s_delay_alu instid0(VALU_DEP_3) | instskip(NEXT) | instid1(VALU_DEP_1)
	v_cndmask_b32_e64 v14, 0, v10, s2
	v_dual_cndmask_b32 v6, v7, v13 :: v_dual_cndmask_b32 v7, v10, v14
	s_clause 0x1
	scratch_load_b64 v[12:13], off, s32 offset:700
	scratch_load_b64 v[14:15], off, s32 offset:708
	s_waitcnt vmcnt(0)
	v_or_b32_e32 v10, v13, v15
	s_clause 0x1
	scratch_load_b64 v[15:16], off, s32 offset:716
	scratch_load_b64 v[17:18], off, s32 offset:724
	v_or_b32_e32 v12, v12, v14
	v_dual_fmac_f32 v8, v0, v7 :: v_dual_mul_f32 v7, v47, v10
	s_delay_alu instid0(VALU_DEP_1) | instskip(NEXT) | instid1(VALU_DEP_2)
	v_fmac_f32_e32 v8, v2, v6
	v_cndmask_b32_e64 v6, 0, v7, s3
	s_delay_alu instid0(VALU_DEP_2)
	v_fmac_f32_e32 v8, v3, v5
	s_waitcnt vmcnt(0)
	v_or_b32_e32 v11, v16, v18
	v_or_b32_e32 v13, v15, v17
	s_clause 0x1
	scratch_load_b64 v[17:18], off, s32 offset:668
	scratch_load_b64 v[19:20], off, s32 offset:676
	v_mul_f32_e32 v10, v47, v11
	v_mul_f32_e32 v11, v47, v12
	;; [unrolled: 1-line block ×3, first 2 shown]
	s_delay_alu instid0(VALU_DEP_3) | instskip(NEXT) | instid1(VALU_DEP_3)
	v_cndmask_b32_e64 v13, 0, v10, s0
	v_cndmask_b32_e64 v14, 0, v11, s2
	v_cndmask_b32_e32 v6, v7, v6, vcc_lo
	s_delay_alu instid0(VALU_DEP_4) | instskip(NEXT) | instid1(VALU_DEP_3)
	v_cndmask_b32_e64 v15, 0, v12, s1
	v_dual_cndmask_b32 v7, v10, v13 :: v_dual_cndmask_b32 v10, v11, v14
	s_delay_alu instid0(VALU_DEP_3) | instskip(NEXT) | instid1(VALU_DEP_1)
	v_mul_f32_e32 v6, v1, v6
	v_fmac_f32_e32 v6, v0, v10
	s_waitcnt vmcnt(0)
	v_or_b32_e32 v16, v18, v20
	v_or_b32_e32 v11, v17, v19
	s_delay_alu instid0(VALU_DEP_2) | instskip(NEXT) | instid1(VALU_DEP_2)
	v_mul_f32_e32 v13, v47, v16
	v_mul_f32_e32 v11, v47, v11
	v_cndmask_b32_e32 v12, v12, v15, vcc_lo
	s_clause 0x4
	scratch_load_b64 v[15:16], off, s32 offset:684
	scratch_load_b64 v[17:18], off, s32 offset:692
	scratch_load_b32 v24, off, s32 offset:1932
	scratch_load_b32 v25, off, s32 offset:1936
	;; [unrolled: 1-line block ×3, first 2 shown]
	s_waitcnt vmcnt(3)
	v_or_b32_e32 v14, v15, v17
	v_cndmask_b32_e64 v15, 0, v13, s3
	v_or_b32_e32 v10, v16, v18
	v_cndmask_b32_e64 v16, 0, v11, s2
	s_waitcnt vmcnt(1)
	v_dual_add_f32 v25, v25, v8 :: v_dual_mul_f32 v14, v47, v14
	v_dual_cndmask_b32 v13, v13, v15 :: v_dual_add_f32 v24, v24, v4
	s_delay_alu instid0(VALU_DEP_3) | instskip(SKIP_1) | instid1(VALU_DEP_4)
	v_cndmask_b32_e32 v11, v11, v16, vcc_lo
	v_fmac_f32_e32 v6, v2, v12
	v_cndmask_b32_e64 v12, 0, v14, s1
	s_delay_alu instid0(VALU_DEP_2) | instskip(NEXT) | instid1(VALU_DEP_2)
	v_dual_mul_f32 v13, v1, v13 :: v_dual_fmac_f32 v6, v3, v7
	v_cndmask_b32_e32 v7, v14, v12, vcc_lo
	s_delay_alu instid0(VALU_DEP_2) | instskip(NEXT) | instid1(VALU_DEP_1)
	v_dual_fmac_f32 v13, v0, v11 :: v_dual_mul_f32 v10, v47, v10
	v_fmac_f32_e32 v13, v2, v7
	s_delay_alu instid0(VALU_DEP_2) | instskip(NEXT) | instid1(VALU_DEP_1)
	v_cndmask_b32_e64 v5, 0, v10, s0
	v_cndmask_b32_e32 v4, v10, v5, vcc_lo
	s_clause 0x1
	scratch_load_b64 v[7:8], off, s32 offset:636
	scratch_load_b64 v[10:11], off, s32 offset:644
	s_waitcnt vmcnt(2)
	v_dual_add_f32 v26, v26, v6 :: v_dual_fmac_f32 v13, v3, v4
	s_waitcnt vmcnt(0)
	v_or_b32_e32 v5, v8, v11
	s_clause 0x2
	scratch_load_b64 v[11:12], off, s32 offset:652
	scratch_load_b64 v[14:15], off, s32 offset:660
	scratch_load_b32 v27, off, s32 offset:1944
	v_or_b32_e32 v7, v7, v10
	v_mul_f32_e32 v4, v47, v5
	s_waitcnt vmcnt(1)
	v_or_b32_e32 v6, v12, v15
	v_or_b32_e32 v8, v11, v14
	s_clause 0x1
	scratch_load_b64 v[14:15], off, s32 offset:604
	scratch_load_b64 v[16:17], off, s32 offset:612
	s_waitcnt vmcnt(2)
	v_add_f32_e32 v27, v27, v13
	v_mul_f32_e32 v5, v47, v6
	v_mul_f32_e32 v6, v47, v7
	v_mul_f32_e32 v7, v47, v8
	v_cndmask_b32_e64 v8, 0, v4, s3
	s_delay_alu instid0(VALU_DEP_4) | instskip(NEXT) | instid1(VALU_DEP_4)
	v_cndmask_b32_e64 v10, 0, v5, s0
	v_cndmask_b32_e64 v11, 0, v6, s2
	s_delay_alu instid0(VALU_DEP_4) | instskip(NEXT) | instid1(VALU_DEP_3)
	v_cndmask_b32_e64 v12, 0, v7, s1
	v_dual_cndmask_b32 v4, v4, v8 :: v_dual_cndmask_b32 v5, v5, v10
	s_delay_alu instid0(VALU_DEP_2) | instskip(SKIP_3) | instid1(VALU_DEP_2)
	v_dual_cndmask_b32 v6, v6, v11 :: v_dual_cndmask_b32 v7, v7, v12
	s_waitcnt vmcnt(0)
	v_or_b32_e32 v13, v15, v17
	v_or_b32_e32 v8, v14, v16
	v_mul_f32_e32 v10, v47, v13
	s_clause 0x1
	scratch_load_b64 v[12:13], off, s32 offset:620
	scratch_load_b64 v[14:15], off, s32 offset:628
	v_mul_f32_e32 v8, v47, v8
	s_waitcnt vmcnt(0)
	v_or_b32_e32 v11, v12, v14
	v_cndmask_b32_e64 v12, 0, v10, s3
	s_delay_alu instid0(VALU_DEP_2) | instskip(NEXT) | instid1(VALU_DEP_2)
	v_dual_mul_f32 v11, v47, v11 :: v_dual_mul_f32 v4, v1, v4
	v_cndmask_b32_e32 v10, v10, v12, vcc_lo
	s_delay_alu instid0(VALU_DEP_2) | instskip(SKIP_2) | instid1(VALU_DEP_4)
	v_fmac_f32_e32 v4, v0, v6
	v_or_b32_e32 v6, v13, v15
	v_cndmask_b32_e64 v13, 0, v8, s2
	v_mul_f32_e32 v10, v1, v10
	s_delay_alu instid0(VALU_DEP_4) | instskip(NEXT) | instid1(VALU_DEP_4)
	v_fmac_f32_e32 v4, v2, v7
	v_mul_f32_e32 v6, v47, v6
	s_delay_alu instid0(VALU_DEP_4)
	v_cndmask_b32_e32 v8, v8, v13, vcc_lo
	s_clause 0x2
	scratch_load_b64 v[12:13], off, s32 offset:572
	scratch_load_b64 v[14:15], off, s32 offset:580
	scratch_load_b32 v28, off, s32 offset:1948
	v_cndmask_b32_e64 v7, 0, v11, s1
	v_fmac_f32_e32 v4, v3, v5
	v_cndmask_b32_e64 v5, 0, v6, s0
	s_delay_alu instid0(VALU_DEP_3) | instskip(NEXT) | instid1(VALU_DEP_1)
	v_dual_fmac_f32 v10, v0, v8 :: v_dual_cndmask_b32 v7, v11, v7
	v_fmac_f32_e32 v10, v2, v7
	s_waitcnt vmcnt(1)
	v_or_b32_e32 v11, v15, v13
	s_waitcnt vmcnt(0)
	v_add_f32_e32 v28, v28, v4
	v_cndmask_b32_e32 v4, v6, v5, vcc_lo
	v_or_b32_e32 v5, v14, v12
	v_mul_f32_e32 v6, v47, v11
	s_clause 0x2
	scratch_load_b64 v[11:12], off, s32 offset:588
	scratch_load_b64 v[13:14], off, s32 offset:596
	scratch_load_b32 v35, off, s32 offset:1952
	v_mul_f32_e32 v5, v47, v5
	v_fmac_f32_e32 v10, v3, v4
	s_waitcnt vmcnt(1)
	v_or_b32_e32 v7, v12, v14
	v_or_b32_e32 v8, v11, v13
	s_clause 0x1
	scratch_load_b64 v[12:13], off, s32 offset:540
	scratch_load_b64 v[14:15], off, s32 offset:548
	v_cndmask_b32_e64 v11, 0, v6, s3
	s_waitcnt vmcnt(2)
	v_add_f32_e32 v35, v35, v10
	v_mul_f32_e32 v4, v47, v7
	v_mul_f32_e32 v7, v47, v8
	v_cndmask_b32_e64 v8, 0, v5, s2
	v_cndmask_b32_e32 v6, v6, v11, vcc_lo
	s_delay_alu instid0(VALU_DEP_4) | instskip(NEXT) | instid1(VALU_DEP_4)
	v_cndmask_b32_e64 v10, 0, v4, s0
	v_cndmask_b32_e64 v11, 0, v7, s1
	s_delay_alu instid0(VALU_DEP_4) | instskip(NEXT) | instid1(VALU_DEP_4)
	v_cndmask_b32_e32 v5, v5, v8, vcc_lo
	v_mul_f32_e32 v6, v1, v6
	s_delay_alu instid0(VALU_DEP_3) | instskip(NEXT) | instid1(VALU_DEP_2)
	v_dual_cndmask_b32 v4, v4, v10 :: v_dual_cndmask_b32 v7, v7, v11
	v_fmac_f32_e32 v6, v0, v5
	s_delay_alu instid0(VALU_DEP_1) | instskip(NEXT) | instid1(VALU_DEP_1)
	v_fmac_f32_e32 v6, v2, v7
	v_fmac_f32_e32 v6, v3, v4
	s_waitcnt vmcnt(0)
	v_or_b32_e32 v8, v15, v13
	v_or_b32_e32 v10, v14, v12
	s_clause 0x1
	scratch_load_b64 v[11:12], off, s32 offset:556
	scratch_load_b64 v[13:14], off, s32 offset:564
	v_mul_f32_e32 v5, v47, v8
	v_mul_f32_e32 v10, v47, v10
	s_delay_alu instid0(VALU_DEP_2) | instskip(NEXT) | instid1(VALU_DEP_1)
	v_cndmask_b32_e64 v7, 0, v5, s3
	v_cndmask_b32_e32 v4, v5, v7, vcc_lo
	s_delay_alu instid0(VALU_DEP_1)
	v_mul_f32_e32 v4, v1, v4
	s_waitcnt vmcnt(0)
	v_or_b32_e32 v8, v14, v12
	v_or_b32_e32 v11, v13, v11
	s_clause 0x1
	scratch_load_b64 v[13:14], off, s32 offset:508
	scratch_load_b64 v[15:16], off, s32 offset:516
	v_cndmask_b32_e64 v12, 0, v10, s2
	v_mul_f32_e32 v8, v47, v8
	s_delay_alu instid0(VALU_DEP_2) | instskip(NEXT) | instid1(VALU_DEP_2)
	v_dual_mul_f32 v11, v47, v11 :: v_dual_cndmask_b32 v10, v10, v12
	v_cndmask_b32_e64 v5, 0, v8, s0
	s_delay_alu instid0(VALU_DEP_2) | instskip(NEXT) | instid1(VALU_DEP_3)
	v_cndmask_b32_e64 v7, 0, v11, s1
	v_fmac_f32_e32 v4, v0, v10
	s_delay_alu instid0(VALU_DEP_3) | instskip(NEXT) | instid1(VALU_DEP_3)
	v_cndmask_b32_e32 v5, v8, v5, vcc_lo
	v_cndmask_b32_e32 v7, v11, v7, vcc_lo
	s_delay_alu instid0(VALU_DEP_1) | instskip(NEXT) | instid1(VALU_DEP_1)
	v_fmac_f32_e32 v4, v2, v7
	v_fmac_f32_e32 v4, v3, v5
	s_waitcnt vmcnt(0)
	v_or_b32_e32 v12, v16, v14
	v_or_b32_e32 v8, v15, v13
	s_delay_alu instid0(VALU_DEP_2)
	v_mul_f32_e32 v11, v47, v12
	s_clause 0x3
	scratch_load_b64 v[12:13], off, s32 offset:524
	scratch_load_b64 v[14:15], off, s32 offset:532
	scratch_load_b32 v48, off, s32 offset:1956
	scratch_load_b32 v50, off, s32 offset:1960
	v_mul_f32_e32 v8, v47, v8
	s_waitcnt vmcnt(2)
	v_or_b32_e32 v10, v14, v12
	v_or_b32_e32 v12, v15, v13
	v_cndmask_b32_e64 v13, 0, v11, s3
	s_waitcnt vmcnt(0)
	v_add_f32_e32 v50, v50, v4
	v_add_f32_e32 v48, v48, v6
	v_mul_f32_e32 v7, v47, v10
	v_mul_f32_e32 v10, v47, v12
	v_cndmask_b32_e64 v12, 0, v8, s2
	v_cndmask_b32_e32 v11, v11, v13, vcc_lo
	s_delay_alu instid0(VALU_DEP_4) | instskip(NEXT) | instid1(VALU_DEP_4)
	v_cndmask_b32_e64 v5, 0, v7, s1
	v_cndmask_b32_e64 v13, 0, v10, s0
	s_delay_alu instid0(VALU_DEP_3) | instskip(NEXT) | instid1(VALU_DEP_3)
	v_dual_cndmask_b32 v8, v8, v12 :: v_dual_mul_f32 v11, v1, v11
	v_cndmask_b32_e32 v5, v7, v5, vcc_lo
	s_delay_alu instid0(VALU_DEP_2) | instskip(SKIP_4) | instid1(VALU_DEP_1)
	v_dual_cndmask_b32 v4, v10, v13 :: v_dual_fmac_f32 v11, v0, v8
	s_clause 0x1
	scratch_load_b64 v[7:8], off, s32 offset:492
	scratch_load_b64 v[12:13], off, s32 offset:500
	v_fmac_f32_e32 v11, v2, v5
	v_fmac_f32_e32 v11, v3, v4
	s_waitcnt vmcnt(0)
	v_or_b32_e32 v6, v13, v8
	v_or_b32_e32 v7, v12, v7
	s_clause 0x2
	scratch_load_b64 v[12:13], off, s32 offset:476
	scratch_load_b64 v[14:15], off, s32 offset:484
	scratch_load_b32 v96, off, s32 offset:1964
	v_mul_f32_e32 v5, v47, v6
	v_mul_f32_e32 v6, v47, v7
	s_delay_alu instid0(VALU_DEP_2) | instskip(NEXT) | instid1(VALU_DEP_1)
	v_cndmask_b32_e64 v4, 0, v5, s0
	v_cndmask_b32_e32 v4, v5, v4, vcc_lo
	s_waitcnt vmcnt(1)
	v_or_b32_e32 v8, v15, v13
	v_or_b32_e32 v10, v14, v12
	s_waitcnt vmcnt(0)
	s_delay_alu instid0(VALU_DEP_2) | instskip(NEXT) | instid1(VALU_DEP_2)
	v_dual_add_f32 v96, v96, v11 :: v_dual_mul_f32 v7, v47, v8
	v_mul_f32_e32 v8, v47, v10
	v_cndmask_b32_e64 v10, 0, v6, s1
	s_delay_alu instid0(VALU_DEP_3) | instskip(NEXT) | instid1(VALU_DEP_3)
	v_cndmask_b32_e64 v12, 0, v7, s3
	v_cndmask_b32_e64 v13, 0, v8, s2
	s_delay_alu instid0(VALU_DEP_2) | instskip(NEXT) | instid1(VALU_DEP_2)
	v_dual_cndmask_b32 v5, v6, v10 :: v_dual_cndmask_b32 v6, v7, v12
	v_cndmask_b32_e32 v7, v8, v13, vcc_lo
	s_clause 0x1
	scratch_load_b64 v[10:11], off, s32 offset:460
	scratch_load_b64 v[12:13], off, s32 offset:468
	v_mul_f32_e32 v6, v1, v6
	s_delay_alu instid0(VALU_DEP_1) | instskip(NEXT) | instid1(VALU_DEP_1)
	v_fmac_f32_e32 v6, v0, v7
	v_fmac_f32_e32 v6, v2, v5
	s_waitcnt vmcnt(0)
	v_or_b32_e32 v8, v13, v11
	v_or_b32_e32 v10, v12, v10
	s_clause 0x1
	scratch_load_b64 v[11:12], off, s32 offset:444
	scratch_load_b64 v[13:14], off, s32 offset:452
	v_mul_f32_e32 v8, v47, v8
	v_mul_f32_e32 v10, v47, v10
	s_waitcnt vmcnt(0)
	v_or_b32_e32 v11, v13, v11
	v_or_b32_e32 v12, v14, v12
	s_delay_alu instid0(VALU_DEP_3) | instskip(NEXT) | instid1(VALU_DEP_3)
	v_cndmask_b32_e64 v13, 0, v10, s1
	v_mul_f32_e32 v11, v47, v11
	s_delay_alu instid0(VALU_DEP_3) | instskip(SKIP_1) | instid1(VALU_DEP_4)
	v_mul_f32_e32 v7, v47, v12
	v_cndmask_b32_e64 v12, 0, v8, s0
	v_cndmask_b32_e32 v10, v10, v13, vcc_lo
	s_delay_alu instid0(VALU_DEP_4) | instskip(NEXT) | instid1(VALU_DEP_4)
	v_cndmask_b32_e64 v14, 0, v11, s2
	v_cndmask_b32_e64 v5, 0, v7, s3
	s_delay_alu instid0(VALU_DEP_2) | instskip(SKIP_4) | instid1(VALU_DEP_1)
	v_dual_cndmask_b32 v8, v8, v12 :: v_dual_cndmask_b32 v11, v11, v14
	s_clause 0x1
	scratch_load_b64 v[14:15], off, s32 offset:412
	scratch_load_b64 v[16:17], off, s32 offset:420
	v_cndmask_b32_e32 v5, v7, v5, vcc_lo
	v_mul_f32_e32 v5, v1, v5
	s_delay_alu instid0(VALU_DEP_1) | instskip(NEXT) | instid1(VALU_DEP_1)
	v_fmac_f32_e32 v5, v0, v11
	v_fmac_f32_e32 v5, v2, v10
	s_waitcnt vmcnt(0)
	v_or_b32_e32 v12, v17, v15
	s_clause 0x1
	scratch_load_b64 v[17:18], off, s32 offset:428
	scratch_load_b64 v[19:20], off, s32 offset:436
	v_or_b32_e32 v14, v16, v14
	v_mul_f32_e32 v12, v47, v12
	s_delay_alu instid0(VALU_DEP_2) | instskip(NEXT) | instid1(VALU_DEP_2)
	v_mul_f32_e32 v14, v47, v14
	v_cndmask_b32_e64 v15, 0, v12, s3
	s_delay_alu instid0(VALU_DEP_1) | instskip(NEXT) | instid1(VALU_DEP_1)
	v_cndmask_b32_e32 v12, v12, v15, vcc_lo
	v_mul_f32_e32 v12, v1, v12
	s_waitcnt vmcnt(0)
	v_or_b32_e32 v7, v20, v18
	v_or_b32_e32 v13, v19, v17
	v_cndmask_b32_e64 v17, 0, v14, s2
	s_delay_alu instid0(VALU_DEP_3) | instskip(NEXT) | instid1(VALU_DEP_3)
	v_mul_f32_e32 v7, v47, v7
	v_mul_f32_e32 v13, v47, v13
	s_delay_alu instid0(VALU_DEP_2) | instskip(NEXT) | instid1(VALU_DEP_2)
	v_cndmask_b32_e64 v11, 0, v7, s0
	v_cndmask_b32_e64 v16, 0, v13, s1
	s_delay_alu instid0(VALU_DEP_1)
	v_dual_cndmask_b32 v7, v7, v11 :: v_dual_cndmask_b32 v10, v13, v16
	v_cndmask_b32_e32 v11, v14, v17, vcc_lo
	s_clause 0x1
	scratch_load_b64 v[13:14], off, s32 offset:380
	scratch_load_b64 v[15:16], off, s32 offset:388
	v_fmac_f32_e32 v12, v0, v11
	s_delay_alu instid0(VALU_DEP_1) | instskip(NEXT) | instid1(VALU_DEP_1)
	v_fmac_f32_e32 v12, v2, v10
	v_fmac_f32_e32 v12, v3, v7
	s_waitcnt vmcnt(0)
	v_or_b32_e32 v13, v15, v13
	v_or_b32_e32 v14, v16, v14
	s_clause 0x4
	scratch_load_b64 v[15:16], off, s32 offset:396
	scratch_load_b64 v[17:18], off, s32 offset:404
	;; [unrolled: 1-line block ×4, first 2 shown]
	scratch_load_b32 v128, off, s32 offset:1892
	v_mul_f32_e32 v11, v47, v13
	v_mul_f32_e32 v13, v47, v14
	s_waitcnt vmcnt(3)
	v_or_b32_e32 v16, v18, v16
	s_delay_alu instid0(VALU_DEP_2)
	v_cndmask_b32_e64 v18, 0, v13, s3
	v_or_b32_e32 v15, v17, v15
	v_cndmask_b32_e64 v17, 0, v11, s2
	s_waitcnt vmcnt(1)
	v_or_b32_e32 v20, v36, v20
	v_cndmask_b32_e32 v13, v13, v18, vcc_lo
	v_or_b32_e32 v18, v103, v23
	v_cndmask_b32_e32 v11, v11, v17, vcc_lo
	v_mul_f32_e32 v14, v47, v15
	v_mul_f32_e32 v15, v47, v16
	s_delay_alu instid0(VALU_DEP_4) | instskip(SKIP_2) | instid1(VALU_DEP_3)
	v_dual_mul_f32 v13, v1, v13 :: v_dual_mul_f32 v18, v47, v18
	v_or_b32_e32 v16, v37, v21
	v_or_b32_e32 v17, v102, v22
	v_dual_mul_f32 v20, v47, v20 :: v_dual_fmac_f32 v13, v0, v11
	s_delay_alu instid0(VALU_DEP_4) | instskip(NEXT) | instid1(VALU_DEP_4)
	v_cndmask_b32_e64 v11, 0, v18, s0
	v_mul_f32_e32 v16, v47, v16
	s_delay_alu instid0(VALU_DEP_4) | instskip(NEXT) | instid1(VALU_DEP_4)
	v_mul_f32_e32 v17, v47, v17
	v_cndmask_b32_e64 v23, 0, v20, s2
	v_cndmask_b32_e64 v19, 0, v14, s1
	v_cndmask_b32_e32 v10, v18, v11, vcc_lo
	scratch_load_b32 v18, off, s32 offset:1972 ; 4-byte Folded Reload
	v_cndmask_b32_e64 v22, 0, v16, s3
	v_cndmask_b32_e32 v20, v20, v23, vcc_lo
	v_cndmask_b32_e32 v14, v14, v19, vcc_lo
	scratch_load_b32 v19, off, s32 offset:1976 ; 4-byte Folded Reload
	v_cndmask_b32_e64 v21, 0, v15, s0
	v_cndmask_b32_e32 v16, v16, v22, vcc_lo
	v_cndmask_b32_e64 v22, 0, v17, s1
	v_fmac_f32_e32 v13, v2, v14
	s_delay_alu instid0(VALU_DEP_3) | instskip(NEXT) | instid1(VALU_DEP_3)
	v_mul_f32_e32 v1, v1, v16
	v_cndmask_b32_e32 v16, v17, v22, vcc_lo
	scratch_load_b32 v17, off, s32 offset:1968 ; 4-byte Folded Reload
	v_fmac_f32_e32 v1, v0, v20
	scratch_load_b32 v20, off, s32 offset:1980 ; 4-byte Folded Reload
	v_dual_cndmask_b32 v0, v15, v21 :: v_dual_fmac_f32 v1, v2, v16
	s_delay_alu instid0(VALU_DEP_1) | instskip(SKIP_1) | instid1(VALU_DEP_3)
	v_fmac_f32_e32 v13, v3, v0
	v_fmac_f32_e32 v6, v3, v4
	;; [unrolled: 1-line block ×3, first 2 shown]
	s_waitcnt vmcnt(4)
	s_delay_alu instid0(VALU_DEP_1) | instskip(SKIP_1) | instid1(VALU_DEP_1)
	v_dual_fmac_f32 v5, v3, v8 :: v_dual_add_f32 v128, v128, v1
	s_waitcnt vmcnt(3)
	v_add_f32_e32 v18, v18, v5
	s_waitcnt vmcnt(2)
	v_add_f32_e32 v19, v19, v13
	s_waitcnt vmcnt(0)
	v_dual_add_f32 v17, v17, v6 :: v_dual_add_f32 v20, v20, v12
.LBB270_2088:                           ;   in Loop: Header=BB270_2089 Depth=1
	s_or_b32 exec_lo, exec_lo, s17
	s_clause 0x1
	scratch_load_b64 v[0:1], off, s32 offset:328
	scratch_load_b32 v5, off, s32 offset:336
	s_waitcnt vmcnt(1)
	v_mov_b32_e32 v1, v0
	s_waitcnt vmcnt(0)
	v_add_nc_u32_e32 v5, 0x80, v5
	s_delay_alu instid0(VALU_DEP_2) | instskip(NEXT) | instid1(VALU_DEP_1)
	v_add_nc_u32_e32 v1, 4, v1
	v_mov_b32_e32 v0, v1
	scratch_store_b64 off, v[0:1], s32 offset:328 ; 8-byte Folded Spill
	scratch_load_b32 v0, off, s32 offset:368 ; 4-byte Folded Reload
	s_waitcnt vmcnt(0)
	v_cmp_ge_i32_e32 vcc_lo, v1, v0
	scratch_load_b64 v[0:1], off, s32 offset:340 ; 8-byte Folded Reload
	s_or_b32 s16, vcc_lo, s16
	s_waitcnt vmcnt(0)
	v_add_co_u32 v0, s0, v0, 16
	s_delay_alu instid0(VALU_DEP_1)
	v_add_co_ci_u32_e64 v1, s0, 0, v1, s0
	scratch_store_b64 off, v[0:1], s32 offset:340 ; 8-byte Folded Spill
	scratch_load_b32 v0, off, s32 offset:348 ; 4-byte Folded Reload
	s_waitcnt vmcnt(0)
	v_add_nc_u32_e32 v0, 0x200, v0
	scratch_store_b32 off, v0, s32 offset:348 ; 4-byte Folded Spill
	s_and_not1_b32 exec_lo, exec_lo, s16
	s_cbranch_execz .LBB270_4135
.LBB270_2089:                           ; =>This Inner Loop Header: Depth=1
	s_clause 0x1
	scratch_load_b32 v1, off, s32 offset:372
	scratch_load_b32 v4, off, s32 offset:352
	v_sub_nc_u32_e32 v0, 0, v5
	scratch_store_b32 off, v5, s32 offset:336 ; 4-byte Folded Spill
	v_max_i32_e32 v0, v5, v0
	s_waitcnt vmcnt(1)
	s_delay_alu instid0(VALU_DEP_1) | instskip(SKIP_1) | instid1(VALU_DEP_1)
	v_mul_hi_u32 v1, v0, v1
	s_waitcnt vmcnt(0)
	v_mul_lo_u32 v2, v1, v4
	s_delay_alu instid0(VALU_DEP_1) | instskip(SKIP_1) | instid1(VALU_DEP_2)
	v_sub_nc_u32_e32 v0, v0, v2
	v_add_nc_u32_e32 v2, 1, v1
	v_cmp_ge_u32_e32 vcc_lo, v0, v4
	v_sub_nc_u32_e32 v3, v0, v4
	s_delay_alu instid0(VALU_DEP_1)
	v_dual_cndmask_b32 v1, v1, v2 :: v_dual_cndmask_b32 v0, v0, v3
	v_ashrrev_i32_e32 v2, 31, v5
	scratch_load_b32 v5, off, s32 offset:364 ; 4-byte Folded Reload
	v_add_nc_u32_e32 v3, 1, v1
	v_cmp_ge_u32_e32 vcc_lo, v0, v4
	scratch_load_b32 v4, off, s32 offset:1884 ; 4-byte Folded Reload
	v_cndmask_b32_e32 v0, v1, v3, vcc_lo
	scratch_load_b32 v3, off, s32 offset:1888 ; 4-byte Folded Reload
	s_waitcnt vmcnt(2)
	v_xor_b32_e32 v2, v2, v5
	s_delay_alu instid0(VALU_DEP_1) | instskip(NEXT) | instid1(VALU_DEP_1)
	v_xor_b32_e32 v0, v0, v2
	v_sub_nc_u32_e32 v0, v0, v2
	scratch_load_b64 v[1:2], off, s32 offset:356 ; 8-byte Folded Reload
	s_waitcnt vmcnt(0)
	v_add_nc_u32_e32 v1, v0, v1
	s_delay_alu instid0(VALU_DEP_1) | instskip(NEXT) | instid1(VALU_DEP_1)
	v_sub_nc_u32_e32 v2, 0, v1
	v_max_i32_e32 v2, v1, v2
	s_delay_alu instid0(VALU_DEP_1) | instskip(NEXT) | instid1(VALU_DEP_1)
	v_mul_hi_u32 v3, v2, v3
	v_mul_lo_u32 v3, v3, v4
	s_delay_alu instid0(VALU_DEP_1) | instskip(NEXT) | instid1(VALU_DEP_1)
	v_sub_nc_u32_e32 v2, v2, v3
	v_sub_nc_u32_e32 v3, v2, v4
	v_cmp_ge_u32_e32 vcc_lo, v2, v4
	s_delay_alu instid0(VALU_DEP_2) | instskip(SKIP_1) | instid1(VALU_DEP_2)
	v_cndmask_b32_e32 v2, v2, v3, vcc_lo
	v_ashrrev_i32_e32 v1, 31, v1
	v_sub_nc_u32_e32 v3, v2, v4
	v_cmp_ge_u32_e32 vcc_lo, v2, v4
	s_delay_alu instid0(VALU_DEP_2) | instskip(NEXT) | instid1(VALU_DEP_1)
	v_cndmask_b32_e32 v2, v2, v3, vcc_lo
	v_xor_b32_e32 v2, v2, v1
	s_delay_alu instid0(VALU_DEP_1) | instskip(NEXT) | instid1(VALU_DEP_1)
	v_sub_nc_u32_e32 v1, v2, v1
	v_cmp_eq_u32_e32 vcc_lo, 0, v1
	scratch_load_b32 v1, off, s32 offset:376 ; 4-byte Folded Reload
	s_waitcnt vmcnt(0)
	v_cmp_gt_i32_e64 s0, v0, v1
	s_delay_alu instid0(VALU_DEP_1) | instskip(NEXT) | instid1(SALU_CYCLE_1)
	s_or_b32 s0, vcc_lo, s0
	s_and_saveexec_b32 s17, s0
	s_cbranch_execz .LBB270_2088
; %bb.2090:                             ;   in Loop: Header=BB270_2089 Depth=1
	s_clause 0x15
	scratch_store_b32 off, v128, s32 offset:1892
	scratch_store_b32 off, v20, s32 offset:1980
	;; [unrolled: 1-line block ×22, first 2 shown]
	scratch_load_b64 v[0:1], off, s32 offset:340 ; 8-byte Folded Reload
	s_mov_b32 s0, exec_lo
	s_waitcnt vmcnt(0)
	flat_load_b32 v0, v[0:1]
	s_clause 0x1
	scratch_load_b32 v1, off, s32 offset:1880
	scratch_load_b64 v[2:3], off, s32 offset:2372
	s_waitcnt vmcnt(0) lgkmcnt(0)
	v_mad_i64_i32 v[21:22], null, v0, v1, v[2:3]
	scratch_load_b32 v0, off, s32 offset:2388 ; 4-byte Folded Reload
	s_waitcnt vmcnt(0)
	v_add_co_u32 v50, vcc_lo, v21, v0
	v_add_co_ci_u32_e32 v51, vcc_lo, 0, v22, vcc_lo
	flat_load_b32 v4, v[50:51]
	scratch_load_b64 v[0:1], off, s32 offset:2348 ; 8-byte Folded Reload
	v_mov_b32_e32 v6, 0
	v_mov_b32_e32 v7, 0
	s_waitcnt vmcnt(0)
	flat_load_b32 v47, v[0:1]
	scratch_load_b32 v0, off, s32 offset:348 ; 4-byte Folded Reload
	s_waitcnt lgkmcnt(1)
	v_and_b32_e32 v5, 0xff, v4
	s_waitcnt vmcnt(0)
	ds_load_b128 v[0:3], v0
	s_clause 0x1
	scratch_store_b64 off, v[6:7], s32 offset:388
	scratch_store_b64 off, v[6:7], s32 offset:380
	v_cmpx_ne_u16_e32 0, v5
	s_cbranch_execz .LBB270_2098
; %bb.2091:                             ;   in Loop: Header=BB270_2089 Depth=1
	v_bfrev_b32_e32 v6, 1
	v_mov_b32_e32 v7, 0
	s_mov_b32 s1, exec_lo
	scratch_store_b64 off, v[6:7], s32 offset:380 ; 8-byte Folded Spill
	v_cmpx_ne_u16_e32 0x80, v5
	s_cbranch_execz .LBB270_2097
; %bb.2092:                             ;   in Loop: Header=BB270_2089 Depth=1
	v_mov_b32_e32 v7, 0x7f800001
	v_and_b32_e32 v6, 0x7f, v4
	v_mov_b32_e32 v8, 0
	s_mov_b32 s2, exec_lo
	scratch_store_b64 off, v[7:8], s32 offset:380 ; 8-byte Folded Spill
	v_cmpx_ne_u32_e32 0x7f, v6
	s_cbranch_execz .LBB270_2096
; %bb.2093:                             ;   in Loop: Header=BB270_2089 Depth=1
	v_and_b32_e32 v8, 7, v4
	v_lshrrev_b32_e32 v5, 3, v6
	s_mov_b32 s3, exec_lo
	v_cmpx_gt_u32_e32 8, v6
; %bb.2094:                             ;   in Loop: Header=BB270_2089 Depth=1
	s_delay_alu instid0(VALU_DEP_3) | instskip(NEXT) | instid1(VALU_DEP_1)
	v_clz_i32_u32_e32 v5, v8
	v_min_u32_e32 v5, 32, v5
	s_delay_alu instid0(VALU_DEP_1) | instskip(SKIP_1) | instid1(VALU_DEP_2)
	v_subrev_nc_u32_e32 v6, 28, v5
	v_sub_nc_u32_e32 v5, 29, v5
	v_lshlrev_b64 v[6:7], v6, v[8:9]
	s_delay_alu instid0(VALU_DEP_1)
	v_and_b32_e32 v8, 7, v6
; %bb.2095:                             ;   in Loop: Header=BB270_2089 Depth=1
	s_or_b32 exec_lo, exec_lo, s3
	v_lshlrev_b32_e32 v6, 24, v4
	s_delay_alu instid0(VALU_DEP_2) | instskip(SKIP_1) | instid1(VALU_DEP_3)
	v_lshlrev_b32_e32 v7, 20, v8
	v_lshl_add_u32 v5, v5, 23, 0x3c000000
	v_and_b32_e32 v6, 0x80000000, v6
	s_delay_alu instid0(VALU_DEP_1)
	v_or3_b32 v8, v7, v6, v5
	scratch_store_b64 off, v[8:9], s32 offset:380 ; 8-byte Folded Spill
.LBB270_2096:                           ;   in Loop: Header=BB270_2089 Depth=1
	s_or_b32 exec_lo, exec_lo, s2
.LBB270_2097:                           ;   in Loop: Header=BB270_2089 Depth=1
	s_delay_alu instid0(SALU_CYCLE_1)
	s_or_b32 exec_lo, exec_lo, s1
.LBB270_2098:                           ;   in Loop: Header=BB270_2089 Depth=1
	s_delay_alu instid0(SALU_CYCLE_1) | instskip(SKIP_2) | instid1(VALU_DEP_1)
	s_or_b32 exec_lo, exec_lo, s0
	v_lshrrev_b16 v5, 8, v4
	s_mov_b32 s0, exec_lo
	v_cmpx_ne_u16_e32 0, v5
	s_cbranch_execz .LBB270_2106
; %bb.2099:                             ;   in Loop: Header=BB270_2089 Depth=1
	v_dual_mov_b32 v6, s10 :: v_dual_mov_b32 v7, s11
	s_mov_b32 s1, exec_lo
	scratch_store_b64 off, v[6:7], s32 offset:388 ; 8-byte Folded Spill
	v_cmpx_ne_u16_e32 0x80, v5
	s_cbranch_execz .LBB270_2105
; %bb.2100:                             ;   in Loop: Header=BB270_2089 Depth=1
	s_mov_b32 s12, s10
	v_and_b32_e32 v5, 0xffff, v5
	v_dual_mov_b32 v7, s12 :: v_dual_mov_b32 v8, s13
	s_mov_b32 s2, exec_lo
	s_delay_alu instid0(VALU_DEP_2)
	v_and_b32_e32 v6, 0x7f, v5
	scratch_store_b64 off, v[7:8], s32 offset:388 ; 8-byte Folded Spill
	v_cmpx_ne_u32_e32 0x7f, v6
	s_cbranch_execz .LBB270_2104
; %bb.2101:                             ;   in Loop: Header=BB270_2089 Depth=1
	v_and_b32_e32 v8, 7, v5
	v_lshrrev_b32_e32 v5, 3, v6
	s_mov_b32 s3, exec_lo
	v_cmpx_gt_u32_e32 8, v6
; %bb.2102:                             ;   in Loop: Header=BB270_2089 Depth=1
	s_delay_alu instid0(VALU_DEP_3) | instskip(NEXT) | instid1(VALU_DEP_1)
	v_clz_i32_u32_e32 v5, v8
	v_min_u32_e32 v5, 32, v5
	s_delay_alu instid0(VALU_DEP_1) | instskip(SKIP_1) | instid1(VALU_DEP_2)
	v_subrev_nc_u32_e32 v6, 28, v5
	v_sub_nc_u32_e32 v5, 29, v5
	v_lshlrev_b64 v[6:7], v6, v[8:9]
	s_delay_alu instid0(VALU_DEP_1)
	v_and_b32_e32 v8, 7, v6
; %bb.2103:                             ;   in Loop: Header=BB270_2089 Depth=1
	s_or_b32 exec_lo, exec_lo, s3
	v_lshlrev_b32_e32 v6, 16, v4
	s_delay_alu instid0(VALU_DEP_2) | instskip(SKIP_1) | instid1(VALU_DEP_3)
	v_lshlrev_b32_e32 v7, 20, v8
	v_lshl_add_u32 v5, v5, 23, 0x3c000000
	v_and_b32_e32 v6, 0x80000000, v6
	s_delay_alu instid0(VALU_DEP_1)
	v_or3_b32 v6, v7, v6, v5
	v_mov_b32_e32 v5, v9
	scratch_store_b64 off, v[5:6], s32 offset:388 ; 8-byte Folded Spill
.LBB270_2104:                           ;   in Loop: Header=BB270_2089 Depth=1
	s_or_b32 exec_lo, exec_lo, s2
.LBB270_2105:                           ;   in Loop: Header=BB270_2089 Depth=1
	s_delay_alu instid0(SALU_CYCLE_1)
	s_or_b32 exec_lo, exec_lo, s1
.LBB270_2106:                           ;   in Loop: Header=BB270_2089 Depth=1
	s_delay_alu instid0(SALU_CYCLE_1)
	s_or_b32 exec_lo, exec_lo, s0
	v_lshrrev_b32_e32 v5, 16, v4
	v_mov_b32_e32 v7, 0
	v_mov_b32_e32 v8, 0
	s_mov_b32 s0, exec_lo
	s_clause 0x1
	scratch_store_b64 off, v[7:8], s32 offset:404
	scratch_store_b64 off, v[7:8], s32 offset:396
	v_and_b32_e32 v6, 0xff, v5
	s_delay_alu instid0(VALU_DEP_1)
	v_cmpx_ne_u16_e32 0, v6
	s_cbranch_execz .LBB270_2114
; %bb.2107:                             ;   in Loop: Header=BB270_2089 Depth=1
	v_bfrev_b32_e32 v7, 1
	v_mov_b32_e32 v8, 0
	s_mov_b32 s1, exec_lo
	scratch_store_b64 off, v[7:8], s32 offset:396 ; 8-byte Folded Spill
	v_cmpx_ne_u16_e32 0x80, v6
	s_cbranch_execz .LBB270_2113
; %bb.2108:                             ;   in Loop: Header=BB270_2089 Depth=1
	v_mov_b32_e32 v10, 0x7f800001
	v_bfe_u32 v7, v4, 16, 7
	v_mov_b32_e32 v11, 0
	s_mov_b32 s2, exec_lo
	scratch_store_b64 off, v[10:11], s32 offset:396 ; 8-byte Folded Spill
	v_cmpx_ne_u32_e32 0x7f, v7
	s_cbranch_execz .LBB270_2112
; %bb.2109:                             ;   in Loop: Header=BB270_2089 Depth=1
	v_and_b32_e32 v8, 7, v5
	v_lshrrev_b32_e32 v6, 3, v7
	s_mov_b32 s3, exec_lo
	v_cmpx_gt_u32_e32 8, v7
; %bb.2110:                             ;   in Loop: Header=BB270_2089 Depth=1
	s_delay_alu instid0(VALU_DEP_3) | instskip(NEXT) | instid1(VALU_DEP_1)
	v_clz_i32_u32_e32 v6, v8
	v_min_u32_e32 v6, 32, v6
	s_delay_alu instid0(VALU_DEP_1) | instskip(SKIP_1) | instid1(VALU_DEP_2)
	v_subrev_nc_u32_e32 v7, 28, v6
	v_sub_nc_u32_e32 v6, 29, v6
	v_lshlrev_b64 v[7:8], v7, v[8:9]
	s_delay_alu instid0(VALU_DEP_1)
	v_and_b32_e32 v8, 7, v7
; %bb.2111:                             ;   in Loop: Header=BB270_2089 Depth=1
	s_or_b32 exec_lo, exec_lo, s3
	v_lshlrev_b32_e32 v5, 24, v5
	s_delay_alu instid0(VALU_DEP_2) | instskip(SKIP_1) | instid1(VALU_DEP_3)
	v_lshlrev_b32_e32 v7, 20, v8
	v_lshl_add_u32 v6, v6, 23, 0x3c000000
	v_and_b32_e32 v5, 0x80000000, v5
	s_delay_alu instid0(VALU_DEP_1)
	v_or3_b32 v8, v7, v5, v6
	scratch_store_b64 off, v[8:9], s32 offset:396 ; 8-byte Folded Spill
.LBB270_2112:                           ;   in Loop: Header=BB270_2089 Depth=1
	s_or_b32 exec_lo, exec_lo, s2
.LBB270_2113:                           ;   in Loop: Header=BB270_2089 Depth=1
	s_delay_alu instid0(SALU_CYCLE_1)
	s_or_b32 exec_lo, exec_lo, s1
.LBB270_2114:                           ;   in Loop: Header=BB270_2089 Depth=1
	s_delay_alu instid0(SALU_CYCLE_1) | instskip(NEXT) | instid1(SALU_CYCLE_1)
	s_or_b32 exec_lo, exec_lo, s0
	s_mov_b32 s0, exec_lo
	v_cmpx_lt_u32_e32 0xffffff, v4
	s_cbranch_execz .LBB270_2122
; %bb.2115:                             ;   in Loop: Header=BB270_2089 Depth=1
	v_lshrrev_b32_e32 v5, 24, v4
	v_dual_mov_b32 v6, s10 :: v_dual_mov_b32 v7, s11
	s_mov_b32 s1, exec_lo
	scratch_store_b64 off, v[6:7], s32 offset:404 ; 8-byte Folded Spill
	v_cmpx_ne_u32_e32 0x80, v5
	s_cbranch_execz .LBB270_2121
; %bb.2116:                             ;   in Loop: Header=BB270_2089 Depth=1
	s_mov_b32 s12, s10
	v_bfe_u32 v6, v4, 24, 7
	v_dual_mov_b32 v7, s12 :: v_dual_mov_b32 v8, s13
	s_mov_b32 s2, exec_lo
	scratch_store_b64 off, v[7:8], s32 offset:404 ; 8-byte Folded Spill
	v_cmpx_ne_u32_e32 0x7f, v6
	s_cbranch_execz .LBB270_2120
; %bb.2117:                             ;   in Loop: Header=BB270_2089 Depth=1
	v_and_b32_e32 v8, 7, v5
	v_lshrrev_b32_e32 v4, 3, v6
	s_mov_b32 s3, exec_lo
	v_cmpx_gt_u32_e32 8, v6
; %bb.2118:                             ;   in Loop: Header=BB270_2089 Depth=1
	s_delay_alu instid0(VALU_DEP_3) | instskip(NEXT) | instid1(VALU_DEP_1)
	v_clz_i32_u32_e32 v4, v8
	v_min_u32_e32 v4, 32, v4
	s_delay_alu instid0(VALU_DEP_1) | instskip(SKIP_1) | instid1(VALU_DEP_2)
	v_subrev_nc_u32_e32 v6, 28, v4
	v_sub_nc_u32_e32 v4, 29, v4
	v_lshlrev_b64 v[6:7], v6, v[8:9]
	s_delay_alu instid0(VALU_DEP_1)
	v_and_b32_e32 v8, 7, v6
; %bb.2119:                             ;   in Loop: Header=BB270_2089 Depth=1
	s_or_b32 exec_lo, exec_lo, s3
	v_lshlrev_b32_e32 v5, 24, v5
	s_delay_alu instid0(VALU_DEP_2) | instskip(SKIP_1) | instid1(VALU_DEP_3)
	v_lshlrev_b32_e32 v6, 20, v8
	v_lshl_add_u32 v4, v4, 23, 0x3c000000
	v_and_b32_e32 v5, 0x80000000, v5
	s_delay_alu instid0(VALU_DEP_1)
	v_or3_b32 v5, v6, v5, v4
	v_mov_b32_e32 v4, v9
	scratch_store_b64 off, v[4:5], s32 offset:404 ; 8-byte Folded Spill
.LBB270_2120:                           ;   in Loop: Header=BB270_2089 Depth=1
	s_or_b32 exec_lo, exec_lo, s2
.LBB270_2121:                           ;   in Loop: Header=BB270_2089 Depth=1
	s_delay_alu instid0(SALU_CYCLE_1)
	s_or_b32 exec_lo, exec_lo, s1
.LBB270_2122:                           ;   in Loop: Header=BB270_2089 Depth=1
	s_delay_alu instid0(SALU_CYCLE_1)
	s_or_b32 exec_lo, exec_lo, s0
	flat_load_b32 v4, v[50:51] offset:128
	v_mov_b32_e32 v6, 0
	v_mov_b32_e32 v7, 0
	s_mov_b32 s0, exec_lo
	s_clause 0x1
	scratch_store_b64 off, v[6:7], s32 offset:420
	scratch_store_b64 off, v[6:7], s32 offset:412
	s_waitcnt vmcnt(0) lgkmcnt(0)
	v_and_b32_e32 v5, 0xff, v4
	s_delay_alu instid0(VALU_DEP_1)
	v_cmpx_ne_u16_e32 0, v5
	s_cbranch_execz .LBB270_2130
; %bb.2123:                             ;   in Loop: Header=BB270_2089 Depth=1
	v_bfrev_b32_e32 v6, 1
	v_mov_b32_e32 v7, 0
	s_mov_b32 s1, exec_lo
	scratch_store_b64 off, v[6:7], s32 offset:412 ; 8-byte Folded Spill
	v_cmpx_ne_u16_e32 0x80, v5
	s_cbranch_execz .LBB270_2129
; %bb.2124:                             ;   in Loop: Header=BB270_2089 Depth=1
	v_mov_b32_e32 v7, 0x7f800001
	v_and_b32_e32 v6, 0x7f, v4
	v_mov_b32_e32 v8, 0
	s_mov_b32 s2, exec_lo
	scratch_store_b64 off, v[7:8], s32 offset:412 ; 8-byte Folded Spill
	v_cmpx_ne_u32_e32 0x7f, v6
	s_cbranch_execz .LBB270_2128
; %bb.2125:                             ;   in Loop: Header=BB270_2089 Depth=1
	v_and_b32_e32 v8, 7, v4
	v_lshrrev_b32_e32 v5, 3, v6
	s_mov_b32 s3, exec_lo
	v_cmpx_gt_u32_e32 8, v6
; %bb.2126:                             ;   in Loop: Header=BB270_2089 Depth=1
	s_delay_alu instid0(VALU_DEP_3) | instskip(NEXT) | instid1(VALU_DEP_1)
	v_clz_i32_u32_e32 v5, v8
	v_min_u32_e32 v5, 32, v5
	s_delay_alu instid0(VALU_DEP_1) | instskip(SKIP_1) | instid1(VALU_DEP_2)
	v_subrev_nc_u32_e32 v6, 28, v5
	v_sub_nc_u32_e32 v5, 29, v5
	v_lshlrev_b64 v[6:7], v6, v[8:9]
	s_delay_alu instid0(VALU_DEP_1)
	v_and_b32_e32 v8, 7, v6
; %bb.2127:                             ;   in Loop: Header=BB270_2089 Depth=1
	s_or_b32 exec_lo, exec_lo, s3
	v_lshlrev_b32_e32 v6, 24, v4
	s_delay_alu instid0(VALU_DEP_2) | instskip(SKIP_1) | instid1(VALU_DEP_3)
	v_lshlrev_b32_e32 v7, 20, v8
	v_lshl_add_u32 v5, v5, 23, 0x3c000000
	v_and_b32_e32 v6, 0x80000000, v6
	s_delay_alu instid0(VALU_DEP_1)
	v_or3_b32 v8, v7, v6, v5
	scratch_store_b64 off, v[8:9], s32 offset:412 ; 8-byte Folded Spill
.LBB270_2128:                           ;   in Loop: Header=BB270_2089 Depth=1
	s_or_b32 exec_lo, exec_lo, s2
.LBB270_2129:                           ;   in Loop: Header=BB270_2089 Depth=1
	s_delay_alu instid0(SALU_CYCLE_1)
	s_or_b32 exec_lo, exec_lo, s1
.LBB270_2130:                           ;   in Loop: Header=BB270_2089 Depth=1
	s_delay_alu instid0(SALU_CYCLE_1) | instskip(SKIP_2) | instid1(VALU_DEP_1)
	s_or_b32 exec_lo, exec_lo, s0
	v_lshrrev_b16 v5, 8, v4
	s_mov_b32 s0, exec_lo
	v_cmpx_ne_u16_e32 0, v5
	s_cbranch_execz .LBB270_2138
; %bb.2131:                             ;   in Loop: Header=BB270_2089 Depth=1
	v_dual_mov_b32 v6, s10 :: v_dual_mov_b32 v7, s11
	s_mov_b32 s1, exec_lo
	scratch_store_b64 off, v[6:7], s32 offset:420 ; 8-byte Folded Spill
	v_cmpx_ne_u16_e32 0x80, v5
	s_cbranch_execz .LBB270_2137
; %bb.2132:                             ;   in Loop: Header=BB270_2089 Depth=1
	s_mov_b32 s12, s10
	v_and_b32_e32 v5, 0xffff, v5
	v_dual_mov_b32 v7, s12 :: v_dual_mov_b32 v8, s13
	s_mov_b32 s2, exec_lo
	s_delay_alu instid0(VALU_DEP_2)
	v_and_b32_e32 v6, 0x7f, v5
	scratch_store_b64 off, v[7:8], s32 offset:420 ; 8-byte Folded Spill
	v_cmpx_ne_u32_e32 0x7f, v6
	s_cbranch_execz .LBB270_2136
; %bb.2133:                             ;   in Loop: Header=BB270_2089 Depth=1
	v_and_b32_e32 v8, 7, v5
	v_lshrrev_b32_e32 v5, 3, v6
	s_mov_b32 s3, exec_lo
	v_cmpx_gt_u32_e32 8, v6
; %bb.2134:                             ;   in Loop: Header=BB270_2089 Depth=1
	s_delay_alu instid0(VALU_DEP_3) | instskip(NEXT) | instid1(VALU_DEP_1)
	v_clz_i32_u32_e32 v5, v8
	v_min_u32_e32 v5, 32, v5
	s_delay_alu instid0(VALU_DEP_1) | instskip(SKIP_1) | instid1(VALU_DEP_2)
	v_subrev_nc_u32_e32 v6, 28, v5
	v_sub_nc_u32_e32 v5, 29, v5
	v_lshlrev_b64 v[6:7], v6, v[8:9]
	s_delay_alu instid0(VALU_DEP_1)
	v_and_b32_e32 v8, 7, v6
; %bb.2135:                             ;   in Loop: Header=BB270_2089 Depth=1
	s_or_b32 exec_lo, exec_lo, s3
	v_lshlrev_b32_e32 v6, 16, v4
	s_delay_alu instid0(VALU_DEP_2) | instskip(SKIP_1) | instid1(VALU_DEP_3)
	v_lshlrev_b32_e32 v7, 20, v8
	v_lshl_add_u32 v5, v5, 23, 0x3c000000
	v_and_b32_e32 v6, 0x80000000, v6
	s_delay_alu instid0(VALU_DEP_1)
	v_or3_b32 v6, v7, v6, v5
	v_mov_b32_e32 v5, v9
	scratch_store_b64 off, v[5:6], s32 offset:420 ; 8-byte Folded Spill
.LBB270_2136:                           ;   in Loop: Header=BB270_2089 Depth=1
	s_or_b32 exec_lo, exec_lo, s2
.LBB270_2137:                           ;   in Loop: Header=BB270_2089 Depth=1
	s_delay_alu instid0(SALU_CYCLE_1)
	s_or_b32 exec_lo, exec_lo, s1
.LBB270_2138:                           ;   in Loop: Header=BB270_2089 Depth=1
	s_delay_alu instid0(SALU_CYCLE_1)
	s_or_b32 exec_lo, exec_lo, s0
	v_lshrrev_b32_e32 v5, 16, v4
	v_mov_b32_e32 v7, 0
	v_mov_b32_e32 v8, 0
	s_mov_b32 s0, exec_lo
	s_clause 0x1
	scratch_store_b64 off, v[7:8], s32 offset:436
	scratch_store_b64 off, v[7:8], s32 offset:428
	v_and_b32_e32 v6, 0xff, v5
	s_delay_alu instid0(VALU_DEP_1)
	v_cmpx_ne_u16_e32 0, v6
	s_cbranch_execz .LBB270_2146
; %bb.2139:                             ;   in Loop: Header=BB270_2089 Depth=1
	v_bfrev_b32_e32 v7, 1
	v_mov_b32_e32 v8, 0
	s_mov_b32 s1, exec_lo
	scratch_store_b64 off, v[7:8], s32 offset:428 ; 8-byte Folded Spill
	v_cmpx_ne_u16_e32 0x80, v6
	s_cbranch_execz .LBB270_2145
; %bb.2140:                             ;   in Loop: Header=BB270_2089 Depth=1
	v_mov_b32_e32 v10, 0x7f800001
	v_bfe_u32 v7, v4, 16, 7
	v_mov_b32_e32 v11, 0
	s_mov_b32 s2, exec_lo
	scratch_store_b64 off, v[10:11], s32 offset:428 ; 8-byte Folded Spill
	v_cmpx_ne_u32_e32 0x7f, v7
	s_cbranch_execz .LBB270_2144
; %bb.2141:                             ;   in Loop: Header=BB270_2089 Depth=1
	v_and_b32_e32 v8, 7, v5
	v_lshrrev_b32_e32 v6, 3, v7
	s_mov_b32 s3, exec_lo
	v_cmpx_gt_u32_e32 8, v7
; %bb.2142:                             ;   in Loop: Header=BB270_2089 Depth=1
	s_delay_alu instid0(VALU_DEP_3) | instskip(NEXT) | instid1(VALU_DEP_1)
	v_clz_i32_u32_e32 v6, v8
	v_min_u32_e32 v6, 32, v6
	s_delay_alu instid0(VALU_DEP_1) | instskip(SKIP_1) | instid1(VALU_DEP_2)
	v_subrev_nc_u32_e32 v7, 28, v6
	v_sub_nc_u32_e32 v6, 29, v6
	v_lshlrev_b64 v[7:8], v7, v[8:9]
	s_delay_alu instid0(VALU_DEP_1)
	v_and_b32_e32 v8, 7, v7
; %bb.2143:                             ;   in Loop: Header=BB270_2089 Depth=1
	s_or_b32 exec_lo, exec_lo, s3
	v_lshlrev_b32_e32 v5, 24, v5
	s_delay_alu instid0(VALU_DEP_2) | instskip(SKIP_1) | instid1(VALU_DEP_3)
	v_lshlrev_b32_e32 v7, 20, v8
	v_lshl_add_u32 v6, v6, 23, 0x3c000000
	v_and_b32_e32 v5, 0x80000000, v5
	s_delay_alu instid0(VALU_DEP_1)
	v_or3_b32 v8, v7, v5, v6
	scratch_store_b64 off, v[8:9], s32 offset:428 ; 8-byte Folded Spill
.LBB270_2144:                           ;   in Loop: Header=BB270_2089 Depth=1
	s_or_b32 exec_lo, exec_lo, s2
.LBB270_2145:                           ;   in Loop: Header=BB270_2089 Depth=1
	s_delay_alu instid0(SALU_CYCLE_1)
	s_or_b32 exec_lo, exec_lo, s1
.LBB270_2146:                           ;   in Loop: Header=BB270_2089 Depth=1
	s_delay_alu instid0(SALU_CYCLE_1) | instskip(NEXT) | instid1(SALU_CYCLE_1)
	s_or_b32 exec_lo, exec_lo, s0
	s_mov_b32 s0, exec_lo
	v_cmpx_lt_u32_e32 0xffffff, v4
	s_cbranch_execz .LBB270_2154
; %bb.2147:                             ;   in Loop: Header=BB270_2089 Depth=1
	v_lshrrev_b32_e32 v5, 24, v4
	v_dual_mov_b32 v6, s10 :: v_dual_mov_b32 v7, s11
	s_mov_b32 s1, exec_lo
	scratch_store_b64 off, v[6:7], s32 offset:436 ; 8-byte Folded Spill
	v_cmpx_ne_u32_e32 0x80, v5
	s_cbranch_execz .LBB270_2153
; %bb.2148:                             ;   in Loop: Header=BB270_2089 Depth=1
	s_mov_b32 s12, s10
	v_bfe_u32 v6, v4, 24, 7
	v_dual_mov_b32 v7, s12 :: v_dual_mov_b32 v8, s13
	s_mov_b32 s2, exec_lo
	scratch_store_b64 off, v[7:8], s32 offset:436 ; 8-byte Folded Spill
	v_cmpx_ne_u32_e32 0x7f, v6
	s_cbranch_execz .LBB270_2152
; %bb.2149:                             ;   in Loop: Header=BB270_2089 Depth=1
	v_and_b32_e32 v8, 7, v5
	v_lshrrev_b32_e32 v4, 3, v6
	s_mov_b32 s3, exec_lo
	v_cmpx_gt_u32_e32 8, v6
; %bb.2150:                             ;   in Loop: Header=BB270_2089 Depth=1
	s_delay_alu instid0(VALU_DEP_3) | instskip(NEXT) | instid1(VALU_DEP_1)
	v_clz_i32_u32_e32 v4, v8
	v_min_u32_e32 v4, 32, v4
	s_delay_alu instid0(VALU_DEP_1) | instskip(SKIP_1) | instid1(VALU_DEP_2)
	v_subrev_nc_u32_e32 v6, 28, v4
	v_sub_nc_u32_e32 v4, 29, v4
	v_lshlrev_b64 v[6:7], v6, v[8:9]
	s_delay_alu instid0(VALU_DEP_1)
	v_and_b32_e32 v8, 7, v6
; %bb.2151:                             ;   in Loop: Header=BB270_2089 Depth=1
	s_or_b32 exec_lo, exec_lo, s3
	v_lshlrev_b32_e32 v5, 24, v5
	s_delay_alu instid0(VALU_DEP_2) | instskip(SKIP_1) | instid1(VALU_DEP_3)
	v_lshlrev_b32_e32 v6, 20, v8
	v_lshl_add_u32 v4, v4, 23, 0x3c000000
	v_and_b32_e32 v5, 0x80000000, v5
	s_delay_alu instid0(VALU_DEP_1)
	v_or3_b32 v5, v6, v5, v4
	v_mov_b32_e32 v4, v9
	scratch_store_b64 off, v[4:5], s32 offset:436 ; 8-byte Folded Spill
.LBB270_2152:                           ;   in Loop: Header=BB270_2089 Depth=1
	s_or_b32 exec_lo, exec_lo, s2
.LBB270_2153:                           ;   in Loop: Header=BB270_2089 Depth=1
	s_delay_alu instid0(SALU_CYCLE_1)
	s_or_b32 exec_lo, exec_lo, s1
.LBB270_2154:                           ;   in Loop: Header=BB270_2089 Depth=1
	s_delay_alu instid0(SALU_CYCLE_1)
	s_or_b32 exec_lo, exec_lo, s0
	flat_load_b32 v4, v[50:51] offset:256
	v_mov_b32_e32 v6, 0
	v_mov_b32_e32 v7, 0
	s_mov_b32 s0, exec_lo
	s_clause 0x1
	scratch_store_b64 off, v[6:7], s32 offset:452
	scratch_store_b64 off, v[6:7], s32 offset:444
	s_waitcnt vmcnt(0) lgkmcnt(0)
	v_and_b32_e32 v5, 0xff, v4
	s_delay_alu instid0(VALU_DEP_1)
	v_cmpx_ne_u16_e32 0, v5
	s_cbranch_execz .LBB270_2162
; %bb.2155:                             ;   in Loop: Header=BB270_2089 Depth=1
	v_bfrev_b32_e32 v6, 1
	v_mov_b32_e32 v7, 0
	s_mov_b32 s1, exec_lo
	scratch_store_b64 off, v[6:7], s32 offset:444 ; 8-byte Folded Spill
	v_cmpx_ne_u16_e32 0x80, v5
	s_cbranch_execz .LBB270_2161
; %bb.2156:                             ;   in Loop: Header=BB270_2089 Depth=1
	v_mov_b32_e32 v7, 0x7f800001
	v_and_b32_e32 v6, 0x7f, v4
	v_mov_b32_e32 v8, 0
	s_mov_b32 s2, exec_lo
	scratch_store_b64 off, v[7:8], s32 offset:444 ; 8-byte Folded Spill
	v_cmpx_ne_u32_e32 0x7f, v6
	s_cbranch_execz .LBB270_2160
; %bb.2157:                             ;   in Loop: Header=BB270_2089 Depth=1
	v_and_b32_e32 v8, 7, v4
	v_lshrrev_b32_e32 v5, 3, v6
	s_mov_b32 s3, exec_lo
	v_cmpx_gt_u32_e32 8, v6
; %bb.2158:                             ;   in Loop: Header=BB270_2089 Depth=1
	s_delay_alu instid0(VALU_DEP_3) | instskip(NEXT) | instid1(VALU_DEP_1)
	v_clz_i32_u32_e32 v5, v8
	v_min_u32_e32 v5, 32, v5
	s_delay_alu instid0(VALU_DEP_1) | instskip(SKIP_1) | instid1(VALU_DEP_2)
	v_subrev_nc_u32_e32 v6, 28, v5
	v_sub_nc_u32_e32 v5, 29, v5
	v_lshlrev_b64 v[6:7], v6, v[8:9]
	s_delay_alu instid0(VALU_DEP_1)
	v_and_b32_e32 v8, 7, v6
; %bb.2159:                             ;   in Loop: Header=BB270_2089 Depth=1
	s_or_b32 exec_lo, exec_lo, s3
	v_lshlrev_b32_e32 v6, 24, v4
	s_delay_alu instid0(VALU_DEP_2) | instskip(SKIP_1) | instid1(VALU_DEP_3)
	v_lshlrev_b32_e32 v7, 20, v8
	v_lshl_add_u32 v5, v5, 23, 0x3c000000
	v_and_b32_e32 v6, 0x80000000, v6
	s_delay_alu instid0(VALU_DEP_1)
	v_or3_b32 v8, v7, v6, v5
	scratch_store_b64 off, v[8:9], s32 offset:444 ; 8-byte Folded Spill
.LBB270_2160:                           ;   in Loop: Header=BB270_2089 Depth=1
	s_or_b32 exec_lo, exec_lo, s2
.LBB270_2161:                           ;   in Loop: Header=BB270_2089 Depth=1
	s_delay_alu instid0(SALU_CYCLE_1)
	s_or_b32 exec_lo, exec_lo, s1
.LBB270_2162:                           ;   in Loop: Header=BB270_2089 Depth=1
	s_delay_alu instid0(SALU_CYCLE_1) | instskip(SKIP_2) | instid1(VALU_DEP_1)
	s_or_b32 exec_lo, exec_lo, s0
	v_lshrrev_b16 v5, 8, v4
	s_mov_b32 s0, exec_lo
	v_cmpx_ne_u16_e32 0, v5
	s_cbranch_execz .LBB270_2170
; %bb.2163:                             ;   in Loop: Header=BB270_2089 Depth=1
	v_dual_mov_b32 v6, s10 :: v_dual_mov_b32 v7, s11
	s_mov_b32 s1, exec_lo
	scratch_store_b64 off, v[6:7], s32 offset:452 ; 8-byte Folded Spill
	v_cmpx_ne_u16_e32 0x80, v5
	s_cbranch_execz .LBB270_2169
; %bb.2164:                             ;   in Loop: Header=BB270_2089 Depth=1
	s_mov_b32 s12, s10
	v_and_b32_e32 v5, 0xffff, v5
	v_dual_mov_b32 v7, s12 :: v_dual_mov_b32 v8, s13
	s_mov_b32 s2, exec_lo
	s_delay_alu instid0(VALU_DEP_2)
	v_and_b32_e32 v6, 0x7f, v5
	scratch_store_b64 off, v[7:8], s32 offset:452 ; 8-byte Folded Spill
	v_cmpx_ne_u32_e32 0x7f, v6
	s_cbranch_execz .LBB270_2168
; %bb.2165:                             ;   in Loop: Header=BB270_2089 Depth=1
	v_and_b32_e32 v8, 7, v5
	v_lshrrev_b32_e32 v5, 3, v6
	s_mov_b32 s3, exec_lo
	v_cmpx_gt_u32_e32 8, v6
; %bb.2166:                             ;   in Loop: Header=BB270_2089 Depth=1
	s_delay_alu instid0(VALU_DEP_3) | instskip(NEXT) | instid1(VALU_DEP_1)
	v_clz_i32_u32_e32 v5, v8
	v_min_u32_e32 v5, 32, v5
	s_delay_alu instid0(VALU_DEP_1) | instskip(SKIP_1) | instid1(VALU_DEP_2)
	v_subrev_nc_u32_e32 v6, 28, v5
	v_sub_nc_u32_e32 v5, 29, v5
	v_lshlrev_b64 v[6:7], v6, v[8:9]
	s_delay_alu instid0(VALU_DEP_1)
	v_and_b32_e32 v8, 7, v6
; %bb.2167:                             ;   in Loop: Header=BB270_2089 Depth=1
	s_or_b32 exec_lo, exec_lo, s3
	v_lshlrev_b32_e32 v6, 16, v4
	s_delay_alu instid0(VALU_DEP_2) | instskip(SKIP_1) | instid1(VALU_DEP_3)
	v_lshlrev_b32_e32 v7, 20, v8
	v_lshl_add_u32 v5, v5, 23, 0x3c000000
	v_and_b32_e32 v6, 0x80000000, v6
	s_delay_alu instid0(VALU_DEP_1)
	v_or3_b32 v6, v7, v6, v5
	v_mov_b32_e32 v5, v9
	scratch_store_b64 off, v[5:6], s32 offset:452 ; 8-byte Folded Spill
.LBB270_2168:                           ;   in Loop: Header=BB270_2089 Depth=1
	s_or_b32 exec_lo, exec_lo, s2
.LBB270_2169:                           ;   in Loop: Header=BB270_2089 Depth=1
	s_delay_alu instid0(SALU_CYCLE_1)
	s_or_b32 exec_lo, exec_lo, s1
.LBB270_2170:                           ;   in Loop: Header=BB270_2089 Depth=1
	s_delay_alu instid0(SALU_CYCLE_1)
	s_or_b32 exec_lo, exec_lo, s0
	v_lshrrev_b32_e32 v5, 16, v4
	v_mov_b32_e32 v7, 0
	v_mov_b32_e32 v8, 0
	s_mov_b32 s0, exec_lo
	s_clause 0x1
	scratch_store_b64 off, v[7:8], s32 offset:468
	scratch_store_b64 off, v[7:8], s32 offset:460
	v_and_b32_e32 v6, 0xff, v5
	s_delay_alu instid0(VALU_DEP_1)
	v_cmpx_ne_u16_e32 0, v6
	s_cbranch_execz .LBB270_2178
; %bb.2171:                             ;   in Loop: Header=BB270_2089 Depth=1
	v_bfrev_b32_e32 v7, 1
	v_mov_b32_e32 v8, 0
	s_mov_b32 s1, exec_lo
	scratch_store_b64 off, v[7:8], s32 offset:460 ; 8-byte Folded Spill
	v_cmpx_ne_u16_e32 0x80, v6
	s_cbranch_execz .LBB270_2177
; %bb.2172:                             ;   in Loop: Header=BB270_2089 Depth=1
	v_mov_b32_e32 v10, 0x7f800001
	v_bfe_u32 v7, v4, 16, 7
	v_mov_b32_e32 v11, 0
	s_mov_b32 s2, exec_lo
	scratch_store_b64 off, v[10:11], s32 offset:460 ; 8-byte Folded Spill
	v_cmpx_ne_u32_e32 0x7f, v7
	s_cbranch_execz .LBB270_2176
; %bb.2173:                             ;   in Loop: Header=BB270_2089 Depth=1
	v_and_b32_e32 v8, 7, v5
	v_lshrrev_b32_e32 v6, 3, v7
	s_mov_b32 s3, exec_lo
	v_cmpx_gt_u32_e32 8, v7
; %bb.2174:                             ;   in Loop: Header=BB270_2089 Depth=1
	s_delay_alu instid0(VALU_DEP_3) | instskip(NEXT) | instid1(VALU_DEP_1)
	v_clz_i32_u32_e32 v6, v8
	v_min_u32_e32 v6, 32, v6
	s_delay_alu instid0(VALU_DEP_1) | instskip(SKIP_1) | instid1(VALU_DEP_2)
	v_subrev_nc_u32_e32 v7, 28, v6
	v_sub_nc_u32_e32 v6, 29, v6
	v_lshlrev_b64 v[7:8], v7, v[8:9]
	s_delay_alu instid0(VALU_DEP_1)
	v_and_b32_e32 v8, 7, v7
; %bb.2175:                             ;   in Loop: Header=BB270_2089 Depth=1
	s_or_b32 exec_lo, exec_lo, s3
	v_lshlrev_b32_e32 v5, 24, v5
	s_delay_alu instid0(VALU_DEP_2) | instskip(SKIP_1) | instid1(VALU_DEP_3)
	v_lshlrev_b32_e32 v7, 20, v8
	v_lshl_add_u32 v6, v6, 23, 0x3c000000
	v_and_b32_e32 v5, 0x80000000, v5
	s_delay_alu instid0(VALU_DEP_1)
	v_or3_b32 v8, v7, v5, v6
	scratch_store_b64 off, v[8:9], s32 offset:460 ; 8-byte Folded Spill
.LBB270_2176:                           ;   in Loop: Header=BB270_2089 Depth=1
	s_or_b32 exec_lo, exec_lo, s2
.LBB270_2177:                           ;   in Loop: Header=BB270_2089 Depth=1
	s_delay_alu instid0(SALU_CYCLE_1)
	s_or_b32 exec_lo, exec_lo, s1
.LBB270_2178:                           ;   in Loop: Header=BB270_2089 Depth=1
	s_delay_alu instid0(SALU_CYCLE_1) | instskip(NEXT) | instid1(SALU_CYCLE_1)
	s_or_b32 exec_lo, exec_lo, s0
	s_mov_b32 s0, exec_lo
	v_cmpx_lt_u32_e32 0xffffff, v4
	s_cbranch_execz .LBB270_2186
; %bb.2179:                             ;   in Loop: Header=BB270_2089 Depth=1
	v_lshrrev_b32_e32 v5, 24, v4
	v_dual_mov_b32 v6, s10 :: v_dual_mov_b32 v7, s11
	s_mov_b32 s1, exec_lo
	scratch_store_b64 off, v[6:7], s32 offset:468 ; 8-byte Folded Spill
	v_cmpx_ne_u32_e32 0x80, v5
	s_cbranch_execz .LBB270_2185
; %bb.2180:                             ;   in Loop: Header=BB270_2089 Depth=1
	s_mov_b32 s12, s10
	v_bfe_u32 v6, v4, 24, 7
	v_dual_mov_b32 v7, s12 :: v_dual_mov_b32 v8, s13
	s_mov_b32 s2, exec_lo
	scratch_store_b64 off, v[7:8], s32 offset:468 ; 8-byte Folded Spill
	v_cmpx_ne_u32_e32 0x7f, v6
	s_cbranch_execz .LBB270_2184
; %bb.2181:                             ;   in Loop: Header=BB270_2089 Depth=1
	v_and_b32_e32 v8, 7, v5
	v_lshrrev_b32_e32 v4, 3, v6
	s_mov_b32 s3, exec_lo
	v_cmpx_gt_u32_e32 8, v6
; %bb.2182:                             ;   in Loop: Header=BB270_2089 Depth=1
	s_delay_alu instid0(VALU_DEP_3) | instskip(NEXT) | instid1(VALU_DEP_1)
	v_clz_i32_u32_e32 v4, v8
	v_min_u32_e32 v4, 32, v4
	s_delay_alu instid0(VALU_DEP_1) | instskip(SKIP_1) | instid1(VALU_DEP_2)
	v_subrev_nc_u32_e32 v6, 28, v4
	v_sub_nc_u32_e32 v4, 29, v4
	v_lshlrev_b64 v[6:7], v6, v[8:9]
	s_delay_alu instid0(VALU_DEP_1)
	v_and_b32_e32 v8, 7, v6
; %bb.2183:                             ;   in Loop: Header=BB270_2089 Depth=1
	s_or_b32 exec_lo, exec_lo, s3
	v_lshlrev_b32_e32 v5, 24, v5
	s_delay_alu instid0(VALU_DEP_2) | instskip(SKIP_1) | instid1(VALU_DEP_3)
	v_lshlrev_b32_e32 v6, 20, v8
	v_lshl_add_u32 v4, v4, 23, 0x3c000000
	v_and_b32_e32 v5, 0x80000000, v5
	s_delay_alu instid0(VALU_DEP_1)
	v_or3_b32 v5, v6, v5, v4
	v_mov_b32_e32 v4, v9
	scratch_store_b64 off, v[4:5], s32 offset:468 ; 8-byte Folded Spill
.LBB270_2184:                           ;   in Loop: Header=BB270_2089 Depth=1
	s_or_b32 exec_lo, exec_lo, s2
.LBB270_2185:                           ;   in Loop: Header=BB270_2089 Depth=1
	s_delay_alu instid0(SALU_CYCLE_1)
	s_or_b32 exec_lo, exec_lo, s1
.LBB270_2186:                           ;   in Loop: Header=BB270_2089 Depth=1
	s_delay_alu instid0(SALU_CYCLE_1)
	s_or_b32 exec_lo, exec_lo, s0
	flat_load_b32 v4, v[50:51] offset:384
	v_mov_b32_e32 v6, 0
	v_mov_b32_e32 v7, 0
	s_mov_b32 s0, exec_lo
	s_clause 0x1
	scratch_store_b64 off, v[6:7], s32 offset:484
	scratch_store_b64 off, v[6:7], s32 offset:476
	s_waitcnt vmcnt(0) lgkmcnt(0)
	v_and_b32_e32 v5, 0xff, v4
	s_delay_alu instid0(VALU_DEP_1)
	v_cmpx_ne_u16_e32 0, v5
	s_cbranch_execz .LBB270_2194
; %bb.2187:                             ;   in Loop: Header=BB270_2089 Depth=1
	v_bfrev_b32_e32 v6, 1
	v_mov_b32_e32 v7, 0
	s_mov_b32 s1, exec_lo
	scratch_store_b64 off, v[6:7], s32 offset:476 ; 8-byte Folded Spill
	v_cmpx_ne_u16_e32 0x80, v5
	s_cbranch_execz .LBB270_2193
; %bb.2188:                             ;   in Loop: Header=BB270_2089 Depth=1
	v_mov_b32_e32 v7, 0x7f800001
	v_and_b32_e32 v6, 0x7f, v4
	v_mov_b32_e32 v8, 0
	s_mov_b32 s2, exec_lo
	scratch_store_b64 off, v[7:8], s32 offset:476 ; 8-byte Folded Spill
	v_cmpx_ne_u32_e32 0x7f, v6
	s_cbranch_execz .LBB270_2192
; %bb.2189:                             ;   in Loop: Header=BB270_2089 Depth=1
	v_and_b32_e32 v8, 7, v4
	v_lshrrev_b32_e32 v5, 3, v6
	s_mov_b32 s3, exec_lo
	v_cmpx_gt_u32_e32 8, v6
; %bb.2190:                             ;   in Loop: Header=BB270_2089 Depth=1
	s_delay_alu instid0(VALU_DEP_3) | instskip(NEXT) | instid1(VALU_DEP_1)
	v_clz_i32_u32_e32 v5, v8
	v_min_u32_e32 v5, 32, v5
	s_delay_alu instid0(VALU_DEP_1) | instskip(SKIP_1) | instid1(VALU_DEP_2)
	v_subrev_nc_u32_e32 v6, 28, v5
	v_sub_nc_u32_e32 v5, 29, v5
	v_lshlrev_b64 v[6:7], v6, v[8:9]
	s_delay_alu instid0(VALU_DEP_1)
	v_and_b32_e32 v8, 7, v6
; %bb.2191:                             ;   in Loop: Header=BB270_2089 Depth=1
	s_or_b32 exec_lo, exec_lo, s3
	v_lshlrev_b32_e32 v6, 24, v4
	s_delay_alu instid0(VALU_DEP_2) | instskip(SKIP_1) | instid1(VALU_DEP_3)
	v_lshlrev_b32_e32 v7, 20, v8
	v_lshl_add_u32 v5, v5, 23, 0x3c000000
	v_and_b32_e32 v6, 0x80000000, v6
	s_delay_alu instid0(VALU_DEP_1)
	v_or3_b32 v8, v7, v6, v5
	scratch_store_b64 off, v[8:9], s32 offset:476 ; 8-byte Folded Spill
.LBB270_2192:                           ;   in Loop: Header=BB270_2089 Depth=1
	s_or_b32 exec_lo, exec_lo, s2
.LBB270_2193:                           ;   in Loop: Header=BB270_2089 Depth=1
	s_delay_alu instid0(SALU_CYCLE_1)
	s_or_b32 exec_lo, exec_lo, s1
.LBB270_2194:                           ;   in Loop: Header=BB270_2089 Depth=1
	s_delay_alu instid0(SALU_CYCLE_1) | instskip(SKIP_2) | instid1(VALU_DEP_1)
	s_or_b32 exec_lo, exec_lo, s0
	v_lshrrev_b16 v5, 8, v4
	s_mov_b32 s0, exec_lo
	v_cmpx_ne_u16_e32 0, v5
	s_cbranch_execz .LBB270_2202
; %bb.2195:                             ;   in Loop: Header=BB270_2089 Depth=1
	v_dual_mov_b32 v6, s10 :: v_dual_mov_b32 v7, s11
	s_mov_b32 s1, exec_lo
	scratch_store_b64 off, v[6:7], s32 offset:484 ; 8-byte Folded Spill
	v_cmpx_ne_u16_e32 0x80, v5
	s_cbranch_execz .LBB270_2201
; %bb.2196:                             ;   in Loop: Header=BB270_2089 Depth=1
	s_mov_b32 s12, s10
	v_and_b32_e32 v5, 0xffff, v5
	v_dual_mov_b32 v7, s12 :: v_dual_mov_b32 v8, s13
	s_mov_b32 s2, exec_lo
	s_delay_alu instid0(VALU_DEP_2)
	v_and_b32_e32 v6, 0x7f, v5
	scratch_store_b64 off, v[7:8], s32 offset:484 ; 8-byte Folded Spill
	v_cmpx_ne_u32_e32 0x7f, v6
	s_cbranch_execz .LBB270_2200
; %bb.2197:                             ;   in Loop: Header=BB270_2089 Depth=1
	v_and_b32_e32 v8, 7, v5
	v_lshrrev_b32_e32 v5, 3, v6
	s_mov_b32 s3, exec_lo
	v_cmpx_gt_u32_e32 8, v6
; %bb.2198:                             ;   in Loop: Header=BB270_2089 Depth=1
	s_delay_alu instid0(VALU_DEP_3) | instskip(NEXT) | instid1(VALU_DEP_1)
	v_clz_i32_u32_e32 v5, v8
	v_min_u32_e32 v5, 32, v5
	s_delay_alu instid0(VALU_DEP_1) | instskip(SKIP_1) | instid1(VALU_DEP_2)
	v_subrev_nc_u32_e32 v6, 28, v5
	v_sub_nc_u32_e32 v5, 29, v5
	v_lshlrev_b64 v[6:7], v6, v[8:9]
	s_delay_alu instid0(VALU_DEP_1)
	v_and_b32_e32 v8, 7, v6
; %bb.2199:                             ;   in Loop: Header=BB270_2089 Depth=1
	s_or_b32 exec_lo, exec_lo, s3
	v_lshlrev_b32_e32 v6, 16, v4
	s_delay_alu instid0(VALU_DEP_2) | instskip(SKIP_1) | instid1(VALU_DEP_3)
	v_lshlrev_b32_e32 v7, 20, v8
	v_lshl_add_u32 v5, v5, 23, 0x3c000000
	v_and_b32_e32 v6, 0x80000000, v6
	s_delay_alu instid0(VALU_DEP_1)
	v_or3_b32 v6, v7, v6, v5
	v_mov_b32_e32 v5, v9
	scratch_store_b64 off, v[5:6], s32 offset:484 ; 8-byte Folded Spill
.LBB270_2200:                           ;   in Loop: Header=BB270_2089 Depth=1
	s_or_b32 exec_lo, exec_lo, s2
.LBB270_2201:                           ;   in Loop: Header=BB270_2089 Depth=1
	s_delay_alu instid0(SALU_CYCLE_1)
	s_or_b32 exec_lo, exec_lo, s1
.LBB270_2202:                           ;   in Loop: Header=BB270_2089 Depth=1
	s_delay_alu instid0(SALU_CYCLE_1)
	s_or_b32 exec_lo, exec_lo, s0
	v_lshrrev_b32_e32 v5, 16, v4
	v_mov_b32_e32 v7, 0
	v_mov_b32_e32 v8, 0
	s_mov_b32 s0, exec_lo
	s_clause 0x1
	scratch_store_b64 off, v[7:8], s32 offset:500
	scratch_store_b64 off, v[7:8], s32 offset:492
	v_and_b32_e32 v6, 0xff, v5
	s_delay_alu instid0(VALU_DEP_1)
	v_cmpx_ne_u16_e32 0, v6
	s_cbranch_execz .LBB270_2210
; %bb.2203:                             ;   in Loop: Header=BB270_2089 Depth=1
	v_bfrev_b32_e32 v7, 1
	v_mov_b32_e32 v8, 0
	s_mov_b32 s1, exec_lo
	scratch_store_b64 off, v[7:8], s32 offset:492 ; 8-byte Folded Spill
	v_cmpx_ne_u16_e32 0x80, v6
	s_cbranch_execz .LBB270_2209
; %bb.2204:                             ;   in Loop: Header=BB270_2089 Depth=1
	v_mov_b32_e32 v10, 0x7f800001
	v_bfe_u32 v7, v4, 16, 7
	v_mov_b32_e32 v11, 0
	s_mov_b32 s2, exec_lo
	scratch_store_b64 off, v[10:11], s32 offset:492 ; 8-byte Folded Spill
	v_cmpx_ne_u32_e32 0x7f, v7
	s_cbranch_execz .LBB270_2208
; %bb.2205:                             ;   in Loop: Header=BB270_2089 Depth=1
	v_and_b32_e32 v8, 7, v5
	v_lshrrev_b32_e32 v6, 3, v7
	s_mov_b32 s3, exec_lo
	v_cmpx_gt_u32_e32 8, v7
; %bb.2206:                             ;   in Loop: Header=BB270_2089 Depth=1
	s_delay_alu instid0(VALU_DEP_3) | instskip(NEXT) | instid1(VALU_DEP_1)
	v_clz_i32_u32_e32 v6, v8
	v_min_u32_e32 v6, 32, v6
	s_delay_alu instid0(VALU_DEP_1) | instskip(SKIP_1) | instid1(VALU_DEP_2)
	v_subrev_nc_u32_e32 v7, 28, v6
	v_sub_nc_u32_e32 v6, 29, v6
	v_lshlrev_b64 v[7:8], v7, v[8:9]
	s_delay_alu instid0(VALU_DEP_1)
	v_and_b32_e32 v8, 7, v7
; %bb.2207:                             ;   in Loop: Header=BB270_2089 Depth=1
	s_or_b32 exec_lo, exec_lo, s3
	v_lshlrev_b32_e32 v5, 24, v5
	s_delay_alu instid0(VALU_DEP_2) | instskip(SKIP_1) | instid1(VALU_DEP_3)
	v_lshlrev_b32_e32 v7, 20, v8
	v_lshl_add_u32 v6, v6, 23, 0x3c000000
	v_and_b32_e32 v5, 0x80000000, v5
	s_delay_alu instid0(VALU_DEP_1)
	v_or3_b32 v8, v7, v5, v6
	scratch_store_b64 off, v[8:9], s32 offset:492 ; 8-byte Folded Spill
.LBB270_2208:                           ;   in Loop: Header=BB270_2089 Depth=1
	s_or_b32 exec_lo, exec_lo, s2
.LBB270_2209:                           ;   in Loop: Header=BB270_2089 Depth=1
	s_delay_alu instid0(SALU_CYCLE_1)
	s_or_b32 exec_lo, exec_lo, s1
.LBB270_2210:                           ;   in Loop: Header=BB270_2089 Depth=1
	s_delay_alu instid0(SALU_CYCLE_1) | instskip(NEXT) | instid1(SALU_CYCLE_1)
	s_or_b32 exec_lo, exec_lo, s0
	s_mov_b32 s0, exec_lo
	v_cmpx_lt_u32_e32 0xffffff, v4
	s_cbranch_execz .LBB270_2218
; %bb.2211:                             ;   in Loop: Header=BB270_2089 Depth=1
	v_lshrrev_b32_e32 v5, 24, v4
	v_dual_mov_b32 v6, s10 :: v_dual_mov_b32 v7, s11
	s_mov_b32 s1, exec_lo
	scratch_store_b64 off, v[6:7], s32 offset:500 ; 8-byte Folded Spill
	v_cmpx_ne_u32_e32 0x80, v5
	s_cbranch_execz .LBB270_2217
; %bb.2212:                             ;   in Loop: Header=BB270_2089 Depth=1
	s_mov_b32 s12, s10
	v_bfe_u32 v6, v4, 24, 7
	v_dual_mov_b32 v7, s12 :: v_dual_mov_b32 v8, s13
	s_mov_b32 s2, exec_lo
	scratch_store_b64 off, v[7:8], s32 offset:500 ; 8-byte Folded Spill
	v_cmpx_ne_u32_e32 0x7f, v6
	s_cbranch_execz .LBB270_2216
; %bb.2213:                             ;   in Loop: Header=BB270_2089 Depth=1
	v_and_b32_e32 v8, 7, v5
	v_lshrrev_b32_e32 v4, 3, v6
	s_mov_b32 s3, exec_lo
	v_cmpx_gt_u32_e32 8, v6
; %bb.2214:                             ;   in Loop: Header=BB270_2089 Depth=1
	s_delay_alu instid0(VALU_DEP_3) | instskip(NEXT) | instid1(VALU_DEP_1)
	v_clz_i32_u32_e32 v4, v8
	v_min_u32_e32 v4, 32, v4
	s_delay_alu instid0(VALU_DEP_1) | instskip(SKIP_1) | instid1(VALU_DEP_2)
	v_subrev_nc_u32_e32 v6, 28, v4
	v_sub_nc_u32_e32 v4, 29, v4
	v_lshlrev_b64 v[6:7], v6, v[8:9]
	s_delay_alu instid0(VALU_DEP_1)
	v_and_b32_e32 v8, 7, v6
; %bb.2215:                             ;   in Loop: Header=BB270_2089 Depth=1
	s_or_b32 exec_lo, exec_lo, s3
	v_lshlrev_b32_e32 v5, 24, v5
	s_delay_alu instid0(VALU_DEP_2) | instskip(SKIP_1) | instid1(VALU_DEP_3)
	v_lshlrev_b32_e32 v6, 20, v8
	v_lshl_add_u32 v4, v4, 23, 0x3c000000
	v_and_b32_e32 v5, 0x80000000, v5
	s_delay_alu instid0(VALU_DEP_1)
	v_or3_b32 v5, v6, v5, v4
	v_mov_b32_e32 v4, v9
	scratch_store_b64 off, v[4:5], s32 offset:500 ; 8-byte Folded Spill
.LBB270_2216:                           ;   in Loop: Header=BB270_2089 Depth=1
	s_or_b32 exec_lo, exec_lo, s2
.LBB270_2217:                           ;   in Loop: Header=BB270_2089 Depth=1
	s_delay_alu instid0(SALU_CYCLE_1)
	s_or_b32 exec_lo, exec_lo, s1
.LBB270_2218:                           ;   in Loop: Header=BB270_2089 Depth=1
	s_delay_alu instid0(SALU_CYCLE_1)
	s_or_b32 exec_lo, exec_lo, s0
	flat_load_b32 v4, v[50:51] offset:512
	v_mov_b32_e32 v6, 0
	v_mov_b32_e32 v7, 0
	s_mov_b32 s0, exec_lo
	s_clause 0x1
	scratch_store_b64 off, v[6:7], s32 offset:516
	scratch_store_b64 off, v[6:7], s32 offset:508
	s_waitcnt vmcnt(0) lgkmcnt(0)
	v_and_b32_e32 v5, 0xff, v4
	s_delay_alu instid0(VALU_DEP_1)
	v_cmpx_ne_u16_e32 0, v5
	s_cbranch_execz .LBB270_2226
; %bb.2219:                             ;   in Loop: Header=BB270_2089 Depth=1
	v_bfrev_b32_e32 v6, 1
	v_mov_b32_e32 v7, 0
	s_mov_b32 s1, exec_lo
	scratch_store_b64 off, v[6:7], s32 offset:508 ; 8-byte Folded Spill
	v_cmpx_ne_u16_e32 0x80, v5
	s_cbranch_execz .LBB270_2225
; %bb.2220:                             ;   in Loop: Header=BB270_2089 Depth=1
	v_mov_b32_e32 v7, 0x7f800001
	v_and_b32_e32 v6, 0x7f, v4
	v_mov_b32_e32 v8, 0
	s_mov_b32 s2, exec_lo
	scratch_store_b64 off, v[7:8], s32 offset:508 ; 8-byte Folded Spill
	v_cmpx_ne_u32_e32 0x7f, v6
	s_cbranch_execz .LBB270_2224
; %bb.2221:                             ;   in Loop: Header=BB270_2089 Depth=1
	v_and_b32_e32 v8, 7, v4
	v_lshrrev_b32_e32 v5, 3, v6
	s_mov_b32 s3, exec_lo
	v_cmpx_gt_u32_e32 8, v6
; %bb.2222:                             ;   in Loop: Header=BB270_2089 Depth=1
	s_delay_alu instid0(VALU_DEP_3) | instskip(NEXT) | instid1(VALU_DEP_1)
	v_clz_i32_u32_e32 v5, v8
	v_min_u32_e32 v5, 32, v5
	s_delay_alu instid0(VALU_DEP_1) | instskip(SKIP_1) | instid1(VALU_DEP_2)
	v_subrev_nc_u32_e32 v6, 28, v5
	v_sub_nc_u32_e32 v5, 29, v5
	v_lshlrev_b64 v[6:7], v6, v[8:9]
	s_delay_alu instid0(VALU_DEP_1)
	v_and_b32_e32 v8, 7, v6
; %bb.2223:                             ;   in Loop: Header=BB270_2089 Depth=1
	s_or_b32 exec_lo, exec_lo, s3
	v_lshlrev_b32_e32 v6, 24, v4
	s_delay_alu instid0(VALU_DEP_2) | instskip(SKIP_1) | instid1(VALU_DEP_3)
	v_lshlrev_b32_e32 v7, 20, v8
	v_lshl_add_u32 v5, v5, 23, 0x3c000000
	v_and_b32_e32 v6, 0x80000000, v6
	s_delay_alu instid0(VALU_DEP_1)
	v_or3_b32 v8, v7, v6, v5
	scratch_store_b64 off, v[8:9], s32 offset:508 ; 8-byte Folded Spill
.LBB270_2224:                           ;   in Loop: Header=BB270_2089 Depth=1
	s_or_b32 exec_lo, exec_lo, s2
.LBB270_2225:                           ;   in Loop: Header=BB270_2089 Depth=1
	s_delay_alu instid0(SALU_CYCLE_1)
	s_or_b32 exec_lo, exec_lo, s1
.LBB270_2226:                           ;   in Loop: Header=BB270_2089 Depth=1
	s_delay_alu instid0(SALU_CYCLE_1) | instskip(SKIP_2) | instid1(VALU_DEP_1)
	s_or_b32 exec_lo, exec_lo, s0
	v_lshrrev_b16 v5, 8, v4
	s_mov_b32 s0, exec_lo
	v_cmpx_ne_u16_e32 0, v5
	s_cbranch_execz .LBB270_2234
; %bb.2227:                             ;   in Loop: Header=BB270_2089 Depth=1
	v_dual_mov_b32 v6, s10 :: v_dual_mov_b32 v7, s11
	s_mov_b32 s1, exec_lo
	scratch_store_b64 off, v[6:7], s32 offset:516 ; 8-byte Folded Spill
	v_cmpx_ne_u16_e32 0x80, v5
	s_cbranch_execz .LBB270_2233
; %bb.2228:                             ;   in Loop: Header=BB270_2089 Depth=1
	s_mov_b32 s12, s10
	v_and_b32_e32 v5, 0xffff, v5
	v_dual_mov_b32 v7, s12 :: v_dual_mov_b32 v8, s13
	s_mov_b32 s2, exec_lo
	s_delay_alu instid0(VALU_DEP_2)
	v_and_b32_e32 v6, 0x7f, v5
	scratch_store_b64 off, v[7:8], s32 offset:516 ; 8-byte Folded Spill
	v_cmpx_ne_u32_e32 0x7f, v6
	s_cbranch_execz .LBB270_2232
; %bb.2229:                             ;   in Loop: Header=BB270_2089 Depth=1
	v_and_b32_e32 v8, 7, v5
	v_lshrrev_b32_e32 v5, 3, v6
	s_mov_b32 s3, exec_lo
	v_cmpx_gt_u32_e32 8, v6
; %bb.2230:                             ;   in Loop: Header=BB270_2089 Depth=1
	s_delay_alu instid0(VALU_DEP_3) | instskip(NEXT) | instid1(VALU_DEP_1)
	v_clz_i32_u32_e32 v5, v8
	v_min_u32_e32 v5, 32, v5
	s_delay_alu instid0(VALU_DEP_1) | instskip(SKIP_1) | instid1(VALU_DEP_2)
	v_subrev_nc_u32_e32 v6, 28, v5
	v_sub_nc_u32_e32 v5, 29, v5
	v_lshlrev_b64 v[6:7], v6, v[8:9]
	s_delay_alu instid0(VALU_DEP_1)
	v_and_b32_e32 v8, 7, v6
; %bb.2231:                             ;   in Loop: Header=BB270_2089 Depth=1
	s_or_b32 exec_lo, exec_lo, s3
	v_lshlrev_b32_e32 v6, 16, v4
	s_delay_alu instid0(VALU_DEP_2) | instskip(SKIP_1) | instid1(VALU_DEP_3)
	v_lshlrev_b32_e32 v7, 20, v8
	v_lshl_add_u32 v5, v5, 23, 0x3c000000
	v_and_b32_e32 v6, 0x80000000, v6
	s_delay_alu instid0(VALU_DEP_1)
	v_or3_b32 v6, v7, v6, v5
	v_mov_b32_e32 v5, v9
	scratch_store_b64 off, v[5:6], s32 offset:516 ; 8-byte Folded Spill
.LBB270_2232:                           ;   in Loop: Header=BB270_2089 Depth=1
	s_or_b32 exec_lo, exec_lo, s2
.LBB270_2233:                           ;   in Loop: Header=BB270_2089 Depth=1
	s_delay_alu instid0(SALU_CYCLE_1)
	s_or_b32 exec_lo, exec_lo, s1
.LBB270_2234:                           ;   in Loop: Header=BB270_2089 Depth=1
	s_delay_alu instid0(SALU_CYCLE_1)
	s_or_b32 exec_lo, exec_lo, s0
	v_lshrrev_b32_e32 v5, 16, v4
	v_mov_b32_e32 v7, 0
	v_mov_b32_e32 v8, 0
	s_mov_b32 s0, exec_lo
	s_clause 0x1
	scratch_store_b64 off, v[7:8], s32 offset:532
	scratch_store_b64 off, v[7:8], s32 offset:524
	v_and_b32_e32 v6, 0xff, v5
	s_delay_alu instid0(VALU_DEP_1)
	v_cmpx_ne_u16_e32 0, v6
	s_cbranch_execz .LBB270_2242
; %bb.2235:                             ;   in Loop: Header=BB270_2089 Depth=1
	v_bfrev_b32_e32 v7, 1
	v_mov_b32_e32 v8, 0
	s_mov_b32 s1, exec_lo
	scratch_store_b64 off, v[7:8], s32 offset:524 ; 8-byte Folded Spill
	v_cmpx_ne_u16_e32 0x80, v6
	s_cbranch_execz .LBB270_2241
; %bb.2236:                             ;   in Loop: Header=BB270_2089 Depth=1
	v_mov_b32_e32 v10, 0x7f800001
	v_bfe_u32 v7, v4, 16, 7
	v_mov_b32_e32 v11, 0
	s_mov_b32 s2, exec_lo
	scratch_store_b64 off, v[10:11], s32 offset:524 ; 8-byte Folded Spill
	v_cmpx_ne_u32_e32 0x7f, v7
	s_cbranch_execz .LBB270_2240
; %bb.2237:                             ;   in Loop: Header=BB270_2089 Depth=1
	v_and_b32_e32 v8, 7, v5
	v_lshrrev_b32_e32 v6, 3, v7
	s_mov_b32 s3, exec_lo
	v_cmpx_gt_u32_e32 8, v7
; %bb.2238:                             ;   in Loop: Header=BB270_2089 Depth=1
	s_delay_alu instid0(VALU_DEP_3) | instskip(NEXT) | instid1(VALU_DEP_1)
	v_clz_i32_u32_e32 v6, v8
	v_min_u32_e32 v6, 32, v6
	s_delay_alu instid0(VALU_DEP_1) | instskip(SKIP_1) | instid1(VALU_DEP_2)
	v_subrev_nc_u32_e32 v7, 28, v6
	v_sub_nc_u32_e32 v6, 29, v6
	v_lshlrev_b64 v[7:8], v7, v[8:9]
	s_delay_alu instid0(VALU_DEP_1)
	v_and_b32_e32 v8, 7, v7
; %bb.2239:                             ;   in Loop: Header=BB270_2089 Depth=1
	s_or_b32 exec_lo, exec_lo, s3
	v_lshlrev_b32_e32 v5, 24, v5
	s_delay_alu instid0(VALU_DEP_2) | instskip(SKIP_1) | instid1(VALU_DEP_3)
	v_lshlrev_b32_e32 v7, 20, v8
	v_lshl_add_u32 v6, v6, 23, 0x3c000000
	v_and_b32_e32 v5, 0x80000000, v5
	s_delay_alu instid0(VALU_DEP_1)
	v_or3_b32 v8, v7, v5, v6
	scratch_store_b64 off, v[8:9], s32 offset:524 ; 8-byte Folded Spill
.LBB270_2240:                           ;   in Loop: Header=BB270_2089 Depth=1
	s_or_b32 exec_lo, exec_lo, s2
.LBB270_2241:                           ;   in Loop: Header=BB270_2089 Depth=1
	s_delay_alu instid0(SALU_CYCLE_1)
	s_or_b32 exec_lo, exec_lo, s1
.LBB270_2242:                           ;   in Loop: Header=BB270_2089 Depth=1
	s_delay_alu instid0(SALU_CYCLE_1) | instskip(NEXT) | instid1(SALU_CYCLE_1)
	s_or_b32 exec_lo, exec_lo, s0
	s_mov_b32 s0, exec_lo
	v_cmpx_lt_u32_e32 0xffffff, v4
	s_cbranch_execz .LBB270_2250
; %bb.2243:                             ;   in Loop: Header=BB270_2089 Depth=1
	v_lshrrev_b32_e32 v5, 24, v4
	v_dual_mov_b32 v6, s10 :: v_dual_mov_b32 v7, s11
	s_mov_b32 s1, exec_lo
	scratch_store_b64 off, v[6:7], s32 offset:532 ; 8-byte Folded Spill
	v_cmpx_ne_u32_e32 0x80, v5
	s_cbranch_execz .LBB270_2249
; %bb.2244:                             ;   in Loop: Header=BB270_2089 Depth=1
	s_mov_b32 s12, s10
	v_bfe_u32 v6, v4, 24, 7
	v_dual_mov_b32 v7, s12 :: v_dual_mov_b32 v8, s13
	s_mov_b32 s2, exec_lo
	scratch_store_b64 off, v[7:8], s32 offset:532 ; 8-byte Folded Spill
	v_cmpx_ne_u32_e32 0x7f, v6
	s_cbranch_execz .LBB270_2248
; %bb.2245:                             ;   in Loop: Header=BB270_2089 Depth=1
	v_and_b32_e32 v8, 7, v5
	v_lshrrev_b32_e32 v4, 3, v6
	s_mov_b32 s3, exec_lo
	v_cmpx_gt_u32_e32 8, v6
; %bb.2246:                             ;   in Loop: Header=BB270_2089 Depth=1
	s_delay_alu instid0(VALU_DEP_3) | instskip(NEXT) | instid1(VALU_DEP_1)
	v_clz_i32_u32_e32 v4, v8
	v_min_u32_e32 v4, 32, v4
	s_delay_alu instid0(VALU_DEP_1) | instskip(SKIP_1) | instid1(VALU_DEP_2)
	v_subrev_nc_u32_e32 v6, 28, v4
	v_sub_nc_u32_e32 v4, 29, v4
	v_lshlrev_b64 v[6:7], v6, v[8:9]
	s_delay_alu instid0(VALU_DEP_1)
	v_and_b32_e32 v8, 7, v6
; %bb.2247:                             ;   in Loop: Header=BB270_2089 Depth=1
	s_or_b32 exec_lo, exec_lo, s3
	v_lshlrev_b32_e32 v5, 24, v5
	s_delay_alu instid0(VALU_DEP_2) | instskip(SKIP_1) | instid1(VALU_DEP_3)
	v_lshlrev_b32_e32 v6, 20, v8
	v_lshl_add_u32 v4, v4, 23, 0x3c000000
	v_and_b32_e32 v5, 0x80000000, v5
	s_delay_alu instid0(VALU_DEP_1)
	v_or3_b32 v5, v6, v5, v4
	v_mov_b32_e32 v4, v9
	scratch_store_b64 off, v[4:5], s32 offset:532 ; 8-byte Folded Spill
.LBB270_2248:                           ;   in Loop: Header=BB270_2089 Depth=1
	s_or_b32 exec_lo, exec_lo, s2
.LBB270_2249:                           ;   in Loop: Header=BB270_2089 Depth=1
	s_delay_alu instid0(SALU_CYCLE_1)
	s_or_b32 exec_lo, exec_lo, s1
.LBB270_2250:                           ;   in Loop: Header=BB270_2089 Depth=1
	s_delay_alu instid0(SALU_CYCLE_1)
	s_or_b32 exec_lo, exec_lo, s0
	flat_load_b32 v4, v[50:51] offset:640
	v_mov_b32_e32 v6, 0
	v_mov_b32_e32 v7, 0
	s_mov_b32 s0, exec_lo
	s_clause 0x1
	scratch_store_b64 off, v[6:7], s32 offset:548
	scratch_store_b64 off, v[6:7], s32 offset:540
	s_waitcnt vmcnt(0) lgkmcnt(0)
	v_and_b32_e32 v5, 0xff, v4
	s_delay_alu instid0(VALU_DEP_1)
	v_cmpx_ne_u16_e32 0, v5
	s_cbranch_execz .LBB270_2258
; %bb.2251:                             ;   in Loop: Header=BB270_2089 Depth=1
	v_bfrev_b32_e32 v6, 1
	v_mov_b32_e32 v7, 0
	s_mov_b32 s1, exec_lo
	scratch_store_b64 off, v[6:7], s32 offset:540 ; 8-byte Folded Spill
	v_cmpx_ne_u16_e32 0x80, v5
	s_cbranch_execz .LBB270_2257
; %bb.2252:                             ;   in Loop: Header=BB270_2089 Depth=1
	v_mov_b32_e32 v7, 0x7f800001
	v_and_b32_e32 v6, 0x7f, v4
	v_mov_b32_e32 v8, 0
	s_mov_b32 s2, exec_lo
	scratch_store_b64 off, v[7:8], s32 offset:540 ; 8-byte Folded Spill
	v_cmpx_ne_u32_e32 0x7f, v6
	s_cbranch_execz .LBB270_2256
; %bb.2253:                             ;   in Loop: Header=BB270_2089 Depth=1
	v_and_b32_e32 v8, 7, v4
	v_lshrrev_b32_e32 v5, 3, v6
	s_mov_b32 s3, exec_lo
	v_cmpx_gt_u32_e32 8, v6
; %bb.2254:                             ;   in Loop: Header=BB270_2089 Depth=1
	s_delay_alu instid0(VALU_DEP_3) | instskip(NEXT) | instid1(VALU_DEP_1)
	v_clz_i32_u32_e32 v5, v8
	v_min_u32_e32 v5, 32, v5
	s_delay_alu instid0(VALU_DEP_1) | instskip(SKIP_1) | instid1(VALU_DEP_2)
	v_subrev_nc_u32_e32 v6, 28, v5
	v_sub_nc_u32_e32 v5, 29, v5
	v_lshlrev_b64 v[6:7], v6, v[8:9]
	s_delay_alu instid0(VALU_DEP_1)
	v_and_b32_e32 v8, 7, v6
; %bb.2255:                             ;   in Loop: Header=BB270_2089 Depth=1
	s_or_b32 exec_lo, exec_lo, s3
	v_lshlrev_b32_e32 v6, 24, v4
	s_delay_alu instid0(VALU_DEP_2) | instskip(SKIP_1) | instid1(VALU_DEP_3)
	v_lshlrev_b32_e32 v7, 20, v8
	v_lshl_add_u32 v5, v5, 23, 0x3c000000
	v_and_b32_e32 v6, 0x80000000, v6
	s_delay_alu instid0(VALU_DEP_1)
	v_or3_b32 v8, v7, v6, v5
	scratch_store_b64 off, v[8:9], s32 offset:540 ; 8-byte Folded Spill
.LBB270_2256:                           ;   in Loop: Header=BB270_2089 Depth=1
	s_or_b32 exec_lo, exec_lo, s2
.LBB270_2257:                           ;   in Loop: Header=BB270_2089 Depth=1
	s_delay_alu instid0(SALU_CYCLE_1)
	s_or_b32 exec_lo, exec_lo, s1
.LBB270_2258:                           ;   in Loop: Header=BB270_2089 Depth=1
	s_delay_alu instid0(SALU_CYCLE_1) | instskip(SKIP_2) | instid1(VALU_DEP_1)
	s_or_b32 exec_lo, exec_lo, s0
	v_lshrrev_b16 v5, 8, v4
	s_mov_b32 s0, exec_lo
	v_cmpx_ne_u16_e32 0, v5
	s_cbranch_execz .LBB270_2266
; %bb.2259:                             ;   in Loop: Header=BB270_2089 Depth=1
	v_dual_mov_b32 v6, s10 :: v_dual_mov_b32 v7, s11
	s_mov_b32 s1, exec_lo
	scratch_store_b64 off, v[6:7], s32 offset:548 ; 8-byte Folded Spill
	v_cmpx_ne_u16_e32 0x80, v5
	s_cbranch_execz .LBB270_2265
; %bb.2260:                             ;   in Loop: Header=BB270_2089 Depth=1
	s_mov_b32 s12, s10
	v_and_b32_e32 v5, 0xffff, v5
	v_dual_mov_b32 v7, s12 :: v_dual_mov_b32 v8, s13
	s_mov_b32 s2, exec_lo
	s_delay_alu instid0(VALU_DEP_2)
	v_and_b32_e32 v6, 0x7f, v5
	scratch_store_b64 off, v[7:8], s32 offset:548 ; 8-byte Folded Spill
	v_cmpx_ne_u32_e32 0x7f, v6
	s_cbranch_execz .LBB270_2264
; %bb.2261:                             ;   in Loop: Header=BB270_2089 Depth=1
	v_and_b32_e32 v8, 7, v5
	v_lshrrev_b32_e32 v5, 3, v6
	s_mov_b32 s3, exec_lo
	v_cmpx_gt_u32_e32 8, v6
; %bb.2262:                             ;   in Loop: Header=BB270_2089 Depth=1
	s_delay_alu instid0(VALU_DEP_3) | instskip(NEXT) | instid1(VALU_DEP_1)
	v_clz_i32_u32_e32 v5, v8
	v_min_u32_e32 v5, 32, v5
	s_delay_alu instid0(VALU_DEP_1) | instskip(SKIP_1) | instid1(VALU_DEP_2)
	v_subrev_nc_u32_e32 v6, 28, v5
	v_sub_nc_u32_e32 v5, 29, v5
	v_lshlrev_b64 v[6:7], v6, v[8:9]
	s_delay_alu instid0(VALU_DEP_1)
	v_and_b32_e32 v8, 7, v6
; %bb.2263:                             ;   in Loop: Header=BB270_2089 Depth=1
	s_or_b32 exec_lo, exec_lo, s3
	v_lshlrev_b32_e32 v6, 16, v4
	s_delay_alu instid0(VALU_DEP_2) | instskip(SKIP_1) | instid1(VALU_DEP_3)
	v_lshlrev_b32_e32 v7, 20, v8
	v_lshl_add_u32 v5, v5, 23, 0x3c000000
	v_and_b32_e32 v6, 0x80000000, v6
	s_delay_alu instid0(VALU_DEP_1)
	v_or3_b32 v6, v7, v6, v5
	v_mov_b32_e32 v5, v9
	scratch_store_b64 off, v[5:6], s32 offset:548 ; 8-byte Folded Spill
.LBB270_2264:                           ;   in Loop: Header=BB270_2089 Depth=1
	s_or_b32 exec_lo, exec_lo, s2
.LBB270_2265:                           ;   in Loop: Header=BB270_2089 Depth=1
	s_delay_alu instid0(SALU_CYCLE_1)
	s_or_b32 exec_lo, exec_lo, s1
.LBB270_2266:                           ;   in Loop: Header=BB270_2089 Depth=1
	s_delay_alu instid0(SALU_CYCLE_1)
	s_or_b32 exec_lo, exec_lo, s0
	v_lshrrev_b32_e32 v5, 16, v4
	v_mov_b32_e32 v7, 0
	v_mov_b32_e32 v8, 0
	s_mov_b32 s0, exec_lo
	s_clause 0x1
	scratch_store_b64 off, v[7:8], s32 offset:564
	scratch_store_b64 off, v[7:8], s32 offset:556
	v_and_b32_e32 v6, 0xff, v5
	s_delay_alu instid0(VALU_DEP_1)
	v_cmpx_ne_u16_e32 0, v6
	s_cbranch_execz .LBB270_2274
; %bb.2267:                             ;   in Loop: Header=BB270_2089 Depth=1
	v_bfrev_b32_e32 v7, 1
	v_mov_b32_e32 v8, 0
	s_mov_b32 s1, exec_lo
	scratch_store_b64 off, v[7:8], s32 offset:556 ; 8-byte Folded Spill
	v_cmpx_ne_u16_e32 0x80, v6
	s_cbranch_execz .LBB270_2273
; %bb.2268:                             ;   in Loop: Header=BB270_2089 Depth=1
	v_mov_b32_e32 v10, 0x7f800001
	v_bfe_u32 v7, v4, 16, 7
	v_mov_b32_e32 v11, 0
	s_mov_b32 s2, exec_lo
	scratch_store_b64 off, v[10:11], s32 offset:556 ; 8-byte Folded Spill
	v_cmpx_ne_u32_e32 0x7f, v7
	s_cbranch_execz .LBB270_2272
; %bb.2269:                             ;   in Loop: Header=BB270_2089 Depth=1
	v_and_b32_e32 v8, 7, v5
	v_lshrrev_b32_e32 v6, 3, v7
	s_mov_b32 s3, exec_lo
	v_cmpx_gt_u32_e32 8, v7
; %bb.2270:                             ;   in Loop: Header=BB270_2089 Depth=1
	s_delay_alu instid0(VALU_DEP_3) | instskip(NEXT) | instid1(VALU_DEP_1)
	v_clz_i32_u32_e32 v6, v8
	v_min_u32_e32 v6, 32, v6
	s_delay_alu instid0(VALU_DEP_1) | instskip(SKIP_1) | instid1(VALU_DEP_2)
	v_subrev_nc_u32_e32 v7, 28, v6
	v_sub_nc_u32_e32 v6, 29, v6
	v_lshlrev_b64 v[7:8], v7, v[8:9]
	s_delay_alu instid0(VALU_DEP_1)
	v_and_b32_e32 v8, 7, v7
; %bb.2271:                             ;   in Loop: Header=BB270_2089 Depth=1
	s_or_b32 exec_lo, exec_lo, s3
	v_lshlrev_b32_e32 v5, 24, v5
	s_delay_alu instid0(VALU_DEP_2) | instskip(SKIP_1) | instid1(VALU_DEP_3)
	v_lshlrev_b32_e32 v7, 20, v8
	v_lshl_add_u32 v6, v6, 23, 0x3c000000
	v_and_b32_e32 v5, 0x80000000, v5
	s_delay_alu instid0(VALU_DEP_1)
	v_or3_b32 v8, v7, v5, v6
	scratch_store_b64 off, v[8:9], s32 offset:556 ; 8-byte Folded Spill
.LBB270_2272:                           ;   in Loop: Header=BB270_2089 Depth=1
	s_or_b32 exec_lo, exec_lo, s2
.LBB270_2273:                           ;   in Loop: Header=BB270_2089 Depth=1
	s_delay_alu instid0(SALU_CYCLE_1)
	s_or_b32 exec_lo, exec_lo, s1
.LBB270_2274:                           ;   in Loop: Header=BB270_2089 Depth=1
	s_delay_alu instid0(SALU_CYCLE_1) | instskip(NEXT) | instid1(SALU_CYCLE_1)
	s_or_b32 exec_lo, exec_lo, s0
	s_mov_b32 s0, exec_lo
	v_cmpx_lt_u32_e32 0xffffff, v4
	s_cbranch_execz .LBB270_2282
; %bb.2275:                             ;   in Loop: Header=BB270_2089 Depth=1
	v_lshrrev_b32_e32 v5, 24, v4
	v_dual_mov_b32 v6, s10 :: v_dual_mov_b32 v7, s11
	s_mov_b32 s1, exec_lo
	scratch_store_b64 off, v[6:7], s32 offset:564 ; 8-byte Folded Spill
	v_cmpx_ne_u32_e32 0x80, v5
	s_cbranch_execz .LBB270_2281
; %bb.2276:                             ;   in Loop: Header=BB270_2089 Depth=1
	s_mov_b32 s12, s10
	v_bfe_u32 v6, v4, 24, 7
	v_dual_mov_b32 v7, s12 :: v_dual_mov_b32 v8, s13
	s_mov_b32 s2, exec_lo
	scratch_store_b64 off, v[7:8], s32 offset:564 ; 8-byte Folded Spill
	v_cmpx_ne_u32_e32 0x7f, v6
	s_cbranch_execz .LBB270_2280
; %bb.2277:                             ;   in Loop: Header=BB270_2089 Depth=1
	v_and_b32_e32 v8, 7, v5
	v_lshrrev_b32_e32 v4, 3, v6
	s_mov_b32 s3, exec_lo
	v_cmpx_gt_u32_e32 8, v6
; %bb.2278:                             ;   in Loop: Header=BB270_2089 Depth=1
	s_delay_alu instid0(VALU_DEP_3) | instskip(NEXT) | instid1(VALU_DEP_1)
	v_clz_i32_u32_e32 v4, v8
	v_min_u32_e32 v4, 32, v4
	s_delay_alu instid0(VALU_DEP_1) | instskip(SKIP_1) | instid1(VALU_DEP_2)
	v_subrev_nc_u32_e32 v6, 28, v4
	v_sub_nc_u32_e32 v4, 29, v4
	v_lshlrev_b64 v[6:7], v6, v[8:9]
	s_delay_alu instid0(VALU_DEP_1)
	v_and_b32_e32 v8, 7, v6
; %bb.2279:                             ;   in Loop: Header=BB270_2089 Depth=1
	s_or_b32 exec_lo, exec_lo, s3
	v_lshlrev_b32_e32 v5, 24, v5
	s_delay_alu instid0(VALU_DEP_2) | instskip(SKIP_1) | instid1(VALU_DEP_3)
	v_lshlrev_b32_e32 v6, 20, v8
	v_lshl_add_u32 v4, v4, 23, 0x3c000000
	v_and_b32_e32 v5, 0x80000000, v5
	s_delay_alu instid0(VALU_DEP_1)
	v_or3_b32 v5, v6, v5, v4
	v_mov_b32_e32 v4, v9
	scratch_store_b64 off, v[4:5], s32 offset:564 ; 8-byte Folded Spill
.LBB270_2280:                           ;   in Loop: Header=BB270_2089 Depth=1
	s_or_b32 exec_lo, exec_lo, s2
.LBB270_2281:                           ;   in Loop: Header=BB270_2089 Depth=1
	s_delay_alu instid0(SALU_CYCLE_1)
	s_or_b32 exec_lo, exec_lo, s1
.LBB270_2282:                           ;   in Loop: Header=BB270_2089 Depth=1
	s_delay_alu instid0(SALU_CYCLE_1)
	s_or_b32 exec_lo, exec_lo, s0
	flat_load_b32 v4, v[50:51] offset:768
	v_mov_b32_e32 v6, 0
	v_mov_b32_e32 v7, 0
	s_mov_b32 s0, exec_lo
	s_clause 0x1
	scratch_store_b64 off, v[6:7], s32 offset:580
	scratch_store_b64 off, v[6:7], s32 offset:572
	s_waitcnt vmcnt(0) lgkmcnt(0)
	v_and_b32_e32 v5, 0xff, v4
	s_delay_alu instid0(VALU_DEP_1)
	v_cmpx_ne_u16_e32 0, v5
	s_cbranch_execz .LBB270_2290
; %bb.2283:                             ;   in Loop: Header=BB270_2089 Depth=1
	v_bfrev_b32_e32 v6, 1
	v_mov_b32_e32 v7, 0
	s_mov_b32 s1, exec_lo
	scratch_store_b64 off, v[6:7], s32 offset:572 ; 8-byte Folded Spill
	v_cmpx_ne_u16_e32 0x80, v5
	s_cbranch_execz .LBB270_2289
; %bb.2284:                             ;   in Loop: Header=BB270_2089 Depth=1
	v_mov_b32_e32 v7, 0x7f800001
	v_and_b32_e32 v6, 0x7f, v4
	v_mov_b32_e32 v8, 0
	s_mov_b32 s2, exec_lo
	scratch_store_b64 off, v[7:8], s32 offset:572 ; 8-byte Folded Spill
	v_cmpx_ne_u32_e32 0x7f, v6
	s_cbranch_execz .LBB270_2288
; %bb.2285:                             ;   in Loop: Header=BB270_2089 Depth=1
	v_and_b32_e32 v8, 7, v4
	v_lshrrev_b32_e32 v5, 3, v6
	s_mov_b32 s3, exec_lo
	v_cmpx_gt_u32_e32 8, v6
; %bb.2286:                             ;   in Loop: Header=BB270_2089 Depth=1
	s_delay_alu instid0(VALU_DEP_3) | instskip(NEXT) | instid1(VALU_DEP_1)
	v_clz_i32_u32_e32 v5, v8
	v_min_u32_e32 v5, 32, v5
	s_delay_alu instid0(VALU_DEP_1) | instskip(SKIP_1) | instid1(VALU_DEP_2)
	v_subrev_nc_u32_e32 v6, 28, v5
	v_sub_nc_u32_e32 v5, 29, v5
	v_lshlrev_b64 v[6:7], v6, v[8:9]
	s_delay_alu instid0(VALU_DEP_1)
	v_and_b32_e32 v8, 7, v6
; %bb.2287:                             ;   in Loop: Header=BB270_2089 Depth=1
	s_or_b32 exec_lo, exec_lo, s3
	v_lshlrev_b32_e32 v6, 24, v4
	s_delay_alu instid0(VALU_DEP_2) | instskip(SKIP_1) | instid1(VALU_DEP_3)
	v_lshlrev_b32_e32 v7, 20, v8
	v_lshl_add_u32 v5, v5, 23, 0x3c000000
	v_and_b32_e32 v6, 0x80000000, v6
	s_delay_alu instid0(VALU_DEP_1)
	v_or3_b32 v8, v7, v6, v5
	scratch_store_b64 off, v[8:9], s32 offset:572 ; 8-byte Folded Spill
.LBB270_2288:                           ;   in Loop: Header=BB270_2089 Depth=1
	s_or_b32 exec_lo, exec_lo, s2
.LBB270_2289:                           ;   in Loop: Header=BB270_2089 Depth=1
	s_delay_alu instid0(SALU_CYCLE_1)
	s_or_b32 exec_lo, exec_lo, s1
.LBB270_2290:                           ;   in Loop: Header=BB270_2089 Depth=1
	s_delay_alu instid0(SALU_CYCLE_1) | instskip(SKIP_2) | instid1(VALU_DEP_1)
	s_or_b32 exec_lo, exec_lo, s0
	v_lshrrev_b16 v5, 8, v4
	s_mov_b32 s0, exec_lo
	v_cmpx_ne_u16_e32 0, v5
	s_cbranch_execz .LBB270_2298
; %bb.2291:                             ;   in Loop: Header=BB270_2089 Depth=1
	v_dual_mov_b32 v6, s10 :: v_dual_mov_b32 v7, s11
	s_mov_b32 s1, exec_lo
	scratch_store_b64 off, v[6:7], s32 offset:580 ; 8-byte Folded Spill
	v_cmpx_ne_u16_e32 0x80, v5
	s_cbranch_execz .LBB270_2297
; %bb.2292:                             ;   in Loop: Header=BB270_2089 Depth=1
	s_mov_b32 s12, s10
	v_and_b32_e32 v5, 0xffff, v5
	v_dual_mov_b32 v7, s12 :: v_dual_mov_b32 v8, s13
	s_mov_b32 s2, exec_lo
	s_delay_alu instid0(VALU_DEP_2)
	v_and_b32_e32 v6, 0x7f, v5
	scratch_store_b64 off, v[7:8], s32 offset:580 ; 8-byte Folded Spill
	v_cmpx_ne_u32_e32 0x7f, v6
	s_cbranch_execz .LBB270_2296
; %bb.2293:                             ;   in Loop: Header=BB270_2089 Depth=1
	v_and_b32_e32 v8, 7, v5
	v_lshrrev_b32_e32 v5, 3, v6
	s_mov_b32 s3, exec_lo
	v_cmpx_gt_u32_e32 8, v6
; %bb.2294:                             ;   in Loop: Header=BB270_2089 Depth=1
	s_delay_alu instid0(VALU_DEP_3) | instskip(NEXT) | instid1(VALU_DEP_1)
	v_clz_i32_u32_e32 v5, v8
	v_min_u32_e32 v5, 32, v5
	s_delay_alu instid0(VALU_DEP_1) | instskip(SKIP_1) | instid1(VALU_DEP_2)
	v_subrev_nc_u32_e32 v6, 28, v5
	v_sub_nc_u32_e32 v5, 29, v5
	v_lshlrev_b64 v[6:7], v6, v[8:9]
	s_delay_alu instid0(VALU_DEP_1)
	v_and_b32_e32 v8, 7, v6
; %bb.2295:                             ;   in Loop: Header=BB270_2089 Depth=1
	s_or_b32 exec_lo, exec_lo, s3
	v_lshlrev_b32_e32 v6, 16, v4
	s_delay_alu instid0(VALU_DEP_2) | instskip(SKIP_1) | instid1(VALU_DEP_3)
	v_lshlrev_b32_e32 v7, 20, v8
	v_lshl_add_u32 v5, v5, 23, 0x3c000000
	v_and_b32_e32 v6, 0x80000000, v6
	s_delay_alu instid0(VALU_DEP_1)
	v_or3_b32 v6, v7, v6, v5
	v_mov_b32_e32 v5, v9
	scratch_store_b64 off, v[5:6], s32 offset:580 ; 8-byte Folded Spill
.LBB270_2296:                           ;   in Loop: Header=BB270_2089 Depth=1
	s_or_b32 exec_lo, exec_lo, s2
.LBB270_2297:                           ;   in Loop: Header=BB270_2089 Depth=1
	s_delay_alu instid0(SALU_CYCLE_1)
	s_or_b32 exec_lo, exec_lo, s1
.LBB270_2298:                           ;   in Loop: Header=BB270_2089 Depth=1
	s_delay_alu instid0(SALU_CYCLE_1)
	s_or_b32 exec_lo, exec_lo, s0
	v_lshrrev_b32_e32 v5, 16, v4
	v_mov_b32_e32 v7, 0
	v_mov_b32_e32 v8, 0
	s_mov_b32 s0, exec_lo
	s_clause 0x1
	scratch_store_b64 off, v[7:8], s32 offset:588
	scratch_store_b64 off, v[7:8], s32 offset:596
	v_and_b32_e32 v6, 0xff, v5
	s_delay_alu instid0(VALU_DEP_1)
	v_cmpx_ne_u16_e32 0, v6
	s_cbranch_execz .LBB270_2306
; %bb.2299:                             ;   in Loop: Header=BB270_2089 Depth=1
	v_cmp_ne_u16_e32 vcc_lo, 0x80, v6
	v_bfrev_b32_e32 v6, 1
	v_mov_b32_e32 v7, 0
	scratch_store_b64 off, v[6:7], s32 offset:596 ; 8-byte Folded Spill
	s_and_saveexec_b32 s1, vcc_lo
	s_cbranch_execz .LBB270_2305
; %bb.2300:                             ;   in Loop: Header=BB270_2089 Depth=1
	v_mov_b32_e32 v10, 0x7f800001
	v_bfe_u32 v7, v4, 16, 7
	v_mov_b32_e32 v11, 0
	s_mov_b32 s2, exec_lo
	scratch_store_b64 off, v[10:11], s32 offset:596 ; 8-byte Folded Spill
	v_cmpx_ne_u32_e32 0x7f, v7
	s_cbranch_execz .LBB270_2304
; %bb.2301:                             ;   in Loop: Header=BB270_2089 Depth=1
	v_and_b32_e32 v8, 7, v5
	v_lshrrev_b32_e32 v6, 3, v7
	s_mov_b32 s3, exec_lo
	v_cmpx_gt_u32_e32 8, v7
; %bb.2302:                             ;   in Loop: Header=BB270_2089 Depth=1
	s_delay_alu instid0(VALU_DEP_3) | instskip(NEXT) | instid1(VALU_DEP_1)
	v_clz_i32_u32_e32 v6, v8
	v_min_u32_e32 v6, 32, v6
	s_delay_alu instid0(VALU_DEP_1) | instskip(SKIP_1) | instid1(VALU_DEP_2)
	v_subrev_nc_u32_e32 v7, 28, v6
	v_sub_nc_u32_e32 v6, 29, v6
	v_lshlrev_b64 v[7:8], v7, v[8:9]
	s_delay_alu instid0(VALU_DEP_1)
	v_and_b32_e32 v8, 7, v7
; %bb.2303:                             ;   in Loop: Header=BB270_2089 Depth=1
	s_or_b32 exec_lo, exec_lo, s3
	v_lshlrev_b32_e32 v5, 24, v5
	s_delay_alu instid0(VALU_DEP_2) | instskip(SKIP_1) | instid1(VALU_DEP_3)
	v_lshlrev_b32_e32 v7, 20, v8
	v_lshl_add_u32 v6, v6, 23, 0x3c000000
	v_and_b32_e32 v5, 0x80000000, v5
	s_delay_alu instid0(VALU_DEP_1)
	v_or3_b32 v8, v7, v5, v6
	scratch_store_b64 off, v[8:9], s32 offset:596 ; 8-byte Folded Spill
.LBB270_2304:                           ;   in Loop: Header=BB270_2089 Depth=1
	s_or_b32 exec_lo, exec_lo, s2
.LBB270_2305:                           ;   in Loop: Header=BB270_2089 Depth=1
	s_delay_alu instid0(SALU_CYCLE_1)
	s_or_b32 exec_lo, exec_lo, s1
.LBB270_2306:                           ;   in Loop: Header=BB270_2089 Depth=1
	s_delay_alu instid0(SALU_CYCLE_1) | instskip(NEXT) | instid1(SALU_CYCLE_1)
	s_or_b32 exec_lo, exec_lo, s0
	s_mov_b32 s0, exec_lo
	v_cmpx_lt_u32_e32 0xffffff, v4
	s_cbranch_execz .LBB270_2314
; %bb.2307:                             ;   in Loop: Header=BB270_2089 Depth=1
	v_lshrrev_b32_e32 v5, 24, v4
	v_dual_mov_b32 v6, s10 :: v_dual_mov_b32 v7, s11
	s_mov_b32 s1, exec_lo
	scratch_store_b64 off, v[6:7], s32 offset:588 ; 8-byte Folded Spill
	v_cmpx_ne_u32_e32 0x80, v5
	s_cbranch_execz .LBB270_2313
; %bb.2308:                             ;   in Loop: Header=BB270_2089 Depth=1
	s_mov_b32 s12, s10
	v_bfe_u32 v6, v4, 24, 7
	v_dual_mov_b32 v7, s12 :: v_dual_mov_b32 v8, s13
	s_mov_b32 s2, exec_lo
	scratch_store_b64 off, v[7:8], s32 offset:588 ; 8-byte Folded Spill
	v_cmpx_ne_u32_e32 0x7f, v6
	s_cbranch_execz .LBB270_2312
; %bb.2309:                             ;   in Loop: Header=BB270_2089 Depth=1
	v_and_b32_e32 v8, 7, v5
	v_lshrrev_b32_e32 v4, 3, v6
	s_mov_b32 s3, exec_lo
	v_cmpx_gt_u32_e32 8, v6
; %bb.2310:                             ;   in Loop: Header=BB270_2089 Depth=1
	s_delay_alu instid0(VALU_DEP_3) | instskip(NEXT) | instid1(VALU_DEP_1)
	v_clz_i32_u32_e32 v4, v8
	v_min_u32_e32 v4, 32, v4
	s_delay_alu instid0(VALU_DEP_1) | instskip(SKIP_1) | instid1(VALU_DEP_2)
	v_subrev_nc_u32_e32 v6, 28, v4
	v_sub_nc_u32_e32 v4, 29, v4
	v_lshlrev_b64 v[6:7], v6, v[8:9]
	s_delay_alu instid0(VALU_DEP_1)
	v_and_b32_e32 v8, 7, v6
; %bb.2311:                             ;   in Loop: Header=BB270_2089 Depth=1
	s_or_b32 exec_lo, exec_lo, s3
	v_lshlrev_b32_e32 v5, 24, v5
	s_delay_alu instid0(VALU_DEP_2) | instskip(SKIP_1) | instid1(VALU_DEP_3)
	v_lshlrev_b32_e32 v6, 20, v8
	v_lshl_add_u32 v4, v4, 23, 0x3c000000
	v_and_b32_e32 v5, 0x80000000, v5
	s_delay_alu instid0(VALU_DEP_1)
	v_or3_b32 v5, v6, v5, v4
	v_mov_b32_e32 v4, v9
	scratch_store_b64 off, v[4:5], s32 offset:588 ; 8-byte Folded Spill
.LBB270_2312:                           ;   in Loop: Header=BB270_2089 Depth=1
	s_or_b32 exec_lo, exec_lo, s2
.LBB270_2313:                           ;   in Loop: Header=BB270_2089 Depth=1
	s_delay_alu instid0(SALU_CYCLE_1)
	s_or_b32 exec_lo, exec_lo, s1
.LBB270_2314:                           ;   in Loop: Header=BB270_2089 Depth=1
	s_delay_alu instid0(SALU_CYCLE_1)
	s_or_b32 exec_lo, exec_lo, s0
	flat_load_b32 v4, v[50:51] offset:896
	v_mov_b32_e32 v6, 0
	v_mov_b32_e32 v7, 0
	s_mov_b32 s0, exec_lo
	s_clause 0x1
	scratch_store_b64 off, v[6:7], s32 offset:604
	scratch_store_b64 off, v[6:7], s32 offset:612
	s_waitcnt vmcnt(0) lgkmcnt(0)
	v_and_b32_e32 v5, 0xff, v4
	s_delay_alu instid0(VALU_DEP_1)
	v_cmpx_ne_u16_e32 0, v5
	s_cbranch_execz .LBB270_2322
; %bb.2315:                             ;   in Loop: Header=BB270_2089 Depth=1
	v_cmp_ne_u16_e32 vcc_lo, 0x80, v5
	v_bfrev_b32_e32 v5, 1
	v_mov_b32_e32 v6, 0
	scratch_store_b64 off, v[5:6], s32 offset:612 ; 8-byte Folded Spill
	s_and_saveexec_b32 s1, vcc_lo
	s_cbranch_execz .LBB270_2321
; %bb.2316:                             ;   in Loop: Header=BB270_2089 Depth=1
	v_mov_b32_e32 v7, 0x7f800001
	v_and_b32_e32 v6, 0x7f, v4
	v_mov_b32_e32 v8, 0
	s_mov_b32 s2, exec_lo
	scratch_store_b64 off, v[7:8], s32 offset:612 ; 8-byte Folded Spill
	v_cmpx_ne_u32_e32 0x7f, v6
	s_cbranch_execz .LBB270_2320
; %bb.2317:                             ;   in Loop: Header=BB270_2089 Depth=1
	v_and_b32_e32 v8, 7, v4
	v_lshrrev_b32_e32 v5, 3, v6
	s_mov_b32 s3, exec_lo
	v_cmpx_gt_u32_e32 8, v6
; %bb.2318:                             ;   in Loop: Header=BB270_2089 Depth=1
	s_delay_alu instid0(VALU_DEP_3) | instskip(NEXT) | instid1(VALU_DEP_1)
	v_clz_i32_u32_e32 v5, v8
	v_min_u32_e32 v5, 32, v5
	s_delay_alu instid0(VALU_DEP_1) | instskip(SKIP_1) | instid1(VALU_DEP_2)
	v_subrev_nc_u32_e32 v6, 28, v5
	v_sub_nc_u32_e32 v5, 29, v5
	v_lshlrev_b64 v[6:7], v6, v[8:9]
	s_delay_alu instid0(VALU_DEP_1)
	v_and_b32_e32 v8, 7, v6
; %bb.2319:                             ;   in Loop: Header=BB270_2089 Depth=1
	s_or_b32 exec_lo, exec_lo, s3
	v_lshlrev_b32_e32 v6, 24, v4
	s_delay_alu instid0(VALU_DEP_2) | instskip(SKIP_1) | instid1(VALU_DEP_3)
	v_lshlrev_b32_e32 v7, 20, v8
	v_lshl_add_u32 v5, v5, 23, 0x3c000000
	v_and_b32_e32 v6, 0x80000000, v6
	s_delay_alu instid0(VALU_DEP_1)
	v_or3_b32 v8, v7, v6, v5
	scratch_store_b64 off, v[8:9], s32 offset:612 ; 8-byte Folded Spill
.LBB270_2320:                           ;   in Loop: Header=BB270_2089 Depth=1
	s_or_b32 exec_lo, exec_lo, s2
.LBB270_2321:                           ;   in Loop: Header=BB270_2089 Depth=1
	s_delay_alu instid0(SALU_CYCLE_1)
	s_or_b32 exec_lo, exec_lo, s1
.LBB270_2322:                           ;   in Loop: Header=BB270_2089 Depth=1
	s_delay_alu instid0(SALU_CYCLE_1) | instskip(SKIP_2) | instid1(VALU_DEP_1)
	s_or_b32 exec_lo, exec_lo, s0
	v_lshrrev_b16 v5, 8, v4
	s_mov_b32 s0, exec_lo
	v_cmpx_ne_u16_e32 0, v5
	s_cbranch_execz .LBB270_2330
; %bb.2323:                             ;   in Loop: Header=BB270_2089 Depth=1
	v_dual_mov_b32 v6, s10 :: v_dual_mov_b32 v7, s11
	s_mov_b32 s1, exec_lo
	scratch_store_b64 off, v[6:7], s32 offset:604 ; 8-byte Folded Spill
	v_cmpx_ne_u16_e32 0x80, v5
	s_cbranch_execz .LBB270_2329
; %bb.2324:                             ;   in Loop: Header=BB270_2089 Depth=1
	s_mov_b32 s12, s10
	v_and_b32_e32 v5, 0xffff, v5
	v_dual_mov_b32 v7, s12 :: v_dual_mov_b32 v8, s13
	s_mov_b32 s2, exec_lo
	s_delay_alu instid0(VALU_DEP_2)
	v_and_b32_e32 v6, 0x7f, v5
	scratch_store_b64 off, v[7:8], s32 offset:604 ; 8-byte Folded Spill
	v_cmpx_ne_u32_e32 0x7f, v6
	s_cbranch_execz .LBB270_2328
; %bb.2325:                             ;   in Loop: Header=BB270_2089 Depth=1
	v_and_b32_e32 v8, 7, v5
	v_lshrrev_b32_e32 v5, 3, v6
	s_mov_b32 s3, exec_lo
	v_cmpx_gt_u32_e32 8, v6
; %bb.2326:                             ;   in Loop: Header=BB270_2089 Depth=1
	s_delay_alu instid0(VALU_DEP_3) | instskip(NEXT) | instid1(VALU_DEP_1)
	v_clz_i32_u32_e32 v5, v8
	v_min_u32_e32 v5, 32, v5
	s_delay_alu instid0(VALU_DEP_1) | instskip(SKIP_1) | instid1(VALU_DEP_2)
	v_subrev_nc_u32_e32 v6, 28, v5
	v_sub_nc_u32_e32 v5, 29, v5
	v_lshlrev_b64 v[6:7], v6, v[8:9]
	s_delay_alu instid0(VALU_DEP_1)
	v_and_b32_e32 v8, 7, v6
; %bb.2327:                             ;   in Loop: Header=BB270_2089 Depth=1
	s_or_b32 exec_lo, exec_lo, s3
	v_lshlrev_b32_e32 v6, 16, v4
	s_delay_alu instid0(VALU_DEP_2) | instskip(SKIP_1) | instid1(VALU_DEP_3)
	v_lshlrev_b32_e32 v7, 20, v8
	v_lshl_add_u32 v5, v5, 23, 0x3c000000
	v_and_b32_e32 v6, 0x80000000, v6
	s_delay_alu instid0(VALU_DEP_1)
	v_or3_b32 v6, v7, v6, v5
	v_mov_b32_e32 v5, v9
	scratch_store_b64 off, v[5:6], s32 offset:604 ; 8-byte Folded Spill
.LBB270_2328:                           ;   in Loop: Header=BB270_2089 Depth=1
	s_or_b32 exec_lo, exec_lo, s2
.LBB270_2329:                           ;   in Loop: Header=BB270_2089 Depth=1
	s_delay_alu instid0(SALU_CYCLE_1)
	s_or_b32 exec_lo, exec_lo, s1
.LBB270_2330:                           ;   in Loop: Header=BB270_2089 Depth=1
	s_delay_alu instid0(SALU_CYCLE_1)
	s_or_b32 exec_lo, exec_lo, s0
	v_lshrrev_b32_e32 v5, 16, v4
	v_mov_b32_e32 v7, 0
	v_mov_b32_e32 v8, 0
	s_mov_b32 s0, exec_lo
	s_clause 0x1
	scratch_store_b64 off, v[7:8], s32 offset:620
	scratch_store_b64 off, v[7:8], s32 offset:628
	v_and_b32_e32 v6, 0xff, v5
	s_delay_alu instid0(VALU_DEP_1)
	v_cmpx_ne_u16_e32 0, v6
	s_cbranch_execz .LBB270_2338
; %bb.2331:                             ;   in Loop: Header=BB270_2089 Depth=1
	v_cmp_ne_u16_e32 vcc_lo, 0x80, v6
	v_bfrev_b32_e32 v6, 1
	v_mov_b32_e32 v7, 0
	scratch_store_b64 off, v[6:7], s32 offset:628 ; 8-byte Folded Spill
	s_and_saveexec_b32 s1, vcc_lo
	s_cbranch_execz .LBB270_2337
; %bb.2332:                             ;   in Loop: Header=BB270_2089 Depth=1
	v_mov_b32_e32 v10, 0x7f800001
	v_bfe_u32 v7, v4, 16, 7
	v_mov_b32_e32 v11, 0
	s_mov_b32 s2, exec_lo
	scratch_store_b64 off, v[10:11], s32 offset:628 ; 8-byte Folded Spill
	v_cmpx_ne_u32_e32 0x7f, v7
	s_cbranch_execz .LBB270_2336
; %bb.2333:                             ;   in Loop: Header=BB270_2089 Depth=1
	v_and_b32_e32 v8, 7, v5
	v_lshrrev_b32_e32 v6, 3, v7
	s_mov_b32 s3, exec_lo
	v_cmpx_gt_u32_e32 8, v7
; %bb.2334:                             ;   in Loop: Header=BB270_2089 Depth=1
	s_delay_alu instid0(VALU_DEP_3) | instskip(NEXT) | instid1(VALU_DEP_1)
	v_clz_i32_u32_e32 v6, v8
	v_min_u32_e32 v6, 32, v6
	s_delay_alu instid0(VALU_DEP_1) | instskip(SKIP_1) | instid1(VALU_DEP_2)
	v_subrev_nc_u32_e32 v7, 28, v6
	v_sub_nc_u32_e32 v6, 29, v6
	v_lshlrev_b64 v[7:8], v7, v[8:9]
	s_delay_alu instid0(VALU_DEP_1)
	v_and_b32_e32 v8, 7, v7
; %bb.2335:                             ;   in Loop: Header=BB270_2089 Depth=1
	s_or_b32 exec_lo, exec_lo, s3
	v_lshlrev_b32_e32 v5, 24, v5
	s_delay_alu instid0(VALU_DEP_2) | instskip(SKIP_1) | instid1(VALU_DEP_3)
	v_lshlrev_b32_e32 v7, 20, v8
	v_lshl_add_u32 v6, v6, 23, 0x3c000000
	v_and_b32_e32 v5, 0x80000000, v5
	s_delay_alu instid0(VALU_DEP_1)
	v_or3_b32 v8, v7, v5, v6
	scratch_store_b64 off, v[8:9], s32 offset:628 ; 8-byte Folded Spill
.LBB270_2336:                           ;   in Loop: Header=BB270_2089 Depth=1
	s_or_b32 exec_lo, exec_lo, s2
.LBB270_2337:                           ;   in Loop: Header=BB270_2089 Depth=1
	s_delay_alu instid0(SALU_CYCLE_1)
	s_or_b32 exec_lo, exec_lo, s1
.LBB270_2338:                           ;   in Loop: Header=BB270_2089 Depth=1
	s_delay_alu instid0(SALU_CYCLE_1) | instskip(NEXT) | instid1(SALU_CYCLE_1)
	s_or_b32 exec_lo, exec_lo, s0
	s_mov_b32 s0, exec_lo
	v_cmpx_lt_u32_e32 0xffffff, v4
	s_cbranch_execz .LBB270_2346
; %bb.2339:                             ;   in Loop: Header=BB270_2089 Depth=1
	v_lshrrev_b32_e32 v5, 24, v4
	v_dual_mov_b32 v6, s10 :: v_dual_mov_b32 v7, s11
	s_mov_b32 s1, exec_lo
	scratch_store_b64 off, v[6:7], s32 offset:620 ; 8-byte Folded Spill
	v_cmpx_ne_u32_e32 0x80, v5
	s_cbranch_execz .LBB270_2345
; %bb.2340:                             ;   in Loop: Header=BB270_2089 Depth=1
	s_mov_b32 s12, s10
	v_bfe_u32 v6, v4, 24, 7
	v_dual_mov_b32 v7, s12 :: v_dual_mov_b32 v8, s13
	s_mov_b32 s2, exec_lo
	scratch_store_b64 off, v[7:8], s32 offset:620 ; 8-byte Folded Spill
	v_cmpx_ne_u32_e32 0x7f, v6
	s_cbranch_execz .LBB270_2344
; %bb.2341:                             ;   in Loop: Header=BB270_2089 Depth=1
	v_and_b32_e32 v8, 7, v5
	v_lshrrev_b32_e32 v4, 3, v6
	s_mov_b32 s3, exec_lo
	v_cmpx_gt_u32_e32 8, v6
; %bb.2342:                             ;   in Loop: Header=BB270_2089 Depth=1
	s_delay_alu instid0(VALU_DEP_3) | instskip(NEXT) | instid1(VALU_DEP_1)
	v_clz_i32_u32_e32 v4, v8
	v_min_u32_e32 v4, 32, v4
	s_delay_alu instid0(VALU_DEP_1) | instskip(SKIP_1) | instid1(VALU_DEP_2)
	v_subrev_nc_u32_e32 v6, 28, v4
	v_sub_nc_u32_e32 v4, 29, v4
	v_lshlrev_b64 v[6:7], v6, v[8:9]
	s_delay_alu instid0(VALU_DEP_1)
	v_and_b32_e32 v8, 7, v6
; %bb.2343:                             ;   in Loop: Header=BB270_2089 Depth=1
	s_or_b32 exec_lo, exec_lo, s3
	v_lshlrev_b32_e32 v5, 24, v5
	s_delay_alu instid0(VALU_DEP_2) | instskip(SKIP_1) | instid1(VALU_DEP_3)
	v_lshlrev_b32_e32 v6, 20, v8
	v_lshl_add_u32 v4, v4, 23, 0x3c000000
	v_and_b32_e32 v5, 0x80000000, v5
	s_delay_alu instid0(VALU_DEP_1)
	v_or3_b32 v5, v6, v5, v4
	v_mov_b32_e32 v4, v9
	scratch_store_b64 off, v[4:5], s32 offset:620 ; 8-byte Folded Spill
.LBB270_2344:                           ;   in Loop: Header=BB270_2089 Depth=1
	s_or_b32 exec_lo, exec_lo, s2
.LBB270_2345:                           ;   in Loop: Header=BB270_2089 Depth=1
	s_delay_alu instid0(SALU_CYCLE_1)
	s_or_b32 exec_lo, exec_lo, s1
.LBB270_2346:                           ;   in Loop: Header=BB270_2089 Depth=1
	s_delay_alu instid0(SALU_CYCLE_1)
	s_or_b32 exec_lo, exec_lo, s0
	flat_load_b32 v4, v[50:51] offset:1024
	v_mov_b32_e32 v6, 0
	v_mov_b32_e32 v7, 0
	s_mov_b32 s0, exec_lo
	s_clause 0x1
	scratch_store_b64 off, v[6:7], s32 offset:636
	scratch_store_b64 off, v[6:7], s32 offset:644
	s_waitcnt vmcnt(0) lgkmcnt(0)
	v_and_b32_e32 v5, 0xff, v4
	s_delay_alu instid0(VALU_DEP_1)
	v_cmpx_ne_u16_e32 0, v5
	s_cbranch_execz .LBB270_2354
; %bb.2347:                             ;   in Loop: Header=BB270_2089 Depth=1
	v_cmp_ne_u16_e32 vcc_lo, 0x80, v5
	v_bfrev_b32_e32 v5, 1
	v_mov_b32_e32 v6, 0
	scratch_store_b64 off, v[5:6], s32 offset:644 ; 8-byte Folded Spill
	s_and_saveexec_b32 s1, vcc_lo
	s_cbranch_execz .LBB270_2353
; %bb.2348:                             ;   in Loop: Header=BB270_2089 Depth=1
	v_mov_b32_e32 v7, 0x7f800001
	v_and_b32_e32 v6, 0x7f, v4
	v_mov_b32_e32 v8, 0
	s_mov_b32 s2, exec_lo
	scratch_store_b64 off, v[7:8], s32 offset:644 ; 8-byte Folded Spill
	v_cmpx_ne_u32_e32 0x7f, v6
	s_cbranch_execz .LBB270_2352
; %bb.2349:                             ;   in Loop: Header=BB270_2089 Depth=1
	v_and_b32_e32 v8, 7, v4
	v_lshrrev_b32_e32 v5, 3, v6
	s_mov_b32 s3, exec_lo
	v_cmpx_gt_u32_e32 8, v6
; %bb.2350:                             ;   in Loop: Header=BB270_2089 Depth=1
	s_delay_alu instid0(VALU_DEP_3) | instskip(NEXT) | instid1(VALU_DEP_1)
	v_clz_i32_u32_e32 v5, v8
	v_min_u32_e32 v5, 32, v5
	s_delay_alu instid0(VALU_DEP_1) | instskip(SKIP_1) | instid1(VALU_DEP_2)
	v_subrev_nc_u32_e32 v6, 28, v5
	v_sub_nc_u32_e32 v5, 29, v5
	v_lshlrev_b64 v[6:7], v6, v[8:9]
	s_delay_alu instid0(VALU_DEP_1)
	v_and_b32_e32 v8, 7, v6
; %bb.2351:                             ;   in Loop: Header=BB270_2089 Depth=1
	s_or_b32 exec_lo, exec_lo, s3
	v_lshlrev_b32_e32 v6, 24, v4
	s_delay_alu instid0(VALU_DEP_2) | instskip(SKIP_1) | instid1(VALU_DEP_3)
	v_lshlrev_b32_e32 v7, 20, v8
	v_lshl_add_u32 v5, v5, 23, 0x3c000000
	v_and_b32_e32 v6, 0x80000000, v6
	s_delay_alu instid0(VALU_DEP_1)
	v_or3_b32 v8, v7, v6, v5
	scratch_store_b64 off, v[8:9], s32 offset:644 ; 8-byte Folded Spill
.LBB270_2352:                           ;   in Loop: Header=BB270_2089 Depth=1
	s_or_b32 exec_lo, exec_lo, s2
.LBB270_2353:                           ;   in Loop: Header=BB270_2089 Depth=1
	s_delay_alu instid0(SALU_CYCLE_1)
	s_or_b32 exec_lo, exec_lo, s1
.LBB270_2354:                           ;   in Loop: Header=BB270_2089 Depth=1
	s_delay_alu instid0(SALU_CYCLE_1) | instskip(SKIP_2) | instid1(VALU_DEP_1)
	s_or_b32 exec_lo, exec_lo, s0
	v_lshrrev_b16 v5, 8, v4
	s_mov_b32 s0, exec_lo
	v_cmpx_ne_u16_e32 0, v5
	s_cbranch_execz .LBB270_2362
; %bb.2355:                             ;   in Loop: Header=BB270_2089 Depth=1
	v_dual_mov_b32 v6, s10 :: v_dual_mov_b32 v7, s11
	s_mov_b32 s1, exec_lo
	scratch_store_b64 off, v[6:7], s32 offset:636 ; 8-byte Folded Spill
	v_cmpx_ne_u16_e32 0x80, v5
	s_cbranch_execz .LBB270_2361
; %bb.2356:                             ;   in Loop: Header=BB270_2089 Depth=1
	s_mov_b32 s12, s10
	v_and_b32_e32 v5, 0xffff, v5
	v_dual_mov_b32 v7, s12 :: v_dual_mov_b32 v8, s13
	s_mov_b32 s2, exec_lo
	s_delay_alu instid0(VALU_DEP_2)
	v_and_b32_e32 v6, 0x7f, v5
	scratch_store_b64 off, v[7:8], s32 offset:636 ; 8-byte Folded Spill
	v_cmpx_ne_u32_e32 0x7f, v6
	s_cbranch_execz .LBB270_2360
; %bb.2357:                             ;   in Loop: Header=BB270_2089 Depth=1
	v_and_b32_e32 v8, 7, v5
	v_lshrrev_b32_e32 v5, 3, v6
	s_mov_b32 s3, exec_lo
	v_cmpx_gt_u32_e32 8, v6
; %bb.2358:                             ;   in Loop: Header=BB270_2089 Depth=1
	s_delay_alu instid0(VALU_DEP_3) | instskip(NEXT) | instid1(VALU_DEP_1)
	v_clz_i32_u32_e32 v5, v8
	v_min_u32_e32 v5, 32, v5
	s_delay_alu instid0(VALU_DEP_1) | instskip(SKIP_1) | instid1(VALU_DEP_2)
	v_subrev_nc_u32_e32 v6, 28, v5
	v_sub_nc_u32_e32 v5, 29, v5
	v_lshlrev_b64 v[6:7], v6, v[8:9]
	s_delay_alu instid0(VALU_DEP_1)
	v_and_b32_e32 v8, 7, v6
; %bb.2359:                             ;   in Loop: Header=BB270_2089 Depth=1
	s_or_b32 exec_lo, exec_lo, s3
	v_lshlrev_b32_e32 v6, 16, v4
	s_delay_alu instid0(VALU_DEP_2) | instskip(SKIP_1) | instid1(VALU_DEP_3)
	v_lshlrev_b32_e32 v7, 20, v8
	v_lshl_add_u32 v5, v5, 23, 0x3c000000
	v_and_b32_e32 v6, 0x80000000, v6
	s_delay_alu instid0(VALU_DEP_1)
	v_or3_b32 v6, v7, v6, v5
	v_mov_b32_e32 v5, v9
	scratch_store_b64 off, v[5:6], s32 offset:636 ; 8-byte Folded Spill
.LBB270_2360:                           ;   in Loop: Header=BB270_2089 Depth=1
	s_or_b32 exec_lo, exec_lo, s2
.LBB270_2361:                           ;   in Loop: Header=BB270_2089 Depth=1
	s_delay_alu instid0(SALU_CYCLE_1)
	s_or_b32 exec_lo, exec_lo, s1
.LBB270_2362:                           ;   in Loop: Header=BB270_2089 Depth=1
	s_delay_alu instid0(SALU_CYCLE_1)
	s_or_b32 exec_lo, exec_lo, s0
	v_lshrrev_b32_e32 v5, 16, v4
	v_mov_b32_e32 v7, 0
	v_mov_b32_e32 v8, 0
	s_mov_b32 s0, exec_lo
	s_clause 0x1
	scratch_store_b64 off, v[7:8], s32 offset:652
	scratch_store_b64 off, v[7:8], s32 offset:660
	v_and_b32_e32 v6, 0xff, v5
	s_delay_alu instid0(VALU_DEP_1)
	v_cmpx_ne_u16_e32 0, v6
	s_cbranch_execz .LBB270_2370
; %bb.2363:                             ;   in Loop: Header=BB270_2089 Depth=1
	v_cmp_ne_u16_e32 vcc_lo, 0x80, v6
	v_bfrev_b32_e32 v6, 1
	v_mov_b32_e32 v7, 0
	scratch_store_b64 off, v[6:7], s32 offset:660 ; 8-byte Folded Spill
	s_and_saveexec_b32 s1, vcc_lo
	s_cbranch_execz .LBB270_2369
; %bb.2364:                             ;   in Loop: Header=BB270_2089 Depth=1
	v_mov_b32_e32 v10, 0x7f800001
	v_bfe_u32 v7, v4, 16, 7
	v_mov_b32_e32 v11, 0
	s_mov_b32 s2, exec_lo
	scratch_store_b64 off, v[10:11], s32 offset:660 ; 8-byte Folded Spill
	v_cmpx_ne_u32_e32 0x7f, v7
	s_cbranch_execz .LBB270_2368
; %bb.2365:                             ;   in Loop: Header=BB270_2089 Depth=1
	v_and_b32_e32 v8, 7, v5
	v_lshrrev_b32_e32 v6, 3, v7
	s_mov_b32 s3, exec_lo
	v_cmpx_gt_u32_e32 8, v7
; %bb.2366:                             ;   in Loop: Header=BB270_2089 Depth=1
	s_delay_alu instid0(VALU_DEP_3) | instskip(NEXT) | instid1(VALU_DEP_1)
	v_clz_i32_u32_e32 v6, v8
	v_min_u32_e32 v6, 32, v6
	s_delay_alu instid0(VALU_DEP_1) | instskip(SKIP_1) | instid1(VALU_DEP_2)
	v_subrev_nc_u32_e32 v7, 28, v6
	v_sub_nc_u32_e32 v6, 29, v6
	v_lshlrev_b64 v[7:8], v7, v[8:9]
	s_delay_alu instid0(VALU_DEP_1)
	v_and_b32_e32 v8, 7, v7
; %bb.2367:                             ;   in Loop: Header=BB270_2089 Depth=1
	s_or_b32 exec_lo, exec_lo, s3
	v_lshlrev_b32_e32 v5, 24, v5
	s_delay_alu instid0(VALU_DEP_2) | instskip(SKIP_1) | instid1(VALU_DEP_3)
	v_lshlrev_b32_e32 v7, 20, v8
	v_lshl_add_u32 v6, v6, 23, 0x3c000000
	v_and_b32_e32 v5, 0x80000000, v5
	s_delay_alu instid0(VALU_DEP_1)
	v_or3_b32 v8, v7, v5, v6
	scratch_store_b64 off, v[8:9], s32 offset:660 ; 8-byte Folded Spill
.LBB270_2368:                           ;   in Loop: Header=BB270_2089 Depth=1
	s_or_b32 exec_lo, exec_lo, s2
.LBB270_2369:                           ;   in Loop: Header=BB270_2089 Depth=1
	s_delay_alu instid0(SALU_CYCLE_1)
	s_or_b32 exec_lo, exec_lo, s1
.LBB270_2370:                           ;   in Loop: Header=BB270_2089 Depth=1
	s_delay_alu instid0(SALU_CYCLE_1) | instskip(NEXT) | instid1(SALU_CYCLE_1)
	s_or_b32 exec_lo, exec_lo, s0
	s_mov_b32 s0, exec_lo
	v_cmpx_lt_u32_e32 0xffffff, v4
	s_cbranch_execz .LBB270_2378
; %bb.2371:                             ;   in Loop: Header=BB270_2089 Depth=1
	v_lshrrev_b32_e32 v5, 24, v4
	v_dual_mov_b32 v6, s10 :: v_dual_mov_b32 v7, s11
	s_mov_b32 s1, exec_lo
	scratch_store_b64 off, v[6:7], s32 offset:652 ; 8-byte Folded Spill
	v_cmpx_ne_u32_e32 0x80, v5
	s_cbranch_execz .LBB270_2377
; %bb.2372:                             ;   in Loop: Header=BB270_2089 Depth=1
	s_mov_b32 s12, s10
	v_bfe_u32 v6, v4, 24, 7
	v_dual_mov_b32 v7, s12 :: v_dual_mov_b32 v8, s13
	s_mov_b32 s2, exec_lo
	scratch_store_b64 off, v[7:8], s32 offset:652 ; 8-byte Folded Spill
	v_cmpx_ne_u32_e32 0x7f, v6
	s_cbranch_execz .LBB270_2376
; %bb.2373:                             ;   in Loop: Header=BB270_2089 Depth=1
	v_and_b32_e32 v8, 7, v5
	v_lshrrev_b32_e32 v4, 3, v6
	s_mov_b32 s3, exec_lo
	v_cmpx_gt_u32_e32 8, v6
; %bb.2374:                             ;   in Loop: Header=BB270_2089 Depth=1
	s_delay_alu instid0(VALU_DEP_3) | instskip(NEXT) | instid1(VALU_DEP_1)
	v_clz_i32_u32_e32 v4, v8
	v_min_u32_e32 v4, 32, v4
	s_delay_alu instid0(VALU_DEP_1) | instskip(SKIP_1) | instid1(VALU_DEP_2)
	v_subrev_nc_u32_e32 v6, 28, v4
	v_sub_nc_u32_e32 v4, 29, v4
	v_lshlrev_b64 v[6:7], v6, v[8:9]
	s_delay_alu instid0(VALU_DEP_1)
	v_and_b32_e32 v8, 7, v6
; %bb.2375:                             ;   in Loop: Header=BB270_2089 Depth=1
	s_or_b32 exec_lo, exec_lo, s3
	v_lshlrev_b32_e32 v5, 24, v5
	s_delay_alu instid0(VALU_DEP_2) | instskip(SKIP_1) | instid1(VALU_DEP_3)
	v_lshlrev_b32_e32 v6, 20, v8
	v_lshl_add_u32 v4, v4, 23, 0x3c000000
	v_and_b32_e32 v5, 0x80000000, v5
	s_delay_alu instid0(VALU_DEP_1)
	v_or3_b32 v5, v6, v5, v4
	v_mov_b32_e32 v4, v9
	scratch_store_b64 off, v[4:5], s32 offset:652 ; 8-byte Folded Spill
.LBB270_2376:                           ;   in Loop: Header=BB270_2089 Depth=1
	s_or_b32 exec_lo, exec_lo, s2
.LBB270_2377:                           ;   in Loop: Header=BB270_2089 Depth=1
	s_delay_alu instid0(SALU_CYCLE_1)
	s_or_b32 exec_lo, exec_lo, s1
.LBB270_2378:                           ;   in Loop: Header=BB270_2089 Depth=1
	s_delay_alu instid0(SALU_CYCLE_1)
	s_or_b32 exec_lo, exec_lo, s0
	flat_load_b32 v4, v[50:51] offset:1152
	v_mov_b32_e32 v6, 0
	v_mov_b32_e32 v7, 0
	s_mov_b32 s0, exec_lo
	s_clause 0x1
	scratch_store_b64 off, v[6:7], s32 offset:668
	scratch_store_b64 off, v[6:7], s32 offset:676
	s_waitcnt vmcnt(0) lgkmcnt(0)
	v_and_b32_e32 v5, 0xff, v4
	s_delay_alu instid0(VALU_DEP_1)
	v_cmpx_ne_u16_e32 0, v5
	s_cbranch_execz .LBB270_2386
; %bb.2379:                             ;   in Loop: Header=BB270_2089 Depth=1
	v_cmp_ne_u16_e32 vcc_lo, 0x80, v5
	v_bfrev_b32_e32 v5, 1
	v_mov_b32_e32 v6, 0
	scratch_store_b64 off, v[5:6], s32 offset:676 ; 8-byte Folded Spill
	s_and_saveexec_b32 s1, vcc_lo
	s_cbranch_execz .LBB270_2385
; %bb.2380:                             ;   in Loop: Header=BB270_2089 Depth=1
	v_mov_b32_e32 v7, 0x7f800001
	v_and_b32_e32 v6, 0x7f, v4
	v_mov_b32_e32 v8, 0
	s_mov_b32 s2, exec_lo
	scratch_store_b64 off, v[7:8], s32 offset:676 ; 8-byte Folded Spill
	v_cmpx_ne_u32_e32 0x7f, v6
	s_cbranch_execz .LBB270_2384
; %bb.2381:                             ;   in Loop: Header=BB270_2089 Depth=1
	v_and_b32_e32 v8, 7, v4
	v_lshrrev_b32_e32 v5, 3, v6
	s_mov_b32 s3, exec_lo
	v_cmpx_gt_u32_e32 8, v6
; %bb.2382:                             ;   in Loop: Header=BB270_2089 Depth=1
	s_delay_alu instid0(VALU_DEP_3) | instskip(NEXT) | instid1(VALU_DEP_1)
	v_clz_i32_u32_e32 v5, v8
	v_min_u32_e32 v5, 32, v5
	s_delay_alu instid0(VALU_DEP_1) | instskip(SKIP_1) | instid1(VALU_DEP_2)
	v_subrev_nc_u32_e32 v6, 28, v5
	v_sub_nc_u32_e32 v5, 29, v5
	v_lshlrev_b64 v[6:7], v6, v[8:9]
	s_delay_alu instid0(VALU_DEP_1)
	v_and_b32_e32 v8, 7, v6
; %bb.2383:                             ;   in Loop: Header=BB270_2089 Depth=1
	s_or_b32 exec_lo, exec_lo, s3
	v_lshlrev_b32_e32 v6, 24, v4
	s_delay_alu instid0(VALU_DEP_2) | instskip(SKIP_1) | instid1(VALU_DEP_3)
	v_lshlrev_b32_e32 v7, 20, v8
	v_lshl_add_u32 v5, v5, 23, 0x3c000000
	v_and_b32_e32 v6, 0x80000000, v6
	s_delay_alu instid0(VALU_DEP_1)
	v_or3_b32 v8, v7, v6, v5
	scratch_store_b64 off, v[8:9], s32 offset:676 ; 8-byte Folded Spill
.LBB270_2384:                           ;   in Loop: Header=BB270_2089 Depth=1
	s_or_b32 exec_lo, exec_lo, s2
.LBB270_2385:                           ;   in Loop: Header=BB270_2089 Depth=1
	s_delay_alu instid0(SALU_CYCLE_1)
	s_or_b32 exec_lo, exec_lo, s1
.LBB270_2386:                           ;   in Loop: Header=BB270_2089 Depth=1
	s_delay_alu instid0(SALU_CYCLE_1) | instskip(SKIP_2) | instid1(VALU_DEP_1)
	s_or_b32 exec_lo, exec_lo, s0
	v_lshrrev_b16 v5, 8, v4
	s_mov_b32 s0, exec_lo
	v_cmpx_ne_u16_e32 0, v5
	s_cbranch_execz .LBB270_2394
; %bb.2387:                             ;   in Loop: Header=BB270_2089 Depth=1
	v_dual_mov_b32 v6, s10 :: v_dual_mov_b32 v7, s11
	s_mov_b32 s1, exec_lo
	scratch_store_b64 off, v[6:7], s32 offset:668 ; 8-byte Folded Spill
	v_cmpx_ne_u16_e32 0x80, v5
	s_cbranch_execz .LBB270_2393
; %bb.2388:                             ;   in Loop: Header=BB270_2089 Depth=1
	s_mov_b32 s12, s10
	v_and_b32_e32 v5, 0xffff, v5
	v_dual_mov_b32 v7, s12 :: v_dual_mov_b32 v8, s13
	s_mov_b32 s2, exec_lo
	s_delay_alu instid0(VALU_DEP_2)
	v_and_b32_e32 v6, 0x7f, v5
	scratch_store_b64 off, v[7:8], s32 offset:668 ; 8-byte Folded Spill
	v_cmpx_ne_u32_e32 0x7f, v6
	s_cbranch_execz .LBB270_2392
; %bb.2389:                             ;   in Loop: Header=BB270_2089 Depth=1
	v_and_b32_e32 v8, 7, v5
	v_lshrrev_b32_e32 v5, 3, v6
	s_mov_b32 s3, exec_lo
	v_cmpx_gt_u32_e32 8, v6
; %bb.2390:                             ;   in Loop: Header=BB270_2089 Depth=1
	s_delay_alu instid0(VALU_DEP_3) | instskip(NEXT) | instid1(VALU_DEP_1)
	v_clz_i32_u32_e32 v5, v8
	v_min_u32_e32 v5, 32, v5
	s_delay_alu instid0(VALU_DEP_1) | instskip(SKIP_1) | instid1(VALU_DEP_2)
	v_subrev_nc_u32_e32 v6, 28, v5
	v_sub_nc_u32_e32 v5, 29, v5
	v_lshlrev_b64 v[6:7], v6, v[8:9]
	s_delay_alu instid0(VALU_DEP_1)
	v_and_b32_e32 v8, 7, v6
; %bb.2391:                             ;   in Loop: Header=BB270_2089 Depth=1
	s_or_b32 exec_lo, exec_lo, s3
	v_lshlrev_b32_e32 v6, 16, v4
	s_delay_alu instid0(VALU_DEP_2) | instskip(SKIP_1) | instid1(VALU_DEP_3)
	v_lshlrev_b32_e32 v7, 20, v8
	v_lshl_add_u32 v5, v5, 23, 0x3c000000
	v_and_b32_e32 v6, 0x80000000, v6
	s_delay_alu instid0(VALU_DEP_1)
	v_or3_b32 v6, v7, v6, v5
	v_mov_b32_e32 v5, v9
	scratch_store_b64 off, v[5:6], s32 offset:668 ; 8-byte Folded Spill
.LBB270_2392:                           ;   in Loop: Header=BB270_2089 Depth=1
	s_or_b32 exec_lo, exec_lo, s2
.LBB270_2393:                           ;   in Loop: Header=BB270_2089 Depth=1
	s_delay_alu instid0(SALU_CYCLE_1)
	s_or_b32 exec_lo, exec_lo, s1
.LBB270_2394:                           ;   in Loop: Header=BB270_2089 Depth=1
	s_delay_alu instid0(SALU_CYCLE_1)
	s_or_b32 exec_lo, exec_lo, s0
	v_lshrrev_b32_e32 v5, 16, v4
	v_mov_b32_e32 v7, 0
	v_mov_b32_e32 v8, 0
	s_mov_b32 s0, exec_lo
	s_clause 0x1
	scratch_store_b64 off, v[7:8], s32 offset:684
	scratch_store_b64 off, v[7:8], s32 offset:692
	v_and_b32_e32 v6, 0xff, v5
	s_delay_alu instid0(VALU_DEP_1)
	v_cmpx_ne_u16_e32 0, v6
	s_cbranch_execz .LBB270_2402
; %bb.2395:                             ;   in Loop: Header=BB270_2089 Depth=1
	v_cmp_ne_u16_e32 vcc_lo, 0x80, v6
	v_bfrev_b32_e32 v6, 1
	v_mov_b32_e32 v7, 0
	scratch_store_b64 off, v[6:7], s32 offset:692 ; 8-byte Folded Spill
	s_and_saveexec_b32 s1, vcc_lo
	s_cbranch_execz .LBB270_2401
; %bb.2396:                             ;   in Loop: Header=BB270_2089 Depth=1
	v_mov_b32_e32 v10, 0x7f800001
	v_bfe_u32 v7, v4, 16, 7
	v_mov_b32_e32 v11, 0
	s_mov_b32 s2, exec_lo
	scratch_store_b64 off, v[10:11], s32 offset:692 ; 8-byte Folded Spill
	v_cmpx_ne_u32_e32 0x7f, v7
	s_cbranch_execz .LBB270_2400
; %bb.2397:                             ;   in Loop: Header=BB270_2089 Depth=1
	v_and_b32_e32 v8, 7, v5
	v_lshrrev_b32_e32 v6, 3, v7
	s_mov_b32 s3, exec_lo
	v_cmpx_gt_u32_e32 8, v7
; %bb.2398:                             ;   in Loop: Header=BB270_2089 Depth=1
	s_delay_alu instid0(VALU_DEP_3) | instskip(NEXT) | instid1(VALU_DEP_1)
	v_clz_i32_u32_e32 v6, v8
	v_min_u32_e32 v6, 32, v6
	s_delay_alu instid0(VALU_DEP_1) | instskip(SKIP_1) | instid1(VALU_DEP_2)
	v_subrev_nc_u32_e32 v7, 28, v6
	v_sub_nc_u32_e32 v6, 29, v6
	v_lshlrev_b64 v[7:8], v7, v[8:9]
	s_delay_alu instid0(VALU_DEP_1)
	v_and_b32_e32 v8, 7, v7
; %bb.2399:                             ;   in Loop: Header=BB270_2089 Depth=1
	s_or_b32 exec_lo, exec_lo, s3
	v_lshlrev_b32_e32 v5, 24, v5
	s_delay_alu instid0(VALU_DEP_2) | instskip(SKIP_1) | instid1(VALU_DEP_3)
	v_lshlrev_b32_e32 v7, 20, v8
	v_lshl_add_u32 v6, v6, 23, 0x3c000000
	v_and_b32_e32 v5, 0x80000000, v5
	s_delay_alu instid0(VALU_DEP_1)
	v_or3_b32 v8, v7, v5, v6
	scratch_store_b64 off, v[8:9], s32 offset:692 ; 8-byte Folded Spill
.LBB270_2400:                           ;   in Loop: Header=BB270_2089 Depth=1
	s_or_b32 exec_lo, exec_lo, s2
.LBB270_2401:                           ;   in Loop: Header=BB270_2089 Depth=1
	s_delay_alu instid0(SALU_CYCLE_1)
	s_or_b32 exec_lo, exec_lo, s1
.LBB270_2402:                           ;   in Loop: Header=BB270_2089 Depth=1
	s_delay_alu instid0(SALU_CYCLE_1) | instskip(NEXT) | instid1(SALU_CYCLE_1)
	s_or_b32 exec_lo, exec_lo, s0
	s_mov_b32 s0, exec_lo
	v_cmpx_lt_u32_e32 0xffffff, v4
	s_cbranch_execz .LBB270_2410
; %bb.2403:                             ;   in Loop: Header=BB270_2089 Depth=1
	v_lshrrev_b32_e32 v5, 24, v4
	v_dual_mov_b32 v6, s10 :: v_dual_mov_b32 v7, s11
	s_mov_b32 s1, exec_lo
	scratch_store_b64 off, v[6:7], s32 offset:684 ; 8-byte Folded Spill
	v_cmpx_ne_u32_e32 0x80, v5
	s_cbranch_execz .LBB270_2409
; %bb.2404:                             ;   in Loop: Header=BB270_2089 Depth=1
	s_mov_b32 s12, s10
	v_bfe_u32 v6, v4, 24, 7
	v_dual_mov_b32 v7, s12 :: v_dual_mov_b32 v8, s13
	s_mov_b32 s2, exec_lo
	scratch_store_b64 off, v[7:8], s32 offset:684 ; 8-byte Folded Spill
	v_cmpx_ne_u32_e32 0x7f, v6
	s_cbranch_execz .LBB270_2408
; %bb.2405:                             ;   in Loop: Header=BB270_2089 Depth=1
	v_and_b32_e32 v8, 7, v5
	v_lshrrev_b32_e32 v4, 3, v6
	s_mov_b32 s3, exec_lo
	v_cmpx_gt_u32_e32 8, v6
; %bb.2406:                             ;   in Loop: Header=BB270_2089 Depth=1
	s_delay_alu instid0(VALU_DEP_3) | instskip(NEXT) | instid1(VALU_DEP_1)
	v_clz_i32_u32_e32 v4, v8
	v_min_u32_e32 v4, 32, v4
	s_delay_alu instid0(VALU_DEP_1) | instskip(SKIP_1) | instid1(VALU_DEP_2)
	v_subrev_nc_u32_e32 v6, 28, v4
	v_sub_nc_u32_e32 v4, 29, v4
	v_lshlrev_b64 v[6:7], v6, v[8:9]
	s_delay_alu instid0(VALU_DEP_1)
	v_and_b32_e32 v8, 7, v6
; %bb.2407:                             ;   in Loop: Header=BB270_2089 Depth=1
	s_or_b32 exec_lo, exec_lo, s3
	v_lshlrev_b32_e32 v5, 24, v5
	s_delay_alu instid0(VALU_DEP_2) | instskip(SKIP_1) | instid1(VALU_DEP_3)
	v_lshlrev_b32_e32 v6, 20, v8
	v_lshl_add_u32 v4, v4, 23, 0x3c000000
	v_and_b32_e32 v5, 0x80000000, v5
	s_delay_alu instid0(VALU_DEP_1)
	v_or3_b32 v5, v6, v5, v4
	v_mov_b32_e32 v4, v9
	scratch_store_b64 off, v[4:5], s32 offset:684 ; 8-byte Folded Spill
.LBB270_2408:                           ;   in Loop: Header=BB270_2089 Depth=1
	s_or_b32 exec_lo, exec_lo, s2
.LBB270_2409:                           ;   in Loop: Header=BB270_2089 Depth=1
	s_delay_alu instid0(SALU_CYCLE_1)
	s_or_b32 exec_lo, exec_lo, s1
.LBB270_2410:                           ;   in Loop: Header=BB270_2089 Depth=1
	s_delay_alu instid0(SALU_CYCLE_1)
	s_or_b32 exec_lo, exec_lo, s0
	flat_load_b32 v4, v[50:51] offset:1280
	v_mov_b32_e32 v6, 0
	v_mov_b32_e32 v7, 0
	s_mov_b32 s0, exec_lo
	s_clause 0x1
	scratch_store_b64 off, v[6:7], s32 offset:700
	scratch_store_b64 off, v[6:7], s32 offset:708
	s_waitcnt vmcnt(0) lgkmcnt(0)
	v_and_b32_e32 v5, 0xff, v4
	s_delay_alu instid0(VALU_DEP_1)
	v_cmpx_ne_u16_e32 0, v5
	s_cbranch_execz .LBB270_2418
; %bb.2411:                             ;   in Loop: Header=BB270_2089 Depth=1
	v_cmp_ne_u16_e32 vcc_lo, 0x80, v5
	v_bfrev_b32_e32 v5, 1
	v_mov_b32_e32 v6, 0
	scratch_store_b64 off, v[5:6], s32 offset:708 ; 8-byte Folded Spill
	s_and_saveexec_b32 s1, vcc_lo
	s_cbranch_execz .LBB270_2417
; %bb.2412:                             ;   in Loop: Header=BB270_2089 Depth=1
	v_mov_b32_e32 v7, 0x7f800001
	v_and_b32_e32 v6, 0x7f, v4
	v_mov_b32_e32 v8, 0
	s_mov_b32 s2, exec_lo
	scratch_store_b64 off, v[7:8], s32 offset:708 ; 8-byte Folded Spill
	v_cmpx_ne_u32_e32 0x7f, v6
	s_cbranch_execz .LBB270_2416
; %bb.2413:                             ;   in Loop: Header=BB270_2089 Depth=1
	v_and_b32_e32 v8, 7, v4
	v_lshrrev_b32_e32 v5, 3, v6
	s_mov_b32 s3, exec_lo
	v_cmpx_gt_u32_e32 8, v6
; %bb.2414:                             ;   in Loop: Header=BB270_2089 Depth=1
	s_delay_alu instid0(VALU_DEP_3) | instskip(NEXT) | instid1(VALU_DEP_1)
	v_clz_i32_u32_e32 v5, v8
	v_min_u32_e32 v5, 32, v5
	s_delay_alu instid0(VALU_DEP_1) | instskip(SKIP_1) | instid1(VALU_DEP_2)
	v_subrev_nc_u32_e32 v6, 28, v5
	v_sub_nc_u32_e32 v5, 29, v5
	v_lshlrev_b64 v[6:7], v6, v[8:9]
	s_delay_alu instid0(VALU_DEP_1)
	v_and_b32_e32 v8, 7, v6
; %bb.2415:                             ;   in Loop: Header=BB270_2089 Depth=1
	s_or_b32 exec_lo, exec_lo, s3
	v_lshlrev_b32_e32 v6, 24, v4
	s_delay_alu instid0(VALU_DEP_2) | instskip(SKIP_1) | instid1(VALU_DEP_3)
	v_lshlrev_b32_e32 v7, 20, v8
	v_lshl_add_u32 v5, v5, 23, 0x3c000000
	v_and_b32_e32 v6, 0x80000000, v6
	s_delay_alu instid0(VALU_DEP_1)
	v_or3_b32 v8, v7, v6, v5
	scratch_store_b64 off, v[8:9], s32 offset:708 ; 8-byte Folded Spill
.LBB270_2416:                           ;   in Loop: Header=BB270_2089 Depth=1
	s_or_b32 exec_lo, exec_lo, s2
.LBB270_2417:                           ;   in Loop: Header=BB270_2089 Depth=1
	s_delay_alu instid0(SALU_CYCLE_1)
	s_or_b32 exec_lo, exec_lo, s1
.LBB270_2418:                           ;   in Loop: Header=BB270_2089 Depth=1
	s_delay_alu instid0(SALU_CYCLE_1) | instskip(SKIP_2) | instid1(VALU_DEP_1)
	s_or_b32 exec_lo, exec_lo, s0
	v_lshrrev_b16 v5, 8, v4
	s_mov_b32 s0, exec_lo
	v_cmpx_ne_u16_e32 0, v5
	s_cbranch_execz .LBB270_2426
; %bb.2419:                             ;   in Loop: Header=BB270_2089 Depth=1
	v_dual_mov_b32 v6, s10 :: v_dual_mov_b32 v7, s11
	s_mov_b32 s1, exec_lo
	scratch_store_b64 off, v[6:7], s32 offset:700 ; 8-byte Folded Spill
	v_cmpx_ne_u16_e32 0x80, v5
	s_cbranch_execz .LBB270_2425
; %bb.2420:                             ;   in Loop: Header=BB270_2089 Depth=1
	s_mov_b32 s12, s10
	v_and_b32_e32 v5, 0xffff, v5
	v_dual_mov_b32 v7, s12 :: v_dual_mov_b32 v8, s13
	s_mov_b32 s2, exec_lo
	s_delay_alu instid0(VALU_DEP_2)
	v_and_b32_e32 v6, 0x7f, v5
	scratch_store_b64 off, v[7:8], s32 offset:700 ; 8-byte Folded Spill
	v_cmpx_ne_u32_e32 0x7f, v6
	s_cbranch_execz .LBB270_2424
; %bb.2421:                             ;   in Loop: Header=BB270_2089 Depth=1
	v_and_b32_e32 v8, 7, v5
	v_lshrrev_b32_e32 v5, 3, v6
	s_mov_b32 s3, exec_lo
	v_cmpx_gt_u32_e32 8, v6
; %bb.2422:                             ;   in Loop: Header=BB270_2089 Depth=1
	s_delay_alu instid0(VALU_DEP_3) | instskip(NEXT) | instid1(VALU_DEP_1)
	v_clz_i32_u32_e32 v5, v8
	v_min_u32_e32 v5, 32, v5
	s_delay_alu instid0(VALU_DEP_1) | instskip(SKIP_1) | instid1(VALU_DEP_2)
	v_subrev_nc_u32_e32 v6, 28, v5
	v_sub_nc_u32_e32 v5, 29, v5
	v_lshlrev_b64 v[6:7], v6, v[8:9]
	s_delay_alu instid0(VALU_DEP_1)
	v_and_b32_e32 v8, 7, v6
; %bb.2423:                             ;   in Loop: Header=BB270_2089 Depth=1
	s_or_b32 exec_lo, exec_lo, s3
	v_lshlrev_b32_e32 v6, 16, v4
	s_delay_alu instid0(VALU_DEP_2) | instskip(SKIP_1) | instid1(VALU_DEP_3)
	v_lshlrev_b32_e32 v7, 20, v8
	v_lshl_add_u32 v5, v5, 23, 0x3c000000
	v_and_b32_e32 v6, 0x80000000, v6
	s_delay_alu instid0(VALU_DEP_1)
	v_or3_b32 v6, v7, v6, v5
	v_mov_b32_e32 v5, v9
	scratch_store_b64 off, v[5:6], s32 offset:700 ; 8-byte Folded Spill
.LBB270_2424:                           ;   in Loop: Header=BB270_2089 Depth=1
	s_or_b32 exec_lo, exec_lo, s2
.LBB270_2425:                           ;   in Loop: Header=BB270_2089 Depth=1
	s_delay_alu instid0(SALU_CYCLE_1)
	s_or_b32 exec_lo, exec_lo, s1
.LBB270_2426:                           ;   in Loop: Header=BB270_2089 Depth=1
	s_delay_alu instid0(SALU_CYCLE_1)
	s_or_b32 exec_lo, exec_lo, s0
	v_lshrrev_b32_e32 v5, 16, v4
	v_mov_b32_e32 v7, 0
	v_mov_b32_e32 v8, 0
	s_mov_b32 s0, exec_lo
	s_clause 0x1
	scratch_store_b64 off, v[7:8], s32 offset:716
	scratch_store_b64 off, v[7:8], s32 offset:724
	v_and_b32_e32 v6, 0xff, v5
	s_delay_alu instid0(VALU_DEP_1)
	v_cmpx_ne_u16_e32 0, v6
	s_cbranch_execz .LBB270_2434
; %bb.2427:                             ;   in Loop: Header=BB270_2089 Depth=1
	v_cmp_ne_u16_e32 vcc_lo, 0x80, v6
	v_bfrev_b32_e32 v6, 1
	v_mov_b32_e32 v7, 0
	scratch_store_b64 off, v[6:7], s32 offset:724 ; 8-byte Folded Spill
	s_and_saveexec_b32 s1, vcc_lo
	s_cbranch_execz .LBB270_2433
; %bb.2428:                             ;   in Loop: Header=BB270_2089 Depth=1
	v_mov_b32_e32 v10, 0x7f800001
	v_bfe_u32 v7, v4, 16, 7
	v_mov_b32_e32 v11, 0
	s_mov_b32 s2, exec_lo
	scratch_store_b64 off, v[10:11], s32 offset:724 ; 8-byte Folded Spill
	v_cmpx_ne_u32_e32 0x7f, v7
	s_cbranch_execz .LBB270_2432
; %bb.2429:                             ;   in Loop: Header=BB270_2089 Depth=1
	v_and_b32_e32 v8, 7, v5
	v_lshrrev_b32_e32 v6, 3, v7
	s_mov_b32 s3, exec_lo
	v_cmpx_gt_u32_e32 8, v7
; %bb.2430:                             ;   in Loop: Header=BB270_2089 Depth=1
	s_delay_alu instid0(VALU_DEP_3) | instskip(NEXT) | instid1(VALU_DEP_1)
	v_clz_i32_u32_e32 v6, v8
	v_min_u32_e32 v6, 32, v6
	s_delay_alu instid0(VALU_DEP_1) | instskip(SKIP_1) | instid1(VALU_DEP_2)
	v_subrev_nc_u32_e32 v7, 28, v6
	v_sub_nc_u32_e32 v6, 29, v6
	v_lshlrev_b64 v[7:8], v7, v[8:9]
	s_delay_alu instid0(VALU_DEP_1)
	v_and_b32_e32 v8, 7, v7
; %bb.2431:                             ;   in Loop: Header=BB270_2089 Depth=1
	s_or_b32 exec_lo, exec_lo, s3
	v_lshlrev_b32_e32 v5, 24, v5
	s_delay_alu instid0(VALU_DEP_2) | instskip(SKIP_1) | instid1(VALU_DEP_3)
	v_lshlrev_b32_e32 v7, 20, v8
	v_lshl_add_u32 v6, v6, 23, 0x3c000000
	v_and_b32_e32 v5, 0x80000000, v5
	s_delay_alu instid0(VALU_DEP_1)
	v_or3_b32 v8, v7, v5, v6
	scratch_store_b64 off, v[8:9], s32 offset:724 ; 8-byte Folded Spill
.LBB270_2432:                           ;   in Loop: Header=BB270_2089 Depth=1
	s_or_b32 exec_lo, exec_lo, s2
.LBB270_2433:                           ;   in Loop: Header=BB270_2089 Depth=1
	s_delay_alu instid0(SALU_CYCLE_1)
	s_or_b32 exec_lo, exec_lo, s1
.LBB270_2434:                           ;   in Loop: Header=BB270_2089 Depth=1
	s_delay_alu instid0(SALU_CYCLE_1) | instskip(NEXT) | instid1(SALU_CYCLE_1)
	s_or_b32 exec_lo, exec_lo, s0
	s_mov_b32 s0, exec_lo
	v_cmpx_lt_u32_e32 0xffffff, v4
	s_cbranch_execz .LBB270_2442
; %bb.2435:                             ;   in Loop: Header=BB270_2089 Depth=1
	v_lshrrev_b32_e32 v5, 24, v4
	v_dual_mov_b32 v6, s10 :: v_dual_mov_b32 v7, s11
	s_mov_b32 s1, exec_lo
	scratch_store_b64 off, v[6:7], s32 offset:716 ; 8-byte Folded Spill
	v_cmpx_ne_u32_e32 0x80, v5
	s_cbranch_execz .LBB270_2441
; %bb.2436:                             ;   in Loop: Header=BB270_2089 Depth=1
	s_mov_b32 s12, s10
	v_bfe_u32 v6, v4, 24, 7
	v_dual_mov_b32 v7, s12 :: v_dual_mov_b32 v8, s13
	s_mov_b32 s2, exec_lo
	scratch_store_b64 off, v[7:8], s32 offset:716 ; 8-byte Folded Spill
	v_cmpx_ne_u32_e32 0x7f, v6
	s_cbranch_execz .LBB270_2440
; %bb.2437:                             ;   in Loop: Header=BB270_2089 Depth=1
	v_and_b32_e32 v8, 7, v5
	v_lshrrev_b32_e32 v4, 3, v6
	s_mov_b32 s3, exec_lo
	v_cmpx_gt_u32_e32 8, v6
; %bb.2438:                             ;   in Loop: Header=BB270_2089 Depth=1
	s_delay_alu instid0(VALU_DEP_3) | instskip(NEXT) | instid1(VALU_DEP_1)
	v_clz_i32_u32_e32 v4, v8
	v_min_u32_e32 v4, 32, v4
	s_delay_alu instid0(VALU_DEP_1) | instskip(SKIP_1) | instid1(VALU_DEP_2)
	v_subrev_nc_u32_e32 v6, 28, v4
	v_sub_nc_u32_e32 v4, 29, v4
	v_lshlrev_b64 v[6:7], v6, v[8:9]
	s_delay_alu instid0(VALU_DEP_1)
	v_and_b32_e32 v8, 7, v6
; %bb.2439:                             ;   in Loop: Header=BB270_2089 Depth=1
	s_or_b32 exec_lo, exec_lo, s3
	v_lshlrev_b32_e32 v5, 24, v5
	s_delay_alu instid0(VALU_DEP_2) | instskip(SKIP_1) | instid1(VALU_DEP_3)
	v_lshlrev_b32_e32 v6, 20, v8
	v_lshl_add_u32 v4, v4, 23, 0x3c000000
	v_and_b32_e32 v5, 0x80000000, v5
	s_delay_alu instid0(VALU_DEP_1)
	v_or3_b32 v5, v6, v5, v4
	v_mov_b32_e32 v4, v9
	scratch_store_b64 off, v[4:5], s32 offset:716 ; 8-byte Folded Spill
.LBB270_2440:                           ;   in Loop: Header=BB270_2089 Depth=1
	s_or_b32 exec_lo, exec_lo, s2
.LBB270_2441:                           ;   in Loop: Header=BB270_2089 Depth=1
	s_delay_alu instid0(SALU_CYCLE_1)
	s_or_b32 exec_lo, exec_lo, s1
.LBB270_2442:                           ;   in Loop: Header=BB270_2089 Depth=1
	s_delay_alu instid0(SALU_CYCLE_1)
	s_or_b32 exec_lo, exec_lo, s0
	flat_load_b32 v4, v[50:51] offset:1408
	v_mov_b32_e32 v6, 0
	v_mov_b32_e32 v7, 0
	s_mov_b32 s0, exec_lo
	s_clause 0x1
	scratch_store_b64 off, v[6:7], s32 offset:732
	scratch_store_b64 off, v[6:7], s32 offset:740
	s_waitcnt vmcnt(0) lgkmcnt(0)
	v_and_b32_e32 v5, 0xff, v4
	s_delay_alu instid0(VALU_DEP_1)
	v_cmpx_ne_u16_e32 0, v5
	s_cbranch_execz .LBB270_2450
; %bb.2443:                             ;   in Loop: Header=BB270_2089 Depth=1
	v_cmp_ne_u16_e32 vcc_lo, 0x80, v5
	v_bfrev_b32_e32 v5, 1
	v_mov_b32_e32 v6, 0
	scratch_store_b64 off, v[5:6], s32 offset:740 ; 8-byte Folded Spill
	s_and_saveexec_b32 s1, vcc_lo
	s_cbranch_execz .LBB270_2449
; %bb.2444:                             ;   in Loop: Header=BB270_2089 Depth=1
	v_mov_b32_e32 v7, 0x7f800001
	v_and_b32_e32 v6, 0x7f, v4
	v_mov_b32_e32 v8, 0
	s_mov_b32 s2, exec_lo
	scratch_store_b64 off, v[7:8], s32 offset:740 ; 8-byte Folded Spill
	v_cmpx_ne_u32_e32 0x7f, v6
	s_cbranch_execz .LBB270_2448
; %bb.2445:                             ;   in Loop: Header=BB270_2089 Depth=1
	v_and_b32_e32 v8, 7, v4
	v_lshrrev_b32_e32 v5, 3, v6
	s_mov_b32 s3, exec_lo
	v_cmpx_gt_u32_e32 8, v6
; %bb.2446:                             ;   in Loop: Header=BB270_2089 Depth=1
	s_delay_alu instid0(VALU_DEP_3) | instskip(NEXT) | instid1(VALU_DEP_1)
	v_clz_i32_u32_e32 v5, v8
	v_min_u32_e32 v5, 32, v5
	s_delay_alu instid0(VALU_DEP_1) | instskip(SKIP_1) | instid1(VALU_DEP_2)
	v_subrev_nc_u32_e32 v6, 28, v5
	v_sub_nc_u32_e32 v5, 29, v5
	v_lshlrev_b64 v[6:7], v6, v[8:9]
	s_delay_alu instid0(VALU_DEP_1)
	v_and_b32_e32 v8, 7, v6
; %bb.2447:                             ;   in Loop: Header=BB270_2089 Depth=1
	s_or_b32 exec_lo, exec_lo, s3
	v_lshlrev_b32_e32 v6, 24, v4
	s_delay_alu instid0(VALU_DEP_2) | instskip(SKIP_1) | instid1(VALU_DEP_3)
	v_lshlrev_b32_e32 v7, 20, v8
	v_lshl_add_u32 v5, v5, 23, 0x3c000000
	v_and_b32_e32 v6, 0x80000000, v6
	s_delay_alu instid0(VALU_DEP_1)
	v_or3_b32 v8, v7, v6, v5
	scratch_store_b64 off, v[8:9], s32 offset:740 ; 8-byte Folded Spill
.LBB270_2448:                           ;   in Loop: Header=BB270_2089 Depth=1
	s_or_b32 exec_lo, exec_lo, s2
.LBB270_2449:                           ;   in Loop: Header=BB270_2089 Depth=1
	s_delay_alu instid0(SALU_CYCLE_1)
	s_or_b32 exec_lo, exec_lo, s1
.LBB270_2450:                           ;   in Loop: Header=BB270_2089 Depth=1
	s_delay_alu instid0(SALU_CYCLE_1) | instskip(SKIP_2) | instid1(VALU_DEP_1)
	s_or_b32 exec_lo, exec_lo, s0
	v_lshrrev_b16 v5, 8, v4
	s_mov_b32 s0, exec_lo
	v_cmpx_ne_u16_e32 0, v5
	s_cbranch_execz .LBB270_2458
; %bb.2451:                             ;   in Loop: Header=BB270_2089 Depth=1
	v_dual_mov_b32 v6, s10 :: v_dual_mov_b32 v7, s11
	s_mov_b32 s1, exec_lo
	scratch_store_b64 off, v[6:7], s32 offset:732 ; 8-byte Folded Spill
	v_cmpx_ne_u16_e32 0x80, v5
	s_cbranch_execz .LBB270_2457
; %bb.2452:                             ;   in Loop: Header=BB270_2089 Depth=1
	s_mov_b32 s12, s10
	v_and_b32_e32 v5, 0xffff, v5
	v_dual_mov_b32 v7, s12 :: v_dual_mov_b32 v8, s13
	s_mov_b32 s2, exec_lo
	s_delay_alu instid0(VALU_DEP_2)
	v_and_b32_e32 v6, 0x7f, v5
	scratch_store_b64 off, v[7:8], s32 offset:732 ; 8-byte Folded Spill
	v_cmpx_ne_u32_e32 0x7f, v6
	s_cbranch_execz .LBB270_2456
; %bb.2453:                             ;   in Loop: Header=BB270_2089 Depth=1
	v_and_b32_e32 v8, 7, v5
	v_lshrrev_b32_e32 v5, 3, v6
	s_mov_b32 s3, exec_lo
	v_cmpx_gt_u32_e32 8, v6
; %bb.2454:                             ;   in Loop: Header=BB270_2089 Depth=1
	s_delay_alu instid0(VALU_DEP_3) | instskip(NEXT) | instid1(VALU_DEP_1)
	v_clz_i32_u32_e32 v5, v8
	v_min_u32_e32 v5, 32, v5
	s_delay_alu instid0(VALU_DEP_1) | instskip(SKIP_1) | instid1(VALU_DEP_2)
	v_subrev_nc_u32_e32 v6, 28, v5
	v_sub_nc_u32_e32 v5, 29, v5
	v_lshlrev_b64 v[6:7], v6, v[8:9]
	s_delay_alu instid0(VALU_DEP_1)
	v_and_b32_e32 v8, 7, v6
; %bb.2455:                             ;   in Loop: Header=BB270_2089 Depth=1
	s_or_b32 exec_lo, exec_lo, s3
	v_lshlrev_b32_e32 v6, 16, v4
	s_delay_alu instid0(VALU_DEP_2) | instskip(SKIP_1) | instid1(VALU_DEP_3)
	v_lshlrev_b32_e32 v7, 20, v8
	v_lshl_add_u32 v5, v5, 23, 0x3c000000
	v_and_b32_e32 v6, 0x80000000, v6
	s_delay_alu instid0(VALU_DEP_1)
	v_or3_b32 v6, v7, v6, v5
	v_mov_b32_e32 v5, v9
	scratch_store_b64 off, v[5:6], s32 offset:732 ; 8-byte Folded Spill
.LBB270_2456:                           ;   in Loop: Header=BB270_2089 Depth=1
	s_or_b32 exec_lo, exec_lo, s2
.LBB270_2457:                           ;   in Loop: Header=BB270_2089 Depth=1
	s_delay_alu instid0(SALU_CYCLE_1)
	s_or_b32 exec_lo, exec_lo, s1
.LBB270_2458:                           ;   in Loop: Header=BB270_2089 Depth=1
	s_delay_alu instid0(SALU_CYCLE_1)
	s_or_b32 exec_lo, exec_lo, s0
	v_lshrrev_b32_e32 v5, 16, v4
	v_mov_b32_e32 v7, 0
	v_mov_b32_e32 v8, 0
	s_mov_b32 s0, exec_lo
	s_clause 0x1
	scratch_store_b64 off, v[7:8], s32 offset:748
	scratch_store_b64 off, v[7:8], s32 offset:756
	v_and_b32_e32 v6, 0xff, v5
	s_delay_alu instid0(VALU_DEP_1)
	v_cmpx_ne_u16_e32 0, v6
	s_cbranch_execz .LBB270_2466
; %bb.2459:                             ;   in Loop: Header=BB270_2089 Depth=1
	v_cmp_ne_u16_e32 vcc_lo, 0x80, v6
	v_bfrev_b32_e32 v6, 1
	v_mov_b32_e32 v7, 0
	scratch_store_b64 off, v[6:7], s32 offset:756 ; 8-byte Folded Spill
	s_and_saveexec_b32 s1, vcc_lo
	s_cbranch_execz .LBB270_2465
; %bb.2460:                             ;   in Loop: Header=BB270_2089 Depth=1
	v_mov_b32_e32 v10, 0x7f800001
	v_bfe_u32 v7, v4, 16, 7
	v_mov_b32_e32 v11, 0
	s_mov_b32 s2, exec_lo
	scratch_store_b64 off, v[10:11], s32 offset:756 ; 8-byte Folded Spill
	v_cmpx_ne_u32_e32 0x7f, v7
	s_cbranch_execz .LBB270_2464
; %bb.2461:                             ;   in Loop: Header=BB270_2089 Depth=1
	v_and_b32_e32 v8, 7, v5
	v_lshrrev_b32_e32 v6, 3, v7
	s_mov_b32 s3, exec_lo
	v_cmpx_gt_u32_e32 8, v7
; %bb.2462:                             ;   in Loop: Header=BB270_2089 Depth=1
	s_delay_alu instid0(VALU_DEP_3) | instskip(NEXT) | instid1(VALU_DEP_1)
	v_clz_i32_u32_e32 v6, v8
	v_min_u32_e32 v6, 32, v6
	s_delay_alu instid0(VALU_DEP_1) | instskip(SKIP_1) | instid1(VALU_DEP_2)
	v_subrev_nc_u32_e32 v7, 28, v6
	v_sub_nc_u32_e32 v6, 29, v6
	v_lshlrev_b64 v[7:8], v7, v[8:9]
	s_delay_alu instid0(VALU_DEP_1)
	v_and_b32_e32 v8, 7, v7
; %bb.2463:                             ;   in Loop: Header=BB270_2089 Depth=1
	s_or_b32 exec_lo, exec_lo, s3
	v_lshlrev_b32_e32 v5, 24, v5
	s_delay_alu instid0(VALU_DEP_2) | instskip(SKIP_1) | instid1(VALU_DEP_3)
	v_lshlrev_b32_e32 v7, 20, v8
	v_lshl_add_u32 v6, v6, 23, 0x3c000000
	v_and_b32_e32 v5, 0x80000000, v5
	s_delay_alu instid0(VALU_DEP_1)
	v_or3_b32 v8, v7, v5, v6
	scratch_store_b64 off, v[8:9], s32 offset:756 ; 8-byte Folded Spill
.LBB270_2464:                           ;   in Loop: Header=BB270_2089 Depth=1
	s_or_b32 exec_lo, exec_lo, s2
.LBB270_2465:                           ;   in Loop: Header=BB270_2089 Depth=1
	s_delay_alu instid0(SALU_CYCLE_1)
	s_or_b32 exec_lo, exec_lo, s1
.LBB270_2466:                           ;   in Loop: Header=BB270_2089 Depth=1
	s_delay_alu instid0(SALU_CYCLE_1) | instskip(NEXT) | instid1(SALU_CYCLE_1)
	s_or_b32 exec_lo, exec_lo, s0
	s_mov_b32 s0, exec_lo
	v_cmpx_lt_u32_e32 0xffffff, v4
	s_cbranch_execz .LBB270_2474
; %bb.2467:                             ;   in Loop: Header=BB270_2089 Depth=1
	v_lshrrev_b32_e32 v5, 24, v4
	v_dual_mov_b32 v6, s10 :: v_dual_mov_b32 v7, s11
	s_mov_b32 s1, exec_lo
	scratch_store_b64 off, v[6:7], s32 offset:748 ; 8-byte Folded Spill
	v_cmpx_ne_u32_e32 0x80, v5
	s_cbranch_execz .LBB270_2473
; %bb.2468:                             ;   in Loop: Header=BB270_2089 Depth=1
	s_mov_b32 s12, s10
	v_bfe_u32 v6, v4, 24, 7
	v_dual_mov_b32 v7, s12 :: v_dual_mov_b32 v8, s13
	s_mov_b32 s2, exec_lo
	scratch_store_b64 off, v[7:8], s32 offset:748 ; 8-byte Folded Spill
	v_cmpx_ne_u32_e32 0x7f, v6
	s_cbranch_execz .LBB270_2472
; %bb.2469:                             ;   in Loop: Header=BB270_2089 Depth=1
	v_and_b32_e32 v8, 7, v5
	v_lshrrev_b32_e32 v4, 3, v6
	s_mov_b32 s3, exec_lo
	v_cmpx_gt_u32_e32 8, v6
; %bb.2470:                             ;   in Loop: Header=BB270_2089 Depth=1
	s_delay_alu instid0(VALU_DEP_3) | instskip(NEXT) | instid1(VALU_DEP_1)
	v_clz_i32_u32_e32 v4, v8
	v_min_u32_e32 v4, 32, v4
	s_delay_alu instid0(VALU_DEP_1) | instskip(SKIP_1) | instid1(VALU_DEP_2)
	v_subrev_nc_u32_e32 v6, 28, v4
	v_sub_nc_u32_e32 v4, 29, v4
	v_lshlrev_b64 v[6:7], v6, v[8:9]
	s_delay_alu instid0(VALU_DEP_1)
	v_and_b32_e32 v8, 7, v6
; %bb.2471:                             ;   in Loop: Header=BB270_2089 Depth=1
	s_or_b32 exec_lo, exec_lo, s3
	v_lshlrev_b32_e32 v5, 24, v5
	s_delay_alu instid0(VALU_DEP_2) | instskip(SKIP_1) | instid1(VALU_DEP_3)
	v_lshlrev_b32_e32 v6, 20, v8
	v_lshl_add_u32 v4, v4, 23, 0x3c000000
	v_and_b32_e32 v5, 0x80000000, v5
	s_delay_alu instid0(VALU_DEP_1)
	v_or3_b32 v5, v6, v5, v4
	v_mov_b32_e32 v4, v9
	scratch_store_b64 off, v[4:5], s32 offset:748 ; 8-byte Folded Spill
.LBB270_2472:                           ;   in Loop: Header=BB270_2089 Depth=1
	s_or_b32 exec_lo, exec_lo, s2
.LBB270_2473:                           ;   in Loop: Header=BB270_2089 Depth=1
	s_delay_alu instid0(SALU_CYCLE_1)
	s_or_b32 exec_lo, exec_lo, s1
.LBB270_2474:                           ;   in Loop: Header=BB270_2089 Depth=1
	s_delay_alu instid0(SALU_CYCLE_1)
	s_or_b32 exec_lo, exec_lo, s0
	flat_load_b32 v4, v[50:51] offset:1536
	v_mov_b32_e32 v6, 0
	v_mov_b32_e32 v7, 0
	s_mov_b32 s0, exec_lo
	s_clause 0x1
	scratch_store_b64 off, v[6:7], s32 offset:764
	scratch_store_b64 off, v[6:7], s32 offset:772
	s_waitcnt vmcnt(0) lgkmcnt(0)
	v_and_b32_e32 v5, 0xff, v4
	s_delay_alu instid0(VALU_DEP_1)
	v_cmpx_ne_u16_e32 0, v5
	s_cbranch_execz .LBB270_2482
; %bb.2475:                             ;   in Loop: Header=BB270_2089 Depth=1
	v_cmp_ne_u16_e32 vcc_lo, 0x80, v5
	v_bfrev_b32_e32 v5, 1
	v_mov_b32_e32 v6, 0
	scratch_store_b64 off, v[5:6], s32 offset:772 ; 8-byte Folded Spill
	s_and_saveexec_b32 s1, vcc_lo
	s_cbranch_execz .LBB270_2481
; %bb.2476:                             ;   in Loop: Header=BB270_2089 Depth=1
	v_mov_b32_e32 v7, 0x7f800001
	v_and_b32_e32 v6, 0x7f, v4
	v_mov_b32_e32 v8, 0
	s_mov_b32 s2, exec_lo
	scratch_store_b64 off, v[7:8], s32 offset:772 ; 8-byte Folded Spill
	v_cmpx_ne_u32_e32 0x7f, v6
	s_cbranch_execz .LBB270_2480
; %bb.2477:                             ;   in Loop: Header=BB270_2089 Depth=1
	v_and_b32_e32 v8, 7, v4
	v_lshrrev_b32_e32 v5, 3, v6
	s_mov_b32 s3, exec_lo
	v_cmpx_gt_u32_e32 8, v6
; %bb.2478:                             ;   in Loop: Header=BB270_2089 Depth=1
	s_delay_alu instid0(VALU_DEP_3) | instskip(NEXT) | instid1(VALU_DEP_1)
	v_clz_i32_u32_e32 v5, v8
	v_min_u32_e32 v5, 32, v5
	s_delay_alu instid0(VALU_DEP_1) | instskip(SKIP_1) | instid1(VALU_DEP_2)
	v_subrev_nc_u32_e32 v6, 28, v5
	v_sub_nc_u32_e32 v5, 29, v5
	v_lshlrev_b64 v[6:7], v6, v[8:9]
	s_delay_alu instid0(VALU_DEP_1)
	v_and_b32_e32 v8, 7, v6
; %bb.2479:                             ;   in Loop: Header=BB270_2089 Depth=1
	s_or_b32 exec_lo, exec_lo, s3
	v_lshlrev_b32_e32 v6, 24, v4
	s_delay_alu instid0(VALU_DEP_2) | instskip(SKIP_1) | instid1(VALU_DEP_3)
	v_lshlrev_b32_e32 v7, 20, v8
	v_lshl_add_u32 v5, v5, 23, 0x3c000000
	v_and_b32_e32 v6, 0x80000000, v6
	s_delay_alu instid0(VALU_DEP_1)
	v_or3_b32 v8, v7, v6, v5
	scratch_store_b64 off, v[8:9], s32 offset:772 ; 8-byte Folded Spill
.LBB270_2480:                           ;   in Loop: Header=BB270_2089 Depth=1
	s_or_b32 exec_lo, exec_lo, s2
.LBB270_2481:                           ;   in Loop: Header=BB270_2089 Depth=1
	s_delay_alu instid0(SALU_CYCLE_1)
	s_or_b32 exec_lo, exec_lo, s1
.LBB270_2482:                           ;   in Loop: Header=BB270_2089 Depth=1
	s_delay_alu instid0(SALU_CYCLE_1) | instskip(SKIP_2) | instid1(VALU_DEP_1)
	s_or_b32 exec_lo, exec_lo, s0
	v_lshrrev_b16 v5, 8, v4
	s_mov_b32 s0, exec_lo
	v_cmpx_ne_u16_e32 0, v5
	s_cbranch_execz .LBB270_2490
; %bb.2483:                             ;   in Loop: Header=BB270_2089 Depth=1
	v_dual_mov_b32 v6, s10 :: v_dual_mov_b32 v7, s11
	s_mov_b32 s1, exec_lo
	scratch_store_b64 off, v[6:7], s32 offset:764 ; 8-byte Folded Spill
	v_cmpx_ne_u16_e32 0x80, v5
	s_cbranch_execz .LBB270_2489
; %bb.2484:                             ;   in Loop: Header=BB270_2089 Depth=1
	s_mov_b32 s12, s10
	v_and_b32_e32 v5, 0xffff, v5
	v_dual_mov_b32 v7, s12 :: v_dual_mov_b32 v8, s13
	s_mov_b32 s2, exec_lo
	s_delay_alu instid0(VALU_DEP_2)
	v_and_b32_e32 v6, 0x7f, v5
	scratch_store_b64 off, v[7:8], s32 offset:764 ; 8-byte Folded Spill
	v_cmpx_ne_u32_e32 0x7f, v6
	s_cbranch_execz .LBB270_2488
; %bb.2485:                             ;   in Loop: Header=BB270_2089 Depth=1
	v_and_b32_e32 v8, 7, v5
	v_lshrrev_b32_e32 v5, 3, v6
	s_mov_b32 s3, exec_lo
	v_cmpx_gt_u32_e32 8, v6
; %bb.2486:                             ;   in Loop: Header=BB270_2089 Depth=1
	s_delay_alu instid0(VALU_DEP_3) | instskip(NEXT) | instid1(VALU_DEP_1)
	v_clz_i32_u32_e32 v5, v8
	v_min_u32_e32 v5, 32, v5
	s_delay_alu instid0(VALU_DEP_1) | instskip(SKIP_1) | instid1(VALU_DEP_2)
	v_subrev_nc_u32_e32 v6, 28, v5
	v_sub_nc_u32_e32 v5, 29, v5
	v_lshlrev_b64 v[6:7], v6, v[8:9]
	s_delay_alu instid0(VALU_DEP_1)
	v_and_b32_e32 v8, 7, v6
; %bb.2487:                             ;   in Loop: Header=BB270_2089 Depth=1
	s_or_b32 exec_lo, exec_lo, s3
	v_lshlrev_b32_e32 v6, 16, v4
	s_delay_alu instid0(VALU_DEP_2) | instskip(SKIP_1) | instid1(VALU_DEP_3)
	v_lshlrev_b32_e32 v7, 20, v8
	v_lshl_add_u32 v5, v5, 23, 0x3c000000
	v_and_b32_e32 v6, 0x80000000, v6
	s_delay_alu instid0(VALU_DEP_1)
	v_or3_b32 v6, v7, v6, v5
	v_mov_b32_e32 v5, v9
	scratch_store_b64 off, v[5:6], s32 offset:764 ; 8-byte Folded Spill
.LBB270_2488:                           ;   in Loop: Header=BB270_2089 Depth=1
	s_or_b32 exec_lo, exec_lo, s2
.LBB270_2489:                           ;   in Loop: Header=BB270_2089 Depth=1
	s_delay_alu instid0(SALU_CYCLE_1)
	s_or_b32 exec_lo, exec_lo, s1
.LBB270_2490:                           ;   in Loop: Header=BB270_2089 Depth=1
	s_delay_alu instid0(SALU_CYCLE_1)
	s_or_b32 exec_lo, exec_lo, s0
	v_lshrrev_b32_e32 v5, 16, v4
	v_mov_b32_e32 v7, 0
	v_mov_b32_e32 v8, 0
	s_mov_b32 s0, exec_lo
	s_clause 0x1
	scratch_store_b64 off, v[7:8], s32 offset:780
	scratch_store_b64 off, v[7:8], s32 offset:788
	v_and_b32_e32 v6, 0xff, v5
	s_delay_alu instid0(VALU_DEP_1)
	v_cmpx_ne_u16_e32 0, v6
	s_cbranch_execz .LBB270_2498
; %bb.2491:                             ;   in Loop: Header=BB270_2089 Depth=1
	v_cmp_ne_u16_e32 vcc_lo, 0x80, v6
	v_bfrev_b32_e32 v6, 1
	v_mov_b32_e32 v7, 0
	scratch_store_b64 off, v[6:7], s32 offset:788 ; 8-byte Folded Spill
	s_and_saveexec_b32 s1, vcc_lo
	s_cbranch_execz .LBB270_2497
; %bb.2492:                             ;   in Loop: Header=BB270_2089 Depth=1
	v_mov_b32_e32 v10, 0x7f800001
	v_bfe_u32 v7, v4, 16, 7
	v_mov_b32_e32 v11, 0
	s_mov_b32 s2, exec_lo
	scratch_store_b64 off, v[10:11], s32 offset:788 ; 8-byte Folded Spill
	v_cmpx_ne_u32_e32 0x7f, v7
	s_cbranch_execz .LBB270_2496
; %bb.2493:                             ;   in Loop: Header=BB270_2089 Depth=1
	v_and_b32_e32 v8, 7, v5
	v_lshrrev_b32_e32 v6, 3, v7
	s_mov_b32 s3, exec_lo
	v_cmpx_gt_u32_e32 8, v7
; %bb.2494:                             ;   in Loop: Header=BB270_2089 Depth=1
	s_delay_alu instid0(VALU_DEP_3) | instskip(NEXT) | instid1(VALU_DEP_1)
	v_clz_i32_u32_e32 v6, v8
	v_min_u32_e32 v6, 32, v6
	s_delay_alu instid0(VALU_DEP_1) | instskip(SKIP_1) | instid1(VALU_DEP_2)
	v_subrev_nc_u32_e32 v7, 28, v6
	v_sub_nc_u32_e32 v6, 29, v6
	v_lshlrev_b64 v[7:8], v7, v[8:9]
	s_delay_alu instid0(VALU_DEP_1)
	v_and_b32_e32 v8, 7, v7
; %bb.2495:                             ;   in Loop: Header=BB270_2089 Depth=1
	s_or_b32 exec_lo, exec_lo, s3
	v_lshlrev_b32_e32 v5, 24, v5
	s_delay_alu instid0(VALU_DEP_2) | instskip(SKIP_1) | instid1(VALU_DEP_3)
	v_lshlrev_b32_e32 v7, 20, v8
	v_lshl_add_u32 v6, v6, 23, 0x3c000000
	v_and_b32_e32 v5, 0x80000000, v5
	s_delay_alu instid0(VALU_DEP_1)
	v_or3_b32 v8, v7, v5, v6
	scratch_store_b64 off, v[8:9], s32 offset:788 ; 8-byte Folded Spill
.LBB270_2496:                           ;   in Loop: Header=BB270_2089 Depth=1
	s_or_b32 exec_lo, exec_lo, s2
.LBB270_2497:                           ;   in Loop: Header=BB270_2089 Depth=1
	s_delay_alu instid0(SALU_CYCLE_1)
	s_or_b32 exec_lo, exec_lo, s1
.LBB270_2498:                           ;   in Loop: Header=BB270_2089 Depth=1
	s_delay_alu instid0(SALU_CYCLE_1) | instskip(NEXT) | instid1(SALU_CYCLE_1)
	s_or_b32 exec_lo, exec_lo, s0
	s_mov_b32 s0, exec_lo
	v_cmpx_lt_u32_e32 0xffffff, v4
	s_cbranch_execz .LBB270_2506
; %bb.2499:                             ;   in Loop: Header=BB270_2089 Depth=1
	v_lshrrev_b32_e32 v5, 24, v4
	v_dual_mov_b32 v6, s10 :: v_dual_mov_b32 v7, s11
	s_mov_b32 s1, exec_lo
	scratch_store_b64 off, v[6:7], s32 offset:780 ; 8-byte Folded Spill
	v_cmpx_ne_u32_e32 0x80, v5
	s_cbranch_execz .LBB270_2505
; %bb.2500:                             ;   in Loop: Header=BB270_2089 Depth=1
	s_mov_b32 s12, s10
	v_bfe_u32 v6, v4, 24, 7
	v_dual_mov_b32 v7, s12 :: v_dual_mov_b32 v8, s13
	s_mov_b32 s2, exec_lo
	scratch_store_b64 off, v[7:8], s32 offset:780 ; 8-byte Folded Spill
	v_cmpx_ne_u32_e32 0x7f, v6
	s_cbranch_execz .LBB270_2504
; %bb.2501:                             ;   in Loop: Header=BB270_2089 Depth=1
	v_and_b32_e32 v8, 7, v5
	v_lshrrev_b32_e32 v4, 3, v6
	s_mov_b32 s3, exec_lo
	v_cmpx_gt_u32_e32 8, v6
; %bb.2502:                             ;   in Loop: Header=BB270_2089 Depth=1
	s_delay_alu instid0(VALU_DEP_3) | instskip(NEXT) | instid1(VALU_DEP_1)
	v_clz_i32_u32_e32 v4, v8
	v_min_u32_e32 v4, 32, v4
	s_delay_alu instid0(VALU_DEP_1) | instskip(SKIP_1) | instid1(VALU_DEP_2)
	v_subrev_nc_u32_e32 v6, 28, v4
	v_sub_nc_u32_e32 v4, 29, v4
	v_lshlrev_b64 v[6:7], v6, v[8:9]
	s_delay_alu instid0(VALU_DEP_1)
	v_and_b32_e32 v8, 7, v6
; %bb.2503:                             ;   in Loop: Header=BB270_2089 Depth=1
	s_or_b32 exec_lo, exec_lo, s3
	v_lshlrev_b32_e32 v5, 24, v5
	s_delay_alu instid0(VALU_DEP_2) | instskip(SKIP_1) | instid1(VALU_DEP_3)
	v_lshlrev_b32_e32 v6, 20, v8
	v_lshl_add_u32 v4, v4, 23, 0x3c000000
	v_and_b32_e32 v5, 0x80000000, v5
	s_delay_alu instid0(VALU_DEP_1)
	v_or3_b32 v5, v6, v5, v4
	v_mov_b32_e32 v4, v9
	scratch_store_b64 off, v[4:5], s32 offset:780 ; 8-byte Folded Spill
.LBB270_2504:                           ;   in Loop: Header=BB270_2089 Depth=1
	s_or_b32 exec_lo, exec_lo, s2
.LBB270_2505:                           ;   in Loop: Header=BB270_2089 Depth=1
	s_delay_alu instid0(SALU_CYCLE_1)
	s_or_b32 exec_lo, exec_lo, s1
.LBB270_2506:                           ;   in Loop: Header=BB270_2089 Depth=1
	s_delay_alu instid0(SALU_CYCLE_1)
	s_or_b32 exec_lo, exec_lo, s0
	flat_load_b32 v4, v[50:51] offset:1664
	v_mov_b32_e32 v6, 0
	v_mov_b32_e32 v7, 0
	s_mov_b32 s0, exec_lo
	s_clause 0x1
	scratch_store_b64 off, v[6:7], s32 offset:796
	scratch_store_b64 off, v[6:7], s32 offset:804
	s_waitcnt vmcnt(0) lgkmcnt(0)
	v_and_b32_e32 v5, 0xff, v4
	s_delay_alu instid0(VALU_DEP_1)
	v_cmpx_ne_u16_e32 0, v5
	s_cbranch_execz .LBB270_2514
; %bb.2507:                             ;   in Loop: Header=BB270_2089 Depth=1
	v_cmp_ne_u16_e32 vcc_lo, 0x80, v5
	v_bfrev_b32_e32 v5, 1
	v_mov_b32_e32 v6, 0
	scratch_store_b64 off, v[5:6], s32 offset:804 ; 8-byte Folded Spill
	s_and_saveexec_b32 s1, vcc_lo
	s_cbranch_execz .LBB270_2513
; %bb.2508:                             ;   in Loop: Header=BB270_2089 Depth=1
	v_mov_b32_e32 v7, 0x7f800001
	v_and_b32_e32 v6, 0x7f, v4
	v_mov_b32_e32 v8, 0
	s_mov_b32 s2, exec_lo
	scratch_store_b64 off, v[7:8], s32 offset:804 ; 8-byte Folded Spill
	v_cmpx_ne_u32_e32 0x7f, v6
	s_cbranch_execz .LBB270_2512
; %bb.2509:                             ;   in Loop: Header=BB270_2089 Depth=1
	v_and_b32_e32 v8, 7, v4
	v_lshrrev_b32_e32 v5, 3, v6
	s_mov_b32 s3, exec_lo
	v_cmpx_gt_u32_e32 8, v6
; %bb.2510:                             ;   in Loop: Header=BB270_2089 Depth=1
	s_delay_alu instid0(VALU_DEP_3) | instskip(NEXT) | instid1(VALU_DEP_1)
	v_clz_i32_u32_e32 v5, v8
	v_min_u32_e32 v5, 32, v5
	s_delay_alu instid0(VALU_DEP_1) | instskip(SKIP_1) | instid1(VALU_DEP_2)
	v_subrev_nc_u32_e32 v6, 28, v5
	v_sub_nc_u32_e32 v5, 29, v5
	v_lshlrev_b64 v[6:7], v6, v[8:9]
	s_delay_alu instid0(VALU_DEP_1)
	v_and_b32_e32 v8, 7, v6
; %bb.2511:                             ;   in Loop: Header=BB270_2089 Depth=1
	s_or_b32 exec_lo, exec_lo, s3
	v_lshlrev_b32_e32 v6, 24, v4
	s_delay_alu instid0(VALU_DEP_2) | instskip(SKIP_1) | instid1(VALU_DEP_3)
	v_lshlrev_b32_e32 v7, 20, v8
	v_lshl_add_u32 v5, v5, 23, 0x3c000000
	v_and_b32_e32 v6, 0x80000000, v6
	s_delay_alu instid0(VALU_DEP_1)
	v_or3_b32 v8, v7, v6, v5
	scratch_store_b64 off, v[8:9], s32 offset:804 ; 8-byte Folded Spill
.LBB270_2512:                           ;   in Loop: Header=BB270_2089 Depth=1
	s_or_b32 exec_lo, exec_lo, s2
.LBB270_2513:                           ;   in Loop: Header=BB270_2089 Depth=1
	s_delay_alu instid0(SALU_CYCLE_1)
	s_or_b32 exec_lo, exec_lo, s1
.LBB270_2514:                           ;   in Loop: Header=BB270_2089 Depth=1
	s_delay_alu instid0(SALU_CYCLE_1) | instskip(SKIP_2) | instid1(VALU_DEP_1)
	s_or_b32 exec_lo, exec_lo, s0
	v_lshrrev_b16 v5, 8, v4
	s_mov_b32 s0, exec_lo
	v_cmpx_ne_u16_e32 0, v5
	s_cbranch_execz .LBB270_2522
; %bb.2515:                             ;   in Loop: Header=BB270_2089 Depth=1
	v_dual_mov_b32 v6, s10 :: v_dual_mov_b32 v7, s11
	s_mov_b32 s1, exec_lo
	scratch_store_b64 off, v[6:7], s32 offset:796 ; 8-byte Folded Spill
	v_cmpx_ne_u16_e32 0x80, v5
	s_cbranch_execz .LBB270_2521
; %bb.2516:                             ;   in Loop: Header=BB270_2089 Depth=1
	s_mov_b32 s12, s10
	v_and_b32_e32 v5, 0xffff, v5
	v_dual_mov_b32 v7, s12 :: v_dual_mov_b32 v8, s13
	s_mov_b32 s2, exec_lo
	s_delay_alu instid0(VALU_DEP_2)
	v_and_b32_e32 v6, 0x7f, v5
	scratch_store_b64 off, v[7:8], s32 offset:796 ; 8-byte Folded Spill
	v_cmpx_ne_u32_e32 0x7f, v6
	s_cbranch_execz .LBB270_2520
; %bb.2517:                             ;   in Loop: Header=BB270_2089 Depth=1
	v_and_b32_e32 v8, 7, v5
	v_lshrrev_b32_e32 v5, 3, v6
	s_mov_b32 s3, exec_lo
	v_cmpx_gt_u32_e32 8, v6
; %bb.2518:                             ;   in Loop: Header=BB270_2089 Depth=1
	s_delay_alu instid0(VALU_DEP_3) | instskip(NEXT) | instid1(VALU_DEP_1)
	v_clz_i32_u32_e32 v5, v8
	v_min_u32_e32 v5, 32, v5
	s_delay_alu instid0(VALU_DEP_1) | instskip(SKIP_1) | instid1(VALU_DEP_2)
	v_subrev_nc_u32_e32 v6, 28, v5
	v_sub_nc_u32_e32 v5, 29, v5
	v_lshlrev_b64 v[6:7], v6, v[8:9]
	s_delay_alu instid0(VALU_DEP_1)
	v_and_b32_e32 v8, 7, v6
; %bb.2519:                             ;   in Loop: Header=BB270_2089 Depth=1
	s_or_b32 exec_lo, exec_lo, s3
	v_lshlrev_b32_e32 v6, 16, v4
	s_delay_alu instid0(VALU_DEP_2) | instskip(SKIP_1) | instid1(VALU_DEP_3)
	v_lshlrev_b32_e32 v7, 20, v8
	v_lshl_add_u32 v5, v5, 23, 0x3c000000
	v_and_b32_e32 v6, 0x80000000, v6
	s_delay_alu instid0(VALU_DEP_1)
	v_or3_b32 v6, v7, v6, v5
	v_mov_b32_e32 v5, v9
	scratch_store_b64 off, v[5:6], s32 offset:796 ; 8-byte Folded Spill
.LBB270_2520:                           ;   in Loop: Header=BB270_2089 Depth=1
	s_or_b32 exec_lo, exec_lo, s2
.LBB270_2521:                           ;   in Loop: Header=BB270_2089 Depth=1
	s_delay_alu instid0(SALU_CYCLE_1)
	s_or_b32 exec_lo, exec_lo, s1
.LBB270_2522:                           ;   in Loop: Header=BB270_2089 Depth=1
	s_delay_alu instid0(SALU_CYCLE_1)
	s_or_b32 exec_lo, exec_lo, s0
	v_lshrrev_b32_e32 v5, 16, v4
	v_mov_b32_e32 v7, 0
	v_mov_b32_e32 v8, 0
	s_mov_b32 s0, exec_lo
	s_clause 0x1
	scratch_store_b64 off, v[7:8], s32 offset:812
	scratch_store_b64 off, v[7:8], s32 offset:820
	v_and_b32_e32 v6, 0xff, v5
	s_delay_alu instid0(VALU_DEP_1)
	v_cmpx_ne_u16_e32 0, v6
	s_cbranch_execz .LBB270_2530
; %bb.2523:                             ;   in Loop: Header=BB270_2089 Depth=1
	v_cmp_ne_u16_e32 vcc_lo, 0x80, v6
	v_bfrev_b32_e32 v6, 1
	v_mov_b32_e32 v7, 0
	scratch_store_b64 off, v[6:7], s32 offset:820 ; 8-byte Folded Spill
	s_and_saveexec_b32 s1, vcc_lo
	s_cbranch_execz .LBB270_2529
; %bb.2524:                             ;   in Loop: Header=BB270_2089 Depth=1
	v_mov_b32_e32 v10, 0x7f800001
	v_bfe_u32 v7, v4, 16, 7
	v_mov_b32_e32 v11, 0
	s_mov_b32 s2, exec_lo
	scratch_store_b64 off, v[10:11], s32 offset:820 ; 8-byte Folded Spill
	v_cmpx_ne_u32_e32 0x7f, v7
	s_cbranch_execz .LBB270_2528
; %bb.2525:                             ;   in Loop: Header=BB270_2089 Depth=1
	v_and_b32_e32 v8, 7, v5
	v_lshrrev_b32_e32 v6, 3, v7
	s_mov_b32 s3, exec_lo
	v_cmpx_gt_u32_e32 8, v7
; %bb.2526:                             ;   in Loop: Header=BB270_2089 Depth=1
	s_delay_alu instid0(VALU_DEP_3) | instskip(NEXT) | instid1(VALU_DEP_1)
	v_clz_i32_u32_e32 v6, v8
	v_min_u32_e32 v6, 32, v6
	s_delay_alu instid0(VALU_DEP_1) | instskip(SKIP_1) | instid1(VALU_DEP_2)
	v_subrev_nc_u32_e32 v7, 28, v6
	v_sub_nc_u32_e32 v6, 29, v6
	v_lshlrev_b64 v[7:8], v7, v[8:9]
	s_delay_alu instid0(VALU_DEP_1)
	v_and_b32_e32 v8, 7, v7
; %bb.2527:                             ;   in Loop: Header=BB270_2089 Depth=1
	s_or_b32 exec_lo, exec_lo, s3
	v_lshlrev_b32_e32 v5, 24, v5
	s_delay_alu instid0(VALU_DEP_2) | instskip(SKIP_1) | instid1(VALU_DEP_3)
	v_lshlrev_b32_e32 v7, 20, v8
	v_lshl_add_u32 v6, v6, 23, 0x3c000000
	v_and_b32_e32 v5, 0x80000000, v5
	s_delay_alu instid0(VALU_DEP_1)
	v_or3_b32 v8, v7, v5, v6
	scratch_store_b64 off, v[8:9], s32 offset:820 ; 8-byte Folded Spill
.LBB270_2528:                           ;   in Loop: Header=BB270_2089 Depth=1
	s_or_b32 exec_lo, exec_lo, s2
.LBB270_2529:                           ;   in Loop: Header=BB270_2089 Depth=1
	s_delay_alu instid0(SALU_CYCLE_1)
	s_or_b32 exec_lo, exec_lo, s1
.LBB270_2530:                           ;   in Loop: Header=BB270_2089 Depth=1
	s_delay_alu instid0(SALU_CYCLE_1) | instskip(NEXT) | instid1(SALU_CYCLE_1)
	s_or_b32 exec_lo, exec_lo, s0
	s_mov_b32 s0, exec_lo
	v_cmpx_lt_u32_e32 0xffffff, v4
	s_cbranch_execz .LBB270_2538
; %bb.2531:                             ;   in Loop: Header=BB270_2089 Depth=1
	v_lshrrev_b32_e32 v5, 24, v4
	v_dual_mov_b32 v6, s10 :: v_dual_mov_b32 v7, s11
	s_mov_b32 s1, exec_lo
	scratch_store_b64 off, v[6:7], s32 offset:812 ; 8-byte Folded Spill
	v_cmpx_ne_u32_e32 0x80, v5
	s_cbranch_execz .LBB270_2537
; %bb.2532:                             ;   in Loop: Header=BB270_2089 Depth=1
	s_mov_b32 s12, s10
	v_bfe_u32 v6, v4, 24, 7
	v_dual_mov_b32 v7, s12 :: v_dual_mov_b32 v8, s13
	s_mov_b32 s2, exec_lo
	scratch_store_b64 off, v[7:8], s32 offset:812 ; 8-byte Folded Spill
	v_cmpx_ne_u32_e32 0x7f, v6
	s_cbranch_execz .LBB270_2536
; %bb.2533:                             ;   in Loop: Header=BB270_2089 Depth=1
	v_and_b32_e32 v8, 7, v5
	v_lshrrev_b32_e32 v4, 3, v6
	s_mov_b32 s3, exec_lo
	v_cmpx_gt_u32_e32 8, v6
; %bb.2534:                             ;   in Loop: Header=BB270_2089 Depth=1
	s_delay_alu instid0(VALU_DEP_3) | instskip(NEXT) | instid1(VALU_DEP_1)
	v_clz_i32_u32_e32 v4, v8
	v_min_u32_e32 v4, 32, v4
	s_delay_alu instid0(VALU_DEP_1) | instskip(SKIP_1) | instid1(VALU_DEP_2)
	v_subrev_nc_u32_e32 v6, 28, v4
	v_sub_nc_u32_e32 v4, 29, v4
	v_lshlrev_b64 v[6:7], v6, v[8:9]
	s_delay_alu instid0(VALU_DEP_1)
	v_and_b32_e32 v8, 7, v6
; %bb.2535:                             ;   in Loop: Header=BB270_2089 Depth=1
	s_or_b32 exec_lo, exec_lo, s3
	v_lshlrev_b32_e32 v5, 24, v5
	s_delay_alu instid0(VALU_DEP_2) | instskip(SKIP_1) | instid1(VALU_DEP_3)
	v_lshlrev_b32_e32 v6, 20, v8
	v_lshl_add_u32 v4, v4, 23, 0x3c000000
	v_and_b32_e32 v5, 0x80000000, v5
	s_delay_alu instid0(VALU_DEP_1)
	v_or3_b32 v5, v6, v5, v4
	v_mov_b32_e32 v4, v9
	scratch_store_b64 off, v[4:5], s32 offset:812 ; 8-byte Folded Spill
.LBB270_2536:                           ;   in Loop: Header=BB270_2089 Depth=1
	s_or_b32 exec_lo, exec_lo, s2
.LBB270_2537:                           ;   in Loop: Header=BB270_2089 Depth=1
	s_delay_alu instid0(SALU_CYCLE_1)
	s_or_b32 exec_lo, exec_lo, s1
.LBB270_2538:                           ;   in Loop: Header=BB270_2089 Depth=1
	s_delay_alu instid0(SALU_CYCLE_1)
	s_or_b32 exec_lo, exec_lo, s0
	flat_load_b32 v4, v[50:51] offset:1792
	v_mov_b32_e32 v6, 0
	v_mov_b32_e32 v7, 0
	s_mov_b32 s0, exec_lo
	s_clause 0x1
	scratch_store_b64 off, v[6:7], s32 offset:828
	scratch_store_b64 off, v[6:7], s32 offset:836
	s_waitcnt vmcnt(0) lgkmcnt(0)
	v_and_b32_e32 v5, 0xff, v4
	s_delay_alu instid0(VALU_DEP_1)
	v_cmpx_ne_u16_e32 0, v5
	s_cbranch_execz .LBB270_2546
; %bb.2539:                             ;   in Loop: Header=BB270_2089 Depth=1
	v_cmp_ne_u16_e32 vcc_lo, 0x80, v5
	v_bfrev_b32_e32 v5, 1
	v_mov_b32_e32 v6, 0
	scratch_store_b64 off, v[5:6], s32 offset:836 ; 8-byte Folded Spill
	s_and_saveexec_b32 s1, vcc_lo
	s_cbranch_execz .LBB270_2545
; %bb.2540:                             ;   in Loop: Header=BB270_2089 Depth=1
	v_mov_b32_e32 v7, 0x7f800001
	v_and_b32_e32 v6, 0x7f, v4
	v_mov_b32_e32 v8, 0
	s_mov_b32 s2, exec_lo
	scratch_store_b64 off, v[7:8], s32 offset:836 ; 8-byte Folded Spill
	v_cmpx_ne_u32_e32 0x7f, v6
	s_cbranch_execz .LBB270_2544
; %bb.2541:                             ;   in Loop: Header=BB270_2089 Depth=1
	v_and_b32_e32 v8, 7, v4
	v_lshrrev_b32_e32 v5, 3, v6
	s_mov_b32 s3, exec_lo
	v_cmpx_gt_u32_e32 8, v6
; %bb.2542:                             ;   in Loop: Header=BB270_2089 Depth=1
	s_delay_alu instid0(VALU_DEP_3) | instskip(NEXT) | instid1(VALU_DEP_1)
	v_clz_i32_u32_e32 v5, v8
	v_min_u32_e32 v5, 32, v5
	s_delay_alu instid0(VALU_DEP_1) | instskip(SKIP_1) | instid1(VALU_DEP_2)
	v_subrev_nc_u32_e32 v6, 28, v5
	v_sub_nc_u32_e32 v5, 29, v5
	v_lshlrev_b64 v[6:7], v6, v[8:9]
	s_delay_alu instid0(VALU_DEP_1)
	v_and_b32_e32 v8, 7, v6
; %bb.2543:                             ;   in Loop: Header=BB270_2089 Depth=1
	s_or_b32 exec_lo, exec_lo, s3
	v_lshlrev_b32_e32 v6, 24, v4
	s_delay_alu instid0(VALU_DEP_2) | instskip(SKIP_1) | instid1(VALU_DEP_3)
	v_lshlrev_b32_e32 v7, 20, v8
	v_lshl_add_u32 v5, v5, 23, 0x3c000000
	v_and_b32_e32 v6, 0x80000000, v6
	s_delay_alu instid0(VALU_DEP_1)
	v_or3_b32 v8, v7, v6, v5
	scratch_store_b64 off, v[8:9], s32 offset:836 ; 8-byte Folded Spill
.LBB270_2544:                           ;   in Loop: Header=BB270_2089 Depth=1
	s_or_b32 exec_lo, exec_lo, s2
.LBB270_2545:                           ;   in Loop: Header=BB270_2089 Depth=1
	s_delay_alu instid0(SALU_CYCLE_1)
	s_or_b32 exec_lo, exec_lo, s1
.LBB270_2546:                           ;   in Loop: Header=BB270_2089 Depth=1
	s_delay_alu instid0(SALU_CYCLE_1) | instskip(SKIP_2) | instid1(VALU_DEP_1)
	s_or_b32 exec_lo, exec_lo, s0
	v_lshrrev_b16 v5, 8, v4
	s_mov_b32 s0, exec_lo
	v_cmpx_ne_u16_e32 0, v5
	s_cbranch_execz .LBB270_2554
; %bb.2547:                             ;   in Loop: Header=BB270_2089 Depth=1
	v_dual_mov_b32 v6, s10 :: v_dual_mov_b32 v7, s11
	s_mov_b32 s1, exec_lo
	scratch_store_b64 off, v[6:7], s32 offset:828 ; 8-byte Folded Spill
	v_cmpx_ne_u16_e32 0x80, v5
	s_cbranch_execz .LBB270_2553
; %bb.2548:                             ;   in Loop: Header=BB270_2089 Depth=1
	s_mov_b32 s12, s10
	v_and_b32_e32 v5, 0xffff, v5
	v_dual_mov_b32 v7, s12 :: v_dual_mov_b32 v8, s13
	s_mov_b32 s2, exec_lo
	s_delay_alu instid0(VALU_DEP_2)
	v_and_b32_e32 v6, 0x7f, v5
	scratch_store_b64 off, v[7:8], s32 offset:828 ; 8-byte Folded Spill
	v_cmpx_ne_u32_e32 0x7f, v6
	s_cbranch_execz .LBB270_2552
; %bb.2549:                             ;   in Loop: Header=BB270_2089 Depth=1
	v_and_b32_e32 v8, 7, v5
	v_lshrrev_b32_e32 v5, 3, v6
	s_mov_b32 s3, exec_lo
	v_cmpx_gt_u32_e32 8, v6
; %bb.2550:                             ;   in Loop: Header=BB270_2089 Depth=1
	s_delay_alu instid0(VALU_DEP_3) | instskip(NEXT) | instid1(VALU_DEP_1)
	v_clz_i32_u32_e32 v5, v8
	v_min_u32_e32 v5, 32, v5
	s_delay_alu instid0(VALU_DEP_1) | instskip(SKIP_1) | instid1(VALU_DEP_2)
	v_subrev_nc_u32_e32 v6, 28, v5
	v_sub_nc_u32_e32 v5, 29, v5
	v_lshlrev_b64 v[6:7], v6, v[8:9]
	s_delay_alu instid0(VALU_DEP_1)
	v_and_b32_e32 v8, 7, v6
; %bb.2551:                             ;   in Loop: Header=BB270_2089 Depth=1
	s_or_b32 exec_lo, exec_lo, s3
	v_lshlrev_b32_e32 v6, 16, v4
	s_delay_alu instid0(VALU_DEP_2) | instskip(SKIP_1) | instid1(VALU_DEP_3)
	v_lshlrev_b32_e32 v7, 20, v8
	v_lshl_add_u32 v5, v5, 23, 0x3c000000
	v_and_b32_e32 v6, 0x80000000, v6
	s_delay_alu instid0(VALU_DEP_1)
	v_or3_b32 v6, v7, v6, v5
	v_mov_b32_e32 v5, v9
	scratch_store_b64 off, v[5:6], s32 offset:828 ; 8-byte Folded Spill
.LBB270_2552:                           ;   in Loop: Header=BB270_2089 Depth=1
	s_or_b32 exec_lo, exec_lo, s2
.LBB270_2553:                           ;   in Loop: Header=BB270_2089 Depth=1
	s_delay_alu instid0(SALU_CYCLE_1)
	s_or_b32 exec_lo, exec_lo, s1
.LBB270_2554:                           ;   in Loop: Header=BB270_2089 Depth=1
	s_delay_alu instid0(SALU_CYCLE_1)
	s_or_b32 exec_lo, exec_lo, s0
	v_lshrrev_b32_e32 v5, 16, v4
	v_mov_b32_e32 v7, 0
	v_mov_b32_e32 v8, 0
	s_mov_b32 s0, exec_lo
	s_clause 0x1
	scratch_store_b64 off, v[7:8], s32 offset:844
	scratch_store_b64 off, v[7:8], s32 offset:852
	v_and_b32_e32 v6, 0xff, v5
	s_delay_alu instid0(VALU_DEP_1)
	v_cmpx_ne_u16_e32 0, v6
	s_cbranch_execz .LBB270_2562
; %bb.2555:                             ;   in Loop: Header=BB270_2089 Depth=1
	v_cmp_ne_u16_e32 vcc_lo, 0x80, v6
	v_bfrev_b32_e32 v6, 1
	v_mov_b32_e32 v7, 0
	scratch_store_b64 off, v[6:7], s32 offset:852 ; 8-byte Folded Spill
	s_and_saveexec_b32 s1, vcc_lo
	s_cbranch_execz .LBB270_2561
; %bb.2556:                             ;   in Loop: Header=BB270_2089 Depth=1
	v_mov_b32_e32 v10, 0x7f800001
	v_bfe_u32 v7, v4, 16, 7
	v_mov_b32_e32 v11, 0
	s_mov_b32 s2, exec_lo
	scratch_store_b64 off, v[10:11], s32 offset:852 ; 8-byte Folded Spill
	v_cmpx_ne_u32_e32 0x7f, v7
	s_cbranch_execz .LBB270_2560
; %bb.2557:                             ;   in Loop: Header=BB270_2089 Depth=1
	v_and_b32_e32 v8, 7, v5
	v_lshrrev_b32_e32 v6, 3, v7
	s_mov_b32 s3, exec_lo
	v_cmpx_gt_u32_e32 8, v7
; %bb.2558:                             ;   in Loop: Header=BB270_2089 Depth=1
	s_delay_alu instid0(VALU_DEP_3) | instskip(NEXT) | instid1(VALU_DEP_1)
	v_clz_i32_u32_e32 v6, v8
	v_min_u32_e32 v6, 32, v6
	s_delay_alu instid0(VALU_DEP_1) | instskip(SKIP_1) | instid1(VALU_DEP_2)
	v_subrev_nc_u32_e32 v7, 28, v6
	v_sub_nc_u32_e32 v6, 29, v6
	v_lshlrev_b64 v[7:8], v7, v[8:9]
	s_delay_alu instid0(VALU_DEP_1)
	v_and_b32_e32 v8, 7, v7
; %bb.2559:                             ;   in Loop: Header=BB270_2089 Depth=1
	s_or_b32 exec_lo, exec_lo, s3
	v_lshlrev_b32_e32 v5, 24, v5
	s_delay_alu instid0(VALU_DEP_2) | instskip(SKIP_1) | instid1(VALU_DEP_3)
	v_lshlrev_b32_e32 v7, 20, v8
	v_lshl_add_u32 v6, v6, 23, 0x3c000000
	v_and_b32_e32 v5, 0x80000000, v5
	s_delay_alu instid0(VALU_DEP_1)
	v_or3_b32 v8, v7, v5, v6
	scratch_store_b64 off, v[8:9], s32 offset:852 ; 8-byte Folded Spill
.LBB270_2560:                           ;   in Loop: Header=BB270_2089 Depth=1
	s_or_b32 exec_lo, exec_lo, s2
.LBB270_2561:                           ;   in Loop: Header=BB270_2089 Depth=1
	s_delay_alu instid0(SALU_CYCLE_1)
	s_or_b32 exec_lo, exec_lo, s1
.LBB270_2562:                           ;   in Loop: Header=BB270_2089 Depth=1
	s_delay_alu instid0(SALU_CYCLE_1) | instskip(NEXT) | instid1(SALU_CYCLE_1)
	s_or_b32 exec_lo, exec_lo, s0
	s_mov_b32 s0, exec_lo
	v_cmpx_lt_u32_e32 0xffffff, v4
	s_cbranch_execz .LBB270_2570
; %bb.2563:                             ;   in Loop: Header=BB270_2089 Depth=1
	v_lshrrev_b32_e32 v5, 24, v4
	v_dual_mov_b32 v6, s10 :: v_dual_mov_b32 v7, s11
	s_mov_b32 s1, exec_lo
	scratch_store_b64 off, v[6:7], s32 offset:844 ; 8-byte Folded Spill
	v_cmpx_ne_u32_e32 0x80, v5
	s_cbranch_execz .LBB270_2569
; %bb.2564:                             ;   in Loop: Header=BB270_2089 Depth=1
	s_mov_b32 s12, s10
	v_bfe_u32 v6, v4, 24, 7
	v_dual_mov_b32 v7, s12 :: v_dual_mov_b32 v8, s13
	s_mov_b32 s2, exec_lo
	scratch_store_b64 off, v[7:8], s32 offset:844 ; 8-byte Folded Spill
	v_cmpx_ne_u32_e32 0x7f, v6
	s_cbranch_execz .LBB270_2568
; %bb.2565:                             ;   in Loop: Header=BB270_2089 Depth=1
	v_and_b32_e32 v8, 7, v5
	v_lshrrev_b32_e32 v4, 3, v6
	s_mov_b32 s3, exec_lo
	v_cmpx_gt_u32_e32 8, v6
; %bb.2566:                             ;   in Loop: Header=BB270_2089 Depth=1
	s_delay_alu instid0(VALU_DEP_3) | instskip(NEXT) | instid1(VALU_DEP_1)
	v_clz_i32_u32_e32 v4, v8
	v_min_u32_e32 v4, 32, v4
	s_delay_alu instid0(VALU_DEP_1) | instskip(SKIP_1) | instid1(VALU_DEP_2)
	v_subrev_nc_u32_e32 v6, 28, v4
	v_sub_nc_u32_e32 v4, 29, v4
	v_lshlrev_b64 v[6:7], v6, v[8:9]
	s_delay_alu instid0(VALU_DEP_1)
	v_and_b32_e32 v8, 7, v6
; %bb.2567:                             ;   in Loop: Header=BB270_2089 Depth=1
	s_or_b32 exec_lo, exec_lo, s3
	v_lshlrev_b32_e32 v5, 24, v5
	s_delay_alu instid0(VALU_DEP_2) | instskip(SKIP_1) | instid1(VALU_DEP_3)
	v_lshlrev_b32_e32 v6, 20, v8
	v_lshl_add_u32 v4, v4, 23, 0x3c000000
	v_and_b32_e32 v5, 0x80000000, v5
	s_delay_alu instid0(VALU_DEP_1)
	v_or3_b32 v5, v6, v5, v4
	v_mov_b32_e32 v4, v9
	scratch_store_b64 off, v[4:5], s32 offset:844 ; 8-byte Folded Spill
.LBB270_2568:                           ;   in Loop: Header=BB270_2089 Depth=1
	s_or_b32 exec_lo, exec_lo, s2
.LBB270_2569:                           ;   in Loop: Header=BB270_2089 Depth=1
	s_delay_alu instid0(SALU_CYCLE_1)
	s_or_b32 exec_lo, exec_lo, s1
.LBB270_2570:                           ;   in Loop: Header=BB270_2089 Depth=1
	s_delay_alu instid0(SALU_CYCLE_1)
	s_or_b32 exec_lo, exec_lo, s0
	flat_load_b32 v4, v[50:51] offset:1920
	v_mov_b32_e32 v6, 0
	v_mov_b32_e32 v7, 0
	s_mov_b32 s0, exec_lo
	s_clause 0x1
	scratch_store_b64 off, v[6:7], s32 offset:860
	scratch_store_b64 off, v[6:7], s32 offset:868
	s_waitcnt vmcnt(0) lgkmcnt(0)
	v_and_b32_e32 v5, 0xff, v4
	s_delay_alu instid0(VALU_DEP_1)
	v_cmpx_ne_u16_e32 0, v5
	s_cbranch_execz .LBB270_2578
; %bb.2571:                             ;   in Loop: Header=BB270_2089 Depth=1
	v_cmp_ne_u16_e32 vcc_lo, 0x80, v5
	v_bfrev_b32_e32 v5, 1
	v_mov_b32_e32 v6, 0
	scratch_store_b64 off, v[5:6], s32 offset:868 ; 8-byte Folded Spill
	s_and_saveexec_b32 s1, vcc_lo
	s_cbranch_execz .LBB270_2577
; %bb.2572:                             ;   in Loop: Header=BB270_2089 Depth=1
	v_mov_b32_e32 v7, 0x7f800001
	v_and_b32_e32 v6, 0x7f, v4
	v_mov_b32_e32 v8, 0
	s_mov_b32 s2, exec_lo
	scratch_store_b64 off, v[7:8], s32 offset:868 ; 8-byte Folded Spill
	v_cmpx_ne_u32_e32 0x7f, v6
	s_cbranch_execz .LBB270_2576
; %bb.2573:                             ;   in Loop: Header=BB270_2089 Depth=1
	v_and_b32_e32 v8, 7, v4
	v_lshrrev_b32_e32 v5, 3, v6
	s_mov_b32 s3, exec_lo
	v_cmpx_gt_u32_e32 8, v6
; %bb.2574:                             ;   in Loop: Header=BB270_2089 Depth=1
	s_delay_alu instid0(VALU_DEP_3) | instskip(NEXT) | instid1(VALU_DEP_1)
	v_clz_i32_u32_e32 v5, v8
	v_min_u32_e32 v5, 32, v5
	s_delay_alu instid0(VALU_DEP_1) | instskip(SKIP_1) | instid1(VALU_DEP_2)
	v_subrev_nc_u32_e32 v6, 28, v5
	v_sub_nc_u32_e32 v5, 29, v5
	v_lshlrev_b64 v[6:7], v6, v[8:9]
	s_delay_alu instid0(VALU_DEP_1)
	v_and_b32_e32 v8, 7, v6
; %bb.2575:                             ;   in Loop: Header=BB270_2089 Depth=1
	s_or_b32 exec_lo, exec_lo, s3
	v_lshlrev_b32_e32 v6, 24, v4
	s_delay_alu instid0(VALU_DEP_2) | instskip(SKIP_1) | instid1(VALU_DEP_3)
	v_lshlrev_b32_e32 v7, 20, v8
	v_lshl_add_u32 v5, v5, 23, 0x3c000000
	v_and_b32_e32 v6, 0x80000000, v6
	s_delay_alu instid0(VALU_DEP_1)
	v_or3_b32 v8, v7, v6, v5
	scratch_store_b64 off, v[8:9], s32 offset:868 ; 8-byte Folded Spill
.LBB270_2576:                           ;   in Loop: Header=BB270_2089 Depth=1
	s_or_b32 exec_lo, exec_lo, s2
.LBB270_2577:                           ;   in Loop: Header=BB270_2089 Depth=1
	s_delay_alu instid0(SALU_CYCLE_1)
	s_or_b32 exec_lo, exec_lo, s1
.LBB270_2578:                           ;   in Loop: Header=BB270_2089 Depth=1
	s_delay_alu instid0(SALU_CYCLE_1) | instskip(SKIP_2) | instid1(VALU_DEP_1)
	s_or_b32 exec_lo, exec_lo, s0
	v_lshrrev_b16 v5, 8, v4
	s_mov_b32 s0, exec_lo
	v_cmpx_ne_u16_e32 0, v5
	s_cbranch_execz .LBB270_2586
; %bb.2579:                             ;   in Loop: Header=BB270_2089 Depth=1
	v_dual_mov_b32 v6, s10 :: v_dual_mov_b32 v7, s11
	s_mov_b32 s1, exec_lo
	scratch_store_b64 off, v[6:7], s32 offset:860 ; 8-byte Folded Spill
	v_cmpx_ne_u16_e32 0x80, v5
	s_cbranch_execz .LBB270_2585
; %bb.2580:                             ;   in Loop: Header=BB270_2089 Depth=1
	s_mov_b32 s12, s10
	v_and_b32_e32 v5, 0xffff, v5
	v_dual_mov_b32 v7, s12 :: v_dual_mov_b32 v8, s13
	s_mov_b32 s2, exec_lo
	s_delay_alu instid0(VALU_DEP_2)
	v_and_b32_e32 v6, 0x7f, v5
	scratch_store_b64 off, v[7:8], s32 offset:860 ; 8-byte Folded Spill
	v_cmpx_ne_u32_e32 0x7f, v6
	s_cbranch_execz .LBB270_2584
; %bb.2581:                             ;   in Loop: Header=BB270_2089 Depth=1
	v_and_b32_e32 v8, 7, v5
	v_lshrrev_b32_e32 v5, 3, v6
	s_mov_b32 s3, exec_lo
	v_cmpx_gt_u32_e32 8, v6
; %bb.2582:                             ;   in Loop: Header=BB270_2089 Depth=1
	s_delay_alu instid0(VALU_DEP_3) | instskip(NEXT) | instid1(VALU_DEP_1)
	v_clz_i32_u32_e32 v5, v8
	v_min_u32_e32 v5, 32, v5
	s_delay_alu instid0(VALU_DEP_1) | instskip(SKIP_1) | instid1(VALU_DEP_2)
	v_subrev_nc_u32_e32 v6, 28, v5
	v_sub_nc_u32_e32 v5, 29, v5
	v_lshlrev_b64 v[6:7], v6, v[8:9]
	s_delay_alu instid0(VALU_DEP_1)
	v_and_b32_e32 v8, 7, v6
; %bb.2583:                             ;   in Loop: Header=BB270_2089 Depth=1
	s_or_b32 exec_lo, exec_lo, s3
	v_lshlrev_b32_e32 v6, 16, v4
	s_delay_alu instid0(VALU_DEP_2) | instskip(SKIP_1) | instid1(VALU_DEP_3)
	v_lshlrev_b32_e32 v7, 20, v8
	v_lshl_add_u32 v5, v5, 23, 0x3c000000
	v_and_b32_e32 v6, 0x80000000, v6
	s_delay_alu instid0(VALU_DEP_1)
	v_or3_b32 v6, v7, v6, v5
	v_mov_b32_e32 v5, v9
	scratch_store_b64 off, v[5:6], s32 offset:860 ; 8-byte Folded Spill
.LBB270_2584:                           ;   in Loop: Header=BB270_2089 Depth=1
	s_or_b32 exec_lo, exec_lo, s2
.LBB270_2585:                           ;   in Loop: Header=BB270_2089 Depth=1
	s_delay_alu instid0(SALU_CYCLE_1)
	s_or_b32 exec_lo, exec_lo, s1
.LBB270_2586:                           ;   in Loop: Header=BB270_2089 Depth=1
	s_delay_alu instid0(SALU_CYCLE_1)
	s_or_b32 exec_lo, exec_lo, s0
	v_lshrrev_b32_e32 v5, 16, v4
	v_mov_b32_e32 v7, 0
	v_mov_b32_e32 v8, 0
	s_mov_b32 s0, exec_lo
	s_clause 0x1
	scratch_store_b64 off, v[7:8], s32 offset:876
	scratch_store_b64 off, v[7:8], s32 offset:884
	v_and_b32_e32 v6, 0xff, v5
	s_delay_alu instid0(VALU_DEP_1)
	v_cmpx_ne_u16_e32 0, v6
	s_cbranch_execz .LBB270_2594
; %bb.2587:                             ;   in Loop: Header=BB270_2089 Depth=1
	v_cmp_ne_u16_e32 vcc_lo, 0x80, v6
	v_bfrev_b32_e32 v6, 1
	v_mov_b32_e32 v7, 0
	scratch_store_b64 off, v[6:7], s32 offset:884 ; 8-byte Folded Spill
	s_and_saveexec_b32 s1, vcc_lo
	s_cbranch_execz .LBB270_2593
; %bb.2588:                             ;   in Loop: Header=BB270_2089 Depth=1
	v_mov_b32_e32 v10, 0x7f800001
	v_bfe_u32 v7, v4, 16, 7
	v_mov_b32_e32 v11, 0
	s_mov_b32 s2, exec_lo
	scratch_store_b64 off, v[10:11], s32 offset:884 ; 8-byte Folded Spill
	v_cmpx_ne_u32_e32 0x7f, v7
	s_cbranch_execz .LBB270_2592
; %bb.2589:                             ;   in Loop: Header=BB270_2089 Depth=1
	v_and_b32_e32 v8, 7, v5
	v_lshrrev_b32_e32 v6, 3, v7
	s_mov_b32 s3, exec_lo
	v_cmpx_gt_u32_e32 8, v7
; %bb.2590:                             ;   in Loop: Header=BB270_2089 Depth=1
	s_delay_alu instid0(VALU_DEP_3) | instskip(NEXT) | instid1(VALU_DEP_1)
	v_clz_i32_u32_e32 v6, v8
	v_min_u32_e32 v6, 32, v6
	s_delay_alu instid0(VALU_DEP_1) | instskip(SKIP_1) | instid1(VALU_DEP_2)
	v_subrev_nc_u32_e32 v7, 28, v6
	v_sub_nc_u32_e32 v6, 29, v6
	v_lshlrev_b64 v[7:8], v7, v[8:9]
	s_delay_alu instid0(VALU_DEP_1)
	v_and_b32_e32 v8, 7, v7
; %bb.2591:                             ;   in Loop: Header=BB270_2089 Depth=1
	s_or_b32 exec_lo, exec_lo, s3
	v_lshlrev_b32_e32 v5, 24, v5
	s_delay_alu instid0(VALU_DEP_2) | instskip(SKIP_1) | instid1(VALU_DEP_3)
	v_lshlrev_b32_e32 v7, 20, v8
	v_lshl_add_u32 v6, v6, 23, 0x3c000000
	v_and_b32_e32 v5, 0x80000000, v5
	s_delay_alu instid0(VALU_DEP_1)
	v_or3_b32 v8, v7, v5, v6
	scratch_store_b64 off, v[8:9], s32 offset:884 ; 8-byte Folded Spill
.LBB270_2592:                           ;   in Loop: Header=BB270_2089 Depth=1
	s_or_b32 exec_lo, exec_lo, s2
.LBB270_2593:                           ;   in Loop: Header=BB270_2089 Depth=1
	s_delay_alu instid0(SALU_CYCLE_1)
	s_or_b32 exec_lo, exec_lo, s1
.LBB270_2594:                           ;   in Loop: Header=BB270_2089 Depth=1
	s_delay_alu instid0(SALU_CYCLE_1) | instskip(NEXT) | instid1(SALU_CYCLE_1)
	s_or_b32 exec_lo, exec_lo, s0
	s_mov_b32 s0, exec_lo
	v_cmpx_lt_u32_e32 0xffffff, v4
	s_cbranch_execz .LBB270_2602
; %bb.2595:                             ;   in Loop: Header=BB270_2089 Depth=1
	v_lshrrev_b32_e32 v5, 24, v4
	v_dual_mov_b32 v6, s10 :: v_dual_mov_b32 v7, s11
	s_mov_b32 s1, exec_lo
	scratch_store_b64 off, v[6:7], s32 offset:876 ; 8-byte Folded Spill
	v_cmpx_ne_u32_e32 0x80, v5
	s_cbranch_execz .LBB270_2601
; %bb.2596:                             ;   in Loop: Header=BB270_2089 Depth=1
	s_mov_b32 s12, s10
	v_bfe_u32 v6, v4, 24, 7
	v_dual_mov_b32 v7, s12 :: v_dual_mov_b32 v8, s13
	s_mov_b32 s2, exec_lo
	scratch_store_b64 off, v[7:8], s32 offset:876 ; 8-byte Folded Spill
	v_cmpx_ne_u32_e32 0x7f, v6
	s_cbranch_execz .LBB270_2600
; %bb.2597:                             ;   in Loop: Header=BB270_2089 Depth=1
	v_and_b32_e32 v8, 7, v5
	v_lshrrev_b32_e32 v4, 3, v6
	s_mov_b32 s3, exec_lo
	v_cmpx_gt_u32_e32 8, v6
; %bb.2598:                             ;   in Loop: Header=BB270_2089 Depth=1
	s_delay_alu instid0(VALU_DEP_3) | instskip(NEXT) | instid1(VALU_DEP_1)
	v_clz_i32_u32_e32 v4, v8
	v_min_u32_e32 v4, 32, v4
	s_delay_alu instid0(VALU_DEP_1) | instskip(SKIP_1) | instid1(VALU_DEP_2)
	v_subrev_nc_u32_e32 v6, 28, v4
	v_sub_nc_u32_e32 v4, 29, v4
	v_lshlrev_b64 v[6:7], v6, v[8:9]
	s_delay_alu instid0(VALU_DEP_1)
	v_and_b32_e32 v8, 7, v6
; %bb.2599:                             ;   in Loop: Header=BB270_2089 Depth=1
	s_or_b32 exec_lo, exec_lo, s3
	v_lshlrev_b32_e32 v5, 24, v5
	s_delay_alu instid0(VALU_DEP_2) | instskip(SKIP_1) | instid1(VALU_DEP_3)
	v_lshlrev_b32_e32 v6, 20, v8
	v_lshl_add_u32 v4, v4, 23, 0x3c000000
	v_and_b32_e32 v5, 0x80000000, v5
	s_delay_alu instid0(VALU_DEP_1)
	v_or3_b32 v5, v6, v5, v4
	v_mov_b32_e32 v4, v9
	scratch_store_b64 off, v[4:5], s32 offset:876 ; 8-byte Folded Spill
.LBB270_2600:                           ;   in Loop: Header=BB270_2089 Depth=1
	s_or_b32 exec_lo, exec_lo, s2
.LBB270_2601:                           ;   in Loop: Header=BB270_2089 Depth=1
	s_delay_alu instid0(SALU_CYCLE_1)
	s_or_b32 exec_lo, exec_lo, s1
.LBB270_2602:                           ;   in Loop: Header=BB270_2089 Depth=1
	s_delay_alu instid0(SALU_CYCLE_1)
	s_or_b32 exec_lo, exec_lo, s0
	flat_load_b32 v4, v[50:51] offset:2048
	v_mov_b32_e32 v6, 0
	v_mov_b32_e32 v7, 0
	s_mov_b32 s0, exec_lo
	s_clause 0x1
	scratch_store_b64 off, v[6:7], s32 offset:892
	scratch_store_b64 off, v[6:7], s32 offset:900
	s_waitcnt vmcnt(0) lgkmcnt(0)
	v_and_b32_e32 v5, 0xff, v4
	s_delay_alu instid0(VALU_DEP_1)
	v_cmpx_ne_u16_e32 0, v5
	s_cbranch_execz .LBB270_2610
; %bb.2603:                             ;   in Loop: Header=BB270_2089 Depth=1
	v_cmp_ne_u16_e32 vcc_lo, 0x80, v5
	v_bfrev_b32_e32 v5, 1
	v_mov_b32_e32 v6, 0
	scratch_store_b64 off, v[5:6], s32 offset:900 ; 8-byte Folded Spill
	s_and_saveexec_b32 s1, vcc_lo
	s_cbranch_execz .LBB270_2609
; %bb.2604:                             ;   in Loop: Header=BB270_2089 Depth=1
	v_mov_b32_e32 v7, 0x7f800001
	v_and_b32_e32 v6, 0x7f, v4
	v_mov_b32_e32 v8, 0
	s_mov_b32 s2, exec_lo
	scratch_store_b64 off, v[7:8], s32 offset:900 ; 8-byte Folded Spill
	v_cmpx_ne_u32_e32 0x7f, v6
	s_cbranch_execz .LBB270_2608
; %bb.2605:                             ;   in Loop: Header=BB270_2089 Depth=1
	v_and_b32_e32 v8, 7, v4
	v_lshrrev_b32_e32 v5, 3, v6
	s_mov_b32 s3, exec_lo
	v_cmpx_gt_u32_e32 8, v6
; %bb.2606:                             ;   in Loop: Header=BB270_2089 Depth=1
	s_delay_alu instid0(VALU_DEP_3) | instskip(NEXT) | instid1(VALU_DEP_1)
	v_clz_i32_u32_e32 v5, v8
	v_min_u32_e32 v5, 32, v5
	s_delay_alu instid0(VALU_DEP_1) | instskip(SKIP_1) | instid1(VALU_DEP_2)
	v_subrev_nc_u32_e32 v6, 28, v5
	v_sub_nc_u32_e32 v5, 29, v5
	v_lshlrev_b64 v[6:7], v6, v[8:9]
	s_delay_alu instid0(VALU_DEP_1)
	v_and_b32_e32 v8, 7, v6
; %bb.2607:                             ;   in Loop: Header=BB270_2089 Depth=1
	s_or_b32 exec_lo, exec_lo, s3
	v_lshlrev_b32_e32 v6, 24, v4
	s_delay_alu instid0(VALU_DEP_2) | instskip(SKIP_1) | instid1(VALU_DEP_3)
	v_lshlrev_b32_e32 v7, 20, v8
	v_lshl_add_u32 v5, v5, 23, 0x3c000000
	v_and_b32_e32 v6, 0x80000000, v6
	s_delay_alu instid0(VALU_DEP_1)
	v_or3_b32 v8, v7, v6, v5
	scratch_store_b64 off, v[8:9], s32 offset:900 ; 8-byte Folded Spill
.LBB270_2608:                           ;   in Loop: Header=BB270_2089 Depth=1
	s_or_b32 exec_lo, exec_lo, s2
.LBB270_2609:                           ;   in Loop: Header=BB270_2089 Depth=1
	s_delay_alu instid0(SALU_CYCLE_1)
	s_or_b32 exec_lo, exec_lo, s1
.LBB270_2610:                           ;   in Loop: Header=BB270_2089 Depth=1
	s_delay_alu instid0(SALU_CYCLE_1) | instskip(SKIP_2) | instid1(VALU_DEP_1)
	s_or_b32 exec_lo, exec_lo, s0
	v_lshrrev_b16 v5, 8, v4
	s_mov_b32 s0, exec_lo
	v_cmpx_ne_u16_e32 0, v5
	s_cbranch_execz .LBB270_2618
; %bb.2611:                             ;   in Loop: Header=BB270_2089 Depth=1
	v_dual_mov_b32 v6, s10 :: v_dual_mov_b32 v7, s11
	s_mov_b32 s1, exec_lo
	scratch_store_b64 off, v[6:7], s32 offset:892 ; 8-byte Folded Spill
	v_cmpx_ne_u16_e32 0x80, v5
	s_cbranch_execz .LBB270_2617
; %bb.2612:                             ;   in Loop: Header=BB270_2089 Depth=1
	s_mov_b32 s12, s10
	v_and_b32_e32 v5, 0xffff, v5
	v_dual_mov_b32 v7, s12 :: v_dual_mov_b32 v8, s13
	s_mov_b32 s2, exec_lo
	s_delay_alu instid0(VALU_DEP_2)
	v_and_b32_e32 v6, 0x7f, v5
	scratch_store_b64 off, v[7:8], s32 offset:892 ; 8-byte Folded Spill
	v_cmpx_ne_u32_e32 0x7f, v6
	s_cbranch_execz .LBB270_2616
; %bb.2613:                             ;   in Loop: Header=BB270_2089 Depth=1
	v_and_b32_e32 v8, 7, v5
	v_lshrrev_b32_e32 v5, 3, v6
	s_mov_b32 s3, exec_lo
	v_cmpx_gt_u32_e32 8, v6
; %bb.2614:                             ;   in Loop: Header=BB270_2089 Depth=1
	s_delay_alu instid0(VALU_DEP_3) | instskip(NEXT) | instid1(VALU_DEP_1)
	v_clz_i32_u32_e32 v5, v8
	v_min_u32_e32 v5, 32, v5
	s_delay_alu instid0(VALU_DEP_1) | instskip(SKIP_1) | instid1(VALU_DEP_2)
	v_subrev_nc_u32_e32 v6, 28, v5
	v_sub_nc_u32_e32 v5, 29, v5
	v_lshlrev_b64 v[6:7], v6, v[8:9]
	s_delay_alu instid0(VALU_DEP_1)
	v_and_b32_e32 v8, 7, v6
; %bb.2615:                             ;   in Loop: Header=BB270_2089 Depth=1
	s_or_b32 exec_lo, exec_lo, s3
	v_lshlrev_b32_e32 v6, 16, v4
	s_delay_alu instid0(VALU_DEP_2) | instskip(SKIP_1) | instid1(VALU_DEP_3)
	v_lshlrev_b32_e32 v7, 20, v8
	v_lshl_add_u32 v5, v5, 23, 0x3c000000
	v_and_b32_e32 v6, 0x80000000, v6
	s_delay_alu instid0(VALU_DEP_1)
	v_or3_b32 v6, v7, v6, v5
	v_mov_b32_e32 v5, v9
	scratch_store_b64 off, v[5:6], s32 offset:892 ; 8-byte Folded Spill
.LBB270_2616:                           ;   in Loop: Header=BB270_2089 Depth=1
	s_or_b32 exec_lo, exec_lo, s2
.LBB270_2617:                           ;   in Loop: Header=BB270_2089 Depth=1
	s_delay_alu instid0(SALU_CYCLE_1)
	s_or_b32 exec_lo, exec_lo, s1
.LBB270_2618:                           ;   in Loop: Header=BB270_2089 Depth=1
	s_delay_alu instid0(SALU_CYCLE_1)
	s_or_b32 exec_lo, exec_lo, s0
	v_lshrrev_b32_e32 v5, 16, v4
	v_mov_b32_e32 v7, 0
	v_mov_b32_e32 v8, 0
	s_mov_b32 s0, exec_lo
	s_clause 0x1
	scratch_store_b64 off, v[7:8], s32 offset:908
	scratch_store_b64 off, v[7:8], s32 offset:916
	v_and_b32_e32 v6, 0xff, v5
	s_delay_alu instid0(VALU_DEP_1)
	v_cmpx_ne_u16_e32 0, v6
	s_cbranch_execz .LBB270_2626
; %bb.2619:                             ;   in Loop: Header=BB270_2089 Depth=1
	v_cmp_ne_u16_e32 vcc_lo, 0x80, v6
	v_bfrev_b32_e32 v6, 1
	v_mov_b32_e32 v7, 0
	scratch_store_b64 off, v[6:7], s32 offset:916 ; 8-byte Folded Spill
	s_and_saveexec_b32 s1, vcc_lo
	s_cbranch_execz .LBB270_2625
; %bb.2620:                             ;   in Loop: Header=BB270_2089 Depth=1
	v_mov_b32_e32 v10, 0x7f800001
	v_bfe_u32 v7, v4, 16, 7
	v_mov_b32_e32 v11, 0
	s_mov_b32 s2, exec_lo
	scratch_store_b64 off, v[10:11], s32 offset:916 ; 8-byte Folded Spill
	v_cmpx_ne_u32_e32 0x7f, v7
	s_cbranch_execz .LBB270_2624
; %bb.2621:                             ;   in Loop: Header=BB270_2089 Depth=1
	v_and_b32_e32 v8, 7, v5
	v_lshrrev_b32_e32 v6, 3, v7
	s_mov_b32 s3, exec_lo
	v_cmpx_gt_u32_e32 8, v7
; %bb.2622:                             ;   in Loop: Header=BB270_2089 Depth=1
	s_delay_alu instid0(VALU_DEP_3) | instskip(NEXT) | instid1(VALU_DEP_1)
	v_clz_i32_u32_e32 v6, v8
	v_min_u32_e32 v6, 32, v6
	s_delay_alu instid0(VALU_DEP_1) | instskip(SKIP_1) | instid1(VALU_DEP_2)
	v_subrev_nc_u32_e32 v7, 28, v6
	v_sub_nc_u32_e32 v6, 29, v6
	v_lshlrev_b64 v[7:8], v7, v[8:9]
	s_delay_alu instid0(VALU_DEP_1)
	v_and_b32_e32 v8, 7, v7
; %bb.2623:                             ;   in Loop: Header=BB270_2089 Depth=1
	s_or_b32 exec_lo, exec_lo, s3
	v_lshlrev_b32_e32 v5, 24, v5
	s_delay_alu instid0(VALU_DEP_2) | instskip(SKIP_1) | instid1(VALU_DEP_3)
	v_lshlrev_b32_e32 v7, 20, v8
	v_lshl_add_u32 v6, v6, 23, 0x3c000000
	v_and_b32_e32 v5, 0x80000000, v5
	s_delay_alu instid0(VALU_DEP_1)
	v_or3_b32 v8, v7, v5, v6
	scratch_store_b64 off, v[8:9], s32 offset:916 ; 8-byte Folded Spill
.LBB270_2624:                           ;   in Loop: Header=BB270_2089 Depth=1
	s_or_b32 exec_lo, exec_lo, s2
.LBB270_2625:                           ;   in Loop: Header=BB270_2089 Depth=1
	s_delay_alu instid0(SALU_CYCLE_1)
	s_or_b32 exec_lo, exec_lo, s1
.LBB270_2626:                           ;   in Loop: Header=BB270_2089 Depth=1
	s_delay_alu instid0(SALU_CYCLE_1) | instskip(NEXT) | instid1(SALU_CYCLE_1)
	s_or_b32 exec_lo, exec_lo, s0
	s_mov_b32 s0, exec_lo
	v_cmpx_lt_u32_e32 0xffffff, v4
	s_cbranch_execz .LBB270_2634
; %bb.2627:                             ;   in Loop: Header=BB270_2089 Depth=1
	v_lshrrev_b32_e32 v5, 24, v4
	v_dual_mov_b32 v6, s10 :: v_dual_mov_b32 v7, s11
	s_mov_b32 s1, exec_lo
	scratch_store_b64 off, v[6:7], s32 offset:908 ; 8-byte Folded Spill
	v_cmpx_ne_u32_e32 0x80, v5
	s_cbranch_execz .LBB270_2633
; %bb.2628:                             ;   in Loop: Header=BB270_2089 Depth=1
	s_mov_b32 s12, s10
	v_bfe_u32 v6, v4, 24, 7
	v_dual_mov_b32 v7, s12 :: v_dual_mov_b32 v8, s13
	s_mov_b32 s2, exec_lo
	scratch_store_b64 off, v[7:8], s32 offset:908 ; 8-byte Folded Spill
	v_cmpx_ne_u32_e32 0x7f, v6
	s_cbranch_execz .LBB270_2632
; %bb.2629:                             ;   in Loop: Header=BB270_2089 Depth=1
	v_and_b32_e32 v8, 7, v5
	v_lshrrev_b32_e32 v4, 3, v6
	s_mov_b32 s3, exec_lo
	v_cmpx_gt_u32_e32 8, v6
; %bb.2630:                             ;   in Loop: Header=BB270_2089 Depth=1
	s_delay_alu instid0(VALU_DEP_3) | instskip(NEXT) | instid1(VALU_DEP_1)
	v_clz_i32_u32_e32 v4, v8
	v_min_u32_e32 v4, 32, v4
	s_delay_alu instid0(VALU_DEP_1) | instskip(SKIP_1) | instid1(VALU_DEP_2)
	v_subrev_nc_u32_e32 v6, 28, v4
	v_sub_nc_u32_e32 v4, 29, v4
	v_lshlrev_b64 v[6:7], v6, v[8:9]
	s_delay_alu instid0(VALU_DEP_1)
	v_and_b32_e32 v8, 7, v6
; %bb.2631:                             ;   in Loop: Header=BB270_2089 Depth=1
	s_or_b32 exec_lo, exec_lo, s3
	v_lshlrev_b32_e32 v5, 24, v5
	s_delay_alu instid0(VALU_DEP_2) | instskip(SKIP_1) | instid1(VALU_DEP_3)
	v_lshlrev_b32_e32 v6, 20, v8
	v_lshl_add_u32 v4, v4, 23, 0x3c000000
	v_and_b32_e32 v5, 0x80000000, v5
	s_delay_alu instid0(VALU_DEP_1)
	v_or3_b32 v5, v6, v5, v4
	v_mov_b32_e32 v4, v9
	scratch_store_b64 off, v[4:5], s32 offset:908 ; 8-byte Folded Spill
.LBB270_2632:                           ;   in Loop: Header=BB270_2089 Depth=1
	s_or_b32 exec_lo, exec_lo, s2
.LBB270_2633:                           ;   in Loop: Header=BB270_2089 Depth=1
	s_delay_alu instid0(SALU_CYCLE_1)
	s_or_b32 exec_lo, exec_lo, s1
.LBB270_2634:                           ;   in Loop: Header=BB270_2089 Depth=1
	s_delay_alu instid0(SALU_CYCLE_1)
	s_or_b32 exec_lo, exec_lo, s0
	flat_load_b32 v4, v[50:51] offset:2176
	v_mov_b32_e32 v6, 0
	v_mov_b32_e32 v7, 0
	s_mov_b32 s0, exec_lo
	s_clause 0x1
	scratch_store_b64 off, v[6:7], s32 offset:924
	scratch_store_b64 off, v[6:7], s32 offset:932
	s_waitcnt vmcnt(0) lgkmcnt(0)
	v_and_b32_e32 v5, 0xff, v4
	s_delay_alu instid0(VALU_DEP_1)
	v_cmpx_ne_u16_e32 0, v5
	s_cbranch_execz .LBB270_2642
; %bb.2635:                             ;   in Loop: Header=BB270_2089 Depth=1
	v_cmp_ne_u16_e32 vcc_lo, 0x80, v5
	v_bfrev_b32_e32 v5, 1
	v_mov_b32_e32 v6, 0
	scratch_store_b64 off, v[5:6], s32 offset:932 ; 8-byte Folded Spill
	s_and_saveexec_b32 s1, vcc_lo
	s_cbranch_execz .LBB270_2641
; %bb.2636:                             ;   in Loop: Header=BB270_2089 Depth=1
	v_mov_b32_e32 v7, 0x7f800001
	v_and_b32_e32 v6, 0x7f, v4
	v_mov_b32_e32 v8, 0
	s_mov_b32 s2, exec_lo
	scratch_store_b64 off, v[7:8], s32 offset:932 ; 8-byte Folded Spill
	v_cmpx_ne_u32_e32 0x7f, v6
	s_cbranch_execz .LBB270_2640
; %bb.2637:                             ;   in Loop: Header=BB270_2089 Depth=1
	v_and_b32_e32 v8, 7, v4
	v_lshrrev_b32_e32 v5, 3, v6
	s_mov_b32 s3, exec_lo
	v_cmpx_gt_u32_e32 8, v6
; %bb.2638:                             ;   in Loop: Header=BB270_2089 Depth=1
	s_delay_alu instid0(VALU_DEP_3) | instskip(NEXT) | instid1(VALU_DEP_1)
	v_clz_i32_u32_e32 v5, v8
	v_min_u32_e32 v5, 32, v5
	s_delay_alu instid0(VALU_DEP_1) | instskip(SKIP_1) | instid1(VALU_DEP_2)
	v_subrev_nc_u32_e32 v6, 28, v5
	v_sub_nc_u32_e32 v5, 29, v5
	v_lshlrev_b64 v[6:7], v6, v[8:9]
	s_delay_alu instid0(VALU_DEP_1)
	v_and_b32_e32 v8, 7, v6
; %bb.2639:                             ;   in Loop: Header=BB270_2089 Depth=1
	s_or_b32 exec_lo, exec_lo, s3
	v_lshlrev_b32_e32 v6, 24, v4
	s_delay_alu instid0(VALU_DEP_2) | instskip(SKIP_1) | instid1(VALU_DEP_3)
	v_lshlrev_b32_e32 v7, 20, v8
	v_lshl_add_u32 v5, v5, 23, 0x3c000000
	v_and_b32_e32 v6, 0x80000000, v6
	s_delay_alu instid0(VALU_DEP_1)
	v_or3_b32 v8, v7, v6, v5
	scratch_store_b64 off, v[8:9], s32 offset:932 ; 8-byte Folded Spill
.LBB270_2640:                           ;   in Loop: Header=BB270_2089 Depth=1
	s_or_b32 exec_lo, exec_lo, s2
.LBB270_2641:                           ;   in Loop: Header=BB270_2089 Depth=1
	s_delay_alu instid0(SALU_CYCLE_1)
	s_or_b32 exec_lo, exec_lo, s1
.LBB270_2642:                           ;   in Loop: Header=BB270_2089 Depth=1
	s_delay_alu instid0(SALU_CYCLE_1) | instskip(SKIP_2) | instid1(VALU_DEP_1)
	s_or_b32 exec_lo, exec_lo, s0
	v_lshrrev_b16 v5, 8, v4
	s_mov_b32 s0, exec_lo
	v_cmpx_ne_u16_e32 0, v5
	s_cbranch_execz .LBB270_2650
; %bb.2643:                             ;   in Loop: Header=BB270_2089 Depth=1
	v_dual_mov_b32 v6, s10 :: v_dual_mov_b32 v7, s11
	s_mov_b32 s1, exec_lo
	scratch_store_b64 off, v[6:7], s32 offset:924 ; 8-byte Folded Spill
	v_cmpx_ne_u16_e32 0x80, v5
	s_cbranch_execz .LBB270_2649
; %bb.2644:                             ;   in Loop: Header=BB270_2089 Depth=1
	s_mov_b32 s12, s10
	v_and_b32_e32 v5, 0xffff, v5
	v_dual_mov_b32 v7, s12 :: v_dual_mov_b32 v8, s13
	s_mov_b32 s2, exec_lo
	s_delay_alu instid0(VALU_DEP_2)
	v_and_b32_e32 v6, 0x7f, v5
	scratch_store_b64 off, v[7:8], s32 offset:924 ; 8-byte Folded Spill
	v_cmpx_ne_u32_e32 0x7f, v6
	s_cbranch_execz .LBB270_2648
; %bb.2645:                             ;   in Loop: Header=BB270_2089 Depth=1
	v_and_b32_e32 v8, 7, v5
	v_lshrrev_b32_e32 v5, 3, v6
	s_mov_b32 s3, exec_lo
	v_cmpx_gt_u32_e32 8, v6
; %bb.2646:                             ;   in Loop: Header=BB270_2089 Depth=1
	s_delay_alu instid0(VALU_DEP_3) | instskip(NEXT) | instid1(VALU_DEP_1)
	v_clz_i32_u32_e32 v5, v8
	v_min_u32_e32 v5, 32, v5
	s_delay_alu instid0(VALU_DEP_1) | instskip(SKIP_1) | instid1(VALU_DEP_2)
	v_subrev_nc_u32_e32 v6, 28, v5
	v_sub_nc_u32_e32 v5, 29, v5
	v_lshlrev_b64 v[6:7], v6, v[8:9]
	s_delay_alu instid0(VALU_DEP_1)
	v_and_b32_e32 v8, 7, v6
; %bb.2647:                             ;   in Loop: Header=BB270_2089 Depth=1
	s_or_b32 exec_lo, exec_lo, s3
	v_lshlrev_b32_e32 v6, 16, v4
	s_delay_alu instid0(VALU_DEP_2) | instskip(SKIP_1) | instid1(VALU_DEP_3)
	v_lshlrev_b32_e32 v7, 20, v8
	v_lshl_add_u32 v5, v5, 23, 0x3c000000
	v_and_b32_e32 v6, 0x80000000, v6
	s_delay_alu instid0(VALU_DEP_1)
	v_or3_b32 v6, v7, v6, v5
	v_mov_b32_e32 v5, v9
	scratch_store_b64 off, v[5:6], s32 offset:924 ; 8-byte Folded Spill
.LBB270_2648:                           ;   in Loop: Header=BB270_2089 Depth=1
	s_or_b32 exec_lo, exec_lo, s2
.LBB270_2649:                           ;   in Loop: Header=BB270_2089 Depth=1
	s_delay_alu instid0(SALU_CYCLE_1)
	s_or_b32 exec_lo, exec_lo, s1
.LBB270_2650:                           ;   in Loop: Header=BB270_2089 Depth=1
	s_delay_alu instid0(SALU_CYCLE_1)
	s_or_b32 exec_lo, exec_lo, s0
	v_lshrrev_b32_e32 v5, 16, v4
	v_mov_b32_e32 v7, 0
	v_mov_b32_e32 v8, 0
	s_mov_b32 s0, exec_lo
	s_clause 0x1
	scratch_store_b64 off, v[7:8], s32 offset:940
	scratch_store_b64 off, v[7:8], s32 offset:948
	v_and_b32_e32 v6, 0xff, v5
	s_delay_alu instid0(VALU_DEP_1)
	v_cmpx_ne_u16_e32 0, v6
	s_cbranch_execz .LBB270_2658
; %bb.2651:                             ;   in Loop: Header=BB270_2089 Depth=1
	v_cmp_ne_u16_e32 vcc_lo, 0x80, v6
	v_bfrev_b32_e32 v6, 1
	v_mov_b32_e32 v7, 0
	scratch_store_b64 off, v[6:7], s32 offset:948 ; 8-byte Folded Spill
	s_and_saveexec_b32 s1, vcc_lo
	s_cbranch_execz .LBB270_2657
; %bb.2652:                             ;   in Loop: Header=BB270_2089 Depth=1
	v_mov_b32_e32 v10, 0x7f800001
	v_bfe_u32 v7, v4, 16, 7
	v_mov_b32_e32 v11, 0
	s_mov_b32 s2, exec_lo
	scratch_store_b64 off, v[10:11], s32 offset:948 ; 8-byte Folded Spill
	v_cmpx_ne_u32_e32 0x7f, v7
	s_cbranch_execz .LBB270_2656
; %bb.2653:                             ;   in Loop: Header=BB270_2089 Depth=1
	v_and_b32_e32 v8, 7, v5
	v_lshrrev_b32_e32 v6, 3, v7
	s_mov_b32 s3, exec_lo
	v_cmpx_gt_u32_e32 8, v7
; %bb.2654:                             ;   in Loop: Header=BB270_2089 Depth=1
	s_delay_alu instid0(VALU_DEP_3) | instskip(NEXT) | instid1(VALU_DEP_1)
	v_clz_i32_u32_e32 v6, v8
	v_min_u32_e32 v6, 32, v6
	s_delay_alu instid0(VALU_DEP_1) | instskip(SKIP_1) | instid1(VALU_DEP_2)
	v_subrev_nc_u32_e32 v7, 28, v6
	v_sub_nc_u32_e32 v6, 29, v6
	v_lshlrev_b64 v[7:8], v7, v[8:9]
	s_delay_alu instid0(VALU_DEP_1)
	v_and_b32_e32 v8, 7, v7
; %bb.2655:                             ;   in Loop: Header=BB270_2089 Depth=1
	s_or_b32 exec_lo, exec_lo, s3
	v_lshlrev_b32_e32 v5, 24, v5
	s_delay_alu instid0(VALU_DEP_2) | instskip(SKIP_1) | instid1(VALU_DEP_3)
	v_lshlrev_b32_e32 v7, 20, v8
	v_lshl_add_u32 v6, v6, 23, 0x3c000000
	v_and_b32_e32 v5, 0x80000000, v5
	s_delay_alu instid0(VALU_DEP_1)
	v_or3_b32 v8, v7, v5, v6
	scratch_store_b64 off, v[8:9], s32 offset:948 ; 8-byte Folded Spill
.LBB270_2656:                           ;   in Loop: Header=BB270_2089 Depth=1
	s_or_b32 exec_lo, exec_lo, s2
.LBB270_2657:                           ;   in Loop: Header=BB270_2089 Depth=1
	s_delay_alu instid0(SALU_CYCLE_1)
	s_or_b32 exec_lo, exec_lo, s1
.LBB270_2658:                           ;   in Loop: Header=BB270_2089 Depth=1
	s_delay_alu instid0(SALU_CYCLE_1) | instskip(NEXT) | instid1(SALU_CYCLE_1)
	s_or_b32 exec_lo, exec_lo, s0
	s_mov_b32 s0, exec_lo
	v_cmpx_lt_u32_e32 0xffffff, v4
	s_cbranch_execz .LBB270_2666
; %bb.2659:                             ;   in Loop: Header=BB270_2089 Depth=1
	v_lshrrev_b32_e32 v5, 24, v4
	v_dual_mov_b32 v6, s10 :: v_dual_mov_b32 v7, s11
	s_mov_b32 s1, exec_lo
	scratch_store_b64 off, v[6:7], s32 offset:940 ; 8-byte Folded Spill
	v_cmpx_ne_u32_e32 0x80, v5
	s_cbranch_execz .LBB270_2665
; %bb.2660:                             ;   in Loop: Header=BB270_2089 Depth=1
	s_mov_b32 s12, s10
	v_bfe_u32 v6, v4, 24, 7
	v_dual_mov_b32 v7, s12 :: v_dual_mov_b32 v8, s13
	s_mov_b32 s2, exec_lo
	scratch_store_b64 off, v[7:8], s32 offset:940 ; 8-byte Folded Spill
	v_cmpx_ne_u32_e32 0x7f, v6
	s_cbranch_execz .LBB270_2664
; %bb.2661:                             ;   in Loop: Header=BB270_2089 Depth=1
	v_and_b32_e32 v8, 7, v5
	v_lshrrev_b32_e32 v4, 3, v6
	s_mov_b32 s3, exec_lo
	v_cmpx_gt_u32_e32 8, v6
; %bb.2662:                             ;   in Loop: Header=BB270_2089 Depth=1
	s_delay_alu instid0(VALU_DEP_3) | instskip(NEXT) | instid1(VALU_DEP_1)
	v_clz_i32_u32_e32 v4, v8
	v_min_u32_e32 v4, 32, v4
	s_delay_alu instid0(VALU_DEP_1) | instskip(SKIP_1) | instid1(VALU_DEP_2)
	v_subrev_nc_u32_e32 v6, 28, v4
	v_sub_nc_u32_e32 v4, 29, v4
	v_lshlrev_b64 v[6:7], v6, v[8:9]
	s_delay_alu instid0(VALU_DEP_1)
	v_and_b32_e32 v8, 7, v6
; %bb.2663:                             ;   in Loop: Header=BB270_2089 Depth=1
	s_or_b32 exec_lo, exec_lo, s3
	v_lshlrev_b32_e32 v5, 24, v5
	s_delay_alu instid0(VALU_DEP_2) | instskip(SKIP_1) | instid1(VALU_DEP_3)
	v_lshlrev_b32_e32 v6, 20, v8
	v_lshl_add_u32 v4, v4, 23, 0x3c000000
	v_and_b32_e32 v5, 0x80000000, v5
	s_delay_alu instid0(VALU_DEP_1)
	v_or3_b32 v5, v6, v5, v4
	v_mov_b32_e32 v4, v9
	scratch_store_b64 off, v[4:5], s32 offset:940 ; 8-byte Folded Spill
.LBB270_2664:                           ;   in Loop: Header=BB270_2089 Depth=1
	s_or_b32 exec_lo, exec_lo, s2
.LBB270_2665:                           ;   in Loop: Header=BB270_2089 Depth=1
	s_delay_alu instid0(SALU_CYCLE_1)
	s_or_b32 exec_lo, exec_lo, s1
.LBB270_2666:                           ;   in Loop: Header=BB270_2089 Depth=1
	s_delay_alu instid0(SALU_CYCLE_1)
	s_or_b32 exec_lo, exec_lo, s0
	flat_load_b32 v4, v[50:51] offset:2304
	v_mov_b32_e32 v6, 0
	v_mov_b32_e32 v7, 0
	s_mov_b32 s0, exec_lo
	s_clause 0x1
	scratch_store_b64 off, v[6:7], s32 offset:956
	scratch_store_b64 off, v[6:7], s32 offset:964
	s_waitcnt vmcnt(0) lgkmcnt(0)
	v_and_b32_e32 v5, 0xff, v4
	s_delay_alu instid0(VALU_DEP_1)
	v_cmpx_ne_u16_e32 0, v5
	s_cbranch_execz .LBB270_2674
; %bb.2667:                             ;   in Loop: Header=BB270_2089 Depth=1
	v_cmp_ne_u16_e32 vcc_lo, 0x80, v5
	v_bfrev_b32_e32 v5, 1
	v_mov_b32_e32 v6, 0
	scratch_store_b64 off, v[5:6], s32 offset:964 ; 8-byte Folded Spill
	s_and_saveexec_b32 s1, vcc_lo
	s_cbranch_execz .LBB270_2673
; %bb.2668:                             ;   in Loop: Header=BB270_2089 Depth=1
	v_mov_b32_e32 v7, 0x7f800001
	v_and_b32_e32 v6, 0x7f, v4
	v_mov_b32_e32 v8, 0
	s_mov_b32 s2, exec_lo
	scratch_store_b64 off, v[7:8], s32 offset:964 ; 8-byte Folded Spill
	v_cmpx_ne_u32_e32 0x7f, v6
	s_cbranch_execz .LBB270_2672
; %bb.2669:                             ;   in Loop: Header=BB270_2089 Depth=1
	v_and_b32_e32 v8, 7, v4
	v_lshrrev_b32_e32 v5, 3, v6
	s_mov_b32 s3, exec_lo
	v_cmpx_gt_u32_e32 8, v6
; %bb.2670:                             ;   in Loop: Header=BB270_2089 Depth=1
	s_delay_alu instid0(VALU_DEP_3) | instskip(NEXT) | instid1(VALU_DEP_1)
	v_clz_i32_u32_e32 v5, v8
	v_min_u32_e32 v5, 32, v5
	s_delay_alu instid0(VALU_DEP_1) | instskip(SKIP_1) | instid1(VALU_DEP_2)
	v_subrev_nc_u32_e32 v6, 28, v5
	v_sub_nc_u32_e32 v5, 29, v5
	v_lshlrev_b64 v[6:7], v6, v[8:9]
	s_delay_alu instid0(VALU_DEP_1)
	v_and_b32_e32 v8, 7, v6
; %bb.2671:                             ;   in Loop: Header=BB270_2089 Depth=1
	s_or_b32 exec_lo, exec_lo, s3
	v_lshlrev_b32_e32 v6, 24, v4
	s_delay_alu instid0(VALU_DEP_2) | instskip(SKIP_1) | instid1(VALU_DEP_3)
	v_lshlrev_b32_e32 v7, 20, v8
	v_lshl_add_u32 v5, v5, 23, 0x3c000000
	v_and_b32_e32 v6, 0x80000000, v6
	s_delay_alu instid0(VALU_DEP_1)
	v_or3_b32 v8, v7, v6, v5
	scratch_store_b64 off, v[8:9], s32 offset:964 ; 8-byte Folded Spill
.LBB270_2672:                           ;   in Loop: Header=BB270_2089 Depth=1
	s_or_b32 exec_lo, exec_lo, s2
.LBB270_2673:                           ;   in Loop: Header=BB270_2089 Depth=1
	s_delay_alu instid0(SALU_CYCLE_1)
	s_or_b32 exec_lo, exec_lo, s1
.LBB270_2674:                           ;   in Loop: Header=BB270_2089 Depth=1
	s_delay_alu instid0(SALU_CYCLE_1) | instskip(SKIP_2) | instid1(VALU_DEP_1)
	s_or_b32 exec_lo, exec_lo, s0
	v_lshrrev_b16 v5, 8, v4
	s_mov_b32 s0, exec_lo
	v_cmpx_ne_u16_e32 0, v5
	s_cbranch_execz .LBB270_2682
; %bb.2675:                             ;   in Loop: Header=BB270_2089 Depth=1
	v_dual_mov_b32 v6, s10 :: v_dual_mov_b32 v7, s11
	s_mov_b32 s1, exec_lo
	scratch_store_b64 off, v[6:7], s32 offset:956 ; 8-byte Folded Spill
	v_cmpx_ne_u16_e32 0x80, v5
	s_cbranch_execz .LBB270_2681
; %bb.2676:                             ;   in Loop: Header=BB270_2089 Depth=1
	s_mov_b32 s12, s10
	v_and_b32_e32 v5, 0xffff, v5
	v_dual_mov_b32 v7, s12 :: v_dual_mov_b32 v8, s13
	s_mov_b32 s2, exec_lo
	s_delay_alu instid0(VALU_DEP_2)
	v_and_b32_e32 v6, 0x7f, v5
	scratch_store_b64 off, v[7:8], s32 offset:956 ; 8-byte Folded Spill
	v_cmpx_ne_u32_e32 0x7f, v6
	s_cbranch_execz .LBB270_2680
; %bb.2677:                             ;   in Loop: Header=BB270_2089 Depth=1
	v_and_b32_e32 v8, 7, v5
	v_lshrrev_b32_e32 v5, 3, v6
	s_mov_b32 s3, exec_lo
	v_cmpx_gt_u32_e32 8, v6
; %bb.2678:                             ;   in Loop: Header=BB270_2089 Depth=1
	s_delay_alu instid0(VALU_DEP_3) | instskip(NEXT) | instid1(VALU_DEP_1)
	v_clz_i32_u32_e32 v5, v8
	v_min_u32_e32 v5, 32, v5
	s_delay_alu instid0(VALU_DEP_1) | instskip(SKIP_1) | instid1(VALU_DEP_2)
	v_subrev_nc_u32_e32 v6, 28, v5
	v_sub_nc_u32_e32 v5, 29, v5
	v_lshlrev_b64 v[6:7], v6, v[8:9]
	s_delay_alu instid0(VALU_DEP_1)
	v_and_b32_e32 v8, 7, v6
; %bb.2679:                             ;   in Loop: Header=BB270_2089 Depth=1
	s_or_b32 exec_lo, exec_lo, s3
	v_lshlrev_b32_e32 v6, 16, v4
	s_delay_alu instid0(VALU_DEP_2) | instskip(SKIP_1) | instid1(VALU_DEP_3)
	v_lshlrev_b32_e32 v7, 20, v8
	v_lshl_add_u32 v5, v5, 23, 0x3c000000
	v_and_b32_e32 v6, 0x80000000, v6
	s_delay_alu instid0(VALU_DEP_1)
	v_or3_b32 v6, v7, v6, v5
	v_mov_b32_e32 v5, v9
	scratch_store_b64 off, v[5:6], s32 offset:956 ; 8-byte Folded Spill
.LBB270_2680:                           ;   in Loop: Header=BB270_2089 Depth=1
	s_or_b32 exec_lo, exec_lo, s2
.LBB270_2681:                           ;   in Loop: Header=BB270_2089 Depth=1
	s_delay_alu instid0(SALU_CYCLE_1)
	s_or_b32 exec_lo, exec_lo, s1
.LBB270_2682:                           ;   in Loop: Header=BB270_2089 Depth=1
	s_delay_alu instid0(SALU_CYCLE_1)
	s_or_b32 exec_lo, exec_lo, s0
	v_lshrrev_b32_e32 v5, 16, v4
	v_mov_b32_e32 v7, 0
	v_mov_b32_e32 v8, 0
	s_mov_b32 s0, exec_lo
	s_clause 0x1
	scratch_store_b64 off, v[7:8], s32 offset:972
	scratch_store_b64 off, v[7:8], s32 offset:980
	v_and_b32_e32 v6, 0xff, v5
	s_delay_alu instid0(VALU_DEP_1)
	v_cmpx_ne_u16_e32 0, v6
	s_cbranch_execz .LBB270_2690
; %bb.2683:                             ;   in Loop: Header=BB270_2089 Depth=1
	v_cmp_ne_u16_e32 vcc_lo, 0x80, v6
	v_bfrev_b32_e32 v6, 1
	v_mov_b32_e32 v7, 0
	scratch_store_b64 off, v[6:7], s32 offset:980 ; 8-byte Folded Spill
	s_and_saveexec_b32 s1, vcc_lo
	s_cbranch_execz .LBB270_2689
; %bb.2684:                             ;   in Loop: Header=BB270_2089 Depth=1
	v_mov_b32_e32 v10, 0x7f800001
	v_bfe_u32 v7, v4, 16, 7
	v_mov_b32_e32 v11, 0
	s_mov_b32 s2, exec_lo
	scratch_store_b64 off, v[10:11], s32 offset:980 ; 8-byte Folded Spill
	v_cmpx_ne_u32_e32 0x7f, v7
	s_cbranch_execz .LBB270_2688
; %bb.2685:                             ;   in Loop: Header=BB270_2089 Depth=1
	v_and_b32_e32 v8, 7, v5
	v_lshrrev_b32_e32 v6, 3, v7
	s_mov_b32 s3, exec_lo
	v_cmpx_gt_u32_e32 8, v7
; %bb.2686:                             ;   in Loop: Header=BB270_2089 Depth=1
	s_delay_alu instid0(VALU_DEP_3) | instskip(NEXT) | instid1(VALU_DEP_1)
	v_clz_i32_u32_e32 v6, v8
	v_min_u32_e32 v6, 32, v6
	s_delay_alu instid0(VALU_DEP_1) | instskip(SKIP_1) | instid1(VALU_DEP_2)
	v_subrev_nc_u32_e32 v7, 28, v6
	v_sub_nc_u32_e32 v6, 29, v6
	v_lshlrev_b64 v[7:8], v7, v[8:9]
	s_delay_alu instid0(VALU_DEP_1)
	v_and_b32_e32 v8, 7, v7
; %bb.2687:                             ;   in Loop: Header=BB270_2089 Depth=1
	s_or_b32 exec_lo, exec_lo, s3
	v_lshlrev_b32_e32 v5, 24, v5
	s_delay_alu instid0(VALU_DEP_2) | instskip(SKIP_1) | instid1(VALU_DEP_3)
	v_lshlrev_b32_e32 v7, 20, v8
	v_lshl_add_u32 v6, v6, 23, 0x3c000000
	v_and_b32_e32 v5, 0x80000000, v5
	s_delay_alu instid0(VALU_DEP_1)
	v_or3_b32 v8, v7, v5, v6
	scratch_store_b64 off, v[8:9], s32 offset:980 ; 8-byte Folded Spill
.LBB270_2688:                           ;   in Loop: Header=BB270_2089 Depth=1
	s_or_b32 exec_lo, exec_lo, s2
.LBB270_2689:                           ;   in Loop: Header=BB270_2089 Depth=1
	s_delay_alu instid0(SALU_CYCLE_1)
	s_or_b32 exec_lo, exec_lo, s1
.LBB270_2690:                           ;   in Loop: Header=BB270_2089 Depth=1
	s_delay_alu instid0(SALU_CYCLE_1) | instskip(NEXT) | instid1(SALU_CYCLE_1)
	s_or_b32 exec_lo, exec_lo, s0
	s_mov_b32 s0, exec_lo
	v_cmpx_lt_u32_e32 0xffffff, v4
	s_cbranch_execz .LBB270_2698
; %bb.2691:                             ;   in Loop: Header=BB270_2089 Depth=1
	v_lshrrev_b32_e32 v5, 24, v4
	v_dual_mov_b32 v6, s10 :: v_dual_mov_b32 v7, s11
	s_mov_b32 s1, exec_lo
	scratch_store_b64 off, v[6:7], s32 offset:972 ; 8-byte Folded Spill
	v_cmpx_ne_u32_e32 0x80, v5
	s_cbranch_execz .LBB270_2697
; %bb.2692:                             ;   in Loop: Header=BB270_2089 Depth=1
	s_mov_b32 s12, s10
	v_bfe_u32 v6, v4, 24, 7
	v_dual_mov_b32 v7, s12 :: v_dual_mov_b32 v8, s13
	s_mov_b32 s2, exec_lo
	scratch_store_b64 off, v[7:8], s32 offset:972 ; 8-byte Folded Spill
	v_cmpx_ne_u32_e32 0x7f, v6
	s_cbranch_execz .LBB270_2696
; %bb.2693:                             ;   in Loop: Header=BB270_2089 Depth=1
	v_and_b32_e32 v8, 7, v5
	v_lshrrev_b32_e32 v4, 3, v6
	s_mov_b32 s3, exec_lo
	v_cmpx_gt_u32_e32 8, v6
; %bb.2694:                             ;   in Loop: Header=BB270_2089 Depth=1
	s_delay_alu instid0(VALU_DEP_3) | instskip(NEXT) | instid1(VALU_DEP_1)
	v_clz_i32_u32_e32 v4, v8
	v_min_u32_e32 v4, 32, v4
	s_delay_alu instid0(VALU_DEP_1) | instskip(SKIP_1) | instid1(VALU_DEP_2)
	v_subrev_nc_u32_e32 v6, 28, v4
	v_sub_nc_u32_e32 v4, 29, v4
	v_lshlrev_b64 v[6:7], v6, v[8:9]
	s_delay_alu instid0(VALU_DEP_1)
	v_and_b32_e32 v8, 7, v6
; %bb.2695:                             ;   in Loop: Header=BB270_2089 Depth=1
	s_or_b32 exec_lo, exec_lo, s3
	v_lshlrev_b32_e32 v5, 24, v5
	s_delay_alu instid0(VALU_DEP_2) | instskip(SKIP_1) | instid1(VALU_DEP_3)
	v_lshlrev_b32_e32 v6, 20, v8
	v_lshl_add_u32 v4, v4, 23, 0x3c000000
	v_and_b32_e32 v5, 0x80000000, v5
	s_delay_alu instid0(VALU_DEP_1)
	v_or3_b32 v5, v6, v5, v4
	v_mov_b32_e32 v4, v9
	scratch_store_b64 off, v[4:5], s32 offset:972 ; 8-byte Folded Spill
.LBB270_2696:                           ;   in Loop: Header=BB270_2089 Depth=1
	s_or_b32 exec_lo, exec_lo, s2
.LBB270_2697:                           ;   in Loop: Header=BB270_2089 Depth=1
	s_delay_alu instid0(SALU_CYCLE_1)
	s_or_b32 exec_lo, exec_lo, s1
.LBB270_2698:                           ;   in Loop: Header=BB270_2089 Depth=1
	s_delay_alu instid0(SALU_CYCLE_1)
	s_or_b32 exec_lo, exec_lo, s0
	flat_load_b32 v4, v[50:51] offset:2432
	v_mov_b32_e32 v6, 0
	v_mov_b32_e32 v7, 0
	s_mov_b32 s0, exec_lo
	s_clause 0x1
	scratch_store_b64 off, v[6:7], s32 offset:988
	scratch_store_b64 off, v[6:7], s32 offset:996
	s_waitcnt vmcnt(0) lgkmcnt(0)
	v_and_b32_e32 v5, 0xff, v4
	s_delay_alu instid0(VALU_DEP_1)
	v_cmpx_ne_u16_e32 0, v5
	s_cbranch_execz .LBB270_2706
; %bb.2699:                             ;   in Loop: Header=BB270_2089 Depth=1
	v_cmp_ne_u16_e32 vcc_lo, 0x80, v5
	v_bfrev_b32_e32 v5, 1
	v_mov_b32_e32 v6, 0
	scratch_store_b64 off, v[5:6], s32 offset:996 ; 8-byte Folded Spill
	s_and_saveexec_b32 s1, vcc_lo
	s_cbranch_execz .LBB270_2705
; %bb.2700:                             ;   in Loop: Header=BB270_2089 Depth=1
	v_mov_b32_e32 v7, 0x7f800001
	v_and_b32_e32 v6, 0x7f, v4
	v_mov_b32_e32 v8, 0
	s_mov_b32 s2, exec_lo
	scratch_store_b64 off, v[7:8], s32 offset:996 ; 8-byte Folded Spill
	v_cmpx_ne_u32_e32 0x7f, v6
	s_cbranch_execz .LBB270_2704
; %bb.2701:                             ;   in Loop: Header=BB270_2089 Depth=1
	v_and_b32_e32 v8, 7, v4
	v_lshrrev_b32_e32 v5, 3, v6
	s_mov_b32 s3, exec_lo
	v_cmpx_gt_u32_e32 8, v6
; %bb.2702:                             ;   in Loop: Header=BB270_2089 Depth=1
	s_delay_alu instid0(VALU_DEP_3) | instskip(NEXT) | instid1(VALU_DEP_1)
	v_clz_i32_u32_e32 v5, v8
	v_min_u32_e32 v5, 32, v5
	s_delay_alu instid0(VALU_DEP_1) | instskip(SKIP_1) | instid1(VALU_DEP_2)
	v_subrev_nc_u32_e32 v6, 28, v5
	v_sub_nc_u32_e32 v5, 29, v5
	v_lshlrev_b64 v[6:7], v6, v[8:9]
	s_delay_alu instid0(VALU_DEP_1)
	v_and_b32_e32 v8, 7, v6
; %bb.2703:                             ;   in Loop: Header=BB270_2089 Depth=1
	s_or_b32 exec_lo, exec_lo, s3
	v_lshlrev_b32_e32 v6, 24, v4
	s_delay_alu instid0(VALU_DEP_2) | instskip(SKIP_1) | instid1(VALU_DEP_3)
	v_lshlrev_b32_e32 v7, 20, v8
	v_lshl_add_u32 v5, v5, 23, 0x3c000000
	v_and_b32_e32 v6, 0x80000000, v6
	s_delay_alu instid0(VALU_DEP_1)
	v_or3_b32 v8, v7, v6, v5
	scratch_store_b64 off, v[8:9], s32 offset:996 ; 8-byte Folded Spill
.LBB270_2704:                           ;   in Loop: Header=BB270_2089 Depth=1
	s_or_b32 exec_lo, exec_lo, s2
.LBB270_2705:                           ;   in Loop: Header=BB270_2089 Depth=1
	s_delay_alu instid0(SALU_CYCLE_1)
	s_or_b32 exec_lo, exec_lo, s1
.LBB270_2706:                           ;   in Loop: Header=BB270_2089 Depth=1
	s_delay_alu instid0(SALU_CYCLE_1) | instskip(SKIP_2) | instid1(VALU_DEP_1)
	s_or_b32 exec_lo, exec_lo, s0
	v_lshrrev_b16 v5, 8, v4
	s_mov_b32 s0, exec_lo
	v_cmpx_ne_u16_e32 0, v5
	s_cbranch_execz .LBB270_2714
; %bb.2707:                             ;   in Loop: Header=BB270_2089 Depth=1
	v_dual_mov_b32 v6, s10 :: v_dual_mov_b32 v7, s11
	s_mov_b32 s1, exec_lo
	scratch_store_b64 off, v[6:7], s32 offset:988 ; 8-byte Folded Spill
	v_cmpx_ne_u16_e32 0x80, v5
	s_cbranch_execz .LBB270_2713
; %bb.2708:                             ;   in Loop: Header=BB270_2089 Depth=1
	s_mov_b32 s12, s10
	v_and_b32_e32 v5, 0xffff, v5
	v_dual_mov_b32 v7, s12 :: v_dual_mov_b32 v8, s13
	s_mov_b32 s2, exec_lo
	s_delay_alu instid0(VALU_DEP_2)
	v_and_b32_e32 v6, 0x7f, v5
	scratch_store_b64 off, v[7:8], s32 offset:988 ; 8-byte Folded Spill
	v_cmpx_ne_u32_e32 0x7f, v6
	s_cbranch_execz .LBB270_2712
; %bb.2709:                             ;   in Loop: Header=BB270_2089 Depth=1
	v_and_b32_e32 v8, 7, v5
	v_lshrrev_b32_e32 v5, 3, v6
	s_mov_b32 s3, exec_lo
	v_cmpx_gt_u32_e32 8, v6
; %bb.2710:                             ;   in Loop: Header=BB270_2089 Depth=1
	s_delay_alu instid0(VALU_DEP_3) | instskip(NEXT) | instid1(VALU_DEP_1)
	v_clz_i32_u32_e32 v5, v8
	v_min_u32_e32 v5, 32, v5
	s_delay_alu instid0(VALU_DEP_1) | instskip(SKIP_1) | instid1(VALU_DEP_2)
	v_subrev_nc_u32_e32 v6, 28, v5
	v_sub_nc_u32_e32 v5, 29, v5
	v_lshlrev_b64 v[6:7], v6, v[8:9]
	s_delay_alu instid0(VALU_DEP_1)
	v_and_b32_e32 v8, 7, v6
; %bb.2711:                             ;   in Loop: Header=BB270_2089 Depth=1
	s_or_b32 exec_lo, exec_lo, s3
	v_lshlrev_b32_e32 v6, 16, v4
	s_delay_alu instid0(VALU_DEP_2) | instskip(SKIP_1) | instid1(VALU_DEP_3)
	v_lshlrev_b32_e32 v7, 20, v8
	v_lshl_add_u32 v5, v5, 23, 0x3c000000
	v_and_b32_e32 v6, 0x80000000, v6
	s_delay_alu instid0(VALU_DEP_1)
	v_or3_b32 v6, v7, v6, v5
	v_mov_b32_e32 v5, v9
	scratch_store_b64 off, v[5:6], s32 offset:988 ; 8-byte Folded Spill
.LBB270_2712:                           ;   in Loop: Header=BB270_2089 Depth=1
	s_or_b32 exec_lo, exec_lo, s2
.LBB270_2713:                           ;   in Loop: Header=BB270_2089 Depth=1
	s_delay_alu instid0(SALU_CYCLE_1)
	s_or_b32 exec_lo, exec_lo, s1
.LBB270_2714:                           ;   in Loop: Header=BB270_2089 Depth=1
	s_delay_alu instid0(SALU_CYCLE_1)
	s_or_b32 exec_lo, exec_lo, s0
	v_lshrrev_b32_e32 v5, 16, v4
	v_mov_b32_e32 v7, 0
	v_mov_b32_e32 v8, 0
	s_mov_b32 s0, exec_lo
	s_clause 0x1
	scratch_store_b64 off, v[7:8], s32 offset:1004
	scratch_store_b64 off, v[7:8], s32 offset:1012
	v_and_b32_e32 v6, 0xff, v5
	s_delay_alu instid0(VALU_DEP_1)
	v_cmpx_ne_u16_e32 0, v6
	s_cbranch_execz .LBB270_2722
; %bb.2715:                             ;   in Loop: Header=BB270_2089 Depth=1
	v_cmp_ne_u16_e32 vcc_lo, 0x80, v6
	v_bfrev_b32_e32 v6, 1
	v_mov_b32_e32 v7, 0
	scratch_store_b64 off, v[6:7], s32 offset:1012 ; 8-byte Folded Spill
	s_and_saveexec_b32 s1, vcc_lo
	s_cbranch_execz .LBB270_2721
; %bb.2716:                             ;   in Loop: Header=BB270_2089 Depth=1
	v_mov_b32_e32 v10, 0x7f800001
	v_bfe_u32 v7, v4, 16, 7
	v_mov_b32_e32 v11, 0
	s_mov_b32 s2, exec_lo
	scratch_store_b64 off, v[10:11], s32 offset:1012 ; 8-byte Folded Spill
	v_cmpx_ne_u32_e32 0x7f, v7
	s_cbranch_execz .LBB270_2720
; %bb.2717:                             ;   in Loop: Header=BB270_2089 Depth=1
	v_and_b32_e32 v8, 7, v5
	v_lshrrev_b32_e32 v6, 3, v7
	s_mov_b32 s3, exec_lo
	v_cmpx_gt_u32_e32 8, v7
; %bb.2718:                             ;   in Loop: Header=BB270_2089 Depth=1
	s_delay_alu instid0(VALU_DEP_3) | instskip(NEXT) | instid1(VALU_DEP_1)
	v_clz_i32_u32_e32 v6, v8
	v_min_u32_e32 v6, 32, v6
	s_delay_alu instid0(VALU_DEP_1) | instskip(SKIP_1) | instid1(VALU_DEP_2)
	v_subrev_nc_u32_e32 v7, 28, v6
	v_sub_nc_u32_e32 v6, 29, v6
	v_lshlrev_b64 v[7:8], v7, v[8:9]
	s_delay_alu instid0(VALU_DEP_1)
	v_and_b32_e32 v8, 7, v7
; %bb.2719:                             ;   in Loop: Header=BB270_2089 Depth=1
	s_or_b32 exec_lo, exec_lo, s3
	v_lshlrev_b32_e32 v5, 24, v5
	s_delay_alu instid0(VALU_DEP_2) | instskip(SKIP_1) | instid1(VALU_DEP_3)
	v_lshlrev_b32_e32 v7, 20, v8
	v_lshl_add_u32 v6, v6, 23, 0x3c000000
	v_and_b32_e32 v5, 0x80000000, v5
	s_delay_alu instid0(VALU_DEP_1)
	v_or3_b32 v8, v7, v5, v6
	scratch_store_b64 off, v[8:9], s32 offset:1012 ; 8-byte Folded Spill
.LBB270_2720:                           ;   in Loop: Header=BB270_2089 Depth=1
	s_or_b32 exec_lo, exec_lo, s2
.LBB270_2721:                           ;   in Loop: Header=BB270_2089 Depth=1
	s_delay_alu instid0(SALU_CYCLE_1)
	s_or_b32 exec_lo, exec_lo, s1
.LBB270_2722:                           ;   in Loop: Header=BB270_2089 Depth=1
	s_delay_alu instid0(SALU_CYCLE_1) | instskip(NEXT) | instid1(SALU_CYCLE_1)
	s_or_b32 exec_lo, exec_lo, s0
	s_mov_b32 s0, exec_lo
	v_cmpx_lt_u32_e32 0xffffff, v4
	s_cbranch_execz .LBB270_2730
; %bb.2723:                             ;   in Loop: Header=BB270_2089 Depth=1
	v_lshrrev_b32_e32 v5, 24, v4
	v_dual_mov_b32 v6, s10 :: v_dual_mov_b32 v7, s11
	s_mov_b32 s1, exec_lo
	scratch_store_b64 off, v[6:7], s32 offset:1004 ; 8-byte Folded Spill
	v_cmpx_ne_u32_e32 0x80, v5
	s_cbranch_execz .LBB270_2729
; %bb.2724:                             ;   in Loop: Header=BB270_2089 Depth=1
	s_mov_b32 s12, s10
	v_bfe_u32 v6, v4, 24, 7
	v_dual_mov_b32 v7, s12 :: v_dual_mov_b32 v8, s13
	s_mov_b32 s2, exec_lo
	scratch_store_b64 off, v[7:8], s32 offset:1004 ; 8-byte Folded Spill
	v_cmpx_ne_u32_e32 0x7f, v6
	s_cbranch_execz .LBB270_2728
; %bb.2725:                             ;   in Loop: Header=BB270_2089 Depth=1
	v_and_b32_e32 v8, 7, v5
	v_lshrrev_b32_e32 v4, 3, v6
	s_mov_b32 s3, exec_lo
	v_cmpx_gt_u32_e32 8, v6
; %bb.2726:                             ;   in Loop: Header=BB270_2089 Depth=1
	s_delay_alu instid0(VALU_DEP_3) | instskip(NEXT) | instid1(VALU_DEP_1)
	v_clz_i32_u32_e32 v4, v8
	v_min_u32_e32 v4, 32, v4
	s_delay_alu instid0(VALU_DEP_1) | instskip(SKIP_1) | instid1(VALU_DEP_2)
	v_subrev_nc_u32_e32 v6, 28, v4
	v_sub_nc_u32_e32 v4, 29, v4
	v_lshlrev_b64 v[6:7], v6, v[8:9]
	s_delay_alu instid0(VALU_DEP_1)
	v_and_b32_e32 v8, 7, v6
; %bb.2727:                             ;   in Loop: Header=BB270_2089 Depth=1
	s_or_b32 exec_lo, exec_lo, s3
	v_lshlrev_b32_e32 v5, 24, v5
	s_delay_alu instid0(VALU_DEP_2) | instskip(SKIP_1) | instid1(VALU_DEP_3)
	v_lshlrev_b32_e32 v6, 20, v8
	v_lshl_add_u32 v4, v4, 23, 0x3c000000
	v_and_b32_e32 v5, 0x80000000, v5
	s_delay_alu instid0(VALU_DEP_1)
	v_or3_b32 v5, v6, v5, v4
	v_mov_b32_e32 v4, v9
	scratch_store_b64 off, v[4:5], s32 offset:1004 ; 8-byte Folded Spill
.LBB270_2728:                           ;   in Loop: Header=BB270_2089 Depth=1
	s_or_b32 exec_lo, exec_lo, s2
.LBB270_2729:                           ;   in Loop: Header=BB270_2089 Depth=1
	s_delay_alu instid0(SALU_CYCLE_1)
	s_or_b32 exec_lo, exec_lo, s1
.LBB270_2730:                           ;   in Loop: Header=BB270_2089 Depth=1
	s_delay_alu instid0(SALU_CYCLE_1)
	s_or_b32 exec_lo, exec_lo, s0
	flat_load_b32 v4, v[50:51] offset:2560
	v_mov_b32_e32 v6, 0
	v_mov_b32_e32 v7, 0
	s_mov_b32 s0, exec_lo
	s_clause 0x1
	scratch_store_b64 off, v[6:7], s32 offset:1020
	scratch_store_b64 off, v[6:7], s32 offset:1028
	s_waitcnt vmcnt(0) lgkmcnt(0)
	v_and_b32_e32 v5, 0xff, v4
	s_delay_alu instid0(VALU_DEP_1)
	v_cmpx_ne_u16_e32 0, v5
	s_cbranch_execz .LBB270_2738
; %bb.2731:                             ;   in Loop: Header=BB270_2089 Depth=1
	v_cmp_ne_u16_e32 vcc_lo, 0x80, v5
	v_bfrev_b32_e32 v5, 1
	v_mov_b32_e32 v6, 0
	scratch_store_b64 off, v[5:6], s32 offset:1028 ; 8-byte Folded Spill
	s_and_saveexec_b32 s1, vcc_lo
	s_cbranch_execz .LBB270_2737
; %bb.2732:                             ;   in Loop: Header=BB270_2089 Depth=1
	v_mov_b32_e32 v7, 0x7f800001
	v_and_b32_e32 v6, 0x7f, v4
	v_mov_b32_e32 v8, 0
	s_mov_b32 s2, exec_lo
	scratch_store_b64 off, v[7:8], s32 offset:1028 ; 8-byte Folded Spill
	v_cmpx_ne_u32_e32 0x7f, v6
	s_cbranch_execz .LBB270_2736
; %bb.2733:                             ;   in Loop: Header=BB270_2089 Depth=1
	v_and_b32_e32 v8, 7, v4
	v_lshrrev_b32_e32 v5, 3, v6
	s_mov_b32 s3, exec_lo
	v_cmpx_gt_u32_e32 8, v6
; %bb.2734:                             ;   in Loop: Header=BB270_2089 Depth=1
	s_delay_alu instid0(VALU_DEP_3) | instskip(NEXT) | instid1(VALU_DEP_1)
	v_clz_i32_u32_e32 v5, v8
	v_min_u32_e32 v5, 32, v5
	s_delay_alu instid0(VALU_DEP_1) | instskip(SKIP_1) | instid1(VALU_DEP_2)
	v_subrev_nc_u32_e32 v6, 28, v5
	v_sub_nc_u32_e32 v5, 29, v5
	v_lshlrev_b64 v[6:7], v6, v[8:9]
	s_delay_alu instid0(VALU_DEP_1)
	v_and_b32_e32 v8, 7, v6
; %bb.2735:                             ;   in Loop: Header=BB270_2089 Depth=1
	s_or_b32 exec_lo, exec_lo, s3
	v_lshlrev_b32_e32 v6, 24, v4
	s_delay_alu instid0(VALU_DEP_2) | instskip(SKIP_1) | instid1(VALU_DEP_3)
	v_lshlrev_b32_e32 v7, 20, v8
	v_lshl_add_u32 v5, v5, 23, 0x3c000000
	v_and_b32_e32 v6, 0x80000000, v6
	s_delay_alu instid0(VALU_DEP_1)
	v_or3_b32 v8, v7, v6, v5
	scratch_store_b64 off, v[8:9], s32 offset:1028 ; 8-byte Folded Spill
.LBB270_2736:                           ;   in Loop: Header=BB270_2089 Depth=1
	s_or_b32 exec_lo, exec_lo, s2
.LBB270_2737:                           ;   in Loop: Header=BB270_2089 Depth=1
	s_delay_alu instid0(SALU_CYCLE_1)
	s_or_b32 exec_lo, exec_lo, s1
.LBB270_2738:                           ;   in Loop: Header=BB270_2089 Depth=1
	s_delay_alu instid0(SALU_CYCLE_1) | instskip(SKIP_2) | instid1(VALU_DEP_1)
	s_or_b32 exec_lo, exec_lo, s0
	v_lshrrev_b16 v5, 8, v4
	s_mov_b32 s0, exec_lo
	v_cmpx_ne_u16_e32 0, v5
	s_cbranch_execz .LBB270_2746
; %bb.2739:                             ;   in Loop: Header=BB270_2089 Depth=1
	v_dual_mov_b32 v6, s10 :: v_dual_mov_b32 v7, s11
	s_mov_b32 s1, exec_lo
	scratch_store_b64 off, v[6:7], s32 offset:1020 ; 8-byte Folded Spill
	v_cmpx_ne_u16_e32 0x80, v5
	s_cbranch_execz .LBB270_2745
; %bb.2740:                             ;   in Loop: Header=BB270_2089 Depth=1
	s_mov_b32 s12, s10
	v_and_b32_e32 v5, 0xffff, v5
	v_dual_mov_b32 v7, s12 :: v_dual_mov_b32 v8, s13
	s_mov_b32 s2, exec_lo
	s_delay_alu instid0(VALU_DEP_2)
	v_and_b32_e32 v6, 0x7f, v5
	scratch_store_b64 off, v[7:8], s32 offset:1020 ; 8-byte Folded Spill
	v_cmpx_ne_u32_e32 0x7f, v6
	s_cbranch_execz .LBB270_2744
; %bb.2741:                             ;   in Loop: Header=BB270_2089 Depth=1
	v_and_b32_e32 v8, 7, v5
	v_lshrrev_b32_e32 v5, 3, v6
	s_mov_b32 s3, exec_lo
	v_cmpx_gt_u32_e32 8, v6
; %bb.2742:                             ;   in Loop: Header=BB270_2089 Depth=1
	s_delay_alu instid0(VALU_DEP_3) | instskip(NEXT) | instid1(VALU_DEP_1)
	v_clz_i32_u32_e32 v5, v8
	v_min_u32_e32 v5, 32, v5
	s_delay_alu instid0(VALU_DEP_1) | instskip(SKIP_1) | instid1(VALU_DEP_2)
	v_subrev_nc_u32_e32 v6, 28, v5
	v_sub_nc_u32_e32 v5, 29, v5
	v_lshlrev_b64 v[6:7], v6, v[8:9]
	s_delay_alu instid0(VALU_DEP_1)
	v_and_b32_e32 v8, 7, v6
; %bb.2743:                             ;   in Loop: Header=BB270_2089 Depth=1
	s_or_b32 exec_lo, exec_lo, s3
	v_lshlrev_b32_e32 v6, 16, v4
	s_delay_alu instid0(VALU_DEP_2) | instskip(SKIP_1) | instid1(VALU_DEP_3)
	v_lshlrev_b32_e32 v7, 20, v8
	v_lshl_add_u32 v5, v5, 23, 0x3c000000
	v_and_b32_e32 v6, 0x80000000, v6
	s_delay_alu instid0(VALU_DEP_1)
	v_or3_b32 v6, v7, v6, v5
	v_mov_b32_e32 v5, v9
	scratch_store_b64 off, v[5:6], s32 offset:1020 ; 8-byte Folded Spill
.LBB270_2744:                           ;   in Loop: Header=BB270_2089 Depth=1
	s_or_b32 exec_lo, exec_lo, s2
.LBB270_2745:                           ;   in Loop: Header=BB270_2089 Depth=1
	s_delay_alu instid0(SALU_CYCLE_1)
	s_or_b32 exec_lo, exec_lo, s1
.LBB270_2746:                           ;   in Loop: Header=BB270_2089 Depth=1
	s_delay_alu instid0(SALU_CYCLE_1)
	s_or_b32 exec_lo, exec_lo, s0
	v_lshrrev_b32_e32 v5, 16, v4
	v_mov_b32_e32 v7, 0
	v_mov_b32_e32 v8, 0
	s_mov_b32 s0, exec_lo
	s_clause 0x1
	scratch_store_b64 off, v[7:8], s32 offset:1036
	scratch_store_b64 off, v[7:8], s32 offset:1044
	v_and_b32_e32 v6, 0xff, v5
	s_delay_alu instid0(VALU_DEP_1)
	v_cmpx_ne_u16_e32 0, v6
	s_cbranch_execz .LBB270_2754
; %bb.2747:                             ;   in Loop: Header=BB270_2089 Depth=1
	v_cmp_ne_u16_e32 vcc_lo, 0x80, v6
	v_bfrev_b32_e32 v6, 1
	v_mov_b32_e32 v7, 0
	scratch_store_b64 off, v[6:7], s32 offset:1044 ; 8-byte Folded Spill
	s_and_saveexec_b32 s1, vcc_lo
	s_cbranch_execz .LBB270_2753
; %bb.2748:                             ;   in Loop: Header=BB270_2089 Depth=1
	v_mov_b32_e32 v10, 0x7f800001
	v_bfe_u32 v7, v4, 16, 7
	v_mov_b32_e32 v11, 0
	s_mov_b32 s2, exec_lo
	scratch_store_b64 off, v[10:11], s32 offset:1044 ; 8-byte Folded Spill
	v_cmpx_ne_u32_e32 0x7f, v7
	s_cbranch_execz .LBB270_2752
; %bb.2749:                             ;   in Loop: Header=BB270_2089 Depth=1
	v_and_b32_e32 v8, 7, v5
	v_lshrrev_b32_e32 v6, 3, v7
	s_mov_b32 s3, exec_lo
	v_cmpx_gt_u32_e32 8, v7
; %bb.2750:                             ;   in Loop: Header=BB270_2089 Depth=1
	s_delay_alu instid0(VALU_DEP_3) | instskip(NEXT) | instid1(VALU_DEP_1)
	v_clz_i32_u32_e32 v6, v8
	v_min_u32_e32 v6, 32, v6
	s_delay_alu instid0(VALU_DEP_1) | instskip(SKIP_1) | instid1(VALU_DEP_2)
	v_subrev_nc_u32_e32 v7, 28, v6
	v_sub_nc_u32_e32 v6, 29, v6
	v_lshlrev_b64 v[7:8], v7, v[8:9]
	s_delay_alu instid0(VALU_DEP_1)
	v_and_b32_e32 v8, 7, v7
; %bb.2751:                             ;   in Loop: Header=BB270_2089 Depth=1
	s_or_b32 exec_lo, exec_lo, s3
	v_lshlrev_b32_e32 v5, 24, v5
	s_delay_alu instid0(VALU_DEP_2) | instskip(SKIP_1) | instid1(VALU_DEP_3)
	v_lshlrev_b32_e32 v7, 20, v8
	v_lshl_add_u32 v6, v6, 23, 0x3c000000
	v_and_b32_e32 v5, 0x80000000, v5
	s_delay_alu instid0(VALU_DEP_1)
	v_or3_b32 v8, v7, v5, v6
	scratch_store_b64 off, v[8:9], s32 offset:1044 ; 8-byte Folded Spill
.LBB270_2752:                           ;   in Loop: Header=BB270_2089 Depth=1
	s_or_b32 exec_lo, exec_lo, s2
.LBB270_2753:                           ;   in Loop: Header=BB270_2089 Depth=1
	s_delay_alu instid0(SALU_CYCLE_1)
	s_or_b32 exec_lo, exec_lo, s1
.LBB270_2754:                           ;   in Loop: Header=BB270_2089 Depth=1
	s_delay_alu instid0(SALU_CYCLE_1) | instskip(NEXT) | instid1(SALU_CYCLE_1)
	s_or_b32 exec_lo, exec_lo, s0
	s_mov_b32 s0, exec_lo
	v_cmpx_lt_u32_e32 0xffffff, v4
	s_cbranch_execz .LBB270_2762
; %bb.2755:                             ;   in Loop: Header=BB270_2089 Depth=1
	v_lshrrev_b32_e32 v5, 24, v4
	v_dual_mov_b32 v6, s10 :: v_dual_mov_b32 v7, s11
	s_mov_b32 s1, exec_lo
	scratch_store_b64 off, v[6:7], s32 offset:1036 ; 8-byte Folded Spill
	v_cmpx_ne_u32_e32 0x80, v5
	s_cbranch_execz .LBB270_2761
; %bb.2756:                             ;   in Loop: Header=BB270_2089 Depth=1
	s_mov_b32 s12, s10
	v_bfe_u32 v6, v4, 24, 7
	v_dual_mov_b32 v7, s12 :: v_dual_mov_b32 v8, s13
	s_mov_b32 s2, exec_lo
	scratch_store_b64 off, v[7:8], s32 offset:1036 ; 8-byte Folded Spill
	v_cmpx_ne_u32_e32 0x7f, v6
	s_cbranch_execz .LBB270_2760
; %bb.2757:                             ;   in Loop: Header=BB270_2089 Depth=1
	v_and_b32_e32 v8, 7, v5
	v_lshrrev_b32_e32 v4, 3, v6
	s_mov_b32 s3, exec_lo
	v_cmpx_gt_u32_e32 8, v6
; %bb.2758:                             ;   in Loop: Header=BB270_2089 Depth=1
	s_delay_alu instid0(VALU_DEP_3) | instskip(NEXT) | instid1(VALU_DEP_1)
	v_clz_i32_u32_e32 v4, v8
	v_min_u32_e32 v4, 32, v4
	s_delay_alu instid0(VALU_DEP_1) | instskip(SKIP_1) | instid1(VALU_DEP_2)
	v_subrev_nc_u32_e32 v6, 28, v4
	v_sub_nc_u32_e32 v4, 29, v4
	v_lshlrev_b64 v[6:7], v6, v[8:9]
	s_delay_alu instid0(VALU_DEP_1)
	v_and_b32_e32 v8, 7, v6
; %bb.2759:                             ;   in Loop: Header=BB270_2089 Depth=1
	s_or_b32 exec_lo, exec_lo, s3
	v_lshlrev_b32_e32 v5, 24, v5
	s_delay_alu instid0(VALU_DEP_2) | instskip(SKIP_1) | instid1(VALU_DEP_3)
	v_lshlrev_b32_e32 v6, 20, v8
	v_lshl_add_u32 v4, v4, 23, 0x3c000000
	v_and_b32_e32 v5, 0x80000000, v5
	s_delay_alu instid0(VALU_DEP_1)
	v_or3_b32 v5, v6, v5, v4
	v_mov_b32_e32 v4, v9
	scratch_store_b64 off, v[4:5], s32 offset:1036 ; 8-byte Folded Spill
.LBB270_2760:                           ;   in Loop: Header=BB270_2089 Depth=1
	s_or_b32 exec_lo, exec_lo, s2
.LBB270_2761:                           ;   in Loop: Header=BB270_2089 Depth=1
	s_delay_alu instid0(SALU_CYCLE_1)
	s_or_b32 exec_lo, exec_lo, s1
.LBB270_2762:                           ;   in Loop: Header=BB270_2089 Depth=1
	s_delay_alu instid0(SALU_CYCLE_1)
	s_or_b32 exec_lo, exec_lo, s0
	flat_load_b32 v4, v[50:51] offset:2688
	v_mov_b32_e32 v6, 0
	v_mov_b32_e32 v7, 0
	s_mov_b32 s0, exec_lo
	s_clause 0x1
	scratch_store_b64 off, v[6:7], s32 offset:1052
	scratch_store_b64 off, v[6:7], s32 offset:1060
	s_waitcnt vmcnt(0) lgkmcnt(0)
	v_and_b32_e32 v5, 0xff, v4
	s_delay_alu instid0(VALU_DEP_1)
	v_cmpx_ne_u16_e32 0, v5
	s_cbranch_execz .LBB270_2770
; %bb.2763:                             ;   in Loop: Header=BB270_2089 Depth=1
	v_cmp_ne_u16_e32 vcc_lo, 0x80, v5
	v_bfrev_b32_e32 v5, 1
	v_mov_b32_e32 v6, 0
	scratch_store_b64 off, v[5:6], s32 offset:1060 ; 8-byte Folded Spill
	s_and_saveexec_b32 s1, vcc_lo
	s_cbranch_execz .LBB270_2769
; %bb.2764:                             ;   in Loop: Header=BB270_2089 Depth=1
	v_mov_b32_e32 v7, 0x7f800001
	v_and_b32_e32 v6, 0x7f, v4
	v_mov_b32_e32 v8, 0
	s_mov_b32 s2, exec_lo
	scratch_store_b64 off, v[7:8], s32 offset:1060 ; 8-byte Folded Spill
	v_cmpx_ne_u32_e32 0x7f, v6
	s_cbranch_execz .LBB270_2768
; %bb.2765:                             ;   in Loop: Header=BB270_2089 Depth=1
	v_and_b32_e32 v8, 7, v4
	v_lshrrev_b32_e32 v5, 3, v6
	s_mov_b32 s3, exec_lo
	v_cmpx_gt_u32_e32 8, v6
; %bb.2766:                             ;   in Loop: Header=BB270_2089 Depth=1
	s_delay_alu instid0(VALU_DEP_3) | instskip(NEXT) | instid1(VALU_DEP_1)
	v_clz_i32_u32_e32 v5, v8
	v_min_u32_e32 v5, 32, v5
	s_delay_alu instid0(VALU_DEP_1) | instskip(SKIP_1) | instid1(VALU_DEP_2)
	v_subrev_nc_u32_e32 v6, 28, v5
	v_sub_nc_u32_e32 v5, 29, v5
	v_lshlrev_b64 v[6:7], v6, v[8:9]
	s_delay_alu instid0(VALU_DEP_1)
	v_and_b32_e32 v8, 7, v6
; %bb.2767:                             ;   in Loop: Header=BB270_2089 Depth=1
	s_or_b32 exec_lo, exec_lo, s3
	v_lshlrev_b32_e32 v6, 24, v4
	s_delay_alu instid0(VALU_DEP_2) | instskip(SKIP_1) | instid1(VALU_DEP_3)
	v_lshlrev_b32_e32 v7, 20, v8
	v_lshl_add_u32 v5, v5, 23, 0x3c000000
	v_and_b32_e32 v6, 0x80000000, v6
	s_delay_alu instid0(VALU_DEP_1)
	v_or3_b32 v8, v7, v6, v5
	scratch_store_b64 off, v[8:9], s32 offset:1060 ; 8-byte Folded Spill
.LBB270_2768:                           ;   in Loop: Header=BB270_2089 Depth=1
	s_or_b32 exec_lo, exec_lo, s2
.LBB270_2769:                           ;   in Loop: Header=BB270_2089 Depth=1
	s_delay_alu instid0(SALU_CYCLE_1)
	s_or_b32 exec_lo, exec_lo, s1
.LBB270_2770:                           ;   in Loop: Header=BB270_2089 Depth=1
	s_delay_alu instid0(SALU_CYCLE_1) | instskip(SKIP_2) | instid1(VALU_DEP_1)
	s_or_b32 exec_lo, exec_lo, s0
	v_lshrrev_b16 v5, 8, v4
	s_mov_b32 s0, exec_lo
	v_cmpx_ne_u16_e32 0, v5
	s_cbranch_execz .LBB270_2778
; %bb.2771:                             ;   in Loop: Header=BB270_2089 Depth=1
	v_dual_mov_b32 v6, s10 :: v_dual_mov_b32 v7, s11
	s_mov_b32 s1, exec_lo
	scratch_store_b64 off, v[6:7], s32 offset:1052 ; 8-byte Folded Spill
	v_cmpx_ne_u16_e32 0x80, v5
	s_cbranch_execz .LBB270_2777
; %bb.2772:                             ;   in Loop: Header=BB270_2089 Depth=1
	s_mov_b32 s12, s10
	v_and_b32_e32 v5, 0xffff, v5
	v_dual_mov_b32 v7, s12 :: v_dual_mov_b32 v8, s13
	s_mov_b32 s2, exec_lo
	s_delay_alu instid0(VALU_DEP_2)
	v_and_b32_e32 v6, 0x7f, v5
	scratch_store_b64 off, v[7:8], s32 offset:1052 ; 8-byte Folded Spill
	v_cmpx_ne_u32_e32 0x7f, v6
	s_cbranch_execz .LBB270_2776
; %bb.2773:                             ;   in Loop: Header=BB270_2089 Depth=1
	v_and_b32_e32 v8, 7, v5
	v_lshrrev_b32_e32 v5, 3, v6
	s_mov_b32 s3, exec_lo
	v_cmpx_gt_u32_e32 8, v6
; %bb.2774:                             ;   in Loop: Header=BB270_2089 Depth=1
	s_delay_alu instid0(VALU_DEP_3) | instskip(NEXT) | instid1(VALU_DEP_1)
	v_clz_i32_u32_e32 v5, v8
	v_min_u32_e32 v5, 32, v5
	s_delay_alu instid0(VALU_DEP_1) | instskip(SKIP_1) | instid1(VALU_DEP_2)
	v_subrev_nc_u32_e32 v6, 28, v5
	v_sub_nc_u32_e32 v5, 29, v5
	v_lshlrev_b64 v[6:7], v6, v[8:9]
	s_delay_alu instid0(VALU_DEP_1)
	v_and_b32_e32 v8, 7, v6
; %bb.2775:                             ;   in Loop: Header=BB270_2089 Depth=1
	s_or_b32 exec_lo, exec_lo, s3
	v_lshlrev_b32_e32 v6, 16, v4
	s_delay_alu instid0(VALU_DEP_2) | instskip(SKIP_1) | instid1(VALU_DEP_3)
	v_lshlrev_b32_e32 v7, 20, v8
	v_lshl_add_u32 v5, v5, 23, 0x3c000000
	v_and_b32_e32 v6, 0x80000000, v6
	s_delay_alu instid0(VALU_DEP_1)
	v_or3_b32 v6, v7, v6, v5
	v_mov_b32_e32 v5, v9
	scratch_store_b64 off, v[5:6], s32 offset:1052 ; 8-byte Folded Spill
.LBB270_2776:                           ;   in Loop: Header=BB270_2089 Depth=1
	s_or_b32 exec_lo, exec_lo, s2
.LBB270_2777:                           ;   in Loop: Header=BB270_2089 Depth=1
	s_delay_alu instid0(SALU_CYCLE_1)
	s_or_b32 exec_lo, exec_lo, s1
.LBB270_2778:                           ;   in Loop: Header=BB270_2089 Depth=1
	s_delay_alu instid0(SALU_CYCLE_1)
	s_or_b32 exec_lo, exec_lo, s0
	v_lshrrev_b32_e32 v5, 16, v4
	v_mov_b32_e32 v7, 0
	v_mov_b32_e32 v8, 0
	s_mov_b32 s0, exec_lo
	s_clause 0x1
	scratch_store_b64 off, v[7:8], s32 offset:1068
	scratch_store_b64 off, v[7:8], s32 offset:1076
	v_and_b32_e32 v6, 0xff, v5
	s_delay_alu instid0(VALU_DEP_1)
	v_cmpx_ne_u16_e32 0, v6
	s_cbranch_execz .LBB270_2786
; %bb.2779:                             ;   in Loop: Header=BB270_2089 Depth=1
	v_cmp_ne_u16_e32 vcc_lo, 0x80, v6
	v_bfrev_b32_e32 v6, 1
	v_mov_b32_e32 v7, 0
	scratch_store_b64 off, v[6:7], s32 offset:1076 ; 8-byte Folded Spill
	s_and_saveexec_b32 s1, vcc_lo
	s_cbranch_execz .LBB270_2785
; %bb.2780:                             ;   in Loop: Header=BB270_2089 Depth=1
	v_mov_b32_e32 v10, 0x7f800001
	v_bfe_u32 v7, v4, 16, 7
	v_mov_b32_e32 v11, 0
	s_mov_b32 s2, exec_lo
	scratch_store_b64 off, v[10:11], s32 offset:1076 ; 8-byte Folded Spill
	v_cmpx_ne_u32_e32 0x7f, v7
	s_cbranch_execz .LBB270_2784
; %bb.2781:                             ;   in Loop: Header=BB270_2089 Depth=1
	v_and_b32_e32 v8, 7, v5
	v_lshrrev_b32_e32 v6, 3, v7
	s_mov_b32 s3, exec_lo
	v_cmpx_gt_u32_e32 8, v7
; %bb.2782:                             ;   in Loop: Header=BB270_2089 Depth=1
	s_delay_alu instid0(VALU_DEP_3) | instskip(NEXT) | instid1(VALU_DEP_1)
	v_clz_i32_u32_e32 v6, v8
	v_min_u32_e32 v6, 32, v6
	s_delay_alu instid0(VALU_DEP_1) | instskip(SKIP_1) | instid1(VALU_DEP_2)
	v_subrev_nc_u32_e32 v7, 28, v6
	v_sub_nc_u32_e32 v6, 29, v6
	v_lshlrev_b64 v[7:8], v7, v[8:9]
	s_delay_alu instid0(VALU_DEP_1)
	v_and_b32_e32 v8, 7, v7
; %bb.2783:                             ;   in Loop: Header=BB270_2089 Depth=1
	s_or_b32 exec_lo, exec_lo, s3
	v_lshlrev_b32_e32 v5, 24, v5
	s_delay_alu instid0(VALU_DEP_2) | instskip(SKIP_1) | instid1(VALU_DEP_3)
	v_lshlrev_b32_e32 v7, 20, v8
	v_lshl_add_u32 v6, v6, 23, 0x3c000000
	v_and_b32_e32 v5, 0x80000000, v5
	s_delay_alu instid0(VALU_DEP_1)
	v_or3_b32 v8, v7, v5, v6
	scratch_store_b64 off, v[8:9], s32 offset:1076 ; 8-byte Folded Spill
.LBB270_2784:                           ;   in Loop: Header=BB270_2089 Depth=1
	s_or_b32 exec_lo, exec_lo, s2
.LBB270_2785:                           ;   in Loop: Header=BB270_2089 Depth=1
	s_delay_alu instid0(SALU_CYCLE_1)
	s_or_b32 exec_lo, exec_lo, s1
.LBB270_2786:                           ;   in Loop: Header=BB270_2089 Depth=1
	s_delay_alu instid0(SALU_CYCLE_1) | instskip(NEXT) | instid1(SALU_CYCLE_1)
	s_or_b32 exec_lo, exec_lo, s0
	s_mov_b32 s0, exec_lo
	v_cmpx_lt_u32_e32 0xffffff, v4
	s_cbranch_execz .LBB270_2794
; %bb.2787:                             ;   in Loop: Header=BB270_2089 Depth=1
	v_lshrrev_b32_e32 v5, 24, v4
	v_dual_mov_b32 v6, s10 :: v_dual_mov_b32 v7, s11
	s_mov_b32 s1, exec_lo
	scratch_store_b64 off, v[6:7], s32 offset:1068 ; 8-byte Folded Spill
	v_cmpx_ne_u32_e32 0x80, v5
	s_cbranch_execz .LBB270_2793
; %bb.2788:                             ;   in Loop: Header=BB270_2089 Depth=1
	s_mov_b32 s12, s10
	v_bfe_u32 v6, v4, 24, 7
	v_dual_mov_b32 v7, s12 :: v_dual_mov_b32 v8, s13
	s_mov_b32 s2, exec_lo
	scratch_store_b64 off, v[7:8], s32 offset:1068 ; 8-byte Folded Spill
	v_cmpx_ne_u32_e32 0x7f, v6
	s_cbranch_execz .LBB270_2792
; %bb.2789:                             ;   in Loop: Header=BB270_2089 Depth=1
	v_and_b32_e32 v8, 7, v5
	v_lshrrev_b32_e32 v4, 3, v6
	s_mov_b32 s3, exec_lo
	v_cmpx_gt_u32_e32 8, v6
; %bb.2790:                             ;   in Loop: Header=BB270_2089 Depth=1
	s_delay_alu instid0(VALU_DEP_3) | instskip(NEXT) | instid1(VALU_DEP_1)
	v_clz_i32_u32_e32 v4, v8
	v_min_u32_e32 v4, 32, v4
	s_delay_alu instid0(VALU_DEP_1) | instskip(SKIP_1) | instid1(VALU_DEP_2)
	v_subrev_nc_u32_e32 v6, 28, v4
	v_sub_nc_u32_e32 v4, 29, v4
	v_lshlrev_b64 v[6:7], v6, v[8:9]
	s_delay_alu instid0(VALU_DEP_1)
	v_and_b32_e32 v8, 7, v6
; %bb.2791:                             ;   in Loop: Header=BB270_2089 Depth=1
	s_or_b32 exec_lo, exec_lo, s3
	v_lshlrev_b32_e32 v5, 24, v5
	s_delay_alu instid0(VALU_DEP_2) | instskip(SKIP_1) | instid1(VALU_DEP_3)
	v_lshlrev_b32_e32 v6, 20, v8
	v_lshl_add_u32 v4, v4, 23, 0x3c000000
	v_and_b32_e32 v5, 0x80000000, v5
	s_delay_alu instid0(VALU_DEP_1)
	v_or3_b32 v5, v6, v5, v4
	v_mov_b32_e32 v4, v9
	scratch_store_b64 off, v[4:5], s32 offset:1068 ; 8-byte Folded Spill
.LBB270_2792:                           ;   in Loop: Header=BB270_2089 Depth=1
	s_or_b32 exec_lo, exec_lo, s2
.LBB270_2793:                           ;   in Loop: Header=BB270_2089 Depth=1
	s_delay_alu instid0(SALU_CYCLE_1)
	s_or_b32 exec_lo, exec_lo, s1
.LBB270_2794:                           ;   in Loop: Header=BB270_2089 Depth=1
	s_delay_alu instid0(SALU_CYCLE_1)
	s_or_b32 exec_lo, exec_lo, s0
	flat_load_b32 v4, v[50:51] offset:2816
	v_mov_b32_e32 v6, 0
	v_mov_b32_e32 v7, 0
	s_mov_b32 s0, exec_lo
	s_clause 0x1
	scratch_store_b64 off, v[6:7], s32 offset:1084
	scratch_store_b64 off, v[6:7], s32 offset:1092
	s_waitcnt vmcnt(0) lgkmcnt(0)
	v_and_b32_e32 v5, 0xff, v4
	s_delay_alu instid0(VALU_DEP_1)
	v_cmpx_ne_u16_e32 0, v5
	s_cbranch_execz .LBB270_2802
; %bb.2795:                             ;   in Loop: Header=BB270_2089 Depth=1
	v_cmp_ne_u16_e32 vcc_lo, 0x80, v5
	v_bfrev_b32_e32 v5, 1
	v_mov_b32_e32 v6, 0
	scratch_store_b64 off, v[5:6], s32 offset:1092 ; 8-byte Folded Spill
	s_and_saveexec_b32 s1, vcc_lo
	s_cbranch_execz .LBB270_2801
; %bb.2796:                             ;   in Loop: Header=BB270_2089 Depth=1
	v_mov_b32_e32 v7, 0x7f800001
	v_and_b32_e32 v6, 0x7f, v4
	v_mov_b32_e32 v8, 0
	s_mov_b32 s2, exec_lo
	scratch_store_b64 off, v[7:8], s32 offset:1092 ; 8-byte Folded Spill
	v_cmpx_ne_u32_e32 0x7f, v6
	s_cbranch_execz .LBB270_2800
; %bb.2797:                             ;   in Loop: Header=BB270_2089 Depth=1
	v_and_b32_e32 v8, 7, v4
	v_lshrrev_b32_e32 v5, 3, v6
	s_mov_b32 s3, exec_lo
	v_cmpx_gt_u32_e32 8, v6
; %bb.2798:                             ;   in Loop: Header=BB270_2089 Depth=1
	s_delay_alu instid0(VALU_DEP_3) | instskip(NEXT) | instid1(VALU_DEP_1)
	v_clz_i32_u32_e32 v5, v8
	v_min_u32_e32 v5, 32, v5
	s_delay_alu instid0(VALU_DEP_1) | instskip(SKIP_1) | instid1(VALU_DEP_2)
	v_subrev_nc_u32_e32 v6, 28, v5
	v_sub_nc_u32_e32 v5, 29, v5
	v_lshlrev_b64 v[6:7], v6, v[8:9]
	s_delay_alu instid0(VALU_DEP_1)
	v_and_b32_e32 v8, 7, v6
; %bb.2799:                             ;   in Loop: Header=BB270_2089 Depth=1
	s_or_b32 exec_lo, exec_lo, s3
	v_lshlrev_b32_e32 v6, 24, v4
	s_delay_alu instid0(VALU_DEP_2) | instskip(SKIP_1) | instid1(VALU_DEP_3)
	v_lshlrev_b32_e32 v7, 20, v8
	v_lshl_add_u32 v5, v5, 23, 0x3c000000
	v_and_b32_e32 v6, 0x80000000, v6
	s_delay_alu instid0(VALU_DEP_1)
	v_or3_b32 v8, v7, v6, v5
	scratch_store_b64 off, v[8:9], s32 offset:1092 ; 8-byte Folded Spill
.LBB270_2800:                           ;   in Loop: Header=BB270_2089 Depth=1
	s_or_b32 exec_lo, exec_lo, s2
.LBB270_2801:                           ;   in Loop: Header=BB270_2089 Depth=1
	s_delay_alu instid0(SALU_CYCLE_1)
	s_or_b32 exec_lo, exec_lo, s1
.LBB270_2802:                           ;   in Loop: Header=BB270_2089 Depth=1
	s_delay_alu instid0(SALU_CYCLE_1) | instskip(SKIP_2) | instid1(VALU_DEP_1)
	s_or_b32 exec_lo, exec_lo, s0
	v_lshrrev_b16 v5, 8, v4
	s_mov_b32 s0, exec_lo
	v_cmpx_ne_u16_e32 0, v5
	s_cbranch_execz .LBB270_2810
; %bb.2803:                             ;   in Loop: Header=BB270_2089 Depth=1
	v_dual_mov_b32 v6, s10 :: v_dual_mov_b32 v7, s11
	s_mov_b32 s1, exec_lo
	scratch_store_b64 off, v[6:7], s32 offset:1084 ; 8-byte Folded Spill
	v_cmpx_ne_u16_e32 0x80, v5
	s_cbranch_execz .LBB270_2809
; %bb.2804:                             ;   in Loop: Header=BB270_2089 Depth=1
	s_mov_b32 s12, s10
	v_and_b32_e32 v5, 0xffff, v5
	v_dual_mov_b32 v7, s12 :: v_dual_mov_b32 v8, s13
	s_mov_b32 s2, exec_lo
	s_delay_alu instid0(VALU_DEP_2)
	v_and_b32_e32 v6, 0x7f, v5
	scratch_store_b64 off, v[7:8], s32 offset:1084 ; 8-byte Folded Spill
	v_cmpx_ne_u32_e32 0x7f, v6
	s_cbranch_execz .LBB270_2808
; %bb.2805:                             ;   in Loop: Header=BB270_2089 Depth=1
	v_and_b32_e32 v8, 7, v5
	v_lshrrev_b32_e32 v5, 3, v6
	s_mov_b32 s3, exec_lo
	v_cmpx_gt_u32_e32 8, v6
; %bb.2806:                             ;   in Loop: Header=BB270_2089 Depth=1
	s_delay_alu instid0(VALU_DEP_3) | instskip(NEXT) | instid1(VALU_DEP_1)
	v_clz_i32_u32_e32 v5, v8
	v_min_u32_e32 v5, 32, v5
	s_delay_alu instid0(VALU_DEP_1) | instskip(SKIP_1) | instid1(VALU_DEP_2)
	v_subrev_nc_u32_e32 v6, 28, v5
	v_sub_nc_u32_e32 v5, 29, v5
	v_lshlrev_b64 v[6:7], v6, v[8:9]
	s_delay_alu instid0(VALU_DEP_1)
	v_and_b32_e32 v8, 7, v6
; %bb.2807:                             ;   in Loop: Header=BB270_2089 Depth=1
	s_or_b32 exec_lo, exec_lo, s3
	v_lshlrev_b32_e32 v6, 16, v4
	s_delay_alu instid0(VALU_DEP_2) | instskip(SKIP_1) | instid1(VALU_DEP_3)
	v_lshlrev_b32_e32 v7, 20, v8
	v_lshl_add_u32 v5, v5, 23, 0x3c000000
	v_and_b32_e32 v6, 0x80000000, v6
	s_delay_alu instid0(VALU_DEP_1)
	v_or3_b32 v6, v7, v6, v5
	v_mov_b32_e32 v5, v9
	scratch_store_b64 off, v[5:6], s32 offset:1084 ; 8-byte Folded Spill
.LBB270_2808:                           ;   in Loop: Header=BB270_2089 Depth=1
	s_or_b32 exec_lo, exec_lo, s2
.LBB270_2809:                           ;   in Loop: Header=BB270_2089 Depth=1
	s_delay_alu instid0(SALU_CYCLE_1)
	s_or_b32 exec_lo, exec_lo, s1
.LBB270_2810:                           ;   in Loop: Header=BB270_2089 Depth=1
	s_delay_alu instid0(SALU_CYCLE_1)
	s_or_b32 exec_lo, exec_lo, s0
	v_lshrrev_b32_e32 v5, 16, v4
	v_mov_b32_e32 v7, 0
	v_mov_b32_e32 v8, 0
	s_mov_b32 s0, exec_lo
	s_clause 0x1
	scratch_store_b64 off, v[7:8], s32 offset:1100
	scratch_store_b64 off, v[7:8], s32 offset:1108
	v_and_b32_e32 v6, 0xff, v5
	s_delay_alu instid0(VALU_DEP_1)
	v_cmpx_ne_u16_e32 0, v6
	s_cbranch_execz .LBB270_2818
; %bb.2811:                             ;   in Loop: Header=BB270_2089 Depth=1
	v_cmp_ne_u16_e32 vcc_lo, 0x80, v6
	v_bfrev_b32_e32 v6, 1
	v_mov_b32_e32 v7, 0
	scratch_store_b64 off, v[6:7], s32 offset:1108 ; 8-byte Folded Spill
	s_and_saveexec_b32 s1, vcc_lo
	s_cbranch_execz .LBB270_2817
; %bb.2812:                             ;   in Loop: Header=BB270_2089 Depth=1
	v_mov_b32_e32 v10, 0x7f800001
	v_bfe_u32 v7, v4, 16, 7
	v_mov_b32_e32 v11, 0
	s_mov_b32 s2, exec_lo
	scratch_store_b64 off, v[10:11], s32 offset:1108 ; 8-byte Folded Spill
	v_cmpx_ne_u32_e32 0x7f, v7
	s_cbranch_execz .LBB270_2816
; %bb.2813:                             ;   in Loop: Header=BB270_2089 Depth=1
	v_and_b32_e32 v8, 7, v5
	v_lshrrev_b32_e32 v6, 3, v7
	s_mov_b32 s3, exec_lo
	v_cmpx_gt_u32_e32 8, v7
; %bb.2814:                             ;   in Loop: Header=BB270_2089 Depth=1
	s_delay_alu instid0(VALU_DEP_3) | instskip(NEXT) | instid1(VALU_DEP_1)
	v_clz_i32_u32_e32 v6, v8
	v_min_u32_e32 v6, 32, v6
	s_delay_alu instid0(VALU_DEP_1) | instskip(SKIP_1) | instid1(VALU_DEP_2)
	v_subrev_nc_u32_e32 v7, 28, v6
	v_sub_nc_u32_e32 v6, 29, v6
	v_lshlrev_b64 v[7:8], v7, v[8:9]
	s_delay_alu instid0(VALU_DEP_1)
	v_and_b32_e32 v8, 7, v7
; %bb.2815:                             ;   in Loop: Header=BB270_2089 Depth=1
	s_or_b32 exec_lo, exec_lo, s3
	v_lshlrev_b32_e32 v5, 24, v5
	s_delay_alu instid0(VALU_DEP_2) | instskip(SKIP_1) | instid1(VALU_DEP_3)
	v_lshlrev_b32_e32 v7, 20, v8
	v_lshl_add_u32 v6, v6, 23, 0x3c000000
	v_and_b32_e32 v5, 0x80000000, v5
	s_delay_alu instid0(VALU_DEP_1)
	v_or3_b32 v8, v7, v5, v6
	scratch_store_b64 off, v[8:9], s32 offset:1108 ; 8-byte Folded Spill
.LBB270_2816:                           ;   in Loop: Header=BB270_2089 Depth=1
	s_or_b32 exec_lo, exec_lo, s2
.LBB270_2817:                           ;   in Loop: Header=BB270_2089 Depth=1
	s_delay_alu instid0(SALU_CYCLE_1)
	s_or_b32 exec_lo, exec_lo, s1
.LBB270_2818:                           ;   in Loop: Header=BB270_2089 Depth=1
	s_delay_alu instid0(SALU_CYCLE_1) | instskip(NEXT) | instid1(SALU_CYCLE_1)
	s_or_b32 exec_lo, exec_lo, s0
	s_mov_b32 s0, exec_lo
	v_cmpx_lt_u32_e32 0xffffff, v4
	s_cbranch_execz .LBB270_2826
; %bb.2819:                             ;   in Loop: Header=BB270_2089 Depth=1
	v_lshrrev_b32_e32 v5, 24, v4
	v_dual_mov_b32 v6, s10 :: v_dual_mov_b32 v7, s11
	s_mov_b32 s1, exec_lo
	scratch_store_b64 off, v[6:7], s32 offset:1100 ; 8-byte Folded Spill
	v_cmpx_ne_u32_e32 0x80, v5
	s_cbranch_execz .LBB270_2825
; %bb.2820:                             ;   in Loop: Header=BB270_2089 Depth=1
	s_mov_b32 s12, s10
	v_bfe_u32 v6, v4, 24, 7
	v_dual_mov_b32 v7, s12 :: v_dual_mov_b32 v8, s13
	s_mov_b32 s2, exec_lo
	scratch_store_b64 off, v[7:8], s32 offset:1100 ; 8-byte Folded Spill
	v_cmpx_ne_u32_e32 0x7f, v6
	s_cbranch_execz .LBB270_2824
; %bb.2821:                             ;   in Loop: Header=BB270_2089 Depth=1
	v_and_b32_e32 v8, 7, v5
	v_lshrrev_b32_e32 v4, 3, v6
	s_mov_b32 s3, exec_lo
	v_cmpx_gt_u32_e32 8, v6
; %bb.2822:                             ;   in Loop: Header=BB270_2089 Depth=1
	s_delay_alu instid0(VALU_DEP_3) | instskip(NEXT) | instid1(VALU_DEP_1)
	v_clz_i32_u32_e32 v4, v8
	v_min_u32_e32 v4, 32, v4
	s_delay_alu instid0(VALU_DEP_1) | instskip(SKIP_1) | instid1(VALU_DEP_2)
	v_subrev_nc_u32_e32 v6, 28, v4
	v_sub_nc_u32_e32 v4, 29, v4
	v_lshlrev_b64 v[6:7], v6, v[8:9]
	s_delay_alu instid0(VALU_DEP_1)
	v_and_b32_e32 v8, 7, v6
; %bb.2823:                             ;   in Loop: Header=BB270_2089 Depth=1
	s_or_b32 exec_lo, exec_lo, s3
	v_lshlrev_b32_e32 v5, 24, v5
	s_delay_alu instid0(VALU_DEP_2) | instskip(SKIP_1) | instid1(VALU_DEP_3)
	v_lshlrev_b32_e32 v6, 20, v8
	v_lshl_add_u32 v4, v4, 23, 0x3c000000
	v_and_b32_e32 v5, 0x80000000, v5
	s_delay_alu instid0(VALU_DEP_1)
	v_or3_b32 v5, v6, v5, v4
	v_mov_b32_e32 v4, v9
	scratch_store_b64 off, v[4:5], s32 offset:1100 ; 8-byte Folded Spill
.LBB270_2824:                           ;   in Loop: Header=BB270_2089 Depth=1
	s_or_b32 exec_lo, exec_lo, s2
.LBB270_2825:                           ;   in Loop: Header=BB270_2089 Depth=1
	s_delay_alu instid0(SALU_CYCLE_1)
	s_or_b32 exec_lo, exec_lo, s1
.LBB270_2826:                           ;   in Loop: Header=BB270_2089 Depth=1
	s_delay_alu instid0(SALU_CYCLE_1)
	s_or_b32 exec_lo, exec_lo, s0
	flat_load_b32 v4, v[50:51] offset:2944
	v_mov_b32_e32 v6, 0
	v_mov_b32_e32 v7, 0
	s_mov_b32 s0, exec_lo
	s_clause 0x1
	scratch_store_b64 off, v[6:7], s32 offset:1116
	scratch_store_b64 off, v[6:7], s32 offset:1124
	s_waitcnt vmcnt(0) lgkmcnt(0)
	v_and_b32_e32 v5, 0xff, v4
	s_delay_alu instid0(VALU_DEP_1)
	v_cmpx_ne_u16_e32 0, v5
	s_cbranch_execz .LBB270_2834
; %bb.2827:                             ;   in Loop: Header=BB270_2089 Depth=1
	v_cmp_ne_u16_e32 vcc_lo, 0x80, v5
	v_bfrev_b32_e32 v5, 1
	v_mov_b32_e32 v6, 0
	scratch_store_b64 off, v[5:6], s32 offset:1124 ; 8-byte Folded Spill
	s_and_saveexec_b32 s1, vcc_lo
	s_cbranch_execz .LBB270_2833
; %bb.2828:                             ;   in Loop: Header=BB270_2089 Depth=1
	v_mov_b32_e32 v7, 0x7f800001
	v_and_b32_e32 v6, 0x7f, v4
	v_mov_b32_e32 v8, 0
	s_mov_b32 s2, exec_lo
	scratch_store_b64 off, v[7:8], s32 offset:1124 ; 8-byte Folded Spill
	v_cmpx_ne_u32_e32 0x7f, v6
	s_cbranch_execz .LBB270_2832
; %bb.2829:                             ;   in Loop: Header=BB270_2089 Depth=1
	v_and_b32_e32 v8, 7, v4
	v_lshrrev_b32_e32 v5, 3, v6
	s_mov_b32 s3, exec_lo
	v_cmpx_gt_u32_e32 8, v6
; %bb.2830:                             ;   in Loop: Header=BB270_2089 Depth=1
	s_delay_alu instid0(VALU_DEP_3) | instskip(NEXT) | instid1(VALU_DEP_1)
	v_clz_i32_u32_e32 v5, v8
	v_min_u32_e32 v5, 32, v5
	s_delay_alu instid0(VALU_DEP_1) | instskip(SKIP_1) | instid1(VALU_DEP_2)
	v_subrev_nc_u32_e32 v6, 28, v5
	v_sub_nc_u32_e32 v5, 29, v5
	v_lshlrev_b64 v[6:7], v6, v[8:9]
	s_delay_alu instid0(VALU_DEP_1)
	v_and_b32_e32 v8, 7, v6
; %bb.2831:                             ;   in Loop: Header=BB270_2089 Depth=1
	s_or_b32 exec_lo, exec_lo, s3
	v_lshlrev_b32_e32 v6, 24, v4
	s_delay_alu instid0(VALU_DEP_2) | instskip(SKIP_1) | instid1(VALU_DEP_3)
	v_lshlrev_b32_e32 v7, 20, v8
	v_lshl_add_u32 v5, v5, 23, 0x3c000000
	v_and_b32_e32 v6, 0x80000000, v6
	s_delay_alu instid0(VALU_DEP_1)
	v_or3_b32 v8, v7, v6, v5
	scratch_store_b64 off, v[8:9], s32 offset:1124 ; 8-byte Folded Spill
.LBB270_2832:                           ;   in Loop: Header=BB270_2089 Depth=1
	s_or_b32 exec_lo, exec_lo, s2
.LBB270_2833:                           ;   in Loop: Header=BB270_2089 Depth=1
	s_delay_alu instid0(SALU_CYCLE_1)
	s_or_b32 exec_lo, exec_lo, s1
.LBB270_2834:                           ;   in Loop: Header=BB270_2089 Depth=1
	s_delay_alu instid0(SALU_CYCLE_1) | instskip(SKIP_2) | instid1(VALU_DEP_1)
	s_or_b32 exec_lo, exec_lo, s0
	v_lshrrev_b16 v5, 8, v4
	s_mov_b32 s0, exec_lo
	v_cmpx_ne_u16_e32 0, v5
	s_cbranch_execz .LBB270_2842
; %bb.2835:                             ;   in Loop: Header=BB270_2089 Depth=1
	v_dual_mov_b32 v6, s10 :: v_dual_mov_b32 v7, s11
	s_mov_b32 s1, exec_lo
	scratch_store_b64 off, v[6:7], s32 offset:1116 ; 8-byte Folded Spill
	v_cmpx_ne_u16_e32 0x80, v5
	s_cbranch_execz .LBB270_2841
; %bb.2836:                             ;   in Loop: Header=BB270_2089 Depth=1
	s_mov_b32 s12, s10
	v_and_b32_e32 v5, 0xffff, v5
	v_dual_mov_b32 v7, s12 :: v_dual_mov_b32 v8, s13
	s_mov_b32 s2, exec_lo
	s_delay_alu instid0(VALU_DEP_2)
	v_and_b32_e32 v6, 0x7f, v5
	scratch_store_b64 off, v[7:8], s32 offset:1116 ; 8-byte Folded Spill
	v_cmpx_ne_u32_e32 0x7f, v6
	s_cbranch_execz .LBB270_2840
; %bb.2837:                             ;   in Loop: Header=BB270_2089 Depth=1
	v_and_b32_e32 v8, 7, v5
	v_lshrrev_b32_e32 v5, 3, v6
	s_mov_b32 s3, exec_lo
	v_cmpx_gt_u32_e32 8, v6
; %bb.2838:                             ;   in Loop: Header=BB270_2089 Depth=1
	s_delay_alu instid0(VALU_DEP_3) | instskip(NEXT) | instid1(VALU_DEP_1)
	v_clz_i32_u32_e32 v5, v8
	v_min_u32_e32 v5, 32, v5
	s_delay_alu instid0(VALU_DEP_1) | instskip(SKIP_1) | instid1(VALU_DEP_2)
	v_subrev_nc_u32_e32 v6, 28, v5
	v_sub_nc_u32_e32 v5, 29, v5
	v_lshlrev_b64 v[6:7], v6, v[8:9]
	s_delay_alu instid0(VALU_DEP_1)
	v_and_b32_e32 v8, 7, v6
; %bb.2839:                             ;   in Loop: Header=BB270_2089 Depth=1
	s_or_b32 exec_lo, exec_lo, s3
	v_lshlrev_b32_e32 v6, 16, v4
	s_delay_alu instid0(VALU_DEP_2) | instskip(SKIP_1) | instid1(VALU_DEP_3)
	v_lshlrev_b32_e32 v7, 20, v8
	v_lshl_add_u32 v5, v5, 23, 0x3c000000
	v_and_b32_e32 v6, 0x80000000, v6
	s_delay_alu instid0(VALU_DEP_1)
	v_or3_b32 v6, v7, v6, v5
	v_mov_b32_e32 v5, v9
	scratch_store_b64 off, v[5:6], s32 offset:1116 ; 8-byte Folded Spill
.LBB270_2840:                           ;   in Loop: Header=BB270_2089 Depth=1
	s_or_b32 exec_lo, exec_lo, s2
.LBB270_2841:                           ;   in Loop: Header=BB270_2089 Depth=1
	s_delay_alu instid0(SALU_CYCLE_1)
	s_or_b32 exec_lo, exec_lo, s1
.LBB270_2842:                           ;   in Loop: Header=BB270_2089 Depth=1
	s_delay_alu instid0(SALU_CYCLE_1)
	s_or_b32 exec_lo, exec_lo, s0
	v_lshrrev_b32_e32 v5, 16, v4
	v_mov_b32_e32 v7, 0
	v_mov_b32_e32 v8, 0
	s_mov_b32 s0, exec_lo
	s_clause 0x1
	scratch_store_b64 off, v[7:8], s32 offset:1132
	scratch_store_b64 off, v[7:8], s32 offset:1140
	v_and_b32_e32 v6, 0xff, v5
	s_delay_alu instid0(VALU_DEP_1)
	v_cmpx_ne_u16_e32 0, v6
	s_cbranch_execz .LBB270_2850
; %bb.2843:                             ;   in Loop: Header=BB270_2089 Depth=1
	v_cmp_ne_u16_e32 vcc_lo, 0x80, v6
	v_bfrev_b32_e32 v6, 1
	v_mov_b32_e32 v7, 0
	scratch_store_b64 off, v[6:7], s32 offset:1140 ; 8-byte Folded Spill
	s_and_saveexec_b32 s1, vcc_lo
	s_cbranch_execz .LBB270_2849
; %bb.2844:                             ;   in Loop: Header=BB270_2089 Depth=1
	v_mov_b32_e32 v10, 0x7f800001
	v_bfe_u32 v7, v4, 16, 7
	v_mov_b32_e32 v11, 0
	s_mov_b32 s2, exec_lo
	scratch_store_b64 off, v[10:11], s32 offset:1140 ; 8-byte Folded Spill
	v_cmpx_ne_u32_e32 0x7f, v7
	s_cbranch_execz .LBB270_2848
; %bb.2845:                             ;   in Loop: Header=BB270_2089 Depth=1
	v_and_b32_e32 v8, 7, v5
	v_lshrrev_b32_e32 v6, 3, v7
	s_mov_b32 s3, exec_lo
	v_cmpx_gt_u32_e32 8, v7
; %bb.2846:                             ;   in Loop: Header=BB270_2089 Depth=1
	s_delay_alu instid0(VALU_DEP_3) | instskip(NEXT) | instid1(VALU_DEP_1)
	v_clz_i32_u32_e32 v6, v8
	v_min_u32_e32 v6, 32, v6
	s_delay_alu instid0(VALU_DEP_1) | instskip(SKIP_1) | instid1(VALU_DEP_2)
	v_subrev_nc_u32_e32 v7, 28, v6
	v_sub_nc_u32_e32 v6, 29, v6
	v_lshlrev_b64 v[7:8], v7, v[8:9]
	s_delay_alu instid0(VALU_DEP_1)
	v_and_b32_e32 v8, 7, v7
; %bb.2847:                             ;   in Loop: Header=BB270_2089 Depth=1
	s_or_b32 exec_lo, exec_lo, s3
	v_lshlrev_b32_e32 v5, 24, v5
	s_delay_alu instid0(VALU_DEP_2) | instskip(SKIP_1) | instid1(VALU_DEP_3)
	v_lshlrev_b32_e32 v7, 20, v8
	v_lshl_add_u32 v6, v6, 23, 0x3c000000
	v_and_b32_e32 v5, 0x80000000, v5
	s_delay_alu instid0(VALU_DEP_1)
	v_or3_b32 v8, v7, v5, v6
	scratch_store_b64 off, v[8:9], s32 offset:1140 ; 8-byte Folded Spill
.LBB270_2848:                           ;   in Loop: Header=BB270_2089 Depth=1
	s_or_b32 exec_lo, exec_lo, s2
.LBB270_2849:                           ;   in Loop: Header=BB270_2089 Depth=1
	s_delay_alu instid0(SALU_CYCLE_1)
	s_or_b32 exec_lo, exec_lo, s1
.LBB270_2850:                           ;   in Loop: Header=BB270_2089 Depth=1
	s_delay_alu instid0(SALU_CYCLE_1) | instskip(NEXT) | instid1(SALU_CYCLE_1)
	s_or_b32 exec_lo, exec_lo, s0
	s_mov_b32 s0, exec_lo
	v_cmpx_lt_u32_e32 0xffffff, v4
	s_cbranch_execz .LBB270_2858
; %bb.2851:                             ;   in Loop: Header=BB270_2089 Depth=1
	v_lshrrev_b32_e32 v5, 24, v4
	v_dual_mov_b32 v6, s10 :: v_dual_mov_b32 v7, s11
	s_mov_b32 s1, exec_lo
	scratch_store_b64 off, v[6:7], s32 offset:1132 ; 8-byte Folded Spill
	v_cmpx_ne_u32_e32 0x80, v5
	s_cbranch_execz .LBB270_2857
; %bb.2852:                             ;   in Loop: Header=BB270_2089 Depth=1
	s_mov_b32 s12, s10
	v_bfe_u32 v6, v4, 24, 7
	v_dual_mov_b32 v7, s12 :: v_dual_mov_b32 v8, s13
	s_mov_b32 s2, exec_lo
	scratch_store_b64 off, v[7:8], s32 offset:1132 ; 8-byte Folded Spill
	v_cmpx_ne_u32_e32 0x7f, v6
	s_cbranch_execz .LBB270_2856
; %bb.2853:                             ;   in Loop: Header=BB270_2089 Depth=1
	v_and_b32_e32 v8, 7, v5
	v_lshrrev_b32_e32 v4, 3, v6
	s_mov_b32 s3, exec_lo
	v_cmpx_gt_u32_e32 8, v6
; %bb.2854:                             ;   in Loop: Header=BB270_2089 Depth=1
	s_delay_alu instid0(VALU_DEP_3) | instskip(NEXT) | instid1(VALU_DEP_1)
	v_clz_i32_u32_e32 v4, v8
	v_min_u32_e32 v4, 32, v4
	s_delay_alu instid0(VALU_DEP_1) | instskip(SKIP_1) | instid1(VALU_DEP_2)
	v_subrev_nc_u32_e32 v6, 28, v4
	v_sub_nc_u32_e32 v4, 29, v4
	v_lshlrev_b64 v[6:7], v6, v[8:9]
	s_delay_alu instid0(VALU_DEP_1)
	v_and_b32_e32 v8, 7, v6
; %bb.2855:                             ;   in Loop: Header=BB270_2089 Depth=1
	s_or_b32 exec_lo, exec_lo, s3
	v_lshlrev_b32_e32 v5, 24, v5
	s_delay_alu instid0(VALU_DEP_2) | instskip(SKIP_1) | instid1(VALU_DEP_3)
	v_lshlrev_b32_e32 v6, 20, v8
	v_lshl_add_u32 v4, v4, 23, 0x3c000000
	v_and_b32_e32 v5, 0x80000000, v5
	s_delay_alu instid0(VALU_DEP_1)
	v_or3_b32 v5, v6, v5, v4
	v_mov_b32_e32 v4, v9
	scratch_store_b64 off, v[4:5], s32 offset:1132 ; 8-byte Folded Spill
.LBB270_2856:                           ;   in Loop: Header=BB270_2089 Depth=1
	s_or_b32 exec_lo, exec_lo, s2
.LBB270_2857:                           ;   in Loop: Header=BB270_2089 Depth=1
	s_delay_alu instid0(SALU_CYCLE_1)
	s_or_b32 exec_lo, exec_lo, s1
.LBB270_2858:                           ;   in Loop: Header=BB270_2089 Depth=1
	s_delay_alu instid0(SALU_CYCLE_1)
	s_or_b32 exec_lo, exec_lo, s0
	flat_load_b32 v4, v[50:51] offset:3072
	v_mov_b32_e32 v6, 0
	v_mov_b32_e32 v7, 0
	s_mov_b32 s0, exec_lo
	s_clause 0x1
	scratch_store_b64 off, v[6:7], s32 offset:1148
	scratch_store_b64 off, v[6:7], s32 offset:1156
	s_waitcnt vmcnt(0) lgkmcnt(0)
	v_and_b32_e32 v5, 0xff, v4
	s_delay_alu instid0(VALU_DEP_1)
	v_cmpx_ne_u16_e32 0, v5
	s_cbranch_execz .LBB270_2866
; %bb.2859:                             ;   in Loop: Header=BB270_2089 Depth=1
	v_cmp_ne_u16_e32 vcc_lo, 0x80, v5
	v_bfrev_b32_e32 v5, 1
	v_mov_b32_e32 v6, 0
	scratch_store_b64 off, v[5:6], s32 offset:1156 ; 8-byte Folded Spill
	s_and_saveexec_b32 s1, vcc_lo
	s_cbranch_execz .LBB270_2865
; %bb.2860:                             ;   in Loop: Header=BB270_2089 Depth=1
	v_mov_b32_e32 v7, 0x7f800001
	v_and_b32_e32 v6, 0x7f, v4
	v_mov_b32_e32 v8, 0
	s_mov_b32 s2, exec_lo
	scratch_store_b64 off, v[7:8], s32 offset:1156 ; 8-byte Folded Spill
	v_cmpx_ne_u32_e32 0x7f, v6
	s_cbranch_execz .LBB270_2864
; %bb.2861:                             ;   in Loop: Header=BB270_2089 Depth=1
	v_and_b32_e32 v8, 7, v4
	v_lshrrev_b32_e32 v5, 3, v6
	s_mov_b32 s3, exec_lo
	v_cmpx_gt_u32_e32 8, v6
; %bb.2862:                             ;   in Loop: Header=BB270_2089 Depth=1
	s_delay_alu instid0(VALU_DEP_3) | instskip(NEXT) | instid1(VALU_DEP_1)
	v_clz_i32_u32_e32 v5, v8
	v_min_u32_e32 v5, 32, v5
	s_delay_alu instid0(VALU_DEP_1) | instskip(SKIP_1) | instid1(VALU_DEP_2)
	v_subrev_nc_u32_e32 v6, 28, v5
	v_sub_nc_u32_e32 v5, 29, v5
	v_lshlrev_b64 v[6:7], v6, v[8:9]
	s_delay_alu instid0(VALU_DEP_1)
	v_and_b32_e32 v8, 7, v6
; %bb.2863:                             ;   in Loop: Header=BB270_2089 Depth=1
	s_or_b32 exec_lo, exec_lo, s3
	v_lshlrev_b32_e32 v6, 24, v4
	s_delay_alu instid0(VALU_DEP_2) | instskip(SKIP_1) | instid1(VALU_DEP_3)
	v_lshlrev_b32_e32 v7, 20, v8
	v_lshl_add_u32 v5, v5, 23, 0x3c000000
	v_and_b32_e32 v6, 0x80000000, v6
	s_delay_alu instid0(VALU_DEP_1)
	v_or3_b32 v8, v7, v6, v5
	scratch_store_b64 off, v[8:9], s32 offset:1156 ; 8-byte Folded Spill
.LBB270_2864:                           ;   in Loop: Header=BB270_2089 Depth=1
	s_or_b32 exec_lo, exec_lo, s2
.LBB270_2865:                           ;   in Loop: Header=BB270_2089 Depth=1
	s_delay_alu instid0(SALU_CYCLE_1)
	s_or_b32 exec_lo, exec_lo, s1
.LBB270_2866:                           ;   in Loop: Header=BB270_2089 Depth=1
	s_delay_alu instid0(SALU_CYCLE_1) | instskip(SKIP_2) | instid1(VALU_DEP_1)
	s_or_b32 exec_lo, exec_lo, s0
	v_lshrrev_b16 v5, 8, v4
	s_mov_b32 s0, exec_lo
	v_cmpx_ne_u16_e32 0, v5
	s_cbranch_execz .LBB270_2874
; %bb.2867:                             ;   in Loop: Header=BB270_2089 Depth=1
	v_dual_mov_b32 v6, s10 :: v_dual_mov_b32 v7, s11
	s_mov_b32 s1, exec_lo
	scratch_store_b64 off, v[6:7], s32 offset:1148 ; 8-byte Folded Spill
	v_cmpx_ne_u16_e32 0x80, v5
	s_cbranch_execz .LBB270_2873
; %bb.2868:                             ;   in Loop: Header=BB270_2089 Depth=1
	s_mov_b32 s12, s10
	v_and_b32_e32 v5, 0xffff, v5
	v_dual_mov_b32 v7, s12 :: v_dual_mov_b32 v8, s13
	s_mov_b32 s2, exec_lo
	s_delay_alu instid0(VALU_DEP_2)
	v_and_b32_e32 v6, 0x7f, v5
	scratch_store_b64 off, v[7:8], s32 offset:1148 ; 8-byte Folded Spill
	v_cmpx_ne_u32_e32 0x7f, v6
	s_cbranch_execz .LBB270_2872
; %bb.2869:                             ;   in Loop: Header=BB270_2089 Depth=1
	v_and_b32_e32 v8, 7, v5
	v_lshrrev_b32_e32 v5, 3, v6
	s_mov_b32 s3, exec_lo
	v_cmpx_gt_u32_e32 8, v6
; %bb.2870:                             ;   in Loop: Header=BB270_2089 Depth=1
	s_delay_alu instid0(VALU_DEP_3) | instskip(NEXT) | instid1(VALU_DEP_1)
	v_clz_i32_u32_e32 v5, v8
	v_min_u32_e32 v5, 32, v5
	s_delay_alu instid0(VALU_DEP_1) | instskip(SKIP_1) | instid1(VALU_DEP_2)
	v_subrev_nc_u32_e32 v6, 28, v5
	v_sub_nc_u32_e32 v5, 29, v5
	v_lshlrev_b64 v[6:7], v6, v[8:9]
	s_delay_alu instid0(VALU_DEP_1)
	v_and_b32_e32 v8, 7, v6
; %bb.2871:                             ;   in Loop: Header=BB270_2089 Depth=1
	s_or_b32 exec_lo, exec_lo, s3
	v_lshlrev_b32_e32 v6, 16, v4
	s_delay_alu instid0(VALU_DEP_2) | instskip(SKIP_1) | instid1(VALU_DEP_3)
	v_lshlrev_b32_e32 v7, 20, v8
	v_lshl_add_u32 v5, v5, 23, 0x3c000000
	v_and_b32_e32 v6, 0x80000000, v6
	s_delay_alu instid0(VALU_DEP_1)
	v_or3_b32 v6, v7, v6, v5
	v_mov_b32_e32 v5, v9
	scratch_store_b64 off, v[5:6], s32 offset:1148 ; 8-byte Folded Spill
.LBB270_2872:                           ;   in Loop: Header=BB270_2089 Depth=1
	s_or_b32 exec_lo, exec_lo, s2
.LBB270_2873:                           ;   in Loop: Header=BB270_2089 Depth=1
	s_delay_alu instid0(SALU_CYCLE_1)
	s_or_b32 exec_lo, exec_lo, s1
.LBB270_2874:                           ;   in Loop: Header=BB270_2089 Depth=1
	s_delay_alu instid0(SALU_CYCLE_1)
	s_or_b32 exec_lo, exec_lo, s0
	v_lshrrev_b32_e32 v5, 16, v4
	v_mov_b32_e32 v7, 0
	v_mov_b32_e32 v8, 0
	s_mov_b32 s0, exec_lo
	s_clause 0x1
	scratch_store_b64 off, v[7:8], s32 offset:1164
	scratch_store_b64 off, v[7:8], s32 offset:1172
	v_and_b32_e32 v6, 0xff, v5
	s_delay_alu instid0(VALU_DEP_1)
	v_cmpx_ne_u16_e32 0, v6
	s_cbranch_execz .LBB270_2882
; %bb.2875:                             ;   in Loop: Header=BB270_2089 Depth=1
	v_cmp_ne_u16_e32 vcc_lo, 0x80, v6
	v_bfrev_b32_e32 v6, 1
	v_mov_b32_e32 v7, 0
	scratch_store_b64 off, v[6:7], s32 offset:1172 ; 8-byte Folded Spill
	s_and_saveexec_b32 s1, vcc_lo
	s_cbranch_execz .LBB270_2881
; %bb.2876:                             ;   in Loop: Header=BB270_2089 Depth=1
	v_mov_b32_e32 v10, 0x7f800001
	v_bfe_u32 v7, v4, 16, 7
	v_mov_b32_e32 v11, 0
	s_mov_b32 s2, exec_lo
	scratch_store_b64 off, v[10:11], s32 offset:1172 ; 8-byte Folded Spill
	v_cmpx_ne_u32_e32 0x7f, v7
	s_cbranch_execz .LBB270_2880
; %bb.2877:                             ;   in Loop: Header=BB270_2089 Depth=1
	v_and_b32_e32 v8, 7, v5
	v_lshrrev_b32_e32 v6, 3, v7
	s_mov_b32 s3, exec_lo
	v_cmpx_gt_u32_e32 8, v7
; %bb.2878:                             ;   in Loop: Header=BB270_2089 Depth=1
	s_delay_alu instid0(VALU_DEP_3) | instskip(NEXT) | instid1(VALU_DEP_1)
	v_clz_i32_u32_e32 v6, v8
	v_min_u32_e32 v6, 32, v6
	s_delay_alu instid0(VALU_DEP_1) | instskip(SKIP_1) | instid1(VALU_DEP_2)
	v_subrev_nc_u32_e32 v7, 28, v6
	v_sub_nc_u32_e32 v6, 29, v6
	v_lshlrev_b64 v[7:8], v7, v[8:9]
	s_delay_alu instid0(VALU_DEP_1)
	v_and_b32_e32 v8, 7, v7
; %bb.2879:                             ;   in Loop: Header=BB270_2089 Depth=1
	s_or_b32 exec_lo, exec_lo, s3
	v_lshlrev_b32_e32 v5, 24, v5
	s_delay_alu instid0(VALU_DEP_2) | instskip(SKIP_1) | instid1(VALU_DEP_3)
	v_lshlrev_b32_e32 v7, 20, v8
	v_lshl_add_u32 v6, v6, 23, 0x3c000000
	v_and_b32_e32 v5, 0x80000000, v5
	s_delay_alu instid0(VALU_DEP_1)
	v_or3_b32 v8, v7, v5, v6
	scratch_store_b64 off, v[8:9], s32 offset:1172 ; 8-byte Folded Spill
.LBB270_2880:                           ;   in Loop: Header=BB270_2089 Depth=1
	s_or_b32 exec_lo, exec_lo, s2
.LBB270_2881:                           ;   in Loop: Header=BB270_2089 Depth=1
	s_delay_alu instid0(SALU_CYCLE_1)
	s_or_b32 exec_lo, exec_lo, s1
.LBB270_2882:                           ;   in Loop: Header=BB270_2089 Depth=1
	s_delay_alu instid0(SALU_CYCLE_1) | instskip(NEXT) | instid1(SALU_CYCLE_1)
	s_or_b32 exec_lo, exec_lo, s0
	s_mov_b32 s0, exec_lo
	v_cmpx_lt_u32_e32 0xffffff, v4
	s_cbranch_execz .LBB270_2890
; %bb.2883:                             ;   in Loop: Header=BB270_2089 Depth=1
	v_lshrrev_b32_e32 v5, 24, v4
	v_dual_mov_b32 v6, s10 :: v_dual_mov_b32 v7, s11
	s_mov_b32 s1, exec_lo
	scratch_store_b64 off, v[6:7], s32 offset:1164 ; 8-byte Folded Spill
	v_cmpx_ne_u32_e32 0x80, v5
	s_cbranch_execz .LBB270_2889
; %bb.2884:                             ;   in Loop: Header=BB270_2089 Depth=1
	s_mov_b32 s12, s10
	v_bfe_u32 v6, v4, 24, 7
	v_dual_mov_b32 v7, s12 :: v_dual_mov_b32 v8, s13
	s_mov_b32 s2, exec_lo
	scratch_store_b64 off, v[7:8], s32 offset:1164 ; 8-byte Folded Spill
	v_cmpx_ne_u32_e32 0x7f, v6
	s_cbranch_execz .LBB270_2888
; %bb.2885:                             ;   in Loop: Header=BB270_2089 Depth=1
	v_and_b32_e32 v8, 7, v5
	v_lshrrev_b32_e32 v4, 3, v6
	s_mov_b32 s3, exec_lo
	v_cmpx_gt_u32_e32 8, v6
; %bb.2886:                             ;   in Loop: Header=BB270_2089 Depth=1
	s_delay_alu instid0(VALU_DEP_3) | instskip(NEXT) | instid1(VALU_DEP_1)
	v_clz_i32_u32_e32 v4, v8
	v_min_u32_e32 v4, 32, v4
	s_delay_alu instid0(VALU_DEP_1) | instskip(SKIP_1) | instid1(VALU_DEP_2)
	v_subrev_nc_u32_e32 v6, 28, v4
	v_sub_nc_u32_e32 v4, 29, v4
	v_lshlrev_b64 v[6:7], v6, v[8:9]
	s_delay_alu instid0(VALU_DEP_1)
	v_and_b32_e32 v8, 7, v6
; %bb.2887:                             ;   in Loop: Header=BB270_2089 Depth=1
	s_or_b32 exec_lo, exec_lo, s3
	v_lshlrev_b32_e32 v5, 24, v5
	s_delay_alu instid0(VALU_DEP_2) | instskip(SKIP_1) | instid1(VALU_DEP_3)
	v_lshlrev_b32_e32 v6, 20, v8
	v_lshl_add_u32 v4, v4, 23, 0x3c000000
	v_and_b32_e32 v5, 0x80000000, v5
	s_delay_alu instid0(VALU_DEP_1)
	v_or3_b32 v5, v6, v5, v4
	v_mov_b32_e32 v4, v9
	scratch_store_b64 off, v[4:5], s32 offset:1164 ; 8-byte Folded Spill
.LBB270_2888:                           ;   in Loop: Header=BB270_2089 Depth=1
	s_or_b32 exec_lo, exec_lo, s2
.LBB270_2889:                           ;   in Loop: Header=BB270_2089 Depth=1
	s_delay_alu instid0(SALU_CYCLE_1)
	s_or_b32 exec_lo, exec_lo, s1
.LBB270_2890:                           ;   in Loop: Header=BB270_2089 Depth=1
	s_delay_alu instid0(SALU_CYCLE_1)
	s_or_b32 exec_lo, exec_lo, s0
	flat_load_b32 v4, v[50:51] offset:3200
	v_mov_b32_e32 v6, 0
	v_mov_b32_e32 v7, 0
	s_mov_b32 s0, exec_lo
	s_clause 0x1
	scratch_store_b64 off, v[6:7], s32 offset:1180
	scratch_store_b64 off, v[6:7], s32 offset:1188
	s_waitcnt vmcnt(0) lgkmcnt(0)
	v_and_b32_e32 v5, 0xff, v4
	s_delay_alu instid0(VALU_DEP_1)
	v_cmpx_ne_u16_e32 0, v5
	s_cbranch_execz .LBB270_2898
; %bb.2891:                             ;   in Loop: Header=BB270_2089 Depth=1
	v_cmp_ne_u16_e32 vcc_lo, 0x80, v5
	v_bfrev_b32_e32 v5, 1
	v_mov_b32_e32 v6, 0
	scratch_store_b64 off, v[5:6], s32 offset:1188 ; 8-byte Folded Spill
	s_and_saveexec_b32 s1, vcc_lo
	s_cbranch_execz .LBB270_2897
; %bb.2892:                             ;   in Loop: Header=BB270_2089 Depth=1
	v_mov_b32_e32 v7, 0x7f800001
	v_and_b32_e32 v6, 0x7f, v4
	v_mov_b32_e32 v8, 0
	s_mov_b32 s2, exec_lo
	scratch_store_b64 off, v[7:8], s32 offset:1188 ; 8-byte Folded Spill
	v_cmpx_ne_u32_e32 0x7f, v6
	s_cbranch_execz .LBB270_2896
; %bb.2893:                             ;   in Loop: Header=BB270_2089 Depth=1
	v_and_b32_e32 v8, 7, v4
	v_lshrrev_b32_e32 v5, 3, v6
	s_mov_b32 s3, exec_lo
	v_cmpx_gt_u32_e32 8, v6
; %bb.2894:                             ;   in Loop: Header=BB270_2089 Depth=1
	s_delay_alu instid0(VALU_DEP_3) | instskip(NEXT) | instid1(VALU_DEP_1)
	v_clz_i32_u32_e32 v5, v8
	v_min_u32_e32 v5, 32, v5
	s_delay_alu instid0(VALU_DEP_1) | instskip(SKIP_1) | instid1(VALU_DEP_2)
	v_subrev_nc_u32_e32 v6, 28, v5
	v_sub_nc_u32_e32 v5, 29, v5
	v_lshlrev_b64 v[6:7], v6, v[8:9]
	s_delay_alu instid0(VALU_DEP_1)
	v_and_b32_e32 v8, 7, v6
; %bb.2895:                             ;   in Loop: Header=BB270_2089 Depth=1
	s_or_b32 exec_lo, exec_lo, s3
	v_lshlrev_b32_e32 v6, 24, v4
	s_delay_alu instid0(VALU_DEP_2) | instskip(SKIP_1) | instid1(VALU_DEP_3)
	v_lshlrev_b32_e32 v7, 20, v8
	v_lshl_add_u32 v5, v5, 23, 0x3c000000
	v_and_b32_e32 v6, 0x80000000, v6
	s_delay_alu instid0(VALU_DEP_1)
	v_or3_b32 v8, v7, v6, v5
	scratch_store_b64 off, v[8:9], s32 offset:1188 ; 8-byte Folded Spill
.LBB270_2896:                           ;   in Loop: Header=BB270_2089 Depth=1
	s_or_b32 exec_lo, exec_lo, s2
.LBB270_2897:                           ;   in Loop: Header=BB270_2089 Depth=1
	s_delay_alu instid0(SALU_CYCLE_1)
	s_or_b32 exec_lo, exec_lo, s1
.LBB270_2898:                           ;   in Loop: Header=BB270_2089 Depth=1
	s_delay_alu instid0(SALU_CYCLE_1) | instskip(SKIP_2) | instid1(VALU_DEP_1)
	s_or_b32 exec_lo, exec_lo, s0
	v_lshrrev_b16 v5, 8, v4
	s_mov_b32 s0, exec_lo
	v_cmpx_ne_u16_e32 0, v5
	s_cbranch_execz .LBB270_2906
; %bb.2899:                             ;   in Loop: Header=BB270_2089 Depth=1
	v_dual_mov_b32 v6, s10 :: v_dual_mov_b32 v7, s11
	s_mov_b32 s1, exec_lo
	scratch_store_b64 off, v[6:7], s32 offset:1180 ; 8-byte Folded Spill
	v_cmpx_ne_u16_e32 0x80, v5
	s_cbranch_execz .LBB270_2905
; %bb.2900:                             ;   in Loop: Header=BB270_2089 Depth=1
	s_mov_b32 s12, s10
	v_and_b32_e32 v5, 0xffff, v5
	v_dual_mov_b32 v7, s12 :: v_dual_mov_b32 v8, s13
	s_mov_b32 s2, exec_lo
	s_delay_alu instid0(VALU_DEP_2)
	v_and_b32_e32 v6, 0x7f, v5
	scratch_store_b64 off, v[7:8], s32 offset:1180 ; 8-byte Folded Spill
	v_cmpx_ne_u32_e32 0x7f, v6
	s_cbranch_execz .LBB270_2904
; %bb.2901:                             ;   in Loop: Header=BB270_2089 Depth=1
	v_and_b32_e32 v8, 7, v5
	v_lshrrev_b32_e32 v5, 3, v6
	s_mov_b32 s3, exec_lo
	v_cmpx_gt_u32_e32 8, v6
; %bb.2902:                             ;   in Loop: Header=BB270_2089 Depth=1
	s_delay_alu instid0(VALU_DEP_3) | instskip(NEXT) | instid1(VALU_DEP_1)
	v_clz_i32_u32_e32 v5, v8
	v_min_u32_e32 v5, 32, v5
	s_delay_alu instid0(VALU_DEP_1) | instskip(SKIP_1) | instid1(VALU_DEP_2)
	v_subrev_nc_u32_e32 v6, 28, v5
	v_sub_nc_u32_e32 v5, 29, v5
	v_lshlrev_b64 v[6:7], v6, v[8:9]
	s_delay_alu instid0(VALU_DEP_1)
	v_and_b32_e32 v8, 7, v6
; %bb.2903:                             ;   in Loop: Header=BB270_2089 Depth=1
	s_or_b32 exec_lo, exec_lo, s3
	v_lshlrev_b32_e32 v6, 16, v4
	s_delay_alu instid0(VALU_DEP_2) | instskip(SKIP_1) | instid1(VALU_DEP_3)
	v_lshlrev_b32_e32 v7, 20, v8
	v_lshl_add_u32 v5, v5, 23, 0x3c000000
	v_and_b32_e32 v6, 0x80000000, v6
	s_delay_alu instid0(VALU_DEP_1)
	v_or3_b32 v6, v7, v6, v5
	v_mov_b32_e32 v5, v9
	scratch_store_b64 off, v[5:6], s32 offset:1180 ; 8-byte Folded Spill
.LBB270_2904:                           ;   in Loop: Header=BB270_2089 Depth=1
	s_or_b32 exec_lo, exec_lo, s2
.LBB270_2905:                           ;   in Loop: Header=BB270_2089 Depth=1
	s_delay_alu instid0(SALU_CYCLE_1)
	s_or_b32 exec_lo, exec_lo, s1
.LBB270_2906:                           ;   in Loop: Header=BB270_2089 Depth=1
	s_delay_alu instid0(SALU_CYCLE_1)
	s_or_b32 exec_lo, exec_lo, s0
	v_lshrrev_b32_e32 v5, 16, v4
	v_mov_b32_e32 v7, 0
	v_mov_b32_e32 v8, 0
	s_mov_b32 s0, exec_lo
	s_clause 0x1
	scratch_store_b64 off, v[7:8], s32 offset:1196
	scratch_store_b64 off, v[7:8], s32 offset:1204
	v_and_b32_e32 v6, 0xff, v5
	s_delay_alu instid0(VALU_DEP_1)
	v_cmpx_ne_u16_e32 0, v6
	s_cbranch_execz .LBB270_2914
; %bb.2907:                             ;   in Loop: Header=BB270_2089 Depth=1
	v_cmp_ne_u16_e32 vcc_lo, 0x80, v6
	v_bfrev_b32_e32 v6, 1
	v_mov_b32_e32 v7, 0
	scratch_store_b64 off, v[6:7], s32 offset:1204 ; 8-byte Folded Spill
	s_and_saveexec_b32 s1, vcc_lo
	s_cbranch_execz .LBB270_2913
; %bb.2908:                             ;   in Loop: Header=BB270_2089 Depth=1
	v_mov_b32_e32 v10, 0x7f800001
	v_bfe_u32 v7, v4, 16, 7
	v_mov_b32_e32 v11, 0
	s_mov_b32 s2, exec_lo
	scratch_store_b64 off, v[10:11], s32 offset:1204 ; 8-byte Folded Spill
	v_cmpx_ne_u32_e32 0x7f, v7
	s_cbranch_execz .LBB270_2912
; %bb.2909:                             ;   in Loop: Header=BB270_2089 Depth=1
	v_and_b32_e32 v8, 7, v5
	v_lshrrev_b32_e32 v6, 3, v7
	s_mov_b32 s3, exec_lo
	v_cmpx_gt_u32_e32 8, v7
; %bb.2910:                             ;   in Loop: Header=BB270_2089 Depth=1
	s_delay_alu instid0(VALU_DEP_3) | instskip(NEXT) | instid1(VALU_DEP_1)
	v_clz_i32_u32_e32 v6, v8
	v_min_u32_e32 v6, 32, v6
	s_delay_alu instid0(VALU_DEP_1) | instskip(SKIP_1) | instid1(VALU_DEP_2)
	v_subrev_nc_u32_e32 v7, 28, v6
	v_sub_nc_u32_e32 v6, 29, v6
	v_lshlrev_b64 v[7:8], v7, v[8:9]
	s_delay_alu instid0(VALU_DEP_1)
	v_and_b32_e32 v8, 7, v7
; %bb.2911:                             ;   in Loop: Header=BB270_2089 Depth=1
	s_or_b32 exec_lo, exec_lo, s3
	v_lshlrev_b32_e32 v5, 24, v5
	s_delay_alu instid0(VALU_DEP_2) | instskip(SKIP_1) | instid1(VALU_DEP_3)
	v_lshlrev_b32_e32 v7, 20, v8
	v_lshl_add_u32 v6, v6, 23, 0x3c000000
	v_and_b32_e32 v5, 0x80000000, v5
	s_delay_alu instid0(VALU_DEP_1)
	v_or3_b32 v8, v7, v5, v6
	scratch_store_b64 off, v[8:9], s32 offset:1204 ; 8-byte Folded Spill
.LBB270_2912:                           ;   in Loop: Header=BB270_2089 Depth=1
	s_or_b32 exec_lo, exec_lo, s2
.LBB270_2913:                           ;   in Loop: Header=BB270_2089 Depth=1
	s_delay_alu instid0(SALU_CYCLE_1)
	s_or_b32 exec_lo, exec_lo, s1
.LBB270_2914:                           ;   in Loop: Header=BB270_2089 Depth=1
	s_delay_alu instid0(SALU_CYCLE_1) | instskip(NEXT) | instid1(SALU_CYCLE_1)
	s_or_b32 exec_lo, exec_lo, s0
	s_mov_b32 s0, exec_lo
	v_cmpx_lt_u32_e32 0xffffff, v4
	s_cbranch_execz .LBB270_2922
; %bb.2915:                             ;   in Loop: Header=BB270_2089 Depth=1
	v_lshrrev_b32_e32 v5, 24, v4
	v_dual_mov_b32 v6, s10 :: v_dual_mov_b32 v7, s11
	s_mov_b32 s1, exec_lo
	scratch_store_b64 off, v[6:7], s32 offset:1196 ; 8-byte Folded Spill
	v_cmpx_ne_u32_e32 0x80, v5
	s_cbranch_execz .LBB270_2921
; %bb.2916:                             ;   in Loop: Header=BB270_2089 Depth=1
	s_mov_b32 s12, s10
	v_bfe_u32 v6, v4, 24, 7
	v_dual_mov_b32 v7, s12 :: v_dual_mov_b32 v8, s13
	s_mov_b32 s2, exec_lo
	scratch_store_b64 off, v[7:8], s32 offset:1196 ; 8-byte Folded Spill
	v_cmpx_ne_u32_e32 0x7f, v6
	s_cbranch_execz .LBB270_2920
; %bb.2917:                             ;   in Loop: Header=BB270_2089 Depth=1
	v_and_b32_e32 v8, 7, v5
	v_lshrrev_b32_e32 v4, 3, v6
	s_mov_b32 s3, exec_lo
	v_cmpx_gt_u32_e32 8, v6
; %bb.2918:                             ;   in Loop: Header=BB270_2089 Depth=1
	s_delay_alu instid0(VALU_DEP_3) | instskip(NEXT) | instid1(VALU_DEP_1)
	v_clz_i32_u32_e32 v4, v8
	v_min_u32_e32 v4, 32, v4
	s_delay_alu instid0(VALU_DEP_1) | instskip(SKIP_1) | instid1(VALU_DEP_2)
	v_subrev_nc_u32_e32 v6, 28, v4
	v_sub_nc_u32_e32 v4, 29, v4
	v_lshlrev_b64 v[6:7], v6, v[8:9]
	s_delay_alu instid0(VALU_DEP_1)
	v_and_b32_e32 v8, 7, v6
; %bb.2919:                             ;   in Loop: Header=BB270_2089 Depth=1
	s_or_b32 exec_lo, exec_lo, s3
	v_lshlrev_b32_e32 v5, 24, v5
	s_delay_alu instid0(VALU_DEP_2) | instskip(SKIP_1) | instid1(VALU_DEP_3)
	v_lshlrev_b32_e32 v6, 20, v8
	v_lshl_add_u32 v4, v4, 23, 0x3c000000
	v_and_b32_e32 v5, 0x80000000, v5
	s_delay_alu instid0(VALU_DEP_1)
	v_or3_b32 v5, v6, v5, v4
	v_mov_b32_e32 v4, v9
	scratch_store_b64 off, v[4:5], s32 offset:1196 ; 8-byte Folded Spill
.LBB270_2920:                           ;   in Loop: Header=BB270_2089 Depth=1
	s_or_b32 exec_lo, exec_lo, s2
.LBB270_2921:                           ;   in Loop: Header=BB270_2089 Depth=1
	s_delay_alu instid0(SALU_CYCLE_1)
	s_or_b32 exec_lo, exec_lo, s1
.LBB270_2922:                           ;   in Loop: Header=BB270_2089 Depth=1
	s_delay_alu instid0(SALU_CYCLE_1)
	s_or_b32 exec_lo, exec_lo, s0
	flat_load_b32 v4, v[50:51] offset:3328
	v_mov_b32_e32 v6, 0
	v_mov_b32_e32 v7, 0
	s_mov_b32 s0, exec_lo
	s_clause 0x1
	scratch_store_b64 off, v[6:7], s32 offset:1212
	scratch_store_b64 off, v[6:7], s32 offset:1220
	s_waitcnt vmcnt(0) lgkmcnt(0)
	v_and_b32_e32 v5, 0xff, v4
	s_delay_alu instid0(VALU_DEP_1)
	v_cmpx_ne_u16_e32 0, v5
	s_cbranch_execz .LBB270_2930
; %bb.2923:                             ;   in Loop: Header=BB270_2089 Depth=1
	v_cmp_ne_u16_e32 vcc_lo, 0x80, v5
	v_bfrev_b32_e32 v5, 1
	v_mov_b32_e32 v6, 0
	scratch_store_b64 off, v[5:6], s32 offset:1220 ; 8-byte Folded Spill
	s_and_saveexec_b32 s1, vcc_lo
	s_cbranch_execz .LBB270_2929
; %bb.2924:                             ;   in Loop: Header=BB270_2089 Depth=1
	v_mov_b32_e32 v7, 0x7f800001
	v_and_b32_e32 v6, 0x7f, v4
	v_mov_b32_e32 v8, 0
	s_mov_b32 s2, exec_lo
	scratch_store_b64 off, v[7:8], s32 offset:1220 ; 8-byte Folded Spill
	v_cmpx_ne_u32_e32 0x7f, v6
	s_cbranch_execz .LBB270_2928
; %bb.2925:                             ;   in Loop: Header=BB270_2089 Depth=1
	v_and_b32_e32 v8, 7, v4
	v_lshrrev_b32_e32 v5, 3, v6
	s_mov_b32 s3, exec_lo
	v_cmpx_gt_u32_e32 8, v6
; %bb.2926:                             ;   in Loop: Header=BB270_2089 Depth=1
	s_delay_alu instid0(VALU_DEP_3) | instskip(NEXT) | instid1(VALU_DEP_1)
	v_clz_i32_u32_e32 v5, v8
	v_min_u32_e32 v5, 32, v5
	s_delay_alu instid0(VALU_DEP_1) | instskip(SKIP_1) | instid1(VALU_DEP_2)
	v_subrev_nc_u32_e32 v6, 28, v5
	v_sub_nc_u32_e32 v5, 29, v5
	v_lshlrev_b64 v[6:7], v6, v[8:9]
	s_delay_alu instid0(VALU_DEP_1)
	v_and_b32_e32 v8, 7, v6
; %bb.2927:                             ;   in Loop: Header=BB270_2089 Depth=1
	s_or_b32 exec_lo, exec_lo, s3
	v_lshlrev_b32_e32 v6, 24, v4
	s_delay_alu instid0(VALU_DEP_2) | instskip(SKIP_1) | instid1(VALU_DEP_3)
	v_lshlrev_b32_e32 v7, 20, v8
	v_lshl_add_u32 v5, v5, 23, 0x3c000000
	v_and_b32_e32 v6, 0x80000000, v6
	s_delay_alu instid0(VALU_DEP_1)
	v_or3_b32 v8, v7, v6, v5
	scratch_store_b64 off, v[8:9], s32 offset:1220 ; 8-byte Folded Spill
.LBB270_2928:                           ;   in Loop: Header=BB270_2089 Depth=1
	s_or_b32 exec_lo, exec_lo, s2
.LBB270_2929:                           ;   in Loop: Header=BB270_2089 Depth=1
	s_delay_alu instid0(SALU_CYCLE_1)
	s_or_b32 exec_lo, exec_lo, s1
.LBB270_2930:                           ;   in Loop: Header=BB270_2089 Depth=1
	s_delay_alu instid0(SALU_CYCLE_1) | instskip(SKIP_2) | instid1(VALU_DEP_1)
	s_or_b32 exec_lo, exec_lo, s0
	v_lshrrev_b16 v5, 8, v4
	s_mov_b32 s0, exec_lo
	v_cmpx_ne_u16_e32 0, v5
	s_cbranch_execz .LBB270_2938
; %bb.2931:                             ;   in Loop: Header=BB270_2089 Depth=1
	v_dual_mov_b32 v6, s10 :: v_dual_mov_b32 v7, s11
	s_mov_b32 s1, exec_lo
	scratch_store_b64 off, v[6:7], s32 offset:1212 ; 8-byte Folded Spill
	v_cmpx_ne_u16_e32 0x80, v5
	s_cbranch_execz .LBB270_2937
; %bb.2932:                             ;   in Loop: Header=BB270_2089 Depth=1
	s_mov_b32 s12, s10
	v_and_b32_e32 v5, 0xffff, v5
	v_dual_mov_b32 v7, s12 :: v_dual_mov_b32 v8, s13
	s_mov_b32 s2, exec_lo
	s_delay_alu instid0(VALU_DEP_2)
	v_and_b32_e32 v6, 0x7f, v5
	scratch_store_b64 off, v[7:8], s32 offset:1212 ; 8-byte Folded Spill
	v_cmpx_ne_u32_e32 0x7f, v6
	s_cbranch_execz .LBB270_2936
; %bb.2933:                             ;   in Loop: Header=BB270_2089 Depth=1
	v_and_b32_e32 v8, 7, v5
	v_lshrrev_b32_e32 v5, 3, v6
	s_mov_b32 s3, exec_lo
	v_cmpx_gt_u32_e32 8, v6
; %bb.2934:                             ;   in Loop: Header=BB270_2089 Depth=1
	s_delay_alu instid0(VALU_DEP_3) | instskip(NEXT) | instid1(VALU_DEP_1)
	v_clz_i32_u32_e32 v5, v8
	v_min_u32_e32 v5, 32, v5
	s_delay_alu instid0(VALU_DEP_1) | instskip(SKIP_1) | instid1(VALU_DEP_2)
	v_subrev_nc_u32_e32 v6, 28, v5
	v_sub_nc_u32_e32 v5, 29, v5
	v_lshlrev_b64 v[6:7], v6, v[8:9]
	s_delay_alu instid0(VALU_DEP_1)
	v_and_b32_e32 v8, 7, v6
; %bb.2935:                             ;   in Loop: Header=BB270_2089 Depth=1
	s_or_b32 exec_lo, exec_lo, s3
	v_lshlrev_b32_e32 v6, 16, v4
	s_delay_alu instid0(VALU_DEP_2) | instskip(SKIP_1) | instid1(VALU_DEP_3)
	v_lshlrev_b32_e32 v7, 20, v8
	v_lshl_add_u32 v5, v5, 23, 0x3c000000
	v_and_b32_e32 v6, 0x80000000, v6
	s_delay_alu instid0(VALU_DEP_1)
	v_or3_b32 v6, v7, v6, v5
	v_mov_b32_e32 v5, v9
	scratch_store_b64 off, v[5:6], s32 offset:1212 ; 8-byte Folded Spill
.LBB270_2936:                           ;   in Loop: Header=BB270_2089 Depth=1
	s_or_b32 exec_lo, exec_lo, s2
.LBB270_2937:                           ;   in Loop: Header=BB270_2089 Depth=1
	s_delay_alu instid0(SALU_CYCLE_1)
	s_or_b32 exec_lo, exec_lo, s1
.LBB270_2938:                           ;   in Loop: Header=BB270_2089 Depth=1
	s_delay_alu instid0(SALU_CYCLE_1)
	s_or_b32 exec_lo, exec_lo, s0
	v_lshrrev_b32_e32 v5, 16, v4
	v_mov_b32_e32 v7, 0
	v_mov_b32_e32 v8, 0
	s_mov_b32 s0, exec_lo
	s_clause 0x1
	scratch_store_b64 off, v[7:8], s32 offset:1228
	scratch_store_b64 off, v[7:8], s32 offset:1236
	v_and_b32_e32 v6, 0xff, v5
	s_delay_alu instid0(VALU_DEP_1)
	v_cmpx_ne_u16_e32 0, v6
	s_cbranch_execz .LBB270_2946
; %bb.2939:                             ;   in Loop: Header=BB270_2089 Depth=1
	v_cmp_ne_u16_e32 vcc_lo, 0x80, v6
	v_bfrev_b32_e32 v6, 1
	v_mov_b32_e32 v7, 0
	scratch_store_b64 off, v[6:7], s32 offset:1236 ; 8-byte Folded Spill
	s_and_saveexec_b32 s1, vcc_lo
	s_cbranch_execz .LBB270_2945
; %bb.2940:                             ;   in Loop: Header=BB270_2089 Depth=1
	v_mov_b32_e32 v10, 0x7f800001
	v_bfe_u32 v7, v4, 16, 7
	v_mov_b32_e32 v11, 0
	s_mov_b32 s2, exec_lo
	scratch_store_b64 off, v[10:11], s32 offset:1236 ; 8-byte Folded Spill
	v_cmpx_ne_u32_e32 0x7f, v7
	s_cbranch_execz .LBB270_2944
; %bb.2941:                             ;   in Loop: Header=BB270_2089 Depth=1
	v_and_b32_e32 v8, 7, v5
	v_lshrrev_b32_e32 v6, 3, v7
	s_mov_b32 s3, exec_lo
	v_cmpx_gt_u32_e32 8, v7
; %bb.2942:                             ;   in Loop: Header=BB270_2089 Depth=1
	s_delay_alu instid0(VALU_DEP_3) | instskip(NEXT) | instid1(VALU_DEP_1)
	v_clz_i32_u32_e32 v6, v8
	v_min_u32_e32 v6, 32, v6
	s_delay_alu instid0(VALU_DEP_1) | instskip(SKIP_1) | instid1(VALU_DEP_2)
	v_subrev_nc_u32_e32 v7, 28, v6
	v_sub_nc_u32_e32 v6, 29, v6
	v_lshlrev_b64 v[7:8], v7, v[8:9]
	s_delay_alu instid0(VALU_DEP_1)
	v_and_b32_e32 v8, 7, v7
; %bb.2943:                             ;   in Loop: Header=BB270_2089 Depth=1
	s_or_b32 exec_lo, exec_lo, s3
	v_lshlrev_b32_e32 v5, 24, v5
	s_delay_alu instid0(VALU_DEP_2) | instskip(SKIP_1) | instid1(VALU_DEP_3)
	v_lshlrev_b32_e32 v7, 20, v8
	v_lshl_add_u32 v6, v6, 23, 0x3c000000
	v_and_b32_e32 v5, 0x80000000, v5
	s_delay_alu instid0(VALU_DEP_1)
	v_or3_b32 v8, v7, v5, v6
	scratch_store_b64 off, v[8:9], s32 offset:1236 ; 8-byte Folded Spill
.LBB270_2944:                           ;   in Loop: Header=BB270_2089 Depth=1
	s_or_b32 exec_lo, exec_lo, s2
.LBB270_2945:                           ;   in Loop: Header=BB270_2089 Depth=1
	s_delay_alu instid0(SALU_CYCLE_1)
	s_or_b32 exec_lo, exec_lo, s1
.LBB270_2946:                           ;   in Loop: Header=BB270_2089 Depth=1
	s_delay_alu instid0(SALU_CYCLE_1) | instskip(NEXT) | instid1(SALU_CYCLE_1)
	s_or_b32 exec_lo, exec_lo, s0
	s_mov_b32 s0, exec_lo
	v_cmpx_lt_u32_e32 0xffffff, v4
	s_cbranch_execz .LBB270_2954
; %bb.2947:                             ;   in Loop: Header=BB270_2089 Depth=1
	v_lshrrev_b32_e32 v5, 24, v4
	v_dual_mov_b32 v6, s10 :: v_dual_mov_b32 v7, s11
	s_mov_b32 s1, exec_lo
	scratch_store_b64 off, v[6:7], s32 offset:1228 ; 8-byte Folded Spill
	v_cmpx_ne_u32_e32 0x80, v5
	s_cbranch_execz .LBB270_2953
; %bb.2948:                             ;   in Loop: Header=BB270_2089 Depth=1
	s_mov_b32 s12, s10
	v_bfe_u32 v6, v4, 24, 7
	v_dual_mov_b32 v7, s12 :: v_dual_mov_b32 v8, s13
	s_mov_b32 s2, exec_lo
	scratch_store_b64 off, v[7:8], s32 offset:1228 ; 8-byte Folded Spill
	v_cmpx_ne_u32_e32 0x7f, v6
	s_cbranch_execz .LBB270_2952
; %bb.2949:                             ;   in Loop: Header=BB270_2089 Depth=1
	v_and_b32_e32 v8, 7, v5
	v_lshrrev_b32_e32 v4, 3, v6
	s_mov_b32 s3, exec_lo
	v_cmpx_gt_u32_e32 8, v6
; %bb.2950:                             ;   in Loop: Header=BB270_2089 Depth=1
	s_delay_alu instid0(VALU_DEP_3) | instskip(NEXT) | instid1(VALU_DEP_1)
	v_clz_i32_u32_e32 v4, v8
	v_min_u32_e32 v4, 32, v4
	s_delay_alu instid0(VALU_DEP_1) | instskip(SKIP_1) | instid1(VALU_DEP_2)
	v_subrev_nc_u32_e32 v6, 28, v4
	v_sub_nc_u32_e32 v4, 29, v4
	v_lshlrev_b64 v[6:7], v6, v[8:9]
	s_delay_alu instid0(VALU_DEP_1)
	v_and_b32_e32 v8, 7, v6
; %bb.2951:                             ;   in Loop: Header=BB270_2089 Depth=1
	s_or_b32 exec_lo, exec_lo, s3
	v_lshlrev_b32_e32 v5, 24, v5
	s_delay_alu instid0(VALU_DEP_2) | instskip(SKIP_1) | instid1(VALU_DEP_3)
	v_lshlrev_b32_e32 v6, 20, v8
	v_lshl_add_u32 v4, v4, 23, 0x3c000000
	v_and_b32_e32 v5, 0x80000000, v5
	s_delay_alu instid0(VALU_DEP_1)
	v_or3_b32 v5, v6, v5, v4
	v_mov_b32_e32 v4, v9
	scratch_store_b64 off, v[4:5], s32 offset:1228 ; 8-byte Folded Spill
.LBB270_2952:                           ;   in Loop: Header=BB270_2089 Depth=1
	s_or_b32 exec_lo, exec_lo, s2
.LBB270_2953:                           ;   in Loop: Header=BB270_2089 Depth=1
	s_delay_alu instid0(SALU_CYCLE_1)
	s_or_b32 exec_lo, exec_lo, s1
.LBB270_2954:                           ;   in Loop: Header=BB270_2089 Depth=1
	s_delay_alu instid0(SALU_CYCLE_1)
	s_or_b32 exec_lo, exec_lo, s0
	flat_load_b32 v4, v[50:51] offset:3456
	v_mov_b32_e32 v6, 0
	v_mov_b32_e32 v7, 0
	s_mov_b32 s0, exec_lo
	s_clause 0x1
	scratch_store_b64 off, v[6:7], s32 offset:1244
	scratch_store_b64 off, v[6:7], s32 offset:1252
	s_waitcnt vmcnt(0) lgkmcnt(0)
	v_and_b32_e32 v5, 0xff, v4
	s_delay_alu instid0(VALU_DEP_1)
	v_cmpx_ne_u16_e32 0, v5
	s_cbranch_execz .LBB270_2962
; %bb.2955:                             ;   in Loop: Header=BB270_2089 Depth=1
	v_cmp_ne_u16_e32 vcc_lo, 0x80, v5
	v_bfrev_b32_e32 v5, 1
	v_mov_b32_e32 v6, 0
	scratch_store_b64 off, v[5:6], s32 offset:1252 ; 8-byte Folded Spill
	s_and_saveexec_b32 s1, vcc_lo
	s_cbranch_execz .LBB270_2961
; %bb.2956:                             ;   in Loop: Header=BB270_2089 Depth=1
	v_mov_b32_e32 v7, 0x7f800001
	v_and_b32_e32 v6, 0x7f, v4
	v_mov_b32_e32 v8, 0
	s_mov_b32 s2, exec_lo
	scratch_store_b64 off, v[7:8], s32 offset:1252 ; 8-byte Folded Spill
	v_cmpx_ne_u32_e32 0x7f, v6
	s_cbranch_execz .LBB270_2960
; %bb.2957:                             ;   in Loop: Header=BB270_2089 Depth=1
	v_and_b32_e32 v8, 7, v4
	v_lshrrev_b32_e32 v5, 3, v6
	s_mov_b32 s3, exec_lo
	v_cmpx_gt_u32_e32 8, v6
; %bb.2958:                             ;   in Loop: Header=BB270_2089 Depth=1
	s_delay_alu instid0(VALU_DEP_3) | instskip(NEXT) | instid1(VALU_DEP_1)
	v_clz_i32_u32_e32 v5, v8
	v_min_u32_e32 v5, 32, v5
	s_delay_alu instid0(VALU_DEP_1) | instskip(SKIP_1) | instid1(VALU_DEP_2)
	v_subrev_nc_u32_e32 v6, 28, v5
	v_sub_nc_u32_e32 v5, 29, v5
	v_lshlrev_b64 v[6:7], v6, v[8:9]
	s_delay_alu instid0(VALU_DEP_1)
	v_and_b32_e32 v8, 7, v6
; %bb.2959:                             ;   in Loop: Header=BB270_2089 Depth=1
	s_or_b32 exec_lo, exec_lo, s3
	v_lshlrev_b32_e32 v6, 24, v4
	s_delay_alu instid0(VALU_DEP_2) | instskip(SKIP_1) | instid1(VALU_DEP_3)
	v_lshlrev_b32_e32 v7, 20, v8
	v_lshl_add_u32 v5, v5, 23, 0x3c000000
	v_and_b32_e32 v6, 0x80000000, v6
	s_delay_alu instid0(VALU_DEP_1)
	v_or3_b32 v8, v7, v6, v5
	scratch_store_b64 off, v[8:9], s32 offset:1252 ; 8-byte Folded Spill
.LBB270_2960:                           ;   in Loop: Header=BB270_2089 Depth=1
	s_or_b32 exec_lo, exec_lo, s2
.LBB270_2961:                           ;   in Loop: Header=BB270_2089 Depth=1
	s_delay_alu instid0(SALU_CYCLE_1)
	s_or_b32 exec_lo, exec_lo, s1
.LBB270_2962:                           ;   in Loop: Header=BB270_2089 Depth=1
	s_delay_alu instid0(SALU_CYCLE_1) | instskip(SKIP_2) | instid1(VALU_DEP_1)
	s_or_b32 exec_lo, exec_lo, s0
	v_lshrrev_b16 v5, 8, v4
	s_mov_b32 s0, exec_lo
	v_cmpx_ne_u16_e32 0, v5
	s_cbranch_execz .LBB270_2970
; %bb.2963:                             ;   in Loop: Header=BB270_2089 Depth=1
	v_dual_mov_b32 v6, s10 :: v_dual_mov_b32 v7, s11
	s_mov_b32 s1, exec_lo
	scratch_store_b64 off, v[6:7], s32 offset:1244 ; 8-byte Folded Spill
	v_cmpx_ne_u16_e32 0x80, v5
	s_cbranch_execz .LBB270_2969
; %bb.2964:                             ;   in Loop: Header=BB270_2089 Depth=1
	s_mov_b32 s12, s10
	v_and_b32_e32 v5, 0xffff, v5
	v_dual_mov_b32 v7, s12 :: v_dual_mov_b32 v8, s13
	s_mov_b32 s2, exec_lo
	s_delay_alu instid0(VALU_DEP_2)
	v_and_b32_e32 v6, 0x7f, v5
	scratch_store_b64 off, v[7:8], s32 offset:1244 ; 8-byte Folded Spill
	v_cmpx_ne_u32_e32 0x7f, v6
	s_cbranch_execz .LBB270_2968
; %bb.2965:                             ;   in Loop: Header=BB270_2089 Depth=1
	v_and_b32_e32 v8, 7, v5
	v_lshrrev_b32_e32 v5, 3, v6
	s_mov_b32 s3, exec_lo
	v_cmpx_gt_u32_e32 8, v6
; %bb.2966:                             ;   in Loop: Header=BB270_2089 Depth=1
	s_delay_alu instid0(VALU_DEP_3) | instskip(NEXT) | instid1(VALU_DEP_1)
	v_clz_i32_u32_e32 v5, v8
	v_min_u32_e32 v5, 32, v5
	s_delay_alu instid0(VALU_DEP_1) | instskip(SKIP_1) | instid1(VALU_DEP_2)
	v_subrev_nc_u32_e32 v6, 28, v5
	v_sub_nc_u32_e32 v5, 29, v5
	v_lshlrev_b64 v[6:7], v6, v[8:9]
	s_delay_alu instid0(VALU_DEP_1)
	v_and_b32_e32 v8, 7, v6
; %bb.2967:                             ;   in Loop: Header=BB270_2089 Depth=1
	s_or_b32 exec_lo, exec_lo, s3
	v_lshlrev_b32_e32 v6, 16, v4
	s_delay_alu instid0(VALU_DEP_2) | instskip(SKIP_1) | instid1(VALU_DEP_3)
	v_lshlrev_b32_e32 v7, 20, v8
	v_lshl_add_u32 v5, v5, 23, 0x3c000000
	v_and_b32_e32 v6, 0x80000000, v6
	s_delay_alu instid0(VALU_DEP_1)
	v_or3_b32 v6, v7, v6, v5
	v_mov_b32_e32 v5, v9
	scratch_store_b64 off, v[5:6], s32 offset:1244 ; 8-byte Folded Spill
.LBB270_2968:                           ;   in Loop: Header=BB270_2089 Depth=1
	s_or_b32 exec_lo, exec_lo, s2
.LBB270_2969:                           ;   in Loop: Header=BB270_2089 Depth=1
	s_delay_alu instid0(SALU_CYCLE_1)
	s_or_b32 exec_lo, exec_lo, s1
.LBB270_2970:                           ;   in Loop: Header=BB270_2089 Depth=1
	s_delay_alu instid0(SALU_CYCLE_1)
	s_or_b32 exec_lo, exec_lo, s0
	v_lshrrev_b32_e32 v5, 16, v4
	v_mov_b32_e32 v7, 0
	v_mov_b32_e32 v8, 0
	s_mov_b32 s0, exec_lo
	s_clause 0x1
	scratch_store_b64 off, v[7:8], s32 offset:1260
	scratch_store_b64 off, v[7:8], s32 offset:1268
	v_and_b32_e32 v6, 0xff, v5
	s_delay_alu instid0(VALU_DEP_1)
	v_cmpx_ne_u16_e32 0, v6
	s_cbranch_execz .LBB270_2978
; %bb.2971:                             ;   in Loop: Header=BB270_2089 Depth=1
	v_cmp_ne_u16_e32 vcc_lo, 0x80, v6
	v_bfrev_b32_e32 v6, 1
	v_mov_b32_e32 v7, 0
	scratch_store_b64 off, v[6:7], s32 offset:1268 ; 8-byte Folded Spill
	s_and_saveexec_b32 s1, vcc_lo
	s_cbranch_execz .LBB270_2977
; %bb.2972:                             ;   in Loop: Header=BB270_2089 Depth=1
	v_mov_b32_e32 v10, 0x7f800001
	v_bfe_u32 v7, v4, 16, 7
	v_mov_b32_e32 v11, 0
	s_mov_b32 s2, exec_lo
	scratch_store_b64 off, v[10:11], s32 offset:1268 ; 8-byte Folded Spill
	v_cmpx_ne_u32_e32 0x7f, v7
	s_cbranch_execz .LBB270_2976
; %bb.2973:                             ;   in Loop: Header=BB270_2089 Depth=1
	v_and_b32_e32 v8, 7, v5
	v_lshrrev_b32_e32 v6, 3, v7
	s_mov_b32 s3, exec_lo
	v_cmpx_gt_u32_e32 8, v7
; %bb.2974:                             ;   in Loop: Header=BB270_2089 Depth=1
	s_delay_alu instid0(VALU_DEP_3) | instskip(NEXT) | instid1(VALU_DEP_1)
	v_clz_i32_u32_e32 v6, v8
	v_min_u32_e32 v6, 32, v6
	s_delay_alu instid0(VALU_DEP_1) | instskip(SKIP_1) | instid1(VALU_DEP_2)
	v_subrev_nc_u32_e32 v7, 28, v6
	v_sub_nc_u32_e32 v6, 29, v6
	v_lshlrev_b64 v[7:8], v7, v[8:9]
	s_delay_alu instid0(VALU_DEP_1)
	v_and_b32_e32 v8, 7, v7
; %bb.2975:                             ;   in Loop: Header=BB270_2089 Depth=1
	s_or_b32 exec_lo, exec_lo, s3
	v_lshlrev_b32_e32 v5, 24, v5
	s_delay_alu instid0(VALU_DEP_2) | instskip(SKIP_1) | instid1(VALU_DEP_3)
	v_lshlrev_b32_e32 v7, 20, v8
	v_lshl_add_u32 v6, v6, 23, 0x3c000000
	v_and_b32_e32 v5, 0x80000000, v5
	s_delay_alu instid0(VALU_DEP_1)
	v_or3_b32 v8, v7, v5, v6
	scratch_store_b64 off, v[8:9], s32 offset:1268 ; 8-byte Folded Spill
.LBB270_2976:                           ;   in Loop: Header=BB270_2089 Depth=1
	s_or_b32 exec_lo, exec_lo, s2
.LBB270_2977:                           ;   in Loop: Header=BB270_2089 Depth=1
	s_delay_alu instid0(SALU_CYCLE_1)
	s_or_b32 exec_lo, exec_lo, s1
.LBB270_2978:                           ;   in Loop: Header=BB270_2089 Depth=1
	s_delay_alu instid0(SALU_CYCLE_1) | instskip(NEXT) | instid1(SALU_CYCLE_1)
	s_or_b32 exec_lo, exec_lo, s0
	s_mov_b32 s0, exec_lo
	v_cmpx_lt_u32_e32 0xffffff, v4
	s_cbranch_execz .LBB270_2986
; %bb.2979:                             ;   in Loop: Header=BB270_2089 Depth=1
	v_lshrrev_b32_e32 v5, 24, v4
	v_dual_mov_b32 v6, s10 :: v_dual_mov_b32 v7, s11
	s_mov_b32 s1, exec_lo
	scratch_store_b64 off, v[6:7], s32 offset:1260 ; 8-byte Folded Spill
	v_cmpx_ne_u32_e32 0x80, v5
	s_cbranch_execz .LBB270_2985
; %bb.2980:                             ;   in Loop: Header=BB270_2089 Depth=1
	s_mov_b32 s12, s10
	v_bfe_u32 v6, v4, 24, 7
	v_dual_mov_b32 v7, s12 :: v_dual_mov_b32 v8, s13
	s_mov_b32 s2, exec_lo
	scratch_store_b64 off, v[7:8], s32 offset:1260 ; 8-byte Folded Spill
	v_cmpx_ne_u32_e32 0x7f, v6
	s_cbranch_execz .LBB270_2984
; %bb.2981:                             ;   in Loop: Header=BB270_2089 Depth=1
	v_and_b32_e32 v8, 7, v5
	v_lshrrev_b32_e32 v4, 3, v6
	s_mov_b32 s3, exec_lo
	v_cmpx_gt_u32_e32 8, v6
; %bb.2982:                             ;   in Loop: Header=BB270_2089 Depth=1
	s_delay_alu instid0(VALU_DEP_3) | instskip(NEXT) | instid1(VALU_DEP_1)
	v_clz_i32_u32_e32 v4, v8
	v_min_u32_e32 v4, 32, v4
	s_delay_alu instid0(VALU_DEP_1) | instskip(SKIP_1) | instid1(VALU_DEP_2)
	v_subrev_nc_u32_e32 v6, 28, v4
	v_sub_nc_u32_e32 v4, 29, v4
	v_lshlrev_b64 v[6:7], v6, v[8:9]
	s_delay_alu instid0(VALU_DEP_1)
	v_and_b32_e32 v8, 7, v6
; %bb.2983:                             ;   in Loop: Header=BB270_2089 Depth=1
	s_or_b32 exec_lo, exec_lo, s3
	v_lshlrev_b32_e32 v5, 24, v5
	s_delay_alu instid0(VALU_DEP_2) | instskip(SKIP_1) | instid1(VALU_DEP_3)
	v_lshlrev_b32_e32 v6, 20, v8
	v_lshl_add_u32 v4, v4, 23, 0x3c000000
	v_and_b32_e32 v5, 0x80000000, v5
	s_delay_alu instid0(VALU_DEP_1)
	v_or3_b32 v5, v6, v5, v4
	v_mov_b32_e32 v4, v9
	scratch_store_b64 off, v[4:5], s32 offset:1260 ; 8-byte Folded Spill
.LBB270_2984:                           ;   in Loop: Header=BB270_2089 Depth=1
	s_or_b32 exec_lo, exec_lo, s2
.LBB270_2985:                           ;   in Loop: Header=BB270_2089 Depth=1
	s_delay_alu instid0(SALU_CYCLE_1)
	s_or_b32 exec_lo, exec_lo, s1
.LBB270_2986:                           ;   in Loop: Header=BB270_2089 Depth=1
	s_delay_alu instid0(SALU_CYCLE_1)
	s_or_b32 exec_lo, exec_lo, s0
	flat_load_b32 v4, v[50:51] offset:3584
	v_mov_b32_e32 v6, 0
	v_mov_b32_e32 v7, 0
	s_mov_b32 s0, exec_lo
	s_clause 0x1
	scratch_store_b64 off, v[6:7], s32 offset:1276
	scratch_store_b64 off, v[6:7], s32 offset:1284
	s_waitcnt vmcnt(0) lgkmcnt(0)
	v_and_b32_e32 v5, 0xff, v4
	s_delay_alu instid0(VALU_DEP_1)
	v_cmpx_ne_u16_e32 0, v5
	s_cbranch_execz .LBB270_2994
; %bb.2987:                             ;   in Loop: Header=BB270_2089 Depth=1
	v_cmp_ne_u16_e32 vcc_lo, 0x80, v5
	v_bfrev_b32_e32 v5, 1
	v_mov_b32_e32 v6, 0
	scratch_store_b64 off, v[5:6], s32 offset:1284 ; 8-byte Folded Spill
	s_and_saveexec_b32 s1, vcc_lo
	s_cbranch_execz .LBB270_2993
; %bb.2988:                             ;   in Loop: Header=BB270_2089 Depth=1
	v_mov_b32_e32 v7, 0x7f800001
	v_and_b32_e32 v6, 0x7f, v4
	v_mov_b32_e32 v8, 0
	s_mov_b32 s2, exec_lo
	scratch_store_b64 off, v[7:8], s32 offset:1284 ; 8-byte Folded Spill
	v_cmpx_ne_u32_e32 0x7f, v6
	s_cbranch_execz .LBB270_2992
; %bb.2989:                             ;   in Loop: Header=BB270_2089 Depth=1
	v_and_b32_e32 v8, 7, v4
	v_lshrrev_b32_e32 v5, 3, v6
	s_mov_b32 s3, exec_lo
	v_cmpx_gt_u32_e32 8, v6
; %bb.2990:                             ;   in Loop: Header=BB270_2089 Depth=1
	s_delay_alu instid0(VALU_DEP_3) | instskip(NEXT) | instid1(VALU_DEP_1)
	v_clz_i32_u32_e32 v5, v8
	v_min_u32_e32 v5, 32, v5
	s_delay_alu instid0(VALU_DEP_1) | instskip(SKIP_1) | instid1(VALU_DEP_2)
	v_subrev_nc_u32_e32 v6, 28, v5
	v_sub_nc_u32_e32 v5, 29, v5
	v_lshlrev_b64 v[6:7], v6, v[8:9]
	s_delay_alu instid0(VALU_DEP_1)
	v_and_b32_e32 v8, 7, v6
; %bb.2991:                             ;   in Loop: Header=BB270_2089 Depth=1
	s_or_b32 exec_lo, exec_lo, s3
	v_lshlrev_b32_e32 v6, 24, v4
	s_delay_alu instid0(VALU_DEP_2) | instskip(SKIP_1) | instid1(VALU_DEP_3)
	v_lshlrev_b32_e32 v7, 20, v8
	v_lshl_add_u32 v5, v5, 23, 0x3c000000
	v_and_b32_e32 v6, 0x80000000, v6
	s_delay_alu instid0(VALU_DEP_1)
	v_or3_b32 v8, v7, v6, v5
	scratch_store_b64 off, v[8:9], s32 offset:1284 ; 8-byte Folded Spill
.LBB270_2992:                           ;   in Loop: Header=BB270_2089 Depth=1
	s_or_b32 exec_lo, exec_lo, s2
.LBB270_2993:                           ;   in Loop: Header=BB270_2089 Depth=1
	s_delay_alu instid0(SALU_CYCLE_1)
	s_or_b32 exec_lo, exec_lo, s1
.LBB270_2994:                           ;   in Loop: Header=BB270_2089 Depth=1
	s_delay_alu instid0(SALU_CYCLE_1) | instskip(SKIP_2) | instid1(VALU_DEP_1)
	s_or_b32 exec_lo, exec_lo, s0
	v_lshrrev_b16 v5, 8, v4
	s_mov_b32 s0, exec_lo
	v_cmpx_ne_u16_e32 0, v5
	s_cbranch_execz .LBB270_3002
; %bb.2995:                             ;   in Loop: Header=BB270_2089 Depth=1
	v_dual_mov_b32 v6, s10 :: v_dual_mov_b32 v7, s11
	s_mov_b32 s1, exec_lo
	scratch_store_b64 off, v[6:7], s32 offset:1276 ; 8-byte Folded Spill
	v_cmpx_ne_u16_e32 0x80, v5
	s_cbranch_execz .LBB270_3001
; %bb.2996:                             ;   in Loop: Header=BB270_2089 Depth=1
	s_mov_b32 s12, s10
	v_and_b32_e32 v5, 0xffff, v5
	v_dual_mov_b32 v7, s12 :: v_dual_mov_b32 v8, s13
	s_mov_b32 s2, exec_lo
	s_delay_alu instid0(VALU_DEP_2)
	v_and_b32_e32 v6, 0x7f, v5
	scratch_store_b64 off, v[7:8], s32 offset:1276 ; 8-byte Folded Spill
	v_cmpx_ne_u32_e32 0x7f, v6
	s_cbranch_execz .LBB270_3000
; %bb.2997:                             ;   in Loop: Header=BB270_2089 Depth=1
	v_and_b32_e32 v8, 7, v5
	v_lshrrev_b32_e32 v5, 3, v6
	s_mov_b32 s3, exec_lo
	v_cmpx_gt_u32_e32 8, v6
; %bb.2998:                             ;   in Loop: Header=BB270_2089 Depth=1
	s_delay_alu instid0(VALU_DEP_3) | instskip(NEXT) | instid1(VALU_DEP_1)
	v_clz_i32_u32_e32 v5, v8
	v_min_u32_e32 v5, 32, v5
	s_delay_alu instid0(VALU_DEP_1) | instskip(SKIP_1) | instid1(VALU_DEP_2)
	v_subrev_nc_u32_e32 v6, 28, v5
	v_sub_nc_u32_e32 v5, 29, v5
	v_lshlrev_b64 v[6:7], v6, v[8:9]
	s_delay_alu instid0(VALU_DEP_1)
	v_and_b32_e32 v8, 7, v6
; %bb.2999:                             ;   in Loop: Header=BB270_2089 Depth=1
	s_or_b32 exec_lo, exec_lo, s3
	v_lshlrev_b32_e32 v6, 16, v4
	s_delay_alu instid0(VALU_DEP_2) | instskip(SKIP_1) | instid1(VALU_DEP_3)
	v_lshlrev_b32_e32 v7, 20, v8
	v_lshl_add_u32 v5, v5, 23, 0x3c000000
	v_and_b32_e32 v6, 0x80000000, v6
	s_delay_alu instid0(VALU_DEP_1)
	v_or3_b32 v6, v7, v6, v5
	v_mov_b32_e32 v5, v9
	scratch_store_b64 off, v[5:6], s32 offset:1276 ; 8-byte Folded Spill
.LBB270_3000:                           ;   in Loop: Header=BB270_2089 Depth=1
	s_or_b32 exec_lo, exec_lo, s2
.LBB270_3001:                           ;   in Loop: Header=BB270_2089 Depth=1
	s_delay_alu instid0(SALU_CYCLE_1)
	s_or_b32 exec_lo, exec_lo, s1
.LBB270_3002:                           ;   in Loop: Header=BB270_2089 Depth=1
	s_delay_alu instid0(SALU_CYCLE_1)
	s_or_b32 exec_lo, exec_lo, s0
	v_lshrrev_b32_e32 v5, 16, v4
	v_mov_b32_e32 v7, 0
	v_mov_b32_e32 v8, 0
	s_mov_b32 s0, exec_lo
	s_clause 0x1
	scratch_store_b64 off, v[7:8], s32 offset:1292
	scratch_store_b64 off, v[7:8], s32 offset:1300
	v_and_b32_e32 v6, 0xff, v5
	s_delay_alu instid0(VALU_DEP_1)
	v_cmpx_ne_u16_e32 0, v6
	s_cbranch_execz .LBB270_3010
; %bb.3003:                             ;   in Loop: Header=BB270_2089 Depth=1
	v_cmp_ne_u16_e32 vcc_lo, 0x80, v6
	v_bfrev_b32_e32 v6, 1
	v_mov_b32_e32 v7, 0
	scratch_store_b64 off, v[6:7], s32 offset:1300 ; 8-byte Folded Spill
	s_and_saveexec_b32 s1, vcc_lo
	s_cbranch_execz .LBB270_3009
; %bb.3004:                             ;   in Loop: Header=BB270_2089 Depth=1
	v_mov_b32_e32 v10, 0x7f800001
	v_bfe_u32 v7, v4, 16, 7
	v_mov_b32_e32 v11, 0
	s_mov_b32 s2, exec_lo
	scratch_store_b64 off, v[10:11], s32 offset:1300 ; 8-byte Folded Spill
	v_cmpx_ne_u32_e32 0x7f, v7
	s_cbranch_execz .LBB270_3008
; %bb.3005:                             ;   in Loop: Header=BB270_2089 Depth=1
	v_and_b32_e32 v8, 7, v5
	v_lshrrev_b32_e32 v6, 3, v7
	s_mov_b32 s3, exec_lo
	v_cmpx_gt_u32_e32 8, v7
; %bb.3006:                             ;   in Loop: Header=BB270_2089 Depth=1
	s_delay_alu instid0(VALU_DEP_3) | instskip(NEXT) | instid1(VALU_DEP_1)
	v_clz_i32_u32_e32 v6, v8
	v_min_u32_e32 v6, 32, v6
	s_delay_alu instid0(VALU_DEP_1) | instskip(SKIP_1) | instid1(VALU_DEP_2)
	v_subrev_nc_u32_e32 v7, 28, v6
	v_sub_nc_u32_e32 v6, 29, v6
	v_lshlrev_b64 v[7:8], v7, v[8:9]
	s_delay_alu instid0(VALU_DEP_1)
	v_and_b32_e32 v8, 7, v7
; %bb.3007:                             ;   in Loop: Header=BB270_2089 Depth=1
	s_or_b32 exec_lo, exec_lo, s3
	v_lshlrev_b32_e32 v5, 24, v5
	s_delay_alu instid0(VALU_DEP_2) | instskip(SKIP_1) | instid1(VALU_DEP_3)
	v_lshlrev_b32_e32 v7, 20, v8
	v_lshl_add_u32 v6, v6, 23, 0x3c000000
	v_and_b32_e32 v5, 0x80000000, v5
	s_delay_alu instid0(VALU_DEP_1)
	v_or3_b32 v8, v7, v5, v6
	scratch_store_b64 off, v[8:9], s32 offset:1300 ; 8-byte Folded Spill
.LBB270_3008:                           ;   in Loop: Header=BB270_2089 Depth=1
	s_or_b32 exec_lo, exec_lo, s2
.LBB270_3009:                           ;   in Loop: Header=BB270_2089 Depth=1
	s_delay_alu instid0(SALU_CYCLE_1)
	s_or_b32 exec_lo, exec_lo, s1
.LBB270_3010:                           ;   in Loop: Header=BB270_2089 Depth=1
	s_delay_alu instid0(SALU_CYCLE_1) | instskip(NEXT) | instid1(SALU_CYCLE_1)
	s_or_b32 exec_lo, exec_lo, s0
	s_mov_b32 s0, exec_lo
	v_cmpx_lt_u32_e32 0xffffff, v4
	s_cbranch_execz .LBB270_3018
; %bb.3011:                             ;   in Loop: Header=BB270_2089 Depth=1
	v_lshrrev_b32_e32 v5, 24, v4
	v_dual_mov_b32 v6, s10 :: v_dual_mov_b32 v7, s11
	s_mov_b32 s1, exec_lo
	scratch_store_b64 off, v[6:7], s32 offset:1292 ; 8-byte Folded Spill
	v_cmpx_ne_u32_e32 0x80, v5
	s_cbranch_execz .LBB270_3017
; %bb.3012:                             ;   in Loop: Header=BB270_2089 Depth=1
	s_mov_b32 s12, s10
	v_bfe_u32 v6, v4, 24, 7
	v_dual_mov_b32 v7, s12 :: v_dual_mov_b32 v8, s13
	s_mov_b32 s2, exec_lo
	scratch_store_b64 off, v[7:8], s32 offset:1292 ; 8-byte Folded Spill
	v_cmpx_ne_u32_e32 0x7f, v6
	s_cbranch_execz .LBB270_3016
; %bb.3013:                             ;   in Loop: Header=BB270_2089 Depth=1
	v_and_b32_e32 v8, 7, v5
	v_lshrrev_b32_e32 v4, 3, v6
	s_mov_b32 s3, exec_lo
	v_cmpx_gt_u32_e32 8, v6
; %bb.3014:                             ;   in Loop: Header=BB270_2089 Depth=1
	s_delay_alu instid0(VALU_DEP_3) | instskip(NEXT) | instid1(VALU_DEP_1)
	v_clz_i32_u32_e32 v4, v8
	v_min_u32_e32 v4, 32, v4
	s_delay_alu instid0(VALU_DEP_1) | instskip(SKIP_1) | instid1(VALU_DEP_2)
	v_subrev_nc_u32_e32 v6, 28, v4
	v_sub_nc_u32_e32 v4, 29, v4
	v_lshlrev_b64 v[6:7], v6, v[8:9]
	s_delay_alu instid0(VALU_DEP_1)
	v_and_b32_e32 v8, 7, v6
; %bb.3015:                             ;   in Loop: Header=BB270_2089 Depth=1
	s_or_b32 exec_lo, exec_lo, s3
	v_lshlrev_b32_e32 v5, 24, v5
	s_delay_alu instid0(VALU_DEP_2) | instskip(SKIP_1) | instid1(VALU_DEP_3)
	v_lshlrev_b32_e32 v6, 20, v8
	v_lshl_add_u32 v4, v4, 23, 0x3c000000
	v_and_b32_e32 v5, 0x80000000, v5
	s_delay_alu instid0(VALU_DEP_1)
	v_or3_b32 v5, v6, v5, v4
	v_mov_b32_e32 v4, v9
	scratch_store_b64 off, v[4:5], s32 offset:1292 ; 8-byte Folded Spill
.LBB270_3016:                           ;   in Loop: Header=BB270_2089 Depth=1
	s_or_b32 exec_lo, exec_lo, s2
.LBB270_3017:                           ;   in Loop: Header=BB270_2089 Depth=1
	s_delay_alu instid0(SALU_CYCLE_1)
	s_or_b32 exec_lo, exec_lo, s1
.LBB270_3018:                           ;   in Loop: Header=BB270_2089 Depth=1
	s_delay_alu instid0(SALU_CYCLE_1)
	s_or_b32 exec_lo, exec_lo, s0
	flat_load_b32 v4, v[50:51] offset:3712
	v_mov_b32_e32 v6, 0
	v_mov_b32_e32 v7, 0
	s_mov_b32 s0, exec_lo
	s_clause 0x1
	scratch_store_b64 off, v[6:7], s32 offset:1308
	scratch_store_b64 off, v[6:7], s32 offset:1316
	s_waitcnt vmcnt(0) lgkmcnt(0)
	v_and_b32_e32 v5, 0xff, v4
	s_delay_alu instid0(VALU_DEP_1)
	v_cmpx_ne_u16_e32 0, v5
	s_cbranch_execz .LBB270_3026
; %bb.3019:                             ;   in Loop: Header=BB270_2089 Depth=1
	v_cmp_ne_u16_e32 vcc_lo, 0x80, v5
	v_bfrev_b32_e32 v5, 1
	v_mov_b32_e32 v6, 0
	scratch_store_b64 off, v[5:6], s32 offset:1316 ; 8-byte Folded Spill
	s_and_saveexec_b32 s1, vcc_lo
	s_cbranch_execz .LBB270_3025
; %bb.3020:                             ;   in Loop: Header=BB270_2089 Depth=1
	v_mov_b32_e32 v7, 0x7f800001
	v_and_b32_e32 v6, 0x7f, v4
	v_mov_b32_e32 v8, 0
	s_mov_b32 s2, exec_lo
	scratch_store_b64 off, v[7:8], s32 offset:1316 ; 8-byte Folded Spill
	v_cmpx_ne_u32_e32 0x7f, v6
	s_cbranch_execz .LBB270_3024
; %bb.3021:                             ;   in Loop: Header=BB270_2089 Depth=1
	v_and_b32_e32 v8, 7, v4
	v_lshrrev_b32_e32 v5, 3, v6
	s_mov_b32 s3, exec_lo
	v_cmpx_gt_u32_e32 8, v6
; %bb.3022:                             ;   in Loop: Header=BB270_2089 Depth=1
	s_delay_alu instid0(VALU_DEP_3) | instskip(NEXT) | instid1(VALU_DEP_1)
	v_clz_i32_u32_e32 v5, v8
	v_min_u32_e32 v5, 32, v5
	s_delay_alu instid0(VALU_DEP_1) | instskip(SKIP_1) | instid1(VALU_DEP_2)
	v_subrev_nc_u32_e32 v6, 28, v5
	v_sub_nc_u32_e32 v5, 29, v5
	v_lshlrev_b64 v[6:7], v6, v[8:9]
	s_delay_alu instid0(VALU_DEP_1)
	v_and_b32_e32 v8, 7, v6
; %bb.3023:                             ;   in Loop: Header=BB270_2089 Depth=1
	s_or_b32 exec_lo, exec_lo, s3
	v_lshlrev_b32_e32 v6, 24, v4
	s_delay_alu instid0(VALU_DEP_2) | instskip(SKIP_1) | instid1(VALU_DEP_3)
	v_lshlrev_b32_e32 v7, 20, v8
	v_lshl_add_u32 v5, v5, 23, 0x3c000000
	v_and_b32_e32 v6, 0x80000000, v6
	s_delay_alu instid0(VALU_DEP_1)
	v_or3_b32 v8, v7, v6, v5
	scratch_store_b64 off, v[8:9], s32 offset:1316 ; 8-byte Folded Spill
.LBB270_3024:                           ;   in Loop: Header=BB270_2089 Depth=1
	s_or_b32 exec_lo, exec_lo, s2
.LBB270_3025:                           ;   in Loop: Header=BB270_2089 Depth=1
	s_delay_alu instid0(SALU_CYCLE_1)
	s_or_b32 exec_lo, exec_lo, s1
.LBB270_3026:                           ;   in Loop: Header=BB270_2089 Depth=1
	s_delay_alu instid0(SALU_CYCLE_1) | instskip(SKIP_2) | instid1(VALU_DEP_1)
	s_or_b32 exec_lo, exec_lo, s0
	v_lshrrev_b16 v5, 8, v4
	s_mov_b32 s0, exec_lo
	v_cmpx_ne_u16_e32 0, v5
	s_cbranch_execz .LBB270_3034
; %bb.3027:                             ;   in Loop: Header=BB270_2089 Depth=1
	v_dual_mov_b32 v6, s10 :: v_dual_mov_b32 v7, s11
	s_mov_b32 s1, exec_lo
	scratch_store_b64 off, v[6:7], s32 offset:1308 ; 8-byte Folded Spill
	v_cmpx_ne_u16_e32 0x80, v5
	s_cbranch_execz .LBB270_3033
; %bb.3028:                             ;   in Loop: Header=BB270_2089 Depth=1
	s_mov_b32 s12, s10
	v_and_b32_e32 v5, 0xffff, v5
	v_dual_mov_b32 v7, s12 :: v_dual_mov_b32 v8, s13
	s_mov_b32 s2, exec_lo
	s_delay_alu instid0(VALU_DEP_2)
	v_and_b32_e32 v6, 0x7f, v5
	scratch_store_b64 off, v[7:8], s32 offset:1308 ; 8-byte Folded Spill
	v_cmpx_ne_u32_e32 0x7f, v6
	s_cbranch_execz .LBB270_3032
; %bb.3029:                             ;   in Loop: Header=BB270_2089 Depth=1
	v_and_b32_e32 v8, 7, v5
	v_lshrrev_b32_e32 v5, 3, v6
	s_mov_b32 s3, exec_lo
	v_cmpx_gt_u32_e32 8, v6
; %bb.3030:                             ;   in Loop: Header=BB270_2089 Depth=1
	s_delay_alu instid0(VALU_DEP_3) | instskip(NEXT) | instid1(VALU_DEP_1)
	v_clz_i32_u32_e32 v5, v8
	v_min_u32_e32 v5, 32, v5
	s_delay_alu instid0(VALU_DEP_1) | instskip(SKIP_1) | instid1(VALU_DEP_2)
	v_subrev_nc_u32_e32 v6, 28, v5
	v_sub_nc_u32_e32 v5, 29, v5
	v_lshlrev_b64 v[6:7], v6, v[8:9]
	s_delay_alu instid0(VALU_DEP_1)
	v_and_b32_e32 v8, 7, v6
; %bb.3031:                             ;   in Loop: Header=BB270_2089 Depth=1
	s_or_b32 exec_lo, exec_lo, s3
	v_lshlrev_b32_e32 v6, 16, v4
	s_delay_alu instid0(VALU_DEP_2) | instskip(SKIP_1) | instid1(VALU_DEP_3)
	v_lshlrev_b32_e32 v7, 20, v8
	v_lshl_add_u32 v5, v5, 23, 0x3c000000
	v_and_b32_e32 v6, 0x80000000, v6
	s_delay_alu instid0(VALU_DEP_1)
	v_or3_b32 v6, v7, v6, v5
	v_mov_b32_e32 v5, v9
	scratch_store_b64 off, v[5:6], s32 offset:1308 ; 8-byte Folded Spill
.LBB270_3032:                           ;   in Loop: Header=BB270_2089 Depth=1
	s_or_b32 exec_lo, exec_lo, s2
.LBB270_3033:                           ;   in Loop: Header=BB270_2089 Depth=1
	s_delay_alu instid0(SALU_CYCLE_1)
	s_or_b32 exec_lo, exec_lo, s1
.LBB270_3034:                           ;   in Loop: Header=BB270_2089 Depth=1
	s_delay_alu instid0(SALU_CYCLE_1)
	s_or_b32 exec_lo, exec_lo, s0
	v_lshrrev_b32_e32 v5, 16, v4
	v_mov_b32_e32 v7, 0
	v_mov_b32_e32 v8, 0
	s_mov_b32 s0, exec_lo
	s_clause 0x1
	scratch_store_b64 off, v[7:8], s32 offset:1324
	scratch_store_b64 off, v[7:8], s32 offset:1332
	v_and_b32_e32 v6, 0xff, v5
	s_delay_alu instid0(VALU_DEP_1)
	v_cmpx_ne_u16_e32 0, v6
	s_cbranch_execz .LBB270_3042
; %bb.3035:                             ;   in Loop: Header=BB270_2089 Depth=1
	v_cmp_ne_u16_e32 vcc_lo, 0x80, v6
	v_bfrev_b32_e32 v6, 1
	v_mov_b32_e32 v7, 0
	scratch_store_b64 off, v[6:7], s32 offset:1332 ; 8-byte Folded Spill
	s_and_saveexec_b32 s1, vcc_lo
	s_cbranch_execz .LBB270_3041
; %bb.3036:                             ;   in Loop: Header=BB270_2089 Depth=1
	v_mov_b32_e32 v10, 0x7f800001
	v_bfe_u32 v7, v4, 16, 7
	v_mov_b32_e32 v11, 0
	s_mov_b32 s2, exec_lo
	scratch_store_b64 off, v[10:11], s32 offset:1332 ; 8-byte Folded Spill
	v_cmpx_ne_u32_e32 0x7f, v7
	s_cbranch_execz .LBB270_3040
; %bb.3037:                             ;   in Loop: Header=BB270_2089 Depth=1
	v_and_b32_e32 v8, 7, v5
	v_lshrrev_b32_e32 v6, 3, v7
	s_mov_b32 s3, exec_lo
	v_cmpx_gt_u32_e32 8, v7
; %bb.3038:                             ;   in Loop: Header=BB270_2089 Depth=1
	s_delay_alu instid0(VALU_DEP_3) | instskip(NEXT) | instid1(VALU_DEP_1)
	v_clz_i32_u32_e32 v6, v8
	v_min_u32_e32 v6, 32, v6
	s_delay_alu instid0(VALU_DEP_1) | instskip(SKIP_1) | instid1(VALU_DEP_2)
	v_subrev_nc_u32_e32 v7, 28, v6
	v_sub_nc_u32_e32 v6, 29, v6
	v_lshlrev_b64 v[7:8], v7, v[8:9]
	s_delay_alu instid0(VALU_DEP_1)
	v_and_b32_e32 v8, 7, v7
; %bb.3039:                             ;   in Loop: Header=BB270_2089 Depth=1
	s_or_b32 exec_lo, exec_lo, s3
	v_lshlrev_b32_e32 v5, 24, v5
	s_delay_alu instid0(VALU_DEP_2) | instskip(SKIP_1) | instid1(VALU_DEP_3)
	v_lshlrev_b32_e32 v7, 20, v8
	v_lshl_add_u32 v6, v6, 23, 0x3c000000
	v_and_b32_e32 v5, 0x80000000, v5
	s_delay_alu instid0(VALU_DEP_1)
	v_or3_b32 v8, v7, v5, v6
	scratch_store_b64 off, v[8:9], s32 offset:1332 ; 8-byte Folded Spill
.LBB270_3040:                           ;   in Loop: Header=BB270_2089 Depth=1
	s_or_b32 exec_lo, exec_lo, s2
.LBB270_3041:                           ;   in Loop: Header=BB270_2089 Depth=1
	s_delay_alu instid0(SALU_CYCLE_1)
	s_or_b32 exec_lo, exec_lo, s1
.LBB270_3042:                           ;   in Loop: Header=BB270_2089 Depth=1
	s_delay_alu instid0(SALU_CYCLE_1) | instskip(NEXT) | instid1(SALU_CYCLE_1)
	s_or_b32 exec_lo, exec_lo, s0
	s_mov_b32 s0, exec_lo
	v_cmpx_lt_u32_e32 0xffffff, v4
	s_cbranch_execz .LBB270_3050
; %bb.3043:                             ;   in Loop: Header=BB270_2089 Depth=1
	v_lshrrev_b32_e32 v5, 24, v4
	v_dual_mov_b32 v6, s10 :: v_dual_mov_b32 v7, s11
	s_mov_b32 s1, exec_lo
	scratch_store_b64 off, v[6:7], s32 offset:1324 ; 8-byte Folded Spill
	v_cmpx_ne_u32_e32 0x80, v5
	s_cbranch_execz .LBB270_3049
; %bb.3044:                             ;   in Loop: Header=BB270_2089 Depth=1
	s_mov_b32 s12, s10
	v_bfe_u32 v6, v4, 24, 7
	v_dual_mov_b32 v7, s12 :: v_dual_mov_b32 v8, s13
	s_mov_b32 s2, exec_lo
	scratch_store_b64 off, v[7:8], s32 offset:1324 ; 8-byte Folded Spill
	v_cmpx_ne_u32_e32 0x7f, v6
	s_cbranch_execz .LBB270_3048
; %bb.3045:                             ;   in Loop: Header=BB270_2089 Depth=1
	v_and_b32_e32 v8, 7, v5
	v_lshrrev_b32_e32 v4, 3, v6
	s_mov_b32 s3, exec_lo
	v_cmpx_gt_u32_e32 8, v6
; %bb.3046:                             ;   in Loop: Header=BB270_2089 Depth=1
	s_delay_alu instid0(VALU_DEP_3) | instskip(NEXT) | instid1(VALU_DEP_1)
	v_clz_i32_u32_e32 v4, v8
	v_min_u32_e32 v4, 32, v4
	s_delay_alu instid0(VALU_DEP_1) | instskip(SKIP_1) | instid1(VALU_DEP_2)
	v_subrev_nc_u32_e32 v6, 28, v4
	v_sub_nc_u32_e32 v4, 29, v4
	v_lshlrev_b64 v[6:7], v6, v[8:9]
	s_delay_alu instid0(VALU_DEP_1)
	v_and_b32_e32 v8, 7, v6
; %bb.3047:                             ;   in Loop: Header=BB270_2089 Depth=1
	s_or_b32 exec_lo, exec_lo, s3
	v_lshlrev_b32_e32 v5, 24, v5
	s_delay_alu instid0(VALU_DEP_2) | instskip(SKIP_1) | instid1(VALU_DEP_3)
	v_lshlrev_b32_e32 v6, 20, v8
	v_lshl_add_u32 v4, v4, 23, 0x3c000000
	v_and_b32_e32 v5, 0x80000000, v5
	s_delay_alu instid0(VALU_DEP_1)
	v_or3_b32 v5, v6, v5, v4
	v_mov_b32_e32 v4, v9
	scratch_store_b64 off, v[4:5], s32 offset:1324 ; 8-byte Folded Spill
.LBB270_3048:                           ;   in Loop: Header=BB270_2089 Depth=1
	s_or_b32 exec_lo, exec_lo, s2
.LBB270_3049:                           ;   in Loop: Header=BB270_2089 Depth=1
	s_delay_alu instid0(SALU_CYCLE_1)
	s_or_b32 exec_lo, exec_lo, s1
.LBB270_3050:                           ;   in Loop: Header=BB270_2089 Depth=1
	s_delay_alu instid0(SALU_CYCLE_1)
	s_or_b32 exec_lo, exec_lo, s0
	flat_load_b32 v4, v[50:51] offset:3840
	v_mov_b32_e32 v6, 0
	v_mov_b32_e32 v7, 0
	s_mov_b32 s0, exec_lo
	s_clause 0x1
	scratch_store_b64 off, v[6:7], s32 offset:1340
	scratch_store_b64 off, v[6:7], s32 offset:1348
	s_waitcnt vmcnt(0) lgkmcnt(0)
	v_and_b32_e32 v5, 0xff, v4
	s_delay_alu instid0(VALU_DEP_1)
	v_cmpx_ne_u16_e32 0, v5
	s_cbranch_execz .LBB270_3058
; %bb.3051:                             ;   in Loop: Header=BB270_2089 Depth=1
	v_cmp_ne_u16_e32 vcc_lo, 0x80, v5
	v_bfrev_b32_e32 v5, 1
	v_mov_b32_e32 v6, 0
	scratch_store_b64 off, v[5:6], s32 offset:1348 ; 8-byte Folded Spill
	s_and_saveexec_b32 s1, vcc_lo
	s_cbranch_execz .LBB270_3057
; %bb.3052:                             ;   in Loop: Header=BB270_2089 Depth=1
	v_mov_b32_e32 v7, 0x7f800001
	v_and_b32_e32 v6, 0x7f, v4
	v_mov_b32_e32 v8, 0
	s_mov_b32 s2, exec_lo
	scratch_store_b64 off, v[7:8], s32 offset:1348 ; 8-byte Folded Spill
	v_cmpx_ne_u32_e32 0x7f, v6
	s_cbranch_execz .LBB270_3056
; %bb.3053:                             ;   in Loop: Header=BB270_2089 Depth=1
	v_and_b32_e32 v8, 7, v4
	v_lshrrev_b32_e32 v5, 3, v6
	s_mov_b32 s3, exec_lo
	v_cmpx_gt_u32_e32 8, v6
; %bb.3054:                             ;   in Loop: Header=BB270_2089 Depth=1
	s_delay_alu instid0(VALU_DEP_3) | instskip(NEXT) | instid1(VALU_DEP_1)
	v_clz_i32_u32_e32 v5, v8
	v_min_u32_e32 v5, 32, v5
	s_delay_alu instid0(VALU_DEP_1) | instskip(SKIP_1) | instid1(VALU_DEP_2)
	v_subrev_nc_u32_e32 v6, 28, v5
	v_sub_nc_u32_e32 v5, 29, v5
	v_lshlrev_b64 v[6:7], v6, v[8:9]
	s_delay_alu instid0(VALU_DEP_1)
	v_and_b32_e32 v8, 7, v6
; %bb.3055:                             ;   in Loop: Header=BB270_2089 Depth=1
	s_or_b32 exec_lo, exec_lo, s3
	v_lshlrev_b32_e32 v6, 24, v4
	s_delay_alu instid0(VALU_DEP_2) | instskip(SKIP_1) | instid1(VALU_DEP_3)
	v_lshlrev_b32_e32 v7, 20, v8
	v_lshl_add_u32 v5, v5, 23, 0x3c000000
	v_and_b32_e32 v6, 0x80000000, v6
	s_delay_alu instid0(VALU_DEP_1)
	v_or3_b32 v8, v7, v6, v5
	scratch_store_b64 off, v[8:9], s32 offset:1348 ; 8-byte Folded Spill
.LBB270_3056:                           ;   in Loop: Header=BB270_2089 Depth=1
	s_or_b32 exec_lo, exec_lo, s2
.LBB270_3057:                           ;   in Loop: Header=BB270_2089 Depth=1
	s_delay_alu instid0(SALU_CYCLE_1)
	s_or_b32 exec_lo, exec_lo, s1
.LBB270_3058:                           ;   in Loop: Header=BB270_2089 Depth=1
	s_delay_alu instid0(SALU_CYCLE_1) | instskip(SKIP_2) | instid1(VALU_DEP_1)
	s_or_b32 exec_lo, exec_lo, s0
	v_lshrrev_b16 v5, 8, v4
	s_mov_b32 s0, exec_lo
	v_cmpx_ne_u16_e32 0, v5
	s_cbranch_execz .LBB270_3066
; %bb.3059:                             ;   in Loop: Header=BB270_2089 Depth=1
	v_dual_mov_b32 v6, s10 :: v_dual_mov_b32 v7, s11
	s_mov_b32 s1, exec_lo
	scratch_store_b64 off, v[6:7], s32 offset:1340 ; 8-byte Folded Spill
	v_cmpx_ne_u16_e32 0x80, v5
	s_cbranch_execz .LBB270_3065
; %bb.3060:                             ;   in Loop: Header=BB270_2089 Depth=1
	s_mov_b32 s12, s10
	v_and_b32_e32 v5, 0xffff, v5
	v_dual_mov_b32 v7, s12 :: v_dual_mov_b32 v8, s13
	s_mov_b32 s2, exec_lo
	s_delay_alu instid0(VALU_DEP_2)
	v_and_b32_e32 v6, 0x7f, v5
	scratch_store_b64 off, v[7:8], s32 offset:1340 ; 8-byte Folded Spill
	v_cmpx_ne_u32_e32 0x7f, v6
	s_cbranch_execz .LBB270_3064
; %bb.3061:                             ;   in Loop: Header=BB270_2089 Depth=1
	v_and_b32_e32 v8, 7, v5
	v_lshrrev_b32_e32 v5, 3, v6
	s_mov_b32 s3, exec_lo
	v_cmpx_gt_u32_e32 8, v6
; %bb.3062:                             ;   in Loop: Header=BB270_2089 Depth=1
	s_delay_alu instid0(VALU_DEP_3) | instskip(NEXT) | instid1(VALU_DEP_1)
	v_clz_i32_u32_e32 v5, v8
	v_min_u32_e32 v5, 32, v5
	s_delay_alu instid0(VALU_DEP_1) | instskip(SKIP_1) | instid1(VALU_DEP_2)
	v_subrev_nc_u32_e32 v6, 28, v5
	v_sub_nc_u32_e32 v5, 29, v5
	v_lshlrev_b64 v[6:7], v6, v[8:9]
	s_delay_alu instid0(VALU_DEP_1)
	v_and_b32_e32 v8, 7, v6
; %bb.3063:                             ;   in Loop: Header=BB270_2089 Depth=1
	s_or_b32 exec_lo, exec_lo, s3
	v_lshlrev_b32_e32 v6, 16, v4
	s_delay_alu instid0(VALU_DEP_2) | instskip(SKIP_1) | instid1(VALU_DEP_3)
	v_lshlrev_b32_e32 v7, 20, v8
	v_lshl_add_u32 v5, v5, 23, 0x3c000000
	v_and_b32_e32 v6, 0x80000000, v6
	s_delay_alu instid0(VALU_DEP_1)
	v_or3_b32 v6, v7, v6, v5
	v_mov_b32_e32 v5, v9
	scratch_store_b64 off, v[5:6], s32 offset:1340 ; 8-byte Folded Spill
.LBB270_3064:                           ;   in Loop: Header=BB270_2089 Depth=1
	s_or_b32 exec_lo, exec_lo, s2
.LBB270_3065:                           ;   in Loop: Header=BB270_2089 Depth=1
	s_delay_alu instid0(SALU_CYCLE_1)
	s_or_b32 exec_lo, exec_lo, s1
.LBB270_3066:                           ;   in Loop: Header=BB270_2089 Depth=1
	s_delay_alu instid0(SALU_CYCLE_1)
	s_or_b32 exec_lo, exec_lo, s0
	v_lshrrev_b32_e32 v5, 16, v4
	v_mov_b32_e32 v7, 0
	v_mov_b32_e32 v8, 0
	s_mov_b32 s0, exec_lo
	s_clause 0x1
	scratch_store_b64 off, v[7:8], s32 offset:1356
	scratch_store_b64 off, v[7:8], s32 offset:1364
	v_and_b32_e32 v6, 0xff, v5
	s_delay_alu instid0(VALU_DEP_1)
	v_cmpx_ne_u16_e32 0, v6
	s_cbranch_execz .LBB270_3074
; %bb.3067:                             ;   in Loop: Header=BB270_2089 Depth=1
	v_cmp_ne_u16_e32 vcc_lo, 0x80, v6
	v_bfrev_b32_e32 v6, 1
	v_mov_b32_e32 v7, 0
	scratch_store_b64 off, v[6:7], s32 offset:1364 ; 8-byte Folded Spill
	s_and_saveexec_b32 s1, vcc_lo
	s_cbranch_execz .LBB270_3073
; %bb.3068:                             ;   in Loop: Header=BB270_2089 Depth=1
	v_mov_b32_e32 v10, 0x7f800001
	v_bfe_u32 v7, v4, 16, 7
	v_mov_b32_e32 v11, 0
	s_mov_b32 s2, exec_lo
	scratch_store_b64 off, v[10:11], s32 offset:1364 ; 8-byte Folded Spill
	v_cmpx_ne_u32_e32 0x7f, v7
	s_cbranch_execz .LBB270_3072
; %bb.3069:                             ;   in Loop: Header=BB270_2089 Depth=1
	v_and_b32_e32 v8, 7, v5
	v_lshrrev_b32_e32 v6, 3, v7
	s_mov_b32 s3, exec_lo
	v_cmpx_gt_u32_e32 8, v7
; %bb.3070:                             ;   in Loop: Header=BB270_2089 Depth=1
	s_delay_alu instid0(VALU_DEP_3) | instskip(NEXT) | instid1(VALU_DEP_1)
	v_clz_i32_u32_e32 v6, v8
	v_min_u32_e32 v6, 32, v6
	s_delay_alu instid0(VALU_DEP_1) | instskip(SKIP_1) | instid1(VALU_DEP_2)
	v_subrev_nc_u32_e32 v7, 28, v6
	v_sub_nc_u32_e32 v6, 29, v6
	v_lshlrev_b64 v[7:8], v7, v[8:9]
	s_delay_alu instid0(VALU_DEP_1)
	v_and_b32_e32 v8, 7, v7
; %bb.3071:                             ;   in Loop: Header=BB270_2089 Depth=1
	s_or_b32 exec_lo, exec_lo, s3
	v_lshlrev_b32_e32 v5, 24, v5
	s_delay_alu instid0(VALU_DEP_2) | instskip(SKIP_1) | instid1(VALU_DEP_3)
	v_lshlrev_b32_e32 v7, 20, v8
	v_lshl_add_u32 v6, v6, 23, 0x3c000000
	v_and_b32_e32 v5, 0x80000000, v5
	s_delay_alu instid0(VALU_DEP_1)
	v_or3_b32 v8, v7, v5, v6
	scratch_store_b64 off, v[8:9], s32 offset:1364 ; 8-byte Folded Spill
.LBB270_3072:                           ;   in Loop: Header=BB270_2089 Depth=1
	s_or_b32 exec_lo, exec_lo, s2
.LBB270_3073:                           ;   in Loop: Header=BB270_2089 Depth=1
	s_delay_alu instid0(SALU_CYCLE_1)
	s_or_b32 exec_lo, exec_lo, s1
.LBB270_3074:                           ;   in Loop: Header=BB270_2089 Depth=1
	s_delay_alu instid0(SALU_CYCLE_1) | instskip(NEXT) | instid1(SALU_CYCLE_1)
	s_or_b32 exec_lo, exec_lo, s0
	s_mov_b32 s0, exec_lo
	v_cmpx_lt_u32_e32 0xffffff, v4
	s_cbranch_execz .LBB270_3082
; %bb.3075:                             ;   in Loop: Header=BB270_2089 Depth=1
	v_lshrrev_b32_e32 v5, 24, v4
	v_dual_mov_b32 v6, s10 :: v_dual_mov_b32 v7, s11
	s_mov_b32 s1, exec_lo
	scratch_store_b64 off, v[6:7], s32 offset:1356 ; 8-byte Folded Spill
	v_cmpx_ne_u32_e32 0x80, v5
	s_cbranch_execz .LBB270_3081
; %bb.3076:                             ;   in Loop: Header=BB270_2089 Depth=1
	s_mov_b32 s12, s10
	v_bfe_u32 v6, v4, 24, 7
	v_dual_mov_b32 v7, s12 :: v_dual_mov_b32 v8, s13
	s_mov_b32 s2, exec_lo
	scratch_store_b64 off, v[7:8], s32 offset:1356 ; 8-byte Folded Spill
	v_cmpx_ne_u32_e32 0x7f, v6
	s_cbranch_execz .LBB270_3080
; %bb.3077:                             ;   in Loop: Header=BB270_2089 Depth=1
	v_and_b32_e32 v8, 7, v5
	v_lshrrev_b32_e32 v4, 3, v6
	s_mov_b32 s3, exec_lo
	v_cmpx_gt_u32_e32 8, v6
; %bb.3078:                             ;   in Loop: Header=BB270_2089 Depth=1
	s_delay_alu instid0(VALU_DEP_3) | instskip(NEXT) | instid1(VALU_DEP_1)
	v_clz_i32_u32_e32 v4, v8
	v_min_u32_e32 v4, 32, v4
	s_delay_alu instid0(VALU_DEP_1) | instskip(SKIP_1) | instid1(VALU_DEP_2)
	v_subrev_nc_u32_e32 v6, 28, v4
	v_sub_nc_u32_e32 v4, 29, v4
	v_lshlrev_b64 v[6:7], v6, v[8:9]
	s_delay_alu instid0(VALU_DEP_1)
	v_and_b32_e32 v8, 7, v6
; %bb.3079:                             ;   in Loop: Header=BB270_2089 Depth=1
	s_or_b32 exec_lo, exec_lo, s3
	v_lshlrev_b32_e32 v5, 24, v5
	s_delay_alu instid0(VALU_DEP_2) | instskip(SKIP_1) | instid1(VALU_DEP_3)
	v_lshlrev_b32_e32 v6, 20, v8
	v_lshl_add_u32 v4, v4, 23, 0x3c000000
	v_and_b32_e32 v5, 0x80000000, v5
	s_delay_alu instid0(VALU_DEP_1)
	v_or3_b32 v5, v6, v5, v4
	v_mov_b32_e32 v4, v9
	scratch_store_b64 off, v[4:5], s32 offset:1356 ; 8-byte Folded Spill
.LBB270_3080:                           ;   in Loop: Header=BB270_2089 Depth=1
	s_or_b32 exec_lo, exec_lo, s2
.LBB270_3081:                           ;   in Loop: Header=BB270_2089 Depth=1
	s_delay_alu instid0(SALU_CYCLE_1)
	s_or_b32 exec_lo, exec_lo, s1
.LBB270_3082:                           ;   in Loop: Header=BB270_2089 Depth=1
	s_delay_alu instid0(SALU_CYCLE_1)
	s_or_b32 exec_lo, exec_lo, s0
	scratch_load_b32 v4, off, s32 offset:2420 ; 4-byte Folded Reload
	s_mov_b32 s0, exec_lo
	s_waitcnt vmcnt(0)
	v_add_co_u32 v4, vcc_lo, v21, v4
	v_add_co_ci_u32_e32 v5, vcc_lo, 0, v22, vcc_lo
	flat_load_b32 v6, v[4:5]
	v_mov_b32_e32 v7, 0
	v_mov_b32_e32 v8, 0
	s_clause 0x1
	scratch_store_b64 off, v[7:8], s32 offset:1372
	scratch_store_b64 off, v[7:8], s32 offset:1380
	s_waitcnt vmcnt(0) lgkmcnt(0)
	v_and_b32_e32 v4, 0xff, v6
	s_delay_alu instid0(VALU_DEP_1)
	v_cmpx_ne_u16_e32 0, v4
	s_cbranch_execz .LBB270_3090
; %bb.3083:                             ;   in Loop: Header=BB270_2089 Depth=1
	v_cmp_ne_u16_e32 vcc_lo, 0x80, v4
	v_bfrev_b32_e32 v4, 1
	v_mov_b32_e32 v5, 0
	scratch_store_b64 off, v[4:5], s32 offset:1380 ; 8-byte Folded Spill
	s_and_saveexec_b32 s1, vcc_lo
	s_cbranch_execz .LBB270_3089
; %bb.3084:                             ;   in Loop: Header=BB270_2089 Depth=1
	v_mov_b32_e32 v7, 0x7f800001
	v_dual_mov_b32 v8, 0 :: v_dual_and_b32 v5, 0x7f, v6
	s_mov_b32 s2, exec_lo
	scratch_store_b64 off, v[7:8], s32 offset:1380 ; 8-byte Folded Spill
	v_cmpx_ne_u32_e32 0x7f, v5
	s_cbranch_execz .LBB270_3088
; %bb.3085:                             ;   in Loop: Header=BB270_2089 Depth=1
	v_and_b32_e32 v8, 7, v6
	v_lshrrev_b32_e32 v4, 3, v5
	s_mov_b32 s3, exec_lo
	v_cmpx_gt_u32_e32 8, v5
; %bb.3086:                             ;   in Loop: Header=BB270_2089 Depth=1
	s_delay_alu instid0(VALU_DEP_3) | instskip(NEXT) | instid1(VALU_DEP_1)
	v_clz_i32_u32_e32 v4, v8
	v_min_u32_e32 v4, 32, v4
	s_delay_alu instid0(VALU_DEP_1) | instskip(SKIP_1) | instid1(VALU_DEP_2)
	v_subrev_nc_u32_e32 v5, 28, v4
	v_sub_nc_u32_e32 v4, 29, v4
	v_lshlrev_b64 v[7:8], v5, v[8:9]
	s_delay_alu instid0(VALU_DEP_1)
	v_and_b32_e32 v8, 7, v7
; %bb.3087:                             ;   in Loop: Header=BB270_2089 Depth=1
	s_or_b32 exec_lo, exec_lo, s3
	v_lshlrev_b32_e32 v5, 24, v6
	s_delay_alu instid0(VALU_DEP_2) | instskip(SKIP_1) | instid1(VALU_DEP_3)
	v_lshlrev_b32_e32 v7, 20, v8
	v_lshl_add_u32 v4, v4, 23, 0x3c000000
	v_and_b32_e32 v5, 0x80000000, v5
	s_delay_alu instid0(VALU_DEP_1)
	v_or3_b32 v8, v7, v5, v4
	scratch_store_b64 off, v[8:9], s32 offset:1380 ; 8-byte Folded Spill
.LBB270_3088:                           ;   in Loop: Header=BB270_2089 Depth=1
	s_or_b32 exec_lo, exec_lo, s2
.LBB270_3089:                           ;   in Loop: Header=BB270_2089 Depth=1
	s_delay_alu instid0(SALU_CYCLE_1)
	s_or_b32 exec_lo, exec_lo, s1
.LBB270_3090:                           ;   in Loop: Header=BB270_2089 Depth=1
	s_delay_alu instid0(SALU_CYCLE_1) | instskip(SKIP_2) | instid1(VALU_DEP_1)
	s_or_b32 exec_lo, exec_lo, s0
	v_lshrrev_b16 v4, 8, v6
	s_mov_b32 s0, exec_lo
	v_cmpx_ne_u16_e32 0, v4
	s_cbranch_execz .LBB270_3098
; %bb.3091:                             ;   in Loop: Header=BB270_2089 Depth=1
	v_dual_mov_b32 v7, s10 :: v_dual_mov_b32 v8, s11
	s_mov_b32 s1, exec_lo
	scratch_store_b64 off, v[7:8], s32 offset:1372 ; 8-byte Folded Spill
	v_cmpx_ne_u16_e32 0x80, v4
	s_cbranch_execz .LBB270_3097
; %bb.3092:                             ;   in Loop: Header=BB270_2089 Depth=1
	s_mov_b32 s12, s10
	v_and_b32_e32 v5, 0xffff, v4
	v_dual_mov_b32 v7, s12 :: v_dual_mov_b32 v8, s13
	s_mov_b32 s2, exec_lo
	s_delay_alu instid0(VALU_DEP_2)
	v_and_b32_e32 v4, 0x7f, v5
	scratch_store_b64 off, v[7:8], s32 offset:1372 ; 8-byte Folded Spill
	v_cmpx_ne_u32_e32 0x7f, v4
	s_cbranch_execz .LBB270_3096
; %bb.3093:                             ;   in Loop: Header=BB270_2089 Depth=1
	v_and_b32_e32 v8, 7, v5
	v_lshrrev_b32_e32 v7, 3, v4
	v_cmp_gt_u32_e32 vcc_lo, 8, v4
	s_delay_alu instid0(VALU_DEP_3)
	v_dual_mov_b32 v4, v8 :: v_dual_mov_b32 v5, v9
	s_and_saveexec_b32 s3, vcc_lo
; %bb.3094:                             ;   in Loop: Header=BB270_2089 Depth=1
	v_clz_i32_u32_e32 v4, v8
	s_delay_alu instid0(VALU_DEP_1) | instskip(NEXT) | instid1(VALU_DEP_1)
	v_min_u32_e32 v7, 32, v4
	v_subrev_nc_u32_e32 v4, 28, v7
	v_sub_nc_u32_e32 v7, 29, v7
	s_delay_alu instid0(VALU_DEP_2) | instskip(NEXT) | instid1(VALU_DEP_1)
	v_lshlrev_b64 v[4:5], v4, v[8:9]
	v_and_b32_e32 v4, 7, v4
; %bb.3095:                             ;   in Loop: Header=BB270_2089 Depth=1
	s_or_b32 exec_lo, exec_lo, s3
	v_lshlrev_b32_e32 v5, 16, v6
	s_delay_alu instid0(VALU_DEP_2) | instskip(SKIP_1) | instid1(VALU_DEP_3)
	v_lshlrev_b32_e32 v4, 20, v4
	v_lshl_add_u32 v7, v7, 23, 0x3c000000
	v_and_b32_e32 v5, 0x80000000, v5
	s_delay_alu instid0(VALU_DEP_1)
	v_or3_b32 v5, v4, v5, v7
	v_mov_b32_e32 v4, v9
	scratch_store_b64 off, v[4:5], s32 offset:1372 ; 8-byte Folded Spill
.LBB270_3096:                           ;   in Loop: Header=BB270_2089 Depth=1
	s_or_b32 exec_lo, exec_lo, s2
.LBB270_3097:                           ;   in Loop: Header=BB270_2089 Depth=1
	s_delay_alu instid0(SALU_CYCLE_1)
	s_or_b32 exec_lo, exec_lo, s1
.LBB270_3098:                           ;   in Loop: Header=BB270_2089 Depth=1
	s_delay_alu instid0(SALU_CYCLE_1) | instskip(SKIP_4) | instid1(VALU_DEP_3)
	s_or_b32 exec_lo, exec_lo, s0
	v_lshrrev_b32_e32 v7, 16, v6
	v_mov_b32_e32 v10, 0
	v_mov_b32_e32 v11, 0
	s_mov_b32 s0, exec_lo
	v_and_b32_e32 v4, 0xff, v7
	s_clause 0x1
	scratch_store_b64 off, v[10:11], s32 offset:1668
	scratch_store_b64 off, v[10:11], s32 offset:1388
	v_cmpx_ne_u16_e32 0, v4
	s_cbranch_execz .LBB270_3106
; %bb.3099:                             ;   in Loop: Header=BB270_2089 Depth=1
	v_cmp_ne_u16_e32 vcc_lo, 0x80, v4
	v_bfrev_b32_e32 v4, 1
	v_mov_b32_e32 v5, 0
	scratch_store_b64 off, v[4:5], s32 offset:1388 ; 8-byte Folded Spill
	s_and_saveexec_b32 s1, vcc_lo
	s_cbranch_execz .LBB270_3105
; %bb.3100:                             ;   in Loop: Header=BB270_2089 Depth=1
	v_mov_b32_e32 v10, 0x7f800001
	v_bfe_u32 v4, v6, 16, 7
	v_mov_b32_e32 v11, 0
	s_mov_b32 s2, exec_lo
	scratch_store_b64 off, v[10:11], s32 offset:1388 ; 8-byte Folded Spill
	v_cmpx_ne_u32_e32 0x7f, v4
	s_cbranch_execz .LBB270_3104
; %bb.3101:                             ;   in Loop: Header=BB270_2089 Depth=1
	v_and_b32_e32 v8, 7, v7
	v_lshrrev_b32_e32 v10, 3, v4
	v_cmp_gt_u32_e32 vcc_lo, 8, v4
	s_delay_alu instid0(VALU_DEP_3)
	v_dual_mov_b32 v4, v8 :: v_dual_mov_b32 v5, v9
	s_and_saveexec_b32 s3, vcc_lo
; %bb.3102:                             ;   in Loop: Header=BB270_2089 Depth=1
	v_clz_i32_u32_e32 v4, v8
	s_delay_alu instid0(VALU_DEP_1) | instskip(NEXT) | instid1(VALU_DEP_1)
	v_min_u32_e32 v10, 32, v4
	v_subrev_nc_u32_e32 v4, 28, v10
	v_sub_nc_u32_e32 v10, 29, v10
	s_delay_alu instid0(VALU_DEP_2) | instskip(NEXT) | instid1(VALU_DEP_1)
	v_lshlrev_b64 v[4:5], v4, v[8:9]
	v_and_b32_e32 v4, 7, v4
; %bb.3103:                             ;   in Loop: Header=BB270_2089 Depth=1
	s_or_b32 exec_lo, exec_lo, s3
	v_lshlrev_b32_e32 v5, 24, v7
	s_delay_alu instid0(VALU_DEP_2) | instskip(SKIP_1) | instid1(VALU_DEP_3)
	v_lshlrev_b32_e32 v4, 20, v4
	v_lshl_add_u32 v7, v10, 23, 0x3c000000
	v_and_b32_e32 v5, 0x80000000, v5
	s_delay_alu instid0(VALU_DEP_1)
	v_or3_b32 v8, v4, v5, v7
	scratch_store_b64 off, v[8:9], s32 offset:1388 ; 8-byte Folded Spill
.LBB270_3104:                           ;   in Loop: Header=BB270_2089 Depth=1
	s_or_b32 exec_lo, exec_lo, s2
.LBB270_3105:                           ;   in Loop: Header=BB270_2089 Depth=1
	s_delay_alu instid0(SALU_CYCLE_1)
	s_or_b32 exec_lo, exec_lo, s1
.LBB270_3106:                           ;   in Loop: Header=BB270_2089 Depth=1
	s_delay_alu instid0(SALU_CYCLE_1) | instskip(NEXT) | instid1(SALU_CYCLE_1)
	s_or_b32 exec_lo, exec_lo, s0
	s_mov_b32 s0, exec_lo
	v_cmpx_lt_u32_e32 0xffffff, v6
	s_cbranch_execz .LBB270_3114
; %bb.3107:                             ;   in Loop: Header=BB270_2089 Depth=1
	v_lshrrev_b32_e32 v7, 24, v6
	v_dual_mov_b32 v4, s10 :: v_dual_mov_b32 v5, s11
	s_mov_b32 s1, exec_lo
	scratch_store_b64 off, v[4:5], s32 offset:1668 ; 8-byte Folded Spill
	v_cmpx_ne_u32_e32 0x80, v7
	s_cbranch_execz .LBB270_3113
; %bb.3108:                             ;   in Loop: Header=BB270_2089 Depth=1
	s_mov_b32 s12, s10
	v_bfe_u32 v4, v6, 24, 7
	v_dual_mov_b32 v5, s12 :: v_dual_mov_b32 v6, s13
	s_mov_b32 s2, exec_lo
	s_delay_alu instid0(VALU_DEP_2)
	v_cmpx_ne_u32_e32 0x7f, v4
	s_cbranch_execz .LBB270_3112
; %bb.3109:                             ;   in Loop: Header=BB270_2089 Depth=1
	v_and_b32_e32 v8, 7, v7
	v_lshrrev_b32_e32 v6, 3, v4
	v_cmp_gt_u32_e32 vcc_lo, 8, v4
	s_delay_alu instid0(VALU_DEP_3)
	v_dual_mov_b32 v4, v8 :: v_dual_mov_b32 v5, v9
	s_and_saveexec_b32 s3, vcc_lo
; %bb.3110:                             ;   in Loop: Header=BB270_2089 Depth=1
	v_clz_i32_u32_e32 v4, v8
	s_delay_alu instid0(VALU_DEP_1) | instskip(NEXT) | instid1(VALU_DEP_1)
	v_min_u32_e32 v6, 32, v4
	v_subrev_nc_u32_e32 v4, 28, v6
	v_sub_nc_u32_e32 v6, 29, v6
	s_delay_alu instid0(VALU_DEP_2) | instskip(NEXT) | instid1(VALU_DEP_1)
	v_lshlrev_b64 v[4:5], v4, v[8:9]
	v_and_b32_e32 v4, 7, v4
; %bb.3111:                             ;   in Loop: Header=BB270_2089 Depth=1
	s_or_b32 exec_lo, exec_lo, s3
	v_lshlrev_b32_e32 v5, 24, v7
	s_delay_alu instid0(VALU_DEP_2) | instskip(SKIP_1) | instid1(VALU_DEP_3)
	v_lshlrev_b32_e32 v4, 20, v4
	v_lshl_add_u32 v6, v6, 23, 0x3c000000
	v_and_b32_e32 v5, 0x80000000, v5
	s_delay_alu instid0(VALU_DEP_1)
	v_or3_b32 v6, v4, v5, v6
	v_mov_b32_e32 v5, v9
.LBB270_3112:                           ;   in Loop: Header=BB270_2089 Depth=1
	s_or_b32 exec_lo, exec_lo, s2
	scratch_store_b64 off, v[5:6], s32 offset:1668 ; 8-byte Folded Spill
.LBB270_3113:                           ;   in Loop: Header=BB270_2089 Depth=1
	s_or_b32 exec_lo, exec_lo, s1
.LBB270_3114:                           ;   in Loop: Header=BB270_2089 Depth=1
	s_delay_alu instid0(SALU_CYCLE_1)
	s_or_b32 exec_lo, exec_lo, s0
	scratch_load_b32 v4, off, s32 offset:2436 ; 4-byte Folded Reload
	s_mov_b32 s0, exec_lo
	s_waitcnt vmcnt(0)
	v_add_co_u32 v4, vcc_lo, v21, v4
	v_add_co_ci_u32_e32 v5, vcc_lo, 0, v22, vcc_lo
	flat_load_b32 v6, v[4:5]
	v_mov_b32_e32 v7, 0
	v_mov_b32_e32 v8, 0
	s_clause 0x1
	scratch_store_b64 off, v[7:8], s32 offset:1396
	scratch_store_b64 off, v[7:8], s32 offset:1404
	s_waitcnt vmcnt(0) lgkmcnt(0)
	v_and_b32_e32 v4, 0xff, v6
	s_delay_alu instid0(VALU_DEP_1)
	v_cmpx_ne_u16_e32 0, v4
	s_cbranch_execz .LBB270_3122
; %bb.3115:                             ;   in Loop: Header=BB270_2089 Depth=1
	v_cmp_ne_u16_e32 vcc_lo, 0x80, v4
	v_bfrev_b32_e32 v4, 1
	v_mov_b32_e32 v5, 0
	scratch_store_b64 off, v[4:5], s32 offset:1404 ; 8-byte Folded Spill
	s_and_saveexec_b32 s1, vcc_lo
	s_cbranch_execz .LBB270_3121
; %bb.3116:                             ;   in Loop: Header=BB270_2089 Depth=1
	v_mov_b32_e32 v7, 0x7f800001
	v_and_b32_e32 v4, 0x7f, v6
	v_mov_b32_e32 v8, 0
	s_mov_b32 s2, exec_lo
	scratch_store_b64 off, v[7:8], s32 offset:1404 ; 8-byte Folded Spill
	v_cmpx_ne_u32_e32 0x7f, v4
	s_cbranch_execz .LBB270_3120
; %bb.3117:                             ;   in Loop: Header=BB270_2089 Depth=1
	v_and_b32_e32 v8, 7, v6
	v_lshrrev_b32_e32 v7, 3, v4
	v_cmp_gt_u32_e32 vcc_lo, 8, v4
	s_delay_alu instid0(VALU_DEP_3)
	v_dual_mov_b32 v4, v8 :: v_dual_mov_b32 v5, v9
	s_and_saveexec_b32 s3, vcc_lo
; %bb.3118:                             ;   in Loop: Header=BB270_2089 Depth=1
	v_clz_i32_u32_e32 v4, v8
	s_delay_alu instid0(VALU_DEP_1) | instskip(NEXT) | instid1(VALU_DEP_1)
	v_min_u32_e32 v7, 32, v4
	v_subrev_nc_u32_e32 v4, 28, v7
	v_sub_nc_u32_e32 v7, 29, v7
	s_delay_alu instid0(VALU_DEP_2) | instskip(NEXT) | instid1(VALU_DEP_1)
	v_lshlrev_b64 v[4:5], v4, v[8:9]
	v_and_b32_e32 v4, 7, v4
; %bb.3119:                             ;   in Loop: Header=BB270_2089 Depth=1
	s_or_b32 exec_lo, exec_lo, s3
	v_lshlrev_b32_e32 v5, 24, v6
	s_delay_alu instid0(VALU_DEP_2) | instskip(SKIP_1) | instid1(VALU_DEP_3)
	v_lshlrev_b32_e32 v4, 20, v4
	v_lshl_add_u32 v7, v7, 23, 0x3c000000
	v_and_b32_e32 v5, 0x80000000, v5
	s_delay_alu instid0(VALU_DEP_1)
	v_or3_b32 v8, v4, v5, v7
	scratch_store_b64 off, v[8:9], s32 offset:1404 ; 8-byte Folded Spill
.LBB270_3120:                           ;   in Loop: Header=BB270_2089 Depth=1
	s_or_b32 exec_lo, exec_lo, s2
.LBB270_3121:                           ;   in Loop: Header=BB270_2089 Depth=1
	s_delay_alu instid0(SALU_CYCLE_1)
	s_or_b32 exec_lo, exec_lo, s1
.LBB270_3122:                           ;   in Loop: Header=BB270_2089 Depth=1
	s_delay_alu instid0(SALU_CYCLE_1) | instskip(SKIP_2) | instid1(VALU_DEP_1)
	s_or_b32 exec_lo, exec_lo, s0
	v_lshrrev_b16 v4, 8, v6
	s_mov_b32 s0, exec_lo
	v_cmpx_ne_u16_e32 0, v4
	s_cbranch_execz .LBB270_3130
; %bb.3123:                             ;   in Loop: Header=BB270_2089 Depth=1
	v_dual_mov_b32 v7, s10 :: v_dual_mov_b32 v8, s11
	s_mov_b32 s1, exec_lo
	scratch_store_b64 off, v[7:8], s32 offset:1396 ; 8-byte Folded Spill
	v_cmpx_ne_u16_e32 0x80, v4
	s_cbranch_execz .LBB270_3129
; %bb.3124:                             ;   in Loop: Header=BB270_2089 Depth=1
	s_mov_b32 s12, s10
	v_and_b32_e32 v5, 0xffff, v4
	v_dual_mov_b32 v7, s12 :: v_dual_mov_b32 v8, s13
	s_mov_b32 s2, exec_lo
	s_delay_alu instid0(VALU_DEP_2)
	v_and_b32_e32 v4, 0x7f, v5
	scratch_store_b64 off, v[7:8], s32 offset:1396 ; 8-byte Folded Spill
	v_cmpx_ne_u32_e32 0x7f, v4
	s_cbranch_execz .LBB270_3128
; %bb.3125:                             ;   in Loop: Header=BB270_2089 Depth=1
	v_and_b32_e32 v8, 7, v5
	v_lshrrev_b32_e32 v7, 3, v4
	v_cmp_gt_u32_e32 vcc_lo, 8, v4
	s_delay_alu instid0(VALU_DEP_3)
	v_dual_mov_b32 v4, v8 :: v_dual_mov_b32 v5, v9
	s_and_saveexec_b32 s3, vcc_lo
; %bb.3126:                             ;   in Loop: Header=BB270_2089 Depth=1
	v_clz_i32_u32_e32 v4, v8
	s_delay_alu instid0(VALU_DEP_1) | instskip(NEXT) | instid1(VALU_DEP_1)
	v_min_u32_e32 v7, 32, v4
	v_subrev_nc_u32_e32 v4, 28, v7
	v_sub_nc_u32_e32 v7, 29, v7
	s_delay_alu instid0(VALU_DEP_2) | instskip(NEXT) | instid1(VALU_DEP_1)
	v_lshlrev_b64 v[4:5], v4, v[8:9]
	v_and_b32_e32 v4, 7, v4
; %bb.3127:                             ;   in Loop: Header=BB270_2089 Depth=1
	s_or_b32 exec_lo, exec_lo, s3
	v_lshlrev_b32_e32 v5, 16, v6
	s_delay_alu instid0(VALU_DEP_2) | instskip(SKIP_1) | instid1(VALU_DEP_3)
	v_lshlrev_b32_e32 v4, 20, v4
	v_lshl_add_u32 v7, v7, 23, 0x3c000000
	v_and_b32_e32 v5, 0x80000000, v5
	s_delay_alu instid0(VALU_DEP_1)
	v_or3_b32 v5, v4, v5, v7
	v_mov_b32_e32 v4, v9
	scratch_store_b64 off, v[4:5], s32 offset:1396 ; 8-byte Folded Spill
.LBB270_3128:                           ;   in Loop: Header=BB270_2089 Depth=1
	s_or_b32 exec_lo, exec_lo, s2
.LBB270_3129:                           ;   in Loop: Header=BB270_2089 Depth=1
	s_delay_alu instid0(SALU_CYCLE_1)
	s_or_b32 exec_lo, exec_lo, s1
.LBB270_3130:                           ;   in Loop: Header=BB270_2089 Depth=1
	s_delay_alu instid0(SALU_CYCLE_1) | instskip(SKIP_4) | instid1(VALU_DEP_3)
	s_or_b32 exec_lo, exec_lo, s0
	v_lshrrev_b32_e32 v7, 16, v6
	v_mov_b32_e32 v10, 0
	v_mov_b32_e32 v11, 0
	s_mov_b32 s0, exec_lo
	v_and_b32_e32 v4, 0xff, v7
	s_clause 0x1
	scratch_store_b64 off, v[10:11], s32 offset:1676
	scratch_store_b64 off, v[10:11], s32 offset:1412
	v_cmpx_ne_u16_e32 0, v4
	s_cbranch_execz .LBB270_3138
; %bb.3131:                             ;   in Loop: Header=BB270_2089 Depth=1
	v_cmp_ne_u16_e32 vcc_lo, 0x80, v4
	v_bfrev_b32_e32 v4, 1
	v_mov_b32_e32 v5, 0
	scratch_store_b64 off, v[4:5], s32 offset:1412 ; 8-byte Folded Spill
	s_and_saveexec_b32 s1, vcc_lo
	s_cbranch_execz .LBB270_3137
; %bb.3132:                             ;   in Loop: Header=BB270_2089 Depth=1
	v_mov_b32_e32 v10, 0x7f800001
	v_bfe_u32 v4, v6, 16, 7
	v_mov_b32_e32 v11, 0
	s_mov_b32 s2, exec_lo
	scratch_store_b64 off, v[10:11], s32 offset:1412 ; 8-byte Folded Spill
	v_cmpx_ne_u32_e32 0x7f, v4
	s_cbranch_execz .LBB270_3136
; %bb.3133:                             ;   in Loop: Header=BB270_2089 Depth=1
	v_and_b32_e32 v8, 7, v7
	v_lshrrev_b32_e32 v10, 3, v4
	v_cmp_gt_u32_e32 vcc_lo, 8, v4
	s_delay_alu instid0(VALU_DEP_3)
	v_dual_mov_b32 v4, v8 :: v_dual_mov_b32 v5, v9
	s_and_saveexec_b32 s3, vcc_lo
; %bb.3134:                             ;   in Loop: Header=BB270_2089 Depth=1
	v_clz_i32_u32_e32 v4, v8
	s_delay_alu instid0(VALU_DEP_1) | instskip(NEXT) | instid1(VALU_DEP_1)
	v_min_u32_e32 v10, 32, v4
	v_subrev_nc_u32_e32 v4, 28, v10
	v_sub_nc_u32_e32 v10, 29, v10
	s_delay_alu instid0(VALU_DEP_2) | instskip(NEXT) | instid1(VALU_DEP_1)
	v_lshlrev_b64 v[4:5], v4, v[8:9]
	v_and_b32_e32 v4, 7, v4
; %bb.3135:                             ;   in Loop: Header=BB270_2089 Depth=1
	s_or_b32 exec_lo, exec_lo, s3
	v_lshlrev_b32_e32 v5, 24, v7
	s_delay_alu instid0(VALU_DEP_2) | instskip(SKIP_1) | instid1(VALU_DEP_3)
	v_lshlrev_b32_e32 v4, 20, v4
	v_lshl_add_u32 v7, v10, 23, 0x3c000000
	v_and_b32_e32 v5, 0x80000000, v5
	s_delay_alu instid0(VALU_DEP_1)
	v_or3_b32 v8, v4, v5, v7
	scratch_store_b64 off, v[8:9], s32 offset:1412 ; 8-byte Folded Spill
.LBB270_3136:                           ;   in Loop: Header=BB270_2089 Depth=1
	s_or_b32 exec_lo, exec_lo, s2
.LBB270_3137:                           ;   in Loop: Header=BB270_2089 Depth=1
	s_delay_alu instid0(SALU_CYCLE_1)
	s_or_b32 exec_lo, exec_lo, s1
.LBB270_3138:                           ;   in Loop: Header=BB270_2089 Depth=1
	s_delay_alu instid0(SALU_CYCLE_1) | instskip(NEXT) | instid1(SALU_CYCLE_1)
	s_or_b32 exec_lo, exec_lo, s0
	s_mov_b32 s0, exec_lo
	v_cmpx_lt_u32_e32 0xffffff, v6
	s_cbranch_execz .LBB270_3146
; %bb.3139:                             ;   in Loop: Header=BB270_2089 Depth=1
	v_lshrrev_b32_e32 v7, 24, v6
	v_dual_mov_b32 v4, s10 :: v_dual_mov_b32 v5, s11
	s_mov_b32 s1, exec_lo
	scratch_store_b64 off, v[4:5], s32 offset:1676 ; 8-byte Folded Spill
	v_cmpx_ne_u32_e32 0x80, v7
	s_cbranch_execz .LBB270_3145
; %bb.3140:                             ;   in Loop: Header=BB270_2089 Depth=1
	s_mov_b32 s12, s10
	v_bfe_u32 v4, v6, 24, 7
	v_dual_mov_b32 v5, s12 :: v_dual_mov_b32 v6, s13
	s_mov_b32 s2, exec_lo
	s_delay_alu instid0(VALU_DEP_2)
	v_cmpx_ne_u32_e32 0x7f, v4
	s_cbranch_execz .LBB270_3144
; %bb.3141:                             ;   in Loop: Header=BB270_2089 Depth=1
	v_and_b32_e32 v8, 7, v7
	v_lshrrev_b32_e32 v6, 3, v4
	v_cmp_gt_u32_e32 vcc_lo, 8, v4
	s_delay_alu instid0(VALU_DEP_3)
	v_dual_mov_b32 v4, v8 :: v_dual_mov_b32 v5, v9
	s_and_saveexec_b32 s3, vcc_lo
; %bb.3142:                             ;   in Loop: Header=BB270_2089 Depth=1
	v_clz_i32_u32_e32 v4, v8
	s_delay_alu instid0(VALU_DEP_1) | instskip(NEXT) | instid1(VALU_DEP_1)
	v_min_u32_e32 v6, 32, v4
	v_subrev_nc_u32_e32 v4, 28, v6
	v_sub_nc_u32_e32 v6, 29, v6
	s_delay_alu instid0(VALU_DEP_2) | instskip(NEXT) | instid1(VALU_DEP_1)
	v_lshlrev_b64 v[4:5], v4, v[8:9]
	v_and_b32_e32 v4, 7, v4
; %bb.3143:                             ;   in Loop: Header=BB270_2089 Depth=1
	s_or_b32 exec_lo, exec_lo, s3
	v_lshlrev_b32_e32 v5, 24, v7
	s_delay_alu instid0(VALU_DEP_2) | instskip(SKIP_1) | instid1(VALU_DEP_3)
	v_lshlrev_b32_e32 v4, 20, v4
	v_lshl_add_u32 v6, v6, 23, 0x3c000000
	v_and_b32_e32 v5, 0x80000000, v5
	s_delay_alu instid0(VALU_DEP_1)
	v_or3_b32 v6, v4, v5, v6
	v_mov_b32_e32 v5, v9
.LBB270_3144:                           ;   in Loop: Header=BB270_2089 Depth=1
	s_or_b32 exec_lo, exec_lo, s2
	scratch_store_b64 off, v[5:6], s32 offset:1676 ; 8-byte Folded Spill
.LBB270_3145:                           ;   in Loop: Header=BB270_2089 Depth=1
	s_or_b32 exec_lo, exec_lo, s1
.LBB270_3146:                           ;   in Loop: Header=BB270_2089 Depth=1
	s_delay_alu instid0(SALU_CYCLE_1)
	s_or_b32 exec_lo, exec_lo, s0
	scratch_load_b32 v4, off, s32 offset:2452 ; 4-byte Folded Reload
	s_mov_b32 s0, exec_lo
	s_waitcnt vmcnt(0)
	v_add_co_u32 v4, vcc_lo, v21, v4
	v_add_co_ci_u32_e32 v5, vcc_lo, 0, v22, vcc_lo
	flat_load_b32 v6, v[4:5]
	v_mov_b32_e32 v7, 0
	v_mov_b32_e32 v8, 0
	s_clause 0x1
	scratch_store_b64 off, v[7:8], s32 offset:1420
	scratch_store_b64 off, v[7:8], s32 offset:1428
	s_waitcnt vmcnt(0) lgkmcnt(0)
	v_and_b32_e32 v4, 0xff, v6
	s_delay_alu instid0(VALU_DEP_1)
	v_cmpx_ne_u16_e32 0, v4
	s_cbranch_execz .LBB270_3154
; %bb.3147:                             ;   in Loop: Header=BB270_2089 Depth=1
	v_cmp_ne_u16_e32 vcc_lo, 0x80, v4
	v_bfrev_b32_e32 v4, 1
	v_mov_b32_e32 v5, 0
	scratch_store_b64 off, v[4:5], s32 offset:1428 ; 8-byte Folded Spill
	s_and_saveexec_b32 s1, vcc_lo
	s_cbranch_execz .LBB270_3153
; %bb.3148:                             ;   in Loop: Header=BB270_2089 Depth=1
	v_mov_b32_e32 v7, 0x7f800001
	v_and_b32_e32 v4, 0x7f, v6
	v_mov_b32_e32 v8, 0
	s_mov_b32 s2, exec_lo
	scratch_store_b64 off, v[7:8], s32 offset:1428 ; 8-byte Folded Spill
	v_cmpx_ne_u32_e32 0x7f, v4
	s_cbranch_execz .LBB270_3152
; %bb.3149:                             ;   in Loop: Header=BB270_2089 Depth=1
	v_and_b32_e32 v8, 7, v6
	v_lshrrev_b32_e32 v7, 3, v4
	v_cmp_gt_u32_e32 vcc_lo, 8, v4
	s_delay_alu instid0(VALU_DEP_3)
	v_dual_mov_b32 v4, v8 :: v_dual_mov_b32 v5, v9
	s_and_saveexec_b32 s3, vcc_lo
; %bb.3150:                             ;   in Loop: Header=BB270_2089 Depth=1
	v_clz_i32_u32_e32 v4, v8
	s_delay_alu instid0(VALU_DEP_1) | instskip(NEXT) | instid1(VALU_DEP_1)
	v_min_u32_e32 v7, 32, v4
	v_subrev_nc_u32_e32 v4, 28, v7
	v_sub_nc_u32_e32 v7, 29, v7
	s_delay_alu instid0(VALU_DEP_2) | instskip(NEXT) | instid1(VALU_DEP_1)
	v_lshlrev_b64 v[4:5], v4, v[8:9]
	v_and_b32_e32 v4, 7, v4
; %bb.3151:                             ;   in Loop: Header=BB270_2089 Depth=1
	s_or_b32 exec_lo, exec_lo, s3
	v_lshlrev_b32_e32 v5, 24, v6
	s_delay_alu instid0(VALU_DEP_2) | instskip(SKIP_1) | instid1(VALU_DEP_3)
	v_lshlrev_b32_e32 v4, 20, v4
	v_lshl_add_u32 v7, v7, 23, 0x3c000000
	v_and_b32_e32 v5, 0x80000000, v5
	s_delay_alu instid0(VALU_DEP_1)
	v_or3_b32 v8, v4, v5, v7
	scratch_store_b64 off, v[8:9], s32 offset:1428 ; 8-byte Folded Spill
.LBB270_3152:                           ;   in Loop: Header=BB270_2089 Depth=1
	s_or_b32 exec_lo, exec_lo, s2
.LBB270_3153:                           ;   in Loop: Header=BB270_2089 Depth=1
	s_delay_alu instid0(SALU_CYCLE_1)
	s_or_b32 exec_lo, exec_lo, s1
.LBB270_3154:                           ;   in Loop: Header=BB270_2089 Depth=1
	s_delay_alu instid0(SALU_CYCLE_1) | instskip(SKIP_2) | instid1(VALU_DEP_1)
	s_or_b32 exec_lo, exec_lo, s0
	v_lshrrev_b16 v4, 8, v6
	s_mov_b32 s0, exec_lo
	v_cmpx_ne_u16_e32 0, v4
	s_cbranch_execz .LBB270_3162
; %bb.3155:                             ;   in Loop: Header=BB270_2089 Depth=1
	v_dual_mov_b32 v7, s10 :: v_dual_mov_b32 v8, s11
	s_mov_b32 s1, exec_lo
	scratch_store_b64 off, v[7:8], s32 offset:1420 ; 8-byte Folded Spill
	v_cmpx_ne_u16_e32 0x80, v4
	s_cbranch_execz .LBB270_3161
; %bb.3156:                             ;   in Loop: Header=BB270_2089 Depth=1
	s_mov_b32 s12, s10
	v_and_b32_e32 v5, 0xffff, v4
	v_dual_mov_b32 v7, s12 :: v_dual_mov_b32 v8, s13
	s_mov_b32 s2, exec_lo
	s_delay_alu instid0(VALU_DEP_2)
	v_and_b32_e32 v4, 0x7f, v5
	scratch_store_b64 off, v[7:8], s32 offset:1420 ; 8-byte Folded Spill
	v_cmpx_ne_u32_e32 0x7f, v4
	s_cbranch_execz .LBB270_3160
; %bb.3157:                             ;   in Loop: Header=BB270_2089 Depth=1
	v_and_b32_e32 v8, 7, v5
	v_lshrrev_b32_e32 v7, 3, v4
	v_cmp_gt_u32_e32 vcc_lo, 8, v4
	s_delay_alu instid0(VALU_DEP_3)
	v_dual_mov_b32 v4, v8 :: v_dual_mov_b32 v5, v9
	s_and_saveexec_b32 s3, vcc_lo
; %bb.3158:                             ;   in Loop: Header=BB270_2089 Depth=1
	v_clz_i32_u32_e32 v4, v8
	s_delay_alu instid0(VALU_DEP_1) | instskip(NEXT) | instid1(VALU_DEP_1)
	v_min_u32_e32 v7, 32, v4
	v_subrev_nc_u32_e32 v4, 28, v7
	v_sub_nc_u32_e32 v7, 29, v7
	s_delay_alu instid0(VALU_DEP_2) | instskip(NEXT) | instid1(VALU_DEP_1)
	v_lshlrev_b64 v[4:5], v4, v[8:9]
	v_and_b32_e32 v4, 7, v4
; %bb.3159:                             ;   in Loop: Header=BB270_2089 Depth=1
	s_or_b32 exec_lo, exec_lo, s3
	v_lshlrev_b32_e32 v5, 16, v6
	s_delay_alu instid0(VALU_DEP_2) | instskip(SKIP_1) | instid1(VALU_DEP_3)
	v_lshlrev_b32_e32 v4, 20, v4
	v_lshl_add_u32 v7, v7, 23, 0x3c000000
	v_and_b32_e32 v5, 0x80000000, v5
	s_delay_alu instid0(VALU_DEP_1)
	v_or3_b32 v5, v4, v5, v7
	v_mov_b32_e32 v4, v9
	scratch_store_b64 off, v[4:5], s32 offset:1420 ; 8-byte Folded Spill
.LBB270_3160:                           ;   in Loop: Header=BB270_2089 Depth=1
	s_or_b32 exec_lo, exec_lo, s2
.LBB270_3161:                           ;   in Loop: Header=BB270_2089 Depth=1
	s_delay_alu instid0(SALU_CYCLE_1)
	s_or_b32 exec_lo, exec_lo, s1
.LBB270_3162:                           ;   in Loop: Header=BB270_2089 Depth=1
	s_delay_alu instid0(SALU_CYCLE_1) | instskip(SKIP_4) | instid1(VALU_DEP_3)
	s_or_b32 exec_lo, exec_lo, s0
	v_lshrrev_b32_e32 v7, 16, v6
	v_mov_b32_e32 v10, 0
	v_mov_b32_e32 v11, 0
	s_mov_b32 s0, exec_lo
	v_and_b32_e32 v4, 0xff, v7
	s_clause 0x1
	scratch_store_b64 off, v[10:11], s32 offset:1684
	scratch_store_b64 off, v[10:11], s32 offset:1436
	v_cmpx_ne_u16_e32 0, v4
	s_cbranch_execz .LBB270_3170
; %bb.3163:                             ;   in Loop: Header=BB270_2089 Depth=1
	v_cmp_ne_u16_e32 vcc_lo, 0x80, v4
	v_bfrev_b32_e32 v4, 1
	v_mov_b32_e32 v5, 0
	scratch_store_b64 off, v[4:5], s32 offset:1436 ; 8-byte Folded Spill
	s_and_saveexec_b32 s1, vcc_lo
	s_cbranch_execz .LBB270_3169
; %bb.3164:                             ;   in Loop: Header=BB270_2089 Depth=1
	v_mov_b32_e32 v10, 0x7f800001
	v_bfe_u32 v4, v6, 16, 7
	v_mov_b32_e32 v11, 0
	s_mov_b32 s2, exec_lo
	scratch_store_b64 off, v[10:11], s32 offset:1436 ; 8-byte Folded Spill
	v_cmpx_ne_u32_e32 0x7f, v4
	s_cbranch_execz .LBB270_3168
; %bb.3165:                             ;   in Loop: Header=BB270_2089 Depth=1
	v_and_b32_e32 v8, 7, v7
	v_lshrrev_b32_e32 v10, 3, v4
	v_cmp_gt_u32_e32 vcc_lo, 8, v4
	s_delay_alu instid0(VALU_DEP_3)
	v_dual_mov_b32 v4, v8 :: v_dual_mov_b32 v5, v9
	s_and_saveexec_b32 s3, vcc_lo
; %bb.3166:                             ;   in Loop: Header=BB270_2089 Depth=1
	v_clz_i32_u32_e32 v4, v8
	s_delay_alu instid0(VALU_DEP_1) | instskip(NEXT) | instid1(VALU_DEP_1)
	v_min_u32_e32 v10, 32, v4
	v_subrev_nc_u32_e32 v4, 28, v10
	v_sub_nc_u32_e32 v10, 29, v10
	s_delay_alu instid0(VALU_DEP_2) | instskip(NEXT) | instid1(VALU_DEP_1)
	v_lshlrev_b64 v[4:5], v4, v[8:9]
	v_and_b32_e32 v4, 7, v4
; %bb.3167:                             ;   in Loop: Header=BB270_2089 Depth=1
	s_or_b32 exec_lo, exec_lo, s3
	v_lshlrev_b32_e32 v5, 24, v7
	s_delay_alu instid0(VALU_DEP_2) | instskip(SKIP_1) | instid1(VALU_DEP_3)
	v_lshlrev_b32_e32 v4, 20, v4
	v_lshl_add_u32 v7, v10, 23, 0x3c000000
	v_and_b32_e32 v5, 0x80000000, v5
	s_delay_alu instid0(VALU_DEP_1)
	v_or3_b32 v8, v4, v5, v7
	scratch_store_b64 off, v[8:9], s32 offset:1436 ; 8-byte Folded Spill
.LBB270_3168:                           ;   in Loop: Header=BB270_2089 Depth=1
	s_or_b32 exec_lo, exec_lo, s2
.LBB270_3169:                           ;   in Loop: Header=BB270_2089 Depth=1
	s_delay_alu instid0(SALU_CYCLE_1)
	s_or_b32 exec_lo, exec_lo, s1
.LBB270_3170:                           ;   in Loop: Header=BB270_2089 Depth=1
	s_delay_alu instid0(SALU_CYCLE_1) | instskip(NEXT) | instid1(SALU_CYCLE_1)
	s_or_b32 exec_lo, exec_lo, s0
	s_mov_b32 s0, exec_lo
	v_cmpx_lt_u32_e32 0xffffff, v6
	s_cbranch_execz .LBB270_3178
; %bb.3171:                             ;   in Loop: Header=BB270_2089 Depth=1
	v_lshrrev_b32_e32 v7, 24, v6
	v_dual_mov_b32 v4, s10 :: v_dual_mov_b32 v5, s11
	s_mov_b32 s1, exec_lo
	scratch_store_b64 off, v[4:5], s32 offset:1684 ; 8-byte Folded Spill
	v_cmpx_ne_u32_e32 0x80, v7
	s_cbranch_execz .LBB270_3177
; %bb.3172:                             ;   in Loop: Header=BB270_2089 Depth=1
	s_mov_b32 s12, s10
	v_bfe_u32 v4, v6, 24, 7
	v_dual_mov_b32 v5, s12 :: v_dual_mov_b32 v6, s13
	s_mov_b32 s2, exec_lo
	s_delay_alu instid0(VALU_DEP_2)
	v_cmpx_ne_u32_e32 0x7f, v4
	s_cbranch_execz .LBB270_3176
; %bb.3173:                             ;   in Loop: Header=BB270_2089 Depth=1
	v_and_b32_e32 v8, 7, v7
	v_lshrrev_b32_e32 v6, 3, v4
	v_cmp_gt_u32_e32 vcc_lo, 8, v4
	s_delay_alu instid0(VALU_DEP_3)
	v_dual_mov_b32 v4, v8 :: v_dual_mov_b32 v5, v9
	s_and_saveexec_b32 s3, vcc_lo
; %bb.3174:                             ;   in Loop: Header=BB270_2089 Depth=1
	v_clz_i32_u32_e32 v4, v8
	s_delay_alu instid0(VALU_DEP_1) | instskip(NEXT) | instid1(VALU_DEP_1)
	v_min_u32_e32 v6, 32, v4
	v_subrev_nc_u32_e32 v4, 28, v6
	v_sub_nc_u32_e32 v6, 29, v6
	s_delay_alu instid0(VALU_DEP_2) | instskip(NEXT) | instid1(VALU_DEP_1)
	v_lshlrev_b64 v[4:5], v4, v[8:9]
	v_and_b32_e32 v4, 7, v4
; %bb.3175:                             ;   in Loop: Header=BB270_2089 Depth=1
	s_or_b32 exec_lo, exec_lo, s3
	v_lshlrev_b32_e32 v5, 24, v7
	s_delay_alu instid0(VALU_DEP_2) | instskip(SKIP_1) | instid1(VALU_DEP_3)
	v_lshlrev_b32_e32 v4, 20, v4
	v_lshl_add_u32 v6, v6, 23, 0x3c000000
	v_and_b32_e32 v5, 0x80000000, v5
	s_delay_alu instid0(VALU_DEP_1)
	v_or3_b32 v6, v4, v5, v6
	v_mov_b32_e32 v5, v9
.LBB270_3176:                           ;   in Loop: Header=BB270_2089 Depth=1
	s_or_b32 exec_lo, exec_lo, s2
	scratch_store_b64 off, v[5:6], s32 offset:1684 ; 8-byte Folded Spill
.LBB270_3177:                           ;   in Loop: Header=BB270_2089 Depth=1
	s_or_b32 exec_lo, exec_lo, s1
.LBB270_3178:                           ;   in Loop: Header=BB270_2089 Depth=1
	s_delay_alu instid0(SALU_CYCLE_1)
	s_or_b32 exec_lo, exec_lo, s0
	scratch_load_b32 v4, off, s32 offset:2468 ; 4-byte Folded Reload
	s_mov_b32 s0, exec_lo
	s_waitcnt vmcnt(0)
	v_add_co_u32 v4, vcc_lo, v21, v4
	v_add_co_ci_u32_e32 v5, vcc_lo, 0, v22, vcc_lo
	flat_load_b32 v6, v[4:5]
	v_mov_b32_e32 v7, 0
	v_mov_b32_e32 v8, 0
	s_clause 0x1
	scratch_store_b64 off, v[7:8], s32 offset:1444
	scratch_store_b64 off, v[7:8], s32 offset:1452
	s_waitcnt vmcnt(0) lgkmcnt(0)
	v_and_b32_e32 v4, 0xff, v6
	s_delay_alu instid0(VALU_DEP_1)
	v_cmpx_ne_u16_e32 0, v4
	s_cbranch_execz .LBB270_3186
; %bb.3179:                             ;   in Loop: Header=BB270_2089 Depth=1
	v_cmp_ne_u16_e32 vcc_lo, 0x80, v4
	v_bfrev_b32_e32 v4, 1
	v_mov_b32_e32 v5, 0
	scratch_store_b64 off, v[4:5], s32 offset:1452 ; 8-byte Folded Spill
	s_and_saveexec_b32 s1, vcc_lo
	s_cbranch_execz .LBB270_3185
; %bb.3180:                             ;   in Loop: Header=BB270_2089 Depth=1
	v_mov_b32_e32 v7, 0x7f800001
	v_and_b32_e32 v4, 0x7f, v6
	v_mov_b32_e32 v8, 0
	s_mov_b32 s2, exec_lo
	scratch_store_b64 off, v[7:8], s32 offset:1452 ; 8-byte Folded Spill
	v_cmpx_ne_u32_e32 0x7f, v4
	s_cbranch_execz .LBB270_3184
; %bb.3181:                             ;   in Loop: Header=BB270_2089 Depth=1
	v_and_b32_e32 v8, 7, v6
	v_lshrrev_b32_e32 v7, 3, v4
	v_cmp_gt_u32_e32 vcc_lo, 8, v4
	s_delay_alu instid0(VALU_DEP_3)
	v_dual_mov_b32 v4, v8 :: v_dual_mov_b32 v5, v9
	s_and_saveexec_b32 s3, vcc_lo
; %bb.3182:                             ;   in Loop: Header=BB270_2089 Depth=1
	v_clz_i32_u32_e32 v4, v8
	s_delay_alu instid0(VALU_DEP_1) | instskip(NEXT) | instid1(VALU_DEP_1)
	v_min_u32_e32 v7, 32, v4
	v_subrev_nc_u32_e32 v4, 28, v7
	v_sub_nc_u32_e32 v7, 29, v7
	s_delay_alu instid0(VALU_DEP_2) | instskip(NEXT) | instid1(VALU_DEP_1)
	v_lshlrev_b64 v[4:5], v4, v[8:9]
	v_and_b32_e32 v4, 7, v4
; %bb.3183:                             ;   in Loop: Header=BB270_2089 Depth=1
	s_or_b32 exec_lo, exec_lo, s3
	v_lshlrev_b32_e32 v5, 24, v6
	s_delay_alu instid0(VALU_DEP_2) | instskip(SKIP_1) | instid1(VALU_DEP_3)
	v_lshlrev_b32_e32 v4, 20, v4
	v_lshl_add_u32 v7, v7, 23, 0x3c000000
	v_and_b32_e32 v5, 0x80000000, v5
	s_delay_alu instid0(VALU_DEP_1)
	v_or3_b32 v8, v4, v5, v7
	scratch_store_b64 off, v[8:9], s32 offset:1452 ; 8-byte Folded Spill
.LBB270_3184:                           ;   in Loop: Header=BB270_2089 Depth=1
	s_or_b32 exec_lo, exec_lo, s2
.LBB270_3185:                           ;   in Loop: Header=BB270_2089 Depth=1
	s_delay_alu instid0(SALU_CYCLE_1)
	s_or_b32 exec_lo, exec_lo, s1
.LBB270_3186:                           ;   in Loop: Header=BB270_2089 Depth=1
	s_delay_alu instid0(SALU_CYCLE_1) | instskip(SKIP_2) | instid1(VALU_DEP_1)
	s_or_b32 exec_lo, exec_lo, s0
	v_lshrrev_b16 v4, 8, v6
	s_mov_b32 s0, exec_lo
	v_cmpx_ne_u16_e32 0, v4
	s_cbranch_execz .LBB270_3194
; %bb.3187:                             ;   in Loop: Header=BB270_2089 Depth=1
	v_dual_mov_b32 v7, s10 :: v_dual_mov_b32 v8, s11
	s_mov_b32 s1, exec_lo
	scratch_store_b64 off, v[7:8], s32 offset:1444 ; 8-byte Folded Spill
	v_cmpx_ne_u16_e32 0x80, v4
	s_cbranch_execz .LBB270_3193
; %bb.3188:                             ;   in Loop: Header=BB270_2089 Depth=1
	s_mov_b32 s12, s10
	v_and_b32_e32 v5, 0xffff, v4
	v_dual_mov_b32 v7, s12 :: v_dual_mov_b32 v8, s13
	s_mov_b32 s2, exec_lo
	s_delay_alu instid0(VALU_DEP_2)
	v_and_b32_e32 v4, 0x7f, v5
	scratch_store_b64 off, v[7:8], s32 offset:1444 ; 8-byte Folded Spill
	v_cmpx_ne_u32_e32 0x7f, v4
	s_cbranch_execz .LBB270_3192
; %bb.3189:                             ;   in Loop: Header=BB270_2089 Depth=1
	v_and_b32_e32 v8, 7, v5
	v_lshrrev_b32_e32 v7, 3, v4
	v_cmp_gt_u32_e32 vcc_lo, 8, v4
	s_delay_alu instid0(VALU_DEP_3)
	v_dual_mov_b32 v4, v8 :: v_dual_mov_b32 v5, v9
	s_and_saveexec_b32 s3, vcc_lo
; %bb.3190:                             ;   in Loop: Header=BB270_2089 Depth=1
	v_clz_i32_u32_e32 v4, v8
	s_delay_alu instid0(VALU_DEP_1) | instskip(NEXT) | instid1(VALU_DEP_1)
	v_min_u32_e32 v7, 32, v4
	v_subrev_nc_u32_e32 v4, 28, v7
	v_sub_nc_u32_e32 v7, 29, v7
	s_delay_alu instid0(VALU_DEP_2) | instskip(NEXT) | instid1(VALU_DEP_1)
	v_lshlrev_b64 v[4:5], v4, v[8:9]
	v_and_b32_e32 v4, 7, v4
; %bb.3191:                             ;   in Loop: Header=BB270_2089 Depth=1
	s_or_b32 exec_lo, exec_lo, s3
	v_lshlrev_b32_e32 v5, 16, v6
	s_delay_alu instid0(VALU_DEP_2) | instskip(SKIP_1) | instid1(VALU_DEP_3)
	v_lshlrev_b32_e32 v4, 20, v4
	v_lshl_add_u32 v7, v7, 23, 0x3c000000
	v_and_b32_e32 v5, 0x80000000, v5
	s_delay_alu instid0(VALU_DEP_1)
	v_or3_b32 v5, v4, v5, v7
	v_mov_b32_e32 v4, v9
	scratch_store_b64 off, v[4:5], s32 offset:1444 ; 8-byte Folded Spill
.LBB270_3192:                           ;   in Loop: Header=BB270_2089 Depth=1
	s_or_b32 exec_lo, exec_lo, s2
.LBB270_3193:                           ;   in Loop: Header=BB270_2089 Depth=1
	s_delay_alu instid0(SALU_CYCLE_1)
	s_or_b32 exec_lo, exec_lo, s1
.LBB270_3194:                           ;   in Loop: Header=BB270_2089 Depth=1
	s_delay_alu instid0(SALU_CYCLE_1) | instskip(SKIP_4) | instid1(VALU_DEP_3)
	s_or_b32 exec_lo, exec_lo, s0
	v_lshrrev_b32_e32 v7, 16, v6
	v_mov_b32_e32 v10, 0
	v_mov_b32_e32 v11, 0
	s_mov_b32 s0, exec_lo
	v_and_b32_e32 v4, 0xff, v7
	s_clause 0x1
	scratch_store_b64 off, v[10:11], s32 offset:1692
	scratch_store_b64 off, v[10:11], s32 offset:1460
	v_cmpx_ne_u16_e32 0, v4
	s_cbranch_execz .LBB270_3202
; %bb.3195:                             ;   in Loop: Header=BB270_2089 Depth=1
	v_cmp_ne_u16_e32 vcc_lo, 0x80, v4
	v_bfrev_b32_e32 v4, 1
	v_mov_b32_e32 v5, 0
	scratch_store_b64 off, v[4:5], s32 offset:1460 ; 8-byte Folded Spill
	s_and_saveexec_b32 s1, vcc_lo
	s_cbranch_execz .LBB270_3201
; %bb.3196:                             ;   in Loop: Header=BB270_2089 Depth=1
	v_mov_b32_e32 v10, 0x7f800001
	v_bfe_u32 v4, v6, 16, 7
	v_mov_b32_e32 v11, 0
	s_mov_b32 s2, exec_lo
	scratch_store_b64 off, v[10:11], s32 offset:1460 ; 8-byte Folded Spill
	v_cmpx_ne_u32_e32 0x7f, v4
	s_cbranch_execz .LBB270_3200
; %bb.3197:                             ;   in Loop: Header=BB270_2089 Depth=1
	v_and_b32_e32 v8, 7, v7
	v_lshrrev_b32_e32 v10, 3, v4
	v_cmp_gt_u32_e32 vcc_lo, 8, v4
	s_delay_alu instid0(VALU_DEP_3)
	v_dual_mov_b32 v4, v8 :: v_dual_mov_b32 v5, v9
	s_and_saveexec_b32 s3, vcc_lo
; %bb.3198:                             ;   in Loop: Header=BB270_2089 Depth=1
	v_clz_i32_u32_e32 v4, v8
	s_delay_alu instid0(VALU_DEP_1) | instskip(NEXT) | instid1(VALU_DEP_1)
	v_min_u32_e32 v10, 32, v4
	v_subrev_nc_u32_e32 v4, 28, v10
	v_sub_nc_u32_e32 v10, 29, v10
	s_delay_alu instid0(VALU_DEP_2) | instskip(NEXT) | instid1(VALU_DEP_1)
	v_lshlrev_b64 v[4:5], v4, v[8:9]
	v_and_b32_e32 v4, 7, v4
; %bb.3199:                             ;   in Loop: Header=BB270_2089 Depth=1
	s_or_b32 exec_lo, exec_lo, s3
	v_lshlrev_b32_e32 v5, 24, v7
	s_delay_alu instid0(VALU_DEP_2) | instskip(SKIP_1) | instid1(VALU_DEP_3)
	v_lshlrev_b32_e32 v4, 20, v4
	v_lshl_add_u32 v7, v10, 23, 0x3c000000
	v_and_b32_e32 v5, 0x80000000, v5
	s_delay_alu instid0(VALU_DEP_1)
	v_or3_b32 v8, v4, v5, v7
	scratch_store_b64 off, v[8:9], s32 offset:1460 ; 8-byte Folded Spill
.LBB270_3200:                           ;   in Loop: Header=BB270_2089 Depth=1
	s_or_b32 exec_lo, exec_lo, s2
.LBB270_3201:                           ;   in Loop: Header=BB270_2089 Depth=1
	s_delay_alu instid0(SALU_CYCLE_1)
	s_or_b32 exec_lo, exec_lo, s1
.LBB270_3202:                           ;   in Loop: Header=BB270_2089 Depth=1
	s_delay_alu instid0(SALU_CYCLE_1) | instskip(NEXT) | instid1(SALU_CYCLE_1)
	s_or_b32 exec_lo, exec_lo, s0
	s_mov_b32 s0, exec_lo
	v_cmpx_lt_u32_e32 0xffffff, v6
	s_cbranch_execz .LBB270_3210
; %bb.3203:                             ;   in Loop: Header=BB270_2089 Depth=1
	v_lshrrev_b32_e32 v7, 24, v6
	v_dual_mov_b32 v4, s10 :: v_dual_mov_b32 v5, s11
	s_mov_b32 s1, exec_lo
	scratch_store_b64 off, v[4:5], s32 offset:1692 ; 8-byte Folded Spill
	v_cmpx_ne_u32_e32 0x80, v7
	s_cbranch_execz .LBB270_3209
; %bb.3204:                             ;   in Loop: Header=BB270_2089 Depth=1
	s_mov_b32 s12, s10
	v_bfe_u32 v4, v6, 24, 7
	v_dual_mov_b32 v5, s12 :: v_dual_mov_b32 v6, s13
	s_mov_b32 s2, exec_lo
	s_delay_alu instid0(VALU_DEP_2)
	v_cmpx_ne_u32_e32 0x7f, v4
	s_cbranch_execz .LBB270_3208
; %bb.3205:                             ;   in Loop: Header=BB270_2089 Depth=1
	v_and_b32_e32 v8, 7, v7
	v_lshrrev_b32_e32 v6, 3, v4
	v_cmp_gt_u32_e32 vcc_lo, 8, v4
	s_delay_alu instid0(VALU_DEP_3)
	v_dual_mov_b32 v4, v8 :: v_dual_mov_b32 v5, v9
	s_and_saveexec_b32 s3, vcc_lo
; %bb.3206:                             ;   in Loop: Header=BB270_2089 Depth=1
	v_clz_i32_u32_e32 v4, v8
	s_delay_alu instid0(VALU_DEP_1) | instskip(NEXT) | instid1(VALU_DEP_1)
	v_min_u32_e32 v6, 32, v4
	v_subrev_nc_u32_e32 v4, 28, v6
	v_sub_nc_u32_e32 v6, 29, v6
	s_delay_alu instid0(VALU_DEP_2) | instskip(NEXT) | instid1(VALU_DEP_1)
	v_lshlrev_b64 v[4:5], v4, v[8:9]
	v_and_b32_e32 v4, 7, v4
; %bb.3207:                             ;   in Loop: Header=BB270_2089 Depth=1
	s_or_b32 exec_lo, exec_lo, s3
	v_lshlrev_b32_e32 v5, 24, v7
	s_delay_alu instid0(VALU_DEP_2) | instskip(SKIP_1) | instid1(VALU_DEP_3)
	v_lshlrev_b32_e32 v4, 20, v4
	v_lshl_add_u32 v6, v6, 23, 0x3c000000
	v_and_b32_e32 v5, 0x80000000, v5
	s_delay_alu instid0(VALU_DEP_1)
	v_or3_b32 v6, v4, v5, v6
	v_mov_b32_e32 v5, v9
.LBB270_3208:                           ;   in Loop: Header=BB270_2089 Depth=1
	s_or_b32 exec_lo, exec_lo, s2
	scratch_store_b64 off, v[5:6], s32 offset:1692 ; 8-byte Folded Spill
.LBB270_3209:                           ;   in Loop: Header=BB270_2089 Depth=1
	s_or_b32 exec_lo, exec_lo, s1
.LBB270_3210:                           ;   in Loop: Header=BB270_2089 Depth=1
	s_delay_alu instid0(SALU_CYCLE_1)
	s_or_b32 exec_lo, exec_lo, s0
	scratch_load_b32 v4, off, s32 offset:2484 ; 4-byte Folded Reload
	s_mov_b32 s0, exec_lo
	s_waitcnt vmcnt(0)
	v_add_co_u32 v4, vcc_lo, v21, v4
	v_add_co_ci_u32_e32 v5, vcc_lo, 0, v22, vcc_lo
	flat_load_b32 v6, v[4:5]
	v_mov_b32_e32 v7, 0
	v_mov_b32_e32 v8, 0
	s_clause 0x1
	scratch_store_b64 off, v[7:8], s32 offset:1468
	scratch_store_b64 off, v[7:8], s32 offset:1476
	s_waitcnt vmcnt(0) lgkmcnt(0)
	v_and_b32_e32 v4, 0xff, v6
	s_delay_alu instid0(VALU_DEP_1)
	v_cmpx_ne_u16_e32 0, v4
	s_cbranch_execz .LBB270_3218
; %bb.3211:                             ;   in Loop: Header=BB270_2089 Depth=1
	v_cmp_ne_u16_e32 vcc_lo, 0x80, v4
	v_bfrev_b32_e32 v4, 1
	v_mov_b32_e32 v5, 0
	scratch_store_b64 off, v[4:5], s32 offset:1476 ; 8-byte Folded Spill
	s_and_saveexec_b32 s1, vcc_lo
	s_cbranch_execz .LBB270_3217
; %bb.3212:                             ;   in Loop: Header=BB270_2089 Depth=1
	v_mov_b32_e32 v7, 0x7f800001
	v_and_b32_e32 v4, 0x7f, v6
	v_mov_b32_e32 v8, 0
	s_mov_b32 s2, exec_lo
	scratch_store_b64 off, v[7:8], s32 offset:1476 ; 8-byte Folded Spill
	v_cmpx_ne_u32_e32 0x7f, v4
	s_cbranch_execz .LBB270_3216
; %bb.3213:                             ;   in Loop: Header=BB270_2089 Depth=1
	v_and_b32_e32 v8, 7, v6
	v_lshrrev_b32_e32 v7, 3, v4
	v_cmp_gt_u32_e32 vcc_lo, 8, v4
	s_delay_alu instid0(VALU_DEP_3)
	v_dual_mov_b32 v4, v8 :: v_dual_mov_b32 v5, v9
	s_and_saveexec_b32 s3, vcc_lo
; %bb.3214:                             ;   in Loop: Header=BB270_2089 Depth=1
	v_clz_i32_u32_e32 v4, v8
	s_delay_alu instid0(VALU_DEP_1) | instskip(NEXT) | instid1(VALU_DEP_1)
	v_min_u32_e32 v7, 32, v4
	v_subrev_nc_u32_e32 v4, 28, v7
	v_sub_nc_u32_e32 v7, 29, v7
	s_delay_alu instid0(VALU_DEP_2) | instskip(NEXT) | instid1(VALU_DEP_1)
	v_lshlrev_b64 v[4:5], v4, v[8:9]
	v_and_b32_e32 v4, 7, v4
; %bb.3215:                             ;   in Loop: Header=BB270_2089 Depth=1
	s_or_b32 exec_lo, exec_lo, s3
	v_lshlrev_b32_e32 v5, 24, v6
	s_delay_alu instid0(VALU_DEP_2) | instskip(SKIP_1) | instid1(VALU_DEP_3)
	v_lshlrev_b32_e32 v4, 20, v4
	v_lshl_add_u32 v7, v7, 23, 0x3c000000
	v_and_b32_e32 v5, 0x80000000, v5
	s_delay_alu instid0(VALU_DEP_1)
	v_or3_b32 v8, v4, v5, v7
	scratch_store_b64 off, v[8:9], s32 offset:1476 ; 8-byte Folded Spill
.LBB270_3216:                           ;   in Loop: Header=BB270_2089 Depth=1
	s_or_b32 exec_lo, exec_lo, s2
.LBB270_3217:                           ;   in Loop: Header=BB270_2089 Depth=1
	s_delay_alu instid0(SALU_CYCLE_1)
	s_or_b32 exec_lo, exec_lo, s1
.LBB270_3218:                           ;   in Loop: Header=BB270_2089 Depth=1
	s_delay_alu instid0(SALU_CYCLE_1) | instskip(SKIP_2) | instid1(VALU_DEP_1)
	s_or_b32 exec_lo, exec_lo, s0
	v_lshrrev_b16 v4, 8, v6
	s_mov_b32 s0, exec_lo
	v_cmpx_ne_u16_e32 0, v4
	s_cbranch_execz .LBB270_3226
; %bb.3219:                             ;   in Loop: Header=BB270_2089 Depth=1
	v_dual_mov_b32 v7, s10 :: v_dual_mov_b32 v8, s11
	s_mov_b32 s1, exec_lo
	scratch_store_b64 off, v[7:8], s32 offset:1468 ; 8-byte Folded Spill
	v_cmpx_ne_u16_e32 0x80, v4
	s_cbranch_execz .LBB270_3225
; %bb.3220:                             ;   in Loop: Header=BB270_2089 Depth=1
	s_mov_b32 s12, s10
	v_and_b32_e32 v5, 0xffff, v4
	v_dual_mov_b32 v7, s12 :: v_dual_mov_b32 v8, s13
	s_mov_b32 s2, exec_lo
	s_delay_alu instid0(VALU_DEP_2)
	v_and_b32_e32 v4, 0x7f, v5
	scratch_store_b64 off, v[7:8], s32 offset:1468 ; 8-byte Folded Spill
	v_cmpx_ne_u32_e32 0x7f, v4
	s_cbranch_execz .LBB270_3224
; %bb.3221:                             ;   in Loop: Header=BB270_2089 Depth=1
	v_and_b32_e32 v8, 7, v5
	v_lshrrev_b32_e32 v7, 3, v4
	v_cmp_gt_u32_e32 vcc_lo, 8, v4
	s_delay_alu instid0(VALU_DEP_3)
	v_dual_mov_b32 v4, v8 :: v_dual_mov_b32 v5, v9
	s_and_saveexec_b32 s3, vcc_lo
; %bb.3222:                             ;   in Loop: Header=BB270_2089 Depth=1
	v_clz_i32_u32_e32 v4, v8
	s_delay_alu instid0(VALU_DEP_1) | instskip(NEXT) | instid1(VALU_DEP_1)
	v_min_u32_e32 v7, 32, v4
	v_subrev_nc_u32_e32 v4, 28, v7
	v_sub_nc_u32_e32 v7, 29, v7
	s_delay_alu instid0(VALU_DEP_2) | instskip(NEXT) | instid1(VALU_DEP_1)
	v_lshlrev_b64 v[4:5], v4, v[8:9]
	v_and_b32_e32 v4, 7, v4
; %bb.3223:                             ;   in Loop: Header=BB270_2089 Depth=1
	s_or_b32 exec_lo, exec_lo, s3
	v_lshlrev_b32_e32 v5, 16, v6
	s_delay_alu instid0(VALU_DEP_2) | instskip(SKIP_1) | instid1(VALU_DEP_3)
	v_lshlrev_b32_e32 v4, 20, v4
	v_lshl_add_u32 v7, v7, 23, 0x3c000000
	v_and_b32_e32 v5, 0x80000000, v5
	s_delay_alu instid0(VALU_DEP_1)
	v_or3_b32 v5, v4, v5, v7
	v_mov_b32_e32 v4, v9
	scratch_store_b64 off, v[4:5], s32 offset:1468 ; 8-byte Folded Spill
.LBB270_3224:                           ;   in Loop: Header=BB270_2089 Depth=1
	s_or_b32 exec_lo, exec_lo, s2
.LBB270_3225:                           ;   in Loop: Header=BB270_2089 Depth=1
	s_delay_alu instid0(SALU_CYCLE_1)
	s_or_b32 exec_lo, exec_lo, s1
.LBB270_3226:                           ;   in Loop: Header=BB270_2089 Depth=1
	s_delay_alu instid0(SALU_CYCLE_1) | instskip(SKIP_4) | instid1(VALU_DEP_3)
	s_or_b32 exec_lo, exec_lo, s0
	v_lshrrev_b32_e32 v7, 16, v6
	v_mov_b32_e32 v10, 0
	v_mov_b32_e32 v11, 0
	s_mov_b32 s0, exec_lo
	v_and_b32_e32 v4, 0xff, v7
	s_clause 0x1
	scratch_store_b64 off, v[10:11], s32 offset:1700
	scratch_store_b64 off, v[10:11], s32 offset:1484
	v_cmpx_ne_u16_e32 0, v4
	s_cbranch_execz .LBB270_3234
; %bb.3227:                             ;   in Loop: Header=BB270_2089 Depth=1
	v_cmp_ne_u16_e32 vcc_lo, 0x80, v4
	v_bfrev_b32_e32 v4, 1
	v_mov_b32_e32 v5, 0
	scratch_store_b64 off, v[4:5], s32 offset:1484 ; 8-byte Folded Spill
	s_and_saveexec_b32 s1, vcc_lo
	s_cbranch_execz .LBB270_3233
; %bb.3228:                             ;   in Loop: Header=BB270_2089 Depth=1
	v_mov_b32_e32 v10, 0x7f800001
	v_bfe_u32 v4, v6, 16, 7
	v_mov_b32_e32 v11, 0
	s_mov_b32 s2, exec_lo
	scratch_store_b64 off, v[10:11], s32 offset:1484 ; 8-byte Folded Spill
	v_cmpx_ne_u32_e32 0x7f, v4
	s_cbranch_execz .LBB270_3232
; %bb.3229:                             ;   in Loop: Header=BB270_2089 Depth=1
	v_and_b32_e32 v8, 7, v7
	v_lshrrev_b32_e32 v10, 3, v4
	v_cmp_gt_u32_e32 vcc_lo, 8, v4
	s_delay_alu instid0(VALU_DEP_3)
	v_dual_mov_b32 v4, v8 :: v_dual_mov_b32 v5, v9
	s_and_saveexec_b32 s3, vcc_lo
; %bb.3230:                             ;   in Loop: Header=BB270_2089 Depth=1
	v_clz_i32_u32_e32 v4, v8
	s_delay_alu instid0(VALU_DEP_1) | instskip(NEXT) | instid1(VALU_DEP_1)
	v_min_u32_e32 v10, 32, v4
	v_subrev_nc_u32_e32 v4, 28, v10
	v_sub_nc_u32_e32 v10, 29, v10
	s_delay_alu instid0(VALU_DEP_2) | instskip(NEXT) | instid1(VALU_DEP_1)
	v_lshlrev_b64 v[4:5], v4, v[8:9]
	v_and_b32_e32 v4, 7, v4
; %bb.3231:                             ;   in Loop: Header=BB270_2089 Depth=1
	s_or_b32 exec_lo, exec_lo, s3
	v_lshlrev_b32_e32 v5, 24, v7
	s_delay_alu instid0(VALU_DEP_2) | instskip(SKIP_1) | instid1(VALU_DEP_3)
	v_lshlrev_b32_e32 v4, 20, v4
	v_lshl_add_u32 v7, v10, 23, 0x3c000000
	v_and_b32_e32 v5, 0x80000000, v5
	s_delay_alu instid0(VALU_DEP_1)
	v_or3_b32 v8, v4, v5, v7
	scratch_store_b64 off, v[8:9], s32 offset:1484 ; 8-byte Folded Spill
.LBB270_3232:                           ;   in Loop: Header=BB270_2089 Depth=1
	s_or_b32 exec_lo, exec_lo, s2
.LBB270_3233:                           ;   in Loop: Header=BB270_2089 Depth=1
	s_delay_alu instid0(SALU_CYCLE_1)
	s_or_b32 exec_lo, exec_lo, s1
.LBB270_3234:                           ;   in Loop: Header=BB270_2089 Depth=1
	s_delay_alu instid0(SALU_CYCLE_1) | instskip(NEXT) | instid1(SALU_CYCLE_1)
	s_or_b32 exec_lo, exec_lo, s0
	s_mov_b32 s0, exec_lo
	v_cmpx_lt_u32_e32 0xffffff, v6
	s_cbranch_execz .LBB270_3242
; %bb.3235:                             ;   in Loop: Header=BB270_2089 Depth=1
	v_lshrrev_b32_e32 v7, 24, v6
	v_dual_mov_b32 v4, s10 :: v_dual_mov_b32 v5, s11
	s_mov_b32 s1, exec_lo
	scratch_store_b64 off, v[4:5], s32 offset:1700 ; 8-byte Folded Spill
	v_cmpx_ne_u32_e32 0x80, v7
	s_cbranch_execz .LBB270_3241
; %bb.3236:                             ;   in Loop: Header=BB270_2089 Depth=1
	s_mov_b32 s12, s10
	v_bfe_u32 v4, v6, 24, 7
	v_dual_mov_b32 v5, s12 :: v_dual_mov_b32 v6, s13
	s_mov_b32 s2, exec_lo
	s_delay_alu instid0(VALU_DEP_2)
	v_cmpx_ne_u32_e32 0x7f, v4
	s_cbranch_execz .LBB270_3240
; %bb.3237:                             ;   in Loop: Header=BB270_2089 Depth=1
	v_and_b32_e32 v8, 7, v7
	v_lshrrev_b32_e32 v6, 3, v4
	v_cmp_gt_u32_e32 vcc_lo, 8, v4
	s_delay_alu instid0(VALU_DEP_3)
	v_dual_mov_b32 v4, v8 :: v_dual_mov_b32 v5, v9
	s_and_saveexec_b32 s3, vcc_lo
; %bb.3238:                             ;   in Loop: Header=BB270_2089 Depth=1
	v_clz_i32_u32_e32 v4, v8
	s_delay_alu instid0(VALU_DEP_1) | instskip(NEXT) | instid1(VALU_DEP_1)
	v_min_u32_e32 v6, 32, v4
	v_subrev_nc_u32_e32 v4, 28, v6
	v_sub_nc_u32_e32 v6, 29, v6
	s_delay_alu instid0(VALU_DEP_2) | instskip(NEXT) | instid1(VALU_DEP_1)
	v_lshlrev_b64 v[4:5], v4, v[8:9]
	v_and_b32_e32 v4, 7, v4
; %bb.3239:                             ;   in Loop: Header=BB270_2089 Depth=1
	s_or_b32 exec_lo, exec_lo, s3
	v_lshlrev_b32_e32 v5, 24, v7
	s_delay_alu instid0(VALU_DEP_2) | instskip(SKIP_1) | instid1(VALU_DEP_3)
	v_lshlrev_b32_e32 v4, 20, v4
	v_lshl_add_u32 v6, v6, 23, 0x3c000000
	v_and_b32_e32 v5, 0x80000000, v5
	s_delay_alu instid0(VALU_DEP_1)
	v_or3_b32 v6, v4, v5, v6
	v_mov_b32_e32 v5, v9
.LBB270_3240:                           ;   in Loop: Header=BB270_2089 Depth=1
	s_or_b32 exec_lo, exec_lo, s2
	scratch_store_b64 off, v[5:6], s32 offset:1700 ; 8-byte Folded Spill
.LBB270_3241:                           ;   in Loop: Header=BB270_2089 Depth=1
	s_or_b32 exec_lo, exec_lo, s1
.LBB270_3242:                           ;   in Loop: Header=BB270_2089 Depth=1
	s_delay_alu instid0(SALU_CYCLE_1)
	s_or_b32 exec_lo, exec_lo, s0
	scratch_load_b32 v4, off, s32 offset:2500 ; 4-byte Folded Reload
	s_mov_b32 s0, exec_lo
	s_waitcnt vmcnt(0)
	v_add_co_u32 v4, vcc_lo, v21, v4
	v_add_co_ci_u32_e32 v5, vcc_lo, 0, v22, vcc_lo
	flat_load_b32 v6, v[4:5]
	v_mov_b32_e32 v7, 0
	v_mov_b32_e32 v8, 0
	s_clause 0x1
	scratch_store_b64 off, v[7:8], s32 offset:1492
	scratch_store_b64 off, v[7:8], s32 offset:1500
	s_waitcnt vmcnt(0) lgkmcnt(0)
	v_and_b32_e32 v4, 0xff, v6
	s_delay_alu instid0(VALU_DEP_1)
	v_cmpx_ne_u16_e32 0, v4
	s_cbranch_execz .LBB270_3250
; %bb.3243:                             ;   in Loop: Header=BB270_2089 Depth=1
	v_cmp_ne_u16_e32 vcc_lo, 0x80, v4
	v_bfrev_b32_e32 v4, 1
	v_mov_b32_e32 v5, 0
	scratch_store_b64 off, v[4:5], s32 offset:1500 ; 8-byte Folded Spill
	s_and_saveexec_b32 s1, vcc_lo
	s_cbranch_execz .LBB270_3249
; %bb.3244:                             ;   in Loop: Header=BB270_2089 Depth=1
	v_mov_b32_e32 v7, 0x7f800001
	v_and_b32_e32 v4, 0x7f, v6
	v_mov_b32_e32 v8, 0
	s_mov_b32 s2, exec_lo
	scratch_store_b64 off, v[7:8], s32 offset:1500 ; 8-byte Folded Spill
	v_cmpx_ne_u32_e32 0x7f, v4
	s_cbranch_execz .LBB270_3248
; %bb.3245:                             ;   in Loop: Header=BB270_2089 Depth=1
	v_and_b32_e32 v8, 7, v6
	v_lshrrev_b32_e32 v7, 3, v4
	v_cmp_gt_u32_e32 vcc_lo, 8, v4
	s_delay_alu instid0(VALU_DEP_3)
	v_dual_mov_b32 v4, v8 :: v_dual_mov_b32 v5, v9
	s_and_saveexec_b32 s3, vcc_lo
; %bb.3246:                             ;   in Loop: Header=BB270_2089 Depth=1
	v_clz_i32_u32_e32 v4, v8
	s_delay_alu instid0(VALU_DEP_1) | instskip(NEXT) | instid1(VALU_DEP_1)
	v_min_u32_e32 v7, 32, v4
	v_subrev_nc_u32_e32 v4, 28, v7
	v_sub_nc_u32_e32 v7, 29, v7
	s_delay_alu instid0(VALU_DEP_2) | instskip(NEXT) | instid1(VALU_DEP_1)
	v_lshlrev_b64 v[4:5], v4, v[8:9]
	v_and_b32_e32 v4, 7, v4
; %bb.3247:                             ;   in Loop: Header=BB270_2089 Depth=1
	s_or_b32 exec_lo, exec_lo, s3
	v_lshlrev_b32_e32 v5, 24, v6
	s_delay_alu instid0(VALU_DEP_2) | instskip(SKIP_1) | instid1(VALU_DEP_3)
	v_lshlrev_b32_e32 v4, 20, v4
	v_lshl_add_u32 v7, v7, 23, 0x3c000000
	v_and_b32_e32 v5, 0x80000000, v5
	s_delay_alu instid0(VALU_DEP_1)
	v_or3_b32 v8, v4, v5, v7
	scratch_store_b64 off, v[8:9], s32 offset:1500 ; 8-byte Folded Spill
.LBB270_3248:                           ;   in Loop: Header=BB270_2089 Depth=1
	s_or_b32 exec_lo, exec_lo, s2
.LBB270_3249:                           ;   in Loop: Header=BB270_2089 Depth=1
	s_delay_alu instid0(SALU_CYCLE_1)
	s_or_b32 exec_lo, exec_lo, s1
.LBB270_3250:                           ;   in Loop: Header=BB270_2089 Depth=1
	s_delay_alu instid0(SALU_CYCLE_1) | instskip(SKIP_2) | instid1(VALU_DEP_1)
	s_or_b32 exec_lo, exec_lo, s0
	v_lshrrev_b16 v4, 8, v6
	s_mov_b32 s0, exec_lo
	v_cmpx_ne_u16_e32 0, v4
	s_cbranch_execz .LBB270_3258
; %bb.3251:                             ;   in Loop: Header=BB270_2089 Depth=1
	v_dual_mov_b32 v7, s10 :: v_dual_mov_b32 v8, s11
	s_mov_b32 s1, exec_lo
	scratch_store_b64 off, v[7:8], s32 offset:1492 ; 8-byte Folded Spill
	v_cmpx_ne_u16_e32 0x80, v4
	s_cbranch_execz .LBB270_3257
; %bb.3252:                             ;   in Loop: Header=BB270_2089 Depth=1
	s_mov_b32 s12, s10
	v_and_b32_e32 v5, 0xffff, v4
	v_dual_mov_b32 v7, s12 :: v_dual_mov_b32 v8, s13
	s_mov_b32 s2, exec_lo
	s_delay_alu instid0(VALU_DEP_2)
	v_and_b32_e32 v4, 0x7f, v5
	scratch_store_b64 off, v[7:8], s32 offset:1492 ; 8-byte Folded Spill
	v_cmpx_ne_u32_e32 0x7f, v4
	s_cbranch_execz .LBB270_3256
; %bb.3253:                             ;   in Loop: Header=BB270_2089 Depth=1
	v_and_b32_e32 v8, 7, v5
	v_lshrrev_b32_e32 v7, 3, v4
	v_cmp_gt_u32_e32 vcc_lo, 8, v4
	s_delay_alu instid0(VALU_DEP_3)
	v_dual_mov_b32 v4, v8 :: v_dual_mov_b32 v5, v9
	s_and_saveexec_b32 s3, vcc_lo
; %bb.3254:                             ;   in Loop: Header=BB270_2089 Depth=1
	v_clz_i32_u32_e32 v4, v8
	s_delay_alu instid0(VALU_DEP_1) | instskip(NEXT) | instid1(VALU_DEP_1)
	v_min_u32_e32 v7, 32, v4
	v_subrev_nc_u32_e32 v4, 28, v7
	v_sub_nc_u32_e32 v7, 29, v7
	s_delay_alu instid0(VALU_DEP_2) | instskip(NEXT) | instid1(VALU_DEP_1)
	v_lshlrev_b64 v[4:5], v4, v[8:9]
	v_and_b32_e32 v4, 7, v4
; %bb.3255:                             ;   in Loop: Header=BB270_2089 Depth=1
	s_or_b32 exec_lo, exec_lo, s3
	v_lshlrev_b32_e32 v5, 16, v6
	s_delay_alu instid0(VALU_DEP_2) | instskip(SKIP_1) | instid1(VALU_DEP_3)
	v_lshlrev_b32_e32 v4, 20, v4
	v_lshl_add_u32 v7, v7, 23, 0x3c000000
	v_and_b32_e32 v5, 0x80000000, v5
	s_delay_alu instid0(VALU_DEP_1)
	v_or3_b32 v5, v4, v5, v7
	v_mov_b32_e32 v4, v9
	scratch_store_b64 off, v[4:5], s32 offset:1492 ; 8-byte Folded Spill
.LBB270_3256:                           ;   in Loop: Header=BB270_2089 Depth=1
	s_or_b32 exec_lo, exec_lo, s2
.LBB270_3257:                           ;   in Loop: Header=BB270_2089 Depth=1
	s_delay_alu instid0(SALU_CYCLE_1)
	s_or_b32 exec_lo, exec_lo, s1
.LBB270_3258:                           ;   in Loop: Header=BB270_2089 Depth=1
	s_delay_alu instid0(SALU_CYCLE_1) | instskip(SKIP_4) | instid1(VALU_DEP_3)
	s_or_b32 exec_lo, exec_lo, s0
	v_lshrrev_b32_e32 v7, 16, v6
	v_mov_b32_e32 v10, 0
	v_mov_b32_e32 v11, 0
	s_mov_b32 s0, exec_lo
	v_and_b32_e32 v4, 0xff, v7
	s_clause 0x1
	scratch_store_b64 off, v[10:11], s32 offset:1708
	scratch_store_b64 off, v[10:11], s32 offset:1508
	v_cmpx_ne_u16_e32 0, v4
	s_cbranch_execz .LBB270_3266
; %bb.3259:                             ;   in Loop: Header=BB270_2089 Depth=1
	v_cmp_ne_u16_e32 vcc_lo, 0x80, v4
	v_bfrev_b32_e32 v4, 1
	v_mov_b32_e32 v5, 0
	scratch_store_b64 off, v[4:5], s32 offset:1508 ; 8-byte Folded Spill
	s_and_saveexec_b32 s1, vcc_lo
	s_cbranch_execz .LBB270_3265
; %bb.3260:                             ;   in Loop: Header=BB270_2089 Depth=1
	v_mov_b32_e32 v10, 0x7f800001
	v_bfe_u32 v4, v6, 16, 7
	v_mov_b32_e32 v11, 0
	s_mov_b32 s2, exec_lo
	scratch_store_b64 off, v[10:11], s32 offset:1508 ; 8-byte Folded Spill
	v_cmpx_ne_u32_e32 0x7f, v4
	s_cbranch_execz .LBB270_3264
; %bb.3261:                             ;   in Loop: Header=BB270_2089 Depth=1
	v_and_b32_e32 v8, 7, v7
	v_lshrrev_b32_e32 v10, 3, v4
	v_cmp_gt_u32_e32 vcc_lo, 8, v4
	s_delay_alu instid0(VALU_DEP_3)
	v_dual_mov_b32 v4, v8 :: v_dual_mov_b32 v5, v9
	s_and_saveexec_b32 s3, vcc_lo
; %bb.3262:                             ;   in Loop: Header=BB270_2089 Depth=1
	v_clz_i32_u32_e32 v4, v8
	s_delay_alu instid0(VALU_DEP_1) | instskip(NEXT) | instid1(VALU_DEP_1)
	v_min_u32_e32 v10, 32, v4
	v_subrev_nc_u32_e32 v4, 28, v10
	v_sub_nc_u32_e32 v10, 29, v10
	s_delay_alu instid0(VALU_DEP_2) | instskip(NEXT) | instid1(VALU_DEP_1)
	v_lshlrev_b64 v[4:5], v4, v[8:9]
	v_and_b32_e32 v4, 7, v4
; %bb.3263:                             ;   in Loop: Header=BB270_2089 Depth=1
	s_or_b32 exec_lo, exec_lo, s3
	v_lshlrev_b32_e32 v5, 24, v7
	s_delay_alu instid0(VALU_DEP_2) | instskip(SKIP_1) | instid1(VALU_DEP_3)
	v_lshlrev_b32_e32 v4, 20, v4
	v_lshl_add_u32 v7, v10, 23, 0x3c000000
	v_and_b32_e32 v5, 0x80000000, v5
	s_delay_alu instid0(VALU_DEP_1)
	v_or3_b32 v8, v4, v5, v7
	scratch_store_b64 off, v[8:9], s32 offset:1508 ; 8-byte Folded Spill
.LBB270_3264:                           ;   in Loop: Header=BB270_2089 Depth=1
	s_or_b32 exec_lo, exec_lo, s2
.LBB270_3265:                           ;   in Loop: Header=BB270_2089 Depth=1
	s_delay_alu instid0(SALU_CYCLE_1)
	s_or_b32 exec_lo, exec_lo, s1
.LBB270_3266:                           ;   in Loop: Header=BB270_2089 Depth=1
	s_delay_alu instid0(SALU_CYCLE_1) | instskip(NEXT) | instid1(SALU_CYCLE_1)
	s_or_b32 exec_lo, exec_lo, s0
	s_mov_b32 s0, exec_lo
	v_cmpx_lt_u32_e32 0xffffff, v6
	s_cbranch_execz .LBB270_3274
; %bb.3267:                             ;   in Loop: Header=BB270_2089 Depth=1
	v_lshrrev_b32_e32 v7, 24, v6
	v_dual_mov_b32 v4, s10 :: v_dual_mov_b32 v5, s11
	s_mov_b32 s1, exec_lo
	scratch_store_b64 off, v[4:5], s32 offset:1708 ; 8-byte Folded Spill
	v_cmpx_ne_u32_e32 0x80, v7
	s_cbranch_execz .LBB270_3273
; %bb.3268:                             ;   in Loop: Header=BB270_2089 Depth=1
	s_mov_b32 s12, s10
	v_bfe_u32 v4, v6, 24, 7
	v_dual_mov_b32 v5, s12 :: v_dual_mov_b32 v6, s13
	s_mov_b32 s2, exec_lo
	s_delay_alu instid0(VALU_DEP_2)
	v_cmpx_ne_u32_e32 0x7f, v4
	s_cbranch_execz .LBB270_3272
; %bb.3269:                             ;   in Loop: Header=BB270_2089 Depth=1
	v_and_b32_e32 v8, 7, v7
	v_lshrrev_b32_e32 v6, 3, v4
	v_cmp_gt_u32_e32 vcc_lo, 8, v4
	s_delay_alu instid0(VALU_DEP_3)
	v_dual_mov_b32 v4, v8 :: v_dual_mov_b32 v5, v9
	s_and_saveexec_b32 s3, vcc_lo
; %bb.3270:                             ;   in Loop: Header=BB270_2089 Depth=1
	v_clz_i32_u32_e32 v4, v8
	s_delay_alu instid0(VALU_DEP_1) | instskip(NEXT) | instid1(VALU_DEP_1)
	v_min_u32_e32 v6, 32, v4
	v_subrev_nc_u32_e32 v4, 28, v6
	v_sub_nc_u32_e32 v6, 29, v6
	s_delay_alu instid0(VALU_DEP_2) | instskip(NEXT) | instid1(VALU_DEP_1)
	v_lshlrev_b64 v[4:5], v4, v[8:9]
	v_and_b32_e32 v4, 7, v4
; %bb.3271:                             ;   in Loop: Header=BB270_2089 Depth=1
	s_or_b32 exec_lo, exec_lo, s3
	v_lshlrev_b32_e32 v5, 24, v7
	s_delay_alu instid0(VALU_DEP_2) | instskip(SKIP_1) | instid1(VALU_DEP_3)
	v_lshlrev_b32_e32 v4, 20, v4
	v_lshl_add_u32 v6, v6, 23, 0x3c000000
	v_and_b32_e32 v5, 0x80000000, v5
	s_delay_alu instid0(VALU_DEP_1)
	v_or3_b32 v6, v4, v5, v6
	v_mov_b32_e32 v5, v9
.LBB270_3272:                           ;   in Loop: Header=BB270_2089 Depth=1
	s_or_b32 exec_lo, exec_lo, s2
	scratch_store_b64 off, v[5:6], s32 offset:1708 ; 8-byte Folded Spill
.LBB270_3273:                           ;   in Loop: Header=BB270_2089 Depth=1
	s_or_b32 exec_lo, exec_lo, s1
.LBB270_3274:                           ;   in Loop: Header=BB270_2089 Depth=1
	s_delay_alu instid0(SALU_CYCLE_1)
	s_or_b32 exec_lo, exec_lo, s0
	scratch_load_b32 v4, off, s32 offset:2516 ; 4-byte Folded Reload
	s_mov_b32 s0, exec_lo
	s_waitcnt vmcnt(0)
	v_add_co_u32 v4, vcc_lo, v21, v4
	v_add_co_ci_u32_e32 v5, vcc_lo, 0, v22, vcc_lo
	flat_load_b32 v6, v[4:5]
	v_mov_b32_e32 v7, 0
	v_mov_b32_e32 v8, 0
	s_clause 0x1
	scratch_store_b64 off, v[7:8], s32 offset:1516
	scratch_store_b64 off, v[7:8], s32 offset:1524
	s_waitcnt vmcnt(0) lgkmcnt(0)
	v_and_b32_e32 v4, 0xff, v6
	s_delay_alu instid0(VALU_DEP_1)
	v_cmpx_ne_u16_e32 0, v4
	s_cbranch_execz .LBB270_3282
; %bb.3275:                             ;   in Loop: Header=BB270_2089 Depth=1
	v_cmp_ne_u16_e32 vcc_lo, 0x80, v4
	v_bfrev_b32_e32 v4, 1
	v_mov_b32_e32 v5, 0
	scratch_store_b64 off, v[4:5], s32 offset:1524 ; 8-byte Folded Spill
	s_and_saveexec_b32 s1, vcc_lo
	s_cbranch_execz .LBB270_3281
; %bb.3276:                             ;   in Loop: Header=BB270_2089 Depth=1
	v_mov_b32_e32 v7, 0x7f800001
	v_and_b32_e32 v4, 0x7f, v6
	v_mov_b32_e32 v8, 0
	s_mov_b32 s2, exec_lo
	scratch_store_b64 off, v[7:8], s32 offset:1524 ; 8-byte Folded Spill
	v_cmpx_ne_u32_e32 0x7f, v4
	s_cbranch_execz .LBB270_3280
; %bb.3277:                             ;   in Loop: Header=BB270_2089 Depth=1
	v_and_b32_e32 v8, 7, v6
	v_lshrrev_b32_e32 v7, 3, v4
	v_cmp_gt_u32_e32 vcc_lo, 8, v4
	s_delay_alu instid0(VALU_DEP_3)
	v_dual_mov_b32 v4, v8 :: v_dual_mov_b32 v5, v9
	s_and_saveexec_b32 s3, vcc_lo
; %bb.3278:                             ;   in Loop: Header=BB270_2089 Depth=1
	v_clz_i32_u32_e32 v4, v8
	s_delay_alu instid0(VALU_DEP_1) | instskip(NEXT) | instid1(VALU_DEP_1)
	v_min_u32_e32 v7, 32, v4
	v_subrev_nc_u32_e32 v4, 28, v7
	v_sub_nc_u32_e32 v7, 29, v7
	s_delay_alu instid0(VALU_DEP_2) | instskip(NEXT) | instid1(VALU_DEP_1)
	v_lshlrev_b64 v[4:5], v4, v[8:9]
	v_and_b32_e32 v4, 7, v4
; %bb.3279:                             ;   in Loop: Header=BB270_2089 Depth=1
	s_or_b32 exec_lo, exec_lo, s3
	v_lshlrev_b32_e32 v5, 24, v6
	s_delay_alu instid0(VALU_DEP_2) | instskip(SKIP_1) | instid1(VALU_DEP_3)
	v_lshlrev_b32_e32 v4, 20, v4
	v_lshl_add_u32 v7, v7, 23, 0x3c000000
	v_and_b32_e32 v5, 0x80000000, v5
	s_delay_alu instid0(VALU_DEP_1)
	v_or3_b32 v8, v4, v5, v7
	scratch_store_b64 off, v[8:9], s32 offset:1524 ; 8-byte Folded Spill
.LBB270_3280:                           ;   in Loop: Header=BB270_2089 Depth=1
	s_or_b32 exec_lo, exec_lo, s2
.LBB270_3281:                           ;   in Loop: Header=BB270_2089 Depth=1
	s_delay_alu instid0(SALU_CYCLE_1)
	s_or_b32 exec_lo, exec_lo, s1
.LBB270_3282:                           ;   in Loop: Header=BB270_2089 Depth=1
	s_delay_alu instid0(SALU_CYCLE_1) | instskip(SKIP_2) | instid1(VALU_DEP_1)
	s_or_b32 exec_lo, exec_lo, s0
	v_lshrrev_b16 v4, 8, v6
	s_mov_b32 s0, exec_lo
	v_cmpx_ne_u16_e32 0, v4
	s_cbranch_execz .LBB270_3290
; %bb.3283:                             ;   in Loop: Header=BB270_2089 Depth=1
	v_dual_mov_b32 v7, s10 :: v_dual_mov_b32 v8, s11
	s_mov_b32 s1, exec_lo
	scratch_store_b64 off, v[7:8], s32 offset:1516 ; 8-byte Folded Spill
	v_cmpx_ne_u16_e32 0x80, v4
	s_cbranch_execz .LBB270_3289
; %bb.3284:                             ;   in Loop: Header=BB270_2089 Depth=1
	s_mov_b32 s12, s10
	v_and_b32_e32 v5, 0xffff, v4
	v_dual_mov_b32 v7, s12 :: v_dual_mov_b32 v8, s13
	s_mov_b32 s2, exec_lo
	s_delay_alu instid0(VALU_DEP_2)
	v_and_b32_e32 v4, 0x7f, v5
	scratch_store_b64 off, v[7:8], s32 offset:1516 ; 8-byte Folded Spill
	v_cmpx_ne_u32_e32 0x7f, v4
	s_cbranch_execz .LBB270_3288
; %bb.3285:                             ;   in Loop: Header=BB270_2089 Depth=1
	v_and_b32_e32 v8, 7, v5
	v_lshrrev_b32_e32 v7, 3, v4
	v_cmp_gt_u32_e32 vcc_lo, 8, v4
	s_delay_alu instid0(VALU_DEP_3)
	v_dual_mov_b32 v4, v8 :: v_dual_mov_b32 v5, v9
	s_and_saveexec_b32 s3, vcc_lo
; %bb.3286:                             ;   in Loop: Header=BB270_2089 Depth=1
	v_clz_i32_u32_e32 v4, v8
	s_delay_alu instid0(VALU_DEP_1) | instskip(NEXT) | instid1(VALU_DEP_1)
	v_min_u32_e32 v7, 32, v4
	v_subrev_nc_u32_e32 v4, 28, v7
	v_sub_nc_u32_e32 v7, 29, v7
	s_delay_alu instid0(VALU_DEP_2) | instskip(NEXT) | instid1(VALU_DEP_1)
	v_lshlrev_b64 v[4:5], v4, v[8:9]
	v_and_b32_e32 v4, 7, v4
; %bb.3287:                             ;   in Loop: Header=BB270_2089 Depth=1
	s_or_b32 exec_lo, exec_lo, s3
	v_lshlrev_b32_e32 v5, 16, v6
	s_delay_alu instid0(VALU_DEP_2) | instskip(SKIP_1) | instid1(VALU_DEP_3)
	v_lshlrev_b32_e32 v4, 20, v4
	v_lshl_add_u32 v7, v7, 23, 0x3c000000
	v_and_b32_e32 v5, 0x80000000, v5
	s_delay_alu instid0(VALU_DEP_1)
	v_or3_b32 v5, v4, v5, v7
	v_mov_b32_e32 v4, v9
	scratch_store_b64 off, v[4:5], s32 offset:1516 ; 8-byte Folded Spill
.LBB270_3288:                           ;   in Loop: Header=BB270_2089 Depth=1
	s_or_b32 exec_lo, exec_lo, s2
.LBB270_3289:                           ;   in Loop: Header=BB270_2089 Depth=1
	s_delay_alu instid0(SALU_CYCLE_1)
	s_or_b32 exec_lo, exec_lo, s1
.LBB270_3290:                           ;   in Loop: Header=BB270_2089 Depth=1
	s_delay_alu instid0(SALU_CYCLE_1) | instskip(SKIP_4) | instid1(VALU_DEP_3)
	s_or_b32 exec_lo, exec_lo, s0
	v_lshrrev_b32_e32 v7, 16, v6
	v_mov_b32_e32 v10, 0
	v_mov_b32_e32 v11, 0
	s_mov_b32 s0, exec_lo
	v_and_b32_e32 v4, 0xff, v7
	s_clause 0x1
	scratch_store_b64 off, v[10:11], s32 offset:1716
	scratch_store_b64 off, v[10:11], s32 offset:1532
	v_cmpx_ne_u16_e32 0, v4
	s_cbranch_execz .LBB270_3298
; %bb.3291:                             ;   in Loop: Header=BB270_2089 Depth=1
	v_cmp_ne_u16_e32 vcc_lo, 0x80, v4
	v_bfrev_b32_e32 v4, 1
	v_mov_b32_e32 v5, 0
	scratch_store_b64 off, v[4:5], s32 offset:1532 ; 8-byte Folded Spill
	s_and_saveexec_b32 s1, vcc_lo
	s_cbranch_execz .LBB270_3297
; %bb.3292:                             ;   in Loop: Header=BB270_2089 Depth=1
	v_mov_b32_e32 v10, 0x7f800001
	v_bfe_u32 v4, v6, 16, 7
	v_mov_b32_e32 v11, 0
	s_mov_b32 s2, exec_lo
	scratch_store_b64 off, v[10:11], s32 offset:1532 ; 8-byte Folded Spill
	v_cmpx_ne_u32_e32 0x7f, v4
	s_cbranch_execz .LBB270_3296
; %bb.3293:                             ;   in Loop: Header=BB270_2089 Depth=1
	v_and_b32_e32 v8, 7, v7
	v_lshrrev_b32_e32 v10, 3, v4
	v_cmp_gt_u32_e32 vcc_lo, 8, v4
	s_delay_alu instid0(VALU_DEP_3)
	v_dual_mov_b32 v4, v8 :: v_dual_mov_b32 v5, v9
	s_and_saveexec_b32 s3, vcc_lo
; %bb.3294:                             ;   in Loop: Header=BB270_2089 Depth=1
	v_clz_i32_u32_e32 v4, v8
	s_delay_alu instid0(VALU_DEP_1) | instskip(NEXT) | instid1(VALU_DEP_1)
	v_min_u32_e32 v10, 32, v4
	v_subrev_nc_u32_e32 v4, 28, v10
	v_sub_nc_u32_e32 v10, 29, v10
	s_delay_alu instid0(VALU_DEP_2) | instskip(NEXT) | instid1(VALU_DEP_1)
	v_lshlrev_b64 v[4:5], v4, v[8:9]
	v_and_b32_e32 v4, 7, v4
; %bb.3295:                             ;   in Loop: Header=BB270_2089 Depth=1
	s_or_b32 exec_lo, exec_lo, s3
	v_lshlrev_b32_e32 v5, 24, v7
	s_delay_alu instid0(VALU_DEP_2) | instskip(SKIP_1) | instid1(VALU_DEP_3)
	v_lshlrev_b32_e32 v4, 20, v4
	v_lshl_add_u32 v7, v10, 23, 0x3c000000
	v_and_b32_e32 v5, 0x80000000, v5
	s_delay_alu instid0(VALU_DEP_1)
	v_or3_b32 v8, v4, v5, v7
	scratch_store_b64 off, v[8:9], s32 offset:1532 ; 8-byte Folded Spill
.LBB270_3296:                           ;   in Loop: Header=BB270_2089 Depth=1
	s_or_b32 exec_lo, exec_lo, s2
.LBB270_3297:                           ;   in Loop: Header=BB270_2089 Depth=1
	s_delay_alu instid0(SALU_CYCLE_1)
	s_or_b32 exec_lo, exec_lo, s1
.LBB270_3298:                           ;   in Loop: Header=BB270_2089 Depth=1
	s_delay_alu instid0(SALU_CYCLE_1) | instskip(NEXT) | instid1(SALU_CYCLE_1)
	s_or_b32 exec_lo, exec_lo, s0
	s_mov_b32 s0, exec_lo
	v_cmpx_lt_u32_e32 0xffffff, v6
	s_cbranch_execz .LBB270_3306
; %bb.3299:                             ;   in Loop: Header=BB270_2089 Depth=1
	v_lshrrev_b32_e32 v7, 24, v6
	v_dual_mov_b32 v4, s10 :: v_dual_mov_b32 v5, s11
	s_mov_b32 s1, exec_lo
	scratch_store_b64 off, v[4:5], s32 offset:1716 ; 8-byte Folded Spill
	v_cmpx_ne_u32_e32 0x80, v7
	s_cbranch_execz .LBB270_3305
; %bb.3300:                             ;   in Loop: Header=BB270_2089 Depth=1
	s_mov_b32 s12, s10
	v_bfe_u32 v4, v6, 24, 7
	v_dual_mov_b32 v5, s12 :: v_dual_mov_b32 v6, s13
	s_mov_b32 s2, exec_lo
	s_delay_alu instid0(VALU_DEP_2)
	v_cmpx_ne_u32_e32 0x7f, v4
	s_cbranch_execz .LBB270_3304
; %bb.3301:                             ;   in Loop: Header=BB270_2089 Depth=1
	v_and_b32_e32 v8, 7, v7
	v_lshrrev_b32_e32 v6, 3, v4
	v_cmp_gt_u32_e32 vcc_lo, 8, v4
	s_delay_alu instid0(VALU_DEP_3)
	v_dual_mov_b32 v4, v8 :: v_dual_mov_b32 v5, v9
	s_and_saveexec_b32 s3, vcc_lo
; %bb.3302:                             ;   in Loop: Header=BB270_2089 Depth=1
	v_clz_i32_u32_e32 v4, v8
	s_delay_alu instid0(VALU_DEP_1) | instskip(NEXT) | instid1(VALU_DEP_1)
	v_min_u32_e32 v6, 32, v4
	v_subrev_nc_u32_e32 v4, 28, v6
	v_sub_nc_u32_e32 v6, 29, v6
	s_delay_alu instid0(VALU_DEP_2) | instskip(NEXT) | instid1(VALU_DEP_1)
	v_lshlrev_b64 v[4:5], v4, v[8:9]
	v_and_b32_e32 v4, 7, v4
; %bb.3303:                             ;   in Loop: Header=BB270_2089 Depth=1
	s_or_b32 exec_lo, exec_lo, s3
	v_lshlrev_b32_e32 v5, 24, v7
	s_delay_alu instid0(VALU_DEP_2) | instskip(SKIP_1) | instid1(VALU_DEP_3)
	v_lshlrev_b32_e32 v4, 20, v4
	v_lshl_add_u32 v6, v6, 23, 0x3c000000
	v_and_b32_e32 v5, 0x80000000, v5
	s_delay_alu instid0(VALU_DEP_1)
	v_or3_b32 v6, v4, v5, v6
	v_mov_b32_e32 v5, v9
.LBB270_3304:                           ;   in Loop: Header=BB270_2089 Depth=1
	s_or_b32 exec_lo, exec_lo, s2
	scratch_store_b64 off, v[5:6], s32 offset:1716 ; 8-byte Folded Spill
.LBB270_3305:                           ;   in Loop: Header=BB270_2089 Depth=1
	s_or_b32 exec_lo, exec_lo, s1
.LBB270_3306:                           ;   in Loop: Header=BB270_2089 Depth=1
	s_delay_alu instid0(SALU_CYCLE_1)
	s_or_b32 exec_lo, exec_lo, s0
	scratch_load_b32 v4, off, s32 offset:2532 ; 4-byte Folded Reload
	s_mov_b32 s0, exec_lo
	s_waitcnt vmcnt(0)
	v_add_co_u32 v4, vcc_lo, v21, v4
	v_add_co_ci_u32_e32 v5, vcc_lo, 0, v22, vcc_lo
	flat_load_b32 v6, v[4:5]
	v_mov_b32_e32 v7, 0
	v_mov_b32_e32 v8, 0
	s_clause 0x1
	scratch_store_b64 off, v[7:8], s32 offset:1540
	scratch_store_b64 off, v[7:8], s32 offset:1548
	s_waitcnt vmcnt(0) lgkmcnt(0)
	v_and_b32_e32 v4, 0xff, v6
	s_delay_alu instid0(VALU_DEP_1)
	v_cmpx_ne_u16_e32 0, v4
	s_cbranch_execz .LBB270_3314
; %bb.3307:                             ;   in Loop: Header=BB270_2089 Depth=1
	v_cmp_ne_u16_e32 vcc_lo, 0x80, v4
	v_bfrev_b32_e32 v4, 1
	v_mov_b32_e32 v5, 0
	scratch_store_b64 off, v[4:5], s32 offset:1548 ; 8-byte Folded Spill
	s_and_saveexec_b32 s1, vcc_lo
	s_cbranch_execz .LBB270_3313
; %bb.3308:                             ;   in Loop: Header=BB270_2089 Depth=1
	v_mov_b32_e32 v7, 0x7f800001
	v_and_b32_e32 v4, 0x7f, v6
	v_mov_b32_e32 v8, 0
	s_mov_b32 s2, exec_lo
	scratch_store_b64 off, v[7:8], s32 offset:1548 ; 8-byte Folded Spill
	v_cmpx_ne_u32_e32 0x7f, v4
	s_cbranch_execz .LBB270_3312
; %bb.3309:                             ;   in Loop: Header=BB270_2089 Depth=1
	v_and_b32_e32 v8, 7, v6
	v_lshrrev_b32_e32 v7, 3, v4
	v_cmp_gt_u32_e32 vcc_lo, 8, v4
	s_delay_alu instid0(VALU_DEP_3)
	v_dual_mov_b32 v4, v8 :: v_dual_mov_b32 v5, v9
	s_and_saveexec_b32 s3, vcc_lo
; %bb.3310:                             ;   in Loop: Header=BB270_2089 Depth=1
	v_clz_i32_u32_e32 v4, v8
	s_delay_alu instid0(VALU_DEP_1) | instskip(NEXT) | instid1(VALU_DEP_1)
	v_min_u32_e32 v7, 32, v4
	v_subrev_nc_u32_e32 v4, 28, v7
	v_sub_nc_u32_e32 v7, 29, v7
	s_delay_alu instid0(VALU_DEP_2) | instskip(NEXT) | instid1(VALU_DEP_1)
	v_lshlrev_b64 v[4:5], v4, v[8:9]
	v_and_b32_e32 v4, 7, v4
; %bb.3311:                             ;   in Loop: Header=BB270_2089 Depth=1
	s_or_b32 exec_lo, exec_lo, s3
	v_lshlrev_b32_e32 v5, 24, v6
	s_delay_alu instid0(VALU_DEP_2) | instskip(SKIP_1) | instid1(VALU_DEP_3)
	v_lshlrev_b32_e32 v4, 20, v4
	v_lshl_add_u32 v7, v7, 23, 0x3c000000
	v_and_b32_e32 v5, 0x80000000, v5
	s_delay_alu instid0(VALU_DEP_1)
	v_or3_b32 v8, v4, v5, v7
	scratch_store_b64 off, v[8:9], s32 offset:1548 ; 8-byte Folded Spill
.LBB270_3312:                           ;   in Loop: Header=BB270_2089 Depth=1
	s_or_b32 exec_lo, exec_lo, s2
.LBB270_3313:                           ;   in Loop: Header=BB270_2089 Depth=1
	s_delay_alu instid0(SALU_CYCLE_1)
	s_or_b32 exec_lo, exec_lo, s1
.LBB270_3314:                           ;   in Loop: Header=BB270_2089 Depth=1
	s_delay_alu instid0(SALU_CYCLE_1) | instskip(SKIP_2) | instid1(VALU_DEP_1)
	s_or_b32 exec_lo, exec_lo, s0
	v_lshrrev_b16 v4, 8, v6
	s_mov_b32 s0, exec_lo
	v_cmpx_ne_u16_e32 0, v4
	s_cbranch_execz .LBB270_3322
; %bb.3315:                             ;   in Loop: Header=BB270_2089 Depth=1
	v_dual_mov_b32 v7, s10 :: v_dual_mov_b32 v8, s11
	s_mov_b32 s1, exec_lo
	scratch_store_b64 off, v[7:8], s32 offset:1540 ; 8-byte Folded Spill
	v_cmpx_ne_u16_e32 0x80, v4
	s_cbranch_execz .LBB270_3321
; %bb.3316:                             ;   in Loop: Header=BB270_2089 Depth=1
	s_mov_b32 s12, s10
	v_and_b32_e32 v5, 0xffff, v4
	v_dual_mov_b32 v7, s12 :: v_dual_mov_b32 v8, s13
	s_mov_b32 s2, exec_lo
	s_delay_alu instid0(VALU_DEP_2)
	v_and_b32_e32 v4, 0x7f, v5
	scratch_store_b64 off, v[7:8], s32 offset:1540 ; 8-byte Folded Spill
	v_cmpx_ne_u32_e32 0x7f, v4
	s_cbranch_execz .LBB270_3320
; %bb.3317:                             ;   in Loop: Header=BB270_2089 Depth=1
	v_and_b32_e32 v8, 7, v5
	v_lshrrev_b32_e32 v7, 3, v4
	v_cmp_gt_u32_e32 vcc_lo, 8, v4
	s_delay_alu instid0(VALU_DEP_3)
	v_dual_mov_b32 v4, v8 :: v_dual_mov_b32 v5, v9
	s_and_saveexec_b32 s3, vcc_lo
; %bb.3318:                             ;   in Loop: Header=BB270_2089 Depth=1
	v_clz_i32_u32_e32 v4, v8
	s_delay_alu instid0(VALU_DEP_1) | instskip(NEXT) | instid1(VALU_DEP_1)
	v_min_u32_e32 v7, 32, v4
	v_subrev_nc_u32_e32 v4, 28, v7
	v_sub_nc_u32_e32 v7, 29, v7
	s_delay_alu instid0(VALU_DEP_2) | instskip(NEXT) | instid1(VALU_DEP_1)
	v_lshlrev_b64 v[4:5], v4, v[8:9]
	v_and_b32_e32 v4, 7, v4
; %bb.3319:                             ;   in Loop: Header=BB270_2089 Depth=1
	s_or_b32 exec_lo, exec_lo, s3
	v_lshlrev_b32_e32 v5, 16, v6
	s_delay_alu instid0(VALU_DEP_2) | instskip(SKIP_1) | instid1(VALU_DEP_3)
	v_lshlrev_b32_e32 v4, 20, v4
	v_lshl_add_u32 v7, v7, 23, 0x3c000000
	v_and_b32_e32 v5, 0x80000000, v5
	s_delay_alu instid0(VALU_DEP_1)
	v_or3_b32 v5, v4, v5, v7
	v_mov_b32_e32 v4, v9
	scratch_store_b64 off, v[4:5], s32 offset:1540 ; 8-byte Folded Spill
.LBB270_3320:                           ;   in Loop: Header=BB270_2089 Depth=1
	s_or_b32 exec_lo, exec_lo, s2
.LBB270_3321:                           ;   in Loop: Header=BB270_2089 Depth=1
	s_delay_alu instid0(SALU_CYCLE_1)
	s_or_b32 exec_lo, exec_lo, s1
.LBB270_3322:                           ;   in Loop: Header=BB270_2089 Depth=1
	s_delay_alu instid0(SALU_CYCLE_1) | instskip(SKIP_4) | instid1(VALU_DEP_3)
	s_or_b32 exec_lo, exec_lo, s0
	v_lshrrev_b32_e32 v7, 16, v6
	v_mov_b32_e32 v180, 0
	v_mov_b32_e32 v181, 0
	s_mov_b32 s0, exec_lo
	v_and_b32_e32 v4, 0xff, v7
	scratch_store_b64 off, v[180:181], s32 offset:1556 ; 8-byte Folded Spill
	v_cmpx_ne_u16_e32 0, v4
	s_cbranch_execz .LBB270_3330
; %bb.3323:                             ;   in Loop: Header=BB270_2089 Depth=1
	v_cmp_ne_u16_e32 vcc_lo, 0x80, v4
	v_bfrev_b32_e32 v4, 1
	v_mov_b32_e32 v5, 0
	scratch_store_b64 off, v[4:5], s32 offset:1556 ; 8-byte Folded Spill
	s_and_saveexec_b32 s1, vcc_lo
	s_cbranch_execz .LBB270_3329
; %bb.3324:                             ;   in Loop: Header=BB270_2089 Depth=1
	v_mov_b32_e32 v10, 0x7f800001
	v_bfe_u32 v4, v6, 16, 7
	v_mov_b32_e32 v11, 0
	s_mov_b32 s2, exec_lo
	scratch_store_b64 off, v[10:11], s32 offset:1556 ; 8-byte Folded Spill
	v_cmpx_ne_u32_e32 0x7f, v4
	s_cbranch_execz .LBB270_3328
; %bb.3325:                             ;   in Loop: Header=BB270_2089 Depth=1
	v_and_b32_e32 v8, 7, v7
	v_lshrrev_b32_e32 v10, 3, v4
	v_cmp_gt_u32_e32 vcc_lo, 8, v4
	s_delay_alu instid0(VALU_DEP_3)
	v_dual_mov_b32 v4, v8 :: v_dual_mov_b32 v5, v9
	s_and_saveexec_b32 s3, vcc_lo
; %bb.3326:                             ;   in Loop: Header=BB270_2089 Depth=1
	v_clz_i32_u32_e32 v4, v8
	s_delay_alu instid0(VALU_DEP_1) | instskip(NEXT) | instid1(VALU_DEP_1)
	v_min_u32_e32 v10, 32, v4
	v_subrev_nc_u32_e32 v4, 28, v10
	v_sub_nc_u32_e32 v10, 29, v10
	s_delay_alu instid0(VALU_DEP_2) | instskip(NEXT) | instid1(VALU_DEP_1)
	v_lshlrev_b64 v[4:5], v4, v[8:9]
	v_and_b32_e32 v4, 7, v4
; %bb.3327:                             ;   in Loop: Header=BB270_2089 Depth=1
	s_or_b32 exec_lo, exec_lo, s3
	v_lshlrev_b32_e32 v5, 24, v7
	s_delay_alu instid0(VALU_DEP_2) | instskip(SKIP_1) | instid1(VALU_DEP_3)
	v_lshlrev_b32_e32 v4, 20, v4
	v_lshl_add_u32 v7, v10, 23, 0x3c000000
	v_and_b32_e32 v5, 0x80000000, v5
	s_delay_alu instid0(VALU_DEP_1)
	v_or3_b32 v8, v4, v5, v7
	scratch_store_b64 off, v[8:9], s32 offset:1556 ; 8-byte Folded Spill
.LBB270_3328:                           ;   in Loop: Header=BB270_2089 Depth=1
	s_or_b32 exec_lo, exec_lo, s2
.LBB270_3329:                           ;   in Loop: Header=BB270_2089 Depth=1
	s_delay_alu instid0(SALU_CYCLE_1)
	s_or_b32 exec_lo, exec_lo, s1
.LBB270_3330:                           ;   in Loop: Header=BB270_2089 Depth=1
	s_delay_alu instid0(SALU_CYCLE_1) | instskip(NEXT) | instid1(SALU_CYCLE_1)
	s_or_b32 exec_lo, exec_lo, s0
	s_mov_b32 s0, exec_lo
	v_cmpx_lt_u32_e32 0xffffff, v6
	s_cbranch_execz .LBB270_3338
; %bb.3331:                             ;   in Loop: Header=BB270_2089 Depth=1
	v_lshrrev_b32_e32 v7, 24, v6
	v_dual_mov_b32 v181, s11 :: v_dual_mov_b32 v180, s10
	s_mov_b32 s1, exec_lo
	s_delay_alu instid0(VALU_DEP_2)
	v_cmpx_ne_u32_e32 0x80, v7
	s_cbranch_execz .LBB270_3337
; %bb.3332:                             ;   in Loop: Header=BB270_2089 Depth=1
	s_mov_b32 s12, s10
	v_bfe_u32 v4, v6, 24, 7
	v_dual_mov_b32 v181, s13 :: v_dual_mov_b32 v180, s12
	s_mov_b32 s2, exec_lo
	s_delay_alu instid0(VALU_DEP_2)
	v_cmpx_ne_u32_e32 0x7f, v4
	s_cbranch_execz .LBB270_3336
; %bb.3333:                             ;   in Loop: Header=BB270_2089 Depth=1
	v_and_b32_e32 v8, 7, v7
	v_lshrrev_b32_e32 v6, 3, v4
	v_cmp_gt_u32_e32 vcc_lo, 8, v4
	s_delay_alu instid0(VALU_DEP_3)
	v_dual_mov_b32 v4, v8 :: v_dual_mov_b32 v5, v9
	s_and_saveexec_b32 s3, vcc_lo
; %bb.3334:                             ;   in Loop: Header=BB270_2089 Depth=1
	v_clz_i32_u32_e32 v4, v8
	s_delay_alu instid0(VALU_DEP_1) | instskip(NEXT) | instid1(VALU_DEP_1)
	v_min_u32_e32 v6, 32, v4
	v_subrev_nc_u32_e32 v4, 28, v6
	v_sub_nc_u32_e32 v6, 29, v6
	s_delay_alu instid0(VALU_DEP_2) | instskip(NEXT) | instid1(VALU_DEP_1)
	v_lshlrev_b64 v[4:5], v4, v[8:9]
	v_and_b32_e32 v4, 7, v4
; %bb.3335:                             ;   in Loop: Header=BB270_2089 Depth=1
	s_or_b32 exec_lo, exec_lo, s3
	v_dual_mov_b32 v180, v9 :: v_dual_lshlrev_b32 v5, 24, v7
	s_delay_alu instid0(VALU_DEP_2) | instskip(SKIP_1) | instid1(VALU_DEP_3)
	v_lshlrev_b32_e32 v4, 20, v4
	v_lshl_add_u32 v6, v6, 23, 0x3c000000
	v_and_b32_e32 v5, 0x80000000, v5
	s_delay_alu instid0(VALU_DEP_1)
	v_or3_b32 v181, v4, v5, v6
.LBB270_3336:                           ;   in Loop: Header=BB270_2089 Depth=1
	s_or_b32 exec_lo, exec_lo, s2
.LBB270_3337:                           ;   in Loop: Header=BB270_2089 Depth=1
	s_delay_alu instid0(SALU_CYCLE_1)
	s_or_b32 exec_lo, exec_lo, s1
.LBB270_3338:                           ;   in Loop: Header=BB270_2089 Depth=1
	s_delay_alu instid0(SALU_CYCLE_1)
	s_or_b32 exec_lo, exec_lo, s0
	scratch_load_b32 v4, off, s32 offset:2548 ; 4-byte Folded Reload
	v_mov_b32_e32 v190, 0
	s_mov_b32 s0, exec_lo
	s_waitcnt vmcnt(0)
	v_add_co_u32 v4, vcc_lo, v21, v4
	v_add_co_ci_u32_e32 v5, vcc_lo, 0, v22, vcc_lo
	flat_load_b32 v6, v[4:5]
	s_waitcnt vmcnt(0) lgkmcnt(0)
	v_dual_mov_b32 v191, 0 :: v_dual_and_b32 v4, 0xff, v6
	scratch_store_b64 off, v[190:191], s32 offset:1564 ; 8-byte Folded Spill
	v_cmpx_ne_u16_e32 0, v4
	s_cbranch_execz .LBB270_3346
; %bb.3339:                             ;   in Loop: Header=BB270_2089 Depth=1
	v_cmp_ne_u16_e32 vcc_lo, 0x80, v4
	v_bfrev_b32_e32 v4, 1
	v_mov_b32_e32 v5, 0
	scratch_store_b64 off, v[4:5], s32 offset:1564 ; 8-byte Folded Spill
	s_and_saveexec_b32 s1, vcc_lo
	s_cbranch_execz .LBB270_3345
; %bb.3340:                             ;   in Loop: Header=BB270_2089 Depth=1
	v_mov_b32_e32 v7, 0x7f800001
	v_and_b32_e32 v4, 0x7f, v6
	v_mov_b32_e32 v8, 0
	s_mov_b32 s2, exec_lo
	scratch_store_b64 off, v[7:8], s32 offset:1564 ; 8-byte Folded Spill
	v_cmpx_ne_u32_e32 0x7f, v4
	s_cbranch_execz .LBB270_3344
; %bb.3341:                             ;   in Loop: Header=BB270_2089 Depth=1
	v_and_b32_e32 v8, 7, v6
	v_lshrrev_b32_e32 v7, 3, v4
	v_cmp_gt_u32_e32 vcc_lo, 8, v4
	s_delay_alu instid0(VALU_DEP_3)
	v_dual_mov_b32 v4, v8 :: v_dual_mov_b32 v5, v9
	s_and_saveexec_b32 s3, vcc_lo
; %bb.3342:                             ;   in Loop: Header=BB270_2089 Depth=1
	v_clz_i32_u32_e32 v4, v8
	s_delay_alu instid0(VALU_DEP_1) | instskip(NEXT) | instid1(VALU_DEP_1)
	v_min_u32_e32 v7, 32, v4
	v_subrev_nc_u32_e32 v4, 28, v7
	v_sub_nc_u32_e32 v7, 29, v7
	s_delay_alu instid0(VALU_DEP_2) | instskip(NEXT) | instid1(VALU_DEP_1)
	v_lshlrev_b64 v[4:5], v4, v[8:9]
	v_and_b32_e32 v4, 7, v4
; %bb.3343:                             ;   in Loop: Header=BB270_2089 Depth=1
	s_or_b32 exec_lo, exec_lo, s3
	v_lshlrev_b32_e32 v5, 24, v6
	s_delay_alu instid0(VALU_DEP_2) | instskip(SKIP_1) | instid1(VALU_DEP_3)
	v_lshlrev_b32_e32 v4, 20, v4
	v_lshl_add_u32 v7, v7, 23, 0x3c000000
	v_and_b32_e32 v5, 0x80000000, v5
	s_delay_alu instid0(VALU_DEP_1)
	v_or3_b32 v8, v4, v5, v7
	scratch_store_b64 off, v[8:9], s32 offset:1564 ; 8-byte Folded Spill
.LBB270_3344:                           ;   in Loop: Header=BB270_2089 Depth=1
	s_or_b32 exec_lo, exec_lo, s2
.LBB270_3345:                           ;   in Loop: Header=BB270_2089 Depth=1
	s_delay_alu instid0(SALU_CYCLE_1)
	s_or_b32 exec_lo, exec_lo, s1
.LBB270_3346:                           ;   in Loop: Header=BB270_2089 Depth=1
	s_delay_alu instid0(SALU_CYCLE_1) | instskip(SKIP_2) | instid1(VALU_DEP_1)
	s_or_b32 exec_lo, exec_lo, s0
	v_lshrrev_b16 v4, 8, v6
	s_mov_b32 s0, exec_lo
	v_cmpx_ne_u16_e32 0, v4
	s_cbranch_execz .LBB270_3354
; %bb.3347:                             ;   in Loop: Header=BB270_2089 Depth=1
	v_dual_mov_b32 v191, s11 :: v_dual_mov_b32 v190, s10
	s_mov_b32 s1, exec_lo
	v_cmpx_ne_u16_e32 0x80, v4
	s_cbranch_execz .LBB270_3353
; %bb.3348:                             ;   in Loop: Header=BB270_2089 Depth=1
	s_mov_b32 s12, s10
	v_and_b32_e32 v5, 0xffff, v4
	v_dual_mov_b32 v191, s13 :: v_dual_mov_b32 v190, s12
	s_mov_b32 s2, exec_lo
	s_delay_alu instid0(VALU_DEP_2) | instskip(NEXT) | instid1(VALU_DEP_1)
	v_and_b32_e32 v4, 0x7f, v5
	v_cmpx_ne_u32_e32 0x7f, v4
	s_cbranch_execz .LBB270_3352
; %bb.3349:                             ;   in Loop: Header=BB270_2089 Depth=1
	v_and_b32_e32 v8, 7, v5
	v_lshrrev_b32_e32 v7, 3, v4
	v_cmp_gt_u32_e32 vcc_lo, 8, v4
	s_delay_alu instid0(VALU_DEP_3)
	v_dual_mov_b32 v4, v8 :: v_dual_mov_b32 v5, v9
	s_and_saveexec_b32 s3, vcc_lo
; %bb.3350:                             ;   in Loop: Header=BB270_2089 Depth=1
	v_clz_i32_u32_e32 v4, v8
	s_delay_alu instid0(VALU_DEP_1) | instskip(NEXT) | instid1(VALU_DEP_1)
	v_min_u32_e32 v7, 32, v4
	v_subrev_nc_u32_e32 v4, 28, v7
	v_sub_nc_u32_e32 v7, 29, v7
	s_delay_alu instid0(VALU_DEP_2) | instskip(NEXT) | instid1(VALU_DEP_1)
	v_lshlrev_b64 v[4:5], v4, v[8:9]
	v_and_b32_e32 v4, 7, v4
; %bb.3351:                             ;   in Loop: Header=BB270_2089 Depth=1
	s_or_b32 exec_lo, exec_lo, s3
	v_dual_mov_b32 v190, v9 :: v_dual_lshlrev_b32 v5, 16, v6
	s_delay_alu instid0(VALU_DEP_2) | instskip(SKIP_1) | instid1(VALU_DEP_3)
	v_lshlrev_b32_e32 v4, 20, v4
	v_lshl_add_u32 v7, v7, 23, 0x3c000000
	v_and_b32_e32 v5, 0x80000000, v5
	s_delay_alu instid0(VALU_DEP_1)
	v_or3_b32 v191, v4, v5, v7
.LBB270_3352:                           ;   in Loop: Header=BB270_2089 Depth=1
	s_or_b32 exec_lo, exec_lo, s2
.LBB270_3353:                           ;   in Loop: Header=BB270_2089 Depth=1
	s_delay_alu instid0(SALU_CYCLE_1)
	s_or_b32 exec_lo, exec_lo, s1
.LBB270_3354:                           ;   in Loop: Header=BB270_2089 Depth=1
	s_delay_alu instid0(SALU_CYCLE_1) | instskip(SKIP_4) | instid1(VALU_DEP_3)
	s_or_b32 exec_lo, exec_lo, s0
	v_lshrrev_b32_e32 v7, 16, v6
	v_mov_b32_e32 v114, 0
	v_mov_b32_e32 v115, 0
	s_mov_b32 s0, exec_lo
	v_and_b32_e32 v4, 0xff, v7
	scratch_store_b64 off, v[114:115], s32 offset:1572 ; 8-byte Folded Spill
	v_cmpx_ne_u16_e32 0, v4
	s_cbranch_execz .LBB270_3362
; %bb.3355:                             ;   in Loop: Header=BB270_2089 Depth=1
	v_cmp_ne_u16_e32 vcc_lo, 0x80, v4
	v_bfrev_b32_e32 v4, 1
	v_mov_b32_e32 v5, 0
	scratch_store_b64 off, v[4:5], s32 offset:1572 ; 8-byte Folded Spill
	s_and_saveexec_b32 s1, vcc_lo
	s_cbranch_execz .LBB270_3361
; %bb.3356:                             ;   in Loop: Header=BB270_2089 Depth=1
	v_mov_b32_e32 v10, 0x7f800001
	v_bfe_u32 v4, v6, 16, 7
	v_mov_b32_e32 v11, 0
	s_mov_b32 s2, exec_lo
	scratch_store_b64 off, v[10:11], s32 offset:1572 ; 8-byte Folded Spill
	v_cmpx_ne_u32_e32 0x7f, v4
	s_cbranch_execz .LBB270_3360
; %bb.3357:                             ;   in Loop: Header=BB270_2089 Depth=1
	v_and_b32_e32 v8, 7, v7
	v_lshrrev_b32_e32 v10, 3, v4
	v_cmp_gt_u32_e32 vcc_lo, 8, v4
	s_delay_alu instid0(VALU_DEP_3)
	v_dual_mov_b32 v4, v8 :: v_dual_mov_b32 v5, v9
	s_and_saveexec_b32 s3, vcc_lo
; %bb.3358:                             ;   in Loop: Header=BB270_2089 Depth=1
	v_clz_i32_u32_e32 v4, v8
	s_delay_alu instid0(VALU_DEP_1) | instskip(NEXT) | instid1(VALU_DEP_1)
	v_min_u32_e32 v10, 32, v4
	v_subrev_nc_u32_e32 v4, 28, v10
	v_sub_nc_u32_e32 v10, 29, v10
	s_delay_alu instid0(VALU_DEP_2) | instskip(NEXT) | instid1(VALU_DEP_1)
	v_lshlrev_b64 v[4:5], v4, v[8:9]
	v_and_b32_e32 v4, 7, v4
; %bb.3359:                             ;   in Loop: Header=BB270_2089 Depth=1
	s_or_b32 exec_lo, exec_lo, s3
	v_lshlrev_b32_e32 v5, 24, v7
	s_delay_alu instid0(VALU_DEP_2) | instskip(SKIP_1) | instid1(VALU_DEP_3)
	v_lshlrev_b32_e32 v4, 20, v4
	v_lshl_add_u32 v7, v10, 23, 0x3c000000
	v_and_b32_e32 v5, 0x80000000, v5
	s_delay_alu instid0(VALU_DEP_1)
	v_or3_b32 v8, v4, v5, v7
	scratch_store_b64 off, v[8:9], s32 offset:1572 ; 8-byte Folded Spill
.LBB270_3360:                           ;   in Loop: Header=BB270_2089 Depth=1
	s_or_b32 exec_lo, exec_lo, s2
.LBB270_3361:                           ;   in Loop: Header=BB270_2089 Depth=1
	s_delay_alu instid0(SALU_CYCLE_1)
	s_or_b32 exec_lo, exec_lo, s1
.LBB270_3362:                           ;   in Loop: Header=BB270_2089 Depth=1
	s_delay_alu instid0(SALU_CYCLE_1) | instskip(NEXT) | instid1(SALU_CYCLE_1)
	s_or_b32 exec_lo, exec_lo, s0
	s_mov_b32 s0, exec_lo
	v_cmpx_lt_u32_e32 0xffffff, v6
	s_cbranch_execz .LBB270_3370
; %bb.3363:                             ;   in Loop: Header=BB270_2089 Depth=1
	v_lshrrev_b32_e32 v7, 24, v6
	v_dual_mov_b32 v115, s11 :: v_dual_mov_b32 v114, s10
	s_mov_b32 s1, exec_lo
	s_delay_alu instid0(VALU_DEP_2)
	v_cmpx_ne_u32_e32 0x80, v7
	s_cbranch_execz .LBB270_3369
; %bb.3364:                             ;   in Loop: Header=BB270_2089 Depth=1
	s_mov_b32 s12, s10
	v_bfe_u32 v4, v6, 24, 7
	v_dual_mov_b32 v115, s13 :: v_dual_mov_b32 v114, s12
	s_mov_b32 s2, exec_lo
	s_delay_alu instid0(VALU_DEP_2)
	v_cmpx_ne_u32_e32 0x7f, v4
	s_cbranch_execz .LBB270_3368
; %bb.3365:                             ;   in Loop: Header=BB270_2089 Depth=1
	v_and_b32_e32 v8, 7, v7
	v_lshrrev_b32_e32 v6, 3, v4
	v_cmp_gt_u32_e32 vcc_lo, 8, v4
	s_delay_alu instid0(VALU_DEP_3)
	v_dual_mov_b32 v4, v8 :: v_dual_mov_b32 v5, v9
	s_and_saveexec_b32 s3, vcc_lo
; %bb.3366:                             ;   in Loop: Header=BB270_2089 Depth=1
	v_clz_i32_u32_e32 v4, v8
	s_delay_alu instid0(VALU_DEP_1) | instskip(NEXT) | instid1(VALU_DEP_1)
	v_min_u32_e32 v6, 32, v4
	v_subrev_nc_u32_e32 v4, 28, v6
	v_sub_nc_u32_e32 v6, 29, v6
	s_delay_alu instid0(VALU_DEP_2) | instskip(NEXT) | instid1(VALU_DEP_1)
	v_lshlrev_b64 v[4:5], v4, v[8:9]
	v_and_b32_e32 v4, 7, v4
; %bb.3367:                             ;   in Loop: Header=BB270_2089 Depth=1
	s_or_b32 exec_lo, exec_lo, s3
	v_dual_mov_b32 v114, v9 :: v_dual_lshlrev_b32 v5, 24, v7
	s_delay_alu instid0(VALU_DEP_2) | instskip(SKIP_1) | instid1(VALU_DEP_3)
	v_lshlrev_b32_e32 v4, 20, v4
	v_lshl_add_u32 v6, v6, 23, 0x3c000000
	v_and_b32_e32 v5, 0x80000000, v5
	s_delay_alu instid0(VALU_DEP_1)
	v_or3_b32 v115, v4, v5, v6
.LBB270_3368:                           ;   in Loop: Header=BB270_2089 Depth=1
	s_or_b32 exec_lo, exec_lo, s2
.LBB270_3369:                           ;   in Loop: Header=BB270_2089 Depth=1
	s_delay_alu instid0(SALU_CYCLE_1)
	s_or_b32 exec_lo, exec_lo, s1
.LBB270_3370:                           ;   in Loop: Header=BB270_2089 Depth=1
	s_delay_alu instid0(SALU_CYCLE_1)
	s_or_b32 exec_lo, exec_lo, s0
	scratch_load_b32 v4, off, s32 offset:2564 ; 4-byte Folded Reload
	v_mov_b32_e32 v162, 0
	s_mov_b32 s0, exec_lo
	s_waitcnt vmcnt(0)
	v_add_co_u32 v4, vcc_lo, v21, v4
	v_add_co_ci_u32_e32 v5, vcc_lo, 0, v22, vcc_lo
	flat_load_b32 v6, v[4:5]
	s_waitcnt vmcnt(0) lgkmcnt(0)
	v_dual_mov_b32 v163, 0 :: v_dual_and_b32 v4, 0xff, v6
	scratch_store_b64 off, v[162:163], s32 offset:1580 ; 8-byte Folded Spill
	v_cmpx_ne_u16_e32 0, v4
	s_cbranch_execz .LBB270_3378
; %bb.3371:                             ;   in Loop: Header=BB270_2089 Depth=1
	v_cmp_ne_u16_e32 vcc_lo, 0x80, v4
	v_bfrev_b32_e32 v4, 1
	v_mov_b32_e32 v5, 0
	scratch_store_b64 off, v[4:5], s32 offset:1580 ; 8-byte Folded Spill
	s_and_saveexec_b32 s1, vcc_lo
	s_cbranch_execz .LBB270_3377
; %bb.3372:                             ;   in Loop: Header=BB270_2089 Depth=1
	v_mov_b32_e32 v7, 0x7f800001
	v_and_b32_e32 v4, 0x7f, v6
	v_mov_b32_e32 v8, 0
	s_mov_b32 s2, exec_lo
	scratch_store_b64 off, v[7:8], s32 offset:1580 ; 8-byte Folded Spill
	v_cmpx_ne_u32_e32 0x7f, v4
	s_cbranch_execz .LBB270_3376
; %bb.3373:                             ;   in Loop: Header=BB270_2089 Depth=1
	v_and_b32_e32 v8, 7, v6
	v_lshrrev_b32_e32 v7, 3, v4
	v_cmp_gt_u32_e32 vcc_lo, 8, v4
	s_delay_alu instid0(VALU_DEP_3)
	v_dual_mov_b32 v4, v8 :: v_dual_mov_b32 v5, v9
	s_and_saveexec_b32 s3, vcc_lo
; %bb.3374:                             ;   in Loop: Header=BB270_2089 Depth=1
	v_clz_i32_u32_e32 v4, v8
	s_delay_alu instid0(VALU_DEP_1) | instskip(NEXT) | instid1(VALU_DEP_1)
	v_min_u32_e32 v7, 32, v4
	v_subrev_nc_u32_e32 v4, 28, v7
	v_sub_nc_u32_e32 v7, 29, v7
	s_delay_alu instid0(VALU_DEP_2) | instskip(NEXT) | instid1(VALU_DEP_1)
	v_lshlrev_b64 v[4:5], v4, v[8:9]
	v_and_b32_e32 v4, 7, v4
; %bb.3375:                             ;   in Loop: Header=BB270_2089 Depth=1
	s_or_b32 exec_lo, exec_lo, s3
	v_lshlrev_b32_e32 v5, 24, v6
	s_delay_alu instid0(VALU_DEP_2) | instskip(SKIP_1) | instid1(VALU_DEP_3)
	v_lshlrev_b32_e32 v4, 20, v4
	v_lshl_add_u32 v7, v7, 23, 0x3c000000
	v_and_b32_e32 v5, 0x80000000, v5
	s_delay_alu instid0(VALU_DEP_1)
	v_or3_b32 v8, v4, v5, v7
	scratch_store_b64 off, v[8:9], s32 offset:1580 ; 8-byte Folded Spill
.LBB270_3376:                           ;   in Loop: Header=BB270_2089 Depth=1
	s_or_b32 exec_lo, exec_lo, s2
.LBB270_3377:                           ;   in Loop: Header=BB270_2089 Depth=1
	s_delay_alu instid0(SALU_CYCLE_1)
	s_or_b32 exec_lo, exec_lo, s1
.LBB270_3378:                           ;   in Loop: Header=BB270_2089 Depth=1
	s_delay_alu instid0(SALU_CYCLE_1) | instskip(SKIP_2) | instid1(VALU_DEP_1)
	s_or_b32 exec_lo, exec_lo, s0
	v_lshrrev_b16 v4, 8, v6
	s_mov_b32 s0, exec_lo
	v_cmpx_ne_u16_e32 0, v4
	s_cbranch_execz .LBB270_3386
; %bb.3379:                             ;   in Loop: Header=BB270_2089 Depth=1
	v_dual_mov_b32 v163, s11 :: v_dual_mov_b32 v162, s10
	s_mov_b32 s1, exec_lo
	v_cmpx_ne_u16_e32 0x80, v4
	s_cbranch_execz .LBB270_3385
; %bb.3380:                             ;   in Loop: Header=BB270_2089 Depth=1
	s_mov_b32 s12, s10
	v_and_b32_e32 v5, 0xffff, v4
	v_dual_mov_b32 v163, s13 :: v_dual_mov_b32 v162, s12
	s_mov_b32 s2, exec_lo
	s_delay_alu instid0(VALU_DEP_2) | instskip(NEXT) | instid1(VALU_DEP_1)
	v_and_b32_e32 v4, 0x7f, v5
	v_cmpx_ne_u32_e32 0x7f, v4
	s_cbranch_execz .LBB270_3384
; %bb.3381:                             ;   in Loop: Header=BB270_2089 Depth=1
	v_and_b32_e32 v8, 7, v5
	v_lshrrev_b32_e32 v7, 3, v4
	v_cmp_gt_u32_e32 vcc_lo, 8, v4
	s_delay_alu instid0(VALU_DEP_3)
	v_dual_mov_b32 v4, v8 :: v_dual_mov_b32 v5, v9
	s_and_saveexec_b32 s3, vcc_lo
; %bb.3382:                             ;   in Loop: Header=BB270_2089 Depth=1
	v_clz_i32_u32_e32 v4, v8
	s_delay_alu instid0(VALU_DEP_1) | instskip(NEXT) | instid1(VALU_DEP_1)
	v_min_u32_e32 v7, 32, v4
	v_subrev_nc_u32_e32 v4, 28, v7
	v_sub_nc_u32_e32 v7, 29, v7
	s_delay_alu instid0(VALU_DEP_2) | instskip(NEXT) | instid1(VALU_DEP_1)
	v_lshlrev_b64 v[4:5], v4, v[8:9]
	v_and_b32_e32 v4, 7, v4
; %bb.3383:                             ;   in Loop: Header=BB270_2089 Depth=1
	s_or_b32 exec_lo, exec_lo, s3
	v_dual_mov_b32 v162, v9 :: v_dual_lshlrev_b32 v5, 16, v6
	s_delay_alu instid0(VALU_DEP_2) | instskip(SKIP_1) | instid1(VALU_DEP_3)
	v_lshlrev_b32_e32 v4, 20, v4
	v_lshl_add_u32 v7, v7, 23, 0x3c000000
	v_and_b32_e32 v5, 0x80000000, v5
	s_delay_alu instid0(VALU_DEP_1)
	v_or3_b32 v163, v4, v5, v7
.LBB270_3384:                           ;   in Loop: Header=BB270_2089 Depth=1
	s_or_b32 exec_lo, exec_lo, s2
.LBB270_3385:                           ;   in Loop: Header=BB270_2089 Depth=1
	s_delay_alu instid0(SALU_CYCLE_1)
	s_or_b32 exec_lo, exec_lo, s1
.LBB270_3386:                           ;   in Loop: Header=BB270_2089 Depth=1
	s_delay_alu instid0(SALU_CYCLE_1) | instskip(SKIP_4) | instid1(VALU_DEP_3)
	s_or_b32 exec_lo, exec_lo, s0
	v_lshrrev_b32_e32 v7, 16, v6
	v_mov_b32_e32 v80, 0
	v_mov_b32_e32 v81, 0
	s_mov_b32 s0, exec_lo
	v_and_b32_e32 v4, 0xff, v7
	scratch_store_b64 off, v[80:81], s32 offset:1588 ; 8-byte Folded Spill
	v_cmpx_ne_u16_e32 0, v4
	s_cbranch_execz .LBB270_3394
; %bb.3387:                             ;   in Loop: Header=BB270_2089 Depth=1
	v_cmp_ne_u16_e32 vcc_lo, 0x80, v4
	v_bfrev_b32_e32 v4, 1
	v_mov_b32_e32 v5, 0
	scratch_store_b64 off, v[4:5], s32 offset:1588 ; 8-byte Folded Spill
	s_and_saveexec_b32 s1, vcc_lo
	s_cbranch_execz .LBB270_3393
; %bb.3388:                             ;   in Loop: Header=BB270_2089 Depth=1
	v_mov_b32_e32 v10, 0x7f800001
	v_bfe_u32 v4, v6, 16, 7
	v_mov_b32_e32 v11, 0
	s_mov_b32 s2, exec_lo
	scratch_store_b64 off, v[10:11], s32 offset:1588 ; 8-byte Folded Spill
	v_cmpx_ne_u32_e32 0x7f, v4
	s_cbranch_execz .LBB270_3392
; %bb.3389:                             ;   in Loop: Header=BB270_2089 Depth=1
	v_and_b32_e32 v8, 7, v7
	v_lshrrev_b32_e32 v10, 3, v4
	v_cmp_gt_u32_e32 vcc_lo, 8, v4
	s_delay_alu instid0(VALU_DEP_3)
	v_dual_mov_b32 v4, v8 :: v_dual_mov_b32 v5, v9
	s_and_saveexec_b32 s3, vcc_lo
; %bb.3390:                             ;   in Loop: Header=BB270_2089 Depth=1
	v_clz_i32_u32_e32 v4, v8
	s_delay_alu instid0(VALU_DEP_1) | instskip(NEXT) | instid1(VALU_DEP_1)
	v_min_u32_e32 v10, 32, v4
	v_subrev_nc_u32_e32 v4, 28, v10
	v_sub_nc_u32_e32 v10, 29, v10
	s_delay_alu instid0(VALU_DEP_2) | instskip(NEXT) | instid1(VALU_DEP_1)
	v_lshlrev_b64 v[4:5], v4, v[8:9]
	v_and_b32_e32 v4, 7, v4
; %bb.3391:                             ;   in Loop: Header=BB270_2089 Depth=1
	s_or_b32 exec_lo, exec_lo, s3
	v_lshlrev_b32_e32 v5, 24, v7
	s_delay_alu instid0(VALU_DEP_2) | instskip(SKIP_1) | instid1(VALU_DEP_3)
	v_lshlrev_b32_e32 v4, 20, v4
	v_lshl_add_u32 v7, v10, 23, 0x3c000000
	v_and_b32_e32 v5, 0x80000000, v5
	s_delay_alu instid0(VALU_DEP_1)
	v_or3_b32 v8, v4, v5, v7
	scratch_store_b64 off, v[8:9], s32 offset:1588 ; 8-byte Folded Spill
.LBB270_3392:                           ;   in Loop: Header=BB270_2089 Depth=1
	s_or_b32 exec_lo, exec_lo, s2
.LBB270_3393:                           ;   in Loop: Header=BB270_2089 Depth=1
	s_delay_alu instid0(SALU_CYCLE_1)
	s_or_b32 exec_lo, exec_lo, s1
.LBB270_3394:                           ;   in Loop: Header=BB270_2089 Depth=1
	s_delay_alu instid0(SALU_CYCLE_1) | instskip(NEXT) | instid1(SALU_CYCLE_1)
	s_or_b32 exec_lo, exec_lo, s0
	s_mov_b32 s0, exec_lo
	v_cmpx_lt_u32_e32 0xffffff, v6
	s_cbranch_execz .LBB270_3402
; %bb.3395:                             ;   in Loop: Header=BB270_2089 Depth=1
	v_lshrrev_b32_e32 v7, 24, v6
	v_dual_mov_b32 v81, s11 :: v_dual_mov_b32 v80, s10
	s_mov_b32 s1, exec_lo
	s_delay_alu instid0(VALU_DEP_2)
	v_cmpx_ne_u32_e32 0x80, v7
	s_cbranch_execz .LBB270_3401
; %bb.3396:                             ;   in Loop: Header=BB270_2089 Depth=1
	s_mov_b32 s12, s10
	v_bfe_u32 v4, v6, 24, 7
	v_dual_mov_b32 v81, s13 :: v_dual_mov_b32 v80, s12
	s_mov_b32 s2, exec_lo
	s_delay_alu instid0(VALU_DEP_2)
	v_cmpx_ne_u32_e32 0x7f, v4
	s_cbranch_execz .LBB270_3400
; %bb.3397:                             ;   in Loop: Header=BB270_2089 Depth=1
	v_and_b32_e32 v8, 7, v7
	v_lshrrev_b32_e32 v6, 3, v4
	v_cmp_gt_u32_e32 vcc_lo, 8, v4
	s_delay_alu instid0(VALU_DEP_3)
	v_dual_mov_b32 v4, v8 :: v_dual_mov_b32 v5, v9
	s_and_saveexec_b32 s3, vcc_lo
; %bb.3398:                             ;   in Loop: Header=BB270_2089 Depth=1
	v_clz_i32_u32_e32 v4, v8
	s_delay_alu instid0(VALU_DEP_1) | instskip(NEXT) | instid1(VALU_DEP_1)
	v_min_u32_e32 v6, 32, v4
	v_subrev_nc_u32_e32 v4, 28, v6
	v_sub_nc_u32_e32 v6, 29, v6
	s_delay_alu instid0(VALU_DEP_2) | instskip(NEXT) | instid1(VALU_DEP_1)
	v_lshlrev_b64 v[4:5], v4, v[8:9]
	v_and_b32_e32 v4, 7, v4
; %bb.3399:                             ;   in Loop: Header=BB270_2089 Depth=1
	s_or_b32 exec_lo, exec_lo, s3
	v_dual_mov_b32 v80, v9 :: v_dual_lshlrev_b32 v5, 24, v7
	s_delay_alu instid0(VALU_DEP_2) | instskip(SKIP_1) | instid1(VALU_DEP_3)
	v_lshlrev_b32_e32 v4, 20, v4
	v_lshl_add_u32 v6, v6, 23, 0x3c000000
	v_and_b32_e32 v5, 0x80000000, v5
	s_delay_alu instid0(VALU_DEP_1)
	v_or3_b32 v81, v4, v5, v6
.LBB270_3400:                           ;   in Loop: Header=BB270_2089 Depth=1
	s_or_b32 exec_lo, exec_lo, s2
.LBB270_3401:                           ;   in Loop: Header=BB270_2089 Depth=1
	s_delay_alu instid0(SALU_CYCLE_1)
	s_or_b32 exec_lo, exec_lo, s1
.LBB270_3402:                           ;   in Loop: Header=BB270_2089 Depth=1
	s_delay_alu instid0(SALU_CYCLE_1)
	s_or_b32 exec_lo, exec_lo, s0
	scratch_load_b32 v4, off, s32 offset:2580 ; 4-byte Folded Reload
	v_mov_b32_e32 v50, 0
	s_mov_b32 s0, exec_lo
	s_waitcnt vmcnt(0)
	v_add_co_u32 v4, vcc_lo, v21, v4
	v_add_co_ci_u32_e32 v5, vcc_lo, 0, v22, vcc_lo
	flat_load_b32 v6, v[4:5]
	s_waitcnt vmcnt(0) lgkmcnt(0)
	v_dual_mov_b32 v51, 0 :: v_dual_and_b32 v4, 0xff, v6
	scratch_store_b64 off, v[50:51], s32 offset:1596 ; 8-byte Folded Spill
	v_cmpx_ne_u16_e32 0, v4
	s_cbranch_execz .LBB270_3410
; %bb.3403:                             ;   in Loop: Header=BB270_2089 Depth=1
	v_cmp_ne_u16_e32 vcc_lo, 0x80, v4
	v_bfrev_b32_e32 v4, 1
	v_mov_b32_e32 v5, 0
	scratch_store_b64 off, v[4:5], s32 offset:1596 ; 8-byte Folded Spill
	s_and_saveexec_b32 s1, vcc_lo
	s_cbranch_execz .LBB270_3409
; %bb.3404:                             ;   in Loop: Header=BB270_2089 Depth=1
	v_mov_b32_e32 v7, 0x7f800001
	v_and_b32_e32 v4, 0x7f, v6
	v_mov_b32_e32 v8, 0
	s_mov_b32 s2, exec_lo
	scratch_store_b64 off, v[7:8], s32 offset:1596 ; 8-byte Folded Spill
	v_cmpx_ne_u32_e32 0x7f, v4
	s_cbranch_execz .LBB270_3408
; %bb.3405:                             ;   in Loop: Header=BB270_2089 Depth=1
	v_and_b32_e32 v8, 7, v6
	v_lshrrev_b32_e32 v7, 3, v4
	v_cmp_gt_u32_e32 vcc_lo, 8, v4
	s_delay_alu instid0(VALU_DEP_3)
	v_dual_mov_b32 v4, v8 :: v_dual_mov_b32 v5, v9
	s_and_saveexec_b32 s3, vcc_lo
; %bb.3406:                             ;   in Loop: Header=BB270_2089 Depth=1
	v_clz_i32_u32_e32 v4, v8
	s_delay_alu instid0(VALU_DEP_1) | instskip(NEXT) | instid1(VALU_DEP_1)
	v_min_u32_e32 v7, 32, v4
	v_subrev_nc_u32_e32 v4, 28, v7
	v_sub_nc_u32_e32 v7, 29, v7
	s_delay_alu instid0(VALU_DEP_2) | instskip(NEXT) | instid1(VALU_DEP_1)
	v_lshlrev_b64 v[4:5], v4, v[8:9]
	v_and_b32_e32 v4, 7, v4
; %bb.3407:                             ;   in Loop: Header=BB270_2089 Depth=1
	s_or_b32 exec_lo, exec_lo, s3
	v_lshlrev_b32_e32 v5, 24, v6
	s_delay_alu instid0(VALU_DEP_2) | instskip(SKIP_1) | instid1(VALU_DEP_3)
	v_lshlrev_b32_e32 v4, 20, v4
	v_lshl_add_u32 v7, v7, 23, 0x3c000000
	v_and_b32_e32 v5, 0x80000000, v5
	s_delay_alu instid0(VALU_DEP_1)
	v_or3_b32 v8, v4, v5, v7
	scratch_store_b64 off, v[8:9], s32 offset:1596 ; 8-byte Folded Spill
.LBB270_3408:                           ;   in Loop: Header=BB270_2089 Depth=1
	s_or_b32 exec_lo, exec_lo, s2
.LBB270_3409:                           ;   in Loop: Header=BB270_2089 Depth=1
	s_delay_alu instid0(SALU_CYCLE_1)
	s_or_b32 exec_lo, exec_lo, s1
.LBB270_3410:                           ;   in Loop: Header=BB270_2089 Depth=1
	s_delay_alu instid0(SALU_CYCLE_1) | instskip(SKIP_2) | instid1(VALU_DEP_1)
	s_or_b32 exec_lo, exec_lo, s0
	v_lshrrev_b16 v4, 8, v6
	s_mov_b32 s0, exec_lo
	v_cmpx_ne_u16_e32 0, v4
	s_cbranch_execz .LBB270_3418
; %bb.3411:                             ;   in Loop: Header=BB270_2089 Depth=1
	v_dual_mov_b32 v51, s11 :: v_dual_mov_b32 v50, s10
	s_mov_b32 s1, exec_lo
	v_cmpx_ne_u16_e32 0x80, v4
	s_cbranch_execz .LBB270_3417
; %bb.3412:                             ;   in Loop: Header=BB270_2089 Depth=1
	s_mov_b32 s12, s10
	v_and_b32_e32 v5, 0xffff, v4
	v_dual_mov_b32 v51, s13 :: v_dual_mov_b32 v50, s12
	s_mov_b32 s2, exec_lo
	s_delay_alu instid0(VALU_DEP_2) | instskip(NEXT) | instid1(VALU_DEP_1)
	v_and_b32_e32 v4, 0x7f, v5
	v_cmpx_ne_u32_e32 0x7f, v4
	s_cbranch_execz .LBB270_3416
; %bb.3413:                             ;   in Loop: Header=BB270_2089 Depth=1
	v_and_b32_e32 v8, 7, v5
	v_lshrrev_b32_e32 v7, 3, v4
	v_cmp_gt_u32_e32 vcc_lo, 8, v4
	s_delay_alu instid0(VALU_DEP_3)
	v_dual_mov_b32 v4, v8 :: v_dual_mov_b32 v5, v9
	s_and_saveexec_b32 s3, vcc_lo
; %bb.3414:                             ;   in Loop: Header=BB270_2089 Depth=1
	v_clz_i32_u32_e32 v4, v8
	s_delay_alu instid0(VALU_DEP_1) | instskip(NEXT) | instid1(VALU_DEP_1)
	v_min_u32_e32 v7, 32, v4
	v_subrev_nc_u32_e32 v4, 28, v7
	v_sub_nc_u32_e32 v7, 29, v7
	s_delay_alu instid0(VALU_DEP_2) | instskip(NEXT) | instid1(VALU_DEP_1)
	v_lshlrev_b64 v[4:5], v4, v[8:9]
	v_and_b32_e32 v4, 7, v4
; %bb.3415:                             ;   in Loop: Header=BB270_2089 Depth=1
	s_or_b32 exec_lo, exec_lo, s3
	v_dual_mov_b32 v50, v9 :: v_dual_lshlrev_b32 v5, 16, v6
	s_delay_alu instid0(VALU_DEP_2) | instskip(SKIP_1) | instid1(VALU_DEP_3)
	v_lshlrev_b32_e32 v4, 20, v4
	v_lshl_add_u32 v7, v7, 23, 0x3c000000
	v_and_b32_e32 v5, 0x80000000, v5
	s_delay_alu instid0(VALU_DEP_1)
	v_or3_b32 v51, v4, v5, v7
.LBB270_3416:                           ;   in Loop: Header=BB270_2089 Depth=1
	s_or_b32 exec_lo, exec_lo, s2
.LBB270_3417:                           ;   in Loop: Header=BB270_2089 Depth=1
	s_delay_alu instid0(SALU_CYCLE_1)
	s_or_b32 exec_lo, exec_lo, s1
.LBB270_3418:                           ;   in Loop: Header=BB270_2089 Depth=1
	s_delay_alu instid0(SALU_CYCLE_1) | instskip(SKIP_4) | instid1(VALU_DEP_3)
	s_or_b32 exec_lo, exec_lo, s0
	v_lshrrev_b32_e32 v7, 16, v6
	v_mov_b32_e32 v48, 0
	v_mov_b32_e32 v49, 0
	s_mov_b32 s0, exec_lo
	v_and_b32_e32 v4, 0xff, v7
	scratch_store_b64 off, v[48:49], s32 offset:1604 ; 8-byte Folded Spill
	v_cmpx_ne_u16_e32 0, v4
	s_cbranch_execz .LBB270_3426
; %bb.3419:                             ;   in Loop: Header=BB270_2089 Depth=1
	v_cmp_ne_u16_e32 vcc_lo, 0x80, v4
	v_bfrev_b32_e32 v4, 1
	v_mov_b32_e32 v5, 0
	scratch_store_b64 off, v[4:5], s32 offset:1604 ; 8-byte Folded Spill
	s_and_saveexec_b32 s1, vcc_lo
	s_cbranch_execz .LBB270_3425
; %bb.3420:                             ;   in Loop: Header=BB270_2089 Depth=1
	v_mov_b32_e32 v10, 0x7f800001
	v_bfe_u32 v4, v6, 16, 7
	v_mov_b32_e32 v11, 0
	s_mov_b32 s2, exec_lo
	scratch_store_b64 off, v[10:11], s32 offset:1604 ; 8-byte Folded Spill
	v_cmpx_ne_u32_e32 0x7f, v4
	s_cbranch_execz .LBB270_3424
; %bb.3421:                             ;   in Loop: Header=BB270_2089 Depth=1
	v_and_b32_e32 v8, 7, v7
	v_lshrrev_b32_e32 v10, 3, v4
	v_cmp_gt_u32_e32 vcc_lo, 8, v4
	s_delay_alu instid0(VALU_DEP_3)
	v_dual_mov_b32 v4, v8 :: v_dual_mov_b32 v5, v9
	s_and_saveexec_b32 s3, vcc_lo
; %bb.3422:                             ;   in Loop: Header=BB270_2089 Depth=1
	v_clz_i32_u32_e32 v4, v8
	s_delay_alu instid0(VALU_DEP_1) | instskip(NEXT) | instid1(VALU_DEP_1)
	v_min_u32_e32 v10, 32, v4
	v_subrev_nc_u32_e32 v4, 28, v10
	v_sub_nc_u32_e32 v10, 29, v10
	s_delay_alu instid0(VALU_DEP_2) | instskip(NEXT) | instid1(VALU_DEP_1)
	v_lshlrev_b64 v[4:5], v4, v[8:9]
	v_and_b32_e32 v4, 7, v4
; %bb.3423:                             ;   in Loop: Header=BB270_2089 Depth=1
	s_or_b32 exec_lo, exec_lo, s3
	v_lshlrev_b32_e32 v5, 24, v7
	s_delay_alu instid0(VALU_DEP_2) | instskip(SKIP_1) | instid1(VALU_DEP_3)
	v_lshlrev_b32_e32 v4, 20, v4
	v_lshl_add_u32 v7, v10, 23, 0x3c000000
	v_and_b32_e32 v5, 0x80000000, v5
	s_delay_alu instid0(VALU_DEP_1)
	v_or3_b32 v8, v4, v5, v7
	scratch_store_b64 off, v[8:9], s32 offset:1604 ; 8-byte Folded Spill
.LBB270_3424:                           ;   in Loop: Header=BB270_2089 Depth=1
	s_or_b32 exec_lo, exec_lo, s2
.LBB270_3425:                           ;   in Loop: Header=BB270_2089 Depth=1
	s_delay_alu instid0(SALU_CYCLE_1)
	s_or_b32 exec_lo, exec_lo, s1
.LBB270_3426:                           ;   in Loop: Header=BB270_2089 Depth=1
	s_delay_alu instid0(SALU_CYCLE_1) | instskip(NEXT) | instid1(SALU_CYCLE_1)
	s_or_b32 exec_lo, exec_lo, s0
	s_mov_b32 s0, exec_lo
	v_cmpx_lt_u32_e32 0xffffff, v6
	s_cbranch_execz .LBB270_3434
; %bb.3427:                             ;   in Loop: Header=BB270_2089 Depth=1
	v_lshrrev_b32_e32 v7, 24, v6
	v_dual_mov_b32 v49, s11 :: v_dual_mov_b32 v48, s10
	s_mov_b32 s1, exec_lo
	s_delay_alu instid0(VALU_DEP_2)
	v_cmpx_ne_u32_e32 0x80, v7
	s_cbranch_execz .LBB270_3433
; %bb.3428:                             ;   in Loop: Header=BB270_2089 Depth=1
	s_mov_b32 s12, s10
	v_bfe_u32 v4, v6, 24, 7
	v_dual_mov_b32 v49, s13 :: v_dual_mov_b32 v48, s12
	s_mov_b32 s2, exec_lo
	s_delay_alu instid0(VALU_DEP_2)
	v_cmpx_ne_u32_e32 0x7f, v4
	s_cbranch_execz .LBB270_3432
; %bb.3429:                             ;   in Loop: Header=BB270_2089 Depth=1
	v_and_b32_e32 v8, 7, v7
	v_lshrrev_b32_e32 v6, 3, v4
	v_cmp_gt_u32_e32 vcc_lo, 8, v4
	s_delay_alu instid0(VALU_DEP_3)
	v_dual_mov_b32 v4, v8 :: v_dual_mov_b32 v5, v9
	s_and_saveexec_b32 s3, vcc_lo
; %bb.3430:                             ;   in Loop: Header=BB270_2089 Depth=1
	v_clz_i32_u32_e32 v4, v8
	s_delay_alu instid0(VALU_DEP_1) | instskip(NEXT) | instid1(VALU_DEP_1)
	v_min_u32_e32 v6, 32, v4
	v_subrev_nc_u32_e32 v4, 28, v6
	v_sub_nc_u32_e32 v6, 29, v6
	s_delay_alu instid0(VALU_DEP_2) | instskip(NEXT) | instid1(VALU_DEP_1)
	v_lshlrev_b64 v[4:5], v4, v[8:9]
	v_and_b32_e32 v4, 7, v4
; %bb.3431:                             ;   in Loop: Header=BB270_2089 Depth=1
	s_or_b32 exec_lo, exec_lo, s3
	v_dual_mov_b32 v48, v9 :: v_dual_lshlrev_b32 v5, 24, v7
	s_delay_alu instid0(VALU_DEP_2) | instskip(SKIP_1) | instid1(VALU_DEP_3)
	v_lshlrev_b32_e32 v4, 20, v4
	v_lshl_add_u32 v6, v6, 23, 0x3c000000
	v_and_b32_e32 v5, 0x80000000, v5
	s_delay_alu instid0(VALU_DEP_1)
	v_or3_b32 v49, v4, v5, v6
.LBB270_3432:                           ;   in Loop: Header=BB270_2089 Depth=1
	s_or_b32 exec_lo, exec_lo, s2
.LBB270_3433:                           ;   in Loop: Header=BB270_2089 Depth=1
	s_delay_alu instid0(SALU_CYCLE_1)
	s_or_b32 exec_lo, exec_lo, s1
.LBB270_3434:                           ;   in Loop: Header=BB270_2089 Depth=1
	s_delay_alu instid0(SALU_CYCLE_1)
	s_or_b32 exec_lo, exec_lo, s0
	scratch_load_b32 v4, off, s32 offset:2596 ; 4-byte Folded Reload
	v_mov_b32_e32 v60, 0
	s_mov_b32 s0, exec_lo
	s_waitcnt vmcnt(0)
	v_add_co_u32 v4, vcc_lo, v21, v4
	v_add_co_ci_u32_e32 v5, vcc_lo, 0, v22, vcc_lo
	flat_load_b32 v6, v[4:5]
	s_waitcnt vmcnt(0) lgkmcnt(0)
	v_dual_mov_b32 v61, 0 :: v_dual_and_b32 v4, 0xff, v6
	scratch_store_b64 off, v[60:61], s32 offset:1612 ; 8-byte Folded Spill
	v_cmpx_ne_u16_e32 0, v4
	s_cbranch_execz .LBB270_3442
; %bb.3435:                             ;   in Loop: Header=BB270_2089 Depth=1
	v_cmp_ne_u16_e32 vcc_lo, 0x80, v4
	v_bfrev_b32_e32 v4, 1
	v_mov_b32_e32 v5, 0
	scratch_store_b64 off, v[4:5], s32 offset:1612 ; 8-byte Folded Spill
	s_and_saveexec_b32 s1, vcc_lo
	s_cbranch_execz .LBB270_3441
; %bb.3436:                             ;   in Loop: Header=BB270_2089 Depth=1
	v_mov_b32_e32 v7, 0x7f800001
	v_and_b32_e32 v4, 0x7f, v6
	v_mov_b32_e32 v8, 0
	s_mov_b32 s2, exec_lo
	scratch_store_b64 off, v[7:8], s32 offset:1612 ; 8-byte Folded Spill
	v_cmpx_ne_u32_e32 0x7f, v4
	s_cbranch_execz .LBB270_3440
; %bb.3437:                             ;   in Loop: Header=BB270_2089 Depth=1
	v_and_b32_e32 v8, 7, v6
	v_lshrrev_b32_e32 v7, 3, v4
	v_cmp_gt_u32_e32 vcc_lo, 8, v4
	s_delay_alu instid0(VALU_DEP_3)
	v_dual_mov_b32 v4, v8 :: v_dual_mov_b32 v5, v9
	s_and_saveexec_b32 s3, vcc_lo
; %bb.3438:                             ;   in Loop: Header=BB270_2089 Depth=1
	v_clz_i32_u32_e32 v4, v8
	s_delay_alu instid0(VALU_DEP_1) | instskip(NEXT) | instid1(VALU_DEP_1)
	v_min_u32_e32 v7, 32, v4
	v_subrev_nc_u32_e32 v4, 28, v7
	v_sub_nc_u32_e32 v7, 29, v7
	s_delay_alu instid0(VALU_DEP_2) | instskip(NEXT) | instid1(VALU_DEP_1)
	v_lshlrev_b64 v[4:5], v4, v[8:9]
	v_and_b32_e32 v4, 7, v4
; %bb.3439:                             ;   in Loop: Header=BB270_2089 Depth=1
	s_or_b32 exec_lo, exec_lo, s3
	v_lshlrev_b32_e32 v5, 24, v6
	s_delay_alu instid0(VALU_DEP_2) | instskip(SKIP_1) | instid1(VALU_DEP_3)
	v_lshlrev_b32_e32 v4, 20, v4
	v_lshl_add_u32 v7, v7, 23, 0x3c000000
	v_and_b32_e32 v5, 0x80000000, v5
	s_delay_alu instid0(VALU_DEP_1)
	v_or3_b32 v8, v4, v5, v7
	scratch_store_b64 off, v[8:9], s32 offset:1612 ; 8-byte Folded Spill
.LBB270_3440:                           ;   in Loop: Header=BB270_2089 Depth=1
	s_or_b32 exec_lo, exec_lo, s2
.LBB270_3441:                           ;   in Loop: Header=BB270_2089 Depth=1
	s_delay_alu instid0(SALU_CYCLE_1)
	s_or_b32 exec_lo, exec_lo, s1
.LBB270_3442:                           ;   in Loop: Header=BB270_2089 Depth=1
	s_delay_alu instid0(SALU_CYCLE_1) | instskip(SKIP_2) | instid1(VALU_DEP_1)
	s_or_b32 exec_lo, exec_lo, s0
	v_lshrrev_b16 v4, 8, v6
	s_mov_b32 s0, exec_lo
	v_cmpx_ne_u16_e32 0, v4
	s_cbranch_execz .LBB270_3450
; %bb.3443:                             ;   in Loop: Header=BB270_2089 Depth=1
	v_dual_mov_b32 v61, s11 :: v_dual_mov_b32 v60, s10
	s_mov_b32 s1, exec_lo
	v_cmpx_ne_u16_e32 0x80, v4
	s_cbranch_execz .LBB270_3449
; %bb.3444:                             ;   in Loop: Header=BB270_2089 Depth=1
	s_mov_b32 s12, s10
	v_and_b32_e32 v5, 0xffff, v4
	v_dual_mov_b32 v61, s13 :: v_dual_mov_b32 v60, s12
	s_mov_b32 s2, exec_lo
	s_delay_alu instid0(VALU_DEP_2) | instskip(NEXT) | instid1(VALU_DEP_1)
	v_and_b32_e32 v4, 0x7f, v5
	v_cmpx_ne_u32_e32 0x7f, v4
	s_cbranch_execz .LBB270_3448
; %bb.3445:                             ;   in Loop: Header=BB270_2089 Depth=1
	v_and_b32_e32 v8, 7, v5
	v_lshrrev_b32_e32 v7, 3, v4
	v_cmp_gt_u32_e32 vcc_lo, 8, v4
	s_delay_alu instid0(VALU_DEP_3)
	v_dual_mov_b32 v4, v8 :: v_dual_mov_b32 v5, v9
	s_and_saveexec_b32 s3, vcc_lo
; %bb.3446:                             ;   in Loop: Header=BB270_2089 Depth=1
	v_clz_i32_u32_e32 v4, v8
	s_delay_alu instid0(VALU_DEP_1) | instskip(NEXT) | instid1(VALU_DEP_1)
	v_min_u32_e32 v7, 32, v4
	v_subrev_nc_u32_e32 v4, 28, v7
	v_sub_nc_u32_e32 v7, 29, v7
	s_delay_alu instid0(VALU_DEP_2) | instskip(NEXT) | instid1(VALU_DEP_1)
	v_lshlrev_b64 v[4:5], v4, v[8:9]
	v_and_b32_e32 v4, 7, v4
; %bb.3447:                             ;   in Loop: Header=BB270_2089 Depth=1
	s_or_b32 exec_lo, exec_lo, s3
	v_dual_mov_b32 v60, v9 :: v_dual_lshlrev_b32 v5, 16, v6
	s_delay_alu instid0(VALU_DEP_2) | instskip(SKIP_1) | instid1(VALU_DEP_3)
	v_lshlrev_b32_e32 v4, 20, v4
	v_lshl_add_u32 v7, v7, 23, 0x3c000000
	v_and_b32_e32 v5, 0x80000000, v5
	s_delay_alu instid0(VALU_DEP_1)
	v_or3_b32 v61, v4, v5, v7
.LBB270_3448:                           ;   in Loop: Header=BB270_2089 Depth=1
	s_or_b32 exec_lo, exec_lo, s2
.LBB270_3449:                           ;   in Loop: Header=BB270_2089 Depth=1
	s_delay_alu instid0(SALU_CYCLE_1)
	s_or_b32 exec_lo, exec_lo, s1
.LBB270_3450:                           ;   in Loop: Header=BB270_2089 Depth=1
	s_delay_alu instid0(SALU_CYCLE_1) | instskip(SKIP_4) | instid1(VALU_DEP_3)
	s_or_b32 exec_lo, exec_lo, s0
	v_lshrrev_b32_e32 v7, 16, v6
	v_mov_b32_e32 v72, 0
	v_mov_b32_e32 v73, 0
	s_mov_b32 s0, exec_lo
	v_and_b32_e32 v4, 0xff, v7
	scratch_store_b64 off, v[72:73], s32 offset:1620 ; 8-byte Folded Spill
	v_cmpx_ne_u16_e32 0, v4
	s_cbranch_execz .LBB270_3458
; %bb.3451:                             ;   in Loop: Header=BB270_2089 Depth=1
	v_cmp_ne_u16_e32 vcc_lo, 0x80, v4
	v_bfrev_b32_e32 v4, 1
	v_mov_b32_e32 v5, 0
	scratch_store_b64 off, v[4:5], s32 offset:1620 ; 8-byte Folded Spill
	s_and_saveexec_b32 s1, vcc_lo
	s_cbranch_execz .LBB270_3457
; %bb.3452:                             ;   in Loop: Header=BB270_2089 Depth=1
	v_mov_b32_e32 v10, 0x7f800001
	v_bfe_u32 v4, v6, 16, 7
	v_mov_b32_e32 v11, 0
	s_mov_b32 s2, exec_lo
	scratch_store_b64 off, v[10:11], s32 offset:1620 ; 8-byte Folded Spill
	v_cmpx_ne_u32_e32 0x7f, v4
	s_cbranch_execz .LBB270_3456
; %bb.3453:                             ;   in Loop: Header=BB270_2089 Depth=1
	v_and_b32_e32 v8, 7, v7
	v_lshrrev_b32_e32 v10, 3, v4
	v_cmp_gt_u32_e32 vcc_lo, 8, v4
	s_delay_alu instid0(VALU_DEP_3)
	v_dual_mov_b32 v4, v8 :: v_dual_mov_b32 v5, v9
	s_and_saveexec_b32 s3, vcc_lo
; %bb.3454:                             ;   in Loop: Header=BB270_2089 Depth=1
	v_clz_i32_u32_e32 v4, v8
	s_delay_alu instid0(VALU_DEP_1) | instskip(NEXT) | instid1(VALU_DEP_1)
	v_min_u32_e32 v10, 32, v4
	v_subrev_nc_u32_e32 v4, 28, v10
	v_sub_nc_u32_e32 v10, 29, v10
	s_delay_alu instid0(VALU_DEP_2) | instskip(NEXT) | instid1(VALU_DEP_1)
	v_lshlrev_b64 v[4:5], v4, v[8:9]
	v_and_b32_e32 v4, 7, v4
; %bb.3455:                             ;   in Loop: Header=BB270_2089 Depth=1
	s_or_b32 exec_lo, exec_lo, s3
	v_lshlrev_b32_e32 v5, 24, v7
	s_delay_alu instid0(VALU_DEP_2) | instskip(SKIP_1) | instid1(VALU_DEP_3)
	v_lshlrev_b32_e32 v4, 20, v4
	v_lshl_add_u32 v7, v10, 23, 0x3c000000
	v_and_b32_e32 v5, 0x80000000, v5
	s_delay_alu instid0(VALU_DEP_1)
	v_or3_b32 v8, v4, v5, v7
	scratch_store_b64 off, v[8:9], s32 offset:1620 ; 8-byte Folded Spill
.LBB270_3456:                           ;   in Loop: Header=BB270_2089 Depth=1
	s_or_b32 exec_lo, exec_lo, s2
.LBB270_3457:                           ;   in Loop: Header=BB270_2089 Depth=1
	s_delay_alu instid0(SALU_CYCLE_1)
	s_or_b32 exec_lo, exec_lo, s1
.LBB270_3458:                           ;   in Loop: Header=BB270_2089 Depth=1
	s_delay_alu instid0(SALU_CYCLE_1) | instskip(NEXT) | instid1(SALU_CYCLE_1)
	s_or_b32 exec_lo, exec_lo, s0
	s_mov_b32 s0, exec_lo
	v_cmpx_lt_u32_e32 0xffffff, v6
	s_cbranch_execz .LBB270_3466
; %bb.3459:                             ;   in Loop: Header=BB270_2089 Depth=1
	v_lshrrev_b32_e32 v7, 24, v6
	v_dual_mov_b32 v73, s11 :: v_dual_mov_b32 v72, s10
	s_mov_b32 s1, exec_lo
	s_delay_alu instid0(VALU_DEP_2)
	v_cmpx_ne_u32_e32 0x80, v7
	s_cbranch_execz .LBB270_3465
; %bb.3460:                             ;   in Loop: Header=BB270_2089 Depth=1
	s_mov_b32 s12, s10
	v_bfe_u32 v4, v6, 24, 7
	v_dual_mov_b32 v73, s13 :: v_dual_mov_b32 v72, s12
	s_mov_b32 s2, exec_lo
	s_delay_alu instid0(VALU_DEP_2)
	v_cmpx_ne_u32_e32 0x7f, v4
	s_cbranch_execz .LBB270_3464
; %bb.3461:                             ;   in Loop: Header=BB270_2089 Depth=1
	v_and_b32_e32 v8, 7, v7
	v_lshrrev_b32_e32 v6, 3, v4
	v_cmp_gt_u32_e32 vcc_lo, 8, v4
	s_delay_alu instid0(VALU_DEP_3)
	v_dual_mov_b32 v4, v8 :: v_dual_mov_b32 v5, v9
	s_and_saveexec_b32 s3, vcc_lo
; %bb.3462:                             ;   in Loop: Header=BB270_2089 Depth=1
	v_clz_i32_u32_e32 v4, v8
	s_delay_alu instid0(VALU_DEP_1) | instskip(NEXT) | instid1(VALU_DEP_1)
	v_min_u32_e32 v6, 32, v4
	v_subrev_nc_u32_e32 v4, 28, v6
	v_sub_nc_u32_e32 v6, 29, v6
	s_delay_alu instid0(VALU_DEP_2) | instskip(NEXT) | instid1(VALU_DEP_1)
	v_lshlrev_b64 v[4:5], v4, v[8:9]
	v_and_b32_e32 v4, 7, v4
; %bb.3463:                             ;   in Loop: Header=BB270_2089 Depth=1
	s_or_b32 exec_lo, exec_lo, s3
	v_dual_mov_b32 v72, v9 :: v_dual_lshlrev_b32 v5, 24, v7
	s_delay_alu instid0(VALU_DEP_2) | instskip(SKIP_1) | instid1(VALU_DEP_3)
	v_lshlrev_b32_e32 v4, 20, v4
	v_lshl_add_u32 v6, v6, 23, 0x3c000000
	v_and_b32_e32 v5, 0x80000000, v5
	s_delay_alu instid0(VALU_DEP_1)
	v_or3_b32 v73, v4, v5, v6
.LBB270_3464:                           ;   in Loop: Header=BB270_2089 Depth=1
	s_or_b32 exec_lo, exec_lo, s2
.LBB270_3465:                           ;   in Loop: Header=BB270_2089 Depth=1
	s_delay_alu instid0(SALU_CYCLE_1)
	s_or_b32 exec_lo, exec_lo, s1
.LBB270_3466:                           ;   in Loop: Header=BB270_2089 Depth=1
	s_delay_alu instid0(SALU_CYCLE_1)
	s_or_b32 exec_lo, exec_lo, s0
	scratch_load_b32 v4, off, s32 offset:2612 ; 4-byte Folded Reload
	v_mov_b32_e32 v76, 0
	s_mov_b32 s0, exec_lo
	s_waitcnt vmcnt(0)
	v_add_co_u32 v4, vcc_lo, v21, v4
	v_add_co_ci_u32_e32 v5, vcc_lo, 0, v22, vcc_lo
	flat_load_b32 v6, v[4:5]
	s_waitcnt vmcnt(0) lgkmcnt(0)
	v_dual_mov_b32 v77, 0 :: v_dual_and_b32 v4, 0xff, v6
	scratch_store_b64 off, v[76:77], s32 offset:1628 ; 8-byte Folded Spill
	v_cmpx_ne_u16_e32 0, v4
	s_cbranch_execz .LBB270_3474
; %bb.3467:                             ;   in Loop: Header=BB270_2089 Depth=1
	v_cmp_ne_u16_e32 vcc_lo, 0x80, v4
	v_bfrev_b32_e32 v4, 1
	v_mov_b32_e32 v5, 0
	scratch_store_b64 off, v[4:5], s32 offset:1628 ; 8-byte Folded Spill
	s_and_saveexec_b32 s1, vcc_lo
	s_cbranch_execz .LBB270_3473
; %bb.3468:                             ;   in Loop: Header=BB270_2089 Depth=1
	v_mov_b32_e32 v7, 0x7f800001
	v_and_b32_e32 v4, 0x7f, v6
	v_mov_b32_e32 v8, 0
	s_mov_b32 s2, exec_lo
	scratch_store_b64 off, v[7:8], s32 offset:1628 ; 8-byte Folded Spill
	v_cmpx_ne_u32_e32 0x7f, v4
	s_cbranch_execz .LBB270_3472
; %bb.3469:                             ;   in Loop: Header=BB270_2089 Depth=1
	v_and_b32_e32 v8, 7, v6
	v_lshrrev_b32_e32 v7, 3, v4
	v_cmp_gt_u32_e32 vcc_lo, 8, v4
	s_delay_alu instid0(VALU_DEP_3)
	v_dual_mov_b32 v4, v8 :: v_dual_mov_b32 v5, v9
	s_and_saveexec_b32 s3, vcc_lo
; %bb.3470:                             ;   in Loop: Header=BB270_2089 Depth=1
	v_clz_i32_u32_e32 v4, v8
	s_delay_alu instid0(VALU_DEP_1) | instskip(NEXT) | instid1(VALU_DEP_1)
	v_min_u32_e32 v7, 32, v4
	v_subrev_nc_u32_e32 v4, 28, v7
	v_sub_nc_u32_e32 v7, 29, v7
	s_delay_alu instid0(VALU_DEP_2) | instskip(NEXT) | instid1(VALU_DEP_1)
	v_lshlrev_b64 v[4:5], v4, v[8:9]
	v_and_b32_e32 v4, 7, v4
; %bb.3471:                             ;   in Loop: Header=BB270_2089 Depth=1
	s_or_b32 exec_lo, exec_lo, s3
	v_lshlrev_b32_e32 v5, 24, v6
	s_delay_alu instid0(VALU_DEP_2) | instskip(SKIP_1) | instid1(VALU_DEP_3)
	v_lshlrev_b32_e32 v4, 20, v4
	v_lshl_add_u32 v7, v7, 23, 0x3c000000
	v_and_b32_e32 v5, 0x80000000, v5
	s_delay_alu instid0(VALU_DEP_1)
	v_or3_b32 v8, v4, v5, v7
	scratch_store_b64 off, v[8:9], s32 offset:1628 ; 8-byte Folded Spill
.LBB270_3472:                           ;   in Loop: Header=BB270_2089 Depth=1
	s_or_b32 exec_lo, exec_lo, s2
.LBB270_3473:                           ;   in Loop: Header=BB270_2089 Depth=1
	s_delay_alu instid0(SALU_CYCLE_1)
	s_or_b32 exec_lo, exec_lo, s1
.LBB270_3474:                           ;   in Loop: Header=BB270_2089 Depth=1
	s_delay_alu instid0(SALU_CYCLE_1) | instskip(SKIP_2) | instid1(VALU_DEP_1)
	s_or_b32 exec_lo, exec_lo, s0
	v_lshrrev_b16 v4, 8, v6
	s_mov_b32 s0, exec_lo
	v_cmpx_ne_u16_e32 0, v4
	s_cbranch_execz .LBB270_3482
; %bb.3475:                             ;   in Loop: Header=BB270_2089 Depth=1
	v_dual_mov_b32 v77, s11 :: v_dual_mov_b32 v76, s10
	s_mov_b32 s1, exec_lo
	v_cmpx_ne_u16_e32 0x80, v4
	s_cbranch_execz .LBB270_3481
; %bb.3476:                             ;   in Loop: Header=BB270_2089 Depth=1
	s_mov_b32 s12, s10
	v_and_b32_e32 v5, 0xffff, v4
	v_dual_mov_b32 v77, s13 :: v_dual_mov_b32 v76, s12
	s_mov_b32 s2, exec_lo
	s_delay_alu instid0(VALU_DEP_2) | instskip(NEXT) | instid1(VALU_DEP_1)
	v_and_b32_e32 v4, 0x7f, v5
	v_cmpx_ne_u32_e32 0x7f, v4
	s_cbranch_execz .LBB270_3480
; %bb.3477:                             ;   in Loop: Header=BB270_2089 Depth=1
	v_and_b32_e32 v8, 7, v5
	v_lshrrev_b32_e32 v7, 3, v4
	v_cmp_gt_u32_e32 vcc_lo, 8, v4
	s_delay_alu instid0(VALU_DEP_3)
	v_dual_mov_b32 v4, v8 :: v_dual_mov_b32 v5, v9
	s_and_saveexec_b32 s3, vcc_lo
; %bb.3478:                             ;   in Loop: Header=BB270_2089 Depth=1
	v_clz_i32_u32_e32 v4, v8
	s_delay_alu instid0(VALU_DEP_1) | instskip(NEXT) | instid1(VALU_DEP_1)
	v_min_u32_e32 v7, 32, v4
	v_subrev_nc_u32_e32 v4, 28, v7
	v_sub_nc_u32_e32 v7, 29, v7
	s_delay_alu instid0(VALU_DEP_2) | instskip(NEXT) | instid1(VALU_DEP_1)
	v_lshlrev_b64 v[4:5], v4, v[8:9]
	v_and_b32_e32 v4, 7, v4
; %bb.3479:                             ;   in Loop: Header=BB270_2089 Depth=1
	s_or_b32 exec_lo, exec_lo, s3
	v_dual_mov_b32 v76, v9 :: v_dual_lshlrev_b32 v5, 16, v6
	s_delay_alu instid0(VALU_DEP_2) | instskip(SKIP_1) | instid1(VALU_DEP_3)
	v_lshlrev_b32_e32 v4, 20, v4
	v_lshl_add_u32 v7, v7, 23, 0x3c000000
	v_and_b32_e32 v5, 0x80000000, v5
	s_delay_alu instid0(VALU_DEP_1)
	v_or3_b32 v77, v4, v5, v7
.LBB270_3480:                           ;   in Loop: Header=BB270_2089 Depth=1
	s_or_b32 exec_lo, exec_lo, s2
.LBB270_3481:                           ;   in Loop: Header=BB270_2089 Depth=1
	s_delay_alu instid0(SALU_CYCLE_1)
	s_or_b32 exec_lo, exec_lo, s1
.LBB270_3482:                           ;   in Loop: Header=BB270_2089 Depth=1
	s_delay_alu instid0(SALU_CYCLE_1) | instskip(SKIP_4) | instid1(VALU_DEP_3)
	s_or_b32 exec_lo, exec_lo, s0
	v_lshrrev_b32_e32 v7, 16, v6
	v_mov_b32_e32 v31, 0
	v_mov_b32_e32 v32, 0
	s_mov_b32 s0, exec_lo
	v_and_b32_e32 v4, 0xff, v7
	scratch_store_b64 off, v[31:32], s32 offset:1636 ; 8-byte Folded Spill
	v_cmpx_ne_u16_e32 0, v4
	s_cbranch_execz .LBB270_3490
; %bb.3483:                             ;   in Loop: Header=BB270_2089 Depth=1
	v_cmp_ne_u16_e32 vcc_lo, 0x80, v4
	v_bfrev_b32_e32 v4, 1
	v_mov_b32_e32 v5, 0
	scratch_store_b64 off, v[4:5], s32 offset:1636 ; 8-byte Folded Spill
	s_and_saveexec_b32 s1, vcc_lo
	s_cbranch_execz .LBB270_3489
; %bb.3484:                             ;   in Loop: Header=BB270_2089 Depth=1
	v_mov_b32_e32 v10, 0x7f800001
	v_bfe_u32 v4, v6, 16, 7
	v_mov_b32_e32 v11, 0
	s_mov_b32 s2, exec_lo
	scratch_store_b64 off, v[10:11], s32 offset:1636 ; 8-byte Folded Spill
	v_cmpx_ne_u32_e32 0x7f, v4
	s_cbranch_execz .LBB270_3488
; %bb.3485:                             ;   in Loop: Header=BB270_2089 Depth=1
	v_and_b32_e32 v8, 7, v7
	v_lshrrev_b32_e32 v10, 3, v4
	v_cmp_gt_u32_e32 vcc_lo, 8, v4
	s_delay_alu instid0(VALU_DEP_3)
	v_dual_mov_b32 v4, v8 :: v_dual_mov_b32 v5, v9
	s_and_saveexec_b32 s3, vcc_lo
; %bb.3486:                             ;   in Loop: Header=BB270_2089 Depth=1
	v_clz_i32_u32_e32 v4, v8
	s_delay_alu instid0(VALU_DEP_1) | instskip(NEXT) | instid1(VALU_DEP_1)
	v_min_u32_e32 v10, 32, v4
	v_subrev_nc_u32_e32 v4, 28, v10
	v_sub_nc_u32_e32 v10, 29, v10
	s_delay_alu instid0(VALU_DEP_2) | instskip(NEXT) | instid1(VALU_DEP_1)
	v_lshlrev_b64 v[4:5], v4, v[8:9]
	v_and_b32_e32 v4, 7, v4
; %bb.3487:                             ;   in Loop: Header=BB270_2089 Depth=1
	s_or_b32 exec_lo, exec_lo, s3
	v_lshlrev_b32_e32 v5, 24, v7
	s_delay_alu instid0(VALU_DEP_2) | instskip(SKIP_1) | instid1(VALU_DEP_3)
	v_lshlrev_b32_e32 v4, 20, v4
	v_lshl_add_u32 v7, v10, 23, 0x3c000000
	v_and_b32_e32 v5, 0x80000000, v5
	s_delay_alu instid0(VALU_DEP_1)
	v_or3_b32 v8, v4, v5, v7
	scratch_store_b64 off, v[8:9], s32 offset:1636 ; 8-byte Folded Spill
.LBB270_3488:                           ;   in Loop: Header=BB270_2089 Depth=1
	s_or_b32 exec_lo, exec_lo, s2
.LBB270_3489:                           ;   in Loop: Header=BB270_2089 Depth=1
	s_delay_alu instid0(SALU_CYCLE_1)
	s_or_b32 exec_lo, exec_lo, s1
.LBB270_3490:                           ;   in Loop: Header=BB270_2089 Depth=1
	s_delay_alu instid0(SALU_CYCLE_1) | instskip(NEXT) | instid1(SALU_CYCLE_1)
	s_or_b32 exec_lo, exec_lo, s0
	s_mov_b32 s0, exec_lo
	v_cmpx_lt_u32_e32 0xffffff, v6
	s_cbranch_execz .LBB270_3498
; %bb.3491:                             ;   in Loop: Header=BB270_2089 Depth=1
	v_lshrrev_b32_e32 v7, 24, v6
	v_dual_mov_b32 v32, s11 :: v_dual_mov_b32 v31, s10
	s_mov_b32 s1, exec_lo
	s_delay_alu instid0(VALU_DEP_2)
	v_cmpx_ne_u32_e32 0x80, v7
	s_cbranch_execz .LBB270_3497
; %bb.3492:                             ;   in Loop: Header=BB270_2089 Depth=1
	s_mov_b32 s12, s10
	v_bfe_u32 v4, v6, 24, 7
	v_dual_mov_b32 v32, s13 :: v_dual_mov_b32 v31, s12
	s_mov_b32 s2, exec_lo
	s_delay_alu instid0(VALU_DEP_2)
	v_cmpx_ne_u32_e32 0x7f, v4
	s_cbranch_execz .LBB270_3496
; %bb.3493:                             ;   in Loop: Header=BB270_2089 Depth=1
	v_and_b32_e32 v8, 7, v7
	v_lshrrev_b32_e32 v6, 3, v4
	v_cmp_gt_u32_e32 vcc_lo, 8, v4
	s_delay_alu instid0(VALU_DEP_3)
	v_dual_mov_b32 v4, v8 :: v_dual_mov_b32 v5, v9
	s_and_saveexec_b32 s3, vcc_lo
; %bb.3494:                             ;   in Loop: Header=BB270_2089 Depth=1
	v_clz_i32_u32_e32 v4, v8
	s_delay_alu instid0(VALU_DEP_1) | instskip(NEXT) | instid1(VALU_DEP_1)
	v_min_u32_e32 v6, 32, v4
	v_subrev_nc_u32_e32 v4, 28, v6
	v_sub_nc_u32_e32 v6, 29, v6
	s_delay_alu instid0(VALU_DEP_2) | instskip(NEXT) | instid1(VALU_DEP_1)
	v_lshlrev_b64 v[4:5], v4, v[8:9]
	v_and_b32_e32 v4, 7, v4
; %bb.3495:                             ;   in Loop: Header=BB270_2089 Depth=1
	s_or_b32 exec_lo, exec_lo, s3
	v_lshlrev_b32_e32 v5, 24, v7
	s_delay_alu instid0(VALU_DEP_2) | instskip(SKIP_1) | instid1(VALU_DEP_3)
	v_dual_mov_b32 v31, v9 :: v_dual_lshlrev_b32 v4, 20, v4
	v_lshl_add_u32 v6, v6, 23, 0x3c000000
	v_and_b32_e32 v5, 0x80000000, v5
	s_delay_alu instid0(VALU_DEP_1)
	v_or3_b32 v32, v4, v5, v6
.LBB270_3496:                           ;   in Loop: Header=BB270_2089 Depth=1
	s_or_b32 exec_lo, exec_lo, s2
.LBB270_3497:                           ;   in Loop: Header=BB270_2089 Depth=1
	s_delay_alu instid0(SALU_CYCLE_1)
	s_or_b32 exec_lo, exec_lo, s1
.LBB270_3498:                           ;   in Loop: Header=BB270_2089 Depth=1
	s_delay_alu instid0(SALU_CYCLE_1)
	s_or_b32 exec_lo, exec_lo, s0
	scratch_load_b32 v4, off, s32 offset:2628 ; 4-byte Folded Reload
	v_mov_b32_e32 v178, 0
	s_mov_b32 s0, exec_lo
	s_waitcnt vmcnt(0)
	v_add_co_u32 v4, vcc_lo, v21, v4
	v_add_co_ci_u32_e32 v5, vcc_lo, 0, v22, vcc_lo
	flat_load_b32 v6, v[4:5]
	s_waitcnt vmcnt(0) lgkmcnt(0)
	v_dual_mov_b32 v179, 0 :: v_dual_and_b32 v4, 0xff, v6
	scratch_store_b64 off, v[178:179], s32 offset:1644 ; 8-byte Folded Spill
	v_cmpx_ne_u16_e32 0, v4
	s_cbranch_execz .LBB270_3506
; %bb.3499:                             ;   in Loop: Header=BB270_2089 Depth=1
	v_cmp_ne_u16_e32 vcc_lo, 0x80, v4
	v_bfrev_b32_e32 v4, 1
	v_mov_b32_e32 v5, 0
	scratch_store_b64 off, v[4:5], s32 offset:1644 ; 8-byte Folded Spill
	s_and_saveexec_b32 s1, vcc_lo
	s_cbranch_execz .LBB270_3505
; %bb.3500:                             ;   in Loop: Header=BB270_2089 Depth=1
	v_mov_b32_e32 v7, 0x7f800001
	v_and_b32_e32 v4, 0x7f, v6
	v_mov_b32_e32 v8, 0
	s_mov_b32 s2, exec_lo
	scratch_store_b64 off, v[7:8], s32 offset:1644 ; 8-byte Folded Spill
	v_cmpx_ne_u32_e32 0x7f, v4
	s_cbranch_execz .LBB270_3504
; %bb.3501:                             ;   in Loop: Header=BB270_2089 Depth=1
	v_and_b32_e32 v8, 7, v6
	v_lshrrev_b32_e32 v7, 3, v4
	v_cmp_gt_u32_e32 vcc_lo, 8, v4
	s_delay_alu instid0(VALU_DEP_3)
	v_dual_mov_b32 v4, v8 :: v_dual_mov_b32 v5, v9
	s_and_saveexec_b32 s3, vcc_lo
; %bb.3502:                             ;   in Loop: Header=BB270_2089 Depth=1
	v_clz_i32_u32_e32 v4, v8
	s_delay_alu instid0(VALU_DEP_1) | instskip(NEXT) | instid1(VALU_DEP_1)
	v_min_u32_e32 v7, 32, v4
	v_subrev_nc_u32_e32 v4, 28, v7
	v_sub_nc_u32_e32 v7, 29, v7
	s_delay_alu instid0(VALU_DEP_2) | instskip(NEXT) | instid1(VALU_DEP_1)
	v_lshlrev_b64 v[4:5], v4, v[8:9]
	v_and_b32_e32 v4, 7, v4
; %bb.3503:                             ;   in Loop: Header=BB270_2089 Depth=1
	s_or_b32 exec_lo, exec_lo, s3
	v_lshlrev_b32_e32 v5, 24, v6
	s_delay_alu instid0(VALU_DEP_2) | instskip(SKIP_1) | instid1(VALU_DEP_3)
	v_lshlrev_b32_e32 v4, 20, v4
	v_lshl_add_u32 v7, v7, 23, 0x3c000000
	v_and_b32_e32 v5, 0x80000000, v5
	s_delay_alu instid0(VALU_DEP_1)
	v_or3_b32 v8, v4, v5, v7
	scratch_store_b64 off, v[8:9], s32 offset:1644 ; 8-byte Folded Spill
.LBB270_3504:                           ;   in Loop: Header=BB270_2089 Depth=1
	s_or_b32 exec_lo, exec_lo, s2
.LBB270_3505:                           ;   in Loop: Header=BB270_2089 Depth=1
	s_delay_alu instid0(SALU_CYCLE_1)
	s_or_b32 exec_lo, exec_lo, s1
.LBB270_3506:                           ;   in Loop: Header=BB270_2089 Depth=1
	s_delay_alu instid0(SALU_CYCLE_1) | instskip(SKIP_2) | instid1(VALU_DEP_1)
	s_or_b32 exec_lo, exec_lo, s0
	v_lshrrev_b16 v4, 8, v6
	s_mov_b32 s0, exec_lo
	v_cmpx_ne_u16_e32 0, v4
	s_cbranch_execz .LBB270_3514
; %bb.3507:                             ;   in Loop: Header=BB270_2089 Depth=1
	v_dual_mov_b32 v179, s11 :: v_dual_mov_b32 v178, s10
	s_mov_b32 s1, exec_lo
	v_cmpx_ne_u16_e32 0x80, v4
	s_cbranch_execz .LBB270_3513
; %bb.3508:                             ;   in Loop: Header=BB270_2089 Depth=1
	s_mov_b32 s12, s10
	v_and_b32_e32 v5, 0xffff, v4
	v_dual_mov_b32 v179, s13 :: v_dual_mov_b32 v178, s12
	s_mov_b32 s2, exec_lo
	s_delay_alu instid0(VALU_DEP_2) | instskip(NEXT) | instid1(VALU_DEP_1)
	v_and_b32_e32 v4, 0x7f, v5
	v_cmpx_ne_u32_e32 0x7f, v4
	s_cbranch_execz .LBB270_3512
; %bb.3509:                             ;   in Loop: Header=BB270_2089 Depth=1
	v_and_b32_e32 v8, 7, v5
	v_lshrrev_b32_e32 v7, 3, v4
	v_cmp_gt_u32_e32 vcc_lo, 8, v4
	s_delay_alu instid0(VALU_DEP_3)
	v_dual_mov_b32 v4, v8 :: v_dual_mov_b32 v5, v9
	s_and_saveexec_b32 s3, vcc_lo
; %bb.3510:                             ;   in Loop: Header=BB270_2089 Depth=1
	v_clz_i32_u32_e32 v4, v8
	s_delay_alu instid0(VALU_DEP_1) | instskip(NEXT) | instid1(VALU_DEP_1)
	v_min_u32_e32 v7, 32, v4
	v_subrev_nc_u32_e32 v4, 28, v7
	v_sub_nc_u32_e32 v7, 29, v7
	s_delay_alu instid0(VALU_DEP_2) | instskip(NEXT) | instid1(VALU_DEP_1)
	v_lshlrev_b64 v[4:5], v4, v[8:9]
	v_and_b32_e32 v4, 7, v4
; %bb.3511:                             ;   in Loop: Header=BB270_2089 Depth=1
	s_or_b32 exec_lo, exec_lo, s3
	v_dual_mov_b32 v178, v9 :: v_dual_lshlrev_b32 v5, 16, v6
	s_delay_alu instid0(VALU_DEP_2) | instskip(SKIP_1) | instid1(VALU_DEP_3)
	v_lshlrev_b32_e32 v4, 20, v4
	v_lshl_add_u32 v7, v7, 23, 0x3c000000
	v_and_b32_e32 v5, 0x80000000, v5
	s_delay_alu instid0(VALU_DEP_1)
	v_or3_b32 v179, v4, v5, v7
.LBB270_3512:                           ;   in Loop: Header=BB270_2089 Depth=1
	s_or_b32 exec_lo, exec_lo, s2
.LBB270_3513:                           ;   in Loop: Header=BB270_2089 Depth=1
	s_delay_alu instid0(SALU_CYCLE_1)
	s_or_b32 exec_lo, exec_lo, s1
.LBB270_3514:                           ;   in Loop: Header=BB270_2089 Depth=1
	s_delay_alu instid0(SALU_CYCLE_1) | instskip(SKIP_4) | instid1(VALU_DEP_3)
	s_or_b32 exec_lo, exec_lo, s0
	v_lshrrev_b32_e32 v7, 16, v6
	v_mov_b32_e32 v23, 0
	v_mov_b32_e32 v24, 0
	s_mov_b32 s0, exec_lo
	v_and_b32_e32 v4, 0xff, v7
	scratch_store_b64 off, v[23:24], s32 offset:1652 ; 8-byte Folded Spill
	v_cmpx_ne_u16_e32 0, v4
	s_cbranch_execz .LBB270_3522
; %bb.3515:                             ;   in Loop: Header=BB270_2089 Depth=1
	v_cmp_ne_u16_e32 vcc_lo, 0x80, v4
	v_bfrev_b32_e32 v4, 1
	v_mov_b32_e32 v5, 0
	scratch_store_b64 off, v[4:5], s32 offset:1652 ; 8-byte Folded Spill
	s_and_saveexec_b32 s1, vcc_lo
	s_cbranch_execz .LBB270_3521
; %bb.3516:                             ;   in Loop: Header=BB270_2089 Depth=1
	v_mov_b32_e32 v10, 0x7f800001
	v_bfe_u32 v4, v6, 16, 7
	v_mov_b32_e32 v11, 0
	s_mov_b32 s2, exec_lo
	scratch_store_b64 off, v[10:11], s32 offset:1652 ; 8-byte Folded Spill
	v_cmpx_ne_u32_e32 0x7f, v4
	s_cbranch_execz .LBB270_3520
; %bb.3517:                             ;   in Loop: Header=BB270_2089 Depth=1
	v_and_b32_e32 v8, 7, v7
	v_lshrrev_b32_e32 v10, 3, v4
	v_cmp_gt_u32_e32 vcc_lo, 8, v4
	s_delay_alu instid0(VALU_DEP_3)
	v_dual_mov_b32 v4, v8 :: v_dual_mov_b32 v5, v9
	s_and_saveexec_b32 s3, vcc_lo
; %bb.3518:                             ;   in Loop: Header=BB270_2089 Depth=1
	v_clz_i32_u32_e32 v4, v8
	s_delay_alu instid0(VALU_DEP_1) | instskip(NEXT) | instid1(VALU_DEP_1)
	v_min_u32_e32 v10, 32, v4
	v_subrev_nc_u32_e32 v4, 28, v10
	v_sub_nc_u32_e32 v10, 29, v10
	s_delay_alu instid0(VALU_DEP_2) | instskip(NEXT) | instid1(VALU_DEP_1)
	v_lshlrev_b64 v[4:5], v4, v[8:9]
	v_and_b32_e32 v4, 7, v4
; %bb.3519:                             ;   in Loop: Header=BB270_2089 Depth=1
	s_or_b32 exec_lo, exec_lo, s3
	v_lshlrev_b32_e32 v5, 24, v7
	s_delay_alu instid0(VALU_DEP_2) | instskip(SKIP_1) | instid1(VALU_DEP_3)
	v_lshlrev_b32_e32 v4, 20, v4
	v_lshl_add_u32 v7, v10, 23, 0x3c000000
	v_and_b32_e32 v5, 0x80000000, v5
	s_delay_alu instid0(VALU_DEP_1)
	v_or3_b32 v8, v4, v5, v7
	scratch_store_b64 off, v[8:9], s32 offset:1652 ; 8-byte Folded Spill
.LBB270_3520:                           ;   in Loop: Header=BB270_2089 Depth=1
	s_or_b32 exec_lo, exec_lo, s2
.LBB270_3521:                           ;   in Loop: Header=BB270_2089 Depth=1
	s_delay_alu instid0(SALU_CYCLE_1)
	s_or_b32 exec_lo, exec_lo, s1
.LBB270_3522:                           ;   in Loop: Header=BB270_2089 Depth=1
	s_delay_alu instid0(SALU_CYCLE_1) | instskip(NEXT) | instid1(SALU_CYCLE_1)
	s_or_b32 exec_lo, exec_lo, s0
	s_mov_b32 s0, exec_lo
	v_cmpx_lt_u32_e32 0xffffff, v6
	s_cbranch_execz .LBB270_3530
; %bb.3523:                             ;   in Loop: Header=BB270_2089 Depth=1
	v_lshrrev_b32_e32 v7, 24, v6
	v_dual_mov_b32 v24, s11 :: v_dual_mov_b32 v23, s10
	s_mov_b32 s1, exec_lo
	s_delay_alu instid0(VALU_DEP_2)
	v_cmpx_ne_u32_e32 0x80, v7
	s_cbranch_execz .LBB270_3529
; %bb.3524:                             ;   in Loop: Header=BB270_2089 Depth=1
	s_mov_b32 s12, s10
	v_bfe_u32 v4, v6, 24, 7
	v_dual_mov_b32 v24, s13 :: v_dual_mov_b32 v23, s12
	s_mov_b32 s2, exec_lo
	s_delay_alu instid0(VALU_DEP_2)
	v_cmpx_ne_u32_e32 0x7f, v4
	s_cbranch_execz .LBB270_3528
; %bb.3525:                             ;   in Loop: Header=BB270_2089 Depth=1
	v_and_b32_e32 v8, 7, v7
	v_lshrrev_b32_e32 v6, 3, v4
	v_cmp_gt_u32_e32 vcc_lo, 8, v4
	s_delay_alu instid0(VALU_DEP_3)
	v_dual_mov_b32 v4, v8 :: v_dual_mov_b32 v5, v9
	s_and_saveexec_b32 s3, vcc_lo
; %bb.3526:                             ;   in Loop: Header=BB270_2089 Depth=1
	v_clz_i32_u32_e32 v4, v8
	s_delay_alu instid0(VALU_DEP_1) | instskip(NEXT) | instid1(VALU_DEP_1)
	v_min_u32_e32 v6, 32, v4
	v_subrev_nc_u32_e32 v4, 28, v6
	v_sub_nc_u32_e32 v6, 29, v6
	s_delay_alu instid0(VALU_DEP_2) | instskip(NEXT) | instid1(VALU_DEP_1)
	v_lshlrev_b64 v[4:5], v4, v[8:9]
	v_and_b32_e32 v4, 7, v4
; %bb.3527:                             ;   in Loop: Header=BB270_2089 Depth=1
	s_or_b32 exec_lo, exec_lo, s3
	v_lshlrev_b32_e32 v5, 24, v7
	s_delay_alu instid0(VALU_DEP_2) | instskip(SKIP_1) | instid1(VALU_DEP_3)
	v_dual_mov_b32 v23, v9 :: v_dual_lshlrev_b32 v4, 20, v4
	v_lshl_add_u32 v6, v6, 23, 0x3c000000
	v_and_b32_e32 v5, 0x80000000, v5
	s_delay_alu instid0(VALU_DEP_1)
	v_or3_b32 v24, v4, v5, v6
.LBB270_3528:                           ;   in Loop: Header=BB270_2089 Depth=1
	s_or_b32 exec_lo, exec_lo, s2
.LBB270_3529:                           ;   in Loop: Header=BB270_2089 Depth=1
	s_delay_alu instid0(SALU_CYCLE_1)
	s_or_b32 exec_lo, exec_lo, s1
.LBB270_3530:                           ;   in Loop: Header=BB270_2089 Depth=1
	s_delay_alu instid0(SALU_CYCLE_1)
	s_or_b32 exec_lo, exec_lo, s0
	scratch_load_b32 v4, off, s32 offset:2644 ; 4-byte Folded Reload
	v_mov_b32_e32 v84, 0
	s_mov_b32 s0, exec_lo
	s_waitcnt vmcnt(0)
	v_add_co_u32 v4, vcc_lo, v21, v4
	v_add_co_ci_u32_e32 v5, vcc_lo, 0, v22, vcc_lo
	flat_load_b32 v6, v[4:5]
	s_waitcnt vmcnt(0) lgkmcnt(0)
	v_dual_mov_b32 v85, 0 :: v_dual_and_b32 v4, 0xff, v6
	s_delay_alu instid0(VALU_DEP_1) | instskip(NEXT) | instid1(VALU_DEP_2)
	v_dual_mov_b32 v121, v85 :: v_dual_mov_b32 v120, v84
	v_cmpx_ne_u16_e32 0, v4
	s_cbranch_execz .LBB270_3538
; %bb.3531:                             ;   in Loop: Header=BB270_2089 Depth=1
	v_bfrev_b32_e32 v120, 1
	v_mov_b32_e32 v121, 0
	s_mov_b32 s1, exec_lo
	v_cmpx_ne_u16_e32 0x80, v4
	s_cbranch_execz .LBB270_3537
; %bb.3532:                             ;   in Loop: Header=BB270_2089 Depth=1
	v_mov_b32_e32 v120, 0x7f800001
	v_dual_mov_b32 v121, 0 :: v_dual_and_b32 v4, 0x7f, v6
	s_mov_b32 s2, exec_lo
	s_delay_alu instid0(VALU_DEP_1)
	v_cmpx_ne_u32_e32 0x7f, v4
	s_cbranch_execz .LBB270_3536
; %bb.3533:                             ;   in Loop: Header=BB270_2089 Depth=1
	v_and_b32_e32 v8, 7, v6
	v_lshrrev_b32_e32 v7, 3, v4
	v_cmp_gt_u32_e32 vcc_lo, 8, v4
	s_delay_alu instid0(VALU_DEP_3)
	v_dual_mov_b32 v4, v8 :: v_dual_mov_b32 v5, v9
	s_and_saveexec_b32 s3, vcc_lo
; %bb.3534:                             ;   in Loop: Header=BB270_2089 Depth=1
	v_clz_i32_u32_e32 v4, v8
	s_delay_alu instid0(VALU_DEP_1) | instskip(NEXT) | instid1(VALU_DEP_1)
	v_min_u32_e32 v7, 32, v4
	v_subrev_nc_u32_e32 v4, 28, v7
	v_sub_nc_u32_e32 v7, 29, v7
	s_delay_alu instid0(VALU_DEP_2) | instskip(NEXT) | instid1(VALU_DEP_1)
	v_lshlrev_b64 v[4:5], v4, v[8:9]
	v_and_b32_e32 v4, 7, v4
; %bb.3535:                             ;   in Loop: Header=BB270_2089 Depth=1
	s_or_b32 exec_lo, exec_lo, s3
	v_lshlrev_b32_e32 v5, 24, v6
	s_delay_alu instid0(VALU_DEP_2) | instskip(SKIP_1) | instid1(VALU_DEP_3)
	v_lshlrev_b32_e32 v4, 20, v4
	v_lshl_add_u32 v7, v7, 23, 0x3c000000
	v_and_b32_e32 v5, 0x80000000, v5
	s_delay_alu instid0(VALU_DEP_1) | instskip(NEXT) | instid1(VALU_DEP_1)
	v_or3_b32 v8, v4, v5, v7
	v_dual_mov_b32 v121, v9 :: v_dual_mov_b32 v120, v8
.LBB270_3536:                           ;   in Loop: Header=BB270_2089 Depth=1
	s_or_b32 exec_lo, exec_lo, s2
.LBB270_3537:                           ;   in Loop: Header=BB270_2089 Depth=1
	s_delay_alu instid0(SALU_CYCLE_1)
	s_or_b32 exec_lo, exec_lo, s1
.LBB270_3538:                           ;   in Loop: Header=BB270_2089 Depth=1
	s_delay_alu instid0(SALU_CYCLE_1) | instskip(SKIP_2) | instid1(VALU_DEP_1)
	s_or_b32 exec_lo, exec_lo, s0
	v_lshrrev_b16 v4, 8, v6
	s_mov_b32 s0, exec_lo
	v_cmpx_ne_u16_e32 0, v4
	s_cbranch_execz .LBB270_3546
; %bb.3539:                             ;   in Loop: Header=BB270_2089 Depth=1
	v_dual_mov_b32 v85, s11 :: v_dual_mov_b32 v84, s10
	s_mov_b32 s1, exec_lo
	v_cmpx_ne_u16_e32 0x80, v4
	s_cbranch_execz .LBB270_3545
; %bb.3540:                             ;   in Loop: Header=BB270_2089 Depth=1
	s_mov_b32 s12, s10
	v_and_b32_e32 v5, 0xffff, v4
	v_dual_mov_b32 v85, s13 :: v_dual_mov_b32 v84, s12
	s_mov_b32 s2, exec_lo
	s_delay_alu instid0(VALU_DEP_2) | instskip(NEXT) | instid1(VALU_DEP_1)
	v_and_b32_e32 v4, 0x7f, v5
	v_cmpx_ne_u32_e32 0x7f, v4
	s_cbranch_execz .LBB270_3544
; %bb.3541:                             ;   in Loop: Header=BB270_2089 Depth=1
	v_and_b32_e32 v8, 7, v5
	v_lshrrev_b32_e32 v7, 3, v4
	v_cmp_gt_u32_e32 vcc_lo, 8, v4
	s_delay_alu instid0(VALU_DEP_3)
	v_dual_mov_b32 v4, v8 :: v_dual_mov_b32 v5, v9
	s_and_saveexec_b32 s3, vcc_lo
; %bb.3542:                             ;   in Loop: Header=BB270_2089 Depth=1
	v_clz_i32_u32_e32 v4, v8
	s_delay_alu instid0(VALU_DEP_1) | instskip(NEXT) | instid1(VALU_DEP_1)
	v_min_u32_e32 v7, 32, v4
	v_subrev_nc_u32_e32 v4, 28, v7
	v_sub_nc_u32_e32 v7, 29, v7
	s_delay_alu instid0(VALU_DEP_2) | instskip(NEXT) | instid1(VALU_DEP_1)
	v_lshlrev_b64 v[4:5], v4, v[8:9]
	v_and_b32_e32 v4, 7, v4
; %bb.3543:                             ;   in Loop: Header=BB270_2089 Depth=1
	s_or_b32 exec_lo, exec_lo, s3
	v_dual_mov_b32 v84, v9 :: v_dual_lshlrev_b32 v5, 16, v6
	s_delay_alu instid0(VALU_DEP_2) | instskip(SKIP_1) | instid1(VALU_DEP_3)
	v_lshlrev_b32_e32 v4, 20, v4
	v_lshl_add_u32 v7, v7, 23, 0x3c000000
	v_and_b32_e32 v5, 0x80000000, v5
	s_delay_alu instid0(VALU_DEP_1)
	v_or3_b32 v85, v4, v5, v7
.LBB270_3544:                           ;   in Loop: Header=BB270_2089 Depth=1
	s_or_b32 exec_lo, exec_lo, s2
.LBB270_3545:                           ;   in Loop: Header=BB270_2089 Depth=1
	s_delay_alu instid0(SALU_CYCLE_1)
	s_or_b32 exec_lo, exec_lo, s1
.LBB270_3546:                           ;   in Loop: Header=BB270_2089 Depth=1
	s_delay_alu instid0(SALU_CYCLE_1) | instskip(SKIP_4) | instid1(VALU_DEP_2)
	s_or_b32 exec_lo, exec_lo, s0
	v_mov_b32_e32 v124, 0
	v_lshrrev_b32_e32 v7, 16, v6
	v_mov_b32_e32 v125, 0
	s_mov_b32 s0, exec_lo
	v_and_b32_e32 v4, 0xff, v7
	s_delay_alu instid0(VALU_DEP_2) | instskip(NEXT) | instid1(VALU_DEP_2)
	v_dual_mov_b32 v14, v124 :: v_dual_mov_b32 v15, v125
	v_cmpx_ne_u16_e32 0, v4
	s_cbranch_execz .LBB270_3554
; %bb.3547:                             ;   in Loop: Header=BB270_2089 Depth=1
	v_bfrev_b32_e32 v14, 1
	v_mov_b32_e32 v15, 0
	s_mov_b32 s1, exec_lo
	v_cmpx_ne_u16_e32 0x80, v4
	s_cbranch_execz .LBB270_3553
; %bb.3548:                             ;   in Loop: Header=BB270_2089 Depth=1
	v_mov_b32_e32 v14, 0x7f800001
	v_bfe_u32 v4, v6, 16, 7
	v_mov_b32_e32 v15, 0
	s_mov_b32 s2, exec_lo
	s_delay_alu instid0(VALU_DEP_2)
	v_cmpx_ne_u32_e32 0x7f, v4
	s_cbranch_execz .LBB270_3552
; %bb.3549:                             ;   in Loop: Header=BB270_2089 Depth=1
	v_and_b32_e32 v8, 7, v7
	v_lshrrev_b32_e32 v10, 3, v4
	v_cmp_gt_u32_e32 vcc_lo, 8, v4
	s_delay_alu instid0(VALU_DEP_3)
	v_dual_mov_b32 v4, v8 :: v_dual_mov_b32 v5, v9
	s_and_saveexec_b32 s3, vcc_lo
; %bb.3550:                             ;   in Loop: Header=BB270_2089 Depth=1
	v_clz_i32_u32_e32 v4, v8
	s_delay_alu instid0(VALU_DEP_1) | instskip(NEXT) | instid1(VALU_DEP_1)
	v_min_u32_e32 v10, 32, v4
	v_subrev_nc_u32_e32 v4, 28, v10
	v_sub_nc_u32_e32 v10, 29, v10
	s_delay_alu instid0(VALU_DEP_2) | instskip(NEXT) | instid1(VALU_DEP_1)
	v_lshlrev_b64 v[4:5], v4, v[8:9]
	v_and_b32_e32 v4, 7, v4
; %bb.3551:                             ;   in Loop: Header=BB270_2089 Depth=1
	s_or_b32 exec_lo, exec_lo, s3
	v_lshlrev_b32_e32 v5, 24, v7
	s_delay_alu instid0(VALU_DEP_2) | instskip(SKIP_1) | instid1(VALU_DEP_3)
	v_lshlrev_b32_e32 v4, 20, v4
	v_lshl_add_u32 v7, v10, 23, 0x3c000000
	v_and_b32_e32 v5, 0x80000000, v5
	s_delay_alu instid0(VALU_DEP_1) | instskip(NEXT) | instid1(VALU_DEP_1)
	v_or3_b32 v8, v4, v5, v7
	v_dual_mov_b32 v15, v9 :: v_dual_mov_b32 v14, v8
.LBB270_3552:                           ;   in Loop: Header=BB270_2089 Depth=1
	s_or_b32 exec_lo, exec_lo, s2
.LBB270_3553:                           ;   in Loop: Header=BB270_2089 Depth=1
	s_delay_alu instid0(SALU_CYCLE_1)
	s_or_b32 exec_lo, exec_lo, s1
.LBB270_3554:                           ;   in Loop: Header=BB270_2089 Depth=1
	s_delay_alu instid0(SALU_CYCLE_1) | instskip(NEXT) | instid1(SALU_CYCLE_1)
	s_or_b32 exec_lo, exec_lo, s0
	s_mov_b32 s0, exec_lo
	v_cmpx_lt_u32_e32 0xffffff, v6
	s_cbranch_execz .LBB270_3562
; %bb.3555:                             ;   in Loop: Header=BB270_2089 Depth=1
	v_lshrrev_b32_e32 v7, 24, v6
	v_dual_mov_b32 v125, s11 :: v_dual_mov_b32 v124, s10
	s_mov_b32 s1, exec_lo
	s_delay_alu instid0(VALU_DEP_2)
	v_cmpx_ne_u32_e32 0x80, v7
	s_cbranch_execz .LBB270_3561
; %bb.3556:                             ;   in Loop: Header=BB270_2089 Depth=1
	s_mov_b32 s12, s10
	v_bfe_u32 v4, v6, 24, 7
	v_dual_mov_b32 v125, s13 :: v_dual_mov_b32 v124, s12
	s_mov_b32 s2, exec_lo
	s_delay_alu instid0(VALU_DEP_2)
	v_cmpx_ne_u32_e32 0x7f, v4
	s_cbranch_execz .LBB270_3560
; %bb.3557:                             ;   in Loop: Header=BB270_2089 Depth=1
	v_and_b32_e32 v8, 7, v7
	v_lshrrev_b32_e32 v6, 3, v4
	v_cmp_gt_u32_e32 vcc_lo, 8, v4
	s_delay_alu instid0(VALU_DEP_3)
	v_dual_mov_b32 v4, v8 :: v_dual_mov_b32 v5, v9
	s_and_saveexec_b32 s3, vcc_lo
; %bb.3558:                             ;   in Loop: Header=BB270_2089 Depth=1
	v_clz_i32_u32_e32 v4, v8
	s_delay_alu instid0(VALU_DEP_1) | instskip(NEXT) | instid1(VALU_DEP_1)
	v_min_u32_e32 v6, 32, v4
	v_subrev_nc_u32_e32 v4, 28, v6
	v_sub_nc_u32_e32 v6, 29, v6
	s_delay_alu instid0(VALU_DEP_2) | instskip(NEXT) | instid1(VALU_DEP_1)
	v_lshlrev_b64 v[4:5], v4, v[8:9]
	v_and_b32_e32 v4, 7, v4
; %bb.3559:                             ;   in Loop: Header=BB270_2089 Depth=1
	s_or_b32 exec_lo, exec_lo, s3
	v_dual_mov_b32 v124, v9 :: v_dual_lshlrev_b32 v5, 24, v7
	s_delay_alu instid0(VALU_DEP_2) | instskip(SKIP_1) | instid1(VALU_DEP_3)
	v_lshlrev_b32_e32 v4, 20, v4
	v_lshl_add_u32 v6, v6, 23, 0x3c000000
	v_and_b32_e32 v5, 0x80000000, v5
	s_delay_alu instid0(VALU_DEP_1)
	v_or3_b32 v125, v4, v5, v6
.LBB270_3560:                           ;   in Loop: Header=BB270_2089 Depth=1
	s_or_b32 exec_lo, exec_lo, s2
.LBB270_3561:                           ;   in Loop: Header=BB270_2089 Depth=1
	s_delay_alu instid0(SALU_CYCLE_1)
	s_or_b32 exec_lo, exec_lo, s1
.LBB270_3562:                           ;   in Loop: Header=BB270_2089 Depth=1
	s_delay_alu instid0(SALU_CYCLE_1)
	s_or_b32 exec_lo, exec_lo, s0
	scratch_load_b32 v4, off, s32 offset:2660 ; 4-byte Folded Reload
	v_mov_b32_e32 v136, 0
	s_mov_b32 s0, exec_lo
	s_waitcnt vmcnt(0)
	v_add_co_u32 v4, vcc_lo, v21, v4
	v_add_co_ci_u32_e32 v5, vcc_lo, 0, v22, vcc_lo
	flat_load_b32 v6, v[4:5]
	s_waitcnt vmcnt(0) lgkmcnt(0)
	v_dual_mov_b32 v137, 0 :: v_dual_and_b32 v4, 0xff, v6
	s_delay_alu instid0(VALU_DEP_1) | instskip(NEXT) | instid1(VALU_DEP_2)
	v_dual_mov_b32 v86, v136 :: v_dual_mov_b32 v87, v137
	v_cmpx_ne_u16_e32 0, v4
	s_cbranch_execz .LBB270_3570
; %bb.3563:                             ;   in Loop: Header=BB270_2089 Depth=1
	v_bfrev_b32_e32 v86, 1
	v_mov_b32_e32 v87, 0
	s_mov_b32 s1, exec_lo
	v_cmpx_ne_u16_e32 0x80, v4
	s_cbranch_execz .LBB270_3569
; %bb.3564:                             ;   in Loop: Header=BB270_2089 Depth=1
	v_mov_b32_e32 v86, 0x7f800001
	v_dual_mov_b32 v87, 0 :: v_dual_and_b32 v4, 0x7f, v6
	s_mov_b32 s2, exec_lo
	s_delay_alu instid0(VALU_DEP_1)
	v_cmpx_ne_u32_e32 0x7f, v4
	s_cbranch_execz .LBB270_3568
; %bb.3565:                             ;   in Loop: Header=BB270_2089 Depth=1
	v_and_b32_e32 v8, 7, v6
	v_lshrrev_b32_e32 v7, 3, v4
	v_cmp_gt_u32_e32 vcc_lo, 8, v4
	s_delay_alu instid0(VALU_DEP_3)
	v_dual_mov_b32 v4, v8 :: v_dual_mov_b32 v5, v9
	s_and_saveexec_b32 s3, vcc_lo
; %bb.3566:                             ;   in Loop: Header=BB270_2089 Depth=1
	v_clz_i32_u32_e32 v4, v8
	s_delay_alu instid0(VALU_DEP_1) | instskip(NEXT) | instid1(VALU_DEP_1)
	v_min_u32_e32 v7, 32, v4
	v_subrev_nc_u32_e32 v4, 28, v7
	v_sub_nc_u32_e32 v7, 29, v7
	s_delay_alu instid0(VALU_DEP_2) | instskip(NEXT) | instid1(VALU_DEP_1)
	v_lshlrev_b64 v[4:5], v4, v[8:9]
	v_and_b32_e32 v4, 7, v4
; %bb.3567:                             ;   in Loop: Header=BB270_2089 Depth=1
	s_or_b32 exec_lo, exec_lo, s3
	v_lshlrev_b32_e32 v5, 24, v6
	s_delay_alu instid0(VALU_DEP_2) | instskip(SKIP_1) | instid1(VALU_DEP_3)
	v_lshlrev_b32_e32 v4, 20, v4
	v_lshl_add_u32 v7, v7, 23, 0x3c000000
	v_and_b32_e32 v5, 0x80000000, v5
	s_delay_alu instid0(VALU_DEP_1) | instskip(NEXT) | instid1(VALU_DEP_1)
	v_or3_b32 v8, v4, v5, v7
	v_dual_mov_b32 v87, v9 :: v_dual_mov_b32 v86, v8
.LBB270_3568:                           ;   in Loop: Header=BB270_2089 Depth=1
	s_or_b32 exec_lo, exec_lo, s2
.LBB270_3569:                           ;   in Loop: Header=BB270_2089 Depth=1
	s_delay_alu instid0(SALU_CYCLE_1)
	s_or_b32 exec_lo, exec_lo, s1
.LBB270_3570:                           ;   in Loop: Header=BB270_2089 Depth=1
	s_delay_alu instid0(SALU_CYCLE_1) | instskip(SKIP_2) | instid1(VALU_DEP_1)
	s_or_b32 exec_lo, exec_lo, s0
	v_lshrrev_b16 v4, 8, v6
	s_mov_b32 s0, exec_lo
	v_cmpx_ne_u16_e32 0, v4
	s_cbranch_execz .LBB270_3578
; %bb.3571:                             ;   in Loop: Header=BB270_2089 Depth=1
	v_dual_mov_b32 v137, s11 :: v_dual_mov_b32 v136, s10
	s_mov_b32 s1, exec_lo
	v_cmpx_ne_u16_e32 0x80, v4
	s_cbranch_execz .LBB270_3577
; %bb.3572:                             ;   in Loop: Header=BB270_2089 Depth=1
	s_mov_b32 s12, s10
	v_and_b32_e32 v5, 0xffff, v4
	v_dual_mov_b32 v137, s13 :: v_dual_mov_b32 v136, s12
	s_mov_b32 s2, exec_lo
	s_delay_alu instid0(VALU_DEP_2) | instskip(NEXT) | instid1(VALU_DEP_1)
	v_and_b32_e32 v4, 0x7f, v5
	v_cmpx_ne_u32_e32 0x7f, v4
	s_cbranch_execz .LBB270_3576
; %bb.3573:                             ;   in Loop: Header=BB270_2089 Depth=1
	v_and_b32_e32 v8, 7, v5
	v_lshrrev_b32_e32 v7, 3, v4
	v_cmp_gt_u32_e32 vcc_lo, 8, v4
	s_delay_alu instid0(VALU_DEP_3)
	v_dual_mov_b32 v4, v8 :: v_dual_mov_b32 v5, v9
	s_and_saveexec_b32 s3, vcc_lo
; %bb.3574:                             ;   in Loop: Header=BB270_2089 Depth=1
	v_clz_i32_u32_e32 v4, v8
	s_delay_alu instid0(VALU_DEP_1) | instskip(NEXT) | instid1(VALU_DEP_1)
	v_min_u32_e32 v7, 32, v4
	v_subrev_nc_u32_e32 v4, 28, v7
	v_sub_nc_u32_e32 v7, 29, v7
	s_delay_alu instid0(VALU_DEP_2) | instskip(NEXT) | instid1(VALU_DEP_1)
	v_lshlrev_b64 v[4:5], v4, v[8:9]
	v_and_b32_e32 v4, 7, v4
; %bb.3575:                             ;   in Loop: Header=BB270_2089 Depth=1
	s_or_b32 exec_lo, exec_lo, s3
	v_dual_mov_b32 v136, v9 :: v_dual_lshlrev_b32 v5, 16, v6
	s_delay_alu instid0(VALU_DEP_2) | instskip(SKIP_1) | instid1(VALU_DEP_3)
	v_lshlrev_b32_e32 v4, 20, v4
	v_lshl_add_u32 v7, v7, 23, 0x3c000000
	v_and_b32_e32 v5, 0x80000000, v5
	s_delay_alu instid0(VALU_DEP_1)
	v_or3_b32 v137, v4, v5, v7
.LBB270_3576:                           ;   in Loop: Header=BB270_2089 Depth=1
	s_or_b32 exec_lo, exec_lo, s2
.LBB270_3577:                           ;   in Loop: Header=BB270_2089 Depth=1
	s_delay_alu instid0(SALU_CYCLE_1)
	s_or_b32 exec_lo, exec_lo, s1
.LBB270_3578:                           ;   in Loop: Header=BB270_2089 Depth=1
	s_delay_alu instid0(SALU_CYCLE_1) | instskip(SKIP_4) | instid1(VALU_DEP_2)
	s_or_b32 exec_lo, exec_lo, s0
	v_mov_b32_e32 v140, 0
	v_lshrrev_b32_e32 v7, 16, v6
	v_mov_b32_e32 v141, 0
	s_mov_b32 s0, exec_lo
	v_and_b32_e32 v4, 0xff, v7
	s_delay_alu instid0(VALU_DEP_2) | instskip(NEXT) | instid1(VALU_DEP_2)
	v_dual_mov_b32 v10, v140 :: v_dual_mov_b32 v11, v141
	v_cmpx_ne_u16_e32 0, v4
	s_cbranch_execz .LBB270_3586
; %bb.3579:                             ;   in Loop: Header=BB270_2089 Depth=1
	v_bfrev_b32_e32 v10, 1
	v_mov_b32_e32 v11, 0
	s_mov_b32 s1, exec_lo
	v_cmpx_ne_u16_e32 0x80, v4
	s_cbranch_execz .LBB270_3585
; %bb.3580:                             ;   in Loop: Header=BB270_2089 Depth=1
	v_mov_b32_e32 v10, 0x7f800001
	v_bfe_u32 v4, v6, 16, 7
	v_mov_b32_e32 v11, 0
	s_mov_b32 s2, exec_lo
	s_delay_alu instid0(VALU_DEP_2)
	v_cmpx_ne_u32_e32 0x7f, v4
	s_cbranch_execz .LBB270_3584
; %bb.3581:                             ;   in Loop: Header=BB270_2089 Depth=1
	v_and_b32_e32 v8, 7, v7
	v_lshrrev_b32_e32 v10, 3, v4
	v_cmp_gt_u32_e32 vcc_lo, 8, v4
	s_delay_alu instid0(VALU_DEP_3)
	v_dual_mov_b32 v4, v8 :: v_dual_mov_b32 v5, v9
	s_and_saveexec_b32 s3, vcc_lo
; %bb.3582:                             ;   in Loop: Header=BB270_2089 Depth=1
	v_clz_i32_u32_e32 v4, v8
	s_delay_alu instid0(VALU_DEP_1) | instskip(NEXT) | instid1(VALU_DEP_1)
	v_min_u32_e32 v10, 32, v4
	v_subrev_nc_u32_e32 v4, 28, v10
	v_sub_nc_u32_e32 v10, 29, v10
	s_delay_alu instid0(VALU_DEP_2) | instskip(NEXT) | instid1(VALU_DEP_1)
	v_lshlrev_b64 v[4:5], v4, v[8:9]
	v_and_b32_e32 v4, 7, v4
; %bb.3583:                             ;   in Loop: Header=BB270_2089 Depth=1
	s_or_b32 exec_lo, exec_lo, s3
	v_lshlrev_b32_e32 v5, 24, v7
	s_delay_alu instid0(VALU_DEP_2) | instskip(SKIP_1) | instid1(VALU_DEP_3)
	v_lshlrev_b32_e32 v4, 20, v4
	v_lshl_add_u32 v7, v10, 23, 0x3c000000
	v_and_b32_e32 v5, 0x80000000, v5
	s_delay_alu instid0(VALU_DEP_1) | instskip(NEXT) | instid1(VALU_DEP_1)
	v_or3_b32 v8, v4, v5, v7
	v_dual_mov_b32 v11, v9 :: v_dual_mov_b32 v10, v8
.LBB270_3584:                           ;   in Loop: Header=BB270_2089 Depth=1
	s_or_b32 exec_lo, exec_lo, s2
.LBB270_3585:                           ;   in Loop: Header=BB270_2089 Depth=1
	s_delay_alu instid0(SALU_CYCLE_1)
	s_or_b32 exec_lo, exec_lo, s1
.LBB270_3586:                           ;   in Loop: Header=BB270_2089 Depth=1
	s_delay_alu instid0(SALU_CYCLE_1) | instskip(NEXT) | instid1(SALU_CYCLE_1)
	s_or_b32 exec_lo, exec_lo, s0
	s_mov_b32 s0, exec_lo
	v_cmpx_lt_u32_e32 0xffffff, v6
	s_cbranch_execz .LBB270_3594
; %bb.3587:                             ;   in Loop: Header=BB270_2089 Depth=1
	v_lshrrev_b32_e32 v7, 24, v6
	v_dual_mov_b32 v141, s11 :: v_dual_mov_b32 v140, s10
	s_mov_b32 s1, exec_lo
	s_delay_alu instid0(VALU_DEP_2)
	v_cmpx_ne_u32_e32 0x80, v7
	s_cbranch_execz .LBB270_3593
; %bb.3588:                             ;   in Loop: Header=BB270_2089 Depth=1
	s_mov_b32 s12, s10
	v_bfe_u32 v4, v6, 24, 7
	v_dual_mov_b32 v141, s13 :: v_dual_mov_b32 v140, s12
	s_mov_b32 s2, exec_lo
	s_delay_alu instid0(VALU_DEP_2)
	v_cmpx_ne_u32_e32 0x7f, v4
	s_cbranch_execz .LBB270_3592
; %bb.3589:                             ;   in Loop: Header=BB270_2089 Depth=1
	v_and_b32_e32 v8, 7, v7
	v_lshrrev_b32_e32 v6, 3, v4
	v_cmp_gt_u32_e32 vcc_lo, 8, v4
	s_delay_alu instid0(VALU_DEP_3)
	v_dual_mov_b32 v4, v8 :: v_dual_mov_b32 v5, v9
	s_and_saveexec_b32 s3, vcc_lo
; %bb.3590:                             ;   in Loop: Header=BB270_2089 Depth=1
	v_clz_i32_u32_e32 v4, v8
	s_delay_alu instid0(VALU_DEP_1) | instskip(NEXT) | instid1(VALU_DEP_1)
	v_min_u32_e32 v6, 32, v4
	v_subrev_nc_u32_e32 v4, 28, v6
	v_sub_nc_u32_e32 v6, 29, v6
	s_delay_alu instid0(VALU_DEP_2) | instskip(NEXT) | instid1(VALU_DEP_1)
	v_lshlrev_b64 v[4:5], v4, v[8:9]
	v_and_b32_e32 v4, 7, v4
; %bb.3591:                             ;   in Loop: Header=BB270_2089 Depth=1
	s_or_b32 exec_lo, exec_lo, s3
	v_dual_mov_b32 v140, v9 :: v_dual_lshlrev_b32 v5, 24, v7
	s_delay_alu instid0(VALU_DEP_2) | instskip(SKIP_1) | instid1(VALU_DEP_3)
	v_lshlrev_b32_e32 v4, 20, v4
	v_lshl_add_u32 v6, v6, 23, 0x3c000000
	v_and_b32_e32 v5, 0x80000000, v5
	s_delay_alu instid0(VALU_DEP_1)
	v_or3_b32 v141, v4, v5, v6
.LBB270_3592:                           ;   in Loop: Header=BB270_2089 Depth=1
	s_or_b32 exec_lo, exec_lo, s2
.LBB270_3593:                           ;   in Loop: Header=BB270_2089 Depth=1
	s_delay_alu instid0(SALU_CYCLE_1)
	s_or_b32 exec_lo, exec_lo, s1
.LBB270_3594:                           ;   in Loop: Header=BB270_2089 Depth=1
	s_delay_alu instid0(SALU_CYCLE_1)
	s_or_b32 exec_lo, exec_lo, s0
	scratch_load_b32 v4, off, s32 offset:2676 ; 4-byte Folded Reload
	v_mov_b32_e32 v152, 0
	s_mov_b32 s0, exec_lo
	s_waitcnt vmcnt(0)
	v_add_co_u32 v4, vcc_lo, v21, v4
	v_add_co_ci_u32_e32 v5, vcc_lo, 0, v22, vcc_lo
	flat_load_b32 v6, v[4:5]
	s_waitcnt vmcnt(0) lgkmcnt(0)
	v_dual_mov_b32 v153, 0 :: v_dual_and_b32 v4, 0xff, v6
	s_delay_alu instid0(VALU_DEP_1) | instskip(NEXT) | instid1(VALU_DEP_2)
	v_dual_mov_b32 v157, v153 :: v_dual_mov_b32 v156, v152
	v_cmpx_ne_u16_e32 0, v4
	s_cbranch_execz .LBB270_3602
; %bb.3595:                             ;   in Loop: Header=BB270_2089 Depth=1
	v_bfrev_b32_e32 v156, 1
	v_mov_b32_e32 v157, 0
	s_mov_b32 s1, exec_lo
	v_cmpx_ne_u16_e32 0x80, v4
	s_cbranch_execz .LBB270_3601
; %bb.3596:                             ;   in Loop: Header=BB270_2089 Depth=1
	v_mov_b32_e32 v156, 0x7f800001
	v_dual_mov_b32 v157, 0 :: v_dual_and_b32 v4, 0x7f, v6
	s_mov_b32 s2, exec_lo
	s_delay_alu instid0(VALU_DEP_1)
	v_cmpx_ne_u32_e32 0x7f, v4
	s_cbranch_execz .LBB270_3600
; %bb.3597:                             ;   in Loop: Header=BB270_2089 Depth=1
	v_and_b32_e32 v8, 7, v6
	v_lshrrev_b32_e32 v7, 3, v4
	v_cmp_gt_u32_e32 vcc_lo, 8, v4
	s_delay_alu instid0(VALU_DEP_3)
	v_dual_mov_b32 v4, v8 :: v_dual_mov_b32 v5, v9
	s_and_saveexec_b32 s3, vcc_lo
; %bb.3598:                             ;   in Loop: Header=BB270_2089 Depth=1
	v_clz_i32_u32_e32 v4, v8
	s_delay_alu instid0(VALU_DEP_1) | instskip(NEXT) | instid1(VALU_DEP_1)
	v_min_u32_e32 v7, 32, v4
	v_subrev_nc_u32_e32 v4, 28, v7
	v_sub_nc_u32_e32 v7, 29, v7
	s_delay_alu instid0(VALU_DEP_2) | instskip(NEXT) | instid1(VALU_DEP_1)
	v_lshlrev_b64 v[4:5], v4, v[8:9]
	v_and_b32_e32 v4, 7, v4
; %bb.3599:                             ;   in Loop: Header=BB270_2089 Depth=1
	s_or_b32 exec_lo, exec_lo, s3
	v_lshlrev_b32_e32 v5, 24, v6
	s_delay_alu instid0(VALU_DEP_2) | instskip(SKIP_1) | instid1(VALU_DEP_3)
	v_lshlrev_b32_e32 v4, 20, v4
	v_lshl_add_u32 v7, v7, 23, 0x3c000000
	v_and_b32_e32 v5, 0x80000000, v5
	s_delay_alu instid0(VALU_DEP_1) | instskip(NEXT) | instid1(VALU_DEP_1)
	v_or3_b32 v8, v4, v5, v7
	v_dual_mov_b32 v157, v9 :: v_dual_mov_b32 v156, v8
.LBB270_3600:                           ;   in Loop: Header=BB270_2089 Depth=1
	s_or_b32 exec_lo, exec_lo, s2
.LBB270_3601:                           ;   in Loop: Header=BB270_2089 Depth=1
	s_delay_alu instid0(SALU_CYCLE_1)
	s_or_b32 exec_lo, exec_lo, s1
.LBB270_3602:                           ;   in Loop: Header=BB270_2089 Depth=1
	s_delay_alu instid0(SALU_CYCLE_1) | instskip(SKIP_2) | instid1(VALU_DEP_1)
	s_or_b32 exec_lo, exec_lo, s0
	v_lshrrev_b16 v4, 8, v6
	s_mov_b32 s0, exec_lo
	v_cmpx_ne_u16_e32 0, v4
	s_cbranch_execz .LBB270_3610
; %bb.3603:                             ;   in Loop: Header=BB270_2089 Depth=1
	v_dual_mov_b32 v153, s11 :: v_dual_mov_b32 v152, s10
	s_mov_b32 s1, exec_lo
	v_cmpx_ne_u16_e32 0x80, v4
	s_cbranch_execz .LBB270_3609
; %bb.3604:                             ;   in Loop: Header=BB270_2089 Depth=1
	s_mov_b32 s12, s10
	v_and_b32_e32 v5, 0xffff, v4
	v_dual_mov_b32 v153, s13 :: v_dual_mov_b32 v152, s12
	s_mov_b32 s2, exec_lo
	s_delay_alu instid0(VALU_DEP_2) | instskip(NEXT) | instid1(VALU_DEP_1)
	v_and_b32_e32 v4, 0x7f, v5
	v_cmpx_ne_u32_e32 0x7f, v4
	s_cbranch_execz .LBB270_3608
; %bb.3605:                             ;   in Loop: Header=BB270_2089 Depth=1
	v_and_b32_e32 v8, 7, v5
	v_lshrrev_b32_e32 v7, 3, v4
	v_cmp_gt_u32_e32 vcc_lo, 8, v4
	s_delay_alu instid0(VALU_DEP_3)
	v_dual_mov_b32 v4, v8 :: v_dual_mov_b32 v5, v9
	s_and_saveexec_b32 s3, vcc_lo
; %bb.3606:                             ;   in Loop: Header=BB270_2089 Depth=1
	v_clz_i32_u32_e32 v4, v8
	s_delay_alu instid0(VALU_DEP_1) | instskip(NEXT) | instid1(VALU_DEP_1)
	v_min_u32_e32 v7, 32, v4
	v_subrev_nc_u32_e32 v4, 28, v7
	v_sub_nc_u32_e32 v7, 29, v7
	s_delay_alu instid0(VALU_DEP_2) | instskip(NEXT) | instid1(VALU_DEP_1)
	v_lshlrev_b64 v[4:5], v4, v[8:9]
	v_and_b32_e32 v4, 7, v4
; %bb.3607:                             ;   in Loop: Header=BB270_2089 Depth=1
	s_or_b32 exec_lo, exec_lo, s3
	v_dual_mov_b32 v152, v9 :: v_dual_lshlrev_b32 v5, 16, v6
	s_delay_alu instid0(VALU_DEP_2) | instskip(SKIP_1) | instid1(VALU_DEP_3)
	v_lshlrev_b32_e32 v4, 20, v4
	v_lshl_add_u32 v7, v7, 23, 0x3c000000
	v_and_b32_e32 v5, 0x80000000, v5
	s_delay_alu instid0(VALU_DEP_1)
	v_or3_b32 v153, v4, v5, v7
.LBB270_3608:                           ;   in Loop: Header=BB270_2089 Depth=1
	s_or_b32 exec_lo, exec_lo, s2
.LBB270_3609:                           ;   in Loop: Header=BB270_2089 Depth=1
	s_delay_alu instid0(SALU_CYCLE_1)
	s_or_b32 exec_lo, exec_lo, s1
.LBB270_3610:                           ;   in Loop: Header=BB270_2089 Depth=1
	s_delay_alu instid0(SALU_CYCLE_1) | instskip(SKIP_4) | instid1(VALU_DEP_1)
	s_or_b32 exec_lo, exec_lo, s0
	v_mov_b32_e32 v58, 0
	v_lshrrev_b32_e32 v7, 16, v6
	v_mov_b32_e32 v59, 0
	s_mov_b32 s0, exec_lo
	v_dual_mov_b32 v169, v59 :: v_dual_and_b32 v4, 0xff, v7
	v_mov_b32_e32 v168, v58
	s_delay_alu instid0(VALU_DEP_2)
	v_cmpx_ne_u16_e32 0, v4
	s_cbranch_execz .LBB270_3618
; %bb.3611:                             ;   in Loop: Header=BB270_2089 Depth=1
	v_bfrev_b32_e32 v168, 1
	v_mov_b32_e32 v169, 0
	s_mov_b32 s1, exec_lo
	v_cmpx_ne_u16_e32 0x80, v4
	s_cbranch_execz .LBB270_3617
; %bb.3612:                             ;   in Loop: Header=BB270_2089 Depth=1
	v_mov_b32_e32 v168, 0x7f800001
	v_bfe_u32 v4, v6, 16, 7
	v_mov_b32_e32 v169, 0
	s_mov_b32 s2, exec_lo
	s_delay_alu instid0(VALU_DEP_2)
	v_cmpx_ne_u32_e32 0x7f, v4
	s_cbranch_execz .LBB270_3616
; %bb.3613:                             ;   in Loop: Header=BB270_2089 Depth=1
	v_and_b32_e32 v8, 7, v7
	v_lshrrev_b32_e32 v12, 3, v4
	v_cmp_gt_u32_e32 vcc_lo, 8, v4
	s_delay_alu instid0(VALU_DEP_3)
	v_dual_mov_b32 v4, v8 :: v_dual_mov_b32 v5, v9
	s_and_saveexec_b32 s3, vcc_lo
; %bb.3614:                             ;   in Loop: Header=BB270_2089 Depth=1
	v_clz_i32_u32_e32 v4, v8
	s_delay_alu instid0(VALU_DEP_1) | instskip(NEXT) | instid1(VALU_DEP_1)
	v_min_u32_e32 v12, 32, v4
	v_subrev_nc_u32_e32 v4, 28, v12
	v_sub_nc_u32_e32 v12, 29, v12
	s_delay_alu instid0(VALU_DEP_2) | instskip(NEXT) | instid1(VALU_DEP_1)
	v_lshlrev_b64 v[4:5], v4, v[8:9]
	v_and_b32_e32 v4, 7, v4
; %bb.3615:                             ;   in Loop: Header=BB270_2089 Depth=1
	s_or_b32 exec_lo, exec_lo, s3
	v_lshlrev_b32_e32 v5, 24, v7
	s_delay_alu instid0(VALU_DEP_2) | instskip(SKIP_1) | instid1(VALU_DEP_3)
	v_lshlrev_b32_e32 v4, 20, v4
	v_lshl_add_u32 v7, v12, 23, 0x3c000000
	v_and_b32_e32 v5, 0x80000000, v5
	s_delay_alu instid0(VALU_DEP_1) | instskip(NEXT) | instid1(VALU_DEP_1)
	v_or3_b32 v8, v4, v5, v7
	v_dual_mov_b32 v169, v9 :: v_dual_mov_b32 v168, v8
.LBB270_3616:                           ;   in Loop: Header=BB270_2089 Depth=1
	s_or_b32 exec_lo, exec_lo, s2
.LBB270_3617:                           ;   in Loop: Header=BB270_2089 Depth=1
	s_delay_alu instid0(SALU_CYCLE_1)
	s_or_b32 exec_lo, exec_lo, s1
.LBB270_3618:                           ;   in Loop: Header=BB270_2089 Depth=1
	s_delay_alu instid0(SALU_CYCLE_1) | instskip(NEXT) | instid1(SALU_CYCLE_1)
	s_or_b32 exec_lo, exec_lo, s0
	s_mov_b32 s0, exec_lo
	v_cmpx_lt_u32_e32 0xffffff, v6
	s_cbranch_execz .LBB270_3626
; %bb.3619:                             ;   in Loop: Header=BB270_2089 Depth=1
	v_lshrrev_b32_e32 v7, 24, v6
	v_dual_mov_b32 v59, s11 :: v_dual_mov_b32 v58, s10
	s_mov_b32 s1, exec_lo
	s_delay_alu instid0(VALU_DEP_2)
	v_cmpx_ne_u32_e32 0x80, v7
	s_cbranch_execz .LBB270_3625
; %bb.3620:                             ;   in Loop: Header=BB270_2089 Depth=1
	s_mov_b32 s12, s10
	v_bfe_u32 v4, v6, 24, 7
	v_dual_mov_b32 v59, s13 :: v_dual_mov_b32 v58, s12
	s_mov_b32 s2, exec_lo
	s_delay_alu instid0(VALU_DEP_2)
	v_cmpx_ne_u32_e32 0x7f, v4
	s_cbranch_execz .LBB270_3624
; %bb.3621:                             ;   in Loop: Header=BB270_2089 Depth=1
	v_and_b32_e32 v8, 7, v7
	v_lshrrev_b32_e32 v6, 3, v4
	v_cmp_gt_u32_e32 vcc_lo, 8, v4
	s_delay_alu instid0(VALU_DEP_3)
	v_dual_mov_b32 v4, v8 :: v_dual_mov_b32 v5, v9
	s_and_saveexec_b32 s3, vcc_lo
; %bb.3622:                             ;   in Loop: Header=BB270_2089 Depth=1
	v_clz_i32_u32_e32 v4, v8
	s_delay_alu instid0(VALU_DEP_1) | instskip(NEXT) | instid1(VALU_DEP_1)
	v_min_u32_e32 v6, 32, v4
	v_subrev_nc_u32_e32 v4, 28, v6
	v_sub_nc_u32_e32 v6, 29, v6
	s_delay_alu instid0(VALU_DEP_2) | instskip(NEXT) | instid1(VALU_DEP_1)
	v_lshlrev_b64 v[4:5], v4, v[8:9]
	v_and_b32_e32 v4, 7, v4
; %bb.3623:                             ;   in Loop: Header=BB270_2089 Depth=1
	s_or_b32 exec_lo, exec_lo, s3
	v_dual_mov_b32 v58, v9 :: v_dual_lshlrev_b32 v5, 24, v7
	s_delay_alu instid0(VALU_DEP_2) | instskip(SKIP_1) | instid1(VALU_DEP_3)
	v_lshlrev_b32_e32 v4, 20, v4
	v_lshl_add_u32 v6, v6, 23, 0x3c000000
	v_and_b32_e32 v5, 0x80000000, v5
	s_delay_alu instid0(VALU_DEP_1)
	v_or3_b32 v59, v4, v5, v6
.LBB270_3624:                           ;   in Loop: Header=BB270_2089 Depth=1
	s_or_b32 exec_lo, exec_lo, s2
.LBB270_3625:                           ;   in Loop: Header=BB270_2089 Depth=1
	s_delay_alu instid0(SALU_CYCLE_1)
	s_or_b32 exec_lo, exec_lo, s1
.LBB270_3626:                           ;   in Loop: Header=BB270_2089 Depth=1
	s_delay_alu instid0(SALU_CYCLE_1)
	s_or_b32 exec_lo, exec_lo, s0
	scratch_load_b32 v4, off, s32 offset:2692 ; 4-byte Folded Reload
	v_mov_b32_e32 v62, 0
	s_mov_b32 s0, exec_lo
	s_waitcnt vmcnt(0)
	v_add_co_u32 v4, vcc_lo, v21, v4
	v_add_co_ci_u32_e32 v5, vcc_lo, 0, v22, vcc_lo
	flat_load_b32 v6, v[4:5]
	s_waitcnt vmcnt(0) lgkmcnt(0)
	v_dual_mov_b32 v63, 0 :: v_dual_and_b32 v4, 0xff, v6
	s_delay_alu instid0(VALU_DEP_1) | instskip(NEXT) | instid1(VALU_DEP_2)
	v_dual_mov_b32 v173, v63 :: v_dual_mov_b32 v172, v62
	v_cmpx_ne_u16_e32 0, v4
	s_cbranch_execz .LBB270_3634
; %bb.3627:                             ;   in Loop: Header=BB270_2089 Depth=1
	v_bfrev_b32_e32 v172, 1
	v_mov_b32_e32 v173, 0
	s_mov_b32 s1, exec_lo
	v_cmpx_ne_u16_e32 0x80, v4
	s_cbranch_execz .LBB270_3633
; %bb.3628:                             ;   in Loop: Header=BB270_2089 Depth=1
	v_mov_b32_e32 v172, 0x7f800001
	v_dual_mov_b32 v173, 0 :: v_dual_and_b32 v4, 0x7f, v6
	s_mov_b32 s2, exec_lo
	s_delay_alu instid0(VALU_DEP_1)
	v_cmpx_ne_u32_e32 0x7f, v4
	s_cbranch_execz .LBB270_3632
; %bb.3629:                             ;   in Loop: Header=BB270_2089 Depth=1
	v_and_b32_e32 v8, 7, v6
	v_lshrrev_b32_e32 v7, 3, v4
	v_cmp_gt_u32_e32 vcc_lo, 8, v4
	s_delay_alu instid0(VALU_DEP_3)
	v_dual_mov_b32 v4, v8 :: v_dual_mov_b32 v5, v9
	s_and_saveexec_b32 s3, vcc_lo
; %bb.3630:                             ;   in Loop: Header=BB270_2089 Depth=1
	v_clz_i32_u32_e32 v4, v8
	s_delay_alu instid0(VALU_DEP_1) | instskip(NEXT) | instid1(VALU_DEP_1)
	v_min_u32_e32 v7, 32, v4
	v_subrev_nc_u32_e32 v4, 28, v7
	v_sub_nc_u32_e32 v7, 29, v7
	s_delay_alu instid0(VALU_DEP_2) | instskip(NEXT) | instid1(VALU_DEP_1)
	v_lshlrev_b64 v[4:5], v4, v[8:9]
	v_and_b32_e32 v4, 7, v4
; %bb.3631:                             ;   in Loop: Header=BB270_2089 Depth=1
	s_or_b32 exec_lo, exec_lo, s3
	v_lshlrev_b32_e32 v5, 24, v6
	s_delay_alu instid0(VALU_DEP_2) | instskip(SKIP_1) | instid1(VALU_DEP_3)
	v_lshlrev_b32_e32 v4, 20, v4
	v_lshl_add_u32 v7, v7, 23, 0x3c000000
	v_and_b32_e32 v5, 0x80000000, v5
	s_delay_alu instid0(VALU_DEP_1) | instskip(NEXT) | instid1(VALU_DEP_1)
	v_or3_b32 v8, v4, v5, v7
	v_dual_mov_b32 v173, v9 :: v_dual_mov_b32 v172, v8
.LBB270_3632:                           ;   in Loop: Header=BB270_2089 Depth=1
	s_or_b32 exec_lo, exec_lo, s2
.LBB270_3633:                           ;   in Loop: Header=BB270_2089 Depth=1
	s_delay_alu instid0(SALU_CYCLE_1)
	s_or_b32 exec_lo, exec_lo, s1
.LBB270_3634:                           ;   in Loop: Header=BB270_2089 Depth=1
	s_delay_alu instid0(SALU_CYCLE_1) | instskip(SKIP_2) | instid1(VALU_DEP_1)
	s_or_b32 exec_lo, exec_lo, s0
	v_lshrrev_b16 v4, 8, v6
	s_mov_b32 s0, exec_lo
	v_cmpx_ne_u16_e32 0, v4
	s_cbranch_execz .LBB270_3642
; %bb.3635:                             ;   in Loop: Header=BB270_2089 Depth=1
	v_dual_mov_b32 v63, s11 :: v_dual_mov_b32 v62, s10
	s_mov_b32 s1, exec_lo
	v_cmpx_ne_u16_e32 0x80, v4
	s_cbranch_execz .LBB270_3641
; %bb.3636:                             ;   in Loop: Header=BB270_2089 Depth=1
	s_mov_b32 s12, s10
	v_and_b32_e32 v5, 0xffff, v4
	v_dual_mov_b32 v63, s13 :: v_dual_mov_b32 v62, s12
	s_mov_b32 s2, exec_lo
	s_delay_alu instid0(VALU_DEP_2) | instskip(NEXT) | instid1(VALU_DEP_1)
	v_and_b32_e32 v4, 0x7f, v5
	v_cmpx_ne_u32_e32 0x7f, v4
	s_cbranch_execz .LBB270_3640
; %bb.3637:                             ;   in Loop: Header=BB270_2089 Depth=1
	v_and_b32_e32 v8, 7, v5
	v_lshrrev_b32_e32 v7, 3, v4
	v_cmp_gt_u32_e32 vcc_lo, 8, v4
	s_delay_alu instid0(VALU_DEP_3)
	v_dual_mov_b32 v4, v8 :: v_dual_mov_b32 v5, v9
	s_and_saveexec_b32 s3, vcc_lo
; %bb.3638:                             ;   in Loop: Header=BB270_2089 Depth=1
	v_clz_i32_u32_e32 v4, v8
	s_delay_alu instid0(VALU_DEP_1) | instskip(NEXT) | instid1(VALU_DEP_1)
	v_min_u32_e32 v7, 32, v4
	v_subrev_nc_u32_e32 v4, 28, v7
	v_sub_nc_u32_e32 v7, 29, v7
	s_delay_alu instid0(VALU_DEP_2) | instskip(NEXT) | instid1(VALU_DEP_1)
	v_lshlrev_b64 v[4:5], v4, v[8:9]
	v_and_b32_e32 v4, 7, v4
; %bb.3639:                             ;   in Loop: Header=BB270_2089 Depth=1
	s_or_b32 exec_lo, exec_lo, s3
	v_dual_mov_b32 v62, v9 :: v_dual_lshlrev_b32 v5, 16, v6
	s_delay_alu instid0(VALU_DEP_2) | instskip(SKIP_1) | instid1(VALU_DEP_3)
	v_lshlrev_b32_e32 v4, 20, v4
	v_lshl_add_u32 v7, v7, 23, 0x3c000000
	v_and_b32_e32 v5, 0x80000000, v5
	s_delay_alu instid0(VALU_DEP_1)
	v_or3_b32 v63, v4, v5, v7
.LBB270_3640:                           ;   in Loop: Header=BB270_2089 Depth=1
	s_or_b32 exec_lo, exec_lo, s2
.LBB270_3641:                           ;   in Loop: Header=BB270_2089 Depth=1
	s_delay_alu instid0(SALU_CYCLE_1)
	s_or_b32 exec_lo, exec_lo, s1
.LBB270_3642:                           ;   in Loop: Header=BB270_2089 Depth=1
	s_delay_alu instid0(SALU_CYCLE_1) | instskip(SKIP_4) | instid1(VALU_DEP_1)
	s_or_b32 exec_lo, exec_lo, s0
	v_mov_b32_e32 v74, 0
	v_lshrrev_b32_e32 v7, 16, v6
	v_mov_b32_e32 v75, 0
	s_mov_b32 s0, exec_lo
	v_dual_mov_b32 v185, v75 :: v_dual_and_b32 v4, 0xff, v7
	v_mov_b32_e32 v184, v74
	s_delay_alu instid0(VALU_DEP_2)
	v_cmpx_ne_u16_e32 0, v4
	s_cbranch_execz .LBB270_3650
; %bb.3643:                             ;   in Loop: Header=BB270_2089 Depth=1
	v_bfrev_b32_e32 v184, 1
	v_mov_b32_e32 v185, 0
	s_mov_b32 s1, exec_lo
	v_cmpx_ne_u16_e32 0x80, v4
	s_cbranch_execz .LBB270_3649
; %bb.3644:                             ;   in Loop: Header=BB270_2089 Depth=1
	v_mov_b32_e32 v184, 0x7f800001
	v_bfe_u32 v4, v6, 16, 7
	v_mov_b32_e32 v185, 0
	s_mov_b32 s2, exec_lo
	s_delay_alu instid0(VALU_DEP_2)
	v_cmpx_ne_u32_e32 0x7f, v4
	s_cbranch_execz .LBB270_3648
; %bb.3645:                             ;   in Loop: Header=BB270_2089 Depth=1
	v_and_b32_e32 v8, 7, v7
	v_lshrrev_b32_e32 v12, 3, v4
	v_cmp_gt_u32_e32 vcc_lo, 8, v4
	s_delay_alu instid0(VALU_DEP_3)
	v_dual_mov_b32 v4, v8 :: v_dual_mov_b32 v5, v9
	s_and_saveexec_b32 s3, vcc_lo
; %bb.3646:                             ;   in Loop: Header=BB270_2089 Depth=1
	v_clz_i32_u32_e32 v4, v8
	s_delay_alu instid0(VALU_DEP_1) | instskip(NEXT) | instid1(VALU_DEP_1)
	v_min_u32_e32 v12, 32, v4
	v_subrev_nc_u32_e32 v4, 28, v12
	v_sub_nc_u32_e32 v12, 29, v12
	s_delay_alu instid0(VALU_DEP_2) | instskip(NEXT) | instid1(VALU_DEP_1)
	v_lshlrev_b64 v[4:5], v4, v[8:9]
	v_and_b32_e32 v4, 7, v4
; %bb.3647:                             ;   in Loop: Header=BB270_2089 Depth=1
	s_or_b32 exec_lo, exec_lo, s3
	v_lshlrev_b32_e32 v5, 24, v7
	s_delay_alu instid0(VALU_DEP_2) | instskip(SKIP_1) | instid1(VALU_DEP_3)
	v_lshlrev_b32_e32 v4, 20, v4
	v_lshl_add_u32 v7, v12, 23, 0x3c000000
	v_and_b32_e32 v5, 0x80000000, v5
	s_delay_alu instid0(VALU_DEP_1) | instskip(NEXT) | instid1(VALU_DEP_1)
	v_or3_b32 v8, v4, v5, v7
	v_dual_mov_b32 v185, v9 :: v_dual_mov_b32 v184, v8
.LBB270_3648:                           ;   in Loop: Header=BB270_2089 Depth=1
	s_or_b32 exec_lo, exec_lo, s2
.LBB270_3649:                           ;   in Loop: Header=BB270_2089 Depth=1
	s_delay_alu instid0(SALU_CYCLE_1)
	s_or_b32 exec_lo, exec_lo, s1
.LBB270_3650:                           ;   in Loop: Header=BB270_2089 Depth=1
	s_delay_alu instid0(SALU_CYCLE_1) | instskip(NEXT) | instid1(SALU_CYCLE_1)
	s_or_b32 exec_lo, exec_lo, s0
	s_mov_b32 s0, exec_lo
	v_cmpx_lt_u32_e32 0xffffff, v6
	s_cbranch_execz .LBB270_3658
; %bb.3651:                             ;   in Loop: Header=BB270_2089 Depth=1
	v_lshrrev_b32_e32 v7, 24, v6
	v_dual_mov_b32 v75, s11 :: v_dual_mov_b32 v74, s10
	s_mov_b32 s1, exec_lo
	s_delay_alu instid0(VALU_DEP_2)
	v_cmpx_ne_u32_e32 0x80, v7
	s_cbranch_execz .LBB270_3657
; %bb.3652:                             ;   in Loop: Header=BB270_2089 Depth=1
	s_mov_b32 s12, s10
	v_bfe_u32 v4, v6, 24, 7
	v_dual_mov_b32 v75, s13 :: v_dual_mov_b32 v74, s12
	s_mov_b32 s2, exec_lo
	s_delay_alu instid0(VALU_DEP_2)
	v_cmpx_ne_u32_e32 0x7f, v4
	s_cbranch_execz .LBB270_3656
; %bb.3653:                             ;   in Loop: Header=BB270_2089 Depth=1
	v_and_b32_e32 v8, 7, v7
	v_lshrrev_b32_e32 v6, 3, v4
	v_cmp_gt_u32_e32 vcc_lo, 8, v4
	s_delay_alu instid0(VALU_DEP_3)
	v_dual_mov_b32 v4, v8 :: v_dual_mov_b32 v5, v9
	s_and_saveexec_b32 s3, vcc_lo
; %bb.3654:                             ;   in Loop: Header=BB270_2089 Depth=1
	v_clz_i32_u32_e32 v4, v8
	s_delay_alu instid0(VALU_DEP_1) | instskip(NEXT) | instid1(VALU_DEP_1)
	v_min_u32_e32 v6, 32, v4
	v_subrev_nc_u32_e32 v4, 28, v6
	v_sub_nc_u32_e32 v6, 29, v6
	s_delay_alu instid0(VALU_DEP_2) | instskip(NEXT) | instid1(VALU_DEP_1)
	v_lshlrev_b64 v[4:5], v4, v[8:9]
	v_and_b32_e32 v4, 7, v4
; %bb.3655:                             ;   in Loop: Header=BB270_2089 Depth=1
	s_or_b32 exec_lo, exec_lo, s3
	v_dual_mov_b32 v74, v9 :: v_dual_lshlrev_b32 v5, 24, v7
	s_delay_alu instid0(VALU_DEP_2) | instskip(SKIP_1) | instid1(VALU_DEP_3)
	v_lshlrev_b32_e32 v4, 20, v4
	v_lshl_add_u32 v6, v6, 23, 0x3c000000
	v_and_b32_e32 v5, 0x80000000, v5
	s_delay_alu instid0(VALU_DEP_1)
	v_or3_b32 v75, v4, v5, v6
.LBB270_3656:                           ;   in Loop: Header=BB270_2089 Depth=1
	s_or_b32 exec_lo, exec_lo, s2
.LBB270_3657:                           ;   in Loop: Header=BB270_2089 Depth=1
	s_delay_alu instid0(SALU_CYCLE_1)
	s_or_b32 exec_lo, exec_lo, s1
.LBB270_3658:                           ;   in Loop: Header=BB270_2089 Depth=1
	s_delay_alu instid0(SALU_CYCLE_1)
	s_or_b32 exec_lo, exec_lo, s0
	scratch_load_b32 v4, off, s32 offset:2708 ; 4-byte Folded Reload
	v_mov_b32_e32 v188, 0
	s_mov_b32 s0, exec_lo
	s_waitcnt vmcnt(0)
	v_add_co_u32 v4, vcc_lo, v21, v4
	v_add_co_ci_u32_e32 v5, vcc_lo, 0, v22, vcc_lo
	flat_load_b32 v12, v[4:5]
	s_waitcnt vmcnt(0) lgkmcnt(0)
	v_dual_mov_b32 v189, 0 :: v_dual_and_b32 v4, 0xff, v12
	s_delay_alu instid0(VALU_DEP_1) | instskip(NEXT) | instid1(VALU_DEP_2)
	v_dual_mov_b32 v108, v188 :: v_dual_mov_b32 v109, v189
	v_cmpx_ne_u16_e32 0, v4
	s_cbranch_execz .LBB270_3666
; %bb.3659:                             ;   in Loop: Header=BB270_2089 Depth=1
	v_bfrev_b32_e32 v108, 1
	v_mov_b32_e32 v109, 0
	s_mov_b32 s1, exec_lo
	v_cmpx_ne_u16_e32 0x80, v4
	s_cbranch_execz .LBB270_3665
; %bb.3660:                             ;   in Loop: Header=BB270_2089 Depth=1
	v_mov_b32_e32 v108, 0x7f800001
	v_dual_mov_b32 v109, 0 :: v_dual_and_b32 v4, 0x7f, v12
	s_mov_b32 s2, exec_lo
	s_delay_alu instid0(VALU_DEP_1)
	v_cmpx_ne_u32_e32 0x7f, v4
	s_cbranch_execz .LBB270_3664
; %bb.3661:                             ;   in Loop: Header=BB270_2089 Depth=1
	v_and_b32_e32 v8, 7, v12
	v_lshrrev_b32_e32 v6, 3, v4
	v_cmp_gt_u32_e32 vcc_lo, 8, v4
	s_delay_alu instid0(VALU_DEP_3)
	v_dual_mov_b32 v4, v8 :: v_dual_mov_b32 v5, v9
	s_and_saveexec_b32 s3, vcc_lo
; %bb.3662:                             ;   in Loop: Header=BB270_2089 Depth=1
	v_clz_i32_u32_e32 v4, v8
	s_delay_alu instid0(VALU_DEP_1) | instskip(NEXT) | instid1(VALU_DEP_1)
	v_min_u32_e32 v6, 32, v4
	v_subrev_nc_u32_e32 v4, 28, v6
	v_sub_nc_u32_e32 v6, 29, v6
	s_delay_alu instid0(VALU_DEP_2) | instskip(NEXT) | instid1(VALU_DEP_1)
	v_lshlrev_b64 v[4:5], v4, v[8:9]
	v_and_b32_e32 v4, 7, v4
; %bb.3663:                             ;   in Loop: Header=BB270_2089 Depth=1
	s_or_b32 exec_lo, exec_lo, s3
	v_lshlrev_b32_e32 v5, 24, v12
	s_delay_alu instid0(VALU_DEP_2) | instskip(SKIP_1) | instid1(VALU_DEP_3)
	v_lshlrev_b32_e32 v4, 20, v4
	v_lshl_add_u32 v6, v6, 23, 0x3c000000
	v_and_b32_e32 v5, 0x80000000, v5
	s_delay_alu instid0(VALU_DEP_1) | instskip(NEXT) | instid1(VALU_DEP_1)
	v_or3_b32 v8, v4, v5, v6
	v_dual_mov_b32 v109, v9 :: v_dual_mov_b32 v108, v8
.LBB270_3664:                           ;   in Loop: Header=BB270_2089 Depth=1
	s_or_b32 exec_lo, exec_lo, s2
.LBB270_3665:                           ;   in Loop: Header=BB270_2089 Depth=1
	s_delay_alu instid0(SALU_CYCLE_1)
	s_or_b32 exec_lo, exec_lo, s1
.LBB270_3666:                           ;   in Loop: Header=BB270_2089 Depth=1
	s_delay_alu instid0(SALU_CYCLE_1) | instskip(SKIP_2) | instid1(VALU_DEP_1)
	s_or_b32 exec_lo, exec_lo, s0
	v_lshrrev_b16 v4, 8, v12
	s_mov_b32 s0, exec_lo
	v_cmpx_ne_u16_e32 0, v4
	s_cbranch_execz .LBB270_3674
; %bb.3667:                             ;   in Loop: Header=BB270_2089 Depth=1
	v_dual_mov_b32 v189, s11 :: v_dual_mov_b32 v188, s10
	s_mov_b32 s1, exec_lo
	v_cmpx_ne_u16_e32 0x80, v4
	s_cbranch_execz .LBB270_3673
; %bb.3668:                             ;   in Loop: Header=BB270_2089 Depth=1
	s_mov_b32 s12, s10
	v_and_b32_e32 v5, 0xffff, v4
	v_dual_mov_b32 v189, s13 :: v_dual_mov_b32 v188, s12
	s_mov_b32 s2, exec_lo
	s_delay_alu instid0(VALU_DEP_2) | instskip(NEXT) | instid1(VALU_DEP_1)
	v_and_b32_e32 v4, 0x7f, v5
	v_cmpx_ne_u32_e32 0x7f, v4
	s_cbranch_execz .LBB270_3672
; %bb.3669:                             ;   in Loop: Header=BB270_2089 Depth=1
	v_and_b32_e32 v8, 7, v5
	v_lshrrev_b32_e32 v6, 3, v4
	v_cmp_gt_u32_e32 vcc_lo, 8, v4
	s_delay_alu instid0(VALU_DEP_3)
	v_dual_mov_b32 v4, v8 :: v_dual_mov_b32 v5, v9
	s_and_saveexec_b32 s3, vcc_lo
; %bb.3670:                             ;   in Loop: Header=BB270_2089 Depth=1
	v_clz_i32_u32_e32 v4, v8
	s_delay_alu instid0(VALU_DEP_1) | instskip(NEXT) | instid1(VALU_DEP_1)
	v_min_u32_e32 v6, 32, v4
	v_subrev_nc_u32_e32 v4, 28, v6
	v_sub_nc_u32_e32 v6, 29, v6
	s_delay_alu instid0(VALU_DEP_2) | instskip(NEXT) | instid1(VALU_DEP_1)
	v_lshlrev_b64 v[4:5], v4, v[8:9]
	v_and_b32_e32 v4, 7, v4
; %bb.3671:                             ;   in Loop: Header=BB270_2089 Depth=1
	s_or_b32 exec_lo, exec_lo, s3
	v_dual_mov_b32 v188, v9 :: v_dual_lshlrev_b32 v5, 16, v12
	s_delay_alu instid0(VALU_DEP_2) | instskip(SKIP_1) | instid1(VALU_DEP_3)
	v_lshlrev_b32_e32 v4, 20, v4
	v_lshl_add_u32 v6, v6, 23, 0x3c000000
	v_and_b32_e32 v5, 0x80000000, v5
	s_delay_alu instid0(VALU_DEP_1)
	v_or3_b32 v189, v4, v5, v6
.LBB270_3672:                           ;   in Loop: Header=BB270_2089 Depth=1
	s_or_b32 exec_lo, exec_lo, s2
.LBB270_3673:                           ;   in Loop: Header=BB270_2089 Depth=1
	s_delay_alu instid0(SALU_CYCLE_1)
	s_or_b32 exec_lo, exec_lo, s1
.LBB270_3674:                           ;   in Loop: Header=BB270_2089 Depth=1
	s_delay_alu instid0(SALU_CYCLE_1) | instskip(SKIP_4) | instid1(VALU_DEP_2)
	s_or_b32 exec_lo, exec_lo, s0
	v_mov_b32_e32 v4, 0
	v_lshrrev_b32_e32 v13, 16, v12
	v_mov_b32_e32 v5, 0
	s_mov_b32 s0, exec_lo
	v_and_b32_e32 v6, 0xff, v13
	s_delay_alu instid0(VALU_DEP_2) | instskip(NEXT) | instid1(VALU_DEP_2)
	v_dual_mov_b32 v26, v5 :: v_dual_mov_b32 v25, v4
	v_cmpx_ne_u16_e32 0, v6
	s_cbranch_execz .LBB270_3682
; %bb.3675:                             ;   in Loop: Header=BB270_2089 Depth=1
	v_bfrev_b32_e32 v25, 1
	v_mov_b32_e32 v26, 0
	s_mov_b32 s1, exec_lo
	v_cmpx_ne_u16_e32 0x80, v6
	s_cbranch_execz .LBB270_3681
; %bb.3676:                             ;   in Loop: Header=BB270_2089 Depth=1
	v_mov_b32_e32 v25, 0x7f800001
	v_bfe_u32 v6, v12, 16, 7
	v_mov_b32_e32 v26, 0
	s_mov_b32 s2, exec_lo
	s_delay_alu instid0(VALU_DEP_2)
	v_cmpx_ne_u32_e32 0x7f, v6
	s_cbranch_execz .LBB270_3680
; %bb.3677:                             ;   in Loop: Header=BB270_2089 Depth=1
	v_and_b32_e32 v8, 7, v13
	v_lshrrev_b32_e32 v16, 3, v6
	v_cmp_gt_u32_e32 vcc_lo, 8, v6
	s_delay_alu instid0(VALU_DEP_3)
	v_dual_mov_b32 v6, v8 :: v_dual_mov_b32 v7, v9
	s_and_saveexec_b32 s3, vcc_lo
; %bb.3678:                             ;   in Loop: Header=BB270_2089 Depth=1
	v_clz_i32_u32_e32 v6, v8
	s_delay_alu instid0(VALU_DEP_1) | instskip(NEXT) | instid1(VALU_DEP_1)
	v_min_u32_e32 v16, 32, v6
	v_subrev_nc_u32_e32 v6, 28, v16
	v_sub_nc_u32_e32 v16, 29, v16
	s_delay_alu instid0(VALU_DEP_2) | instskip(NEXT) | instid1(VALU_DEP_1)
	v_lshlrev_b64 v[6:7], v6, v[8:9]
	v_and_b32_e32 v6, 7, v6
; %bb.3679:                             ;   in Loop: Header=BB270_2089 Depth=1
	s_or_b32 exec_lo, exec_lo, s3
	v_lshlrev_b32_e32 v7, 24, v13
	s_delay_alu instid0(VALU_DEP_2) | instskip(SKIP_1) | instid1(VALU_DEP_3)
	v_lshlrev_b32_e32 v6, 20, v6
	v_lshl_add_u32 v8, v16, 23, 0x3c000000
	v_and_b32_e32 v7, 0x80000000, v7
	s_delay_alu instid0(VALU_DEP_1) | instskip(NEXT) | instid1(VALU_DEP_1)
	v_or3_b32 v8, v6, v7, v8
	v_dual_mov_b32 v26, v9 :: v_dual_mov_b32 v25, v8
.LBB270_3680:                           ;   in Loop: Header=BB270_2089 Depth=1
	s_or_b32 exec_lo, exec_lo, s2
.LBB270_3681:                           ;   in Loop: Header=BB270_2089 Depth=1
	s_delay_alu instid0(SALU_CYCLE_1)
	s_or_b32 exec_lo, exec_lo, s1
.LBB270_3682:                           ;   in Loop: Header=BB270_2089 Depth=1
	s_delay_alu instid0(SALU_CYCLE_1) | instskip(NEXT) | instid1(SALU_CYCLE_1)
	s_or_b32 exec_lo, exec_lo, s0
	s_mov_b32 s0, exec_lo
	v_cmpx_lt_u32_e32 0xffffff, v12
	s_cbranch_execz .LBB270_3690
; %bb.3683:                             ;   in Loop: Header=BB270_2089 Depth=1
	v_lshrrev_b32_e32 v6, 24, v12
	v_dual_mov_b32 v4, s10 :: v_dual_mov_b32 v5, s11
	s_mov_b32 s1, exec_lo
	s_delay_alu instid0(VALU_DEP_2)
	v_cmpx_ne_u32_e32 0x80, v6
	s_cbranch_execz .LBB270_3689
; %bb.3684:                             ;   in Loop: Header=BB270_2089 Depth=1
	s_mov_b32 s12, s10
	v_bfe_u32 v12, v12, 24, 7
	v_dual_mov_b32 v4, s12 :: v_dual_mov_b32 v5, s13
	s_mov_b32 s2, exec_lo
	s_delay_alu instid0(VALU_DEP_2)
	v_cmpx_ne_u32_e32 0x7f, v12
	s_cbranch_execz .LBB270_3688
; %bb.3685:                             ;   in Loop: Header=BB270_2089 Depth=1
	v_and_b32_e32 v8, 7, v6
	v_lshrrev_b32_e32 v7, 3, v12
	s_mov_b32 s3, exec_lo
	s_delay_alu instid0(VALU_DEP_2)
	v_dual_mov_b32 v4, v8 :: v_dual_mov_b32 v5, v9
	v_cmpx_gt_u32_e32 8, v12
; %bb.3686:                             ;   in Loop: Header=BB270_2089 Depth=1
	v_clz_i32_u32_e32 v4, v8
	s_delay_alu instid0(VALU_DEP_1) | instskip(NEXT) | instid1(VALU_DEP_1)
	v_min_u32_e32 v7, 32, v4
	v_subrev_nc_u32_e32 v4, 28, v7
	v_sub_nc_u32_e32 v7, 29, v7
	s_delay_alu instid0(VALU_DEP_2) | instskip(NEXT) | instid1(VALU_DEP_1)
	v_lshlrev_b64 v[4:5], v4, v[8:9]
	v_and_b32_e32 v4, 7, v4
; %bb.3687:                             ;   in Loop: Header=BB270_2089 Depth=1
	s_or_b32 exec_lo, exec_lo, s3
	v_lshlrev_b32_e32 v5, 24, v6
	s_delay_alu instid0(VALU_DEP_2) | instskip(SKIP_1) | instid1(VALU_DEP_3)
	v_lshlrev_b32_e32 v4, 20, v4
	v_lshl_add_u32 v6, v7, 23, 0x3c000000
	v_and_b32_e32 v5, 0x80000000, v5
	s_delay_alu instid0(VALU_DEP_1)
	v_or3_b32 v5, v4, v5, v6
	v_mov_b32_e32 v4, v9
.LBB270_3688:                           ;   in Loop: Header=BB270_2089 Depth=1
	s_or_b32 exec_lo, exec_lo, s2
.LBB270_3689:                           ;   in Loop: Header=BB270_2089 Depth=1
	s_delay_alu instid0(SALU_CYCLE_1)
	s_or_b32 exec_lo, exec_lo, s1
.LBB270_3690:                           ;   in Loop: Header=BB270_2089 Depth=1
	s_delay_alu instid0(SALU_CYCLE_1)
	s_or_b32 exec_lo, exec_lo, s0
	scratch_load_b32 v6, off, s32 offset:2712 ; 4-byte Folded Reload
	v_mov_b32_e32 v98, 0
	s_mov_b32 s0, exec_lo
	s_waitcnt vmcnt(0)
	v_add_co_u32 v6, vcc_lo, v21, v6
	v_add_co_ci_u32_e32 v7, vcc_lo, 0, v22, vcc_lo
	flat_load_b32 v18, v[6:7]
	s_waitcnt vmcnt(0) lgkmcnt(0)
	v_dual_mov_b32 v99, 0 :: v_dual_and_b32 v8, 0xff, v18
	s_delay_alu instid0(VALU_DEP_1) | instskip(NEXT) | instid1(VALU_DEP_2)
	v_dual_mov_b32 v6, v98 :: v_dual_mov_b32 v7, v99
	v_cmpx_ne_u16_e32 0, v8
	s_cbranch_execz .LBB270_3698
; %bb.3691:                             ;   in Loop: Header=BB270_2089 Depth=1
	v_bfrev_b32_e32 v6, 1
	v_mov_b32_e32 v7, 0
	s_mov_b32 s1, exec_lo
	v_cmpx_ne_u16_e32 0x80, v8
	s_cbranch_execz .LBB270_3697
; %bb.3692:                             ;   in Loop: Header=BB270_2089 Depth=1
	v_mov_b32_e32 v6, 0x7f800001
	v_dual_mov_b32 v7, 0 :: v_dual_and_b32 v12, 0x7f, v18
	s_mov_b32 s2, exec_lo
	s_delay_alu instid0(VALU_DEP_1)
	v_cmpx_ne_u32_e32 0x7f, v12
	s_cbranch_execz .LBB270_3696
; %bb.3693:                             ;   in Loop: Header=BB270_2089 Depth=1
	v_and_b32_e32 v8, 7, v18
	v_lshrrev_b32_e32 v6, 3, v12
	v_cmp_gt_u32_e32 vcc_lo, 8, v12
	s_delay_alu instid0(VALU_DEP_3)
	v_dual_mov_b32 v13, v9 :: v_dual_mov_b32 v12, v8
	s_and_saveexec_b32 s3, vcc_lo
; %bb.3694:                             ;   in Loop: Header=BB270_2089 Depth=1
	v_clz_i32_u32_e32 v6, v8
	s_delay_alu instid0(VALU_DEP_1) | instskip(NEXT) | instid1(VALU_DEP_1)
	v_min_u32_e32 v6, 32, v6
	v_subrev_nc_u32_e32 v7, 28, v6
	v_sub_nc_u32_e32 v6, 29, v6
	s_delay_alu instid0(VALU_DEP_2) | instskip(NEXT) | instid1(VALU_DEP_1)
	v_lshlrev_b64 v[7:8], v7, v[8:9]
	v_and_b32_e32 v12, 7, v7
; %bb.3695:                             ;   in Loop: Header=BB270_2089 Depth=1
	s_or_b32 exec_lo, exec_lo, s3
	v_lshlrev_b32_e32 v7, 24, v18
	s_delay_alu instid0(VALU_DEP_2) | instskip(SKIP_1) | instid1(VALU_DEP_3)
	v_lshlrev_b32_e32 v8, 20, v12
	v_lshl_add_u32 v6, v6, 23, 0x3c000000
	v_and_b32_e32 v7, 0x80000000, v7
	s_delay_alu instid0(VALU_DEP_1) | instskip(NEXT) | instid1(VALU_DEP_1)
	v_or3_b32 v8, v8, v7, v6
	v_dual_mov_b32 v6, v8 :: v_dual_mov_b32 v7, v9
.LBB270_3696:                           ;   in Loop: Header=BB270_2089 Depth=1
	s_or_b32 exec_lo, exec_lo, s2
.LBB270_3697:                           ;   in Loop: Header=BB270_2089 Depth=1
	s_delay_alu instid0(SALU_CYCLE_1)
	s_or_b32 exec_lo, exec_lo, s1
.LBB270_3698:                           ;   in Loop: Header=BB270_2089 Depth=1
	s_delay_alu instid0(SALU_CYCLE_1) | instskip(SKIP_2) | instid1(VALU_DEP_1)
	s_or_b32 exec_lo, exec_lo, s0
	v_lshrrev_b16 v8, 8, v18
	s_mov_b32 s0, exec_lo
	v_cmpx_ne_u16_e32 0, v8
	s_cbranch_execz .LBB270_3706
; %bb.3699:                             ;   in Loop: Header=BB270_2089 Depth=1
	v_dual_mov_b32 v99, s11 :: v_dual_mov_b32 v98, s10
	s_mov_b32 s1, exec_lo
	v_cmpx_ne_u16_e32 0x80, v8
	s_cbranch_execz .LBB270_3705
; %bb.3700:                             ;   in Loop: Header=BB270_2089 Depth=1
	s_mov_b32 s12, s10
	v_dual_mov_b32 v99, s13 :: v_dual_and_b32 v8, 0xffff, v8
	v_mov_b32_e32 v98, s12
	s_mov_b32 s2, exec_lo
	s_delay_alu instid0(VALU_DEP_2) | instskip(NEXT) | instid1(VALU_DEP_1)
	v_and_b32_e32 v12, 0x7f, v8
	v_cmpx_ne_u32_e32 0x7f, v12
	s_cbranch_execz .LBB270_3704
; %bb.3701:                             ;   in Loop: Header=BB270_2089 Depth=1
	v_and_b32_e32 v8, 7, v8
	v_lshrrev_b32_e32 v16, 3, v12
	v_cmp_gt_u32_e32 vcc_lo, 8, v12
	s_delay_alu instid0(VALU_DEP_3)
	v_dual_mov_b32 v13, v9 :: v_dual_mov_b32 v12, v8
	s_and_saveexec_b32 s3, vcc_lo
; %bb.3702:                             ;   in Loop: Header=BB270_2089 Depth=1
	v_clz_i32_u32_e32 v12, v8
	s_delay_alu instid0(VALU_DEP_1) | instskip(NEXT) | instid1(VALU_DEP_1)
	v_min_u32_e32 v16, 32, v12
	v_subrev_nc_u32_e32 v12, 28, v16
	v_sub_nc_u32_e32 v16, 29, v16
	s_delay_alu instid0(VALU_DEP_2) | instskip(NEXT) | instid1(VALU_DEP_1)
	v_lshlrev_b64 v[12:13], v12, v[8:9]
	v_and_b32_e32 v12, 7, v12
; %bb.3703:                             ;   in Loop: Header=BB270_2089 Depth=1
	s_or_b32 exec_lo, exec_lo, s3
	v_lshlrev_b32_e32 v8, 16, v18
	s_delay_alu instid0(VALU_DEP_2) | instskip(SKIP_2) | instid1(VALU_DEP_4)
	v_lshlrev_b32_e32 v12, 20, v12
	v_lshl_add_u32 v13, v16, 23, 0x3c000000
	v_mov_b32_e32 v98, v9
	v_and_b32_e32 v8, 0x80000000, v8
	s_delay_alu instid0(VALU_DEP_1)
	v_or3_b32 v99, v12, v8, v13
.LBB270_3704:                           ;   in Loop: Header=BB270_2089 Depth=1
	s_or_b32 exec_lo, exec_lo, s2
.LBB270_3705:                           ;   in Loop: Header=BB270_2089 Depth=1
	s_delay_alu instid0(SALU_CYCLE_1)
	s_or_b32 exec_lo, exec_lo, s1
.LBB270_3706:                           ;   in Loop: Header=BB270_2089 Depth=1
	s_delay_alu instid0(SALU_CYCLE_1) | instskip(SKIP_4) | instid1(VALU_DEP_2)
	s_or_b32 exec_lo, exec_lo, s0
	v_mov_b32_e32 v100, 0
	v_lshrrev_b32_e32 v19, 16, v18
	v_mov_b32_e32 v101, 0
	s_mov_b32 s0, exec_lo
	v_and_b32_e32 v8, 0xff, v19
	s_delay_alu instid0(VALU_DEP_2) | instskip(NEXT) | instid1(VALU_DEP_2)
	v_dual_mov_b32 v16, v100 :: v_dual_mov_b32 v17, v101
	v_cmpx_ne_u16_e32 0, v8
	s_cbranch_execz .LBB270_3714
; %bb.3707:                             ;   in Loop: Header=BB270_2089 Depth=1
	v_bfrev_b32_e32 v16, 1
	v_mov_b32_e32 v17, 0
	s_mov_b32 s1, exec_lo
	v_cmpx_ne_u16_e32 0x80, v8
	s_cbranch_execz .LBB270_3713
; %bb.3708:                             ;   in Loop: Header=BB270_2089 Depth=1
	v_mov_b32_e32 v16, 0x7f800001
	v_bfe_u32 v12, v18, 16, 7
	v_mov_b32_e32 v17, 0
	s_mov_b32 s2, exec_lo
	s_delay_alu instid0(VALU_DEP_2)
	v_cmpx_ne_u32_e32 0x7f, v12
	s_cbranch_execz .LBB270_3712
; %bb.3709:                             ;   in Loop: Header=BB270_2089 Depth=1
	v_and_b32_e32 v8, 7, v19
	v_lshrrev_b32_e32 v16, 3, v12
	v_cmp_gt_u32_e32 vcc_lo, 8, v12
	s_delay_alu instid0(VALU_DEP_3)
	v_dual_mov_b32 v13, v9 :: v_dual_mov_b32 v12, v8
	s_and_saveexec_b32 s3, vcc_lo
; %bb.3710:                             ;   in Loop: Header=BB270_2089 Depth=1
	v_clz_i32_u32_e32 v12, v8
	s_delay_alu instid0(VALU_DEP_1) | instskip(NEXT) | instid1(VALU_DEP_1)
	v_min_u32_e32 v16, 32, v12
	v_subrev_nc_u32_e32 v12, 28, v16
	v_sub_nc_u32_e32 v16, 29, v16
	s_delay_alu instid0(VALU_DEP_2) | instskip(NEXT) | instid1(VALU_DEP_1)
	v_lshlrev_b64 v[12:13], v12, v[8:9]
	v_and_b32_e32 v12, 7, v12
; %bb.3711:                             ;   in Loop: Header=BB270_2089 Depth=1
	s_or_b32 exec_lo, exec_lo, s3
	v_lshlrev_b32_e32 v8, 24, v19
	s_delay_alu instid0(VALU_DEP_2) | instskip(SKIP_1) | instid1(VALU_DEP_3)
	v_lshlrev_b32_e32 v12, 20, v12
	v_lshl_add_u32 v13, v16, 23, 0x3c000000
	v_and_b32_e32 v8, 0x80000000, v8
	s_delay_alu instid0(VALU_DEP_1) | instskip(NEXT) | instid1(VALU_DEP_1)
	v_or3_b32 v8, v12, v8, v13
	v_dual_mov_b32 v17, v9 :: v_dual_mov_b32 v16, v8
.LBB270_3712:                           ;   in Loop: Header=BB270_2089 Depth=1
	s_or_b32 exec_lo, exec_lo, s2
.LBB270_3713:                           ;   in Loop: Header=BB270_2089 Depth=1
	s_delay_alu instid0(SALU_CYCLE_1)
	s_or_b32 exec_lo, exec_lo, s1
.LBB270_3714:                           ;   in Loop: Header=BB270_2089 Depth=1
	s_delay_alu instid0(SALU_CYCLE_1) | instskip(NEXT) | instid1(SALU_CYCLE_1)
	s_or_b32 exec_lo, exec_lo, s0
	s_mov_b32 s0, exec_lo
	v_cmpx_lt_u32_e32 0xffffff, v18
	s_cbranch_execz .LBB270_3722
; %bb.3715:                             ;   in Loop: Header=BB270_2089 Depth=1
	v_lshrrev_b32_e32 v19, 24, v18
	v_dual_mov_b32 v101, s11 :: v_dual_mov_b32 v100, s10
	s_mov_b32 s1, exec_lo
	s_delay_alu instid0(VALU_DEP_2)
	v_cmpx_ne_u32_e32 0x80, v19
	s_cbranch_execz .LBB270_3721
; %bb.3716:                             ;   in Loop: Header=BB270_2089 Depth=1
	s_mov_b32 s12, s10
	v_bfe_u32 v12, v18, 24, 7
	v_dual_mov_b32 v101, s13 :: v_dual_mov_b32 v100, s12
	s_mov_b32 s2, exec_lo
	s_delay_alu instid0(VALU_DEP_2)
	v_cmpx_ne_u32_e32 0x7f, v12
	s_cbranch_execz .LBB270_3720
; %bb.3717:                             ;   in Loop: Header=BB270_2089 Depth=1
	v_and_b32_e32 v8, 7, v19
	v_lshrrev_b32_e32 v18, 3, v12
	v_cmp_gt_u32_e32 vcc_lo, 8, v12
	s_delay_alu instid0(VALU_DEP_3)
	v_dual_mov_b32 v13, v9 :: v_dual_mov_b32 v12, v8
	s_and_saveexec_b32 s3, vcc_lo
; %bb.3718:                             ;   in Loop: Header=BB270_2089 Depth=1
	v_clz_i32_u32_e32 v12, v8
	s_delay_alu instid0(VALU_DEP_1) | instskip(NEXT) | instid1(VALU_DEP_1)
	v_min_u32_e32 v18, 32, v12
	v_subrev_nc_u32_e32 v12, 28, v18
	v_sub_nc_u32_e32 v18, 29, v18
	s_delay_alu instid0(VALU_DEP_2) | instskip(NEXT) | instid1(VALU_DEP_1)
	v_lshlrev_b64 v[12:13], v12, v[8:9]
	v_and_b32_e32 v12, 7, v12
; %bb.3719:                             ;   in Loop: Header=BB270_2089 Depth=1
	s_or_b32 exec_lo, exec_lo, s3
	v_lshlrev_b32_e32 v8, 24, v19
	s_delay_alu instid0(VALU_DEP_2) | instskip(SKIP_2) | instid1(VALU_DEP_4)
	v_lshlrev_b32_e32 v12, 20, v12
	v_lshl_add_u32 v13, v18, 23, 0x3c000000
	v_mov_b32_e32 v100, v9
	v_and_b32_e32 v8, 0x80000000, v8
	s_delay_alu instid0(VALU_DEP_1)
	v_or3_b32 v101, v12, v8, v13
.LBB270_3720:                           ;   in Loop: Header=BB270_2089 Depth=1
	s_or_b32 exec_lo, exec_lo, s2
.LBB270_3721:                           ;   in Loop: Header=BB270_2089 Depth=1
	s_delay_alu instid0(SALU_CYCLE_1)
	s_or_b32 exec_lo, exec_lo, s1
.LBB270_3722:                           ;   in Loop: Header=BB270_2089 Depth=1
	s_delay_alu instid0(SALU_CYCLE_1)
	s_or_b32 exec_lo, exec_lo, s0
	scratch_load_b32 v8, off, s32 offset:2728 ; 4-byte Folded Reload
	s_mov_b32 s0, exec_lo
	s_waitcnt vmcnt(0)
	v_add_co_u32 v12, vcc_lo, v21, v8
	v_add_co_ci_u32_e32 v13, vcc_lo, 0, v22, vcc_lo
	flat_load_b32 v18, v[12:13]
	v_mov_b32_e32 v33, 0
	v_mov_b32_e32 v34, 0
	s_delay_alu instid0(VALU_DEP_1) | instskip(SKIP_2) | instid1(VALU_DEP_1)
	v_dual_mov_b32 v113, v34 :: v_dual_mov_b32 v112, v33
	s_waitcnt vmcnt(0) lgkmcnt(0)
	v_and_b32_e32 v8, 0xff, v18
	v_cmpx_ne_u16_e32 0, v8
	s_cbranch_execz .LBB270_3730
; %bb.3723:                             ;   in Loop: Header=BB270_2089 Depth=1
	v_bfrev_b32_e32 v112, 1
	v_mov_b32_e32 v113, 0
	s_mov_b32 s1, exec_lo
	v_cmpx_ne_u16_e32 0x80, v8
	s_cbranch_execz .LBB270_3729
; %bb.3724:                             ;   in Loop: Header=BB270_2089 Depth=1
	v_mov_b32_e32 v112, 0x7f800001
	v_dual_mov_b32 v113, 0 :: v_dual_and_b32 v12, 0x7f, v18
	s_mov_b32 s2, exec_lo
	s_delay_alu instid0(VALU_DEP_1)
	v_cmpx_ne_u32_e32 0x7f, v12
	s_cbranch_execz .LBB270_3728
; %bb.3725:                             ;   in Loop: Header=BB270_2089 Depth=1
	v_and_b32_e32 v8, 7, v18
	v_lshrrev_b32_e32 v19, 3, v12
	v_cmp_gt_u32_e32 vcc_lo, 8, v12
	s_delay_alu instid0(VALU_DEP_3)
	v_dual_mov_b32 v13, v9 :: v_dual_mov_b32 v12, v8
	s_and_saveexec_b32 s3, vcc_lo
; %bb.3726:                             ;   in Loop: Header=BB270_2089 Depth=1
	v_clz_i32_u32_e32 v12, v8
	s_delay_alu instid0(VALU_DEP_1) | instskip(NEXT) | instid1(VALU_DEP_1)
	v_min_u32_e32 v19, 32, v12
	v_subrev_nc_u32_e32 v12, 28, v19
	v_sub_nc_u32_e32 v19, 29, v19
	s_delay_alu instid0(VALU_DEP_2) | instskip(NEXT) | instid1(VALU_DEP_1)
	v_lshlrev_b64 v[12:13], v12, v[8:9]
	v_and_b32_e32 v12, 7, v12
; %bb.3727:                             ;   in Loop: Header=BB270_2089 Depth=1
	s_or_b32 exec_lo, exec_lo, s3
	v_lshlrev_b32_e32 v8, 24, v18
	s_delay_alu instid0(VALU_DEP_2) | instskip(SKIP_1) | instid1(VALU_DEP_3)
	v_lshlrev_b32_e32 v12, 20, v12
	v_lshl_add_u32 v13, v19, 23, 0x3c000000
	v_and_b32_e32 v8, 0x80000000, v8
	s_delay_alu instid0(VALU_DEP_1) | instskip(NEXT) | instid1(VALU_DEP_1)
	v_or3_b32 v8, v12, v8, v13
	v_dual_mov_b32 v113, v9 :: v_dual_mov_b32 v112, v8
.LBB270_3728:                           ;   in Loop: Header=BB270_2089 Depth=1
	s_or_b32 exec_lo, exec_lo, s2
.LBB270_3729:                           ;   in Loop: Header=BB270_2089 Depth=1
	s_delay_alu instid0(SALU_CYCLE_1)
	s_or_b32 exec_lo, exec_lo, s1
.LBB270_3730:                           ;   in Loop: Header=BB270_2089 Depth=1
	s_delay_alu instid0(SALU_CYCLE_1) | instskip(SKIP_2) | instid1(VALU_DEP_1)
	s_or_b32 exec_lo, exec_lo, s0
	v_lshrrev_b16 v8, 8, v18
	s_mov_b32 s0, exec_lo
	v_cmpx_ne_u16_e32 0, v8
	s_cbranch_execz .LBB270_3738
; %bb.3731:                             ;   in Loop: Header=BB270_2089 Depth=1
	v_dual_mov_b32 v34, s11 :: v_dual_mov_b32 v33, s10
	s_mov_b32 s1, exec_lo
	v_cmpx_ne_u16_e32 0x80, v8
	s_cbranch_execz .LBB270_3737
; %bb.3732:                             ;   in Loop: Header=BB270_2089 Depth=1
	s_mov_b32 s12, s10
	v_and_b32_e32 v8, 0xffff, v8
	v_dual_mov_b32 v34, s13 :: v_dual_mov_b32 v33, s12
	s_mov_b32 s2, exec_lo
	s_delay_alu instid0(VALU_DEP_2) | instskip(NEXT) | instid1(VALU_DEP_1)
	v_and_b32_e32 v12, 0x7f, v8
	v_cmpx_ne_u32_e32 0x7f, v12
	s_cbranch_execz .LBB270_3736
; %bb.3733:                             ;   in Loop: Header=BB270_2089 Depth=1
	v_and_b32_e32 v8, 7, v8
	v_lshrrev_b32_e32 v19, 3, v12
	v_cmp_gt_u32_e32 vcc_lo, 8, v12
	s_delay_alu instid0(VALU_DEP_3)
	v_dual_mov_b32 v13, v9 :: v_dual_mov_b32 v12, v8
	s_and_saveexec_b32 s3, vcc_lo
; %bb.3734:                             ;   in Loop: Header=BB270_2089 Depth=1
	v_clz_i32_u32_e32 v12, v8
	s_delay_alu instid0(VALU_DEP_1) | instskip(NEXT) | instid1(VALU_DEP_1)
	v_min_u32_e32 v19, 32, v12
	v_subrev_nc_u32_e32 v12, 28, v19
	v_sub_nc_u32_e32 v19, 29, v19
	s_delay_alu instid0(VALU_DEP_2) | instskip(NEXT) | instid1(VALU_DEP_1)
	v_lshlrev_b64 v[12:13], v12, v[8:9]
	v_and_b32_e32 v12, 7, v12
; %bb.3735:                             ;   in Loop: Header=BB270_2089 Depth=1
	s_or_b32 exec_lo, exec_lo, s3
	v_dual_mov_b32 v33, v9 :: v_dual_lshlrev_b32 v8, 16, v18
	s_delay_alu instid0(VALU_DEP_2) | instskip(SKIP_1) | instid1(VALU_DEP_3)
	v_lshlrev_b32_e32 v12, 20, v12
	v_lshl_add_u32 v13, v19, 23, 0x3c000000
	v_and_b32_e32 v8, 0x80000000, v8
	s_delay_alu instid0(VALU_DEP_1)
	v_or3_b32 v34, v12, v8, v13
.LBB270_3736:                           ;   in Loop: Header=BB270_2089 Depth=1
	s_or_b32 exec_lo, exec_lo, s2
.LBB270_3737:                           ;   in Loop: Header=BB270_2089 Depth=1
	s_delay_alu instid0(SALU_CYCLE_1)
	s_or_b32 exec_lo, exec_lo, s1
.LBB270_3738:                           ;   in Loop: Header=BB270_2089 Depth=1
	s_delay_alu instid0(SALU_CYCLE_1) | instskip(SKIP_4) | instid1(VALU_DEP_1)
	s_or_b32 exec_lo, exec_lo, s0
	v_mov_b32_e32 v52, 0
	v_lshrrev_b32_e32 v19, 16, v18
	v_mov_b32_e32 v53, 0
	s_mov_b32 s0, exec_lo
	v_dual_mov_b32 v107, v53 :: v_dual_and_b32 v8, 0xff, v19
	v_mov_b32_e32 v106, v52
	s_delay_alu instid0(VALU_DEP_2)
	v_cmpx_ne_u16_e32 0, v8
	s_cbranch_execz .LBB270_3746
; %bb.3739:                             ;   in Loop: Header=BB270_2089 Depth=1
	v_bfrev_b32_e32 v106, 1
	v_mov_b32_e32 v107, 0
	s_mov_b32 s1, exec_lo
	v_cmpx_ne_u16_e32 0x80, v8
	s_cbranch_execz .LBB270_3745
; %bb.3740:                             ;   in Loop: Header=BB270_2089 Depth=1
	v_mov_b32_e32 v106, 0x7f800001
	v_bfe_u32 v12, v18, 16, 7
	v_mov_b32_e32 v107, 0
	s_mov_b32 s2, exec_lo
	s_delay_alu instid0(VALU_DEP_2)
	v_cmpx_ne_u32_e32 0x7f, v12
	s_cbranch_execz .LBB270_3744
; %bb.3741:                             ;   in Loop: Header=BB270_2089 Depth=1
	v_and_b32_e32 v8, 7, v19
	v_lshrrev_b32_e32 v20, 3, v12
	v_cmp_gt_u32_e32 vcc_lo, 8, v12
	s_delay_alu instid0(VALU_DEP_3)
	v_dual_mov_b32 v13, v9 :: v_dual_mov_b32 v12, v8
	s_and_saveexec_b32 s3, vcc_lo
; %bb.3742:                             ;   in Loop: Header=BB270_2089 Depth=1
	v_clz_i32_u32_e32 v12, v8
	s_delay_alu instid0(VALU_DEP_1) | instskip(NEXT) | instid1(VALU_DEP_1)
	v_min_u32_e32 v20, 32, v12
	v_subrev_nc_u32_e32 v12, 28, v20
	v_sub_nc_u32_e32 v20, 29, v20
	s_delay_alu instid0(VALU_DEP_2) | instskip(NEXT) | instid1(VALU_DEP_1)
	v_lshlrev_b64 v[12:13], v12, v[8:9]
	v_and_b32_e32 v12, 7, v12
; %bb.3743:                             ;   in Loop: Header=BB270_2089 Depth=1
	s_or_b32 exec_lo, exec_lo, s3
	v_lshlrev_b32_e32 v8, 24, v19
	s_delay_alu instid0(VALU_DEP_2) | instskip(SKIP_1) | instid1(VALU_DEP_3)
	v_lshlrev_b32_e32 v12, 20, v12
	v_lshl_add_u32 v13, v20, 23, 0x3c000000
	v_and_b32_e32 v8, 0x80000000, v8
	s_delay_alu instid0(VALU_DEP_1) | instskip(NEXT) | instid1(VALU_DEP_1)
	v_or3_b32 v8, v12, v8, v13
	v_dual_mov_b32 v107, v9 :: v_dual_mov_b32 v106, v8
.LBB270_3744:                           ;   in Loop: Header=BB270_2089 Depth=1
	s_or_b32 exec_lo, exec_lo, s2
.LBB270_3745:                           ;   in Loop: Header=BB270_2089 Depth=1
	s_delay_alu instid0(SALU_CYCLE_1)
	s_or_b32 exec_lo, exec_lo, s1
.LBB270_3746:                           ;   in Loop: Header=BB270_2089 Depth=1
	s_delay_alu instid0(SALU_CYCLE_1) | instskip(NEXT) | instid1(SALU_CYCLE_1)
	s_or_b32 exec_lo, exec_lo, s0
	s_mov_b32 s0, exec_lo
	v_cmpx_lt_u32_e32 0xffffff, v18
	s_cbranch_execz .LBB270_3754
; %bb.3747:                             ;   in Loop: Header=BB270_2089 Depth=1
	v_lshrrev_b32_e32 v19, 24, v18
	v_dual_mov_b32 v53, s11 :: v_dual_mov_b32 v52, s10
	s_mov_b32 s1, exec_lo
	s_delay_alu instid0(VALU_DEP_2)
	v_cmpx_ne_u32_e32 0x80, v19
	s_cbranch_execz .LBB270_3753
; %bb.3748:                             ;   in Loop: Header=BB270_2089 Depth=1
	s_mov_b32 s12, s10
	v_bfe_u32 v12, v18, 24, 7
	v_dual_mov_b32 v53, s13 :: v_dual_mov_b32 v52, s12
	s_mov_b32 s2, exec_lo
	s_delay_alu instid0(VALU_DEP_2)
	v_cmpx_ne_u32_e32 0x7f, v12
	s_cbranch_execz .LBB270_3752
; %bb.3749:                             ;   in Loop: Header=BB270_2089 Depth=1
	v_and_b32_e32 v8, 7, v19
	v_lshrrev_b32_e32 v18, 3, v12
	v_cmp_gt_u32_e32 vcc_lo, 8, v12
	s_delay_alu instid0(VALU_DEP_3)
	v_dual_mov_b32 v13, v9 :: v_dual_mov_b32 v12, v8
	s_and_saveexec_b32 s3, vcc_lo
; %bb.3750:                             ;   in Loop: Header=BB270_2089 Depth=1
	v_clz_i32_u32_e32 v12, v8
	s_delay_alu instid0(VALU_DEP_1) | instskip(NEXT) | instid1(VALU_DEP_1)
	v_min_u32_e32 v18, 32, v12
	v_subrev_nc_u32_e32 v12, 28, v18
	v_sub_nc_u32_e32 v18, 29, v18
	s_delay_alu instid0(VALU_DEP_2) | instskip(NEXT) | instid1(VALU_DEP_1)
	v_lshlrev_b64 v[12:13], v12, v[8:9]
	v_and_b32_e32 v12, 7, v12
; %bb.3751:                             ;   in Loop: Header=BB270_2089 Depth=1
	s_or_b32 exec_lo, exec_lo, s3
	v_lshlrev_b32_e32 v8, 24, v19
	s_delay_alu instid0(VALU_DEP_2) | instskip(SKIP_2) | instid1(VALU_DEP_4)
	v_lshlrev_b32_e32 v12, 20, v12
	v_lshl_add_u32 v13, v18, 23, 0x3c000000
	v_mov_b32_e32 v52, v9
	v_and_b32_e32 v8, 0x80000000, v8
	s_delay_alu instid0(VALU_DEP_1)
	v_or3_b32 v53, v12, v8, v13
.LBB270_3752:                           ;   in Loop: Header=BB270_2089 Depth=1
	s_or_b32 exec_lo, exec_lo, s2
.LBB270_3753:                           ;   in Loop: Header=BB270_2089 Depth=1
	s_delay_alu instid0(SALU_CYCLE_1)
	s_or_b32 exec_lo, exec_lo, s1
.LBB270_3754:                           ;   in Loop: Header=BB270_2089 Depth=1
	s_delay_alu instid0(SALU_CYCLE_1)
	s_or_b32 exec_lo, exec_lo, s0
	scratch_load_b32 v8, off, s32 offset:2744 ; 4-byte Folded Reload
	v_mov_b32_e32 v110, 0
	s_mov_b32 s0, exec_lo
	s_waitcnt vmcnt(0)
	v_add_co_u32 v12, vcc_lo, v21, v8
	v_add_co_ci_u32_e32 v13, vcc_lo, 0, v22, vcc_lo
	flat_load_b32 v18, v[12:13]
	s_waitcnt vmcnt(0) lgkmcnt(0)
	v_dual_mov_b32 v111, 0 :: v_dual_and_b32 v8, 0xff, v18
	s_delay_alu instid0(VALU_DEP_1) | instskip(NEXT) | instid1(VALU_DEP_2)
	v_dual_mov_b32 v175, v111 :: v_dual_mov_b32 v174, v110
	v_cmpx_ne_u16_e32 0, v8
	s_cbranch_execz .LBB270_3762
; %bb.3755:                             ;   in Loop: Header=BB270_2089 Depth=1
	v_bfrev_b32_e32 v174, 1
	v_mov_b32_e32 v175, 0
	s_mov_b32 s1, exec_lo
	v_cmpx_ne_u16_e32 0x80, v8
	s_cbranch_execz .LBB270_3761
; %bb.3756:                             ;   in Loop: Header=BB270_2089 Depth=1
	v_mov_b32_e32 v174, 0x7f800001
	v_dual_mov_b32 v175, 0 :: v_dual_and_b32 v12, 0x7f, v18
	s_mov_b32 s2, exec_lo
	s_delay_alu instid0(VALU_DEP_1)
	v_cmpx_ne_u32_e32 0x7f, v12
	s_cbranch_execz .LBB270_3760
; %bb.3757:                             ;   in Loop: Header=BB270_2089 Depth=1
	v_and_b32_e32 v8, 7, v18
	v_lshrrev_b32_e32 v19, 3, v12
	v_cmp_gt_u32_e32 vcc_lo, 8, v12
	s_delay_alu instid0(VALU_DEP_3)
	v_dual_mov_b32 v13, v9 :: v_dual_mov_b32 v12, v8
	s_and_saveexec_b32 s3, vcc_lo
; %bb.3758:                             ;   in Loop: Header=BB270_2089 Depth=1
	v_clz_i32_u32_e32 v12, v8
	s_delay_alu instid0(VALU_DEP_1) | instskip(NEXT) | instid1(VALU_DEP_1)
	v_min_u32_e32 v19, 32, v12
	v_subrev_nc_u32_e32 v12, 28, v19
	v_sub_nc_u32_e32 v19, 29, v19
	s_delay_alu instid0(VALU_DEP_2) | instskip(NEXT) | instid1(VALU_DEP_1)
	v_lshlrev_b64 v[12:13], v12, v[8:9]
	v_and_b32_e32 v12, 7, v12
; %bb.3759:                             ;   in Loop: Header=BB270_2089 Depth=1
	s_or_b32 exec_lo, exec_lo, s3
	v_lshlrev_b32_e32 v8, 24, v18
	s_delay_alu instid0(VALU_DEP_2) | instskip(SKIP_1) | instid1(VALU_DEP_3)
	v_lshlrev_b32_e32 v12, 20, v12
	v_lshl_add_u32 v13, v19, 23, 0x3c000000
	v_and_b32_e32 v8, 0x80000000, v8
	s_delay_alu instid0(VALU_DEP_1) | instskip(NEXT) | instid1(VALU_DEP_1)
	v_or3_b32 v8, v12, v8, v13
	v_dual_mov_b32 v175, v9 :: v_dual_mov_b32 v174, v8
.LBB270_3760:                           ;   in Loop: Header=BB270_2089 Depth=1
	s_or_b32 exec_lo, exec_lo, s2
.LBB270_3761:                           ;   in Loop: Header=BB270_2089 Depth=1
	s_delay_alu instid0(SALU_CYCLE_1)
	s_or_b32 exec_lo, exec_lo, s1
.LBB270_3762:                           ;   in Loop: Header=BB270_2089 Depth=1
	s_delay_alu instid0(SALU_CYCLE_1) | instskip(SKIP_2) | instid1(VALU_DEP_1)
	s_or_b32 exec_lo, exec_lo, s0
	v_lshrrev_b16 v8, 8, v18
	s_mov_b32 s0, exec_lo
	v_cmpx_ne_u16_e32 0, v8
	s_cbranch_execz .LBB270_3770
; %bb.3763:                             ;   in Loop: Header=BB270_2089 Depth=1
	v_dual_mov_b32 v111, s11 :: v_dual_mov_b32 v110, s10
	s_mov_b32 s1, exec_lo
	v_cmpx_ne_u16_e32 0x80, v8
	s_cbranch_execz .LBB270_3769
; %bb.3764:                             ;   in Loop: Header=BB270_2089 Depth=1
	s_mov_b32 s12, s10
	v_dual_mov_b32 v111, s13 :: v_dual_and_b32 v8, 0xffff, v8
	v_mov_b32_e32 v110, s12
	s_mov_b32 s2, exec_lo
	s_delay_alu instid0(VALU_DEP_2) | instskip(NEXT) | instid1(VALU_DEP_1)
	v_and_b32_e32 v12, 0x7f, v8
	v_cmpx_ne_u32_e32 0x7f, v12
	s_cbranch_execz .LBB270_3768
; %bb.3765:                             ;   in Loop: Header=BB270_2089 Depth=1
	v_and_b32_e32 v8, 7, v8
	v_lshrrev_b32_e32 v19, 3, v12
	v_cmp_gt_u32_e32 vcc_lo, 8, v12
	s_delay_alu instid0(VALU_DEP_3)
	v_dual_mov_b32 v13, v9 :: v_dual_mov_b32 v12, v8
	s_and_saveexec_b32 s3, vcc_lo
; %bb.3766:                             ;   in Loop: Header=BB270_2089 Depth=1
	v_clz_i32_u32_e32 v12, v8
	s_delay_alu instid0(VALU_DEP_1) | instskip(NEXT) | instid1(VALU_DEP_1)
	v_min_u32_e32 v19, 32, v12
	v_subrev_nc_u32_e32 v12, 28, v19
	v_sub_nc_u32_e32 v19, 29, v19
	s_delay_alu instid0(VALU_DEP_2) | instskip(NEXT) | instid1(VALU_DEP_1)
	v_lshlrev_b64 v[12:13], v12, v[8:9]
	v_and_b32_e32 v12, 7, v12
; %bb.3767:                             ;   in Loop: Header=BB270_2089 Depth=1
	s_or_b32 exec_lo, exec_lo, s3
	v_lshlrev_b32_e32 v8, 16, v18
	s_delay_alu instid0(VALU_DEP_2) | instskip(SKIP_2) | instid1(VALU_DEP_4)
	v_lshlrev_b32_e32 v12, 20, v12
	v_lshl_add_u32 v13, v19, 23, 0x3c000000
	v_mov_b32_e32 v110, v9
	v_and_b32_e32 v8, 0x80000000, v8
	s_delay_alu instid0(VALU_DEP_1)
	v_or3_b32 v111, v12, v8, v13
.LBB270_3768:                           ;   in Loop: Header=BB270_2089 Depth=1
	s_or_b32 exec_lo, exec_lo, s2
.LBB270_3769:                           ;   in Loop: Header=BB270_2089 Depth=1
	s_delay_alu instid0(SALU_CYCLE_1)
	s_or_b32 exec_lo, exec_lo, s1
.LBB270_3770:                           ;   in Loop: Header=BB270_2089 Depth=1
	s_delay_alu instid0(SALU_CYCLE_1) | instskip(SKIP_4) | instid1(VALU_DEP_1)
	s_or_b32 exec_lo, exec_lo, s0
	v_mov_b32_e32 v118, 0
	v_lshrrev_b32_e32 v19, 16, v18
	v_mov_b32_e32 v119, 0
	s_mov_b32 s0, exec_lo
	v_dual_mov_b32 v127, v119 :: v_dual_and_b32 v8, 0xff, v19
	v_mov_b32_e32 v126, v118
	s_delay_alu instid0(VALU_DEP_2)
	v_cmpx_ne_u16_e32 0, v8
	s_cbranch_execz .LBB270_3778
; %bb.3771:                             ;   in Loop: Header=BB270_2089 Depth=1
	v_bfrev_b32_e32 v126, 1
	v_mov_b32_e32 v127, 0
	s_mov_b32 s1, exec_lo
	v_cmpx_ne_u16_e32 0x80, v8
	s_cbranch_execz .LBB270_3777
; %bb.3772:                             ;   in Loop: Header=BB270_2089 Depth=1
	v_mov_b32_e32 v126, 0x7f800001
	v_bfe_u32 v12, v18, 16, 7
	v_mov_b32_e32 v127, 0
	s_mov_b32 s2, exec_lo
	s_delay_alu instid0(VALU_DEP_2)
	v_cmpx_ne_u32_e32 0x7f, v12
	s_cbranch_execz .LBB270_3776
; %bb.3773:                             ;   in Loop: Header=BB270_2089 Depth=1
	v_and_b32_e32 v8, 7, v19
	v_lshrrev_b32_e32 v20, 3, v12
	v_cmp_gt_u32_e32 vcc_lo, 8, v12
	s_delay_alu instid0(VALU_DEP_3)
	v_dual_mov_b32 v13, v9 :: v_dual_mov_b32 v12, v8
	s_and_saveexec_b32 s3, vcc_lo
; %bb.3774:                             ;   in Loop: Header=BB270_2089 Depth=1
	v_clz_i32_u32_e32 v12, v8
	s_delay_alu instid0(VALU_DEP_1) | instskip(NEXT) | instid1(VALU_DEP_1)
	v_min_u32_e32 v20, 32, v12
	v_subrev_nc_u32_e32 v12, 28, v20
	v_sub_nc_u32_e32 v20, 29, v20
	s_delay_alu instid0(VALU_DEP_2) | instskip(NEXT) | instid1(VALU_DEP_1)
	v_lshlrev_b64 v[12:13], v12, v[8:9]
	v_and_b32_e32 v12, 7, v12
; %bb.3775:                             ;   in Loop: Header=BB270_2089 Depth=1
	s_or_b32 exec_lo, exec_lo, s3
	v_lshlrev_b32_e32 v8, 24, v19
	s_delay_alu instid0(VALU_DEP_2) | instskip(SKIP_1) | instid1(VALU_DEP_3)
	v_lshlrev_b32_e32 v12, 20, v12
	v_lshl_add_u32 v13, v20, 23, 0x3c000000
	v_and_b32_e32 v8, 0x80000000, v8
	s_delay_alu instid0(VALU_DEP_1) | instskip(NEXT) | instid1(VALU_DEP_1)
	v_or3_b32 v8, v12, v8, v13
	v_dual_mov_b32 v127, v9 :: v_dual_mov_b32 v126, v8
.LBB270_3776:                           ;   in Loop: Header=BB270_2089 Depth=1
	s_or_b32 exec_lo, exec_lo, s2
.LBB270_3777:                           ;   in Loop: Header=BB270_2089 Depth=1
	s_delay_alu instid0(SALU_CYCLE_1)
	s_or_b32 exec_lo, exec_lo, s1
.LBB270_3778:                           ;   in Loop: Header=BB270_2089 Depth=1
	s_delay_alu instid0(SALU_CYCLE_1) | instskip(NEXT) | instid1(SALU_CYCLE_1)
	s_or_b32 exec_lo, exec_lo, s0
	s_mov_b32 s0, exec_lo
	v_cmpx_lt_u32_e32 0xffffff, v18
	s_cbranch_execz .LBB270_3786
; %bb.3779:                             ;   in Loop: Header=BB270_2089 Depth=1
	v_lshrrev_b32_e32 v19, 24, v18
	v_dual_mov_b32 v119, s11 :: v_dual_mov_b32 v118, s10
	s_mov_b32 s1, exec_lo
	s_delay_alu instid0(VALU_DEP_2)
	v_cmpx_ne_u32_e32 0x80, v19
	s_cbranch_execz .LBB270_3785
; %bb.3780:                             ;   in Loop: Header=BB270_2089 Depth=1
	s_mov_b32 s12, s10
	v_bfe_u32 v12, v18, 24, 7
	v_dual_mov_b32 v119, s13 :: v_dual_mov_b32 v118, s12
	s_mov_b32 s2, exec_lo
	s_delay_alu instid0(VALU_DEP_2)
	v_cmpx_ne_u32_e32 0x7f, v12
	s_cbranch_execz .LBB270_3784
; %bb.3781:                             ;   in Loop: Header=BB270_2089 Depth=1
	v_and_b32_e32 v8, 7, v19
	v_lshrrev_b32_e32 v18, 3, v12
	v_cmp_gt_u32_e32 vcc_lo, 8, v12
	s_delay_alu instid0(VALU_DEP_3)
	v_dual_mov_b32 v13, v9 :: v_dual_mov_b32 v12, v8
	s_and_saveexec_b32 s3, vcc_lo
; %bb.3782:                             ;   in Loop: Header=BB270_2089 Depth=1
	v_clz_i32_u32_e32 v12, v8
	s_delay_alu instid0(VALU_DEP_1) | instskip(NEXT) | instid1(VALU_DEP_1)
	v_min_u32_e32 v18, 32, v12
	v_subrev_nc_u32_e32 v12, 28, v18
	v_sub_nc_u32_e32 v18, 29, v18
	s_delay_alu instid0(VALU_DEP_2) | instskip(NEXT) | instid1(VALU_DEP_1)
	v_lshlrev_b64 v[12:13], v12, v[8:9]
	v_and_b32_e32 v12, 7, v12
; %bb.3783:                             ;   in Loop: Header=BB270_2089 Depth=1
	s_or_b32 exec_lo, exec_lo, s3
	v_lshlrev_b32_e32 v8, 24, v19
	s_delay_alu instid0(VALU_DEP_2) | instskip(SKIP_2) | instid1(VALU_DEP_4)
	v_lshlrev_b32_e32 v12, 20, v12
	v_lshl_add_u32 v13, v18, 23, 0x3c000000
	v_mov_b32_e32 v118, v9
	v_and_b32_e32 v8, 0x80000000, v8
	s_delay_alu instid0(VALU_DEP_1)
	v_or3_b32 v119, v12, v8, v13
.LBB270_3784:                           ;   in Loop: Header=BB270_2089 Depth=1
	s_or_b32 exec_lo, exec_lo, s2
.LBB270_3785:                           ;   in Loop: Header=BB270_2089 Depth=1
	s_delay_alu instid0(SALU_CYCLE_1)
	s_or_b32 exec_lo, exec_lo, s1
.LBB270_3786:                           ;   in Loop: Header=BB270_2089 Depth=1
	s_delay_alu instid0(SALU_CYCLE_1)
	s_or_b32 exec_lo, exec_lo, s0
	scratch_load_b32 v8, off, s32 offset:2760 ; 4-byte Folded Reload
	v_mov_b32_e32 v134, 0
	s_mov_b32 s0, exec_lo
	s_waitcnt vmcnt(0)
	v_add_co_u32 v12, vcc_lo, v21, v8
	v_add_co_ci_u32_e32 v13, vcc_lo, 0, v22, vcc_lo
	flat_load_b32 v18, v[12:13]
	s_waitcnt vmcnt(0) lgkmcnt(0)
	v_dual_mov_b32 v135, 0 :: v_dual_and_b32 v8, 0xff, v18
	s_delay_alu instid0(VALU_DEP_1) | instskip(NEXT) | instid1(VALU_DEP_2)
	v_dual_mov_b32 v151, v135 :: v_dual_mov_b32 v150, v134
	v_cmpx_ne_u16_e32 0, v8
	s_cbranch_execz .LBB270_3794
; %bb.3787:                             ;   in Loop: Header=BB270_2089 Depth=1
	v_bfrev_b32_e32 v150, 1
	v_mov_b32_e32 v151, 0
	s_mov_b32 s1, exec_lo
	v_cmpx_ne_u16_e32 0x80, v8
	s_cbranch_execz .LBB270_3793
; %bb.3788:                             ;   in Loop: Header=BB270_2089 Depth=1
	v_mov_b32_e32 v150, 0x7f800001
	v_dual_mov_b32 v151, 0 :: v_dual_and_b32 v12, 0x7f, v18
	s_mov_b32 s2, exec_lo
	s_delay_alu instid0(VALU_DEP_1)
	v_cmpx_ne_u32_e32 0x7f, v12
	s_cbranch_execz .LBB270_3792
; %bb.3789:                             ;   in Loop: Header=BB270_2089 Depth=1
	v_and_b32_e32 v8, 7, v18
	v_lshrrev_b32_e32 v19, 3, v12
	v_cmp_gt_u32_e32 vcc_lo, 8, v12
	s_delay_alu instid0(VALU_DEP_3)
	v_dual_mov_b32 v13, v9 :: v_dual_mov_b32 v12, v8
	s_and_saveexec_b32 s3, vcc_lo
; %bb.3790:                             ;   in Loop: Header=BB270_2089 Depth=1
	v_clz_i32_u32_e32 v12, v8
	s_delay_alu instid0(VALU_DEP_1) | instskip(NEXT) | instid1(VALU_DEP_1)
	v_min_u32_e32 v19, 32, v12
	v_subrev_nc_u32_e32 v12, 28, v19
	v_sub_nc_u32_e32 v19, 29, v19
	s_delay_alu instid0(VALU_DEP_2) | instskip(NEXT) | instid1(VALU_DEP_1)
	v_lshlrev_b64 v[12:13], v12, v[8:9]
	v_and_b32_e32 v12, 7, v12
; %bb.3791:                             ;   in Loop: Header=BB270_2089 Depth=1
	s_or_b32 exec_lo, exec_lo, s3
	v_lshlrev_b32_e32 v8, 24, v18
	s_delay_alu instid0(VALU_DEP_2) | instskip(SKIP_1) | instid1(VALU_DEP_3)
	v_lshlrev_b32_e32 v12, 20, v12
	v_lshl_add_u32 v13, v19, 23, 0x3c000000
	v_and_b32_e32 v8, 0x80000000, v8
	s_delay_alu instid0(VALU_DEP_1) | instskip(NEXT) | instid1(VALU_DEP_1)
	v_or3_b32 v8, v12, v8, v13
	v_dual_mov_b32 v151, v9 :: v_dual_mov_b32 v150, v8
.LBB270_3792:                           ;   in Loop: Header=BB270_2089 Depth=1
	s_or_b32 exec_lo, exec_lo, s2
.LBB270_3793:                           ;   in Loop: Header=BB270_2089 Depth=1
	s_delay_alu instid0(SALU_CYCLE_1)
	s_or_b32 exec_lo, exec_lo, s1
.LBB270_3794:                           ;   in Loop: Header=BB270_2089 Depth=1
	s_delay_alu instid0(SALU_CYCLE_1) | instskip(SKIP_2) | instid1(VALU_DEP_1)
	s_or_b32 exec_lo, exec_lo, s0
	v_lshrrev_b16 v8, 8, v18
	s_mov_b32 s0, exec_lo
	v_cmpx_ne_u16_e32 0, v8
	s_cbranch_execz .LBB270_3802
; %bb.3795:                             ;   in Loop: Header=BB270_2089 Depth=1
	v_dual_mov_b32 v135, s11 :: v_dual_mov_b32 v134, s10
	s_mov_b32 s1, exec_lo
	v_cmpx_ne_u16_e32 0x80, v8
	s_cbranch_execz .LBB270_3801
; %bb.3796:                             ;   in Loop: Header=BB270_2089 Depth=1
	s_mov_b32 s12, s10
	v_dual_mov_b32 v135, s13 :: v_dual_and_b32 v8, 0xffff, v8
	v_mov_b32_e32 v134, s12
	s_mov_b32 s2, exec_lo
	s_delay_alu instid0(VALU_DEP_2) | instskip(NEXT) | instid1(VALU_DEP_1)
	v_and_b32_e32 v12, 0x7f, v8
	v_cmpx_ne_u32_e32 0x7f, v12
	s_cbranch_execz .LBB270_3800
; %bb.3797:                             ;   in Loop: Header=BB270_2089 Depth=1
	v_and_b32_e32 v8, 7, v8
	v_lshrrev_b32_e32 v19, 3, v12
	v_cmp_gt_u32_e32 vcc_lo, 8, v12
	s_delay_alu instid0(VALU_DEP_3)
	v_dual_mov_b32 v13, v9 :: v_dual_mov_b32 v12, v8
	s_and_saveexec_b32 s3, vcc_lo
; %bb.3798:                             ;   in Loop: Header=BB270_2089 Depth=1
	v_clz_i32_u32_e32 v12, v8
	s_delay_alu instid0(VALU_DEP_1) | instskip(NEXT) | instid1(VALU_DEP_1)
	v_min_u32_e32 v19, 32, v12
	v_subrev_nc_u32_e32 v12, 28, v19
	v_sub_nc_u32_e32 v19, 29, v19
	s_delay_alu instid0(VALU_DEP_2) | instskip(NEXT) | instid1(VALU_DEP_1)
	v_lshlrev_b64 v[12:13], v12, v[8:9]
	v_and_b32_e32 v12, 7, v12
; %bb.3799:                             ;   in Loop: Header=BB270_2089 Depth=1
	s_or_b32 exec_lo, exec_lo, s3
	v_lshlrev_b32_e32 v8, 16, v18
	s_delay_alu instid0(VALU_DEP_2) | instskip(SKIP_2) | instid1(VALU_DEP_4)
	v_lshlrev_b32_e32 v12, 20, v12
	v_lshl_add_u32 v13, v19, 23, 0x3c000000
	v_mov_b32_e32 v134, v9
	v_and_b32_e32 v8, 0x80000000, v8
	s_delay_alu instid0(VALU_DEP_1)
	v_or3_b32 v135, v12, v8, v13
.LBB270_3800:                           ;   in Loop: Header=BB270_2089 Depth=1
	s_or_b32 exec_lo, exec_lo, s2
.LBB270_3801:                           ;   in Loop: Header=BB270_2089 Depth=1
	s_delay_alu instid0(SALU_CYCLE_1)
	s_or_b32 exec_lo, exec_lo, s1
.LBB270_3802:                           ;   in Loop: Header=BB270_2089 Depth=1
	s_delay_alu instid0(SALU_CYCLE_1) | instskip(SKIP_4) | instid1(VALU_DEP_1)
	s_or_b32 exec_lo, exec_lo, s0
	v_mov_b32_e32 v160, 0
	v_lshrrev_b32_e32 v19, 16, v18
	v_mov_b32_e32 v161, 0
	s_mov_b32 s0, exec_lo
	v_dual_mov_b32 v167, v161 :: v_dual_and_b32 v8, 0xff, v19
	v_mov_b32_e32 v166, v160
	s_delay_alu instid0(VALU_DEP_2)
	v_cmpx_ne_u16_e32 0, v8
	s_cbranch_execz .LBB270_3810
; %bb.3803:                             ;   in Loop: Header=BB270_2089 Depth=1
	v_bfrev_b32_e32 v166, 1
	v_mov_b32_e32 v167, 0
	s_mov_b32 s1, exec_lo
	v_cmpx_ne_u16_e32 0x80, v8
	s_cbranch_execz .LBB270_3809
; %bb.3804:                             ;   in Loop: Header=BB270_2089 Depth=1
	v_mov_b32_e32 v166, 0x7f800001
	v_bfe_u32 v12, v18, 16, 7
	v_mov_b32_e32 v167, 0
	s_mov_b32 s2, exec_lo
	s_delay_alu instid0(VALU_DEP_2)
	v_cmpx_ne_u32_e32 0x7f, v12
	s_cbranch_execz .LBB270_3808
; %bb.3805:                             ;   in Loop: Header=BB270_2089 Depth=1
	v_and_b32_e32 v8, 7, v19
	v_lshrrev_b32_e32 v20, 3, v12
	v_cmp_gt_u32_e32 vcc_lo, 8, v12
	s_delay_alu instid0(VALU_DEP_3)
	v_dual_mov_b32 v13, v9 :: v_dual_mov_b32 v12, v8
	s_and_saveexec_b32 s3, vcc_lo
; %bb.3806:                             ;   in Loop: Header=BB270_2089 Depth=1
	v_clz_i32_u32_e32 v12, v8
	s_delay_alu instid0(VALU_DEP_1) | instskip(NEXT) | instid1(VALU_DEP_1)
	v_min_u32_e32 v20, 32, v12
	v_subrev_nc_u32_e32 v12, 28, v20
	v_sub_nc_u32_e32 v20, 29, v20
	s_delay_alu instid0(VALU_DEP_2) | instskip(NEXT) | instid1(VALU_DEP_1)
	v_lshlrev_b64 v[12:13], v12, v[8:9]
	v_and_b32_e32 v12, 7, v12
; %bb.3807:                             ;   in Loop: Header=BB270_2089 Depth=1
	s_or_b32 exec_lo, exec_lo, s3
	v_lshlrev_b32_e32 v8, 24, v19
	s_delay_alu instid0(VALU_DEP_2) | instskip(SKIP_1) | instid1(VALU_DEP_3)
	v_lshlrev_b32_e32 v12, 20, v12
	v_lshl_add_u32 v13, v20, 23, 0x3c000000
	v_and_b32_e32 v8, 0x80000000, v8
	s_delay_alu instid0(VALU_DEP_1) | instskip(NEXT) | instid1(VALU_DEP_1)
	v_or3_b32 v8, v12, v8, v13
	v_dual_mov_b32 v167, v9 :: v_dual_mov_b32 v166, v8
.LBB270_3808:                           ;   in Loop: Header=BB270_2089 Depth=1
	s_or_b32 exec_lo, exec_lo, s2
.LBB270_3809:                           ;   in Loop: Header=BB270_2089 Depth=1
	s_delay_alu instid0(SALU_CYCLE_1)
	s_or_b32 exec_lo, exec_lo, s1
.LBB270_3810:                           ;   in Loop: Header=BB270_2089 Depth=1
	s_delay_alu instid0(SALU_CYCLE_1) | instskip(NEXT) | instid1(SALU_CYCLE_1)
	s_or_b32 exec_lo, exec_lo, s0
	s_mov_b32 s0, exec_lo
	v_cmpx_lt_u32_e32 0xffffff, v18
	s_cbranch_execz .LBB270_3818
; %bb.3811:                             ;   in Loop: Header=BB270_2089 Depth=1
	v_lshrrev_b32_e32 v19, 24, v18
	v_dual_mov_b32 v161, s11 :: v_dual_mov_b32 v160, s10
	s_mov_b32 s1, exec_lo
	s_delay_alu instid0(VALU_DEP_2)
	v_cmpx_ne_u32_e32 0x80, v19
	s_cbranch_execz .LBB270_3817
; %bb.3812:                             ;   in Loop: Header=BB270_2089 Depth=1
	s_mov_b32 s12, s10
	v_bfe_u32 v12, v18, 24, 7
	v_dual_mov_b32 v161, s13 :: v_dual_mov_b32 v160, s12
	s_mov_b32 s2, exec_lo
	s_delay_alu instid0(VALU_DEP_2)
	v_cmpx_ne_u32_e32 0x7f, v12
	s_cbranch_execz .LBB270_3816
; %bb.3813:                             ;   in Loop: Header=BB270_2089 Depth=1
	v_and_b32_e32 v8, 7, v19
	v_lshrrev_b32_e32 v18, 3, v12
	v_cmp_gt_u32_e32 vcc_lo, 8, v12
	s_delay_alu instid0(VALU_DEP_3)
	v_dual_mov_b32 v13, v9 :: v_dual_mov_b32 v12, v8
	s_and_saveexec_b32 s3, vcc_lo
; %bb.3814:                             ;   in Loop: Header=BB270_2089 Depth=1
	v_clz_i32_u32_e32 v12, v8
	s_delay_alu instid0(VALU_DEP_1) | instskip(NEXT) | instid1(VALU_DEP_1)
	v_min_u32_e32 v18, 32, v12
	v_subrev_nc_u32_e32 v12, 28, v18
	v_sub_nc_u32_e32 v18, 29, v18
	s_delay_alu instid0(VALU_DEP_2) | instskip(NEXT) | instid1(VALU_DEP_1)
	v_lshlrev_b64 v[12:13], v12, v[8:9]
	v_and_b32_e32 v12, 7, v12
; %bb.3815:                             ;   in Loop: Header=BB270_2089 Depth=1
	s_or_b32 exec_lo, exec_lo, s3
	v_lshlrev_b32_e32 v8, 24, v19
	s_delay_alu instid0(VALU_DEP_2) | instskip(SKIP_2) | instid1(VALU_DEP_4)
	v_lshlrev_b32_e32 v12, 20, v12
	v_lshl_add_u32 v13, v18, 23, 0x3c000000
	v_mov_b32_e32 v160, v9
	v_and_b32_e32 v8, 0x80000000, v8
	s_delay_alu instid0(VALU_DEP_1)
	v_or3_b32 v161, v12, v8, v13
.LBB270_3816:                           ;   in Loop: Header=BB270_2089 Depth=1
	s_or_b32 exec_lo, exec_lo, s2
.LBB270_3817:                           ;   in Loop: Header=BB270_2089 Depth=1
	s_delay_alu instid0(SALU_CYCLE_1)
	s_or_b32 exec_lo, exec_lo, s1
.LBB270_3818:                           ;   in Loop: Header=BB270_2089 Depth=1
	s_delay_alu instid0(SALU_CYCLE_1)
	s_or_b32 exec_lo, exec_lo, s0
	scratch_load_b32 v8, off, s32 offset:2776 ; 4-byte Folded Reload
	v_mov_b32_e32 v164, 0
	s_mov_b32 s0, exec_lo
	s_waitcnt vmcnt(0)
	v_add_co_u32 v12, vcc_lo, v21, v8
	v_add_co_ci_u32_e32 v13, vcc_lo, 0, v22, vcc_lo
	flat_load_b32 v20, v[12:13]
	s_waitcnt vmcnt(0) lgkmcnt(0)
	v_dual_mov_b32 v165, 0 :: v_dual_and_b32 v8, 0xff, v20
	s_delay_alu instid0(VALU_DEP_1) | instskip(NEXT) | instid1(VALU_DEP_2)
	v_dual_mov_b32 v183, v165 :: v_dual_mov_b32 v182, v164
	v_cmpx_ne_u16_e32 0, v8
	s_cbranch_execz .LBB270_3826
; %bb.3819:                             ;   in Loop: Header=BB270_2089 Depth=1
	v_bfrev_b32_e32 v182, 1
	v_mov_b32_e32 v183, 0
	s_mov_b32 s1, exec_lo
	v_cmpx_ne_u16_e32 0x80, v8
	s_cbranch_execz .LBB270_3825
; %bb.3820:                             ;   in Loop: Header=BB270_2089 Depth=1
	v_mov_b32_e32 v182, 0x7f800001
	v_dual_mov_b32 v183, 0 :: v_dual_and_b32 v12, 0x7f, v20
	s_mov_b32 s2, exec_lo
	s_delay_alu instid0(VALU_DEP_1)
	v_cmpx_ne_u32_e32 0x7f, v12
	s_cbranch_execz .LBB270_3824
; %bb.3821:                             ;   in Loop: Header=BB270_2089 Depth=1
	v_and_b32_e32 v8, 7, v20
	v_lshrrev_b32_e32 v18, 3, v12
	v_cmp_gt_u32_e32 vcc_lo, 8, v12
	s_delay_alu instid0(VALU_DEP_3)
	v_dual_mov_b32 v13, v9 :: v_dual_mov_b32 v12, v8
	s_and_saveexec_b32 s3, vcc_lo
; %bb.3822:                             ;   in Loop: Header=BB270_2089 Depth=1
	v_clz_i32_u32_e32 v12, v8
	s_delay_alu instid0(VALU_DEP_1) | instskip(NEXT) | instid1(VALU_DEP_1)
	v_min_u32_e32 v18, 32, v12
	v_subrev_nc_u32_e32 v12, 28, v18
	v_sub_nc_u32_e32 v18, 29, v18
	s_delay_alu instid0(VALU_DEP_2) | instskip(NEXT) | instid1(VALU_DEP_1)
	v_lshlrev_b64 v[12:13], v12, v[8:9]
	v_and_b32_e32 v12, 7, v12
; %bb.3823:                             ;   in Loop: Header=BB270_2089 Depth=1
	s_or_b32 exec_lo, exec_lo, s3
	v_lshlrev_b32_e32 v8, 24, v20
	s_delay_alu instid0(VALU_DEP_2) | instskip(SKIP_1) | instid1(VALU_DEP_3)
	v_lshlrev_b32_e32 v12, 20, v12
	v_lshl_add_u32 v13, v18, 23, 0x3c000000
	v_and_b32_e32 v8, 0x80000000, v8
	s_delay_alu instid0(VALU_DEP_1) | instskip(NEXT) | instid1(VALU_DEP_1)
	v_or3_b32 v8, v12, v8, v13
	v_dual_mov_b32 v183, v9 :: v_dual_mov_b32 v182, v8
.LBB270_3824:                           ;   in Loop: Header=BB270_2089 Depth=1
	s_or_b32 exec_lo, exec_lo, s2
.LBB270_3825:                           ;   in Loop: Header=BB270_2089 Depth=1
	s_delay_alu instid0(SALU_CYCLE_1)
	s_or_b32 exec_lo, exec_lo, s1
.LBB270_3826:                           ;   in Loop: Header=BB270_2089 Depth=1
	s_delay_alu instid0(SALU_CYCLE_1) | instskip(SKIP_2) | instid1(VALU_DEP_1)
	s_or_b32 exec_lo, exec_lo, s0
	v_lshrrev_b16 v8, 8, v20
	s_mov_b32 s0, exec_lo
	v_cmpx_ne_u16_e32 0, v8
	s_cbranch_execz .LBB270_3834
; %bb.3827:                             ;   in Loop: Header=BB270_2089 Depth=1
	v_dual_mov_b32 v165, s11 :: v_dual_mov_b32 v164, s10
	s_mov_b32 s1, exec_lo
	v_cmpx_ne_u16_e32 0x80, v8
	s_cbranch_execz .LBB270_3833
; %bb.3828:                             ;   in Loop: Header=BB270_2089 Depth=1
	s_mov_b32 s12, s10
	v_dual_mov_b32 v165, s13 :: v_dual_and_b32 v8, 0xffff, v8
	v_mov_b32_e32 v164, s12
	s_mov_b32 s2, exec_lo
	s_delay_alu instid0(VALU_DEP_2) | instskip(NEXT) | instid1(VALU_DEP_1)
	v_and_b32_e32 v12, 0x7f, v8
	v_cmpx_ne_u32_e32 0x7f, v12
	s_cbranch_execz .LBB270_3832
; %bb.3829:                             ;   in Loop: Header=BB270_2089 Depth=1
	v_and_b32_e32 v8, 7, v8
	v_lshrrev_b32_e32 v18, 3, v12
	v_cmp_gt_u32_e32 vcc_lo, 8, v12
	s_delay_alu instid0(VALU_DEP_3)
	v_dual_mov_b32 v13, v9 :: v_dual_mov_b32 v12, v8
	s_and_saveexec_b32 s3, vcc_lo
; %bb.3830:                             ;   in Loop: Header=BB270_2089 Depth=1
	v_clz_i32_u32_e32 v12, v8
	s_delay_alu instid0(VALU_DEP_1) | instskip(NEXT) | instid1(VALU_DEP_1)
	v_min_u32_e32 v18, 32, v12
	v_subrev_nc_u32_e32 v12, 28, v18
	v_sub_nc_u32_e32 v18, 29, v18
	s_delay_alu instid0(VALU_DEP_2) | instskip(NEXT) | instid1(VALU_DEP_1)
	v_lshlrev_b64 v[12:13], v12, v[8:9]
	v_and_b32_e32 v12, 7, v12
; %bb.3831:                             ;   in Loop: Header=BB270_2089 Depth=1
	s_or_b32 exec_lo, exec_lo, s3
	v_lshlrev_b32_e32 v8, 16, v20
	s_delay_alu instid0(VALU_DEP_2) | instskip(SKIP_2) | instid1(VALU_DEP_4)
	v_lshlrev_b32_e32 v12, 20, v12
	v_lshl_add_u32 v13, v18, 23, 0x3c000000
	v_mov_b32_e32 v164, v9
	v_and_b32_e32 v8, 0x80000000, v8
	s_delay_alu instid0(VALU_DEP_1)
	v_or3_b32 v165, v12, v8, v13
.LBB270_3832:                           ;   in Loop: Header=BB270_2089 Depth=1
	s_or_b32 exec_lo, exec_lo, s2
.LBB270_3833:                           ;   in Loop: Header=BB270_2089 Depth=1
	s_delay_alu instid0(SALU_CYCLE_1)
	s_or_b32 exec_lo, exec_lo, s1
.LBB270_3834:                           ;   in Loop: Header=BB270_2089 Depth=1
	s_delay_alu instid0(SALU_CYCLE_1) | instskip(SKIP_4) | instid1(VALU_DEP_2)
	s_or_b32 exec_lo, exec_lo, s0
	v_mov_b32_e32 v154, 0
	v_lshrrev_b32_e32 v27, 16, v20
	v_mov_b32_e32 v155, 0
	s_mov_b32 s0, exec_lo
	v_and_b32_e32 v8, 0xff, v27
	s_delay_alu instid0(VALU_DEP_2) | instskip(NEXT) | instid1(VALU_DEP_2)
	v_dual_mov_b32 v18, v154 :: v_dual_mov_b32 v19, v155
	v_cmpx_ne_u16_e32 0, v8
	s_cbranch_execz .LBB270_3842
; %bb.3835:                             ;   in Loop: Header=BB270_2089 Depth=1
	v_bfrev_b32_e32 v18, 1
	v_mov_b32_e32 v19, 0
	s_mov_b32 s1, exec_lo
	v_cmpx_ne_u16_e32 0x80, v8
	s_cbranch_execz .LBB270_3841
; %bb.3836:                             ;   in Loop: Header=BB270_2089 Depth=1
	v_mov_b32_e32 v18, 0x7f800001
	v_bfe_u32 v12, v20, 16, 7
	v_mov_b32_e32 v19, 0
	s_mov_b32 s2, exec_lo
	s_delay_alu instid0(VALU_DEP_2)
	v_cmpx_ne_u32_e32 0x7f, v12
	s_cbranch_execz .LBB270_3840
; %bb.3837:                             ;   in Loop: Header=BB270_2089 Depth=1
	v_and_b32_e32 v8, 7, v27
	v_lshrrev_b32_e32 v18, 3, v12
	v_cmp_gt_u32_e32 vcc_lo, 8, v12
	s_delay_alu instid0(VALU_DEP_3)
	v_dual_mov_b32 v13, v9 :: v_dual_mov_b32 v12, v8
	s_and_saveexec_b32 s3, vcc_lo
; %bb.3838:                             ;   in Loop: Header=BB270_2089 Depth=1
	v_clz_i32_u32_e32 v12, v8
	s_delay_alu instid0(VALU_DEP_1) | instskip(NEXT) | instid1(VALU_DEP_1)
	v_min_u32_e32 v18, 32, v12
	v_subrev_nc_u32_e32 v12, 28, v18
	v_sub_nc_u32_e32 v18, 29, v18
	s_delay_alu instid0(VALU_DEP_2) | instskip(NEXT) | instid1(VALU_DEP_1)
	v_lshlrev_b64 v[12:13], v12, v[8:9]
	v_and_b32_e32 v12, 7, v12
; %bb.3839:                             ;   in Loop: Header=BB270_2089 Depth=1
	s_or_b32 exec_lo, exec_lo, s3
	v_lshlrev_b32_e32 v8, 24, v27
	s_delay_alu instid0(VALU_DEP_2) | instskip(SKIP_1) | instid1(VALU_DEP_3)
	v_lshlrev_b32_e32 v12, 20, v12
	v_lshl_add_u32 v13, v18, 23, 0x3c000000
	v_and_b32_e32 v8, 0x80000000, v8
	s_delay_alu instid0(VALU_DEP_1) | instskip(NEXT) | instid1(VALU_DEP_1)
	v_or3_b32 v8, v12, v8, v13
	v_dual_mov_b32 v19, v9 :: v_dual_mov_b32 v18, v8
.LBB270_3840:                           ;   in Loop: Header=BB270_2089 Depth=1
	s_or_b32 exec_lo, exec_lo, s2
.LBB270_3841:                           ;   in Loop: Header=BB270_2089 Depth=1
	s_delay_alu instid0(SALU_CYCLE_1)
	s_or_b32 exec_lo, exec_lo, s1
.LBB270_3842:                           ;   in Loop: Header=BB270_2089 Depth=1
	s_delay_alu instid0(SALU_CYCLE_1) | instskip(NEXT) | instid1(SALU_CYCLE_1)
	s_or_b32 exec_lo, exec_lo, s0
	s_mov_b32 s0, exec_lo
	v_cmpx_lt_u32_e32 0xffffff, v20
	s_cbranch_execz .LBB270_3850
; %bb.3843:                             ;   in Loop: Header=BB270_2089 Depth=1
	v_lshrrev_b32_e32 v27, 24, v20
	v_dual_mov_b32 v155, s11 :: v_dual_mov_b32 v154, s10
	s_mov_b32 s1, exec_lo
	s_delay_alu instid0(VALU_DEP_2)
	v_cmpx_ne_u32_e32 0x80, v27
	s_cbranch_execz .LBB270_3849
; %bb.3844:                             ;   in Loop: Header=BB270_2089 Depth=1
	s_mov_b32 s12, s10
	v_bfe_u32 v12, v20, 24, 7
	v_dual_mov_b32 v155, s13 :: v_dual_mov_b32 v154, s12
	s_mov_b32 s2, exec_lo
	s_delay_alu instid0(VALU_DEP_2)
	v_cmpx_ne_u32_e32 0x7f, v12
	s_cbranch_execz .LBB270_3848
; %bb.3845:                             ;   in Loop: Header=BB270_2089 Depth=1
	v_and_b32_e32 v8, 7, v27
	v_lshrrev_b32_e32 v20, 3, v12
	v_cmp_gt_u32_e32 vcc_lo, 8, v12
	s_delay_alu instid0(VALU_DEP_3)
	v_dual_mov_b32 v13, v9 :: v_dual_mov_b32 v12, v8
	s_and_saveexec_b32 s3, vcc_lo
; %bb.3846:                             ;   in Loop: Header=BB270_2089 Depth=1
	v_clz_i32_u32_e32 v12, v8
	s_delay_alu instid0(VALU_DEP_1) | instskip(NEXT) | instid1(VALU_DEP_1)
	v_min_u32_e32 v20, 32, v12
	v_subrev_nc_u32_e32 v12, 28, v20
	v_sub_nc_u32_e32 v20, 29, v20
	s_delay_alu instid0(VALU_DEP_2) | instskip(NEXT) | instid1(VALU_DEP_1)
	v_lshlrev_b64 v[12:13], v12, v[8:9]
	v_and_b32_e32 v12, 7, v12
; %bb.3847:                             ;   in Loop: Header=BB270_2089 Depth=1
	s_or_b32 exec_lo, exec_lo, s3
	v_lshlrev_b32_e32 v8, 24, v27
	s_delay_alu instid0(VALU_DEP_2) | instskip(SKIP_2) | instid1(VALU_DEP_4)
	v_lshlrev_b32_e32 v12, 20, v12
	v_lshl_add_u32 v13, v20, 23, 0x3c000000
	v_mov_b32_e32 v154, v9
	v_and_b32_e32 v8, 0x80000000, v8
	s_delay_alu instid0(VALU_DEP_1)
	v_or3_b32 v155, v12, v8, v13
.LBB270_3848:                           ;   in Loop: Header=BB270_2089 Depth=1
	s_or_b32 exec_lo, exec_lo, s2
.LBB270_3849:                           ;   in Loop: Header=BB270_2089 Depth=1
	s_delay_alu instid0(SALU_CYCLE_1)
	s_or_b32 exec_lo, exec_lo, s1
.LBB270_3850:                           ;   in Loop: Header=BB270_2089 Depth=1
	s_delay_alu instid0(SALU_CYCLE_1)
	s_or_b32 exec_lo, exec_lo, s0
	scratch_load_b32 v8, off, s32 offset:2792 ; 4-byte Folded Reload
	v_mov_b32_e32 v170, 0
	s_mov_b32 s0, exec_lo
	s_waitcnt vmcnt(0)
	v_add_co_u32 v12, vcc_lo, v21, v8
	v_add_co_ci_u32_e32 v13, vcc_lo, 0, v22, vcc_lo
	flat_load_b32 v20, v[12:13]
	s_waitcnt vmcnt(0) lgkmcnt(0)
	v_dual_mov_b32 v171, 0 :: v_dual_and_b32 v8, 0xff, v20
	s_delay_alu instid0(VALU_DEP_1) | instskip(NEXT) | instid1(VALU_DEP_2)
	v_dual_mov_b32 v27, v170 :: v_dual_mov_b32 v28, v171
	v_cmpx_ne_u16_e32 0, v8
	s_cbranch_execz .LBB270_3858
; %bb.3851:                             ;   in Loop: Header=BB270_2089 Depth=1
	v_bfrev_b32_e32 v27, 1
	v_mov_b32_e32 v28, 0
	s_mov_b32 s1, exec_lo
	v_cmpx_ne_u16_e32 0x80, v8
	s_cbranch_execz .LBB270_3857
; %bb.3852:                             ;   in Loop: Header=BB270_2089 Depth=1
	v_mov_b32_e32 v27, 0x7f800001
	v_and_b32_e32 v12, 0x7f, v20
	v_mov_b32_e32 v28, 0
	s_mov_b32 s2, exec_lo
	s_delay_alu instid0(VALU_DEP_2)
	v_cmpx_ne_u32_e32 0x7f, v12
	s_cbranch_execz .LBB270_3856
; %bb.3853:                             ;   in Loop: Header=BB270_2089 Depth=1
	v_and_b32_e32 v8, 7, v20
	v_lshrrev_b32_e32 v27, 3, v12
	v_cmp_gt_u32_e32 vcc_lo, 8, v12
	s_delay_alu instid0(VALU_DEP_3)
	v_dual_mov_b32 v13, v9 :: v_dual_mov_b32 v12, v8
	s_and_saveexec_b32 s3, vcc_lo
; %bb.3854:                             ;   in Loop: Header=BB270_2089 Depth=1
	v_clz_i32_u32_e32 v12, v8
	s_delay_alu instid0(VALU_DEP_1) | instskip(NEXT) | instid1(VALU_DEP_1)
	v_min_u32_e32 v27, 32, v12
	v_subrev_nc_u32_e32 v12, 28, v27
	v_sub_nc_u32_e32 v27, 29, v27
	s_delay_alu instid0(VALU_DEP_2) | instskip(NEXT) | instid1(VALU_DEP_1)
	v_lshlrev_b64 v[12:13], v12, v[8:9]
	v_and_b32_e32 v12, 7, v12
; %bb.3855:                             ;   in Loop: Header=BB270_2089 Depth=1
	s_or_b32 exec_lo, exec_lo, s3
	v_lshlrev_b32_e32 v8, 24, v20
	s_delay_alu instid0(VALU_DEP_2) | instskip(SKIP_1) | instid1(VALU_DEP_3)
	v_lshlrev_b32_e32 v12, 20, v12
	v_lshl_add_u32 v13, v27, 23, 0x3c000000
	v_and_b32_e32 v8, 0x80000000, v8
	s_delay_alu instid0(VALU_DEP_1) | instskip(NEXT) | instid1(VALU_DEP_1)
	v_or3_b32 v8, v12, v8, v13
	v_dual_mov_b32 v28, v9 :: v_dual_mov_b32 v27, v8
.LBB270_3856:                           ;   in Loop: Header=BB270_2089 Depth=1
	s_or_b32 exec_lo, exec_lo, s2
.LBB270_3857:                           ;   in Loop: Header=BB270_2089 Depth=1
	s_delay_alu instid0(SALU_CYCLE_1)
	s_or_b32 exec_lo, exec_lo, s1
.LBB270_3858:                           ;   in Loop: Header=BB270_2089 Depth=1
	s_delay_alu instid0(SALU_CYCLE_1) | instskip(SKIP_2) | instid1(VALU_DEP_1)
	s_or_b32 exec_lo, exec_lo, s0
	v_lshrrev_b16 v8, 8, v20
	s_mov_b32 s0, exec_lo
	v_cmpx_ne_u16_e32 0, v8
	s_cbranch_execz .LBB270_3866
; %bb.3859:                             ;   in Loop: Header=BB270_2089 Depth=1
	v_dual_mov_b32 v171, s11 :: v_dual_mov_b32 v170, s10
	s_mov_b32 s1, exec_lo
	v_cmpx_ne_u16_e32 0x80, v8
	s_cbranch_execz .LBB270_3865
; %bb.3860:                             ;   in Loop: Header=BB270_2089 Depth=1
	s_mov_b32 s12, s10
	v_dual_mov_b32 v171, s13 :: v_dual_and_b32 v8, 0xffff, v8
	v_mov_b32_e32 v170, s12
	s_mov_b32 s2, exec_lo
	s_delay_alu instid0(VALU_DEP_2) | instskip(NEXT) | instid1(VALU_DEP_1)
	v_and_b32_e32 v12, 0x7f, v8
	v_cmpx_ne_u32_e32 0x7f, v12
	s_cbranch_execz .LBB270_3864
; %bb.3861:                             ;   in Loop: Header=BB270_2089 Depth=1
	v_and_b32_e32 v8, 7, v8
	v_lshrrev_b32_e32 v29, 3, v12
	v_cmp_gt_u32_e32 vcc_lo, 8, v12
	s_delay_alu instid0(VALU_DEP_3)
	v_dual_mov_b32 v13, v9 :: v_dual_mov_b32 v12, v8
	s_and_saveexec_b32 s3, vcc_lo
; %bb.3862:                             ;   in Loop: Header=BB270_2089 Depth=1
	v_clz_i32_u32_e32 v12, v8
	s_delay_alu instid0(VALU_DEP_1) | instskip(NEXT) | instid1(VALU_DEP_1)
	v_min_u32_e32 v29, 32, v12
	v_subrev_nc_u32_e32 v12, 28, v29
	v_sub_nc_u32_e32 v29, 29, v29
	s_delay_alu instid0(VALU_DEP_2) | instskip(NEXT) | instid1(VALU_DEP_1)
	v_lshlrev_b64 v[12:13], v12, v[8:9]
	v_and_b32_e32 v12, 7, v12
; %bb.3863:                             ;   in Loop: Header=BB270_2089 Depth=1
	s_or_b32 exec_lo, exec_lo, s3
	v_lshlrev_b32_e32 v8, 16, v20
	s_delay_alu instid0(VALU_DEP_2) | instskip(SKIP_2) | instid1(VALU_DEP_4)
	v_lshlrev_b32_e32 v12, 20, v12
	v_lshl_add_u32 v13, v29, 23, 0x3c000000
	v_mov_b32_e32 v170, v9
	v_and_b32_e32 v8, 0x80000000, v8
	s_delay_alu instid0(VALU_DEP_1)
	v_or3_b32 v171, v12, v8, v13
.LBB270_3864:                           ;   in Loop: Header=BB270_2089 Depth=1
	s_or_b32 exec_lo, exec_lo, s2
.LBB270_3865:                           ;   in Loop: Header=BB270_2089 Depth=1
	s_delay_alu instid0(SALU_CYCLE_1)
	s_or_b32 exec_lo, exec_lo, s1
.LBB270_3866:                           ;   in Loop: Header=BB270_2089 Depth=1
	s_delay_alu instid0(SALU_CYCLE_1) | instskip(SKIP_4) | instid1(VALU_DEP_1)
	s_or_b32 exec_lo, exec_lo, s0
	v_lshrrev_b32_e32 v29, 16, v20
	v_mov_b32_e32 v41, 0
	v_mov_b32_e32 v42, 0
	s_mov_b32 s0, exec_lo
	v_dual_mov_b32 v177, v42 :: v_dual_and_b32 v8, 0xff, v29
	s_delay_alu instid0(VALU_DEP_3) | instskip(NEXT) | instid1(VALU_DEP_2)
	v_mov_b32_e32 v176, v41
	v_cmpx_ne_u16_e32 0, v8
	s_cbranch_execz .LBB270_3874
; %bb.3867:                             ;   in Loop: Header=BB270_2089 Depth=1
	v_bfrev_b32_e32 v176, 1
	v_mov_b32_e32 v177, 0
	s_mov_b32 s1, exec_lo
	v_cmpx_ne_u16_e32 0x80, v8
	s_cbranch_execz .LBB270_3873
; %bb.3868:                             ;   in Loop: Header=BB270_2089 Depth=1
	v_mov_b32_e32 v176, 0x7f800001
	v_bfe_u32 v12, v20, 16, 7
	v_mov_b32_e32 v177, 0
	s_mov_b32 s2, exec_lo
	s_delay_alu instid0(VALU_DEP_2)
	v_cmpx_ne_u32_e32 0x7f, v12
	s_cbranch_execz .LBB270_3872
; %bb.3869:                             ;   in Loop: Header=BB270_2089 Depth=1
	v_and_b32_e32 v8, 7, v29
	v_lshrrev_b32_e32 v30, 3, v12
	v_cmp_gt_u32_e32 vcc_lo, 8, v12
	s_delay_alu instid0(VALU_DEP_3)
	v_dual_mov_b32 v13, v9 :: v_dual_mov_b32 v12, v8
	s_and_saveexec_b32 s3, vcc_lo
; %bb.3870:                             ;   in Loop: Header=BB270_2089 Depth=1
	v_clz_i32_u32_e32 v12, v8
	s_delay_alu instid0(VALU_DEP_1) | instskip(NEXT) | instid1(VALU_DEP_1)
	v_min_u32_e32 v30, 32, v12
	v_subrev_nc_u32_e32 v12, 28, v30
	v_sub_nc_u32_e32 v30, 29, v30
	s_delay_alu instid0(VALU_DEP_2) | instskip(NEXT) | instid1(VALU_DEP_1)
	v_lshlrev_b64 v[12:13], v12, v[8:9]
	v_and_b32_e32 v12, 7, v12
; %bb.3871:                             ;   in Loop: Header=BB270_2089 Depth=1
	s_or_b32 exec_lo, exec_lo, s3
	v_lshlrev_b32_e32 v8, 24, v29
	s_delay_alu instid0(VALU_DEP_2) | instskip(SKIP_1) | instid1(VALU_DEP_3)
	v_lshlrev_b32_e32 v12, 20, v12
	v_lshl_add_u32 v13, v30, 23, 0x3c000000
	v_and_b32_e32 v8, 0x80000000, v8
	s_delay_alu instid0(VALU_DEP_1) | instskip(NEXT) | instid1(VALU_DEP_1)
	v_or3_b32 v8, v12, v8, v13
	v_dual_mov_b32 v177, v9 :: v_dual_mov_b32 v176, v8
.LBB270_3872:                           ;   in Loop: Header=BB270_2089 Depth=1
	s_or_b32 exec_lo, exec_lo, s2
.LBB270_3873:                           ;   in Loop: Header=BB270_2089 Depth=1
	s_delay_alu instid0(SALU_CYCLE_1)
	s_or_b32 exec_lo, exec_lo, s1
.LBB270_3874:                           ;   in Loop: Header=BB270_2089 Depth=1
	s_delay_alu instid0(SALU_CYCLE_1) | instskip(NEXT) | instid1(SALU_CYCLE_1)
	s_or_b32 exec_lo, exec_lo, s0
	s_mov_b32 s0, exec_lo
	v_cmpx_lt_u32_e32 0xffffff, v20
	s_cbranch_execz .LBB270_3882
; %bb.3875:                             ;   in Loop: Header=BB270_2089 Depth=1
	v_lshrrev_b32_e32 v29, 24, v20
	v_dual_mov_b32 v42, s11 :: v_dual_mov_b32 v41, s10
	s_mov_b32 s1, exec_lo
	s_delay_alu instid0(VALU_DEP_2)
	v_cmpx_ne_u32_e32 0x80, v29
	s_cbranch_execz .LBB270_3881
; %bb.3876:                             ;   in Loop: Header=BB270_2089 Depth=1
	s_mov_b32 s12, s10
	v_bfe_u32 v12, v20, 24, 7
	v_dual_mov_b32 v42, s13 :: v_dual_mov_b32 v41, s12
	s_mov_b32 s2, exec_lo
	s_delay_alu instid0(VALU_DEP_2)
	v_cmpx_ne_u32_e32 0x7f, v12
	s_cbranch_execz .LBB270_3880
; %bb.3877:                             ;   in Loop: Header=BB270_2089 Depth=1
	v_and_b32_e32 v8, 7, v29
	v_lshrrev_b32_e32 v20, 3, v12
	v_cmp_gt_u32_e32 vcc_lo, 8, v12
	s_delay_alu instid0(VALU_DEP_3)
	v_dual_mov_b32 v13, v9 :: v_dual_mov_b32 v12, v8
	s_and_saveexec_b32 s3, vcc_lo
; %bb.3878:                             ;   in Loop: Header=BB270_2089 Depth=1
	v_clz_i32_u32_e32 v12, v8
	s_delay_alu instid0(VALU_DEP_1) | instskip(NEXT) | instid1(VALU_DEP_1)
	v_min_u32_e32 v20, 32, v12
	v_subrev_nc_u32_e32 v12, 28, v20
	v_sub_nc_u32_e32 v20, 29, v20
	s_delay_alu instid0(VALU_DEP_2) | instskip(NEXT) | instid1(VALU_DEP_1)
	v_lshlrev_b64 v[12:13], v12, v[8:9]
	v_and_b32_e32 v12, 7, v12
; %bb.3879:                             ;   in Loop: Header=BB270_2089 Depth=1
	s_or_b32 exec_lo, exec_lo, s3
	v_dual_mov_b32 v41, v9 :: v_dual_lshlrev_b32 v8, 24, v29
	s_delay_alu instid0(VALU_DEP_2) | instskip(SKIP_1) | instid1(VALU_DEP_3)
	v_lshlrev_b32_e32 v12, 20, v12
	v_lshl_add_u32 v13, v20, 23, 0x3c000000
	v_and_b32_e32 v8, 0x80000000, v8
	s_delay_alu instid0(VALU_DEP_1)
	v_or3_b32 v42, v12, v8, v13
.LBB270_3880:                           ;   in Loop: Header=BB270_2089 Depth=1
	s_or_b32 exec_lo, exec_lo, s2
.LBB270_3881:                           ;   in Loop: Header=BB270_2089 Depth=1
	s_delay_alu instid0(SALU_CYCLE_1)
	s_or_b32 exec_lo, exec_lo, s1
.LBB270_3882:                           ;   in Loop: Header=BB270_2089 Depth=1
	s_delay_alu instid0(SALU_CYCLE_1)
	s_or_b32 exec_lo, exec_lo, s0
	scratch_load_b32 v8, off, s32 offset:2808 ; 4-byte Folded Reload
	s_mov_b32 s0, exec_lo
	s_waitcnt vmcnt(0)
	v_add_co_u32 v12, vcc_lo, v21, v8
	v_add_co_ci_u32_e32 v13, vcc_lo, 0, v22, vcc_lo
	flat_load_b32 v20, v[12:13]
	v_mov_b32_e32 v45, 0
	v_mov_b32_e32 v46, 0
	s_delay_alu instid0(VALU_DEP_1) | instskip(SKIP_2) | instid1(VALU_DEP_1)
	v_dual_mov_b32 v187, v46 :: v_dual_mov_b32 v186, v45
	s_waitcnt vmcnt(0) lgkmcnt(0)
	v_and_b32_e32 v8, 0xff, v20
	v_cmpx_ne_u16_e32 0, v8
	s_cbranch_execz .LBB270_3890
; %bb.3883:                             ;   in Loop: Header=BB270_2089 Depth=1
	v_bfrev_b32_e32 v186, 1
	v_mov_b32_e32 v187, 0
	s_mov_b32 s1, exec_lo
	v_cmpx_ne_u16_e32 0x80, v8
	s_cbranch_execz .LBB270_3889
; %bb.3884:                             ;   in Loop: Header=BB270_2089 Depth=1
	v_mov_b32_e32 v186, 0x7f800001
	v_dual_mov_b32 v187, 0 :: v_dual_and_b32 v12, 0x7f, v20
	s_mov_b32 s2, exec_lo
	s_delay_alu instid0(VALU_DEP_1)
	v_cmpx_ne_u32_e32 0x7f, v12
	s_cbranch_execz .LBB270_3888
; %bb.3885:                             ;   in Loop: Header=BB270_2089 Depth=1
	v_and_b32_e32 v8, 7, v20
	v_lshrrev_b32_e32 v29, 3, v12
	v_cmp_gt_u32_e32 vcc_lo, 8, v12
	s_delay_alu instid0(VALU_DEP_3)
	v_dual_mov_b32 v13, v9 :: v_dual_mov_b32 v12, v8
	s_and_saveexec_b32 s3, vcc_lo
; %bb.3886:                             ;   in Loop: Header=BB270_2089 Depth=1
	v_clz_i32_u32_e32 v12, v8
	s_delay_alu instid0(VALU_DEP_1) | instskip(NEXT) | instid1(VALU_DEP_1)
	v_min_u32_e32 v29, 32, v12
	v_subrev_nc_u32_e32 v12, 28, v29
	v_sub_nc_u32_e32 v29, 29, v29
	s_delay_alu instid0(VALU_DEP_2) | instskip(NEXT) | instid1(VALU_DEP_1)
	v_lshlrev_b64 v[12:13], v12, v[8:9]
	v_and_b32_e32 v12, 7, v12
; %bb.3887:                             ;   in Loop: Header=BB270_2089 Depth=1
	s_or_b32 exec_lo, exec_lo, s3
	v_lshlrev_b32_e32 v8, 24, v20
	s_delay_alu instid0(VALU_DEP_2) | instskip(SKIP_1) | instid1(VALU_DEP_3)
	v_lshlrev_b32_e32 v12, 20, v12
	v_lshl_add_u32 v13, v29, 23, 0x3c000000
	v_and_b32_e32 v8, 0x80000000, v8
	s_delay_alu instid0(VALU_DEP_1) | instskip(NEXT) | instid1(VALU_DEP_1)
	v_or3_b32 v8, v12, v8, v13
	v_dual_mov_b32 v187, v9 :: v_dual_mov_b32 v186, v8
.LBB270_3888:                           ;   in Loop: Header=BB270_2089 Depth=1
	s_or_b32 exec_lo, exec_lo, s2
.LBB270_3889:                           ;   in Loop: Header=BB270_2089 Depth=1
	s_delay_alu instid0(SALU_CYCLE_1)
	s_or_b32 exec_lo, exec_lo, s1
.LBB270_3890:                           ;   in Loop: Header=BB270_2089 Depth=1
	s_delay_alu instid0(SALU_CYCLE_1) | instskip(SKIP_2) | instid1(VALU_DEP_1)
	s_or_b32 exec_lo, exec_lo, s0
	v_lshrrev_b16 v8, 8, v20
	s_mov_b32 s0, exec_lo
	v_cmpx_ne_u16_e32 0, v8
	s_cbranch_execz .LBB270_3898
; %bb.3891:                             ;   in Loop: Header=BB270_2089 Depth=1
	v_dual_mov_b32 v46, s11 :: v_dual_mov_b32 v45, s10
	s_mov_b32 s1, exec_lo
	v_cmpx_ne_u16_e32 0x80, v8
	s_cbranch_execz .LBB270_3897
; %bb.3892:                             ;   in Loop: Header=BB270_2089 Depth=1
	s_mov_b32 s12, s10
	v_and_b32_e32 v8, 0xffff, v8
	v_dual_mov_b32 v46, s13 :: v_dual_mov_b32 v45, s12
	s_mov_b32 s2, exec_lo
	s_delay_alu instid0(VALU_DEP_2) | instskip(NEXT) | instid1(VALU_DEP_1)
	v_and_b32_e32 v12, 0x7f, v8
	v_cmpx_ne_u32_e32 0x7f, v12
	s_cbranch_execz .LBB270_3896
; %bb.3893:                             ;   in Loop: Header=BB270_2089 Depth=1
	v_and_b32_e32 v8, 7, v8
	v_lshrrev_b32_e32 v29, 3, v12
	v_cmp_gt_u32_e32 vcc_lo, 8, v12
	s_delay_alu instid0(VALU_DEP_3)
	v_dual_mov_b32 v13, v9 :: v_dual_mov_b32 v12, v8
	s_and_saveexec_b32 s3, vcc_lo
; %bb.3894:                             ;   in Loop: Header=BB270_2089 Depth=1
	v_clz_i32_u32_e32 v12, v8
	s_delay_alu instid0(VALU_DEP_1) | instskip(NEXT) | instid1(VALU_DEP_1)
	v_min_u32_e32 v29, 32, v12
	v_subrev_nc_u32_e32 v12, 28, v29
	v_sub_nc_u32_e32 v29, 29, v29
	s_delay_alu instid0(VALU_DEP_2) | instskip(NEXT) | instid1(VALU_DEP_1)
	v_lshlrev_b64 v[12:13], v12, v[8:9]
	v_and_b32_e32 v12, 7, v12
; %bb.3895:                             ;   in Loop: Header=BB270_2089 Depth=1
	s_or_b32 exec_lo, exec_lo, s3
	v_dual_mov_b32 v45, v9 :: v_dual_lshlrev_b32 v8, 16, v20
	s_delay_alu instid0(VALU_DEP_2) | instskip(SKIP_1) | instid1(VALU_DEP_3)
	v_lshlrev_b32_e32 v12, 20, v12
	v_lshl_add_u32 v13, v29, 23, 0x3c000000
	v_and_b32_e32 v8, 0x80000000, v8
	s_delay_alu instid0(VALU_DEP_1)
	v_or3_b32 v46, v12, v8, v13
.LBB270_3896:                           ;   in Loop: Header=BB270_2089 Depth=1
	s_or_b32 exec_lo, exec_lo, s2
.LBB270_3897:                           ;   in Loop: Header=BB270_2089 Depth=1
	s_delay_alu instid0(SALU_CYCLE_1)
	s_or_b32 exec_lo, exec_lo, s1
.LBB270_3898:                           ;   in Loop: Header=BB270_2089 Depth=1
	s_delay_alu instid0(SALU_CYCLE_1) | instskip(SKIP_4) | instid1(VALU_DEP_1)
	s_or_b32 exec_lo, exec_lo, s0
	v_mov_b32_e32 v54, 0
	v_lshrrev_b32_e32 v29, 16, v20
	v_mov_b32_e32 v55, 0
	s_mov_b32 s0, exec_lo
	v_dual_mov_b32 v67, v55 :: v_dual_and_b32 v8, 0xff, v29
	v_mov_b32_e32 v66, v54
	s_delay_alu instid0(VALU_DEP_2)
	v_cmpx_ne_u16_e32 0, v8
	s_cbranch_execz .LBB270_3906
; %bb.3899:                             ;   in Loop: Header=BB270_2089 Depth=1
	v_bfrev_b32_e32 v66, 1
	v_mov_b32_e32 v67, 0
	s_mov_b32 s1, exec_lo
	v_cmpx_ne_u16_e32 0x80, v8
	s_cbranch_execz .LBB270_3905
; %bb.3900:                             ;   in Loop: Header=BB270_2089 Depth=1
	v_mov_b32_e32 v66, 0x7f800001
	v_bfe_u32 v12, v20, 16, 7
	v_mov_b32_e32 v67, 0
	s_mov_b32 s2, exec_lo
	s_delay_alu instid0(VALU_DEP_2)
	v_cmpx_ne_u32_e32 0x7f, v12
	s_cbranch_execz .LBB270_3904
; %bb.3901:                             ;   in Loop: Header=BB270_2089 Depth=1
	v_and_b32_e32 v8, 7, v29
	v_lshrrev_b32_e32 v30, 3, v12
	v_cmp_gt_u32_e32 vcc_lo, 8, v12
	s_delay_alu instid0(VALU_DEP_3)
	v_dual_mov_b32 v13, v9 :: v_dual_mov_b32 v12, v8
	s_and_saveexec_b32 s3, vcc_lo
; %bb.3902:                             ;   in Loop: Header=BB270_2089 Depth=1
	v_clz_i32_u32_e32 v12, v8
	s_delay_alu instid0(VALU_DEP_1) | instskip(NEXT) | instid1(VALU_DEP_1)
	v_min_u32_e32 v30, 32, v12
	v_subrev_nc_u32_e32 v12, 28, v30
	v_sub_nc_u32_e32 v30, 29, v30
	s_delay_alu instid0(VALU_DEP_2) | instskip(NEXT) | instid1(VALU_DEP_1)
	v_lshlrev_b64 v[12:13], v12, v[8:9]
	v_and_b32_e32 v12, 7, v12
; %bb.3903:                             ;   in Loop: Header=BB270_2089 Depth=1
	s_or_b32 exec_lo, exec_lo, s3
	v_lshlrev_b32_e32 v8, 24, v29
	s_delay_alu instid0(VALU_DEP_2) | instskip(SKIP_1) | instid1(VALU_DEP_3)
	v_lshlrev_b32_e32 v12, 20, v12
	v_lshl_add_u32 v13, v30, 23, 0x3c000000
	v_and_b32_e32 v8, 0x80000000, v8
	s_delay_alu instid0(VALU_DEP_1) | instskip(NEXT) | instid1(VALU_DEP_1)
	v_or3_b32 v8, v12, v8, v13
	v_dual_mov_b32 v67, v9 :: v_dual_mov_b32 v66, v8
.LBB270_3904:                           ;   in Loop: Header=BB270_2089 Depth=1
	s_or_b32 exec_lo, exec_lo, s2
.LBB270_3905:                           ;   in Loop: Header=BB270_2089 Depth=1
	s_delay_alu instid0(SALU_CYCLE_1)
	s_or_b32 exec_lo, exec_lo, s1
.LBB270_3906:                           ;   in Loop: Header=BB270_2089 Depth=1
	s_delay_alu instid0(SALU_CYCLE_1) | instskip(NEXT) | instid1(SALU_CYCLE_1)
	s_or_b32 exec_lo, exec_lo, s0
	s_mov_b32 s0, exec_lo
	v_cmpx_lt_u32_e32 0xffffff, v20
	s_cbranch_execz .LBB270_3914
; %bb.3907:                             ;   in Loop: Header=BB270_2089 Depth=1
	v_lshrrev_b32_e32 v29, 24, v20
	v_dual_mov_b32 v55, s11 :: v_dual_mov_b32 v54, s10
	s_mov_b32 s1, exec_lo
	s_delay_alu instid0(VALU_DEP_2)
	v_cmpx_ne_u32_e32 0x80, v29
	s_cbranch_execz .LBB270_3913
; %bb.3908:                             ;   in Loop: Header=BB270_2089 Depth=1
	s_mov_b32 s12, s10
	v_bfe_u32 v12, v20, 24, 7
	v_dual_mov_b32 v55, s13 :: v_dual_mov_b32 v54, s12
	s_mov_b32 s2, exec_lo
	s_delay_alu instid0(VALU_DEP_2)
	v_cmpx_ne_u32_e32 0x7f, v12
	s_cbranch_execz .LBB270_3912
; %bb.3909:                             ;   in Loop: Header=BB270_2089 Depth=1
	v_and_b32_e32 v8, 7, v29
	v_lshrrev_b32_e32 v20, 3, v12
	v_cmp_gt_u32_e32 vcc_lo, 8, v12
	s_delay_alu instid0(VALU_DEP_3)
	v_dual_mov_b32 v13, v9 :: v_dual_mov_b32 v12, v8
	s_and_saveexec_b32 s3, vcc_lo
; %bb.3910:                             ;   in Loop: Header=BB270_2089 Depth=1
	v_clz_i32_u32_e32 v12, v8
	s_delay_alu instid0(VALU_DEP_1) | instskip(NEXT) | instid1(VALU_DEP_1)
	v_min_u32_e32 v20, 32, v12
	v_subrev_nc_u32_e32 v12, 28, v20
	v_sub_nc_u32_e32 v20, 29, v20
	s_delay_alu instid0(VALU_DEP_2) | instskip(NEXT) | instid1(VALU_DEP_1)
	v_lshlrev_b64 v[12:13], v12, v[8:9]
	v_and_b32_e32 v12, 7, v12
; %bb.3911:                             ;   in Loop: Header=BB270_2089 Depth=1
	s_or_b32 exec_lo, exec_lo, s3
	v_lshlrev_b32_e32 v8, 24, v29
	s_delay_alu instid0(VALU_DEP_2) | instskip(SKIP_2) | instid1(VALU_DEP_4)
	v_lshlrev_b32_e32 v12, 20, v12
	v_lshl_add_u32 v13, v20, 23, 0x3c000000
	v_mov_b32_e32 v54, v9
	v_and_b32_e32 v8, 0x80000000, v8
	s_delay_alu instid0(VALU_DEP_1)
	v_or3_b32 v55, v12, v8, v13
.LBB270_3912:                           ;   in Loop: Header=BB270_2089 Depth=1
	s_or_b32 exec_lo, exec_lo, s2
.LBB270_3913:                           ;   in Loop: Header=BB270_2089 Depth=1
	s_delay_alu instid0(SALU_CYCLE_1)
	s_or_b32 exec_lo, exec_lo, s1
.LBB270_3914:                           ;   in Loop: Header=BB270_2089 Depth=1
	s_delay_alu instid0(SALU_CYCLE_1)
	s_or_b32 exec_lo, exec_lo, s0
	scratch_load_b32 v8, off, s32 offset:2824 ; 4-byte Folded Reload
	s_mov_b32 s0, exec_lo
	s_waitcnt vmcnt(0)
	v_add_co_u32 v12, vcc_lo, v21, v8
	v_add_co_ci_u32_e32 v13, vcc_lo, 0, v22, vcc_lo
	flat_load_b32 v20, v[12:13]
	v_mov_b32_e32 v12, 0
	s_waitcnt vmcnt(0) lgkmcnt(0)
	v_dual_mov_b32 v13, 0 :: v_dual_and_b32 v8, 0xff, v20
	s_delay_alu instid0(VALU_DEP_1) | instskip(NEXT) | instid1(VALU_DEP_2)
	v_dual_mov_b32 v71, v13 :: v_dual_mov_b32 v70, v12
	v_cmpx_ne_u16_e32 0, v8
	s_cbranch_execz .LBB270_3922
; %bb.3915:                             ;   in Loop: Header=BB270_2089 Depth=1
	v_bfrev_b32_e32 v70, 1
	v_mov_b32_e32 v71, 0
	s_mov_b32 s1, exec_lo
	v_cmpx_ne_u16_e32 0x80, v8
	s_cbranch_execz .LBB270_3921
; %bb.3916:                             ;   in Loop: Header=BB270_2089 Depth=1
	v_mov_b32_e32 v70, 0x7f800001
	v_and_b32_e32 v29, 0x7f, v20
	v_mov_b32_e32 v71, 0
	s_mov_b32 s2, exec_lo
	s_delay_alu instid0(VALU_DEP_2)
	v_cmpx_ne_u32_e32 0x7f, v29
	s_cbranch_execz .LBB270_3920
; %bb.3917:                             ;   in Loop: Header=BB270_2089 Depth=1
	v_and_b32_e32 v8, 7, v20
	v_lshrrev_b32_e32 v39, 3, v29
	v_cmp_gt_u32_e32 vcc_lo, 8, v29
	s_delay_alu instid0(VALU_DEP_3)
	v_dual_mov_b32 v30, v9 :: v_dual_mov_b32 v29, v8
	s_and_saveexec_b32 s3, vcc_lo
; %bb.3918:                             ;   in Loop: Header=BB270_2089 Depth=1
	v_clz_i32_u32_e32 v29, v8
	s_delay_alu instid0(VALU_DEP_1) | instskip(NEXT) | instid1(VALU_DEP_1)
	v_min_u32_e32 v39, 32, v29
	v_subrev_nc_u32_e32 v29, 28, v39
	v_sub_nc_u32_e32 v39, 29, v39
	s_delay_alu instid0(VALU_DEP_2) | instskip(NEXT) | instid1(VALU_DEP_1)
	v_lshlrev_b64 v[29:30], v29, v[8:9]
	v_and_b32_e32 v29, 7, v29
; %bb.3919:                             ;   in Loop: Header=BB270_2089 Depth=1
	s_or_b32 exec_lo, exec_lo, s3
	v_lshlrev_b32_e32 v8, 24, v20
	s_delay_alu instid0(VALU_DEP_2) | instskip(SKIP_1) | instid1(VALU_DEP_3)
	v_lshlrev_b32_e32 v29, 20, v29
	v_lshl_add_u32 v30, v39, 23, 0x3c000000
	v_and_b32_e32 v8, 0x80000000, v8
	s_delay_alu instid0(VALU_DEP_1) | instskip(NEXT) | instid1(VALU_DEP_1)
	v_or3_b32 v8, v29, v8, v30
	v_dual_mov_b32 v71, v9 :: v_dual_mov_b32 v70, v8
.LBB270_3920:                           ;   in Loop: Header=BB270_2089 Depth=1
	s_or_b32 exec_lo, exec_lo, s2
.LBB270_3921:                           ;   in Loop: Header=BB270_2089 Depth=1
	s_delay_alu instid0(SALU_CYCLE_1)
	s_or_b32 exec_lo, exec_lo, s1
.LBB270_3922:                           ;   in Loop: Header=BB270_2089 Depth=1
	s_delay_alu instid0(SALU_CYCLE_1) | instskip(SKIP_2) | instid1(VALU_DEP_1)
	s_or_b32 exec_lo, exec_lo, s0
	v_lshrrev_b16 v8, 8, v20
	s_mov_b32 s0, exec_lo
	v_cmpx_ne_u16_e32 0, v8
	s_cbranch_execz .LBB270_3930
; %bb.3923:                             ;   in Loop: Header=BB270_2089 Depth=1
	v_dual_mov_b32 v13, s11 :: v_dual_mov_b32 v12, s10
	s_mov_b32 s1, exec_lo
	v_cmpx_ne_u16_e32 0x80, v8
	s_cbranch_execz .LBB270_3929
; %bb.3924:                             ;   in Loop: Header=BB270_2089 Depth=1
	s_mov_b32 s12, s10
	v_and_b32_e32 v8, 0xffff, v8
	v_dual_mov_b32 v12, s12 :: v_dual_mov_b32 v13, s13
	s_mov_b32 s2, exec_lo
	s_delay_alu instid0(VALU_DEP_2) | instskip(NEXT) | instid1(VALU_DEP_1)
	v_and_b32_e32 v30, 0x7f, v8
	v_cmpx_ne_u32_e32 0x7f, v30
	s_cbranch_execz .LBB270_3928
; %bb.3925:                             ;   in Loop: Header=BB270_2089 Depth=1
	v_and_b32_e32 v8, 7, v8
	v_lshrrev_b32_e32 v29, 3, v30
	v_mov_b32_e32 v13, v9
	s_mov_b32 s3, exec_lo
	s_delay_alu instid0(VALU_DEP_3)
	v_mov_b32_e32 v12, v8
	v_cmpx_gt_u32_e32 8, v30
; %bb.3926:                             ;   in Loop: Header=BB270_2089 Depth=1
	v_clz_i32_u32_e32 v12, v8
	s_delay_alu instid0(VALU_DEP_1) | instskip(NEXT) | instid1(VALU_DEP_1)
	v_min_u32_e32 v29, 32, v12
	v_subrev_nc_u32_e32 v12, 28, v29
	v_sub_nc_u32_e32 v29, 29, v29
	s_delay_alu instid0(VALU_DEP_2) | instskip(NEXT) | instid1(VALU_DEP_1)
	v_lshlrev_b64 v[12:13], v12, v[8:9]
	v_and_b32_e32 v12, 7, v12
; %bb.3927:                             ;   in Loop: Header=BB270_2089 Depth=1
	s_or_b32 exec_lo, exec_lo, s3
	v_lshlrev_b32_e32 v8, 16, v20
	s_delay_alu instid0(VALU_DEP_2) | instskip(SKIP_1) | instid1(VALU_DEP_3)
	v_lshlrev_b32_e32 v12, 20, v12
	v_lshl_add_u32 v13, v29, 23, 0x3c000000
	v_and_b32_e32 v8, 0x80000000, v8
	s_delay_alu instid0(VALU_DEP_1)
	v_or3_b32 v13, v12, v8, v13
	v_mov_b32_e32 v12, v9
.LBB270_3928:                           ;   in Loop: Header=BB270_2089 Depth=1
	s_or_b32 exec_lo, exec_lo, s2
.LBB270_3929:                           ;   in Loop: Header=BB270_2089 Depth=1
	s_delay_alu instid0(SALU_CYCLE_1)
	s_or_b32 exec_lo, exec_lo, s1
.LBB270_3930:                           ;   in Loop: Header=BB270_2089 Depth=1
	s_delay_alu instid0(SALU_CYCLE_1) | instskip(SKIP_4) | instid1(VALU_DEP_1)
	s_or_b32 exec_lo, exec_lo, s0
	v_lshrrev_b32_e32 v39, 16, v20
	v_mov_b32_e32 v29, 0
	v_mov_b32_e32 v30, 0
	s_mov_b32 s0, exec_lo
	v_dual_mov_b32 v83, v30 :: v_dual_and_b32 v8, 0xff, v39
	s_delay_alu instid0(VALU_DEP_3) | instskip(NEXT) | instid1(VALU_DEP_2)
	v_mov_b32_e32 v82, v29
	v_cmpx_ne_u16_e32 0, v8
	s_cbranch_execz .LBB270_3938
; %bb.3931:                             ;   in Loop: Header=BB270_2089 Depth=1
	v_bfrev_b32_e32 v82, 1
	v_mov_b32_e32 v83, 0
	s_mov_b32 s1, exec_lo
	v_cmpx_ne_u16_e32 0x80, v8
	s_cbranch_execz .LBB270_3937
; %bb.3932:                             ;   in Loop: Header=BB270_2089 Depth=1
	v_mov_b32_e32 v82, 0x7f800001
	v_bfe_u32 v64, v20, 16, 7
	v_mov_b32_e32 v83, 0
	s_mov_b32 s2, exec_lo
	s_delay_alu instid0(VALU_DEP_2)
	v_cmpx_ne_u32_e32 0x7f, v64
	s_cbranch_execz .LBB270_3936
; %bb.3933:                             ;   in Loop: Header=BB270_2089 Depth=1
	v_and_b32_e32 v8, 7, v39
	v_lshrrev_b32_e32 v68, 3, v64
	v_cmp_gt_u32_e32 vcc_lo, 8, v64
	s_delay_alu instid0(VALU_DEP_3)
	v_dual_mov_b32 v65, v9 :: v_dual_mov_b32 v64, v8
	s_and_saveexec_b32 s3, vcc_lo
; %bb.3934:                             ;   in Loop: Header=BB270_2089 Depth=1
	v_clz_i32_u32_e32 v64, v8
	s_delay_alu instid0(VALU_DEP_1) | instskip(NEXT) | instid1(VALU_DEP_1)
	v_min_u32_e32 v68, 32, v64
	v_subrev_nc_u32_e32 v64, 28, v68
	v_sub_nc_u32_e32 v68, 29, v68
	s_delay_alu instid0(VALU_DEP_2) | instskip(NEXT) | instid1(VALU_DEP_1)
	v_lshlrev_b64 v[64:65], v64, v[8:9]
	v_and_b32_e32 v64, 7, v64
; %bb.3935:                             ;   in Loop: Header=BB270_2089 Depth=1
	s_or_b32 exec_lo, exec_lo, s3
	v_lshlrev_b32_e32 v8, 24, v39
	s_delay_alu instid0(VALU_DEP_2) | instskip(SKIP_1) | instid1(VALU_DEP_3)
	v_lshlrev_b32_e32 v39, 20, v64
	v_lshl_add_u32 v64, v68, 23, 0x3c000000
	v_and_b32_e32 v8, 0x80000000, v8
	s_delay_alu instid0(VALU_DEP_1) | instskip(NEXT) | instid1(VALU_DEP_1)
	v_or3_b32 v8, v39, v8, v64
	v_dual_mov_b32 v83, v9 :: v_dual_mov_b32 v82, v8
.LBB270_3936:                           ;   in Loop: Header=BB270_2089 Depth=1
	s_or_b32 exec_lo, exec_lo, s2
.LBB270_3937:                           ;   in Loop: Header=BB270_2089 Depth=1
	s_delay_alu instid0(SALU_CYCLE_1)
	s_or_b32 exec_lo, exec_lo, s1
.LBB270_3938:                           ;   in Loop: Header=BB270_2089 Depth=1
	s_delay_alu instid0(SALU_CYCLE_1) | instskip(NEXT) | instid1(SALU_CYCLE_1)
	s_or_b32 exec_lo, exec_lo, s0
	s_mov_b32 s0, exec_lo
	v_cmpx_lt_u32_e32 0xffffff, v20
	s_cbranch_execz .LBB270_3946
; %bb.3939:                             ;   in Loop: Header=BB270_2089 Depth=1
	v_lshrrev_b32_e32 v39, 24, v20
	v_dual_mov_b32 v30, s11 :: v_dual_mov_b32 v29, s10
	s_mov_b32 s1, exec_lo
	s_delay_alu instid0(VALU_DEP_2)
	v_cmpx_ne_u32_e32 0x80, v39
	s_cbranch_execz .LBB270_3945
; %bb.3940:                             ;   in Loop: Header=BB270_2089 Depth=1
	s_mov_b32 s12, s10
	v_bfe_u32 v64, v20, 24, 7
	v_dual_mov_b32 v30, s13 :: v_dual_mov_b32 v29, s12
	s_mov_b32 s2, exec_lo
	s_delay_alu instid0(VALU_DEP_2)
	v_cmpx_ne_u32_e32 0x7f, v64
	s_cbranch_execz .LBB270_3944
; %bb.3941:                             ;   in Loop: Header=BB270_2089 Depth=1
	v_and_b32_e32 v8, 7, v39
	v_lshrrev_b32_e32 v20, 3, v64
	v_mov_b32_e32 v30, v9
	s_mov_b32 s3, exec_lo
	s_delay_alu instid0(VALU_DEP_3)
	v_mov_b32_e32 v29, v8
	v_cmpx_gt_u32_e32 8, v64
; %bb.3942:                             ;   in Loop: Header=BB270_2089 Depth=1
	v_clz_i32_u32_e32 v20, v8
	s_delay_alu instid0(VALU_DEP_1) | instskip(NEXT) | instid1(VALU_DEP_1)
	v_min_u32_e32 v20, 32, v20
	v_subrev_nc_u32_e32 v29, 28, v20
	v_sub_nc_u32_e32 v20, 29, v20
	s_delay_alu instid0(VALU_DEP_2) | instskip(NEXT) | instid1(VALU_DEP_1)
	v_lshlrev_b64 v[29:30], v29, v[8:9]
	v_and_b32_e32 v29, 7, v29
; %bb.3943:                             ;   in Loop: Header=BB270_2089 Depth=1
	s_or_b32 exec_lo, exec_lo, s3
	v_lshlrev_b32_e32 v8, 24, v39
	s_delay_alu instid0(VALU_DEP_2) | instskip(SKIP_1) | instid1(VALU_DEP_3)
	v_lshlrev_b32_e32 v29, 20, v29
	v_lshl_add_u32 v20, v20, 23, 0x3c000000
	v_and_b32_e32 v8, 0x80000000, v8
	s_delay_alu instid0(VALU_DEP_1)
	v_or3_b32 v30, v29, v8, v20
	v_mov_b32_e32 v29, v9
.LBB270_3944:                           ;   in Loop: Header=BB270_2089 Depth=1
	s_or_b32 exec_lo, exec_lo, s2
.LBB270_3945:                           ;   in Loop: Header=BB270_2089 Depth=1
	s_delay_alu instid0(SALU_CYCLE_1)
	s_or_b32 exec_lo, exec_lo, s1
.LBB270_3946:                           ;   in Loop: Header=BB270_2089 Depth=1
	s_delay_alu instid0(SALU_CYCLE_1)
	s_or_b32 exec_lo, exec_lo, s0
	scratch_load_b32 v8, off, s32 offset:2840 ; 4-byte Folded Reload
	s_mov_b32 s0, exec_lo
	s_waitcnt vmcnt(0)
	v_add_co_u32 v64, vcc_lo, v21, v8
	v_add_co_ci_u32_e32 v65, vcc_lo, 0, v22, vcc_lo
	flat_load_b32 v20, v[64:65]
	v_mov_b32_e32 v64, 0
	s_waitcnt vmcnt(0) lgkmcnt(0)
	v_dual_mov_b32 v65, 0 :: v_dual_and_b32 v8, 0xff, v20
	s_delay_alu instid0(VALU_DEP_1) | instskip(NEXT) | instid1(VALU_DEP_2)
	v_dual_mov_b32 v79, v65 :: v_dual_mov_b32 v78, v64
	v_cmpx_ne_u16_e32 0, v8
	s_cbranch_execz .LBB270_3954
; %bb.3947:                             ;   in Loop: Header=BB270_2089 Depth=1
	v_bfrev_b32_e32 v78, 1
	v_mov_b32_e32 v79, 0
	s_mov_b32 s1, exec_lo
	v_cmpx_ne_u16_e32 0x80, v8
	s_cbranch_execz .LBB270_3953
; %bb.3948:                             ;   in Loop: Header=BB270_2089 Depth=1
	v_mov_b32_e32 v78, 0x7f800001
	v_dual_mov_b32 v79, 0 :: v_dual_and_b32 v68, 0x7f, v20
	s_mov_b32 s2, exec_lo
	s_delay_alu instid0(VALU_DEP_1)
	v_cmpx_ne_u32_e32 0x7f, v68
	s_cbranch_execz .LBB270_3952
; %bb.3949:                             ;   in Loop: Header=BB270_2089 Depth=1
	v_and_b32_e32 v8, 7, v20
	v_lshrrev_b32_e32 v39, 3, v68
	v_cmp_gt_u32_e32 vcc_lo, 8, v68
	s_delay_alu instid0(VALU_DEP_3)
	v_dual_mov_b32 v69, v9 :: v_dual_mov_b32 v68, v8
	s_and_saveexec_b32 s3, vcc_lo
; %bb.3950:                             ;   in Loop: Header=BB270_2089 Depth=1
	v_clz_i32_u32_e32 v39, v8
	s_delay_alu instid0(VALU_DEP_1) | instskip(NEXT) | instid1(VALU_DEP_1)
	v_min_u32_e32 v39, 32, v39
	v_subrev_nc_u32_e32 v68, 28, v39
	v_sub_nc_u32_e32 v39, 29, v39
	s_delay_alu instid0(VALU_DEP_2) | instskip(NEXT) | instid1(VALU_DEP_1)
	v_lshlrev_b64 v[68:69], v68, v[8:9]
	v_and_b32_e32 v68, 7, v68
; %bb.3951:                             ;   in Loop: Header=BB270_2089 Depth=1
	s_or_b32 exec_lo, exec_lo, s3
	v_lshlrev_b32_e32 v8, 24, v20
	s_delay_alu instid0(VALU_DEP_2) | instskip(SKIP_1) | instid1(VALU_DEP_3)
	v_lshlrev_b32_e32 v68, 20, v68
	v_lshl_add_u32 v39, v39, 23, 0x3c000000
	v_and_b32_e32 v8, 0x80000000, v8
	s_delay_alu instid0(VALU_DEP_1) | instskip(NEXT) | instid1(VALU_DEP_1)
	v_or3_b32 v8, v68, v8, v39
	v_dual_mov_b32 v79, v9 :: v_dual_mov_b32 v78, v8
.LBB270_3952:                           ;   in Loop: Header=BB270_2089 Depth=1
	s_or_b32 exec_lo, exec_lo, s2
.LBB270_3953:                           ;   in Loop: Header=BB270_2089 Depth=1
	s_delay_alu instid0(SALU_CYCLE_1)
	s_or_b32 exec_lo, exec_lo, s1
.LBB270_3954:                           ;   in Loop: Header=BB270_2089 Depth=1
	s_delay_alu instid0(SALU_CYCLE_1) | instskip(SKIP_2) | instid1(VALU_DEP_1)
	s_or_b32 exec_lo, exec_lo, s0
	v_lshrrev_b16 v8, 8, v20
	s_mov_b32 s0, exec_lo
	v_cmpx_ne_u16_e32 0, v8
	s_cbranch_execz .LBB270_3962
; %bb.3955:                             ;   in Loop: Header=BB270_2089 Depth=1
	v_dual_mov_b32 v65, s11 :: v_dual_mov_b32 v64, s10
	s_mov_b32 s1, exec_lo
	v_cmpx_ne_u16_e32 0x80, v8
	s_cbranch_execz .LBB270_3961
; %bb.3956:                             ;   in Loop: Header=BB270_2089 Depth=1
	s_mov_b32 s12, s10
	v_dual_mov_b32 v65, s13 :: v_dual_and_b32 v8, 0xffff, v8
	v_mov_b32_e32 v64, s12
	s_mov_b32 s2, exec_lo
	s_delay_alu instid0(VALU_DEP_2) | instskip(NEXT) | instid1(VALU_DEP_1)
	v_and_b32_e32 v68, 0x7f, v8
	v_cmpx_ne_u32_e32 0x7f, v68
	s_cbranch_execz .LBB270_3960
; %bb.3957:                             ;   in Loop: Header=BB270_2089 Depth=1
	v_and_b32_e32 v8, 7, v8
	v_lshrrev_b32_e32 v39, 3, v68
	v_mov_b32_e32 v65, v9
	s_mov_b32 s3, exec_lo
	s_delay_alu instid0(VALU_DEP_3)
	v_mov_b32_e32 v64, v8
	v_cmpx_gt_u32_e32 8, v68
; %bb.3958:                             ;   in Loop: Header=BB270_2089 Depth=1
	v_clz_i32_u32_e32 v39, v8
	s_delay_alu instid0(VALU_DEP_1) | instskip(NEXT) | instid1(VALU_DEP_1)
	v_min_u32_e32 v39, 32, v39
	v_subrev_nc_u32_e32 v64, 28, v39
	v_sub_nc_u32_e32 v39, 29, v39
	s_delay_alu instid0(VALU_DEP_2) | instskip(NEXT) | instid1(VALU_DEP_1)
	v_lshlrev_b64 v[64:65], v64, v[8:9]
	v_and_b32_e32 v64, 7, v64
; %bb.3959:                             ;   in Loop: Header=BB270_2089 Depth=1
	s_or_b32 exec_lo, exec_lo, s3
	v_lshlrev_b32_e32 v8, 16, v20
	s_delay_alu instid0(VALU_DEP_2) | instskip(SKIP_1) | instid1(VALU_DEP_3)
	v_lshlrev_b32_e32 v64, 20, v64
	v_lshl_add_u32 v39, v39, 23, 0x3c000000
	v_and_b32_e32 v8, 0x80000000, v8
	s_delay_alu instid0(VALU_DEP_1)
	v_or3_b32 v65, v64, v8, v39
	v_mov_b32_e32 v64, v9
.LBB270_3960:                           ;   in Loop: Header=BB270_2089 Depth=1
	s_or_b32 exec_lo, exec_lo, s2
.LBB270_3961:                           ;   in Loop: Header=BB270_2089 Depth=1
	s_delay_alu instid0(SALU_CYCLE_1)
	s_or_b32 exec_lo, exec_lo, s1
.LBB270_3962:                           ;   in Loop: Header=BB270_2089 Depth=1
	s_delay_alu instid0(SALU_CYCLE_1) | instskip(SKIP_4) | instid1(VALU_DEP_1)
	s_or_b32 exec_lo, exec_lo, s0
	v_lshrrev_b32_e32 v102, 16, v20
	v_mov_b32_e32 v39, 0
	v_mov_b32_e32 v40, 0
	s_mov_b32 s0, exec_lo
	v_dual_mov_b32 v91, v40 :: v_dual_and_b32 v8, 0xff, v102
	s_delay_alu instid0(VALU_DEP_3) | instskip(NEXT) | instid1(VALU_DEP_2)
	v_mov_b32_e32 v90, v39
	v_cmpx_ne_u16_e32 0, v8
	s_cbranch_execz .LBB270_3970
; %bb.3963:                             ;   in Loop: Header=BB270_2089 Depth=1
	v_bfrev_b32_e32 v90, 1
	v_mov_b32_e32 v91, 0
	s_mov_b32 s1, exec_lo
	v_cmpx_ne_u16_e32 0x80, v8
	s_cbranch_execz .LBB270_3969
; %bb.3964:                             ;   in Loop: Header=BB270_2089 Depth=1
	v_mov_b32_e32 v90, 0x7f800001
	v_bfe_u32 v68, v20, 16, 7
	v_mov_b32_e32 v91, 0
	s_mov_b32 s2, exec_lo
	s_delay_alu instid0(VALU_DEP_2)
	v_cmpx_ne_u32_e32 0x7f, v68
	s_cbranch_execz .LBB270_3968
; %bb.3965:                             ;   in Loop: Header=BB270_2089 Depth=1
	v_and_b32_e32 v8, 7, v102
	v_lshrrev_b32_e32 v103, 3, v68
	v_cmp_gt_u32_e32 vcc_lo, 8, v68
	s_delay_alu instid0(VALU_DEP_3)
	v_dual_mov_b32 v69, v9 :: v_dual_mov_b32 v68, v8
	s_and_saveexec_b32 s3, vcc_lo
; %bb.3966:                             ;   in Loop: Header=BB270_2089 Depth=1
	v_clz_i32_u32_e32 v68, v8
	s_delay_alu instid0(VALU_DEP_1) | instskip(NEXT) | instid1(VALU_DEP_1)
	v_min_u32_e32 v103, 32, v68
	v_subrev_nc_u32_e32 v68, 28, v103
	v_sub_nc_u32_e32 v103, 29, v103
	s_delay_alu instid0(VALU_DEP_2) | instskip(NEXT) | instid1(VALU_DEP_1)
	v_lshlrev_b64 v[68:69], v68, v[8:9]
	v_and_b32_e32 v68, 7, v68
; %bb.3967:                             ;   in Loop: Header=BB270_2089 Depth=1
	s_or_b32 exec_lo, exec_lo, s3
	v_lshlrev_b32_e32 v8, 24, v102
	s_delay_alu instid0(VALU_DEP_2) | instskip(SKIP_1) | instid1(VALU_DEP_3)
	v_lshlrev_b32_e32 v68, 20, v68
	v_lshl_add_u32 v69, v103, 23, 0x3c000000
	v_and_b32_e32 v8, 0x80000000, v8
	s_delay_alu instid0(VALU_DEP_1) | instskip(NEXT) | instid1(VALU_DEP_1)
	v_or3_b32 v8, v68, v8, v69
	v_dual_mov_b32 v91, v9 :: v_dual_mov_b32 v90, v8
.LBB270_3968:                           ;   in Loop: Header=BB270_2089 Depth=1
	s_or_b32 exec_lo, exec_lo, s2
.LBB270_3969:                           ;   in Loop: Header=BB270_2089 Depth=1
	s_delay_alu instid0(SALU_CYCLE_1)
	s_or_b32 exec_lo, exec_lo, s1
.LBB270_3970:                           ;   in Loop: Header=BB270_2089 Depth=1
	s_delay_alu instid0(SALU_CYCLE_1) | instskip(NEXT) | instid1(SALU_CYCLE_1)
	s_or_b32 exec_lo, exec_lo, s0
	s_mov_b32 s0, exec_lo
	v_cmpx_lt_u32_e32 0xffffff, v20
	s_cbranch_execz .LBB270_3978
; %bb.3971:                             ;   in Loop: Header=BB270_2089 Depth=1
	v_lshrrev_b32_e32 v102, 24, v20
	v_dual_mov_b32 v40, s11 :: v_dual_mov_b32 v39, s10
	s_mov_b32 s1, exec_lo
	s_delay_alu instid0(VALU_DEP_2)
	v_cmpx_ne_u32_e32 0x80, v102
	s_cbranch_execz .LBB270_3977
; %bb.3972:                             ;   in Loop: Header=BB270_2089 Depth=1
	s_mov_b32 s12, s10
	v_bfe_u32 v68, v20, 24, 7
	v_dual_mov_b32 v40, s13 :: v_dual_mov_b32 v39, s12
	s_mov_b32 s2, exec_lo
	s_delay_alu instid0(VALU_DEP_2)
	v_cmpx_ne_u32_e32 0x7f, v68
	s_cbranch_execz .LBB270_3976
; %bb.3973:                             ;   in Loop: Header=BB270_2089 Depth=1
	v_and_b32_e32 v8, 7, v102
	v_lshrrev_b32_e32 v20, 3, v68
	v_cmp_gt_u32_e32 vcc_lo, 8, v68
	s_delay_alu instid0(VALU_DEP_3)
	v_dual_mov_b32 v69, v9 :: v_dual_mov_b32 v68, v8
	s_and_saveexec_b32 s3, vcc_lo
; %bb.3974:                             ;   in Loop: Header=BB270_2089 Depth=1
	v_clz_i32_u32_e32 v20, v8
	s_delay_alu instid0(VALU_DEP_1) | instskip(NEXT) | instid1(VALU_DEP_1)
	v_min_u32_e32 v20, 32, v20
	v_subrev_nc_u32_e32 v39, 28, v20
	v_sub_nc_u32_e32 v20, 29, v20
	s_delay_alu instid0(VALU_DEP_2) | instskip(NEXT) | instid1(VALU_DEP_1)
	v_lshlrev_b64 v[68:69], v39, v[8:9]
	v_and_b32_e32 v68, 7, v68
; %bb.3975:                             ;   in Loop: Header=BB270_2089 Depth=1
	s_or_b32 exec_lo, exec_lo, s3
	v_lshlrev_b32_e32 v8, 24, v102
	s_delay_alu instid0(VALU_DEP_2) | instskip(SKIP_1) | instid1(VALU_DEP_3)
	v_lshlrev_b32_e32 v39, 20, v68
	v_lshl_add_u32 v20, v20, 23, 0x3c000000
	v_and_b32_e32 v8, 0x80000000, v8
	s_delay_alu instid0(VALU_DEP_1)
	v_or3_b32 v40, v39, v8, v20
	v_mov_b32_e32 v39, v9
.LBB270_3976:                           ;   in Loop: Header=BB270_2089 Depth=1
	s_or_b32 exec_lo, exec_lo, s2
.LBB270_3977:                           ;   in Loop: Header=BB270_2089 Depth=1
	s_delay_alu instid0(SALU_CYCLE_1)
	s_or_b32 exec_lo, exec_lo, s1
.LBB270_3978:                           ;   in Loop: Header=BB270_2089 Depth=1
	s_delay_alu instid0(SALU_CYCLE_1)
	s_or_b32 exec_lo, exec_lo, s0
	scratch_load_b32 v8, off, s32 offset:2856 ; 4-byte Folded Reload
	v_mov_b32_e32 v94, 0
	s_mov_b32 s0, exec_lo
	s_waitcnt vmcnt(0)
	v_add_co_u32 v68, vcc_lo, v21, v8
	v_add_co_ci_u32_e32 v69, vcc_lo, 0, v22, vcc_lo
	flat_load_b32 v20, v[68:69]
	s_waitcnt vmcnt(0) lgkmcnt(0)
	v_dual_mov_b32 v95, 0 :: v_dual_and_b32 v8, 0xff, v20
	s_delay_alu instid0(VALU_DEP_1) | instskip(NEXT) | instid1(VALU_DEP_2)
	v_dual_mov_b32 v43, v94 :: v_dual_mov_b32 v44, v95
	v_cmpx_ne_u16_e32 0, v8
	s_cbranch_execz .LBB270_3986
; %bb.3979:                             ;   in Loop: Header=BB270_2089 Depth=1
	v_bfrev_b32_e32 v43, 1
	v_mov_b32_e32 v44, 0
	s_mov_b32 s1, exec_lo
	v_cmpx_ne_u16_e32 0x80, v8
	s_cbranch_execz .LBB270_3985
; %bb.3980:                             ;   in Loop: Header=BB270_2089 Depth=1
	v_mov_b32_e32 v43, 0x7f800001
	v_and_b32_e32 v68, 0x7f, v20
	v_mov_b32_e32 v44, 0
	s_mov_b32 s2, exec_lo
	s_delay_alu instid0(VALU_DEP_2)
	v_cmpx_ne_u32_e32 0x7f, v68
	s_cbranch_execz .LBB270_3984
; %bb.3981:                             ;   in Loop: Header=BB270_2089 Depth=1
	v_and_b32_e32 v8, 7, v20
	v_lshrrev_b32_e32 v102, 3, v68
	v_cmp_gt_u32_e32 vcc_lo, 8, v68
	s_delay_alu instid0(VALU_DEP_3)
	v_dual_mov_b32 v69, v9 :: v_dual_mov_b32 v68, v8
	s_and_saveexec_b32 s3, vcc_lo
; %bb.3982:                             ;   in Loop: Header=BB270_2089 Depth=1
	v_clz_i32_u32_e32 v68, v8
	s_delay_alu instid0(VALU_DEP_1) | instskip(NEXT) | instid1(VALU_DEP_1)
	v_min_u32_e32 v102, 32, v68
	v_subrev_nc_u32_e32 v68, 28, v102
	v_sub_nc_u32_e32 v102, 29, v102
	s_delay_alu instid0(VALU_DEP_2) | instskip(NEXT) | instid1(VALU_DEP_1)
	v_lshlrev_b64 v[68:69], v68, v[8:9]
	v_and_b32_e32 v68, 7, v68
; %bb.3983:                             ;   in Loop: Header=BB270_2089 Depth=1
	s_or_b32 exec_lo, exec_lo, s3
	v_lshlrev_b32_e32 v8, 24, v20
	s_delay_alu instid0(VALU_DEP_2) | instskip(SKIP_1) | instid1(VALU_DEP_3)
	v_lshlrev_b32_e32 v68, 20, v68
	v_lshl_add_u32 v69, v102, 23, 0x3c000000
	v_and_b32_e32 v8, 0x80000000, v8
	s_delay_alu instid0(VALU_DEP_1) | instskip(NEXT) | instid1(VALU_DEP_1)
	v_or3_b32 v8, v68, v8, v69
	v_dual_mov_b32 v44, v9 :: v_dual_mov_b32 v43, v8
.LBB270_3984:                           ;   in Loop: Header=BB270_2089 Depth=1
	s_or_b32 exec_lo, exec_lo, s2
.LBB270_3985:                           ;   in Loop: Header=BB270_2089 Depth=1
	s_delay_alu instid0(SALU_CYCLE_1)
	s_or_b32 exec_lo, exec_lo, s1
.LBB270_3986:                           ;   in Loop: Header=BB270_2089 Depth=1
	s_delay_alu instid0(SALU_CYCLE_1) | instskip(SKIP_2) | instid1(VALU_DEP_1)
	s_or_b32 exec_lo, exec_lo, s0
	v_lshrrev_b16 v8, 8, v20
	s_mov_b32 s0, exec_lo
	v_cmpx_ne_u16_e32 0, v8
	s_cbranch_execz .LBB270_3994
; %bb.3987:                             ;   in Loop: Header=BB270_2089 Depth=1
	v_dual_mov_b32 v95, s11 :: v_dual_mov_b32 v94, s10
	s_mov_b32 s1, exec_lo
	v_cmpx_ne_u16_e32 0x80, v8
	s_cbranch_execz .LBB270_3993
; %bb.3988:                             ;   in Loop: Header=BB270_2089 Depth=1
	s_mov_b32 s12, s10
	v_dual_mov_b32 v95, s13 :: v_dual_and_b32 v8, 0xffff, v8
	v_mov_b32_e32 v94, s12
	s_mov_b32 s2, exec_lo
	s_delay_alu instid0(VALU_DEP_2) | instskip(NEXT) | instid1(VALU_DEP_1)
	v_and_b32_e32 v68, 0x7f, v8
	v_cmpx_ne_u32_e32 0x7f, v68
	s_cbranch_execz .LBB270_3992
; %bb.3989:                             ;   in Loop: Header=BB270_2089 Depth=1
	v_and_b32_e32 v8, 7, v8
	v_lshrrev_b32_e32 v102, 3, v68
	v_cmp_gt_u32_e32 vcc_lo, 8, v68
	s_delay_alu instid0(VALU_DEP_3)
	v_dual_mov_b32 v69, v9 :: v_dual_mov_b32 v68, v8
	s_and_saveexec_b32 s3, vcc_lo
; %bb.3990:                             ;   in Loop: Header=BB270_2089 Depth=1
	v_clz_i32_u32_e32 v68, v8
	s_delay_alu instid0(VALU_DEP_1) | instskip(NEXT) | instid1(VALU_DEP_1)
	v_min_u32_e32 v102, 32, v68
	v_subrev_nc_u32_e32 v68, 28, v102
	v_sub_nc_u32_e32 v102, 29, v102
	s_delay_alu instid0(VALU_DEP_2) | instskip(NEXT) | instid1(VALU_DEP_1)
	v_lshlrev_b64 v[68:69], v68, v[8:9]
	v_and_b32_e32 v68, 7, v68
; %bb.3991:                             ;   in Loop: Header=BB270_2089 Depth=1
	s_or_b32 exec_lo, exec_lo, s3
	v_lshlrev_b32_e32 v8, 16, v20
	s_delay_alu instid0(VALU_DEP_2) | instskip(SKIP_2) | instid1(VALU_DEP_4)
	v_lshlrev_b32_e32 v68, 20, v68
	v_lshl_add_u32 v69, v102, 23, 0x3c000000
	v_mov_b32_e32 v94, v9
	v_and_b32_e32 v8, 0x80000000, v8
	s_delay_alu instid0(VALU_DEP_1)
	v_or3_b32 v95, v68, v8, v69
.LBB270_3992:                           ;   in Loop: Header=BB270_2089 Depth=1
	s_or_b32 exec_lo, exec_lo, s2
.LBB270_3993:                           ;   in Loop: Header=BB270_2089 Depth=1
	s_delay_alu instid0(SALU_CYCLE_1)
	s_or_b32 exec_lo, exec_lo, s1
.LBB270_3994:                           ;   in Loop: Header=BB270_2089 Depth=1
	s_delay_alu instid0(SALU_CYCLE_1) | instskip(SKIP_4) | instid1(VALU_DEP_2)
	s_or_b32 exec_lo, exec_lo, s0
	v_mov_b32_e32 v116, 0
	v_lshrrev_b32_e32 v102, 16, v20
	v_mov_b32_e32 v117, 0
	s_mov_b32 s0, exec_lo
	v_and_b32_e32 v8, 0xff, v102
	s_delay_alu instid0(VALU_DEP_2) | instskip(NEXT) | instid1(VALU_DEP_2)
	v_dual_mov_b32 v56, v116 :: v_dual_mov_b32 v57, v117
	v_cmpx_ne_u16_e32 0, v8
	s_cbranch_execz .LBB270_4002
; %bb.3995:                             ;   in Loop: Header=BB270_2089 Depth=1
	v_bfrev_b32_e32 v56, 1
	v_mov_b32_e32 v57, 0
	s_mov_b32 s1, exec_lo
	v_cmpx_ne_u16_e32 0x80, v8
	s_cbranch_execz .LBB270_4001
; %bb.3996:                             ;   in Loop: Header=BB270_2089 Depth=1
	v_mov_b32_e32 v56, 0x7f800001
	v_bfe_u32 v68, v20, 16, 7
	v_mov_b32_e32 v57, 0
	s_mov_b32 s2, exec_lo
	s_delay_alu instid0(VALU_DEP_2)
	v_cmpx_ne_u32_e32 0x7f, v68
	s_cbranch_execz .LBB270_4000
; %bb.3997:                             ;   in Loop: Header=BB270_2089 Depth=1
	v_and_b32_e32 v8, 7, v102
	v_lshrrev_b32_e32 v103, 3, v68
	v_cmp_gt_u32_e32 vcc_lo, 8, v68
	s_delay_alu instid0(VALU_DEP_3)
	v_dual_mov_b32 v69, v9 :: v_dual_mov_b32 v68, v8
	s_and_saveexec_b32 s3, vcc_lo
; %bb.3998:                             ;   in Loop: Header=BB270_2089 Depth=1
	v_clz_i32_u32_e32 v68, v8
	s_delay_alu instid0(VALU_DEP_1) | instskip(NEXT) | instid1(VALU_DEP_1)
	v_min_u32_e32 v103, 32, v68
	v_subrev_nc_u32_e32 v68, 28, v103
	v_sub_nc_u32_e32 v103, 29, v103
	s_delay_alu instid0(VALU_DEP_2) | instskip(NEXT) | instid1(VALU_DEP_1)
	v_lshlrev_b64 v[68:69], v68, v[8:9]
	v_and_b32_e32 v68, 7, v68
; %bb.3999:                             ;   in Loop: Header=BB270_2089 Depth=1
	s_or_b32 exec_lo, exec_lo, s3
	v_lshlrev_b32_e32 v8, 24, v102
	s_delay_alu instid0(VALU_DEP_2) | instskip(SKIP_1) | instid1(VALU_DEP_3)
	v_lshlrev_b32_e32 v68, 20, v68
	v_lshl_add_u32 v69, v103, 23, 0x3c000000
	v_and_b32_e32 v8, 0x80000000, v8
	s_delay_alu instid0(VALU_DEP_1) | instskip(NEXT) | instid1(VALU_DEP_1)
	v_or3_b32 v8, v68, v8, v69
	v_dual_mov_b32 v57, v9 :: v_dual_mov_b32 v56, v8
.LBB270_4000:                           ;   in Loop: Header=BB270_2089 Depth=1
	s_or_b32 exec_lo, exec_lo, s2
.LBB270_4001:                           ;   in Loop: Header=BB270_2089 Depth=1
	s_delay_alu instid0(SALU_CYCLE_1)
	s_or_b32 exec_lo, exec_lo, s1
.LBB270_4002:                           ;   in Loop: Header=BB270_2089 Depth=1
	s_delay_alu instid0(SALU_CYCLE_1) | instskip(NEXT) | instid1(SALU_CYCLE_1)
	s_or_b32 exec_lo, exec_lo, s0
	s_mov_b32 s0, exec_lo
	v_cmpx_lt_u32_e32 0xffffff, v20
	s_cbranch_execz .LBB270_4010
; %bb.4003:                             ;   in Loop: Header=BB270_2089 Depth=1
	v_lshrrev_b32_e32 v102, 24, v20
	v_dual_mov_b32 v117, s11 :: v_dual_mov_b32 v116, s10
	s_mov_b32 s1, exec_lo
	s_delay_alu instid0(VALU_DEP_2)
	v_cmpx_ne_u32_e32 0x80, v102
	s_cbranch_execz .LBB270_4009
; %bb.4004:                             ;   in Loop: Header=BB270_2089 Depth=1
	s_mov_b32 s12, s10
	v_bfe_u32 v68, v20, 24, 7
	v_dual_mov_b32 v117, s13 :: v_dual_mov_b32 v116, s12
	s_mov_b32 s2, exec_lo
	s_delay_alu instid0(VALU_DEP_2)
	v_cmpx_ne_u32_e32 0x7f, v68
	s_cbranch_execz .LBB270_4008
; %bb.4005:                             ;   in Loop: Header=BB270_2089 Depth=1
	v_and_b32_e32 v8, 7, v102
	v_lshrrev_b32_e32 v20, 3, v68
	v_cmp_gt_u32_e32 vcc_lo, 8, v68
	s_delay_alu instid0(VALU_DEP_3)
	v_dual_mov_b32 v69, v9 :: v_dual_mov_b32 v68, v8
	s_and_saveexec_b32 s3, vcc_lo
; %bb.4006:                             ;   in Loop: Header=BB270_2089 Depth=1
	v_clz_i32_u32_e32 v20, v8
	s_delay_alu instid0(VALU_DEP_1) | instskip(NEXT) | instid1(VALU_DEP_1)
	v_min_u32_e32 v20, 32, v20
	v_subrev_nc_u32_e32 v68, 28, v20
	v_sub_nc_u32_e32 v20, 29, v20
	s_delay_alu instid0(VALU_DEP_2) | instskip(NEXT) | instid1(VALU_DEP_1)
	v_lshlrev_b64 v[68:69], v68, v[8:9]
	v_and_b32_e32 v68, 7, v68
; %bb.4007:                             ;   in Loop: Header=BB270_2089 Depth=1
	s_or_b32 exec_lo, exec_lo, s3
	v_lshlrev_b32_e32 v8, 24, v102
	s_delay_alu instid0(VALU_DEP_2) | instskip(SKIP_2) | instid1(VALU_DEP_4)
	v_lshlrev_b32_e32 v68, 20, v68
	v_lshl_add_u32 v20, v20, 23, 0x3c000000
	v_mov_b32_e32 v116, v9
	v_and_b32_e32 v8, 0x80000000, v8
	s_delay_alu instid0(VALU_DEP_1)
	v_or3_b32 v117, v68, v8, v20
.LBB270_4008:                           ;   in Loop: Header=BB270_2089 Depth=1
	s_or_b32 exec_lo, exec_lo, s2
.LBB270_4009:                           ;   in Loop: Header=BB270_2089 Depth=1
	s_delay_alu instid0(SALU_CYCLE_1)
	s_or_b32 exec_lo, exec_lo, s1
.LBB270_4010:                           ;   in Loop: Header=BB270_2089 Depth=1
	s_delay_alu instid0(SALU_CYCLE_1)
	s_or_b32 exec_lo, exec_lo, s0
	scratch_load_b32 v8, off, s32 offset:2872 ; 4-byte Folded Reload
	v_mov_b32_e32 v128, 0
	s_mov_b32 s0, exec_lo
	s_waitcnt vmcnt(0)
	v_add_co_u32 v68, vcc_lo, v21, v8
	v_add_co_ci_u32_e32 v69, vcc_lo, 0, v22, vcc_lo
	flat_load_b32 v20, v[68:69]
	s_waitcnt vmcnt(0) lgkmcnt(0)
	v_dual_mov_b32 v129, 0 :: v_dual_and_b32 v8, 0xff, v20
	s_delay_alu instid0(VALU_DEP_1) | instskip(NEXT) | instid1(VALU_DEP_2)
	v_dual_mov_b32 v131, v129 :: v_dual_mov_b32 v130, v128
	v_cmpx_ne_u16_e32 0, v8
	s_cbranch_execz .LBB270_4018
; %bb.4011:                             ;   in Loop: Header=BB270_2089 Depth=1
	v_bfrev_b32_e32 v130, 1
	v_mov_b32_e32 v131, 0
	s_mov_b32 s1, exec_lo
	v_cmpx_ne_u16_e32 0x80, v8
	s_cbranch_execz .LBB270_4017
; %bb.4012:                             ;   in Loop: Header=BB270_2089 Depth=1
	v_mov_b32_e32 v130, 0x7f800001
	v_dual_mov_b32 v131, 0 :: v_dual_and_b32 v68, 0x7f, v20
	s_mov_b32 s2, exec_lo
	s_delay_alu instid0(VALU_DEP_1)
	v_cmpx_ne_u32_e32 0x7f, v68
	s_cbranch_execz .LBB270_4016
; %bb.4013:                             ;   in Loop: Header=BB270_2089 Depth=1
	v_and_b32_e32 v8, 7, v20
	v_lshrrev_b32_e32 v102, 3, v68
	v_cmp_gt_u32_e32 vcc_lo, 8, v68
	s_delay_alu instid0(VALU_DEP_3)
	v_dual_mov_b32 v69, v9 :: v_dual_mov_b32 v68, v8
	s_and_saveexec_b32 s3, vcc_lo
; %bb.4014:                             ;   in Loop: Header=BB270_2089 Depth=1
	v_clz_i32_u32_e32 v68, v8
	s_delay_alu instid0(VALU_DEP_1) | instskip(NEXT) | instid1(VALU_DEP_1)
	v_min_u32_e32 v102, 32, v68
	v_subrev_nc_u32_e32 v68, 28, v102
	v_sub_nc_u32_e32 v102, 29, v102
	s_delay_alu instid0(VALU_DEP_2) | instskip(NEXT) | instid1(VALU_DEP_1)
	v_lshlrev_b64 v[68:69], v68, v[8:9]
	v_and_b32_e32 v68, 7, v68
; %bb.4015:                             ;   in Loop: Header=BB270_2089 Depth=1
	s_or_b32 exec_lo, exec_lo, s3
	v_lshlrev_b32_e32 v8, 24, v20
	s_delay_alu instid0(VALU_DEP_2) | instskip(SKIP_1) | instid1(VALU_DEP_3)
	v_lshlrev_b32_e32 v68, 20, v68
	v_lshl_add_u32 v69, v102, 23, 0x3c000000
	v_and_b32_e32 v8, 0x80000000, v8
	s_delay_alu instid0(VALU_DEP_1) | instskip(NEXT) | instid1(VALU_DEP_1)
	v_or3_b32 v8, v68, v8, v69
	v_dual_mov_b32 v131, v9 :: v_dual_mov_b32 v130, v8
.LBB270_4016:                           ;   in Loop: Header=BB270_2089 Depth=1
	s_or_b32 exec_lo, exec_lo, s2
.LBB270_4017:                           ;   in Loop: Header=BB270_2089 Depth=1
	s_delay_alu instid0(SALU_CYCLE_1)
	s_or_b32 exec_lo, exec_lo, s1
.LBB270_4018:                           ;   in Loop: Header=BB270_2089 Depth=1
	s_delay_alu instid0(SALU_CYCLE_1) | instskip(SKIP_2) | instid1(VALU_DEP_1)
	s_or_b32 exec_lo, exec_lo, s0
	v_lshrrev_b16 v8, 8, v20
	s_mov_b32 s0, exec_lo
	v_cmpx_ne_u16_e32 0, v8
	s_cbranch_execz .LBB270_4026
; %bb.4019:                             ;   in Loop: Header=BB270_2089 Depth=1
	v_dual_mov_b32 v129, s11 :: v_dual_mov_b32 v128, s10
	s_mov_b32 s1, exec_lo
	v_cmpx_ne_u16_e32 0x80, v8
	s_cbranch_execz .LBB270_4025
; %bb.4020:                             ;   in Loop: Header=BB270_2089 Depth=1
	s_mov_b32 s12, s10
	v_dual_mov_b32 v129, s13 :: v_dual_and_b32 v8, 0xffff, v8
	v_mov_b32_e32 v128, s12
	s_mov_b32 s2, exec_lo
	s_delay_alu instid0(VALU_DEP_2) | instskip(NEXT) | instid1(VALU_DEP_1)
	v_and_b32_e32 v68, 0x7f, v8
	v_cmpx_ne_u32_e32 0x7f, v68
	s_cbranch_execz .LBB270_4024
; %bb.4021:                             ;   in Loop: Header=BB270_2089 Depth=1
	v_and_b32_e32 v8, 7, v8
	v_lshrrev_b32_e32 v102, 3, v68
	v_cmp_gt_u32_e32 vcc_lo, 8, v68
	s_delay_alu instid0(VALU_DEP_3)
	v_dual_mov_b32 v69, v9 :: v_dual_mov_b32 v68, v8
	s_and_saveexec_b32 s3, vcc_lo
; %bb.4022:                             ;   in Loop: Header=BB270_2089 Depth=1
	v_clz_i32_u32_e32 v68, v8
	s_delay_alu instid0(VALU_DEP_1) | instskip(NEXT) | instid1(VALU_DEP_1)
	v_min_u32_e32 v102, 32, v68
	v_subrev_nc_u32_e32 v68, 28, v102
	v_sub_nc_u32_e32 v102, 29, v102
	s_delay_alu instid0(VALU_DEP_2) | instskip(NEXT) | instid1(VALU_DEP_1)
	v_lshlrev_b64 v[68:69], v68, v[8:9]
	v_and_b32_e32 v68, 7, v68
; %bb.4023:                             ;   in Loop: Header=BB270_2089 Depth=1
	s_or_b32 exec_lo, exec_lo, s3
	v_lshlrev_b32_e32 v8, 16, v20
	s_delay_alu instid0(VALU_DEP_2) | instskip(SKIP_2) | instid1(VALU_DEP_4)
	v_lshlrev_b32_e32 v68, 20, v68
	v_lshl_add_u32 v69, v102, 23, 0x3c000000
	v_mov_b32_e32 v128, v9
	v_and_b32_e32 v8, 0x80000000, v8
	s_delay_alu instid0(VALU_DEP_1)
	v_or3_b32 v129, v68, v8, v69
.LBB270_4024:                           ;   in Loop: Header=BB270_2089 Depth=1
	s_or_b32 exec_lo, exec_lo, s2
.LBB270_4025:                           ;   in Loop: Header=BB270_2089 Depth=1
	s_delay_alu instid0(SALU_CYCLE_1)
	s_or_b32 exec_lo, exec_lo, s1
.LBB270_4026:                           ;   in Loop: Header=BB270_2089 Depth=1
	s_delay_alu instid0(SALU_CYCLE_1) | instskip(SKIP_4) | instid1(VALU_DEP_1)
	s_or_b32 exec_lo, exec_lo, s0
	v_mov_b32_e32 v132, 0
	v_lshrrev_b32_e32 v102, 16, v20
	v_mov_b32_e32 v133, 0
	s_mov_b32 s0, exec_lo
	v_dual_mov_b32 v145, v133 :: v_dual_and_b32 v8, 0xff, v102
	v_mov_b32_e32 v144, v132
	s_delay_alu instid0(VALU_DEP_2)
	v_cmpx_ne_u16_e32 0, v8
	s_cbranch_execz .LBB270_4034
; %bb.4027:                             ;   in Loop: Header=BB270_2089 Depth=1
	v_bfrev_b32_e32 v144, 1
	v_mov_b32_e32 v145, 0
	s_mov_b32 s1, exec_lo
	v_cmpx_ne_u16_e32 0x80, v8
	s_cbranch_execz .LBB270_4033
; %bb.4028:                             ;   in Loop: Header=BB270_2089 Depth=1
	v_mov_b32_e32 v144, 0x7f800001
	v_bfe_u32 v68, v20, 16, 7
	v_mov_b32_e32 v145, 0
	s_mov_b32 s2, exec_lo
	s_delay_alu instid0(VALU_DEP_2)
	v_cmpx_ne_u32_e32 0x7f, v68
	s_cbranch_execz .LBB270_4032
; %bb.4029:                             ;   in Loop: Header=BB270_2089 Depth=1
	v_and_b32_e32 v8, 7, v102
	v_lshrrev_b32_e32 v103, 3, v68
	v_cmp_gt_u32_e32 vcc_lo, 8, v68
	s_delay_alu instid0(VALU_DEP_3)
	v_dual_mov_b32 v69, v9 :: v_dual_mov_b32 v68, v8
	s_and_saveexec_b32 s3, vcc_lo
; %bb.4030:                             ;   in Loop: Header=BB270_2089 Depth=1
	v_clz_i32_u32_e32 v68, v8
	s_delay_alu instid0(VALU_DEP_1) | instskip(NEXT) | instid1(VALU_DEP_1)
	v_min_u32_e32 v103, 32, v68
	v_subrev_nc_u32_e32 v68, 28, v103
	v_sub_nc_u32_e32 v103, 29, v103
	s_delay_alu instid0(VALU_DEP_2) | instskip(NEXT) | instid1(VALU_DEP_1)
	v_lshlrev_b64 v[68:69], v68, v[8:9]
	v_and_b32_e32 v68, 7, v68
; %bb.4031:                             ;   in Loop: Header=BB270_2089 Depth=1
	s_or_b32 exec_lo, exec_lo, s3
	v_lshlrev_b32_e32 v8, 24, v102
	s_delay_alu instid0(VALU_DEP_2) | instskip(SKIP_1) | instid1(VALU_DEP_3)
	v_lshlrev_b32_e32 v68, 20, v68
	v_lshl_add_u32 v69, v103, 23, 0x3c000000
	v_and_b32_e32 v8, 0x80000000, v8
	s_delay_alu instid0(VALU_DEP_1) | instskip(NEXT) | instid1(VALU_DEP_1)
	v_or3_b32 v8, v68, v8, v69
	v_dual_mov_b32 v145, v9 :: v_dual_mov_b32 v144, v8
.LBB270_4032:                           ;   in Loop: Header=BB270_2089 Depth=1
	s_or_b32 exec_lo, exec_lo, s2
.LBB270_4033:                           ;   in Loop: Header=BB270_2089 Depth=1
	s_delay_alu instid0(SALU_CYCLE_1)
	s_or_b32 exec_lo, exec_lo, s1
.LBB270_4034:                           ;   in Loop: Header=BB270_2089 Depth=1
	s_delay_alu instid0(SALU_CYCLE_1) | instskip(NEXT) | instid1(SALU_CYCLE_1)
	s_or_b32 exec_lo, exec_lo, s0
	s_mov_b32 s0, exec_lo
	v_cmpx_lt_u32_e32 0xffffff, v20
	s_cbranch_execz .LBB270_4042
; %bb.4035:                             ;   in Loop: Header=BB270_2089 Depth=1
	v_lshrrev_b32_e32 v102, 24, v20
	v_dual_mov_b32 v133, s11 :: v_dual_mov_b32 v132, s10
	s_mov_b32 s1, exec_lo
	s_delay_alu instid0(VALU_DEP_2)
	v_cmpx_ne_u32_e32 0x80, v102
	s_cbranch_execz .LBB270_4041
; %bb.4036:                             ;   in Loop: Header=BB270_2089 Depth=1
	s_mov_b32 s12, s10
	v_bfe_u32 v68, v20, 24, 7
	v_dual_mov_b32 v133, s13 :: v_dual_mov_b32 v132, s12
	s_mov_b32 s2, exec_lo
	s_delay_alu instid0(VALU_DEP_2)
	v_cmpx_ne_u32_e32 0x7f, v68
	s_cbranch_execz .LBB270_4040
; %bb.4037:                             ;   in Loop: Header=BB270_2089 Depth=1
	v_and_b32_e32 v8, 7, v102
	v_lshrrev_b32_e32 v20, 3, v68
	v_cmp_gt_u32_e32 vcc_lo, 8, v68
	s_delay_alu instid0(VALU_DEP_3)
	v_dual_mov_b32 v69, v9 :: v_dual_mov_b32 v68, v8
	s_and_saveexec_b32 s3, vcc_lo
; %bb.4038:                             ;   in Loop: Header=BB270_2089 Depth=1
	v_clz_i32_u32_e32 v20, v8
	s_delay_alu instid0(VALU_DEP_1) | instskip(NEXT) | instid1(VALU_DEP_1)
	v_min_u32_e32 v20, 32, v20
	v_subrev_nc_u32_e32 v68, 28, v20
	v_sub_nc_u32_e32 v20, 29, v20
	s_delay_alu instid0(VALU_DEP_2) | instskip(NEXT) | instid1(VALU_DEP_1)
	v_lshlrev_b64 v[68:69], v68, v[8:9]
	v_and_b32_e32 v68, 7, v68
; %bb.4039:                             ;   in Loop: Header=BB270_2089 Depth=1
	s_or_b32 exec_lo, exec_lo, s3
	v_lshlrev_b32_e32 v8, 24, v102
	s_delay_alu instid0(VALU_DEP_2) | instskip(SKIP_2) | instid1(VALU_DEP_4)
	v_lshlrev_b32_e32 v68, 20, v68
	v_lshl_add_u32 v20, v20, 23, 0x3c000000
	v_mov_b32_e32 v132, v9
	v_and_b32_e32 v8, 0x80000000, v8
	s_delay_alu instid0(VALU_DEP_1)
	v_or3_b32 v133, v68, v8, v20
.LBB270_4040:                           ;   in Loop: Header=BB270_2089 Depth=1
	s_or_b32 exec_lo, exec_lo, s2
.LBB270_4041:                           ;   in Loop: Header=BB270_2089 Depth=1
	s_delay_alu instid0(SALU_CYCLE_1)
	s_or_b32 exec_lo, exec_lo, s1
.LBB270_4042:                           ;   in Loop: Header=BB270_2089 Depth=1
	s_delay_alu instid0(SALU_CYCLE_1)
	s_or_b32 exec_lo, exec_lo, s0
	scratch_load_b32 v8, off, s32 offset:2888 ; 4-byte Folded Reload
	v_mov_b32_e32 v146, 0
	s_mov_b32 s0, exec_lo
	s_waitcnt vmcnt(0)
	v_add_co_u32 v68, vcc_lo, v21, v8
	v_add_co_ci_u32_e32 v69, vcc_lo, 0, v22, vcc_lo
	flat_load_b32 v20, v[68:69]
	s_waitcnt vmcnt(0) lgkmcnt(0)
	v_dual_mov_b32 v147, 0 :: v_dual_and_b32 v8, 0xff, v20
	s_delay_alu instid0(VALU_DEP_1) | instskip(NEXT) | instid1(VALU_DEP_2)
	v_dual_mov_b32 v149, v147 :: v_dual_mov_b32 v148, v146
	v_cmpx_ne_u16_e32 0, v8
	s_cbranch_execz .LBB270_4050
; %bb.4043:                             ;   in Loop: Header=BB270_2089 Depth=1
	v_bfrev_b32_e32 v148, 1
	v_mov_b32_e32 v149, 0
	s_mov_b32 s1, exec_lo
	v_cmpx_ne_u16_e32 0x80, v8
	s_cbranch_execz .LBB270_4049
; %bb.4044:                             ;   in Loop: Header=BB270_2089 Depth=1
	v_mov_b32_e32 v148, 0x7f800001
	v_dual_mov_b32 v149, 0 :: v_dual_and_b32 v68, 0x7f, v20
	s_mov_b32 s2, exec_lo
	s_delay_alu instid0(VALU_DEP_1)
	v_cmpx_ne_u32_e32 0x7f, v68
	s_cbranch_execz .LBB270_4048
; %bb.4045:                             ;   in Loop: Header=BB270_2089 Depth=1
	v_and_b32_e32 v8, 7, v20
	v_lshrrev_b32_e32 v102, 3, v68
	v_cmp_gt_u32_e32 vcc_lo, 8, v68
	s_delay_alu instid0(VALU_DEP_3)
	v_dual_mov_b32 v69, v9 :: v_dual_mov_b32 v68, v8
	s_and_saveexec_b32 s3, vcc_lo
; %bb.4046:                             ;   in Loop: Header=BB270_2089 Depth=1
	v_clz_i32_u32_e32 v68, v8
	s_delay_alu instid0(VALU_DEP_1) | instskip(NEXT) | instid1(VALU_DEP_1)
	v_min_u32_e32 v102, 32, v68
	v_subrev_nc_u32_e32 v68, 28, v102
	v_sub_nc_u32_e32 v102, 29, v102
	s_delay_alu instid0(VALU_DEP_2) | instskip(NEXT) | instid1(VALU_DEP_1)
	v_lshlrev_b64 v[68:69], v68, v[8:9]
	v_and_b32_e32 v68, 7, v68
; %bb.4047:                             ;   in Loop: Header=BB270_2089 Depth=1
	s_or_b32 exec_lo, exec_lo, s3
	v_lshlrev_b32_e32 v8, 24, v20
	s_delay_alu instid0(VALU_DEP_2) | instskip(SKIP_1) | instid1(VALU_DEP_3)
	v_lshlrev_b32_e32 v68, 20, v68
	v_lshl_add_u32 v69, v102, 23, 0x3c000000
	v_and_b32_e32 v8, 0x80000000, v8
	s_delay_alu instid0(VALU_DEP_1) | instskip(NEXT) | instid1(VALU_DEP_1)
	v_or3_b32 v8, v68, v8, v69
	v_dual_mov_b32 v149, v9 :: v_dual_mov_b32 v148, v8
.LBB270_4048:                           ;   in Loop: Header=BB270_2089 Depth=1
	s_or_b32 exec_lo, exec_lo, s2
.LBB270_4049:                           ;   in Loop: Header=BB270_2089 Depth=1
	s_delay_alu instid0(SALU_CYCLE_1)
	s_or_b32 exec_lo, exec_lo, s1
.LBB270_4050:                           ;   in Loop: Header=BB270_2089 Depth=1
	s_delay_alu instid0(SALU_CYCLE_1) | instskip(SKIP_2) | instid1(VALU_DEP_1)
	s_or_b32 exec_lo, exec_lo, s0
	v_lshrrev_b16 v8, 8, v20
	s_mov_b32 s0, exec_lo
	v_cmpx_ne_u16_e32 0, v8
	s_cbranch_execz .LBB270_4058
; %bb.4051:                             ;   in Loop: Header=BB270_2089 Depth=1
	v_dual_mov_b32 v147, s11 :: v_dual_mov_b32 v146, s10
	s_mov_b32 s1, exec_lo
	v_cmpx_ne_u16_e32 0x80, v8
	s_cbranch_execz .LBB270_4057
; %bb.4052:                             ;   in Loop: Header=BB270_2089 Depth=1
	s_mov_b32 s12, s10
	v_dual_mov_b32 v147, s13 :: v_dual_and_b32 v8, 0xffff, v8
	v_mov_b32_e32 v146, s12
	s_mov_b32 s2, exec_lo
	s_delay_alu instid0(VALU_DEP_2) | instskip(NEXT) | instid1(VALU_DEP_1)
	v_and_b32_e32 v68, 0x7f, v8
	v_cmpx_ne_u32_e32 0x7f, v68
	s_cbranch_execz .LBB270_4056
; %bb.4053:                             ;   in Loop: Header=BB270_2089 Depth=1
	v_and_b32_e32 v8, 7, v8
	v_lshrrev_b32_e32 v102, 3, v68
	v_cmp_gt_u32_e32 vcc_lo, 8, v68
	s_delay_alu instid0(VALU_DEP_3)
	v_dual_mov_b32 v69, v9 :: v_dual_mov_b32 v68, v8
	s_and_saveexec_b32 s3, vcc_lo
; %bb.4054:                             ;   in Loop: Header=BB270_2089 Depth=1
	v_clz_i32_u32_e32 v68, v8
	s_delay_alu instid0(VALU_DEP_1) | instskip(NEXT) | instid1(VALU_DEP_1)
	v_min_u32_e32 v102, 32, v68
	v_subrev_nc_u32_e32 v68, 28, v102
	v_sub_nc_u32_e32 v102, 29, v102
	s_delay_alu instid0(VALU_DEP_2) | instskip(NEXT) | instid1(VALU_DEP_1)
	v_lshlrev_b64 v[68:69], v68, v[8:9]
	v_and_b32_e32 v68, 7, v68
; %bb.4055:                             ;   in Loop: Header=BB270_2089 Depth=1
	s_or_b32 exec_lo, exec_lo, s3
	v_lshlrev_b32_e32 v8, 16, v20
	s_delay_alu instid0(VALU_DEP_2) | instskip(SKIP_2) | instid1(VALU_DEP_4)
	v_lshlrev_b32_e32 v68, 20, v68
	v_lshl_add_u32 v69, v102, 23, 0x3c000000
	v_mov_b32_e32 v146, v9
	v_and_b32_e32 v8, 0x80000000, v8
	s_delay_alu instid0(VALU_DEP_1)
	v_or3_b32 v147, v68, v8, v69
.LBB270_4056:                           ;   in Loop: Header=BB270_2089 Depth=1
	s_or_b32 exec_lo, exec_lo, s2
.LBB270_4057:                           ;   in Loop: Header=BB270_2089 Depth=1
	s_delay_alu instid0(SALU_CYCLE_1)
	s_or_b32 exec_lo, exec_lo, s1
.LBB270_4058:                           ;   in Loop: Header=BB270_2089 Depth=1
	s_delay_alu instid0(SALU_CYCLE_1) | instskip(SKIP_4) | instid1(VALU_DEP_1)
	s_or_b32 exec_lo, exec_lo, s0
	v_mov_b32_e32 v88, 0
	v_lshrrev_b32_e32 v102, 16, v20
	v_mov_b32_e32 v89, 0
	s_mov_b32 s0, exec_lo
	v_dual_mov_b32 v139, v89 :: v_dual_and_b32 v8, 0xff, v102
	v_mov_b32_e32 v138, v88
	s_delay_alu instid0(VALU_DEP_2)
	v_cmpx_ne_u16_e32 0, v8
	s_cbranch_execz .LBB270_4066
; %bb.4059:                             ;   in Loop: Header=BB270_2089 Depth=1
	v_bfrev_b32_e32 v138, 1
	v_mov_b32_e32 v139, 0
	s_mov_b32 s1, exec_lo
	v_cmpx_ne_u16_e32 0x80, v8
	s_cbranch_execz .LBB270_4065
; %bb.4060:                             ;   in Loop: Header=BB270_2089 Depth=1
	v_mov_b32_e32 v138, 0x7f800001
	v_bfe_u32 v68, v20, 16, 7
	v_mov_b32_e32 v139, 0
	s_mov_b32 s2, exec_lo
	s_delay_alu instid0(VALU_DEP_2)
	v_cmpx_ne_u32_e32 0x7f, v68
	s_cbranch_execz .LBB270_4064
; %bb.4061:                             ;   in Loop: Header=BB270_2089 Depth=1
	v_and_b32_e32 v8, 7, v102
	v_lshrrev_b32_e32 v103, 3, v68
	v_cmp_gt_u32_e32 vcc_lo, 8, v68
	s_delay_alu instid0(VALU_DEP_3)
	v_dual_mov_b32 v69, v9 :: v_dual_mov_b32 v68, v8
	s_and_saveexec_b32 s3, vcc_lo
; %bb.4062:                             ;   in Loop: Header=BB270_2089 Depth=1
	v_clz_i32_u32_e32 v68, v8
	s_delay_alu instid0(VALU_DEP_1) | instskip(NEXT) | instid1(VALU_DEP_1)
	v_min_u32_e32 v103, 32, v68
	v_subrev_nc_u32_e32 v68, 28, v103
	v_sub_nc_u32_e32 v103, 29, v103
	s_delay_alu instid0(VALU_DEP_2) | instskip(NEXT) | instid1(VALU_DEP_1)
	v_lshlrev_b64 v[68:69], v68, v[8:9]
	v_and_b32_e32 v68, 7, v68
; %bb.4063:                             ;   in Loop: Header=BB270_2089 Depth=1
	s_or_b32 exec_lo, exec_lo, s3
	v_lshlrev_b32_e32 v8, 24, v102
	s_delay_alu instid0(VALU_DEP_2) | instskip(SKIP_1) | instid1(VALU_DEP_3)
	v_lshlrev_b32_e32 v68, 20, v68
	v_lshl_add_u32 v69, v103, 23, 0x3c000000
	v_and_b32_e32 v8, 0x80000000, v8
	s_delay_alu instid0(VALU_DEP_1) | instskip(NEXT) | instid1(VALU_DEP_1)
	v_or3_b32 v8, v68, v8, v69
	v_dual_mov_b32 v139, v9 :: v_dual_mov_b32 v138, v8
.LBB270_4064:                           ;   in Loop: Header=BB270_2089 Depth=1
	s_or_b32 exec_lo, exec_lo, s2
.LBB270_4065:                           ;   in Loop: Header=BB270_2089 Depth=1
	s_delay_alu instid0(SALU_CYCLE_1)
	s_or_b32 exec_lo, exec_lo, s1
.LBB270_4066:                           ;   in Loop: Header=BB270_2089 Depth=1
	s_delay_alu instid0(SALU_CYCLE_1) | instskip(NEXT) | instid1(SALU_CYCLE_1)
	s_or_b32 exec_lo, exec_lo, s0
	s_mov_b32 s0, exec_lo
	v_cmpx_lt_u32_e32 0xffffff, v20
	s_cbranch_execz .LBB270_4074
; %bb.4067:                             ;   in Loop: Header=BB270_2089 Depth=1
	v_lshrrev_b32_e32 v102, 24, v20
	v_dual_mov_b32 v89, s11 :: v_dual_mov_b32 v88, s10
	s_mov_b32 s1, exec_lo
	s_delay_alu instid0(VALU_DEP_2)
	v_cmpx_ne_u32_e32 0x80, v102
	s_cbranch_execz .LBB270_4073
; %bb.4068:                             ;   in Loop: Header=BB270_2089 Depth=1
	s_mov_b32 s12, s10
	v_bfe_u32 v68, v20, 24, 7
	v_dual_mov_b32 v89, s13 :: v_dual_mov_b32 v88, s12
	s_mov_b32 s2, exec_lo
	s_delay_alu instid0(VALU_DEP_2)
	v_cmpx_ne_u32_e32 0x7f, v68
	s_cbranch_execz .LBB270_4072
; %bb.4069:                             ;   in Loop: Header=BB270_2089 Depth=1
	v_and_b32_e32 v8, 7, v102
	v_lshrrev_b32_e32 v20, 3, v68
	v_cmp_gt_u32_e32 vcc_lo, 8, v68
	s_delay_alu instid0(VALU_DEP_3)
	v_dual_mov_b32 v69, v9 :: v_dual_mov_b32 v68, v8
	s_and_saveexec_b32 s3, vcc_lo
; %bb.4070:                             ;   in Loop: Header=BB270_2089 Depth=1
	v_clz_i32_u32_e32 v20, v8
	s_delay_alu instid0(VALU_DEP_1) | instskip(NEXT) | instid1(VALU_DEP_1)
	v_min_u32_e32 v20, 32, v20
	v_subrev_nc_u32_e32 v68, 28, v20
	v_sub_nc_u32_e32 v20, 29, v20
	s_delay_alu instid0(VALU_DEP_2) | instskip(NEXT) | instid1(VALU_DEP_1)
	v_lshlrev_b64 v[68:69], v68, v[8:9]
	v_and_b32_e32 v68, 7, v68
; %bb.4071:                             ;   in Loop: Header=BB270_2089 Depth=1
	s_or_b32 exec_lo, exec_lo, s3
	v_lshlrev_b32_e32 v8, 24, v102
	s_delay_alu instid0(VALU_DEP_2) | instskip(SKIP_2) | instid1(VALU_DEP_4)
	v_lshlrev_b32_e32 v68, 20, v68
	v_lshl_add_u32 v20, v20, 23, 0x3c000000
	v_mov_b32_e32 v88, v9
	v_and_b32_e32 v8, 0x80000000, v8
	s_delay_alu instid0(VALU_DEP_1)
	v_or3_b32 v89, v68, v8, v20
.LBB270_4072:                           ;   in Loop: Header=BB270_2089 Depth=1
	s_or_b32 exec_lo, exec_lo, s2
.LBB270_4073:                           ;   in Loop: Header=BB270_2089 Depth=1
	s_delay_alu instid0(SALU_CYCLE_1)
	s_or_b32 exec_lo, exec_lo, s1
.LBB270_4074:                           ;   in Loop: Header=BB270_2089 Depth=1
	s_delay_alu instid0(SALU_CYCLE_1)
	s_or_b32 exec_lo, exec_lo, s0
	scratch_load_b32 v8, off, s32 offset:2904 ; 4-byte Folded Reload
	v_mov_b32_e32 v92, 0
	s_mov_b32 s0, exec_lo
	s_waitcnt vmcnt(0)
	v_add_co_u32 v68, vcc_lo, v21, v8
	v_add_co_ci_u32_e32 v69, vcc_lo, 0, v22, vcc_lo
	flat_load_b32 v20, v[68:69]
	s_waitcnt vmcnt(0) lgkmcnt(0)
	v_dual_mov_b32 v93, 0 :: v_dual_and_b32 v8, 0xff, v20
	s_delay_alu instid0(VALU_DEP_1) | instskip(NEXT) | instid1(VALU_DEP_2)
	v_dual_mov_b32 v143, v93 :: v_dual_mov_b32 v142, v92
	v_cmpx_ne_u16_e32 0, v8
	s_cbranch_execz .LBB270_4082
; %bb.4075:                             ;   in Loop: Header=BB270_2089 Depth=1
	v_bfrev_b32_e32 v142, 1
	v_mov_b32_e32 v143, 0
	s_mov_b32 s1, exec_lo
	v_cmpx_ne_u16_e32 0x80, v8
	s_cbranch_execz .LBB270_4081
; %bb.4076:                             ;   in Loop: Header=BB270_2089 Depth=1
	v_mov_b32_e32 v142, 0x7f800001
	v_dual_mov_b32 v143, 0 :: v_dual_and_b32 v68, 0x7f, v20
	s_mov_b32 s2, exec_lo
	s_delay_alu instid0(VALU_DEP_1)
	v_cmpx_ne_u32_e32 0x7f, v68
	s_cbranch_execz .LBB270_4080
; %bb.4077:                             ;   in Loop: Header=BB270_2089 Depth=1
	v_and_b32_e32 v8, 7, v20
	v_lshrrev_b32_e32 v102, 3, v68
	v_cmp_gt_u32_e32 vcc_lo, 8, v68
	s_delay_alu instid0(VALU_DEP_3)
	v_dual_mov_b32 v69, v9 :: v_dual_mov_b32 v68, v8
	s_and_saveexec_b32 s3, vcc_lo
; %bb.4078:                             ;   in Loop: Header=BB270_2089 Depth=1
	v_clz_i32_u32_e32 v68, v8
	s_delay_alu instid0(VALU_DEP_1) | instskip(NEXT) | instid1(VALU_DEP_1)
	v_min_u32_e32 v102, 32, v68
	v_subrev_nc_u32_e32 v68, 28, v102
	v_sub_nc_u32_e32 v102, 29, v102
	s_delay_alu instid0(VALU_DEP_2) | instskip(NEXT) | instid1(VALU_DEP_1)
	v_lshlrev_b64 v[68:69], v68, v[8:9]
	v_and_b32_e32 v68, 7, v68
; %bb.4079:                             ;   in Loop: Header=BB270_2089 Depth=1
	s_or_b32 exec_lo, exec_lo, s3
	v_lshlrev_b32_e32 v8, 24, v20
	s_delay_alu instid0(VALU_DEP_2) | instskip(SKIP_1) | instid1(VALU_DEP_3)
	v_lshlrev_b32_e32 v68, 20, v68
	v_lshl_add_u32 v69, v102, 23, 0x3c000000
	v_and_b32_e32 v8, 0x80000000, v8
	s_delay_alu instid0(VALU_DEP_1) | instskip(NEXT) | instid1(VALU_DEP_1)
	v_or3_b32 v8, v68, v8, v69
	v_dual_mov_b32 v143, v9 :: v_dual_mov_b32 v142, v8
.LBB270_4080:                           ;   in Loop: Header=BB270_2089 Depth=1
	s_or_b32 exec_lo, exec_lo, s2
.LBB270_4081:                           ;   in Loop: Header=BB270_2089 Depth=1
	s_delay_alu instid0(SALU_CYCLE_1)
	s_or_b32 exec_lo, exec_lo, s1
.LBB270_4082:                           ;   in Loop: Header=BB270_2089 Depth=1
	s_delay_alu instid0(SALU_CYCLE_1) | instskip(SKIP_2) | instid1(VALU_DEP_1)
	s_or_b32 exec_lo, exec_lo, s0
	v_lshrrev_b16 v8, 8, v20
	s_mov_b32 s0, exec_lo
	v_cmpx_ne_u16_e32 0, v8
	s_cbranch_execz .LBB270_4090
; %bb.4083:                             ;   in Loop: Header=BB270_2089 Depth=1
	v_dual_mov_b32 v93, s11 :: v_dual_mov_b32 v92, s10
	s_mov_b32 s1, exec_lo
	v_cmpx_ne_u16_e32 0x80, v8
	s_cbranch_execz .LBB270_4089
; %bb.4084:                             ;   in Loop: Header=BB270_2089 Depth=1
	s_mov_b32 s12, s10
	v_dual_mov_b32 v93, s13 :: v_dual_and_b32 v8, 0xffff, v8
	v_mov_b32_e32 v92, s12
	s_mov_b32 s2, exec_lo
	s_delay_alu instid0(VALU_DEP_2) | instskip(NEXT) | instid1(VALU_DEP_1)
	v_and_b32_e32 v68, 0x7f, v8
	v_cmpx_ne_u32_e32 0x7f, v68
	s_cbranch_execz .LBB270_4088
; %bb.4085:                             ;   in Loop: Header=BB270_2089 Depth=1
	v_and_b32_e32 v8, 7, v8
	v_lshrrev_b32_e32 v102, 3, v68
	v_cmp_gt_u32_e32 vcc_lo, 8, v68
	s_delay_alu instid0(VALU_DEP_3)
	v_dual_mov_b32 v69, v9 :: v_dual_mov_b32 v68, v8
	s_and_saveexec_b32 s3, vcc_lo
; %bb.4086:                             ;   in Loop: Header=BB270_2089 Depth=1
	v_clz_i32_u32_e32 v68, v8
	s_delay_alu instid0(VALU_DEP_1) | instskip(NEXT) | instid1(VALU_DEP_1)
	v_min_u32_e32 v102, 32, v68
	v_subrev_nc_u32_e32 v68, 28, v102
	v_sub_nc_u32_e32 v102, 29, v102
	s_delay_alu instid0(VALU_DEP_2) | instskip(NEXT) | instid1(VALU_DEP_1)
	v_lshlrev_b64 v[68:69], v68, v[8:9]
	v_and_b32_e32 v68, 7, v68
; %bb.4087:                             ;   in Loop: Header=BB270_2089 Depth=1
	s_or_b32 exec_lo, exec_lo, s3
	v_lshlrev_b32_e32 v8, 16, v20
	s_delay_alu instid0(VALU_DEP_2) | instskip(SKIP_2) | instid1(VALU_DEP_4)
	v_lshlrev_b32_e32 v68, 20, v68
	v_lshl_add_u32 v69, v102, 23, 0x3c000000
	v_mov_b32_e32 v92, v9
	v_and_b32_e32 v8, 0x80000000, v8
	s_delay_alu instid0(VALU_DEP_1)
	v_or3_b32 v93, v68, v8, v69
.LBB270_4088:                           ;   in Loop: Header=BB270_2089 Depth=1
	s_or_b32 exec_lo, exec_lo, s2
.LBB270_4089:                           ;   in Loop: Header=BB270_2089 Depth=1
	s_delay_alu instid0(SALU_CYCLE_1)
	s_or_b32 exec_lo, exec_lo, s1
.LBB270_4090:                           ;   in Loop: Header=BB270_2089 Depth=1
	s_delay_alu instid0(SALU_CYCLE_1) | instskip(SKIP_4) | instid1(VALU_DEP_2)
	s_or_b32 exec_lo, exec_lo, s0
	v_mov_b32_e32 v158, 0
	v_lshrrev_b32_e32 v102, 16, v20
	v_mov_b32_e32 v159, 0
	s_mov_b32 s0, exec_lo
	v_and_b32_e32 v8, 0xff, v102
	s_delay_alu instid0(VALU_DEP_2) | instskip(NEXT) | instid1(VALU_DEP_2)
	v_dual_mov_b32 v104, v158 :: v_dual_mov_b32 v105, v159
	v_cmpx_ne_u16_e32 0, v8
	s_cbranch_execz .LBB270_4098
; %bb.4091:                             ;   in Loop: Header=BB270_2089 Depth=1
	v_bfrev_b32_e32 v104, 1
	v_mov_b32_e32 v105, 0
	s_mov_b32 s1, exec_lo
	v_cmpx_ne_u16_e32 0x80, v8
	s_cbranch_execz .LBB270_4097
; %bb.4092:                             ;   in Loop: Header=BB270_2089 Depth=1
	v_mov_b32_e32 v104, 0x7f800001
	v_bfe_u32 v68, v20, 16, 7
	v_mov_b32_e32 v105, 0
	s_mov_b32 s2, exec_lo
	s_delay_alu instid0(VALU_DEP_2)
	v_cmpx_ne_u32_e32 0x7f, v68
	s_cbranch_execz .LBB270_4096
; %bb.4093:                             ;   in Loop: Header=BB270_2089 Depth=1
	v_and_b32_e32 v8, 7, v102
	v_lshrrev_b32_e32 v103, 3, v68
	v_cmp_gt_u32_e32 vcc_lo, 8, v68
	s_delay_alu instid0(VALU_DEP_3)
	v_dual_mov_b32 v69, v9 :: v_dual_mov_b32 v68, v8
	s_and_saveexec_b32 s3, vcc_lo
; %bb.4094:                             ;   in Loop: Header=BB270_2089 Depth=1
	v_clz_i32_u32_e32 v68, v8
	s_delay_alu instid0(VALU_DEP_1) | instskip(NEXT) | instid1(VALU_DEP_1)
	v_min_u32_e32 v103, 32, v68
	v_subrev_nc_u32_e32 v68, 28, v103
	v_sub_nc_u32_e32 v103, 29, v103
	s_delay_alu instid0(VALU_DEP_2) | instskip(NEXT) | instid1(VALU_DEP_1)
	v_lshlrev_b64 v[68:69], v68, v[8:9]
	v_and_b32_e32 v68, 7, v68
; %bb.4095:                             ;   in Loop: Header=BB270_2089 Depth=1
	s_or_b32 exec_lo, exec_lo, s3
	v_lshlrev_b32_e32 v8, 24, v102
	s_delay_alu instid0(VALU_DEP_2) | instskip(SKIP_1) | instid1(VALU_DEP_3)
	v_lshlrev_b32_e32 v68, 20, v68
	v_lshl_add_u32 v69, v103, 23, 0x3c000000
	v_and_b32_e32 v8, 0x80000000, v8
	s_delay_alu instid0(VALU_DEP_1) | instskip(NEXT) | instid1(VALU_DEP_1)
	v_or3_b32 v8, v68, v8, v69
	v_dual_mov_b32 v105, v9 :: v_dual_mov_b32 v104, v8
.LBB270_4096:                           ;   in Loop: Header=BB270_2089 Depth=1
	s_or_b32 exec_lo, exec_lo, s2
.LBB270_4097:                           ;   in Loop: Header=BB270_2089 Depth=1
	s_delay_alu instid0(SALU_CYCLE_1)
	s_or_b32 exec_lo, exec_lo, s1
.LBB270_4098:                           ;   in Loop: Header=BB270_2089 Depth=1
	s_delay_alu instid0(SALU_CYCLE_1) | instskip(NEXT) | instid1(SALU_CYCLE_1)
	s_or_b32 exec_lo, exec_lo, s0
	s_mov_b32 s0, exec_lo
	v_cmpx_lt_u32_e32 0xffffff, v20
	s_cbranch_execz .LBB270_4106
; %bb.4099:                             ;   in Loop: Header=BB270_2089 Depth=1
	v_lshrrev_b32_e32 v102, 24, v20
	v_dual_mov_b32 v159, s11 :: v_dual_mov_b32 v158, s10
	s_mov_b32 s1, exec_lo
	s_delay_alu instid0(VALU_DEP_2)
	v_cmpx_ne_u32_e32 0x80, v102
	s_cbranch_execz .LBB270_4105
; %bb.4100:                             ;   in Loop: Header=BB270_2089 Depth=1
	s_mov_b32 s12, s10
	v_bfe_u32 v68, v20, 24, 7
	v_dual_mov_b32 v159, s13 :: v_dual_mov_b32 v158, s12
	s_mov_b32 s2, exec_lo
	s_delay_alu instid0(VALU_DEP_2)
	v_cmpx_ne_u32_e32 0x7f, v68
	s_cbranch_execz .LBB270_4104
; %bb.4101:                             ;   in Loop: Header=BB270_2089 Depth=1
	v_and_b32_e32 v8, 7, v102
	v_lshrrev_b32_e32 v20, 3, v68
	v_cmp_gt_u32_e32 vcc_lo, 8, v68
	s_delay_alu instid0(VALU_DEP_3)
	v_dual_mov_b32 v69, v9 :: v_dual_mov_b32 v68, v8
	s_and_saveexec_b32 s3, vcc_lo
; %bb.4102:                             ;   in Loop: Header=BB270_2089 Depth=1
	v_clz_i32_u32_e32 v20, v8
	s_delay_alu instid0(VALU_DEP_1) | instskip(NEXT) | instid1(VALU_DEP_1)
	v_min_u32_e32 v20, 32, v20
	v_subrev_nc_u32_e32 v68, 28, v20
	v_sub_nc_u32_e32 v20, 29, v20
	s_delay_alu instid0(VALU_DEP_2) | instskip(NEXT) | instid1(VALU_DEP_1)
	v_lshlrev_b64 v[68:69], v68, v[8:9]
	v_and_b32_e32 v68, 7, v68
; %bb.4103:                             ;   in Loop: Header=BB270_2089 Depth=1
	s_or_b32 exec_lo, exec_lo, s3
	v_lshlrev_b32_e32 v8, 24, v102
	s_delay_alu instid0(VALU_DEP_2) | instskip(SKIP_2) | instid1(VALU_DEP_4)
	v_lshlrev_b32_e32 v68, 20, v68
	v_lshl_add_u32 v20, v20, 23, 0x3c000000
	v_mov_b32_e32 v158, v9
	v_and_b32_e32 v8, 0x80000000, v8
	s_delay_alu instid0(VALU_DEP_1)
	v_or3_b32 v159, v68, v8, v20
.LBB270_4104:                           ;   in Loop: Header=BB270_2089 Depth=1
	s_or_b32 exec_lo, exec_lo, s2
.LBB270_4105:                           ;   in Loop: Header=BB270_2089 Depth=1
	s_delay_alu instid0(SALU_CYCLE_1)
	s_or_b32 exec_lo, exec_lo, s1
.LBB270_4106:                           ;   in Loop: Header=BB270_2089 Depth=1
	s_delay_alu instid0(SALU_CYCLE_1)
	s_or_b32 exec_lo, exec_lo, s0
	scratch_load_b32 v8, off, s32 offset:2920 ; 4-byte Folded Reload
	v_mov_b32_e32 v36, 0
	s_mov_b32 s0, exec_lo
	s_waitcnt vmcnt(0)
	v_add_co_u32 v20, vcc_lo, v21, v8
	v_add_co_ci_u32_e32 v21, vcc_lo, 0, v22, vcc_lo
	flat_load_b32 v22, v[20:21]
	s_waitcnt vmcnt(0) lgkmcnt(0)
	v_dual_mov_b32 v37, 0 :: v_dual_and_b32 v8, 0xff, v22
	scratch_store_b64 off, v[36:37], s32 offset:1660 ; 8-byte Folded Spill
	v_cmpx_ne_u16_e32 0, v8
	s_cbranch_execz .LBB270_4114
; %bb.4107:                             ;   in Loop: Header=BB270_2089 Depth=1
	v_bfrev_b32_e32 v20, 1
	v_mov_b32_e32 v21, 0
	s_mov_b32 s1, exec_lo
	scratch_store_b64 off, v[20:21], s32 offset:1660 ; 8-byte Folded Spill
	v_cmpx_ne_u16_e32 0x80, v8
	s_cbranch_execz .LBB270_4113
; %bb.4108:                             ;   in Loop: Header=BB270_2089 Depth=1
	v_mov_b32_e32 v68, 0x7f800001
	v_and_b32_e32 v21, 0x7f, v22
	v_mov_b32_e32 v69, 0
	s_mov_b32 s2, exec_lo
	scratch_store_b64 off, v[68:69], s32 offset:1660 ; 8-byte Folded Spill
	v_cmpx_ne_u32_e32 0x7f, v21
	s_cbranch_execz .LBB270_4112
; %bb.4109:                             ;   in Loop: Header=BB270_2089 Depth=1
	v_and_b32_e32 v8, 7, v22
	v_lshrrev_b32_e32 v20, 3, v21
	v_mov_b32_e32 v69, v9
	s_mov_b32 s3, exec_lo
	s_delay_alu instid0(VALU_DEP_3)
	v_mov_b32_e32 v68, v8
	v_cmpx_gt_u32_e32 8, v21
; %bb.4110:                             ;   in Loop: Header=BB270_2089 Depth=1
	v_clz_i32_u32_e32 v20, v8
	s_delay_alu instid0(VALU_DEP_1) | instskip(NEXT) | instid1(VALU_DEP_1)
	v_min_u32_e32 v20, 32, v20
	v_subrev_nc_u32_e32 v21, 28, v20
	v_sub_nc_u32_e32 v20, 29, v20
	s_delay_alu instid0(VALU_DEP_2) | instskip(NEXT) | instid1(VALU_DEP_1)
	v_lshlrev_b64 v[68:69], v21, v[8:9]
	v_and_b32_e32 v68, 7, v68
; %bb.4111:                             ;   in Loop: Header=BB270_2089 Depth=1
	s_or_b32 exec_lo, exec_lo, s3
	v_lshlrev_b32_e32 v8, 24, v22
	s_delay_alu instid0(VALU_DEP_2) | instskip(SKIP_1) | instid1(VALU_DEP_3)
	v_lshlrev_b32_e32 v21, 20, v68
	v_lshl_add_u32 v20, v20, 23, 0x3c000000
	v_and_b32_e32 v8, 0x80000000, v8
	s_delay_alu instid0(VALU_DEP_1)
	v_or3_b32 v8, v21, v8, v20
	scratch_store_b64 off, v[8:9], s32 offset:1660 ; 8-byte Folded Spill
.LBB270_4112:                           ;   in Loop: Header=BB270_2089 Depth=1
	s_or_b32 exec_lo, exec_lo, s2
.LBB270_4113:                           ;   in Loop: Header=BB270_2089 Depth=1
	s_delay_alu instid0(SALU_CYCLE_1)
	s_or_b32 exec_lo, exec_lo, s1
.LBB270_4114:                           ;   in Loop: Header=BB270_2089 Depth=1
	s_delay_alu instid0(SALU_CYCLE_1) | instskip(SKIP_2) | instid1(VALU_DEP_1)
	s_or_b32 exec_lo, exec_lo, s0
	v_lshrrev_b16 v8, 8, v22
	s_mov_b32 s0, exec_lo
	v_cmpx_ne_u16_e32 0, v8
	s_cbranch_execz .LBB270_4122
; %bb.4115:                             ;   in Loop: Header=BB270_2089 Depth=1
	v_dual_mov_b32 v37, s11 :: v_dual_mov_b32 v36, s10
	s_mov_b32 s1, exec_lo
	v_cmpx_ne_u16_e32 0x80, v8
	s_cbranch_execz .LBB270_4121
; %bb.4116:                             ;   in Loop: Header=BB270_2089 Depth=1
	s_mov_b32 s12, s10
	v_dual_mov_b32 v37, s13 :: v_dual_and_b32 v8, 0xffff, v8
	v_mov_b32_e32 v36, s12
	s_mov_b32 s2, exec_lo
	s_delay_alu instid0(VALU_DEP_2) | instskip(NEXT) | instid1(VALU_DEP_1)
	v_and_b32_e32 v20, 0x7f, v8
	v_cmpx_ne_u32_e32 0x7f, v20
	s_cbranch_execz .LBB270_4120
; %bb.4117:                             ;   in Loop: Header=BB270_2089 Depth=1
	v_and_b32_e32 v8, 7, v8
	v_lshrrev_b32_e32 v68, 3, v20
	v_cmp_gt_u32_e32 vcc_lo, 8, v20
	s_delay_alu instid0(VALU_DEP_3)
	v_dual_mov_b32 v21, v9 :: v_dual_mov_b32 v20, v8
	s_and_saveexec_b32 s3, vcc_lo
; %bb.4118:                             ;   in Loop: Header=BB270_2089 Depth=1
	v_clz_i32_u32_e32 v20, v8
	s_delay_alu instid0(VALU_DEP_1) | instskip(NEXT) | instid1(VALU_DEP_1)
	v_min_u32_e32 v68, 32, v20
	v_subrev_nc_u32_e32 v20, 28, v68
	v_sub_nc_u32_e32 v68, 29, v68
	s_delay_alu instid0(VALU_DEP_2) | instskip(NEXT) | instid1(VALU_DEP_1)
	v_lshlrev_b64 v[20:21], v20, v[8:9]
	v_and_b32_e32 v20, 7, v20
; %bb.4119:                             ;   in Loop: Header=BB270_2089 Depth=1
	s_or_b32 exec_lo, exec_lo, s3
	v_lshlrev_b32_e32 v8, 16, v22
	s_delay_alu instid0(VALU_DEP_2) | instskip(SKIP_2) | instid1(VALU_DEP_4)
	v_lshlrev_b32_e32 v20, 20, v20
	v_lshl_add_u32 v21, v68, 23, 0x3c000000
	v_mov_b32_e32 v36, v9
	v_and_b32_e32 v8, 0x80000000, v8
	s_delay_alu instid0(VALU_DEP_1)
	v_or3_b32 v37, v20, v8, v21
.LBB270_4120:                           ;   in Loop: Header=BB270_2089 Depth=1
	s_or_b32 exec_lo, exec_lo, s2
.LBB270_4121:                           ;   in Loop: Header=BB270_2089 Depth=1
	s_delay_alu instid0(SALU_CYCLE_1)
	s_or_b32 exec_lo, exec_lo, s1
.LBB270_4122:                           ;   in Loop: Header=BB270_2089 Depth=1
	s_delay_alu instid0(SALU_CYCLE_1) | instskip(SKIP_4) | instid1(VALU_DEP_2)
	s_or_b32 exec_lo, exec_lo, s0
	v_mov_b32_e32 v102, 0
	v_lshrrev_b32_e32 v20, 16, v22
	v_mov_b32_e32 v103, 0
	s_mov_b32 s0, exec_lo
	v_and_b32_e32 v8, 0xff, v20
	s_delay_alu instid0(VALU_DEP_2) | instskip(NEXT) | instid1(VALU_DEP_2)
	v_dual_mov_b32 v68, v102 :: v_dual_mov_b32 v69, v103
	v_cmpx_ne_u16_e32 0, v8
	s_cbranch_execz .LBB270_4130
; %bb.4123:                             ;   in Loop: Header=BB270_2089 Depth=1
	v_bfrev_b32_e32 v68, 1
	v_mov_b32_e32 v69, 0
	s_mov_b32 s1, exec_lo
	v_cmpx_ne_u16_e32 0x80, v8
	s_cbranch_execz .LBB270_4129
; %bb.4124:                             ;   in Loop: Header=BB270_2089 Depth=1
	v_mov_b32_e32 v68, 0x7f800001
	v_bfe_u32 v122, v22, 16, 7
	v_mov_b32_e32 v69, 0
	s_mov_b32 s2, exec_lo
	s_delay_alu instid0(VALU_DEP_2)
	v_cmpx_ne_u32_e32 0x7f, v122
	s_cbranch_execz .LBB270_4128
; %bb.4125:                             ;   in Loop: Header=BB270_2089 Depth=1
	v_dual_mov_b32 v35, v123 :: v_dual_and_b32 v8, 7, v20
	v_lshrrev_b32_e32 v21, 3, v122
	v_cmp_gt_u32_e32 vcc_lo, 8, v122
	s_delay_alu instid0(VALU_DEP_3)
	v_dual_mov_b32 v123, v9 :: v_dual_mov_b32 v122, v8
	s_and_saveexec_b32 s3, vcc_lo
; %bb.4126:                             ;   in Loop: Header=BB270_2089 Depth=1
	v_clz_i32_u32_e32 v21, v8
	s_delay_alu instid0(VALU_DEP_1) | instskip(NEXT) | instid1(VALU_DEP_1)
	v_min_u32_e32 v21, 32, v21
	v_subrev_nc_u32_e32 v68, 28, v21
	v_sub_nc_u32_e32 v21, 29, v21
	s_delay_alu instid0(VALU_DEP_2) | instskip(NEXT) | instid1(VALU_DEP_1)
	v_lshlrev_b64 v[68:69], v68, v[8:9]
	v_and_b32_e32 v122, 7, v68
; %bb.4127:                             ;   in Loop: Header=BB270_2089 Depth=1
	s_or_b32 exec_lo, exec_lo, s3
	v_dual_mov_b32 v123, v35 :: v_dual_lshlrev_b32 v8, 24, v20
	s_delay_alu instid0(VALU_DEP_2) | instskip(SKIP_1) | instid1(VALU_DEP_3)
	v_lshlrev_b32_e32 v20, 20, v122
	v_lshl_add_u32 v21, v21, 23, 0x3c000000
	v_and_b32_e32 v8, 0x80000000, v8
	s_delay_alu instid0(VALU_DEP_1) | instskip(NEXT) | instid1(VALU_DEP_1)
	v_or3_b32 v8, v20, v8, v21
	v_dual_mov_b32 v69, v9 :: v_dual_mov_b32 v68, v8
.LBB270_4128:                           ;   in Loop: Header=BB270_2089 Depth=1
	s_or_b32 exec_lo, exec_lo, s2
.LBB270_4129:                           ;   in Loop: Header=BB270_2089 Depth=1
	s_delay_alu instid0(SALU_CYCLE_1)
	s_or_b32 exec_lo, exec_lo, s1
.LBB270_4130:                           ;   in Loop: Header=BB270_2089 Depth=1
	s_delay_alu instid0(SALU_CYCLE_1) | instskip(NEXT) | instid1(SALU_CYCLE_1)
	s_or_b32 exec_lo, exec_lo, s0
	s_mov_b32 s0, exec_lo
	s_clause 0x1
	scratch_store_b64 off, v[68:69], s32 offset:1984
	scratch_store_b32 off, v96, s32 offset:1964
	v_cmpx_lt_u32_e32 0xffffff, v22
	s_cbranch_execz .LBB270_2087
; %bb.4131:                             ;   in Loop: Header=BB270_2089 Depth=1
	v_lshrrev_b32_e32 v20, 24, v22
	v_dual_mov_b32 v103, s11 :: v_dual_mov_b32 v102, s10
	s_mov_b32 s1, exec_lo
	s_delay_alu instid0(VALU_DEP_2)
	v_cmpx_ne_u32_e32 0x80, v20
	s_cbranch_execz .LBB270_2086
; %bb.4132:                             ;   in Loop: Header=BB270_2089 Depth=1
	s_mov_b32 s12, s10
	v_bfe_u32 v22, v22, 24, 7
	v_dual_mov_b32 v103, s13 :: v_dual_mov_b32 v102, s12
	s_mov_b32 s2, exec_lo
	s_delay_alu instid0(VALU_DEP_2)
	v_cmpx_ne_u32_e32 0x7f, v22
	s_cbranch_execz .LBB270_2085
; %bb.4133:                             ;   in Loop: Header=BB270_2089 Depth=1
	v_and_b32_e32 v8, 7, v20
	v_lshrrev_b32_e32 v21, 3, v22
	v_mov_b32_e32 v103, v9
	s_mov_b32 s3, exec_lo
	s_delay_alu instid0(VALU_DEP_3)
	v_mov_b32_e32 v102, v8
	v_cmpx_gt_u32_e32 8, v22
	s_cbranch_execz .LBB270_2084
; %bb.4134:                             ;   in Loop: Header=BB270_2089 Depth=1
	v_clz_i32_u32_e32 v21, v8
	s_delay_alu instid0(VALU_DEP_1) | instskip(NEXT) | instid1(VALU_DEP_1)
	v_min_u32_e32 v21, 32, v21
	v_subrev_nc_u32_e32 v22, 28, v21
	v_sub_nc_u32_e32 v21, 29, v21
	s_delay_alu instid0(VALU_DEP_2) | instskip(NEXT) | instid1(VALU_DEP_1)
	v_lshlrev_b64 v[68:69], v22, v[8:9]
	v_and_b32_e32 v102, 7, v68
	s_branch .LBB270_2084
.LBB270_4135:
	s_or_b32 exec_lo, exec_lo, s16
.LBB270_4136:
	s_delay_alu instid0(SALU_CYCLE_1)
	s_or_b32 exec_lo, exec_lo, s15
	s_clause 0x2
	scratch_load_b32 v102, off, s32 offset:2952
	scratch_load_b32 v114, off, s32 offset:2936
	;; [unrolled: 1-line block ×3, first 2 shown]
	v_dual_mov_b32 v80, v34 :: v_dual_mov_b32 v81, v29
	s_clause 0x1
	scratch_load_b32 v36, off, s32 offset:1872
	scratch_load_b32 v133, off, s32 offset:2984
	v_dual_mov_b32 v70, v32 :: v_dual_mov_b32 v69, v30
	v_dual_mov_b32 v82, v39 :: v_dual_mov_b32 v71, v33
	;; [unrolled: 1-line block ×3, first 2 shown]
	s_clause 0x6
	scratch_load_b32 v65, off, s32 offset:1820
	scratch_load_b32 v64, off, s32 offset:1816
	;; [unrolled: 1-line block ×7, first 2 shown]
	v_mov_b32_e32 v86, v80
	s_clause 0x4
	scratch_load_b32 v119, off, s32 offset:1756
	scratch_load_b32 v118, off, s32 offset:1752
	;; [unrolled: 1-line block ×5, first 2 shown]
	s_mov_b32 s1, exec_lo
	s_clause 0x4
	scratch_load_b32 v34, off, s32 offset:1864
	scratch_load_b32 v53, off, s32 offset:1840
	;; [unrolled: 1-line block ×5, first 2 shown]
	v_mov_b32_e32 v87, v82
	v_mov_b32_e32 v85, v71
	s_clause 0x4
	scratch_load_b32 v113, off, s32 offset:1776
	scratch_load_b32 v112, off, s32 offset:1772
	;; [unrolled: 1-line block ×5, first 2 shown]
	s_waitcnt vmcnt(26)
	ds_bpermute_b32 v2, v102, v18
	ds_bpermute_b32 v7, v102, v35
	;; [unrolled: 1-line block ×6, first 2 shown]
	s_waitcnt vmcnt(24)
	ds_bpermute_b32 v15, v102, v37
	ds_bpermute_b32 v6, v102, v48
	;; [unrolled: 1-line block ×7, first 2 shown]
	v_mov_b32_e32 v68, v38
	ds_bpermute_b32 v8, v102, v28
	ds_bpermute_b32 v11, v102, v25
	;; [unrolled: 1-line block ×3, first 2 shown]
	s_waitcnt lgkmcnt(14)
	v_dual_add_f32 v2, v18, v2 :: v_dual_add_f32 v7, v35, v7
	scratch_load_b32 v35, off, s32 offset:1868 ; 4-byte Folded Reload
	s_waitcnt lgkmcnt(12)
	v_dual_add_f32 v0, v19, v0 :: v_dual_add_f32 v3, v17, v3
	s_waitcnt lgkmcnt(10)
	v_dual_add_f32 v10, v26, v10 :: v_dual_add_f32 v13, v31, v13
	s_waitcnt lgkmcnt(9)
	v_add_f32_e32 v15, v37, v15
	ds_bpermute_b32 v17, v114, v0
	scratch_load_b32 v37, off, s32 offset:1860 ; 4-byte Folded Reload
	s_waitcnt vmcnt(11)
	ds_bpermute_b32 v32, v102, v34
	ds_bpermute_b32 v16, v102, v36
	ds_bpermute_b32 v19, v114, v2
	s_waitcnt lgkmcnt(11)
	v_dual_add_f32 v6, v48, v6 :: v_dual_add_f32 v9, v27, v9
	ds_bpermute_b32 v27, v114, v10
	ds_bpermute_b32 v33, v114, v13
	scratch_load_b32 v48, off, s32 offset:1844 ; 4-byte Folded Reload
	s_waitcnt lgkmcnt(10)
	v_dual_add_f32 v4, v96, v4 :: v_dual_add_f32 v5, v50, v5
	scratch_load_b32 v50, off, s32 offset:1828 ; 4-byte Folded Reload
	s_waitcnt lgkmcnt(9)
	v_add_f32_e32 v1, v20, v1
	ds_bpermute_b32 v20, v114, v3
	s_waitcnt lgkmcnt(8)
	v_dual_add_f32 v8, v28, v8 :: v_dual_add_f32 v11, v25, v11
	ds_bpermute_b32 v22, v114, v5
	ds_bpermute_b32 v18, v114, v1
	s_waitcnt lgkmcnt(9)
	v_add_f32_e32 v12, v24, v12
	s_waitcnt lgkmcnt(8)
	v_add_f32_e32 v0, v0, v17
	ds_bpermute_b32 v21, v114, v4
	s_waitcnt lgkmcnt(8)
	v_add_f32_e32 v32, v34, v32
	scratch_load_b32 v34, off, s32 offset:1856 ; 4-byte Folded Reload
	s_waitcnt lgkmcnt(6)
	v_add_f32_e32 v17, v2, v19
	ds_bpermute_b32 v2, v133, v0
	v_add_f32_e32 v16, v36, v16
	s_waitcnt lgkmcnt(5)
	v_dual_add_f32 v10, v10, v27 :: v_dual_add_f32 v13, v13, v33
	scratch_load_b32 v36, off, s32 offset:1852 ; 4-byte Folded Reload
	ds_bpermute_b32 v23, v114, v6
	ds_bpermute_b32 v24, v114, v7
	;; [unrolled: 1-line block ×5, first 2 shown]
	s_waitcnt lgkmcnt(8)
	v_dual_mov_b32 v96, v83 :: v_dual_add_f32 v5, v5, v22
	s_waitcnt lgkmcnt(7)
	v_dual_add_f32 v1, v1, v18 :: v_dual_add_f32 v18, v3, v20
	ds_bpermute_b32 v20, v133, v17
	ds_bpermute_b32 v30, v114, v12
	s_waitcnt lgkmcnt(8)
	v_add_f32_e32 v4, v4, v21
	ds_bpermute_b32 v19, v133, v1
	ds_bpermute_b32 v29, v133, v18
	s_waitcnt lgkmcnt(9)
	v_add_f32_e32 v3, v0, v2
	s_waitcnt lgkmcnt(7)
	v_dual_add_f32 v21, v6, v23 :: v_dual_add_f32 v22, v7, v24
	s_waitcnt lgkmcnt(5)
	v_dual_add_f32 v8, v8, v25 :: v_dual_add_f32 v9, v9, v26
	s_waitcnt lgkmcnt(4)
	v_add_f32_e32 v23, v11, v28
	ds_bpermute_b32 v6, v133, v4
	ds_bpermute_b32 v11, v133, v5
	ds_bpermute_b32 v24, v133, v21
	ds_bpermute_b32 v28, v133, v13
	ds_bpermute_b32 v25, v133, v22
	s_waitcnt lgkmcnt(6)
	v_add_f32_e32 v2, v1, v19
	s_waitcnt lgkmcnt(5)
	v_dual_add_f32 v1, v17, v20 :: v_dual_add_f32 v0, v18, v29
	v_add_f32_e32 v17, v12, v30
	ds_bpermute_b32 v12, v133, v8
	ds_bpermute_b32 v18, v133, v9
	;; [unrolled: 1-line block ×6, first 2 shown]
	s_waitcnt lgkmcnt(9)
	v_dual_add_f32 v7, v4, v6 :: v_dual_add_f32 v6, v5, v11
	s_waitcnt lgkmcnt(8)
	v_add_f32_e32 v5, v21, v24
	ds_bpermute_b32 v21, v114, v32
	s_waitcnt lgkmcnt(7)
	v_add_f32_e32 v4, v22, v25
	s_waitcnt lgkmcnt(5)
	v_dual_add_f32 v12, v8, v12 :: v_dual_add_f32 v11, v9, v18
	s_waitcnt lgkmcnt(3)
	v_dual_add_f32 v10, v10, v19 :: v_dual_add_f32 v9, v23, v20
	s_waitcnt vmcnt(5)
	ds_bpermute_b32 v31, v102, v35
	v_dual_add_f32 v14, v97, v14 :: v_dual_mov_b32 v97, v84
	s_waitcnt lgkmcnt(0)
	v_add_f32_e32 v27, v35, v31
	scratch_load_b32 v35, off, s32 offset:1848 ; 4-byte Folded Reload
	ds_bpermute_b32 v29, v114, v14
	ds_bpermute_b32 v31, v114, v16
	v_add_f32_e32 v13, v13, v28
	ds_bpermute_b32 v33, v114, v27
	v_add_f32_e32 v8, v17, v26
	s_waitcnt vmcnt(5)
	ds_bpermute_b32 v17, v102, v37
	v_add_f32_e32 v15, v15, v30
	s_waitcnt vmcnt(2)
	ds_bpermute_b32 v18, v102, v34
	v_add_f32_e32 v21, v32, v21
	ds_bpermute_b32 v28, v102, v53
	ds_bpermute_b32 v30, v102, v51
	s_waitcnt vmcnt(1)
	ds_bpermute_b32 v19, v102, v36
	s_waitcnt lgkmcnt(7)
	v_add_f32_e32 v14, v14, v29
	s_waitcnt lgkmcnt(6)
	v_add_f32_e32 v22, v16, v31
	ds_bpermute_b32 v16, v102, v48
	s_waitcnt lgkmcnt(6)
	v_add_f32_e32 v23, v27, v33
	ds_bpermute_b32 v25, v133, v15
	ds_bpermute_b32 v24, v133, v14
	;; [unrolled: 1-line block ×3, first 2 shown]
	s_waitcnt lgkmcnt(7)
	v_add_f32_e32 v34, v34, v18
	ds_bpermute_b32 v27, v133, v23
	ds_bpermute_b32 v26, v133, v22
	;; [unrolled: 1-line block ×4, first 2 shown]
	s_waitcnt lgkmcnt(8)
	v_add_f32_e32 v19, v36, v19
	s_waitcnt lgkmcnt(7)
	v_add_f32_e32 v48, v48, v16
	;; [unrolled: 2-line block ×3, first 2 shown]
	v_add_f32_e32 v25, v51, v30
	ds_bpermute_b32 v38, v114, v19
	s_waitcnt lgkmcnt(3)
	v_add_f32_e32 v15, v22, v26
	s_waitcnt lgkmcnt(2)
	v_add_f32_e32 v26, v50, v31
	ds_bpermute_b32 v22, v114, v48
	s_waitcnt lgkmcnt(1)
	v_dual_add_f32 v18, v21, v32 :: v_dual_add_f32 v19, v19, v38
	s_waitcnt vmcnt(0)
	ds_bpermute_b32 v20, v102, v35
	v_add_f32_e32 v33, v37, v17
	ds_bpermute_b32 v37, v114, v34
	v_dual_add_f32 v17, v14, v24 :: v_dual_add_f32 v14, v23, v27
	v_dual_add_f32 v23, v53, v28 :: v_dual_add_f32 v24, v52, v29
	ds_bpermute_b32 v28, v114, v25
	ds_bpermute_b32 v29, v114, v26
	s_waitcnt lgkmcnt(4)
	v_add_f32_e32 v48, v48, v22
	ds_bpermute_b32 v21, v114, v23
	ds_bpermute_b32 v27, v114, v24
	;; [unrolled: 1-line block ×3, first 2 shown]
	s_waitcnt lgkmcnt(6)
	v_add_f32_e32 v20, v35, v20
	ds_bpermute_b32 v36, v114, v33
	ds_bpermute_b32 v35, v102, v49
	s_waitcnt lgkmcnt(7)
	v_add_f32_e32 v32, v34, v37
	ds_bpermute_b32 v37, v102, v54
	ds_bpermute_b32 v39, v114, v20
	;; [unrolled: 1-line block ×3, first 2 shown]
	s_waitcnt lgkmcnt(8)
	v_dual_add_f32 v28, v25, v28 :: v_dual_add_f32 v29, v26, v29
	ds_bpermute_b32 v25, v133, v48
	s_waitcnt lgkmcnt(7)
	v_dual_add_f32 v23, v23, v21 :: v_dual_add_f32 v24, v24, v27
	ds_bpermute_b32 v52, v133, v28
	s_waitcnt lgkmcnt(7)
	v_add_f32_e32 v67, v67, v22
	ds_bpermute_b32 v53, v133, v29
	ds_bpermute_b32 v26, v133, v23
	s_waitcnt lgkmcnt(8)
	v_add_f32_e32 v31, v33, v36
	s_waitcnt lgkmcnt(7)
	v_add_f32_e32 v30, v49, v35
	ds_bpermute_b32 v35, v102, v64
	ds_bpermute_b32 v36, v102, v55
	s_waitcnt lgkmcnt(7)
	v_add_f32_e32 v33, v20, v39
	ds_bpermute_b32 v38, v133, v31
	ds_bpermute_b32 v20, v114, v30
	;; [unrolled: 1-line block ×5, first 2 shown]
	v_add_f32_e32 v37, v54, v37
	ds_bpermute_b32 v51, v133, v24
	s_waitcnt lgkmcnt(11)
	v_dual_add_f32 v34, v65, v34 :: v_dual_add_f32 v27, v48, v25
	s_waitcnt lgkmcnt(8)
	v_dual_add_f32 v26, v23, v26 :: v_dual_add_f32 v23, v29, v53
	ds_bpermute_b32 v66, v114, v37
	ds_bpermute_b32 v29, v102, v99
	ds_bpermute_b32 v53, v102, v71
	s_waitcnt lgkmcnt(9)
	v_dual_add_f32 v35, v64, v35 :: v_dual_add_f32 v36, v55, v36
	s_waitcnt lgkmcnt(8)
	v_add_f32_e32 v22, v31, v38
	s_waitcnt lgkmcnt(7)
	v_add_f32_e32 v30, v30, v20
	ds_bpermute_b32 v64, v114, v35
	s_waitcnt lgkmcnt(7)
	v_add_f32_e32 v21, v32, v39
	ds_bpermute_b32 v55, v114, v34
	s_waitcnt lgkmcnt(5)
	v_dual_add_f32 v20, v19, v49 :: v_dual_add_f32 v25, v24, v51
	ds_bpermute_b32 v54, v133, v30
	v_add_f32_e32 v19, v33, v50
	ds_bpermute_b32 v65, v114, v36
	v_add_f32_e32 v24, v28, v52
	ds_bpermute_b32 v31, v114, v67
	ds_bpermute_b32 v33, v102, v84
	;; [unrolled: 1-line block ×3, first 2 shown]
	v_dual_mov_b32 v84, v70 :: v_dual_mov_b32 v83, v69
	ds_bpermute_b32 v52, v102, v80
	s_waitcnt lgkmcnt(5)
	v_add_f32_e32 v28, v30, v54
	v_add_f32_e32 v30, v34, v55
	s_waitcnt lgkmcnt(4)
	v_dual_add_f32 v34, v35, v64 :: v_dual_add_f32 v35, v36, v65
	s_waitcnt lgkmcnt(3)
	v_dual_add_f32 v36, v37, v66 :: v_dual_add_f32 v51, v67, v31
	ds_bpermute_b32 v37, v102, v82
	s_waitcnt lgkmcnt(2)
	v_dual_add_f32 v67, v97, v33 :: v_dual_add_f32 v38, v96, v38
	scratch_load_b32 v97, off, s32 offset:1792 ; 4-byte Folded Reload
	ds_bpermute_b32 v32, v102, v98
	ds_bpermute_b32 v48, v133, v34
	;; [unrolled: 1-line block ×7, first 2 shown]
	v_mov_b32_e32 v82, v68
	ds_bpermute_b32 v68, v102, v68
	v_add_f32_e32 v65, v99, v29
	scratch_load_b32 v96, off, s32 offset:1788 ; 4-byte Folded Reload
	ds_bpermute_b32 v49, v133, v35
	ds_bpermute_b32 v71, v114, v67
	;; [unrolled: 1-line block ×4, first 2 shown]
	s_waitcnt lgkmcnt(12)
	v_add_f32_e32 v37, v87, v37
	scratch_load_b32 v87, off, s32 offset:1784 ; 4-byte Folded Reload
	s_waitcnt lgkmcnt(11)
	v_add_f32_e32 v66, v98, v32
	s_waitcnt lgkmcnt(10)
	v_add_f32_e32 v31, v34, v48
	ds_bpermute_b32 v34, v114, v37
	s_waitcnt lgkmcnt(9)
	v_dual_add_f32 v32, v30, v39 :: v_dual_add_f32 v29, v36, v50
	s_waitcnt lgkmcnt(8)
	v_dual_add_f32 v36, v85, v53 :: v_dual_add_f32 v39, v84, v54
	s_waitcnt lgkmcnt(5)
	v_dual_add_f32 v48, v83, v55 :: v_dual_add_f32 v53, v82, v68
	v_add_f32_e32 v33, v51, v64
	ds_bpermute_b32 v70, v114, v66
	ds_bpermute_b32 v51, v114, v39
	s_waitcnt lgkmcnt(6)
	v_dual_add_f32 v30, v35, v49 :: v_dual_add_f32 v35, v86, v52
	ds_bpermute_b32 v50, v114, v36
	ds_bpermute_b32 v52, v114, v48
	s_waitcnt lgkmcnt(5)
	v_add_f32_e32 v54, v65, v69
	v_add_f32_e32 v64, v67, v71
	ds_bpermute_b32 v65, v114, v53
	ds_bpermute_b32 v49, v114, v35
	v_add_f32_e32 v38, v38, v80
	v_mov_b32_e32 v98, v81
	s_waitcnt lgkmcnt(6)
	v_add_f32_e32 v82, v37, v34
	scratch_load_b32 v37, off, s32 offset:1780 ; 4-byte Folded Reload
	ds_bpermute_b32 v80, v133, v64
	s_waitcnt lgkmcnt(6)
	v_add_f32_e32 v55, v66, v70
	ds_bpermute_b32 v66, v102, v81
	ds_bpermute_b32 v70, v133, v54
	s_waitcnt lgkmcnt(7)
	v_add_f32_e32 v39, v39, v51
	s_waitcnt lgkmcnt(6)
	v_add_f32_e32 v83, v36, v50
	ds_bpermute_b32 v71, v133, v55
	s_waitcnt lgkmcnt(5)
	v_add_f32_e32 v53, v53, v65
	s_waitcnt lgkmcnt(4)
	v_add_f32_e32 v49, v35, v49
	ds_bpermute_b32 v81, v133, v38
	ds_bpermute_b32 v84, v133, v83
	ds_bpermute_b32 v85, v133, v39
	s_waitcnt lgkmcnt(3)
	v_add_f32_e32 v36, v55, v71
	ds_bpermute_b32 v55, v102, v113
	ds_bpermute_b32 v71, v102, v101
	s_waitcnt vmcnt(3)
	ds_bpermute_b32 v67, v102, v97
	v_add_f32_e32 v51, v48, v52
	ds_bpermute_b32 v48, v133, v82
	ds_bpermute_b32 v52, v133, v49
	s_waitcnt vmcnt(2)
	ds_bpermute_b32 v68, v102, v96
	s_waitcnt vmcnt(1)
	ds_bpermute_b32 v69, v102, v87
	s_waitcnt lgkmcnt(4)
	v_dual_add_f32 v65, v98, v66 :: v_dual_add_f32 v66, v97, v67
	ds_bpermute_b32 v86, v133, v51
	v_add_f32_e32 v35, v64, v80
	ds_bpermute_b32 v64, v102, v112
	ds_bpermute_b32 v80, v102, v100
	s_waitcnt lgkmcnt(6)
	v_add_f32_e32 v50, v82, v48
	v_dual_add_f32 v48, v83, v84 :: v_dual_add_f32 v71, v101, v71
	ds_bpermute_b32 v101, v102, v116
	s_waitcnt lgkmcnt(5)
	v_add_f32_e32 v67, v96, v68
	ds_bpermute_b32 v96, v114, v66
	s_waitcnt lgkmcnt(5)
	v_add_f32_e32 v68, v87, v69
	ds_bpermute_b32 v69, v133, v53
	ds_bpermute_b32 v87, v114, v65
	s_waitcnt lgkmcnt(5)
	v_dual_add_f32 v39, v39, v85 :: v_dual_add_f32 v64, v112, v64
	s_waitcnt vmcnt(0)
	ds_bpermute_b32 v34, v102, v37
	scratch_load_b32 v112, off, s32 offset:1732 ; 4-byte Folded Reload
	ds_bpermute_b32 v98, v114, v68
	s_waitcnt lgkmcnt(6)
	v_add_f32_e32 v80, v100, v80
	ds_bpermute_b32 v100, v102, v117
	ds_bpermute_b32 v85, v114, v64
	s_waitcnt lgkmcnt(3)
	v_add_f32_e32 v99, v37, v34
	v_add_f32_e32 v37, v54, v70
	ds_bpermute_b32 v70, v102, v103
	v_add_f32_e32 v34, v38, v81
	v_dual_add_f32 v38, v51, v86 :: v_dual_add_f32 v51, v53, v69
	v_add_f32_e32 v83, v113, v55
	scratch_load_b32 v113, off, s32 offset:1736 ; 4-byte Folded Reload
	ds_bpermute_b32 v97, v114, v67
	ds_bpermute_b32 v54, v114, v99
	v_add_f32_e32 v49, v49, v52
	v_dual_add_f32 v52, v65, v87 :: v_dual_add_f32 v65, v66, v96
	ds_bpermute_b32 v87, v114, v71
	ds_bpermute_b32 v96, v114, v80
	s_waitcnt lgkmcnt(5)
	v_add_f32_e32 v64, v64, v85
	ds_bpermute_b32 v53, v133, v52
	s_waitcnt lgkmcnt(5)
	v_add_f32_e32 v70, v103, v70
	scratch_load_b32 v103, off, s32 offset:1728 ; 4-byte Folded Reload
	ds_bpermute_b32 v84, v114, v83
	s_waitcnt vmcnt(0) lgkmcnt(0)
	s_waitcnt_vscnt null, 0x0
	s_barrier
	ds_bpermute_b32 v86, v114, v70
	v_add_f32_e32 v66, v67, v97
	v_add_f32_e32 v82, v99, v54
	;; [unrolled: 1-line block ×3, first 2 shown]
	ds_bpermute_b32 v68, v133, v65
	ds_bpermute_b32 v98, v102, v119
	;; [unrolled: 1-line block ×4, first 2 shown]
	v_add_f32_e32 v71, v71, v87
	v_add_f32_e32 v55, v52, v53
	ds_bpermute_b32 v97, v102, v123
	s_waitcnt lgkmcnt(0)
	buffer_gl0_inv
	s_load_b32 s0, s[8:9], 0x0
	v_add_f32_e32 v80, v80, v96
	v_add_f32_e32 v96, v116, v101
	ds_bpermute_b32 v116, v133, v64
	v_add_f32_e32 v87, v117, v100
	v_add_f32_e32 v83, v83, v84
	ds_bpermute_b32 v101, v114, v96
	v_add_f32_e32 v70, v70, v86
	ds_bpermute_b32 v100, v114, v87
	;; [unrolled: 2-line block ×4, first 2 shown]
	v_dual_add_f32 v85, v119, v98 :: v_dual_add_f32 v86, v118, v99
	ds_bpermute_b32 v65, v133, v82
	ds_bpermute_b32 v118, v133, v71
	;; [unrolled: 1-line block ×6, first 2 shown]
	s_waitcnt lgkmcnt(0)
	v_add_f32_e32 v96, v96, v101
	ds_bpermute_b32 v130, v133, v96
	v_add_f32_e32 v52, v67, v81
	ds_bpermute_b32 v81, v102, v128
	;; [unrolled: 2-line block ×3, first 2 shown]
	v_dual_add_f32 v98, v85, v98 :: v_dual_add_f32 v99, v86, v99
	v_add_f32_e32 v86, v82, v65
	v_add_f32_e32 v82, v71, v118
	ds_bpermute_b32 v101, v133, v98
	s_waitcnt lgkmcnt(2)
	v_add_f32_e32 v81, v128, v81
	ds_bpermute_b32 v128, v133, v99
	s_waitcnt lgkmcnt(2)
	v_add_f32_e32 v85, v83, v115
	v_add_f32_e32 v83, v70, v117
	s_waitcnt lgkmcnt(1)
	v_add_f32_e32 v71, v98, v101
	ds_bpermute_b32 v68, v102, v112
	ds_bpermute_b32 v67, v102, v113
	v_add_f32_e32 v84, v123, v97
	ds_bpermute_b32 v69, v102, v103
	ds_bpermute_b32 v102, v114, v66
	s_waitcnt lgkmcnt(3)
	v_add_f32_e32 v68, v112, v68
	v_add_f32_e32 v87, v87, v100
	s_waitcnt lgkmcnt(2)
	v_add_f32_e32 v67, v113, v67
	ds_bpermute_b32 v97, v114, v84
	s_waitcnt lgkmcnt(1)
	v_dual_add_f32 v69, v103, v69 :: v_dual_add_f32 v66, v66, v102
	ds_bpermute_b32 v103, v114, v67
	ds_bpermute_b32 v112, v114, v68
	;; [unrolled: 1-line block ×4, first 2 shown]
	s_waitcnt lgkmcnt(4)
	v_add_f32_e32 v97, v84, v97
	ds_bpermute_b32 v114, v114, v81
	v_add_f32_e32 v84, v64, v116
	ds_bpermute_b32 v100, v133, v97
	s_waitcnt lgkmcnt(4)
	v_dual_add_f32 v102, v67, v103 :: v_dual_add_f32 v103, v68, v112
	v_add_f32_e32 v68, v96, v130
	s_waitcnt lgkmcnt(2)
	v_add_f32_e32 v112, v69, v113
	v_add_f32_e32 v69, v87, v129
	s_clause 0x1
	scratch_load_b32 v87, off, s32 offset:2344
	scratch_load_b32 v96, off, s32 offset:2968
	s_waitcnt lgkmcnt(1)
	v_add_f32_e32 v113, v81, v114
	s_waitcnt lgkmcnt(0)
	v_dual_add_f32 v81, v80, v119 :: v_dual_add_f32 v80, v97, v100
	ds_bpermute_b32 v67, v133, v66
	ds_bpermute_b32 v114, v133, v102
	;; [unrolled: 1-line block ×5, first 2 shown]
	s_waitcnt lgkmcnt(4)
	v_dual_add_f32 v70, v99, v128 :: v_dual_add_f32 v67, v66, v67
	s_waitcnt lgkmcnt(2)
	v_dual_add_f32 v66, v102, v114 :: v_dual_add_f32 v65, v103, v131
	s_waitcnt vmcnt(0)
	v_cmp_eq_u32_e32 vcc_lo, 0, v96
	scratch_load_b32 v96, off, s32 offset:2340 ; 4-byte Folded Reload
	s_waitcnt lgkmcnt(1)
	v_add_f32_e32 v64, v112, v132
	s_waitcnt lgkmcnt(0)
	v_dual_add_f32 v87, v113, v133 :: v_dual_and_b32 v98, 0x3c0, v87
	s_waitcnt vmcnt(0)
	v_lshrrev_b32_e32 v97, 3, v96
	scratch_load_b32 v96, off, s32 offset:3096 ; 4-byte Folded Reload
	s_waitcnt vmcnt(0)
	v_lshl_add_u32 v96, v96, 10, s0
	v_cmpx_eq_u32_e32 64, v98
	s_cbranch_execz .LBB270_4139
; %bb.4137:
	s_and_b32 exec_lo, exec_lo, vcc_lo
	s_cbranch_execz .LBB270_4139
; %bb.4138:
	v_lshlrev_b32_e32 v98, 2, v97
	s_delay_alu instid0(VALU_DEP_1)
	v_add3_u32 v98, v96, v98, 0xfffff800
	ds_store_2addr_b32 v98, v3, v2 offset1:4
	ds_store_2addr_b32 v98, v1, v0 offset0:8 offset1:12
	ds_store_2addr_b32 v98, v7, v6 offset0:16 offset1:20
	;; [unrolled: 1-line block ×31, first 2 shown]
.LBB270_4139:
	s_or_b32 exec_lo, exec_lo, s1
	scratch_load_b32 v98, off, s32 offset:2344 ; 4-byte Folded Reload
	v_lshl_add_u32 v96, v97, 2, v96
	s_mov_b32 s1, exec_lo
	s_waitcnt vmcnt(0) lgkmcnt(0)
	s_barrier
	buffer_gl0_inv
	v_and_b32_e32 v98, 0x3c7, v98
	s_delay_alu instid0(VALU_DEP_1)
	v_cmpx_eq_u32_e32 0, v98
	s_cbranch_execz .LBB270_4141
; %bb.4140:
	ds_load_2addr_b32 v[98:99], v96 offset1:4
	ds_load_2addr_b32 v[100:101], v96 offset0:8 offset1:12
	ds_load_2addr_b32 v[102:103], v96 offset0:16 offset1:20
	ds_load_2addr_b32 v[112:113], v96 offset0:24 offset1:28
	ds_load_2addr_b32 v[114:115], v96 offset0:32 offset1:36
	ds_load_2addr_b32 v[116:117], v96 offset0:40 offset1:44
	ds_load_2addr_b32 v[118:119], v96 offset0:48 offset1:52
	ds_load_2addr_b32 v[128:129], v96 offset0:56 offset1:60
	ds_load_2addr_b32 v[130:131], v96 offset0:64 offset1:68
	ds_load_2addr_b32 v[132:133], v96 offset0:72 offset1:76
	ds_load_2addr_b32 v[134:135], v96 offset0:80 offset1:84
	ds_load_2addr_b32 v[144:145], v96 offset0:88 offset1:92
	s_waitcnt lgkmcnt(11)
	v_dual_add_f32 v3, v98, v3 :: v_dual_add_f32 v2, v99, v2
	s_waitcnt lgkmcnt(10)
	v_dual_add_f32 v1, v100, v1 :: v_dual_add_f32 v0, v101, v0
	ds_load_2addr_b32 v[98:99], v96 offset0:96 offset1:100
	ds_load_2addr_b32 v[100:101], v96 offset0:104 offset1:108
	s_waitcnt lgkmcnt(11)
	v_dual_add_f32 v7, v102, v7 :: v_dual_add_f32 v6, v103, v6
	s_waitcnt lgkmcnt(10)
	v_dual_add_f32 v5, v112, v5 :: v_dual_add_f32 v4, v113, v4
	;; [unrolled: 2-line block ×5, first 2 shown]
	ds_load_2addr_b32 v[102:103], v96 offset0:112 offset1:116
	ds_load_2addr_b32 v[112:113], v96 offset0:120 offset1:124
	ds_load_2addr_b32 v[114:115], v96 offset0:128 offset1:132
	ds_load_2addr_b32 v[116:117], v96 offset0:136 offset1:140
	ds_load_2addr_b32 v[118:119], v96 offset0:144 offset1:148
	s_waitcnt lgkmcnt(11)
	v_dual_add_f32 v17, v128, v17 :: v_dual_add_f32 v16, v129, v16
	s_waitcnt lgkmcnt(10)
	v_dual_add_f32 v15, v130, v15 :: v_dual_add_f32 v14, v131, v14
	;; [unrolled: 2-line block ×3, first 2 shown]
	ds_load_2addr_b32 v[98:99], v96 offset0:152 offset1:156
	s_waitcnt lgkmcnt(6)
	v_dual_add_f32 v24, v100, v24 :: v_dual_add_f32 v23, v101, v23
	ds_load_2addr_b32 v[100:101], v96 offset0:160 offset1:164
	v_dual_add_f32 v18, v132, v18 :: v_dual_add_f32 v21, v134, v21
	v_dual_add_f32 v22, v133, v22 :: v_dual_add_f32 v19, v144, v19
	;; [unrolled: 1-line block ×3, first 2 shown]
	s_waitcnt lgkmcnt(5)
	v_dual_add_f32 v28, v102, v28 :: v_dual_add_f32 v31, v112, v31
	s_waitcnt lgkmcnt(4)
	v_dual_add_f32 v32, v103, v32 :: v_dual_add_f32 v29, v114, v29
	v_dual_add_f32 v30, v113, v30 :: v_dual_add_f32 v33, v115, v33
	ds_load_2addr_b32 v[102:103], v96 offset0:168 offset1:172
	ds_load_2addr_b32 v[112:113], v96 offset0:176 offset1:180
	s_waitcnt lgkmcnt(5)
	v_dual_add_f32 v37, v116, v37 :: v_dual_add_f32 v36, v117, v36
	ds_load_2addr_b32 v[114:115], v96 offset0:184 offset1:188
	ds_load_2addr_b32 v[116:117], v96 offset0:192 offset1:196
	s_waitcnt lgkmcnt(6)
	;; [unrolled: 4-line block ×4, first 2 shown]
	v_dual_add_f32 v48, v100, v48 :: v_dual_add_f32 v39, v101, v39
	ds_load_2addr_b32 v[132:133], v96 offset0:232 offset1:236
	ds_load_2addr_b32 v[100:101], v96 offset0:240 offset1:244
	;; [unrolled: 1-line block ×3, first 2 shown]
	s_waitcnt lgkmcnt(10)
	v_dual_add_f32 v38, v102, v38 :: v_dual_add_f32 v51, v103, v51
	s_waitcnt lgkmcnt(9)
	v_dual_add_f32 v55, v112, v55 :: v_dual_add_f32 v54, v113, v54
	;; [unrolled: 2-line block ×11, first 2 shown]
.LBB270_4141:
	s_or_b32 exec_lo, exec_lo, s1
	scratch_load_b32 v98, off, s32 offset:2344 ; 4-byte Folded Reload
	s_mov_b32 s1, exec_lo
	s_waitcnt vmcnt(0)
	s_barrier
	buffer_gl0_inv
	v_and_b32_e32 v98, 0x3e7, v98
	s_delay_alu instid0(VALU_DEP_1)
	v_cmpx_eq_u32_e32 32, v98
	s_cbranch_execz .LBB270_4143
; %bb.4142:
	s_load_b32 s0, s[8:9], 0x0
	s_waitcnt lgkmcnt(0)
	v_lshl_add_u32 v97, v97, 2, s0
	ds_store_2addr_b32 v97, v3, v2 offset1:4
	ds_store_2addr_b32 v97, v1, v0 offset0:8 offset1:12
	ds_store_2addr_b32 v97, v7, v6 offset0:16 offset1:20
	;; [unrolled: 1-line block ×31, first 2 shown]
.LBB270_4143:
	s_or_b32 exec_lo, exec_lo, s1
	s_delay_alu instid0(SALU_CYCLE_1)
	s_mov_b32 s1, exec_lo
	s_waitcnt lgkmcnt(0)
	s_barrier
	buffer_gl0_inv
	v_cmpx_eq_u32_e32 0, v98
	s_cbranch_execz .LBB270_4145
; %bb.4144:
	ds_load_2addr_b32 v[97:98], v96 offset1:4
	ds_load_2addr_b32 v[99:100], v96 offset0:8 offset1:12
	ds_load_2addr_b32 v[101:102], v96 offset0:16 offset1:20
	;; [unrolled: 1-line block ×11, first 2 shown]
	s_waitcnt lgkmcnt(11)
	v_dual_add_f32 v3, v97, v3 :: v_dual_add_f32 v2, v98, v2
	s_waitcnt lgkmcnt(10)
	v_dual_add_f32 v1, v99, v1 :: v_dual_add_f32 v0, v100, v0
	ds_load_2addr_b32 v[97:98], v96 offset0:96 offset1:100
	ds_load_2addr_b32 v[99:100], v96 offset0:104 offset1:108
	s_waitcnt lgkmcnt(11)
	v_dual_add_f32 v7, v101, v7 :: v_dual_add_f32 v6, v102, v6
	s_waitcnt lgkmcnt(10)
	v_dual_add_f32 v5, v112, v5 :: v_dual_add_f32 v4, v113, v4
	;; [unrolled: 2-line block ×5, first 2 shown]
	ds_load_2addr_b32 v[101:102], v96 offset0:112 offset1:116
	ds_load_2addr_b32 v[112:113], v96 offset0:120 offset1:124
	;; [unrolled: 1-line block ×5, first 2 shown]
	s_waitcnt lgkmcnt(11)
	v_dual_add_f32 v17, v128, v17 :: v_dual_add_f32 v16, v129, v16
	s_waitcnt lgkmcnt(10)
	v_dual_add_f32 v15, v130, v15 :: v_dual_add_f32 v14, v131, v14
	;; [unrolled: 2-line block ×3, first 2 shown]
	ds_load_2addr_b32 v[97:98], v96 offset0:152 offset1:156
	s_waitcnt lgkmcnt(6)
	v_dual_add_f32 v24, v99, v24 :: v_dual_add_f32 v23, v100, v23
	ds_load_2addr_b32 v[99:100], v96 offset0:160 offset1:164
	v_dual_add_f32 v18, v132, v18 :: v_dual_add_f32 v21, v134, v21
	v_dual_add_f32 v22, v133, v22 :: v_dual_add_f32 v19, v144, v19
	;; [unrolled: 1-line block ×3, first 2 shown]
	s_waitcnt lgkmcnt(5)
	v_dual_add_f32 v28, v101, v28 :: v_dual_add_f32 v31, v112, v31
	s_waitcnt lgkmcnt(4)
	v_dual_add_f32 v32, v102, v32 :: v_dual_add_f32 v33, v115, v33
	v_dual_add_f32 v30, v113, v30 :: v_dual_add_f32 v29, v114, v29
	ds_load_2addr_b32 v[101:102], v96 offset0:168 offset1:172
	ds_load_2addr_b32 v[112:113], v96 offset0:176 offset1:180
	s_waitcnt lgkmcnt(5)
	v_dual_add_f32 v37, v116, v37 :: v_dual_add_f32 v36, v117, v36
	ds_load_2addr_b32 v[114:115], v96 offset0:184 offset1:188
	ds_load_2addr_b32 v[116:117], v96 offset0:192 offset1:196
	s_waitcnt lgkmcnt(6)
	v_dual_add_f32 v35, v118, v35 :: v_dual_add_f32 v34, v119, v34
	ds_load_2addr_b32 v[128:129], v96 offset0:200 offset1:204
	ds_load_2addr_b32 v[118:119], v96 offset0:208 offset1:212
	s_waitcnt lgkmcnt(7)
	v_dual_add_f32 v50, v97, v50 :: v_dual_add_f32 v49, v98, v49
	ds_load_2addr_b32 v[130:131], v96 offset0:216 offset1:220
	ds_load_2addr_b32 v[97:98], v96 offset0:224 offset1:228
	s_waitcnt lgkmcnt(8)
	v_dual_add_f32 v48, v99, v48 :: v_dual_add_f32 v39, v100, v39
	ds_load_2addr_b32 v[132:133], v96 offset0:232 offset1:236
	ds_load_2addr_b32 v[99:100], v96 offset0:240 offset1:244
	;; [unrolled: 1-line block ×3, first 2 shown]
	s_waitcnt lgkmcnt(10)
	v_dual_add_f32 v38, v101, v38 :: v_dual_add_f32 v51, v102, v51
	s_waitcnt lgkmcnt(9)
	v_dual_add_f32 v55, v112, v55 :: v_dual_add_f32 v54, v113, v54
	;; [unrolled: 2-line block ×11, first 2 shown]
.LBB270_4145:
	s_or_b32 exec_lo, exec_lo, s1
	scratch_load_b32 v96, off, s32 offset:2344 ; 4-byte Folded Reload
	s_waitcnt vmcnt(0)
	s_barrier
	buffer_gl0_inv
	v_cmp_gt_u32_e64 s0, 32, v96
	s_delay_alu instid0(VALU_DEP_1)
	s_and_b32 exec_lo, exec_lo, s0
	s_cbranch_execz .LBB270_4148
; %bb.4146:
	s_and_b32 exec_lo, exec_lo, vcc_lo
	s_cbranch_execz .LBB270_4148
; %bb.4147:
	s_clause 0x2
	scratch_load_b32 v96, off, s32 offset:2344
	scratch_load_b32 v98, off, s32 offset:3128
	;; [unrolled: 1-line block ×3, first 2 shown]
	s_mul_i32 s1, s7, s4
	s_mul_i32 s0, s6, s7
	;; [unrolled: 1-line block ×3, first 2 shown]
	s_lshl_b32 s2, s14, 8
	s_lshl_b32 s6, s1, 8
	s_ashr_i32 s1, s0, 31
	s_ashr_i32 s3, s2, 31
	;; [unrolled: 1-line block ×3, first 2 shown]
	s_lshl_b64 s[0:1], s[0:1], 2
	s_lshl_b64 s[2:3], s[2:3], 2
	;; [unrolled: 1-line block ×3, first 2 shown]
	s_add_u32 s0, s2, s0
	s_addc_u32 s1, s3, s1
	s_add_u32 s0, s0, s6
	s_addc_u32 s1, s1, s7
	s_waitcnt vmcnt(2)
	v_lshrrev_b32_e32 v96, 1, v96
	s_waitcnt vmcnt(0)
	v_add_co_u32 v97, vcc_lo, s0, v97
	v_add_co_ci_u32_e32 v98, vcc_lo, s1, v98, vcc_lo
	s_delay_alu instid0(VALU_DEP_3) | instskip(NEXT) | instid1(VALU_DEP_1)
	v_and_b32_e32 v96, 0x1fc, v96
	v_add_co_u32 v96, vcc_lo, v97, v96
	s_delay_alu instid0(VALU_DEP_3)
	v_add_co_ci_u32_e32 v97, vcc_lo, 0, v98, vcc_lo
	s_clause 0x1f
	flat_store_b32 v[96:97], v3
	flat_store_b32 v[96:97], v2 offset:16
	flat_store_b32 v[96:97], v1 offset:32
	;; [unrolled: 1-line block ×31, first 2 shown]
	s_clause 0x1f
	flat_store_b32 v[96:97], v29 offset:512
	flat_store_b32 v[96:97], v33 offset:528
	;; [unrolled: 1-line block ×32, first 2 shown]
.LBB270_4148:
	s_or_b32 exec_lo, exec_lo, s5
	s_clause 0x1f
	scratch_load_b32 v191, off, s32 offset:8
	scratch_load_b32 v190, off, s32 offset:12
	;; [unrolled: 1-line block ×32, first 2 shown]
	s_clause 0x1f
	scratch_load_b32 v127, off, s32 offset:136
	scratch_load_b32 v126, off, s32 offset:140
	;; [unrolled: 1-line block ×32, first 2 shown]
	s_clause 0xf
	scratch_load_b32 v63, off, s32 offset:264
	scratch_load_b32 v62, off, s32 offset:268
	;; [unrolled: 1-line block ×16, first 2 shown]
	s_waitcnt vmcnt(0) lgkmcnt(0)
	s_setpc_b64 s[30:31]
.Lfunc_end270:
	.size	_ZN4vllm22paged_attention_kernelIfhLi256ELi32ELi128ELNS_18Fp8KVCacheDataTypeE1ELb1ELi512EEEvPfS2_PT_PKS3_PKT0_S9_ifPKiSB_iPKfiiiSD_SD_iiiii, .Lfunc_end270-_ZN4vllm22paged_attention_kernelIfhLi256ELi32ELi128ELNS_18Fp8KVCacheDataTypeE1ELb1ELi512EEEvPfS2_PT_PKS3_PKT0_S9_ifPKiSB_iPKfiiiSD_SD_iiiii
                                        ; -- End function
	.section	.AMDGPU.csdata,"",@progbits
; Function info:
; codeLenInByte = 163428
; NumSgprs: 35
; NumVgprs: 192
; ScratchSize: 3176
; MemoryBound: 0
	.section	.text._ZN4vllm25paged_attention_v2_kernelIfhLi256ELi32ELi128ELNS_18Fp8KVCacheDataTypeE1ELb1ELi512EEEvPfS2_PT_PKS3_PKT0_S9_ifPKiSB_iPKfiiiSD_SD_iiiii,"axG",@progbits,_ZN4vllm25paged_attention_v2_kernelIfhLi256ELi32ELi128ELNS_18Fp8KVCacheDataTypeE1ELb1ELi512EEEvPfS2_PT_PKS3_PKT0_S9_ifPKiSB_iPKfiiiSD_SD_iiiii,comdat
	.protected	_ZN4vllm25paged_attention_v2_kernelIfhLi256ELi32ELi128ELNS_18Fp8KVCacheDataTypeE1ELb1ELi512EEEvPfS2_PT_PKS3_PKT0_S9_ifPKiSB_iPKfiiiSD_SD_iiiii ; -- Begin function _ZN4vllm25paged_attention_v2_kernelIfhLi256ELi32ELi128ELNS_18Fp8KVCacheDataTypeE1ELb1ELi512EEEvPfS2_PT_PKS3_PKT0_S9_ifPKiSB_iPKfiiiSD_SD_iiiii
	.globl	_ZN4vllm25paged_attention_v2_kernelIfhLi256ELi32ELi128ELNS_18Fp8KVCacheDataTypeE1ELb1ELi512EEEvPfS2_PT_PKS3_PKT0_S9_ifPKiSB_iPKfiiiSD_SD_iiiii
	.p2align	8
	.type	_ZN4vllm25paged_attention_v2_kernelIfhLi256ELi32ELi128ELNS_18Fp8KVCacheDataTypeE1ELb1ELi512EEEvPfS2_PT_PKS3_PKT0_S9_ifPKiSB_iPKfiiiSD_SD_iiiii,@function
_ZN4vllm25paged_attention_v2_kernelIfhLi256ELi32ELi128ELNS_18Fp8KVCacheDataTypeE1ELb1ELi512EEEvPfS2_PT_PKS3_PKT0_S9_ifPKiSB_iPKfiiiSD_SD_iiiii: ; @_ZN4vllm25paged_attention_v2_kernelIfhLi256ELi32ELi128ELNS_18Fp8KVCacheDataTypeE1ELb1ELi512EEEvPfS2_PT_PKS3_PKT0_S9_ifPKiSB_iPKfiiiSD_SD_iiiii
; %bb.0:
	s_mov_b32 s12, s13
	s_clause 0x7
	s_load_b128 s[4:7], s[0:1], 0x78
	s_load_b32 s8, s[0:1], 0x88
	s_load_b256 s[24:31], s[0:1], 0x0
	s_load_b256 s[36:43], s[0:1], 0x20
	s_load_b64 s[2:3], s[0:1], 0x40
	s_load_b64 s[10:11], s[0:1], 0x50
	s_load_b32 s13, s[0:1], 0x48
	s_load_b256 s[16:23], s[0:1], 0x58
	s_mov_b32 s32, 0
	v_mov_b32_e32 v31, v0
	s_waitcnt lgkmcnt(0)
	v_dual_mov_b32 v1, s7 :: v_dual_mov_b32 v2, s8
	v_dual_mov_b32 v0, s24 :: v_dual_mov_b32 v3, s27
	;; [unrolled: 1-line block ×3, first 2 shown]
	v_mov_b32_e32 v6, s30
	scratch_store_b64 off, v[1:2], s32
	v_dual_mov_b32 v1, s25 :: v_dual_mov_b32 v2, s26
	v_dual_mov_b32 v7, s31 :: v_dual_mov_b32 v8, s36
	;; [unrolled: 1-line block ×13, first 2 shown]
	s_add_u32 s8, s0, 0x90
	s_addc_u32 s9, s1, 0
	s_mov_b32 s13, s14
	s_mov_b32 s14, s15
	s_movk_i32 s15, 0x4a
	s_getpc_b64 s[0:1]
	s_add_u32 s0, s0, _ZN4vllm22paged_attention_kernelIfhLi256ELi32ELi128ELNS_18Fp8KVCacheDataTypeE1ELb1ELi512EEEvPfS2_PT_PKS3_PKT0_S9_ifPKiSB_iPKfiiiSD_SD_iiiii@rel32@lo+4
	s_addc_u32 s1, s1, _ZN4vllm22paged_attention_kernelIfhLi256ELi32ELi128ELNS_18Fp8KVCacheDataTypeE1ELb1ELi512EEEvPfS2_PT_PKS3_PKT0_S9_ifPKiSB_iPKfiiiSD_SD_iiiii@rel32@hi+12
	s_delay_alu instid0(SALU_CYCLE_1)
	s_swappc_b64 s[30:31], s[0:1]
	s_endpgm
	.section	.rodata,"a",@progbits
	.p2align	6, 0x0
	.amdhsa_kernel _ZN4vllm25paged_attention_v2_kernelIfhLi256ELi32ELi128ELNS_18Fp8KVCacheDataTypeE1ELb1ELi512EEEvPfS2_PT_PKS3_PKT0_S9_ifPKiSB_iPKfiiiSD_SD_iiiii
		.amdhsa_group_segment_fixed_size 1056
		.amdhsa_private_segment_fixed_size 3176
		.amdhsa_kernarg_size 400
		.amdhsa_user_sgpr_count 13
		.amdhsa_user_sgpr_dispatch_ptr 0
		.amdhsa_user_sgpr_queue_ptr 0
		.amdhsa_user_sgpr_kernarg_segment_ptr 1
		.amdhsa_user_sgpr_dispatch_id 0
		.amdhsa_user_sgpr_private_segment_size 0
		.amdhsa_wavefront_size32 1
		.amdhsa_uses_dynamic_stack 0
		.amdhsa_enable_private_segment 1
		.amdhsa_system_sgpr_workgroup_id_x 1
		.amdhsa_system_sgpr_workgroup_id_y 1
		.amdhsa_system_sgpr_workgroup_id_z 1
		.amdhsa_system_sgpr_workgroup_info 0
		.amdhsa_system_vgpr_workitem_id 0
		.amdhsa_next_free_vgpr 192
		.amdhsa_next_free_sgpr 44
		.amdhsa_reserve_vcc 1
		.amdhsa_float_round_mode_32 0
		.amdhsa_float_round_mode_16_64 0
		.amdhsa_float_denorm_mode_32 3
		.amdhsa_float_denorm_mode_16_64 3
		.amdhsa_dx10_clamp 1
		.amdhsa_ieee_mode 1
		.amdhsa_fp16_overflow 0
		.amdhsa_workgroup_processor_mode 1
		.amdhsa_memory_ordered 1
		.amdhsa_forward_progress 0
		.amdhsa_shared_vgpr_count 0
		.amdhsa_exception_fp_ieee_invalid_op 0
		.amdhsa_exception_fp_denorm_src 0
		.amdhsa_exception_fp_ieee_div_zero 0
		.amdhsa_exception_fp_ieee_overflow 0
		.amdhsa_exception_fp_ieee_underflow 0
		.amdhsa_exception_fp_ieee_inexact 0
		.amdhsa_exception_int_div_zero 0
	.end_amdhsa_kernel
	.section	.text._ZN4vllm25paged_attention_v2_kernelIfhLi256ELi32ELi128ELNS_18Fp8KVCacheDataTypeE1ELb1ELi512EEEvPfS2_PT_PKS3_PKT0_S9_ifPKiSB_iPKfiiiSD_SD_iiiii,"axG",@progbits,_ZN4vllm25paged_attention_v2_kernelIfhLi256ELi32ELi128ELNS_18Fp8KVCacheDataTypeE1ELb1ELi512EEEvPfS2_PT_PKS3_PKT0_S9_ifPKiSB_iPKfiiiSD_SD_iiiii,comdat
.Lfunc_end271:
	.size	_ZN4vllm25paged_attention_v2_kernelIfhLi256ELi32ELi128ELNS_18Fp8KVCacheDataTypeE1ELb1ELi512EEEvPfS2_PT_PKS3_PKT0_S9_ifPKiSB_iPKfiiiSD_SD_iiiii, .Lfunc_end271-_ZN4vllm25paged_attention_v2_kernelIfhLi256ELi32ELi128ELNS_18Fp8KVCacheDataTypeE1ELb1ELi512EEEvPfS2_PT_PKS3_PKT0_S9_ifPKiSB_iPKfiiiSD_SD_iiiii
                                        ; -- End function
	.section	.AMDGPU.csdata,"",@progbits
; Kernel info:
; codeLenInByte = 280
; NumSgprs: 46
; NumVgprs: 192
; ScratchSize: 3176
; MemoryBound: 0
; FloatMode: 240
; IeeeMode: 1
; LDSByteSize: 1056 bytes/workgroup (compile time only)
; SGPRBlocks: 5
; VGPRBlocks: 23
; NumSGPRsForWavesPerEU: 46
; NumVGPRsForWavesPerEU: 192
; Occupancy: 8
; WaveLimiterHint : 1
; COMPUTE_PGM_RSRC2:SCRATCH_EN: 1
; COMPUTE_PGM_RSRC2:USER_SGPR: 13
; COMPUTE_PGM_RSRC2:TRAP_HANDLER: 0
; COMPUTE_PGM_RSRC2:TGID_X_EN: 1
; COMPUTE_PGM_RSRC2:TGID_Y_EN: 1
; COMPUTE_PGM_RSRC2:TGID_Z_EN: 1
; COMPUTE_PGM_RSRC2:TIDIG_COMP_CNT: 0
	.section	.text._ZN4vllm25paged_attention_v2_kernelIfhLi32ELi32ELi128ELNS_18Fp8KVCacheDataTypeE1ELb0ELi512EEEvPfS2_PT_PKS3_PKT0_S9_ifPKiSB_iPKfiiiSD_SD_iiiii,"axG",@progbits,_ZN4vllm25paged_attention_v2_kernelIfhLi32ELi32ELi128ELNS_18Fp8KVCacheDataTypeE1ELb0ELi512EEEvPfS2_PT_PKS3_PKT0_S9_ifPKiSB_iPKfiiiSD_SD_iiiii,comdat
	.protected	_ZN4vllm25paged_attention_v2_kernelIfhLi32ELi32ELi128ELNS_18Fp8KVCacheDataTypeE1ELb0ELi512EEEvPfS2_PT_PKS3_PKT0_S9_ifPKiSB_iPKfiiiSD_SD_iiiii ; -- Begin function _ZN4vllm25paged_attention_v2_kernelIfhLi32ELi32ELi128ELNS_18Fp8KVCacheDataTypeE1ELb0ELi512EEEvPfS2_PT_PKS3_PKT0_S9_ifPKiSB_iPKfiiiSD_SD_iiiii
	.globl	_ZN4vllm25paged_attention_v2_kernelIfhLi32ELi32ELi128ELNS_18Fp8KVCacheDataTypeE1ELb0ELi512EEEvPfS2_PT_PKS3_PKT0_S9_ifPKiSB_iPKfiiiSD_SD_iiiii
	.p2align	8
	.type	_ZN4vllm25paged_attention_v2_kernelIfhLi32ELi32ELi128ELNS_18Fp8KVCacheDataTypeE1ELb0ELi512EEEvPfS2_PT_PKS3_PKT0_S9_ifPKiSB_iPKfiiiSD_SD_iiiii,@function
_ZN4vllm25paged_attention_v2_kernelIfhLi32ELi32ELi128ELNS_18Fp8KVCacheDataTypeE1ELb0ELi512EEEvPfS2_PT_PKS3_PKT0_S9_ifPKiSB_iPKfiiiSD_SD_iiiii: ; @_ZN4vllm25paged_attention_v2_kernelIfhLi32ELi32ELi128ELNS_18Fp8KVCacheDataTypeE1ELb0ELi512EEEvPfS2_PT_PKS3_PKT0_S9_ifPKiSB_iPKfiiiSD_SD_iiiii
; %bb.0:
	s_load_b64 s[2:3], s[0:1], 0x40
	s_mov_b32 s12, s15
	s_ashr_i32 s15, s14, 31
	s_delay_alu instid0(SALU_CYCLE_1)
	s_lshl_b64 s[4:5], s[14:15], 2
	s_waitcnt lgkmcnt(0)
	s_add_u32 s2, s2, s4
	s_addc_u32 s3, s3, s5
	s_lshl_b32 s34, s12, 9
	s_load_b32 s33, s[2:3], 0x0
	s_waitcnt lgkmcnt(0)
	s_cmp_ge_i32 s34, s33
	s_cbranch_scc1 .LBB272_586
; %bb.1:
	s_mov_b32 s26, s13
	s_clause 0x1
	s_load_b32 s13, s[0:1], 0x90
	s_load_b64 s[2:3], s[0:1], 0x30
	s_mov_b32 s36, 0
	s_waitcnt lgkmcnt(0)
	s_abs_i32 s7, s13
	s_abs_i32 s4, s2
	s_xor_b32 s2, s13, s2
	v_cvt_f32_u32_e32 v1, s4
	s_sub_i32 s6, 0, s4
	s_ashr_i32 s2, s2, 31
	s_delay_alu instid0(VALU_DEP_1) | instskip(SKIP_2) | instid1(VALU_DEP_1)
	v_rcp_iflag_f32_e32 v1, v1
	s_waitcnt_depctr 0xfff
	v_mul_f32_e32 v1, 0x4f7ffffe, v1
	v_cvt_u32_f32_e32 v1, v1
	s_delay_alu instid0(VALU_DEP_1) | instskip(NEXT) | instid1(VALU_DEP_1)
	v_readfirstlane_b32 s5, v1
	s_mul_i32 s6, s6, s5
	s_delay_alu instid0(SALU_CYCLE_1) | instskip(NEXT) | instid1(SALU_CYCLE_1)
	s_mul_hi_u32 s6, s5, s6
	s_add_i32 s5, s5, s6
	s_delay_alu instid0(SALU_CYCLE_1) | instskip(NEXT) | instid1(SALU_CYCLE_1)
	s_mul_hi_u32 s5, s7, s5
	s_mul_i32 s6, s5, s4
	s_delay_alu instid0(SALU_CYCLE_1)
	s_sub_i32 s6, s7, s6
	s_add_i32 s7, s5, 1
	s_sub_i32 s8, s6, s4
	s_cmp_ge_u32 s6, s4
	s_cselect_b32 s5, s7, s5
	s_cselect_b32 s6, s8, s6
	s_add_i32 s7, s5, 1
	s_cmp_ge_u32 s6, s4
	s_cselect_b32 s4, s7, s5
	s_abs_i32 s9, s26
	s_xor_b32 s4, s4, s2
	s_delay_alu instid0(SALU_CYCLE_1) | instskip(SKIP_2) | instid1(SALU_CYCLE_1)
	s_sub_i32 s10, s4, s2
	s_load_b64 s[4:5], s[0:1], 0x50
	s_abs_i32 s2, s10
	v_cvt_f32_u32_e32 v1, s2
	s_sub_i32 s7, 0, s2
	s_delay_alu instid0(VALU_DEP_1) | instskip(SKIP_2) | instid1(VALU_DEP_1)
	v_rcp_iflag_f32_e32 v1, v1
	s_waitcnt_depctr 0xfff
	v_mul_f32_e32 v1, 0x4f7ffffe, v1
	v_cvt_u32_f32_e32 v1, v1
	s_delay_alu instid0(VALU_DEP_1) | instskip(NEXT) | instid1(VALU_DEP_1)
	v_readfirstlane_b32 s6, v1
	s_mul_i32 s7, s7, s6
	s_delay_alu instid0(SALU_CYCLE_1) | instskip(NEXT) | instid1(SALU_CYCLE_1)
	s_mul_hi_u32 s7, s6, s7
	s_add_i32 s6, s6, s7
	s_waitcnt lgkmcnt(0)
	s_cmp_eq_u64 s[4:5], 0
	s_mul_hi_u32 s8, s9, s6
	s_cbranch_scc1 .LBB272_3
; %bb.2:
	s_ashr_i32 s27, s26, 31
	s_delay_alu instid0(SALU_CYCLE_1) | instskip(NEXT) | instid1(SALU_CYCLE_1)
	s_lshl_b64 s[6:7], s[26:27], 2
	s_add_u32 s4, s4, s6
	s_addc_u32 s5, s5, s7
	s_load_b32 s36, s[4:5], 0x0
.LBB272_3:
	s_clause 0x1
	s_load_b64 s[24:25], s[0:1], 0x38
	s_load_b128 s[4:7], s[0:1], 0x58
	s_waitcnt lgkmcnt(0)
	s_ashr_i32 s7, s26, 31
	s_ashr_i32 s10, s10, 31
	s_lshl_b32 s20, s26, 5
	s_mov_b32 s11, exec_lo
	v_cmpx_gt_u32_e32 8, v0
	s_cbranch_execz .LBB272_5
; %bb.4:
	s_load_b64 s[16:17], s[0:1], 0x18
	s_mul_i32 s18, s14, s4
	v_lshlrev_b32_e32 v5, 4, v0
	s_ashr_i32 s19, s18, 31
	s_delay_alu instid0(SALU_CYCLE_1) | instskip(SKIP_4) | instid1(SALU_CYCLE_1)
	s_lshl_b64 s[18:19], s[18:19], 2
	s_waitcnt lgkmcnt(0)
	s_add_u32 s4, s16, s18
	s_addc_u32 s15, s17, s19
	s_ashr_i32 s21, s20, 31
	s_lshl_b64 s[16:17], s[20:21], 2
	s_delay_alu instid0(SALU_CYCLE_1)
	s_add_u32 s16, s4, s16
	s_addc_u32 s17, s15, s17
	global_load_b128 v[1:4], v5, s[16:17]
	s_waitcnt vmcnt(0)
	ds_store_b128 v5, v[1:4]
.LBB272_5:
	s_or_b32 exec_lo, exec_lo, s11
	s_add_i32 s11, s33, 31
	s_xor_b32 s7, s7, s10
	s_ashr_i32 s4, s11, 31
	s_mul_i32 s10, s8, s2
	s_lshr_b32 s15, s4, 27
	s_lshl_b32 s4, s12, 4
	s_add_i32 s11, s11, s15
	s_add_i32 s15, s4, 16
	s_ashr_i32 s27, s11, 5
	s_sub_i32 s9, s9, s10
	s_clause 0x3
	s_load_b128 s[16:19], s[0:1], 0x0
	s_load_b64 s[22:23], s[0:1], 0x10
	s_load_b64 s[28:29], s[0:1], 0x28
	s_load_b32 s30, s[0:1], 0x48
	s_min_i32 s21, s15, s27
	s_add_i32 s10, s8, 1
	s_sub_i32 s11, s9, s2
	s_cmp_ge_u32 s9, s2
	v_lshrrev_b32_e32 v105, 5, v0
	s_cselect_b32 s31, s10, s8
	s_cselect_b32 s35, s11, s9
	s_clause 0x1
	s_load_b32 s15, s[0:1], 0x98
	s_load_b128 s[8:11], s[0:1], 0x68
	s_add_i32 s37, s31, 1
	s_cmp_ge_u32 s35, s2
	v_dual_mov_b32 v108, 0xff7fffff :: v_dual_add_nc_u32 v33, s4, v105
	v_and_b32_e32 v106, 31, v0
	s_cselect_b32 s2, s37, s31
	s_waitcnt lgkmcnt(0)
	s_xor_b32 s2, s2, s7
	v_ashrrev_i32_e32 v34, 31, v33
	s_sub_i32 s35, s2, s7
	v_cmp_gt_i32_e64 s2, s21, v33
	v_lshlrev_b32_e32 v107, 2, v106
	s_mul_i32 s30, s14, s30
	s_mul_i32 s35, s35, s6
	s_ashr_i32 s31, s30, 31
	s_barrier
	buffer_gl0_inv
	s_and_saveexec_b32 s37, s2
	s_cbranch_execz .LBB272_265
; %bb.6:
	s_load_b64 s[0:1], s[0:1], 0x20
	v_dual_mov_b32 v36, 0 :: v_dual_lshlrev_b32 v35, 4, v106
	s_load_b32 s39, s[8:9], 0x0
	v_dual_mov_b32 v108, 0xff7fffff :: v_dual_lshlrev_b32 v39, 5, v105
	ds_load_b128 v[1:4], v36
	ds_load_b128 v[5:8], v36 offset:16
	ds_load_b128 v[9:12], v36 offset:32
	ds_load_b128 v[13:16], v36 offset:48
	ds_load_b128 v[17:20], v36 offset:64
	ds_load_b128 v[21:24], v36 offset:80
	ds_load_b128 v[25:28], v36 offset:96
	ds_load_b128 v[29:32], v36 offset:112
	s_ashr_i32 s40, s35, 31
	v_add3_u32 v109, s34, v39, v106
	v_lshlrev_b64 v[39:40], 2, v[33:34]
	v_cmp_neq_f32_e64 vcc_lo, s36, 0
	s_mov_b32 s6, 0
	s_mov_b32 s38, s5
	s_brev_b32 s7, 1
	s_mov_b32 s9, 0x7f800001
	s_mov_b32 s42, s6
	v_mov_b32_e32 v111, v33
	s_waitcnt lgkmcnt(0)
	s_add_u32 s0, s0, s35
	s_addc_u32 s1, s1, s40
	v_add_co_u32 v37, s0, s0, v35
	s_delay_alu instid0(VALU_DEP_1)
	v_add_co_ci_u32_e64 v38, null, s1, 0, s0
	s_lshl_b64 s[0:1], s[30:31], 2
	v_lshl_or_b32 v35, v105, 7, v107
	s_sub_i32 s40, 1, s33
	s_add_u32 s0, s24, s0
	s_addc_u32 s1, s25, s1
	v_add_co_u32 v39, s0, s0, v39
	v_add_nc_u32_e32 v110, 0xa0, v35
	v_add_co_ci_u32_e64 v40, s0, s1, v40, s0
	s_mov_b32 s41, s39
	s_branch .LBB272_11
.LBB272_7:                              ;   in Loop: Header=BB272_11 Depth=1
	s_or_b32 exec_lo, exec_lo, s44
	v_lshlrev_b32_e32 v104, 24, v113
	s_delay_alu instid0(VALU_DEP_2) | instskip(SKIP_1) | instid1(VALU_DEP_3)
	v_lshlrev_b32_e32 v35, 20, v35
	v_lshl_add_u32 v103, v103, 23, 0x3c000000
	v_and_b32_e32 v104, 0x80000000, v104
	s_delay_alu instid0(VALU_DEP_1)
	v_or3_b32 v104, v35, v104, v103
	v_mov_b32_e32 v103, v36
.LBB272_8:                              ;   in Loop: Header=BB272_11 Depth=1
	s_or_b32 exec_lo, exec_lo, s8
.LBB272_9:                              ;   in Loop: Header=BB272_11 Depth=1
	s_delay_alu instid0(SALU_CYCLE_1)
	s_or_b32 exec_lo, exec_lo, s43
.LBB272_10:                             ;   in Loop: Header=BB272_11 Depth=1
	s_delay_alu instid0(SALU_CYCLE_1)
	s_or_b32 exec_lo, exec_lo, s1
	v_or_b32_e32 v59, v61, v59
	v_or_b32_e32 v63, v65, v63
	;; [unrolled: 1-line block ×5, first 2 shown]
	v_mul_f32_e32 v59, s39, v59
	v_mul_f32_e32 v56, s39, v63
	s_delay_alu instid0(VALU_DEP_4)
	v_dual_mul_f32 v50, s41, v50 :: v_dual_mul_f32 v49, s39, v49
	v_or_b32_e32 v55, v57, v55
	v_or_b32_e32 v42, v44, v42
	;; [unrolled: 1-line block ×6, first 2 shown]
	v_mul_f32_e32 v52, s41, v52
	v_or_b32_e32 v43, v48, v46
	v_or_b32_e32 v44, v47, v45
	v_dual_mul_f32 v45, s39, v55 :: v_dual_mul_f32 v42, s41, v42
	v_mul_f32_e32 v41, s39, v41
	v_dual_mul_f32 v46, v5, v49 :: v_dual_mul_f32 v47, v6, v50
	v_or_b32_e32 v76, v78, v76
	v_or_b32_e32 v75, v77, v75
	;; [unrolled: 1-line block ×5, first 2 shown]
	v_mul_f32_e32 v60, s41, v60
	v_or_b32_e32 v64, v66, v64
	v_mul_f32_e32 v62, s39, v67
	v_mul_f32_e32 v67, s39, v71
	v_dual_mul_f32 v43, s41, v43 :: v_dual_mul_f32 v44, s39, v44
	v_dual_fmac_f32 v47, v2, v42 :: v_dual_add_nc_u32 v48, s40, v109
	v_dual_mul_f32 v45, v7, v45 :: v_dual_mul_f32 v42, v8, v52
	v_fmac_f32_e32 v46, v1, v41
	v_mul_f32_e32 v76, s41, v76
	v_mul_f32_e32 v68, s41, v68
	v_or_b32_e32 v69, v74, v72
	v_dual_mul_f32 v70, s39, v75 :: v_dual_mul_f32 v75, s41, v77
	v_mul_f32_e32 v77, s39, v79
	v_mul_f32_e32 v51, s41, v64
	v_or_b32_e32 v49, v100, v54
	v_dual_fmac_f32 v45, v3, v44 :: v_dual_fmac_f32 v46, v9, v59
	v_dual_fmac_f32 v47, v10, v60 :: v_dual_fmac_f32 v42, v4, v43
	v_or_b32_e32 v84, v86, v84
	v_or_b32_e32 v83, v85, v83
	v_mul_f32_e32 v61, s41, v69
	s_delay_alu instid0(VALU_DEP_4) | instskip(SKIP_3) | instid1(VALU_DEP_4)
	v_fmac_f32_e32 v47, v14, v68
	v_or_b32_e32 v41, v99, v53
	v_dual_mul_f32 v44, s41, v49 :: v_dual_fmac_f32 v45, v11, v56
	v_fmac_f32_e32 v46, v13, v62
	v_dual_fmac_f32 v42, v12, v51 :: v_dual_fmac_f32 v47, v18, v76
	v_or_b32_e32 v35, v94, v92
	v_or_b32_e32 v91, v93, v91
	;; [unrolled: 1-line block ×4, first 2 shown]
	v_dual_mul_f32 v84, s41, v84 :: v_dual_mul_f32 v83, s39, v83
	v_mul_f32_e32 v41, s39, v41
	v_dual_fmac_f32 v45, v15, v67 :: v_dual_fmac_f32 v46, v17, v70
	s_delay_alu instid0(VALU_DEP_3)
	v_dual_fmac_f32 v42, v16, v61 :: v_dual_fmac_f32 v47, v22, v84
	v_or_b32_e32 v92, v98, v96
	v_or_b32_e32 v93, v97, v95
	v_mul_f32_e32 v35, s41, v35
	v_mul_f32_e32 v91, s39, v91
	v_dual_mul_f32 v85, s41, v85 :: v_dual_mul_f32 v78, s39, v87
	v_dual_fmac_f32 v45, v19, v77 :: v_dual_fmac_f32 v46, v21, v83
	v_fmac_f32_e32 v42, v20, v75
	v_mul_f32_e32 v92, s41, v92
	s_delay_alu instid0(VALU_DEP_3) | instskip(SKIP_4) | instid1(VALU_DEP_4)
	v_dual_mul_f32 v86, s39, v93 :: v_dual_fmac_f32 v45, v23, v78
	v_or_b32_e32 v43, v104, v102
	v_or_b32_e32 v49, v103, v101
	v_fmac_f32_e32 v46, v25, v91
	v_dual_fmac_f32 v47, v26, v35 :: v_dual_fmac_f32 v42, v24, v85
	v_mul_f32_e32 v43, s41, v43
	s_delay_alu instid0(VALU_DEP_4) | instskip(NEXT) | instid1(VALU_DEP_4)
	v_mul_f32_e32 v35, s39, v49
	v_dual_fmac_f32 v45, v27, v86 :: v_dual_fmac_f32 v46, v29, v41
	s_delay_alu instid0(VALU_DEP_4) | instskip(SKIP_2) | instid1(VALU_DEP_4)
	v_fmac_f32_e32 v42, v28, v92
	v_fmac_f32_e32 v47, v30, v44
	v_cvt_f32_i32_e32 v41, v48
	v_fmac_f32_e32 v45, v31, v35
	v_cmp_gt_i32_e64 s0, s33, v109
	v_fmac_f32_e32 v42, v32, v43
	v_add_f32_e32 v35, v46, v47
	v_mul_f32_e32 v41, s36, v41
	v_add_nc_u32_e32 v111, 4, v111
	v_add_co_u32 v39, s1, v39, 16
	s_delay_alu instid0(VALU_DEP_4) | instskip(NEXT) | instid1(VALU_DEP_4)
	v_add_f32_e32 v35, v35, v45
	v_cndmask_b32_e32 v41, 0, v41, vcc_lo
	v_add_nc_u32_e32 v109, 0x80, v109
	v_add_co_ci_u32_e64 v40, s1, 0, v40, s1
	s_delay_alu instid0(VALU_DEP_4) | instskip(NEXT) | instid1(VALU_DEP_1)
	v_add_f32_e32 v35, v42, v35
	v_fmac_f32_e32 v41, s3, v35
	v_max_f32_e32 v35, v108, v108
	s_delay_alu instid0(VALU_DEP_2) | instskip(NEXT) | instid1(VALU_DEP_2)
	v_cndmask_b32_e64 v42, 0, v41, s0
	v_max_f32_e32 v35, v35, v41
	ds_store_b32 v110, v42
	v_add_nc_u32_e32 v110, 0x200, v110
	v_cndmask_b32_e64 v108, v108, v35, s0
	v_cmp_le_i32_e64 s0, s21, v111
	s_delay_alu instid0(VALU_DEP_1) | instskip(NEXT) | instid1(SALU_CYCLE_1)
	s_or_b32 s42, s0, s42
	s_and_not1_b32 exec_lo, exec_lo, s42
	s_cbranch_execz .LBB272_264
.LBB272_11:                             ; =>This Inner Loop Header: Depth=1
	global_load_b32 v35, v[39:40], off
	v_mov_b32_e32 v43, 0
	s_mov_b32 s1, exec_lo
	s_waitcnt vmcnt(0)
	v_mad_i64_i32 v[53:54], null, v35, s38, v[37:38]
	global_load_b32 v49, v[53:54], off
	s_waitcnt vmcnt(0)
	v_dual_mov_b32 v44, 0 :: v_dual_and_b32 v35, 0xff, v49
	s_delay_alu instid0(VALU_DEP_1) | instskip(NEXT) | instid1(VALU_DEP_2)
	v_dual_mov_b32 v41, v43 :: v_dual_mov_b32 v42, v44
	v_cmpx_ne_u16_e32 0, v35
	s_cbranch_execz .LBB272_19
; %bb.12:                               ;   in Loop: Header=BB272_11 Depth=1
	v_bfrev_b32_e32 v41, 1
	v_mov_b32_e32 v42, 0
	s_mov_b32 s8, exec_lo
	v_cmpx_ne_u16_e32 0x80, v35
	s_cbranch_execz .LBB272_18
; %bb.13:                               ;   in Loop: Header=BB272_11 Depth=1
	v_mov_b32_e32 v41, 0x7f800001
	v_dual_mov_b32 v42, 0 :: v_dual_and_b32 v45, 0x7f, v49
	s_mov_b32 s43, exec_lo
	s_delay_alu instid0(VALU_DEP_1)
	v_cmpx_ne_u32_e32 0x7f, v45
	s_cbranch_execz .LBB272_17
; %bb.14:                               ;   in Loop: Header=BB272_11 Depth=1
	v_and_b32_e32 v35, 7, v49
	v_lshrrev_b32_e32 v41, 3, v45
	s_mov_b32 s44, exec_lo
	v_cmpx_gt_u32_e32 8, v45
; %bb.15:                               ;   in Loop: Header=BB272_11 Depth=1
	s_delay_alu instid0(VALU_DEP_3) | instskip(NEXT) | instid1(VALU_DEP_1)
	v_clz_i32_u32_e32 v41, v35
	v_min_u32_e32 v41, 32, v41
	s_delay_alu instid0(VALU_DEP_1) | instskip(SKIP_1) | instid1(VALU_DEP_2)
	v_subrev_nc_u32_e32 v42, 28, v41
	v_sub_nc_u32_e32 v41, 29, v41
	v_lshlrev_b64 v[45:46], v42, v[35:36]
	s_delay_alu instid0(VALU_DEP_1)
	v_and_b32_e32 v35, 7, v45
; %bb.16:                               ;   in Loop: Header=BB272_11 Depth=1
	s_or_b32 exec_lo, exec_lo, s44
	v_lshlrev_b32_e32 v42, 24, v49
	s_delay_alu instid0(VALU_DEP_2) | instskip(SKIP_1) | instid1(VALU_DEP_3)
	v_lshlrev_b32_e32 v35, 20, v35
	v_lshl_add_u32 v41, v41, 23, 0x3c000000
	v_and_b32_e32 v42, 0x80000000, v42
	s_delay_alu instid0(VALU_DEP_1) | instskip(NEXT) | instid1(VALU_DEP_1)
	v_or3_b32 v35, v35, v42, v41
	v_dual_mov_b32 v42, v36 :: v_dual_mov_b32 v41, v35
.LBB272_17:                             ;   in Loop: Header=BB272_11 Depth=1
	s_or_b32 exec_lo, exec_lo, s43
.LBB272_18:                             ;   in Loop: Header=BB272_11 Depth=1
	s_delay_alu instid0(SALU_CYCLE_1)
	s_or_b32 exec_lo, exec_lo, s8
.LBB272_19:                             ;   in Loop: Header=BB272_11 Depth=1
	s_delay_alu instid0(SALU_CYCLE_1) | instskip(SKIP_2) | instid1(VALU_DEP_1)
	s_or_b32 exec_lo, exec_lo, s1
	v_lshrrev_b16 v35, 8, v49
	s_mov_b32 s1, exec_lo
	v_cmpx_ne_u16_e32 0, v35
	s_cbranch_execz .LBB272_27
; %bb.20:                               ;   in Loop: Header=BB272_11 Depth=1
	v_dual_mov_b32 v44, s7 :: v_dual_mov_b32 v43, s6
	s_mov_b32 s43, exec_lo
	v_cmpx_ne_u16_e32 0x80, v35
	s_cbranch_execz .LBB272_26
; %bb.21:                               ;   in Loop: Header=BB272_11 Depth=1
	s_mov_b32 s8, s6
	v_dual_mov_b32 v44, s9 :: v_dual_and_b32 v35, 0xffff, v35
	v_mov_b32_e32 v43, s8
	s_mov_b32 s8, exec_lo
	s_delay_alu instid0(VALU_DEP_2) | instskip(NEXT) | instid1(VALU_DEP_1)
	v_and_b32_e32 v45, 0x7f, v35
	v_cmpx_ne_u32_e32 0x7f, v45
	s_cbranch_execz .LBB272_25
; %bb.22:                               ;   in Loop: Header=BB272_11 Depth=1
	v_and_b32_e32 v35, 7, v35
	v_lshrrev_b32_e32 v43, 3, v45
	s_mov_b32 s44, exec_lo
	v_cmpx_gt_u32_e32 8, v45
; %bb.23:                               ;   in Loop: Header=BB272_11 Depth=1
	s_delay_alu instid0(VALU_DEP_3) | instskip(NEXT) | instid1(VALU_DEP_1)
	v_clz_i32_u32_e32 v43, v35
	v_min_u32_e32 v43, 32, v43
	s_delay_alu instid0(VALU_DEP_1) | instskip(SKIP_1) | instid1(VALU_DEP_2)
	v_subrev_nc_u32_e32 v44, 28, v43
	v_sub_nc_u32_e32 v43, 29, v43
	v_lshlrev_b64 v[44:45], v44, v[35:36]
	s_delay_alu instid0(VALU_DEP_1)
	v_and_b32_e32 v35, 7, v44
; %bb.24:                               ;   in Loop: Header=BB272_11 Depth=1
	s_or_b32 exec_lo, exec_lo, s44
	v_lshlrev_b32_e32 v44, 16, v49
	s_delay_alu instid0(VALU_DEP_2) | instskip(SKIP_1) | instid1(VALU_DEP_3)
	v_lshlrev_b32_e32 v35, 20, v35
	v_lshl_add_u32 v43, v43, 23, 0x3c000000
	v_and_b32_e32 v44, 0x80000000, v44
	s_delay_alu instid0(VALU_DEP_1)
	v_or3_b32 v44, v35, v44, v43
	v_mov_b32_e32 v43, v36
.LBB272_25:                             ;   in Loop: Header=BB272_11 Depth=1
	s_or_b32 exec_lo, exec_lo, s8
.LBB272_26:                             ;   in Loop: Header=BB272_11 Depth=1
	s_delay_alu instid0(SALU_CYCLE_1)
	s_or_b32 exec_lo, exec_lo, s43
.LBB272_27:                             ;   in Loop: Header=BB272_11 Depth=1
	s_delay_alu instid0(SALU_CYCLE_1) | instskip(SKIP_4) | instid1(VALU_DEP_2)
	s_or_b32 exec_lo, exec_lo, s1
	v_mov_b32_e32 v47, 0
	v_lshrrev_b32_e32 v50, 16, v49
	v_mov_b32_e32 v48, 0
	s_mov_b32 s1, exec_lo
	v_and_b32_e32 v35, 0xff, v50
	s_delay_alu instid0(VALU_DEP_2) | instskip(NEXT) | instid1(VALU_DEP_2)
	v_dual_mov_b32 v45, v47 :: v_dual_mov_b32 v46, v48
	v_cmpx_ne_u16_e32 0, v35
	s_cbranch_execz .LBB272_35
; %bb.28:                               ;   in Loop: Header=BB272_11 Depth=1
	v_bfrev_b32_e32 v45, 1
	v_mov_b32_e32 v46, 0
	s_mov_b32 s8, exec_lo
	v_cmpx_ne_u16_e32 0x80, v35
	s_cbranch_execz .LBB272_34
; %bb.29:                               ;   in Loop: Header=BB272_11 Depth=1
	v_mov_b32_e32 v45, 0x7f800001
	v_bfe_u32 v51, v49, 16, 7
	v_mov_b32_e32 v46, 0
	s_mov_b32 s43, exec_lo
	s_delay_alu instid0(VALU_DEP_2)
	v_cmpx_ne_u32_e32 0x7f, v51
	s_cbranch_execz .LBB272_33
; %bb.30:                               ;   in Loop: Header=BB272_11 Depth=1
	v_and_b32_e32 v35, 7, v50
	v_lshrrev_b32_e32 v45, 3, v51
	s_mov_b32 s44, exec_lo
	v_cmpx_gt_u32_e32 8, v51
; %bb.31:                               ;   in Loop: Header=BB272_11 Depth=1
	s_delay_alu instid0(VALU_DEP_3) | instskip(NEXT) | instid1(VALU_DEP_1)
	v_clz_i32_u32_e32 v45, v35
	v_min_u32_e32 v45, 32, v45
	s_delay_alu instid0(VALU_DEP_1) | instskip(SKIP_1) | instid1(VALU_DEP_2)
	v_subrev_nc_u32_e32 v46, 28, v45
	v_sub_nc_u32_e32 v45, 29, v45
	v_lshlrev_b64 v[51:52], v46, v[35:36]
	s_delay_alu instid0(VALU_DEP_1)
	v_and_b32_e32 v35, 7, v51
; %bb.32:                               ;   in Loop: Header=BB272_11 Depth=1
	s_or_b32 exec_lo, exec_lo, s44
	v_lshlrev_b32_e32 v46, 24, v50
	s_delay_alu instid0(VALU_DEP_2) | instskip(SKIP_1) | instid1(VALU_DEP_3)
	v_lshlrev_b32_e32 v35, 20, v35
	v_lshl_add_u32 v45, v45, 23, 0x3c000000
	v_and_b32_e32 v46, 0x80000000, v46
	s_delay_alu instid0(VALU_DEP_1) | instskip(NEXT) | instid1(VALU_DEP_1)
	v_or3_b32 v35, v35, v46, v45
	v_dual_mov_b32 v46, v36 :: v_dual_mov_b32 v45, v35
.LBB272_33:                             ;   in Loop: Header=BB272_11 Depth=1
	s_or_b32 exec_lo, exec_lo, s43
.LBB272_34:                             ;   in Loop: Header=BB272_11 Depth=1
	s_delay_alu instid0(SALU_CYCLE_1)
	s_or_b32 exec_lo, exec_lo, s8
.LBB272_35:                             ;   in Loop: Header=BB272_11 Depth=1
	s_delay_alu instid0(SALU_CYCLE_1) | instskip(NEXT) | instid1(SALU_CYCLE_1)
	s_or_b32 exec_lo, exec_lo, s1
	s_mov_b32 s1, exec_lo
	v_cmpx_lt_u32_e32 0xffffff, v49
	s_cbranch_execz .LBB272_43
; %bb.36:                               ;   in Loop: Header=BB272_11 Depth=1
	v_lshrrev_b32_e32 v50, 24, v49
	v_dual_mov_b32 v48, s7 :: v_dual_mov_b32 v47, s6
	s_mov_b32 s43, exec_lo
	s_delay_alu instid0(VALU_DEP_2)
	v_cmpx_ne_u32_e32 0x80, v50
	s_cbranch_execz .LBB272_42
; %bb.37:                               ;   in Loop: Header=BB272_11 Depth=1
	s_mov_b32 s8, s6
	v_bfe_u32 v49, v49, 24, 7
	v_dual_mov_b32 v48, s9 :: v_dual_mov_b32 v47, s8
	s_mov_b32 s8, exec_lo
	s_delay_alu instid0(VALU_DEP_2)
	v_cmpx_ne_u32_e32 0x7f, v49
	s_cbranch_execz .LBB272_41
; %bb.38:                               ;   in Loop: Header=BB272_11 Depth=1
	v_and_b32_e32 v35, 7, v50
	v_lshrrev_b32_e32 v47, 3, v49
	s_mov_b32 s44, exec_lo
	v_cmpx_gt_u32_e32 8, v49
; %bb.39:                               ;   in Loop: Header=BB272_11 Depth=1
	s_delay_alu instid0(VALU_DEP_3) | instskip(NEXT) | instid1(VALU_DEP_1)
	v_clz_i32_u32_e32 v47, v35
	v_min_u32_e32 v47, 32, v47
	s_delay_alu instid0(VALU_DEP_1) | instskip(SKIP_1) | instid1(VALU_DEP_2)
	v_subrev_nc_u32_e32 v48, 28, v47
	v_sub_nc_u32_e32 v47, 29, v47
	v_lshlrev_b64 v[48:49], v48, v[35:36]
	s_delay_alu instid0(VALU_DEP_1)
	v_and_b32_e32 v35, 7, v48
; %bb.40:                               ;   in Loop: Header=BB272_11 Depth=1
	s_or_b32 exec_lo, exec_lo, s44
	v_lshlrev_b32_e32 v48, 24, v50
	s_delay_alu instid0(VALU_DEP_2) | instskip(SKIP_1) | instid1(VALU_DEP_3)
	v_lshlrev_b32_e32 v35, 20, v35
	v_lshl_add_u32 v47, v47, 23, 0x3c000000
	v_and_b32_e32 v48, 0x80000000, v48
	s_delay_alu instid0(VALU_DEP_1)
	v_or3_b32 v48, v35, v48, v47
	v_mov_b32_e32 v47, v36
.LBB272_41:                             ;   in Loop: Header=BB272_11 Depth=1
	s_or_b32 exec_lo, exec_lo, s8
.LBB272_42:                             ;   in Loop: Header=BB272_11 Depth=1
	s_delay_alu instid0(SALU_CYCLE_1)
	s_or_b32 exec_lo, exec_lo, s43
.LBB272_43:                             ;   in Loop: Header=BB272_11 Depth=1
	s_delay_alu instid0(SALU_CYCLE_1)
	s_or_b32 exec_lo, exec_lo, s1
	global_load_b32 v59, v[53:54], off offset:4
	v_mov_b32_e32 v51, 0
	v_mov_b32_e32 v52, 0
	s_mov_b32 s1, exec_lo
	s_waitcnt vmcnt(0)
	v_and_b32_e32 v35, 0xff, v59
	s_delay_alu instid0(VALU_DEP_2) | instskip(NEXT) | instid1(VALU_DEP_2)
	v_dual_mov_b32 v49, v51 :: v_dual_mov_b32 v50, v52
	v_cmpx_ne_u16_e32 0, v35
	s_cbranch_execz .LBB272_51
; %bb.44:                               ;   in Loop: Header=BB272_11 Depth=1
	v_bfrev_b32_e32 v49, 1
	v_mov_b32_e32 v50, 0
	s_mov_b32 s8, exec_lo
	v_cmpx_ne_u16_e32 0x80, v35
	s_cbranch_execz .LBB272_50
; %bb.45:                               ;   in Loop: Header=BB272_11 Depth=1
	v_mov_b32_e32 v49, 0x7f800001
	v_dual_mov_b32 v50, 0 :: v_dual_and_b32 v55, 0x7f, v59
	s_mov_b32 s43, exec_lo
	s_delay_alu instid0(VALU_DEP_1)
	v_cmpx_ne_u32_e32 0x7f, v55
	s_cbranch_execz .LBB272_49
; %bb.46:                               ;   in Loop: Header=BB272_11 Depth=1
	v_and_b32_e32 v35, 7, v59
	v_lshrrev_b32_e32 v49, 3, v55
	s_mov_b32 s44, exec_lo
	v_cmpx_gt_u32_e32 8, v55
; %bb.47:                               ;   in Loop: Header=BB272_11 Depth=1
	s_delay_alu instid0(VALU_DEP_3) | instskip(NEXT) | instid1(VALU_DEP_1)
	v_clz_i32_u32_e32 v49, v35
	v_min_u32_e32 v49, 32, v49
	s_delay_alu instid0(VALU_DEP_1) | instskip(SKIP_1) | instid1(VALU_DEP_2)
	v_subrev_nc_u32_e32 v50, 28, v49
	v_sub_nc_u32_e32 v49, 29, v49
	v_lshlrev_b64 v[55:56], v50, v[35:36]
	s_delay_alu instid0(VALU_DEP_1)
	v_and_b32_e32 v35, 7, v55
; %bb.48:                               ;   in Loop: Header=BB272_11 Depth=1
	s_or_b32 exec_lo, exec_lo, s44
	v_lshlrev_b32_e32 v50, 24, v59
	s_delay_alu instid0(VALU_DEP_2) | instskip(SKIP_1) | instid1(VALU_DEP_3)
	v_lshlrev_b32_e32 v35, 20, v35
	v_lshl_add_u32 v49, v49, 23, 0x3c000000
	v_and_b32_e32 v50, 0x80000000, v50
	s_delay_alu instid0(VALU_DEP_1) | instskip(NEXT) | instid1(VALU_DEP_1)
	v_or3_b32 v35, v35, v50, v49
	v_dual_mov_b32 v50, v36 :: v_dual_mov_b32 v49, v35
.LBB272_49:                             ;   in Loop: Header=BB272_11 Depth=1
	s_or_b32 exec_lo, exec_lo, s43
.LBB272_50:                             ;   in Loop: Header=BB272_11 Depth=1
	s_delay_alu instid0(SALU_CYCLE_1)
	s_or_b32 exec_lo, exec_lo, s8
.LBB272_51:                             ;   in Loop: Header=BB272_11 Depth=1
	s_delay_alu instid0(SALU_CYCLE_1) | instskip(SKIP_2) | instid1(VALU_DEP_1)
	s_or_b32 exec_lo, exec_lo, s1
	v_lshrrev_b16 v35, 8, v59
	s_mov_b32 s1, exec_lo
	v_cmpx_ne_u16_e32 0, v35
	s_cbranch_execz .LBB272_59
; %bb.52:                               ;   in Loop: Header=BB272_11 Depth=1
	v_dual_mov_b32 v52, s7 :: v_dual_mov_b32 v51, s6
	s_mov_b32 s43, exec_lo
	v_cmpx_ne_u16_e32 0x80, v35
	s_cbranch_execz .LBB272_58
; %bb.53:                               ;   in Loop: Header=BB272_11 Depth=1
	s_mov_b32 s8, s6
	v_dual_mov_b32 v52, s9 :: v_dual_and_b32 v35, 0xffff, v35
	v_mov_b32_e32 v51, s8
	s_mov_b32 s8, exec_lo
	s_delay_alu instid0(VALU_DEP_2) | instskip(NEXT) | instid1(VALU_DEP_1)
	v_and_b32_e32 v55, 0x7f, v35
	v_cmpx_ne_u32_e32 0x7f, v55
	s_cbranch_execz .LBB272_57
; %bb.54:                               ;   in Loop: Header=BB272_11 Depth=1
	v_and_b32_e32 v35, 7, v35
	v_lshrrev_b32_e32 v51, 3, v55
	s_mov_b32 s44, exec_lo
	v_cmpx_gt_u32_e32 8, v55
; %bb.55:                               ;   in Loop: Header=BB272_11 Depth=1
	s_delay_alu instid0(VALU_DEP_3) | instskip(NEXT) | instid1(VALU_DEP_1)
	v_clz_i32_u32_e32 v51, v35
	v_min_u32_e32 v51, 32, v51
	s_delay_alu instid0(VALU_DEP_1) | instskip(SKIP_1) | instid1(VALU_DEP_2)
	v_subrev_nc_u32_e32 v52, 28, v51
	v_sub_nc_u32_e32 v51, 29, v51
	v_lshlrev_b64 v[55:56], v52, v[35:36]
	s_delay_alu instid0(VALU_DEP_1)
	v_and_b32_e32 v35, 7, v55
; %bb.56:                               ;   in Loop: Header=BB272_11 Depth=1
	s_or_b32 exec_lo, exec_lo, s44
	v_lshlrev_b32_e32 v52, 16, v59
	s_delay_alu instid0(VALU_DEP_2) | instskip(SKIP_1) | instid1(VALU_DEP_3)
	v_lshlrev_b32_e32 v35, 20, v35
	v_lshl_add_u32 v51, v51, 23, 0x3c000000
	v_and_b32_e32 v52, 0x80000000, v52
	s_delay_alu instid0(VALU_DEP_1)
	v_or3_b32 v52, v35, v52, v51
	v_mov_b32_e32 v51, v36
.LBB272_57:                             ;   in Loop: Header=BB272_11 Depth=1
	s_or_b32 exec_lo, exec_lo, s8
.LBB272_58:                             ;   in Loop: Header=BB272_11 Depth=1
	s_delay_alu instid0(SALU_CYCLE_1)
	s_or_b32 exec_lo, exec_lo, s43
.LBB272_59:                             ;   in Loop: Header=BB272_11 Depth=1
	s_delay_alu instid0(SALU_CYCLE_1) | instskip(SKIP_4) | instid1(VALU_DEP_2)
	s_or_b32 exec_lo, exec_lo, s1
	v_mov_b32_e32 v57, 0
	v_lshrrev_b32_e32 v60, 16, v59
	v_mov_b32_e32 v58, 0
	s_mov_b32 s1, exec_lo
	v_and_b32_e32 v35, 0xff, v60
	s_delay_alu instid0(VALU_DEP_2) | instskip(NEXT) | instid1(VALU_DEP_2)
	v_dual_mov_b32 v55, v57 :: v_dual_mov_b32 v56, v58
	v_cmpx_ne_u16_e32 0, v35
	s_cbranch_execz .LBB272_67
; %bb.60:                               ;   in Loop: Header=BB272_11 Depth=1
	v_bfrev_b32_e32 v55, 1
	v_mov_b32_e32 v56, 0
	s_mov_b32 s8, exec_lo
	v_cmpx_ne_u16_e32 0x80, v35
	s_cbranch_execz .LBB272_66
; %bb.61:                               ;   in Loop: Header=BB272_11 Depth=1
	v_mov_b32_e32 v55, 0x7f800001
	v_bfe_u32 v61, v59, 16, 7
	v_mov_b32_e32 v56, 0
	s_mov_b32 s43, exec_lo
	s_delay_alu instid0(VALU_DEP_2)
	v_cmpx_ne_u32_e32 0x7f, v61
	s_cbranch_execz .LBB272_65
; %bb.62:                               ;   in Loop: Header=BB272_11 Depth=1
	v_and_b32_e32 v35, 7, v60
	v_lshrrev_b32_e32 v55, 3, v61
	s_mov_b32 s44, exec_lo
	v_cmpx_gt_u32_e32 8, v61
; %bb.63:                               ;   in Loop: Header=BB272_11 Depth=1
	s_delay_alu instid0(VALU_DEP_3) | instskip(NEXT) | instid1(VALU_DEP_1)
	v_clz_i32_u32_e32 v55, v35
	v_min_u32_e32 v55, 32, v55
	s_delay_alu instid0(VALU_DEP_1) | instskip(SKIP_1) | instid1(VALU_DEP_2)
	v_subrev_nc_u32_e32 v56, 28, v55
	v_sub_nc_u32_e32 v55, 29, v55
	v_lshlrev_b64 v[61:62], v56, v[35:36]
	s_delay_alu instid0(VALU_DEP_1)
	v_and_b32_e32 v35, 7, v61
; %bb.64:                               ;   in Loop: Header=BB272_11 Depth=1
	s_or_b32 exec_lo, exec_lo, s44
	v_lshlrev_b32_e32 v56, 24, v60
	s_delay_alu instid0(VALU_DEP_2) | instskip(SKIP_1) | instid1(VALU_DEP_3)
	v_lshlrev_b32_e32 v35, 20, v35
	v_lshl_add_u32 v55, v55, 23, 0x3c000000
	v_and_b32_e32 v56, 0x80000000, v56
	s_delay_alu instid0(VALU_DEP_1) | instskip(NEXT) | instid1(VALU_DEP_1)
	v_or3_b32 v35, v35, v56, v55
	v_dual_mov_b32 v56, v36 :: v_dual_mov_b32 v55, v35
.LBB272_65:                             ;   in Loop: Header=BB272_11 Depth=1
	s_or_b32 exec_lo, exec_lo, s43
.LBB272_66:                             ;   in Loop: Header=BB272_11 Depth=1
	s_delay_alu instid0(SALU_CYCLE_1)
	s_or_b32 exec_lo, exec_lo, s8
.LBB272_67:                             ;   in Loop: Header=BB272_11 Depth=1
	s_delay_alu instid0(SALU_CYCLE_1) | instskip(NEXT) | instid1(SALU_CYCLE_1)
	s_or_b32 exec_lo, exec_lo, s1
	s_mov_b32 s1, exec_lo
	v_cmpx_lt_u32_e32 0xffffff, v59
	s_cbranch_execz .LBB272_75
; %bb.68:                               ;   in Loop: Header=BB272_11 Depth=1
	v_lshrrev_b32_e32 v60, 24, v59
	v_dual_mov_b32 v58, s7 :: v_dual_mov_b32 v57, s6
	s_mov_b32 s43, exec_lo
	s_delay_alu instid0(VALU_DEP_2)
	v_cmpx_ne_u32_e32 0x80, v60
	s_cbranch_execz .LBB272_74
; %bb.69:                               ;   in Loop: Header=BB272_11 Depth=1
	s_mov_b32 s8, s6
	v_bfe_u32 v59, v59, 24, 7
	v_dual_mov_b32 v58, s9 :: v_dual_mov_b32 v57, s8
	s_mov_b32 s8, exec_lo
	s_delay_alu instid0(VALU_DEP_2)
	v_cmpx_ne_u32_e32 0x7f, v59
	s_cbranch_execz .LBB272_73
; %bb.70:                               ;   in Loop: Header=BB272_11 Depth=1
	v_and_b32_e32 v35, 7, v60
	v_lshrrev_b32_e32 v57, 3, v59
	s_mov_b32 s44, exec_lo
	v_cmpx_gt_u32_e32 8, v59
; %bb.71:                               ;   in Loop: Header=BB272_11 Depth=1
	s_delay_alu instid0(VALU_DEP_3) | instskip(NEXT) | instid1(VALU_DEP_1)
	v_clz_i32_u32_e32 v57, v35
	v_min_u32_e32 v57, 32, v57
	s_delay_alu instid0(VALU_DEP_1) | instskip(SKIP_1) | instid1(VALU_DEP_2)
	v_subrev_nc_u32_e32 v58, 28, v57
	v_sub_nc_u32_e32 v57, 29, v57
	v_lshlrev_b64 v[58:59], v58, v[35:36]
	s_delay_alu instid0(VALU_DEP_1)
	v_and_b32_e32 v35, 7, v58
; %bb.72:                               ;   in Loop: Header=BB272_11 Depth=1
	s_or_b32 exec_lo, exec_lo, s44
	v_lshlrev_b32_e32 v58, 24, v60
	s_delay_alu instid0(VALU_DEP_2) | instskip(SKIP_1) | instid1(VALU_DEP_3)
	v_lshlrev_b32_e32 v35, 20, v35
	v_lshl_add_u32 v57, v57, 23, 0x3c000000
	v_and_b32_e32 v58, 0x80000000, v58
	s_delay_alu instid0(VALU_DEP_1)
	v_or3_b32 v58, v35, v58, v57
	v_mov_b32_e32 v57, v36
.LBB272_73:                             ;   in Loop: Header=BB272_11 Depth=1
	s_or_b32 exec_lo, exec_lo, s8
.LBB272_74:                             ;   in Loop: Header=BB272_11 Depth=1
	s_delay_alu instid0(SALU_CYCLE_1)
	s_or_b32 exec_lo, exec_lo, s43
.LBB272_75:                             ;   in Loop: Header=BB272_11 Depth=1
	s_delay_alu instid0(SALU_CYCLE_1)
	s_or_b32 exec_lo, exec_lo, s1
	global_load_b32 v67, v[53:54], off offset:8
	v_mov_b32_e32 v61, 0
	v_mov_b32_e32 v62, 0
	s_mov_b32 s1, exec_lo
	s_waitcnt vmcnt(0)
	v_and_b32_e32 v35, 0xff, v67
	s_delay_alu instid0(VALU_DEP_2) | instskip(NEXT) | instid1(VALU_DEP_2)
	v_dual_mov_b32 v59, v61 :: v_dual_mov_b32 v60, v62
	v_cmpx_ne_u16_e32 0, v35
	s_cbranch_execz .LBB272_83
; %bb.76:                               ;   in Loop: Header=BB272_11 Depth=1
	v_bfrev_b32_e32 v59, 1
	v_mov_b32_e32 v60, 0
	s_mov_b32 s8, exec_lo
	v_cmpx_ne_u16_e32 0x80, v35
	s_cbranch_execz .LBB272_82
; %bb.77:                               ;   in Loop: Header=BB272_11 Depth=1
	v_mov_b32_e32 v59, 0x7f800001
	v_dual_mov_b32 v60, 0 :: v_dual_and_b32 v63, 0x7f, v67
	s_mov_b32 s43, exec_lo
	s_delay_alu instid0(VALU_DEP_1)
	v_cmpx_ne_u32_e32 0x7f, v63
	s_cbranch_execz .LBB272_81
; %bb.78:                               ;   in Loop: Header=BB272_11 Depth=1
	v_and_b32_e32 v35, 7, v67
	v_lshrrev_b32_e32 v59, 3, v63
	s_mov_b32 s44, exec_lo
	v_cmpx_gt_u32_e32 8, v63
; %bb.79:                               ;   in Loop: Header=BB272_11 Depth=1
	s_delay_alu instid0(VALU_DEP_3) | instskip(NEXT) | instid1(VALU_DEP_1)
	v_clz_i32_u32_e32 v59, v35
	v_min_u32_e32 v59, 32, v59
	s_delay_alu instid0(VALU_DEP_1) | instskip(SKIP_1) | instid1(VALU_DEP_2)
	v_subrev_nc_u32_e32 v60, 28, v59
	v_sub_nc_u32_e32 v59, 29, v59
	v_lshlrev_b64 v[63:64], v60, v[35:36]
	s_delay_alu instid0(VALU_DEP_1)
	v_and_b32_e32 v35, 7, v63
; %bb.80:                               ;   in Loop: Header=BB272_11 Depth=1
	s_or_b32 exec_lo, exec_lo, s44
	v_lshlrev_b32_e32 v60, 24, v67
	s_delay_alu instid0(VALU_DEP_2) | instskip(SKIP_1) | instid1(VALU_DEP_3)
	v_lshlrev_b32_e32 v35, 20, v35
	v_lshl_add_u32 v59, v59, 23, 0x3c000000
	v_and_b32_e32 v60, 0x80000000, v60
	s_delay_alu instid0(VALU_DEP_1) | instskip(NEXT) | instid1(VALU_DEP_1)
	v_or3_b32 v35, v35, v60, v59
	v_dual_mov_b32 v60, v36 :: v_dual_mov_b32 v59, v35
.LBB272_81:                             ;   in Loop: Header=BB272_11 Depth=1
	s_or_b32 exec_lo, exec_lo, s43
.LBB272_82:                             ;   in Loop: Header=BB272_11 Depth=1
	s_delay_alu instid0(SALU_CYCLE_1)
	s_or_b32 exec_lo, exec_lo, s8
.LBB272_83:                             ;   in Loop: Header=BB272_11 Depth=1
	s_delay_alu instid0(SALU_CYCLE_1) | instskip(SKIP_2) | instid1(VALU_DEP_1)
	s_or_b32 exec_lo, exec_lo, s1
	v_lshrrev_b16 v35, 8, v67
	s_mov_b32 s1, exec_lo
	v_cmpx_ne_u16_e32 0, v35
	s_cbranch_execz .LBB272_91
; %bb.84:                               ;   in Loop: Header=BB272_11 Depth=1
	v_dual_mov_b32 v62, s7 :: v_dual_mov_b32 v61, s6
	s_mov_b32 s43, exec_lo
	v_cmpx_ne_u16_e32 0x80, v35
	s_cbranch_execz .LBB272_90
; %bb.85:                               ;   in Loop: Header=BB272_11 Depth=1
	s_mov_b32 s8, s6
	v_dual_mov_b32 v62, s9 :: v_dual_and_b32 v35, 0xffff, v35
	v_mov_b32_e32 v61, s8
	s_mov_b32 s8, exec_lo
	s_delay_alu instid0(VALU_DEP_2) | instskip(NEXT) | instid1(VALU_DEP_1)
	v_and_b32_e32 v63, 0x7f, v35
	v_cmpx_ne_u32_e32 0x7f, v63
	s_cbranch_execz .LBB272_89
; %bb.86:                               ;   in Loop: Header=BB272_11 Depth=1
	v_and_b32_e32 v35, 7, v35
	v_lshrrev_b32_e32 v61, 3, v63
	s_mov_b32 s44, exec_lo
	v_cmpx_gt_u32_e32 8, v63
; %bb.87:                               ;   in Loop: Header=BB272_11 Depth=1
	s_delay_alu instid0(VALU_DEP_3) | instskip(NEXT) | instid1(VALU_DEP_1)
	v_clz_i32_u32_e32 v61, v35
	v_min_u32_e32 v61, 32, v61
	s_delay_alu instid0(VALU_DEP_1) | instskip(SKIP_1) | instid1(VALU_DEP_2)
	v_subrev_nc_u32_e32 v62, 28, v61
	v_sub_nc_u32_e32 v61, 29, v61
	v_lshlrev_b64 v[62:63], v62, v[35:36]
	s_delay_alu instid0(VALU_DEP_1)
	v_and_b32_e32 v35, 7, v62
; %bb.88:                               ;   in Loop: Header=BB272_11 Depth=1
	s_or_b32 exec_lo, exec_lo, s44
	v_lshlrev_b32_e32 v62, 16, v67
	s_delay_alu instid0(VALU_DEP_2) | instskip(SKIP_1) | instid1(VALU_DEP_3)
	v_lshlrev_b32_e32 v35, 20, v35
	v_lshl_add_u32 v61, v61, 23, 0x3c000000
	v_and_b32_e32 v62, 0x80000000, v62
	s_delay_alu instid0(VALU_DEP_1)
	v_or3_b32 v62, v35, v62, v61
	v_mov_b32_e32 v61, v36
.LBB272_89:                             ;   in Loop: Header=BB272_11 Depth=1
	s_or_b32 exec_lo, exec_lo, s8
.LBB272_90:                             ;   in Loop: Header=BB272_11 Depth=1
	s_delay_alu instid0(SALU_CYCLE_1)
	s_or_b32 exec_lo, exec_lo, s43
.LBB272_91:                             ;   in Loop: Header=BB272_11 Depth=1
	s_delay_alu instid0(SALU_CYCLE_1) | instskip(SKIP_4) | instid1(VALU_DEP_2)
	s_or_b32 exec_lo, exec_lo, s1
	v_mov_b32_e32 v65, 0
	v_lshrrev_b32_e32 v68, 16, v67
	v_mov_b32_e32 v66, 0
	s_mov_b32 s1, exec_lo
	v_and_b32_e32 v35, 0xff, v68
	s_delay_alu instid0(VALU_DEP_2) | instskip(NEXT) | instid1(VALU_DEP_2)
	v_dual_mov_b32 v63, v65 :: v_dual_mov_b32 v64, v66
	v_cmpx_ne_u16_e32 0, v35
	s_cbranch_execz .LBB272_99
; %bb.92:                               ;   in Loop: Header=BB272_11 Depth=1
	v_bfrev_b32_e32 v63, 1
	v_mov_b32_e32 v64, 0
	s_mov_b32 s8, exec_lo
	v_cmpx_ne_u16_e32 0x80, v35
	s_cbranch_execz .LBB272_98
; %bb.93:                               ;   in Loop: Header=BB272_11 Depth=1
	v_mov_b32_e32 v63, 0x7f800001
	v_bfe_u32 v69, v67, 16, 7
	v_mov_b32_e32 v64, 0
	s_mov_b32 s43, exec_lo
	s_delay_alu instid0(VALU_DEP_2)
	v_cmpx_ne_u32_e32 0x7f, v69
	s_cbranch_execz .LBB272_97
; %bb.94:                               ;   in Loop: Header=BB272_11 Depth=1
	v_and_b32_e32 v35, 7, v68
	v_lshrrev_b32_e32 v63, 3, v69
	s_mov_b32 s44, exec_lo
	v_cmpx_gt_u32_e32 8, v69
; %bb.95:                               ;   in Loop: Header=BB272_11 Depth=1
	s_delay_alu instid0(VALU_DEP_3) | instskip(NEXT) | instid1(VALU_DEP_1)
	v_clz_i32_u32_e32 v63, v35
	v_min_u32_e32 v63, 32, v63
	s_delay_alu instid0(VALU_DEP_1) | instskip(SKIP_1) | instid1(VALU_DEP_2)
	v_subrev_nc_u32_e32 v64, 28, v63
	v_sub_nc_u32_e32 v63, 29, v63
	v_lshlrev_b64 v[69:70], v64, v[35:36]
	s_delay_alu instid0(VALU_DEP_1)
	v_and_b32_e32 v35, 7, v69
; %bb.96:                               ;   in Loop: Header=BB272_11 Depth=1
	s_or_b32 exec_lo, exec_lo, s44
	v_lshlrev_b32_e32 v64, 24, v68
	s_delay_alu instid0(VALU_DEP_2) | instskip(SKIP_1) | instid1(VALU_DEP_3)
	v_lshlrev_b32_e32 v35, 20, v35
	v_lshl_add_u32 v63, v63, 23, 0x3c000000
	v_and_b32_e32 v64, 0x80000000, v64
	s_delay_alu instid0(VALU_DEP_1) | instskip(NEXT) | instid1(VALU_DEP_1)
	v_or3_b32 v35, v35, v64, v63
	v_dual_mov_b32 v64, v36 :: v_dual_mov_b32 v63, v35
.LBB272_97:                             ;   in Loop: Header=BB272_11 Depth=1
	s_or_b32 exec_lo, exec_lo, s43
.LBB272_98:                             ;   in Loop: Header=BB272_11 Depth=1
	s_delay_alu instid0(SALU_CYCLE_1)
	s_or_b32 exec_lo, exec_lo, s8
.LBB272_99:                             ;   in Loop: Header=BB272_11 Depth=1
	s_delay_alu instid0(SALU_CYCLE_1) | instskip(NEXT) | instid1(SALU_CYCLE_1)
	s_or_b32 exec_lo, exec_lo, s1
	s_mov_b32 s1, exec_lo
	v_cmpx_lt_u32_e32 0xffffff, v67
	s_cbranch_execz .LBB272_107
; %bb.100:                              ;   in Loop: Header=BB272_11 Depth=1
	v_lshrrev_b32_e32 v68, 24, v67
	v_dual_mov_b32 v66, s7 :: v_dual_mov_b32 v65, s6
	s_mov_b32 s43, exec_lo
	s_delay_alu instid0(VALU_DEP_2)
	v_cmpx_ne_u32_e32 0x80, v68
	s_cbranch_execz .LBB272_106
; %bb.101:                              ;   in Loop: Header=BB272_11 Depth=1
	s_mov_b32 s8, s6
	v_bfe_u32 v67, v67, 24, 7
	v_dual_mov_b32 v66, s9 :: v_dual_mov_b32 v65, s8
	s_mov_b32 s8, exec_lo
	s_delay_alu instid0(VALU_DEP_2)
	v_cmpx_ne_u32_e32 0x7f, v67
	s_cbranch_execz .LBB272_105
; %bb.102:                              ;   in Loop: Header=BB272_11 Depth=1
	v_and_b32_e32 v35, 7, v68
	v_lshrrev_b32_e32 v65, 3, v67
	s_mov_b32 s44, exec_lo
	v_cmpx_gt_u32_e32 8, v67
; %bb.103:                              ;   in Loop: Header=BB272_11 Depth=1
	s_delay_alu instid0(VALU_DEP_3) | instskip(NEXT) | instid1(VALU_DEP_1)
	v_clz_i32_u32_e32 v65, v35
	v_min_u32_e32 v65, 32, v65
	s_delay_alu instid0(VALU_DEP_1) | instskip(SKIP_1) | instid1(VALU_DEP_2)
	v_subrev_nc_u32_e32 v66, 28, v65
	v_sub_nc_u32_e32 v65, 29, v65
	v_lshlrev_b64 v[66:67], v66, v[35:36]
	s_delay_alu instid0(VALU_DEP_1)
	v_and_b32_e32 v35, 7, v66
; %bb.104:                              ;   in Loop: Header=BB272_11 Depth=1
	s_or_b32 exec_lo, exec_lo, s44
	v_lshlrev_b32_e32 v66, 24, v68
	s_delay_alu instid0(VALU_DEP_2) | instskip(SKIP_1) | instid1(VALU_DEP_3)
	v_lshlrev_b32_e32 v35, 20, v35
	v_lshl_add_u32 v65, v65, 23, 0x3c000000
	v_and_b32_e32 v66, 0x80000000, v66
	s_delay_alu instid0(VALU_DEP_1)
	v_or3_b32 v66, v35, v66, v65
	v_mov_b32_e32 v65, v36
.LBB272_105:                            ;   in Loop: Header=BB272_11 Depth=1
	s_or_b32 exec_lo, exec_lo, s8
.LBB272_106:                            ;   in Loop: Header=BB272_11 Depth=1
	s_delay_alu instid0(SALU_CYCLE_1)
	s_or_b32 exec_lo, exec_lo, s43
.LBB272_107:                            ;   in Loop: Header=BB272_11 Depth=1
	s_delay_alu instid0(SALU_CYCLE_1)
	s_or_b32 exec_lo, exec_lo, s1
	global_load_b32 v75, v[53:54], off offset:12
	v_mov_b32_e32 v69, 0
	v_mov_b32_e32 v70, 0
	s_mov_b32 s1, exec_lo
	s_waitcnt vmcnt(0)
	v_and_b32_e32 v35, 0xff, v75
	s_delay_alu instid0(VALU_DEP_2) | instskip(NEXT) | instid1(VALU_DEP_2)
	v_dual_mov_b32 v67, v69 :: v_dual_mov_b32 v68, v70
	v_cmpx_ne_u16_e32 0, v35
	s_cbranch_execz .LBB272_115
; %bb.108:                              ;   in Loop: Header=BB272_11 Depth=1
	v_bfrev_b32_e32 v67, 1
	v_mov_b32_e32 v68, 0
	s_mov_b32 s8, exec_lo
	v_cmpx_ne_u16_e32 0x80, v35
	s_cbranch_execz .LBB272_114
; %bb.109:                              ;   in Loop: Header=BB272_11 Depth=1
	v_mov_b32_e32 v67, 0x7f800001
	v_dual_mov_b32 v68, 0 :: v_dual_and_b32 v71, 0x7f, v75
	s_mov_b32 s43, exec_lo
	s_delay_alu instid0(VALU_DEP_1)
	v_cmpx_ne_u32_e32 0x7f, v71
	s_cbranch_execz .LBB272_113
; %bb.110:                              ;   in Loop: Header=BB272_11 Depth=1
	v_and_b32_e32 v35, 7, v75
	v_lshrrev_b32_e32 v67, 3, v71
	s_mov_b32 s44, exec_lo
	v_cmpx_gt_u32_e32 8, v71
; %bb.111:                              ;   in Loop: Header=BB272_11 Depth=1
	s_delay_alu instid0(VALU_DEP_3) | instskip(NEXT) | instid1(VALU_DEP_1)
	v_clz_i32_u32_e32 v67, v35
	v_min_u32_e32 v67, 32, v67
	s_delay_alu instid0(VALU_DEP_1) | instskip(SKIP_1) | instid1(VALU_DEP_2)
	v_subrev_nc_u32_e32 v68, 28, v67
	v_sub_nc_u32_e32 v67, 29, v67
	v_lshlrev_b64 v[71:72], v68, v[35:36]
	s_delay_alu instid0(VALU_DEP_1)
	v_and_b32_e32 v35, 7, v71
; %bb.112:                              ;   in Loop: Header=BB272_11 Depth=1
	s_or_b32 exec_lo, exec_lo, s44
	v_lshlrev_b32_e32 v68, 24, v75
	s_delay_alu instid0(VALU_DEP_2) | instskip(SKIP_1) | instid1(VALU_DEP_3)
	v_lshlrev_b32_e32 v35, 20, v35
	v_lshl_add_u32 v67, v67, 23, 0x3c000000
	v_and_b32_e32 v68, 0x80000000, v68
	s_delay_alu instid0(VALU_DEP_1) | instskip(NEXT) | instid1(VALU_DEP_1)
	v_or3_b32 v35, v35, v68, v67
	v_dual_mov_b32 v68, v36 :: v_dual_mov_b32 v67, v35
.LBB272_113:                            ;   in Loop: Header=BB272_11 Depth=1
	s_or_b32 exec_lo, exec_lo, s43
.LBB272_114:                            ;   in Loop: Header=BB272_11 Depth=1
	s_delay_alu instid0(SALU_CYCLE_1)
	s_or_b32 exec_lo, exec_lo, s8
.LBB272_115:                            ;   in Loop: Header=BB272_11 Depth=1
	s_delay_alu instid0(SALU_CYCLE_1) | instskip(SKIP_2) | instid1(VALU_DEP_1)
	s_or_b32 exec_lo, exec_lo, s1
	v_lshrrev_b16 v35, 8, v75
	s_mov_b32 s1, exec_lo
	v_cmpx_ne_u16_e32 0, v35
	s_cbranch_execz .LBB272_123
; %bb.116:                              ;   in Loop: Header=BB272_11 Depth=1
	v_dual_mov_b32 v70, s7 :: v_dual_mov_b32 v69, s6
	s_mov_b32 s43, exec_lo
	v_cmpx_ne_u16_e32 0x80, v35
	s_cbranch_execz .LBB272_122
; %bb.117:                              ;   in Loop: Header=BB272_11 Depth=1
	s_mov_b32 s8, s6
	v_dual_mov_b32 v70, s9 :: v_dual_and_b32 v35, 0xffff, v35
	v_mov_b32_e32 v69, s8
	s_mov_b32 s8, exec_lo
	s_delay_alu instid0(VALU_DEP_2) | instskip(NEXT) | instid1(VALU_DEP_1)
	v_and_b32_e32 v71, 0x7f, v35
	v_cmpx_ne_u32_e32 0x7f, v71
	s_cbranch_execz .LBB272_121
; %bb.118:                              ;   in Loop: Header=BB272_11 Depth=1
	v_and_b32_e32 v35, 7, v35
	v_lshrrev_b32_e32 v69, 3, v71
	s_mov_b32 s44, exec_lo
	v_cmpx_gt_u32_e32 8, v71
; %bb.119:                              ;   in Loop: Header=BB272_11 Depth=1
	s_delay_alu instid0(VALU_DEP_3) | instskip(NEXT) | instid1(VALU_DEP_1)
	v_clz_i32_u32_e32 v69, v35
	v_min_u32_e32 v69, 32, v69
	s_delay_alu instid0(VALU_DEP_1) | instskip(SKIP_1) | instid1(VALU_DEP_2)
	v_subrev_nc_u32_e32 v70, 28, v69
	v_sub_nc_u32_e32 v69, 29, v69
	v_lshlrev_b64 v[70:71], v70, v[35:36]
	s_delay_alu instid0(VALU_DEP_1)
	v_and_b32_e32 v35, 7, v70
; %bb.120:                              ;   in Loop: Header=BB272_11 Depth=1
	s_or_b32 exec_lo, exec_lo, s44
	v_lshlrev_b32_e32 v70, 16, v75
	s_delay_alu instid0(VALU_DEP_2) | instskip(SKIP_1) | instid1(VALU_DEP_3)
	v_lshlrev_b32_e32 v35, 20, v35
	v_lshl_add_u32 v69, v69, 23, 0x3c000000
	v_and_b32_e32 v70, 0x80000000, v70
	s_delay_alu instid0(VALU_DEP_1)
	v_or3_b32 v70, v35, v70, v69
	v_mov_b32_e32 v69, v36
.LBB272_121:                            ;   in Loop: Header=BB272_11 Depth=1
	s_or_b32 exec_lo, exec_lo, s8
.LBB272_122:                            ;   in Loop: Header=BB272_11 Depth=1
	s_delay_alu instid0(SALU_CYCLE_1)
	s_or_b32 exec_lo, exec_lo, s43
.LBB272_123:                            ;   in Loop: Header=BB272_11 Depth=1
	s_delay_alu instid0(SALU_CYCLE_1) | instskip(SKIP_4) | instid1(VALU_DEP_2)
	s_or_b32 exec_lo, exec_lo, s1
	v_mov_b32_e32 v73, 0
	v_lshrrev_b32_e32 v76, 16, v75
	v_mov_b32_e32 v74, 0
	s_mov_b32 s1, exec_lo
	v_and_b32_e32 v35, 0xff, v76
	s_delay_alu instid0(VALU_DEP_2) | instskip(NEXT) | instid1(VALU_DEP_2)
	v_dual_mov_b32 v71, v73 :: v_dual_mov_b32 v72, v74
	v_cmpx_ne_u16_e32 0, v35
	s_cbranch_execz .LBB272_131
; %bb.124:                              ;   in Loop: Header=BB272_11 Depth=1
	v_bfrev_b32_e32 v71, 1
	v_mov_b32_e32 v72, 0
	s_mov_b32 s8, exec_lo
	v_cmpx_ne_u16_e32 0x80, v35
	s_cbranch_execz .LBB272_130
; %bb.125:                              ;   in Loop: Header=BB272_11 Depth=1
	v_mov_b32_e32 v71, 0x7f800001
	v_bfe_u32 v77, v75, 16, 7
	v_mov_b32_e32 v72, 0
	s_mov_b32 s43, exec_lo
	s_delay_alu instid0(VALU_DEP_2)
	v_cmpx_ne_u32_e32 0x7f, v77
	s_cbranch_execz .LBB272_129
; %bb.126:                              ;   in Loop: Header=BB272_11 Depth=1
	v_and_b32_e32 v35, 7, v76
	v_lshrrev_b32_e32 v71, 3, v77
	s_mov_b32 s44, exec_lo
	v_cmpx_gt_u32_e32 8, v77
; %bb.127:                              ;   in Loop: Header=BB272_11 Depth=1
	s_delay_alu instid0(VALU_DEP_3) | instskip(NEXT) | instid1(VALU_DEP_1)
	v_clz_i32_u32_e32 v71, v35
	v_min_u32_e32 v71, 32, v71
	s_delay_alu instid0(VALU_DEP_1) | instskip(SKIP_1) | instid1(VALU_DEP_2)
	v_subrev_nc_u32_e32 v72, 28, v71
	v_sub_nc_u32_e32 v71, 29, v71
	v_lshlrev_b64 v[77:78], v72, v[35:36]
	s_delay_alu instid0(VALU_DEP_1)
	v_and_b32_e32 v35, 7, v77
; %bb.128:                              ;   in Loop: Header=BB272_11 Depth=1
	s_or_b32 exec_lo, exec_lo, s44
	v_lshlrev_b32_e32 v72, 24, v76
	s_delay_alu instid0(VALU_DEP_2) | instskip(SKIP_1) | instid1(VALU_DEP_3)
	v_lshlrev_b32_e32 v35, 20, v35
	v_lshl_add_u32 v71, v71, 23, 0x3c000000
	v_and_b32_e32 v72, 0x80000000, v72
	s_delay_alu instid0(VALU_DEP_1) | instskip(NEXT) | instid1(VALU_DEP_1)
	v_or3_b32 v35, v35, v72, v71
	v_dual_mov_b32 v72, v36 :: v_dual_mov_b32 v71, v35
.LBB272_129:                            ;   in Loop: Header=BB272_11 Depth=1
	s_or_b32 exec_lo, exec_lo, s43
.LBB272_130:                            ;   in Loop: Header=BB272_11 Depth=1
	s_delay_alu instid0(SALU_CYCLE_1)
	s_or_b32 exec_lo, exec_lo, s8
.LBB272_131:                            ;   in Loop: Header=BB272_11 Depth=1
	s_delay_alu instid0(SALU_CYCLE_1) | instskip(NEXT) | instid1(SALU_CYCLE_1)
	s_or_b32 exec_lo, exec_lo, s1
	s_mov_b32 s1, exec_lo
	v_cmpx_lt_u32_e32 0xffffff, v75
	s_cbranch_execz .LBB272_139
; %bb.132:                              ;   in Loop: Header=BB272_11 Depth=1
	v_lshrrev_b32_e32 v76, 24, v75
	v_dual_mov_b32 v74, s7 :: v_dual_mov_b32 v73, s6
	s_mov_b32 s43, exec_lo
	s_delay_alu instid0(VALU_DEP_2)
	v_cmpx_ne_u32_e32 0x80, v76
	s_cbranch_execz .LBB272_138
; %bb.133:                              ;   in Loop: Header=BB272_11 Depth=1
	s_mov_b32 s8, s6
	v_bfe_u32 v75, v75, 24, 7
	v_dual_mov_b32 v74, s9 :: v_dual_mov_b32 v73, s8
	s_mov_b32 s8, exec_lo
	s_delay_alu instid0(VALU_DEP_2)
	v_cmpx_ne_u32_e32 0x7f, v75
	s_cbranch_execz .LBB272_137
; %bb.134:                              ;   in Loop: Header=BB272_11 Depth=1
	v_and_b32_e32 v35, 7, v76
	v_lshrrev_b32_e32 v73, 3, v75
	s_mov_b32 s44, exec_lo
	v_cmpx_gt_u32_e32 8, v75
; %bb.135:                              ;   in Loop: Header=BB272_11 Depth=1
	s_delay_alu instid0(VALU_DEP_3) | instskip(NEXT) | instid1(VALU_DEP_1)
	v_clz_i32_u32_e32 v73, v35
	v_min_u32_e32 v73, 32, v73
	s_delay_alu instid0(VALU_DEP_1) | instskip(SKIP_1) | instid1(VALU_DEP_2)
	v_subrev_nc_u32_e32 v74, 28, v73
	v_sub_nc_u32_e32 v73, 29, v73
	v_lshlrev_b64 v[74:75], v74, v[35:36]
	s_delay_alu instid0(VALU_DEP_1)
	v_and_b32_e32 v35, 7, v74
; %bb.136:                              ;   in Loop: Header=BB272_11 Depth=1
	s_or_b32 exec_lo, exec_lo, s44
	v_lshlrev_b32_e32 v74, 24, v76
	s_delay_alu instid0(VALU_DEP_2) | instskip(SKIP_1) | instid1(VALU_DEP_3)
	v_lshlrev_b32_e32 v35, 20, v35
	v_lshl_add_u32 v73, v73, 23, 0x3c000000
	v_and_b32_e32 v74, 0x80000000, v74
	s_delay_alu instid0(VALU_DEP_1)
	v_or3_b32 v74, v35, v74, v73
	v_mov_b32_e32 v73, v36
.LBB272_137:                            ;   in Loop: Header=BB272_11 Depth=1
	s_or_b32 exec_lo, exec_lo, s8
.LBB272_138:                            ;   in Loop: Header=BB272_11 Depth=1
	s_delay_alu instid0(SALU_CYCLE_1)
	s_or_b32 exec_lo, exec_lo, s43
.LBB272_139:                            ;   in Loop: Header=BB272_11 Depth=1
	s_delay_alu instid0(SALU_CYCLE_1)
	s_or_b32 exec_lo, exec_lo, s1
	global_load_b32 v83, v[53:54], off offset:512
	v_mov_b32_e32 v77, 0
	v_mov_b32_e32 v78, 0
	s_mov_b32 s1, exec_lo
	s_waitcnt vmcnt(0)
	v_and_b32_e32 v35, 0xff, v83
	s_delay_alu instid0(VALU_DEP_2) | instskip(NEXT) | instid1(VALU_DEP_2)
	v_dual_mov_b32 v75, v77 :: v_dual_mov_b32 v76, v78
	v_cmpx_ne_u16_e32 0, v35
	s_cbranch_execz .LBB272_147
; %bb.140:                              ;   in Loop: Header=BB272_11 Depth=1
	v_bfrev_b32_e32 v75, 1
	v_mov_b32_e32 v76, 0
	s_mov_b32 s8, exec_lo
	v_cmpx_ne_u16_e32 0x80, v35
	s_cbranch_execz .LBB272_146
; %bb.141:                              ;   in Loop: Header=BB272_11 Depth=1
	v_mov_b32_e32 v75, 0x7f800001
	v_dual_mov_b32 v76, 0 :: v_dual_and_b32 v79, 0x7f, v83
	s_mov_b32 s43, exec_lo
	s_delay_alu instid0(VALU_DEP_1)
	v_cmpx_ne_u32_e32 0x7f, v79
	s_cbranch_execz .LBB272_145
; %bb.142:                              ;   in Loop: Header=BB272_11 Depth=1
	v_and_b32_e32 v35, 7, v83
	v_lshrrev_b32_e32 v75, 3, v79
	s_mov_b32 s44, exec_lo
	v_cmpx_gt_u32_e32 8, v79
; %bb.143:                              ;   in Loop: Header=BB272_11 Depth=1
	s_delay_alu instid0(VALU_DEP_3) | instskip(NEXT) | instid1(VALU_DEP_1)
	v_clz_i32_u32_e32 v75, v35
	v_min_u32_e32 v75, 32, v75
	s_delay_alu instid0(VALU_DEP_1) | instskip(SKIP_1) | instid1(VALU_DEP_2)
	v_subrev_nc_u32_e32 v76, 28, v75
	v_sub_nc_u32_e32 v75, 29, v75
	v_lshlrev_b64 v[79:80], v76, v[35:36]
	s_delay_alu instid0(VALU_DEP_1)
	v_and_b32_e32 v35, 7, v79
; %bb.144:                              ;   in Loop: Header=BB272_11 Depth=1
	s_or_b32 exec_lo, exec_lo, s44
	v_lshlrev_b32_e32 v76, 24, v83
	s_delay_alu instid0(VALU_DEP_2) | instskip(SKIP_1) | instid1(VALU_DEP_3)
	v_lshlrev_b32_e32 v35, 20, v35
	v_lshl_add_u32 v75, v75, 23, 0x3c000000
	v_and_b32_e32 v76, 0x80000000, v76
	s_delay_alu instid0(VALU_DEP_1) | instskip(NEXT) | instid1(VALU_DEP_1)
	v_or3_b32 v35, v35, v76, v75
	v_dual_mov_b32 v76, v36 :: v_dual_mov_b32 v75, v35
.LBB272_145:                            ;   in Loop: Header=BB272_11 Depth=1
	s_or_b32 exec_lo, exec_lo, s43
.LBB272_146:                            ;   in Loop: Header=BB272_11 Depth=1
	s_delay_alu instid0(SALU_CYCLE_1)
	s_or_b32 exec_lo, exec_lo, s8
.LBB272_147:                            ;   in Loop: Header=BB272_11 Depth=1
	s_delay_alu instid0(SALU_CYCLE_1) | instskip(SKIP_2) | instid1(VALU_DEP_1)
	s_or_b32 exec_lo, exec_lo, s1
	v_lshrrev_b16 v35, 8, v83
	s_mov_b32 s1, exec_lo
	v_cmpx_ne_u16_e32 0, v35
	s_cbranch_execz .LBB272_155
; %bb.148:                              ;   in Loop: Header=BB272_11 Depth=1
	v_dual_mov_b32 v78, s7 :: v_dual_mov_b32 v77, s6
	s_mov_b32 s43, exec_lo
	v_cmpx_ne_u16_e32 0x80, v35
	s_cbranch_execz .LBB272_154
; %bb.149:                              ;   in Loop: Header=BB272_11 Depth=1
	s_mov_b32 s8, s6
	v_dual_mov_b32 v78, s9 :: v_dual_and_b32 v35, 0xffff, v35
	v_mov_b32_e32 v77, s8
	s_mov_b32 s8, exec_lo
	s_delay_alu instid0(VALU_DEP_2) | instskip(NEXT) | instid1(VALU_DEP_1)
	v_and_b32_e32 v79, 0x7f, v35
	v_cmpx_ne_u32_e32 0x7f, v79
	s_cbranch_execz .LBB272_153
; %bb.150:                              ;   in Loop: Header=BB272_11 Depth=1
	v_and_b32_e32 v35, 7, v35
	v_lshrrev_b32_e32 v77, 3, v79
	s_mov_b32 s44, exec_lo
	v_cmpx_gt_u32_e32 8, v79
; %bb.151:                              ;   in Loop: Header=BB272_11 Depth=1
	s_delay_alu instid0(VALU_DEP_3) | instskip(NEXT) | instid1(VALU_DEP_1)
	v_clz_i32_u32_e32 v77, v35
	v_min_u32_e32 v77, 32, v77
	s_delay_alu instid0(VALU_DEP_1) | instskip(SKIP_1) | instid1(VALU_DEP_2)
	v_subrev_nc_u32_e32 v78, 28, v77
	v_sub_nc_u32_e32 v77, 29, v77
	v_lshlrev_b64 v[78:79], v78, v[35:36]
	s_delay_alu instid0(VALU_DEP_1)
	v_and_b32_e32 v35, 7, v78
; %bb.152:                              ;   in Loop: Header=BB272_11 Depth=1
	s_or_b32 exec_lo, exec_lo, s44
	v_lshlrev_b32_e32 v78, 16, v83
	s_delay_alu instid0(VALU_DEP_2) | instskip(SKIP_1) | instid1(VALU_DEP_3)
	v_lshlrev_b32_e32 v35, 20, v35
	v_lshl_add_u32 v77, v77, 23, 0x3c000000
	v_and_b32_e32 v78, 0x80000000, v78
	s_delay_alu instid0(VALU_DEP_1)
	v_or3_b32 v78, v35, v78, v77
	v_mov_b32_e32 v77, v36
.LBB272_153:                            ;   in Loop: Header=BB272_11 Depth=1
	s_or_b32 exec_lo, exec_lo, s8
.LBB272_154:                            ;   in Loop: Header=BB272_11 Depth=1
	s_delay_alu instid0(SALU_CYCLE_1)
	s_or_b32 exec_lo, exec_lo, s43
.LBB272_155:                            ;   in Loop: Header=BB272_11 Depth=1
	s_delay_alu instid0(SALU_CYCLE_1) | instskip(SKIP_4) | instid1(VALU_DEP_2)
	s_or_b32 exec_lo, exec_lo, s1
	v_mov_b32_e32 v81, 0
	v_lshrrev_b32_e32 v84, 16, v83
	v_mov_b32_e32 v82, 0
	s_mov_b32 s1, exec_lo
	v_and_b32_e32 v35, 0xff, v84
	s_delay_alu instid0(VALU_DEP_2) | instskip(NEXT) | instid1(VALU_DEP_2)
	v_dual_mov_b32 v79, v81 :: v_dual_mov_b32 v80, v82
	v_cmpx_ne_u16_e32 0, v35
	s_cbranch_execz .LBB272_163
; %bb.156:                              ;   in Loop: Header=BB272_11 Depth=1
	v_bfrev_b32_e32 v79, 1
	v_mov_b32_e32 v80, 0
	s_mov_b32 s8, exec_lo
	v_cmpx_ne_u16_e32 0x80, v35
	s_cbranch_execz .LBB272_162
; %bb.157:                              ;   in Loop: Header=BB272_11 Depth=1
	v_mov_b32_e32 v79, 0x7f800001
	v_bfe_u32 v85, v83, 16, 7
	v_mov_b32_e32 v80, 0
	s_mov_b32 s43, exec_lo
	s_delay_alu instid0(VALU_DEP_2)
	v_cmpx_ne_u32_e32 0x7f, v85
	s_cbranch_execz .LBB272_161
; %bb.158:                              ;   in Loop: Header=BB272_11 Depth=1
	v_and_b32_e32 v35, 7, v84
	v_lshrrev_b32_e32 v79, 3, v85
	s_mov_b32 s44, exec_lo
	v_cmpx_gt_u32_e32 8, v85
; %bb.159:                              ;   in Loop: Header=BB272_11 Depth=1
	s_delay_alu instid0(VALU_DEP_3) | instskip(NEXT) | instid1(VALU_DEP_1)
	v_clz_i32_u32_e32 v79, v35
	v_min_u32_e32 v79, 32, v79
	s_delay_alu instid0(VALU_DEP_1) | instskip(SKIP_1) | instid1(VALU_DEP_2)
	v_subrev_nc_u32_e32 v80, 28, v79
	v_sub_nc_u32_e32 v79, 29, v79
	v_lshlrev_b64 v[85:86], v80, v[35:36]
	s_delay_alu instid0(VALU_DEP_1)
	v_and_b32_e32 v35, 7, v85
; %bb.160:                              ;   in Loop: Header=BB272_11 Depth=1
	s_or_b32 exec_lo, exec_lo, s44
	v_lshlrev_b32_e32 v80, 24, v84
	s_delay_alu instid0(VALU_DEP_2) | instskip(SKIP_1) | instid1(VALU_DEP_3)
	v_lshlrev_b32_e32 v35, 20, v35
	v_lshl_add_u32 v79, v79, 23, 0x3c000000
	v_and_b32_e32 v80, 0x80000000, v80
	s_delay_alu instid0(VALU_DEP_1) | instskip(NEXT) | instid1(VALU_DEP_1)
	v_or3_b32 v35, v35, v80, v79
	v_dual_mov_b32 v80, v36 :: v_dual_mov_b32 v79, v35
.LBB272_161:                            ;   in Loop: Header=BB272_11 Depth=1
	s_or_b32 exec_lo, exec_lo, s43
.LBB272_162:                            ;   in Loop: Header=BB272_11 Depth=1
	s_delay_alu instid0(SALU_CYCLE_1)
	s_or_b32 exec_lo, exec_lo, s8
.LBB272_163:                            ;   in Loop: Header=BB272_11 Depth=1
	s_delay_alu instid0(SALU_CYCLE_1) | instskip(NEXT) | instid1(SALU_CYCLE_1)
	s_or_b32 exec_lo, exec_lo, s1
	s_mov_b32 s1, exec_lo
	v_cmpx_lt_u32_e32 0xffffff, v83
	s_cbranch_execz .LBB272_171
; %bb.164:                              ;   in Loop: Header=BB272_11 Depth=1
	v_lshrrev_b32_e32 v84, 24, v83
	v_dual_mov_b32 v82, s7 :: v_dual_mov_b32 v81, s6
	s_mov_b32 s43, exec_lo
	s_delay_alu instid0(VALU_DEP_2)
	v_cmpx_ne_u32_e32 0x80, v84
	s_cbranch_execz .LBB272_170
; %bb.165:                              ;   in Loop: Header=BB272_11 Depth=1
	s_mov_b32 s8, s6
	v_bfe_u32 v83, v83, 24, 7
	v_dual_mov_b32 v82, s9 :: v_dual_mov_b32 v81, s8
	s_mov_b32 s8, exec_lo
	s_delay_alu instid0(VALU_DEP_2)
	v_cmpx_ne_u32_e32 0x7f, v83
	s_cbranch_execz .LBB272_169
; %bb.166:                              ;   in Loop: Header=BB272_11 Depth=1
	v_and_b32_e32 v35, 7, v84
	v_lshrrev_b32_e32 v81, 3, v83
	s_mov_b32 s44, exec_lo
	v_cmpx_gt_u32_e32 8, v83
; %bb.167:                              ;   in Loop: Header=BB272_11 Depth=1
	s_delay_alu instid0(VALU_DEP_3) | instskip(NEXT) | instid1(VALU_DEP_1)
	v_clz_i32_u32_e32 v81, v35
	v_min_u32_e32 v81, 32, v81
	s_delay_alu instid0(VALU_DEP_1) | instskip(SKIP_1) | instid1(VALU_DEP_2)
	v_subrev_nc_u32_e32 v82, 28, v81
	v_sub_nc_u32_e32 v81, 29, v81
	v_lshlrev_b64 v[82:83], v82, v[35:36]
	s_delay_alu instid0(VALU_DEP_1)
	v_and_b32_e32 v35, 7, v82
; %bb.168:                              ;   in Loop: Header=BB272_11 Depth=1
	s_or_b32 exec_lo, exec_lo, s44
	v_lshlrev_b32_e32 v82, 24, v84
	s_delay_alu instid0(VALU_DEP_2) | instskip(SKIP_1) | instid1(VALU_DEP_3)
	v_lshlrev_b32_e32 v35, 20, v35
	v_lshl_add_u32 v81, v81, 23, 0x3c000000
	v_and_b32_e32 v82, 0x80000000, v82
	s_delay_alu instid0(VALU_DEP_1)
	v_or3_b32 v82, v35, v82, v81
	v_mov_b32_e32 v81, v36
.LBB272_169:                            ;   in Loop: Header=BB272_11 Depth=1
	s_or_b32 exec_lo, exec_lo, s8
.LBB272_170:                            ;   in Loop: Header=BB272_11 Depth=1
	s_delay_alu instid0(SALU_CYCLE_1)
	s_or_b32 exec_lo, exec_lo, s43
.LBB272_171:                            ;   in Loop: Header=BB272_11 Depth=1
	s_delay_alu instid0(SALU_CYCLE_1)
	s_or_b32 exec_lo, exec_lo, s1
	global_load_b32 v91, v[53:54], off offset:516
	v_mov_b32_e32 v85, 0
	v_mov_b32_e32 v86, 0
	s_mov_b32 s1, exec_lo
	s_waitcnt vmcnt(0)
	v_and_b32_e32 v35, 0xff, v91
	s_delay_alu instid0(VALU_DEP_2) | instskip(NEXT) | instid1(VALU_DEP_2)
	v_dual_mov_b32 v83, v85 :: v_dual_mov_b32 v84, v86
	v_cmpx_ne_u16_e32 0, v35
	s_cbranch_execz .LBB272_179
; %bb.172:                              ;   in Loop: Header=BB272_11 Depth=1
	v_bfrev_b32_e32 v83, 1
	v_mov_b32_e32 v84, 0
	s_mov_b32 s8, exec_lo
	v_cmpx_ne_u16_e32 0x80, v35
	s_cbranch_execz .LBB272_178
; %bb.173:                              ;   in Loop: Header=BB272_11 Depth=1
	v_mov_b32_e32 v83, 0x7f800001
	v_dual_mov_b32 v84, 0 :: v_dual_and_b32 v87, 0x7f, v91
	s_mov_b32 s43, exec_lo
	s_delay_alu instid0(VALU_DEP_1)
	v_cmpx_ne_u32_e32 0x7f, v87
	s_cbranch_execz .LBB272_177
; %bb.174:                              ;   in Loop: Header=BB272_11 Depth=1
	v_and_b32_e32 v35, 7, v91
	v_lshrrev_b32_e32 v83, 3, v87
	s_mov_b32 s44, exec_lo
	v_cmpx_gt_u32_e32 8, v87
; %bb.175:                              ;   in Loop: Header=BB272_11 Depth=1
	s_delay_alu instid0(VALU_DEP_3) | instskip(NEXT) | instid1(VALU_DEP_1)
	v_clz_i32_u32_e32 v83, v35
	v_min_u32_e32 v83, 32, v83
	s_delay_alu instid0(VALU_DEP_1) | instskip(SKIP_1) | instid1(VALU_DEP_2)
	v_subrev_nc_u32_e32 v84, 28, v83
	v_sub_nc_u32_e32 v83, 29, v83
	v_lshlrev_b64 v[87:88], v84, v[35:36]
	s_delay_alu instid0(VALU_DEP_1)
	v_and_b32_e32 v35, 7, v87
; %bb.176:                              ;   in Loop: Header=BB272_11 Depth=1
	s_or_b32 exec_lo, exec_lo, s44
	v_lshlrev_b32_e32 v84, 24, v91
	s_delay_alu instid0(VALU_DEP_2) | instskip(SKIP_1) | instid1(VALU_DEP_3)
	v_lshlrev_b32_e32 v35, 20, v35
	v_lshl_add_u32 v83, v83, 23, 0x3c000000
	v_and_b32_e32 v84, 0x80000000, v84
	s_delay_alu instid0(VALU_DEP_1) | instskip(NEXT) | instid1(VALU_DEP_1)
	v_or3_b32 v35, v35, v84, v83
	v_dual_mov_b32 v84, v36 :: v_dual_mov_b32 v83, v35
.LBB272_177:                            ;   in Loop: Header=BB272_11 Depth=1
	s_or_b32 exec_lo, exec_lo, s43
.LBB272_178:                            ;   in Loop: Header=BB272_11 Depth=1
	s_delay_alu instid0(SALU_CYCLE_1)
	s_or_b32 exec_lo, exec_lo, s8
.LBB272_179:                            ;   in Loop: Header=BB272_11 Depth=1
	s_delay_alu instid0(SALU_CYCLE_1) | instskip(SKIP_2) | instid1(VALU_DEP_1)
	s_or_b32 exec_lo, exec_lo, s1
	v_lshrrev_b16 v35, 8, v91
	s_mov_b32 s1, exec_lo
	v_cmpx_ne_u16_e32 0, v35
	s_cbranch_execz .LBB272_187
; %bb.180:                              ;   in Loop: Header=BB272_11 Depth=1
	v_dual_mov_b32 v86, s7 :: v_dual_mov_b32 v85, s6
	s_mov_b32 s43, exec_lo
	v_cmpx_ne_u16_e32 0x80, v35
	s_cbranch_execz .LBB272_186
; %bb.181:                              ;   in Loop: Header=BB272_11 Depth=1
	s_mov_b32 s8, s6
	v_dual_mov_b32 v86, s9 :: v_dual_and_b32 v35, 0xffff, v35
	v_mov_b32_e32 v85, s8
	s_mov_b32 s8, exec_lo
	s_delay_alu instid0(VALU_DEP_2) | instskip(NEXT) | instid1(VALU_DEP_1)
	v_and_b32_e32 v87, 0x7f, v35
	v_cmpx_ne_u32_e32 0x7f, v87
	s_cbranch_execz .LBB272_185
; %bb.182:                              ;   in Loop: Header=BB272_11 Depth=1
	v_and_b32_e32 v35, 7, v35
	v_lshrrev_b32_e32 v85, 3, v87
	s_mov_b32 s44, exec_lo
	v_cmpx_gt_u32_e32 8, v87
; %bb.183:                              ;   in Loop: Header=BB272_11 Depth=1
	s_delay_alu instid0(VALU_DEP_3) | instskip(NEXT) | instid1(VALU_DEP_1)
	v_clz_i32_u32_e32 v85, v35
	v_min_u32_e32 v85, 32, v85
	s_delay_alu instid0(VALU_DEP_1) | instskip(SKIP_1) | instid1(VALU_DEP_2)
	v_subrev_nc_u32_e32 v86, 28, v85
	v_sub_nc_u32_e32 v85, 29, v85
	v_lshlrev_b64 v[86:87], v86, v[35:36]
	s_delay_alu instid0(VALU_DEP_1)
	v_and_b32_e32 v35, 7, v86
; %bb.184:                              ;   in Loop: Header=BB272_11 Depth=1
	s_or_b32 exec_lo, exec_lo, s44
	v_lshlrev_b32_e32 v86, 16, v91
	s_delay_alu instid0(VALU_DEP_2) | instskip(SKIP_1) | instid1(VALU_DEP_3)
	v_lshlrev_b32_e32 v35, 20, v35
	v_lshl_add_u32 v85, v85, 23, 0x3c000000
	v_and_b32_e32 v86, 0x80000000, v86
	s_delay_alu instid0(VALU_DEP_1)
	v_or3_b32 v86, v35, v86, v85
	v_mov_b32_e32 v85, v36
.LBB272_185:                            ;   in Loop: Header=BB272_11 Depth=1
	s_or_b32 exec_lo, exec_lo, s8
.LBB272_186:                            ;   in Loop: Header=BB272_11 Depth=1
	s_delay_alu instid0(SALU_CYCLE_1)
	s_or_b32 exec_lo, exec_lo, s43
.LBB272_187:                            ;   in Loop: Header=BB272_11 Depth=1
	s_delay_alu instid0(SALU_CYCLE_1) | instskip(SKIP_4) | instid1(VALU_DEP_2)
	s_or_b32 exec_lo, exec_lo, s1
	v_mov_b32_e32 v89, 0
	v_lshrrev_b32_e32 v92, 16, v91
	v_mov_b32_e32 v90, 0
	s_mov_b32 s1, exec_lo
	v_and_b32_e32 v35, 0xff, v92
	s_delay_alu instid0(VALU_DEP_2) | instskip(NEXT) | instid1(VALU_DEP_2)
	v_dual_mov_b32 v87, v89 :: v_dual_mov_b32 v88, v90
	v_cmpx_ne_u16_e32 0, v35
	s_cbranch_execz .LBB272_195
; %bb.188:                              ;   in Loop: Header=BB272_11 Depth=1
	v_bfrev_b32_e32 v87, 1
	v_mov_b32_e32 v88, 0
	s_mov_b32 s8, exec_lo
	v_cmpx_ne_u16_e32 0x80, v35
	s_cbranch_execz .LBB272_194
; %bb.189:                              ;   in Loop: Header=BB272_11 Depth=1
	v_mov_b32_e32 v87, 0x7f800001
	v_bfe_u32 v93, v91, 16, 7
	v_mov_b32_e32 v88, 0
	s_mov_b32 s43, exec_lo
	s_delay_alu instid0(VALU_DEP_2)
	v_cmpx_ne_u32_e32 0x7f, v93
	s_cbranch_execz .LBB272_193
; %bb.190:                              ;   in Loop: Header=BB272_11 Depth=1
	v_and_b32_e32 v35, 7, v92
	v_lshrrev_b32_e32 v87, 3, v93
	s_mov_b32 s44, exec_lo
	v_cmpx_gt_u32_e32 8, v93
; %bb.191:                              ;   in Loop: Header=BB272_11 Depth=1
	s_delay_alu instid0(VALU_DEP_3) | instskip(NEXT) | instid1(VALU_DEP_1)
	v_clz_i32_u32_e32 v87, v35
	v_min_u32_e32 v87, 32, v87
	s_delay_alu instid0(VALU_DEP_1) | instskip(SKIP_1) | instid1(VALU_DEP_2)
	v_subrev_nc_u32_e32 v88, 28, v87
	v_sub_nc_u32_e32 v87, 29, v87
	v_lshlrev_b64 v[93:94], v88, v[35:36]
	s_delay_alu instid0(VALU_DEP_1)
	v_and_b32_e32 v35, 7, v93
; %bb.192:                              ;   in Loop: Header=BB272_11 Depth=1
	s_or_b32 exec_lo, exec_lo, s44
	v_lshlrev_b32_e32 v88, 24, v92
	s_delay_alu instid0(VALU_DEP_2) | instskip(SKIP_1) | instid1(VALU_DEP_3)
	v_lshlrev_b32_e32 v35, 20, v35
	v_lshl_add_u32 v87, v87, 23, 0x3c000000
	v_and_b32_e32 v88, 0x80000000, v88
	s_delay_alu instid0(VALU_DEP_1) | instskip(NEXT) | instid1(VALU_DEP_1)
	v_or3_b32 v35, v35, v88, v87
	v_dual_mov_b32 v88, v36 :: v_dual_mov_b32 v87, v35
.LBB272_193:                            ;   in Loop: Header=BB272_11 Depth=1
	s_or_b32 exec_lo, exec_lo, s43
.LBB272_194:                            ;   in Loop: Header=BB272_11 Depth=1
	s_delay_alu instid0(SALU_CYCLE_1)
	s_or_b32 exec_lo, exec_lo, s8
.LBB272_195:                            ;   in Loop: Header=BB272_11 Depth=1
	s_delay_alu instid0(SALU_CYCLE_1) | instskip(NEXT) | instid1(SALU_CYCLE_1)
	s_or_b32 exec_lo, exec_lo, s1
	s_mov_b32 s1, exec_lo
	v_cmpx_lt_u32_e32 0xffffff, v91
	s_cbranch_execz .LBB272_203
; %bb.196:                              ;   in Loop: Header=BB272_11 Depth=1
	v_lshrrev_b32_e32 v92, 24, v91
	v_dual_mov_b32 v90, s7 :: v_dual_mov_b32 v89, s6
	s_mov_b32 s43, exec_lo
	s_delay_alu instid0(VALU_DEP_2)
	v_cmpx_ne_u32_e32 0x80, v92
	s_cbranch_execz .LBB272_202
; %bb.197:                              ;   in Loop: Header=BB272_11 Depth=1
	s_mov_b32 s8, s6
	v_bfe_u32 v91, v91, 24, 7
	v_dual_mov_b32 v90, s9 :: v_dual_mov_b32 v89, s8
	s_mov_b32 s8, exec_lo
	s_delay_alu instid0(VALU_DEP_2)
	v_cmpx_ne_u32_e32 0x7f, v91
	s_cbranch_execz .LBB272_201
; %bb.198:                              ;   in Loop: Header=BB272_11 Depth=1
	v_and_b32_e32 v35, 7, v92
	v_lshrrev_b32_e32 v89, 3, v91
	s_mov_b32 s44, exec_lo
	v_cmpx_gt_u32_e32 8, v91
; %bb.199:                              ;   in Loop: Header=BB272_11 Depth=1
	s_delay_alu instid0(VALU_DEP_3) | instskip(NEXT) | instid1(VALU_DEP_1)
	v_clz_i32_u32_e32 v89, v35
	v_min_u32_e32 v89, 32, v89
	s_delay_alu instid0(VALU_DEP_1) | instskip(SKIP_1) | instid1(VALU_DEP_2)
	v_subrev_nc_u32_e32 v90, 28, v89
	v_sub_nc_u32_e32 v89, 29, v89
	v_lshlrev_b64 v[90:91], v90, v[35:36]
	s_delay_alu instid0(VALU_DEP_1)
	v_and_b32_e32 v35, 7, v90
; %bb.200:                              ;   in Loop: Header=BB272_11 Depth=1
	s_or_b32 exec_lo, exec_lo, s44
	v_lshlrev_b32_e32 v90, 24, v92
	s_delay_alu instid0(VALU_DEP_2) | instskip(SKIP_1) | instid1(VALU_DEP_3)
	v_lshlrev_b32_e32 v35, 20, v35
	v_lshl_add_u32 v89, v89, 23, 0x3c000000
	v_and_b32_e32 v90, 0x80000000, v90
	s_delay_alu instid0(VALU_DEP_1)
	v_or3_b32 v90, v35, v90, v89
	v_mov_b32_e32 v89, v36
.LBB272_201:                            ;   in Loop: Header=BB272_11 Depth=1
	s_or_b32 exec_lo, exec_lo, s8
.LBB272_202:                            ;   in Loop: Header=BB272_11 Depth=1
	s_delay_alu instid0(SALU_CYCLE_1)
	s_or_b32 exec_lo, exec_lo, s43
.LBB272_203:                            ;   in Loop: Header=BB272_11 Depth=1
	s_delay_alu instid0(SALU_CYCLE_1)
	s_or_b32 exec_lo, exec_lo, s1
	global_load_b32 v99, v[53:54], off offset:520
	v_mov_b32_e32 v93, 0
	v_mov_b32_e32 v94, 0
	s_mov_b32 s1, exec_lo
	s_waitcnt vmcnt(0)
	v_and_b32_e32 v35, 0xff, v99
	s_delay_alu instid0(VALU_DEP_2) | instskip(NEXT) | instid1(VALU_DEP_2)
	v_dual_mov_b32 v91, v93 :: v_dual_mov_b32 v92, v94
	v_cmpx_ne_u16_e32 0, v35
	s_cbranch_execz .LBB272_211
; %bb.204:                              ;   in Loop: Header=BB272_11 Depth=1
	v_bfrev_b32_e32 v91, 1
	v_mov_b32_e32 v92, 0
	s_mov_b32 s8, exec_lo
	v_cmpx_ne_u16_e32 0x80, v35
	s_cbranch_execz .LBB272_210
; %bb.205:                              ;   in Loop: Header=BB272_11 Depth=1
	v_mov_b32_e32 v91, 0x7f800001
	v_dual_mov_b32 v92, 0 :: v_dual_and_b32 v95, 0x7f, v99
	s_mov_b32 s43, exec_lo
	s_delay_alu instid0(VALU_DEP_1)
	v_cmpx_ne_u32_e32 0x7f, v95
	s_cbranch_execz .LBB272_209
; %bb.206:                              ;   in Loop: Header=BB272_11 Depth=1
	v_and_b32_e32 v35, 7, v99
	v_lshrrev_b32_e32 v91, 3, v95
	s_mov_b32 s44, exec_lo
	v_cmpx_gt_u32_e32 8, v95
; %bb.207:                              ;   in Loop: Header=BB272_11 Depth=1
	s_delay_alu instid0(VALU_DEP_3) | instskip(NEXT) | instid1(VALU_DEP_1)
	v_clz_i32_u32_e32 v91, v35
	v_min_u32_e32 v91, 32, v91
	s_delay_alu instid0(VALU_DEP_1) | instskip(SKIP_1) | instid1(VALU_DEP_2)
	v_subrev_nc_u32_e32 v92, 28, v91
	v_sub_nc_u32_e32 v91, 29, v91
	v_lshlrev_b64 v[95:96], v92, v[35:36]
	s_delay_alu instid0(VALU_DEP_1)
	v_and_b32_e32 v35, 7, v95
; %bb.208:                              ;   in Loop: Header=BB272_11 Depth=1
	s_or_b32 exec_lo, exec_lo, s44
	v_lshlrev_b32_e32 v92, 24, v99
	s_delay_alu instid0(VALU_DEP_2) | instskip(SKIP_1) | instid1(VALU_DEP_3)
	v_lshlrev_b32_e32 v35, 20, v35
	v_lshl_add_u32 v91, v91, 23, 0x3c000000
	v_and_b32_e32 v92, 0x80000000, v92
	s_delay_alu instid0(VALU_DEP_1) | instskip(NEXT) | instid1(VALU_DEP_1)
	v_or3_b32 v35, v35, v92, v91
	v_dual_mov_b32 v92, v36 :: v_dual_mov_b32 v91, v35
.LBB272_209:                            ;   in Loop: Header=BB272_11 Depth=1
	s_or_b32 exec_lo, exec_lo, s43
.LBB272_210:                            ;   in Loop: Header=BB272_11 Depth=1
	s_delay_alu instid0(SALU_CYCLE_1)
	s_or_b32 exec_lo, exec_lo, s8
.LBB272_211:                            ;   in Loop: Header=BB272_11 Depth=1
	s_delay_alu instid0(SALU_CYCLE_1) | instskip(SKIP_2) | instid1(VALU_DEP_1)
	s_or_b32 exec_lo, exec_lo, s1
	v_lshrrev_b16 v35, 8, v99
	s_mov_b32 s1, exec_lo
	v_cmpx_ne_u16_e32 0, v35
	s_cbranch_execz .LBB272_219
; %bb.212:                              ;   in Loop: Header=BB272_11 Depth=1
	v_dual_mov_b32 v94, s7 :: v_dual_mov_b32 v93, s6
	s_mov_b32 s43, exec_lo
	v_cmpx_ne_u16_e32 0x80, v35
	s_cbranch_execz .LBB272_218
; %bb.213:                              ;   in Loop: Header=BB272_11 Depth=1
	s_mov_b32 s8, s6
	v_dual_mov_b32 v94, s9 :: v_dual_and_b32 v35, 0xffff, v35
	v_mov_b32_e32 v93, s8
	s_mov_b32 s8, exec_lo
	s_delay_alu instid0(VALU_DEP_2) | instskip(NEXT) | instid1(VALU_DEP_1)
	v_and_b32_e32 v95, 0x7f, v35
	v_cmpx_ne_u32_e32 0x7f, v95
	s_cbranch_execz .LBB272_217
; %bb.214:                              ;   in Loop: Header=BB272_11 Depth=1
	v_and_b32_e32 v35, 7, v35
	v_lshrrev_b32_e32 v93, 3, v95
	s_mov_b32 s44, exec_lo
	v_cmpx_gt_u32_e32 8, v95
; %bb.215:                              ;   in Loop: Header=BB272_11 Depth=1
	s_delay_alu instid0(VALU_DEP_3) | instskip(NEXT) | instid1(VALU_DEP_1)
	v_clz_i32_u32_e32 v93, v35
	v_min_u32_e32 v93, 32, v93
	s_delay_alu instid0(VALU_DEP_1) | instskip(SKIP_1) | instid1(VALU_DEP_2)
	v_subrev_nc_u32_e32 v94, 28, v93
	v_sub_nc_u32_e32 v93, 29, v93
	v_lshlrev_b64 v[94:95], v94, v[35:36]
	s_delay_alu instid0(VALU_DEP_1)
	v_and_b32_e32 v35, 7, v94
; %bb.216:                              ;   in Loop: Header=BB272_11 Depth=1
	s_or_b32 exec_lo, exec_lo, s44
	v_lshlrev_b32_e32 v94, 16, v99
	s_delay_alu instid0(VALU_DEP_2) | instskip(SKIP_1) | instid1(VALU_DEP_3)
	v_lshlrev_b32_e32 v35, 20, v35
	v_lshl_add_u32 v93, v93, 23, 0x3c000000
	v_and_b32_e32 v94, 0x80000000, v94
	s_delay_alu instid0(VALU_DEP_1)
	v_or3_b32 v94, v35, v94, v93
	v_mov_b32_e32 v93, v36
.LBB272_217:                            ;   in Loop: Header=BB272_11 Depth=1
	s_or_b32 exec_lo, exec_lo, s8
.LBB272_218:                            ;   in Loop: Header=BB272_11 Depth=1
	s_delay_alu instid0(SALU_CYCLE_1)
	s_or_b32 exec_lo, exec_lo, s43
.LBB272_219:                            ;   in Loop: Header=BB272_11 Depth=1
	s_delay_alu instid0(SALU_CYCLE_1) | instskip(SKIP_4) | instid1(VALU_DEP_2)
	s_or_b32 exec_lo, exec_lo, s1
	v_mov_b32_e32 v97, 0
	v_lshrrev_b32_e32 v100, 16, v99
	v_mov_b32_e32 v98, 0
	s_mov_b32 s1, exec_lo
	v_and_b32_e32 v35, 0xff, v100
	s_delay_alu instid0(VALU_DEP_2) | instskip(NEXT) | instid1(VALU_DEP_2)
	v_dual_mov_b32 v95, v97 :: v_dual_mov_b32 v96, v98
	v_cmpx_ne_u16_e32 0, v35
	s_cbranch_execz .LBB272_227
; %bb.220:                              ;   in Loop: Header=BB272_11 Depth=1
	v_bfrev_b32_e32 v95, 1
	v_mov_b32_e32 v96, 0
	s_mov_b32 s8, exec_lo
	v_cmpx_ne_u16_e32 0x80, v35
	s_cbranch_execz .LBB272_226
; %bb.221:                              ;   in Loop: Header=BB272_11 Depth=1
	v_mov_b32_e32 v95, 0x7f800001
	v_bfe_u32 v101, v99, 16, 7
	v_mov_b32_e32 v96, 0
	s_mov_b32 s43, exec_lo
	s_delay_alu instid0(VALU_DEP_2)
	v_cmpx_ne_u32_e32 0x7f, v101
	s_cbranch_execz .LBB272_225
; %bb.222:                              ;   in Loop: Header=BB272_11 Depth=1
	v_and_b32_e32 v35, 7, v100
	v_lshrrev_b32_e32 v95, 3, v101
	s_mov_b32 s44, exec_lo
	v_cmpx_gt_u32_e32 8, v101
; %bb.223:                              ;   in Loop: Header=BB272_11 Depth=1
	s_delay_alu instid0(VALU_DEP_3) | instskip(NEXT) | instid1(VALU_DEP_1)
	v_clz_i32_u32_e32 v95, v35
	v_min_u32_e32 v95, 32, v95
	s_delay_alu instid0(VALU_DEP_1) | instskip(SKIP_1) | instid1(VALU_DEP_2)
	v_subrev_nc_u32_e32 v96, 28, v95
	v_sub_nc_u32_e32 v95, 29, v95
	v_lshlrev_b64 v[101:102], v96, v[35:36]
	s_delay_alu instid0(VALU_DEP_1)
	v_and_b32_e32 v35, 7, v101
; %bb.224:                              ;   in Loop: Header=BB272_11 Depth=1
	s_or_b32 exec_lo, exec_lo, s44
	v_lshlrev_b32_e32 v96, 24, v100
	s_delay_alu instid0(VALU_DEP_2) | instskip(SKIP_1) | instid1(VALU_DEP_3)
	v_lshlrev_b32_e32 v35, 20, v35
	v_lshl_add_u32 v95, v95, 23, 0x3c000000
	v_and_b32_e32 v96, 0x80000000, v96
	s_delay_alu instid0(VALU_DEP_1) | instskip(NEXT) | instid1(VALU_DEP_1)
	v_or3_b32 v35, v35, v96, v95
	v_dual_mov_b32 v96, v36 :: v_dual_mov_b32 v95, v35
.LBB272_225:                            ;   in Loop: Header=BB272_11 Depth=1
	s_or_b32 exec_lo, exec_lo, s43
.LBB272_226:                            ;   in Loop: Header=BB272_11 Depth=1
	s_delay_alu instid0(SALU_CYCLE_1)
	s_or_b32 exec_lo, exec_lo, s8
.LBB272_227:                            ;   in Loop: Header=BB272_11 Depth=1
	s_delay_alu instid0(SALU_CYCLE_1) | instskip(NEXT) | instid1(SALU_CYCLE_1)
	s_or_b32 exec_lo, exec_lo, s1
	s_mov_b32 s1, exec_lo
	v_cmpx_lt_u32_e32 0xffffff, v99
	s_cbranch_execz .LBB272_235
; %bb.228:                              ;   in Loop: Header=BB272_11 Depth=1
	v_lshrrev_b32_e32 v100, 24, v99
	v_dual_mov_b32 v98, s7 :: v_dual_mov_b32 v97, s6
	s_mov_b32 s43, exec_lo
	s_delay_alu instid0(VALU_DEP_2)
	v_cmpx_ne_u32_e32 0x80, v100
	s_cbranch_execz .LBB272_234
; %bb.229:                              ;   in Loop: Header=BB272_11 Depth=1
	s_mov_b32 s8, s6
	v_bfe_u32 v99, v99, 24, 7
	v_dual_mov_b32 v98, s9 :: v_dual_mov_b32 v97, s8
	s_mov_b32 s8, exec_lo
	s_delay_alu instid0(VALU_DEP_2)
	v_cmpx_ne_u32_e32 0x7f, v99
	s_cbranch_execz .LBB272_233
; %bb.230:                              ;   in Loop: Header=BB272_11 Depth=1
	v_and_b32_e32 v35, 7, v100
	v_lshrrev_b32_e32 v97, 3, v99
	s_mov_b32 s44, exec_lo
	v_cmpx_gt_u32_e32 8, v99
; %bb.231:                              ;   in Loop: Header=BB272_11 Depth=1
	s_delay_alu instid0(VALU_DEP_3) | instskip(NEXT) | instid1(VALU_DEP_1)
	v_clz_i32_u32_e32 v97, v35
	v_min_u32_e32 v97, 32, v97
	s_delay_alu instid0(VALU_DEP_1) | instskip(SKIP_1) | instid1(VALU_DEP_2)
	v_subrev_nc_u32_e32 v98, 28, v97
	v_sub_nc_u32_e32 v97, 29, v97
	v_lshlrev_b64 v[98:99], v98, v[35:36]
	s_delay_alu instid0(VALU_DEP_1)
	v_and_b32_e32 v35, 7, v98
; %bb.232:                              ;   in Loop: Header=BB272_11 Depth=1
	s_or_b32 exec_lo, exec_lo, s44
	v_lshlrev_b32_e32 v98, 24, v100
	s_delay_alu instid0(VALU_DEP_2) | instskip(SKIP_1) | instid1(VALU_DEP_3)
	v_lshlrev_b32_e32 v35, 20, v35
	v_lshl_add_u32 v97, v97, 23, 0x3c000000
	v_and_b32_e32 v98, 0x80000000, v98
	s_delay_alu instid0(VALU_DEP_1)
	v_or3_b32 v98, v35, v98, v97
	v_mov_b32_e32 v97, v36
.LBB272_233:                            ;   in Loop: Header=BB272_11 Depth=1
	s_or_b32 exec_lo, exec_lo, s8
.LBB272_234:                            ;   in Loop: Header=BB272_11 Depth=1
	s_delay_alu instid0(SALU_CYCLE_1)
	s_or_b32 exec_lo, exec_lo, s43
.LBB272_235:                            ;   in Loop: Header=BB272_11 Depth=1
	s_delay_alu instid0(SALU_CYCLE_1)
	s_or_b32 exec_lo, exec_lo, s1
	global_load_b32 v112, v[53:54], off offset:524
	v_mov_b32_e32 v99, 0
	v_mov_b32_e32 v100, 0
	s_mov_b32 s1, exec_lo
	s_waitcnt vmcnt(0)
	v_and_b32_e32 v35, 0xff, v112
	s_delay_alu instid0(VALU_DEP_2) | instskip(NEXT) | instid1(VALU_DEP_2)
	v_dual_mov_b32 v53, v99 :: v_dual_mov_b32 v54, v100
	v_cmpx_ne_u16_e32 0, v35
	s_cbranch_execz .LBB272_243
; %bb.236:                              ;   in Loop: Header=BB272_11 Depth=1
	v_bfrev_b32_e32 v53, 1
	v_mov_b32_e32 v54, 0
	s_mov_b32 s8, exec_lo
	v_cmpx_ne_u16_e32 0x80, v35
	s_cbranch_execz .LBB272_242
; %bb.237:                              ;   in Loop: Header=BB272_11 Depth=1
	v_mov_b32_e32 v53, 0x7f800001
	v_dual_mov_b32 v54, 0 :: v_dual_and_b32 v101, 0x7f, v112
	s_mov_b32 s43, exec_lo
	s_delay_alu instid0(VALU_DEP_1)
	v_cmpx_ne_u32_e32 0x7f, v101
	s_cbranch_execz .LBB272_241
; %bb.238:                              ;   in Loop: Header=BB272_11 Depth=1
	v_and_b32_e32 v35, 7, v112
	v_lshrrev_b32_e32 v53, 3, v101
	s_mov_b32 s44, exec_lo
	v_cmpx_gt_u32_e32 8, v101
; %bb.239:                              ;   in Loop: Header=BB272_11 Depth=1
	s_delay_alu instid0(VALU_DEP_3) | instskip(NEXT) | instid1(VALU_DEP_1)
	v_clz_i32_u32_e32 v53, v35
	v_min_u32_e32 v53, 32, v53
	s_delay_alu instid0(VALU_DEP_1) | instskip(SKIP_1) | instid1(VALU_DEP_2)
	v_subrev_nc_u32_e32 v54, 28, v53
	v_sub_nc_u32_e32 v53, 29, v53
	v_lshlrev_b64 v[101:102], v54, v[35:36]
	s_delay_alu instid0(VALU_DEP_1)
	v_and_b32_e32 v35, 7, v101
; %bb.240:                              ;   in Loop: Header=BB272_11 Depth=1
	s_or_b32 exec_lo, exec_lo, s44
	v_lshlrev_b32_e32 v54, 24, v112
	s_delay_alu instid0(VALU_DEP_2) | instskip(SKIP_1) | instid1(VALU_DEP_3)
	v_lshlrev_b32_e32 v35, 20, v35
	v_lshl_add_u32 v53, v53, 23, 0x3c000000
	v_and_b32_e32 v54, 0x80000000, v54
	s_delay_alu instid0(VALU_DEP_1) | instskip(NEXT) | instid1(VALU_DEP_1)
	v_or3_b32 v35, v35, v54, v53
	v_dual_mov_b32 v54, v36 :: v_dual_mov_b32 v53, v35
.LBB272_241:                            ;   in Loop: Header=BB272_11 Depth=1
	s_or_b32 exec_lo, exec_lo, s43
.LBB272_242:                            ;   in Loop: Header=BB272_11 Depth=1
	s_delay_alu instid0(SALU_CYCLE_1)
	s_or_b32 exec_lo, exec_lo, s8
.LBB272_243:                            ;   in Loop: Header=BB272_11 Depth=1
	s_delay_alu instid0(SALU_CYCLE_1) | instskip(SKIP_2) | instid1(VALU_DEP_1)
	s_or_b32 exec_lo, exec_lo, s1
	v_lshrrev_b16 v35, 8, v112
	s_mov_b32 s1, exec_lo
	v_cmpx_ne_u16_e32 0, v35
	s_cbranch_execz .LBB272_251
; %bb.244:                              ;   in Loop: Header=BB272_11 Depth=1
	v_dual_mov_b32 v100, s7 :: v_dual_mov_b32 v99, s6
	s_mov_b32 s43, exec_lo
	v_cmpx_ne_u16_e32 0x80, v35
	s_cbranch_execz .LBB272_250
; %bb.245:                              ;   in Loop: Header=BB272_11 Depth=1
	s_mov_b32 s8, s6
	v_dual_mov_b32 v100, s9 :: v_dual_and_b32 v35, 0xffff, v35
	v_mov_b32_e32 v99, s8
	s_mov_b32 s8, exec_lo
	s_delay_alu instid0(VALU_DEP_2) | instskip(NEXT) | instid1(VALU_DEP_1)
	v_and_b32_e32 v101, 0x7f, v35
	v_cmpx_ne_u32_e32 0x7f, v101
	s_cbranch_execz .LBB272_249
; %bb.246:                              ;   in Loop: Header=BB272_11 Depth=1
	v_and_b32_e32 v35, 7, v35
	v_lshrrev_b32_e32 v99, 3, v101
	s_mov_b32 s44, exec_lo
	v_cmpx_gt_u32_e32 8, v101
; %bb.247:                              ;   in Loop: Header=BB272_11 Depth=1
	s_delay_alu instid0(VALU_DEP_3) | instskip(NEXT) | instid1(VALU_DEP_1)
	v_clz_i32_u32_e32 v99, v35
	v_min_u32_e32 v99, 32, v99
	s_delay_alu instid0(VALU_DEP_1) | instskip(SKIP_1) | instid1(VALU_DEP_2)
	v_subrev_nc_u32_e32 v100, 28, v99
	v_sub_nc_u32_e32 v99, 29, v99
	v_lshlrev_b64 v[100:101], v100, v[35:36]
	s_delay_alu instid0(VALU_DEP_1)
	v_and_b32_e32 v35, 7, v100
; %bb.248:                              ;   in Loop: Header=BB272_11 Depth=1
	s_or_b32 exec_lo, exec_lo, s44
	v_lshlrev_b32_e32 v100, 16, v112
	s_delay_alu instid0(VALU_DEP_2) | instskip(SKIP_1) | instid1(VALU_DEP_3)
	v_lshlrev_b32_e32 v35, 20, v35
	v_lshl_add_u32 v99, v99, 23, 0x3c000000
	v_and_b32_e32 v100, 0x80000000, v100
	s_delay_alu instid0(VALU_DEP_1)
	v_or3_b32 v100, v35, v100, v99
	v_mov_b32_e32 v99, v36
.LBB272_249:                            ;   in Loop: Header=BB272_11 Depth=1
	s_or_b32 exec_lo, exec_lo, s8
.LBB272_250:                            ;   in Loop: Header=BB272_11 Depth=1
	s_delay_alu instid0(SALU_CYCLE_1)
	s_or_b32 exec_lo, exec_lo, s43
.LBB272_251:                            ;   in Loop: Header=BB272_11 Depth=1
	s_delay_alu instid0(SALU_CYCLE_1) | instskip(SKIP_4) | instid1(VALU_DEP_2)
	s_or_b32 exec_lo, exec_lo, s1
	v_mov_b32_e32 v103, 0
	v_lshrrev_b32_e32 v113, 16, v112
	v_mov_b32_e32 v104, 0
	s_mov_b32 s1, exec_lo
	v_and_b32_e32 v35, 0xff, v113
	s_delay_alu instid0(VALU_DEP_2) | instskip(NEXT) | instid1(VALU_DEP_2)
	v_dual_mov_b32 v101, v103 :: v_dual_mov_b32 v102, v104
	v_cmpx_ne_u16_e32 0, v35
	s_cbranch_execz .LBB272_259
; %bb.252:                              ;   in Loop: Header=BB272_11 Depth=1
	v_bfrev_b32_e32 v101, 1
	v_mov_b32_e32 v102, 0
	s_mov_b32 s8, exec_lo
	v_cmpx_ne_u16_e32 0x80, v35
	s_cbranch_execz .LBB272_258
; %bb.253:                              ;   in Loop: Header=BB272_11 Depth=1
	v_mov_b32_e32 v101, 0x7f800001
	v_bfe_u32 v114, v112, 16, 7
	v_mov_b32_e32 v102, 0
	s_mov_b32 s43, exec_lo
	s_delay_alu instid0(VALU_DEP_2)
	v_cmpx_ne_u32_e32 0x7f, v114
	s_cbranch_execz .LBB272_257
; %bb.254:                              ;   in Loop: Header=BB272_11 Depth=1
	v_and_b32_e32 v35, 7, v113
	v_lshrrev_b32_e32 v101, 3, v114
	s_mov_b32 s44, exec_lo
	v_cmpx_gt_u32_e32 8, v114
; %bb.255:                              ;   in Loop: Header=BB272_11 Depth=1
	s_delay_alu instid0(VALU_DEP_3) | instskip(NEXT) | instid1(VALU_DEP_1)
	v_clz_i32_u32_e32 v101, v35
	v_min_u32_e32 v101, 32, v101
	s_delay_alu instid0(VALU_DEP_1) | instskip(SKIP_1) | instid1(VALU_DEP_2)
	v_subrev_nc_u32_e32 v102, 28, v101
	v_sub_nc_u32_e32 v101, 29, v101
	v_lshlrev_b64 v[114:115], v102, v[35:36]
	s_delay_alu instid0(VALU_DEP_1)
	v_and_b32_e32 v35, 7, v114
; %bb.256:                              ;   in Loop: Header=BB272_11 Depth=1
	s_or_b32 exec_lo, exec_lo, s44
	v_lshlrev_b32_e32 v102, 24, v113
	s_delay_alu instid0(VALU_DEP_2) | instskip(SKIP_1) | instid1(VALU_DEP_3)
	v_lshlrev_b32_e32 v35, 20, v35
	v_lshl_add_u32 v101, v101, 23, 0x3c000000
	v_and_b32_e32 v102, 0x80000000, v102
	s_delay_alu instid0(VALU_DEP_1) | instskip(NEXT) | instid1(VALU_DEP_1)
	v_or3_b32 v35, v35, v102, v101
	v_dual_mov_b32 v102, v36 :: v_dual_mov_b32 v101, v35
.LBB272_257:                            ;   in Loop: Header=BB272_11 Depth=1
	s_or_b32 exec_lo, exec_lo, s43
.LBB272_258:                            ;   in Loop: Header=BB272_11 Depth=1
	s_delay_alu instid0(SALU_CYCLE_1)
	s_or_b32 exec_lo, exec_lo, s8
.LBB272_259:                            ;   in Loop: Header=BB272_11 Depth=1
	s_delay_alu instid0(SALU_CYCLE_1) | instskip(NEXT) | instid1(SALU_CYCLE_1)
	s_or_b32 exec_lo, exec_lo, s1
	s_mov_b32 s1, exec_lo
	v_cmpx_lt_u32_e32 0xffffff, v112
	s_cbranch_execz .LBB272_10
; %bb.260:                              ;   in Loop: Header=BB272_11 Depth=1
	v_lshrrev_b32_e32 v113, 24, v112
	v_dual_mov_b32 v104, s7 :: v_dual_mov_b32 v103, s6
	s_mov_b32 s43, exec_lo
	s_delay_alu instid0(VALU_DEP_2)
	v_cmpx_ne_u32_e32 0x80, v113
	s_cbranch_execz .LBB272_9
; %bb.261:                              ;   in Loop: Header=BB272_11 Depth=1
	s_mov_b32 s8, s6
	v_bfe_u32 v112, v112, 24, 7
	v_dual_mov_b32 v104, s9 :: v_dual_mov_b32 v103, s8
	s_mov_b32 s8, exec_lo
	s_delay_alu instid0(VALU_DEP_2)
	v_cmpx_ne_u32_e32 0x7f, v112
	s_cbranch_execz .LBB272_8
; %bb.262:                              ;   in Loop: Header=BB272_11 Depth=1
	v_and_b32_e32 v35, 7, v113
	v_lshrrev_b32_e32 v103, 3, v112
	s_mov_b32 s44, exec_lo
	v_cmpx_gt_u32_e32 8, v112
	s_cbranch_execz .LBB272_7
; %bb.263:                              ;   in Loop: Header=BB272_11 Depth=1
	v_clz_i32_u32_e32 v103, v35
	s_delay_alu instid0(VALU_DEP_1) | instskip(NEXT) | instid1(VALU_DEP_1)
	v_min_u32_e32 v103, 32, v103
	v_subrev_nc_u32_e32 v104, 28, v103
	v_sub_nc_u32_e32 v103, 29, v103
	s_delay_alu instid0(VALU_DEP_2) | instskip(NEXT) | instid1(VALU_DEP_1)
	v_lshlrev_b64 v[114:115], v104, v[35:36]
	v_and_b32_e32 v35, 7, v114
	s_branch .LBB272_7
.LBB272_264:
	s_or_b32 exec_lo, exec_lo, s42
.LBB272_265:
	s_delay_alu instid0(SALU_CYCLE_1) | instskip(SKIP_2) | instid1(VALU_DEP_2)
	s_or_b32 exec_lo, exec_lo, s37
	v_mbcnt_lo_u32_b32 v1, -1, 0
	v_max_f32_e32 v5, v108, v108
	v_xor_b32_e32 v2, 16, v1
	v_xor_b32_e32 v4, 8, v1
	s_delay_alu instid0(VALU_DEP_2) | instskip(SKIP_1) | instid1(VALU_DEP_3)
	v_cmp_gt_i32_e32 vcc_lo, 32, v2
	v_cndmask_b32_e32 v2, v1, v2, vcc_lo
	v_cmp_gt_i32_e32 vcc_lo, 32, v4
	s_delay_alu instid0(VALU_DEP_2) | instskip(SKIP_4) | instid1(VALU_DEP_1)
	v_lshlrev_b32_e32 v2, 2, v2
	v_cndmask_b32_e32 v4, v1, v4, vcc_lo
	ds_bpermute_b32 v3, v2, v108
	s_waitcnt lgkmcnt(0)
	v_dual_max_f32 v6, v3, v3 :: v_dual_lshlrev_b32 v3, 2, v4
	v_max_f32_e32 v4, v5, v6
	v_xor_b32_e32 v6, 4, v1
	ds_bpermute_b32 v5, v3, v4
	v_cmp_gt_i32_e32 vcc_lo, 32, v6
	v_cndmask_b32_e32 v6, v1, v6, vcc_lo
	s_delay_alu instid0(VALU_DEP_1) | instskip(SKIP_1) | instid1(VALU_DEP_1)
	v_lshlrev_b32_e32 v23, 2, v6
	v_xor_b32_e32 v6, 2, v1
	v_cmp_gt_i32_e32 vcc_lo, 32, v6
	s_waitcnt lgkmcnt(0)
	v_max_f32_e32 v5, v5, v5
	v_cndmask_b32_e32 v6, v1, v6, vcc_lo
	s_delay_alu instid0(VALU_DEP_1) | instskip(SKIP_1) | instid1(VALU_DEP_1)
	v_lshlrev_b32_e32 v22, 2, v6
	v_xor_b32_e32 v6, 1, v1
	v_cmp_gt_i32_e32 vcc_lo, 32, v6
	v_cndmask_b32_e32 v6, v1, v6, vcc_lo
	v_max_f32_e32 v4, v4, v5
	v_cmp_eq_u32_e32 vcc_lo, 0, v106
	s_delay_alu instid0(VALU_DEP_3) | instskip(SKIP_3) | instid1(VALU_DEP_1)
	v_lshlrev_b32_e32 v21, 2, v6
	ds_bpermute_b32 v5, v23, v4
	s_waitcnt lgkmcnt(0)
	v_max_f32_e32 v5, v5, v5
	v_max_f32_e32 v4, v4, v5
	ds_bpermute_b32 v5, v22, v4
	s_waitcnt lgkmcnt(0)
	v_max_f32_e32 v5, v5, v5
	s_delay_alu instid0(VALU_DEP_1)
	v_max_f32_e32 v1, v4, v5
	v_lshlrev_b32_e32 v5, 2, v105
	ds_bpermute_b32 v4, v21, v1
	s_and_saveexec_b32 s0, vcc_lo
	s_cbranch_execz .LBB272_267
; %bb.266:
	s_waitcnt lgkmcnt(0)
	v_dual_max_f32 v4, v4, v4 :: v_dual_max_f32 v1, v1, v1
	s_delay_alu instid0(VALU_DEP_1)
	v_max_f32_e32 v1, v1, v4
	ds_store_b32 v5, v1 offset:128
.LBB272_267:
	s_or_b32 exec_lo, exec_lo, s0
	v_cmp_gt_u32_e64 s0, 4, v106
	v_mov_b32_e32 v1, 0xff7fffff
	s_waitcnt lgkmcnt(0)
	s_barrier
	buffer_gl0_inv
	s_and_saveexec_b32 s1, s0
	s_cbranch_execz .LBB272_269
; %bb.268:
	ds_load_b32 v1, v107 offset:128
.LBB272_269:
	s_or_b32 exec_lo, exec_lo, s1
	s_waitcnt lgkmcnt(0)
	ds_bpermute_b32 v4, v22, v1
	v_max_f32_e32 v1, v1, v1
	s_sub_i32 s1, s21, s4
	v_mov_b32_e32 v6, 0
	s_lshl_b32 s1, s1, 5
	s_delay_alu instid0(SALU_CYCLE_1) | instskip(NEXT) | instid1(SALU_CYCLE_1)
	s_add_i32 s1, s1, s34
	s_min_i32 s1, s1, s33
	s_delay_alu instid0(SALU_CYCLE_1) | instskip(NEXT) | instid1(SALU_CYCLE_1)
	s_sub_i32 s4, s1, s34
	v_cmp_gt_i32_e64 s1, s4, v0
	s_waitcnt lgkmcnt(0)
	v_max_f32_e32 v4, v4, v4
	s_delay_alu instid0(VALU_DEP_1) | instskip(SKIP_3) | instid1(VALU_DEP_1)
	v_max_f32_e32 v1, v1, v4
	ds_bpermute_b32 v4, v21, v1
	s_waitcnt lgkmcnt(0)
	v_max_f32_e32 v4, v4, v4
	v_max_f32_e32 v1, v1, v4
	v_lshl_add_u32 v4, v0, 2, 0xa0
	ds_bpermute_b32 v1, v6, v1
	s_and_saveexec_b32 s6, s1
	s_cbranch_execz .LBB272_273
; %bb.270:
	v_lshl_add_u32 v7, v0, 2, 0xa0
	v_mov_b32_e32 v6, 0
	v_mov_b32_e32 v8, v0
	s_mov_b32 s7, 0
	.p2align	6
.LBB272_271:                            ; =>This Inner Loop Header: Depth=1
	ds_load_b32 v9, v7
	v_add_nc_u32_e32 v8, 0x80, v8
	s_delay_alu instid0(VALU_DEP_1) | instskip(NEXT) | instid1(VALU_DEP_1)
	v_cmp_le_i32_e64 s3, s4, v8
	s_or_b32 s7, s3, s7
	s_waitcnt lgkmcnt(0)
	v_sub_f32_e32 v9, v9, v1
	s_delay_alu instid0(VALU_DEP_1) | instskip(NEXT) | instid1(VALU_DEP_1)
	v_mul_f32_e32 v9, 0x3fb8aa3b, v9
	v_exp_f32_e32 v9, v9
	ds_store_b32 v7, v9
	v_dual_add_f32 v6, v6, v9 :: v_dual_add_nc_u32 v7, 0x200, v7
	s_and_not1_b32 exec_lo, exec_lo, s7
	s_cbranch_execnz .LBB272_271
; %bb.272:
	s_or_b32 exec_lo, exec_lo, s7
.LBB272_273:
	s_delay_alu instid0(SALU_CYCLE_1)
	s_or_b32 exec_lo, exec_lo, s6
	ds_bpermute_b32 v2, v2, v6
	s_waitcnt lgkmcnt(0)
	v_add_f32_e32 v2, v6, v2
	ds_bpermute_b32 v3, v3, v2
	s_waitcnt lgkmcnt(0)
	v_add_f32_e32 v2, v2, v3
	;; [unrolled: 3-line block ×5, first 2 shown]
	s_and_saveexec_b32 s3, vcc_lo
	s_cbranch_execz .LBB272_275
; %bb.274:
	ds_store_b32 v5, v2 offset:144
.LBB272_275:
	s_or_b32 exec_lo, exec_lo, s3
	s_waitcnt lgkmcnt(0)
	s_barrier
	buffer_gl0_inv
	s_and_saveexec_b32 s3, s0
	s_cbranch_execz .LBB272_277
; %bb.276:
	ds_load_b32 v2, v107 offset:144
.LBB272_277:
	s_or_b32 exec_lo, exec_lo, s3
	s_waitcnt lgkmcnt(0)
	ds_bpermute_b32 v3, v22, v2
	s_waitcnt lgkmcnt(0)
	v_add_f32_e32 v2, v2, v3
	ds_bpermute_b32 v3, v21, v2
	s_waitcnt lgkmcnt(0)
	v_dual_add_f32 v2, v2, v3 :: v_dual_mov_b32 v3, 0
	ds_bpermute_b32 v2, v3, v2
	s_and_saveexec_b32 s0, s1
	s_cbranch_execz .LBB272_280
; %bb.278:
	s_waitcnt lgkmcnt(0)
	v_add_f32_e32 v3, 0x358637bd, v2
	s_mov_b32 s1, 0
	s_delay_alu instid0(VALU_DEP_1) | instskip(SKIP_1) | instid1(VALU_DEP_2)
	v_div_scale_f32 v5, null, v3, v3, 1.0
	v_div_scale_f32 v8, vcc_lo, 1.0, v3, 1.0
	v_rcp_f32_e32 v6, v5
	s_waitcnt_depctr 0xfff
	v_fma_f32 v7, -v5, v6, 1.0
	s_delay_alu instid0(VALU_DEP_1) | instskip(NEXT) | instid1(VALU_DEP_1)
	v_fmac_f32_e32 v6, v7, v6
	v_mul_f32_e32 v7, v8, v6
	s_delay_alu instid0(VALU_DEP_1) | instskip(NEXT) | instid1(VALU_DEP_1)
	v_fma_f32 v9, -v5, v7, v8
	v_fmac_f32_e32 v7, v9, v6
	s_delay_alu instid0(VALU_DEP_1) | instskip(NEXT) | instid1(VALU_DEP_1)
	v_fma_f32 v5, -v5, v7, v8
	v_div_fmas_f32 v5, v5, v6, v7
	s_delay_alu instid0(VALU_DEP_1)
	v_div_fixup_f32 v3, v5, v3, 1.0
	v_mov_b32_e32 v5, v0
.LBB272_279:                            ; =>This Inner Loop Header: Depth=1
	ds_load_b32 v6, v4
	s_waitcnt lgkmcnt(0)
	v_dual_mul_f32 v6, v3, v6 :: v_dual_add_nc_u32 v5, 0x80, v5
	s_delay_alu instid0(VALU_DEP_1) | instskip(SKIP_3) | instid1(SALU_CYCLE_1)
	v_cmp_le_i32_e32 vcc_lo, s4, v5
	ds_store_b32 v4, v6
	v_add_nc_u32_e32 v4, 0x200, v4
	s_or_b32 s1, vcc_lo, s1
	s_and_not1_b32 exec_lo, exec_lo, s1
	s_cbranch_execnz .LBB272_279
.LBB272_280:
	s_or_b32 exec_lo, exec_lo, s0
	s_mul_i32 s0, s15, s14
	s_waitcnt lgkmcnt(0)
	s_mul_i32 s6, s0, s13
	s_mov_b32 s0, exec_lo
	s_barrier
	buffer_gl0_inv
	v_cmpx_eq_u32_e32 0, v0
	s_cbranch_execz .LBB272_282
; %bb.281:
	s_ashr_i32 s7, s6, 31
	s_mul_i32 s36, s15, s26
	s_lshl_b64 s[8:9], s[6:7], 2
	v_mov_b32_e32 v3, 0
	s_add_u32 s1, s18, s8
	s_addc_u32 s3, s19, s9
	s_ashr_i32 s37, s36, 31
	s_delay_alu instid0(SALU_CYCLE_1) | instskip(NEXT) | instid1(SALU_CYCLE_1)
	s_lshl_b64 s[18:19], s[36:37], 2
	s_add_u32 s1, s1, s18
	s_addc_u32 s3, s3, s19
	s_ashr_i32 s13, s12, 31
	s_delay_alu instid0(SALU_CYCLE_1) | instskip(NEXT) | instid1(SALU_CYCLE_1)
	s_lshl_b64 s[36:37], s[12:13], 2
	s_add_u32 s38, s1, s36
	s_addc_u32 s39, s3, s37
	s_add_u32 s1, s16, s8
	s_addc_u32 s3, s17, s9
	;; [unrolled: 2-line block ×4, first 2 shown]
	s_clause 0x1
	global_store_b32 v3, v1, s[38:39]
	global_store_b32 v3, v2, s[8:9]
.LBB272_282:
	s_or_b32 exec_lo, exec_lo, s0
	v_dual_mov_b32 v25, 0 :: v_dual_and_b32 v24, 7, v0
	v_dual_mov_b32 v26, 0 :: v_dual_mov_b32 v27, 0
	v_dual_mov_b32 v28, 0 :: v_dual_mov_b32 v29, 0
	;; [unrolled: 1-line block ×3, first 2 shown]
	v_mov_b32_e32 v32, 0
	s_mov_b32 s4, 0
	s_and_saveexec_b32 s1, s2
	s_cbranch_execz .LBB272_558
; %bb.283:
	s_load_b32 s7, s[10:11], 0x0
	v_dual_mov_b32 v6, 0 :: v_dual_lshlrev_b32 v3, 2, v0
	v_dual_mov_b32 v32, 0 :: v_dual_lshlrev_b32 v5, 4, v24
	s_ashr_i32 s0, s35, 31
	s_delay_alu instid0(VALU_DEP_2)
	v_dual_mov_b32 v30, 0 :: v_dual_and_b32 v7, 0x7c, v3
	s_mov_b32 s8, s5
	v_lshlrev_b64 v[1:2], 2, v[33:34]
	s_add_u32 s5, s28, s35
	s_addc_u32 s0, s29, s0
	s_lshl_b64 s[2:3], s[30:31], 2
	v_add_co_u32 v7, s5, s5, v7
	v_lshl_add_u32 v4, v105, 5, s34
	s_add_i32 s27, s27, -1
	v_dual_mov_b32 v28, 0 :: v_dual_and_b32 v3, 28, v3
	v_lshl_or_b32 v5, v105, 7, v5
	v_add_co_ci_u32_e64 v8, null, s0, 0, s5
	s_add_u32 s0, s24, s2
	s_addc_u32 s2, s25, s3
	v_add_co_u32 v9, vcc_lo, s0, v1
	v_add3_u32 v34, v4, v3, 3
	v_dual_mov_b32 v26, 0 :: v_dual_add_nc_u32 v35, 0xa0, v5
	v_add_co_ci_u32_e32 v10, vcc_lo, s2, v2, vcc_lo
	v_mov_b32_e32 v31, 0
	v_mov_b32_e32 v29, 0
	;; [unrolled: 1-line block ×4, first 2 shown]
	s_waitcnt lgkmcnt(0)
	s_mov_b32 s9, s7
	s_brev_b32 s5, 1
	s_mov_b32 s3, 0x7f800001
	s_mov_b32 s10, s4
	s_branch .LBB272_285
.LBB272_284:                            ;   in Loop: Header=BB272_285 Depth=1
	s_or_b32 exec_lo, exec_lo, s0
	s_waitcnt lgkmcnt(0)
	v_mul_f32_e32 v16, v2, v50
	v_mul_f32_e32 v15, v2, v46
	v_add_co_u32 v9, s0, v9, 16
	v_add_nc_u32_e32 v34, 0x80, v34
	s_delay_alu instid0(VALU_DEP_4) | instskip(NEXT) | instid1(VALU_DEP_4)
	v_fmac_f32_e32 v16, v1, v49
	v_dual_mul_f32 v14, v2, v39 :: v_dual_fmac_f32 v15, v1, v45
	v_add_co_ci_u32_e64 v10, s0, 0, v10, s0
	s_delay_alu instid0(VALU_DEP_3) | instskip(NEXT) | instid1(VALU_DEP_3)
	v_dual_fmac_f32 v16, v3, v48 :: v_dual_add_nc_u32 v33, 4, v33
	v_dual_fmac_f32 v15, v3, v44 :: v_dual_fmac_f32 v14, v1, v38
	v_add_nc_u32_e32 v35, 0x200, v35
	s_delay_alu instid0(VALU_DEP_3) | instskip(NEXT) | instid1(VALU_DEP_3)
	v_cmp_le_i32_e32 vcc_lo, s21, v33
	v_fmac_f32_e32 v15, v4, v43
	s_delay_alu instid0(VALU_DEP_4) | instskip(SKIP_2) | instid1(VALU_DEP_4)
	v_dual_mul_f32 v17, v2, v54 :: v_dual_fmac_f32 v14, v3, v37
	v_mul_f32_e32 v37, v2, v62
	v_mul_f32_e32 v18, v2, v58
	v_dual_mul_f32 v38, v2, v64 :: v_dual_add_f32 v31, v31, v15
	s_delay_alu instid0(VALU_DEP_3) | instskip(SKIP_3) | instid1(VALU_DEP_3)
	v_dual_fmac_f32 v14, v4, v36 :: v_dual_fmac_f32 v37, v1, v61
	v_mul_f32_e32 v2, v2, v13
	v_dual_fmac_f32 v17, v1, v53 :: v_dual_fmac_f32 v16, v4, v47
	s_or_b32 s10, vcc_lo, s10
	v_fmac_f32_e32 v37, v3, v60
	s_delay_alu instid0(VALU_DEP_3) | instskip(NEXT) | instid1(VALU_DEP_3)
	v_fmac_f32_e32 v2, v1, v12
	v_dual_fmac_f32 v18, v1, v57 :: v_dual_fmac_f32 v17, v3, v52
	s_delay_alu instid0(VALU_DEP_3) | instskip(SKIP_1) | instid1(VALU_DEP_4)
	v_dual_add_f32 v30, v30, v16 :: v_dual_fmac_f32 v37, v4, v59
	v_fmac_f32_e32 v38, v1, v63
	v_fmac_f32_e32 v2, v3, v11
	s_delay_alu instid0(VALU_DEP_4) | instskip(NEXT) | instid1(VALU_DEP_4)
	v_fmac_f32_e32 v17, v4, v51
	v_dual_add_f32 v32, v32, v14 :: v_dual_add_f32 v27, v27, v37
	s_delay_alu instid0(VALU_DEP_4) | instskip(NEXT) | instid1(VALU_DEP_4)
	v_fmac_f32_e32 v38, v3, v20
	v_fmac_f32_e32 v2, v4, v5
	s_delay_alu instid0(VALU_DEP_4) | instskip(NEXT) | instid1(VALU_DEP_2)
	v_dual_fmac_f32 v18, v3, v56 :: v_dual_add_f32 v29, v29, v17
	v_dual_fmac_f32 v38, v4, v19 :: v_dual_add_f32 v25, v25, v2
	s_delay_alu instid0(VALU_DEP_2) | instskip(NEXT) | instid1(VALU_DEP_2)
	v_fmac_f32_e32 v18, v4, v55
	v_add_f32_e32 v26, v26, v38
	s_delay_alu instid0(VALU_DEP_2)
	v_add_f32_e32 v28, v28, v18
	s_and_not1_b32 exec_lo, exec_lo, s10
	s_cbranch_execz .LBB272_557
.LBB272_285:                            ; =>This Inner Loop Header: Depth=1
	global_load_b32 v1, v[9:10], off
	v_mov_b32_e32 v15, 0
	s_mov_b32 s0, exec_lo
	s_waitcnt vmcnt(0)
	v_mad_i64_i32 v[11:12], null, v1, s8, v[7:8]
	ds_load_b128 v[1:4], v35
	global_load_b32 v36, v[11:12], off
	s_waitcnt vmcnt(0)
	v_dual_mov_b32 v16, 0 :: v_dual_and_b32 v5, 0xff, v36
	s_delay_alu instid0(VALU_DEP_1) | instskip(NEXT) | instid1(VALU_DEP_2)
	v_dual_mov_b32 v13, v15 :: v_dual_mov_b32 v14, v16
	v_cmpx_ne_u16_e32 0, v5
	s_cbranch_execz .LBB272_293
; %bb.286:                              ;   in Loop: Header=BB272_285 Depth=1
	v_bfrev_b32_e32 v13, 1
	v_mov_b32_e32 v14, 0
	s_mov_b32 s2, exec_lo
	v_cmpx_ne_u16_e32 0x80, v5
	s_cbranch_execz .LBB272_292
; %bb.287:                              ;   in Loop: Header=BB272_285 Depth=1
	v_mov_b32_e32 v13, 0x7f800001
	v_dual_mov_b32 v14, 0 :: v_dual_and_b32 v17, 0x7f, v36
	s_mov_b32 s11, exec_lo
	s_delay_alu instid0(VALU_DEP_1)
	v_cmpx_ne_u32_e32 0x7f, v17
	s_cbranch_execz .LBB272_291
; %bb.288:                              ;   in Loop: Header=BB272_285 Depth=1
	v_and_b32_e32 v5, 7, v36
	v_lshrrev_b32_e32 v13, 3, v17
	s_mov_b32 s13, exec_lo
	v_cmpx_gt_u32_e32 8, v17
; %bb.289:                              ;   in Loop: Header=BB272_285 Depth=1
	s_delay_alu instid0(VALU_DEP_3) | instskip(NEXT) | instid1(VALU_DEP_1)
	v_clz_i32_u32_e32 v13, v5
	v_min_u32_e32 v13, 32, v13
	s_delay_alu instid0(VALU_DEP_1) | instskip(SKIP_1) | instid1(VALU_DEP_2)
	v_subrev_nc_u32_e32 v14, 28, v13
	v_sub_nc_u32_e32 v13, 29, v13
	v_lshlrev_b64 v[17:18], v14, v[5:6]
	s_delay_alu instid0(VALU_DEP_1)
	v_and_b32_e32 v5, 7, v17
; %bb.290:                              ;   in Loop: Header=BB272_285 Depth=1
	s_or_b32 exec_lo, exec_lo, s13
	v_lshlrev_b32_e32 v14, 24, v36
	s_delay_alu instid0(VALU_DEP_2) | instskip(SKIP_1) | instid1(VALU_DEP_3)
	v_lshlrev_b32_e32 v5, 20, v5
	v_lshl_add_u32 v13, v13, 23, 0x3c000000
	v_and_b32_e32 v14, 0x80000000, v14
	s_delay_alu instid0(VALU_DEP_1) | instskip(NEXT) | instid1(VALU_DEP_1)
	v_or3_b32 v5, v5, v14, v13
	v_dual_mov_b32 v14, v6 :: v_dual_mov_b32 v13, v5
.LBB272_291:                            ;   in Loop: Header=BB272_285 Depth=1
	s_or_b32 exec_lo, exec_lo, s11
.LBB272_292:                            ;   in Loop: Header=BB272_285 Depth=1
	s_delay_alu instid0(SALU_CYCLE_1)
	s_or_b32 exec_lo, exec_lo, s2
.LBB272_293:                            ;   in Loop: Header=BB272_285 Depth=1
	s_delay_alu instid0(SALU_CYCLE_1) | instskip(SKIP_2) | instid1(VALU_DEP_1)
	s_or_b32 exec_lo, exec_lo, s0
	v_lshrrev_b16 v5, 8, v36
	s_mov_b32 s0, exec_lo
	v_cmpx_ne_u16_e32 0, v5
	s_cbranch_execz .LBB272_301
; %bb.294:                              ;   in Loop: Header=BB272_285 Depth=1
	v_dual_mov_b32 v16, s5 :: v_dual_mov_b32 v15, s4
	s_mov_b32 s11, exec_lo
	v_cmpx_ne_u16_e32 0x80, v5
	s_cbranch_execz .LBB272_300
; %bb.295:                              ;   in Loop: Header=BB272_285 Depth=1
	s_mov_b32 s2, s4
	v_dual_mov_b32 v16, s3 :: v_dual_and_b32 v5, 0xffff, v5
	v_mov_b32_e32 v15, s2
	s_mov_b32 s2, exec_lo
	s_delay_alu instid0(VALU_DEP_2) | instskip(NEXT) | instid1(VALU_DEP_1)
	v_and_b32_e32 v17, 0x7f, v5
	v_cmpx_ne_u32_e32 0x7f, v17
	s_cbranch_execz .LBB272_299
; %bb.296:                              ;   in Loop: Header=BB272_285 Depth=1
	v_and_b32_e32 v5, 7, v5
	v_lshrrev_b32_e32 v15, 3, v17
	s_mov_b32 s13, exec_lo
	v_cmpx_gt_u32_e32 8, v17
; %bb.297:                              ;   in Loop: Header=BB272_285 Depth=1
	s_delay_alu instid0(VALU_DEP_3) | instskip(NEXT) | instid1(VALU_DEP_1)
	v_clz_i32_u32_e32 v15, v5
	v_min_u32_e32 v15, 32, v15
	s_delay_alu instid0(VALU_DEP_1) | instskip(SKIP_1) | instid1(VALU_DEP_2)
	v_subrev_nc_u32_e32 v16, 28, v15
	v_sub_nc_u32_e32 v15, 29, v15
	v_lshlrev_b64 v[16:17], v16, v[5:6]
	s_delay_alu instid0(VALU_DEP_1)
	v_and_b32_e32 v5, 7, v16
; %bb.298:                              ;   in Loop: Header=BB272_285 Depth=1
	s_or_b32 exec_lo, exec_lo, s13
	v_lshlrev_b32_e32 v16, 16, v36
	s_delay_alu instid0(VALU_DEP_2) | instskip(SKIP_1) | instid1(VALU_DEP_3)
	v_lshlrev_b32_e32 v5, 20, v5
	v_lshl_add_u32 v15, v15, 23, 0x3c000000
	v_and_b32_e32 v16, 0x80000000, v16
	s_delay_alu instid0(VALU_DEP_1)
	v_or3_b32 v16, v5, v16, v15
	v_mov_b32_e32 v15, v6
.LBB272_299:                            ;   in Loop: Header=BB272_285 Depth=1
	s_or_b32 exec_lo, exec_lo, s2
.LBB272_300:                            ;   in Loop: Header=BB272_285 Depth=1
	s_delay_alu instid0(SALU_CYCLE_1)
	s_or_b32 exec_lo, exec_lo, s11
.LBB272_301:                            ;   in Loop: Header=BB272_285 Depth=1
	s_delay_alu instid0(SALU_CYCLE_1) | instskip(SKIP_4) | instid1(VALU_DEP_2)
	s_or_b32 exec_lo, exec_lo, s0
	v_mov_b32_e32 v19, 0
	v_lshrrev_b32_e32 v37, 16, v36
	v_mov_b32_e32 v20, 0
	s_mov_b32 s0, exec_lo
	v_and_b32_e32 v5, 0xff, v37
	s_delay_alu instid0(VALU_DEP_2) | instskip(NEXT) | instid1(VALU_DEP_2)
	v_dual_mov_b32 v17, v19 :: v_dual_mov_b32 v18, v20
	v_cmpx_ne_u16_e32 0, v5
	s_cbranch_execz .LBB272_309
; %bb.302:                              ;   in Loop: Header=BB272_285 Depth=1
	v_bfrev_b32_e32 v17, 1
	v_mov_b32_e32 v18, 0
	s_mov_b32 s2, exec_lo
	v_cmpx_ne_u16_e32 0x80, v5
	s_cbranch_execz .LBB272_308
; %bb.303:                              ;   in Loop: Header=BB272_285 Depth=1
	v_mov_b32_e32 v17, 0x7f800001
	v_bfe_u32 v38, v36, 16, 7
	v_mov_b32_e32 v18, 0
	s_mov_b32 s11, exec_lo
	s_delay_alu instid0(VALU_DEP_2)
	v_cmpx_ne_u32_e32 0x7f, v38
	s_cbranch_execz .LBB272_307
; %bb.304:                              ;   in Loop: Header=BB272_285 Depth=1
	v_and_b32_e32 v5, 7, v37
	v_lshrrev_b32_e32 v17, 3, v38
	s_mov_b32 s13, exec_lo
	v_cmpx_gt_u32_e32 8, v38
; %bb.305:                              ;   in Loop: Header=BB272_285 Depth=1
	s_delay_alu instid0(VALU_DEP_3) | instskip(NEXT) | instid1(VALU_DEP_1)
	v_clz_i32_u32_e32 v17, v5
	v_min_u32_e32 v17, 32, v17
	s_delay_alu instid0(VALU_DEP_1) | instskip(SKIP_1) | instid1(VALU_DEP_2)
	v_subrev_nc_u32_e32 v18, 28, v17
	v_sub_nc_u32_e32 v17, 29, v17
	v_lshlrev_b64 v[38:39], v18, v[5:6]
	s_delay_alu instid0(VALU_DEP_1)
	v_and_b32_e32 v5, 7, v38
; %bb.306:                              ;   in Loop: Header=BB272_285 Depth=1
	s_or_b32 exec_lo, exec_lo, s13
	v_lshlrev_b32_e32 v18, 24, v37
	s_delay_alu instid0(VALU_DEP_2) | instskip(SKIP_1) | instid1(VALU_DEP_3)
	v_lshlrev_b32_e32 v5, 20, v5
	v_lshl_add_u32 v17, v17, 23, 0x3c000000
	v_and_b32_e32 v18, 0x80000000, v18
	s_delay_alu instid0(VALU_DEP_1) | instskip(NEXT) | instid1(VALU_DEP_1)
	v_or3_b32 v5, v5, v18, v17
	v_dual_mov_b32 v18, v6 :: v_dual_mov_b32 v17, v5
.LBB272_307:                            ;   in Loop: Header=BB272_285 Depth=1
	s_or_b32 exec_lo, exec_lo, s11
.LBB272_308:                            ;   in Loop: Header=BB272_285 Depth=1
	s_delay_alu instid0(SALU_CYCLE_1)
	s_or_b32 exec_lo, exec_lo, s2
.LBB272_309:                            ;   in Loop: Header=BB272_285 Depth=1
	s_delay_alu instid0(SALU_CYCLE_1) | instskip(NEXT) | instid1(SALU_CYCLE_1)
	s_or_b32 exec_lo, exec_lo, s0
	s_mov_b32 s0, exec_lo
	v_cmpx_lt_u32_e32 0xffffff, v36
	s_cbranch_execz .LBB272_317
; %bb.310:                              ;   in Loop: Header=BB272_285 Depth=1
	v_lshrrev_b32_e32 v37, 24, v36
	v_dual_mov_b32 v20, s5 :: v_dual_mov_b32 v19, s4
	s_mov_b32 s11, exec_lo
	s_delay_alu instid0(VALU_DEP_2)
	v_cmpx_ne_u32_e32 0x80, v37
	s_cbranch_execz .LBB272_316
; %bb.311:                              ;   in Loop: Header=BB272_285 Depth=1
	s_mov_b32 s2, s4
	v_bfe_u32 v36, v36, 24, 7
	v_dual_mov_b32 v20, s3 :: v_dual_mov_b32 v19, s2
	s_mov_b32 s2, exec_lo
	s_delay_alu instid0(VALU_DEP_2)
	v_cmpx_ne_u32_e32 0x7f, v36
	s_cbranch_execz .LBB272_315
; %bb.312:                              ;   in Loop: Header=BB272_285 Depth=1
	v_and_b32_e32 v5, 7, v37
	v_lshrrev_b32_e32 v19, 3, v36
	s_mov_b32 s13, exec_lo
	v_cmpx_gt_u32_e32 8, v36
; %bb.313:                              ;   in Loop: Header=BB272_285 Depth=1
	s_delay_alu instid0(VALU_DEP_3) | instskip(NEXT) | instid1(VALU_DEP_1)
	v_clz_i32_u32_e32 v19, v5
	v_min_u32_e32 v19, 32, v19
	s_delay_alu instid0(VALU_DEP_1) | instskip(SKIP_1) | instid1(VALU_DEP_2)
	v_subrev_nc_u32_e32 v20, 28, v19
	v_sub_nc_u32_e32 v19, 29, v19
	v_lshlrev_b64 v[38:39], v20, v[5:6]
	s_delay_alu instid0(VALU_DEP_1)
	v_and_b32_e32 v5, 7, v38
; %bb.314:                              ;   in Loop: Header=BB272_285 Depth=1
	s_or_b32 exec_lo, exec_lo, s13
	v_lshlrev_b32_e32 v20, 24, v37
	s_delay_alu instid0(VALU_DEP_2) | instskip(SKIP_1) | instid1(VALU_DEP_3)
	v_lshlrev_b32_e32 v5, 20, v5
	v_lshl_add_u32 v19, v19, 23, 0x3c000000
	v_and_b32_e32 v20, 0x80000000, v20
	s_delay_alu instid0(VALU_DEP_1)
	v_or3_b32 v20, v5, v20, v19
	v_mov_b32_e32 v19, v6
.LBB272_315:                            ;   in Loop: Header=BB272_285 Depth=1
	s_or_b32 exec_lo, exec_lo, s2
.LBB272_316:                            ;   in Loop: Header=BB272_285 Depth=1
	s_delay_alu instid0(SALU_CYCLE_1)
	s_or_b32 exec_lo, exec_lo, s11
.LBB272_317:                            ;   in Loop: Header=BB272_285 Depth=1
	s_delay_alu instid0(SALU_CYCLE_1) | instskip(SKIP_4) | instid1(VALU_DEP_4)
	s_or_b32 exec_lo, exec_lo, s0
	v_or_b32_e32 v5, v16, v14
	v_or_b32_e32 v13, v15, v13
	;; [unrolled: 1-line block ×4, first 2 shown]
	v_dual_mul_f32 v39, s9, v5 :: v_dual_add_nc_u32 v40, -3, v34
	v_cmp_eq_u32_e32 vcc_lo, s27, v33
	s_delay_alu instid0(VALU_DEP_3)
	v_dual_mul_f32 v38, s7, v13 :: v_dual_mul_f32 v37, s7, v15
	v_mul_f32_e32 v36, s9, v14
	v_add_nc_u32_e32 v42, -2, v34
	v_add_nc_u32_e32 v41, -1, v34
	s_and_saveexec_b32 s2, vcc_lo
; %bb.318:                              ;   in Loop: Header=BB272_285 Depth=1
	v_cmp_gt_i32_e64 s0, s33, v40
	s_delay_alu instid0(VALU_DEP_1) | instskip(SKIP_1) | instid1(VALU_DEP_1)
	v_cndmask_b32_e64 v38, 0, v38, s0
	v_cmp_gt_i32_e64 s0, s33, v42
	v_cndmask_b32_e64 v39, 0, v39, s0
	v_cmp_gt_i32_e64 s0, s33, v41
	s_delay_alu instid0(VALU_DEP_1) | instskip(SKIP_1) | instid1(VALU_DEP_1)
	v_cndmask_b32_e64 v37, 0, v37, s0
	v_cmp_gt_i32_e64 s0, s33, v34
	v_cndmask_b32_e64 v36, 0, v36, s0
; %bb.319:                              ;   in Loop: Header=BB272_285 Depth=1
	s_or_b32 exec_lo, exec_lo, s2
	global_load_b32 v43, v[11:12], off offset:128
	v_mov_b32_e32 v15, 0
	v_mov_b32_e32 v16, 0
	s_mov_b32 s2, exec_lo
	s_waitcnt vmcnt(0)
	v_and_b32_e32 v5, 0xff, v43
	s_delay_alu instid0(VALU_DEP_2) | instskip(NEXT) | instid1(VALU_DEP_2)
	v_dual_mov_b32 v13, v15 :: v_dual_mov_b32 v14, v16
	v_cmpx_ne_u16_e32 0, v5
	s_cbranch_execz .LBB272_327
; %bb.320:                              ;   in Loop: Header=BB272_285 Depth=1
	v_bfrev_b32_e32 v13, 1
	v_mov_b32_e32 v14, 0
	s_mov_b32 s11, exec_lo
	v_cmpx_ne_u16_e32 0x80, v5
	s_cbranch_execz .LBB272_326
; %bb.321:                              ;   in Loop: Header=BB272_285 Depth=1
	v_mov_b32_e32 v13, 0x7f800001
	v_dual_mov_b32 v14, 0 :: v_dual_and_b32 v17, 0x7f, v43
	s_mov_b32 s13, exec_lo
	s_delay_alu instid0(VALU_DEP_1)
	v_cmpx_ne_u32_e32 0x7f, v17
	s_cbranch_execz .LBB272_325
; %bb.322:                              ;   in Loop: Header=BB272_285 Depth=1
	v_and_b32_e32 v5, 7, v43
	v_lshrrev_b32_e32 v13, 3, v17
	s_mov_b32 s14, exec_lo
	v_cmpx_gt_u32_e32 8, v17
; %bb.323:                              ;   in Loop: Header=BB272_285 Depth=1
	s_delay_alu instid0(VALU_DEP_3) | instskip(NEXT) | instid1(VALU_DEP_1)
	v_clz_i32_u32_e32 v13, v5
	v_min_u32_e32 v13, 32, v13
	s_delay_alu instid0(VALU_DEP_1) | instskip(SKIP_1) | instid1(VALU_DEP_2)
	v_subrev_nc_u32_e32 v14, 28, v13
	v_sub_nc_u32_e32 v13, 29, v13
	v_lshlrev_b64 v[17:18], v14, v[5:6]
	s_delay_alu instid0(VALU_DEP_1)
	v_and_b32_e32 v5, 7, v17
; %bb.324:                              ;   in Loop: Header=BB272_285 Depth=1
	s_or_b32 exec_lo, exec_lo, s14
	v_lshlrev_b32_e32 v14, 24, v43
	s_delay_alu instid0(VALU_DEP_2) | instskip(SKIP_1) | instid1(VALU_DEP_3)
	v_lshlrev_b32_e32 v5, 20, v5
	v_lshl_add_u32 v13, v13, 23, 0x3c000000
	v_and_b32_e32 v14, 0x80000000, v14
	s_delay_alu instid0(VALU_DEP_1) | instskip(NEXT) | instid1(VALU_DEP_1)
	v_or3_b32 v5, v5, v14, v13
	v_dual_mov_b32 v14, v6 :: v_dual_mov_b32 v13, v5
.LBB272_325:                            ;   in Loop: Header=BB272_285 Depth=1
	s_or_b32 exec_lo, exec_lo, s13
.LBB272_326:                            ;   in Loop: Header=BB272_285 Depth=1
	s_delay_alu instid0(SALU_CYCLE_1)
	s_or_b32 exec_lo, exec_lo, s11
.LBB272_327:                            ;   in Loop: Header=BB272_285 Depth=1
	s_delay_alu instid0(SALU_CYCLE_1) | instskip(SKIP_2) | instid1(VALU_DEP_1)
	s_or_b32 exec_lo, exec_lo, s2
	v_lshrrev_b16 v5, 8, v43
	s_mov_b32 s11, exec_lo
	v_cmpx_ne_u16_e32 0, v5
	s_cbranch_execz .LBB272_335
; %bb.328:                              ;   in Loop: Header=BB272_285 Depth=1
	v_dual_mov_b32 v16, s5 :: v_dual_mov_b32 v15, s4
	s_mov_b32 s13, exec_lo
	v_cmpx_ne_u16_e32 0x80, v5
	s_cbranch_execz .LBB272_334
; %bb.329:                              ;   in Loop: Header=BB272_285 Depth=1
	s_mov_b32 s2, s4
	v_dual_mov_b32 v16, s3 :: v_dual_and_b32 v5, 0xffff, v5
	v_mov_b32_e32 v15, s2
	s_mov_b32 s2, exec_lo
	s_delay_alu instid0(VALU_DEP_2) | instskip(NEXT) | instid1(VALU_DEP_1)
	v_and_b32_e32 v17, 0x7f, v5
	v_cmpx_ne_u32_e32 0x7f, v17
	s_cbranch_execz .LBB272_333
; %bb.330:                              ;   in Loop: Header=BB272_285 Depth=1
	v_and_b32_e32 v5, 7, v5
	v_lshrrev_b32_e32 v15, 3, v17
	s_mov_b32 s14, exec_lo
	v_cmpx_gt_u32_e32 8, v17
; %bb.331:                              ;   in Loop: Header=BB272_285 Depth=1
	s_delay_alu instid0(VALU_DEP_3) | instskip(NEXT) | instid1(VALU_DEP_1)
	v_clz_i32_u32_e32 v15, v5
	v_min_u32_e32 v15, 32, v15
	s_delay_alu instid0(VALU_DEP_1) | instskip(SKIP_1) | instid1(VALU_DEP_2)
	v_subrev_nc_u32_e32 v16, 28, v15
	v_sub_nc_u32_e32 v15, 29, v15
	v_lshlrev_b64 v[16:17], v16, v[5:6]
	s_delay_alu instid0(VALU_DEP_1)
	v_and_b32_e32 v5, 7, v16
; %bb.332:                              ;   in Loop: Header=BB272_285 Depth=1
	s_or_b32 exec_lo, exec_lo, s14
	v_lshlrev_b32_e32 v16, 16, v43
	s_delay_alu instid0(VALU_DEP_2) | instskip(SKIP_1) | instid1(VALU_DEP_3)
	v_lshlrev_b32_e32 v5, 20, v5
	v_lshl_add_u32 v15, v15, 23, 0x3c000000
	v_and_b32_e32 v16, 0x80000000, v16
	s_delay_alu instid0(VALU_DEP_1)
	v_or3_b32 v16, v5, v16, v15
	v_mov_b32_e32 v15, v6
.LBB272_333:                            ;   in Loop: Header=BB272_285 Depth=1
	s_or_b32 exec_lo, exec_lo, s2
.LBB272_334:                            ;   in Loop: Header=BB272_285 Depth=1
	s_delay_alu instid0(SALU_CYCLE_1)
	s_or_b32 exec_lo, exec_lo, s13
.LBB272_335:                            ;   in Loop: Header=BB272_285 Depth=1
	s_delay_alu instid0(SALU_CYCLE_1) | instskip(SKIP_4) | instid1(VALU_DEP_2)
	s_or_b32 exec_lo, exec_lo, s11
	v_mov_b32_e32 v19, 0
	v_lshrrev_b32_e32 v44, 16, v43
	v_mov_b32_e32 v20, 0
	s_mov_b32 s2, exec_lo
	v_and_b32_e32 v5, 0xff, v44
	s_delay_alu instid0(VALU_DEP_2) | instskip(NEXT) | instid1(VALU_DEP_2)
	v_dual_mov_b32 v17, v19 :: v_dual_mov_b32 v18, v20
	v_cmpx_ne_u16_e32 0, v5
	s_cbranch_execz .LBB272_343
; %bb.336:                              ;   in Loop: Header=BB272_285 Depth=1
	v_bfrev_b32_e32 v17, 1
	v_mov_b32_e32 v18, 0
	s_mov_b32 s11, exec_lo
	v_cmpx_ne_u16_e32 0x80, v5
	s_cbranch_execz .LBB272_342
; %bb.337:                              ;   in Loop: Header=BB272_285 Depth=1
	v_mov_b32_e32 v17, 0x7f800001
	v_bfe_u32 v45, v43, 16, 7
	v_mov_b32_e32 v18, 0
	s_mov_b32 s13, exec_lo
	s_delay_alu instid0(VALU_DEP_2)
	v_cmpx_ne_u32_e32 0x7f, v45
	s_cbranch_execz .LBB272_341
; %bb.338:                              ;   in Loop: Header=BB272_285 Depth=1
	v_and_b32_e32 v5, 7, v44
	v_lshrrev_b32_e32 v17, 3, v45
	s_mov_b32 s14, exec_lo
	v_cmpx_gt_u32_e32 8, v45
; %bb.339:                              ;   in Loop: Header=BB272_285 Depth=1
	s_delay_alu instid0(VALU_DEP_3) | instskip(NEXT) | instid1(VALU_DEP_1)
	v_clz_i32_u32_e32 v17, v5
	v_min_u32_e32 v17, 32, v17
	s_delay_alu instid0(VALU_DEP_1) | instskip(SKIP_1) | instid1(VALU_DEP_2)
	v_subrev_nc_u32_e32 v18, 28, v17
	v_sub_nc_u32_e32 v17, 29, v17
	v_lshlrev_b64 v[45:46], v18, v[5:6]
	s_delay_alu instid0(VALU_DEP_1)
	v_and_b32_e32 v5, 7, v45
; %bb.340:                              ;   in Loop: Header=BB272_285 Depth=1
	s_or_b32 exec_lo, exec_lo, s14
	v_lshlrev_b32_e32 v18, 24, v44
	s_delay_alu instid0(VALU_DEP_2) | instskip(SKIP_1) | instid1(VALU_DEP_3)
	v_lshlrev_b32_e32 v5, 20, v5
	v_lshl_add_u32 v17, v17, 23, 0x3c000000
	v_and_b32_e32 v18, 0x80000000, v18
	s_delay_alu instid0(VALU_DEP_1) | instskip(NEXT) | instid1(VALU_DEP_1)
	v_or3_b32 v5, v5, v18, v17
	v_dual_mov_b32 v18, v6 :: v_dual_mov_b32 v17, v5
.LBB272_341:                            ;   in Loop: Header=BB272_285 Depth=1
	s_or_b32 exec_lo, exec_lo, s13
.LBB272_342:                            ;   in Loop: Header=BB272_285 Depth=1
	s_delay_alu instid0(SALU_CYCLE_1)
	s_or_b32 exec_lo, exec_lo, s11
.LBB272_343:                            ;   in Loop: Header=BB272_285 Depth=1
	s_delay_alu instid0(SALU_CYCLE_1) | instskip(NEXT) | instid1(SALU_CYCLE_1)
	s_or_b32 exec_lo, exec_lo, s2
	s_mov_b32 s11, exec_lo
	v_cmpx_lt_u32_e32 0xffffff, v43
	s_cbranch_execz .LBB272_351
; %bb.344:                              ;   in Loop: Header=BB272_285 Depth=1
	v_lshrrev_b32_e32 v44, 24, v43
	v_dual_mov_b32 v20, s5 :: v_dual_mov_b32 v19, s4
	s_mov_b32 s13, exec_lo
	s_delay_alu instid0(VALU_DEP_2)
	v_cmpx_ne_u32_e32 0x80, v44
	s_cbranch_execz .LBB272_350
; %bb.345:                              ;   in Loop: Header=BB272_285 Depth=1
	s_mov_b32 s2, s4
	v_bfe_u32 v43, v43, 24, 7
	v_dual_mov_b32 v20, s3 :: v_dual_mov_b32 v19, s2
	s_mov_b32 s2, exec_lo
	s_delay_alu instid0(VALU_DEP_2)
	v_cmpx_ne_u32_e32 0x7f, v43
	s_cbranch_execz .LBB272_349
; %bb.346:                              ;   in Loop: Header=BB272_285 Depth=1
	v_and_b32_e32 v5, 7, v44
	v_lshrrev_b32_e32 v19, 3, v43
	s_mov_b32 s14, exec_lo
	v_cmpx_gt_u32_e32 8, v43
; %bb.347:                              ;   in Loop: Header=BB272_285 Depth=1
	s_delay_alu instid0(VALU_DEP_3) | instskip(NEXT) | instid1(VALU_DEP_1)
	v_clz_i32_u32_e32 v19, v5
	v_min_u32_e32 v19, 32, v19
	s_delay_alu instid0(VALU_DEP_1) | instskip(SKIP_1) | instid1(VALU_DEP_2)
	v_subrev_nc_u32_e32 v20, 28, v19
	v_sub_nc_u32_e32 v19, 29, v19
	v_lshlrev_b64 v[45:46], v20, v[5:6]
	s_delay_alu instid0(VALU_DEP_1)
	v_and_b32_e32 v5, 7, v45
; %bb.348:                              ;   in Loop: Header=BB272_285 Depth=1
	s_or_b32 exec_lo, exec_lo, s14
	v_lshlrev_b32_e32 v20, 24, v44
	s_delay_alu instid0(VALU_DEP_2) | instskip(SKIP_1) | instid1(VALU_DEP_3)
	v_lshlrev_b32_e32 v5, 20, v5
	v_lshl_add_u32 v19, v19, 23, 0x3c000000
	v_and_b32_e32 v20, 0x80000000, v20
	s_delay_alu instid0(VALU_DEP_1)
	v_or3_b32 v20, v5, v20, v19
	v_mov_b32_e32 v19, v6
.LBB272_349:                            ;   in Loop: Header=BB272_285 Depth=1
	s_or_b32 exec_lo, exec_lo, s2
.LBB272_350:                            ;   in Loop: Header=BB272_285 Depth=1
	s_delay_alu instid0(SALU_CYCLE_1)
	s_or_b32 exec_lo, exec_lo, s13
.LBB272_351:                            ;   in Loop: Header=BB272_285 Depth=1
	s_delay_alu instid0(SALU_CYCLE_1) | instskip(SKIP_4) | instid1(VALU_DEP_4)
	s_or_b32 exec_lo, exec_lo, s11
	v_or_b32_e32 v5, v16, v14
	v_or_b32_e32 v13, v15, v13
	;; [unrolled: 1-line block ×4, first 2 shown]
	v_mul_f32_e32 v46, s9, v5
	s_delay_alu instid0(VALU_DEP_4) | instskip(NEXT) | instid1(VALU_DEP_3)
	v_mul_f32_e32 v45, s7, v13
	v_dual_mul_f32 v43, s9, v14 :: v_dual_mul_f32 v44, s7, v15
	s_and_saveexec_b32 s2, vcc_lo
; %bb.352:                              ;   in Loop: Header=BB272_285 Depth=1
	v_cmp_gt_i32_e64 s0, s33, v40
	s_delay_alu instid0(VALU_DEP_1) | instskip(SKIP_1) | instid1(VALU_DEP_1)
	v_cndmask_b32_e64 v45, 0, v45, s0
	v_cmp_gt_i32_e64 s0, s33, v42
	v_cndmask_b32_e64 v46, 0, v46, s0
	v_cmp_gt_i32_e64 s0, s33, v41
	s_delay_alu instid0(VALU_DEP_1) | instskip(SKIP_1) | instid1(VALU_DEP_1)
	v_cndmask_b32_e64 v44, 0, v44, s0
	v_cmp_gt_i32_e64 s0, s33, v34
	v_cndmask_b32_e64 v43, 0, v43, s0
; %bb.353:                              ;   in Loop: Header=BB272_285 Depth=1
	s_or_b32 exec_lo, exec_lo, s2
	global_load_b32 v47, v[11:12], off offset:256
	v_mov_b32_e32 v15, 0
	v_mov_b32_e32 v16, 0
	s_mov_b32 s2, exec_lo
	s_waitcnt vmcnt(0)
	v_and_b32_e32 v5, 0xff, v47
	s_delay_alu instid0(VALU_DEP_2) | instskip(NEXT) | instid1(VALU_DEP_2)
	v_dual_mov_b32 v13, v15 :: v_dual_mov_b32 v14, v16
	v_cmpx_ne_u16_e32 0, v5
	s_cbranch_execz .LBB272_361
; %bb.354:                              ;   in Loop: Header=BB272_285 Depth=1
	v_bfrev_b32_e32 v13, 1
	v_mov_b32_e32 v14, 0
	s_mov_b32 s11, exec_lo
	v_cmpx_ne_u16_e32 0x80, v5
	s_cbranch_execz .LBB272_360
; %bb.355:                              ;   in Loop: Header=BB272_285 Depth=1
	v_mov_b32_e32 v13, 0x7f800001
	v_dual_mov_b32 v14, 0 :: v_dual_and_b32 v17, 0x7f, v47
	s_mov_b32 s13, exec_lo
	s_delay_alu instid0(VALU_DEP_1)
	v_cmpx_ne_u32_e32 0x7f, v17
	s_cbranch_execz .LBB272_359
; %bb.356:                              ;   in Loop: Header=BB272_285 Depth=1
	v_and_b32_e32 v5, 7, v47
	v_lshrrev_b32_e32 v13, 3, v17
	s_mov_b32 s14, exec_lo
	v_cmpx_gt_u32_e32 8, v17
; %bb.357:                              ;   in Loop: Header=BB272_285 Depth=1
	s_delay_alu instid0(VALU_DEP_3) | instskip(NEXT) | instid1(VALU_DEP_1)
	v_clz_i32_u32_e32 v13, v5
	v_min_u32_e32 v13, 32, v13
	s_delay_alu instid0(VALU_DEP_1) | instskip(SKIP_1) | instid1(VALU_DEP_2)
	v_subrev_nc_u32_e32 v14, 28, v13
	v_sub_nc_u32_e32 v13, 29, v13
	v_lshlrev_b64 v[17:18], v14, v[5:6]
	s_delay_alu instid0(VALU_DEP_1)
	v_and_b32_e32 v5, 7, v17
; %bb.358:                              ;   in Loop: Header=BB272_285 Depth=1
	s_or_b32 exec_lo, exec_lo, s14
	v_lshlrev_b32_e32 v14, 24, v47
	s_delay_alu instid0(VALU_DEP_2) | instskip(SKIP_1) | instid1(VALU_DEP_3)
	v_lshlrev_b32_e32 v5, 20, v5
	v_lshl_add_u32 v13, v13, 23, 0x3c000000
	v_and_b32_e32 v14, 0x80000000, v14
	s_delay_alu instid0(VALU_DEP_1) | instskip(NEXT) | instid1(VALU_DEP_1)
	v_or3_b32 v5, v5, v14, v13
	v_dual_mov_b32 v14, v6 :: v_dual_mov_b32 v13, v5
.LBB272_359:                            ;   in Loop: Header=BB272_285 Depth=1
	s_or_b32 exec_lo, exec_lo, s13
.LBB272_360:                            ;   in Loop: Header=BB272_285 Depth=1
	s_delay_alu instid0(SALU_CYCLE_1)
	s_or_b32 exec_lo, exec_lo, s11
.LBB272_361:                            ;   in Loop: Header=BB272_285 Depth=1
	s_delay_alu instid0(SALU_CYCLE_1) | instskip(SKIP_2) | instid1(VALU_DEP_1)
	s_or_b32 exec_lo, exec_lo, s2
	v_lshrrev_b16 v5, 8, v47
	s_mov_b32 s11, exec_lo
	v_cmpx_ne_u16_e32 0, v5
	s_cbranch_execz .LBB272_369
; %bb.362:                              ;   in Loop: Header=BB272_285 Depth=1
	v_dual_mov_b32 v16, s5 :: v_dual_mov_b32 v15, s4
	s_mov_b32 s13, exec_lo
	v_cmpx_ne_u16_e32 0x80, v5
	s_cbranch_execz .LBB272_368
; %bb.363:                              ;   in Loop: Header=BB272_285 Depth=1
	s_mov_b32 s2, s4
	v_dual_mov_b32 v16, s3 :: v_dual_and_b32 v5, 0xffff, v5
	v_mov_b32_e32 v15, s2
	s_mov_b32 s2, exec_lo
	s_delay_alu instid0(VALU_DEP_2) | instskip(NEXT) | instid1(VALU_DEP_1)
	v_and_b32_e32 v17, 0x7f, v5
	v_cmpx_ne_u32_e32 0x7f, v17
	s_cbranch_execz .LBB272_367
; %bb.364:                              ;   in Loop: Header=BB272_285 Depth=1
	v_and_b32_e32 v5, 7, v5
	v_lshrrev_b32_e32 v15, 3, v17
	s_mov_b32 s14, exec_lo
	v_cmpx_gt_u32_e32 8, v17
; %bb.365:                              ;   in Loop: Header=BB272_285 Depth=1
	s_delay_alu instid0(VALU_DEP_3) | instskip(NEXT) | instid1(VALU_DEP_1)
	v_clz_i32_u32_e32 v15, v5
	v_min_u32_e32 v15, 32, v15
	s_delay_alu instid0(VALU_DEP_1) | instskip(SKIP_1) | instid1(VALU_DEP_2)
	v_subrev_nc_u32_e32 v16, 28, v15
	v_sub_nc_u32_e32 v15, 29, v15
	v_lshlrev_b64 v[16:17], v16, v[5:6]
	s_delay_alu instid0(VALU_DEP_1)
	v_and_b32_e32 v5, 7, v16
; %bb.366:                              ;   in Loop: Header=BB272_285 Depth=1
	s_or_b32 exec_lo, exec_lo, s14
	v_lshlrev_b32_e32 v16, 16, v47
	s_delay_alu instid0(VALU_DEP_2) | instskip(SKIP_1) | instid1(VALU_DEP_3)
	v_lshlrev_b32_e32 v5, 20, v5
	v_lshl_add_u32 v15, v15, 23, 0x3c000000
	v_and_b32_e32 v16, 0x80000000, v16
	s_delay_alu instid0(VALU_DEP_1)
	v_or3_b32 v16, v5, v16, v15
	v_mov_b32_e32 v15, v6
.LBB272_367:                            ;   in Loop: Header=BB272_285 Depth=1
	s_or_b32 exec_lo, exec_lo, s2
.LBB272_368:                            ;   in Loop: Header=BB272_285 Depth=1
	s_delay_alu instid0(SALU_CYCLE_1)
	s_or_b32 exec_lo, exec_lo, s13
.LBB272_369:                            ;   in Loop: Header=BB272_285 Depth=1
	s_delay_alu instid0(SALU_CYCLE_1) | instskip(SKIP_4) | instid1(VALU_DEP_2)
	s_or_b32 exec_lo, exec_lo, s11
	v_mov_b32_e32 v19, 0
	v_lshrrev_b32_e32 v48, 16, v47
	v_mov_b32_e32 v20, 0
	s_mov_b32 s2, exec_lo
	v_and_b32_e32 v5, 0xff, v48
	s_delay_alu instid0(VALU_DEP_2) | instskip(NEXT) | instid1(VALU_DEP_2)
	v_dual_mov_b32 v17, v19 :: v_dual_mov_b32 v18, v20
	v_cmpx_ne_u16_e32 0, v5
	s_cbranch_execz .LBB272_377
; %bb.370:                              ;   in Loop: Header=BB272_285 Depth=1
	v_bfrev_b32_e32 v17, 1
	v_mov_b32_e32 v18, 0
	s_mov_b32 s11, exec_lo
	v_cmpx_ne_u16_e32 0x80, v5
	s_cbranch_execz .LBB272_376
; %bb.371:                              ;   in Loop: Header=BB272_285 Depth=1
	v_mov_b32_e32 v17, 0x7f800001
	v_bfe_u32 v49, v47, 16, 7
	v_mov_b32_e32 v18, 0
	s_mov_b32 s13, exec_lo
	s_delay_alu instid0(VALU_DEP_2)
	v_cmpx_ne_u32_e32 0x7f, v49
	s_cbranch_execz .LBB272_375
; %bb.372:                              ;   in Loop: Header=BB272_285 Depth=1
	v_and_b32_e32 v5, 7, v48
	v_lshrrev_b32_e32 v17, 3, v49
	s_mov_b32 s14, exec_lo
	v_cmpx_gt_u32_e32 8, v49
; %bb.373:                              ;   in Loop: Header=BB272_285 Depth=1
	s_delay_alu instid0(VALU_DEP_3) | instskip(NEXT) | instid1(VALU_DEP_1)
	v_clz_i32_u32_e32 v17, v5
	v_min_u32_e32 v17, 32, v17
	s_delay_alu instid0(VALU_DEP_1) | instskip(SKIP_1) | instid1(VALU_DEP_2)
	v_subrev_nc_u32_e32 v18, 28, v17
	v_sub_nc_u32_e32 v17, 29, v17
	v_lshlrev_b64 v[49:50], v18, v[5:6]
	s_delay_alu instid0(VALU_DEP_1)
	v_and_b32_e32 v5, 7, v49
; %bb.374:                              ;   in Loop: Header=BB272_285 Depth=1
	s_or_b32 exec_lo, exec_lo, s14
	v_lshlrev_b32_e32 v18, 24, v48
	s_delay_alu instid0(VALU_DEP_2) | instskip(SKIP_1) | instid1(VALU_DEP_3)
	v_lshlrev_b32_e32 v5, 20, v5
	v_lshl_add_u32 v17, v17, 23, 0x3c000000
	v_and_b32_e32 v18, 0x80000000, v18
	s_delay_alu instid0(VALU_DEP_1) | instskip(NEXT) | instid1(VALU_DEP_1)
	v_or3_b32 v5, v5, v18, v17
	v_dual_mov_b32 v18, v6 :: v_dual_mov_b32 v17, v5
.LBB272_375:                            ;   in Loop: Header=BB272_285 Depth=1
	s_or_b32 exec_lo, exec_lo, s13
.LBB272_376:                            ;   in Loop: Header=BB272_285 Depth=1
	s_delay_alu instid0(SALU_CYCLE_1)
	s_or_b32 exec_lo, exec_lo, s11
.LBB272_377:                            ;   in Loop: Header=BB272_285 Depth=1
	s_delay_alu instid0(SALU_CYCLE_1) | instskip(NEXT) | instid1(SALU_CYCLE_1)
	s_or_b32 exec_lo, exec_lo, s2
	s_mov_b32 s11, exec_lo
	v_cmpx_lt_u32_e32 0xffffff, v47
	s_cbranch_execz .LBB272_385
; %bb.378:                              ;   in Loop: Header=BB272_285 Depth=1
	v_lshrrev_b32_e32 v48, 24, v47
	v_dual_mov_b32 v20, s5 :: v_dual_mov_b32 v19, s4
	s_mov_b32 s13, exec_lo
	s_delay_alu instid0(VALU_DEP_2)
	v_cmpx_ne_u32_e32 0x80, v48
	s_cbranch_execz .LBB272_384
; %bb.379:                              ;   in Loop: Header=BB272_285 Depth=1
	s_mov_b32 s2, s4
	v_bfe_u32 v47, v47, 24, 7
	v_dual_mov_b32 v20, s3 :: v_dual_mov_b32 v19, s2
	s_mov_b32 s2, exec_lo
	s_delay_alu instid0(VALU_DEP_2)
	v_cmpx_ne_u32_e32 0x7f, v47
	s_cbranch_execz .LBB272_383
; %bb.380:                              ;   in Loop: Header=BB272_285 Depth=1
	v_and_b32_e32 v5, 7, v48
	v_lshrrev_b32_e32 v19, 3, v47
	s_mov_b32 s14, exec_lo
	v_cmpx_gt_u32_e32 8, v47
; %bb.381:                              ;   in Loop: Header=BB272_285 Depth=1
	s_delay_alu instid0(VALU_DEP_3) | instskip(NEXT) | instid1(VALU_DEP_1)
	v_clz_i32_u32_e32 v19, v5
	v_min_u32_e32 v19, 32, v19
	s_delay_alu instid0(VALU_DEP_1) | instskip(SKIP_1) | instid1(VALU_DEP_2)
	v_subrev_nc_u32_e32 v20, 28, v19
	v_sub_nc_u32_e32 v19, 29, v19
	v_lshlrev_b64 v[49:50], v20, v[5:6]
	s_delay_alu instid0(VALU_DEP_1)
	v_and_b32_e32 v5, 7, v49
; %bb.382:                              ;   in Loop: Header=BB272_285 Depth=1
	s_or_b32 exec_lo, exec_lo, s14
	v_lshlrev_b32_e32 v20, 24, v48
	s_delay_alu instid0(VALU_DEP_2) | instskip(SKIP_1) | instid1(VALU_DEP_3)
	v_lshlrev_b32_e32 v5, 20, v5
	v_lshl_add_u32 v19, v19, 23, 0x3c000000
	v_and_b32_e32 v20, 0x80000000, v20
	s_delay_alu instid0(VALU_DEP_1)
	v_or3_b32 v20, v5, v20, v19
	v_mov_b32_e32 v19, v6
.LBB272_383:                            ;   in Loop: Header=BB272_285 Depth=1
	s_or_b32 exec_lo, exec_lo, s2
.LBB272_384:                            ;   in Loop: Header=BB272_285 Depth=1
	s_delay_alu instid0(SALU_CYCLE_1)
	s_or_b32 exec_lo, exec_lo, s13
.LBB272_385:                            ;   in Loop: Header=BB272_285 Depth=1
	s_delay_alu instid0(SALU_CYCLE_1) | instskip(SKIP_4) | instid1(VALU_DEP_4)
	s_or_b32 exec_lo, exec_lo, s11
	v_or_b32_e32 v5, v16, v14
	v_or_b32_e32 v13, v15, v13
	;; [unrolled: 1-line block ×4, first 2 shown]
	v_mul_f32_e32 v50, s9, v5
	s_delay_alu instid0(VALU_DEP_4) | instskip(NEXT) | instid1(VALU_DEP_3)
	v_mul_f32_e32 v49, s7, v13
	v_dual_mul_f32 v47, s9, v14 :: v_dual_mul_f32 v48, s7, v15
	s_and_saveexec_b32 s2, vcc_lo
; %bb.386:                              ;   in Loop: Header=BB272_285 Depth=1
	v_cmp_gt_i32_e64 s0, s33, v40
	s_delay_alu instid0(VALU_DEP_1) | instskip(SKIP_1) | instid1(VALU_DEP_1)
	v_cndmask_b32_e64 v49, 0, v49, s0
	v_cmp_gt_i32_e64 s0, s33, v42
	v_cndmask_b32_e64 v50, 0, v50, s0
	v_cmp_gt_i32_e64 s0, s33, v41
	s_delay_alu instid0(VALU_DEP_1) | instskip(SKIP_1) | instid1(VALU_DEP_1)
	v_cndmask_b32_e64 v48, 0, v48, s0
	v_cmp_gt_i32_e64 s0, s33, v34
	v_cndmask_b32_e64 v47, 0, v47, s0
; %bb.387:                              ;   in Loop: Header=BB272_285 Depth=1
	s_or_b32 exec_lo, exec_lo, s2
	global_load_b32 v51, v[11:12], off offset:384
	v_mov_b32_e32 v15, 0
	v_mov_b32_e32 v16, 0
	s_mov_b32 s2, exec_lo
	s_waitcnt vmcnt(0)
	v_and_b32_e32 v5, 0xff, v51
	s_delay_alu instid0(VALU_DEP_2) | instskip(NEXT) | instid1(VALU_DEP_2)
	v_dual_mov_b32 v13, v15 :: v_dual_mov_b32 v14, v16
	v_cmpx_ne_u16_e32 0, v5
	s_cbranch_execz .LBB272_395
; %bb.388:                              ;   in Loop: Header=BB272_285 Depth=1
	v_bfrev_b32_e32 v13, 1
	v_mov_b32_e32 v14, 0
	s_mov_b32 s11, exec_lo
	v_cmpx_ne_u16_e32 0x80, v5
	s_cbranch_execz .LBB272_394
; %bb.389:                              ;   in Loop: Header=BB272_285 Depth=1
	v_mov_b32_e32 v13, 0x7f800001
	v_dual_mov_b32 v14, 0 :: v_dual_and_b32 v17, 0x7f, v51
	s_mov_b32 s13, exec_lo
	s_delay_alu instid0(VALU_DEP_1)
	v_cmpx_ne_u32_e32 0x7f, v17
	s_cbranch_execz .LBB272_393
; %bb.390:                              ;   in Loop: Header=BB272_285 Depth=1
	v_and_b32_e32 v5, 7, v51
	v_lshrrev_b32_e32 v13, 3, v17
	s_mov_b32 s14, exec_lo
	v_cmpx_gt_u32_e32 8, v17
; %bb.391:                              ;   in Loop: Header=BB272_285 Depth=1
	s_delay_alu instid0(VALU_DEP_3) | instskip(NEXT) | instid1(VALU_DEP_1)
	v_clz_i32_u32_e32 v13, v5
	v_min_u32_e32 v13, 32, v13
	s_delay_alu instid0(VALU_DEP_1) | instskip(SKIP_1) | instid1(VALU_DEP_2)
	v_subrev_nc_u32_e32 v14, 28, v13
	v_sub_nc_u32_e32 v13, 29, v13
	v_lshlrev_b64 v[17:18], v14, v[5:6]
	s_delay_alu instid0(VALU_DEP_1)
	v_and_b32_e32 v5, 7, v17
; %bb.392:                              ;   in Loop: Header=BB272_285 Depth=1
	s_or_b32 exec_lo, exec_lo, s14
	v_lshlrev_b32_e32 v14, 24, v51
	s_delay_alu instid0(VALU_DEP_2) | instskip(SKIP_1) | instid1(VALU_DEP_3)
	v_lshlrev_b32_e32 v5, 20, v5
	v_lshl_add_u32 v13, v13, 23, 0x3c000000
	v_and_b32_e32 v14, 0x80000000, v14
	s_delay_alu instid0(VALU_DEP_1) | instskip(NEXT) | instid1(VALU_DEP_1)
	v_or3_b32 v5, v5, v14, v13
	v_dual_mov_b32 v14, v6 :: v_dual_mov_b32 v13, v5
.LBB272_393:                            ;   in Loop: Header=BB272_285 Depth=1
	s_or_b32 exec_lo, exec_lo, s13
.LBB272_394:                            ;   in Loop: Header=BB272_285 Depth=1
	s_delay_alu instid0(SALU_CYCLE_1)
	s_or_b32 exec_lo, exec_lo, s11
.LBB272_395:                            ;   in Loop: Header=BB272_285 Depth=1
	s_delay_alu instid0(SALU_CYCLE_1) | instskip(SKIP_2) | instid1(VALU_DEP_1)
	s_or_b32 exec_lo, exec_lo, s2
	v_lshrrev_b16 v5, 8, v51
	s_mov_b32 s11, exec_lo
	v_cmpx_ne_u16_e32 0, v5
	s_cbranch_execz .LBB272_403
; %bb.396:                              ;   in Loop: Header=BB272_285 Depth=1
	v_dual_mov_b32 v16, s5 :: v_dual_mov_b32 v15, s4
	s_mov_b32 s13, exec_lo
	v_cmpx_ne_u16_e32 0x80, v5
	s_cbranch_execz .LBB272_402
; %bb.397:                              ;   in Loop: Header=BB272_285 Depth=1
	s_mov_b32 s2, s4
	v_dual_mov_b32 v16, s3 :: v_dual_and_b32 v5, 0xffff, v5
	v_mov_b32_e32 v15, s2
	s_mov_b32 s2, exec_lo
	s_delay_alu instid0(VALU_DEP_2) | instskip(NEXT) | instid1(VALU_DEP_1)
	v_and_b32_e32 v17, 0x7f, v5
	v_cmpx_ne_u32_e32 0x7f, v17
	s_cbranch_execz .LBB272_401
; %bb.398:                              ;   in Loop: Header=BB272_285 Depth=1
	v_and_b32_e32 v5, 7, v5
	v_lshrrev_b32_e32 v15, 3, v17
	s_mov_b32 s14, exec_lo
	v_cmpx_gt_u32_e32 8, v17
; %bb.399:                              ;   in Loop: Header=BB272_285 Depth=1
	s_delay_alu instid0(VALU_DEP_3) | instskip(NEXT) | instid1(VALU_DEP_1)
	v_clz_i32_u32_e32 v15, v5
	v_min_u32_e32 v15, 32, v15
	s_delay_alu instid0(VALU_DEP_1) | instskip(SKIP_1) | instid1(VALU_DEP_2)
	v_subrev_nc_u32_e32 v16, 28, v15
	v_sub_nc_u32_e32 v15, 29, v15
	v_lshlrev_b64 v[16:17], v16, v[5:6]
	s_delay_alu instid0(VALU_DEP_1)
	v_and_b32_e32 v5, 7, v16
; %bb.400:                              ;   in Loop: Header=BB272_285 Depth=1
	s_or_b32 exec_lo, exec_lo, s14
	v_lshlrev_b32_e32 v16, 16, v51
	s_delay_alu instid0(VALU_DEP_2) | instskip(SKIP_1) | instid1(VALU_DEP_3)
	v_lshlrev_b32_e32 v5, 20, v5
	v_lshl_add_u32 v15, v15, 23, 0x3c000000
	v_and_b32_e32 v16, 0x80000000, v16
	s_delay_alu instid0(VALU_DEP_1)
	v_or3_b32 v16, v5, v16, v15
	v_mov_b32_e32 v15, v6
.LBB272_401:                            ;   in Loop: Header=BB272_285 Depth=1
	s_or_b32 exec_lo, exec_lo, s2
.LBB272_402:                            ;   in Loop: Header=BB272_285 Depth=1
	s_delay_alu instid0(SALU_CYCLE_1)
	s_or_b32 exec_lo, exec_lo, s13
.LBB272_403:                            ;   in Loop: Header=BB272_285 Depth=1
	s_delay_alu instid0(SALU_CYCLE_1) | instskip(SKIP_4) | instid1(VALU_DEP_2)
	s_or_b32 exec_lo, exec_lo, s11
	v_mov_b32_e32 v19, 0
	v_lshrrev_b32_e32 v52, 16, v51
	v_mov_b32_e32 v20, 0
	s_mov_b32 s2, exec_lo
	v_and_b32_e32 v5, 0xff, v52
	s_delay_alu instid0(VALU_DEP_2) | instskip(NEXT) | instid1(VALU_DEP_2)
	v_dual_mov_b32 v17, v19 :: v_dual_mov_b32 v18, v20
	v_cmpx_ne_u16_e32 0, v5
	s_cbranch_execz .LBB272_411
; %bb.404:                              ;   in Loop: Header=BB272_285 Depth=1
	v_bfrev_b32_e32 v17, 1
	v_mov_b32_e32 v18, 0
	s_mov_b32 s11, exec_lo
	v_cmpx_ne_u16_e32 0x80, v5
	s_cbranch_execz .LBB272_410
; %bb.405:                              ;   in Loop: Header=BB272_285 Depth=1
	v_mov_b32_e32 v17, 0x7f800001
	v_bfe_u32 v53, v51, 16, 7
	v_mov_b32_e32 v18, 0
	s_mov_b32 s13, exec_lo
	s_delay_alu instid0(VALU_DEP_2)
	v_cmpx_ne_u32_e32 0x7f, v53
	s_cbranch_execz .LBB272_409
; %bb.406:                              ;   in Loop: Header=BB272_285 Depth=1
	v_and_b32_e32 v5, 7, v52
	v_lshrrev_b32_e32 v17, 3, v53
	s_mov_b32 s14, exec_lo
	v_cmpx_gt_u32_e32 8, v53
; %bb.407:                              ;   in Loop: Header=BB272_285 Depth=1
	s_delay_alu instid0(VALU_DEP_3) | instskip(NEXT) | instid1(VALU_DEP_1)
	v_clz_i32_u32_e32 v17, v5
	v_min_u32_e32 v17, 32, v17
	s_delay_alu instid0(VALU_DEP_1) | instskip(SKIP_1) | instid1(VALU_DEP_2)
	v_subrev_nc_u32_e32 v18, 28, v17
	v_sub_nc_u32_e32 v17, 29, v17
	v_lshlrev_b64 v[53:54], v18, v[5:6]
	s_delay_alu instid0(VALU_DEP_1)
	v_and_b32_e32 v5, 7, v53
; %bb.408:                              ;   in Loop: Header=BB272_285 Depth=1
	s_or_b32 exec_lo, exec_lo, s14
	v_lshlrev_b32_e32 v18, 24, v52
	s_delay_alu instid0(VALU_DEP_2) | instskip(SKIP_1) | instid1(VALU_DEP_3)
	v_lshlrev_b32_e32 v5, 20, v5
	v_lshl_add_u32 v17, v17, 23, 0x3c000000
	v_and_b32_e32 v18, 0x80000000, v18
	s_delay_alu instid0(VALU_DEP_1) | instskip(NEXT) | instid1(VALU_DEP_1)
	v_or3_b32 v5, v5, v18, v17
	v_dual_mov_b32 v18, v6 :: v_dual_mov_b32 v17, v5
.LBB272_409:                            ;   in Loop: Header=BB272_285 Depth=1
	s_or_b32 exec_lo, exec_lo, s13
.LBB272_410:                            ;   in Loop: Header=BB272_285 Depth=1
	s_delay_alu instid0(SALU_CYCLE_1)
	s_or_b32 exec_lo, exec_lo, s11
.LBB272_411:                            ;   in Loop: Header=BB272_285 Depth=1
	s_delay_alu instid0(SALU_CYCLE_1) | instskip(NEXT) | instid1(SALU_CYCLE_1)
	s_or_b32 exec_lo, exec_lo, s2
	s_mov_b32 s11, exec_lo
	v_cmpx_lt_u32_e32 0xffffff, v51
	s_cbranch_execz .LBB272_419
; %bb.412:                              ;   in Loop: Header=BB272_285 Depth=1
	v_lshrrev_b32_e32 v52, 24, v51
	v_dual_mov_b32 v20, s5 :: v_dual_mov_b32 v19, s4
	s_mov_b32 s13, exec_lo
	s_delay_alu instid0(VALU_DEP_2)
	v_cmpx_ne_u32_e32 0x80, v52
	s_cbranch_execz .LBB272_418
; %bb.413:                              ;   in Loop: Header=BB272_285 Depth=1
	s_mov_b32 s2, s4
	v_bfe_u32 v51, v51, 24, 7
	v_dual_mov_b32 v20, s3 :: v_dual_mov_b32 v19, s2
	s_mov_b32 s2, exec_lo
	s_delay_alu instid0(VALU_DEP_2)
	v_cmpx_ne_u32_e32 0x7f, v51
	s_cbranch_execz .LBB272_417
; %bb.414:                              ;   in Loop: Header=BB272_285 Depth=1
	v_and_b32_e32 v5, 7, v52
	v_lshrrev_b32_e32 v19, 3, v51
	s_mov_b32 s14, exec_lo
	v_cmpx_gt_u32_e32 8, v51
; %bb.415:                              ;   in Loop: Header=BB272_285 Depth=1
	s_delay_alu instid0(VALU_DEP_3) | instskip(NEXT) | instid1(VALU_DEP_1)
	v_clz_i32_u32_e32 v19, v5
	v_min_u32_e32 v19, 32, v19
	s_delay_alu instid0(VALU_DEP_1) | instskip(SKIP_1) | instid1(VALU_DEP_2)
	v_subrev_nc_u32_e32 v20, 28, v19
	v_sub_nc_u32_e32 v19, 29, v19
	v_lshlrev_b64 v[53:54], v20, v[5:6]
	s_delay_alu instid0(VALU_DEP_1)
	v_and_b32_e32 v5, 7, v53
; %bb.416:                              ;   in Loop: Header=BB272_285 Depth=1
	s_or_b32 exec_lo, exec_lo, s14
	v_lshlrev_b32_e32 v20, 24, v52
	s_delay_alu instid0(VALU_DEP_2) | instskip(SKIP_1) | instid1(VALU_DEP_3)
	v_lshlrev_b32_e32 v5, 20, v5
	v_lshl_add_u32 v19, v19, 23, 0x3c000000
	v_and_b32_e32 v20, 0x80000000, v20
	s_delay_alu instid0(VALU_DEP_1)
	v_or3_b32 v20, v5, v20, v19
	v_mov_b32_e32 v19, v6
.LBB272_417:                            ;   in Loop: Header=BB272_285 Depth=1
	s_or_b32 exec_lo, exec_lo, s2
.LBB272_418:                            ;   in Loop: Header=BB272_285 Depth=1
	s_delay_alu instid0(SALU_CYCLE_1)
	s_or_b32 exec_lo, exec_lo, s13
.LBB272_419:                            ;   in Loop: Header=BB272_285 Depth=1
	s_delay_alu instid0(SALU_CYCLE_1) | instskip(SKIP_4) | instid1(VALU_DEP_4)
	s_or_b32 exec_lo, exec_lo, s11
	v_or_b32_e32 v5, v16, v14
	v_or_b32_e32 v13, v15, v13
	;; [unrolled: 1-line block ×4, first 2 shown]
	v_mul_f32_e32 v54, s9, v5
	s_delay_alu instid0(VALU_DEP_4) | instskip(NEXT) | instid1(VALU_DEP_3)
	v_mul_f32_e32 v53, s7, v13
	v_dual_mul_f32 v51, s9, v14 :: v_dual_mul_f32 v52, s7, v15
	s_and_saveexec_b32 s2, vcc_lo
; %bb.420:                              ;   in Loop: Header=BB272_285 Depth=1
	v_cmp_gt_i32_e64 s0, s33, v40
	s_delay_alu instid0(VALU_DEP_1) | instskip(SKIP_1) | instid1(VALU_DEP_1)
	v_cndmask_b32_e64 v53, 0, v53, s0
	v_cmp_gt_i32_e64 s0, s33, v42
	v_cndmask_b32_e64 v54, 0, v54, s0
	v_cmp_gt_i32_e64 s0, s33, v41
	s_delay_alu instid0(VALU_DEP_1) | instskip(SKIP_1) | instid1(VALU_DEP_1)
	v_cndmask_b32_e64 v52, 0, v52, s0
	v_cmp_gt_i32_e64 s0, s33, v34
	v_cndmask_b32_e64 v51, 0, v51, s0
; %bb.421:                              ;   in Loop: Header=BB272_285 Depth=1
	s_or_b32 exec_lo, exec_lo, s2
	global_load_b32 v55, v[11:12], off offset:512
	v_mov_b32_e32 v15, 0
	v_mov_b32_e32 v16, 0
	s_mov_b32 s2, exec_lo
	s_waitcnt vmcnt(0)
	v_and_b32_e32 v5, 0xff, v55
	s_delay_alu instid0(VALU_DEP_2) | instskip(NEXT) | instid1(VALU_DEP_2)
	v_dual_mov_b32 v13, v15 :: v_dual_mov_b32 v14, v16
	v_cmpx_ne_u16_e32 0, v5
	s_cbranch_execz .LBB272_429
; %bb.422:                              ;   in Loop: Header=BB272_285 Depth=1
	v_bfrev_b32_e32 v13, 1
	v_mov_b32_e32 v14, 0
	s_mov_b32 s11, exec_lo
	v_cmpx_ne_u16_e32 0x80, v5
	s_cbranch_execz .LBB272_428
; %bb.423:                              ;   in Loop: Header=BB272_285 Depth=1
	v_mov_b32_e32 v13, 0x7f800001
	v_dual_mov_b32 v14, 0 :: v_dual_and_b32 v17, 0x7f, v55
	s_mov_b32 s13, exec_lo
	s_delay_alu instid0(VALU_DEP_1)
	v_cmpx_ne_u32_e32 0x7f, v17
	s_cbranch_execz .LBB272_427
; %bb.424:                              ;   in Loop: Header=BB272_285 Depth=1
	v_and_b32_e32 v5, 7, v55
	v_lshrrev_b32_e32 v13, 3, v17
	s_mov_b32 s14, exec_lo
	v_cmpx_gt_u32_e32 8, v17
; %bb.425:                              ;   in Loop: Header=BB272_285 Depth=1
	s_delay_alu instid0(VALU_DEP_3) | instskip(NEXT) | instid1(VALU_DEP_1)
	v_clz_i32_u32_e32 v13, v5
	v_min_u32_e32 v13, 32, v13
	s_delay_alu instid0(VALU_DEP_1) | instskip(SKIP_1) | instid1(VALU_DEP_2)
	v_subrev_nc_u32_e32 v14, 28, v13
	v_sub_nc_u32_e32 v13, 29, v13
	v_lshlrev_b64 v[17:18], v14, v[5:6]
	s_delay_alu instid0(VALU_DEP_1)
	v_and_b32_e32 v5, 7, v17
; %bb.426:                              ;   in Loop: Header=BB272_285 Depth=1
	s_or_b32 exec_lo, exec_lo, s14
	v_lshlrev_b32_e32 v14, 24, v55
	s_delay_alu instid0(VALU_DEP_2) | instskip(SKIP_1) | instid1(VALU_DEP_3)
	v_lshlrev_b32_e32 v5, 20, v5
	v_lshl_add_u32 v13, v13, 23, 0x3c000000
	v_and_b32_e32 v14, 0x80000000, v14
	s_delay_alu instid0(VALU_DEP_1) | instskip(NEXT) | instid1(VALU_DEP_1)
	v_or3_b32 v5, v5, v14, v13
	v_dual_mov_b32 v14, v6 :: v_dual_mov_b32 v13, v5
.LBB272_427:                            ;   in Loop: Header=BB272_285 Depth=1
	s_or_b32 exec_lo, exec_lo, s13
.LBB272_428:                            ;   in Loop: Header=BB272_285 Depth=1
	s_delay_alu instid0(SALU_CYCLE_1)
	s_or_b32 exec_lo, exec_lo, s11
.LBB272_429:                            ;   in Loop: Header=BB272_285 Depth=1
	s_delay_alu instid0(SALU_CYCLE_1) | instskip(SKIP_2) | instid1(VALU_DEP_1)
	s_or_b32 exec_lo, exec_lo, s2
	v_lshrrev_b16 v5, 8, v55
	s_mov_b32 s11, exec_lo
	v_cmpx_ne_u16_e32 0, v5
	s_cbranch_execz .LBB272_437
; %bb.430:                              ;   in Loop: Header=BB272_285 Depth=1
	v_dual_mov_b32 v16, s5 :: v_dual_mov_b32 v15, s4
	s_mov_b32 s13, exec_lo
	v_cmpx_ne_u16_e32 0x80, v5
	s_cbranch_execz .LBB272_436
; %bb.431:                              ;   in Loop: Header=BB272_285 Depth=1
	s_mov_b32 s2, s4
	v_dual_mov_b32 v16, s3 :: v_dual_and_b32 v5, 0xffff, v5
	v_mov_b32_e32 v15, s2
	s_mov_b32 s2, exec_lo
	s_delay_alu instid0(VALU_DEP_2) | instskip(NEXT) | instid1(VALU_DEP_1)
	v_and_b32_e32 v17, 0x7f, v5
	v_cmpx_ne_u32_e32 0x7f, v17
	s_cbranch_execz .LBB272_435
; %bb.432:                              ;   in Loop: Header=BB272_285 Depth=1
	v_and_b32_e32 v5, 7, v5
	v_lshrrev_b32_e32 v15, 3, v17
	s_mov_b32 s14, exec_lo
	v_cmpx_gt_u32_e32 8, v17
; %bb.433:                              ;   in Loop: Header=BB272_285 Depth=1
	s_delay_alu instid0(VALU_DEP_3) | instskip(NEXT) | instid1(VALU_DEP_1)
	v_clz_i32_u32_e32 v15, v5
	v_min_u32_e32 v15, 32, v15
	s_delay_alu instid0(VALU_DEP_1) | instskip(SKIP_1) | instid1(VALU_DEP_2)
	v_subrev_nc_u32_e32 v16, 28, v15
	v_sub_nc_u32_e32 v15, 29, v15
	v_lshlrev_b64 v[16:17], v16, v[5:6]
	s_delay_alu instid0(VALU_DEP_1)
	v_and_b32_e32 v5, 7, v16
; %bb.434:                              ;   in Loop: Header=BB272_285 Depth=1
	s_or_b32 exec_lo, exec_lo, s14
	v_lshlrev_b32_e32 v16, 16, v55
	s_delay_alu instid0(VALU_DEP_2) | instskip(SKIP_1) | instid1(VALU_DEP_3)
	v_lshlrev_b32_e32 v5, 20, v5
	v_lshl_add_u32 v15, v15, 23, 0x3c000000
	v_and_b32_e32 v16, 0x80000000, v16
	s_delay_alu instid0(VALU_DEP_1)
	v_or3_b32 v16, v5, v16, v15
	v_mov_b32_e32 v15, v6
.LBB272_435:                            ;   in Loop: Header=BB272_285 Depth=1
	s_or_b32 exec_lo, exec_lo, s2
.LBB272_436:                            ;   in Loop: Header=BB272_285 Depth=1
	s_delay_alu instid0(SALU_CYCLE_1)
	s_or_b32 exec_lo, exec_lo, s13
.LBB272_437:                            ;   in Loop: Header=BB272_285 Depth=1
	s_delay_alu instid0(SALU_CYCLE_1) | instskip(SKIP_4) | instid1(VALU_DEP_2)
	s_or_b32 exec_lo, exec_lo, s11
	v_mov_b32_e32 v19, 0
	v_lshrrev_b32_e32 v56, 16, v55
	v_mov_b32_e32 v20, 0
	s_mov_b32 s2, exec_lo
	v_and_b32_e32 v5, 0xff, v56
	s_delay_alu instid0(VALU_DEP_2) | instskip(NEXT) | instid1(VALU_DEP_2)
	v_dual_mov_b32 v17, v19 :: v_dual_mov_b32 v18, v20
	v_cmpx_ne_u16_e32 0, v5
	s_cbranch_execz .LBB272_445
; %bb.438:                              ;   in Loop: Header=BB272_285 Depth=1
	v_bfrev_b32_e32 v17, 1
	v_mov_b32_e32 v18, 0
	s_mov_b32 s11, exec_lo
	v_cmpx_ne_u16_e32 0x80, v5
	s_cbranch_execz .LBB272_444
; %bb.439:                              ;   in Loop: Header=BB272_285 Depth=1
	v_mov_b32_e32 v17, 0x7f800001
	v_bfe_u32 v57, v55, 16, 7
	v_mov_b32_e32 v18, 0
	s_mov_b32 s13, exec_lo
	s_delay_alu instid0(VALU_DEP_2)
	v_cmpx_ne_u32_e32 0x7f, v57
	s_cbranch_execz .LBB272_443
; %bb.440:                              ;   in Loop: Header=BB272_285 Depth=1
	v_and_b32_e32 v5, 7, v56
	v_lshrrev_b32_e32 v17, 3, v57
	s_mov_b32 s14, exec_lo
	v_cmpx_gt_u32_e32 8, v57
; %bb.441:                              ;   in Loop: Header=BB272_285 Depth=1
	s_delay_alu instid0(VALU_DEP_3) | instskip(NEXT) | instid1(VALU_DEP_1)
	v_clz_i32_u32_e32 v17, v5
	v_min_u32_e32 v17, 32, v17
	s_delay_alu instid0(VALU_DEP_1) | instskip(SKIP_1) | instid1(VALU_DEP_2)
	v_subrev_nc_u32_e32 v18, 28, v17
	v_sub_nc_u32_e32 v17, 29, v17
	v_lshlrev_b64 v[57:58], v18, v[5:6]
	s_delay_alu instid0(VALU_DEP_1)
	v_and_b32_e32 v5, 7, v57
; %bb.442:                              ;   in Loop: Header=BB272_285 Depth=1
	s_or_b32 exec_lo, exec_lo, s14
	v_lshlrev_b32_e32 v18, 24, v56
	s_delay_alu instid0(VALU_DEP_2) | instskip(SKIP_1) | instid1(VALU_DEP_3)
	v_lshlrev_b32_e32 v5, 20, v5
	v_lshl_add_u32 v17, v17, 23, 0x3c000000
	v_and_b32_e32 v18, 0x80000000, v18
	s_delay_alu instid0(VALU_DEP_1) | instskip(NEXT) | instid1(VALU_DEP_1)
	v_or3_b32 v5, v5, v18, v17
	v_dual_mov_b32 v18, v6 :: v_dual_mov_b32 v17, v5
.LBB272_443:                            ;   in Loop: Header=BB272_285 Depth=1
	s_or_b32 exec_lo, exec_lo, s13
.LBB272_444:                            ;   in Loop: Header=BB272_285 Depth=1
	s_delay_alu instid0(SALU_CYCLE_1)
	s_or_b32 exec_lo, exec_lo, s11
.LBB272_445:                            ;   in Loop: Header=BB272_285 Depth=1
	s_delay_alu instid0(SALU_CYCLE_1) | instskip(NEXT) | instid1(SALU_CYCLE_1)
	s_or_b32 exec_lo, exec_lo, s2
	s_mov_b32 s11, exec_lo
	v_cmpx_lt_u32_e32 0xffffff, v55
	s_cbranch_execz .LBB272_453
; %bb.446:                              ;   in Loop: Header=BB272_285 Depth=1
	v_lshrrev_b32_e32 v56, 24, v55
	v_dual_mov_b32 v20, s5 :: v_dual_mov_b32 v19, s4
	s_mov_b32 s13, exec_lo
	s_delay_alu instid0(VALU_DEP_2)
	v_cmpx_ne_u32_e32 0x80, v56
	s_cbranch_execz .LBB272_452
; %bb.447:                              ;   in Loop: Header=BB272_285 Depth=1
	s_mov_b32 s2, s4
	v_bfe_u32 v55, v55, 24, 7
	v_dual_mov_b32 v20, s3 :: v_dual_mov_b32 v19, s2
	s_mov_b32 s2, exec_lo
	s_delay_alu instid0(VALU_DEP_2)
	v_cmpx_ne_u32_e32 0x7f, v55
	s_cbranch_execz .LBB272_451
; %bb.448:                              ;   in Loop: Header=BB272_285 Depth=1
	v_and_b32_e32 v5, 7, v56
	v_lshrrev_b32_e32 v19, 3, v55
	s_mov_b32 s14, exec_lo
	v_cmpx_gt_u32_e32 8, v55
; %bb.449:                              ;   in Loop: Header=BB272_285 Depth=1
	s_delay_alu instid0(VALU_DEP_3) | instskip(NEXT) | instid1(VALU_DEP_1)
	v_clz_i32_u32_e32 v19, v5
	v_min_u32_e32 v19, 32, v19
	s_delay_alu instid0(VALU_DEP_1) | instskip(SKIP_1) | instid1(VALU_DEP_2)
	v_subrev_nc_u32_e32 v20, 28, v19
	v_sub_nc_u32_e32 v19, 29, v19
	v_lshlrev_b64 v[57:58], v20, v[5:6]
	s_delay_alu instid0(VALU_DEP_1)
	v_and_b32_e32 v5, 7, v57
; %bb.450:                              ;   in Loop: Header=BB272_285 Depth=1
	s_or_b32 exec_lo, exec_lo, s14
	v_lshlrev_b32_e32 v20, 24, v56
	s_delay_alu instid0(VALU_DEP_2) | instskip(SKIP_1) | instid1(VALU_DEP_3)
	v_lshlrev_b32_e32 v5, 20, v5
	v_lshl_add_u32 v19, v19, 23, 0x3c000000
	v_and_b32_e32 v20, 0x80000000, v20
	s_delay_alu instid0(VALU_DEP_1)
	v_or3_b32 v20, v5, v20, v19
	v_mov_b32_e32 v19, v6
.LBB272_451:                            ;   in Loop: Header=BB272_285 Depth=1
	s_or_b32 exec_lo, exec_lo, s2
.LBB272_452:                            ;   in Loop: Header=BB272_285 Depth=1
	s_delay_alu instid0(SALU_CYCLE_1)
	s_or_b32 exec_lo, exec_lo, s13
.LBB272_453:                            ;   in Loop: Header=BB272_285 Depth=1
	s_delay_alu instid0(SALU_CYCLE_1) | instskip(SKIP_4) | instid1(VALU_DEP_4)
	s_or_b32 exec_lo, exec_lo, s11
	v_or_b32_e32 v5, v16, v14
	v_or_b32_e32 v13, v15, v13
	v_or_b32_e32 v14, v20, v18
	v_or_b32_e32 v15, v19, v17
	v_mul_f32_e32 v58, s9, v5
	s_delay_alu instid0(VALU_DEP_4) | instskip(NEXT) | instid1(VALU_DEP_3)
	v_mul_f32_e32 v57, s7, v13
	v_dual_mul_f32 v55, s9, v14 :: v_dual_mul_f32 v56, s7, v15
	s_and_saveexec_b32 s2, vcc_lo
; %bb.454:                              ;   in Loop: Header=BB272_285 Depth=1
	v_cmp_gt_i32_e64 s0, s33, v40
	s_delay_alu instid0(VALU_DEP_1) | instskip(SKIP_1) | instid1(VALU_DEP_1)
	v_cndmask_b32_e64 v57, 0, v57, s0
	v_cmp_gt_i32_e64 s0, s33, v42
	v_cndmask_b32_e64 v58, 0, v58, s0
	v_cmp_gt_i32_e64 s0, s33, v41
	s_delay_alu instid0(VALU_DEP_1) | instskip(SKIP_1) | instid1(VALU_DEP_1)
	v_cndmask_b32_e64 v56, 0, v56, s0
	v_cmp_gt_i32_e64 s0, s33, v34
	v_cndmask_b32_e64 v55, 0, v55, s0
; %bb.455:                              ;   in Loop: Header=BB272_285 Depth=1
	s_or_b32 exec_lo, exec_lo, s2
	global_load_b32 v59, v[11:12], off offset:640
	v_mov_b32_e32 v15, 0
	v_mov_b32_e32 v16, 0
	s_mov_b32 s2, exec_lo
	s_waitcnt vmcnt(0)
	v_and_b32_e32 v5, 0xff, v59
	s_delay_alu instid0(VALU_DEP_2) | instskip(NEXT) | instid1(VALU_DEP_2)
	v_dual_mov_b32 v13, v15 :: v_dual_mov_b32 v14, v16
	v_cmpx_ne_u16_e32 0, v5
	s_cbranch_execz .LBB272_463
; %bb.456:                              ;   in Loop: Header=BB272_285 Depth=1
	v_bfrev_b32_e32 v13, 1
	v_mov_b32_e32 v14, 0
	s_mov_b32 s11, exec_lo
	v_cmpx_ne_u16_e32 0x80, v5
	s_cbranch_execz .LBB272_462
; %bb.457:                              ;   in Loop: Header=BB272_285 Depth=1
	v_mov_b32_e32 v13, 0x7f800001
	v_dual_mov_b32 v14, 0 :: v_dual_and_b32 v17, 0x7f, v59
	s_mov_b32 s13, exec_lo
	s_delay_alu instid0(VALU_DEP_1)
	v_cmpx_ne_u32_e32 0x7f, v17
	s_cbranch_execz .LBB272_461
; %bb.458:                              ;   in Loop: Header=BB272_285 Depth=1
	v_and_b32_e32 v5, 7, v59
	v_lshrrev_b32_e32 v13, 3, v17
	s_mov_b32 s14, exec_lo
	v_cmpx_gt_u32_e32 8, v17
; %bb.459:                              ;   in Loop: Header=BB272_285 Depth=1
	s_delay_alu instid0(VALU_DEP_3) | instskip(NEXT) | instid1(VALU_DEP_1)
	v_clz_i32_u32_e32 v13, v5
	v_min_u32_e32 v13, 32, v13
	s_delay_alu instid0(VALU_DEP_1) | instskip(SKIP_1) | instid1(VALU_DEP_2)
	v_subrev_nc_u32_e32 v14, 28, v13
	v_sub_nc_u32_e32 v13, 29, v13
	v_lshlrev_b64 v[17:18], v14, v[5:6]
	s_delay_alu instid0(VALU_DEP_1)
	v_and_b32_e32 v5, 7, v17
; %bb.460:                              ;   in Loop: Header=BB272_285 Depth=1
	s_or_b32 exec_lo, exec_lo, s14
	v_lshlrev_b32_e32 v14, 24, v59
	s_delay_alu instid0(VALU_DEP_2) | instskip(SKIP_1) | instid1(VALU_DEP_3)
	v_lshlrev_b32_e32 v5, 20, v5
	v_lshl_add_u32 v13, v13, 23, 0x3c000000
	v_and_b32_e32 v14, 0x80000000, v14
	s_delay_alu instid0(VALU_DEP_1) | instskip(NEXT) | instid1(VALU_DEP_1)
	v_or3_b32 v5, v5, v14, v13
	v_dual_mov_b32 v14, v6 :: v_dual_mov_b32 v13, v5
.LBB272_461:                            ;   in Loop: Header=BB272_285 Depth=1
	s_or_b32 exec_lo, exec_lo, s13
.LBB272_462:                            ;   in Loop: Header=BB272_285 Depth=1
	s_delay_alu instid0(SALU_CYCLE_1)
	s_or_b32 exec_lo, exec_lo, s11
.LBB272_463:                            ;   in Loop: Header=BB272_285 Depth=1
	s_delay_alu instid0(SALU_CYCLE_1) | instskip(SKIP_2) | instid1(VALU_DEP_1)
	s_or_b32 exec_lo, exec_lo, s2
	v_lshrrev_b16 v5, 8, v59
	s_mov_b32 s11, exec_lo
	v_cmpx_ne_u16_e32 0, v5
	s_cbranch_execz .LBB272_471
; %bb.464:                              ;   in Loop: Header=BB272_285 Depth=1
	v_dual_mov_b32 v16, s5 :: v_dual_mov_b32 v15, s4
	s_mov_b32 s13, exec_lo
	v_cmpx_ne_u16_e32 0x80, v5
	s_cbranch_execz .LBB272_470
; %bb.465:                              ;   in Loop: Header=BB272_285 Depth=1
	s_mov_b32 s2, s4
	v_dual_mov_b32 v16, s3 :: v_dual_and_b32 v5, 0xffff, v5
	v_mov_b32_e32 v15, s2
	s_mov_b32 s2, exec_lo
	s_delay_alu instid0(VALU_DEP_2) | instskip(NEXT) | instid1(VALU_DEP_1)
	v_and_b32_e32 v17, 0x7f, v5
	v_cmpx_ne_u32_e32 0x7f, v17
	s_cbranch_execz .LBB272_469
; %bb.466:                              ;   in Loop: Header=BB272_285 Depth=1
	v_and_b32_e32 v5, 7, v5
	v_lshrrev_b32_e32 v15, 3, v17
	s_mov_b32 s14, exec_lo
	v_cmpx_gt_u32_e32 8, v17
; %bb.467:                              ;   in Loop: Header=BB272_285 Depth=1
	s_delay_alu instid0(VALU_DEP_3) | instskip(NEXT) | instid1(VALU_DEP_1)
	v_clz_i32_u32_e32 v15, v5
	v_min_u32_e32 v15, 32, v15
	s_delay_alu instid0(VALU_DEP_1) | instskip(SKIP_1) | instid1(VALU_DEP_2)
	v_subrev_nc_u32_e32 v16, 28, v15
	v_sub_nc_u32_e32 v15, 29, v15
	v_lshlrev_b64 v[16:17], v16, v[5:6]
	s_delay_alu instid0(VALU_DEP_1)
	v_and_b32_e32 v5, 7, v16
; %bb.468:                              ;   in Loop: Header=BB272_285 Depth=1
	s_or_b32 exec_lo, exec_lo, s14
	v_lshlrev_b32_e32 v16, 16, v59
	s_delay_alu instid0(VALU_DEP_2) | instskip(SKIP_1) | instid1(VALU_DEP_3)
	v_lshlrev_b32_e32 v5, 20, v5
	v_lshl_add_u32 v15, v15, 23, 0x3c000000
	v_and_b32_e32 v16, 0x80000000, v16
	s_delay_alu instid0(VALU_DEP_1)
	v_or3_b32 v16, v5, v16, v15
	v_mov_b32_e32 v15, v6
.LBB272_469:                            ;   in Loop: Header=BB272_285 Depth=1
	s_or_b32 exec_lo, exec_lo, s2
.LBB272_470:                            ;   in Loop: Header=BB272_285 Depth=1
	s_delay_alu instid0(SALU_CYCLE_1)
	s_or_b32 exec_lo, exec_lo, s13
.LBB272_471:                            ;   in Loop: Header=BB272_285 Depth=1
	s_delay_alu instid0(SALU_CYCLE_1) | instskip(SKIP_4) | instid1(VALU_DEP_2)
	s_or_b32 exec_lo, exec_lo, s11
	v_mov_b32_e32 v19, 0
	v_lshrrev_b32_e32 v60, 16, v59
	v_mov_b32_e32 v20, 0
	s_mov_b32 s2, exec_lo
	v_and_b32_e32 v5, 0xff, v60
	s_delay_alu instid0(VALU_DEP_2) | instskip(NEXT) | instid1(VALU_DEP_2)
	v_dual_mov_b32 v17, v19 :: v_dual_mov_b32 v18, v20
	v_cmpx_ne_u16_e32 0, v5
	s_cbranch_execz .LBB272_479
; %bb.472:                              ;   in Loop: Header=BB272_285 Depth=1
	v_bfrev_b32_e32 v17, 1
	v_mov_b32_e32 v18, 0
	s_mov_b32 s11, exec_lo
	v_cmpx_ne_u16_e32 0x80, v5
	s_cbranch_execz .LBB272_478
; %bb.473:                              ;   in Loop: Header=BB272_285 Depth=1
	v_mov_b32_e32 v17, 0x7f800001
	v_bfe_u32 v61, v59, 16, 7
	v_mov_b32_e32 v18, 0
	s_mov_b32 s13, exec_lo
	s_delay_alu instid0(VALU_DEP_2)
	v_cmpx_ne_u32_e32 0x7f, v61
	s_cbranch_execz .LBB272_477
; %bb.474:                              ;   in Loop: Header=BB272_285 Depth=1
	v_and_b32_e32 v5, 7, v60
	v_lshrrev_b32_e32 v17, 3, v61
	s_mov_b32 s14, exec_lo
	v_cmpx_gt_u32_e32 8, v61
; %bb.475:                              ;   in Loop: Header=BB272_285 Depth=1
	s_delay_alu instid0(VALU_DEP_3) | instskip(NEXT) | instid1(VALU_DEP_1)
	v_clz_i32_u32_e32 v17, v5
	v_min_u32_e32 v17, 32, v17
	s_delay_alu instid0(VALU_DEP_1) | instskip(SKIP_1) | instid1(VALU_DEP_2)
	v_subrev_nc_u32_e32 v18, 28, v17
	v_sub_nc_u32_e32 v17, 29, v17
	v_lshlrev_b64 v[61:62], v18, v[5:6]
	s_delay_alu instid0(VALU_DEP_1)
	v_and_b32_e32 v5, 7, v61
; %bb.476:                              ;   in Loop: Header=BB272_285 Depth=1
	s_or_b32 exec_lo, exec_lo, s14
	v_lshlrev_b32_e32 v18, 24, v60
	s_delay_alu instid0(VALU_DEP_2) | instskip(SKIP_1) | instid1(VALU_DEP_3)
	v_lshlrev_b32_e32 v5, 20, v5
	v_lshl_add_u32 v17, v17, 23, 0x3c000000
	v_and_b32_e32 v18, 0x80000000, v18
	s_delay_alu instid0(VALU_DEP_1) | instskip(NEXT) | instid1(VALU_DEP_1)
	v_or3_b32 v5, v5, v18, v17
	v_dual_mov_b32 v18, v6 :: v_dual_mov_b32 v17, v5
.LBB272_477:                            ;   in Loop: Header=BB272_285 Depth=1
	s_or_b32 exec_lo, exec_lo, s13
.LBB272_478:                            ;   in Loop: Header=BB272_285 Depth=1
	s_delay_alu instid0(SALU_CYCLE_1)
	s_or_b32 exec_lo, exec_lo, s11
.LBB272_479:                            ;   in Loop: Header=BB272_285 Depth=1
	s_delay_alu instid0(SALU_CYCLE_1) | instskip(NEXT) | instid1(SALU_CYCLE_1)
	s_or_b32 exec_lo, exec_lo, s2
	s_mov_b32 s11, exec_lo
	v_cmpx_lt_u32_e32 0xffffff, v59
	s_cbranch_execz .LBB272_487
; %bb.480:                              ;   in Loop: Header=BB272_285 Depth=1
	v_lshrrev_b32_e32 v60, 24, v59
	v_dual_mov_b32 v20, s5 :: v_dual_mov_b32 v19, s4
	s_mov_b32 s13, exec_lo
	s_delay_alu instid0(VALU_DEP_2)
	v_cmpx_ne_u32_e32 0x80, v60
	s_cbranch_execz .LBB272_486
; %bb.481:                              ;   in Loop: Header=BB272_285 Depth=1
	s_mov_b32 s2, s4
	v_bfe_u32 v59, v59, 24, 7
	v_dual_mov_b32 v20, s3 :: v_dual_mov_b32 v19, s2
	s_mov_b32 s2, exec_lo
	s_delay_alu instid0(VALU_DEP_2)
	v_cmpx_ne_u32_e32 0x7f, v59
	s_cbranch_execz .LBB272_485
; %bb.482:                              ;   in Loop: Header=BB272_285 Depth=1
	v_and_b32_e32 v5, 7, v60
	v_lshrrev_b32_e32 v19, 3, v59
	s_mov_b32 s14, exec_lo
	v_cmpx_gt_u32_e32 8, v59
; %bb.483:                              ;   in Loop: Header=BB272_285 Depth=1
	s_delay_alu instid0(VALU_DEP_3) | instskip(NEXT) | instid1(VALU_DEP_1)
	v_clz_i32_u32_e32 v19, v5
	v_min_u32_e32 v19, 32, v19
	s_delay_alu instid0(VALU_DEP_1) | instskip(SKIP_1) | instid1(VALU_DEP_2)
	v_subrev_nc_u32_e32 v20, 28, v19
	v_sub_nc_u32_e32 v19, 29, v19
	v_lshlrev_b64 v[61:62], v20, v[5:6]
	s_delay_alu instid0(VALU_DEP_1)
	v_and_b32_e32 v5, 7, v61
; %bb.484:                              ;   in Loop: Header=BB272_285 Depth=1
	s_or_b32 exec_lo, exec_lo, s14
	v_lshlrev_b32_e32 v20, 24, v60
	s_delay_alu instid0(VALU_DEP_2) | instskip(SKIP_1) | instid1(VALU_DEP_3)
	v_lshlrev_b32_e32 v5, 20, v5
	v_lshl_add_u32 v19, v19, 23, 0x3c000000
	v_and_b32_e32 v20, 0x80000000, v20
	s_delay_alu instid0(VALU_DEP_1)
	v_or3_b32 v20, v5, v20, v19
	v_mov_b32_e32 v19, v6
.LBB272_485:                            ;   in Loop: Header=BB272_285 Depth=1
	s_or_b32 exec_lo, exec_lo, s2
.LBB272_486:                            ;   in Loop: Header=BB272_285 Depth=1
	s_delay_alu instid0(SALU_CYCLE_1)
	s_or_b32 exec_lo, exec_lo, s13
.LBB272_487:                            ;   in Loop: Header=BB272_285 Depth=1
	s_delay_alu instid0(SALU_CYCLE_1) | instskip(SKIP_4) | instid1(VALU_DEP_4)
	s_or_b32 exec_lo, exec_lo, s11
	v_or_b32_e32 v5, v16, v14
	v_or_b32_e32 v13, v15, v13
	v_or_b32_e32 v14, v20, v18
	v_or_b32_e32 v15, v19, v17
	v_mul_f32_e32 v62, s9, v5
	s_delay_alu instid0(VALU_DEP_4) | instskip(NEXT) | instid1(VALU_DEP_3)
	v_mul_f32_e32 v61, s7, v13
	v_dual_mul_f32 v59, s9, v14 :: v_dual_mul_f32 v60, s7, v15
	s_and_saveexec_b32 s2, vcc_lo
; %bb.488:                              ;   in Loop: Header=BB272_285 Depth=1
	v_cmp_gt_i32_e64 s0, s33, v40
	s_delay_alu instid0(VALU_DEP_1) | instskip(SKIP_1) | instid1(VALU_DEP_1)
	v_cndmask_b32_e64 v61, 0, v61, s0
	v_cmp_gt_i32_e64 s0, s33, v42
	v_cndmask_b32_e64 v62, 0, v62, s0
	v_cmp_gt_i32_e64 s0, s33, v41
	s_delay_alu instid0(VALU_DEP_1) | instskip(SKIP_1) | instid1(VALU_DEP_1)
	v_cndmask_b32_e64 v60, 0, v60, s0
	v_cmp_gt_i32_e64 s0, s33, v34
	v_cndmask_b32_e64 v59, 0, v59, s0
; %bb.489:                              ;   in Loop: Header=BB272_285 Depth=1
	s_or_b32 exec_lo, exec_lo, s2
	global_load_b32 v63, v[11:12], off offset:768
	v_mov_b32_e32 v15, 0
	v_mov_b32_e32 v16, 0
	s_mov_b32 s2, exec_lo
	s_waitcnt vmcnt(0)
	v_and_b32_e32 v5, 0xff, v63
	s_delay_alu instid0(VALU_DEP_2) | instskip(NEXT) | instid1(VALU_DEP_2)
	v_dual_mov_b32 v13, v15 :: v_dual_mov_b32 v14, v16
	v_cmpx_ne_u16_e32 0, v5
	s_cbranch_execz .LBB272_497
; %bb.490:                              ;   in Loop: Header=BB272_285 Depth=1
	v_bfrev_b32_e32 v13, 1
	v_mov_b32_e32 v14, 0
	s_mov_b32 s11, exec_lo
	v_cmpx_ne_u16_e32 0x80, v5
	s_cbranch_execz .LBB272_496
; %bb.491:                              ;   in Loop: Header=BB272_285 Depth=1
	v_mov_b32_e32 v13, 0x7f800001
	v_dual_mov_b32 v14, 0 :: v_dual_and_b32 v17, 0x7f, v63
	s_mov_b32 s13, exec_lo
	s_delay_alu instid0(VALU_DEP_1)
	v_cmpx_ne_u32_e32 0x7f, v17
	s_cbranch_execz .LBB272_495
; %bb.492:                              ;   in Loop: Header=BB272_285 Depth=1
	v_and_b32_e32 v5, 7, v63
	v_lshrrev_b32_e32 v13, 3, v17
	s_mov_b32 s14, exec_lo
	v_cmpx_gt_u32_e32 8, v17
; %bb.493:                              ;   in Loop: Header=BB272_285 Depth=1
	s_delay_alu instid0(VALU_DEP_3) | instskip(NEXT) | instid1(VALU_DEP_1)
	v_clz_i32_u32_e32 v13, v5
	v_min_u32_e32 v13, 32, v13
	s_delay_alu instid0(VALU_DEP_1) | instskip(SKIP_1) | instid1(VALU_DEP_2)
	v_subrev_nc_u32_e32 v14, 28, v13
	v_sub_nc_u32_e32 v13, 29, v13
	v_lshlrev_b64 v[17:18], v14, v[5:6]
	s_delay_alu instid0(VALU_DEP_1)
	v_and_b32_e32 v5, 7, v17
; %bb.494:                              ;   in Loop: Header=BB272_285 Depth=1
	s_or_b32 exec_lo, exec_lo, s14
	v_lshlrev_b32_e32 v14, 24, v63
	s_delay_alu instid0(VALU_DEP_2) | instskip(SKIP_1) | instid1(VALU_DEP_3)
	v_lshlrev_b32_e32 v5, 20, v5
	v_lshl_add_u32 v13, v13, 23, 0x3c000000
	v_and_b32_e32 v14, 0x80000000, v14
	s_delay_alu instid0(VALU_DEP_1) | instskip(NEXT) | instid1(VALU_DEP_1)
	v_or3_b32 v5, v5, v14, v13
	v_dual_mov_b32 v14, v6 :: v_dual_mov_b32 v13, v5
.LBB272_495:                            ;   in Loop: Header=BB272_285 Depth=1
	s_or_b32 exec_lo, exec_lo, s13
.LBB272_496:                            ;   in Loop: Header=BB272_285 Depth=1
	s_delay_alu instid0(SALU_CYCLE_1)
	s_or_b32 exec_lo, exec_lo, s11
.LBB272_497:                            ;   in Loop: Header=BB272_285 Depth=1
	s_delay_alu instid0(SALU_CYCLE_1) | instskip(SKIP_2) | instid1(VALU_DEP_1)
	s_or_b32 exec_lo, exec_lo, s2
	v_lshrrev_b16 v5, 8, v63
	s_mov_b32 s11, exec_lo
	v_cmpx_ne_u16_e32 0, v5
	s_cbranch_execz .LBB272_505
; %bb.498:                              ;   in Loop: Header=BB272_285 Depth=1
	v_dual_mov_b32 v16, s5 :: v_dual_mov_b32 v15, s4
	s_mov_b32 s13, exec_lo
	v_cmpx_ne_u16_e32 0x80, v5
	s_cbranch_execz .LBB272_504
; %bb.499:                              ;   in Loop: Header=BB272_285 Depth=1
	s_mov_b32 s2, s4
	v_dual_mov_b32 v16, s3 :: v_dual_and_b32 v5, 0xffff, v5
	v_mov_b32_e32 v15, s2
	s_mov_b32 s2, exec_lo
	s_delay_alu instid0(VALU_DEP_2) | instskip(NEXT) | instid1(VALU_DEP_1)
	v_and_b32_e32 v17, 0x7f, v5
	v_cmpx_ne_u32_e32 0x7f, v17
	s_cbranch_execz .LBB272_503
; %bb.500:                              ;   in Loop: Header=BB272_285 Depth=1
	v_and_b32_e32 v5, 7, v5
	v_lshrrev_b32_e32 v15, 3, v17
	s_mov_b32 s14, exec_lo
	v_cmpx_gt_u32_e32 8, v17
; %bb.501:                              ;   in Loop: Header=BB272_285 Depth=1
	s_delay_alu instid0(VALU_DEP_3) | instskip(NEXT) | instid1(VALU_DEP_1)
	v_clz_i32_u32_e32 v15, v5
	v_min_u32_e32 v15, 32, v15
	s_delay_alu instid0(VALU_DEP_1) | instskip(SKIP_1) | instid1(VALU_DEP_2)
	v_subrev_nc_u32_e32 v16, 28, v15
	v_sub_nc_u32_e32 v15, 29, v15
	v_lshlrev_b64 v[16:17], v16, v[5:6]
	s_delay_alu instid0(VALU_DEP_1)
	v_and_b32_e32 v5, 7, v16
; %bb.502:                              ;   in Loop: Header=BB272_285 Depth=1
	s_or_b32 exec_lo, exec_lo, s14
	v_lshlrev_b32_e32 v16, 16, v63
	s_delay_alu instid0(VALU_DEP_2) | instskip(SKIP_1) | instid1(VALU_DEP_3)
	v_lshlrev_b32_e32 v5, 20, v5
	v_lshl_add_u32 v15, v15, 23, 0x3c000000
	v_and_b32_e32 v16, 0x80000000, v16
	s_delay_alu instid0(VALU_DEP_1)
	v_or3_b32 v16, v5, v16, v15
	v_mov_b32_e32 v15, v6
.LBB272_503:                            ;   in Loop: Header=BB272_285 Depth=1
	s_or_b32 exec_lo, exec_lo, s2
.LBB272_504:                            ;   in Loop: Header=BB272_285 Depth=1
	s_delay_alu instid0(SALU_CYCLE_1)
	s_or_b32 exec_lo, exec_lo, s13
.LBB272_505:                            ;   in Loop: Header=BB272_285 Depth=1
	s_delay_alu instid0(SALU_CYCLE_1) | instskip(SKIP_4) | instid1(VALU_DEP_2)
	s_or_b32 exec_lo, exec_lo, s11
	v_mov_b32_e32 v19, 0
	v_lshrrev_b32_e32 v64, 16, v63
	v_mov_b32_e32 v20, 0
	s_mov_b32 s2, exec_lo
	v_and_b32_e32 v5, 0xff, v64
	s_delay_alu instid0(VALU_DEP_2) | instskip(NEXT) | instid1(VALU_DEP_2)
	v_dual_mov_b32 v17, v19 :: v_dual_mov_b32 v18, v20
	v_cmpx_ne_u16_e32 0, v5
	s_cbranch_execz .LBB272_513
; %bb.506:                              ;   in Loop: Header=BB272_285 Depth=1
	v_bfrev_b32_e32 v17, 1
	v_mov_b32_e32 v18, 0
	s_mov_b32 s11, exec_lo
	v_cmpx_ne_u16_e32 0x80, v5
	s_cbranch_execz .LBB272_512
; %bb.507:                              ;   in Loop: Header=BB272_285 Depth=1
	v_mov_b32_e32 v17, 0x7f800001
	v_bfe_u32 v65, v63, 16, 7
	v_mov_b32_e32 v18, 0
	s_mov_b32 s13, exec_lo
	s_delay_alu instid0(VALU_DEP_2)
	v_cmpx_ne_u32_e32 0x7f, v65
	s_cbranch_execz .LBB272_511
; %bb.508:                              ;   in Loop: Header=BB272_285 Depth=1
	v_and_b32_e32 v5, 7, v64
	v_lshrrev_b32_e32 v17, 3, v65
	s_mov_b32 s14, exec_lo
	v_cmpx_gt_u32_e32 8, v65
; %bb.509:                              ;   in Loop: Header=BB272_285 Depth=1
	s_delay_alu instid0(VALU_DEP_3) | instskip(NEXT) | instid1(VALU_DEP_1)
	v_clz_i32_u32_e32 v17, v5
	v_min_u32_e32 v17, 32, v17
	s_delay_alu instid0(VALU_DEP_1) | instskip(SKIP_1) | instid1(VALU_DEP_2)
	v_subrev_nc_u32_e32 v18, 28, v17
	v_sub_nc_u32_e32 v17, 29, v17
	v_lshlrev_b64 v[65:66], v18, v[5:6]
	s_delay_alu instid0(VALU_DEP_1)
	v_and_b32_e32 v5, 7, v65
; %bb.510:                              ;   in Loop: Header=BB272_285 Depth=1
	s_or_b32 exec_lo, exec_lo, s14
	v_lshlrev_b32_e32 v18, 24, v64
	s_delay_alu instid0(VALU_DEP_2) | instskip(SKIP_1) | instid1(VALU_DEP_3)
	v_lshlrev_b32_e32 v5, 20, v5
	v_lshl_add_u32 v17, v17, 23, 0x3c000000
	v_and_b32_e32 v18, 0x80000000, v18
	s_delay_alu instid0(VALU_DEP_1) | instskip(NEXT) | instid1(VALU_DEP_1)
	v_or3_b32 v5, v5, v18, v17
	v_dual_mov_b32 v18, v6 :: v_dual_mov_b32 v17, v5
.LBB272_511:                            ;   in Loop: Header=BB272_285 Depth=1
	s_or_b32 exec_lo, exec_lo, s13
.LBB272_512:                            ;   in Loop: Header=BB272_285 Depth=1
	s_delay_alu instid0(SALU_CYCLE_1)
	s_or_b32 exec_lo, exec_lo, s11
.LBB272_513:                            ;   in Loop: Header=BB272_285 Depth=1
	s_delay_alu instid0(SALU_CYCLE_1) | instskip(NEXT) | instid1(SALU_CYCLE_1)
	s_or_b32 exec_lo, exec_lo, s2
	s_mov_b32 s11, exec_lo
	v_cmpx_lt_u32_e32 0xffffff, v63
	s_cbranch_execz .LBB272_521
; %bb.514:                              ;   in Loop: Header=BB272_285 Depth=1
	v_lshrrev_b32_e32 v64, 24, v63
	v_dual_mov_b32 v20, s5 :: v_dual_mov_b32 v19, s4
	s_mov_b32 s13, exec_lo
	s_delay_alu instid0(VALU_DEP_2)
	v_cmpx_ne_u32_e32 0x80, v64
	s_cbranch_execz .LBB272_520
; %bb.515:                              ;   in Loop: Header=BB272_285 Depth=1
	s_mov_b32 s2, s4
	v_bfe_u32 v63, v63, 24, 7
	v_dual_mov_b32 v20, s3 :: v_dual_mov_b32 v19, s2
	s_mov_b32 s2, exec_lo
	s_delay_alu instid0(VALU_DEP_2)
	v_cmpx_ne_u32_e32 0x7f, v63
	s_cbranch_execz .LBB272_519
; %bb.516:                              ;   in Loop: Header=BB272_285 Depth=1
	v_and_b32_e32 v5, 7, v64
	v_lshrrev_b32_e32 v19, 3, v63
	s_mov_b32 s14, exec_lo
	v_cmpx_gt_u32_e32 8, v63
; %bb.517:                              ;   in Loop: Header=BB272_285 Depth=1
	s_delay_alu instid0(VALU_DEP_3) | instskip(NEXT) | instid1(VALU_DEP_1)
	v_clz_i32_u32_e32 v19, v5
	v_min_u32_e32 v19, 32, v19
	s_delay_alu instid0(VALU_DEP_1) | instskip(SKIP_1) | instid1(VALU_DEP_2)
	v_subrev_nc_u32_e32 v20, 28, v19
	v_sub_nc_u32_e32 v19, 29, v19
	v_lshlrev_b64 v[65:66], v20, v[5:6]
	s_delay_alu instid0(VALU_DEP_1)
	v_and_b32_e32 v5, 7, v65
; %bb.518:                              ;   in Loop: Header=BB272_285 Depth=1
	s_or_b32 exec_lo, exec_lo, s14
	v_lshlrev_b32_e32 v20, 24, v64
	s_delay_alu instid0(VALU_DEP_2) | instskip(SKIP_1) | instid1(VALU_DEP_3)
	v_lshlrev_b32_e32 v5, 20, v5
	v_lshl_add_u32 v19, v19, 23, 0x3c000000
	v_and_b32_e32 v20, 0x80000000, v20
	s_delay_alu instid0(VALU_DEP_1)
	v_or3_b32 v20, v5, v20, v19
	v_mov_b32_e32 v19, v6
.LBB272_519:                            ;   in Loop: Header=BB272_285 Depth=1
	s_or_b32 exec_lo, exec_lo, s2
.LBB272_520:                            ;   in Loop: Header=BB272_285 Depth=1
	s_delay_alu instid0(SALU_CYCLE_1)
	s_or_b32 exec_lo, exec_lo, s13
.LBB272_521:                            ;   in Loop: Header=BB272_285 Depth=1
	s_delay_alu instid0(SALU_CYCLE_1) | instskip(SKIP_4) | instid1(VALU_DEP_4)
	s_or_b32 exec_lo, exec_lo, s11
	v_or_b32_e32 v5, v16, v14
	v_or_b32_e32 v13, v15, v13
	;; [unrolled: 1-line block ×4, first 2 shown]
	v_mul_f32_e32 v64, s9, v5
	s_delay_alu instid0(VALU_DEP_4) | instskip(NEXT) | instid1(VALU_DEP_3)
	v_mul_f32_e32 v63, s7, v13
	v_dual_mul_f32 v19, s9, v14 :: v_dual_mul_f32 v20, s7, v15
	s_and_saveexec_b32 s2, vcc_lo
; %bb.522:                              ;   in Loop: Header=BB272_285 Depth=1
	v_cmp_gt_i32_e64 s0, s33, v40
	s_delay_alu instid0(VALU_DEP_1) | instskip(SKIP_1) | instid1(VALU_DEP_1)
	v_cndmask_b32_e64 v63, 0, v63, s0
	v_cmp_gt_i32_e64 s0, s33, v42
	v_cndmask_b32_e64 v64, 0, v64, s0
	v_cmp_gt_i32_e64 s0, s33, v41
	s_delay_alu instid0(VALU_DEP_1) | instskip(SKIP_1) | instid1(VALU_DEP_1)
	v_cndmask_b32_e64 v20, 0, v20, s0
	v_cmp_gt_i32_e64 s0, s33, v34
	v_cndmask_b32_e64 v19, 0, v19, s0
; %bb.523:                              ;   in Loop: Header=BB272_285 Depth=1
	s_or_b32 exec_lo, exec_lo, s2
	global_load_b32 v65, v[11:12], off offset:896
	v_mov_b32_e32 v13, 0
	v_mov_b32_e32 v14, 0
	s_mov_b32 s2, exec_lo
	s_waitcnt vmcnt(0)
	v_and_b32_e32 v5, 0xff, v65
	s_delay_alu instid0(VALU_DEP_2) | instskip(NEXT) | instid1(VALU_DEP_2)
	v_dual_mov_b32 v11, v13 :: v_dual_mov_b32 v12, v14
	v_cmpx_ne_u16_e32 0, v5
	s_cbranch_execz .LBB272_531
; %bb.524:                              ;   in Loop: Header=BB272_285 Depth=1
	v_bfrev_b32_e32 v11, 1
	v_mov_b32_e32 v12, 0
	s_mov_b32 s11, exec_lo
	v_cmpx_ne_u16_e32 0x80, v5
	s_cbranch_execz .LBB272_530
; %bb.525:                              ;   in Loop: Header=BB272_285 Depth=1
	v_mov_b32_e32 v11, 0x7f800001
	v_dual_mov_b32 v12, 0 :: v_dual_and_b32 v15, 0x7f, v65
	s_mov_b32 s13, exec_lo
	s_delay_alu instid0(VALU_DEP_1)
	v_cmpx_ne_u32_e32 0x7f, v15
	s_cbranch_execz .LBB272_529
; %bb.526:                              ;   in Loop: Header=BB272_285 Depth=1
	v_and_b32_e32 v5, 7, v65
	v_lshrrev_b32_e32 v11, 3, v15
	s_mov_b32 s14, exec_lo
	v_cmpx_gt_u32_e32 8, v15
; %bb.527:                              ;   in Loop: Header=BB272_285 Depth=1
	s_delay_alu instid0(VALU_DEP_3) | instskip(NEXT) | instid1(VALU_DEP_1)
	v_clz_i32_u32_e32 v11, v5
	v_min_u32_e32 v11, 32, v11
	s_delay_alu instid0(VALU_DEP_1) | instskip(SKIP_1) | instid1(VALU_DEP_2)
	v_subrev_nc_u32_e32 v12, 28, v11
	v_sub_nc_u32_e32 v11, 29, v11
	v_lshlrev_b64 v[15:16], v12, v[5:6]
	s_delay_alu instid0(VALU_DEP_1)
	v_and_b32_e32 v5, 7, v15
; %bb.528:                              ;   in Loop: Header=BB272_285 Depth=1
	s_or_b32 exec_lo, exec_lo, s14
	v_lshlrev_b32_e32 v12, 24, v65
	s_delay_alu instid0(VALU_DEP_2) | instskip(SKIP_1) | instid1(VALU_DEP_3)
	v_lshlrev_b32_e32 v5, 20, v5
	v_lshl_add_u32 v11, v11, 23, 0x3c000000
	v_and_b32_e32 v12, 0x80000000, v12
	s_delay_alu instid0(VALU_DEP_1) | instskip(NEXT) | instid1(VALU_DEP_1)
	v_or3_b32 v5, v5, v12, v11
	v_dual_mov_b32 v12, v6 :: v_dual_mov_b32 v11, v5
.LBB272_529:                            ;   in Loop: Header=BB272_285 Depth=1
	s_or_b32 exec_lo, exec_lo, s13
.LBB272_530:                            ;   in Loop: Header=BB272_285 Depth=1
	s_delay_alu instid0(SALU_CYCLE_1)
	s_or_b32 exec_lo, exec_lo, s11
.LBB272_531:                            ;   in Loop: Header=BB272_285 Depth=1
	s_delay_alu instid0(SALU_CYCLE_1) | instskip(SKIP_2) | instid1(VALU_DEP_1)
	s_or_b32 exec_lo, exec_lo, s2
	v_lshrrev_b16 v5, 8, v65
	s_mov_b32 s11, exec_lo
	v_cmpx_ne_u16_e32 0, v5
	s_cbranch_execz .LBB272_539
; %bb.532:                              ;   in Loop: Header=BB272_285 Depth=1
	v_dual_mov_b32 v14, s5 :: v_dual_mov_b32 v13, s4
	s_mov_b32 s13, exec_lo
	v_cmpx_ne_u16_e32 0x80, v5
	s_cbranch_execz .LBB272_538
; %bb.533:                              ;   in Loop: Header=BB272_285 Depth=1
	s_mov_b32 s2, s4
	v_dual_mov_b32 v14, s3 :: v_dual_and_b32 v5, 0xffff, v5
	v_mov_b32_e32 v13, s2
	s_mov_b32 s2, exec_lo
	s_delay_alu instid0(VALU_DEP_2) | instskip(NEXT) | instid1(VALU_DEP_1)
	v_and_b32_e32 v15, 0x7f, v5
	v_cmpx_ne_u32_e32 0x7f, v15
	s_cbranch_execz .LBB272_537
; %bb.534:                              ;   in Loop: Header=BB272_285 Depth=1
	v_and_b32_e32 v5, 7, v5
	v_lshrrev_b32_e32 v13, 3, v15
	s_mov_b32 s14, exec_lo
	v_cmpx_gt_u32_e32 8, v15
; %bb.535:                              ;   in Loop: Header=BB272_285 Depth=1
	s_delay_alu instid0(VALU_DEP_3) | instskip(NEXT) | instid1(VALU_DEP_1)
	v_clz_i32_u32_e32 v13, v5
	v_min_u32_e32 v13, 32, v13
	s_delay_alu instid0(VALU_DEP_1) | instskip(SKIP_1) | instid1(VALU_DEP_2)
	v_subrev_nc_u32_e32 v14, 28, v13
	v_sub_nc_u32_e32 v13, 29, v13
	v_lshlrev_b64 v[14:15], v14, v[5:6]
	s_delay_alu instid0(VALU_DEP_1)
	v_and_b32_e32 v5, 7, v14
; %bb.536:                              ;   in Loop: Header=BB272_285 Depth=1
	s_or_b32 exec_lo, exec_lo, s14
	v_lshlrev_b32_e32 v14, 16, v65
	s_delay_alu instid0(VALU_DEP_2) | instskip(SKIP_1) | instid1(VALU_DEP_3)
	v_lshlrev_b32_e32 v5, 20, v5
	v_lshl_add_u32 v13, v13, 23, 0x3c000000
	v_and_b32_e32 v14, 0x80000000, v14
	s_delay_alu instid0(VALU_DEP_1)
	v_or3_b32 v14, v5, v14, v13
	v_mov_b32_e32 v13, v6
.LBB272_537:                            ;   in Loop: Header=BB272_285 Depth=1
	s_or_b32 exec_lo, exec_lo, s2
.LBB272_538:                            ;   in Loop: Header=BB272_285 Depth=1
	s_delay_alu instid0(SALU_CYCLE_1)
	s_or_b32 exec_lo, exec_lo, s13
.LBB272_539:                            ;   in Loop: Header=BB272_285 Depth=1
	s_delay_alu instid0(SALU_CYCLE_1) | instskip(SKIP_4) | instid1(VALU_DEP_2)
	s_or_b32 exec_lo, exec_lo, s11
	v_mov_b32_e32 v17, 0
	v_lshrrev_b32_e32 v66, 16, v65
	v_mov_b32_e32 v18, 0
	s_mov_b32 s2, exec_lo
	v_and_b32_e32 v5, 0xff, v66
	s_delay_alu instid0(VALU_DEP_2) | instskip(NEXT) | instid1(VALU_DEP_2)
	v_dual_mov_b32 v15, v17 :: v_dual_mov_b32 v16, v18
	v_cmpx_ne_u16_e32 0, v5
	s_cbranch_execz .LBB272_547
; %bb.540:                              ;   in Loop: Header=BB272_285 Depth=1
	v_bfrev_b32_e32 v15, 1
	v_mov_b32_e32 v16, 0
	s_mov_b32 s11, exec_lo
	v_cmpx_ne_u16_e32 0x80, v5
	s_cbranch_execz .LBB272_546
; %bb.541:                              ;   in Loop: Header=BB272_285 Depth=1
	v_mov_b32_e32 v15, 0x7f800001
	v_bfe_u32 v67, v65, 16, 7
	v_mov_b32_e32 v16, 0
	s_mov_b32 s13, exec_lo
	s_delay_alu instid0(VALU_DEP_2)
	v_cmpx_ne_u32_e32 0x7f, v67
	s_cbranch_execz .LBB272_545
; %bb.542:                              ;   in Loop: Header=BB272_285 Depth=1
	v_and_b32_e32 v5, 7, v66
	v_lshrrev_b32_e32 v15, 3, v67
	s_mov_b32 s14, exec_lo
	v_cmpx_gt_u32_e32 8, v67
; %bb.543:                              ;   in Loop: Header=BB272_285 Depth=1
	s_delay_alu instid0(VALU_DEP_3) | instskip(NEXT) | instid1(VALU_DEP_1)
	v_clz_i32_u32_e32 v15, v5
	v_min_u32_e32 v15, 32, v15
	s_delay_alu instid0(VALU_DEP_1) | instskip(SKIP_1) | instid1(VALU_DEP_2)
	v_subrev_nc_u32_e32 v16, 28, v15
	v_sub_nc_u32_e32 v15, 29, v15
	v_lshlrev_b64 v[67:68], v16, v[5:6]
	s_delay_alu instid0(VALU_DEP_1)
	v_and_b32_e32 v5, 7, v67
; %bb.544:                              ;   in Loop: Header=BB272_285 Depth=1
	s_or_b32 exec_lo, exec_lo, s14
	v_lshlrev_b32_e32 v16, 24, v66
	s_delay_alu instid0(VALU_DEP_2) | instskip(SKIP_1) | instid1(VALU_DEP_3)
	v_lshlrev_b32_e32 v5, 20, v5
	v_lshl_add_u32 v15, v15, 23, 0x3c000000
	v_and_b32_e32 v16, 0x80000000, v16
	s_delay_alu instid0(VALU_DEP_1) | instskip(NEXT) | instid1(VALU_DEP_1)
	v_or3_b32 v5, v5, v16, v15
	v_dual_mov_b32 v16, v6 :: v_dual_mov_b32 v15, v5
.LBB272_545:                            ;   in Loop: Header=BB272_285 Depth=1
	s_or_b32 exec_lo, exec_lo, s13
.LBB272_546:                            ;   in Loop: Header=BB272_285 Depth=1
	s_delay_alu instid0(SALU_CYCLE_1)
	s_or_b32 exec_lo, exec_lo, s11
.LBB272_547:                            ;   in Loop: Header=BB272_285 Depth=1
	s_delay_alu instid0(SALU_CYCLE_1) | instskip(NEXT) | instid1(SALU_CYCLE_1)
	s_or_b32 exec_lo, exec_lo, s2
	s_mov_b32 s11, exec_lo
	v_cmpx_lt_u32_e32 0xffffff, v65
	s_cbranch_execz .LBB272_555
; %bb.548:                              ;   in Loop: Header=BB272_285 Depth=1
	v_lshrrev_b32_e32 v66, 24, v65
	v_dual_mov_b32 v18, s5 :: v_dual_mov_b32 v17, s4
	s_mov_b32 s13, exec_lo
	s_delay_alu instid0(VALU_DEP_2)
	v_cmpx_ne_u32_e32 0x80, v66
	s_cbranch_execz .LBB272_554
; %bb.549:                              ;   in Loop: Header=BB272_285 Depth=1
	s_mov_b32 s2, s4
	v_bfe_u32 v65, v65, 24, 7
	v_dual_mov_b32 v18, s3 :: v_dual_mov_b32 v17, s2
	s_mov_b32 s2, exec_lo
	s_delay_alu instid0(VALU_DEP_2)
	v_cmpx_ne_u32_e32 0x7f, v65
	s_cbranch_execz .LBB272_553
; %bb.550:                              ;   in Loop: Header=BB272_285 Depth=1
	v_and_b32_e32 v5, 7, v66
	v_lshrrev_b32_e32 v17, 3, v65
	s_mov_b32 s14, exec_lo
	v_cmpx_gt_u32_e32 8, v65
; %bb.551:                              ;   in Loop: Header=BB272_285 Depth=1
	s_delay_alu instid0(VALU_DEP_3) | instskip(NEXT) | instid1(VALU_DEP_1)
	v_clz_i32_u32_e32 v17, v5
	v_min_u32_e32 v17, 32, v17
	s_delay_alu instid0(VALU_DEP_1) | instskip(SKIP_1) | instid1(VALU_DEP_2)
	v_subrev_nc_u32_e32 v18, 28, v17
	v_sub_nc_u32_e32 v17, 29, v17
	v_lshlrev_b64 v[67:68], v18, v[5:6]
	s_delay_alu instid0(VALU_DEP_1)
	v_and_b32_e32 v5, 7, v67
; %bb.552:                              ;   in Loop: Header=BB272_285 Depth=1
	s_or_b32 exec_lo, exec_lo, s14
	v_lshlrev_b32_e32 v18, 24, v66
	s_delay_alu instid0(VALU_DEP_2) | instskip(SKIP_1) | instid1(VALU_DEP_3)
	v_lshlrev_b32_e32 v5, 20, v5
	v_lshl_add_u32 v17, v17, 23, 0x3c000000
	v_and_b32_e32 v18, 0x80000000, v18
	s_delay_alu instid0(VALU_DEP_1)
	v_or3_b32 v18, v5, v18, v17
	v_mov_b32_e32 v17, v6
.LBB272_553:                            ;   in Loop: Header=BB272_285 Depth=1
	s_or_b32 exec_lo, exec_lo, s2
.LBB272_554:                            ;   in Loop: Header=BB272_285 Depth=1
	s_delay_alu instid0(SALU_CYCLE_1)
	s_or_b32 exec_lo, exec_lo, s13
.LBB272_555:                            ;   in Loop: Header=BB272_285 Depth=1
	s_delay_alu instid0(SALU_CYCLE_1) | instskip(SKIP_4) | instid1(VALU_DEP_3)
	s_or_b32 exec_lo, exec_lo, s11
	v_or_b32_e32 v5, v14, v12
	v_or_b32_e32 v11, v13, v11
	;; [unrolled: 1-line block ×4, first 2 shown]
	v_dual_mul_f32 v13, s9, v5 :: v_dual_mul_f32 v12, s7, v11
	s_delay_alu instid0(VALU_DEP_3) | instskip(NEXT) | instid1(VALU_DEP_3)
	v_mul_f32_e32 v5, s9, v14
	v_mul_f32_e32 v11, s7, v15
	s_and_saveexec_b32 s0, vcc_lo
	s_cbranch_execz .LBB272_284
; %bb.556:                              ;   in Loop: Header=BB272_285 Depth=1
	v_cmp_gt_i32_e32 vcc_lo, s33, v40
	v_cndmask_b32_e32 v12, 0, v12, vcc_lo
	v_cmp_gt_i32_e32 vcc_lo, s33, v42
	v_cndmask_b32_e32 v13, 0, v13, vcc_lo
	;; [unrolled: 2-line block ×4, first 2 shown]
	s_branch .LBB272_284
.LBB272_557:
	s_or_b32 exec_lo, exec_lo, s10
.LBB272_558:
	s_delay_alu instid0(SALU_CYCLE_1)
	s_or_b32 exec_lo, exec_lo, s1
	ds_bpermute_b32 v1, v23, v32
	ds_bpermute_b32 v2, v23, v31
	;; [unrolled: 1-line block ×8, first 2 shown]
	s_mov_b32 s0, exec_lo
	s_waitcnt lgkmcnt(0)
	s_waitcnt_vscnt null, 0x0
	s_barrier
	buffer_gl0_inv
	v_dual_add_f32 v1, v32, v1 :: v_dual_add_f32 v2, v31, v2
	v_dual_add_f32 v3, v30, v3 :: v_dual_add_f32 v4, v29, v4
	;; [unrolled: 1-line block ×4, first 2 shown]
	ds_bpermute_b32 v9, v22, v1
	ds_bpermute_b32 v10, v22, v2
	ds_bpermute_b32 v11, v22, v3
	ds_bpermute_b32 v12, v22, v4
	ds_bpermute_b32 v13, v22, v5
	ds_bpermute_b32 v14, v22, v6
	ds_bpermute_b32 v15, v22, v7
	ds_bpermute_b32 v16, v22, v8
	s_waitcnt lgkmcnt(6)
	v_dual_add_f32 v1, v1, v9 :: v_dual_add_f32 v2, v2, v10
	s_waitcnt lgkmcnt(4)
	v_dual_add_f32 v3, v3, v11 :: v_dual_add_f32 v4, v4, v12
	;; [unrolled: 2-line block ×4, first 2 shown]
	ds_bpermute_b32 v5, v21, v1
	ds_bpermute_b32 v6, v21, v2
	ds_bpermute_b32 v14, v21, v3
	ds_bpermute_b32 v15, v21, v4
	ds_bpermute_b32 v16, v21, v10
	ds_bpermute_b32 v17, v21, v11
	ds_bpermute_b32 v18, v21, v12
	ds_bpermute_b32 v19, v21, v13
	v_lshrrev_b32_e32 v9, 3, v106
	v_and_b32_e32 v20, 0x3c7, v0
	s_waitcnt lgkmcnt(6)
	v_dual_add_f32 v8, v1, v5 :: v_dual_add_f32 v7, v2, v6
	s_waitcnt lgkmcnt(4)
	v_dual_add_f32 v6, v3, v14 :: v_dual_add_f32 v5, v4, v15
	;; [unrolled: 2-line block ×4, first 2 shown]
	v_cmpx_eq_u32_e32 64, v20
	s_cbranch_execz .LBB272_560
; %bb.559:
	v_lshl_add_u32 v10, v105, 7, 0xa0
	v_lshlrev_b32_e32 v11, 2, v9
	s_delay_alu instid0(VALU_DEP_1)
	v_add3_u32 v10, v10, v11, 0xffffff00
	ds_store_2addr_b32 v10, v8, v7 offset1:4
	ds_store_2addr_b32 v10, v6, v5 offset0:8 offset1:12
	ds_store_2addr_b32 v10, v4, v3 offset0:16 offset1:20
	;; [unrolled: 1-line block ×3, first 2 shown]
.LBB272_560:
	s_or_b32 exec_lo, exec_lo, s0
	v_and_b32_e32 v10, 0x3e0, v0
	v_cmp_eq_u32_e32 vcc_lo, 0, v24
	s_mov_b32 s1, exec_lo
	s_waitcnt lgkmcnt(0)
	s_barrier
	v_lshl_add_u32 v10, v10, 2, 0xa0
	buffer_gl0_inv
	v_cmpx_gt_u32_e32 64, v0
	s_cbranch_execz .LBB272_571
; %bb.561:
	s_and_saveexec_b32 s0, vcc_lo
	s_cbranch_execnz .LBB272_587
; %bb.562:
	s_or_b32 exec_lo, exec_lo, s0
	s_and_saveexec_b32 s0, vcc_lo
	s_cbranch_execnz .LBB272_588
.LBB272_563:
	s_or_b32 exec_lo, exec_lo, s0
	s_and_saveexec_b32 s0, vcc_lo
	s_cbranch_execnz .LBB272_589
.LBB272_564:
	s_or_b32 exec_lo, exec_lo, s0
	s_and_saveexec_b32 s0, vcc_lo
	s_cbranch_execnz .LBB272_590
.LBB272_565:
	s_or_b32 exec_lo, exec_lo, s0
	s_and_saveexec_b32 s0, vcc_lo
	s_cbranch_execnz .LBB272_591
.LBB272_566:
	s_or_b32 exec_lo, exec_lo, s0
	s_and_saveexec_b32 s0, vcc_lo
	s_cbranch_execnz .LBB272_592
.LBB272_567:
	s_or_b32 exec_lo, exec_lo, s0
	s_and_saveexec_b32 s0, vcc_lo
	s_cbranch_execnz .LBB272_593
.LBB272_568:
	s_or_b32 exec_lo, exec_lo, s0
	s_and_saveexec_b32 s0, vcc_lo
	s_cbranch_execz .LBB272_570
.LBB272_569:
	v_lshl_add_u32 v11, v9, 2, v10
	ds_load_b32 v11, v11 offset:112
	s_waitcnt lgkmcnt(0)
	v_add_f32_e32 v1, v1, v11
.LBB272_570:
	s_or_b32 exec_lo, exec_lo, s0
.LBB272_571:
	s_delay_alu instid0(SALU_CYCLE_1)
	s_or_b32 exec_lo, exec_lo, s1
	v_and_b32_e32 v11, 0x3e7, v0
	s_mov_b32 s1, exec_lo
	s_barrier
	buffer_gl0_inv
	v_cmpx_eq_u32_e32 32, v11
	s_cbranch_execz .LBB272_573
; %bb.572:
	v_lshl_add_u32 v12, v9, 2, 0xa0
	ds_store_2addr_b32 v12, v8, v7 offset1:4
	ds_store_2addr_b32 v12, v6, v5 offset0:8 offset1:12
	ds_store_2addr_b32 v12, v4, v3 offset0:16 offset1:20
	;; [unrolled: 1-line block ×3, first 2 shown]
.LBB272_573:
	s_or_b32 exec_lo, exec_lo, s1
	s_delay_alu instid0(SALU_CYCLE_1)
	s_mov_b32 s1, exec_lo
	s_waitcnt lgkmcnt(0)
	s_barrier
	buffer_gl0_inv
	v_cmpx_gt_u32_e32 32, v0
	s_cbranch_execz .LBB272_584
; %bb.574:
	v_lshl_add_u32 v9, v9, 2, v10
	s_and_saveexec_b32 s0, vcc_lo
	s_cbranch_execnz .LBB272_594
; %bb.575:
	s_or_b32 exec_lo, exec_lo, s0
	s_and_saveexec_b32 s0, vcc_lo
	s_cbranch_execnz .LBB272_595
.LBB272_576:
	s_or_b32 exec_lo, exec_lo, s0
	s_and_saveexec_b32 s0, vcc_lo
	s_cbranch_execnz .LBB272_596
.LBB272_577:
	s_or_b32 exec_lo, exec_lo, s0
	s_and_saveexec_b32 s0, vcc_lo
	s_cbranch_execnz .LBB272_597
.LBB272_578:
	s_or_b32 exec_lo, exec_lo, s0
	s_and_saveexec_b32 s0, vcc_lo
	s_cbranch_execnz .LBB272_598
.LBB272_579:
	s_or_b32 exec_lo, exec_lo, s0
	s_and_saveexec_b32 s0, vcc_lo
	s_cbranch_execnz .LBB272_599
.LBB272_580:
	s_or_b32 exec_lo, exec_lo, s0
	s_and_saveexec_b32 s0, vcc_lo
	s_cbranch_execnz .LBB272_600
.LBB272_581:
	s_or_b32 exec_lo, exec_lo, s0
	s_and_saveexec_b32 s0, vcc_lo
	s_cbranch_execz .LBB272_583
.LBB272_582:
	ds_load_b32 v9, v9 offset:112
	s_waitcnt lgkmcnt(0)
	v_add_f32_e32 v1, v1, v9
.LBB272_583:
	s_or_b32 exec_lo, exec_lo, s0
.LBB272_584:
	s_delay_alu instid0(SALU_CYCLE_1)
	s_or_b32 exec_lo, exec_lo, s1
	s_barrier
	buffer_gl0_inv
	s_mov_b32 s0, exec_lo
	v_cmpx_eq_u32_e32 0, v11
	s_cbranch_execz .LBB272_586
; %bb.585:
	s_lshl_b32 s0, s6, 5
	s_mul_i32 s2, s15, s20
	s_ashr_i32 s1, s0, 31
	v_lshrrev_b32_e32 v0, 1, v0
	s_lshl_b64 s[0:1], s[0:1], 2
	s_delay_alu instid0(SALU_CYCLE_1) | instskip(SKIP_2) | instid1(SALU_CYCLE_1)
	s_add_u32 s4, s22, s0
	s_addc_u32 s5, s23, s1
	s_ashr_i32 s3, s2, 31
	s_lshl_b64 s[0:1], s[2:3], 2
	s_delay_alu instid0(SALU_CYCLE_1) | instskip(SKIP_2) | instid1(SALU_CYCLE_1)
	s_add_u32 s2, s4, s0
	s_addc_u32 s3, s5, s1
	s_lshl_b32 s0, s12, 5
	s_ashr_i32 s1, s0, 31
	s_delay_alu instid0(SALU_CYCLE_1) | instskip(NEXT) | instid1(SALU_CYCLE_1)
	s_lshl_b64 s[0:1], s[0:1], 2
	s_add_u32 s0, s2, s0
	s_addc_u32 s1, s3, s1
	s_clause 0x7
	global_store_b32 v0, v8, s[0:1]
	global_store_b32 v0, v7, s[0:1] offset:16
	global_store_b32 v0, v6, s[0:1] offset:32
	;; [unrolled: 1-line block ×7, first 2 shown]
.LBB272_586:
	s_nop 0
	s_sendmsg sendmsg(MSG_DEALLOC_VGPRS)
	s_endpgm
.LBB272_587:
	v_lshl_add_u32 v11, v9, 2, v10
	ds_load_b32 v11, v11
	s_waitcnt lgkmcnt(0)
	v_add_f32_e32 v8, v8, v11
	s_or_b32 exec_lo, exec_lo, s0
	s_and_saveexec_b32 s0, vcc_lo
	s_cbranch_execz .LBB272_563
.LBB272_588:
	v_lshl_add_u32 v11, v9, 2, v10
	ds_load_b32 v11, v11 offset:16
	s_waitcnt lgkmcnt(0)
	v_add_f32_e32 v7, v7, v11
	s_or_b32 exec_lo, exec_lo, s0
	s_and_saveexec_b32 s0, vcc_lo
	s_cbranch_execz .LBB272_564
.LBB272_589:
	v_lshl_add_u32 v11, v9, 2, v10
	ds_load_b32 v11, v11 offset:32
	s_waitcnt lgkmcnt(0)
	v_add_f32_e32 v6, v6, v11
	s_or_b32 exec_lo, exec_lo, s0
	s_and_saveexec_b32 s0, vcc_lo
	s_cbranch_execz .LBB272_565
.LBB272_590:
	v_lshl_add_u32 v11, v9, 2, v10
	ds_load_b32 v11, v11 offset:48
	s_waitcnt lgkmcnt(0)
	v_add_f32_e32 v5, v5, v11
	s_or_b32 exec_lo, exec_lo, s0
	s_and_saveexec_b32 s0, vcc_lo
	s_cbranch_execz .LBB272_566
.LBB272_591:
	v_lshl_add_u32 v11, v9, 2, v10
	ds_load_b32 v11, v11 offset:64
	s_waitcnt lgkmcnt(0)
	v_add_f32_e32 v4, v4, v11
	s_or_b32 exec_lo, exec_lo, s0
	s_and_saveexec_b32 s0, vcc_lo
	s_cbranch_execz .LBB272_567
.LBB272_592:
	v_lshl_add_u32 v11, v9, 2, v10
	ds_load_b32 v11, v11 offset:80
	s_waitcnt lgkmcnt(0)
	v_add_f32_e32 v3, v3, v11
	s_or_b32 exec_lo, exec_lo, s0
	s_and_saveexec_b32 s0, vcc_lo
	s_cbranch_execz .LBB272_568
.LBB272_593:
	v_lshl_add_u32 v11, v9, 2, v10
	ds_load_b32 v11, v11 offset:96
	s_waitcnt lgkmcnt(0)
	v_add_f32_e32 v2, v2, v11
	s_or_b32 exec_lo, exec_lo, s0
	s_and_saveexec_b32 s0, vcc_lo
	s_cbranch_execnz .LBB272_569
	s_branch .LBB272_570
.LBB272_594:
	ds_load_b32 v10, v9
	s_waitcnt lgkmcnt(0)
	v_add_f32_e32 v8, v8, v10
	s_or_b32 exec_lo, exec_lo, s0
	s_and_saveexec_b32 s0, vcc_lo
	s_cbranch_execz .LBB272_576
.LBB272_595:
	ds_load_b32 v10, v9 offset:16
	s_waitcnt lgkmcnt(0)
	v_add_f32_e32 v7, v7, v10
	s_or_b32 exec_lo, exec_lo, s0
	s_and_saveexec_b32 s0, vcc_lo
	s_cbranch_execz .LBB272_577
.LBB272_596:
	ds_load_b32 v10, v9 offset:32
	s_waitcnt lgkmcnt(0)
	v_add_f32_e32 v6, v6, v10
	s_or_b32 exec_lo, exec_lo, s0
	s_and_saveexec_b32 s0, vcc_lo
	s_cbranch_execz .LBB272_578
.LBB272_597:
	ds_load_b32 v10, v9 offset:48
	s_waitcnt lgkmcnt(0)
	v_add_f32_e32 v5, v5, v10
	s_or_b32 exec_lo, exec_lo, s0
	s_and_saveexec_b32 s0, vcc_lo
	s_cbranch_execz .LBB272_579
.LBB272_598:
	ds_load_b32 v10, v9 offset:64
	s_waitcnt lgkmcnt(0)
	v_add_f32_e32 v4, v4, v10
	s_or_b32 exec_lo, exec_lo, s0
	s_and_saveexec_b32 s0, vcc_lo
	s_cbranch_execz .LBB272_580
.LBB272_599:
	ds_load_b32 v10, v9 offset:80
	s_waitcnt lgkmcnt(0)
	v_add_f32_e32 v3, v3, v10
	s_or_b32 exec_lo, exec_lo, s0
	s_and_saveexec_b32 s0, vcc_lo
	s_cbranch_execz .LBB272_581
.LBB272_600:
	ds_load_b32 v10, v9 offset:96
	s_waitcnt lgkmcnt(0)
	v_add_f32_e32 v2, v2, v10
	s_or_b32 exec_lo, exec_lo, s0
	s_and_saveexec_b32 s0, vcc_lo
	s_cbranch_execnz .LBB272_582
	s_branch .LBB272_583
	.section	.rodata,"a",@progbits
	.p2align	6, 0x0
	.amdhsa_kernel _ZN4vllm25paged_attention_v2_kernelIfhLi32ELi32ELi128ELNS_18Fp8KVCacheDataTypeE1ELb0ELi512EEEvPfS2_PT_PKS3_PKT0_S9_ifPKiSB_iPKfiiiSD_SD_iiiii
		.amdhsa_group_segment_fixed_size 160
		.amdhsa_private_segment_fixed_size 0
		.amdhsa_kernarg_size 400
		.amdhsa_user_sgpr_count 13
		.amdhsa_user_sgpr_dispatch_ptr 0
		.amdhsa_user_sgpr_queue_ptr 0
		.amdhsa_user_sgpr_kernarg_segment_ptr 1
		.amdhsa_user_sgpr_dispatch_id 0
		.amdhsa_user_sgpr_private_segment_size 0
		.amdhsa_wavefront_size32 1
		.amdhsa_uses_dynamic_stack 0
		.amdhsa_enable_private_segment 0
		.amdhsa_system_sgpr_workgroup_id_x 1
		.amdhsa_system_sgpr_workgroup_id_y 1
		.amdhsa_system_sgpr_workgroup_id_z 1
		.amdhsa_system_sgpr_workgroup_info 0
		.amdhsa_system_vgpr_workitem_id 0
		.amdhsa_next_free_vgpr 116
		.amdhsa_next_free_sgpr 45
		.amdhsa_reserve_vcc 1
		.amdhsa_float_round_mode_32 0
		.amdhsa_float_round_mode_16_64 0
		.amdhsa_float_denorm_mode_32 3
		.amdhsa_float_denorm_mode_16_64 3
		.amdhsa_dx10_clamp 1
		.amdhsa_ieee_mode 1
		.amdhsa_fp16_overflow 0
		.amdhsa_workgroup_processor_mode 1
		.amdhsa_memory_ordered 1
		.amdhsa_forward_progress 0
		.amdhsa_shared_vgpr_count 0
		.amdhsa_exception_fp_ieee_invalid_op 0
		.amdhsa_exception_fp_denorm_src 0
		.amdhsa_exception_fp_ieee_div_zero 0
		.amdhsa_exception_fp_ieee_overflow 0
		.amdhsa_exception_fp_ieee_underflow 0
		.amdhsa_exception_fp_ieee_inexact 0
		.amdhsa_exception_int_div_zero 0
	.end_amdhsa_kernel
	.section	.text._ZN4vllm25paged_attention_v2_kernelIfhLi32ELi32ELi128ELNS_18Fp8KVCacheDataTypeE1ELb0ELi512EEEvPfS2_PT_PKS3_PKT0_S9_ifPKiSB_iPKfiiiSD_SD_iiiii,"axG",@progbits,_ZN4vllm25paged_attention_v2_kernelIfhLi32ELi32ELi128ELNS_18Fp8KVCacheDataTypeE1ELb0ELi512EEEvPfS2_PT_PKS3_PKT0_S9_ifPKiSB_iPKfiiiSD_SD_iiiii,comdat
.Lfunc_end272:
	.size	_ZN4vllm25paged_attention_v2_kernelIfhLi32ELi32ELi128ELNS_18Fp8KVCacheDataTypeE1ELb0ELi512EEEvPfS2_PT_PKS3_PKT0_S9_ifPKiSB_iPKfiiiSD_SD_iiiii, .Lfunc_end272-_ZN4vllm25paged_attention_v2_kernelIfhLi32ELi32ELi128ELNS_18Fp8KVCacheDataTypeE1ELb0ELi512EEEvPfS2_PT_PKS3_PKT0_S9_ifPKiSB_iPKfiiiSD_SD_iiiii
                                        ; -- End function
	.section	.AMDGPU.csdata,"",@progbits
; Kernel info:
; codeLenInByte = 20316
; NumSgprs: 47
; NumVgprs: 116
; ScratchSize: 0
; MemoryBound: 0
; FloatMode: 240
; IeeeMode: 1
; LDSByteSize: 160 bytes/workgroup (compile time only)
; SGPRBlocks: 5
; VGPRBlocks: 14
; NumSGPRsForWavesPerEU: 47
; NumVGPRsForWavesPerEU: 116
; Occupancy: 12
; WaveLimiterHint : 1
; COMPUTE_PGM_RSRC2:SCRATCH_EN: 0
; COMPUTE_PGM_RSRC2:USER_SGPR: 13
; COMPUTE_PGM_RSRC2:TRAP_HANDLER: 0
; COMPUTE_PGM_RSRC2:TGID_X_EN: 1
; COMPUTE_PGM_RSRC2:TGID_Y_EN: 1
; COMPUTE_PGM_RSRC2:TGID_Z_EN: 1
; COMPUTE_PGM_RSRC2:TIDIG_COMP_CNT: 0
	.text
	.p2align	2                               ; -- Begin function _ZN4vllm22paged_attention_kernelIfhLi64ELi32ELi128ELNS_18Fp8KVCacheDataTypeE1ELb0ELi512EEEvPfS2_PT_PKS3_PKT0_S9_ifPKiSB_iPKfiiiSD_SD_iiiii
	.type	_ZN4vllm22paged_attention_kernelIfhLi64ELi32ELi128ELNS_18Fp8KVCacheDataTypeE1ELb0ELi512EEEvPfS2_PT_PKS3_PKT0_S9_ifPKiSB_iPKfiiiSD_SD_iiiii,@function
_ZN4vllm22paged_attention_kernelIfhLi64ELi32ELi128ELNS_18Fp8KVCacheDataTypeE1ELb0ELi512EEEvPfS2_PT_PKS3_PKT0_S9_ifPKiSB_iPKfiiiSD_SD_iiiii: ; @_ZN4vllm22paged_attention_kernelIfhLi64ELi32ELi128ELNS_18Fp8KVCacheDataTypeE1ELb0ELi512EEEvPfS2_PT_PKS3_PKT0_S9_ifPKiSB_iPKfiiiSD_SD_iiiii
; %bb.0:
	s_waitcnt vmcnt(0) expcnt(0) lgkmcnt(0)
	s_clause 0x1f
	scratch_store_b32 off, v40, s32 offset:316
	; meta instruction
	scratch_store_b32 off, v41, s32 offset:312
	; meta instruction
	scratch_store_b32 off, v42, s32 offset:308
	; meta instruction
	scratch_store_b32 off, v43, s32 offset:304
	; meta instruction
	scratch_store_b32 off, v44, s32 offset:300
	; meta instruction
	scratch_store_b32 off, v45, s32 offset:296
	; meta instruction
	scratch_store_b32 off, v46, s32 offset:292
	; meta instruction
	scratch_store_b32 off, v47, s32 offset:288
	; meta instruction
	scratch_store_b32 off, v56, s32 offset:284
	; meta instruction
	scratch_store_b32 off, v57, s32 offset:280
	; meta instruction
	scratch_store_b32 off, v58, s32 offset:276
	; meta instruction
	scratch_store_b32 off, v59, s32 offset:272
	; meta instruction
	scratch_store_b32 off, v60, s32 offset:268
	; meta instruction
	scratch_store_b32 off, v61, s32 offset:264
	; meta instruction
	scratch_store_b32 off, v62, s32 offset:260
	; meta instruction
	scratch_store_b32 off, v63, s32 offset:256
	; meta instruction
	scratch_store_b32 off, v72, s32 offset:252
	; meta instruction
	scratch_store_b32 off, v73, s32 offset:248
	; meta instruction
	scratch_store_b32 off, v74, s32 offset:244
	; meta instruction
	scratch_store_b32 off, v75, s32 offset:240
	; meta instruction
	scratch_store_b32 off, v76, s32 offset:236
	; meta instruction
	scratch_store_b32 off, v77, s32 offset:232
	; meta instruction
	scratch_store_b32 off, v78, s32 offset:228
	; meta instruction
	scratch_store_b32 off, v79, s32 offset:224
	; meta instruction
	scratch_store_b32 off, v88, s32 offset:220
	; meta instruction
	scratch_store_b32 off, v89, s32 offset:216
	; meta instruction
	scratch_store_b32 off, v90, s32 offset:212
	; meta instruction
	scratch_store_b32 off, v91, s32 offset:208
	; meta instruction
	scratch_store_b32 off, v92, s32 offset:204
	; meta instruction
	scratch_store_b32 off, v93, s32 offset:200
	; meta instruction
	scratch_store_b32 off, v94, s32 offset:196
	; meta instruction
	scratch_store_b32 off, v95, s32 offset:192
	s_clause 0x1f
	scratch_store_b32 off, v104, s32 offset:188
	; meta instruction
	scratch_store_b32 off, v105, s32 offset:184
	; meta instruction
	;; [unrolled: 2-line block ×31, first 2 shown]
	scratch_store_b32 off, v159, s32 offset:64
	s_clause 0xf
	scratch_store_b32 off, v168, s32 offset:60
	; meta instruction
	scratch_store_b32 off, v169, s32 offset:56
	; meta instruction
	;; [unrolled: 2-line block ×15, first 2 shown]
	scratch_store_b32 off, v191, s32
	s_mov_b32 s10, s13
	s_ashr_i32 s11, s13, 31
	s_clause 0x1
	scratch_store_b32 off, v22, s32 offset:320
	scratch_store_b32 off, v13, s32 offset:328
	s_lshl_b64 s[0:1], s[10:11], 2
	v_dual_mov_b32 v13, v1 :: v_dual_mov_b32 v28, v0
	v_add_co_u32 v0, vcc_lo, v16, s0
	v_add_co_ci_u32_e32 v1, vcc_lo, s1, v17, vcc_lo
	v_dual_mov_b32 v52, v5 :: v_dual_mov_b32 v53, v4
	v_dual_mov_b32 v29, v3 :: v_dual_mov_b32 v32, v2
	flat_load_b32 v30, v[0:1]
	s_lshl_b32 s11, s14, 9
	s_mov_b32 s16, exec_lo
	s_waitcnt vmcnt(0) lgkmcnt(0)
	v_cmpx_lt_i32_e64 s11, v30
	s_cbranch_execz .LBB273_1132
; %bb.1:
	v_sub_nc_u32_e32 v0, 0, v12
	s_clause 0x1
	s_load_b32 s0, s[8:9], 0x10
	s_load_b32 s1, s[8:9], 0x0
	s_mov_b32 s6, s15
	v_max_i32_e32 v0, v12, v0
	s_delay_alu instid0(VALU_DEP_1) | instskip(SKIP_1) | instid1(VALU_DEP_2)
	v_cvt_f32_u32_e32 v1, v0
	v_sub_nc_u32_e32 v2, 0, v0
	v_rcp_iflag_f32_e32 v1, v1
	s_waitcnt lgkmcnt(0)
	s_lshr_b32 s0, s0, 16
	s_delay_alu instid0(SALU_CYCLE_1)
	s_cmp_lg_u32 s0, 0
	s_cselect_b32 s0, -1, 0
	s_waitcnt_depctr 0xfff
	v_mul_f32_e32 v1, 0x4f7ffffe, v1
	s_cmp_lg_u32 s0, 0
	s_addc_u32 s15, s1, 0
	s_mov_b32 s1, exec_lo
	s_delay_alu instid0(VALU_DEP_1) | instskip(SKIP_1) | instid1(VALU_DEP_1)
	v_cvt_u32_f32_e32 v1, v1
	s_abs_i32 s0, s15
	v_mul_lo_u32 v2, v2, v1
	s_delay_alu instid0(VALU_DEP_1) | instskip(NEXT) | instid1(VALU_DEP_1)
	v_mul_hi_u32 v2, v1, v2
	v_add_nc_u32_e32 v1, v1, v2
	s_delay_alu instid0(VALU_DEP_1) | instskip(NEXT) | instid1(VALU_DEP_1)
	v_mul_hi_u32 v1, s0, v1
	v_mul_lo_u32 v2, v1, v0
	v_add_nc_u32_e32 v3, 1, v1
	s_delay_alu instid0(VALU_DEP_2) | instskip(SKIP_1) | instid1(VALU_DEP_1)
	v_sub_nc_u32_e32 v2, s0, v2
	s_abs_i32 s0, s12
	v_sub_nc_u32_e32 v4, v2, v0
	v_cmp_ge_u32_e32 vcc_lo, v2, v0
	s_delay_alu instid0(VALU_DEP_2) | instskip(SKIP_1) | instid1(VALU_DEP_2)
	v_dual_cndmask_b32 v1, v1, v3 :: v_dual_cndmask_b32 v2, v2, v4
	v_xor_b32_e32 v3, s15, v12
	v_add_nc_u32_e32 v4, 1, v1
	s_delay_alu instid0(VALU_DEP_3) | instskip(NEXT) | instid1(VALU_DEP_3)
	v_cmp_ge_u32_e32 vcc_lo, v2, v0
	v_ashrrev_i32_e32 v3, 31, v3
	s_delay_alu instid0(VALU_DEP_3) | instskip(NEXT) | instid1(VALU_DEP_1)
	v_cndmask_b32_e32 v0, v1, v4, vcc_lo
	v_xor_b32_e32 v0, v0, v3
	s_delay_alu instid0(VALU_DEP_1) | instskip(NEXT) | instid1(VALU_DEP_1)
	v_sub_nc_u32_e32 v3, v0, v3
	v_sub_nc_u32_e32 v0, 0, v3
	s_delay_alu instid0(VALU_DEP_1) | instskip(NEXT) | instid1(VALU_DEP_1)
	v_max_i32_e32 v2, v3, v0
	v_cvt_f32_u32_e32 v0, v2
	v_sub_nc_u32_e32 v1, 0, v2
	s_delay_alu instid0(VALU_DEP_2) | instskip(SKIP_2) | instid1(VALU_DEP_1)
	v_rcp_iflag_f32_e32 v0, v0
	s_waitcnt_depctr 0xfff
	v_mul_f32_e32 v0, 0x4f7ffffe, v0
	v_cvt_u32_f32_e32 v0, v0
	s_delay_alu instid0(VALU_DEP_1) | instskip(NEXT) | instid1(VALU_DEP_1)
	v_mul_lo_u32 v1, v1, v0
	v_mul_hi_u32 v1, v0, v1
	s_delay_alu instid0(VALU_DEP_1) | instskip(NEXT) | instid1(VALU_DEP_1)
	v_add_nc_u32_e32 v4, v0, v1
	v_mad_u64_u32 v[0:1], null, s0, v4, 0
	v_mov_b32_e32 v0, 0
	scratch_store_b32 off, v0, s32 offset:332 ; 4-byte Folded Spill
	v_cmpx_ne_u64_e32 0, v[19:20]
	s_cbranch_execz .LBB273_3
; %bb.2:
	s_ashr_i32 s13, s12, 31
	s_delay_alu instid0(SALU_CYCLE_1) | instskip(NEXT) | instid1(SALU_CYCLE_1)
	s_lshl_b64 s[2:3], s[12:13], 2
	v_add_co_u32 v4, vcc_lo, v19, s2
	v_add_co_ci_u32_e32 v5, vcc_lo, s3, v20, vcc_lo
	flat_load_b32 v0, v[4:5]
	s_waitcnt vmcnt(0) lgkmcnt(0)
	scratch_store_b32 off, v0, s32 offset:332 ; 4-byte Folded Spill
.LBB273_3:
	s_or_b32 exec_lo, exec_lo, s1
	v_and_b32_e32 v54, 0x3ff, v31
	v_ashrrev_i32_e32 v0, 31, v3
	s_ashr_i32 s1, s12, 31
	s_lshl_b32 s4, s12, 6
	s_mov_b32 s2, exec_lo
	v_cmpx_gt_u32_e32 16, v54
	s_cbranch_execz .LBB273_5
; %bb.4:
	v_mul_lo_u32 v3, s10, v21
	s_ashr_i32 s5, s4, 31
	v_lshlrev_b32_e32 v12, 4, v54
	s_lshl_b64 s[18:19], s[4:5], 2
	s_delay_alu instid0(VALU_DEP_2) | instskip(NEXT) | instid1(VALU_DEP_1)
	v_ashrrev_i32_e32 v4, 31, v3
	v_lshlrev_b64 v[3:4], 2, v[3:4]
	s_delay_alu instid0(VALU_DEP_1) | instskip(NEXT) | instid1(VALU_DEP_2)
	v_add_co_u32 v3, vcc_lo, v6, v3
	v_add_co_ci_u32_e32 v4, vcc_lo, v7, v4, vcc_lo
	s_delay_alu instid0(VALU_DEP_2) | instskip(NEXT) | instid1(VALU_DEP_2)
	v_add_co_u32 v3, vcc_lo, v3, s18
	v_add_co_ci_u32_e32 v4, vcc_lo, s19, v4, vcc_lo
	s_delay_alu instid0(VALU_DEP_2) | instskip(NEXT) | instid1(VALU_DEP_2)
	v_add_co_u32 v3, vcc_lo, v3, v12
	v_add_co_ci_u32_e32 v4, vcc_lo, 0, v4, vcc_lo
	flat_load_b128 v[3:6], v[3:4]
	s_waitcnt vmcnt(0) lgkmcnt(0)
	ds_store_b128 v12, v[3:6]
.LBB273_5:
	s_or_b32 exec_lo, exec_lo, s2
	v_mul_lo_u32 v3, v1, v2
	v_add_nc_u32_e32 v5, 31, v30
	v_xor_b32_e32 v7, s1, v0
	s_lshl_b32 s13, s14, 4
	s_clause 0x1
	s_load_b32 s17, s[8:9], 0x14
	s_load_b32 s5, s[8:9], 0x8
	v_mul_lo_u32 v0, s10, v18
	v_mov_b32_e32 v31, 0xff7fffff
	v_sub_nc_u32_e32 v3, s0, v3
	s_add_i32 s0, s13, 16
	s_delay_alu instid0(VALU_DEP_1) | instskip(SKIP_1) | instid1(VALU_DEP_2)
	v_sub_nc_u32_e32 v6, v3, v2
	v_cmp_ge_u32_e32 vcc_lo, v3, v2
	v_dual_cndmask_b32 v3, v3, v6 :: v_dual_add_nc_u32 v4, 1, v1
	s_delay_alu instid0(VALU_DEP_1) | instskip(SKIP_1) | instid1(VALU_DEP_3)
	v_cndmask_b32_e32 v1, v1, v4, vcc_lo
	v_ashrrev_i32_e32 v4, 31, v5
	v_cmp_ge_u32_e32 vcc_lo, v3, v2
	s_delay_alu instid0(VALU_DEP_3) | instskip(NEXT) | instid1(VALU_DEP_3)
	v_add_nc_u32_e32 v6, 1, v1
	v_lshrrev_b32_e32 v4, 27, v4
	s_delay_alu instid0(VALU_DEP_1) | instskip(SKIP_1) | instid1(VALU_DEP_4)
	v_add_nc_u32_e32 v2, v5, v4
	v_lshrrev_b32_e32 v4, 5, v54
	v_cndmask_b32_e32 v1, v1, v6, vcc_lo
	v_and_b32_e32 v6, 31, v54
	s_delay_alu instid0(VALU_DEP_4) | instskip(NEXT) | instid1(VALU_DEP_4)
	v_ashrrev_i32_e32 v12, 5, v2
	v_add_nc_u32_e32 v20, s13, v4
	s_delay_alu instid0(VALU_DEP_4) | instskip(NEXT) | instid1(VALU_DEP_4)
	v_xor_b32_e32 v1, v1, v7
	v_lshlrev_b32_e32 v33, 2, v6
	s_delay_alu instid0(VALU_DEP_4) | instskip(NEXT) | instid1(VALU_DEP_4)
	v_min_i32_e32 v2, s0, v12
	v_ashrrev_i32_e32 v21, 31, v20
	s_delay_alu instid0(VALU_DEP_4)
	v_sub_nc_u32_e32 v3, v1, v7
	v_ashrrev_i32_e32 v1, 31, v0
	s_clause 0x1
	scratch_store_b32 off, v4, s32 offset:424
	scratch_store_b32 off, v2, s32 offset:324
	v_cmp_ge_i32_e64 s0, v20, v2
	v_mul_lo_u32 v18, v3, v23
	v_lshlrev_b64 v[16:17], 2, v[0:1]
	v_cmp_lt_i32_e32 vcc_lo, v20, v2
	s_waitcnt lgkmcnt(0)
	s_waitcnt_vscnt null, 0x0
	s_barrier
	buffer_gl0_inv
	v_ashrrev_i32_e32 v19, 31, v18
	s_mov_b32 s18, exec_lo
	s_delay_alu instid0(SALU_CYCLE_1)
	s_and_b32 s1, s18, vcc_lo
	scratch_store_b32 off, v6, s32 offset:428 ; 4-byte Folded Spill
	s_mov_b32 exec_lo, s1
	s_cbranch_execz .LBB273_521
; %bb.6:
	v_dual_mov_b32 v135, 0 :: v_dual_lshlrev_b32 v0, 4, v6
	v_add_co_u32 v1, vcc_lo, v8, v18
	v_add_co_ci_u32_e32 v2, vcc_lo, v9, v19, vcc_lo
	s_clause 0xa
	scratch_store_b32 off, v12, s32 offset:492
	scratch_store_b32 off, v32, s32 offset:480
	;; [unrolled: 1-line block ×7, first 2 shown]
	scratch_store_b64 off, v[26:27], s32 offset:452
	scratch_store_b32 off, v54, s32 offset:440
	scratch_store_b32 off, v53, s32 offset:436
	;; [unrolled: 1-line block ×3, first 2 shown]
	v_add_co_u32 v0, vcc_lo, v1, v0
	v_add_co_ci_u32_e32 v1, vcc_lo, 0, v2, vcc_lo
	scratch_store_b32 off, v18, s32 offset:496 ; 4-byte Folded Spill
	ds_load_b128 v[48:51], v135 offset:80
	s_ashr_i32 s7, s6, 31
	scratch_store_b64 off, v[0:1], s32 offset:336 ; 8-byte Folded Spill
	ds_load_b128 v[0:3], v135
	scratch_store_b32 off, v19, s32 offset:500 ; 4-byte Folded Spill
	s_getpc_b64 s[2:3]
	s_add_u32 s2, s2, llvm.amdgcn.dynlds.offset.table@rel32@lo+4
	s_addc_u32 s3, s3, llvm.amdgcn.dynlds.offset.table@rel32@hi+12
	s_lshl_b64 s[8:9], s[6:7], 2
	v_mov_b32_e32 v31, 0xff7fffff
	s_add_u32 s2, s8, s2
	s_addc_u32 s3, s9, s3
	s_mov_b32 s9, 0x7f800001
	v_mov_b32_e32 v32, v20
	s_waitcnt lgkmcnt(0)
	scratch_store_b128 off, v[0:3], s32 offset:344 ; 16-byte Folded Spill
	ds_load_b128 v[0:3], v135 offset:16
	s_waitcnt lgkmcnt(0)
	scratch_store_b128 off, v[0:3], s32 offset:360 ; 16-byte Folded Spill
	ds_load_b128 v[0:3], v135 offset:32
	;; [unrolled: 3-line block ×5, first 2 shown]
	ds_load_b128 v[64:67], v135 offset:112
	ds_load_b128 v[68:71], v135 offset:128
	;; [unrolled: 1-line block ×3, first 2 shown]
	s_load_b32 s2, s[2:3], 0x0
	ds_load_b128 v[84:87], v135 offset:160
	ds_load_b128 v[96:99], v135 offset:176
	;; [unrolled: 1-line block ×6, first 2 shown]
	s_clause 0x1
	scratch_load_b32 v2, off, s32 offset:332
	scratch_load_b32 v3, off, s32 offset:424
	v_lshlrev_b64 v[0:1], 2, v[20:21]
	s_clause 0x3
	scratch_store_b64 off, v[16:17], s32 offset:484
	scratch_store_b32 off, v33, s32 offset:504
	scratch_store_b32 off, v14, s32 offset:448
	;; [unrolled: 1-line block ×3, first 2 shown]
	v_add_co_u32 v0, s1, v16, v0
	s_delay_alu instid0(VALU_DEP_1) | instskip(NEXT) | instid1(VALU_DEP_2)
	v_add_co_ci_u32_e64 v1, s1, v17, v1, s1
	v_add_co_u32 v146, s1, v14, v0
	s_delay_alu instid0(VALU_DEP_1)
	v_add_co_ci_u32_e64 v147, s1, v15, v1, s1
	s_waitcnt vmcnt(1)
	v_cmp_neq_f32_e32 vcc_lo, 0, v2
	s_waitcnt vmcnt(0)
	v_lshlrev_b32_e32 v2, 5, v3
	v_lshl_or_b32 v3, v3, 7, v33
	s_delay_alu instid0(VALU_DEP_2) | instskip(SKIP_1) | instid1(VALU_DEP_2)
	v_add3_u32 v10, s11, v2, v6
	s_waitcnt lgkmcnt(0)
	v_add_nc_u32_e32 v13, s2, v3
	s_mov_b32 s2, 0
	s_brev_b32 s3, 1
	s_mov_b32 s7, s2
	s_branch .LBB273_11
.LBB273_7:                              ;   in Loop: Header=BB273_11 Depth=1
	s_or_b32 exec_lo, exec_lo, s21
	v_lshlrev_b32_e32 v9, 24, v35
	s_delay_alu instid0(VALU_DEP_2) | instskip(SKIP_1) | instid1(VALU_DEP_3)
	v_lshlrev_b32_e32 v34, 20, v134
	v_lshl_add_u32 v8, v8, 23, 0x3c000000
	v_and_b32_e32 v9, 0x80000000, v9
	s_delay_alu instid0(VALU_DEP_1)
	v_or3_b32 v9, v34, v9, v8
	v_mov_b32_e32 v8, v135
.LBB273_8:                              ;   in Loop: Header=BB273_11 Depth=1
	s_or_b32 exec_lo, exec_lo, s8
.LBB273_9:                              ;   in Loop: Header=BB273_11 Depth=1
	s_delay_alu instid0(SALU_CYCLE_1)
	s_or_b32 exec_lo, exec_lo, s20
.LBB273_10:                             ;   in Loop: Header=BB273_11 Depth=1
	s_delay_alu instid0(SALU_CYCLE_1)
	s_or_b32 exec_lo, exec_lo, s19
	v_or_b32_e32 v148, v150, v148
	v_or_b32_e32 v165, v167, v165
	;; [unrolled: 1-line block ×5, first 2 shown]
	v_mul_f32_e32 v150, v33, v148
	v_or_b32_e32 v148, v163, v161
	s_clause 0x1
	scratch_load_b32 v161, off, s32 offset:332
	scratch_load_b128 v[176:179], off, s32 offset:360
	v_or_b32_e32 v1, v1, v3
	v_or_b32_e32 v9, v9, v19
	;; [unrolled: 1-line block ×3, first 2 shown]
	v_mul_f32_e32 v166, v33, v166
	v_or_b32_e32 v149, v151, v149
	v_mul_f32_e32 v0, v33, v1
	v_or_b32_e32 v1, v15, v145
	v_or_b32_e32 v151, v162, v160
	v_mul_f32_e32 v9, v33, v9
	v_mul_f32_e32 v160, v33, v148
	v_sub_nc_u32_e32 v148, 1, v30
	v_mul_f32_e32 v1, v33, v1
	v_or_b32_e32 v3, v14, v144
	v_or_b32_e32 v8, v8, v18
	;; [unrolled: 1-line block ×3, first 2 shown]
	v_add_nc_u32_e32 v148, v148, v10
	v_mul_f32_e32 v164, v33, v164
	v_mul_f32_e32 v3, v33, v3
	v_or_b32_e32 v36, v153, v143
	v_or_b32_e32 v37, v152, v142
	v_cvt_f32_i32_e32 v148, v148
	v_or_b32_e32 v79, v89, v79
	v_or_b32_e32 v89, v92, v90
	;; [unrolled: 1-line block ×12, first 2 shown]
	v_mul_f32_e32 v89, v33, v89
	v_mul_f32_e32 v132, v33, v36
	v_or_b32_e32 v36, v157, v155
	v_mul_f32_e32 v56, v33, v56
	v_mul_f32_e32 v34, v33, v34
	;; [unrolled: 1-line block ×4, first 2 shown]
	v_or_b32_e32 v37, v156, v154
	v_mul_f32_e32 v165, v33, v165
	v_or_b32_e32 v22, v22, v6
	v_or_b32_e32 v14, v191, v133
	v_mul_f32_e32 v133, v33, v36
	v_or_b32_e32 v36, v137, v127
	v_mul_f32_e32 v78, v33, v78
	v_mul_f32_e32 v88, v33, v88
	;; [unrolled: 1-line block ×3, first 2 shown]
	v_or_b32_e32 v37, v136, v126
	v_or_b32_e32 v47, v57, v47
	;; [unrolled: 1-line block ×4, first 2 shown]
	v_mul_f32_e32 v149, v33, v149
	v_or_b32_e32 v16, v16, v28
	v_or_b32_e32 v11, v11, v4
	;; [unrolled: 1-line block ×7, first 2 shown]
	v_mul_f32_e32 v57, v33, v57
	v_or_b32_e32 v40, v45, v43
	v_or_b32_e32 v26, v180, v26
	v_mul_f32_e32 v8, v33, v8
	v_cmp_lt_i32_e64 s1, v10, v30
	v_add_nc_u32_e32 v10, 0x80, v10
	v_or_b32_e32 v28, v159, v169
	v_or_b32_e32 v35, v170, v172
	;; [unrolled: 1-line block ×4, first 2 shown]
	v_mul_f32_e32 v94, v33, v94
	v_mul_f32_e32 v23, v33, v23
	;; [unrolled: 1-line block ×3, first 2 shown]
	v_or_b32_e32 v63, v73, v63
	v_or_b32_e32 v73, v76, v74
	v_mul_f32_e32 v46, v33, v46
	v_or_b32_e32 v183, v41, v183
	v_or_b32_e32 v41, v44, v42
	v_mul_f32_e32 v167, v33, v167
	v_mul_f32_e32 v151, v33, v151
	v_or_b32_e32 v27, v181, v27
	v_mul_f32_e32 v22, v33, v22
	v_mul_f32_e32 v95, v33, v95
	;; [unrolled: 1-line block ×5, first 2 shown]
	v_dual_mul_f32 v47, v33, v47 :: v_dual_add_nc_u32 v32, 4, v32
	v_mul_f32_e32 v183, v33, v183
	v_mul_f32_e32 v41, v33, v41
	;; [unrolled: 1-line block ×4, first 2 shown]
	s_waitcnt vmcnt(1)
	v_mul_f32_e32 v148, v161, v148
	s_waitcnt vmcnt(0)
	v_mul_f32_e32 v18, v176, v164
	scratch_load_b128 v[161:164], off, s32 offset:344 ; 16-byte Folded Reload
	v_mul_f32_e32 v19, v177, v165
	v_mul_f32_e32 v6, v33, v7
	v_or_b32_e32 v7, v17, v29
	v_mul_f32_e32 v17, v33, v12
	v_or_b32_e32 v12, v187, v189
	v_or_b32_e32 v29, v158, v168
	v_mul_f32_e32 v16, v33, v16
	v_mul_f32_e32 v40, v33, v40
	;; [unrolled: 1-line block ×6, first 2 shown]
	v_dual_mul_f32 v7, v33, v7 :: v_dual_cndmask_b32 v148, 0, v148
	v_mul_f32_e32 v39, v33, v39
	v_mul_f32_e32 v79, v33, v79
	s_waitcnt vmcnt(0)
	v_fmac_f32_e32 v18, v161, v150
	v_mul_f32_e32 v15, v33, v15
	v_mul_f32_e32 v127, v33, v37
	;; [unrolled: 1-line block ×4, first 2 shown]
	v_or_b32_e32 v36, v141, v139
	v_or_b32_e32 v37, v140, v138
	v_fmac_f32_e32 v19, v162, v149
	v_mul_f32_e32 v149, v179, v166
	v_mul_f32_e32 v2, v33, v2
	;; [unrolled: 1-line block ×4, first 2 shown]
	v_or_b32_e32 v36, v121, v111
	v_or_b32_e32 v37, v120, v110
	v_dual_fmac_f32 v149, v164, v160 :: v_dual_mul_f32 v4, v33, v5
	v_mul_f32_e32 v5, v33, v11
	v_or_b32_e32 v11, v175, v185
	v_mul_f32_e32 v36, v33, v36
	v_mul_f32_e32 v37, v33, v37
	;; [unrolled: 1-line block ×7, first 2 shown]
	s_delay_alu instid0(VALU_DEP_1)
	v_fmac_f32_e32 v33, v163, v151
	scratch_load_b128 v[160:163], off, s32 offset:376 ; 16-byte Folded Reload
	s_waitcnt vmcnt(0)
	v_dual_fmac_f32 v18, v160, v182 :: v_dual_fmac_f32 v19, v161, v183
	v_fmac_f32_e32 v33, v162, v41
	v_fmac_f32_e32 v149, v163, v40
	scratch_load_b128 v[160:163], off, s32 offset:392 ; 16-byte Folded Reload
	s_waitcnt vmcnt(0)
	v_dual_fmac_f32 v18, v160, v46 :: v_dual_fmac_f32 v19, v161, v47
	v_fmac_f32_e32 v33, v162, v57
	;; [unrolled: 5-line block ×3, first 2 shown]
	s_delay_alu instid0(VALU_DEP_2) | instskip(NEXT) | instid1(VALU_DEP_3)
	v_dual_fmac_f32 v19, v161, v63 :: v_dual_fmac_f32 v18, v48, v78
	v_fmac_f32_e32 v149, v51, v88
	s_delay_alu instid0(VALU_DEP_3) | instskip(NEXT) | instid1(VALU_DEP_3)
	v_fmac_f32_e32 v33, v50, v89
	v_dual_fmac_f32 v19, v49, v79 :: v_dual_fmac_f32 v18, v52, v94
	s_delay_alu instid0(VALU_DEP_1) | instskip(NEXT) | instid1(VALU_DEP_1)
	v_dual_fmac_f32 v149, v55, v104 :: v_dual_fmac_f32 v18, v64, v37
	v_fmac_f32_e32 v18, v68, v127
	s_delay_alu instid0(VALU_DEP_1) | instskip(NEXT) | instid1(VALU_DEP_1)
	v_fmac_f32_e32 v18, v80, v134
	v_fmac_f32_e32 v18, v84, v29
	s_delay_alu instid0(VALU_DEP_1) | instskip(NEXT) | instid1(VALU_DEP_1)
	v_fmac_f32_e32 v18, v96, v17
	;; [unrolled: 3-line block ×3, first 2 shown]
	v_dual_fmac_f32 v18, v116, v22 :: v_dual_fmac_f32 v19, v53, v95
	s_delay_alu instid0(VALU_DEP_1) | instskip(NEXT) | instid1(VALU_DEP_1)
	v_dual_fmac_f32 v18, v128, v26 :: v_dual_fmac_f32 v33, v54, v105
	v_fmac_f32_e32 v33, v66, v39
	s_delay_alu instid0(VALU_DEP_3) | instskip(NEXT) | instid1(VALU_DEP_2)
	v_fmac_f32_e32 v19, v65, v36
	v_fmac_f32_e32 v33, v70, v136
	v_fmac_f32_e32 v149, v67, v38
	s_delay_alu instid0(VALU_DEP_3) | instskip(NEXT) | instid1(VALU_DEP_3)
	v_fmac_f32_e32 v19, v69, v145
	v_fmac_f32_e32 v33, v82, v144
	s_delay_alu instid0(VALU_DEP_3) | instskip(NEXT) | instid1(VALU_DEP_3)
	v_fmac_f32_e32 v149, v71, v126
	v_fmac_f32_e32 v19, v81, v132
	;; [unrolled: 3-line block ×9, first 2 shown]
	scratch_load_b32 v1, off, s32 offset:328 ; 4-byte Folded Reload
	v_fmac_f32_e32 v19, v117, v6
	v_fmac_f32_e32 v33, v130, v8
	;; [unrolled: 1-line block ×3, first 2 shown]
	s_delay_alu instid0(VALU_DEP_3) | instskip(NEXT) | instid1(VALU_DEP_1)
	v_fmac_f32_e32 v19, v129, v27
	v_dual_fmac_f32 v149, v131, v9 :: v_dual_add_f32 v0, v18, v19
	s_delay_alu instid0(VALU_DEP_1) | instskip(NEXT) | instid1(VALU_DEP_1)
	v_add_f32_e32 v0, v33, v0
	v_add_f32_e32 v0, v149, v0
	s_waitcnt vmcnt(0)
	s_delay_alu instid0(VALU_DEP_1) | instskip(NEXT) | instid1(VALU_DEP_1)
	v_fmac_f32_e32 v148, v0, v1
	v_cndmask_b32_e64 v0, 0, v148, s1
	ds_store_b32 v13, v0
	v_dual_max_f32 v0, v31, v31 :: v_dual_add_nc_u32 v13, 0x200, v13
	s_delay_alu instid0(VALU_DEP_1) | instskip(NEXT) | instid1(VALU_DEP_1)
	v_max_f32_e32 v0, v0, v148
	v_cndmask_b32_e64 v31, v31, v0, s1
	scratch_load_b32 v0, off, s32 offset:324 ; 4-byte Folded Reload
	v_add_co_u32 v146, s1, v146, 16
	s_delay_alu instid0(VALU_DEP_1) | instskip(SKIP_2) | instid1(VALU_DEP_1)
	v_add_co_ci_u32_e64 v147, s1, 0, v147, s1
	s_waitcnt vmcnt(0)
	v_cmp_ge_i32_e64 s1, v32, v0
	s_or_b32 s7, s1, s7
	s_delay_alu instid0(SALU_CYCLE_1)
	s_and_not1_b32 exec_lo, exec_lo, s7
	s_cbranch_execz .LBB273_520
.LBB273_11:                             ; =>This Inner Loop Header: Depth=1
	flat_load_b32 v0, v[146:147]
	s_clause 0x1
	scratch_load_b32 v1, off, s32 offset:320
	scratch_load_b64 v[2:3], off, s32 offset:336
	s_mov_b32 s8, exec_lo
	s_waitcnt vmcnt(0) lgkmcnt(0)
	v_mad_i64_i32 v[180:181], null, v0, v1, v[2:3]
	flat_load_b32 v0, v[180:181]
	flat_load_b32 v33, v[24:25]
	v_mov_b32_e32 v150, 0
	v_mov_b32_e32 v151, 0
	s_delay_alu instid0(VALU_DEP_1) | instskip(SKIP_2) | instid1(VALU_DEP_1)
	v_dual_mov_b32 v148, v150 :: v_dual_mov_b32 v149, v151
	s_waitcnt vmcnt(1) lgkmcnt(1)
	v_and_b32_e32 v1, 0xff, v0
	v_cmpx_ne_u16_e32 0, v1
	s_cbranch_execz .LBB273_19
; %bb.12:                               ;   in Loop: Header=BB273_11 Depth=1
	v_bfrev_b32_e32 v148, 1
	v_mov_b32_e32 v149, 0
	s_mov_b32 s19, exec_lo
	v_cmpx_ne_u16_e32 0x80, v1
	s_cbranch_execz .LBB273_18
; %bb.13:                               ;   in Loop: Header=BB273_11 Depth=1
	v_mov_b32_e32 v148, 0x7f800001
	v_dual_mov_b32 v149, 0 :: v_dual_and_b32 v2, 0x7f, v0
	s_mov_b32 s20, exec_lo
	s_delay_alu instid0(VALU_DEP_1)
	v_cmpx_ne_u32_e32 0x7f, v2
	s_cbranch_execz .LBB273_17
; %bb.14:                               ;   in Loop: Header=BB273_11 Depth=1
	v_and_b32_e32 v134, 7, v0
	v_lshrrev_b32_e32 v1, 3, v2
	s_mov_b32 s21, exec_lo
	v_cmpx_gt_u32_e32 8, v2
; %bb.15:                               ;   in Loop: Header=BB273_11 Depth=1
	s_delay_alu instid0(VALU_DEP_3) | instskip(NEXT) | instid1(VALU_DEP_1)
	v_clz_i32_u32_e32 v1, v134
	v_min_u32_e32 v1, 32, v1
	s_delay_alu instid0(VALU_DEP_1) | instskip(SKIP_1) | instid1(VALU_DEP_2)
	v_subrev_nc_u32_e32 v2, 28, v1
	v_sub_nc_u32_e32 v1, 29, v1
	v_lshlrev_b64 v[2:3], v2, v[134:135]
	s_delay_alu instid0(VALU_DEP_1)
	v_and_b32_e32 v134, 7, v2
; %bb.16:                               ;   in Loop: Header=BB273_11 Depth=1
	s_or_b32 exec_lo, exec_lo, s21
	v_lshlrev_b32_e32 v2, 24, v0
	s_delay_alu instid0(VALU_DEP_2) | instskip(SKIP_1) | instid1(VALU_DEP_3)
	v_lshlrev_b32_e32 v3, 20, v134
	v_lshl_add_u32 v1, v1, 23, 0x3c000000
	v_and_b32_e32 v2, 0x80000000, v2
	s_delay_alu instid0(VALU_DEP_1) | instskip(NEXT) | instid1(VALU_DEP_1)
	v_or3_b32 v134, v3, v2, v1
	v_dual_mov_b32 v149, v135 :: v_dual_mov_b32 v148, v134
.LBB273_17:                             ;   in Loop: Header=BB273_11 Depth=1
	s_or_b32 exec_lo, exec_lo, s20
.LBB273_18:                             ;   in Loop: Header=BB273_11 Depth=1
	s_delay_alu instid0(SALU_CYCLE_1)
	s_or_b32 exec_lo, exec_lo, s19
.LBB273_19:                             ;   in Loop: Header=BB273_11 Depth=1
	s_delay_alu instid0(SALU_CYCLE_1) | instskip(SKIP_2) | instid1(VALU_DEP_1)
	s_or_b32 exec_lo, exec_lo, s8
	v_lshrrev_b16 v1, 8, v0
	s_mov_b32 s19, exec_lo
	v_cmpx_ne_u16_e32 0, v1
	s_cbranch_execz .LBB273_27
; %bb.20:                               ;   in Loop: Header=BB273_11 Depth=1
	v_dual_mov_b32 v151, s3 :: v_dual_mov_b32 v150, s2
	s_mov_b32 s20, exec_lo
	v_cmpx_ne_u16_e32 0x80, v1
	s_cbranch_execz .LBB273_26
; %bb.21:                               ;   in Loop: Header=BB273_11 Depth=1
	s_mov_b32 s8, s2
	v_and_b32_e32 v1, 0xffff, v1
	v_dual_mov_b32 v151, s9 :: v_dual_mov_b32 v150, s8
	s_mov_b32 s8, exec_lo
	s_delay_alu instid0(VALU_DEP_2) | instskip(NEXT) | instid1(VALU_DEP_1)
	v_and_b32_e32 v2, 0x7f, v1
	v_cmpx_ne_u32_e32 0x7f, v2
	s_cbranch_execz .LBB273_25
; %bb.22:                               ;   in Loop: Header=BB273_11 Depth=1
	v_and_b32_e32 v134, 7, v1
	v_lshrrev_b32_e32 v1, 3, v2
	s_mov_b32 s21, exec_lo
	v_cmpx_gt_u32_e32 8, v2
; %bb.23:                               ;   in Loop: Header=BB273_11 Depth=1
	s_delay_alu instid0(VALU_DEP_3) | instskip(NEXT) | instid1(VALU_DEP_1)
	v_clz_i32_u32_e32 v1, v134
	v_min_u32_e32 v1, 32, v1
	s_delay_alu instid0(VALU_DEP_1) | instskip(SKIP_1) | instid1(VALU_DEP_2)
	v_subrev_nc_u32_e32 v2, 28, v1
	v_sub_nc_u32_e32 v1, 29, v1
	v_lshlrev_b64 v[2:3], v2, v[134:135]
	s_delay_alu instid0(VALU_DEP_1)
	v_and_b32_e32 v134, 7, v2
; %bb.24:                               ;   in Loop: Header=BB273_11 Depth=1
	s_or_b32 exec_lo, exec_lo, s21
	v_lshlrev_b32_e32 v2, 16, v0
	s_delay_alu instid0(VALU_DEP_2) | instskip(SKIP_1) | instid1(VALU_DEP_3)
	v_dual_mov_b32 v150, v135 :: v_dual_lshlrev_b32 v3, 20, v134
	v_lshl_add_u32 v1, v1, 23, 0x3c000000
	v_and_b32_e32 v2, 0x80000000, v2
	s_delay_alu instid0(VALU_DEP_1)
	v_or3_b32 v151, v3, v2, v1
.LBB273_25:                             ;   in Loop: Header=BB273_11 Depth=1
	s_or_b32 exec_lo, exec_lo, s8
.LBB273_26:                             ;   in Loop: Header=BB273_11 Depth=1
	s_delay_alu instid0(SALU_CYCLE_1)
	s_or_b32 exec_lo, exec_lo, s20
.LBB273_27:                             ;   in Loop: Header=BB273_11 Depth=1
	s_delay_alu instid0(SALU_CYCLE_1) | instskip(SKIP_4) | instid1(VALU_DEP_2)
	s_or_b32 exec_lo, exec_lo, s19
	v_mov_b32_e32 v162, 0
	v_lshrrev_b32_e32 v1, 16, v0
	v_mov_b32_e32 v163, 0
	s_mov_b32 s8, exec_lo
	v_and_b32_e32 v2, 0xff, v1
	s_delay_alu instid0(VALU_DEP_2) | instskip(NEXT) | instid1(VALU_DEP_2)
	v_dual_mov_b32 v160, v162 :: v_dual_mov_b32 v161, v163
	v_cmpx_ne_u16_e32 0, v2
	s_cbranch_execz .LBB273_35
; %bb.28:                               ;   in Loop: Header=BB273_11 Depth=1
	v_bfrev_b32_e32 v160, 1
	v_mov_b32_e32 v161, 0
	s_mov_b32 s19, exec_lo
	v_cmpx_ne_u16_e32 0x80, v2
	s_cbranch_execz .LBB273_34
; %bb.29:                               ;   in Loop: Header=BB273_11 Depth=1
	v_mov_b32_e32 v160, 0x7f800001
	v_bfe_u32 v3, v0, 16, 7
	v_mov_b32_e32 v161, 0
	s_mov_b32 s20, exec_lo
	s_delay_alu instid0(VALU_DEP_2)
	v_cmpx_ne_u32_e32 0x7f, v3
	s_cbranch_execz .LBB273_33
; %bb.30:                               ;   in Loop: Header=BB273_11 Depth=1
	v_and_b32_e32 v134, 7, v1
	v_lshrrev_b32_e32 v2, 3, v3
	s_mov_b32 s21, exec_lo
	v_cmpx_gt_u32_e32 8, v3
; %bb.31:                               ;   in Loop: Header=BB273_11 Depth=1
	s_delay_alu instid0(VALU_DEP_3) | instskip(NEXT) | instid1(VALU_DEP_1)
	v_clz_i32_u32_e32 v2, v134
	v_min_u32_e32 v2, 32, v2
	s_delay_alu instid0(VALU_DEP_1) | instskip(SKIP_1) | instid1(VALU_DEP_2)
	v_subrev_nc_u32_e32 v3, 28, v2
	v_sub_nc_u32_e32 v2, 29, v2
	v_lshlrev_b64 v[3:4], v3, v[134:135]
	s_delay_alu instid0(VALU_DEP_1)
	v_and_b32_e32 v134, 7, v3
; %bb.32:                               ;   in Loop: Header=BB273_11 Depth=1
	s_or_b32 exec_lo, exec_lo, s21
	v_lshlrev_b32_e32 v1, 24, v1
	s_delay_alu instid0(VALU_DEP_2) | instskip(SKIP_1) | instid1(VALU_DEP_3)
	v_lshlrev_b32_e32 v3, 20, v134
	v_lshl_add_u32 v2, v2, 23, 0x3c000000
	v_and_b32_e32 v1, 0x80000000, v1
	s_delay_alu instid0(VALU_DEP_1) | instskip(NEXT) | instid1(VALU_DEP_1)
	v_or3_b32 v134, v3, v1, v2
	v_dual_mov_b32 v161, v135 :: v_dual_mov_b32 v160, v134
.LBB273_33:                             ;   in Loop: Header=BB273_11 Depth=1
	s_or_b32 exec_lo, exec_lo, s20
.LBB273_34:                             ;   in Loop: Header=BB273_11 Depth=1
	s_delay_alu instid0(SALU_CYCLE_1)
	s_or_b32 exec_lo, exec_lo, s19
.LBB273_35:                             ;   in Loop: Header=BB273_11 Depth=1
	s_delay_alu instid0(SALU_CYCLE_1) | instskip(NEXT) | instid1(SALU_CYCLE_1)
	s_or_b32 exec_lo, exec_lo, s8
	s_mov_b32 s19, exec_lo
	v_cmpx_lt_u32_e32 0xffffff, v0
	s_cbranch_execz .LBB273_43
; %bb.36:                               ;   in Loop: Header=BB273_11 Depth=1
	v_lshrrev_b32_e32 v1, 24, v0
	v_dual_mov_b32 v163, s3 :: v_dual_mov_b32 v162, s2
	s_mov_b32 s20, exec_lo
	s_delay_alu instid0(VALU_DEP_2)
	v_cmpx_ne_u32_e32 0x80, v1
	s_cbranch_execz .LBB273_42
; %bb.37:                               ;   in Loop: Header=BB273_11 Depth=1
	s_mov_b32 s8, s2
	v_bfe_u32 v2, v0, 24, 7
	v_dual_mov_b32 v163, s9 :: v_dual_mov_b32 v162, s8
	s_mov_b32 s8, exec_lo
	s_delay_alu instid0(VALU_DEP_2)
	v_cmpx_ne_u32_e32 0x7f, v2
	s_cbranch_execz .LBB273_41
; %bb.38:                               ;   in Loop: Header=BB273_11 Depth=1
	v_and_b32_e32 v134, 7, v1
	v_lshrrev_b32_e32 v0, 3, v2
	s_mov_b32 s21, exec_lo
	v_cmpx_gt_u32_e32 8, v2
; %bb.39:                               ;   in Loop: Header=BB273_11 Depth=1
	s_delay_alu instid0(VALU_DEP_3) | instskip(NEXT) | instid1(VALU_DEP_1)
	v_clz_i32_u32_e32 v0, v134
	v_min_u32_e32 v0, 32, v0
	s_delay_alu instid0(VALU_DEP_1) | instskip(SKIP_1) | instid1(VALU_DEP_2)
	v_subrev_nc_u32_e32 v2, 28, v0
	v_sub_nc_u32_e32 v0, 29, v0
	v_lshlrev_b64 v[2:3], v2, v[134:135]
	s_delay_alu instid0(VALU_DEP_1)
	v_and_b32_e32 v134, 7, v2
; %bb.40:                               ;   in Loop: Header=BB273_11 Depth=1
	s_or_b32 exec_lo, exec_lo, s21
	v_dual_mov_b32 v162, v135 :: v_dual_lshlrev_b32 v1, 24, v1
	s_delay_alu instid0(VALU_DEP_2) | instskip(SKIP_1) | instid1(VALU_DEP_3)
	v_lshlrev_b32_e32 v2, 20, v134
	v_lshl_add_u32 v0, v0, 23, 0x3c000000
	v_and_b32_e32 v1, 0x80000000, v1
	s_delay_alu instid0(VALU_DEP_1)
	v_or3_b32 v163, v2, v1, v0
.LBB273_41:                             ;   in Loop: Header=BB273_11 Depth=1
	s_or_b32 exec_lo, exec_lo, s8
.LBB273_42:                             ;   in Loop: Header=BB273_11 Depth=1
	s_delay_alu instid0(SALU_CYCLE_1)
	s_or_b32 exec_lo, exec_lo, s20
.LBB273_43:                             ;   in Loop: Header=BB273_11 Depth=1
	s_delay_alu instid0(SALU_CYCLE_1) | instskip(SKIP_3) | instid1(VALU_DEP_2)
	s_or_b32 exec_lo, exec_lo, s19
	flat_load_b32 v0, v[180:181] offset:4
	v_mov_b32_e32 v166, 0
	v_mov_b32_e32 v167, 0
	;; [unrolled: 1-line block ×3, first 2 shown]
	s_mov_b32 s8, exec_lo
	s_delay_alu instid0(VALU_DEP_2) | instskip(SKIP_2) | instid1(VALU_DEP_1)
	v_mov_b32_e32 v165, v167
	s_waitcnt vmcnt(0) lgkmcnt(0)
	v_and_b32_e32 v1, 0xff, v0
	v_cmpx_ne_u16_e32 0, v1
	s_cbranch_execz .LBB273_51
; %bb.44:                               ;   in Loop: Header=BB273_11 Depth=1
	v_bfrev_b32_e32 v164, 1
	v_mov_b32_e32 v165, 0
	s_mov_b32 s19, exec_lo
	v_cmpx_ne_u16_e32 0x80, v1
	s_cbranch_execz .LBB273_50
; %bb.45:                               ;   in Loop: Header=BB273_11 Depth=1
	v_mov_b32_e32 v164, 0x7f800001
	v_dual_mov_b32 v165, 0 :: v_dual_and_b32 v2, 0x7f, v0
	s_mov_b32 s20, exec_lo
	s_delay_alu instid0(VALU_DEP_1)
	v_cmpx_ne_u32_e32 0x7f, v2
	s_cbranch_execz .LBB273_49
; %bb.46:                               ;   in Loop: Header=BB273_11 Depth=1
	v_and_b32_e32 v134, 7, v0
	v_lshrrev_b32_e32 v1, 3, v2
	s_mov_b32 s21, exec_lo
	v_cmpx_gt_u32_e32 8, v2
; %bb.47:                               ;   in Loop: Header=BB273_11 Depth=1
	s_delay_alu instid0(VALU_DEP_3) | instskip(NEXT) | instid1(VALU_DEP_1)
	v_clz_i32_u32_e32 v1, v134
	v_min_u32_e32 v1, 32, v1
	s_delay_alu instid0(VALU_DEP_1) | instskip(SKIP_1) | instid1(VALU_DEP_2)
	v_subrev_nc_u32_e32 v2, 28, v1
	v_sub_nc_u32_e32 v1, 29, v1
	v_lshlrev_b64 v[2:3], v2, v[134:135]
	s_delay_alu instid0(VALU_DEP_1)
	v_and_b32_e32 v134, 7, v2
; %bb.48:                               ;   in Loop: Header=BB273_11 Depth=1
	s_or_b32 exec_lo, exec_lo, s21
	v_lshlrev_b32_e32 v2, 24, v0
	s_delay_alu instid0(VALU_DEP_2) | instskip(SKIP_1) | instid1(VALU_DEP_3)
	v_lshlrev_b32_e32 v3, 20, v134
	v_lshl_add_u32 v1, v1, 23, 0x3c000000
	v_and_b32_e32 v2, 0x80000000, v2
	s_delay_alu instid0(VALU_DEP_1) | instskip(NEXT) | instid1(VALU_DEP_1)
	v_or3_b32 v134, v3, v2, v1
	v_dual_mov_b32 v165, v135 :: v_dual_mov_b32 v164, v134
.LBB273_49:                             ;   in Loop: Header=BB273_11 Depth=1
	s_or_b32 exec_lo, exec_lo, s20
.LBB273_50:                             ;   in Loop: Header=BB273_11 Depth=1
	s_delay_alu instid0(SALU_CYCLE_1)
	s_or_b32 exec_lo, exec_lo, s19
.LBB273_51:                             ;   in Loop: Header=BB273_11 Depth=1
	s_delay_alu instid0(SALU_CYCLE_1) | instskip(SKIP_2) | instid1(VALU_DEP_1)
	s_or_b32 exec_lo, exec_lo, s8
	v_lshrrev_b16 v1, 8, v0
	s_mov_b32 s19, exec_lo
	v_cmpx_ne_u16_e32 0, v1
	s_cbranch_execz .LBB273_59
; %bb.52:                               ;   in Loop: Header=BB273_11 Depth=1
	v_dual_mov_b32 v167, s3 :: v_dual_mov_b32 v166, s2
	s_mov_b32 s20, exec_lo
	v_cmpx_ne_u16_e32 0x80, v1
	s_cbranch_execz .LBB273_58
; %bb.53:                               ;   in Loop: Header=BB273_11 Depth=1
	s_mov_b32 s8, s2
	v_and_b32_e32 v1, 0xffff, v1
	v_dual_mov_b32 v167, s9 :: v_dual_mov_b32 v166, s8
	s_mov_b32 s8, exec_lo
	s_delay_alu instid0(VALU_DEP_2) | instskip(NEXT) | instid1(VALU_DEP_1)
	v_and_b32_e32 v2, 0x7f, v1
	v_cmpx_ne_u32_e32 0x7f, v2
	s_cbranch_execz .LBB273_57
; %bb.54:                               ;   in Loop: Header=BB273_11 Depth=1
	v_and_b32_e32 v134, 7, v1
	v_lshrrev_b32_e32 v1, 3, v2
	s_mov_b32 s21, exec_lo
	v_cmpx_gt_u32_e32 8, v2
; %bb.55:                               ;   in Loop: Header=BB273_11 Depth=1
	s_delay_alu instid0(VALU_DEP_3) | instskip(NEXT) | instid1(VALU_DEP_1)
	v_clz_i32_u32_e32 v1, v134
	v_min_u32_e32 v1, 32, v1
	s_delay_alu instid0(VALU_DEP_1) | instskip(SKIP_1) | instid1(VALU_DEP_2)
	v_subrev_nc_u32_e32 v2, 28, v1
	v_sub_nc_u32_e32 v1, 29, v1
	v_lshlrev_b64 v[2:3], v2, v[134:135]
	s_delay_alu instid0(VALU_DEP_1)
	v_and_b32_e32 v134, 7, v2
; %bb.56:                               ;   in Loop: Header=BB273_11 Depth=1
	s_or_b32 exec_lo, exec_lo, s21
	v_lshlrev_b32_e32 v2, 16, v0
	s_delay_alu instid0(VALU_DEP_2) | instskip(SKIP_1) | instid1(VALU_DEP_3)
	v_dual_mov_b32 v166, v135 :: v_dual_lshlrev_b32 v3, 20, v134
	v_lshl_add_u32 v1, v1, 23, 0x3c000000
	v_and_b32_e32 v2, 0x80000000, v2
	s_delay_alu instid0(VALU_DEP_1)
	v_or3_b32 v167, v3, v2, v1
.LBB273_57:                             ;   in Loop: Header=BB273_11 Depth=1
	s_or_b32 exec_lo, exec_lo, s8
.LBB273_58:                             ;   in Loop: Header=BB273_11 Depth=1
	s_delay_alu instid0(SALU_CYCLE_1)
	s_or_b32 exec_lo, exec_lo, s20
.LBB273_59:                             ;   in Loop: Header=BB273_11 Depth=1
	s_delay_alu instid0(SALU_CYCLE_1) | instskip(SKIP_4) | instid1(VALU_DEP_2)
	s_or_b32 exec_lo, exec_lo, s19
	v_mov_b32_e32 v178, 0
	v_lshrrev_b32_e32 v1, 16, v0
	v_mov_b32_e32 v179, 0
	s_mov_b32 s8, exec_lo
	v_and_b32_e32 v2, 0xff, v1
	s_delay_alu instid0(VALU_DEP_2) | instskip(NEXT) | instid1(VALU_DEP_2)
	v_dual_mov_b32 v176, v178 :: v_dual_mov_b32 v177, v179
	v_cmpx_ne_u16_e32 0, v2
	s_cbranch_execz .LBB273_67
; %bb.60:                               ;   in Loop: Header=BB273_11 Depth=1
	v_bfrev_b32_e32 v176, 1
	v_mov_b32_e32 v177, 0
	s_mov_b32 s19, exec_lo
	v_cmpx_ne_u16_e32 0x80, v2
	s_cbranch_execz .LBB273_66
; %bb.61:                               ;   in Loop: Header=BB273_11 Depth=1
	v_mov_b32_e32 v176, 0x7f800001
	v_bfe_u32 v3, v0, 16, 7
	v_mov_b32_e32 v177, 0
	s_mov_b32 s20, exec_lo
	s_delay_alu instid0(VALU_DEP_2)
	v_cmpx_ne_u32_e32 0x7f, v3
	s_cbranch_execz .LBB273_65
; %bb.62:                               ;   in Loop: Header=BB273_11 Depth=1
	v_and_b32_e32 v134, 7, v1
	v_lshrrev_b32_e32 v2, 3, v3
	s_mov_b32 s21, exec_lo
	v_cmpx_gt_u32_e32 8, v3
; %bb.63:                               ;   in Loop: Header=BB273_11 Depth=1
	s_delay_alu instid0(VALU_DEP_3) | instskip(NEXT) | instid1(VALU_DEP_1)
	v_clz_i32_u32_e32 v2, v134
	v_min_u32_e32 v2, 32, v2
	s_delay_alu instid0(VALU_DEP_1) | instskip(SKIP_1) | instid1(VALU_DEP_2)
	v_subrev_nc_u32_e32 v3, 28, v2
	v_sub_nc_u32_e32 v2, 29, v2
	v_lshlrev_b64 v[3:4], v3, v[134:135]
	s_delay_alu instid0(VALU_DEP_1)
	v_and_b32_e32 v134, 7, v3
; %bb.64:                               ;   in Loop: Header=BB273_11 Depth=1
	s_or_b32 exec_lo, exec_lo, s21
	v_lshlrev_b32_e32 v1, 24, v1
	s_delay_alu instid0(VALU_DEP_2) | instskip(SKIP_1) | instid1(VALU_DEP_3)
	v_lshlrev_b32_e32 v3, 20, v134
	v_lshl_add_u32 v2, v2, 23, 0x3c000000
	v_and_b32_e32 v1, 0x80000000, v1
	s_delay_alu instid0(VALU_DEP_1) | instskip(NEXT) | instid1(VALU_DEP_1)
	v_or3_b32 v134, v3, v1, v2
	v_dual_mov_b32 v177, v135 :: v_dual_mov_b32 v176, v134
.LBB273_65:                             ;   in Loop: Header=BB273_11 Depth=1
	s_or_b32 exec_lo, exec_lo, s20
.LBB273_66:                             ;   in Loop: Header=BB273_11 Depth=1
	s_delay_alu instid0(SALU_CYCLE_1)
	s_or_b32 exec_lo, exec_lo, s19
.LBB273_67:                             ;   in Loop: Header=BB273_11 Depth=1
	s_delay_alu instid0(SALU_CYCLE_1) | instskip(NEXT) | instid1(SALU_CYCLE_1)
	s_or_b32 exec_lo, exec_lo, s8
	s_mov_b32 s19, exec_lo
	v_cmpx_lt_u32_e32 0xffffff, v0
	s_cbranch_execz .LBB273_75
; %bb.68:                               ;   in Loop: Header=BB273_11 Depth=1
	v_lshrrev_b32_e32 v1, 24, v0
	v_dual_mov_b32 v179, s3 :: v_dual_mov_b32 v178, s2
	s_mov_b32 s20, exec_lo
	s_delay_alu instid0(VALU_DEP_2)
	v_cmpx_ne_u32_e32 0x80, v1
	s_cbranch_execz .LBB273_74
; %bb.69:                               ;   in Loop: Header=BB273_11 Depth=1
	s_mov_b32 s8, s2
	v_bfe_u32 v2, v0, 24, 7
	v_dual_mov_b32 v179, s9 :: v_dual_mov_b32 v178, s8
	s_mov_b32 s8, exec_lo
	s_delay_alu instid0(VALU_DEP_2)
	v_cmpx_ne_u32_e32 0x7f, v2
	s_cbranch_execz .LBB273_73
; %bb.70:                               ;   in Loop: Header=BB273_11 Depth=1
	v_and_b32_e32 v134, 7, v1
	v_lshrrev_b32_e32 v0, 3, v2
	s_mov_b32 s21, exec_lo
	v_cmpx_gt_u32_e32 8, v2
; %bb.71:                               ;   in Loop: Header=BB273_11 Depth=1
	s_delay_alu instid0(VALU_DEP_3) | instskip(NEXT) | instid1(VALU_DEP_1)
	v_clz_i32_u32_e32 v0, v134
	v_min_u32_e32 v0, 32, v0
	s_delay_alu instid0(VALU_DEP_1) | instskip(SKIP_1) | instid1(VALU_DEP_2)
	v_subrev_nc_u32_e32 v2, 28, v0
	v_sub_nc_u32_e32 v0, 29, v0
	v_lshlrev_b64 v[2:3], v2, v[134:135]
	s_delay_alu instid0(VALU_DEP_1)
	v_and_b32_e32 v134, 7, v2
; %bb.72:                               ;   in Loop: Header=BB273_11 Depth=1
	s_or_b32 exec_lo, exec_lo, s21
	v_dual_mov_b32 v178, v135 :: v_dual_lshlrev_b32 v1, 24, v1
	s_delay_alu instid0(VALU_DEP_2) | instskip(SKIP_1) | instid1(VALU_DEP_3)
	v_lshlrev_b32_e32 v2, 20, v134
	v_lshl_add_u32 v0, v0, 23, 0x3c000000
	v_and_b32_e32 v1, 0x80000000, v1
	s_delay_alu instid0(VALU_DEP_1)
	v_or3_b32 v179, v2, v1, v0
.LBB273_73:                             ;   in Loop: Header=BB273_11 Depth=1
	s_or_b32 exec_lo, exec_lo, s8
.LBB273_74:                             ;   in Loop: Header=BB273_11 Depth=1
	s_delay_alu instid0(SALU_CYCLE_1)
	s_or_b32 exec_lo, exec_lo, s20
.LBB273_75:                             ;   in Loop: Header=BB273_11 Depth=1
	s_delay_alu instid0(SALU_CYCLE_1) | instskip(SKIP_4) | instid1(VALU_DEP_1)
	s_or_b32 exec_lo, exec_lo, s19
	flat_load_b32 v0, v[180:181] offset:8
	v_mov_b32_e32 v40, 0
	v_mov_b32_e32 v41, 0
	s_mov_b32 s8, exec_lo
	v_dual_mov_b32 v183, v41 :: v_dual_mov_b32 v182, v40
	s_waitcnt vmcnt(0) lgkmcnt(0)
	v_and_b32_e32 v1, 0xff, v0
	s_delay_alu instid0(VALU_DEP_1)
	v_cmpx_ne_u16_e32 0, v1
	s_cbranch_execz .LBB273_83
; %bb.76:                               ;   in Loop: Header=BB273_11 Depth=1
	v_bfrev_b32_e32 v182, 1
	v_mov_b32_e32 v183, 0
	s_mov_b32 s19, exec_lo
	v_cmpx_ne_u16_e32 0x80, v1
	s_cbranch_execz .LBB273_82
; %bb.77:                               ;   in Loop: Header=BB273_11 Depth=1
	v_mov_b32_e32 v182, 0x7f800001
	v_dual_mov_b32 v183, 0 :: v_dual_and_b32 v2, 0x7f, v0
	s_mov_b32 s20, exec_lo
	s_delay_alu instid0(VALU_DEP_1)
	v_cmpx_ne_u32_e32 0x7f, v2
	s_cbranch_execz .LBB273_81
; %bb.78:                               ;   in Loop: Header=BB273_11 Depth=1
	v_and_b32_e32 v134, 7, v0
	v_lshrrev_b32_e32 v1, 3, v2
	s_mov_b32 s21, exec_lo
	v_cmpx_gt_u32_e32 8, v2
; %bb.79:                               ;   in Loop: Header=BB273_11 Depth=1
	s_delay_alu instid0(VALU_DEP_3) | instskip(NEXT) | instid1(VALU_DEP_1)
	v_clz_i32_u32_e32 v1, v134
	v_min_u32_e32 v1, 32, v1
	s_delay_alu instid0(VALU_DEP_1) | instskip(SKIP_1) | instid1(VALU_DEP_2)
	v_subrev_nc_u32_e32 v2, 28, v1
	v_sub_nc_u32_e32 v1, 29, v1
	v_lshlrev_b64 v[2:3], v2, v[134:135]
	s_delay_alu instid0(VALU_DEP_1)
	v_and_b32_e32 v134, 7, v2
; %bb.80:                               ;   in Loop: Header=BB273_11 Depth=1
	s_or_b32 exec_lo, exec_lo, s21
	v_lshlrev_b32_e32 v2, 24, v0
	s_delay_alu instid0(VALU_DEP_2) | instskip(SKIP_1) | instid1(VALU_DEP_3)
	v_lshlrev_b32_e32 v3, 20, v134
	v_lshl_add_u32 v1, v1, 23, 0x3c000000
	v_and_b32_e32 v2, 0x80000000, v2
	s_delay_alu instid0(VALU_DEP_1) | instskip(NEXT) | instid1(VALU_DEP_1)
	v_or3_b32 v134, v3, v2, v1
	v_dual_mov_b32 v183, v135 :: v_dual_mov_b32 v182, v134
.LBB273_81:                             ;   in Loop: Header=BB273_11 Depth=1
	s_or_b32 exec_lo, exec_lo, s20
.LBB273_82:                             ;   in Loop: Header=BB273_11 Depth=1
	s_delay_alu instid0(SALU_CYCLE_1)
	s_or_b32 exec_lo, exec_lo, s19
.LBB273_83:                             ;   in Loop: Header=BB273_11 Depth=1
	s_delay_alu instid0(SALU_CYCLE_1) | instskip(SKIP_2) | instid1(VALU_DEP_1)
	s_or_b32 exec_lo, exec_lo, s8
	v_lshrrev_b16 v1, 8, v0
	s_mov_b32 s19, exec_lo
	v_cmpx_ne_u16_e32 0, v1
	s_cbranch_execz .LBB273_91
; %bb.84:                               ;   in Loop: Header=BB273_11 Depth=1
	v_dual_mov_b32 v41, s3 :: v_dual_mov_b32 v40, s2
	s_mov_b32 s20, exec_lo
	v_cmpx_ne_u16_e32 0x80, v1
	s_cbranch_execz .LBB273_90
; %bb.85:                               ;   in Loop: Header=BB273_11 Depth=1
	s_mov_b32 s8, s2
	v_and_b32_e32 v1, 0xffff, v1
	v_dual_mov_b32 v41, s9 :: v_dual_mov_b32 v40, s8
	s_mov_b32 s8, exec_lo
	s_delay_alu instid0(VALU_DEP_2) | instskip(NEXT) | instid1(VALU_DEP_1)
	v_and_b32_e32 v2, 0x7f, v1
	v_cmpx_ne_u32_e32 0x7f, v2
	s_cbranch_execz .LBB273_89
; %bb.86:                               ;   in Loop: Header=BB273_11 Depth=1
	v_and_b32_e32 v134, 7, v1
	v_lshrrev_b32_e32 v1, 3, v2
	s_mov_b32 s21, exec_lo
	v_cmpx_gt_u32_e32 8, v2
; %bb.87:                               ;   in Loop: Header=BB273_11 Depth=1
	s_delay_alu instid0(VALU_DEP_3) | instskip(NEXT) | instid1(VALU_DEP_1)
	v_clz_i32_u32_e32 v1, v134
	v_min_u32_e32 v1, 32, v1
	s_delay_alu instid0(VALU_DEP_1) | instskip(SKIP_1) | instid1(VALU_DEP_2)
	v_subrev_nc_u32_e32 v2, 28, v1
	v_sub_nc_u32_e32 v1, 29, v1
	v_lshlrev_b64 v[2:3], v2, v[134:135]
	s_delay_alu instid0(VALU_DEP_1)
	v_and_b32_e32 v134, 7, v2
; %bb.88:                               ;   in Loop: Header=BB273_11 Depth=1
	s_or_b32 exec_lo, exec_lo, s21
	v_lshlrev_b32_e32 v2, 16, v0
	s_delay_alu instid0(VALU_DEP_2) | instskip(SKIP_1) | instid1(VALU_DEP_3)
	v_dual_mov_b32 v40, v135 :: v_dual_lshlrev_b32 v3, 20, v134
	v_lshl_add_u32 v1, v1, 23, 0x3c000000
	v_and_b32_e32 v2, 0x80000000, v2
	s_delay_alu instid0(VALU_DEP_1)
	v_or3_b32 v41, v3, v2, v1
.LBB273_89:                             ;   in Loop: Header=BB273_11 Depth=1
	s_or_b32 exec_lo, exec_lo, s8
.LBB273_90:                             ;   in Loop: Header=BB273_11 Depth=1
	s_delay_alu instid0(SALU_CYCLE_1)
	s_or_b32 exec_lo, exec_lo, s20
.LBB273_91:                             ;   in Loop: Header=BB273_11 Depth=1
	s_delay_alu instid0(SALU_CYCLE_1) | instskip(SKIP_4) | instid1(VALU_DEP_2)
	s_or_b32 exec_lo, exec_lo, s19
	v_mov_b32_e32 v44, 0
	v_lshrrev_b32_e32 v1, 16, v0
	v_mov_b32_e32 v45, 0
	s_mov_b32 s8, exec_lo
	v_and_b32_e32 v2, 0xff, v1
	s_delay_alu instid0(VALU_DEP_2) | instskip(NEXT) | instid1(VALU_DEP_2)
	v_dual_mov_b32 v42, v44 :: v_dual_mov_b32 v43, v45
	v_cmpx_ne_u16_e32 0, v2
	s_cbranch_execz .LBB273_99
; %bb.92:                               ;   in Loop: Header=BB273_11 Depth=1
	v_bfrev_b32_e32 v42, 1
	v_mov_b32_e32 v43, 0
	s_mov_b32 s19, exec_lo
	v_cmpx_ne_u16_e32 0x80, v2
	s_cbranch_execz .LBB273_98
; %bb.93:                               ;   in Loop: Header=BB273_11 Depth=1
	v_mov_b32_e32 v42, 0x7f800001
	v_bfe_u32 v3, v0, 16, 7
	v_mov_b32_e32 v43, 0
	s_mov_b32 s20, exec_lo
	s_delay_alu instid0(VALU_DEP_2)
	v_cmpx_ne_u32_e32 0x7f, v3
	s_cbranch_execz .LBB273_97
; %bb.94:                               ;   in Loop: Header=BB273_11 Depth=1
	v_and_b32_e32 v134, 7, v1
	v_lshrrev_b32_e32 v2, 3, v3
	s_mov_b32 s21, exec_lo
	v_cmpx_gt_u32_e32 8, v3
; %bb.95:                               ;   in Loop: Header=BB273_11 Depth=1
	s_delay_alu instid0(VALU_DEP_3) | instskip(NEXT) | instid1(VALU_DEP_1)
	v_clz_i32_u32_e32 v2, v134
	v_min_u32_e32 v2, 32, v2
	s_delay_alu instid0(VALU_DEP_1) | instskip(SKIP_1) | instid1(VALU_DEP_2)
	v_subrev_nc_u32_e32 v3, 28, v2
	v_sub_nc_u32_e32 v2, 29, v2
	v_lshlrev_b64 v[3:4], v3, v[134:135]
	s_delay_alu instid0(VALU_DEP_1)
	v_and_b32_e32 v134, 7, v3
; %bb.96:                               ;   in Loop: Header=BB273_11 Depth=1
	s_or_b32 exec_lo, exec_lo, s21
	v_lshlrev_b32_e32 v1, 24, v1
	s_delay_alu instid0(VALU_DEP_2) | instskip(SKIP_1) | instid1(VALU_DEP_3)
	v_lshlrev_b32_e32 v3, 20, v134
	v_lshl_add_u32 v2, v2, 23, 0x3c000000
	v_and_b32_e32 v1, 0x80000000, v1
	s_delay_alu instid0(VALU_DEP_1) | instskip(NEXT) | instid1(VALU_DEP_1)
	v_or3_b32 v134, v3, v1, v2
	v_dual_mov_b32 v42, v134 :: v_dual_mov_b32 v43, v135
.LBB273_97:                             ;   in Loop: Header=BB273_11 Depth=1
	s_or_b32 exec_lo, exec_lo, s20
.LBB273_98:                             ;   in Loop: Header=BB273_11 Depth=1
	s_delay_alu instid0(SALU_CYCLE_1)
	s_or_b32 exec_lo, exec_lo, s19
.LBB273_99:                             ;   in Loop: Header=BB273_11 Depth=1
	s_delay_alu instid0(SALU_CYCLE_1) | instskip(NEXT) | instid1(SALU_CYCLE_1)
	s_or_b32 exec_lo, exec_lo, s8
	s_mov_b32 s19, exec_lo
	v_cmpx_lt_u32_e32 0xffffff, v0
	s_cbranch_execz .LBB273_107
; %bb.100:                              ;   in Loop: Header=BB273_11 Depth=1
	v_lshrrev_b32_e32 v1, 24, v0
	v_dual_mov_b32 v45, s3 :: v_dual_mov_b32 v44, s2
	s_mov_b32 s20, exec_lo
	s_delay_alu instid0(VALU_DEP_2)
	v_cmpx_ne_u32_e32 0x80, v1
	s_cbranch_execz .LBB273_106
; %bb.101:                              ;   in Loop: Header=BB273_11 Depth=1
	s_mov_b32 s8, s2
	v_bfe_u32 v2, v0, 24, 7
	v_dual_mov_b32 v45, s9 :: v_dual_mov_b32 v44, s8
	s_mov_b32 s8, exec_lo
	s_delay_alu instid0(VALU_DEP_2)
	v_cmpx_ne_u32_e32 0x7f, v2
	s_cbranch_execz .LBB273_105
; %bb.102:                              ;   in Loop: Header=BB273_11 Depth=1
	v_and_b32_e32 v134, 7, v1
	v_lshrrev_b32_e32 v0, 3, v2
	s_mov_b32 s21, exec_lo
	v_cmpx_gt_u32_e32 8, v2
; %bb.103:                              ;   in Loop: Header=BB273_11 Depth=1
	s_delay_alu instid0(VALU_DEP_3) | instskip(NEXT) | instid1(VALU_DEP_1)
	v_clz_i32_u32_e32 v0, v134
	v_min_u32_e32 v0, 32, v0
	s_delay_alu instid0(VALU_DEP_1) | instskip(SKIP_1) | instid1(VALU_DEP_2)
	v_subrev_nc_u32_e32 v2, 28, v0
	v_sub_nc_u32_e32 v0, 29, v0
	v_lshlrev_b64 v[2:3], v2, v[134:135]
	s_delay_alu instid0(VALU_DEP_1)
	v_and_b32_e32 v134, 7, v2
; %bb.104:                              ;   in Loop: Header=BB273_11 Depth=1
	s_or_b32 exec_lo, exec_lo, s21
	v_dual_mov_b32 v44, v135 :: v_dual_lshlrev_b32 v1, 24, v1
	s_delay_alu instid0(VALU_DEP_2) | instskip(SKIP_1) | instid1(VALU_DEP_3)
	v_lshlrev_b32_e32 v2, 20, v134
	v_lshl_add_u32 v0, v0, 23, 0x3c000000
	v_and_b32_e32 v1, 0x80000000, v1
	s_delay_alu instid0(VALU_DEP_1)
	v_or3_b32 v45, v2, v1, v0
.LBB273_105:                            ;   in Loop: Header=BB273_11 Depth=1
	s_or_b32 exec_lo, exec_lo, s8
.LBB273_106:                            ;   in Loop: Header=BB273_11 Depth=1
	s_delay_alu instid0(SALU_CYCLE_1)
	s_or_b32 exec_lo, exec_lo, s20
.LBB273_107:                            ;   in Loop: Header=BB273_11 Depth=1
	s_delay_alu instid0(SALU_CYCLE_1) | instskip(SKIP_3) | instid1(VALU_DEP_2)
	s_or_b32 exec_lo, exec_lo, s19
	flat_load_b32 v0, v[180:181] offset:12
	v_mov_b32_e32 v56, 0
	v_mov_b32_e32 v57, 0
	;; [unrolled: 1-line block ×3, first 2 shown]
	s_mov_b32 s8, exec_lo
	s_delay_alu instid0(VALU_DEP_2) | instskip(SKIP_2) | instid1(VALU_DEP_1)
	v_mov_b32_e32 v47, v57
	s_waitcnt vmcnt(0) lgkmcnt(0)
	v_and_b32_e32 v1, 0xff, v0
	v_cmpx_ne_u16_e32 0, v1
	s_cbranch_execz .LBB273_115
; %bb.108:                              ;   in Loop: Header=BB273_11 Depth=1
	v_bfrev_b32_e32 v46, 1
	v_mov_b32_e32 v47, 0
	s_mov_b32 s19, exec_lo
	v_cmpx_ne_u16_e32 0x80, v1
	s_cbranch_execz .LBB273_114
; %bb.109:                              ;   in Loop: Header=BB273_11 Depth=1
	v_mov_b32_e32 v46, 0x7f800001
	v_dual_mov_b32 v47, 0 :: v_dual_and_b32 v2, 0x7f, v0
	s_mov_b32 s20, exec_lo
	s_delay_alu instid0(VALU_DEP_1)
	v_cmpx_ne_u32_e32 0x7f, v2
	s_cbranch_execz .LBB273_113
; %bb.110:                              ;   in Loop: Header=BB273_11 Depth=1
	v_and_b32_e32 v134, 7, v0
	v_lshrrev_b32_e32 v1, 3, v2
	s_mov_b32 s21, exec_lo
	v_cmpx_gt_u32_e32 8, v2
; %bb.111:                              ;   in Loop: Header=BB273_11 Depth=1
	s_delay_alu instid0(VALU_DEP_3) | instskip(NEXT) | instid1(VALU_DEP_1)
	v_clz_i32_u32_e32 v1, v134
	v_min_u32_e32 v1, 32, v1
	s_delay_alu instid0(VALU_DEP_1) | instskip(SKIP_1) | instid1(VALU_DEP_2)
	v_subrev_nc_u32_e32 v2, 28, v1
	v_sub_nc_u32_e32 v1, 29, v1
	v_lshlrev_b64 v[2:3], v2, v[134:135]
	s_delay_alu instid0(VALU_DEP_1)
	v_and_b32_e32 v134, 7, v2
; %bb.112:                              ;   in Loop: Header=BB273_11 Depth=1
	s_or_b32 exec_lo, exec_lo, s21
	v_lshlrev_b32_e32 v2, 24, v0
	s_delay_alu instid0(VALU_DEP_2) | instskip(SKIP_1) | instid1(VALU_DEP_3)
	v_lshlrev_b32_e32 v3, 20, v134
	v_lshl_add_u32 v1, v1, 23, 0x3c000000
	v_and_b32_e32 v2, 0x80000000, v2
	s_delay_alu instid0(VALU_DEP_1) | instskip(NEXT) | instid1(VALU_DEP_1)
	v_or3_b32 v134, v3, v2, v1
	v_dual_mov_b32 v46, v134 :: v_dual_mov_b32 v47, v135
.LBB273_113:                            ;   in Loop: Header=BB273_11 Depth=1
	s_or_b32 exec_lo, exec_lo, s20
.LBB273_114:                            ;   in Loop: Header=BB273_11 Depth=1
	s_delay_alu instid0(SALU_CYCLE_1)
	s_or_b32 exec_lo, exec_lo, s19
.LBB273_115:                            ;   in Loop: Header=BB273_11 Depth=1
	s_delay_alu instid0(SALU_CYCLE_1) | instskip(SKIP_2) | instid1(VALU_DEP_1)
	s_or_b32 exec_lo, exec_lo, s8
	v_lshrrev_b16 v1, 8, v0
	s_mov_b32 s19, exec_lo
	v_cmpx_ne_u16_e32 0, v1
	s_cbranch_execz .LBB273_123
; %bb.116:                              ;   in Loop: Header=BB273_11 Depth=1
	v_dual_mov_b32 v57, s3 :: v_dual_mov_b32 v56, s2
	s_mov_b32 s20, exec_lo
	v_cmpx_ne_u16_e32 0x80, v1
	s_cbranch_execz .LBB273_122
; %bb.117:                              ;   in Loop: Header=BB273_11 Depth=1
	s_mov_b32 s8, s2
	v_and_b32_e32 v1, 0xffff, v1
	v_dual_mov_b32 v57, s9 :: v_dual_mov_b32 v56, s8
	s_mov_b32 s8, exec_lo
	s_delay_alu instid0(VALU_DEP_2) | instskip(NEXT) | instid1(VALU_DEP_1)
	v_and_b32_e32 v2, 0x7f, v1
	v_cmpx_ne_u32_e32 0x7f, v2
	s_cbranch_execz .LBB273_121
; %bb.118:                              ;   in Loop: Header=BB273_11 Depth=1
	v_and_b32_e32 v134, 7, v1
	v_lshrrev_b32_e32 v1, 3, v2
	s_mov_b32 s21, exec_lo
	v_cmpx_gt_u32_e32 8, v2
; %bb.119:                              ;   in Loop: Header=BB273_11 Depth=1
	s_delay_alu instid0(VALU_DEP_3) | instskip(NEXT) | instid1(VALU_DEP_1)
	v_clz_i32_u32_e32 v1, v134
	v_min_u32_e32 v1, 32, v1
	s_delay_alu instid0(VALU_DEP_1) | instskip(SKIP_1) | instid1(VALU_DEP_2)
	v_subrev_nc_u32_e32 v2, 28, v1
	v_sub_nc_u32_e32 v1, 29, v1
	v_lshlrev_b64 v[2:3], v2, v[134:135]
	s_delay_alu instid0(VALU_DEP_1)
	v_and_b32_e32 v134, 7, v2
; %bb.120:                              ;   in Loop: Header=BB273_11 Depth=1
	s_or_b32 exec_lo, exec_lo, s21
	v_lshlrev_b32_e32 v2, 16, v0
	s_delay_alu instid0(VALU_DEP_2) | instskip(SKIP_1) | instid1(VALU_DEP_3)
	v_dual_mov_b32 v56, v135 :: v_dual_lshlrev_b32 v3, 20, v134
	v_lshl_add_u32 v1, v1, 23, 0x3c000000
	v_and_b32_e32 v2, 0x80000000, v2
	s_delay_alu instid0(VALU_DEP_1)
	v_or3_b32 v57, v3, v2, v1
.LBB273_121:                            ;   in Loop: Header=BB273_11 Depth=1
	s_or_b32 exec_lo, exec_lo, s8
.LBB273_122:                            ;   in Loop: Header=BB273_11 Depth=1
	s_delay_alu instid0(SALU_CYCLE_1)
	s_or_b32 exec_lo, exec_lo, s20
.LBB273_123:                            ;   in Loop: Header=BB273_11 Depth=1
	s_delay_alu instid0(SALU_CYCLE_1) | instskip(SKIP_4) | instid1(VALU_DEP_2)
	s_or_b32 exec_lo, exec_lo, s19
	v_mov_b32_e32 v60, 0
	v_lshrrev_b32_e32 v1, 16, v0
	v_mov_b32_e32 v61, 0
	s_mov_b32 s8, exec_lo
	v_and_b32_e32 v2, 0xff, v1
	s_delay_alu instid0(VALU_DEP_2) | instskip(NEXT) | instid1(VALU_DEP_2)
	v_dual_mov_b32 v58, v60 :: v_dual_mov_b32 v59, v61
	v_cmpx_ne_u16_e32 0, v2
	s_cbranch_execz .LBB273_131
; %bb.124:                              ;   in Loop: Header=BB273_11 Depth=1
	v_bfrev_b32_e32 v58, 1
	v_mov_b32_e32 v59, 0
	s_mov_b32 s19, exec_lo
	v_cmpx_ne_u16_e32 0x80, v2
	s_cbranch_execz .LBB273_130
; %bb.125:                              ;   in Loop: Header=BB273_11 Depth=1
	v_mov_b32_e32 v58, 0x7f800001
	v_bfe_u32 v3, v0, 16, 7
	v_mov_b32_e32 v59, 0
	s_mov_b32 s20, exec_lo
	s_delay_alu instid0(VALU_DEP_2)
	v_cmpx_ne_u32_e32 0x7f, v3
	s_cbranch_execz .LBB273_129
; %bb.126:                              ;   in Loop: Header=BB273_11 Depth=1
	v_and_b32_e32 v134, 7, v1
	v_lshrrev_b32_e32 v2, 3, v3
	s_mov_b32 s21, exec_lo
	v_cmpx_gt_u32_e32 8, v3
; %bb.127:                              ;   in Loop: Header=BB273_11 Depth=1
	s_delay_alu instid0(VALU_DEP_3) | instskip(NEXT) | instid1(VALU_DEP_1)
	v_clz_i32_u32_e32 v2, v134
	v_min_u32_e32 v2, 32, v2
	s_delay_alu instid0(VALU_DEP_1) | instskip(SKIP_1) | instid1(VALU_DEP_2)
	v_subrev_nc_u32_e32 v3, 28, v2
	v_sub_nc_u32_e32 v2, 29, v2
	v_lshlrev_b64 v[3:4], v3, v[134:135]
	s_delay_alu instid0(VALU_DEP_1)
	v_and_b32_e32 v134, 7, v3
; %bb.128:                              ;   in Loop: Header=BB273_11 Depth=1
	s_or_b32 exec_lo, exec_lo, s21
	v_lshlrev_b32_e32 v1, 24, v1
	s_delay_alu instid0(VALU_DEP_2) | instskip(SKIP_1) | instid1(VALU_DEP_3)
	v_lshlrev_b32_e32 v3, 20, v134
	v_lshl_add_u32 v2, v2, 23, 0x3c000000
	v_and_b32_e32 v1, 0x80000000, v1
	s_delay_alu instid0(VALU_DEP_1) | instskip(NEXT) | instid1(VALU_DEP_1)
	v_or3_b32 v134, v3, v1, v2
	v_dual_mov_b32 v58, v134 :: v_dual_mov_b32 v59, v135
.LBB273_129:                            ;   in Loop: Header=BB273_11 Depth=1
	s_or_b32 exec_lo, exec_lo, s20
.LBB273_130:                            ;   in Loop: Header=BB273_11 Depth=1
	s_delay_alu instid0(SALU_CYCLE_1)
	s_or_b32 exec_lo, exec_lo, s19
.LBB273_131:                            ;   in Loop: Header=BB273_11 Depth=1
	s_delay_alu instid0(SALU_CYCLE_1) | instskip(NEXT) | instid1(SALU_CYCLE_1)
	s_or_b32 exec_lo, exec_lo, s8
	s_mov_b32 s19, exec_lo
	v_cmpx_lt_u32_e32 0xffffff, v0
	s_cbranch_execz .LBB273_139
; %bb.132:                              ;   in Loop: Header=BB273_11 Depth=1
	v_lshrrev_b32_e32 v1, 24, v0
	v_dual_mov_b32 v61, s3 :: v_dual_mov_b32 v60, s2
	s_mov_b32 s20, exec_lo
	s_delay_alu instid0(VALU_DEP_2)
	v_cmpx_ne_u32_e32 0x80, v1
	s_cbranch_execz .LBB273_138
; %bb.133:                              ;   in Loop: Header=BB273_11 Depth=1
	s_mov_b32 s8, s2
	v_bfe_u32 v2, v0, 24, 7
	v_dual_mov_b32 v61, s9 :: v_dual_mov_b32 v60, s8
	s_mov_b32 s8, exec_lo
	s_delay_alu instid0(VALU_DEP_2)
	v_cmpx_ne_u32_e32 0x7f, v2
	s_cbranch_execz .LBB273_137
; %bb.134:                              ;   in Loop: Header=BB273_11 Depth=1
	v_and_b32_e32 v134, 7, v1
	v_lshrrev_b32_e32 v0, 3, v2
	s_mov_b32 s21, exec_lo
	v_cmpx_gt_u32_e32 8, v2
; %bb.135:                              ;   in Loop: Header=BB273_11 Depth=1
	s_delay_alu instid0(VALU_DEP_3) | instskip(NEXT) | instid1(VALU_DEP_1)
	v_clz_i32_u32_e32 v0, v134
	v_min_u32_e32 v0, 32, v0
	s_delay_alu instid0(VALU_DEP_1) | instskip(SKIP_1) | instid1(VALU_DEP_2)
	v_subrev_nc_u32_e32 v2, 28, v0
	v_sub_nc_u32_e32 v0, 29, v0
	v_lshlrev_b64 v[2:3], v2, v[134:135]
	s_delay_alu instid0(VALU_DEP_1)
	v_and_b32_e32 v134, 7, v2
; %bb.136:                              ;   in Loop: Header=BB273_11 Depth=1
	s_or_b32 exec_lo, exec_lo, s21
	v_dual_mov_b32 v60, v135 :: v_dual_lshlrev_b32 v1, 24, v1
	s_delay_alu instid0(VALU_DEP_2) | instskip(SKIP_1) | instid1(VALU_DEP_3)
	v_lshlrev_b32_e32 v2, 20, v134
	v_lshl_add_u32 v0, v0, 23, 0x3c000000
	v_and_b32_e32 v1, 0x80000000, v1
	s_delay_alu instid0(VALU_DEP_1)
	v_or3_b32 v61, v2, v1, v0
.LBB273_137:                            ;   in Loop: Header=BB273_11 Depth=1
	s_or_b32 exec_lo, exec_lo, s8
.LBB273_138:                            ;   in Loop: Header=BB273_11 Depth=1
	s_delay_alu instid0(SALU_CYCLE_1)
	s_or_b32 exec_lo, exec_lo, s20
.LBB273_139:                            ;   in Loop: Header=BB273_11 Depth=1
	s_delay_alu instid0(SALU_CYCLE_1) | instskip(SKIP_3) | instid1(VALU_DEP_2)
	s_or_b32 exec_lo, exec_lo, s19
	flat_load_b32 v0, v[180:181] offset:512
	v_mov_b32_e32 v72, 0
	v_mov_b32_e32 v73, 0
	;; [unrolled: 1-line block ×3, first 2 shown]
	s_mov_b32 s8, exec_lo
	s_delay_alu instid0(VALU_DEP_2) | instskip(SKIP_2) | instid1(VALU_DEP_1)
	v_mov_b32_e32 v63, v73
	s_waitcnt vmcnt(0) lgkmcnt(0)
	v_and_b32_e32 v1, 0xff, v0
	v_cmpx_ne_u16_e32 0, v1
	s_cbranch_execz .LBB273_147
; %bb.140:                              ;   in Loop: Header=BB273_11 Depth=1
	v_bfrev_b32_e32 v62, 1
	v_mov_b32_e32 v63, 0
	s_mov_b32 s19, exec_lo
	v_cmpx_ne_u16_e32 0x80, v1
	s_cbranch_execz .LBB273_146
; %bb.141:                              ;   in Loop: Header=BB273_11 Depth=1
	v_mov_b32_e32 v62, 0x7f800001
	v_dual_mov_b32 v63, 0 :: v_dual_and_b32 v2, 0x7f, v0
	s_mov_b32 s20, exec_lo
	s_delay_alu instid0(VALU_DEP_1)
	v_cmpx_ne_u32_e32 0x7f, v2
	s_cbranch_execz .LBB273_145
; %bb.142:                              ;   in Loop: Header=BB273_11 Depth=1
	v_and_b32_e32 v134, 7, v0
	v_lshrrev_b32_e32 v1, 3, v2
	s_mov_b32 s21, exec_lo
	v_cmpx_gt_u32_e32 8, v2
; %bb.143:                              ;   in Loop: Header=BB273_11 Depth=1
	s_delay_alu instid0(VALU_DEP_3) | instskip(NEXT) | instid1(VALU_DEP_1)
	v_clz_i32_u32_e32 v1, v134
	v_min_u32_e32 v1, 32, v1
	s_delay_alu instid0(VALU_DEP_1) | instskip(SKIP_1) | instid1(VALU_DEP_2)
	v_subrev_nc_u32_e32 v2, 28, v1
	v_sub_nc_u32_e32 v1, 29, v1
	v_lshlrev_b64 v[2:3], v2, v[134:135]
	s_delay_alu instid0(VALU_DEP_1)
	v_and_b32_e32 v134, 7, v2
; %bb.144:                              ;   in Loop: Header=BB273_11 Depth=1
	s_or_b32 exec_lo, exec_lo, s21
	v_lshlrev_b32_e32 v2, 24, v0
	s_delay_alu instid0(VALU_DEP_2) | instskip(SKIP_1) | instid1(VALU_DEP_3)
	v_lshlrev_b32_e32 v3, 20, v134
	v_lshl_add_u32 v1, v1, 23, 0x3c000000
	v_and_b32_e32 v2, 0x80000000, v2
	s_delay_alu instid0(VALU_DEP_1) | instskip(NEXT) | instid1(VALU_DEP_1)
	v_or3_b32 v134, v3, v2, v1
	v_dual_mov_b32 v62, v134 :: v_dual_mov_b32 v63, v135
.LBB273_145:                            ;   in Loop: Header=BB273_11 Depth=1
	s_or_b32 exec_lo, exec_lo, s20
.LBB273_146:                            ;   in Loop: Header=BB273_11 Depth=1
	s_delay_alu instid0(SALU_CYCLE_1)
	s_or_b32 exec_lo, exec_lo, s19
.LBB273_147:                            ;   in Loop: Header=BB273_11 Depth=1
	s_delay_alu instid0(SALU_CYCLE_1) | instskip(SKIP_2) | instid1(VALU_DEP_1)
	s_or_b32 exec_lo, exec_lo, s8
	v_lshrrev_b16 v1, 8, v0
	s_mov_b32 s19, exec_lo
	v_cmpx_ne_u16_e32 0, v1
	s_cbranch_execz .LBB273_155
; %bb.148:                              ;   in Loop: Header=BB273_11 Depth=1
	v_dual_mov_b32 v73, s3 :: v_dual_mov_b32 v72, s2
	s_mov_b32 s20, exec_lo
	v_cmpx_ne_u16_e32 0x80, v1
	s_cbranch_execz .LBB273_154
; %bb.149:                              ;   in Loop: Header=BB273_11 Depth=1
	s_mov_b32 s8, s2
	v_and_b32_e32 v1, 0xffff, v1
	v_dual_mov_b32 v73, s9 :: v_dual_mov_b32 v72, s8
	s_mov_b32 s8, exec_lo
	s_delay_alu instid0(VALU_DEP_2) | instskip(NEXT) | instid1(VALU_DEP_1)
	v_and_b32_e32 v2, 0x7f, v1
	v_cmpx_ne_u32_e32 0x7f, v2
	s_cbranch_execz .LBB273_153
; %bb.150:                              ;   in Loop: Header=BB273_11 Depth=1
	v_and_b32_e32 v134, 7, v1
	v_lshrrev_b32_e32 v1, 3, v2
	s_mov_b32 s21, exec_lo
	v_cmpx_gt_u32_e32 8, v2
; %bb.151:                              ;   in Loop: Header=BB273_11 Depth=1
	s_delay_alu instid0(VALU_DEP_3) | instskip(NEXT) | instid1(VALU_DEP_1)
	v_clz_i32_u32_e32 v1, v134
	v_min_u32_e32 v1, 32, v1
	s_delay_alu instid0(VALU_DEP_1) | instskip(SKIP_1) | instid1(VALU_DEP_2)
	v_subrev_nc_u32_e32 v2, 28, v1
	v_sub_nc_u32_e32 v1, 29, v1
	v_lshlrev_b64 v[2:3], v2, v[134:135]
	s_delay_alu instid0(VALU_DEP_1)
	v_and_b32_e32 v134, 7, v2
; %bb.152:                              ;   in Loop: Header=BB273_11 Depth=1
	s_or_b32 exec_lo, exec_lo, s21
	v_lshlrev_b32_e32 v2, 16, v0
	s_delay_alu instid0(VALU_DEP_2) | instskip(SKIP_1) | instid1(VALU_DEP_3)
	v_dual_mov_b32 v72, v135 :: v_dual_lshlrev_b32 v3, 20, v134
	v_lshl_add_u32 v1, v1, 23, 0x3c000000
	v_and_b32_e32 v2, 0x80000000, v2
	s_delay_alu instid0(VALU_DEP_1)
	v_or3_b32 v73, v3, v2, v1
.LBB273_153:                            ;   in Loop: Header=BB273_11 Depth=1
	s_or_b32 exec_lo, exec_lo, s8
.LBB273_154:                            ;   in Loop: Header=BB273_11 Depth=1
	s_delay_alu instid0(SALU_CYCLE_1)
	s_or_b32 exec_lo, exec_lo, s20
.LBB273_155:                            ;   in Loop: Header=BB273_11 Depth=1
	s_delay_alu instid0(SALU_CYCLE_1) | instskip(SKIP_4) | instid1(VALU_DEP_2)
	s_or_b32 exec_lo, exec_lo, s19
	v_mov_b32_e32 v76, 0
	v_lshrrev_b32_e32 v1, 16, v0
	v_mov_b32_e32 v77, 0
	s_mov_b32 s8, exec_lo
	v_and_b32_e32 v2, 0xff, v1
	s_delay_alu instid0(VALU_DEP_2) | instskip(NEXT) | instid1(VALU_DEP_2)
	v_dual_mov_b32 v74, v76 :: v_dual_mov_b32 v75, v77
	v_cmpx_ne_u16_e32 0, v2
	s_cbranch_execz .LBB273_163
; %bb.156:                              ;   in Loop: Header=BB273_11 Depth=1
	v_bfrev_b32_e32 v74, 1
	v_mov_b32_e32 v75, 0
	s_mov_b32 s19, exec_lo
	v_cmpx_ne_u16_e32 0x80, v2
	s_cbranch_execz .LBB273_162
; %bb.157:                              ;   in Loop: Header=BB273_11 Depth=1
	v_mov_b32_e32 v74, 0x7f800001
	v_bfe_u32 v3, v0, 16, 7
	v_mov_b32_e32 v75, 0
	s_mov_b32 s20, exec_lo
	s_delay_alu instid0(VALU_DEP_2)
	v_cmpx_ne_u32_e32 0x7f, v3
	s_cbranch_execz .LBB273_161
; %bb.158:                              ;   in Loop: Header=BB273_11 Depth=1
	v_and_b32_e32 v134, 7, v1
	v_lshrrev_b32_e32 v2, 3, v3
	s_mov_b32 s21, exec_lo
	v_cmpx_gt_u32_e32 8, v3
; %bb.159:                              ;   in Loop: Header=BB273_11 Depth=1
	s_delay_alu instid0(VALU_DEP_3) | instskip(NEXT) | instid1(VALU_DEP_1)
	v_clz_i32_u32_e32 v2, v134
	v_min_u32_e32 v2, 32, v2
	s_delay_alu instid0(VALU_DEP_1) | instskip(SKIP_1) | instid1(VALU_DEP_2)
	v_subrev_nc_u32_e32 v3, 28, v2
	v_sub_nc_u32_e32 v2, 29, v2
	v_lshlrev_b64 v[3:4], v3, v[134:135]
	s_delay_alu instid0(VALU_DEP_1)
	v_and_b32_e32 v134, 7, v3
; %bb.160:                              ;   in Loop: Header=BB273_11 Depth=1
	s_or_b32 exec_lo, exec_lo, s21
	v_lshlrev_b32_e32 v1, 24, v1
	s_delay_alu instid0(VALU_DEP_2) | instskip(SKIP_1) | instid1(VALU_DEP_3)
	v_lshlrev_b32_e32 v3, 20, v134
	v_lshl_add_u32 v2, v2, 23, 0x3c000000
	v_and_b32_e32 v1, 0x80000000, v1
	s_delay_alu instid0(VALU_DEP_1) | instskip(NEXT) | instid1(VALU_DEP_1)
	v_or3_b32 v134, v3, v1, v2
	v_dual_mov_b32 v74, v134 :: v_dual_mov_b32 v75, v135
.LBB273_161:                            ;   in Loop: Header=BB273_11 Depth=1
	s_or_b32 exec_lo, exec_lo, s20
.LBB273_162:                            ;   in Loop: Header=BB273_11 Depth=1
	s_delay_alu instid0(SALU_CYCLE_1)
	s_or_b32 exec_lo, exec_lo, s19
.LBB273_163:                            ;   in Loop: Header=BB273_11 Depth=1
	s_delay_alu instid0(SALU_CYCLE_1) | instskip(NEXT) | instid1(SALU_CYCLE_1)
	s_or_b32 exec_lo, exec_lo, s8
	s_mov_b32 s19, exec_lo
	v_cmpx_lt_u32_e32 0xffffff, v0
	s_cbranch_execz .LBB273_171
; %bb.164:                              ;   in Loop: Header=BB273_11 Depth=1
	v_lshrrev_b32_e32 v1, 24, v0
	v_dual_mov_b32 v77, s3 :: v_dual_mov_b32 v76, s2
	s_mov_b32 s20, exec_lo
	s_delay_alu instid0(VALU_DEP_2)
	v_cmpx_ne_u32_e32 0x80, v1
	s_cbranch_execz .LBB273_170
; %bb.165:                              ;   in Loop: Header=BB273_11 Depth=1
	s_mov_b32 s8, s2
	v_bfe_u32 v2, v0, 24, 7
	v_dual_mov_b32 v77, s9 :: v_dual_mov_b32 v76, s8
	s_mov_b32 s8, exec_lo
	s_delay_alu instid0(VALU_DEP_2)
	v_cmpx_ne_u32_e32 0x7f, v2
	s_cbranch_execz .LBB273_169
; %bb.166:                              ;   in Loop: Header=BB273_11 Depth=1
	v_and_b32_e32 v134, 7, v1
	v_lshrrev_b32_e32 v0, 3, v2
	s_mov_b32 s21, exec_lo
	v_cmpx_gt_u32_e32 8, v2
; %bb.167:                              ;   in Loop: Header=BB273_11 Depth=1
	s_delay_alu instid0(VALU_DEP_3) | instskip(NEXT) | instid1(VALU_DEP_1)
	v_clz_i32_u32_e32 v0, v134
	v_min_u32_e32 v0, 32, v0
	s_delay_alu instid0(VALU_DEP_1) | instskip(SKIP_1) | instid1(VALU_DEP_2)
	v_subrev_nc_u32_e32 v2, 28, v0
	v_sub_nc_u32_e32 v0, 29, v0
	v_lshlrev_b64 v[2:3], v2, v[134:135]
	s_delay_alu instid0(VALU_DEP_1)
	v_and_b32_e32 v134, 7, v2
; %bb.168:                              ;   in Loop: Header=BB273_11 Depth=1
	s_or_b32 exec_lo, exec_lo, s21
	v_dual_mov_b32 v76, v135 :: v_dual_lshlrev_b32 v1, 24, v1
	s_delay_alu instid0(VALU_DEP_2) | instskip(SKIP_1) | instid1(VALU_DEP_3)
	v_lshlrev_b32_e32 v2, 20, v134
	v_lshl_add_u32 v0, v0, 23, 0x3c000000
	v_and_b32_e32 v1, 0x80000000, v1
	s_delay_alu instid0(VALU_DEP_1)
	v_or3_b32 v77, v2, v1, v0
.LBB273_169:                            ;   in Loop: Header=BB273_11 Depth=1
	s_or_b32 exec_lo, exec_lo, s8
.LBB273_170:                            ;   in Loop: Header=BB273_11 Depth=1
	s_delay_alu instid0(SALU_CYCLE_1)
	s_or_b32 exec_lo, exec_lo, s20
.LBB273_171:                            ;   in Loop: Header=BB273_11 Depth=1
	s_delay_alu instid0(SALU_CYCLE_1) | instskip(SKIP_3) | instid1(VALU_DEP_2)
	s_or_b32 exec_lo, exec_lo, s19
	flat_load_b32 v0, v[180:181] offset:516
	v_mov_b32_e32 v88, 0
	v_mov_b32_e32 v89, 0
	;; [unrolled: 1-line block ×3, first 2 shown]
	s_mov_b32 s8, exec_lo
	s_delay_alu instid0(VALU_DEP_2) | instskip(SKIP_2) | instid1(VALU_DEP_1)
	v_mov_b32_e32 v79, v89
	s_waitcnt vmcnt(0) lgkmcnt(0)
	v_and_b32_e32 v1, 0xff, v0
	v_cmpx_ne_u16_e32 0, v1
	s_cbranch_execz .LBB273_179
; %bb.172:                              ;   in Loop: Header=BB273_11 Depth=1
	v_bfrev_b32_e32 v78, 1
	v_mov_b32_e32 v79, 0
	s_mov_b32 s19, exec_lo
	v_cmpx_ne_u16_e32 0x80, v1
	s_cbranch_execz .LBB273_178
; %bb.173:                              ;   in Loop: Header=BB273_11 Depth=1
	v_mov_b32_e32 v78, 0x7f800001
	v_dual_mov_b32 v79, 0 :: v_dual_and_b32 v2, 0x7f, v0
	s_mov_b32 s20, exec_lo
	s_delay_alu instid0(VALU_DEP_1)
	v_cmpx_ne_u32_e32 0x7f, v2
	s_cbranch_execz .LBB273_177
; %bb.174:                              ;   in Loop: Header=BB273_11 Depth=1
	v_and_b32_e32 v134, 7, v0
	v_lshrrev_b32_e32 v1, 3, v2
	s_mov_b32 s21, exec_lo
	v_cmpx_gt_u32_e32 8, v2
; %bb.175:                              ;   in Loop: Header=BB273_11 Depth=1
	s_delay_alu instid0(VALU_DEP_3) | instskip(NEXT) | instid1(VALU_DEP_1)
	v_clz_i32_u32_e32 v1, v134
	v_min_u32_e32 v1, 32, v1
	s_delay_alu instid0(VALU_DEP_1) | instskip(SKIP_1) | instid1(VALU_DEP_2)
	v_subrev_nc_u32_e32 v2, 28, v1
	v_sub_nc_u32_e32 v1, 29, v1
	v_lshlrev_b64 v[2:3], v2, v[134:135]
	s_delay_alu instid0(VALU_DEP_1)
	v_and_b32_e32 v134, 7, v2
; %bb.176:                              ;   in Loop: Header=BB273_11 Depth=1
	s_or_b32 exec_lo, exec_lo, s21
	v_lshlrev_b32_e32 v2, 24, v0
	s_delay_alu instid0(VALU_DEP_2) | instskip(SKIP_1) | instid1(VALU_DEP_3)
	v_lshlrev_b32_e32 v3, 20, v134
	v_lshl_add_u32 v1, v1, 23, 0x3c000000
	v_and_b32_e32 v2, 0x80000000, v2
	s_delay_alu instid0(VALU_DEP_1) | instskip(NEXT) | instid1(VALU_DEP_1)
	v_or3_b32 v134, v3, v2, v1
	v_dual_mov_b32 v78, v134 :: v_dual_mov_b32 v79, v135
.LBB273_177:                            ;   in Loop: Header=BB273_11 Depth=1
	s_or_b32 exec_lo, exec_lo, s20
.LBB273_178:                            ;   in Loop: Header=BB273_11 Depth=1
	s_delay_alu instid0(SALU_CYCLE_1)
	s_or_b32 exec_lo, exec_lo, s19
.LBB273_179:                            ;   in Loop: Header=BB273_11 Depth=1
	s_delay_alu instid0(SALU_CYCLE_1) | instskip(SKIP_2) | instid1(VALU_DEP_1)
	s_or_b32 exec_lo, exec_lo, s8
	v_lshrrev_b16 v1, 8, v0
	s_mov_b32 s19, exec_lo
	v_cmpx_ne_u16_e32 0, v1
	s_cbranch_execz .LBB273_187
; %bb.180:                              ;   in Loop: Header=BB273_11 Depth=1
	v_dual_mov_b32 v89, s3 :: v_dual_mov_b32 v88, s2
	s_mov_b32 s20, exec_lo
	v_cmpx_ne_u16_e32 0x80, v1
	s_cbranch_execz .LBB273_186
; %bb.181:                              ;   in Loop: Header=BB273_11 Depth=1
	s_mov_b32 s8, s2
	v_and_b32_e32 v1, 0xffff, v1
	v_dual_mov_b32 v89, s9 :: v_dual_mov_b32 v88, s8
	s_mov_b32 s8, exec_lo
	s_delay_alu instid0(VALU_DEP_2) | instskip(NEXT) | instid1(VALU_DEP_1)
	v_and_b32_e32 v2, 0x7f, v1
	v_cmpx_ne_u32_e32 0x7f, v2
	s_cbranch_execz .LBB273_185
; %bb.182:                              ;   in Loop: Header=BB273_11 Depth=1
	v_and_b32_e32 v134, 7, v1
	v_lshrrev_b32_e32 v1, 3, v2
	s_mov_b32 s21, exec_lo
	v_cmpx_gt_u32_e32 8, v2
; %bb.183:                              ;   in Loop: Header=BB273_11 Depth=1
	s_delay_alu instid0(VALU_DEP_3) | instskip(NEXT) | instid1(VALU_DEP_1)
	v_clz_i32_u32_e32 v1, v134
	v_min_u32_e32 v1, 32, v1
	s_delay_alu instid0(VALU_DEP_1) | instskip(SKIP_1) | instid1(VALU_DEP_2)
	v_subrev_nc_u32_e32 v2, 28, v1
	v_sub_nc_u32_e32 v1, 29, v1
	v_lshlrev_b64 v[2:3], v2, v[134:135]
	s_delay_alu instid0(VALU_DEP_1)
	v_and_b32_e32 v134, 7, v2
; %bb.184:                              ;   in Loop: Header=BB273_11 Depth=1
	s_or_b32 exec_lo, exec_lo, s21
	v_lshlrev_b32_e32 v2, 16, v0
	s_delay_alu instid0(VALU_DEP_2) | instskip(SKIP_1) | instid1(VALU_DEP_3)
	v_dual_mov_b32 v88, v135 :: v_dual_lshlrev_b32 v3, 20, v134
	v_lshl_add_u32 v1, v1, 23, 0x3c000000
	v_and_b32_e32 v2, 0x80000000, v2
	s_delay_alu instid0(VALU_DEP_1)
	v_or3_b32 v89, v3, v2, v1
.LBB273_185:                            ;   in Loop: Header=BB273_11 Depth=1
	s_or_b32 exec_lo, exec_lo, s8
.LBB273_186:                            ;   in Loop: Header=BB273_11 Depth=1
	s_delay_alu instid0(SALU_CYCLE_1)
	s_or_b32 exec_lo, exec_lo, s20
.LBB273_187:                            ;   in Loop: Header=BB273_11 Depth=1
	s_delay_alu instid0(SALU_CYCLE_1) | instskip(SKIP_4) | instid1(VALU_DEP_2)
	s_or_b32 exec_lo, exec_lo, s19
	v_mov_b32_e32 v92, 0
	v_lshrrev_b32_e32 v1, 16, v0
	v_mov_b32_e32 v93, 0
	s_mov_b32 s8, exec_lo
	v_and_b32_e32 v2, 0xff, v1
	s_delay_alu instid0(VALU_DEP_2) | instskip(NEXT) | instid1(VALU_DEP_2)
	v_dual_mov_b32 v90, v92 :: v_dual_mov_b32 v91, v93
	v_cmpx_ne_u16_e32 0, v2
	s_cbranch_execz .LBB273_195
; %bb.188:                              ;   in Loop: Header=BB273_11 Depth=1
	v_bfrev_b32_e32 v90, 1
	v_mov_b32_e32 v91, 0
	s_mov_b32 s19, exec_lo
	v_cmpx_ne_u16_e32 0x80, v2
	s_cbranch_execz .LBB273_194
; %bb.189:                              ;   in Loop: Header=BB273_11 Depth=1
	v_mov_b32_e32 v90, 0x7f800001
	v_bfe_u32 v3, v0, 16, 7
	v_mov_b32_e32 v91, 0
	s_mov_b32 s20, exec_lo
	s_delay_alu instid0(VALU_DEP_2)
	v_cmpx_ne_u32_e32 0x7f, v3
	s_cbranch_execz .LBB273_193
; %bb.190:                              ;   in Loop: Header=BB273_11 Depth=1
	v_and_b32_e32 v134, 7, v1
	v_lshrrev_b32_e32 v2, 3, v3
	s_mov_b32 s21, exec_lo
	v_cmpx_gt_u32_e32 8, v3
; %bb.191:                              ;   in Loop: Header=BB273_11 Depth=1
	s_delay_alu instid0(VALU_DEP_3) | instskip(NEXT) | instid1(VALU_DEP_1)
	v_clz_i32_u32_e32 v2, v134
	v_min_u32_e32 v2, 32, v2
	s_delay_alu instid0(VALU_DEP_1) | instskip(SKIP_1) | instid1(VALU_DEP_2)
	v_subrev_nc_u32_e32 v3, 28, v2
	v_sub_nc_u32_e32 v2, 29, v2
	v_lshlrev_b64 v[3:4], v3, v[134:135]
	s_delay_alu instid0(VALU_DEP_1)
	v_and_b32_e32 v134, 7, v3
; %bb.192:                              ;   in Loop: Header=BB273_11 Depth=1
	s_or_b32 exec_lo, exec_lo, s21
	v_lshlrev_b32_e32 v1, 24, v1
	s_delay_alu instid0(VALU_DEP_2) | instskip(SKIP_1) | instid1(VALU_DEP_3)
	v_lshlrev_b32_e32 v3, 20, v134
	v_lshl_add_u32 v2, v2, 23, 0x3c000000
	v_and_b32_e32 v1, 0x80000000, v1
	s_delay_alu instid0(VALU_DEP_1) | instskip(NEXT) | instid1(VALU_DEP_1)
	v_or3_b32 v134, v3, v1, v2
	v_dual_mov_b32 v90, v134 :: v_dual_mov_b32 v91, v135
.LBB273_193:                            ;   in Loop: Header=BB273_11 Depth=1
	s_or_b32 exec_lo, exec_lo, s20
.LBB273_194:                            ;   in Loop: Header=BB273_11 Depth=1
	s_delay_alu instid0(SALU_CYCLE_1)
	s_or_b32 exec_lo, exec_lo, s19
.LBB273_195:                            ;   in Loop: Header=BB273_11 Depth=1
	s_delay_alu instid0(SALU_CYCLE_1) | instskip(NEXT) | instid1(SALU_CYCLE_1)
	s_or_b32 exec_lo, exec_lo, s8
	s_mov_b32 s19, exec_lo
	v_cmpx_lt_u32_e32 0xffffff, v0
	s_cbranch_execz .LBB273_203
; %bb.196:                              ;   in Loop: Header=BB273_11 Depth=1
	v_lshrrev_b32_e32 v1, 24, v0
	v_dual_mov_b32 v93, s3 :: v_dual_mov_b32 v92, s2
	s_mov_b32 s20, exec_lo
	s_delay_alu instid0(VALU_DEP_2)
	v_cmpx_ne_u32_e32 0x80, v1
	s_cbranch_execz .LBB273_202
; %bb.197:                              ;   in Loop: Header=BB273_11 Depth=1
	s_mov_b32 s8, s2
	v_bfe_u32 v2, v0, 24, 7
	v_dual_mov_b32 v93, s9 :: v_dual_mov_b32 v92, s8
	s_mov_b32 s8, exec_lo
	s_delay_alu instid0(VALU_DEP_2)
	v_cmpx_ne_u32_e32 0x7f, v2
	s_cbranch_execz .LBB273_201
; %bb.198:                              ;   in Loop: Header=BB273_11 Depth=1
	v_and_b32_e32 v134, 7, v1
	v_lshrrev_b32_e32 v0, 3, v2
	s_mov_b32 s21, exec_lo
	v_cmpx_gt_u32_e32 8, v2
; %bb.199:                              ;   in Loop: Header=BB273_11 Depth=1
	s_delay_alu instid0(VALU_DEP_3) | instskip(NEXT) | instid1(VALU_DEP_1)
	v_clz_i32_u32_e32 v0, v134
	v_min_u32_e32 v0, 32, v0
	s_delay_alu instid0(VALU_DEP_1) | instskip(SKIP_1) | instid1(VALU_DEP_2)
	v_subrev_nc_u32_e32 v2, 28, v0
	v_sub_nc_u32_e32 v0, 29, v0
	v_lshlrev_b64 v[2:3], v2, v[134:135]
	s_delay_alu instid0(VALU_DEP_1)
	v_and_b32_e32 v134, 7, v2
; %bb.200:                              ;   in Loop: Header=BB273_11 Depth=1
	s_or_b32 exec_lo, exec_lo, s21
	v_dual_mov_b32 v92, v135 :: v_dual_lshlrev_b32 v1, 24, v1
	s_delay_alu instid0(VALU_DEP_2) | instskip(SKIP_1) | instid1(VALU_DEP_3)
	v_lshlrev_b32_e32 v2, 20, v134
	v_lshl_add_u32 v0, v0, 23, 0x3c000000
	v_and_b32_e32 v1, 0x80000000, v1
	s_delay_alu instid0(VALU_DEP_1)
	v_or3_b32 v93, v2, v1, v0
.LBB273_201:                            ;   in Loop: Header=BB273_11 Depth=1
	s_or_b32 exec_lo, exec_lo, s8
.LBB273_202:                            ;   in Loop: Header=BB273_11 Depth=1
	s_delay_alu instid0(SALU_CYCLE_1)
	s_or_b32 exec_lo, exec_lo, s20
.LBB273_203:                            ;   in Loop: Header=BB273_11 Depth=1
	s_delay_alu instid0(SALU_CYCLE_1) | instskip(SKIP_3) | instid1(VALU_DEP_2)
	s_or_b32 exec_lo, exec_lo, s19
	flat_load_b32 v0, v[180:181] offset:520
	v_mov_b32_e32 v104, 0
	v_mov_b32_e32 v105, 0
	;; [unrolled: 1-line block ×3, first 2 shown]
	s_mov_b32 s8, exec_lo
	s_delay_alu instid0(VALU_DEP_2) | instskip(SKIP_2) | instid1(VALU_DEP_1)
	v_mov_b32_e32 v95, v105
	s_waitcnt vmcnt(0) lgkmcnt(0)
	v_and_b32_e32 v1, 0xff, v0
	v_cmpx_ne_u16_e32 0, v1
	s_cbranch_execz .LBB273_211
; %bb.204:                              ;   in Loop: Header=BB273_11 Depth=1
	v_bfrev_b32_e32 v94, 1
	v_mov_b32_e32 v95, 0
	s_mov_b32 s19, exec_lo
	v_cmpx_ne_u16_e32 0x80, v1
	s_cbranch_execz .LBB273_210
; %bb.205:                              ;   in Loop: Header=BB273_11 Depth=1
	v_mov_b32_e32 v94, 0x7f800001
	v_dual_mov_b32 v95, 0 :: v_dual_and_b32 v2, 0x7f, v0
	s_mov_b32 s20, exec_lo
	s_delay_alu instid0(VALU_DEP_1)
	v_cmpx_ne_u32_e32 0x7f, v2
	s_cbranch_execz .LBB273_209
; %bb.206:                              ;   in Loop: Header=BB273_11 Depth=1
	v_and_b32_e32 v134, 7, v0
	v_lshrrev_b32_e32 v1, 3, v2
	s_mov_b32 s21, exec_lo
	v_cmpx_gt_u32_e32 8, v2
; %bb.207:                              ;   in Loop: Header=BB273_11 Depth=1
	s_delay_alu instid0(VALU_DEP_3) | instskip(NEXT) | instid1(VALU_DEP_1)
	v_clz_i32_u32_e32 v1, v134
	v_min_u32_e32 v1, 32, v1
	s_delay_alu instid0(VALU_DEP_1) | instskip(SKIP_1) | instid1(VALU_DEP_2)
	v_subrev_nc_u32_e32 v2, 28, v1
	v_sub_nc_u32_e32 v1, 29, v1
	v_lshlrev_b64 v[2:3], v2, v[134:135]
	s_delay_alu instid0(VALU_DEP_1)
	v_and_b32_e32 v134, 7, v2
; %bb.208:                              ;   in Loop: Header=BB273_11 Depth=1
	s_or_b32 exec_lo, exec_lo, s21
	v_lshlrev_b32_e32 v2, 24, v0
	s_delay_alu instid0(VALU_DEP_2) | instskip(SKIP_1) | instid1(VALU_DEP_3)
	v_lshlrev_b32_e32 v3, 20, v134
	v_lshl_add_u32 v1, v1, 23, 0x3c000000
	v_and_b32_e32 v2, 0x80000000, v2
	s_delay_alu instid0(VALU_DEP_1) | instskip(NEXT) | instid1(VALU_DEP_1)
	v_or3_b32 v134, v3, v2, v1
	v_dual_mov_b32 v94, v134 :: v_dual_mov_b32 v95, v135
.LBB273_209:                            ;   in Loop: Header=BB273_11 Depth=1
	s_or_b32 exec_lo, exec_lo, s20
.LBB273_210:                            ;   in Loop: Header=BB273_11 Depth=1
	s_delay_alu instid0(SALU_CYCLE_1)
	s_or_b32 exec_lo, exec_lo, s19
.LBB273_211:                            ;   in Loop: Header=BB273_11 Depth=1
	s_delay_alu instid0(SALU_CYCLE_1) | instskip(SKIP_2) | instid1(VALU_DEP_1)
	s_or_b32 exec_lo, exec_lo, s8
	v_lshrrev_b16 v1, 8, v0
	s_mov_b32 s19, exec_lo
	v_cmpx_ne_u16_e32 0, v1
	s_cbranch_execz .LBB273_219
; %bb.212:                              ;   in Loop: Header=BB273_11 Depth=1
	v_dual_mov_b32 v105, s3 :: v_dual_mov_b32 v104, s2
	s_mov_b32 s20, exec_lo
	v_cmpx_ne_u16_e32 0x80, v1
	s_cbranch_execz .LBB273_218
; %bb.213:                              ;   in Loop: Header=BB273_11 Depth=1
	s_mov_b32 s8, s2
	v_and_b32_e32 v1, 0xffff, v1
	v_dual_mov_b32 v105, s9 :: v_dual_mov_b32 v104, s8
	s_mov_b32 s8, exec_lo
	s_delay_alu instid0(VALU_DEP_2) | instskip(NEXT) | instid1(VALU_DEP_1)
	v_and_b32_e32 v2, 0x7f, v1
	v_cmpx_ne_u32_e32 0x7f, v2
	s_cbranch_execz .LBB273_217
; %bb.214:                              ;   in Loop: Header=BB273_11 Depth=1
	v_and_b32_e32 v134, 7, v1
	v_lshrrev_b32_e32 v1, 3, v2
	s_mov_b32 s21, exec_lo
	v_cmpx_gt_u32_e32 8, v2
; %bb.215:                              ;   in Loop: Header=BB273_11 Depth=1
	s_delay_alu instid0(VALU_DEP_3) | instskip(NEXT) | instid1(VALU_DEP_1)
	v_clz_i32_u32_e32 v1, v134
	v_min_u32_e32 v1, 32, v1
	s_delay_alu instid0(VALU_DEP_1) | instskip(SKIP_1) | instid1(VALU_DEP_2)
	v_subrev_nc_u32_e32 v2, 28, v1
	v_sub_nc_u32_e32 v1, 29, v1
	v_lshlrev_b64 v[2:3], v2, v[134:135]
	s_delay_alu instid0(VALU_DEP_1)
	v_and_b32_e32 v134, 7, v2
; %bb.216:                              ;   in Loop: Header=BB273_11 Depth=1
	s_or_b32 exec_lo, exec_lo, s21
	v_lshlrev_b32_e32 v2, 16, v0
	s_delay_alu instid0(VALU_DEP_2) | instskip(SKIP_1) | instid1(VALU_DEP_3)
	v_dual_mov_b32 v104, v135 :: v_dual_lshlrev_b32 v3, 20, v134
	v_lshl_add_u32 v1, v1, 23, 0x3c000000
	v_and_b32_e32 v2, 0x80000000, v2
	s_delay_alu instid0(VALU_DEP_1)
	v_or3_b32 v105, v3, v2, v1
.LBB273_217:                            ;   in Loop: Header=BB273_11 Depth=1
	s_or_b32 exec_lo, exec_lo, s8
.LBB273_218:                            ;   in Loop: Header=BB273_11 Depth=1
	s_delay_alu instid0(SALU_CYCLE_1)
	s_or_b32 exec_lo, exec_lo, s20
.LBB273_219:                            ;   in Loop: Header=BB273_11 Depth=1
	s_delay_alu instid0(SALU_CYCLE_1) | instskip(SKIP_4) | instid1(VALU_DEP_2)
	s_or_b32 exec_lo, exec_lo, s19
	v_mov_b32_e32 v108, 0
	v_lshrrev_b32_e32 v1, 16, v0
	v_mov_b32_e32 v109, 0
	s_mov_b32 s8, exec_lo
	v_and_b32_e32 v2, 0xff, v1
	s_delay_alu instid0(VALU_DEP_2) | instskip(NEXT) | instid1(VALU_DEP_2)
	v_dual_mov_b32 v106, v108 :: v_dual_mov_b32 v107, v109
	v_cmpx_ne_u16_e32 0, v2
	s_cbranch_execz .LBB273_227
; %bb.220:                              ;   in Loop: Header=BB273_11 Depth=1
	v_bfrev_b32_e32 v106, 1
	v_mov_b32_e32 v107, 0
	s_mov_b32 s19, exec_lo
	v_cmpx_ne_u16_e32 0x80, v2
	s_cbranch_execz .LBB273_226
; %bb.221:                              ;   in Loop: Header=BB273_11 Depth=1
	v_mov_b32_e32 v106, 0x7f800001
	v_bfe_u32 v3, v0, 16, 7
	v_mov_b32_e32 v107, 0
	s_mov_b32 s20, exec_lo
	s_delay_alu instid0(VALU_DEP_2)
	v_cmpx_ne_u32_e32 0x7f, v3
	s_cbranch_execz .LBB273_225
; %bb.222:                              ;   in Loop: Header=BB273_11 Depth=1
	v_and_b32_e32 v134, 7, v1
	v_lshrrev_b32_e32 v2, 3, v3
	s_mov_b32 s21, exec_lo
	v_cmpx_gt_u32_e32 8, v3
; %bb.223:                              ;   in Loop: Header=BB273_11 Depth=1
	s_delay_alu instid0(VALU_DEP_3) | instskip(NEXT) | instid1(VALU_DEP_1)
	v_clz_i32_u32_e32 v2, v134
	v_min_u32_e32 v2, 32, v2
	s_delay_alu instid0(VALU_DEP_1) | instskip(SKIP_1) | instid1(VALU_DEP_2)
	v_subrev_nc_u32_e32 v3, 28, v2
	v_sub_nc_u32_e32 v2, 29, v2
	v_lshlrev_b64 v[3:4], v3, v[134:135]
	s_delay_alu instid0(VALU_DEP_1)
	v_and_b32_e32 v134, 7, v3
; %bb.224:                              ;   in Loop: Header=BB273_11 Depth=1
	s_or_b32 exec_lo, exec_lo, s21
	v_lshlrev_b32_e32 v1, 24, v1
	s_delay_alu instid0(VALU_DEP_2) | instskip(SKIP_1) | instid1(VALU_DEP_3)
	v_lshlrev_b32_e32 v3, 20, v134
	v_lshl_add_u32 v2, v2, 23, 0x3c000000
	v_and_b32_e32 v1, 0x80000000, v1
	s_delay_alu instid0(VALU_DEP_1) | instskip(NEXT) | instid1(VALU_DEP_1)
	v_or3_b32 v134, v3, v1, v2
	v_dual_mov_b32 v106, v134 :: v_dual_mov_b32 v107, v135
.LBB273_225:                            ;   in Loop: Header=BB273_11 Depth=1
	s_or_b32 exec_lo, exec_lo, s20
.LBB273_226:                            ;   in Loop: Header=BB273_11 Depth=1
	s_delay_alu instid0(SALU_CYCLE_1)
	s_or_b32 exec_lo, exec_lo, s19
.LBB273_227:                            ;   in Loop: Header=BB273_11 Depth=1
	s_delay_alu instid0(SALU_CYCLE_1) | instskip(NEXT) | instid1(SALU_CYCLE_1)
	s_or_b32 exec_lo, exec_lo, s8
	s_mov_b32 s19, exec_lo
	v_cmpx_lt_u32_e32 0xffffff, v0
	s_cbranch_execz .LBB273_235
; %bb.228:                              ;   in Loop: Header=BB273_11 Depth=1
	v_lshrrev_b32_e32 v1, 24, v0
	v_dual_mov_b32 v109, s3 :: v_dual_mov_b32 v108, s2
	s_mov_b32 s20, exec_lo
	s_delay_alu instid0(VALU_DEP_2)
	v_cmpx_ne_u32_e32 0x80, v1
	s_cbranch_execz .LBB273_234
; %bb.229:                              ;   in Loop: Header=BB273_11 Depth=1
	s_mov_b32 s8, s2
	v_bfe_u32 v2, v0, 24, 7
	v_dual_mov_b32 v109, s9 :: v_dual_mov_b32 v108, s8
	s_mov_b32 s8, exec_lo
	s_delay_alu instid0(VALU_DEP_2)
	v_cmpx_ne_u32_e32 0x7f, v2
	s_cbranch_execz .LBB273_233
; %bb.230:                              ;   in Loop: Header=BB273_11 Depth=1
	v_and_b32_e32 v134, 7, v1
	v_lshrrev_b32_e32 v0, 3, v2
	s_mov_b32 s21, exec_lo
	v_cmpx_gt_u32_e32 8, v2
; %bb.231:                              ;   in Loop: Header=BB273_11 Depth=1
	s_delay_alu instid0(VALU_DEP_3) | instskip(NEXT) | instid1(VALU_DEP_1)
	v_clz_i32_u32_e32 v0, v134
	v_min_u32_e32 v0, 32, v0
	s_delay_alu instid0(VALU_DEP_1) | instskip(SKIP_1) | instid1(VALU_DEP_2)
	v_subrev_nc_u32_e32 v2, 28, v0
	v_sub_nc_u32_e32 v0, 29, v0
	v_lshlrev_b64 v[2:3], v2, v[134:135]
	s_delay_alu instid0(VALU_DEP_1)
	v_and_b32_e32 v134, 7, v2
; %bb.232:                              ;   in Loop: Header=BB273_11 Depth=1
	s_or_b32 exec_lo, exec_lo, s21
	v_dual_mov_b32 v108, v135 :: v_dual_lshlrev_b32 v1, 24, v1
	s_delay_alu instid0(VALU_DEP_2) | instskip(SKIP_1) | instid1(VALU_DEP_3)
	v_lshlrev_b32_e32 v2, 20, v134
	v_lshl_add_u32 v0, v0, 23, 0x3c000000
	v_and_b32_e32 v1, 0x80000000, v1
	s_delay_alu instid0(VALU_DEP_1)
	v_or3_b32 v109, v2, v1, v0
.LBB273_233:                            ;   in Loop: Header=BB273_11 Depth=1
	s_or_b32 exec_lo, exec_lo, s8
.LBB273_234:                            ;   in Loop: Header=BB273_11 Depth=1
	s_delay_alu instid0(SALU_CYCLE_1)
	s_or_b32 exec_lo, exec_lo, s20
.LBB273_235:                            ;   in Loop: Header=BB273_11 Depth=1
	s_delay_alu instid0(SALU_CYCLE_1) | instskip(SKIP_3) | instid1(VALU_DEP_2)
	s_or_b32 exec_lo, exec_lo, s19
	flat_load_b32 v0, v[180:181] offset:524
	v_mov_b32_e32 v120, 0
	v_mov_b32_e32 v121, 0
	;; [unrolled: 1-line block ×3, first 2 shown]
	s_mov_b32 s8, exec_lo
	s_delay_alu instid0(VALU_DEP_2) | instskip(SKIP_2) | instid1(VALU_DEP_1)
	v_mov_b32_e32 v111, v121
	s_waitcnt vmcnt(0) lgkmcnt(0)
	v_and_b32_e32 v1, 0xff, v0
	v_cmpx_ne_u16_e32 0, v1
	s_cbranch_execz .LBB273_243
; %bb.236:                              ;   in Loop: Header=BB273_11 Depth=1
	v_bfrev_b32_e32 v110, 1
	v_mov_b32_e32 v111, 0
	s_mov_b32 s19, exec_lo
	v_cmpx_ne_u16_e32 0x80, v1
	s_cbranch_execz .LBB273_242
; %bb.237:                              ;   in Loop: Header=BB273_11 Depth=1
	v_mov_b32_e32 v110, 0x7f800001
	v_dual_mov_b32 v111, 0 :: v_dual_and_b32 v2, 0x7f, v0
	s_mov_b32 s20, exec_lo
	s_delay_alu instid0(VALU_DEP_1)
	v_cmpx_ne_u32_e32 0x7f, v2
	s_cbranch_execz .LBB273_241
; %bb.238:                              ;   in Loop: Header=BB273_11 Depth=1
	v_and_b32_e32 v134, 7, v0
	v_lshrrev_b32_e32 v1, 3, v2
	s_mov_b32 s21, exec_lo
	v_cmpx_gt_u32_e32 8, v2
; %bb.239:                              ;   in Loop: Header=BB273_11 Depth=1
	s_delay_alu instid0(VALU_DEP_3) | instskip(NEXT) | instid1(VALU_DEP_1)
	v_clz_i32_u32_e32 v1, v134
	v_min_u32_e32 v1, 32, v1
	s_delay_alu instid0(VALU_DEP_1) | instskip(SKIP_1) | instid1(VALU_DEP_2)
	v_subrev_nc_u32_e32 v2, 28, v1
	v_sub_nc_u32_e32 v1, 29, v1
	v_lshlrev_b64 v[2:3], v2, v[134:135]
	s_delay_alu instid0(VALU_DEP_1)
	v_and_b32_e32 v134, 7, v2
; %bb.240:                              ;   in Loop: Header=BB273_11 Depth=1
	s_or_b32 exec_lo, exec_lo, s21
	v_lshlrev_b32_e32 v2, 24, v0
	s_delay_alu instid0(VALU_DEP_2) | instskip(SKIP_1) | instid1(VALU_DEP_3)
	v_lshlrev_b32_e32 v3, 20, v134
	v_lshl_add_u32 v1, v1, 23, 0x3c000000
	v_and_b32_e32 v2, 0x80000000, v2
	s_delay_alu instid0(VALU_DEP_1) | instskip(NEXT) | instid1(VALU_DEP_1)
	v_or3_b32 v134, v3, v2, v1
	v_dual_mov_b32 v110, v134 :: v_dual_mov_b32 v111, v135
.LBB273_241:                            ;   in Loop: Header=BB273_11 Depth=1
	s_or_b32 exec_lo, exec_lo, s20
.LBB273_242:                            ;   in Loop: Header=BB273_11 Depth=1
	s_delay_alu instid0(SALU_CYCLE_1)
	s_or_b32 exec_lo, exec_lo, s19
.LBB273_243:                            ;   in Loop: Header=BB273_11 Depth=1
	s_delay_alu instid0(SALU_CYCLE_1) | instskip(SKIP_2) | instid1(VALU_DEP_1)
	s_or_b32 exec_lo, exec_lo, s8
	v_lshrrev_b16 v1, 8, v0
	s_mov_b32 s19, exec_lo
	v_cmpx_ne_u16_e32 0, v1
	s_cbranch_execz .LBB273_251
; %bb.244:                              ;   in Loop: Header=BB273_11 Depth=1
	v_dual_mov_b32 v121, s3 :: v_dual_mov_b32 v120, s2
	s_mov_b32 s20, exec_lo
	v_cmpx_ne_u16_e32 0x80, v1
	s_cbranch_execz .LBB273_250
; %bb.245:                              ;   in Loop: Header=BB273_11 Depth=1
	s_mov_b32 s8, s2
	v_and_b32_e32 v1, 0xffff, v1
	v_dual_mov_b32 v121, s9 :: v_dual_mov_b32 v120, s8
	s_mov_b32 s8, exec_lo
	s_delay_alu instid0(VALU_DEP_2) | instskip(NEXT) | instid1(VALU_DEP_1)
	v_and_b32_e32 v2, 0x7f, v1
	v_cmpx_ne_u32_e32 0x7f, v2
	s_cbranch_execz .LBB273_249
; %bb.246:                              ;   in Loop: Header=BB273_11 Depth=1
	v_and_b32_e32 v134, 7, v1
	v_lshrrev_b32_e32 v1, 3, v2
	s_mov_b32 s21, exec_lo
	v_cmpx_gt_u32_e32 8, v2
; %bb.247:                              ;   in Loop: Header=BB273_11 Depth=1
	s_delay_alu instid0(VALU_DEP_3) | instskip(NEXT) | instid1(VALU_DEP_1)
	v_clz_i32_u32_e32 v1, v134
	v_min_u32_e32 v1, 32, v1
	s_delay_alu instid0(VALU_DEP_1) | instskip(SKIP_1) | instid1(VALU_DEP_2)
	v_subrev_nc_u32_e32 v2, 28, v1
	v_sub_nc_u32_e32 v1, 29, v1
	v_lshlrev_b64 v[2:3], v2, v[134:135]
	s_delay_alu instid0(VALU_DEP_1)
	v_and_b32_e32 v134, 7, v2
; %bb.248:                              ;   in Loop: Header=BB273_11 Depth=1
	s_or_b32 exec_lo, exec_lo, s21
	v_lshlrev_b32_e32 v2, 16, v0
	s_delay_alu instid0(VALU_DEP_2) | instskip(SKIP_1) | instid1(VALU_DEP_3)
	v_dual_mov_b32 v120, v135 :: v_dual_lshlrev_b32 v3, 20, v134
	v_lshl_add_u32 v1, v1, 23, 0x3c000000
	v_and_b32_e32 v2, 0x80000000, v2
	s_delay_alu instid0(VALU_DEP_1)
	v_or3_b32 v121, v3, v2, v1
.LBB273_249:                            ;   in Loop: Header=BB273_11 Depth=1
	s_or_b32 exec_lo, exec_lo, s8
.LBB273_250:                            ;   in Loop: Header=BB273_11 Depth=1
	s_delay_alu instid0(SALU_CYCLE_1)
	s_or_b32 exec_lo, exec_lo, s20
.LBB273_251:                            ;   in Loop: Header=BB273_11 Depth=1
	s_delay_alu instid0(SALU_CYCLE_1) | instskip(SKIP_4) | instid1(VALU_DEP_2)
	s_or_b32 exec_lo, exec_lo, s19
	v_mov_b32_e32 v124, 0
	v_lshrrev_b32_e32 v1, 16, v0
	v_mov_b32_e32 v125, 0
	s_mov_b32 s8, exec_lo
	v_and_b32_e32 v2, 0xff, v1
	s_delay_alu instid0(VALU_DEP_2) | instskip(NEXT) | instid1(VALU_DEP_2)
	v_dual_mov_b32 v122, v124 :: v_dual_mov_b32 v123, v125
	v_cmpx_ne_u16_e32 0, v2
	s_cbranch_execz .LBB273_259
; %bb.252:                              ;   in Loop: Header=BB273_11 Depth=1
	v_bfrev_b32_e32 v122, 1
	v_mov_b32_e32 v123, 0
	s_mov_b32 s19, exec_lo
	v_cmpx_ne_u16_e32 0x80, v2
	s_cbranch_execz .LBB273_258
; %bb.253:                              ;   in Loop: Header=BB273_11 Depth=1
	v_mov_b32_e32 v122, 0x7f800001
	v_bfe_u32 v3, v0, 16, 7
	v_mov_b32_e32 v123, 0
	s_mov_b32 s20, exec_lo
	s_delay_alu instid0(VALU_DEP_2)
	v_cmpx_ne_u32_e32 0x7f, v3
	s_cbranch_execz .LBB273_257
; %bb.254:                              ;   in Loop: Header=BB273_11 Depth=1
	v_and_b32_e32 v134, 7, v1
	v_lshrrev_b32_e32 v2, 3, v3
	s_mov_b32 s21, exec_lo
	v_cmpx_gt_u32_e32 8, v3
; %bb.255:                              ;   in Loop: Header=BB273_11 Depth=1
	s_delay_alu instid0(VALU_DEP_3) | instskip(NEXT) | instid1(VALU_DEP_1)
	v_clz_i32_u32_e32 v2, v134
	v_min_u32_e32 v2, 32, v2
	s_delay_alu instid0(VALU_DEP_1) | instskip(SKIP_1) | instid1(VALU_DEP_2)
	v_subrev_nc_u32_e32 v3, 28, v2
	v_sub_nc_u32_e32 v2, 29, v2
	v_lshlrev_b64 v[3:4], v3, v[134:135]
	s_delay_alu instid0(VALU_DEP_1)
	v_and_b32_e32 v134, 7, v3
; %bb.256:                              ;   in Loop: Header=BB273_11 Depth=1
	s_or_b32 exec_lo, exec_lo, s21
	v_lshlrev_b32_e32 v1, 24, v1
	s_delay_alu instid0(VALU_DEP_2) | instskip(SKIP_1) | instid1(VALU_DEP_3)
	v_lshlrev_b32_e32 v3, 20, v134
	v_lshl_add_u32 v2, v2, 23, 0x3c000000
	v_and_b32_e32 v1, 0x80000000, v1
	s_delay_alu instid0(VALU_DEP_1) | instskip(NEXT) | instid1(VALU_DEP_1)
	v_or3_b32 v134, v3, v1, v2
	v_dual_mov_b32 v122, v134 :: v_dual_mov_b32 v123, v135
.LBB273_257:                            ;   in Loop: Header=BB273_11 Depth=1
	s_or_b32 exec_lo, exec_lo, s20
.LBB273_258:                            ;   in Loop: Header=BB273_11 Depth=1
	s_delay_alu instid0(SALU_CYCLE_1)
	s_or_b32 exec_lo, exec_lo, s19
.LBB273_259:                            ;   in Loop: Header=BB273_11 Depth=1
	s_delay_alu instid0(SALU_CYCLE_1) | instskip(NEXT) | instid1(SALU_CYCLE_1)
	s_or_b32 exec_lo, exec_lo, s8
	s_mov_b32 s19, exec_lo
	v_cmpx_lt_u32_e32 0xffffff, v0
	s_cbranch_execz .LBB273_267
; %bb.260:                              ;   in Loop: Header=BB273_11 Depth=1
	v_lshrrev_b32_e32 v1, 24, v0
	v_dual_mov_b32 v125, s3 :: v_dual_mov_b32 v124, s2
	s_mov_b32 s20, exec_lo
	s_delay_alu instid0(VALU_DEP_2)
	v_cmpx_ne_u32_e32 0x80, v1
	s_cbranch_execz .LBB273_266
; %bb.261:                              ;   in Loop: Header=BB273_11 Depth=1
	s_mov_b32 s8, s2
	v_bfe_u32 v2, v0, 24, 7
	v_dual_mov_b32 v125, s9 :: v_dual_mov_b32 v124, s8
	s_mov_b32 s8, exec_lo
	s_delay_alu instid0(VALU_DEP_2)
	v_cmpx_ne_u32_e32 0x7f, v2
	s_cbranch_execz .LBB273_265
; %bb.262:                              ;   in Loop: Header=BB273_11 Depth=1
	v_and_b32_e32 v134, 7, v1
	v_lshrrev_b32_e32 v0, 3, v2
	s_mov_b32 s21, exec_lo
	v_cmpx_gt_u32_e32 8, v2
; %bb.263:                              ;   in Loop: Header=BB273_11 Depth=1
	s_delay_alu instid0(VALU_DEP_3) | instskip(NEXT) | instid1(VALU_DEP_1)
	v_clz_i32_u32_e32 v0, v134
	v_min_u32_e32 v0, 32, v0
	s_delay_alu instid0(VALU_DEP_1) | instskip(SKIP_1) | instid1(VALU_DEP_2)
	v_subrev_nc_u32_e32 v2, 28, v0
	v_sub_nc_u32_e32 v0, 29, v0
	v_lshlrev_b64 v[2:3], v2, v[134:135]
	s_delay_alu instid0(VALU_DEP_1)
	v_and_b32_e32 v134, 7, v2
; %bb.264:                              ;   in Loop: Header=BB273_11 Depth=1
	s_or_b32 exec_lo, exec_lo, s21
	v_dual_mov_b32 v124, v135 :: v_dual_lshlrev_b32 v1, 24, v1
	s_delay_alu instid0(VALU_DEP_2) | instskip(SKIP_1) | instid1(VALU_DEP_3)
	v_lshlrev_b32_e32 v2, 20, v134
	v_lshl_add_u32 v0, v0, 23, 0x3c000000
	v_and_b32_e32 v1, 0x80000000, v1
	s_delay_alu instid0(VALU_DEP_1)
	v_or3_b32 v125, v2, v1, v0
.LBB273_265:                            ;   in Loop: Header=BB273_11 Depth=1
	s_or_b32 exec_lo, exec_lo, s8
.LBB273_266:                            ;   in Loop: Header=BB273_11 Depth=1
	s_delay_alu instid0(SALU_CYCLE_1)
	s_or_b32 exec_lo, exec_lo, s20
.LBB273_267:                            ;   in Loop: Header=BB273_11 Depth=1
	s_delay_alu instid0(SALU_CYCLE_1) | instskip(SKIP_3) | instid1(VALU_DEP_2)
	s_or_b32 exec_lo, exec_lo, s19
	flat_load_b32 v0, v[180:181] offset:1024
	v_mov_b32_e32 v136, 0
	v_mov_b32_e32 v137, 0
	v_mov_b32_e32 v126, v136
	s_mov_b32 s8, exec_lo
	s_delay_alu instid0(VALU_DEP_2) | instskip(SKIP_2) | instid1(VALU_DEP_1)
	v_mov_b32_e32 v127, v137
	s_waitcnt vmcnt(0) lgkmcnt(0)
	v_and_b32_e32 v1, 0xff, v0
	v_cmpx_ne_u16_e32 0, v1
	s_cbranch_execz .LBB273_275
; %bb.268:                              ;   in Loop: Header=BB273_11 Depth=1
	v_bfrev_b32_e32 v126, 1
	v_mov_b32_e32 v127, 0
	s_mov_b32 s19, exec_lo
	v_cmpx_ne_u16_e32 0x80, v1
	s_cbranch_execz .LBB273_274
; %bb.269:                              ;   in Loop: Header=BB273_11 Depth=1
	v_mov_b32_e32 v126, 0x7f800001
	v_dual_mov_b32 v127, 0 :: v_dual_and_b32 v2, 0x7f, v0
	s_mov_b32 s20, exec_lo
	s_delay_alu instid0(VALU_DEP_1)
	v_cmpx_ne_u32_e32 0x7f, v2
	s_cbranch_execz .LBB273_273
; %bb.270:                              ;   in Loop: Header=BB273_11 Depth=1
	v_and_b32_e32 v134, 7, v0
	v_lshrrev_b32_e32 v1, 3, v2
	s_mov_b32 s21, exec_lo
	v_cmpx_gt_u32_e32 8, v2
; %bb.271:                              ;   in Loop: Header=BB273_11 Depth=1
	s_delay_alu instid0(VALU_DEP_3) | instskip(NEXT) | instid1(VALU_DEP_1)
	v_clz_i32_u32_e32 v1, v134
	v_min_u32_e32 v1, 32, v1
	s_delay_alu instid0(VALU_DEP_1) | instskip(SKIP_1) | instid1(VALU_DEP_2)
	v_subrev_nc_u32_e32 v2, 28, v1
	v_sub_nc_u32_e32 v1, 29, v1
	v_lshlrev_b64 v[2:3], v2, v[134:135]
	s_delay_alu instid0(VALU_DEP_1)
	v_and_b32_e32 v134, 7, v2
; %bb.272:                              ;   in Loop: Header=BB273_11 Depth=1
	s_or_b32 exec_lo, exec_lo, s21
	v_lshlrev_b32_e32 v2, 24, v0
	s_delay_alu instid0(VALU_DEP_2) | instskip(SKIP_1) | instid1(VALU_DEP_3)
	v_lshlrev_b32_e32 v3, 20, v134
	v_lshl_add_u32 v1, v1, 23, 0x3c000000
	v_and_b32_e32 v2, 0x80000000, v2
	s_delay_alu instid0(VALU_DEP_1) | instskip(NEXT) | instid1(VALU_DEP_1)
	v_or3_b32 v134, v3, v2, v1
	v_dual_mov_b32 v126, v134 :: v_dual_mov_b32 v127, v135
.LBB273_273:                            ;   in Loop: Header=BB273_11 Depth=1
	s_or_b32 exec_lo, exec_lo, s20
.LBB273_274:                            ;   in Loop: Header=BB273_11 Depth=1
	s_delay_alu instid0(SALU_CYCLE_1)
	s_or_b32 exec_lo, exec_lo, s19
.LBB273_275:                            ;   in Loop: Header=BB273_11 Depth=1
	s_delay_alu instid0(SALU_CYCLE_1) | instskip(SKIP_2) | instid1(VALU_DEP_1)
	s_or_b32 exec_lo, exec_lo, s8
	v_lshrrev_b16 v1, 8, v0
	s_mov_b32 s19, exec_lo
	v_cmpx_ne_u16_e32 0, v1
	s_cbranch_execz .LBB273_283
; %bb.276:                              ;   in Loop: Header=BB273_11 Depth=1
	v_dual_mov_b32 v137, s3 :: v_dual_mov_b32 v136, s2
	s_mov_b32 s20, exec_lo
	v_cmpx_ne_u16_e32 0x80, v1
	s_cbranch_execz .LBB273_282
; %bb.277:                              ;   in Loop: Header=BB273_11 Depth=1
	s_mov_b32 s8, s2
	v_and_b32_e32 v1, 0xffff, v1
	v_dual_mov_b32 v137, s9 :: v_dual_mov_b32 v136, s8
	s_mov_b32 s8, exec_lo
	s_delay_alu instid0(VALU_DEP_2) | instskip(NEXT) | instid1(VALU_DEP_1)
	v_and_b32_e32 v2, 0x7f, v1
	v_cmpx_ne_u32_e32 0x7f, v2
	s_cbranch_execz .LBB273_281
; %bb.278:                              ;   in Loop: Header=BB273_11 Depth=1
	v_and_b32_e32 v134, 7, v1
	v_lshrrev_b32_e32 v1, 3, v2
	s_mov_b32 s21, exec_lo
	v_cmpx_gt_u32_e32 8, v2
; %bb.279:                              ;   in Loop: Header=BB273_11 Depth=1
	s_delay_alu instid0(VALU_DEP_3) | instskip(NEXT) | instid1(VALU_DEP_1)
	v_clz_i32_u32_e32 v1, v134
	v_min_u32_e32 v1, 32, v1
	s_delay_alu instid0(VALU_DEP_1) | instskip(SKIP_1) | instid1(VALU_DEP_2)
	v_subrev_nc_u32_e32 v2, 28, v1
	v_sub_nc_u32_e32 v1, 29, v1
	v_lshlrev_b64 v[2:3], v2, v[134:135]
	s_delay_alu instid0(VALU_DEP_1)
	v_and_b32_e32 v134, 7, v2
; %bb.280:                              ;   in Loop: Header=BB273_11 Depth=1
	s_or_b32 exec_lo, exec_lo, s21
	v_lshlrev_b32_e32 v2, 16, v0
	s_delay_alu instid0(VALU_DEP_2) | instskip(SKIP_1) | instid1(VALU_DEP_3)
	v_dual_mov_b32 v136, v135 :: v_dual_lshlrev_b32 v3, 20, v134
	v_lshl_add_u32 v1, v1, 23, 0x3c000000
	v_and_b32_e32 v2, 0x80000000, v2
	s_delay_alu instid0(VALU_DEP_1)
	v_or3_b32 v137, v3, v2, v1
.LBB273_281:                            ;   in Loop: Header=BB273_11 Depth=1
	s_or_b32 exec_lo, exec_lo, s8
.LBB273_282:                            ;   in Loop: Header=BB273_11 Depth=1
	s_delay_alu instid0(SALU_CYCLE_1)
	s_or_b32 exec_lo, exec_lo, s20
.LBB273_283:                            ;   in Loop: Header=BB273_11 Depth=1
	s_delay_alu instid0(SALU_CYCLE_1) | instskip(SKIP_4) | instid1(VALU_DEP_2)
	s_or_b32 exec_lo, exec_lo, s19
	v_mov_b32_e32 v140, 0
	v_lshrrev_b32_e32 v1, 16, v0
	v_mov_b32_e32 v141, 0
	s_mov_b32 s8, exec_lo
	v_and_b32_e32 v2, 0xff, v1
	s_delay_alu instid0(VALU_DEP_2) | instskip(NEXT) | instid1(VALU_DEP_2)
	v_dual_mov_b32 v138, v140 :: v_dual_mov_b32 v139, v141
	v_cmpx_ne_u16_e32 0, v2
	s_cbranch_execz .LBB273_291
; %bb.284:                              ;   in Loop: Header=BB273_11 Depth=1
	v_bfrev_b32_e32 v138, 1
	v_mov_b32_e32 v139, 0
	s_mov_b32 s19, exec_lo
	v_cmpx_ne_u16_e32 0x80, v2
	s_cbranch_execz .LBB273_290
; %bb.285:                              ;   in Loop: Header=BB273_11 Depth=1
	v_mov_b32_e32 v138, 0x7f800001
	v_bfe_u32 v3, v0, 16, 7
	v_mov_b32_e32 v139, 0
	s_mov_b32 s20, exec_lo
	s_delay_alu instid0(VALU_DEP_2)
	v_cmpx_ne_u32_e32 0x7f, v3
	s_cbranch_execz .LBB273_289
; %bb.286:                              ;   in Loop: Header=BB273_11 Depth=1
	v_and_b32_e32 v134, 7, v1
	v_lshrrev_b32_e32 v2, 3, v3
	s_mov_b32 s21, exec_lo
	v_cmpx_gt_u32_e32 8, v3
; %bb.287:                              ;   in Loop: Header=BB273_11 Depth=1
	s_delay_alu instid0(VALU_DEP_3) | instskip(NEXT) | instid1(VALU_DEP_1)
	v_clz_i32_u32_e32 v2, v134
	v_min_u32_e32 v2, 32, v2
	s_delay_alu instid0(VALU_DEP_1) | instskip(SKIP_1) | instid1(VALU_DEP_2)
	v_subrev_nc_u32_e32 v3, 28, v2
	v_sub_nc_u32_e32 v2, 29, v2
	v_lshlrev_b64 v[3:4], v3, v[134:135]
	s_delay_alu instid0(VALU_DEP_1)
	v_and_b32_e32 v134, 7, v3
; %bb.288:                              ;   in Loop: Header=BB273_11 Depth=1
	s_or_b32 exec_lo, exec_lo, s21
	v_lshlrev_b32_e32 v1, 24, v1
	s_delay_alu instid0(VALU_DEP_2) | instskip(SKIP_1) | instid1(VALU_DEP_3)
	v_lshlrev_b32_e32 v3, 20, v134
	v_lshl_add_u32 v2, v2, 23, 0x3c000000
	v_and_b32_e32 v1, 0x80000000, v1
	s_delay_alu instid0(VALU_DEP_1) | instskip(NEXT) | instid1(VALU_DEP_1)
	v_or3_b32 v134, v3, v1, v2
	v_dual_mov_b32 v139, v135 :: v_dual_mov_b32 v138, v134
.LBB273_289:                            ;   in Loop: Header=BB273_11 Depth=1
	s_or_b32 exec_lo, exec_lo, s20
.LBB273_290:                            ;   in Loop: Header=BB273_11 Depth=1
	s_delay_alu instid0(SALU_CYCLE_1)
	s_or_b32 exec_lo, exec_lo, s19
.LBB273_291:                            ;   in Loop: Header=BB273_11 Depth=1
	s_delay_alu instid0(SALU_CYCLE_1) | instskip(NEXT) | instid1(SALU_CYCLE_1)
	s_or_b32 exec_lo, exec_lo, s8
	s_mov_b32 s19, exec_lo
	v_cmpx_lt_u32_e32 0xffffff, v0
	s_cbranch_execz .LBB273_299
; %bb.292:                              ;   in Loop: Header=BB273_11 Depth=1
	v_lshrrev_b32_e32 v1, 24, v0
	v_dual_mov_b32 v141, s3 :: v_dual_mov_b32 v140, s2
	s_mov_b32 s20, exec_lo
	s_delay_alu instid0(VALU_DEP_2)
	v_cmpx_ne_u32_e32 0x80, v1
	s_cbranch_execz .LBB273_298
; %bb.293:                              ;   in Loop: Header=BB273_11 Depth=1
	s_mov_b32 s8, s2
	v_bfe_u32 v2, v0, 24, 7
	v_dual_mov_b32 v141, s9 :: v_dual_mov_b32 v140, s8
	s_mov_b32 s8, exec_lo
	s_delay_alu instid0(VALU_DEP_2)
	v_cmpx_ne_u32_e32 0x7f, v2
	s_cbranch_execz .LBB273_297
; %bb.294:                              ;   in Loop: Header=BB273_11 Depth=1
	v_and_b32_e32 v134, 7, v1
	v_lshrrev_b32_e32 v0, 3, v2
	s_mov_b32 s21, exec_lo
	v_cmpx_gt_u32_e32 8, v2
; %bb.295:                              ;   in Loop: Header=BB273_11 Depth=1
	s_delay_alu instid0(VALU_DEP_3) | instskip(NEXT) | instid1(VALU_DEP_1)
	v_clz_i32_u32_e32 v0, v134
	v_min_u32_e32 v0, 32, v0
	s_delay_alu instid0(VALU_DEP_1) | instskip(SKIP_1) | instid1(VALU_DEP_2)
	v_subrev_nc_u32_e32 v2, 28, v0
	v_sub_nc_u32_e32 v0, 29, v0
	v_lshlrev_b64 v[2:3], v2, v[134:135]
	s_delay_alu instid0(VALU_DEP_1)
	v_and_b32_e32 v134, 7, v2
; %bb.296:                              ;   in Loop: Header=BB273_11 Depth=1
	s_or_b32 exec_lo, exec_lo, s21
	v_dual_mov_b32 v140, v135 :: v_dual_lshlrev_b32 v1, 24, v1
	s_delay_alu instid0(VALU_DEP_2) | instskip(SKIP_1) | instid1(VALU_DEP_3)
	v_lshlrev_b32_e32 v2, 20, v134
	v_lshl_add_u32 v0, v0, 23, 0x3c000000
	v_and_b32_e32 v1, 0x80000000, v1
	s_delay_alu instid0(VALU_DEP_1)
	v_or3_b32 v141, v2, v1, v0
.LBB273_297:                            ;   in Loop: Header=BB273_11 Depth=1
	s_or_b32 exec_lo, exec_lo, s8
.LBB273_298:                            ;   in Loop: Header=BB273_11 Depth=1
	s_delay_alu instid0(SALU_CYCLE_1)
	s_or_b32 exec_lo, exec_lo, s20
.LBB273_299:                            ;   in Loop: Header=BB273_11 Depth=1
	s_delay_alu instid0(SALU_CYCLE_1) | instskip(SKIP_3) | instid1(VALU_DEP_2)
	s_or_b32 exec_lo, exec_lo, s19
	flat_load_b32 v0, v[180:181] offset:1028
	v_mov_b32_e32 v152, 0
	v_mov_b32_e32 v153, 0
	;; [unrolled: 1-line block ×3, first 2 shown]
	s_mov_b32 s8, exec_lo
	s_delay_alu instid0(VALU_DEP_2) | instskip(SKIP_2) | instid1(VALU_DEP_1)
	v_mov_b32_e32 v143, v153
	s_waitcnt vmcnt(0) lgkmcnt(0)
	v_and_b32_e32 v1, 0xff, v0
	v_cmpx_ne_u16_e32 0, v1
	s_cbranch_execz .LBB273_307
; %bb.300:                              ;   in Loop: Header=BB273_11 Depth=1
	v_bfrev_b32_e32 v142, 1
	v_mov_b32_e32 v143, 0
	s_mov_b32 s19, exec_lo
	v_cmpx_ne_u16_e32 0x80, v1
	s_cbranch_execz .LBB273_306
; %bb.301:                              ;   in Loop: Header=BB273_11 Depth=1
	v_mov_b32_e32 v142, 0x7f800001
	v_dual_mov_b32 v143, 0 :: v_dual_and_b32 v2, 0x7f, v0
	s_mov_b32 s20, exec_lo
	s_delay_alu instid0(VALU_DEP_1)
	v_cmpx_ne_u32_e32 0x7f, v2
	s_cbranch_execz .LBB273_305
; %bb.302:                              ;   in Loop: Header=BB273_11 Depth=1
	v_and_b32_e32 v134, 7, v0
	v_lshrrev_b32_e32 v1, 3, v2
	s_mov_b32 s21, exec_lo
	v_cmpx_gt_u32_e32 8, v2
; %bb.303:                              ;   in Loop: Header=BB273_11 Depth=1
	s_delay_alu instid0(VALU_DEP_3) | instskip(NEXT) | instid1(VALU_DEP_1)
	v_clz_i32_u32_e32 v1, v134
	v_min_u32_e32 v1, 32, v1
	s_delay_alu instid0(VALU_DEP_1) | instskip(SKIP_1) | instid1(VALU_DEP_2)
	v_subrev_nc_u32_e32 v2, 28, v1
	v_sub_nc_u32_e32 v1, 29, v1
	v_lshlrev_b64 v[2:3], v2, v[134:135]
	s_delay_alu instid0(VALU_DEP_1)
	v_and_b32_e32 v134, 7, v2
; %bb.304:                              ;   in Loop: Header=BB273_11 Depth=1
	s_or_b32 exec_lo, exec_lo, s21
	v_lshlrev_b32_e32 v2, 24, v0
	s_delay_alu instid0(VALU_DEP_2) | instskip(SKIP_1) | instid1(VALU_DEP_3)
	v_lshlrev_b32_e32 v3, 20, v134
	v_lshl_add_u32 v1, v1, 23, 0x3c000000
	v_and_b32_e32 v2, 0x80000000, v2
	s_delay_alu instid0(VALU_DEP_1) | instskip(NEXT) | instid1(VALU_DEP_1)
	v_or3_b32 v134, v3, v2, v1
	v_dual_mov_b32 v143, v135 :: v_dual_mov_b32 v142, v134
.LBB273_305:                            ;   in Loop: Header=BB273_11 Depth=1
	s_or_b32 exec_lo, exec_lo, s20
.LBB273_306:                            ;   in Loop: Header=BB273_11 Depth=1
	s_delay_alu instid0(SALU_CYCLE_1)
	s_or_b32 exec_lo, exec_lo, s19
.LBB273_307:                            ;   in Loop: Header=BB273_11 Depth=1
	s_delay_alu instid0(SALU_CYCLE_1) | instskip(SKIP_2) | instid1(VALU_DEP_1)
	s_or_b32 exec_lo, exec_lo, s8
	v_lshrrev_b16 v1, 8, v0
	s_mov_b32 s19, exec_lo
	v_cmpx_ne_u16_e32 0, v1
	s_cbranch_execz .LBB273_315
; %bb.308:                              ;   in Loop: Header=BB273_11 Depth=1
	v_dual_mov_b32 v153, s3 :: v_dual_mov_b32 v152, s2
	s_mov_b32 s20, exec_lo
	v_cmpx_ne_u16_e32 0x80, v1
	s_cbranch_execz .LBB273_314
; %bb.309:                              ;   in Loop: Header=BB273_11 Depth=1
	s_mov_b32 s8, s2
	v_and_b32_e32 v1, 0xffff, v1
	v_dual_mov_b32 v153, s9 :: v_dual_mov_b32 v152, s8
	s_mov_b32 s8, exec_lo
	s_delay_alu instid0(VALU_DEP_2) | instskip(NEXT) | instid1(VALU_DEP_1)
	v_and_b32_e32 v2, 0x7f, v1
	v_cmpx_ne_u32_e32 0x7f, v2
	s_cbranch_execz .LBB273_313
; %bb.310:                              ;   in Loop: Header=BB273_11 Depth=1
	v_and_b32_e32 v134, 7, v1
	v_lshrrev_b32_e32 v1, 3, v2
	s_mov_b32 s21, exec_lo
	v_cmpx_gt_u32_e32 8, v2
; %bb.311:                              ;   in Loop: Header=BB273_11 Depth=1
	s_delay_alu instid0(VALU_DEP_3) | instskip(NEXT) | instid1(VALU_DEP_1)
	v_clz_i32_u32_e32 v1, v134
	v_min_u32_e32 v1, 32, v1
	s_delay_alu instid0(VALU_DEP_1) | instskip(SKIP_1) | instid1(VALU_DEP_2)
	v_subrev_nc_u32_e32 v2, 28, v1
	v_sub_nc_u32_e32 v1, 29, v1
	v_lshlrev_b64 v[2:3], v2, v[134:135]
	s_delay_alu instid0(VALU_DEP_1)
	v_and_b32_e32 v134, 7, v2
; %bb.312:                              ;   in Loop: Header=BB273_11 Depth=1
	s_or_b32 exec_lo, exec_lo, s21
	v_lshlrev_b32_e32 v2, 16, v0
	s_delay_alu instid0(VALU_DEP_2) | instskip(SKIP_1) | instid1(VALU_DEP_3)
	v_dual_mov_b32 v152, v135 :: v_dual_lshlrev_b32 v3, 20, v134
	v_lshl_add_u32 v1, v1, 23, 0x3c000000
	v_and_b32_e32 v2, 0x80000000, v2
	s_delay_alu instid0(VALU_DEP_1)
	v_or3_b32 v153, v3, v2, v1
.LBB273_313:                            ;   in Loop: Header=BB273_11 Depth=1
	s_or_b32 exec_lo, exec_lo, s8
.LBB273_314:                            ;   in Loop: Header=BB273_11 Depth=1
	s_delay_alu instid0(SALU_CYCLE_1)
	s_or_b32 exec_lo, exec_lo, s20
.LBB273_315:                            ;   in Loop: Header=BB273_11 Depth=1
	s_delay_alu instid0(SALU_CYCLE_1) | instskip(SKIP_4) | instid1(VALU_DEP_2)
	s_or_b32 exec_lo, exec_lo, s19
	v_mov_b32_e32 v156, 0
	v_lshrrev_b32_e32 v1, 16, v0
	v_mov_b32_e32 v157, 0
	s_mov_b32 s8, exec_lo
	v_and_b32_e32 v2, 0xff, v1
	s_delay_alu instid0(VALU_DEP_2) | instskip(NEXT) | instid1(VALU_DEP_2)
	v_dual_mov_b32 v154, v156 :: v_dual_mov_b32 v155, v157
	v_cmpx_ne_u16_e32 0, v2
	s_cbranch_execz .LBB273_323
; %bb.316:                              ;   in Loop: Header=BB273_11 Depth=1
	v_bfrev_b32_e32 v154, 1
	v_mov_b32_e32 v155, 0
	s_mov_b32 s19, exec_lo
	v_cmpx_ne_u16_e32 0x80, v2
	s_cbranch_execz .LBB273_322
; %bb.317:                              ;   in Loop: Header=BB273_11 Depth=1
	v_mov_b32_e32 v154, 0x7f800001
	v_bfe_u32 v3, v0, 16, 7
	v_mov_b32_e32 v155, 0
	s_mov_b32 s20, exec_lo
	s_delay_alu instid0(VALU_DEP_2)
	v_cmpx_ne_u32_e32 0x7f, v3
	s_cbranch_execz .LBB273_321
; %bb.318:                              ;   in Loop: Header=BB273_11 Depth=1
	v_and_b32_e32 v134, 7, v1
	v_lshrrev_b32_e32 v2, 3, v3
	s_mov_b32 s21, exec_lo
	v_cmpx_gt_u32_e32 8, v3
; %bb.319:                              ;   in Loop: Header=BB273_11 Depth=1
	s_delay_alu instid0(VALU_DEP_3) | instskip(NEXT) | instid1(VALU_DEP_1)
	v_clz_i32_u32_e32 v2, v134
	v_min_u32_e32 v2, 32, v2
	s_delay_alu instid0(VALU_DEP_1) | instskip(SKIP_1) | instid1(VALU_DEP_2)
	v_subrev_nc_u32_e32 v3, 28, v2
	v_sub_nc_u32_e32 v2, 29, v2
	v_lshlrev_b64 v[3:4], v3, v[134:135]
	s_delay_alu instid0(VALU_DEP_1)
	v_and_b32_e32 v134, 7, v3
; %bb.320:                              ;   in Loop: Header=BB273_11 Depth=1
	s_or_b32 exec_lo, exec_lo, s21
	v_lshlrev_b32_e32 v1, 24, v1
	s_delay_alu instid0(VALU_DEP_2) | instskip(SKIP_1) | instid1(VALU_DEP_3)
	v_lshlrev_b32_e32 v3, 20, v134
	v_lshl_add_u32 v2, v2, 23, 0x3c000000
	v_and_b32_e32 v1, 0x80000000, v1
	s_delay_alu instid0(VALU_DEP_1) | instskip(NEXT) | instid1(VALU_DEP_1)
	v_or3_b32 v134, v3, v1, v2
	v_dual_mov_b32 v155, v135 :: v_dual_mov_b32 v154, v134
.LBB273_321:                            ;   in Loop: Header=BB273_11 Depth=1
	s_or_b32 exec_lo, exec_lo, s20
.LBB273_322:                            ;   in Loop: Header=BB273_11 Depth=1
	s_delay_alu instid0(SALU_CYCLE_1)
	s_or_b32 exec_lo, exec_lo, s19
.LBB273_323:                            ;   in Loop: Header=BB273_11 Depth=1
	s_delay_alu instid0(SALU_CYCLE_1) | instskip(NEXT) | instid1(SALU_CYCLE_1)
	s_or_b32 exec_lo, exec_lo, s8
	s_mov_b32 s19, exec_lo
	v_cmpx_lt_u32_e32 0xffffff, v0
	s_cbranch_execz .LBB273_331
; %bb.324:                              ;   in Loop: Header=BB273_11 Depth=1
	v_lshrrev_b32_e32 v1, 24, v0
	v_dual_mov_b32 v157, s3 :: v_dual_mov_b32 v156, s2
	s_mov_b32 s20, exec_lo
	s_delay_alu instid0(VALU_DEP_2)
	v_cmpx_ne_u32_e32 0x80, v1
	s_cbranch_execz .LBB273_330
; %bb.325:                              ;   in Loop: Header=BB273_11 Depth=1
	s_mov_b32 s8, s2
	v_bfe_u32 v2, v0, 24, 7
	v_dual_mov_b32 v157, s9 :: v_dual_mov_b32 v156, s8
	s_mov_b32 s8, exec_lo
	s_delay_alu instid0(VALU_DEP_2)
	v_cmpx_ne_u32_e32 0x7f, v2
	s_cbranch_execz .LBB273_329
; %bb.326:                              ;   in Loop: Header=BB273_11 Depth=1
	v_and_b32_e32 v134, 7, v1
	v_lshrrev_b32_e32 v0, 3, v2
	s_mov_b32 s21, exec_lo
	v_cmpx_gt_u32_e32 8, v2
; %bb.327:                              ;   in Loop: Header=BB273_11 Depth=1
	s_delay_alu instid0(VALU_DEP_3) | instskip(NEXT) | instid1(VALU_DEP_1)
	v_clz_i32_u32_e32 v0, v134
	v_min_u32_e32 v0, 32, v0
	s_delay_alu instid0(VALU_DEP_1) | instskip(SKIP_1) | instid1(VALU_DEP_2)
	v_subrev_nc_u32_e32 v2, 28, v0
	v_sub_nc_u32_e32 v0, 29, v0
	v_lshlrev_b64 v[2:3], v2, v[134:135]
	s_delay_alu instid0(VALU_DEP_1)
	v_and_b32_e32 v134, 7, v2
; %bb.328:                              ;   in Loop: Header=BB273_11 Depth=1
	s_or_b32 exec_lo, exec_lo, s21
	v_dual_mov_b32 v156, v135 :: v_dual_lshlrev_b32 v1, 24, v1
	s_delay_alu instid0(VALU_DEP_2) | instskip(SKIP_1) | instid1(VALU_DEP_3)
	v_lshlrev_b32_e32 v2, 20, v134
	v_lshl_add_u32 v0, v0, 23, 0x3c000000
	v_and_b32_e32 v1, 0x80000000, v1
	s_delay_alu instid0(VALU_DEP_1)
	v_or3_b32 v157, v2, v1, v0
.LBB273_329:                            ;   in Loop: Header=BB273_11 Depth=1
	s_or_b32 exec_lo, exec_lo, s8
.LBB273_330:                            ;   in Loop: Header=BB273_11 Depth=1
	s_delay_alu instid0(SALU_CYCLE_1)
	s_or_b32 exec_lo, exec_lo, s20
.LBB273_331:                            ;   in Loop: Header=BB273_11 Depth=1
	s_delay_alu instid0(SALU_CYCLE_1) | instskip(SKIP_4) | instid1(VALU_DEP_1)
	s_or_b32 exec_lo, exec_lo, s19
	flat_load_b32 v0, v[180:181] offset:1032
	v_mov_b32_e32 v158, 0
	v_mov_b32_e32 v159, 0
	s_mov_b32 s8, exec_lo
	v_dual_mov_b32 v169, v159 :: v_dual_mov_b32 v168, v158
	s_waitcnt vmcnt(0) lgkmcnt(0)
	v_and_b32_e32 v1, 0xff, v0
	s_delay_alu instid0(VALU_DEP_1)
	v_cmpx_ne_u16_e32 0, v1
	s_cbranch_execz .LBB273_339
; %bb.332:                              ;   in Loop: Header=BB273_11 Depth=1
	v_bfrev_b32_e32 v168, 1
	v_mov_b32_e32 v169, 0
	s_mov_b32 s19, exec_lo
	v_cmpx_ne_u16_e32 0x80, v1
	s_cbranch_execz .LBB273_338
; %bb.333:                              ;   in Loop: Header=BB273_11 Depth=1
	v_mov_b32_e32 v168, 0x7f800001
	v_dual_mov_b32 v169, 0 :: v_dual_and_b32 v2, 0x7f, v0
	s_mov_b32 s20, exec_lo
	s_delay_alu instid0(VALU_DEP_1)
	v_cmpx_ne_u32_e32 0x7f, v2
	s_cbranch_execz .LBB273_337
; %bb.334:                              ;   in Loop: Header=BB273_11 Depth=1
	v_and_b32_e32 v134, 7, v0
	v_lshrrev_b32_e32 v1, 3, v2
	s_mov_b32 s21, exec_lo
	v_cmpx_gt_u32_e32 8, v2
; %bb.335:                              ;   in Loop: Header=BB273_11 Depth=1
	s_delay_alu instid0(VALU_DEP_3) | instskip(NEXT) | instid1(VALU_DEP_1)
	v_clz_i32_u32_e32 v1, v134
	v_min_u32_e32 v1, 32, v1
	s_delay_alu instid0(VALU_DEP_1) | instskip(SKIP_1) | instid1(VALU_DEP_2)
	v_subrev_nc_u32_e32 v2, 28, v1
	v_sub_nc_u32_e32 v1, 29, v1
	v_lshlrev_b64 v[2:3], v2, v[134:135]
	s_delay_alu instid0(VALU_DEP_1)
	v_and_b32_e32 v134, 7, v2
; %bb.336:                              ;   in Loop: Header=BB273_11 Depth=1
	s_or_b32 exec_lo, exec_lo, s21
	v_lshlrev_b32_e32 v2, 24, v0
	s_delay_alu instid0(VALU_DEP_2) | instskip(SKIP_1) | instid1(VALU_DEP_3)
	v_lshlrev_b32_e32 v3, 20, v134
	v_lshl_add_u32 v1, v1, 23, 0x3c000000
	v_and_b32_e32 v2, 0x80000000, v2
	s_delay_alu instid0(VALU_DEP_1) | instskip(NEXT) | instid1(VALU_DEP_1)
	v_or3_b32 v134, v3, v2, v1
	v_dual_mov_b32 v169, v135 :: v_dual_mov_b32 v168, v134
.LBB273_337:                            ;   in Loop: Header=BB273_11 Depth=1
	s_or_b32 exec_lo, exec_lo, s20
.LBB273_338:                            ;   in Loop: Header=BB273_11 Depth=1
	s_delay_alu instid0(SALU_CYCLE_1)
	s_or_b32 exec_lo, exec_lo, s19
.LBB273_339:                            ;   in Loop: Header=BB273_11 Depth=1
	s_delay_alu instid0(SALU_CYCLE_1) | instskip(SKIP_2) | instid1(VALU_DEP_1)
	s_or_b32 exec_lo, exec_lo, s8
	v_lshrrev_b16 v1, 8, v0
	s_mov_b32 s19, exec_lo
	v_cmpx_ne_u16_e32 0, v1
	s_cbranch_execz .LBB273_347
; %bb.340:                              ;   in Loop: Header=BB273_11 Depth=1
	v_dual_mov_b32 v159, s3 :: v_dual_mov_b32 v158, s2
	s_mov_b32 s20, exec_lo
	v_cmpx_ne_u16_e32 0x80, v1
	s_cbranch_execz .LBB273_346
; %bb.341:                              ;   in Loop: Header=BB273_11 Depth=1
	s_mov_b32 s8, s2
	v_and_b32_e32 v1, 0xffff, v1
	v_dual_mov_b32 v159, s9 :: v_dual_mov_b32 v158, s8
	s_mov_b32 s8, exec_lo
	s_delay_alu instid0(VALU_DEP_2) | instskip(NEXT) | instid1(VALU_DEP_1)
	v_and_b32_e32 v2, 0x7f, v1
	v_cmpx_ne_u32_e32 0x7f, v2
	s_cbranch_execz .LBB273_345
; %bb.342:                              ;   in Loop: Header=BB273_11 Depth=1
	v_and_b32_e32 v134, 7, v1
	v_lshrrev_b32_e32 v1, 3, v2
	s_mov_b32 s21, exec_lo
	v_cmpx_gt_u32_e32 8, v2
; %bb.343:                              ;   in Loop: Header=BB273_11 Depth=1
	s_delay_alu instid0(VALU_DEP_3) | instskip(NEXT) | instid1(VALU_DEP_1)
	v_clz_i32_u32_e32 v1, v134
	v_min_u32_e32 v1, 32, v1
	s_delay_alu instid0(VALU_DEP_1) | instskip(SKIP_1) | instid1(VALU_DEP_2)
	v_subrev_nc_u32_e32 v2, 28, v1
	v_sub_nc_u32_e32 v1, 29, v1
	v_lshlrev_b64 v[2:3], v2, v[134:135]
	s_delay_alu instid0(VALU_DEP_1)
	v_and_b32_e32 v134, 7, v2
; %bb.344:                              ;   in Loop: Header=BB273_11 Depth=1
	s_or_b32 exec_lo, exec_lo, s21
	v_lshlrev_b32_e32 v2, 16, v0
	s_delay_alu instid0(VALU_DEP_2) | instskip(SKIP_1) | instid1(VALU_DEP_3)
	v_dual_mov_b32 v158, v135 :: v_dual_lshlrev_b32 v3, 20, v134
	v_lshl_add_u32 v1, v1, 23, 0x3c000000
	v_and_b32_e32 v2, 0x80000000, v2
	s_delay_alu instid0(VALU_DEP_1)
	v_or3_b32 v159, v3, v2, v1
.LBB273_345:                            ;   in Loop: Header=BB273_11 Depth=1
	s_or_b32 exec_lo, exec_lo, s8
.LBB273_346:                            ;   in Loop: Header=BB273_11 Depth=1
	s_delay_alu instid0(SALU_CYCLE_1)
	s_or_b32 exec_lo, exec_lo, s20
.LBB273_347:                            ;   in Loop: Header=BB273_11 Depth=1
	s_delay_alu instid0(SALU_CYCLE_1) | instskip(SKIP_4) | instid1(VALU_DEP_1)
	s_or_b32 exec_lo, exec_lo, s19
	v_mov_b32_e32 v170, 0
	v_lshrrev_b32_e32 v1, 16, v0
	v_mov_b32_e32 v171, 0
	s_mov_b32 s8, exec_lo
	v_dual_mov_b32 v173, v171 :: v_dual_and_b32 v2, 0xff, v1
	v_mov_b32_e32 v172, v170
	s_delay_alu instid0(VALU_DEP_2)
	v_cmpx_ne_u16_e32 0, v2
	s_cbranch_execz .LBB273_355
; %bb.348:                              ;   in Loop: Header=BB273_11 Depth=1
	v_bfrev_b32_e32 v172, 1
	v_mov_b32_e32 v173, 0
	s_mov_b32 s19, exec_lo
	v_cmpx_ne_u16_e32 0x80, v2
	s_cbranch_execz .LBB273_354
; %bb.349:                              ;   in Loop: Header=BB273_11 Depth=1
	v_mov_b32_e32 v172, 0x7f800001
	v_bfe_u32 v3, v0, 16, 7
	v_mov_b32_e32 v173, 0
	s_mov_b32 s20, exec_lo
	s_delay_alu instid0(VALU_DEP_2)
	v_cmpx_ne_u32_e32 0x7f, v3
	s_cbranch_execz .LBB273_353
; %bb.350:                              ;   in Loop: Header=BB273_11 Depth=1
	v_and_b32_e32 v134, 7, v1
	v_lshrrev_b32_e32 v2, 3, v3
	s_mov_b32 s21, exec_lo
	v_cmpx_gt_u32_e32 8, v3
; %bb.351:                              ;   in Loop: Header=BB273_11 Depth=1
	s_delay_alu instid0(VALU_DEP_3) | instskip(NEXT) | instid1(VALU_DEP_1)
	v_clz_i32_u32_e32 v2, v134
	v_min_u32_e32 v2, 32, v2
	s_delay_alu instid0(VALU_DEP_1) | instskip(SKIP_1) | instid1(VALU_DEP_2)
	v_subrev_nc_u32_e32 v3, 28, v2
	v_sub_nc_u32_e32 v2, 29, v2
	v_lshlrev_b64 v[3:4], v3, v[134:135]
	s_delay_alu instid0(VALU_DEP_1)
	v_and_b32_e32 v134, 7, v3
; %bb.352:                              ;   in Loop: Header=BB273_11 Depth=1
	s_or_b32 exec_lo, exec_lo, s21
	v_lshlrev_b32_e32 v1, 24, v1
	s_delay_alu instid0(VALU_DEP_2) | instskip(SKIP_1) | instid1(VALU_DEP_3)
	v_lshlrev_b32_e32 v3, 20, v134
	v_lshl_add_u32 v2, v2, 23, 0x3c000000
	v_and_b32_e32 v1, 0x80000000, v1
	s_delay_alu instid0(VALU_DEP_1) | instskip(NEXT) | instid1(VALU_DEP_1)
	v_or3_b32 v134, v3, v1, v2
	v_dual_mov_b32 v173, v135 :: v_dual_mov_b32 v172, v134
.LBB273_353:                            ;   in Loop: Header=BB273_11 Depth=1
	s_or_b32 exec_lo, exec_lo, s20
.LBB273_354:                            ;   in Loop: Header=BB273_11 Depth=1
	s_delay_alu instid0(SALU_CYCLE_1)
	s_or_b32 exec_lo, exec_lo, s19
.LBB273_355:                            ;   in Loop: Header=BB273_11 Depth=1
	s_delay_alu instid0(SALU_CYCLE_1) | instskip(NEXT) | instid1(SALU_CYCLE_1)
	s_or_b32 exec_lo, exec_lo, s8
	s_mov_b32 s19, exec_lo
	v_cmpx_lt_u32_e32 0xffffff, v0
	s_cbranch_execz .LBB273_363
; %bb.356:                              ;   in Loop: Header=BB273_11 Depth=1
	v_lshrrev_b32_e32 v1, 24, v0
	v_dual_mov_b32 v171, s3 :: v_dual_mov_b32 v170, s2
	s_mov_b32 s20, exec_lo
	s_delay_alu instid0(VALU_DEP_2)
	v_cmpx_ne_u32_e32 0x80, v1
	s_cbranch_execz .LBB273_362
; %bb.357:                              ;   in Loop: Header=BB273_11 Depth=1
	s_mov_b32 s8, s2
	v_bfe_u32 v2, v0, 24, 7
	v_dual_mov_b32 v171, s9 :: v_dual_mov_b32 v170, s8
	s_mov_b32 s8, exec_lo
	s_delay_alu instid0(VALU_DEP_2)
	v_cmpx_ne_u32_e32 0x7f, v2
	s_cbranch_execz .LBB273_361
; %bb.358:                              ;   in Loop: Header=BB273_11 Depth=1
	v_and_b32_e32 v134, 7, v1
	v_lshrrev_b32_e32 v0, 3, v2
	s_mov_b32 s21, exec_lo
	v_cmpx_gt_u32_e32 8, v2
; %bb.359:                              ;   in Loop: Header=BB273_11 Depth=1
	s_delay_alu instid0(VALU_DEP_3) | instskip(NEXT) | instid1(VALU_DEP_1)
	v_clz_i32_u32_e32 v0, v134
	v_min_u32_e32 v0, 32, v0
	s_delay_alu instid0(VALU_DEP_1) | instskip(SKIP_1) | instid1(VALU_DEP_2)
	v_subrev_nc_u32_e32 v2, 28, v0
	v_sub_nc_u32_e32 v0, 29, v0
	v_lshlrev_b64 v[2:3], v2, v[134:135]
	s_delay_alu instid0(VALU_DEP_1)
	v_and_b32_e32 v134, 7, v2
; %bb.360:                              ;   in Loop: Header=BB273_11 Depth=1
	s_or_b32 exec_lo, exec_lo, s21
	v_dual_mov_b32 v170, v135 :: v_dual_lshlrev_b32 v1, 24, v1
	s_delay_alu instid0(VALU_DEP_2) | instskip(SKIP_1) | instid1(VALU_DEP_3)
	v_lshlrev_b32_e32 v2, 20, v134
	v_lshl_add_u32 v0, v0, 23, 0x3c000000
	v_and_b32_e32 v1, 0x80000000, v1
	s_delay_alu instid0(VALU_DEP_1)
	v_or3_b32 v171, v2, v1, v0
.LBB273_361:                            ;   in Loop: Header=BB273_11 Depth=1
	s_or_b32 exec_lo, exec_lo, s8
.LBB273_362:                            ;   in Loop: Header=BB273_11 Depth=1
	s_delay_alu instid0(SALU_CYCLE_1)
	s_or_b32 exec_lo, exec_lo, s20
.LBB273_363:                            ;   in Loop: Header=BB273_11 Depth=1
	s_delay_alu instid0(SALU_CYCLE_1) | instskip(SKIP_4) | instid1(VALU_DEP_1)
	s_or_b32 exec_lo, exec_lo, s19
	flat_load_b32 v0, v[180:181] offset:1036
	v_mov_b32_e32 v174, 0
	v_mov_b32_e32 v175, 0
	s_mov_b32 s8, exec_lo
	v_dual_mov_b32 v185, v175 :: v_dual_mov_b32 v184, v174
	s_waitcnt vmcnt(0) lgkmcnt(0)
	v_and_b32_e32 v1, 0xff, v0
	s_delay_alu instid0(VALU_DEP_1)
	v_cmpx_ne_u16_e32 0, v1
	s_cbranch_execz .LBB273_371
; %bb.364:                              ;   in Loop: Header=BB273_11 Depth=1
	v_bfrev_b32_e32 v184, 1
	v_mov_b32_e32 v185, 0
	s_mov_b32 s19, exec_lo
	v_cmpx_ne_u16_e32 0x80, v1
	s_cbranch_execz .LBB273_370
; %bb.365:                              ;   in Loop: Header=BB273_11 Depth=1
	v_mov_b32_e32 v184, 0x7f800001
	v_dual_mov_b32 v185, 0 :: v_dual_and_b32 v2, 0x7f, v0
	s_mov_b32 s20, exec_lo
	s_delay_alu instid0(VALU_DEP_1)
	v_cmpx_ne_u32_e32 0x7f, v2
	s_cbranch_execz .LBB273_369
; %bb.366:                              ;   in Loop: Header=BB273_11 Depth=1
	v_and_b32_e32 v134, 7, v0
	v_lshrrev_b32_e32 v1, 3, v2
	s_mov_b32 s21, exec_lo
	v_cmpx_gt_u32_e32 8, v2
; %bb.367:                              ;   in Loop: Header=BB273_11 Depth=1
	s_delay_alu instid0(VALU_DEP_3) | instskip(NEXT) | instid1(VALU_DEP_1)
	v_clz_i32_u32_e32 v1, v134
	v_min_u32_e32 v1, 32, v1
	s_delay_alu instid0(VALU_DEP_1) | instskip(SKIP_1) | instid1(VALU_DEP_2)
	v_subrev_nc_u32_e32 v2, 28, v1
	v_sub_nc_u32_e32 v1, 29, v1
	v_lshlrev_b64 v[2:3], v2, v[134:135]
	s_delay_alu instid0(VALU_DEP_1)
	v_and_b32_e32 v134, 7, v2
; %bb.368:                              ;   in Loop: Header=BB273_11 Depth=1
	s_or_b32 exec_lo, exec_lo, s21
	v_lshlrev_b32_e32 v2, 24, v0
	s_delay_alu instid0(VALU_DEP_2) | instskip(SKIP_1) | instid1(VALU_DEP_3)
	v_lshlrev_b32_e32 v3, 20, v134
	v_lshl_add_u32 v1, v1, 23, 0x3c000000
	v_and_b32_e32 v2, 0x80000000, v2
	s_delay_alu instid0(VALU_DEP_1) | instskip(NEXT) | instid1(VALU_DEP_1)
	v_or3_b32 v134, v3, v2, v1
	v_dual_mov_b32 v185, v135 :: v_dual_mov_b32 v184, v134
.LBB273_369:                            ;   in Loop: Header=BB273_11 Depth=1
	s_or_b32 exec_lo, exec_lo, s20
.LBB273_370:                            ;   in Loop: Header=BB273_11 Depth=1
	s_delay_alu instid0(SALU_CYCLE_1)
	s_or_b32 exec_lo, exec_lo, s19
.LBB273_371:                            ;   in Loop: Header=BB273_11 Depth=1
	s_delay_alu instid0(SALU_CYCLE_1) | instskip(SKIP_2) | instid1(VALU_DEP_1)
	s_or_b32 exec_lo, exec_lo, s8
	v_lshrrev_b16 v1, 8, v0
	s_mov_b32 s19, exec_lo
	v_cmpx_ne_u16_e32 0, v1
	s_cbranch_execz .LBB273_379
; %bb.372:                              ;   in Loop: Header=BB273_11 Depth=1
	v_dual_mov_b32 v175, s3 :: v_dual_mov_b32 v174, s2
	s_mov_b32 s20, exec_lo
	v_cmpx_ne_u16_e32 0x80, v1
	s_cbranch_execz .LBB273_378
; %bb.373:                              ;   in Loop: Header=BB273_11 Depth=1
	s_mov_b32 s8, s2
	v_and_b32_e32 v1, 0xffff, v1
	v_dual_mov_b32 v175, s9 :: v_dual_mov_b32 v174, s8
	s_mov_b32 s8, exec_lo
	s_delay_alu instid0(VALU_DEP_2) | instskip(NEXT) | instid1(VALU_DEP_1)
	v_and_b32_e32 v2, 0x7f, v1
	v_cmpx_ne_u32_e32 0x7f, v2
	s_cbranch_execz .LBB273_377
; %bb.374:                              ;   in Loop: Header=BB273_11 Depth=1
	v_and_b32_e32 v134, 7, v1
	v_lshrrev_b32_e32 v1, 3, v2
	s_mov_b32 s21, exec_lo
	v_cmpx_gt_u32_e32 8, v2
; %bb.375:                              ;   in Loop: Header=BB273_11 Depth=1
	s_delay_alu instid0(VALU_DEP_3) | instskip(NEXT) | instid1(VALU_DEP_1)
	v_clz_i32_u32_e32 v1, v134
	v_min_u32_e32 v1, 32, v1
	s_delay_alu instid0(VALU_DEP_1) | instskip(SKIP_1) | instid1(VALU_DEP_2)
	v_subrev_nc_u32_e32 v2, 28, v1
	v_sub_nc_u32_e32 v1, 29, v1
	v_lshlrev_b64 v[2:3], v2, v[134:135]
	s_delay_alu instid0(VALU_DEP_1)
	v_and_b32_e32 v134, 7, v2
; %bb.376:                              ;   in Loop: Header=BB273_11 Depth=1
	s_or_b32 exec_lo, exec_lo, s21
	v_lshlrev_b32_e32 v2, 16, v0
	s_delay_alu instid0(VALU_DEP_2) | instskip(SKIP_1) | instid1(VALU_DEP_3)
	v_dual_mov_b32 v174, v135 :: v_dual_lshlrev_b32 v3, 20, v134
	v_lshl_add_u32 v1, v1, 23, 0x3c000000
	v_and_b32_e32 v2, 0x80000000, v2
	s_delay_alu instid0(VALU_DEP_1)
	v_or3_b32 v175, v3, v2, v1
.LBB273_377:                            ;   in Loop: Header=BB273_11 Depth=1
	s_or_b32 exec_lo, exec_lo, s8
.LBB273_378:                            ;   in Loop: Header=BB273_11 Depth=1
	s_delay_alu instid0(SALU_CYCLE_1)
	s_or_b32 exec_lo, exec_lo, s20
.LBB273_379:                            ;   in Loop: Header=BB273_11 Depth=1
	s_delay_alu instid0(SALU_CYCLE_1) | instskip(SKIP_4) | instid1(VALU_DEP_1)
	s_or_b32 exec_lo, exec_lo, s19
	v_mov_b32_e32 v186, 0
	v_lshrrev_b32_e32 v1, 16, v0
	v_mov_b32_e32 v187, 0
	s_mov_b32 s8, exec_lo
	v_dual_mov_b32 v189, v187 :: v_dual_and_b32 v2, 0xff, v1
	v_mov_b32_e32 v188, v186
	s_delay_alu instid0(VALU_DEP_2)
	v_cmpx_ne_u16_e32 0, v2
	s_cbranch_execz .LBB273_387
; %bb.380:                              ;   in Loop: Header=BB273_11 Depth=1
	v_bfrev_b32_e32 v188, 1
	v_mov_b32_e32 v189, 0
	s_mov_b32 s19, exec_lo
	v_cmpx_ne_u16_e32 0x80, v2
	s_cbranch_execz .LBB273_386
; %bb.381:                              ;   in Loop: Header=BB273_11 Depth=1
	v_mov_b32_e32 v188, 0x7f800001
	v_bfe_u32 v3, v0, 16, 7
	v_mov_b32_e32 v189, 0
	s_mov_b32 s20, exec_lo
	s_delay_alu instid0(VALU_DEP_2)
	v_cmpx_ne_u32_e32 0x7f, v3
	s_cbranch_execz .LBB273_385
; %bb.382:                              ;   in Loop: Header=BB273_11 Depth=1
	v_and_b32_e32 v134, 7, v1
	v_lshrrev_b32_e32 v2, 3, v3
	s_mov_b32 s21, exec_lo
	v_cmpx_gt_u32_e32 8, v3
; %bb.383:                              ;   in Loop: Header=BB273_11 Depth=1
	s_delay_alu instid0(VALU_DEP_3) | instskip(NEXT) | instid1(VALU_DEP_1)
	v_clz_i32_u32_e32 v2, v134
	v_min_u32_e32 v2, 32, v2
	s_delay_alu instid0(VALU_DEP_1) | instskip(SKIP_1) | instid1(VALU_DEP_2)
	v_subrev_nc_u32_e32 v3, 28, v2
	v_sub_nc_u32_e32 v2, 29, v2
	v_lshlrev_b64 v[3:4], v3, v[134:135]
	s_delay_alu instid0(VALU_DEP_1)
	v_and_b32_e32 v134, 7, v3
; %bb.384:                              ;   in Loop: Header=BB273_11 Depth=1
	s_or_b32 exec_lo, exec_lo, s21
	v_lshlrev_b32_e32 v1, 24, v1
	s_delay_alu instid0(VALU_DEP_2) | instskip(SKIP_1) | instid1(VALU_DEP_3)
	v_lshlrev_b32_e32 v3, 20, v134
	v_lshl_add_u32 v2, v2, 23, 0x3c000000
	v_and_b32_e32 v1, 0x80000000, v1
	s_delay_alu instid0(VALU_DEP_1) | instskip(NEXT) | instid1(VALU_DEP_1)
	v_or3_b32 v134, v3, v1, v2
	v_dual_mov_b32 v189, v135 :: v_dual_mov_b32 v188, v134
.LBB273_385:                            ;   in Loop: Header=BB273_11 Depth=1
	s_or_b32 exec_lo, exec_lo, s20
.LBB273_386:                            ;   in Loop: Header=BB273_11 Depth=1
	s_delay_alu instid0(SALU_CYCLE_1)
	s_or_b32 exec_lo, exec_lo, s19
.LBB273_387:                            ;   in Loop: Header=BB273_11 Depth=1
	s_delay_alu instid0(SALU_CYCLE_1) | instskip(NEXT) | instid1(SALU_CYCLE_1)
	s_or_b32 exec_lo, exec_lo, s8
	s_mov_b32 s19, exec_lo
	v_cmpx_lt_u32_e32 0xffffff, v0
	s_cbranch_execz .LBB273_395
; %bb.388:                              ;   in Loop: Header=BB273_11 Depth=1
	v_lshrrev_b32_e32 v1, 24, v0
	v_dual_mov_b32 v187, s3 :: v_dual_mov_b32 v186, s2
	s_mov_b32 s20, exec_lo
	s_delay_alu instid0(VALU_DEP_2)
	v_cmpx_ne_u32_e32 0x80, v1
	s_cbranch_execz .LBB273_394
; %bb.389:                              ;   in Loop: Header=BB273_11 Depth=1
	s_mov_b32 s8, s2
	v_bfe_u32 v2, v0, 24, 7
	v_dual_mov_b32 v187, s9 :: v_dual_mov_b32 v186, s8
	s_mov_b32 s8, exec_lo
	s_delay_alu instid0(VALU_DEP_2)
	v_cmpx_ne_u32_e32 0x7f, v2
	s_cbranch_execz .LBB273_393
; %bb.390:                              ;   in Loop: Header=BB273_11 Depth=1
	v_and_b32_e32 v134, 7, v1
	v_lshrrev_b32_e32 v0, 3, v2
	s_mov_b32 s21, exec_lo
	v_cmpx_gt_u32_e32 8, v2
; %bb.391:                              ;   in Loop: Header=BB273_11 Depth=1
	s_delay_alu instid0(VALU_DEP_3) | instskip(NEXT) | instid1(VALU_DEP_1)
	v_clz_i32_u32_e32 v0, v134
	v_min_u32_e32 v0, 32, v0
	s_delay_alu instid0(VALU_DEP_1) | instskip(SKIP_1) | instid1(VALU_DEP_2)
	v_subrev_nc_u32_e32 v2, 28, v0
	v_sub_nc_u32_e32 v0, 29, v0
	v_lshlrev_b64 v[2:3], v2, v[134:135]
	s_delay_alu instid0(VALU_DEP_1)
	v_and_b32_e32 v134, 7, v2
; %bb.392:                              ;   in Loop: Header=BB273_11 Depth=1
	s_or_b32 exec_lo, exec_lo, s21
	v_dual_mov_b32 v186, v135 :: v_dual_lshlrev_b32 v1, 24, v1
	s_delay_alu instid0(VALU_DEP_2) | instskip(SKIP_1) | instid1(VALU_DEP_3)
	v_lshlrev_b32_e32 v2, 20, v134
	v_lshl_add_u32 v0, v0, 23, 0x3c000000
	v_and_b32_e32 v1, 0x80000000, v1
	s_delay_alu instid0(VALU_DEP_1)
	v_or3_b32 v187, v2, v1, v0
.LBB273_393:                            ;   in Loop: Header=BB273_11 Depth=1
	s_or_b32 exec_lo, exec_lo, s8
.LBB273_394:                            ;   in Loop: Header=BB273_11 Depth=1
	s_delay_alu instid0(SALU_CYCLE_1)
	s_or_b32 exec_lo, exec_lo, s20
.LBB273_395:                            ;   in Loop: Header=BB273_11 Depth=1
	s_delay_alu instid0(SALU_CYCLE_1) | instskip(SKIP_3) | instid1(VALU_DEP_2)
	s_or_b32 exec_lo, exec_lo, s19
	flat_load_b32 v0, v[180:181] offset:1536
	v_mov_b32_e32 v190, 0
	v_mov_b32_e32 v191, 0
	;; [unrolled: 1-line block ×3, first 2 shown]
	s_mov_b32 s8, exec_lo
	s_delay_alu instid0(VALU_DEP_2) | instskip(SKIP_2) | instid1(VALU_DEP_1)
	v_mov_b32_e32 v133, v191
	s_waitcnt vmcnt(0) lgkmcnt(0)
	v_and_b32_e32 v1, 0xff, v0
	v_cmpx_ne_u16_e32 0, v1
	s_cbranch_execz .LBB273_403
; %bb.396:                              ;   in Loop: Header=BB273_11 Depth=1
	v_bfrev_b32_e32 v132, 1
	v_mov_b32_e32 v133, 0
	s_mov_b32 s19, exec_lo
	v_cmpx_ne_u16_e32 0x80, v1
	s_cbranch_execz .LBB273_402
; %bb.397:                              ;   in Loop: Header=BB273_11 Depth=1
	v_mov_b32_e32 v132, 0x7f800001
	v_dual_mov_b32 v133, 0 :: v_dual_and_b32 v2, 0x7f, v0
	s_mov_b32 s20, exec_lo
	s_delay_alu instid0(VALU_DEP_1)
	v_cmpx_ne_u32_e32 0x7f, v2
	s_cbranch_execz .LBB273_401
; %bb.398:                              ;   in Loop: Header=BB273_11 Depth=1
	v_and_b32_e32 v134, 7, v0
	v_lshrrev_b32_e32 v1, 3, v2
	s_mov_b32 s21, exec_lo
	v_cmpx_gt_u32_e32 8, v2
; %bb.399:                              ;   in Loop: Header=BB273_11 Depth=1
	s_delay_alu instid0(VALU_DEP_3) | instskip(NEXT) | instid1(VALU_DEP_1)
	v_clz_i32_u32_e32 v1, v134
	v_min_u32_e32 v1, 32, v1
	s_delay_alu instid0(VALU_DEP_1) | instskip(SKIP_1) | instid1(VALU_DEP_2)
	v_subrev_nc_u32_e32 v2, 28, v1
	v_sub_nc_u32_e32 v1, 29, v1
	v_lshlrev_b64 v[2:3], v2, v[134:135]
	s_delay_alu instid0(VALU_DEP_1)
	v_and_b32_e32 v134, 7, v2
; %bb.400:                              ;   in Loop: Header=BB273_11 Depth=1
	s_or_b32 exec_lo, exec_lo, s21
	v_lshlrev_b32_e32 v2, 24, v0
	s_delay_alu instid0(VALU_DEP_2) | instskip(SKIP_1) | instid1(VALU_DEP_3)
	v_lshlrev_b32_e32 v3, 20, v134
	v_lshl_add_u32 v1, v1, 23, 0x3c000000
	v_and_b32_e32 v2, 0x80000000, v2
	s_delay_alu instid0(VALU_DEP_1) | instskip(NEXT) | instid1(VALU_DEP_1)
	v_or3_b32 v134, v3, v2, v1
	v_dual_mov_b32 v132, v134 :: v_dual_mov_b32 v133, v135
.LBB273_401:                            ;   in Loop: Header=BB273_11 Depth=1
	s_or_b32 exec_lo, exec_lo, s20
.LBB273_402:                            ;   in Loop: Header=BB273_11 Depth=1
	s_delay_alu instid0(SALU_CYCLE_1)
	s_or_b32 exec_lo, exec_lo, s19
.LBB273_403:                            ;   in Loop: Header=BB273_11 Depth=1
	s_delay_alu instid0(SALU_CYCLE_1) | instskip(SKIP_2) | instid1(VALU_DEP_1)
	s_or_b32 exec_lo, exec_lo, s8
	v_lshrrev_b16 v1, 8, v0
	s_mov_b32 s19, exec_lo
	v_cmpx_ne_u16_e32 0, v1
	s_cbranch_execz .LBB273_411
; %bb.404:                              ;   in Loop: Header=BB273_11 Depth=1
	v_dual_mov_b32 v191, s3 :: v_dual_mov_b32 v190, s2
	s_mov_b32 s20, exec_lo
	v_cmpx_ne_u16_e32 0x80, v1
	s_cbranch_execz .LBB273_410
; %bb.405:                              ;   in Loop: Header=BB273_11 Depth=1
	s_mov_b32 s8, s2
	v_and_b32_e32 v1, 0xffff, v1
	v_dual_mov_b32 v191, s9 :: v_dual_mov_b32 v190, s8
	s_mov_b32 s8, exec_lo
	s_delay_alu instid0(VALU_DEP_2) | instskip(NEXT) | instid1(VALU_DEP_1)
	v_and_b32_e32 v2, 0x7f, v1
	v_cmpx_ne_u32_e32 0x7f, v2
	s_cbranch_execz .LBB273_409
; %bb.406:                              ;   in Loop: Header=BB273_11 Depth=1
	v_and_b32_e32 v134, 7, v1
	v_lshrrev_b32_e32 v1, 3, v2
	s_mov_b32 s21, exec_lo
	v_cmpx_gt_u32_e32 8, v2
; %bb.407:                              ;   in Loop: Header=BB273_11 Depth=1
	s_delay_alu instid0(VALU_DEP_3) | instskip(NEXT) | instid1(VALU_DEP_1)
	v_clz_i32_u32_e32 v1, v134
	v_min_u32_e32 v1, 32, v1
	s_delay_alu instid0(VALU_DEP_1) | instskip(SKIP_1) | instid1(VALU_DEP_2)
	v_subrev_nc_u32_e32 v2, 28, v1
	v_sub_nc_u32_e32 v1, 29, v1
	v_lshlrev_b64 v[2:3], v2, v[134:135]
	s_delay_alu instid0(VALU_DEP_1)
	v_and_b32_e32 v134, 7, v2
; %bb.408:                              ;   in Loop: Header=BB273_11 Depth=1
	s_or_b32 exec_lo, exec_lo, s21
	v_lshlrev_b32_e32 v2, 16, v0
	s_delay_alu instid0(VALU_DEP_2) | instskip(SKIP_1) | instid1(VALU_DEP_3)
	v_dual_mov_b32 v190, v135 :: v_dual_lshlrev_b32 v3, 20, v134
	v_lshl_add_u32 v1, v1, 23, 0x3c000000
	v_and_b32_e32 v2, 0x80000000, v2
	s_delay_alu instid0(VALU_DEP_1)
	v_or3_b32 v191, v3, v2, v1
.LBB273_409:                            ;   in Loop: Header=BB273_11 Depth=1
	s_or_b32 exec_lo, exec_lo, s8
.LBB273_410:                            ;   in Loop: Header=BB273_11 Depth=1
	s_delay_alu instid0(SALU_CYCLE_1)
	s_or_b32 exec_lo, exec_lo, s20
.LBB273_411:                            ;   in Loop: Header=BB273_11 Depth=1
	s_delay_alu instid0(SALU_CYCLE_1) | instskip(SKIP_3) | instid1(VALU_DEP_2)
	s_or_b32 exec_lo, exec_lo, s19
	v_lshrrev_b32_e32 v1, 16, v0
	v_mov_b32_e32 v11, 0
	v_mov_b32_e32 v12, 0
	;; [unrolled: 1-line block ×3, first 2 shown]
	s_mov_b32 s8, exec_lo
	s_delay_alu instid0(VALU_DEP_2) | instskip(NEXT) | instid1(VALU_DEP_1)
	v_dual_mov_b32 v5, v12 :: v_dual_and_b32 v2, 0xff, v1
	v_cmpx_ne_u16_e32 0, v2
	s_cbranch_execz .LBB273_419
; %bb.412:                              ;   in Loop: Header=BB273_11 Depth=1
	v_bfrev_b32_e32 v4, 1
	v_mov_b32_e32 v5, 0
	s_mov_b32 s19, exec_lo
	v_cmpx_ne_u16_e32 0x80, v2
	s_cbranch_execz .LBB273_418
; %bb.413:                              ;   in Loop: Header=BB273_11 Depth=1
	v_mov_b32_e32 v4, 0x7f800001
	v_bfe_u32 v3, v0, 16, 7
	v_mov_b32_e32 v5, 0
	s_mov_b32 s20, exec_lo
	s_delay_alu instid0(VALU_DEP_2)
	v_cmpx_ne_u32_e32 0x7f, v3
	s_cbranch_execz .LBB273_417
; %bb.414:                              ;   in Loop: Header=BB273_11 Depth=1
	v_and_b32_e32 v134, 7, v1
	v_lshrrev_b32_e32 v2, 3, v3
	s_mov_b32 s21, exec_lo
	v_cmpx_gt_u32_e32 8, v3
; %bb.415:                              ;   in Loop: Header=BB273_11 Depth=1
	s_delay_alu instid0(VALU_DEP_3) | instskip(NEXT) | instid1(VALU_DEP_1)
	v_clz_i32_u32_e32 v2, v134
	v_min_u32_e32 v2, 32, v2
	s_delay_alu instid0(VALU_DEP_1) | instskip(SKIP_1) | instid1(VALU_DEP_2)
	v_subrev_nc_u32_e32 v3, 28, v2
	v_sub_nc_u32_e32 v2, 29, v2
	v_lshlrev_b64 v[3:4], v3, v[134:135]
	s_delay_alu instid0(VALU_DEP_1)
	v_and_b32_e32 v134, 7, v3
; %bb.416:                              ;   in Loop: Header=BB273_11 Depth=1
	s_or_b32 exec_lo, exec_lo, s21
	v_lshlrev_b32_e32 v1, 24, v1
	s_delay_alu instid0(VALU_DEP_2) | instskip(SKIP_1) | instid1(VALU_DEP_3)
	v_lshlrev_b32_e32 v3, 20, v134
	v_lshl_add_u32 v2, v2, 23, 0x3c000000
	v_and_b32_e32 v1, 0x80000000, v1
	s_delay_alu instid0(VALU_DEP_1) | instskip(NEXT) | instid1(VALU_DEP_1)
	v_or3_b32 v134, v3, v1, v2
	v_dual_mov_b32 v4, v134 :: v_dual_mov_b32 v5, v135
.LBB273_417:                            ;   in Loop: Header=BB273_11 Depth=1
	s_or_b32 exec_lo, exec_lo, s20
.LBB273_418:                            ;   in Loop: Header=BB273_11 Depth=1
	s_delay_alu instid0(SALU_CYCLE_1)
	s_or_b32 exec_lo, exec_lo, s19
.LBB273_419:                            ;   in Loop: Header=BB273_11 Depth=1
	s_delay_alu instid0(SALU_CYCLE_1) | instskip(NEXT) | instid1(SALU_CYCLE_1)
	s_or_b32 exec_lo, exec_lo, s8
	s_mov_b32 s19, exec_lo
	v_cmpx_lt_u32_e32 0xffffff, v0
	s_cbranch_execz .LBB273_427
; %bb.420:                              ;   in Loop: Header=BB273_11 Depth=1
	v_lshrrev_b32_e32 v1, 24, v0
	v_dual_mov_b32 v12, s3 :: v_dual_mov_b32 v11, s2
	s_mov_b32 s20, exec_lo
	s_delay_alu instid0(VALU_DEP_2)
	v_cmpx_ne_u32_e32 0x80, v1
	s_cbranch_execz .LBB273_426
; %bb.421:                              ;   in Loop: Header=BB273_11 Depth=1
	s_mov_b32 s8, s2
	v_bfe_u32 v2, v0, 24, 7
	v_dual_mov_b32 v12, s9 :: v_dual_mov_b32 v11, s8
	s_mov_b32 s8, exec_lo
	s_delay_alu instid0(VALU_DEP_2)
	v_cmpx_ne_u32_e32 0x7f, v2
	s_cbranch_execz .LBB273_425
; %bb.422:                              ;   in Loop: Header=BB273_11 Depth=1
	v_and_b32_e32 v134, 7, v1
	v_lshrrev_b32_e32 v0, 3, v2
	s_mov_b32 s21, exec_lo
	v_cmpx_gt_u32_e32 8, v2
; %bb.423:                              ;   in Loop: Header=BB273_11 Depth=1
	s_delay_alu instid0(VALU_DEP_3) | instskip(NEXT) | instid1(VALU_DEP_1)
	v_clz_i32_u32_e32 v0, v134
	v_min_u32_e32 v0, 32, v0
	s_delay_alu instid0(VALU_DEP_1) | instskip(SKIP_1) | instid1(VALU_DEP_2)
	v_subrev_nc_u32_e32 v2, 28, v0
	v_sub_nc_u32_e32 v0, 29, v0
	v_lshlrev_b64 v[2:3], v2, v[134:135]
	s_delay_alu instid0(VALU_DEP_1)
	v_and_b32_e32 v134, 7, v2
; %bb.424:                              ;   in Loop: Header=BB273_11 Depth=1
	s_or_b32 exec_lo, exec_lo, s21
	v_lshlrev_b32_e32 v1, 24, v1
	s_delay_alu instid0(VALU_DEP_2) | instskip(SKIP_1) | instid1(VALU_DEP_3)
	v_dual_mov_b32 v11, v135 :: v_dual_lshlrev_b32 v2, 20, v134
	v_lshl_add_u32 v0, v0, 23, 0x3c000000
	v_and_b32_e32 v1, 0x80000000, v1
	s_delay_alu instid0(VALU_DEP_1)
	v_or3_b32 v12, v2, v1, v0
.LBB273_425:                            ;   in Loop: Header=BB273_11 Depth=1
	s_or_b32 exec_lo, exec_lo, s8
.LBB273_426:                            ;   in Loop: Header=BB273_11 Depth=1
	s_delay_alu instid0(SALU_CYCLE_1)
	s_or_b32 exec_lo, exec_lo, s20
.LBB273_427:                            ;   in Loop: Header=BB273_11 Depth=1
	s_delay_alu instid0(SALU_CYCLE_1) | instskip(SKIP_4) | instid1(VALU_DEP_1)
	s_or_b32 exec_lo, exec_lo, s19
	flat_load_b32 v6, v[180:181] offset:1540
	v_mov_b32_e32 v0, 0
	v_mov_b32_e32 v1, 0
	s_mov_b32 s8, exec_lo
	v_dual_mov_b32 v3, v1 :: v_dual_mov_b32 v2, v0
	s_waitcnt vmcnt(0) lgkmcnt(0)
	v_and_b32_e32 v7, 0xff, v6
	s_delay_alu instid0(VALU_DEP_1)
	v_cmpx_ne_u16_e32 0, v7
	s_cbranch_execz .LBB273_435
; %bb.428:                              ;   in Loop: Header=BB273_11 Depth=1
	v_bfrev_b32_e32 v2, 1
	v_mov_b32_e32 v3, 0
	s_mov_b32 s19, exec_lo
	v_cmpx_ne_u16_e32 0x80, v7
	s_cbranch_execz .LBB273_434
; %bb.429:                              ;   in Loop: Header=BB273_11 Depth=1
	v_mov_b32_e32 v2, 0x7f800001
	v_and_b32_e32 v7, 0x7f, v6
	v_mov_b32_e32 v3, 0
	s_mov_b32 s20, exec_lo
	s_delay_alu instid0(VALU_DEP_2)
	v_cmpx_ne_u32_e32 0x7f, v7
	s_cbranch_execz .LBB273_433
; %bb.430:                              ;   in Loop: Header=BB273_11 Depth=1
	v_and_b32_e32 v134, 7, v6
	v_lshrrev_b32_e32 v2, 3, v7
	s_mov_b32 s21, exec_lo
	v_cmpx_gt_u32_e32 8, v7
; %bb.431:                              ;   in Loop: Header=BB273_11 Depth=1
	s_delay_alu instid0(VALU_DEP_3) | instskip(NEXT) | instid1(VALU_DEP_1)
	v_clz_i32_u32_e32 v2, v134
	v_min_u32_e32 v2, 32, v2
	s_delay_alu instid0(VALU_DEP_1) | instskip(SKIP_1) | instid1(VALU_DEP_2)
	v_subrev_nc_u32_e32 v3, 28, v2
	v_sub_nc_u32_e32 v2, 29, v2
	v_lshlrev_b64 v[7:8], v3, v[134:135]
	s_delay_alu instid0(VALU_DEP_1)
	v_and_b32_e32 v134, 7, v7
; %bb.432:                              ;   in Loop: Header=BB273_11 Depth=1
	s_or_b32 exec_lo, exec_lo, s21
	v_lshlrev_b32_e32 v3, 24, v6
	s_delay_alu instid0(VALU_DEP_2) | instskip(SKIP_1) | instid1(VALU_DEP_3)
	v_lshlrev_b32_e32 v7, 20, v134
	v_lshl_add_u32 v2, v2, 23, 0x3c000000
	v_and_b32_e32 v3, 0x80000000, v3
	s_delay_alu instid0(VALU_DEP_1) | instskip(NEXT) | instid1(VALU_DEP_1)
	v_or3_b32 v134, v7, v3, v2
	v_dual_mov_b32 v2, v134 :: v_dual_mov_b32 v3, v135
.LBB273_433:                            ;   in Loop: Header=BB273_11 Depth=1
	s_or_b32 exec_lo, exec_lo, s20
.LBB273_434:                            ;   in Loop: Header=BB273_11 Depth=1
	s_delay_alu instid0(SALU_CYCLE_1)
	s_or_b32 exec_lo, exec_lo, s19
.LBB273_435:                            ;   in Loop: Header=BB273_11 Depth=1
	s_delay_alu instid0(SALU_CYCLE_1) | instskip(SKIP_2) | instid1(VALU_DEP_1)
	s_or_b32 exec_lo, exec_lo, s8
	v_lshrrev_b16 v7, 8, v6
	s_mov_b32 s19, exec_lo
	v_cmpx_ne_u16_e32 0, v7
	s_cbranch_execz .LBB273_443
; %bb.436:                              ;   in Loop: Header=BB273_11 Depth=1
	v_dual_mov_b32 v0, s2 :: v_dual_mov_b32 v1, s3
	s_mov_b32 s20, exec_lo
	v_cmpx_ne_u16_e32 0x80, v7
	s_cbranch_execz .LBB273_442
; %bb.437:                              ;   in Loop: Header=BB273_11 Depth=1
	s_mov_b32 s8, s2
	v_and_b32_e32 v8, 0xffff, v7
	v_dual_mov_b32 v0, s8 :: v_dual_mov_b32 v1, s9
	s_mov_b32 s8, exec_lo
	s_delay_alu instid0(VALU_DEP_2) | instskip(NEXT) | instid1(VALU_DEP_1)
	v_and_b32_e32 v7, 0x7f, v8
	v_cmpx_ne_u32_e32 0x7f, v7
	s_cbranch_execz .LBB273_441
; %bb.438:                              ;   in Loop: Header=BB273_11 Depth=1
	v_and_b32_e32 v134, 7, v8
	v_lshrrev_b32_e32 v0, 3, v7
	s_mov_b32 s21, exec_lo
	v_cmpx_gt_u32_e32 8, v7
; %bb.439:                              ;   in Loop: Header=BB273_11 Depth=1
	s_delay_alu instid0(VALU_DEP_3) | instskip(NEXT) | instid1(VALU_DEP_1)
	v_clz_i32_u32_e32 v0, v134
	v_min_u32_e32 v0, 32, v0
	s_delay_alu instid0(VALU_DEP_1) | instskip(SKIP_1) | instid1(VALU_DEP_2)
	v_subrev_nc_u32_e32 v1, 28, v0
	v_sub_nc_u32_e32 v0, 29, v0
	v_lshlrev_b64 v[7:8], v1, v[134:135]
	s_delay_alu instid0(VALU_DEP_1)
	v_and_b32_e32 v134, 7, v7
; %bb.440:                              ;   in Loop: Header=BB273_11 Depth=1
	s_or_b32 exec_lo, exec_lo, s21
	v_lshlrev_b32_e32 v1, 16, v6
	s_delay_alu instid0(VALU_DEP_2) | instskip(SKIP_1) | instid1(VALU_DEP_3)
	v_lshlrev_b32_e32 v7, 20, v134
	v_lshl_add_u32 v0, v0, 23, 0x3c000000
	v_and_b32_e32 v1, 0x80000000, v1
	s_delay_alu instid0(VALU_DEP_1)
	v_or3_b32 v1, v7, v1, v0
	v_mov_b32_e32 v0, v135
.LBB273_441:                            ;   in Loop: Header=BB273_11 Depth=1
	s_or_b32 exec_lo, exec_lo, s8
.LBB273_442:                            ;   in Loop: Header=BB273_11 Depth=1
	s_delay_alu instid0(SALU_CYCLE_1)
	s_or_b32 exec_lo, exec_lo, s20
.LBB273_443:                            ;   in Loop: Header=BB273_11 Depth=1
	s_delay_alu instid0(SALU_CYCLE_1) | instskip(SKIP_4) | instid1(VALU_DEP_1)
	s_or_b32 exec_lo, exec_lo, s19
	v_mov_b32_e32 v14, 0
	v_lshrrev_b32_e32 v7, 16, v6
	v_mov_b32_e32 v15, 0
	s_mov_b32 s8, exec_lo
	v_dual_mov_b32 v145, v15 :: v_dual_and_b32 v8, 0xff, v7
	v_mov_b32_e32 v144, v14
	s_delay_alu instid0(VALU_DEP_2)
	v_cmpx_ne_u16_e32 0, v8
	s_cbranch_execz .LBB273_451
; %bb.444:                              ;   in Loop: Header=BB273_11 Depth=1
	v_bfrev_b32_e32 v144, 1
	v_mov_b32_e32 v145, 0
	s_mov_b32 s19, exec_lo
	v_cmpx_ne_u16_e32 0x80, v8
	s_cbranch_execz .LBB273_450
; %bb.445:                              ;   in Loop: Header=BB273_11 Depth=1
	v_mov_b32_e32 v144, 0x7f800001
	v_bfe_u32 v9, v6, 16, 7
	v_mov_b32_e32 v145, 0
	s_mov_b32 s20, exec_lo
	s_delay_alu instid0(VALU_DEP_2)
	v_cmpx_ne_u32_e32 0x7f, v9
	s_cbranch_execz .LBB273_449
; %bb.446:                              ;   in Loop: Header=BB273_11 Depth=1
	v_and_b32_e32 v134, 7, v7
	v_lshrrev_b32_e32 v8, 3, v9
	s_mov_b32 s21, exec_lo
	v_cmpx_gt_u32_e32 8, v9
; %bb.447:                              ;   in Loop: Header=BB273_11 Depth=1
	s_delay_alu instid0(VALU_DEP_3) | instskip(NEXT) | instid1(VALU_DEP_1)
	v_clz_i32_u32_e32 v8, v134
	v_min_u32_e32 v8, 32, v8
	s_delay_alu instid0(VALU_DEP_1) | instskip(SKIP_1) | instid1(VALU_DEP_2)
	v_subrev_nc_u32_e32 v9, 28, v8
	v_sub_nc_u32_e32 v8, 29, v8
	v_lshlrev_b64 v[16:17], v9, v[134:135]
	s_delay_alu instid0(VALU_DEP_1)
	v_and_b32_e32 v134, 7, v16
; %bb.448:                              ;   in Loop: Header=BB273_11 Depth=1
	s_or_b32 exec_lo, exec_lo, s21
	v_lshlrev_b32_e32 v7, 24, v7
	s_delay_alu instid0(VALU_DEP_2) | instskip(SKIP_1) | instid1(VALU_DEP_3)
	v_lshlrev_b32_e32 v9, 20, v134
	v_lshl_add_u32 v8, v8, 23, 0x3c000000
	v_and_b32_e32 v7, 0x80000000, v7
	s_delay_alu instid0(VALU_DEP_1) | instskip(NEXT) | instid1(VALU_DEP_1)
	v_or3_b32 v134, v9, v7, v8
	v_dual_mov_b32 v145, v135 :: v_dual_mov_b32 v144, v134
.LBB273_449:                            ;   in Loop: Header=BB273_11 Depth=1
	s_or_b32 exec_lo, exec_lo, s20
.LBB273_450:                            ;   in Loop: Header=BB273_11 Depth=1
	s_delay_alu instid0(SALU_CYCLE_1)
	s_or_b32 exec_lo, exec_lo, s19
.LBB273_451:                            ;   in Loop: Header=BB273_11 Depth=1
	s_delay_alu instid0(SALU_CYCLE_1) | instskip(NEXT) | instid1(SALU_CYCLE_1)
	s_or_b32 exec_lo, exec_lo, s8
	s_mov_b32 s19, exec_lo
	v_cmpx_lt_u32_e32 0xffffff, v6
	s_cbranch_execz .LBB273_459
; %bb.452:                              ;   in Loop: Header=BB273_11 Depth=1
	v_lshrrev_b32_e32 v7, 24, v6
	v_dual_mov_b32 v15, s3 :: v_dual_mov_b32 v14, s2
	s_mov_b32 s20, exec_lo
	s_delay_alu instid0(VALU_DEP_2)
	v_cmpx_ne_u32_e32 0x80, v7
	s_cbranch_execz .LBB273_458
; %bb.453:                              ;   in Loop: Header=BB273_11 Depth=1
	s_mov_b32 s8, s2
	v_bfe_u32 v8, v6, 24, 7
	v_dual_mov_b32 v15, s9 :: v_dual_mov_b32 v14, s8
	s_mov_b32 s8, exec_lo
	s_delay_alu instid0(VALU_DEP_2)
	v_cmpx_ne_u32_e32 0x7f, v8
	s_cbranch_execz .LBB273_457
; %bb.454:                              ;   in Loop: Header=BB273_11 Depth=1
	v_and_b32_e32 v134, 7, v7
	v_lshrrev_b32_e32 v6, 3, v8
	s_mov_b32 s21, exec_lo
	v_cmpx_gt_u32_e32 8, v8
; %bb.455:                              ;   in Loop: Header=BB273_11 Depth=1
	s_delay_alu instid0(VALU_DEP_3) | instskip(NEXT) | instid1(VALU_DEP_1)
	v_clz_i32_u32_e32 v6, v134
	v_min_u32_e32 v6, 32, v6
	s_delay_alu instid0(VALU_DEP_1) | instskip(SKIP_1) | instid1(VALU_DEP_2)
	v_subrev_nc_u32_e32 v8, 28, v6
	v_sub_nc_u32_e32 v6, 29, v6
	v_lshlrev_b64 v[8:9], v8, v[134:135]
	s_delay_alu instid0(VALU_DEP_1)
	v_and_b32_e32 v134, 7, v8
; %bb.456:                              ;   in Loop: Header=BB273_11 Depth=1
	s_or_b32 exec_lo, exec_lo, s21
	v_dual_mov_b32 v14, v135 :: v_dual_lshlrev_b32 v7, 24, v7
	s_delay_alu instid0(VALU_DEP_2) | instskip(SKIP_1) | instid1(VALU_DEP_3)
	v_lshlrev_b32_e32 v8, 20, v134
	v_lshl_add_u32 v6, v6, 23, 0x3c000000
	v_and_b32_e32 v7, 0x80000000, v7
	s_delay_alu instid0(VALU_DEP_1)
	v_or3_b32 v15, v8, v7, v6
.LBB273_457:                            ;   in Loop: Header=BB273_11 Depth=1
	s_or_b32 exec_lo, exec_lo, s8
.LBB273_458:                            ;   in Loop: Header=BB273_11 Depth=1
	s_delay_alu instid0(SALU_CYCLE_1)
	s_or_b32 exec_lo, exec_lo, s20
.LBB273_459:                            ;   in Loop: Header=BB273_11 Depth=1
	s_delay_alu instid0(SALU_CYCLE_1) | instskip(SKIP_3) | instid1(VALU_DEP_2)
	s_or_b32 exec_lo, exec_lo, s19
	flat_load_b32 v8, v[180:181] offset:1544
	v_mov_b32_e32 v22, 0
	v_mov_b32_e32 v23, 0
	;; [unrolled: 1-line block ×3, first 2 shown]
	s_mov_b32 s8, exec_lo
	s_delay_alu instid0(VALU_DEP_2) | instskip(SKIP_2) | instid1(VALU_DEP_1)
	v_mov_b32_e32 v7, v23
	s_waitcnt vmcnt(0) lgkmcnt(0)
	v_and_b32_e32 v9, 0xff, v8
	v_cmpx_ne_u16_e32 0, v9
	s_cbranch_execz .LBB273_467
; %bb.460:                              ;   in Loop: Header=BB273_11 Depth=1
	v_bfrev_b32_e32 v6, 1
	v_mov_b32_e32 v7, 0
	s_mov_b32 s19, exec_lo
	v_cmpx_ne_u16_e32 0x80, v9
	s_cbranch_execz .LBB273_466
; %bb.461:                              ;   in Loop: Header=BB273_11 Depth=1
	v_mov_b32_e32 v6, 0x7f800001
	v_and_b32_e32 v9, 0x7f, v8
	v_mov_b32_e32 v7, 0
	s_mov_b32 s20, exec_lo
	s_delay_alu instid0(VALU_DEP_2)
	v_cmpx_ne_u32_e32 0x7f, v9
	s_cbranch_execz .LBB273_465
; %bb.462:                              ;   in Loop: Header=BB273_11 Depth=1
	v_and_b32_e32 v134, 7, v8
	v_lshrrev_b32_e32 v6, 3, v9
	s_mov_b32 s21, exec_lo
	v_cmpx_gt_u32_e32 8, v9
; %bb.463:                              ;   in Loop: Header=BB273_11 Depth=1
	s_delay_alu instid0(VALU_DEP_3) | instskip(NEXT) | instid1(VALU_DEP_1)
	v_clz_i32_u32_e32 v6, v134
	v_min_u32_e32 v6, 32, v6
	s_delay_alu instid0(VALU_DEP_1) | instskip(SKIP_1) | instid1(VALU_DEP_2)
	v_subrev_nc_u32_e32 v7, 28, v6
	v_sub_nc_u32_e32 v6, 29, v6
	v_lshlrev_b64 v[16:17], v7, v[134:135]
	s_delay_alu instid0(VALU_DEP_1)
	v_and_b32_e32 v134, 7, v16
; %bb.464:                              ;   in Loop: Header=BB273_11 Depth=1
	s_or_b32 exec_lo, exec_lo, s21
	v_lshlrev_b32_e32 v7, 24, v8
	s_delay_alu instid0(VALU_DEP_2) | instskip(SKIP_1) | instid1(VALU_DEP_3)
	v_lshlrev_b32_e32 v9, 20, v134
	v_lshl_add_u32 v6, v6, 23, 0x3c000000
	v_and_b32_e32 v7, 0x80000000, v7
	s_delay_alu instid0(VALU_DEP_1) | instskip(NEXT) | instid1(VALU_DEP_1)
	v_or3_b32 v134, v9, v7, v6
	v_dual_mov_b32 v6, v134 :: v_dual_mov_b32 v7, v135
.LBB273_465:                            ;   in Loop: Header=BB273_11 Depth=1
	s_or_b32 exec_lo, exec_lo, s20
.LBB273_466:                            ;   in Loop: Header=BB273_11 Depth=1
	s_delay_alu instid0(SALU_CYCLE_1)
	s_or_b32 exec_lo, exec_lo, s19
.LBB273_467:                            ;   in Loop: Header=BB273_11 Depth=1
	s_delay_alu instid0(SALU_CYCLE_1) | instskip(SKIP_2) | instid1(VALU_DEP_1)
	s_or_b32 exec_lo, exec_lo, s8
	v_lshrrev_b16 v9, 8, v8
	s_mov_b32 s19, exec_lo
	v_cmpx_ne_u16_e32 0, v9
	s_cbranch_execz .LBB273_475
; %bb.468:                              ;   in Loop: Header=BB273_11 Depth=1
	v_dual_mov_b32 v23, s3 :: v_dual_mov_b32 v22, s2
	s_mov_b32 s20, exec_lo
	v_cmpx_ne_u16_e32 0x80, v9
	s_cbranch_execz .LBB273_474
; %bb.469:                              ;   in Loop: Header=BB273_11 Depth=1
	s_mov_b32 s8, s2
	v_and_b32_e32 v9, 0xffff, v9
	v_dual_mov_b32 v23, s9 :: v_dual_mov_b32 v22, s8
	s_mov_b32 s8, exec_lo
	s_delay_alu instid0(VALU_DEP_2) | instskip(NEXT) | instid1(VALU_DEP_1)
	v_and_b32_e32 v16, 0x7f, v9
	v_cmpx_ne_u32_e32 0x7f, v16
	s_cbranch_execz .LBB273_473
; %bb.470:                              ;   in Loop: Header=BB273_11 Depth=1
	v_and_b32_e32 v134, 7, v9
	v_lshrrev_b32_e32 v9, 3, v16
	s_mov_b32 s21, exec_lo
	v_cmpx_gt_u32_e32 8, v16
; %bb.471:                              ;   in Loop: Header=BB273_11 Depth=1
	s_delay_alu instid0(VALU_DEP_3) | instskip(NEXT) | instid1(VALU_DEP_1)
	v_clz_i32_u32_e32 v9, v134
	v_min_u32_e32 v9, 32, v9
	s_delay_alu instid0(VALU_DEP_1) | instskip(SKIP_1) | instid1(VALU_DEP_2)
	v_subrev_nc_u32_e32 v16, 28, v9
	v_sub_nc_u32_e32 v9, 29, v9
	v_lshlrev_b64 v[16:17], v16, v[134:135]
	s_delay_alu instid0(VALU_DEP_1)
	v_and_b32_e32 v134, 7, v16
; %bb.472:                              ;   in Loop: Header=BB273_11 Depth=1
	s_or_b32 exec_lo, exec_lo, s21
	v_lshlrev_b32_e32 v16, 16, v8
	s_delay_alu instid0(VALU_DEP_2) | instskip(SKIP_1) | instid1(VALU_DEP_3)
	v_dual_mov_b32 v22, v135 :: v_dual_lshlrev_b32 v17, 20, v134
	v_lshl_add_u32 v9, v9, 23, 0x3c000000
	v_and_b32_e32 v16, 0x80000000, v16
	s_delay_alu instid0(VALU_DEP_1)
	v_or3_b32 v23, v17, v16, v9
.LBB273_473:                            ;   in Loop: Header=BB273_11 Depth=1
	s_or_b32 exec_lo, exec_lo, s8
.LBB273_474:                            ;   in Loop: Header=BB273_11 Depth=1
	s_delay_alu instid0(SALU_CYCLE_1)
	s_or_b32 exec_lo, exec_lo, s20
.LBB273_475:                            ;   in Loop: Header=BB273_11 Depth=1
	s_delay_alu instid0(SALU_CYCLE_1) | instskip(SKIP_4) | instid1(VALU_DEP_1)
	s_or_b32 exec_lo, exec_lo, s19
	v_mov_b32_e32 v16, 0
	v_lshrrev_b32_e32 v9, 16, v8
	v_mov_b32_e32 v17, 0
	s_mov_b32 s8, exec_lo
	v_dual_mov_b32 v29, v17 :: v_dual_and_b32 v18, 0xff, v9
	v_mov_b32_e32 v28, v16
	s_delay_alu instid0(VALU_DEP_2)
	v_cmpx_ne_u16_e32 0, v18
	s_cbranch_execz .LBB273_483
; %bb.476:                              ;   in Loop: Header=BB273_11 Depth=1
	v_bfrev_b32_e32 v28, 1
	v_mov_b32_e32 v29, 0
	s_mov_b32 s19, exec_lo
	v_cmpx_ne_u16_e32 0x80, v18
	s_cbranch_execz .LBB273_482
; %bb.477:                              ;   in Loop: Header=BB273_11 Depth=1
	v_mov_b32_e32 v28, 0x7f800001
	v_bfe_u32 v19, v8, 16, 7
	v_mov_b32_e32 v29, 0
	s_mov_b32 s20, exec_lo
	s_delay_alu instid0(VALU_DEP_2)
	v_cmpx_ne_u32_e32 0x7f, v19
	s_cbranch_execz .LBB273_481
; %bb.478:                              ;   in Loop: Header=BB273_11 Depth=1
	v_and_b32_e32 v134, 7, v9
	v_lshrrev_b32_e32 v18, 3, v19
	s_mov_b32 s21, exec_lo
	v_cmpx_gt_u32_e32 8, v19
; %bb.479:                              ;   in Loop: Header=BB273_11 Depth=1
	s_delay_alu instid0(VALU_DEP_3) | instskip(NEXT) | instid1(VALU_DEP_1)
	v_clz_i32_u32_e32 v18, v134
	v_min_u32_e32 v18, 32, v18
	s_delay_alu instid0(VALU_DEP_1) | instskip(SKIP_1) | instid1(VALU_DEP_2)
	v_subrev_nc_u32_e32 v19, 28, v18
	v_sub_nc_u32_e32 v18, 29, v18
	v_lshlrev_b64 v[26:27], v19, v[134:135]
	s_delay_alu instid0(VALU_DEP_1)
	v_and_b32_e32 v134, 7, v26
; %bb.480:                              ;   in Loop: Header=BB273_11 Depth=1
	s_or_b32 exec_lo, exec_lo, s21
	v_lshlrev_b32_e32 v9, 24, v9
	s_delay_alu instid0(VALU_DEP_2) | instskip(SKIP_1) | instid1(VALU_DEP_3)
	v_lshlrev_b32_e32 v19, 20, v134
	v_lshl_add_u32 v18, v18, 23, 0x3c000000
	v_and_b32_e32 v9, 0x80000000, v9
	s_delay_alu instid0(VALU_DEP_1) | instskip(NEXT) | instid1(VALU_DEP_1)
	v_or3_b32 v134, v19, v9, v18
	v_dual_mov_b32 v28, v134 :: v_dual_mov_b32 v29, v135
.LBB273_481:                            ;   in Loop: Header=BB273_11 Depth=1
	s_or_b32 exec_lo, exec_lo, s20
.LBB273_482:                            ;   in Loop: Header=BB273_11 Depth=1
	s_delay_alu instid0(SALU_CYCLE_1)
	s_or_b32 exec_lo, exec_lo, s19
.LBB273_483:                            ;   in Loop: Header=BB273_11 Depth=1
	s_delay_alu instid0(SALU_CYCLE_1) | instskip(NEXT) | instid1(SALU_CYCLE_1)
	s_or_b32 exec_lo, exec_lo, s8
	s_mov_b32 s19, exec_lo
	v_cmpx_lt_u32_e32 0xffffff, v8
	s_cbranch_execz .LBB273_491
; %bb.484:                              ;   in Loop: Header=BB273_11 Depth=1
	v_lshrrev_b32_e32 v9, 24, v8
	v_dual_mov_b32 v17, s3 :: v_dual_mov_b32 v16, s2
	s_mov_b32 s20, exec_lo
	s_delay_alu instid0(VALU_DEP_2)
	v_cmpx_ne_u32_e32 0x80, v9
	s_cbranch_execz .LBB273_490
; %bb.485:                              ;   in Loop: Header=BB273_11 Depth=1
	s_mov_b32 s8, s2
	v_bfe_u32 v18, v8, 24, 7
	v_dual_mov_b32 v17, s9 :: v_dual_mov_b32 v16, s8
	s_mov_b32 s8, exec_lo
	s_delay_alu instid0(VALU_DEP_2)
	v_cmpx_ne_u32_e32 0x7f, v18
	s_cbranch_execz .LBB273_489
; %bb.486:                              ;   in Loop: Header=BB273_11 Depth=1
	v_and_b32_e32 v134, 7, v9
	v_lshrrev_b32_e32 v8, 3, v18
	s_mov_b32 s21, exec_lo
	v_cmpx_gt_u32_e32 8, v18
; %bb.487:                              ;   in Loop: Header=BB273_11 Depth=1
	s_delay_alu instid0(VALU_DEP_3) | instskip(NEXT) | instid1(VALU_DEP_1)
	v_clz_i32_u32_e32 v8, v134
	v_min_u32_e32 v8, 32, v8
	s_delay_alu instid0(VALU_DEP_1) | instskip(SKIP_1) | instid1(VALU_DEP_2)
	v_subrev_nc_u32_e32 v16, 28, v8
	v_sub_nc_u32_e32 v8, 29, v8
	v_lshlrev_b64 v[16:17], v16, v[134:135]
	s_delay_alu instid0(VALU_DEP_1)
	v_and_b32_e32 v134, 7, v16
; %bb.488:                              ;   in Loop: Header=BB273_11 Depth=1
	s_or_b32 exec_lo, exec_lo, s21
	v_lshlrev_b32_e32 v9, 24, v9
	s_delay_alu instid0(VALU_DEP_2) | instskip(SKIP_1) | instid1(VALU_DEP_3)
	v_lshlrev_b32_e32 v16, 20, v134
	v_lshl_add_u32 v8, v8, 23, 0x3c000000
	v_and_b32_e32 v9, 0x80000000, v9
	s_delay_alu instid0(VALU_DEP_1)
	v_or3_b32 v17, v16, v9, v8
	v_mov_b32_e32 v16, v135
.LBB273_489:                            ;   in Loop: Header=BB273_11 Depth=1
	s_or_b32 exec_lo, exec_lo, s8
.LBB273_490:                            ;   in Loop: Header=BB273_11 Depth=1
	s_delay_alu instid0(SALU_CYCLE_1)
	s_or_b32 exec_lo, exec_lo, s20
.LBB273_491:                            ;   in Loop: Header=BB273_11 Depth=1
	s_delay_alu instid0(SALU_CYCLE_1)
	s_or_b32 exec_lo, exec_lo, s19
	flat_load_b32 v34, v[180:181] offset:1548
	v_mov_b32_e32 v180, 0
	v_mov_b32_e32 v181, 0
	s_mov_b32 s8, exec_lo
	s_waitcnt vmcnt(0) lgkmcnt(0)
	v_and_b32_e32 v8, 0xff, v34
	s_delay_alu instid0(VALU_DEP_2) | instskip(NEXT) | instid1(VALU_DEP_2)
	v_dual_mov_b32 v26, v180 :: v_dual_mov_b32 v27, v181
	v_cmpx_ne_u16_e32 0, v8
	s_cbranch_execz .LBB273_499
; %bb.492:                              ;   in Loop: Header=BB273_11 Depth=1
	v_bfrev_b32_e32 v26, 1
	v_mov_b32_e32 v27, 0
	s_mov_b32 s19, exec_lo
	v_cmpx_ne_u16_e32 0x80, v8
	s_cbranch_execz .LBB273_498
; %bb.493:                              ;   in Loop: Header=BB273_11 Depth=1
	v_mov_b32_e32 v26, 0x7f800001
	v_and_b32_e32 v9, 0x7f, v34
	v_mov_b32_e32 v27, 0
	s_mov_b32 s20, exec_lo
	s_delay_alu instid0(VALU_DEP_2)
	v_cmpx_ne_u32_e32 0x7f, v9
	s_cbranch_execz .LBB273_497
; %bb.494:                              ;   in Loop: Header=BB273_11 Depth=1
	v_and_b32_e32 v134, 7, v34
	v_lshrrev_b32_e32 v8, 3, v9
	s_mov_b32 s21, exec_lo
	v_cmpx_gt_u32_e32 8, v9
; %bb.495:                              ;   in Loop: Header=BB273_11 Depth=1
	s_delay_alu instid0(VALU_DEP_3) | instskip(NEXT) | instid1(VALU_DEP_1)
	v_clz_i32_u32_e32 v8, v134
	v_min_u32_e32 v8, 32, v8
	s_delay_alu instid0(VALU_DEP_1) | instskip(SKIP_1) | instid1(VALU_DEP_2)
	v_subrev_nc_u32_e32 v9, 28, v8
	v_sub_nc_u32_e32 v8, 29, v8
	v_lshlrev_b64 v[18:19], v9, v[134:135]
	s_delay_alu instid0(VALU_DEP_1)
	v_and_b32_e32 v134, 7, v18
; %bb.496:                              ;   in Loop: Header=BB273_11 Depth=1
	s_or_b32 exec_lo, exec_lo, s21
	v_lshlrev_b32_e32 v9, 24, v34
	s_delay_alu instid0(VALU_DEP_2) | instskip(SKIP_1) | instid1(VALU_DEP_3)
	v_lshlrev_b32_e32 v18, 20, v134
	v_lshl_add_u32 v8, v8, 23, 0x3c000000
	v_and_b32_e32 v9, 0x80000000, v9
	s_delay_alu instid0(VALU_DEP_1) | instskip(NEXT) | instid1(VALU_DEP_1)
	v_or3_b32 v134, v18, v9, v8
	v_dual_mov_b32 v26, v134 :: v_dual_mov_b32 v27, v135
.LBB273_497:                            ;   in Loop: Header=BB273_11 Depth=1
	s_or_b32 exec_lo, exec_lo, s20
.LBB273_498:                            ;   in Loop: Header=BB273_11 Depth=1
	s_delay_alu instid0(SALU_CYCLE_1)
	s_or_b32 exec_lo, exec_lo, s19
.LBB273_499:                            ;   in Loop: Header=BB273_11 Depth=1
	s_delay_alu instid0(SALU_CYCLE_1) | instskip(SKIP_2) | instid1(VALU_DEP_1)
	s_or_b32 exec_lo, exec_lo, s8
	v_lshrrev_b16 v8, 8, v34
	s_mov_b32 s19, exec_lo
	v_cmpx_ne_u16_e32 0, v8
	s_cbranch_execz .LBB273_507
; %bb.500:                              ;   in Loop: Header=BB273_11 Depth=1
	v_dual_mov_b32 v181, s3 :: v_dual_mov_b32 v180, s2
	s_mov_b32 s20, exec_lo
	v_cmpx_ne_u16_e32 0x80, v8
	s_cbranch_execz .LBB273_506
; %bb.501:                              ;   in Loop: Header=BB273_11 Depth=1
	s_mov_b32 s8, s2
	v_dual_mov_b32 v181, s9 :: v_dual_and_b32 v8, 0xffff, v8
	v_mov_b32_e32 v180, s8
	s_mov_b32 s8, exec_lo
	s_delay_alu instid0(VALU_DEP_2) | instskip(NEXT) | instid1(VALU_DEP_1)
	v_and_b32_e32 v9, 0x7f, v8
	v_cmpx_ne_u32_e32 0x7f, v9
	s_cbranch_execz .LBB273_505
; %bb.502:                              ;   in Loop: Header=BB273_11 Depth=1
	v_and_b32_e32 v134, 7, v8
	v_lshrrev_b32_e32 v8, 3, v9
	s_mov_b32 s21, exec_lo
	v_cmpx_gt_u32_e32 8, v9
; %bb.503:                              ;   in Loop: Header=BB273_11 Depth=1
	s_delay_alu instid0(VALU_DEP_3) | instskip(NEXT) | instid1(VALU_DEP_1)
	v_clz_i32_u32_e32 v8, v134
	v_min_u32_e32 v8, 32, v8
	s_delay_alu instid0(VALU_DEP_1) | instskip(SKIP_1) | instid1(VALU_DEP_2)
	v_subrev_nc_u32_e32 v9, 28, v8
	v_sub_nc_u32_e32 v8, 29, v8
	v_lshlrev_b64 v[18:19], v9, v[134:135]
	s_delay_alu instid0(VALU_DEP_1)
	v_and_b32_e32 v134, 7, v18
; %bb.504:                              ;   in Loop: Header=BB273_11 Depth=1
	s_or_b32 exec_lo, exec_lo, s21
	v_dual_mov_b32 v180, v135 :: v_dual_lshlrev_b32 v9, 16, v34
	s_delay_alu instid0(VALU_DEP_2) | instskip(SKIP_1) | instid1(VALU_DEP_3)
	v_lshlrev_b32_e32 v18, 20, v134
	v_lshl_add_u32 v8, v8, 23, 0x3c000000
	v_and_b32_e32 v9, 0x80000000, v9
	s_delay_alu instid0(VALU_DEP_1)
	v_or3_b32 v181, v18, v9, v8
.LBB273_505:                            ;   in Loop: Header=BB273_11 Depth=1
	s_or_b32 exec_lo, exec_lo, s8
.LBB273_506:                            ;   in Loop: Header=BB273_11 Depth=1
	s_delay_alu instid0(SALU_CYCLE_1)
	s_or_b32 exec_lo, exec_lo, s20
.LBB273_507:                            ;   in Loop: Header=BB273_11 Depth=1
	s_delay_alu instid0(SALU_CYCLE_1) | instskip(SKIP_4) | instid1(VALU_DEP_1)
	s_or_b32 exec_lo, exec_lo, s19
	v_mov_b32_e32 v8, 0
	v_lshrrev_b32_e32 v35, 16, v34
	v_mov_b32_e32 v9, 0
	s_mov_b32 s8, exec_lo
	v_dual_mov_b32 v19, v9 :: v_dual_and_b32 v36, 0xff, v35
	v_mov_b32_e32 v18, v8
	s_delay_alu instid0(VALU_DEP_2)
	v_cmpx_ne_u16_e32 0, v36
	s_cbranch_execz .LBB273_515
; %bb.508:                              ;   in Loop: Header=BB273_11 Depth=1
	v_bfrev_b32_e32 v18, 1
	v_mov_b32_e32 v19, 0
	s_mov_b32 s19, exec_lo
	v_cmpx_ne_u16_e32 0x80, v36
	s_cbranch_execz .LBB273_514
; %bb.509:                              ;   in Loop: Header=BB273_11 Depth=1
	v_mov_b32_e32 v18, 0x7f800001
	v_bfe_u32 v36, v34, 16, 7
	v_mov_b32_e32 v19, 0
	s_mov_b32 s20, exec_lo
	s_delay_alu instid0(VALU_DEP_2)
	v_cmpx_ne_u32_e32 0x7f, v36
	s_cbranch_execz .LBB273_513
; %bb.510:                              ;   in Loop: Header=BB273_11 Depth=1
	v_and_b32_e32 v134, 7, v35
	v_lshrrev_b32_e32 v18, 3, v36
	s_mov_b32 s21, exec_lo
	v_cmpx_gt_u32_e32 8, v36
; %bb.511:                              ;   in Loop: Header=BB273_11 Depth=1
	s_delay_alu instid0(VALU_DEP_3) | instskip(NEXT) | instid1(VALU_DEP_1)
	v_clz_i32_u32_e32 v18, v134
	v_min_u32_e32 v18, 32, v18
	s_delay_alu instid0(VALU_DEP_1) | instskip(SKIP_1) | instid1(VALU_DEP_2)
	v_subrev_nc_u32_e32 v19, 28, v18
	v_sub_nc_u32_e32 v18, 29, v18
	v_lshlrev_b64 v[36:37], v19, v[134:135]
	s_delay_alu instid0(VALU_DEP_1)
	v_and_b32_e32 v134, 7, v36
; %bb.512:                              ;   in Loop: Header=BB273_11 Depth=1
	s_or_b32 exec_lo, exec_lo, s21
	v_lshlrev_b32_e32 v19, 24, v35
	s_delay_alu instid0(VALU_DEP_2) | instskip(SKIP_1) | instid1(VALU_DEP_3)
	v_lshlrev_b32_e32 v35, 20, v134
	v_lshl_add_u32 v18, v18, 23, 0x3c000000
	v_and_b32_e32 v19, 0x80000000, v19
	s_delay_alu instid0(VALU_DEP_1) | instskip(NEXT) | instid1(VALU_DEP_1)
	v_or3_b32 v134, v35, v19, v18
	v_dual_mov_b32 v18, v134 :: v_dual_mov_b32 v19, v135
.LBB273_513:                            ;   in Loop: Header=BB273_11 Depth=1
	s_or_b32 exec_lo, exec_lo, s20
.LBB273_514:                            ;   in Loop: Header=BB273_11 Depth=1
	s_delay_alu instid0(SALU_CYCLE_1)
	s_or_b32 exec_lo, exec_lo, s19
.LBB273_515:                            ;   in Loop: Header=BB273_11 Depth=1
	s_delay_alu instid0(SALU_CYCLE_1) | instskip(NEXT) | instid1(SALU_CYCLE_1)
	s_or_b32 exec_lo, exec_lo, s8
	s_mov_b32 s19, exec_lo
	v_cmpx_lt_u32_e32 0xffffff, v34
	s_cbranch_execz .LBB273_10
; %bb.516:                              ;   in Loop: Header=BB273_11 Depth=1
	v_lshrrev_b32_e32 v35, 24, v34
	v_dual_mov_b32 v9, s3 :: v_dual_mov_b32 v8, s2
	s_mov_b32 s20, exec_lo
	s_delay_alu instid0(VALU_DEP_2)
	v_cmpx_ne_u32_e32 0x80, v35
	s_cbranch_execz .LBB273_9
; %bb.517:                              ;   in Loop: Header=BB273_11 Depth=1
	s_mov_b32 s8, s2
	v_bfe_u32 v34, v34, 24, 7
	v_dual_mov_b32 v8, s8 :: v_dual_mov_b32 v9, s9
	s_mov_b32 s8, exec_lo
	s_delay_alu instid0(VALU_DEP_2)
	v_cmpx_ne_u32_e32 0x7f, v34
	s_cbranch_execz .LBB273_8
; %bb.518:                              ;   in Loop: Header=BB273_11 Depth=1
	v_and_b32_e32 v134, 7, v35
	v_lshrrev_b32_e32 v8, 3, v34
	s_mov_b32 s21, exec_lo
	v_cmpx_gt_u32_e32 8, v34
	s_cbranch_execz .LBB273_7
; %bb.519:                              ;   in Loop: Header=BB273_11 Depth=1
	v_clz_i32_u32_e32 v8, v134
	s_delay_alu instid0(VALU_DEP_1) | instskip(NEXT) | instid1(VALU_DEP_1)
	v_min_u32_e32 v8, 32, v8
	v_subrev_nc_u32_e32 v9, 28, v8
	v_sub_nc_u32_e32 v8, 29, v8
	s_delay_alu instid0(VALU_DEP_2) | instskip(NEXT) | instid1(VALU_DEP_1)
	v_lshlrev_b64 v[36:37], v9, v[134:135]
	v_and_b32_e32 v134, 7, v36
	s_branch .LBB273_7
.LBB273_520:
	s_or_b32 exec_lo, exec_lo, s7
	s_clause 0x11
	scratch_load_b32 v52, off, s32 offset:432
	scratch_load_b32 v53, off, s32 offset:436
	;; [unrolled: 1-line block ×6, first 2 shown]
	scratch_load_b64 v[26:27], off, s32 offset:452
	scratch_load_b32 v11, off, s32 offset:460
	scratch_load_b32 v10, off, s32 offset:464
	scratch_load_b32 v13, off, s32 offset:468
	scratch_load_b32 v28, off, s32 offset:472
	scratch_load_b32 v29, off, s32 offset:476
	scratch_load_b32 v32, off, s32 offset:480
	scratch_load_b64 v[16:17], off, s32 offset:484
	scratch_load_b32 v12, off, s32 offset:492
	scratch_load_b32 v18, off, s32 offset:496
	;; [unrolled: 1-line block ×4, first 2 shown]
.LBB273_521:
	s_or_b32 exec_lo, exec_lo, s18
	v_mbcnt_lo_u32_b32 v0, -1, 0
	s_lshr_b32 s8, s17, 16
	v_max_f32_e32 v4, v31, v31
	s_delay_alu instid0(VALU_DEP_2) | instskip(SKIP_2) | instid1(VALU_DEP_3)
	v_xor_b32_e32 v1, 16, v0
	v_xor_b32_e32 v3, 8, v0
	;; [unrolled: 1-line block ×3, first 2 shown]
	v_cmp_gt_i32_e32 vcc_lo, 32, v1
	v_cndmask_b32_e32 v1, v0, v1, vcc_lo
	s_delay_alu instid0(VALU_DEP_4) | instskip(NEXT) | instid1(VALU_DEP_2)
	v_cmp_gt_i32_e32 vcc_lo, 32, v3
	v_dual_cndmask_b32 v3, v0, v3 :: v_dual_lshlrev_b32 v2, 2, v1
	v_cmp_gt_i32_e32 vcc_lo, 32, v5
	ds_bpermute_b32 v1, v2, v31
	v_lshlrev_b32_e32 v3, 2, v3
	v_cndmask_b32_e32 v5, v0, v5, vcc_lo
	s_waitcnt lgkmcnt(0)
	v_max_f32_e32 v1, v1, v1
	s_delay_alu instid0(VALU_DEP_1)
	v_max_f32_e32 v1, v4, v1
	ds_bpermute_b32 v4, v3, v1
	s_waitcnt lgkmcnt(0)
	v_max_f32_e32 v4, v4, v4
	v_lshlrev_b32_e32 v24, 2, v5
	v_xor_b32_e32 v5, 2, v0
	s_delay_alu instid0(VALU_DEP_3) | instskip(NEXT) | instid1(VALU_DEP_2)
	v_max_f32_e32 v1, v1, v4
	v_cmp_gt_i32_e32 vcc_lo, 32, v5
	ds_bpermute_b32 v4, v24, v1
	v_cndmask_b32_e32 v5, v0, v5, vcc_lo
	s_delay_alu instid0(VALU_DEP_1) | instskip(SKIP_1) | instid1(VALU_DEP_1)
	v_lshlrev_b32_e32 v23, 2, v5
	v_xor_b32_e32 v5, 1, v0
	v_cmp_gt_i32_e32 vcc_lo, 32, v5
	v_cndmask_b32_e32 v5, v0, v5, vcc_lo
	s_waitcnt vmcnt(14)
	v_cmp_eq_u32_e32 vcc_lo, 0, v6
	s_waitcnt lgkmcnt(0)
	v_max_f32_e32 v4, v4, v4
	s_delay_alu instid0(VALU_DEP_1) | instskip(SKIP_3) | instid1(VALU_DEP_1)
	v_dual_max_f32 v1, v1, v4 :: v_dual_lshlrev_b32 v22, 2, v5
	ds_bpermute_b32 v4, v23, v1
	s_waitcnt lgkmcnt(0)
	v_max_f32_e32 v4, v4, v4
	v_max_f32_e32 v0, v1, v4
	scratch_load_b32 v4, off, s32 offset:424 ; 4-byte Folded Reload
	ds_bpermute_b32 v1, v22, v0
	s_waitcnt vmcnt(0)
	v_lshlrev_b32_e32 v4, 2, v4
	s_and_saveexec_b32 s1, vcc_lo
	s_cbranch_execz .LBB273_523
; %bb.522:
	s_waitcnt lgkmcnt(0)
	v_dual_max_f32 v1, v1, v1 :: v_dual_max_f32 v0, v0, v0
	s_delay_alu instid0(VALU_DEP_1)
	v_max_f32_e32 v0, v0, v1
	ds_store_b32 v4, v0 offset:256
.LBB273_523:
	s_or_b32 exec_lo, exec_lo, s1
	v_cmp_gt_u32_e64 s1, 4, v6
	v_mov_b32_e32 v0, 0xff7fffff
	s_waitcnt lgkmcnt(0)
	s_waitcnt_vscnt null, 0x0
	s_barrier
	buffer_gl0_inv
	s_and_saveexec_b32 s2, s1
	s_cbranch_execz .LBB273_525
; %bb.524:
	ds_load_b32 v0, v33 offset:256
.LBB273_525:
	s_or_b32 exec_lo, exec_lo, s2
	scratch_load_b32 v5, off, s32 offset:324 ; 4-byte Folded Reload
	s_waitcnt lgkmcnt(0)
	ds_bpermute_b32 v1, v23, v0
	s_waitcnt lgkmcnt(0)
	v_dual_max_f32 v0, v0, v0 :: v_dual_max_f32 v1, v1, v1
	s_delay_alu instid0(VALU_DEP_1)
	v_max_f32_e32 v0, v0, v1
	s_waitcnt vmcnt(0)
	v_subrev_nc_u32_e32 v6, s13, v5
	v_mov_b32_e32 v5, 0
	ds_bpermute_b32 v1, v22, v0
	s_waitcnt lgkmcnt(0)
	v_max_f32_e32 v1, v1, v1
	s_delay_alu instid0(VALU_DEP_1) | instskip(SKIP_3) | instid1(VALU_DEP_1)
	v_max_f32_e32 v0, v0, v1
	v_lshl_add_u32 v1, v6, 5, s11
	ds_bpermute_b32 v0, v5, v0
	v_min_i32_e32 v1, v1, v30
	v_subrev_nc_u32_e32 v1, s11, v1
	s_delay_alu instid0(VALU_DEP_1) | instskip(NEXT) | instid1(VALU_DEP_1)
	v_cmp_lt_i32_e64 s2, v54, v1
	s_and_saveexec_b32 s9, s2
	s_cbranch_execz .LBB273_529
; %bb.526:
	s_getpc_b64 s[18:19]
	s_add_u32 s18, s18, llvm.amdgcn.dynlds.offset.table@rel32@lo+4
	s_addc_u32 s19, s19, llvm.amdgcn.dynlds.offset.table@rel32@hi+12
	s_ashr_i32 s7, s6, 31
	v_mov_b32_e32 v5, 0
	s_lshl_b64 s[20:21], s[6:7], 2
	v_mov_b32_e32 v7, v54
	s_add_u32 s18, s20, s18
	s_addc_u32 s19, s21, s19
	s_mov_b32 s7, 0
	s_load_b32 s3, s[18:19], 0x0
	s_waitcnt lgkmcnt(0)
	v_lshl_add_u32 v6, v54, 2, s3
	.p2align	6
.LBB273_527:                            ; =>This Inner Loop Header: Depth=1
	ds_load_b32 v8, v6
	v_add_nc_u32_e32 v7, 0x80, v7
	s_delay_alu instid0(VALU_DEP_1) | instskip(NEXT) | instid1(VALU_DEP_1)
	v_cmp_ge_i32_e64 s3, v7, v1
	s_or_b32 s7, s3, s7
	s_waitcnt lgkmcnt(0)
	v_sub_f32_e32 v8, v8, v0
	s_delay_alu instid0(VALU_DEP_1) | instskip(NEXT) | instid1(VALU_DEP_1)
	v_mul_f32_e32 v8, 0x3fb8aa3b, v8
	v_exp_f32_e32 v8, v8
	ds_store_b32 v6, v8
	v_dual_add_f32 v5, v5, v8 :: v_dual_add_nc_u32 v6, 0x200, v6
	s_and_not1_b32 exec_lo, exec_lo, s7
	s_cbranch_execnz .LBB273_527
; %bb.528:
	s_or_b32 exec_lo, exec_lo, s7
.LBB273_529:
	s_delay_alu instid0(SALU_CYCLE_1)
	s_or_b32 exec_lo, exec_lo, s9
	ds_bpermute_b32 v2, v2, v5
	s_waitcnt lgkmcnt(0)
	v_add_f32_e32 v2, v5, v2
	ds_bpermute_b32 v3, v3, v2
	s_waitcnt lgkmcnt(0)
	v_add_f32_e32 v2, v2, v3
	;; [unrolled: 3-line block ×5, first 2 shown]
	s_and_saveexec_b32 s3, vcc_lo
	s_cbranch_execz .LBB273_531
; %bb.530:
	ds_store_b32 v4, v2 offset:272
.LBB273_531:
	s_or_b32 exec_lo, exec_lo, s3
	s_waitcnt lgkmcnt(0)
	s_barrier
	buffer_gl0_inv
	s_and_saveexec_b32 s3, s1
	s_cbranch_execz .LBB273_533
; %bb.532:
	ds_load_b32 v2, v33 offset:272
.LBB273_533:
	s_or_b32 exec_lo, exec_lo, s3
	s_waitcnt lgkmcnt(0)
	ds_bpermute_b32 v3, v23, v2
	s_waitcnt lgkmcnt(0)
	v_add_f32_e32 v2, v2, v3
	ds_bpermute_b32 v3, v22, v2
	s_waitcnt lgkmcnt(0)
	v_dual_add_f32 v2, v2, v3 :: v_dual_mov_b32 v3, 0
	ds_bpermute_b32 v2, v3, v2
	s_and_saveexec_b32 s1, s2
	s_cbranch_execz .LBB273_536
; %bb.534:
	s_waitcnt lgkmcnt(0)
	v_add_f32_e32 v4, 0x358637bd, v2
	s_getpc_b64 s[2:3]
	s_add_u32 s2, s2, llvm.amdgcn.dynlds.offset.table@rel32@lo+4
	s_addc_u32 s3, s3, llvm.amdgcn.dynlds.offset.table@rel32@hi+12
	s_ashr_i32 s7, s6, 31
	s_delay_alu instid0(SALU_CYCLE_1) | instskip(SKIP_4) | instid1(VALU_DEP_1)
	s_lshl_b64 s[18:19], s[6:7], 2
	v_div_scale_f32 v3, null, v4, v4, 1.0
	s_add_u32 s2, s18, s2
	s_addc_u32 s3, s19, s3
	s_load_b32 s2, s[2:3], 0x0
	v_rcp_f32_e32 v5, v3
	s_waitcnt_depctr 0xfff
	v_fma_f32 v6, -v3, v5, 1.0
	s_delay_alu instid0(VALU_DEP_1) | instskip(SKIP_1) | instid1(VALU_DEP_1)
	v_fmac_f32_e32 v5, v6, v5
	v_div_scale_f32 v7, vcc_lo, 1.0, v4, 1.0
	v_mul_f32_e32 v6, v7, v5
	s_delay_alu instid0(VALU_DEP_1) | instskip(NEXT) | instid1(VALU_DEP_1)
	v_fma_f32 v8, -v3, v6, v7
	v_fmac_f32_e32 v6, v8, v5
	s_delay_alu instid0(VALU_DEP_1) | instskip(NEXT) | instid1(VALU_DEP_1)
	v_fma_f32 v3, -v3, v6, v7
	v_div_fmas_f32 v5, v3, v5, v6
	s_waitcnt lgkmcnt(0)
	v_lshl_add_u32 v3, v54, 2, s2
	s_mov_b32 s2, 0
	s_delay_alu instid0(VALU_DEP_2)
	v_div_fixup_f32 v4, v5, v4, 1.0
	v_mov_b32_e32 v5, v54
.LBB273_535:                            ; =>This Inner Loop Header: Depth=1
	ds_load_b32 v6, v3
	s_waitcnt lgkmcnt(0)
	v_dual_mul_f32 v6, v4, v6 :: v_dual_add_nc_u32 v5, 0x80, v5
	s_delay_alu instid0(VALU_DEP_1) | instskip(SKIP_3) | instid1(SALU_CYCLE_1)
	v_cmp_ge_i32_e32 vcc_lo, v5, v1
	ds_store_b32 v3, v6
	v_add_nc_u32_e32 v3, 0x200, v3
	s_or_b32 s2, vcc_lo, s2
	s_and_not1_b32 exec_lo, exec_lo, s2
	s_cbranch_execnz .LBB273_535
.LBB273_536:
	s_or_b32 exec_lo, exec_lo, s1
	v_cmp_ne_u16_e64 s1, s8, 0
	s_waitcnt lgkmcnt(0)
	s_barrier
	buffer_gl0_inv
	s_cmp_lg_u32 s1, 0
	s_addc_u32 s1, s5, 0
	s_mov_b32 s5, exec_lo
	s_mul_i32 s2, s1, s10
	s_delay_alu instid0(SALU_CYCLE_1)
	s_mul_i32 s2, s2, s15
	v_cmpx_eq_u32_e32 0, v54
	s_cbranch_execz .LBB273_538
; %bb.537:
	s_mul_i32 s8, s1, s12
	s_ashr_i32 s15, s14, 31
	s_ashr_i32 s9, s8, 31
	;; [unrolled: 1-line block ×3, first 2 shown]
	s_lshl_b64 s[8:9], s[8:9], 2
	s_lshl_b64 s[12:13], s[14:15], 2
	;; [unrolled: 1-line block ×3, first 2 shown]
	s_add_u32 s3, s12, s8
	s_addc_u32 s7, s13, s9
	s_add_u32 s3, s3, s18
	s_addc_u32 s7, s7, s19
	v_add_co_u32 v3, vcc_lo, s3, v32
	v_add_co_ci_u32_e32 v4, vcc_lo, s7, v29, vcc_lo
	v_add_co_u32 v5, vcc_lo, s3, v28
	v_add_co_ci_u32_e32 v6, vcc_lo, s7, v13, vcc_lo
	flat_store_b32 v[3:4], v0
	flat_store_b32 v[5:6], v2
.LBB273_538:
	s_or_b32 exec_lo, exec_lo, s5
                                        ; implicit-def: $sgpr5
	s_and_saveexec_b32 s3, s0
	s_delay_alu instid0(SALU_CYCLE_1)
	s_xor_b32 s0, exec_lo, s3
; %bb.539:
	s_ashr_i32 s7, s6, 31
	s_mov_b32 s5, 0
                                        ; implicit-def: $vgpr0
                                        ; implicit-def: $vgpr30
                                        ; implicit-def: $vgpr12
                                        ; kill: killed $vgpr0
                                        ; implicit-def: $vgpr20
                                        ; implicit-def: $vgpr10
                                        ; implicit-def: $vgpr11
                                        ; implicit-def: $vgpr14
                                        ; implicit-def: $vgpr15
                                        ; implicit-def: $vgpr0
                                        ; kill: killed $vgpr0
                                        ; implicit-def: $vgpr26_vgpr27
                                        ; implicit-def: $vgpr18
                                        ; implicit-def: $vgpr19
                                        ; implicit-def: $vgpr16_vgpr17
; %bb.540:
	s_or_saveexec_b32 s3, s0
	v_dual_mov_b32 v49, s5 :: v_dual_mov_b32 v0, s6
	v_dual_mov_b32 v1, s7 :: v_dual_mov_b32 v50, s5
	v_dual_mov_b32 v48, s5 :: v_dual_and_b32 v25, 7, v54
	v_dual_mov_b32 v51, s5 :: v_dual_mov_b32 v38, s5
	v_dual_mov_b32 v39, s5 :: v_dual_mov_b32 v36, s5
	;; [unrolled: 1-line block ×6, first 2 shown]
	v_mov_b32_e32 v43, s5
	s_xor_b32 exec_lo, exec_lo, s3
	s_cbranch_execz .LBB273_1088
; %bb.541:
	scratch_load_b32 v8, off, s32 offset:424 ; 4-byte Folded Reload
	v_dual_mov_b32 v41, v53 :: v_dual_mov_b32 v40, v52
	flat_load_b32 v52, v[26:27]
	s_ashr_i32 s7, s6, 31
	s_getpc_b64 s[8:9]
	s_add_u32 s8, s8, llvm.amdgcn.dynlds.offset.table@rel32@lo+4
	s_addc_u32 s9, s9, llvm.amdgcn.dynlds.offset.table@rel32@hi+12
	v_dual_mov_b32 v7, 0 :: v_dual_lshlrev_b32 v2, 2, v54
	v_lshlrev_b64 v[0:1], 2, v[20:21]
	v_add_co_u32 v3, vcc_lo, v10, v18
	v_dual_mov_b32 v43, 0 :: v_dual_lshlrev_b32 v6, 4, v25
	s_delay_alu instid0(VALU_DEP_4)
	v_and_b32_e32 v10, 28, v2
	v_and_b32_e32 v2, 0x7c, v2
	v_add_co_ci_u32_e32 v4, vcc_lo, v11, v19, vcc_lo
	v_add_co_u32 v0, vcc_lo, v16, v0
	v_add_co_ci_u32_e32 v1, vcc_lo, v17, v1, vcc_lo
	v_dual_mov_b32 v42, v54 :: v_dual_add_nc_u32 v53, -1, v12
	v_dual_mov_b32 v44, 0 :: v_dual_mov_b32 v29, 0
	v_dual_mov_b32 v28, 0 :: v_dual_mov_b32 v33, 0
	;; [unrolled: 1-line block ×7, first 2 shown]
	s_waitcnt vmcnt(1)
	v_lshl_add_u32 v5, v8, 5, s11
	s_lshl_b64 s[10:11], s[6:7], 2
	v_lshl_or_b32 v6, v8, 7, v6
	s_add_u32 s8, s10, s8
	s_addc_u32 s9, s11, s9
	v_add_co_u32 v8, vcc_lo, v3, v2
	s_load_b32 s0, s[8:9], 0x0
	v_add_co_ci_u32_e32 v9, vcc_lo, 0, v4, vcc_lo
	v_add3_u32 v21, v5, v10, 3
	v_add_co_u32 v10, vcc_lo, v14, v0
	v_mov_b32_e32 v50, 0
	v_add_co_ci_u32_e32 v11, vcc_lo, v15, v1, vcc_lo
	s_waitcnt vmcnt(0) lgkmcnt(0)
	v_mov_b32_e32 v54, v52
	s_mov_b32 s8, 0
	s_brev_b32 s9, 1
	s_mov_b32 s11, 0x7f800001
	s_mov_b32 s5, s8
	v_add_nc_u32_e32 v31, s0, v6
	s_branch .LBB273_543
.LBB273_542:                            ;   in Loop: Header=BB273_543 Depth=1
	s_or_b32 exec_lo, exec_lo, s0
	v_mul_f32_e32 v14, v1, v177
	v_mul_f32_e32 v13, v1, v179
	v_mul_f32_e32 v16, v1, v161
	v_mul_f32_e32 v15, v1, v165
	v_add_co_u32 v10, s0, v10, 16
	v_fmac_f32_e32 v14, v0, v176
	s_delay_alu instid0(VALU_DEP_4) | instskip(SKIP_1) | instid1(VALU_DEP_3)
	v_dual_fmac_f32 v16, v0, v160 :: v_dual_mul_f32 v17, v1, v149
	v_fmac_f32_e32 v13, v0, v178
	v_dual_fmac_f32 v15, v0, v164 :: v_dual_fmac_f32 v14, v2, v167
	v_mul_f32_e32 v67, v1, v145
	s_delay_alu instid0(VALU_DEP_4) | instskip(SKIP_1) | instid1(VALU_DEP_4)
	v_dual_fmac_f32 v17, v0, v148 :: v_dual_fmac_f32 v16, v2, v151
	v_add_co_ci_u32_e64 v11, s0, 0, v11, s0
	v_dual_fmac_f32 v14, v3, v166 :: v_dual_fmac_f32 v13, v2, v19
	s_delay_alu instid0(VALU_DEP_3) | instskip(NEXT) | instid1(VALU_DEP_2)
	v_dual_fmac_f32 v67, v0, v144 :: v_dual_fmac_f32 v16, v3, v150
	v_dual_fmac_f32 v17, v2, v147 :: v_dual_add_f32 v28, v28, v14
	s_delay_alu instid0(VALU_DEP_3) | instskip(NEXT) | instid1(VALU_DEP_3)
	v_dual_mul_f32 v14, v1, v129 :: v_dual_fmac_f32 v13, v3, v18
	v_dual_add_f32 v32, v32, v16 :: v_dual_fmac_f32 v15, v2, v163
	s_delay_alu instid0(VALU_DEP_4) | instskip(NEXT) | instid1(VALU_DEP_3)
	v_dual_fmac_f32 v67, v2, v135 :: v_dual_mul_f32 v16, v1, v113
	v_dual_fmac_f32 v17, v3, v146 :: v_dual_fmac_f32 v14, v0, v128
	s_delay_alu instid0(VALU_DEP_2) | instskip(NEXT) | instid1(VALU_DEP_3)
	v_dual_add_f32 v44, v44, v13 :: v_dual_fmac_f32 v67, v3, v134
	v_dual_fmac_f32 v16, v0, v112 :: v_dual_fmac_f32 v15, v3, v162
	s_delay_alu instid0(VALU_DEP_3) | instskip(NEXT) | instid1(VALU_DEP_2)
	v_dual_mul_f32 v13, v1, v133 :: v_dual_fmac_f32 v14, v2, v119
	v_dual_add_f32 v33, v33, v17 :: v_dual_fmac_f32 v16, v2, v103
	s_delay_alu instid0(VALU_DEP_4) | instskip(NEXT) | instid1(VALU_DEP_3)
	v_add_f32_e32 v34, v34, v67
	v_dual_add_f32 v29, v29, v15 :: v_dual_fmac_f32 v14, v3, v118
	s_delay_alu instid0(VALU_DEP_3) | instskip(SKIP_1) | instid1(VALU_DEP_3)
	v_dual_fmac_f32 v13, v0, v132 :: v_dual_fmac_f32 v16, v3, v102
	v_mul_f32_e32 v15, v1, v117
	v_dual_mul_f32 v17, v1, v101 :: v_dual_add_f32 v36, v36, v14
	s_delay_alu instid0(VALU_DEP_3) | instskip(NEXT) | instid1(VALU_DEP_3)
	v_dual_fmac_f32 v13, v2, v131 :: v_dual_mul_f32 v14, v1, v85
	v_fmac_f32_e32 v15, v0, v116
	v_add_f32_e32 v38, v38, v16
	v_mul_f32_e32 v16, v1, v66
	s_delay_alu instid0(VALU_DEP_4) | instskip(NEXT) | instid1(VALU_DEP_4)
	v_dual_fmac_f32 v13, v3, v130 :: v_dual_fmac_f32 v14, v0, v84
	v_fmac_f32_e32 v15, v2, v115
	v_fmac_f32_e32 v17, v0, v100
	s_delay_alu instid0(VALU_DEP_4) | instskip(NEXT) | instid1(VALU_DEP_4)
	v_fmac_f32_e32 v16, v0, v65
	v_dual_add_f32 v35, v35, v13 :: v_dual_fmac_f32 v14, v2, v83
	s_delay_alu instid0(VALU_DEP_4) | instskip(NEXT) | instid1(VALU_DEP_3)
	v_dual_fmac_f32 v15, v3, v114 :: v_dual_add_nc_u32 v20, 4, v20
	v_dual_mul_f32 v13, v1, v97 :: v_dual_fmac_f32 v16, v2, v64
	s_delay_alu instid0(VALU_DEP_2) | instskip(SKIP_2) | instid1(VALU_DEP_4)
	v_dual_fmac_f32 v14, v3, v82 :: v_dual_add_f32 v37, v37, v15
	v_mul_f32_e32 v15, v1, v81
	v_mul_f32_e32 v1, v1, v12
	v_dual_fmac_f32 v13, v0, v96 :: v_dual_fmac_f32 v16, v3, v55
	s_delay_alu instid0(VALU_DEP_3) | instskip(NEXT) | instid1(VALU_DEP_3)
	v_dual_add_f32 v50, v50, v14 :: v_dual_fmac_f32 v15, v0, v80
	v_fmac_f32_e32 v1, v0, v6
	scratch_load_b32 v0, off, s32 offset:324 ; 4-byte Folded Reload
	v_fmac_f32_e32 v13, v2, v87
	v_add_f32_e32 v49, v49, v16
	v_fmac_f32_e32 v15, v2, v71
	v_fmac_f32_e32 v1, v2, v5
	v_add_nc_u32_e32 v21, 0x80, v21
	v_fmac_f32_e32 v13, v3, v86
	v_fmac_f32_e32 v17, v2, v99
	;; [unrolled: 1-line block ×4, first 2 shown]
	s_delay_alu instid0(VALU_DEP_4) | instskip(NEXT) | instid1(VALU_DEP_4)
	v_dual_add_f32 v48, v48, v13 :: v_dual_add_nc_u32 v31, 0x200, v31
	v_fmac_f32_e32 v17, v3, v98
	s_delay_alu instid0(VALU_DEP_4) | instskip(NEXT) | instid1(VALU_DEP_4)
	v_add_f32_e32 v51, v51, v15
	v_add_f32_e32 v43, v43, v1
	s_delay_alu instid0(VALU_DEP_3) | instskip(SKIP_3) | instid1(SALU_CYCLE_1)
	v_add_f32_e32 v39, v39, v17
	s_waitcnt vmcnt(0)
	v_cmp_ge_i32_e32 vcc_lo, v20, v0
	s_or_b32 s5, vcc_lo, s5
	s_and_not1_b32 exec_lo, exec_lo, s5
	s_cbranch_execz .LBB273_1087
.LBB273_543:                            ; =>This Inner Loop Header: Depth=1
	flat_load_b32 v0, v[10:11]
	scratch_load_b32 v1, off, s32 offset:320 ; 4-byte Folded Reload
	v_mov_b32_e32 v14, 0
	s_mov_b32 s0, exec_lo
	s_waitcnt vmcnt(0) lgkmcnt(0)
	v_mad_i64_i32 v[12:13], null, v0, v1, v[8:9]
	ds_load_b128 v[0:3], v31
	flat_load_b32 v55, v[12:13]
	s_waitcnt vmcnt(0) lgkmcnt(0)
	v_dual_mov_b32 v15, 0 :: v_dual_and_b32 v6, 0xff, v55
	s_delay_alu instid0(VALU_DEP_1) | instskip(NEXT) | instid1(VALU_DEP_2)
	v_dual_mov_b32 v4, v14 :: v_dual_mov_b32 v5, v15
	v_cmpx_ne_u16_e32 0, v6
	s_cbranch_execz .LBB273_551
; %bb.544:                              ;   in Loop: Header=BB273_543 Depth=1
	v_bfrev_b32_e32 v4, 1
	v_mov_b32_e32 v5, 0
	s_mov_b32 s10, exec_lo
	v_cmpx_ne_u16_e32 0x80, v6
	s_cbranch_execz .LBB273_550
; %bb.545:                              ;   in Loop: Header=BB273_543 Depth=1
	v_mov_b32_e32 v4, 0x7f800001
	v_dual_mov_b32 v5, 0 :: v_dual_and_b32 v16, 0x7f, v55
	s_mov_b32 s12, exec_lo
	s_delay_alu instid0(VALU_DEP_1)
	v_cmpx_ne_u32_e32 0x7f, v16
	s_cbranch_execz .LBB273_549
; %bb.546:                              ;   in Loop: Header=BB273_543 Depth=1
	v_and_b32_e32 v6, 7, v55
	v_lshrrev_b32_e32 v4, 3, v16
	s_mov_b32 s13, exec_lo
	v_cmpx_gt_u32_e32 8, v16
; %bb.547:                              ;   in Loop: Header=BB273_543 Depth=1
	s_delay_alu instid0(VALU_DEP_3) | instskip(NEXT) | instid1(VALU_DEP_1)
	v_clz_i32_u32_e32 v4, v6
	v_min_u32_e32 v4, 32, v4
	s_delay_alu instid0(VALU_DEP_1) | instskip(SKIP_1) | instid1(VALU_DEP_2)
	v_subrev_nc_u32_e32 v5, 28, v4
	v_sub_nc_u32_e32 v4, 29, v4
	v_lshlrev_b64 v[5:6], v5, v[6:7]
	s_delay_alu instid0(VALU_DEP_1)
	v_and_b32_e32 v6, 7, v5
; %bb.548:                              ;   in Loop: Header=BB273_543 Depth=1
	s_or_b32 exec_lo, exec_lo, s13
	v_lshlrev_b32_e32 v5, 24, v55
	s_delay_alu instid0(VALU_DEP_2) | instskip(SKIP_1) | instid1(VALU_DEP_3)
	v_lshlrev_b32_e32 v6, 20, v6
	v_lshl_add_u32 v4, v4, 23, 0x3c000000
	v_and_b32_e32 v5, 0x80000000, v5
	s_delay_alu instid0(VALU_DEP_1) | instskip(NEXT) | instid1(VALU_DEP_1)
	v_or3_b32 v6, v6, v5, v4
	v_dual_mov_b32 v4, v6 :: v_dual_mov_b32 v5, v7
.LBB273_549:                            ;   in Loop: Header=BB273_543 Depth=1
	s_or_b32 exec_lo, exec_lo, s12
.LBB273_550:                            ;   in Loop: Header=BB273_543 Depth=1
	s_delay_alu instid0(SALU_CYCLE_1)
	s_or_b32 exec_lo, exec_lo, s10
.LBB273_551:                            ;   in Loop: Header=BB273_543 Depth=1
	s_delay_alu instid0(SALU_CYCLE_1) | instskip(SKIP_2) | instid1(VALU_DEP_1)
	s_or_b32 exec_lo, exec_lo, s0
	v_lshrrev_b16 v6, 8, v55
	s_mov_b32 s0, exec_lo
	v_cmpx_ne_u16_e32 0, v6
	s_cbranch_execz .LBB273_559
; %bb.552:                              ;   in Loop: Header=BB273_543 Depth=1
	v_dual_mov_b32 v15, s9 :: v_dual_mov_b32 v14, s8
	s_mov_b32 s12, exec_lo
	v_cmpx_ne_u16_e32 0x80, v6
	s_cbranch_execz .LBB273_558
; %bb.553:                              ;   in Loop: Header=BB273_543 Depth=1
	s_mov_b32 s10, s8
	v_dual_mov_b32 v15, s11 :: v_dual_and_b32 v6, 0xffff, v6
	v_mov_b32_e32 v14, s10
	s_mov_b32 s10, exec_lo
	s_delay_alu instid0(VALU_DEP_2) | instskip(NEXT) | instid1(VALU_DEP_1)
	v_and_b32_e32 v16, 0x7f, v6
	v_cmpx_ne_u32_e32 0x7f, v16
	s_cbranch_execz .LBB273_557
; %bb.554:                              ;   in Loop: Header=BB273_543 Depth=1
	v_and_b32_e32 v6, 7, v6
	v_lshrrev_b32_e32 v14, 3, v16
	s_mov_b32 s13, exec_lo
	v_cmpx_gt_u32_e32 8, v16
; %bb.555:                              ;   in Loop: Header=BB273_543 Depth=1
	s_delay_alu instid0(VALU_DEP_3) | instskip(NEXT) | instid1(VALU_DEP_1)
	v_clz_i32_u32_e32 v14, v6
	v_min_u32_e32 v14, 32, v14
	s_delay_alu instid0(VALU_DEP_1) | instskip(SKIP_1) | instid1(VALU_DEP_2)
	v_subrev_nc_u32_e32 v15, 28, v14
	v_sub_nc_u32_e32 v14, 29, v14
	v_lshlrev_b64 v[15:16], v15, v[6:7]
	s_delay_alu instid0(VALU_DEP_1)
	v_and_b32_e32 v6, 7, v15
; %bb.556:                              ;   in Loop: Header=BB273_543 Depth=1
	s_or_b32 exec_lo, exec_lo, s13
	v_lshlrev_b32_e32 v15, 16, v55
	s_delay_alu instid0(VALU_DEP_2) | instskip(SKIP_1) | instid1(VALU_DEP_3)
	v_lshlrev_b32_e32 v6, 20, v6
	v_lshl_add_u32 v14, v14, 23, 0x3c000000
	v_and_b32_e32 v15, 0x80000000, v15
	s_delay_alu instid0(VALU_DEP_1)
	v_or3_b32 v15, v6, v15, v14
	v_mov_b32_e32 v14, v7
.LBB273_557:                            ;   in Loop: Header=BB273_543 Depth=1
	s_or_b32 exec_lo, exec_lo, s10
.LBB273_558:                            ;   in Loop: Header=BB273_543 Depth=1
	s_delay_alu instid0(SALU_CYCLE_1)
	s_or_b32 exec_lo, exec_lo, s12
.LBB273_559:                            ;   in Loop: Header=BB273_543 Depth=1
	s_delay_alu instid0(SALU_CYCLE_1) | instskip(SKIP_4) | instid1(VALU_DEP_2)
	s_or_b32 exec_lo, exec_lo, s0
	v_mov_b32_e32 v18, 0
	v_lshrrev_b32_e32 v64, 16, v55
	v_mov_b32_e32 v19, 0
	s_mov_b32 s0, exec_lo
	v_and_b32_e32 v6, 0xff, v64
	s_delay_alu instid0(VALU_DEP_2) | instskip(NEXT) | instid1(VALU_DEP_2)
	v_dual_mov_b32 v16, v18 :: v_dual_mov_b32 v17, v19
	v_cmpx_ne_u16_e32 0, v6
	s_cbranch_execz .LBB273_567
; %bb.560:                              ;   in Loop: Header=BB273_543 Depth=1
	v_bfrev_b32_e32 v16, 1
	v_mov_b32_e32 v17, 0
	s_mov_b32 s10, exec_lo
	v_cmpx_ne_u16_e32 0x80, v6
	s_cbranch_execz .LBB273_566
; %bb.561:                              ;   in Loop: Header=BB273_543 Depth=1
	v_mov_b32_e32 v16, 0x7f800001
	v_bfe_u32 v65, v55, 16, 7
	v_mov_b32_e32 v17, 0
	s_mov_b32 s12, exec_lo
	s_delay_alu instid0(VALU_DEP_2)
	v_cmpx_ne_u32_e32 0x7f, v65
	s_cbranch_execz .LBB273_565
; %bb.562:                              ;   in Loop: Header=BB273_543 Depth=1
	v_and_b32_e32 v6, 7, v64
	v_lshrrev_b32_e32 v16, 3, v65
	s_mov_b32 s13, exec_lo
	v_cmpx_gt_u32_e32 8, v65
; %bb.563:                              ;   in Loop: Header=BB273_543 Depth=1
	s_delay_alu instid0(VALU_DEP_3) | instskip(NEXT) | instid1(VALU_DEP_1)
	v_clz_i32_u32_e32 v16, v6
	v_min_u32_e32 v16, 32, v16
	s_delay_alu instid0(VALU_DEP_1) | instskip(SKIP_1) | instid1(VALU_DEP_2)
	v_subrev_nc_u32_e32 v17, 28, v16
	v_sub_nc_u32_e32 v16, 29, v16
	v_lshlrev_b64 v[65:66], v17, v[6:7]
	s_delay_alu instid0(VALU_DEP_1)
	v_and_b32_e32 v6, 7, v65
; %bb.564:                              ;   in Loop: Header=BB273_543 Depth=1
	s_or_b32 exec_lo, exec_lo, s13
	v_lshlrev_b32_e32 v17, 24, v64
	s_delay_alu instid0(VALU_DEP_2) | instskip(SKIP_1) | instid1(VALU_DEP_3)
	v_lshlrev_b32_e32 v6, 20, v6
	v_lshl_add_u32 v16, v16, 23, 0x3c000000
	v_and_b32_e32 v17, 0x80000000, v17
	s_delay_alu instid0(VALU_DEP_1) | instskip(NEXT) | instid1(VALU_DEP_1)
	v_or3_b32 v6, v6, v17, v16
	v_dual_mov_b32 v17, v7 :: v_dual_mov_b32 v16, v6
.LBB273_565:                            ;   in Loop: Header=BB273_543 Depth=1
	s_or_b32 exec_lo, exec_lo, s12
.LBB273_566:                            ;   in Loop: Header=BB273_543 Depth=1
	s_delay_alu instid0(SALU_CYCLE_1)
	s_or_b32 exec_lo, exec_lo, s10
.LBB273_567:                            ;   in Loop: Header=BB273_543 Depth=1
	s_delay_alu instid0(SALU_CYCLE_1) | instskip(NEXT) | instid1(SALU_CYCLE_1)
	s_or_b32 exec_lo, exec_lo, s0
	s_mov_b32 s0, exec_lo
	v_cmpx_lt_u32_e32 0xffffff, v55
	s_cbranch_execz .LBB273_575
; %bb.568:                              ;   in Loop: Header=BB273_543 Depth=1
	v_lshrrev_b32_e32 v64, 24, v55
	v_dual_mov_b32 v19, s9 :: v_dual_mov_b32 v18, s8
	s_mov_b32 s12, exec_lo
	s_delay_alu instid0(VALU_DEP_2)
	v_cmpx_ne_u32_e32 0x80, v64
	s_cbranch_execz .LBB273_574
; %bb.569:                              ;   in Loop: Header=BB273_543 Depth=1
	s_mov_b32 s10, s8
	v_bfe_u32 v55, v55, 24, 7
	v_dual_mov_b32 v19, s11 :: v_dual_mov_b32 v18, s10
	s_mov_b32 s10, exec_lo
	s_delay_alu instid0(VALU_DEP_2)
	v_cmpx_ne_u32_e32 0x7f, v55
	s_cbranch_execz .LBB273_573
; %bb.570:                              ;   in Loop: Header=BB273_543 Depth=1
	v_and_b32_e32 v6, 7, v64
	v_lshrrev_b32_e32 v18, 3, v55
	s_mov_b32 s13, exec_lo
	v_cmpx_gt_u32_e32 8, v55
; %bb.571:                              ;   in Loop: Header=BB273_543 Depth=1
	s_delay_alu instid0(VALU_DEP_3) | instskip(NEXT) | instid1(VALU_DEP_1)
	v_clz_i32_u32_e32 v18, v6
	v_min_u32_e32 v18, 32, v18
	s_delay_alu instid0(VALU_DEP_1) | instskip(SKIP_1) | instid1(VALU_DEP_2)
	v_subrev_nc_u32_e32 v19, 28, v18
	v_sub_nc_u32_e32 v18, 29, v18
	v_lshlrev_b64 v[65:66], v19, v[6:7]
	s_delay_alu instid0(VALU_DEP_1)
	v_and_b32_e32 v6, 7, v65
; %bb.572:                              ;   in Loop: Header=BB273_543 Depth=1
	s_or_b32 exec_lo, exec_lo, s13
	v_lshlrev_b32_e32 v19, 24, v64
	s_delay_alu instid0(VALU_DEP_2) | instskip(SKIP_1) | instid1(VALU_DEP_3)
	v_lshlrev_b32_e32 v6, 20, v6
	v_lshl_add_u32 v18, v18, 23, 0x3c000000
	v_and_b32_e32 v19, 0x80000000, v19
	s_delay_alu instid0(VALU_DEP_1)
	v_or3_b32 v19, v6, v19, v18
	v_mov_b32_e32 v18, v7
.LBB273_573:                            ;   in Loop: Header=BB273_543 Depth=1
	s_or_b32 exec_lo, exec_lo, s10
.LBB273_574:                            ;   in Loop: Header=BB273_543 Depth=1
	s_delay_alu instid0(SALU_CYCLE_1)
	s_or_b32 exec_lo, exec_lo, s12
.LBB273_575:                            ;   in Loop: Header=BB273_543 Depth=1
	s_delay_alu instid0(SALU_CYCLE_1)
	s_or_b32 exec_lo, exec_lo, s0
	v_or_b32_e32 v5, v15, v5
	v_or_b32_e32 v4, v14, v4
	;; [unrolled: 1-line block ×4, first 2 shown]
	v_add_nc_u32_e32 v67, -3, v21
	v_cmp_eq_u32_e32 vcc_lo, v53, v20
	v_dual_mul_f32 v66, v54, v5 :: v_dual_mul_f32 v65, v52, v4
	v_dual_mul_f32 v55, v54, v6 :: v_dual_add_nc_u32 v68, -1, v21
	v_dual_mul_f32 v64, v52, v14 :: v_dual_add_nc_u32 v69, -2, v21
	s_and_saveexec_b32 s10, vcc_lo
; %bb.576:                              ;   in Loop: Header=BB273_543 Depth=1
	v_cmp_lt_i32_e64 s0, v67, v30
	s_delay_alu instid0(VALU_DEP_1) | instskip(NEXT) | instid1(VALU_DEP_3)
	v_cndmask_b32_e64 v65, 0, v65, s0
	v_cmp_lt_i32_e64 s0, v69, v30
	s_delay_alu instid0(VALU_DEP_1) | instskip(SKIP_1) | instid1(VALU_DEP_1)
	v_cndmask_b32_e64 v66, 0, v66, s0
	v_cmp_lt_i32_e64 s0, v68, v30
	v_cndmask_b32_e64 v64, 0, v64, s0
	v_cmp_lt_i32_e64 s0, v21, v30
	s_delay_alu instid0(VALU_DEP_1)
	v_cndmask_b32_e64 v55, 0, v55, s0
; %bb.577:                              ;   in Loop: Header=BB273_543 Depth=1
	s_or_b32 exec_lo, exec_lo, s10
	flat_load_b32 v70, v[12:13] offset:128
	v_mov_b32_e32 v14, 0
	v_mov_b32_e32 v15, 0
	s_mov_b32 s10, exec_lo
	s_waitcnt vmcnt(0) lgkmcnt(0)
	v_and_b32_e32 v6, 0xff, v70
	s_delay_alu instid0(VALU_DEP_2) | instskip(NEXT) | instid1(VALU_DEP_2)
	v_dual_mov_b32 v4, v14 :: v_dual_mov_b32 v5, v15
	v_cmpx_ne_u16_e32 0, v6
	s_cbranch_execz .LBB273_585
; %bb.578:                              ;   in Loop: Header=BB273_543 Depth=1
	v_bfrev_b32_e32 v4, 1
	v_mov_b32_e32 v5, 0
	s_mov_b32 s12, exec_lo
	v_cmpx_ne_u16_e32 0x80, v6
	s_cbranch_execz .LBB273_584
; %bb.579:                              ;   in Loop: Header=BB273_543 Depth=1
	v_mov_b32_e32 v4, 0x7f800001
	v_dual_mov_b32 v5, 0 :: v_dual_and_b32 v16, 0x7f, v70
	s_mov_b32 s13, exec_lo
	s_delay_alu instid0(VALU_DEP_1)
	v_cmpx_ne_u32_e32 0x7f, v16
	s_cbranch_execz .LBB273_583
; %bb.580:                              ;   in Loop: Header=BB273_543 Depth=1
	v_and_b32_e32 v6, 7, v70
	v_lshrrev_b32_e32 v4, 3, v16
	s_mov_b32 s15, exec_lo
	v_cmpx_gt_u32_e32 8, v16
; %bb.581:                              ;   in Loop: Header=BB273_543 Depth=1
	s_delay_alu instid0(VALU_DEP_3) | instskip(NEXT) | instid1(VALU_DEP_1)
	v_clz_i32_u32_e32 v4, v6
	v_min_u32_e32 v4, 32, v4
	s_delay_alu instid0(VALU_DEP_1) | instskip(SKIP_1) | instid1(VALU_DEP_2)
	v_subrev_nc_u32_e32 v5, 28, v4
	v_sub_nc_u32_e32 v4, 29, v4
	v_lshlrev_b64 v[5:6], v5, v[6:7]
	s_delay_alu instid0(VALU_DEP_1)
	v_and_b32_e32 v6, 7, v5
; %bb.582:                              ;   in Loop: Header=BB273_543 Depth=1
	s_or_b32 exec_lo, exec_lo, s15
	v_lshlrev_b32_e32 v5, 24, v70
	s_delay_alu instid0(VALU_DEP_2) | instskip(SKIP_1) | instid1(VALU_DEP_3)
	v_lshlrev_b32_e32 v6, 20, v6
	v_lshl_add_u32 v4, v4, 23, 0x3c000000
	v_and_b32_e32 v5, 0x80000000, v5
	s_delay_alu instid0(VALU_DEP_1) | instskip(NEXT) | instid1(VALU_DEP_1)
	v_or3_b32 v6, v6, v5, v4
	v_dual_mov_b32 v4, v6 :: v_dual_mov_b32 v5, v7
.LBB273_583:                            ;   in Loop: Header=BB273_543 Depth=1
	s_or_b32 exec_lo, exec_lo, s13
.LBB273_584:                            ;   in Loop: Header=BB273_543 Depth=1
	s_delay_alu instid0(SALU_CYCLE_1)
	s_or_b32 exec_lo, exec_lo, s12
.LBB273_585:                            ;   in Loop: Header=BB273_543 Depth=1
	s_delay_alu instid0(SALU_CYCLE_1) | instskip(SKIP_2) | instid1(VALU_DEP_1)
	s_or_b32 exec_lo, exec_lo, s10
	v_lshrrev_b16 v6, 8, v70
	s_mov_b32 s12, exec_lo
	v_cmpx_ne_u16_e32 0, v6
	s_cbranch_execz .LBB273_593
; %bb.586:                              ;   in Loop: Header=BB273_543 Depth=1
	v_dual_mov_b32 v15, s9 :: v_dual_mov_b32 v14, s8
	s_mov_b32 s13, exec_lo
	v_cmpx_ne_u16_e32 0x80, v6
	s_cbranch_execz .LBB273_592
; %bb.587:                              ;   in Loop: Header=BB273_543 Depth=1
	s_mov_b32 s10, s8
	v_dual_mov_b32 v15, s11 :: v_dual_and_b32 v6, 0xffff, v6
	v_mov_b32_e32 v14, s10
	s_mov_b32 s10, exec_lo
	s_delay_alu instid0(VALU_DEP_2) | instskip(NEXT) | instid1(VALU_DEP_1)
	v_and_b32_e32 v16, 0x7f, v6
	v_cmpx_ne_u32_e32 0x7f, v16
	s_cbranch_execz .LBB273_591
; %bb.588:                              ;   in Loop: Header=BB273_543 Depth=1
	v_and_b32_e32 v6, 7, v6
	v_lshrrev_b32_e32 v14, 3, v16
	s_mov_b32 s15, exec_lo
	v_cmpx_gt_u32_e32 8, v16
; %bb.589:                              ;   in Loop: Header=BB273_543 Depth=1
	s_delay_alu instid0(VALU_DEP_3) | instskip(NEXT) | instid1(VALU_DEP_1)
	v_clz_i32_u32_e32 v14, v6
	v_min_u32_e32 v14, 32, v14
	s_delay_alu instid0(VALU_DEP_1) | instskip(SKIP_1) | instid1(VALU_DEP_2)
	v_subrev_nc_u32_e32 v15, 28, v14
	v_sub_nc_u32_e32 v14, 29, v14
	v_lshlrev_b64 v[15:16], v15, v[6:7]
	s_delay_alu instid0(VALU_DEP_1)
	v_and_b32_e32 v6, 7, v15
; %bb.590:                              ;   in Loop: Header=BB273_543 Depth=1
	s_or_b32 exec_lo, exec_lo, s15
	v_lshlrev_b32_e32 v15, 16, v70
	s_delay_alu instid0(VALU_DEP_2) | instskip(SKIP_1) | instid1(VALU_DEP_3)
	v_lshlrev_b32_e32 v6, 20, v6
	v_lshl_add_u32 v14, v14, 23, 0x3c000000
	v_and_b32_e32 v15, 0x80000000, v15
	s_delay_alu instid0(VALU_DEP_1)
	v_or3_b32 v15, v6, v15, v14
	v_mov_b32_e32 v14, v7
.LBB273_591:                            ;   in Loop: Header=BB273_543 Depth=1
	s_or_b32 exec_lo, exec_lo, s10
.LBB273_592:                            ;   in Loop: Header=BB273_543 Depth=1
	s_delay_alu instid0(SALU_CYCLE_1)
	s_or_b32 exec_lo, exec_lo, s13
.LBB273_593:                            ;   in Loop: Header=BB273_543 Depth=1
	s_delay_alu instid0(SALU_CYCLE_1) | instskip(SKIP_4) | instid1(VALU_DEP_2)
	s_or_b32 exec_lo, exec_lo, s12
	v_mov_b32_e32 v18, 0
	v_lshrrev_b32_e32 v71, 16, v70
	v_mov_b32_e32 v19, 0
	s_mov_b32 s10, exec_lo
	v_and_b32_e32 v6, 0xff, v71
	s_delay_alu instid0(VALU_DEP_2) | instskip(NEXT) | instid1(VALU_DEP_2)
	v_dual_mov_b32 v16, v18 :: v_dual_mov_b32 v17, v19
	v_cmpx_ne_u16_e32 0, v6
	s_cbranch_execz .LBB273_601
; %bb.594:                              ;   in Loop: Header=BB273_543 Depth=1
	v_bfrev_b32_e32 v16, 1
	v_mov_b32_e32 v17, 0
	s_mov_b32 s12, exec_lo
	v_cmpx_ne_u16_e32 0x80, v6
	s_cbranch_execz .LBB273_600
; %bb.595:                              ;   in Loop: Header=BB273_543 Depth=1
	v_mov_b32_e32 v16, 0x7f800001
	v_bfe_u32 v80, v70, 16, 7
	v_mov_b32_e32 v17, 0
	s_mov_b32 s13, exec_lo
	s_delay_alu instid0(VALU_DEP_2)
	v_cmpx_ne_u32_e32 0x7f, v80
	s_cbranch_execz .LBB273_599
; %bb.596:                              ;   in Loop: Header=BB273_543 Depth=1
	v_and_b32_e32 v6, 7, v71
	v_lshrrev_b32_e32 v16, 3, v80
	s_mov_b32 s15, exec_lo
	v_cmpx_gt_u32_e32 8, v80
; %bb.597:                              ;   in Loop: Header=BB273_543 Depth=1
	s_delay_alu instid0(VALU_DEP_3) | instskip(NEXT) | instid1(VALU_DEP_1)
	v_clz_i32_u32_e32 v16, v6
	v_min_u32_e32 v16, 32, v16
	s_delay_alu instid0(VALU_DEP_1) | instskip(SKIP_1) | instid1(VALU_DEP_2)
	v_subrev_nc_u32_e32 v17, 28, v16
	v_sub_nc_u32_e32 v16, 29, v16
	v_lshlrev_b64 v[80:81], v17, v[6:7]
	s_delay_alu instid0(VALU_DEP_1)
	v_and_b32_e32 v6, 7, v80
; %bb.598:                              ;   in Loop: Header=BB273_543 Depth=1
	s_or_b32 exec_lo, exec_lo, s15
	v_lshlrev_b32_e32 v17, 24, v71
	s_delay_alu instid0(VALU_DEP_2) | instskip(SKIP_1) | instid1(VALU_DEP_3)
	v_lshlrev_b32_e32 v6, 20, v6
	v_lshl_add_u32 v16, v16, 23, 0x3c000000
	v_and_b32_e32 v17, 0x80000000, v17
	s_delay_alu instid0(VALU_DEP_1) | instskip(NEXT) | instid1(VALU_DEP_1)
	v_or3_b32 v6, v6, v17, v16
	v_dual_mov_b32 v17, v7 :: v_dual_mov_b32 v16, v6
.LBB273_599:                            ;   in Loop: Header=BB273_543 Depth=1
	s_or_b32 exec_lo, exec_lo, s13
.LBB273_600:                            ;   in Loop: Header=BB273_543 Depth=1
	s_delay_alu instid0(SALU_CYCLE_1)
	s_or_b32 exec_lo, exec_lo, s12
.LBB273_601:                            ;   in Loop: Header=BB273_543 Depth=1
	s_delay_alu instid0(SALU_CYCLE_1) | instskip(NEXT) | instid1(SALU_CYCLE_1)
	s_or_b32 exec_lo, exec_lo, s10
	s_mov_b32 s12, exec_lo
	v_cmpx_lt_u32_e32 0xffffff, v70
	s_cbranch_execz .LBB273_609
; %bb.602:                              ;   in Loop: Header=BB273_543 Depth=1
	v_lshrrev_b32_e32 v71, 24, v70
	v_dual_mov_b32 v19, s9 :: v_dual_mov_b32 v18, s8
	s_mov_b32 s13, exec_lo
	s_delay_alu instid0(VALU_DEP_2)
	v_cmpx_ne_u32_e32 0x80, v71
	s_cbranch_execz .LBB273_608
; %bb.603:                              ;   in Loop: Header=BB273_543 Depth=1
	s_mov_b32 s10, s8
	v_bfe_u32 v70, v70, 24, 7
	v_dual_mov_b32 v19, s11 :: v_dual_mov_b32 v18, s10
	s_mov_b32 s10, exec_lo
	s_delay_alu instid0(VALU_DEP_2)
	v_cmpx_ne_u32_e32 0x7f, v70
	s_cbranch_execz .LBB273_607
; %bb.604:                              ;   in Loop: Header=BB273_543 Depth=1
	v_and_b32_e32 v6, 7, v71
	v_lshrrev_b32_e32 v18, 3, v70
	s_mov_b32 s15, exec_lo
	v_cmpx_gt_u32_e32 8, v70
; %bb.605:                              ;   in Loop: Header=BB273_543 Depth=1
	s_delay_alu instid0(VALU_DEP_3) | instskip(NEXT) | instid1(VALU_DEP_1)
	v_clz_i32_u32_e32 v18, v6
	v_min_u32_e32 v18, 32, v18
	s_delay_alu instid0(VALU_DEP_1) | instskip(SKIP_1) | instid1(VALU_DEP_2)
	v_subrev_nc_u32_e32 v19, 28, v18
	v_sub_nc_u32_e32 v18, 29, v18
	v_lshlrev_b64 v[80:81], v19, v[6:7]
	s_delay_alu instid0(VALU_DEP_1)
	v_and_b32_e32 v6, 7, v80
; %bb.606:                              ;   in Loop: Header=BB273_543 Depth=1
	s_or_b32 exec_lo, exec_lo, s15
	v_lshlrev_b32_e32 v19, 24, v71
	s_delay_alu instid0(VALU_DEP_2) | instskip(SKIP_1) | instid1(VALU_DEP_3)
	v_lshlrev_b32_e32 v6, 20, v6
	v_lshl_add_u32 v18, v18, 23, 0x3c000000
	v_and_b32_e32 v19, 0x80000000, v19
	s_delay_alu instid0(VALU_DEP_1)
	v_or3_b32 v19, v6, v19, v18
	v_mov_b32_e32 v18, v7
.LBB273_607:                            ;   in Loop: Header=BB273_543 Depth=1
	s_or_b32 exec_lo, exec_lo, s10
.LBB273_608:                            ;   in Loop: Header=BB273_543 Depth=1
	s_delay_alu instid0(SALU_CYCLE_1)
	s_or_b32 exec_lo, exec_lo, s13
.LBB273_609:                            ;   in Loop: Header=BB273_543 Depth=1
	s_delay_alu instid0(SALU_CYCLE_1) | instskip(SKIP_4) | instid1(VALU_DEP_3)
	s_or_b32 exec_lo, exec_lo, s12
	v_or_b32_e32 v5, v15, v5
	v_or_b32_e32 v4, v14, v4
	;; [unrolled: 1-line block ×4, first 2 shown]
	v_dual_mul_f32 v81, v54, v5 :: v_dual_mul_f32 v80, v52, v4
	s_delay_alu instid0(VALU_DEP_3) | instskip(NEXT) | instid1(VALU_DEP_3)
	v_mul_f32_e32 v70, v54, v6
	v_mul_f32_e32 v71, v52, v14
	s_and_saveexec_b32 s10, vcc_lo
; %bb.610:                              ;   in Loop: Header=BB273_543 Depth=1
	v_cmp_lt_i32_e64 s0, v67, v30
	s_delay_alu instid0(VALU_DEP_1) | instskip(SKIP_1) | instid1(VALU_DEP_1)
	v_cndmask_b32_e64 v80, 0, v80, s0
	v_cmp_lt_i32_e64 s0, v69, v30
	v_cndmask_b32_e64 v81, 0, v81, s0
	v_cmp_lt_i32_e64 s0, v68, v30
	s_delay_alu instid0(VALU_DEP_1) | instskip(SKIP_1) | instid1(VALU_DEP_1)
	v_cndmask_b32_e64 v71, 0, v71, s0
	v_cmp_lt_i32_e64 s0, v21, v30
	v_cndmask_b32_e64 v70, 0, v70, s0
; %bb.611:                              ;   in Loop: Header=BB273_543 Depth=1
	s_or_b32 exec_lo, exec_lo, s10
	flat_load_b32 v82, v[12:13] offset:256
	v_mov_b32_e32 v14, 0
	v_mov_b32_e32 v15, 0
	s_mov_b32 s10, exec_lo
	s_waitcnt vmcnt(0) lgkmcnt(0)
	v_and_b32_e32 v6, 0xff, v82
	s_delay_alu instid0(VALU_DEP_2) | instskip(NEXT) | instid1(VALU_DEP_2)
	v_dual_mov_b32 v4, v14 :: v_dual_mov_b32 v5, v15
	v_cmpx_ne_u16_e32 0, v6
	s_cbranch_execz .LBB273_619
; %bb.612:                              ;   in Loop: Header=BB273_543 Depth=1
	v_bfrev_b32_e32 v4, 1
	v_mov_b32_e32 v5, 0
	s_mov_b32 s12, exec_lo
	v_cmpx_ne_u16_e32 0x80, v6
	s_cbranch_execz .LBB273_618
; %bb.613:                              ;   in Loop: Header=BB273_543 Depth=1
	v_mov_b32_e32 v4, 0x7f800001
	v_dual_mov_b32 v5, 0 :: v_dual_and_b32 v16, 0x7f, v82
	s_mov_b32 s13, exec_lo
	s_delay_alu instid0(VALU_DEP_1)
	v_cmpx_ne_u32_e32 0x7f, v16
	s_cbranch_execz .LBB273_617
; %bb.614:                              ;   in Loop: Header=BB273_543 Depth=1
	v_and_b32_e32 v6, 7, v82
	v_lshrrev_b32_e32 v4, 3, v16
	s_mov_b32 s15, exec_lo
	v_cmpx_gt_u32_e32 8, v16
; %bb.615:                              ;   in Loop: Header=BB273_543 Depth=1
	s_delay_alu instid0(VALU_DEP_3) | instskip(NEXT) | instid1(VALU_DEP_1)
	v_clz_i32_u32_e32 v4, v6
	v_min_u32_e32 v4, 32, v4
	s_delay_alu instid0(VALU_DEP_1) | instskip(SKIP_1) | instid1(VALU_DEP_2)
	v_subrev_nc_u32_e32 v5, 28, v4
	v_sub_nc_u32_e32 v4, 29, v4
	v_lshlrev_b64 v[5:6], v5, v[6:7]
	s_delay_alu instid0(VALU_DEP_1)
	v_and_b32_e32 v6, 7, v5
; %bb.616:                              ;   in Loop: Header=BB273_543 Depth=1
	s_or_b32 exec_lo, exec_lo, s15
	v_lshlrev_b32_e32 v5, 24, v82
	s_delay_alu instid0(VALU_DEP_2) | instskip(SKIP_1) | instid1(VALU_DEP_3)
	v_lshlrev_b32_e32 v6, 20, v6
	v_lshl_add_u32 v4, v4, 23, 0x3c000000
	v_and_b32_e32 v5, 0x80000000, v5
	s_delay_alu instid0(VALU_DEP_1) | instskip(NEXT) | instid1(VALU_DEP_1)
	v_or3_b32 v6, v6, v5, v4
	v_dual_mov_b32 v4, v6 :: v_dual_mov_b32 v5, v7
.LBB273_617:                            ;   in Loop: Header=BB273_543 Depth=1
	s_or_b32 exec_lo, exec_lo, s13
.LBB273_618:                            ;   in Loop: Header=BB273_543 Depth=1
	s_delay_alu instid0(SALU_CYCLE_1)
	s_or_b32 exec_lo, exec_lo, s12
.LBB273_619:                            ;   in Loop: Header=BB273_543 Depth=1
	s_delay_alu instid0(SALU_CYCLE_1) | instskip(SKIP_2) | instid1(VALU_DEP_1)
	s_or_b32 exec_lo, exec_lo, s10
	v_lshrrev_b16 v6, 8, v82
	s_mov_b32 s12, exec_lo
	v_cmpx_ne_u16_e32 0, v6
	s_cbranch_execz .LBB273_627
; %bb.620:                              ;   in Loop: Header=BB273_543 Depth=1
	v_dual_mov_b32 v15, s9 :: v_dual_mov_b32 v14, s8
	s_mov_b32 s13, exec_lo
	v_cmpx_ne_u16_e32 0x80, v6
	s_cbranch_execz .LBB273_626
; %bb.621:                              ;   in Loop: Header=BB273_543 Depth=1
	s_mov_b32 s10, s8
	v_dual_mov_b32 v15, s11 :: v_dual_and_b32 v6, 0xffff, v6
	v_mov_b32_e32 v14, s10
	s_mov_b32 s10, exec_lo
	s_delay_alu instid0(VALU_DEP_2) | instskip(NEXT) | instid1(VALU_DEP_1)
	v_and_b32_e32 v16, 0x7f, v6
	v_cmpx_ne_u32_e32 0x7f, v16
	s_cbranch_execz .LBB273_625
; %bb.622:                              ;   in Loop: Header=BB273_543 Depth=1
	v_and_b32_e32 v6, 7, v6
	v_lshrrev_b32_e32 v14, 3, v16
	s_mov_b32 s15, exec_lo
	v_cmpx_gt_u32_e32 8, v16
; %bb.623:                              ;   in Loop: Header=BB273_543 Depth=1
	s_delay_alu instid0(VALU_DEP_3) | instskip(NEXT) | instid1(VALU_DEP_1)
	v_clz_i32_u32_e32 v14, v6
	v_min_u32_e32 v14, 32, v14
	s_delay_alu instid0(VALU_DEP_1) | instskip(SKIP_1) | instid1(VALU_DEP_2)
	v_subrev_nc_u32_e32 v15, 28, v14
	v_sub_nc_u32_e32 v14, 29, v14
	v_lshlrev_b64 v[15:16], v15, v[6:7]
	s_delay_alu instid0(VALU_DEP_1)
	v_and_b32_e32 v6, 7, v15
; %bb.624:                              ;   in Loop: Header=BB273_543 Depth=1
	s_or_b32 exec_lo, exec_lo, s15
	v_lshlrev_b32_e32 v15, 16, v82
	s_delay_alu instid0(VALU_DEP_2) | instskip(SKIP_1) | instid1(VALU_DEP_3)
	v_lshlrev_b32_e32 v6, 20, v6
	v_lshl_add_u32 v14, v14, 23, 0x3c000000
	v_and_b32_e32 v15, 0x80000000, v15
	s_delay_alu instid0(VALU_DEP_1)
	v_or3_b32 v15, v6, v15, v14
	v_mov_b32_e32 v14, v7
.LBB273_625:                            ;   in Loop: Header=BB273_543 Depth=1
	s_or_b32 exec_lo, exec_lo, s10
.LBB273_626:                            ;   in Loop: Header=BB273_543 Depth=1
	s_delay_alu instid0(SALU_CYCLE_1)
	s_or_b32 exec_lo, exec_lo, s13
.LBB273_627:                            ;   in Loop: Header=BB273_543 Depth=1
	s_delay_alu instid0(SALU_CYCLE_1) | instskip(SKIP_4) | instid1(VALU_DEP_2)
	s_or_b32 exec_lo, exec_lo, s12
	v_mov_b32_e32 v18, 0
	v_lshrrev_b32_e32 v83, 16, v82
	v_mov_b32_e32 v19, 0
	s_mov_b32 s10, exec_lo
	v_and_b32_e32 v6, 0xff, v83
	s_delay_alu instid0(VALU_DEP_2) | instskip(NEXT) | instid1(VALU_DEP_2)
	v_dual_mov_b32 v16, v18 :: v_dual_mov_b32 v17, v19
	v_cmpx_ne_u16_e32 0, v6
	s_cbranch_execz .LBB273_635
; %bb.628:                              ;   in Loop: Header=BB273_543 Depth=1
	v_bfrev_b32_e32 v16, 1
	v_mov_b32_e32 v17, 0
	s_mov_b32 s12, exec_lo
	v_cmpx_ne_u16_e32 0x80, v6
	s_cbranch_execz .LBB273_634
; %bb.629:                              ;   in Loop: Header=BB273_543 Depth=1
	v_mov_b32_e32 v16, 0x7f800001
	v_bfe_u32 v84, v82, 16, 7
	v_mov_b32_e32 v17, 0
	s_mov_b32 s13, exec_lo
	s_delay_alu instid0(VALU_DEP_2)
	v_cmpx_ne_u32_e32 0x7f, v84
	s_cbranch_execz .LBB273_633
; %bb.630:                              ;   in Loop: Header=BB273_543 Depth=1
	v_and_b32_e32 v6, 7, v83
	v_lshrrev_b32_e32 v16, 3, v84
	s_mov_b32 s15, exec_lo
	v_cmpx_gt_u32_e32 8, v84
; %bb.631:                              ;   in Loop: Header=BB273_543 Depth=1
	s_delay_alu instid0(VALU_DEP_3) | instskip(NEXT) | instid1(VALU_DEP_1)
	v_clz_i32_u32_e32 v16, v6
	v_min_u32_e32 v16, 32, v16
	s_delay_alu instid0(VALU_DEP_1) | instskip(SKIP_1) | instid1(VALU_DEP_2)
	v_subrev_nc_u32_e32 v17, 28, v16
	v_sub_nc_u32_e32 v16, 29, v16
	v_lshlrev_b64 v[84:85], v17, v[6:7]
	s_delay_alu instid0(VALU_DEP_1)
	v_and_b32_e32 v6, 7, v84
; %bb.632:                              ;   in Loop: Header=BB273_543 Depth=1
	s_or_b32 exec_lo, exec_lo, s15
	v_lshlrev_b32_e32 v17, 24, v83
	s_delay_alu instid0(VALU_DEP_2) | instskip(SKIP_1) | instid1(VALU_DEP_3)
	v_lshlrev_b32_e32 v6, 20, v6
	v_lshl_add_u32 v16, v16, 23, 0x3c000000
	v_and_b32_e32 v17, 0x80000000, v17
	s_delay_alu instid0(VALU_DEP_1) | instskip(NEXT) | instid1(VALU_DEP_1)
	v_or3_b32 v6, v6, v17, v16
	v_dual_mov_b32 v17, v7 :: v_dual_mov_b32 v16, v6
.LBB273_633:                            ;   in Loop: Header=BB273_543 Depth=1
	s_or_b32 exec_lo, exec_lo, s13
.LBB273_634:                            ;   in Loop: Header=BB273_543 Depth=1
	s_delay_alu instid0(SALU_CYCLE_1)
	s_or_b32 exec_lo, exec_lo, s12
.LBB273_635:                            ;   in Loop: Header=BB273_543 Depth=1
	s_delay_alu instid0(SALU_CYCLE_1) | instskip(NEXT) | instid1(SALU_CYCLE_1)
	s_or_b32 exec_lo, exec_lo, s10
	s_mov_b32 s12, exec_lo
	v_cmpx_lt_u32_e32 0xffffff, v82
	s_cbranch_execz .LBB273_643
; %bb.636:                              ;   in Loop: Header=BB273_543 Depth=1
	v_lshrrev_b32_e32 v83, 24, v82
	v_dual_mov_b32 v19, s9 :: v_dual_mov_b32 v18, s8
	s_mov_b32 s13, exec_lo
	s_delay_alu instid0(VALU_DEP_2)
	v_cmpx_ne_u32_e32 0x80, v83
	s_cbranch_execz .LBB273_642
; %bb.637:                              ;   in Loop: Header=BB273_543 Depth=1
	s_mov_b32 s10, s8
	v_bfe_u32 v82, v82, 24, 7
	v_dual_mov_b32 v19, s11 :: v_dual_mov_b32 v18, s10
	s_mov_b32 s10, exec_lo
	s_delay_alu instid0(VALU_DEP_2)
	v_cmpx_ne_u32_e32 0x7f, v82
	s_cbranch_execz .LBB273_641
; %bb.638:                              ;   in Loop: Header=BB273_543 Depth=1
	v_and_b32_e32 v6, 7, v83
	v_lshrrev_b32_e32 v18, 3, v82
	s_mov_b32 s15, exec_lo
	v_cmpx_gt_u32_e32 8, v82
; %bb.639:                              ;   in Loop: Header=BB273_543 Depth=1
	s_delay_alu instid0(VALU_DEP_3) | instskip(NEXT) | instid1(VALU_DEP_1)
	v_clz_i32_u32_e32 v18, v6
	v_min_u32_e32 v18, 32, v18
	s_delay_alu instid0(VALU_DEP_1) | instskip(SKIP_1) | instid1(VALU_DEP_2)
	v_subrev_nc_u32_e32 v19, 28, v18
	v_sub_nc_u32_e32 v18, 29, v18
	v_lshlrev_b64 v[84:85], v19, v[6:7]
	s_delay_alu instid0(VALU_DEP_1)
	v_and_b32_e32 v6, 7, v84
; %bb.640:                              ;   in Loop: Header=BB273_543 Depth=1
	s_or_b32 exec_lo, exec_lo, s15
	v_lshlrev_b32_e32 v19, 24, v83
	s_delay_alu instid0(VALU_DEP_2) | instskip(SKIP_1) | instid1(VALU_DEP_3)
	v_lshlrev_b32_e32 v6, 20, v6
	v_lshl_add_u32 v18, v18, 23, 0x3c000000
	v_and_b32_e32 v19, 0x80000000, v19
	s_delay_alu instid0(VALU_DEP_1)
	v_or3_b32 v19, v6, v19, v18
	v_mov_b32_e32 v18, v7
.LBB273_641:                            ;   in Loop: Header=BB273_543 Depth=1
	s_or_b32 exec_lo, exec_lo, s10
.LBB273_642:                            ;   in Loop: Header=BB273_543 Depth=1
	s_delay_alu instid0(SALU_CYCLE_1)
	s_or_b32 exec_lo, exec_lo, s13
.LBB273_643:                            ;   in Loop: Header=BB273_543 Depth=1
	s_delay_alu instid0(SALU_CYCLE_1) | instskip(SKIP_4) | instid1(VALU_DEP_3)
	s_or_b32 exec_lo, exec_lo, s12
	v_or_b32_e32 v5, v15, v5
	v_or_b32_e32 v4, v14, v4
	;; [unrolled: 1-line block ×4, first 2 shown]
	v_dual_mul_f32 v85, v54, v5 :: v_dual_mul_f32 v84, v52, v4
	s_delay_alu instid0(VALU_DEP_3) | instskip(NEXT) | instid1(VALU_DEP_3)
	v_mul_f32_e32 v82, v54, v6
	v_mul_f32_e32 v83, v52, v14
	s_and_saveexec_b32 s10, vcc_lo
; %bb.644:                              ;   in Loop: Header=BB273_543 Depth=1
	v_cmp_lt_i32_e64 s0, v67, v30
	s_delay_alu instid0(VALU_DEP_1) | instskip(SKIP_1) | instid1(VALU_DEP_1)
	v_cndmask_b32_e64 v84, 0, v84, s0
	v_cmp_lt_i32_e64 s0, v69, v30
	v_cndmask_b32_e64 v85, 0, v85, s0
	v_cmp_lt_i32_e64 s0, v68, v30
	s_delay_alu instid0(VALU_DEP_1) | instskip(SKIP_1) | instid1(VALU_DEP_1)
	v_cndmask_b32_e64 v83, 0, v83, s0
	v_cmp_lt_i32_e64 s0, v21, v30
	v_cndmask_b32_e64 v82, 0, v82, s0
; %bb.645:                              ;   in Loop: Header=BB273_543 Depth=1
	s_or_b32 exec_lo, exec_lo, s10
	flat_load_b32 v86, v[12:13] offset:384
	v_mov_b32_e32 v14, 0
	v_mov_b32_e32 v15, 0
	s_mov_b32 s10, exec_lo
	s_waitcnt vmcnt(0) lgkmcnt(0)
	v_and_b32_e32 v6, 0xff, v86
	s_delay_alu instid0(VALU_DEP_2) | instskip(NEXT) | instid1(VALU_DEP_2)
	v_dual_mov_b32 v4, v14 :: v_dual_mov_b32 v5, v15
	v_cmpx_ne_u16_e32 0, v6
	s_cbranch_execz .LBB273_653
; %bb.646:                              ;   in Loop: Header=BB273_543 Depth=1
	v_bfrev_b32_e32 v4, 1
	v_mov_b32_e32 v5, 0
	s_mov_b32 s12, exec_lo
	v_cmpx_ne_u16_e32 0x80, v6
	s_cbranch_execz .LBB273_652
; %bb.647:                              ;   in Loop: Header=BB273_543 Depth=1
	v_mov_b32_e32 v4, 0x7f800001
	v_dual_mov_b32 v5, 0 :: v_dual_and_b32 v16, 0x7f, v86
	s_mov_b32 s13, exec_lo
	s_delay_alu instid0(VALU_DEP_1)
	v_cmpx_ne_u32_e32 0x7f, v16
	s_cbranch_execz .LBB273_651
; %bb.648:                              ;   in Loop: Header=BB273_543 Depth=1
	v_and_b32_e32 v6, 7, v86
	v_lshrrev_b32_e32 v4, 3, v16
	s_mov_b32 s15, exec_lo
	v_cmpx_gt_u32_e32 8, v16
; %bb.649:                              ;   in Loop: Header=BB273_543 Depth=1
	s_delay_alu instid0(VALU_DEP_3) | instskip(NEXT) | instid1(VALU_DEP_1)
	v_clz_i32_u32_e32 v4, v6
	v_min_u32_e32 v4, 32, v4
	s_delay_alu instid0(VALU_DEP_1) | instskip(SKIP_1) | instid1(VALU_DEP_2)
	v_subrev_nc_u32_e32 v5, 28, v4
	v_sub_nc_u32_e32 v4, 29, v4
	v_lshlrev_b64 v[5:6], v5, v[6:7]
	s_delay_alu instid0(VALU_DEP_1)
	v_and_b32_e32 v6, 7, v5
; %bb.650:                              ;   in Loop: Header=BB273_543 Depth=1
	s_or_b32 exec_lo, exec_lo, s15
	v_lshlrev_b32_e32 v5, 24, v86
	s_delay_alu instid0(VALU_DEP_2) | instskip(SKIP_1) | instid1(VALU_DEP_3)
	v_lshlrev_b32_e32 v6, 20, v6
	v_lshl_add_u32 v4, v4, 23, 0x3c000000
	v_and_b32_e32 v5, 0x80000000, v5
	s_delay_alu instid0(VALU_DEP_1) | instskip(NEXT) | instid1(VALU_DEP_1)
	v_or3_b32 v6, v6, v5, v4
	v_dual_mov_b32 v4, v6 :: v_dual_mov_b32 v5, v7
.LBB273_651:                            ;   in Loop: Header=BB273_543 Depth=1
	s_or_b32 exec_lo, exec_lo, s13
.LBB273_652:                            ;   in Loop: Header=BB273_543 Depth=1
	s_delay_alu instid0(SALU_CYCLE_1)
	s_or_b32 exec_lo, exec_lo, s12
.LBB273_653:                            ;   in Loop: Header=BB273_543 Depth=1
	s_delay_alu instid0(SALU_CYCLE_1) | instskip(SKIP_2) | instid1(VALU_DEP_1)
	s_or_b32 exec_lo, exec_lo, s10
	v_lshrrev_b16 v6, 8, v86
	s_mov_b32 s12, exec_lo
	v_cmpx_ne_u16_e32 0, v6
	s_cbranch_execz .LBB273_661
; %bb.654:                              ;   in Loop: Header=BB273_543 Depth=1
	v_dual_mov_b32 v15, s9 :: v_dual_mov_b32 v14, s8
	s_mov_b32 s13, exec_lo
	v_cmpx_ne_u16_e32 0x80, v6
	s_cbranch_execz .LBB273_660
; %bb.655:                              ;   in Loop: Header=BB273_543 Depth=1
	s_mov_b32 s10, s8
	v_dual_mov_b32 v15, s11 :: v_dual_and_b32 v6, 0xffff, v6
	v_mov_b32_e32 v14, s10
	s_mov_b32 s10, exec_lo
	s_delay_alu instid0(VALU_DEP_2) | instskip(NEXT) | instid1(VALU_DEP_1)
	v_and_b32_e32 v16, 0x7f, v6
	v_cmpx_ne_u32_e32 0x7f, v16
	s_cbranch_execz .LBB273_659
; %bb.656:                              ;   in Loop: Header=BB273_543 Depth=1
	v_and_b32_e32 v6, 7, v6
	v_lshrrev_b32_e32 v14, 3, v16
	s_mov_b32 s15, exec_lo
	v_cmpx_gt_u32_e32 8, v16
; %bb.657:                              ;   in Loop: Header=BB273_543 Depth=1
	s_delay_alu instid0(VALU_DEP_3) | instskip(NEXT) | instid1(VALU_DEP_1)
	v_clz_i32_u32_e32 v14, v6
	v_min_u32_e32 v14, 32, v14
	s_delay_alu instid0(VALU_DEP_1) | instskip(SKIP_1) | instid1(VALU_DEP_2)
	v_subrev_nc_u32_e32 v15, 28, v14
	v_sub_nc_u32_e32 v14, 29, v14
	v_lshlrev_b64 v[15:16], v15, v[6:7]
	s_delay_alu instid0(VALU_DEP_1)
	v_and_b32_e32 v6, 7, v15
; %bb.658:                              ;   in Loop: Header=BB273_543 Depth=1
	s_or_b32 exec_lo, exec_lo, s15
	v_lshlrev_b32_e32 v15, 16, v86
	s_delay_alu instid0(VALU_DEP_2) | instskip(SKIP_1) | instid1(VALU_DEP_3)
	v_lshlrev_b32_e32 v6, 20, v6
	v_lshl_add_u32 v14, v14, 23, 0x3c000000
	v_and_b32_e32 v15, 0x80000000, v15
	s_delay_alu instid0(VALU_DEP_1)
	v_or3_b32 v15, v6, v15, v14
	v_mov_b32_e32 v14, v7
.LBB273_659:                            ;   in Loop: Header=BB273_543 Depth=1
	s_or_b32 exec_lo, exec_lo, s10
.LBB273_660:                            ;   in Loop: Header=BB273_543 Depth=1
	s_delay_alu instid0(SALU_CYCLE_1)
	s_or_b32 exec_lo, exec_lo, s13
.LBB273_661:                            ;   in Loop: Header=BB273_543 Depth=1
	s_delay_alu instid0(SALU_CYCLE_1) | instskip(SKIP_4) | instid1(VALU_DEP_2)
	s_or_b32 exec_lo, exec_lo, s12
	v_mov_b32_e32 v18, 0
	v_lshrrev_b32_e32 v87, 16, v86
	v_mov_b32_e32 v19, 0
	s_mov_b32 s10, exec_lo
	v_and_b32_e32 v6, 0xff, v87
	s_delay_alu instid0(VALU_DEP_2) | instskip(NEXT) | instid1(VALU_DEP_2)
	v_dual_mov_b32 v16, v18 :: v_dual_mov_b32 v17, v19
	v_cmpx_ne_u16_e32 0, v6
	s_cbranch_execz .LBB273_669
; %bb.662:                              ;   in Loop: Header=BB273_543 Depth=1
	v_bfrev_b32_e32 v16, 1
	v_mov_b32_e32 v17, 0
	s_mov_b32 s12, exec_lo
	v_cmpx_ne_u16_e32 0x80, v6
	s_cbranch_execz .LBB273_668
; %bb.663:                              ;   in Loop: Header=BB273_543 Depth=1
	v_mov_b32_e32 v16, 0x7f800001
	v_bfe_u32 v96, v86, 16, 7
	v_mov_b32_e32 v17, 0
	s_mov_b32 s13, exec_lo
	s_delay_alu instid0(VALU_DEP_2)
	v_cmpx_ne_u32_e32 0x7f, v96
	s_cbranch_execz .LBB273_667
; %bb.664:                              ;   in Loop: Header=BB273_543 Depth=1
	v_and_b32_e32 v6, 7, v87
	v_lshrrev_b32_e32 v16, 3, v96
	s_mov_b32 s15, exec_lo
	v_cmpx_gt_u32_e32 8, v96
; %bb.665:                              ;   in Loop: Header=BB273_543 Depth=1
	s_delay_alu instid0(VALU_DEP_3) | instskip(NEXT) | instid1(VALU_DEP_1)
	v_clz_i32_u32_e32 v16, v6
	v_min_u32_e32 v16, 32, v16
	s_delay_alu instid0(VALU_DEP_1) | instskip(SKIP_1) | instid1(VALU_DEP_2)
	v_subrev_nc_u32_e32 v17, 28, v16
	v_sub_nc_u32_e32 v16, 29, v16
	v_lshlrev_b64 v[96:97], v17, v[6:7]
	s_delay_alu instid0(VALU_DEP_1)
	v_and_b32_e32 v6, 7, v96
; %bb.666:                              ;   in Loop: Header=BB273_543 Depth=1
	s_or_b32 exec_lo, exec_lo, s15
	v_lshlrev_b32_e32 v17, 24, v87
	s_delay_alu instid0(VALU_DEP_2) | instskip(SKIP_1) | instid1(VALU_DEP_3)
	v_lshlrev_b32_e32 v6, 20, v6
	v_lshl_add_u32 v16, v16, 23, 0x3c000000
	v_and_b32_e32 v17, 0x80000000, v17
	s_delay_alu instid0(VALU_DEP_1) | instskip(NEXT) | instid1(VALU_DEP_1)
	v_or3_b32 v6, v6, v17, v16
	v_dual_mov_b32 v17, v7 :: v_dual_mov_b32 v16, v6
.LBB273_667:                            ;   in Loop: Header=BB273_543 Depth=1
	s_or_b32 exec_lo, exec_lo, s13
.LBB273_668:                            ;   in Loop: Header=BB273_543 Depth=1
	s_delay_alu instid0(SALU_CYCLE_1)
	s_or_b32 exec_lo, exec_lo, s12
.LBB273_669:                            ;   in Loop: Header=BB273_543 Depth=1
	s_delay_alu instid0(SALU_CYCLE_1) | instskip(NEXT) | instid1(SALU_CYCLE_1)
	s_or_b32 exec_lo, exec_lo, s10
	s_mov_b32 s12, exec_lo
	v_cmpx_lt_u32_e32 0xffffff, v86
	s_cbranch_execz .LBB273_677
; %bb.670:                              ;   in Loop: Header=BB273_543 Depth=1
	v_lshrrev_b32_e32 v87, 24, v86
	v_dual_mov_b32 v19, s9 :: v_dual_mov_b32 v18, s8
	s_mov_b32 s13, exec_lo
	s_delay_alu instid0(VALU_DEP_2)
	v_cmpx_ne_u32_e32 0x80, v87
	s_cbranch_execz .LBB273_676
; %bb.671:                              ;   in Loop: Header=BB273_543 Depth=1
	s_mov_b32 s10, s8
	v_bfe_u32 v86, v86, 24, 7
	v_dual_mov_b32 v19, s11 :: v_dual_mov_b32 v18, s10
	s_mov_b32 s10, exec_lo
	s_delay_alu instid0(VALU_DEP_2)
	v_cmpx_ne_u32_e32 0x7f, v86
	s_cbranch_execz .LBB273_675
; %bb.672:                              ;   in Loop: Header=BB273_543 Depth=1
	v_and_b32_e32 v6, 7, v87
	v_lshrrev_b32_e32 v18, 3, v86
	s_mov_b32 s15, exec_lo
	v_cmpx_gt_u32_e32 8, v86
; %bb.673:                              ;   in Loop: Header=BB273_543 Depth=1
	s_delay_alu instid0(VALU_DEP_3) | instskip(NEXT) | instid1(VALU_DEP_1)
	v_clz_i32_u32_e32 v18, v6
	v_min_u32_e32 v18, 32, v18
	s_delay_alu instid0(VALU_DEP_1) | instskip(SKIP_1) | instid1(VALU_DEP_2)
	v_subrev_nc_u32_e32 v19, 28, v18
	v_sub_nc_u32_e32 v18, 29, v18
	v_lshlrev_b64 v[96:97], v19, v[6:7]
	s_delay_alu instid0(VALU_DEP_1)
	v_and_b32_e32 v6, 7, v96
; %bb.674:                              ;   in Loop: Header=BB273_543 Depth=1
	s_or_b32 exec_lo, exec_lo, s15
	v_lshlrev_b32_e32 v19, 24, v87
	s_delay_alu instid0(VALU_DEP_2) | instskip(SKIP_1) | instid1(VALU_DEP_3)
	v_lshlrev_b32_e32 v6, 20, v6
	v_lshl_add_u32 v18, v18, 23, 0x3c000000
	v_and_b32_e32 v19, 0x80000000, v19
	s_delay_alu instid0(VALU_DEP_1)
	v_or3_b32 v19, v6, v19, v18
	v_mov_b32_e32 v18, v7
.LBB273_675:                            ;   in Loop: Header=BB273_543 Depth=1
	s_or_b32 exec_lo, exec_lo, s10
.LBB273_676:                            ;   in Loop: Header=BB273_543 Depth=1
	s_delay_alu instid0(SALU_CYCLE_1)
	s_or_b32 exec_lo, exec_lo, s13
.LBB273_677:                            ;   in Loop: Header=BB273_543 Depth=1
	s_delay_alu instid0(SALU_CYCLE_1) | instskip(SKIP_4) | instid1(VALU_DEP_3)
	s_or_b32 exec_lo, exec_lo, s12
	v_or_b32_e32 v5, v15, v5
	v_or_b32_e32 v4, v14, v4
	v_or_b32_e32 v6, v19, v17
	v_or_b32_e32 v14, v18, v16
	v_dual_mul_f32 v97, v54, v5 :: v_dual_mul_f32 v96, v52, v4
	s_delay_alu instid0(VALU_DEP_3) | instskip(NEXT) | instid1(VALU_DEP_3)
	v_mul_f32_e32 v86, v54, v6
	v_mul_f32_e32 v87, v52, v14
	s_and_saveexec_b32 s10, vcc_lo
; %bb.678:                              ;   in Loop: Header=BB273_543 Depth=1
	v_cmp_lt_i32_e64 s0, v67, v30
	s_delay_alu instid0(VALU_DEP_1) | instskip(SKIP_1) | instid1(VALU_DEP_1)
	v_cndmask_b32_e64 v96, 0, v96, s0
	v_cmp_lt_i32_e64 s0, v69, v30
	v_cndmask_b32_e64 v97, 0, v97, s0
	v_cmp_lt_i32_e64 s0, v68, v30
	s_delay_alu instid0(VALU_DEP_1) | instskip(SKIP_1) | instid1(VALU_DEP_1)
	v_cndmask_b32_e64 v87, 0, v87, s0
	v_cmp_lt_i32_e64 s0, v21, v30
	v_cndmask_b32_e64 v86, 0, v86, s0
; %bb.679:                              ;   in Loop: Header=BB273_543 Depth=1
	s_or_b32 exec_lo, exec_lo, s10
	flat_load_b32 v98, v[12:13] offset:512
	v_mov_b32_e32 v14, 0
	v_mov_b32_e32 v15, 0
	s_mov_b32 s10, exec_lo
	s_waitcnt vmcnt(0) lgkmcnt(0)
	v_and_b32_e32 v6, 0xff, v98
	s_delay_alu instid0(VALU_DEP_2) | instskip(NEXT) | instid1(VALU_DEP_2)
	v_dual_mov_b32 v4, v14 :: v_dual_mov_b32 v5, v15
	v_cmpx_ne_u16_e32 0, v6
	s_cbranch_execz .LBB273_687
; %bb.680:                              ;   in Loop: Header=BB273_543 Depth=1
	v_bfrev_b32_e32 v4, 1
	v_mov_b32_e32 v5, 0
	s_mov_b32 s12, exec_lo
	v_cmpx_ne_u16_e32 0x80, v6
	s_cbranch_execz .LBB273_686
; %bb.681:                              ;   in Loop: Header=BB273_543 Depth=1
	v_mov_b32_e32 v4, 0x7f800001
	v_dual_mov_b32 v5, 0 :: v_dual_and_b32 v16, 0x7f, v98
	s_mov_b32 s13, exec_lo
	s_delay_alu instid0(VALU_DEP_1)
	v_cmpx_ne_u32_e32 0x7f, v16
	s_cbranch_execz .LBB273_685
; %bb.682:                              ;   in Loop: Header=BB273_543 Depth=1
	v_and_b32_e32 v6, 7, v98
	v_lshrrev_b32_e32 v4, 3, v16
	s_mov_b32 s15, exec_lo
	v_cmpx_gt_u32_e32 8, v16
; %bb.683:                              ;   in Loop: Header=BB273_543 Depth=1
	s_delay_alu instid0(VALU_DEP_3) | instskip(NEXT) | instid1(VALU_DEP_1)
	v_clz_i32_u32_e32 v4, v6
	v_min_u32_e32 v4, 32, v4
	s_delay_alu instid0(VALU_DEP_1) | instskip(SKIP_1) | instid1(VALU_DEP_2)
	v_subrev_nc_u32_e32 v5, 28, v4
	v_sub_nc_u32_e32 v4, 29, v4
	v_lshlrev_b64 v[5:6], v5, v[6:7]
	s_delay_alu instid0(VALU_DEP_1)
	v_and_b32_e32 v6, 7, v5
; %bb.684:                              ;   in Loop: Header=BB273_543 Depth=1
	s_or_b32 exec_lo, exec_lo, s15
	v_lshlrev_b32_e32 v5, 24, v98
	s_delay_alu instid0(VALU_DEP_2) | instskip(SKIP_1) | instid1(VALU_DEP_3)
	v_lshlrev_b32_e32 v6, 20, v6
	v_lshl_add_u32 v4, v4, 23, 0x3c000000
	v_and_b32_e32 v5, 0x80000000, v5
	s_delay_alu instid0(VALU_DEP_1) | instskip(NEXT) | instid1(VALU_DEP_1)
	v_or3_b32 v6, v6, v5, v4
	v_dual_mov_b32 v4, v6 :: v_dual_mov_b32 v5, v7
.LBB273_685:                            ;   in Loop: Header=BB273_543 Depth=1
	s_or_b32 exec_lo, exec_lo, s13
.LBB273_686:                            ;   in Loop: Header=BB273_543 Depth=1
	s_delay_alu instid0(SALU_CYCLE_1)
	s_or_b32 exec_lo, exec_lo, s12
.LBB273_687:                            ;   in Loop: Header=BB273_543 Depth=1
	s_delay_alu instid0(SALU_CYCLE_1) | instskip(SKIP_2) | instid1(VALU_DEP_1)
	s_or_b32 exec_lo, exec_lo, s10
	v_lshrrev_b16 v6, 8, v98
	s_mov_b32 s12, exec_lo
	v_cmpx_ne_u16_e32 0, v6
	s_cbranch_execz .LBB273_695
; %bb.688:                              ;   in Loop: Header=BB273_543 Depth=1
	v_dual_mov_b32 v15, s9 :: v_dual_mov_b32 v14, s8
	s_mov_b32 s13, exec_lo
	v_cmpx_ne_u16_e32 0x80, v6
	s_cbranch_execz .LBB273_694
; %bb.689:                              ;   in Loop: Header=BB273_543 Depth=1
	s_mov_b32 s10, s8
	v_dual_mov_b32 v15, s11 :: v_dual_and_b32 v6, 0xffff, v6
	v_mov_b32_e32 v14, s10
	s_mov_b32 s10, exec_lo
	s_delay_alu instid0(VALU_DEP_2) | instskip(NEXT) | instid1(VALU_DEP_1)
	v_and_b32_e32 v16, 0x7f, v6
	v_cmpx_ne_u32_e32 0x7f, v16
	s_cbranch_execz .LBB273_693
; %bb.690:                              ;   in Loop: Header=BB273_543 Depth=1
	v_and_b32_e32 v6, 7, v6
	v_lshrrev_b32_e32 v14, 3, v16
	s_mov_b32 s15, exec_lo
	v_cmpx_gt_u32_e32 8, v16
; %bb.691:                              ;   in Loop: Header=BB273_543 Depth=1
	s_delay_alu instid0(VALU_DEP_3) | instskip(NEXT) | instid1(VALU_DEP_1)
	v_clz_i32_u32_e32 v14, v6
	v_min_u32_e32 v14, 32, v14
	s_delay_alu instid0(VALU_DEP_1) | instskip(SKIP_1) | instid1(VALU_DEP_2)
	v_subrev_nc_u32_e32 v15, 28, v14
	v_sub_nc_u32_e32 v14, 29, v14
	v_lshlrev_b64 v[15:16], v15, v[6:7]
	s_delay_alu instid0(VALU_DEP_1)
	v_and_b32_e32 v6, 7, v15
; %bb.692:                              ;   in Loop: Header=BB273_543 Depth=1
	s_or_b32 exec_lo, exec_lo, s15
	v_lshlrev_b32_e32 v15, 16, v98
	s_delay_alu instid0(VALU_DEP_2) | instskip(SKIP_1) | instid1(VALU_DEP_3)
	v_lshlrev_b32_e32 v6, 20, v6
	v_lshl_add_u32 v14, v14, 23, 0x3c000000
	v_and_b32_e32 v15, 0x80000000, v15
	s_delay_alu instid0(VALU_DEP_1)
	v_or3_b32 v15, v6, v15, v14
	v_mov_b32_e32 v14, v7
.LBB273_693:                            ;   in Loop: Header=BB273_543 Depth=1
	s_or_b32 exec_lo, exec_lo, s10
.LBB273_694:                            ;   in Loop: Header=BB273_543 Depth=1
	s_delay_alu instid0(SALU_CYCLE_1)
	s_or_b32 exec_lo, exec_lo, s13
.LBB273_695:                            ;   in Loop: Header=BB273_543 Depth=1
	s_delay_alu instid0(SALU_CYCLE_1) | instskip(SKIP_4) | instid1(VALU_DEP_2)
	s_or_b32 exec_lo, exec_lo, s12
	v_mov_b32_e32 v18, 0
	v_lshrrev_b32_e32 v99, 16, v98
	v_mov_b32_e32 v19, 0
	s_mov_b32 s10, exec_lo
	v_and_b32_e32 v6, 0xff, v99
	s_delay_alu instid0(VALU_DEP_2) | instskip(NEXT) | instid1(VALU_DEP_2)
	v_dual_mov_b32 v16, v18 :: v_dual_mov_b32 v17, v19
	v_cmpx_ne_u16_e32 0, v6
	s_cbranch_execz .LBB273_703
; %bb.696:                              ;   in Loop: Header=BB273_543 Depth=1
	v_bfrev_b32_e32 v16, 1
	v_mov_b32_e32 v17, 0
	s_mov_b32 s12, exec_lo
	v_cmpx_ne_u16_e32 0x80, v6
	s_cbranch_execz .LBB273_702
; %bb.697:                              ;   in Loop: Header=BB273_543 Depth=1
	v_mov_b32_e32 v16, 0x7f800001
	v_bfe_u32 v100, v98, 16, 7
	v_mov_b32_e32 v17, 0
	s_mov_b32 s13, exec_lo
	s_delay_alu instid0(VALU_DEP_2)
	v_cmpx_ne_u32_e32 0x7f, v100
	s_cbranch_execz .LBB273_701
; %bb.698:                              ;   in Loop: Header=BB273_543 Depth=1
	v_and_b32_e32 v6, 7, v99
	v_lshrrev_b32_e32 v16, 3, v100
	s_mov_b32 s15, exec_lo
	v_cmpx_gt_u32_e32 8, v100
; %bb.699:                              ;   in Loop: Header=BB273_543 Depth=1
	s_delay_alu instid0(VALU_DEP_3) | instskip(NEXT) | instid1(VALU_DEP_1)
	v_clz_i32_u32_e32 v16, v6
	v_min_u32_e32 v16, 32, v16
	s_delay_alu instid0(VALU_DEP_1) | instskip(SKIP_1) | instid1(VALU_DEP_2)
	v_subrev_nc_u32_e32 v17, 28, v16
	v_sub_nc_u32_e32 v16, 29, v16
	v_lshlrev_b64 v[100:101], v17, v[6:7]
	s_delay_alu instid0(VALU_DEP_1)
	v_and_b32_e32 v6, 7, v100
; %bb.700:                              ;   in Loop: Header=BB273_543 Depth=1
	s_or_b32 exec_lo, exec_lo, s15
	v_lshlrev_b32_e32 v17, 24, v99
	s_delay_alu instid0(VALU_DEP_2) | instskip(SKIP_1) | instid1(VALU_DEP_3)
	v_lshlrev_b32_e32 v6, 20, v6
	v_lshl_add_u32 v16, v16, 23, 0x3c000000
	v_and_b32_e32 v17, 0x80000000, v17
	s_delay_alu instid0(VALU_DEP_1) | instskip(NEXT) | instid1(VALU_DEP_1)
	v_or3_b32 v6, v6, v17, v16
	v_dual_mov_b32 v17, v7 :: v_dual_mov_b32 v16, v6
.LBB273_701:                            ;   in Loop: Header=BB273_543 Depth=1
	s_or_b32 exec_lo, exec_lo, s13
.LBB273_702:                            ;   in Loop: Header=BB273_543 Depth=1
	s_delay_alu instid0(SALU_CYCLE_1)
	s_or_b32 exec_lo, exec_lo, s12
.LBB273_703:                            ;   in Loop: Header=BB273_543 Depth=1
	s_delay_alu instid0(SALU_CYCLE_1) | instskip(NEXT) | instid1(SALU_CYCLE_1)
	s_or_b32 exec_lo, exec_lo, s10
	s_mov_b32 s12, exec_lo
	v_cmpx_lt_u32_e32 0xffffff, v98
	s_cbranch_execz .LBB273_711
; %bb.704:                              ;   in Loop: Header=BB273_543 Depth=1
	v_lshrrev_b32_e32 v99, 24, v98
	v_dual_mov_b32 v19, s9 :: v_dual_mov_b32 v18, s8
	s_mov_b32 s13, exec_lo
	s_delay_alu instid0(VALU_DEP_2)
	v_cmpx_ne_u32_e32 0x80, v99
	s_cbranch_execz .LBB273_710
; %bb.705:                              ;   in Loop: Header=BB273_543 Depth=1
	s_mov_b32 s10, s8
	v_bfe_u32 v98, v98, 24, 7
	v_dual_mov_b32 v19, s11 :: v_dual_mov_b32 v18, s10
	s_mov_b32 s10, exec_lo
	s_delay_alu instid0(VALU_DEP_2)
	v_cmpx_ne_u32_e32 0x7f, v98
	s_cbranch_execz .LBB273_709
; %bb.706:                              ;   in Loop: Header=BB273_543 Depth=1
	v_and_b32_e32 v6, 7, v99
	v_lshrrev_b32_e32 v18, 3, v98
	s_mov_b32 s15, exec_lo
	v_cmpx_gt_u32_e32 8, v98
; %bb.707:                              ;   in Loop: Header=BB273_543 Depth=1
	s_delay_alu instid0(VALU_DEP_3) | instskip(NEXT) | instid1(VALU_DEP_1)
	v_clz_i32_u32_e32 v18, v6
	v_min_u32_e32 v18, 32, v18
	s_delay_alu instid0(VALU_DEP_1) | instskip(SKIP_1) | instid1(VALU_DEP_2)
	v_subrev_nc_u32_e32 v19, 28, v18
	v_sub_nc_u32_e32 v18, 29, v18
	v_lshlrev_b64 v[100:101], v19, v[6:7]
	s_delay_alu instid0(VALU_DEP_1)
	v_and_b32_e32 v6, 7, v100
; %bb.708:                              ;   in Loop: Header=BB273_543 Depth=1
	s_or_b32 exec_lo, exec_lo, s15
	v_lshlrev_b32_e32 v19, 24, v99
	s_delay_alu instid0(VALU_DEP_2) | instskip(SKIP_1) | instid1(VALU_DEP_3)
	v_lshlrev_b32_e32 v6, 20, v6
	v_lshl_add_u32 v18, v18, 23, 0x3c000000
	v_and_b32_e32 v19, 0x80000000, v19
	s_delay_alu instid0(VALU_DEP_1)
	v_or3_b32 v19, v6, v19, v18
	v_mov_b32_e32 v18, v7
.LBB273_709:                            ;   in Loop: Header=BB273_543 Depth=1
	s_or_b32 exec_lo, exec_lo, s10
.LBB273_710:                            ;   in Loop: Header=BB273_543 Depth=1
	s_delay_alu instid0(SALU_CYCLE_1)
	s_or_b32 exec_lo, exec_lo, s13
.LBB273_711:                            ;   in Loop: Header=BB273_543 Depth=1
	s_delay_alu instid0(SALU_CYCLE_1) | instskip(SKIP_4) | instid1(VALU_DEP_3)
	s_or_b32 exec_lo, exec_lo, s12
	v_or_b32_e32 v5, v15, v5
	v_or_b32_e32 v4, v14, v4
	;; [unrolled: 1-line block ×4, first 2 shown]
	v_dual_mul_f32 v101, v54, v5 :: v_dual_mul_f32 v100, v52, v4
	s_delay_alu instid0(VALU_DEP_3) | instskip(NEXT) | instid1(VALU_DEP_3)
	v_mul_f32_e32 v98, v54, v6
	v_mul_f32_e32 v99, v52, v14
	s_and_saveexec_b32 s10, vcc_lo
; %bb.712:                              ;   in Loop: Header=BB273_543 Depth=1
	v_cmp_lt_i32_e64 s0, v67, v30
	s_delay_alu instid0(VALU_DEP_1) | instskip(SKIP_1) | instid1(VALU_DEP_1)
	v_cndmask_b32_e64 v100, 0, v100, s0
	v_cmp_lt_i32_e64 s0, v69, v30
	v_cndmask_b32_e64 v101, 0, v101, s0
	v_cmp_lt_i32_e64 s0, v68, v30
	s_delay_alu instid0(VALU_DEP_1) | instskip(SKIP_1) | instid1(VALU_DEP_1)
	v_cndmask_b32_e64 v99, 0, v99, s0
	v_cmp_lt_i32_e64 s0, v21, v30
	v_cndmask_b32_e64 v98, 0, v98, s0
; %bb.713:                              ;   in Loop: Header=BB273_543 Depth=1
	s_or_b32 exec_lo, exec_lo, s10
	flat_load_b32 v102, v[12:13] offset:640
	v_mov_b32_e32 v14, 0
	v_mov_b32_e32 v15, 0
	s_mov_b32 s10, exec_lo
	s_waitcnt vmcnt(0) lgkmcnt(0)
	v_and_b32_e32 v6, 0xff, v102
	s_delay_alu instid0(VALU_DEP_2) | instskip(NEXT) | instid1(VALU_DEP_2)
	v_dual_mov_b32 v4, v14 :: v_dual_mov_b32 v5, v15
	v_cmpx_ne_u16_e32 0, v6
	s_cbranch_execz .LBB273_721
; %bb.714:                              ;   in Loop: Header=BB273_543 Depth=1
	v_bfrev_b32_e32 v4, 1
	v_mov_b32_e32 v5, 0
	s_mov_b32 s12, exec_lo
	v_cmpx_ne_u16_e32 0x80, v6
	s_cbranch_execz .LBB273_720
; %bb.715:                              ;   in Loop: Header=BB273_543 Depth=1
	v_mov_b32_e32 v4, 0x7f800001
	v_dual_mov_b32 v5, 0 :: v_dual_and_b32 v16, 0x7f, v102
	s_mov_b32 s13, exec_lo
	s_delay_alu instid0(VALU_DEP_1)
	v_cmpx_ne_u32_e32 0x7f, v16
	s_cbranch_execz .LBB273_719
; %bb.716:                              ;   in Loop: Header=BB273_543 Depth=1
	v_and_b32_e32 v6, 7, v102
	v_lshrrev_b32_e32 v4, 3, v16
	s_mov_b32 s15, exec_lo
	v_cmpx_gt_u32_e32 8, v16
; %bb.717:                              ;   in Loop: Header=BB273_543 Depth=1
	s_delay_alu instid0(VALU_DEP_3) | instskip(NEXT) | instid1(VALU_DEP_1)
	v_clz_i32_u32_e32 v4, v6
	v_min_u32_e32 v4, 32, v4
	s_delay_alu instid0(VALU_DEP_1) | instskip(SKIP_1) | instid1(VALU_DEP_2)
	v_subrev_nc_u32_e32 v5, 28, v4
	v_sub_nc_u32_e32 v4, 29, v4
	v_lshlrev_b64 v[5:6], v5, v[6:7]
	s_delay_alu instid0(VALU_DEP_1)
	v_and_b32_e32 v6, 7, v5
; %bb.718:                              ;   in Loop: Header=BB273_543 Depth=1
	s_or_b32 exec_lo, exec_lo, s15
	v_lshlrev_b32_e32 v5, 24, v102
	s_delay_alu instid0(VALU_DEP_2) | instskip(SKIP_1) | instid1(VALU_DEP_3)
	v_lshlrev_b32_e32 v6, 20, v6
	v_lshl_add_u32 v4, v4, 23, 0x3c000000
	v_and_b32_e32 v5, 0x80000000, v5
	s_delay_alu instid0(VALU_DEP_1) | instskip(NEXT) | instid1(VALU_DEP_1)
	v_or3_b32 v6, v6, v5, v4
	v_dual_mov_b32 v4, v6 :: v_dual_mov_b32 v5, v7
.LBB273_719:                            ;   in Loop: Header=BB273_543 Depth=1
	s_or_b32 exec_lo, exec_lo, s13
.LBB273_720:                            ;   in Loop: Header=BB273_543 Depth=1
	s_delay_alu instid0(SALU_CYCLE_1)
	s_or_b32 exec_lo, exec_lo, s12
.LBB273_721:                            ;   in Loop: Header=BB273_543 Depth=1
	s_delay_alu instid0(SALU_CYCLE_1) | instskip(SKIP_2) | instid1(VALU_DEP_1)
	s_or_b32 exec_lo, exec_lo, s10
	v_lshrrev_b16 v6, 8, v102
	s_mov_b32 s12, exec_lo
	v_cmpx_ne_u16_e32 0, v6
	s_cbranch_execz .LBB273_729
; %bb.722:                              ;   in Loop: Header=BB273_543 Depth=1
	v_dual_mov_b32 v15, s9 :: v_dual_mov_b32 v14, s8
	s_mov_b32 s13, exec_lo
	v_cmpx_ne_u16_e32 0x80, v6
	s_cbranch_execz .LBB273_728
; %bb.723:                              ;   in Loop: Header=BB273_543 Depth=1
	s_mov_b32 s10, s8
	v_dual_mov_b32 v15, s11 :: v_dual_and_b32 v6, 0xffff, v6
	v_mov_b32_e32 v14, s10
	s_mov_b32 s10, exec_lo
	s_delay_alu instid0(VALU_DEP_2) | instskip(NEXT) | instid1(VALU_DEP_1)
	v_and_b32_e32 v16, 0x7f, v6
	v_cmpx_ne_u32_e32 0x7f, v16
	s_cbranch_execz .LBB273_727
; %bb.724:                              ;   in Loop: Header=BB273_543 Depth=1
	v_and_b32_e32 v6, 7, v6
	v_lshrrev_b32_e32 v14, 3, v16
	s_mov_b32 s15, exec_lo
	v_cmpx_gt_u32_e32 8, v16
; %bb.725:                              ;   in Loop: Header=BB273_543 Depth=1
	s_delay_alu instid0(VALU_DEP_3) | instskip(NEXT) | instid1(VALU_DEP_1)
	v_clz_i32_u32_e32 v14, v6
	v_min_u32_e32 v14, 32, v14
	s_delay_alu instid0(VALU_DEP_1) | instskip(SKIP_1) | instid1(VALU_DEP_2)
	v_subrev_nc_u32_e32 v15, 28, v14
	v_sub_nc_u32_e32 v14, 29, v14
	v_lshlrev_b64 v[15:16], v15, v[6:7]
	s_delay_alu instid0(VALU_DEP_1)
	v_and_b32_e32 v6, 7, v15
; %bb.726:                              ;   in Loop: Header=BB273_543 Depth=1
	s_or_b32 exec_lo, exec_lo, s15
	v_lshlrev_b32_e32 v15, 16, v102
	s_delay_alu instid0(VALU_DEP_2) | instskip(SKIP_1) | instid1(VALU_DEP_3)
	v_lshlrev_b32_e32 v6, 20, v6
	v_lshl_add_u32 v14, v14, 23, 0x3c000000
	v_and_b32_e32 v15, 0x80000000, v15
	s_delay_alu instid0(VALU_DEP_1)
	v_or3_b32 v15, v6, v15, v14
	v_mov_b32_e32 v14, v7
.LBB273_727:                            ;   in Loop: Header=BB273_543 Depth=1
	s_or_b32 exec_lo, exec_lo, s10
.LBB273_728:                            ;   in Loop: Header=BB273_543 Depth=1
	s_delay_alu instid0(SALU_CYCLE_1)
	s_or_b32 exec_lo, exec_lo, s13
.LBB273_729:                            ;   in Loop: Header=BB273_543 Depth=1
	s_delay_alu instid0(SALU_CYCLE_1) | instskip(SKIP_4) | instid1(VALU_DEP_2)
	s_or_b32 exec_lo, exec_lo, s12
	v_mov_b32_e32 v18, 0
	v_lshrrev_b32_e32 v103, 16, v102
	v_mov_b32_e32 v19, 0
	s_mov_b32 s10, exec_lo
	v_and_b32_e32 v6, 0xff, v103
	s_delay_alu instid0(VALU_DEP_2) | instskip(NEXT) | instid1(VALU_DEP_2)
	v_dual_mov_b32 v16, v18 :: v_dual_mov_b32 v17, v19
	v_cmpx_ne_u16_e32 0, v6
	s_cbranch_execz .LBB273_737
; %bb.730:                              ;   in Loop: Header=BB273_543 Depth=1
	v_bfrev_b32_e32 v16, 1
	v_mov_b32_e32 v17, 0
	s_mov_b32 s12, exec_lo
	v_cmpx_ne_u16_e32 0x80, v6
	s_cbranch_execz .LBB273_736
; %bb.731:                              ;   in Loop: Header=BB273_543 Depth=1
	v_mov_b32_e32 v16, 0x7f800001
	v_bfe_u32 v112, v102, 16, 7
	v_mov_b32_e32 v17, 0
	s_mov_b32 s13, exec_lo
	s_delay_alu instid0(VALU_DEP_2)
	v_cmpx_ne_u32_e32 0x7f, v112
	s_cbranch_execz .LBB273_735
; %bb.732:                              ;   in Loop: Header=BB273_543 Depth=1
	v_and_b32_e32 v6, 7, v103
	v_lshrrev_b32_e32 v16, 3, v112
	s_mov_b32 s15, exec_lo
	v_cmpx_gt_u32_e32 8, v112
; %bb.733:                              ;   in Loop: Header=BB273_543 Depth=1
	s_delay_alu instid0(VALU_DEP_3) | instskip(NEXT) | instid1(VALU_DEP_1)
	v_clz_i32_u32_e32 v16, v6
	v_min_u32_e32 v16, 32, v16
	s_delay_alu instid0(VALU_DEP_1) | instskip(SKIP_1) | instid1(VALU_DEP_2)
	v_subrev_nc_u32_e32 v17, 28, v16
	v_sub_nc_u32_e32 v16, 29, v16
	v_lshlrev_b64 v[112:113], v17, v[6:7]
	s_delay_alu instid0(VALU_DEP_1)
	v_and_b32_e32 v6, 7, v112
; %bb.734:                              ;   in Loop: Header=BB273_543 Depth=1
	s_or_b32 exec_lo, exec_lo, s15
	v_lshlrev_b32_e32 v17, 24, v103
	s_delay_alu instid0(VALU_DEP_2) | instskip(SKIP_1) | instid1(VALU_DEP_3)
	v_lshlrev_b32_e32 v6, 20, v6
	v_lshl_add_u32 v16, v16, 23, 0x3c000000
	v_and_b32_e32 v17, 0x80000000, v17
	s_delay_alu instid0(VALU_DEP_1) | instskip(NEXT) | instid1(VALU_DEP_1)
	v_or3_b32 v6, v6, v17, v16
	v_dual_mov_b32 v17, v7 :: v_dual_mov_b32 v16, v6
.LBB273_735:                            ;   in Loop: Header=BB273_543 Depth=1
	s_or_b32 exec_lo, exec_lo, s13
.LBB273_736:                            ;   in Loop: Header=BB273_543 Depth=1
	s_delay_alu instid0(SALU_CYCLE_1)
	s_or_b32 exec_lo, exec_lo, s12
.LBB273_737:                            ;   in Loop: Header=BB273_543 Depth=1
	s_delay_alu instid0(SALU_CYCLE_1) | instskip(NEXT) | instid1(SALU_CYCLE_1)
	s_or_b32 exec_lo, exec_lo, s10
	s_mov_b32 s12, exec_lo
	v_cmpx_lt_u32_e32 0xffffff, v102
	s_cbranch_execz .LBB273_745
; %bb.738:                              ;   in Loop: Header=BB273_543 Depth=1
	v_lshrrev_b32_e32 v103, 24, v102
	v_dual_mov_b32 v19, s9 :: v_dual_mov_b32 v18, s8
	s_mov_b32 s13, exec_lo
	s_delay_alu instid0(VALU_DEP_2)
	v_cmpx_ne_u32_e32 0x80, v103
	s_cbranch_execz .LBB273_744
; %bb.739:                              ;   in Loop: Header=BB273_543 Depth=1
	s_mov_b32 s10, s8
	v_bfe_u32 v102, v102, 24, 7
	v_dual_mov_b32 v19, s11 :: v_dual_mov_b32 v18, s10
	s_mov_b32 s10, exec_lo
	s_delay_alu instid0(VALU_DEP_2)
	v_cmpx_ne_u32_e32 0x7f, v102
	s_cbranch_execz .LBB273_743
; %bb.740:                              ;   in Loop: Header=BB273_543 Depth=1
	v_and_b32_e32 v6, 7, v103
	v_lshrrev_b32_e32 v18, 3, v102
	s_mov_b32 s15, exec_lo
	v_cmpx_gt_u32_e32 8, v102
; %bb.741:                              ;   in Loop: Header=BB273_543 Depth=1
	s_delay_alu instid0(VALU_DEP_3) | instskip(NEXT) | instid1(VALU_DEP_1)
	v_clz_i32_u32_e32 v18, v6
	v_min_u32_e32 v18, 32, v18
	s_delay_alu instid0(VALU_DEP_1) | instskip(SKIP_1) | instid1(VALU_DEP_2)
	v_subrev_nc_u32_e32 v19, 28, v18
	v_sub_nc_u32_e32 v18, 29, v18
	v_lshlrev_b64 v[112:113], v19, v[6:7]
	s_delay_alu instid0(VALU_DEP_1)
	v_and_b32_e32 v6, 7, v112
; %bb.742:                              ;   in Loop: Header=BB273_543 Depth=1
	s_or_b32 exec_lo, exec_lo, s15
	v_lshlrev_b32_e32 v19, 24, v103
	s_delay_alu instid0(VALU_DEP_2) | instskip(SKIP_1) | instid1(VALU_DEP_3)
	v_lshlrev_b32_e32 v6, 20, v6
	v_lshl_add_u32 v18, v18, 23, 0x3c000000
	v_and_b32_e32 v19, 0x80000000, v19
	s_delay_alu instid0(VALU_DEP_1)
	v_or3_b32 v19, v6, v19, v18
	v_mov_b32_e32 v18, v7
.LBB273_743:                            ;   in Loop: Header=BB273_543 Depth=1
	s_or_b32 exec_lo, exec_lo, s10
.LBB273_744:                            ;   in Loop: Header=BB273_543 Depth=1
	s_delay_alu instid0(SALU_CYCLE_1)
	s_or_b32 exec_lo, exec_lo, s13
.LBB273_745:                            ;   in Loop: Header=BB273_543 Depth=1
	s_delay_alu instid0(SALU_CYCLE_1) | instskip(SKIP_4) | instid1(VALU_DEP_3)
	s_or_b32 exec_lo, exec_lo, s12
	v_or_b32_e32 v5, v15, v5
	v_or_b32_e32 v4, v14, v4
	;; [unrolled: 1-line block ×4, first 2 shown]
	v_dual_mul_f32 v113, v54, v5 :: v_dual_mul_f32 v112, v52, v4
	s_delay_alu instid0(VALU_DEP_3) | instskip(NEXT) | instid1(VALU_DEP_3)
	v_mul_f32_e32 v102, v54, v6
	v_mul_f32_e32 v103, v52, v14
	s_and_saveexec_b32 s10, vcc_lo
; %bb.746:                              ;   in Loop: Header=BB273_543 Depth=1
	v_cmp_lt_i32_e64 s0, v67, v30
	s_delay_alu instid0(VALU_DEP_1) | instskip(SKIP_1) | instid1(VALU_DEP_1)
	v_cndmask_b32_e64 v112, 0, v112, s0
	v_cmp_lt_i32_e64 s0, v69, v30
	v_cndmask_b32_e64 v113, 0, v113, s0
	v_cmp_lt_i32_e64 s0, v68, v30
	s_delay_alu instid0(VALU_DEP_1) | instskip(SKIP_1) | instid1(VALU_DEP_1)
	v_cndmask_b32_e64 v103, 0, v103, s0
	v_cmp_lt_i32_e64 s0, v21, v30
	v_cndmask_b32_e64 v102, 0, v102, s0
; %bb.747:                              ;   in Loop: Header=BB273_543 Depth=1
	s_or_b32 exec_lo, exec_lo, s10
	flat_load_b32 v114, v[12:13] offset:768
	v_mov_b32_e32 v14, 0
	v_mov_b32_e32 v15, 0
	s_mov_b32 s10, exec_lo
	s_waitcnt vmcnt(0) lgkmcnt(0)
	v_and_b32_e32 v6, 0xff, v114
	s_delay_alu instid0(VALU_DEP_2) | instskip(NEXT) | instid1(VALU_DEP_2)
	v_dual_mov_b32 v4, v14 :: v_dual_mov_b32 v5, v15
	v_cmpx_ne_u16_e32 0, v6
	s_cbranch_execz .LBB273_755
; %bb.748:                              ;   in Loop: Header=BB273_543 Depth=1
	v_bfrev_b32_e32 v4, 1
	v_mov_b32_e32 v5, 0
	s_mov_b32 s12, exec_lo
	v_cmpx_ne_u16_e32 0x80, v6
	s_cbranch_execz .LBB273_754
; %bb.749:                              ;   in Loop: Header=BB273_543 Depth=1
	v_mov_b32_e32 v4, 0x7f800001
	v_dual_mov_b32 v5, 0 :: v_dual_and_b32 v16, 0x7f, v114
	s_mov_b32 s13, exec_lo
	s_delay_alu instid0(VALU_DEP_1)
	v_cmpx_ne_u32_e32 0x7f, v16
	s_cbranch_execz .LBB273_753
; %bb.750:                              ;   in Loop: Header=BB273_543 Depth=1
	v_and_b32_e32 v6, 7, v114
	v_lshrrev_b32_e32 v4, 3, v16
	s_mov_b32 s15, exec_lo
	v_cmpx_gt_u32_e32 8, v16
; %bb.751:                              ;   in Loop: Header=BB273_543 Depth=1
	s_delay_alu instid0(VALU_DEP_3) | instskip(NEXT) | instid1(VALU_DEP_1)
	v_clz_i32_u32_e32 v4, v6
	v_min_u32_e32 v4, 32, v4
	s_delay_alu instid0(VALU_DEP_1) | instskip(SKIP_1) | instid1(VALU_DEP_2)
	v_subrev_nc_u32_e32 v5, 28, v4
	v_sub_nc_u32_e32 v4, 29, v4
	v_lshlrev_b64 v[5:6], v5, v[6:7]
	s_delay_alu instid0(VALU_DEP_1)
	v_and_b32_e32 v6, 7, v5
; %bb.752:                              ;   in Loop: Header=BB273_543 Depth=1
	s_or_b32 exec_lo, exec_lo, s15
	v_lshlrev_b32_e32 v5, 24, v114
	s_delay_alu instid0(VALU_DEP_2) | instskip(SKIP_1) | instid1(VALU_DEP_3)
	v_lshlrev_b32_e32 v6, 20, v6
	v_lshl_add_u32 v4, v4, 23, 0x3c000000
	v_and_b32_e32 v5, 0x80000000, v5
	s_delay_alu instid0(VALU_DEP_1) | instskip(NEXT) | instid1(VALU_DEP_1)
	v_or3_b32 v6, v6, v5, v4
	v_dual_mov_b32 v4, v6 :: v_dual_mov_b32 v5, v7
.LBB273_753:                            ;   in Loop: Header=BB273_543 Depth=1
	s_or_b32 exec_lo, exec_lo, s13
.LBB273_754:                            ;   in Loop: Header=BB273_543 Depth=1
	s_delay_alu instid0(SALU_CYCLE_1)
	s_or_b32 exec_lo, exec_lo, s12
.LBB273_755:                            ;   in Loop: Header=BB273_543 Depth=1
	s_delay_alu instid0(SALU_CYCLE_1) | instskip(SKIP_2) | instid1(VALU_DEP_1)
	s_or_b32 exec_lo, exec_lo, s10
	v_lshrrev_b16 v6, 8, v114
	s_mov_b32 s12, exec_lo
	v_cmpx_ne_u16_e32 0, v6
	s_cbranch_execz .LBB273_763
; %bb.756:                              ;   in Loop: Header=BB273_543 Depth=1
	v_dual_mov_b32 v15, s9 :: v_dual_mov_b32 v14, s8
	s_mov_b32 s13, exec_lo
	v_cmpx_ne_u16_e32 0x80, v6
	s_cbranch_execz .LBB273_762
; %bb.757:                              ;   in Loop: Header=BB273_543 Depth=1
	s_mov_b32 s10, s8
	v_dual_mov_b32 v15, s11 :: v_dual_and_b32 v6, 0xffff, v6
	v_mov_b32_e32 v14, s10
	s_mov_b32 s10, exec_lo
	s_delay_alu instid0(VALU_DEP_2) | instskip(NEXT) | instid1(VALU_DEP_1)
	v_and_b32_e32 v16, 0x7f, v6
	v_cmpx_ne_u32_e32 0x7f, v16
	s_cbranch_execz .LBB273_761
; %bb.758:                              ;   in Loop: Header=BB273_543 Depth=1
	v_and_b32_e32 v6, 7, v6
	v_lshrrev_b32_e32 v14, 3, v16
	s_mov_b32 s15, exec_lo
	v_cmpx_gt_u32_e32 8, v16
; %bb.759:                              ;   in Loop: Header=BB273_543 Depth=1
	s_delay_alu instid0(VALU_DEP_3) | instskip(NEXT) | instid1(VALU_DEP_1)
	v_clz_i32_u32_e32 v14, v6
	v_min_u32_e32 v14, 32, v14
	s_delay_alu instid0(VALU_DEP_1) | instskip(SKIP_1) | instid1(VALU_DEP_2)
	v_subrev_nc_u32_e32 v15, 28, v14
	v_sub_nc_u32_e32 v14, 29, v14
	v_lshlrev_b64 v[15:16], v15, v[6:7]
	s_delay_alu instid0(VALU_DEP_1)
	v_and_b32_e32 v6, 7, v15
; %bb.760:                              ;   in Loop: Header=BB273_543 Depth=1
	s_or_b32 exec_lo, exec_lo, s15
	v_lshlrev_b32_e32 v15, 16, v114
	s_delay_alu instid0(VALU_DEP_2) | instskip(SKIP_1) | instid1(VALU_DEP_3)
	v_lshlrev_b32_e32 v6, 20, v6
	v_lshl_add_u32 v14, v14, 23, 0x3c000000
	v_and_b32_e32 v15, 0x80000000, v15
	s_delay_alu instid0(VALU_DEP_1)
	v_or3_b32 v15, v6, v15, v14
	v_mov_b32_e32 v14, v7
.LBB273_761:                            ;   in Loop: Header=BB273_543 Depth=1
	s_or_b32 exec_lo, exec_lo, s10
.LBB273_762:                            ;   in Loop: Header=BB273_543 Depth=1
	s_delay_alu instid0(SALU_CYCLE_1)
	s_or_b32 exec_lo, exec_lo, s13
.LBB273_763:                            ;   in Loop: Header=BB273_543 Depth=1
	s_delay_alu instid0(SALU_CYCLE_1) | instskip(SKIP_4) | instid1(VALU_DEP_2)
	s_or_b32 exec_lo, exec_lo, s12
	v_mov_b32_e32 v18, 0
	v_lshrrev_b32_e32 v115, 16, v114
	v_mov_b32_e32 v19, 0
	s_mov_b32 s10, exec_lo
	v_and_b32_e32 v6, 0xff, v115
	s_delay_alu instid0(VALU_DEP_2) | instskip(NEXT) | instid1(VALU_DEP_2)
	v_dual_mov_b32 v16, v18 :: v_dual_mov_b32 v17, v19
	v_cmpx_ne_u16_e32 0, v6
	s_cbranch_execz .LBB273_771
; %bb.764:                              ;   in Loop: Header=BB273_543 Depth=1
	v_bfrev_b32_e32 v16, 1
	v_mov_b32_e32 v17, 0
	s_mov_b32 s12, exec_lo
	v_cmpx_ne_u16_e32 0x80, v6
	s_cbranch_execz .LBB273_770
; %bb.765:                              ;   in Loop: Header=BB273_543 Depth=1
	v_mov_b32_e32 v16, 0x7f800001
	v_bfe_u32 v116, v114, 16, 7
	v_mov_b32_e32 v17, 0
	s_mov_b32 s13, exec_lo
	s_delay_alu instid0(VALU_DEP_2)
	v_cmpx_ne_u32_e32 0x7f, v116
	s_cbranch_execz .LBB273_769
; %bb.766:                              ;   in Loop: Header=BB273_543 Depth=1
	v_and_b32_e32 v6, 7, v115
	v_lshrrev_b32_e32 v16, 3, v116
	s_mov_b32 s15, exec_lo
	v_cmpx_gt_u32_e32 8, v116
; %bb.767:                              ;   in Loop: Header=BB273_543 Depth=1
	s_delay_alu instid0(VALU_DEP_3) | instskip(NEXT) | instid1(VALU_DEP_1)
	v_clz_i32_u32_e32 v16, v6
	v_min_u32_e32 v16, 32, v16
	s_delay_alu instid0(VALU_DEP_1) | instskip(SKIP_1) | instid1(VALU_DEP_2)
	v_subrev_nc_u32_e32 v17, 28, v16
	v_sub_nc_u32_e32 v16, 29, v16
	v_lshlrev_b64 v[116:117], v17, v[6:7]
	s_delay_alu instid0(VALU_DEP_1)
	v_and_b32_e32 v6, 7, v116
; %bb.768:                              ;   in Loop: Header=BB273_543 Depth=1
	s_or_b32 exec_lo, exec_lo, s15
	v_lshlrev_b32_e32 v17, 24, v115
	s_delay_alu instid0(VALU_DEP_2) | instskip(SKIP_1) | instid1(VALU_DEP_3)
	v_lshlrev_b32_e32 v6, 20, v6
	v_lshl_add_u32 v16, v16, 23, 0x3c000000
	v_and_b32_e32 v17, 0x80000000, v17
	s_delay_alu instid0(VALU_DEP_1) | instskip(NEXT) | instid1(VALU_DEP_1)
	v_or3_b32 v6, v6, v17, v16
	v_dual_mov_b32 v17, v7 :: v_dual_mov_b32 v16, v6
.LBB273_769:                            ;   in Loop: Header=BB273_543 Depth=1
	s_or_b32 exec_lo, exec_lo, s13
.LBB273_770:                            ;   in Loop: Header=BB273_543 Depth=1
	s_delay_alu instid0(SALU_CYCLE_1)
	s_or_b32 exec_lo, exec_lo, s12
.LBB273_771:                            ;   in Loop: Header=BB273_543 Depth=1
	s_delay_alu instid0(SALU_CYCLE_1) | instskip(NEXT) | instid1(SALU_CYCLE_1)
	s_or_b32 exec_lo, exec_lo, s10
	s_mov_b32 s12, exec_lo
	v_cmpx_lt_u32_e32 0xffffff, v114
	s_cbranch_execz .LBB273_779
; %bb.772:                              ;   in Loop: Header=BB273_543 Depth=1
	v_lshrrev_b32_e32 v115, 24, v114
	v_dual_mov_b32 v19, s9 :: v_dual_mov_b32 v18, s8
	s_mov_b32 s13, exec_lo
	s_delay_alu instid0(VALU_DEP_2)
	v_cmpx_ne_u32_e32 0x80, v115
	s_cbranch_execz .LBB273_778
; %bb.773:                              ;   in Loop: Header=BB273_543 Depth=1
	s_mov_b32 s10, s8
	v_bfe_u32 v114, v114, 24, 7
	v_dual_mov_b32 v19, s11 :: v_dual_mov_b32 v18, s10
	s_mov_b32 s10, exec_lo
	s_delay_alu instid0(VALU_DEP_2)
	v_cmpx_ne_u32_e32 0x7f, v114
	s_cbranch_execz .LBB273_777
; %bb.774:                              ;   in Loop: Header=BB273_543 Depth=1
	v_and_b32_e32 v6, 7, v115
	v_lshrrev_b32_e32 v18, 3, v114
	s_mov_b32 s15, exec_lo
	v_cmpx_gt_u32_e32 8, v114
; %bb.775:                              ;   in Loop: Header=BB273_543 Depth=1
	s_delay_alu instid0(VALU_DEP_3) | instskip(NEXT) | instid1(VALU_DEP_1)
	v_clz_i32_u32_e32 v18, v6
	v_min_u32_e32 v18, 32, v18
	s_delay_alu instid0(VALU_DEP_1) | instskip(SKIP_1) | instid1(VALU_DEP_2)
	v_subrev_nc_u32_e32 v19, 28, v18
	v_sub_nc_u32_e32 v18, 29, v18
	v_lshlrev_b64 v[116:117], v19, v[6:7]
	s_delay_alu instid0(VALU_DEP_1)
	v_and_b32_e32 v6, 7, v116
; %bb.776:                              ;   in Loop: Header=BB273_543 Depth=1
	s_or_b32 exec_lo, exec_lo, s15
	v_lshlrev_b32_e32 v19, 24, v115
	s_delay_alu instid0(VALU_DEP_2) | instskip(SKIP_1) | instid1(VALU_DEP_3)
	v_lshlrev_b32_e32 v6, 20, v6
	v_lshl_add_u32 v18, v18, 23, 0x3c000000
	v_and_b32_e32 v19, 0x80000000, v19
	s_delay_alu instid0(VALU_DEP_1)
	v_or3_b32 v19, v6, v19, v18
	v_mov_b32_e32 v18, v7
.LBB273_777:                            ;   in Loop: Header=BB273_543 Depth=1
	s_or_b32 exec_lo, exec_lo, s10
.LBB273_778:                            ;   in Loop: Header=BB273_543 Depth=1
	s_delay_alu instid0(SALU_CYCLE_1)
	s_or_b32 exec_lo, exec_lo, s13
.LBB273_779:                            ;   in Loop: Header=BB273_543 Depth=1
	s_delay_alu instid0(SALU_CYCLE_1) | instskip(SKIP_4) | instid1(VALU_DEP_3)
	s_or_b32 exec_lo, exec_lo, s12
	v_or_b32_e32 v5, v15, v5
	v_or_b32_e32 v4, v14, v4
	;; [unrolled: 1-line block ×4, first 2 shown]
	v_dual_mul_f32 v117, v54, v5 :: v_dual_mul_f32 v116, v52, v4
	s_delay_alu instid0(VALU_DEP_3) | instskip(NEXT) | instid1(VALU_DEP_3)
	v_mul_f32_e32 v114, v54, v6
	v_mul_f32_e32 v115, v52, v14
	s_and_saveexec_b32 s10, vcc_lo
; %bb.780:                              ;   in Loop: Header=BB273_543 Depth=1
	v_cmp_lt_i32_e64 s0, v67, v30
	s_delay_alu instid0(VALU_DEP_1) | instskip(SKIP_1) | instid1(VALU_DEP_1)
	v_cndmask_b32_e64 v116, 0, v116, s0
	v_cmp_lt_i32_e64 s0, v69, v30
	v_cndmask_b32_e64 v117, 0, v117, s0
	v_cmp_lt_i32_e64 s0, v68, v30
	s_delay_alu instid0(VALU_DEP_1) | instskip(SKIP_1) | instid1(VALU_DEP_1)
	v_cndmask_b32_e64 v115, 0, v115, s0
	v_cmp_lt_i32_e64 s0, v21, v30
	v_cndmask_b32_e64 v114, 0, v114, s0
; %bb.781:                              ;   in Loop: Header=BB273_543 Depth=1
	s_or_b32 exec_lo, exec_lo, s10
	flat_load_b32 v118, v[12:13] offset:896
	v_mov_b32_e32 v14, 0
	v_mov_b32_e32 v15, 0
	s_mov_b32 s10, exec_lo
	s_waitcnt vmcnt(0) lgkmcnt(0)
	v_and_b32_e32 v6, 0xff, v118
	s_delay_alu instid0(VALU_DEP_2) | instskip(NEXT) | instid1(VALU_DEP_2)
	v_dual_mov_b32 v4, v14 :: v_dual_mov_b32 v5, v15
	v_cmpx_ne_u16_e32 0, v6
	s_cbranch_execz .LBB273_789
; %bb.782:                              ;   in Loop: Header=BB273_543 Depth=1
	v_bfrev_b32_e32 v4, 1
	v_mov_b32_e32 v5, 0
	s_mov_b32 s12, exec_lo
	v_cmpx_ne_u16_e32 0x80, v6
	s_cbranch_execz .LBB273_788
; %bb.783:                              ;   in Loop: Header=BB273_543 Depth=1
	v_mov_b32_e32 v4, 0x7f800001
	v_dual_mov_b32 v5, 0 :: v_dual_and_b32 v16, 0x7f, v118
	s_mov_b32 s13, exec_lo
	s_delay_alu instid0(VALU_DEP_1)
	v_cmpx_ne_u32_e32 0x7f, v16
	s_cbranch_execz .LBB273_787
; %bb.784:                              ;   in Loop: Header=BB273_543 Depth=1
	v_and_b32_e32 v6, 7, v118
	v_lshrrev_b32_e32 v4, 3, v16
	s_mov_b32 s15, exec_lo
	v_cmpx_gt_u32_e32 8, v16
; %bb.785:                              ;   in Loop: Header=BB273_543 Depth=1
	s_delay_alu instid0(VALU_DEP_3) | instskip(NEXT) | instid1(VALU_DEP_1)
	v_clz_i32_u32_e32 v4, v6
	v_min_u32_e32 v4, 32, v4
	s_delay_alu instid0(VALU_DEP_1) | instskip(SKIP_1) | instid1(VALU_DEP_2)
	v_subrev_nc_u32_e32 v5, 28, v4
	v_sub_nc_u32_e32 v4, 29, v4
	v_lshlrev_b64 v[5:6], v5, v[6:7]
	s_delay_alu instid0(VALU_DEP_1)
	v_and_b32_e32 v6, 7, v5
; %bb.786:                              ;   in Loop: Header=BB273_543 Depth=1
	s_or_b32 exec_lo, exec_lo, s15
	v_lshlrev_b32_e32 v5, 24, v118
	s_delay_alu instid0(VALU_DEP_2) | instskip(SKIP_1) | instid1(VALU_DEP_3)
	v_lshlrev_b32_e32 v6, 20, v6
	v_lshl_add_u32 v4, v4, 23, 0x3c000000
	v_and_b32_e32 v5, 0x80000000, v5
	s_delay_alu instid0(VALU_DEP_1) | instskip(NEXT) | instid1(VALU_DEP_1)
	v_or3_b32 v6, v6, v5, v4
	v_dual_mov_b32 v4, v6 :: v_dual_mov_b32 v5, v7
.LBB273_787:                            ;   in Loop: Header=BB273_543 Depth=1
	s_or_b32 exec_lo, exec_lo, s13
.LBB273_788:                            ;   in Loop: Header=BB273_543 Depth=1
	s_delay_alu instid0(SALU_CYCLE_1)
	s_or_b32 exec_lo, exec_lo, s12
.LBB273_789:                            ;   in Loop: Header=BB273_543 Depth=1
	s_delay_alu instid0(SALU_CYCLE_1) | instskip(SKIP_2) | instid1(VALU_DEP_1)
	s_or_b32 exec_lo, exec_lo, s10
	v_lshrrev_b16 v6, 8, v118
	s_mov_b32 s12, exec_lo
	v_cmpx_ne_u16_e32 0, v6
	s_cbranch_execz .LBB273_797
; %bb.790:                              ;   in Loop: Header=BB273_543 Depth=1
	v_dual_mov_b32 v15, s9 :: v_dual_mov_b32 v14, s8
	s_mov_b32 s13, exec_lo
	v_cmpx_ne_u16_e32 0x80, v6
	s_cbranch_execz .LBB273_796
; %bb.791:                              ;   in Loop: Header=BB273_543 Depth=1
	s_mov_b32 s10, s8
	v_dual_mov_b32 v15, s11 :: v_dual_and_b32 v6, 0xffff, v6
	v_mov_b32_e32 v14, s10
	s_mov_b32 s10, exec_lo
	s_delay_alu instid0(VALU_DEP_2) | instskip(NEXT) | instid1(VALU_DEP_1)
	v_and_b32_e32 v16, 0x7f, v6
	v_cmpx_ne_u32_e32 0x7f, v16
	s_cbranch_execz .LBB273_795
; %bb.792:                              ;   in Loop: Header=BB273_543 Depth=1
	v_and_b32_e32 v6, 7, v6
	v_lshrrev_b32_e32 v14, 3, v16
	s_mov_b32 s15, exec_lo
	v_cmpx_gt_u32_e32 8, v16
; %bb.793:                              ;   in Loop: Header=BB273_543 Depth=1
	s_delay_alu instid0(VALU_DEP_3) | instskip(NEXT) | instid1(VALU_DEP_1)
	v_clz_i32_u32_e32 v14, v6
	v_min_u32_e32 v14, 32, v14
	s_delay_alu instid0(VALU_DEP_1) | instskip(SKIP_1) | instid1(VALU_DEP_2)
	v_subrev_nc_u32_e32 v15, 28, v14
	v_sub_nc_u32_e32 v14, 29, v14
	v_lshlrev_b64 v[15:16], v15, v[6:7]
	s_delay_alu instid0(VALU_DEP_1)
	v_and_b32_e32 v6, 7, v15
; %bb.794:                              ;   in Loop: Header=BB273_543 Depth=1
	s_or_b32 exec_lo, exec_lo, s15
	v_lshlrev_b32_e32 v15, 16, v118
	s_delay_alu instid0(VALU_DEP_2) | instskip(SKIP_1) | instid1(VALU_DEP_3)
	v_lshlrev_b32_e32 v6, 20, v6
	v_lshl_add_u32 v14, v14, 23, 0x3c000000
	v_and_b32_e32 v15, 0x80000000, v15
	s_delay_alu instid0(VALU_DEP_1)
	v_or3_b32 v15, v6, v15, v14
	v_mov_b32_e32 v14, v7
.LBB273_795:                            ;   in Loop: Header=BB273_543 Depth=1
	s_or_b32 exec_lo, exec_lo, s10
.LBB273_796:                            ;   in Loop: Header=BB273_543 Depth=1
	s_delay_alu instid0(SALU_CYCLE_1)
	s_or_b32 exec_lo, exec_lo, s13
.LBB273_797:                            ;   in Loop: Header=BB273_543 Depth=1
	s_delay_alu instid0(SALU_CYCLE_1) | instskip(SKIP_4) | instid1(VALU_DEP_2)
	s_or_b32 exec_lo, exec_lo, s12
	v_mov_b32_e32 v18, 0
	v_lshrrev_b32_e32 v119, 16, v118
	v_mov_b32_e32 v19, 0
	s_mov_b32 s10, exec_lo
	v_and_b32_e32 v6, 0xff, v119
	s_delay_alu instid0(VALU_DEP_2) | instskip(NEXT) | instid1(VALU_DEP_2)
	v_dual_mov_b32 v16, v18 :: v_dual_mov_b32 v17, v19
	v_cmpx_ne_u16_e32 0, v6
	s_cbranch_execz .LBB273_805
; %bb.798:                              ;   in Loop: Header=BB273_543 Depth=1
	v_bfrev_b32_e32 v16, 1
	v_mov_b32_e32 v17, 0
	s_mov_b32 s12, exec_lo
	v_cmpx_ne_u16_e32 0x80, v6
	s_cbranch_execz .LBB273_804
; %bb.799:                              ;   in Loop: Header=BB273_543 Depth=1
	v_mov_b32_e32 v16, 0x7f800001
	v_bfe_u32 v128, v118, 16, 7
	v_mov_b32_e32 v17, 0
	s_mov_b32 s13, exec_lo
	s_delay_alu instid0(VALU_DEP_2)
	v_cmpx_ne_u32_e32 0x7f, v128
	s_cbranch_execz .LBB273_803
; %bb.800:                              ;   in Loop: Header=BB273_543 Depth=1
	v_and_b32_e32 v6, 7, v119
	v_lshrrev_b32_e32 v16, 3, v128
	s_mov_b32 s15, exec_lo
	v_cmpx_gt_u32_e32 8, v128
; %bb.801:                              ;   in Loop: Header=BB273_543 Depth=1
	s_delay_alu instid0(VALU_DEP_3) | instskip(NEXT) | instid1(VALU_DEP_1)
	v_clz_i32_u32_e32 v16, v6
	v_min_u32_e32 v16, 32, v16
	s_delay_alu instid0(VALU_DEP_1) | instskip(SKIP_1) | instid1(VALU_DEP_2)
	v_subrev_nc_u32_e32 v17, 28, v16
	v_sub_nc_u32_e32 v16, 29, v16
	v_lshlrev_b64 v[128:129], v17, v[6:7]
	s_delay_alu instid0(VALU_DEP_1)
	v_and_b32_e32 v6, 7, v128
; %bb.802:                              ;   in Loop: Header=BB273_543 Depth=1
	s_or_b32 exec_lo, exec_lo, s15
	v_lshlrev_b32_e32 v17, 24, v119
	s_delay_alu instid0(VALU_DEP_2) | instskip(SKIP_1) | instid1(VALU_DEP_3)
	v_lshlrev_b32_e32 v6, 20, v6
	v_lshl_add_u32 v16, v16, 23, 0x3c000000
	v_and_b32_e32 v17, 0x80000000, v17
	s_delay_alu instid0(VALU_DEP_1) | instskip(NEXT) | instid1(VALU_DEP_1)
	v_or3_b32 v6, v6, v17, v16
	v_dual_mov_b32 v17, v7 :: v_dual_mov_b32 v16, v6
.LBB273_803:                            ;   in Loop: Header=BB273_543 Depth=1
	s_or_b32 exec_lo, exec_lo, s13
.LBB273_804:                            ;   in Loop: Header=BB273_543 Depth=1
	s_delay_alu instid0(SALU_CYCLE_1)
	s_or_b32 exec_lo, exec_lo, s12
.LBB273_805:                            ;   in Loop: Header=BB273_543 Depth=1
	s_delay_alu instid0(SALU_CYCLE_1) | instskip(NEXT) | instid1(SALU_CYCLE_1)
	s_or_b32 exec_lo, exec_lo, s10
	s_mov_b32 s12, exec_lo
	v_cmpx_lt_u32_e32 0xffffff, v118
	s_cbranch_execz .LBB273_813
; %bb.806:                              ;   in Loop: Header=BB273_543 Depth=1
	v_lshrrev_b32_e32 v119, 24, v118
	v_dual_mov_b32 v19, s9 :: v_dual_mov_b32 v18, s8
	s_mov_b32 s13, exec_lo
	s_delay_alu instid0(VALU_DEP_2)
	v_cmpx_ne_u32_e32 0x80, v119
	s_cbranch_execz .LBB273_812
; %bb.807:                              ;   in Loop: Header=BB273_543 Depth=1
	s_mov_b32 s10, s8
	v_bfe_u32 v118, v118, 24, 7
	v_dual_mov_b32 v19, s11 :: v_dual_mov_b32 v18, s10
	s_mov_b32 s10, exec_lo
	s_delay_alu instid0(VALU_DEP_2)
	v_cmpx_ne_u32_e32 0x7f, v118
	s_cbranch_execz .LBB273_811
; %bb.808:                              ;   in Loop: Header=BB273_543 Depth=1
	v_and_b32_e32 v6, 7, v119
	v_lshrrev_b32_e32 v18, 3, v118
	s_mov_b32 s15, exec_lo
	v_cmpx_gt_u32_e32 8, v118
; %bb.809:                              ;   in Loop: Header=BB273_543 Depth=1
	s_delay_alu instid0(VALU_DEP_3) | instskip(NEXT) | instid1(VALU_DEP_1)
	v_clz_i32_u32_e32 v18, v6
	v_min_u32_e32 v18, 32, v18
	s_delay_alu instid0(VALU_DEP_1) | instskip(SKIP_1) | instid1(VALU_DEP_2)
	v_subrev_nc_u32_e32 v19, 28, v18
	v_sub_nc_u32_e32 v18, 29, v18
	v_lshlrev_b64 v[128:129], v19, v[6:7]
	s_delay_alu instid0(VALU_DEP_1)
	v_and_b32_e32 v6, 7, v128
; %bb.810:                              ;   in Loop: Header=BB273_543 Depth=1
	s_or_b32 exec_lo, exec_lo, s15
	v_lshlrev_b32_e32 v19, 24, v119
	s_delay_alu instid0(VALU_DEP_2) | instskip(SKIP_1) | instid1(VALU_DEP_3)
	v_lshlrev_b32_e32 v6, 20, v6
	v_lshl_add_u32 v18, v18, 23, 0x3c000000
	v_and_b32_e32 v19, 0x80000000, v19
	s_delay_alu instid0(VALU_DEP_1)
	v_or3_b32 v19, v6, v19, v18
	v_mov_b32_e32 v18, v7
.LBB273_811:                            ;   in Loop: Header=BB273_543 Depth=1
	s_or_b32 exec_lo, exec_lo, s10
.LBB273_812:                            ;   in Loop: Header=BB273_543 Depth=1
	s_delay_alu instid0(SALU_CYCLE_1)
	s_or_b32 exec_lo, exec_lo, s13
.LBB273_813:                            ;   in Loop: Header=BB273_543 Depth=1
	s_delay_alu instid0(SALU_CYCLE_1) | instskip(SKIP_4) | instid1(VALU_DEP_3)
	s_or_b32 exec_lo, exec_lo, s12
	v_or_b32_e32 v5, v15, v5
	v_or_b32_e32 v4, v14, v4
	;; [unrolled: 1-line block ×4, first 2 shown]
	v_dual_mul_f32 v129, v54, v5 :: v_dual_mul_f32 v128, v52, v4
	s_delay_alu instid0(VALU_DEP_3) | instskip(NEXT) | instid1(VALU_DEP_3)
	v_mul_f32_e32 v118, v54, v6
	v_mul_f32_e32 v119, v52, v14
	s_and_saveexec_b32 s10, vcc_lo
; %bb.814:                              ;   in Loop: Header=BB273_543 Depth=1
	v_cmp_lt_i32_e64 s0, v67, v30
	s_delay_alu instid0(VALU_DEP_1) | instskip(SKIP_1) | instid1(VALU_DEP_1)
	v_cndmask_b32_e64 v128, 0, v128, s0
	v_cmp_lt_i32_e64 s0, v69, v30
	v_cndmask_b32_e64 v129, 0, v129, s0
	v_cmp_lt_i32_e64 s0, v68, v30
	s_delay_alu instid0(VALU_DEP_1) | instskip(SKIP_1) | instid1(VALU_DEP_1)
	v_cndmask_b32_e64 v119, 0, v119, s0
	v_cmp_lt_i32_e64 s0, v21, v30
	v_cndmask_b32_e64 v118, 0, v118, s0
; %bb.815:                              ;   in Loop: Header=BB273_543 Depth=1
	s_or_b32 exec_lo, exec_lo, s10
	flat_load_b32 v130, v[12:13] offset:1024
	v_mov_b32_e32 v14, 0
	v_mov_b32_e32 v15, 0
	s_mov_b32 s10, exec_lo
	s_waitcnt vmcnt(0) lgkmcnt(0)
	v_and_b32_e32 v6, 0xff, v130
	s_delay_alu instid0(VALU_DEP_2) | instskip(NEXT) | instid1(VALU_DEP_2)
	v_dual_mov_b32 v4, v14 :: v_dual_mov_b32 v5, v15
	v_cmpx_ne_u16_e32 0, v6
	s_cbranch_execz .LBB273_823
; %bb.816:                              ;   in Loop: Header=BB273_543 Depth=1
	v_bfrev_b32_e32 v4, 1
	v_mov_b32_e32 v5, 0
	s_mov_b32 s12, exec_lo
	v_cmpx_ne_u16_e32 0x80, v6
	s_cbranch_execz .LBB273_822
; %bb.817:                              ;   in Loop: Header=BB273_543 Depth=1
	v_mov_b32_e32 v4, 0x7f800001
	v_dual_mov_b32 v5, 0 :: v_dual_and_b32 v16, 0x7f, v130
	s_mov_b32 s13, exec_lo
	s_delay_alu instid0(VALU_DEP_1)
	v_cmpx_ne_u32_e32 0x7f, v16
	s_cbranch_execz .LBB273_821
; %bb.818:                              ;   in Loop: Header=BB273_543 Depth=1
	v_and_b32_e32 v6, 7, v130
	v_lshrrev_b32_e32 v4, 3, v16
	s_mov_b32 s15, exec_lo
	v_cmpx_gt_u32_e32 8, v16
; %bb.819:                              ;   in Loop: Header=BB273_543 Depth=1
	s_delay_alu instid0(VALU_DEP_3) | instskip(NEXT) | instid1(VALU_DEP_1)
	v_clz_i32_u32_e32 v4, v6
	v_min_u32_e32 v4, 32, v4
	s_delay_alu instid0(VALU_DEP_1) | instskip(SKIP_1) | instid1(VALU_DEP_2)
	v_subrev_nc_u32_e32 v5, 28, v4
	v_sub_nc_u32_e32 v4, 29, v4
	v_lshlrev_b64 v[5:6], v5, v[6:7]
	s_delay_alu instid0(VALU_DEP_1)
	v_and_b32_e32 v6, 7, v5
; %bb.820:                              ;   in Loop: Header=BB273_543 Depth=1
	s_or_b32 exec_lo, exec_lo, s15
	v_lshlrev_b32_e32 v5, 24, v130
	s_delay_alu instid0(VALU_DEP_2) | instskip(SKIP_1) | instid1(VALU_DEP_3)
	v_lshlrev_b32_e32 v6, 20, v6
	v_lshl_add_u32 v4, v4, 23, 0x3c000000
	v_and_b32_e32 v5, 0x80000000, v5
	s_delay_alu instid0(VALU_DEP_1) | instskip(NEXT) | instid1(VALU_DEP_1)
	v_or3_b32 v6, v6, v5, v4
	v_dual_mov_b32 v4, v6 :: v_dual_mov_b32 v5, v7
.LBB273_821:                            ;   in Loop: Header=BB273_543 Depth=1
	s_or_b32 exec_lo, exec_lo, s13
.LBB273_822:                            ;   in Loop: Header=BB273_543 Depth=1
	s_delay_alu instid0(SALU_CYCLE_1)
	s_or_b32 exec_lo, exec_lo, s12
.LBB273_823:                            ;   in Loop: Header=BB273_543 Depth=1
	s_delay_alu instid0(SALU_CYCLE_1) | instskip(SKIP_2) | instid1(VALU_DEP_1)
	s_or_b32 exec_lo, exec_lo, s10
	v_lshrrev_b16 v6, 8, v130
	s_mov_b32 s12, exec_lo
	v_cmpx_ne_u16_e32 0, v6
	s_cbranch_execz .LBB273_831
; %bb.824:                              ;   in Loop: Header=BB273_543 Depth=1
	v_dual_mov_b32 v15, s9 :: v_dual_mov_b32 v14, s8
	s_mov_b32 s13, exec_lo
	v_cmpx_ne_u16_e32 0x80, v6
	s_cbranch_execz .LBB273_830
; %bb.825:                              ;   in Loop: Header=BB273_543 Depth=1
	s_mov_b32 s10, s8
	v_dual_mov_b32 v15, s11 :: v_dual_and_b32 v6, 0xffff, v6
	v_mov_b32_e32 v14, s10
	s_mov_b32 s10, exec_lo
	s_delay_alu instid0(VALU_DEP_2) | instskip(NEXT) | instid1(VALU_DEP_1)
	v_and_b32_e32 v16, 0x7f, v6
	v_cmpx_ne_u32_e32 0x7f, v16
	s_cbranch_execz .LBB273_829
; %bb.826:                              ;   in Loop: Header=BB273_543 Depth=1
	v_and_b32_e32 v6, 7, v6
	v_lshrrev_b32_e32 v14, 3, v16
	s_mov_b32 s15, exec_lo
	v_cmpx_gt_u32_e32 8, v16
; %bb.827:                              ;   in Loop: Header=BB273_543 Depth=1
	s_delay_alu instid0(VALU_DEP_3) | instskip(NEXT) | instid1(VALU_DEP_1)
	v_clz_i32_u32_e32 v14, v6
	v_min_u32_e32 v14, 32, v14
	s_delay_alu instid0(VALU_DEP_1) | instskip(SKIP_1) | instid1(VALU_DEP_2)
	v_subrev_nc_u32_e32 v15, 28, v14
	v_sub_nc_u32_e32 v14, 29, v14
	v_lshlrev_b64 v[15:16], v15, v[6:7]
	s_delay_alu instid0(VALU_DEP_1)
	v_and_b32_e32 v6, 7, v15
; %bb.828:                              ;   in Loop: Header=BB273_543 Depth=1
	s_or_b32 exec_lo, exec_lo, s15
	v_lshlrev_b32_e32 v15, 16, v130
	s_delay_alu instid0(VALU_DEP_2) | instskip(SKIP_1) | instid1(VALU_DEP_3)
	v_lshlrev_b32_e32 v6, 20, v6
	v_lshl_add_u32 v14, v14, 23, 0x3c000000
	v_and_b32_e32 v15, 0x80000000, v15
	s_delay_alu instid0(VALU_DEP_1)
	v_or3_b32 v15, v6, v15, v14
	v_mov_b32_e32 v14, v7
.LBB273_829:                            ;   in Loop: Header=BB273_543 Depth=1
	s_or_b32 exec_lo, exec_lo, s10
.LBB273_830:                            ;   in Loop: Header=BB273_543 Depth=1
	s_delay_alu instid0(SALU_CYCLE_1)
	s_or_b32 exec_lo, exec_lo, s13
.LBB273_831:                            ;   in Loop: Header=BB273_543 Depth=1
	s_delay_alu instid0(SALU_CYCLE_1) | instskip(SKIP_4) | instid1(VALU_DEP_2)
	s_or_b32 exec_lo, exec_lo, s12
	v_mov_b32_e32 v18, 0
	v_lshrrev_b32_e32 v131, 16, v130
	v_mov_b32_e32 v19, 0
	s_mov_b32 s10, exec_lo
	v_and_b32_e32 v6, 0xff, v131
	s_delay_alu instid0(VALU_DEP_2) | instskip(NEXT) | instid1(VALU_DEP_2)
	v_dual_mov_b32 v16, v18 :: v_dual_mov_b32 v17, v19
	v_cmpx_ne_u16_e32 0, v6
	s_cbranch_execz .LBB273_839
; %bb.832:                              ;   in Loop: Header=BB273_543 Depth=1
	v_bfrev_b32_e32 v16, 1
	v_mov_b32_e32 v17, 0
	s_mov_b32 s12, exec_lo
	v_cmpx_ne_u16_e32 0x80, v6
	s_cbranch_execz .LBB273_838
; %bb.833:                              ;   in Loop: Header=BB273_543 Depth=1
	v_mov_b32_e32 v16, 0x7f800001
	v_bfe_u32 v132, v130, 16, 7
	v_mov_b32_e32 v17, 0
	s_mov_b32 s13, exec_lo
	s_delay_alu instid0(VALU_DEP_2)
	v_cmpx_ne_u32_e32 0x7f, v132
	s_cbranch_execz .LBB273_837
; %bb.834:                              ;   in Loop: Header=BB273_543 Depth=1
	v_and_b32_e32 v6, 7, v131
	v_lshrrev_b32_e32 v16, 3, v132
	s_mov_b32 s15, exec_lo
	v_cmpx_gt_u32_e32 8, v132
; %bb.835:                              ;   in Loop: Header=BB273_543 Depth=1
	s_delay_alu instid0(VALU_DEP_3) | instskip(NEXT) | instid1(VALU_DEP_1)
	v_clz_i32_u32_e32 v16, v6
	v_min_u32_e32 v16, 32, v16
	s_delay_alu instid0(VALU_DEP_1) | instskip(SKIP_1) | instid1(VALU_DEP_2)
	v_subrev_nc_u32_e32 v17, 28, v16
	v_sub_nc_u32_e32 v16, 29, v16
	v_lshlrev_b64 v[132:133], v17, v[6:7]
	s_delay_alu instid0(VALU_DEP_1)
	v_and_b32_e32 v6, 7, v132
; %bb.836:                              ;   in Loop: Header=BB273_543 Depth=1
	s_or_b32 exec_lo, exec_lo, s15
	v_lshlrev_b32_e32 v17, 24, v131
	s_delay_alu instid0(VALU_DEP_2) | instskip(SKIP_1) | instid1(VALU_DEP_3)
	v_lshlrev_b32_e32 v6, 20, v6
	v_lshl_add_u32 v16, v16, 23, 0x3c000000
	v_and_b32_e32 v17, 0x80000000, v17
	s_delay_alu instid0(VALU_DEP_1) | instskip(NEXT) | instid1(VALU_DEP_1)
	v_or3_b32 v6, v6, v17, v16
	v_dual_mov_b32 v17, v7 :: v_dual_mov_b32 v16, v6
.LBB273_837:                            ;   in Loop: Header=BB273_543 Depth=1
	s_or_b32 exec_lo, exec_lo, s13
.LBB273_838:                            ;   in Loop: Header=BB273_543 Depth=1
	s_delay_alu instid0(SALU_CYCLE_1)
	s_or_b32 exec_lo, exec_lo, s12
.LBB273_839:                            ;   in Loop: Header=BB273_543 Depth=1
	s_delay_alu instid0(SALU_CYCLE_1) | instskip(NEXT) | instid1(SALU_CYCLE_1)
	s_or_b32 exec_lo, exec_lo, s10
	s_mov_b32 s12, exec_lo
	v_cmpx_lt_u32_e32 0xffffff, v130
	s_cbranch_execz .LBB273_847
; %bb.840:                              ;   in Loop: Header=BB273_543 Depth=1
	v_lshrrev_b32_e32 v131, 24, v130
	v_dual_mov_b32 v19, s9 :: v_dual_mov_b32 v18, s8
	s_mov_b32 s13, exec_lo
	s_delay_alu instid0(VALU_DEP_2)
	v_cmpx_ne_u32_e32 0x80, v131
	s_cbranch_execz .LBB273_846
; %bb.841:                              ;   in Loop: Header=BB273_543 Depth=1
	s_mov_b32 s10, s8
	v_bfe_u32 v130, v130, 24, 7
	v_dual_mov_b32 v19, s11 :: v_dual_mov_b32 v18, s10
	s_mov_b32 s10, exec_lo
	s_delay_alu instid0(VALU_DEP_2)
	v_cmpx_ne_u32_e32 0x7f, v130
	s_cbranch_execz .LBB273_845
; %bb.842:                              ;   in Loop: Header=BB273_543 Depth=1
	v_and_b32_e32 v6, 7, v131
	v_lshrrev_b32_e32 v18, 3, v130
	s_mov_b32 s15, exec_lo
	v_cmpx_gt_u32_e32 8, v130
; %bb.843:                              ;   in Loop: Header=BB273_543 Depth=1
	s_delay_alu instid0(VALU_DEP_3) | instskip(NEXT) | instid1(VALU_DEP_1)
	v_clz_i32_u32_e32 v18, v6
	v_min_u32_e32 v18, 32, v18
	s_delay_alu instid0(VALU_DEP_1) | instskip(SKIP_1) | instid1(VALU_DEP_2)
	v_subrev_nc_u32_e32 v19, 28, v18
	v_sub_nc_u32_e32 v18, 29, v18
	v_lshlrev_b64 v[132:133], v19, v[6:7]
	s_delay_alu instid0(VALU_DEP_1)
	v_and_b32_e32 v6, 7, v132
; %bb.844:                              ;   in Loop: Header=BB273_543 Depth=1
	s_or_b32 exec_lo, exec_lo, s15
	v_lshlrev_b32_e32 v19, 24, v131
	s_delay_alu instid0(VALU_DEP_2) | instskip(SKIP_1) | instid1(VALU_DEP_3)
	v_lshlrev_b32_e32 v6, 20, v6
	v_lshl_add_u32 v18, v18, 23, 0x3c000000
	v_and_b32_e32 v19, 0x80000000, v19
	s_delay_alu instid0(VALU_DEP_1)
	v_or3_b32 v19, v6, v19, v18
	v_mov_b32_e32 v18, v7
.LBB273_845:                            ;   in Loop: Header=BB273_543 Depth=1
	s_or_b32 exec_lo, exec_lo, s10
.LBB273_846:                            ;   in Loop: Header=BB273_543 Depth=1
	s_delay_alu instid0(SALU_CYCLE_1)
	s_or_b32 exec_lo, exec_lo, s13
.LBB273_847:                            ;   in Loop: Header=BB273_543 Depth=1
	s_delay_alu instid0(SALU_CYCLE_1) | instskip(SKIP_4) | instid1(VALU_DEP_3)
	s_or_b32 exec_lo, exec_lo, s12
	v_or_b32_e32 v5, v15, v5
	v_or_b32_e32 v4, v14, v4
	;; [unrolled: 1-line block ×4, first 2 shown]
	v_dual_mul_f32 v133, v54, v5 :: v_dual_mul_f32 v132, v52, v4
	s_delay_alu instid0(VALU_DEP_3) | instskip(NEXT) | instid1(VALU_DEP_3)
	v_mul_f32_e32 v130, v54, v6
	v_mul_f32_e32 v131, v52, v14
	s_and_saveexec_b32 s10, vcc_lo
; %bb.848:                              ;   in Loop: Header=BB273_543 Depth=1
	v_cmp_lt_i32_e64 s0, v67, v30
	s_delay_alu instid0(VALU_DEP_1) | instskip(SKIP_1) | instid1(VALU_DEP_1)
	v_cndmask_b32_e64 v132, 0, v132, s0
	v_cmp_lt_i32_e64 s0, v69, v30
	v_cndmask_b32_e64 v133, 0, v133, s0
	v_cmp_lt_i32_e64 s0, v68, v30
	s_delay_alu instid0(VALU_DEP_1) | instskip(SKIP_1) | instid1(VALU_DEP_1)
	v_cndmask_b32_e64 v131, 0, v131, s0
	v_cmp_lt_i32_e64 s0, v21, v30
	v_cndmask_b32_e64 v130, 0, v130, s0
; %bb.849:                              ;   in Loop: Header=BB273_543 Depth=1
	s_or_b32 exec_lo, exec_lo, s10
	flat_load_b32 v134, v[12:13] offset:1152
	v_mov_b32_e32 v14, 0
	v_mov_b32_e32 v15, 0
	s_mov_b32 s10, exec_lo
	s_waitcnt vmcnt(0) lgkmcnt(0)
	v_and_b32_e32 v6, 0xff, v134
	s_delay_alu instid0(VALU_DEP_2) | instskip(NEXT) | instid1(VALU_DEP_2)
	v_dual_mov_b32 v4, v14 :: v_dual_mov_b32 v5, v15
	v_cmpx_ne_u16_e32 0, v6
	s_cbranch_execz .LBB273_857
; %bb.850:                              ;   in Loop: Header=BB273_543 Depth=1
	v_bfrev_b32_e32 v4, 1
	v_mov_b32_e32 v5, 0
	s_mov_b32 s12, exec_lo
	v_cmpx_ne_u16_e32 0x80, v6
	s_cbranch_execz .LBB273_856
; %bb.851:                              ;   in Loop: Header=BB273_543 Depth=1
	v_mov_b32_e32 v4, 0x7f800001
	v_dual_mov_b32 v5, 0 :: v_dual_and_b32 v16, 0x7f, v134
	s_mov_b32 s13, exec_lo
	s_delay_alu instid0(VALU_DEP_1)
	v_cmpx_ne_u32_e32 0x7f, v16
	s_cbranch_execz .LBB273_855
; %bb.852:                              ;   in Loop: Header=BB273_543 Depth=1
	v_and_b32_e32 v6, 7, v134
	v_lshrrev_b32_e32 v4, 3, v16
	s_mov_b32 s15, exec_lo
	v_cmpx_gt_u32_e32 8, v16
; %bb.853:                              ;   in Loop: Header=BB273_543 Depth=1
	s_delay_alu instid0(VALU_DEP_3) | instskip(NEXT) | instid1(VALU_DEP_1)
	v_clz_i32_u32_e32 v4, v6
	v_min_u32_e32 v4, 32, v4
	s_delay_alu instid0(VALU_DEP_1) | instskip(SKIP_1) | instid1(VALU_DEP_2)
	v_subrev_nc_u32_e32 v5, 28, v4
	v_sub_nc_u32_e32 v4, 29, v4
	v_lshlrev_b64 v[5:6], v5, v[6:7]
	s_delay_alu instid0(VALU_DEP_1)
	v_and_b32_e32 v6, 7, v5
; %bb.854:                              ;   in Loop: Header=BB273_543 Depth=1
	s_or_b32 exec_lo, exec_lo, s15
	v_lshlrev_b32_e32 v5, 24, v134
	s_delay_alu instid0(VALU_DEP_2) | instskip(SKIP_1) | instid1(VALU_DEP_3)
	v_lshlrev_b32_e32 v6, 20, v6
	v_lshl_add_u32 v4, v4, 23, 0x3c000000
	v_and_b32_e32 v5, 0x80000000, v5
	s_delay_alu instid0(VALU_DEP_1) | instskip(NEXT) | instid1(VALU_DEP_1)
	v_or3_b32 v6, v6, v5, v4
	v_dual_mov_b32 v4, v6 :: v_dual_mov_b32 v5, v7
.LBB273_855:                            ;   in Loop: Header=BB273_543 Depth=1
	s_or_b32 exec_lo, exec_lo, s13
.LBB273_856:                            ;   in Loop: Header=BB273_543 Depth=1
	s_delay_alu instid0(SALU_CYCLE_1)
	s_or_b32 exec_lo, exec_lo, s12
.LBB273_857:                            ;   in Loop: Header=BB273_543 Depth=1
	s_delay_alu instid0(SALU_CYCLE_1) | instskip(SKIP_2) | instid1(VALU_DEP_1)
	s_or_b32 exec_lo, exec_lo, s10
	v_lshrrev_b16 v6, 8, v134
	s_mov_b32 s12, exec_lo
	v_cmpx_ne_u16_e32 0, v6
	s_cbranch_execz .LBB273_865
; %bb.858:                              ;   in Loop: Header=BB273_543 Depth=1
	v_dual_mov_b32 v15, s9 :: v_dual_mov_b32 v14, s8
	s_mov_b32 s13, exec_lo
	v_cmpx_ne_u16_e32 0x80, v6
	s_cbranch_execz .LBB273_864
; %bb.859:                              ;   in Loop: Header=BB273_543 Depth=1
	s_mov_b32 s10, s8
	v_dual_mov_b32 v15, s11 :: v_dual_and_b32 v6, 0xffff, v6
	v_mov_b32_e32 v14, s10
	s_mov_b32 s10, exec_lo
	s_delay_alu instid0(VALU_DEP_2) | instskip(NEXT) | instid1(VALU_DEP_1)
	v_and_b32_e32 v16, 0x7f, v6
	v_cmpx_ne_u32_e32 0x7f, v16
	s_cbranch_execz .LBB273_863
; %bb.860:                              ;   in Loop: Header=BB273_543 Depth=1
	v_and_b32_e32 v6, 7, v6
	v_lshrrev_b32_e32 v14, 3, v16
	s_mov_b32 s15, exec_lo
	v_cmpx_gt_u32_e32 8, v16
; %bb.861:                              ;   in Loop: Header=BB273_543 Depth=1
	s_delay_alu instid0(VALU_DEP_3) | instskip(NEXT) | instid1(VALU_DEP_1)
	v_clz_i32_u32_e32 v14, v6
	v_min_u32_e32 v14, 32, v14
	s_delay_alu instid0(VALU_DEP_1) | instskip(SKIP_1) | instid1(VALU_DEP_2)
	v_subrev_nc_u32_e32 v15, 28, v14
	v_sub_nc_u32_e32 v14, 29, v14
	v_lshlrev_b64 v[15:16], v15, v[6:7]
	s_delay_alu instid0(VALU_DEP_1)
	v_and_b32_e32 v6, 7, v15
; %bb.862:                              ;   in Loop: Header=BB273_543 Depth=1
	s_or_b32 exec_lo, exec_lo, s15
	v_lshlrev_b32_e32 v15, 16, v134
	s_delay_alu instid0(VALU_DEP_2) | instskip(SKIP_1) | instid1(VALU_DEP_3)
	v_lshlrev_b32_e32 v6, 20, v6
	v_lshl_add_u32 v14, v14, 23, 0x3c000000
	v_and_b32_e32 v15, 0x80000000, v15
	s_delay_alu instid0(VALU_DEP_1)
	v_or3_b32 v15, v6, v15, v14
	v_mov_b32_e32 v14, v7
.LBB273_863:                            ;   in Loop: Header=BB273_543 Depth=1
	s_or_b32 exec_lo, exec_lo, s10
.LBB273_864:                            ;   in Loop: Header=BB273_543 Depth=1
	s_delay_alu instid0(SALU_CYCLE_1)
	s_or_b32 exec_lo, exec_lo, s13
.LBB273_865:                            ;   in Loop: Header=BB273_543 Depth=1
	s_delay_alu instid0(SALU_CYCLE_1) | instskip(SKIP_4) | instid1(VALU_DEP_2)
	s_or_b32 exec_lo, exec_lo, s12
	v_mov_b32_e32 v18, 0
	v_lshrrev_b32_e32 v135, 16, v134
	v_mov_b32_e32 v19, 0
	s_mov_b32 s10, exec_lo
	v_and_b32_e32 v6, 0xff, v135
	s_delay_alu instid0(VALU_DEP_2) | instskip(NEXT) | instid1(VALU_DEP_2)
	v_dual_mov_b32 v16, v18 :: v_dual_mov_b32 v17, v19
	v_cmpx_ne_u16_e32 0, v6
	s_cbranch_execz .LBB273_873
; %bb.866:                              ;   in Loop: Header=BB273_543 Depth=1
	v_bfrev_b32_e32 v16, 1
	v_mov_b32_e32 v17, 0
	s_mov_b32 s12, exec_lo
	v_cmpx_ne_u16_e32 0x80, v6
	s_cbranch_execz .LBB273_872
; %bb.867:                              ;   in Loop: Header=BB273_543 Depth=1
	v_mov_b32_e32 v16, 0x7f800001
	v_bfe_u32 v144, v134, 16, 7
	v_mov_b32_e32 v17, 0
	s_mov_b32 s13, exec_lo
	s_delay_alu instid0(VALU_DEP_2)
	v_cmpx_ne_u32_e32 0x7f, v144
	s_cbranch_execz .LBB273_871
; %bb.868:                              ;   in Loop: Header=BB273_543 Depth=1
	v_and_b32_e32 v6, 7, v135
	v_lshrrev_b32_e32 v16, 3, v144
	s_mov_b32 s15, exec_lo
	v_cmpx_gt_u32_e32 8, v144
; %bb.869:                              ;   in Loop: Header=BB273_543 Depth=1
	s_delay_alu instid0(VALU_DEP_3) | instskip(NEXT) | instid1(VALU_DEP_1)
	v_clz_i32_u32_e32 v16, v6
	v_min_u32_e32 v16, 32, v16
	s_delay_alu instid0(VALU_DEP_1) | instskip(SKIP_1) | instid1(VALU_DEP_2)
	v_subrev_nc_u32_e32 v17, 28, v16
	v_sub_nc_u32_e32 v16, 29, v16
	v_lshlrev_b64 v[144:145], v17, v[6:7]
	s_delay_alu instid0(VALU_DEP_1)
	v_and_b32_e32 v6, 7, v144
; %bb.870:                              ;   in Loop: Header=BB273_543 Depth=1
	s_or_b32 exec_lo, exec_lo, s15
	v_lshlrev_b32_e32 v17, 24, v135
	s_delay_alu instid0(VALU_DEP_2) | instskip(SKIP_1) | instid1(VALU_DEP_3)
	v_lshlrev_b32_e32 v6, 20, v6
	v_lshl_add_u32 v16, v16, 23, 0x3c000000
	v_and_b32_e32 v17, 0x80000000, v17
	s_delay_alu instid0(VALU_DEP_1) | instskip(NEXT) | instid1(VALU_DEP_1)
	v_or3_b32 v6, v6, v17, v16
	v_dual_mov_b32 v17, v7 :: v_dual_mov_b32 v16, v6
.LBB273_871:                            ;   in Loop: Header=BB273_543 Depth=1
	s_or_b32 exec_lo, exec_lo, s13
.LBB273_872:                            ;   in Loop: Header=BB273_543 Depth=1
	s_delay_alu instid0(SALU_CYCLE_1)
	s_or_b32 exec_lo, exec_lo, s12
.LBB273_873:                            ;   in Loop: Header=BB273_543 Depth=1
	s_delay_alu instid0(SALU_CYCLE_1) | instskip(NEXT) | instid1(SALU_CYCLE_1)
	s_or_b32 exec_lo, exec_lo, s10
	s_mov_b32 s12, exec_lo
	v_cmpx_lt_u32_e32 0xffffff, v134
	s_cbranch_execz .LBB273_881
; %bb.874:                              ;   in Loop: Header=BB273_543 Depth=1
	v_lshrrev_b32_e32 v135, 24, v134
	v_dual_mov_b32 v19, s9 :: v_dual_mov_b32 v18, s8
	s_mov_b32 s13, exec_lo
	s_delay_alu instid0(VALU_DEP_2)
	v_cmpx_ne_u32_e32 0x80, v135
	s_cbranch_execz .LBB273_880
; %bb.875:                              ;   in Loop: Header=BB273_543 Depth=1
	s_mov_b32 s10, s8
	v_bfe_u32 v134, v134, 24, 7
	v_dual_mov_b32 v19, s11 :: v_dual_mov_b32 v18, s10
	s_mov_b32 s10, exec_lo
	s_delay_alu instid0(VALU_DEP_2)
	v_cmpx_ne_u32_e32 0x7f, v134
	s_cbranch_execz .LBB273_879
; %bb.876:                              ;   in Loop: Header=BB273_543 Depth=1
	v_and_b32_e32 v6, 7, v135
	v_lshrrev_b32_e32 v18, 3, v134
	s_mov_b32 s15, exec_lo
	v_cmpx_gt_u32_e32 8, v134
; %bb.877:                              ;   in Loop: Header=BB273_543 Depth=1
	s_delay_alu instid0(VALU_DEP_3) | instskip(NEXT) | instid1(VALU_DEP_1)
	v_clz_i32_u32_e32 v18, v6
	v_min_u32_e32 v18, 32, v18
	s_delay_alu instid0(VALU_DEP_1) | instskip(SKIP_1) | instid1(VALU_DEP_2)
	v_subrev_nc_u32_e32 v19, 28, v18
	v_sub_nc_u32_e32 v18, 29, v18
	v_lshlrev_b64 v[144:145], v19, v[6:7]
	s_delay_alu instid0(VALU_DEP_1)
	v_and_b32_e32 v6, 7, v144
; %bb.878:                              ;   in Loop: Header=BB273_543 Depth=1
	s_or_b32 exec_lo, exec_lo, s15
	v_lshlrev_b32_e32 v19, 24, v135
	s_delay_alu instid0(VALU_DEP_2) | instskip(SKIP_1) | instid1(VALU_DEP_3)
	v_lshlrev_b32_e32 v6, 20, v6
	v_lshl_add_u32 v18, v18, 23, 0x3c000000
	v_and_b32_e32 v19, 0x80000000, v19
	s_delay_alu instid0(VALU_DEP_1)
	v_or3_b32 v19, v6, v19, v18
	v_mov_b32_e32 v18, v7
.LBB273_879:                            ;   in Loop: Header=BB273_543 Depth=1
	s_or_b32 exec_lo, exec_lo, s10
.LBB273_880:                            ;   in Loop: Header=BB273_543 Depth=1
	s_delay_alu instid0(SALU_CYCLE_1)
	s_or_b32 exec_lo, exec_lo, s13
.LBB273_881:                            ;   in Loop: Header=BB273_543 Depth=1
	s_delay_alu instid0(SALU_CYCLE_1) | instskip(SKIP_4) | instid1(VALU_DEP_3)
	s_or_b32 exec_lo, exec_lo, s12
	v_or_b32_e32 v5, v15, v5
	v_or_b32_e32 v4, v14, v4
	;; [unrolled: 1-line block ×4, first 2 shown]
	v_dual_mul_f32 v145, v54, v5 :: v_dual_mul_f32 v144, v52, v4
	s_delay_alu instid0(VALU_DEP_3) | instskip(NEXT) | instid1(VALU_DEP_3)
	v_mul_f32_e32 v134, v54, v6
	v_mul_f32_e32 v135, v52, v14
	s_and_saveexec_b32 s10, vcc_lo
; %bb.882:                              ;   in Loop: Header=BB273_543 Depth=1
	v_cmp_lt_i32_e64 s0, v67, v30
	s_delay_alu instid0(VALU_DEP_1) | instskip(SKIP_1) | instid1(VALU_DEP_1)
	v_cndmask_b32_e64 v144, 0, v144, s0
	v_cmp_lt_i32_e64 s0, v69, v30
	v_cndmask_b32_e64 v145, 0, v145, s0
	v_cmp_lt_i32_e64 s0, v68, v30
	s_delay_alu instid0(VALU_DEP_1) | instskip(SKIP_1) | instid1(VALU_DEP_1)
	v_cndmask_b32_e64 v135, 0, v135, s0
	v_cmp_lt_i32_e64 s0, v21, v30
	v_cndmask_b32_e64 v134, 0, v134, s0
; %bb.883:                              ;   in Loop: Header=BB273_543 Depth=1
	s_or_b32 exec_lo, exec_lo, s10
	flat_load_b32 v146, v[12:13] offset:1280
	v_mov_b32_e32 v14, 0
	v_mov_b32_e32 v15, 0
	s_mov_b32 s10, exec_lo
	s_waitcnt vmcnt(0) lgkmcnt(0)
	v_and_b32_e32 v6, 0xff, v146
	s_delay_alu instid0(VALU_DEP_2) | instskip(NEXT) | instid1(VALU_DEP_2)
	v_dual_mov_b32 v4, v14 :: v_dual_mov_b32 v5, v15
	v_cmpx_ne_u16_e32 0, v6
	s_cbranch_execz .LBB273_891
; %bb.884:                              ;   in Loop: Header=BB273_543 Depth=1
	v_bfrev_b32_e32 v4, 1
	v_mov_b32_e32 v5, 0
	s_mov_b32 s12, exec_lo
	v_cmpx_ne_u16_e32 0x80, v6
	s_cbranch_execz .LBB273_890
; %bb.885:                              ;   in Loop: Header=BB273_543 Depth=1
	v_mov_b32_e32 v4, 0x7f800001
	v_dual_mov_b32 v5, 0 :: v_dual_and_b32 v16, 0x7f, v146
	s_mov_b32 s13, exec_lo
	s_delay_alu instid0(VALU_DEP_1)
	v_cmpx_ne_u32_e32 0x7f, v16
	s_cbranch_execz .LBB273_889
; %bb.886:                              ;   in Loop: Header=BB273_543 Depth=1
	v_and_b32_e32 v6, 7, v146
	v_lshrrev_b32_e32 v4, 3, v16
	s_mov_b32 s15, exec_lo
	v_cmpx_gt_u32_e32 8, v16
; %bb.887:                              ;   in Loop: Header=BB273_543 Depth=1
	s_delay_alu instid0(VALU_DEP_3) | instskip(NEXT) | instid1(VALU_DEP_1)
	v_clz_i32_u32_e32 v4, v6
	v_min_u32_e32 v4, 32, v4
	s_delay_alu instid0(VALU_DEP_1) | instskip(SKIP_1) | instid1(VALU_DEP_2)
	v_subrev_nc_u32_e32 v5, 28, v4
	v_sub_nc_u32_e32 v4, 29, v4
	v_lshlrev_b64 v[5:6], v5, v[6:7]
	s_delay_alu instid0(VALU_DEP_1)
	v_and_b32_e32 v6, 7, v5
; %bb.888:                              ;   in Loop: Header=BB273_543 Depth=1
	s_or_b32 exec_lo, exec_lo, s15
	v_lshlrev_b32_e32 v5, 24, v146
	s_delay_alu instid0(VALU_DEP_2) | instskip(SKIP_1) | instid1(VALU_DEP_3)
	v_lshlrev_b32_e32 v6, 20, v6
	v_lshl_add_u32 v4, v4, 23, 0x3c000000
	v_and_b32_e32 v5, 0x80000000, v5
	s_delay_alu instid0(VALU_DEP_1) | instskip(NEXT) | instid1(VALU_DEP_1)
	v_or3_b32 v6, v6, v5, v4
	v_dual_mov_b32 v4, v6 :: v_dual_mov_b32 v5, v7
.LBB273_889:                            ;   in Loop: Header=BB273_543 Depth=1
	s_or_b32 exec_lo, exec_lo, s13
.LBB273_890:                            ;   in Loop: Header=BB273_543 Depth=1
	s_delay_alu instid0(SALU_CYCLE_1)
	s_or_b32 exec_lo, exec_lo, s12
.LBB273_891:                            ;   in Loop: Header=BB273_543 Depth=1
	s_delay_alu instid0(SALU_CYCLE_1) | instskip(SKIP_2) | instid1(VALU_DEP_1)
	s_or_b32 exec_lo, exec_lo, s10
	v_lshrrev_b16 v6, 8, v146
	s_mov_b32 s12, exec_lo
	v_cmpx_ne_u16_e32 0, v6
	s_cbranch_execz .LBB273_899
; %bb.892:                              ;   in Loop: Header=BB273_543 Depth=1
	v_dual_mov_b32 v15, s9 :: v_dual_mov_b32 v14, s8
	s_mov_b32 s13, exec_lo
	v_cmpx_ne_u16_e32 0x80, v6
	s_cbranch_execz .LBB273_898
; %bb.893:                              ;   in Loop: Header=BB273_543 Depth=1
	s_mov_b32 s10, s8
	v_dual_mov_b32 v15, s11 :: v_dual_and_b32 v6, 0xffff, v6
	v_mov_b32_e32 v14, s10
	s_mov_b32 s10, exec_lo
	s_delay_alu instid0(VALU_DEP_2) | instskip(NEXT) | instid1(VALU_DEP_1)
	v_and_b32_e32 v16, 0x7f, v6
	v_cmpx_ne_u32_e32 0x7f, v16
	s_cbranch_execz .LBB273_897
; %bb.894:                              ;   in Loop: Header=BB273_543 Depth=1
	v_and_b32_e32 v6, 7, v6
	v_lshrrev_b32_e32 v14, 3, v16
	s_mov_b32 s15, exec_lo
	v_cmpx_gt_u32_e32 8, v16
; %bb.895:                              ;   in Loop: Header=BB273_543 Depth=1
	s_delay_alu instid0(VALU_DEP_3) | instskip(NEXT) | instid1(VALU_DEP_1)
	v_clz_i32_u32_e32 v14, v6
	v_min_u32_e32 v14, 32, v14
	s_delay_alu instid0(VALU_DEP_1) | instskip(SKIP_1) | instid1(VALU_DEP_2)
	v_subrev_nc_u32_e32 v15, 28, v14
	v_sub_nc_u32_e32 v14, 29, v14
	v_lshlrev_b64 v[15:16], v15, v[6:7]
	s_delay_alu instid0(VALU_DEP_1)
	v_and_b32_e32 v6, 7, v15
; %bb.896:                              ;   in Loop: Header=BB273_543 Depth=1
	s_or_b32 exec_lo, exec_lo, s15
	v_lshlrev_b32_e32 v15, 16, v146
	s_delay_alu instid0(VALU_DEP_2) | instskip(SKIP_1) | instid1(VALU_DEP_3)
	v_lshlrev_b32_e32 v6, 20, v6
	v_lshl_add_u32 v14, v14, 23, 0x3c000000
	v_and_b32_e32 v15, 0x80000000, v15
	s_delay_alu instid0(VALU_DEP_1)
	v_or3_b32 v15, v6, v15, v14
	v_mov_b32_e32 v14, v7
.LBB273_897:                            ;   in Loop: Header=BB273_543 Depth=1
	s_or_b32 exec_lo, exec_lo, s10
.LBB273_898:                            ;   in Loop: Header=BB273_543 Depth=1
	s_delay_alu instid0(SALU_CYCLE_1)
	s_or_b32 exec_lo, exec_lo, s13
.LBB273_899:                            ;   in Loop: Header=BB273_543 Depth=1
	s_delay_alu instid0(SALU_CYCLE_1) | instskip(SKIP_4) | instid1(VALU_DEP_2)
	s_or_b32 exec_lo, exec_lo, s12
	v_mov_b32_e32 v18, 0
	v_lshrrev_b32_e32 v147, 16, v146
	v_mov_b32_e32 v19, 0
	s_mov_b32 s10, exec_lo
	v_and_b32_e32 v6, 0xff, v147
	s_delay_alu instid0(VALU_DEP_2) | instskip(NEXT) | instid1(VALU_DEP_2)
	v_dual_mov_b32 v16, v18 :: v_dual_mov_b32 v17, v19
	v_cmpx_ne_u16_e32 0, v6
	s_cbranch_execz .LBB273_907
; %bb.900:                              ;   in Loop: Header=BB273_543 Depth=1
	v_bfrev_b32_e32 v16, 1
	v_mov_b32_e32 v17, 0
	s_mov_b32 s12, exec_lo
	v_cmpx_ne_u16_e32 0x80, v6
	s_cbranch_execz .LBB273_906
; %bb.901:                              ;   in Loop: Header=BB273_543 Depth=1
	v_mov_b32_e32 v16, 0x7f800001
	v_bfe_u32 v148, v146, 16, 7
	v_mov_b32_e32 v17, 0
	s_mov_b32 s13, exec_lo
	s_delay_alu instid0(VALU_DEP_2)
	v_cmpx_ne_u32_e32 0x7f, v148
	s_cbranch_execz .LBB273_905
; %bb.902:                              ;   in Loop: Header=BB273_543 Depth=1
	v_and_b32_e32 v6, 7, v147
	v_lshrrev_b32_e32 v16, 3, v148
	s_mov_b32 s15, exec_lo
	v_cmpx_gt_u32_e32 8, v148
; %bb.903:                              ;   in Loop: Header=BB273_543 Depth=1
	s_delay_alu instid0(VALU_DEP_3) | instskip(NEXT) | instid1(VALU_DEP_1)
	v_clz_i32_u32_e32 v16, v6
	v_min_u32_e32 v16, 32, v16
	s_delay_alu instid0(VALU_DEP_1) | instskip(SKIP_1) | instid1(VALU_DEP_2)
	v_subrev_nc_u32_e32 v17, 28, v16
	v_sub_nc_u32_e32 v16, 29, v16
	v_lshlrev_b64 v[148:149], v17, v[6:7]
	s_delay_alu instid0(VALU_DEP_1)
	v_and_b32_e32 v6, 7, v148
; %bb.904:                              ;   in Loop: Header=BB273_543 Depth=1
	s_or_b32 exec_lo, exec_lo, s15
	v_lshlrev_b32_e32 v17, 24, v147
	s_delay_alu instid0(VALU_DEP_2) | instskip(SKIP_1) | instid1(VALU_DEP_3)
	v_lshlrev_b32_e32 v6, 20, v6
	v_lshl_add_u32 v16, v16, 23, 0x3c000000
	v_and_b32_e32 v17, 0x80000000, v17
	s_delay_alu instid0(VALU_DEP_1) | instskip(NEXT) | instid1(VALU_DEP_1)
	v_or3_b32 v6, v6, v17, v16
	v_dual_mov_b32 v17, v7 :: v_dual_mov_b32 v16, v6
.LBB273_905:                            ;   in Loop: Header=BB273_543 Depth=1
	s_or_b32 exec_lo, exec_lo, s13
.LBB273_906:                            ;   in Loop: Header=BB273_543 Depth=1
	s_delay_alu instid0(SALU_CYCLE_1)
	s_or_b32 exec_lo, exec_lo, s12
.LBB273_907:                            ;   in Loop: Header=BB273_543 Depth=1
	s_delay_alu instid0(SALU_CYCLE_1) | instskip(NEXT) | instid1(SALU_CYCLE_1)
	s_or_b32 exec_lo, exec_lo, s10
	s_mov_b32 s12, exec_lo
	v_cmpx_lt_u32_e32 0xffffff, v146
	s_cbranch_execz .LBB273_915
; %bb.908:                              ;   in Loop: Header=BB273_543 Depth=1
	v_lshrrev_b32_e32 v147, 24, v146
	v_dual_mov_b32 v19, s9 :: v_dual_mov_b32 v18, s8
	s_mov_b32 s13, exec_lo
	s_delay_alu instid0(VALU_DEP_2)
	v_cmpx_ne_u32_e32 0x80, v147
	s_cbranch_execz .LBB273_914
; %bb.909:                              ;   in Loop: Header=BB273_543 Depth=1
	s_mov_b32 s10, s8
	v_bfe_u32 v146, v146, 24, 7
	v_dual_mov_b32 v19, s11 :: v_dual_mov_b32 v18, s10
	s_mov_b32 s10, exec_lo
	s_delay_alu instid0(VALU_DEP_2)
	v_cmpx_ne_u32_e32 0x7f, v146
	s_cbranch_execz .LBB273_913
; %bb.910:                              ;   in Loop: Header=BB273_543 Depth=1
	v_and_b32_e32 v6, 7, v147
	v_lshrrev_b32_e32 v18, 3, v146
	s_mov_b32 s15, exec_lo
	v_cmpx_gt_u32_e32 8, v146
; %bb.911:                              ;   in Loop: Header=BB273_543 Depth=1
	s_delay_alu instid0(VALU_DEP_3) | instskip(NEXT) | instid1(VALU_DEP_1)
	v_clz_i32_u32_e32 v18, v6
	v_min_u32_e32 v18, 32, v18
	s_delay_alu instid0(VALU_DEP_1) | instskip(SKIP_1) | instid1(VALU_DEP_2)
	v_subrev_nc_u32_e32 v19, 28, v18
	v_sub_nc_u32_e32 v18, 29, v18
	v_lshlrev_b64 v[148:149], v19, v[6:7]
	s_delay_alu instid0(VALU_DEP_1)
	v_and_b32_e32 v6, 7, v148
; %bb.912:                              ;   in Loop: Header=BB273_543 Depth=1
	s_or_b32 exec_lo, exec_lo, s15
	v_lshlrev_b32_e32 v19, 24, v147
	s_delay_alu instid0(VALU_DEP_2) | instskip(SKIP_1) | instid1(VALU_DEP_3)
	v_lshlrev_b32_e32 v6, 20, v6
	v_lshl_add_u32 v18, v18, 23, 0x3c000000
	v_and_b32_e32 v19, 0x80000000, v19
	s_delay_alu instid0(VALU_DEP_1)
	v_or3_b32 v19, v6, v19, v18
	v_mov_b32_e32 v18, v7
.LBB273_913:                            ;   in Loop: Header=BB273_543 Depth=1
	s_or_b32 exec_lo, exec_lo, s10
.LBB273_914:                            ;   in Loop: Header=BB273_543 Depth=1
	s_delay_alu instid0(SALU_CYCLE_1)
	s_or_b32 exec_lo, exec_lo, s13
.LBB273_915:                            ;   in Loop: Header=BB273_543 Depth=1
	s_delay_alu instid0(SALU_CYCLE_1) | instskip(SKIP_4) | instid1(VALU_DEP_3)
	s_or_b32 exec_lo, exec_lo, s12
	v_or_b32_e32 v5, v15, v5
	v_or_b32_e32 v4, v14, v4
	;; [unrolled: 1-line block ×4, first 2 shown]
	v_dual_mul_f32 v149, v54, v5 :: v_dual_mul_f32 v148, v52, v4
	s_delay_alu instid0(VALU_DEP_3) | instskip(NEXT) | instid1(VALU_DEP_3)
	v_mul_f32_e32 v146, v54, v6
	v_mul_f32_e32 v147, v52, v14
	s_and_saveexec_b32 s10, vcc_lo
; %bb.916:                              ;   in Loop: Header=BB273_543 Depth=1
	v_cmp_lt_i32_e64 s0, v67, v30
	s_delay_alu instid0(VALU_DEP_1) | instskip(SKIP_1) | instid1(VALU_DEP_1)
	v_cndmask_b32_e64 v148, 0, v148, s0
	v_cmp_lt_i32_e64 s0, v69, v30
	v_cndmask_b32_e64 v149, 0, v149, s0
	v_cmp_lt_i32_e64 s0, v68, v30
	s_delay_alu instid0(VALU_DEP_1) | instskip(SKIP_1) | instid1(VALU_DEP_1)
	v_cndmask_b32_e64 v147, 0, v147, s0
	v_cmp_lt_i32_e64 s0, v21, v30
	v_cndmask_b32_e64 v146, 0, v146, s0
; %bb.917:                              ;   in Loop: Header=BB273_543 Depth=1
	s_or_b32 exec_lo, exec_lo, s10
	flat_load_b32 v150, v[12:13] offset:1408
	v_mov_b32_e32 v14, 0
	v_mov_b32_e32 v15, 0
	s_mov_b32 s10, exec_lo
	s_waitcnt vmcnt(0) lgkmcnt(0)
	v_and_b32_e32 v6, 0xff, v150
	s_delay_alu instid0(VALU_DEP_2) | instskip(NEXT) | instid1(VALU_DEP_2)
	v_dual_mov_b32 v4, v14 :: v_dual_mov_b32 v5, v15
	v_cmpx_ne_u16_e32 0, v6
	s_cbranch_execz .LBB273_925
; %bb.918:                              ;   in Loop: Header=BB273_543 Depth=1
	v_bfrev_b32_e32 v4, 1
	v_mov_b32_e32 v5, 0
	s_mov_b32 s12, exec_lo
	v_cmpx_ne_u16_e32 0x80, v6
	s_cbranch_execz .LBB273_924
; %bb.919:                              ;   in Loop: Header=BB273_543 Depth=1
	v_mov_b32_e32 v4, 0x7f800001
	v_dual_mov_b32 v5, 0 :: v_dual_and_b32 v16, 0x7f, v150
	s_mov_b32 s13, exec_lo
	s_delay_alu instid0(VALU_DEP_1)
	v_cmpx_ne_u32_e32 0x7f, v16
	s_cbranch_execz .LBB273_923
; %bb.920:                              ;   in Loop: Header=BB273_543 Depth=1
	v_and_b32_e32 v6, 7, v150
	v_lshrrev_b32_e32 v4, 3, v16
	s_mov_b32 s15, exec_lo
	v_cmpx_gt_u32_e32 8, v16
; %bb.921:                              ;   in Loop: Header=BB273_543 Depth=1
	s_delay_alu instid0(VALU_DEP_3) | instskip(NEXT) | instid1(VALU_DEP_1)
	v_clz_i32_u32_e32 v4, v6
	v_min_u32_e32 v4, 32, v4
	s_delay_alu instid0(VALU_DEP_1) | instskip(SKIP_1) | instid1(VALU_DEP_2)
	v_subrev_nc_u32_e32 v5, 28, v4
	v_sub_nc_u32_e32 v4, 29, v4
	v_lshlrev_b64 v[5:6], v5, v[6:7]
	s_delay_alu instid0(VALU_DEP_1)
	v_and_b32_e32 v6, 7, v5
; %bb.922:                              ;   in Loop: Header=BB273_543 Depth=1
	s_or_b32 exec_lo, exec_lo, s15
	v_lshlrev_b32_e32 v5, 24, v150
	s_delay_alu instid0(VALU_DEP_2) | instskip(SKIP_1) | instid1(VALU_DEP_3)
	v_lshlrev_b32_e32 v6, 20, v6
	v_lshl_add_u32 v4, v4, 23, 0x3c000000
	v_and_b32_e32 v5, 0x80000000, v5
	s_delay_alu instid0(VALU_DEP_1) | instskip(NEXT) | instid1(VALU_DEP_1)
	v_or3_b32 v6, v6, v5, v4
	v_dual_mov_b32 v4, v6 :: v_dual_mov_b32 v5, v7
.LBB273_923:                            ;   in Loop: Header=BB273_543 Depth=1
	s_or_b32 exec_lo, exec_lo, s13
.LBB273_924:                            ;   in Loop: Header=BB273_543 Depth=1
	s_delay_alu instid0(SALU_CYCLE_1)
	s_or_b32 exec_lo, exec_lo, s12
.LBB273_925:                            ;   in Loop: Header=BB273_543 Depth=1
	s_delay_alu instid0(SALU_CYCLE_1) | instskip(SKIP_2) | instid1(VALU_DEP_1)
	s_or_b32 exec_lo, exec_lo, s10
	v_lshrrev_b16 v6, 8, v150
	s_mov_b32 s12, exec_lo
	v_cmpx_ne_u16_e32 0, v6
	s_cbranch_execz .LBB273_933
; %bb.926:                              ;   in Loop: Header=BB273_543 Depth=1
	v_dual_mov_b32 v15, s9 :: v_dual_mov_b32 v14, s8
	s_mov_b32 s13, exec_lo
	v_cmpx_ne_u16_e32 0x80, v6
	s_cbranch_execz .LBB273_932
; %bb.927:                              ;   in Loop: Header=BB273_543 Depth=1
	s_mov_b32 s10, s8
	v_dual_mov_b32 v15, s11 :: v_dual_and_b32 v6, 0xffff, v6
	v_mov_b32_e32 v14, s10
	s_mov_b32 s10, exec_lo
	s_delay_alu instid0(VALU_DEP_2) | instskip(NEXT) | instid1(VALU_DEP_1)
	v_and_b32_e32 v16, 0x7f, v6
	v_cmpx_ne_u32_e32 0x7f, v16
	s_cbranch_execz .LBB273_931
; %bb.928:                              ;   in Loop: Header=BB273_543 Depth=1
	v_and_b32_e32 v6, 7, v6
	v_lshrrev_b32_e32 v14, 3, v16
	s_mov_b32 s15, exec_lo
	v_cmpx_gt_u32_e32 8, v16
; %bb.929:                              ;   in Loop: Header=BB273_543 Depth=1
	s_delay_alu instid0(VALU_DEP_3) | instskip(NEXT) | instid1(VALU_DEP_1)
	v_clz_i32_u32_e32 v14, v6
	v_min_u32_e32 v14, 32, v14
	s_delay_alu instid0(VALU_DEP_1) | instskip(SKIP_1) | instid1(VALU_DEP_2)
	v_subrev_nc_u32_e32 v15, 28, v14
	v_sub_nc_u32_e32 v14, 29, v14
	v_lshlrev_b64 v[15:16], v15, v[6:7]
	s_delay_alu instid0(VALU_DEP_1)
	v_and_b32_e32 v6, 7, v15
; %bb.930:                              ;   in Loop: Header=BB273_543 Depth=1
	s_or_b32 exec_lo, exec_lo, s15
	v_lshlrev_b32_e32 v15, 16, v150
	s_delay_alu instid0(VALU_DEP_2) | instskip(SKIP_1) | instid1(VALU_DEP_3)
	v_lshlrev_b32_e32 v6, 20, v6
	v_lshl_add_u32 v14, v14, 23, 0x3c000000
	v_and_b32_e32 v15, 0x80000000, v15
	s_delay_alu instid0(VALU_DEP_1)
	v_or3_b32 v15, v6, v15, v14
	v_mov_b32_e32 v14, v7
.LBB273_931:                            ;   in Loop: Header=BB273_543 Depth=1
	s_or_b32 exec_lo, exec_lo, s10
.LBB273_932:                            ;   in Loop: Header=BB273_543 Depth=1
	s_delay_alu instid0(SALU_CYCLE_1)
	s_or_b32 exec_lo, exec_lo, s13
.LBB273_933:                            ;   in Loop: Header=BB273_543 Depth=1
	s_delay_alu instid0(SALU_CYCLE_1) | instskip(SKIP_4) | instid1(VALU_DEP_2)
	s_or_b32 exec_lo, exec_lo, s12
	v_mov_b32_e32 v18, 0
	v_lshrrev_b32_e32 v151, 16, v150
	v_mov_b32_e32 v19, 0
	s_mov_b32 s10, exec_lo
	v_and_b32_e32 v6, 0xff, v151
	s_delay_alu instid0(VALU_DEP_2) | instskip(NEXT) | instid1(VALU_DEP_2)
	v_dual_mov_b32 v16, v18 :: v_dual_mov_b32 v17, v19
	v_cmpx_ne_u16_e32 0, v6
	s_cbranch_execz .LBB273_941
; %bb.934:                              ;   in Loop: Header=BB273_543 Depth=1
	v_bfrev_b32_e32 v16, 1
	v_mov_b32_e32 v17, 0
	s_mov_b32 s12, exec_lo
	v_cmpx_ne_u16_e32 0x80, v6
	s_cbranch_execz .LBB273_940
; %bb.935:                              ;   in Loop: Header=BB273_543 Depth=1
	v_mov_b32_e32 v16, 0x7f800001
	v_bfe_u32 v160, v150, 16, 7
	v_mov_b32_e32 v17, 0
	s_mov_b32 s13, exec_lo
	s_delay_alu instid0(VALU_DEP_2)
	v_cmpx_ne_u32_e32 0x7f, v160
	s_cbranch_execz .LBB273_939
; %bb.936:                              ;   in Loop: Header=BB273_543 Depth=1
	v_and_b32_e32 v6, 7, v151
	v_lshrrev_b32_e32 v16, 3, v160
	s_mov_b32 s15, exec_lo
	v_cmpx_gt_u32_e32 8, v160
; %bb.937:                              ;   in Loop: Header=BB273_543 Depth=1
	s_delay_alu instid0(VALU_DEP_3) | instskip(NEXT) | instid1(VALU_DEP_1)
	v_clz_i32_u32_e32 v16, v6
	v_min_u32_e32 v16, 32, v16
	s_delay_alu instid0(VALU_DEP_1) | instskip(SKIP_1) | instid1(VALU_DEP_2)
	v_subrev_nc_u32_e32 v17, 28, v16
	v_sub_nc_u32_e32 v16, 29, v16
	v_lshlrev_b64 v[160:161], v17, v[6:7]
	s_delay_alu instid0(VALU_DEP_1)
	v_and_b32_e32 v6, 7, v160
; %bb.938:                              ;   in Loop: Header=BB273_543 Depth=1
	s_or_b32 exec_lo, exec_lo, s15
	v_lshlrev_b32_e32 v17, 24, v151
	s_delay_alu instid0(VALU_DEP_2) | instskip(SKIP_1) | instid1(VALU_DEP_3)
	v_lshlrev_b32_e32 v6, 20, v6
	v_lshl_add_u32 v16, v16, 23, 0x3c000000
	v_and_b32_e32 v17, 0x80000000, v17
	s_delay_alu instid0(VALU_DEP_1) | instskip(NEXT) | instid1(VALU_DEP_1)
	v_or3_b32 v6, v6, v17, v16
	v_dual_mov_b32 v17, v7 :: v_dual_mov_b32 v16, v6
.LBB273_939:                            ;   in Loop: Header=BB273_543 Depth=1
	s_or_b32 exec_lo, exec_lo, s13
.LBB273_940:                            ;   in Loop: Header=BB273_543 Depth=1
	s_delay_alu instid0(SALU_CYCLE_1)
	s_or_b32 exec_lo, exec_lo, s12
.LBB273_941:                            ;   in Loop: Header=BB273_543 Depth=1
	s_delay_alu instid0(SALU_CYCLE_1) | instskip(NEXT) | instid1(SALU_CYCLE_1)
	s_or_b32 exec_lo, exec_lo, s10
	s_mov_b32 s12, exec_lo
	v_cmpx_lt_u32_e32 0xffffff, v150
	s_cbranch_execz .LBB273_949
; %bb.942:                              ;   in Loop: Header=BB273_543 Depth=1
	v_lshrrev_b32_e32 v151, 24, v150
	v_dual_mov_b32 v19, s9 :: v_dual_mov_b32 v18, s8
	s_mov_b32 s13, exec_lo
	s_delay_alu instid0(VALU_DEP_2)
	v_cmpx_ne_u32_e32 0x80, v151
	s_cbranch_execz .LBB273_948
; %bb.943:                              ;   in Loop: Header=BB273_543 Depth=1
	s_mov_b32 s10, s8
	v_bfe_u32 v150, v150, 24, 7
	v_dual_mov_b32 v19, s11 :: v_dual_mov_b32 v18, s10
	s_mov_b32 s10, exec_lo
	s_delay_alu instid0(VALU_DEP_2)
	v_cmpx_ne_u32_e32 0x7f, v150
	s_cbranch_execz .LBB273_947
; %bb.944:                              ;   in Loop: Header=BB273_543 Depth=1
	v_and_b32_e32 v6, 7, v151
	v_lshrrev_b32_e32 v18, 3, v150
	s_mov_b32 s15, exec_lo
	v_cmpx_gt_u32_e32 8, v150
; %bb.945:                              ;   in Loop: Header=BB273_543 Depth=1
	s_delay_alu instid0(VALU_DEP_3) | instskip(NEXT) | instid1(VALU_DEP_1)
	v_clz_i32_u32_e32 v18, v6
	v_min_u32_e32 v18, 32, v18
	s_delay_alu instid0(VALU_DEP_1) | instskip(SKIP_1) | instid1(VALU_DEP_2)
	v_subrev_nc_u32_e32 v19, 28, v18
	v_sub_nc_u32_e32 v18, 29, v18
	v_lshlrev_b64 v[160:161], v19, v[6:7]
	s_delay_alu instid0(VALU_DEP_1)
	v_and_b32_e32 v6, 7, v160
; %bb.946:                              ;   in Loop: Header=BB273_543 Depth=1
	s_or_b32 exec_lo, exec_lo, s15
	v_lshlrev_b32_e32 v19, 24, v151
	s_delay_alu instid0(VALU_DEP_2) | instskip(SKIP_1) | instid1(VALU_DEP_3)
	v_lshlrev_b32_e32 v6, 20, v6
	v_lshl_add_u32 v18, v18, 23, 0x3c000000
	v_and_b32_e32 v19, 0x80000000, v19
	s_delay_alu instid0(VALU_DEP_1)
	v_or3_b32 v19, v6, v19, v18
	v_mov_b32_e32 v18, v7
.LBB273_947:                            ;   in Loop: Header=BB273_543 Depth=1
	s_or_b32 exec_lo, exec_lo, s10
.LBB273_948:                            ;   in Loop: Header=BB273_543 Depth=1
	s_delay_alu instid0(SALU_CYCLE_1)
	s_or_b32 exec_lo, exec_lo, s13
.LBB273_949:                            ;   in Loop: Header=BB273_543 Depth=1
	s_delay_alu instid0(SALU_CYCLE_1) | instskip(SKIP_4) | instid1(VALU_DEP_3)
	s_or_b32 exec_lo, exec_lo, s12
	v_or_b32_e32 v5, v15, v5
	v_or_b32_e32 v4, v14, v4
	;; [unrolled: 1-line block ×4, first 2 shown]
	v_dual_mul_f32 v161, v54, v5 :: v_dual_mul_f32 v160, v52, v4
	s_delay_alu instid0(VALU_DEP_3) | instskip(NEXT) | instid1(VALU_DEP_3)
	v_mul_f32_e32 v150, v54, v6
	v_mul_f32_e32 v151, v52, v14
	s_and_saveexec_b32 s10, vcc_lo
; %bb.950:                              ;   in Loop: Header=BB273_543 Depth=1
	v_cmp_lt_i32_e64 s0, v67, v30
	s_delay_alu instid0(VALU_DEP_1) | instskip(SKIP_1) | instid1(VALU_DEP_1)
	v_cndmask_b32_e64 v160, 0, v160, s0
	v_cmp_lt_i32_e64 s0, v69, v30
	v_cndmask_b32_e64 v161, 0, v161, s0
	v_cmp_lt_i32_e64 s0, v68, v30
	s_delay_alu instid0(VALU_DEP_1) | instskip(SKIP_1) | instid1(VALU_DEP_1)
	v_cndmask_b32_e64 v151, 0, v151, s0
	v_cmp_lt_i32_e64 s0, v21, v30
	v_cndmask_b32_e64 v150, 0, v150, s0
; %bb.951:                              ;   in Loop: Header=BB273_543 Depth=1
	s_or_b32 exec_lo, exec_lo, s10
	flat_load_b32 v162, v[12:13] offset:1536
	v_mov_b32_e32 v14, 0
	v_mov_b32_e32 v15, 0
	s_mov_b32 s10, exec_lo
	s_waitcnt vmcnt(0) lgkmcnt(0)
	v_and_b32_e32 v6, 0xff, v162
	s_delay_alu instid0(VALU_DEP_2) | instskip(NEXT) | instid1(VALU_DEP_2)
	v_dual_mov_b32 v4, v14 :: v_dual_mov_b32 v5, v15
	v_cmpx_ne_u16_e32 0, v6
	s_cbranch_execz .LBB273_959
; %bb.952:                              ;   in Loop: Header=BB273_543 Depth=1
	v_bfrev_b32_e32 v4, 1
	v_mov_b32_e32 v5, 0
	s_mov_b32 s12, exec_lo
	v_cmpx_ne_u16_e32 0x80, v6
	s_cbranch_execz .LBB273_958
; %bb.953:                              ;   in Loop: Header=BB273_543 Depth=1
	v_mov_b32_e32 v4, 0x7f800001
	v_dual_mov_b32 v5, 0 :: v_dual_and_b32 v16, 0x7f, v162
	s_mov_b32 s13, exec_lo
	s_delay_alu instid0(VALU_DEP_1)
	v_cmpx_ne_u32_e32 0x7f, v16
	s_cbranch_execz .LBB273_957
; %bb.954:                              ;   in Loop: Header=BB273_543 Depth=1
	v_and_b32_e32 v6, 7, v162
	v_lshrrev_b32_e32 v4, 3, v16
	s_mov_b32 s15, exec_lo
	v_cmpx_gt_u32_e32 8, v16
; %bb.955:                              ;   in Loop: Header=BB273_543 Depth=1
	s_delay_alu instid0(VALU_DEP_3) | instskip(NEXT) | instid1(VALU_DEP_1)
	v_clz_i32_u32_e32 v4, v6
	v_min_u32_e32 v4, 32, v4
	s_delay_alu instid0(VALU_DEP_1) | instskip(SKIP_1) | instid1(VALU_DEP_2)
	v_subrev_nc_u32_e32 v5, 28, v4
	v_sub_nc_u32_e32 v4, 29, v4
	v_lshlrev_b64 v[5:6], v5, v[6:7]
	s_delay_alu instid0(VALU_DEP_1)
	v_and_b32_e32 v6, 7, v5
; %bb.956:                              ;   in Loop: Header=BB273_543 Depth=1
	s_or_b32 exec_lo, exec_lo, s15
	v_lshlrev_b32_e32 v5, 24, v162
	s_delay_alu instid0(VALU_DEP_2) | instskip(SKIP_1) | instid1(VALU_DEP_3)
	v_lshlrev_b32_e32 v6, 20, v6
	v_lshl_add_u32 v4, v4, 23, 0x3c000000
	v_and_b32_e32 v5, 0x80000000, v5
	s_delay_alu instid0(VALU_DEP_1) | instskip(NEXT) | instid1(VALU_DEP_1)
	v_or3_b32 v6, v6, v5, v4
	v_dual_mov_b32 v4, v6 :: v_dual_mov_b32 v5, v7
.LBB273_957:                            ;   in Loop: Header=BB273_543 Depth=1
	s_or_b32 exec_lo, exec_lo, s13
.LBB273_958:                            ;   in Loop: Header=BB273_543 Depth=1
	s_delay_alu instid0(SALU_CYCLE_1)
	s_or_b32 exec_lo, exec_lo, s12
.LBB273_959:                            ;   in Loop: Header=BB273_543 Depth=1
	s_delay_alu instid0(SALU_CYCLE_1) | instskip(SKIP_2) | instid1(VALU_DEP_1)
	s_or_b32 exec_lo, exec_lo, s10
	v_lshrrev_b16 v6, 8, v162
	s_mov_b32 s12, exec_lo
	v_cmpx_ne_u16_e32 0, v6
	s_cbranch_execz .LBB273_967
; %bb.960:                              ;   in Loop: Header=BB273_543 Depth=1
	v_dual_mov_b32 v15, s9 :: v_dual_mov_b32 v14, s8
	s_mov_b32 s13, exec_lo
	v_cmpx_ne_u16_e32 0x80, v6
	s_cbranch_execz .LBB273_966
; %bb.961:                              ;   in Loop: Header=BB273_543 Depth=1
	s_mov_b32 s10, s8
	v_dual_mov_b32 v15, s11 :: v_dual_and_b32 v6, 0xffff, v6
	v_mov_b32_e32 v14, s10
	s_mov_b32 s10, exec_lo
	s_delay_alu instid0(VALU_DEP_2) | instskip(NEXT) | instid1(VALU_DEP_1)
	v_and_b32_e32 v16, 0x7f, v6
	v_cmpx_ne_u32_e32 0x7f, v16
	s_cbranch_execz .LBB273_965
; %bb.962:                              ;   in Loop: Header=BB273_543 Depth=1
	v_and_b32_e32 v6, 7, v6
	v_lshrrev_b32_e32 v14, 3, v16
	s_mov_b32 s15, exec_lo
	v_cmpx_gt_u32_e32 8, v16
; %bb.963:                              ;   in Loop: Header=BB273_543 Depth=1
	s_delay_alu instid0(VALU_DEP_3) | instskip(NEXT) | instid1(VALU_DEP_1)
	v_clz_i32_u32_e32 v14, v6
	v_min_u32_e32 v14, 32, v14
	s_delay_alu instid0(VALU_DEP_1) | instskip(SKIP_1) | instid1(VALU_DEP_2)
	v_subrev_nc_u32_e32 v15, 28, v14
	v_sub_nc_u32_e32 v14, 29, v14
	v_lshlrev_b64 v[15:16], v15, v[6:7]
	s_delay_alu instid0(VALU_DEP_1)
	v_and_b32_e32 v6, 7, v15
; %bb.964:                              ;   in Loop: Header=BB273_543 Depth=1
	s_or_b32 exec_lo, exec_lo, s15
	v_lshlrev_b32_e32 v15, 16, v162
	s_delay_alu instid0(VALU_DEP_2) | instskip(SKIP_1) | instid1(VALU_DEP_3)
	v_lshlrev_b32_e32 v6, 20, v6
	v_lshl_add_u32 v14, v14, 23, 0x3c000000
	v_and_b32_e32 v15, 0x80000000, v15
	s_delay_alu instid0(VALU_DEP_1)
	v_or3_b32 v15, v6, v15, v14
	v_mov_b32_e32 v14, v7
.LBB273_965:                            ;   in Loop: Header=BB273_543 Depth=1
	s_or_b32 exec_lo, exec_lo, s10
.LBB273_966:                            ;   in Loop: Header=BB273_543 Depth=1
	s_delay_alu instid0(SALU_CYCLE_1)
	s_or_b32 exec_lo, exec_lo, s13
.LBB273_967:                            ;   in Loop: Header=BB273_543 Depth=1
	s_delay_alu instid0(SALU_CYCLE_1) | instskip(SKIP_4) | instid1(VALU_DEP_2)
	s_or_b32 exec_lo, exec_lo, s12
	v_mov_b32_e32 v18, 0
	v_lshrrev_b32_e32 v163, 16, v162
	v_mov_b32_e32 v19, 0
	s_mov_b32 s10, exec_lo
	v_and_b32_e32 v6, 0xff, v163
	s_delay_alu instid0(VALU_DEP_2) | instskip(NEXT) | instid1(VALU_DEP_2)
	v_dual_mov_b32 v16, v18 :: v_dual_mov_b32 v17, v19
	v_cmpx_ne_u16_e32 0, v6
	s_cbranch_execz .LBB273_975
; %bb.968:                              ;   in Loop: Header=BB273_543 Depth=1
	v_bfrev_b32_e32 v16, 1
	v_mov_b32_e32 v17, 0
	s_mov_b32 s12, exec_lo
	v_cmpx_ne_u16_e32 0x80, v6
	s_cbranch_execz .LBB273_974
; %bb.969:                              ;   in Loop: Header=BB273_543 Depth=1
	v_mov_b32_e32 v16, 0x7f800001
	v_bfe_u32 v164, v162, 16, 7
	v_mov_b32_e32 v17, 0
	s_mov_b32 s13, exec_lo
	s_delay_alu instid0(VALU_DEP_2)
	v_cmpx_ne_u32_e32 0x7f, v164
	s_cbranch_execz .LBB273_973
; %bb.970:                              ;   in Loop: Header=BB273_543 Depth=1
	v_and_b32_e32 v6, 7, v163
	v_lshrrev_b32_e32 v16, 3, v164
	s_mov_b32 s15, exec_lo
	v_cmpx_gt_u32_e32 8, v164
; %bb.971:                              ;   in Loop: Header=BB273_543 Depth=1
	s_delay_alu instid0(VALU_DEP_3) | instskip(NEXT) | instid1(VALU_DEP_1)
	v_clz_i32_u32_e32 v16, v6
	v_min_u32_e32 v16, 32, v16
	s_delay_alu instid0(VALU_DEP_1) | instskip(SKIP_1) | instid1(VALU_DEP_2)
	v_subrev_nc_u32_e32 v17, 28, v16
	v_sub_nc_u32_e32 v16, 29, v16
	v_lshlrev_b64 v[164:165], v17, v[6:7]
	s_delay_alu instid0(VALU_DEP_1)
	v_and_b32_e32 v6, 7, v164
; %bb.972:                              ;   in Loop: Header=BB273_543 Depth=1
	s_or_b32 exec_lo, exec_lo, s15
	v_lshlrev_b32_e32 v17, 24, v163
	s_delay_alu instid0(VALU_DEP_2) | instskip(SKIP_1) | instid1(VALU_DEP_3)
	v_lshlrev_b32_e32 v6, 20, v6
	v_lshl_add_u32 v16, v16, 23, 0x3c000000
	v_and_b32_e32 v17, 0x80000000, v17
	s_delay_alu instid0(VALU_DEP_1) | instskip(NEXT) | instid1(VALU_DEP_1)
	v_or3_b32 v6, v6, v17, v16
	v_dual_mov_b32 v17, v7 :: v_dual_mov_b32 v16, v6
.LBB273_973:                            ;   in Loop: Header=BB273_543 Depth=1
	s_or_b32 exec_lo, exec_lo, s13
.LBB273_974:                            ;   in Loop: Header=BB273_543 Depth=1
	s_delay_alu instid0(SALU_CYCLE_1)
	s_or_b32 exec_lo, exec_lo, s12
.LBB273_975:                            ;   in Loop: Header=BB273_543 Depth=1
	s_delay_alu instid0(SALU_CYCLE_1) | instskip(NEXT) | instid1(SALU_CYCLE_1)
	s_or_b32 exec_lo, exec_lo, s10
	s_mov_b32 s12, exec_lo
	v_cmpx_lt_u32_e32 0xffffff, v162
	s_cbranch_execz .LBB273_983
; %bb.976:                              ;   in Loop: Header=BB273_543 Depth=1
	v_lshrrev_b32_e32 v163, 24, v162
	v_dual_mov_b32 v19, s9 :: v_dual_mov_b32 v18, s8
	s_mov_b32 s13, exec_lo
	s_delay_alu instid0(VALU_DEP_2)
	v_cmpx_ne_u32_e32 0x80, v163
	s_cbranch_execz .LBB273_982
; %bb.977:                              ;   in Loop: Header=BB273_543 Depth=1
	s_mov_b32 s10, s8
	v_bfe_u32 v162, v162, 24, 7
	v_dual_mov_b32 v19, s11 :: v_dual_mov_b32 v18, s10
	s_mov_b32 s10, exec_lo
	s_delay_alu instid0(VALU_DEP_2)
	v_cmpx_ne_u32_e32 0x7f, v162
	s_cbranch_execz .LBB273_981
; %bb.978:                              ;   in Loop: Header=BB273_543 Depth=1
	v_and_b32_e32 v6, 7, v163
	v_lshrrev_b32_e32 v18, 3, v162
	s_mov_b32 s15, exec_lo
	v_cmpx_gt_u32_e32 8, v162
; %bb.979:                              ;   in Loop: Header=BB273_543 Depth=1
	s_delay_alu instid0(VALU_DEP_3) | instskip(NEXT) | instid1(VALU_DEP_1)
	v_clz_i32_u32_e32 v18, v6
	v_min_u32_e32 v18, 32, v18
	s_delay_alu instid0(VALU_DEP_1) | instskip(SKIP_1) | instid1(VALU_DEP_2)
	v_subrev_nc_u32_e32 v19, 28, v18
	v_sub_nc_u32_e32 v18, 29, v18
	v_lshlrev_b64 v[164:165], v19, v[6:7]
	s_delay_alu instid0(VALU_DEP_1)
	v_and_b32_e32 v6, 7, v164
; %bb.980:                              ;   in Loop: Header=BB273_543 Depth=1
	s_or_b32 exec_lo, exec_lo, s15
	v_lshlrev_b32_e32 v19, 24, v163
	s_delay_alu instid0(VALU_DEP_2) | instskip(SKIP_1) | instid1(VALU_DEP_3)
	v_lshlrev_b32_e32 v6, 20, v6
	v_lshl_add_u32 v18, v18, 23, 0x3c000000
	v_and_b32_e32 v19, 0x80000000, v19
	s_delay_alu instid0(VALU_DEP_1)
	v_or3_b32 v19, v6, v19, v18
	v_mov_b32_e32 v18, v7
.LBB273_981:                            ;   in Loop: Header=BB273_543 Depth=1
	s_or_b32 exec_lo, exec_lo, s10
.LBB273_982:                            ;   in Loop: Header=BB273_543 Depth=1
	s_delay_alu instid0(SALU_CYCLE_1)
	s_or_b32 exec_lo, exec_lo, s13
.LBB273_983:                            ;   in Loop: Header=BB273_543 Depth=1
	s_delay_alu instid0(SALU_CYCLE_1) | instskip(SKIP_4) | instid1(VALU_DEP_3)
	s_or_b32 exec_lo, exec_lo, s12
	v_or_b32_e32 v5, v15, v5
	v_or_b32_e32 v4, v14, v4
	;; [unrolled: 1-line block ×4, first 2 shown]
	v_dual_mul_f32 v165, v54, v5 :: v_dual_mul_f32 v164, v52, v4
	s_delay_alu instid0(VALU_DEP_3) | instskip(NEXT) | instid1(VALU_DEP_3)
	v_mul_f32_e32 v162, v54, v6
	v_mul_f32_e32 v163, v52, v14
	s_and_saveexec_b32 s10, vcc_lo
; %bb.984:                              ;   in Loop: Header=BB273_543 Depth=1
	v_cmp_lt_i32_e64 s0, v67, v30
	s_delay_alu instid0(VALU_DEP_1) | instskip(SKIP_1) | instid1(VALU_DEP_1)
	v_cndmask_b32_e64 v164, 0, v164, s0
	v_cmp_lt_i32_e64 s0, v69, v30
	v_cndmask_b32_e64 v165, 0, v165, s0
	v_cmp_lt_i32_e64 s0, v68, v30
	s_delay_alu instid0(VALU_DEP_1) | instskip(SKIP_1) | instid1(VALU_DEP_1)
	v_cndmask_b32_e64 v163, 0, v163, s0
	v_cmp_lt_i32_e64 s0, v21, v30
	v_cndmask_b32_e64 v162, 0, v162, s0
; %bb.985:                              ;   in Loop: Header=BB273_543 Depth=1
	s_or_b32 exec_lo, exec_lo, s10
	flat_load_b32 v166, v[12:13] offset:1664
	v_mov_b32_e32 v14, 0
	v_mov_b32_e32 v15, 0
	s_mov_b32 s10, exec_lo
	s_waitcnt vmcnt(0) lgkmcnt(0)
	v_and_b32_e32 v6, 0xff, v166
	s_delay_alu instid0(VALU_DEP_2) | instskip(NEXT) | instid1(VALU_DEP_2)
	v_dual_mov_b32 v4, v14 :: v_dual_mov_b32 v5, v15
	v_cmpx_ne_u16_e32 0, v6
	s_cbranch_execz .LBB273_993
; %bb.986:                              ;   in Loop: Header=BB273_543 Depth=1
	v_bfrev_b32_e32 v4, 1
	v_mov_b32_e32 v5, 0
	s_mov_b32 s12, exec_lo
	v_cmpx_ne_u16_e32 0x80, v6
	s_cbranch_execz .LBB273_992
; %bb.987:                              ;   in Loop: Header=BB273_543 Depth=1
	v_mov_b32_e32 v4, 0x7f800001
	v_dual_mov_b32 v5, 0 :: v_dual_and_b32 v16, 0x7f, v166
	s_mov_b32 s13, exec_lo
	s_delay_alu instid0(VALU_DEP_1)
	v_cmpx_ne_u32_e32 0x7f, v16
	s_cbranch_execz .LBB273_991
; %bb.988:                              ;   in Loop: Header=BB273_543 Depth=1
	v_and_b32_e32 v6, 7, v166
	v_lshrrev_b32_e32 v4, 3, v16
	s_mov_b32 s15, exec_lo
	v_cmpx_gt_u32_e32 8, v16
; %bb.989:                              ;   in Loop: Header=BB273_543 Depth=1
	s_delay_alu instid0(VALU_DEP_3) | instskip(NEXT) | instid1(VALU_DEP_1)
	v_clz_i32_u32_e32 v4, v6
	v_min_u32_e32 v4, 32, v4
	s_delay_alu instid0(VALU_DEP_1) | instskip(SKIP_1) | instid1(VALU_DEP_2)
	v_subrev_nc_u32_e32 v5, 28, v4
	v_sub_nc_u32_e32 v4, 29, v4
	v_lshlrev_b64 v[5:6], v5, v[6:7]
	s_delay_alu instid0(VALU_DEP_1)
	v_and_b32_e32 v6, 7, v5
; %bb.990:                              ;   in Loop: Header=BB273_543 Depth=1
	s_or_b32 exec_lo, exec_lo, s15
	v_lshlrev_b32_e32 v5, 24, v166
	s_delay_alu instid0(VALU_DEP_2) | instskip(SKIP_1) | instid1(VALU_DEP_3)
	v_lshlrev_b32_e32 v6, 20, v6
	v_lshl_add_u32 v4, v4, 23, 0x3c000000
	v_and_b32_e32 v5, 0x80000000, v5
	s_delay_alu instid0(VALU_DEP_1) | instskip(NEXT) | instid1(VALU_DEP_1)
	v_or3_b32 v6, v6, v5, v4
	v_dual_mov_b32 v4, v6 :: v_dual_mov_b32 v5, v7
.LBB273_991:                            ;   in Loop: Header=BB273_543 Depth=1
	s_or_b32 exec_lo, exec_lo, s13
.LBB273_992:                            ;   in Loop: Header=BB273_543 Depth=1
	s_delay_alu instid0(SALU_CYCLE_1)
	s_or_b32 exec_lo, exec_lo, s12
.LBB273_993:                            ;   in Loop: Header=BB273_543 Depth=1
	s_delay_alu instid0(SALU_CYCLE_1) | instskip(SKIP_2) | instid1(VALU_DEP_1)
	s_or_b32 exec_lo, exec_lo, s10
	v_lshrrev_b16 v6, 8, v166
	s_mov_b32 s12, exec_lo
	v_cmpx_ne_u16_e32 0, v6
	s_cbranch_execz .LBB273_1001
; %bb.994:                              ;   in Loop: Header=BB273_543 Depth=1
	v_dual_mov_b32 v15, s9 :: v_dual_mov_b32 v14, s8
	s_mov_b32 s13, exec_lo
	v_cmpx_ne_u16_e32 0x80, v6
	s_cbranch_execz .LBB273_1000
; %bb.995:                              ;   in Loop: Header=BB273_543 Depth=1
	s_mov_b32 s10, s8
	v_dual_mov_b32 v15, s11 :: v_dual_and_b32 v6, 0xffff, v6
	v_mov_b32_e32 v14, s10
	s_mov_b32 s10, exec_lo
	s_delay_alu instid0(VALU_DEP_2) | instskip(NEXT) | instid1(VALU_DEP_1)
	v_and_b32_e32 v16, 0x7f, v6
	v_cmpx_ne_u32_e32 0x7f, v16
	s_cbranch_execz .LBB273_999
; %bb.996:                              ;   in Loop: Header=BB273_543 Depth=1
	v_and_b32_e32 v6, 7, v6
	v_lshrrev_b32_e32 v14, 3, v16
	s_mov_b32 s15, exec_lo
	v_cmpx_gt_u32_e32 8, v16
; %bb.997:                              ;   in Loop: Header=BB273_543 Depth=1
	s_delay_alu instid0(VALU_DEP_3) | instskip(NEXT) | instid1(VALU_DEP_1)
	v_clz_i32_u32_e32 v14, v6
	v_min_u32_e32 v14, 32, v14
	s_delay_alu instid0(VALU_DEP_1) | instskip(SKIP_1) | instid1(VALU_DEP_2)
	v_subrev_nc_u32_e32 v15, 28, v14
	v_sub_nc_u32_e32 v14, 29, v14
	v_lshlrev_b64 v[15:16], v15, v[6:7]
	s_delay_alu instid0(VALU_DEP_1)
	v_and_b32_e32 v6, 7, v15
; %bb.998:                              ;   in Loop: Header=BB273_543 Depth=1
	s_or_b32 exec_lo, exec_lo, s15
	v_lshlrev_b32_e32 v15, 16, v166
	s_delay_alu instid0(VALU_DEP_2) | instskip(SKIP_1) | instid1(VALU_DEP_3)
	v_lshlrev_b32_e32 v6, 20, v6
	v_lshl_add_u32 v14, v14, 23, 0x3c000000
	v_and_b32_e32 v15, 0x80000000, v15
	s_delay_alu instid0(VALU_DEP_1)
	v_or3_b32 v15, v6, v15, v14
	v_mov_b32_e32 v14, v7
.LBB273_999:                            ;   in Loop: Header=BB273_543 Depth=1
	s_or_b32 exec_lo, exec_lo, s10
.LBB273_1000:                           ;   in Loop: Header=BB273_543 Depth=1
	s_delay_alu instid0(SALU_CYCLE_1)
	s_or_b32 exec_lo, exec_lo, s13
.LBB273_1001:                           ;   in Loop: Header=BB273_543 Depth=1
	s_delay_alu instid0(SALU_CYCLE_1) | instskip(SKIP_4) | instid1(VALU_DEP_2)
	s_or_b32 exec_lo, exec_lo, s12
	v_mov_b32_e32 v18, 0
	v_lshrrev_b32_e32 v167, 16, v166
	v_mov_b32_e32 v19, 0
	s_mov_b32 s10, exec_lo
	v_and_b32_e32 v6, 0xff, v167
	s_delay_alu instid0(VALU_DEP_2) | instskip(NEXT) | instid1(VALU_DEP_2)
	v_dual_mov_b32 v16, v18 :: v_dual_mov_b32 v17, v19
	v_cmpx_ne_u16_e32 0, v6
	s_cbranch_execz .LBB273_1009
; %bb.1002:                             ;   in Loop: Header=BB273_543 Depth=1
	v_bfrev_b32_e32 v16, 1
	v_mov_b32_e32 v17, 0
	s_mov_b32 s12, exec_lo
	v_cmpx_ne_u16_e32 0x80, v6
	s_cbranch_execz .LBB273_1008
; %bb.1003:                             ;   in Loop: Header=BB273_543 Depth=1
	v_mov_b32_e32 v16, 0x7f800001
	v_bfe_u32 v176, v166, 16, 7
	v_mov_b32_e32 v17, 0
	s_mov_b32 s13, exec_lo
	s_delay_alu instid0(VALU_DEP_2)
	v_cmpx_ne_u32_e32 0x7f, v176
	s_cbranch_execz .LBB273_1007
; %bb.1004:                             ;   in Loop: Header=BB273_543 Depth=1
	v_and_b32_e32 v6, 7, v167
	v_lshrrev_b32_e32 v16, 3, v176
	s_mov_b32 s15, exec_lo
	v_cmpx_gt_u32_e32 8, v176
; %bb.1005:                             ;   in Loop: Header=BB273_543 Depth=1
	s_delay_alu instid0(VALU_DEP_3) | instskip(NEXT) | instid1(VALU_DEP_1)
	v_clz_i32_u32_e32 v16, v6
	v_min_u32_e32 v16, 32, v16
	s_delay_alu instid0(VALU_DEP_1) | instskip(SKIP_1) | instid1(VALU_DEP_2)
	v_subrev_nc_u32_e32 v17, 28, v16
	v_sub_nc_u32_e32 v16, 29, v16
	v_lshlrev_b64 v[176:177], v17, v[6:7]
	s_delay_alu instid0(VALU_DEP_1)
	v_and_b32_e32 v6, 7, v176
; %bb.1006:                             ;   in Loop: Header=BB273_543 Depth=1
	s_or_b32 exec_lo, exec_lo, s15
	v_lshlrev_b32_e32 v17, 24, v167
	s_delay_alu instid0(VALU_DEP_2) | instskip(SKIP_1) | instid1(VALU_DEP_3)
	v_lshlrev_b32_e32 v6, 20, v6
	v_lshl_add_u32 v16, v16, 23, 0x3c000000
	v_and_b32_e32 v17, 0x80000000, v17
	s_delay_alu instid0(VALU_DEP_1) | instskip(NEXT) | instid1(VALU_DEP_1)
	v_or3_b32 v6, v6, v17, v16
	v_dual_mov_b32 v17, v7 :: v_dual_mov_b32 v16, v6
.LBB273_1007:                           ;   in Loop: Header=BB273_543 Depth=1
	s_or_b32 exec_lo, exec_lo, s13
.LBB273_1008:                           ;   in Loop: Header=BB273_543 Depth=1
	s_delay_alu instid0(SALU_CYCLE_1)
	s_or_b32 exec_lo, exec_lo, s12
.LBB273_1009:                           ;   in Loop: Header=BB273_543 Depth=1
	s_delay_alu instid0(SALU_CYCLE_1) | instskip(NEXT) | instid1(SALU_CYCLE_1)
	s_or_b32 exec_lo, exec_lo, s10
	s_mov_b32 s12, exec_lo
	v_cmpx_lt_u32_e32 0xffffff, v166
	s_cbranch_execz .LBB273_1017
; %bb.1010:                             ;   in Loop: Header=BB273_543 Depth=1
	v_lshrrev_b32_e32 v167, 24, v166
	v_dual_mov_b32 v19, s9 :: v_dual_mov_b32 v18, s8
	s_mov_b32 s13, exec_lo
	s_delay_alu instid0(VALU_DEP_2)
	v_cmpx_ne_u32_e32 0x80, v167
	s_cbranch_execz .LBB273_1016
; %bb.1011:                             ;   in Loop: Header=BB273_543 Depth=1
	s_mov_b32 s10, s8
	v_bfe_u32 v166, v166, 24, 7
	v_dual_mov_b32 v19, s11 :: v_dual_mov_b32 v18, s10
	s_mov_b32 s10, exec_lo
	s_delay_alu instid0(VALU_DEP_2)
	v_cmpx_ne_u32_e32 0x7f, v166
	s_cbranch_execz .LBB273_1015
; %bb.1012:                             ;   in Loop: Header=BB273_543 Depth=1
	v_and_b32_e32 v6, 7, v167
	v_lshrrev_b32_e32 v18, 3, v166
	s_mov_b32 s15, exec_lo
	v_cmpx_gt_u32_e32 8, v166
; %bb.1013:                             ;   in Loop: Header=BB273_543 Depth=1
	s_delay_alu instid0(VALU_DEP_3) | instskip(NEXT) | instid1(VALU_DEP_1)
	v_clz_i32_u32_e32 v18, v6
	v_min_u32_e32 v18, 32, v18
	s_delay_alu instid0(VALU_DEP_1) | instskip(SKIP_1) | instid1(VALU_DEP_2)
	v_subrev_nc_u32_e32 v19, 28, v18
	v_sub_nc_u32_e32 v18, 29, v18
	v_lshlrev_b64 v[176:177], v19, v[6:7]
	s_delay_alu instid0(VALU_DEP_1)
	v_and_b32_e32 v6, 7, v176
; %bb.1014:                             ;   in Loop: Header=BB273_543 Depth=1
	s_or_b32 exec_lo, exec_lo, s15
	v_lshlrev_b32_e32 v19, 24, v167
	s_delay_alu instid0(VALU_DEP_2) | instskip(SKIP_1) | instid1(VALU_DEP_3)
	v_lshlrev_b32_e32 v6, 20, v6
	v_lshl_add_u32 v18, v18, 23, 0x3c000000
	v_and_b32_e32 v19, 0x80000000, v19
	s_delay_alu instid0(VALU_DEP_1)
	v_or3_b32 v19, v6, v19, v18
	v_mov_b32_e32 v18, v7
.LBB273_1015:                           ;   in Loop: Header=BB273_543 Depth=1
	s_or_b32 exec_lo, exec_lo, s10
.LBB273_1016:                           ;   in Loop: Header=BB273_543 Depth=1
	s_delay_alu instid0(SALU_CYCLE_1)
	s_or_b32 exec_lo, exec_lo, s13
.LBB273_1017:                           ;   in Loop: Header=BB273_543 Depth=1
	s_delay_alu instid0(SALU_CYCLE_1) | instskip(SKIP_4) | instid1(VALU_DEP_3)
	s_or_b32 exec_lo, exec_lo, s12
	v_or_b32_e32 v5, v15, v5
	v_or_b32_e32 v4, v14, v4
	;; [unrolled: 1-line block ×4, first 2 shown]
	v_dual_mul_f32 v177, v54, v5 :: v_dual_mul_f32 v176, v52, v4
	s_delay_alu instid0(VALU_DEP_3) | instskip(NEXT) | instid1(VALU_DEP_3)
	v_mul_f32_e32 v166, v54, v6
	v_mul_f32_e32 v167, v52, v14
	s_and_saveexec_b32 s10, vcc_lo
; %bb.1018:                             ;   in Loop: Header=BB273_543 Depth=1
	v_cmp_lt_i32_e64 s0, v67, v30
	s_delay_alu instid0(VALU_DEP_1) | instskip(SKIP_1) | instid1(VALU_DEP_1)
	v_cndmask_b32_e64 v176, 0, v176, s0
	v_cmp_lt_i32_e64 s0, v69, v30
	v_cndmask_b32_e64 v177, 0, v177, s0
	v_cmp_lt_i32_e64 s0, v68, v30
	s_delay_alu instid0(VALU_DEP_1) | instskip(SKIP_1) | instid1(VALU_DEP_1)
	v_cndmask_b32_e64 v167, 0, v167, s0
	v_cmp_lt_i32_e64 s0, v21, v30
	v_cndmask_b32_e64 v166, 0, v166, s0
; %bb.1019:                             ;   in Loop: Header=BB273_543 Depth=1
	s_or_b32 exec_lo, exec_lo, s10
	flat_load_b32 v178, v[12:13] offset:1792
	v_mov_b32_e32 v14, 0
	v_mov_b32_e32 v15, 0
	s_mov_b32 s10, exec_lo
	s_waitcnt vmcnt(0) lgkmcnt(0)
	v_and_b32_e32 v6, 0xff, v178
	s_delay_alu instid0(VALU_DEP_2) | instskip(NEXT) | instid1(VALU_DEP_2)
	v_dual_mov_b32 v4, v14 :: v_dual_mov_b32 v5, v15
	v_cmpx_ne_u16_e32 0, v6
	s_cbranch_execz .LBB273_1027
; %bb.1020:                             ;   in Loop: Header=BB273_543 Depth=1
	v_bfrev_b32_e32 v4, 1
	v_mov_b32_e32 v5, 0
	s_mov_b32 s12, exec_lo
	v_cmpx_ne_u16_e32 0x80, v6
	s_cbranch_execz .LBB273_1026
; %bb.1021:                             ;   in Loop: Header=BB273_543 Depth=1
	v_mov_b32_e32 v4, 0x7f800001
	v_dual_mov_b32 v5, 0 :: v_dual_and_b32 v16, 0x7f, v178
	s_mov_b32 s13, exec_lo
	s_delay_alu instid0(VALU_DEP_1)
	v_cmpx_ne_u32_e32 0x7f, v16
	s_cbranch_execz .LBB273_1025
; %bb.1022:                             ;   in Loop: Header=BB273_543 Depth=1
	v_and_b32_e32 v6, 7, v178
	v_lshrrev_b32_e32 v4, 3, v16
	s_mov_b32 s15, exec_lo
	v_cmpx_gt_u32_e32 8, v16
; %bb.1023:                             ;   in Loop: Header=BB273_543 Depth=1
	s_delay_alu instid0(VALU_DEP_3) | instskip(NEXT) | instid1(VALU_DEP_1)
	v_clz_i32_u32_e32 v4, v6
	v_min_u32_e32 v4, 32, v4
	s_delay_alu instid0(VALU_DEP_1) | instskip(SKIP_1) | instid1(VALU_DEP_2)
	v_subrev_nc_u32_e32 v5, 28, v4
	v_sub_nc_u32_e32 v4, 29, v4
	v_lshlrev_b64 v[5:6], v5, v[6:7]
	s_delay_alu instid0(VALU_DEP_1)
	v_and_b32_e32 v6, 7, v5
; %bb.1024:                             ;   in Loop: Header=BB273_543 Depth=1
	s_or_b32 exec_lo, exec_lo, s15
	v_lshlrev_b32_e32 v5, 24, v178
	s_delay_alu instid0(VALU_DEP_2) | instskip(SKIP_1) | instid1(VALU_DEP_3)
	v_lshlrev_b32_e32 v6, 20, v6
	v_lshl_add_u32 v4, v4, 23, 0x3c000000
	v_and_b32_e32 v5, 0x80000000, v5
	s_delay_alu instid0(VALU_DEP_1) | instskip(NEXT) | instid1(VALU_DEP_1)
	v_or3_b32 v6, v6, v5, v4
	v_dual_mov_b32 v4, v6 :: v_dual_mov_b32 v5, v7
.LBB273_1025:                           ;   in Loop: Header=BB273_543 Depth=1
	s_or_b32 exec_lo, exec_lo, s13
.LBB273_1026:                           ;   in Loop: Header=BB273_543 Depth=1
	s_delay_alu instid0(SALU_CYCLE_1)
	s_or_b32 exec_lo, exec_lo, s12
.LBB273_1027:                           ;   in Loop: Header=BB273_543 Depth=1
	s_delay_alu instid0(SALU_CYCLE_1) | instskip(SKIP_2) | instid1(VALU_DEP_1)
	s_or_b32 exec_lo, exec_lo, s10
	v_lshrrev_b16 v6, 8, v178
	s_mov_b32 s12, exec_lo
	v_cmpx_ne_u16_e32 0, v6
	s_cbranch_execz .LBB273_1035
; %bb.1028:                             ;   in Loop: Header=BB273_543 Depth=1
	v_dual_mov_b32 v15, s9 :: v_dual_mov_b32 v14, s8
	s_mov_b32 s13, exec_lo
	v_cmpx_ne_u16_e32 0x80, v6
	s_cbranch_execz .LBB273_1034
; %bb.1029:                             ;   in Loop: Header=BB273_543 Depth=1
	s_mov_b32 s10, s8
	v_dual_mov_b32 v15, s11 :: v_dual_and_b32 v6, 0xffff, v6
	v_mov_b32_e32 v14, s10
	s_mov_b32 s10, exec_lo
	s_delay_alu instid0(VALU_DEP_2) | instskip(NEXT) | instid1(VALU_DEP_1)
	v_and_b32_e32 v16, 0x7f, v6
	v_cmpx_ne_u32_e32 0x7f, v16
	s_cbranch_execz .LBB273_1033
; %bb.1030:                             ;   in Loop: Header=BB273_543 Depth=1
	v_and_b32_e32 v6, 7, v6
	v_lshrrev_b32_e32 v14, 3, v16
	s_mov_b32 s15, exec_lo
	v_cmpx_gt_u32_e32 8, v16
; %bb.1031:                             ;   in Loop: Header=BB273_543 Depth=1
	s_delay_alu instid0(VALU_DEP_3) | instskip(NEXT) | instid1(VALU_DEP_1)
	v_clz_i32_u32_e32 v14, v6
	v_min_u32_e32 v14, 32, v14
	s_delay_alu instid0(VALU_DEP_1) | instskip(SKIP_1) | instid1(VALU_DEP_2)
	v_subrev_nc_u32_e32 v15, 28, v14
	v_sub_nc_u32_e32 v14, 29, v14
	v_lshlrev_b64 v[15:16], v15, v[6:7]
	s_delay_alu instid0(VALU_DEP_1)
	v_and_b32_e32 v6, 7, v15
; %bb.1032:                             ;   in Loop: Header=BB273_543 Depth=1
	s_or_b32 exec_lo, exec_lo, s15
	v_lshlrev_b32_e32 v15, 16, v178
	s_delay_alu instid0(VALU_DEP_2) | instskip(SKIP_1) | instid1(VALU_DEP_3)
	v_lshlrev_b32_e32 v6, 20, v6
	v_lshl_add_u32 v14, v14, 23, 0x3c000000
	v_and_b32_e32 v15, 0x80000000, v15
	s_delay_alu instid0(VALU_DEP_1)
	v_or3_b32 v15, v6, v15, v14
	v_mov_b32_e32 v14, v7
.LBB273_1033:                           ;   in Loop: Header=BB273_543 Depth=1
	s_or_b32 exec_lo, exec_lo, s10
.LBB273_1034:                           ;   in Loop: Header=BB273_543 Depth=1
	s_delay_alu instid0(SALU_CYCLE_1)
	s_or_b32 exec_lo, exec_lo, s13
.LBB273_1035:                           ;   in Loop: Header=BB273_543 Depth=1
	s_delay_alu instid0(SALU_CYCLE_1) | instskip(SKIP_4) | instid1(VALU_DEP_2)
	s_or_b32 exec_lo, exec_lo, s12
	v_mov_b32_e32 v18, 0
	v_lshrrev_b32_e32 v179, 16, v178
	v_mov_b32_e32 v19, 0
	s_mov_b32 s10, exec_lo
	v_and_b32_e32 v6, 0xff, v179
	s_delay_alu instid0(VALU_DEP_2) | instskip(NEXT) | instid1(VALU_DEP_2)
	v_dual_mov_b32 v16, v18 :: v_dual_mov_b32 v17, v19
	v_cmpx_ne_u16_e32 0, v6
	s_cbranch_execz .LBB273_1043
; %bb.1036:                             ;   in Loop: Header=BB273_543 Depth=1
	v_bfrev_b32_e32 v16, 1
	v_mov_b32_e32 v17, 0
	s_mov_b32 s12, exec_lo
	v_cmpx_ne_u16_e32 0x80, v6
	s_cbranch_execz .LBB273_1042
; %bb.1037:                             ;   in Loop: Header=BB273_543 Depth=1
	v_mov_b32_e32 v16, 0x7f800001
	v_bfe_u32 v180, v178, 16, 7
	v_mov_b32_e32 v17, 0
	s_mov_b32 s13, exec_lo
	s_delay_alu instid0(VALU_DEP_2)
	v_cmpx_ne_u32_e32 0x7f, v180
	s_cbranch_execz .LBB273_1041
; %bb.1038:                             ;   in Loop: Header=BB273_543 Depth=1
	v_and_b32_e32 v6, 7, v179
	v_lshrrev_b32_e32 v16, 3, v180
	s_mov_b32 s15, exec_lo
	v_cmpx_gt_u32_e32 8, v180
; %bb.1039:                             ;   in Loop: Header=BB273_543 Depth=1
	s_delay_alu instid0(VALU_DEP_3) | instskip(NEXT) | instid1(VALU_DEP_1)
	v_clz_i32_u32_e32 v16, v6
	v_min_u32_e32 v16, 32, v16
	s_delay_alu instid0(VALU_DEP_1) | instskip(SKIP_1) | instid1(VALU_DEP_2)
	v_subrev_nc_u32_e32 v17, 28, v16
	v_sub_nc_u32_e32 v16, 29, v16
	v_lshlrev_b64 v[180:181], v17, v[6:7]
	s_delay_alu instid0(VALU_DEP_1)
	v_and_b32_e32 v6, 7, v180
; %bb.1040:                             ;   in Loop: Header=BB273_543 Depth=1
	s_or_b32 exec_lo, exec_lo, s15
	v_lshlrev_b32_e32 v17, 24, v179
	s_delay_alu instid0(VALU_DEP_2) | instskip(SKIP_1) | instid1(VALU_DEP_3)
	v_lshlrev_b32_e32 v6, 20, v6
	v_lshl_add_u32 v16, v16, 23, 0x3c000000
	v_and_b32_e32 v17, 0x80000000, v17
	s_delay_alu instid0(VALU_DEP_1) | instskip(NEXT) | instid1(VALU_DEP_1)
	v_or3_b32 v6, v6, v17, v16
	v_dual_mov_b32 v17, v7 :: v_dual_mov_b32 v16, v6
.LBB273_1041:                           ;   in Loop: Header=BB273_543 Depth=1
	s_or_b32 exec_lo, exec_lo, s13
.LBB273_1042:                           ;   in Loop: Header=BB273_543 Depth=1
	s_delay_alu instid0(SALU_CYCLE_1)
	s_or_b32 exec_lo, exec_lo, s12
.LBB273_1043:                           ;   in Loop: Header=BB273_543 Depth=1
	s_delay_alu instid0(SALU_CYCLE_1) | instskip(NEXT) | instid1(SALU_CYCLE_1)
	s_or_b32 exec_lo, exec_lo, s10
	s_mov_b32 s12, exec_lo
	v_cmpx_lt_u32_e32 0xffffff, v178
	s_cbranch_execz .LBB273_1051
; %bb.1044:                             ;   in Loop: Header=BB273_543 Depth=1
	v_lshrrev_b32_e32 v179, 24, v178
	v_dual_mov_b32 v19, s9 :: v_dual_mov_b32 v18, s8
	s_mov_b32 s13, exec_lo
	s_delay_alu instid0(VALU_DEP_2)
	v_cmpx_ne_u32_e32 0x80, v179
	s_cbranch_execz .LBB273_1050
; %bb.1045:                             ;   in Loop: Header=BB273_543 Depth=1
	s_mov_b32 s10, s8
	v_bfe_u32 v178, v178, 24, 7
	v_dual_mov_b32 v19, s11 :: v_dual_mov_b32 v18, s10
	s_mov_b32 s10, exec_lo
	s_delay_alu instid0(VALU_DEP_2)
	v_cmpx_ne_u32_e32 0x7f, v178
	s_cbranch_execz .LBB273_1049
; %bb.1046:                             ;   in Loop: Header=BB273_543 Depth=1
	v_and_b32_e32 v6, 7, v179
	v_lshrrev_b32_e32 v18, 3, v178
	s_mov_b32 s15, exec_lo
	v_cmpx_gt_u32_e32 8, v178
; %bb.1047:                             ;   in Loop: Header=BB273_543 Depth=1
	s_delay_alu instid0(VALU_DEP_3) | instskip(NEXT) | instid1(VALU_DEP_1)
	v_clz_i32_u32_e32 v18, v6
	v_min_u32_e32 v18, 32, v18
	s_delay_alu instid0(VALU_DEP_1) | instskip(SKIP_1) | instid1(VALU_DEP_2)
	v_subrev_nc_u32_e32 v19, 28, v18
	v_sub_nc_u32_e32 v18, 29, v18
	v_lshlrev_b64 v[180:181], v19, v[6:7]
	s_delay_alu instid0(VALU_DEP_1)
	v_and_b32_e32 v6, 7, v180
; %bb.1048:                             ;   in Loop: Header=BB273_543 Depth=1
	s_or_b32 exec_lo, exec_lo, s15
	v_lshlrev_b32_e32 v19, 24, v179
	s_delay_alu instid0(VALU_DEP_2) | instskip(SKIP_1) | instid1(VALU_DEP_3)
	v_lshlrev_b32_e32 v6, 20, v6
	v_lshl_add_u32 v18, v18, 23, 0x3c000000
	v_and_b32_e32 v19, 0x80000000, v19
	s_delay_alu instid0(VALU_DEP_1)
	v_or3_b32 v19, v6, v19, v18
	v_mov_b32_e32 v18, v7
.LBB273_1049:                           ;   in Loop: Header=BB273_543 Depth=1
	s_or_b32 exec_lo, exec_lo, s10
.LBB273_1050:                           ;   in Loop: Header=BB273_543 Depth=1
	s_delay_alu instid0(SALU_CYCLE_1)
	s_or_b32 exec_lo, exec_lo, s13
.LBB273_1051:                           ;   in Loop: Header=BB273_543 Depth=1
	s_delay_alu instid0(SALU_CYCLE_1) | instskip(SKIP_4) | instid1(VALU_DEP_3)
	s_or_b32 exec_lo, exec_lo, s12
	v_or_b32_e32 v5, v15, v5
	v_or_b32_e32 v4, v14, v4
	;; [unrolled: 1-line block ×4, first 2 shown]
	v_dual_mul_f32 v179, v54, v5 :: v_dual_mul_f32 v178, v52, v4
	s_delay_alu instid0(VALU_DEP_3) | instskip(NEXT) | instid1(VALU_DEP_3)
	v_mul_f32_e32 v18, v54, v6
	v_mul_f32_e32 v19, v52, v14
	s_and_saveexec_b32 s10, vcc_lo
; %bb.1052:                             ;   in Loop: Header=BB273_543 Depth=1
	v_cmp_lt_i32_e64 s0, v67, v30
	s_delay_alu instid0(VALU_DEP_1) | instskip(SKIP_1) | instid1(VALU_DEP_1)
	v_cndmask_b32_e64 v178, 0, v178, s0
	v_cmp_lt_i32_e64 s0, v69, v30
	v_cndmask_b32_e64 v179, 0, v179, s0
	v_cmp_lt_i32_e64 s0, v68, v30
	s_delay_alu instid0(VALU_DEP_1) | instskip(SKIP_1) | instid1(VALU_DEP_1)
	v_cndmask_b32_e64 v19, 0, v19, s0
	v_cmp_lt_i32_e64 s0, v21, v30
	v_cndmask_b32_e64 v18, 0, v18, s0
; %bb.1053:                             ;   in Loop: Header=BB273_543 Depth=1
	s_or_b32 exec_lo, exec_lo, s10
	flat_load_b32 v180, v[12:13] offset:1920
	v_mov_b32_e32 v12, 0
	v_mov_b32_e32 v13, 0
	s_mov_b32 s10, exec_lo
	s_waitcnt vmcnt(0) lgkmcnt(0)
	v_and_b32_e32 v6, 0xff, v180
	s_delay_alu instid0(VALU_DEP_2) | instskip(NEXT) | instid1(VALU_DEP_2)
	v_dual_mov_b32 v4, v12 :: v_dual_mov_b32 v5, v13
	v_cmpx_ne_u16_e32 0, v6
	s_cbranch_execz .LBB273_1061
; %bb.1054:                             ;   in Loop: Header=BB273_543 Depth=1
	v_bfrev_b32_e32 v4, 1
	v_mov_b32_e32 v5, 0
	s_mov_b32 s12, exec_lo
	v_cmpx_ne_u16_e32 0x80, v6
	s_cbranch_execz .LBB273_1060
; %bb.1055:                             ;   in Loop: Header=BB273_543 Depth=1
	v_mov_b32_e32 v4, 0x7f800001
	v_dual_mov_b32 v5, 0 :: v_dual_and_b32 v14, 0x7f, v180
	s_mov_b32 s13, exec_lo
	s_delay_alu instid0(VALU_DEP_1)
	v_cmpx_ne_u32_e32 0x7f, v14
	s_cbranch_execz .LBB273_1059
; %bb.1056:                             ;   in Loop: Header=BB273_543 Depth=1
	v_and_b32_e32 v6, 7, v180
	v_lshrrev_b32_e32 v4, 3, v14
	s_mov_b32 s15, exec_lo
	v_cmpx_gt_u32_e32 8, v14
; %bb.1057:                             ;   in Loop: Header=BB273_543 Depth=1
	s_delay_alu instid0(VALU_DEP_3) | instskip(NEXT) | instid1(VALU_DEP_1)
	v_clz_i32_u32_e32 v4, v6
	v_min_u32_e32 v4, 32, v4
	s_delay_alu instid0(VALU_DEP_1) | instskip(SKIP_1) | instid1(VALU_DEP_2)
	v_subrev_nc_u32_e32 v5, 28, v4
	v_sub_nc_u32_e32 v4, 29, v4
	v_lshlrev_b64 v[5:6], v5, v[6:7]
	s_delay_alu instid0(VALU_DEP_1)
	v_and_b32_e32 v6, 7, v5
; %bb.1058:                             ;   in Loop: Header=BB273_543 Depth=1
	s_or_b32 exec_lo, exec_lo, s15
	v_lshlrev_b32_e32 v5, 24, v180
	s_delay_alu instid0(VALU_DEP_2) | instskip(SKIP_1) | instid1(VALU_DEP_3)
	v_lshlrev_b32_e32 v6, 20, v6
	v_lshl_add_u32 v4, v4, 23, 0x3c000000
	v_and_b32_e32 v5, 0x80000000, v5
	s_delay_alu instid0(VALU_DEP_1) | instskip(NEXT) | instid1(VALU_DEP_1)
	v_or3_b32 v6, v6, v5, v4
	v_dual_mov_b32 v4, v6 :: v_dual_mov_b32 v5, v7
.LBB273_1059:                           ;   in Loop: Header=BB273_543 Depth=1
	s_or_b32 exec_lo, exec_lo, s13
.LBB273_1060:                           ;   in Loop: Header=BB273_543 Depth=1
	s_delay_alu instid0(SALU_CYCLE_1)
	s_or_b32 exec_lo, exec_lo, s12
.LBB273_1061:                           ;   in Loop: Header=BB273_543 Depth=1
	s_delay_alu instid0(SALU_CYCLE_1) | instskip(SKIP_2) | instid1(VALU_DEP_1)
	s_or_b32 exec_lo, exec_lo, s10
	v_lshrrev_b16 v6, 8, v180
	s_mov_b32 s12, exec_lo
	v_cmpx_ne_u16_e32 0, v6
	s_cbranch_execz .LBB273_1069
; %bb.1062:                             ;   in Loop: Header=BB273_543 Depth=1
	v_dual_mov_b32 v13, s9 :: v_dual_mov_b32 v12, s8
	s_mov_b32 s13, exec_lo
	v_cmpx_ne_u16_e32 0x80, v6
	s_cbranch_execz .LBB273_1068
; %bb.1063:                             ;   in Loop: Header=BB273_543 Depth=1
	s_mov_b32 s10, s8
	v_dual_mov_b32 v13, s11 :: v_dual_and_b32 v6, 0xffff, v6
	v_mov_b32_e32 v12, s10
	s_mov_b32 s10, exec_lo
	s_delay_alu instid0(VALU_DEP_2) | instskip(NEXT) | instid1(VALU_DEP_1)
	v_and_b32_e32 v14, 0x7f, v6
	v_cmpx_ne_u32_e32 0x7f, v14
	s_cbranch_execz .LBB273_1067
; %bb.1064:                             ;   in Loop: Header=BB273_543 Depth=1
	v_and_b32_e32 v6, 7, v6
	v_lshrrev_b32_e32 v12, 3, v14
	s_mov_b32 s15, exec_lo
	v_cmpx_gt_u32_e32 8, v14
; %bb.1065:                             ;   in Loop: Header=BB273_543 Depth=1
	s_delay_alu instid0(VALU_DEP_3) | instskip(NEXT) | instid1(VALU_DEP_1)
	v_clz_i32_u32_e32 v12, v6
	v_min_u32_e32 v12, 32, v12
	s_delay_alu instid0(VALU_DEP_1) | instskip(SKIP_1) | instid1(VALU_DEP_2)
	v_subrev_nc_u32_e32 v13, 28, v12
	v_sub_nc_u32_e32 v12, 29, v12
	v_lshlrev_b64 v[13:14], v13, v[6:7]
	s_delay_alu instid0(VALU_DEP_1)
	v_and_b32_e32 v6, 7, v13
; %bb.1066:                             ;   in Loop: Header=BB273_543 Depth=1
	s_or_b32 exec_lo, exec_lo, s15
	v_lshlrev_b32_e32 v13, 16, v180
	s_delay_alu instid0(VALU_DEP_2) | instskip(SKIP_1) | instid1(VALU_DEP_3)
	v_lshlrev_b32_e32 v6, 20, v6
	v_lshl_add_u32 v12, v12, 23, 0x3c000000
	v_and_b32_e32 v13, 0x80000000, v13
	s_delay_alu instid0(VALU_DEP_1)
	v_or3_b32 v13, v6, v13, v12
	v_mov_b32_e32 v12, v7
.LBB273_1067:                           ;   in Loop: Header=BB273_543 Depth=1
	s_or_b32 exec_lo, exec_lo, s10
.LBB273_1068:                           ;   in Loop: Header=BB273_543 Depth=1
	s_delay_alu instid0(SALU_CYCLE_1)
	s_or_b32 exec_lo, exec_lo, s13
.LBB273_1069:                           ;   in Loop: Header=BB273_543 Depth=1
	s_delay_alu instid0(SALU_CYCLE_1) | instskip(SKIP_4) | instid1(VALU_DEP_2)
	s_or_b32 exec_lo, exec_lo, s12
	v_mov_b32_e32 v16, 0
	v_lshrrev_b32_e32 v181, 16, v180
	v_mov_b32_e32 v17, 0
	s_mov_b32 s10, exec_lo
	v_and_b32_e32 v6, 0xff, v181
	s_delay_alu instid0(VALU_DEP_2) | instskip(NEXT) | instid1(VALU_DEP_2)
	v_dual_mov_b32 v14, v16 :: v_dual_mov_b32 v15, v17
	v_cmpx_ne_u16_e32 0, v6
	s_cbranch_execz .LBB273_1077
; %bb.1070:                             ;   in Loop: Header=BB273_543 Depth=1
	v_bfrev_b32_e32 v14, 1
	v_mov_b32_e32 v15, 0
	s_mov_b32 s12, exec_lo
	v_cmpx_ne_u16_e32 0x80, v6
	s_cbranch_execz .LBB273_1076
; %bb.1071:                             ;   in Loop: Header=BB273_543 Depth=1
	v_mov_b32_e32 v14, 0x7f800001
	v_bfe_u32 v182, v180, 16, 7
	v_mov_b32_e32 v15, 0
	s_mov_b32 s13, exec_lo
	s_delay_alu instid0(VALU_DEP_2)
	v_cmpx_ne_u32_e32 0x7f, v182
	s_cbranch_execz .LBB273_1075
; %bb.1072:                             ;   in Loop: Header=BB273_543 Depth=1
	v_and_b32_e32 v6, 7, v181
	v_lshrrev_b32_e32 v14, 3, v182
	s_mov_b32 s15, exec_lo
	v_cmpx_gt_u32_e32 8, v182
; %bb.1073:                             ;   in Loop: Header=BB273_543 Depth=1
	s_delay_alu instid0(VALU_DEP_3) | instskip(NEXT) | instid1(VALU_DEP_1)
	v_clz_i32_u32_e32 v14, v6
	v_min_u32_e32 v14, 32, v14
	s_delay_alu instid0(VALU_DEP_1) | instskip(SKIP_1) | instid1(VALU_DEP_2)
	v_subrev_nc_u32_e32 v15, 28, v14
	v_sub_nc_u32_e32 v14, 29, v14
	v_lshlrev_b64 v[182:183], v15, v[6:7]
	s_delay_alu instid0(VALU_DEP_1)
	v_and_b32_e32 v6, 7, v182
; %bb.1074:                             ;   in Loop: Header=BB273_543 Depth=1
	s_or_b32 exec_lo, exec_lo, s15
	v_lshlrev_b32_e32 v15, 24, v181
	s_delay_alu instid0(VALU_DEP_2) | instskip(SKIP_1) | instid1(VALU_DEP_3)
	v_lshlrev_b32_e32 v6, 20, v6
	v_lshl_add_u32 v14, v14, 23, 0x3c000000
	v_and_b32_e32 v15, 0x80000000, v15
	s_delay_alu instid0(VALU_DEP_1) | instskip(NEXT) | instid1(VALU_DEP_1)
	v_or3_b32 v6, v6, v15, v14
	v_dual_mov_b32 v15, v7 :: v_dual_mov_b32 v14, v6
.LBB273_1075:                           ;   in Loop: Header=BB273_543 Depth=1
	s_or_b32 exec_lo, exec_lo, s13
.LBB273_1076:                           ;   in Loop: Header=BB273_543 Depth=1
	s_delay_alu instid0(SALU_CYCLE_1)
	s_or_b32 exec_lo, exec_lo, s12
.LBB273_1077:                           ;   in Loop: Header=BB273_543 Depth=1
	s_delay_alu instid0(SALU_CYCLE_1) | instskip(NEXT) | instid1(SALU_CYCLE_1)
	s_or_b32 exec_lo, exec_lo, s10
	s_mov_b32 s12, exec_lo
	v_cmpx_lt_u32_e32 0xffffff, v180
	s_cbranch_execz .LBB273_1085
; %bb.1078:                             ;   in Loop: Header=BB273_543 Depth=1
	v_lshrrev_b32_e32 v181, 24, v180
	v_dual_mov_b32 v17, s9 :: v_dual_mov_b32 v16, s8
	s_mov_b32 s13, exec_lo
	s_delay_alu instid0(VALU_DEP_2)
	v_cmpx_ne_u32_e32 0x80, v181
	s_cbranch_execz .LBB273_1084
; %bb.1079:                             ;   in Loop: Header=BB273_543 Depth=1
	s_mov_b32 s10, s8
	v_bfe_u32 v180, v180, 24, 7
	v_dual_mov_b32 v17, s11 :: v_dual_mov_b32 v16, s10
	s_mov_b32 s10, exec_lo
	s_delay_alu instid0(VALU_DEP_2)
	v_cmpx_ne_u32_e32 0x7f, v180
	s_cbranch_execz .LBB273_1083
; %bb.1080:                             ;   in Loop: Header=BB273_543 Depth=1
	v_and_b32_e32 v6, 7, v181
	v_lshrrev_b32_e32 v16, 3, v180
	s_mov_b32 s15, exec_lo
	v_cmpx_gt_u32_e32 8, v180
; %bb.1081:                             ;   in Loop: Header=BB273_543 Depth=1
	s_delay_alu instid0(VALU_DEP_3) | instskip(NEXT) | instid1(VALU_DEP_1)
	v_clz_i32_u32_e32 v16, v6
	v_min_u32_e32 v16, 32, v16
	s_delay_alu instid0(VALU_DEP_1) | instskip(SKIP_1) | instid1(VALU_DEP_2)
	v_subrev_nc_u32_e32 v17, 28, v16
	v_sub_nc_u32_e32 v16, 29, v16
	v_lshlrev_b64 v[182:183], v17, v[6:7]
	s_delay_alu instid0(VALU_DEP_1)
	v_and_b32_e32 v6, 7, v182
; %bb.1082:                             ;   in Loop: Header=BB273_543 Depth=1
	s_or_b32 exec_lo, exec_lo, s15
	v_lshlrev_b32_e32 v17, 24, v181
	s_delay_alu instid0(VALU_DEP_2) | instskip(SKIP_1) | instid1(VALU_DEP_3)
	v_lshlrev_b32_e32 v6, 20, v6
	v_lshl_add_u32 v16, v16, 23, 0x3c000000
	v_and_b32_e32 v17, 0x80000000, v17
	s_delay_alu instid0(VALU_DEP_1)
	v_or3_b32 v17, v6, v17, v16
	v_mov_b32_e32 v16, v7
.LBB273_1083:                           ;   in Loop: Header=BB273_543 Depth=1
	s_or_b32 exec_lo, exec_lo, s10
.LBB273_1084:                           ;   in Loop: Header=BB273_543 Depth=1
	s_delay_alu instid0(SALU_CYCLE_1)
	s_or_b32 exec_lo, exec_lo, s13
.LBB273_1085:                           ;   in Loop: Header=BB273_543 Depth=1
	s_delay_alu instid0(SALU_CYCLE_1) | instskip(SKIP_4) | instid1(VALU_DEP_4)
	s_or_b32 exec_lo, exec_lo, s12
	v_or_b32_e32 v5, v13, v5
	v_or_b32_e32 v4, v12, v4
	;; [unrolled: 1-line block ×4, first 2 shown]
	v_mul_f32_e32 v12, v54, v5
	s_delay_alu instid0(VALU_DEP_4) | instskip(NEXT) | instid1(VALU_DEP_3)
	v_mul_f32_e32 v6, v52, v4
	v_dual_mul_f32 v4, v54, v13 :: v_dual_mul_f32 v5, v52, v14
	s_and_saveexec_b32 s0, vcc_lo
	s_cbranch_execz .LBB273_542
; %bb.1086:                             ;   in Loop: Header=BB273_543 Depth=1
	v_cmp_lt_i32_e32 vcc_lo, v67, v30
	v_cndmask_b32_e32 v6, 0, v6, vcc_lo
	v_cmp_lt_i32_e32 vcc_lo, v69, v30
	v_cndmask_b32_e32 v12, 0, v12, vcc_lo
	;; [unrolled: 2-line block ×4, first 2 shown]
	s_branch .LBB273_542
.LBB273_1087:
	s_or_b32 exec_lo, exec_lo, s5
	v_dual_mov_b32 v0, s6 :: v_dual_mov_b32 v1, s7
	v_dual_mov_b32 v52, v40 :: v_dual_mov_b32 v53, v41
	v_mov_b32_e32 v54, v42
.LBB273_1088:
	s_or_b32 exec_lo, exec_lo, s3
	s_delay_alu instid0(VALU_DEP_3)
	v_lshlrev_b64 v[0:1], 2, v[0:1]
	s_getpc_b64 s[6:7]
	s_add_u32 s6, s6, llvm.amdgcn.dynlds.offset.table@rel32@lo+4
	s_addc_u32 s7, s7, llvm.amdgcn.dynlds.offset.table@rel32@hi+12
	s_waitcnt lgkmcnt(0)
	s_waitcnt_vscnt null, 0x0
	s_barrier
	buffer_gl0_inv
	ds_bpermute_b32 v2, v24, v50
	v_add_co_u32 v0, vcc_lo, v0, s6
	v_add_co_ci_u32_e32 v1, vcc_lo, s7, v1, vcc_lo
	ds_bpermute_b32 v3, v24, v48
	ds_bpermute_b32 v4, v24, v39
	;; [unrolled: 1-line block ×3, first 2 shown]
	global_load_b32 v16, v[0:1], off
	ds_bpermute_b32 v0, v24, v49
	ds_bpermute_b32 v1, v24, v51
	;; [unrolled: 1-line block ×11, first 2 shown]
	s_waitcnt lgkmcnt(14)
	v_add_f32_e32 v2, v50, v2
	ds_bpermute_b32 v15, v24, v43
	s_mov_b32 s0, exec_lo
	s_waitcnt lgkmcnt(14)
	v_add_f32_e32 v3, v48, v3
	ds_bpermute_b32 v19, v23, v2
	s_waitcnt lgkmcnt(13)
	v_dual_add_f32 v4, v39, v4 :: v_dual_add_f32 v5, v38, v5
	s_waitcnt lgkmcnt(11)
	v_dual_add_f32 v0, v49, v0 :: v_dual_add_f32 v1, v51, v1
	ds_bpermute_b32 v20, v23, v3
	s_waitcnt lgkmcnt(10)
	v_dual_add_f32 v6, v37, v6 :: v_dual_add_f32 v7, v36, v7
	ds_bpermute_b32 v17, v23, v0
	ds_bpermute_b32 v18, v23, v1
	s_waitcnt lgkmcnt(10)
	v_dual_add_f32 v8, v35, v8 :: v_dual_add_f32 v9, v34, v9
	s_waitcnt lgkmcnt(8)
	v_dual_add_f32 v10, v33, v10 :: v_dual_add_f32 v11, v32, v11
	;; [unrolled: 2-line block ×4, first 2 shown]
	ds_bpermute_b32 v21, v23, v4
	ds_bpermute_b32 v24, v23, v5
	s_waitcnt lgkmcnt(5)
	v_add_f32_e32 v2, v2, v19
	ds_bpermute_b32 v26, v23, v6
	ds_bpermute_b32 v27, v23, v7
	;; [unrolled: 1-line block ×4, first 2 shown]
	s_waitcnt lgkmcnt(8)
	v_add_f32_e32 v3, v3, v20
	ds_bpermute_b32 v30, v23, v10
	ds_bpermute_b32 v31, v23, v11
	s_waitcnt lgkmcnt(8)
	v_dual_add_f32 v0, v0, v17 :: v_dual_add_f32 v1, v1, v18
	scratch_load_b32 v17, off, s32 offset:428 ; 4-byte Folded Reload
	ds_bpermute_b32 v32, v23, v12
	ds_bpermute_b32 v33, v23, v13
	;; [unrolled: 1-line block ×7, first 2 shown]
	s_waitcnt lgkmcnt(13)
	v_dual_add_f32 v4, v4, v21 :: v_dual_add_f32 v5, v5, v24
	ds_bpermute_b32 v21, v22, v3
	s_waitcnt lgkmcnt(12)
	v_dual_add_f32 v6, v6, v26 :: v_dual_add_f32 v7, v7, v27
	s_waitcnt lgkmcnt(10)
	v_dual_add_f32 v8, v8, v28 :: v_dual_add_f32 v9, v9, v29
	ds_bpermute_b32 v24, v22, v5
	s_waitcnt lgkmcnt(9)
	v_dual_add_f32 v10, v10, v30 :: v_dual_add_f32 v11, v11, v31
	ds_bpermute_b32 v26, v22, v6
	ds_bpermute_b32 v27, v22, v7
	;; [unrolled: 1-line block ×3, first 2 shown]
	s_waitcnt lgkmcnt(10)
	v_dual_add_f32 v12, v12, v32 :: v_dual_add_f32 v13, v13, v33
	s_waitcnt lgkmcnt(8)
	v_dual_add_f32 v0, v0, v18 :: v_dual_add_f32 v1, v1, v19
	scratch_load_b32 v18, off, s32 offset:424 ; 4-byte Folded Reload
	s_waitcnt lgkmcnt(6)
	v_dual_add_f32 v14, v14, v34 :: v_dual_add_f32 v15, v15, v23
	ds_bpermute_b32 v23, v22, v4
	ds_bpermute_b32 v29, v22, v9
	;; [unrolled: 1-line block ×8, first 2 shown]
	s_waitcnt lgkmcnt(13)
	v_dual_add_f32 v2, v2, v20 :: v_dual_and_b32 v35, 0x3c7, v54
	s_waitcnt lgkmcnt(12)
	v_add_f32_e32 v3, v3, v21
	s_waitcnt lgkmcnt(10)
	v_dual_add_f32 v5, v5, v24 :: v_dual_add_f32 v6, v6, v26
	s_waitcnt lgkmcnt(8)
	v_dual_add_f32 v7, v7, v27 :: v_dual_add_f32 v8, v8, v28
	;; [unrolled: 2-line block ×5, first 2 shown]
	s_waitcnt lgkmcnt(1)
	v_add_f32_e32 v14, v14, v34
	s_waitcnt lgkmcnt(0)
	v_add_f32_e32 v15, v15, v22
	s_waitcnt vmcnt(1)
	v_lshrrev_b32_e32 v17, 3, v17
	s_waitcnt vmcnt(0)
	v_lshl_add_u32 v18, v18, 8, v16
	v_cmpx_eq_u32_e32 64, v35
	s_cbranch_execz .LBB273_1090
; %bb.1089:
	v_lshlrev_b32_e32 v19, 2, v17
	s_delay_alu instid0(VALU_DEP_1)
	v_add3_u32 v19, v18, v19, 0xfffffe00
	ds_store_2addr_b32 v19, v0, v1 offset1:4
	ds_store_2addr_b32 v19, v2, v3 offset0:8 offset1:12
	ds_store_2addr_b32 v19, v4, v5 offset0:16 offset1:20
	;; [unrolled: 1-line block ×7, first 2 shown]
.LBB273_1090:
	s_or_b32 exec_lo, exec_lo, s0
	v_cmp_eq_u32_e32 vcc_lo, 0, v25
	s_mov_b32 s3, exec_lo
	s_waitcnt lgkmcnt(0)
	s_barrier
	buffer_gl0_inv
	v_cmpx_gt_u32_e32 64, v54
	s_cbranch_execz .LBB273_1109
; %bb.1091:
	s_and_saveexec_b32 s0, vcc_lo
	s_cbranch_execnz .LBB273_1133
; %bb.1092:
	s_or_b32 exec_lo, exec_lo, s0
	s_and_saveexec_b32 s0, vcc_lo
	s_cbranch_execnz .LBB273_1134
.LBB273_1093:
	s_or_b32 exec_lo, exec_lo, s0
	s_and_saveexec_b32 s0, vcc_lo
	s_cbranch_execnz .LBB273_1135
.LBB273_1094:
	s_or_b32 exec_lo, exec_lo, s0
	s_and_saveexec_b32 s0, vcc_lo
	s_cbranch_execnz .LBB273_1136
.LBB273_1095:
	s_or_b32 exec_lo, exec_lo, s0
	s_and_saveexec_b32 s0, vcc_lo
	s_cbranch_execnz .LBB273_1137
.LBB273_1096:
	s_or_b32 exec_lo, exec_lo, s0
	s_and_saveexec_b32 s0, vcc_lo
	s_cbranch_execnz .LBB273_1138
.LBB273_1097:
	s_or_b32 exec_lo, exec_lo, s0
	s_and_saveexec_b32 s0, vcc_lo
	s_cbranch_execnz .LBB273_1139
.LBB273_1098:
	s_or_b32 exec_lo, exec_lo, s0
	s_and_saveexec_b32 s0, vcc_lo
	s_cbranch_execnz .LBB273_1140
.LBB273_1099:
	s_or_b32 exec_lo, exec_lo, s0
	s_and_saveexec_b32 s0, vcc_lo
	s_cbranch_execnz .LBB273_1141
.LBB273_1100:
	s_or_b32 exec_lo, exec_lo, s0
	s_and_saveexec_b32 s0, vcc_lo
	s_cbranch_execnz .LBB273_1142
.LBB273_1101:
	s_or_b32 exec_lo, exec_lo, s0
	s_and_saveexec_b32 s0, vcc_lo
	s_cbranch_execnz .LBB273_1143
.LBB273_1102:
	s_or_b32 exec_lo, exec_lo, s0
	s_and_saveexec_b32 s0, vcc_lo
	s_cbranch_execnz .LBB273_1144
.LBB273_1103:
	s_or_b32 exec_lo, exec_lo, s0
	s_and_saveexec_b32 s0, vcc_lo
	s_cbranch_execnz .LBB273_1145
.LBB273_1104:
	s_or_b32 exec_lo, exec_lo, s0
	s_and_saveexec_b32 s0, vcc_lo
	s_cbranch_execnz .LBB273_1146
.LBB273_1105:
	s_or_b32 exec_lo, exec_lo, s0
	s_and_saveexec_b32 s0, vcc_lo
	s_cbranch_execnz .LBB273_1147
.LBB273_1106:
	s_or_b32 exec_lo, exec_lo, s0
	s_and_saveexec_b32 s0, vcc_lo
	s_cbranch_execz .LBB273_1108
.LBB273_1107:
	v_lshl_add_u32 v19, v17, 2, v18
	ds_load_b32 v19, v19 offset:240
	s_waitcnt lgkmcnt(0)
	v_add_f32_e32 v15, v19, v15
.LBB273_1108:
	s_or_b32 exec_lo, exec_lo, s0
.LBB273_1109:
	s_delay_alu instid0(SALU_CYCLE_1)
	s_or_b32 exec_lo, exec_lo, s3
	v_and_b32_e32 v19, 0x3e7, v54
	s_mov_b32 s3, exec_lo
	s_barrier
	buffer_gl0_inv
	v_cmpx_eq_u32_e32 32, v19
	s_cbranch_execz .LBB273_1111
; %bb.1110:
	v_lshl_add_u32 v16, v17, 2, v16
	ds_store_2addr_b32 v16, v0, v1 offset1:4
	ds_store_2addr_b32 v16, v2, v3 offset0:8 offset1:12
	ds_store_2addr_b32 v16, v4, v5 offset0:16 offset1:20
	;; [unrolled: 1-line block ×7, first 2 shown]
.LBB273_1111:
	s_or_b32 exec_lo, exec_lo, s3
	s_delay_alu instid0(SALU_CYCLE_1)
	s_mov_b32 s3, exec_lo
	s_waitcnt lgkmcnt(0)
	s_barrier
	buffer_gl0_inv
	v_cmpx_gt_u32_e32 32, v54
	s_cbranch_execz .LBB273_1130
; %bb.1112:
	v_lshl_add_u32 v16, v17, 2, v18
	s_and_saveexec_b32 s0, vcc_lo
	s_cbranch_execnz .LBB273_1148
; %bb.1113:
	s_or_b32 exec_lo, exec_lo, s0
	s_and_saveexec_b32 s0, vcc_lo
	s_cbranch_execnz .LBB273_1149
.LBB273_1114:
	s_or_b32 exec_lo, exec_lo, s0
	s_and_saveexec_b32 s0, vcc_lo
	s_cbranch_execnz .LBB273_1150
.LBB273_1115:
	s_or_b32 exec_lo, exec_lo, s0
	s_and_saveexec_b32 s0, vcc_lo
	s_cbranch_execnz .LBB273_1151
.LBB273_1116:
	s_or_b32 exec_lo, exec_lo, s0
	s_and_saveexec_b32 s0, vcc_lo
	s_cbranch_execnz .LBB273_1152
.LBB273_1117:
	s_or_b32 exec_lo, exec_lo, s0
	s_and_saveexec_b32 s0, vcc_lo
	s_cbranch_execnz .LBB273_1153
.LBB273_1118:
	s_or_b32 exec_lo, exec_lo, s0
	s_and_saveexec_b32 s0, vcc_lo
	s_cbranch_execnz .LBB273_1154
.LBB273_1119:
	s_or_b32 exec_lo, exec_lo, s0
	s_and_saveexec_b32 s0, vcc_lo
	s_cbranch_execnz .LBB273_1155
.LBB273_1120:
	s_or_b32 exec_lo, exec_lo, s0
	s_and_saveexec_b32 s0, vcc_lo
	s_cbranch_execnz .LBB273_1156
.LBB273_1121:
	s_or_b32 exec_lo, exec_lo, s0
	s_and_saveexec_b32 s0, vcc_lo
	s_cbranch_execnz .LBB273_1157
.LBB273_1122:
	s_or_b32 exec_lo, exec_lo, s0
	s_and_saveexec_b32 s0, vcc_lo
	s_cbranch_execnz .LBB273_1158
.LBB273_1123:
	s_or_b32 exec_lo, exec_lo, s0
	s_and_saveexec_b32 s0, vcc_lo
	s_cbranch_execnz .LBB273_1159
.LBB273_1124:
	s_or_b32 exec_lo, exec_lo, s0
	s_and_saveexec_b32 s0, vcc_lo
	s_cbranch_execnz .LBB273_1160
.LBB273_1125:
	s_or_b32 exec_lo, exec_lo, s0
	s_and_saveexec_b32 s0, vcc_lo
	s_cbranch_execnz .LBB273_1161
.LBB273_1126:
	s_or_b32 exec_lo, exec_lo, s0
	s_and_saveexec_b32 s0, vcc_lo
	s_cbranch_execnz .LBB273_1162
.LBB273_1127:
	s_or_b32 exec_lo, exec_lo, s0
	s_and_saveexec_b32 s0, vcc_lo
	s_cbranch_execz .LBB273_1129
.LBB273_1128:
	ds_load_b32 v16, v16 offset:240
	s_waitcnt lgkmcnt(0)
	v_add_f32_e32 v15, v16, v15
.LBB273_1129:
	s_or_b32 exec_lo, exec_lo, s0
.LBB273_1130:
	s_delay_alu instid0(SALU_CYCLE_1)
	s_or_b32 exec_lo, exec_lo, s3
	v_cmp_eq_u32_e32 vcc_lo, 0, v19
	s_barrier
	buffer_gl0_inv
	s_and_b32 exec_lo, exec_lo, vcc_lo
	s_cbranch_execz .LBB273_1132
; %bb.1131:
	s_lshl_b32 s0, s2, 6
	s_mul_i32 s2, s4, s1
	s_lshl_b32 s4, s14, 6
	s_ashr_i32 s3, s2, 31
	s_ashr_i32 s5, s4, 31
	;; [unrolled: 1-line block ×3, first 2 shown]
	s_lshl_b64 s[2:3], s[2:3], 2
	s_lshl_b64 s[4:5], s[4:5], 2
	;; [unrolled: 1-line block ×3, first 2 shown]
	s_add_u32 s2, s4, s2
	s_addc_u32 s3, s5, s3
	s_add_u32 s0, s2, s0
	s_addc_u32 s1, s3, s1
	v_lshrrev_b32_e32 v16, 1, v54
	v_add_co_u32 v17, vcc_lo, s0, v53
	v_add_co_ci_u32_e32 v18, vcc_lo, s1, v52, vcc_lo
	s_delay_alu instid0(VALU_DEP_2) | instskip(NEXT) | instid1(VALU_DEP_2)
	v_add_co_u32 v16, vcc_lo, v17, v16
	v_add_co_ci_u32_e32 v17, vcc_lo, 0, v18, vcc_lo
	s_clause 0xf
	flat_store_b32 v[16:17], v0
	flat_store_b32 v[16:17], v1 offset:16
	flat_store_b32 v[16:17], v2 offset:32
	;; [unrolled: 1-line block ×15, first 2 shown]
.LBB273_1132:
	s_or_b32 exec_lo, exec_lo, s16
	s_clause 0x1f
	scratch_load_b32 v191, off, s32
	scratch_load_b32 v190, off, s32 offset:4
	scratch_load_b32 v189, off, s32 offset:8
	;; [unrolled: 1-line block ×31, first 2 shown]
	s_clause 0x1f
	scratch_load_b32 v127, off, s32 offset:128
	scratch_load_b32 v126, off, s32 offset:132
	;; [unrolled: 1-line block ×32, first 2 shown]
	s_clause 0xf
	scratch_load_b32 v63, off, s32 offset:256
	scratch_load_b32 v62, off, s32 offset:260
	;; [unrolled: 1-line block ×16, first 2 shown]
	s_waitcnt vmcnt(0) lgkmcnt(0)
	s_setpc_b64 s[30:31]
.LBB273_1133:
	v_lshl_add_u32 v19, v17, 2, v18
	ds_load_b32 v19, v19
	s_waitcnt lgkmcnt(0)
	v_add_f32_e32 v0, v19, v0
	s_or_b32 exec_lo, exec_lo, s0
	s_and_saveexec_b32 s0, vcc_lo
	s_cbranch_execz .LBB273_1093
.LBB273_1134:
	v_lshl_add_u32 v19, v17, 2, v18
	ds_load_b32 v19, v19 offset:16
	s_waitcnt lgkmcnt(0)
	v_add_f32_e32 v1, v19, v1
	s_or_b32 exec_lo, exec_lo, s0
	s_and_saveexec_b32 s0, vcc_lo
	s_cbranch_execz .LBB273_1094
.LBB273_1135:
	v_lshl_add_u32 v19, v17, 2, v18
	ds_load_b32 v19, v19 offset:32
	s_waitcnt lgkmcnt(0)
	v_add_f32_e32 v2, v19, v2
	s_or_b32 exec_lo, exec_lo, s0
	s_and_saveexec_b32 s0, vcc_lo
	s_cbranch_execz .LBB273_1095
.LBB273_1136:
	v_lshl_add_u32 v19, v17, 2, v18
	ds_load_b32 v19, v19 offset:48
	s_waitcnt lgkmcnt(0)
	v_add_f32_e32 v3, v19, v3
	s_or_b32 exec_lo, exec_lo, s0
	s_and_saveexec_b32 s0, vcc_lo
	s_cbranch_execz .LBB273_1096
.LBB273_1137:
	v_lshl_add_u32 v19, v17, 2, v18
	ds_load_b32 v19, v19 offset:64
	s_waitcnt lgkmcnt(0)
	v_add_f32_e32 v4, v19, v4
	s_or_b32 exec_lo, exec_lo, s0
	s_and_saveexec_b32 s0, vcc_lo
	s_cbranch_execz .LBB273_1097
.LBB273_1138:
	v_lshl_add_u32 v19, v17, 2, v18
	ds_load_b32 v19, v19 offset:80
	s_waitcnt lgkmcnt(0)
	v_add_f32_e32 v5, v19, v5
	s_or_b32 exec_lo, exec_lo, s0
	s_and_saveexec_b32 s0, vcc_lo
	s_cbranch_execz .LBB273_1098
.LBB273_1139:
	v_lshl_add_u32 v19, v17, 2, v18
	ds_load_b32 v19, v19 offset:96
	s_waitcnt lgkmcnt(0)
	v_add_f32_e32 v6, v19, v6
	s_or_b32 exec_lo, exec_lo, s0
	s_and_saveexec_b32 s0, vcc_lo
	s_cbranch_execz .LBB273_1099
.LBB273_1140:
	v_lshl_add_u32 v19, v17, 2, v18
	ds_load_b32 v19, v19 offset:112
	s_waitcnt lgkmcnt(0)
	v_add_f32_e32 v7, v19, v7
	s_or_b32 exec_lo, exec_lo, s0
	s_and_saveexec_b32 s0, vcc_lo
	s_cbranch_execz .LBB273_1100
.LBB273_1141:
	v_lshl_add_u32 v19, v17, 2, v18
	ds_load_b32 v19, v19 offset:128
	s_waitcnt lgkmcnt(0)
	v_add_f32_e32 v8, v19, v8
	s_or_b32 exec_lo, exec_lo, s0
	s_and_saveexec_b32 s0, vcc_lo
	s_cbranch_execz .LBB273_1101
.LBB273_1142:
	v_lshl_add_u32 v19, v17, 2, v18
	ds_load_b32 v19, v19 offset:144
	s_waitcnt lgkmcnt(0)
	v_add_f32_e32 v9, v19, v9
	s_or_b32 exec_lo, exec_lo, s0
	s_and_saveexec_b32 s0, vcc_lo
	s_cbranch_execz .LBB273_1102
.LBB273_1143:
	v_lshl_add_u32 v19, v17, 2, v18
	ds_load_b32 v19, v19 offset:160
	s_waitcnt lgkmcnt(0)
	v_add_f32_e32 v10, v19, v10
	s_or_b32 exec_lo, exec_lo, s0
	s_and_saveexec_b32 s0, vcc_lo
	s_cbranch_execz .LBB273_1103
.LBB273_1144:
	v_lshl_add_u32 v19, v17, 2, v18
	ds_load_b32 v19, v19 offset:176
	s_waitcnt lgkmcnt(0)
	v_add_f32_e32 v11, v19, v11
	s_or_b32 exec_lo, exec_lo, s0
	s_and_saveexec_b32 s0, vcc_lo
	s_cbranch_execz .LBB273_1104
.LBB273_1145:
	v_lshl_add_u32 v19, v17, 2, v18
	ds_load_b32 v19, v19 offset:192
	s_waitcnt lgkmcnt(0)
	v_add_f32_e32 v12, v19, v12
	s_or_b32 exec_lo, exec_lo, s0
	s_and_saveexec_b32 s0, vcc_lo
	s_cbranch_execz .LBB273_1105
.LBB273_1146:
	v_lshl_add_u32 v19, v17, 2, v18
	ds_load_b32 v19, v19 offset:208
	s_waitcnt lgkmcnt(0)
	v_add_f32_e32 v13, v19, v13
	s_or_b32 exec_lo, exec_lo, s0
	s_and_saveexec_b32 s0, vcc_lo
	s_cbranch_execz .LBB273_1106
.LBB273_1147:
	v_lshl_add_u32 v19, v17, 2, v18
	ds_load_b32 v19, v19 offset:224
	s_waitcnt lgkmcnt(0)
	v_add_f32_e32 v14, v19, v14
	s_or_b32 exec_lo, exec_lo, s0
	s_and_saveexec_b32 s0, vcc_lo
	s_cbranch_execnz .LBB273_1107
	s_branch .LBB273_1108
.LBB273_1148:
	ds_load_b32 v17, v16
	s_waitcnt lgkmcnt(0)
	v_add_f32_e32 v0, v17, v0
	s_or_b32 exec_lo, exec_lo, s0
	s_and_saveexec_b32 s0, vcc_lo
	s_cbranch_execz .LBB273_1114
.LBB273_1149:
	ds_load_b32 v17, v16 offset:16
	s_waitcnt lgkmcnt(0)
	v_add_f32_e32 v1, v17, v1
	s_or_b32 exec_lo, exec_lo, s0
	s_and_saveexec_b32 s0, vcc_lo
	s_cbranch_execz .LBB273_1115
.LBB273_1150:
	ds_load_b32 v17, v16 offset:32
	s_waitcnt lgkmcnt(0)
	v_add_f32_e32 v2, v17, v2
	s_or_b32 exec_lo, exec_lo, s0
	s_and_saveexec_b32 s0, vcc_lo
	s_cbranch_execz .LBB273_1116
.LBB273_1151:
	ds_load_b32 v17, v16 offset:48
	s_waitcnt lgkmcnt(0)
	v_add_f32_e32 v3, v17, v3
	s_or_b32 exec_lo, exec_lo, s0
	s_and_saveexec_b32 s0, vcc_lo
	s_cbranch_execz .LBB273_1117
.LBB273_1152:
	ds_load_b32 v17, v16 offset:64
	s_waitcnt lgkmcnt(0)
	v_add_f32_e32 v4, v17, v4
	s_or_b32 exec_lo, exec_lo, s0
	s_and_saveexec_b32 s0, vcc_lo
	s_cbranch_execz .LBB273_1118
.LBB273_1153:
	ds_load_b32 v17, v16 offset:80
	s_waitcnt lgkmcnt(0)
	v_add_f32_e32 v5, v17, v5
	s_or_b32 exec_lo, exec_lo, s0
	s_and_saveexec_b32 s0, vcc_lo
	s_cbranch_execz .LBB273_1119
.LBB273_1154:
	ds_load_b32 v17, v16 offset:96
	s_waitcnt lgkmcnt(0)
	v_add_f32_e32 v6, v17, v6
	s_or_b32 exec_lo, exec_lo, s0
	s_and_saveexec_b32 s0, vcc_lo
	s_cbranch_execz .LBB273_1120
.LBB273_1155:
	ds_load_b32 v17, v16 offset:112
	s_waitcnt lgkmcnt(0)
	v_add_f32_e32 v7, v17, v7
	s_or_b32 exec_lo, exec_lo, s0
	s_and_saveexec_b32 s0, vcc_lo
	s_cbranch_execz .LBB273_1121
.LBB273_1156:
	ds_load_b32 v17, v16 offset:128
	s_waitcnt lgkmcnt(0)
	v_add_f32_e32 v8, v17, v8
	s_or_b32 exec_lo, exec_lo, s0
	s_and_saveexec_b32 s0, vcc_lo
	s_cbranch_execz .LBB273_1122
.LBB273_1157:
	ds_load_b32 v17, v16 offset:144
	s_waitcnt lgkmcnt(0)
	v_add_f32_e32 v9, v17, v9
	s_or_b32 exec_lo, exec_lo, s0
	s_and_saveexec_b32 s0, vcc_lo
	s_cbranch_execz .LBB273_1123
.LBB273_1158:
	ds_load_b32 v17, v16 offset:160
	s_waitcnt lgkmcnt(0)
	v_add_f32_e32 v10, v17, v10
	s_or_b32 exec_lo, exec_lo, s0
	s_and_saveexec_b32 s0, vcc_lo
	s_cbranch_execz .LBB273_1124
.LBB273_1159:
	ds_load_b32 v17, v16 offset:176
	s_waitcnt lgkmcnt(0)
	v_add_f32_e32 v11, v17, v11
	s_or_b32 exec_lo, exec_lo, s0
	s_and_saveexec_b32 s0, vcc_lo
	s_cbranch_execz .LBB273_1125
.LBB273_1160:
	ds_load_b32 v17, v16 offset:192
	s_waitcnt lgkmcnt(0)
	v_add_f32_e32 v12, v17, v12
	s_or_b32 exec_lo, exec_lo, s0
	s_and_saveexec_b32 s0, vcc_lo
	s_cbranch_execz .LBB273_1126
.LBB273_1161:
	ds_load_b32 v17, v16 offset:208
	s_waitcnt lgkmcnt(0)
	v_add_f32_e32 v13, v17, v13
	s_or_b32 exec_lo, exec_lo, s0
	s_and_saveexec_b32 s0, vcc_lo
	s_cbranch_execz .LBB273_1127
.LBB273_1162:
	ds_load_b32 v17, v16 offset:224
	s_waitcnt lgkmcnt(0)
	v_add_f32_e32 v14, v17, v14
	s_or_b32 exec_lo, exec_lo, s0
	s_and_saveexec_b32 s0, vcc_lo
	s_cbranch_execnz .LBB273_1128
	s_branch .LBB273_1129
.Lfunc_end273:
	.size	_ZN4vllm22paged_attention_kernelIfhLi64ELi32ELi128ELNS_18Fp8KVCacheDataTypeE1ELb0ELi512EEEvPfS2_PT_PKS3_PKT0_S9_ifPKiSB_iPKfiiiSD_SD_iiiii, .Lfunc_end273-_ZN4vllm22paged_attention_kernelIfhLi64ELi32ELi128ELNS_18Fp8KVCacheDataTypeE1ELb0ELi512EEEvPfS2_PT_PKS3_PKT0_S9_ifPKiSB_iPKfiiiSD_SD_iiiii
                                        ; -- End function
	.section	.AMDGPU.csdata,"",@progbits
; Function info:
; codeLenInByte = 40320
; NumSgprs: 35
; NumVgprs: 192
; ScratchSize: 512
; MemoryBound: 0
	.section	.text._ZN4vllm25paged_attention_v2_kernelIfhLi64ELi32ELi128ELNS_18Fp8KVCacheDataTypeE1ELb0ELi512EEEvPfS2_PT_PKS3_PKT0_S9_ifPKiSB_iPKfiiiSD_SD_iiiii,"axG",@progbits,_ZN4vllm25paged_attention_v2_kernelIfhLi64ELi32ELi128ELNS_18Fp8KVCacheDataTypeE1ELb0ELi512EEEvPfS2_PT_PKS3_PKT0_S9_ifPKiSB_iPKfiiiSD_SD_iiiii,comdat
	.protected	_ZN4vllm25paged_attention_v2_kernelIfhLi64ELi32ELi128ELNS_18Fp8KVCacheDataTypeE1ELb0ELi512EEEvPfS2_PT_PKS3_PKT0_S9_ifPKiSB_iPKfiiiSD_SD_iiiii ; -- Begin function _ZN4vllm25paged_attention_v2_kernelIfhLi64ELi32ELi128ELNS_18Fp8KVCacheDataTypeE1ELb0ELi512EEEvPfS2_PT_PKS3_PKT0_S9_ifPKiSB_iPKfiiiSD_SD_iiiii
	.globl	_ZN4vllm25paged_attention_v2_kernelIfhLi64ELi32ELi128ELNS_18Fp8KVCacheDataTypeE1ELb0ELi512EEEvPfS2_PT_PKS3_PKT0_S9_ifPKiSB_iPKfiiiSD_SD_iiiii
	.p2align	8
	.type	_ZN4vllm25paged_attention_v2_kernelIfhLi64ELi32ELi128ELNS_18Fp8KVCacheDataTypeE1ELb0ELi512EEEvPfS2_PT_PKS3_PKT0_S9_ifPKiSB_iPKfiiiSD_SD_iiiii,@function
_ZN4vllm25paged_attention_v2_kernelIfhLi64ELi32ELi128ELNS_18Fp8KVCacheDataTypeE1ELb0ELi512EEEvPfS2_PT_PKS3_PKT0_S9_ifPKiSB_iPKfiiiSD_SD_iiiii: ; @_ZN4vllm25paged_attention_v2_kernelIfhLi64ELi32ELi128ELNS_18Fp8KVCacheDataTypeE1ELb0ELi512EEEvPfS2_PT_PKS3_PKT0_S9_ifPKiSB_iPKfiiiSD_SD_iiiii
; %bb.0:
	s_clause 0x5
	s_load_b256 s[24:31], s[0:1], 0x0
	s_load_b256 s[16:23], s[0:1], 0x20
	s_load_b64 s[2:3], s[0:1], 0x40
	s_load_b64 s[4:5], s[0:1], 0x50
	s_load_b32 s6, s[0:1], 0x48
	s_load_b256 s[36:43], s[0:1], 0x58
	v_mov_b32_e32 v31, v0
	s_add_u32 s8, s0, 0x90
	s_mov_b32 s12, s13
	s_addc_u32 s9, s1, 0
	s_mov_b32 s13, s14
	s_mov_b32 s14, s15
	s_movk_i32 s15, 0x4d
	s_mov_b32 s32, 0
	s_getpc_b64 s[0:1]
	s_add_u32 s0, s0, _ZN4vllm22paged_attention_kernelIfhLi64ELi32ELi128ELNS_18Fp8KVCacheDataTypeE1ELb0ELi512EEEvPfS2_PT_PKS3_PKT0_S9_ifPKiSB_iPKfiiiSD_SD_iiiii@rel32@lo+4
	s_addc_u32 s1, s1, _ZN4vllm22paged_attention_kernelIfhLi64ELi32ELi128ELNS_18Fp8KVCacheDataTypeE1ELb0ELi512EEEvPfS2_PT_PKS3_PKT0_S9_ifPKiSB_iPKfiiiSD_SD_iiiii@rel32@hi+12
	s_waitcnt lgkmcnt(0)
	v_dual_mov_b32 v0, s24 :: v_dual_mov_b32 v1, s25
	v_dual_mov_b32 v2, s26 :: v_dual_mov_b32 v3, s27
	;; [unrolled: 1-line block ×14, first 2 shown]
	s_swappc_b64 s[30:31], s[0:1]
	s_endpgm
	.section	.rodata,"a",@progbits
	.p2align	6, 0x0
	.amdhsa_kernel _ZN4vllm25paged_attention_v2_kernelIfhLi64ELi32ELi128ELNS_18Fp8KVCacheDataTypeE1ELb0ELi512EEEvPfS2_PT_PKS3_PKT0_S9_ifPKiSB_iPKfiiiSD_SD_iiiii
		.amdhsa_group_segment_fixed_size 288
		.amdhsa_private_segment_fixed_size 512
		.amdhsa_kernarg_size 400
		.amdhsa_user_sgpr_count 13
		.amdhsa_user_sgpr_dispatch_ptr 0
		.amdhsa_user_sgpr_queue_ptr 0
		.amdhsa_user_sgpr_kernarg_segment_ptr 1
		.amdhsa_user_sgpr_dispatch_id 0
		.amdhsa_user_sgpr_private_segment_size 0
		.amdhsa_wavefront_size32 1
		.amdhsa_uses_dynamic_stack 0
		.amdhsa_enable_private_segment 1
		.amdhsa_system_sgpr_workgroup_id_x 1
		.amdhsa_system_sgpr_workgroup_id_y 1
		.amdhsa_system_sgpr_workgroup_id_z 1
		.amdhsa_system_sgpr_workgroup_info 0
		.amdhsa_system_vgpr_workitem_id 0
		.amdhsa_next_free_vgpr 192
		.amdhsa_next_free_sgpr 44
		.amdhsa_reserve_vcc 1
		.amdhsa_float_round_mode_32 0
		.amdhsa_float_round_mode_16_64 0
		.amdhsa_float_denorm_mode_32 3
		.amdhsa_float_denorm_mode_16_64 3
		.amdhsa_dx10_clamp 1
		.amdhsa_ieee_mode 1
		.amdhsa_fp16_overflow 0
		.amdhsa_workgroup_processor_mode 1
		.amdhsa_memory_ordered 1
		.amdhsa_forward_progress 0
		.amdhsa_shared_vgpr_count 0
		.amdhsa_exception_fp_ieee_invalid_op 0
		.amdhsa_exception_fp_denorm_src 0
		.amdhsa_exception_fp_ieee_div_zero 0
		.amdhsa_exception_fp_ieee_overflow 0
		.amdhsa_exception_fp_ieee_underflow 0
		.amdhsa_exception_fp_ieee_inexact 0
		.amdhsa_exception_int_div_zero 0
	.end_amdhsa_kernel
	.section	.text._ZN4vllm25paged_attention_v2_kernelIfhLi64ELi32ELi128ELNS_18Fp8KVCacheDataTypeE1ELb0ELi512EEEvPfS2_PT_PKS3_PKT0_S9_ifPKiSB_iPKfiiiSD_SD_iiiii,"axG",@progbits,_ZN4vllm25paged_attention_v2_kernelIfhLi64ELi32ELi128ELNS_18Fp8KVCacheDataTypeE1ELb0ELi512EEEvPfS2_PT_PKS3_PKT0_S9_ifPKiSB_iPKfiiiSD_SD_iiiii,comdat
.Lfunc_end274:
	.size	_ZN4vllm25paged_attention_v2_kernelIfhLi64ELi32ELi128ELNS_18Fp8KVCacheDataTypeE1ELb0ELi512EEEvPfS2_PT_PKS3_PKT0_S9_ifPKiSB_iPKfiiiSD_SD_iiiii, .Lfunc_end274-_ZN4vllm25paged_attention_v2_kernelIfhLi64ELi32ELi128ELNS_18Fp8KVCacheDataTypeE1ELb0ELi512EEEvPfS2_PT_PKS3_PKT0_S9_ifPKiSB_iPKfiiiSD_SD_iiiii
                                        ; -- End function
	.section	.AMDGPU.csdata,"",@progbits
; Kernel info:
; codeLenInByte = 232
; NumSgprs: 46
; NumVgprs: 192
; ScratchSize: 512
; MemoryBound: 0
; FloatMode: 240
; IeeeMode: 1
; LDSByteSize: 288 bytes/workgroup (compile time only)
; SGPRBlocks: 5
; VGPRBlocks: 23
; NumSGPRsForWavesPerEU: 46
; NumVGPRsForWavesPerEU: 192
; Occupancy: 8
; WaveLimiterHint : 1
; COMPUTE_PGM_RSRC2:SCRATCH_EN: 1
; COMPUTE_PGM_RSRC2:USER_SGPR: 13
; COMPUTE_PGM_RSRC2:TRAP_HANDLER: 0
; COMPUTE_PGM_RSRC2:TGID_X_EN: 1
; COMPUTE_PGM_RSRC2:TGID_Y_EN: 1
; COMPUTE_PGM_RSRC2:TGID_Z_EN: 1
; COMPUTE_PGM_RSRC2:TIDIG_COMP_CNT: 0
	.text
	.p2align	2                               ; -- Begin function _ZN4vllm22paged_attention_kernelIfhLi80ELi32ELi128ELNS_18Fp8KVCacheDataTypeE1ELb0ELi512EEEvPfS2_PT_PKS3_PKT0_S9_ifPKiSB_iPKfiiiSD_SD_iiiii
	.type	_ZN4vllm22paged_attention_kernelIfhLi80ELi32ELi128ELNS_18Fp8KVCacheDataTypeE1ELb0ELi512EEEvPfS2_PT_PKS3_PKT0_S9_ifPKiSB_iPKfiiiSD_SD_iiiii,@function
_ZN4vllm22paged_attention_kernelIfhLi80ELi32ELi128ELNS_18Fp8KVCacheDataTypeE1ELb0ELi512EEEvPfS2_PT_PKS3_PKT0_S9_ifPKiSB_iPKfiiiSD_SD_iiiii: ; @_ZN4vllm22paged_attention_kernelIfhLi80ELi32ELi128ELNS_18Fp8KVCacheDataTypeE1ELb0ELi512EEEvPfS2_PT_PKS3_PKT0_S9_ifPKiSB_iPKfiiiSD_SD_iiiii
; %bb.0:
	s_waitcnt vmcnt(0) expcnt(0) lgkmcnt(0)
	s_clause 0x1f
	scratch_store_b32 off, v40, s32 offset:316
	; meta instruction
	scratch_store_b32 off, v41, s32 offset:312
	; meta instruction
	;; [unrolled: 2-line block ×31, first 2 shown]
	scratch_store_b32 off, v95, s32 offset:192
	s_clause 0x1f
	scratch_store_b32 off, v104, s32 offset:188
	; meta instruction
	scratch_store_b32 off, v105, s32 offset:184
	; meta instruction
	;; [unrolled: 2-line block ×31, first 2 shown]
	scratch_store_b32 off, v159, s32 offset:64
	s_clause 0xf
	scratch_store_b32 off, v168, s32 offset:60
	; meta instruction
	scratch_store_b32 off, v169, s32 offset:56
	; meta instruction
	;; [unrolled: 2-line block ×15, first 2 shown]
	scratch_store_b32 off, v191, s32
	s_mov_b32 s10, s13
	s_ashr_i32 s11, s13, 31
	v_dual_mov_b32 v30, v3 :: v_dual_mov_b32 v29, v0
	s_lshl_b64 s[0:1], s[10:11], 2
	v_mov_b32_e32 v28, v1
	v_add_co_u32 v0, vcc_lo, v16, s0
	v_add_co_ci_u32_e32 v1, vcc_lo, s1, v17, vcc_lo
	s_clause 0x3
	scratch_store_b32 off, v22, s32 offset:320
	scratch_store_b32 off, v13, s32 offset:328
	;; [unrolled: 1-line block ×4, first 2 shown]
	v_mov_b32_e32 v32, v2
	s_lshl_b32 s11, s14, 9
	flat_load_b32 v119, v[0:1]
	s_mov_b32 s16, exec_lo
	s_waitcnt vmcnt(0) lgkmcnt(0)
	v_cmpx_lt_i32_e64 s11, v119
	s_cbranch_execz .LBB275_1404
; %bb.1:
	v_sub_nc_u32_e32 v0, 0, v12
	s_clause 0x1
	s_load_b32 s0, s[8:9], 0x10
	s_load_b32 s1, s[8:9], 0x0
	s_mov_b32 s6, s15
	v_max_i32_e32 v0, v12, v0
	s_delay_alu instid0(VALU_DEP_1) | instskip(SKIP_1) | instid1(VALU_DEP_2)
	v_cvt_f32_u32_e32 v1, v0
	v_sub_nc_u32_e32 v2, 0, v0
	v_rcp_iflag_f32_e32 v1, v1
	s_waitcnt lgkmcnt(0)
	s_lshr_b32 s0, s0, 16
	s_delay_alu instid0(SALU_CYCLE_1)
	s_cmp_lg_u32 s0, 0
	s_cselect_b32 s0, -1, 0
	s_waitcnt_depctr 0xfff
	v_mul_f32_e32 v1, 0x4f7ffffe, v1
	s_cmp_lg_u32 s0, 0
	s_addc_u32 s15, s1, 0
	s_mov_b32 s1, exec_lo
	s_delay_alu instid0(VALU_DEP_1) | instskip(SKIP_1) | instid1(VALU_DEP_1)
	v_cvt_u32_f32_e32 v1, v1
	s_abs_i32 s0, s15
	v_mul_lo_u32 v2, v2, v1
	s_delay_alu instid0(VALU_DEP_1) | instskip(NEXT) | instid1(VALU_DEP_1)
	v_mul_hi_u32 v2, v1, v2
	v_add_nc_u32_e32 v1, v1, v2
	s_delay_alu instid0(VALU_DEP_1) | instskip(NEXT) | instid1(VALU_DEP_1)
	v_mul_hi_u32 v1, s0, v1
	v_mul_lo_u32 v2, v1, v0
	v_add_nc_u32_e32 v3, 1, v1
	s_delay_alu instid0(VALU_DEP_2) | instskip(SKIP_1) | instid1(VALU_DEP_1)
	v_sub_nc_u32_e32 v2, s0, v2
	s_abs_i32 s0, s12
	v_sub_nc_u32_e32 v4, v2, v0
	v_cmp_ge_u32_e32 vcc_lo, v2, v0
	s_delay_alu instid0(VALU_DEP_2) | instskip(SKIP_1) | instid1(VALU_DEP_2)
	v_dual_cndmask_b32 v1, v1, v3 :: v_dual_cndmask_b32 v2, v2, v4
	v_xor_b32_e32 v3, s15, v12
	v_add_nc_u32_e32 v4, 1, v1
	s_delay_alu instid0(VALU_DEP_3) | instskip(NEXT) | instid1(VALU_DEP_3)
	v_cmp_ge_u32_e32 vcc_lo, v2, v0
	v_ashrrev_i32_e32 v3, 31, v3
	s_delay_alu instid0(VALU_DEP_3) | instskip(NEXT) | instid1(VALU_DEP_1)
	v_cndmask_b32_e32 v0, v1, v4, vcc_lo
	v_xor_b32_e32 v0, v0, v3
	s_delay_alu instid0(VALU_DEP_1) | instskip(NEXT) | instid1(VALU_DEP_1)
	v_sub_nc_u32_e32 v3, v0, v3
	v_sub_nc_u32_e32 v0, 0, v3
	s_delay_alu instid0(VALU_DEP_1) | instskip(NEXT) | instid1(VALU_DEP_1)
	v_max_i32_e32 v2, v3, v0
	v_cvt_f32_u32_e32 v0, v2
	v_sub_nc_u32_e32 v1, 0, v2
	s_delay_alu instid0(VALU_DEP_2) | instskip(SKIP_2) | instid1(VALU_DEP_1)
	v_rcp_iflag_f32_e32 v0, v0
	s_waitcnt_depctr 0xfff
	v_mul_f32_e32 v0, 0x4f7ffffe, v0
	v_cvt_u32_f32_e32 v0, v0
	s_delay_alu instid0(VALU_DEP_1) | instskip(NEXT) | instid1(VALU_DEP_1)
	v_mul_lo_u32 v1, v1, v0
	v_mul_hi_u32 v1, v0, v1
	s_delay_alu instid0(VALU_DEP_1) | instskip(NEXT) | instid1(VALU_DEP_1)
	v_add_nc_u32_e32 v4, v0, v1
	v_mad_u64_u32 v[0:1], null, s0, v4, 0
	v_mov_b32_e32 v0, 0
	scratch_store_b32 off, v0, s32 offset:332 ; 4-byte Folded Spill
	v_cmpx_ne_u64_e32 0, v[19:20]
	s_cbranch_execz .LBB275_3
; %bb.2:
	s_ashr_i32 s13, s12, 31
	s_delay_alu instid0(SALU_CYCLE_1) | instskip(NEXT) | instid1(SALU_CYCLE_1)
	s_lshl_b64 s[2:3], s[12:13], 2
	v_add_co_u32 v4, vcc_lo, v19, s2
	v_add_co_ci_u32_e32 v5, vcc_lo, s3, v20, vcc_lo
	flat_load_b32 v0, v[4:5]
	s_waitcnt vmcnt(0) lgkmcnt(0)
	scratch_store_b32 off, v0, s32 offset:332 ; 4-byte Folded Spill
.LBB275_3:
	s_or_b32 exec_lo, exec_lo, s1
	v_and_b32_e32 v12, 0x3ff, v31
	v_ashrrev_i32_e32 v0, 31, v3
	s_ashr_i32 s1, s12, 31
	s_mul_i32 s4, s12, 0x50
	s_mov_b32 s2, exec_lo
	v_cmpx_gt_u32_e32 20, v12
	s_cbranch_execz .LBB275_5
; %bb.4:
	v_mul_lo_u32 v3, s10, v21
	s_ashr_i32 s5, s4, 31
	v_lshlrev_b32_e32 v13, 4, v12
	s_lshl_b64 s[18:19], s[4:5], 2
	s_delay_alu instid0(VALU_DEP_2) | instskip(NEXT) | instid1(VALU_DEP_1)
	v_ashrrev_i32_e32 v4, 31, v3
	v_lshlrev_b64 v[3:4], 2, v[3:4]
	s_delay_alu instid0(VALU_DEP_1) | instskip(NEXT) | instid1(VALU_DEP_2)
	v_add_co_u32 v3, vcc_lo, v6, v3
	v_add_co_ci_u32_e32 v4, vcc_lo, v7, v4, vcc_lo
	s_delay_alu instid0(VALU_DEP_2) | instskip(NEXT) | instid1(VALU_DEP_2)
	v_add_co_u32 v3, vcc_lo, v3, s18
	v_add_co_ci_u32_e32 v4, vcc_lo, s19, v4, vcc_lo
	s_delay_alu instid0(VALU_DEP_2) | instskip(NEXT) | instid1(VALU_DEP_2)
	v_add_co_u32 v3, vcc_lo, v3, v13
	v_add_co_ci_u32_e32 v4, vcc_lo, 0, v4, vcc_lo
	flat_load_b128 v[3:6], v[3:4]
	s_waitcnt vmcnt(0) lgkmcnt(0)
	ds_store_b128 v13, v[3:6]
.LBB275_5:
	s_or_b32 exec_lo, exec_lo, s2
	v_mul_lo_u32 v3, v1, v2
	v_dual_mov_b32 v118, 0xff7fffff :: v_dual_add_nc_u32 v5, 31, v119
	v_xor_b32_e32 v7, s1, v0
	s_lshl_b32 s13, s14, 4
	s_clause 0x1
	s_load_b32 s17, s[8:9], 0x14
	s_load_b32 s5, s[8:9], 0x8
	v_mul_lo_u32 v0, s10, v18
	v_sub_nc_u32_e32 v3, s0, v3
	s_add_i32 s0, s13, 16
	s_delay_alu instid0(VALU_DEP_1) | instskip(SKIP_1) | instid1(VALU_DEP_2)
	v_sub_nc_u32_e32 v6, v3, v2
	v_cmp_ge_u32_e32 vcc_lo, v3, v2
	v_dual_cndmask_b32 v3, v3, v6 :: v_dual_add_nc_u32 v4, 1, v1
	s_delay_alu instid0(VALU_DEP_1) | instskip(SKIP_1) | instid1(VALU_DEP_3)
	v_cndmask_b32_e32 v1, v1, v4, vcc_lo
	v_ashrrev_i32_e32 v4, 31, v5
	v_cmp_ge_u32_e32 vcc_lo, v3, v2
	s_delay_alu instid0(VALU_DEP_3) | instskip(NEXT) | instid1(VALU_DEP_3)
	v_add_nc_u32_e32 v6, 1, v1
	v_lshrrev_b32_e32 v4, 27, v4
	s_delay_alu instid0(VALU_DEP_1) | instskip(SKIP_1) | instid1(VALU_DEP_4)
	v_add_nc_u32_e32 v2, v5, v4
	v_lshrrev_b32_e32 v4, 5, v12
	v_dual_cndmask_b32 v1, v1, v6 :: v_dual_and_b32 v6, 31, v12
	s_delay_alu instid0(VALU_DEP_3) | instskip(NEXT) | instid1(VALU_DEP_3)
	v_ashrrev_i32_e32 v16, 5, v2
	v_add_nc_u32_e32 v20, s13, v4
	s_delay_alu instid0(VALU_DEP_3) | instskip(NEXT) | instid1(VALU_DEP_4)
	v_xor_b32_e32 v1, v1, v7
	v_lshlrev_b32_e32 v19, 2, v6
	s_delay_alu instid0(VALU_DEP_4)
	v_min_i32_e32 v2, s0, v16
	s_clause 0x1
	scratch_store_b32 off, v4, s32 offset:620
	scratch_store_b32 off, v12, s32 offset:616
	v_sub_nc_u32_e32 v3, v1, v7
	v_ashrrev_i32_e32 v1, 31, v0
	scratch_store_b32 off, v2, s32 offset:324 ; 4-byte Folded Spill
	v_ashrrev_i32_e32 v21, 31, v20
	v_cmp_ge_i32_e64 s0, v20, v2
	v_mul_lo_u32 v17, v3, v23
	v_lshlrev_b64 v[12:13], 2, v[0:1]
	v_cmp_lt_i32_e32 vcc_lo, v20, v2
	s_waitcnt lgkmcnt(0)
	s_waitcnt_vscnt null, 0x0
	s_barrier
	buffer_gl0_inv
	v_ashrrev_i32_e32 v18, 31, v17
	s_mov_b32 s18, exec_lo
	s_delay_alu instid0(SALU_CYCLE_1)
	s_and_b32 s1, s18, vcc_lo
	scratch_store_b32 off, v6, s32 offset:632 ; 4-byte Folded Spill
	s_mov_b32 exec_lo, s1
	s_cbranch_execz .LBB275_649
; %bb.6:
	v_dual_mov_b32 v167, 0 :: v_dual_lshlrev_b32 v0, 4, v6
	v_add_co_u32 v1, vcc_lo, v8, v17
	v_add_co_ci_u32_e32 v2, vcc_lo, v9, v18, vcc_lo
	s_clause 0x7
	scratch_store_b32 off, v16, s32 offset:684
	scratch_store_b32 off, v32, s32 offset:672
	;; [unrolled: 1-line block ×7, first 2 shown]
	scratch_store_b64 off, v[26:27], s32 offset:644
	v_add_co_u32 v0, vcc_lo, v1, v0
	v_add_co_ci_u32_e32 v1, vcc_lo, 0, v2, vcc_lo
	scratch_store_b32 off, v17, s32 offset:688 ; 4-byte Folded Spill
	s_ashr_i32 s7, s6, 31
	s_getpc_b64 s[2:3]
	s_add_u32 s2, s2, llvm.amdgcn.dynlds.offset.table@rel32@lo+4
	s_addc_u32 s3, s3, llvm.amdgcn.dynlds.offset.table@rel32@hi+12
	scratch_store_b64 off, v[0:1], s32 offset:336 ; 8-byte Folded Spill
	ds_load_b128 v[0:3], v167
	scratch_store_b32 off, v18, s32 offset:692 ; 4-byte Folded Spill
	s_lshl_b64 s[8:9], s[6:7], 2
	v_mov_b32_e32 v128, v20
	s_add_u32 s2, s8, s2
	s_addc_u32 s3, s9, s3
	s_mov_b32 s9, 0x7f800001
	s_load_b32 s2, s[2:3], 0x0
	v_mov_b32_e32 v118, 0xff7fffff
	s_waitcnt lgkmcnt(0)
	scratch_store_b128 off, v[0:3], s32 offset:344 ; 16-byte Folded Spill
	ds_load_b128 v[0:3], v167 offset:16
	s_waitcnt lgkmcnt(0)
	scratch_store_b128 off, v[0:3], s32 offset:360 ; 16-byte Folded Spill
	ds_load_b128 v[0:3], v167 offset:32
	;; [unrolled: 3-line block ×14, first 2 shown]
	v_lshlrev_b64 v[0:1], 2, v[20:21]
	s_delay_alu instid0(VALU_DEP_1) | instskip(NEXT) | instid1(VALU_DEP_1)
	v_add_co_u32 v0, s1, v12, v0
	v_add_co_ci_u32_e64 v1, s1, v13, v1, s1
	s_delay_alu instid0(VALU_DEP_2) | instskip(NEXT) | instid1(VALU_DEP_1)
	v_add_co_u32 v178, s1, v14, v0
	v_add_co_ci_u32_e64 v179, s1, v15, v1, s1
	s_waitcnt lgkmcnt(0)
	scratch_store_b128 off, v[2:5], s32 offset:568 ; 16-byte Folded Spill
	ds_load_b128 v[2:5], v167 offset:240
	s_waitcnt lgkmcnt(0)
	scratch_store_b128 off, v[2:5], s32 offset:584 ; 16-byte Folded Spill
	scratch_load_b32 v2, off, s32 offset:332 ; 4-byte Folded Reload
	s_waitcnt vmcnt(0)
	v_cmp_neq_f32_e32 vcc_lo, 0, v2
	ds_load_b128 v[2:5], v167 offset:256
	s_waitcnt lgkmcnt(0)
	scratch_store_b128 off, v[2:5], s32 offset:600 ; 16-byte Folded Spill
	ds_load_b128 v[144:147], v167 offset:272
	ds_load_b128 v[148:151], v167 offset:288
	;; [unrolled: 1-line block ×3, first 2 shown]
	scratch_load_b32 v3, off, s32 offset:620 ; 4-byte Folded Reload
	s_clause 0x3
	scratch_store_b64 off, v[12:13], s32 offset:676
	scratch_store_b32 off, v19, s32 offset:696
	scratch_store_b32 off, v14, s32 offset:640
	;; [unrolled: 1-line block ×3, first 2 shown]
	s_waitcnt vmcnt(0)
	v_lshlrev_b32_e32 v2, 5, v3
	v_lshl_or_b32 v3, v3, 7, v19
	s_delay_alu instid0(VALU_DEP_2) | instskip(NEXT) | instid1(VALU_DEP_2)
	v_add3_u32 v10, s11, v2, v6
	v_add_nc_u32_e32 v13, s2, v3
	s_mov_b32 s2, 0
	s_brev_b32 s3, 1
	s_mov_b32 s7, s2
	s_branch .LBB275_11
.LBB275_7:                              ;   in Loop: Header=BB275_11 Depth=1
	s_or_b32 exec_lo, exec_lo, s21
	v_lshlrev_b32_e32 v103, 24, v131
	s_delay_alu instid0(VALU_DEP_2) | instskip(SKIP_1) | instid1(VALU_DEP_3)
	v_lshlrev_b32_e32 v130, 20, v166
	v_lshl_add_u32 v102, v102, 23, 0x3c000000
	v_and_b32_e32 v103, 0x80000000, v103
	s_delay_alu instid0(VALU_DEP_1)
	v_or3_b32 v103, v130, v103, v102
	v_mov_b32_e32 v102, v167
.LBB275_8:                              ;   in Loop: Header=BB275_11 Depth=1
	s_or_b32 exec_lo, exec_lo, s8
.LBB275_9:                              ;   in Loop: Header=BB275_11 Depth=1
	s_delay_alu instid0(SALU_CYCLE_1)
	s_or_b32 exec_lo, exec_lo, s20
.LBB275_10:                             ;   in Loop: Header=BB275_11 Depth=1
	s_delay_alu instid0(SALU_CYCLE_1)
	s_or_b32 exec_lo, exec_lo, s19
	v_or_b32_e32 v5, v12, v5
	v_or_b32_e32 v12, v174, v184
	;; [unrolled: 1-line block ×8, first 2 shown]
	v_mul_f32_e32 v14, v129, v12
	v_or_b32_e32 v12, v187, v189
	v_or_b32_e32 v17, v17, v19
	;; [unrolled: 1-line block ×4, first 2 shown]
	v_mul_f32_e32 v6, v129, v7
	v_mul_f32_e32 v4, v129, v5
	;; [unrolled: 1-line block ×3, first 2 shown]
	v_or_b32_e32 v11, v175, v185
	v_mul_f32_e32 v12, v129, v12
	v_mul_f32_e32 v22, v129, v23
	;; [unrolled: 1-line block ×3, first 2 shown]
	v_or_b32_e32 v26, v159, v169
	v_or_b32_e32 v30, v170, v172
	;; [unrolled: 1-line block ×6, first 2 shown]
	v_mul_f32_e32 v27, v129, v26
	v_or_b32_e32 v26, v171, v173
	v_mul_f32_e32 v30, v129, v30
	v_mul_f32_e32 v11, v129, v11
	v_mul_f32_e32 v16, v129, v17
	v_or_b32_e32 v17, v29, v31
	v_or_b32_e32 v31, v152, v142
	;; [unrolled: 1-line block ×3, first 2 shown]
	v_mul_f32_e32 v0, v129, v1
	v_mul_f32_e32 v2, v129, v2
	;; [unrolled: 1-line block ×5, first 2 shown]
	v_or_b32_e32 v33, v37, v39
	v_mul_f32_e32 v39, v129, v31
	v_or_b32_e32 v31, v156, v154
	v_or_b32_e32 v49, v49, v51
	;; [unrolled: 1-line block ×5, first 2 shown]
	v_mul_f32_e32 v52, v129, v31
	v_or_b32_e32 v31, v136, v126
	v_or_b32_e32 v26, v153, v143
	;; [unrolled: 1-line block ×5, first 2 shown]
	v_mul_f32_e32 v68, v129, v31
	v_or_b32_e32 v31, v140, v138
	v_mul_f32_e32 v36, v129, v26
	v_or_b32_e32 v26, v157, v155
	v_or_b32_e32 v50, v48, v50
	v_mul_f32_e32 v48, v129, v49
	v_mul_f32_e32 v70, v129, v31
	v_or_b32_e32 v31, v120, v110
	v_or_b32_e32 v49, v53, v55
	;; [unrolled: 1-line block ×3, first 2 shown]
	v_mul_f32_e32 v64, v129, v65
	v_or_b32_e32 v65, v69, v71
	v_mul_f32_e32 v84, v129, v31
	v_or_b32_e32 v31, v124, v122
	;; [unrolled: 2-line block ×4, first 2 shown]
	v_mul_f32_e32 v86, v129, v31
	v_mul_f32_e32 v7, v129, v8
	v_mul_f32_e32 v37, v129, v26
	v_or_b32_e32 v26, v137, v127
	v_or_b32_e32 v99, v99, v101
	;; [unrolled: 1-line block ×5, first 2 shown]
	v_mul_f32_e32 v55, v129, v26
	v_or_b32_e32 v26, v141, v139
	v_mul_f32_e32 v98, v129, v99
	v_or_b32_e32 v99, v115, v117
	;; [unrolled: 2-line block ×4, first 2 shown]
	v_or_b32_e32 v8, v191, v165
	v_or_b32_e32 v9, v190, v164
	v_mul_f32_e32 v116, v129, v31
	v_or_b32_e32 v31, v88, v78
	v_mul_f32_e32 v71, v129, v26
	;; [unrolled: 2-line block ×6, first 2 shown]
	v_mul_f32_e32 v50, v129, v50
	v_mul_f32_e32 v132, v129, v31
	v_or_b32_e32 v31, v72, v62
	v_mul_f32_e32 v87, v129, v26
	v_or_b32_e32 v26, v109, v107
	v_or_b32_e32 v38, v60, v96
	;; [unrolled: 1-line block ×3, first 2 shown]
	v_mul_f32_e32 v134, v129, v31
	v_or_b32_e32 v31, v76, v74
	v_mul_f32_e32 v115, v129, v26
	v_or_b32_e32 v26, v89, v79
	;; [unrolled: 2-line block ×5, first 2 shown]
	v_mul_f32_e32 v38, v129, v38
	v_mul_f32_e32 v1, v129, v1
	;; [unrolled: 1-line block ×3, first 2 shown]
	v_or_b32_e32 v31, v58, v56
	v_mul_f32_e32 v131, v129, v26
	v_or_b32_e32 v26, v73, v63
	v_mul_f32_e32 v3, v129, v3
	v_mul_f32_e32 v8, v129, v8
	;; [unrolled: 1-line block ×3, first 2 shown]
	v_or_b32_e32 v31, v182, v180
	v_mul_f32_e32 v133, v129, v26
	v_or_b32_e32 v26, v77, v75
	v_mul_f32_e32 v9, v129, v9
	v_mul_f32_e32 v15, v129, v15
	v_cmp_lt_i32_e64 s1, v10, v119
	s_delay_alu instid0(VALU_DEP_4) | instskip(SKIP_1) | instid1(VALU_DEP_1)
	v_dual_mul_f32 v135, v129, v26 :: v_dual_add_nc_u32 v128, 4, v128
	v_or_b32_e32 v26, v47, v45
	v_mul_f32_e32 v165, v129, v26
	v_or_b32_e32 v26, v59, v57
	s_delay_alu instid0(VALU_DEP_1) | instskip(SKIP_3) | instid1(VALU_DEP_3)
	v_mul_f32_e32 v176, v129, v26
	v_or_b32_e32 v26, v183, v181
	v_mul_f32_e32 v181, v129, v31
	v_or_b32_e32 v31, v42, v40
	;; [unrolled: 2-line block ×3, first 2 shown]
	scratch_load_b128 v[43:46], off, s32 offset:360 ; 16-byte Folded Reload
	v_mul_f32_e32 v183, v129, v31
	scratch_load_b32 v31, off, s32 offset:332 ; 4-byte Folded Reload
	v_mul_f32_e32 v83, v129, v83
	v_mul_f32_e32 v182, v129, v26
	v_sub_nc_u32_e32 v26, 1, v119
	s_delay_alu instid0(VALU_DEP_1) | instskip(SKIP_1) | instid1(VALU_DEP_2)
	v_dual_mul_f32 v99, v129, v99 :: v_dual_add_nc_u32 v26, v26, v10
	v_add_nc_u32_e32 v10, 0x80, v10
	v_cvt_f32_i32_e32 v26, v26
	s_waitcnt vmcnt(1)
	v_mul_f32_e32 v96, v43, v166
	scratch_load_b128 v[40:43], off, s32 offset:344 ; 16-byte Folded Reload
	s_waitcnt vmcnt(1)
	v_dual_mul_f32 v101, v129, v101 :: v_dual_mul_f32 v26, v31, v26
	v_or_b32_e32 v31, v61, v97
	v_mul_f32_e32 v97, v44, v165
	v_mul_f32_e32 v102, v45, v177
	;; [unrolled: 1-line block ×5, first 2 shown]
	v_or_b32_e32 v31, v103, v113
	v_mul_f32_e32 v103, v46, v176
	v_mul_f32_e32 v100, v129, v100
	v_dual_mul_f32 v81, v129, v81 :: v_dual_cndmask_b32 v26, 0, v26
	s_waitcnt vmcnt(0)
	v_dual_fmac_f32 v96, v40, v181 :: v_dual_fmac_f32 v97, v41, v180
	v_dual_fmac_f32 v102, v42, v183 :: v_dual_fmac_f32 v103, v43, v182
	scratch_load_b128 v[180:183], off, s32 offset:376 ; 16-byte Folded Reload
	v_mul_f32_e32 v82, v129, v82
	v_mul_f32_e32 v49, v129, v49
	s_waitcnt vmcnt(0)
	v_dual_mul_f32 v51, v129, v51 :: v_dual_fmac_f32 v102, v182, v164
	v_dual_fmac_f32 v96, v180, v134 :: v_dual_fmac_f32 v97, v181, v133
	v_fmac_f32_e32 v103, v183, v135
	scratch_load_b128 v[180:183], off, s32 offset:392 ; 16-byte Folded Reload
	v_mul_f32_e32 v33, v129, v33
	v_mul_f32_e32 v35, v129, v35
	s_waitcnt vmcnt(0)
	v_dual_mul_f32 v31, v129, v31 :: v_dual_fmac_f32 v96, v180, v130
	v_fmac_f32_e32 v97, v181, v117
	v_mul_f32_e32 v66, v129, v66
	v_dual_fmac_f32 v102, v182, v132 :: v_dual_mul_f32 v17, v129, v17
	v_fmac_f32_e32 v103, v183, v131
	scratch_load_b128 v[129:132], off, s32 offset:408 ; 16-byte Folded Reload
	s_waitcnt vmcnt(0)
	v_fmac_f32_e32 v102, v131, v116
	v_dual_fmac_f32 v96, v129, v114 :: v_dual_fmac_f32 v103, v132, v115
	scratch_load_b128 v[112:115], off, s32 offset:424 ; 16-byte Folded Reload
	s_waitcnt vmcnt(0)
	v_dual_fmac_f32 v97, v130, v87 :: v_dual_fmac_f32 v96, v112, v84
	v_dual_fmac_f32 v102, v114, v86 :: v_dual_fmac_f32 v103, v115, v85
	scratch_load_b128 v[84:87], off, s32 offset:440 ; 16-byte Folded Reload
	s_waitcnt vmcnt(0)
	v_dual_fmac_f32 v97, v113, v71 :: v_dual_fmac_f32 v96, v84, v68
	v_dual_fmac_f32 v102, v86, v70 :: v_dual_fmac_f32 v103, v87, v69
	scratch_load_b128 v[68:71], off, s32 offset:456 ; 16-byte Folded Reload
	v_fmac_f32_e32 v97, v85, v55
	s_waitcnt vmcnt(0)
	s_delay_alu instid0(VALU_DEP_1)
	v_dual_fmac_f32 v96, v68, v39 :: v_dual_fmac_f32 v97, v69, v36
	v_dual_fmac_f32 v102, v70, v52 :: v_dual_fmac_f32 v103, v71, v37
	scratch_load_b128 v[68:71], off, s32 offset:472 ; 16-byte Folded Reload
	s_waitcnt vmcnt(0)
	v_dual_fmac_f32 v96, v68, v29 :: v_dual_fmac_f32 v97, v69, v27
	v_dual_fmac_f32 v102, v70, v30 :: v_dual_fmac_f32 v103, v71, v28
	scratch_load_b128 v[27:30], off, s32 offset:488 ; 16-byte Folded Reload
	s_waitcnt vmcnt(0)
	;; [unrolled: 4-line block ×9, first 2 shown]
	v_fmac_f32_e32 v97, v1, v64
	scratch_load_b32 v1, off, s32 offset:328 ; 4-byte Folded Reload
	v_fmac_f32_e32 v96, v0, v66
	v_dual_fmac_f32 v102, v2, v67 :: v_dual_fmac_f32 v103, v3, v65
	s_delay_alu instid0(VALU_DEP_2) | instskip(NEXT) | instid1(VALU_DEP_2)
	v_dual_fmac_f32 v97, v145, v80 :: v_dual_fmac_f32 v96, v144, v82
	v_dual_fmac_f32 v102, v146, v83 :: v_dual_fmac_f32 v103, v147, v81
	s_delay_alu instid0(VALU_DEP_2) | instskip(NEXT) | instid1(VALU_DEP_2)
	v_dual_fmac_f32 v97, v149, v98 :: v_dual_fmac_f32 v96, v148, v100
	;; [unrolled: 3-line block ×3, first 2 shown]
	v_dual_fmac_f32 v102, v162, v38 :: v_dual_fmac_f32 v103, v163, v31
	s_delay_alu instid0(VALU_DEP_2) | instskip(NEXT) | instid1(VALU_DEP_1)
	v_add_f32_e32 v0, v96, v97
	v_add_f32_e32 v0, v102, v0
	s_delay_alu instid0(VALU_DEP_1) | instskip(SKIP_1) | instid1(VALU_DEP_1)
	v_add_f32_e32 v0, v103, v0
	s_waitcnt vmcnt(0)
	v_fmac_f32_e32 v26, v0, v1
	s_delay_alu instid0(VALU_DEP_1) | instskip(SKIP_2) | instid1(VALU_DEP_1)
	v_cndmask_b32_e64 v0, 0, v26, s1
	ds_store_b32 v13, v0
	v_dual_max_f32 v0, v118, v118 :: v_dual_add_nc_u32 v13, 0x200, v13
	v_max_f32_e32 v0, v0, v26
	s_delay_alu instid0(VALU_DEP_1) | instskip(SKIP_2) | instid1(VALU_DEP_1)
	v_cndmask_b32_e64 v118, v118, v0, s1
	scratch_load_b32 v0, off, s32 offset:324 ; 4-byte Folded Reload
	v_add_co_u32 v178, s1, v178, 16
	v_add_co_ci_u32_e64 v179, s1, 0, v179, s1
	s_waitcnt vmcnt(0)
	v_cmp_ge_i32_e64 s1, v128, v0
	s_delay_alu instid0(VALU_DEP_1) | instskip(NEXT) | instid1(SALU_CYCLE_1)
	s_or_b32 s7, s1, s7
	s_and_not1_b32 exec_lo, exec_lo, s7
	s_cbranch_execz .LBB275_648
.LBB275_11:                             ; =>This Inner Loop Header: Depth=1
	flat_load_b32 v0, v[178:179]
	s_clause 0x1
	scratch_load_b32 v1, off, s32 offset:320
	scratch_load_b64 v[2:3], off, s32 offset:336
	s_mov_b32 s8, exec_lo
	s_waitcnt vmcnt(0) lgkmcnt(0)
	v_mad_i64_i32 v[60:61], null, v0, v1, v[2:3]
	flat_load_b32 v0, v[60:61]
	flat_load_b32 v129, v[24:25]
	v_mov_b32_e32 v182, 0
	v_mov_b32_e32 v183, 0
	s_delay_alu instid0(VALU_DEP_1) | instskip(SKIP_2) | instid1(VALU_DEP_1)
	v_dual_mov_b32 v180, v182 :: v_dual_mov_b32 v181, v183
	s_waitcnt vmcnt(1) lgkmcnt(1)
	v_and_b32_e32 v1, 0xff, v0
	v_cmpx_ne_u16_e32 0, v1
	s_cbranch_execz .LBB275_19
; %bb.12:                               ;   in Loop: Header=BB275_11 Depth=1
	v_bfrev_b32_e32 v180, 1
	v_mov_b32_e32 v181, 0
	s_mov_b32 s19, exec_lo
	v_cmpx_ne_u16_e32 0x80, v1
	s_cbranch_execz .LBB275_18
; %bb.13:                               ;   in Loop: Header=BB275_11 Depth=1
	v_mov_b32_e32 v180, 0x7f800001
	v_dual_mov_b32 v181, 0 :: v_dual_and_b32 v2, 0x7f, v0
	s_mov_b32 s20, exec_lo
	s_delay_alu instid0(VALU_DEP_1)
	v_cmpx_ne_u32_e32 0x7f, v2
	s_cbranch_execz .LBB275_17
; %bb.14:                               ;   in Loop: Header=BB275_11 Depth=1
	v_and_b32_e32 v166, 7, v0
	v_lshrrev_b32_e32 v1, 3, v2
	s_mov_b32 s21, exec_lo
	v_cmpx_gt_u32_e32 8, v2
; %bb.15:                               ;   in Loop: Header=BB275_11 Depth=1
	s_delay_alu instid0(VALU_DEP_3) | instskip(NEXT) | instid1(VALU_DEP_1)
	v_clz_i32_u32_e32 v1, v166
	v_min_u32_e32 v1, 32, v1
	s_delay_alu instid0(VALU_DEP_1) | instskip(SKIP_1) | instid1(VALU_DEP_2)
	v_subrev_nc_u32_e32 v2, 28, v1
	v_sub_nc_u32_e32 v1, 29, v1
	v_lshlrev_b64 v[2:3], v2, v[166:167]
	s_delay_alu instid0(VALU_DEP_1)
	v_and_b32_e32 v166, 7, v2
; %bb.16:                               ;   in Loop: Header=BB275_11 Depth=1
	s_or_b32 exec_lo, exec_lo, s21
	v_lshlrev_b32_e32 v2, 24, v0
	s_delay_alu instid0(VALU_DEP_2) | instskip(SKIP_1) | instid1(VALU_DEP_3)
	v_lshlrev_b32_e32 v3, 20, v166
	v_lshl_add_u32 v1, v1, 23, 0x3c000000
	v_and_b32_e32 v2, 0x80000000, v2
	s_delay_alu instid0(VALU_DEP_1) | instskip(NEXT) | instid1(VALU_DEP_1)
	v_or3_b32 v166, v3, v2, v1
	v_dual_mov_b32 v181, v167 :: v_dual_mov_b32 v180, v166
.LBB275_17:                             ;   in Loop: Header=BB275_11 Depth=1
	s_or_b32 exec_lo, exec_lo, s20
.LBB275_18:                             ;   in Loop: Header=BB275_11 Depth=1
	s_delay_alu instid0(SALU_CYCLE_1)
	s_or_b32 exec_lo, exec_lo, s19
.LBB275_19:                             ;   in Loop: Header=BB275_11 Depth=1
	s_delay_alu instid0(SALU_CYCLE_1) | instskip(SKIP_2) | instid1(VALU_DEP_1)
	s_or_b32 exec_lo, exec_lo, s8
	v_lshrrev_b16 v1, 8, v0
	s_mov_b32 s19, exec_lo
	v_cmpx_ne_u16_e32 0, v1
	s_cbranch_execz .LBB275_27
; %bb.20:                               ;   in Loop: Header=BB275_11 Depth=1
	v_dual_mov_b32 v183, s3 :: v_dual_mov_b32 v182, s2
	s_mov_b32 s20, exec_lo
	v_cmpx_ne_u16_e32 0x80, v1
	s_cbranch_execz .LBB275_26
; %bb.21:                               ;   in Loop: Header=BB275_11 Depth=1
	s_mov_b32 s8, s2
	v_and_b32_e32 v1, 0xffff, v1
	v_dual_mov_b32 v183, s9 :: v_dual_mov_b32 v182, s8
	s_mov_b32 s8, exec_lo
	s_delay_alu instid0(VALU_DEP_2) | instskip(NEXT) | instid1(VALU_DEP_1)
	v_and_b32_e32 v2, 0x7f, v1
	v_cmpx_ne_u32_e32 0x7f, v2
	s_cbranch_execz .LBB275_25
; %bb.22:                               ;   in Loop: Header=BB275_11 Depth=1
	v_and_b32_e32 v166, 7, v1
	v_lshrrev_b32_e32 v1, 3, v2
	s_mov_b32 s21, exec_lo
	v_cmpx_gt_u32_e32 8, v2
; %bb.23:                               ;   in Loop: Header=BB275_11 Depth=1
	s_delay_alu instid0(VALU_DEP_3) | instskip(NEXT) | instid1(VALU_DEP_1)
	v_clz_i32_u32_e32 v1, v166
	v_min_u32_e32 v1, 32, v1
	s_delay_alu instid0(VALU_DEP_1) | instskip(SKIP_1) | instid1(VALU_DEP_2)
	v_subrev_nc_u32_e32 v2, 28, v1
	v_sub_nc_u32_e32 v1, 29, v1
	v_lshlrev_b64 v[2:3], v2, v[166:167]
	s_delay_alu instid0(VALU_DEP_1)
	v_and_b32_e32 v166, 7, v2
; %bb.24:                               ;   in Loop: Header=BB275_11 Depth=1
	s_or_b32 exec_lo, exec_lo, s21
	v_lshlrev_b32_e32 v2, 16, v0
	s_delay_alu instid0(VALU_DEP_2) | instskip(SKIP_1) | instid1(VALU_DEP_3)
	v_dual_mov_b32 v182, v167 :: v_dual_lshlrev_b32 v3, 20, v166
	v_lshl_add_u32 v1, v1, 23, 0x3c000000
	v_and_b32_e32 v2, 0x80000000, v2
	s_delay_alu instid0(VALU_DEP_1)
	v_or3_b32 v183, v3, v2, v1
.LBB275_25:                             ;   in Loop: Header=BB275_11 Depth=1
	s_or_b32 exec_lo, exec_lo, s8
.LBB275_26:                             ;   in Loop: Header=BB275_11 Depth=1
	s_delay_alu instid0(SALU_CYCLE_1)
	s_or_b32 exec_lo, exec_lo, s20
.LBB275_27:                             ;   in Loop: Header=BB275_11 Depth=1
	s_delay_alu instid0(SALU_CYCLE_1) | instskip(SKIP_4) | instid1(VALU_DEP_2)
	s_or_b32 exec_lo, exec_lo, s19
	v_mov_b32_e32 v42, 0
	v_lshrrev_b32_e32 v1, 16, v0
	v_mov_b32_e32 v43, 0
	s_mov_b32 s8, exec_lo
	v_and_b32_e32 v2, 0xff, v1
	s_delay_alu instid0(VALU_DEP_2) | instskip(NEXT) | instid1(VALU_DEP_2)
	v_dual_mov_b32 v40, v42 :: v_dual_mov_b32 v41, v43
	v_cmpx_ne_u16_e32 0, v2
	s_cbranch_execz .LBB275_35
; %bb.28:                               ;   in Loop: Header=BB275_11 Depth=1
	v_bfrev_b32_e32 v40, 1
	v_mov_b32_e32 v41, 0
	s_mov_b32 s19, exec_lo
	v_cmpx_ne_u16_e32 0x80, v2
	s_cbranch_execz .LBB275_34
; %bb.29:                               ;   in Loop: Header=BB275_11 Depth=1
	v_mov_b32_e32 v40, 0x7f800001
	v_bfe_u32 v3, v0, 16, 7
	v_mov_b32_e32 v41, 0
	s_mov_b32 s20, exec_lo
	s_delay_alu instid0(VALU_DEP_2)
	v_cmpx_ne_u32_e32 0x7f, v3
	s_cbranch_execz .LBB275_33
; %bb.30:                               ;   in Loop: Header=BB275_11 Depth=1
	v_and_b32_e32 v166, 7, v1
	v_lshrrev_b32_e32 v2, 3, v3
	s_mov_b32 s21, exec_lo
	v_cmpx_gt_u32_e32 8, v3
; %bb.31:                               ;   in Loop: Header=BB275_11 Depth=1
	s_delay_alu instid0(VALU_DEP_3) | instskip(NEXT) | instid1(VALU_DEP_1)
	v_clz_i32_u32_e32 v2, v166
	v_min_u32_e32 v2, 32, v2
	s_delay_alu instid0(VALU_DEP_1) | instskip(SKIP_1) | instid1(VALU_DEP_2)
	v_subrev_nc_u32_e32 v3, 28, v2
	v_sub_nc_u32_e32 v2, 29, v2
	v_lshlrev_b64 v[3:4], v3, v[166:167]
	s_delay_alu instid0(VALU_DEP_1)
	v_and_b32_e32 v166, 7, v3
; %bb.32:                               ;   in Loop: Header=BB275_11 Depth=1
	s_or_b32 exec_lo, exec_lo, s21
	v_lshlrev_b32_e32 v1, 24, v1
	s_delay_alu instid0(VALU_DEP_2) | instskip(SKIP_1) | instid1(VALU_DEP_3)
	v_lshlrev_b32_e32 v3, 20, v166
	v_lshl_add_u32 v2, v2, 23, 0x3c000000
	v_and_b32_e32 v1, 0x80000000, v1
	s_delay_alu instid0(VALU_DEP_1) | instskip(NEXT) | instid1(VALU_DEP_1)
	v_or3_b32 v166, v3, v1, v2
	v_dual_mov_b32 v40, v166 :: v_dual_mov_b32 v41, v167
.LBB275_33:                             ;   in Loop: Header=BB275_11 Depth=1
	s_or_b32 exec_lo, exec_lo, s20
.LBB275_34:                             ;   in Loop: Header=BB275_11 Depth=1
	s_delay_alu instid0(SALU_CYCLE_1)
	s_or_b32 exec_lo, exec_lo, s19
.LBB275_35:                             ;   in Loop: Header=BB275_11 Depth=1
	s_delay_alu instid0(SALU_CYCLE_1) | instskip(NEXT) | instid1(SALU_CYCLE_1)
	s_or_b32 exec_lo, exec_lo, s8
	s_mov_b32 s19, exec_lo
	v_cmpx_lt_u32_e32 0xffffff, v0
	s_cbranch_execz .LBB275_43
; %bb.36:                               ;   in Loop: Header=BB275_11 Depth=1
	v_lshrrev_b32_e32 v1, 24, v0
	v_dual_mov_b32 v43, s3 :: v_dual_mov_b32 v42, s2
	s_mov_b32 s20, exec_lo
	s_delay_alu instid0(VALU_DEP_2)
	v_cmpx_ne_u32_e32 0x80, v1
	s_cbranch_execz .LBB275_42
; %bb.37:                               ;   in Loop: Header=BB275_11 Depth=1
	s_mov_b32 s8, s2
	v_bfe_u32 v2, v0, 24, 7
	v_dual_mov_b32 v43, s9 :: v_dual_mov_b32 v42, s8
	s_mov_b32 s8, exec_lo
	s_delay_alu instid0(VALU_DEP_2)
	v_cmpx_ne_u32_e32 0x7f, v2
	s_cbranch_execz .LBB275_41
; %bb.38:                               ;   in Loop: Header=BB275_11 Depth=1
	v_and_b32_e32 v166, 7, v1
	v_lshrrev_b32_e32 v0, 3, v2
	s_mov_b32 s21, exec_lo
	v_cmpx_gt_u32_e32 8, v2
; %bb.39:                               ;   in Loop: Header=BB275_11 Depth=1
	s_delay_alu instid0(VALU_DEP_3) | instskip(NEXT) | instid1(VALU_DEP_1)
	v_clz_i32_u32_e32 v0, v166
	v_min_u32_e32 v0, 32, v0
	s_delay_alu instid0(VALU_DEP_1) | instskip(SKIP_1) | instid1(VALU_DEP_2)
	v_subrev_nc_u32_e32 v2, 28, v0
	v_sub_nc_u32_e32 v0, 29, v0
	v_lshlrev_b64 v[2:3], v2, v[166:167]
	s_delay_alu instid0(VALU_DEP_1)
	v_and_b32_e32 v166, 7, v2
; %bb.40:                               ;   in Loop: Header=BB275_11 Depth=1
	s_or_b32 exec_lo, exec_lo, s21
	v_dual_mov_b32 v42, v167 :: v_dual_lshlrev_b32 v1, 24, v1
	s_delay_alu instid0(VALU_DEP_2) | instskip(SKIP_1) | instid1(VALU_DEP_3)
	v_lshlrev_b32_e32 v2, 20, v166
	v_lshl_add_u32 v0, v0, 23, 0x3c000000
	v_and_b32_e32 v1, 0x80000000, v1
	s_delay_alu instid0(VALU_DEP_1)
	v_or3_b32 v43, v2, v1, v0
.LBB275_41:                             ;   in Loop: Header=BB275_11 Depth=1
	s_or_b32 exec_lo, exec_lo, s8
.LBB275_42:                             ;   in Loop: Header=BB275_11 Depth=1
	s_delay_alu instid0(SALU_CYCLE_1)
	s_or_b32 exec_lo, exec_lo, s20
.LBB275_43:                             ;   in Loop: Header=BB275_11 Depth=1
	s_delay_alu instid0(SALU_CYCLE_1) | instskip(SKIP_3) | instid1(VALU_DEP_2)
	s_or_b32 exec_lo, exec_lo, s19
	flat_load_b32 v0, v[60:61] offset:4
	v_mov_b32_e32 v46, 0
	v_mov_b32_e32 v47, 0
	;; [unrolled: 1-line block ×3, first 2 shown]
	s_mov_b32 s8, exec_lo
	s_delay_alu instid0(VALU_DEP_2) | instskip(SKIP_2) | instid1(VALU_DEP_1)
	v_mov_b32_e32 v45, v47
	s_waitcnt vmcnt(0) lgkmcnt(0)
	v_and_b32_e32 v1, 0xff, v0
	v_cmpx_ne_u16_e32 0, v1
	s_cbranch_execz .LBB275_51
; %bb.44:                               ;   in Loop: Header=BB275_11 Depth=1
	v_bfrev_b32_e32 v44, 1
	v_mov_b32_e32 v45, 0
	s_mov_b32 s19, exec_lo
	v_cmpx_ne_u16_e32 0x80, v1
	s_cbranch_execz .LBB275_50
; %bb.45:                               ;   in Loop: Header=BB275_11 Depth=1
	v_mov_b32_e32 v44, 0x7f800001
	v_dual_mov_b32 v45, 0 :: v_dual_and_b32 v2, 0x7f, v0
	s_mov_b32 s20, exec_lo
	s_delay_alu instid0(VALU_DEP_1)
	v_cmpx_ne_u32_e32 0x7f, v2
	s_cbranch_execz .LBB275_49
; %bb.46:                               ;   in Loop: Header=BB275_11 Depth=1
	v_and_b32_e32 v166, 7, v0
	v_lshrrev_b32_e32 v1, 3, v2
	s_mov_b32 s21, exec_lo
	v_cmpx_gt_u32_e32 8, v2
; %bb.47:                               ;   in Loop: Header=BB275_11 Depth=1
	s_delay_alu instid0(VALU_DEP_3) | instskip(NEXT) | instid1(VALU_DEP_1)
	v_clz_i32_u32_e32 v1, v166
	v_min_u32_e32 v1, 32, v1
	s_delay_alu instid0(VALU_DEP_1) | instskip(SKIP_1) | instid1(VALU_DEP_2)
	v_subrev_nc_u32_e32 v2, 28, v1
	v_sub_nc_u32_e32 v1, 29, v1
	v_lshlrev_b64 v[2:3], v2, v[166:167]
	s_delay_alu instid0(VALU_DEP_1)
	v_and_b32_e32 v166, 7, v2
; %bb.48:                               ;   in Loop: Header=BB275_11 Depth=1
	s_or_b32 exec_lo, exec_lo, s21
	v_lshlrev_b32_e32 v2, 24, v0
	s_delay_alu instid0(VALU_DEP_2) | instskip(SKIP_1) | instid1(VALU_DEP_3)
	v_lshlrev_b32_e32 v3, 20, v166
	v_lshl_add_u32 v1, v1, 23, 0x3c000000
	v_and_b32_e32 v2, 0x80000000, v2
	s_delay_alu instid0(VALU_DEP_1) | instskip(NEXT) | instid1(VALU_DEP_1)
	v_or3_b32 v166, v3, v2, v1
	v_dual_mov_b32 v44, v166 :: v_dual_mov_b32 v45, v167
.LBB275_49:                             ;   in Loop: Header=BB275_11 Depth=1
	s_or_b32 exec_lo, exec_lo, s20
.LBB275_50:                             ;   in Loop: Header=BB275_11 Depth=1
	s_delay_alu instid0(SALU_CYCLE_1)
	s_or_b32 exec_lo, exec_lo, s19
.LBB275_51:                             ;   in Loop: Header=BB275_11 Depth=1
	s_delay_alu instid0(SALU_CYCLE_1) | instskip(SKIP_2) | instid1(VALU_DEP_1)
	s_or_b32 exec_lo, exec_lo, s8
	v_lshrrev_b16 v1, 8, v0
	s_mov_b32 s19, exec_lo
	v_cmpx_ne_u16_e32 0, v1
	s_cbranch_execz .LBB275_59
; %bb.52:                               ;   in Loop: Header=BB275_11 Depth=1
	v_dual_mov_b32 v47, s3 :: v_dual_mov_b32 v46, s2
	s_mov_b32 s20, exec_lo
	v_cmpx_ne_u16_e32 0x80, v1
	s_cbranch_execz .LBB275_58
; %bb.53:                               ;   in Loop: Header=BB275_11 Depth=1
	s_mov_b32 s8, s2
	v_and_b32_e32 v1, 0xffff, v1
	v_dual_mov_b32 v47, s9 :: v_dual_mov_b32 v46, s8
	s_mov_b32 s8, exec_lo
	s_delay_alu instid0(VALU_DEP_2) | instskip(NEXT) | instid1(VALU_DEP_1)
	v_and_b32_e32 v2, 0x7f, v1
	v_cmpx_ne_u32_e32 0x7f, v2
	s_cbranch_execz .LBB275_57
; %bb.54:                               ;   in Loop: Header=BB275_11 Depth=1
	v_and_b32_e32 v166, 7, v1
	v_lshrrev_b32_e32 v1, 3, v2
	s_mov_b32 s21, exec_lo
	v_cmpx_gt_u32_e32 8, v2
; %bb.55:                               ;   in Loop: Header=BB275_11 Depth=1
	s_delay_alu instid0(VALU_DEP_3) | instskip(NEXT) | instid1(VALU_DEP_1)
	v_clz_i32_u32_e32 v1, v166
	v_min_u32_e32 v1, 32, v1
	s_delay_alu instid0(VALU_DEP_1) | instskip(SKIP_1) | instid1(VALU_DEP_2)
	v_subrev_nc_u32_e32 v2, 28, v1
	v_sub_nc_u32_e32 v1, 29, v1
	v_lshlrev_b64 v[2:3], v2, v[166:167]
	s_delay_alu instid0(VALU_DEP_1)
	v_and_b32_e32 v166, 7, v2
; %bb.56:                               ;   in Loop: Header=BB275_11 Depth=1
	s_or_b32 exec_lo, exec_lo, s21
	v_lshlrev_b32_e32 v2, 16, v0
	s_delay_alu instid0(VALU_DEP_2) | instskip(SKIP_1) | instid1(VALU_DEP_3)
	v_dual_mov_b32 v46, v167 :: v_dual_lshlrev_b32 v3, 20, v166
	v_lshl_add_u32 v1, v1, 23, 0x3c000000
	v_and_b32_e32 v2, 0x80000000, v2
	s_delay_alu instid0(VALU_DEP_1)
	v_or3_b32 v47, v3, v2, v1
.LBB275_57:                             ;   in Loop: Header=BB275_11 Depth=1
	s_or_b32 exec_lo, exec_lo, s8
.LBB275_58:                             ;   in Loop: Header=BB275_11 Depth=1
	s_delay_alu instid0(SALU_CYCLE_1)
	s_or_b32 exec_lo, exec_lo, s20
.LBB275_59:                             ;   in Loop: Header=BB275_11 Depth=1
	s_delay_alu instid0(SALU_CYCLE_1) | instskip(SKIP_4) | instid1(VALU_DEP_2)
	s_or_b32 exec_lo, exec_lo, s19
	v_mov_b32_e32 v58, 0
	v_lshrrev_b32_e32 v1, 16, v0
	v_mov_b32_e32 v59, 0
	s_mov_b32 s8, exec_lo
	v_and_b32_e32 v2, 0xff, v1
	s_delay_alu instid0(VALU_DEP_2) | instskip(NEXT) | instid1(VALU_DEP_2)
	v_dual_mov_b32 v56, v58 :: v_dual_mov_b32 v57, v59
	v_cmpx_ne_u16_e32 0, v2
	s_cbranch_execz .LBB275_67
; %bb.60:                               ;   in Loop: Header=BB275_11 Depth=1
	v_bfrev_b32_e32 v56, 1
	v_mov_b32_e32 v57, 0
	s_mov_b32 s19, exec_lo
	v_cmpx_ne_u16_e32 0x80, v2
	s_cbranch_execz .LBB275_66
; %bb.61:                               ;   in Loop: Header=BB275_11 Depth=1
	v_mov_b32_e32 v56, 0x7f800001
	v_bfe_u32 v3, v0, 16, 7
	v_mov_b32_e32 v57, 0
	s_mov_b32 s20, exec_lo
	s_delay_alu instid0(VALU_DEP_2)
	v_cmpx_ne_u32_e32 0x7f, v3
	s_cbranch_execz .LBB275_65
; %bb.62:                               ;   in Loop: Header=BB275_11 Depth=1
	v_and_b32_e32 v166, 7, v1
	v_lshrrev_b32_e32 v2, 3, v3
	s_mov_b32 s21, exec_lo
	v_cmpx_gt_u32_e32 8, v3
; %bb.63:                               ;   in Loop: Header=BB275_11 Depth=1
	s_delay_alu instid0(VALU_DEP_3) | instskip(NEXT) | instid1(VALU_DEP_1)
	v_clz_i32_u32_e32 v2, v166
	v_min_u32_e32 v2, 32, v2
	s_delay_alu instid0(VALU_DEP_1) | instskip(SKIP_1) | instid1(VALU_DEP_2)
	v_subrev_nc_u32_e32 v3, 28, v2
	v_sub_nc_u32_e32 v2, 29, v2
	v_lshlrev_b64 v[3:4], v3, v[166:167]
	s_delay_alu instid0(VALU_DEP_1)
	v_and_b32_e32 v166, 7, v3
; %bb.64:                               ;   in Loop: Header=BB275_11 Depth=1
	s_or_b32 exec_lo, exec_lo, s21
	v_lshlrev_b32_e32 v1, 24, v1
	s_delay_alu instid0(VALU_DEP_2) | instskip(SKIP_1) | instid1(VALU_DEP_3)
	v_lshlrev_b32_e32 v3, 20, v166
	v_lshl_add_u32 v2, v2, 23, 0x3c000000
	v_and_b32_e32 v1, 0x80000000, v1
	s_delay_alu instid0(VALU_DEP_1) | instskip(NEXT) | instid1(VALU_DEP_1)
	v_or3_b32 v166, v3, v1, v2
	v_dual_mov_b32 v56, v166 :: v_dual_mov_b32 v57, v167
.LBB275_65:                             ;   in Loop: Header=BB275_11 Depth=1
	s_or_b32 exec_lo, exec_lo, s20
.LBB275_66:                             ;   in Loop: Header=BB275_11 Depth=1
	s_delay_alu instid0(SALU_CYCLE_1)
	s_or_b32 exec_lo, exec_lo, s19
.LBB275_67:                             ;   in Loop: Header=BB275_11 Depth=1
	s_delay_alu instid0(SALU_CYCLE_1) | instskip(NEXT) | instid1(SALU_CYCLE_1)
	s_or_b32 exec_lo, exec_lo, s8
	s_mov_b32 s19, exec_lo
	v_cmpx_lt_u32_e32 0xffffff, v0
	s_cbranch_execz .LBB275_75
; %bb.68:                               ;   in Loop: Header=BB275_11 Depth=1
	v_lshrrev_b32_e32 v1, 24, v0
	v_dual_mov_b32 v59, s3 :: v_dual_mov_b32 v58, s2
	s_mov_b32 s20, exec_lo
	s_delay_alu instid0(VALU_DEP_2)
	v_cmpx_ne_u32_e32 0x80, v1
	s_cbranch_execz .LBB275_74
; %bb.69:                               ;   in Loop: Header=BB275_11 Depth=1
	s_mov_b32 s8, s2
	v_bfe_u32 v2, v0, 24, 7
	v_dual_mov_b32 v59, s9 :: v_dual_mov_b32 v58, s8
	s_mov_b32 s8, exec_lo
	s_delay_alu instid0(VALU_DEP_2)
	v_cmpx_ne_u32_e32 0x7f, v2
	s_cbranch_execz .LBB275_73
; %bb.70:                               ;   in Loop: Header=BB275_11 Depth=1
	v_and_b32_e32 v166, 7, v1
	v_lshrrev_b32_e32 v0, 3, v2
	s_mov_b32 s21, exec_lo
	v_cmpx_gt_u32_e32 8, v2
; %bb.71:                               ;   in Loop: Header=BB275_11 Depth=1
	s_delay_alu instid0(VALU_DEP_3) | instskip(NEXT) | instid1(VALU_DEP_1)
	v_clz_i32_u32_e32 v0, v166
	v_min_u32_e32 v0, 32, v0
	s_delay_alu instid0(VALU_DEP_1) | instskip(SKIP_1) | instid1(VALU_DEP_2)
	v_subrev_nc_u32_e32 v2, 28, v0
	v_sub_nc_u32_e32 v0, 29, v0
	v_lshlrev_b64 v[2:3], v2, v[166:167]
	s_delay_alu instid0(VALU_DEP_1)
	v_and_b32_e32 v166, 7, v2
; %bb.72:                               ;   in Loop: Header=BB275_11 Depth=1
	s_or_b32 exec_lo, exec_lo, s21
	v_dual_mov_b32 v58, v167 :: v_dual_lshlrev_b32 v1, 24, v1
	s_delay_alu instid0(VALU_DEP_2) | instskip(SKIP_1) | instid1(VALU_DEP_3)
	v_lshlrev_b32_e32 v2, 20, v166
	v_lshl_add_u32 v0, v0, 23, 0x3c000000
	v_and_b32_e32 v1, 0x80000000, v1
	s_delay_alu instid0(VALU_DEP_1)
	v_or3_b32 v59, v2, v1, v0
.LBB275_73:                             ;   in Loop: Header=BB275_11 Depth=1
	s_or_b32 exec_lo, exec_lo, s8
.LBB275_74:                             ;   in Loop: Header=BB275_11 Depth=1
	s_delay_alu instid0(SALU_CYCLE_1)
	s_or_b32 exec_lo, exec_lo, s20
.LBB275_75:                             ;   in Loop: Header=BB275_11 Depth=1
	s_delay_alu instid0(SALU_CYCLE_1) | instskip(SKIP_3) | instid1(VALU_DEP_2)
	s_or_b32 exec_lo, exec_lo, s19
	flat_load_b32 v0, v[60:61] offset:8
	v_mov_b32_e32 v72, 0
	v_mov_b32_e32 v73, 0
	;; [unrolled: 1-line block ×3, first 2 shown]
	s_mov_b32 s8, exec_lo
	s_delay_alu instid0(VALU_DEP_2) | instskip(SKIP_2) | instid1(VALU_DEP_1)
	v_mov_b32_e32 v63, v73
	s_waitcnt vmcnt(0) lgkmcnt(0)
	v_and_b32_e32 v1, 0xff, v0
	v_cmpx_ne_u16_e32 0, v1
	s_cbranch_execz .LBB275_83
; %bb.76:                               ;   in Loop: Header=BB275_11 Depth=1
	v_bfrev_b32_e32 v62, 1
	v_mov_b32_e32 v63, 0
	s_mov_b32 s19, exec_lo
	v_cmpx_ne_u16_e32 0x80, v1
	s_cbranch_execz .LBB275_82
; %bb.77:                               ;   in Loop: Header=BB275_11 Depth=1
	v_mov_b32_e32 v62, 0x7f800001
	v_dual_mov_b32 v63, 0 :: v_dual_and_b32 v2, 0x7f, v0
	s_mov_b32 s20, exec_lo
	s_delay_alu instid0(VALU_DEP_1)
	v_cmpx_ne_u32_e32 0x7f, v2
	s_cbranch_execz .LBB275_81
; %bb.78:                               ;   in Loop: Header=BB275_11 Depth=1
	v_and_b32_e32 v166, 7, v0
	v_lshrrev_b32_e32 v1, 3, v2
	s_mov_b32 s21, exec_lo
	v_cmpx_gt_u32_e32 8, v2
; %bb.79:                               ;   in Loop: Header=BB275_11 Depth=1
	s_delay_alu instid0(VALU_DEP_3) | instskip(NEXT) | instid1(VALU_DEP_1)
	v_clz_i32_u32_e32 v1, v166
	v_min_u32_e32 v1, 32, v1
	s_delay_alu instid0(VALU_DEP_1) | instskip(SKIP_1) | instid1(VALU_DEP_2)
	v_subrev_nc_u32_e32 v2, 28, v1
	v_sub_nc_u32_e32 v1, 29, v1
	v_lshlrev_b64 v[2:3], v2, v[166:167]
	s_delay_alu instid0(VALU_DEP_1)
	v_and_b32_e32 v166, 7, v2
; %bb.80:                               ;   in Loop: Header=BB275_11 Depth=1
	s_or_b32 exec_lo, exec_lo, s21
	v_lshlrev_b32_e32 v2, 24, v0
	s_delay_alu instid0(VALU_DEP_2) | instskip(SKIP_1) | instid1(VALU_DEP_3)
	v_lshlrev_b32_e32 v3, 20, v166
	v_lshl_add_u32 v1, v1, 23, 0x3c000000
	v_and_b32_e32 v2, 0x80000000, v2
	s_delay_alu instid0(VALU_DEP_1) | instskip(NEXT) | instid1(VALU_DEP_1)
	v_or3_b32 v166, v3, v2, v1
	v_dual_mov_b32 v62, v166 :: v_dual_mov_b32 v63, v167
.LBB275_81:                             ;   in Loop: Header=BB275_11 Depth=1
	s_or_b32 exec_lo, exec_lo, s20
.LBB275_82:                             ;   in Loop: Header=BB275_11 Depth=1
	s_delay_alu instid0(SALU_CYCLE_1)
	s_or_b32 exec_lo, exec_lo, s19
.LBB275_83:                             ;   in Loop: Header=BB275_11 Depth=1
	s_delay_alu instid0(SALU_CYCLE_1) | instskip(SKIP_2) | instid1(VALU_DEP_1)
	s_or_b32 exec_lo, exec_lo, s8
	v_lshrrev_b16 v1, 8, v0
	s_mov_b32 s19, exec_lo
	v_cmpx_ne_u16_e32 0, v1
	s_cbranch_execz .LBB275_91
; %bb.84:                               ;   in Loop: Header=BB275_11 Depth=1
	v_dual_mov_b32 v73, s3 :: v_dual_mov_b32 v72, s2
	s_mov_b32 s20, exec_lo
	v_cmpx_ne_u16_e32 0x80, v1
	s_cbranch_execz .LBB275_90
; %bb.85:                               ;   in Loop: Header=BB275_11 Depth=1
	s_mov_b32 s8, s2
	v_and_b32_e32 v1, 0xffff, v1
	v_dual_mov_b32 v73, s9 :: v_dual_mov_b32 v72, s8
	s_mov_b32 s8, exec_lo
	s_delay_alu instid0(VALU_DEP_2) | instskip(NEXT) | instid1(VALU_DEP_1)
	v_and_b32_e32 v2, 0x7f, v1
	v_cmpx_ne_u32_e32 0x7f, v2
	s_cbranch_execz .LBB275_89
; %bb.86:                               ;   in Loop: Header=BB275_11 Depth=1
	v_and_b32_e32 v166, 7, v1
	v_lshrrev_b32_e32 v1, 3, v2
	s_mov_b32 s21, exec_lo
	v_cmpx_gt_u32_e32 8, v2
; %bb.87:                               ;   in Loop: Header=BB275_11 Depth=1
	s_delay_alu instid0(VALU_DEP_3) | instskip(NEXT) | instid1(VALU_DEP_1)
	v_clz_i32_u32_e32 v1, v166
	v_min_u32_e32 v1, 32, v1
	s_delay_alu instid0(VALU_DEP_1) | instskip(SKIP_1) | instid1(VALU_DEP_2)
	v_subrev_nc_u32_e32 v2, 28, v1
	v_sub_nc_u32_e32 v1, 29, v1
	v_lshlrev_b64 v[2:3], v2, v[166:167]
	s_delay_alu instid0(VALU_DEP_1)
	v_and_b32_e32 v166, 7, v2
; %bb.88:                               ;   in Loop: Header=BB275_11 Depth=1
	s_or_b32 exec_lo, exec_lo, s21
	v_lshlrev_b32_e32 v2, 16, v0
	s_delay_alu instid0(VALU_DEP_2) | instskip(SKIP_1) | instid1(VALU_DEP_3)
	v_dual_mov_b32 v72, v167 :: v_dual_lshlrev_b32 v3, 20, v166
	v_lshl_add_u32 v1, v1, 23, 0x3c000000
	v_and_b32_e32 v2, 0x80000000, v2
	s_delay_alu instid0(VALU_DEP_1)
	v_or3_b32 v73, v3, v2, v1
.LBB275_89:                             ;   in Loop: Header=BB275_11 Depth=1
	s_or_b32 exec_lo, exec_lo, s8
.LBB275_90:                             ;   in Loop: Header=BB275_11 Depth=1
	s_delay_alu instid0(SALU_CYCLE_1)
	s_or_b32 exec_lo, exec_lo, s20
.LBB275_91:                             ;   in Loop: Header=BB275_11 Depth=1
	s_delay_alu instid0(SALU_CYCLE_1) | instskip(SKIP_4) | instid1(VALU_DEP_2)
	s_or_b32 exec_lo, exec_lo, s19
	v_mov_b32_e32 v76, 0
	v_lshrrev_b32_e32 v1, 16, v0
	v_mov_b32_e32 v77, 0
	s_mov_b32 s8, exec_lo
	v_and_b32_e32 v2, 0xff, v1
	s_delay_alu instid0(VALU_DEP_2) | instskip(NEXT) | instid1(VALU_DEP_2)
	v_dual_mov_b32 v74, v76 :: v_dual_mov_b32 v75, v77
	v_cmpx_ne_u16_e32 0, v2
	s_cbranch_execz .LBB275_99
; %bb.92:                               ;   in Loop: Header=BB275_11 Depth=1
	v_bfrev_b32_e32 v74, 1
	v_mov_b32_e32 v75, 0
	s_mov_b32 s19, exec_lo
	v_cmpx_ne_u16_e32 0x80, v2
	s_cbranch_execz .LBB275_98
; %bb.93:                               ;   in Loop: Header=BB275_11 Depth=1
	v_mov_b32_e32 v74, 0x7f800001
	v_bfe_u32 v3, v0, 16, 7
	v_mov_b32_e32 v75, 0
	s_mov_b32 s20, exec_lo
	s_delay_alu instid0(VALU_DEP_2)
	v_cmpx_ne_u32_e32 0x7f, v3
	s_cbranch_execz .LBB275_97
; %bb.94:                               ;   in Loop: Header=BB275_11 Depth=1
	v_and_b32_e32 v166, 7, v1
	v_lshrrev_b32_e32 v2, 3, v3
	s_mov_b32 s21, exec_lo
	v_cmpx_gt_u32_e32 8, v3
; %bb.95:                               ;   in Loop: Header=BB275_11 Depth=1
	s_delay_alu instid0(VALU_DEP_3) | instskip(NEXT) | instid1(VALU_DEP_1)
	v_clz_i32_u32_e32 v2, v166
	v_min_u32_e32 v2, 32, v2
	s_delay_alu instid0(VALU_DEP_1) | instskip(SKIP_1) | instid1(VALU_DEP_2)
	v_subrev_nc_u32_e32 v3, 28, v2
	v_sub_nc_u32_e32 v2, 29, v2
	v_lshlrev_b64 v[3:4], v3, v[166:167]
	s_delay_alu instid0(VALU_DEP_1)
	v_and_b32_e32 v166, 7, v3
; %bb.96:                               ;   in Loop: Header=BB275_11 Depth=1
	s_or_b32 exec_lo, exec_lo, s21
	v_lshlrev_b32_e32 v1, 24, v1
	s_delay_alu instid0(VALU_DEP_2) | instskip(SKIP_1) | instid1(VALU_DEP_3)
	v_lshlrev_b32_e32 v3, 20, v166
	v_lshl_add_u32 v2, v2, 23, 0x3c000000
	v_and_b32_e32 v1, 0x80000000, v1
	s_delay_alu instid0(VALU_DEP_1) | instskip(NEXT) | instid1(VALU_DEP_1)
	v_or3_b32 v166, v3, v1, v2
	v_dual_mov_b32 v74, v166 :: v_dual_mov_b32 v75, v167
.LBB275_97:                             ;   in Loop: Header=BB275_11 Depth=1
	s_or_b32 exec_lo, exec_lo, s20
.LBB275_98:                             ;   in Loop: Header=BB275_11 Depth=1
	s_delay_alu instid0(SALU_CYCLE_1)
	s_or_b32 exec_lo, exec_lo, s19
.LBB275_99:                             ;   in Loop: Header=BB275_11 Depth=1
	s_delay_alu instid0(SALU_CYCLE_1) | instskip(NEXT) | instid1(SALU_CYCLE_1)
	s_or_b32 exec_lo, exec_lo, s8
	s_mov_b32 s19, exec_lo
	v_cmpx_lt_u32_e32 0xffffff, v0
	s_cbranch_execz .LBB275_107
; %bb.100:                              ;   in Loop: Header=BB275_11 Depth=1
	v_lshrrev_b32_e32 v1, 24, v0
	v_dual_mov_b32 v77, s3 :: v_dual_mov_b32 v76, s2
	s_mov_b32 s20, exec_lo
	s_delay_alu instid0(VALU_DEP_2)
	v_cmpx_ne_u32_e32 0x80, v1
	s_cbranch_execz .LBB275_106
; %bb.101:                              ;   in Loop: Header=BB275_11 Depth=1
	s_mov_b32 s8, s2
	v_bfe_u32 v2, v0, 24, 7
	v_dual_mov_b32 v77, s9 :: v_dual_mov_b32 v76, s8
	s_mov_b32 s8, exec_lo
	s_delay_alu instid0(VALU_DEP_2)
	v_cmpx_ne_u32_e32 0x7f, v2
	s_cbranch_execz .LBB275_105
; %bb.102:                              ;   in Loop: Header=BB275_11 Depth=1
	v_and_b32_e32 v166, 7, v1
	v_lshrrev_b32_e32 v0, 3, v2
	s_mov_b32 s21, exec_lo
	v_cmpx_gt_u32_e32 8, v2
; %bb.103:                              ;   in Loop: Header=BB275_11 Depth=1
	s_delay_alu instid0(VALU_DEP_3) | instskip(NEXT) | instid1(VALU_DEP_1)
	v_clz_i32_u32_e32 v0, v166
	v_min_u32_e32 v0, 32, v0
	s_delay_alu instid0(VALU_DEP_1) | instskip(SKIP_1) | instid1(VALU_DEP_2)
	v_subrev_nc_u32_e32 v2, 28, v0
	v_sub_nc_u32_e32 v0, 29, v0
	v_lshlrev_b64 v[2:3], v2, v[166:167]
	s_delay_alu instid0(VALU_DEP_1)
	v_and_b32_e32 v166, 7, v2
; %bb.104:                              ;   in Loop: Header=BB275_11 Depth=1
	s_or_b32 exec_lo, exec_lo, s21
	v_dual_mov_b32 v76, v167 :: v_dual_lshlrev_b32 v1, 24, v1
	s_delay_alu instid0(VALU_DEP_2) | instskip(SKIP_1) | instid1(VALU_DEP_3)
	v_lshlrev_b32_e32 v2, 20, v166
	v_lshl_add_u32 v0, v0, 23, 0x3c000000
	v_and_b32_e32 v1, 0x80000000, v1
	s_delay_alu instid0(VALU_DEP_1)
	v_or3_b32 v77, v2, v1, v0
.LBB275_105:                            ;   in Loop: Header=BB275_11 Depth=1
	s_or_b32 exec_lo, exec_lo, s8
.LBB275_106:                            ;   in Loop: Header=BB275_11 Depth=1
	s_delay_alu instid0(SALU_CYCLE_1)
	s_or_b32 exec_lo, exec_lo, s20
.LBB275_107:                            ;   in Loop: Header=BB275_11 Depth=1
	s_delay_alu instid0(SALU_CYCLE_1) | instskip(SKIP_3) | instid1(VALU_DEP_2)
	s_or_b32 exec_lo, exec_lo, s19
	flat_load_b32 v0, v[60:61] offset:12
	v_mov_b32_e32 v88, 0
	v_mov_b32_e32 v89, 0
	;; [unrolled: 1-line block ×3, first 2 shown]
	s_mov_b32 s8, exec_lo
	s_delay_alu instid0(VALU_DEP_2) | instskip(SKIP_2) | instid1(VALU_DEP_1)
	v_mov_b32_e32 v79, v89
	s_waitcnt vmcnt(0) lgkmcnt(0)
	v_and_b32_e32 v1, 0xff, v0
	v_cmpx_ne_u16_e32 0, v1
	s_cbranch_execz .LBB275_115
; %bb.108:                              ;   in Loop: Header=BB275_11 Depth=1
	v_bfrev_b32_e32 v78, 1
	v_mov_b32_e32 v79, 0
	s_mov_b32 s19, exec_lo
	v_cmpx_ne_u16_e32 0x80, v1
	s_cbranch_execz .LBB275_114
; %bb.109:                              ;   in Loop: Header=BB275_11 Depth=1
	v_mov_b32_e32 v78, 0x7f800001
	v_dual_mov_b32 v79, 0 :: v_dual_and_b32 v2, 0x7f, v0
	s_mov_b32 s20, exec_lo
	s_delay_alu instid0(VALU_DEP_1)
	v_cmpx_ne_u32_e32 0x7f, v2
	s_cbranch_execz .LBB275_113
; %bb.110:                              ;   in Loop: Header=BB275_11 Depth=1
	v_and_b32_e32 v166, 7, v0
	v_lshrrev_b32_e32 v1, 3, v2
	s_mov_b32 s21, exec_lo
	v_cmpx_gt_u32_e32 8, v2
; %bb.111:                              ;   in Loop: Header=BB275_11 Depth=1
	s_delay_alu instid0(VALU_DEP_3) | instskip(NEXT) | instid1(VALU_DEP_1)
	v_clz_i32_u32_e32 v1, v166
	v_min_u32_e32 v1, 32, v1
	s_delay_alu instid0(VALU_DEP_1) | instskip(SKIP_1) | instid1(VALU_DEP_2)
	v_subrev_nc_u32_e32 v2, 28, v1
	v_sub_nc_u32_e32 v1, 29, v1
	v_lshlrev_b64 v[2:3], v2, v[166:167]
	s_delay_alu instid0(VALU_DEP_1)
	v_and_b32_e32 v166, 7, v2
; %bb.112:                              ;   in Loop: Header=BB275_11 Depth=1
	s_or_b32 exec_lo, exec_lo, s21
	v_lshlrev_b32_e32 v2, 24, v0
	s_delay_alu instid0(VALU_DEP_2) | instskip(SKIP_1) | instid1(VALU_DEP_3)
	v_lshlrev_b32_e32 v3, 20, v166
	v_lshl_add_u32 v1, v1, 23, 0x3c000000
	v_and_b32_e32 v2, 0x80000000, v2
	s_delay_alu instid0(VALU_DEP_1) | instskip(NEXT) | instid1(VALU_DEP_1)
	v_or3_b32 v166, v3, v2, v1
	v_dual_mov_b32 v78, v166 :: v_dual_mov_b32 v79, v167
.LBB275_113:                            ;   in Loop: Header=BB275_11 Depth=1
	s_or_b32 exec_lo, exec_lo, s20
.LBB275_114:                            ;   in Loop: Header=BB275_11 Depth=1
	s_delay_alu instid0(SALU_CYCLE_1)
	s_or_b32 exec_lo, exec_lo, s19
.LBB275_115:                            ;   in Loop: Header=BB275_11 Depth=1
	s_delay_alu instid0(SALU_CYCLE_1) | instskip(SKIP_2) | instid1(VALU_DEP_1)
	s_or_b32 exec_lo, exec_lo, s8
	v_lshrrev_b16 v1, 8, v0
	s_mov_b32 s19, exec_lo
	v_cmpx_ne_u16_e32 0, v1
	s_cbranch_execz .LBB275_123
; %bb.116:                              ;   in Loop: Header=BB275_11 Depth=1
	v_dual_mov_b32 v89, s3 :: v_dual_mov_b32 v88, s2
	s_mov_b32 s20, exec_lo
	v_cmpx_ne_u16_e32 0x80, v1
	s_cbranch_execz .LBB275_122
; %bb.117:                              ;   in Loop: Header=BB275_11 Depth=1
	s_mov_b32 s8, s2
	v_and_b32_e32 v1, 0xffff, v1
	v_dual_mov_b32 v89, s9 :: v_dual_mov_b32 v88, s8
	s_mov_b32 s8, exec_lo
	s_delay_alu instid0(VALU_DEP_2) | instskip(NEXT) | instid1(VALU_DEP_1)
	v_and_b32_e32 v2, 0x7f, v1
	v_cmpx_ne_u32_e32 0x7f, v2
	s_cbranch_execz .LBB275_121
; %bb.118:                              ;   in Loop: Header=BB275_11 Depth=1
	v_and_b32_e32 v166, 7, v1
	v_lshrrev_b32_e32 v1, 3, v2
	s_mov_b32 s21, exec_lo
	v_cmpx_gt_u32_e32 8, v2
; %bb.119:                              ;   in Loop: Header=BB275_11 Depth=1
	s_delay_alu instid0(VALU_DEP_3) | instskip(NEXT) | instid1(VALU_DEP_1)
	v_clz_i32_u32_e32 v1, v166
	v_min_u32_e32 v1, 32, v1
	s_delay_alu instid0(VALU_DEP_1) | instskip(SKIP_1) | instid1(VALU_DEP_2)
	v_subrev_nc_u32_e32 v2, 28, v1
	v_sub_nc_u32_e32 v1, 29, v1
	v_lshlrev_b64 v[2:3], v2, v[166:167]
	s_delay_alu instid0(VALU_DEP_1)
	v_and_b32_e32 v166, 7, v2
; %bb.120:                              ;   in Loop: Header=BB275_11 Depth=1
	s_or_b32 exec_lo, exec_lo, s21
	v_lshlrev_b32_e32 v2, 16, v0
	s_delay_alu instid0(VALU_DEP_2) | instskip(SKIP_1) | instid1(VALU_DEP_3)
	v_dual_mov_b32 v88, v167 :: v_dual_lshlrev_b32 v3, 20, v166
	v_lshl_add_u32 v1, v1, 23, 0x3c000000
	v_and_b32_e32 v2, 0x80000000, v2
	s_delay_alu instid0(VALU_DEP_1)
	v_or3_b32 v89, v3, v2, v1
.LBB275_121:                            ;   in Loop: Header=BB275_11 Depth=1
	s_or_b32 exec_lo, exec_lo, s8
.LBB275_122:                            ;   in Loop: Header=BB275_11 Depth=1
	s_delay_alu instid0(SALU_CYCLE_1)
	s_or_b32 exec_lo, exec_lo, s20
.LBB275_123:                            ;   in Loop: Header=BB275_11 Depth=1
	s_delay_alu instid0(SALU_CYCLE_1) | instskip(SKIP_4) | instid1(VALU_DEP_2)
	s_or_b32 exec_lo, exec_lo, s19
	v_mov_b32_e32 v92, 0
	v_lshrrev_b32_e32 v1, 16, v0
	v_mov_b32_e32 v93, 0
	s_mov_b32 s8, exec_lo
	v_and_b32_e32 v2, 0xff, v1
	s_delay_alu instid0(VALU_DEP_2) | instskip(NEXT) | instid1(VALU_DEP_2)
	v_dual_mov_b32 v90, v92 :: v_dual_mov_b32 v91, v93
	v_cmpx_ne_u16_e32 0, v2
	s_cbranch_execz .LBB275_131
; %bb.124:                              ;   in Loop: Header=BB275_11 Depth=1
	v_bfrev_b32_e32 v90, 1
	v_mov_b32_e32 v91, 0
	s_mov_b32 s19, exec_lo
	v_cmpx_ne_u16_e32 0x80, v2
	s_cbranch_execz .LBB275_130
; %bb.125:                              ;   in Loop: Header=BB275_11 Depth=1
	v_mov_b32_e32 v90, 0x7f800001
	v_bfe_u32 v3, v0, 16, 7
	v_mov_b32_e32 v91, 0
	s_mov_b32 s20, exec_lo
	s_delay_alu instid0(VALU_DEP_2)
	v_cmpx_ne_u32_e32 0x7f, v3
	s_cbranch_execz .LBB275_129
; %bb.126:                              ;   in Loop: Header=BB275_11 Depth=1
	v_and_b32_e32 v166, 7, v1
	v_lshrrev_b32_e32 v2, 3, v3
	s_mov_b32 s21, exec_lo
	v_cmpx_gt_u32_e32 8, v3
; %bb.127:                              ;   in Loop: Header=BB275_11 Depth=1
	s_delay_alu instid0(VALU_DEP_3) | instskip(NEXT) | instid1(VALU_DEP_1)
	v_clz_i32_u32_e32 v2, v166
	v_min_u32_e32 v2, 32, v2
	s_delay_alu instid0(VALU_DEP_1) | instskip(SKIP_1) | instid1(VALU_DEP_2)
	v_subrev_nc_u32_e32 v3, 28, v2
	v_sub_nc_u32_e32 v2, 29, v2
	v_lshlrev_b64 v[3:4], v3, v[166:167]
	s_delay_alu instid0(VALU_DEP_1)
	v_and_b32_e32 v166, 7, v3
; %bb.128:                              ;   in Loop: Header=BB275_11 Depth=1
	s_or_b32 exec_lo, exec_lo, s21
	v_lshlrev_b32_e32 v1, 24, v1
	s_delay_alu instid0(VALU_DEP_2) | instskip(SKIP_1) | instid1(VALU_DEP_3)
	v_lshlrev_b32_e32 v3, 20, v166
	v_lshl_add_u32 v2, v2, 23, 0x3c000000
	v_and_b32_e32 v1, 0x80000000, v1
	s_delay_alu instid0(VALU_DEP_1) | instskip(NEXT) | instid1(VALU_DEP_1)
	v_or3_b32 v166, v3, v1, v2
	v_dual_mov_b32 v90, v166 :: v_dual_mov_b32 v91, v167
.LBB275_129:                            ;   in Loop: Header=BB275_11 Depth=1
	s_or_b32 exec_lo, exec_lo, s20
.LBB275_130:                            ;   in Loop: Header=BB275_11 Depth=1
	s_delay_alu instid0(SALU_CYCLE_1)
	s_or_b32 exec_lo, exec_lo, s19
.LBB275_131:                            ;   in Loop: Header=BB275_11 Depth=1
	s_delay_alu instid0(SALU_CYCLE_1) | instskip(NEXT) | instid1(SALU_CYCLE_1)
	s_or_b32 exec_lo, exec_lo, s8
	s_mov_b32 s19, exec_lo
	v_cmpx_lt_u32_e32 0xffffff, v0
	s_cbranch_execz .LBB275_139
; %bb.132:                              ;   in Loop: Header=BB275_11 Depth=1
	v_lshrrev_b32_e32 v1, 24, v0
	v_dual_mov_b32 v93, s3 :: v_dual_mov_b32 v92, s2
	s_mov_b32 s20, exec_lo
	s_delay_alu instid0(VALU_DEP_2)
	v_cmpx_ne_u32_e32 0x80, v1
	s_cbranch_execz .LBB275_138
; %bb.133:                              ;   in Loop: Header=BB275_11 Depth=1
	s_mov_b32 s8, s2
	v_bfe_u32 v2, v0, 24, 7
	v_dual_mov_b32 v93, s9 :: v_dual_mov_b32 v92, s8
	s_mov_b32 s8, exec_lo
	s_delay_alu instid0(VALU_DEP_2)
	v_cmpx_ne_u32_e32 0x7f, v2
	s_cbranch_execz .LBB275_137
; %bb.134:                              ;   in Loop: Header=BB275_11 Depth=1
	v_and_b32_e32 v166, 7, v1
	v_lshrrev_b32_e32 v0, 3, v2
	s_mov_b32 s21, exec_lo
	v_cmpx_gt_u32_e32 8, v2
; %bb.135:                              ;   in Loop: Header=BB275_11 Depth=1
	s_delay_alu instid0(VALU_DEP_3) | instskip(NEXT) | instid1(VALU_DEP_1)
	v_clz_i32_u32_e32 v0, v166
	v_min_u32_e32 v0, 32, v0
	s_delay_alu instid0(VALU_DEP_1) | instskip(SKIP_1) | instid1(VALU_DEP_2)
	v_subrev_nc_u32_e32 v2, 28, v0
	v_sub_nc_u32_e32 v0, 29, v0
	v_lshlrev_b64 v[2:3], v2, v[166:167]
	s_delay_alu instid0(VALU_DEP_1)
	v_and_b32_e32 v166, 7, v2
; %bb.136:                              ;   in Loop: Header=BB275_11 Depth=1
	s_or_b32 exec_lo, exec_lo, s21
	v_dual_mov_b32 v92, v167 :: v_dual_lshlrev_b32 v1, 24, v1
	s_delay_alu instid0(VALU_DEP_2) | instskip(SKIP_1) | instid1(VALU_DEP_3)
	v_lshlrev_b32_e32 v2, 20, v166
	v_lshl_add_u32 v0, v0, 23, 0x3c000000
	v_and_b32_e32 v1, 0x80000000, v1
	s_delay_alu instid0(VALU_DEP_1)
	v_or3_b32 v93, v2, v1, v0
.LBB275_137:                            ;   in Loop: Header=BB275_11 Depth=1
	s_or_b32 exec_lo, exec_lo, s8
.LBB275_138:                            ;   in Loop: Header=BB275_11 Depth=1
	s_delay_alu instid0(SALU_CYCLE_1)
	s_or_b32 exec_lo, exec_lo, s20
.LBB275_139:                            ;   in Loop: Header=BB275_11 Depth=1
	s_delay_alu instid0(SALU_CYCLE_1) | instskip(SKIP_3) | instid1(VALU_DEP_2)
	s_or_b32 exec_lo, exec_lo, s19
	flat_load_b32 v0, v[60:61] offset:512
	v_mov_b32_e32 v104, 0
	v_mov_b32_e32 v105, 0
	;; [unrolled: 1-line block ×3, first 2 shown]
	s_mov_b32 s8, exec_lo
	s_delay_alu instid0(VALU_DEP_2) | instskip(SKIP_2) | instid1(VALU_DEP_1)
	v_mov_b32_e32 v95, v105
	s_waitcnt vmcnt(0) lgkmcnt(0)
	v_and_b32_e32 v1, 0xff, v0
	v_cmpx_ne_u16_e32 0, v1
	s_cbranch_execz .LBB275_147
; %bb.140:                              ;   in Loop: Header=BB275_11 Depth=1
	v_bfrev_b32_e32 v94, 1
	v_mov_b32_e32 v95, 0
	s_mov_b32 s19, exec_lo
	v_cmpx_ne_u16_e32 0x80, v1
	s_cbranch_execz .LBB275_146
; %bb.141:                              ;   in Loop: Header=BB275_11 Depth=1
	v_mov_b32_e32 v94, 0x7f800001
	v_dual_mov_b32 v95, 0 :: v_dual_and_b32 v2, 0x7f, v0
	s_mov_b32 s20, exec_lo
	s_delay_alu instid0(VALU_DEP_1)
	v_cmpx_ne_u32_e32 0x7f, v2
	s_cbranch_execz .LBB275_145
; %bb.142:                              ;   in Loop: Header=BB275_11 Depth=1
	v_and_b32_e32 v166, 7, v0
	v_lshrrev_b32_e32 v1, 3, v2
	s_mov_b32 s21, exec_lo
	v_cmpx_gt_u32_e32 8, v2
; %bb.143:                              ;   in Loop: Header=BB275_11 Depth=1
	s_delay_alu instid0(VALU_DEP_3) | instskip(NEXT) | instid1(VALU_DEP_1)
	v_clz_i32_u32_e32 v1, v166
	v_min_u32_e32 v1, 32, v1
	s_delay_alu instid0(VALU_DEP_1) | instskip(SKIP_1) | instid1(VALU_DEP_2)
	v_subrev_nc_u32_e32 v2, 28, v1
	v_sub_nc_u32_e32 v1, 29, v1
	v_lshlrev_b64 v[2:3], v2, v[166:167]
	s_delay_alu instid0(VALU_DEP_1)
	v_and_b32_e32 v166, 7, v2
; %bb.144:                              ;   in Loop: Header=BB275_11 Depth=1
	s_or_b32 exec_lo, exec_lo, s21
	v_lshlrev_b32_e32 v2, 24, v0
	s_delay_alu instid0(VALU_DEP_2) | instskip(SKIP_1) | instid1(VALU_DEP_3)
	v_lshlrev_b32_e32 v3, 20, v166
	v_lshl_add_u32 v1, v1, 23, 0x3c000000
	v_and_b32_e32 v2, 0x80000000, v2
	s_delay_alu instid0(VALU_DEP_1) | instskip(NEXT) | instid1(VALU_DEP_1)
	v_or3_b32 v166, v3, v2, v1
	v_dual_mov_b32 v94, v166 :: v_dual_mov_b32 v95, v167
.LBB275_145:                            ;   in Loop: Header=BB275_11 Depth=1
	s_or_b32 exec_lo, exec_lo, s20
.LBB275_146:                            ;   in Loop: Header=BB275_11 Depth=1
	s_delay_alu instid0(SALU_CYCLE_1)
	s_or_b32 exec_lo, exec_lo, s19
.LBB275_147:                            ;   in Loop: Header=BB275_11 Depth=1
	s_delay_alu instid0(SALU_CYCLE_1) | instskip(SKIP_2) | instid1(VALU_DEP_1)
	s_or_b32 exec_lo, exec_lo, s8
	v_lshrrev_b16 v1, 8, v0
	s_mov_b32 s19, exec_lo
	v_cmpx_ne_u16_e32 0, v1
	s_cbranch_execz .LBB275_155
; %bb.148:                              ;   in Loop: Header=BB275_11 Depth=1
	v_dual_mov_b32 v105, s3 :: v_dual_mov_b32 v104, s2
	s_mov_b32 s20, exec_lo
	v_cmpx_ne_u16_e32 0x80, v1
	s_cbranch_execz .LBB275_154
; %bb.149:                              ;   in Loop: Header=BB275_11 Depth=1
	s_mov_b32 s8, s2
	v_and_b32_e32 v1, 0xffff, v1
	v_dual_mov_b32 v105, s9 :: v_dual_mov_b32 v104, s8
	s_mov_b32 s8, exec_lo
	s_delay_alu instid0(VALU_DEP_2) | instskip(NEXT) | instid1(VALU_DEP_1)
	v_and_b32_e32 v2, 0x7f, v1
	v_cmpx_ne_u32_e32 0x7f, v2
	s_cbranch_execz .LBB275_153
; %bb.150:                              ;   in Loop: Header=BB275_11 Depth=1
	v_and_b32_e32 v166, 7, v1
	v_lshrrev_b32_e32 v1, 3, v2
	s_mov_b32 s21, exec_lo
	v_cmpx_gt_u32_e32 8, v2
; %bb.151:                              ;   in Loop: Header=BB275_11 Depth=1
	s_delay_alu instid0(VALU_DEP_3) | instskip(NEXT) | instid1(VALU_DEP_1)
	v_clz_i32_u32_e32 v1, v166
	v_min_u32_e32 v1, 32, v1
	s_delay_alu instid0(VALU_DEP_1) | instskip(SKIP_1) | instid1(VALU_DEP_2)
	v_subrev_nc_u32_e32 v2, 28, v1
	v_sub_nc_u32_e32 v1, 29, v1
	v_lshlrev_b64 v[2:3], v2, v[166:167]
	s_delay_alu instid0(VALU_DEP_1)
	v_and_b32_e32 v166, 7, v2
; %bb.152:                              ;   in Loop: Header=BB275_11 Depth=1
	s_or_b32 exec_lo, exec_lo, s21
	v_lshlrev_b32_e32 v2, 16, v0
	s_delay_alu instid0(VALU_DEP_2) | instskip(SKIP_1) | instid1(VALU_DEP_3)
	v_dual_mov_b32 v104, v167 :: v_dual_lshlrev_b32 v3, 20, v166
	v_lshl_add_u32 v1, v1, 23, 0x3c000000
	v_and_b32_e32 v2, 0x80000000, v2
	s_delay_alu instid0(VALU_DEP_1)
	v_or3_b32 v105, v3, v2, v1
.LBB275_153:                            ;   in Loop: Header=BB275_11 Depth=1
	s_or_b32 exec_lo, exec_lo, s8
.LBB275_154:                            ;   in Loop: Header=BB275_11 Depth=1
	s_delay_alu instid0(SALU_CYCLE_1)
	s_or_b32 exec_lo, exec_lo, s20
.LBB275_155:                            ;   in Loop: Header=BB275_11 Depth=1
	s_delay_alu instid0(SALU_CYCLE_1) | instskip(SKIP_4) | instid1(VALU_DEP_2)
	s_or_b32 exec_lo, exec_lo, s19
	v_mov_b32_e32 v108, 0
	v_lshrrev_b32_e32 v1, 16, v0
	v_mov_b32_e32 v109, 0
	s_mov_b32 s8, exec_lo
	v_and_b32_e32 v2, 0xff, v1
	s_delay_alu instid0(VALU_DEP_2) | instskip(NEXT) | instid1(VALU_DEP_2)
	v_dual_mov_b32 v106, v108 :: v_dual_mov_b32 v107, v109
	v_cmpx_ne_u16_e32 0, v2
	s_cbranch_execz .LBB275_163
; %bb.156:                              ;   in Loop: Header=BB275_11 Depth=1
	v_bfrev_b32_e32 v106, 1
	v_mov_b32_e32 v107, 0
	s_mov_b32 s19, exec_lo
	v_cmpx_ne_u16_e32 0x80, v2
	s_cbranch_execz .LBB275_162
; %bb.157:                              ;   in Loop: Header=BB275_11 Depth=1
	v_mov_b32_e32 v106, 0x7f800001
	v_bfe_u32 v3, v0, 16, 7
	v_mov_b32_e32 v107, 0
	s_mov_b32 s20, exec_lo
	s_delay_alu instid0(VALU_DEP_2)
	v_cmpx_ne_u32_e32 0x7f, v3
	s_cbranch_execz .LBB275_161
; %bb.158:                              ;   in Loop: Header=BB275_11 Depth=1
	v_and_b32_e32 v166, 7, v1
	v_lshrrev_b32_e32 v2, 3, v3
	s_mov_b32 s21, exec_lo
	v_cmpx_gt_u32_e32 8, v3
; %bb.159:                              ;   in Loop: Header=BB275_11 Depth=1
	s_delay_alu instid0(VALU_DEP_3) | instskip(NEXT) | instid1(VALU_DEP_1)
	v_clz_i32_u32_e32 v2, v166
	v_min_u32_e32 v2, 32, v2
	s_delay_alu instid0(VALU_DEP_1) | instskip(SKIP_1) | instid1(VALU_DEP_2)
	v_subrev_nc_u32_e32 v3, 28, v2
	v_sub_nc_u32_e32 v2, 29, v2
	v_lshlrev_b64 v[3:4], v3, v[166:167]
	s_delay_alu instid0(VALU_DEP_1)
	v_and_b32_e32 v166, 7, v3
; %bb.160:                              ;   in Loop: Header=BB275_11 Depth=1
	s_or_b32 exec_lo, exec_lo, s21
	v_lshlrev_b32_e32 v1, 24, v1
	s_delay_alu instid0(VALU_DEP_2) | instskip(SKIP_1) | instid1(VALU_DEP_3)
	v_lshlrev_b32_e32 v3, 20, v166
	v_lshl_add_u32 v2, v2, 23, 0x3c000000
	v_and_b32_e32 v1, 0x80000000, v1
	s_delay_alu instid0(VALU_DEP_1) | instskip(NEXT) | instid1(VALU_DEP_1)
	v_or3_b32 v166, v3, v1, v2
	v_dual_mov_b32 v106, v166 :: v_dual_mov_b32 v107, v167
.LBB275_161:                            ;   in Loop: Header=BB275_11 Depth=1
	s_or_b32 exec_lo, exec_lo, s20
.LBB275_162:                            ;   in Loop: Header=BB275_11 Depth=1
	s_delay_alu instid0(SALU_CYCLE_1)
	s_or_b32 exec_lo, exec_lo, s19
.LBB275_163:                            ;   in Loop: Header=BB275_11 Depth=1
	s_delay_alu instid0(SALU_CYCLE_1) | instskip(NEXT) | instid1(SALU_CYCLE_1)
	s_or_b32 exec_lo, exec_lo, s8
	s_mov_b32 s19, exec_lo
	v_cmpx_lt_u32_e32 0xffffff, v0
	s_cbranch_execz .LBB275_171
; %bb.164:                              ;   in Loop: Header=BB275_11 Depth=1
	v_lshrrev_b32_e32 v1, 24, v0
	v_dual_mov_b32 v109, s3 :: v_dual_mov_b32 v108, s2
	s_mov_b32 s20, exec_lo
	s_delay_alu instid0(VALU_DEP_2)
	v_cmpx_ne_u32_e32 0x80, v1
	s_cbranch_execz .LBB275_170
; %bb.165:                              ;   in Loop: Header=BB275_11 Depth=1
	s_mov_b32 s8, s2
	v_bfe_u32 v2, v0, 24, 7
	v_dual_mov_b32 v109, s9 :: v_dual_mov_b32 v108, s8
	s_mov_b32 s8, exec_lo
	s_delay_alu instid0(VALU_DEP_2)
	v_cmpx_ne_u32_e32 0x7f, v2
	s_cbranch_execz .LBB275_169
; %bb.166:                              ;   in Loop: Header=BB275_11 Depth=1
	v_and_b32_e32 v166, 7, v1
	v_lshrrev_b32_e32 v0, 3, v2
	s_mov_b32 s21, exec_lo
	v_cmpx_gt_u32_e32 8, v2
; %bb.167:                              ;   in Loop: Header=BB275_11 Depth=1
	s_delay_alu instid0(VALU_DEP_3) | instskip(NEXT) | instid1(VALU_DEP_1)
	v_clz_i32_u32_e32 v0, v166
	v_min_u32_e32 v0, 32, v0
	s_delay_alu instid0(VALU_DEP_1) | instskip(SKIP_1) | instid1(VALU_DEP_2)
	v_subrev_nc_u32_e32 v2, 28, v0
	v_sub_nc_u32_e32 v0, 29, v0
	v_lshlrev_b64 v[2:3], v2, v[166:167]
	s_delay_alu instid0(VALU_DEP_1)
	v_and_b32_e32 v166, 7, v2
; %bb.168:                              ;   in Loop: Header=BB275_11 Depth=1
	s_or_b32 exec_lo, exec_lo, s21
	v_dual_mov_b32 v108, v167 :: v_dual_lshlrev_b32 v1, 24, v1
	s_delay_alu instid0(VALU_DEP_2) | instskip(SKIP_1) | instid1(VALU_DEP_3)
	v_lshlrev_b32_e32 v2, 20, v166
	v_lshl_add_u32 v0, v0, 23, 0x3c000000
	v_and_b32_e32 v1, 0x80000000, v1
	s_delay_alu instid0(VALU_DEP_1)
	v_or3_b32 v109, v2, v1, v0
.LBB275_169:                            ;   in Loop: Header=BB275_11 Depth=1
	s_or_b32 exec_lo, exec_lo, s8
.LBB275_170:                            ;   in Loop: Header=BB275_11 Depth=1
	s_delay_alu instid0(SALU_CYCLE_1)
	s_or_b32 exec_lo, exec_lo, s20
.LBB275_171:                            ;   in Loop: Header=BB275_11 Depth=1
	s_delay_alu instid0(SALU_CYCLE_1) | instskip(SKIP_3) | instid1(VALU_DEP_2)
	s_or_b32 exec_lo, exec_lo, s19
	flat_load_b32 v0, v[60:61] offset:516
	v_mov_b32_e32 v120, 0
	v_mov_b32_e32 v121, 0
	;; [unrolled: 1-line block ×3, first 2 shown]
	s_mov_b32 s8, exec_lo
	s_delay_alu instid0(VALU_DEP_2) | instskip(SKIP_2) | instid1(VALU_DEP_1)
	v_mov_b32_e32 v111, v121
	s_waitcnt vmcnt(0) lgkmcnt(0)
	v_and_b32_e32 v1, 0xff, v0
	v_cmpx_ne_u16_e32 0, v1
	s_cbranch_execz .LBB275_179
; %bb.172:                              ;   in Loop: Header=BB275_11 Depth=1
	v_bfrev_b32_e32 v110, 1
	v_mov_b32_e32 v111, 0
	s_mov_b32 s19, exec_lo
	v_cmpx_ne_u16_e32 0x80, v1
	s_cbranch_execz .LBB275_178
; %bb.173:                              ;   in Loop: Header=BB275_11 Depth=1
	v_mov_b32_e32 v110, 0x7f800001
	v_dual_mov_b32 v111, 0 :: v_dual_and_b32 v2, 0x7f, v0
	s_mov_b32 s20, exec_lo
	s_delay_alu instid0(VALU_DEP_1)
	v_cmpx_ne_u32_e32 0x7f, v2
	s_cbranch_execz .LBB275_177
; %bb.174:                              ;   in Loop: Header=BB275_11 Depth=1
	v_and_b32_e32 v166, 7, v0
	v_lshrrev_b32_e32 v1, 3, v2
	s_mov_b32 s21, exec_lo
	v_cmpx_gt_u32_e32 8, v2
; %bb.175:                              ;   in Loop: Header=BB275_11 Depth=1
	s_delay_alu instid0(VALU_DEP_3) | instskip(NEXT) | instid1(VALU_DEP_1)
	v_clz_i32_u32_e32 v1, v166
	v_min_u32_e32 v1, 32, v1
	s_delay_alu instid0(VALU_DEP_1) | instskip(SKIP_1) | instid1(VALU_DEP_2)
	v_subrev_nc_u32_e32 v2, 28, v1
	v_sub_nc_u32_e32 v1, 29, v1
	v_lshlrev_b64 v[2:3], v2, v[166:167]
	s_delay_alu instid0(VALU_DEP_1)
	v_and_b32_e32 v166, 7, v2
; %bb.176:                              ;   in Loop: Header=BB275_11 Depth=1
	s_or_b32 exec_lo, exec_lo, s21
	v_lshlrev_b32_e32 v2, 24, v0
	s_delay_alu instid0(VALU_DEP_2) | instskip(SKIP_1) | instid1(VALU_DEP_3)
	v_lshlrev_b32_e32 v3, 20, v166
	v_lshl_add_u32 v1, v1, 23, 0x3c000000
	v_and_b32_e32 v2, 0x80000000, v2
	s_delay_alu instid0(VALU_DEP_1) | instskip(NEXT) | instid1(VALU_DEP_1)
	v_or3_b32 v166, v3, v2, v1
	v_dual_mov_b32 v110, v166 :: v_dual_mov_b32 v111, v167
.LBB275_177:                            ;   in Loop: Header=BB275_11 Depth=1
	s_or_b32 exec_lo, exec_lo, s20
.LBB275_178:                            ;   in Loop: Header=BB275_11 Depth=1
	s_delay_alu instid0(SALU_CYCLE_1)
	s_or_b32 exec_lo, exec_lo, s19
.LBB275_179:                            ;   in Loop: Header=BB275_11 Depth=1
	s_delay_alu instid0(SALU_CYCLE_1) | instskip(SKIP_2) | instid1(VALU_DEP_1)
	s_or_b32 exec_lo, exec_lo, s8
	v_lshrrev_b16 v1, 8, v0
	s_mov_b32 s19, exec_lo
	v_cmpx_ne_u16_e32 0, v1
	s_cbranch_execz .LBB275_187
; %bb.180:                              ;   in Loop: Header=BB275_11 Depth=1
	v_dual_mov_b32 v121, s3 :: v_dual_mov_b32 v120, s2
	s_mov_b32 s20, exec_lo
	v_cmpx_ne_u16_e32 0x80, v1
	s_cbranch_execz .LBB275_186
; %bb.181:                              ;   in Loop: Header=BB275_11 Depth=1
	s_mov_b32 s8, s2
	v_and_b32_e32 v1, 0xffff, v1
	v_dual_mov_b32 v121, s9 :: v_dual_mov_b32 v120, s8
	s_mov_b32 s8, exec_lo
	s_delay_alu instid0(VALU_DEP_2) | instskip(NEXT) | instid1(VALU_DEP_1)
	v_and_b32_e32 v2, 0x7f, v1
	v_cmpx_ne_u32_e32 0x7f, v2
	s_cbranch_execz .LBB275_185
; %bb.182:                              ;   in Loop: Header=BB275_11 Depth=1
	v_and_b32_e32 v166, 7, v1
	v_lshrrev_b32_e32 v1, 3, v2
	s_mov_b32 s21, exec_lo
	v_cmpx_gt_u32_e32 8, v2
; %bb.183:                              ;   in Loop: Header=BB275_11 Depth=1
	s_delay_alu instid0(VALU_DEP_3) | instskip(NEXT) | instid1(VALU_DEP_1)
	v_clz_i32_u32_e32 v1, v166
	v_min_u32_e32 v1, 32, v1
	s_delay_alu instid0(VALU_DEP_1) | instskip(SKIP_1) | instid1(VALU_DEP_2)
	v_subrev_nc_u32_e32 v2, 28, v1
	v_sub_nc_u32_e32 v1, 29, v1
	v_lshlrev_b64 v[2:3], v2, v[166:167]
	s_delay_alu instid0(VALU_DEP_1)
	v_and_b32_e32 v166, 7, v2
; %bb.184:                              ;   in Loop: Header=BB275_11 Depth=1
	s_or_b32 exec_lo, exec_lo, s21
	v_lshlrev_b32_e32 v2, 16, v0
	s_delay_alu instid0(VALU_DEP_2) | instskip(SKIP_1) | instid1(VALU_DEP_3)
	v_dual_mov_b32 v120, v167 :: v_dual_lshlrev_b32 v3, 20, v166
	v_lshl_add_u32 v1, v1, 23, 0x3c000000
	v_and_b32_e32 v2, 0x80000000, v2
	s_delay_alu instid0(VALU_DEP_1)
	v_or3_b32 v121, v3, v2, v1
.LBB275_185:                            ;   in Loop: Header=BB275_11 Depth=1
	s_or_b32 exec_lo, exec_lo, s8
.LBB275_186:                            ;   in Loop: Header=BB275_11 Depth=1
	s_delay_alu instid0(SALU_CYCLE_1)
	s_or_b32 exec_lo, exec_lo, s20
.LBB275_187:                            ;   in Loop: Header=BB275_11 Depth=1
	s_delay_alu instid0(SALU_CYCLE_1) | instskip(SKIP_4) | instid1(VALU_DEP_2)
	s_or_b32 exec_lo, exec_lo, s19
	v_mov_b32_e32 v124, 0
	v_lshrrev_b32_e32 v1, 16, v0
	v_mov_b32_e32 v125, 0
	s_mov_b32 s8, exec_lo
	v_and_b32_e32 v2, 0xff, v1
	s_delay_alu instid0(VALU_DEP_2) | instskip(NEXT) | instid1(VALU_DEP_2)
	v_dual_mov_b32 v122, v124 :: v_dual_mov_b32 v123, v125
	v_cmpx_ne_u16_e32 0, v2
	s_cbranch_execz .LBB275_195
; %bb.188:                              ;   in Loop: Header=BB275_11 Depth=1
	v_bfrev_b32_e32 v122, 1
	v_mov_b32_e32 v123, 0
	s_mov_b32 s19, exec_lo
	v_cmpx_ne_u16_e32 0x80, v2
	s_cbranch_execz .LBB275_194
; %bb.189:                              ;   in Loop: Header=BB275_11 Depth=1
	v_mov_b32_e32 v122, 0x7f800001
	v_bfe_u32 v3, v0, 16, 7
	v_mov_b32_e32 v123, 0
	s_mov_b32 s20, exec_lo
	s_delay_alu instid0(VALU_DEP_2)
	v_cmpx_ne_u32_e32 0x7f, v3
	s_cbranch_execz .LBB275_193
; %bb.190:                              ;   in Loop: Header=BB275_11 Depth=1
	v_and_b32_e32 v166, 7, v1
	v_lshrrev_b32_e32 v2, 3, v3
	s_mov_b32 s21, exec_lo
	v_cmpx_gt_u32_e32 8, v3
; %bb.191:                              ;   in Loop: Header=BB275_11 Depth=1
	s_delay_alu instid0(VALU_DEP_3) | instskip(NEXT) | instid1(VALU_DEP_1)
	v_clz_i32_u32_e32 v2, v166
	v_min_u32_e32 v2, 32, v2
	s_delay_alu instid0(VALU_DEP_1) | instskip(SKIP_1) | instid1(VALU_DEP_2)
	v_subrev_nc_u32_e32 v3, 28, v2
	v_sub_nc_u32_e32 v2, 29, v2
	v_lshlrev_b64 v[3:4], v3, v[166:167]
	s_delay_alu instid0(VALU_DEP_1)
	v_and_b32_e32 v166, 7, v3
; %bb.192:                              ;   in Loop: Header=BB275_11 Depth=1
	s_or_b32 exec_lo, exec_lo, s21
	v_lshlrev_b32_e32 v1, 24, v1
	s_delay_alu instid0(VALU_DEP_2) | instskip(SKIP_1) | instid1(VALU_DEP_3)
	v_lshlrev_b32_e32 v3, 20, v166
	v_lshl_add_u32 v2, v2, 23, 0x3c000000
	v_and_b32_e32 v1, 0x80000000, v1
	s_delay_alu instid0(VALU_DEP_1) | instskip(NEXT) | instid1(VALU_DEP_1)
	v_or3_b32 v166, v3, v1, v2
	v_dual_mov_b32 v122, v166 :: v_dual_mov_b32 v123, v167
.LBB275_193:                            ;   in Loop: Header=BB275_11 Depth=1
	s_or_b32 exec_lo, exec_lo, s20
.LBB275_194:                            ;   in Loop: Header=BB275_11 Depth=1
	s_delay_alu instid0(SALU_CYCLE_1)
	s_or_b32 exec_lo, exec_lo, s19
.LBB275_195:                            ;   in Loop: Header=BB275_11 Depth=1
	s_delay_alu instid0(SALU_CYCLE_1) | instskip(NEXT) | instid1(SALU_CYCLE_1)
	s_or_b32 exec_lo, exec_lo, s8
	s_mov_b32 s19, exec_lo
	v_cmpx_lt_u32_e32 0xffffff, v0
	s_cbranch_execz .LBB275_203
; %bb.196:                              ;   in Loop: Header=BB275_11 Depth=1
	v_lshrrev_b32_e32 v1, 24, v0
	v_dual_mov_b32 v125, s3 :: v_dual_mov_b32 v124, s2
	s_mov_b32 s20, exec_lo
	s_delay_alu instid0(VALU_DEP_2)
	v_cmpx_ne_u32_e32 0x80, v1
	s_cbranch_execz .LBB275_202
; %bb.197:                              ;   in Loop: Header=BB275_11 Depth=1
	s_mov_b32 s8, s2
	v_bfe_u32 v2, v0, 24, 7
	v_dual_mov_b32 v125, s9 :: v_dual_mov_b32 v124, s8
	s_mov_b32 s8, exec_lo
	s_delay_alu instid0(VALU_DEP_2)
	v_cmpx_ne_u32_e32 0x7f, v2
	s_cbranch_execz .LBB275_201
; %bb.198:                              ;   in Loop: Header=BB275_11 Depth=1
	v_and_b32_e32 v166, 7, v1
	v_lshrrev_b32_e32 v0, 3, v2
	s_mov_b32 s21, exec_lo
	v_cmpx_gt_u32_e32 8, v2
; %bb.199:                              ;   in Loop: Header=BB275_11 Depth=1
	s_delay_alu instid0(VALU_DEP_3) | instskip(NEXT) | instid1(VALU_DEP_1)
	v_clz_i32_u32_e32 v0, v166
	v_min_u32_e32 v0, 32, v0
	s_delay_alu instid0(VALU_DEP_1) | instskip(SKIP_1) | instid1(VALU_DEP_2)
	v_subrev_nc_u32_e32 v2, 28, v0
	v_sub_nc_u32_e32 v0, 29, v0
	v_lshlrev_b64 v[2:3], v2, v[166:167]
	s_delay_alu instid0(VALU_DEP_1)
	v_and_b32_e32 v166, 7, v2
; %bb.200:                              ;   in Loop: Header=BB275_11 Depth=1
	s_or_b32 exec_lo, exec_lo, s21
	v_dual_mov_b32 v124, v167 :: v_dual_lshlrev_b32 v1, 24, v1
	s_delay_alu instid0(VALU_DEP_2) | instskip(SKIP_1) | instid1(VALU_DEP_3)
	v_lshlrev_b32_e32 v2, 20, v166
	v_lshl_add_u32 v0, v0, 23, 0x3c000000
	v_and_b32_e32 v1, 0x80000000, v1
	s_delay_alu instid0(VALU_DEP_1)
	v_or3_b32 v125, v2, v1, v0
.LBB275_201:                            ;   in Loop: Header=BB275_11 Depth=1
	s_or_b32 exec_lo, exec_lo, s8
.LBB275_202:                            ;   in Loop: Header=BB275_11 Depth=1
	s_delay_alu instid0(SALU_CYCLE_1)
	s_or_b32 exec_lo, exec_lo, s20
.LBB275_203:                            ;   in Loop: Header=BB275_11 Depth=1
	s_delay_alu instid0(SALU_CYCLE_1) | instskip(SKIP_3) | instid1(VALU_DEP_2)
	s_or_b32 exec_lo, exec_lo, s19
	flat_load_b32 v0, v[60:61] offset:520
	v_mov_b32_e32 v136, 0
	v_mov_b32_e32 v137, 0
	;; [unrolled: 1-line block ×3, first 2 shown]
	s_mov_b32 s8, exec_lo
	s_delay_alu instid0(VALU_DEP_2) | instskip(SKIP_2) | instid1(VALU_DEP_1)
	v_mov_b32_e32 v127, v137
	s_waitcnt vmcnt(0) lgkmcnt(0)
	v_and_b32_e32 v1, 0xff, v0
	v_cmpx_ne_u16_e32 0, v1
	s_cbranch_execz .LBB275_211
; %bb.204:                              ;   in Loop: Header=BB275_11 Depth=1
	v_bfrev_b32_e32 v126, 1
	v_mov_b32_e32 v127, 0
	s_mov_b32 s19, exec_lo
	v_cmpx_ne_u16_e32 0x80, v1
	s_cbranch_execz .LBB275_210
; %bb.205:                              ;   in Loop: Header=BB275_11 Depth=1
	v_mov_b32_e32 v126, 0x7f800001
	v_dual_mov_b32 v127, 0 :: v_dual_and_b32 v2, 0x7f, v0
	s_mov_b32 s20, exec_lo
	s_delay_alu instid0(VALU_DEP_1)
	v_cmpx_ne_u32_e32 0x7f, v2
	s_cbranch_execz .LBB275_209
; %bb.206:                              ;   in Loop: Header=BB275_11 Depth=1
	v_and_b32_e32 v166, 7, v0
	v_lshrrev_b32_e32 v1, 3, v2
	s_mov_b32 s21, exec_lo
	v_cmpx_gt_u32_e32 8, v2
; %bb.207:                              ;   in Loop: Header=BB275_11 Depth=1
	s_delay_alu instid0(VALU_DEP_3) | instskip(NEXT) | instid1(VALU_DEP_1)
	v_clz_i32_u32_e32 v1, v166
	v_min_u32_e32 v1, 32, v1
	s_delay_alu instid0(VALU_DEP_1) | instskip(SKIP_1) | instid1(VALU_DEP_2)
	v_subrev_nc_u32_e32 v2, 28, v1
	v_sub_nc_u32_e32 v1, 29, v1
	v_lshlrev_b64 v[2:3], v2, v[166:167]
	s_delay_alu instid0(VALU_DEP_1)
	v_and_b32_e32 v166, 7, v2
; %bb.208:                              ;   in Loop: Header=BB275_11 Depth=1
	s_or_b32 exec_lo, exec_lo, s21
	v_lshlrev_b32_e32 v2, 24, v0
	s_delay_alu instid0(VALU_DEP_2) | instskip(SKIP_1) | instid1(VALU_DEP_3)
	v_lshlrev_b32_e32 v3, 20, v166
	v_lshl_add_u32 v1, v1, 23, 0x3c000000
	v_and_b32_e32 v2, 0x80000000, v2
	s_delay_alu instid0(VALU_DEP_1) | instskip(NEXT) | instid1(VALU_DEP_1)
	v_or3_b32 v166, v3, v2, v1
	v_dual_mov_b32 v126, v166 :: v_dual_mov_b32 v127, v167
.LBB275_209:                            ;   in Loop: Header=BB275_11 Depth=1
	s_or_b32 exec_lo, exec_lo, s20
.LBB275_210:                            ;   in Loop: Header=BB275_11 Depth=1
	s_delay_alu instid0(SALU_CYCLE_1)
	s_or_b32 exec_lo, exec_lo, s19
.LBB275_211:                            ;   in Loop: Header=BB275_11 Depth=1
	s_delay_alu instid0(SALU_CYCLE_1) | instskip(SKIP_2) | instid1(VALU_DEP_1)
	s_or_b32 exec_lo, exec_lo, s8
	v_lshrrev_b16 v1, 8, v0
	s_mov_b32 s19, exec_lo
	v_cmpx_ne_u16_e32 0, v1
	s_cbranch_execz .LBB275_219
; %bb.212:                              ;   in Loop: Header=BB275_11 Depth=1
	v_dual_mov_b32 v137, s3 :: v_dual_mov_b32 v136, s2
	s_mov_b32 s20, exec_lo
	v_cmpx_ne_u16_e32 0x80, v1
	s_cbranch_execz .LBB275_218
; %bb.213:                              ;   in Loop: Header=BB275_11 Depth=1
	s_mov_b32 s8, s2
	v_and_b32_e32 v1, 0xffff, v1
	v_dual_mov_b32 v137, s9 :: v_dual_mov_b32 v136, s8
	s_mov_b32 s8, exec_lo
	s_delay_alu instid0(VALU_DEP_2) | instskip(NEXT) | instid1(VALU_DEP_1)
	v_and_b32_e32 v2, 0x7f, v1
	v_cmpx_ne_u32_e32 0x7f, v2
	s_cbranch_execz .LBB275_217
; %bb.214:                              ;   in Loop: Header=BB275_11 Depth=1
	v_and_b32_e32 v166, 7, v1
	v_lshrrev_b32_e32 v1, 3, v2
	s_mov_b32 s21, exec_lo
	v_cmpx_gt_u32_e32 8, v2
; %bb.215:                              ;   in Loop: Header=BB275_11 Depth=1
	s_delay_alu instid0(VALU_DEP_3) | instskip(NEXT) | instid1(VALU_DEP_1)
	v_clz_i32_u32_e32 v1, v166
	v_min_u32_e32 v1, 32, v1
	s_delay_alu instid0(VALU_DEP_1) | instskip(SKIP_1) | instid1(VALU_DEP_2)
	v_subrev_nc_u32_e32 v2, 28, v1
	v_sub_nc_u32_e32 v1, 29, v1
	v_lshlrev_b64 v[2:3], v2, v[166:167]
	s_delay_alu instid0(VALU_DEP_1)
	v_and_b32_e32 v166, 7, v2
; %bb.216:                              ;   in Loop: Header=BB275_11 Depth=1
	s_or_b32 exec_lo, exec_lo, s21
	v_lshlrev_b32_e32 v2, 16, v0
	s_delay_alu instid0(VALU_DEP_2) | instskip(SKIP_1) | instid1(VALU_DEP_3)
	v_dual_mov_b32 v136, v167 :: v_dual_lshlrev_b32 v3, 20, v166
	v_lshl_add_u32 v1, v1, 23, 0x3c000000
	v_and_b32_e32 v2, 0x80000000, v2
	s_delay_alu instid0(VALU_DEP_1)
	v_or3_b32 v137, v3, v2, v1
.LBB275_217:                            ;   in Loop: Header=BB275_11 Depth=1
	s_or_b32 exec_lo, exec_lo, s8
.LBB275_218:                            ;   in Loop: Header=BB275_11 Depth=1
	s_delay_alu instid0(SALU_CYCLE_1)
	s_or_b32 exec_lo, exec_lo, s20
.LBB275_219:                            ;   in Loop: Header=BB275_11 Depth=1
	s_delay_alu instid0(SALU_CYCLE_1) | instskip(SKIP_4) | instid1(VALU_DEP_2)
	s_or_b32 exec_lo, exec_lo, s19
	v_mov_b32_e32 v140, 0
	v_lshrrev_b32_e32 v1, 16, v0
	v_mov_b32_e32 v141, 0
	s_mov_b32 s8, exec_lo
	v_and_b32_e32 v2, 0xff, v1
	s_delay_alu instid0(VALU_DEP_2) | instskip(NEXT) | instid1(VALU_DEP_2)
	v_dual_mov_b32 v138, v140 :: v_dual_mov_b32 v139, v141
	v_cmpx_ne_u16_e32 0, v2
	s_cbranch_execz .LBB275_227
; %bb.220:                              ;   in Loop: Header=BB275_11 Depth=1
	v_bfrev_b32_e32 v138, 1
	v_mov_b32_e32 v139, 0
	s_mov_b32 s19, exec_lo
	v_cmpx_ne_u16_e32 0x80, v2
	s_cbranch_execz .LBB275_226
; %bb.221:                              ;   in Loop: Header=BB275_11 Depth=1
	v_mov_b32_e32 v138, 0x7f800001
	v_bfe_u32 v3, v0, 16, 7
	v_mov_b32_e32 v139, 0
	s_mov_b32 s20, exec_lo
	s_delay_alu instid0(VALU_DEP_2)
	v_cmpx_ne_u32_e32 0x7f, v3
	s_cbranch_execz .LBB275_225
; %bb.222:                              ;   in Loop: Header=BB275_11 Depth=1
	v_and_b32_e32 v166, 7, v1
	v_lshrrev_b32_e32 v2, 3, v3
	s_mov_b32 s21, exec_lo
	v_cmpx_gt_u32_e32 8, v3
; %bb.223:                              ;   in Loop: Header=BB275_11 Depth=1
	s_delay_alu instid0(VALU_DEP_3) | instskip(NEXT) | instid1(VALU_DEP_1)
	v_clz_i32_u32_e32 v2, v166
	v_min_u32_e32 v2, 32, v2
	s_delay_alu instid0(VALU_DEP_1) | instskip(SKIP_1) | instid1(VALU_DEP_2)
	v_subrev_nc_u32_e32 v3, 28, v2
	v_sub_nc_u32_e32 v2, 29, v2
	v_lshlrev_b64 v[3:4], v3, v[166:167]
	s_delay_alu instid0(VALU_DEP_1)
	v_and_b32_e32 v166, 7, v3
; %bb.224:                              ;   in Loop: Header=BB275_11 Depth=1
	s_or_b32 exec_lo, exec_lo, s21
	v_lshlrev_b32_e32 v1, 24, v1
	s_delay_alu instid0(VALU_DEP_2) | instskip(SKIP_1) | instid1(VALU_DEP_3)
	v_lshlrev_b32_e32 v3, 20, v166
	v_lshl_add_u32 v2, v2, 23, 0x3c000000
	v_and_b32_e32 v1, 0x80000000, v1
	s_delay_alu instid0(VALU_DEP_1) | instskip(NEXT) | instid1(VALU_DEP_1)
	v_or3_b32 v166, v3, v1, v2
	v_dual_mov_b32 v138, v166 :: v_dual_mov_b32 v139, v167
.LBB275_225:                            ;   in Loop: Header=BB275_11 Depth=1
	s_or_b32 exec_lo, exec_lo, s20
.LBB275_226:                            ;   in Loop: Header=BB275_11 Depth=1
	s_delay_alu instid0(SALU_CYCLE_1)
	s_or_b32 exec_lo, exec_lo, s19
.LBB275_227:                            ;   in Loop: Header=BB275_11 Depth=1
	s_delay_alu instid0(SALU_CYCLE_1) | instskip(NEXT) | instid1(SALU_CYCLE_1)
	s_or_b32 exec_lo, exec_lo, s8
	s_mov_b32 s19, exec_lo
	v_cmpx_lt_u32_e32 0xffffff, v0
	s_cbranch_execz .LBB275_235
; %bb.228:                              ;   in Loop: Header=BB275_11 Depth=1
	v_lshrrev_b32_e32 v1, 24, v0
	v_dual_mov_b32 v141, s3 :: v_dual_mov_b32 v140, s2
	s_mov_b32 s20, exec_lo
	s_delay_alu instid0(VALU_DEP_2)
	v_cmpx_ne_u32_e32 0x80, v1
	s_cbranch_execz .LBB275_234
; %bb.229:                              ;   in Loop: Header=BB275_11 Depth=1
	s_mov_b32 s8, s2
	v_bfe_u32 v2, v0, 24, 7
	v_dual_mov_b32 v141, s9 :: v_dual_mov_b32 v140, s8
	s_mov_b32 s8, exec_lo
	s_delay_alu instid0(VALU_DEP_2)
	v_cmpx_ne_u32_e32 0x7f, v2
	s_cbranch_execz .LBB275_233
; %bb.230:                              ;   in Loop: Header=BB275_11 Depth=1
	v_and_b32_e32 v166, 7, v1
	v_lshrrev_b32_e32 v0, 3, v2
	s_mov_b32 s21, exec_lo
	v_cmpx_gt_u32_e32 8, v2
; %bb.231:                              ;   in Loop: Header=BB275_11 Depth=1
	s_delay_alu instid0(VALU_DEP_3) | instskip(NEXT) | instid1(VALU_DEP_1)
	v_clz_i32_u32_e32 v0, v166
	v_min_u32_e32 v0, 32, v0
	s_delay_alu instid0(VALU_DEP_1) | instskip(SKIP_1) | instid1(VALU_DEP_2)
	v_subrev_nc_u32_e32 v2, 28, v0
	v_sub_nc_u32_e32 v0, 29, v0
	v_lshlrev_b64 v[2:3], v2, v[166:167]
	s_delay_alu instid0(VALU_DEP_1)
	v_and_b32_e32 v166, 7, v2
; %bb.232:                              ;   in Loop: Header=BB275_11 Depth=1
	s_or_b32 exec_lo, exec_lo, s21
	v_dual_mov_b32 v140, v167 :: v_dual_lshlrev_b32 v1, 24, v1
	s_delay_alu instid0(VALU_DEP_2) | instskip(SKIP_1) | instid1(VALU_DEP_3)
	v_lshlrev_b32_e32 v2, 20, v166
	v_lshl_add_u32 v0, v0, 23, 0x3c000000
	v_and_b32_e32 v1, 0x80000000, v1
	s_delay_alu instid0(VALU_DEP_1)
	v_or3_b32 v141, v2, v1, v0
.LBB275_233:                            ;   in Loop: Header=BB275_11 Depth=1
	s_or_b32 exec_lo, exec_lo, s8
.LBB275_234:                            ;   in Loop: Header=BB275_11 Depth=1
	s_delay_alu instid0(SALU_CYCLE_1)
	s_or_b32 exec_lo, exec_lo, s20
.LBB275_235:                            ;   in Loop: Header=BB275_11 Depth=1
	s_delay_alu instid0(SALU_CYCLE_1) | instskip(SKIP_3) | instid1(VALU_DEP_2)
	s_or_b32 exec_lo, exec_lo, s19
	flat_load_b32 v0, v[60:61] offset:524
	v_mov_b32_e32 v152, 0
	v_mov_b32_e32 v153, 0
	v_mov_b32_e32 v142, v152
	s_mov_b32 s8, exec_lo
	s_delay_alu instid0(VALU_DEP_2) | instskip(SKIP_2) | instid1(VALU_DEP_1)
	v_mov_b32_e32 v143, v153
	s_waitcnt vmcnt(0) lgkmcnt(0)
	v_and_b32_e32 v1, 0xff, v0
	v_cmpx_ne_u16_e32 0, v1
	s_cbranch_execz .LBB275_243
; %bb.236:                              ;   in Loop: Header=BB275_11 Depth=1
	v_bfrev_b32_e32 v142, 1
	v_mov_b32_e32 v143, 0
	s_mov_b32 s19, exec_lo
	v_cmpx_ne_u16_e32 0x80, v1
	s_cbranch_execz .LBB275_242
; %bb.237:                              ;   in Loop: Header=BB275_11 Depth=1
	v_mov_b32_e32 v142, 0x7f800001
	v_dual_mov_b32 v143, 0 :: v_dual_and_b32 v2, 0x7f, v0
	s_mov_b32 s20, exec_lo
	s_delay_alu instid0(VALU_DEP_1)
	v_cmpx_ne_u32_e32 0x7f, v2
	s_cbranch_execz .LBB275_241
; %bb.238:                              ;   in Loop: Header=BB275_11 Depth=1
	v_and_b32_e32 v166, 7, v0
	v_lshrrev_b32_e32 v1, 3, v2
	s_mov_b32 s21, exec_lo
	v_cmpx_gt_u32_e32 8, v2
; %bb.239:                              ;   in Loop: Header=BB275_11 Depth=1
	s_delay_alu instid0(VALU_DEP_3) | instskip(NEXT) | instid1(VALU_DEP_1)
	v_clz_i32_u32_e32 v1, v166
	v_min_u32_e32 v1, 32, v1
	s_delay_alu instid0(VALU_DEP_1) | instskip(SKIP_1) | instid1(VALU_DEP_2)
	v_subrev_nc_u32_e32 v2, 28, v1
	v_sub_nc_u32_e32 v1, 29, v1
	v_lshlrev_b64 v[2:3], v2, v[166:167]
	s_delay_alu instid0(VALU_DEP_1)
	v_and_b32_e32 v166, 7, v2
; %bb.240:                              ;   in Loop: Header=BB275_11 Depth=1
	s_or_b32 exec_lo, exec_lo, s21
	v_lshlrev_b32_e32 v2, 24, v0
	s_delay_alu instid0(VALU_DEP_2) | instskip(SKIP_1) | instid1(VALU_DEP_3)
	v_lshlrev_b32_e32 v3, 20, v166
	v_lshl_add_u32 v1, v1, 23, 0x3c000000
	v_and_b32_e32 v2, 0x80000000, v2
	s_delay_alu instid0(VALU_DEP_1) | instskip(NEXT) | instid1(VALU_DEP_1)
	v_or3_b32 v166, v3, v2, v1
	v_dual_mov_b32 v142, v166 :: v_dual_mov_b32 v143, v167
.LBB275_241:                            ;   in Loop: Header=BB275_11 Depth=1
	s_or_b32 exec_lo, exec_lo, s20
.LBB275_242:                            ;   in Loop: Header=BB275_11 Depth=1
	s_delay_alu instid0(SALU_CYCLE_1)
	s_or_b32 exec_lo, exec_lo, s19
.LBB275_243:                            ;   in Loop: Header=BB275_11 Depth=1
	s_delay_alu instid0(SALU_CYCLE_1) | instskip(SKIP_2) | instid1(VALU_DEP_1)
	s_or_b32 exec_lo, exec_lo, s8
	v_lshrrev_b16 v1, 8, v0
	s_mov_b32 s19, exec_lo
	v_cmpx_ne_u16_e32 0, v1
	s_cbranch_execz .LBB275_251
; %bb.244:                              ;   in Loop: Header=BB275_11 Depth=1
	v_dual_mov_b32 v153, s3 :: v_dual_mov_b32 v152, s2
	s_mov_b32 s20, exec_lo
	v_cmpx_ne_u16_e32 0x80, v1
	s_cbranch_execz .LBB275_250
; %bb.245:                              ;   in Loop: Header=BB275_11 Depth=1
	s_mov_b32 s8, s2
	v_and_b32_e32 v1, 0xffff, v1
	v_dual_mov_b32 v153, s9 :: v_dual_mov_b32 v152, s8
	s_mov_b32 s8, exec_lo
	s_delay_alu instid0(VALU_DEP_2) | instskip(NEXT) | instid1(VALU_DEP_1)
	v_and_b32_e32 v2, 0x7f, v1
	v_cmpx_ne_u32_e32 0x7f, v2
	s_cbranch_execz .LBB275_249
; %bb.246:                              ;   in Loop: Header=BB275_11 Depth=1
	v_and_b32_e32 v166, 7, v1
	v_lshrrev_b32_e32 v1, 3, v2
	s_mov_b32 s21, exec_lo
	v_cmpx_gt_u32_e32 8, v2
; %bb.247:                              ;   in Loop: Header=BB275_11 Depth=1
	s_delay_alu instid0(VALU_DEP_3) | instskip(NEXT) | instid1(VALU_DEP_1)
	v_clz_i32_u32_e32 v1, v166
	v_min_u32_e32 v1, 32, v1
	s_delay_alu instid0(VALU_DEP_1) | instskip(SKIP_1) | instid1(VALU_DEP_2)
	v_subrev_nc_u32_e32 v2, 28, v1
	v_sub_nc_u32_e32 v1, 29, v1
	v_lshlrev_b64 v[2:3], v2, v[166:167]
	s_delay_alu instid0(VALU_DEP_1)
	v_and_b32_e32 v166, 7, v2
; %bb.248:                              ;   in Loop: Header=BB275_11 Depth=1
	s_or_b32 exec_lo, exec_lo, s21
	v_lshlrev_b32_e32 v2, 16, v0
	s_delay_alu instid0(VALU_DEP_2) | instskip(SKIP_1) | instid1(VALU_DEP_3)
	v_dual_mov_b32 v152, v167 :: v_dual_lshlrev_b32 v3, 20, v166
	v_lshl_add_u32 v1, v1, 23, 0x3c000000
	v_and_b32_e32 v2, 0x80000000, v2
	s_delay_alu instid0(VALU_DEP_1)
	v_or3_b32 v153, v3, v2, v1
.LBB275_249:                            ;   in Loop: Header=BB275_11 Depth=1
	s_or_b32 exec_lo, exec_lo, s8
.LBB275_250:                            ;   in Loop: Header=BB275_11 Depth=1
	s_delay_alu instid0(SALU_CYCLE_1)
	s_or_b32 exec_lo, exec_lo, s20
.LBB275_251:                            ;   in Loop: Header=BB275_11 Depth=1
	s_delay_alu instid0(SALU_CYCLE_1) | instskip(SKIP_4) | instid1(VALU_DEP_2)
	s_or_b32 exec_lo, exec_lo, s19
	v_mov_b32_e32 v156, 0
	v_lshrrev_b32_e32 v1, 16, v0
	v_mov_b32_e32 v157, 0
	s_mov_b32 s8, exec_lo
	v_and_b32_e32 v2, 0xff, v1
	s_delay_alu instid0(VALU_DEP_2) | instskip(NEXT) | instid1(VALU_DEP_2)
	v_dual_mov_b32 v154, v156 :: v_dual_mov_b32 v155, v157
	v_cmpx_ne_u16_e32 0, v2
	s_cbranch_execz .LBB275_259
; %bb.252:                              ;   in Loop: Header=BB275_11 Depth=1
	v_bfrev_b32_e32 v154, 1
	v_mov_b32_e32 v155, 0
	s_mov_b32 s19, exec_lo
	v_cmpx_ne_u16_e32 0x80, v2
	s_cbranch_execz .LBB275_258
; %bb.253:                              ;   in Loop: Header=BB275_11 Depth=1
	v_mov_b32_e32 v154, 0x7f800001
	v_bfe_u32 v3, v0, 16, 7
	v_mov_b32_e32 v155, 0
	s_mov_b32 s20, exec_lo
	s_delay_alu instid0(VALU_DEP_2)
	v_cmpx_ne_u32_e32 0x7f, v3
	s_cbranch_execz .LBB275_257
; %bb.254:                              ;   in Loop: Header=BB275_11 Depth=1
	v_and_b32_e32 v166, 7, v1
	v_lshrrev_b32_e32 v2, 3, v3
	s_mov_b32 s21, exec_lo
	v_cmpx_gt_u32_e32 8, v3
; %bb.255:                              ;   in Loop: Header=BB275_11 Depth=1
	s_delay_alu instid0(VALU_DEP_3) | instskip(NEXT) | instid1(VALU_DEP_1)
	v_clz_i32_u32_e32 v2, v166
	v_min_u32_e32 v2, 32, v2
	s_delay_alu instid0(VALU_DEP_1) | instskip(SKIP_1) | instid1(VALU_DEP_2)
	v_subrev_nc_u32_e32 v3, 28, v2
	v_sub_nc_u32_e32 v2, 29, v2
	v_lshlrev_b64 v[3:4], v3, v[166:167]
	s_delay_alu instid0(VALU_DEP_1)
	v_and_b32_e32 v166, 7, v3
; %bb.256:                              ;   in Loop: Header=BB275_11 Depth=1
	s_or_b32 exec_lo, exec_lo, s21
	v_lshlrev_b32_e32 v1, 24, v1
	s_delay_alu instid0(VALU_DEP_2) | instskip(SKIP_1) | instid1(VALU_DEP_3)
	v_lshlrev_b32_e32 v3, 20, v166
	v_lshl_add_u32 v2, v2, 23, 0x3c000000
	v_and_b32_e32 v1, 0x80000000, v1
	s_delay_alu instid0(VALU_DEP_1) | instskip(NEXT) | instid1(VALU_DEP_1)
	v_or3_b32 v166, v3, v1, v2
	v_dual_mov_b32 v154, v166 :: v_dual_mov_b32 v155, v167
.LBB275_257:                            ;   in Loop: Header=BB275_11 Depth=1
	s_or_b32 exec_lo, exec_lo, s20
.LBB275_258:                            ;   in Loop: Header=BB275_11 Depth=1
	s_delay_alu instid0(SALU_CYCLE_1)
	s_or_b32 exec_lo, exec_lo, s19
.LBB275_259:                            ;   in Loop: Header=BB275_11 Depth=1
	s_delay_alu instid0(SALU_CYCLE_1) | instskip(NEXT) | instid1(SALU_CYCLE_1)
	s_or_b32 exec_lo, exec_lo, s8
	s_mov_b32 s19, exec_lo
	v_cmpx_lt_u32_e32 0xffffff, v0
	s_cbranch_execz .LBB275_267
; %bb.260:                              ;   in Loop: Header=BB275_11 Depth=1
	v_lshrrev_b32_e32 v1, 24, v0
	v_dual_mov_b32 v157, s3 :: v_dual_mov_b32 v156, s2
	s_mov_b32 s20, exec_lo
	s_delay_alu instid0(VALU_DEP_2)
	v_cmpx_ne_u32_e32 0x80, v1
	s_cbranch_execz .LBB275_266
; %bb.261:                              ;   in Loop: Header=BB275_11 Depth=1
	s_mov_b32 s8, s2
	v_bfe_u32 v2, v0, 24, 7
	v_dual_mov_b32 v157, s9 :: v_dual_mov_b32 v156, s8
	s_mov_b32 s8, exec_lo
	s_delay_alu instid0(VALU_DEP_2)
	v_cmpx_ne_u32_e32 0x7f, v2
	s_cbranch_execz .LBB275_265
; %bb.262:                              ;   in Loop: Header=BB275_11 Depth=1
	v_and_b32_e32 v166, 7, v1
	v_lshrrev_b32_e32 v0, 3, v2
	s_mov_b32 s21, exec_lo
	v_cmpx_gt_u32_e32 8, v2
; %bb.263:                              ;   in Loop: Header=BB275_11 Depth=1
	s_delay_alu instid0(VALU_DEP_3) | instskip(NEXT) | instid1(VALU_DEP_1)
	v_clz_i32_u32_e32 v0, v166
	v_min_u32_e32 v0, 32, v0
	s_delay_alu instid0(VALU_DEP_1) | instskip(SKIP_1) | instid1(VALU_DEP_2)
	v_subrev_nc_u32_e32 v2, 28, v0
	v_sub_nc_u32_e32 v0, 29, v0
	v_lshlrev_b64 v[2:3], v2, v[166:167]
	s_delay_alu instid0(VALU_DEP_1)
	v_and_b32_e32 v166, 7, v2
; %bb.264:                              ;   in Loop: Header=BB275_11 Depth=1
	s_or_b32 exec_lo, exec_lo, s21
	v_dual_mov_b32 v156, v167 :: v_dual_lshlrev_b32 v1, 24, v1
	s_delay_alu instid0(VALU_DEP_2) | instskip(SKIP_1) | instid1(VALU_DEP_3)
	v_lshlrev_b32_e32 v2, 20, v166
	v_lshl_add_u32 v0, v0, 23, 0x3c000000
	v_and_b32_e32 v1, 0x80000000, v1
	s_delay_alu instid0(VALU_DEP_1)
	v_or3_b32 v157, v2, v1, v0
.LBB275_265:                            ;   in Loop: Header=BB275_11 Depth=1
	s_or_b32 exec_lo, exec_lo, s8
.LBB275_266:                            ;   in Loop: Header=BB275_11 Depth=1
	s_delay_alu instid0(SALU_CYCLE_1)
	s_or_b32 exec_lo, exec_lo, s20
.LBB275_267:                            ;   in Loop: Header=BB275_11 Depth=1
	s_delay_alu instid0(SALU_CYCLE_1) | instskip(SKIP_4) | instid1(VALU_DEP_1)
	s_or_b32 exec_lo, exec_lo, s19
	flat_load_b32 v0, v[60:61] offset:1024
	v_mov_b32_e32 v158, 0
	v_mov_b32_e32 v159, 0
	s_mov_b32 s8, exec_lo
	v_dual_mov_b32 v169, v159 :: v_dual_mov_b32 v168, v158
	s_waitcnt vmcnt(0) lgkmcnt(0)
	v_and_b32_e32 v1, 0xff, v0
	s_delay_alu instid0(VALU_DEP_1)
	v_cmpx_ne_u16_e32 0, v1
	s_cbranch_execz .LBB275_275
; %bb.268:                              ;   in Loop: Header=BB275_11 Depth=1
	v_bfrev_b32_e32 v168, 1
	v_mov_b32_e32 v169, 0
	s_mov_b32 s19, exec_lo
	v_cmpx_ne_u16_e32 0x80, v1
	s_cbranch_execz .LBB275_274
; %bb.269:                              ;   in Loop: Header=BB275_11 Depth=1
	v_mov_b32_e32 v168, 0x7f800001
	v_dual_mov_b32 v169, 0 :: v_dual_and_b32 v2, 0x7f, v0
	s_mov_b32 s20, exec_lo
	s_delay_alu instid0(VALU_DEP_1)
	v_cmpx_ne_u32_e32 0x7f, v2
	s_cbranch_execz .LBB275_273
; %bb.270:                              ;   in Loop: Header=BB275_11 Depth=1
	v_and_b32_e32 v166, 7, v0
	v_lshrrev_b32_e32 v1, 3, v2
	s_mov_b32 s21, exec_lo
	v_cmpx_gt_u32_e32 8, v2
; %bb.271:                              ;   in Loop: Header=BB275_11 Depth=1
	s_delay_alu instid0(VALU_DEP_3) | instskip(NEXT) | instid1(VALU_DEP_1)
	v_clz_i32_u32_e32 v1, v166
	v_min_u32_e32 v1, 32, v1
	s_delay_alu instid0(VALU_DEP_1) | instskip(SKIP_1) | instid1(VALU_DEP_2)
	v_subrev_nc_u32_e32 v2, 28, v1
	v_sub_nc_u32_e32 v1, 29, v1
	v_lshlrev_b64 v[2:3], v2, v[166:167]
	s_delay_alu instid0(VALU_DEP_1)
	v_and_b32_e32 v166, 7, v2
; %bb.272:                              ;   in Loop: Header=BB275_11 Depth=1
	s_or_b32 exec_lo, exec_lo, s21
	v_lshlrev_b32_e32 v2, 24, v0
	s_delay_alu instid0(VALU_DEP_2) | instskip(SKIP_1) | instid1(VALU_DEP_3)
	v_lshlrev_b32_e32 v3, 20, v166
	v_lshl_add_u32 v1, v1, 23, 0x3c000000
	v_and_b32_e32 v2, 0x80000000, v2
	s_delay_alu instid0(VALU_DEP_1) | instskip(NEXT) | instid1(VALU_DEP_1)
	v_or3_b32 v166, v3, v2, v1
	v_dual_mov_b32 v169, v167 :: v_dual_mov_b32 v168, v166
.LBB275_273:                            ;   in Loop: Header=BB275_11 Depth=1
	s_or_b32 exec_lo, exec_lo, s20
.LBB275_274:                            ;   in Loop: Header=BB275_11 Depth=1
	s_delay_alu instid0(SALU_CYCLE_1)
	s_or_b32 exec_lo, exec_lo, s19
.LBB275_275:                            ;   in Loop: Header=BB275_11 Depth=1
	s_delay_alu instid0(SALU_CYCLE_1) | instskip(SKIP_2) | instid1(VALU_DEP_1)
	s_or_b32 exec_lo, exec_lo, s8
	v_lshrrev_b16 v1, 8, v0
	s_mov_b32 s19, exec_lo
	v_cmpx_ne_u16_e32 0, v1
	s_cbranch_execz .LBB275_283
; %bb.276:                              ;   in Loop: Header=BB275_11 Depth=1
	v_dual_mov_b32 v159, s3 :: v_dual_mov_b32 v158, s2
	s_mov_b32 s20, exec_lo
	v_cmpx_ne_u16_e32 0x80, v1
	s_cbranch_execz .LBB275_282
; %bb.277:                              ;   in Loop: Header=BB275_11 Depth=1
	s_mov_b32 s8, s2
	v_and_b32_e32 v1, 0xffff, v1
	v_dual_mov_b32 v159, s9 :: v_dual_mov_b32 v158, s8
	s_mov_b32 s8, exec_lo
	s_delay_alu instid0(VALU_DEP_2) | instskip(NEXT) | instid1(VALU_DEP_1)
	v_and_b32_e32 v2, 0x7f, v1
	v_cmpx_ne_u32_e32 0x7f, v2
	s_cbranch_execz .LBB275_281
; %bb.278:                              ;   in Loop: Header=BB275_11 Depth=1
	v_and_b32_e32 v166, 7, v1
	v_lshrrev_b32_e32 v1, 3, v2
	s_mov_b32 s21, exec_lo
	v_cmpx_gt_u32_e32 8, v2
; %bb.279:                              ;   in Loop: Header=BB275_11 Depth=1
	s_delay_alu instid0(VALU_DEP_3) | instskip(NEXT) | instid1(VALU_DEP_1)
	v_clz_i32_u32_e32 v1, v166
	v_min_u32_e32 v1, 32, v1
	s_delay_alu instid0(VALU_DEP_1) | instskip(SKIP_1) | instid1(VALU_DEP_2)
	v_subrev_nc_u32_e32 v2, 28, v1
	v_sub_nc_u32_e32 v1, 29, v1
	v_lshlrev_b64 v[2:3], v2, v[166:167]
	s_delay_alu instid0(VALU_DEP_1)
	v_and_b32_e32 v166, 7, v2
; %bb.280:                              ;   in Loop: Header=BB275_11 Depth=1
	s_or_b32 exec_lo, exec_lo, s21
	v_lshlrev_b32_e32 v2, 16, v0
	s_delay_alu instid0(VALU_DEP_2) | instskip(SKIP_1) | instid1(VALU_DEP_3)
	v_dual_mov_b32 v158, v167 :: v_dual_lshlrev_b32 v3, 20, v166
	v_lshl_add_u32 v1, v1, 23, 0x3c000000
	v_and_b32_e32 v2, 0x80000000, v2
	s_delay_alu instid0(VALU_DEP_1)
	v_or3_b32 v159, v3, v2, v1
.LBB275_281:                            ;   in Loop: Header=BB275_11 Depth=1
	s_or_b32 exec_lo, exec_lo, s8
.LBB275_282:                            ;   in Loop: Header=BB275_11 Depth=1
	s_delay_alu instid0(SALU_CYCLE_1)
	s_or_b32 exec_lo, exec_lo, s20
.LBB275_283:                            ;   in Loop: Header=BB275_11 Depth=1
	s_delay_alu instid0(SALU_CYCLE_1) | instskip(SKIP_4) | instid1(VALU_DEP_1)
	s_or_b32 exec_lo, exec_lo, s19
	v_mov_b32_e32 v170, 0
	v_lshrrev_b32_e32 v1, 16, v0
	v_mov_b32_e32 v171, 0
	s_mov_b32 s8, exec_lo
	v_dual_mov_b32 v173, v171 :: v_dual_and_b32 v2, 0xff, v1
	v_mov_b32_e32 v172, v170
	s_delay_alu instid0(VALU_DEP_2)
	v_cmpx_ne_u16_e32 0, v2
	s_cbranch_execz .LBB275_291
; %bb.284:                              ;   in Loop: Header=BB275_11 Depth=1
	v_bfrev_b32_e32 v172, 1
	v_mov_b32_e32 v173, 0
	s_mov_b32 s19, exec_lo
	v_cmpx_ne_u16_e32 0x80, v2
	s_cbranch_execz .LBB275_290
; %bb.285:                              ;   in Loop: Header=BB275_11 Depth=1
	v_mov_b32_e32 v172, 0x7f800001
	v_bfe_u32 v3, v0, 16, 7
	v_mov_b32_e32 v173, 0
	s_mov_b32 s20, exec_lo
	s_delay_alu instid0(VALU_DEP_2)
	v_cmpx_ne_u32_e32 0x7f, v3
	s_cbranch_execz .LBB275_289
; %bb.286:                              ;   in Loop: Header=BB275_11 Depth=1
	v_and_b32_e32 v166, 7, v1
	v_lshrrev_b32_e32 v2, 3, v3
	s_mov_b32 s21, exec_lo
	v_cmpx_gt_u32_e32 8, v3
; %bb.287:                              ;   in Loop: Header=BB275_11 Depth=1
	s_delay_alu instid0(VALU_DEP_3) | instskip(NEXT) | instid1(VALU_DEP_1)
	v_clz_i32_u32_e32 v2, v166
	v_min_u32_e32 v2, 32, v2
	s_delay_alu instid0(VALU_DEP_1) | instskip(SKIP_1) | instid1(VALU_DEP_2)
	v_subrev_nc_u32_e32 v3, 28, v2
	v_sub_nc_u32_e32 v2, 29, v2
	v_lshlrev_b64 v[3:4], v3, v[166:167]
	s_delay_alu instid0(VALU_DEP_1)
	v_and_b32_e32 v166, 7, v3
; %bb.288:                              ;   in Loop: Header=BB275_11 Depth=1
	s_or_b32 exec_lo, exec_lo, s21
	v_lshlrev_b32_e32 v1, 24, v1
	s_delay_alu instid0(VALU_DEP_2) | instskip(SKIP_1) | instid1(VALU_DEP_3)
	v_lshlrev_b32_e32 v3, 20, v166
	v_lshl_add_u32 v2, v2, 23, 0x3c000000
	v_and_b32_e32 v1, 0x80000000, v1
	s_delay_alu instid0(VALU_DEP_1) | instskip(NEXT) | instid1(VALU_DEP_1)
	v_or3_b32 v166, v3, v1, v2
	v_dual_mov_b32 v173, v167 :: v_dual_mov_b32 v172, v166
.LBB275_289:                            ;   in Loop: Header=BB275_11 Depth=1
	s_or_b32 exec_lo, exec_lo, s20
.LBB275_290:                            ;   in Loop: Header=BB275_11 Depth=1
	s_delay_alu instid0(SALU_CYCLE_1)
	s_or_b32 exec_lo, exec_lo, s19
.LBB275_291:                            ;   in Loop: Header=BB275_11 Depth=1
	s_delay_alu instid0(SALU_CYCLE_1) | instskip(NEXT) | instid1(SALU_CYCLE_1)
	s_or_b32 exec_lo, exec_lo, s8
	s_mov_b32 s19, exec_lo
	v_cmpx_lt_u32_e32 0xffffff, v0
	s_cbranch_execz .LBB275_299
; %bb.292:                              ;   in Loop: Header=BB275_11 Depth=1
	v_lshrrev_b32_e32 v1, 24, v0
	v_dual_mov_b32 v171, s3 :: v_dual_mov_b32 v170, s2
	s_mov_b32 s20, exec_lo
	s_delay_alu instid0(VALU_DEP_2)
	v_cmpx_ne_u32_e32 0x80, v1
	s_cbranch_execz .LBB275_298
; %bb.293:                              ;   in Loop: Header=BB275_11 Depth=1
	s_mov_b32 s8, s2
	v_bfe_u32 v2, v0, 24, 7
	v_dual_mov_b32 v171, s9 :: v_dual_mov_b32 v170, s8
	s_mov_b32 s8, exec_lo
	s_delay_alu instid0(VALU_DEP_2)
	v_cmpx_ne_u32_e32 0x7f, v2
	s_cbranch_execz .LBB275_297
; %bb.294:                              ;   in Loop: Header=BB275_11 Depth=1
	v_and_b32_e32 v166, 7, v1
	v_lshrrev_b32_e32 v0, 3, v2
	s_mov_b32 s21, exec_lo
	v_cmpx_gt_u32_e32 8, v2
; %bb.295:                              ;   in Loop: Header=BB275_11 Depth=1
	s_delay_alu instid0(VALU_DEP_3) | instskip(NEXT) | instid1(VALU_DEP_1)
	v_clz_i32_u32_e32 v0, v166
	v_min_u32_e32 v0, 32, v0
	s_delay_alu instid0(VALU_DEP_1) | instskip(SKIP_1) | instid1(VALU_DEP_2)
	v_subrev_nc_u32_e32 v2, 28, v0
	v_sub_nc_u32_e32 v0, 29, v0
	v_lshlrev_b64 v[2:3], v2, v[166:167]
	s_delay_alu instid0(VALU_DEP_1)
	v_and_b32_e32 v166, 7, v2
; %bb.296:                              ;   in Loop: Header=BB275_11 Depth=1
	s_or_b32 exec_lo, exec_lo, s21
	v_dual_mov_b32 v170, v167 :: v_dual_lshlrev_b32 v1, 24, v1
	s_delay_alu instid0(VALU_DEP_2) | instskip(SKIP_1) | instid1(VALU_DEP_3)
	v_lshlrev_b32_e32 v2, 20, v166
	v_lshl_add_u32 v0, v0, 23, 0x3c000000
	v_and_b32_e32 v1, 0x80000000, v1
	s_delay_alu instid0(VALU_DEP_1)
	v_or3_b32 v171, v2, v1, v0
.LBB275_297:                            ;   in Loop: Header=BB275_11 Depth=1
	s_or_b32 exec_lo, exec_lo, s8
.LBB275_298:                            ;   in Loop: Header=BB275_11 Depth=1
	s_delay_alu instid0(SALU_CYCLE_1)
	s_or_b32 exec_lo, exec_lo, s20
.LBB275_299:                            ;   in Loop: Header=BB275_11 Depth=1
	s_delay_alu instid0(SALU_CYCLE_1) | instskip(SKIP_4) | instid1(VALU_DEP_1)
	s_or_b32 exec_lo, exec_lo, s19
	flat_load_b32 v0, v[60:61] offset:1028
	v_mov_b32_e32 v174, 0
	v_mov_b32_e32 v175, 0
	s_mov_b32 s8, exec_lo
	v_dual_mov_b32 v185, v175 :: v_dual_mov_b32 v184, v174
	s_waitcnt vmcnt(0) lgkmcnt(0)
	v_and_b32_e32 v1, 0xff, v0
	s_delay_alu instid0(VALU_DEP_1)
	v_cmpx_ne_u16_e32 0, v1
	s_cbranch_execz .LBB275_307
; %bb.300:                              ;   in Loop: Header=BB275_11 Depth=1
	v_bfrev_b32_e32 v184, 1
	v_mov_b32_e32 v185, 0
	s_mov_b32 s19, exec_lo
	v_cmpx_ne_u16_e32 0x80, v1
	s_cbranch_execz .LBB275_306
; %bb.301:                              ;   in Loop: Header=BB275_11 Depth=1
	v_mov_b32_e32 v184, 0x7f800001
	v_dual_mov_b32 v185, 0 :: v_dual_and_b32 v2, 0x7f, v0
	s_mov_b32 s20, exec_lo
	s_delay_alu instid0(VALU_DEP_1)
	v_cmpx_ne_u32_e32 0x7f, v2
	s_cbranch_execz .LBB275_305
; %bb.302:                              ;   in Loop: Header=BB275_11 Depth=1
	v_and_b32_e32 v166, 7, v0
	v_lshrrev_b32_e32 v1, 3, v2
	s_mov_b32 s21, exec_lo
	v_cmpx_gt_u32_e32 8, v2
; %bb.303:                              ;   in Loop: Header=BB275_11 Depth=1
	s_delay_alu instid0(VALU_DEP_3) | instskip(NEXT) | instid1(VALU_DEP_1)
	v_clz_i32_u32_e32 v1, v166
	v_min_u32_e32 v1, 32, v1
	s_delay_alu instid0(VALU_DEP_1) | instskip(SKIP_1) | instid1(VALU_DEP_2)
	v_subrev_nc_u32_e32 v2, 28, v1
	v_sub_nc_u32_e32 v1, 29, v1
	v_lshlrev_b64 v[2:3], v2, v[166:167]
	s_delay_alu instid0(VALU_DEP_1)
	v_and_b32_e32 v166, 7, v2
; %bb.304:                              ;   in Loop: Header=BB275_11 Depth=1
	s_or_b32 exec_lo, exec_lo, s21
	v_lshlrev_b32_e32 v2, 24, v0
	s_delay_alu instid0(VALU_DEP_2) | instskip(SKIP_1) | instid1(VALU_DEP_3)
	v_lshlrev_b32_e32 v3, 20, v166
	v_lshl_add_u32 v1, v1, 23, 0x3c000000
	v_and_b32_e32 v2, 0x80000000, v2
	s_delay_alu instid0(VALU_DEP_1) | instskip(NEXT) | instid1(VALU_DEP_1)
	v_or3_b32 v166, v3, v2, v1
	v_dual_mov_b32 v185, v167 :: v_dual_mov_b32 v184, v166
.LBB275_305:                            ;   in Loop: Header=BB275_11 Depth=1
	s_or_b32 exec_lo, exec_lo, s20
.LBB275_306:                            ;   in Loop: Header=BB275_11 Depth=1
	s_delay_alu instid0(SALU_CYCLE_1)
	s_or_b32 exec_lo, exec_lo, s19
.LBB275_307:                            ;   in Loop: Header=BB275_11 Depth=1
	s_delay_alu instid0(SALU_CYCLE_1) | instskip(SKIP_2) | instid1(VALU_DEP_1)
	s_or_b32 exec_lo, exec_lo, s8
	v_lshrrev_b16 v1, 8, v0
	s_mov_b32 s19, exec_lo
	v_cmpx_ne_u16_e32 0, v1
	s_cbranch_execz .LBB275_315
; %bb.308:                              ;   in Loop: Header=BB275_11 Depth=1
	v_dual_mov_b32 v175, s3 :: v_dual_mov_b32 v174, s2
	s_mov_b32 s20, exec_lo
	v_cmpx_ne_u16_e32 0x80, v1
	s_cbranch_execz .LBB275_314
; %bb.309:                              ;   in Loop: Header=BB275_11 Depth=1
	s_mov_b32 s8, s2
	v_and_b32_e32 v1, 0xffff, v1
	v_dual_mov_b32 v175, s9 :: v_dual_mov_b32 v174, s8
	s_mov_b32 s8, exec_lo
	s_delay_alu instid0(VALU_DEP_2) | instskip(NEXT) | instid1(VALU_DEP_1)
	v_and_b32_e32 v2, 0x7f, v1
	v_cmpx_ne_u32_e32 0x7f, v2
	s_cbranch_execz .LBB275_313
; %bb.310:                              ;   in Loop: Header=BB275_11 Depth=1
	v_and_b32_e32 v166, 7, v1
	v_lshrrev_b32_e32 v1, 3, v2
	s_mov_b32 s21, exec_lo
	v_cmpx_gt_u32_e32 8, v2
; %bb.311:                              ;   in Loop: Header=BB275_11 Depth=1
	s_delay_alu instid0(VALU_DEP_3) | instskip(NEXT) | instid1(VALU_DEP_1)
	v_clz_i32_u32_e32 v1, v166
	v_min_u32_e32 v1, 32, v1
	s_delay_alu instid0(VALU_DEP_1) | instskip(SKIP_1) | instid1(VALU_DEP_2)
	v_subrev_nc_u32_e32 v2, 28, v1
	v_sub_nc_u32_e32 v1, 29, v1
	v_lshlrev_b64 v[2:3], v2, v[166:167]
	s_delay_alu instid0(VALU_DEP_1)
	v_and_b32_e32 v166, 7, v2
; %bb.312:                              ;   in Loop: Header=BB275_11 Depth=1
	s_or_b32 exec_lo, exec_lo, s21
	v_lshlrev_b32_e32 v2, 16, v0
	s_delay_alu instid0(VALU_DEP_2) | instskip(SKIP_1) | instid1(VALU_DEP_3)
	v_dual_mov_b32 v174, v167 :: v_dual_lshlrev_b32 v3, 20, v166
	v_lshl_add_u32 v1, v1, 23, 0x3c000000
	v_and_b32_e32 v2, 0x80000000, v2
	s_delay_alu instid0(VALU_DEP_1)
	v_or3_b32 v175, v3, v2, v1
.LBB275_313:                            ;   in Loop: Header=BB275_11 Depth=1
	s_or_b32 exec_lo, exec_lo, s8
.LBB275_314:                            ;   in Loop: Header=BB275_11 Depth=1
	s_delay_alu instid0(SALU_CYCLE_1)
	s_or_b32 exec_lo, exec_lo, s20
.LBB275_315:                            ;   in Loop: Header=BB275_11 Depth=1
	s_delay_alu instid0(SALU_CYCLE_1) | instskip(SKIP_4) | instid1(VALU_DEP_1)
	s_or_b32 exec_lo, exec_lo, s19
	v_mov_b32_e32 v186, 0
	v_lshrrev_b32_e32 v1, 16, v0
	v_mov_b32_e32 v187, 0
	s_mov_b32 s8, exec_lo
	v_dual_mov_b32 v189, v187 :: v_dual_and_b32 v2, 0xff, v1
	v_mov_b32_e32 v188, v186
	s_delay_alu instid0(VALU_DEP_2)
	v_cmpx_ne_u16_e32 0, v2
	s_cbranch_execz .LBB275_323
; %bb.316:                              ;   in Loop: Header=BB275_11 Depth=1
	v_bfrev_b32_e32 v188, 1
	v_mov_b32_e32 v189, 0
	s_mov_b32 s19, exec_lo
	v_cmpx_ne_u16_e32 0x80, v2
	s_cbranch_execz .LBB275_322
; %bb.317:                              ;   in Loop: Header=BB275_11 Depth=1
	v_mov_b32_e32 v188, 0x7f800001
	v_bfe_u32 v3, v0, 16, 7
	v_mov_b32_e32 v189, 0
	s_mov_b32 s20, exec_lo
	s_delay_alu instid0(VALU_DEP_2)
	v_cmpx_ne_u32_e32 0x7f, v3
	s_cbranch_execz .LBB275_321
; %bb.318:                              ;   in Loop: Header=BB275_11 Depth=1
	v_and_b32_e32 v166, 7, v1
	v_lshrrev_b32_e32 v2, 3, v3
	s_mov_b32 s21, exec_lo
	v_cmpx_gt_u32_e32 8, v3
; %bb.319:                              ;   in Loop: Header=BB275_11 Depth=1
	s_delay_alu instid0(VALU_DEP_3) | instskip(NEXT) | instid1(VALU_DEP_1)
	v_clz_i32_u32_e32 v2, v166
	v_min_u32_e32 v2, 32, v2
	s_delay_alu instid0(VALU_DEP_1) | instskip(SKIP_1) | instid1(VALU_DEP_2)
	v_subrev_nc_u32_e32 v3, 28, v2
	v_sub_nc_u32_e32 v2, 29, v2
	v_lshlrev_b64 v[3:4], v3, v[166:167]
	s_delay_alu instid0(VALU_DEP_1)
	v_and_b32_e32 v166, 7, v3
; %bb.320:                              ;   in Loop: Header=BB275_11 Depth=1
	s_or_b32 exec_lo, exec_lo, s21
	v_lshlrev_b32_e32 v1, 24, v1
	s_delay_alu instid0(VALU_DEP_2) | instskip(SKIP_1) | instid1(VALU_DEP_3)
	v_lshlrev_b32_e32 v3, 20, v166
	v_lshl_add_u32 v2, v2, 23, 0x3c000000
	v_and_b32_e32 v1, 0x80000000, v1
	s_delay_alu instid0(VALU_DEP_1) | instskip(NEXT) | instid1(VALU_DEP_1)
	v_or3_b32 v166, v3, v1, v2
	v_dual_mov_b32 v189, v167 :: v_dual_mov_b32 v188, v166
.LBB275_321:                            ;   in Loop: Header=BB275_11 Depth=1
	s_or_b32 exec_lo, exec_lo, s20
.LBB275_322:                            ;   in Loop: Header=BB275_11 Depth=1
	s_delay_alu instid0(SALU_CYCLE_1)
	s_or_b32 exec_lo, exec_lo, s19
.LBB275_323:                            ;   in Loop: Header=BB275_11 Depth=1
	s_delay_alu instid0(SALU_CYCLE_1) | instskip(NEXT) | instid1(SALU_CYCLE_1)
	s_or_b32 exec_lo, exec_lo, s8
	s_mov_b32 s19, exec_lo
	v_cmpx_lt_u32_e32 0xffffff, v0
	s_cbranch_execz .LBB275_331
; %bb.324:                              ;   in Loop: Header=BB275_11 Depth=1
	v_lshrrev_b32_e32 v1, 24, v0
	v_dual_mov_b32 v187, s3 :: v_dual_mov_b32 v186, s2
	s_mov_b32 s20, exec_lo
	s_delay_alu instid0(VALU_DEP_2)
	v_cmpx_ne_u32_e32 0x80, v1
	s_cbranch_execz .LBB275_330
; %bb.325:                              ;   in Loop: Header=BB275_11 Depth=1
	s_mov_b32 s8, s2
	v_bfe_u32 v2, v0, 24, 7
	v_dual_mov_b32 v187, s9 :: v_dual_mov_b32 v186, s8
	s_mov_b32 s8, exec_lo
	s_delay_alu instid0(VALU_DEP_2)
	v_cmpx_ne_u32_e32 0x7f, v2
	s_cbranch_execz .LBB275_329
; %bb.326:                              ;   in Loop: Header=BB275_11 Depth=1
	v_and_b32_e32 v166, 7, v1
	v_lshrrev_b32_e32 v0, 3, v2
	s_mov_b32 s21, exec_lo
	v_cmpx_gt_u32_e32 8, v2
; %bb.327:                              ;   in Loop: Header=BB275_11 Depth=1
	s_delay_alu instid0(VALU_DEP_3) | instskip(NEXT) | instid1(VALU_DEP_1)
	v_clz_i32_u32_e32 v0, v166
	v_min_u32_e32 v0, 32, v0
	s_delay_alu instid0(VALU_DEP_1) | instskip(SKIP_1) | instid1(VALU_DEP_2)
	v_subrev_nc_u32_e32 v2, 28, v0
	v_sub_nc_u32_e32 v0, 29, v0
	v_lshlrev_b64 v[2:3], v2, v[166:167]
	s_delay_alu instid0(VALU_DEP_1)
	v_and_b32_e32 v166, 7, v2
; %bb.328:                              ;   in Loop: Header=BB275_11 Depth=1
	s_or_b32 exec_lo, exec_lo, s21
	v_dual_mov_b32 v186, v167 :: v_dual_lshlrev_b32 v1, 24, v1
	s_delay_alu instid0(VALU_DEP_2) | instskip(SKIP_1) | instid1(VALU_DEP_3)
	v_lshlrev_b32_e32 v2, 20, v166
	v_lshl_add_u32 v0, v0, 23, 0x3c000000
	v_and_b32_e32 v1, 0x80000000, v1
	s_delay_alu instid0(VALU_DEP_1)
	v_or3_b32 v187, v2, v1, v0
.LBB275_329:                            ;   in Loop: Header=BB275_11 Depth=1
	s_or_b32 exec_lo, exec_lo, s8
.LBB275_330:                            ;   in Loop: Header=BB275_11 Depth=1
	s_delay_alu instid0(SALU_CYCLE_1)
	s_or_b32 exec_lo, exec_lo, s20
.LBB275_331:                            ;   in Loop: Header=BB275_11 Depth=1
	s_delay_alu instid0(SALU_CYCLE_1) | instskip(SKIP_3) | instid1(VALU_DEP_2)
	s_or_b32 exec_lo, exec_lo, s19
	flat_load_b32 v0, v[60:61] offset:1032
	v_mov_b32_e32 v190, 0
	v_mov_b32_e32 v191, 0
	;; [unrolled: 1-line block ×3, first 2 shown]
	s_mov_b32 s8, exec_lo
	s_delay_alu instid0(VALU_DEP_2) | instskip(SKIP_2) | instid1(VALU_DEP_1)
	v_mov_b32_e32 v165, v191
	s_waitcnt vmcnt(0) lgkmcnt(0)
	v_and_b32_e32 v1, 0xff, v0
	v_cmpx_ne_u16_e32 0, v1
	s_cbranch_execz .LBB275_339
; %bb.332:                              ;   in Loop: Header=BB275_11 Depth=1
	v_bfrev_b32_e32 v164, 1
	v_mov_b32_e32 v165, 0
	s_mov_b32 s19, exec_lo
	v_cmpx_ne_u16_e32 0x80, v1
	s_cbranch_execz .LBB275_338
; %bb.333:                              ;   in Loop: Header=BB275_11 Depth=1
	v_mov_b32_e32 v164, 0x7f800001
	v_dual_mov_b32 v165, 0 :: v_dual_and_b32 v2, 0x7f, v0
	s_mov_b32 s20, exec_lo
	s_delay_alu instid0(VALU_DEP_1)
	v_cmpx_ne_u32_e32 0x7f, v2
	s_cbranch_execz .LBB275_337
; %bb.334:                              ;   in Loop: Header=BB275_11 Depth=1
	v_and_b32_e32 v166, 7, v0
	v_lshrrev_b32_e32 v1, 3, v2
	s_mov_b32 s21, exec_lo
	v_cmpx_gt_u32_e32 8, v2
; %bb.335:                              ;   in Loop: Header=BB275_11 Depth=1
	s_delay_alu instid0(VALU_DEP_3) | instskip(NEXT) | instid1(VALU_DEP_1)
	v_clz_i32_u32_e32 v1, v166
	v_min_u32_e32 v1, 32, v1
	s_delay_alu instid0(VALU_DEP_1) | instskip(SKIP_1) | instid1(VALU_DEP_2)
	v_subrev_nc_u32_e32 v2, 28, v1
	v_sub_nc_u32_e32 v1, 29, v1
	v_lshlrev_b64 v[2:3], v2, v[166:167]
	s_delay_alu instid0(VALU_DEP_1)
	v_and_b32_e32 v166, 7, v2
; %bb.336:                              ;   in Loop: Header=BB275_11 Depth=1
	s_or_b32 exec_lo, exec_lo, s21
	v_lshlrev_b32_e32 v2, 24, v0
	s_delay_alu instid0(VALU_DEP_2) | instskip(SKIP_1) | instid1(VALU_DEP_3)
	v_lshlrev_b32_e32 v3, 20, v166
	v_lshl_add_u32 v1, v1, 23, 0x3c000000
	v_and_b32_e32 v2, 0x80000000, v2
	s_delay_alu instid0(VALU_DEP_1) | instskip(NEXT) | instid1(VALU_DEP_1)
	v_or3_b32 v166, v3, v2, v1
	v_dual_mov_b32 v164, v166 :: v_dual_mov_b32 v165, v167
.LBB275_337:                            ;   in Loop: Header=BB275_11 Depth=1
	s_or_b32 exec_lo, exec_lo, s20
.LBB275_338:                            ;   in Loop: Header=BB275_11 Depth=1
	s_delay_alu instid0(SALU_CYCLE_1)
	s_or_b32 exec_lo, exec_lo, s19
.LBB275_339:                            ;   in Loop: Header=BB275_11 Depth=1
	s_delay_alu instid0(SALU_CYCLE_1) | instskip(SKIP_2) | instid1(VALU_DEP_1)
	s_or_b32 exec_lo, exec_lo, s8
	v_lshrrev_b16 v1, 8, v0
	s_mov_b32 s19, exec_lo
	v_cmpx_ne_u16_e32 0, v1
	s_cbranch_execz .LBB275_347
; %bb.340:                              ;   in Loop: Header=BB275_11 Depth=1
	v_dual_mov_b32 v191, s3 :: v_dual_mov_b32 v190, s2
	s_mov_b32 s20, exec_lo
	v_cmpx_ne_u16_e32 0x80, v1
	s_cbranch_execz .LBB275_346
; %bb.341:                              ;   in Loop: Header=BB275_11 Depth=1
	s_mov_b32 s8, s2
	v_and_b32_e32 v1, 0xffff, v1
	v_dual_mov_b32 v191, s9 :: v_dual_mov_b32 v190, s8
	s_mov_b32 s8, exec_lo
	s_delay_alu instid0(VALU_DEP_2) | instskip(NEXT) | instid1(VALU_DEP_1)
	v_and_b32_e32 v2, 0x7f, v1
	v_cmpx_ne_u32_e32 0x7f, v2
	s_cbranch_execz .LBB275_345
; %bb.342:                              ;   in Loop: Header=BB275_11 Depth=1
	v_and_b32_e32 v166, 7, v1
	v_lshrrev_b32_e32 v1, 3, v2
	s_mov_b32 s21, exec_lo
	v_cmpx_gt_u32_e32 8, v2
; %bb.343:                              ;   in Loop: Header=BB275_11 Depth=1
	s_delay_alu instid0(VALU_DEP_3) | instskip(NEXT) | instid1(VALU_DEP_1)
	v_clz_i32_u32_e32 v1, v166
	v_min_u32_e32 v1, 32, v1
	s_delay_alu instid0(VALU_DEP_1) | instskip(SKIP_1) | instid1(VALU_DEP_2)
	v_subrev_nc_u32_e32 v2, 28, v1
	v_sub_nc_u32_e32 v1, 29, v1
	v_lshlrev_b64 v[2:3], v2, v[166:167]
	s_delay_alu instid0(VALU_DEP_1)
	v_and_b32_e32 v166, 7, v2
; %bb.344:                              ;   in Loop: Header=BB275_11 Depth=1
	s_or_b32 exec_lo, exec_lo, s21
	v_lshlrev_b32_e32 v2, 16, v0
	s_delay_alu instid0(VALU_DEP_2) | instskip(SKIP_1) | instid1(VALU_DEP_3)
	v_dual_mov_b32 v190, v167 :: v_dual_lshlrev_b32 v3, 20, v166
	v_lshl_add_u32 v1, v1, 23, 0x3c000000
	v_and_b32_e32 v2, 0x80000000, v2
	s_delay_alu instid0(VALU_DEP_1)
	v_or3_b32 v191, v3, v2, v1
.LBB275_345:                            ;   in Loop: Header=BB275_11 Depth=1
	s_or_b32 exec_lo, exec_lo, s8
.LBB275_346:                            ;   in Loop: Header=BB275_11 Depth=1
	s_delay_alu instid0(SALU_CYCLE_1)
	s_or_b32 exec_lo, exec_lo, s20
.LBB275_347:                            ;   in Loop: Header=BB275_11 Depth=1
	s_delay_alu instid0(SALU_CYCLE_1) | instskip(SKIP_3) | instid1(VALU_DEP_2)
	s_or_b32 exec_lo, exec_lo, s19
	v_lshrrev_b32_e32 v1, 16, v0
	v_mov_b32_e32 v11, 0
	v_mov_b32_e32 v12, 0
	;; [unrolled: 1-line block ×3, first 2 shown]
	s_mov_b32 s8, exec_lo
	s_delay_alu instid0(VALU_DEP_2) | instskip(NEXT) | instid1(VALU_DEP_1)
	v_dual_mov_b32 v5, v12 :: v_dual_and_b32 v2, 0xff, v1
	v_cmpx_ne_u16_e32 0, v2
	s_cbranch_execz .LBB275_355
; %bb.348:                              ;   in Loop: Header=BB275_11 Depth=1
	v_bfrev_b32_e32 v4, 1
	v_mov_b32_e32 v5, 0
	s_mov_b32 s19, exec_lo
	v_cmpx_ne_u16_e32 0x80, v2
	s_cbranch_execz .LBB275_354
; %bb.349:                              ;   in Loop: Header=BB275_11 Depth=1
	v_mov_b32_e32 v4, 0x7f800001
	v_bfe_u32 v3, v0, 16, 7
	v_mov_b32_e32 v5, 0
	s_mov_b32 s20, exec_lo
	s_delay_alu instid0(VALU_DEP_2)
	v_cmpx_ne_u32_e32 0x7f, v3
	s_cbranch_execz .LBB275_353
; %bb.350:                              ;   in Loop: Header=BB275_11 Depth=1
	v_and_b32_e32 v166, 7, v1
	v_lshrrev_b32_e32 v2, 3, v3
	s_mov_b32 s21, exec_lo
	v_cmpx_gt_u32_e32 8, v3
; %bb.351:                              ;   in Loop: Header=BB275_11 Depth=1
	s_delay_alu instid0(VALU_DEP_3) | instskip(NEXT) | instid1(VALU_DEP_1)
	v_clz_i32_u32_e32 v2, v166
	v_min_u32_e32 v2, 32, v2
	s_delay_alu instid0(VALU_DEP_1) | instskip(SKIP_1) | instid1(VALU_DEP_2)
	v_subrev_nc_u32_e32 v3, 28, v2
	v_sub_nc_u32_e32 v2, 29, v2
	v_lshlrev_b64 v[3:4], v3, v[166:167]
	s_delay_alu instid0(VALU_DEP_1)
	v_and_b32_e32 v166, 7, v3
; %bb.352:                              ;   in Loop: Header=BB275_11 Depth=1
	s_or_b32 exec_lo, exec_lo, s21
	v_lshlrev_b32_e32 v1, 24, v1
	s_delay_alu instid0(VALU_DEP_2) | instskip(SKIP_1) | instid1(VALU_DEP_3)
	v_lshlrev_b32_e32 v3, 20, v166
	v_lshl_add_u32 v2, v2, 23, 0x3c000000
	v_and_b32_e32 v1, 0x80000000, v1
	s_delay_alu instid0(VALU_DEP_1) | instskip(NEXT) | instid1(VALU_DEP_1)
	v_or3_b32 v166, v3, v1, v2
	v_dual_mov_b32 v4, v166 :: v_dual_mov_b32 v5, v167
.LBB275_353:                            ;   in Loop: Header=BB275_11 Depth=1
	s_or_b32 exec_lo, exec_lo, s20
.LBB275_354:                            ;   in Loop: Header=BB275_11 Depth=1
	s_delay_alu instid0(SALU_CYCLE_1)
	s_or_b32 exec_lo, exec_lo, s19
.LBB275_355:                            ;   in Loop: Header=BB275_11 Depth=1
	s_delay_alu instid0(SALU_CYCLE_1) | instskip(NEXT) | instid1(SALU_CYCLE_1)
	s_or_b32 exec_lo, exec_lo, s8
	s_mov_b32 s19, exec_lo
	v_cmpx_lt_u32_e32 0xffffff, v0
	s_cbranch_execz .LBB275_363
; %bb.356:                              ;   in Loop: Header=BB275_11 Depth=1
	v_lshrrev_b32_e32 v1, 24, v0
	v_dual_mov_b32 v12, s3 :: v_dual_mov_b32 v11, s2
	s_mov_b32 s20, exec_lo
	s_delay_alu instid0(VALU_DEP_2)
	v_cmpx_ne_u32_e32 0x80, v1
	s_cbranch_execz .LBB275_362
; %bb.357:                              ;   in Loop: Header=BB275_11 Depth=1
	s_mov_b32 s8, s2
	v_bfe_u32 v2, v0, 24, 7
	v_dual_mov_b32 v12, s9 :: v_dual_mov_b32 v11, s8
	s_mov_b32 s8, exec_lo
	s_delay_alu instid0(VALU_DEP_2)
	v_cmpx_ne_u32_e32 0x7f, v2
	s_cbranch_execz .LBB275_361
; %bb.358:                              ;   in Loop: Header=BB275_11 Depth=1
	v_and_b32_e32 v166, 7, v1
	v_lshrrev_b32_e32 v0, 3, v2
	s_mov_b32 s21, exec_lo
	v_cmpx_gt_u32_e32 8, v2
; %bb.359:                              ;   in Loop: Header=BB275_11 Depth=1
	s_delay_alu instid0(VALU_DEP_3) | instskip(NEXT) | instid1(VALU_DEP_1)
	v_clz_i32_u32_e32 v0, v166
	v_min_u32_e32 v0, 32, v0
	s_delay_alu instid0(VALU_DEP_1) | instskip(SKIP_1) | instid1(VALU_DEP_2)
	v_subrev_nc_u32_e32 v2, 28, v0
	v_sub_nc_u32_e32 v0, 29, v0
	v_lshlrev_b64 v[2:3], v2, v[166:167]
	s_delay_alu instid0(VALU_DEP_1)
	v_and_b32_e32 v166, 7, v2
; %bb.360:                              ;   in Loop: Header=BB275_11 Depth=1
	s_or_b32 exec_lo, exec_lo, s21
	v_lshlrev_b32_e32 v1, 24, v1
	s_delay_alu instid0(VALU_DEP_2) | instskip(SKIP_1) | instid1(VALU_DEP_3)
	v_dual_mov_b32 v11, v167 :: v_dual_lshlrev_b32 v2, 20, v166
	v_lshl_add_u32 v0, v0, 23, 0x3c000000
	v_and_b32_e32 v1, 0x80000000, v1
	s_delay_alu instid0(VALU_DEP_1)
	v_or3_b32 v12, v2, v1, v0
.LBB275_361:                            ;   in Loop: Header=BB275_11 Depth=1
	s_or_b32 exec_lo, exec_lo, s8
.LBB275_362:                            ;   in Loop: Header=BB275_11 Depth=1
	s_delay_alu instid0(SALU_CYCLE_1)
	s_or_b32 exec_lo, exec_lo, s20
.LBB275_363:                            ;   in Loop: Header=BB275_11 Depth=1
	s_delay_alu instid0(SALU_CYCLE_1) | instskip(SKIP_4) | instid1(VALU_DEP_1)
	s_or_b32 exec_lo, exec_lo, s19
	flat_load_b32 v6, v[60:61] offset:1036
	v_mov_b32_e32 v0, 0
	v_mov_b32_e32 v1, 0
	s_mov_b32 s8, exec_lo
	v_dual_mov_b32 v3, v1 :: v_dual_mov_b32 v2, v0
	s_waitcnt vmcnt(0) lgkmcnt(0)
	v_and_b32_e32 v7, 0xff, v6
	s_delay_alu instid0(VALU_DEP_1)
	v_cmpx_ne_u16_e32 0, v7
	s_cbranch_execz .LBB275_371
; %bb.364:                              ;   in Loop: Header=BB275_11 Depth=1
	v_bfrev_b32_e32 v2, 1
	v_mov_b32_e32 v3, 0
	s_mov_b32 s19, exec_lo
	v_cmpx_ne_u16_e32 0x80, v7
	s_cbranch_execz .LBB275_370
; %bb.365:                              ;   in Loop: Header=BB275_11 Depth=1
	v_mov_b32_e32 v2, 0x7f800001
	v_and_b32_e32 v7, 0x7f, v6
	v_mov_b32_e32 v3, 0
	s_mov_b32 s20, exec_lo
	s_delay_alu instid0(VALU_DEP_2)
	v_cmpx_ne_u32_e32 0x7f, v7
	s_cbranch_execz .LBB275_369
; %bb.366:                              ;   in Loop: Header=BB275_11 Depth=1
	v_and_b32_e32 v166, 7, v6
	v_lshrrev_b32_e32 v2, 3, v7
	s_mov_b32 s21, exec_lo
	v_cmpx_gt_u32_e32 8, v7
; %bb.367:                              ;   in Loop: Header=BB275_11 Depth=1
	s_delay_alu instid0(VALU_DEP_3) | instskip(NEXT) | instid1(VALU_DEP_1)
	v_clz_i32_u32_e32 v2, v166
	v_min_u32_e32 v2, 32, v2
	s_delay_alu instid0(VALU_DEP_1) | instskip(SKIP_1) | instid1(VALU_DEP_2)
	v_subrev_nc_u32_e32 v3, 28, v2
	v_sub_nc_u32_e32 v2, 29, v2
	v_lshlrev_b64 v[7:8], v3, v[166:167]
	s_delay_alu instid0(VALU_DEP_1)
	v_and_b32_e32 v166, 7, v7
; %bb.368:                              ;   in Loop: Header=BB275_11 Depth=1
	s_or_b32 exec_lo, exec_lo, s21
	v_lshlrev_b32_e32 v3, 24, v6
	s_delay_alu instid0(VALU_DEP_2) | instskip(SKIP_1) | instid1(VALU_DEP_3)
	v_lshlrev_b32_e32 v7, 20, v166
	v_lshl_add_u32 v2, v2, 23, 0x3c000000
	v_and_b32_e32 v3, 0x80000000, v3
	s_delay_alu instid0(VALU_DEP_1) | instskip(NEXT) | instid1(VALU_DEP_1)
	v_or3_b32 v166, v7, v3, v2
	v_dual_mov_b32 v2, v166 :: v_dual_mov_b32 v3, v167
.LBB275_369:                            ;   in Loop: Header=BB275_11 Depth=1
	s_or_b32 exec_lo, exec_lo, s20
.LBB275_370:                            ;   in Loop: Header=BB275_11 Depth=1
	s_delay_alu instid0(SALU_CYCLE_1)
	s_or_b32 exec_lo, exec_lo, s19
.LBB275_371:                            ;   in Loop: Header=BB275_11 Depth=1
	s_delay_alu instid0(SALU_CYCLE_1) | instskip(SKIP_2) | instid1(VALU_DEP_1)
	s_or_b32 exec_lo, exec_lo, s8
	v_lshrrev_b16 v7, 8, v6
	s_mov_b32 s19, exec_lo
	v_cmpx_ne_u16_e32 0, v7
	s_cbranch_execz .LBB275_379
; %bb.372:                              ;   in Loop: Header=BB275_11 Depth=1
	v_dual_mov_b32 v0, s2 :: v_dual_mov_b32 v1, s3
	s_mov_b32 s20, exec_lo
	v_cmpx_ne_u16_e32 0x80, v7
	s_cbranch_execz .LBB275_378
; %bb.373:                              ;   in Loop: Header=BB275_11 Depth=1
	s_mov_b32 s8, s2
	v_and_b32_e32 v8, 0xffff, v7
	v_dual_mov_b32 v0, s8 :: v_dual_mov_b32 v1, s9
	s_mov_b32 s8, exec_lo
	s_delay_alu instid0(VALU_DEP_2) | instskip(NEXT) | instid1(VALU_DEP_1)
	v_and_b32_e32 v7, 0x7f, v8
	v_cmpx_ne_u32_e32 0x7f, v7
	s_cbranch_execz .LBB275_377
; %bb.374:                              ;   in Loop: Header=BB275_11 Depth=1
	v_and_b32_e32 v166, 7, v8
	v_lshrrev_b32_e32 v0, 3, v7
	s_mov_b32 s21, exec_lo
	v_cmpx_gt_u32_e32 8, v7
; %bb.375:                              ;   in Loop: Header=BB275_11 Depth=1
	s_delay_alu instid0(VALU_DEP_3) | instskip(NEXT) | instid1(VALU_DEP_1)
	v_clz_i32_u32_e32 v0, v166
	v_min_u32_e32 v0, 32, v0
	s_delay_alu instid0(VALU_DEP_1) | instskip(SKIP_1) | instid1(VALU_DEP_2)
	v_subrev_nc_u32_e32 v1, 28, v0
	v_sub_nc_u32_e32 v0, 29, v0
	v_lshlrev_b64 v[7:8], v1, v[166:167]
	s_delay_alu instid0(VALU_DEP_1)
	v_and_b32_e32 v166, 7, v7
; %bb.376:                              ;   in Loop: Header=BB275_11 Depth=1
	s_or_b32 exec_lo, exec_lo, s21
	v_lshlrev_b32_e32 v1, 16, v6
	s_delay_alu instid0(VALU_DEP_2) | instskip(SKIP_1) | instid1(VALU_DEP_3)
	v_lshlrev_b32_e32 v7, 20, v166
	v_lshl_add_u32 v0, v0, 23, 0x3c000000
	v_and_b32_e32 v1, 0x80000000, v1
	s_delay_alu instid0(VALU_DEP_1)
	v_or3_b32 v1, v7, v1, v0
	v_mov_b32_e32 v0, v167
.LBB275_377:                            ;   in Loop: Header=BB275_11 Depth=1
	s_or_b32 exec_lo, exec_lo, s8
.LBB275_378:                            ;   in Loop: Header=BB275_11 Depth=1
	s_delay_alu instid0(SALU_CYCLE_1)
	s_or_b32 exec_lo, exec_lo, s20
.LBB275_379:                            ;   in Loop: Header=BB275_11 Depth=1
	s_delay_alu instid0(SALU_CYCLE_1) | instskip(SKIP_4) | instid1(VALU_DEP_1)
	s_or_b32 exec_lo, exec_lo, s19
	v_mov_b32_e32 v14, 0
	v_lshrrev_b32_e32 v7, 16, v6
	v_mov_b32_e32 v15, 0
	s_mov_b32 s8, exec_lo
	v_dual_mov_b32 v177, v15 :: v_dual_and_b32 v8, 0xff, v7
	v_mov_b32_e32 v176, v14
	s_delay_alu instid0(VALU_DEP_2)
	v_cmpx_ne_u16_e32 0, v8
	s_cbranch_execz .LBB275_387
; %bb.380:                              ;   in Loop: Header=BB275_11 Depth=1
	v_bfrev_b32_e32 v176, 1
	v_mov_b32_e32 v177, 0
	s_mov_b32 s19, exec_lo
	v_cmpx_ne_u16_e32 0x80, v8
	s_cbranch_execz .LBB275_386
; %bb.381:                              ;   in Loop: Header=BB275_11 Depth=1
	v_mov_b32_e32 v176, 0x7f800001
	v_bfe_u32 v9, v6, 16, 7
	v_mov_b32_e32 v177, 0
	s_mov_b32 s20, exec_lo
	s_delay_alu instid0(VALU_DEP_2)
	v_cmpx_ne_u32_e32 0x7f, v9
	s_cbranch_execz .LBB275_385
; %bb.382:                              ;   in Loop: Header=BB275_11 Depth=1
	v_and_b32_e32 v166, 7, v7
	v_lshrrev_b32_e32 v8, 3, v9
	s_mov_b32 s21, exec_lo
	v_cmpx_gt_u32_e32 8, v9
; %bb.383:                              ;   in Loop: Header=BB275_11 Depth=1
	s_delay_alu instid0(VALU_DEP_3) | instskip(NEXT) | instid1(VALU_DEP_1)
	v_clz_i32_u32_e32 v8, v166
	v_min_u32_e32 v8, 32, v8
	s_delay_alu instid0(VALU_DEP_1) | instskip(SKIP_1) | instid1(VALU_DEP_2)
	v_subrev_nc_u32_e32 v9, 28, v8
	v_sub_nc_u32_e32 v8, 29, v8
	v_lshlrev_b64 v[16:17], v9, v[166:167]
	s_delay_alu instid0(VALU_DEP_1)
	v_and_b32_e32 v166, 7, v16
; %bb.384:                              ;   in Loop: Header=BB275_11 Depth=1
	s_or_b32 exec_lo, exec_lo, s21
	v_lshlrev_b32_e32 v7, 24, v7
	s_delay_alu instid0(VALU_DEP_2) | instskip(SKIP_1) | instid1(VALU_DEP_3)
	v_lshlrev_b32_e32 v9, 20, v166
	v_lshl_add_u32 v8, v8, 23, 0x3c000000
	v_and_b32_e32 v7, 0x80000000, v7
	s_delay_alu instid0(VALU_DEP_1) | instskip(NEXT) | instid1(VALU_DEP_1)
	v_or3_b32 v166, v9, v7, v8
	v_dual_mov_b32 v177, v167 :: v_dual_mov_b32 v176, v166
.LBB275_385:                            ;   in Loop: Header=BB275_11 Depth=1
	s_or_b32 exec_lo, exec_lo, s20
.LBB275_386:                            ;   in Loop: Header=BB275_11 Depth=1
	s_delay_alu instid0(SALU_CYCLE_1)
	s_or_b32 exec_lo, exec_lo, s19
.LBB275_387:                            ;   in Loop: Header=BB275_11 Depth=1
	s_delay_alu instid0(SALU_CYCLE_1) | instskip(NEXT) | instid1(SALU_CYCLE_1)
	s_or_b32 exec_lo, exec_lo, s8
	s_mov_b32 s19, exec_lo
	v_cmpx_lt_u32_e32 0xffffff, v6
	s_cbranch_execz .LBB275_395
; %bb.388:                              ;   in Loop: Header=BB275_11 Depth=1
	v_lshrrev_b32_e32 v7, 24, v6
	v_dual_mov_b32 v15, s3 :: v_dual_mov_b32 v14, s2
	s_mov_b32 s20, exec_lo
	s_delay_alu instid0(VALU_DEP_2)
	v_cmpx_ne_u32_e32 0x80, v7
	s_cbranch_execz .LBB275_394
; %bb.389:                              ;   in Loop: Header=BB275_11 Depth=1
	s_mov_b32 s8, s2
	v_bfe_u32 v8, v6, 24, 7
	v_dual_mov_b32 v15, s9 :: v_dual_mov_b32 v14, s8
	s_mov_b32 s8, exec_lo
	s_delay_alu instid0(VALU_DEP_2)
	v_cmpx_ne_u32_e32 0x7f, v8
	s_cbranch_execz .LBB275_393
; %bb.390:                              ;   in Loop: Header=BB275_11 Depth=1
	v_and_b32_e32 v166, 7, v7
	v_lshrrev_b32_e32 v6, 3, v8
	s_mov_b32 s21, exec_lo
	v_cmpx_gt_u32_e32 8, v8
; %bb.391:                              ;   in Loop: Header=BB275_11 Depth=1
	s_delay_alu instid0(VALU_DEP_3) | instskip(NEXT) | instid1(VALU_DEP_1)
	v_clz_i32_u32_e32 v6, v166
	v_min_u32_e32 v6, 32, v6
	s_delay_alu instid0(VALU_DEP_1) | instskip(SKIP_1) | instid1(VALU_DEP_2)
	v_subrev_nc_u32_e32 v8, 28, v6
	v_sub_nc_u32_e32 v6, 29, v6
	v_lshlrev_b64 v[8:9], v8, v[166:167]
	s_delay_alu instid0(VALU_DEP_1)
	v_and_b32_e32 v166, 7, v8
; %bb.392:                              ;   in Loop: Header=BB275_11 Depth=1
	s_or_b32 exec_lo, exec_lo, s21
	v_dual_mov_b32 v14, v167 :: v_dual_lshlrev_b32 v7, 24, v7
	s_delay_alu instid0(VALU_DEP_2) | instskip(SKIP_1) | instid1(VALU_DEP_3)
	v_lshlrev_b32_e32 v8, 20, v166
	v_lshl_add_u32 v6, v6, 23, 0x3c000000
	v_and_b32_e32 v7, 0x80000000, v7
	s_delay_alu instid0(VALU_DEP_1)
	v_or3_b32 v15, v8, v7, v6
.LBB275_393:                            ;   in Loop: Header=BB275_11 Depth=1
	s_or_b32 exec_lo, exec_lo, s8
.LBB275_394:                            ;   in Loop: Header=BB275_11 Depth=1
	s_delay_alu instid0(SALU_CYCLE_1)
	s_or_b32 exec_lo, exec_lo, s20
.LBB275_395:                            ;   in Loop: Header=BB275_11 Depth=1
	s_delay_alu instid0(SALU_CYCLE_1)
	s_or_b32 exec_lo, exec_lo, s19
	flat_load_b32 v16, v[60:61] offset:1536
	v_mov_b32_e32 v26, 0
	v_mov_b32_e32 v27, 0
	s_mov_b32 s8, exec_lo
	s_waitcnt vmcnt(0) lgkmcnt(0)
	v_and_b32_e32 v6, 0xff, v16
	s_delay_alu instid0(VALU_DEP_2) | instskip(NEXT) | instid1(VALU_DEP_2)
	v_dual_mov_b32 v22, v26 :: v_dual_mov_b32 v23, v27
	v_cmpx_ne_u16_e32 0, v6
	s_cbranch_execz .LBB275_403
; %bb.396:                              ;   in Loop: Header=BB275_11 Depth=1
	v_bfrev_b32_e32 v22, 1
	v_mov_b32_e32 v23, 0
	s_mov_b32 s19, exec_lo
	v_cmpx_ne_u16_e32 0x80, v6
	s_cbranch_execz .LBB275_402
; %bb.397:                              ;   in Loop: Header=BB275_11 Depth=1
	v_mov_b32_e32 v22, 0x7f800001
	v_and_b32_e32 v7, 0x7f, v16
	v_mov_b32_e32 v23, 0
	s_mov_b32 s20, exec_lo
	s_delay_alu instid0(VALU_DEP_2)
	v_cmpx_ne_u32_e32 0x7f, v7
	s_cbranch_execz .LBB275_401
; %bb.398:                              ;   in Loop: Header=BB275_11 Depth=1
	v_and_b32_e32 v166, 7, v16
	v_lshrrev_b32_e32 v6, 3, v7
	s_mov_b32 s21, exec_lo
	v_cmpx_gt_u32_e32 8, v7
; %bb.399:                              ;   in Loop: Header=BB275_11 Depth=1
	s_delay_alu instid0(VALU_DEP_3) | instskip(NEXT) | instid1(VALU_DEP_1)
	v_clz_i32_u32_e32 v6, v166
	v_min_u32_e32 v6, 32, v6
	s_delay_alu instid0(VALU_DEP_1) | instskip(SKIP_1) | instid1(VALU_DEP_2)
	v_subrev_nc_u32_e32 v7, 28, v6
	v_sub_nc_u32_e32 v6, 29, v6
	v_lshlrev_b64 v[7:8], v7, v[166:167]
	s_delay_alu instid0(VALU_DEP_1)
	v_and_b32_e32 v166, 7, v7
; %bb.400:                              ;   in Loop: Header=BB275_11 Depth=1
	s_or_b32 exec_lo, exec_lo, s21
	v_lshlrev_b32_e32 v7, 24, v16
	s_delay_alu instid0(VALU_DEP_2) | instskip(SKIP_1) | instid1(VALU_DEP_3)
	v_lshlrev_b32_e32 v8, 20, v166
	v_lshl_add_u32 v6, v6, 23, 0x3c000000
	v_and_b32_e32 v7, 0x80000000, v7
	s_delay_alu instid0(VALU_DEP_1) | instskip(NEXT) | instid1(VALU_DEP_1)
	v_or3_b32 v166, v8, v7, v6
	v_dual_mov_b32 v22, v166 :: v_dual_mov_b32 v23, v167
.LBB275_401:                            ;   in Loop: Header=BB275_11 Depth=1
	s_or_b32 exec_lo, exec_lo, s20
.LBB275_402:                            ;   in Loop: Header=BB275_11 Depth=1
	s_delay_alu instid0(SALU_CYCLE_1)
	s_or_b32 exec_lo, exec_lo, s19
.LBB275_403:                            ;   in Loop: Header=BB275_11 Depth=1
	s_delay_alu instid0(SALU_CYCLE_1) | instskip(SKIP_2) | instid1(VALU_DEP_1)
	s_or_b32 exec_lo, exec_lo, s8
	v_lshrrev_b16 v6, 8, v16
	s_mov_b32 s19, exec_lo
	v_cmpx_ne_u16_e32 0, v6
	s_cbranch_execz .LBB275_411
; %bb.404:                              ;   in Loop: Header=BB275_11 Depth=1
	v_dual_mov_b32 v27, s3 :: v_dual_mov_b32 v26, s2
	s_mov_b32 s20, exec_lo
	v_cmpx_ne_u16_e32 0x80, v6
	s_cbranch_execz .LBB275_410
; %bb.405:                              ;   in Loop: Header=BB275_11 Depth=1
	s_mov_b32 s8, s2
	v_dual_mov_b32 v27, s9 :: v_dual_and_b32 v6, 0xffff, v6
	v_mov_b32_e32 v26, s8
	s_mov_b32 s8, exec_lo
	s_delay_alu instid0(VALU_DEP_2) | instskip(NEXT) | instid1(VALU_DEP_1)
	v_and_b32_e32 v7, 0x7f, v6
	v_cmpx_ne_u32_e32 0x7f, v7
	s_cbranch_execz .LBB275_409
; %bb.406:                              ;   in Loop: Header=BB275_11 Depth=1
	v_and_b32_e32 v166, 7, v6
	v_lshrrev_b32_e32 v6, 3, v7
	s_mov_b32 s21, exec_lo
	v_cmpx_gt_u32_e32 8, v7
; %bb.407:                              ;   in Loop: Header=BB275_11 Depth=1
	s_delay_alu instid0(VALU_DEP_3) | instskip(NEXT) | instid1(VALU_DEP_1)
	v_clz_i32_u32_e32 v6, v166
	v_min_u32_e32 v6, 32, v6
	s_delay_alu instid0(VALU_DEP_1) | instskip(SKIP_1) | instid1(VALU_DEP_2)
	v_subrev_nc_u32_e32 v7, 28, v6
	v_sub_nc_u32_e32 v6, 29, v6
	v_lshlrev_b64 v[7:8], v7, v[166:167]
	s_delay_alu instid0(VALU_DEP_1)
	v_and_b32_e32 v166, 7, v7
; %bb.408:                              ;   in Loop: Header=BB275_11 Depth=1
	s_or_b32 exec_lo, exec_lo, s21
	v_dual_mov_b32 v26, v167 :: v_dual_lshlrev_b32 v7, 16, v16
	s_delay_alu instid0(VALU_DEP_2) | instskip(SKIP_1) | instid1(VALU_DEP_3)
	v_lshlrev_b32_e32 v8, 20, v166
	v_lshl_add_u32 v6, v6, 23, 0x3c000000
	v_and_b32_e32 v7, 0x80000000, v7
	s_delay_alu instid0(VALU_DEP_1)
	v_or3_b32 v27, v8, v7, v6
.LBB275_409:                            ;   in Loop: Header=BB275_11 Depth=1
	s_or_b32 exec_lo, exec_lo, s8
.LBB275_410:                            ;   in Loop: Header=BB275_11 Depth=1
	s_delay_alu instid0(SALU_CYCLE_1)
	s_or_b32 exec_lo, exec_lo, s20
.LBB275_411:                            ;   in Loop: Header=BB275_11 Depth=1
	s_delay_alu instid0(SALU_CYCLE_1) | instskip(SKIP_4) | instid1(VALU_DEP_1)
	s_or_b32 exec_lo, exec_lo, s19
	v_mov_b32_e32 v6, 0
	v_lshrrev_b32_e32 v17, 16, v16
	v_mov_b32_e32 v7, 0
	s_mov_b32 s8, exec_lo
	v_dual_mov_b32 v9, v7 :: v_dual_and_b32 v18, 0xff, v17
	v_mov_b32_e32 v8, v6
	s_delay_alu instid0(VALU_DEP_2)
	v_cmpx_ne_u16_e32 0, v18
	s_cbranch_execz .LBB275_419
; %bb.412:                              ;   in Loop: Header=BB275_11 Depth=1
	v_bfrev_b32_e32 v8, 1
	v_mov_b32_e32 v9, 0
	s_mov_b32 s19, exec_lo
	v_cmpx_ne_u16_e32 0x80, v18
	s_cbranch_execz .LBB275_418
; %bb.413:                              ;   in Loop: Header=BB275_11 Depth=1
	v_mov_b32_e32 v8, 0x7f800001
	v_bfe_u32 v18, v16, 16, 7
	v_mov_b32_e32 v9, 0
	s_mov_b32 s20, exec_lo
	s_delay_alu instid0(VALU_DEP_2)
	v_cmpx_ne_u32_e32 0x7f, v18
	s_cbranch_execz .LBB275_417
; %bb.414:                              ;   in Loop: Header=BB275_11 Depth=1
	v_and_b32_e32 v166, 7, v17
	v_lshrrev_b32_e32 v8, 3, v18
	s_mov_b32 s21, exec_lo
	v_cmpx_gt_u32_e32 8, v18
; %bb.415:                              ;   in Loop: Header=BB275_11 Depth=1
	s_delay_alu instid0(VALU_DEP_3) | instskip(NEXT) | instid1(VALU_DEP_1)
	v_clz_i32_u32_e32 v8, v166
	v_min_u32_e32 v8, 32, v8
	s_delay_alu instid0(VALU_DEP_1) | instskip(SKIP_1) | instid1(VALU_DEP_2)
	v_subrev_nc_u32_e32 v9, 28, v8
	v_sub_nc_u32_e32 v8, 29, v8
	v_lshlrev_b64 v[18:19], v9, v[166:167]
	s_delay_alu instid0(VALU_DEP_1)
	v_and_b32_e32 v166, 7, v18
; %bb.416:                              ;   in Loop: Header=BB275_11 Depth=1
	s_or_b32 exec_lo, exec_lo, s21
	v_lshlrev_b32_e32 v9, 24, v17
	s_delay_alu instid0(VALU_DEP_2) | instskip(SKIP_1) | instid1(VALU_DEP_3)
	v_lshlrev_b32_e32 v17, 20, v166
	v_lshl_add_u32 v8, v8, 23, 0x3c000000
	v_and_b32_e32 v9, 0x80000000, v9
	s_delay_alu instid0(VALU_DEP_1) | instskip(NEXT) | instid1(VALU_DEP_1)
	v_or3_b32 v166, v17, v9, v8
	v_dual_mov_b32 v8, v166 :: v_dual_mov_b32 v9, v167
.LBB275_417:                            ;   in Loop: Header=BB275_11 Depth=1
	s_or_b32 exec_lo, exec_lo, s20
.LBB275_418:                            ;   in Loop: Header=BB275_11 Depth=1
	s_delay_alu instid0(SALU_CYCLE_1)
	s_or_b32 exec_lo, exec_lo, s19
.LBB275_419:                            ;   in Loop: Header=BB275_11 Depth=1
	s_delay_alu instid0(SALU_CYCLE_1) | instskip(NEXT) | instid1(SALU_CYCLE_1)
	s_or_b32 exec_lo, exec_lo, s8
	s_mov_b32 s19, exec_lo
	v_cmpx_lt_u32_e32 0xffffff, v16
	s_cbranch_execz .LBB275_427
; %bb.420:                              ;   in Loop: Header=BB275_11 Depth=1
	v_lshrrev_b32_e32 v17, 24, v16
	v_dual_mov_b32 v7, s3 :: v_dual_mov_b32 v6, s2
	s_mov_b32 s20, exec_lo
	s_delay_alu instid0(VALU_DEP_2)
	v_cmpx_ne_u32_e32 0x80, v17
	s_cbranch_execz .LBB275_426
; %bb.421:                              ;   in Loop: Header=BB275_11 Depth=1
	s_mov_b32 s8, s2
	v_bfe_u32 v16, v16, 24, 7
	v_dual_mov_b32 v6, s8 :: v_dual_mov_b32 v7, s9
	s_mov_b32 s8, exec_lo
	s_delay_alu instid0(VALU_DEP_2)
	v_cmpx_ne_u32_e32 0x7f, v16
	s_cbranch_execz .LBB275_425
; %bb.422:                              ;   in Loop: Header=BB275_11 Depth=1
	v_and_b32_e32 v166, 7, v17
	v_lshrrev_b32_e32 v6, 3, v16
	s_mov_b32 s21, exec_lo
	v_cmpx_gt_u32_e32 8, v16
; %bb.423:                              ;   in Loop: Header=BB275_11 Depth=1
	s_delay_alu instid0(VALU_DEP_3) | instskip(NEXT) | instid1(VALU_DEP_1)
	v_clz_i32_u32_e32 v6, v166
	v_min_u32_e32 v6, 32, v6
	s_delay_alu instid0(VALU_DEP_1) | instskip(SKIP_1) | instid1(VALU_DEP_2)
	v_subrev_nc_u32_e32 v7, 28, v6
	v_sub_nc_u32_e32 v6, 29, v6
	v_lshlrev_b64 v[18:19], v7, v[166:167]
	s_delay_alu instid0(VALU_DEP_1)
	v_and_b32_e32 v166, 7, v18
; %bb.424:                              ;   in Loop: Header=BB275_11 Depth=1
	s_or_b32 exec_lo, exec_lo, s21
	v_lshlrev_b32_e32 v7, 24, v17
	s_delay_alu instid0(VALU_DEP_2) | instskip(SKIP_1) | instid1(VALU_DEP_3)
	v_lshlrev_b32_e32 v16, 20, v166
	v_lshl_add_u32 v6, v6, 23, 0x3c000000
	v_and_b32_e32 v7, 0x80000000, v7
	s_delay_alu instid0(VALU_DEP_1)
	v_or3_b32 v7, v16, v7, v6
	v_mov_b32_e32 v6, v167
.LBB275_425:                            ;   in Loop: Header=BB275_11 Depth=1
	s_or_b32 exec_lo, exec_lo, s8
.LBB275_426:                            ;   in Loop: Header=BB275_11 Depth=1
	s_delay_alu instid0(SALU_CYCLE_1)
	s_or_b32 exec_lo, exec_lo, s20
.LBB275_427:                            ;   in Loop: Header=BB275_11 Depth=1
	s_delay_alu instid0(SALU_CYCLE_1)
	s_or_b32 exec_lo, exec_lo, s19
	flat_load_b32 v32, v[60:61] offset:1540
	v_mov_b32_e32 v16, 0
	v_mov_b32_e32 v17, 0
	s_mov_b32 s8, exec_lo
	s_waitcnt vmcnt(0) lgkmcnt(0)
	s_delay_alu instid0(VALU_DEP_1) | instskip(SKIP_1) | instid1(VALU_DEP_2)
	v_dual_mov_b32 v19, v17 :: v_dual_and_b32 v28, 0xff, v32
	v_mov_b32_e32 v18, v16
	v_cmpx_ne_u16_e32 0, v28
	s_cbranch_execz .LBB275_435
; %bb.428:                              ;   in Loop: Header=BB275_11 Depth=1
	v_bfrev_b32_e32 v18, 1
	v_mov_b32_e32 v19, 0
	s_mov_b32 s19, exec_lo
	v_cmpx_ne_u16_e32 0x80, v28
	s_cbranch_execz .LBB275_434
; %bb.429:                              ;   in Loop: Header=BB275_11 Depth=1
	v_mov_b32_e32 v18, 0x7f800001
	v_dual_mov_b32 v19, 0 :: v_dual_and_b32 v28, 0x7f, v32
	s_mov_b32 s20, exec_lo
	s_delay_alu instid0(VALU_DEP_1)
	v_cmpx_ne_u32_e32 0x7f, v28
	s_cbranch_execz .LBB275_433
; %bb.430:                              ;   in Loop: Header=BB275_11 Depth=1
	v_and_b32_e32 v166, 7, v32
	v_lshrrev_b32_e32 v18, 3, v28
	s_mov_b32 s21, exec_lo
	v_cmpx_gt_u32_e32 8, v28
; %bb.431:                              ;   in Loop: Header=BB275_11 Depth=1
	s_delay_alu instid0(VALU_DEP_3) | instskip(NEXT) | instid1(VALU_DEP_1)
	v_clz_i32_u32_e32 v18, v166
	v_min_u32_e32 v18, 32, v18
	s_delay_alu instid0(VALU_DEP_1) | instskip(SKIP_1) | instid1(VALU_DEP_2)
	v_subrev_nc_u32_e32 v19, 28, v18
	v_sub_nc_u32_e32 v18, 29, v18
	v_lshlrev_b64 v[28:29], v19, v[166:167]
	s_delay_alu instid0(VALU_DEP_1)
	v_and_b32_e32 v166, 7, v28
; %bb.432:                              ;   in Loop: Header=BB275_11 Depth=1
	s_or_b32 exec_lo, exec_lo, s21
	v_lshlrev_b32_e32 v19, 24, v32
	s_delay_alu instid0(VALU_DEP_2) | instskip(SKIP_1) | instid1(VALU_DEP_3)
	v_lshlrev_b32_e32 v28, 20, v166
	v_lshl_add_u32 v18, v18, 23, 0x3c000000
	v_and_b32_e32 v19, 0x80000000, v19
	s_delay_alu instid0(VALU_DEP_1) | instskip(NEXT) | instid1(VALU_DEP_1)
	v_or3_b32 v166, v28, v19, v18
	v_dual_mov_b32 v18, v166 :: v_dual_mov_b32 v19, v167
.LBB275_433:                            ;   in Loop: Header=BB275_11 Depth=1
	s_or_b32 exec_lo, exec_lo, s20
.LBB275_434:                            ;   in Loop: Header=BB275_11 Depth=1
	s_delay_alu instid0(SALU_CYCLE_1)
	s_or_b32 exec_lo, exec_lo, s19
.LBB275_435:                            ;   in Loop: Header=BB275_11 Depth=1
	s_delay_alu instid0(SALU_CYCLE_1) | instskip(SKIP_2) | instid1(VALU_DEP_1)
	s_or_b32 exec_lo, exec_lo, s8
	v_lshrrev_b16 v28, 8, v32
	s_mov_b32 s19, exec_lo
	v_cmpx_ne_u16_e32 0, v28
	s_cbranch_execz .LBB275_443
; %bb.436:                              ;   in Loop: Header=BB275_11 Depth=1
	v_dual_mov_b32 v17, s3 :: v_dual_mov_b32 v16, s2
	s_mov_b32 s20, exec_lo
	v_cmpx_ne_u16_e32 0x80, v28
	s_cbranch_execz .LBB275_442
; %bb.437:                              ;   in Loop: Header=BB275_11 Depth=1
	s_mov_b32 s8, s2
	v_and_b32_e32 v29, 0xffff, v28
	v_dual_mov_b32 v17, s9 :: v_dual_mov_b32 v16, s8
	s_mov_b32 s8, exec_lo
	s_delay_alu instid0(VALU_DEP_2) | instskip(NEXT) | instid1(VALU_DEP_1)
	v_and_b32_e32 v28, 0x7f, v29
	v_cmpx_ne_u32_e32 0x7f, v28
	s_cbranch_execz .LBB275_441
; %bb.438:                              ;   in Loop: Header=BB275_11 Depth=1
	v_and_b32_e32 v166, 7, v29
	v_lshrrev_b32_e32 v16, 3, v28
	s_mov_b32 s21, exec_lo
	v_cmpx_gt_u32_e32 8, v28
; %bb.439:                              ;   in Loop: Header=BB275_11 Depth=1
	s_delay_alu instid0(VALU_DEP_3) | instskip(NEXT) | instid1(VALU_DEP_1)
	v_clz_i32_u32_e32 v16, v166
	v_min_u32_e32 v16, 32, v16
	s_delay_alu instid0(VALU_DEP_1) | instskip(SKIP_1) | instid1(VALU_DEP_2)
	v_subrev_nc_u32_e32 v17, 28, v16
	v_sub_nc_u32_e32 v16, 29, v16
	v_lshlrev_b64 v[28:29], v17, v[166:167]
	s_delay_alu instid0(VALU_DEP_1)
	v_and_b32_e32 v166, 7, v28
; %bb.440:                              ;   in Loop: Header=BB275_11 Depth=1
	s_or_b32 exec_lo, exec_lo, s21
	v_lshlrev_b32_e32 v17, 16, v32
	s_delay_alu instid0(VALU_DEP_2) | instskip(SKIP_1) | instid1(VALU_DEP_3)
	v_lshlrev_b32_e32 v28, 20, v166
	v_lshl_add_u32 v16, v16, 23, 0x3c000000
	v_and_b32_e32 v17, 0x80000000, v17
	s_delay_alu instid0(VALU_DEP_1)
	v_or3_b32 v17, v28, v17, v16
	v_mov_b32_e32 v16, v167
.LBB275_441:                            ;   in Loop: Header=BB275_11 Depth=1
	s_or_b32 exec_lo, exec_lo, s8
.LBB275_442:                            ;   in Loop: Header=BB275_11 Depth=1
	s_delay_alu instid0(SALU_CYCLE_1)
	s_or_b32 exec_lo, exec_lo, s20
.LBB275_443:                            ;   in Loop: Header=BB275_11 Depth=1
	s_delay_alu instid0(SALU_CYCLE_1) | instskip(SKIP_4) | instid1(VALU_DEP_1)
	s_or_b32 exec_lo, exec_lo, s19
	v_mov_b32_e32 v28, 0
	v_lshrrev_b32_e32 v33, 16, v32
	v_mov_b32_e32 v29, 0
	s_mov_b32 s8, exec_lo
	v_dual_mov_b32 v31, v29 :: v_dual_and_b32 v34, 0xff, v33
	v_mov_b32_e32 v30, v28
	s_delay_alu instid0(VALU_DEP_2)
	v_cmpx_ne_u16_e32 0, v34
	s_cbranch_execz .LBB275_451
; %bb.444:                              ;   in Loop: Header=BB275_11 Depth=1
	v_bfrev_b32_e32 v30, 1
	v_mov_b32_e32 v31, 0
	s_mov_b32 s19, exec_lo
	v_cmpx_ne_u16_e32 0x80, v34
	s_cbranch_execz .LBB275_450
; %bb.445:                              ;   in Loop: Header=BB275_11 Depth=1
	v_mov_b32_e32 v30, 0x7f800001
	v_bfe_u32 v34, v32, 16, 7
	v_mov_b32_e32 v31, 0
	s_mov_b32 s20, exec_lo
	s_delay_alu instid0(VALU_DEP_2)
	v_cmpx_ne_u32_e32 0x7f, v34
	s_cbranch_execz .LBB275_449
; %bb.446:                              ;   in Loop: Header=BB275_11 Depth=1
	v_and_b32_e32 v166, 7, v33
	v_lshrrev_b32_e32 v30, 3, v34
	s_mov_b32 s21, exec_lo
	v_cmpx_gt_u32_e32 8, v34
; %bb.447:                              ;   in Loop: Header=BB275_11 Depth=1
	s_delay_alu instid0(VALU_DEP_3) | instskip(NEXT) | instid1(VALU_DEP_1)
	v_clz_i32_u32_e32 v30, v166
	v_min_u32_e32 v30, 32, v30
	s_delay_alu instid0(VALU_DEP_1) | instskip(SKIP_1) | instid1(VALU_DEP_2)
	v_subrev_nc_u32_e32 v31, 28, v30
	v_sub_nc_u32_e32 v30, 29, v30
	v_lshlrev_b64 v[34:35], v31, v[166:167]
	s_delay_alu instid0(VALU_DEP_1)
	v_and_b32_e32 v166, 7, v34
; %bb.448:                              ;   in Loop: Header=BB275_11 Depth=1
	s_or_b32 exec_lo, exec_lo, s21
	v_lshlrev_b32_e32 v31, 24, v33
	s_delay_alu instid0(VALU_DEP_2) | instskip(SKIP_1) | instid1(VALU_DEP_3)
	v_lshlrev_b32_e32 v33, 20, v166
	v_lshl_add_u32 v30, v30, 23, 0x3c000000
	v_and_b32_e32 v31, 0x80000000, v31
	s_delay_alu instid0(VALU_DEP_1) | instskip(NEXT) | instid1(VALU_DEP_1)
	v_or3_b32 v166, v33, v31, v30
	v_dual_mov_b32 v30, v166 :: v_dual_mov_b32 v31, v167
.LBB275_449:                            ;   in Loop: Header=BB275_11 Depth=1
	s_or_b32 exec_lo, exec_lo, s20
.LBB275_450:                            ;   in Loop: Header=BB275_11 Depth=1
	s_delay_alu instid0(SALU_CYCLE_1)
	s_or_b32 exec_lo, exec_lo, s19
.LBB275_451:                            ;   in Loop: Header=BB275_11 Depth=1
	s_delay_alu instid0(SALU_CYCLE_1) | instskip(NEXT) | instid1(SALU_CYCLE_1)
	s_or_b32 exec_lo, exec_lo, s8
	s_mov_b32 s19, exec_lo
	v_cmpx_lt_u32_e32 0xffffff, v32
	s_cbranch_execz .LBB275_459
; %bb.452:                              ;   in Loop: Header=BB275_11 Depth=1
	v_lshrrev_b32_e32 v33, 24, v32
	v_dual_mov_b32 v29, s3 :: v_dual_mov_b32 v28, s2
	s_mov_b32 s20, exec_lo
	s_delay_alu instid0(VALU_DEP_2)
	v_cmpx_ne_u32_e32 0x80, v33
	s_cbranch_execz .LBB275_458
; %bb.453:                              ;   in Loop: Header=BB275_11 Depth=1
	s_mov_b32 s8, s2
	v_bfe_u32 v32, v32, 24, 7
	v_dual_mov_b32 v29, s9 :: v_dual_mov_b32 v28, s8
	s_mov_b32 s8, exec_lo
	s_delay_alu instid0(VALU_DEP_2)
	v_cmpx_ne_u32_e32 0x7f, v32
	s_cbranch_execz .LBB275_457
; %bb.454:                              ;   in Loop: Header=BB275_11 Depth=1
	v_and_b32_e32 v166, 7, v33
	v_lshrrev_b32_e32 v28, 3, v32
	s_mov_b32 s21, exec_lo
	v_cmpx_gt_u32_e32 8, v32
; %bb.455:                              ;   in Loop: Header=BB275_11 Depth=1
	s_delay_alu instid0(VALU_DEP_3) | instskip(NEXT) | instid1(VALU_DEP_1)
	v_clz_i32_u32_e32 v28, v166
	v_min_u32_e32 v28, 32, v28
	s_delay_alu instid0(VALU_DEP_1) | instskip(SKIP_1) | instid1(VALU_DEP_2)
	v_subrev_nc_u32_e32 v29, 28, v28
	v_sub_nc_u32_e32 v28, 29, v28
	v_lshlrev_b64 v[34:35], v29, v[166:167]
	s_delay_alu instid0(VALU_DEP_1)
	v_and_b32_e32 v166, 7, v34
; %bb.456:                              ;   in Loop: Header=BB275_11 Depth=1
	s_or_b32 exec_lo, exec_lo, s21
	v_lshlrev_b32_e32 v29, 24, v33
	s_delay_alu instid0(VALU_DEP_2) | instskip(SKIP_1) | instid1(VALU_DEP_3)
	v_lshlrev_b32_e32 v32, 20, v166
	v_lshl_add_u32 v28, v28, 23, 0x3c000000
	v_and_b32_e32 v29, 0x80000000, v29
	s_delay_alu instid0(VALU_DEP_1)
	v_or3_b32 v29, v32, v29, v28
	v_mov_b32_e32 v28, v167
.LBB275_457:                            ;   in Loop: Header=BB275_11 Depth=1
	s_or_b32 exec_lo, exec_lo, s8
.LBB275_458:                            ;   in Loop: Header=BB275_11 Depth=1
	s_delay_alu instid0(SALU_CYCLE_1)
	s_or_b32 exec_lo, exec_lo, s20
.LBB275_459:                            ;   in Loop: Header=BB275_11 Depth=1
	s_delay_alu instid0(SALU_CYCLE_1)
	s_or_b32 exec_lo, exec_lo, s19
	flat_load_b32 v48, v[60:61] offset:1544
	v_mov_b32_e32 v32, 0
	v_mov_b32_e32 v33, 0
	s_mov_b32 s8, exec_lo
	s_waitcnt vmcnt(0) lgkmcnt(0)
	s_delay_alu instid0(VALU_DEP_1) | instskip(SKIP_1) | instid1(VALU_DEP_2)
	v_dual_mov_b32 v35, v33 :: v_dual_and_b32 v36, 0xff, v48
	v_mov_b32_e32 v34, v32
	v_cmpx_ne_u16_e32 0, v36
	s_cbranch_execz .LBB275_467
; %bb.460:                              ;   in Loop: Header=BB275_11 Depth=1
	v_bfrev_b32_e32 v34, 1
	v_mov_b32_e32 v35, 0
	s_mov_b32 s19, exec_lo
	v_cmpx_ne_u16_e32 0x80, v36
	s_cbranch_execz .LBB275_466
; %bb.461:                              ;   in Loop: Header=BB275_11 Depth=1
	v_mov_b32_e32 v34, 0x7f800001
	v_dual_mov_b32 v35, 0 :: v_dual_and_b32 v36, 0x7f, v48
	s_mov_b32 s20, exec_lo
	s_delay_alu instid0(VALU_DEP_1)
	v_cmpx_ne_u32_e32 0x7f, v36
	s_cbranch_execz .LBB275_465
; %bb.462:                              ;   in Loop: Header=BB275_11 Depth=1
	v_and_b32_e32 v166, 7, v48
	v_lshrrev_b32_e32 v34, 3, v36
	s_mov_b32 s21, exec_lo
	v_cmpx_gt_u32_e32 8, v36
; %bb.463:                              ;   in Loop: Header=BB275_11 Depth=1
	s_delay_alu instid0(VALU_DEP_3) | instskip(NEXT) | instid1(VALU_DEP_1)
	v_clz_i32_u32_e32 v34, v166
	v_min_u32_e32 v34, 32, v34
	s_delay_alu instid0(VALU_DEP_1) | instskip(SKIP_1) | instid1(VALU_DEP_2)
	v_subrev_nc_u32_e32 v35, 28, v34
	v_sub_nc_u32_e32 v34, 29, v34
	v_lshlrev_b64 v[35:36], v35, v[166:167]
	s_delay_alu instid0(VALU_DEP_1)
	v_and_b32_e32 v166, 7, v35
; %bb.464:                              ;   in Loop: Header=BB275_11 Depth=1
	s_or_b32 exec_lo, exec_lo, s21
	v_lshlrev_b32_e32 v35, 24, v48
	s_delay_alu instid0(VALU_DEP_2) | instskip(SKIP_1) | instid1(VALU_DEP_3)
	v_lshlrev_b32_e32 v36, 20, v166
	v_lshl_add_u32 v34, v34, 23, 0x3c000000
	v_and_b32_e32 v35, 0x80000000, v35
	s_delay_alu instid0(VALU_DEP_1) | instskip(NEXT) | instid1(VALU_DEP_1)
	v_or3_b32 v166, v36, v35, v34
	v_dual_mov_b32 v34, v166 :: v_dual_mov_b32 v35, v167
.LBB275_465:                            ;   in Loop: Header=BB275_11 Depth=1
	s_or_b32 exec_lo, exec_lo, s20
.LBB275_466:                            ;   in Loop: Header=BB275_11 Depth=1
	s_delay_alu instid0(SALU_CYCLE_1)
	s_or_b32 exec_lo, exec_lo, s19
.LBB275_467:                            ;   in Loop: Header=BB275_11 Depth=1
	s_delay_alu instid0(SALU_CYCLE_1) | instskip(SKIP_2) | instid1(VALU_DEP_1)
	s_or_b32 exec_lo, exec_lo, s8
	v_lshrrev_b16 v36, 8, v48
	s_mov_b32 s19, exec_lo
	v_cmpx_ne_u16_e32 0, v36
	s_cbranch_execz .LBB275_475
; %bb.468:                              ;   in Loop: Header=BB275_11 Depth=1
	v_dual_mov_b32 v33, s3 :: v_dual_mov_b32 v32, s2
	s_mov_b32 s20, exec_lo
	v_cmpx_ne_u16_e32 0x80, v36
	s_cbranch_execz .LBB275_474
; %bb.469:                              ;   in Loop: Header=BB275_11 Depth=1
	s_mov_b32 s8, s2
	v_and_b32_e32 v37, 0xffff, v36
	v_dual_mov_b32 v33, s9 :: v_dual_mov_b32 v32, s8
	s_mov_b32 s8, exec_lo
	s_delay_alu instid0(VALU_DEP_2) | instskip(NEXT) | instid1(VALU_DEP_1)
	v_and_b32_e32 v36, 0x7f, v37
	v_cmpx_ne_u32_e32 0x7f, v36
	s_cbranch_execz .LBB275_473
; %bb.470:                              ;   in Loop: Header=BB275_11 Depth=1
	v_and_b32_e32 v166, 7, v37
	v_lshrrev_b32_e32 v32, 3, v36
	s_mov_b32 s21, exec_lo
	v_cmpx_gt_u32_e32 8, v36
; %bb.471:                              ;   in Loop: Header=BB275_11 Depth=1
	s_delay_alu instid0(VALU_DEP_3) | instskip(NEXT) | instid1(VALU_DEP_1)
	v_clz_i32_u32_e32 v32, v166
	v_min_u32_e32 v32, 32, v32
	s_delay_alu instid0(VALU_DEP_1) | instskip(SKIP_1) | instid1(VALU_DEP_2)
	v_subrev_nc_u32_e32 v33, 28, v32
	v_sub_nc_u32_e32 v32, 29, v32
	v_lshlrev_b64 v[36:37], v33, v[166:167]
	s_delay_alu instid0(VALU_DEP_1)
	v_and_b32_e32 v166, 7, v36
; %bb.472:                              ;   in Loop: Header=BB275_11 Depth=1
	s_or_b32 exec_lo, exec_lo, s21
	v_lshlrev_b32_e32 v33, 16, v48
	s_delay_alu instid0(VALU_DEP_2) | instskip(SKIP_1) | instid1(VALU_DEP_3)
	v_lshlrev_b32_e32 v36, 20, v166
	v_lshl_add_u32 v32, v32, 23, 0x3c000000
	v_and_b32_e32 v33, 0x80000000, v33
	s_delay_alu instid0(VALU_DEP_1)
	v_or3_b32 v33, v36, v33, v32
	v_mov_b32_e32 v32, v167
.LBB275_473:                            ;   in Loop: Header=BB275_11 Depth=1
	s_or_b32 exec_lo, exec_lo, s8
.LBB275_474:                            ;   in Loop: Header=BB275_11 Depth=1
	s_delay_alu instid0(SALU_CYCLE_1)
	s_or_b32 exec_lo, exec_lo, s20
.LBB275_475:                            ;   in Loop: Header=BB275_11 Depth=1
	s_delay_alu instid0(SALU_CYCLE_1) | instskip(SKIP_4) | instid1(VALU_DEP_1)
	s_or_b32 exec_lo, exec_lo, s19
	v_mov_b32_e32 v36, 0
	v_lshrrev_b32_e32 v49, 16, v48
	v_mov_b32_e32 v37, 0
	s_mov_b32 s8, exec_lo
	v_dual_mov_b32 v39, v37 :: v_dual_and_b32 v50, 0xff, v49
	v_mov_b32_e32 v38, v36
	s_delay_alu instid0(VALU_DEP_2)
	v_cmpx_ne_u16_e32 0, v50
	s_cbranch_execz .LBB275_483
; %bb.476:                              ;   in Loop: Header=BB275_11 Depth=1
	v_bfrev_b32_e32 v38, 1
	v_mov_b32_e32 v39, 0
	s_mov_b32 s19, exec_lo
	v_cmpx_ne_u16_e32 0x80, v50
	s_cbranch_execz .LBB275_482
; %bb.477:                              ;   in Loop: Header=BB275_11 Depth=1
	v_mov_b32_e32 v38, 0x7f800001
	v_bfe_u32 v50, v48, 16, 7
	v_mov_b32_e32 v39, 0
	s_mov_b32 s20, exec_lo
	s_delay_alu instid0(VALU_DEP_2)
	v_cmpx_ne_u32_e32 0x7f, v50
	s_cbranch_execz .LBB275_481
; %bb.478:                              ;   in Loop: Header=BB275_11 Depth=1
	v_and_b32_e32 v166, 7, v49
	v_lshrrev_b32_e32 v38, 3, v50
	s_mov_b32 s21, exec_lo
	v_cmpx_gt_u32_e32 8, v50
; %bb.479:                              ;   in Loop: Header=BB275_11 Depth=1
	s_delay_alu instid0(VALU_DEP_3) | instskip(NEXT) | instid1(VALU_DEP_1)
	v_clz_i32_u32_e32 v38, v166
	v_min_u32_e32 v38, 32, v38
	s_delay_alu instid0(VALU_DEP_1) | instskip(SKIP_1) | instid1(VALU_DEP_2)
	v_subrev_nc_u32_e32 v39, 28, v38
	v_sub_nc_u32_e32 v38, 29, v38
	v_lshlrev_b64 v[50:51], v39, v[166:167]
	s_delay_alu instid0(VALU_DEP_1)
	v_and_b32_e32 v166, 7, v50
; %bb.480:                              ;   in Loop: Header=BB275_11 Depth=1
	s_or_b32 exec_lo, exec_lo, s21
	v_lshlrev_b32_e32 v39, 24, v49
	s_delay_alu instid0(VALU_DEP_2) | instskip(SKIP_1) | instid1(VALU_DEP_3)
	v_lshlrev_b32_e32 v49, 20, v166
	v_lshl_add_u32 v38, v38, 23, 0x3c000000
	v_and_b32_e32 v39, 0x80000000, v39
	s_delay_alu instid0(VALU_DEP_1) | instskip(NEXT) | instid1(VALU_DEP_1)
	v_or3_b32 v166, v49, v39, v38
	v_dual_mov_b32 v38, v166 :: v_dual_mov_b32 v39, v167
.LBB275_481:                            ;   in Loop: Header=BB275_11 Depth=1
	s_or_b32 exec_lo, exec_lo, s20
.LBB275_482:                            ;   in Loop: Header=BB275_11 Depth=1
	s_delay_alu instid0(SALU_CYCLE_1)
	s_or_b32 exec_lo, exec_lo, s19
.LBB275_483:                            ;   in Loop: Header=BB275_11 Depth=1
	s_delay_alu instid0(SALU_CYCLE_1) | instskip(NEXT) | instid1(SALU_CYCLE_1)
	s_or_b32 exec_lo, exec_lo, s8
	s_mov_b32 s19, exec_lo
	v_cmpx_lt_u32_e32 0xffffff, v48
	s_cbranch_execz .LBB275_491
; %bb.484:                              ;   in Loop: Header=BB275_11 Depth=1
	v_lshrrev_b32_e32 v49, 24, v48
	v_dual_mov_b32 v37, s3 :: v_dual_mov_b32 v36, s2
	s_mov_b32 s20, exec_lo
	s_delay_alu instid0(VALU_DEP_2)
	v_cmpx_ne_u32_e32 0x80, v49
	s_cbranch_execz .LBB275_490
; %bb.485:                              ;   in Loop: Header=BB275_11 Depth=1
	s_mov_b32 s8, s2
	v_bfe_u32 v48, v48, 24, 7
	v_dual_mov_b32 v37, s9 :: v_dual_mov_b32 v36, s8
	s_mov_b32 s8, exec_lo
	s_delay_alu instid0(VALU_DEP_2)
	v_cmpx_ne_u32_e32 0x7f, v48
	s_cbranch_execz .LBB275_489
; %bb.486:                              ;   in Loop: Header=BB275_11 Depth=1
	v_and_b32_e32 v166, 7, v49
	v_lshrrev_b32_e32 v36, 3, v48
	s_mov_b32 s21, exec_lo
	v_cmpx_gt_u32_e32 8, v48
; %bb.487:                              ;   in Loop: Header=BB275_11 Depth=1
	s_delay_alu instid0(VALU_DEP_3) | instskip(NEXT) | instid1(VALU_DEP_1)
	v_clz_i32_u32_e32 v36, v166
	v_min_u32_e32 v36, 32, v36
	s_delay_alu instid0(VALU_DEP_1) | instskip(SKIP_1) | instid1(VALU_DEP_2)
	v_subrev_nc_u32_e32 v37, 28, v36
	v_sub_nc_u32_e32 v36, 29, v36
	v_lshlrev_b64 v[50:51], v37, v[166:167]
	s_delay_alu instid0(VALU_DEP_1)
	v_and_b32_e32 v166, 7, v50
; %bb.488:                              ;   in Loop: Header=BB275_11 Depth=1
	s_or_b32 exec_lo, exec_lo, s21
	v_lshlrev_b32_e32 v37, 24, v49
	s_delay_alu instid0(VALU_DEP_2) | instskip(SKIP_1) | instid1(VALU_DEP_3)
	v_lshlrev_b32_e32 v48, 20, v166
	v_lshl_add_u32 v36, v36, 23, 0x3c000000
	v_and_b32_e32 v37, 0x80000000, v37
	s_delay_alu instid0(VALU_DEP_1)
	v_or3_b32 v37, v48, v37, v36
	v_mov_b32_e32 v36, v167
.LBB275_489:                            ;   in Loop: Header=BB275_11 Depth=1
	s_or_b32 exec_lo, exec_lo, s8
.LBB275_490:                            ;   in Loop: Header=BB275_11 Depth=1
	s_delay_alu instid0(SALU_CYCLE_1)
	s_or_b32 exec_lo, exec_lo, s20
.LBB275_491:                            ;   in Loop: Header=BB275_11 Depth=1
	s_delay_alu instid0(SALU_CYCLE_1)
	s_or_b32 exec_lo, exec_lo, s19
	flat_load_b32 v64, v[60:61] offset:1548
	v_mov_b32_e32 v48, 0
	v_mov_b32_e32 v49, 0
	s_mov_b32 s8, exec_lo
	s_waitcnt vmcnt(0) lgkmcnt(0)
	s_delay_alu instid0(VALU_DEP_1) | instskip(SKIP_1) | instid1(VALU_DEP_2)
	v_dual_mov_b32 v51, v49 :: v_dual_and_b32 v52, 0xff, v64
	v_mov_b32_e32 v50, v48
	v_cmpx_ne_u16_e32 0, v52
	s_cbranch_execz .LBB275_499
; %bb.492:                              ;   in Loop: Header=BB275_11 Depth=1
	v_bfrev_b32_e32 v50, 1
	v_mov_b32_e32 v51, 0
	s_mov_b32 s19, exec_lo
	v_cmpx_ne_u16_e32 0x80, v52
	s_cbranch_execz .LBB275_498
; %bb.493:                              ;   in Loop: Header=BB275_11 Depth=1
	v_mov_b32_e32 v50, 0x7f800001
	v_dual_mov_b32 v51, 0 :: v_dual_and_b32 v52, 0x7f, v64
	s_mov_b32 s20, exec_lo
	s_delay_alu instid0(VALU_DEP_1)
	v_cmpx_ne_u32_e32 0x7f, v52
	s_cbranch_execz .LBB275_497
; %bb.494:                              ;   in Loop: Header=BB275_11 Depth=1
	v_and_b32_e32 v166, 7, v64
	v_lshrrev_b32_e32 v50, 3, v52
	s_mov_b32 s21, exec_lo
	v_cmpx_gt_u32_e32 8, v52
; %bb.495:                              ;   in Loop: Header=BB275_11 Depth=1
	s_delay_alu instid0(VALU_DEP_3) | instskip(NEXT) | instid1(VALU_DEP_1)
	v_clz_i32_u32_e32 v50, v166
	v_min_u32_e32 v50, 32, v50
	s_delay_alu instid0(VALU_DEP_1) | instskip(SKIP_1) | instid1(VALU_DEP_2)
	v_subrev_nc_u32_e32 v51, 28, v50
	v_sub_nc_u32_e32 v50, 29, v50
	v_lshlrev_b64 v[51:52], v51, v[166:167]
	s_delay_alu instid0(VALU_DEP_1)
	v_and_b32_e32 v166, 7, v51
; %bb.496:                              ;   in Loop: Header=BB275_11 Depth=1
	s_or_b32 exec_lo, exec_lo, s21
	v_lshlrev_b32_e32 v51, 24, v64
	s_delay_alu instid0(VALU_DEP_2) | instskip(SKIP_1) | instid1(VALU_DEP_3)
	v_lshlrev_b32_e32 v52, 20, v166
	v_lshl_add_u32 v50, v50, 23, 0x3c000000
	v_and_b32_e32 v51, 0x80000000, v51
	s_delay_alu instid0(VALU_DEP_1) | instskip(NEXT) | instid1(VALU_DEP_1)
	v_or3_b32 v166, v52, v51, v50
	v_dual_mov_b32 v50, v166 :: v_dual_mov_b32 v51, v167
.LBB275_497:                            ;   in Loop: Header=BB275_11 Depth=1
	s_or_b32 exec_lo, exec_lo, s20
.LBB275_498:                            ;   in Loop: Header=BB275_11 Depth=1
	s_delay_alu instid0(SALU_CYCLE_1)
	s_or_b32 exec_lo, exec_lo, s19
.LBB275_499:                            ;   in Loop: Header=BB275_11 Depth=1
	s_delay_alu instid0(SALU_CYCLE_1) | instskip(SKIP_2) | instid1(VALU_DEP_1)
	s_or_b32 exec_lo, exec_lo, s8
	v_lshrrev_b16 v52, 8, v64
	s_mov_b32 s19, exec_lo
	v_cmpx_ne_u16_e32 0, v52
	s_cbranch_execz .LBB275_507
; %bb.500:                              ;   in Loop: Header=BB275_11 Depth=1
	v_dual_mov_b32 v49, s3 :: v_dual_mov_b32 v48, s2
	s_mov_b32 s20, exec_lo
	v_cmpx_ne_u16_e32 0x80, v52
	s_cbranch_execz .LBB275_506
; %bb.501:                              ;   in Loop: Header=BB275_11 Depth=1
	s_mov_b32 s8, s2
	v_and_b32_e32 v53, 0xffff, v52
	v_dual_mov_b32 v49, s9 :: v_dual_mov_b32 v48, s8
	s_mov_b32 s8, exec_lo
	s_delay_alu instid0(VALU_DEP_2) | instskip(NEXT) | instid1(VALU_DEP_1)
	v_and_b32_e32 v52, 0x7f, v53
	v_cmpx_ne_u32_e32 0x7f, v52
	s_cbranch_execz .LBB275_505
; %bb.502:                              ;   in Loop: Header=BB275_11 Depth=1
	v_and_b32_e32 v166, 7, v53
	v_lshrrev_b32_e32 v48, 3, v52
	s_mov_b32 s21, exec_lo
	v_cmpx_gt_u32_e32 8, v52
; %bb.503:                              ;   in Loop: Header=BB275_11 Depth=1
	s_delay_alu instid0(VALU_DEP_3) | instskip(NEXT) | instid1(VALU_DEP_1)
	v_clz_i32_u32_e32 v48, v166
	v_min_u32_e32 v48, 32, v48
	s_delay_alu instid0(VALU_DEP_1) | instskip(SKIP_1) | instid1(VALU_DEP_2)
	v_subrev_nc_u32_e32 v49, 28, v48
	v_sub_nc_u32_e32 v48, 29, v48
	v_lshlrev_b64 v[52:53], v49, v[166:167]
	s_delay_alu instid0(VALU_DEP_1)
	v_and_b32_e32 v166, 7, v52
; %bb.504:                              ;   in Loop: Header=BB275_11 Depth=1
	s_or_b32 exec_lo, exec_lo, s21
	v_lshlrev_b32_e32 v49, 16, v64
	s_delay_alu instid0(VALU_DEP_2) | instskip(SKIP_1) | instid1(VALU_DEP_3)
	v_lshlrev_b32_e32 v52, 20, v166
	v_lshl_add_u32 v48, v48, 23, 0x3c000000
	v_and_b32_e32 v49, 0x80000000, v49
	s_delay_alu instid0(VALU_DEP_1)
	v_or3_b32 v49, v52, v49, v48
	v_mov_b32_e32 v48, v167
.LBB275_505:                            ;   in Loop: Header=BB275_11 Depth=1
	s_or_b32 exec_lo, exec_lo, s8
.LBB275_506:                            ;   in Loop: Header=BB275_11 Depth=1
	s_delay_alu instid0(SALU_CYCLE_1)
	s_or_b32 exec_lo, exec_lo, s20
.LBB275_507:                            ;   in Loop: Header=BB275_11 Depth=1
	s_delay_alu instid0(SALU_CYCLE_1) | instskip(SKIP_4) | instid1(VALU_DEP_1)
	s_or_b32 exec_lo, exec_lo, s19
	v_mov_b32_e32 v52, 0
	v_lshrrev_b32_e32 v65, 16, v64
	v_mov_b32_e32 v53, 0
	s_mov_b32 s8, exec_lo
	v_dual_mov_b32 v55, v53 :: v_dual_and_b32 v66, 0xff, v65
	v_mov_b32_e32 v54, v52
	s_delay_alu instid0(VALU_DEP_2)
	v_cmpx_ne_u16_e32 0, v66
	s_cbranch_execz .LBB275_515
; %bb.508:                              ;   in Loop: Header=BB275_11 Depth=1
	v_bfrev_b32_e32 v54, 1
	v_mov_b32_e32 v55, 0
	s_mov_b32 s19, exec_lo
	v_cmpx_ne_u16_e32 0x80, v66
	s_cbranch_execz .LBB275_514
; %bb.509:                              ;   in Loop: Header=BB275_11 Depth=1
	v_mov_b32_e32 v54, 0x7f800001
	v_bfe_u32 v66, v64, 16, 7
	v_mov_b32_e32 v55, 0
	s_mov_b32 s20, exec_lo
	s_delay_alu instid0(VALU_DEP_2)
	v_cmpx_ne_u32_e32 0x7f, v66
	s_cbranch_execz .LBB275_513
; %bb.510:                              ;   in Loop: Header=BB275_11 Depth=1
	v_and_b32_e32 v166, 7, v65
	v_lshrrev_b32_e32 v54, 3, v66
	s_mov_b32 s21, exec_lo
	v_cmpx_gt_u32_e32 8, v66
; %bb.511:                              ;   in Loop: Header=BB275_11 Depth=1
	s_delay_alu instid0(VALU_DEP_3) | instskip(NEXT) | instid1(VALU_DEP_1)
	v_clz_i32_u32_e32 v54, v166
	v_min_u32_e32 v54, 32, v54
	s_delay_alu instid0(VALU_DEP_1) | instskip(SKIP_1) | instid1(VALU_DEP_2)
	v_subrev_nc_u32_e32 v55, 28, v54
	v_sub_nc_u32_e32 v54, 29, v54
	v_lshlrev_b64 v[66:67], v55, v[166:167]
	s_delay_alu instid0(VALU_DEP_1)
	v_and_b32_e32 v166, 7, v66
; %bb.512:                              ;   in Loop: Header=BB275_11 Depth=1
	s_or_b32 exec_lo, exec_lo, s21
	v_lshlrev_b32_e32 v55, 24, v65
	s_delay_alu instid0(VALU_DEP_2) | instskip(SKIP_1) | instid1(VALU_DEP_3)
	v_lshlrev_b32_e32 v65, 20, v166
	v_lshl_add_u32 v54, v54, 23, 0x3c000000
	v_and_b32_e32 v55, 0x80000000, v55
	s_delay_alu instid0(VALU_DEP_1) | instskip(NEXT) | instid1(VALU_DEP_1)
	v_or3_b32 v166, v65, v55, v54
	v_dual_mov_b32 v54, v166 :: v_dual_mov_b32 v55, v167
.LBB275_513:                            ;   in Loop: Header=BB275_11 Depth=1
	s_or_b32 exec_lo, exec_lo, s20
.LBB275_514:                            ;   in Loop: Header=BB275_11 Depth=1
	s_delay_alu instid0(SALU_CYCLE_1)
	s_or_b32 exec_lo, exec_lo, s19
.LBB275_515:                            ;   in Loop: Header=BB275_11 Depth=1
	s_delay_alu instid0(SALU_CYCLE_1) | instskip(NEXT) | instid1(SALU_CYCLE_1)
	s_or_b32 exec_lo, exec_lo, s8
	s_mov_b32 s19, exec_lo
	v_cmpx_lt_u32_e32 0xffffff, v64
	s_cbranch_execz .LBB275_523
; %bb.516:                              ;   in Loop: Header=BB275_11 Depth=1
	v_lshrrev_b32_e32 v65, 24, v64
	v_dual_mov_b32 v53, s3 :: v_dual_mov_b32 v52, s2
	s_mov_b32 s20, exec_lo
	s_delay_alu instid0(VALU_DEP_2)
	v_cmpx_ne_u32_e32 0x80, v65
	s_cbranch_execz .LBB275_522
; %bb.517:                              ;   in Loop: Header=BB275_11 Depth=1
	s_mov_b32 s8, s2
	v_bfe_u32 v64, v64, 24, 7
	v_dual_mov_b32 v53, s9 :: v_dual_mov_b32 v52, s8
	s_mov_b32 s8, exec_lo
	s_delay_alu instid0(VALU_DEP_2)
	v_cmpx_ne_u32_e32 0x7f, v64
	s_cbranch_execz .LBB275_521
; %bb.518:                              ;   in Loop: Header=BB275_11 Depth=1
	v_and_b32_e32 v166, 7, v65
	v_lshrrev_b32_e32 v52, 3, v64
	s_mov_b32 s21, exec_lo
	v_cmpx_gt_u32_e32 8, v64
; %bb.519:                              ;   in Loop: Header=BB275_11 Depth=1
	s_delay_alu instid0(VALU_DEP_3) | instskip(NEXT) | instid1(VALU_DEP_1)
	v_clz_i32_u32_e32 v52, v166
	v_min_u32_e32 v52, 32, v52
	s_delay_alu instid0(VALU_DEP_1) | instskip(SKIP_1) | instid1(VALU_DEP_2)
	v_subrev_nc_u32_e32 v53, 28, v52
	v_sub_nc_u32_e32 v52, 29, v52
	v_lshlrev_b64 v[66:67], v53, v[166:167]
	s_delay_alu instid0(VALU_DEP_1)
	v_and_b32_e32 v166, 7, v66
; %bb.520:                              ;   in Loop: Header=BB275_11 Depth=1
	s_or_b32 exec_lo, exec_lo, s21
	v_lshlrev_b32_e32 v53, 24, v65
	s_delay_alu instid0(VALU_DEP_2) | instskip(SKIP_1) | instid1(VALU_DEP_3)
	v_lshlrev_b32_e32 v64, 20, v166
	v_lshl_add_u32 v52, v52, 23, 0x3c000000
	v_and_b32_e32 v53, 0x80000000, v53
	s_delay_alu instid0(VALU_DEP_1)
	v_or3_b32 v53, v64, v53, v52
	v_mov_b32_e32 v52, v167
.LBB275_521:                            ;   in Loop: Header=BB275_11 Depth=1
	s_or_b32 exec_lo, exec_lo, s8
.LBB275_522:                            ;   in Loop: Header=BB275_11 Depth=1
	s_delay_alu instid0(SALU_CYCLE_1)
	s_or_b32 exec_lo, exec_lo, s20
.LBB275_523:                            ;   in Loop: Header=BB275_11 Depth=1
	s_delay_alu instid0(SALU_CYCLE_1)
	s_or_b32 exec_lo, exec_lo, s19
	flat_load_b32 v80, v[60:61] offset:2048
	v_mov_b32_e32 v64, 0
	v_mov_b32_e32 v65, 0
	s_mov_b32 s8, exec_lo
	s_waitcnt vmcnt(0) lgkmcnt(0)
	s_delay_alu instid0(VALU_DEP_1) | instskip(SKIP_1) | instid1(VALU_DEP_2)
	v_dual_mov_b32 v67, v65 :: v_dual_and_b32 v68, 0xff, v80
	v_mov_b32_e32 v66, v64
	v_cmpx_ne_u16_e32 0, v68
	s_cbranch_execz .LBB275_531
; %bb.524:                              ;   in Loop: Header=BB275_11 Depth=1
	v_bfrev_b32_e32 v66, 1
	v_mov_b32_e32 v67, 0
	s_mov_b32 s19, exec_lo
	v_cmpx_ne_u16_e32 0x80, v68
	s_cbranch_execz .LBB275_530
; %bb.525:                              ;   in Loop: Header=BB275_11 Depth=1
	v_mov_b32_e32 v66, 0x7f800001
	v_dual_mov_b32 v67, 0 :: v_dual_and_b32 v68, 0x7f, v80
	s_mov_b32 s20, exec_lo
	s_delay_alu instid0(VALU_DEP_1)
	v_cmpx_ne_u32_e32 0x7f, v68
	s_cbranch_execz .LBB275_529
; %bb.526:                              ;   in Loop: Header=BB275_11 Depth=1
	v_and_b32_e32 v166, 7, v80
	v_lshrrev_b32_e32 v66, 3, v68
	s_mov_b32 s21, exec_lo
	v_cmpx_gt_u32_e32 8, v68
; %bb.527:                              ;   in Loop: Header=BB275_11 Depth=1
	s_delay_alu instid0(VALU_DEP_3) | instskip(NEXT) | instid1(VALU_DEP_1)
	v_clz_i32_u32_e32 v66, v166
	v_min_u32_e32 v66, 32, v66
	s_delay_alu instid0(VALU_DEP_1) | instskip(SKIP_1) | instid1(VALU_DEP_2)
	v_subrev_nc_u32_e32 v67, 28, v66
	v_sub_nc_u32_e32 v66, 29, v66
	v_lshlrev_b64 v[67:68], v67, v[166:167]
	s_delay_alu instid0(VALU_DEP_1)
	v_and_b32_e32 v166, 7, v67
; %bb.528:                              ;   in Loop: Header=BB275_11 Depth=1
	s_or_b32 exec_lo, exec_lo, s21
	v_lshlrev_b32_e32 v67, 24, v80
	s_delay_alu instid0(VALU_DEP_2) | instskip(SKIP_1) | instid1(VALU_DEP_3)
	v_lshlrev_b32_e32 v68, 20, v166
	v_lshl_add_u32 v66, v66, 23, 0x3c000000
	v_and_b32_e32 v67, 0x80000000, v67
	s_delay_alu instid0(VALU_DEP_1) | instskip(NEXT) | instid1(VALU_DEP_1)
	v_or3_b32 v166, v68, v67, v66
	v_dual_mov_b32 v66, v166 :: v_dual_mov_b32 v67, v167
.LBB275_529:                            ;   in Loop: Header=BB275_11 Depth=1
	s_or_b32 exec_lo, exec_lo, s20
.LBB275_530:                            ;   in Loop: Header=BB275_11 Depth=1
	s_delay_alu instid0(SALU_CYCLE_1)
	s_or_b32 exec_lo, exec_lo, s19
.LBB275_531:                            ;   in Loop: Header=BB275_11 Depth=1
	s_delay_alu instid0(SALU_CYCLE_1) | instskip(SKIP_2) | instid1(VALU_DEP_1)
	s_or_b32 exec_lo, exec_lo, s8
	v_lshrrev_b16 v68, 8, v80
	s_mov_b32 s19, exec_lo
	v_cmpx_ne_u16_e32 0, v68
	s_cbranch_execz .LBB275_539
; %bb.532:                              ;   in Loop: Header=BB275_11 Depth=1
	v_dual_mov_b32 v65, s3 :: v_dual_mov_b32 v64, s2
	s_mov_b32 s20, exec_lo
	v_cmpx_ne_u16_e32 0x80, v68
	s_cbranch_execz .LBB275_538
; %bb.533:                              ;   in Loop: Header=BB275_11 Depth=1
	s_mov_b32 s8, s2
	v_and_b32_e32 v69, 0xffff, v68
	v_dual_mov_b32 v65, s9 :: v_dual_mov_b32 v64, s8
	s_mov_b32 s8, exec_lo
	s_delay_alu instid0(VALU_DEP_2) | instskip(NEXT) | instid1(VALU_DEP_1)
	v_and_b32_e32 v68, 0x7f, v69
	v_cmpx_ne_u32_e32 0x7f, v68
	s_cbranch_execz .LBB275_537
; %bb.534:                              ;   in Loop: Header=BB275_11 Depth=1
	v_and_b32_e32 v166, 7, v69
	v_lshrrev_b32_e32 v64, 3, v68
	s_mov_b32 s21, exec_lo
	v_cmpx_gt_u32_e32 8, v68
; %bb.535:                              ;   in Loop: Header=BB275_11 Depth=1
	s_delay_alu instid0(VALU_DEP_3) | instskip(NEXT) | instid1(VALU_DEP_1)
	v_clz_i32_u32_e32 v64, v166
	v_min_u32_e32 v64, 32, v64
	s_delay_alu instid0(VALU_DEP_1) | instskip(SKIP_1) | instid1(VALU_DEP_2)
	v_subrev_nc_u32_e32 v65, 28, v64
	v_sub_nc_u32_e32 v64, 29, v64
	v_lshlrev_b64 v[68:69], v65, v[166:167]
	s_delay_alu instid0(VALU_DEP_1)
	v_and_b32_e32 v166, 7, v68
; %bb.536:                              ;   in Loop: Header=BB275_11 Depth=1
	s_or_b32 exec_lo, exec_lo, s21
	v_lshlrev_b32_e32 v65, 16, v80
	s_delay_alu instid0(VALU_DEP_2) | instskip(SKIP_1) | instid1(VALU_DEP_3)
	v_lshlrev_b32_e32 v68, 20, v166
	v_lshl_add_u32 v64, v64, 23, 0x3c000000
	v_and_b32_e32 v65, 0x80000000, v65
	s_delay_alu instid0(VALU_DEP_1)
	v_or3_b32 v65, v68, v65, v64
	v_mov_b32_e32 v64, v167
.LBB275_537:                            ;   in Loop: Header=BB275_11 Depth=1
	s_or_b32 exec_lo, exec_lo, s8
.LBB275_538:                            ;   in Loop: Header=BB275_11 Depth=1
	s_delay_alu instid0(SALU_CYCLE_1)
	s_or_b32 exec_lo, exec_lo, s20
.LBB275_539:                            ;   in Loop: Header=BB275_11 Depth=1
	s_delay_alu instid0(SALU_CYCLE_1) | instskip(SKIP_4) | instid1(VALU_DEP_1)
	s_or_b32 exec_lo, exec_lo, s19
	v_mov_b32_e32 v68, 0
	v_lshrrev_b32_e32 v81, 16, v80
	v_mov_b32_e32 v69, 0
	s_mov_b32 s8, exec_lo
	v_dual_mov_b32 v71, v69 :: v_dual_and_b32 v82, 0xff, v81
	v_mov_b32_e32 v70, v68
	s_delay_alu instid0(VALU_DEP_2)
	v_cmpx_ne_u16_e32 0, v82
	s_cbranch_execz .LBB275_547
; %bb.540:                              ;   in Loop: Header=BB275_11 Depth=1
	v_bfrev_b32_e32 v70, 1
	v_mov_b32_e32 v71, 0
	s_mov_b32 s19, exec_lo
	v_cmpx_ne_u16_e32 0x80, v82
	s_cbranch_execz .LBB275_546
; %bb.541:                              ;   in Loop: Header=BB275_11 Depth=1
	v_mov_b32_e32 v70, 0x7f800001
	v_bfe_u32 v82, v80, 16, 7
	v_mov_b32_e32 v71, 0
	s_mov_b32 s20, exec_lo
	s_delay_alu instid0(VALU_DEP_2)
	v_cmpx_ne_u32_e32 0x7f, v82
	s_cbranch_execz .LBB275_545
; %bb.542:                              ;   in Loop: Header=BB275_11 Depth=1
	v_and_b32_e32 v166, 7, v81
	v_lshrrev_b32_e32 v70, 3, v82
	s_mov_b32 s21, exec_lo
	v_cmpx_gt_u32_e32 8, v82
; %bb.543:                              ;   in Loop: Header=BB275_11 Depth=1
	s_delay_alu instid0(VALU_DEP_3) | instskip(NEXT) | instid1(VALU_DEP_1)
	v_clz_i32_u32_e32 v70, v166
	v_min_u32_e32 v70, 32, v70
	s_delay_alu instid0(VALU_DEP_1) | instskip(SKIP_1) | instid1(VALU_DEP_2)
	v_subrev_nc_u32_e32 v71, 28, v70
	v_sub_nc_u32_e32 v70, 29, v70
	v_lshlrev_b64 v[82:83], v71, v[166:167]
	s_delay_alu instid0(VALU_DEP_1)
	v_and_b32_e32 v166, 7, v82
; %bb.544:                              ;   in Loop: Header=BB275_11 Depth=1
	s_or_b32 exec_lo, exec_lo, s21
	v_lshlrev_b32_e32 v71, 24, v81
	s_delay_alu instid0(VALU_DEP_2) | instskip(SKIP_1) | instid1(VALU_DEP_3)
	v_lshlrev_b32_e32 v81, 20, v166
	v_lshl_add_u32 v70, v70, 23, 0x3c000000
	v_and_b32_e32 v71, 0x80000000, v71
	s_delay_alu instid0(VALU_DEP_1) | instskip(NEXT) | instid1(VALU_DEP_1)
	v_or3_b32 v166, v81, v71, v70
	v_dual_mov_b32 v70, v166 :: v_dual_mov_b32 v71, v167
.LBB275_545:                            ;   in Loop: Header=BB275_11 Depth=1
	s_or_b32 exec_lo, exec_lo, s20
.LBB275_546:                            ;   in Loop: Header=BB275_11 Depth=1
	s_delay_alu instid0(SALU_CYCLE_1)
	s_or_b32 exec_lo, exec_lo, s19
.LBB275_547:                            ;   in Loop: Header=BB275_11 Depth=1
	s_delay_alu instid0(SALU_CYCLE_1) | instskip(NEXT) | instid1(SALU_CYCLE_1)
	s_or_b32 exec_lo, exec_lo, s8
	s_mov_b32 s19, exec_lo
	v_cmpx_lt_u32_e32 0xffffff, v80
	s_cbranch_execz .LBB275_555
; %bb.548:                              ;   in Loop: Header=BB275_11 Depth=1
	v_lshrrev_b32_e32 v81, 24, v80
	v_dual_mov_b32 v69, s3 :: v_dual_mov_b32 v68, s2
	s_mov_b32 s20, exec_lo
	s_delay_alu instid0(VALU_DEP_2)
	v_cmpx_ne_u32_e32 0x80, v81
	s_cbranch_execz .LBB275_554
; %bb.549:                              ;   in Loop: Header=BB275_11 Depth=1
	s_mov_b32 s8, s2
	v_bfe_u32 v80, v80, 24, 7
	v_dual_mov_b32 v69, s9 :: v_dual_mov_b32 v68, s8
	s_mov_b32 s8, exec_lo
	s_delay_alu instid0(VALU_DEP_2)
	v_cmpx_ne_u32_e32 0x7f, v80
	s_cbranch_execz .LBB275_553
; %bb.550:                              ;   in Loop: Header=BB275_11 Depth=1
	v_and_b32_e32 v166, 7, v81
	v_lshrrev_b32_e32 v68, 3, v80
	s_mov_b32 s21, exec_lo
	v_cmpx_gt_u32_e32 8, v80
; %bb.551:                              ;   in Loop: Header=BB275_11 Depth=1
	s_delay_alu instid0(VALU_DEP_3) | instskip(NEXT) | instid1(VALU_DEP_1)
	v_clz_i32_u32_e32 v68, v166
	v_min_u32_e32 v68, 32, v68
	s_delay_alu instid0(VALU_DEP_1) | instskip(SKIP_1) | instid1(VALU_DEP_2)
	v_subrev_nc_u32_e32 v69, 28, v68
	v_sub_nc_u32_e32 v68, 29, v68
	v_lshlrev_b64 v[82:83], v69, v[166:167]
	s_delay_alu instid0(VALU_DEP_1)
	v_and_b32_e32 v166, 7, v82
; %bb.552:                              ;   in Loop: Header=BB275_11 Depth=1
	s_or_b32 exec_lo, exec_lo, s21
	v_lshlrev_b32_e32 v69, 24, v81
	s_delay_alu instid0(VALU_DEP_2) | instskip(SKIP_1) | instid1(VALU_DEP_3)
	v_lshlrev_b32_e32 v80, 20, v166
	v_lshl_add_u32 v68, v68, 23, 0x3c000000
	v_and_b32_e32 v69, 0x80000000, v69
	s_delay_alu instid0(VALU_DEP_1)
	v_or3_b32 v69, v80, v69, v68
	v_mov_b32_e32 v68, v167
.LBB275_553:                            ;   in Loop: Header=BB275_11 Depth=1
	s_or_b32 exec_lo, exec_lo, s8
.LBB275_554:                            ;   in Loop: Header=BB275_11 Depth=1
	s_delay_alu instid0(SALU_CYCLE_1)
	s_or_b32 exec_lo, exec_lo, s20
.LBB275_555:                            ;   in Loop: Header=BB275_11 Depth=1
	s_delay_alu instid0(SALU_CYCLE_1)
	s_or_b32 exec_lo, exec_lo, s19
	flat_load_b32 v96, v[60:61] offset:2052
	v_mov_b32_e32 v80, 0
	v_mov_b32_e32 v81, 0
	s_mov_b32 s8, exec_lo
	s_waitcnt vmcnt(0) lgkmcnt(0)
	s_delay_alu instid0(VALU_DEP_1) | instskip(SKIP_1) | instid1(VALU_DEP_2)
	v_dual_mov_b32 v83, v81 :: v_dual_and_b32 v84, 0xff, v96
	v_mov_b32_e32 v82, v80
	v_cmpx_ne_u16_e32 0, v84
	s_cbranch_execz .LBB275_563
; %bb.556:                              ;   in Loop: Header=BB275_11 Depth=1
	v_bfrev_b32_e32 v82, 1
	v_mov_b32_e32 v83, 0
	s_mov_b32 s19, exec_lo
	v_cmpx_ne_u16_e32 0x80, v84
	s_cbranch_execz .LBB275_562
; %bb.557:                              ;   in Loop: Header=BB275_11 Depth=1
	v_mov_b32_e32 v82, 0x7f800001
	v_dual_mov_b32 v83, 0 :: v_dual_and_b32 v84, 0x7f, v96
	s_mov_b32 s20, exec_lo
	s_delay_alu instid0(VALU_DEP_1)
	v_cmpx_ne_u32_e32 0x7f, v84
	s_cbranch_execz .LBB275_561
; %bb.558:                              ;   in Loop: Header=BB275_11 Depth=1
	v_and_b32_e32 v166, 7, v96
	v_lshrrev_b32_e32 v82, 3, v84
	s_mov_b32 s21, exec_lo
	v_cmpx_gt_u32_e32 8, v84
; %bb.559:                              ;   in Loop: Header=BB275_11 Depth=1
	s_delay_alu instid0(VALU_DEP_3) | instskip(NEXT) | instid1(VALU_DEP_1)
	v_clz_i32_u32_e32 v82, v166
	v_min_u32_e32 v82, 32, v82
	s_delay_alu instid0(VALU_DEP_1) | instskip(SKIP_1) | instid1(VALU_DEP_2)
	v_subrev_nc_u32_e32 v83, 28, v82
	v_sub_nc_u32_e32 v82, 29, v82
	v_lshlrev_b64 v[83:84], v83, v[166:167]
	s_delay_alu instid0(VALU_DEP_1)
	v_and_b32_e32 v166, 7, v83
; %bb.560:                              ;   in Loop: Header=BB275_11 Depth=1
	s_or_b32 exec_lo, exec_lo, s21
	v_lshlrev_b32_e32 v83, 24, v96
	s_delay_alu instid0(VALU_DEP_2) | instskip(SKIP_1) | instid1(VALU_DEP_3)
	v_lshlrev_b32_e32 v84, 20, v166
	v_lshl_add_u32 v82, v82, 23, 0x3c000000
	v_and_b32_e32 v83, 0x80000000, v83
	s_delay_alu instid0(VALU_DEP_1) | instskip(NEXT) | instid1(VALU_DEP_1)
	v_or3_b32 v166, v84, v83, v82
	v_dual_mov_b32 v82, v166 :: v_dual_mov_b32 v83, v167
.LBB275_561:                            ;   in Loop: Header=BB275_11 Depth=1
	s_or_b32 exec_lo, exec_lo, s20
.LBB275_562:                            ;   in Loop: Header=BB275_11 Depth=1
	s_delay_alu instid0(SALU_CYCLE_1)
	s_or_b32 exec_lo, exec_lo, s19
.LBB275_563:                            ;   in Loop: Header=BB275_11 Depth=1
	s_delay_alu instid0(SALU_CYCLE_1) | instskip(SKIP_2) | instid1(VALU_DEP_1)
	s_or_b32 exec_lo, exec_lo, s8
	v_lshrrev_b16 v84, 8, v96
	s_mov_b32 s19, exec_lo
	v_cmpx_ne_u16_e32 0, v84
	s_cbranch_execz .LBB275_571
; %bb.564:                              ;   in Loop: Header=BB275_11 Depth=1
	v_dual_mov_b32 v81, s3 :: v_dual_mov_b32 v80, s2
	s_mov_b32 s20, exec_lo
	v_cmpx_ne_u16_e32 0x80, v84
	s_cbranch_execz .LBB275_570
; %bb.565:                              ;   in Loop: Header=BB275_11 Depth=1
	s_mov_b32 s8, s2
	v_and_b32_e32 v85, 0xffff, v84
	v_dual_mov_b32 v81, s9 :: v_dual_mov_b32 v80, s8
	s_mov_b32 s8, exec_lo
	s_delay_alu instid0(VALU_DEP_2) | instskip(NEXT) | instid1(VALU_DEP_1)
	v_and_b32_e32 v84, 0x7f, v85
	v_cmpx_ne_u32_e32 0x7f, v84
	s_cbranch_execz .LBB275_569
; %bb.566:                              ;   in Loop: Header=BB275_11 Depth=1
	v_and_b32_e32 v166, 7, v85
	v_lshrrev_b32_e32 v80, 3, v84
	s_mov_b32 s21, exec_lo
	v_cmpx_gt_u32_e32 8, v84
; %bb.567:                              ;   in Loop: Header=BB275_11 Depth=1
	s_delay_alu instid0(VALU_DEP_3) | instskip(NEXT) | instid1(VALU_DEP_1)
	v_clz_i32_u32_e32 v80, v166
	v_min_u32_e32 v80, 32, v80
	s_delay_alu instid0(VALU_DEP_1) | instskip(SKIP_1) | instid1(VALU_DEP_2)
	v_subrev_nc_u32_e32 v81, 28, v80
	v_sub_nc_u32_e32 v80, 29, v80
	v_lshlrev_b64 v[84:85], v81, v[166:167]
	s_delay_alu instid0(VALU_DEP_1)
	v_and_b32_e32 v166, 7, v84
; %bb.568:                              ;   in Loop: Header=BB275_11 Depth=1
	s_or_b32 exec_lo, exec_lo, s21
	v_lshlrev_b32_e32 v81, 16, v96
	s_delay_alu instid0(VALU_DEP_2) | instskip(SKIP_1) | instid1(VALU_DEP_3)
	v_lshlrev_b32_e32 v84, 20, v166
	v_lshl_add_u32 v80, v80, 23, 0x3c000000
	v_and_b32_e32 v81, 0x80000000, v81
	s_delay_alu instid0(VALU_DEP_1)
	v_or3_b32 v81, v84, v81, v80
	v_mov_b32_e32 v80, v167
.LBB275_569:                            ;   in Loop: Header=BB275_11 Depth=1
	s_or_b32 exec_lo, exec_lo, s8
.LBB275_570:                            ;   in Loop: Header=BB275_11 Depth=1
	s_delay_alu instid0(SALU_CYCLE_1)
	s_or_b32 exec_lo, exec_lo, s20
.LBB275_571:                            ;   in Loop: Header=BB275_11 Depth=1
	s_delay_alu instid0(SALU_CYCLE_1) | instskip(SKIP_4) | instid1(VALU_DEP_1)
	s_or_b32 exec_lo, exec_lo, s19
	v_mov_b32_e32 v84, 0
	v_lshrrev_b32_e32 v97, 16, v96
	v_mov_b32_e32 v85, 0
	s_mov_b32 s8, exec_lo
	v_dual_mov_b32 v87, v85 :: v_dual_and_b32 v98, 0xff, v97
	v_mov_b32_e32 v86, v84
	s_delay_alu instid0(VALU_DEP_2)
	v_cmpx_ne_u16_e32 0, v98
	s_cbranch_execz .LBB275_579
; %bb.572:                              ;   in Loop: Header=BB275_11 Depth=1
	v_bfrev_b32_e32 v86, 1
	v_mov_b32_e32 v87, 0
	s_mov_b32 s19, exec_lo
	v_cmpx_ne_u16_e32 0x80, v98
	s_cbranch_execz .LBB275_578
; %bb.573:                              ;   in Loop: Header=BB275_11 Depth=1
	v_mov_b32_e32 v86, 0x7f800001
	v_bfe_u32 v98, v96, 16, 7
	v_mov_b32_e32 v87, 0
	s_mov_b32 s20, exec_lo
	s_delay_alu instid0(VALU_DEP_2)
	v_cmpx_ne_u32_e32 0x7f, v98
	s_cbranch_execz .LBB275_577
; %bb.574:                              ;   in Loop: Header=BB275_11 Depth=1
	v_and_b32_e32 v166, 7, v97
	v_lshrrev_b32_e32 v86, 3, v98
	s_mov_b32 s21, exec_lo
	v_cmpx_gt_u32_e32 8, v98
; %bb.575:                              ;   in Loop: Header=BB275_11 Depth=1
	s_delay_alu instid0(VALU_DEP_3) | instskip(NEXT) | instid1(VALU_DEP_1)
	v_clz_i32_u32_e32 v86, v166
	v_min_u32_e32 v86, 32, v86
	s_delay_alu instid0(VALU_DEP_1) | instskip(SKIP_1) | instid1(VALU_DEP_2)
	v_subrev_nc_u32_e32 v87, 28, v86
	v_sub_nc_u32_e32 v86, 29, v86
	v_lshlrev_b64 v[98:99], v87, v[166:167]
	s_delay_alu instid0(VALU_DEP_1)
	v_and_b32_e32 v166, 7, v98
; %bb.576:                              ;   in Loop: Header=BB275_11 Depth=1
	s_or_b32 exec_lo, exec_lo, s21
	v_lshlrev_b32_e32 v87, 24, v97
	s_delay_alu instid0(VALU_DEP_2) | instskip(SKIP_1) | instid1(VALU_DEP_3)
	v_lshlrev_b32_e32 v97, 20, v166
	v_lshl_add_u32 v86, v86, 23, 0x3c000000
	v_and_b32_e32 v87, 0x80000000, v87
	s_delay_alu instid0(VALU_DEP_1) | instskip(NEXT) | instid1(VALU_DEP_1)
	v_or3_b32 v166, v97, v87, v86
	v_dual_mov_b32 v86, v166 :: v_dual_mov_b32 v87, v167
.LBB275_577:                            ;   in Loop: Header=BB275_11 Depth=1
	s_or_b32 exec_lo, exec_lo, s20
.LBB275_578:                            ;   in Loop: Header=BB275_11 Depth=1
	s_delay_alu instid0(SALU_CYCLE_1)
	s_or_b32 exec_lo, exec_lo, s19
.LBB275_579:                            ;   in Loop: Header=BB275_11 Depth=1
	s_delay_alu instid0(SALU_CYCLE_1) | instskip(NEXT) | instid1(SALU_CYCLE_1)
	s_or_b32 exec_lo, exec_lo, s8
	s_mov_b32 s19, exec_lo
	v_cmpx_lt_u32_e32 0xffffff, v96
	s_cbranch_execz .LBB275_587
; %bb.580:                              ;   in Loop: Header=BB275_11 Depth=1
	v_lshrrev_b32_e32 v97, 24, v96
	v_dual_mov_b32 v85, s3 :: v_dual_mov_b32 v84, s2
	s_mov_b32 s20, exec_lo
	s_delay_alu instid0(VALU_DEP_2)
	v_cmpx_ne_u32_e32 0x80, v97
	s_cbranch_execz .LBB275_586
; %bb.581:                              ;   in Loop: Header=BB275_11 Depth=1
	s_mov_b32 s8, s2
	v_bfe_u32 v96, v96, 24, 7
	v_dual_mov_b32 v85, s9 :: v_dual_mov_b32 v84, s8
	s_mov_b32 s8, exec_lo
	s_delay_alu instid0(VALU_DEP_2)
	v_cmpx_ne_u32_e32 0x7f, v96
	s_cbranch_execz .LBB275_585
; %bb.582:                              ;   in Loop: Header=BB275_11 Depth=1
	v_and_b32_e32 v166, 7, v97
	v_lshrrev_b32_e32 v84, 3, v96
	s_mov_b32 s21, exec_lo
	v_cmpx_gt_u32_e32 8, v96
; %bb.583:                              ;   in Loop: Header=BB275_11 Depth=1
	s_delay_alu instid0(VALU_DEP_3) | instskip(NEXT) | instid1(VALU_DEP_1)
	v_clz_i32_u32_e32 v84, v166
	v_min_u32_e32 v84, 32, v84
	s_delay_alu instid0(VALU_DEP_1) | instskip(SKIP_1) | instid1(VALU_DEP_2)
	v_subrev_nc_u32_e32 v85, 28, v84
	v_sub_nc_u32_e32 v84, 29, v84
	v_lshlrev_b64 v[98:99], v85, v[166:167]
	s_delay_alu instid0(VALU_DEP_1)
	v_and_b32_e32 v166, 7, v98
; %bb.584:                              ;   in Loop: Header=BB275_11 Depth=1
	s_or_b32 exec_lo, exec_lo, s21
	v_lshlrev_b32_e32 v85, 24, v97
	s_delay_alu instid0(VALU_DEP_2) | instskip(SKIP_1) | instid1(VALU_DEP_3)
	v_lshlrev_b32_e32 v96, 20, v166
	v_lshl_add_u32 v84, v84, 23, 0x3c000000
	v_and_b32_e32 v85, 0x80000000, v85
	s_delay_alu instid0(VALU_DEP_1)
	v_or3_b32 v85, v96, v85, v84
	v_mov_b32_e32 v84, v167
.LBB275_585:                            ;   in Loop: Header=BB275_11 Depth=1
	s_or_b32 exec_lo, exec_lo, s8
.LBB275_586:                            ;   in Loop: Header=BB275_11 Depth=1
	s_delay_alu instid0(SALU_CYCLE_1)
	s_or_b32 exec_lo, exec_lo, s20
.LBB275_587:                            ;   in Loop: Header=BB275_11 Depth=1
	s_delay_alu instid0(SALU_CYCLE_1) | instskip(SKIP_4) | instid1(VALU_DEP_1)
	s_or_b32 exec_lo, exec_lo, s19
	flat_load_b32 v96, v[60:61] offset:2056
	v_mov_b32_e32 v98, 0
	v_mov_b32_e32 v99, 0
	s_mov_b32 s8, exec_lo
	v_dual_mov_b32 v101, v99 :: v_dual_mov_b32 v100, v98
	s_waitcnt vmcnt(0) lgkmcnt(0)
	v_and_b32_e32 v97, 0xff, v96
	s_delay_alu instid0(VALU_DEP_1)
	v_cmpx_ne_u16_e32 0, v97
	s_cbranch_execz .LBB275_595
; %bb.588:                              ;   in Loop: Header=BB275_11 Depth=1
	v_bfrev_b32_e32 v100, 1
	v_mov_b32_e32 v101, 0
	s_mov_b32 s19, exec_lo
	v_cmpx_ne_u16_e32 0x80, v97
	s_cbranch_execz .LBB275_594
; %bb.589:                              ;   in Loop: Header=BB275_11 Depth=1
	v_mov_b32_e32 v100, 0x7f800001
	v_dual_mov_b32 v101, 0 :: v_dual_and_b32 v102, 0x7f, v96
	s_mov_b32 s20, exec_lo
	s_delay_alu instid0(VALU_DEP_1)
	v_cmpx_ne_u32_e32 0x7f, v102
	s_cbranch_execz .LBB275_593
; %bb.590:                              ;   in Loop: Header=BB275_11 Depth=1
	v_and_b32_e32 v166, 7, v96
	v_lshrrev_b32_e32 v97, 3, v102
	s_mov_b32 s21, exec_lo
	v_cmpx_gt_u32_e32 8, v102
; %bb.591:                              ;   in Loop: Header=BB275_11 Depth=1
	s_delay_alu instid0(VALU_DEP_3) | instskip(NEXT) | instid1(VALU_DEP_1)
	v_clz_i32_u32_e32 v97, v166
	v_min_u32_e32 v97, 32, v97
	s_delay_alu instid0(VALU_DEP_1) | instskip(SKIP_1) | instid1(VALU_DEP_2)
	v_subrev_nc_u32_e32 v100, 28, v97
	v_sub_nc_u32_e32 v97, 29, v97
	v_lshlrev_b64 v[100:101], v100, v[166:167]
	s_delay_alu instid0(VALU_DEP_1)
	v_and_b32_e32 v166, 7, v100
; %bb.592:                              ;   in Loop: Header=BB275_11 Depth=1
	s_or_b32 exec_lo, exec_lo, s21
	v_lshlrev_b32_e32 v100, 24, v96
	s_delay_alu instid0(VALU_DEP_2) | instskip(SKIP_1) | instid1(VALU_DEP_3)
	v_lshlrev_b32_e32 v101, 20, v166
	v_lshl_add_u32 v97, v97, 23, 0x3c000000
	v_and_b32_e32 v100, 0x80000000, v100
	s_delay_alu instid0(VALU_DEP_1) | instskip(NEXT) | instid1(VALU_DEP_1)
	v_or3_b32 v166, v101, v100, v97
	v_dual_mov_b32 v100, v166 :: v_dual_mov_b32 v101, v167
.LBB275_593:                            ;   in Loop: Header=BB275_11 Depth=1
	s_or_b32 exec_lo, exec_lo, s20
.LBB275_594:                            ;   in Loop: Header=BB275_11 Depth=1
	s_delay_alu instid0(SALU_CYCLE_1)
	s_or_b32 exec_lo, exec_lo, s19
.LBB275_595:                            ;   in Loop: Header=BB275_11 Depth=1
	s_delay_alu instid0(SALU_CYCLE_1) | instskip(SKIP_2) | instid1(VALU_DEP_1)
	s_or_b32 exec_lo, exec_lo, s8
	v_lshrrev_b16 v97, 8, v96
	s_mov_b32 s19, exec_lo
	v_cmpx_ne_u16_e32 0, v97
	s_cbranch_execz .LBB275_603
; %bb.596:                              ;   in Loop: Header=BB275_11 Depth=1
	v_dual_mov_b32 v99, s3 :: v_dual_mov_b32 v98, s2
	s_mov_b32 s20, exec_lo
	v_cmpx_ne_u16_e32 0x80, v97
	s_cbranch_execz .LBB275_602
; %bb.597:                              ;   in Loop: Header=BB275_11 Depth=1
	s_mov_b32 s8, s2
	v_and_b32_e32 v97, 0xffff, v97
	v_dual_mov_b32 v99, s9 :: v_dual_mov_b32 v98, s8
	s_mov_b32 s8, exec_lo
	s_delay_alu instid0(VALU_DEP_2) | instskip(NEXT) | instid1(VALU_DEP_1)
	v_and_b32_e32 v102, 0x7f, v97
	v_cmpx_ne_u32_e32 0x7f, v102
	s_cbranch_execz .LBB275_601
; %bb.598:                              ;   in Loop: Header=BB275_11 Depth=1
	v_and_b32_e32 v166, 7, v97
	v_lshrrev_b32_e32 v97, 3, v102
	s_mov_b32 s21, exec_lo
	v_cmpx_gt_u32_e32 8, v102
; %bb.599:                              ;   in Loop: Header=BB275_11 Depth=1
	s_delay_alu instid0(VALU_DEP_3) | instskip(NEXT) | instid1(VALU_DEP_1)
	v_clz_i32_u32_e32 v97, v166
	v_min_u32_e32 v97, 32, v97
	s_delay_alu instid0(VALU_DEP_1) | instskip(SKIP_1) | instid1(VALU_DEP_2)
	v_subrev_nc_u32_e32 v98, 28, v97
	v_sub_nc_u32_e32 v97, 29, v97
	v_lshlrev_b64 v[98:99], v98, v[166:167]
	s_delay_alu instid0(VALU_DEP_1)
	v_and_b32_e32 v166, 7, v98
; %bb.600:                              ;   in Loop: Header=BB275_11 Depth=1
	s_or_b32 exec_lo, exec_lo, s21
	v_lshlrev_b32_e32 v98, 16, v96
	s_delay_alu instid0(VALU_DEP_2) | instskip(SKIP_1) | instid1(VALU_DEP_3)
	v_lshlrev_b32_e32 v99, 20, v166
	v_lshl_add_u32 v97, v97, 23, 0x3c000000
	v_and_b32_e32 v98, 0x80000000, v98
	s_delay_alu instid0(VALU_DEP_1)
	v_or3_b32 v99, v99, v98, v97
	v_mov_b32_e32 v98, v167
.LBB275_601:                            ;   in Loop: Header=BB275_11 Depth=1
	s_or_b32 exec_lo, exec_lo, s8
.LBB275_602:                            ;   in Loop: Header=BB275_11 Depth=1
	s_delay_alu instid0(SALU_CYCLE_1)
	s_or_b32 exec_lo, exec_lo, s20
.LBB275_603:                            ;   in Loop: Header=BB275_11 Depth=1
	s_delay_alu instid0(SALU_CYCLE_1) | instskip(SKIP_4) | instid1(VALU_DEP_1)
	s_or_b32 exec_lo, exec_lo, s19
	v_mov_b32_e32 v114, 0
	v_lshrrev_b32_e32 v97, 16, v96
	v_mov_b32_e32 v115, 0
	s_mov_b32 s8, exec_lo
	v_dual_mov_b32 v117, v115 :: v_dual_and_b32 v102, 0xff, v97
	v_mov_b32_e32 v116, v114
	s_delay_alu instid0(VALU_DEP_2)
	v_cmpx_ne_u16_e32 0, v102
	s_cbranch_execz .LBB275_611
; %bb.604:                              ;   in Loop: Header=BB275_11 Depth=1
	v_bfrev_b32_e32 v116, 1
	v_mov_b32_e32 v117, 0
	s_mov_b32 s19, exec_lo
	v_cmpx_ne_u16_e32 0x80, v102
	s_cbranch_execz .LBB275_610
; %bb.605:                              ;   in Loop: Header=BB275_11 Depth=1
	v_mov_b32_e32 v116, 0x7f800001
	v_bfe_u32 v103, v96, 16, 7
	v_mov_b32_e32 v117, 0
	s_mov_b32 s20, exec_lo
	s_delay_alu instid0(VALU_DEP_2)
	v_cmpx_ne_u32_e32 0x7f, v103
	s_cbranch_execz .LBB275_609
; %bb.606:                              ;   in Loop: Header=BB275_11 Depth=1
	v_and_b32_e32 v166, 7, v97
	v_lshrrev_b32_e32 v102, 3, v103
	s_mov_b32 s21, exec_lo
	v_cmpx_gt_u32_e32 8, v103
; %bb.607:                              ;   in Loop: Header=BB275_11 Depth=1
	s_delay_alu instid0(VALU_DEP_3) | instskip(NEXT) | instid1(VALU_DEP_1)
	v_clz_i32_u32_e32 v102, v166
	v_min_u32_e32 v102, 32, v102
	s_delay_alu instid0(VALU_DEP_1) | instskip(SKIP_1) | instid1(VALU_DEP_2)
	v_subrev_nc_u32_e32 v103, 28, v102
	v_sub_nc_u32_e32 v102, 29, v102
	v_lshlrev_b64 v[112:113], v103, v[166:167]
	s_delay_alu instid0(VALU_DEP_1)
	v_and_b32_e32 v166, 7, v112
; %bb.608:                              ;   in Loop: Header=BB275_11 Depth=1
	s_or_b32 exec_lo, exec_lo, s21
	v_lshlrev_b32_e32 v97, 24, v97
	s_delay_alu instid0(VALU_DEP_2) | instskip(SKIP_1) | instid1(VALU_DEP_3)
	v_lshlrev_b32_e32 v103, 20, v166
	v_lshl_add_u32 v102, v102, 23, 0x3c000000
	v_and_b32_e32 v97, 0x80000000, v97
	s_delay_alu instid0(VALU_DEP_1) | instskip(NEXT) | instid1(VALU_DEP_1)
	v_or3_b32 v166, v103, v97, v102
	v_dual_mov_b32 v116, v166 :: v_dual_mov_b32 v117, v167
.LBB275_609:                            ;   in Loop: Header=BB275_11 Depth=1
	s_or_b32 exec_lo, exec_lo, s20
.LBB275_610:                            ;   in Loop: Header=BB275_11 Depth=1
	s_delay_alu instid0(SALU_CYCLE_1)
	s_or_b32 exec_lo, exec_lo, s19
.LBB275_611:                            ;   in Loop: Header=BB275_11 Depth=1
	s_delay_alu instid0(SALU_CYCLE_1) | instskip(NEXT) | instid1(SALU_CYCLE_1)
	s_or_b32 exec_lo, exec_lo, s8
	s_mov_b32 s19, exec_lo
	v_cmpx_lt_u32_e32 0xffffff, v96
	s_cbranch_execz .LBB275_619
; %bb.612:                              ;   in Loop: Header=BB275_11 Depth=1
	v_lshrrev_b32_e32 v97, 24, v96
	v_dual_mov_b32 v115, s3 :: v_dual_mov_b32 v114, s2
	s_mov_b32 s20, exec_lo
	s_delay_alu instid0(VALU_DEP_2)
	v_cmpx_ne_u32_e32 0x80, v97
	s_cbranch_execz .LBB275_618
; %bb.613:                              ;   in Loop: Header=BB275_11 Depth=1
	s_mov_b32 s8, s2
	v_bfe_u32 v102, v96, 24, 7
	v_dual_mov_b32 v115, s9 :: v_dual_mov_b32 v114, s8
	s_mov_b32 s8, exec_lo
	s_delay_alu instid0(VALU_DEP_2)
	v_cmpx_ne_u32_e32 0x7f, v102
	s_cbranch_execz .LBB275_617
; %bb.614:                              ;   in Loop: Header=BB275_11 Depth=1
	v_and_b32_e32 v166, 7, v97
	v_lshrrev_b32_e32 v96, 3, v102
	s_mov_b32 s21, exec_lo
	v_cmpx_gt_u32_e32 8, v102
; %bb.615:                              ;   in Loop: Header=BB275_11 Depth=1
	s_delay_alu instid0(VALU_DEP_3) | instskip(NEXT) | instid1(VALU_DEP_1)
	v_clz_i32_u32_e32 v96, v166
	v_min_u32_e32 v96, 32, v96
	s_delay_alu instid0(VALU_DEP_1) | instskip(SKIP_1) | instid1(VALU_DEP_2)
	v_subrev_nc_u32_e32 v102, 28, v96
	v_sub_nc_u32_e32 v96, 29, v96
	v_lshlrev_b64 v[102:103], v102, v[166:167]
	s_delay_alu instid0(VALU_DEP_1)
	v_and_b32_e32 v166, 7, v102
; %bb.616:                              ;   in Loop: Header=BB275_11 Depth=1
	s_or_b32 exec_lo, exec_lo, s21
	v_dual_mov_b32 v114, v167 :: v_dual_lshlrev_b32 v97, 24, v97
	s_delay_alu instid0(VALU_DEP_2) | instskip(SKIP_1) | instid1(VALU_DEP_3)
	v_lshlrev_b32_e32 v102, 20, v166
	v_lshl_add_u32 v96, v96, 23, 0x3c000000
	v_and_b32_e32 v97, 0x80000000, v97
	s_delay_alu instid0(VALU_DEP_1)
	v_or3_b32 v115, v102, v97, v96
.LBB275_617:                            ;   in Loop: Header=BB275_11 Depth=1
	s_or_b32 exec_lo, exec_lo, s8
.LBB275_618:                            ;   in Loop: Header=BB275_11 Depth=1
	s_delay_alu instid0(SALU_CYCLE_1)
	s_or_b32 exec_lo, exec_lo, s20
.LBB275_619:                            ;   in Loop: Header=BB275_11 Depth=1
	s_delay_alu instid0(SALU_CYCLE_1)
	s_or_b32 exec_lo, exec_lo, s19
	flat_load_b32 v130, v[60:61] offset:2060
	v_mov_b32_e32 v60, 0
	v_mov_b32_e32 v61, 0
	s_mov_b32 s8, exec_lo
	s_waitcnt vmcnt(0) lgkmcnt(0)
	s_delay_alu instid0(VALU_DEP_1) | instskip(SKIP_1) | instid1(VALU_DEP_2)
	v_dual_mov_b32 v97, v61 :: v_dual_and_b32 v102, 0xff, v130
	v_mov_b32_e32 v96, v60
	v_cmpx_ne_u16_e32 0, v102
	s_cbranch_execz .LBB275_627
; %bb.620:                              ;   in Loop: Header=BB275_11 Depth=1
	v_bfrev_b32_e32 v96, 1
	v_mov_b32_e32 v97, 0
	s_mov_b32 s19, exec_lo
	v_cmpx_ne_u16_e32 0x80, v102
	s_cbranch_execz .LBB275_626
; %bb.621:                              ;   in Loop: Header=BB275_11 Depth=1
	v_mov_b32_e32 v96, 0x7f800001
	v_dual_mov_b32 v97, 0 :: v_dual_and_b32 v102, 0x7f, v130
	s_mov_b32 s20, exec_lo
	s_delay_alu instid0(VALU_DEP_1)
	v_cmpx_ne_u32_e32 0x7f, v102
	s_cbranch_execz .LBB275_625
; %bb.622:                              ;   in Loop: Header=BB275_11 Depth=1
	v_and_b32_e32 v166, 7, v130
	v_lshrrev_b32_e32 v96, 3, v102
	s_mov_b32 s21, exec_lo
	v_cmpx_gt_u32_e32 8, v102
; %bb.623:                              ;   in Loop: Header=BB275_11 Depth=1
	s_delay_alu instid0(VALU_DEP_3) | instskip(NEXT) | instid1(VALU_DEP_1)
	v_clz_i32_u32_e32 v96, v166
	v_min_u32_e32 v96, 32, v96
	s_delay_alu instid0(VALU_DEP_1) | instskip(SKIP_1) | instid1(VALU_DEP_2)
	v_subrev_nc_u32_e32 v97, 28, v96
	v_sub_nc_u32_e32 v96, 29, v96
	v_lshlrev_b64 v[102:103], v97, v[166:167]
	s_delay_alu instid0(VALU_DEP_1)
	v_and_b32_e32 v166, 7, v102
; %bb.624:                              ;   in Loop: Header=BB275_11 Depth=1
	s_or_b32 exec_lo, exec_lo, s21
	v_lshlrev_b32_e32 v97, 24, v130
	s_delay_alu instid0(VALU_DEP_2) | instskip(SKIP_1) | instid1(VALU_DEP_3)
	v_lshlrev_b32_e32 v102, 20, v166
	v_lshl_add_u32 v96, v96, 23, 0x3c000000
	v_and_b32_e32 v97, 0x80000000, v97
	s_delay_alu instid0(VALU_DEP_1) | instskip(NEXT) | instid1(VALU_DEP_1)
	v_or3_b32 v166, v102, v97, v96
	v_dual_mov_b32 v96, v166 :: v_dual_mov_b32 v97, v167
.LBB275_625:                            ;   in Loop: Header=BB275_11 Depth=1
	s_or_b32 exec_lo, exec_lo, s20
.LBB275_626:                            ;   in Loop: Header=BB275_11 Depth=1
	s_delay_alu instid0(SALU_CYCLE_1)
	s_or_b32 exec_lo, exec_lo, s19
.LBB275_627:                            ;   in Loop: Header=BB275_11 Depth=1
	s_delay_alu instid0(SALU_CYCLE_1) | instskip(SKIP_2) | instid1(VALU_DEP_1)
	s_or_b32 exec_lo, exec_lo, s8
	v_lshrrev_b16 v102, 8, v130
	s_mov_b32 s19, exec_lo
	v_cmpx_ne_u16_e32 0, v102
	s_cbranch_execz .LBB275_635
; %bb.628:                              ;   in Loop: Header=BB275_11 Depth=1
	v_dual_mov_b32 v61, s3 :: v_dual_mov_b32 v60, s2
	s_mov_b32 s20, exec_lo
	v_cmpx_ne_u16_e32 0x80, v102
	s_cbranch_execz .LBB275_634
; %bb.629:                              ;   in Loop: Header=BB275_11 Depth=1
	s_mov_b32 s8, s2
	v_dual_mov_b32 v61, s9 :: v_dual_and_b32 v102, 0xffff, v102
	v_mov_b32_e32 v60, s8
	s_mov_b32 s8, exec_lo
	s_delay_alu instid0(VALU_DEP_2) | instskip(NEXT) | instid1(VALU_DEP_1)
	v_and_b32_e32 v103, 0x7f, v102
	v_cmpx_ne_u32_e32 0x7f, v103
	s_cbranch_execz .LBB275_633
; %bb.630:                              ;   in Loop: Header=BB275_11 Depth=1
	v_and_b32_e32 v166, 7, v102
	v_lshrrev_b32_e32 v102, 3, v103
	s_mov_b32 s21, exec_lo
	v_cmpx_gt_u32_e32 8, v103
; %bb.631:                              ;   in Loop: Header=BB275_11 Depth=1
	s_delay_alu instid0(VALU_DEP_3) | instskip(NEXT) | instid1(VALU_DEP_1)
	v_clz_i32_u32_e32 v102, v166
	v_min_u32_e32 v102, 32, v102
	s_delay_alu instid0(VALU_DEP_1) | instskip(SKIP_1) | instid1(VALU_DEP_2)
	v_subrev_nc_u32_e32 v103, 28, v102
	v_sub_nc_u32_e32 v102, 29, v102
	v_lshlrev_b64 v[112:113], v103, v[166:167]
	s_delay_alu instid0(VALU_DEP_1)
	v_and_b32_e32 v166, 7, v112
; %bb.632:                              ;   in Loop: Header=BB275_11 Depth=1
	s_or_b32 exec_lo, exec_lo, s21
	v_dual_mov_b32 v60, v167 :: v_dual_lshlrev_b32 v103, 16, v130
	s_delay_alu instid0(VALU_DEP_2) | instskip(SKIP_1) | instid1(VALU_DEP_3)
	v_lshlrev_b32_e32 v112, 20, v166
	v_lshl_add_u32 v102, v102, 23, 0x3c000000
	v_and_b32_e32 v103, 0x80000000, v103
	s_delay_alu instid0(VALU_DEP_1)
	v_or3_b32 v61, v112, v103, v102
.LBB275_633:                            ;   in Loop: Header=BB275_11 Depth=1
	s_or_b32 exec_lo, exec_lo, s8
.LBB275_634:                            ;   in Loop: Header=BB275_11 Depth=1
	s_delay_alu instid0(SALU_CYCLE_1)
	s_or_b32 exec_lo, exec_lo, s20
.LBB275_635:                            ;   in Loop: Header=BB275_11 Depth=1
	s_delay_alu instid0(SALU_CYCLE_1) | instskip(SKIP_4) | instid1(VALU_DEP_1)
	s_or_b32 exec_lo, exec_lo, s19
	v_mov_b32_e32 v102, 0
	v_lshrrev_b32_e32 v131, 16, v130
	v_mov_b32_e32 v103, 0
	s_mov_b32 s8, exec_lo
	v_dual_mov_b32 v113, v103 :: v_dual_and_b32 v132, 0xff, v131
	v_mov_b32_e32 v112, v102
	s_delay_alu instid0(VALU_DEP_2)
	v_cmpx_ne_u16_e64 0, v132
	s_cbranch_execz .LBB275_643
; %bb.636:                              ;   in Loop: Header=BB275_11 Depth=1
	v_bfrev_b32_e32 v112, 1
	v_mov_b32_e32 v113, 0
	s_mov_b32 s19, exec_lo
	v_cmpx_ne_u16_e64 0x80, v132
	s_cbranch_execz .LBB275_642
; %bb.637:                              ;   in Loop: Header=BB275_11 Depth=1
	v_mov_b32_e32 v112, 0x7f800001
	v_bfe_u32 v132, v130, 16, 7
	v_mov_b32_e32 v113, 0
	s_mov_b32 s20, exec_lo
	s_delay_alu instid0(VALU_DEP_2)
	v_cmpx_ne_u32_e32 0x7f, v132
	s_cbranch_execz .LBB275_641
; %bb.638:                              ;   in Loop: Header=BB275_11 Depth=1
	v_and_b32_e32 v166, 7, v131
	v_lshrrev_b32_e32 v112, 3, v132
	s_mov_b32 s21, exec_lo
	v_cmpx_gt_u32_e32 8, v132
; %bb.639:                              ;   in Loop: Header=BB275_11 Depth=1
	s_delay_alu instid0(VALU_DEP_3) | instskip(NEXT) | instid1(VALU_DEP_1)
	v_clz_i32_u32_e32 v112, v166
	v_min_u32_e32 v112, 32, v112
	s_delay_alu instid0(VALU_DEP_1) | instskip(SKIP_1) | instid1(VALU_DEP_2)
	v_subrev_nc_u32_e32 v113, 28, v112
	v_sub_nc_u32_e32 v112, 29, v112
	v_lshlrev_b64 v[132:133], v113, v[166:167]
	s_delay_alu instid0(VALU_DEP_1)
	v_and_b32_e32 v166, 7, v132
; %bb.640:                              ;   in Loop: Header=BB275_11 Depth=1
	s_or_b32 exec_lo, exec_lo, s21
	v_lshlrev_b32_e32 v113, 24, v131
	s_delay_alu instid0(VALU_DEP_2) | instskip(SKIP_1) | instid1(VALU_DEP_3)
	v_lshlrev_b32_e32 v131, 20, v166
	v_lshl_add_u32 v112, v112, 23, 0x3c000000
	v_and_b32_e32 v113, 0x80000000, v113
	s_delay_alu instid0(VALU_DEP_1) | instskip(NEXT) | instid1(VALU_DEP_1)
	v_or3_b32 v166, v131, v113, v112
	v_dual_mov_b32 v112, v166 :: v_dual_mov_b32 v113, v167
.LBB275_641:                            ;   in Loop: Header=BB275_11 Depth=1
	s_or_b32 exec_lo, exec_lo, s20
.LBB275_642:                            ;   in Loop: Header=BB275_11 Depth=1
	s_delay_alu instid0(SALU_CYCLE_1)
	s_or_b32 exec_lo, exec_lo, s19
.LBB275_643:                            ;   in Loop: Header=BB275_11 Depth=1
	s_delay_alu instid0(SALU_CYCLE_1) | instskip(NEXT) | instid1(SALU_CYCLE_1)
	s_or_b32 exec_lo, exec_lo, s8
	s_mov_b32 s19, exec_lo
	v_cmpx_lt_u32_e32 0xffffff, v130
	s_cbranch_execz .LBB275_10
; %bb.644:                              ;   in Loop: Header=BB275_11 Depth=1
	v_lshrrev_b32_e32 v131, 24, v130
	v_dual_mov_b32 v103, s3 :: v_dual_mov_b32 v102, s2
	s_mov_b32 s20, exec_lo
	s_delay_alu instid0(VALU_DEP_2)
	v_cmpx_ne_u32_e32 0x80, v131
	s_cbranch_execz .LBB275_9
; %bb.645:                              ;   in Loop: Header=BB275_11 Depth=1
	s_mov_b32 s8, s2
	v_bfe_u32 v130, v130, 24, 7
	v_dual_mov_b32 v103, s9 :: v_dual_mov_b32 v102, s8
	s_mov_b32 s8, exec_lo
	s_delay_alu instid0(VALU_DEP_2)
	v_cmpx_ne_u32_e32 0x7f, v130
	s_cbranch_execz .LBB275_8
; %bb.646:                              ;   in Loop: Header=BB275_11 Depth=1
	v_and_b32_e32 v166, 7, v131
	v_lshrrev_b32_e32 v102, 3, v130
	s_mov_b32 s21, exec_lo
	v_cmpx_gt_u32_e32 8, v130
	s_cbranch_execz .LBB275_7
; %bb.647:                              ;   in Loop: Header=BB275_11 Depth=1
	v_clz_i32_u32_e32 v102, v166
	s_delay_alu instid0(VALU_DEP_1) | instskip(NEXT) | instid1(VALU_DEP_1)
	v_min_u32_e32 v102, 32, v102
	v_subrev_nc_u32_e32 v103, 28, v102
	v_sub_nc_u32_e32 v102, 29, v102
	s_delay_alu instid0(VALU_DEP_2) | instskip(NEXT) | instid1(VALU_DEP_1)
	v_lshlrev_b64 v[132:133], v103, v[166:167]
	v_and_b32_e32 v166, 7, v132
	s_branch .LBB275_7
.LBB275_648:
	s_or_b32 exec_lo, exec_lo, s7
	s_clause 0xe
	scratch_load_b32 v6, off, s32 offset:632
	scratch_load_b32 v15, off, s32 offset:636
	;; [unrolled: 1-line block ×3, first 2 shown]
	scratch_load_b64 v[26:27], off, s32 offset:644
	scratch_load_b32 v11, off, s32 offset:652
	scratch_load_b32 v10, off, s32 offset:656
	;; [unrolled: 1-line block ×6, first 2 shown]
	scratch_load_b64 v[12:13], off, s32 offset:676
	scratch_load_b32 v16, off, s32 offset:684
	scratch_load_b32 v17, off, s32 offset:688
	;; [unrolled: 1-line block ×4, first 2 shown]
.LBB275_649:
	s_or_b32 exec_lo, exec_lo, s18
	v_mbcnt_lo_u32_b32 v0, -1, 0
	s_lshr_b32 s8, s17, 16
	v_max_f32_e32 v4, v118, v118
	s_delay_alu instid0(VALU_DEP_2) | instskip(SKIP_2) | instid1(VALU_DEP_3)
	v_xor_b32_e32 v1, 16, v0
	v_xor_b32_e32 v3, 8, v0
	;; [unrolled: 1-line block ×3, first 2 shown]
	v_cmp_gt_i32_e32 vcc_lo, 32, v1
	v_cndmask_b32_e32 v1, v0, v1, vcc_lo
	s_delay_alu instid0(VALU_DEP_4) | instskip(NEXT) | instid1(VALU_DEP_2)
	v_cmp_gt_i32_e32 vcc_lo, 32, v3
	v_dual_cndmask_b32 v3, v0, v3 :: v_dual_lshlrev_b32 v2, 2, v1
	v_cmp_gt_i32_e32 vcc_lo, 32, v5
	ds_bpermute_b32 v1, v2, v118
	v_lshlrev_b32_e32 v3, 2, v3
	v_cndmask_b32_e32 v5, v0, v5, vcc_lo
	s_waitcnt lgkmcnt(0)
	v_max_f32_e32 v1, v1, v1
	s_delay_alu instid0(VALU_DEP_1)
	v_max_f32_e32 v1, v4, v1
	ds_bpermute_b32 v4, v3, v1
	s_waitcnt lgkmcnt(0)
	v_max_f32_e32 v4, v4, v4
	v_lshlrev_b32_e32 v24, 2, v5
	v_xor_b32_e32 v5, 2, v0
	s_delay_alu instid0(VALU_DEP_3) | instskip(NEXT) | instid1(VALU_DEP_2)
	v_max_f32_e32 v1, v1, v4
	v_cmp_gt_i32_e32 vcc_lo, 32, v5
	ds_bpermute_b32 v4, v24, v1
	v_cndmask_b32_e32 v5, v0, v5, vcc_lo
	s_delay_alu instid0(VALU_DEP_1) | instskip(SKIP_1) | instid1(VALU_DEP_1)
	v_lshlrev_b32_e32 v23, 2, v5
	v_xor_b32_e32 v5, 1, v0
	v_cmp_gt_i32_e32 vcc_lo, 32, v5
	v_cndmask_b32_e32 v5, v0, v5, vcc_lo
	s_waitcnt vmcnt(14)
	v_cmp_eq_u32_e32 vcc_lo, 0, v6
	s_waitcnt lgkmcnt(0)
	v_max_f32_e32 v4, v4, v4
	s_delay_alu instid0(VALU_DEP_1) | instskip(SKIP_3) | instid1(VALU_DEP_1)
	v_dual_max_f32 v1, v1, v4 :: v_dual_lshlrev_b32 v22, 2, v5
	ds_bpermute_b32 v4, v23, v1
	s_waitcnt lgkmcnt(0)
	v_max_f32_e32 v4, v4, v4
	v_max_f32_e32 v0, v1, v4
	scratch_load_b32 v4, off, s32 offset:620 ; 4-byte Folded Reload
	ds_bpermute_b32 v1, v22, v0
	s_waitcnt vmcnt(0)
	v_lshlrev_b32_e32 v4, 2, v4
	s_mov_b32 s1, exec_lo
	scratch_load_b32 v9, off, s32 offset:616 ; 4-byte Folded Reload
	s_and_b32 s2, s1, vcc_lo
	s_delay_alu instid0(SALU_CYCLE_1)
	s_mov_b32 exec_lo, s2
	s_cbranch_execz .LBB275_651
; %bb.650:
	s_waitcnt lgkmcnt(0)
	v_dual_max_f32 v1, v1, v1 :: v_dual_max_f32 v0, v0, v0
	s_delay_alu instid0(VALU_DEP_1)
	v_max_f32_e32 v0, v0, v1
	ds_store_b32 v4, v0 offset:320
.LBB275_651:
	s_or_b32 exec_lo, exec_lo, s1
	v_cmp_gt_u32_e64 s1, 4, v6
	v_mov_b32_e32 v0, 0xff7fffff
	s_waitcnt vmcnt(0) lgkmcnt(0)
	s_waitcnt_vscnt null, 0x0
	s_barrier
	buffer_gl0_inv
	s_and_saveexec_b32 s2, s1
	s_cbranch_execz .LBB275_653
; %bb.652:
	ds_load_b32 v0, v19 offset:320
.LBB275_653:
	s_or_b32 exec_lo, exec_lo, s2
	scratch_load_b32 v5, off, s32 offset:324 ; 4-byte Folded Reload
	s_waitcnt lgkmcnt(0)
	ds_bpermute_b32 v1, v23, v0
	s_waitcnt lgkmcnt(0)
	v_dual_max_f32 v0, v0, v0 :: v_dual_max_f32 v1, v1, v1
	s_delay_alu instid0(VALU_DEP_1)
	v_max_f32_e32 v0, v0, v1
	s_waitcnt vmcnt(0)
	v_subrev_nc_u32_e32 v6, s13, v5
	v_mov_b32_e32 v5, 0
	ds_bpermute_b32 v1, v22, v0
	s_waitcnt lgkmcnt(0)
	v_max_f32_e32 v1, v1, v1
	s_delay_alu instid0(VALU_DEP_1) | instskip(SKIP_3) | instid1(VALU_DEP_1)
	v_max_f32_e32 v0, v0, v1
	v_lshl_add_u32 v1, v6, 5, s11
	ds_bpermute_b32 v0, v5, v0
	v_min_i32_e32 v1, v1, v119
	v_subrev_nc_u32_e32 v1, s11, v1
	s_delay_alu instid0(VALU_DEP_1) | instskip(NEXT) | instid1(VALU_DEP_1)
	v_cmp_lt_i32_e64 s2, v9, v1
	s_and_saveexec_b32 s9, s2
	s_cbranch_execz .LBB275_657
; %bb.654:
	s_getpc_b64 s[18:19]
	s_add_u32 s18, s18, llvm.amdgcn.dynlds.offset.table@rel32@lo+4
	s_addc_u32 s19, s19, llvm.amdgcn.dynlds.offset.table@rel32@hi+12
	s_ashr_i32 s7, s6, 31
	v_mov_b32_e32 v5, 0
	s_lshl_b64 s[20:21], s[6:7], 2
	v_mov_b32_e32 v7, v9
	s_add_u32 s18, s20, s18
	s_addc_u32 s19, s21, s19
	s_mov_b32 s7, 0
	s_load_b32 s3, s[18:19], 0x0
	s_waitcnt lgkmcnt(0)
	v_lshl_add_u32 v6, v9, 2, s3
	.p2align	6
.LBB275_655:                            ; =>This Inner Loop Header: Depth=1
	ds_load_b32 v8, v6
	v_add_nc_u32_e32 v7, 0x80, v7
	s_delay_alu instid0(VALU_DEP_1) | instskip(NEXT) | instid1(VALU_DEP_1)
	v_cmp_ge_i32_e64 s3, v7, v1
	s_or_b32 s7, s3, s7
	s_waitcnt lgkmcnt(0)
	v_sub_f32_e32 v8, v8, v0
	s_delay_alu instid0(VALU_DEP_1) | instskip(NEXT) | instid1(VALU_DEP_1)
	v_mul_f32_e32 v8, 0x3fb8aa3b, v8
	v_exp_f32_e32 v8, v8
	ds_store_b32 v6, v8
	v_dual_add_f32 v5, v5, v8 :: v_dual_add_nc_u32 v6, 0x200, v6
	s_and_not1_b32 exec_lo, exec_lo, s7
	s_cbranch_execnz .LBB275_655
; %bb.656:
	s_or_b32 exec_lo, exec_lo, s7
.LBB275_657:
	s_delay_alu instid0(SALU_CYCLE_1)
	s_or_b32 exec_lo, exec_lo, s9
	ds_bpermute_b32 v2, v2, v5
	s_waitcnt lgkmcnt(0)
	v_add_f32_e32 v2, v5, v2
	ds_bpermute_b32 v3, v3, v2
	s_waitcnt lgkmcnt(0)
	v_add_f32_e32 v2, v2, v3
	;; [unrolled: 3-line block ×5, first 2 shown]
	s_and_saveexec_b32 s3, vcc_lo
	s_cbranch_execz .LBB275_659
; %bb.658:
	ds_store_b32 v4, v2 offset:336
.LBB275_659:
	s_or_b32 exec_lo, exec_lo, s3
	s_waitcnt lgkmcnt(0)
	s_barrier
	buffer_gl0_inv
	s_and_saveexec_b32 s3, s1
	s_cbranch_execz .LBB275_661
; %bb.660:
	ds_load_b32 v2, v19 offset:336
.LBB275_661:
	s_or_b32 exec_lo, exec_lo, s3
	s_waitcnt lgkmcnt(0)
	ds_bpermute_b32 v3, v23, v2
	s_waitcnt lgkmcnt(0)
	v_add_f32_e32 v2, v2, v3
	ds_bpermute_b32 v3, v22, v2
	s_waitcnt lgkmcnt(0)
	v_dual_add_f32 v2, v2, v3 :: v_dual_mov_b32 v3, 0
	ds_bpermute_b32 v2, v3, v2
	s_and_saveexec_b32 s1, s2
	s_cbranch_execz .LBB275_664
; %bb.662:
	s_waitcnt lgkmcnt(0)
	v_add_f32_e32 v4, 0x358637bd, v2
	s_getpc_b64 s[2:3]
	s_add_u32 s2, s2, llvm.amdgcn.dynlds.offset.table@rel32@lo+4
	s_addc_u32 s3, s3, llvm.amdgcn.dynlds.offset.table@rel32@hi+12
	s_ashr_i32 s7, s6, 31
	s_delay_alu instid0(SALU_CYCLE_1) | instskip(SKIP_4) | instid1(VALU_DEP_1)
	s_lshl_b64 s[18:19], s[6:7], 2
	v_div_scale_f32 v3, null, v4, v4, 1.0
	s_add_u32 s2, s18, s2
	s_addc_u32 s3, s19, s3
	s_load_b32 s2, s[2:3], 0x0
	v_rcp_f32_e32 v5, v3
	s_waitcnt_depctr 0xfff
	v_fma_f32 v6, -v3, v5, 1.0
	s_delay_alu instid0(VALU_DEP_1) | instskip(SKIP_1) | instid1(VALU_DEP_1)
	v_fmac_f32_e32 v5, v6, v5
	v_div_scale_f32 v7, vcc_lo, 1.0, v4, 1.0
	v_mul_f32_e32 v6, v7, v5
	s_delay_alu instid0(VALU_DEP_1) | instskip(NEXT) | instid1(VALU_DEP_1)
	v_fma_f32 v8, -v3, v6, v7
	v_fmac_f32_e32 v6, v8, v5
	s_delay_alu instid0(VALU_DEP_1) | instskip(NEXT) | instid1(VALU_DEP_1)
	v_fma_f32 v3, -v3, v6, v7
	v_div_fmas_f32 v5, v3, v5, v6
	s_waitcnt lgkmcnt(0)
	v_lshl_add_u32 v3, v9, 2, s2
	s_mov_b32 s2, 0
	s_delay_alu instid0(VALU_DEP_2)
	v_div_fixup_f32 v4, v5, v4, 1.0
	v_mov_b32_e32 v5, v9
.LBB275_663:                            ; =>This Inner Loop Header: Depth=1
	ds_load_b32 v6, v3
	s_waitcnt lgkmcnt(0)
	v_dual_mul_f32 v6, v4, v6 :: v_dual_add_nc_u32 v5, 0x80, v5
	s_delay_alu instid0(VALU_DEP_1) | instskip(SKIP_3) | instid1(SALU_CYCLE_1)
	v_cmp_ge_i32_e32 vcc_lo, v5, v1
	ds_store_b32 v3, v6
	v_add_nc_u32_e32 v3, 0x200, v3
	s_or_b32 s2, vcc_lo, s2
	s_and_not1_b32 exec_lo, exec_lo, s2
	s_cbranch_execnz .LBB275_663
.LBB275_664:
	s_or_b32 exec_lo, exec_lo, s1
	v_cmp_ne_u16_e64 s1, s8, 0
	s_waitcnt lgkmcnt(0)
	s_barrier
	buffer_gl0_inv
	s_cmp_lg_u32 s1, 0
	s_addc_u32 s1, s5, 0
	s_mov_b32 s5, exec_lo
	s_mul_i32 s2, s1, s10
	s_delay_alu instid0(SALU_CYCLE_1)
	s_mul_i32 s2, s2, s15
	v_cmpx_eq_u32_e32 0, v9
	s_cbranch_execz .LBB275_666
; %bb.665:
	s_mul_i32 s8, s1, s12
	s_ashr_i32 s15, s14, 31
	s_ashr_i32 s9, s8, 31
	;; [unrolled: 1-line block ×3, first 2 shown]
	s_lshl_b64 s[8:9], s[8:9], 2
	s_lshl_b64 s[12:13], s[14:15], 2
	;; [unrolled: 1-line block ×3, first 2 shown]
	s_add_u32 s3, s12, s8
	s_addc_u32 s7, s13, s9
	s_add_u32 s3, s3, s18
	s_addc_u32 s7, s7, s19
	v_add_co_u32 v3, vcc_lo, s3, v32
	v_add_co_ci_u32_e32 v4, vcc_lo, s7, v30, vcc_lo
	v_add_co_u32 v5, vcc_lo, s3, v29
	v_add_co_ci_u32_e32 v6, vcc_lo, s7, v28, vcc_lo
	flat_store_b32 v[3:4], v0
	flat_store_b32 v[5:6], v2
.LBB275_666:
	s_or_b32 exec_lo, exec_lo, s5
                                        ; implicit-def: $sgpr5
	s_and_saveexec_b32 s3, s0
	s_delay_alu instid0(SALU_CYCLE_1)
	s_xor_b32 s0, exec_lo, s3
; %bb.667:
	s_ashr_i32 s7, s6, 31
	s_mov_b32 s5, 0
                                        ; implicit-def: $vgpr0
                                        ; implicit-def: $vgpr119
                                        ; implicit-def: $vgpr16
                                        ; kill: killed $vgpr0
                                        ; implicit-def: $vgpr20
                                        ; implicit-def: $vgpr10
                                        ; implicit-def: $vgpr11
                                        ; implicit-def: $vgpr14
                                        ; implicit-def: $vgpr15
                                        ; implicit-def: $vgpr0
                                        ; kill: killed $vgpr0
                                        ; implicit-def: $vgpr26_vgpr27
                                        ; implicit-def: $vgpr17
                                        ; implicit-def: $vgpr18
                                        ; implicit-def: $vgpr12_vgpr13
; %bb.668:
	s_or_saveexec_b32 s3, s0
	v_dual_mov_b32 v51, s5 :: v_dual_mov_b32 v0, s6
	v_dual_mov_b32 v1, s7 :: v_dual_mov_b32 v52, s5
	v_dual_mov_b32 v50, s5 :: v_dual_and_b32 v25, 7, v9
	v_dual_mov_b32 v53, s5 :: v_dual_mov_b32 v48, s5
	v_dual_mov_b32 v49, s5 :: v_dual_mov_b32 v38, s5
	;; [unrolled: 1-line block ×8, first 2 shown]
	v_mov_b32_e32 v77, s5
	s_xor_b32 exec_lo, exec_lo, s3
	s_cbranch_execz .LBB275_1352
; %bb.669:
	flat_load_b32 v54, v[26:27]
	s_clause 0x1
	scratch_load_b32 v0, off, s32 offset:616
	scratch_load_b32 v8, off, s32 offset:620
	s_ashr_i32 s7, s6, 31
	s_getpc_b64 s[8:9]
	s_add_u32 s8, s8, llvm.amdgcn.dynlds.offset.table@rel32@lo+4
	s_addc_u32 s9, s9, llvm.amdgcn.dynlds.offset.table@rel32@hi+12
	v_add_co_u32 v3, vcc_lo, v10, v17
	v_dual_mov_b32 v77, 0 :: v_dual_lshlrev_b32 v6, 4, v25
	v_add_co_ci_u32_e32 v4, vcc_lo, v11, v18, vcc_lo
	v_dual_mov_b32 v76, 0 :: v_dual_add_nc_u32 v55, -1, v16
	v_dual_mov_b32 v28, 0 :: v_dual_mov_b32 v29, 0
	v_dual_mov_b32 v30, 0 :: v_dual_mov_b32 v31, 0
	;; [unrolled: 1-line block ×9, first 2 shown]
	v_mov_b32_e32 v7, 0
	s_waitcnt vmcnt(1) lgkmcnt(0)
	v_dual_mov_b32 v65, v54 :: v_dual_lshlrev_b32 v2, 2, v0
	s_waitcnt vmcnt(0)
	v_lshl_add_u32 v5, v8, 5, s11
	s_lshl_b64 s[10:11], s[6:7], 2
	v_lshlrev_b64 v[0:1], 2, v[20:21]
	s_add_u32 s8, s10, s8
	s_addc_u32 s9, s11, s9
	v_and_b32_e32 v10, 28, v2
	s_load_b32 s0, s[8:9], 0x0
	v_and_b32_e32 v2, 0x7c, v2
	v_add_co_u32 v0, vcc_lo, v12, v0
	v_add_co_ci_u32_e32 v1, vcc_lo, v13, v1, vcc_lo
	v_lshl_or_b32 v6, v8, 7, v6
	s_delay_alu instid0(VALU_DEP_4)
	v_add_co_u32 v8, vcc_lo, v3, v2
	v_add_co_ci_u32_e32 v9, vcc_lo, 0, v4, vcc_lo
	v_add3_u32 v21, v5, v10, 3
	v_add_co_u32 v10, vcc_lo, v14, v0
	v_add_co_ci_u32_e32 v11, vcc_lo, v15, v1, vcc_lo
	s_mov_b32 s8, 0
	s_brev_b32 s9, 1
	s_mov_b32 s11, 0x7f800001
	s_mov_b32 s5, s8
	s_waitcnt lgkmcnt(0)
	v_add_nc_u32_e32 v64, s0, v6
	s_branch .LBB275_671
.LBB275_670:                            ;   in Loop: Header=BB275_671 Depth=1
	s_or_b32 exec_lo, exec_lo, s0
	v_mul_f32_e32 v14, v1, v61
	v_mul_f32_e32 v16, v1, v45
	;; [unrolled: 1-line block ×4, first 2 shown]
	v_add_co_u32 v10, s0, v10, 16
	s_delay_alu instid0(VALU_DEP_4) | instskip(SKIP_2) | instid1(VALU_DEP_3)
	v_fmac_f32_e32 v16, v0, v44
	v_dual_fmac_f32 v14, v0, v60 :: v_dual_mul_f32 v17, v1, v41
	v_fmac_f32_e32 v13, v0, v62
	v_dual_fmac_f32 v15, v0, v56 :: v_dual_fmac_f32 v16, v2, v43
	s_delay_alu instid0(VALU_DEP_3) | instskip(NEXT) | instid1(VALU_DEP_3)
	v_dual_fmac_f32 v14, v2, v59 :: v_dual_fmac_f32 v17, v0, v40
	v_fmac_f32_e32 v13, v2, v19
	s_delay_alu instid0(VALU_DEP_3) | instskip(NEXT) | instid1(VALU_DEP_3)
	v_dual_fmac_f32 v15, v2, v47 :: v_dual_fmac_f32 v16, v3, v42
	v_dual_fmac_f32 v14, v3, v58 :: v_dual_fmac_f32 v17, v2, v183
	s_delay_alu instid0(VALU_DEP_3) | instskip(NEXT) | instid1(VALU_DEP_3)
	v_fmac_f32_e32 v13, v3, v18
	v_dual_fmac_f32 v15, v3, v46 :: v_dual_add_f32 v30, v30, v16
	s_delay_alu instid0(VALU_DEP_3) | instskip(NEXT) | instid1(VALU_DEP_4)
	v_add_f32_e32 v28, v28, v14
	v_dual_mul_f32 v14, v1, v177 :: v_dual_fmac_f32 v17, v3, v182
	v_mul_f32_e32 v16, v1, v161
	v_add_f32_e32 v77, v77, v13
	s_delay_alu instid0(VALU_DEP_3) | instskip(NEXT) | instid1(VALU_DEP_3)
	v_dual_mul_f32 v13, v1, v181 :: v_dual_fmac_f32 v14, v0, v176
	v_dual_add_f32 v31, v31, v17 :: v_dual_fmac_f32 v16, v0, v160
	v_add_co_ci_u32_e64 v11, s0, 0, v11, s0
	s_delay_alu instid0(VALU_DEP_3) | instskip(NEXT) | instid1(VALU_DEP_3)
	v_dual_fmac_f32 v14, v2, v167 :: v_dual_fmac_f32 v13, v0, v180
	v_dual_fmac_f32 v16, v2, v151 :: v_dual_mul_f32 v17, v1, v149
	s_delay_alu instid0(VALU_DEP_2) | instskip(SKIP_1) | instid1(VALU_DEP_3)
	v_dual_fmac_f32 v14, v3, v166 :: v_dual_add_nc_u32 v21, 0x80, v21
	v_add_nc_u32_e32 v20, 4, v20
	v_dual_fmac_f32 v16, v3, v150 :: v_dual_fmac_f32 v17, v0, v148
	s_delay_alu instid0(VALU_DEP_3) | instskip(NEXT) | instid1(VALU_DEP_2)
	v_dual_add_f32 v33, v33, v14 :: v_dual_add_nc_u32 v64, 0x200, v64
	v_dual_mul_f32 v14, v1, v133 :: v_dual_add_f32 v35, v35, v16
	s_delay_alu instid0(VALU_DEP_3) | instskip(NEXT) | instid1(VALU_DEP_1)
	v_dual_fmac_f32 v17, v2, v147 :: v_dual_mul_f32 v16, v1, v116
	v_dual_fmac_f32 v14, v0, v132 :: v_dual_fmac_f32 v17, v3, v146
	v_fmac_f32_e32 v13, v2, v179
	s_delay_alu instid0(VALU_DEP_3) | instskip(NEXT) | instid1(VALU_DEP_3)
	v_fmac_f32_e32 v16, v0, v115
	v_fmac_f32_e32 v14, v2, v131
	s_delay_alu instid0(VALU_DEP_3) | instskip(SKIP_1) | instid1(VALU_DEP_4)
	v_dual_add_f32 v36, v36, v17 :: v_dual_fmac_f32 v13, v3, v178
	v_add_f32_e32 v29, v29, v15
	v_dual_mul_f32 v15, v1, v165 :: v_dual_fmac_f32 v16, v2, v114
	s_delay_alu instid0(VALU_DEP_4) | instskip(NEXT) | instid1(VALU_DEP_4)
	v_fmac_f32_e32 v14, v3, v130
	v_add_f32_e32 v32, v32, v13
	v_mul_f32_e32 v13, v1, v145
	s_delay_alu instid0(VALU_DEP_4) | instskip(NEXT) | instid1(VALU_DEP_4)
	v_dual_fmac_f32 v15, v0, v164 :: v_dual_fmac_f32 v16, v3, v113
	v_add_f32_e32 v38, v38, v14
	v_mul_f32_e32 v14, v1, v96
	s_delay_alu instid0(VALU_DEP_4) | instskip(NEXT) | instid1(VALU_DEP_4)
	v_fmac_f32_e32 v13, v0, v144
	v_dual_fmac_f32 v15, v2, v163 :: v_dual_add_f32 v48, v48, v16
	v_mul_f32_e32 v16, v1, v69
	s_delay_alu instid0(VALU_DEP_4) | instskip(NEXT) | instid1(VALU_DEP_3)
	v_dual_mul_f32 v17, v1, v112 :: v_dual_fmac_f32 v14, v0, v87
	v_fmac_f32_e32 v15, v3, v162
	s_delay_alu instid0(VALU_DEP_3) | instskip(NEXT) | instid1(VALU_DEP_3)
	v_dual_fmac_f32 v13, v2, v135 :: v_dual_fmac_f32 v16, v0, v68
	v_fmac_f32_e32 v14, v2, v86
	s_delay_alu instid0(VALU_DEP_3) | instskip(NEXT) | instid1(VALU_DEP_3)
	v_dual_add_f32 v34, v34, v15 :: v_dual_mul_f32 v15, v1, v129
	v_dual_fmac_f32 v13, v3, v134 :: v_dual_fmac_f32 v16, v2, v67
	s_delay_alu instid0(VALU_DEP_2) | instskip(NEXT) | instid1(VALU_DEP_2)
	v_dual_fmac_f32 v14, v3, v85 :: v_dual_fmac_f32 v15, v0, v128
	v_add_f32_e32 v37, v37, v13
	s_delay_alu instid0(VALU_DEP_3) | instskip(NEXT) | instid1(VALU_DEP_3)
	v_dual_mul_f32 v13, v1, v100 :: v_dual_fmac_f32 v16, v3, v66
	v_add_f32_e32 v52, v52, v14
	s_delay_alu instid0(VALU_DEP_4) | instskip(NEXT) | instid1(VALU_DEP_3)
	v_fmac_f32_e32 v15, v2, v118
	v_fmac_f32_e32 v13, v0, v99
	s_delay_alu instid0(VALU_DEP_4) | instskip(NEXT) | instid1(VALU_DEP_3)
	v_add_f32_e32 v51, v51, v16
	v_fmac_f32_e32 v15, v3, v117
	s_delay_alu instid0(VALU_DEP_3) | instskip(NEXT) | instid1(VALU_DEP_2)
	v_fmac_f32_e32 v13, v2, v98
	v_add_f32_e32 v39, v39, v15
	v_mul_f32_e32 v15, v1, v84
	v_mul_f32_e32 v1, v1, v12
	s_delay_alu instid0(VALU_DEP_4) | instskip(SKIP_1) | instid1(VALU_DEP_4)
	v_fmac_f32_e32 v13, v3, v97
	v_fmac_f32_e32 v17, v0, v103
	;; [unrolled: 1-line block ×3, first 2 shown]
	s_delay_alu instid0(VALU_DEP_3) | instskip(SKIP_4) | instid1(VALU_DEP_3)
	v_dual_fmac_f32 v1, v0, v6 :: v_dual_add_f32 v50, v50, v13
	scratch_load_b32 v0, off, s32 offset:324 ; 4-byte Folded Reload
	v_fmac_f32_e32 v17, v2, v102
	v_fmac_f32_e32 v15, v2, v82
	;; [unrolled: 1-line block ×4, first 2 shown]
	s_delay_alu instid0(VALU_DEP_3) | instskip(NEXT) | instid1(VALU_DEP_3)
	v_fmac_f32_e32 v15, v3, v81
	v_fmac_f32_e32 v1, v3, v4
	s_delay_alu instid0(VALU_DEP_3) | instskip(NEXT) | instid1(VALU_DEP_2)
	v_add_f32_e32 v49, v49, v17
	v_dual_add_f32 v53, v53, v15 :: v_dual_add_f32 v76, v76, v1
	s_waitcnt vmcnt(0)
	v_cmp_ge_i32_e32 vcc_lo, v20, v0
	s_or_b32 s5, vcc_lo, s5
	s_delay_alu instid0(SALU_CYCLE_1)
	s_and_not1_b32 exec_lo, exec_lo, s5
	s_cbranch_execz .LBB275_1351
.LBB275_671:                            ; =>This Inner Loop Header: Depth=1
	flat_load_b32 v0, v[10:11]
	scratch_load_b32 v1, off, s32 offset:320 ; 4-byte Folded Reload
	v_mov_b32_e32 v14, 0
	s_mov_b32 s0, exec_lo
	s_waitcnt vmcnt(0) lgkmcnt(0)
	v_mad_i64_i32 v[12:13], null, v0, v1, v[8:9]
	ds_load_b128 v[0:3], v64
	flat_load_b32 v66, v[12:13]
	s_waitcnt vmcnt(0) lgkmcnt(0)
	v_dual_mov_b32 v15, 0 :: v_dual_and_b32 v6, 0xff, v66
	s_delay_alu instid0(VALU_DEP_1) | instskip(NEXT) | instid1(VALU_DEP_2)
	v_dual_mov_b32 v4, v14 :: v_dual_mov_b32 v5, v15
	v_cmpx_ne_u16_e32 0, v6
	s_cbranch_execz .LBB275_679
; %bb.672:                              ;   in Loop: Header=BB275_671 Depth=1
	v_bfrev_b32_e32 v4, 1
	v_mov_b32_e32 v5, 0
	s_mov_b32 s10, exec_lo
	v_cmpx_ne_u16_e32 0x80, v6
	s_cbranch_execz .LBB275_678
; %bb.673:                              ;   in Loop: Header=BB275_671 Depth=1
	v_mov_b32_e32 v4, 0x7f800001
	v_dual_mov_b32 v5, 0 :: v_dual_and_b32 v16, 0x7f, v66
	s_mov_b32 s12, exec_lo
	s_delay_alu instid0(VALU_DEP_1)
	v_cmpx_ne_u32_e32 0x7f, v16
	s_cbranch_execz .LBB275_677
; %bb.674:                              ;   in Loop: Header=BB275_671 Depth=1
	v_and_b32_e32 v6, 7, v66
	v_lshrrev_b32_e32 v4, 3, v16
	s_mov_b32 s13, exec_lo
	v_cmpx_gt_u32_e32 8, v16
; %bb.675:                              ;   in Loop: Header=BB275_671 Depth=1
	s_delay_alu instid0(VALU_DEP_3) | instskip(NEXT) | instid1(VALU_DEP_1)
	v_clz_i32_u32_e32 v4, v6
	v_min_u32_e32 v4, 32, v4
	s_delay_alu instid0(VALU_DEP_1) | instskip(SKIP_1) | instid1(VALU_DEP_2)
	v_subrev_nc_u32_e32 v5, 28, v4
	v_sub_nc_u32_e32 v4, 29, v4
	v_lshlrev_b64 v[5:6], v5, v[6:7]
	s_delay_alu instid0(VALU_DEP_1)
	v_and_b32_e32 v6, 7, v5
; %bb.676:                              ;   in Loop: Header=BB275_671 Depth=1
	s_or_b32 exec_lo, exec_lo, s13
	v_lshlrev_b32_e32 v5, 24, v66
	s_delay_alu instid0(VALU_DEP_2) | instskip(SKIP_1) | instid1(VALU_DEP_3)
	v_lshlrev_b32_e32 v6, 20, v6
	v_lshl_add_u32 v4, v4, 23, 0x3c000000
	v_and_b32_e32 v5, 0x80000000, v5
	s_delay_alu instid0(VALU_DEP_1) | instskip(NEXT) | instid1(VALU_DEP_1)
	v_or3_b32 v6, v6, v5, v4
	v_dual_mov_b32 v4, v6 :: v_dual_mov_b32 v5, v7
.LBB275_677:                            ;   in Loop: Header=BB275_671 Depth=1
	s_or_b32 exec_lo, exec_lo, s12
.LBB275_678:                            ;   in Loop: Header=BB275_671 Depth=1
	s_delay_alu instid0(SALU_CYCLE_1)
	s_or_b32 exec_lo, exec_lo, s10
.LBB275_679:                            ;   in Loop: Header=BB275_671 Depth=1
	s_delay_alu instid0(SALU_CYCLE_1) | instskip(SKIP_2) | instid1(VALU_DEP_1)
	s_or_b32 exec_lo, exec_lo, s0
	v_lshrrev_b16 v6, 8, v66
	s_mov_b32 s0, exec_lo
	v_cmpx_ne_u16_e32 0, v6
	s_cbranch_execz .LBB275_687
; %bb.680:                              ;   in Loop: Header=BB275_671 Depth=1
	v_dual_mov_b32 v15, s9 :: v_dual_mov_b32 v14, s8
	s_mov_b32 s12, exec_lo
	v_cmpx_ne_u16_e32 0x80, v6
	s_cbranch_execz .LBB275_686
; %bb.681:                              ;   in Loop: Header=BB275_671 Depth=1
	s_mov_b32 s10, s8
	v_dual_mov_b32 v15, s11 :: v_dual_and_b32 v6, 0xffff, v6
	v_mov_b32_e32 v14, s10
	s_mov_b32 s10, exec_lo
	s_delay_alu instid0(VALU_DEP_2) | instskip(NEXT) | instid1(VALU_DEP_1)
	v_and_b32_e32 v16, 0x7f, v6
	v_cmpx_ne_u32_e32 0x7f, v16
	s_cbranch_execz .LBB275_685
; %bb.682:                              ;   in Loop: Header=BB275_671 Depth=1
	v_and_b32_e32 v6, 7, v6
	v_lshrrev_b32_e32 v14, 3, v16
	s_mov_b32 s13, exec_lo
	v_cmpx_gt_u32_e32 8, v16
; %bb.683:                              ;   in Loop: Header=BB275_671 Depth=1
	s_delay_alu instid0(VALU_DEP_3) | instskip(NEXT) | instid1(VALU_DEP_1)
	v_clz_i32_u32_e32 v14, v6
	v_min_u32_e32 v14, 32, v14
	s_delay_alu instid0(VALU_DEP_1) | instskip(SKIP_1) | instid1(VALU_DEP_2)
	v_subrev_nc_u32_e32 v15, 28, v14
	v_sub_nc_u32_e32 v14, 29, v14
	v_lshlrev_b64 v[15:16], v15, v[6:7]
	s_delay_alu instid0(VALU_DEP_1)
	v_and_b32_e32 v6, 7, v15
; %bb.684:                              ;   in Loop: Header=BB275_671 Depth=1
	s_or_b32 exec_lo, exec_lo, s13
	v_lshlrev_b32_e32 v15, 16, v66
	s_delay_alu instid0(VALU_DEP_2) | instskip(SKIP_1) | instid1(VALU_DEP_3)
	v_lshlrev_b32_e32 v6, 20, v6
	v_lshl_add_u32 v14, v14, 23, 0x3c000000
	v_and_b32_e32 v15, 0x80000000, v15
	s_delay_alu instid0(VALU_DEP_1)
	v_or3_b32 v15, v6, v15, v14
	v_mov_b32_e32 v14, v7
.LBB275_685:                            ;   in Loop: Header=BB275_671 Depth=1
	s_or_b32 exec_lo, exec_lo, s10
.LBB275_686:                            ;   in Loop: Header=BB275_671 Depth=1
	s_delay_alu instid0(SALU_CYCLE_1)
	s_or_b32 exec_lo, exec_lo, s12
.LBB275_687:                            ;   in Loop: Header=BB275_671 Depth=1
	s_delay_alu instid0(SALU_CYCLE_1) | instskip(SKIP_4) | instid1(VALU_DEP_2)
	s_or_b32 exec_lo, exec_lo, s0
	v_mov_b32_e32 v18, 0
	v_lshrrev_b32_e32 v67, 16, v66
	v_mov_b32_e32 v19, 0
	s_mov_b32 s0, exec_lo
	v_and_b32_e32 v6, 0xff, v67
	s_delay_alu instid0(VALU_DEP_2) | instskip(NEXT) | instid1(VALU_DEP_2)
	v_dual_mov_b32 v16, v18 :: v_dual_mov_b32 v17, v19
	v_cmpx_ne_u16_e32 0, v6
	s_cbranch_execz .LBB275_695
; %bb.688:                              ;   in Loop: Header=BB275_671 Depth=1
	v_bfrev_b32_e32 v16, 1
	v_mov_b32_e32 v17, 0
	s_mov_b32 s10, exec_lo
	v_cmpx_ne_u16_e32 0x80, v6
	s_cbranch_execz .LBB275_694
; %bb.689:                              ;   in Loop: Header=BB275_671 Depth=1
	v_mov_b32_e32 v16, 0x7f800001
	v_bfe_u32 v68, v66, 16, 7
	v_mov_b32_e32 v17, 0
	s_mov_b32 s12, exec_lo
	s_delay_alu instid0(VALU_DEP_2)
	v_cmpx_ne_u32_e32 0x7f, v68
	s_cbranch_execz .LBB275_693
; %bb.690:                              ;   in Loop: Header=BB275_671 Depth=1
	v_and_b32_e32 v6, 7, v67
	v_lshrrev_b32_e32 v16, 3, v68
	s_mov_b32 s13, exec_lo
	v_cmpx_gt_u32_e32 8, v68
; %bb.691:                              ;   in Loop: Header=BB275_671 Depth=1
	s_delay_alu instid0(VALU_DEP_3) | instskip(NEXT) | instid1(VALU_DEP_1)
	v_clz_i32_u32_e32 v16, v6
	v_min_u32_e32 v16, 32, v16
	s_delay_alu instid0(VALU_DEP_1) | instskip(SKIP_1) | instid1(VALU_DEP_2)
	v_subrev_nc_u32_e32 v17, 28, v16
	v_sub_nc_u32_e32 v16, 29, v16
	v_lshlrev_b64 v[68:69], v17, v[6:7]
	s_delay_alu instid0(VALU_DEP_1)
	v_and_b32_e32 v6, 7, v68
; %bb.692:                              ;   in Loop: Header=BB275_671 Depth=1
	s_or_b32 exec_lo, exec_lo, s13
	v_lshlrev_b32_e32 v17, 24, v67
	s_delay_alu instid0(VALU_DEP_2) | instskip(SKIP_1) | instid1(VALU_DEP_3)
	v_lshlrev_b32_e32 v6, 20, v6
	v_lshl_add_u32 v16, v16, 23, 0x3c000000
	v_and_b32_e32 v17, 0x80000000, v17
	s_delay_alu instid0(VALU_DEP_1) | instskip(NEXT) | instid1(VALU_DEP_1)
	v_or3_b32 v6, v6, v17, v16
	v_dual_mov_b32 v17, v7 :: v_dual_mov_b32 v16, v6
.LBB275_693:                            ;   in Loop: Header=BB275_671 Depth=1
	s_or_b32 exec_lo, exec_lo, s12
.LBB275_694:                            ;   in Loop: Header=BB275_671 Depth=1
	s_delay_alu instid0(SALU_CYCLE_1)
	s_or_b32 exec_lo, exec_lo, s10
.LBB275_695:                            ;   in Loop: Header=BB275_671 Depth=1
	s_delay_alu instid0(SALU_CYCLE_1) | instskip(NEXT) | instid1(SALU_CYCLE_1)
	s_or_b32 exec_lo, exec_lo, s0
	s_mov_b32 s0, exec_lo
	v_cmpx_lt_u32_e32 0xffffff, v66
	s_cbranch_execz .LBB275_703
; %bb.696:                              ;   in Loop: Header=BB275_671 Depth=1
	v_lshrrev_b32_e32 v67, 24, v66
	v_dual_mov_b32 v19, s9 :: v_dual_mov_b32 v18, s8
	s_mov_b32 s12, exec_lo
	s_delay_alu instid0(VALU_DEP_2)
	v_cmpx_ne_u32_e32 0x80, v67
	s_cbranch_execz .LBB275_702
; %bb.697:                              ;   in Loop: Header=BB275_671 Depth=1
	s_mov_b32 s10, s8
	v_bfe_u32 v66, v66, 24, 7
	v_dual_mov_b32 v19, s11 :: v_dual_mov_b32 v18, s10
	s_mov_b32 s10, exec_lo
	s_delay_alu instid0(VALU_DEP_2)
	v_cmpx_ne_u32_e32 0x7f, v66
	s_cbranch_execz .LBB275_701
; %bb.698:                              ;   in Loop: Header=BB275_671 Depth=1
	v_and_b32_e32 v6, 7, v67
	v_lshrrev_b32_e32 v18, 3, v66
	s_mov_b32 s13, exec_lo
	v_cmpx_gt_u32_e32 8, v66
; %bb.699:                              ;   in Loop: Header=BB275_671 Depth=1
	s_delay_alu instid0(VALU_DEP_3) | instskip(NEXT) | instid1(VALU_DEP_1)
	v_clz_i32_u32_e32 v18, v6
	v_min_u32_e32 v18, 32, v18
	s_delay_alu instid0(VALU_DEP_1) | instskip(SKIP_1) | instid1(VALU_DEP_2)
	v_subrev_nc_u32_e32 v19, 28, v18
	v_sub_nc_u32_e32 v18, 29, v18
	v_lshlrev_b64 v[68:69], v19, v[6:7]
	s_delay_alu instid0(VALU_DEP_1)
	v_and_b32_e32 v6, 7, v68
; %bb.700:                              ;   in Loop: Header=BB275_671 Depth=1
	s_or_b32 exec_lo, exec_lo, s13
	v_lshlrev_b32_e32 v19, 24, v67
	s_delay_alu instid0(VALU_DEP_2) | instskip(SKIP_1) | instid1(VALU_DEP_3)
	v_lshlrev_b32_e32 v6, 20, v6
	v_lshl_add_u32 v18, v18, 23, 0x3c000000
	v_and_b32_e32 v19, 0x80000000, v19
	s_delay_alu instid0(VALU_DEP_1)
	v_or3_b32 v19, v6, v19, v18
	v_mov_b32_e32 v18, v7
.LBB275_701:                            ;   in Loop: Header=BB275_671 Depth=1
	s_or_b32 exec_lo, exec_lo, s10
.LBB275_702:                            ;   in Loop: Header=BB275_671 Depth=1
	s_delay_alu instid0(SALU_CYCLE_1)
	s_or_b32 exec_lo, exec_lo, s12
.LBB275_703:                            ;   in Loop: Header=BB275_671 Depth=1
	s_delay_alu instid0(SALU_CYCLE_1)
	s_or_b32 exec_lo, exec_lo, s0
	v_or_b32_e32 v5, v15, v5
	v_or_b32_e32 v4, v14, v4
	;; [unrolled: 1-line block ×4, first 2 shown]
	v_add_nc_u32_e32 v70, -3, v21
	v_cmp_eq_u32_e32 vcc_lo, v55, v20
	v_dual_mul_f32 v69, v65, v5 :: v_dual_mul_f32 v68, v54, v4
	v_dual_mul_f32 v66, v65, v6 :: v_dual_add_nc_u32 v71, -1, v21
	v_dual_mul_f32 v67, v54, v14 :: v_dual_add_nc_u32 v80, -2, v21
	s_and_saveexec_b32 s10, vcc_lo
; %bb.704:                              ;   in Loop: Header=BB275_671 Depth=1
	v_cmp_lt_i32_e64 s0, v70, v119
	s_delay_alu instid0(VALU_DEP_1) | instskip(NEXT) | instid1(VALU_DEP_3)
	v_cndmask_b32_e64 v68, 0, v68, s0
	v_cmp_lt_i32_e64 s0, v80, v119
	s_delay_alu instid0(VALU_DEP_1) | instskip(SKIP_1) | instid1(VALU_DEP_1)
	v_cndmask_b32_e64 v69, 0, v69, s0
	v_cmp_lt_i32_e64 s0, v71, v119
	v_cndmask_b32_e64 v67, 0, v67, s0
	v_cmp_lt_i32_e64 s0, v21, v119
	s_delay_alu instid0(VALU_DEP_1)
	v_cndmask_b32_e64 v66, 0, v66, s0
; %bb.705:                              ;   in Loop: Header=BB275_671 Depth=1
	s_or_b32 exec_lo, exec_lo, s10
	flat_load_b32 v81, v[12:13] offset:128
	v_mov_b32_e32 v14, 0
	v_mov_b32_e32 v15, 0
	s_mov_b32 s10, exec_lo
	s_waitcnt vmcnt(0) lgkmcnt(0)
	v_and_b32_e32 v6, 0xff, v81
	s_delay_alu instid0(VALU_DEP_2) | instskip(NEXT) | instid1(VALU_DEP_2)
	v_dual_mov_b32 v4, v14 :: v_dual_mov_b32 v5, v15
	v_cmpx_ne_u16_e32 0, v6
	s_cbranch_execz .LBB275_713
; %bb.706:                              ;   in Loop: Header=BB275_671 Depth=1
	v_bfrev_b32_e32 v4, 1
	v_mov_b32_e32 v5, 0
	s_mov_b32 s12, exec_lo
	v_cmpx_ne_u16_e32 0x80, v6
	s_cbranch_execz .LBB275_712
; %bb.707:                              ;   in Loop: Header=BB275_671 Depth=1
	v_mov_b32_e32 v4, 0x7f800001
	v_dual_mov_b32 v5, 0 :: v_dual_and_b32 v16, 0x7f, v81
	s_mov_b32 s13, exec_lo
	s_delay_alu instid0(VALU_DEP_1)
	v_cmpx_ne_u32_e32 0x7f, v16
	s_cbranch_execz .LBB275_711
; %bb.708:                              ;   in Loop: Header=BB275_671 Depth=1
	v_and_b32_e32 v6, 7, v81
	v_lshrrev_b32_e32 v4, 3, v16
	s_mov_b32 s15, exec_lo
	v_cmpx_gt_u32_e32 8, v16
; %bb.709:                              ;   in Loop: Header=BB275_671 Depth=1
	s_delay_alu instid0(VALU_DEP_3) | instskip(NEXT) | instid1(VALU_DEP_1)
	v_clz_i32_u32_e32 v4, v6
	v_min_u32_e32 v4, 32, v4
	s_delay_alu instid0(VALU_DEP_1) | instskip(SKIP_1) | instid1(VALU_DEP_2)
	v_subrev_nc_u32_e32 v5, 28, v4
	v_sub_nc_u32_e32 v4, 29, v4
	v_lshlrev_b64 v[5:6], v5, v[6:7]
	s_delay_alu instid0(VALU_DEP_1)
	v_and_b32_e32 v6, 7, v5
; %bb.710:                              ;   in Loop: Header=BB275_671 Depth=1
	s_or_b32 exec_lo, exec_lo, s15
	v_lshlrev_b32_e32 v5, 24, v81
	s_delay_alu instid0(VALU_DEP_2) | instskip(SKIP_1) | instid1(VALU_DEP_3)
	v_lshlrev_b32_e32 v6, 20, v6
	v_lshl_add_u32 v4, v4, 23, 0x3c000000
	v_and_b32_e32 v5, 0x80000000, v5
	s_delay_alu instid0(VALU_DEP_1) | instskip(NEXT) | instid1(VALU_DEP_1)
	v_or3_b32 v6, v6, v5, v4
	v_dual_mov_b32 v4, v6 :: v_dual_mov_b32 v5, v7
.LBB275_711:                            ;   in Loop: Header=BB275_671 Depth=1
	s_or_b32 exec_lo, exec_lo, s13
.LBB275_712:                            ;   in Loop: Header=BB275_671 Depth=1
	s_delay_alu instid0(SALU_CYCLE_1)
	s_or_b32 exec_lo, exec_lo, s12
.LBB275_713:                            ;   in Loop: Header=BB275_671 Depth=1
	s_delay_alu instid0(SALU_CYCLE_1) | instskip(SKIP_2) | instid1(VALU_DEP_1)
	s_or_b32 exec_lo, exec_lo, s10
	v_lshrrev_b16 v6, 8, v81
	s_mov_b32 s12, exec_lo
	v_cmpx_ne_u16_e32 0, v6
	s_cbranch_execz .LBB275_721
; %bb.714:                              ;   in Loop: Header=BB275_671 Depth=1
	v_dual_mov_b32 v15, s9 :: v_dual_mov_b32 v14, s8
	s_mov_b32 s13, exec_lo
	v_cmpx_ne_u16_e32 0x80, v6
	s_cbranch_execz .LBB275_720
; %bb.715:                              ;   in Loop: Header=BB275_671 Depth=1
	s_mov_b32 s10, s8
	v_dual_mov_b32 v15, s11 :: v_dual_and_b32 v6, 0xffff, v6
	v_mov_b32_e32 v14, s10
	s_mov_b32 s10, exec_lo
	s_delay_alu instid0(VALU_DEP_2) | instskip(NEXT) | instid1(VALU_DEP_1)
	v_and_b32_e32 v16, 0x7f, v6
	v_cmpx_ne_u32_e32 0x7f, v16
	s_cbranch_execz .LBB275_719
; %bb.716:                              ;   in Loop: Header=BB275_671 Depth=1
	v_and_b32_e32 v6, 7, v6
	v_lshrrev_b32_e32 v14, 3, v16
	s_mov_b32 s15, exec_lo
	v_cmpx_gt_u32_e32 8, v16
; %bb.717:                              ;   in Loop: Header=BB275_671 Depth=1
	s_delay_alu instid0(VALU_DEP_3) | instskip(NEXT) | instid1(VALU_DEP_1)
	v_clz_i32_u32_e32 v14, v6
	v_min_u32_e32 v14, 32, v14
	s_delay_alu instid0(VALU_DEP_1) | instskip(SKIP_1) | instid1(VALU_DEP_2)
	v_subrev_nc_u32_e32 v15, 28, v14
	v_sub_nc_u32_e32 v14, 29, v14
	v_lshlrev_b64 v[15:16], v15, v[6:7]
	s_delay_alu instid0(VALU_DEP_1)
	v_and_b32_e32 v6, 7, v15
; %bb.718:                              ;   in Loop: Header=BB275_671 Depth=1
	s_or_b32 exec_lo, exec_lo, s15
	v_lshlrev_b32_e32 v15, 16, v81
	s_delay_alu instid0(VALU_DEP_2) | instskip(SKIP_1) | instid1(VALU_DEP_3)
	v_lshlrev_b32_e32 v6, 20, v6
	v_lshl_add_u32 v14, v14, 23, 0x3c000000
	v_and_b32_e32 v15, 0x80000000, v15
	s_delay_alu instid0(VALU_DEP_1)
	v_or3_b32 v15, v6, v15, v14
	v_mov_b32_e32 v14, v7
.LBB275_719:                            ;   in Loop: Header=BB275_671 Depth=1
	s_or_b32 exec_lo, exec_lo, s10
.LBB275_720:                            ;   in Loop: Header=BB275_671 Depth=1
	s_delay_alu instid0(SALU_CYCLE_1)
	s_or_b32 exec_lo, exec_lo, s13
.LBB275_721:                            ;   in Loop: Header=BB275_671 Depth=1
	s_delay_alu instid0(SALU_CYCLE_1) | instskip(SKIP_4) | instid1(VALU_DEP_2)
	s_or_b32 exec_lo, exec_lo, s12
	v_mov_b32_e32 v18, 0
	v_lshrrev_b32_e32 v82, 16, v81
	v_mov_b32_e32 v19, 0
	s_mov_b32 s10, exec_lo
	v_and_b32_e32 v6, 0xff, v82
	s_delay_alu instid0(VALU_DEP_2) | instskip(NEXT) | instid1(VALU_DEP_2)
	v_dual_mov_b32 v16, v18 :: v_dual_mov_b32 v17, v19
	v_cmpx_ne_u16_e32 0, v6
	s_cbranch_execz .LBB275_729
; %bb.722:                              ;   in Loop: Header=BB275_671 Depth=1
	v_bfrev_b32_e32 v16, 1
	v_mov_b32_e32 v17, 0
	s_mov_b32 s12, exec_lo
	v_cmpx_ne_u16_e32 0x80, v6
	s_cbranch_execz .LBB275_728
; %bb.723:                              ;   in Loop: Header=BB275_671 Depth=1
	v_mov_b32_e32 v16, 0x7f800001
	v_bfe_u32 v83, v81, 16, 7
	v_mov_b32_e32 v17, 0
	s_mov_b32 s13, exec_lo
	s_delay_alu instid0(VALU_DEP_2)
	v_cmpx_ne_u32_e32 0x7f, v83
	s_cbranch_execz .LBB275_727
; %bb.724:                              ;   in Loop: Header=BB275_671 Depth=1
	v_and_b32_e32 v6, 7, v82
	v_lshrrev_b32_e32 v16, 3, v83
	s_mov_b32 s15, exec_lo
	v_cmpx_gt_u32_e32 8, v83
; %bb.725:                              ;   in Loop: Header=BB275_671 Depth=1
	s_delay_alu instid0(VALU_DEP_3) | instskip(NEXT) | instid1(VALU_DEP_1)
	v_clz_i32_u32_e32 v16, v6
	v_min_u32_e32 v16, 32, v16
	s_delay_alu instid0(VALU_DEP_1) | instskip(SKIP_1) | instid1(VALU_DEP_2)
	v_subrev_nc_u32_e32 v17, 28, v16
	v_sub_nc_u32_e32 v16, 29, v16
	v_lshlrev_b64 v[83:84], v17, v[6:7]
	s_delay_alu instid0(VALU_DEP_1)
	v_and_b32_e32 v6, 7, v83
; %bb.726:                              ;   in Loop: Header=BB275_671 Depth=1
	s_or_b32 exec_lo, exec_lo, s15
	v_lshlrev_b32_e32 v17, 24, v82
	s_delay_alu instid0(VALU_DEP_2) | instskip(SKIP_1) | instid1(VALU_DEP_3)
	v_lshlrev_b32_e32 v6, 20, v6
	v_lshl_add_u32 v16, v16, 23, 0x3c000000
	v_and_b32_e32 v17, 0x80000000, v17
	s_delay_alu instid0(VALU_DEP_1) | instskip(NEXT) | instid1(VALU_DEP_1)
	v_or3_b32 v6, v6, v17, v16
	v_dual_mov_b32 v17, v7 :: v_dual_mov_b32 v16, v6
.LBB275_727:                            ;   in Loop: Header=BB275_671 Depth=1
	s_or_b32 exec_lo, exec_lo, s13
.LBB275_728:                            ;   in Loop: Header=BB275_671 Depth=1
	s_delay_alu instid0(SALU_CYCLE_1)
	s_or_b32 exec_lo, exec_lo, s12
.LBB275_729:                            ;   in Loop: Header=BB275_671 Depth=1
	s_delay_alu instid0(SALU_CYCLE_1) | instskip(NEXT) | instid1(SALU_CYCLE_1)
	s_or_b32 exec_lo, exec_lo, s10
	s_mov_b32 s12, exec_lo
	v_cmpx_lt_u32_e32 0xffffff, v81
	s_cbranch_execz .LBB275_737
; %bb.730:                              ;   in Loop: Header=BB275_671 Depth=1
	v_lshrrev_b32_e32 v82, 24, v81
	v_dual_mov_b32 v19, s9 :: v_dual_mov_b32 v18, s8
	s_mov_b32 s13, exec_lo
	s_delay_alu instid0(VALU_DEP_2)
	v_cmpx_ne_u32_e32 0x80, v82
	s_cbranch_execz .LBB275_736
; %bb.731:                              ;   in Loop: Header=BB275_671 Depth=1
	s_mov_b32 s10, s8
	v_bfe_u32 v81, v81, 24, 7
	v_dual_mov_b32 v19, s11 :: v_dual_mov_b32 v18, s10
	s_mov_b32 s10, exec_lo
	s_delay_alu instid0(VALU_DEP_2)
	v_cmpx_ne_u32_e32 0x7f, v81
	s_cbranch_execz .LBB275_735
; %bb.732:                              ;   in Loop: Header=BB275_671 Depth=1
	v_and_b32_e32 v6, 7, v82
	v_lshrrev_b32_e32 v18, 3, v81
	s_mov_b32 s15, exec_lo
	v_cmpx_gt_u32_e32 8, v81
; %bb.733:                              ;   in Loop: Header=BB275_671 Depth=1
	s_delay_alu instid0(VALU_DEP_3) | instskip(NEXT) | instid1(VALU_DEP_1)
	v_clz_i32_u32_e32 v18, v6
	v_min_u32_e32 v18, 32, v18
	s_delay_alu instid0(VALU_DEP_1) | instskip(SKIP_1) | instid1(VALU_DEP_2)
	v_subrev_nc_u32_e32 v19, 28, v18
	v_sub_nc_u32_e32 v18, 29, v18
	v_lshlrev_b64 v[83:84], v19, v[6:7]
	s_delay_alu instid0(VALU_DEP_1)
	v_and_b32_e32 v6, 7, v83
; %bb.734:                              ;   in Loop: Header=BB275_671 Depth=1
	s_or_b32 exec_lo, exec_lo, s15
	v_lshlrev_b32_e32 v19, 24, v82
	s_delay_alu instid0(VALU_DEP_2) | instskip(SKIP_1) | instid1(VALU_DEP_3)
	v_lshlrev_b32_e32 v6, 20, v6
	v_lshl_add_u32 v18, v18, 23, 0x3c000000
	v_and_b32_e32 v19, 0x80000000, v19
	s_delay_alu instid0(VALU_DEP_1)
	v_or3_b32 v19, v6, v19, v18
	v_mov_b32_e32 v18, v7
.LBB275_735:                            ;   in Loop: Header=BB275_671 Depth=1
	s_or_b32 exec_lo, exec_lo, s10
.LBB275_736:                            ;   in Loop: Header=BB275_671 Depth=1
	s_delay_alu instid0(SALU_CYCLE_1)
	s_or_b32 exec_lo, exec_lo, s13
.LBB275_737:                            ;   in Loop: Header=BB275_671 Depth=1
	s_delay_alu instid0(SALU_CYCLE_1) | instskip(SKIP_4) | instid1(VALU_DEP_3)
	s_or_b32 exec_lo, exec_lo, s12
	v_or_b32_e32 v5, v15, v5
	v_or_b32_e32 v4, v14, v4
	;; [unrolled: 1-line block ×4, first 2 shown]
	v_dual_mul_f32 v84, v65, v5 :: v_dual_mul_f32 v83, v54, v4
	s_delay_alu instid0(VALU_DEP_3) | instskip(NEXT) | instid1(VALU_DEP_3)
	v_mul_f32_e32 v81, v65, v6
	v_mul_f32_e32 v82, v54, v14
	s_and_saveexec_b32 s10, vcc_lo
; %bb.738:                              ;   in Loop: Header=BB275_671 Depth=1
	v_cmp_lt_i32_e64 s0, v70, v119
	s_delay_alu instid0(VALU_DEP_1) | instskip(SKIP_1) | instid1(VALU_DEP_1)
	v_cndmask_b32_e64 v83, 0, v83, s0
	v_cmp_lt_i32_e64 s0, v80, v119
	v_cndmask_b32_e64 v84, 0, v84, s0
	v_cmp_lt_i32_e64 s0, v71, v119
	s_delay_alu instid0(VALU_DEP_1) | instskip(SKIP_1) | instid1(VALU_DEP_1)
	v_cndmask_b32_e64 v82, 0, v82, s0
	v_cmp_lt_i32_e64 s0, v21, v119
	v_cndmask_b32_e64 v81, 0, v81, s0
; %bb.739:                              ;   in Loop: Header=BB275_671 Depth=1
	s_or_b32 exec_lo, exec_lo, s10
	flat_load_b32 v85, v[12:13] offset:256
	v_mov_b32_e32 v14, 0
	v_mov_b32_e32 v15, 0
	s_mov_b32 s10, exec_lo
	s_waitcnt vmcnt(0) lgkmcnt(0)
	v_and_b32_e32 v6, 0xff, v85
	s_delay_alu instid0(VALU_DEP_2) | instskip(NEXT) | instid1(VALU_DEP_2)
	v_dual_mov_b32 v4, v14 :: v_dual_mov_b32 v5, v15
	v_cmpx_ne_u16_e32 0, v6
	s_cbranch_execz .LBB275_747
; %bb.740:                              ;   in Loop: Header=BB275_671 Depth=1
	v_bfrev_b32_e32 v4, 1
	v_mov_b32_e32 v5, 0
	s_mov_b32 s12, exec_lo
	v_cmpx_ne_u16_e32 0x80, v6
	s_cbranch_execz .LBB275_746
; %bb.741:                              ;   in Loop: Header=BB275_671 Depth=1
	v_mov_b32_e32 v4, 0x7f800001
	v_dual_mov_b32 v5, 0 :: v_dual_and_b32 v16, 0x7f, v85
	s_mov_b32 s13, exec_lo
	s_delay_alu instid0(VALU_DEP_1)
	v_cmpx_ne_u32_e32 0x7f, v16
	s_cbranch_execz .LBB275_745
; %bb.742:                              ;   in Loop: Header=BB275_671 Depth=1
	v_and_b32_e32 v6, 7, v85
	v_lshrrev_b32_e32 v4, 3, v16
	s_mov_b32 s15, exec_lo
	v_cmpx_gt_u32_e32 8, v16
; %bb.743:                              ;   in Loop: Header=BB275_671 Depth=1
	s_delay_alu instid0(VALU_DEP_3) | instskip(NEXT) | instid1(VALU_DEP_1)
	v_clz_i32_u32_e32 v4, v6
	v_min_u32_e32 v4, 32, v4
	s_delay_alu instid0(VALU_DEP_1) | instskip(SKIP_1) | instid1(VALU_DEP_2)
	v_subrev_nc_u32_e32 v5, 28, v4
	v_sub_nc_u32_e32 v4, 29, v4
	v_lshlrev_b64 v[5:6], v5, v[6:7]
	s_delay_alu instid0(VALU_DEP_1)
	v_and_b32_e32 v6, 7, v5
; %bb.744:                              ;   in Loop: Header=BB275_671 Depth=1
	s_or_b32 exec_lo, exec_lo, s15
	v_lshlrev_b32_e32 v5, 24, v85
	s_delay_alu instid0(VALU_DEP_2) | instskip(SKIP_1) | instid1(VALU_DEP_3)
	v_lshlrev_b32_e32 v6, 20, v6
	v_lshl_add_u32 v4, v4, 23, 0x3c000000
	v_and_b32_e32 v5, 0x80000000, v5
	s_delay_alu instid0(VALU_DEP_1) | instskip(NEXT) | instid1(VALU_DEP_1)
	v_or3_b32 v6, v6, v5, v4
	v_dual_mov_b32 v4, v6 :: v_dual_mov_b32 v5, v7
.LBB275_745:                            ;   in Loop: Header=BB275_671 Depth=1
	s_or_b32 exec_lo, exec_lo, s13
.LBB275_746:                            ;   in Loop: Header=BB275_671 Depth=1
	s_delay_alu instid0(SALU_CYCLE_1)
	s_or_b32 exec_lo, exec_lo, s12
.LBB275_747:                            ;   in Loop: Header=BB275_671 Depth=1
	s_delay_alu instid0(SALU_CYCLE_1) | instskip(SKIP_2) | instid1(VALU_DEP_1)
	s_or_b32 exec_lo, exec_lo, s10
	v_lshrrev_b16 v6, 8, v85
	s_mov_b32 s12, exec_lo
	v_cmpx_ne_u16_e32 0, v6
	s_cbranch_execz .LBB275_755
; %bb.748:                              ;   in Loop: Header=BB275_671 Depth=1
	v_dual_mov_b32 v15, s9 :: v_dual_mov_b32 v14, s8
	s_mov_b32 s13, exec_lo
	v_cmpx_ne_u16_e32 0x80, v6
	s_cbranch_execz .LBB275_754
; %bb.749:                              ;   in Loop: Header=BB275_671 Depth=1
	s_mov_b32 s10, s8
	v_dual_mov_b32 v15, s11 :: v_dual_and_b32 v6, 0xffff, v6
	v_mov_b32_e32 v14, s10
	s_mov_b32 s10, exec_lo
	s_delay_alu instid0(VALU_DEP_2) | instskip(NEXT) | instid1(VALU_DEP_1)
	v_and_b32_e32 v16, 0x7f, v6
	v_cmpx_ne_u32_e32 0x7f, v16
	s_cbranch_execz .LBB275_753
; %bb.750:                              ;   in Loop: Header=BB275_671 Depth=1
	v_and_b32_e32 v6, 7, v6
	v_lshrrev_b32_e32 v14, 3, v16
	s_mov_b32 s15, exec_lo
	v_cmpx_gt_u32_e32 8, v16
; %bb.751:                              ;   in Loop: Header=BB275_671 Depth=1
	s_delay_alu instid0(VALU_DEP_3) | instskip(NEXT) | instid1(VALU_DEP_1)
	v_clz_i32_u32_e32 v14, v6
	v_min_u32_e32 v14, 32, v14
	s_delay_alu instid0(VALU_DEP_1) | instskip(SKIP_1) | instid1(VALU_DEP_2)
	v_subrev_nc_u32_e32 v15, 28, v14
	v_sub_nc_u32_e32 v14, 29, v14
	v_lshlrev_b64 v[15:16], v15, v[6:7]
	s_delay_alu instid0(VALU_DEP_1)
	v_and_b32_e32 v6, 7, v15
; %bb.752:                              ;   in Loop: Header=BB275_671 Depth=1
	s_or_b32 exec_lo, exec_lo, s15
	v_lshlrev_b32_e32 v15, 16, v85
	s_delay_alu instid0(VALU_DEP_2) | instskip(SKIP_1) | instid1(VALU_DEP_3)
	v_lshlrev_b32_e32 v6, 20, v6
	v_lshl_add_u32 v14, v14, 23, 0x3c000000
	v_and_b32_e32 v15, 0x80000000, v15
	s_delay_alu instid0(VALU_DEP_1)
	v_or3_b32 v15, v6, v15, v14
	v_mov_b32_e32 v14, v7
.LBB275_753:                            ;   in Loop: Header=BB275_671 Depth=1
	s_or_b32 exec_lo, exec_lo, s10
.LBB275_754:                            ;   in Loop: Header=BB275_671 Depth=1
	s_delay_alu instid0(SALU_CYCLE_1)
	s_or_b32 exec_lo, exec_lo, s13
.LBB275_755:                            ;   in Loop: Header=BB275_671 Depth=1
	s_delay_alu instid0(SALU_CYCLE_1) | instskip(SKIP_4) | instid1(VALU_DEP_2)
	s_or_b32 exec_lo, exec_lo, s12
	v_mov_b32_e32 v18, 0
	v_lshrrev_b32_e32 v86, 16, v85
	v_mov_b32_e32 v19, 0
	s_mov_b32 s10, exec_lo
	v_and_b32_e32 v6, 0xff, v86
	s_delay_alu instid0(VALU_DEP_2) | instskip(NEXT) | instid1(VALU_DEP_2)
	v_dual_mov_b32 v16, v18 :: v_dual_mov_b32 v17, v19
	v_cmpx_ne_u16_e32 0, v6
	s_cbranch_execz .LBB275_763
; %bb.756:                              ;   in Loop: Header=BB275_671 Depth=1
	v_bfrev_b32_e32 v16, 1
	v_mov_b32_e32 v17, 0
	s_mov_b32 s12, exec_lo
	v_cmpx_ne_u16_e32 0x80, v6
	s_cbranch_execz .LBB275_762
; %bb.757:                              ;   in Loop: Header=BB275_671 Depth=1
	v_mov_b32_e32 v16, 0x7f800001
	v_bfe_u32 v87, v85, 16, 7
	v_mov_b32_e32 v17, 0
	s_mov_b32 s13, exec_lo
	s_delay_alu instid0(VALU_DEP_2)
	v_cmpx_ne_u32_e32 0x7f, v87
	s_cbranch_execz .LBB275_761
; %bb.758:                              ;   in Loop: Header=BB275_671 Depth=1
	v_and_b32_e32 v6, 7, v86
	v_lshrrev_b32_e32 v16, 3, v87
	s_mov_b32 s15, exec_lo
	v_cmpx_gt_u32_e32 8, v87
; %bb.759:                              ;   in Loop: Header=BB275_671 Depth=1
	s_delay_alu instid0(VALU_DEP_3) | instskip(NEXT) | instid1(VALU_DEP_1)
	v_clz_i32_u32_e32 v16, v6
	v_min_u32_e32 v16, 32, v16
	s_delay_alu instid0(VALU_DEP_1) | instskip(SKIP_1) | instid1(VALU_DEP_2)
	v_subrev_nc_u32_e32 v17, 28, v16
	v_sub_nc_u32_e32 v16, 29, v16
	v_lshlrev_b64 v[96:97], v17, v[6:7]
	s_delay_alu instid0(VALU_DEP_1)
	v_and_b32_e32 v6, 7, v96
; %bb.760:                              ;   in Loop: Header=BB275_671 Depth=1
	s_or_b32 exec_lo, exec_lo, s15
	v_lshlrev_b32_e32 v17, 24, v86
	s_delay_alu instid0(VALU_DEP_2) | instskip(SKIP_1) | instid1(VALU_DEP_3)
	v_lshlrev_b32_e32 v6, 20, v6
	v_lshl_add_u32 v16, v16, 23, 0x3c000000
	v_and_b32_e32 v17, 0x80000000, v17
	s_delay_alu instid0(VALU_DEP_1) | instskip(NEXT) | instid1(VALU_DEP_1)
	v_or3_b32 v6, v6, v17, v16
	v_dual_mov_b32 v17, v7 :: v_dual_mov_b32 v16, v6
.LBB275_761:                            ;   in Loop: Header=BB275_671 Depth=1
	s_or_b32 exec_lo, exec_lo, s13
.LBB275_762:                            ;   in Loop: Header=BB275_671 Depth=1
	s_delay_alu instid0(SALU_CYCLE_1)
	s_or_b32 exec_lo, exec_lo, s12
.LBB275_763:                            ;   in Loop: Header=BB275_671 Depth=1
	s_delay_alu instid0(SALU_CYCLE_1) | instskip(NEXT) | instid1(SALU_CYCLE_1)
	s_or_b32 exec_lo, exec_lo, s10
	s_mov_b32 s12, exec_lo
	v_cmpx_lt_u32_e32 0xffffff, v85
	s_cbranch_execz .LBB275_771
; %bb.764:                              ;   in Loop: Header=BB275_671 Depth=1
	v_lshrrev_b32_e32 v86, 24, v85
	v_dual_mov_b32 v19, s9 :: v_dual_mov_b32 v18, s8
	s_mov_b32 s13, exec_lo
	s_delay_alu instid0(VALU_DEP_2)
	v_cmpx_ne_u32_e32 0x80, v86
	s_cbranch_execz .LBB275_770
; %bb.765:                              ;   in Loop: Header=BB275_671 Depth=1
	s_mov_b32 s10, s8
	v_bfe_u32 v85, v85, 24, 7
	v_dual_mov_b32 v19, s11 :: v_dual_mov_b32 v18, s10
	s_mov_b32 s10, exec_lo
	s_delay_alu instid0(VALU_DEP_2)
	v_cmpx_ne_u32_e32 0x7f, v85
	s_cbranch_execz .LBB275_769
; %bb.766:                              ;   in Loop: Header=BB275_671 Depth=1
	v_and_b32_e32 v6, 7, v86
	v_lshrrev_b32_e32 v18, 3, v85
	s_mov_b32 s15, exec_lo
	v_cmpx_gt_u32_e32 8, v85
; %bb.767:                              ;   in Loop: Header=BB275_671 Depth=1
	s_delay_alu instid0(VALU_DEP_3) | instskip(NEXT) | instid1(VALU_DEP_1)
	v_clz_i32_u32_e32 v18, v6
	v_min_u32_e32 v18, 32, v18
	s_delay_alu instid0(VALU_DEP_1) | instskip(SKIP_1) | instid1(VALU_DEP_2)
	v_subrev_nc_u32_e32 v19, 28, v18
	v_sub_nc_u32_e32 v18, 29, v18
	v_lshlrev_b64 v[96:97], v19, v[6:7]
	s_delay_alu instid0(VALU_DEP_1)
	v_and_b32_e32 v6, 7, v96
; %bb.768:                              ;   in Loop: Header=BB275_671 Depth=1
	s_or_b32 exec_lo, exec_lo, s15
	v_lshlrev_b32_e32 v19, 24, v86
	s_delay_alu instid0(VALU_DEP_2) | instskip(SKIP_1) | instid1(VALU_DEP_3)
	v_lshlrev_b32_e32 v6, 20, v6
	v_lshl_add_u32 v18, v18, 23, 0x3c000000
	v_and_b32_e32 v19, 0x80000000, v19
	s_delay_alu instid0(VALU_DEP_1)
	v_or3_b32 v19, v6, v19, v18
	v_mov_b32_e32 v18, v7
.LBB275_769:                            ;   in Loop: Header=BB275_671 Depth=1
	s_or_b32 exec_lo, exec_lo, s10
.LBB275_770:                            ;   in Loop: Header=BB275_671 Depth=1
	s_delay_alu instid0(SALU_CYCLE_1)
	s_or_b32 exec_lo, exec_lo, s13
.LBB275_771:                            ;   in Loop: Header=BB275_671 Depth=1
	s_delay_alu instid0(SALU_CYCLE_1) | instskip(SKIP_4) | instid1(VALU_DEP_3)
	s_or_b32 exec_lo, exec_lo, s12
	v_or_b32_e32 v5, v15, v5
	v_or_b32_e32 v4, v14, v4
	;; [unrolled: 1-line block ×4, first 2 shown]
	v_dual_mul_f32 v96, v65, v5 :: v_dual_mul_f32 v87, v54, v4
	s_delay_alu instid0(VALU_DEP_3) | instskip(NEXT) | instid1(VALU_DEP_3)
	v_mul_f32_e32 v85, v65, v6
	v_mul_f32_e32 v86, v54, v14
	s_and_saveexec_b32 s10, vcc_lo
; %bb.772:                              ;   in Loop: Header=BB275_671 Depth=1
	v_cmp_lt_i32_e64 s0, v70, v119
	s_delay_alu instid0(VALU_DEP_1) | instskip(SKIP_1) | instid1(VALU_DEP_1)
	v_cndmask_b32_e64 v87, 0, v87, s0
	v_cmp_lt_i32_e64 s0, v80, v119
	v_cndmask_b32_e64 v96, 0, v96, s0
	v_cmp_lt_i32_e64 s0, v71, v119
	s_delay_alu instid0(VALU_DEP_1) | instskip(SKIP_1) | instid1(VALU_DEP_1)
	v_cndmask_b32_e64 v86, 0, v86, s0
	v_cmp_lt_i32_e64 s0, v21, v119
	v_cndmask_b32_e64 v85, 0, v85, s0
; %bb.773:                              ;   in Loop: Header=BB275_671 Depth=1
	s_or_b32 exec_lo, exec_lo, s10
	flat_load_b32 v97, v[12:13] offset:384
	v_mov_b32_e32 v14, 0
	v_mov_b32_e32 v15, 0
	s_mov_b32 s10, exec_lo
	s_waitcnt vmcnt(0) lgkmcnt(0)
	v_and_b32_e32 v6, 0xff, v97
	s_delay_alu instid0(VALU_DEP_2) | instskip(NEXT) | instid1(VALU_DEP_2)
	v_dual_mov_b32 v4, v14 :: v_dual_mov_b32 v5, v15
	v_cmpx_ne_u16_e32 0, v6
	s_cbranch_execz .LBB275_781
; %bb.774:                              ;   in Loop: Header=BB275_671 Depth=1
	v_bfrev_b32_e32 v4, 1
	v_mov_b32_e32 v5, 0
	s_mov_b32 s12, exec_lo
	v_cmpx_ne_u16_e32 0x80, v6
	s_cbranch_execz .LBB275_780
; %bb.775:                              ;   in Loop: Header=BB275_671 Depth=1
	v_mov_b32_e32 v4, 0x7f800001
	v_dual_mov_b32 v5, 0 :: v_dual_and_b32 v16, 0x7f, v97
	s_mov_b32 s13, exec_lo
	s_delay_alu instid0(VALU_DEP_1)
	v_cmpx_ne_u32_e32 0x7f, v16
	s_cbranch_execz .LBB275_779
; %bb.776:                              ;   in Loop: Header=BB275_671 Depth=1
	v_and_b32_e32 v6, 7, v97
	v_lshrrev_b32_e32 v4, 3, v16
	s_mov_b32 s15, exec_lo
	v_cmpx_gt_u32_e32 8, v16
; %bb.777:                              ;   in Loop: Header=BB275_671 Depth=1
	s_delay_alu instid0(VALU_DEP_3) | instskip(NEXT) | instid1(VALU_DEP_1)
	v_clz_i32_u32_e32 v4, v6
	v_min_u32_e32 v4, 32, v4
	s_delay_alu instid0(VALU_DEP_1) | instskip(SKIP_1) | instid1(VALU_DEP_2)
	v_subrev_nc_u32_e32 v5, 28, v4
	v_sub_nc_u32_e32 v4, 29, v4
	v_lshlrev_b64 v[5:6], v5, v[6:7]
	s_delay_alu instid0(VALU_DEP_1)
	v_and_b32_e32 v6, 7, v5
; %bb.778:                              ;   in Loop: Header=BB275_671 Depth=1
	s_or_b32 exec_lo, exec_lo, s15
	v_lshlrev_b32_e32 v5, 24, v97
	s_delay_alu instid0(VALU_DEP_2) | instskip(SKIP_1) | instid1(VALU_DEP_3)
	v_lshlrev_b32_e32 v6, 20, v6
	v_lshl_add_u32 v4, v4, 23, 0x3c000000
	v_and_b32_e32 v5, 0x80000000, v5
	s_delay_alu instid0(VALU_DEP_1) | instskip(NEXT) | instid1(VALU_DEP_1)
	v_or3_b32 v6, v6, v5, v4
	v_dual_mov_b32 v4, v6 :: v_dual_mov_b32 v5, v7
.LBB275_779:                            ;   in Loop: Header=BB275_671 Depth=1
	s_or_b32 exec_lo, exec_lo, s13
.LBB275_780:                            ;   in Loop: Header=BB275_671 Depth=1
	s_delay_alu instid0(SALU_CYCLE_1)
	s_or_b32 exec_lo, exec_lo, s12
.LBB275_781:                            ;   in Loop: Header=BB275_671 Depth=1
	s_delay_alu instid0(SALU_CYCLE_1) | instskip(SKIP_2) | instid1(VALU_DEP_1)
	s_or_b32 exec_lo, exec_lo, s10
	v_lshrrev_b16 v6, 8, v97
	s_mov_b32 s12, exec_lo
	v_cmpx_ne_u16_e32 0, v6
	s_cbranch_execz .LBB275_789
; %bb.782:                              ;   in Loop: Header=BB275_671 Depth=1
	v_dual_mov_b32 v15, s9 :: v_dual_mov_b32 v14, s8
	s_mov_b32 s13, exec_lo
	v_cmpx_ne_u16_e32 0x80, v6
	s_cbranch_execz .LBB275_788
; %bb.783:                              ;   in Loop: Header=BB275_671 Depth=1
	s_mov_b32 s10, s8
	v_dual_mov_b32 v15, s11 :: v_dual_and_b32 v6, 0xffff, v6
	v_mov_b32_e32 v14, s10
	s_mov_b32 s10, exec_lo
	s_delay_alu instid0(VALU_DEP_2) | instskip(NEXT) | instid1(VALU_DEP_1)
	v_and_b32_e32 v16, 0x7f, v6
	v_cmpx_ne_u32_e32 0x7f, v16
	s_cbranch_execz .LBB275_787
; %bb.784:                              ;   in Loop: Header=BB275_671 Depth=1
	v_and_b32_e32 v6, 7, v6
	v_lshrrev_b32_e32 v14, 3, v16
	s_mov_b32 s15, exec_lo
	v_cmpx_gt_u32_e32 8, v16
; %bb.785:                              ;   in Loop: Header=BB275_671 Depth=1
	s_delay_alu instid0(VALU_DEP_3) | instskip(NEXT) | instid1(VALU_DEP_1)
	v_clz_i32_u32_e32 v14, v6
	v_min_u32_e32 v14, 32, v14
	s_delay_alu instid0(VALU_DEP_1) | instskip(SKIP_1) | instid1(VALU_DEP_2)
	v_subrev_nc_u32_e32 v15, 28, v14
	v_sub_nc_u32_e32 v14, 29, v14
	v_lshlrev_b64 v[15:16], v15, v[6:7]
	s_delay_alu instid0(VALU_DEP_1)
	v_and_b32_e32 v6, 7, v15
; %bb.786:                              ;   in Loop: Header=BB275_671 Depth=1
	s_or_b32 exec_lo, exec_lo, s15
	v_lshlrev_b32_e32 v15, 16, v97
	s_delay_alu instid0(VALU_DEP_2) | instskip(SKIP_1) | instid1(VALU_DEP_3)
	v_lshlrev_b32_e32 v6, 20, v6
	v_lshl_add_u32 v14, v14, 23, 0x3c000000
	v_and_b32_e32 v15, 0x80000000, v15
	s_delay_alu instid0(VALU_DEP_1)
	v_or3_b32 v15, v6, v15, v14
	v_mov_b32_e32 v14, v7
.LBB275_787:                            ;   in Loop: Header=BB275_671 Depth=1
	s_or_b32 exec_lo, exec_lo, s10
.LBB275_788:                            ;   in Loop: Header=BB275_671 Depth=1
	s_delay_alu instid0(SALU_CYCLE_1)
	s_or_b32 exec_lo, exec_lo, s13
.LBB275_789:                            ;   in Loop: Header=BB275_671 Depth=1
	s_delay_alu instid0(SALU_CYCLE_1) | instskip(SKIP_4) | instid1(VALU_DEP_2)
	s_or_b32 exec_lo, exec_lo, s12
	v_mov_b32_e32 v18, 0
	v_lshrrev_b32_e32 v98, 16, v97
	v_mov_b32_e32 v19, 0
	s_mov_b32 s10, exec_lo
	v_and_b32_e32 v6, 0xff, v98
	s_delay_alu instid0(VALU_DEP_2) | instskip(NEXT) | instid1(VALU_DEP_2)
	v_dual_mov_b32 v16, v18 :: v_dual_mov_b32 v17, v19
	v_cmpx_ne_u16_e32 0, v6
	s_cbranch_execz .LBB275_797
; %bb.790:                              ;   in Loop: Header=BB275_671 Depth=1
	v_bfrev_b32_e32 v16, 1
	v_mov_b32_e32 v17, 0
	s_mov_b32 s12, exec_lo
	v_cmpx_ne_u16_e32 0x80, v6
	s_cbranch_execz .LBB275_796
; %bb.791:                              ;   in Loop: Header=BB275_671 Depth=1
	v_mov_b32_e32 v16, 0x7f800001
	v_bfe_u32 v99, v97, 16, 7
	v_mov_b32_e32 v17, 0
	s_mov_b32 s13, exec_lo
	s_delay_alu instid0(VALU_DEP_2)
	v_cmpx_ne_u32_e32 0x7f, v99
	s_cbranch_execz .LBB275_795
; %bb.792:                              ;   in Loop: Header=BB275_671 Depth=1
	v_and_b32_e32 v6, 7, v98
	v_lshrrev_b32_e32 v16, 3, v99
	s_mov_b32 s15, exec_lo
	v_cmpx_gt_u32_e32 8, v99
; %bb.793:                              ;   in Loop: Header=BB275_671 Depth=1
	s_delay_alu instid0(VALU_DEP_3) | instskip(NEXT) | instid1(VALU_DEP_1)
	v_clz_i32_u32_e32 v16, v6
	v_min_u32_e32 v16, 32, v16
	s_delay_alu instid0(VALU_DEP_1) | instskip(SKIP_1) | instid1(VALU_DEP_2)
	v_subrev_nc_u32_e32 v17, 28, v16
	v_sub_nc_u32_e32 v16, 29, v16
	v_lshlrev_b64 v[99:100], v17, v[6:7]
	s_delay_alu instid0(VALU_DEP_1)
	v_and_b32_e32 v6, 7, v99
; %bb.794:                              ;   in Loop: Header=BB275_671 Depth=1
	s_or_b32 exec_lo, exec_lo, s15
	v_lshlrev_b32_e32 v17, 24, v98
	s_delay_alu instid0(VALU_DEP_2) | instskip(SKIP_1) | instid1(VALU_DEP_3)
	v_lshlrev_b32_e32 v6, 20, v6
	v_lshl_add_u32 v16, v16, 23, 0x3c000000
	v_and_b32_e32 v17, 0x80000000, v17
	s_delay_alu instid0(VALU_DEP_1) | instskip(NEXT) | instid1(VALU_DEP_1)
	v_or3_b32 v6, v6, v17, v16
	v_dual_mov_b32 v17, v7 :: v_dual_mov_b32 v16, v6
.LBB275_795:                            ;   in Loop: Header=BB275_671 Depth=1
	s_or_b32 exec_lo, exec_lo, s13
.LBB275_796:                            ;   in Loop: Header=BB275_671 Depth=1
	s_delay_alu instid0(SALU_CYCLE_1)
	s_or_b32 exec_lo, exec_lo, s12
.LBB275_797:                            ;   in Loop: Header=BB275_671 Depth=1
	s_delay_alu instid0(SALU_CYCLE_1) | instskip(NEXT) | instid1(SALU_CYCLE_1)
	s_or_b32 exec_lo, exec_lo, s10
	s_mov_b32 s12, exec_lo
	v_cmpx_lt_u32_e32 0xffffff, v97
	s_cbranch_execz .LBB275_805
; %bb.798:                              ;   in Loop: Header=BB275_671 Depth=1
	v_lshrrev_b32_e32 v98, 24, v97
	v_dual_mov_b32 v19, s9 :: v_dual_mov_b32 v18, s8
	s_mov_b32 s13, exec_lo
	s_delay_alu instid0(VALU_DEP_2)
	v_cmpx_ne_u32_e32 0x80, v98
	s_cbranch_execz .LBB275_804
; %bb.799:                              ;   in Loop: Header=BB275_671 Depth=1
	s_mov_b32 s10, s8
	v_bfe_u32 v97, v97, 24, 7
	v_dual_mov_b32 v19, s11 :: v_dual_mov_b32 v18, s10
	s_mov_b32 s10, exec_lo
	s_delay_alu instid0(VALU_DEP_2)
	v_cmpx_ne_u32_e32 0x7f, v97
	s_cbranch_execz .LBB275_803
; %bb.800:                              ;   in Loop: Header=BB275_671 Depth=1
	v_and_b32_e32 v6, 7, v98
	v_lshrrev_b32_e32 v18, 3, v97
	s_mov_b32 s15, exec_lo
	v_cmpx_gt_u32_e32 8, v97
; %bb.801:                              ;   in Loop: Header=BB275_671 Depth=1
	s_delay_alu instid0(VALU_DEP_3) | instskip(NEXT) | instid1(VALU_DEP_1)
	v_clz_i32_u32_e32 v18, v6
	v_min_u32_e32 v18, 32, v18
	s_delay_alu instid0(VALU_DEP_1) | instskip(SKIP_1) | instid1(VALU_DEP_2)
	v_subrev_nc_u32_e32 v19, 28, v18
	v_sub_nc_u32_e32 v18, 29, v18
	v_lshlrev_b64 v[99:100], v19, v[6:7]
	s_delay_alu instid0(VALU_DEP_1)
	v_and_b32_e32 v6, 7, v99
; %bb.802:                              ;   in Loop: Header=BB275_671 Depth=1
	s_or_b32 exec_lo, exec_lo, s15
	v_lshlrev_b32_e32 v19, 24, v98
	s_delay_alu instid0(VALU_DEP_2) | instskip(SKIP_1) | instid1(VALU_DEP_3)
	v_lshlrev_b32_e32 v6, 20, v6
	v_lshl_add_u32 v18, v18, 23, 0x3c000000
	v_and_b32_e32 v19, 0x80000000, v19
	s_delay_alu instid0(VALU_DEP_1)
	v_or3_b32 v19, v6, v19, v18
	v_mov_b32_e32 v18, v7
.LBB275_803:                            ;   in Loop: Header=BB275_671 Depth=1
	s_or_b32 exec_lo, exec_lo, s10
.LBB275_804:                            ;   in Loop: Header=BB275_671 Depth=1
	s_delay_alu instid0(SALU_CYCLE_1)
	s_or_b32 exec_lo, exec_lo, s13
.LBB275_805:                            ;   in Loop: Header=BB275_671 Depth=1
	s_delay_alu instid0(SALU_CYCLE_1) | instskip(SKIP_4) | instid1(VALU_DEP_3)
	s_or_b32 exec_lo, exec_lo, s12
	v_or_b32_e32 v5, v15, v5
	v_or_b32_e32 v4, v14, v4
	;; [unrolled: 1-line block ×4, first 2 shown]
	v_dual_mul_f32 v100, v65, v5 :: v_dual_mul_f32 v99, v54, v4
	s_delay_alu instid0(VALU_DEP_3) | instskip(NEXT) | instid1(VALU_DEP_3)
	v_mul_f32_e32 v97, v65, v6
	v_mul_f32_e32 v98, v54, v14
	s_and_saveexec_b32 s10, vcc_lo
; %bb.806:                              ;   in Loop: Header=BB275_671 Depth=1
	v_cmp_lt_i32_e64 s0, v70, v119
	s_delay_alu instid0(VALU_DEP_1) | instskip(SKIP_1) | instid1(VALU_DEP_1)
	v_cndmask_b32_e64 v99, 0, v99, s0
	v_cmp_lt_i32_e64 s0, v80, v119
	v_cndmask_b32_e64 v100, 0, v100, s0
	v_cmp_lt_i32_e64 s0, v71, v119
	s_delay_alu instid0(VALU_DEP_1) | instskip(SKIP_1) | instid1(VALU_DEP_1)
	v_cndmask_b32_e64 v98, 0, v98, s0
	v_cmp_lt_i32_e64 s0, v21, v119
	v_cndmask_b32_e64 v97, 0, v97, s0
; %bb.807:                              ;   in Loop: Header=BB275_671 Depth=1
	s_or_b32 exec_lo, exec_lo, s10
	flat_load_b32 v101, v[12:13] offset:512
	v_mov_b32_e32 v14, 0
	v_mov_b32_e32 v15, 0
	s_mov_b32 s10, exec_lo
	s_waitcnt vmcnt(0) lgkmcnt(0)
	v_and_b32_e32 v6, 0xff, v101
	s_delay_alu instid0(VALU_DEP_2) | instskip(NEXT) | instid1(VALU_DEP_2)
	v_dual_mov_b32 v4, v14 :: v_dual_mov_b32 v5, v15
	v_cmpx_ne_u16_e32 0, v6
	s_cbranch_execz .LBB275_815
; %bb.808:                              ;   in Loop: Header=BB275_671 Depth=1
	v_bfrev_b32_e32 v4, 1
	v_mov_b32_e32 v5, 0
	s_mov_b32 s12, exec_lo
	v_cmpx_ne_u16_e32 0x80, v6
	s_cbranch_execz .LBB275_814
; %bb.809:                              ;   in Loop: Header=BB275_671 Depth=1
	v_mov_b32_e32 v4, 0x7f800001
	v_dual_mov_b32 v5, 0 :: v_dual_and_b32 v16, 0x7f, v101
	s_mov_b32 s13, exec_lo
	s_delay_alu instid0(VALU_DEP_1)
	v_cmpx_ne_u32_e32 0x7f, v16
	s_cbranch_execz .LBB275_813
; %bb.810:                              ;   in Loop: Header=BB275_671 Depth=1
	v_and_b32_e32 v6, 7, v101
	v_lshrrev_b32_e32 v4, 3, v16
	s_mov_b32 s15, exec_lo
	v_cmpx_gt_u32_e32 8, v16
; %bb.811:                              ;   in Loop: Header=BB275_671 Depth=1
	s_delay_alu instid0(VALU_DEP_3) | instskip(NEXT) | instid1(VALU_DEP_1)
	v_clz_i32_u32_e32 v4, v6
	v_min_u32_e32 v4, 32, v4
	s_delay_alu instid0(VALU_DEP_1) | instskip(SKIP_1) | instid1(VALU_DEP_2)
	v_subrev_nc_u32_e32 v5, 28, v4
	v_sub_nc_u32_e32 v4, 29, v4
	v_lshlrev_b64 v[5:6], v5, v[6:7]
	s_delay_alu instid0(VALU_DEP_1)
	v_and_b32_e32 v6, 7, v5
; %bb.812:                              ;   in Loop: Header=BB275_671 Depth=1
	s_or_b32 exec_lo, exec_lo, s15
	v_lshlrev_b32_e32 v5, 24, v101
	s_delay_alu instid0(VALU_DEP_2) | instskip(SKIP_1) | instid1(VALU_DEP_3)
	v_lshlrev_b32_e32 v6, 20, v6
	v_lshl_add_u32 v4, v4, 23, 0x3c000000
	v_and_b32_e32 v5, 0x80000000, v5
	s_delay_alu instid0(VALU_DEP_1) | instskip(NEXT) | instid1(VALU_DEP_1)
	v_or3_b32 v6, v6, v5, v4
	v_dual_mov_b32 v4, v6 :: v_dual_mov_b32 v5, v7
.LBB275_813:                            ;   in Loop: Header=BB275_671 Depth=1
	s_or_b32 exec_lo, exec_lo, s13
.LBB275_814:                            ;   in Loop: Header=BB275_671 Depth=1
	s_delay_alu instid0(SALU_CYCLE_1)
	s_or_b32 exec_lo, exec_lo, s12
.LBB275_815:                            ;   in Loop: Header=BB275_671 Depth=1
	s_delay_alu instid0(SALU_CYCLE_1) | instskip(SKIP_2) | instid1(VALU_DEP_1)
	s_or_b32 exec_lo, exec_lo, s10
	v_lshrrev_b16 v6, 8, v101
	s_mov_b32 s12, exec_lo
	v_cmpx_ne_u16_e32 0, v6
	s_cbranch_execz .LBB275_823
; %bb.816:                              ;   in Loop: Header=BB275_671 Depth=1
	v_dual_mov_b32 v15, s9 :: v_dual_mov_b32 v14, s8
	s_mov_b32 s13, exec_lo
	v_cmpx_ne_u16_e32 0x80, v6
	s_cbranch_execz .LBB275_822
; %bb.817:                              ;   in Loop: Header=BB275_671 Depth=1
	s_mov_b32 s10, s8
	v_dual_mov_b32 v15, s11 :: v_dual_and_b32 v6, 0xffff, v6
	v_mov_b32_e32 v14, s10
	s_mov_b32 s10, exec_lo
	s_delay_alu instid0(VALU_DEP_2) | instskip(NEXT) | instid1(VALU_DEP_1)
	v_and_b32_e32 v16, 0x7f, v6
	v_cmpx_ne_u32_e32 0x7f, v16
	s_cbranch_execz .LBB275_821
; %bb.818:                              ;   in Loop: Header=BB275_671 Depth=1
	v_and_b32_e32 v6, 7, v6
	v_lshrrev_b32_e32 v14, 3, v16
	s_mov_b32 s15, exec_lo
	v_cmpx_gt_u32_e32 8, v16
; %bb.819:                              ;   in Loop: Header=BB275_671 Depth=1
	s_delay_alu instid0(VALU_DEP_3) | instskip(NEXT) | instid1(VALU_DEP_1)
	v_clz_i32_u32_e32 v14, v6
	v_min_u32_e32 v14, 32, v14
	s_delay_alu instid0(VALU_DEP_1) | instskip(SKIP_1) | instid1(VALU_DEP_2)
	v_subrev_nc_u32_e32 v15, 28, v14
	v_sub_nc_u32_e32 v14, 29, v14
	v_lshlrev_b64 v[15:16], v15, v[6:7]
	s_delay_alu instid0(VALU_DEP_1)
	v_and_b32_e32 v6, 7, v15
; %bb.820:                              ;   in Loop: Header=BB275_671 Depth=1
	s_or_b32 exec_lo, exec_lo, s15
	v_lshlrev_b32_e32 v15, 16, v101
	s_delay_alu instid0(VALU_DEP_2) | instskip(SKIP_1) | instid1(VALU_DEP_3)
	v_lshlrev_b32_e32 v6, 20, v6
	v_lshl_add_u32 v14, v14, 23, 0x3c000000
	v_and_b32_e32 v15, 0x80000000, v15
	s_delay_alu instid0(VALU_DEP_1)
	v_or3_b32 v15, v6, v15, v14
	v_mov_b32_e32 v14, v7
.LBB275_821:                            ;   in Loop: Header=BB275_671 Depth=1
	s_or_b32 exec_lo, exec_lo, s10
.LBB275_822:                            ;   in Loop: Header=BB275_671 Depth=1
	s_delay_alu instid0(SALU_CYCLE_1)
	s_or_b32 exec_lo, exec_lo, s13
.LBB275_823:                            ;   in Loop: Header=BB275_671 Depth=1
	s_delay_alu instid0(SALU_CYCLE_1) | instskip(SKIP_4) | instid1(VALU_DEP_2)
	s_or_b32 exec_lo, exec_lo, s12
	v_mov_b32_e32 v18, 0
	v_lshrrev_b32_e32 v102, 16, v101
	v_mov_b32_e32 v19, 0
	s_mov_b32 s10, exec_lo
	v_and_b32_e32 v6, 0xff, v102
	s_delay_alu instid0(VALU_DEP_2) | instskip(NEXT) | instid1(VALU_DEP_2)
	v_dual_mov_b32 v16, v18 :: v_dual_mov_b32 v17, v19
	v_cmpx_ne_u16_e32 0, v6
	s_cbranch_execz .LBB275_831
; %bb.824:                              ;   in Loop: Header=BB275_671 Depth=1
	v_bfrev_b32_e32 v16, 1
	v_mov_b32_e32 v17, 0
	s_mov_b32 s12, exec_lo
	v_cmpx_ne_u16_e32 0x80, v6
	s_cbranch_execz .LBB275_830
; %bb.825:                              ;   in Loop: Header=BB275_671 Depth=1
	v_mov_b32_e32 v16, 0x7f800001
	v_bfe_u32 v103, v101, 16, 7
	v_mov_b32_e32 v17, 0
	s_mov_b32 s13, exec_lo
	s_delay_alu instid0(VALU_DEP_2)
	v_cmpx_ne_u32_e32 0x7f, v103
	s_cbranch_execz .LBB275_829
; %bb.826:                              ;   in Loop: Header=BB275_671 Depth=1
	v_and_b32_e32 v6, 7, v102
	v_lshrrev_b32_e32 v16, 3, v103
	s_mov_b32 s15, exec_lo
	v_cmpx_gt_u32_e32 8, v103
; %bb.827:                              ;   in Loop: Header=BB275_671 Depth=1
	s_delay_alu instid0(VALU_DEP_3) | instskip(NEXT) | instid1(VALU_DEP_1)
	v_clz_i32_u32_e32 v16, v6
	v_min_u32_e32 v16, 32, v16
	s_delay_alu instid0(VALU_DEP_1) | instskip(SKIP_1) | instid1(VALU_DEP_2)
	v_subrev_nc_u32_e32 v17, 28, v16
	v_sub_nc_u32_e32 v16, 29, v16
	v_lshlrev_b64 v[112:113], v17, v[6:7]
	s_delay_alu instid0(VALU_DEP_1)
	v_and_b32_e32 v6, 7, v112
; %bb.828:                              ;   in Loop: Header=BB275_671 Depth=1
	s_or_b32 exec_lo, exec_lo, s15
	v_lshlrev_b32_e32 v17, 24, v102
	s_delay_alu instid0(VALU_DEP_2) | instskip(SKIP_1) | instid1(VALU_DEP_3)
	v_lshlrev_b32_e32 v6, 20, v6
	v_lshl_add_u32 v16, v16, 23, 0x3c000000
	v_and_b32_e32 v17, 0x80000000, v17
	s_delay_alu instid0(VALU_DEP_1) | instskip(NEXT) | instid1(VALU_DEP_1)
	v_or3_b32 v6, v6, v17, v16
	v_dual_mov_b32 v17, v7 :: v_dual_mov_b32 v16, v6
.LBB275_829:                            ;   in Loop: Header=BB275_671 Depth=1
	s_or_b32 exec_lo, exec_lo, s13
.LBB275_830:                            ;   in Loop: Header=BB275_671 Depth=1
	s_delay_alu instid0(SALU_CYCLE_1)
	s_or_b32 exec_lo, exec_lo, s12
.LBB275_831:                            ;   in Loop: Header=BB275_671 Depth=1
	s_delay_alu instid0(SALU_CYCLE_1) | instskip(NEXT) | instid1(SALU_CYCLE_1)
	s_or_b32 exec_lo, exec_lo, s10
	s_mov_b32 s12, exec_lo
	v_cmpx_lt_u32_e32 0xffffff, v101
	s_cbranch_execz .LBB275_839
; %bb.832:                              ;   in Loop: Header=BB275_671 Depth=1
	v_lshrrev_b32_e32 v102, 24, v101
	v_dual_mov_b32 v19, s9 :: v_dual_mov_b32 v18, s8
	s_mov_b32 s13, exec_lo
	s_delay_alu instid0(VALU_DEP_2)
	v_cmpx_ne_u32_e32 0x80, v102
	s_cbranch_execz .LBB275_838
; %bb.833:                              ;   in Loop: Header=BB275_671 Depth=1
	s_mov_b32 s10, s8
	v_bfe_u32 v101, v101, 24, 7
	v_dual_mov_b32 v19, s11 :: v_dual_mov_b32 v18, s10
	s_mov_b32 s10, exec_lo
	s_delay_alu instid0(VALU_DEP_2)
	v_cmpx_ne_u32_e32 0x7f, v101
	s_cbranch_execz .LBB275_837
; %bb.834:                              ;   in Loop: Header=BB275_671 Depth=1
	v_and_b32_e32 v6, 7, v102
	v_lshrrev_b32_e32 v18, 3, v101
	s_mov_b32 s15, exec_lo
	v_cmpx_gt_u32_e32 8, v101
; %bb.835:                              ;   in Loop: Header=BB275_671 Depth=1
	s_delay_alu instid0(VALU_DEP_3) | instskip(NEXT) | instid1(VALU_DEP_1)
	v_clz_i32_u32_e32 v18, v6
	v_min_u32_e32 v18, 32, v18
	s_delay_alu instid0(VALU_DEP_1) | instskip(SKIP_1) | instid1(VALU_DEP_2)
	v_subrev_nc_u32_e32 v19, 28, v18
	v_sub_nc_u32_e32 v18, 29, v18
	v_lshlrev_b64 v[112:113], v19, v[6:7]
	s_delay_alu instid0(VALU_DEP_1)
	v_and_b32_e32 v6, 7, v112
; %bb.836:                              ;   in Loop: Header=BB275_671 Depth=1
	s_or_b32 exec_lo, exec_lo, s15
	v_lshlrev_b32_e32 v19, 24, v102
	s_delay_alu instid0(VALU_DEP_2) | instskip(SKIP_1) | instid1(VALU_DEP_3)
	v_lshlrev_b32_e32 v6, 20, v6
	v_lshl_add_u32 v18, v18, 23, 0x3c000000
	v_and_b32_e32 v19, 0x80000000, v19
	s_delay_alu instid0(VALU_DEP_1)
	v_or3_b32 v19, v6, v19, v18
	v_mov_b32_e32 v18, v7
.LBB275_837:                            ;   in Loop: Header=BB275_671 Depth=1
	s_or_b32 exec_lo, exec_lo, s10
.LBB275_838:                            ;   in Loop: Header=BB275_671 Depth=1
	s_delay_alu instid0(SALU_CYCLE_1)
	s_or_b32 exec_lo, exec_lo, s13
.LBB275_839:                            ;   in Loop: Header=BB275_671 Depth=1
	s_delay_alu instid0(SALU_CYCLE_1) | instskip(SKIP_4) | instid1(VALU_DEP_3)
	s_or_b32 exec_lo, exec_lo, s12
	v_or_b32_e32 v5, v15, v5
	v_or_b32_e32 v4, v14, v4
	;; [unrolled: 1-line block ×4, first 2 shown]
	v_dual_mul_f32 v112, v65, v5 :: v_dual_mul_f32 v103, v54, v4
	s_delay_alu instid0(VALU_DEP_3) | instskip(NEXT) | instid1(VALU_DEP_3)
	v_mul_f32_e32 v101, v65, v6
	v_mul_f32_e32 v102, v54, v14
	s_and_saveexec_b32 s10, vcc_lo
; %bb.840:                              ;   in Loop: Header=BB275_671 Depth=1
	v_cmp_lt_i32_e64 s0, v70, v119
	s_delay_alu instid0(VALU_DEP_1) | instskip(SKIP_1) | instid1(VALU_DEP_1)
	v_cndmask_b32_e64 v103, 0, v103, s0
	v_cmp_lt_i32_e64 s0, v80, v119
	v_cndmask_b32_e64 v112, 0, v112, s0
	v_cmp_lt_i32_e64 s0, v71, v119
	s_delay_alu instid0(VALU_DEP_1) | instskip(SKIP_1) | instid1(VALU_DEP_1)
	v_cndmask_b32_e64 v102, 0, v102, s0
	v_cmp_lt_i32_e64 s0, v21, v119
	v_cndmask_b32_e64 v101, 0, v101, s0
; %bb.841:                              ;   in Loop: Header=BB275_671 Depth=1
	s_or_b32 exec_lo, exec_lo, s10
	flat_load_b32 v113, v[12:13] offset:640
	v_mov_b32_e32 v14, 0
	v_mov_b32_e32 v15, 0
	s_mov_b32 s10, exec_lo
	s_waitcnt vmcnt(0) lgkmcnt(0)
	v_and_b32_e32 v6, 0xff, v113
	s_delay_alu instid0(VALU_DEP_2) | instskip(NEXT) | instid1(VALU_DEP_2)
	v_dual_mov_b32 v4, v14 :: v_dual_mov_b32 v5, v15
	v_cmpx_ne_u16_e32 0, v6
	s_cbranch_execz .LBB275_849
; %bb.842:                              ;   in Loop: Header=BB275_671 Depth=1
	v_bfrev_b32_e32 v4, 1
	v_mov_b32_e32 v5, 0
	s_mov_b32 s12, exec_lo
	v_cmpx_ne_u16_e32 0x80, v6
	s_cbranch_execz .LBB275_848
; %bb.843:                              ;   in Loop: Header=BB275_671 Depth=1
	v_mov_b32_e32 v4, 0x7f800001
	v_dual_mov_b32 v5, 0 :: v_dual_and_b32 v16, 0x7f, v113
	s_mov_b32 s13, exec_lo
	s_delay_alu instid0(VALU_DEP_1)
	v_cmpx_ne_u32_e32 0x7f, v16
	s_cbranch_execz .LBB275_847
; %bb.844:                              ;   in Loop: Header=BB275_671 Depth=1
	v_and_b32_e32 v6, 7, v113
	v_lshrrev_b32_e32 v4, 3, v16
	s_mov_b32 s15, exec_lo
	v_cmpx_gt_u32_e32 8, v16
; %bb.845:                              ;   in Loop: Header=BB275_671 Depth=1
	s_delay_alu instid0(VALU_DEP_3) | instskip(NEXT) | instid1(VALU_DEP_1)
	v_clz_i32_u32_e32 v4, v6
	v_min_u32_e32 v4, 32, v4
	s_delay_alu instid0(VALU_DEP_1) | instskip(SKIP_1) | instid1(VALU_DEP_2)
	v_subrev_nc_u32_e32 v5, 28, v4
	v_sub_nc_u32_e32 v4, 29, v4
	v_lshlrev_b64 v[5:6], v5, v[6:7]
	s_delay_alu instid0(VALU_DEP_1)
	v_and_b32_e32 v6, 7, v5
; %bb.846:                              ;   in Loop: Header=BB275_671 Depth=1
	s_or_b32 exec_lo, exec_lo, s15
	v_lshlrev_b32_e32 v5, 24, v113
	s_delay_alu instid0(VALU_DEP_2) | instskip(SKIP_1) | instid1(VALU_DEP_3)
	v_lshlrev_b32_e32 v6, 20, v6
	v_lshl_add_u32 v4, v4, 23, 0x3c000000
	v_and_b32_e32 v5, 0x80000000, v5
	s_delay_alu instid0(VALU_DEP_1) | instskip(NEXT) | instid1(VALU_DEP_1)
	v_or3_b32 v6, v6, v5, v4
	v_dual_mov_b32 v4, v6 :: v_dual_mov_b32 v5, v7
.LBB275_847:                            ;   in Loop: Header=BB275_671 Depth=1
	s_or_b32 exec_lo, exec_lo, s13
.LBB275_848:                            ;   in Loop: Header=BB275_671 Depth=1
	s_delay_alu instid0(SALU_CYCLE_1)
	s_or_b32 exec_lo, exec_lo, s12
.LBB275_849:                            ;   in Loop: Header=BB275_671 Depth=1
	s_delay_alu instid0(SALU_CYCLE_1) | instskip(SKIP_2) | instid1(VALU_DEP_1)
	s_or_b32 exec_lo, exec_lo, s10
	v_lshrrev_b16 v6, 8, v113
	s_mov_b32 s12, exec_lo
	v_cmpx_ne_u16_e32 0, v6
	s_cbranch_execz .LBB275_857
; %bb.850:                              ;   in Loop: Header=BB275_671 Depth=1
	v_dual_mov_b32 v15, s9 :: v_dual_mov_b32 v14, s8
	s_mov_b32 s13, exec_lo
	v_cmpx_ne_u16_e32 0x80, v6
	s_cbranch_execz .LBB275_856
; %bb.851:                              ;   in Loop: Header=BB275_671 Depth=1
	s_mov_b32 s10, s8
	v_dual_mov_b32 v15, s11 :: v_dual_and_b32 v6, 0xffff, v6
	v_mov_b32_e32 v14, s10
	s_mov_b32 s10, exec_lo
	s_delay_alu instid0(VALU_DEP_2) | instskip(NEXT) | instid1(VALU_DEP_1)
	v_and_b32_e32 v16, 0x7f, v6
	v_cmpx_ne_u32_e32 0x7f, v16
	s_cbranch_execz .LBB275_855
; %bb.852:                              ;   in Loop: Header=BB275_671 Depth=1
	v_and_b32_e32 v6, 7, v6
	v_lshrrev_b32_e32 v14, 3, v16
	s_mov_b32 s15, exec_lo
	v_cmpx_gt_u32_e32 8, v16
; %bb.853:                              ;   in Loop: Header=BB275_671 Depth=1
	s_delay_alu instid0(VALU_DEP_3) | instskip(NEXT) | instid1(VALU_DEP_1)
	v_clz_i32_u32_e32 v14, v6
	v_min_u32_e32 v14, 32, v14
	s_delay_alu instid0(VALU_DEP_1) | instskip(SKIP_1) | instid1(VALU_DEP_2)
	v_subrev_nc_u32_e32 v15, 28, v14
	v_sub_nc_u32_e32 v14, 29, v14
	v_lshlrev_b64 v[15:16], v15, v[6:7]
	s_delay_alu instid0(VALU_DEP_1)
	v_and_b32_e32 v6, 7, v15
; %bb.854:                              ;   in Loop: Header=BB275_671 Depth=1
	s_or_b32 exec_lo, exec_lo, s15
	v_lshlrev_b32_e32 v15, 16, v113
	s_delay_alu instid0(VALU_DEP_2) | instskip(SKIP_1) | instid1(VALU_DEP_3)
	v_lshlrev_b32_e32 v6, 20, v6
	v_lshl_add_u32 v14, v14, 23, 0x3c000000
	v_and_b32_e32 v15, 0x80000000, v15
	s_delay_alu instid0(VALU_DEP_1)
	v_or3_b32 v15, v6, v15, v14
	v_mov_b32_e32 v14, v7
.LBB275_855:                            ;   in Loop: Header=BB275_671 Depth=1
	s_or_b32 exec_lo, exec_lo, s10
.LBB275_856:                            ;   in Loop: Header=BB275_671 Depth=1
	s_delay_alu instid0(SALU_CYCLE_1)
	s_or_b32 exec_lo, exec_lo, s13
.LBB275_857:                            ;   in Loop: Header=BB275_671 Depth=1
	s_delay_alu instid0(SALU_CYCLE_1) | instskip(SKIP_4) | instid1(VALU_DEP_2)
	s_or_b32 exec_lo, exec_lo, s12
	v_mov_b32_e32 v18, 0
	v_lshrrev_b32_e32 v114, 16, v113
	v_mov_b32_e32 v19, 0
	s_mov_b32 s10, exec_lo
	v_and_b32_e32 v6, 0xff, v114
	s_delay_alu instid0(VALU_DEP_2) | instskip(NEXT) | instid1(VALU_DEP_2)
	v_dual_mov_b32 v16, v18 :: v_dual_mov_b32 v17, v19
	v_cmpx_ne_u16_e32 0, v6
	s_cbranch_execz .LBB275_865
; %bb.858:                              ;   in Loop: Header=BB275_671 Depth=1
	v_bfrev_b32_e32 v16, 1
	v_mov_b32_e32 v17, 0
	s_mov_b32 s12, exec_lo
	v_cmpx_ne_u16_e32 0x80, v6
	s_cbranch_execz .LBB275_864
; %bb.859:                              ;   in Loop: Header=BB275_671 Depth=1
	v_mov_b32_e32 v16, 0x7f800001
	v_bfe_u32 v115, v113, 16, 7
	v_mov_b32_e32 v17, 0
	s_mov_b32 s13, exec_lo
	s_delay_alu instid0(VALU_DEP_2)
	v_cmpx_ne_u32_e32 0x7f, v115
	s_cbranch_execz .LBB275_863
; %bb.860:                              ;   in Loop: Header=BB275_671 Depth=1
	v_and_b32_e32 v6, 7, v114
	v_lshrrev_b32_e32 v16, 3, v115
	s_mov_b32 s15, exec_lo
	v_cmpx_gt_u32_e32 8, v115
; %bb.861:                              ;   in Loop: Header=BB275_671 Depth=1
	s_delay_alu instid0(VALU_DEP_3) | instskip(NEXT) | instid1(VALU_DEP_1)
	v_clz_i32_u32_e32 v16, v6
	v_min_u32_e32 v16, 32, v16
	s_delay_alu instid0(VALU_DEP_1) | instskip(SKIP_1) | instid1(VALU_DEP_2)
	v_subrev_nc_u32_e32 v17, 28, v16
	v_sub_nc_u32_e32 v16, 29, v16
	v_lshlrev_b64 v[115:116], v17, v[6:7]
	s_delay_alu instid0(VALU_DEP_1)
	v_and_b32_e32 v6, 7, v115
; %bb.862:                              ;   in Loop: Header=BB275_671 Depth=1
	s_or_b32 exec_lo, exec_lo, s15
	v_lshlrev_b32_e32 v17, 24, v114
	s_delay_alu instid0(VALU_DEP_2) | instskip(SKIP_1) | instid1(VALU_DEP_3)
	v_lshlrev_b32_e32 v6, 20, v6
	v_lshl_add_u32 v16, v16, 23, 0x3c000000
	v_and_b32_e32 v17, 0x80000000, v17
	s_delay_alu instid0(VALU_DEP_1) | instskip(NEXT) | instid1(VALU_DEP_1)
	v_or3_b32 v6, v6, v17, v16
	v_dual_mov_b32 v17, v7 :: v_dual_mov_b32 v16, v6
.LBB275_863:                            ;   in Loop: Header=BB275_671 Depth=1
	s_or_b32 exec_lo, exec_lo, s13
.LBB275_864:                            ;   in Loop: Header=BB275_671 Depth=1
	s_delay_alu instid0(SALU_CYCLE_1)
	s_or_b32 exec_lo, exec_lo, s12
.LBB275_865:                            ;   in Loop: Header=BB275_671 Depth=1
	s_delay_alu instid0(SALU_CYCLE_1) | instskip(NEXT) | instid1(SALU_CYCLE_1)
	s_or_b32 exec_lo, exec_lo, s10
	s_mov_b32 s12, exec_lo
	v_cmpx_lt_u32_e32 0xffffff, v113
	s_cbranch_execz .LBB275_873
; %bb.866:                              ;   in Loop: Header=BB275_671 Depth=1
	v_lshrrev_b32_e32 v114, 24, v113
	v_dual_mov_b32 v19, s9 :: v_dual_mov_b32 v18, s8
	s_mov_b32 s13, exec_lo
	s_delay_alu instid0(VALU_DEP_2)
	v_cmpx_ne_u32_e32 0x80, v114
	s_cbranch_execz .LBB275_872
; %bb.867:                              ;   in Loop: Header=BB275_671 Depth=1
	s_mov_b32 s10, s8
	v_bfe_u32 v113, v113, 24, 7
	v_dual_mov_b32 v19, s11 :: v_dual_mov_b32 v18, s10
	s_mov_b32 s10, exec_lo
	s_delay_alu instid0(VALU_DEP_2)
	v_cmpx_ne_u32_e32 0x7f, v113
	s_cbranch_execz .LBB275_871
; %bb.868:                              ;   in Loop: Header=BB275_671 Depth=1
	v_and_b32_e32 v6, 7, v114
	v_lshrrev_b32_e32 v18, 3, v113
	s_mov_b32 s15, exec_lo
	v_cmpx_gt_u32_e32 8, v113
; %bb.869:                              ;   in Loop: Header=BB275_671 Depth=1
	s_delay_alu instid0(VALU_DEP_3) | instskip(NEXT) | instid1(VALU_DEP_1)
	v_clz_i32_u32_e32 v18, v6
	v_min_u32_e32 v18, 32, v18
	s_delay_alu instid0(VALU_DEP_1) | instskip(SKIP_1) | instid1(VALU_DEP_2)
	v_subrev_nc_u32_e32 v19, 28, v18
	v_sub_nc_u32_e32 v18, 29, v18
	v_lshlrev_b64 v[115:116], v19, v[6:7]
	s_delay_alu instid0(VALU_DEP_1)
	v_and_b32_e32 v6, 7, v115
; %bb.870:                              ;   in Loop: Header=BB275_671 Depth=1
	s_or_b32 exec_lo, exec_lo, s15
	v_lshlrev_b32_e32 v19, 24, v114
	s_delay_alu instid0(VALU_DEP_2) | instskip(SKIP_1) | instid1(VALU_DEP_3)
	v_lshlrev_b32_e32 v6, 20, v6
	v_lshl_add_u32 v18, v18, 23, 0x3c000000
	v_and_b32_e32 v19, 0x80000000, v19
	s_delay_alu instid0(VALU_DEP_1)
	v_or3_b32 v19, v6, v19, v18
	v_mov_b32_e32 v18, v7
.LBB275_871:                            ;   in Loop: Header=BB275_671 Depth=1
	s_or_b32 exec_lo, exec_lo, s10
.LBB275_872:                            ;   in Loop: Header=BB275_671 Depth=1
	s_delay_alu instid0(SALU_CYCLE_1)
	s_or_b32 exec_lo, exec_lo, s13
.LBB275_873:                            ;   in Loop: Header=BB275_671 Depth=1
	s_delay_alu instid0(SALU_CYCLE_1) | instskip(SKIP_4) | instid1(VALU_DEP_3)
	s_or_b32 exec_lo, exec_lo, s12
	v_or_b32_e32 v5, v15, v5
	v_or_b32_e32 v4, v14, v4
	;; [unrolled: 1-line block ×4, first 2 shown]
	v_dual_mul_f32 v116, v65, v5 :: v_dual_mul_f32 v115, v54, v4
	s_delay_alu instid0(VALU_DEP_3) | instskip(NEXT) | instid1(VALU_DEP_3)
	v_mul_f32_e32 v113, v65, v6
	v_mul_f32_e32 v114, v54, v14
	s_and_saveexec_b32 s10, vcc_lo
; %bb.874:                              ;   in Loop: Header=BB275_671 Depth=1
	v_cmp_lt_i32_e64 s0, v70, v119
	s_delay_alu instid0(VALU_DEP_1) | instskip(SKIP_1) | instid1(VALU_DEP_1)
	v_cndmask_b32_e64 v115, 0, v115, s0
	v_cmp_lt_i32_e64 s0, v80, v119
	v_cndmask_b32_e64 v116, 0, v116, s0
	v_cmp_lt_i32_e64 s0, v71, v119
	s_delay_alu instid0(VALU_DEP_1) | instskip(SKIP_1) | instid1(VALU_DEP_1)
	v_cndmask_b32_e64 v114, 0, v114, s0
	v_cmp_lt_i32_e64 s0, v21, v119
	v_cndmask_b32_e64 v113, 0, v113, s0
; %bb.875:                              ;   in Loop: Header=BB275_671 Depth=1
	s_or_b32 exec_lo, exec_lo, s10
	flat_load_b32 v117, v[12:13] offset:768
	v_mov_b32_e32 v14, 0
	v_mov_b32_e32 v15, 0
	s_mov_b32 s10, exec_lo
	s_waitcnt vmcnt(0) lgkmcnt(0)
	v_and_b32_e32 v6, 0xff, v117
	s_delay_alu instid0(VALU_DEP_2) | instskip(NEXT) | instid1(VALU_DEP_2)
	v_dual_mov_b32 v4, v14 :: v_dual_mov_b32 v5, v15
	v_cmpx_ne_u16_e32 0, v6
	s_cbranch_execz .LBB275_883
; %bb.876:                              ;   in Loop: Header=BB275_671 Depth=1
	v_bfrev_b32_e32 v4, 1
	v_mov_b32_e32 v5, 0
	s_mov_b32 s12, exec_lo
	v_cmpx_ne_u16_e32 0x80, v6
	s_cbranch_execz .LBB275_882
; %bb.877:                              ;   in Loop: Header=BB275_671 Depth=1
	v_mov_b32_e32 v4, 0x7f800001
	v_dual_mov_b32 v5, 0 :: v_dual_and_b32 v16, 0x7f, v117
	s_mov_b32 s13, exec_lo
	s_delay_alu instid0(VALU_DEP_1)
	v_cmpx_ne_u32_e32 0x7f, v16
	s_cbranch_execz .LBB275_881
; %bb.878:                              ;   in Loop: Header=BB275_671 Depth=1
	v_and_b32_e32 v6, 7, v117
	v_lshrrev_b32_e32 v4, 3, v16
	s_mov_b32 s15, exec_lo
	v_cmpx_gt_u32_e32 8, v16
; %bb.879:                              ;   in Loop: Header=BB275_671 Depth=1
	s_delay_alu instid0(VALU_DEP_3) | instskip(NEXT) | instid1(VALU_DEP_1)
	v_clz_i32_u32_e32 v4, v6
	v_min_u32_e32 v4, 32, v4
	s_delay_alu instid0(VALU_DEP_1) | instskip(SKIP_1) | instid1(VALU_DEP_2)
	v_subrev_nc_u32_e32 v5, 28, v4
	v_sub_nc_u32_e32 v4, 29, v4
	v_lshlrev_b64 v[5:6], v5, v[6:7]
	s_delay_alu instid0(VALU_DEP_1)
	v_and_b32_e32 v6, 7, v5
; %bb.880:                              ;   in Loop: Header=BB275_671 Depth=1
	s_or_b32 exec_lo, exec_lo, s15
	v_lshlrev_b32_e32 v5, 24, v117
	s_delay_alu instid0(VALU_DEP_2) | instskip(SKIP_1) | instid1(VALU_DEP_3)
	v_lshlrev_b32_e32 v6, 20, v6
	v_lshl_add_u32 v4, v4, 23, 0x3c000000
	v_and_b32_e32 v5, 0x80000000, v5
	s_delay_alu instid0(VALU_DEP_1) | instskip(NEXT) | instid1(VALU_DEP_1)
	v_or3_b32 v6, v6, v5, v4
	v_dual_mov_b32 v4, v6 :: v_dual_mov_b32 v5, v7
.LBB275_881:                            ;   in Loop: Header=BB275_671 Depth=1
	s_or_b32 exec_lo, exec_lo, s13
.LBB275_882:                            ;   in Loop: Header=BB275_671 Depth=1
	s_delay_alu instid0(SALU_CYCLE_1)
	s_or_b32 exec_lo, exec_lo, s12
.LBB275_883:                            ;   in Loop: Header=BB275_671 Depth=1
	s_delay_alu instid0(SALU_CYCLE_1) | instskip(SKIP_2) | instid1(VALU_DEP_1)
	s_or_b32 exec_lo, exec_lo, s10
	v_lshrrev_b16 v6, 8, v117
	s_mov_b32 s12, exec_lo
	v_cmpx_ne_u16_e32 0, v6
	s_cbranch_execz .LBB275_891
; %bb.884:                              ;   in Loop: Header=BB275_671 Depth=1
	v_dual_mov_b32 v15, s9 :: v_dual_mov_b32 v14, s8
	s_mov_b32 s13, exec_lo
	v_cmpx_ne_u16_e32 0x80, v6
	s_cbranch_execz .LBB275_890
; %bb.885:                              ;   in Loop: Header=BB275_671 Depth=1
	s_mov_b32 s10, s8
	v_dual_mov_b32 v15, s11 :: v_dual_and_b32 v6, 0xffff, v6
	v_mov_b32_e32 v14, s10
	s_mov_b32 s10, exec_lo
	s_delay_alu instid0(VALU_DEP_2) | instskip(NEXT) | instid1(VALU_DEP_1)
	v_and_b32_e32 v16, 0x7f, v6
	v_cmpx_ne_u32_e32 0x7f, v16
	s_cbranch_execz .LBB275_889
; %bb.886:                              ;   in Loop: Header=BB275_671 Depth=1
	v_and_b32_e32 v6, 7, v6
	v_lshrrev_b32_e32 v14, 3, v16
	s_mov_b32 s15, exec_lo
	v_cmpx_gt_u32_e32 8, v16
; %bb.887:                              ;   in Loop: Header=BB275_671 Depth=1
	s_delay_alu instid0(VALU_DEP_3) | instskip(NEXT) | instid1(VALU_DEP_1)
	v_clz_i32_u32_e32 v14, v6
	v_min_u32_e32 v14, 32, v14
	s_delay_alu instid0(VALU_DEP_1) | instskip(SKIP_1) | instid1(VALU_DEP_2)
	v_subrev_nc_u32_e32 v15, 28, v14
	v_sub_nc_u32_e32 v14, 29, v14
	v_lshlrev_b64 v[15:16], v15, v[6:7]
	s_delay_alu instid0(VALU_DEP_1)
	v_and_b32_e32 v6, 7, v15
; %bb.888:                              ;   in Loop: Header=BB275_671 Depth=1
	s_or_b32 exec_lo, exec_lo, s15
	v_lshlrev_b32_e32 v15, 16, v117
	s_delay_alu instid0(VALU_DEP_2) | instskip(SKIP_1) | instid1(VALU_DEP_3)
	v_lshlrev_b32_e32 v6, 20, v6
	v_lshl_add_u32 v14, v14, 23, 0x3c000000
	v_and_b32_e32 v15, 0x80000000, v15
	s_delay_alu instid0(VALU_DEP_1)
	v_or3_b32 v15, v6, v15, v14
	v_mov_b32_e32 v14, v7
.LBB275_889:                            ;   in Loop: Header=BB275_671 Depth=1
	s_or_b32 exec_lo, exec_lo, s10
.LBB275_890:                            ;   in Loop: Header=BB275_671 Depth=1
	s_delay_alu instid0(SALU_CYCLE_1)
	s_or_b32 exec_lo, exec_lo, s13
.LBB275_891:                            ;   in Loop: Header=BB275_671 Depth=1
	s_delay_alu instid0(SALU_CYCLE_1) | instskip(SKIP_4) | instid1(VALU_DEP_2)
	s_or_b32 exec_lo, exec_lo, s12
	v_mov_b32_e32 v18, 0
	v_lshrrev_b32_e32 v118, 16, v117
	v_mov_b32_e32 v19, 0
	s_mov_b32 s10, exec_lo
	v_and_b32_e32 v6, 0xff, v118
	s_delay_alu instid0(VALU_DEP_2) | instskip(NEXT) | instid1(VALU_DEP_2)
	v_dual_mov_b32 v16, v18 :: v_dual_mov_b32 v17, v19
	v_cmpx_ne_u16_e32 0, v6
	s_cbranch_execz .LBB275_899
; %bb.892:                              ;   in Loop: Header=BB275_671 Depth=1
	v_bfrev_b32_e32 v16, 1
	v_mov_b32_e32 v17, 0
	s_mov_b32 s12, exec_lo
	v_cmpx_ne_u16_e32 0x80, v6
	s_cbranch_execz .LBB275_898
; %bb.893:                              ;   in Loop: Header=BB275_671 Depth=1
	v_mov_b32_e32 v16, 0x7f800001
	v_bfe_u32 v128, v117, 16, 7
	v_mov_b32_e32 v17, 0
	s_mov_b32 s13, exec_lo
	s_delay_alu instid0(VALU_DEP_2)
	v_cmpx_ne_u32_e32 0x7f, v128
	s_cbranch_execz .LBB275_897
; %bb.894:                              ;   in Loop: Header=BB275_671 Depth=1
	v_and_b32_e32 v6, 7, v118
	v_lshrrev_b32_e32 v16, 3, v128
	s_mov_b32 s15, exec_lo
	v_cmpx_gt_u32_e32 8, v128
; %bb.895:                              ;   in Loop: Header=BB275_671 Depth=1
	s_delay_alu instid0(VALU_DEP_3) | instskip(NEXT) | instid1(VALU_DEP_1)
	v_clz_i32_u32_e32 v16, v6
	v_min_u32_e32 v16, 32, v16
	s_delay_alu instid0(VALU_DEP_1) | instskip(SKIP_1) | instid1(VALU_DEP_2)
	v_subrev_nc_u32_e32 v17, 28, v16
	v_sub_nc_u32_e32 v16, 29, v16
	v_lshlrev_b64 v[128:129], v17, v[6:7]
	s_delay_alu instid0(VALU_DEP_1)
	v_and_b32_e32 v6, 7, v128
; %bb.896:                              ;   in Loop: Header=BB275_671 Depth=1
	s_or_b32 exec_lo, exec_lo, s15
	v_lshlrev_b32_e32 v17, 24, v118
	s_delay_alu instid0(VALU_DEP_2) | instskip(SKIP_1) | instid1(VALU_DEP_3)
	v_lshlrev_b32_e32 v6, 20, v6
	v_lshl_add_u32 v16, v16, 23, 0x3c000000
	v_and_b32_e32 v17, 0x80000000, v17
	s_delay_alu instid0(VALU_DEP_1) | instskip(NEXT) | instid1(VALU_DEP_1)
	v_or3_b32 v6, v6, v17, v16
	v_dual_mov_b32 v17, v7 :: v_dual_mov_b32 v16, v6
.LBB275_897:                            ;   in Loop: Header=BB275_671 Depth=1
	s_or_b32 exec_lo, exec_lo, s13
.LBB275_898:                            ;   in Loop: Header=BB275_671 Depth=1
	s_delay_alu instid0(SALU_CYCLE_1)
	s_or_b32 exec_lo, exec_lo, s12
.LBB275_899:                            ;   in Loop: Header=BB275_671 Depth=1
	s_delay_alu instid0(SALU_CYCLE_1) | instskip(NEXT) | instid1(SALU_CYCLE_1)
	s_or_b32 exec_lo, exec_lo, s10
	s_mov_b32 s12, exec_lo
	v_cmpx_lt_u32_e32 0xffffff, v117
	s_cbranch_execz .LBB275_907
; %bb.900:                              ;   in Loop: Header=BB275_671 Depth=1
	v_lshrrev_b32_e32 v118, 24, v117
	v_dual_mov_b32 v19, s9 :: v_dual_mov_b32 v18, s8
	s_mov_b32 s13, exec_lo
	s_delay_alu instid0(VALU_DEP_2)
	v_cmpx_ne_u32_e32 0x80, v118
	s_cbranch_execz .LBB275_906
; %bb.901:                              ;   in Loop: Header=BB275_671 Depth=1
	s_mov_b32 s10, s8
	v_bfe_u32 v117, v117, 24, 7
	v_dual_mov_b32 v19, s11 :: v_dual_mov_b32 v18, s10
	s_mov_b32 s10, exec_lo
	s_delay_alu instid0(VALU_DEP_2)
	v_cmpx_ne_u32_e32 0x7f, v117
	s_cbranch_execz .LBB275_905
; %bb.902:                              ;   in Loop: Header=BB275_671 Depth=1
	v_and_b32_e32 v6, 7, v118
	v_lshrrev_b32_e32 v18, 3, v117
	s_mov_b32 s15, exec_lo
	v_cmpx_gt_u32_e32 8, v117
; %bb.903:                              ;   in Loop: Header=BB275_671 Depth=1
	s_delay_alu instid0(VALU_DEP_3) | instskip(NEXT) | instid1(VALU_DEP_1)
	v_clz_i32_u32_e32 v18, v6
	v_min_u32_e32 v18, 32, v18
	s_delay_alu instid0(VALU_DEP_1) | instskip(SKIP_1) | instid1(VALU_DEP_2)
	v_subrev_nc_u32_e32 v19, 28, v18
	v_sub_nc_u32_e32 v18, 29, v18
	v_lshlrev_b64 v[128:129], v19, v[6:7]
	s_delay_alu instid0(VALU_DEP_1)
	v_and_b32_e32 v6, 7, v128
; %bb.904:                              ;   in Loop: Header=BB275_671 Depth=1
	s_or_b32 exec_lo, exec_lo, s15
	v_lshlrev_b32_e32 v19, 24, v118
	s_delay_alu instid0(VALU_DEP_2) | instskip(SKIP_1) | instid1(VALU_DEP_3)
	v_lshlrev_b32_e32 v6, 20, v6
	v_lshl_add_u32 v18, v18, 23, 0x3c000000
	v_and_b32_e32 v19, 0x80000000, v19
	s_delay_alu instid0(VALU_DEP_1)
	v_or3_b32 v19, v6, v19, v18
	v_mov_b32_e32 v18, v7
.LBB275_905:                            ;   in Loop: Header=BB275_671 Depth=1
	s_or_b32 exec_lo, exec_lo, s10
.LBB275_906:                            ;   in Loop: Header=BB275_671 Depth=1
	s_delay_alu instid0(SALU_CYCLE_1)
	s_or_b32 exec_lo, exec_lo, s13
.LBB275_907:                            ;   in Loop: Header=BB275_671 Depth=1
	s_delay_alu instid0(SALU_CYCLE_1) | instskip(SKIP_4) | instid1(VALU_DEP_3)
	s_or_b32 exec_lo, exec_lo, s12
	v_or_b32_e32 v5, v15, v5
	v_or_b32_e32 v4, v14, v4
	;; [unrolled: 1-line block ×4, first 2 shown]
	v_dual_mul_f32 v129, v65, v5 :: v_dual_mul_f32 v128, v54, v4
	s_delay_alu instid0(VALU_DEP_3) | instskip(NEXT) | instid1(VALU_DEP_3)
	v_mul_f32_e32 v117, v65, v6
	v_mul_f32_e32 v118, v54, v14
	s_and_saveexec_b32 s10, vcc_lo
; %bb.908:                              ;   in Loop: Header=BB275_671 Depth=1
	v_cmp_lt_i32_e64 s0, v70, v119
	s_delay_alu instid0(VALU_DEP_1) | instskip(SKIP_1) | instid1(VALU_DEP_1)
	v_cndmask_b32_e64 v128, 0, v128, s0
	v_cmp_lt_i32_e64 s0, v80, v119
	v_cndmask_b32_e64 v129, 0, v129, s0
	v_cmp_lt_i32_e64 s0, v71, v119
	s_delay_alu instid0(VALU_DEP_1) | instskip(SKIP_1) | instid1(VALU_DEP_1)
	v_cndmask_b32_e64 v118, 0, v118, s0
	v_cmp_lt_i32_e64 s0, v21, v119
	v_cndmask_b32_e64 v117, 0, v117, s0
; %bb.909:                              ;   in Loop: Header=BB275_671 Depth=1
	s_or_b32 exec_lo, exec_lo, s10
	flat_load_b32 v130, v[12:13] offset:896
	v_mov_b32_e32 v14, 0
	v_mov_b32_e32 v15, 0
	s_mov_b32 s10, exec_lo
	s_waitcnt vmcnt(0) lgkmcnt(0)
	v_and_b32_e32 v6, 0xff, v130
	s_delay_alu instid0(VALU_DEP_2) | instskip(NEXT) | instid1(VALU_DEP_2)
	v_dual_mov_b32 v4, v14 :: v_dual_mov_b32 v5, v15
	v_cmpx_ne_u16_e32 0, v6
	s_cbranch_execz .LBB275_917
; %bb.910:                              ;   in Loop: Header=BB275_671 Depth=1
	v_bfrev_b32_e32 v4, 1
	v_mov_b32_e32 v5, 0
	s_mov_b32 s12, exec_lo
	v_cmpx_ne_u16_e32 0x80, v6
	s_cbranch_execz .LBB275_916
; %bb.911:                              ;   in Loop: Header=BB275_671 Depth=1
	v_mov_b32_e32 v4, 0x7f800001
	v_dual_mov_b32 v5, 0 :: v_dual_and_b32 v16, 0x7f, v130
	s_mov_b32 s13, exec_lo
	s_delay_alu instid0(VALU_DEP_1)
	v_cmpx_ne_u32_e32 0x7f, v16
	s_cbranch_execz .LBB275_915
; %bb.912:                              ;   in Loop: Header=BB275_671 Depth=1
	v_and_b32_e32 v6, 7, v130
	v_lshrrev_b32_e32 v4, 3, v16
	s_mov_b32 s15, exec_lo
	v_cmpx_gt_u32_e32 8, v16
; %bb.913:                              ;   in Loop: Header=BB275_671 Depth=1
	s_delay_alu instid0(VALU_DEP_3) | instskip(NEXT) | instid1(VALU_DEP_1)
	v_clz_i32_u32_e32 v4, v6
	v_min_u32_e32 v4, 32, v4
	s_delay_alu instid0(VALU_DEP_1) | instskip(SKIP_1) | instid1(VALU_DEP_2)
	v_subrev_nc_u32_e32 v5, 28, v4
	v_sub_nc_u32_e32 v4, 29, v4
	v_lshlrev_b64 v[5:6], v5, v[6:7]
	s_delay_alu instid0(VALU_DEP_1)
	v_and_b32_e32 v6, 7, v5
; %bb.914:                              ;   in Loop: Header=BB275_671 Depth=1
	s_or_b32 exec_lo, exec_lo, s15
	v_lshlrev_b32_e32 v5, 24, v130
	s_delay_alu instid0(VALU_DEP_2) | instskip(SKIP_1) | instid1(VALU_DEP_3)
	v_lshlrev_b32_e32 v6, 20, v6
	v_lshl_add_u32 v4, v4, 23, 0x3c000000
	v_and_b32_e32 v5, 0x80000000, v5
	s_delay_alu instid0(VALU_DEP_1) | instskip(NEXT) | instid1(VALU_DEP_1)
	v_or3_b32 v6, v6, v5, v4
	v_dual_mov_b32 v4, v6 :: v_dual_mov_b32 v5, v7
.LBB275_915:                            ;   in Loop: Header=BB275_671 Depth=1
	s_or_b32 exec_lo, exec_lo, s13
.LBB275_916:                            ;   in Loop: Header=BB275_671 Depth=1
	s_delay_alu instid0(SALU_CYCLE_1)
	s_or_b32 exec_lo, exec_lo, s12
.LBB275_917:                            ;   in Loop: Header=BB275_671 Depth=1
	s_delay_alu instid0(SALU_CYCLE_1) | instskip(SKIP_2) | instid1(VALU_DEP_1)
	s_or_b32 exec_lo, exec_lo, s10
	v_lshrrev_b16 v6, 8, v130
	s_mov_b32 s12, exec_lo
	v_cmpx_ne_u16_e32 0, v6
	s_cbranch_execz .LBB275_925
; %bb.918:                              ;   in Loop: Header=BB275_671 Depth=1
	v_dual_mov_b32 v15, s9 :: v_dual_mov_b32 v14, s8
	s_mov_b32 s13, exec_lo
	v_cmpx_ne_u16_e32 0x80, v6
	s_cbranch_execz .LBB275_924
; %bb.919:                              ;   in Loop: Header=BB275_671 Depth=1
	s_mov_b32 s10, s8
	v_dual_mov_b32 v15, s11 :: v_dual_and_b32 v6, 0xffff, v6
	v_mov_b32_e32 v14, s10
	s_mov_b32 s10, exec_lo
	s_delay_alu instid0(VALU_DEP_2) | instskip(NEXT) | instid1(VALU_DEP_1)
	v_and_b32_e32 v16, 0x7f, v6
	v_cmpx_ne_u32_e32 0x7f, v16
	s_cbranch_execz .LBB275_923
; %bb.920:                              ;   in Loop: Header=BB275_671 Depth=1
	v_and_b32_e32 v6, 7, v6
	v_lshrrev_b32_e32 v14, 3, v16
	s_mov_b32 s15, exec_lo
	v_cmpx_gt_u32_e32 8, v16
; %bb.921:                              ;   in Loop: Header=BB275_671 Depth=1
	s_delay_alu instid0(VALU_DEP_3) | instskip(NEXT) | instid1(VALU_DEP_1)
	v_clz_i32_u32_e32 v14, v6
	v_min_u32_e32 v14, 32, v14
	s_delay_alu instid0(VALU_DEP_1) | instskip(SKIP_1) | instid1(VALU_DEP_2)
	v_subrev_nc_u32_e32 v15, 28, v14
	v_sub_nc_u32_e32 v14, 29, v14
	v_lshlrev_b64 v[15:16], v15, v[6:7]
	s_delay_alu instid0(VALU_DEP_1)
	v_and_b32_e32 v6, 7, v15
; %bb.922:                              ;   in Loop: Header=BB275_671 Depth=1
	s_or_b32 exec_lo, exec_lo, s15
	v_lshlrev_b32_e32 v15, 16, v130
	s_delay_alu instid0(VALU_DEP_2) | instskip(SKIP_1) | instid1(VALU_DEP_3)
	v_lshlrev_b32_e32 v6, 20, v6
	v_lshl_add_u32 v14, v14, 23, 0x3c000000
	v_and_b32_e32 v15, 0x80000000, v15
	s_delay_alu instid0(VALU_DEP_1)
	v_or3_b32 v15, v6, v15, v14
	v_mov_b32_e32 v14, v7
.LBB275_923:                            ;   in Loop: Header=BB275_671 Depth=1
	s_or_b32 exec_lo, exec_lo, s10
.LBB275_924:                            ;   in Loop: Header=BB275_671 Depth=1
	s_delay_alu instid0(SALU_CYCLE_1)
	s_or_b32 exec_lo, exec_lo, s13
.LBB275_925:                            ;   in Loop: Header=BB275_671 Depth=1
	s_delay_alu instid0(SALU_CYCLE_1) | instskip(SKIP_4) | instid1(VALU_DEP_2)
	s_or_b32 exec_lo, exec_lo, s12
	v_mov_b32_e32 v18, 0
	v_lshrrev_b32_e32 v131, 16, v130
	v_mov_b32_e32 v19, 0
	s_mov_b32 s10, exec_lo
	v_and_b32_e32 v6, 0xff, v131
	s_delay_alu instid0(VALU_DEP_2) | instskip(NEXT) | instid1(VALU_DEP_2)
	v_dual_mov_b32 v16, v18 :: v_dual_mov_b32 v17, v19
	v_cmpx_ne_u16_e32 0, v6
	s_cbranch_execz .LBB275_933
; %bb.926:                              ;   in Loop: Header=BB275_671 Depth=1
	v_bfrev_b32_e32 v16, 1
	v_mov_b32_e32 v17, 0
	s_mov_b32 s12, exec_lo
	v_cmpx_ne_u16_e32 0x80, v6
	s_cbranch_execz .LBB275_932
; %bb.927:                              ;   in Loop: Header=BB275_671 Depth=1
	v_mov_b32_e32 v16, 0x7f800001
	v_bfe_u32 v132, v130, 16, 7
	v_mov_b32_e32 v17, 0
	s_mov_b32 s13, exec_lo
	s_delay_alu instid0(VALU_DEP_2)
	v_cmpx_ne_u32_e32 0x7f, v132
	s_cbranch_execz .LBB275_931
; %bb.928:                              ;   in Loop: Header=BB275_671 Depth=1
	v_and_b32_e32 v6, 7, v131
	v_lshrrev_b32_e32 v16, 3, v132
	s_mov_b32 s15, exec_lo
	v_cmpx_gt_u32_e32 8, v132
; %bb.929:                              ;   in Loop: Header=BB275_671 Depth=1
	s_delay_alu instid0(VALU_DEP_3) | instskip(NEXT) | instid1(VALU_DEP_1)
	v_clz_i32_u32_e32 v16, v6
	v_min_u32_e32 v16, 32, v16
	s_delay_alu instid0(VALU_DEP_1) | instskip(SKIP_1) | instid1(VALU_DEP_2)
	v_subrev_nc_u32_e32 v17, 28, v16
	v_sub_nc_u32_e32 v16, 29, v16
	v_lshlrev_b64 v[132:133], v17, v[6:7]
	s_delay_alu instid0(VALU_DEP_1)
	v_and_b32_e32 v6, 7, v132
; %bb.930:                              ;   in Loop: Header=BB275_671 Depth=1
	s_or_b32 exec_lo, exec_lo, s15
	v_lshlrev_b32_e32 v17, 24, v131
	s_delay_alu instid0(VALU_DEP_2) | instskip(SKIP_1) | instid1(VALU_DEP_3)
	v_lshlrev_b32_e32 v6, 20, v6
	v_lshl_add_u32 v16, v16, 23, 0x3c000000
	v_and_b32_e32 v17, 0x80000000, v17
	s_delay_alu instid0(VALU_DEP_1) | instskip(NEXT) | instid1(VALU_DEP_1)
	v_or3_b32 v6, v6, v17, v16
	v_dual_mov_b32 v17, v7 :: v_dual_mov_b32 v16, v6
.LBB275_931:                            ;   in Loop: Header=BB275_671 Depth=1
	s_or_b32 exec_lo, exec_lo, s13
.LBB275_932:                            ;   in Loop: Header=BB275_671 Depth=1
	s_delay_alu instid0(SALU_CYCLE_1)
	s_or_b32 exec_lo, exec_lo, s12
.LBB275_933:                            ;   in Loop: Header=BB275_671 Depth=1
	s_delay_alu instid0(SALU_CYCLE_1) | instskip(NEXT) | instid1(SALU_CYCLE_1)
	s_or_b32 exec_lo, exec_lo, s10
	s_mov_b32 s12, exec_lo
	v_cmpx_lt_u32_e32 0xffffff, v130
	s_cbranch_execz .LBB275_941
; %bb.934:                              ;   in Loop: Header=BB275_671 Depth=1
	v_lshrrev_b32_e32 v131, 24, v130
	v_dual_mov_b32 v19, s9 :: v_dual_mov_b32 v18, s8
	s_mov_b32 s13, exec_lo
	s_delay_alu instid0(VALU_DEP_2)
	v_cmpx_ne_u32_e32 0x80, v131
	s_cbranch_execz .LBB275_940
; %bb.935:                              ;   in Loop: Header=BB275_671 Depth=1
	s_mov_b32 s10, s8
	v_bfe_u32 v130, v130, 24, 7
	v_dual_mov_b32 v19, s11 :: v_dual_mov_b32 v18, s10
	s_mov_b32 s10, exec_lo
	s_delay_alu instid0(VALU_DEP_2)
	v_cmpx_ne_u32_e32 0x7f, v130
	s_cbranch_execz .LBB275_939
; %bb.936:                              ;   in Loop: Header=BB275_671 Depth=1
	v_and_b32_e32 v6, 7, v131
	v_lshrrev_b32_e32 v18, 3, v130
	s_mov_b32 s15, exec_lo
	v_cmpx_gt_u32_e32 8, v130
; %bb.937:                              ;   in Loop: Header=BB275_671 Depth=1
	s_delay_alu instid0(VALU_DEP_3) | instskip(NEXT) | instid1(VALU_DEP_1)
	v_clz_i32_u32_e32 v18, v6
	v_min_u32_e32 v18, 32, v18
	s_delay_alu instid0(VALU_DEP_1) | instskip(SKIP_1) | instid1(VALU_DEP_2)
	v_subrev_nc_u32_e32 v19, 28, v18
	v_sub_nc_u32_e32 v18, 29, v18
	v_lshlrev_b64 v[132:133], v19, v[6:7]
	s_delay_alu instid0(VALU_DEP_1)
	v_and_b32_e32 v6, 7, v132
; %bb.938:                              ;   in Loop: Header=BB275_671 Depth=1
	s_or_b32 exec_lo, exec_lo, s15
	v_lshlrev_b32_e32 v19, 24, v131
	s_delay_alu instid0(VALU_DEP_2) | instskip(SKIP_1) | instid1(VALU_DEP_3)
	v_lshlrev_b32_e32 v6, 20, v6
	v_lshl_add_u32 v18, v18, 23, 0x3c000000
	v_and_b32_e32 v19, 0x80000000, v19
	s_delay_alu instid0(VALU_DEP_1)
	v_or3_b32 v19, v6, v19, v18
	v_mov_b32_e32 v18, v7
.LBB275_939:                            ;   in Loop: Header=BB275_671 Depth=1
	s_or_b32 exec_lo, exec_lo, s10
.LBB275_940:                            ;   in Loop: Header=BB275_671 Depth=1
	s_delay_alu instid0(SALU_CYCLE_1)
	s_or_b32 exec_lo, exec_lo, s13
.LBB275_941:                            ;   in Loop: Header=BB275_671 Depth=1
	s_delay_alu instid0(SALU_CYCLE_1) | instskip(SKIP_4) | instid1(VALU_DEP_3)
	s_or_b32 exec_lo, exec_lo, s12
	v_or_b32_e32 v5, v15, v5
	v_or_b32_e32 v4, v14, v4
	;; [unrolled: 1-line block ×4, first 2 shown]
	v_dual_mul_f32 v133, v65, v5 :: v_dual_mul_f32 v132, v54, v4
	s_delay_alu instid0(VALU_DEP_3) | instskip(NEXT) | instid1(VALU_DEP_3)
	v_mul_f32_e32 v130, v65, v6
	v_mul_f32_e32 v131, v54, v14
	s_and_saveexec_b32 s10, vcc_lo
; %bb.942:                              ;   in Loop: Header=BB275_671 Depth=1
	v_cmp_lt_i32_e64 s0, v70, v119
	s_delay_alu instid0(VALU_DEP_1) | instskip(SKIP_1) | instid1(VALU_DEP_1)
	v_cndmask_b32_e64 v132, 0, v132, s0
	v_cmp_lt_i32_e64 s0, v80, v119
	v_cndmask_b32_e64 v133, 0, v133, s0
	v_cmp_lt_i32_e64 s0, v71, v119
	s_delay_alu instid0(VALU_DEP_1) | instskip(SKIP_1) | instid1(VALU_DEP_1)
	v_cndmask_b32_e64 v131, 0, v131, s0
	v_cmp_lt_i32_e64 s0, v21, v119
	v_cndmask_b32_e64 v130, 0, v130, s0
; %bb.943:                              ;   in Loop: Header=BB275_671 Depth=1
	s_or_b32 exec_lo, exec_lo, s10
	flat_load_b32 v134, v[12:13] offset:1024
	v_mov_b32_e32 v14, 0
	v_mov_b32_e32 v15, 0
	s_mov_b32 s10, exec_lo
	s_waitcnt vmcnt(0) lgkmcnt(0)
	v_and_b32_e32 v6, 0xff, v134
	s_delay_alu instid0(VALU_DEP_2) | instskip(NEXT) | instid1(VALU_DEP_2)
	v_dual_mov_b32 v4, v14 :: v_dual_mov_b32 v5, v15
	v_cmpx_ne_u16_e32 0, v6
	s_cbranch_execz .LBB275_951
; %bb.944:                              ;   in Loop: Header=BB275_671 Depth=1
	v_bfrev_b32_e32 v4, 1
	v_mov_b32_e32 v5, 0
	s_mov_b32 s12, exec_lo
	v_cmpx_ne_u16_e32 0x80, v6
	s_cbranch_execz .LBB275_950
; %bb.945:                              ;   in Loop: Header=BB275_671 Depth=1
	v_mov_b32_e32 v4, 0x7f800001
	v_dual_mov_b32 v5, 0 :: v_dual_and_b32 v16, 0x7f, v134
	s_mov_b32 s13, exec_lo
	s_delay_alu instid0(VALU_DEP_1)
	v_cmpx_ne_u32_e32 0x7f, v16
	s_cbranch_execz .LBB275_949
; %bb.946:                              ;   in Loop: Header=BB275_671 Depth=1
	v_and_b32_e32 v6, 7, v134
	v_lshrrev_b32_e32 v4, 3, v16
	s_mov_b32 s15, exec_lo
	v_cmpx_gt_u32_e32 8, v16
; %bb.947:                              ;   in Loop: Header=BB275_671 Depth=1
	s_delay_alu instid0(VALU_DEP_3) | instskip(NEXT) | instid1(VALU_DEP_1)
	v_clz_i32_u32_e32 v4, v6
	v_min_u32_e32 v4, 32, v4
	s_delay_alu instid0(VALU_DEP_1) | instskip(SKIP_1) | instid1(VALU_DEP_2)
	v_subrev_nc_u32_e32 v5, 28, v4
	v_sub_nc_u32_e32 v4, 29, v4
	v_lshlrev_b64 v[5:6], v5, v[6:7]
	s_delay_alu instid0(VALU_DEP_1)
	v_and_b32_e32 v6, 7, v5
; %bb.948:                              ;   in Loop: Header=BB275_671 Depth=1
	s_or_b32 exec_lo, exec_lo, s15
	v_lshlrev_b32_e32 v5, 24, v134
	s_delay_alu instid0(VALU_DEP_2) | instskip(SKIP_1) | instid1(VALU_DEP_3)
	v_lshlrev_b32_e32 v6, 20, v6
	v_lshl_add_u32 v4, v4, 23, 0x3c000000
	v_and_b32_e32 v5, 0x80000000, v5
	s_delay_alu instid0(VALU_DEP_1) | instskip(NEXT) | instid1(VALU_DEP_1)
	v_or3_b32 v6, v6, v5, v4
	v_dual_mov_b32 v4, v6 :: v_dual_mov_b32 v5, v7
.LBB275_949:                            ;   in Loop: Header=BB275_671 Depth=1
	s_or_b32 exec_lo, exec_lo, s13
.LBB275_950:                            ;   in Loop: Header=BB275_671 Depth=1
	s_delay_alu instid0(SALU_CYCLE_1)
	s_or_b32 exec_lo, exec_lo, s12
.LBB275_951:                            ;   in Loop: Header=BB275_671 Depth=1
	s_delay_alu instid0(SALU_CYCLE_1) | instskip(SKIP_2) | instid1(VALU_DEP_1)
	s_or_b32 exec_lo, exec_lo, s10
	v_lshrrev_b16 v6, 8, v134
	s_mov_b32 s12, exec_lo
	v_cmpx_ne_u16_e32 0, v6
	s_cbranch_execz .LBB275_959
; %bb.952:                              ;   in Loop: Header=BB275_671 Depth=1
	v_dual_mov_b32 v15, s9 :: v_dual_mov_b32 v14, s8
	s_mov_b32 s13, exec_lo
	v_cmpx_ne_u16_e32 0x80, v6
	s_cbranch_execz .LBB275_958
; %bb.953:                              ;   in Loop: Header=BB275_671 Depth=1
	s_mov_b32 s10, s8
	v_dual_mov_b32 v15, s11 :: v_dual_and_b32 v6, 0xffff, v6
	v_mov_b32_e32 v14, s10
	s_mov_b32 s10, exec_lo
	s_delay_alu instid0(VALU_DEP_2) | instskip(NEXT) | instid1(VALU_DEP_1)
	v_and_b32_e32 v16, 0x7f, v6
	v_cmpx_ne_u32_e32 0x7f, v16
	s_cbranch_execz .LBB275_957
; %bb.954:                              ;   in Loop: Header=BB275_671 Depth=1
	v_and_b32_e32 v6, 7, v6
	v_lshrrev_b32_e32 v14, 3, v16
	s_mov_b32 s15, exec_lo
	v_cmpx_gt_u32_e32 8, v16
; %bb.955:                              ;   in Loop: Header=BB275_671 Depth=1
	s_delay_alu instid0(VALU_DEP_3) | instskip(NEXT) | instid1(VALU_DEP_1)
	v_clz_i32_u32_e32 v14, v6
	v_min_u32_e32 v14, 32, v14
	s_delay_alu instid0(VALU_DEP_1) | instskip(SKIP_1) | instid1(VALU_DEP_2)
	v_subrev_nc_u32_e32 v15, 28, v14
	v_sub_nc_u32_e32 v14, 29, v14
	v_lshlrev_b64 v[15:16], v15, v[6:7]
	s_delay_alu instid0(VALU_DEP_1)
	v_and_b32_e32 v6, 7, v15
; %bb.956:                              ;   in Loop: Header=BB275_671 Depth=1
	s_or_b32 exec_lo, exec_lo, s15
	v_lshlrev_b32_e32 v15, 16, v134
	s_delay_alu instid0(VALU_DEP_2) | instskip(SKIP_1) | instid1(VALU_DEP_3)
	v_lshlrev_b32_e32 v6, 20, v6
	v_lshl_add_u32 v14, v14, 23, 0x3c000000
	v_and_b32_e32 v15, 0x80000000, v15
	s_delay_alu instid0(VALU_DEP_1)
	v_or3_b32 v15, v6, v15, v14
	v_mov_b32_e32 v14, v7
.LBB275_957:                            ;   in Loop: Header=BB275_671 Depth=1
	s_or_b32 exec_lo, exec_lo, s10
.LBB275_958:                            ;   in Loop: Header=BB275_671 Depth=1
	s_delay_alu instid0(SALU_CYCLE_1)
	s_or_b32 exec_lo, exec_lo, s13
.LBB275_959:                            ;   in Loop: Header=BB275_671 Depth=1
	s_delay_alu instid0(SALU_CYCLE_1) | instskip(SKIP_4) | instid1(VALU_DEP_2)
	s_or_b32 exec_lo, exec_lo, s12
	v_mov_b32_e32 v18, 0
	v_lshrrev_b32_e32 v135, 16, v134
	v_mov_b32_e32 v19, 0
	s_mov_b32 s10, exec_lo
	v_and_b32_e32 v6, 0xff, v135
	s_delay_alu instid0(VALU_DEP_2) | instskip(NEXT) | instid1(VALU_DEP_2)
	v_dual_mov_b32 v16, v18 :: v_dual_mov_b32 v17, v19
	v_cmpx_ne_u16_e32 0, v6
	s_cbranch_execz .LBB275_967
; %bb.960:                              ;   in Loop: Header=BB275_671 Depth=1
	v_bfrev_b32_e32 v16, 1
	v_mov_b32_e32 v17, 0
	s_mov_b32 s12, exec_lo
	v_cmpx_ne_u16_e32 0x80, v6
	s_cbranch_execz .LBB275_966
; %bb.961:                              ;   in Loop: Header=BB275_671 Depth=1
	v_mov_b32_e32 v16, 0x7f800001
	v_bfe_u32 v144, v134, 16, 7
	v_mov_b32_e32 v17, 0
	s_mov_b32 s13, exec_lo
	s_delay_alu instid0(VALU_DEP_2)
	v_cmpx_ne_u32_e32 0x7f, v144
	s_cbranch_execz .LBB275_965
; %bb.962:                              ;   in Loop: Header=BB275_671 Depth=1
	v_and_b32_e32 v6, 7, v135
	v_lshrrev_b32_e32 v16, 3, v144
	s_mov_b32 s15, exec_lo
	v_cmpx_gt_u32_e32 8, v144
; %bb.963:                              ;   in Loop: Header=BB275_671 Depth=1
	s_delay_alu instid0(VALU_DEP_3) | instskip(NEXT) | instid1(VALU_DEP_1)
	v_clz_i32_u32_e32 v16, v6
	v_min_u32_e32 v16, 32, v16
	s_delay_alu instid0(VALU_DEP_1) | instskip(SKIP_1) | instid1(VALU_DEP_2)
	v_subrev_nc_u32_e32 v17, 28, v16
	v_sub_nc_u32_e32 v16, 29, v16
	v_lshlrev_b64 v[144:145], v17, v[6:7]
	s_delay_alu instid0(VALU_DEP_1)
	v_and_b32_e32 v6, 7, v144
; %bb.964:                              ;   in Loop: Header=BB275_671 Depth=1
	s_or_b32 exec_lo, exec_lo, s15
	v_lshlrev_b32_e32 v17, 24, v135
	s_delay_alu instid0(VALU_DEP_2) | instskip(SKIP_1) | instid1(VALU_DEP_3)
	v_lshlrev_b32_e32 v6, 20, v6
	v_lshl_add_u32 v16, v16, 23, 0x3c000000
	v_and_b32_e32 v17, 0x80000000, v17
	s_delay_alu instid0(VALU_DEP_1) | instskip(NEXT) | instid1(VALU_DEP_1)
	v_or3_b32 v6, v6, v17, v16
	v_dual_mov_b32 v17, v7 :: v_dual_mov_b32 v16, v6
.LBB275_965:                            ;   in Loop: Header=BB275_671 Depth=1
	s_or_b32 exec_lo, exec_lo, s13
.LBB275_966:                            ;   in Loop: Header=BB275_671 Depth=1
	s_delay_alu instid0(SALU_CYCLE_1)
	s_or_b32 exec_lo, exec_lo, s12
.LBB275_967:                            ;   in Loop: Header=BB275_671 Depth=1
	s_delay_alu instid0(SALU_CYCLE_1) | instskip(NEXT) | instid1(SALU_CYCLE_1)
	s_or_b32 exec_lo, exec_lo, s10
	s_mov_b32 s12, exec_lo
	v_cmpx_lt_u32_e32 0xffffff, v134
	s_cbranch_execz .LBB275_975
; %bb.968:                              ;   in Loop: Header=BB275_671 Depth=1
	v_lshrrev_b32_e32 v135, 24, v134
	v_dual_mov_b32 v19, s9 :: v_dual_mov_b32 v18, s8
	s_mov_b32 s13, exec_lo
	s_delay_alu instid0(VALU_DEP_2)
	v_cmpx_ne_u32_e32 0x80, v135
	s_cbranch_execz .LBB275_974
; %bb.969:                              ;   in Loop: Header=BB275_671 Depth=1
	s_mov_b32 s10, s8
	v_bfe_u32 v134, v134, 24, 7
	v_dual_mov_b32 v19, s11 :: v_dual_mov_b32 v18, s10
	s_mov_b32 s10, exec_lo
	s_delay_alu instid0(VALU_DEP_2)
	v_cmpx_ne_u32_e32 0x7f, v134
	s_cbranch_execz .LBB275_973
; %bb.970:                              ;   in Loop: Header=BB275_671 Depth=1
	v_and_b32_e32 v6, 7, v135
	v_lshrrev_b32_e32 v18, 3, v134
	s_mov_b32 s15, exec_lo
	v_cmpx_gt_u32_e32 8, v134
; %bb.971:                              ;   in Loop: Header=BB275_671 Depth=1
	s_delay_alu instid0(VALU_DEP_3) | instskip(NEXT) | instid1(VALU_DEP_1)
	v_clz_i32_u32_e32 v18, v6
	v_min_u32_e32 v18, 32, v18
	s_delay_alu instid0(VALU_DEP_1) | instskip(SKIP_1) | instid1(VALU_DEP_2)
	v_subrev_nc_u32_e32 v19, 28, v18
	v_sub_nc_u32_e32 v18, 29, v18
	v_lshlrev_b64 v[144:145], v19, v[6:7]
	s_delay_alu instid0(VALU_DEP_1)
	v_and_b32_e32 v6, 7, v144
; %bb.972:                              ;   in Loop: Header=BB275_671 Depth=1
	s_or_b32 exec_lo, exec_lo, s15
	v_lshlrev_b32_e32 v19, 24, v135
	s_delay_alu instid0(VALU_DEP_2) | instskip(SKIP_1) | instid1(VALU_DEP_3)
	v_lshlrev_b32_e32 v6, 20, v6
	v_lshl_add_u32 v18, v18, 23, 0x3c000000
	v_and_b32_e32 v19, 0x80000000, v19
	s_delay_alu instid0(VALU_DEP_1)
	v_or3_b32 v19, v6, v19, v18
	v_mov_b32_e32 v18, v7
.LBB275_973:                            ;   in Loop: Header=BB275_671 Depth=1
	s_or_b32 exec_lo, exec_lo, s10
.LBB275_974:                            ;   in Loop: Header=BB275_671 Depth=1
	s_delay_alu instid0(SALU_CYCLE_1)
	s_or_b32 exec_lo, exec_lo, s13
.LBB275_975:                            ;   in Loop: Header=BB275_671 Depth=1
	s_delay_alu instid0(SALU_CYCLE_1) | instskip(SKIP_4) | instid1(VALU_DEP_3)
	s_or_b32 exec_lo, exec_lo, s12
	v_or_b32_e32 v5, v15, v5
	v_or_b32_e32 v4, v14, v4
	;; [unrolled: 1-line block ×4, first 2 shown]
	v_dual_mul_f32 v145, v65, v5 :: v_dual_mul_f32 v144, v54, v4
	s_delay_alu instid0(VALU_DEP_3) | instskip(NEXT) | instid1(VALU_DEP_3)
	v_mul_f32_e32 v134, v65, v6
	v_mul_f32_e32 v135, v54, v14
	s_and_saveexec_b32 s10, vcc_lo
; %bb.976:                              ;   in Loop: Header=BB275_671 Depth=1
	v_cmp_lt_i32_e64 s0, v70, v119
	s_delay_alu instid0(VALU_DEP_1) | instskip(SKIP_1) | instid1(VALU_DEP_1)
	v_cndmask_b32_e64 v144, 0, v144, s0
	v_cmp_lt_i32_e64 s0, v80, v119
	v_cndmask_b32_e64 v145, 0, v145, s0
	v_cmp_lt_i32_e64 s0, v71, v119
	s_delay_alu instid0(VALU_DEP_1) | instskip(SKIP_1) | instid1(VALU_DEP_1)
	v_cndmask_b32_e64 v135, 0, v135, s0
	v_cmp_lt_i32_e64 s0, v21, v119
	v_cndmask_b32_e64 v134, 0, v134, s0
; %bb.977:                              ;   in Loop: Header=BB275_671 Depth=1
	s_or_b32 exec_lo, exec_lo, s10
	flat_load_b32 v146, v[12:13] offset:1152
	v_mov_b32_e32 v14, 0
	v_mov_b32_e32 v15, 0
	s_mov_b32 s10, exec_lo
	s_waitcnt vmcnt(0) lgkmcnt(0)
	v_and_b32_e32 v6, 0xff, v146
	s_delay_alu instid0(VALU_DEP_2) | instskip(NEXT) | instid1(VALU_DEP_2)
	v_dual_mov_b32 v4, v14 :: v_dual_mov_b32 v5, v15
	v_cmpx_ne_u16_e32 0, v6
	s_cbranch_execz .LBB275_985
; %bb.978:                              ;   in Loop: Header=BB275_671 Depth=1
	v_bfrev_b32_e32 v4, 1
	v_mov_b32_e32 v5, 0
	s_mov_b32 s12, exec_lo
	v_cmpx_ne_u16_e32 0x80, v6
	s_cbranch_execz .LBB275_984
; %bb.979:                              ;   in Loop: Header=BB275_671 Depth=1
	v_mov_b32_e32 v4, 0x7f800001
	v_dual_mov_b32 v5, 0 :: v_dual_and_b32 v16, 0x7f, v146
	s_mov_b32 s13, exec_lo
	s_delay_alu instid0(VALU_DEP_1)
	v_cmpx_ne_u32_e32 0x7f, v16
	s_cbranch_execz .LBB275_983
; %bb.980:                              ;   in Loop: Header=BB275_671 Depth=1
	v_and_b32_e32 v6, 7, v146
	v_lshrrev_b32_e32 v4, 3, v16
	s_mov_b32 s15, exec_lo
	v_cmpx_gt_u32_e32 8, v16
; %bb.981:                              ;   in Loop: Header=BB275_671 Depth=1
	s_delay_alu instid0(VALU_DEP_3) | instskip(NEXT) | instid1(VALU_DEP_1)
	v_clz_i32_u32_e32 v4, v6
	v_min_u32_e32 v4, 32, v4
	s_delay_alu instid0(VALU_DEP_1) | instskip(SKIP_1) | instid1(VALU_DEP_2)
	v_subrev_nc_u32_e32 v5, 28, v4
	v_sub_nc_u32_e32 v4, 29, v4
	v_lshlrev_b64 v[5:6], v5, v[6:7]
	s_delay_alu instid0(VALU_DEP_1)
	v_and_b32_e32 v6, 7, v5
; %bb.982:                              ;   in Loop: Header=BB275_671 Depth=1
	s_or_b32 exec_lo, exec_lo, s15
	v_lshlrev_b32_e32 v5, 24, v146
	s_delay_alu instid0(VALU_DEP_2) | instskip(SKIP_1) | instid1(VALU_DEP_3)
	v_lshlrev_b32_e32 v6, 20, v6
	v_lshl_add_u32 v4, v4, 23, 0x3c000000
	v_and_b32_e32 v5, 0x80000000, v5
	s_delay_alu instid0(VALU_DEP_1) | instskip(NEXT) | instid1(VALU_DEP_1)
	v_or3_b32 v6, v6, v5, v4
	v_dual_mov_b32 v4, v6 :: v_dual_mov_b32 v5, v7
.LBB275_983:                            ;   in Loop: Header=BB275_671 Depth=1
	s_or_b32 exec_lo, exec_lo, s13
.LBB275_984:                            ;   in Loop: Header=BB275_671 Depth=1
	s_delay_alu instid0(SALU_CYCLE_1)
	s_or_b32 exec_lo, exec_lo, s12
.LBB275_985:                            ;   in Loop: Header=BB275_671 Depth=1
	s_delay_alu instid0(SALU_CYCLE_1) | instskip(SKIP_2) | instid1(VALU_DEP_1)
	s_or_b32 exec_lo, exec_lo, s10
	v_lshrrev_b16 v6, 8, v146
	s_mov_b32 s12, exec_lo
	v_cmpx_ne_u16_e32 0, v6
	s_cbranch_execz .LBB275_993
; %bb.986:                              ;   in Loop: Header=BB275_671 Depth=1
	v_dual_mov_b32 v15, s9 :: v_dual_mov_b32 v14, s8
	s_mov_b32 s13, exec_lo
	v_cmpx_ne_u16_e32 0x80, v6
	s_cbranch_execz .LBB275_992
; %bb.987:                              ;   in Loop: Header=BB275_671 Depth=1
	s_mov_b32 s10, s8
	v_dual_mov_b32 v15, s11 :: v_dual_and_b32 v6, 0xffff, v6
	v_mov_b32_e32 v14, s10
	s_mov_b32 s10, exec_lo
	s_delay_alu instid0(VALU_DEP_2) | instskip(NEXT) | instid1(VALU_DEP_1)
	v_and_b32_e32 v16, 0x7f, v6
	v_cmpx_ne_u32_e32 0x7f, v16
	s_cbranch_execz .LBB275_991
; %bb.988:                              ;   in Loop: Header=BB275_671 Depth=1
	v_and_b32_e32 v6, 7, v6
	v_lshrrev_b32_e32 v14, 3, v16
	s_mov_b32 s15, exec_lo
	v_cmpx_gt_u32_e32 8, v16
; %bb.989:                              ;   in Loop: Header=BB275_671 Depth=1
	s_delay_alu instid0(VALU_DEP_3) | instskip(NEXT) | instid1(VALU_DEP_1)
	v_clz_i32_u32_e32 v14, v6
	v_min_u32_e32 v14, 32, v14
	s_delay_alu instid0(VALU_DEP_1) | instskip(SKIP_1) | instid1(VALU_DEP_2)
	v_subrev_nc_u32_e32 v15, 28, v14
	v_sub_nc_u32_e32 v14, 29, v14
	v_lshlrev_b64 v[15:16], v15, v[6:7]
	s_delay_alu instid0(VALU_DEP_1)
	v_and_b32_e32 v6, 7, v15
; %bb.990:                              ;   in Loop: Header=BB275_671 Depth=1
	s_or_b32 exec_lo, exec_lo, s15
	v_lshlrev_b32_e32 v15, 16, v146
	s_delay_alu instid0(VALU_DEP_2) | instskip(SKIP_1) | instid1(VALU_DEP_3)
	v_lshlrev_b32_e32 v6, 20, v6
	v_lshl_add_u32 v14, v14, 23, 0x3c000000
	v_and_b32_e32 v15, 0x80000000, v15
	s_delay_alu instid0(VALU_DEP_1)
	v_or3_b32 v15, v6, v15, v14
	v_mov_b32_e32 v14, v7
.LBB275_991:                            ;   in Loop: Header=BB275_671 Depth=1
	s_or_b32 exec_lo, exec_lo, s10
.LBB275_992:                            ;   in Loop: Header=BB275_671 Depth=1
	s_delay_alu instid0(SALU_CYCLE_1)
	s_or_b32 exec_lo, exec_lo, s13
.LBB275_993:                            ;   in Loop: Header=BB275_671 Depth=1
	s_delay_alu instid0(SALU_CYCLE_1) | instskip(SKIP_4) | instid1(VALU_DEP_2)
	s_or_b32 exec_lo, exec_lo, s12
	v_mov_b32_e32 v18, 0
	v_lshrrev_b32_e32 v147, 16, v146
	v_mov_b32_e32 v19, 0
	s_mov_b32 s10, exec_lo
	v_and_b32_e32 v6, 0xff, v147
	s_delay_alu instid0(VALU_DEP_2) | instskip(NEXT) | instid1(VALU_DEP_2)
	v_dual_mov_b32 v16, v18 :: v_dual_mov_b32 v17, v19
	v_cmpx_ne_u16_e32 0, v6
	s_cbranch_execz .LBB275_1001
; %bb.994:                              ;   in Loop: Header=BB275_671 Depth=1
	v_bfrev_b32_e32 v16, 1
	v_mov_b32_e32 v17, 0
	s_mov_b32 s12, exec_lo
	v_cmpx_ne_u16_e32 0x80, v6
	s_cbranch_execz .LBB275_1000
; %bb.995:                              ;   in Loop: Header=BB275_671 Depth=1
	v_mov_b32_e32 v16, 0x7f800001
	v_bfe_u32 v148, v146, 16, 7
	v_mov_b32_e32 v17, 0
	s_mov_b32 s13, exec_lo
	s_delay_alu instid0(VALU_DEP_2)
	v_cmpx_ne_u32_e32 0x7f, v148
	s_cbranch_execz .LBB275_999
; %bb.996:                              ;   in Loop: Header=BB275_671 Depth=1
	v_and_b32_e32 v6, 7, v147
	v_lshrrev_b32_e32 v16, 3, v148
	s_mov_b32 s15, exec_lo
	v_cmpx_gt_u32_e32 8, v148
; %bb.997:                              ;   in Loop: Header=BB275_671 Depth=1
	s_delay_alu instid0(VALU_DEP_3) | instskip(NEXT) | instid1(VALU_DEP_1)
	v_clz_i32_u32_e32 v16, v6
	v_min_u32_e32 v16, 32, v16
	s_delay_alu instid0(VALU_DEP_1) | instskip(SKIP_1) | instid1(VALU_DEP_2)
	v_subrev_nc_u32_e32 v17, 28, v16
	v_sub_nc_u32_e32 v16, 29, v16
	v_lshlrev_b64 v[148:149], v17, v[6:7]
	s_delay_alu instid0(VALU_DEP_1)
	v_and_b32_e32 v6, 7, v148
; %bb.998:                              ;   in Loop: Header=BB275_671 Depth=1
	s_or_b32 exec_lo, exec_lo, s15
	v_lshlrev_b32_e32 v17, 24, v147
	s_delay_alu instid0(VALU_DEP_2) | instskip(SKIP_1) | instid1(VALU_DEP_3)
	v_lshlrev_b32_e32 v6, 20, v6
	v_lshl_add_u32 v16, v16, 23, 0x3c000000
	v_and_b32_e32 v17, 0x80000000, v17
	s_delay_alu instid0(VALU_DEP_1) | instskip(NEXT) | instid1(VALU_DEP_1)
	v_or3_b32 v6, v6, v17, v16
	v_dual_mov_b32 v17, v7 :: v_dual_mov_b32 v16, v6
.LBB275_999:                            ;   in Loop: Header=BB275_671 Depth=1
	s_or_b32 exec_lo, exec_lo, s13
.LBB275_1000:                           ;   in Loop: Header=BB275_671 Depth=1
	s_delay_alu instid0(SALU_CYCLE_1)
	s_or_b32 exec_lo, exec_lo, s12
.LBB275_1001:                           ;   in Loop: Header=BB275_671 Depth=1
	s_delay_alu instid0(SALU_CYCLE_1) | instskip(NEXT) | instid1(SALU_CYCLE_1)
	s_or_b32 exec_lo, exec_lo, s10
	s_mov_b32 s12, exec_lo
	v_cmpx_lt_u32_e32 0xffffff, v146
	s_cbranch_execz .LBB275_1009
; %bb.1002:                             ;   in Loop: Header=BB275_671 Depth=1
	v_lshrrev_b32_e32 v147, 24, v146
	v_dual_mov_b32 v19, s9 :: v_dual_mov_b32 v18, s8
	s_mov_b32 s13, exec_lo
	s_delay_alu instid0(VALU_DEP_2)
	v_cmpx_ne_u32_e32 0x80, v147
	s_cbranch_execz .LBB275_1008
; %bb.1003:                             ;   in Loop: Header=BB275_671 Depth=1
	s_mov_b32 s10, s8
	v_bfe_u32 v146, v146, 24, 7
	v_dual_mov_b32 v19, s11 :: v_dual_mov_b32 v18, s10
	s_mov_b32 s10, exec_lo
	s_delay_alu instid0(VALU_DEP_2)
	v_cmpx_ne_u32_e32 0x7f, v146
	s_cbranch_execz .LBB275_1007
; %bb.1004:                             ;   in Loop: Header=BB275_671 Depth=1
	v_and_b32_e32 v6, 7, v147
	v_lshrrev_b32_e32 v18, 3, v146
	s_mov_b32 s15, exec_lo
	v_cmpx_gt_u32_e32 8, v146
; %bb.1005:                             ;   in Loop: Header=BB275_671 Depth=1
	s_delay_alu instid0(VALU_DEP_3) | instskip(NEXT) | instid1(VALU_DEP_1)
	v_clz_i32_u32_e32 v18, v6
	v_min_u32_e32 v18, 32, v18
	s_delay_alu instid0(VALU_DEP_1) | instskip(SKIP_1) | instid1(VALU_DEP_2)
	v_subrev_nc_u32_e32 v19, 28, v18
	v_sub_nc_u32_e32 v18, 29, v18
	v_lshlrev_b64 v[148:149], v19, v[6:7]
	s_delay_alu instid0(VALU_DEP_1)
	v_and_b32_e32 v6, 7, v148
; %bb.1006:                             ;   in Loop: Header=BB275_671 Depth=1
	s_or_b32 exec_lo, exec_lo, s15
	v_lshlrev_b32_e32 v19, 24, v147
	s_delay_alu instid0(VALU_DEP_2) | instskip(SKIP_1) | instid1(VALU_DEP_3)
	v_lshlrev_b32_e32 v6, 20, v6
	v_lshl_add_u32 v18, v18, 23, 0x3c000000
	v_and_b32_e32 v19, 0x80000000, v19
	s_delay_alu instid0(VALU_DEP_1)
	v_or3_b32 v19, v6, v19, v18
	v_mov_b32_e32 v18, v7
.LBB275_1007:                           ;   in Loop: Header=BB275_671 Depth=1
	s_or_b32 exec_lo, exec_lo, s10
.LBB275_1008:                           ;   in Loop: Header=BB275_671 Depth=1
	s_delay_alu instid0(SALU_CYCLE_1)
	s_or_b32 exec_lo, exec_lo, s13
.LBB275_1009:                           ;   in Loop: Header=BB275_671 Depth=1
	s_delay_alu instid0(SALU_CYCLE_1) | instskip(SKIP_4) | instid1(VALU_DEP_3)
	s_or_b32 exec_lo, exec_lo, s12
	v_or_b32_e32 v5, v15, v5
	v_or_b32_e32 v4, v14, v4
	;; [unrolled: 1-line block ×4, first 2 shown]
	v_dual_mul_f32 v149, v65, v5 :: v_dual_mul_f32 v148, v54, v4
	s_delay_alu instid0(VALU_DEP_3) | instskip(NEXT) | instid1(VALU_DEP_3)
	v_mul_f32_e32 v146, v65, v6
	v_mul_f32_e32 v147, v54, v14
	s_and_saveexec_b32 s10, vcc_lo
; %bb.1010:                             ;   in Loop: Header=BB275_671 Depth=1
	v_cmp_lt_i32_e64 s0, v70, v119
	s_delay_alu instid0(VALU_DEP_1) | instskip(SKIP_1) | instid1(VALU_DEP_1)
	v_cndmask_b32_e64 v148, 0, v148, s0
	v_cmp_lt_i32_e64 s0, v80, v119
	v_cndmask_b32_e64 v149, 0, v149, s0
	v_cmp_lt_i32_e64 s0, v71, v119
	s_delay_alu instid0(VALU_DEP_1) | instskip(SKIP_1) | instid1(VALU_DEP_1)
	v_cndmask_b32_e64 v147, 0, v147, s0
	v_cmp_lt_i32_e64 s0, v21, v119
	v_cndmask_b32_e64 v146, 0, v146, s0
; %bb.1011:                             ;   in Loop: Header=BB275_671 Depth=1
	s_or_b32 exec_lo, exec_lo, s10
	flat_load_b32 v150, v[12:13] offset:1280
	v_mov_b32_e32 v14, 0
	v_mov_b32_e32 v15, 0
	s_mov_b32 s10, exec_lo
	s_waitcnt vmcnt(0) lgkmcnt(0)
	v_and_b32_e32 v6, 0xff, v150
	s_delay_alu instid0(VALU_DEP_2) | instskip(NEXT) | instid1(VALU_DEP_2)
	v_dual_mov_b32 v4, v14 :: v_dual_mov_b32 v5, v15
	v_cmpx_ne_u16_e32 0, v6
	s_cbranch_execz .LBB275_1019
; %bb.1012:                             ;   in Loop: Header=BB275_671 Depth=1
	v_bfrev_b32_e32 v4, 1
	v_mov_b32_e32 v5, 0
	s_mov_b32 s12, exec_lo
	v_cmpx_ne_u16_e32 0x80, v6
	s_cbranch_execz .LBB275_1018
; %bb.1013:                             ;   in Loop: Header=BB275_671 Depth=1
	v_mov_b32_e32 v4, 0x7f800001
	v_dual_mov_b32 v5, 0 :: v_dual_and_b32 v16, 0x7f, v150
	s_mov_b32 s13, exec_lo
	s_delay_alu instid0(VALU_DEP_1)
	v_cmpx_ne_u32_e32 0x7f, v16
	s_cbranch_execz .LBB275_1017
; %bb.1014:                             ;   in Loop: Header=BB275_671 Depth=1
	v_and_b32_e32 v6, 7, v150
	v_lshrrev_b32_e32 v4, 3, v16
	s_mov_b32 s15, exec_lo
	v_cmpx_gt_u32_e32 8, v16
; %bb.1015:                             ;   in Loop: Header=BB275_671 Depth=1
	s_delay_alu instid0(VALU_DEP_3) | instskip(NEXT) | instid1(VALU_DEP_1)
	v_clz_i32_u32_e32 v4, v6
	v_min_u32_e32 v4, 32, v4
	s_delay_alu instid0(VALU_DEP_1) | instskip(SKIP_1) | instid1(VALU_DEP_2)
	v_subrev_nc_u32_e32 v5, 28, v4
	v_sub_nc_u32_e32 v4, 29, v4
	v_lshlrev_b64 v[5:6], v5, v[6:7]
	s_delay_alu instid0(VALU_DEP_1)
	v_and_b32_e32 v6, 7, v5
; %bb.1016:                             ;   in Loop: Header=BB275_671 Depth=1
	s_or_b32 exec_lo, exec_lo, s15
	v_lshlrev_b32_e32 v5, 24, v150
	s_delay_alu instid0(VALU_DEP_2) | instskip(SKIP_1) | instid1(VALU_DEP_3)
	v_lshlrev_b32_e32 v6, 20, v6
	v_lshl_add_u32 v4, v4, 23, 0x3c000000
	v_and_b32_e32 v5, 0x80000000, v5
	s_delay_alu instid0(VALU_DEP_1) | instskip(NEXT) | instid1(VALU_DEP_1)
	v_or3_b32 v6, v6, v5, v4
	v_dual_mov_b32 v4, v6 :: v_dual_mov_b32 v5, v7
.LBB275_1017:                           ;   in Loop: Header=BB275_671 Depth=1
	s_or_b32 exec_lo, exec_lo, s13
.LBB275_1018:                           ;   in Loop: Header=BB275_671 Depth=1
	s_delay_alu instid0(SALU_CYCLE_1)
	s_or_b32 exec_lo, exec_lo, s12
.LBB275_1019:                           ;   in Loop: Header=BB275_671 Depth=1
	s_delay_alu instid0(SALU_CYCLE_1) | instskip(SKIP_2) | instid1(VALU_DEP_1)
	s_or_b32 exec_lo, exec_lo, s10
	v_lshrrev_b16 v6, 8, v150
	s_mov_b32 s12, exec_lo
	v_cmpx_ne_u16_e32 0, v6
	s_cbranch_execz .LBB275_1027
; %bb.1020:                             ;   in Loop: Header=BB275_671 Depth=1
	v_dual_mov_b32 v15, s9 :: v_dual_mov_b32 v14, s8
	s_mov_b32 s13, exec_lo
	v_cmpx_ne_u16_e32 0x80, v6
	s_cbranch_execz .LBB275_1026
; %bb.1021:                             ;   in Loop: Header=BB275_671 Depth=1
	s_mov_b32 s10, s8
	v_dual_mov_b32 v15, s11 :: v_dual_and_b32 v6, 0xffff, v6
	v_mov_b32_e32 v14, s10
	s_mov_b32 s10, exec_lo
	s_delay_alu instid0(VALU_DEP_2) | instskip(NEXT) | instid1(VALU_DEP_1)
	v_and_b32_e32 v16, 0x7f, v6
	v_cmpx_ne_u32_e32 0x7f, v16
	s_cbranch_execz .LBB275_1025
; %bb.1022:                             ;   in Loop: Header=BB275_671 Depth=1
	v_and_b32_e32 v6, 7, v6
	v_lshrrev_b32_e32 v14, 3, v16
	s_mov_b32 s15, exec_lo
	v_cmpx_gt_u32_e32 8, v16
; %bb.1023:                             ;   in Loop: Header=BB275_671 Depth=1
	s_delay_alu instid0(VALU_DEP_3) | instskip(NEXT) | instid1(VALU_DEP_1)
	v_clz_i32_u32_e32 v14, v6
	v_min_u32_e32 v14, 32, v14
	s_delay_alu instid0(VALU_DEP_1) | instskip(SKIP_1) | instid1(VALU_DEP_2)
	v_subrev_nc_u32_e32 v15, 28, v14
	v_sub_nc_u32_e32 v14, 29, v14
	v_lshlrev_b64 v[15:16], v15, v[6:7]
	s_delay_alu instid0(VALU_DEP_1)
	v_and_b32_e32 v6, 7, v15
; %bb.1024:                             ;   in Loop: Header=BB275_671 Depth=1
	s_or_b32 exec_lo, exec_lo, s15
	v_lshlrev_b32_e32 v15, 16, v150
	s_delay_alu instid0(VALU_DEP_2) | instskip(SKIP_1) | instid1(VALU_DEP_3)
	v_lshlrev_b32_e32 v6, 20, v6
	v_lshl_add_u32 v14, v14, 23, 0x3c000000
	v_and_b32_e32 v15, 0x80000000, v15
	s_delay_alu instid0(VALU_DEP_1)
	v_or3_b32 v15, v6, v15, v14
	v_mov_b32_e32 v14, v7
.LBB275_1025:                           ;   in Loop: Header=BB275_671 Depth=1
	s_or_b32 exec_lo, exec_lo, s10
.LBB275_1026:                           ;   in Loop: Header=BB275_671 Depth=1
	s_delay_alu instid0(SALU_CYCLE_1)
	s_or_b32 exec_lo, exec_lo, s13
.LBB275_1027:                           ;   in Loop: Header=BB275_671 Depth=1
	s_delay_alu instid0(SALU_CYCLE_1) | instskip(SKIP_4) | instid1(VALU_DEP_2)
	s_or_b32 exec_lo, exec_lo, s12
	v_mov_b32_e32 v18, 0
	v_lshrrev_b32_e32 v151, 16, v150
	v_mov_b32_e32 v19, 0
	s_mov_b32 s10, exec_lo
	v_and_b32_e32 v6, 0xff, v151
	s_delay_alu instid0(VALU_DEP_2) | instskip(NEXT) | instid1(VALU_DEP_2)
	v_dual_mov_b32 v16, v18 :: v_dual_mov_b32 v17, v19
	v_cmpx_ne_u16_e32 0, v6
	s_cbranch_execz .LBB275_1035
; %bb.1028:                             ;   in Loop: Header=BB275_671 Depth=1
	v_bfrev_b32_e32 v16, 1
	v_mov_b32_e32 v17, 0
	s_mov_b32 s12, exec_lo
	v_cmpx_ne_u16_e32 0x80, v6
	s_cbranch_execz .LBB275_1034
; %bb.1029:                             ;   in Loop: Header=BB275_671 Depth=1
	v_mov_b32_e32 v16, 0x7f800001
	v_bfe_u32 v160, v150, 16, 7
	v_mov_b32_e32 v17, 0
	s_mov_b32 s13, exec_lo
	s_delay_alu instid0(VALU_DEP_2)
	v_cmpx_ne_u32_e32 0x7f, v160
	s_cbranch_execz .LBB275_1033
; %bb.1030:                             ;   in Loop: Header=BB275_671 Depth=1
	v_and_b32_e32 v6, 7, v151
	v_lshrrev_b32_e32 v16, 3, v160
	s_mov_b32 s15, exec_lo
	v_cmpx_gt_u32_e32 8, v160
; %bb.1031:                             ;   in Loop: Header=BB275_671 Depth=1
	s_delay_alu instid0(VALU_DEP_3) | instskip(NEXT) | instid1(VALU_DEP_1)
	v_clz_i32_u32_e32 v16, v6
	v_min_u32_e32 v16, 32, v16
	s_delay_alu instid0(VALU_DEP_1) | instskip(SKIP_1) | instid1(VALU_DEP_2)
	v_subrev_nc_u32_e32 v17, 28, v16
	v_sub_nc_u32_e32 v16, 29, v16
	v_lshlrev_b64 v[160:161], v17, v[6:7]
	s_delay_alu instid0(VALU_DEP_1)
	v_and_b32_e32 v6, 7, v160
; %bb.1032:                             ;   in Loop: Header=BB275_671 Depth=1
	s_or_b32 exec_lo, exec_lo, s15
	v_lshlrev_b32_e32 v17, 24, v151
	s_delay_alu instid0(VALU_DEP_2) | instskip(SKIP_1) | instid1(VALU_DEP_3)
	v_lshlrev_b32_e32 v6, 20, v6
	v_lshl_add_u32 v16, v16, 23, 0x3c000000
	v_and_b32_e32 v17, 0x80000000, v17
	s_delay_alu instid0(VALU_DEP_1) | instskip(NEXT) | instid1(VALU_DEP_1)
	v_or3_b32 v6, v6, v17, v16
	v_dual_mov_b32 v17, v7 :: v_dual_mov_b32 v16, v6
.LBB275_1033:                           ;   in Loop: Header=BB275_671 Depth=1
	s_or_b32 exec_lo, exec_lo, s13
.LBB275_1034:                           ;   in Loop: Header=BB275_671 Depth=1
	s_delay_alu instid0(SALU_CYCLE_1)
	s_or_b32 exec_lo, exec_lo, s12
.LBB275_1035:                           ;   in Loop: Header=BB275_671 Depth=1
	s_delay_alu instid0(SALU_CYCLE_1) | instskip(NEXT) | instid1(SALU_CYCLE_1)
	s_or_b32 exec_lo, exec_lo, s10
	s_mov_b32 s12, exec_lo
	v_cmpx_lt_u32_e32 0xffffff, v150
	s_cbranch_execz .LBB275_1043
; %bb.1036:                             ;   in Loop: Header=BB275_671 Depth=1
	v_lshrrev_b32_e32 v151, 24, v150
	v_dual_mov_b32 v19, s9 :: v_dual_mov_b32 v18, s8
	s_mov_b32 s13, exec_lo
	s_delay_alu instid0(VALU_DEP_2)
	v_cmpx_ne_u32_e32 0x80, v151
	s_cbranch_execz .LBB275_1042
; %bb.1037:                             ;   in Loop: Header=BB275_671 Depth=1
	s_mov_b32 s10, s8
	v_bfe_u32 v150, v150, 24, 7
	v_dual_mov_b32 v19, s11 :: v_dual_mov_b32 v18, s10
	s_mov_b32 s10, exec_lo
	s_delay_alu instid0(VALU_DEP_2)
	v_cmpx_ne_u32_e32 0x7f, v150
	s_cbranch_execz .LBB275_1041
; %bb.1038:                             ;   in Loop: Header=BB275_671 Depth=1
	v_and_b32_e32 v6, 7, v151
	v_lshrrev_b32_e32 v18, 3, v150
	s_mov_b32 s15, exec_lo
	v_cmpx_gt_u32_e32 8, v150
; %bb.1039:                             ;   in Loop: Header=BB275_671 Depth=1
	s_delay_alu instid0(VALU_DEP_3) | instskip(NEXT) | instid1(VALU_DEP_1)
	v_clz_i32_u32_e32 v18, v6
	v_min_u32_e32 v18, 32, v18
	s_delay_alu instid0(VALU_DEP_1) | instskip(SKIP_1) | instid1(VALU_DEP_2)
	v_subrev_nc_u32_e32 v19, 28, v18
	v_sub_nc_u32_e32 v18, 29, v18
	v_lshlrev_b64 v[160:161], v19, v[6:7]
	s_delay_alu instid0(VALU_DEP_1)
	v_and_b32_e32 v6, 7, v160
; %bb.1040:                             ;   in Loop: Header=BB275_671 Depth=1
	s_or_b32 exec_lo, exec_lo, s15
	v_lshlrev_b32_e32 v19, 24, v151
	s_delay_alu instid0(VALU_DEP_2) | instskip(SKIP_1) | instid1(VALU_DEP_3)
	v_lshlrev_b32_e32 v6, 20, v6
	v_lshl_add_u32 v18, v18, 23, 0x3c000000
	v_and_b32_e32 v19, 0x80000000, v19
	s_delay_alu instid0(VALU_DEP_1)
	v_or3_b32 v19, v6, v19, v18
	v_mov_b32_e32 v18, v7
.LBB275_1041:                           ;   in Loop: Header=BB275_671 Depth=1
	s_or_b32 exec_lo, exec_lo, s10
.LBB275_1042:                           ;   in Loop: Header=BB275_671 Depth=1
	s_delay_alu instid0(SALU_CYCLE_1)
	s_or_b32 exec_lo, exec_lo, s13
.LBB275_1043:                           ;   in Loop: Header=BB275_671 Depth=1
	s_delay_alu instid0(SALU_CYCLE_1) | instskip(SKIP_4) | instid1(VALU_DEP_3)
	s_or_b32 exec_lo, exec_lo, s12
	v_or_b32_e32 v5, v15, v5
	v_or_b32_e32 v4, v14, v4
	;; [unrolled: 1-line block ×4, first 2 shown]
	v_dual_mul_f32 v161, v65, v5 :: v_dual_mul_f32 v160, v54, v4
	s_delay_alu instid0(VALU_DEP_3) | instskip(NEXT) | instid1(VALU_DEP_3)
	v_mul_f32_e32 v150, v65, v6
	v_mul_f32_e32 v151, v54, v14
	s_and_saveexec_b32 s10, vcc_lo
; %bb.1044:                             ;   in Loop: Header=BB275_671 Depth=1
	v_cmp_lt_i32_e64 s0, v70, v119
	s_delay_alu instid0(VALU_DEP_1) | instskip(SKIP_1) | instid1(VALU_DEP_1)
	v_cndmask_b32_e64 v160, 0, v160, s0
	v_cmp_lt_i32_e64 s0, v80, v119
	v_cndmask_b32_e64 v161, 0, v161, s0
	v_cmp_lt_i32_e64 s0, v71, v119
	s_delay_alu instid0(VALU_DEP_1) | instskip(SKIP_1) | instid1(VALU_DEP_1)
	v_cndmask_b32_e64 v151, 0, v151, s0
	v_cmp_lt_i32_e64 s0, v21, v119
	v_cndmask_b32_e64 v150, 0, v150, s0
; %bb.1045:                             ;   in Loop: Header=BB275_671 Depth=1
	s_or_b32 exec_lo, exec_lo, s10
	flat_load_b32 v162, v[12:13] offset:1408
	v_mov_b32_e32 v14, 0
	v_mov_b32_e32 v15, 0
	s_mov_b32 s10, exec_lo
	s_waitcnt vmcnt(0) lgkmcnt(0)
	v_and_b32_e32 v6, 0xff, v162
	s_delay_alu instid0(VALU_DEP_2) | instskip(NEXT) | instid1(VALU_DEP_2)
	v_dual_mov_b32 v4, v14 :: v_dual_mov_b32 v5, v15
	v_cmpx_ne_u16_e32 0, v6
	s_cbranch_execz .LBB275_1053
; %bb.1046:                             ;   in Loop: Header=BB275_671 Depth=1
	v_bfrev_b32_e32 v4, 1
	v_mov_b32_e32 v5, 0
	s_mov_b32 s12, exec_lo
	v_cmpx_ne_u16_e32 0x80, v6
	s_cbranch_execz .LBB275_1052
; %bb.1047:                             ;   in Loop: Header=BB275_671 Depth=1
	v_mov_b32_e32 v4, 0x7f800001
	v_dual_mov_b32 v5, 0 :: v_dual_and_b32 v16, 0x7f, v162
	s_mov_b32 s13, exec_lo
	s_delay_alu instid0(VALU_DEP_1)
	v_cmpx_ne_u32_e32 0x7f, v16
	s_cbranch_execz .LBB275_1051
; %bb.1048:                             ;   in Loop: Header=BB275_671 Depth=1
	v_and_b32_e32 v6, 7, v162
	v_lshrrev_b32_e32 v4, 3, v16
	s_mov_b32 s15, exec_lo
	v_cmpx_gt_u32_e32 8, v16
; %bb.1049:                             ;   in Loop: Header=BB275_671 Depth=1
	s_delay_alu instid0(VALU_DEP_3) | instskip(NEXT) | instid1(VALU_DEP_1)
	v_clz_i32_u32_e32 v4, v6
	v_min_u32_e32 v4, 32, v4
	s_delay_alu instid0(VALU_DEP_1) | instskip(SKIP_1) | instid1(VALU_DEP_2)
	v_subrev_nc_u32_e32 v5, 28, v4
	v_sub_nc_u32_e32 v4, 29, v4
	v_lshlrev_b64 v[5:6], v5, v[6:7]
	s_delay_alu instid0(VALU_DEP_1)
	v_and_b32_e32 v6, 7, v5
; %bb.1050:                             ;   in Loop: Header=BB275_671 Depth=1
	s_or_b32 exec_lo, exec_lo, s15
	v_lshlrev_b32_e32 v5, 24, v162
	s_delay_alu instid0(VALU_DEP_2) | instskip(SKIP_1) | instid1(VALU_DEP_3)
	v_lshlrev_b32_e32 v6, 20, v6
	v_lshl_add_u32 v4, v4, 23, 0x3c000000
	v_and_b32_e32 v5, 0x80000000, v5
	s_delay_alu instid0(VALU_DEP_1) | instskip(NEXT) | instid1(VALU_DEP_1)
	v_or3_b32 v6, v6, v5, v4
	v_dual_mov_b32 v4, v6 :: v_dual_mov_b32 v5, v7
.LBB275_1051:                           ;   in Loop: Header=BB275_671 Depth=1
	s_or_b32 exec_lo, exec_lo, s13
.LBB275_1052:                           ;   in Loop: Header=BB275_671 Depth=1
	s_delay_alu instid0(SALU_CYCLE_1)
	s_or_b32 exec_lo, exec_lo, s12
.LBB275_1053:                           ;   in Loop: Header=BB275_671 Depth=1
	s_delay_alu instid0(SALU_CYCLE_1) | instskip(SKIP_2) | instid1(VALU_DEP_1)
	s_or_b32 exec_lo, exec_lo, s10
	v_lshrrev_b16 v6, 8, v162
	s_mov_b32 s12, exec_lo
	v_cmpx_ne_u16_e32 0, v6
	s_cbranch_execz .LBB275_1061
; %bb.1054:                             ;   in Loop: Header=BB275_671 Depth=1
	v_dual_mov_b32 v15, s9 :: v_dual_mov_b32 v14, s8
	s_mov_b32 s13, exec_lo
	v_cmpx_ne_u16_e32 0x80, v6
	s_cbranch_execz .LBB275_1060
; %bb.1055:                             ;   in Loop: Header=BB275_671 Depth=1
	s_mov_b32 s10, s8
	v_dual_mov_b32 v15, s11 :: v_dual_and_b32 v6, 0xffff, v6
	v_mov_b32_e32 v14, s10
	s_mov_b32 s10, exec_lo
	s_delay_alu instid0(VALU_DEP_2) | instskip(NEXT) | instid1(VALU_DEP_1)
	v_and_b32_e32 v16, 0x7f, v6
	v_cmpx_ne_u32_e32 0x7f, v16
	s_cbranch_execz .LBB275_1059
; %bb.1056:                             ;   in Loop: Header=BB275_671 Depth=1
	v_and_b32_e32 v6, 7, v6
	v_lshrrev_b32_e32 v14, 3, v16
	s_mov_b32 s15, exec_lo
	v_cmpx_gt_u32_e32 8, v16
; %bb.1057:                             ;   in Loop: Header=BB275_671 Depth=1
	s_delay_alu instid0(VALU_DEP_3) | instskip(NEXT) | instid1(VALU_DEP_1)
	v_clz_i32_u32_e32 v14, v6
	v_min_u32_e32 v14, 32, v14
	s_delay_alu instid0(VALU_DEP_1) | instskip(SKIP_1) | instid1(VALU_DEP_2)
	v_subrev_nc_u32_e32 v15, 28, v14
	v_sub_nc_u32_e32 v14, 29, v14
	v_lshlrev_b64 v[15:16], v15, v[6:7]
	s_delay_alu instid0(VALU_DEP_1)
	v_and_b32_e32 v6, 7, v15
; %bb.1058:                             ;   in Loop: Header=BB275_671 Depth=1
	s_or_b32 exec_lo, exec_lo, s15
	v_lshlrev_b32_e32 v15, 16, v162
	s_delay_alu instid0(VALU_DEP_2) | instskip(SKIP_1) | instid1(VALU_DEP_3)
	v_lshlrev_b32_e32 v6, 20, v6
	v_lshl_add_u32 v14, v14, 23, 0x3c000000
	v_and_b32_e32 v15, 0x80000000, v15
	s_delay_alu instid0(VALU_DEP_1)
	v_or3_b32 v15, v6, v15, v14
	v_mov_b32_e32 v14, v7
.LBB275_1059:                           ;   in Loop: Header=BB275_671 Depth=1
	s_or_b32 exec_lo, exec_lo, s10
.LBB275_1060:                           ;   in Loop: Header=BB275_671 Depth=1
	s_delay_alu instid0(SALU_CYCLE_1)
	s_or_b32 exec_lo, exec_lo, s13
.LBB275_1061:                           ;   in Loop: Header=BB275_671 Depth=1
	s_delay_alu instid0(SALU_CYCLE_1) | instskip(SKIP_4) | instid1(VALU_DEP_2)
	s_or_b32 exec_lo, exec_lo, s12
	v_mov_b32_e32 v18, 0
	v_lshrrev_b32_e32 v163, 16, v162
	v_mov_b32_e32 v19, 0
	s_mov_b32 s10, exec_lo
	v_and_b32_e32 v6, 0xff, v163
	s_delay_alu instid0(VALU_DEP_2) | instskip(NEXT) | instid1(VALU_DEP_2)
	v_dual_mov_b32 v16, v18 :: v_dual_mov_b32 v17, v19
	v_cmpx_ne_u16_e32 0, v6
	s_cbranch_execz .LBB275_1069
; %bb.1062:                             ;   in Loop: Header=BB275_671 Depth=1
	v_bfrev_b32_e32 v16, 1
	v_mov_b32_e32 v17, 0
	s_mov_b32 s12, exec_lo
	v_cmpx_ne_u16_e32 0x80, v6
	s_cbranch_execz .LBB275_1068
; %bb.1063:                             ;   in Loop: Header=BB275_671 Depth=1
	v_mov_b32_e32 v16, 0x7f800001
	v_bfe_u32 v164, v162, 16, 7
	v_mov_b32_e32 v17, 0
	s_mov_b32 s13, exec_lo
	s_delay_alu instid0(VALU_DEP_2)
	v_cmpx_ne_u32_e32 0x7f, v164
	s_cbranch_execz .LBB275_1067
; %bb.1064:                             ;   in Loop: Header=BB275_671 Depth=1
	v_and_b32_e32 v6, 7, v163
	v_lshrrev_b32_e32 v16, 3, v164
	s_mov_b32 s15, exec_lo
	v_cmpx_gt_u32_e32 8, v164
; %bb.1065:                             ;   in Loop: Header=BB275_671 Depth=1
	s_delay_alu instid0(VALU_DEP_3) | instskip(NEXT) | instid1(VALU_DEP_1)
	v_clz_i32_u32_e32 v16, v6
	v_min_u32_e32 v16, 32, v16
	s_delay_alu instid0(VALU_DEP_1) | instskip(SKIP_1) | instid1(VALU_DEP_2)
	v_subrev_nc_u32_e32 v17, 28, v16
	v_sub_nc_u32_e32 v16, 29, v16
	v_lshlrev_b64 v[164:165], v17, v[6:7]
	s_delay_alu instid0(VALU_DEP_1)
	v_and_b32_e32 v6, 7, v164
; %bb.1066:                             ;   in Loop: Header=BB275_671 Depth=1
	s_or_b32 exec_lo, exec_lo, s15
	v_lshlrev_b32_e32 v17, 24, v163
	s_delay_alu instid0(VALU_DEP_2) | instskip(SKIP_1) | instid1(VALU_DEP_3)
	v_lshlrev_b32_e32 v6, 20, v6
	v_lshl_add_u32 v16, v16, 23, 0x3c000000
	v_and_b32_e32 v17, 0x80000000, v17
	s_delay_alu instid0(VALU_DEP_1) | instskip(NEXT) | instid1(VALU_DEP_1)
	v_or3_b32 v6, v6, v17, v16
	v_dual_mov_b32 v17, v7 :: v_dual_mov_b32 v16, v6
.LBB275_1067:                           ;   in Loop: Header=BB275_671 Depth=1
	s_or_b32 exec_lo, exec_lo, s13
.LBB275_1068:                           ;   in Loop: Header=BB275_671 Depth=1
	s_delay_alu instid0(SALU_CYCLE_1)
	s_or_b32 exec_lo, exec_lo, s12
.LBB275_1069:                           ;   in Loop: Header=BB275_671 Depth=1
	s_delay_alu instid0(SALU_CYCLE_1) | instskip(NEXT) | instid1(SALU_CYCLE_1)
	s_or_b32 exec_lo, exec_lo, s10
	s_mov_b32 s12, exec_lo
	v_cmpx_lt_u32_e32 0xffffff, v162
	s_cbranch_execz .LBB275_1077
; %bb.1070:                             ;   in Loop: Header=BB275_671 Depth=1
	v_lshrrev_b32_e32 v163, 24, v162
	v_dual_mov_b32 v19, s9 :: v_dual_mov_b32 v18, s8
	s_mov_b32 s13, exec_lo
	s_delay_alu instid0(VALU_DEP_2)
	v_cmpx_ne_u32_e32 0x80, v163
	s_cbranch_execz .LBB275_1076
; %bb.1071:                             ;   in Loop: Header=BB275_671 Depth=1
	s_mov_b32 s10, s8
	v_bfe_u32 v162, v162, 24, 7
	v_dual_mov_b32 v19, s11 :: v_dual_mov_b32 v18, s10
	s_mov_b32 s10, exec_lo
	s_delay_alu instid0(VALU_DEP_2)
	v_cmpx_ne_u32_e32 0x7f, v162
	s_cbranch_execz .LBB275_1075
; %bb.1072:                             ;   in Loop: Header=BB275_671 Depth=1
	v_and_b32_e32 v6, 7, v163
	v_lshrrev_b32_e32 v18, 3, v162
	s_mov_b32 s15, exec_lo
	v_cmpx_gt_u32_e32 8, v162
; %bb.1073:                             ;   in Loop: Header=BB275_671 Depth=1
	s_delay_alu instid0(VALU_DEP_3) | instskip(NEXT) | instid1(VALU_DEP_1)
	v_clz_i32_u32_e32 v18, v6
	v_min_u32_e32 v18, 32, v18
	s_delay_alu instid0(VALU_DEP_1) | instskip(SKIP_1) | instid1(VALU_DEP_2)
	v_subrev_nc_u32_e32 v19, 28, v18
	v_sub_nc_u32_e32 v18, 29, v18
	v_lshlrev_b64 v[164:165], v19, v[6:7]
	s_delay_alu instid0(VALU_DEP_1)
	v_and_b32_e32 v6, 7, v164
; %bb.1074:                             ;   in Loop: Header=BB275_671 Depth=1
	s_or_b32 exec_lo, exec_lo, s15
	v_lshlrev_b32_e32 v19, 24, v163
	s_delay_alu instid0(VALU_DEP_2) | instskip(SKIP_1) | instid1(VALU_DEP_3)
	v_lshlrev_b32_e32 v6, 20, v6
	v_lshl_add_u32 v18, v18, 23, 0x3c000000
	v_and_b32_e32 v19, 0x80000000, v19
	s_delay_alu instid0(VALU_DEP_1)
	v_or3_b32 v19, v6, v19, v18
	v_mov_b32_e32 v18, v7
.LBB275_1075:                           ;   in Loop: Header=BB275_671 Depth=1
	s_or_b32 exec_lo, exec_lo, s10
.LBB275_1076:                           ;   in Loop: Header=BB275_671 Depth=1
	s_delay_alu instid0(SALU_CYCLE_1)
	s_or_b32 exec_lo, exec_lo, s13
.LBB275_1077:                           ;   in Loop: Header=BB275_671 Depth=1
	s_delay_alu instid0(SALU_CYCLE_1) | instskip(SKIP_4) | instid1(VALU_DEP_3)
	s_or_b32 exec_lo, exec_lo, s12
	v_or_b32_e32 v5, v15, v5
	v_or_b32_e32 v4, v14, v4
	;; [unrolled: 1-line block ×4, first 2 shown]
	v_dual_mul_f32 v165, v65, v5 :: v_dual_mul_f32 v164, v54, v4
	s_delay_alu instid0(VALU_DEP_3) | instskip(NEXT) | instid1(VALU_DEP_3)
	v_mul_f32_e32 v162, v65, v6
	v_mul_f32_e32 v163, v54, v14
	s_and_saveexec_b32 s10, vcc_lo
; %bb.1078:                             ;   in Loop: Header=BB275_671 Depth=1
	v_cmp_lt_i32_e64 s0, v70, v119
	s_delay_alu instid0(VALU_DEP_1) | instskip(SKIP_1) | instid1(VALU_DEP_1)
	v_cndmask_b32_e64 v164, 0, v164, s0
	v_cmp_lt_i32_e64 s0, v80, v119
	v_cndmask_b32_e64 v165, 0, v165, s0
	v_cmp_lt_i32_e64 s0, v71, v119
	s_delay_alu instid0(VALU_DEP_1) | instskip(SKIP_1) | instid1(VALU_DEP_1)
	v_cndmask_b32_e64 v163, 0, v163, s0
	v_cmp_lt_i32_e64 s0, v21, v119
	v_cndmask_b32_e64 v162, 0, v162, s0
; %bb.1079:                             ;   in Loop: Header=BB275_671 Depth=1
	s_or_b32 exec_lo, exec_lo, s10
	flat_load_b32 v166, v[12:13] offset:1536
	v_mov_b32_e32 v14, 0
	v_mov_b32_e32 v15, 0
	s_mov_b32 s10, exec_lo
	s_waitcnt vmcnt(0) lgkmcnt(0)
	v_and_b32_e32 v6, 0xff, v166
	s_delay_alu instid0(VALU_DEP_2) | instskip(NEXT) | instid1(VALU_DEP_2)
	v_dual_mov_b32 v4, v14 :: v_dual_mov_b32 v5, v15
	v_cmpx_ne_u16_e32 0, v6
	s_cbranch_execz .LBB275_1087
; %bb.1080:                             ;   in Loop: Header=BB275_671 Depth=1
	v_bfrev_b32_e32 v4, 1
	v_mov_b32_e32 v5, 0
	s_mov_b32 s12, exec_lo
	v_cmpx_ne_u16_e32 0x80, v6
	s_cbranch_execz .LBB275_1086
; %bb.1081:                             ;   in Loop: Header=BB275_671 Depth=1
	v_mov_b32_e32 v4, 0x7f800001
	v_dual_mov_b32 v5, 0 :: v_dual_and_b32 v16, 0x7f, v166
	s_mov_b32 s13, exec_lo
	s_delay_alu instid0(VALU_DEP_1)
	v_cmpx_ne_u32_e32 0x7f, v16
	s_cbranch_execz .LBB275_1085
; %bb.1082:                             ;   in Loop: Header=BB275_671 Depth=1
	v_and_b32_e32 v6, 7, v166
	v_lshrrev_b32_e32 v4, 3, v16
	s_mov_b32 s15, exec_lo
	v_cmpx_gt_u32_e32 8, v16
; %bb.1083:                             ;   in Loop: Header=BB275_671 Depth=1
	s_delay_alu instid0(VALU_DEP_3) | instskip(NEXT) | instid1(VALU_DEP_1)
	v_clz_i32_u32_e32 v4, v6
	v_min_u32_e32 v4, 32, v4
	s_delay_alu instid0(VALU_DEP_1) | instskip(SKIP_1) | instid1(VALU_DEP_2)
	v_subrev_nc_u32_e32 v5, 28, v4
	v_sub_nc_u32_e32 v4, 29, v4
	v_lshlrev_b64 v[5:6], v5, v[6:7]
	s_delay_alu instid0(VALU_DEP_1)
	v_and_b32_e32 v6, 7, v5
; %bb.1084:                             ;   in Loop: Header=BB275_671 Depth=1
	s_or_b32 exec_lo, exec_lo, s15
	v_lshlrev_b32_e32 v5, 24, v166
	s_delay_alu instid0(VALU_DEP_2) | instskip(SKIP_1) | instid1(VALU_DEP_3)
	v_lshlrev_b32_e32 v6, 20, v6
	v_lshl_add_u32 v4, v4, 23, 0x3c000000
	v_and_b32_e32 v5, 0x80000000, v5
	s_delay_alu instid0(VALU_DEP_1) | instskip(NEXT) | instid1(VALU_DEP_1)
	v_or3_b32 v6, v6, v5, v4
	v_dual_mov_b32 v4, v6 :: v_dual_mov_b32 v5, v7
.LBB275_1085:                           ;   in Loop: Header=BB275_671 Depth=1
	s_or_b32 exec_lo, exec_lo, s13
.LBB275_1086:                           ;   in Loop: Header=BB275_671 Depth=1
	s_delay_alu instid0(SALU_CYCLE_1)
	s_or_b32 exec_lo, exec_lo, s12
.LBB275_1087:                           ;   in Loop: Header=BB275_671 Depth=1
	s_delay_alu instid0(SALU_CYCLE_1) | instskip(SKIP_2) | instid1(VALU_DEP_1)
	s_or_b32 exec_lo, exec_lo, s10
	v_lshrrev_b16 v6, 8, v166
	s_mov_b32 s12, exec_lo
	v_cmpx_ne_u16_e32 0, v6
	s_cbranch_execz .LBB275_1095
; %bb.1088:                             ;   in Loop: Header=BB275_671 Depth=1
	v_dual_mov_b32 v15, s9 :: v_dual_mov_b32 v14, s8
	s_mov_b32 s13, exec_lo
	v_cmpx_ne_u16_e32 0x80, v6
	s_cbranch_execz .LBB275_1094
; %bb.1089:                             ;   in Loop: Header=BB275_671 Depth=1
	s_mov_b32 s10, s8
	v_dual_mov_b32 v15, s11 :: v_dual_and_b32 v6, 0xffff, v6
	v_mov_b32_e32 v14, s10
	s_mov_b32 s10, exec_lo
	s_delay_alu instid0(VALU_DEP_2) | instskip(NEXT) | instid1(VALU_DEP_1)
	v_and_b32_e32 v16, 0x7f, v6
	v_cmpx_ne_u32_e32 0x7f, v16
	s_cbranch_execz .LBB275_1093
; %bb.1090:                             ;   in Loop: Header=BB275_671 Depth=1
	v_and_b32_e32 v6, 7, v6
	v_lshrrev_b32_e32 v14, 3, v16
	s_mov_b32 s15, exec_lo
	v_cmpx_gt_u32_e32 8, v16
; %bb.1091:                             ;   in Loop: Header=BB275_671 Depth=1
	s_delay_alu instid0(VALU_DEP_3) | instskip(NEXT) | instid1(VALU_DEP_1)
	v_clz_i32_u32_e32 v14, v6
	v_min_u32_e32 v14, 32, v14
	s_delay_alu instid0(VALU_DEP_1) | instskip(SKIP_1) | instid1(VALU_DEP_2)
	v_subrev_nc_u32_e32 v15, 28, v14
	v_sub_nc_u32_e32 v14, 29, v14
	v_lshlrev_b64 v[15:16], v15, v[6:7]
	s_delay_alu instid0(VALU_DEP_1)
	v_and_b32_e32 v6, 7, v15
; %bb.1092:                             ;   in Loop: Header=BB275_671 Depth=1
	s_or_b32 exec_lo, exec_lo, s15
	v_lshlrev_b32_e32 v15, 16, v166
	s_delay_alu instid0(VALU_DEP_2) | instskip(SKIP_1) | instid1(VALU_DEP_3)
	v_lshlrev_b32_e32 v6, 20, v6
	v_lshl_add_u32 v14, v14, 23, 0x3c000000
	v_and_b32_e32 v15, 0x80000000, v15
	s_delay_alu instid0(VALU_DEP_1)
	v_or3_b32 v15, v6, v15, v14
	v_mov_b32_e32 v14, v7
.LBB275_1093:                           ;   in Loop: Header=BB275_671 Depth=1
	s_or_b32 exec_lo, exec_lo, s10
.LBB275_1094:                           ;   in Loop: Header=BB275_671 Depth=1
	s_delay_alu instid0(SALU_CYCLE_1)
	s_or_b32 exec_lo, exec_lo, s13
.LBB275_1095:                           ;   in Loop: Header=BB275_671 Depth=1
	s_delay_alu instid0(SALU_CYCLE_1) | instskip(SKIP_4) | instid1(VALU_DEP_2)
	s_or_b32 exec_lo, exec_lo, s12
	v_mov_b32_e32 v18, 0
	v_lshrrev_b32_e32 v167, 16, v166
	v_mov_b32_e32 v19, 0
	s_mov_b32 s10, exec_lo
	v_and_b32_e32 v6, 0xff, v167
	s_delay_alu instid0(VALU_DEP_2) | instskip(NEXT) | instid1(VALU_DEP_2)
	v_dual_mov_b32 v16, v18 :: v_dual_mov_b32 v17, v19
	v_cmpx_ne_u16_e32 0, v6
	s_cbranch_execz .LBB275_1103
; %bb.1096:                             ;   in Loop: Header=BB275_671 Depth=1
	v_bfrev_b32_e32 v16, 1
	v_mov_b32_e32 v17, 0
	s_mov_b32 s12, exec_lo
	v_cmpx_ne_u16_e32 0x80, v6
	s_cbranch_execz .LBB275_1102
; %bb.1097:                             ;   in Loop: Header=BB275_671 Depth=1
	v_mov_b32_e32 v16, 0x7f800001
	v_bfe_u32 v176, v166, 16, 7
	v_mov_b32_e32 v17, 0
	s_mov_b32 s13, exec_lo
	s_delay_alu instid0(VALU_DEP_2)
	v_cmpx_ne_u32_e32 0x7f, v176
	s_cbranch_execz .LBB275_1101
; %bb.1098:                             ;   in Loop: Header=BB275_671 Depth=1
	v_and_b32_e32 v6, 7, v167
	v_lshrrev_b32_e32 v16, 3, v176
	s_mov_b32 s15, exec_lo
	v_cmpx_gt_u32_e32 8, v176
; %bb.1099:                             ;   in Loop: Header=BB275_671 Depth=1
	s_delay_alu instid0(VALU_DEP_3) | instskip(NEXT) | instid1(VALU_DEP_1)
	v_clz_i32_u32_e32 v16, v6
	v_min_u32_e32 v16, 32, v16
	s_delay_alu instid0(VALU_DEP_1) | instskip(SKIP_1) | instid1(VALU_DEP_2)
	v_subrev_nc_u32_e32 v17, 28, v16
	v_sub_nc_u32_e32 v16, 29, v16
	v_lshlrev_b64 v[176:177], v17, v[6:7]
	s_delay_alu instid0(VALU_DEP_1)
	v_and_b32_e32 v6, 7, v176
; %bb.1100:                             ;   in Loop: Header=BB275_671 Depth=1
	s_or_b32 exec_lo, exec_lo, s15
	v_lshlrev_b32_e32 v17, 24, v167
	s_delay_alu instid0(VALU_DEP_2) | instskip(SKIP_1) | instid1(VALU_DEP_3)
	v_lshlrev_b32_e32 v6, 20, v6
	v_lshl_add_u32 v16, v16, 23, 0x3c000000
	v_and_b32_e32 v17, 0x80000000, v17
	s_delay_alu instid0(VALU_DEP_1) | instskip(NEXT) | instid1(VALU_DEP_1)
	v_or3_b32 v6, v6, v17, v16
	v_dual_mov_b32 v17, v7 :: v_dual_mov_b32 v16, v6
.LBB275_1101:                           ;   in Loop: Header=BB275_671 Depth=1
	s_or_b32 exec_lo, exec_lo, s13
.LBB275_1102:                           ;   in Loop: Header=BB275_671 Depth=1
	s_delay_alu instid0(SALU_CYCLE_1)
	s_or_b32 exec_lo, exec_lo, s12
.LBB275_1103:                           ;   in Loop: Header=BB275_671 Depth=1
	s_delay_alu instid0(SALU_CYCLE_1) | instskip(NEXT) | instid1(SALU_CYCLE_1)
	s_or_b32 exec_lo, exec_lo, s10
	s_mov_b32 s12, exec_lo
	v_cmpx_lt_u32_e32 0xffffff, v166
	s_cbranch_execz .LBB275_1111
; %bb.1104:                             ;   in Loop: Header=BB275_671 Depth=1
	v_lshrrev_b32_e32 v167, 24, v166
	v_dual_mov_b32 v19, s9 :: v_dual_mov_b32 v18, s8
	s_mov_b32 s13, exec_lo
	s_delay_alu instid0(VALU_DEP_2)
	v_cmpx_ne_u32_e32 0x80, v167
	s_cbranch_execz .LBB275_1110
; %bb.1105:                             ;   in Loop: Header=BB275_671 Depth=1
	s_mov_b32 s10, s8
	v_bfe_u32 v166, v166, 24, 7
	v_dual_mov_b32 v19, s11 :: v_dual_mov_b32 v18, s10
	s_mov_b32 s10, exec_lo
	s_delay_alu instid0(VALU_DEP_2)
	v_cmpx_ne_u32_e32 0x7f, v166
	s_cbranch_execz .LBB275_1109
; %bb.1106:                             ;   in Loop: Header=BB275_671 Depth=1
	v_and_b32_e32 v6, 7, v167
	v_lshrrev_b32_e32 v18, 3, v166
	s_mov_b32 s15, exec_lo
	v_cmpx_gt_u32_e32 8, v166
; %bb.1107:                             ;   in Loop: Header=BB275_671 Depth=1
	s_delay_alu instid0(VALU_DEP_3) | instskip(NEXT) | instid1(VALU_DEP_1)
	v_clz_i32_u32_e32 v18, v6
	v_min_u32_e32 v18, 32, v18
	s_delay_alu instid0(VALU_DEP_1) | instskip(SKIP_1) | instid1(VALU_DEP_2)
	v_subrev_nc_u32_e32 v19, 28, v18
	v_sub_nc_u32_e32 v18, 29, v18
	v_lshlrev_b64 v[176:177], v19, v[6:7]
	s_delay_alu instid0(VALU_DEP_1)
	v_and_b32_e32 v6, 7, v176
; %bb.1108:                             ;   in Loop: Header=BB275_671 Depth=1
	s_or_b32 exec_lo, exec_lo, s15
	v_lshlrev_b32_e32 v19, 24, v167
	s_delay_alu instid0(VALU_DEP_2) | instskip(SKIP_1) | instid1(VALU_DEP_3)
	v_lshlrev_b32_e32 v6, 20, v6
	v_lshl_add_u32 v18, v18, 23, 0x3c000000
	v_and_b32_e32 v19, 0x80000000, v19
	s_delay_alu instid0(VALU_DEP_1)
	v_or3_b32 v19, v6, v19, v18
	v_mov_b32_e32 v18, v7
.LBB275_1109:                           ;   in Loop: Header=BB275_671 Depth=1
	s_or_b32 exec_lo, exec_lo, s10
.LBB275_1110:                           ;   in Loop: Header=BB275_671 Depth=1
	s_delay_alu instid0(SALU_CYCLE_1)
	s_or_b32 exec_lo, exec_lo, s13
.LBB275_1111:                           ;   in Loop: Header=BB275_671 Depth=1
	s_delay_alu instid0(SALU_CYCLE_1) | instskip(SKIP_4) | instid1(VALU_DEP_3)
	s_or_b32 exec_lo, exec_lo, s12
	v_or_b32_e32 v5, v15, v5
	v_or_b32_e32 v4, v14, v4
	;; [unrolled: 1-line block ×4, first 2 shown]
	v_dual_mul_f32 v177, v65, v5 :: v_dual_mul_f32 v176, v54, v4
	s_delay_alu instid0(VALU_DEP_3) | instskip(NEXT) | instid1(VALU_DEP_3)
	v_mul_f32_e32 v166, v65, v6
	v_mul_f32_e32 v167, v54, v14
	s_and_saveexec_b32 s10, vcc_lo
; %bb.1112:                             ;   in Loop: Header=BB275_671 Depth=1
	v_cmp_lt_i32_e64 s0, v70, v119
	s_delay_alu instid0(VALU_DEP_1) | instskip(SKIP_1) | instid1(VALU_DEP_1)
	v_cndmask_b32_e64 v176, 0, v176, s0
	v_cmp_lt_i32_e64 s0, v80, v119
	v_cndmask_b32_e64 v177, 0, v177, s0
	v_cmp_lt_i32_e64 s0, v71, v119
	s_delay_alu instid0(VALU_DEP_1) | instskip(SKIP_1) | instid1(VALU_DEP_1)
	v_cndmask_b32_e64 v167, 0, v167, s0
	v_cmp_lt_i32_e64 s0, v21, v119
	v_cndmask_b32_e64 v166, 0, v166, s0
; %bb.1113:                             ;   in Loop: Header=BB275_671 Depth=1
	s_or_b32 exec_lo, exec_lo, s10
	flat_load_b32 v178, v[12:13] offset:1664
	v_mov_b32_e32 v14, 0
	v_mov_b32_e32 v15, 0
	s_mov_b32 s10, exec_lo
	s_waitcnt vmcnt(0) lgkmcnt(0)
	v_and_b32_e32 v6, 0xff, v178
	s_delay_alu instid0(VALU_DEP_2) | instskip(NEXT) | instid1(VALU_DEP_2)
	v_dual_mov_b32 v4, v14 :: v_dual_mov_b32 v5, v15
	v_cmpx_ne_u16_e32 0, v6
	s_cbranch_execz .LBB275_1121
; %bb.1114:                             ;   in Loop: Header=BB275_671 Depth=1
	v_bfrev_b32_e32 v4, 1
	v_mov_b32_e32 v5, 0
	s_mov_b32 s12, exec_lo
	v_cmpx_ne_u16_e32 0x80, v6
	s_cbranch_execz .LBB275_1120
; %bb.1115:                             ;   in Loop: Header=BB275_671 Depth=1
	v_mov_b32_e32 v4, 0x7f800001
	v_dual_mov_b32 v5, 0 :: v_dual_and_b32 v16, 0x7f, v178
	s_mov_b32 s13, exec_lo
	s_delay_alu instid0(VALU_DEP_1)
	v_cmpx_ne_u32_e32 0x7f, v16
	s_cbranch_execz .LBB275_1119
; %bb.1116:                             ;   in Loop: Header=BB275_671 Depth=1
	v_and_b32_e32 v6, 7, v178
	v_lshrrev_b32_e32 v4, 3, v16
	s_mov_b32 s15, exec_lo
	v_cmpx_gt_u32_e32 8, v16
; %bb.1117:                             ;   in Loop: Header=BB275_671 Depth=1
	s_delay_alu instid0(VALU_DEP_3) | instskip(NEXT) | instid1(VALU_DEP_1)
	v_clz_i32_u32_e32 v4, v6
	v_min_u32_e32 v4, 32, v4
	s_delay_alu instid0(VALU_DEP_1) | instskip(SKIP_1) | instid1(VALU_DEP_2)
	v_subrev_nc_u32_e32 v5, 28, v4
	v_sub_nc_u32_e32 v4, 29, v4
	v_lshlrev_b64 v[5:6], v5, v[6:7]
	s_delay_alu instid0(VALU_DEP_1)
	v_and_b32_e32 v6, 7, v5
; %bb.1118:                             ;   in Loop: Header=BB275_671 Depth=1
	s_or_b32 exec_lo, exec_lo, s15
	v_lshlrev_b32_e32 v5, 24, v178
	s_delay_alu instid0(VALU_DEP_2) | instskip(SKIP_1) | instid1(VALU_DEP_3)
	v_lshlrev_b32_e32 v6, 20, v6
	v_lshl_add_u32 v4, v4, 23, 0x3c000000
	v_and_b32_e32 v5, 0x80000000, v5
	s_delay_alu instid0(VALU_DEP_1) | instskip(NEXT) | instid1(VALU_DEP_1)
	v_or3_b32 v6, v6, v5, v4
	v_dual_mov_b32 v4, v6 :: v_dual_mov_b32 v5, v7
.LBB275_1119:                           ;   in Loop: Header=BB275_671 Depth=1
	s_or_b32 exec_lo, exec_lo, s13
.LBB275_1120:                           ;   in Loop: Header=BB275_671 Depth=1
	s_delay_alu instid0(SALU_CYCLE_1)
	s_or_b32 exec_lo, exec_lo, s12
.LBB275_1121:                           ;   in Loop: Header=BB275_671 Depth=1
	s_delay_alu instid0(SALU_CYCLE_1) | instskip(SKIP_2) | instid1(VALU_DEP_1)
	s_or_b32 exec_lo, exec_lo, s10
	v_lshrrev_b16 v6, 8, v178
	s_mov_b32 s12, exec_lo
	v_cmpx_ne_u16_e32 0, v6
	s_cbranch_execz .LBB275_1129
; %bb.1122:                             ;   in Loop: Header=BB275_671 Depth=1
	v_dual_mov_b32 v15, s9 :: v_dual_mov_b32 v14, s8
	s_mov_b32 s13, exec_lo
	v_cmpx_ne_u16_e32 0x80, v6
	s_cbranch_execz .LBB275_1128
; %bb.1123:                             ;   in Loop: Header=BB275_671 Depth=1
	s_mov_b32 s10, s8
	v_dual_mov_b32 v15, s11 :: v_dual_and_b32 v6, 0xffff, v6
	v_mov_b32_e32 v14, s10
	s_mov_b32 s10, exec_lo
	s_delay_alu instid0(VALU_DEP_2) | instskip(NEXT) | instid1(VALU_DEP_1)
	v_and_b32_e32 v16, 0x7f, v6
	v_cmpx_ne_u32_e32 0x7f, v16
	s_cbranch_execz .LBB275_1127
; %bb.1124:                             ;   in Loop: Header=BB275_671 Depth=1
	v_and_b32_e32 v6, 7, v6
	v_lshrrev_b32_e32 v14, 3, v16
	s_mov_b32 s15, exec_lo
	v_cmpx_gt_u32_e32 8, v16
; %bb.1125:                             ;   in Loop: Header=BB275_671 Depth=1
	s_delay_alu instid0(VALU_DEP_3) | instskip(NEXT) | instid1(VALU_DEP_1)
	v_clz_i32_u32_e32 v14, v6
	v_min_u32_e32 v14, 32, v14
	s_delay_alu instid0(VALU_DEP_1) | instskip(SKIP_1) | instid1(VALU_DEP_2)
	v_subrev_nc_u32_e32 v15, 28, v14
	v_sub_nc_u32_e32 v14, 29, v14
	v_lshlrev_b64 v[15:16], v15, v[6:7]
	s_delay_alu instid0(VALU_DEP_1)
	v_and_b32_e32 v6, 7, v15
; %bb.1126:                             ;   in Loop: Header=BB275_671 Depth=1
	s_or_b32 exec_lo, exec_lo, s15
	v_lshlrev_b32_e32 v15, 16, v178
	s_delay_alu instid0(VALU_DEP_2) | instskip(SKIP_1) | instid1(VALU_DEP_3)
	v_lshlrev_b32_e32 v6, 20, v6
	v_lshl_add_u32 v14, v14, 23, 0x3c000000
	v_and_b32_e32 v15, 0x80000000, v15
	s_delay_alu instid0(VALU_DEP_1)
	v_or3_b32 v15, v6, v15, v14
	v_mov_b32_e32 v14, v7
.LBB275_1127:                           ;   in Loop: Header=BB275_671 Depth=1
	s_or_b32 exec_lo, exec_lo, s10
.LBB275_1128:                           ;   in Loop: Header=BB275_671 Depth=1
	s_delay_alu instid0(SALU_CYCLE_1)
	s_or_b32 exec_lo, exec_lo, s13
.LBB275_1129:                           ;   in Loop: Header=BB275_671 Depth=1
	s_delay_alu instid0(SALU_CYCLE_1) | instskip(SKIP_4) | instid1(VALU_DEP_2)
	s_or_b32 exec_lo, exec_lo, s12
	v_mov_b32_e32 v18, 0
	v_lshrrev_b32_e32 v179, 16, v178
	v_mov_b32_e32 v19, 0
	s_mov_b32 s10, exec_lo
	v_and_b32_e32 v6, 0xff, v179
	s_delay_alu instid0(VALU_DEP_2) | instskip(NEXT) | instid1(VALU_DEP_2)
	v_dual_mov_b32 v16, v18 :: v_dual_mov_b32 v17, v19
	v_cmpx_ne_u16_e32 0, v6
	s_cbranch_execz .LBB275_1137
; %bb.1130:                             ;   in Loop: Header=BB275_671 Depth=1
	v_bfrev_b32_e32 v16, 1
	v_mov_b32_e32 v17, 0
	s_mov_b32 s12, exec_lo
	v_cmpx_ne_u16_e32 0x80, v6
	s_cbranch_execz .LBB275_1136
; %bb.1131:                             ;   in Loop: Header=BB275_671 Depth=1
	v_mov_b32_e32 v16, 0x7f800001
	v_bfe_u32 v180, v178, 16, 7
	v_mov_b32_e32 v17, 0
	s_mov_b32 s13, exec_lo
	s_delay_alu instid0(VALU_DEP_2)
	v_cmpx_ne_u32_e32 0x7f, v180
	s_cbranch_execz .LBB275_1135
; %bb.1132:                             ;   in Loop: Header=BB275_671 Depth=1
	v_and_b32_e32 v6, 7, v179
	v_lshrrev_b32_e32 v16, 3, v180
	s_mov_b32 s15, exec_lo
	v_cmpx_gt_u32_e32 8, v180
; %bb.1133:                             ;   in Loop: Header=BB275_671 Depth=1
	s_delay_alu instid0(VALU_DEP_3) | instskip(NEXT) | instid1(VALU_DEP_1)
	v_clz_i32_u32_e32 v16, v6
	v_min_u32_e32 v16, 32, v16
	s_delay_alu instid0(VALU_DEP_1) | instskip(SKIP_1) | instid1(VALU_DEP_2)
	v_subrev_nc_u32_e32 v17, 28, v16
	v_sub_nc_u32_e32 v16, 29, v16
	v_lshlrev_b64 v[180:181], v17, v[6:7]
	s_delay_alu instid0(VALU_DEP_1)
	v_and_b32_e32 v6, 7, v180
; %bb.1134:                             ;   in Loop: Header=BB275_671 Depth=1
	s_or_b32 exec_lo, exec_lo, s15
	v_lshlrev_b32_e32 v17, 24, v179
	s_delay_alu instid0(VALU_DEP_2) | instskip(SKIP_1) | instid1(VALU_DEP_3)
	v_lshlrev_b32_e32 v6, 20, v6
	v_lshl_add_u32 v16, v16, 23, 0x3c000000
	v_and_b32_e32 v17, 0x80000000, v17
	s_delay_alu instid0(VALU_DEP_1) | instskip(NEXT) | instid1(VALU_DEP_1)
	v_or3_b32 v6, v6, v17, v16
	v_dual_mov_b32 v17, v7 :: v_dual_mov_b32 v16, v6
.LBB275_1135:                           ;   in Loop: Header=BB275_671 Depth=1
	s_or_b32 exec_lo, exec_lo, s13
.LBB275_1136:                           ;   in Loop: Header=BB275_671 Depth=1
	s_delay_alu instid0(SALU_CYCLE_1)
	s_or_b32 exec_lo, exec_lo, s12
.LBB275_1137:                           ;   in Loop: Header=BB275_671 Depth=1
	s_delay_alu instid0(SALU_CYCLE_1) | instskip(NEXT) | instid1(SALU_CYCLE_1)
	s_or_b32 exec_lo, exec_lo, s10
	s_mov_b32 s12, exec_lo
	v_cmpx_lt_u32_e32 0xffffff, v178
	s_cbranch_execz .LBB275_1145
; %bb.1138:                             ;   in Loop: Header=BB275_671 Depth=1
	v_lshrrev_b32_e32 v179, 24, v178
	v_dual_mov_b32 v19, s9 :: v_dual_mov_b32 v18, s8
	s_mov_b32 s13, exec_lo
	s_delay_alu instid0(VALU_DEP_2)
	v_cmpx_ne_u32_e32 0x80, v179
	s_cbranch_execz .LBB275_1144
; %bb.1139:                             ;   in Loop: Header=BB275_671 Depth=1
	s_mov_b32 s10, s8
	v_bfe_u32 v178, v178, 24, 7
	v_dual_mov_b32 v19, s11 :: v_dual_mov_b32 v18, s10
	s_mov_b32 s10, exec_lo
	s_delay_alu instid0(VALU_DEP_2)
	v_cmpx_ne_u32_e32 0x7f, v178
	s_cbranch_execz .LBB275_1143
; %bb.1140:                             ;   in Loop: Header=BB275_671 Depth=1
	v_and_b32_e32 v6, 7, v179
	v_lshrrev_b32_e32 v18, 3, v178
	s_mov_b32 s15, exec_lo
	v_cmpx_gt_u32_e32 8, v178
; %bb.1141:                             ;   in Loop: Header=BB275_671 Depth=1
	s_delay_alu instid0(VALU_DEP_3) | instskip(NEXT) | instid1(VALU_DEP_1)
	v_clz_i32_u32_e32 v18, v6
	v_min_u32_e32 v18, 32, v18
	s_delay_alu instid0(VALU_DEP_1) | instskip(SKIP_1) | instid1(VALU_DEP_2)
	v_subrev_nc_u32_e32 v19, 28, v18
	v_sub_nc_u32_e32 v18, 29, v18
	v_lshlrev_b64 v[180:181], v19, v[6:7]
	s_delay_alu instid0(VALU_DEP_1)
	v_and_b32_e32 v6, 7, v180
; %bb.1142:                             ;   in Loop: Header=BB275_671 Depth=1
	s_or_b32 exec_lo, exec_lo, s15
	v_lshlrev_b32_e32 v19, 24, v179
	s_delay_alu instid0(VALU_DEP_2) | instskip(SKIP_1) | instid1(VALU_DEP_3)
	v_lshlrev_b32_e32 v6, 20, v6
	v_lshl_add_u32 v18, v18, 23, 0x3c000000
	v_and_b32_e32 v19, 0x80000000, v19
	s_delay_alu instid0(VALU_DEP_1)
	v_or3_b32 v19, v6, v19, v18
	v_mov_b32_e32 v18, v7
.LBB275_1143:                           ;   in Loop: Header=BB275_671 Depth=1
	s_or_b32 exec_lo, exec_lo, s10
.LBB275_1144:                           ;   in Loop: Header=BB275_671 Depth=1
	s_delay_alu instid0(SALU_CYCLE_1)
	s_or_b32 exec_lo, exec_lo, s13
.LBB275_1145:                           ;   in Loop: Header=BB275_671 Depth=1
	s_delay_alu instid0(SALU_CYCLE_1) | instskip(SKIP_4) | instid1(VALU_DEP_3)
	s_or_b32 exec_lo, exec_lo, s12
	v_or_b32_e32 v5, v15, v5
	v_or_b32_e32 v4, v14, v4
	;; [unrolled: 1-line block ×4, first 2 shown]
	v_dual_mul_f32 v181, v65, v5 :: v_dual_mul_f32 v180, v54, v4
	s_delay_alu instid0(VALU_DEP_3) | instskip(NEXT) | instid1(VALU_DEP_3)
	v_mul_f32_e32 v178, v65, v6
	v_mul_f32_e32 v179, v54, v14
	s_and_saveexec_b32 s10, vcc_lo
; %bb.1146:                             ;   in Loop: Header=BB275_671 Depth=1
	v_cmp_lt_i32_e64 s0, v70, v119
	s_delay_alu instid0(VALU_DEP_1) | instskip(SKIP_1) | instid1(VALU_DEP_1)
	v_cndmask_b32_e64 v180, 0, v180, s0
	v_cmp_lt_i32_e64 s0, v80, v119
	v_cndmask_b32_e64 v181, 0, v181, s0
	v_cmp_lt_i32_e64 s0, v71, v119
	s_delay_alu instid0(VALU_DEP_1) | instskip(SKIP_1) | instid1(VALU_DEP_1)
	v_cndmask_b32_e64 v179, 0, v179, s0
	v_cmp_lt_i32_e64 s0, v21, v119
	v_cndmask_b32_e64 v178, 0, v178, s0
; %bb.1147:                             ;   in Loop: Header=BB275_671 Depth=1
	s_or_b32 exec_lo, exec_lo, s10
	flat_load_b32 v182, v[12:13] offset:1792
	v_mov_b32_e32 v14, 0
	v_mov_b32_e32 v15, 0
	s_mov_b32 s10, exec_lo
	s_waitcnt vmcnt(0) lgkmcnt(0)
	v_and_b32_e32 v6, 0xff, v182
	s_delay_alu instid0(VALU_DEP_2) | instskip(NEXT) | instid1(VALU_DEP_2)
	v_dual_mov_b32 v4, v14 :: v_dual_mov_b32 v5, v15
	v_cmpx_ne_u16_e32 0, v6
	s_cbranch_execz .LBB275_1155
; %bb.1148:                             ;   in Loop: Header=BB275_671 Depth=1
	v_bfrev_b32_e32 v4, 1
	v_mov_b32_e32 v5, 0
	s_mov_b32 s12, exec_lo
	v_cmpx_ne_u16_e32 0x80, v6
	s_cbranch_execz .LBB275_1154
; %bb.1149:                             ;   in Loop: Header=BB275_671 Depth=1
	v_mov_b32_e32 v4, 0x7f800001
	v_dual_mov_b32 v5, 0 :: v_dual_and_b32 v16, 0x7f, v182
	s_mov_b32 s13, exec_lo
	s_delay_alu instid0(VALU_DEP_1)
	v_cmpx_ne_u32_e32 0x7f, v16
	s_cbranch_execz .LBB275_1153
; %bb.1150:                             ;   in Loop: Header=BB275_671 Depth=1
	v_and_b32_e32 v6, 7, v182
	v_lshrrev_b32_e32 v4, 3, v16
	s_mov_b32 s15, exec_lo
	v_cmpx_gt_u32_e32 8, v16
; %bb.1151:                             ;   in Loop: Header=BB275_671 Depth=1
	s_delay_alu instid0(VALU_DEP_3) | instskip(NEXT) | instid1(VALU_DEP_1)
	v_clz_i32_u32_e32 v4, v6
	v_min_u32_e32 v4, 32, v4
	s_delay_alu instid0(VALU_DEP_1) | instskip(SKIP_1) | instid1(VALU_DEP_2)
	v_subrev_nc_u32_e32 v5, 28, v4
	v_sub_nc_u32_e32 v4, 29, v4
	v_lshlrev_b64 v[5:6], v5, v[6:7]
	s_delay_alu instid0(VALU_DEP_1)
	v_and_b32_e32 v6, 7, v5
; %bb.1152:                             ;   in Loop: Header=BB275_671 Depth=1
	s_or_b32 exec_lo, exec_lo, s15
	v_lshlrev_b32_e32 v5, 24, v182
	s_delay_alu instid0(VALU_DEP_2) | instskip(SKIP_1) | instid1(VALU_DEP_3)
	v_lshlrev_b32_e32 v6, 20, v6
	v_lshl_add_u32 v4, v4, 23, 0x3c000000
	v_and_b32_e32 v5, 0x80000000, v5
	s_delay_alu instid0(VALU_DEP_1) | instskip(NEXT) | instid1(VALU_DEP_1)
	v_or3_b32 v6, v6, v5, v4
	v_dual_mov_b32 v4, v6 :: v_dual_mov_b32 v5, v7
.LBB275_1153:                           ;   in Loop: Header=BB275_671 Depth=1
	s_or_b32 exec_lo, exec_lo, s13
.LBB275_1154:                           ;   in Loop: Header=BB275_671 Depth=1
	s_delay_alu instid0(SALU_CYCLE_1)
	s_or_b32 exec_lo, exec_lo, s12
.LBB275_1155:                           ;   in Loop: Header=BB275_671 Depth=1
	s_delay_alu instid0(SALU_CYCLE_1) | instskip(SKIP_2) | instid1(VALU_DEP_1)
	s_or_b32 exec_lo, exec_lo, s10
	v_lshrrev_b16 v6, 8, v182
	s_mov_b32 s12, exec_lo
	v_cmpx_ne_u16_e32 0, v6
	s_cbranch_execz .LBB275_1163
; %bb.1156:                             ;   in Loop: Header=BB275_671 Depth=1
	v_dual_mov_b32 v15, s9 :: v_dual_mov_b32 v14, s8
	s_mov_b32 s13, exec_lo
	v_cmpx_ne_u16_e32 0x80, v6
	s_cbranch_execz .LBB275_1162
; %bb.1157:                             ;   in Loop: Header=BB275_671 Depth=1
	s_mov_b32 s10, s8
	v_dual_mov_b32 v15, s11 :: v_dual_and_b32 v6, 0xffff, v6
	v_mov_b32_e32 v14, s10
	s_mov_b32 s10, exec_lo
	s_delay_alu instid0(VALU_DEP_2) | instskip(NEXT) | instid1(VALU_DEP_1)
	v_and_b32_e32 v16, 0x7f, v6
	v_cmpx_ne_u32_e32 0x7f, v16
	s_cbranch_execz .LBB275_1161
; %bb.1158:                             ;   in Loop: Header=BB275_671 Depth=1
	v_and_b32_e32 v6, 7, v6
	v_lshrrev_b32_e32 v14, 3, v16
	s_mov_b32 s15, exec_lo
	v_cmpx_gt_u32_e32 8, v16
; %bb.1159:                             ;   in Loop: Header=BB275_671 Depth=1
	s_delay_alu instid0(VALU_DEP_3) | instskip(NEXT) | instid1(VALU_DEP_1)
	v_clz_i32_u32_e32 v14, v6
	v_min_u32_e32 v14, 32, v14
	s_delay_alu instid0(VALU_DEP_1) | instskip(SKIP_1) | instid1(VALU_DEP_2)
	v_subrev_nc_u32_e32 v15, 28, v14
	v_sub_nc_u32_e32 v14, 29, v14
	v_lshlrev_b64 v[15:16], v15, v[6:7]
	s_delay_alu instid0(VALU_DEP_1)
	v_and_b32_e32 v6, 7, v15
; %bb.1160:                             ;   in Loop: Header=BB275_671 Depth=1
	s_or_b32 exec_lo, exec_lo, s15
	v_lshlrev_b32_e32 v15, 16, v182
	s_delay_alu instid0(VALU_DEP_2) | instskip(SKIP_1) | instid1(VALU_DEP_3)
	v_lshlrev_b32_e32 v6, 20, v6
	v_lshl_add_u32 v14, v14, 23, 0x3c000000
	v_and_b32_e32 v15, 0x80000000, v15
	s_delay_alu instid0(VALU_DEP_1)
	v_or3_b32 v15, v6, v15, v14
	v_mov_b32_e32 v14, v7
.LBB275_1161:                           ;   in Loop: Header=BB275_671 Depth=1
	s_or_b32 exec_lo, exec_lo, s10
.LBB275_1162:                           ;   in Loop: Header=BB275_671 Depth=1
	s_delay_alu instid0(SALU_CYCLE_1)
	s_or_b32 exec_lo, exec_lo, s13
.LBB275_1163:                           ;   in Loop: Header=BB275_671 Depth=1
	s_delay_alu instid0(SALU_CYCLE_1) | instskip(SKIP_4) | instid1(VALU_DEP_2)
	s_or_b32 exec_lo, exec_lo, s12
	v_mov_b32_e32 v18, 0
	v_lshrrev_b32_e32 v183, 16, v182
	v_mov_b32_e32 v19, 0
	s_mov_b32 s10, exec_lo
	v_and_b32_e32 v6, 0xff, v183
	s_delay_alu instid0(VALU_DEP_2) | instskip(NEXT) | instid1(VALU_DEP_2)
	v_dual_mov_b32 v16, v18 :: v_dual_mov_b32 v17, v19
	v_cmpx_ne_u16_e32 0, v6
	s_cbranch_execz .LBB275_1171
; %bb.1164:                             ;   in Loop: Header=BB275_671 Depth=1
	v_bfrev_b32_e32 v16, 1
	v_mov_b32_e32 v17, 0
	s_mov_b32 s12, exec_lo
	v_cmpx_ne_u16_e32 0x80, v6
	s_cbranch_execz .LBB275_1170
; %bb.1165:                             ;   in Loop: Header=BB275_671 Depth=1
	v_mov_b32_e32 v16, 0x7f800001
	v_bfe_u32 v40, v182, 16, 7
	v_mov_b32_e32 v17, 0
	s_mov_b32 s13, exec_lo
	s_delay_alu instid0(VALU_DEP_2)
	v_cmpx_ne_u32_e32 0x7f, v40
	s_cbranch_execz .LBB275_1169
; %bb.1166:                             ;   in Loop: Header=BB275_671 Depth=1
	v_and_b32_e32 v6, 7, v183
	v_lshrrev_b32_e32 v16, 3, v40
	s_mov_b32 s15, exec_lo
	v_cmpx_gt_u32_e32 8, v40
; %bb.1167:                             ;   in Loop: Header=BB275_671 Depth=1
	s_delay_alu instid0(VALU_DEP_3) | instskip(NEXT) | instid1(VALU_DEP_1)
	v_clz_i32_u32_e32 v16, v6
	v_min_u32_e32 v16, 32, v16
	s_delay_alu instid0(VALU_DEP_1) | instskip(SKIP_1) | instid1(VALU_DEP_2)
	v_subrev_nc_u32_e32 v17, 28, v16
	v_sub_nc_u32_e32 v16, 29, v16
	v_lshlrev_b64 v[40:41], v17, v[6:7]
	s_delay_alu instid0(VALU_DEP_1)
	v_and_b32_e32 v6, 7, v40
; %bb.1168:                             ;   in Loop: Header=BB275_671 Depth=1
	s_or_b32 exec_lo, exec_lo, s15
	v_lshlrev_b32_e32 v17, 24, v183
	s_delay_alu instid0(VALU_DEP_2) | instskip(SKIP_1) | instid1(VALU_DEP_3)
	v_lshlrev_b32_e32 v6, 20, v6
	v_lshl_add_u32 v16, v16, 23, 0x3c000000
	v_and_b32_e32 v17, 0x80000000, v17
	s_delay_alu instid0(VALU_DEP_1) | instskip(NEXT) | instid1(VALU_DEP_1)
	v_or3_b32 v6, v6, v17, v16
	v_dual_mov_b32 v17, v7 :: v_dual_mov_b32 v16, v6
.LBB275_1169:                           ;   in Loop: Header=BB275_671 Depth=1
	s_or_b32 exec_lo, exec_lo, s13
.LBB275_1170:                           ;   in Loop: Header=BB275_671 Depth=1
	s_delay_alu instid0(SALU_CYCLE_1)
	s_or_b32 exec_lo, exec_lo, s12
.LBB275_1171:                           ;   in Loop: Header=BB275_671 Depth=1
	s_delay_alu instid0(SALU_CYCLE_1) | instskip(NEXT) | instid1(SALU_CYCLE_1)
	s_or_b32 exec_lo, exec_lo, s10
	s_mov_b32 s12, exec_lo
	v_cmpx_lt_u32_e32 0xffffff, v182
	s_cbranch_execz .LBB275_1179
; %bb.1172:                             ;   in Loop: Header=BB275_671 Depth=1
	v_lshrrev_b32_e32 v183, 24, v182
	v_dual_mov_b32 v19, s9 :: v_dual_mov_b32 v18, s8
	s_mov_b32 s13, exec_lo
	s_delay_alu instid0(VALU_DEP_2)
	v_cmpx_ne_u32_e32 0x80, v183
	s_cbranch_execz .LBB275_1178
; %bb.1173:                             ;   in Loop: Header=BB275_671 Depth=1
	s_mov_b32 s10, s8
	v_bfe_u32 v182, v182, 24, 7
	v_dual_mov_b32 v19, s11 :: v_dual_mov_b32 v18, s10
	s_mov_b32 s10, exec_lo
	s_delay_alu instid0(VALU_DEP_2)
	v_cmpx_ne_u32_e32 0x7f, v182
	s_cbranch_execz .LBB275_1177
; %bb.1174:                             ;   in Loop: Header=BB275_671 Depth=1
	v_and_b32_e32 v6, 7, v183
	v_lshrrev_b32_e32 v18, 3, v182
	s_mov_b32 s15, exec_lo
	v_cmpx_gt_u32_e32 8, v182
; %bb.1175:                             ;   in Loop: Header=BB275_671 Depth=1
	s_delay_alu instid0(VALU_DEP_3) | instskip(NEXT) | instid1(VALU_DEP_1)
	v_clz_i32_u32_e32 v18, v6
	v_min_u32_e32 v18, 32, v18
	s_delay_alu instid0(VALU_DEP_1) | instskip(SKIP_1) | instid1(VALU_DEP_2)
	v_subrev_nc_u32_e32 v19, 28, v18
	v_sub_nc_u32_e32 v18, 29, v18
	v_lshlrev_b64 v[40:41], v19, v[6:7]
	s_delay_alu instid0(VALU_DEP_1)
	v_and_b32_e32 v6, 7, v40
; %bb.1176:                             ;   in Loop: Header=BB275_671 Depth=1
	s_or_b32 exec_lo, exec_lo, s15
	v_lshlrev_b32_e32 v19, 24, v183
	s_delay_alu instid0(VALU_DEP_2) | instskip(SKIP_1) | instid1(VALU_DEP_3)
	v_lshlrev_b32_e32 v6, 20, v6
	v_lshl_add_u32 v18, v18, 23, 0x3c000000
	v_and_b32_e32 v19, 0x80000000, v19
	s_delay_alu instid0(VALU_DEP_1)
	v_or3_b32 v19, v6, v19, v18
	v_mov_b32_e32 v18, v7
.LBB275_1177:                           ;   in Loop: Header=BB275_671 Depth=1
	s_or_b32 exec_lo, exec_lo, s10
.LBB275_1178:                           ;   in Loop: Header=BB275_671 Depth=1
	s_delay_alu instid0(SALU_CYCLE_1)
	s_or_b32 exec_lo, exec_lo, s13
.LBB275_1179:                           ;   in Loop: Header=BB275_671 Depth=1
	s_delay_alu instid0(SALU_CYCLE_1) | instskip(SKIP_4) | instid1(VALU_DEP_3)
	s_or_b32 exec_lo, exec_lo, s12
	v_or_b32_e32 v5, v15, v5
	v_or_b32_e32 v4, v14, v4
	;; [unrolled: 1-line block ×4, first 2 shown]
	v_dual_mul_f32 v41, v65, v5 :: v_dual_mul_f32 v40, v54, v4
	s_delay_alu instid0(VALU_DEP_3) | instskip(NEXT) | instid1(VALU_DEP_3)
	v_mul_f32_e32 v182, v65, v6
	v_mul_f32_e32 v183, v54, v14
	s_and_saveexec_b32 s10, vcc_lo
; %bb.1180:                             ;   in Loop: Header=BB275_671 Depth=1
	v_cmp_lt_i32_e64 s0, v70, v119
	s_delay_alu instid0(VALU_DEP_1) | instskip(SKIP_1) | instid1(VALU_DEP_1)
	v_cndmask_b32_e64 v40, 0, v40, s0
	v_cmp_lt_i32_e64 s0, v80, v119
	v_cndmask_b32_e64 v41, 0, v41, s0
	v_cmp_lt_i32_e64 s0, v71, v119
	s_delay_alu instid0(VALU_DEP_1) | instskip(SKIP_1) | instid1(VALU_DEP_1)
	v_cndmask_b32_e64 v183, 0, v183, s0
	v_cmp_lt_i32_e64 s0, v21, v119
	v_cndmask_b32_e64 v182, 0, v182, s0
; %bb.1181:                             ;   in Loop: Header=BB275_671 Depth=1
	s_or_b32 exec_lo, exec_lo, s10
	flat_load_b32 v42, v[12:13] offset:1920
	v_mov_b32_e32 v14, 0
	v_mov_b32_e32 v15, 0
	s_mov_b32 s10, exec_lo
	s_waitcnt vmcnt(0) lgkmcnt(0)
	v_and_b32_e32 v6, 0xff, v42
	s_delay_alu instid0(VALU_DEP_2) | instskip(NEXT) | instid1(VALU_DEP_2)
	v_dual_mov_b32 v4, v14 :: v_dual_mov_b32 v5, v15
	v_cmpx_ne_u16_e32 0, v6
	s_cbranch_execz .LBB275_1189
; %bb.1182:                             ;   in Loop: Header=BB275_671 Depth=1
	v_bfrev_b32_e32 v4, 1
	v_mov_b32_e32 v5, 0
	s_mov_b32 s12, exec_lo
	v_cmpx_ne_u16_e32 0x80, v6
	s_cbranch_execz .LBB275_1188
; %bb.1183:                             ;   in Loop: Header=BB275_671 Depth=1
	v_mov_b32_e32 v4, 0x7f800001
	v_dual_mov_b32 v5, 0 :: v_dual_and_b32 v16, 0x7f, v42
	s_mov_b32 s13, exec_lo
	s_delay_alu instid0(VALU_DEP_1)
	v_cmpx_ne_u32_e32 0x7f, v16
	s_cbranch_execz .LBB275_1187
; %bb.1184:                             ;   in Loop: Header=BB275_671 Depth=1
	v_and_b32_e32 v6, 7, v42
	v_lshrrev_b32_e32 v4, 3, v16
	s_mov_b32 s15, exec_lo
	v_cmpx_gt_u32_e32 8, v16
; %bb.1185:                             ;   in Loop: Header=BB275_671 Depth=1
	s_delay_alu instid0(VALU_DEP_3) | instskip(NEXT) | instid1(VALU_DEP_1)
	v_clz_i32_u32_e32 v4, v6
	v_min_u32_e32 v4, 32, v4
	s_delay_alu instid0(VALU_DEP_1) | instskip(SKIP_1) | instid1(VALU_DEP_2)
	v_subrev_nc_u32_e32 v5, 28, v4
	v_sub_nc_u32_e32 v4, 29, v4
	v_lshlrev_b64 v[5:6], v5, v[6:7]
	s_delay_alu instid0(VALU_DEP_1)
	v_and_b32_e32 v6, 7, v5
; %bb.1186:                             ;   in Loop: Header=BB275_671 Depth=1
	s_or_b32 exec_lo, exec_lo, s15
	v_lshlrev_b32_e32 v5, 24, v42
	s_delay_alu instid0(VALU_DEP_2) | instskip(SKIP_1) | instid1(VALU_DEP_3)
	v_lshlrev_b32_e32 v6, 20, v6
	v_lshl_add_u32 v4, v4, 23, 0x3c000000
	v_and_b32_e32 v5, 0x80000000, v5
	s_delay_alu instid0(VALU_DEP_1) | instskip(NEXT) | instid1(VALU_DEP_1)
	v_or3_b32 v6, v6, v5, v4
	v_dual_mov_b32 v4, v6 :: v_dual_mov_b32 v5, v7
.LBB275_1187:                           ;   in Loop: Header=BB275_671 Depth=1
	s_or_b32 exec_lo, exec_lo, s13
.LBB275_1188:                           ;   in Loop: Header=BB275_671 Depth=1
	s_delay_alu instid0(SALU_CYCLE_1)
	s_or_b32 exec_lo, exec_lo, s12
.LBB275_1189:                           ;   in Loop: Header=BB275_671 Depth=1
	s_delay_alu instid0(SALU_CYCLE_1) | instskip(SKIP_2) | instid1(VALU_DEP_1)
	s_or_b32 exec_lo, exec_lo, s10
	v_lshrrev_b16 v6, 8, v42
	s_mov_b32 s12, exec_lo
	v_cmpx_ne_u16_e32 0, v6
	s_cbranch_execz .LBB275_1197
; %bb.1190:                             ;   in Loop: Header=BB275_671 Depth=1
	v_dual_mov_b32 v15, s9 :: v_dual_mov_b32 v14, s8
	s_mov_b32 s13, exec_lo
	v_cmpx_ne_u16_e32 0x80, v6
	s_cbranch_execz .LBB275_1196
; %bb.1191:                             ;   in Loop: Header=BB275_671 Depth=1
	s_mov_b32 s10, s8
	v_dual_mov_b32 v15, s11 :: v_dual_and_b32 v6, 0xffff, v6
	v_mov_b32_e32 v14, s10
	s_mov_b32 s10, exec_lo
	s_delay_alu instid0(VALU_DEP_2) | instskip(NEXT) | instid1(VALU_DEP_1)
	v_and_b32_e32 v16, 0x7f, v6
	v_cmpx_ne_u32_e32 0x7f, v16
	s_cbranch_execz .LBB275_1195
; %bb.1192:                             ;   in Loop: Header=BB275_671 Depth=1
	v_and_b32_e32 v6, 7, v6
	v_lshrrev_b32_e32 v14, 3, v16
	s_mov_b32 s15, exec_lo
	v_cmpx_gt_u32_e32 8, v16
; %bb.1193:                             ;   in Loop: Header=BB275_671 Depth=1
	s_delay_alu instid0(VALU_DEP_3) | instskip(NEXT) | instid1(VALU_DEP_1)
	v_clz_i32_u32_e32 v14, v6
	v_min_u32_e32 v14, 32, v14
	s_delay_alu instid0(VALU_DEP_1) | instskip(SKIP_1) | instid1(VALU_DEP_2)
	v_subrev_nc_u32_e32 v15, 28, v14
	v_sub_nc_u32_e32 v14, 29, v14
	v_lshlrev_b64 v[15:16], v15, v[6:7]
	s_delay_alu instid0(VALU_DEP_1)
	v_and_b32_e32 v6, 7, v15
; %bb.1194:                             ;   in Loop: Header=BB275_671 Depth=1
	s_or_b32 exec_lo, exec_lo, s15
	v_lshlrev_b32_e32 v15, 16, v42
	s_delay_alu instid0(VALU_DEP_2) | instskip(SKIP_1) | instid1(VALU_DEP_3)
	v_lshlrev_b32_e32 v6, 20, v6
	v_lshl_add_u32 v14, v14, 23, 0x3c000000
	v_and_b32_e32 v15, 0x80000000, v15
	s_delay_alu instid0(VALU_DEP_1)
	v_or3_b32 v15, v6, v15, v14
	v_mov_b32_e32 v14, v7
.LBB275_1195:                           ;   in Loop: Header=BB275_671 Depth=1
	s_or_b32 exec_lo, exec_lo, s10
.LBB275_1196:                           ;   in Loop: Header=BB275_671 Depth=1
	s_delay_alu instid0(SALU_CYCLE_1)
	s_or_b32 exec_lo, exec_lo, s13
.LBB275_1197:                           ;   in Loop: Header=BB275_671 Depth=1
	s_delay_alu instid0(SALU_CYCLE_1) | instskip(SKIP_4) | instid1(VALU_DEP_2)
	s_or_b32 exec_lo, exec_lo, s12
	v_mov_b32_e32 v18, 0
	v_lshrrev_b32_e32 v43, 16, v42
	v_mov_b32_e32 v19, 0
	s_mov_b32 s10, exec_lo
	v_and_b32_e32 v6, 0xff, v43
	s_delay_alu instid0(VALU_DEP_2) | instskip(NEXT) | instid1(VALU_DEP_2)
	v_dual_mov_b32 v16, v18 :: v_dual_mov_b32 v17, v19
	v_cmpx_ne_u16_e32 0, v6
	s_cbranch_execz .LBB275_1205
; %bb.1198:                             ;   in Loop: Header=BB275_671 Depth=1
	v_bfrev_b32_e32 v16, 1
	v_mov_b32_e32 v17, 0
	s_mov_b32 s12, exec_lo
	v_cmpx_ne_u16_e32 0x80, v6
	s_cbranch_execz .LBB275_1204
; %bb.1199:                             ;   in Loop: Header=BB275_671 Depth=1
	v_mov_b32_e32 v16, 0x7f800001
	v_bfe_u32 v44, v42, 16, 7
	v_mov_b32_e32 v17, 0
	s_mov_b32 s13, exec_lo
	s_delay_alu instid0(VALU_DEP_2)
	v_cmpx_ne_u32_e32 0x7f, v44
	s_cbranch_execz .LBB275_1203
; %bb.1200:                             ;   in Loop: Header=BB275_671 Depth=1
	v_and_b32_e32 v6, 7, v43
	v_lshrrev_b32_e32 v16, 3, v44
	s_mov_b32 s15, exec_lo
	v_cmpx_gt_u32_e32 8, v44
; %bb.1201:                             ;   in Loop: Header=BB275_671 Depth=1
	s_delay_alu instid0(VALU_DEP_3) | instskip(NEXT) | instid1(VALU_DEP_1)
	v_clz_i32_u32_e32 v16, v6
	v_min_u32_e32 v16, 32, v16
	s_delay_alu instid0(VALU_DEP_1) | instskip(SKIP_1) | instid1(VALU_DEP_2)
	v_subrev_nc_u32_e32 v17, 28, v16
	v_sub_nc_u32_e32 v16, 29, v16
	v_lshlrev_b64 v[44:45], v17, v[6:7]
	s_delay_alu instid0(VALU_DEP_1)
	v_and_b32_e32 v6, 7, v44
; %bb.1202:                             ;   in Loop: Header=BB275_671 Depth=1
	s_or_b32 exec_lo, exec_lo, s15
	v_lshlrev_b32_e32 v17, 24, v43
	s_delay_alu instid0(VALU_DEP_2) | instskip(SKIP_1) | instid1(VALU_DEP_3)
	v_lshlrev_b32_e32 v6, 20, v6
	v_lshl_add_u32 v16, v16, 23, 0x3c000000
	v_and_b32_e32 v17, 0x80000000, v17
	s_delay_alu instid0(VALU_DEP_1) | instskip(NEXT) | instid1(VALU_DEP_1)
	v_or3_b32 v6, v6, v17, v16
	v_dual_mov_b32 v17, v7 :: v_dual_mov_b32 v16, v6
.LBB275_1203:                           ;   in Loop: Header=BB275_671 Depth=1
	s_or_b32 exec_lo, exec_lo, s13
.LBB275_1204:                           ;   in Loop: Header=BB275_671 Depth=1
	s_delay_alu instid0(SALU_CYCLE_1)
	s_or_b32 exec_lo, exec_lo, s12
.LBB275_1205:                           ;   in Loop: Header=BB275_671 Depth=1
	s_delay_alu instid0(SALU_CYCLE_1) | instskip(NEXT) | instid1(SALU_CYCLE_1)
	s_or_b32 exec_lo, exec_lo, s10
	s_mov_b32 s12, exec_lo
	v_cmpx_lt_u32_e32 0xffffff, v42
	s_cbranch_execz .LBB275_1213
; %bb.1206:                             ;   in Loop: Header=BB275_671 Depth=1
	v_lshrrev_b32_e32 v43, 24, v42
	v_dual_mov_b32 v19, s9 :: v_dual_mov_b32 v18, s8
	s_mov_b32 s13, exec_lo
	s_delay_alu instid0(VALU_DEP_2)
	v_cmpx_ne_u32_e32 0x80, v43
	s_cbranch_execz .LBB275_1212
; %bb.1207:                             ;   in Loop: Header=BB275_671 Depth=1
	s_mov_b32 s10, s8
	v_bfe_u32 v42, v42, 24, 7
	v_dual_mov_b32 v19, s11 :: v_dual_mov_b32 v18, s10
	s_mov_b32 s10, exec_lo
	s_delay_alu instid0(VALU_DEP_2)
	v_cmpx_ne_u32_e32 0x7f, v42
	s_cbranch_execz .LBB275_1211
; %bb.1208:                             ;   in Loop: Header=BB275_671 Depth=1
	v_and_b32_e32 v6, 7, v43
	v_lshrrev_b32_e32 v18, 3, v42
	s_mov_b32 s15, exec_lo
	v_cmpx_gt_u32_e32 8, v42
; %bb.1209:                             ;   in Loop: Header=BB275_671 Depth=1
	s_delay_alu instid0(VALU_DEP_3) | instskip(NEXT) | instid1(VALU_DEP_1)
	v_clz_i32_u32_e32 v18, v6
	v_min_u32_e32 v18, 32, v18
	s_delay_alu instid0(VALU_DEP_1) | instskip(SKIP_1) | instid1(VALU_DEP_2)
	v_subrev_nc_u32_e32 v19, 28, v18
	v_sub_nc_u32_e32 v18, 29, v18
	v_lshlrev_b64 v[44:45], v19, v[6:7]
	s_delay_alu instid0(VALU_DEP_1)
	v_and_b32_e32 v6, 7, v44
; %bb.1210:                             ;   in Loop: Header=BB275_671 Depth=1
	s_or_b32 exec_lo, exec_lo, s15
	v_lshlrev_b32_e32 v19, 24, v43
	s_delay_alu instid0(VALU_DEP_2) | instskip(SKIP_1) | instid1(VALU_DEP_3)
	v_lshlrev_b32_e32 v6, 20, v6
	v_lshl_add_u32 v18, v18, 23, 0x3c000000
	v_and_b32_e32 v19, 0x80000000, v19
	s_delay_alu instid0(VALU_DEP_1)
	v_or3_b32 v19, v6, v19, v18
	v_mov_b32_e32 v18, v7
.LBB275_1211:                           ;   in Loop: Header=BB275_671 Depth=1
	s_or_b32 exec_lo, exec_lo, s10
.LBB275_1212:                           ;   in Loop: Header=BB275_671 Depth=1
	s_delay_alu instid0(SALU_CYCLE_1)
	s_or_b32 exec_lo, exec_lo, s13
.LBB275_1213:                           ;   in Loop: Header=BB275_671 Depth=1
	s_delay_alu instid0(SALU_CYCLE_1) | instskip(SKIP_4) | instid1(VALU_DEP_3)
	s_or_b32 exec_lo, exec_lo, s12
	v_or_b32_e32 v5, v15, v5
	v_or_b32_e32 v4, v14, v4
	;; [unrolled: 1-line block ×4, first 2 shown]
	v_dual_mul_f32 v45, v65, v5 :: v_dual_mul_f32 v44, v54, v4
	s_delay_alu instid0(VALU_DEP_3) | instskip(NEXT) | instid1(VALU_DEP_3)
	v_mul_f32_e32 v42, v65, v6
	v_mul_f32_e32 v43, v54, v14
	s_and_saveexec_b32 s10, vcc_lo
; %bb.1214:                             ;   in Loop: Header=BB275_671 Depth=1
	v_cmp_lt_i32_e64 s0, v70, v119
	s_delay_alu instid0(VALU_DEP_1) | instskip(SKIP_1) | instid1(VALU_DEP_1)
	v_cndmask_b32_e64 v44, 0, v44, s0
	v_cmp_lt_i32_e64 s0, v80, v119
	v_cndmask_b32_e64 v45, 0, v45, s0
	v_cmp_lt_i32_e64 s0, v71, v119
	s_delay_alu instid0(VALU_DEP_1) | instskip(SKIP_1) | instid1(VALU_DEP_1)
	v_cndmask_b32_e64 v43, 0, v43, s0
	v_cmp_lt_i32_e64 s0, v21, v119
	v_cndmask_b32_e64 v42, 0, v42, s0
; %bb.1215:                             ;   in Loop: Header=BB275_671 Depth=1
	s_or_b32 exec_lo, exec_lo, s10
	flat_load_b32 v46, v[12:13] offset:2048
	v_mov_b32_e32 v14, 0
	v_mov_b32_e32 v15, 0
	s_mov_b32 s10, exec_lo
	s_waitcnt vmcnt(0) lgkmcnt(0)
	v_and_b32_e32 v6, 0xff, v46
	s_delay_alu instid0(VALU_DEP_2) | instskip(NEXT) | instid1(VALU_DEP_2)
	v_dual_mov_b32 v4, v14 :: v_dual_mov_b32 v5, v15
	v_cmpx_ne_u16_e32 0, v6
	s_cbranch_execz .LBB275_1223
; %bb.1216:                             ;   in Loop: Header=BB275_671 Depth=1
	v_bfrev_b32_e32 v4, 1
	v_mov_b32_e32 v5, 0
	s_mov_b32 s12, exec_lo
	v_cmpx_ne_u16_e32 0x80, v6
	s_cbranch_execz .LBB275_1222
; %bb.1217:                             ;   in Loop: Header=BB275_671 Depth=1
	v_mov_b32_e32 v4, 0x7f800001
	v_dual_mov_b32 v5, 0 :: v_dual_and_b32 v16, 0x7f, v46
	s_mov_b32 s13, exec_lo
	s_delay_alu instid0(VALU_DEP_1)
	v_cmpx_ne_u32_e32 0x7f, v16
	s_cbranch_execz .LBB275_1221
; %bb.1218:                             ;   in Loop: Header=BB275_671 Depth=1
	v_and_b32_e32 v6, 7, v46
	v_lshrrev_b32_e32 v4, 3, v16
	s_mov_b32 s15, exec_lo
	v_cmpx_gt_u32_e32 8, v16
; %bb.1219:                             ;   in Loop: Header=BB275_671 Depth=1
	s_delay_alu instid0(VALU_DEP_3) | instskip(NEXT) | instid1(VALU_DEP_1)
	v_clz_i32_u32_e32 v4, v6
	v_min_u32_e32 v4, 32, v4
	s_delay_alu instid0(VALU_DEP_1) | instskip(SKIP_1) | instid1(VALU_DEP_2)
	v_subrev_nc_u32_e32 v5, 28, v4
	v_sub_nc_u32_e32 v4, 29, v4
	v_lshlrev_b64 v[5:6], v5, v[6:7]
	s_delay_alu instid0(VALU_DEP_1)
	v_and_b32_e32 v6, 7, v5
; %bb.1220:                             ;   in Loop: Header=BB275_671 Depth=1
	s_or_b32 exec_lo, exec_lo, s15
	v_lshlrev_b32_e32 v5, 24, v46
	s_delay_alu instid0(VALU_DEP_2) | instskip(SKIP_1) | instid1(VALU_DEP_3)
	v_lshlrev_b32_e32 v6, 20, v6
	v_lshl_add_u32 v4, v4, 23, 0x3c000000
	v_and_b32_e32 v5, 0x80000000, v5
	s_delay_alu instid0(VALU_DEP_1) | instskip(NEXT) | instid1(VALU_DEP_1)
	v_or3_b32 v6, v6, v5, v4
	v_dual_mov_b32 v4, v6 :: v_dual_mov_b32 v5, v7
.LBB275_1221:                           ;   in Loop: Header=BB275_671 Depth=1
	s_or_b32 exec_lo, exec_lo, s13
.LBB275_1222:                           ;   in Loop: Header=BB275_671 Depth=1
	s_delay_alu instid0(SALU_CYCLE_1)
	s_or_b32 exec_lo, exec_lo, s12
.LBB275_1223:                           ;   in Loop: Header=BB275_671 Depth=1
	s_delay_alu instid0(SALU_CYCLE_1) | instskip(SKIP_2) | instid1(VALU_DEP_1)
	s_or_b32 exec_lo, exec_lo, s10
	v_lshrrev_b16 v6, 8, v46
	s_mov_b32 s12, exec_lo
	v_cmpx_ne_u16_e32 0, v6
	s_cbranch_execz .LBB275_1231
; %bb.1224:                             ;   in Loop: Header=BB275_671 Depth=1
	v_dual_mov_b32 v15, s9 :: v_dual_mov_b32 v14, s8
	s_mov_b32 s13, exec_lo
	v_cmpx_ne_u16_e32 0x80, v6
	s_cbranch_execz .LBB275_1230
; %bb.1225:                             ;   in Loop: Header=BB275_671 Depth=1
	s_mov_b32 s10, s8
	v_dual_mov_b32 v15, s11 :: v_dual_and_b32 v6, 0xffff, v6
	v_mov_b32_e32 v14, s10
	s_mov_b32 s10, exec_lo
	s_delay_alu instid0(VALU_DEP_2) | instskip(NEXT) | instid1(VALU_DEP_1)
	v_and_b32_e32 v16, 0x7f, v6
	v_cmpx_ne_u32_e32 0x7f, v16
	s_cbranch_execz .LBB275_1229
; %bb.1226:                             ;   in Loop: Header=BB275_671 Depth=1
	v_and_b32_e32 v6, 7, v6
	v_lshrrev_b32_e32 v14, 3, v16
	s_mov_b32 s15, exec_lo
	v_cmpx_gt_u32_e32 8, v16
; %bb.1227:                             ;   in Loop: Header=BB275_671 Depth=1
	s_delay_alu instid0(VALU_DEP_3) | instskip(NEXT) | instid1(VALU_DEP_1)
	v_clz_i32_u32_e32 v14, v6
	v_min_u32_e32 v14, 32, v14
	s_delay_alu instid0(VALU_DEP_1) | instskip(SKIP_1) | instid1(VALU_DEP_2)
	v_subrev_nc_u32_e32 v15, 28, v14
	v_sub_nc_u32_e32 v14, 29, v14
	v_lshlrev_b64 v[15:16], v15, v[6:7]
	s_delay_alu instid0(VALU_DEP_1)
	v_and_b32_e32 v6, 7, v15
; %bb.1228:                             ;   in Loop: Header=BB275_671 Depth=1
	s_or_b32 exec_lo, exec_lo, s15
	v_lshlrev_b32_e32 v15, 16, v46
	s_delay_alu instid0(VALU_DEP_2) | instskip(SKIP_1) | instid1(VALU_DEP_3)
	v_lshlrev_b32_e32 v6, 20, v6
	v_lshl_add_u32 v14, v14, 23, 0x3c000000
	v_and_b32_e32 v15, 0x80000000, v15
	s_delay_alu instid0(VALU_DEP_1)
	v_or3_b32 v15, v6, v15, v14
	v_mov_b32_e32 v14, v7
.LBB275_1229:                           ;   in Loop: Header=BB275_671 Depth=1
	s_or_b32 exec_lo, exec_lo, s10
.LBB275_1230:                           ;   in Loop: Header=BB275_671 Depth=1
	s_delay_alu instid0(SALU_CYCLE_1)
	s_or_b32 exec_lo, exec_lo, s13
.LBB275_1231:                           ;   in Loop: Header=BB275_671 Depth=1
	s_delay_alu instid0(SALU_CYCLE_1) | instskip(SKIP_4) | instid1(VALU_DEP_2)
	s_or_b32 exec_lo, exec_lo, s12
	v_mov_b32_e32 v18, 0
	v_lshrrev_b32_e32 v47, 16, v46
	v_mov_b32_e32 v19, 0
	s_mov_b32 s10, exec_lo
	v_and_b32_e32 v6, 0xff, v47
	s_delay_alu instid0(VALU_DEP_2) | instskip(NEXT) | instid1(VALU_DEP_2)
	v_dual_mov_b32 v16, v18 :: v_dual_mov_b32 v17, v19
	v_cmpx_ne_u16_e32 0, v6
	s_cbranch_execz .LBB275_1239
; %bb.1232:                             ;   in Loop: Header=BB275_671 Depth=1
	v_bfrev_b32_e32 v16, 1
	v_mov_b32_e32 v17, 0
	s_mov_b32 s12, exec_lo
	v_cmpx_ne_u16_e32 0x80, v6
	s_cbranch_execz .LBB275_1238
; %bb.1233:                             ;   in Loop: Header=BB275_671 Depth=1
	v_mov_b32_e32 v16, 0x7f800001
	v_bfe_u32 v56, v46, 16, 7
	v_mov_b32_e32 v17, 0
	s_mov_b32 s13, exec_lo
	s_delay_alu instid0(VALU_DEP_2)
	v_cmpx_ne_u32_e32 0x7f, v56
	s_cbranch_execz .LBB275_1237
; %bb.1234:                             ;   in Loop: Header=BB275_671 Depth=1
	v_and_b32_e32 v6, 7, v47
	v_lshrrev_b32_e32 v16, 3, v56
	s_mov_b32 s15, exec_lo
	v_cmpx_gt_u32_e32 8, v56
; %bb.1235:                             ;   in Loop: Header=BB275_671 Depth=1
	s_delay_alu instid0(VALU_DEP_3) | instskip(NEXT) | instid1(VALU_DEP_1)
	v_clz_i32_u32_e32 v16, v6
	v_min_u32_e32 v16, 32, v16
	s_delay_alu instid0(VALU_DEP_1) | instskip(SKIP_1) | instid1(VALU_DEP_2)
	v_subrev_nc_u32_e32 v17, 28, v16
	v_sub_nc_u32_e32 v16, 29, v16
	v_lshlrev_b64 v[56:57], v17, v[6:7]
	s_delay_alu instid0(VALU_DEP_1)
	v_and_b32_e32 v6, 7, v56
; %bb.1236:                             ;   in Loop: Header=BB275_671 Depth=1
	s_or_b32 exec_lo, exec_lo, s15
	v_lshlrev_b32_e32 v17, 24, v47
	s_delay_alu instid0(VALU_DEP_2) | instskip(SKIP_1) | instid1(VALU_DEP_3)
	v_lshlrev_b32_e32 v6, 20, v6
	v_lshl_add_u32 v16, v16, 23, 0x3c000000
	v_and_b32_e32 v17, 0x80000000, v17
	s_delay_alu instid0(VALU_DEP_1) | instskip(NEXT) | instid1(VALU_DEP_1)
	v_or3_b32 v6, v6, v17, v16
	v_dual_mov_b32 v17, v7 :: v_dual_mov_b32 v16, v6
.LBB275_1237:                           ;   in Loop: Header=BB275_671 Depth=1
	s_or_b32 exec_lo, exec_lo, s13
.LBB275_1238:                           ;   in Loop: Header=BB275_671 Depth=1
	s_delay_alu instid0(SALU_CYCLE_1)
	s_or_b32 exec_lo, exec_lo, s12
.LBB275_1239:                           ;   in Loop: Header=BB275_671 Depth=1
	s_delay_alu instid0(SALU_CYCLE_1) | instskip(NEXT) | instid1(SALU_CYCLE_1)
	s_or_b32 exec_lo, exec_lo, s10
	s_mov_b32 s12, exec_lo
	v_cmpx_lt_u32_e32 0xffffff, v46
	s_cbranch_execz .LBB275_1247
; %bb.1240:                             ;   in Loop: Header=BB275_671 Depth=1
	v_lshrrev_b32_e32 v47, 24, v46
	v_dual_mov_b32 v19, s9 :: v_dual_mov_b32 v18, s8
	s_mov_b32 s13, exec_lo
	s_delay_alu instid0(VALU_DEP_2)
	v_cmpx_ne_u32_e32 0x80, v47
	s_cbranch_execz .LBB275_1246
; %bb.1241:                             ;   in Loop: Header=BB275_671 Depth=1
	s_mov_b32 s10, s8
	v_bfe_u32 v46, v46, 24, 7
	v_dual_mov_b32 v19, s11 :: v_dual_mov_b32 v18, s10
	s_mov_b32 s10, exec_lo
	s_delay_alu instid0(VALU_DEP_2)
	v_cmpx_ne_u32_e32 0x7f, v46
	s_cbranch_execz .LBB275_1245
; %bb.1242:                             ;   in Loop: Header=BB275_671 Depth=1
	v_and_b32_e32 v6, 7, v47
	v_lshrrev_b32_e32 v18, 3, v46
	s_mov_b32 s15, exec_lo
	v_cmpx_gt_u32_e32 8, v46
; %bb.1243:                             ;   in Loop: Header=BB275_671 Depth=1
	s_delay_alu instid0(VALU_DEP_3) | instskip(NEXT) | instid1(VALU_DEP_1)
	v_clz_i32_u32_e32 v18, v6
	v_min_u32_e32 v18, 32, v18
	s_delay_alu instid0(VALU_DEP_1) | instskip(SKIP_1) | instid1(VALU_DEP_2)
	v_subrev_nc_u32_e32 v19, 28, v18
	v_sub_nc_u32_e32 v18, 29, v18
	v_lshlrev_b64 v[56:57], v19, v[6:7]
	s_delay_alu instid0(VALU_DEP_1)
	v_and_b32_e32 v6, 7, v56
; %bb.1244:                             ;   in Loop: Header=BB275_671 Depth=1
	s_or_b32 exec_lo, exec_lo, s15
	v_lshlrev_b32_e32 v19, 24, v47
	s_delay_alu instid0(VALU_DEP_2) | instskip(SKIP_1) | instid1(VALU_DEP_3)
	v_lshlrev_b32_e32 v6, 20, v6
	v_lshl_add_u32 v18, v18, 23, 0x3c000000
	v_and_b32_e32 v19, 0x80000000, v19
	s_delay_alu instid0(VALU_DEP_1)
	v_or3_b32 v19, v6, v19, v18
	v_mov_b32_e32 v18, v7
.LBB275_1245:                           ;   in Loop: Header=BB275_671 Depth=1
	s_or_b32 exec_lo, exec_lo, s10
.LBB275_1246:                           ;   in Loop: Header=BB275_671 Depth=1
	s_delay_alu instid0(SALU_CYCLE_1)
	s_or_b32 exec_lo, exec_lo, s13
.LBB275_1247:                           ;   in Loop: Header=BB275_671 Depth=1
	s_delay_alu instid0(SALU_CYCLE_1) | instskip(SKIP_4) | instid1(VALU_DEP_3)
	s_or_b32 exec_lo, exec_lo, s12
	v_or_b32_e32 v5, v15, v5
	v_or_b32_e32 v4, v14, v4
	;; [unrolled: 1-line block ×4, first 2 shown]
	v_dual_mul_f32 v57, v65, v5 :: v_dual_mul_f32 v56, v54, v4
	s_delay_alu instid0(VALU_DEP_3) | instskip(NEXT) | instid1(VALU_DEP_3)
	v_mul_f32_e32 v46, v65, v6
	v_mul_f32_e32 v47, v54, v14
	s_and_saveexec_b32 s10, vcc_lo
; %bb.1248:                             ;   in Loop: Header=BB275_671 Depth=1
	v_cmp_lt_i32_e64 s0, v70, v119
	s_delay_alu instid0(VALU_DEP_1) | instskip(SKIP_1) | instid1(VALU_DEP_1)
	v_cndmask_b32_e64 v56, 0, v56, s0
	v_cmp_lt_i32_e64 s0, v80, v119
	v_cndmask_b32_e64 v57, 0, v57, s0
	v_cmp_lt_i32_e64 s0, v71, v119
	s_delay_alu instid0(VALU_DEP_1) | instskip(SKIP_1) | instid1(VALU_DEP_1)
	v_cndmask_b32_e64 v47, 0, v47, s0
	v_cmp_lt_i32_e64 s0, v21, v119
	v_cndmask_b32_e64 v46, 0, v46, s0
; %bb.1249:                             ;   in Loop: Header=BB275_671 Depth=1
	s_or_b32 exec_lo, exec_lo, s10
	flat_load_b32 v58, v[12:13] offset:2176
	v_mov_b32_e32 v14, 0
	v_mov_b32_e32 v15, 0
	s_mov_b32 s10, exec_lo
	s_waitcnt vmcnt(0) lgkmcnt(0)
	v_and_b32_e32 v6, 0xff, v58
	s_delay_alu instid0(VALU_DEP_2) | instskip(NEXT) | instid1(VALU_DEP_2)
	v_dual_mov_b32 v4, v14 :: v_dual_mov_b32 v5, v15
	v_cmpx_ne_u16_e32 0, v6
	s_cbranch_execz .LBB275_1257
; %bb.1250:                             ;   in Loop: Header=BB275_671 Depth=1
	v_bfrev_b32_e32 v4, 1
	v_mov_b32_e32 v5, 0
	s_mov_b32 s12, exec_lo
	v_cmpx_ne_u16_e32 0x80, v6
	s_cbranch_execz .LBB275_1256
; %bb.1251:                             ;   in Loop: Header=BB275_671 Depth=1
	v_mov_b32_e32 v4, 0x7f800001
	v_dual_mov_b32 v5, 0 :: v_dual_and_b32 v16, 0x7f, v58
	s_mov_b32 s13, exec_lo
	s_delay_alu instid0(VALU_DEP_1)
	v_cmpx_ne_u32_e32 0x7f, v16
	s_cbranch_execz .LBB275_1255
; %bb.1252:                             ;   in Loop: Header=BB275_671 Depth=1
	v_and_b32_e32 v6, 7, v58
	v_lshrrev_b32_e32 v4, 3, v16
	s_mov_b32 s15, exec_lo
	v_cmpx_gt_u32_e32 8, v16
; %bb.1253:                             ;   in Loop: Header=BB275_671 Depth=1
	s_delay_alu instid0(VALU_DEP_3) | instskip(NEXT) | instid1(VALU_DEP_1)
	v_clz_i32_u32_e32 v4, v6
	v_min_u32_e32 v4, 32, v4
	s_delay_alu instid0(VALU_DEP_1) | instskip(SKIP_1) | instid1(VALU_DEP_2)
	v_subrev_nc_u32_e32 v5, 28, v4
	v_sub_nc_u32_e32 v4, 29, v4
	v_lshlrev_b64 v[5:6], v5, v[6:7]
	s_delay_alu instid0(VALU_DEP_1)
	v_and_b32_e32 v6, 7, v5
; %bb.1254:                             ;   in Loop: Header=BB275_671 Depth=1
	s_or_b32 exec_lo, exec_lo, s15
	v_lshlrev_b32_e32 v5, 24, v58
	s_delay_alu instid0(VALU_DEP_2) | instskip(SKIP_1) | instid1(VALU_DEP_3)
	v_lshlrev_b32_e32 v6, 20, v6
	v_lshl_add_u32 v4, v4, 23, 0x3c000000
	v_and_b32_e32 v5, 0x80000000, v5
	s_delay_alu instid0(VALU_DEP_1) | instskip(NEXT) | instid1(VALU_DEP_1)
	v_or3_b32 v6, v6, v5, v4
	v_dual_mov_b32 v4, v6 :: v_dual_mov_b32 v5, v7
.LBB275_1255:                           ;   in Loop: Header=BB275_671 Depth=1
	s_or_b32 exec_lo, exec_lo, s13
.LBB275_1256:                           ;   in Loop: Header=BB275_671 Depth=1
	s_delay_alu instid0(SALU_CYCLE_1)
	s_or_b32 exec_lo, exec_lo, s12
.LBB275_1257:                           ;   in Loop: Header=BB275_671 Depth=1
	s_delay_alu instid0(SALU_CYCLE_1) | instskip(SKIP_2) | instid1(VALU_DEP_1)
	s_or_b32 exec_lo, exec_lo, s10
	v_lshrrev_b16 v6, 8, v58
	s_mov_b32 s12, exec_lo
	v_cmpx_ne_u16_e32 0, v6
	s_cbranch_execz .LBB275_1265
; %bb.1258:                             ;   in Loop: Header=BB275_671 Depth=1
	v_dual_mov_b32 v15, s9 :: v_dual_mov_b32 v14, s8
	s_mov_b32 s13, exec_lo
	v_cmpx_ne_u16_e32 0x80, v6
	s_cbranch_execz .LBB275_1264
; %bb.1259:                             ;   in Loop: Header=BB275_671 Depth=1
	s_mov_b32 s10, s8
	v_dual_mov_b32 v15, s11 :: v_dual_and_b32 v6, 0xffff, v6
	v_mov_b32_e32 v14, s10
	s_mov_b32 s10, exec_lo
	s_delay_alu instid0(VALU_DEP_2) | instskip(NEXT) | instid1(VALU_DEP_1)
	v_and_b32_e32 v16, 0x7f, v6
	v_cmpx_ne_u32_e32 0x7f, v16
	s_cbranch_execz .LBB275_1263
; %bb.1260:                             ;   in Loop: Header=BB275_671 Depth=1
	v_and_b32_e32 v6, 7, v6
	v_lshrrev_b32_e32 v14, 3, v16
	s_mov_b32 s15, exec_lo
	v_cmpx_gt_u32_e32 8, v16
; %bb.1261:                             ;   in Loop: Header=BB275_671 Depth=1
	s_delay_alu instid0(VALU_DEP_3) | instskip(NEXT) | instid1(VALU_DEP_1)
	v_clz_i32_u32_e32 v14, v6
	v_min_u32_e32 v14, 32, v14
	s_delay_alu instid0(VALU_DEP_1) | instskip(SKIP_1) | instid1(VALU_DEP_2)
	v_subrev_nc_u32_e32 v15, 28, v14
	v_sub_nc_u32_e32 v14, 29, v14
	v_lshlrev_b64 v[15:16], v15, v[6:7]
	s_delay_alu instid0(VALU_DEP_1)
	v_and_b32_e32 v6, 7, v15
; %bb.1262:                             ;   in Loop: Header=BB275_671 Depth=1
	s_or_b32 exec_lo, exec_lo, s15
	v_lshlrev_b32_e32 v15, 16, v58
	s_delay_alu instid0(VALU_DEP_2) | instskip(SKIP_1) | instid1(VALU_DEP_3)
	v_lshlrev_b32_e32 v6, 20, v6
	v_lshl_add_u32 v14, v14, 23, 0x3c000000
	v_and_b32_e32 v15, 0x80000000, v15
	s_delay_alu instid0(VALU_DEP_1)
	v_or3_b32 v15, v6, v15, v14
	v_mov_b32_e32 v14, v7
.LBB275_1263:                           ;   in Loop: Header=BB275_671 Depth=1
	s_or_b32 exec_lo, exec_lo, s10
.LBB275_1264:                           ;   in Loop: Header=BB275_671 Depth=1
	s_delay_alu instid0(SALU_CYCLE_1)
	s_or_b32 exec_lo, exec_lo, s13
.LBB275_1265:                           ;   in Loop: Header=BB275_671 Depth=1
	s_delay_alu instid0(SALU_CYCLE_1) | instskip(SKIP_4) | instid1(VALU_DEP_2)
	s_or_b32 exec_lo, exec_lo, s12
	v_mov_b32_e32 v18, 0
	v_lshrrev_b32_e32 v59, 16, v58
	v_mov_b32_e32 v19, 0
	s_mov_b32 s10, exec_lo
	v_and_b32_e32 v6, 0xff, v59
	s_delay_alu instid0(VALU_DEP_2) | instskip(NEXT) | instid1(VALU_DEP_2)
	v_dual_mov_b32 v16, v18 :: v_dual_mov_b32 v17, v19
	v_cmpx_ne_u16_e32 0, v6
	s_cbranch_execz .LBB275_1273
; %bb.1266:                             ;   in Loop: Header=BB275_671 Depth=1
	v_bfrev_b32_e32 v16, 1
	v_mov_b32_e32 v17, 0
	s_mov_b32 s12, exec_lo
	v_cmpx_ne_u16_e32 0x80, v6
	s_cbranch_execz .LBB275_1272
; %bb.1267:                             ;   in Loop: Header=BB275_671 Depth=1
	v_mov_b32_e32 v16, 0x7f800001
	v_bfe_u32 v60, v58, 16, 7
	v_mov_b32_e32 v17, 0
	s_mov_b32 s13, exec_lo
	s_delay_alu instid0(VALU_DEP_2)
	v_cmpx_ne_u32_e32 0x7f, v60
	s_cbranch_execz .LBB275_1271
; %bb.1268:                             ;   in Loop: Header=BB275_671 Depth=1
	v_and_b32_e32 v6, 7, v59
	v_lshrrev_b32_e32 v16, 3, v60
	s_mov_b32 s15, exec_lo
	v_cmpx_gt_u32_e32 8, v60
; %bb.1269:                             ;   in Loop: Header=BB275_671 Depth=1
	s_delay_alu instid0(VALU_DEP_3) | instskip(NEXT) | instid1(VALU_DEP_1)
	v_clz_i32_u32_e32 v16, v6
	v_min_u32_e32 v16, 32, v16
	s_delay_alu instid0(VALU_DEP_1) | instskip(SKIP_1) | instid1(VALU_DEP_2)
	v_subrev_nc_u32_e32 v17, 28, v16
	v_sub_nc_u32_e32 v16, 29, v16
	v_lshlrev_b64 v[60:61], v17, v[6:7]
	s_delay_alu instid0(VALU_DEP_1)
	v_and_b32_e32 v6, 7, v60
; %bb.1270:                             ;   in Loop: Header=BB275_671 Depth=1
	s_or_b32 exec_lo, exec_lo, s15
	v_lshlrev_b32_e32 v17, 24, v59
	s_delay_alu instid0(VALU_DEP_2) | instskip(SKIP_1) | instid1(VALU_DEP_3)
	v_lshlrev_b32_e32 v6, 20, v6
	v_lshl_add_u32 v16, v16, 23, 0x3c000000
	v_and_b32_e32 v17, 0x80000000, v17
	s_delay_alu instid0(VALU_DEP_1) | instskip(NEXT) | instid1(VALU_DEP_1)
	v_or3_b32 v6, v6, v17, v16
	v_dual_mov_b32 v17, v7 :: v_dual_mov_b32 v16, v6
.LBB275_1271:                           ;   in Loop: Header=BB275_671 Depth=1
	s_or_b32 exec_lo, exec_lo, s13
.LBB275_1272:                           ;   in Loop: Header=BB275_671 Depth=1
	s_delay_alu instid0(SALU_CYCLE_1)
	s_or_b32 exec_lo, exec_lo, s12
.LBB275_1273:                           ;   in Loop: Header=BB275_671 Depth=1
	s_delay_alu instid0(SALU_CYCLE_1) | instskip(NEXT) | instid1(SALU_CYCLE_1)
	s_or_b32 exec_lo, exec_lo, s10
	s_mov_b32 s12, exec_lo
	v_cmpx_lt_u32_e32 0xffffff, v58
	s_cbranch_execz .LBB275_1281
; %bb.1274:                             ;   in Loop: Header=BB275_671 Depth=1
	v_lshrrev_b32_e32 v59, 24, v58
	v_dual_mov_b32 v19, s9 :: v_dual_mov_b32 v18, s8
	s_mov_b32 s13, exec_lo
	s_delay_alu instid0(VALU_DEP_2)
	v_cmpx_ne_u32_e32 0x80, v59
	s_cbranch_execz .LBB275_1280
; %bb.1275:                             ;   in Loop: Header=BB275_671 Depth=1
	s_mov_b32 s10, s8
	v_bfe_u32 v58, v58, 24, 7
	v_dual_mov_b32 v19, s11 :: v_dual_mov_b32 v18, s10
	s_mov_b32 s10, exec_lo
	s_delay_alu instid0(VALU_DEP_2)
	v_cmpx_ne_u32_e32 0x7f, v58
	s_cbranch_execz .LBB275_1279
; %bb.1276:                             ;   in Loop: Header=BB275_671 Depth=1
	v_and_b32_e32 v6, 7, v59
	v_lshrrev_b32_e32 v18, 3, v58
	s_mov_b32 s15, exec_lo
	v_cmpx_gt_u32_e32 8, v58
; %bb.1277:                             ;   in Loop: Header=BB275_671 Depth=1
	s_delay_alu instid0(VALU_DEP_3) | instskip(NEXT) | instid1(VALU_DEP_1)
	v_clz_i32_u32_e32 v18, v6
	v_min_u32_e32 v18, 32, v18
	s_delay_alu instid0(VALU_DEP_1) | instskip(SKIP_1) | instid1(VALU_DEP_2)
	v_subrev_nc_u32_e32 v19, 28, v18
	v_sub_nc_u32_e32 v18, 29, v18
	v_lshlrev_b64 v[60:61], v19, v[6:7]
	s_delay_alu instid0(VALU_DEP_1)
	v_and_b32_e32 v6, 7, v60
; %bb.1278:                             ;   in Loop: Header=BB275_671 Depth=1
	s_or_b32 exec_lo, exec_lo, s15
	v_lshlrev_b32_e32 v19, 24, v59
	s_delay_alu instid0(VALU_DEP_2) | instskip(SKIP_1) | instid1(VALU_DEP_3)
	v_lshlrev_b32_e32 v6, 20, v6
	v_lshl_add_u32 v18, v18, 23, 0x3c000000
	v_and_b32_e32 v19, 0x80000000, v19
	s_delay_alu instid0(VALU_DEP_1)
	v_or3_b32 v19, v6, v19, v18
	v_mov_b32_e32 v18, v7
.LBB275_1279:                           ;   in Loop: Header=BB275_671 Depth=1
	s_or_b32 exec_lo, exec_lo, s10
.LBB275_1280:                           ;   in Loop: Header=BB275_671 Depth=1
	s_delay_alu instid0(SALU_CYCLE_1)
	s_or_b32 exec_lo, exec_lo, s13
.LBB275_1281:                           ;   in Loop: Header=BB275_671 Depth=1
	s_delay_alu instid0(SALU_CYCLE_1) | instskip(SKIP_4) | instid1(VALU_DEP_3)
	s_or_b32 exec_lo, exec_lo, s12
	v_or_b32_e32 v5, v15, v5
	v_or_b32_e32 v4, v14, v4
	;; [unrolled: 1-line block ×4, first 2 shown]
	v_dual_mul_f32 v61, v65, v5 :: v_dual_mul_f32 v60, v54, v4
	s_delay_alu instid0(VALU_DEP_3) | instskip(NEXT) | instid1(VALU_DEP_3)
	v_mul_f32_e32 v58, v65, v6
	v_mul_f32_e32 v59, v54, v14
	s_and_saveexec_b32 s10, vcc_lo
; %bb.1282:                             ;   in Loop: Header=BB275_671 Depth=1
	v_cmp_lt_i32_e64 s0, v70, v119
	s_delay_alu instid0(VALU_DEP_1) | instskip(SKIP_1) | instid1(VALU_DEP_1)
	v_cndmask_b32_e64 v60, 0, v60, s0
	v_cmp_lt_i32_e64 s0, v80, v119
	v_cndmask_b32_e64 v61, 0, v61, s0
	v_cmp_lt_i32_e64 s0, v71, v119
	s_delay_alu instid0(VALU_DEP_1) | instskip(SKIP_1) | instid1(VALU_DEP_1)
	v_cndmask_b32_e64 v59, 0, v59, s0
	v_cmp_lt_i32_e64 s0, v21, v119
	v_cndmask_b32_e64 v58, 0, v58, s0
; %bb.1283:                             ;   in Loop: Header=BB275_671 Depth=1
	s_or_b32 exec_lo, exec_lo, s10
	flat_load_b32 v62, v[12:13] offset:2304
	v_mov_b32_e32 v14, 0
	v_mov_b32_e32 v15, 0
	s_mov_b32 s10, exec_lo
	s_waitcnt vmcnt(0) lgkmcnt(0)
	v_and_b32_e32 v6, 0xff, v62
	s_delay_alu instid0(VALU_DEP_2) | instskip(NEXT) | instid1(VALU_DEP_2)
	v_dual_mov_b32 v4, v14 :: v_dual_mov_b32 v5, v15
	v_cmpx_ne_u16_e32 0, v6
	s_cbranch_execz .LBB275_1291
; %bb.1284:                             ;   in Loop: Header=BB275_671 Depth=1
	v_bfrev_b32_e32 v4, 1
	v_mov_b32_e32 v5, 0
	s_mov_b32 s12, exec_lo
	v_cmpx_ne_u16_e32 0x80, v6
	s_cbranch_execz .LBB275_1290
; %bb.1285:                             ;   in Loop: Header=BB275_671 Depth=1
	v_mov_b32_e32 v4, 0x7f800001
	v_dual_mov_b32 v5, 0 :: v_dual_and_b32 v16, 0x7f, v62
	s_mov_b32 s13, exec_lo
	s_delay_alu instid0(VALU_DEP_1)
	v_cmpx_ne_u32_e32 0x7f, v16
	s_cbranch_execz .LBB275_1289
; %bb.1286:                             ;   in Loop: Header=BB275_671 Depth=1
	v_and_b32_e32 v6, 7, v62
	v_lshrrev_b32_e32 v4, 3, v16
	s_mov_b32 s15, exec_lo
	v_cmpx_gt_u32_e32 8, v16
; %bb.1287:                             ;   in Loop: Header=BB275_671 Depth=1
	s_delay_alu instid0(VALU_DEP_3) | instskip(NEXT) | instid1(VALU_DEP_1)
	v_clz_i32_u32_e32 v4, v6
	v_min_u32_e32 v4, 32, v4
	s_delay_alu instid0(VALU_DEP_1) | instskip(SKIP_1) | instid1(VALU_DEP_2)
	v_subrev_nc_u32_e32 v5, 28, v4
	v_sub_nc_u32_e32 v4, 29, v4
	v_lshlrev_b64 v[5:6], v5, v[6:7]
	s_delay_alu instid0(VALU_DEP_1)
	v_and_b32_e32 v6, 7, v5
; %bb.1288:                             ;   in Loop: Header=BB275_671 Depth=1
	s_or_b32 exec_lo, exec_lo, s15
	v_lshlrev_b32_e32 v5, 24, v62
	s_delay_alu instid0(VALU_DEP_2) | instskip(SKIP_1) | instid1(VALU_DEP_3)
	v_lshlrev_b32_e32 v6, 20, v6
	v_lshl_add_u32 v4, v4, 23, 0x3c000000
	v_and_b32_e32 v5, 0x80000000, v5
	s_delay_alu instid0(VALU_DEP_1) | instskip(NEXT) | instid1(VALU_DEP_1)
	v_or3_b32 v6, v6, v5, v4
	v_dual_mov_b32 v4, v6 :: v_dual_mov_b32 v5, v7
.LBB275_1289:                           ;   in Loop: Header=BB275_671 Depth=1
	s_or_b32 exec_lo, exec_lo, s13
.LBB275_1290:                           ;   in Loop: Header=BB275_671 Depth=1
	s_delay_alu instid0(SALU_CYCLE_1)
	s_or_b32 exec_lo, exec_lo, s12
.LBB275_1291:                           ;   in Loop: Header=BB275_671 Depth=1
	s_delay_alu instid0(SALU_CYCLE_1) | instskip(SKIP_2) | instid1(VALU_DEP_1)
	s_or_b32 exec_lo, exec_lo, s10
	v_lshrrev_b16 v6, 8, v62
	s_mov_b32 s12, exec_lo
	v_cmpx_ne_u16_e32 0, v6
	s_cbranch_execz .LBB275_1299
; %bb.1292:                             ;   in Loop: Header=BB275_671 Depth=1
	v_dual_mov_b32 v15, s9 :: v_dual_mov_b32 v14, s8
	s_mov_b32 s13, exec_lo
	v_cmpx_ne_u16_e32 0x80, v6
	s_cbranch_execz .LBB275_1298
; %bb.1293:                             ;   in Loop: Header=BB275_671 Depth=1
	s_mov_b32 s10, s8
	v_dual_mov_b32 v15, s11 :: v_dual_and_b32 v6, 0xffff, v6
	v_mov_b32_e32 v14, s10
	s_mov_b32 s10, exec_lo
	s_delay_alu instid0(VALU_DEP_2) | instskip(NEXT) | instid1(VALU_DEP_1)
	v_and_b32_e32 v16, 0x7f, v6
	v_cmpx_ne_u32_e32 0x7f, v16
	s_cbranch_execz .LBB275_1297
; %bb.1294:                             ;   in Loop: Header=BB275_671 Depth=1
	v_and_b32_e32 v6, 7, v6
	v_lshrrev_b32_e32 v14, 3, v16
	s_mov_b32 s15, exec_lo
	v_cmpx_gt_u32_e32 8, v16
; %bb.1295:                             ;   in Loop: Header=BB275_671 Depth=1
	s_delay_alu instid0(VALU_DEP_3) | instskip(NEXT) | instid1(VALU_DEP_1)
	v_clz_i32_u32_e32 v14, v6
	v_min_u32_e32 v14, 32, v14
	s_delay_alu instid0(VALU_DEP_1) | instskip(SKIP_1) | instid1(VALU_DEP_2)
	v_subrev_nc_u32_e32 v15, 28, v14
	v_sub_nc_u32_e32 v14, 29, v14
	v_lshlrev_b64 v[15:16], v15, v[6:7]
	s_delay_alu instid0(VALU_DEP_1)
	v_and_b32_e32 v6, 7, v15
; %bb.1296:                             ;   in Loop: Header=BB275_671 Depth=1
	s_or_b32 exec_lo, exec_lo, s15
	v_lshlrev_b32_e32 v15, 16, v62
	s_delay_alu instid0(VALU_DEP_2) | instskip(SKIP_1) | instid1(VALU_DEP_3)
	v_lshlrev_b32_e32 v6, 20, v6
	v_lshl_add_u32 v14, v14, 23, 0x3c000000
	v_and_b32_e32 v15, 0x80000000, v15
	s_delay_alu instid0(VALU_DEP_1)
	v_or3_b32 v15, v6, v15, v14
	v_mov_b32_e32 v14, v7
.LBB275_1297:                           ;   in Loop: Header=BB275_671 Depth=1
	s_or_b32 exec_lo, exec_lo, s10
.LBB275_1298:                           ;   in Loop: Header=BB275_671 Depth=1
	s_delay_alu instid0(SALU_CYCLE_1)
	s_or_b32 exec_lo, exec_lo, s13
.LBB275_1299:                           ;   in Loop: Header=BB275_671 Depth=1
	s_delay_alu instid0(SALU_CYCLE_1) | instskip(SKIP_4) | instid1(VALU_DEP_2)
	s_or_b32 exec_lo, exec_lo, s12
	v_mov_b32_e32 v18, 0
	v_lshrrev_b32_e32 v63, 16, v62
	v_mov_b32_e32 v19, 0
	s_mov_b32 s10, exec_lo
	v_and_b32_e32 v6, 0xff, v63
	s_delay_alu instid0(VALU_DEP_2) | instskip(NEXT) | instid1(VALU_DEP_2)
	v_dual_mov_b32 v16, v18 :: v_dual_mov_b32 v17, v19
	v_cmpx_ne_u16_e32 0, v6
	s_cbranch_execz .LBB275_1307
; %bb.1300:                             ;   in Loop: Header=BB275_671 Depth=1
	v_bfrev_b32_e32 v16, 1
	v_mov_b32_e32 v17, 0
	s_mov_b32 s12, exec_lo
	v_cmpx_ne_u16_e32 0x80, v6
	s_cbranch_execz .LBB275_1306
; %bb.1301:                             ;   in Loop: Header=BB275_671 Depth=1
	v_mov_b32_e32 v16, 0x7f800001
	v_bfe_u32 v72, v62, 16, 7
	v_mov_b32_e32 v17, 0
	s_mov_b32 s13, exec_lo
	s_delay_alu instid0(VALU_DEP_2)
	v_cmpx_ne_u32_e32 0x7f, v72
	s_cbranch_execz .LBB275_1305
; %bb.1302:                             ;   in Loop: Header=BB275_671 Depth=1
	v_and_b32_e32 v6, 7, v63
	v_lshrrev_b32_e32 v16, 3, v72
	s_mov_b32 s15, exec_lo
	v_cmpx_gt_u32_e32 8, v72
; %bb.1303:                             ;   in Loop: Header=BB275_671 Depth=1
	s_delay_alu instid0(VALU_DEP_3) | instskip(NEXT) | instid1(VALU_DEP_1)
	v_clz_i32_u32_e32 v16, v6
	v_min_u32_e32 v16, 32, v16
	s_delay_alu instid0(VALU_DEP_1) | instskip(SKIP_1) | instid1(VALU_DEP_2)
	v_subrev_nc_u32_e32 v17, 28, v16
	v_sub_nc_u32_e32 v16, 29, v16
	v_lshlrev_b64 v[72:73], v17, v[6:7]
	s_delay_alu instid0(VALU_DEP_1)
	v_and_b32_e32 v6, 7, v72
; %bb.1304:                             ;   in Loop: Header=BB275_671 Depth=1
	s_or_b32 exec_lo, exec_lo, s15
	v_lshlrev_b32_e32 v17, 24, v63
	s_delay_alu instid0(VALU_DEP_2) | instskip(SKIP_1) | instid1(VALU_DEP_3)
	v_lshlrev_b32_e32 v6, 20, v6
	v_lshl_add_u32 v16, v16, 23, 0x3c000000
	v_and_b32_e32 v17, 0x80000000, v17
	s_delay_alu instid0(VALU_DEP_1) | instskip(NEXT) | instid1(VALU_DEP_1)
	v_or3_b32 v6, v6, v17, v16
	v_dual_mov_b32 v17, v7 :: v_dual_mov_b32 v16, v6
.LBB275_1305:                           ;   in Loop: Header=BB275_671 Depth=1
	s_or_b32 exec_lo, exec_lo, s13
.LBB275_1306:                           ;   in Loop: Header=BB275_671 Depth=1
	s_delay_alu instid0(SALU_CYCLE_1)
	s_or_b32 exec_lo, exec_lo, s12
.LBB275_1307:                           ;   in Loop: Header=BB275_671 Depth=1
	s_delay_alu instid0(SALU_CYCLE_1) | instskip(NEXT) | instid1(SALU_CYCLE_1)
	s_or_b32 exec_lo, exec_lo, s10
	s_mov_b32 s12, exec_lo
	v_cmpx_lt_u32_e32 0xffffff, v62
	s_cbranch_execz .LBB275_1315
; %bb.1308:                             ;   in Loop: Header=BB275_671 Depth=1
	v_lshrrev_b32_e32 v63, 24, v62
	v_dual_mov_b32 v19, s9 :: v_dual_mov_b32 v18, s8
	s_mov_b32 s13, exec_lo
	s_delay_alu instid0(VALU_DEP_2)
	v_cmpx_ne_u32_e32 0x80, v63
	s_cbranch_execz .LBB275_1314
; %bb.1309:                             ;   in Loop: Header=BB275_671 Depth=1
	s_mov_b32 s10, s8
	v_bfe_u32 v62, v62, 24, 7
	v_dual_mov_b32 v19, s11 :: v_dual_mov_b32 v18, s10
	s_mov_b32 s10, exec_lo
	s_delay_alu instid0(VALU_DEP_2)
	v_cmpx_ne_u32_e32 0x7f, v62
	s_cbranch_execz .LBB275_1313
; %bb.1310:                             ;   in Loop: Header=BB275_671 Depth=1
	v_and_b32_e32 v6, 7, v63
	v_lshrrev_b32_e32 v18, 3, v62
	s_mov_b32 s15, exec_lo
	v_cmpx_gt_u32_e32 8, v62
; %bb.1311:                             ;   in Loop: Header=BB275_671 Depth=1
	s_delay_alu instid0(VALU_DEP_3) | instskip(NEXT) | instid1(VALU_DEP_1)
	v_clz_i32_u32_e32 v18, v6
	v_min_u32_e32 v18, 32, v18
	s_delay_alu instid0(VALU_DEP_1) | instskip(SKIP_1) | instid1(VALU_DEP_2)
	v_subrev_nc_u32_e32 v19, 28, v18
	v_sub_nc_u32_e32 v18, 29, v18
	v_lshlrev_b64 v[72:73], v19, v[6:7]
	s_delay_alu instid0(VALU_DEP_1)
	v_and_b32_e32 v6, 7, v72
; %bb.1312:                             ;   in Loop: Header=BB275_671 Depth=1
	s_or_b32 exec_lo, exec_lo, s15
	v_lshlrev_b32_e32 v19, 24, v63
	s_delay_alu instid0(VALU_DEP_2) | instskip(SKIP_1) | instid1(VALU_DEP_3)
	v_lshlrev_b32_e32 v6, 20, v6
	v_lshl_add_u32 v18, v18, 23, 0x3c000000
	v_and_b32_e32 v19, 0x80000000, v19
	s_delay_alu instid0(VALU_DEP_1)
	v_or3_b32 v19, v6, v19, v18
	v_mov_b32_e32 v18, v7
.LBB275_1313:                           ;   in Loop: Header=BB275_671 Depth=1
	s_or_b32 exec_lo, exec_lo, s10
.LBB275_1314:                           ;   in Loop: Header=BB275_671 Depth=1
	s_delay_alu instid0(SALU_CYCLE_1)
	s_or_b32 exec_lo, exec_lo, s13
.LBB275_1315:                           ;   in Loop: Header=BB275_671 Depth=1
	s_delay_alu instid0(SALU_CYCLE_1) | instskip(SKIP_4) | instid1(VALU_DEP_3)
	s_or_b32 exec_lo, exec_lo, s12
	v_or_b32_e32 v5, v15, v5
	v_or_b32_e32 v4, v14, v4
	;; [unrolled: 1-line block ×4, first 2 shown]
	v_dual_mul_f32 v63, v65, v5 :: v_dual_mul_f32 v62, v54, v4
	s_delay_alu instid0(VALU_DEP_3) | instskip(NEXT) | instid1(VALU_DEP_3)
	v_mul_f32_e32 v18, v65, v6
	v_mul_f32_e32 v19, v54, v14
	s_and_saveexec_b32 s10, vcc_lo
; %bb.1316:                             ;   in Loop: Header=BB275_671 Depth=1
	v_cmp_lt_i32_e64 s0, v70, v119
	s_delay_alu instid0(VALU_DEP_1) | instskip(SKIP_1) | instid1(VALU_DEP_1)
	v_cndmask_b32_e64 v62, 0, v62, s0
	v_cmp_lt_i32_e64 s0, v80, v119
	v_cndmask_b32_e64 v63, 0, v63, s0
	v_cmp_lt_i32_e64 s0, v71, v119
	s_delay_alu instid0(VALU_DEP_1) | instskip(SKIP_1) | instid1(VALU_DEP_1)
	v_cndmask_b32_e64 v19, 0, v19, s0
	v_cmp_lt_i32_e64 s0, v21, v119
	v_cndmask_b32_e64 v18, 0, v18, s0
; %bb.1317:                             ;   in Loop: Header=BB275_671 Depth=1
	s_or_b32 exec_lo, exec_lo, s10
	flat_load_b32 v72, v[12:13] offset:2432
	v_mov_b32_e32 v12, 0
	v_mov_b32_e32 v13, 0
	s_mov_b32 s10, exec_lo
	s_waitcnt vmcnt(0) lgkmcnt(0)
	v_and_b32_e32 v6, 0xff, v72
	s_delay_alu instid0(VALU_DEP_2) | instskip(NEXT) | instid1(VALU_DEP_2)
	v_dual_mov_b32 v4, v12 :: v_dual_mov_b32 v5, v13
	v_cmpx_ne_u16_e32 0, v6
	s_cbranch_execz .LBB275_1325
; %bb.1318:                             ;   in Loop: Header=BB275_671 Depth=1
	v_bfrev_b32_e32 v4, 1
	v_mov_b32_e32 v5, 0
	s_mov_b32 s12, exec_lo
	v_cmpx_ne_u16_e32 0x80, v6
	s_cbranch_execz .LBB275_1324
; %bb.1319:                             ;   in Loop: Header=BB275_671 Depth=1
	v_mov_b32_e32 v4, 0x7f800001
	v_dual_mov_b32 v5, 0 :: v_dual_and_b32 v14, 0x7f, v72
	s_mov_b32 s13, exec_lo
	s_delay_alu instid0(VALU_DEP_1)
	v_cmpx_ne_u32_e32 0x7f, v14
	s_cbranch_execz .LBB275_1323
; %bb.1320:                             ;   in Loop: Header=BB275_671 Depth=1
	v_and_b32_e32 v6, 7, v72
	v_lshrrev_b32_e32 v4, 3, v14
	s_mov_b32 s15, exec_lo
	v_cmpx_gt_u32_e32 8, v14
; %bb.1321:                             ;   in Loop: Header=BB275_671 Depth=1
	s_delay_alu instid0(VALU_DEP_3) | instskip(NEXT) | instid1(VALU_DEP_1)
	v_clz_i32_u32_e32 v4, v6
	v_min_u32_e32 v4, 32, v4
	s_delay_alu instid0(VALU_DEP_1) | instskip(SKIP_1) | instid1(VALU_DEP_2)
	v_subrev_nc_u32_e32 v5, 28, v4
	v_sub_nc_u32_e32 v4, 29, v4
	v_lshlrev_b64 v[5:6], v5, v[6:7]
	s_delay_alu instid0(VALU_DEP_1)
	v_and_b32_e32 v6, 7, v5
; %bb.1322:                             ;   in Loop: Header=BB275_671 Depth=1
	s_or_b32 exec_lo, exec_lo, s15
	v_lshlrev_b32_e32 v5, 24, v72
	s_delay_alu instid0(VALU_DEP_2) | instskip(SKIP_1) | instid1(VALU_DEP_3)
	v_lshlrev_b32_e32 v6, 20, v6
	v_lshl_add_u32 v4, v4, 23, 0x3c000000
	v_and_b32_e32 v5, 0x80000000, v5
	s_delay_alu instid0(VALU_DEP_1) | instskip(NEXT) | instid1(VALU_DEP_1)
	v_or3_b32 v6, v6, v5, v4
	v_dual_mov_b32 v4, v6 :: v_dual_mov_b32 v5, v7
.LBB275_1323:                           ;   in Loop: Header=BB275_671 Depth=1
	s_or_b32 exec_lo, exec_lo, s13
.LBB275_1324:                           ;   in Loop: Header=BB275_671 Depth=1
	s_delay_alu instid0(SALU_CYCLE_1)
	s_or_b32 exec_lo, exec_lo, s12
.LBB275_1325:                           ;   in Loop: Header=BB275_671 Depth=1
	s_delay_alu instid0(SALU_CYCLE_1) | instskip(SKIP_2) | instid1(VALU_DEP_1)
	s_or_b32 exec_lo, exec_lo, s10
	v_lshrrev_b16 v6, 8, v72
	s_mov_b32 s12, exec_lo
	v_cmpx_ne_u16_e32 0, v6
	s_cbranch_execz .LBB275_1333
; %bb.1326:                             ;   in Loop: Header=BB275_671 Depth=1
	v_dual_mov_b32 v13, s9 :: v_dual_mov_b32 v12, s8
	s_mov_b32 s13, exec_lo
	v_cmpx_ne_u16_e32 0x80, v6
	s_cbranch_execz .LBB275_1332
; %bb.1327:                             ;   in Loop: Header=BB275_671 Depth=1
	s_mov_b32 s10, s8
	v_dual_mov_b32 v13, s11 :: v_dual_and_b32 v6, 0xffff, v6
	v_mov_b32_e32 v12, s10
	s_mov_b32 s10, exec_lo
	s_delay_alu instid0(VALU_DEP_2) | instskip(NEXT) | instid1(VALU_DEP_1)
	v_and_b32_e32 v14, 0x7f, v6
	v_cmpx_ne_u32_e32 0x7f, v14
	s_cbranch_execz .LBB275_1331
; %bb.1328:                             ;   in Loop: Header=BB275_671 Depth=1
	v_and_b32_e32 v6, 7, v6
	v_lshrrev_b32_e32 v12, 3, v14
	s_mov_b32 s15, exec_lo
	v_cmpx_gt_u32_e32 8, v14
; %bb.1329:                             ;   in Loop: Header=BB275_671 Depth=1
	s_delay_alu instid0(VALU_DEP_3) | instskip(NEXT) | instid1(VALU_DEP_1)
	v_clz_i32_u32_e32 v12, v6
	v_min_u32_e32 v12, 32, v12
	s_delay_alu instid0(VALU_DEP_1) | instskip(SKIP_1) | instid1(VALU_DEP_2)
	v_subrev_nc_u32_e32 v13, 28, v12
	v_sub_nc_u32_e32 v12, 29, v12
	v_lshlrev_b64 v[13:14], v13, v[6:7]
	s_delay_alu instid0(VALU_DEP_1)
	v_and_b32_e32 v6, 7, v13
; %bb.1330:                             ;   in Loop: Header=BB275_671 Depth=1
	s_or_b32 exec_lo, exec_lo, s15
	v_lshlrev_b32_e32 v13, 16, v72
	s_delay_alu instid0(VALU_DEP_2) | instskip(SKIP_1) | instid1(VALU_DEP_3)
	v_lshlrev_b32_e32 v6, 20, v6
	v_lshl_add_u32 v12, v12, 23, 0x3c000000
	v_and_b32_e32 v13, 0x80000000, v13
	s_delay_alu instid0(VALU_DEP_1)
	v_or3_b32 v13, v6, v13, v12
	v_mov_b32_e32 v12, v7
.LBB275_1331:                           ;   in Loop: Header=BB275_671 Depth=1
	s_or_b32 exec_lo, exec_lo, s10
.LBB275_1332:                           ;   in Loop: Header=BB275_671 Depth=1
	s_delay_alu instid0(SALU_CYCLE_1)
	s_or_b32 exec_lo, exec_lo, s13
.LBB275_1333:                           ;   in Loop: Header=BB275_671 Depth=1
	s_delay_alu instid0(SALU_CYCLE_1) | instskip(SKIP_4) | instid1(VALU_DEP_2)
	s_or_b32 exec_lo, exec_lo, s12
	v_mov_b32_e32 v16, 0
	v_lshrrev_b32_e32 v73, 16, v72
	v_mov_b32_e32 v17, 0
	s_mov_b32 s10, exec_lo
	v_and_b32_e32 v6, 0xff, v73
	s_delay_alu instid0(VALU_DEP_2) | instskip(NEXT) | instid1(VALU_DEP_2)
	v_dual_mov_b32 v14, v16 :: v_dual_mov_b32 v15, v17
	v_cmpx_ne_u16_e32 0, v6
	s_cbranch_execz .LBB275_1341
; %bb.1334:                             ;   in Loop: Header=BB275_671 Depth=1
	v_bfrev_b32_e32 v14, 1
	v_mov_b32_e32 v15, 0
	s_mov_b32 s12, exec_lo
	v_cmpx_ne_u16_e32 0x80, v6
	s_cbranch_execz .LBB275_1340
; %bb.1335:                             ;   in Loop: Header=BB275_671 Depth=1
	v_mov_b32_e32 v14, 0x7f800001
	v_bfe_u32 v74, v72, 16, 7
	v_mov_b32_e32 v15, 0
	s_mov_b32 s13, exec_lo
	s_delay_alu instid0(VALU_DEP_2)
	v_cmpx_ne_u32_e32 0x7f, v74
	s_cbranch_execz .LBB275_1339
; %bb.1336:                             ;   in Loop: Header=BB275_671 Depth=1
	v_and_b32_e32 v6, 7, v73
	v_lshrrev_b32_e32 v14, 3, v74
	s_mov_b32 s15, exec_lo
	v_cmpx_gt_u32_e32 8, v74
; %bb.1337:                             ;   in Loop: Header=BB275_671 Depth=1
	s_delay_alu instid0(VALU_DEP_3) | instskip(NEXT) | instid1(VALU_DEP_1)
	v_clz_i32_u32_e32 v14, v6
	v_min_u32_e32 v14, 32, v14
	s_delay_alu instid0(VALU_DEP_1) | instskip(SKIP_1) | instid1(VALU_DEP_2)
	v_subrev_nc_u32_e32 v15, 28, v14
	v_sub_nc_u32_e32 v14, 29, v14
	v_lshlrev_b64 v[74:75], v15, v[6:7]
	s_delay_alu instid0(VALU_DEP_1)
	v_and_b32_e32 v6, 7, v74
; %bb.1338:                             ;   in Loop: Header=BB275_671 Depth=1
	s_or_b32 exec_lo, exec_lo, s15
	v_lshlrev_b32_e32 v15, 24, v73
	s_delay_alu instid0(VALU_DEP_2) | instskip(SKIP_1) | instid1(VALU_DEP_3)
	v_lshlrev_b32_e32 v6, 20, v6
	v_lshl_add_u32 v14, v14, 23, 0x3c000000
	v_and_b32_e32 v15, 0x80000000, v15
	s_delay_alu instid0(VALU_DEP_1) | instskip(NEXT) | instid1(VALU_DEP_1)
	v_or3_b32 v6, v6, v15, v14
	v_dual_mov_b32 v15, v7 :: v_dual_mov_b32 v14, v6
.LBB275_1339:                           ;   in Loop: Header=BB275_671 Depth=1
	s_or_b32 exec_lo, exec_lo, s13
.LBB275_1340:                           ;   in Loop: Header=BB275_671 Depth=1
	s_delay_alu instid0(SALU_CYCLE_1)
	s_or_b32 exec_lo, exec_lo, s12
.LBB275_1341:                           ;   in Loop: Header=BB275_671 Depth=1
	s_delay_alu instid0(SALU_CYCLE_1) | instskip(NEXT) | instid1(SALU_CYCLE_1)
	s_or_b32 exec_lo, exec_lo, s10
	s_mov_b32 s12, exec_lo
	v_cmpx_lt_u32_e32 0xffffff, v72
	s_cbranch_execz .LBB275_1349
; %bb.1342:                             ;   in Loop: Header=BB275_671 Depth=1
	v_lshrrev_b32_e32 v73, 24, v72
	v_dual_mov_b32 v17, s9 :: v_dual_mov_b32 v16, s8
	s_mov_b32 s13, exec_lo
	s_delay_alu instid0(VALU_DEP_2)
	v_cmpx_ne_u32_e32 0x80, v73
	s_cbranch_execz .LBB275_1348
; %bb.1343:                             ;   in Loop: Header=BB275_671 Depth=1
	s_mov_b32 s10, s8
	v_bfe_u32 v72, v72, 24, 7
	v_dual_mov_b32 v17, s11 :: v_dual_mov_b32 v16, s10
	s_mov_b32 s10, exec_lo
	s_delay_alu instid0(VALU_DEP_2)
	v_cmpx_ne_u32_e32 0x7f, v72
	s_cbranch_execz .LBB275_1347
; %bb.1344:                             ;   in Loop: Header=BB275_671 Depth=1
	v_and_b32_e32 v6, 7, v73
	v_lshrrev_b32_e32 v16, 3, v72
	s_mov_b32 s15, exec_lo
	v_cmpx_gt_u32_e32 8, v72
; %bb.1345:                             ;   in Loop: Header=BB275_671 Depth=1
	s_delay_alu instid0(VALU_DEP_3) | instskip(NEXT) | instid1(VALU_DEP_1)
	v_clz_i32_u32_e32 v16, v6
	v_min_u32_e32 v16, 32, v16
	s_delay_alu instid0(VALU_DEP_1) | instskip(SKIP_1) | instid1(VALU_DEP_2)
	v_subrev_nc_u32_e32 v17, 28, v16
	v_sub_nc_u32_e32 v16, 29, v16
	v_lshlrev_b64 v[74:75], v17, v[6:7]
	s_delay_alu instid0(VALU_DEP_1)
	v_and_b32_e32 v6, 7, v74
; %bb.1346:                             ;   in Loop: Header=BB275_671 Depth=1
	s_or_b32 exec_lo, exec_lo, s15
	v_lshlrev_b32_e32 v17, 24, v73
	s_delay_alu instid0(VALU_DEP_2) | instskip(SKIP_1) | instid1(VALU_DEP_3)
	v_lshlrev_b32_e32 v6, 20, v6
	v_lshl_add_u32 v16, v16, 23, 0x3c000000
	v_and_b32_e32 v17, 0x80000000, v17
	s_delay_alu instid0(VALU_DEP_1)
	v_or3_b32 v17, v6, v17, v16
	v_mov_b32_e32 v16, v7
.LBB275_1347:                           ;   in Loop: Header=BB275_671 Depth=1
	s_or_b32 exec_lo, exec_lo, s10
.LBB275_1348:                           ;   in Loop: Header=BB275_671 Depth=1
	s_delay_alu instid0(SALU_CYCLE_1)
	s_or_b32 exec_lo, exec_lo, s13
.LBB275_1349:                           ;   in Loop: Header=BB275_671 Depth=1
	s_delay_alu instid0(SALU_CYCLE_1) | instskip(SKIP_4) | instid1(VALU_DEP_4)
	s_or_b32 exec_lo, exec_lo, s12
	v_or_b32_e32 v5, v13, v5
	v_or_b32_e32 v4, v12, v4
	;; [unrolled: 1-line block ×4, first 2 shown]
	v_mul_f32_e32 v12, v65, v5
	s_delay_alu instid0(VALU_DEP_4) | instskip(NEXT) | instid1(VALU_DEP_3)
	v_mul_f32_e32 v6, v54, v4
	v_dual_mul_f32 v4, v65, v13 :: v_dual_mul_f32 v5, v54, v14
	s_and_saveexec_b32 s0, vcc_lo
	s_cbranch_execz .LBB275_670
; %bb.1350:                             ;   in Loop: Header=BB275_671 Depth=1
	v_cmp_lt_i32_e32 vcc_lo, v70, v119
	v_cndmask_b32_e32 v6, 0, v6, vcc_lo
	v_cmp_lt_i32_e32 vcc_lo, v80, v119
	v_cndmask_b32_e32 v12, 0, v12, vcc_lo
	;; [unrolled: 2-line block ×4, first 2 shown]
	s_branch .LBB275_670
.LBB275_1351:
	s_or_b32 exec_lo, exec_lo, s5
	v_dual_mov_b32 v0, s6 :: v_dual_mov_b32 v1, s7
.LBB275_1352:
	s_or_b32 exec_lo, exec_lo, s3
	s_waitcnt lgkmcnt(0)
	s_waitcnt_vscnt null, 0x0
	s_barrier
	buffer_gl0_inv
	s_clause 0x1
	scratch_load_b32 v17, off, s32 offset:616
	scratch_load_b32 v20, off, s32 offset:632
	v_lshlrev_b64 v[0:1], 2, v[0:1]
	s_getpc_b64 s[6:7]
	s_add_u32 s6, s6, llvm.amdgcn.dynlds.offset.table@rel32@lo+4
	s_addc_u32 s7, s7, llvm.amdgcn.dynlds.offset.table@rel32@hi+12
	ds_bpermute_b32 v2, v24, v52
	ds_bpermute_b32 v3, v24, v50
	;; [unrolled: 1-line block ×4, first 2 shown]
	v_add_co_u32 v0, vcc_lo, v0, s6
	v_add_co_ci_u32_e32 v1, vcc_lo, s7, v1, vcc_lo
	ds_bpermute_b32 v6, v24, v39
	ds_bpermute_b32 v7, v24, v38
	;; [unrolled: 1-line block ×3, first 2 shown]
	global_load_b32 v21, v[0:1], off
	ds_bpermute_b32 v1, v24, v53
	ds_bpermute_b32 v0, v24, v51
	;; [unrolled: 1-line block ×13, first 2 shown]
	s_waitcnt lgkmcnt(17)
	v_dual_add_f32 v3, v50, v3 :: v_dual_add_f32 v4, v49, v4
	v_add_f32_e32 v2, v52, v2
	s_waitcnt lgkmcnt(15)
	v_dual_add_f32 v5, v48, v5 :: v_dual_add_f32 v6, v39, v6
	s_waitcnt lgkmcnt(13)
	v_dual_add_f32 v7, v38, v7 :: v_dual_add_f32 v8, v37, v8
	s_waitcnt lgkmcnt(12)
	v_add_f32_e32 v1, v53, v1
	ds_bpermute_b32 v27, v23, v2
	s_waitcnt lgkmcnt(10)
	v_dual_add_f32 v9, v36, v9 :: v_dual_add_f32 v10, v35, v10
	s_waitcnt lgkmcnt(8)
	v_dual_add_f32 v11, v34, v11 :: v_dual_add_f32 v12, v33, v12
	ds_bpermute_b32 v26, v23, v1
	s_waitcnt lgkmcnt(7)
	v_dual_add_f32 v13, v32, v13 :: v_dual_add_f32 v14, v31, v14
	s_waitcnt lgkmcnt(5)
	v_dual_add_f32 v15, v30, v15 :: v_dual_add_f32 v16, v29, v16
	ds_bpermute_b32 v29, v23, v4
	ds_bpermute_b32 v30, v23, v5
	;; [unrolled: 1-line block ×13, first 2 shown]
	v_add_f32_e32 v0, v51, v0
	s_waitcnt lgkmcnt(13)
	v_dual_add_f32 v2, v2, v27 :: v_dual_add_f32 v1, v1, v26
	ds_bpermute_b32 v26, v22, v2
	s_waitcnt lgkmcnt(12)
	v_dual_add_f32 v4, v4, v29 :: v_dual_add_f32 v5, v5, v30
	s_waitcnt lgkmcnt(10)
	v_dual_add_f32 v6, v6, v31 :: v_dual_add_f32 v7, v7, v32
	;; [unrolled: 2-line block ×6, first 2 shown]
	s_waitcnt lgkmcnt(1)
	v_add_f32_e32 v16, v16, v49
	ds_bpermute_b32 v29, v22, v5
	ds_bpermute_b32 v30, v22, v6
	;; [unrolled: 1-line block ×12, first 2 shown]
	s_waitcnt lgkmcnt(11)
	v_dual_add_f32 v2, v2, v26 :: v_dual_add_f32 v5, v5, v29
	s_waitcnt lgkmcnt(9)
	v_dual_add_f32 v6, v6, v30 :: v_dual_add_f32 v7, v7, v31
	s_waitcnt lgkmcnt(7)
	v_dual_add_f32 v8, v8, v32 :: v_dual_add_f32 v9, v9, v33
	s_waitcnt lgkmcnt(5)
	v_dual_add_f32 v10, v10, v34 :: v_dual_add_f32 v11, v11, v35
	s_waitcnt lgkmcnt(3)
	v_dual_add_f32 v12, v12, v36 :: v_dual_add_f32 v13, v13, v37
	s_waitcnt lgkmcnt(1)
	v_dual_add_f32 v14, v14, v38 :: v_dual_add_f32 v15, v15, v39
	s_waitcnt vmcnt(2) lgkmcnt(0)
	v_dual_add_f32 v16, v16, v48 :: v_dual_and_b32 v17, 0x3c7, v17
	s_waitcnt vmcnt(1)
	v_lshrrev_b32_e32 v20, 3, v20
	s_delay_alu instid0(VALU_DEP_2)
	v_cmp_eq_u32_e32 vcc_lo, 64, v17
	v_dual_add_f32 v17, v28, v18 :: v_dual_add_f32 v18, v77, v19
	v_add_f32_e32 v19, v76, v24
	ds_bpermute_b32 v24, v23, v0
	ds_bpermute_b32 v28, v23, v3
	;; [unrolled: 1-line block ×5, first 2 shown]
	s_waitcnt lgkmcnt(4)
	v_add_f32_e32 v0, v0, v24
	s_waitcnt lgkmcnt(3)
	v_add_f32_e32 v3, v3, v28
	s_waitcnt lgkmcnt(1)
	v_dual_add_f32 v17, v17, v50 :: v_dual_add_f32 v18, v18, v51
	s_waitcnt lgkmcnt(0)
	v_add_f32_e32 v19, v19, v23
	ds_bpermute_b32 v23, v22, v0
	ds_bpermute_b32 v24, v22, v1
	;; [unrolled: 1-line block ×7, first 2 shown]
	s_waitcnt lgkmcnt(5)
	v_dual_add_f32 v0, v0, v23 :: v_dual_add_f32 v1, v1, v24
	s_waitcnt lgkmcnt(3)
	v_dual_add_f32 v3, v3, v27 :: v_dual_add_f32 v4, v4, v28
	;; [unrolled: 2-line block ×3, first 2 shown]
	s_waitcnt lgkmcnt(0)
	v_add_f32_e32 v19, v19, v22
	scratch_load_b32 v22, off, s32 offset:620 ; 4-byte Folded Reload
	s_waitcnt vmcnt(0)
	v_mad_u32_u24 v21, 0x140, v22, v21
	v_lshlrev_b32_e32 v22, 2, v20
	s_and_saveexec_b32 s0, vcc_lo
	s_cbranch_execz .LBB275_1354
; %bb.1353:
	s_delay_alu instid0(VALU_DEP_1)
	v_add3_u32 v23, v21, v22, 0xfffffd80
	ds_store_2addr_b32 v23, v0, v1 offset1:4
	ds_store_2addr_b32 v23, v2, v3 offset0:8 offset1:12
	ds_store_2addr_b32 v23, v4, v5 offset0:16 offset1:20
	;; [unrolled: 1-line block ×9, first 2 shown]
.LBB275_1354:
	s_or_b32 exec_lo, exec_lo, s0
	scratch_load_b32 v24, off, s32 offset:616 ; 4-byte Folded Reload
	v_cmp_eq_u32_e32 vcc_lo, 0, v25
	s_mov_b32 s3, exec_lo
	s_waitcnt vmcnt(0) lgkmcnt(0)
	s_barrier
	buffer_gl0_inv
	v_cmpx_gt_u32_e32 64, v24
	s_cbranch_execz .LBB275_1377
; %bb.1355:
	s_and_saveexec_b32 s0, vcc_lo
	s_cbranch_execnz .LBB275_1405
; %bb.1356:
	s_or_b32 exec_lo, exec_lo, s0
	s_and_saveexec_b32 s0, vcc_lo
	s_cbranch_execnz .LBB275_1406
.LBB275_1357:
	s_or_b32 exec_lo, exec_lo, s0
	s_and_saveexec_b32 s0, vcc_lo
	s_cbranch_execnz .LBB275_1407
.LBB275_1358:
	s_or_b32 exec_lo, exec_lo, s0
	s_and_saveexec_b32 s0, vcc_lo
	s_cbranch_execnz .LBB275_1408
.LBB275_1359:
	s_or_b32 exec_lo, exec_lo, s0
	s_and_saveexec_b32 s0, vcc_lo
	s_cbranch_execnz .LBB275_1409
.LBB275_1360:
	s_or_b32 exec_lo, exec_lo, s0
	s_and_saveexec_b32 s0, vcc_lo
	s_cbranch_execnz .LBB275_1410
.LBB275_1361:
	s_or_b32 exec_lo, exec_lo, s0
	s_and_saveexec_b32 s0, vcc_lo
	s_cbranch_execnz .LBB275_1411
.LBB275_1362:
	s_or_b32 exec_lo, exec_lo, s0
	s_and_saveexec_b32 s0, vcc_lo
	s_cbranch_execnz .LBB275_1412
.LBB275_1363:
	s_or_b32 exec_lo, exec_lo, s0
	s_and_saveexec_b32 s0, vcc_lo
	s_cbranch_execnz .LBB275_1413
.LBB275_1364:
	s_or_b32 exec_lo, exec_lo, s0
	s_and_saveexec_b32 s0, vcc_lo
	s_cbranch_execnz .LBB275_1414
.LBB275_1365:
	s_or_b32 exec_lo, exec_lo, s0
	s_and_saveexec_b32 s0, vcc_lo
	s_cbranch_execnz .LBB275_1415
.LBB275_1366:
	s_or_b32 exec_lo, exec_lo, s0
	s_and_saveexec_b32 s0, vcc_lo
	s_cbranch_execnz .LBB275_1416
.LBB275_1367:
	s_or_b32 exec_lo, exec_lo, s0
	s_and_saveexec_b32 s0, vcc_lo
	s_cbranch_execnz .LBB275_1417
.LBB275_1368:
	s_or_b32 exec_lo, exec_lo, s0
	s_and_saveexec_b32 s0, vcc_lo
	s_cbranch_execnz .LBB275_1418
.LBB275_1369:
	s_or_b32 exec_lo, exec_lo, s0
	s_and_saveexec_b32 s0, vcc_lo
	s_cbranch_execnz .LBB275_1419
.LBB275_1370:
	s_or_b32 exec_lo, exec_lo, s0
	s_and_saveexec_b32 s0, vcc_lo
	s_cbranch_execnz .LBB275_1420
.LBB275_1371:
	s_or_b32 exec_lo, exec_lo, s0
	s_and_saveexec_b32 s0, vcc_lo
	s_cbranch_execnz .LBB275_1421
.LBB275_1372:
	s_or_b32 exec_lo, exec_lo, s0
	s_and_saveexec_b32 s0, vcc_lo
	s_cbranch_execnz .LBB275_1422
.LBB275_1373:
	s_or_b32 exec_lo, exec_lo, s0
	s_and_saveexec_b32 s0, vcc_lo
	s_cbranch_execnz .LBB275_1423
.LBB275_1374:
	s_or_b32 exec_lo, exec_lo, s0
	s_and_saveexec_b32 s0, vcc_lo
	s_cbranch_execz .LBB275_1376
.LBB275_1375:
	v_lshl_add_u32 v23, v20, 2, v21
	ds_load_b32 v23, v23 offset:304
	s_waitcnt lgkmcnt(0)
	v_add_f32_e32 v19, v23, v19
.LBB275_1376:
	s_or_b32 exec_lo, exec_lo, s0
.LBB275_1377:
	s_delay_alu instid0(SALU_CYCLE_1)
	s_or_b32 exec_lo, exec_lo, s3
	v_and_b32_e32 v23, 0x3e7, v24
	s_mov_b32 s3, exec_lo
	s_barrier
	buffer_gl0_inv
	v_cmpx_eq_u32_e32 32, v23
	s_cbranch_execz .LBB275_1379
; %bb.1378:
	v_add3_u32 v22, v21, v22, 0xfffffec0
	ds_store_2addr_b32 v22, v0, v1 offset1:4
	ds_store_2addr_b32 v22, v2, v3 offset0:8 offset1:12
	ds_store_2addr_b32 v22, v4, v5 offset0:16 offset1:20
	;; [unrolled: 1-line block ×9, first 2 shown]
.LBB275_1379:
	s_or_b32 exec_lo, exec_lo, s3
	s_delay_alu instid0(SALU_CYCLE_1)
	s_mov_b32 s3, exec_lo
	s_waitcnt lgkmcnt(0)
	s_barrier
	buffer_gl0_inv
	v_cmpx_gt_u32_e32 32, v24
	s_cbranch_execz .LBB275_1402
; %bb.1380:
	v_lshl_add_u32 v20, v20, 2, v21
	s_and_saveexec_b32 s0, vcc_lo
	s_cbranch_execnz .LBB275_1424
; %bb.1381:
	s_or_b32 exec_lo, exec_lo, s0
	s_and_saveexec_b32 s0, vcc_lo
	s_cbranch_execnz .LBB275_1425
.LBB275_1382:
	s_or_b32 exec_lo, exec_lo, s0
	s_and_saveexec_b32 s0, vcc_lo
	s_cbranch_execnz .LBB275_1426
.LBB275_1383:
	s_or_b32 exec_lo, exec_lo, s0
	s_and_saveexec_b32 s0, vcc_lo
	s_cbranch_execnz .LBB275_1427
.LBB275_1384:
	s_or_b32 exec_lo, exec_lo, s0
	s_and_saveexec_b32 s0, vcc_lo
	s_cbranch_execnz .LBB275_1428
.LBB275_1385:
	s_or_b32 exec_lo, exec_lo, s0
	s_and_saveexec_b32 s0, vcc_lo
	s_cbranch_execnz .LBB275_1429
.LBB275_1386:
	s_or_b32 exec_lo, exec_lo, s0
	s_and_saveexec_b32 s0, vcc_lo
	s_cbranch_execnz .LBB275_1430
.LBB275_1387:
	s_or_b32 exec_lo, exec_lo, s0
	s_and_saveexec_b32 s0, vcc_lo
	s_cbranch_execnz .LBB275_1431
.LBB275_1388:
	s_or_b32 exec_lo, exec_lo, s0
	s_and_saveexec_b32 s0, vcc_lo
	s_cbranch_execnz .LBB275_1432
.LBB275_1389:
	s_or_b32 exec_lo, exec_lo, s0
	s_and_saveexec_b32 s0, vcc_lo
	s_cbranch_execnz .LBB275_1433
.LBB275_1390:
	s_or_b32 exec_lo, exec_lo, s0
	s_and_saveexec_b32 s0, vcc_lo
	s_cbranch_execnz .LBB275_1434
.LBB275_1391:
	s_or_b32 exec_lo, exec_lo, s0
	s_and_saveexec_b32 s0, vcc_lo
	s_cbranch_execnz .LBB275_1435
.LBB275_1392:
	s_or_b32 exec_lo, exec_lo, s0
	s_and_saveexec_b32 s0, vcc_lo
	s_cbranch_execnz .LBB275_1436
.LBB275_1393:
	s_or_b32 exec_lo, exec_lo, s0
	s_and_saveexec_b32 s0, vcc_lo
	s_cbranch_execnz .LBB275_1437
.LBB275_1394:
	s_or_b32 exec_lo, exec_lo, s0
	s_and_saveexec_b32 s0, vcc_lo
	s_cbranch_execnz .LBB275_1438
.LBB275_1395:
	s_or_b32 exec_lo, exec_lo, s0
	s_and_saveexec_b32 s0, vcc_lo
	s_cbranch_execnz .LBB275_1439
.LBB275_1396:
	s_or_b32 exec_lo, exec_lo, s0
	s_and_saveexec_b32 s0, vcc_lo
	s_cbranch_execnz .LBB275_1440
.LBB275_1397:
	s_or_b32 exec_lo, exec_lo, s0
	s_and_saveexec_b32 s0, vcc_lo
	s_cbranch_execnz .LBB275_1441
.LBB275_1398:
	s_or_b32 exec_lo, exec_lo, s0
	s_and_saveexec_b32 s0, vcc_lo
	s_cbranch_execnz .LBB275_1442
.LBB275_1399:
	s_or_b32 exec_lo, exec_lo, s0
	s_and_saveexec_b32 s0, vcc_lo
	s_cbranch_execz .LBB275_1401
.LBB275_1400:
	ds_load_b32 v20, v20 offset:304
	s_waitcnt lgkmcnt(0)
	v_add_f32_e32 v19, v20, v19
.LBB275_1401:
	s_or_b32 exec_lo, exec_lo, s0
.LBB275_1402:
	s_delay_alu instid0(SALU_CYCLE_1)
	s_or_b32 exec_lo, exec_lo, s3
	v_cmp_eq_u32_e32 vcc_lo, 0, v23
	s_barrier
	buffer_gl0_inv
	s_and_b32 exec_lo, exec_lo, vcc_lo
	s_cbranch_execz .LBB275_1404
; %bb.1403:
	s_clause 0x1
	scratch_load_b32 v21, off, s32 offset:628
	scratch_load_b32 v22, off, s32 offset:624
	s_mul_i32 s0, s2, 0x50
	s_mul_i32 s2, s4, s1
	;; [unrolled: 1-line block ×3, first 2 shown]
	s_ashr_i32 s3, s2, 31
	s_ashr_i32 s5, s4, 31
	;; [unrolled: 1-line block ×3, first 2 shown]
	s_lshl_b64 s[2:3], s[2:3], 2
	s_lshl_b64 s[4:5], s[4:5], 2
	;; [unrolled: 1-line block ×3, first 2 shown]
	s_add_u32 s2, s4, s2
	s_addc_u32 s3, s5, s3
	s_add_u32 s0, s2, s0
	s_addc_u32 s1, s3, s1
	v_lshrrev_b32_e32 v20, 1, v24
	s_waitcnt vmcnt(1)
	v_add_co_u32 v21, vcc_lo, s0, v21
	s_waitcnt vmcnt(0)
	v_add_co_ci_u32_e32 v22, vcc_lo, s1, v22, vcc_lo
	s_delay_alu instid0(VALU_DEP_2) | instskip(NEXT) | instid1(VALU_DEP_2)
	v_add_co_u32 v20, vcc_lo, v21, v20
	v_add_co_ci_u32_e32 v21, vcc_lo, 0, v22, vcc_lo
	s_clause 0x13
	flat_store_b32 v[20:21], v0
	flat_store_b32 v[20:21], v1 offset:16
	flat_store_b32 v[20:21], v2 offset:32
	;; [unrolled: 1-line block ×19, first 2 shown]
.LBB275_1404:
	s_or_b32 exec_lo, exec_lo, s16
	s_clause 0x1f
	scratch_load_b32 v191, off, s32
	scratch_load_b32 v190, off, s32 offset:4
	scratch_load_b32 v189, off, s32 offset:8
	;; [unrolled: 1-line block ×31, first 2 shown]
	s_clause 0x1f
	scratch_load_b32 v127, off, s32 offset:128
	scratch_load_b32 v126, off, s32 offset:132
	;; [unrolled: 1-line block ×32, first 2 shown]
	s_clause 0xf
	scratch_load_b32 v63, off, s32 offset:256
	scratch_load_b32 v62, off, s32 offset:260
	;; [unrolled: 1-line block ×16, first 2 shown]
	s_waitcnt vmcnt(0) lgkmcnt(0)
	s_setpc_b64 s[30:31]
.LBB275_1405:
	v_lshl_add_u32 v23, v20, 2, v21
	ds_load_b32 v23, v23
	s_waitcnt lgkmcnt(0)
	v_add_f32_e32 v0, v23, v0
	s_or_b32 exec_lo, exec_lo, s0
	s_and_saveexec_b32 s0, vcc_lo
	s_cbranch_execz .LBB275_1357
.LBB275_1406:
	v_lshl_add_u32 v23, v20, 2, v21
	ds_load_b32 v23, v23 offset:16
	s_waitcnt lgkmcnt(0)
	v_add_f32_e32 v1, v23, v1
	s_or_b32 exec_lo, exec_lo, s0
	s_and_saveexec_b32 s0, vcc_lo
	s_cbranch_execz .LBB275_1358
.LBB275_1407:
	v_lshl_add_u32 v23, v20, 2, v21
	ds_load_b32 v23, v23 offset:32
	s_waitcnt lgkmcnt(0)
	v_add_f32_e32 v2, v23, v2
	s_or_b32 exec_lo, exec_lo, s0
	s_and_saveexec_b32 s0, vcc_lo
	s_cbranch_execz .LBB275_1359
.LBB275_1408:
	v_lshl_add_u32 v23, v20, 2, v21
	ds_load_b32 v23, v23 offset:48
	s_waitcnt lgkmcnt(0)
	v_add_f32_e32 v3, v23, v3
	s_or_b32 exec_lo, exec_lo, s0
	s_and_saveexec_b32 s0, vcc_lo
	s_cbranch_execz .LBB275_1360
.LBB275_1409:
	v_lshl_add_u32 v23, v20, 2, v21
	ds_load_b32 v23, v23 offset:64
	s_waitcnt lgkmcnt(0)
	v_add_f32_e32 v4, v23, v4
	s_or_b32 exec_lo, exec_lo, s0
	s_and_saveexec_b32 s0, vcc_lo
	s_cbranch_execz .LBB275_1361
.LBB275_1410:
	v_lshl_add_u32 v23, v20, 2, v21
	ds_load_b32 v23, v23 offset:80
	s_waitcnt lgkmcnt(0)
	v_add_f32_e32 v5, v23, v5
	s_or_b32 exec_lo, exec_lo, s0
	s_and_saveexec_b32 s0, vcc_lo
	s_cbranch_execz .LBB275_1362
.LBB275_1411:
	v_lshl_add_u32 v23, v20, 2, v21
	ds_load_b32 v23, v23 offset:96
	s_waitcnt lgkmcnt(0)
	v_add_f32_e32 v6, v23, v6
	s_or_b32 exec_lo, exec_lo, s0
	s_and_saveexec_b32 s0, vcc_lo
	s_cbranch_execz .LBB275_1363
.LBB275_1412:
	v_lshl_add_u32 v23, v20, 2, v21
	ds_load_b32 v23, v23 offset:112
	s_waitcnt lgkmcnt(0)
	v_add_f32_e32 v7, v23, v7
	s_or_b32 exec_lo, exec_lo, s0
	s_and_saveexec_b32 s0, vcc_lo
	s_cbranch_execz .LBB275_1364
.LBB275_1413:
	v_lshl_add_u32 v23, v20, 2, v21
	ds_load_b32 v23, v23 offset:128
	s_waitcnt lgkmcnt(0)
	v_add_f32_e32 v8, v23, v8
	s_or_b32 exec_lo, exec_lo, s0
	s_and_saveexec_b32 s0, vcc_lo
	s_cbranch_execz .LBB275_1365
.LBB275_1414:
	v_lshl_add_u32 v23, v20, 2, v21
	ds_load_b32 v23, v23 offset:144
	s_waitcnt lgkmcnt(0)
	v_add_f32_e32 v9, v23, v9
	s_or_b32 exec_lo, exec_lo, s0
	s_and_saveexec_b32 s0, vcc_lo
	s_cbranch_execz .LBB275_1366
.LBB275_1415:
	v_lshl_add_u32 v23, v20, 2, v21
	ds_load_b32 v23, v23 offset:160
	s_waitcnt lgkmcnt(0)
	v_add_f32_e32 v10, v23, v10
	s_or_b32 exec_lo, exec_lo, s0
	s_and_saveexec_b32 s0, vcc_lo
	s_cbranch_execz .LBB275_1367
.LBB275_1416:
	v_lshl_add_u32 v23, v20, 2, v21
	ds_load_b32 v23, v23 offset:176
	s_waitcnt lgkmcnt(0)
	v_add_f32_e32 v11, v23, v11
	s_or_b32 exec_lo, exec_lo, s0
	s_and_saveexec_b32 s0, vcc_lo
	s_cbranch_execz .LBB275_1368
.LBB275_1417:
	v_lshl_add_u32 v23, v20, 2, v21
	ds_load_b32 v23, v23 offset:192
	s_waitcnt lgkmcnt(0)
	v_add_f32_e32 v12, v23, v12
	s_or_b32 exec_lo, exec_lo, s0
	s_and_saveexec_b32 s0, vcc_lo
	s_cbranch_execz .LBB275_1369
.LBB275_1418:
	v_lshl_add_u32 v23, v20, 2, v21
	ds_load_b32 v23, v23 offset:208
	s_waitcnt lgkmcnt(0)
	v_add_f32_e32 v13, v23, v13
	s_or_b32 exec_lo, exec_lo, s0
	s_and_saveexec_b32 s0, vcc_lo
	s_cbranch_execz .LBB275_1370
.LBB275_1419:
	v_lshl_add_u32 v23, v20, 2, v21
	ds_load_b32 v23, v23 offset:224
	s_waitcnt lgkmcnt(0)
	v_add_f32_e32 v14, v23, v14
	s_or_b32 exec_lo, exec_lo, s0
	s_and_saveexec_b32 s0, vcc_lo
	s_cbranch_execz .LBB275_1371
.LBB275_1420:
	v_lshl_add_u32 v23, v20, 2, v21
	ds_load_b32 v23, v23 offset:240
	s_waitcnt lgkmcnt(0)
	v_add_f32_e32 v15, v23, v15
	s_or_b32 exec_lo, exec_lo, s0
	s_and_saveexec_b32 s0, vcc_lo
	s_cbranch_execz .LBB275_1372
.LBB275_1421:
	v_lshl_add_u32 v23, v20, 2, v21
	ds_load_b32 v23, v23 offset:256
	s_waitcnt lgkmcnt(0)
	v_add_f32_e32 v16, v23, v16
	s_or_b32 exec_lo, exec_lo, s0
	s_and_saveexec_b32 s0, vcc_lo
	s_cbranch_execz .LBB275_1373
.LBB275_1422:
	v_lshl_add_u32 v23, v20, 2, v21
	ds_load_b32 v23, v23 offset:272
	s_waitcnt lgkmcnt(0)
	v_add_f32_e32 v17, v23, v17
	s_or_b32 exec_lo, exec_lo, s0
	s_and_saveexec_b32 s0, vcc_lo
	s_cbranch_execz .LBB275_1374
.LBB275_1423:
	v_lshl_add_u32 v23, v20, 2, v21
	ds_load_b32 v23, v23 offset:288
	s_waitcnt lgkmcnt(0)
	v_add_f32_e32 v18, v23, v18
	s_or_b32 exec_lo, exec_lo, s0
	s_and_saveexec_b32 s0, vcc_lo
	s_cbranch_execnz .LBB275_1375
	s_branch .LBB275_1376
.LBB275_1424:
	ds_load_b32 v21, v20
	s_waitcnt lgkmcnt(0)
	v_add_f32_e32 v0, v21, v0
	s_or_b32 exec_lo, exec_lo, s0
	s_and_saveexec_b32 s0, vcc_lo
	s_cbranch_execz .LBB275_1382
.LBB275_1425:
	ds_load_b32 v21, v20 offset:16
	s_waitcnt lgkmcnt(0)
	v_add_f32_e32 v1, v21, v1
	s_or_b32 exec_lo, exec_lo, s0
	s_and_saveexec_b32 s0, vcc_lo
	s_cbranch_execz .LBB275_1383
.LBB275_1426:
	ds_load_b32 v21, v20 offset:32
	s_waitcnt lgkmcnt(0)
	v_add_f32_e32 v2, v21, v2
	s_or_b32 exec_lo, exec_lo, s0
	s_and_saveexec_b32 s0, vcc_lo
	s_cbranch_execz .LBB275_1384
.LBB275_1427:
	ds_load_b32 v21, v20 offset:48
	s_waitcnt lgkmcnt(0)
	v_add_f32_e32 v3, v21, v3
	s_or_b32 exec_lo, exec_lo, s0
	s_and_saveexec_b32 s0, vcc_lo
	s_cbranch_execz .LBB275_1385
.LBB275_1428:
	ds_load_b32 v21, v20 offset:64
	s_waitcnt lgkmcnt(0)
	v_add_f32_e32 v4, v21, v4
	s_or_b32 exec_lo, exec_lo, s0
	s_and_saveexec_b32 s0, vcc_lo
	s_cbranch_execz .LBB275_1386
.LBB275_1429:
	ds_load_b32 v21, v20 offset:80
	s_waitcnt lgkmcnt(0)
	v_add_f32_e32 v5, v21, v5
	s_or_b32 exec_lo, exec_lo, s0
	s_and_saveexec_b32 s0, vcc_lo
	s_cbranch_execz .LBB275_1387
.LBB275_1430:
	ds_load_b32 v21, v20 offset:96
	s_waitcnt lgkmcnt(0)
	v_add_f32_e32 v6, v21, v6
	s_or_b32 exec_lo, exec_lo, s0
	s_and_saveexec_b32 s0, vcc_lo
	s_cbranch_execz .LBB275_1388
.LBB275_1431:
	ds_load_b32 v21, v20 offset:112
	s_waitcnt lgkmcnt(0)
	v_add_f32_e32 v7, v21, v7
	s_or_b32 exec_lo, exec_lo, s0
	s_and_saveexec_b32 s0, vcc_lo
	s_cbranch_execz .LBB275_1389
.LBB275_1432:
	ds_load_b32 v21, v20 offset:128
	s_waitcnt lgkmcnt(0)
	v_add_f32_e32 v8, v21, v8
	s_or_b32 exec_lo, exec_lo, s0
	s_and_saveexec_b32 s0, vcc_lo
	s_cbranch_execz .LBB275_1390
.LBB275_1433:
	ds_load_b32 v21, v20 offset:144
	s_waitcnt lgkmcnt(0)
	v_add_f32_e32 v9, v21, v9
	s_or_b32 exec_lo, exec_lo, s0
	s_and_saveexec_b32 s0, vcc_lo
	s_cbranch_execz .LBB275_1391
.LBB275_1434:
	ds_load_b32 v21, v20 offset:160
	s_waitcnt lgkmcnt(0)
	v_add_f32_e32 v10, v21, v10
	s_or_b32 exec_lo, exec_lo, s0
	s_and_saveexec_b32 s0, vcc_lo
	s_cbranch_execz .LBB275_1392
.LBB275_1435:
	ds_load_b32 v21, v20 offset:176
	s_waitcnt lgkmcnt(0)
	v_add_f32_e32 v11, v21, v11
	s_or_b32 exec_lo, exec_lo, s0
	s_and_saveexec_b32 s0, vcc_lo
	s_cbranch_execz .LBB275_1393
.LBB275_1436:
	ds_load_b32 v21, v20 offset:192
	s_waitcnt lgkmcnt(0)
	v_add_f32_e32 v12, v21, v12
	s_or_b32 exec_lo, exec_lo, s0
	s_and_saveexec_b32 s0, vcc_lo
	s_cbranch_execz .LBB275_1394
.LBB275_1437:
	ds_load_b32 v21, v20 offset:208
	s_waitcnt lgkmcnt(0)
	v_add_f32_e32 v13, v21, v13
	s_or_b32 exec_lo, exec_lo, s0
	s_and_saveexec_b32 s0, vcc_lo
	s_cbranch_execz .LBB275_1395
.LBB275_1438:
	ds_load_b32 v21, v20 offset:224
	s_waitcnt lgkmcnt(0)
	v_add_f32_e32 v14, v21, v14
	s_or_b32 exec_lo, exec_lo, s0
	s_and_saveexec_b32 s0, vcc_lo
	s_cbranch_execz .LBB275_1396
.LBB275_1439:
	ds_load_b32 v21, v20 offset:240
	s_waitcnt lgkmcnt(0)
	v_add_f32_e32 v15, v21, v15
	s_or_b32 exec_lo, exec_lo, s0
	s_and_saveexec_b32 s0, vcc_lo
	s_cbranch_execz .LBB275_1397
.LBB275_1440:
	ds_load_b32 v21, v20 offset:256
	s_waitcnt lgkmcnt(0)
	v_add_f32_e32 v16, v21, v16
	s_or_b32 exec_lo, exec_lo, s0
	s_and_saveexec_b32 s0, vcc_lo
	s_cbranch_execz .LBB275_1398
.LBB275_1441:
	ds_load_b32 v21, v20 offset:272
	s_waitcnt lgkmcnt(0)
	v_add_f32_e32 v17, v21, v17
	s_or_b32 exec_lo, exec_lo, s0
	s_and_saveexec_b32 s0, vcc_lo
	s_cbranch_execz .LBB275_1399
.LBB275_1442:
	ds_load_b32 v21, v20 offset:288
	s_waitcnt lgkmcnt(0)
	v_add_f32_e32 v18, v21, v18
	s_or_b32 exec_lo, exec_lo, s0
	s_and_saveexec_b32 s0, vcc_lo
	s_cbranch_execnz .LBB275_1400
	s_branch .LBB275_1401
.Lfunc_end275:
	.size	_ZN4vllm22paged_attention_kernelIfhLi80ELi32ELi128ELNS_18Fp8KVCacheDataTypeE1ELb0ELi512EEEvPfS2_PT_PKS3_PKT0_S9_ifPKiSB_iPKfiiiSD_SD_iiiii, .Lfunc_end275-_ZN4vllm22paged_attention_kernelIfhLi80ELi32ELi128ELNS_18Fp8KVCacheDataTypeE1ELb0ELi512EEEvPfS2_PT_PKS3_PKT0_S9_ifPKiSB_iPKfiiiSD_SD_iiiii
                                        ; -- End function
	.section	.AMDGPU.csdata,"",@progbits
; Function info:
; codeLenInByte = 49404
; NumSgprs: 35
; NumVgprs: 192
; ScratchSize: 704
; MemoryBound: 0
	.section	.text._ZN4vllm25paged_attention_v2_kernelIfhLi80ELi32ELi128ELNS_18Fp8KVCacheDataTypeE1ELb0ELi512EEEvPfS2_PT_PKS3_PKT0_S9_ifPKiSB_iPKfiiiSD_SD_iiiii,"axG",@progbits,_ZN4vllm25paged_attention_v2_kernelIfhLi80ELi32ELi128ELNS_18Fp8KVCacheDataTypeE1ELb0ELi512EEEvPfS2_PT_PKS3_PKT0_S9_ifPKiSB_iPKfiiiSD_SD_iiiii,comdat
	.protected	_ZN4vllm25paged_attention_v2_kernelIfhLi80ELi32ELi128ELNS_18Fp8KVCacheDataTypeE1ELb0ELi512EEEvPfS2_PT_PKS3_PKT0_S9_ifPKiSB_iPKfiiiSD_SD_iiiii ; -- Begin function _ZN4vllm25paged_attention_v2_kernelIfhLi80ELi32ELi128ELNS_18Fp8KVCacheDataTypeE1ELb0ELi512EEEvPfS2_PT_PKS3_PKT0_S9_ifPKiSB_iPKfiiiSD_SD_iiiii
	.globl	_ZN4vllm25paged_attention_v2_kernelIfhLi80ELi32ELi128ELNS_18Fp8KVCacheDataTypeE1ELb0ELi512EEEvPfS2_PT_PKS3_PKT0_S9_ifPKiSB_iPKfiiiSD_SD_iiiii
	.p2align	8
	.type	_ZN4vllm25paged_attention_v2_kernelIfhLi80ELi32ELi128ELNS_18Fp8KVCacheDataTypeE1ELb0ELi512EEEvPfS2_PT_PKS3_PKT0_S9_ifPKiSB_iPKfiiiSD_SD_iiiii,@function
_ZN4vllm25paged_attention_v2_kernelIfhLi80ELi32ELi128ELNS_18Fp8KVCacheDataTypeE1ELb0ELi512EEEvPfS2_PT_PKS3_PKT0_S9_ifPKiSB_iPKfiiiSD_SD_iiiii: ; @_ZN4vllm25paged_attention_v2_kernelIfhLi80ELi32ELi128ELNS_18Fp8KVCacheDataTypeE1ELb0ELi512EEEvPfS2_PT_PKS3_PKT0_S9_ifPKiSB_iPKfiiiSD_SD_iiiii
; %bb.0:
	s_clause 0x5
	s_load_b256 s[24:31], s[0:1], 0x0
	s_load_b256 s[16:23], s[0:1], 0x20
	s_load_b64 s[2:3], s[0:1], 0x40
	s_load_b64 s[4:5], s[0:1], 0x50
	s_load_b32 s6, s[0:1], 0x48
	s_load_b256 s[36:43], s[0:1], 0x58
	v_mov_b32_e32 v31, v0
	s_add_u32 s8, s0, 0x90
	s_mov_b32 s12, s13
	s_addc_u32 s9, s1, 0
	s_mov_b32 s13, s14
	s_mov_b32 s14, s15
	s_movk_i32 s15, 0x4f
	s_mov_b32 s32, 0
	s_getpc_b64 s[0:1]
	s_add_u32 s0, s0, _ZN4vllm22paged_attention_kernelIfhLi80ELi32ELi128ELNS_18Fp8KVCacheDataTypeE1ELb0ELi512EEEvPfS2_PT_PKS3_PKT0_S9_ifPKiSB_iPKfiiiSD_SD_iiiii@rel32@lo+4
	s_addc_u32 s1, s1, _ZN4vllm22paged_attention_kernelIfhLi80ELi32ELi128ELNS_18Fp8KVCacheDataTypeE1ELb0ELi512EEEvPfS2_PT_PKS3_PKT0_S9_ifPKiSB_iPKfiiiSD_SD_iiiii@rel32@hi+12
	s_waitcnt lgkmcnt(0)
	v_dual_mov_b32 v0, s24 :: v_dual_mov_b32 v1, s25
	v_dual_mov_b32 v2, s26 :: v_dual_mov_b32 v3, s27
	;; [unrolled: 1-line block ×14, first 2 shown]
	s_swappc_b64 s[30:31], s[0:1]
	s_endpgm
	.section	.rodata,"a",@progbits
	.p2align	6, 0x0
	.amdhsa_kernel _ZN4vllm25paged_attention_v2_kernelIfhLi80ELi32ELi128ELNS_18Fp8KVCacheDataTypeE1ELb0ELi512EEEvPfS2_PT_PKS3_PKT0_S9_ifPKiSB_iPKfiiiSD_SD_iiiii
		.amdhsa_group_segment_fixed_size 352
		.amdhsa_private_segment_fixed_size 704
		.amdhsa_kernarg_size 400
		.amdhsa_user_sgpr_count 13
		.amdhsa_user_sgpr_dispatch_ptr 0
		.amdhsa_user_sgpr_queue_ptr 0
		.amdhsa_user_sgpr_kernarg_segment_ptr 1
		.amdhsa_user_sgpr_dispatch_id 0
		.amdhsa_user_sgpr_private_segment_size 0
		.amdhsa_wavefront_size32 1
		.amdhsa_uses_dynamic_stack 0
		.amdhsa_enable_private_segment 1
		.amdhsa_system_sgpr_workgroup_id_x 1
		.amdhsa_system_sgpr_workgroup_id_y 1
		.amdhsa_system_sgpr_workgroup_id_z 1
		.amdhsa_system_sgpr_workgroup_info 0
		.amdhsa_system_vgpr_workitem_id 0
		.amdhsa_next_free_vgpr 192
		.amdhsa_next_free_sgpr 44
		.amdhsa_reserve_vcc 1
		.amdhsa_float_round_mode_32 0
		.amdhsa_float_round_mode_16_64 0
		.amdhsa_float_denorm_mode_32 3
		.amdhsa_float_denorm_mode_16_64 3
		.amdhsa_dx10_clamp 1
		.amdhsa_ieee_mode 1
		.amdhsa_fp16_overflow 0
		.amdhsa_workgroup_processor_mode 1
		.amdhsa_memory_ordered 1
		.amdhsa_forward_progress 0
		.amdhsa_shared_vgpr_count 0
		.amdhsa_exception_fp_ieee_invalid_op 0
		.amdhsa_exception_fp_denorm_src 0
		.amdhsa_exception_fp_ieee_div_zero 0
		.amdhsa_exception_fp_ieee_overflow 0
		.amdhsa_exception_fp_ieee_underflow 0
		.amdhsa_exception_fp_ieee_inexact 0
		.amdhsa_exception_int_div_zero 0
	.end_amdhsa_kernel
	.section	.text._ZN4vllm25paged_attention_v2_kernelIfhLi80ELi32ELi128ELNS_18Fp8KVCacheDataTypeE1ELb0ELi512EEEvPfS2_PT_PKS3_PKT0_S9_ifPKiSB_iPKfiiiSD_SD_iiiii,"axG",@progbits,_ZN4vllm25paged_attention_v2_kernelIfhLi80ELi32ELi128ELNS_18Fp8KVCacheDataTypeE1ELb0ELi512EEEvPfS2_PT_PKS3_PKT0_S9_ifPKiSB_iPKfiiiSD_SD_iiiii,comdat
.Lfunc_end276:
	.size	_ZN4vllm25paged_attention_v2_kernelIfhLi80ELi32ELi128ELNS_18Fp8KVCacheDataTypeE1ELb0ELi512EEEvPfS2_PT_PKS3_PKT0_S9_ifPKiSB_iPKfiiiSD_SD_iiiii, .Lfunc_end276-_ZN4vllm25paged_attention_v2_kernelIfhLi80ELi32ELi128ELNS_18Fp8KVCacheDataTypeE1ELb0ELi512EEEvPfS2_PT_PKS3_PKT0_S9_ifPKiSB_iPKfiiiSD_SD_iiiii
                                        ; -- End function
	.section	.AMDGPU.csdata,"",@progbits
; Kernel info:
; codeLenInByte = 232
; NumSgprs: 46
; NumVgprs: 192
; ScratchSize: 704
; MemoryBound: 0
; FloatMode: 240
; IeeeMode: 1
; LDSByteSize: 352 bytes/workgroup (compile time only)
; SGPRBlocks: 5
; VGPRBlocks: 23
; NumSGPRsForWavesPerEU: 46
; NumVGPRsForWavesPerEU: 192
; Occupancy: 8
; WaveLimiterHint : 1
; COMPUTE_PGM_RSRC2:SCRATCH_EN: 1
; COMPUTE_PGM_RSRC2:USER_SGPR: 13
; COMPUTE_PGM_RSRC2:TRAP_HANDLER: 0
; COMPUTE_PGM_RSRC2:TGID_X_EN: 1
; COMPUTE_PGM_RSRC2:TGID_Y_EN: 1
; COMPUTE_PGM_RSRC2:TGID_Z_EN: 1
; COMPUTE_PGM_RSRC2:TIDIG_COMP_CNT: 0
	.text
	.p2align	2                               ; -- Begin function _ZN4vllm22paged_attention_kernelIfhLi96ELi32ELi128ELNS_18Fp8KVCacheDataTypeE1ELb0ELi512EEEvPfS2_PT_PKS3_PKT0_S9_ifPKiSB_iPKfiiiSD_SD_iiiii
	.type	_ZN4vllm22paged_attention_kernelIfhLi96ELi32ELi128ELNS_18Fp8KVCacheDataTypeE1ELb0ELi512EEEvPfS2_PT_PKS3_PKT0_S9_ifPKiSB_iPKfiiiSD_SD_iiiii,@function
_ZN4vllm22paged_attention_kernelIfhLi96ELi32ELi128ELNS_18Fp8KVCacheDataTypeE1ELb0ELi512EEEvPfS2_PT_PKS3_PKT0_S9_ifPKiSB_iPKfiiiSD_SD_iiiii: ; @_ZN4vllm22paged_attention_kernelIfhLi96ELi32ELi128ELNS_18Fp8KVCacheDataTypeE1ELb0ELi512EEEvPfS2_PT_PKS3_PKT0_S9_ifPKiSB_iPKfiiiSD_SD_iiiii
; %bb.0:
	s_waitcnt vmcnt(0) expcnt(0) lgkmcnt(0)
	s_clause 0x1f
	scratch_store_b32 off, v40, s32 offset:316
	; meta instruction
	scratch_store_b32 off, v41, s32 offset:312
	; meta instruction
	scratch_store_b32 off, v42, s32 offset:308
	; meta instruction
	scratch_store_b32 off, v43, s32 offset:304
	; meta instruction
	scratch_store_b32 off, v44, s32 offset:300
	; meta instruction
	scratch_store_b32 off, v45, s32 offset:296
	; meta instruction
	scratch_store_b32 off, v46, s32 offset:292
	; meta instruction
	scratch_store_b32 off, v47, s32 offset:288
	; meta instruction
	scratch_store_b32 off, v56, s32 offset:284
	; meta instruction
	scratch_store_b32 off, v57, s32 offset:280
	; meta instruction
	scratch_store_b32 off, v58, s32 offset:276
	; meta instruction
	scratch_store_b32 off, v59, s32 offset:272
	; meta instruction
	scratch_store_b32 off, v60, s32 offset:268
	; meta instruction
	scratch_store_b32 off, v61, s32 offset:264
	; meta instruction
	scratch_store_b32 off, v62, s32 offset:260
	; meta instruction
	scratch_store_b32 off, v63, s32 offset:256
	; meta instruction
	scratch_store_b32 off, v72, s32 offset:252
	; meta instruction
	scratch_store_b32 off, v73, s32 offset:248
	; meta instruction
	scratch_store_b32 off, v74, s32 offset:244
	; meta instruction
	scratch_store_b32 off, v75, s32 offset:240
	; meta instruction
	scratch_store_b32 off, v76, s32 offset:236
	; meta instruction
	scratch_store_b32 off, v77, s32 offset:232
	; meta instruction
	scratch_store_b32 off, v78, s32 offset:228
	; meta instruction
	scratch_store_b32 off, v79, s32 offset:224
	; meta instruction
	scratch_store_b32 off, v88, s32 offset:220
	; meta instruction
	scratch_store_b32 off, v89, s32 offset:216
	; meta instruction
	scratch_store_b32 off, v90, s32 offset:212
	; meta instruction
	scratch_store_b32 off, v91, s32 offset:208
	; meta instruction
	scratch_store_b32 off, v92, s32 offset:204
	; meta instruction
	scratch_store_b32 off, v93, s32 offset:200
	; meta instruction
	scratch_store_b32 off, v94, s32 offset:196
	; meta instruction
	scratch_store_b32 off, v95, s32 offset:192
	s_clause 0x1f
	scratch_store_b32 off, v104, s32 offset:188
	; meta instruction
	scratch_store_b32 off, v105, s32 offset:184
	; meta instruction
	;; [unrolled: 2-line block ×31, first 2 shown]
	scratch_store_b32 off, v159, s32 offset:64
	s_clause 0xf
	scratch_store_b32 off, v168, s32 offset:60
	; meta instruction
	scratch_store_b32 off, v169, s32 offset:56
	; meta instruction
	;; [unrolled: 2-line block ×15, first 2 shown]
	scratch_store_b32 off, v191, s32
	s_mov_b32 s10, s13
	s_ashr_i32 s11, s13, 31
	s_clause 0x3
	scratch_store_b64 off, v[24:25], s32 offset:392
	scratch_store_b32 off, v13, s32 offset:400
	scratch_store_b32 off, v5, s32 offset:812
	;; [unrolled: 1-line block ×3, first 2 shown]
	s_lshl_b64 s[0:1], s[10:11], 2
	v_dual_mov_b32 v13, v1 :: v_dual_mov_b32 v24, v0
	v_add_co_u32 v0, vcc_lo, v16, s0
	v_add_co_ci_u32_e32 v1, vcc_lo, s1, v17, vcc_lo
	v_dual_mov_b32 v25, v3 :: v_dual_mov_b32 v28, v2
	s_lshl_b32 s11, s14, 9
	flat_load_b32 v88, v[0:1]
	s_mov_b32 s16, exec_lo
	s_waitcnt vmcnt(0) lgkmcnt(0)
	v_cmpx_lt_i32_e64 s11, v88
	s_cbranch_execz .LBB277_1676
; %bb.1:
	v_sub_nc_u32_e32 v0, 0, v12
	s_clause 0x1
	s_load_b32 s0, s[8:9], 0x10
	s_load_b32 s1, s[8:9], 0x0
	s_mov_b32 s6, s15
	v_max_i32_e32 v0, v12, v0
	s_delay_alu instid0(VALU_DEP_1) | instskip(SKIP_1) | instid1(VALU_DEP_2)
	v_cvt_f32_u32_e32 v1, v0
	v_sub_nc_u32_e32 v2, 0, v0
	v_rcp_iflag_f32_e32 v1, v1
	s_waitcnt lgkmcnt(0)
	s_lshr_b32 s0, s0, 16
	s_delay_alu instid0(SALU_CYCLE_1)
	s_cmp_lg_u32 s0, 0
	s_cselect_b32 s0, -1, 0
	s_waitcnt_depctr 0xfff
	v_mul_f32_e32 v1, 0x4f7ffffe, v1
	s_cmp_lg_u32 s0, 0
	s_addc_u32 s15, s1, 0
	s_mov_b32 s1, exec_lo
	s_delay_alu instid0(VALU_DEP_1) | instskip(SKIP_1) | instid1(VALU_DEP_1)
	v_cvt_u32_f32_e32 v1, v1
	s_abs_i32 s0, s15
	v_mul_lo_u32 v2, v2, v1
	s_delay_alu instid0(VALU_DEP_1) | instskip(NEXT) | instid1(VALU_DEP_1)
	v_mul_hi_u32 v2, v1, v2
	v_add_nc_u32_e32 v1, v1, v2
	s_delay_alu instid0(VALU_DEP_1) | instskip(NEXT) | instid1(VALU_DEP_1)
	v_mul_hi_u32 v1, s0, v1
	v_mul_lo_u32 v2, v1, v0
	v_add_nc_u32_e32 v3, 1, v1
	s_delay_alu instid0(VALU_DEP_2) | instskip(SKIP_1) | instid1(VALU_DEP_1)
	v_sub_nc_u32_e32 v2, s0, v2
	s_abs_i32 s0, s12
	v_sub_nc_u32_e32 v4, v2, v0
	v_cmp_ge_u32_e32 vcc_lo, v2, v0
	s_delay_alu instid0(VALU_DEP_2) | instskip(SKIP_1) | instid1(VALU_DEP_2)
	v_dual_cndmask_b32 v1, v1, v3 :: v_dual_cndmask_b32 v2, v2, v4
	v_xor_b32_e32 v3, s15, v12
	v_add_nc_u32_e32 v4, 1, v1
	s_delay_alu instid0(VALU_DEP_3) | instskip(NEXT) | instid1(VALU_DEP_3)
	v_cmp_ge_u32_e32 vcc_lo, v2, v0
	v_ashrrev_i32_e32 v3, 31, v3
	s_delay_alu instid0(VALU_DEP_3) | instskip(NEXT) | instid1(VALU_DEP_1)
	v_cndmask_b32_e32 v0, v1, v4, vcc_lo
	v_xor_b32_e32 v0, v0, v3
	s_delay_alu instid0(VALU_DEP_1) | instskip(NEXT) | instid1(VALU_DEP_1)
	v_sub_nc_u32_e32 v3, v0, v3
	v_sub_nc_u32_e32 v0, 0, v3
	s_delay_alu instid0(VALU_DEP_1) | instskip(NEXT) | instid1(VALU_DEP_1)
	v_max_i32_e32 v2, v3, v0
	v_cvt_f32_u32_e32 v0, v2
	v_sub_nc_u32_e32 v1, 0, v2
	s_delay_alu instid0(VALU_DEP_2) | instskip(SKIP_2) | instid1(VALU_DEP_1)
	v_rcp_iflag_f32_e32 v0, v0
	s_waitcnt_depctr 0xfff
	v_mul_f32_e32 v0, 0x4f7ffffe, v0
	v_cvt_u32_f32_e32 v0, v0
	s_delay_alu instid0(VALU_DEP_1) | instskip(NEXT) | instid1(VALU_DEP_1)
	v_mul_lo_u32 v1, v1, v0
	v_mul_hi_u32 v1, v0, v1
	s_delay_alu instid0(VALU_DEP_1) | instskip(NEXT) | instid1(VALU_DEP_1)
	v_add_nc_u32_e32 v4, v0, v1
	v_mad_u64_u32 v[0:1], null, s0, v4, 0
	v_mov_b32_e32 v0, 0
	scratch_store_b32 off, v0, s32 offset:404 ; 4-byte Folded Spill
	v_cmpx_ne_u64_e32 0, v[19:20]
	s_cbranch_execz .LBB277_3
; %bb.2:
	s_ashr_i32 s13, s12, 31
	s_delay_alu instid0(SALU_CYCLE_1) | instskip(NEXT) | instid1(SALU_CYCLE_1)
	s_lshl_b64 s[2:3], s[12:13], 2
	v_add_co_u32 v4, vcc_lo, v19, s2
	v_add_co_ci_u32_e32 v5, vcc_lo, s3, v20, vcc_lo
	flat_load_b32 v0, v[4:5]
	s_waitcnt vmcnt(0) lgkmcnt(0)
	scratch_store_b32 off, v0, s32 offset:404 ; 4-byte Folded Spill
.LBB277_3:
	s_or_b32 exec_lo, exec_lo, s1
	v_and_b32_e32 v111, 0x3ff, v31
	v_ashrrev_i32_e32 v0, 31, v3
	s_ashr_i32 s1, s12, 31
	s_mul_i32 s4, s12, 0x60
	s_mov_b32 s2, exec_lo
	v_cmpx_gt_u32_e32 24, v111
	s_cbranch_execz .LBB277_5
; %bb.4:
	v_mul_lo_u32 v3, s10, v21
	s_ashr_i32 s5, s4, 31
	v_lshlrev_b32_e32 v12, 4, v111
	s_lshl_b64 s[18:19], s[4:5], 2
	s_delay_alu instid0(VALU_DEP_2) | instskip(NEXT) | instid1(VALU_DEP_1)
	v_ashrrev_i32_e32 v4, 31, v3
	v_lshlrev_b64 v[3:4], 2, v[3:4]
	s_delay_alu instid0(VALU_DEP_1) | instskip(NEXT) | instid1(VALU_DEP_2)
	v_add_co_u32 v3, vcc_lo, v6, v3
	v_add_co_ci_u32_e32 v4, vcc_lo, v7, v4, vcc_lo
	s_delay_alu instid0(VALU_DEP_2) | instskip(NEXT) | instid1(VALU_DEP_2)
	v_add_co_u32 v3, vcc_lo, v3, s18
	v_add_co_ci_u32_e32 v4, vcc_lo, s19, v4, vcc_lo
	s_delay_alu instid0(VALU_DEP_2) | instskip(NEXT) | instid1(VALU_DEP_2)
	v_add_co_u32 v3, vcc_lo, v3, v12
	v_add_co_ci_u32_e32 v4, vcc_lo, 0, v4, vcc_lo
	flat_load_b128 v[3:6], v[3:4]
	s_waitcnt vmcnt(0) lgkmcnt(0)
	ds_store_b128 v12, v[3:6]
.LBB277_5:
	s_or_b32 exec_lo, exec_lo, s2
	v_mul_lo_u32 v3, v1, v2
	v_add_nc_u32_e32 v5, 31, v88
	v_xor_b32_e32 v7, s1, v0
	s_lshl_b32 s13, s14, 4
	s_clause 0x1
	s_load_b32 s17, s[8:9], 0x14
	s_load_b32 s5, s[8:9], 0x8
	v_mul_lo_u32 v0, s10, v18
	v_mov_b32_e32 v89, 0xff7fffff
	v_sub_nc_u32_e32 v3, s0, v3
	s_add_i32 s0, s13, 16
	s_delay_alu instid0(VALU_DEP_1) | instskip(SKIP_1) | instid1(VALU_DEP_2)
	v_sub_nc_u32_e32 v6, v3, v2
	v_cmp_ge_u32_e32 vcc_lo, v3, v2
	v_dual_cndmask_b32 v3, v3, v6 :: v_dual_add_nc_u32 v4, 1, v1
	s_delay_alu instid0(VALU_DEP_1) | instskip(SKIP_1) | instid1(VALU_DEP_3)
	v_cndmask_b32_e32 v1, v1, v4, vcc_lo
	v_ashrrev_i32_e32 v4, 31, v5
	v_cmp_ge_u32_e32 vcc_lo, v3, v2
	s_delay_alu instid0(VALU_DEP_3) | instskip(NEXT) | instid1(VALU_DEP_3)
	v_add_nc_u32_e32 v6, 1, v1
	v_lshrrev_b32_e32 v4, 27, v4
	s_delay_alu instid0(VALU_DEP_1) | instskip(SKIP_1) | instid1(VALU_DEP_4)
	v_add_nc_u32_e32 v2, v5, v4
	v_lshrrev_b32_e32 v4, 5, v111
	v_dual_cndmask_b32 v1, v1, v6 :: v_dual_and_b32 v6, 31, v111
	s_delay_alu instid0(VALU_DEP_3) | instskip(NEXT) | instid1(VALU_DEP_3)
	v_ashrrev_i32_e32 v12, 5, v2
	v_add_nc_u32_e32 v2, s13, v4
	s_delay_alu instid0(VALU_DEP_3) | instskip(NEXT) | instid1(VALU_DEP_3)
	v_xor_b32_e32 v1, v1, v7
	v_min_i32_e32 v110, s0, v12
	s_delay_alu instid0(VALU_DEP_2) | instskip(SKIP_1) | instid1(VALU_DEP_3)
	v_sub_nc_u32_e32 v3, v1, v7
	v_ashrrev_i32_e32 v1, 31, v0
	v_cmp_ge_i32_e64 s0, v2, v110
	v_cmp_lt_i32_e32 vcc_lo, v2, v110
	s_delay_alu instid0(VALU_DEP_4) | instskip(NEXT) | instid1(VALU_DEP_4)
	v_mul_lo_u32 v18, v3, v23
	v_lshlrev_b64 v[16:17], 2, v[0:1]
	v_ashrrev_i32_e32 v3, 31, v2
	v_lshlrev_b32_e32 v23, 2, v6
	s_clause 0x1
	scratch_store_b32 off, v4, s32 offset:808
	scratch_store_b64 off, v[2:3], s32 offset:320
	v_ashrrev_i32_e32 v19, 31, v18
	s_waitcnt lgkmcnt(0)
	s_waitcnt_vscnt null, 0x0
	s_barrier
	buffer_gl0_inv
	s_mov_b32 s18, exec_lo
	s_delay_alu instid0(SALU_CYCLE_1)
	s_and_b32 s1, s18, vcc_lo
	scratch_store_b32 off, v6, s32 offset:824 ; 4-byte Folded Spill
	s_mov_b32 exec_lo, s1
	s_cbranch_execz .LBB277_777
; %bb.6:
	v_dual_mov_b32 v47, 0 :: v_dual_lshlrev_b32 v0, 4, v6
	v_add_co_u32 v1, vcc_lo, v8, v18
	v_add_co_ci_u32_e32 v2, vcc_lo, v9, v19, vcc_lo
	s_clause 0x7
	scratch_store_b32 off, v12, s32 offset:876
	scratch_store_b32 off, v28, s32 offset:864
	scratch_store_b32 off, v25, s32 offset:860
	scratch_store_b32 off, v24, s32 offset:856
	scratch_store_b32 off, v13, s32 offset:852
	scratch_store_b32 off, v10, s32 offset:848
	scratch_store_b32 off, v11, s32 offset:844
	scratch_store_b64 off, v[26:27], s32 offset:836
	v_add_co_u32 v0, vcc_lo, v1, v0
	v_add_co_ci_u32_e32 v1, vcc_lo, 0, v2, vcc_lo
	scratch_load_b64 v[4:5], off, s32 offset:320 ; 8-byte Folded Reload
	ds_load_b128 v[7:10], v47 offset:224
	s_ashr_i32 s7, s6, 31
	s_clause 0x1
	scratch_store_b64 off, v[0:1], s32 offset:408
	scratch_store_b32 off, v15, s32 offset:828
	ds_load_b128 v[0:3], v47
	s_getpc_b64 s[2:3]
	s_add_u32 s2, s2, llvm.amdgcn.dynlds.offset.table@rel32@lo+4
	s_addc_u32 s3, s3, llvm.amdgcn.dynlds.offset.table@rel32@hi+12
	s_lshl_b64 s[8:9], s[6:7], 2
	scratch_store_b32 off, v23, s32 offset:888 ; 4-byte Folded Spill
	s_add_u32 s2, s8, s2
	s_addc_u32 s3, s9, s3
	s_mov_b32 s9, 0x7f800001
	s_load_b32 s2, s[2:3], 0x0
	s_clause 0x1
	scratch_store_b32 off, v14, s32 offset:832
	scratch_store_b64 off, v[16:17], s32 offset:868
	v_mov_b32_e32 v89, 0xff7fffff
	s_waitcnt lgkmcnt(0)
	scratch_store_b128 off, v[7:10], s32 offset:640 ; 16-byte Folded Spill
	ds_load_b128 v[7:10], v47 offset:240
	scratch_store_b128 off, v[0:3], s32 offset:416 ; 16-byte Folded Spill
	ds_load_b128 v[0:3], v47 offset:16
	s_waitcnt lgkmcnt(1)
	scratch_store_b128 off, v[7:10], s32 offset:656 ; 16-byte Folded Spill
	ds_load_b128 v[7:10], v47 offset:256
	s_waitcnt lgkmcnt(1)
	;; [unrolled: 3-line block ×17, first 2 shown]
	scratch_store_b128 off, v[7:10], s32 offset:784 ; 16-byte Folded Spill
	s_waitcnt lgkmcnt(0)
	scratch_store_b128 off, v[0:3], s32 offset:560 ; 16-byte Folded Spill
	ds_load_b128 v[0:3], v47 offset:160
	s_waitcnt lgkmcnt(0)
	scratch_store_b128 off, v[0:3], s32 offset:576 ; 16-byte Folded Spill
	ds_load_b128 v[0:3], v47 offset:176
	;; [unrolled: 3-line block ×3, first 2 shown]
	scratch_store_b32 off, v18, s32 offset:880 ; 4-byte Folded Spill
	s_waitcnt lgkmcnt(0)
	scratch_store_b128 off, v[0:3], s32 offset:608 ; 16-byte Folded Spill
	ds_load_b128 v[0:3], v47 offset:208
	scratch_store_b32 off, v19, s32 offset:884 ; 4-byte Folded Spill
	s_waitcnt lgkmcnt(0)
	scratch_store_b128 off, v[0:3], s32 offset:624 ; 16-byte Folded Spill
	scratch_load_b32 v2, off, s32 offset:404 ; 4-byte Folded Reload
	v_lshrrev_b32_e32 v3, 5, v111
	s_clause 0x2
	scratch_store_b32 off, v111, s32 offset:820
	scratch_store_b32 off, v22, s32 offset:800
	;; [unrolled: 1-line block ×3, first 2 shown]
	s_waitcnt vmcnt(1)
	v_lshlrev_b64 v[0:1], 2, v[4:5]
	v_mov_b32_e32 v92, v4
	s_delay_alu instid0(VALU_DEP_2) | instskip(NEXT) | instid1(VALU_DEP_1)
	v_add_co_u32 v0, s1, v16, v0
	v_add_co_ci_u32_e64 v1, s1, v17, v1, s1
	s_delay_alu instid0(VALU_DEP_2) | instskip(NEXT) | instid1(VALU_DEP_1)
	v_add_co_u32 v58, s1, v14, v0
	v_add_co_ci_u32_e64 v59, s1, v15, v1, s1
	s_waitcnt vmcnt(0)
	v_cmp_neq_f32_e32 vcc_lo, 0, v2
	v_lshlrev_b32_e32 v2, 5, v3
	v_lshl_or_b32 v3, v3, 7, v23
	s_delay_alu instid0(VALU_DEP_2) | instskip(NEXT) | instid1(VALU_DEP_2)
	v_add3_u32 v10, s11, v2, v6
	v_add_nc_u32_e32 v13, s2, v3
	s_mov_b32 s2, 0
	s_brev_b32 s3, 1
	s_mov_b32 s7, s2
	s_branch .LBB277_11
.LBB277_7:                              ;   in Loop: Header=BB277_11 Depth=1
	s_or_b32 exec_lo, exec_lo, s21
	v_lshlrev_b32_e32 v25, 24, v107
	v_lshlrev_b32_e32 v46, 20, v46
	v_lshl_add_u32 v24, v24, 23, 0x3c000000
	s_delay_alu instid0(VALU_DEP_3) | instskip(NEXT) | instid1(VALU_DEP_1)
	v_and_b32_e32 v25, 0x80000000, v25
	v_or3_b32 v25, v46, v25, v24
	v_mov_b32_e32 v24, v47
.LBB277_8:                              ;   in Loop: Header=BB277_11 Depth=1
	s_or_b32 exec_lo, exec_lo, s8
.LBB277_9:                              ;   in Loop: Header=BB277_11 Depth=1
	s_delay_alu instid0(SALU_CYCLE_1)
	s_or_b32 exec_lo, exec_lo, s20
.LBB277_10:                             ;   in Loop: Header=BB277_11 Depth=1
	s_delay_alu instid0(SALU_CYCLE_1)
	s_or_b32 exec_lo, exec_lo, s19
	v_or_b32_e32 v129, v129, v131
	v_or_b32_e32 v23, v27, v123
	;; [unrolled: 1-line block ×6, first 2 shown]
	v_mul_f32_e32 v128, v93, v129
	v_or_b32_e32 v129, v133, v135
	v_mul_f32_e32 v135, v93, v23
	v_mul_f32_e32 v23, v93, v26
	;; [unrolled: 1-line block ×4, first 2 shown]
	v_or_b32_e32 v0, v15, v57
	v_or_b32_e32 v1, v14, v56
	;; [unrolled: 1-line block ×5, first 2 shown]
	v_mul_f32_e32 v14, v93, v0
	v_mul_f32_e32 v15, v93, v1
	v_or_b32_e32 v0, v191, v45
	v_or_b32_e32 v1, v190, v44
	v_mul_f32_e32 v16, v93, v17
	v_or_b32_e32 v17, v29, v31
	v_or_b32_e32 v33, v33, v35
	v_mul_f32_e32 v28, v93, v0
	v_mul_f32_e32 v29, v93, v1
	v_or_b32_e32 v0, v12, v5
	v_or_b32_e32 v1, v11, v4
	;; [unrolled: 1-line block ×3, first 2 shown]
	v_mul_f32_e32 v32, v93, v33
	v_or_b32_e32 v33, v37, v39
	v_mul_f32_e32 v12, v93, v0
	v_mul_f32_e32 v30, v93, v1
	v_or_b32_e32 v1, v174, v184
	v_or_b32_e32 v7, v7, v9
	;; [unrolled: 1-line block ×5, first 2 shown]
	v_mul_f32_e32 v37, v93, v1
	v_or_b32_e32 v1, v186, v188
	v_mul_f32_e32 v6, v93, v7
	v_mul_f32_e32 v7, v93, v8
	v_or_b32_e32 v51, v52, v54
	v_or_b32_e32 v65, v65, v67
	v_mul_f32_e32 v38, v93, v1
	v_or_b32_e32 v1, v158, v168
	v_or_b32_e32 v67, v68, v70
	;; [unrolled: 3-line block ×3, first 2 shown]
	v_mul_f32_e32 v52, v93, v1
	v_or_b32_e32 v1, v170, v172
	v_mul_f32_e32 v51, v93, v51
	v_or_b32_e32 v0, v175, v185
	v_or_b32_e32 v50, v48, v50
	v_mul_f32_e32 v48, v93, v49
	v_mul_f32_e32 v54, v93, v1
	v_or_b32_e32 v1, v152, v142
	v_mul_f32_e32 v31, v93, v0
	v_or_b32_e32 v0, v187, v189
	v_or_b32_e32 v49, v53, v55
	;; [unrolled: 1-line block ×3, first 2 shown]
	v_mul_f32_e32 v68, v93, v1
	v_or_b32_e32 v1, v156, v154
	v_mul_f32_e32 v36, v93, v0
	v_or_b32_e32 v0, v159, v169
	v_or_b32_e32 v97, v97, v99
	;; [unrolled: 1-line block ×3, first 2 shown]
	v_mul_f32_e32 v70, v93, v1
	v_or_b32_e32 v1, v136, v126
	v_mul_f32_e32 v39, v93, v0
	v_or_b32_e32 v0, v171, v173
	;; [unrolled: 2-line block ×5, first 2 shown]
	v_or_b32_e32 v82, v80, v82
	v_mul_f32_e32 v67, v93, v67
	v_mul_f32_e32 v86, v93, v1
	scratch_load_b64 v[1:2], off, s32 offset:376 ; 8-byte Folded Reload
	v_mul_f32_e32 v55, v93, v0
	v_or_b32_e32 v0, v157, v155
	v_mul_f32_e32 v80, v93, v81
	v_or_b32_e32 v81, v85, v87
	v_or_b32_e32 v113, v113, v115
	;; [unrolled: 1-line block ×3, first 2 shown]
	v_mul_f32_e32 v69, v93, v0
	v_or_b32_e32 v0, v137, v127
	v_or_b32_e32 v98, v96, v98
	v_mul_f32_e32 v96, v93, v97
	v_or_b32_e32 v97, v101, v103
	v_dual_mul_f32 v83, v93, v83 :: v_dual_add_nc_u32 v92, 4, v92
	v_mul_f32_e32 v71, v93, v0
	v_or_b32_e32 v0, v141, v139
	v_or_b32_e32 v114, v112, v114
	v_mul_f32_e32 v17, v93, v17
	v_or_b32_e32 v145, v145, v147
	v_or_b32_e32 v161, v161, v163
	v_mul_f32_e32 v85, v93, v0
	v_or_b32_e32 v146, v144, v146
	v_or_b32_e32 v147, v148, v150
	v_or_b32_e32 v162, v160, v162
	v_or_b32_e32 v163, v164, v166
	;; [unrolled: 1-line block ×7, first 2 shown]
	v_mul_f32_e32 v19, v93, v19
	v_or_b32_e32 v179, v180, v182
	v_mul_f32_e32 v33, v93, v33
	v_mul_f32_e32 v49, v93, v49
	v_mul_f32_e32 v65, v93, v65
	v_cmp_lt_i32_e64 s1, v10, v88
	v_or_b32_e32 v43, v72, v76
	s_waitcnt vmcnt(0)
	v_or_b32_e32 v1, v120, v1
	v_or_b32_e32 v0, v121, v2
	s_delay_alu instid0(VALU_DEP_2)
	v_mul_f32_e32 v100, v93, v1
	scratch_load_b64 v[1:2], off, s32 offset:384 ; 8-byte Folded Reload
	v_mul_f32_e32 v87, v93, v0
	s_waitcnt vmcnt(0)
	v_or_b32_e32 v1, v124, v1
	v_or_b32_e32 v0, v125, v2
	s_delay_alu instid0(VALU_DEP_2)
	v_mul_f32_e32 v102, v93, v1
	scratch_load_b64 v[1:2], off, s32 offset:360 ; 8-byte Folded Reload
	v_mul_f32_e32 v101, v93, v0
	v_mul_f32_e32 v112, v93, v113
	v_or_b32_e32 v113, v117, v119
	s_waitcnt vmcnt(0)
	v_or_b32_e32 v1, v94, v1
	v_or_b32_e32 v0, v95, v2
	s_delay_alu instid0(VALU_DEP_2)
	v_mul_f32_e32 v116, v93, v1
	scratch_load_b64 v[1:2], off, s32 offset:368 ; 8-byte Folded Reload
	v_mul_f32_e32 v103, v93, v0
	v_mul_f32_e32 v144, v93, v145
	v_or_b32_e32 v145, v149, v151
	scratch_load_b128 v[148:151], off, s32 offset:416 ; 16-byte Folded Reload
	s_waitcnt vmcnt(1)
	v_or_b32_e32 v1, v108, v1
	v_or_b32_e32 v0, v109, v2
	s_delay_alu instid0(VALU_DEP_2)
	v_mul_f32_e32 v118, v93, v1
	scratch_load_b64 v[1:2], off, s32 offset:344 ; 8-byte Folded Reload
	v_mul_f32_e32 v117, v93, v0
	s_waitcnt vmcnt(0)
	v_or_b32_e32 v1, v78, v1
	v_or_b32_e32 v0, v79, v2
	s_delay_alu instid0(VALU_DEP_2)
	v_mul_f32_e32 v5, v93, v1
	scratch_load_b64 v[1:2], off, s32 offset:352 ; 8-byte Folded Reload
	v_mul_f32_e32 v8, v93, v0
	;; [unrolled: 7-line block ×3, first 2 shown]
	v_mul_f32_e32 v160, v93, v161
	v_or_b32_e32 v161, v165, v167
	scratch_load_b128 v[164:167], off, s32 offset:432 ; 16-byte Folded Reload
	v_mul_f32_e32 v42, v93, v42
	v_mul_f32_e32 v178, v93, v178
	s_waitcnt vmcnt(1)
	v_or_b32_e32 v1, v62, v1
	v_or_b32_e32 v0, v63, v2
	s_waitcnt vmcnt(0)
	v_mul_f32_e32 v9, v166, v9
	s_delay_alu instid0(VALU_DEP_3)
	v_mul_f32_e32 v132, v93, v1
	scratch_load_b64 v[1:2], off, s32 offset:336 ; 8-byte Folded Reload
	v_mul_f32_e32 v119, v93, v0
	v_mul_f32_e32 v5, v164, v5
	;; [unrolled: 1-line block ×3, first 2 shown]
	v_dual_mul_f32 v8, v165, v8 :: v_dual_mul_f32 v11, v167, v11
	v_mul_f32_e32 v115, v93, v115
	v_or_b32_e32 v21, v73, v77
	v_fmac_f32_e32 v5, v148, v132
	v_mul_f32_e32 v99, v93, v99
	v_fmac_f32_e32 v8, v149, v119
	s_waitcnt vmcnt(0)
	v_or_b32_e32 v0, v75, v2
	v_or_b32_e32 v1, v74, v1
	;; [unrolled: 1-line block ×3, first 2 shown]
	s_delay_alu instid0(VALU_DEP_3) | instskip(NEXT) | instid1(VALU_DEP_3)
	v_mul_f32_e32 v133, v93, v0
	v_mul_f32_e32 v134, v93, v1
	;; [unrolled: 1-line block ×4, first 2 shown]
	scratch_load_b32 v1, off, s32 offset:404 ; 4-byte Folded Reload
	v_fmac_f32_e32 v11, v151, v133
	v_fmac_f32_e32 v9, v150, v134
	scratch_load_b128 v[148:151], off, s32 offset:448 ; 16-byte Folded Reload
	v_mul_f32_e32 v146, v93, v146
	v_mul_f32_e32 v4, v93, v2
	v_sub_nc_u32_e32 v0, 1, v88
	v_mul_f32_e32 v21, v93, v21
	v_or_b32_e32 v2, v24, v60
	v_or_b32_e32 v177, v181, v183
	s_delay_alu instid0(VALU_DEP_4) | instskip(SKIP_1) | instid1(VALU_DEP_2)
	v_dual_mul_f32 v97, v93, v97 :: v_dual_add_nc_u32 v0, v0, v10
	v_add_nc_u32_e32 v10, 0x80, v10
	v_cvt_f32_i32_e32 v0, v0
	s_waitcnt vmcnt(0)
	v_fmac_f32_e32 v5, v148, v116
	v_fmac_f32_e32 v9, v150, v118
	;; [unrolled: 1-line block ×3, first 2 shown]
	scratch_load_b128 v[116:119], off, s32 offset:464 ; 16-byte Folded Reload
	v_mul_f32_e32 v130, v93, v130
	v_mul_f32_e32 v114, v93, v114
	v_fmac_f32_e32 v8, v149, v103
	v_mul_f32_e32 v113, v93, v113
	s_waitcnt vmcnt(0)
	v_fmac_f32_e32 v5, v116, v100
	v_fmac_f32_e32 v9, v118, v102
	;; [unrolled: 1-line block ×3, first 2 shown]
	scratch_load_b128 v[100:103], off, s32 offset:480 ; 16-byte Folded Reload
	v_mul_f32_e32 v98, v93, v98
	v_fmac_f32_e32 v8, v117, v87
	v_mul_f32_e32 v0, v1, v0
	v_or_b32_e32 v1, v105, v41
	s_delay_alu instid0(VALU_DEP_1) | instskip(SKIP_2) | instid1(VALU_DEP_2)
	v_mul_f32_e32 v3, v93, v1
	v_or_b32_e32 v1, v25, v61
	v_mul_f32_e32 v81, v93, v81
	v_mul_f32_e32 v1, v93, v1
	s_waitcnt vmcnt(0)
	v_fmac_f32_e32 v5, v100, v84
	v_fmac_f32_e32 v9, v102, v86
	v_fmac_f32_e32 v11, v103, v85
	scratch_load_b128 v[84:87], off, s32 offset:496 ; 16-byte Folded Reload
	v_mul_f32_e32 v82, v93, v82
	v_mul_f32_e32 v66, v93, v66
	s_waitcnt vmcnt(0)
	v_dual_fmac_f32 v8, v101, v71 :: v_dual_fmac_f32 v5, v84, v68
	v_fmac_f32_e32 v9, v86, v70
	v_fmac_f32_e32 v11, v87, v69
	scratch_load_b128 v[68:71], off, s32 offset:512 ; 16-byte Folded Reload
	v_mul_f32_e32 v50, v93, v50
	s_waitcnt vmcnt(0)
	v_dual_fmac_f32 v8, v85, v55 :: v_dual_fmac_f32 v5, v68, v52
	v_fmac_f32_e32 v9, v70, v54
	v_fmac_f32_e32 v11, v71, v53
	scratch_load_b128 v[52:55], off, s32 offset:528 ; 16-byte Folded Reload
	v_mul_f32_e32 v34, v93, v34
	v_mul_f32_e32 v18, v93, v18
	s_waitcnt vmcnt(0)
	v_dual_fmac_f32 v8, v69, v39 :: v_dual_fmac_f32 v5, v52, v37
	v_fmac_f32_e32 v9, v54, v38
	v_fmac_f32_e32 v11, v55, v36
	scratch_load_b128 v[36:39], off, s32 offset:544 ; 16-byte Folded Reload
	s_waitcnt vmcnt(0)
	v_dual_fmac_f32 v8, v53, v31 :: v_dual_fmac_f32 v5, v36, v29
	s_delay_alu instid0(VALU_DEP_1)
	v_fmac_f32_e32 v8, v37, v28
	v_fmac_f32_e32 v11, v39, v12
	;; [unrolled: 1-line block ×3, first 2 shown]
	scratch_load_b128 v[28:31], off, s32 offset:560 ; 16-byte Folded Reload
	s_waitcnt vmcnt(0)
	v_dual_fmac_f32 v5, v28, v27 :: v_dual_fmac_f32 v8, v29, v26
	scratch_load_b128 v[24:27], off, s32 offset:576 ; 16-byte Folded Reload
	v_fmac_f32_e32 v9, v30, v15
	v_fmac_f32_e32 v11, v31, v14
	s_waitcnt vmcnt(0)
	v_fmac_f32_e32 v5, v24, v23
	v_fmac_f32_e32 v8, v25, v135
	;; [unrolled: 1-line block ×3, first 2 shown]
	scratch_load_b128 v[23:26], off, s32 offset:592 ; 16-byte Folded Reload
	v_fmac_f32_e32 v11, v27, v6
	s_waitcnt vmcnt(0)
	v_dual_mul_f32 v177, v93, v177 :: v_dual_fmac_f32 v8, v24, v16
	s_delay_alu instid0(VALU_DEP_2)
	v_fmac_f32_e32 v11, v26, v17
	scratch_load_b128 v[14:17], off, s32 offset:608 ; 16-byte Folded Reload
	v_fmac_f32_e32 v5, v23, v18
	v_fmac_f32_e32 v9, v25, v19
	s_waitcnt vmcnt(0)
	v_dual_mul_f32 v179, v93, v179 :: v_dual_fmac_f32 v8, v15, v32
	s_delay_alu instid0(VALU_DEP_3) | instskip(NEXT) | instid1(VALU_DEP_3)
	v_fmac_f32_e32 v5, v14, v34
	v_fmac_f32_e32 v9, v16, v35
	v_fmac_f32_e32 v11, v17, v33
	scratch_load_b128 v[14:17], off, s32 offset:624 ; 16-byte Folded Reload
	s_waitcnt vmcnt(0)
	v_dual_mul_f32 v161, v93, v161 :: v_dual_fmac_f32 v8, v15, v48
	v_fmac_f32_e32 v5, v14, v50
	v_fmac_f32_e32 v9, v16, v51
	v_fmac_f32_e32 v11, v17, v49
	scratch_load_b128 v[14:17], off, s32 offset:640 ; 16-byte Folded Reload
	s_waitcnt vmcnt(0)
	v_dual_mul_f32 v163, v93, v163 :: v_dual_fmac_f32 v8, v15, v64
	v_fmac_f32_e32 v5, v14, v66
	v_fmac_f32_e32 v9, v16, v67
	v_fmac_f32_e32 v11, v17, v65
	scratch_load_b128 v[14:17], off, s32 offset:656 ; 16-byte Folded Reload
	s_waitcnt vmcnt(0)
	v_dual_mul_f32 v145, v93, v145 :: v_dual_fmac_f32 v8, v15, v80
	v_fmac_f32_e32 v5, v14, v82
	v_fmac_f32_e32 v9, v16, v83
	v_fmac_f32_e32 v11, v17, v81
	scratch_load_b128 v[14:17], off, s32 offset:672 ; 16-byte Folded Reload
	s_waitcnt vmcnt(0)
	v_dual_mul_f32 v147, v93, v147 :: v_dual_fmac_f32 v8, v15, v96
	v_fmac_f32_e32 v5, v14, v98
	v_fmac_f32_e32 v9, v16, v99
	v_fmac_f32_e32 v11, v17, v97
	scratch_load_b128 v[14:17], off, s32 offset:688 ; 16-byte Folded Reload
	s_waitcnt vmcnt(0)
	v_dual_mul_f32 v129, v93, v129 :: v_dual_fmac_f32 v8, v15, v112
	v_fmac_f32_e32 v5, v14, v114
	v_fmac_f32_e32 v9, v16, v115
	;; [unrolled: 1-line block ×3, first 2 shown]
	scratch_load_b128 v[14:17], off, s32 offset:704 ; 16-byte Folded Reload
	v_mul_f32_e32 v131, v93, v131
	v_dual_mul_f32 v43, v93, v43 :: v_dual_cndmask_b32 v0, 0, v0
	s_waitcnt vmcnt(0)
	v_dual_fmac_f32 v5, v14, v130 :: v_dual_fmac_f32 v8, v15, v128
	s_delay_alu instid0(VALU_DEP_3)
	v_dual_mul_f32 v2, v93, v2 :: v_dual_fmac_f32 v9, v16, v131
	v_fmac_f32_e32 v11, v17, v129
	scratch_load_b128 v[14:17], off, s32 offset:720 ; 16-byte Folded Reload
	s_waitcnt vmcnt(0)
	v_dual_fmac_f32 v5, v14, v146 :: v_dual_fmac_f32 v8, v15, v144
	v_fmac_f32_e32 v9, v16, v147
	v_fmac_f32_e32 v11, v17, v145
	scratch_load_b128 v[14:17], off, s32 offset:736 ; 16-byte Folded Reload
	s_waitcnt vmcnt(0)
	v_dual_fmac_f32 v5, v14, v162 :: v_dual_fmac_f32 v8, v15, v160
	v_fmac_f32_e32 v9, v16, v163
	;; [unrolled: 5-line block ×4, first 2 shown]
	v_fmac_f32_e32 v11, v17, v21
	scratch_load_b128 v[14:17], off, s32 offset:784 ; 16-byte Folded Reload
	s_waitcnt vmcnt(0)
	v_fmac_f32_e32 v9, v16, v2
	scratch_load_b32 v2, off, s32 offset:400 ; 4-byte Folded Reload
	v_dual_fmac_f32 v5, v14, v4 :: v_dual_fmac_f32 v8, v15, v3
	v_fmac_f32_e32 v11, v17, v1
	s_delay_alu instid0(VALU_DEP_2) | instskip(NEXT) | instid1(VALU_DEP_1)
	v_add_f32_e32 v1, v5, v8
	v_add_f32_e32 v1, v9, v1
	s_delay_alu instid0(VALU_DEP_1) | instskip(SKIP_1) | instid1(VALU_DEP_1)
	v_add_f32_e32 v1, v11, v1
	s_waitcnt vmcnt(0)
	v_fmac_f32_e32 v0, v1, v2
	s_delay_alu instid0(VALU_DEP_1) | instskip(SKIP_2) | instid1(VALU_DEP_1)
	v_cndmask_b32_e64 v1, 0, v0, s1
	ds_store_b32 v13, v1
	v_max_f32_e32 v1, v89, v89
	v_dual_max_f32 v0, v1, v0 :: v_dual_add_nc_u32 v13, 0x200, v13
	s_delay_alu instid0(VALU_DEP_1) | instskip(SKIP_1) | instid1(VALU_DEP_1)
	v_cndmask_b32_e64 v89, v89, v0, s1
	v_add_co_u32 v58, s1, v58, 16
	v_add_co_ci_u32_e64 v59, s1, 0, v59, s1
	v_cmp_ge_i32_e64 s1, v92, v110
	s_delay_alu instid0(VALU_DEP_1) | instskip(NEXT) | instid1(SALU_CYCLE_1)
	s_or_b32 s7, s1, s7
	s_and_not1_b32 exec_lo, exec_lo, s7
	s_cbranch_execz .LBB277_776
.LBB277_11:                             ; =>This Inner Loop Header: Depth=1
	flat_load_b32 v0, v[58:59]
	scratch_load_b64 v[1:2], off, s32 offset:408 ; 8-byte Folded Reload
	s_mov_b32 s8, exec_lo
	s_waitcnt vmcnt(0) lgkmcnt(0)
	v_mad_i64_i32 v[104:105], null, v0, v22, v[1:2]
	flat_load_b32 v0, v[104:105]
	scratch_load_b64 v[1:2], off, s32 offset:392 ; 8-byte Folded Reload
	v_mov_b32_e32 v62, 0
	v_mov_b32_e32 v63, 0
	scratch_store_b64 off, v[62:63], s32 offset:328 ; 8-byte Folded Spill
	s_waitcnt vmcnt(0)
	flat_load_b32 v93, v[1:2]
	s_waitcnt lgkmcnt(1)
	v_and_b32_e32 v1, 0xff, v0
	s_delay_alu instid0(VALU_DEP_1)
	v_cmpx_ne_u16_e32 0, v1
	s_cbranch_execz .LBB277_19
; %bb.12:                               ;   in Loop: Header=BB277_11 Depth=1
	v_bfrev_b32_e32 v2, 1
	v_mov_b32_e32 v3, 0
	s_mov_b32 s19, exec_lo
	scratch_store_b64 off, v[2:3], s32 offset:328 ; 8-byte Folded Spill
	v_cmpx_ne_u16_e32 0x80, v1
	s_cbranch_execz .LBB277_18
; %bb.13:                               ;   in Loop: Header=BB277_11 Depth=1
	v_mov_b32_e32 v3, 0x7f800001
	v_and_b32_e32 v2, 0x7f, v0
	v_mov_b32_e32 v4, 0
	s_mov_b32 s20, exec_lo
	scratch_store_b64 off, v[3:4], s32 offset:328 ; 8-byte Folded Spill
	v_cmpx_ne_u32_e32 0x7f, v2
	s_cbranch_execz .LBB277_17
; %bb.14:                               ;   in Loop: Header=BB277_11 Depth=1
	v_and_b32_e32 v46, 7, v0
	v_lshrrev_b32_e32 v1, 3, v2
	s_mov_b32 s21, exec_lo
	v_cmpx_gt_u32_e32 8, v2
; %bb.15:                               ;   in Loop: Header=BB277_11 Depth=1
	s_delay_alu instid0(VALU_DEP_3) | instskip(NEXT) | instid1(VALU_DEP_1)
	v_clz_i32_u32_e32 v1, v46
	v_min_u32_e32 v1, 32, v1
	s_delay_alu instid0(VALU_DEP_1) | instskip(SKIP_1) | instid1(VALU_DEP_2)
	v_subrev_nc_u32_e32 v2, 28, v1
	v_sub_nc_u32_e32 v1, 29, v1
	v_lshlrev_b64 v[2:3], v2, v[46:47]
	s_delay_alu instid0(VALU_DEP_1)
	v_and_b32_e32 v46, 7, v2
; %bb.16:                               ;   in Loop: Header=BB277_11 Depth=1
	s_or_b32 exec_lo, exec_lo, s21
	v_lshlrev_b32_e32 v2, 24, v0
	s_delay_alu instid0(VALU_DEP_2) | instskip(SKIP_1) | instid1(VALU_DEP_3)
	v_lshlrev_b32_e32 v3, 20, v46
	v_lshl_add_u32 v1, v1, 23, 0x3c000000
	v_and_b32_e32 v2, 0x80000000, v2
	s_delay_alu instid0(VALU_DEP_1)
	v_or3_b32 v46, v3, v2, v1
	scratch_store_b64 off, v[46:47], s32 offset:328 ; 8-byte Folded Spill
.LBB277_17:                             ;   in Loop: Header=BB277_11 Depth=1
	s_or_b32 exec_lo, exec_lo, s20
.LBB277_18:                             ;   in Loop: Header=BB277_11 Depth=1
	s_delay_alu instid0(SALU_CYCLE_1)
	s_or_b32 exec_lo, exec_lo, s19
.LBB277_19:                             ;   in Loop: Header=BB277_11 Depth=1
	s_delay_alu instid0(SALU_CYCLE_1) | instskip(SKIP_2) | instid1(VALU_DEP_1)
	s_or_b32 exec_lo, exec_lo, s8
	v_lshrrev_b16 v1, 8, v0
	s_mov_b32 s19, exec_lo
	v_cmpx_ne_u16_e32 0, v1
	s_cbranch_execz .LBB277_27
; %bb.20:                               ;   in Loop: Header=BB277_11 Depth=1
	v_dual_mov_b32 v63, s3 :: v_dual_mov_b32 v62, s2
	s_mov_b32 s20, exec_lo
	v_cmpx_ne_u16_e32 0x80, v1
	s_cbranch_execz .LBB277_26
; %bb.21:                               ;   in Loop: Header=BB277_11 Depth=1
	s_mov_b32 s8, s2
	v_and_b32_e32 v1, 0xffff, v1
	v_dual_mov_b32 v63, s9 :: v_dual_mov_b32 v62, s8
	s_mov_b32 s8, exec_lo
	s_delay_alu instid0(VALU_DEP_2) | instskip(NEXT) | instid1(VALU_DEP_1)
	v_and_b32_e32 v2, 0x7f, v1
	v_cmpx_ne_u32_e32 0x7f, v2
	s_cbranch_execz .LBB277_25
; %bb.22:                               ;   in Loop: Header=BB277_11 Depth=1
	v_and_b32_e32 v46, 7, v1
	v_lshrrev_b32_e32 v1, 3, v2
	s_mov_b32 s21, exec_lo
	v_cmpx_gt_u32_e32 8, v2
; %bb.23:                               ;   in Loop: Header=BB277_11 Depth=1
	s_delay_alu instid0(VALU_DEP_3) | instskip(NEXT) | instid1(VALU_DEP_1)
	v_clz_i32_u32_e32 v1, v46
	v_min_u32_e32 v1, 32, v1
	s_delay_alu instid0(VALU_DEP_1) | instskip(SKIP_1) | instid1(VALU_DEP_2)
	v_subrev_nc_u32_e32 v2, 28, v1
	v_sub_nc_u32_e32 v1, 29, v1
	v_lshlrev_b64 v[2:3], v2, v[46:47]
	s_delay_alu instid0(VALU_DEP_1)
	v_and_b32_e32 v46, 7, v2
; %bb.24:                               ;   in Loop: Header=BB277_11 Depth=1
	s_or_b32 exec_lo, exec_lo, s21
	v_lshlrev_b32_e32 v2, 16, v0
	s_delay_alu instid0(VALU_DEP_2) | instskip(SKIP_1) | instid1(VALU_DEP_3)
	v_dual_mov_b32 v62, v47 :: v_dual_lshlrev_b32 v3, 20, v46
	v_lshl_add_u32 v1, v1, 23, 0x3c000000
	v_and_b32_e32 v2, 0x80000000, v2
	s_delay_alu instid0(VALU_DEP_1)
	v_or3_b32 v63, v3, v2, v1
.LBB277_25:                             ;   in Loop: Header=BB277_11 Depth=1
	s_or_b32 exec_lo, exec_lo, s8
.LBB277_26:                             ;   in Loop: Header=BB277_11 Depth=1
	s_delay_alu instid0(SALU_CYCLE_1)
	s_or_b32 exec_lo, exec_lo, s20
.LBB277_27:                             ;   in Loop: Header=BB277_11 Depth=1
	s_delay_alu instid0(SALU_CYCLE_1) | instskip(SKIP_4) | instid1(VALU_DEP_3)
	s_or_b32 exec_lo, exec_lo, s19
	v_lshrrev_b32_e32 v1, 16, v0
	v_mov_b32_e32 v74, 0
	v_mov_b32_e32 v75, 0
	s_mov_b32 s8, exec_lo
	v_and_b32_e32 v2, 0xff, v1
	scratch_store_b64 off, v[74:75], s32 offset:336 ; 8-byte Folded Spill
	v_cmpx_ne_u16_e32 0, v2
	s_cbranch_execz .LBB277_35
; %bb.28:                               ;   in Loop: Header=BB277_11 Depth=1
	v_bfrev_b32_e32 v3, 1
	v_mov_b32_e32 v4, 0
	s_mov_b32 s19, exec_lo
	scratch_store_b64 off, v[3:4], s32 offset:336 ; 8-byte Folded Spill
	v_cmpx_ne_u16_e32 0x80, v2
	s_cbranch_execz .LBB277_34
; %bb.29:                               ;   in Loop: Header=BB277_11 Depth=1
	v_mov_b32_e32 v4, 0x7f800001
	v_bfe_u32 v3, v0, 16, 7
	v_mov_b32_e32 v5, 0
	s_mov_b32 s20, exec_lo
	scratch_store_b64 off, v[4:5], s32 offset:336 ; 8-byte Folded Spill
	v_cmpx_ne_u32_e32 0x7f, v3
	s_cbranch_execz .LBB277_33
; %bb.30:                               ;   in Loop: Header=BB277_11 Depth=1
	v_and_b32_e32 v46, 7, v1
	v_lshrrev_b32_e32 v2, 3, v3
	s_mov_b32 s21, exec_lo
	v_cmpx_gt_u32_e32 8, v3
; %bb.31:                               ;   in Loop: Header=BB277_11 Depth=1
	s_delay_alu instid0(VALU_DEP_3) | instskip(NEXT) | instid1(VALU_DEP_1)
	v_clz_i32_u32_e32 v2, v46
	v_min_u32_e32 v2, 32, v2
	s_delay_alu instid0(VALU_DEP_1) | instskip(SKIP_1) | instid1(VALU_DEP_2)
	v_subrev_nc_u32_e32 v3, 28, v2
	v_sub_nc_u32_e32 v2, 29, v2
	v_lshlrev_b64 v[3:4], v3, v[46:47]
	s_delay_alu instid0(VALU_DEP_1)
	v_and_b32_e32 v46, 7, v3
; %bb.32:                               ;   in Loop: Header=BB277_11 Depth=1
	s_or_b32 exec_lo, exec_lo, s21
	v_lshlrev_b32_e32 v1, 24, v1
	s_delay_alu instid0(VALU_DEP_2) | instskip(SKIP_1) | instid1(VALU_DEP_3)
	v_lshlrev_b32_e32 v3, 20, v46
	v_lshl_add_u32 v2, v2, 23, 0x3c000000
	v_and_b32_e32 v1, 0x80000000, v1
	s_delay_alu instid0(VALU_DEP_1)
	v_or3_b32 v46, v3, v1, v2
	scratch_store_b64 off, v[46:47], s32 offset:336 ; 8-byte Folded Spill
.LBB277_33:                             ;   in Loop: Header=BB277_11 Depth=1
	s_or_b32 exec_lo, exec_lo, s20
.LBB277_34:                             ;   in Loop: Header=BB277_11 Depth=1
	s_delay_alu instid0(SALU_CYCLE_1)
	s_or_b32 exec_lo, exec_lo, s19
.LBB277_35:                             ;   in Loop: Header=BB277_11 Depth=1
	s_delay_alu instid0(SALU_CYCLE_1) | instskip(NEXT) | instid1(SALU_CYCLE_1)
	s_or_b32 exec_lo, exec_lo, s8
	s_mov_b32 s19, exec_lo
	v_cmpx_lt_u32_e32 0xffffff, v0
	s_cbranch_execz .LBB277_43
; %bb.36:                               ;   in Loop: Header=BB277_11 Depth=1
	v_lshrrev_b32_e32 v1, 24, v0
	v_dual_mov_b32 v75, s3 :: v_dual_mov_b32 v74, s2
	s_mov_b32 s20, exec_lo
	s_delay_alu instid0(VALU_DEP_2)
	v_cmpx_ne_u32_e32 0x80, v1
	s_cbranch_execz .LBB277_42
; %bb.37:                               ;   in Loop: Header=BB277_11 Depth=1
	s_mov_b32 s8, s2
	v_bfe_u32 v2, v0, 24, 7
	v_dual_mov_b32 v75, s9 :: v_dual_mov_b32 v74, s8
	s_mov_b32 s8, exec_lo
	s_delay_alu instid0(VALU_DEP_2)
	v_cmpx_ne_u32_e32 0x7f, v2
	s_cbranch_execz .LBB277_41
; %bb.38:                               ;   in Loop: Header=BB277_11 Depth=1
	v_and_b32_e32 v46, 7, v1
	v_lshrrev_b32_e32 v0, 3, v2
	s_mov_b32 s21, exec_lo
	v_cmpx_gt_u32_e32 8, v2
; %bb.39:                               ;   in Loop: Header=BB277_11 Depth=1
	s_delay_alu instid0(VALU_DEP_3) | instskip(NEXT) | instid1(VALU_DEP_1)
	v_clz_i32_u32_e32 v0, v46
	v_min_u32_e32 v0, 32, v0
	s_delay_alu instid0(VALU_DEP_1) | instskip(SKIP_1) | instid1(VALU_DEP_2)
	v_subrev_nc_u32_e32 v2, 28, v0
	v_sub_nc_u32_e32 v0, 29, v0
	v_lshlrev_b64 v[2:3], v2, v[46:47]
	s_delay_alu instid0(VALU_DEP_1)
	v_and_b32_e32 v46, 7, v2
; %bb.40:                               ;   in Loop: Header=BB277_11 Depth=1
	s_or_b32 exec_lo, exec_lo, s21
	v_dual_mov_b32 v74, v47 :: v_dual_lshlrev_b32 v1, 24, v1
	s_delay_alu instid0(VALU_DEP_2) | instskip(SKIP_1) | instid1(VALU_DEP_3)
	v_lshlrev_b32_e32 v2, 20, v46
	v_lshl_add_u32 v0, v0, 23, 0x3c000000
	v_and_b32_e32 v1, 0x80000000, v1
	s_delay_alu instid0(VALU_DEP_1)
	v_or3_b32 v75, v2, v1, v0
.LBB277_41:                             ;   in Loop: Header=BB277_11 Depth=1
	s_or_b32 exec_lo, exec_lo, s8
.LBB277_42:                             ;   in Loop: Header=BB277_11 Depth=1
	s_delay_alu instid0(SALU_CYCLE_1)
	s_or_b32 exec_lo, exec_lo, s20
.LBB277_43:                             ;   in Loop: Header=BB277_11 Depth=1
	s_delay_alu instid0(SALU_CYCLE_1)
	s_or_b32 exec_lo, exec_lo, s19
	flat_load_b32 v0, v[104:105] offset:4
	v_mov_b32_e32 v78, 0
	v_mov_b32_e32 v79, 0
	s_mov_b32 s8, exec_lo
	scratch_store_b64 off, v[78:79], s32 offset:344 ; 8-byte Folded Spill
	s_waitcnt vmcnt(0) lgkmcnt(0)
	v_and_b32_e32 v1, 0xff, v0
	s_delay_alu instid0(VALU_DEP_1)
	v_cmpx_ne_u16_e32 0, v1
	s_cbranch_execz .LBB277_51
; %bb.44:                               ;   in Loop: Header=BB277_11 Depth=1
	v_bfrev_b32_e32 v2, 1
	v_mov_b32_e32 v3, 0
	s_mov_b32 s19, exec_lo
	scratch_store_b64 off, v[2:3], s32 offset:344 ; 8-byte Folded Spill
	v_cmpx_ne_u16_e32 0x80, v1
	s_cbranch_execz .LBB277_50
; %bb.45:                               ;   in Loop: Header=BB277_11 Depth=1
	v_mov_b32_e32 v3, 0x7f800001
	v_and_b32_e32 v2, 0x7f, v0
	v_mov_b32_e32 v4, 0
	s_mov_b32 s20, exec_lo
	scratch_store_b64 off, v[3:4], s32 offset:344 ; 8-byte Folded Spill
	v_cmpx_ne_u32_e32 0x7f, v2
	s_cbranch_execz .LBB277_49
; %bb.46:                               ;   in Loop: Header=BB277_11 Depth=1
	v_and_b32_e32 v46, 7, v0
	v_lshrrev_b32_e32 v1, 3, v2
	s_mov_b32 s21, exec_lo
	v_cmpx_gt_u32_e32 8, v2
; %bb.47:                               ;   in Loop: Header=BB277_11 Depth=1
	s_delay_alu instid0(VALU_DEP_3) | instskip(NEXT) | instid1(VALU_DEP_1)
	v_clz_i32_u32_e32 v1, v46
	v_min_u32_e32 v1, 32, v1
	s_delay_alu instid0(VALU_DEP_1) | instskip(SKIP_1) | instid1(VALU_DEP_2)
	v_subrev_nc_u32_e32 v2, 28, v1
	v_sub_nc_u32_e32 v1, 29, v1
	v_lshlrev_b64 v[2:3], v2, v[46:47]
	s_delay_alu instid0(VALU_DEP_1)
	v_and_b32_e32 v46, 7, v2
; %bb.48:                               ;   in Loop: Header=BB277_11 Depth=1
	s_or_b32 exec_lo, exec_lo, s21
	v_lshlrev_b32_e32 v2, 24, v0
	s_delay_alu instid0(VALU_DEP_2) | instskip(SKIP_1) | instid1(VALU_DEP_3)
	v_lshlrev_b32_e32 v3, 20, v46
	v_lshl_add_u32 v1, v1, 23, 0x3c000000
	v_and_b32_e32 v2, 0x80000000, v2
	s_delay_alu instid0(VALU_DEP_1)
	v_or3_b32 v46, v3, v2, v1
	scratch_store_b64 off, v[46:47], s32 offset:344 ; 8-byte Folded Spill
.LBB277_49:                             ;   in Loop: Header=BB277_11 Depth=1
	s_or_b32 exec_lo, exec_lo, s20
.LBB277_50:                             ;   in Loop: Header=BB277_11 Depth=1
	s_delay_alu instid0(SALU_CYCLE_1)
	s_or_b32 exec_lo, exec_lo, s19
.LBB277_51:                             ;   in Loop: Header=BB277_11 Depth=1
	s_delay_alu instid0(SALU_CYCLE_1) | instskip(SKIP_2) | instid1(VALU_DEP_1)
	s_or_b32 exec_lo, exec_lo, s8
	v_lshrrev_b16 v1, 8, v0
	s_mov_b32 s19, exec_lo
	v_cmpx_ne_u16_e32 0, v1
	s_cbranch_execz .LBB277_59
; %bb.52:                               ;   in Loop: Header=BB277_11 Depth=1
	v_dual_mov_b32 v79, s3 :: v_dual_mov_b32 v78, s2
	s_mov_b32 s20, exec_lo
	v_cmpx_ne_u16_e32 0x80, v1
	s_cbranch_execz .LBB277_58
; %bb.53:                               ;   in Loop: Header=BB277_11 Depth=1
	s_mov_b32 s8, s2
	v_and_b32_e32 v1, 0xffff, v1
	v_dual_mov_b32 v79, s9 :: v_dual_mov_b32 v78, s8
	s_mov_b32 s8, exec_lo
	s_delay_alu instid0(VALU_DEP_2) | instskip(NEXT) | instid1(VALU_DEP_1)
	v_and_b32_e32 v2, 0x7f, v1
	v_cmpx_ne_u32_e32 0x7f, v2
	s_cbranch_execz .LBB277_57
; %bb.54:                               ;   in Loop: Header=BB277_11 Depth=1
	v_and_b32_e32 v46, 7, v1
	v_lshrrev_b32_e32 v1, 3, v2
	s_mov_b32 s21, exec_lo
	v_cmpx_gt_u32_e32 8, v2
; %bb.55:                               ;   in Loop: Header=BB277_11 Depth=1
	s_delay_alu instid0(VALU_DEP_3) | instskip(NEXT) | instid1(VALU_DEP_1)
	v_clz_i32_u32_e32 v1, v46
	v_min_u32_e32 v1, 32, v1
	s_delay_alu instid0(VALU_DEP_1) | instskip(SKIP_1) | instid1(VALU_DEP_2)
	v_subrev_nc_u32_e32 v2, 28, v1
	v_sub_nc_u32_e32 v1, 29, v1
	v_lshlrev_b64 v[2:3], v2, v[46:47]
	s_delay_alu instid0(VALU_DEP_1)
	v_and_b32_e32 v46, 7, v2
; %bb.56:                               ;   in Loop: Header=BB277_11 Depth=1
	s_or_b32 exec_lo, exec_lo, s21
	v_lshlrev_b32_e32 v2, 16, v0
	s_delay_alu instid0(VALU_DEP_2) | instskip(SKIP_1) | instid1(VALU_DEP_3)
	v_dual_mov_b32 v78, v47 :: v_dual_lshlrev_b32 v3, 20, v46
	v_lshl_add_u32 v1, v1, 23, 0x3c000000
	v_and_b32_e32 v2, 0x80000000, v2
	s_delay_alu instid0(VALU_DEP_1)
	v_or3_b32 v79, v3, v2, v1
.LBB277_57:                             ;   in Loop: Header=BB277_11 Depth=1
	s_or_b32 exec_lo, exec_lo, s8
.LBB277_58:                             ;   in Loop: Header=BB277_11 Depth=1
	s_delay_alu instid0(SALU_CYCLE_1)
	s_or_b32 exec_lo, exec_lo, s20
.LBB277_59:                             ;   in Loop: Header=BB277_11 Depth=1
	s_delay_alu instid0(SALU_CYCLE_1) | instskip(SKIP_4) | instid1(VALU_DEP_3)
	s_or_b32 exec_lo, exec_lo, s19
	v_lshrrev_b32_e32 v1, 16, v0
	v_mov_b32_e32 v90, 0
	v_mov_b32_e32 v91, 0
	s_mov_b32 s8, exec_lo
	v_and_b32_e32 v2, 0xff, v1
	scratch_store_b64 off, v[90:91], s32 offset:352 ; 8-byte Folded Spill
	v_cmpx_ne_u16_e32 0, v2
	s_cbranch_execz .LBB277_67
; %bb.60:                               ;   in Loop: Header=BB277_11 Depth=1
	v_bfrev_b32_e32 v3, 1
	v_mov_b32_e32 v4, 0
	s_mov_b32 s19, exec_lo
	scratch_store_b64 off, v[3:4], s32 offset:352 ; 8-byte Folded Spill
	v_cmpx_ne_u16_e32 0x80, v2
	s_cbranch_execz .LBB277_66
; %bb.61:                               ;   in Loop: Header=BB277_11 Depth=1
	v_mov_b32_e32 v4, 0x7f800001
	v_bfe_u32 v3, v0, 16, 7
	v_mov_b32_e32 v5, 0
	s_mov_b32 s20, exec_lo
	scratch_store_b64 off, v[4:5], s32 offset:352 ; 8-byte Folded Spill
	v_cmpx_ne_u32_e32 0x7f, v3
	s_cbranch_execz .LBB277_65
; %bb.62:                               ;   in Loop: Header=BB277_11 Depth=1
	v_and_b32_e32 v46, 7, v1
	v_lshrrev_b32_e32 v2, 3, v3
	s_mov_b32 s21, exec_lo
	v_cmpx_gt_u32_e32 8, v3
; %bb.63:                               ;   in Loop: Header=BB277_11 Depth=1
	s_delay_alu instid0(VALU_DEP_3) | instskip(NEXT) | instid1(VALU_DEP_1)
	v_clz_i32_u32_e32 v2, v46
	v_min_u32_e32 v2, 32, v2
	s_delay_alu instid0(VALU_DEP_1) | instskip(SKIP_1) | instid1(VALU_DEP_2)
	v_subrev_nc_u32_e32 v3, 28, v2
	v_sub_nc_u32_e32 v2, 29, v2
	v_lshlrev_b64 v[3:4], v3, v[46:47]
	s_delay_alu instid0(VALU_DEP_1)
	v_and_b32_e32 v46, 7, v3
; %bb.64:                               ;   in Loop: Header=BB277_11 Depth=1
	s_or_b32 exec_lo, exec_lo, s21
	v_lshlrev_b32_e32 v1, 24, v1
	s_delay_alu instid0(VALU_DEP_2) | instskip(SKIP_1) | instid1(VALU_DEP_3)
	v_lshlrev_b32_e32 v3, 20, v46
	v_lshl_add_u32 v2, v2, 23, 0x3c000000
	v_and_b32_e32 v1, 0x80000000, v1
	s_delay_alu instid0(VALU_DEP_1)
	v_or3_b32 v46, v3, v1, v2
	scratch_store_b64 off, v[46:47], s32 offset:352 ; 8-byte Folded Spill
.LBB277_65:                             ;   in Loop: Header=BB277_11 Depth=1
	s_or_b32 exec_lo, exec_lo, s20
.LBB277_66:                             ;   in Loop: Header=BB277_11 Depth=1
	s_delay_alu instid0(SALU_CYCLE_1)
	s_or_b32 exec_lo, exec_lo, s19
.LBB277_67:                             ;   in Loop: Header=BB277_11 Depth=1
	s_delay_alu instid0(SALU_CYCLE_1) | instskip(NEXT) | instid1(SALU_CYCLE_1)
	s_or_b32 exec_lo, exec_lo, s8
	s_mov_b32 s19, exec_lo
	v_cmpx_lt_u32_e32 0xffffff, v0
	s_cbranch_execz .LBB277_75
; %bb.68:                               ;   in Loop: Header=BB277_11 Depth=1
	v_lshrrev_b32_e32 v1, 24, v0
	v_dual_mov_b32 v91, s3 :: v_dual_mov_b32 v90, s2
	s_mov_b32 s20, exec_lo
	s_delay_alu instid0(VALU_DEP_2)
	v_cmpx_ne_u32_e32 0x80, v1
	s_cbranch_execz .LBB277_74
; %bb.69:                               ;   in Loop: Header=BB277_11 Depth=1
	s_mov_b32 s8, s2
	v_bfe_u32 v2, v0, 24, 7
	v_dual_mov_b32 v91, s9 :: v_dual_mov_b32 v90, s8
	s_mov_b32 s8, exec_lo
	s_delay_alu instid0(VALU_DEP_2)
	v_cmpx_ne_u32_e32 0x7f, v2
	s_cbranch_execz .LBB277_73
; %bb.70:                               ;   in Loop: Header=BB277_11 Depth=1
	v_and_b32_e32 v46, 7, v1
	v_lshrrev_b32_e32 v0, 3, v2
	s_mov_b32 s21, exec_lo
	v_cmpx_gt_u32_e32 8, v2
; %bb.71:                               ;   in Loop: Header=BB277_11 Depth=1
	s_delay_alu instid0(VALU_DEP_3) | instskip(NEXT) | instid1(VALU_DEP_1)
	v_clz_i32_u32_e32 v0, v46
	v_min_u32_e32 v0, 32, v0
	s_delay_alu instid0(VALU_DEP_1) | instskip(SKIP_1) | instid1(VALU_DEP_2)
	v_subrev_nc_u32_e32 v2, 28, v0
	v_sub_nc_u32_e32 v0, 29, v0
	v_lshlrev_b64 v[2:3], v2, v[46:47]
	s_delay_alu instid0(VALU_DEP_1)
	v_and_b32_e32 v46, 7, v2
; %bb.72:                               ;   in Loop: Header=BB277_11 Depth=1
	s_or_b32 exec_lo, exec_lo, s21
	v_dual_mov_b32 v90, v47 :: v_dual_lshlrev_b32 v1, 24, v1
	s_delay_alu instid0(VALU_DEP_2) | instskip(SKIP_1) | instid1(VALU_DEP_3)
	v_lshlrev_b32_e32 v2, 20, v46
	v_lshl_add_u32 v0, v0, 23, 0x3c000000
	v_and_b32_e32 v1, 0x80000000, v1
	s_delay_alu instid0(VALU_DEP_1)
	v_or3_b32 v91, v2, v1, v0
.LBB277_73:                             ;   in Loop: Header=BB277_11 Depth=1
	s_or_b32 exec_lo, exec_lo, s8
.LBB277_74:                             ;   in Loop: Header=BB277_11 Depth=1
	s_delay_alu instid0(SALU_CYCLE_1)
	s_or_b32 exec_lo, exec_lo, s20
.LBB277_75:                             ;   in Loop: Header=BB277_11 Depth=1
	s_delay_alu instid0(SALU_CYCLE_1)
	s_or_b32 exec_lo, exec_lo, s19
	flat_load_b32 v0, v[104:105] offset:8
	v_mov_b32_e32 v94, 0
	v_mov_b32_e32 v95, 0
	s_mov_b32 s8, exec_lo
	scratch_store_b64 off, v[94:95], s32 offset:360 ; 8-byte Folded Spill
	s_waitcnt vmcnt(0) lgkmcnt(0)
	v_and_b32_e32 v1, 0xff, v0
	s_delay_alu instid0(VALU_DEP_1)
	v_cmpx_ne_u16_e32 0, v1
	s_cbranch_execz .LBB277_83
; %bb.76:                               ;   in Loop: Header=BB277_11 Depth=1
	v_bfrev_b32_e32 v2, 1
	v_mov_b32_e32 v3, 0
	s_mov_b32 s19, exec_lo
	scratch_store_b64 off, v[2:3], s32 offset:360 ; 8-byte Folded Spill
	v_cmpx_ne_u16_e32 0x80, v1
	s_cbranch_execz .LBB277_82
; %bb.77:                               ;   in Loop: Header=BB277_11 Depth=1
	v_mov_b32_e32 v3, 0x7f800001
	v_and_b32_e32 v2, 0x7f, v0
	v_mov_b32_e32 v4, 0
	s_mov_b32 s20, exec_lo
	scratch_store_b64 off, v[3:4], s32 offset:360 ; 8-byte Folded Spill
	v_cmpx_ne_u32_e32 0x7f, v2
	s_cbranch_execz .LBB277_81
; %bb.78:                               ;   in Loop: Header=BB277_11 Depth=1
	v_and_b32_e32 v46, 7, v0
	v_lshrrev_b32_e32 v1, 3, v2
	s_mov_b32 s21, exec_lo
	v_cmpx_gt_u32_e32 8, v2
; %bb.79:                               ;   in Loop: Header=BB277_11 Depth=1
	s_delay_alu instid0(VALU_DEP_3) | instskip(NEXT) | instid1(VALU_DEP_1)
	v_clz_i32_u32_e32 v1, v46
	v_min_u32_e32 v1, 32, v1
	s_delay_alu instid0(VALU_DEP_1) | instskip(SKIP_1) | instid1(VALU_DEP_2)
	v_subrev_nc_u32_e32 v2, 28, v1
	v_sub_nc_u32_e32 v1, 29, v1
	v_lshlrev_b64 v[2:3], v2, v[46:47]
	s_delay_alu instid0(VALU_DEP_1)
	v_and_b32_e32 v46, 7, v2
; %bb.80:                               ;   in Loop: Header=BB277_11 Depth=1
	s_or_b32 exec_lo, exec_lo, s21
	v_lshlrev_b32_e32 v2, 24, v0
	s_delay_alu instid0(VALU_DEP_2) | instskip(SKIP_1) | instid1(VALU_DEP_3)
	v_lshlrev_b32_e32 v3, 20, v46
	v_lshl_add_u32 v1, v1, 23, 0x3c000000
	v_and_b32_e32 v2, 0x80000000, v2
	s_delay_alu instid0(VALU_DEP_1)
	v_or3_b32 v46, v3, v2, v1
	scratch_store_b64 off, v[46:47], s32 offset:360 ; 8-byte Folded Spill
.LBB277_81:                             ;   in Loop: Header=BB277_11 Depth=1
	s_or_b32 exec_lo, exec_lo, s20
.LBB277_82:                             ;   in Loop: Header=BB277_11 Depth=1
	s_delay_alu instid0(SALU_CYCLE_1)
	s_or_b32 exec_lo, exec_lo, s19
.LBB277_83:                             ;   in Loop: Header=BB277_11 Depth=1
	s_delay_alu instid0(SALU_CYCLE_1) | instskip(SKIP_2) | instid1(VALU_DEP_1)
	s_or_b32 exec_lo, exec_lo, s8
	v_lshrrev_b16 v1, 8, v0
	s_mov_b32 s19, exec_lo
	v_cmpx_ne_u16_e32 0, v1
	s_cbranch_execz .LBB277_91
; %bb.84:                               ;   in Loop: Header=BB277_11 Depth=1
	v_dual_mov_b32 v95, s3 :: v_dual_mov_b32 v94, s2
	s_mov_b32 s20, exec_lo
	v_cmpx_ne_u16_e32 0x80, v1
	s_cbranch_execz .LBB277_90
; %bb.85:                               ;   in Loop: Header=BB277_11 Depth=1
	s_mov_b32 s8, s2
	v_and_b32_e32 v1, 0xffff, v1
	v_dual_mov_b32 v95, s9 :: v_dual_mov_b32 v94, s8
	s_mov_b32 s8, exec_lo
	s_delay_alu instid0(VALU_DEP_2) | instskip(NEXT) | instid1(VALU_DEP_1)
	v_and_b32_e32 v2, 0x7f, v1
	v_cmpx_ne_u32_e32 0x7f, v2
	s_cbranch_execz .LBB277_89
; %bb.86:                               ;   in Loop: Header=BB277_11 Depth=1
	v_and_b32_e32 v46, 7, v1
	v_lshrrev_b32_e32 v1, 3, v2
	s_mov_b32 s21, exec_lo
	v_cmpx_gt_u32_e32 8, v2
; %bb.87:                               ;   in Loop: Header=BB277_11 Depth=1
	s_delay_alu instid0(VALU_DEP_3) | instskip(NEXT) | instid1(VALU_DEP_1)
	v_clz_i32_u32_e32 v1, v46
	v_min_u32_e32 v1, 32, v1
	s_delay_alu instid0(VALU_DEP_1) | instskip(SKIP_1) | instid1(VALU_DEP_2)
	v_subrev_nc_u32_e32 v2, 28, v1
	v_sub_nc_u32_e32 v1, 29, v1
	v_lshlrev_b64 v[2:3], v2, v[46:47]
	s_delay_alu instid0(VALU_DEP_1)
	v_and_b32_e32 v46, 7, v2
; %bb.88:                               ;   in Loop: Header=BB277_11 Depth=1
	s_or_b32 exec_lo, exec_lo, s21
	v_lshlrev_b32_e32 v2, 16, v0
	s_delay_alu instid0(VALU_DEP_2) | instskip(SKIP_1) | instid1(VALU_DEP_3)
	v_dual_mov_b32 v94, v47 :: v_dual_lshlrev_b32 v3, 20, v46
	v_lshl_add_u32 v1, v1, 23, 0x3c000000
	v_and_b32_e32 v2, 0x80000000, v2
	s_delay_alu instid0(VALU_DEP_1)
	v_or3_b32 v95, v3, v2, v1
.LBB277_89:                             ;   in Loop: Header=BB277_11 Depth=1
	s_or_b32 exec_lo, exec_lo, s8
.LBB277_90:                             ;   in Loop: Header=BB277_11 Depth=1
	s_delay_alu instid0(SALU_CYCLE_1)
	s_or_b32 exec_lo, exec_lo, s20
.LBB277_91:                             ;   in Loop: Header=BB277_11 Depth=1
	s_delay_alu instid0(SALU_CYCLE_1) | instskip(SKIP_4) | instid1(VALU_DEP_3)
	s_or_b32 exec_lo, exec_lo, s19
	v_lshrrev_b32_e32 v1, 16, v0
	v_mov_b32_e32 v108, 0
	v_mov_b32_e32 v109, 0
	s_mov_b32 s8, exec_lo
	v_and_b32_e32 v2, 0xff, v1
	scratch_store_b64 off, v[108:109], s32 offset:368 ; 8-byte Folded Spill
	v_cmpx_ne_u16_e32 0, v2
	s_cbranch_execz .LBB277_99
; %bb.92:                               ;   in Loop: Header=BB277_11 Depth=1
	v_bfrev_b32_e32 v3, 1
	v_mov_b32_e32 v4, 0
	s_mov_b32 s19, exec_lo
	scratch_store_b64 off, v[3:4], s32 offset:368 ; 8-byte Folded Spill
	v_cmpx_ne_u16_e32 0x80, v2
	s_cbranch_execz .LBB277_98
; %bb.93:                               ;   in Loop: Header=BB277_11 Depth=1
	v_mov_b32_e32 v4, 0x7f800001
	v_bfe_u32 v3, v0, 16, 7
	v_mov_b32_e32 v5, 0
	s_mov_b32 s20, exec_lo
	scratch_store_b64 off, v[4:5], s32 offset:368 ; 8-byte Folded Spill
	v_cmpx_ne_u32_e32 0x7f, v3
	s_cbranch_execz .LBB277_97
; %bb.94:                               ;   in Loop: Header=BB277_11 Depth=1
	v_and_b32_e32 v46, 7, v1
	v_lshrrev_b32_e32 v2, 3, v3
	s_mov_b32 s21, exec_lo
	v_cmpx_gt_u32_e32 8, v3
; %bb.95:                               ;   in Loop: Header=BB277_11 Depth=1
	s_delay_alu instid0(VALU_DEP_3) | instskip(NEXT) | instid1(VALU_DEP_1)
	v_clz_i32_u32_e32 v2, v46
	v_min_u32_e32 v2, 32, v2
	s_delay_alu instid0(VALU_DEP_1) | instskip(SKIP_1) | instid1(VALU_DEP_2)
	v_subrev_nc_u32_e32 v3, 28, v2
	v_sub_nc_u32_e32 v2, 29, v2
	v_lshlrev_b64 v[3:4], v3, v[46:47]
	s_delay_alu instid0(VALU_DEP_1)
	v_and_b32_e32 v46, 7, v3
; %bb.96:                               ;   in Loop: Header=BB277_11 Depth=1
	s_or_b32 exec_lo, exec_lo, s21
	v_lshlrev_b32_e32 v1, 24, v1
	s_delay_alu instid0(VALU_DEP_2) | instskip(SKIP_1) | instid1(VALU_DEP_3)
	v_lshlrev_b32_e32 v3, 20, v46
	v_lshl_add_u32 v2, v2, 23, 0x3c000000
	v_and_b32_e32 v1, 0x80000000, v1
	s_delay_alu instid0(VALU_DEP_1)
	v_or3_b32 v46, v3, v1, v2
	scratch_store_b64 off, v[46:47], s32 offset:368 ; 8-byte Folded Spill
.LBB277_97:                             ;   in Loop: Header=BB277_11 Depth=1
	s_or_b32 exec_lo, exec_lo, s20
.LBB277_98:                             ;   in Loop: Header=BB277_11 Depth=1
	s_delay_alu instid0(SALU_CYCLE_1)
	s_or_b32 exec_lo, exec_lo, s19
.LBB277_99:                             ;   in Loop: Header=BB277_11 Depth=1
	s_delay_alu instid0(SALU_CYCLE_1) | instskip(NEXT) | instid1(SALU_CYCLE_1)
	s_or_b32 exec_lo, exec_lo, s8
	s_mov_b32 s19, exec_lo
	v_cmpx_lt_u32_e32 0xffffff, v0
	s_cbranch_execz .LBB277_107
; %bb.100:                              ;   in Loop: Header=BB277_11 Depth=1
	v_lshrrev_b32_e32 v1, 24, v0
	v_dual_mov_b32 v109, s3 :: v_dual_mov_b32 v108, s2
	s_mov_b32 s20, exec_lo
	s_delay_alu instid0(VALU_DEP_2)
	v_cmpx_ne_u32_e32 0x80, v1
	s_cbranch_execz .LBB277_106
; %bb.101:                              ;   in Loop: Header=BB277_11 Depth=1
	s_mov_b32 s8, s2
	v_bfe_u32 v2, v0, 24, 7
	v_dual_mov_b32 v109, s9 :: v_dual_mov_b32 v108, s8
	s_mov_b32 s8, exec_lo
	s_delay_alu instid0(VALU_DEP_2)
	v_cmpx_ne_u32_e32 0x7f, v2
	s_cbranch_execz .LBB277_105
; %bb.102:                              ;   in Loop: Header=BB277_11 Depth=1
	v_and_b32_e32 v46, 7, v1
	v_lshrrev_b32_e32 v0, 3, v2
	s_mov_b32 s21, exec_lo
	v_cmpx_gt_u32_e32 8, v2
; %bb.103:                              ;   in Loop: Header=BB277_11 Depth=1
	s_delay_alu instid0(VALU_DEP_3) | instskip(NEXT) | instid1(VALU_DEP_1)
	v_clz_i32_u32_e32 v0, v46
	v_min_u32_e32 v0, 32, v0
	s_delay_alu instid0(VALU_DEP_1) | instskip(SKIP_1) | instid1(VALU_DEP_2)
	v_subrev_nc_u32_e32 v2, 28, v0
	v_sub_nc_u32_e32 v0, 29, v0
	v_lshlrev_b64 v[2:3], v2, v[46:47]
	s_delay_alu instid0(VALU_DEP_1)
	v_and_b32_e32 v46, 7, v2
; %bb.104:                              ;   in Loop: Header=BB277_11 Depth=1
	s_or_b32 exec_lo, exec_lo, s21
	v_dual_mov_b32 v108, v47 :: v_dual_lshlrev_b32 v1, 24, v1
	s_delay_alu instid0(VALU_DEP_2) | instskip(SKIP_1) | instid1(VALU_DEP_3)
	v_lshlrev_b32_e32 v2, 20, v46
	v_lshl_add_u32 v0, v0, 23, 0x3c000000
	v_and_b32_e32 v1, 0x80000000, v1
	s_delay_alu instid0(VALU_DEP_1)
	v_or3_b32 v109, v2, v1, v0
.LBB277_105:                            ;   in Loop: Header=BB277_11 Depth=1
	s_or_b32 exec_lo, exec_lo, s8
.LBB277_106:                            ;   in Loop: Header=BB277_11 Depth=1
	s_delay_alu instid0(SALU_CYCLE_1)
	s_or_b32 exec_lo, exec_lo, s20
.LBB277_107:                            ;   in Loop: Header=BB277_11 Depth=1
	s_delay_alu instid0(SALU_CYCLE_1)
	s_or_b32 exec_lo, exec_lo, s19
	flat_load_b32 v0, v[104:105] offset:12
	v_mov_b32_e32 v120, 0
	v_mov_b32_e32 v121, 0
	s_mov_b32 s8, exec_lo
	scratch_store_b64 off, v[120:121], s32 offset:376 ; 8-byte Folded Spill
	s_waitcnt vmcnt(0) lgkmcnt(0)
	v_and_b32_e32 v1, 0xff, v0
	s_delay_alu instid0(VALU_DEP_1)
	v_cmpx_ne_u16_e32 0, v1
	s_cbranch_execz .LBB277_115
; %bb.108:                              ;   in Loop: Header=BB277_11 Depth=1
	v_bfrev_b32_e32 v2, 1
	v_mov_b32_e32 v3, 0
	s_mov_b32 s19, exec_lo
	scratch_store_b64 off, v[2:3], s32 offset:376 ; 8-byte Folded Spill
	v_cmpx_ne_u16_e32 0x80, v1
	s_cbranch_execz .LBB277_114
; %bb.109:                              ;   in Loop: Header=BB277_11 Depth=1
	v_mov_b32_e32 v3, 0x7f800001
	v_and_b32_e32 v2, 0x7f, v0
	v_mov_b32_e32 v4, 0
	s_mov_b32 s20, exec_lo
	scratch_store_b64 off, v[3:4], s32 offset:376 ; 8-byte Folded Spill
	v_cmpx_ne_u32_e32 0x7f, v2
	s_cbranch_execz .LBB277_113
; %bb.110:                              ;   in Loop: Header=BB277_11 Depth=1
	v_and_b32_e32 v46, 7, v0
	v_lshrrev_b32_e32 v1, 3, v2
	s_mov_b32 s21, exec_lo
	v_cmpx_gt_u32_e32 8, v2
; %bb.111:                              ;   in Loop: Header=BB277_11 Depth=1
	s_delay_alu instid0(VALU_DEP_3) | instskip(NEXT) | instid1(VALU_DEP_1)
	v_clz_i32_u32_e32 v1, v46
	v_min_u32_e32 v1, 32, v1
	s_delay_alu instid0(VALU_DEP_1) | instskip(SKIP_1) | instid1(VALU_DEP_2)
	v_subrev_nc_u32_e32 v2, 28, v1
	v_sub_nc_u32_e32 v1, 29, v1
	v_lshlrev_b64 v[2:3], v2, v[46:47]
	s_delay_alu instid0(VALU_DEP_1)
	v_and_b32_e32 v46, 7, v2
; %bb.112:                              ;   in Loop: Header=BB277_11 Depth=1
	s_or_b32 exec_lo, exec_lo, s21
	v_lshlrev_b32_e32 v2, 24, v0
	s_delay_alu instid0(VALU_DEP_2) | instskip(SKIP_1) | instid1(VALU_DEP_3)
	v_lshlrev_b32_e32 v3, 20, v46
	v_lshl_add_u32 v1, v1, 23, 0x3c000000
	v_and_b32_e32 v2, 0x80000000, v2
	s_delay_alu instid0(VALU_DEP_1)
	v_or3_b32 v46, v3, v2, v1
	scratch_store_b64 off, v[46:47], s32 offset:376 ; 8-byte Folded Spill
.LBB277_113:                            ;   in Loop: Header=BB277_11 Depth=1
	s_or_b32 exec_lo, exec_lo, s20
.LBB277_114:                            ;   in Loop: Header=BB277_11 Depth=1
	s_delay_alu instid0(SALU_CYCLE_1)
	s_or_b32 exec_lo, exec_lo, s19
.LBB277_115:                            ;   in Loop: Header=BB277_11 Depth=1
	s_delay_alu instid0(SALU_CYCLE_1) | instskip(SKIP_2) | instid1(VALU_DEP_1)
	s_or_b32 exec_lo, exec_lo, s8
	v_lshrrev_b16 v1, 8, v0
	s_mov_b32 s19, exec_lo
	v_cmpx_ne_u16_e32 0, v1
	s_cbranch_execz .LBB277_123
; %bb.116:                              ;   in Loop: Header=BB277_11 Depth=1
	v_dual_mov_b32 v121, s3 :: v_dual_mov_b32 v120, s2
	s_mov_b32 s20, exec_lo
	v_cmpx_ne_u16_e32 0x80, v1
	s_cbranch_execz .LBB277_122
; %bb.117:                              ;   in Loop: Header=BB277_11 Depth=1
	s_mov_b32 s8, s2
	v_and_b32_e32 v1, 0xffff, v1
	v_dual_mov_b32 v121, s9 :: v_dual_mov_b32 v120, s8
	s_mov_b32 s8, exec_lo
	s_delay_alu instid0(VALU_DEP_2) | instskip(NEXT) | instid1(VALU_DEP_1)
	v_and_b32_e32 v2, 0x7f, v1
	v_cmpx_ne_u32_e32 0x7f, v2
	s_cbranch_execz .LBB277_121
; %bb.118:                              ;   in Loop: Header=BB277_11 Depth=1
	v_and_b32_e32 v46, 7, v1
	v_lshrrev_b32_e32 v1, 3, v2
	s_mov_b32 s21, exec_lo
	v_cmpx_gt_u32_e32 8, v2
; %bb.119:                              ;   in Loop: Header=BB277_11 Depth=1
	s_delay_alu instid0(VALU_DEP_3) | instskip(NEXT) | instid1(VALU_DEP_1)
	v_clz_i32_u32_e32 v1, v46
	v_min_u32_e32 v1, 32, v1
	s_delay_alu instid0(VALU_DEP_1) | instskip(SKIP_1) | instid1(VALU_DEP_2)
	v_subrev_nc_u32_e32 v2, 28, v1
	v_sub_nc_u32_e32 v1, 29, v1
	v_lshlrev_b64 v[2:3], v2, v[46:47]
	s_delay_alu instid0(VALU_DEP_1)
	v_and_b32_e32 v46, 7, v2
; %bb.120:                              ;   in Loop: Header=BB277_11 Depth=1
	s_or_b32 exec_lo, exec_lo, s21
	v_lshlrev_b32_e32 v2, 16, v0
	s_delay_alu instid0(VALU_DEP_2) | instskip(SKIP_1) | instid1(VALU_DEP_3)
	v_dual_mov_b32 v120, v47 :: v_dual_lshlrev_b32 v3, 20, v46
	v_lshl_add_u32 v1, v1, 23, 0x3c000000
	v_and_b32_e32 v2, 0x80000000, v2
	s_delay_alu instid0(VALU_DEP_1)
	v_or3_b32 v121, v3, v2, v1
.LBB277_121:                            ;   in Loop: Header=BB277_11 Depth=1
	s_or_b32 exec_lo, exec_lo, s8
.LBB277_122:                            ;   in Loop: Header=BB277_11 Depth=1
	s_delay_alu instid0(SALU_CYCLE_1)
	s_or_b32 exec_lo, exec_lo, s20
.LBB277_123:                            ;   in Loop: Header=BB277_11 Depth=1
	s_delay_alu instid0(SALU_CYCLE_1) | instskip(SKIP_4) | instid1(VALU_DEP_3)
	s_or_b32 exec_lo, exec_lo, s19
	v_lshrrev_b32_e32 v1, 16, v0
	v_mov_b32_e32 v124, 0
	v_mov_b32_e32 v125, 0
	s_mov_b32 s8, exec_lo
	v_and_b32_e32 v2, 0xff, v1
	scratch_store_b64 off, v[124:125], s32 offset:384 ; 8-byte Folded Spill
	v_cmpx_ne_u16_e32 0, v2
	s_cbranch_execz .LBB277_131
; %bb.124:                              ;   in Loop: Header=BB277_11 Depth=1
	v_bfrev_b32_e32 v3, 1
	v_mov_b32_e32 v4, 0
	s_mov_b32 s19, exec_lo
	scratch_store_b64 off, v[3:4], s32 offset:384 ; 8-byte Folded Spill
	v_cmpx_ne_u16_e32 0x80, v2
	s_cbranch_execz .LBB277_130
; %bb.125:                              ;   in Loop: Header=BB277_11 Depth=1
	v_mov_b32_e32 v4, 0x7f800001
	v_bfe_u32 v3, v0, 16, 7
	v_mov_b32_e32 v5, 0
	s_mov_b32 s20, exec_lo
	scratch_store_b64 off, v[4:5], s32 offset:384 ; 8-byte Folded Spill
	v_cmpx_ne_u32_e32 0x7f, v3
	s_cbranch_execz .LBB277_129
; %bb.126:                              ;   in Loop: Header=BB277_11 Depth=1
	v_and_b32_e32 v46, 7, v1
	v_lshrrev_b32_e32 v2, 3, v3
	s_mov_b32 s21, exec_lo
	v_cmpx_gt_u32_e32 8, v3
; %bb.127:                              ;   in Loop: Header=BB277_11 Depth=1
	s_delay_alu instid0(VALU_DEP_3) | instskip(NEXT) | instid1(VALU_DEP_1)
	v_clz_i32_u32_e32 v2, v46
	v_min_u32_e32 v2, 32, v2
	s_delay_alu instid0(VALU_DEP_1) | instskip(SKIP_1) | instid1(VALU_DEP_2)
	v_subrev_nc_u32_e32 v3, 28, v2
	v_sub_nc_u32_e32 v2, 29, v2
	v_lshlrev_b64 v[3:4], v3, v[46:47]
	s_delay_alu instid0(VALU_DEP_1)
	v_and_b32_e32 v46, 7, v3
; %bb.128:                              ;   in Loop: Header=BB277_11 Depth=1
	s_or_b32 exec_lo, exec_lo, s21
	v_lshlrev_b32_e32 v1, 24, v1
	s_delay_alu instid0(VALU_DEP_2) | instskip(SKIP_1) | instid1(VALU_DEP_3)
	v_lshlrev_b32_e32 v3, 20, v46
	v_lshl_add_u32 v2, v2, 23, 0x3c000000
	v_and_b32_e32 v1, 0x80000000, v1
	s_delay_alu instid0(VALU_DEP_1)
	v_or3_b32 v46, v3, v1, v2
	scratch_store_b64 off, v[46:47], s32 offset:384 ; 8-byte Folded Spill
.LBB277_129:                            ;   in Loop: Header=BB277_11 Depth=1
	s_or_b32 exec_lo, exec_lo, s20
.LBB277_130:                            ;   in Loop: Header=BB277_11 Depth=1
	s_delay_alu instid0(SALU_CYCLE_1)
	s_or_b32 exec_lo, exec_lo, s19
.LBB277_131:                            ;   in Loop: Header=BB277_11 Depth=1
	s_delay_alu instid0(SALU_CYCLE_1) | instskip(NEXT) | instid1(SALU_CYCLE_1)
	s_or_b32 exec_lo, exec_lo, s8
	s_mov_b32 s19, exec_lo
	v_cmpx_lt_u32_e32 0xffffff, v0
	s_cbranch_execz .LBB277_139
; %bb.132:                              ;   in Loop: Header=BB277_11 Depth=1
	v_lshrrev_b32_e32 v1, 24, v0
	v_dual_mov_b32 v125, s3 :: v_dual_mov_b32 v124, s2
	s_mov_b32 s20, exec_lo
	s_delay_alu instid0(VALU_DEP_2)
	v_cmpx_ne_u32_e32 0x80, v1
	s_cbranch_execz .LBB277_138
; %bb.133:                              ;   in Loop: Header=BB277_11 Depth=1
	s_mov_b32 s8, s2
	v_bfe_u32 v2, v0, 24, 7
	v_dual_mov_b32 v125, s9 :: v_dual_mov_b32 v124, s8
	s_mov_b32 s8, exec_lo
	s_delay_alu instid0(VALU_DEP_2)
	v_cmpx_ne_u32_e32 0x7f, v2
	s_cbranch_execz .LBB277_137
; %bb.134:                              ;   in Loop: Header=BB277_11 Depth=1
	v_and_b32_e32 v46, 7, v1
	v_lshrrev_b32_e32 v0, 3, v2
	s_mov_b32 s21, exec_lo
	v_cmpx_gt_u32_e32 8, v2
; %bb.135:                              ;   in Loop: Header=BB277_11 Depth=1
	s_delay_alu instid0(VALU_DEP_3) | instskip(NEXT) | instid1(VALU_DEP_1)
	v_clz_i32_u32_e32 v0, v46
	v_min_u32_e32 v0, 32, v0
	s_delay_alu instid0(VALU_DEP_1) | instskip(SKIP_1) | instid1(VALU_DEP_2)
	v_subrev_nc_u32_e32 v2, 28, v0
	v_sub_nc_u32_e32 v0, 29, v0
	v_lshlrev_b64 v[2:3], v2, v[46:47]
	s_delay_alu instid0(VALU_DEP_1)
	v_and_b32_e32 v46, 7, v2
; %bb.136:                              ;   in Loop: Header=BB277_11 Depth=1
	s_or_b32 exec_lo, exec_lo, s21
	v_dual_mov_b32 v124, v47 :: v_dual_lshlrev_b32 v1, 24, v1
	s_delay_alu instid0(VALU_DEP_2) | instskip(SKIP_1) | instid1(VALU_DEP_3)
	v_lshlrev_b32_e32 v2, 20, v46
	v_lshl_add_u32 v0, v0, 23, 0x3c000000
	v_and_b32_e32 v1, 0x80000000, v1
	s_delay_alu instid0(VALU_DEP_1)
	v_or3_b32 v125, v2, v1, v0
.LBB277_137:                            ;   in Loop: Header=BB277_11 Depth=1
	s_or_b32 exec_lo, exec_lo, s8
.LBB277_138:                            ;   in Loop: Header=BB277_11 Depth=1
	s_delay_alu instid0(SALU_CYCLE_1)
	s_or_b32 exec_lo, exec_lo, s20
.LBB277_139:                            ;   in Loop: Header=BB277_11 Depth=1
	s_delay_alu instid0(SALU_CYCLE_1) | instskip(SKIP_3) | instid1(VALU_DEP_2)
	s_or_b32 exec_lo, exec_lo, s19
	flat_load_b32 v0, v[104:105] offset:512
	v_mov_b32_e32 v136, 0
	v_mov_b32_e32 v137, 0
	;; [unrolled: 1-line block ×3, first 2 shown]
	s_mov_b32 s8, exec_lo
	s_delay_alu instid0(VALU_DEP_2) | instskip(SKIP_2) | instid1(VALU_DEP_1)
	v_mov_b32_e32 v127, v137
	s_waitcnt vmcnt(0) lgkmcnt(0)
	v_and_b32_e32 v1, 0xff, v0
	v_cmpx_ne_u16_e32 0, v1
	s_cbranch_execz .LBB277_147
; %bb.140:                              ;   in Loop: Header=BB277_11 Depth=1
	v_bfrev_b32_e32 v126, 1
	v_mov_b32_e32 v127, 0
	s_mov_b32 s19, exec_lo
	v_cmpx_ne_u16_e32 0x80, v1
	s_cbranch_execz .LBB277_146
; %bb.141:                              ;   in Loop: Header=BB277_11 Depth=1
	v_mov_b32_e32 v126, 0x7f800001
	v_dual_mov_b32 v127, 0 :: v_dual_and_b32 v2, 0x7f, v0
	s_mov_b32 s20, exec_lo
	s_delay_alu instid0(VALU_DEP_1)
	v_cmpx_ne_u32_e32 0x7f, v2
	s_cbranch_execz .LBB277_145
; %bb.142:                              ;   in Loop: Header=BB277_11 Depth=1
	v_and_b32_e32 v46, 7, v0
	v_lshrrev_b32_e32 v1, 3, v2
	s_mov_b32 s21, exec_lo
	v_cmpx_gt_u32_e32 8, v2
; %bb.143:                              ;   in Loop: Header=BB277_11 Depth=1
	s_delay_alu instid0(VALU_DEP_3) | instskip(NEXT) | instid1(VALU_DEP_1)
	v_clz_i32_u32_e32 v1, v46
	v_min_u32_e32 v1, 32, v1
	s_delay_alu instid0(VALU_DEP_1) | instskip(SKIP_1) | instid1(VALU_DEP_2)
	v_subrev_nc_u32_e32 v2, 28, v1
	v_sub_nc_u32_e32 v1, 29, v1
	v_lshlrev_b64 v[2:3], v2, v[46:47]
	s_delay_alu instid0(VALU_DEP_1)
	v_and_b32_e32 v46, 7, v2
; %bb.144:                              ;   in Loop: Header=BB277_11 Depth=1
	s_or_b32 exec_lo, exec_lo, s21
	v_lshlrev_b32_e32 v2, 24, v0
	s_delay_alu instid0(VALU_DEP_2) | instskip(SKIP_1) | instid1(VALU_DEP_3)
	v_lshlrev_b32_e32 v3, 20, v46
	v_lshl_add_u32 v1, v1, 23, 0x3c000000
	v_and_b32_e32 v2, 0x80000000, v2
	s_delay_alu instid0(VALU_DEP_1) | instskip(NEXT) | instid1(VALU_DEP_1)
	v_or3_b32 v46, v3, v2, v1
	v_dual_mov_b32 v127, v47 :: v_dual_mov_b32 v126, v46
.LBB277_145:                            ;   in Loop: Header=BB277_11 Depth=1
	s_or_b32 exec_lo, exec_lo, s20
.LBB277_146:                            ;   in Loop: Header=BB277_11 Depth=1
	s_delay_alu instid0(SALU_CYCLE_1)
	s_or_b32 exec_lo, exec_lo, s19
.LBB277_147:                            ;   in Loop: Header=BB277_11 Depth=1
	s_delay_alu instid0(SALU_CYCLE_1) | instskip(SKIP_2) | instid1(VALU_DEP_1)
	s_or_b32 exec_lo, exec_lo, s8
	v_lshrrev_b16 v1, 8, v0
	s_mov_b32 s19, exec_lo
	v_cmpx_ne_u16_e32 0, v1
	s_cbranch_execz .LBB277_155
; %bb.148:                              ;   in Loop: Header=BB277_11 Depth=1
	v_dual_mov_b32 v137, s3 :: v_dual_mov_b32 v136, s2
	s_mov_b32 s20, exec_lo
	v_cmpx_ne_u16_e32 0x80, v1
	s_cbranch_execz .LBB277_154
; %bb.149:                              ;   in Loop: Header=BB277_11 Depth=1
	s_mov_b32 s8, s2
	v_and_b32_e32 v1, 0xffff, v1
	v_dual_mov_b32 v137, s9 :: v_dual_mov_b32 v136, s8
	s_mov_b32 s8, exec_lo
	s_delay_alu instid0(VALU_DEP_2) | instskip(NEXT) | instid1(VALU_DEP_1)
	v_and_b32_e32 v2, 0x7f, v1
	v_cmpx_ne_u32_e32 0x7f, v2
	s_cbranch_execz .LBB277_153
; %bb.150:                              ;   in Loop: Header=BB277_11 Depth=1
	v_and_b32_e32 v46, 7, v1
	v_lshrrev_b32_e32 v1, 3, v2
	s_mov_b32 s21, exec_lo
	v_cmpx_gt_u32_e32 8, v2
; %bb.151:                              ;   in Loop: Header=BB277_11 Depth=1
	s_delay_alu instid0(VALU_DEP_3) | instskip(NEXT) | instid1(VALU_DEP_1)
	v_clz_i32_u32_e32 v1, v46
	v_min_u32_e32 v1, 32, v1
	s_delay_alu instid0(VALU_DEP_1) | instskip(SKIP_1) | instid1(VALU_DEP_2)
	v_subrev_nc_u32_e32 v2, 28, v1
	v_sub_nc_u32_e32 v1, 29, v1
	v_lshlrev_b64 v[2:3], v2, v[46:47]
	s_delay_alu instid0(VALU_DEP_1)
	v_and_b32_e32 v46, 7, v2
; %bb.152:                              ;   in Loop: Header=BB277_11 Depth=1
	s_or_b32 exec_lo, exec_lo, s21
	v_lshlrev_b32_e32 v2, 16, v0
	s_delay_alu instid0(VALU_DEP_2) | instskip(SKIP_1) | instid1(VALU_DEP_3)
	v_dual_mov_b32 v136, v47 :: v_dual_lshlrev_b32 v3, 20, v46
	v_lshl_add_u32 v1, v1, 23, 0x3c000000
	v_and_b32_e32 v2, 0x80000000, v2
	s_delay_alu instid0(VALU_DEP_1)
	v_or3_b32 v137, v3, v2, v1
.LBB277_153:                            ;   in Loop: Header=BB277_11 Depth=1
	s_or_b32 exec_lo, exec_lo, s8
.LBB277_154:                            ;   in Loop: Header=BB277_11 Depth=1
	s_delay_alu instid0(SALU_CYCLE_1)
	s_or_b32 exec_lo, exec_lo, s20
.LBB277_155:                            ;   in Loop: Header=BB277_11 Depth=1
	s_delay_alu instid0(SALU_CYCLE_1) | instskip(SKIP_4) | instid1(VALU_DEP_2)
	s_or_b32 exec_lo, exec_lo, s19
	v_mov_b32_e32 v140, 0
	v_lshrrev_b32_e32 v1, 16, v0
	v_mov_b32_e32 v141, 0
	s_mov_b32 s8, exec_lo
	v_and_b32_e32 v2, 0xff, v1
	s_delay_alu instid0(VALU_DEP_2) | instskip(NEXT) | instid1(VALU_DEP_2)
	v_dual_mov_b32 v138, v140 :: v_dual_mov_b32 v139, v141
	v_cmpx_ne_u16_e32 0, v2
	s_cbranch_execz .LBB277_163
; %bb.156:                              ;   in Loop: Header=BB277_11 Depth=1
	v_bfrev_b32_e32 v138, 1
	v_mov_b32_e32 v139, 0
	s_mov_b32 s19, exec_lo
	v_cmpx_ne_u16_e32 0x80, v2
	s_cbranch_execz .LBB277_162
; %bb.157:                              ;   in Loop: Header=BB277_11 Depth=1
	v_mov_b32_e32 v138, 0x7f800001
	v_bfe_u32 v3, v0, 16, 7
	v_mov_b32_e32 v139, 0
	s_mov_b32 s20, exec_lo
	s_delay_alu instid0(VALU_DEP_2)
	v_cmpx_ne_u32_e32 0x7f, v3
	s_cbranch_execz .LBB277_161
; %bb.158:                              ;   in Loop: Header=BB277_11 Depth=1
	v_and_b32_e32 v46, 7, v1
	v_lshrrev_b32_e32 v2, 3, v3
	s_mov_b32 s21, exec_lo
	v_cmpx_gt_u32_e32 8, v3
; %bb.159:                              ;   in Loop: Header=BB277_11 Depth=1
	s_delay_alu instid0(VALU_DEP_3) | instskip(NEXT) | instid1(VALU_DEP_1)
	v_clz_i32_u32_e32 v2, v46
	v_min_u32_e32 v2, 32, v2
	s_delay_alu instid0(VALU_DEP_1) | instskip(SKIP_1) | instid1(VALU_DEP_2)
	v_subrev_nc_u32_e32 v3, 28, v2
	v_sub_nc_u32_e32 v2, 29, v2
	v_lshlrev_b64 v[3:4], v3, v[46:47]
	s_delay_alu instid0(VALU_DEP_1)
	v_and_b32_e32 v46, 7, v3
; %bb.160:                              ;   in Loop: Header=BB277_11 Depth=1
	s_or_b32 exec_lo, exec_lo, s21
	v_lshlrev_b32_e32 v1, 24, v1
	s_delay_alu instid0(VALU_DEP_2) | instskip(SKIP_1) | instid1(VALU_DEP_3)
	v_lshlrev_b32_e32 v3, 20, v46
	v_lshl_add_u32 v2, v2, 23, 0x3c000000
	v_and_b32_e32 v1, 0x80000000, v1
	s_delay_alu instid0(VALU_DEP_1) | instskip(NEXT) | instid1(VALU_DEP_1)
	v_or3_b32 v46, v3, v1, v2
	v_dual_mov_b32 v139, v47 :: v_dual_mov_b32 v138, v46
.LBB277_161:                            ;   in Loop: Header=BB277_11 Depth=1
	s_or_b32 exec_lo, exec_lo, s20
.LBB277_162:                            ;   in Loop: Header=BB277_11 Depth=1
	s_delay_alu instid0(SALU_CYCLE_1)
	s_or_b32 exec_lo, exec_lo, s19
.LBB277_163:                            ;   in Loop: Header=BB277_11 Depth=1
	s_delay_alu instid0(SALU_CYCLE_1) | instskip(NEXT) | instid1(SALU_CYCLE_1)
	s_or_b32 exec_lo, exec_lo, s8
	s_mov_b32 s19, exec_lo
	v_cmpx_lt_u32_e32 0xffffff, v0
	s_cbranch_execz .LBB277_171
; %bb.164:                              ;   in Loop: Header=BB277_11 Depth=1
	v_lshrrev_b32_e32 v1, 24, v0
	v_dual_mov_b32 v141, s3 :: v_dual_mov_b32 v140, s2
	s_mov_b32 s20, exec_lo
	s_delay_alu instid0(VALU_DEP_2)
	v_cmpx_ne_u32_e32 0x80, v1
	s_cbranch_execz .LBB277_170
; %bb.165:                              ;   in Loop: Header=BB277_11 Depth=1
	s_mov_b32 s8, s2
	v_bfe_u32 v2, v0, 24, 7
	v_dual_mov_b32 v141, s9 :: v_dual_mov_b32 v140, s8
	s_mov_b32 s8, exec_lo
	s_delay_alu instid0(VALU_DEP_2)
	v_cmpx_ne_u32_e32 0x7f, v2
	s_cbranch_execz .LBB277_169
; %bb.166:                              ;   in Loop: Header=BB277_11 Depth=1
	v_and_b32_e32 v46, 7, v1
	v_lshrrev_b32_e32 v0, 3, v2
	s_mov_b32 s21, exec_lo
	v_cmpx_gt_u32_e32 8, v2
; %bb.167:                              ;   in Loop: Header=BB277_11 Depth=1
	s_delay_alu instid0(VALU_DEP_3) | instskip(NEXT) | instid1(VALU_DEP_1)
	v_clz_i32_u32_e32 v0, v46
	v_min_u32_e32 v0, 32, v0
	s_delay_alu instid0(VALU_DEP_1) | instskip(SKIP_1) | instid1(VALU_DEP_2)
	v_subrev_nc_u32_e32 v2, 28, v0
	v_sub_nc_u32_e32 v0, 29, v0
	v_lshlrev_b64 v[2:3], v2, v[46:47]
	s_delay_alu instid0(VALU_DEP_1)
	v_and_b32_e32 v46, 7, v2
; %bb.168:                              ;   in Loop: Header=BB277_11 Depth=1
	s_or_b32 exec_lo, exec_lo, s21
	v_dual_mov_b32 v140, v47 :: v_dual_lshlrev_b32 v1, 24, v1
	s_delay_alu instid0(VALU_DEP_2) | instskip(SKIP_1) | instid1(VALU_DEP_3)
	v_lshlrev_b32_e32 v2, 20, v46
	v_lshl_add_u32 v0, v0, 23, 0x3c000000
	v_and_b32_e32 v1, 0x80000000, v1
	s_delay_alu instid0(VALU_DEP_1)
	v_or3_b32 v141, v2, v1, v0
.LBB277_169:                            ;   in Loop: Header=BB277_11 Depth=1
	s_or_b32 exec_lo, exec_lo, s8
.LBB277_170:                            ;   in Loop: Header=BB277_11 Depth=1
	s_delay_alu instid0(SALU_CYCLE_1)
	s_or_b32 exec_lo, exec_lo, s20
.LBB277_171:                            ;   in Loop: Header=BB277_11 Depth=1
	s_delay_alu instid0(SALU_CYCLE_1) | instskip(SKIP_3) | instid1(VALU_DEP_2)
	s_or_b32 exec_lo, exec_lo, s19
	flat_load_b32 v0, v[104:105] offset:516
	v_mov_b32_e32 v152, 0
	v_mov_b32_e32 v153, 0
	v_mov_b32_e32 v142, v152
	s_mov_b32 s8, exec_lo
	s_delay_alu instid0(VALU_DEP_2) | instskip(SKIP_2) | instid1(VALU_DEP_1)
	v_mov_b32_e32 v143, v153
	s_waitcnt vmcnt(0) lgkmcnt(0)
	v_and_b32_e32 v1, 0xff, v0
	v_cmpx_ne_u16_e32 0, v1
	s_cbranch_execz .LBB277_179
; %bb.172:                              ;   in Loop: Header=BB277_11 Depth=1
	v_bfrev_b32_e32 v142, 1
	v_mov_b32_e32 v143, 0
	s_mov_b32 s19, exec_lo
	v_cmpx_ne_u16_e32 0x80, v1
	s_cbranch_execz .LBB277_178
; %bb.173:                              ;   in Loop: Header=BB277_11 Depth=1
	v_mov_b32_e32 v142, 0x7f800001
	v_dual_mov_b32 v143, 0 :: v_dual_and_b32 v2, 0x7f, v0
	s_mov_b32 s20, exec_lo
	s_delay_alu instid0(VALU_DEP_1)
	v_cmpx_ne_u32_e32 0x7f, v2
	s_cbranch_execz .LBB277_177
; %bb.174:                              ;   in Loop: Header=BB277_11 Depth=1
	v_and_b32_e32 v46, 7, v0
	v_lshrrev_b32_e32 v1, 3, v2
	s_mov_b32 s21, exec_lo
	v_cmpx_gt_u32_e32 8, v2
; %bb.175:                              ;   in Loop: Header=BB277_11 Depth=1
	s_delay_alu instid0(VALU_DEP_3) | instskip(NEXT) | instid1(VALU_DEP_1)
	v_clz_i32_u32_e32 v1, v46
	v_min_u32_e32 v1, 32, v1
	s_delay_alu instid0(VALU_DEP_1) | instskip(SKIP_1) | instid1(VALU_DEP_2)
	v_subrev_nc_u32_e32 v2, 28, v1
	v_sub_nc_u32_e32 v1, 29, v1
	v_lshlrev_b64 v[2:3], v2, v[46:47]
	s_delay_alu instid0(VALU_DEP_1)
	v_and_b32_e32 v46, 7, v2
; %bb.176:                              ;   in Loop: Header=BB277_11 Depth=1
	s_or_b32 exec_lo, exec_lo, s21
	v_lshlrev_b32_e32 v2, 24, v0
	s_delay_alu instid0(VALU_DEP_2) | instskip(SKIP_1) | instid1(VALU_DEP_3)
	v_lshlrev_b32_e32 v3, 20, v46
	v_lshl_add_u32 v1, v1, 23, 0x3c000000
	v_and_b32_e32 v2, 0x80000000, v2
	s_delay_alu instid0(VALU_DEP_1) | instskip(NEXT) | instid1(VALU_DEP_1)
	v_or3_b32 v46, v3, v2, v1
	v_dual_mov_b32 v143, v47 :: v_dual_mov_b32 v142, v46
.LBB277_177:                            ;   in Loop: Header=BB277_11 Depth=1
	s_or_b32 exec_lo, exec_lo, s20
.LBB277_178:                            ;   in Loop: Header=BB277_11 Depth=1
	s_delay_alu instid0(SALU_CYCLE_1)
	s_or_b32 exec_lo, exec_lo, s19
.LBB277_179:                            ;   in Loop: Header=BB277_11 Depth=1
	s_delay_alu instid0(SALU_CYCLE_1) | instskip(SKIP_2) | instid1(VALU_DEP_1)
	s_or_b32 exec_lo, exec_lo, s8
	v_lshrrev_b16 v1, 8, v0
	s_mov_b32 s19, exec_lo
	v_cmpx_ne_u16_e32 0, v1
	s_cbranch_execz .LBB277_187
; %bb.180:                              ;   in Loop: Header=BB277_11 Depth=1
	v_dual_mov_b32 v153, s3 :: v_dual_mov_b32 v152, s2
	s_mov_b32 s20, exec_lo
	v_cmpx_ne_u16_e32 0x80, v1
	s_cbranch_execz .LBB277_186
; %bb.181:                              ;   in Loop: Header=BB277_11 Depth=1
	s_mov_b32 s8, s2
	v_and_b32_e32 v1, 0xffff, v1
	v_dual_mov_b32 v153, s9 :: v_dual_mov_b32 v152, s8
	s_mov_b32 s8, exec_lo
	s_delay_alu instid0(VALU_DEP_2) | instskip(NEXT) | instid1(VALU_DEP_1)
	v_and_b32_e32 v2, 0x7f, v1
	v_cmpx_ne_u32_e32 0x7f, v2
	s_cbranch_execz .LBB277_185
; %bb.182:                              ;   in Loop: Header=BB277_11 Depth=1
	v_and_b32_e32 v46, 7, v1
	v_lshrrev_b32_e32 v1, 3, v2
	s_mov_b32 s21, exec_lo
	v_cmpx_gt_u32_e32 8, v2
; %bb.183:                              ;   in Loop: Header=BB277_11 Depth=1
	s_delay_alu instid0(VALU_DEP_3) | instskip(NEXT) | instid1(VALU_DEP_1)
	v_clz_i32_u32_e32 v1, v46
	v_min_u32_e32 v1, 32, v1
	s_delay_alu instid0(VALU_DEP_1) | instskip(SKIP_1) | instid1(VALU_DEP_2)
	v_subrev_nc_u32_e32 v2, 28, v1
	v_sub_nc_u32_e32 v1, 29, v1
	v_lshlrev_b64 v[2:3], v2, v[46:47]
	s_delay_alu instid0(VALU_DEP_1)
	v_and_b32_e32 v46, 7, v2
; %bb.184:                              ;   in Loop: Header=BB277_11 Depth=1
	s_or_b32 exec_lo, exec_lo, s21
	v_lshlrev_b32_e32 v2, 16, v0
	s_delay_alu instid0(VALU_DEP_2) | instskip(SKIP_1) | instid1(VALU_DEP_3)
	v_dual_mov_b32 v152, v47 :: v_dual_lshlrev_b32 v3, 20, v46
	v_lshl_add_u32 v1, v1, 23, 0x3c000000
	v_and_b32_e32 v2, 0x80000000, v2
	s_delay_alu instid0(VALU_DEP_1)
	v_or3_b32 v153, v3, v2, v1
.LBB277_185:                            ;   in Loop: Header=BB277_11 Depth=1
	s_or_b32 exec_lo, exec_lo, s8
.LBB277_186:                            ;   in Loop: Header=BB277_11 Depth=1
	s_delay_alu instid0(SALU_CYCLE_1)
	s_or_b32 exec_lo, exec_lo, s20
.LBB277_187:                            ;   in Loop: Header=BB277_11 Depth=1
	s_delay_alu instid0(SALU_CYCLE_1) | instskip(SKIP_4) | instid1(VALU_DEP_2)
	s_or_b32 exec_lo, exec_lo, s19
	v_mov_b32_e32 v156, 0
	v_lshrrev_b32_e32 v1, 16, v0
	v_mov_b32_e32 v157, 0
	s_mov_b32 s8, exec_lo
	v_and_b32_e32 v2, 0xff, v1
	s_delay_alu instid0(VALU_DEP_2) | instskip(NEXT) | instid1(VALU_DEP_2)
	v_dual_mov_b32 v154, v156 :: v_dual_mov_b32 v155, v157
	v_cmpx_ne_u16_e32 0, v2
	s_cbranch_execz .LBB277_195
; %bb.188:                              ;   in Loop: Header=BB277_11 Depth=1
	v_bfrev_b32_e32 v154, 1
	v_mov_b32_e32 v155, 0
	s_mov_b32 s19, exec_lo
	v_cmpx_ne_u16_e32 0x80, v2
	s_cbranch_execz .LBB277_194
; %bb.189:                              ;   in Loop: Header=BB277_11 Depth=1
	v_mov_b32_e32 v154, 0x7f800001
	v_bfe_u32 v3, v0, 16, 7
	v_mov_b32_e32 v155, 0
	s_mov_b32 s20, exec_lo
	s_delay_alu instid0(VALU_DEP_2)
	v_cmpx_ne_u32_e32 0x7f, v3
	s_cbranch_execz .LBB277_193
; %bb.190:                              ;   in Loop: Header=BB277_11 Depth=1
	v_and_b32_e32 v46, 7, v1
	v_lshrrev_b32_e32 v2, 3, v3
	s_mov_b32 s21, exec_lo
	v_cmpx_gt_u32_e32 8, v3
; %bb.191:                              ;   in Loop: Header=BB277_11 Depth=1
	s_delay_alu instid0(VALU_DEP_3) | instskip(NEXT) | instid1(VALU_DEP_1)
	v_clz_i32_u32_e32 v2, v46
	v_min_u32_e32 v2, 32, v2
	s_delay_alu instid0(VALU_DEP_1) | instskip(SKIP_1) | instid1(VALU_DEP_2)
	v_subrev_nc_u32_e32 v3, 28, v2
	v_sub_nc_u32_e32 v2, 29, v2
	v_lshlrev_b64 v[3:4], v3, v[46:47]
	s_delay_alu instid0(VALU_DEP_1)
	v_and_b32_e32 v46, 7, v3
; %bb.192:                              ;   in Loop: Header=BB277_11 Depth=1
	s_or_b32 exec_lo, exec_lo, s21
	v_lshlrev_b32_e32 v1, 24, v1
	s_delay_alu instid0(VALU_DEP_2) | instskip(SKIP_1) | instid1(VALU_DEP_3)
	v_lshlrev_b32_e32 v3, 20, v46
	v_lshl_add_u32 v2, v2, 23, 0x3c000000
	v_and_b32_e32 v1, 0x80000000, v1
	s_delay_alu instid0(VALU_DEP_1) | instskip(NEXT) | instid1(VALU_DEP_1)
	v_or3_b32 v46, v3, v1, v2
	v_dual_mov_b32 v155, v47 :: v_dual_mov_b32 v154, v46
.LBB277_193:                            ;   in Loop: Header=BB277_11 Depth=1
	s_or_b32 exec_lo, exec_lo, s20
.LBB277_194:                            ;   in Loop: Header=BB277_11 Depth=1
	s_delay_alu instid0(SALU_CYCLE_1)
	s_or_b32 exec_lo, exec_lo, s19
.LBB277_195:                            ;   in Loop: Header=BB277_11 Depth=1
	s_delay_alu instid0(SALU_CYCLE_1) | instskip(NEXT) | instid1(SALU_CYCLE_1)
	s_or_b32 exec_lo, exec_lo, s8
	s_mov_b32 s19, exec_lo
	v_cmpx_lt_u32_e32 0xffffff, v0
	s_cbranch_execz .LBB277_203
; %bb.196:                              ;   in Loop: Header=BB277_11 Depth=1
	v_lshrrev_b32_e32 v1, 24, v0
	v_dual_mov_b32 v157, s3 :: v_dual_mov_b32 v156, s2
	s_mov_b32 s20, exec_lo
	s_delay_alu instid0(VALU_DEP_2)
	v_cmpx_ne_u32_e32 0x80, v1
	s_cbranch_execz .LBB277_202
; %bb.197:                              ;   in Loop: Header=BB277_11 Depth=1
	s_mov_b32 s8, s2
	v_bfe_u32 v2, v0, 24, 7
	v_dual_mov_b32 v157, s9 :: v_dual_mov_b32 v156, s8
	s_mov_b32 s8, exec_lo
	s_delay_alu instid0(VALU_DEP_2)
	v_cmpx_ne_u32_e32 0x7f, v2
	s_cbranch_execz .LBB277_201
; %bb.198:                              ;   in Loop: Header=BB277_11 Depth=1
	v_and_b32_e32 v46, 7, v1
	v_lshrrev_b32_e32 v0, 3, v2
	s_mov_b32 s21, exec_lo
	v_cmpx_gt_u32_e32 8, v2
; %bb.199:                              ;   in Loop: Header=BB277_11 Depth=1
	s_delay_alu instid0(VALU_DEP_3) | instskip(NEXT) | instid1(VALU_DEP_1)
	v_clz_i32_u32_e32 v0, v46
	v_min_u32_e32 v0, 32, v0
	s_delay_alu instid0(VALU_DEP_1) | instskip(SKIP_1) | instid1(VALU_DEP_2)
	v_subrev_nc_u32_e32 v2, 28, v0
	v_sub_nc_u32_e32 v0, 29, v0
	v_lshlrev_b64 v[2:3], v2, v[46:47]
	s_delay_alu instid0(VALU_DEP_1)
	v_and_b32_e32 v46, 7, v2
; %bb.200:                              ;   in Loop: Header=BB277_11 Depth=1
	s_or_b32 exec_lo, exec_lo, s21
	v_dual_mov_b32 v156, v47 :: v_dual_lshlrev_b32 v1, 24, v1
	s_delay_alu instid0(VALU_DEP_2) | instskip(SKIP_1) | instid1(VALU_DEP_3)
	v_lshlrev_b32_e32 v2, 20, v46
	v_lshl_add_u32 v0, v0, 23, 0x3c000000
	v_and_b32_e32 v1, 0x80000000, v1
	s_delay_alu instid0(VALU_DEP_1)
	v_or3_b32 v157, v2, v1, v0
.LBB277_201:                            ;   in Loop: Header=BB277_11 Depth=1
	s_or_b32 exec_lo, exec_lo, s8
.LBB277_202:                            ;   in Loop: Header=BB277_11 Depth=1
	s_delay_alu instid0(SALU_CYCLE_1)
	s_or_b32 exec_lo, exec_lo, s20
.LBB277_203:                            ;   in Loop: Header=BB277_11 Depth=1
	s_delay_alu instid0(SALU_CYCLE_1) | instskip(SKIP_4) | instid1(VALU_DEP_1)
	s_or_b32 exec_lo, exec_lo, s19
	flat_load_b32 v0, v[104:105] offset:520
	v_mov_b32_e32 v158, 0
	v_mov_b32_e32 v159, 0
	s_mov_b32 s8, exec_lo
	v_dual_mov_b32 v169, v159 :: v_dual_mov_b32 v168, v158
	s_waitcnt vmcnt(0) lgkmcnt(0)
	v_and_b32_e32 v1, 0xff, v0
	s_delay_alu instid0(VALU_DEP_1)
	v_cmpx_ne_u16_e32 0, v1
	s_cbranch_execz .LBB277_211
; %bb.204:                              ;   in Loop: Header=BB277_11 Depth=1
	v_bfrev_b32_e32 v168, 1
	v_mov_b32_e32 v169, 0
	s_mov_b32 s19, exec_lo
	v_cmpx_ne_u16_e32 0x80, v1
	s_cbranch_execz .LBB277_210
; %bb.205:                              ;   in Loop: Header=BB277_11 Depth=1
	v_mov_b32_e32 v168, 0x7f800001
	v_dual_mov_b32 v169, 0 :: v_dual_and_b32 v2, 0x7f, v0
	s_mov_b32 s20, exec_lo
	s_delay_alu instid0(VALU_DEP_1)
	v_cmpx_ne_u32_e32 0x7f, v2
	s_cbranch_execz .LBB277_209
; %bb.206:                              ;   in Loop: Header=BB277_11 Depth=1
	v_and_b32_e32 v46, 7, v0
	v_lshrrev_b32_e32 v1, 3, v2
	s_mov_b32 s21, exec_lo
	v_cmpx_gt_u32_e32 8, v2
; %bb.207:                              ;   in Loop: Header=BB277_11 Depth=1
	s_delay_alu instid0(VALU_DEP_3) | instskip(NEXT) | instid1(VALU_DEP_1)
	v_clz_i32_u32_e32 v1, v46
	v_min_u32_e32 v1, 32, v1
	s_delay_alu instid0(VALU_DEP_1) | instskip(SKIP_1) | instid1(VALU_DEP_2)
	v_subrev_nc_u32_e32 v2, 28, v1
	v_sub_nc_u32_e32 v1, 29, v1
	v_lshlrev_b64 v[2:3], v2, v[46:47]
	s_delay_alu instid0(VALU_DEP_1)
	v_and_b32_e32 v46, 7, v2
; %bb.208:                              ;   in Loop: Header=BB277_11 Depth=1
	s_or_b32 exec_lo, exec_lo, s21
	v_lshlrev_b32_e32 v2, 24, v0
	s_delay_alu instid0(VALU_DEP_2) | instskip(SKIP_1) | instid1(VALU_DEP_3)
	v_lshlrev_b32_e32 v3, 20, v46
	v_lshl_add_u32 v1, v1, 23, 0x3c000000
	v_and_b32_e32 v2, 0x80000000, v2
	s_delay_alu instid0(VALU_DEP_1) | instskip(NEXT) | instid1(VALU_DEP_1)
	v_or3_b32 v46, v3, v2, v1
	v_dual_mov_b32 v169, v47 :: v_dual_mov_b32 v168, v46
.LBB277_209:                            ;   in Loop: Header=BB277_11 Depth=1
	s_or_b32 exec_lo, exec_lo, s20
.LBB277_210:                            ;   in Loop: Header=BB277_11 Depth=1
	s_delay_alu instid0(SALU_CYCLE_1)
	s_or_b32 exec_lo, exec_lo, s19
.LBB277_211:                            ;   in Loop: Header=BB277_11 Depth=1
	s_delay_alu instid0(SALU_CYCLE_1) | instskip(SKIP_2) | instid1(VALU_DEP_1)
	s_or_b32 exec_lo, exec_lo, s8
	v_lshrrev_b16 v1, 8, v0
	s_mov_b32 s19, exec_lo
	v_cmpx_ne_u16_e32 0, v1
	s_cbranch_execz .LBB277_219
; %bb.212:                              ;   in Loop: Header=BB277_11 Depth=1
	v_dual_mov_b32 v159, s3 :: v_dual_mov_b32 v158, s2
	s_mov_b32 s20, exec_lo
	v_cmpx_ne_u16_e32 0x80, v1
	s_cbranch_execz .LBB277_218
; %bb.213:                              ;   in Loop: Header=BB277_11 Depth=1
	s_mov_b32 s8, s2
	v_and_b32_e32 v1, 0xffff, v1
	v_dual_mov_b32 v159, s9 :: v_dual_mov_b32 v158, s8
	s_mov_b32 s8, exec_lo
	s_delay_alu instid0(VALU_DEP_2) | instskip(NEXT) | instid1(VALU_DEP_1)
	v_and_b32_e32 v2, 0x7f, v1
	v_cmpx_ne_u32_e32 0x7f, v2
	s_cbranch_execz .LBB277_217
; %bb.214:                              ;   in Loop: Header=BB277_11 Depth=1
	v_and_b32_e32 v46, 7, v1
	v_lshrrev_b32_e32 v1, 3, v2
	s_mov_b32 s21, exec_lo
	v_cmpx_gt_u32_e32 8, v2
; %bb.215:                              ;   in Loop: Header=BB277_11 Depth=1
	s_delay_alu instid0(VALU_DEP_3) | instskip(NEXT) | instid1(VALU_DEP_1)
	v_clz_i32_u32_e32 v1, v46
	v_min_u32_e32 v1, 32, v1
	s_delay_alu instid0(VALU_DEP_1) | instskip(SKIP_1) | instid1(VALU_DEP_2)
	v_subrev_nc_u32_e32 v2, 28, v1
	v_sub_nc_u32_e32 v1, 29, v1
	v_lshlrev_b64 v[2:3], v2, v[46:47]
	s_delay_alu instid0(VALU_DEP_1)
	v_and_b32_e32 v46, 7, v2
; %bb.216:                              ;   in Loop: Header=BB277_11 Depth=1
	s_or_b32 exec_lo, exec_lo, s21
	v_lshlrev_b32_e32 v2, 16, v0
	s_delay_alu instid0(VALU_DEP_2) | instskip(SKIP_1) | instid1(VALU_DEP_3)
	v_dual_mov_b32 v158, v47 :: v_dual_lshlrev_b32 v3, 20, v46
	v_lshl_add_u32 v1, v1, 23, 0x3c000000
	v_and_b32_e32 v2, 0x80000000, v2
	s_delay_alu instid0(VALU_DEP_1)
	v_or3_b32 v159, v3, v2, v1
.LBB277_217:                            ;   in Loop: Header=BB277_11 Depth=1
	s_or_b32 exec_lo, exec_lo, s8
.LBB277_218:                            ;   in Loop: Header=BB277_11 Depth=1
	s_delay_alu instid0(SALU_CYCLE_1)
	s_or_b32 exec_lo, exec_lo, s20
.LBB277_219:                            ;   in Loop: Header=BB277_11 Depth=1
	s_delay_alu instid0(SALU_CYCLE_1) | instskip(SKIP_4) | instid1(VALU_DEP_1)
	s_or_b32 exec_lo, exec_lo, s19
	v_mov_b32_e32 v170, 0
	v_lshrrev_b32_e32 v1, 16, v0
	v_mov_b32_e32 v171, 0
	s_mov_b32 s8, exec_lo
	v_dual_mov_b32 v173, v171 :: v_dual_and_b32 v2, 0xff, v1
	v_mov_b32_e32 v172, v170
	s_delay_alu instid0(VALU_DEP_2)
	v_cmpx_ne_u16_e32 0, v2
	s_cbranch_execz .LBB277_227
; %bb.220:                              ;   in Loop: Header=BB277_11 Depth=1
	v_bfrev_b32_e32 v172, 1
	v_mov_b32_e32 v173, 0
	s_mov_b32 s19, exec_lo
	v_cmpx_ne_u16_e32 0x80, v2
	s_cbranch_execz .LBB277_226
; %bb.221:                              ;   in Loop: Header=BB277_11 Depth=1
	v_mov_b32_e32 v172, 0x7f800001
	v_bfe_u32 v3, v0, 16, 7
	v_mov_b32_e32 v173, 0
	s_mov_b32 s20, exec_lo
	s_delay_alu instid0(VALU_DEP_2)
	v_cmpx_ne_u32_e32 0x7f, v3
	s_cbranch_execz .LBB277_225
; %bb.222:                              ;   in Loop: Header=BB277_11 Depth=1
	v_and_b32_e32 v46, 7, v1
	v_lshrrev_b32_e32 v2, 3, v3
	s_mov_b32 s21, exec_lo
	v_cmpx_gt_u32_e32 8, v3
; %bb.223:                              ;   in Loop: Header=BB277_11 Depth=1
	s_delay_alu instid0(VALU_DEP_3) | instskip(NEXT) | instid1(VALU_DEP_1)
	v_clz_i32_u32_e32 v2, v46
	v_min_u32_e32 v2, 32, v2
	s_delay_alu instid0(VALU_DEP_1) | instskip(SKIP_1) | instid1(VALU_DEP_2)
	v_subrev_nc_u32_e32 v3, 28, v2
	v_sub_nc_u32_e32 v2, 29, v2
	v_lshlrev_b64 v[3:4], v3, v[46:47]
	s_delay_alu instid0(VALU_DEP_1)
	v_and_b32_e32 v46, 7, v3
; %bb.224:                              ;   in Loop: Header=BB277_11 Depth=1
	s_or_b32 exec_lo, exec_lo, s21
	v_lshlrev_b32_e32 v1, 24, v1
	s_delay_alu instid0(VALU_DEP_2) | instskip(SKIP_1) | instid1(VALU_DEP_3)
	v_lshlrev_b32_e32 v3, 20, v46
	v_lshl_add_u32 v2, v2, 23, 0x3c000000
	v_and_b32_e32 v1, 0x80000000, v1
	s_delay_alu instid0(VALU_DEP_1) | instskip(NEXT) | instid1(VALU_DEP_1)
	v_or3_b32 v46, v3, v1, v2
	v_dual_mov_b32 v173, v47 :: v_dual_mov_b32 v172, v46
.LBB277_225:                            ;   in Loop: Header=BB277_11 Depth=1
	s_or_b32 exec_lo, exec_lo, s20
.LBB277_226:                            ;   in Loop: Header=BB277_11 Depth=1
	s_delay_alu instid0(SALU_CYCLE_1)
	s_or_b32 exec_lo, exec_lo, s19
.LBB277_227:                            ;   in Loop: Header=BB277_11 Depth=1
	s_delay_alu instid0(SALU_CYCLE_1) | instskip(NEXT) | instid1(SALU_CYCLE_1)
	s_or_b32 exec_lo, exec_lo, s8
	s_mov_b32 s19, exec_lo
	v_cmpx_lt_u32_e32 0xffffff, v0
	s_cbranch_execz .LBB277_235
; %bb.228:                              ;   in Loop: Header=BB277_11 Depth=1
	v_lshrrev_b32_e32 v1, 24, v0
	v_dual_mov_b32 v171, s3 :: v_dual_mov_b32 v170, s2
	s_mov_b32 s20, exec_lo
	s_delay_alu instid0(VALU_DEP_2)
	v_cmpx_ne_u32_e32 0x80, v1
	s_cbranch_execz .LBB277_234
; %bb.229:                              ;   in Loop: Header=BB277_11 Depth=1
	s_mov_b32 s8, s2
	v_bfe_u32 v2, v0, 24, 7
	v_dual_mov_b32 v171, s9 :: v_dual_mov_b32 v170, s8
	s_mov_b32 s8, exec_lo
	s_delay_alu instid0(VALU_DEP_2)
	v_cmpx_ne_u32_e32 0x7f, v2
	s_cbranch_execz .LBB277_233
; %bb.230:                              ;   in Loop: Header=BB277_11 Depth=1
	v_and_b32_e32 v46, 7, v1
	v_lshrrev_b32_e32 v0, 3, v2
	s_mov_b32 s21, exec_lo
	v_cmpx_gt_u32_e32 8, v2
; %bb.231:                              ;   in Loop: Header=BB277_11 Depth=1
	s_delay_alu instid0(VALU_DEP_3) | instskip(NEXT) | instid1(VALU_DEP_1)
	v_clz_i32_u32_e32 v0, v46
	v_min_u32_e32 v0, 32, v0
	s_delay_alu instid0(VALU_DEP_1) | instskip(SKIP_1) | instid1(VALU_DEP_2)
	v_subrev_nc_u32_e32 v2, 28, v0
	v_sub_nc_u32_e32 v0, 29, v0
	v_lshlrev_b64 v[2:3], v2, v[46:47]
	s_delay_alu instid0(VALU_DEP_1)
	v_and_b32_e32 v46, 7, v2
; %bb.232:                              ;   in Loop: Header=BB277_11 Depth=1
	s_or_b32 exec_lo, exec_lo, s21
	v_dual_mov_b32 v170, v47 :: v_dual_lshlrev_b32 v1, 24, v1
	s_delay_alu instid0(VALU_DEP_2) | instskip(SKIP_1) | instid1(VALU_DEP_3)
	v_lshlrev_b32_e32 v2, 20, v46
	v_lshl_add_u32 v0, v0, 23, 0x3c000000
	v_and_b32_e32 v1, 0x80000000, v1
	s_delay_alu instid0(VALU_DEP_1)
	v_or3_b32 v171, v2, v1, v0
.LBB277_233:                            ;   in Loop: Header=BB277_11 Depth=1
	s_or_b32 exec_lo, exec_lo, s8
.LBB277_234:                            ;   in Loop: Header=BB277_11 Depth=1
	s_delay_alu instid0(SALU_CYCLE_1)
	s_or_b32 exec_lo, exec_lo, s20
.LBB277_235:                            ;   in Loop: Header=BB277_11 Depth=1
	s_delay_alu instid0(SALU_CYCLE_1) | instskip(SKIP_4) | instid1(VALU_DEP_1)
	s_or_b32 exec_lo, exec_lo, s19
	flat_load_b32 v0, v[104:105] offset:524
	v_mov_b32_e32 v174, 0
	v_mov_b32_e32 v175, 0
	s_mov_b32 s8, exec_lo
	v_dual_mov_b32 v185, v175 :: v_dual_mov_b32 v184, v174
	s_waitcnt vmcnt(0) lgkmcnt(0)
	v_and_b32_e32 v1, 0xff, v0
	s_delay_alu instid0(VALU_DEP_1)
	v_cmpx_ne_u16_e32 0, v1
	s_cbranch_execz .LBB277_243
; %bb.236:                              ;   in Loop: Header=BB277_11 Depth=1
	v_bfrev_b32_e32 v184, 1
	v_mov_b32_e32 v185, 0
	s_mov_b32 s19, exec_lo
	v_cmpx_ne_u16_e32 0x80, v1
	s_cbranch_execz .LBB277_242
; %bb.237:                              ;   in Loop: Header=BB277_11 Depth=1
	v_mov_b32_e32 v184, 0x7f800001
	v_dual_mov_b32 v185, 0 :: v_dual_and_b32 v2, 0x7f, v0
	s_mov_b32 s20, exec_lo
	s_delay_alu instid0(VALU_DEP_1)
	v_cmpx_ne_u32_e32 0x7f, v2
	s_cbranch_execz .LBB277_241
; %bb.238:                              ;   in Loop: Header=BB277_11 Depth=1
	v_and_b32_e32 v46, 7, v0
	v_lshrrev_b32_e32 v1, 3, v2
	s_mov_b32 s21, exec_lo
	v_cmpx_gt_u32_e32 8, v2
; %bb.239:                              ;   in Loop: Header=BB277_11 Depth=1
	s_delay_alu instid0(VALU_DEP_3) | instskip(NEXT) | instid1(VALU_DEP_1)
	v_clz_i32_u32_e32 v1, v46
	v_min_u32_e32 v1, 32, v1
	s_delay_alu instid0(VALU_DEP_1) | instskip(SKIP_1) | instid1(VALU_DEP_2)
	v_subrev_nc_u32_e32 v2, 28, v1
	v_sub_nc_u32_e32 v1, 29, v1
	v_lshlrev_b64 v[2:3], v2, v[46:47]
	s_delay_alu instid0(VALU_DEP_1)
	v_and_b32_e32 v46, 7, v2
; %bb.240:                              ;   in Loop: Header=BB277_11 Depth=1
	s_or_b32 exec_lo, exec_lo, s21
	v_lshlrev_b32_e32 v2, 24, v0
	s_delay_alu instid0(VALU_DEP_2) | instskip(SKIP_1) | instid1(VALU_DEP_3)
	v_lshlrev_b32_e32 v3, 20, v46
	v_lshl_add_u32 v1, v1, 23, 0x3c000000
	v_and_b32_e32 v2, 0x80000000, v2
	s_delay_alu instid0(VALU_DEP_1) | instskip(NEXT) | instid1(VALU_DEP_1)
	v_or3_b32 v46, v3, v2, v1
	v_dual_mov_b32 v185, v47 :: v_dual_mov_b32 v184, v46
.LBB277_241:                            ;   in Loop: Header=BB277_11 Depth=1
	s_or_b32 exec_lo, exec_lo, s20
.LBB277_242:                            ;   in Loop: Header=BB277_11 Depth=1
	s_delay_alu instid0(SALU_CYCLE_1)
	s_or_b32 exec_lo, exec_lo, s19
.LBB277_243:                            ;   in Loop: Header=BB277_11 Depth=1
	s_delay_alu instid0(SALU_CYCLE_1) | instskip(SKIP_2) | instid1(VALU_DEP_1)
	s_or_b32 exec_lo, exec_lo, s8
	v_lshrrev_b16 v1, 8, v0
	s_mov_b32 s19, exec_lo
	v_cmpx_ne_u16_e32 0, v1
	s_cbranch_execz .LBB277_251
; %bb.244:                              ;   in Loop: Header=BB277_11 Depth=1
	v_dual_mov_b32 v175, s3 :: v_dual_mov_b32 v174, s2
	s_mov_b32 s20, exec_lo
	v_cmpx_ne_u16_e32 0x80, v1
	s_cbranch_execz .LBB277_250
; %bb.245:                              ;   in Loop: Header=BB277_11 Depth=1
	s_mov_b32 s8, s2
	v_and_b32_e32 v1, 0xffff, v1
	v_dual_mov_b32 v175, s9 :: v_dual_mov_b32 v174, s8
	s_mov_b32 s8, exec_lo
	s_delay_alu instid0(VALU_DEP_2) | instskip(NEXT) | instid1(VALU_DEP_1)
	v_and_b32_e32 v2, 0x7f, v1
	v_cmpx_ne_u32_e32 0x7f, v2
	s_cbranch_execz .LBB277_249
; %bb.246:                              ;   in Loop: Header=BB277_11 Depth=1
	v_and_b32_e32 v46, 7, v1
	v_lshrrev_b32_e32 v1, 3, v2
	s_mov_b32 s21, exec_lo
	v_cmpx_gt_u32_e32 8, v2
; %bb.247:                              ;   in Loop: Header=BB277_11 Depth=1
	s_delay_alu instid0(VALU_DEP_3) | instskip(NEXT) | instid1(VALU_DEP_1)
	v_clz_i32_u32_e32 v1, v46
	v_min_u32_e32 v1, 32, v1
	s_delay_alu instid0(VALU_DEP_1) | instskip(SKIP_1) | instid1(VALU_DEP_2)
	v_subrev_nc_u32_e32 v2, 28, v1
	v_sub_nc_u32_e32 v1, 29, v1
	v_lshlrev_b64 v[2:3], v2, v[46:47]
	s_delay_alu instid0(VALU_DEP_1)
	v_and_b32_e32 v46, 7, v2
; %bb.248:                              ;   in Loop: Header=BB277_11 Depth=1
	s_or_b32 exec_lo, exec_lo, s21
	v_lshlrev_b32_e32 v2, 16, v0
	s_delay_alu instid0(VALU_DEP_2) | instskip(SKIP_1) | instid1(VALU_DEP_3)
	v_dual_mov_b32 v174, v47 :: v_dual_lshlrev_b32 v3, 20, v46
	v_lshl_add_u32 v1, v1, 23, 0x3c000000
	v_and_b32_e32 v2, 0x80000000, v2
	s_delay_alu instid0(VALU_DEP_1)
	v_or3_b32 v175, v3, v2, v1
.LBB277_249:                            ;   in Loop: Header=BB277_11 Depth=1
	s_or_b32 exec_lo, exec_lo, s8
.LBB277_250:                            ;   in Loop: Header=BB277_11 Depth=1
	s_delay_alu instid0(SALU_CYCLE_1)
	s_or_b32 exec_lo, exec_lo, s20
.LBB277_251:                            ;   in Loop: Header=BB277_11 Depth=1
	s_delay_alu instid0(SALU_CYCLE_1) | instskip(SKIP_4) | instid1(VALU_DEP_1)
	s_or_b32 exec_lo, exec_lo, s19
	v_mov_b32_e32 v186, 0
	v_lshrrev_b32_e32 v1, 16, v0
	v_mov_b32_e32 v187, 0
	s_mov_b32 s8, exec_lo
	v_dual_mov_b32 v189, v187 :: v_dual_and_b32 v2, 0xff, v1
	v_mov_b32_e32 v188, v186
	s_delay_alu instid0(VALU_DEP_2)
	v_cmpx_ne_u16_e32 0, v2
	s_cbranch_execz .LBB277_259
; %bb.252:                              ;   in Loop: Header=BB277_11 Depth=1
	v_bfrev_b32_e32 v188, 1
	v_mov_b32_e32 v189, 0
	s_mov_b32 s19, exec_lo
	v_cmpx_ne_u16_e32 0x80, v2
	s_cbranch_execz .LBB277_258
; %bb.253:                              ;   in Loop: Header=BB277_11 Depth=1
	v_mov_b32_e32 v188, 0x7f800001
	v_bfe_u32 v3, v0, 16, 7
	v_mov_b32_e32 v189, 0
	s_mov_b32 s20, exec_lo
	s_delay_alu instid0(VALU_DEP_2)
	v_cmpx_ne_u32_e32 0x7f, v3
	s_cbranch_execz .LBB277_257
; %bb.254:                              ;   in Loop: Header=BB277_11 Depth=1
	v_and_b32_e32 v46, 7, v1
	v_lshrrev_b32_e32 v2, 3, v3
	s_mov_b32 s21, exec_lo
	v_cmpx_gt_u32_e32 8, v3
; %bb.255:                              ;   in Loop: Header=BB277_11 Depth=1
	s_delay_alu instid0(VALU_DEP_3) | instskip(NEXT) | instid1(VALU_DEP_1)
	v_clz_i32_u32_e32 v2, v46
	v_min_u32_e32 v2, 32, v2
	s_delay_alu instid0(VALU_DEP_1) | instskip(SKIP_1) | instid1(VALU_DEP_2)
	v_subrev_nc_u32_e32 v3, 28, v2
	v_sub_nc_u32_e32 v2, 29, v2
	v_lshlrev_b64 v[3:4], v3, v[46:47]
	s_delay_alu instid0(VALU_DEP_1)
	v_and_b32_e32 v46, 7, v3
; %bb.256:                              ;   in Loop: Header=BB277_11 Depth=1
	s_or_b32 exec_lo, exec_lo, s21
	v_lshlrev_b32_e32 v1, 24, v1
	s_delay_alu instid0(VALU_DEP_2) | instskip(SKIP_1) | instid1(VALU_DEP_3)
	v_lshlrev_b32_e32 v3, 20, v46
	v_lshl_add_u32 v2, v2, 23, 0x3c000000
	v_and_b32_e32 v1, 0x80000000, v1
	s_delay_alu instid0(VALU_DEP_1) | instskip(NEXT) | instid1(VALU_DEP_1)
	v_or3_b32 v46, v3, v1, v2
	v_dual_mov_b32 v189, v47 :: v_dual_mov_b32 v188, v46
.LBB277_257:                            ;   in Loop: Header=BB277_11 Depth=1
	s_or_b32 exec_lo, exec_lo, s20
.LBB277_258:                            ;   in Loop: Header=BB277_11 Depth=1
	s_delay_alu instid0(SALU_CYCLE_1)
	s_or_b32 exec_lo, exec_lo, s19
.LBB277_259:                            ;   in Loop: Header=BB277_11 Depth=1
	s_delay_alu instid0(SALU_CYCLE_1) | instskip(NEXT) | instid1(SALU_CYCLE_1)
	s_or_b32 exec_lo, exec_lo, s8
	s_mov_b32 s19, exec_lo
	v_cmpx_lt_u32_e32 0xffffff, v0
	s_cbranch_execz .LBB277_267
; %bb.260:                              ;   in Loop: Header=BB277_11 Depth=1
	v_lshrrev_b32_e32 v1, 24, v0
	v_dual_mov_b32 v187, s3 :: v_dual_mov_b32 v186, s2
	s_mov_b32 s20, exec_lo
	s_delay_alu instid0(VALU_DEP_2)
	v_cmpx_ne_u32_e32 0x80, v1
	s_cbranch_execz .LBB277_266
; %bb.261:                              ;   in Loop: Header=BB277_11 Depth=1
	s_mov_b32 s8, s2
	v_bfe_u32 v2, v0, 24, 7
	v_dual_mov_b32 v187, s9 :: v_dual_mov_b32 v186, s8
	s_mov_b32 s8, exec_lo
	s_delay_alu instid0(VALU_DEP_2)
	v_cmpx_ne_u32_e32 0x7f, v2
	s_cbranch_execz .LBB277_265
; %bb.262:                              ;   in Loop: Header=BB277_11 Depth=1
	v_and_b32_e32 v46, 7, v1
	v_lshrrev_b32_e32 v0, 3, v2
	s_mov_b32 s21, exec_lo
	v_cmpx_gt_u32_e32 8, v2
; %bb.263:                              ;   in Loop: Header=BB277_11 Depth=1
	s_delay_alu instid0(VALU_DEP_3) | instskip(NEXT) | instid1(VALU_DEP_1)
	v_clz_i32_u32_e32 v0, v46
	v_min_u32_e32 v0, 32, v0
	s_delay_alu instid0(VALU_DEP_1) | instskip(SKIP_1) | instid1(VALU_DEP_2)
	v_subrev_nc_u32_e32 v2, 28, v0
	v_sub_nc_u32_e32 v0, 29, v0
	v_lshlrev_b64 v[2:3], v2, v[46:47]
	s_delay_alu instid0(VALU_DEP_1)
	v_and_b32_e32 v46, 7, v2
; %bb.264:                              ;   in Loop: Header=BB277_11 Depth=1
	s_or_b32 exec_lo, exec_lo, s21
	v_dual_mov_b32 v186, v47 :: v_dual_lshlrev_b32 v1, 24, v1
	s_delay_alu instid0(VALU_DEP_2) | instskip(SKIP_1) | instid1(VALU_DEP_3)
	v_lshlrev_b32_e32 v2, 20, v46
	v_lshl_add_u32 v0, v0, 23, 0x3c000000
	v_and_b32_e32 v1, 0x80000000, v1
	s_delay_alu instid0(VALU_DEP_1)
	v_or3_b32 v187, v2, v1, v0
.LBB277_265:                            ;   in Loop: Header=BB277_11 Depth=1
	s_or_b32 exec_lo, exec_lo, s8
.LBB277_266:                            ;   in Loop: Header=BB277_11 Depth=1
	s_delay_alu instid0(SALU_CYCLE_1)
	s_or_b32 exec_lo, exec_lo, s20
.LBB277_267:                            ;   in Loop: Header=BB277_11 Depth=1
	s_delay_alu instid0(SALU_CYCLE_1) | instskip(SKIP_3) | instid1(VALU_DEP_2)
	s_or_b32 exec_lo, exec_lo, s19
	flat_load_b32 v0, v[104:105] offset:1024
	v_mov_b32_e32 v190, 0
	v_mov_b32_e32 v191, 0
	;; [unrolled: 1-line block ×3, first 2 shown]
	s_mov_b32 s8, exec_lo
	s_delay_alu instid0(VALU_DEP_2) | instskip(SKIP_2) | instid1(VALU_DEP_1)
	v_mov_b32_e32 v45, v191
	s_waitcnt vmcnt(0) lgkmcnt(0)
	v_and_b32_e32 v1, 0xff, v0
	v_cmpx_ne_u16_e32 0, v1
	s_cbranch_execz .LBB277_275
; %bb.268:                              ;   in Loop: Header=BB277_11 Depth=1
	v_bfrev_b32_e32 v44, 1
	v_mov_b32_e32 v45, 0
	s_mov_b32 s19, exec_lo
	v_cmpx_ne_u16_e32 0x80, v1
	s_cbranch_execz .LBB277_274
; %bb.269:                              ;   in Loop: Header=BB277_11 Depth=1
	v_mov_b32_e32 v44, 0x7f800001
	v_dual_mov_b32 v45, 0 :: v_dual_and_b32 v2, 0x7f, v0
	s_mov_b32 s20, exec_lo
	s_delay_alu instid0(VALU_DEP_1)
	v_cmpx_ne_u32_e32 0x7f, v2
	s_cbranch_execz .LBB277_273
; %bb.270:                              ;   in Loop: Header=BB277_11 Depth=1
	v_and_b32_e32 v46, 7, v0
	v_lshrrev_b32_e32 v1, 3, v2
	s_mov_b32 s21, exec_lo
	v_cmpx_gt_u32_e32 8, v2
; %bb.271:                              ;   in Loop: Header=BB277_11 Depth=1
	s_delay_alu instid0(VALU_DEP_3) | instskip(NEXT) | instid1(VALU_DEP_1)
	v_clz_i32_u32_e32 v1, v46
	v_min_u32_e32 v1, 32, v1
	s_delay_alu instid0(VALU_DEP_1) | instskip(SKIP_1) | instid1(VALU_DEP_2)
	v_subrev_nc_u32_e32 v2, 28, v1
	v_sub_nc_u32_e32 v1, 29, v1
	v_lshlrev_b64 v[2:3], v2, v[46:47]
	s_delay_alu instid0(VALU_DEP_1)
	v_and_b32_e32 v46, 7, v2
; %bb.272:                              ;   in Loop: Header=BB277_11 Depth=1
	s_or_b32 exec_lo, exec_lo, s21
	v_lshlrev_b32_e32 v2, 24, v0
	s_delay_alu instid0(VALU_DEP_2) | instskip(SKIP_1) | instid1(VALU_DEP_3)
	v_lshlrev_b32_e32 v3, 20, v46
	v_lshl_add_u32 v1, v1, 23, 0x3c000000
	v_and_b32_e32 v2, 0x80000000, v2
	s_delay_alu instid0(VALU_DEP_1) | instskip(NEXT) | instid1(VALU_DEP_1)
	v_or3_b32 v46, v3, v2, v1
	v_dual_mov_b32 v44, v46 :: v_dual_mov_b32 v45, v47
.LBB277_273:                            ;   in Loop: Header=BB277_11 Depth=1
	s_or_b32 exec_lo, exec_lo, s20
.LBB277_274:                            ;   in Loop: Header=BB277_11 Depth=1
	s_delay_alu instid0(SALU_CYCLE_1)
	s_or_b32 exec_lo, exec_lo, s19
.LBB277_275:                            ;   in Loop: Header=BB277_11 Depth=1
	s_delay_alu instid0(SALU_CYCLE_1) | instskip(SKIP_2) | instid1(VALU_DEP_1)
	s_or_b32 exec_lo, exec_lo, s8
	v_lshrrev_b16 v1, 8, v0
	s_mov_b32 s19, exec_lo
	v_cmpx_ne_u16_e32 0, v1
	s_cbranch_execz .LBB277_283
; %bb.276:                              ;   in Loop: Header=BB277_11 Depth=1
	v_dual_mov_b32 v191, s3 :: v_dual_mov_b32 v190, s2
	s_mov_b32 s20, exec_lo
	v_cmpx_ne_u16_e32 0x80, v1
	s_cbranch_execz .LBB277_282
; %bb.277:                              ;   in Loop: Header=BB277_11 Depth=1
	s_mov_b32 s8, s2
	v_and_b32_e32 v1, 0xffff, v1
	v_dual_mov_b32 v191, s9 :: v_dual_mov_b32 v190, s8
	s_mov_b32 s8, exec_lo
	s_delay_alu instid0(VALU_DEP_2) | instskip(NEXT) | instid1(VALU_DEP_1)
	v_and_b32_e32 v2, 0x7f, v1
	v_cmpx_ne_u32_e32 0x7f, v2
	s_cbranch_execz .LBB277_281
; %bb.278:                              ;   in Loop: Header=BB277_11 Depth=1
	v_and_b32_e32 v46, 7, v1
	v_lshrrev_b32_e32 v1, 3, v2
	s_mov_b32 s21, exec_lo
	v_cmpx_gt_u32_e32 8, v2
; %bb.279:                              ;   in Loop: Header=BB277_11 Depth=1
	s_delay_alu instid0(VALU_DEP_3) | instskip(NEXT) | instid1(VALU_DEP_1)
	v_clz_i32_u32_e32 v1, v46
	v_min_u32_e32 v1, 32, v1
	s_delay_alu instid0(VALU_DEP_1) | instskip(SKIP_1) | instid1(VALU_DEP_2)
	v_subrev_nc_u32_e32 v2, 28, v1
	v_sub_nc_u32_e32 v1, 29, v1
	v_lshlrev_b64 v[2:3], v2, v[46:47]
	s_delay_alu instid0(VALU_DEP_1)
	v_and_b32_e32 v46, 7, v2
; %bb.280:                              ;   in Loop: Header=BB277_11 Depth=1
	s_or_b32 exec_lo, exec_lo, s21
	v_lshlrev_b32_e32 v2, 16, v0
	s_delay_alu instid0(VALU_DEP_2) | instskip(SKIP_1) | instid1(VALU_DEP_3)
	v_dual_mov_b32 v190, v47 :: v_dual_lshlrev_b32 v3, 20, v46
	v_lshl_add_u32 v1, v1, 23, 0x3c000000
	v_and_b32_e32 v2, 0x80000000, v2
	s_delay_alu instid0(VALU_DEP_1)
	v_or3_b32 v191, v3, v2, v1
.LBB277_281:                            ;   in Loop: Header=BB277_11 Depth=1
	s_or_b32 exec_lo, exec_lo, s8
.LBB277_282:                            ;   in Loop: Header=BB277_11 Depth=1
	s_delay_alu instid0(SALU_CYCLE_1)
	s_or_b32 exec_lo, exec_lo, s20
.LBB277_283:                            ;   in Loop: Header=BB277_11 Depth=1
	s_delay_alu instid0(SALU_CYCLE_1) | instskip(SKIP_3) | instid1(VALU_DEP_2)
	s_or_b32 exec_lo, exec_lo, s19
	v_lshrrev_b32_e32 v1, 16, v0
	v_mov_b32_e32 v11, 0
	v_mov_b32_e32 v12, 0
	;; [unrolled: 1-line block ×3, first 2 shown]
	s_mov_b32 s8, exec_lo
	s_delay_alu instid0(VALU_DEP_2) | instskip(NEXT) | instid1(VALU_DEP_1)
	v_dual_mov_b32 v5, v12 :: v_dual_and_b32 v2, 0xff, v1
	v_cmpx_ne_u16_e32 0, v2
	s_cbranch_execz .LBB277_291
; %bb.284:                              ;   in Loop: Header=BB277_11 Depth=1
	v_bfrev_b32_e32 v4, 1
	v_mov_b32_e32 v5, 0
	s_mov_b32 s19, exec_lo
	v_cmpx_ne_u16_e32 0x80, v2
	s_cbranch_execz .LBB277_290
; %bb.285:                              ;   in Loop: Header=BB277_11 Depth=1
	v_mov_b32_e32 v4, 0x7f800001
	v_bfe_u32 v3, v0, 16, 7
	v_mov_b32_e32 v5, 0
	s_mov_b32 s20, exec_lo
	s_delay_alu instid0(VALU_DEP_2)
	v_cmpx_ne_u32_e32 0x7f, v3
	s_cbranch_execz .LBB277_289
; %bb.286:                              ;   in Loop: Header=BB277_11 Depth=1
	v_and_b32_e32 v46, 7, v1
	v_lshrrev_b32_e32 v2, 3, v3
	s_mov_b32 s21, exec_lo
	v_cmpx_gt_u32_e32 8, v3
; %bb.287:                              ;   in Loop: Header=BB277_11 Depth=1
	s_delay_alu instid0(VALU_DEP_3) | instskip(NEXT) | instid1(VALU_DEP_1)
	v_clz_i32_u32_e32 v2, v46
	v_min_u32_e32 v2, 32, v2
	s_delay_alu instid0(VALU_DEP_1) | instskip(SKIP_1) | instid1(VALU_DEP_2)
	v_subrev_nc_u32_e32 v3, 28, v2
	v_sub_nc_u32_e32 v2, 29, v2
	v_lshlrev_b64 v[3:4], v3, v[46:47]
	s_delay_alu instid0(VALU_DEP_1)
	v_and_b32_e32 v46, 7, v3
; %bb.288:                              ;   in Loop: Header=BB277_11 Depth=1
	s_or_b32 exec_lo, exec_lo, s21
	v_lshlrev_b32_e32 v1, 24, v1
	s_delay_alu instid0(VALU_DEP_2) | instskip(SKIP_1) | instid1(VALU_DEP_3)
	v_lshlrev_b32_e32 v3, 20, v46
	v_lshl_add_u32 v2, v2, 23, 0x3c000000
	v_and_b32_e32 v1, 0x80000000, v1
	s_delay_alu instid0(VALU_DEP_1) | instskip(NEXT) | instid1(VALU_DEP_1)
	v_or3_b32 v46, v3, v1, v2
	v_dual_mov_b32 v4, v46 :: v_dual_mov_b32 v5, v47
.LBB277_289:                            ;   in Loop: Header=BB277_11 Depth=1
	s_or_b32 exec_lo, exec_lo, s20
.LBB277_290:                            ;   in Loop: Header=BB277_11 Depth=1
	s_delay_alu instid0(SALU_CYCLE_1)
	s_or_b32 exec_lo, exec_lo, s19
.LBB277_291:                            ;   in Loop: Header=BB277_11 Depth=1
	s_delay_alu instid0(SALU_CYCLE_1) | instskip(NEXT) | instid1(SALU_CYCLE_1)
	s_or_b32 exec_lo, exec_lo, s8
	s_mov_b32 s19, exec_lo
	v_cmpx_lt_u32_e32 0xffffff, v0
	s_cbranch_execz .LBB277_299
; %bb.292:                              ;   in Loop: Header=BB277_11 Depth=1
	v_lshrrev_b32_e32 v1, 24, v0
	v_dual_mov_b32 v12, s3 :: v_dual_mov_b32 v11, s2
	s_mov_b32 s20, exec_lo
	s_delay_alu instid0(VALU_DEP_2)
	v_cmpx_ne_u32_e32 0x80, v1
	s_cbranch_execz .LBB277_298
; %bb.293:                              ;   in Loop: Header=BB277_11 Depth=1
	s_mov_b32 s8, s2
	v_bfe_u32 v2, v0, 24, 7
	v_dual_mov_b32 v12, s9 :: v_dual_mov_b32 v11, s8
	s_mov_b32 s8, exec_lo
	s_delay_alu instid0(VALU_DEP_2)
	v_cmpx_ne_u32_e32 0x7f, v2
	s_cbranch_execz .LBB277_297
; %bb.294:                              ;   in Loop: Header=BB277_11 Depth=1
	v_and_b32_e32 v46, 7, v1
	v_lshrrev_b32_e32 v0, 3, v2
	s_mov_b32 s21, exec_lo
	v_cmpx_gt_u32_e32 8, v2
; %bb.295:                              ;   in Loop: Header=BB277_11 Depth=1
	s_delay_alu instid0(VALU_DEP_3) | instskip(NEXT) | instid1(VALU_DEP_1)
	v_clz_i32_u32_e32 v0, v46
	v_min_u32_e32 v0, 32, v0
	s_delay_alu instid0(VALU_DEP_1) | instskip(SKIP_1) | instid1(VALU_DEP_2)
	v_subrev_nc_u32_e32 v2, 28, v0
	v_sub_nc_u32_e32 v0, 29, v0
	v_lshlrev_b64 v[2:3], v2, v[46:47]
	s_delay_alu instid0(VALU_DEP_1)
	v_and_b32_e32 v46, 7, v2
; %bb.296:                              ;   in Loop: Header=BB277_11 Depth=1
	s_or_b32 exec_lo, exec_lo, s21
	v_lshlrev_b32_e32 v1, 24, v1
	s_delay_alu instid0(VALU_DEP_2) | instskip(SKIP_1) | instid1(VALU_DEP_3)
	v_dual_mov_b32 v11, v47 :: v_dual_lshlrev_b32 v2, 20, v46
	v_lshl_add_u32 v0, v0, 23, 0x3c000000
	v_and_b32_e32 v1, 0x80000000, v1
	s_delay_alu instid0(VALU_DEP_1)
	v_or3_b32 v12, v2, v1, v0
.LBB277_297:                            ;   in Loop: Header=BB277_11 Depth=1
	s_or_b32 exec_lo, exec_lo, s8
.LBB277_298:                            ;   in Loop: Header=BB277_11 Depth=1
	s_delay_alu instid0(SALU_CYCLE_1)
	s_or_b32 exec_lo, exec_lo, s20
.LBB277_299:                            ;   in Loop: Header=BB277_11 Depth=1
	s_delay_alu instid0(SALU_CYCLE_1) | instskip(SKIP_4) | instid1(VALU_DEP_1)
	s_or_b32 exec_lo, exec_lo, s19
	flat_load_b32 v6, v[104:105] offset:1028
	v_mov_b32_e32 v0, 0
	v_mov_b32_e32 v1, 0
	s_mov_b32 s8, exec_lo
	v_dual_mov_b32 v3, v1 :: v_dual_mov_b32 v2, v0
	s_waitcnt vmcnt(0) lgkmcnt(0)
	v_and_b32_e32 v7, 0xff, v6
	s_delay_alu instid0(VALU_DEP_1)
	v_cmpx_ne_u16_e32 0, v7
	s_cbranch_execz .LBB277_307
; %bb.300:                              ;   in Loop: Header=BB277_11 Depth=1
	v_bfrev_b32_e32 v2, 1
	v_mov_b32_e32 v3, 0
	s_mov_b32 s19, exec_lo
	v_cmpx_ne_u16_e32 0x80, v7
	s_cbranch_execz .LBB277_306
; %bb.301:                              ;   in Loop: Header=BB277_11 Depth=1
	v_mov_b32_e32 v2, 0x7f800001
	v_and_b32_e32 v7, 0x7f, v6
	v_mov_b32_e32 v3, 0
	s_mov_b32 s20, exec_lo
	s_delay_alu instid0(VALU_DEP_2)
	v_cmpx_ne_u32_e32 0x7f, v7
	s_cbranch_execz .LBB277_305
; %bb.302:                              ;   in Loop: Header=BB277_11 Depth=1
	v_and_b32_e32 v46, 7, v6
	v_lshrrev_b32_e32 v2, 3, v7
	s_mov_b32 s21, exec_lo
	v_cmpx_gt_u32_e32 8, v7
; %bb.303:                              ;   in Loop: Header=BB277_11 Depth=1
	s_delay_alu instid0(VALU_DEP_3) | instskip(NEXT) | instid1(VALU_DEP_1)
	v_clz_i32_u32_e32 v2, v46
	v_min_u32_e32 v2, 32, v2
	s_delay_alu instid0(VALU_DEP_1) | instskip(SKIP_1) | instid1(VALU_DEP_2)
	v_subrev_nc_u32_e32 v3, 28, v2
	v_sub_nc_u32_e32 v2, 29, v2
	v_lshlrev_b64 v[7:8], v3, v[46:47]
	s_delay_alu instid0(VALU_DEP_1)
	v_and_b32_e32 v46, 7, v7
; %bb.304:                              ;   in Loop: Header=BB277_11 Depth=1
	s_or_b32 exec_lo, exec_lo, s21
	v_lshlrev_b32_e32 v3, 24, v6
	s_delay_alu instid0(VALU_DEP_2) | instskip(SKIP_1) | instid1(VALU_DEP_3)
	v_lshlrev_b32_e32 v7, 20, v46
	v_lshl_add_u32 v2, v2, 23, 0x3c000000
	v_and_b32_e32 v3, 0x80000000, v3
	s_delay_alu instid0(VALU_DEP_1) | instskip(NEXT) | instid1(VALU_DEP_1)
	v_or3_b32 v46, v7, v3, v2
	v_dual_mov_b32 v2, v46 :: v_dual_mov_b32 v3, v47
.LBB277_305:                            ;   in Loop: Header=BB277_11 Depth=1
	s_or_b32 exec_lo, exec_lo, s20
.LBB277_306:                            ;   in Loop: Header=BB277_11 Depth=1
	s_delay_alu instid0(SALU_CYCLE_1)
	s_or_b32 exec_lo, exec_lo, s19
.LBB277_307:                            ;   in Loop: Header=BB277_11 Depth=1
	s_delay_alu instid0(SALU_CYCLE_1) | instskip(SKIP_2) | instid1(VALU_DEP_1)
	s_or_b32 exec_lo, exec_lo, s8
	v_lshrrev_b16 v7, 8, v6
	s_mov_b32 s19, exec_lo
	v_cmpx_ne_u16_e32 0, v7
	s_cbranch_execz .LBB277_315
; %bb.308:                              ;   in Loop: Header=BB277_11 Depth=1
	v_dual_mov_b32 v0, s2 :: v_dual_mov_b32 v1, s3
	s_mov_b32 s20, exec_lo
	v_cmpx_ne_u16_e32 0x80, v7
	s_cbranch_execz .LBB277_314
; %bb.309:                              ;   in Loop: Header=BB277_11 Depth=1
	s_mov_b32 s8, s2
	v_and_b32_e32 v8, 0xffff, v7
	v_dual_mov_b32 v0, s8 :: v_dual_mov_b32 v1, s9
	s_mov_b32 s8, exec_lo
	s_delay_alu instid0(VALU_DEP_2) | instskip(NEXT) | instid1(VALU_DEP_1)
	v_and_b32_e32 v7, 0x7f, v8
	v_cmpx_ne_u32_e32 0x7f, v7
	s_cbranch_execz .LBB277_313
; %bb.310:                              ;   in Loop: Header=BB277_11 Depth=1
	v_and_b32_e32 v46, 7, v8
	v_lshrrev_b32_e32 v0, 3, v7
	s_mov_b32 s21, exec_lo
	v_cmpx_gt_u32_e32 8, v7
; %bb.311:                              ;   in Loop: Header=BB277_11 Depth=1
	s_delay_alu instid0(VALU_DEP_3) | instskip(NEXT) | instid1(VALU_DEP_1)
	v_clz_i32_u32_e32 v0, v46
	v_min_u32_e32 v0, 32, v0
	s_delay_alu instid0(VALU_DEP_1) | instskip(SKIP_1) | instid1(VALU_DEP_2)
	v_subrev_nc_u32_e32 v1, 28, v0
	v_sub_nc_u32_e32 v0, 29, v0
	v_lshlrev_b64 v[7:8], v1, v[46:47]
	s_delay_alu instid0(VALU_DEP_1)
	v_and_b32_e32 v46, 7, v7
; %bb.312:                              ;   in Loop: Header=BB277_11 Depth=1
	s_or_b32 exec_lo, exec_lo, s21
	v_lshlrev_b32_e32 v1, 16, v6
	s_delay_alu instid0(VALU_DEP_2) | instskip(SKIP_1) | instid1(VALU_DEP_3)
	v_lshlrev_b32_e32 v7, 20, v46
	v_lshl_add_u32 v0, v0, 23, 0x3c000000
	v_and_b32_e32 v1, 0x80000000, v1
	s_delay_alu instid0(VALU_DEP_1)
	v_or3_b32 v1, v7, v1, v0
	v_mov_b32_e32 v0, v47
.LBB277_313:                            ;   in Loop: Header=BB277_11 Depth=1
	s_or_b32 exec_lo, exec_lo, s8
.LBB277_314:                            ;   in Loop: Header=BB277_11 Depth=1
	s_delay_alu instid0(SALU_CYCLE_1)
	s_or_b32 exec_lo, exec_lo, s20
.LBB277_315:                            ;   in Loop: Header=BB277_11 Depth=1
	s_delay_alu instid0(SALU_CYCLE_1) | instskip(SKIP_4) | instid1(VALU_DEP_1)
	s_or_b32 exec_lo, exec_lo, s19
	v_mov_b32_e32 v14, 0
	v_lshrrev_b32_e32 v7, 16, v6
	v_mov_b32_e32 v15, 0
	s_mov_b32 s8, exec_lo
	v_dual_mov_b32 v57, v15 :: v_dual_and_b32 v8, 0xff, v7
	v_mov_b32_e32 v56, v14
	s_delay_alu instid0(VALU_DEP_2)
	v_cmpx_ne_u16_e32 0, v8
	s_cbranch_execz .LBB277_323
; %bb.316:                              ;   in Loop: Header=BB277_11 Depth=1
	v_bfrev_b32_e32 v56, 1
	v_mov_b32_e32 v57, 0
	s_mov_b32 s19, exec_lo
	v_cmpx_ne_u16_e32 0x80, v8
	s_cbranch_execz .LBB277_322
; %bb.317:                              ;   in Loop: Header=BB277_11 Depth=1
	v_mov_b32_e32 v56, 0x7f800001
	v_bfe_u32 v9, v6, 16, 7
	v_mov_b32_e32 v57, 0
	s_mov_b32 s20, exec_lo
	s_delay_alu instid0(VALU_DEP_2)
	v_cmpx_ne_u32_e32 0x7f, v9
	s_cbranch_execz .LBB277_321
; %bb.318:                              ;   in Loop: Header=BB277_11 Depth=1
	v_and_b32_e32 v46, 7, v7
	v_lshrrev_b32_e32 v8, 3, v9
	s_mov_b32 s21, exec_lo
	v_cmpx_gt_u32_e32 8, v9
; %bb.319:                              ;   in Loop: Header=BB277_11 Depth=1
	s_delay_alu instid0(VALU_DEP_3) | instskip(NEXT) | instid1(VALU_DEP_1)
	v_clz_i32_u32_e32 v8, v46
	v_min_u32_e32 v8, 32, v8
	s_delay_alu instid0(VALU_DEP_1) | instskip(SKIP_1) | instid1(VALU_DEP_2)
	v_subrev_nc_u32_e32 v9, 28, v8
	v_sub_nc_u32_e32 v8, 29, v8
	v_lshlrev_b64 v[16:17], v9, v[46:47]
	s_delay_alu instid0(VALU_DEP_1)
	v_and_b32_e32 v46, 7, v16
; %bb.320:                              ;   in Loop: Header=BB277_11 Depth=1
	s_or_b32 exec_lo, exec_lo, s21
	v_lshlrev_b32_e32 v7, 24, v7
	s_delay_alu instid0(VALU_DEP_2) | instskip(SKIP_1) | instid1(VALU_DEP_3)
	v_lshlrev_b32_e32 v9, 20, v46
	v_lshl_add_u32 v8, v8, 23, 0x3c000000
	v_and_b32_e32 v7, 0x80000000, v7
	s_delay_alu instid0(VALU_DEP_1) | instskip(NEXT) | instid1(VALU_DEP_1)
	v_or3_b32 v46, v9, v7, v8
	v_dual_mov_b32 v57, v47 :: v_dual_mov_b32 v56, v46
.LBB277_321:                            ;   in Loop: Header=BB277_11 Depth=1
	s_or_b32 exec_lo, exec_lo, s20
.LBB277_322:                            ;   in Loop: Header=BB277_11 Depth=1
	s_delay_alu instid0(SALU_CYCLE_1)
	s_or_b32 exec_lo, exec_lo, s19
.LBB277_323:                            ;   in Loop: Header=BB277_11 Depth=1
	s_delay_alu instid0(SALU_CYCLE_1) | instskip(NEXT) | instid1(SALU_CYCLE_1)
	s_or_b32 exec_lo, exec_lo, s8
	s_mov_b32 s19, exec_lo
	v_cmpx_lt_u32_e32 0xffffff, v6
	s_cbranch_execz .LBB277_331
; %bb.324:                              ;   in Loop: Header=BB277_11 Depth=1
	v_lshrrev_b32_e32 v7, 24, v6
	v_dual_mov_b32 v15, s3 :: v_dual_mov_b32 v14, s2
	s_mov_b32 s20, exec_lo
	s_delay_alu instid0(VALU_DEP_2)
	v_cmpx_ne_u32_e32 0x80, v7
	s_cbranch_execz .LBB277_330
; %bb.325:                              ;   in Loop: Header=BB277_11 Depth=1
	s_mov_b32 s8, s2
	v_bfe_u32 v8, v6, 24, 7
	v_dual_mov_b32 v15, s9 :: v_dual_mov_b32 v14, s8
	s_mov_b32 s8, exec_lo
	s_delay_alu instid0(VALU_DEP_2)
	v_cmpx_ne_u32_e32 0x7f, v8
	s_cbranch_execz .LBB277_329
; %bb.326:                              ;   in Loop: Header=BB277_11 Depth=1
	v_and_b32_e32 v46, 7, v7
	v_lshrrev_b32_e32 v6, 3, v8
	s_mov_b32 s21, exec_lo
	v_cmpx_gt_u32_e32 8, v8
; %bb.327:                              ;   in Loop: Header=BB277_11 Depth=1
	s_delay_alu instid0(VALU_DEP_3) | instskip(NEXT) | instid1(VALU_DEP_1)
	v_clz_i32_u32_e32 v6, v46
	v_min_u32_e32 v6, 32, v6
	s_delay_alu instid0(VALU_DEP_1) | instskip(SKIP_1) | instid1(VALU_DEP_2)
	v_subrev_nc_u32_e32 v8, 28, v6
	v_sub_nc_u32_e32 v6, 29, v6
	v_lshlrev_b64 v[8:9], v8, v[46:47]
	s_delay_alu instid0(VALU_DEP_1)
	v_and_b32_e32 v46, 7, v8
; %bb.328:                              ;   in Loop: Header=BB277_11 Depth=1
	s_or_b32 exec_lo, exec_lo, s21
	v_dual_mov_b32 v14, v47 :: v_dual_lshlrev_b32 v7, 24, v7
	s_delay_alu instid0(VALU_DEP_2) | instskip(SKIP_1) | instid1(VALU_DEP_3)
	v_lshlrev_b32_e32 v8, 20, v46
	v_lshl_add_u32 v6, v6, 23, 0x3c000000
	v_and_b32_e32 v7, 0x80000000, v7
	s_delay_alu instid0(VALU_DEP_1)
	v_or3_b32 v15, v8, v7, v6
.LBB277_329:                            ;   in Loop: Header=BB277_11 Depth=1
	s_or_b32 exec_lo, exec_lo, s8
.LBB277_330:                            ;   in Loop: Header=BB277_11 Depth=1
	s_delay_alu instid0(SALU_CYCLE_1)
	s_or_b32 exec_lo, exec_lo, s20
.LBB277_331:                            ;   in Loop: Header=BB277_11 Depth=1
	s_delay_alu instid0(SALU_CYCLE_1)
	s_or_b32 exec_lo, exec_lo, s19
	flat_load_b32 v16, v[104:105] offset:1032
	v_mov_b32_e32 v26, 0
	v_mov_b32_e32 v27, 0
	s_mov_b32 s8, exec_lo
	s_waitcnt vmcnt(0) lgkmcnt(0)
	s_delay_alu instid0(VALU_DEP_1) | instskip(SKIP_1) | instid1(VALU_DEP_2)
	v_dual_mov_b32 v123, v27 :: v_dual_and_b32 v6, 0xff, v16
	v_mov_b32_e32 v122, v26
	v_cmpx_ne_u16_e32 0, v6
	s_cbranch_execz .LBB277_339
; %bb.332:                              ;   in Loop: Header=BB277_11 Depth=1
	v_bfrev_b32_e32 v122, 1
	v_mov_b32_e32 v123, 0
	s_mov_b32 s19, exec_lo
	v_cmpx_ne_u16_e32 0x80, v6
	s_cbranch_execz .LBB277_338
; %bb.333:                              ;   in Loop: Header=BB277_11 Depth=1
	v_mov_b32_e32 v122, 0x7f800001
	v_and_b32_e32 v7, 0x7f, v16
	v_mov_b32_e32 v123, 0
	s_mov_b32 s20, exec_lo
	s_delay_alu instid0(VALU_DEP_2)
	v_cmpx_ne_u32_e32 0x7f, v7
	s_cbranch_execz .LBB277_337
; %bb.334:                              ;   in Loop: Header=BB277_11 Depth=1
	v_and_b32_e32 v46, 7, v16
	v_lshrrev_b32_e32 v6, 3, v7
	s_mov_b32 s21, exec_lo
	v_cmpx_gt_u32_e32 8, v7
; %bb.335:                              ;   in Loop: Header=BB277_11 Depth=1
	s_delay_alu instid0(VALU_DEP_3) | instskip(NEXT) | instid1(VALU_DEP_1)
	v_clz_i32_u32_e32 v6, v46
	v_min_u32_e32 v6, 32, v6
	s_delay_alu instid0(VALU_DEP_1) | instskip(SKIP_1) | instid1(VALU_DEP_2)
	v_subrev_nc_u32_e32 v7, 28, v6
	v_sub_nc_u32_e32 v6, 29, v6
	v_lshlrev_b64 v[7:8], v7, v[46:47]
	s_delay_alu instid0(VALU_DEP_1)
	v_and_b32_e32 v46, 7, v7
; %bb.336:                              ;   in Loop: Header=BB277_11 Depth=1
	s_or_b32 exec_lo, exec_lo, s21
	v_lshlrev_b32_e32 v7, 24, v16
	s_delay_alu instid0(VALU_DEP_2) | instskip(SKIP_1) | instid1(VALU_DEP_3)
	v_lshlrev_b32_e32 v8, 20, v46
	v_lshl_add_u32 v6, v6, 23, 0x3c000000
	v_and_b32_e32 v7, 0x80000000, v7
	s_delay_alu instid0(VALU_DEP_1) | instskip(NEXT) | instid1(VALU_DEP_1)
	v_or3_b32 v46, v8, v7, v6
	v_dual_mov_b32 v123, v47 :: v_dual_mov_b32 v122, v46
.LBB277_337:                            ;   in Loop: Header=BB277_11 Depth=1
	s_or_b32 exec_lo, exec_lo, s20
.LBB277_338:                            ;   in Loop: Header=BB277_11 Depth=1
	s_delay_alu instid0(SALU_CYCLE_1)
	s_or_b32 exec_lo, exec_lo, s19
.LBB277_339:                            ;   in Loop: Header=BB277_11 Depth=1
	s_delay_alu instid0(SALU_CYCLE_1) | instskip(SKIP_2) | instid1(VALU_DEP_1)
	s_or_b32 exec_lo, exec_lo, s8
	v_lshrrev_b16 v6, 8, v16
	s_mov_b32 s19, exec_lo
	v_cmpx_ne_u16_e32 0, v6
	s_cbranch_execz .LBB277_347
; %bb.340:                              ;   in Loop: Header=BB277_11 Depth=1
	v_dual_mov_b32 v27, s3 :: v_dual_mov_b32 v26, s2
	s_mov_b32 s20, exec_lo
	v_cmpx_ne_u16_e32 0x80, v6
	s_cbranch_execz .LBB277_346
; %bb.341:                              ;   in Loop: Header=BB277_11 Depth=1
	s_mov_b32 s8, s2
	v_dual_mov_b32 v27, s9 :: v_dual_and_b32 v6, 0xffff, v6
	v_mov_b32_e32 v26, s8
	s_mov_b32 s8, exec_lo
	s_delay_alu instid0(VALU_DEP_2) | instskip(NEXT) | instid1(VALU_DEP_1)
	v_and_b32_e32 v7, 0x7f, v6
	v_cmpx_ne_u32_e32 0x7f, v7
	s_cbranch_execz .LBB277_345
; %bb.342:                              ;   in Loop: Header=BB277_11 Depth=1
	v_and_b32_e32 v46, 7, v6
	v_lshrrev_b32_e32 v6, 3, v7
	s_mov_b32 s21, exec_lo
	v_cmpx_gt_u32_e32 8, v7
; %bb.343:                              ;   in Loop: Header=BB277_11 Depth=1
	s_delay_alu instid0(VALU_DEP_3) | instskip(NEXT) | instid1(VALU_DEP_1)
	v_clz_i32_u32_e32 v6, v46
	v_min_u32_e32 v6, 32, v6
	s_delay_alu instid0(VALU_DEP_1) | instskip(SKIP_1) | instid1(VALU_DEP_2)
	v_subrev_nc_u32_e32 v7, 28, v6
	v_sub_nc_u32_e32 v6, 29, v6
	v_lshlrev_b64 v[7:8], v7, v[46:47]
	s_delay_alu instid0(VALU_DEP_1)
	v_and_b32_e32 v46, 7, v7
; %bb.344:                              ;   in Loop: Header=BB277_11 Depth=1
	s_or_b32 exec_lo, exec_lo, s21
	v_dual_mov_b32 v26, v47 :: v_dual_lshlrev_b32 v7, 16, v16
	s_delay_alu instid0(VALU_DEP_2) | instskip(SKIP_1) | instid1(VALU_DEP_3)
	v_lshlrev_b32_e32 v8, 20, v46
	v_lshl_add_u32 v6, v6, 23, 0x3c000000
	v_and_b32_e32 v7, 0x80000000, v7
	s_delay_alu instid0(VALU_DEP_1)
	v_or3_b32 v27, v8, v7, v6
.LBB277_345:                            ;   in Loop: Header=BB277_11 Depth=1
	s_or_b32 exec_lo, exec_lo, s8
.LBB277_346:                            ;   in Loop: Header=BB277_11 Depth=1
	s_delay_alu instid0(SALU_CYCLE_1)
	s_or_b32 exec_lo, exec_lo, s20
.LBB277_347:                            ;   in Loop: Header=BB277_11 Depth=1
	s_delay_alu instid0(SALU_CYCLE_1) | instskip(SKIP_4) | instid1(VALU_DEP_1)
	s_or_b32 exec_lo, exec_lo, s19
	v_mov_b32_e32 v6, 0
	v_lshrrev_b32_e32 v17, 16, v16
	v_mov_b32_e32 v7, 0
	s_mov_b32 s8, exec_lo
	v_dual_mov_b32 v9, v7 :: v_dual_and_b32 v18, 0xff, v17
	v_mov_b32_e32 v8, v6
	s_delay_alu instid0(VALU_DEP_2)
	v_cmpx_ne_u16_e32 0, v18
	s_cbranch_execz .LBB277_355
; %bb.348:                              ;   in Loop: Header=BB277_11 Depth=1
	v_bfrev_b32_e32 v8, 1
	v_mov_b32_e32 v9, 0
	s_mov_b32 s19, exec_lo
	v_cmpx_ne_u16_e32 0x80, v18
	s_cbranch_execz .LBB277_354
; %bb.349:                              ;   in Loop: Header=BB277_11 Depth=1
	v_mov_b32_e32 v8, 0x7f800001
	v_bfe_u32 v18, v16, 16, 7
	v_mov_b32_e32 v9, 0
	s_mov_b32 s20, exec_lo
	s_delay_alu instid0(VALU_DEP_2)
	v_cmpx_ne_u32_e32 0x7f, v18
	s_cbranch_execz .LBB277_353
; %bb.350:                              ;   in Loop: Header=BB277_11 Depth=1
	v_and_b32_e32 v46, 7, v17
	v_lshrrev_b32_e32 v8, 3, v18
	s_mov_b32 s21, exec_lo
	v_cmpx_gt_u32_e32 8, v18
; %bb.351:                              ;   in Loop: Header=BB277_11 Depth=1
	s_delay_alu instid0(VALU_DEP_3) | instskip(NEXT) | instid1(VALU_DEP_1)
	v_clz_i32_u32_e32 v8, v46
	v_min_u32_e32 v8, 32, v8
	s_delay_alu instid0(VALU_DEP_1) | instskip(SKIP_1) | instid1(VALU_DEP_2)
	v_subrev_nc_u32_e32 v9, 28, v8
	v_sub_nc_u32_e32 v8, 29, v8
	v_lshlrev_b64 v[18:19], v9, v[46:47]
	s_delay_alu instid0(VALU_DEP_1)
	v_and_b32_e32 v46, 7, v18
; %bb.352:                              ;   in Loop: Header=BB277_11 Depth=1
	s_or_b32 exec_lo, exec_lo, s21
	v_lshlrev_b32_e32 v9, 24, v17
	s_delay_alu instid0(VALU_DEP_2) | instskip(SKIP_1) | instid1(VALU_DEP_3)
	v_lshlrev_b32_e32 v17, 20, v46
	v_lshl_add_u32 v8, v8, 23, 0x3c000000
	v_and_b32_e32 v9, 0x80000000, v9
	s_delay_alu instid0(VALU_DEP_1) | instskip(NEXT) | instid1(VALU_DEP_1)
	v_or3_b32 v46, v17, v9, v8
	v_dual_mov_b32 v8, v46 :: v_dual_mov_b32 v9, v47
.LBB277_353:                            ;   in Loop: Header=BB277_11 Depth=1
	s_or_b32 exec_lo, exec_lo, s20
.LBB277_354:                            ;   in Loop: Header=BB277_11 Depth=1
	s_delay_alu instid0(SALU_CYCLE_1)
	s_or_b32 exec_lo, exec_lo, s19
.LBB277_355:                            ;   in Loop: Header=BB277_11 Depth=1
	s_delay_alu instid0(SALU_CYCLE_1) | instskip(NEXT) | instid1(SALU_CYCLE_1)
	s_or_b32 exec_lo, exec_lo, s8
	s_mov_b32 s19, exec_lo
	v_cmpx_lt_u32_e32 0xffffff, v16
	s_cbranch_execz .LBB277_363
; %bb.356:                              ;   in Loop: Header=BB277_11 Depth=1
	v_lshrrev_b32_e32 v17, 24, v16
	v_dual_mov_b32 v7, s3 :: v_dual_mov_b32 v6, s2
	s_mov_b32 s20, exec_lo
	s_delay_alu instid0(VALU_DEP_2)
	v_cmpx_ne_u32_e32 0x80, v17
	s_cbranch_execz .LBB277_362
; %bb.357:                              ;   in Loop: Header=BB277_11 Depth=1
	s_mov_b32 s8, s2
	v_bfe_u32 v16, v16, 24, 7
	v_dual_mov_b32 v6, s8 :: v_dual_mov_b32 v7, s9
	s_mov_b32 s8, exec_lo
	s_delay_alu instid0(VALU_DEP_2)
	v_cmpx_ne_u32_e32 0x7f, v16
	s_cbranch_execz .LBB277_361
; %bb.358:                              ;   in Loop: Header=BB277_11 Depth=1
	v_and_b32_e32 v46, 7, v17
	v_lshrrev_b32_e32 v6, 3, v16
	s_mov_b32 s21, exec_lo
	v_cmpx_gt_u32_e32 8, v16
; %bb.359:                              ;   in Loop: Header=BB277_11 Depth=1
	s_delay_alu instid0(VALU_DEP_3) | instskip(NEXT) | instid1(VALU_DEP_1)
	v_clz_i32_u32_e32 v6, v46
	v_min_u32_e32 v6, 32, v6
	s_delay_alu instid0(VALU_DEP_1) | instskip(SKIP_1) | instid1(VALU_DEP_2)
	v_subrev_nc_u32_e32 v7, 28, v6
	v_sub_nc_u32_e32 v6, 29, v6
	v_lshlrev_b64 v[18:19], v7, v[46:47]
	s_delay_alu instid0(VALU_DEP_1)
	v_and_b32_e32 v46, 7, v18
; %bb.360:                              ;   in Loop: Header=BB277_11 Depth=1
	s_or_b32 exec_lo, exec_lo, s21
	v_lshlrev_b32_e32 v7, 24, v17
	s_delay_alu instid0(VALU_DEP_2) | instskip(SKIP_1) | instid1(VALU_DEP_3)
	v_lshlrev_b32_e32 v16, 20, v46
	v_lshl_add_u32 v6, v6, 23, 0x3c000000
	v_and_b32_e32 v7, 0x80000000, v7
	s_delay_alu instid0(VALU_DEP_1)
	v_or3_b32 v7, v16, v7, v6
	v_mov_b32_e32 v6, v47
.LBB277_361:                            ;   in Loop: Header=BB277_11 Depth=1
	s_or_b32 exec_lo, exec_lo, s8
.LBB277_362:                            ;   in Loop: Header=BB277_11 Depth=1
	s_delay_alu instid0(SALU_CYCLE_1)
	s_or_b32 exec_lo, exec_lo, s20
.LBB277_363:                            ;   in Loop: Header=BB277_11 Depth=1
	s_delay_alu instid0(SALU_CYCLE_1) | instskip(SKIP_4) | instid1(VALU_DEP_1)
	s_or_b32 exec_lo, exec_lo, s19
	flat_load_b32 v20, v[104:105] offset:1036
	v_mov_b32_e32 v16, 0
	v_mov_b32_e32 v17, 0
	s_mov_b32 s8, exec_lo
	v_dual_mov_b32 v19, v17 :: v_dual_mov_b32 v18, v16
	s_waitcnt vmcnt(0) lgkmcnt(0)
	v_and_b32_e32 v21, 0xff, v20
	s_delay_alu instid0(VALU_DEP_1)
	v_cmpx_ne_u16_e32 0, v21
	s_cbranch_execz .LBB277_371
; %bb.364:                              ;   in Loop: Header=BB277_11 Depth=1
	v_bfrev_b32_e32 v18, 1
	v_mov_b32_e32 v19, 0
	s_mov_b32 s19, exec_lo
	v_cmpx_ne_u16_e32 0x80, v21
	s_cbranch_execz .LBB277_370
; %bb.365:                              ;   in Loop: Header=BB277_11 Depth=1
	v_mov_b32_e32 v18, 0x7f800001
	v_and_b32_e32 v21, 0x7f, v20
	v_mov_b32_e32 v19, 0
	s_mov_b32 s20, exec_lo
	s_delay_alu instid0(VALU_DEP_2)
	v_cmpx_ne_u32_e32 0x7f, v21
	s_cbranch_execz .LBB277_369
; %bb.366:                              ;   in Loop: Header=BB277_11 Depth=1
	v_and_b32_e32 v46, 7, v20
	v_lshrrev_b32_e32 v18, 3, v21
	s_mov_b32 s21, exec_lo
	v_cmpx_gt_u32_e32 8, v21
; %bb.367:                              ;   in Loop: Header=BB277_11 Depth=1
	s_delay_alu instid0(VALU_DEP_3) | instskip(NEXT) | instid1(VALU_DEP_1)
	v_clz_i32_u32_e32 v18, v46
	v_min_u32_e32 v18, 32, v18
	s_delay_alu instid0(VALU_DEP_1) | instskip(SKIP_1) | instid1(VALU_DEP_2)
	v_subrev_nc_u32_e32 v19, 28, v18
	v_sub_nc_u32_e32 v18, 29, v18
	v_lshlrev_b64 v[24:25], v19, v[46:47]
	s_delay_alu instid0(VALU_DEP_1)
	v_and_b32_e32 v46, 7, v24
; %bb.368:                              ;   in Loop: Header=BB277_11 Depth=1
	s_or_b32 exec_lo, exec_lo, s21
	v_lshlrev_b32_e32 v19, 24, v20
	s_delay_alu instid0(VALU_DEP_2) | instskip(SKIP_1) | instid1(VALU_DEP_3)
	v_lshlrev_b32_e32 v21, 20, v46
	v_lshl_add_u32 v18, v18, 23, 0x3c000000
	v_and_b32_e32 v19, 0x80000000, v19
	s_delay_alu instid0(VALU_DEP_1) | instskip(NEXT) | instid1(VALU_DEP_1)
	v_or3_b32 v46, v21, v19, v18
	v_dual_mov_b32 v18, v46 :: v_dual_mov_b32 v19, v47
.LBB277_369:                            ;   in Loop: Header=BB277_11 Depth=1
	s_or_b32 exec_lo, exec_lo, s20
.LBB277_370:                            ;   in Loop: Header=BB277_11 Depth=1
	s_delay_alu instid0(SALU_CYCLE_1)
	s_or_b32 exec_lo, exec_lo, s19
.LBB277_371:                            ;   in Loop: Header=BB277_11 Depth=1
	s_delay_alu instid0(SALU_CYCLE_1) | instskip(SKIP_2) | instid1(VALU_DEP_1)
	s_or_b32 exec_lo, exec_lo, s8
	v_lshrrev_b16 v21, 8, v20
	s_mov_b32 s19, exec_lo
	v_cmpx_ne_u16_e32 0, v21
	s_cbranch_execz .LBB277_379
; %bb.372:                              ;   in Loop: Header=BB277_11 Depth=1
	v_dual_mov_b32 v17, s3 :: v_dual_mov_b32 v16, s2
	s_mov_b32 s20, exec_lo
	v_cmpx_ne_u16_e32 0x80, v21
	s_cbranch_execz .LBB277_378
; %bb.373:                              ;   in Loop: Header=BB277_11 Depth=1
	s_mov_b32 s8, s2
	v_dual_mov_b32 v17, s9 :: v_dual_and_b32 v24, 0xffff, v21
	v_mov_b32_e32 v16, s8
	s_mov_b32 s8, exec_lo
	s_delay_alu instid0(VALU_DEP_2) | instskip(NEXT) | instid1(VALU_DEP_1)
	v_and_b32_e32 v21, 0x7f, v24
	v_cmpx_ne_u32_e32 0x7f, v21
	s_cbranch_execz .LBB277_377
; %bb.374:                              ;   in Loop: Header=BB277_11 Depth=1
	v_and_b32_e32 v46, 7, v24
	v_lshrrev_b32_e32 v16, 3, v21
	s_mov_b32 s21, exec_lo
	v_cmpx_gt_u32_e32 8, v21
; %bb.375:                              ;   in Loop: Header=BB277_11 Depth=1
	s_delay_alu instid0(VALU_DEP_3) | instskip(NEXT) | instid1(VALU_DEP_1)
	v_clz_i32_u32_e32 v16, v46
	v_min_u32_e32 v16, 32, v16
	s_delay_alu instid0(VALU_DEP_1) | instskip(SKIP_1) | instid1(VALU_DEP_2)
	v_subrev_nc_u32_e32 v17, 28, v16
	v_sub_nc_u32_e32 v16, 29, v16
	v_lshlrev_b64 v[24:25], v17, v[46:47]
	s_delay_alu instid0(VALU_DEP_1)
	v_and_b32_e32 v46, 7, v24
; %bb.376:                              ;   in Loop: Header=BB277_11 Depth=1
	s_or_b32 exec_lo, exec_lo, s21
	v_lshlrev_b32_e32 v17, 16, v20
	s_delay_alu instid0(VALU_DEP_2) | instskip(SKIP_1) | instid1(VALU_DEP_3)
	v_lshlrev_b32_e32 v21, 20, v46
	v_lshl_add_u32 v16, v16, 23, 0x3c000000
	v_and_b32_e32 v17, 0x80000000, v17
	s_delay_alu instid0(VALU_DEP_1)
	v_or3_b32 v17, v21, v17, v16
	v_mov_b32_e32 v16, v47
.LBB277_377:                            ;   in Loop: Header=BB277_11 Depth=1
	s_or_b32 exec_lo, exec_lo, s8
.LBB277_378:                            ;   in Loop: Header=BB277_11 Depth=1
	s_delay_alu instid0(SALU_CYCLE_1)
	s_or_b32 exec_lo, exec_lo, s20
.LBB277_379:                            ;   in Loop: Header=BB277_11 Depth=1
	s_delay_alu instid0(SALU_CYCLE_1) | instskip(SKIP_4) | instid1(VALU_DEP_1)
	s_or_b32 exec_lo, exec_lo, s19
	v_mov_b32_e32 v28, 0
	v_lshrrev_b32_e32 v21, 16, v20
	v_mov_b32_e32 v29, 0
	s_mov_b32 s8, exec_lo
	v_dual_mov_b32 v31, v29 :: v_dual_and_b32 v24, 0xff, v21
	v_mov_b32_e32 v30, v28
	s_delay_alu instid0(VALU_DEP_2)
	v_cmpx_ne_u16_e32 0, v24
	s_cbranch_execz .LBB277_387
; %bb.380:                              ;   in Loop: Header=BB277_11 Depth=1
	v_bfrev_b32_e32 v30, 1
	v_mov_b32_e32 v31, 0
	s_mov_b32 s19, exec_lo
	v_cmpx_ne_u16_e32 0x80, v24
	s_cbranch_execz .LBB277_386
; %bb.381:                              ;   in Loop: Header=BB277_11 Depth=1
	v_mov_b32_e32 v30, 0x7f800001
	v_bfe_u32 v25, v20, 16, 7
	v_mov_b32_e32 v31, 0
	s_mov_b32 s20, exec_lo
	s_delay_alu instid0(VALU_DEP_2)
	v_cmpx_ne_u32_e32 0x7f, v25
	s_cbranch_execz .LBB277_385
; %bb.382:                              ;   in Loop: Header=BB277_11 Depth=1
	v_and_b32_e32 v46, 7, v21
	v_lshrrev_b32_e32 v24, 3, v25
	s_mov_b32 s21, exec_lo
	v_cmpx_gt_u32_e32 8, v25
; %bb.383:                              ;   in Loop: Header=BB277_11 Depth=1
	s_delay_alu instid0(VALU_DEP_3) | instskip(NEXT) | instid1(VALU_DEP_1)
	v_clz_i32_u32_e32 v24, v46
	v_min_u32_e32 v24, 32, v24
	s_delay_alu instid0(VALU_DEP_1) | instskip(SKIP_1) | instid1(VALU_DEP_2)
	v_subrev_nc_u32_e32 v25, 28, v24
	v_sub_nc_u32_e32 v24, 29, v24
	v_lshlrev_b64 v[30:31], v25, v[46:47]
	s_delay_alu instid0(VALU_DEP_1)
	v_and_b32_e32 v46, 7, v30
; %bb.384:                              ;   in Loop: Header=BB277_11 Depth=1
	s_or_b32 exec_lo, exec_lo, s21
	v_lshlrev_b32_e32 v21, 24, v21
	s_delay_alu instid0(VALU_DEP_2) | instskip(SKIP_1) | instid1(VALU_DEP_3)
	v_lshlrev_b32_e32 v25, 20, v46
	v_lshl_add_u32 v24, v24, 23, 0x3c000000
	v_and_b32_e32 v21, 0x80000000, v21
	s_delay_alu instid0(VALU_DEP_1) | instskip(NEXT) | instid1(VALU_DEP_1)
	v_or3_b32 v46, v25, v21, v24
	v_dual_mov_b32 v30, v46 :: v_dual_mov_b32 v31, v47
.LBB277_385:                            ;   in Loop: Header=BB277_11 Depth=1
	s_or_b32 exec_lo, exec_lo, s20
.LBB277_386:                            ;   in Loop: Header=BB277_11 Depth=1
	s_delay_alu instid0(SALU_CYCLE_1)
	s_or_b32 exec_lo, exec_lo, s19
.LBB277_387:                            ;   in Loop: Header=BB277_11 Depth=1
	s_delay_alu instid0(SALU_CYCLE_1) | instskip(NEXT) | instid1(SALU_CYCLE_1)
	s_or_b32 exec_lo, exec_lo, s8
	s_mov_b32 s19, exec_lo
	v_cmpx_lt_u32_e32 0xffffff, v20
	s_cbranch_execz .LBB277_395
; %bb.388:                              ;   in Loop: Header=BB277_11 Depth=1
	v_lshrrev_b32_e32 v21, 24, v20
	v_dual_mov_b32 v29, s3 :: v_dual_mov_b32 v28, s2
	s_mov_b32 s20, exec_lo
	s_delay_alu instid0(VALU_DEP_2)
	v_cmpx_ne_u32_e32 0x80, v21
	s_cbranch_execz .LBB277_394
; %bb.389:                              ;   in Loop: Header=BB277_11 Depth=1
	s_mov_b32 s8, s2
	v_bfe_u32 v24, v20, 24, 7
	v_dual_mov_b32 v29, s9 :: v_dual_mov_b32 v28, s8
	s_mov_b32 s8, exec_lo
	s_delay_alu instid0(VALU_DEP_2)
	v_cmpx_ne_u32_e32 0x7f, v24
	s_cbranch_execz .LBB277_393
; %bb.390:                              ;   in Loop: Header=BB277_11 Depth=1
	v_and_b32_e32 v46, 7, v21
	v_lshrrev_b32_e32 v20, 3, v24
	s_mov_b32 s21, exec_lo
	v_cmpx_gt_u32_e32 8, v24
; %bb.391:                              ;   in Loop: Header=BB277_11 Depth=1
	s_delay_alu instid0(VALU_DEP_3) | instskip(NEXT) | instid1(VALU_DEP_1)
	v_clz_i32_u32_e32 v20, v46
	v_min_u32_e32 v20, 32, v20
	s_delay_alu instid0(VALU_DEP_1) | instskip(SKIP_1) | instid1(VALU_DEP_2)
	v_subrev_nc_u32_e32 v24, 28, v20
	v_sub_nc_u32_e32 v20, 29, v20
	v_lshlrev_b64 v[24:25], v24, v[46:47]
	s_delay_alu instid0(VALU_DEP_1)
	v_and_b32_e32 v46, 7, v24
; %bb.392:                              ;   in Loop: Header=BB277_11 Depth=1
	s_or_b32 exec_lo, exec_lo, s21
	v_dual_mov_b32 v28, v47 :: v_dual_lshlrev_b32 v21, 24, v21
	s_delay_alu instid0(VALU_DEP_2) | instskip(SKIP_1) | instid1(VALU_DEP_3)
	v_lshlrev_b32_e32 v24, 20, v46
	v_lshl_add_u32 v20, v20, 23, 0x3c000000
	v_and_b32_e32 v21, 0x80000000, v21
	s_delay_alu instid0(VALU_DEP_1)
	v_or3_b32 v29, v24, v21, v20
.LBB277_393:                            ;   in Loop: Header=BB277_11 Depth=1
	s_or_b32 exec_lo, exec_lo, s8
.LBB277_394:                            ;   in Loop: Header=BB277_11 Depth=1
	s_delay_alu instid0(SALU_CYCLE_1)
	s_or_b32 exec_lo, exec_lo, s20
.LBB277_395:                            ;   in Loop: Header=BB277_11 Depth=1
	s_delay_alu instid0(SALU_CYCLE_1) | instskip(SKIP_4) | instid1(VALU_DEP_1)
	s_or_b32 exec_lo, exec_lo, s19
	flat_load_b32 v20, v[104:105] offset:1536
	v_mov_b32_e32 v32, 0
	v_mov_b32_e32 v33, 0
	s_mov_b32 s8, exec_lo
	v_dual_mov_b32 v35, v33 :: v_dual_mov_b32 v34, v32
	s_waitcnt vmcnt(0) lgkmcnt(0)
	v_and_b32_e32 v21, 0xff, v20
	s_delay_alu instid0(VALU_DEP_1)
	v_cmpx_ne_u16_e32 0, v21
	s_cbranch_execz .LBB277_403
; %bb.396:                              ;   in Loop: Header=BB277_11 Depth=1
	v_bfrev_b32_e32 v34, 1
	v_mov_b32_e32 v35, 0
	s_mov_b32 s19, exec_lo
	v_cmpx_ne_u16_e32 0x80, v21
	s_cbranch_execz .LBB277_402
; %bb.397:                              ;   in Loop: Header=BB277_11 Depth=1
	v_mov_b32_e32 v34, 0x7f800001
	v_dual_mov_b32 v35, 0 :: v_dual_and_b32 v24, 0x7f, v20
	s_mov_b32 s20, exec_lo
	s_delay_alu instid0(VALU_DEP_1)
	v_cmpx_ne_u32_e32 0x7f, v24
	s_cbranch_execz .LBB277_401
; %bb.398:                              ;   in Loop: Header=BB277_11 Depth=1
	v_and_b32_e32 v46, 7, v20
	v_lshrrev_b32_e32 v21, 3, v24
	s_mov_b32 s21, exec_lo
	v_cmpx_gt_u32_e32 8, v24
; %bb.399:                              ;   in Loop: Header=BB277_11 Depth=1
	s_delay_alu instid0(VALU_DEP_3) | instskip(NEXT) | instid1(VALU_DEP_1)
	v_clz_i32_u32_e32 v21, v46
	v_min_u32_e32 v21, 32, v21
	s_delay_alu instid0(VALU_DEP_1) | instskip(SKIP_1) | instid1(VALU_DEP_2)
	v_subrev_nc_u32_e32 v24, 28, v21
	v_sub_nc_u32_e32 v21, 29, v21
	v_lshlrev_b64 v[24:25], v24, v[46:47]
	s_delay_alu instid0(VALU_DEP_1)
	v_and_b32_e32 v46, 7, v24
; %bb.400:                              ;   in Loop: Header=BB277_11 Depth=1
	s_or_b32 exec_lo, exec_lo, s21
	v_lshlrev_b32_e32 v24, 24, v20
	s_delay_alu instid0(VALU_DEP_2) | instskip(SKIP_1) | instid1(VALU_DEP_3)
	v_lshlrev_b32_e32 v25, 20, v46
	v_lshl_add_u32 v21, v21, 23, 0x3c000000
	v_and_b32_e32 v24, 0x80000000, v24
	s_delay_alu instid0(VALU_DEP_1) | instskip(NEXT) | instid1(VALU_DEP_1)
	v_or3_b32 v46, v25, v24, v21
	v_dual_mov_b32 v34, v46 :: v_dual_mov_b32 v35, v47
.LBB277_401:                            ;   in Loop: Header=BB277_11 Depth=1
	s_or_b32 exec_lo, exec_lo, s20
.LBB277_402:                            ;   in Loop: Header=BB277_11 Depth=1
	s_delay_alu instid0(SALU_CYCLE_1)
	s_or_b32 exec_lo, exec_lo, s19
.LBB277_403:                            ;   in Loop: Header=BB277_11 Depth=1
	s_delay_alu instid0(SALU_CYCLE_1) | instskip(SKIP_2) | instid1(VALU_DEP_1)
	s_or_b32 exec_lo, exec_lo, s8
	v_lshrrev_b16 v21, 8, v20
	s_mov_b32 s19, exec_lo
	v_cmpx_ne_u16_e32 0, v21
	s_cbranch_execz .LBB277_411
; %bb.404:                              ;   in Loop: Header=BB277_11 Depth=1
	v_dual_mov_b32 v33, s3 :: v_dual_mov_b32 v32, s2
	s_mov_b32 s20, exec_lo
	v_cmpx_ne_u16_e32 0x80, v21
	s_cbranch_execz .LBB277_410
; %bb.405:                              ;   in Loop: Header=BB277_11 Depth=1
	s_mov_b32 s8, s2
	v_and_b32_e32 v21, 0xffff, v21
	v_dual_mov_b32 v33, s9 :: v_dual_mov_b32 v32, s8
	s_mov_b32 s8, exec_lo
	s_delay_alu instid0(VALU_DEP_2) | instskip(NEXT) | instid1(VALU_DEP_1)
	v_and_b32_e32 v24, 0x7f, v21
	v_cmpx_ne_u32_e32 0x7f, v24
	s_cbranch_execz .LBB277_409
; %bb.406:                              ;   in Loop: Header=BB277_11 Depth=1
	v_and_b32_e32 v46, 7, v21
	v_lshrrev_b32_e32 v21, 3, v24
	s_mov_b32 s21, exec_lo
	v_cmpx_gt_u32_e32 8, v24
; %bb.407:                              ;   in Loop: Header=BB277_11 Depth=1
	s_delay_alu instid0(VALU_DEP_3) | instskip(NEXT) | instid1(VALU_DEP_1)
	v_clz_i32_u32_e32 v21, v46
	v_min_u32_e32 v21, 32, v21
	s_delay_alu instid0(VALU_DEP_1) | instskip(SKIP_1) | instid1(VALU_DEP_2)
	v_subrev_nc_u32_e32 v24, 28, v21
	v_sub_nc_u32_e32 v21, 29, v21
	v_lshlrev_b64 v[24:25], v24, v[46:47]
	s_delay_alu instid0(VALU_DEP_1)
	v_and_b32_e32 v46, 7, v24
; %bb.408:                              ;   in Loop: Header=BB277_11 Depth=1
	s_or_b32 exec_lo, exec_lo, s21
	v_lshlrev_b32_e32 v24, 16, v20
	s_delay_alu instid0(VALU_DEP_2) | instskip(SKIP_1) | instid1(VALU_DEP_3)
	v_dual_mov_b32 v32, v47 :: v_dual_lshlrev_b32 v25, 20, v46
	v_lshl_add_u32 v21, v21, 23, 0x3c000000
	v_and_b32_e32 v24, 0x80000000, v24
	s_delay_alu instid0(VALU_DEP_1)
	v_or3_b32 v33, v25, v24, v21
.LBB277_409:                            ;   in Loop: Header=BB277_11 Depth=1
	s_or_b32 exec_lo, exec_lo, s8
.LBB277_410:                            ;   in Loop: Header=BB277_11 Depth=1
	s_delay_alu instid0(SALU_CYCLE_1)
	s_or_b32 exec_lo, exec_lo, s20
.LBB277_411:                            ;   in Loop: Header=BB277_11 Depth=1
	s_delay_alu instid0(SALU_CYCLE_1) | instskip(SKIP_4) | instid1(VALU_DEP_1)
	s_or_b32 exec_lo, exec_lo, s19
	v_mov_b32_e32 v36, 0
	v_lshrrev_b32_e32 v21, 16, v20
	v_mov_b32_e32 v37, 0
	s_mov_b32 s8, exec_lo
	v_dual_mov_b32 v39, v37 :: v_dual_and_b32 v24, 0xff, v21
	v_mov_b32_e32 v38, v36
	s_delay_alu instid0(VALU_DEP_2)
	v_cmpx_ne_u16_e32 0, v24
	s_cbranch_execz .LBB277_419
; %bb.412:                              ;   in Loop: Header=BB277_11 Depth=1
	v_bfrev_b32_e32 v38, 1
	v_mov_b32_e32 v39, 0
	s_mov_b32 s19, exec_lo
	v_cmpx_ne_u16_e32 0x80, v24
	s_cbranch_execz .LBB277_418
; %bb.413:                              ;   in Loop: Header=BB277_11 Depth=1
	v_mov_b32_e32 v38, 0x7f800001
	v_bfe_u32 v25, v20, 16, 7
	v_mov_b32_e32 v39, 0
	s_mov_b32 s20, exec_lo
	s_delay_alu instid0(VALU_DEP_2)
	v_cmpx_ne_u32_e32 0x7f, v25
	s_cbranch_execz .LBB277_417
; %bb.414:                              ;   in Loop: Header=BB277_11 Depth=1
	v_and_b32_e32 v46, 7, v21
	v_lshrrev_b32_e32 v24, 3, v25
	s_mov_b32 s21, exec_lo
	v_cmpx_gt_u32_e32 8, v25
; %bb.415:                              ;   in Loop: Header=BB277_11 Depth=1
	s_delay_alu instid0(VALU_DEP_3) | instskip(NEXT) | instid1(VALU_DEP_1)
	v_clz_i32_u32_e32 v24, v46
	v_min_u32_e32 v24, 32, v24
	s_delay_alu instid0(VALU_DEP_1) | instskip(SKIP_1) | instid1(VALU_DEP_2)
	v_subrev_nc_u32_e32 v25, 28, v24
	v_sub_nc_u32_e32 v24, 29, v24
	v_lshlrev_b64 v[38:39], v25, v[46:47]
	s_delay_alu instid0(VALU_DEP_1)
	v_and_b32_e32 v46, 7, v38
; %bb.416:                              ;   in Loop: Header=BB277_11 Depth=1
	s_or_b32 exec_lo, exec_lo, s21
	v_lshlrev_b32_e32 v21, 24, v21
	s_delay_alu instid0(VALU_DEP_2) | instskip(SKIP_1) | instid1(VALU_DEP_3)
	v_lshlrev_b32_e32 v25, 20, v46
	v_lshl_add_u32 v24, v24, 23, 0x3c000000
	v_and_b32_e32 v21, 0x80000000, v21
	s_delay_alu instid0(VALU_DEP_1) | instskip(NEXT) | instid1(VALU_DEP_1)
	v_or3_b32 v46, v25, v21, v24
	v_dual_mov_b32 v38, v46 :: v_dual_mov_b32 v39, v47
.LBB277_417:                            ;   in Loop: Header=BB277_11 Depth=1
	s_or_b32 exec_lo, exec_lo, s20
.LBB277_418:                            ;   in Loop: Header=BB277_11 Depth=1
	s_delay_alu instid0(SALU_CYCLE_1)
	s_or_b32 exec_lo, exec_lo, s19
.LBB277_419:                            ;   in Loop: Header=BB277_11 Depth=1
	s_delay_alu instid0(SALU_CYCLE_1) | instskip(NEXT) | instid1(SALU_CYCLE_1)
	s_or_b32 exec_lo, exec_lo, s8
	s_mov_b32 s19, exec_lo
	v_cmpx_lt_u32_e32 0xffffff, v20
	s_cbranch_execz .LBB277_427
; %bb.420:                              ;   in Loop: Header=BB277_11 Depth=1
	v_lshrrev_b32_e32 v21, 24, v20
	v_dual_mov_b32 v37, s3 :: v_dual_mov_b32 v36, s2
	s_mov_b32 s20, exec_lo
	s_delay_alu instid0(VALU_DEP_2)
	v_cmpx_ne_u32_e32 0x80, v21
	s_cbranch_execz .LBB277_426
; %bb.421:                              ;   in Loop: Header=BB277_11 Depth=1
	s_mov_b32 s8, s2
	v_bfe_u32 v24, v20, 24, 7
	v_dual_mov_b32 v37, s9 :: v_dual_mov_b32 v36, s8
	s_mov_b32 s8, exec_lo
	s_delay_alu instid0(VALU_DEP_2)
	v_cmpx_ne_u32_e32 0x7f, v24
	s_cbranch_execz .LBB277_425
; %bb.422:                              ;   in Loop: Header=BB277_11 Depth=1
	v_and_b32_e32 v46, 7, v21
	v_lshrrev_b32_e32 v20, 3, v24
	s_mov_b32 s21, exec_lo
	v_cmpx_gt_u32_e32 8, v24
; %bb.423:                              ;   in Loop: Header=BB277_11 Depth=1
	s_delay_alu instid0(VALU_DEP_3) | instskip(NEXT) | instid1(VALU_DEP_1)
	v_clz_i32_u32_e32 v20, v46
	v_min_u32_e32 v20, 32, v20
	s_delay_alu instid0(VALU_DEP_1) | instskip(SKIP_1) | instid1(VALU_DEP_2)
	v_subrev_nc_u32_e32 v24, 28, v20
	v_sub_nc_u32_e32 v20, 29, v20
	v_lshlrev_b64 v[24:25], v24, v[46:47]
	s_delay_alu instid0(VALU_DEP_1)
	v_and_b32_e32 v46, 7, v24
; %bb.424:                              ;   in Loop: Header=BB277_11 Depth=1
	s_or_b32 exec_lo, exec_lo, s21
	v_dual_mov_b32 v36, v47 :: v_dual_lshlrev_b32 v21, 24, v21
	s_delay_alu instid0(VALU_DEP_2) | instskip(SKIP_1) | instid1(VALU_DEP_3)
	v_lshlrev_b32_e32 v24, 20, v46
	v_lshl_add_u32 v20, v20, 23, 0x3c000000
	v_and_b32_e32 v21, 0x80000000, v21
	s_delay_alu instid0(VALU_DEP_1)
	v_or3_b32 v37, v24, v21, v20
.LBB277_425:                            ;   in Loop: Header=BB277_11 Depth=1
	s_or_b32 exec_lo, exec_lo, s8
.LBB277_426:                            ;   in Loop: Header=BB277_11 Depth=1
	s_delay_alu instid0(SALU_CYCLE_1)
	s_or_b32 exec_lo, exec_lo, s20
.LBB277_427:                            ;   in Loop: Header=BB277_11 Depth=1
	s_delay_alu instid0(SALU_CYCLE_1) | instskip(SKIP_4) | instid1(VALU_DEP_1)
	s_or_b32 exec_lo, exec_lo, s19
	flat_load_b32 v20, v[104:105] offset:1540
	v_mov_b32_e32 v48, 0
	v_mov_b32_e32 v49, 0
	s_mov_b32 s8, exec_lo
	v_dual_mov_b32 v51, v49 :: v_dual_mov_b32 v50, v48
	s_waitcnt vmcnt(0) lgkmcnt(0)
	v_and_b32_e32 v21, 0xff, v20
	s_delay_alu instid0(VALU_DEP_1)
	v_cmpx_ne_u16_e32 0, v21
	s_cbranch_execz .LBB277_435
; %bb.428:                              ;   in Loop: Header=BB277_11 Depth=1
	v_bfrev_b32_e32 v50, 1
	v_mov_b32_e32 v51, 0
	s_mov_b32 s19, exec_lo
	v_cmpx_ne_u16_e32 0x80, v21
	s_cbranch_execz .LBB277_434
; %bb.429:                              ;   in Loop: Header=BB277_11 Depth=1
	v_mov_b32_e32 v50, 0x7f800001
	v_dual_mov_b32 v51, 0 :: v_dual_and_b32 v24, 0x7f, v20
	s_mov_b32 s20, exec_lo
	s_delay_alu instid0(VALU_DEP_1)
	v_cmpx_ne_u32_e32 0x7f, v24
	s_cbranch_execz .LBB277_433
; %bb.430:                              ;   in Loop: Header=BB277_11 Depth=1
	v_and_b32_e32 v46, 7, v20
	v_lshrrev_b32_e32 v21, 3, v24
	s_mov_b32 s21, exec_lo
	v_cmpx_gt_u32_e32 8, v24
; %bb.431:                              ;   in Loop: Header=BB277_11 Depth=1
	s_delay_alu instid0(VALU_DEP_3) | instskip(NEXT) | instid1(VALU_DEP_1)
	v_clz_i32_u32_e32 v21, v46
	v_min_u32_e32 v21, 32, v21
	s_delay_alu instid0(VALU_DEP_1) | instskip(SKIP_1) | instid1(VALU_DEP_2)
	v_subrev_nc_u32_e32 v24, 28, v21
	v_sub_nc_u32_e32 v21, 29, v21
	v_lshlrev_b64 v[24:25], v24, v[46:47]
	s_delay_alu instid0(VALU_DEP_1)
	v_and_b32_e32 v46, 7, v24
; %bb.432:                              ;   in Loop: Header=BB277_11 Depth=1
	s_or_b32 exec_lo, exec_lo, s21
	v_lshlrev_b32_e32 v24, 24, v20
	s_delay_alu instid0(VALU_DEP_2) | instskip(SKIP_1) | instid1(VALU_DEP_3)
	v_lshlrev_b32_e32 v25, 20, v46
	v_lshl_add_u32 v21, v21, 23, 0x3c000000
	v_and_b32_e32 v24, 0x80000000, v24
	s_delay_alu instid0(VALU_DEP_1) | instskip(NEXT) | instid1(VALU_DEP_1)
	v_or3_b32 v46, v25, v24, v21
	v_dual_mov_b32 v51, v47 :: v_dual_mov_b32 v50, v46
.LBB277_433:                            ;   in Loop: Header=BB277_11 Depth=1
	s_or_b32 exec_lo, exec_lo, s20
.LBB277_434:                            ;   in Loop: Header=BB277_11 Depth=1
	s_delay_alu instid0(SALU_CYCLE_1)
	s_or_b32 exec_lo, exec_lo, s19
.LBB277_435:                            ;   in Loop: Header=BB277_11 Depth=1
	s_delay_alu instid0(SALU_CYCLE_1) | instskip(SKIP_2) | instid1(VALU_DEP_1)
	s_or_b32 exec_lo, exec_lo, s8
	v_lshrrev_b16 v21, 8, v20
	s_mov_b32 s19, exec_lo
	v_cmpx_ne_u16_e32 0, v21
	s_cbranch_execz .LBB277_443
; %bb.436:                              ;   in Loop: Header=BB277_11 Depth=1
	v_dual_mov_b32 v49, s3 :: v_dual_mov_b32 v48, s2
	s_mov_b32 s20, exec_lo
	v_cmpx_ne_u16_e32 0x80, v21
	s_cbranch_execz .LBB277_442
; %bb.437:                              ;   in Loop: Header=BB277_11 Depth=1
	s_mov_b32 s8, s2
	v_and_b32_e32 v21, 0xffff, v21
	v_dual_mov_b32 v49, s9 :: v_dual_mov_b32 v48, s8
	s_mov_b32 s8, exec_lo
	s_delay_alu instid0(VALU_DEP_2) | instskip(NEXT) | instid1(VALU_DEP_1)
	v_and_b32_e32 v24, 0x7f, v21
	v_cmpx_ne_u32_e32 0x7f, v24
	s_cbranch_execz .LBB277_441
; %bb.438:                              ;   in Loop: Header=BB277_11 Depth=1
	v_and_b32_e32 v46, 7, v21
	v_lshrrev_b32_e32 v21, 3, v24
	s_mov_b32 s21, exec_lo
	v_cmpx_gt_u32_e32 8, v24
; %bb.439:                              ;   in Loop: Header=BB277_11 Depth=1
	s_delay_alu instid0(VALU_DEP_3) | instskip(NEXT) | instid1(VALU_DEP_1)
	v_clz_i32_u32_e32 v21, v46
	v_min_u32_e32 v21, 32, v21
	s_delay_alu instid0(VALU_DEP_1) | instskip(SKIP_1) | instid1(VALU_DEP_2)
	v_subrev_nc_u32_e32 v24, 28, v21
	v_sub_nc_u32_e32 v21, 29, v21
	v_lshlrev_b64 v[24:25], v24, v[46:47]
	s_delay_alu instid0(VALU_DEP_1)
	v_and_b32_e32 v46, 7, v24
; %bb.440:                              ;   in Loop: Header=BB277_11 Depth=1
	s_or_b32 exec_lo, exec_lo, s21
	v_lshlrev_b32_e32 v24, 16, v20
	s_delay_alu instid0(VALU_DEP_2) | instskip(SKIP_1) | instid1(VALU_DEP_3)
	v_dual_mov_b32 v48, v47 :: v_dual_lshlrev_b32 v25, 20, v46
	v_lshl_add_u32 v21, v21, 23, 0x3c000000
	v_and_b32_e32 v24, 0x80000000, v24
	s_delay_alu instid0(VALU_DEP_1)
	v_or3_b32 v49, v25, v24, v21
.LBB277_441:                            ;   in Loop: Header=BB277_11 Depth=1
	s_or_b32 exec_lo, exec_lo, s8
.LBB277_442:                            ;   in Loop: Header=BB277_11 Depth=1
	s_delay_alu instid0(SALU_CYCLE_1)
	s_or_b32 exec_lo, exec_lo, s20
.LBB277_443:                            ;   in Loop: Header=BB277_11 Depth=1
	s_delay_alu instid0(SALU_CYCLE_1) | instskip(SKIP_4) | instid1(VALU_DEP_1)
	s_or_b32 exec_lo, exec_lo, s19
	v_mov_b32_e32 v52, 0
	v_lshrrev_b32_e32 v21, 16, v20
	v_mov_b32_e32 v53, 0
	s_mov_b32 s8, exec_lo
	v_dual_mov_b32 v55, v53 :: v_dual_and_b32 v24, 0xff, v21
	v_mov_b32_e32 v54, v52
	s_delay_alu instid0(VALU_DEP_2)
	v_cmpx_ne_u16_e32 0, v24
	s_cbranch_execz .LBB277_451
; %bb.444:                              ;   in Loop: Header=BB277_11 Depth=1
	v_bfrev_b32_e32 v54, 1
	v_mov_b32_e32 v55, 0
	s_mov_b32 s19, exec_lo
	v_cmpx_ne_u16_e32 0x80, v24
	s_cbranch_execz .LBB277_450
; %bb.445:                              ;   in Loop: Header=BB277_11 Depth=1
	v_mov_b32_e32 v54, 0x7f800001
	v_bfe_u32 v25, v20, 16, 7
	v_mov_b32_e32 v55, 0
	s_mov_b32 s20, exec_lo
	s_delay_alu instid0(VALU_DEP_2)
	v_cmpx_ne_u32_e32 0x7f, v25
	s_cbranch_execz .LBB277_449
; %bb.446:                              ;   in Loop: Header=BB277_11 Depth=1
	v_and_b32_e32 v46, 7, v21
	v_lshrrev_b32_e32 v24, 3, v25
	s_mov_b32 s21, exec_lo
	v_cmpx_gt_u32_e32 8, v25
; %bb.447:                              ;   in Loop: Header=BB277_11 Depth=1
	s_delay_alu instid0(VALU_DEP_3) | instskip(NEXT) | instid1(VALU_DEP_1)
	v_clz_i32_u32_e32 v24, v46
	v_min_u32_e32 v24, 32, v24
	s_delay_alu instid0(VALU_DEP_1) | instskip(SKIP_1) | instid1(VALU_DEP_2)
	v_subrev_nc_u32_e32 v25, 28, v24
	v_sub_nc_u32_e32 v24, 29, v24
	v_lshlrev_b64 v[54:55], v25, v[46:47]
	s_delay_alu instid0(VALU_DEP_1)
	v_and_b32_e32 v46, 7, v54
; %bb.448:                              ;   in Loop: Header=BB277_11 Depth=1
	s_or_b32 exec_lo, exec_lo, s21
	v_lshlrev_b32_e32 v21, 24, v21
	s_delay_alu instid0(VALU_DEP_2) | instskip(SKIP_1) | instid1(VALU_DEP_3)
	v_lshlrev_b32_e32 v25, 20, v46
	v_lshl_add_u32 v24, v24, 23, 0x3c000000
	v_and_b32_e32 v21, 0x80000000, v21
	s_delay_alu instid0(VALU_DEP_1) | instskip(NEXT) | instid1(VALU_DEP_1)
	v_or3_b32 v46, v25, v21, v24
	v_dual_mov_b32 v55, v47 :: v_dual_mov_b32 v54, v46
.LBB277_449:                            ;   in Loop: Header=BB277_11 Depth=1
	s_or_b32 exec_lo, exec_lo, s20
.LBB277_450:                            ;   in Loop: Header=BB277_11 Depth=1
	s_delay_alu instid0(SALU_CYCLE_1)
	s_or_b32 exec_lo, exec_lo, s19
.LBB277_451:                            ;   in Loop: Header=BB277_11 Depth=1
	s_delay_alu instid0(SALU_CYCLE_1) | instskip(NEXT) | instid1(SALU_CYCLE_1)
	s_or_b32 exec_lo, exec_lo, s8
	s_mov_b32 s19, exec_lo
	v_cmpx_lt_u32_e32 0xffffff, v20
	s_cbranch_execz .LBB277_459
; %bb.452:                              ;   in Loop: Header=BB277_11 Depth=1
	v_lshrrev_b32_e32 v21, 24, v20
	v_dual_mov_b32 v53, s3 :: v_dual_mov_b32 v52, s2
	s_mov_b32 s20, exec_lo
	s_delay_alu instid0(VALU_DEP_2)
	v_cmpx_ne_u32_e32 0x80, v21
	s_cbranch_execz .LBB277_458
; %bb.453:                              ;   in Loop: Header=BB277_11 Depth=1
	s_mov_b32 s8, s2
	v_bfe_u32 v24, v20, 24, 7
	v_dual_mov_b32 v53, s9 :: v_dual_mov_b32 v52, s8
	s_mov_b32 s8, exec_lo
	s_delay_alu instid0(VALU_DEP_2)
	v_cmpx_ne_u32_e32 0x7f, v24
	s_cbranch_execz .LBB277_457
; %bb.454:                              ;   in Loop: Header=BB277_11 Depth=1
	v_and_b32_e32 v46, 7, v21
	v_lshrrev_b32_e32 v20, 3, v24
	s_mov_b32 s21, exec_lo
	v_cmpx_gt_u32_e32 8, v24
; %bb.455:                              ;   in Loop: Header=BB277_11 Depth=1
	s_delay_alu instid0(VALU_DEP_3) | instskip(NEXT) | instid1(VALU_DEP_1)
	v_clz_i32_u32_e32 v20, v46
	v_min_u32_e32 v20, 32, v20
	s_delay_alu instid0(VALU_DEP_1) | instskip(SKIP_1) | instid1(VALU_DEP_2)
	v_subrev_nc_u32_e32 v24, 28, v20
	v_sub_nc_u32_e32 v20, 29, v20
	v_lshlrev_b64 v[24:25], v24, v[46:47]
	s_delay_alu instid0(VALU_DEP_1)
	v_and_b32_e32 v46, 7, v24
; %bb.456:                              ;   in Loop: Header=BB277_11 Depth=1
	s_or_b32 exec_lo, exec_lo, s21
	v_dual_mov_b32 v52, v47 :: v_dual_lshlrev_b32 v21, 24, v21
	s_delay_alu instid0(VALU_DEP_2) | instskip(SKIP_1) | instid1(VALU_DEP_3)
	v_lshlrev_b32_e32 v24, 20, v46
	v_lshl_add_u32 v20, v20, 23, 0x3c000000
	v_and_b32_e32 v21, 0x80000000, v21
	s_delay_alu instid0(VALU_DEP_1)
	v_or3_b32 v53, v24, v21, v20
.LBB277_457:                            ;   in Loop: Header=BB277_11 Depth=1
	s_or_b32 exec_lo, exec_lo, s8
.LBB277_458:                            ;   in Loop: Header=BB277_11 Depth=1
	s_delay_alu instid0(SALU_CYCLE_1)
	s_or_b32 exec_lo, exec_lo, s20
.LBB277_459:                            ;   in Loop: Header=BB277_11 Depth=1
	s_delay_alu instid0(SALU_CYCLE_1) | instskip(SKIP_4) | instid1(VALU_DEP_1)
	s_or_b32 exec_lo, exec_lo, s19
	flat_load_b32 v20, v[104:105] offset:1544
	v_mov_b32_e32 v64, 0
	v_mov_b32_e32 v65, 0
	s_mov_b32 s8, exec_lo
	v_dual_mov_b32 v67, v65 :: v_dual_mov_b32 v66, v64
	s_waitcnt vmcnt(0) lgkmcnt(0)
	v_and_b32_e32 v21, 0xff, v20
	s_delay_alu instid0(VALU_DEP_1)
	v_cmpx_ne_u16_e32 0, v21
	s_cbranch_execz .LBB277_467
; %bb.460:                              ;   in Loop: Header=BB277_11 Depth=1
	v_bfrev_b32_e32 v66, 1
	v_mov_b32_e32 v67, 0
	s_mov_b32 s19, exec_lo
	v_cmpx_ne_u16_e32 0x80, v21
	s_cbranch_execz .LBB277_466
; %bb.461:                              ;   in Loop: Header=BB277_11 Depth=1
	v_mov_b32_e32 v66, 0x7f800001
	v_dual_mov_b32 v67, 0 :: v_dual_and_b32 v24, 0x7f, v20
	s_mov_b32 s20, exec_lo
	s_delay_alu instid0(VALU_DEP_1)
	v_cmpx_ne_u32_e32 0x7f, v24
	s_cbranch_execz .LBB277_465
; %bb.462:                              ;   in Loop: Header=BB277_11 Depth=1
	v_and_b32_e32 v46, 7, v20
	v_lshrrev_b32_e32 v21, 3, v24
	s_mov_b32 s21, exec_lo
	v_cmpx_gt_u32_e32 8, v24
; %bb.463:                              ;   in Loop: Header=BB277_11 Depth=1
	s_delay_alu instid0(VALU_DEP_3) | instskip(NEXT) | instid1(VALU_DEP_1)
	v_clz_i32_u32_e32 v21, v46
	v_min_u32_e32 v21, 32, v21
	s_delay_alu instid0(VALU_DEP_1) | instskip(SKIP_1) | instid1(VALU_DEP_2)
	v_subrev_nc_u32_e32 v24, 28, v21
	v_sub_nc_u32_e32 v21, 29, v21
	v_lshlrev_b64 v[24:25], v24, v[46:47]
	s_delay_alu instid0(VALU_DEP_1)
	v_and_b32_e32 v46, 7, v24
; %bb.464:                              ;   in Loop: Header=BB277_11 Depth=1
	s_or_b32 exec_lo, exec_lo, s21
	v_lshlrev_b32_e32 v24, 24, v20
	s_delay_alu instid0(VALU_DEP_2) | instskip(SKIP_1) | instid1(VALU_DEP_3)
	v_lshlrev_b32_e32 v25, 20, v46
	v_lshl_add_u32 v21, v21, 23, 0x3c000000
	v_and_b32_e32 v24, 0x80000000, v24
	s_delay_alu instid0(VALU_DEP_1) | instskip(NEXT) | instid1(VALU_DEP_1)
	v_or3_b32 v46, v25, v24, v21
	v_dual_mov_b32 v67, v47 :: v_dual_mov_b32 v66, v46
.LBB277_465:                            ;   in Loop: Header=BB277_11 Depth=1
	s_or_b32 exec_lo, exec_lo, s20
.LBB277_466:                            ;   in Loop: Header=BB277_11 Depth=1
	s_delay_alu instid0(SALU_CYCLE_1)
	s_or_b32 exec_lo, exec_lo, s19
.LBB277_467:                            ;   in Loop: Header=BB277_11 Depth=1
	s_delay_alu instid0(SALU_CYCLE_1) | instskip(SKIP_2) | instid1(VALU_DEP_1)
	s_or_b32 exec_lo, exec_lo, s8
	v_lshrrev_b16 v21, 8, v20
	s_mov_b32 s19, exec_lo
	v_cmpx_ne_u16_e32 0, v21
	s_cbranch_execz .LBB277_475
; %bb.468:                              ;   in Loop: Header=BB277_11 Depth=1
	v_dual_mov_b32 v65, s3 :: v_dual_mov_b32 v64, s2
	s_mov_b32 s20, exec_lo
	v_cmpx_ne_u16_e32 0x80, v21
	s_cbranch_execz .LBB277_474
; %bb.469:                              ;   in Loop: Header=BB277_11 Depth=1
	s_mov_b32 s8, s2
	v_and_b32_e32 v21, 0xffff, v21
	v_dual_mov_b32 v65, s9 :: v_dual_mov_b32 v64, s8
	s_mov_b32 s8, exec_lo
	s_delay_alu instid0(VALU_DEP_2) | instskip(NEXT) | instid1(VALU_DEP_1)
	v_and_b32_e32 v24, 0x7f, v21
	v_cmpx_ne_u32_e32 0x7f, v24
	s_cbranch_execz .LBB277_473
; %bb.470:                              ;   in Loop: Header=BB277_11 Depth=1
	v_and_b32_e32 v46, 7, v21
	v_lshrrev_b32_e32 v21, 3, v24
	s_mov_b32 s21, exec_lo
	v_cmpx_gt_u32_e32 8, v24
; %bb.471:                              ;   in Loop: Header=BB277_11 Depth=1
	s_delay_alu instid0(VALU_DEP_3) | instskip(NEXT) | instid1(VALU_DEP_1)
	v_clz_i32_u32_e32 v21, v46
	v_min_u32_e32 v21, 32, v21
	s_delay_alu instid0(VALU_DEP_1) | instskip(SKIP_1) | instid1(VALU_DEP_2)
	v_subrev_nc_u32_e32 v24, 28, v21
	v_sub_nc_u32_e32 v21, 29, v21
	v_lshlrev_b64 v[24:25], v24, v[46:47]
	s_delay_alu instid0(VALU_DEP_1)
	v_and_b32_e32 v46, 7, v24
; %bb.472:                              ;   in Loop: Header=BB277_11 Depth=1
	s_or_b32 exec_lo, exec_lo, s21
	v_lshlrev_b32_e32 v24, 16, v20
	s_delay_alu instid0(VALU_DEP_2) | instskip(SKIP_1) | instid1(VALU_DEP_3)
	v_dual_mov_b32 v64, v47 :: v_dual_lshlrev_b32 v25, 20, v46
	v_lshl_add_u32 v21, v21, 23, 0x3c000000
	v_and_b32_e32 v24, 0x80000000, v24
	s_delay_alu instid0(VALU_DEP_1)
	v_or3_b32 v65, v25, v24, v21
.LBB277_473:                            ;   in Loop: Header=BB277_11 Depth=1
	s_or_b32 exec_lo, exec_lo, s8
.LBB277_474:                            ;   in Loop: Header=BB277_11 Depth=1
	s_delay_alu instid0(SALU_CYCLE_1)
	s_or_b32 exec_lo, exec_lo, s20
.LBB277_475:                            ;   in Loop: Header=BB277_11 Depth=1
	s_delay_alu instid0(SALU_CYCLE_1) | instskip(SKIP_4) | instid1(VALU_DEP_1)
	s_or_b32 exec_lo, exec_lo, s19
	v_mov_b32_e32 v68, 0
	v_lshrrev_b32_e32 v21, 16, v20
	v_mov_b32_e32 v69, 0
	s_mov_b32 s8, exec_lo
	v_dual_mov_b32 v71, v69 :: v_dual_and_b32 v24, 0xff, v21
	v_mov_b32_e32 v70, v68
	s_delay_alu instid0(VALU_DEP_2)
	v_cmpx_ne_u16_e32 0, v24
	s_cbranch_execz .LBB277_483
; %bb.476:                              ;   in Loop: Header=BB277_11 Depth=1
	v_bfrev_b32_e32 v70, 1
	v_mov_b32_e32 v71, 0
	s_mov_b32 s19, exec_lo
	v_cmpx_ne_u16_e32 0x80, v24
	s_cbranch_execz .LBB277_482
; %bb.477:                              ;   in Loop: Header=BB277_11 Depth=1
	v_mov_b32_e32 v70, 0x7f800001
	v_bfe_u32 v25, v20, 16, 7
	v_mov_b32_e32 v71, 0
	s_mov_b32 s20, exec_lo
	s_delay_alu instid0(VALU_DEP_2)
	v_cmpx_ne_u32_e32 0x7f, v25
	s_cbranch_execz .LBB277_481
; %bb.478:                              ;   in Loop: Header=BB277_11 Depth=1
	v_and_b32_e32 v46, 7, v21
	v_lshrrev_b32_e32 v24, 3, v25
	s_mov_b32 s21, exec_lo
	v_cmpx_gt_u32_e32 8, v25
; %bb.479:                              ;   in Loop: Header=BB277_11 Depth=1
	s_delay_alu instid0(VALU_DEP_3) | instskip(NEXT) | instid1(VALU_DEP_1)
	v_clz_i32_u32_e32 v24, v46
	v_min_u32_e32 v24, 32, v24
	s_delay_alu instid0(VALU_DEP_1) | instskip(SKIP_1) | instid1(VALU_DEP_2)
	v_subrev_nc_u32_e32 v25, 28, v24
	v_sub_nc_u32_e32 v24, 29, v24
	v_lshlrev_b64 v[70:71], v25, v[46:47]
	s_delay_alu instid0(VALU_DEP_1)
	v_and_b32_e32 v46, 7, v70
; %bb.480:                              ;   in Loop: Header=BB277_11 Depth=1
	s_or_b32 exec_lo, exec_lo, s21
	v_lshlrev_b32_e32 v21, 24, v21
	s_delay_alu instid0(VALU_DEP_2) | instskip(SKIP_1) | instid1(VALU_DEP_3)
	v_lshlrev_b32_e32 v25, 20, v46
	v_lshl_add_u32 v24, v24, 23, 0x3c000000
	v_and_b32_e32 v21, 0x80000000, v21
	s_delay_alu instid0(VALU_DEP_1) | instskip(NEXT) | instid1(VALU_DEP_1)
	v_or3_b32 v46, v25, v21, v24
	v_dual_mov_b32 v71, v47 :: v_dual_mov_b32 v70, v46
.LBB277_481:                            ;   in Loop: Header=BB277_11 Depth=1
	s_or_b32 exec_lo, exec_lo, s20
.LBB277_482:                            ;   in Loop: Header=BB277_11 Depth=1
	s_delay_alu instid0(SALU_CYCLE_1)
	s_or_b32 exec_lo, exec_lo, s19
.LBB277_483:                            ;   in Loop: Header=BB277_11 Depth=1
	s_delay_alu instid0(SALU_CYCLE_1) | instskip(NEXT) | instid1(SALU_CYCLE_1)
	s_or_b32 exec_lo, exec_lo, s8
	s_mov_b32 s19, exec_lo
	v_cmpx_lt_u32_e32 0xffffff, v20
	s_cbranch_execz .LBB277_491
; %bb.484:                              ;   in Loop: Header=BB277_11 Depth=1
	v_lshrrev_b32_e32 v21, 24, v20
	v_dual_mov_b32 v69, s3 :: v_dual_mov_b32 v68, s2
	s_mov_b32 s20, exec_lo
	s_delay_alu instid0(VALU_DEP_2)
	v_cmpx_ne_u32_e32 0x80, v21
	s_cbranch_execz .LBB277_490
; %bb.485:                              ;   in Loop: Header=BB277_11 Depth=1
	s_mov_b32 s8, s2
	v_bfe_u32 v24, v20, 24, 7
	v_dual_mov_b32 v69, s9 :: v_dual_mov_b32 v68, s8
	s_mov_b32 s8, exec_lo
	s_delay_alu instid0(VALU_DEP_2)
	v_cmpx_ne_u32_e32 0x7f, v24
	s_cbranch_execz .LBB277_489
; %bb.486:                              ;   in Loop: Header=BB277_11 Depth=1
	v_and_b32_e32 v46, 7, v21
	v_lshrrev_b32_e32 v20, 3, v24
	s_mov_b32 s21, exec_lo
	v_cmpx_gt_u32_e32 8, v24
; %bb.487:                              ;   in Loop: Header=BB277_11 Depth=1
	s_delay_alu instid0(VALU_DEP_3) | instskip(NEXT) | instid1(VALU_DEP_1)
	v_clz_i32_u32_e32 v20, v46
	v_min_u32_e32 v20, 32, v20
	s_delay_alu instid0(VALU_DEP_1) | instskip(SKIP_1) | instid1(VALU_DEP_2)
	v_subrev_nc_u32_e32 v24, 28, v20
	v_sub_nc_u32_e32 v20, 29, v20
	v_lshlrev_b64 v[24:25], v24, v[46:47]
	s_delay_alu instid0(VALU_DEP_1)
	v_and_b32_e32 v46, 7, v24
; %bb.488:                              ;   in Loop: Header=BB277_11 Depth=1
	s_or_b32 exec_lo, exec_lo, s21
	v_dual_mov_b32 v68, v47 :: v_dual_lshlrev_b32 v21, 24, v21
	s_delay_alu instid0(VALU_DEP_2) | instskip(SKIP_1) | instid1(VALU_DEP_3)
	v_lshlrev_b32_e32 v24, 20, v46
	v_lshl_add_u32 v20, v20, 23, 0x3c000000
	v_and_b32_e32 v21, 0x80000000, v21
	s_delay_alu instid0(VALU_DEP_1)
	v_or3_b32 v69, v24, v21, v20
.LBB277_489:                            ;   in Loop: Header=BB277_11 Depth=1
	s_or_b32 exec_lo, exec_lo, s8
.LBB277_490:                            ;   in Loop: Header=BB277_11 Depth=1
	s_delay_alu instid0(SALU_CYCLE_1)
	s_or_b32 exec_lo, exec_lo, s20
.LBB277_491:                            ;   in Loop: Header=BB277_11 Depth=1
	s_delay_alu instid0(SALU_CYCLE_1) | instskip(SKIP_4) | instid1(VALU_DEP_1)
	s_or_b32 exec_lo, exec_lo, s19
	flat_load_b32 v20, v[104:105] offset:1548
	v_mov_b32_e32 v80, 0
	v_mov_b32_e32 v81, 0
	s_mov_b32 s8, exec_lo
	v_dual_mov_b32 v83, v81 :: v_dual_mov_b32 v82, v80
	s_waitcnt vmcnt(0) lgkmcnt(0)
	v_and_b32_e32 v21, 0xff, v20
	s_delay_alu instid0(VALU_DEP_1)
	v_cmpx_ne_u16_e32 0, v21
	s_cbranch_execz .LBB277_499
; %bb.492:                              ;   in Loop: Header=BB277_11 Depth=1
	v_bfrev_b32_e32 v82, 1
	v_mov_b32_e32 v83, 0
	s_mov_b32 s19, exec_lo
	v_cmpx_ne_u16_e32 0x80, v21
	s_cbranch_execz .LBB277_498
; %bb.493:                              ;   in Loop: Header=BB277_11 Depth=1
	v_mov_b32_e32 v82, 0x7f800001
	v_dual_mov_b32 v83, 0 :: v_dual_and_b32 v24, 0x7f, v20
	s_mov_b32 s20, exec_lo
	s_delay_alu instid0(VALU_DEP_1)
	v_cmpx_ne_u32_e32 0x7f, v24
	s_cbranch_execz .LBB277_497
; %bb.494:                              ;   in Loop: Header=BB277_11 Depth=1
	v_and_b32_e32 v46, 7, v20
	v_lshrrev_b32_e32 v21, 3, v24
	s_mov_b32 s21, exec_lo
	v_cmpx_gt_u32_e32 8, v24
; %bb.495:                              ;   in Loop: Header=BB277_11 Depth=1
	s_delay_alu instid0(VALU_DEP_3) | instskip(NEXT) | instid1(VALU_DEP_1)
	v_clz_i32_u32_e32 v21, v46
	v_min_u32_e32 v21, 32, v21
	s_delay_alu instid0(VALU_DEP_1) | instskip(SKIP_1) | instid1(VALU_DEP_2)
	v_subrev_nc_u32_e32 v24, 28, v21
	v_sub_nc_u32_e32 v21, 29, v21
	v_lshlrev_b64 v[24:25], v24, v[46:47]
	s_delay_alu instid0(VALU_DEP_1)
	v_and_b32_e32 v46, 7, v24
; %bb.496:                              ;   in Loop: Header=BB277_11 Depth=1
	s_or_b32 exec_lo, exec_lo, s21
	v_lshlrev_b32_e32 v24, 24, v20
	s_delay_alu instid0(VALU_DEP_2) | instskip(SKIP_1) | instid1(VALU_DEP_3)
	v_lshlrev_b32_e32 v25, 20, v46
	v_lshl_add_u32 v21, v21, 23, 0x3c000000
	v_and_b32_e32 v24, 0x80000000, v24
	s_delay_alu instid0(VALU_DEP_1) | instskip(NEXT) | instid1(VALU_DEP_1)
	v_or3_b32 v46, v25, v24, v21
	v_dual_mov_b32 v83, v47 :: v_dual_mov_b32 v82, v46
.LBB277_497:                            ;   in Loop: Header=BB277_11 Depth=1
	s_or_b32 exec_lo, exec_lo, s20
.LBB277_498:                            ;   in Loop: Header=BB277_11 Depth=1
	s_delay_alu instid0(SALU_CYCLE_1)
	s_or_b32 exec_lo, exec_lo, s19
.LBB277_499:                            ;   in Loop: Header=BB277_11 Depth=1
	s_delay_alu instid0(SALU_CYCLE_1) | instskip(SKIP_2) | instid1(VALU_DEP_1)
	s_or_b32 exec_lo, exec_lo, s8
	v_lshrrev_b16 v21, 8, v20
	s_mov_b32 s19, exec_lo
	v_cmpx_ne_u16_e32 0, v21
	s_cbranch_execz .LBB277_507
; %bb.500:                              ;   in Loop: Header=BB277_11 Depth=1
	v_dual_mov_b32 v81, s3 :: v_dual_mov_b32 v80, s2
	s_mov_b32 s20, exec_lo
	v_cmpx_ne_u16_e32 0x80, v21
	s_cbranch_execz .LBB277_506
; %bb.501:                              ;   in Loop: Header=BB277_11 Depth=1
	s_mov_b32 s8, s2
	v_and_b32_e32 v21, 0xffff, v21
	v_dual_mov_b32 v81, s9 :: v_dual_mov_b32 v80, s8
	s_mov_b32 s8, exec_lo
	s_delay_alu instid0(VALU_DEP_2) | instskip(NEXT) | instid1(VALU_DEP_1)
	v_and_b32_e32 v24, 0x7f, v21
	v_cmpx_ne_u32_e32 0x7f, v24
	s_cbranch_execz .LBB277_505
; %bb.502:                              ;   in Loop: Header=BB277_11 Depth=1
	v_and_b32_e32 v46, 7, v21
	v_lshrrev_b32_e32 v21, 3, v24
	s_mov_b32 s21, exec_lo
	v_cmpx_gt_u32_e32 8, v24
; %bb.503:                              ;   in Loop: Header=BB277_11 Depth=1
	s_delay_alu instid0(VALU_DEP_3) | instskip(NEXT) | instid1(VALU_DEP_1)
	v_clz_i32_u32_e32 v21, v46
	v_min_u32_e32 v21, 32, v21
	s_delay_alu instid0(VALU_DEP_1) | instskip(SKIP_1) | instid1(VALU_DEP_2)
	v_subrev_nc_u32_e32 v24, 28, v21
	v_sub_nc_u32_e32 v21, 29, v21
	v_lshlrev_b64 v[24:25], v24, v[46:47]
	s_delay_alu instid0(VALU_DEP_1)
	v_and_b32_e32 v46, 7, v24
; %bb.504:                              ;   in Loop: Header=BB277_11 Depth=1
	s_or_b32 exec_lo, exec_lo, s21
	v_lshlrev_b32_e32 v24, 16, v20
	s_delay_alu instid0(VALU_DEP_2) | instskip(SKIP_1) | instid1(VALU_DEP_3)
	v_dual_mov_b32 v80, v47 :: v_dual_lshlrev_b32 v25, 20, v46
	v_lshl_add_u32 v21, v21, 23, 0x3c000000
	v_and_b32_e32 v24, 0x80000000, v24
	s_delay_alu instid0(VALU_DEP_1)
	v_or3_b32 v81, v25, v24, v21
.LBB277_505:                            ;   in Loop: Header=BB277_11 Depth=1
	s_or_b32 exec_lo, exec_lo, s8
.LBB277_506:                            ;   in Loop: Header=BB277_11 Depth=1
	s_delay_alu instid0(SALU_CYCLE_1)
	s_or_b32 exec_lo, exec_lo, s20
.LBB277_507:                            ;   in Loop: Header=BB277_11 Depth=1
	s_delay_alu instid0(SALU_CYCLE_1) | instskip(SKIP_4) | instid1(VALU_DEP_1)
	s_or_b32 exec_lo, exec_lo, s19
	v_mov_b32_e32 v84, 0
	v_lshrrev_b32_e32 v21, 16, v20
	v_mov_b32_e32 v85, 0
	s_mov_b32 s8, exec_lo
	v_dual_mov_b32 v87, v85 :: v_dual_and_b32 v24, 0xff, v21
	v_mov_b32_e32 v86, v84
	s_delay_alu instid0(VALU_DEP_2)
	v_cmpx_ne_u16_e32 0, v24
	s_cbranch_execz .LBB277_515
; %bb.508:                              ;   in Loop: Header=BB277_11 Depth=1
	v_bfrev_b32_e32 v86, 1
	v_mov_b32_e32 v87, 0
	s_mov_b32 s19, exec_lo
	v_cmpx_ne_u16_e32 0x80, v24
	s_cbranch_execz .LBB277_514
; %bb.509:                              ;   in Loop: Header=BB277_11 Depth=1
	v_mov_b32_e32 v86, 0x7f800001
	v_bfe_u32 v25, v20, 16, 7
	v_mov_b32_e32 v87, 0
	s_mov_b32 s20, exec_lo
	s_delay_alu instid0(VALU_DEP_2)
	v_cmpx_ne_u32_e32 0x7f, v25
	s_cbranch_execz .LBB277_513
; %bb.510:                              ;   in Loop: Header=BB277_11 Depth=1
	v_and_b32_e32 v46, 7, v21
	v_lshrrev_b32_e32 v24, 3, v25
	s_mov_b32 s21, exec_lo
	v_cmpx_gt_u32_e32 8, v25
; %bb.511:                              ;   in Loop: Header=BB277_11 Depth=1
	s_delay_alu instid0(VALU_DEP_3) | instskip(NEXT) | instid1(VALU_DEP_1)
	v_clz_i32_u32_e32 v24, v46
	v_min_u32_e32 v24, 32, v24
	s_delay_alu instid0(VALU_DEP_1) | instskip(SKIP_1) | instid1(VALU_DEP_2)
	v_subrev_nc_u32_e32 v25, 28, v24
	v_sub_nc_u32_e32 v24, 29, v24
	v_lshlrev_b64 v[86:87], v25, v[46:47]
	s_delay_alu instid0(VALU_DEP_1)
	v_and_b32_e32 v46, 7, v86
; %bb.512:                              ;   in Loop: Header=BB277_11 Depth=1
	s_or_b32 exec_lo, exec_lo, s21
	v_lshlrev_b32_e32 v21, 24, v21
	s_delay_alu instid0(VALU_DEP_2) | instskip(SKIP_1) | instid1(VALU_DEP_3)
	v_lshlrev_b32_e32 v25, 20, v46
	v_lshl_add_u32 v24, v24, 23, 0x3c000000
	v_and_b32_e32 v21, 0x80000000, v21
	s_delay_alu instid0(VALU_DEP_1) | instskip(NEXT) | instid1(VALU_DEP_1)
	v_or3_b32 v46, v25, v21, v24
	v_dual_mov_b32 v87, v47 :: v_dual_mov_b32 v86, v46
.LBB277_513:                            ;   in Loop: Header=BB277_11 Depth=1
	s_or_b32 exec_lo, exec_lo, s20
.LBB277_514:                            ;   in Loop: Header=BB277_11 Depth=1
	s_delay_alu instid0(SALU_CYCLE_1)
	s_or_b32 exec_lo, exec_lo, s19
.LBB277_515:                            ;   in Loop: Header=BB277_11 Depth=1
	s_delay_alu instid0(SALU_CYCLE_1) | instskip(NEXT) | instid1(SALU_CYCLE_1)
	s_or_b32 exec_lo, exec_lo, s8
	s_mov_b32 s19, exec_lo
	v_cmpx_lt_u32_e32 0xffffff, v20
	s_cbranch_execz .LBB277_523
; %bb.516:                              ;   in Loop: Header=BB277_11 Depth=1
	v_lshrrev_b32_e32 v21, 24, v20
	v_dual_mov_b32 v85, s3 :: v_dual_mov_b32 v84, s2
	s_mov_b32 s20, exec_lo
	s_delay_alu instid0(VALU_DEP_2)
	v_cmpx_ne_u32_e32 0x80, v21
	s_cbranch_execz .LBB277_522
; %bb.517:                              ;   in Loop: Header=BB277_11 Depth=1
	s_mov_b32 s8, s2
	v_bfe_u32 v24, v20, 24, 7
	v_dual_mov_b32 v85, s9 :: v_dual_mov_b32 v84, s8
	s_mov_b32 s8, exec_lo
	s_delay_alu instid0(VALU_DEP_2)
	v_cmpx_ne_u32_e32 0x7f, v24
	s_cbranch_execz .LBB277_521
; %bb.518:                              ;   in Loop: Header=BB277_11 Depth=1
	v_and_b32_e32 v46, 7, v21
	v_lshrrev_b32_e32 v20, 3, v24
	s_mov_b32 s21, exec_lo
	v_cmpx_gt_u32_e32 8, v24
; %bb.519:                              ;   in Loop: Header=BB277_11 Depth=1
	s_delay_alu instid0(VALU_DEP_3) | instskip(NEXT) | instid1(VALU_DEP_1)
	v_clz_i32_u32_e32 v20, v46
	v_min_u32_e32 v20, 32, v20
	s_delay_alu instid0(VALU_DEP_1) | instskip(SKIP_1) | instid1(VALU_DEP_2)
	v_subrev_nc_u32_e32 v24, 28, v20
	v_sub_nc_u32_e32 v20, 29, v20
	v_lshlrev_b64 v[24:25], v24, v[46:47]
	s_delay_alu instid0(VALU_DEP_1)
	v_and_b32_e32 v46, 7, v24
; %bb.520:                              ;   in Loop: Header=BB277_11 Depth=1
	s_or_b32 exec_lo, exec_lo, s21
	v_dual_mov_b32 v84, v47 :: v_dual_lshlrev_b32 v21, 24, v21
	s_delay_alu instid0(VALU_DEP_2) | instskip(SKIP_1) | instid1(VALU_DEP_3)
	v_lshlrev_b32_e32 v24, 20, v46
	v_lshl_add_u32 v20, v20, 23, 0x3c000000
	v_and_b32_e32 v21, 0x80000000, v21
	s_delay_alu instid0(VALU_DEP_1)
	v_or3_b32 v85, v24, v21, v20
.LBB277_521:                            ;   in Loop: Header=BB277_11 Depth=1
	s_or_b32 exec_lo, exec_lo, s8
.LBB277_522:                            ;   in Loop: Header=BB277_11 Depth=1
	s_delay_alu instid0(SALU_CYCLE_1)
	s_or_b32 exec_lo, exec_lo, s20
.LBB277_523:                            ;   in Loop: Header=BB277_11 Depth=1
	s_delay_alu instid0(SALU_CYCLE_1) | instskip(SKIP_4) | instid1(VALU_DEP_1)
	s_or_b32 exec_lo, exec_lo, s19
	flat_load_b32 v20, v[104:105] offset:2048
	v_mov_b32_e32 v96, 0
	v_mov_b32_e32 v97, 0
	s_mov_b32 s8, exec_lo
	v_dual_mov_b32 v99, v97 :: v_dual_mov_b32 v98, v96
	s_waitcnt vmcnt(0) lgkmcnt(0)
	v_and_b32_e32 v21, 0xff, v20
	s_delay_alu instid0(VALU_DEP_1)
	v_cmpx_ne_u16_e32 0, v21
	s_cbranch_execz .LBB277_531
; %bb.524:                              ;   in Loop: Header=BB277_11 Depth=1
	v_bfrev_b32_e32 v98, 1
	v_mov_b32_e32 v99, 0
	s_mov_b32 s19, exec_lo
	v_cmpx_ne_u16_e32 0x80, v21
	s_cbranch_execz .LBB277_530
; %bb.525:                              ;   in Loop: Header=BB277_11 Depth=1
	v_mov_b32_e32 v98, 0x7f800001
	v_dual_mov_b32 v99, 0 :: v_dual_and_b32 v24, 0x7f, v20
	s_mov_b32 s20, exec_lo
	s_delay_alu instid0(VALU_DEP_1)
	v_cmpx_ne_u32_e32 0x7f, v24
	s_cbranch_execz .LBB277_529
; %bb.526:                              ;   in Loop: Header=BB277_11 Depth=1
	v_and_b32_e32 v46, 7, v20
	v_lshrrev_b32_e32 v21, 3, v24
	s_mov_b32 s21, exec_lo
	v_cmpx_gt_u32_e32 8, v24
; %bb.527:                              ;   in Loop: Header=BB277_11 Depth=1
	s_delay_alu instid0(VALU_DEP_3) | instskip(NEXT) | instid1(VALU_DEP_1)
	v_clz_i32_u32_e32 v21, v46
	v_min_u32_e32 v21, 32, v21
	s_delay_alu instid0(VALU_DEP_1) | instskip(SKIP_1) | instid1(VALU_DEP_2)
	v_subrev_nc_u32_e32 v24, 28, v21
	v_sub_nc_u32_e32 v21, 29, v21
	v_lshlrev_b64 v[24:25], v24, v[46:47]
	s_delay_alu instid0(VALU_DEP_1)
	v_and_b32_e32 v46, 7, v24
; %bb.528:                              ;   in Loop: Header=BB277_11 Depth=1
	s_or_b32 exec_lo, exec_lo, s21
	v_lshlrev_b32_e32 v24, 24, v20
	s_delay_alu instid0(VALU_DEP_2) | instskip(SKIP_1) | instid1(VALU_DEP_3)
	v_lshlrev_b32_e32 v25, 20, v46
	v_lshl_add_u32 v21, v21, 23, 0x3c000000
	v_and_b32_e32 v24, 0x80000000, v24
	s_delay_alu instid0(VALU_DEP_1) | instskip(NEXT) | instid1(VALU_DEP_1)
	v_or3_b32 v46, v25, v24, v21
	v_dual_mov_b32 v99, v47 :: v_dual_mov_b32 v98, v46
.LBB277_529:                            ;   in Loop: Header=BB277_11 Depth=1
	s_or_b32 exec_lo, exec_lo, s20
.LBB277_530:                            ;   in Loop: Header=BB277_11 Depth=1
	s_delay_alu instid0(SALU_CYCLE_1)
	s_or_b32 exec_lo, exec_lo, s19
.LBB277_531:                            ;   in Loop: Header=BB277_11 Depth=1
	s_delay_alu instid0(SALU_CYCLE_1) | instskip(SKIP_2) | instid1(VALU_DEP_1)
	s_or_b32 exec_lo, exec_lo, s8
	v_lshrrev_b16 v21, 8, v20
	s_mov_b32 s19, exec_lo
	v_cmpx_ne_u16_e32 0, v21
	s_cbranch_execz .LBB277_539
; %bb.532:                              ;   in Loop: Header=BB277_11 Depth=1
	v_dual_mov_b32 v97, s3 :: v_dual_mov_b32 v96, s2
	s_mov_b32 s20, exec_lo
	v_cmpx_ne_u16_e32 0x80, v21
	s_cbranch_execz .LBB277_538
; %bb.533:                              ;   in Loop: Header=BB277_11 Depth=1
	s_mov_b32 s8, s2
	v_and_b32_e32 v21, 0xffff, v21
	v_dual_mov_b32 v97, s9 :: v_dual_mov_b32 v96, s8
	s_mov_b32 s8, exec_lo
	s_delay_alu instid0(VALU_DEP_2) | instskip(NEXT) | instid1(VALU_DEP_1)
	v_and_b32_e32 v24, 0x7f, v21
	v_cmpx_ne_u32_e32 0x7f, v24
	s_cbranch_execz .LBB277_537
; %bb.534:                              ;   in Loop: Header=BB277_11 Depth=1
	v_and_b32_e32 v46, 7, v21
	v_lshrrev_b32_e32 v21, 3, v24
	s_mov_b32 s21, exec_lo
	v_cmpx_gt_u32_e32 8, v24
; %bb.535:                              ;   in Loop: Header=BB277_11 Depth=1
	s_delay_alu instid0(VALU_DEP_3) | instskip(NEXT) | instid1(VALU_DEP_1)
	v_clz_i32_u32_e32 v21, v46
	v_min_u32_e32 v21, 32, v21
	s_delay_alu instid0(VALU_DEP_1) | instskip(SKIP_1) | instid1(VALU_DEP_2)
	v_subrev_nc_u32_e32 v24, 28, v21
	v_sub_nc_u32_e32 v21, 29, v21
	v_lshlrev_b64 v[24:25], v24, v[46:47]
	s_delay_alu instid0(VALU_DEP_1)
	v_and_b32_e32 v46, 7, v24
; %bb.536:                              ;   in Loop: Header=BB277_11 Depth=1
	s_or_b32 exec_lo, exec_lo, s21
	v_lshlrev_b32_e32 v24, 16, v20
	s_delay_alu instid0(VALU_DEP_2) | instskip(SKIP_1) | instid1(VALU_DEP_3)
	v_dual_mov_b32 v96, v47 :: v_dual_lshlrev_b32 v25, 20, v46
	v_lshl_add_u32 v21, v21, 23, 0x3c000000
	v_and_b32_e32 v24, 0x80000000, v24
	s_delay_alu instid0(VALU_DEP_1)
	v_or3_b32 v97, v25, v24, v21
.LBB277_537:                            ;   in Loop: Header=BB277_11 Depth=1
	s_or_b32 exec_lo, exec_lo, s8
.LBB277_538:                            ;   in Loop: Header=BB277_11 Depth=1
	s_delay_alu instid0(SALU_CYCLE_1)
	s_or_b32 exec_lo, exec_lo, s20
.LBB277_539:                            ;   in Loop: Header=BB277_11 Depth=1
	s_delay_alu instid0(SALU_CYCLE_1) | instskip(SKIP_4) | instid1(VALU_DEP_1)
	s_or_b32 exec_lo, exec_lo, s19
	v_mov_b32_e32 v100, 0
	v_lshrrev_b32_e32 v21, 16, v20
	v_mov_b32_e32 v101, 0
	s_mov_b32 s8, exec_lo
	v_dual_mov_b32 v103, v101 :: v_dual_and_b32 v24, 0xff, v21
	v_mov_b32_e32 v102, v100
	s_delay_alu instid0(VALU_DEP_2)
	v_cmpx_ne_u16_e32 0, v24
	s_cbranch_execz .LBB277_547
; %bb.540:                              ;   in Loop: Header=BB277_11 Depth=1
	v_bfrev_b32_e32 v102, 1
	v_mov_b32_e32 v103, 0
	s_mov_b32 s19, exec_lo
	v_cmpx_ne_u16_e32 0x80, v24
	s_cbranch_execz .LBB277_546
; %bb.541:                              ;   in Loop: Header=BB277_11 Depth=1
	v_mov_b32_e32 v102, 0x7f800001
	v_bfe_u32 v25, v20, 16, 7
	v_mov_b32_e32 v103, 0
	s_mov_b32 s20, exec_lo
	s_delay_alu instid0(VALU_DEP_2)
	v_cmpx_ne_u32_e32 0x7f, v25
	s_cbranch_execz .LBB277_545
; %bb.542:                              ;   in Loop: Header=BB277_11 Depth=1
	v_and_b32_e32 v46, 7, v21
	v_lshrrev_b32_e32 v24, 3, v25
	s_mov_b32 s21, exec_lo
	v_cmpx_gt_u32_e32 8, v25
; %bb.543:                              ;   in Loop: Header=BB277_11 Depth=1
	s_delay_alu instid0(VALU_DEP_3) | instskip(NEXT) | instid1(VALU_DEP_1)
	v_clz_i32_u32_e32 v24, v46
	v_min_u32_e32 v24, 32, v24
	s_delay_alu instid0(VALU_DEP_1) | instskip(SKIP_1) | instid1(VALU_DEP_2)
	v_subrev_nc_u32_e32 v25, 28, v24
	v_sub_nc_u32_e32 v24, 29, v24
	v_lshlrev_b64 v[102:103], v25, v[46:47]
	s_delay_alu instid0(VALU_DEP_1)
	v_and_b32_e32 v46, 7, v102
; %bb.544:                              ;   in Loop: Header=BB277_11 Depth=1
	s_or_b32 exec_lo, exec_lo, s21
	v_lshlrev_b32_e32 v21, 24, v21
	s_delay_alu instid0(VALU_DEP_2) | instskip(SKIP_1) | instid1(VALU_DEP_3)
	v_lshlrev_b32_e32 v25, 20, v46
	v_lshl_add_u32 v24, v24, 23, 0x3c000000
	v_and_b32_e32 v21, 0x80000000, v21
	s_delay_alu instid0(VALU_DEP_1) | instskip(NEXT) | instid1(VALU_DEP_1)
	v_or3_b32 v46, v25, v21, v24
	v_dual_mov_b32 v103, v47 :: v_dual_mov_b32 v102, v46
.LBB277_545:                            ;   in Loop: Header=BB277_11 Depth=1
	s_or_b32 exec_lo, exec_lo, s20
.LBB277_546:                            ;   in Loop: Header=BB277_11 Depth=1
	s_delay_alu instid0(SALU_CYCLE_1)
	s_or_b32 exec_lo, exec_lo, s19
.LBB277_547:                            ;   in Loop: Header=BB277_11 Depth=1
	s_delay_alu instid0(SALU_CYCLE_1) | instskip(NEXT) | instid1(SALU_CYCLE_1)
	s_or_b32 exec_lo, exec_lo, s8
	s_mov_b32 s19, exec_lo
	v_cmpx_lt_u32_e32 0xffffff, v20
	s_cbranch_execz .LBB277_555
; %bb.548:                              ;   in Loop: Header=BB277_11 Depth=1
	v_lshrrev_b32_e32 v21, 24, v20
	v_dual_mov_b32 v101, s3 :: v_dual_mov_b32 v100, s2
	s_mov_b32 s20, exec_lo
	s_delay_alu instid0(VALU_DEP_2)
	v_cmpx_ne_u32_e32 0x80, v21
	s_cbranch_execz .LBB277_554
; %bb.549:                              ;   in Loop: Header=BB277_11 Depth=1
	s_mov_b32 s8, s2
	v_bfe_u32 v24, v20, 24, 7
	v_dual_mov_b32 v101, s9 :: v_dual_mov_b32 v100, s8
	s_mov_b32 s8, exec_lo
	s_delay_alu instid0(VALU_DEP_2)
	v_cmpx_ne_u32_e32 0x7f, v24
	s_cbranch_execz .LBB277_553
; %bb.550:                              ;   in Loop: Header=BB277_11 Depth=1
	v_and_b32_e32 v46, 7, v21
	v_lshrrev_b32_e32 v20, 3, v24
	s_mov_b32 s21, exec_lo
	v_cmpx_gt_u32_e32 8, v24
; %bb.551:                              ;   in Loop: Header=BB277_11 Depth=1
	s_delay_alu instid0(VALU_DEP_3) | instskip(NEXT) | instid1(VALU_DEP_1)
	v_clz_i32_u32_e32 v20, v46
	v_min_u32_e32 v20, 32, v20
	s_delay_alu instid0(VALU_DEP_1) | instskip(SKIP_1) | instid1(VALU_DEP_2)
	v_subrev_nc_u32_e32 v24, 28, v20
	v_sub_nc_u32_e32 v20, 29, v20
	v_lshlrev_b64 v[24:25], v24, v[46:47]
	s_delay_alu instid0(VALU_DEP_1)
	v_and_b32_e32 v46, 7, v24
; %bb.552:                              ;   in Loop: Header=BB277_11 Depth=1
	s_or_b32 exec_lo, exec_lo, s21
	v_dual_mov_b32 v100, v47 :: v_dual_lshlrev_b32 v21, 24, v21
	s_delay_alu instid0(VALU_DEP_2) | instskip(SKIP_1) | instid1(VALU_DEP_3)
	v_lshlrev_b32_e32 v24, 20, v46
	v_lshl_add_u32 v20, v20, 23, 0x3c000000
	v_and_b32_e32 v21, 0x80000000, v21
	s_delay_alu instid0(VALU_DEP_1)
	v_or3_b32 v101, v24, v21, v20
.LBB277_553:                            ;   in Loop: Header=BB277_11 Depth=1
	s_or_b32 exec_lo, exec_lo, s8
.LBB277_554:                            ;   in Loop: Header=BB277_11 Depth=1
	s_delay_alu instid0(SALU_CYCLE_1)
	s_or_b32 exec_lo, exec_lo, s20
.LBB277_555:                            ;   in Loop: Header=BB277_11 Depth=1
	s_delay_alu instid0(SALU_CYCLE_1) | instskip(SKIP_4) | instid1(VALU_DEP_1)
	s_or_b32 exec_lo, exec_lo, s19
	flat_load_b32 v20, v[104:105] offset:2052
	v_mov_b32_e32 v112, 0
	v_mov_b32_e32 v113, 0
	s_mov_b32 s8, exec_lo
	v_dual_mov_b32 v115, v113 :: v_dual_mov_b32 v114, v112
	s_waitcnt vmcnt(0) lgkmcnt(0)
	v_and_b32_e32 v21, 0xff, v20
	s_delay_alu instid0(VALU_DEP_1)
	v_cmpx_ne_u16_e32 0, v21
	s_cbranch_execz .LBB277_563
; %bb.556:                              ;   in Loop: Header=BB277_11 Depth=1
	v_bfrev_b32_e32 v114, 1
	v_mov_b32_e32 v115, 0
	s_mov_b32 s19, exec_lo
	v_cmpx_ne_u16_e32 0x80, v21
	s_cbranch_execz .LBB277_562
; %bb.557:                              ;   in Loop: Header=BB277_11 Depth=1
	v_mov_b32_e32 v114, 0x7f800001
	v_dual_mov_b32 v115, 0 :: v_dual_and_b32 v24, 0x7f, v20
	s_mov_b32 s20, exec_lo
	s_delay_alu instid0(VALU_DEP_1)
	v_cmpx_ne_u32_e32 0x7f, v24
	s_cbranch_execz .LBB277_561
; %bb.558:                              ;   in Loop: Header=BB277_11 Depth=1
	v_and_b32_e32 v46, 7, v20
	v_lshrrev_b32_e32 v21, 3, v24
	s_mov_b32 s21, exec_lo
	v_cmpx_gt_u32_e32 8, v24
; %bb.559:                              ;   in Loop: Header=BB277_11 Depth=1
	s_delay_alu instid0(VALU_DEP_3) | instskip(NEXT) | instid1(VALU_DEP_1)
	v_clz_i32_u32_e32 v21, v46
	v_min_u32_e32 v21, 32, v21
	s_delay_alu instid0(VALU_DEP_1) | instskip(SKIP_1) | instid1(VALU_DEP_2)
	v_subrev_nc_u32_e32 v24, 28, v21
	v_sub_nc_u32_e32 v21, 29, v21
	v_lshlrev_b64 v[24:25], v24, v[46:47]
	s_delay_alu instid0(VALU_DEP_1)
	v_and_b32_e32 v46, 7, v24
; %bb.560:                              ;   in Loop: Header=BB277_11 Depth=1
	s_or_b32 exec_lo, exec_lo, s21
	v_lshlrev_b32_e32 v24, 24, v20
	s_delay_alu instid0(VALU_DEP_2) | instskip(SKIP_1) | instid1(VALU_DEP_3)
	v_lshlrev_b32_e32 v25, 20, v46
	v_lshl_add_u32 v21, v21, 23, 0x3c000000
	v_and_b32_e32 v24, 0x80000000, v24
	s_delay_alu instid0(VALU_DEP_1) | instskip(NEXT) | instid1(VALU_DEP_1)
	v_or3_b32 v46, v25, v24, v21
	v_dual_mov_b32 v115, v47 :: v_dual_mov_b32 v114, v46
.LBB277_561:                            ;   in Loop: Header=BB277_11 Depth=1
	s_or_b32 exec_lo, exec_lo, s20
.LBB277_562:                            ;   in Loop: Header=BB277_11 Depth=1
	s_delay_alu instid0(SALU_CYCLE_1)
	s_or_b32 exec_lo, exec_lo, s19
.LBB277_563:                            ;   in Loop: Header=BB277_11 Depth=1
	s_delay_alu instid0(SALU_CYCLE_1) | instskip(SKIP_2) | instid1(VALU_DEP_1)
	s_or_b32 exec_lo, exec_lo, s8
	v_lshrrev_b16 v21, 8, v20
	s_mov_b32 s19, exec_lo
	v_cmpx_ne_u16_e32 0, v21
	s_cbranch_execz .LBB277_571
; %bb.564:                              ;   in Loop: Header=BB277_11 Depth=1
	v_dual_mov_b32 v113, s3 :: v_dual_mov_b32 v112, s2
	s_mov_b32 s20, exec_lo
	v_cmpx_ne_u16_e32 0x80, v21
	s_cbranch_execz .LBB277_570
; %bb.565:                              ;   in Loop: Header=BB277_11 Depth=1
	s_mov_b32 s8, s2
	v_and_b32_e32 v21, 0xffff, v21
	v_dual_mov_b32 v113, s9 :: v_dual_mov_b32 v112, s8
	s_mov_b32 s8, exec_lo
	s_delay_alu instid0(VALU_DEP_2) | instskip(NEXT) | instid1(VALU_DEP_1)
	v_and_b32_e32 v24, 0x7f, v21
	v_cmpx_ne_u32_e32 0x7f, v24
	s_cbranch_execz .LBB277_569
; %bb.566:                              ;   in Loop: Header=BB277_11 Depth=1
	v_and_b32_e32 v46, 7, v21
	v_lshrrev_b32_e32 v21, 3, v24
	s_mov_b32 s21, exec_lo
	v_cmpx_gt_u32_e32 8, v24
; %bb.567:                              ;   in Loop: Header=BB277_11 Depth=1
	s_delay_alu instid0(VALU_DEP_3) | instskip(NEXT) | instid1(VALU_DEP_1)
	v_clz_i32_u32_e32 v21, v46
	v_min_u32_e32 v21, 32, v21
	s_delay_alu instid0(VALU_DEP_1) | instskip(SKIP_1) | instid1(VALU_DEP_2)
	v_subrev_nc_u32_e32 v24, 28, v21
	v_sub_nc_u32_e32 v21, 29, v21
	v_lshlrev_b64 v[24:25], v24, v[46:47]
	s_delay_alu instid0(VALU_DEP_1)
	v_and_b32_e32 v46, 7, v24
; %bb.568:                              ;   in Loop: Header=BB277_11 Depth=1
	s_or_b32 exec_lo, exec_lo, s21
	v_lshlrev_b32_e32 v24, 16, v20
	s_delay_alu instid0(VALU_DEP_2) | instskip(SKIP_1) | instid1(VALU_DEP_3)
	v_dual_mov_b32 v112, v47 :: v_dual_lshlrev_b32 v25, 20, v46
	v_lshl_add_u32 v21, v21, 23, 0x3c000000
	v_and_b32_e32 v24, 0x80000000, v24
	s_delay_alu instid0(VALU_DEP_1)
	v_or3_b32 v113, v25, v24, v21
.LBB277_569:                            ;   in Loop: Header=BB277_11 Depth=1
	s_or_b32 exec_lo, exec_lo, s8
.LBB277_570:                            ;   in Loop: Header=BB277_11 Depth=1
	s_delay_alu instid0(SALU_CYCLE_1)
	s_or_b32 exec_lo, exec_lo, s20
.LBB277_571:                            ;   in Loop: Header=BB277_11 Depth=1
	s_delay_alu instid0(SALU_CYCLE_1) | instskip(SKIP_4) | instid1(VALU_DEP_1)
	s_or_b32 exec_lo, exec_lo, s19
	v_mov_b32_e32 v116, 0
	v_lshrrev_b32_e32 v21, 16, v20
	v_mov_b32_e32 v117, 0
	s_mov_b32 s8, exec_lo
	v_dual_mov_b32 v119, v117 :: v_dual_and_b32 v24, 0xff, v21
	v_mov_b32_e32 v118, v116
	s_delay_alu instid0(VALU_DEP_2)
	v_cmpx_ne_u16_e32 0, v24
	s_cbranch_execz .LBB277_579
; %bb.572:                              ;   in Loop: Header=BB277_11 Depth=1
	v_bfrev_b32_e32 v118, 1
	v_mov_b32_e32 v119, 0
	s_mov_b32 s19, exec_lo
	v_cmpx_ne_u16_e32 0x80, v24
	s_cbranch_execz .LBB277_578
; %bb.573:                              ;   in Loop: Header=BB277_11 Depth=1
	v_mov_b32_e32 v118, 0x7f800001
	v_bfe_u32 v25, v20, 16, 7
	v_mov_b32_e32 v119, 0
	s_mov_b32 s20, exec_lo
	s_delay_alu instid0(VALU_DEP_2)
	v_cmpx_ne_u32_e32 0x7f, v25
	s_cbranch_execz .LBB277_577
; %bb.574:                              ;   in Loop: Header=BB277_11 Depth=1
	v_and_b32_e32 v46, 7, v21
	v_lshrrev_b32_e32 v24, 3, v25
	s_mov_b32 s21, exec_lo
	v_cmpx_gt_u32_e32 8, v25
; %bb.575:                              ;   in Loop: Header=BB277_11 Depth=1
	s_delay_alu instid0(VALU_DEP_3) | instskip(NEXT) | instid1(VALU_DEP_1)
	v_clz_i32_u32_e32 v24, v46
	v_min_u32_e32 v24, 32, v24
	s_delay_alu instid0(VALU_DEP_1) | instskip(SKIP_1) | instid1(VALU_DEP_2)
	v_subrev_nc_u32_e32 v25, 28, v24
	v_sub_nc_u32_e32 v24, 29, v24
	v_lshlrev_b64 v[118:119], v25, v[46:47]
	s_delay_alu instid0(VALU_DEP_1)
	v_and_b32_e32 v46, 7, v118
; %bb.576:                              ;   in Loop: Header=BB277_11 Depth=1
	s_or_b32 exec_lo, exec_lo, s21
	v_lshlrev_b32_e32 v21, 24, v21
	s_delay_alu instid0(VALU_DEP_2) | instskip(SKIP_1) | instid1(VALU_DEP_3)
	v_lshlrev_b32_e32 v25, 20, v46
	v_lshl_add_u32 v24, v24, 23, 0x3c000000
	v_and_b32_e32 v21, 0x80000000, v21
	s_delay_alu instid0(VALU_DEP_1) | instskip(NEXT) | instid1(VALU_DEP_1)
	v_or3_b32 v46, v25, v21, v24
	v_dual_mov_b32 v119, v47 :: v_dual_mov_b32 v118, v46
.LBB277_577:                            ;   in Loop: Header=BB277_11 Depth=1
	s_or_b32 exec_lo, exec_lo, s20
.LBB277_578:                            ;   in Loop: Header=BB277_11 Depth=1
	s_delay_alu instid0(SALU_CYCLE_1)
	s_or_b32 exec_lo, exec_lo, s19
.LBB277_579:                            ;   in Loop: Header=BB277_11 Depth=1
	s_delay_alu instid0(SALU_CYCLE_1) | instskip(NEXT) | instid1(SALU_CYCLE_1)
	s_or_b32 exec_lo, exec_lo, s8
	s_mov_b32 s19, exec_lo
	v_cmpx_lt_u32_e32 0xffffff, v20
	s_cbranch_execz .LBB277_587
; %bb.580:                              ;   in Loop: Header=BB277_11 Depth=1
	v_lshrrev_b32_e32 v21, 24, v20
	v_dual_mov_b32 v117, s3 :: v_dual_mov_b32 v116, s2
	s_mov_b32 s20, exec_lo
	s_delay_alu instid0(VALU_DEP_2)
	v_cmpx_ne_u32_e32 0x80, v21
	s_cbranch_execz .LBB277_586
; %bb.581:                              ;   in Loop: Header=BB277_11 Depth=1
	s_mov_b32 s8, s2
	v_bfe_u32 v24, v20, 24, 7
	v_dual_mov_b32 v117, s9 :: v_dual_mov_b32 v116, s8
	s_mov_b32 s8, exec_lo
	s_delay_alu instid0(VALU_DEP_2)
	v_cmpx_ne_u32_e32 0x7f, v24
	s_cbranch_execz .LBB277_585
; %bb.582:                              ;   in Loop: Header=BB277_11 Depth=1
	v_and_b32_e32 v46, 7, v21
	v_lshrrev_b32_e32 v20, 3, v24
	s_mov_b32 s21, exec_lo
	v_cmpx_gt_u32_e32 8, v24
; %bb.583:                              ;   in Loop: Header=BB277_11 Depth=1
	s_delay_alu instid0(VALU_DEP_3) | instskip(NEXT) | instid1(VALU_DEP_1)
	v_clz_i32_u32_e32 v20, v46
	v_min_u32_e32 v20, 32, v20
	s_delay_alu instid0(VALU_DEP_1) | instskip(SKIP_1) | instid1(VALU_DEP_2)
	v_subrev_nc_u32_e32 v24, 28, v20
	v_sub_nc_u32_e32 v20, 29, v20
	v_lshlrev_b64 v[24:25], v24, v[46:47]
	s_delay_alu instid0(VALU_DEP_1)
	v_and_b32_e32 v46, 7, v24
; %bb.584:                              ;   in Loop: Header=BB277_11 Depth=1
	s_or_b32 exec_lo, exec_lo, s21
	v_dual_mov_b32 v116, v47 :: v_dual_lshlrev_b32 v21, 24, v21
	s_delay_alu instid0(VALU_DEP_2) | instskip(SKIP_1) | instid1(VALU_DEP_3)
	v_lshlrev_b32_e32 v24, 20, v46
	v_lshl_add_u32 v20, v20, 23, 0x3c000000
	v_and_b32_e32 v21, 0x80000000, v21
	s_delay_alu instid0(VALU_DEP_1)
	v_or3_b32 v117, v24, v21, v20
.LBB277_585:                            ;   in Loop: Header=BB277_11 Depth=1
	s_or_b32 exec_lo, exec_lo, s8
.LBB277_586:                            ;   in Loop: Header=BB277_11 Depth=1
	s_delay_alu instid0(SALU_CYCLE_1)
	s_or_b32 exec_lo, exec_lo, s20
.LBB277_587:                            ;   in Loop: Header=BB277_11 Depth=1
	s_delay_alu instid0(SALU_CYCLE_1) | instskip(SKIP_4) | instid1(VALU_DEP_1)
	s_or_b32 exec_lo, exec_lo, s19
	flat_load_b32 v20, v[104:105] offset:2056
	v_mov_b32_e32 v128, 0
	v_mov_b32_e32 v129, 0
	s_mov_b32 s8, exec_lo
	v_dual_mov_b32 v131, v129 :: v_dual_mov_b32 v130, v128
	s_waitcnt vmcnt(0) lgkmcnt(0)
	v_and_b32_e32 v21, 0xff, v20
	s_delay_alu instid0(VALU_DEP_1)
	v_cmpx_ne_u16_e32 0, v21
	s_cbranch_execz .LBB277_595
; %bb.588:                              ;   in Loop: Header=BB277_11 Depth=1
	v_bfrev_b32_e32 v130, 1
	v_mov_b32_e32 v131, 0
	s_mov_b32 s19, exec_lo
	v_cmpx_ne_u16_e32 0x80, v21
	s_cbranch_execz .LBB277_594
; %bb.589:                              ;   in Loop: Header=BB277_11 Depth=1
	v_mov_b32_e32 v130, 0x7f800001
	v_dual_mov_b32 v131, 0 :: v_dual_and_b32 v24, 0x7f, v20
	s_mov_b32 s20, exec_lo
	s_delay_alu instid0(VALU_DEP_1)
	v_cmpx_ne_u32_e32 0x7f, v24
	s_cbranch_execz .LBB277_593
; %bb.590:                              ;   in Loop: Header=BB277_11 Depth=1
	v_and_b32_e32 v46, 7, v20
	v_lshrrev_b32_e32 v21, 3, v24
	s_mov_b32 s21, exec_lo
	v_cmpx_gt_u32_e32 8, v24
; %bb.591:                              ;   in Loop: Header=BB277_11 Depth=1
	s_delay_alu instid0(VALU_DEP_3) | instskip(NEXT) | instid1(VALU_DEP_1)
	v_clz_i32_u32_e32 v21, v46
	v_min_u32_e32 v21, 32, v21
	s_delay_alu instid0(VALU_DEP_1) | instskip(SKIP_1) | instid1(VALU_DEP_2)
	v_subrev_nc_u32_e32 v24, 28, v21
	v_sub_nc_u32_e32 v21, 29, v21
	v_lshlrev_b64 v[24:25], v24, v[46:47]
	s_delay_alu instid0(VALU_DEP_1)
	v_and_b32_e32 v46, 7, v24
; %bb.592:                              ;   in Loop: Header=BB277_11 Depth=1
	s_or_b32 exec_lo, exec_lo, s21
	v_lshlrev_b32_e32 v24, 24, v20
	s_delay_alu instid0(VALU_DEP_2) | instskip(SKIP_1) | instid1(VALU_DEP_3)
	v_lshlrev_b32_e32 v25, 20, v46
	v_lshl_add_u32 v21, v21, 23, 0x3c000000
	v_and_b32_e32 v24, 0x80000000, v24
	s_delay_alu instid0(VALU_DEP_1) | instskip(NEXT) | instid1(VALU_DEP_1)
	v_or3_b32 v46, v25, v24, v21
	v_dual_mov_b32 v131, v47 :: v_dual_mov_b32 v130, v46
.LBB277_593:                            ;   in Loop: Header=BB277_11 Depth=1
	s_or_b32 exec_lo, exec_lo, s20
.LBB277_594:                            ;   in Loop: Header=BB277_11 Depth=1
	s_delay_alu instid0(SALU_CYCLE_1)
	s_or_b32 exec_lo, exec_lo, s19
.LBB277_595:                            ;   in Loop: Header=BB277_11 Depth=1
	s_delay_alu instid0(SALU_CYCLE_1) | instskip(SKIP_2) | instid1(VALU_DEP_1)
	s_or_b32 exec_lo, exec_lo, s8
	v_lshrrev_b16 v21, 8, v20
	s_mov_b32 s19, exec_lo
	v_cmpx_ne_u16_e32 0, v21
	s_cbranch_execz .LBB277_603
; %bb.596:                              ;   in Loop: Header=BB277_11 Depth=1
	v_dual_mov_b32 v129, s3 :: v_dual_mov_b32 v128, s2
	s_mov_b32 s20, exec_lo
	v_cmpx_ne_u16_e32 0x80, v21
	s_cbranch_execz .LBB277_602
; %bb.597:                              ;   in Loop: Header=BB277_11 Depth=1
	s_mov_b32 s8, s2
	v_and_b32_e32 v21, 0xffff, v21
	v_dual_mov_b32 v129, s9 :: v_dual_mov_b32 v128, s8
	s_mov_b32 s8, exec_lo
	s_delay_alu instid0(VALU_DEP_2) | instskip(NEXT) | instid1(VALU_DEP_1)
	v_and_b32_e32 v24, 0x7f, v21
	v_cmpx_ne_u32_e32 0x7f, v24
	s_cbranch_execz .LBB277_601
; %bb.598:                              ;   in Loop: Header=BB277_11 Depth=1
	v_and_b32_e32 v46, 7, v21
	v_lshrrev_b32_e32 v21, 3, v24
	s_mov_b32 s21, exec_lo
	v_cmpx_gt_u32_e32 8, v24
; %bb.599:                              ;   in Loop: Header=BB277_11 Depth=1
	s_delay_alu instid0(VALU_DEP_3) | instskip(NEXT) | instid1(VALU_DEP_1)
	v_clz_i32_u32_e32 v21, v46
	v_min_u32_e32 v21, 32, v21
	s_delay_alu instid0(VALU_DEP_1) | instskip(SKIP_1) | instid1(VALU_DEP_2)
	v_subrev_nc_u32_e32 v24, 28, v21
	v_sub_nc_u32_e32 v21, 29, v21
	v_lshlrev_b64 v[24:25], v24, v[46:47]
	s_delay_alu instid0(VALU_DEP_1)
	v_and_b32_e32 v46, 7, v24
; %bb.600:                              ;   in Loop: Header=BB277_11 Depth=1
	s_or_b32 exec_lo, exec_lo, s21
	v_lshlrev_b32_e32 v24, 16, v20
	s_delay_alu instid0(VALU_DEP_2) | instskip(SKIP_1) | instid1(VALU_DEP_3)
	v_dual_mov_b32 v128, v47 :: v_dual_lshlrev_b32 v25, 20, v46
	v_lshl_add_u32 v21, v21, 23, 0x3c000000
	v_and_b32_e32 v24, 0x80000000, v24
	s_delay_alu instid0(VALU_DEP_1)
	v_or3_b32 v129, v25, v24, v21
.LBB277_601:                            ;   in Loop: Header=BB277_11 Depth=1
	s_or_b32 exec_lo, exec_lo, s8
.LBB277_602:                            ;   in Loop: Header=BB277_11 Depth=1
	s_delay_alu instid0(SALU_CYCLE_1)
	s_or_b32 exec_lo, exec_lo, s20
.LBB277_603:                            ;   in Loop: Header=BB277_11 Depth=1
	s_delay_alu instid0(SALU_CYCLE_1) | instskip(SKIP_4) | instid1(VALU_DEP_1)
	s_or_b32 exec_lo, exec_lo, s19
	v_mov_b32_e32 v132, 0
	v_lshrrev_b32_e32 v21, 16, v20
	v_mov_b32_e32 v133, 0
	s_mov_b32 s8, exec_lo
	v_dual_mov_b32 v135, v133 :: v_dual_and_b32 v24, 0xff, v21
	v_mov_b32_e32 v134, v132
	s_delay_alu instid0(VALU_DEP_2)
	v_cmpx_ne_u16_e32 0, v24
	s_cbranch_execz .LBB277_611
; %bb.604:                              ;   in Loop: Header=BB277_11 Depth=1
	v_bfrev_b32_e32 v134, 1
	v_mov_b32_e32 v135, 0
	s_mov_b32 s19, exec_lo
	v_cmpx_ne_u16_e32 0x80, v24
	s_cbranch_execz .LBB277_610
; %bb.605:                              ;   in Loop: Header=BB277_11 Depth=1
	v_mov_b32_e32 v134, 0x7f800001
	v_bfe_u32 v25, v20, 16, 7
	v_mov_b32_e32 v135, 0
	s_mov_b32 s20, exec_lo
	s_delay_alu instid0(VALU_DEP_2)
	v_cmpx_ne_u32_e32 0x7f, v25
	s_cbranch_execz .LBB277_609
; %bb.606:                              ;   in Loop: Header=BB277_11 Depth=1
	v_and_b32_e32 v46, 7, v21
	v_lshrrev_b32_e32 v24, 3, v25
	s_mov_b32 s21, exec_lo
	v_cmpx_gt_u32_e32 8, v25
; %bb.607:                              ;   in Loop: Header=BB277_11 Depth=1
	s_delay_alu instid0(VALU_DEP_3) | instskip(NEXT) | instid1(VALU_DEP_1)
	v_clz_i32_u32_e32 v24, v46
	v_min_u32_e32 v24, 32, v24
	s_delay_alu instid0(VALU_DEP_1) | instskip(SKIP_1) | instid1(VALU_DEP_2)
	v_subrev_nc_u32_e32 v25, 28, v24
	v_sub_nc_u32_e32 v24, 29, v24
	v_lshlrev_b64 v[134:135], v25, v[46:47]
	s_delay_alu instid0(VALU_DEP_1)
	v_and_b32_e32 v46, 7, v134
; %bb.608:                              ;   in Loop: Header=BB277_11 Depth=1
	s_or_b32 exec_lo, exec_lo, s21
	v_lshlrev_b32_e32 v21, 24, v21
	s_delay_alu instid0(VALU_DEP_2) | instskip(SKIP_1) | instid1(VALU_DEP_3)
	v_lshlrev_b32_e32 v25, 20, v46
	v_lshl_add_u32 v24, v24, 23, 0x3c000000
	v_and_b32_e32 v21, 0x80000000, v21
	s_delay_alu instid0(VALU_DEP_1) | instskip(NEXT) | instid1(VALU_DEP_1)
	v_or3_b32 v46, v25, v21, v24
	v_dual_mov_b32 v135, v47 :: v_dual_mov_b32 v134, v46
.LBB277_609:                            ;   in Loop: Header=BB277_11 Depth=1
	s_or_b32 exec_lo, exec_lo, s20
.LBB277_610:                            ;   in Loop: Header=BB277_11 Depth=1
	s_delay_alu instid0(SALU_CYCLE_1)
	s_or_b32 exec_lo, exec_lo, s19
.LBB277_611:                            ;   in Loop: Header=BB277_11 Depth=1
	s_delay_alu instid0(SALU_CYCLE_1) | instskip(NEXT) | instid1(SALU_CYCLE_1)
	s_or_b32 exec_lo, exec_lo, s8
	s_mov_b32 s19, exec_lo
	v_cmpx_lt_u32_e32 0xffffff, v20
	s_cbranch_execz .LBB277_619
; %bb.612:                              ;   in Loop: Header=BB277_11 Depth=1
	v_lshrrev_b32_e32 v21, 24, v20
	v_dual_mov_b32 v133, s3 :: v_dual_mov_b32 v132, s2
	s_mov_b32 s20, exec_lo
	s_delay_alu instid0(VALU_DEP_2)
	v_cmpx_ne_u32_e32 0x80, v21
	s_cbranch_execz .LBB277_618
; %bb.613:                              ;   in Loop: Header=BB277_11 Depth=1
	s_mov_b32 s8, s2
	v_bfe_u32 v24, v20, 24, 7
	v_dual_mov_b32 v133, s9 :: v_dual_mov_b32 v132, s8
	s_mov_b32 s8, exec_lo
	s_delay_alu instid0(VALU_DEP_2)
	v_cmpx_ne_u32_e32 0x7f, v24
	s_cbranch_execz .LBB277_617
; %bb.614:                              ;   in Loop: Header=BB277_11 Depth=1
	v_and_b32_e32 v46, 7, v21
	v_lshrrev_b32_e32 v20, 3, v24
	s_mov_b32 s21, exec_lo
	v_cmpx_gt_u32_e32 8, v24
; %bb.615:                              ;   in Loop: Header=BB277_11 Depth=1
	s_delay_alu instid0(VALU_DEP_3) | instskip(NEXT) | instid1(VALU_DEP_1)
	v_clz_i32_u32_e32 v20, v46
	v_min_u32_e32 v20, 32, v20
	s_delay_alu instid0(VALU_DEP_1) | instskip(SKIP_1) | instid1(VALU_DEP_2)
	v_subrev_nc_u32_e32 v24, 28, v20
	v_sub_nc_u32_e32 v20, 29, v20
	v_lshlrev_b64 v[24:25], v24, v[46:47]
	s_delay_alu instid0(VALU_DEP_1)
	v_and_b32_e32 v46, 7, v24
; %bb.616:                              ;   in Loop: Header=BB277_11 Depth=1
	s_or_b32 exec_lo, exec_lo, s21
	v_dual_mov_b32 v132, v47 :: v_dual_lshlrev_b32 v21, 24, v21
	s_delay_alu instid0(VALU_DEP_2) | instskip(SKIP_1) | instid1(VALU_DEP_3)
	v_lshlrev_b32_e32 v24, 20, v46
	v_lshl_add_u32 v20, v20, 23, 0x3c000000
	v_and_b32_e32 v21, 0x80000000, v21
	s_delay_alu instid0(VALU_DEP_1)
	v_or3_b32 v133, v24, v21, v20
.LBB277_617:                            ;   in Loop: Header=BB277_11 Depth=1
	s_or_b32 exec_lo, exec_lo, s8
.LBB277_618:                            ;   in Loop: Header=BB277_11 Depth=1
	s_delay_alu instid0(SALU_CYCLE_1)
	s_or_b32 exec_lo, exec_lo, s20
.LBB277_619:                            ;   in Loop: Header=BB277_11 Depth=1
	s_delay_alu instid0(SALU_CYCLE_1) | instskip(SKIP_4) | instid1(VALU_DEP_1)
	s_or_b32 exec_lo, exec_lo, s19
	flat_load_b32 v20, v[104:105] offset:2060
	v_mov_b32_e32 v144, 0
	v_mov_b32_e32 v145, 0
	s_mov_b32 s8, exec_lo
	v_dual_mov_b32 v147, v145 :: v_dual_mov_b32 v146, v144
	s_waitcnt vmcnt(0) lgkmcnt(0)
	v_and_b32_e32 v21, 0xff, v20
	s_delay_alu instid0(VALU_DEP_1)
	v_cmpx_ne_u16_e32 0, v21
	s_cbranch_execz .LBB277_627
; %bb.620:                              ;   in Loop: Header=BB277_11 Depth=1
	v_bfrev_b32_e32 v146, 1
	v_mov_b32_e32 v147, 0
	s_mov_b32 s19, exec_lo
	v_cmpx_ne_u16_e32 0x80, v21
	s_cbranch_execz .LBB277_626
; %bb.621:                              ;   in Loop: Header=BB277_11 Depth=1
	v_mov_b32_e32 v146, 0x7f800001
	v_dual_mov_b32 v147, 0 :: v_dual_and_b32 v24, 0x7f, v20
	s_mov_b32 s20, exec_lo
	s_delay_alu instid0(VALU_DEP_1)
	v_cmpx_ne_u32_e32 0x7f, v24
	s_cbranch_execz .LBB277_625
; %bb.622:                              ;   in Loop: Header=BB277_11 Depth=1
	v_and_b32_e32 v46, 7, v20
	v_lshrrev_b32_e32 v21, 3, v24
	s_mov_b32 s21, exec_lo
	v_cmpx_gt_u32_e32 8, v24
; %bb.623:                              ;   in Loop: Header=BB277_11 Depth=1
	s_delay_alu instid0(VALU_DEP_3) | instskip(NEXT) | instid1(VALU_DEP_1)
	v_clz_i32_u32_e32 v21, v46
	v_min_u32_e32 v21, 32, v21
	s_delay_alu instid0(VALU_DEP_1) | instskip(SKIP_1) | instid1(VALU_DEP_2)
	v_subrev_nc_u32_e32 v24, 28, v21
	v_sub_nc_u32_e32 v21, 29, v21
	v_lshlrev_b64 v[24:25], v24, v[46:47]
	s_delay_alu instid0(VALU_DEP_1)
	v_and_b32_e32 v46, 7, v24
; %bb.624:                              ;   in Loop: Header=BB277_11 Depth=1
	s_or_b32 exec_lo, exec_lo, s21
	v_lshlrev_b32_e32 v24, 24, v20
	s_delay_alu instid0(VALU_DEP_2) | instskip(SKIP_1) | instid1(VALU_DEP_3)
	v_lshlrev_b32_e32 v25, 20, v46
	v_lshl_add_u32 v21, v21, 23, 0x3c000000
	v_and_b32_e32 v24, 0x80000000, v24
	s_delay_alu instid0(VALU_DEP_1) | instskip(NEXT) | instid1(VALU_DEP_1)
	v_or3_b32 v46, v25, v24, v21
	v_dual_mov_b32 v147, v47 :: v_dual_mov_b32 v146, v46
.LBB277_625:                            ;   in Loop: Header=BB277_11 Depth=1
	s_or_b32 exec_lo, exec_lo, s20
.LBB277_626:                            ;   in Loop: Header=BB277_11 Depth=1
	s_delay_alu instid0(SALU_CYCLE_1)
	s_or_b32 exec_lo, exec_lo, s19
.LBB277_627:                            ;   in Loop: Header=BB277_11 Depth=1
	s_delay_alu instid0(SALU_CYCLE_1) | instskip(SKIP_2) | instid1(VALU_DEP_1)
	s_or_b32 exec_lo, exec_lo, s8
	v_lshrrev_b16 v21, 8, v20
	s_mov_b32 s19, exec_lo
	v_cmpx_ne_u16_e32 0, v21
	s_cbranch_execz .LBB277_635
; %bb.628:                              ;   in Loop: Header=BB277_11 Depth=1
	v_dual_mov_b32 v145, s3 :: v_dual_mov_b32 v144, s2
	s_mov_b32 s20, exec_lo
	v_cmpx_ne_u16_e32 0x80, v21
	s_cbranch_execz .LBB277_634
; %bb.629:                              ;   in Loop: Header=BB277_11 Depth=1
	s_mov_b32 s8, s2
	v_and_b32_e32 v21, 0xffff, v21
	v_dual_mov_b32 v145, s9 :: v_dual_mov_b32 v144, s8
	s_mov_b32 s8, exec_lo
	s_delay_alu instid0(VALU_DEP_2) | instskip(NEXT) | instid1(VALU_DEP_1)
	v_and_b32_e32 v24, 0x7f, v21
	v_cmpx_ne_u32_e32 0x7f, v24
	s_cbranch_execz .LBB277_633
; %bb.630:                              ;   in Loop: Header=BB277_11 Depth=1
	v_and_b32_e32 v46, 7, v21
	v_lshrrev_b32_e32 v21, 3, v24
	s_mov_b32 s21, exec_lo
	v_cmpx_gt_u32_e32 8, v24
; %bb.631:                              ;   in Loop: Header=BB277_11 Depth=1
	s_delay_alu instid0(VALU_DEP_3) | instskip(NEXT) | instid1(VALU_DEP_1)
	v_clz_i32_u32_e32 v21, v46
	v_min_u32_e32 v21, 32, v21
	s_delay_alu instid0(VALU_DEP_1) | instskip(SKIP_1) | instid1(VALU_DEP_2)
	v_subrev_nc_u32_e32 v24, 28, v21
	v_sub_nc_u32_e32 v21, 29, v21
	v_lshlrev_b64 v[24:25], v24, v[46:47]
	s_delay_alu instid0(VALU_DEP_1)
	v_and_b32_e32 v46, 7, v24
; %bb.632:                              ;   in Loop: Header=BB277_11 Depth=1
	s_or_b32 exec_lo, exec_lo, s21
	v_lshlrev_b32_e32 v24, 16, v20
	s_delay_alu instid0(VALU_DEP_2) | instskip(SKIP_1) | instid1(VALU_DEP_3)
	v_dual_mov_b32 v144, v47 :: v_dual_lshlrev_b32 v25, 20, v46
	v_lshl_add_u32 v21, v21, 23, 0x3c000000
	v_and_b32_e32 v24, 0x80000000, v24
	s_delay_alu instid0(VALU_DEP_1)
	v_or3_b32 v145, v25, v24, v21
.LBB277_633:                            ;   in Loop: Header=BB277_11 Depth=1
	s_or_b32 exec_lo, exec_lo, s8
.LBB277_634:                            ;   in Loop: Header=BB277_11 Depth=1
	s_delay_alu instid0(SALU_CYCLE_1)
	s_or_b32 exec_lo, exec_lo, s20
.LBB277_635:                            ;   in Loop: Header=BB277_11 Depth=1
	s_delay_alu instid0(SALU_CYCLE_1) | instskip(SKIP_4) | instid1(VALU_DEP_1)
	s_or_b32 exec_lo, exec_lo, s19
	v_mov_b32_e32 v148, 0
	v_lshrrev_b32_e32 v21, 16, v20
	v_mov_b32_e32 v149, 0
	s_mov_b32 s8, exec_lo
	v_dual_mov_b32 v151, v149 :: v_dual_and_b32 v24, 0xff, v21
	v_mov_b32_e32 v150, v148
	s_delay_alu instid0(VALU_DEP_2)
	v_cmpx_ne_u16_e32 0, v24
	s_cbranch_execz .LBB277_643
; %bb.636:                              ;   in Loop: Header=BB277_11 Depth=1
	v_bfrev_b32_e32 v150, 1
	v_mov_b32_e32 v151, 0
	s_mov_b32 s19, exec_lo
	v_cmpx_ne_u16_e32 0x80, v24
	s_cbranch_execz .LBB277_642
; %bb.637:                              ;   in Loop: Header=BB277_11 Depth=1
	v_mov_b32_e32 v150, 0x7f800001
	v_bfe_u32 v25, v20, 16, 7
	v_mov_b32_e32 v151, 0
	s_mov_b32 s20, exec_lo
	s_delay_alu instid0(VALU_DEP_2)
	v_cmpx_ne_u32_e32 0x7f, v25
	s_cbranch_execz .LBB277_641
; %bb.638:                              ;   in Loop: Header=BB277_11 Depth=1
	v_and_b32_e32 v46, 7, v21
	v_lshrrev_b32_e32 v24, 3, v25
	s_mov_b32 s21, exec_lo
	v_cmpx_gt_u32_e32 8, v25
; %bb.639:                              ;   in Loop: Header=BB277_11 Depth=1
	s_delay_alu instid0(VALU_DEP_3) | instskip(NEXT) | instid1(VALU_DEP_1)
	v_clz_i32_u32_e32 v24, v46
	v_min_u32_e32 v24, 32, v24
	s_delay_alu instid0(VALU_DEP_1) | instskip(SKIP_1) | instid1(VALU_DEP_2)
	v_subrev_nc_u32_e32 v25, 28, v24
	v_sub_nc_u32_e32 v24, 29, v24
	v_lshlrev_b64 v[150:151], v25, v[46:47]
	s_delay_alu instid0(VALU_DEP_1)
	v_and_b32_e32 v46, 7, v150
; %bb.640:                              ;   in Loop: Header=BB277_11 Depth=1
	s_or_b32 exec_lo, exec_lo, s21
	v_lshlrev_b32_e32 v21, 24, v21
	s_delay_alu instid0(VALU_DEP_2) | instskip(SKIP_1) | instid1(VALU_DEP_3)
	v_lshlrev_b32_e32 v25, 20, v46
	v_lshl_add_u32 v24, v24, 23, 0x3c000000
	v_and_b32_e32 v21, 0x80000000, v21
	s_delay_alu instid0(VALU_DEP_1) | instskip(NEXT) | instid1(VALU_DEP_1)
	v_or3_b32 v46, v25, v21, v24
	v_dual_mov_b32 v151, v47 :: v_dual_mov_b32 v150, v46
.LBB277_641:                            ;   in Loop: Header=BB277_11 Depth=1
	s_or_b32 exec_lo, exec_lo, s20
.LBB277_642:                            ;   in Loop: Header=BB277_11 Depth=1
	s_delay_alu instid0(SALU_CYCLE_1)
	s_or_b32 exec_lo, exec_lo, s19
.LBB277_643:                            ;   in Loop: Header=BB277_11 Depth=1
	s_delay_alu instid0(SALU_CYCLE_1) | instskip(NEXT) | instid1(SALU_CYCLE_1)
	s_or_b32 exec_lo, exec_lo, s8
	s_mov_b32 s19, exec_lo
	v_cmpx_lt_u32_e32 0xffffff, v20
	s_cbranch_execz .LBB277_651
; %bb.644:                              ;   in Loop: Header=BB277_11 Depth=1
	v_lshrrev_b32_e32 v21, 24, v20
	v_dual_mov_b32 v149, s3 :: v_dual_mov_b32 v148, s2
	s_mov_b32 s20, exec_lo
	s_delay_alu instid0(VALU_DEP_2)
	v_cmpx_ne_u32_e32 0x80, v21
	s_cbranch_execz .LBB277_650
; %bb.645:                              ;   in Loop: Header=BB277_11 Depth=1
	s_mov_b32 s8, s2
	v_bfe_u32 v24, v20, 24, 7
	v_dual_mov_b32 v149, s9 :: v_dual_mov_b32 v148, s8
	s_mov_b32 s8, exec_lo
	s_delay_alu instid0(VALU_DEP_2)
	v_cmpx_ne_u32_e32 0x7f, v24
	s_cbranch_execz .LBB277_649
; %bb.646:                              ;   in Loop: Header=BB277_11 Depth=1
	v_and_b32_e32 v46, 7, v21
	v_lshrrev_b32_e32 v20, 3, v24
	s_mov_b32 s21, exec_lo
	v_cmpx_gt_u32_e32 8, v24
; %bb.647:                              ;   in Loop: Header=BB277_11 Depth=1
	s_delay_alu instid0(VALU_DEP_3) | instskip(NEXT) | instid1(VALU_DEP_1)
	v_clz_i32_u32_e32 v20, v46
	v_min_u32_e32 v20, 32, v20
	s_delay_alu instid0(VALU_DEP_1) | instskip(SKIP_1) | instid1(VALU_DEP_2)
	v_subrev_nc_u32_e32 v24, 28, v20
	v_sub_nc_u32_e32 v20, 29, v20
	v_lshlrev_b64 v[24:25], v24, v[46:47]
	s_delay_alu instid0(VALU_DEP_1)
	v_and_b32_e32 v46, 7, v24
; %bb.648:                              ;   in Loop: Header=BB277_11 Depth=1
	s_or_b32 exec_lo, exec_lo, s21
	v_dual_mov_b32 v148, v47 :: v_dual_lshlrev_b32 v21, 24, v21
	s_delay_alu instid0(VALU_DEP_2) | instskip(SKIP_1) | instid1(VALU_DEP_3)
	v_lshlrev_b32_e32 v24, 20, v46
	v_lshl_add_u32 v20, v20, 23, 0x3c000000
	v_and_b32_e32 v21, 0x80000000, v21
	s_delay_alu instid0(VALU_DEP_1)
	v_or3_b32 v149, v24, v21, v20
.LBB277_649:                            ;   in Loop: Header=BB277_11 Depth=1
	s_or_b32 exec_lo, exec_lo, s8
.LBB277_650:                            ;   in Loop: Header=BB277_11 Depth=1
	s_delay_alu instid0(SALU_CYCLE_1)
	s_or_b32 exec_lo, exec_lo, s20
.LBB277_651:                            ;   in Loop: Header=BB277_11 Depth=1
	s_delay_alu instid0(SALU_CYCLE_1) | instskip(SKIP_4) | instid1(VALU_DEP_1)
	s_or_b32 exec_lo, exec_lo, s19
	flat_load_b32 v20, v[104:105] offset:2560
	v_mov_b32_e32 v160, 0
	v_mov_b32_e32 v161, 0
	s_mov_b32 s8, exec_lo
	v_dual_mov_b32 v163, v161 :: v_dual_mov_b32 v162, v160
	s_waitcnt vmcnt(0) lgkmcnt(0)
	v_and_b32_e32 v21, 0xff, v20
	s_delay_alu instid0(VALU_DEP_1)
	v_cmpx_ne_u16_e32 0, v21
	s_cbranch_execz .LBB277_659
; %bb.652:                              ;   in Loop: Header=BB277_11 Depth=1
	v_bfrev_b32_e32 v162, 1
	v_mov_b32_e32 v163, 0
	s_mov_b32 s19, exec_lo
	v_cmpx_ne_u16_e32 0x80, v21
	s_cbranch_execz .LBB277_658
; %bb.653:                              ;   in Loop: Header=BB277_11 Depth=1
	v_mov_b32_e32 v162, 0x7f800001
	v_dual_mov_b32 v163, 0 :: v_dual_and_b32 v24, 0x7f, v20
	s_mov_b32 s20, exec_lo
	s_delay_alu instid0(VALU_DEP_1)
	v_cmpx_ne_u32_e32 0x7f, v24
	s_cbranch_execz .LBB277_657
; %bb.654:                              ;   in Loop: Header=BB277_11 Depth=1
	v_and_b32_e32 v46, 7, v20
	v_lshrrev_b32_e32 v21, 3, v24
	s_mov_b32 s21, exec_lo
	v_cmpx_gt_u32_e32 8, v24
; %bb.655:                              ;   in Loop: Header=BB277_11 Depth=1
	s_delay_alu instid0(VALU_DEP_3) | instskip(NEXT) | instid1(VALU_DEP_1)
	v_clz_i32_u32_e32 v21, v46
	v_min_u32_e32 v21, 32, v21
	s_delay_alu instid0(VALU_DEP_1) | instskip(SKIP_1) | instid1(VALU_DEP_2)
	v_subrev_nc_u32_e32 v24, 28, v21
	v_sub_nc_u32_e32 v21, 29, v21
	v_lshlrev_b64 v[24:25], v24, v[46:47]
	s_delay_alu instid0(VALU_DEP_1)
	v_and_b32_e32 v46, 7, v24
; %bb.656:                              ;   in Loop: Header=BB277_11 Depth=1
	s_or_b32 exec_lo, exec_lo, s21
	v_lshlrev_b32_e32 v24, 24, v20
	s_delay_alu instid0(VALU_DEP_2) | instskip(SKIP_1) | instid1(VALU_DEP_3)
	v_lshlrev_b32_e32 v25, 20, v46
	v_lshl_add_u32 v21, v21, 23, 0x3c000000
	v_and_b32_e32 v24, 0x80000000, v24
	s_delay_alu instid0(VALU_DEP_1) | instskip(NEXT) | instid1(VALU_DEP_1)
	v_or3_b32 v46, v25, v24, v21
	v_dual_mov_b32 v163, v47 :: v_dual_mov_b32 v162, v46
.LBB277_657:                            ;   in Loop: Header=BB277_11 Depth=1
	s_or_b32 exec_lo, exec_lo, s20
.LBB277_658:                            ;   in Loop: Header=BB277_11 Depth=1
	s_delay_alu instid0(SALU_CYCLE_1)
	s_or_b32 exec_lo, exec_lo, s19
.LBB277_659:                            ;   in Loop: Header=BB277_11 Depth=1
	s_delay_alu instid0(SALU_CYCLE_1) | instskip(SKIP_2) | instid1(VALU_DEP_1)
	s_or_b32 exec_lo, exec_lo, s8
	v_lshrrev_b16 v21, 8, v20
	s_mov_b32 s19, exec_lo
	v_cmpx_ne_u16_e32 0, v21
	s_cbranch_execz .LBB277_667
; %bb.660:                              ;   in Loop: Header=BB277_11 Depth=1
	v_dual_mov_b32 v161, s3 :: v_dual_mov_b32 v160, s2
	s_mov_b32 s20, exec_lo
	v_cmpx_ne_u16_e32 0x80, v21
	s_cbranch_execz .LBB277_666
; %bb.661:                              ;   in Loop: Header=BB277_11 Depth=1
	s_mov_b32 s8, s2
	v_and_b32_e32 v21, 0xffff, v21
	v_dual_mov_b32 v161, s9 :: v_dual_mov_b32 v160, s8
	s_mov_b32 s8, exec_lo
	s_delay_alu instid0(VALU_DEP_2) | instskip(NEXT) | instid1(VALU_DEP_1)
	v_and_b32_e32 v24, 0x7f, v21
	v_cmpx_ne_u32_e32 0x7f, v24
	s_cbranch_execz .LBB277_665
; %bb.662:                              ;   in Loop: Header=BB277_11 Depth=1
	v_and_b32_e32 v46, 7, v21
	v_lshrrev_b32_e32 v21, 3, v24
	s_mov_b32 s21, exec_lo
	v_cmpx_gt_u32_e32 8, v24
; %bb.663:                              ;   in Loop: Header=BB277_11 Depth=1
	s_delay_alu instid0(VALU_DEP_3) | instskip(NEXT) | instid1(VALU_DEP_1)
	v_clz_i32_u32_e32 v21, v46
	v_min_u32_e32 v21, 32, v21
	s_delay_alu instid0(VALU_DEP_1) | instskip(SKIP_1) | instid1(VALU_DEP_2)
	v_subrev_nc_u32_e32 v24, 28, v21
	v_sub_nc_u32_e32 v21, 29, v21
	v_lshlrev_b64 v[24:25], v24, v[46:47]
	s_delay_alu instid0(VALU_DEP_1)
	v_and_b32_e32 v46, 7, v24
; %bb.664:                              ;   in Loop: Header=BB277_11 Depth=1
	s_or_b32 exec_lo, exec_lo, s21
	v_lshlrev_b32_e32 v24, 16, v20
	s_delay_alu instid0(VALU_DEP_2) | instskip(SKIP_1) | instid1(VALU_DEP_3)
	v_dual_mov_b32 v160, v47 :: v_dual_lshlrev_b32 v25, 20, v46
	v_lshl_add_u32 v21, v21, 23, 0x3c000000
	v_and_b32_e32 v24, 0x80000000, v24
	s_delay_alu instid0(VALU_DEP_1)
	v_or3_b32 v161, v25, v24, v21
.LBB277_665:                            ;   in Loop: Header=BB277_11 Depth=1
	s_or_b32 exec_lo, exec_lo, s8
.LBB277_666:                            ;   in Loop: Header=BB277_11 Depth=1
	s_delay_alu instid0(SALU_CYCLE_1)
	s_or_b32 exec_lo, exec_lo, s20
.LBB277_667:                            ;   in Loop: Header=BB277_11 Depth=1
	s_delay_alu instid0(SALU_CYCLE_1) | instskip(SKIP_4) | instid1(VALU_DEP_1)
	s_or_b32 exec_lo, exec_lo, s19
	v_mov_b32_e32 v164, 0
	v_lshrrev_b32_e32 v21, 16, v20
	v_mov_b32_e32 v165, 0
	s_mov_b32 s8, exec_lo
	v_dual_mov_b32 v167, v165 :: v_dual_and_b32 v24, 0xff, v21
	v_mov_b32_e32 v166, v164
	s_delay_alu instid0(VALU_DEP_2)
	v_cmpx_ne_u16_e32 0, v24
	s_cbranch_execz .LBB277_675
; %bb.668:                              ;   in Loop: Header=BB277_11 Depth=1
	v_bfrev_b32_e32 v166, 1
	v_mov_b32_e32 v167, 0
	s_mov_b32 s19, exec_lo
	v_cmpx_ne_u16_e32 0x80, v24
	s_cbranch_execz .LBB277_674
; %bb.669:                              ;   in Loop: Header=BB277_11 Depth=1
	v_mov_b32_e32 v166, 0x7f800001
	v_bfe_u32 v25, v20, 16, 7
	v_mov_b32_e32 v167, 0
	s_mov_b32 s20, exec_lo
	s_delay_alu instid0(VALU_DEP_2)
	v_cmpx_ne_u32_e32 0x7f, v25
	s_cbranch_execz .LBB277_673
; %bb.670:                              ;   in Loop: Header=BB277_11 Depth=1
	v_and_b32_e32 v46, 7, v21
	v_lshrrev_b32_e32 v24, 3, v25
	s_mov_b32 s21, exec_lo
	v_cmpx_gt_u32_e32 8, v25
; %bb.671:                              ;   in Loop: Header=BB277_11 Depth=1
	s_delay_alu instid0(VALU_DEP_3) | instskip(NEXT) | instid1(VALU_DEP_1)
	v_clz_i32_u32_e32 v24, v46
	v_min_u32_e32 v24, 32, v24
	s_delay_alu instid0(VALU_DEP_1) | instskip(SKIP_1) | instid1(VALU_DEP_2)
	v_subrev_nc_u32_e32 v25, 28, v24
	v_sub_nc_u32_e32 v24, 29, v24
	v_lshlrev_b64 v[166:167], v25, v[46:47]
	s_delay_alu instid0(VALU_DEP_1)
	v_and_b32_e32 v46, 7, v166
; %bb.672:                              ;   in Loop: Header=BB277_11 Depth=1
	s_or_b32 exec_lo, exec_lo, s21
	v_lshlrev_b32_e32 v21, 24, v21
	s_delay_alu instid0(VALU_DEP_2) | instskip(SKIP_1) | instid1(VALU_DEP_3)
	v_lshlrev_b32_e32 v25, 20, v46
	v_lshl_add_u32 v24, v24, 23, 0x3c000000
	v_and_b32_e32 v21, 0x80000000, v21
	s_delay_alu instid0(VALU_DEP_1) | instskip(NEXT) | instid1(VALU_DEP_1)
	v_or3_b32 v46, v25, v21, v24
	v_dual_mov_b32 v167, v47 :: v_dual_mov_b32 v166, v46
.LBB277_673:                            ;   in Loop: Header=BB277_11 Depth=1
	s_or_b32 exec_lo, exec_lo, s20
.LBB277_674:                            ;   in Loop: Header=BB277_11 Depth=1
	s_delay_alu instid0(SALU_CYCLE_1)
	s_or_b32 exec_lo, exec_lo, s19
.LBB277_675:                            ;   in Loop: Header=BB277_11 Depth=1
	s_delay_alu instid0(SALU_CYCLE_1) | instskip(NEXT) | instid1(SALU_CYCLE_1)
	s_or_b32 exec_lo, exec_lo, s8
	s_mov_b32 s19, exec_lo
	v_cmpx_lt_u32_e32 0xffffff, v20
	s_cbranch_execz .LBB277_683
; %bb.676:                              ;   in Loop: Header=BB277_11 Depth=1
	v_lshrrev_b32_e32 v21, 24, v20
	v_dual_mov_b32 v165, s3 :: v_dual_mov_b32 v164, s2
	s_mov_b32 s20, exec_lo
	s_delay_alu instid0(VALU_DEP_2)
	v_cmpx_ne_u32_e32 0x80, v21
	s_cbranch_execz .LBB277_682
; %bb.677:                              ;   in Loop: Header=BB277_11 Depth=1
	s_mov_b32 s8, s2
	v_bfe_u32 v24, v20, 24, 7
	v_dual_mov_b32 v165, s9 :: v_dual_mov_b32 v164, s8
	s_mov_b32 s8, exec_lo
	s_delay_alu instid0(VALU_DEP_2)
	v_cmpx_ne_u32_e32 0x7f, v24
	s_cbranch_execz .LBB277_681
; %bb.678:                              ;   in Loop: Header=BB277_11 Depth=1
	v_and_b32_e32 v46, 7, v21
	v_lshrrev_b32_e32 v20, 3, v24
	s_mov_b32 s21, exec_lo
	v_cmpx_gt_u32_e32 8, v24
; %bb.679:                              ;   in Loop: Header=BB277_11 Depth=1
	s_delay_alu instid0(VALU_DEP_3) | instskip(NEXT) | instid1(VALU_DEP_1)
	v_clz_i32_u32_e32 v20, v46
	v_min_u32_e32 v20, 32, v20
	s_delay_alu instid0(VALU_DEP_1) | instskip(SKIP_1) | instid1(VALU_DEP_2)
	v_subrev_nc_u32_e32 v24, 28, v20
	v_sub_nc_u32_e32 v20, 29, v20
	v_lshlrev_b64 v[24:25], v24, v[46:47]
	s_delay_alu instid0(VALU_DEP_1)
	v_and_b32_e32 v46, 7, v24
; %bb.680:                              ;   in Loop: Header=BB277_11 Depth=1
	s_or_b32 exec_lo, exec_lo, s21
	v_dual_mov_b32 v164, v47 :: v_dual_lshlrev_b32 v21, 24, v21
	s_delay_alu instid0(VALU_DEP_2) | instskip(SKIP_1) | instid1(VALU_DEP_3)
	v_lshlrev_b32_e32 v24, 20, v46
	v_lshl_add_u32 v20, v20, 23, 0x3c000000
	v_and_b32_e32 v21, 0x80000000, v21
	s_delay_alu instid0(VALU_DEP_1)
	v_or3_b32 v165, v24, v21, v20
.LBB277_681:                            ;   in Loop: Header=BB277_11 Depth=1
	s_or_b32 exec_lo, exec_lo, s8
.LBB277_682:                            ;   in Loop: Header=BB277_11 Depth=1
	s_delay_alu instid0(SALU_CYCLE_1)
	s_or_b32 exec_lo, exec_lo, s20
.LBB277_683:                            ;   in Loop: Header=BB277_11 Depth=1
	s_delay_alu instid0(SALU_CYCLE_1) | instskip(SKIP_4) | instid1(VALU_DEP_1)
	s_or_b32 exec_lo, exec_lo, s19
	flat_load_b32 v20, v[104:105] offset:2564
	v_mov_b32_e32 v176, 0
	v_mov_b32_e32 v177, 0
	s_mov_b32 s8, exec_lo
	v_dual_mov_b32 v179, v177 :: v_dual_mov_b32 v178, v176
	s_waitcnt vmcnt(0) lgkmcnt(0)
	v_and_b32_e32 v21, 0xff, v20
	s_delay_alu instid0(VALU_DEP_1)
	v_cmpx_ne_u16_e32 0, v21
	s_cbranch_execz .LBB277_691
; %bb.684:                              ;   in Loop: Header=BB277_11 Depth=1
	v_bfrev_b32_e32 v178, 1
	v_mov_b32_e32 v179, 0
	s_mov_b32 s19, exec_lo
	v_cmpx_ne_u16_e32 0x80, v21
	s_cbranch_execz .LBB277_690
; %bb.685:                              ;   in Loop: Header=BB277_11 Depth=1
	v_mov_b32_e32 v178, 0x7f800001
	v_dual_mov_b32 v179, 0 :: v_dual_and_b32 v24, 0x7f, v20
	s_mov_b32 s20, exec_lo
	s_delay_alu instid0(VALU_DEP_1)
	v_cmpx_ne_u32_e32 0x7f, v24
	s_cbranch_execz .LBB277_689
; %bb.686:                              ;   in Loop: Header=BB277_11 Depth=1
	v_and_b32_e32 v46, 7, v20
	v_lshrrev_b32_e32 v21, 3, v24
	s_mov_b32 s21, exec_lo
	v_cmpx_gt_u32_e32 8, v24
; %bb.687:                              ;   in Loop: Header=BB277_11 Depth=1
	s_delay_alu instid0(VALU_DEP_3) | instskip(NEXT) | instid1(VALU_DEP_1)
	v_clz_i32_u32_e32 v21, v46
	v_min_u32_e32 v21, 32, v21
	s_delay_alu instid0(VALU_DEP_1) | instskip(SKIP_1) | instid1(VALU_DEP_2)
	v_subrev_nc_u32_e32 v24, 28, v21
	v_sub_nc_u32_e32 v21, 29, v21
	v_lshlrev_b64 v[24:25], v24, v[46:47]
	s_delay_alu instid0(VALU_DEP_1)
	v_and_b32_e32 v46, 7, v24
; %bb.688:                              ;   in Loop: Header=BB277_11 Depth=1
	s_or_b32 exec_lo, exec_lo, s21
	v_lshlrev_b32_e32 v24, 24, v20
	s_delay_alu instid0(VALU_DEP_2) | instskip(SKIP_1) | instid1(VALU_DEP_3)
	v_lshlrev_b32_e32 v25, 20, v46
	v_lshl_add_u32 v21, v21, 23, 0x3c000000
	v_and_b32_e32 v24, 0x80000000, v24
	s_delay_alu instid0(VALU_DEP_1) | instskip(NEXT) | instid1(VALU_DEP_1)
	v_or3_b32 v46, v25, v24, v21
	v_dual_mov_b32 v179, v47 :: v_dual_mov_b32 v178, v46
.LBB277_689:                            ;   in Loop: Header=BB277_11 Depth=1
	s_or_b32 exec_lo, exec_lo, s20
.LBB277_690:                            ;   in Loop: Header=BB277_11 Depth=1
	s_delay_alu instid0(SALU_CYCLE_1)
	s_or_b32 exec_lo, exec_lo, s19
.LBB277_691:                            ;   in Loop: Header=BB277_11 Depth=1
	s_delay_alu instid0(SALU_CYCLE_1) | instskip(SKIP_2) | instid1(VALU_DEP_1)
	s_or_b32 exec_lo, exec_lo, s8
	v_lshrrev_b16 v21, 8, v20
	s_mov_b32 s19, exec_lo
	v_cmpx_ne_u16_e32 0, v21
	s_cbranch_execz .LBB277_699
; %bb.692:                              ;   in Loop: Header=BB277_11 Depth=1
	v_dual_mov_b32 v177, s3 :: v_dual_mov_b32 v176, s2
	s_mov_b32 s20, exec_lo
	v_cmpx_ne_u16_e32 0x80, v21
	s_cbranch_execz .LBB277_698
; %bb.693:                              ;   in Loop: Header=BB277_11 Depth=1
	s_mov_b32 s8, s2
	v_and_b32_e32 v21, 0xffff, v21
	v_dual_mov_b32 v177, s9 :: v_dual_mov_b32 v176, s8
	s_mov_b32 s8, exec_lo
	s_delay_alu instid0(VALU_DEP_2) | instskip(NEXT) | instid1(VALU_DEP_1)
	v_and_b32_e32 v24, 0x7f, v21
	v_cmpx_ne_u32_e32 0x7f, v24
	s_cbranch_execz .LBB277_697
; %bb.694:                              ;   in Loop: Header=BB277_11 Depth=1
	v_and_b32_e32 v46, 7, v21
	v_lshrrev_b32_e32 v21, 3, v24
	s_mov_b32 s21, exec_lo
	v_cmpx_gt_u32_e32 8, v24
; %bb.695:                              ;   in Loop: Header=BB277_11 Depth=1
	s_delay_alu instid0(VALU_DEP_3) | instskip(NEXT) | instid1(VALU_DEP_1)
	v_clz_i32_u32_e32 v21, v46
	v_min_u32_e32 v21, 32, v21
	s_delay_alu instid0(VALU_DEP_1) | instskip(SKIP_1) | instid1(VALU_DEP_2)
	v_subrev_nc_u32_e32 v24, 28, v21
	v_sub_nc_u32_e32 v21, 29, v21
	v_lshlrev_b64 v[24:25], v24, v[46:47]
	s_delay_alu instid0(VALU_DEP_1)
	v_and_b32_e32 v46, 7, v24
; %bb.696:                              ;   in Loop: Header=BB277_11 Depth=1
	s_or_b32 exec_lo, exec_lo, s21
	v_lshlrev_b32_e32 v24, 16, v20
	s_delay_alu instid0(VALU_DEP_2) | instskip(SKIP_1) | instid1(VALU_DEP_3)
	v_dual_mov_b32 v176, v47 :: v_dual_lshlrev_b32 v25, 20, v46
	v_lshl_add_u32 v21, v21, 23, 0x3c000000
	v_and_b32_e32 v24, 0x80000000, v24
	s_delay_alu instid0(VALU_DEP_1)
	v_or3_b32 v177, v25, v24, v21
.LBB277_697:                            ;   in Loop: Header=BB277_11 Depth=1
	s_or_b32 exec_lo, exec_lo, s8
.LBB277_698:                            ;   in Loop: Header=BB277_11 Depth=1
	s_delay_alu instid0(SALU_CYCLE_1)
	s_or_b32 exec_lo, exec_lo, s20
.LBB277_699:                            ;   in Loop: Header=BB277_11 Depth=1
	s_delay_alu instid0(SALU_CYCLE_1) | instskip(SKIP_4) | instid1(VALU_DEP_1)
	s_or_b32 exec_lo, exec_lo, s19
	v_mov_b32_e32 v180, 0
	v_lshrrev_b32_e32 v21, 16, v20
	v_mov_b32_e32 v181, 0
	s_mov_b32 s8, exec_lo
	v_dual_mov_b32 v183, v181 :: v_dual_and_b32 v24, 0xff, v21
	v_mov_b32_e32 v182, v180
	s_delay_alu instid0(VALU_DEP_2)
	v_cmpx_ne_u16_e32 0, v24
	s_cbranch_execz .LBB277_707
; %bb.700:                              ;   in Loop: Header=BB277_11 Depth=1
	v_bfrev_b32_e32 v182, 1
	v_mov_b32_e32 v183, 0
	s_mov_b32 s19, exec_lo
	v_cmpx_ne_u16_e32 0x80, v24
	s_cbranch_execz .LBB277_706
; %bb.701:                              ;   in Loop: Header=BB277_11 Depth=1
	v_mov_b32_e32 v182, 0x7f800001
	v_bfe_u32 v25, v20, 16, 7
	v_mov_b32_e32 v183, 0
	s_mov_b32 s20, exec_lo
	s_delay_alu instid0(VALU_DEP_2)
	v_cmpx_ne_u32_e32 0x7f, v25
	s_cbranch_execz .LBB277_705
; %bb.702:                              ;   in Loop: Header=BB277_11 Depth=1
	v_and_b32_e32 v46, 7, v21
	v_lshrrev_b32_e32 v24, 3, v25
	s_mov_b32 s21, exec_lo
	v_cmpx_gt_u32_e32 8, v25
; %bb.703:                              ;   in Loop: Header=BB277_11 Depth=1
	s_delay_alu instid0(VALU_DEP_3) | instskip(NEXT) | instid1(VALU_DEP_1)
	v_clz_i32_u32_e32 v24, v46
	v_min_u32_e32 v24, 32, v24
	s_delay_alu instid0(VALU_DEP_1) | instskip(SKIP_1) | instid1(VALU_DEP_2)
	v_subrev_nc_u32_e32 v25, 28, v24
	v_sub_nc_u32_e32 v24, 29, v24
	v_lshlrev_b64 v[182:183], v25, v[46:47]
	s_delay_alu instid0(VALU_DEP_1)
	v_and_b32_e32 v46, 7, v182
; %bb.704:                              ;   in Loop: Header=BB277_11 Depth=1
	s_or_b32 exec_lo, exec_lo, s21
	v_lshlrev_b32_e32 v21, 24, v21
	s_delay_alu instid0(VALU_DEP_2) | instskip(SKIP_1) | instid1(VALU_DEP_3)
	v_lshlrev_b32_e32 v25, 20, v46
	v_lshl_add_u32 v24, v24, 23, 0x3c000000
	v_and_b32_e32 v21, 0x80000000, v21
	s_delay_alu instid0(VALU_DEP_1) | instskip(NEXT) | instid1(VALU_DEP_1)
	v_or3_b32 v46, v25, v21, v24
	v_dual_mov_b32 v183, v47 :: v_dual_mov_b32 v182, v46
.LBB277_705:                            ;   in Loop: Header=BB277_11 Depth=1
	s_or_b32 exec_lo, exec_lo, s20
.LBB277_706:                            ;   in Loop: Header=BB277_11 Depth=1
	s_delay_alu instid0(SALU_CYCLE_1)
	s_or_b32 exec_lo, exec_lo, s19
.LBB277_707:                            ;   in Loop: Header=BB277_11 Depth=1
	s_delay_alu instid0(SALU_CYCLE_1) | instskip(NEXT) | instid1(SALU_CYCLE_1)
	s_or_b32 exec_lo, exec_lo, s8
	s_mov_b32 s19, exec_lo
	v_cmpx_lt_u32_e32 0xffffff, v20
	s_cbranch_execz .LBB277_715
; %bb.708:                              ;   in Loop: Header=BB277_11 Depth=1
	v_lshrrev_b32_e32 v21, 24, v20
	v_dual_mov_b32 v181, s3 :: v_dual_mov_b32 v180, s2
	s_mov_b32 s20, exec_lo
	s_delay_alu instid0(VALU_DEP_2)
	v_cmpx_ne_u32_e32 0x80, v21
	s_cbranch_execz .LBB277_714
; %bb.709:                              ;   in Loop: Header=BB277_11 Depth=1
	s_mov_b32 s8, s2
	v_bfe_u32 v24, v20, 24, 7
	v_dual_mov_b32 v181, s9 :: v_dual_mov_b32 v180, s8
	s_mov_b32 s8, exec_lo
	s_delay_alu instid0(VALU_DEP_2)
	v_cmpx_ne_u32_e32 0x7f, v24
	s_cbranch_execz .LBB277_713
; %bb.710:                              ;   in Loop: Header=BB277_11 Depth=1
	v_and_b32_e32 v46, 7, v21
	v_lshrrev_b32_e32 v20, 3, v24
	s_mov_b32 s21, exec_lo
	v_cmpx_gt_u32_e32 8, v24
; %bb.711:                              ;   in Loop: Header=BB277_11 Depth=1
	s_delay_alu instid0(VALU_DEP_3) | instskip(NEXT) | instid1(VALU_DEP_1)
	v_clz_i32_u32_e32 v20, v46
	v_min_u32_e32 v20, 32, v20
	s_delay_alu instid0(VALU_DEP_1) | instskip(SKIP_1) | instid1(VALU_DEP_2)
	v_subrev_nc_u32_e32 v24, 28, v20
	v_sub_nc_u32_e32 v20, 29, v20
	v_lshlrev_b64 v[24:25], v24, v[46:47]
	s_delay_alu instid0(VALU_DEP_1)
	v_and_b32_e32 v46, 7, v24
; %bb.712:                              ;   in Loop: Header=BB277_11 Depth=1
	s_or_b32 exec_lo, exec_lo, s21
	v_dual_mov_b32 v180, v47 :: v_dual_lshlrev_b32 v21, 24, v21
	s_delay_alu instid0(VALU_DEP_2) | instskip(SKIP_1) | instid1(VALU_DEP_3)
	v_lshlrev_b32_e32 v24, 20, v46
	v_lshl_add_u32 v20, v20, 23, 0x3c000000
	v_and_b32_e32 v21, 0x80000000, v21
	s_delay_alu instid0(VALU_DEP_1)
	v_or3_b32 v181, v24, v21, v20
.LBB277_713:                            ;   in Loop: Header=BB277_11 Depth=1
	s_or_b32 exec_lo, exec_lo, s8
.LBB277_714:                            ;   in Loop: Header=BB277_11 Depth=1
	s_delay_alu instid0(SALU_CYCLE_1)
	s_or_b32 exec_lo, exec_lo, s20
.LBB277_715:                            ;   in Loop: Header=BB277_11 Depth=1
	s_delay_alu instid0(SALU_CYCLE_1) | instskip(SKIP_3) | instid1(VALU_DEP_2)
	s_or_b32 exec_lo, exec_lo, s19
	flat_load_b32 v24, v[104:105] offset:2568
	v_mov_b32_e32 v42, 0
	v_mov_b32_e32 v43, 0
	;; [unrolled: 1-line block ×3, first 2 shown]
	s_mov_b32 s8, exec_lo
	s_delay_alu instid0(VALU_DEP_2) | instskip(SKIP_2) | instid1(VALU_DEP_1)
	v_mov_b32_e32 v21, v43
	s_waitcnt vmcnt(0) lgkmcnt(0)
	v_and_b32_e32 v25, 0xff, v24
	v_cmpx_ne_u16_e32 0, v25
	s_cbranch_execz .LBB277_723
; %bb.716:                              ;   in Loop: Header=BB277_11 Depth=1
	v_bfrev_b32_e32 v20, 1
	v_mov_b32_e32 v21, 0
	s_mov_b32 s19, exec_lo
	v_cmpx_ne_u16_e32 0x80, v25
	s_cbranch_execz .LBB277_722
; %bb.717:                              ;   in Loop: Header=BB277_11 Depth=1
	v_mov_b32_e32 v20, 0x7f800001
	v_and_b32_e32 v25, 0x7f, v24
	v_mov_b32_e32 v21, 0
	s_mov_b32 s20, exec_lo
	s_delay_alu instid0(VALU_DEP_2)
	v_cmpx_ne_u32_e32 0x7f, v25
	s_cbranch_execz .LBB277_721
; %bb.718:                              ;   in Loop: Header=BB277_11 Depth=1
	v_and_b32_e32 v46, 7, v24
	v_lshrrev_b32_e32 v20, 3, v25
	s_mov_b32 s21, exec_lo
	v_cmpx_gt_u32_e32 8, v25
; %bb.719:                              ;   in Loop: Header=BB277_11 Depth=1
	s_delay_alu instid0(VALU_DEP_3) | instskip(NEXT) | instid1(VALU_DEP_1)
	v_clz_i32_u32_e32 v20, v46
	v_min_u32_e32 v20, 32, v20
	s_delay_alu instid0(VALU_DEP_1) | instskip(SKIP_1) | instid1(VALU_DEP_2)
	v_subrev_nc_u32_e32 v21, 28, v20
	v_sub_nc_u32_e32 v20, 29, v20
	v_lshlrev_b64 v[40:41], v21, v[46:47]
	s_delay_alu instid0(VALU_DEP_1)
	v_and_b32_e32 v46, 7, v40
; %bb.720:                              ;   in Loop: Header=BB277_11 Depth=1
	s_or_b32 exec_lo, exec_lo, s21
	v_lshlrev_b32_e32 v21, 24, v24
	s_delay_alu instid0(VALU_DEP_2) | instskip(SKIP_1) | instid1(VALU_DEP_3)
	v_lshlrev_b32_e32 v25, 20, v46
	v_lshl_add_u32 v20, v20, 23, 0x3c000000
	v_and_b32_e32 v21, 0x80000000, v21
	s_delay_alu instid0(VALU_DEP_1) | instskip(NEXT) | instid1(VALU_DEP_1)
	v_or3_b32 v46, v25, v21, v20
	v_dual_mov_b32 v20, v46 :: v_dual_mov_b32 v21, v47
.LBB277_721:                            ;   in Loop: Header=BB277_11 Depth=1
	s_or_b32 exec_lo, exec_lo, s20
.LBB277_722:                            ;   in Loop: Header=BB277_11 Depth=1
	s_delay_alu instid0(SALU_CYCLE_1)
	s_or_b32 exec_lo, exec_lo, s19
.LBB277_723:                            ;   in Loop: Header=BB277_11 Depth=1
	s_delay_alu instid0(SALU_CYCLE_1) | instskip(SKIP_2) | instid1(VALU_DEP_1)
	s_or_b32 exec_lo, exec_lo, s8
	v_lshrrev_b16 v25, 8, v24
	s_mov_b32 s19, exec_lo
	v_cmpx_ne_u16_e32 0, v25
	s_cbranch_execz .LBB277_731
; %bb.724:                              ;   in Loop: Header=BB277_11 Depth=1
	v_dual_mov_b32 v43, s3 :: v_dual_mov_b32 v42, s2
	s_mov_b32 s20, exec_lo
	v_cmpx_ne_u16_e32 0x80, v25
	s_cbranch_execz .LBB277_730
; %bb.725:                              ;   in Loop: Header=BB277_11 Depth=1
	s_mov_b32 s8, s2
	v_and_b32_e32 v25, 0xffff, v25
	v_dual_mov_b32 v43, s9 :: v_dual_mov_b32 v42, s8
	s_mov_b32 s8, exec_lo
	s_delay_alu instid0(VALU_DEP_2) | instskip(NEXT) | instid1(VALU_DEP_1)
	v_and_b32_e32 v40, 0x7f, v25
	v_cmpx_ne_u32_e32 0x7f, v40
	s_cbranch_execz .LBB277_729
; %bb.726:                              ;   in Loop: Header=BB277_11 Depth=1
	v_and_b32_e32 v46, 7, v25
	v_lshrrev_b32_e32 v25, 3, v40
	s_mov_b32 s21, exec_lo
	v_cmpx_gt_u32_e32 8, v40
; %bb.727:                              ;   in Loop: Header=BB277_11 Depth=1
	s_delay_alu instid0(VALU_DEP_3) | instskip(NEXT) | instid1(VALU_DEP_1)
	v_clz_i32_u32_e32 v25, v46
	v_min_u32_e32 v25, 32, v25
	s_delay_alu instid0(VALU_DEP_1) | instskip(SKIP_1) | instid1(VALU_DEP_2)
	v_subrev_nc_u32_e32 v40, 28, v25
	v_sub_nc_u32_e32 v25, 29, v25
	v_lshlrev_b64 v[40:41], v40, v[46:47]
	s_delay_alu instid0(VALU_DEP_1)
	v_and_b32_e32 v46, 7, v40
; %bb.728:                              ;   in Loop: Header=BB277_11 Depth=1
	s_or_b32 exec_lo, exec_lo, s21
	v_lshlrev_b32_e32 v40, 16, v24
	s_delay_alu instid0(VALU_DEP_2) | instskip(SKIP_1) | instid1(VALU_DEP_3)
	v_dual_mov_b32 v42, v47 :: v_dual_lshlrev_b32 v41, 20, v46
	v_lshl_add_u32 v25, v25, 23, 0x3c000000
	v_and_b32_e32 v40, 0x80000000, v40
	s_delay_alu instid0(VALU_DEP_1)
	v_or3_b32 v43, v41, v40, v25
.LBB277_729:                            ;   in Loop: Header=BB277_11 Depth=1
	s_or_b32 exec_lo, exec_lo, s8
.LBB277_730:                            ;   in Loop: Header=BB277_11 Depth=1
	s_delay_alu instid0(SALU_CYCLE_1)
	s_or_b32 exec_lo, exec_lo, s20
.LBB277_731:                            ;   in Loop: Header=BB277_11 Depth=1
	s_delay_alu instid0(SALU_CYCLE_1) | instskip(SKIP_4) | instid1(VALU_DEP_1)
	s_or_b32 exec_lo, exec_lo, s19
	v_mov_b32_e32 v72, 0
	v_lshrrev_b32_e32 v25, 16, v24
	v_mov_b32_e32 v73, 0
	s_mov_b32 s8, exec_lo
	v_dual_mov_b32 v77, v73 :: v_dual_and_b32 v40, 0xff, v25
	v_mov_b32_e32 v76, v72
	s_delay_alu instid0(VALU_DEP_2)
	v_cmpx_ne_u16_e32 0, v40
	s_cbranch_execz .LBB277_739
; %bb.732:                              ;   in Loop: Header=BB277_11 Depth=1
	v_bfrev_b32_e32 v76, 1
	v_mov_b32_e32 v77, 0
	s_mov_b32 s19, exec_lo
	v_cmpx_ne_u16_e32 0x80, v40
	s_cbranch_execz .LBB277_738
; %bb.733:                              ;   in Loop: Header=BB277_11 Depth=1
	v_mov_b32_e32 v76, 0x7f800001
	v_bfe_u32 v41, v24, 16, 7
	v_mov_b32_e32 v77, 0
	s_mov_b32 s20, exec_lo
	s_delay_alu instid0(VALU_DEP_2)
	v_cmpx_ne_u32_e32 0x7f, v41
	s_cbranch_execz .LBB277_737
; %bb.734:                              ;   in Loop: Header=BB277_11 Depth=1
	v_and_b32_e32 v46, 7, v25
	v_lshrrev_b32_e32 v40, 3, v41
	s_mov_b32 s21, exec_lo
	v_cmpx_gt_u32_e32 8, v41
; %bb.735:                              ;   in Loop: Header=BB277_11 Depth=1
	s_delay_alu instid0(VALU_DEP_3) | instskip(NEXT) | instid1(VALU_DEP_1)
	v_clz_i32_u32_e32 v40, v46
	v_min_u32_e32 v40, 32, v40
	s_delay_alu instid0(VALU_DEP_1) | instskip(SKIP_1) | instid1(VALU_DEP_2)
	v_subrev_nc_u32_e32 v41, 28, v40
	v_sub_nc_u32_e32 v40, 29, v40
	v_lshlrev_b64 v[60:61], v41, v[46:47]
	s_delay_alu instid0(VALU_DEP_1)
	v_and_b32_e32 v46, 7, v60
; %bb.736:                              ;   in Loop: Header=BB277_11 Depth=1
	s_or_b32 exec_lo, exec_lo, s21
	v_lshlrev_b32_e32 v25, 24, v25
	s_delay_alu instid0(VALU_DEP_2) | instskip(SKIP_1) | instid1(VALU_DEP_3)
	v_lshlrev_b32_e32 v41, 20, v46
	v_lshl_add_u32 v40, v40, 23, 0x3c000000
	v_and_b32_e32 v25, 0x80000000, v25
	s_delay_alu instid0(VALU_DEP_1) | instskip(NEXT) | instid1(VALU_DEP_1)
	v_or3_b32 v46, v41, v25, v40
	v_dual_mov_b32 v77, v47 :: v_dual_mov_b32 v76, v46
.LBB277_737:                            ;   in Loop: Header=BB277_11 Depth=1
	s_or_b32 exec_lo, exec_lo, s20
.LBB277_738:                            ;   in Loop: Header=BB277_11 Depth=1
	s_delay_alu instid0(SALU_CYCLE_1)
	s_or_b32 exec_lo, exec_lo, s19
.LBB277_739:                            ;   in Loop: Header=BB277_11 Depth=1
	s_delay_alu instid0(SALU_CYCLE_1) | instskip(NEXT) | instid1(SALU_CYCLE_1)
	s_or_b32 exec_lo, exec_lo, s8
	s_mov_b32 s19, exec_lo
	v_cmpx_lt_u32_e32 0xffffff, v24
	s_cbranch_execz .LBB277_747
; %bb.740:                              ;   in Loop: Header=BB277_11 Depth=1
	v_lshrrev_b32_e32 v25, 24, v24
	v_dual_mov_b32 v73, s3 :: v_dual_mov_b32 v72, s2
	s_mov_b32 s20, exec_lo
	s_delay_alu instid0(VALU_DEP_2)
	v_cmpx_ne_u32_e32 0x80, v25
	s_cbranch_execz .LBB277_746
; %bb.741:                              ;   in Loop: Header=BB277_11 Depth=1
	s_mov_b32 s8, s2
	v_bfe_u32 v40, v24, 24, 7
	v_dual_mov_b32 v73, s9 :: v_dual_mov_b32 v72, s8
	s_mov_b32 s8, exec_lo
	s_delay_alu instid0(VALU_DEP_2)
	v_cmpx_ne_u32_e32 0x7f, v40
	s_cbranch_execz .LBB277_745
; %bb.742:                              ;   in Loop: Header=BB277_11 Depth=1
	v_and_b32_e32 v46, 7, v25
	v_lshrrev_b32_e32 v24, 3, v40
	s_mov_b32 s21, exec_lo
	v_cmpx_gt_u32_e32 8, v40
; %bb.743:                              ;   in Loop: Header=BB277_11 Depth=1
	s_delay_alu instid0(VALU_DEP_3) | instskip(NEXT) | instid1(VALU_DEP_1)
	v_clz_i32_u32_e32 v24, v46
	v_min_u32_e32 v24, 32, v24
	s_delay_alu instid0(VALU_DEP_1) | instskip(SKIP_1) | instid1(VALU_DEP_2)
	v_subrev_nc_u32_e32 v40, 28, v24
	v_sub_nc_u32_e32 v24, 29, v24
	v_lshlrev_b64 v[40:41], v40, v[46:47]
	s_delay_alu instid0(VALU_DEP_1)
	v_and_b32_e32 v46, 7, v40
; %bb.744:                              ;   in Loop: Header=BB277_11 Depth=1
	s_or_b32 exec_lo, exec_lo, s21
	v_dual_mov_b32 v72, v47 :: v_dual_lshlrev_b32 v25, 24, v25
	s_delay_alu instid0(VALU_DEP_2) | instskip(SKIP_1) | instid1(VALU_DEP_3)
	v_lshlrev_b32_e32 v40, 20, v46
	v_lshl_add_u32 v24, v24, 23, 0x3c000000
	v_and_b32_e32 v25, 0x80000000, v25
	s_delay_alu instid0(VALU_DEP_1)
	v_or3_b32 v73, v40, v25, v24
.LBB277_745:                            ;   in Loop: Header=BB277_11 Depth=1
	s_or_b32 exec_lo, exec_lo, s8
.LBB277_746:                            ;   in Loop: Header=BB277_11 Depth=1
	s_delay_alu instid0(SALU_CYCLE_1)
	s_or_b32 exec_lo, exec_lo, s20
.LBB277_747:                            ;   in Loop: Header=BB277_11 Depth=1
	s_delay_alu instid0(SALU_CYCLE_1)
	s_or_b32 exec_lo, exec_lo, s19
	flat_load_b32 v106, v[104:105] offset:2572
	v_mov_b32_e32 v104, 0
	v_mov_b32_e32 v105, 0
	s_mov_b32 s8, exec_lo
	s_waitcnt vmcnt(0) lgkmcnt(0)
	v_and_b32_e32 v24, 0xff, v106
	s_delay_alu instid0(VALU_DEP_2) | instskip(NEXT) | instid1(VALU_DEP_2)
	v_dual_mov_b32 v40, v104 :: v_dual_mov_b32 v41, v105
	v_cmpx_ne_u16_e32 0, v24
	s_cbranch_execz .LBB277_755
; %bb.748:                              ;   in Loop: Header=BB277_11 Depth=1
	v_bfrev_b32_e32 v40, 1
	v_mov_b32_e32 v41, 0
	s_mov_b32 s19, exec_lo
	v_cmpx_ne_u16_e32 0x80, v24
	s_cbranch_execz .LBB277_754
; %bb.749:                              ;   in Loop: Header=BB277_11 Depth=1
	v_mov_b32_e32 v40, 0x7f800001
	v_and_b32_e32 v25, 0x7f, v106
	v_mov_b32_e32 v41, 0
	s_mov_b32 s20, exec_lo
	s_delay_alu instid0(VALU_DEP_2)
	v_cmpx_ne_u32_e32 0x7f, v25
	s_cbranch_execz .LBB277_753
; %bb.750:                              ;   in Loop: Header=BB277_11 Depth=1
	v_and_b32_e32 v46, 7, v106
	v_lshrrev_b32_e32 v24, 3, v25
	s_mov_b32 s21, exec_lo
	v_cmpx_gt_u32_e32 8, v25
; %bb.751:                              ;   in Loop: Header=BB277_11 Depth=1
	s_delay_alu instid0(VALU_DEP_3) | instskip(NEXT) | instid1(VALU_DEP_1)
	v_clz_i32_u32_e32 v24, v46
	v_min_u32_e32 v24, 32, v24
	s_delay_alu instid0(VALU_DEP_1) | instskip(SKIP_1) | instid1(VALU_DEP_2)
	v_subrev_nc_u32_e32 v25, 28, v24
	v_sub_nc_u32_e32 v24, 29, v24
	v_lshlrev_b64 v[40:41], v25, v[46:47]
	s_delay_alu instid0(VALU_DEP_1)
	v_and_b32_e32 v46, 7, v40
; %bb.752:                              ;   in Loop: Header=BB277_11 Depth=1
	s_or_b32 exec_lo, exec_lo, s21
	v_lshlrev_b32_e32 v25, 24, v106
	s_delay_alu instid0(VALU_DEP_2) | instskip(SKIP_1) | instid1(VALU_DEP_3)
	v_lshlrev_b32_e32 v40, 20, v46
	v_lshl_add_u32 v24, v24, 23, 0x3c000000
	v_and_b32_e32 v25, 0x80000000, v25
	s_delay_alu instid0(VALU_DEP_1) | instskip(NEXT) | instid1(VALU_DEP_1)
	v_or3_b32 v46, v40, v25, v24
	v_dual_mov_b32 v40, v46 :: v_dual_mov_b32 v41, v47
.LBB277_753:                            ;   in Loop: Header=BB277_11 Depth=1
	s_or_b32 exec_lo, exec_lo, s20
.LBB277_754:                            ;   in Loop: Header=BB277_11 Depth=1
	s_delay_alu instid0(SALU_CYCLE_1)
	s_or_b32 exec_lo, exec_lo, s19
.LBB277_755:                            ;   in Loop: Header=BB277_11 Depth=1
	s_delay_alu instid0(SALU_CYCLE_1) | instskip(SKIP_2) | instid1(VALU_DEP_1)
	s_or_b32 exec_lo, exec_lo, s8
	v_lshrrev_b16 v24, 8, v106
	s_mov_b32 s19, exec_lo
	v_cmpx_ne_u16_e32 0, v24
	s_cbranch_execz .LBB277_763
; %bb.756:                              ;   in Loop: Header=BB277_11 Depth=1
	v_dual_mov_b32 v105, s3 :: v_dual_mov_b32 v104, s2
	s_mov_b32 s20, exec_lo
	v_cmpx_ne_u16_e32 0x80, v24
	s_cbranch_execz .LBB277_762
; %bb.757:                              ;   in Loop: Header=BB277_11 Depth=1
	s_mov_b32 s8, s2
	v_dual_mov_b32 v105, s9 :: v_dual_and_b32 v24, 0xffff, v24
	v_mov_b32_e32 v104, s8
	s_mov_b32 s8, exec_lo
	s_delay_alu instid0(VALU_DEP_2) | instskip(NEXT) | instid1(VALU_DEP_1)
	v_and_b32_e32 v25, 0x7f, v24
	v_cmpx_ne_u32_e32 0x7f, v25
	s_cbranch_execz .LBB277_761
; %bb.758:                              ;   in Loop: Header=BB277_11 Depth=1
	v_and_b32_e32 v46, 7, v24
	v_lshrrev_b32_e32 v24, 3, v25
	s_mov_b32 s21, exec_lo
	v_cmpx_gt_u32_e32 8, v25
; %bb.759:                              ;   in Loop: Header=BB277_11 Depth=1
	s_delay_alu instid0(VALU_DEP_3) | instskip(NEXT) | instid1(VALU_DEP_1)
	v_clz_i32_u32_e32 v24, v46
	v_min_u32_e32 v24, 32, v24
	s_delay_alu instid0(VALU_DEP_1) | instskip(SKIP_1) | instid1(VALU_DEP_2)
	v_subrev_nc_u32_e32 v25, 28, v24
	v_sub_nc_u32_e32 v24, 29, v24
	v_lshlrev_b64 v[60:61], v25, v[46:47]
	s_delay_alu instid0(VALU_DEP_1)
	v_and_b32_e32 v46, 7, v60
; %bb.760:                              ;   in Loop: Header=BB277_11 Depth=1
	s_or_b32 exec_lo, exec_lo, s21
	v_dual_mov_b32 v104, v47 :: v_dual_lshlrev_b32 v25, 16, v106
	s_delay_alu instid0(VALU_DEP_2) | instskip(SKIP_1) | instid1(VALU_DEP_3)
	v_lshlrev_b32_e32 v46, 20, v46
	v_lshl_add_u32 v24, v24, 23, 0x3c000000
	v_and_b32_e32 v25, 0x80000000, v25
	s_delay_alu instid0(VALU_DEP_1)
	v_or3_b32 v105, v46, v25, v24
.LBB277_761:                            ;   in Loop: Header=BB277_11 Depth=1
	s_or_b32 exec_lo, exec_lo, s8
.LBB277_762:                            ;   in Loop: Header=BB277_11 Depth=1
	s_delay_alu instid0(SALU_CYCLE_1)
	s_or_b32 exec_lo, exec_lo, s20
.LBB277_763:                            ;   in Loop: Header=BB277_11 Depth=1
	s_delay_alu instid0(SALU_CYCLE_1) | instskip(SKIP_4) | instid1(VALU_DEP_1)
	s_or_b32 exec_lo, exec_lo, s19
	v_mov_b32_e32 v24, 0
	v_lshrrev_b32_e32 v107, 16, v106
	v_mov_b32_e32 v25, 0
	s_mov_b32 s8, exec_lo
	v_dual_mov_b32 v61, v25 :: v_dual_and_b32 v46, 0xff, v107
	v_mov_b32_e32 v60, v24
	s_delay_alu instid0(VALU_DEP_2)
	v_cmpx_ne_u16_e32 0, v46
	s_cbranch_execz .LBB277_771
; %bb.764:                              ;   in Loop: Header=BB277_11 Depth=1
	v_bfrev_b32_e32 v60, 1
	v_mov_b32_e32 v61, 0
	s_mov_b32 s19, exec_lo
	v_cmpx_ne_u16_e32 0x80, v46
	s_cbranch_execz .LBB277_770
; %bb.765:                              ;   in Loop: Header=BB277_11 Depth=1
	v_mov_b32_e32 v60, 0x7f800001
	v_bfe_u32 v110, v106, 16, 7
	v_mov_b32_e32 v61, 0
	s_mov_b32 s20, exec_lo
	s_delay_alu instid0(VALU_DEP_2)
	v_cmpx_ne_u32_e32 0x7f, v110
	s_cbranch_execz .LBB277_769
; %bb.766:                              ;   in Loop: Header=BB277_11 Depth=1
	v_and_b32_e32 v46, 7, v107
	v_lshrrev_b32_e32 v60, 3, v110
	s_mov_b32 s21, exec_lo
	v_cmpx_gt_u32_e32 8, v110
	s_cbranch_execz .LBB277_768
; %bb.767:                              ;   in Loop: Header=BB277_11 Depth=1
	v_clz_i32_u32_e32 v60, v46
	s_delay_alu instid0(VALU_DEP_1) | instskip(NEXT) | instid1(VALU_DEP_1)
	v_min_u32_e32 v60, 32, v60
	v_subrev_nc_u32_e32 v61, 28, v60
	v_sub_nc_u32_e32 v60, 29, v60
	s_delay_alu instid0(VALU_DEP_2)
	v_lshlrev_b64 v[110:111], v61, v[46:47]
	scratch_load_b32 v111, off, s32 offset:820 ; 4-byte Folded Reload
	v_and_b32_e32 v46, 7, v110
.LBB277_768:                            ;   in Loop: Header=BB277_11 Depth=1
	s_or_b32 exec_lo, exec_lo, s21
	v_lshlrev_b32_e32 v61, 24, v107
	s_delay_alu instid0(VALU_DEP_2) | instskip(SKIP_1) | instid1(VALU_DEP_3)
	v_lshlrev_b32_e32 v46, 20, v46
	v_lshl_add_u32 v60, v60, 23, 0x3c000000
	v_and_b32_e32 v61, 0x80000000, v61
	s_delay_alu instid0(VALU_DEP_1) | instskip(NEXT) | instid1(VALU_DEP_1)
	v_or3_b32 v46, v46, v61, v60
	v_dual_mov_b32 v61, v47 :: v_dual_mov_b32 v60, v46
.LBB277_769:                            ;   in Loop: Header=BB277_11 Depth=1
	s_or_b32 exec_lo, exec_lo, s20
	s_clause 0x1
	scratch_load_b32 v22, off, s32 offset:800
	scratch_load_b32 v110, off, s32 offset:804
.LBB277_770:                            ;   in Loop: Header=BB277_11 Depth=1
	s_or_b32 exec_lo, exec_lo, s19
.LBB277_771:                            ;   in Loop: Header=BB277_11 Depth=1
	s_delay_alu instid0(SALU_CYCLE_1) | instskip(NEXT) | instid1(SALU_CYCLE_1)
	s_or_b32 exec_lo, exec_lo, s8
	s_mov_b32 s19, exec_lo
	v_cmpx_lt_u32_e32 0xffffff, v106
	s_cbranch_execz .LBB277_10
; %bb.772:                              ;   in Loop: Header=BB277_11 Depth=1
	v_lshrrev_b32_e32 v107, 24, v106
	v_dual_mov_b32 v25, s3 :: v_dual_mov_b32 v24, s2
	s_mov_b32 s20, exec_lo
	s_delay_alu instid0(VALU_DEP_2)
	v_cmpx_ne_u32_e32 0x80, v107
	s_cbranch_execz .LBB277_9
; %bb.773:                              ;   in Loop: Header=BB277_11 Depth=1
	s_mov_b32 s8, s2
	v_bfe_u32 v106, v106, 24, 7
	v_dual_mov_b32 v25, s9 :: v_dual_mov_b32 v24, s8
	s_mov_b32 s8, exec_lo
	s_delay_alu instid0(VALU_DEP_2)
	v_cmpx_ne_u32_e32 0x7f, v106
	s_cbranch_execz .LBB277_8
; %bb.774:                              ;   in Loop: Header=BB277_11 Depth=1
	v_and_b32_e32 v46, 7, v107
	v_lshrrev_b32_e32 v24, 3, v106
	s_mov_b32 s21, exec_lo
	v_cmpx_gt_u32_e32 8, v106
	s_cbranch_execz .LBB277_7
; %bb.775:                              ;   in Loop: Header=BB277_11 Depth=1
	v_clz_i32_u32_e32 v24, v46
	s_delay_alu instid0(VALU_DEP_1) | instskip(NEXT) | instid1(VALU_DEP_1)
	v_min_u32_e32 v24, 32, v24
	v_subrev_nc_u32_e32 v25, 28, v24
	v_sub_nc_u32_e32 v24, 29, v24
	s_waitcnt vmcnt(0)
	s_delay_alu instid0(VALU_DEP_2)
	v_lshlrev_b64 v[110:111], v25, v[46:47]
	scratch_load_b32 v111, off, s32 offset:820 ; 4-byte Folded Reload
	v_and_b32_e32 v46, 7, v110
	s_clause 0x1
	scratch_load_b32 v110, off, s32 offset:804
	scratch_load_b32 v22, off, s32 offset:800
	s_branch .LBB277_7
.LBB277_776:
	s_or_b32 exec_lo, exec_lo, s7
	s_clause 0xe
	scratch_load_b32 v6, off, s32 offset:824
	scratch_load_b32 v15, off, s32 offset:828
	;; [unrolled: 1-line block ×3, first 2 shown]
	scratch_load_b64 v[26:27], off, s32 offset:836
	scratch_load_b32 v11, off, s32 offset:844
	scratch_load_b32 v10, off, s32 offset:848
	;; [unrolled: 1-line block ×6, first 2 shown]
	scratch_load_b64 v[16:17], off, s32 offset:868
	scratch_load_b32 v12, off, s32 offset:876
	scratch_load_b32 v18, off, s32 offset:880
	;; [unrolled: 1-line block ×4, first 2 shown]
.LBB277_777:
	s_or_b32 exec_lo, exec_lo, s18
	v_mbcnt_lo_u32_b32 v0, -1, 0
	s_lshr_b32 s8, s17, 16
	s_delay_alu instid0(VALU_DEP_1) | instskip(SKIP_2) | instid1(VALU_DEP_3)
	v_xor_b32_e32 v1, 16, v0
	v_xor_b32_e32 v3, 8, v0
	;; [unrolled: 1-line block ×3, first 2 shown]
	v_cmp_gt_i32_e32 vcc_lo, 32, v1
	v_cndmask_b32_e32 v1, v0, v1, vcc_lo
	s_delay_alu instid0(VALU_DEP_4) | instskip(NEXT) | instid1(VALU_DEP_2)
	v_cmp_gt_i32_e32 vcc_lo, 32, v3
	v_dual_cndmask_b32 v3, v0, v3 :: v_dual_lshlrev_b32 v2, 2, v1
	v_max_f32_e32 v4, v89, v89
	v_cmp_gt_i32_e32 vcc_lo, 32, v5
	ds_bpermute_b32 v1, v2, v89
	v_lshlrev_b32_e32 v3, 2, v3
	v_cndmask_b32_e32 v5, v0, v5, vcc_lo
	s_waitcnt lgkmcnt(0)
	v_max_f32_e32 v1, v1, v1
	s_delay_alu instid0(VALU_DEP_1)
	v_max_f32_e32 v1, v4, v1
	ds_bpermute_b32 v4, v3, v1
	s_waitcnt lgkmcnt(0)
	v_max_f32_e32 v4, v4, v4
	v_lshlrev_b32_e32 v120, 2, v5
	v_xor_b32_e32 v5, 2, v0
	s_delay_alu instid0(VALU_DEP_3) | instskip(NEXT) | instid1(VALU_DEP_2)
	v_max_f32_e32 v1, v1, v4
	v_cmp_gt_i32_e32 vcc_lo, 32, v5
	ds_bpermute_b32 v4, v120, v1
	v_cndmask_b32_e32 v5, v0, v5, vcc_lo
	s_delay_alu instid0(VALU_DEP_1) | instskip(SKIP_1) | instid1(VALU_DEP_1)
	v_lshlrev_b32_e32 v21, 2, v5
	v_xor_b32_e32 v5, 1, v0
	v_cmp_gt_i32_e32 vcc_lo, 32, v5
	v_cndmask_b32_e32 v5, v0, v5, vcc_lo
	s_waitcnt vmcnt(14)
	v_cmp_eq_u32_e32 vcc_lo, 0, v6
	s_waitcnt lgkmcnt(0)
	v_max_f32_e32 v4, v4, v4
	s_delay_alu instid0(VALU_DEP_1) | instskip(SKIP_3) | instid1(VALU_DEP_1)
	v_dual_max_f32 v1, v1, v4 :: v_dual_lshlrev_b32 v20, 2, v5
	ds_bpermute_b32 v4, v21, v1
	s_waitcnt lgkmcnt(0)
	v_max_f32_e32 v4, v4, v4
	v_max_f32_e32 v0, v1, v4
	scratch_load_b32 v4, off, s32 offset:808 ; 4-byte Folded Reload
	ds_bpermute_b32 v1, v20, v0
	s_waitcnt vmcnt(0)
	v_lshlrev_b32_e32 v4, 2, v4
	s_and_saveexec_b32 s1, vcc_lo
	s_cbranch_execz .LBB277_779
; %bb.778:
	s_waitcnt lgkmcnt(0)
	v_dual_max_f32 v1, v1, v1 :: v_dual_max_f32 v0, v0, v0
	s_delay_alu instid0(VALU_DEP_1)
	v_max_f32_e32 v0, v0, v1
	ds_store_b32 v4, v0 offset:384
.LBB277_779:
	s_or_b32 exec_lo, exec_lo, s1
	v_cmp_gt_u32_e64 s1, 4, v6
	v_mov_b32_e32 v0, 0xff7fffff
	s_waitcnt lgkmcnt(0)
	s_waitcnt_vscnt null, 0x0
	s_barrier
	buffer_gl0_inv
	s_and_saveexec_b32 s2, s1
	s_cbranch_execz .LBB277_781
; %bb.780:
	ds_load_b32 v0, v23 offset:384
.LBB277_781:
	s_or_b32 exec_lo, exec_lo, s2
	s_waitcnt lgkmcnt(0)
	ds_bpermute_b32 v1, v21, v0
	v_max_f32_e32 v0, v0, v0
	v_subrev_nc_u32_e32 v6, s13, v110
	v_mov_b32_e32 v5, 0
	s_waitcnt lgkmcnt(0)
	v_max_f32_e32 v1, v1, v1
	s_delay_alu instid0(VALU_DEP_1) | instskip(SKIP_3) | instid1(VALU_DEP_1)
	v_max_f32_e32 v0, v0, v1
	ds_bpermute_b32 v1, v20, v0
	s_waitcnt lgkmcnt(0)
	v_max_f32_e32 v1, v1, v1
	v_max_f32_e32 v0, v0, v1
	v_lshl_add_u32 v1, v6, 5, s11
	ds_bpermute_b32 v0, v5, v0
	v_min_i32_e32 v1, v1, v88
	s_delay_alu instid0(VALU_DEP_1) | instskip(NEXT) | instid1(VALU_DEP_1)
	v_subrev_nc_u32_e32 v1, s11, v1
	v_cmp_lt_i32_e64 s2, v111, v1
	s_delay_alu instid0(VALU_DEP_1)
	s_and_saveexec_b32 s9, s2
	s_cbranch_execz .LBB277_785
; %bb.782:
	s_getpc_b64 s[18:19]
	s_add_u32 s18, s18, llvm.amdgcn.dynlds.offset.table@rel32@lo+4
	s_addc_u32 s19, s19, llvm.amdgcn.dynlds.offset.table@rel32@hi+12
	s_ashr_i32 s7, s6, 31
	v_mov_b32_e32 v5, 0
	s_lshl_b64 s[20:21], s[6:7], 2
	v_mov_b32_e32 v7, v111
	s_add_u32 s18, s20, s18
	s_addc_u32 s19, s21, s19
	s_mov_b32 s7, 0
	s_load_b32 s3, s[18:19], 0x0
	s_waitcnt lgkmcnt(0)
	v_lshl_add_u32 v6, v111, 2, s3
	.p2align	6
.LBB277_783:                            ; =>This Inner Loop Header: Depth=1
	ds_load_b32 v8, v6
	v_add_nc_u32_e32 v7, 0x80, v7
	s_delay_alu instid0(VALU_DEP_1) | instskip(NEXT) | instid1(VALU_DEP_1)
	v_cmp_ge_i32_e64 s3, v7, v1
	s_or_b32 s7, s3, s7
	s_waitcnt lgkmcnt(0)
	v_sub_f32_e32 v8, v8, v0
	s_delay_alu instid0(VALU_DEP_1) | instskip(NEXT) | instid1(VALU_DEP_1)
	v_mul_f32_e32 v8, 0x3fb8aa3b, v8
	v_exp_f32_e32 v8, v8
	ds_store_b32 v6, v8
	v_dual_add_f32 v5, v5, v8 :: v_dual_add_nc_u32 v6, 0x200, v6
	s_and_not1_b32 exec_lo, exec_lo, s7
	s_cbranch_execnz .LBB277_783
; %bb.784:
	s_or_b32 exec_lo, exec_lo, s7
.LBB277_785:
	s_delay_alu instid0(SALU_CYCLE_1)
	s_or_b32 exec_lo, exec_lo, s9
	ds_bpermute_b32 v2, v2, v5
	s_waitcnt lgkmcnt(0)
	v_add_f32_e32 v2, v5, v2
	ds_bpermute_b32 v3, v3, v2
	s_waitcnt lgkmcnt(0)
	v_add_f32_e32 v2, v2, v3
	;; [unrolled: 3-line block ×5, first 2 shown]
	s_and_saveexec_b32 s3, vcc_lo
	s_cbranch_execz .LBB277_787
; %bb.786:
	ds_store_b32 v4, v2 offset:400
.LBB277_787:
	s_or_b32 exec_lo, exec_lo, s3
	s_waitcnt lgkmcnt(0)
	s_barrier
	buffer_gl0_inv
	s_and_saveexec_b32 s3, s1
	s_cbranch_execz .LBB277_789
; %bb.788:
	ds_load_b32 v2, v23 offset:400
.LBB277_789:
	s_or_b32 exec_lo, exec_lo, s3
	s_waitcnt lgkmcnt(0)
	ds_bpermute_b32 v3, v21, v2
	s_waitcnt lgkmcnt(0)
	v_add_f32_e32 v2, v2, v3
	ds_bpermute_b32 v3, v20, v2
	s_waitcnt lgkmcnt(0)
	v_dual_add_f32 v2, v2, v3 :: v_dual_mov_b32 v3, 0
	ds_bpermute_b32 v2, v3, v2
	s_and_saveexec_b32 s1, s2
	s_cbranch_execz .LBB277_792
; %bb.790:
	s_waitcnt lgkmcnt(0)
	v_add_f32_e32 v4, 0x358637bd, v2
	s_getpc_b64 s[2:3]
	s_add_u32 s2, s2, llvm.amdgcn.dynlds.offset.table@rel32@lo+4
	s_addc_u32 s3, s3, llvm.amdgcn.dynlds.offset.table@rel32@hi+12
	s_ashr_i32 s7, s6, 31
	s_delay_alu instid0(SALU_CYCLE_1) | instskip(SKIP_4) | instid1(VALU_DEP_1)
	s_lshl_b64 s[18:19], s[6:7], 2
	v_div_scale_f32 v3, null, v4, v4, 1.0
	s_add_u32 s2, s18, s2
	s_addc_u32 s3, s19, s3
	s_load_b32 s2, s[2:3], 0x0
	v_rcp_f32_e32 v5, v3
	s_waitcnt_depctr 0xfff
	v_fma_f32 v6, -v3, v5, 1.0
	s_delay_alu instid0(VALU_DEP_1) | instskip(SKIP_1) | instid1(VALU_DEP_1)
	v_fmac_f32_e32 v5, v6, v5
	v_div_scale_f32 v7, vcc_lo, 1.0, v4, 1.0
	v_mul_f32_e32 v6, v7, v5
	s_delay_alu instid0(VALU_DEP_1) | instskip(NEXT) | instid1(VALU_DEP_1)
	v_fma_f32 v8, -v3, v6, v7
	v_fmac_f32_e32 v6, v8, v5
	s_delay_alu instid0(VALU_DEP_1) | instskip(NEXT) | instid1(VALU_DEP_1)
	v_fma_f32 v3, -v3, v6, v7
	v_div_fmas_f32 v5, v3, v5, v6
	s_waitcnt lgkmcnt(0)
	v_lshl_add_u32 v3, v111, 2, s2
	s_mov_b32 s2, 0
	s_delay_alu instid0(VALU_DEP_2)
	v_div_fixup_f32 v4, v5, v4, 1.0
	v_mov_b32_e32 v5, v111
.LBB277_791:                            ; =>This Inner Loop Header: Depth=1
	ds_load_b32 v6, v3
	s_waitcnt lgkmcnt(0)
	v_dual_mul_f32 v6, v4, v6 :: v_dual_add_nc_u32 v5, 0x80, v5
	s_delay_alu instid0(VALU_DEP_1) | instskip(SKIP_3) | instid1(SALU_CYCLE_1)
	v_cmp_ge_i32_e32 vcc_lo, v5, v1
	ds_store_b32 v3, v6
	v_add_nc_u32_e32 v3, 0x200, v3
	s_or_b32 s2, vcc_lo, s2
	s_and_not1_b32 exec_lo, exec_lo, s2
	s_cbranch_execnz .LBB277_791
.LBB277_792:
	s_or_b32 exec_lo, exec_lo, s1
	v_cmp_ne_u16_e64 s1, s8, 0
	s_waitcnt lgkmcnt(0)
	s_barrier
	buffer_gl0_inv
	s_cmp_lg_u32 s1, 0
	s_addc_u32 s1, s5, 0
	s_mov_b32 s5, exec_lo
	s_mul_i32 s2, s1, s10
	s_delay_alu instid0(SALU_CYCLE_1)
	s_mul_i32 s2, s2, s15
	v_cmpx_eq_u32_e32 0, v111
	s_cbranch_execz .LBB277_794
; %bb.793:
	s_mul_i32 s8, s1, s12
	s_ashr_i32 s15, s14, 31
	s_ashr_i32 s9, s8, 31
	;; [unrolled: 1-line block ×3, first 2 shown]
	s_lshl_b64 s[8:9], s[8:9], 2
	s_lshl_b64 s[12:13], s[14:15], 2
	;; [unrolled: 1-line block ×3, first 2 shown]
	s_add_u32 s3, s12, s8
	s_addc_u32 s7, s13, s9
	s_add_u32 s3, s3, s18
	s_addc_u32 s7, s7, s19
	v_add_co_u32 v3, vcc_lo, s3, v28
	v_add_co_ci_u32_e32 v4, vcc_lo, s7, v25, vcc_lo
	v_add_co_u32 v5, vcc_lo, s3, v24
	v_add_co_ci_u32_e32 v6, vcc_lo, s7, v13, vcc_lo
	flat_store_b32 v[3:4], v0
	flat_store_b32 v[5:6], v2
.LBB277_794:
	s_or_b32 exec_lo, exec_lo, s5
                                        ; implicit-def: $sgpr5
	s_and_saveexec_b32 s3, s0
	s_delay_alu instid0(SALU_CYCLE_1)
	s_xor_b32 s0, exec_lo, s3
	s_cbranch_execz .LBB277_796
; %bb.795:
	s_ashr_i32 s7, s6, 31
	s_mov_b32 s5, 0
                                        ; implicit-def: $vgpr88
                                        ; implicit-def: $vgpr12
                                        ; implicit-def: $vgpr110
                                        ; implicit-def: $vgpr0
	scratch_store_b64 off, v[0:1], s32 offset:320 ; 8-byte Folded Spill
                                        ; implicit-def: $vgpr10
                                        ; implicit-def: $vgpr11
                                        ; implicit-def: $vgpr14
                                        ; implicit-def: $vgpr15
                                        ; implicit-def: $vgpr22
                                        ; implicit-def: $vgpr26_vgpr27
                                        ; implicit-def: $vgpr18
                                        ; implicit-def: $vgpr19
                                        ; implicit-def: $vgpr16_vgpr17
.LBB277_796:
	s_or_saveexec_b32 s3, s0
	v_dual_mov_b32 v53, s5 :: v_dual_mov_b32 v0, s6
	v_dual_mov_b32 v1, s7 :: v_dual_mov_b32 v54, s5
	v_dual_mov_b32 v52, s5 :: v_dual_and_b32 v23, 7, v111
	v_dual_mov_b32 v55, s5 :: v_dual_mov_b32 v50, s5
	v_dual_mov_b32 v51, s5 :: v_dual_mov_b32 v48, s5
	;; [unrolled: 1-line block ×10, first 2 shown]
	v_mov_b32_e32 v25, s5
	s_xor_b32 exec_lo, exec_lo, s3
	s_cbranch_execz .LBB277_1616
; %bb.797:
	s_clause 0x1
	scratch_load_b64 v[0:1], off, s32 offset:320
	scratch_load_b32 v8, off, s32 offset:808
	flat_load_b32 v64, v[26:27]
	s_ashr_i32 s7, s6, 31
	s_getpc_b64 s[8:9]
	s_add_u32 s8, s8, llvm.amdgcn.dynlds.offset.table@rel32@lo+4
	s_addc_u32 s9, s9, llvm.amdgcn.dynlds.offset.table@rel32@hi+12
	v_dual_mov_b32 v7, 0 :: v_dual_lshlrev_b32 v2, 2, v111
	v_add_co_u32 v3, vcc_lo, v10, v18
	v_dual_mov_b32 v25, 0 :: v_dual_lshlrev_b32 v6, 4, v23
	s_delay_alu instid0(VALU_DEP_3)
	v_dual_mov_b32 v121, v22 :: v_dual_and_b32 v10, 28, v2
	v_and_b32_e32 v2, 0x7c, v2
	v_add_co_ci_u32_e32 v4, vcc_lo, v11, v19, vcc_lo
	v_dual_mov_b32 v24, 0 :: v_dual_add_nc_u32 v65, -1, v12
	v_dual_mov_b32 v123, 0 :: v_dual_mov_b32 v124, 0
	v_dual_mov_b32 v28, 0 :: v_dual_mov_b32 v29, 0
	;; [unrolled: 1-line block ×11, first 2 shown]
	v_mov_b32_e32 v122, v110
	s_waitcnt vmcnt(2)
	v_lshlrev_b64 v[0:1], 2, v[0:1]
	s_waitcnt vmcnt(1)
	v_lshl_add_u32 v5, v8, 5, s11
	s_lshl_b64 s[10:11], s[6:7], 2
	v_lshl_or_b32 v6, v8, 7, v6
	s_add_u32 s8, s10, s8
	s_addc_u32 s9, s11, s9
	v_add_co_u32 v0, vcc_lo, v16, v0
	s_load_b32 s0, s[8:9], 0x0
	v_add_co_ci_u32_e32 v1, vcc_lo, v17, v1, vcc_lo
	v_add_co_u32 v8, vcc_lo, v3, v2
	v_add_co_ci_u32_e32 v9, vcc_lo, 0, v4, vcc_lo
	v_add3_u32 v66, v5, v10, 3
	v_add_co_u32 v10, vcc_lo, v14, v0
	v_add_co_ci_u32_e32 v11, vcc_lo, v15, v1, vcc_lo
	s_mov_b32 s8, 0
	s_brev_b32 s9, 1
	s_mov_b32 s11, 0x7f800001
	s_mov_b32 s5, s8
	s_waitcnt vmcnt(0) lgkmcnt(0)
	v_dual_mov_b32 v68, v64 :: v_dual_add_nc_u32 v67, s0, v6
	s_branch .LBB277_799
.LBB277_798:                            ;   in Loop: Header=BB277_799 Depth=1
	s_or_b32 exec_lo, exec_lo, s0
	v_mul_f32_e32 v14, v1, v104
	v_mul_f32_e32 v13, v1, v106
	;; [unrolled: 1-line block ×4, first 2 shown]
	v_add_co_u32 v10, s0, v10, 16
	v_fmac_f32_e32 v14, v0, v95
	s_delay_alu instid0(VALU_DEP_4) | instskip(SKIP_4) | instid1(VALU_DEP_4)
	v_fmac_f32_e32 v16, v0, v78
	v_fmac_f32_e32 v13, v0, v105
	;; [unrolled: 1-line block ×3, first 2 shown]
	v_add_co_ci_u32_e64 v11, s0, 0, v11, s0
	v_fmac_f32_e32 v14, v2, v94
	v_fmac_f32_e32 v13, v2, v19
	s_delay_alu instid0(VALU_DEP_4) | instskip(SKIP_1) | instid1(VALU_DEP_4)
	v_fmac_f32_e32 v15, v2, v90
	v_add_nc_u32_e32 v67, 0x200, v67
	v_dual_mul_f32 v17, v1, v75 :: v_dual_fmac_f32 v14, v3, v93
	s_delay_alu instid0(VALU_DEP_4) | instskip(SKIP_1) | instid1(VALU_DEP_3)
	v_dual_fmac_f32 v16, v2, v77 :: v_dual_fmac_f32 v13, v3, v18
	v_add_nc_u32_e32 v66, 0x80, v66
	v_fmac_f32_e32 v17, v0, v74
	s_delay_alu instid0(VALU_DEP_4) | instskip(NEXT) | instid1(VALU_DEP_4)
	v_dual_add_f32 v123, v123, v14 :: v_dual_mul_f32 v14, v1, v59
	v_fmac_f32_e32 v16, v3, v76
	s_delay_alu instid0(VALU_DEP_2) | instskip(NEXT) | instid1(VALU_DEP_2)
	v_dual_fmac_f32 v15, v3, v89 :: v_dual_fmac_f32 v14, v0, v58
	v_add_f32_e32 v28, v28, v16
	v_mul_f32_e32 v16, v1, v43
	s_delay_alu instid0(VALU_DEP_3) | instskip(SKIP_1) | instid1(VALU_DEP_3)
	v_dual_add_f32 v25, v25, v13 :: v_dual_add_f32 v124, v124, v15
	v_mul_f32_e32 v13, v1, v63
	v_dual_mul_f32 v15, v1, v47 :: v_dual_fmac_f32 v16, v0, v42
	v_fmac_f32_e32 v14, v2, v57
	v_fmac_f32_e32 v17, v2, v73
	s_delay_alu instid0(VALU_DEP_4) | instskip(NEXT) | instid1(VALU_DEP_4)
	v_fmac_f32_e32 v13, v0, v62
	v_dual_fmac_f32 v15, v0, v46 :: v_dual_fmac_f32 v16, v2, v41
	s_delay_alu instid0(VALU_DEP_2) | instskip(NEXT) | instid1(VALU_DEP_2)
	v_dual_fmac_f32 v14, v3, v56 :: v_dual_fmac_f32 v13, v2, v61
	v_dual_fmac_f32 v15, v2, v45 :: v_dual_fmac_f32 v16, v3, v40
	s_delay_alu instid0(VALU_DEP_2) | instskip(NEXT) | instid1(VALU_DEP_3)
	v_dual_add_f32 v31, v31, v14 :: v_dual_mul_f32 v14, v1, v167
	v_fmac_f32_e32 v13, v3, v60
	s_delay_alu instid0(VALU_DEP_3) | instskip(NEXT) | instid1(VALU_DEP_4)
	v_fmac_f32_e32 v15, v3, v44
	v_add_f32_e32 v33, v33, v16
	v_dual_mul_f32 v16, v1, v151 :: v_dual_fmac_f32 v17, v3, v72
	s_delay_alu instid0(VALU_DEP_4) | instskip(SKIP_2) | instid1(VALU_DEP_4)
	v_add_f32_e32 v30, v30, v13
	v_fmac_f32_e32 v14, v0, v166
	v_add_f32_e32 v32, v32, v15
	v_dual_fmac_f32 v16, v0, v150 :: v_dual_add_f32 v29, v29, v17
	s_delay_alu instid0(VALU_DEP_3) | instskip(NEXT) | instid1(VALU_DEP_2)
	v_dual_mul_f32 v17, v1, v183 :: v_dual_fmac_f32 v14, v2, v165
	v_dual_fmac_f32 v16, v2, v149 :: v_dual_mul_f32 v15, v1, v163
	s_delay_alu instid0(VALU_DEP_2) | instskip(NEXT) | instid1(VALU_DEP_2)
	v_dual_fmac_f32 v17, v0, v182 :: v_dual_fmac_f32 v14, v3, v164
	v_dual_fmac_f32 v16, v3, v148 :: v_dual_fmac_f32 v15, v0, v162
	s_delay_alu instid0(VALU_DEP_2) | instskip(SKIP_1) | instid1(VALU_DEP_3)
	v_dual_fmac_f32 v17, v2, v181 :: v_dual_add_f32 v36, v36, v14
	v_mul_f32_e32 v14, v1, v131
	v_add_f32_e32 v38, v38, v16
	s_delay_alu instid0(VALU_DEP_3) | instskip(SKIP_1) | instid1(VALU_DEP_4)
	v_dual_mul_f32 v16, v1, v115 :: v_dual_fmac_f32 v17, v3, v180
	v_mul_f32_e32 v13, v1, v179
	v_dual_fmac_f32 v15, v2, v161 :: v_dual_fmac_f32 v14, v0, v130
	s_delay_alu instid0(VALU_DEP_3) | instskip(NEXT) | instid1(VALU_DEP_3)
	v_fmac_f32_e32 v16, v0, v114
	v_dual_add_f32 v34, v34, v17 :: v_dual_fmac_f32 v13, v0, v178
	s_delay_alu instid0(VALU_DEP_3) | instskip(NEXT) | instid1(VALU_DEP_3)
	v_dual_fmac_f32 v15, v3, v160 :: v_dual_fmac_f32 v14, v2, v129
	v_dual_fmac_f32 v16, v2, v113 :: v_dual_mul_f32 v17, v1, v147
	s_delay_alu instid0(VALU_DEP_3) | instskip(NEXT) | instid1(VALU_DEP_3)
	v_fmac_f32_e32 v13, v2, v177
	v_add_f32_e32 v37, v37, v15
	s_delay_alu instid0(VALU_DEP_4) | instskip(NEXT) | instid1(VALU_DEP_4)
	v_dual_mul_f32 v15, v1, v119 :: v_dual_fmac_f32 v14, v3, v128
	v_fmac_f32_e32 v17, v0, v146
	s_delay_alu instid0(VALU_DEP_4) | instskip(NEXT) | instid1(VALU_DEP_3)
	v_fmac_f32_e32 v13, v3, v176
	v_dual_fmac_f32 v16, v3, v112 :: v_dual_fmac_f32 v15, v0, v118
	s_delay_alu instid0(VALU_DEP_4) | instskip(NEXT) | instid1(VALU_DEP_2)
	v_add_f32_e32 v49, v49, v14
	v_dual_mul_f32 v14, v1, v87 :: v_dual_add_f32 v51, v51, v16
	s_delay_alu instid0(VALU_DEP_1) | instskip(NEXT) | instid1(VALU_DEP_1)
	v_dual_fmac_f32 v15, v2, v117 :: v_dual_fmac_f32 v14, v0, v86
	v_fmac_f32_e32 v15, v3, v116
	v_add_f32_e32 v35, v35, v13
	s_delay_alu instid0(VALU_DEP_3) | instskip(SKIP_1) | instid1(VALU_DEP_4)
	v_dual_mul_f32 v13, v1, v135 :: v_dual_fmac_f32 v14, v2, v85
	v_fmac_f32_e32 v17, v2, v145
	v_dual_add_f32 v50, v50, v15 :: v_dual_mul_f32 v15, v1, v80
	s_delay_alu instid0(VALU_DEP_3) | instskip(NEXT) | instid1(VALU_DEP_3)
	v_dual_fmac_f32 v13, v0, v134 :: v_dual_fmac_f32 v14, v3, v84
	v_fmac_f32_e32 v17, v3, v144
	s_delay_alu instid0(VALU_DEP_3) | instskip(NEXT) | instid1(VALU_DEP_3)
	v_fmac_f32_e32 v15, v0, v71
	v_fmac_f32_e32 v13, v2, v133
	s_delay_alu instid0(VALU_DEP_4) | instskip(NEXT) | instid1(VALU_DEP_4)
	v_add_f32_e32 v55, v55, v14
	v_add_f32_e32 v39, v39, v17
	v_mul_f32_e32 v17, v1, v103
	v_fmac_f32_e32 v15, v2, v70
	s_delay_alu instid0(VALU_DEP_2) | instskip(NEXT) | instid1(VALU_DEP_2)
	v_fmac_f32_e32 v17, v0, v102
	v_fmac_f32_e32 v15, v3, v69
	s_delay_alu instid0(VALU_DEP_2) | instskip(NEXT) | instid1(VALU_DEP_2)
	v_fmac_f32_e32 v17, v2, v101
	v_add_f32_e32 v53, v53, v15
	s_delay_alu instid0(VALU_DEP_2) | instskip(NEXT) | instid1(VALU_DEP_1)
	v_fmac_f32_e32 v17, v3, v100
	v_dual_fmac_f32 v13, v3, v132 :: v_dual_add_f32 v52, v52, v17
	s_delay_alu instid0(VALU_DEP_1) | instskip(SKIP_1) | instid1(VALU_DEP_2)
	v_dual_add_f32 v48, v48, v13 :: v_dual_mul_f32 v13, v1, v99
	v_mul_f32_e32 v1, v1, v12
	v_fmac_f32_e32 v13, v0, v98
	s_delay_alu instid0(VALU_DEP_2) | instskip(NEXT) | instid1(VALU_DEP_2)
	v_fmac_f32_e32 v1, v0, v6
	v_fmac_f32_e32 v13, v2, v97
	s_delay_alu instid0(VALU_DEP_2) | instskip(NEXT) | instid1(VALU_DEP_2)
	v_fmac_f32_e32 v1, v2, v5
	v_fmac_f32_e32 v13, v3, v96
	s_delay_alu instid0(VALU_DEP_2)
	v_fmac_f32_e32 v1, v3, v4
	scratch_load_b64 v[2:3], off, s32 offset:320 ; 8-byte Folded Reload
	v_add_f32_e32 v54, v54, v13
	v_add_f32_e32 v24, v24, v1
	s_waitcnt vmcnt(0)
	v_add_nc_u32_e32 v2, 4, v2
	s_delay_alu instid0(VALU_DEP_1)
	v_cmp_ge_i32_e32 vcc_lo, v2, v110
	v_mov_b32_e32 v0, v2
	s_or_b32 s5, vcc_lo, s5
	scratch_store_b64 off, v[0:1], s32 offset:320 ; 8-byte Folded Spill
	s_and_not1_b32 exec_lo, exec_lo, s5
	s_cbranch_execz .LBB277_1615
.LBB277_799:                            ; =>This Inner Loop Header: Depth=1
	flat_load_b32 v0, v[10:11]
	v_mov_b32_e32 v14, 0
	s_mov_b32 s0, exec_lo
	s_waitcnt vmcnt(0) lgkmcnt(0)
	v_mad_i64_i32 v[12:13], null, v0, v22, v[8:9]
	ds_load_b128 v[0:3], v67
	flat_load_b32 v69, v[12:13]
	s_waitcnt vmcnt(0) lgkmcnt(0)
	v_dual_mov_b32 v15, 0 :: v_dual_and_b32 v6, 0xff, v69
	s_delay_alu instid0(VALU_DEP_1) | instskip(NEXT) | instid1(VALU_DEP_2)
	v_dual_mov_b32 v4, v14 :: v_dual_mov_b32 v5, v15
	v_cmpx_ne_u16_e32 0, v6
	s_cbranch_execz .LBB277_807
; %bb.800:                              ;   in Loop: Header=BB277_799 Depth=1
	v_bfrev_b32_e32 v4, 1
	v_mov_b32_e32 v5, 0
	s_mov_b32 s10, exec_lo
	v_cmpx_ne_u16_e32 0x80, v6
	s_cbranch_execz .LBB277_806
; %bb.801:                              ;   in Loop: Header=BB277_799 Depth=1
	v_mov_b32_e32 v4, 0x7f800001
	v_dual_mov_b32 v5, 0 :: v_dual_and_b32 v16, 0x7f, v69
	s_mov_b32 s12, exec_lo
	s_delay_alu instid0(VALU_DEP_1)
	v_cmpx_ne_u32_e32 0x7f, v16
	s_cbranch_execz .LBB277_805
; %bb.802:                              ;   in Loop: Header=BB277_799 Depth=1
	v_and_b32_e32 v6, 7, v69
	v_lshrrev_b32_e32 v4, 3, v16
	s_mov_b32 s13, exec_lo
	v_cmpx_gt_u32_e32 8, v16
; %bb.803:                              ;   in Loop: Header=BB277_799 Depth=1
	s_delay_alu instid0(VALU_DEP_3) | instskip(NEXT) | instid1(VALU_DEP_1)
	v_clz_i32_u32_e32 v4, v6
	v_min_u32_e32 v4, 32, v4
	s_delay_alu instid0(VALU_DEP_1) | instskip(SKIP_1) | instid1(VALU_DEP_2)
	v_subrev_nc_u32_e32 v5, 28, v4
	v_sub_nc_u32_e32 v4, 29, v4
	v_lshlrev_b64 v[5:6], v5, v[6:7]
	s_delay_alu instid0(VALU_DEP_1)
	v_and_b32_e32 v6, 7, v5
; %bb.804:                              ;   in Loop: Header=BB277_799 Depth=1
	s_or_b32 exec_lo, exec_lo, s13
	v_lshlrev_b32_e32 v5, 24, v69
	s_delay_alu instid0(VALU_DEP_2) | instskip(SKIP_1) | instid1(VALU_DEP_3)
	v_lshlrev_b32_e32 v6, 20, v6
	v_lshl_add_u32 v4, v4, 23, 0x3c000000
	v_and_b32_e32 v5, 0x80000000, v5
	s_delay_alu instid0(VALU_DEP_1) | instskip(NEXT) | instid1(VALU_DEP_1)
	v_or3_b32 v6, v6, v5, v4
	v_dual_mov_b32 v4, v6 :: v_dual_mov_b32 v5, v7
.LBB277_805:                            ;   in Loop: Header=BB277_799 Depth=1
	s_or_b32 exec_lo, exec_lo, s12
.LBB277_806:                            ;   in Loop: Header=BB277_799 Depth=1
	s_delay_alu instid0(SALU_CYCLE_1)
	s_or_b32 exec_lo, exec_lo, s10
.LBB277_807:                            ;   in Loop: Header=BB277_799 Depth=1
	s_delay_alu instid0(SALU_CYCLE_1) | instskip(SKIP_2) | instid1(VALU_DEP_1)
	s_or_b32 exec_lo, exec_lo, s0
	v_lshrrev_b16 v6, 8, v69
	s_mov_b32 s0, exec_lo
	v_cmpx_ne_u16_e32 0, v6
	s_cbranch_execz .LBB277_815
; %bb.808:                              ;   in Loop: Header=BB277_799 Depth=1
	v_dual_mov_b32 v15, s9 :: v_dual_mov_b32 v14, s8
	s_mov_b32 s12, exec_lo
	v_cmpx_ne_u16_e32 0x80, v6
	s_cbranch_execz .LBB277_814
; %bb.809:                              ;   in Loop: Header=BB277_799 Depth=1
	s_mov_b32 s10, s8
	v_dual_mov_b32 v15, s11 :: v_dual_and_b32 v6, 0xffff, v6
	v_mov_b32_e32 v14, s10
	s_mov_b32 s10, exec_lo
	s_delay_alu instid0(VALU_DEP_2) | instskip(NEXT) | instid1(VALU_DEP_1)
	v_and_b32_e32 v16, 0x7f, v6
	v_cmpx_ne_u32_e32 0x7f, v16
	s_cbranch_execz .LBB277_813
; %bb.810:                              ;   in Loop: Header=BB277_799 Depth=1
	v_and_b32_e32 v6, 7, v6
	v_lshrrev_b32_e32 v14, 3, v16
	s_mov_b32 s13, exec_lo
	v_cmpx_gt_u32_e32 8, v16
; %bb.811:                              ;   in Loop: Header=BB277_799 Depth=1
	s_delay_alu instid0(VALU_DEP_3) | instskip(NEXT) | instid1(VALU_DEP_1)
	v_clz_i32_u32_e32 v14, v6
	v_min_u32_e32 v14, 32, v14
	s_delay_alu instid0(VALU_DEP_1) | instskip(SKIP_1) | instid1(VALU_DEP_2)
	v_subrev_nc_u32_e32 v15, 28, v14
	v_sub_nc_u32_e32 v14, 29, v14
	v_lshlrev_b64 v[15:16], v15, v[6:7]
	s_delay_alu instid0(VALU_DEP_1)
	v_and_b32_e32 v6, 7, v15
; %bb.812:                              ;   in Loop: Header=BB277_799 Depth=1
	s_or_b32 exec_lo, exec_lo, s13
	v_lshlrev_b32_e32 v15, 16, v69
	s_delay_alu instid0(VALU_DEP_2) | instskip(SKIP_1) | instid1(VALU_DEP_3)
	v_lshlrev_b32_e32 v6, 20, v6
	v_lshl_add_u32 v14, v14, 23, 0x3c000000
	v_and_b32_e32 v15, 0x80000000, v15
	s_delay_alu instid0(VALU_DEP_1)
	v_or3_b32 v15, v6, v15, v14
	v_mov_b32_e32 v14, v7
.LBB277_813:                            ;   in Loop: Header=BB277_799 Depth=1
	s_or_b32 exec_lo, exec_lo, s10
.LBB277_814:                            ;   in Loop: Header=BB277_799 Depth=1
	s_delay_alu instid0(SALU_CYCLE_1)
	s_or_b32 exec_lo, exec_lo, s12
.LBB277_815:                            ;   in Loop: Header=BB277_799 Depth=1
	s_delay_alu instid0(SALU_CYCLE_1) | instskip(SKIP_4) | instid1(VALU_DEP_2)
	s_or_b32 exec_lo, exec_lo, s0
	v_mov_b32_e32 v18, 0
	v_lshrrev_b32_e32 v70, 16, v69
	v_mov_b32_e32 v19, 0
	s_mov_b32 s0, exec_lo
	v_and_b32_e32 v6, 0xff, v70
	s_delay_alu instid0(VALU_DEP_2) | instskip(NEXT) | instid1(VALU_DEP_2)
	v_dual_mov_b32 v16, v18 :: v_dual_mov_b32 v17, v19
	v_cmpx_ne_u16_e32 0, v6
	s_cbranch_execz .LBB277_823
; %bb.816:                              ;   in Loop: Header=BB277_799 Depth=1
	v_bfrev_b32_e32 v16, 1
	v_mov_b32_e32 v17, 0
	s_mov_b32 s10, exec_lo
	v_cmpx_ne_u16_e32 0x80, v6
	s_cbranch_execz .LBB277_822
; %bb.817:                              ;   in Loop: Header=BB277_799 Depth=1
	v_mov_b32_e32 v16, 0x7f800001
	v_bfe_u32 v71, v69, 16, 7
	v_mov_b32_e32 v17, 0
	s_mov_b32 s12, exec_lo
	s_delay_alu instid0(VALU_DEP_2)
	v_cmpx_ne_u32_e32 0x7f, v71
	s_cbranch_execz .LBB277_821
; %bb.818:                              ;   in Loop: Header=BB277_799 Depth=1
	v_and_b32_e32 v6, 7, v70
	v_lshrrev_b32_e32 v16, 3, v71
	s_mov_b32 s13, exec_lo
	v_cmpx_gt_u32_e32 8, v71
; %bb.819:                              ;   in Loop: Header=BB277_799 Depth=1
	s_delay_alu instid0(VALU_DEP_3) | instskip(NEXT) | instid1(VALU_DEP_1)
	v_clz_i32_u32_e32 v16, v6
	v_min_u32_e32 v16, 32, v16
	s_delay_alu instid0(VALU_DEP_1) | instskip(SKIP_1) | instid1(VALU_DEP_2)
	v_subrev_nc_u32_e32 v17, 28, v16
	v_sub_nc_u32_e32 v16, 29, v16
	v_lshlrev_b64 v[80:81], v17, v[6:7]
	s_delay_alu instid0(VALU_DEP_1)
	v_and_b32_e32 v6, 7, v80
; %bb.820:                              ;   in Loop: Header=BB277_799 Depth=1
	s_or_b32 exec_lo, exec_lo, s13
	v_lshlrev_b32_e32 v17, 24, v70
	s_delay_alu instid0(VALU_DEP_2) | instskip(SKIP_1) | instid1(VALU_DEP_3)
	v_lshlrev_b32_e32 v6, 20, v6
	v_lshl_add_u32 v16, v16, 23, 0x3c000000
	v_and_b32_e32 v17, 0x80000000, v17
	s_delay_alu instid0(VALU_DEP_1) | instskip(NEXT) | instid1(VALU_DEP_1)
	v_or3_b32 v6, v6, v17, v16
	v_dual_mov_b32 v17, v7 :: v_dual_mov_b32 v16, v6
.LBB277_821:                            ;   in Loop: Header=BB277_799 Depth=1
	s_or_b32 exec_lo, exec_lo, s12
.LBB277_822:                            ;   in Loop: Header=BB277_799 Depth=1
	s_delay_alu instid0(SALU_CYCLE_1)
	s_or_b32 exec_lo, exec_lo, s10
.LBB277_823:                            ;   in Loop: Header=BB277_799 Depth=1
	s_delay_alu instid0(SALU_CYCLE_1) | instskip(NEXT) | instid1(SALU_CYCLE_1)
	s_or_b32 exec_lo, exec_lo, s0
	s_mov_b32 s0, exec_lo
	v_cmpx_lt_u32_e32 0xffffff, v69
	s_cbranch_execz .LBB277_831
; %bb.824:                              ;   in Loop: Header=BB277_799 Depth=1
	v_lshrrev_b32_e32 v70, 24, v69
	v_dual_mov_b32 v19, s9 :: v_dual_mov_b32 v18, s8
	s_mov_b32 s12, exec_lo
	s_delay_alu instid0(VALU_DEP_2)
	v_cmpx_ne_u32_e32 0x80, v70
	s_cbranch_execz .LBB277_830
; %bb.825:                              ;   in Loop: Header=BB277_799 Depth=1
	s_mov_b32 s10, s8
	v_bfe_u32 v69, v69, 24, 7
	v_dual_mov_b32 v19, s11 :: v_dual_mov_b32 v18, s10
	s_mov_b32 s10, exec_lo
	s_delay_alu instid0(VALU_DEP_2)
	v_cmpx_ne_u32_e32 0x7f, v69
	s_cbranch_execz .LBB277_829
; %bb.826:                              ;   in Loop: Header=BB277_799 Depth=1
	v_and_b32_e32 v6, 7, v70
	v_lshrrev_b32_e32 v18, 3, v69
	s_mov_b32 s13, exec_lo
	v_cmpx_gt_u32_e32 8, v69
; %bb.827:                              ;   in Loop: Header=BB277_799 Depth=1
	s_delay_alu instid0(VALU_DEP_3) | instskip(NEXT) | instid1(VALU_DEP_1)
	v_clz_i32_u32_e32 v18, v6
	v_min_u32_e32 v18, 32, v18
	s_delay_alu instid0(VALU_DEP_1) | instskip(SKIP_1) | instid1(VALU_DEP_2)
	v_subrev_nc_u32_e32 v19, 28, v18
	v_sub_nc_u32_e32 v18, 29, v18
	v_lshlrev_b64 v[80:81], v19, v[6:7]
	s_delay_alu instid0(VALU_DEP_1)
	v_and_b32_e32 v6, 7, v80
; %bb.828:                              ;   in Loop: Header=BB277_799 Depth=1
	s_or_b32 exec_lo, exec_lo, s13
	v_lshlrev_b32_e32 v19, 24, v70
	s_delay_alu instid0(VALU_DEP_2) | instskip(SKIP_1) | instid1(VALU_DEP_3)
	v_lshlrev_b32_e32 v6, 20, v6
	v_lshl_add_u32 v18, v18, 23, 0x3c000000
	v_and_b32_e32 v19, 0x80000000, v19
	s_delay_alu instid0(VALU_DEP_1)
	v_or3_b32 v19, v6, v19, v18
	v_mov_b32_e32 v18, v7
.LBB277_829:                            ;   in Loop: Header=BB277_799 Depth=1
	s_or_b32 exec_lo, exec_lo, s10
.LBB277_830:                            ;   in Loop: Header=BB277_799 Depth=1
	s_delay_alu instid0(SALU_CYCLE_1)
	s_or_b32 exec_lo, exec_lo, s12
.LBB277_831:                            ;   in Loop: Header=BB277_799 Depth=1
	s_delay_alu instid0(SALU_CYCLE_1)
	s_or_b32 exec_lo, exec_lo, s0
	v_or_b32_e32 v5, v15, v5
	v_or_b32_e32 v4, v14, v4
	v_or_b32_e32 v14, v18, v16
	scratch_load_b64 v[15:16], off, s32 offset:320 ; 8-byte Folded Reload
	v_or_b32_e32 v6, v19, v17
	v_dual_mul_f32 v80, v68, v5 :: v_dual_add_nc_u32 v81, -3, v66
	v_dual_mul_f32 v71, v64, v4 :: v_dual_add_nc_u32 v82, -1, v66
	s_delay_alu instid0(VALU_DEP_3)
	v_mul_f32_e32 v69, v68, v6
	v_mul_f32_e32 v70, v64, v14
	v_add_nc_u32_e32 v83, -2, v66
	s_waitcnt vmcnt(0)
	v_cmp_eq_u32_e32 vcc_lo, v65, v15
	s_and_saveexec_b32 s10, vcc_lo
; %bb.832:                              ;   in Loop: Header=BB277_799 Depth=1
	v_cmp_lt_i32_e64 s0, v81, v88
	s_delay_alu instid0(VALU_DEP_1) | instskip(SKIP_1) | instid1(VALU_DEP_1)
	v_cndmask_b32_e64 v71, 0, v71, s0
	v_cmp_lt_i32_e64 s0, v83, v88
	v_cndmask_b32_e64 v80, 0, v80, s0
	v_cmp_lt_i32_e64 s0, v82, v88
	s_delay_alu instid0(VALU_DEP_1) | instskip(SKIP_1) | instid1(VALU_DEP_1)
	v_cndmask_b32_e64 v70, 0, v70, s0
	v_cmp_lt_i32_e64 s0, v66, v88
	v_cndmask_b32_e64 v69, 0, v69, s0
; %bb.833:                              ;   in Loop: Header=BB277_799 Depth=1
	s_or_b32 exec_lo, exec_lo, s10
	flat_load_b32 v84, v[12:13] offset:128
	v_mov_b32_e32 v14, 0
	v_mov_b32_e32 v15, 0
	s_mov_b32 s10, exec_lo
	s_waitcnt vmcnt(0) lgkmcnt(0)
	v_and_b32_e32 v6, 0xff, v84
	s_delay_alu instid0(VALU_DEP_2) | instskip(NEXT) | instid1(VALU_DEP_2)
	v_dual_mov_b32 v4, v14 :: v_dual_mov_b32 v5, v15
	v_cmpx_ne_u16_e32 0, v6
	s_cbranch_execz .LBB277_841
; %bb.834:                              ;   in Loop: Header=BB277_799 Depth=1
	v_bfrev_b32_e32 v4, 1
	v_mov_b32_e32 v5, 0
	s_mov_b32 s12, exec_lo
	v_cmpx_ne_u16_e32 0x80, v6
	s_cbranch_execz .LBB277_840
; %bb.835:                              ;   in Loop: Header=BB277_799 Depth=1
	v_mov_b32_e32 v4, 0x7f800001
	v_dual_mov_b32 v5, 0 :: v_dual_and_b32 v16, 0x7f, v84
	s_mov_b32 s13, exec_lo
	s_delay_alu instid0(VALU_DEP_1)
	v_cmpx_ne_u32_e32 0x7f, v16
	s_cbranch_execz .LBB277_839
; %bb.836:                              ;   in Loop: Header=BB277_799 Depth=1
	v_and_b32_e32 v6, 7, v84
	v_lshrrev_b32_e32 v4, 3, v16
	s_mov_b32 s15, exec_lo
	v_cmpx_gt_u32_e32 8, v16
; %bb.837:                              ;   in Loop: Header=BB277_799 Depth=1
	s_delay_alu instid0(VALU_DEP_3) | instskip(NEXT) | instid1(VALU_DEP_1)
	v_clz_i32_u32_e32 v4, v6
	v_min_u32_e32 v4, 32, v4
	s_delay_alu instid0(VALU_DEP_1) | instskip(SKIP_1) | instid1(VALU_DEP_2)
	v_subrev_nc_u32_e32 v5, 28, v4
	v_sub_nc_u32_e32 v4, 29, v4
	v_lshlrev_b64 v[5:6], v5, v[6:7]
	s_delay_alu instid0(VALU_DEP_1)
	v_and_b32_e32 v6, 7, v5
; %bb.838:                              ;   in Loop: Header=BB277_799 Depth=1
	s_or_b32 exec_lo, exec_lo, s15
	v_lshlrev_b32_e32 v5, 24, v84
	s_delay_alu instid0(VALU_DEP_2) | instskip(SKIP_1) | instid1(VALU_DEP_3)
	v_lshlrev_b32_e32 v6, 20, v6
	v_lshl_add_u32 v4, v4, 23, 0x3c000000
	v_and_b32_e32 v5, 0x80000000, v5
	s_delay_alu instid0(VALU_DEP_1) | instskip(NEXT) | instid1(VALU_DEP_1)
	v_or3_b32 v6, v6, v5, v4
	v_dual_mov_b32 v4, v6 :: v_dual_mov_b32 v5, v7
.LBB277_839:                            ;   in Loop: Header=BB277_799 Depth=1
	s_or_b32 exec_lo, exec_lo, s13
.LBB277_840:                            ;   in Loop: Header=BB277_799 Depth=1
	s_delay_alu instid0(SALU_CYCLE_1)
	s_or_b32 exec_lo, exec_lo, s12
.LBB277_841:                            ;   in Loop: Header=BB277_799 Depth=1
	s_delay_alu instid0(SALU_CYCLE_1) | instskip(SKIP_2) | instid1(VALU_DEP_1)
	s_or_b32 exec_lo, exec_lo, s10
	v_lshrrev_b16 v6, 8, v84
	s_mov_b32 s12, exec_lo
	v_cmpx_ne_u16_e32 0, v6
	s_cbranch_execz .LBB277_849
; %bb.842:                              ;   in Loop: Header=BB277_799 Depth=1
	v_dual_mov_b32 v15, s9 :: v_dual_mov_b32 v14, s8
	s_mov_b32 s13, exec_lo
	v_cmpx_ne_u16_e32 0x80, v6
	s_cbranch_execz .LBB277_848
; %bb.843:                              ;   in Loop: Header=BB277_799 Depth=1
	s_mov_b32 s10, s8
	v_dual_mov_b32 v15, s11 :: v_dual_and_b32 v6, 0xffff, v6
	v_mov_b32_e32 v14, s10
	s_mov_b32 s10, exec_lo
	s_delay_alu instid0(VALU_DEP_2) | instskip(NEXT) | instid1(VALU_DEP_1)
	v_and_b32_e32 v16, 0x7f, v6
	v_cmpx_ne_u32_e32 0x7f, v16
	s_cbranch_execz .LBB277_847
; %bb.844:                              ;   in Loop: Header=BB277_799 Depth=1
	v_and_b32_e32 v6, 7, v6
	v_lshrrev_b32_e32 v14, 3, v16
	s_mov_b32 s15, exec_lo
	v_cmpx_gt_u32_e32 8, v16
; %bb.845:                              ;   in Loop: Header=BB277_799 Depth=1
	s_delay_alu instid0(VALU_DEP_3) | instskip(NEXT) | instid1(VALU_DEP_1)
	v_clz_i32_u32_e32 v14, v6
	v_min_u32_e32 v14, 32, v14
	s_delay_alu instid0(VALU_DEP_1) | instskip(SKIP_1) | instid1(VALU_DEP_2)
	v_subrev_nc_u32_e32 v15, 28, v14
	v_sub_nc_u32_e32 v14, 29, v14
	v_lshlrev_b64 v[15:16], v15, v[6:7]
	s_delay_alu instid0(VALU_DEP_1)
	v_and_b32_e32 v6, 7, v15
; %bb.846:                              ;   in Loop: Header=BB277_799 Depth=1
	s_or_b32 exec_lo, exec_lo, s15
	v_lshlrev_b32_e32 v15, 16, v84
	s_delay_alu instid0(VALU_DEP_2) | instskip(SKIP_1) | instid1(VALU_DEP_3)
	v_lshlrev_b32_e32 v6, 20, v6
	v_lshl_add_u32 v14, v14, 23, 0x3c000000
	v_and_b32_e32 v15, 0x80000000, v15
	s_delay_alu instid0(VALU_DEP_1)
	v_or3_b32 v15, v6, v15, v14
	v_mov_b32_e32 v14, v7
.LBB277_847:                            ;   in Loop: Header=BB277_799 Depth=1
	s_or_b32 exec_lo, exec_lo, s10
.LBB277_848:                            ;   in Loop: Header=BB277_799 Depth=1
	s_delay_alu instid0(SALU_CYCLE_1)
	s_or_b32 exec_lo, exec_lo, s13
.LBB277_849:                            ;   in Loop: Header=BB277_799 Depth=1
	s_delay_alu instid0(SALU_CYCLE_1) | instskip(SKIP_4) | instid1(VALU_DEP_2)
	s_or_b32 exec_lo, exec_lo, s12
	v_mov_b32_e32 v18, 0
	v_lshrrev_b32_e32 v85, 16, v84
	v_mov_b32_e32 v19, 0
	s_mov_b32 s10, exec_lo
	v_and_b32_e32 v6, 0xff, v85
	s_delay_alu instid0(VALU_DEP_2) | instskip(NEXT) | instid1(VALU_DEP_2)
	v_dual_mov_b32 v16, v18 :: v_dual_mov_b32 v17, v19
	v_cmpx_ne_u16_e32 0, v6
	s_cbranch_execz .LBB277_857
; %bb.850:                              ;   in Loop: Header=BB277_799 Depth=1
	v_bfrev_b32_e32 v16, 1
	v_mov_b32_e32 v17, 0
	s_mov_b32 s12, exec_lo
	v_cmpx_ne_u16_e32 0x80, v6
	s_cbranch_execz .LBB277_856
; %bb.851:                              ;   in Loop: Header=BB277_799 Depth=1
	v_mov_b32_e32 v16, 0x7f800001
	v_bfe_u32 v86, v84, 16, 7
	v_mov_b32_e32 v17, 0
	s_mov_b32 s13, exec_lo
	s_delay_alu instid0(VALU_DEP_2)
	v_cmpx_ne_u32_e32 0x7f, v86
	s_cbranch_execz .LBB277_855
; %bb.852:                              ;   in Loop: Header=BB277_799 Depth=1
	v_and_b32_e32 v6, 7, v85
	v_lshrrev_b32_e32 v16, 3, v86
	s_mov_b32 s15, exec_lo
	v_cmpx_gt_u32_e32 8, v86
; %bb.853:                              ;   in Loop: Header=BB277_799 Depth=1
	s_delay_alu instid0(VALU_DEP_3) | instskip(NEXT) | instid1(VALU_DEP_1)
	v_clz_i32_u32_e32 v16, v6
	v_min_u32_e32 v16, 32, v16
	s_delay_alu instid0(VALU_DEP_1) | instskip(SKIP_1) | instid1(VALU_DEP_2)
	v_subrev_nc_u32_e32 v17, 28, v16
	v_sub_nc_u32_e32 v16, 29, v16
	v_lshlrev_b64 v[86:87], v17, v[6:7]
	s_delay_alu instid0(VALU_DEP_1)
	v_and_b32_e32 v6, 7, v86
; %bb.854:                              ;   in Loop: Header=BB277_799 Depth=1
	s_or_b32 exec_lo, exec_lo, s15
	v_lshlrev_b32_e32 v17, 24, v85
	s_delay_alu instid0(VALU_DEP_2) | instskip(SKIP_1) | instid1(VALU_DEP_3)
	v_lshlrev_b32_e32 v6, 20, v6
	v_lshl_add_u32 v16, v16, 23, 0x3c000000
	v_and_b32_e32 v17, 0x80000000, v17
	s_delay_alu instid0(VALU_DEP_1) | instskip(NEXT) | instid1(VALU_DEP_1)
	v_or3_b32 v6, v6, v17, v16
	v_dual_mov_b32 v17, v7 :: v_dual_mov_b32 v16, v6
.LBB277_855:                            ;   in Loop: Header=BB277_799 Depth=1
	s_or_b32 exec_lo, exec_lo, s13
.LBB277_856:                            ;   in Loop: Header=BB277_799 Depth=1
	s_delay_alu instid0(SALU_CYCLE_1)
	s_or_b32 exec_lo, exec_lo, s12
.LBB277_857:                            ;   in Loop: Header=BB277_799 Depth=1
	s_delay_alu instid0(SALU_CYCLE_1) | instskip(NEXT) | instid1(SALU_CYCLE_1)
	s_or_b32 exec_lo, exec_lo, s10
	s_mov_b32 s12, exec_lo
	v_cmpx_lt_u32_e32 0xffffff, v84
	s_cbranch_execz .LBB277_865
; %bb.858:                              ;   in Loop: Header=BB277_799 Depth=1
	v_lshrrev_b32_e32 v85, 24, v84
	v_dual_mov_b32 v19, s9 :: v_dual_mov_b32 v18, s8
	s_mov_b32 s13, exec_lo
	s_delay_alu instid0(VALU_DEP_2)
	v_cmpx_ne_u32_e32 0x80, v85
	s_cbranch_execz .LBB277_864
; %bb.859:                              ;   in Loop: Header=BB277_799 Depth=1
	s_mov_b32 s10, s8
	v_bfe_u32 v84, v84, 24, 7
	v_dual_mov_b32 v19, s11 :: v_dual_mov_b32 v18, s10
	s_mov_b32 s10, exec_lo
	s_delay_alu instid0(VALU_DEP_2)
	v_cmpx_ne_u32_e32 0x7f, v84
	s_cbranch_execz .LBB277_863
; %bb.860:                              ;   in Loop: Header=BB277_799 Depth=1
	v_and_b32_e32 v6, 7, v85
	v_lshrrev_b32_e32 v18, 3, v84
	s_mov_b32 s15, exec_lo
	v_cmpx_gt_u32_e32 8, v84
; %bb.861:                              ;   in Loop: Header=BB277_799 Depth=1
	s_delay_alu instid0(VALU_DEP_3) | instskip(NEXT) | instid1(VALU_DEP_1)
	v_clz_i32_u32_e32 v18, v6
	v_min_u32_e32 v18, 32, v18
	s_delay_alu instid0(VALU_DEP_1) | instskip(SKIP_1) | instid1(VALU_DEP_2)
	v_subrev_nc_u32_e32 v19, 28, v18
	v_sub_nc_u32_e32 v18, 29, v18
	v_lshlrev_b64 v[86:87], v19, v[6:7]
	s_delay_alu instid0(VALU_DEP_1)
	v_and_b32_e32 v6, 7, v86
; %bb.862:                              ;   in Loop: Header=BB277_799 Depth=1
	s_or_b32 exec_lo, exec_lo, s15
	v_lshlrev_b32_e32 v19, 24, v85
	s_delay_alu instid0(VALU_DEP_2) | instskip(SKIP_1) | instid1(VALU_DEP_3)
	v_lshlrev_b32_e32 v6, 20, v6
	v_lshl_add_u32 v18, v18, 23, 0x3c000000
	v_and_b32_e32 v19, 0x80000000, v19
	s_delay_alu instid0(VALU_DEP_1)
	v_or3_b32 v19, v6, v19, v18
	v_mov_b32_e32 v18, v7
.LBB277_863:                            ;   in Loop: Header=BB277_799 Depth=1
	s_or_b32 exec_lo, exec_lo, s10
.LBB277_864:                            ;   in Loop: Header=BB277_799 Depth=1
	s_delay_alu instid0(SALU_CYCLE_1)
	s_or_b32 exec_lo, exec_lo, s13
.LBB277_865:                            ;   in Loop: Header=BB277_799 Depth=1
	s_delay_alu instid0(SALU_CYCLE_1) | instskip(SKIP_4) | instid1(VALU_DEP_4)
	s_or_b32 exec_lo, exec_lo, s12
	v_or_b32_e32 v5, v15, v5
	v_or_b32_e32 v4, v14, v4
	;; [unrolled: 1-line block ×4, first 2 shown]
	v_mul_f32_e32 v87, v68, v5
	s_delay_alu instid0(VALU_DEP_4) | instskip(NEXT) | instid1(VALU_DEP_4)
	v_mul_f32_e32 v86, v64, v4
	v_mul_f32_e32 v84, v68, v6
	s_delay_alu instid0(VALU_DEP_4)
	v_mul_f32_e32 v85, v64, v14
	s_and_saveexec_b32 s10, vcc_lo
; %bb.866:                              ;   in Loop: Header=BB277_799 Depth=1
	v_cmp_lt_i32_e64 s0, v81, v88
	s_delay_alu instid0(VALU_DEP_1) | instskip(SKIP_1) | instid1(VALU_DEP_1)
	v_cndmask_b32_e64 v86, 0, v86, s0
	v_cmp_lt_i32_e64 s0, v83, v88
	v_cndmask_b32_e64 v87, 0, v87, s0
	v_cmp_lt_i32_e64 s0, v82, v88
	s_delay_alu instid0(VALU_DEP_1) | instskip(SKIP_1) | instid1(VALU_DEP_1)
	v_cndmask_b32_e64 v85, 0, v85, s0
	v_cmp_lt_i32_e64 s0, v66, v88
	v_cndmask_b32_e64 v84, 0, v84, s0
; %bb.867:                              ;   in Loop: Header=BB277_799 Depth=1
	s_or_b32 exec_lo, exec_lo, s10
	flat_load_b32 v96, v[12:13] offset:256
	v_mov_b32_e32 v14, 0
	v_mov_b32_e32 v15, 0
	s_mov_b32 s10, exec_lo
	s_waitcnt vmcnt(0) lgkmcnt(0)
	v_and_b32_e32 v6, 0xff, v96
	s_delay_alu instid0(VALU_DEP_2) | instskip(NEXT) | instid1(VALU_DEP_2)
	v_dual_mov_b32 v4, v14 :: v_dual_mov_b32 v5, v15
	v_cmpx_ne_u16_e32 0, v6
	s_cbranch_execz .LBB277_875
; %bb.868:                              ;   in Loop: Header=BB277_799 Depth=1
	v_bfrev_b32_e32 v4, 1
	v_mov_b32_e32 v5, 0
	s_mov_b32 s12, exec_lo
	v_cmpx_ne_u16_e32 0x80, v6
	s_cbranch_execz .LBB277_874
; %bb.869:                              ;   in Loop: Header=BB277_799 Depth=1
	v_mov_b32_e32 v4, 0x7f800001
	v_dual_mov_b32 v5, 0 :: v_dual_and_b32 v16, 0x7f, v96
	s_mov_b32 s13, exec_lo
	s_delay_alu instid0(VALU_DEP_1)
	v_cmpx_ne_u32_e32 0x7f, v16
	s_cbranch_execz .LBB277_873
; %bb.870:                              ;   in Loop: Header=BB277_799 Depth=1
	v_and_b32_e32 v6, 7, v96
	v_lshrrev_b32_e32 v4, 3, v16
	s_mov_b32 s15, exec_lo
	v_cmpx_gt_u32_e32 8, v16
; %bb.871:                              ;   in Loop: Header=BB277_799 Depth=1
	s_delay_alu instid0(VALU_DEP_3) | instskip(NEXT) | instid1(VALU_DEP_1)
	v_clz_i32_u32_e32 v4, v6
	v_min_u32_e32 v4, 32, v4
	s_delay_alu instid0(VALU_DEP_1) | instskip(SKIP_1) | instid1(VALU_DEP_2)
	v_subrev_nc_u32_e32 v5, 28, v4
	v_sub_nc_u32_e32 v4, 29, v4
	v_lshlrev_b64 v[5:6], v5, v[6:7]
	s_delay_alu instid0(VALU_DEP_1)
	v_and_b32_e32 v6, 7, v5
; %bb.872:                              ;   in Loop: Header=BB277_799 Depth=1
	s_or_b32 exec_lo, exec_lo, s15
	v_lshlrev_b32_e32 v5, 24, v96
	s_delay_alu instid0(VALU_DEP_2) | instskip(SKIP_1) | instid1(VALU_DEP_3)
	v_lshlrev_b32_e32 v6, 20, v6
	v_lshl_add_u32 v4, v4, 23, 0x3c000000
	v_and_b32_e32 v5, 0x80000000, v5
	s_delay_alu instid0(VALU_DEP_1) | instskip(NEXT) | instid1(VALU_DEP_1)
	v_or3_b32 v6, v6, v5, v4
	v_dual_mov_b32 v4, v6 :: v_dual_mov_b32 v5, v7
.LBB277_873:                            ;   in Loop: Header=BB277_799 Depth=1
	s_or_b32 exec_lo, exec_lo, s13
.LBB277_874:                            ;   in Loop: Header=BB277_799 Depth=1
	s_delay_alu instid0(SALU_CYCLE_1)
	s_or_b32 exec_lo, exec_lo, s12
.LBB277_875:                            ;   in Loop: Header=BB277_799 Depth=1
	s_delay_alu instid0(SALU_CYCLE_1) | instskip(SKIP_2) | instid1(VALU_DEP_1)
	s_or_b32 exec_lo, exec_lo, s10
	v_lshrrev_b16 v6, 8, v96
	s_mov_b32 s12, exec_lo
	v_cmpx_ne_u16_e32 0, v6
	s_cbranch_execz .LBB277_883
; %bb.876:                              ;   in Loop: Header=BB277_799 Depth=1
	v_dual_mov_b32 v15, s9 :: v_dual_mov_b32 v14, s8
	s_mov_b32 s13, exec_lo
	v_cmpx_ne_u16_e32 0x80, v6
	s_cbranch_execz .LBB277_882
; %bb.877:                              ;   in Loop: Header=BB277_799 Depth=1
	s_mov_b32 s10, s8
	v_dual_mov_b32 v15, s11 :: v_dual_and_b32 v6, 0xffff, v6
	v_mov_b32_e32 v14, s10
	s_mov_b32 s10, exec_lo
	s_delay_alu instid0(VALU_DEP_2) | instskip(NEXT) | instid1(VALU_DEP_1)
	v_and_b32_e32 v16, 0x7f, v6
	v_cmpx_ne_u32_e32 0x7f, v16
	s_cbranch_execz .LBB277_881
; %bb.878:                              ;   in Loop: Header=BB277_799 Depth=1
	v_and_b32_e32 v6, 7, v6
	v_lshrrev_b32_e32 v14, 3, v16
	s_mov_b32 s15, exec_lo
	v_cmpx_gt_u32_e32 8, v16
; %bb.879:                              ;   in Loop: Header=BB277_799 Depth=1
	s_delay_alu instid0(VALU_DEP_3) | instskip(NEXT) | instid1(VALU_DEP_1)
	v_clz_i32_u32_e32 v14, v6
	v_min_u32_e32 v14, 32, v14
	s_delay_alu instid0(VALU_DEP_1) | instskip(SKIP_1) | instid1(VALU_DEP_2)
	v_subrev_nc_u32_e32 v15, 28, v14
	v_sub_nc_u32_e32 v14, 29, v14
	v_lshlrev_b64 v[15:16], v15, v[6:7]
	s_delay_alu instid0(VALU_DEP_1)
	v_and_b32_e32 v6, 7, v15
; %bb.880:                              ;   in Loop: Header=BB277_799 Depth=1
	s_or_b32 exec_lo, exec_lo, s15
	v_lshlrev_b32_e32 v15, 16, v96
	s_delay_alu instid0(VALU_DEP_2) | instskip(SKIP_1) | instid1(VALU_DEP_3)
	v_lshlrev_b32_e32 v6, 20, v6
	v_lshl_add_u32 v14, v14, 23, 0x3c000000
	v_and_b32_e32 v15, 0x80000000, v15
	s_delay_alu instid0(VALU_DEP_1)
	v_or3_b32 v15, v6, v15, v14
	v_mov_b32_e32 v14, v7
.LBB277_881:                            ;   in Loop: Header=BB277_799 Depth=1
	s_or_b32 exec_lo, exec_lo, s10
.LBB277_882:                            ;   in Loop: Header=BB277_799 Depth=1
	s_delay_alu instid0(SALU_CYCLE_1)
	s_or_b32 exec_lo, exec_lo, s13
.LBB277_883:                            ;   in Loop: Header=BB277_799 Depth=1
	s_delay_alu instid0(SALU_CYCLE_1) | instskip(SKIP_4) | instid1(VALU_DEP_2)
	s_or_b32 exec_lo, exec_lo, s12
	v_mov_b32_e32 v18, 0
	v_lshrrev_b32_e32 v97, 16, v96
	v_mov_b32_e32 v19, 0
	s_mov_b32 s10, exec_lo
	v_and_b32_e32 v6, 0xff, v97
	s_delay_alu instid0(VALU_DEP_2) | instskip(NEXT) | instid1(VALU_DEP_2)
	v_dual_mov_b32 v16, v18 :: v_dual_mov_b32 v17, v19
	v_cmpx_ne_u16_e32 0, v6
	s_cbranch_execz .LBB277_891
; %bb.884:                              ;   in Loop: Header=BB277_799 Depth=1
	v_bfrev_b32_e32 v16, 1
	v_mov_b32_e32 v17, 0
	s_mov_b32 s12, exec_lo
	v_cmpx_ne_u16_e32 0x80, v6
	s_cbranch_execz .LBB277_890
; %bb.885:                              ;   in Loop: Header=BB277_799 Depth=1
	v_mov_b32_e32 v16, 0x7f800001
	v_bfe_u32 v98, v96, 16, 7
	v_mov_b32_e32 v17, 0
	s_mov_b32 s13, exec_lo
	s_delay_alu instid0(VALU_DEP_2)
	v_cmpx_ne_u32_e32 0x7f, v98
	s_cbranch_execz .LBB277_889
; %bb.886:                              ;   in Loop: Header=BB277_799 Depth=1
	v_and_b32_e32 v6, 7, v97
	v_lshrrev_b32_e32 v16, 3, v98
	s_mov_b32 s15, exec_lo
	v_cmpx_gt_u32_e32 8, v98
; %bb.887:                              ;   in Loop: Header=BB277_799 Depth=1
	s_delay_alu instid0(VALU_DEP_3) | instskip(NEXT) | instid1(VALU_DEP_1)
	v_clz_i32_u32_e32 v16, v6
	v_min_u32_e32 v16, 32, v16
	s_delay_alu instid0(VALU_DEP_1) | instskip(SKIP_1) | instid1(VALU_DEP_2)
	v_subrev_nc_u32_e32 v17, 28, v16
	v_sub_nc_u32_e32 v16, 29, v16
	v_lshlrev_b64 v[98:99], v17, v[6:7]
	s_delay_alu instid0(VALU_DEP_1)
	v_and_b32_e32 v6, 7, v98
; %bb.888:                              ;   in Loop: Header=BB277_799 Depth=1
	s_or_b32 exec_lo, exec_lo, s15
	v_lshlrev_b32_e32 v17, 24, v97
	s_delay_alu instid0(VALU_DEP_2) | instskip(SKIP_1) | instid1(VALU_DEP_3)
	v_lshlrev_b32_e32 v6, 20, v6
	v_lshl_add_u32 v16, v16, 23, 0x3c000000
	v_and_b32_e32 v17, 0x80000000, v17
	s_delay_alu instid0(VALU_DEP_1) | instskip(NEXT) | instid1(VALU_DEP_1)
	v_or3_b32 v6, v6, v17, v16
	v_dual_mov_b32 v17, v7 :: v_dual_mov_b32 v16, v6
.LBB277_889:                            ;   in Loop: Header=BB277_799 Depth=1
	s_or_b32 exec_lo, exec_lo, s13
.LBB277_890:                            ;   in Loop: Header=BB277_799 Depth=1
	s_delay_alu instid0(SALU_CYCLE_1)
	s_or_b32 exec_lo, exec_lo, s12
.LBB277_891:                            ;   in Loop: Header=BB277_799 Depth=1
	s_delay_alu instid0(SALU_CYCLE_1) | instskip(NEXT) | instid1(SALU_CYCLE_1)
	s_or_b32 exec_lo, exec_lo, s10
	s_mov_b32 s12, exec_lo
	v_cmpx_lt_u32_e32 0xffffff, v96
	s_cbranch_execz .LBB277_899
; %bb.892:                              ;   in Loop: Header=BB277_799 Depth=1
	v_lshrrev_b32_e32 v97, 24, v96
	v_dual_mov_b32 v19, s9 :: v_dual_mov_b32 v18, s8
	s_mov_b32 s13, exec_lo
	s_delay_alu instid0(VALU_DEP_2)
	v_cmpx_ne_u32_e32 0x80, v97
	s_cbranch_execz .LBB277_898
; %bb.893:                              ;   in Loop: Header=BB277_799 Depth=1
	s_mov_b32 s10, s8
	v_bfe_u32 v96, v96, 24, 7
	v_dual_mov_b32 v19, s11 :: v_dual_mov_b32 v18, s10
	s_mov_b32 s10, exec_lo
	s_delay_alu instid0(VALU_DEP_2)
	v_cmpx_ne_u32_e32 0x7f, v96
	s_cbranch_execz .LBB277_897
; %bb.894:                              ;   in Loop: Header=BB277_799 Depth=1
	v_and_b32_e32 v6, 7, v97
	v_lshrrev_b32_e32 v18, 3, v96
	s_mov_b32 s15, exec_lo
	v_cmpx_gt_u32_e32 8, v96
; %bb.895:                              ;   in Loop: Header=BB277_799 Depth=1
	s_delay_alu instid0(VALU_DEP_3) | instskip(NEXT) | instid1(VALU_DEP_1)
	v_clz_i32_u32_e32 v18, v6
	v_min_u32_e32 v18, 32, v18
	s_delay_alu instid0(VALU_DEP_1) | instskip(SKIP_1) | instid1(VALU_DEP_2)
	v_subrev_nc_u32_e32 v19, 28, v18
	v_sub_nc_u32_e32 v18, 29, v18
	v_lshlrev_b64 v[98:99], v19, v[6:7]
	s_delay_alu instid0(VALU_DEP_1)
	v_and_b32_e32 v6, 7, v98
; %bb.896:                              ;   in Loop: Header=BB277_799 Depth=1
	s_or_b32 exec_lo, exec_lo, s15
	v_lshlrev_b32_e32 v19, 24, v97
	s_delay_alu instid0(VALU_DEP_2) | instskip(SKIP_1) | instid1(VALU_DEP_3)
	v_lshlrev_b32_e32 v6, 20, v6
	v_lshl_add_u32 v18, v18, 23, 0x3c000000
	v_and_b32_e32 v19, 0x80000000, v19
	s_delay_alu instid0(VALU_DEP_1)
	v_or3_b32 v19, v6, v19, v18
	v_mov_b32_e32 v18, v7
.LBB277_897:                            ;   in Loop: Header=BB277_799 Depth=1
	s_or_b32 exec_lo, exec_lo, s10
.LBB277_898:                            ;   in Loop: Header=BB277_799 Depth=1
	s_delay_alu instid0(SALU_CYCLE_1)
	s_or_b32 exec_lo, exec_lo, s13
.LBB277_899:                            ;   in Loop: Header=BB277_799 Depth=1
	s_delay_alu instid0(SALU_CYCLE_1) | instskip(SKIP_4) | instid1(VALU_DEP_4)
	s_or_b32 exec_lo, exec_lo, s12
	v_or_b32_e32 v5, v15, v5
	v_or_b32_e32 v4, v14, v4
	;; [unrolled: 1-line block ×4, first 2 shown]
	v_mul_f32_e32 v99, v68, v5
	s_delay_alu instid0(VALU_DEP_4) | instskip(NEXT) | instid1(VALU_DEP_4)
	v_mul_f32_e32 v98, v64, v4
	v_mul_f32_e32 v96, v68, v6
	s_delay_alu instid0(VALU_DEP_4)
	v_mul_f32_e32 v97, v64, v14
	s_and_saveexec_b32 s10, vcc_lo
; %bb.900:                              ;   in Loop: Header=BB277_799 Depth=1
	v_cmp_lt_i32_e64 s0, v81, v88
	s_delay_alu instid0(VALU_DEP_1) | instskip(SKIP_1) | instid1(VALU_DEP_1)
	v_cndmask_b32_e64 v98, 0, v98, s0
	v_cmp_lt_i32_e64 s0, v83, v88
	v_cndmask_b32_e64 v99, 0, v99, s0
	v_cmp_lt_i32_e64 s0, v82, v88
	s_delay_alu instid0(VALU_DEP_1) | instskip(SKIP_1) | instid1(VALU_DEP_1)
	v_cndmask_b32_e64 v97, 0, v97, s0
	v_cmp_lt_i32_e64 s0, v66, v88
	v_cndmask_b32_e64 v96, 0, v96, s0
; %bb.901:                              ;   in Loop: Header=BB277_799 Depth=1
	s_or_b32 exec_lo, exec_lo, s10
	flat_load_b32 v100, v[12:13] offset:384
	v_mov_b32_e32 v14, 0
	v_mov_b32_e32 v15, 0
	s_mov_b32 s10, exec_lo
	s_waitcnt vmcnt(0) lgkmcnt(0)
	v_and_b32_e32 v6, 0xff, v100
	s_delay_alu instid0(VALU_DEP_2) | instskip(NEXT) | instid1(VALU_DEP_2)
	v_dual_mov_b32 v4, v14 :: v_dual_mov_b32 v5, v15
	v_cmpx_ne_u16_e32 0, v6
	s_cbranch_execz .LBB277_909
; %bb.902:                              ;   in Loop: Header=BB277_799 Depth=1
	v_bfrev_b32_e32 v4, 1
	v_mov_b32_e32 v5, 0
	s_mov_b32 s12, exec_lo
	v_cmpx_ne_u16_e32 0x80, v6
	s_cbranch_execz .LBB277_908
; %bb.903:                              ;   in Loop: Header=BB277_799 Depth=1
	v_mov_b32_e32 v4, 0x7f800001
	v_dual_mov_b32 v5, 0 :: v_dual_and_b32 v16, 0x7f, v100
	s_mov_b32 s13, exec_lo
	s_delay_alu instid0(VALU_DEP_1)
	v_cmpx_ne_u32_e32 0x7f, v16
	s_cbranch_execz .LBB277_907
; %bb.904:                              ;   in Loop: Header=BB277_799 Depth=1
	v_and_b32_e32 v6, 7, v100
	v_lshrrev_b32_e32 v4, 3, v16
	s_mov_b32 s15, exec_lo
	v_cmpx_gt_u32_e32 8, v16
; %bb.905:                              ;   in Loop: Header=BB277_799 Depth=1
	s_delay_alu instid0(VALU_DEP_3) | instskip(NEXT) | instid1(VALU_DEP_1)
	v_clz_i32_u32_e32 v4, v6
	v_min_u32_e32 v4, 32, v4
	s_delay_alu instid0(VALU_DEP_1) | instskip(SKIP_1) | instid1(VALU_DEP_2)
	v_subrev_nc_u32_e32 v5, 28, v4
	v_sub_nc_u32_e32 v4, 29, v4
	v_lshlrev_b64 v[5:6], v5, v[6:7]
	s_delay_alu instid0(VALU_DEP_1)
	v_and_b32_e32 v6, 7, v5
; %bb.906:                              ;   in Loop: Header=BB277_799 Depth=1
	s_or_b32 exec_lo, exec_lo, s15
	v_lshlrev_b32_e32 v5, 24, v100
	s_delay_alu instid0(VALU_DEP_2) | instskip(SKIP_1) | instid1(VALU_DEP_3)
	v_lshlrev_b32_e32 v6, 20, v6
	v_lshl_add_u32 v4, v4, 23, 0x3c000000
	v_and_b32_e32 v5, 0x80000000, v5
	s_delay_alu instid0(VALU_DEP_1) | instskip(NEXT) | instid1(VALU_DEP_1)
	v_or3_b32 v6, v6, v5, v4
	v_dual_mov_b32 v4, v6 :: v_dual_mov_b32 v5, v7
.LBB277_907:                            ;   in Loop: Header=BB277_799 Depth=1
	s_or_b32 exec_lo, exec_lo, s13
.LBB277_908:                            ;   in Loop: Header=BB277_799 Depth=1
	s_delay_alu instid0(SALU_CYCLE_1)
	s_or_b32 exec_lo, exec_lo, s12
.LBB277_909:                            ;   in Loop: Header=BB277_799 Depth=1
	s_delay_alu instid0(SALU_CYCLE_1) | instskip(SKIP_2) | instid1(VALU_DEP_1)
	s_or_b32 exec_lo, exec_lo, s10
	v_lshrrev_b16 v6, 8, v100
	s_mov_b32 s12, exec_lo
	v_cmpx_ne_u16_e32 0, v6
	s_cbranch_execz .LBB277_917
; %bb.910:                              ;   in Loop: Header=BB277_799 Depth=1
	v_dual_mov_b32 v15, s9 :: v_dual_mov_b32 v14, s8
	s_mov_b32 s13, exec_lo
	v_cmpx_ne_u16_e32 0x80, v6
	s_cbranch_execz .LBB277_916
; %bb.911:                              ;   in Loop: Header=BB277_799 Depth=1
	s_mov_b32 s10, s8
	v_dual_mov_b32 v15, s11 :: v_dual_and_b32 v6, 0xffff, v6
	v_mov_b32_e32 v14, s10
	s_mov_b32 s10, exec_lo
	s_delay_alu instid0(VALU_DEP_2) | instskip(NEXT) | instid1(VALU_DEP_1)
	v_and_b32_e32 v16, 0x7f, v6
	v_cmpx_ne_u32_e32 0x7f, v16
	s_cbranch_execz .LBB277_915
; %bb.912:                              ;   in Loop: Header=BB277_799 Depth=1
	v_and_b32_e32 v6, 7, v6
	v_lshrrev_b32_e32 v14, 3, v16
	s_mov_b32 s15, exec_lo
	v_cmpx_gt_u32_e32 8, v16
; %bb.913:                              ;   in Loop: Header=BB277_799 Depth=1
	s_delay_alu instid0(VALU_DEP_3) | instskip(NEXT) | instid1(VALU_DEP_1)
	v_clz_i32_u32_e32 v14, v6
	v_min_u32_e32 v14, 32, v14
	s_delay_alu instid0(VALU_DEP_1) | instskip(SKIP_1) | instid1(VALU_DEP_2)
	v_subrev_nc_u32_e32 v15, 28, v14
	v_sub_nc_u32_e32 v14, 29, v14
	v_lshlrev_b64 v[15:16], v15, v[6:7]
	s_delay_alu instid0(VALU_DEP_1)
	v_and_b32_e32 v6, 7, v15
; %bb.914:                              ;   in Loop: Header=BB277_799 Depth=1
	s_or_b32 exec_lo, exec_lo, s15
	v_lshlrev_b32_e32 v15, 16, v100
	s_delay_alu instid0(VALU_DEP_2) | instskip(SKIP_1) | instid1(VALU_DEP_3)
	v_lshlrev_b32_e32 v6, 20, v6
	v_lshl_add_u32 v14, v14, 23, 0x3c000000
	v_and_b32_e32 v15, 0x80000000, v15
	s_delay_alu instid0(VALU_DEP_1)
	v_or3_b32 v15, v6, v15, v14
	v_mov_b32_e32 v14, v7
.LBB277_915:                            ;   in Loop: Header=BB277_799 Depth=1
	s_or_b32 exec_lo, exec_lo, s10
.LBB277_916:                            ;   in Loop: Header=BB277_799 Depth=1
	s_delay_alu instid0(SALU_CYCLE_1)
	s_or_b32 exec_lo, exec_lo, s13
.LBB277_917:                            ;   in Loop: Header=BB277_799 Depth=1
	s_delay_alu instid0(SALU_CYCLE_1) | instskip(SKIP_4) | instid1(VALU_DEP_2)
	s_or_b32 exec_lo, exec_lo, s12
	v_mov_b32_e32 v18, 0
	v_lshrrev_b32_e32 v101, 16, v100
	v_mov_b32_e32 v19, 0
	s_mov_b32 s10, exec_lo
	v_and_b32_e32 v6, 0xff, v101
	s_delay_alu instid0(VALU_DEP_2) | instskip(NEXT) | instid1(VALU_DEP_2)
	v_dual_mov_b32 v16, v18 :: v_dual_mov_b32 v17, v19
	v_cmpx_ne_u16_e32 0, v6
	s_cbranch_execz .LBB277_925
; %bb.918:                              ;   in Loop: Header=BB277_799 Depth=1
	v_bfrev_b32_e32 v16, 1
	v_mov_b32_e32 v17, 0
	s_mov_b32 s12, exec_lo
	v_cmpx_ne_u16_e32 0x80, v6
	s_cbranch_execz .LBB277_924
; %bb.919:                              ;   in Loop: Header=BB277_799 Depth=1
	v_mov_b32_e32 v16, 0x7f800001
	v_bfe_u32 v102, v100, 16, 7
	v_mov_b32_e32 v17, 0
	s_mov_b32 s13, exec_lo
	s_delay_alu instid0(VALU_DEP_2)
	v_cmpx_ne_u32_e32 0x7f, v102
	s_cbranch_execz .LBB277_923
; %bb.920:                              ;   in Loop: Header=BB277_799 Depth=1
	v_and_b32_e32 v6, 7, v101
	v_lshrrev_b32_e32 v16, 3, v102
	s_mov_b32 s15, exec_lo
	v_cmpx_gt_u32_e32 8, v102
; %bb.921:                              ;   in Loop: Header=BB277_799 Depth=1
	s_delay_alu instid0(VALU_DEP_3) | instskip(NEXT) | instid1(VALU_DEP_1)
	v_clz_i32_u32_e32 v16, v6
	v_min_u32_e32 v16, 32, v16
	s_delay_alu instid0(VALU_DEP_1) | instskip(SKIP_1) | instid1(VALU_DEP_2)
	v_subrev_nc_u32_e32 v17, 28, v16
	v_sub_nc_u32_e32 v16, 29, v16
	v_lshlrev_b64 v[102:103], v17, v[6:7]
	s_delay_alu instid0(VALU_DEP_1)
	v_and_b32_e32 v6, 7, v102
; %bb.922:                              ;   in Loop: Header=BB277_799 Depth=1
	s_or_b32 exec_lo, exec_lo, s15
	v_lshlrev_b32_e32 v17, 24, v101
	s_delay_alu instid0(VALU_DEP_2) | instskip(SKIP_1) | instid1(VALU_DEP_3)
	v_lshlrev_b32_e32 v6, 20, v6
	v_lshl_add_u32 v16, v16, 23, 0x3c000000
	v_and_b32_e32 v17, 0x80000000, v17
	s_delay_alu instid0(VALU_DEP_1) | instskip(NEXT) | instid1(VALU_DEP_1)
	v_or3_b32 v6, v6, v17, v16
	v_dual_mov_b32 v17, v7 :: v_dual_mov_b32 v16, v6
.LBB277_923:                            ;   in Loop: Header=BB277_799 Depth=1
	s_or_b32 exec_lo, exec_lo, s13
.LBB277_924:                            ;   in Loop: Header=BB277_799 Depth=1
	s_delay_alu instid0(SALU_CYCLE_1)
	s_or_b32 exec_lo, exec_lo, s12
.LBB277_925:                            ;   in Loop: Header=BB277_799 Depth=1
	s_delay_alu instid0(SALU_CYCLE_1) | instskip(NEXT) | instid1(SALU_CYCLE_1)
	s_or_b32 exec_lo, exec_lo, s10
	s_mov_b32 s12, exec_lo
	v_cmpx_lt_u32_e32 0xffffff, v100
	s_cbranch_execz .LBB277_933
; %bb.926:                              ;   in Loop: Header=BB277_799 Depth=1
	v_lshrrev_b32_e32 v101, 24, v100
	v_dual_mov_b32 v19, s9 :: v_dual_mov_b32 v18, s8
	s_mov_b32 s13, exec_lo
	s_delay_alu instid0(VALU_DEP_2)
	v_cmpx_ne_u32_e32 0x80, v101
	s_cbranch_execz .LBB277_932
; %bb.927:                              ;   in Loop: Header=BB277_799 Depth=1
	s_mov_b32 s10, s8
	v_bfe_u32 v100, v100, 24, 7
	v_dual_mov_b32 v19, s11 :: v_dual_mov_b32 v18, s10
	s_mov_b32 s10, exec_lo
	s_delay_alu instid0(VALU_DEP_2)
	v_cmpx_ne_u32_e32 0x7f, v100
	s_cbranch_execz .LBB277_931
; %bb.928:                              ;   in Loop: Header=BB277_799 Depth=1
	v_and_b32_e32 v6, 7, v101
	v_lshrrev_b32_e32 v18, 3, v100
	s_mov_b32 s15, exec_lo
	v_cmpx_gt_u32_e32 8, v100
; %bb.929:                              ;   in Loop: Header=BB277_799 Depth=1
	s_delay_alu instid0(VALU_DEP_3) | instskip(NEXT) | instid1(VALU_DEP_1)
	v_clz_i32_u32_e32 v18, v6
	v_min_u32_e32 v18, 32, v18
	s_delay_alu instid0(VALU_DEP_1) | instskip(SKIP_1) | instid1(VALU_DEP_2)
	v_subrev_nc_u32_e32 v19, 28, v18
	v_sub_nc_u32_e32 v18, 29, v18
	v_lshlrev_b64 v[102:103], v19, v[6:7]
	s_delay_alu instid0(VALU_DEP_1)
	v_and_b32_e32 v6, 7, v102
; %bb.930:                              ;   in Loop: Header=BB277_799 Depth=1
	s_or_b32 exec_lo, exec_lo, s15
	v_lshlrev_b32_e32 v19, 24, v101
	s_delay_alu instid0(VALU_DEP_2) | instskip(SKIP_1) | instid1(VALU_DEP_3)
	v_lshlrev_b32_e32 v6, 20, v6
	v_lshl_add_u32 v18, v18, 23, 0x3c000000
	v_and_b32_e32 v19, 0x80000000, v19
	s_delay_alu instid0(VALU_DEP_1)
	v_or3_b32 v19, v6, v19, v18
	v_mov_b32_e32 v18, v7
.LBB277_931:                            ;   in Loop: Header=BB277_799 Depth=1
	s_or_b32 exec_lo, exec_lo, s10
.LBB277_932:                            ;   in Loop: Header=BB277_799 Depth=1
	s_delay_alu instid0(SALU_CYCLE_1)
	s_or_b32 exec_lo, exec_lo, s13
.LBB277_933:                            ;   in Loop: Header=BB277_799 Depth=1
	s_delay_alu instid0(SALU_CYCLE_1) | instskip(SKIP_4) | instid1(VALU_DEP_4)
	s_or_b32 exec_lo, exec_lo, s12
	v_or_b32_e32 v5, v15, v5
	v_or_b32_e32 v4, v14, v4
	;; [unrolled: 1-line block ×4, first 2 shown]
	v_mul_f32_e32 v103, v68, v5
	s_delay_alu instid0(VALU_DEP_4) | instskip(NEXT) | instid1(VALU_DEP_4)
	v_mul_f32_e32 v102, v64, v4
	v_mul_f32_e32 v100, v68, v6
	s_delay_alu instid0(VALU_DEP_4)
	v_mul_f32_e32 v101, v64, v14
	s_and_saveexec_b32 s10, vcc_lo
; %bb.934:                              ;   in Loop: Header=BB277_799 Depth=1
	v_cmp_lt_i32_e64 s0, v81, v88
	s_delay_alu instid0(VALU_DEP_1) | instskip(SKIP_1) | instid1(VALU_DEP_1)
	v_cndmask_b32_e64 v102, 0, v102, s0
	v_cmp_lt_i32_e64 s0, v83, v88
	v_cndmask_b32_e64 v103, 0, v103, s0
	v_cmp_lt_i32_e64 s0, v82, v88
	s_delay_alu instid0(VALU_DEP_1) | instskip(SKIP_1) | instid1(VALU_DEP_1)
	v_cndmask_b32_e64 v101, 0, v101, s0
	v_cmp_lt_i32_e64 s0, v66, v88
	v_cndmask_b32_e64 v100, 0, v100, s0
; %bb.935:                              ;   in Loop: Header=BB277_799 Depth=1
	s_or_b32 exec_lo, exec_lo, s10
	flat_load_b32 v112, v[12:13] offset:512
	v_mov_b32_e32 v14, 0
	v_mov_b32_e32 v15, 0
	s_mov_b32 s10, exec_lo
	s_waitcnt vmcnt(0) lgkmcnt(0)
	v_and_b32_e32 v6, 0xff, v112
	s_delay_alu instid0(VALU_DEP_2) | instskip(NEXT) | instid1(VALU_DEP_2)
	v_dual_mov_b32 v4, v14 :: v_dual_mov_b32 v5, v15
	v_cmpx_ne_u16_e32 0, v6
	s_cbranch_execz .LBB277_943
; %bb.936:                              ;   in Loop: Header=BB277_799 Depth=1
	v_bfrev_b32_e32 v4, 1
	v_mov_b32_e32 v5, 0
	s_mov_b32 s12, exec_lo
	v_cmpx_ne_u16_e32 0x80, v6
	s_cbranch_execz .LBB277_942
; %bb.937:                              ;   in Loop: Header=BB277_799 Depth=1
	v_mov_b32_e32 v4, 0x7f800001
	v_dual_mov_b32 v5, 0 :: v_dual_and_b32 v16, 0x7f, v112
	s_mov_b32 s13, exec_lo
	s_delay_alu instid0(VALU_DEP_1)
	v_cmpx_ne_u32_e32 0x7f, v16
	s_cbranch_execz .LBB277_941
; %bb.938:                              ;   in Loop: Header=BB277_799 Depth=1
	v_and_b32_e32 v6, 7, v112
	v_lshrrev_b32_e32 v4, 3, v16
	s_mov_b32 s15, exec_lo
	v_cmpx_gt_u32_e32 8, v16
; %bb.939:                              ;   in Loop: Header=BB277_799 Depth=1
	s_delay_alu instid0(VALU_DEP_3) | instskip(NEXT) | instid1(VALU_DEP_1)
	v_clz_i32_u32_e32 v4, v6
	v_min_u32_e32 v4, 32, v4
	s_delay_alu instid0(VALU_DEP_1) | instskip(SKIP_1) | instid1(VALU_DEP_2)
	v_subrev_nc_u32_e32 v5, 28, v4
	v_sub_nc_u32_e32 v4, 29, v4
	v_lshlrev_b64 v[5:6], v5, v[6:7]
	s_delay_alu instid0(VALU_DEP_1)
	v_and_b32_e32 v6, 7, v5
; %bb.940:                              ;   in Loop: Header=BB277_799 Depth=1
	s_or_b32 exec_lo, exec_lo, s15
	v_lshlrev_b32_e32 v5, 24, v112
	s_delay_alu instid0(VALU_DEP_2) | instskip(SKIP_1) | instid1(VALU_DEP_3)
	v_lshlrev_b32_e32 v6, 20, v6
	v_lshl_add_u32 v4, v4, 23, 0x3c000000
	v_and_b32_e32 v5, 0x80000000, v5
	s_delay_alu instid0(VALU_DEP_1) | instskip(NEXT) | instid1(VALU_DEP_1)
	v_or3_b32 v6, v6, v5, v4
	v_dual_mov_b32 v4, v6 :: v_dual_mov_b32 v5, v7
.LBB277_941:                            ;   in Loop: Header=BB277_799 Depth=1
	s_or_b32 exec_lo, exec_lo, s13
.LBB277_942:                            ;   in Loop: Header=BB277_799 Depth=1
	s_delay_alu instid0(SALU_CYCLE_1)
	s_or_b32 exec_lo, exec_lo, s12
.LBB277_943:                            ;   in Loop: Header=BB277_799 Depth=1
	s_delay_alu instid0(SALU_CYCLE_1) | instskip(SKIP_2) | instid1(VALU_DEP_1)
	s_or_b32 exec_lo, exec_lo, s10
	v_lshrrev_b16 v6, 8, v112
	s_mov_b32 s12, exec_lo
	v_cmpx_ne_u16_e32 0, v6
	s_cbranch_execz .LBB277_951
; %bb.944:                              ;   in Loop: Header=BB277_799 Depth=1
	v_dual_mov_b32 v15, s9 :: v_dual_mov_b32 v14, s8
	s_mov_b32 s13, exec_lo
	v_cmpx_ne_u16_e32 0x80, v6
	s_cbranch_execz .LBB277_950
; %bb.945:                              ;   in Loop: Header=BB277_799 Depth=1
	s_mov_b32 s10, s8
	v_dual_mov_b32 v15, s11 :: v_dual_and_b32 v6, 0xffff, v6
	v_mov_b32_e32 v14, s10
	s_mov_b32 s10, exec_lo
	s_delay_alu instid0(VALU_DEP_2) | instskip(NEXT) | instid1(VALU_DEP_1)
	v_and_b32_e32 v16, 0x7f, v6
	v_cmpx_ne_u32_e32 0x7f, v16
	s_cbranch_execz .LBB277_949
; %bb.946:                              ;   in Loop: Header=BB277_799 Depth=1
	v_and_b32_e32 v6, 7, v6
	v_lshrrev_b32_e32 v14, 3, v16
	s_mov_b32 s15, exec_lo
	v_cmpx_gt_u32_e32 8, v16
; %bb.947:                              ;   in Loop: Header=BB277_799 Depth=1
	s_delay_alu instid0(VALU_DEP_3) | instskip(NEXT) | instid1(VALU_DEP_1)
	v_clz_i32_u32_e32 v14, v6
	v_min_u32_e32 v14, 32, v14
	s_delay_alu instid0(VALU_DEP_1) | instskip(SKIP_1) | instid1(VALU_DEP_2)
	v_subrev_nc_u32_e32 v15, 28, v14
	v_sub_nc_u32_e32 v14, 29, v14
	v_lshlrev_b64 v[15:16], v15, v[6:7]
	s_delay_alu instid0(VALU_DEP_1)
	v_and_b32_e32 v6, 7, v15
; %bb.948:                              ;   in Loop: Header=BB277_799 Depth=1
	s_or_b32 exec_lo, exec_lo, s15
	v_lshlrev_b32_e32 v15, 16, v112
	s_delay_alu instid0(VALU_DEP_2) | instskip(SKIP_1) | instid1(VALU_DEP_3)
	v_lshlrev_b32_e32 v6, 20, v6
	v_lshl_add_u32 v14, v14, 23, 0x3c000000
	v_and_b32_e32 v15, 0x80000000, v15
	s_delay_alu instid0(VALU_DEP_1)
	v_or3_b32 v15, v6, v15, v14
	v_mov_b32_e32 v14, v7
.LBB277_949:                            ;   in Loop: Header=BB277_799 Depth=1
	s_or_b32 exec_lo, exec_lo, s10
.LBB277_950:                            ;   in Loop: Header=BB277_799 Depth=1
	s_delay_alu instid0(SALU_CYCLE_1)
	s_or_b32 exec_lo, exec_lo, s13
.LBB277_951:                            ;   in Loop: Header=BB277_799 Depth=1
	s_delay_alu instid0(SALU_CYCLE_1) | instskip(SKIP_4) | instid1(VALU_DEP_2)
	s_or_b32 exec_lo, exec_lo, s12
	v_mov_b32_e32 v18, 0
	v_lshrrev_b32_e32 v113, 16, v112
	v_mov_b32_e32 v19, 0
	s_mov_b32 s10, exec_lo
	v_and_b32_e32 v6, 0xff, v113
	s_delay_alu instid0(VALU_DEP_2) | instskip(NEXT) | instid1(VALU_DEP_2)
	v_dual_mov_b32 v16, v18 :: v_dual_mov_b32 v17, v19
	v_cmpx_ne_u16_e32 0, v6
	s_cbranch_execz .LBB277_959
; %bb.952:                              ;   in Loop: Header=BB277_799 Depth=1
	v_bfrev_b32_e32 v16, 1
	v_mov_b32_e32 v17, 0
	s_mov_b32 s12, exec_lo
	v_cmpx_ne_u16_e32 0x80, v6
	s_cbranch_execz .LBB277_958
; %bb.953:                              ;   in Loop: Header=BB277_799 Depth=1
	v_mov_b32_e32 v16, 0x7f800001
	v_bfe_u32 v114, v112, 16, 7
	v_mov_b32_e32 v17, 0
	s_mov_b32 s13, exec_lo
	s_delay_alu instid0(VALU_DEP_2)
	v_cmpx_ne_u32_e32 0x7f, v114
	s_cbranch_execz .LBB277_957
; %bb.954:                              ;   in Loop: Header=BB277_799 Depth=1
	v_and_b32_e32 v6, 7, v113
	v_lshrrev_b32_e32 v16, 3, v114
	s_mov_b32 s15, exec_lo
	v_cmpx_gt_u32_e32 8, v114
; %bb.955:                              ;   in Loop: Header=BB277_799 Depth=1
	s_delay_alu instid0(VALU_DEP_3) | instskip(NEXT) | instid1(VALU_DEP_1)
	v_clz_i32_u32_e32 v16, v6
	v_min_u32_e32 v16, 32, v16
	s_delay_alu instid0(VALU_DEP_1) | instskip(SKIP_1) | instid1(VALU_DEP_2)
	v_subrev_nc_u32_e32 v17, 28, v16
	v_sub_nc_u32_e32 v16, 29, v16
	v_lshlrev_b64 v[114:115], v17, v[6:7]
	s_delay_alu instid0(VALU_DEP_1)
	v_and_b32_e32 v6, 7, v114
; %bb.956:                              ;   in Loop: Header=BB277_799 Depth=1
	s_or_b32 exec_lo, exec_lo, s15
	v_lshlrev_b32_e32 v17, 24, v113
	s_delay_alu instid0(VALU_DEP_2) | instskip(SKIP_1) | instid1(VALU_DEP_3)
	v_lshlrev_b32_e32 v6, 20, v6
	v_lshl_add_u32 v16, v16, 23, 0x3c000000
	v_and_b32_e32 v17, 0x80000000, v17
	s_delay_alu instid0(VALU_DEP_1) | instskip(NEXT) | instid1(VALU_DEP_1)
	v_or3_b32 v6, v6, v17, v16
	v_dual_mov_b32 v17, v7 :: v_dual_mov_b32 v16, v6
.LBB277_957:                            ;   in Loop: Header=BB277_799 Depth=1
	s_or_b32 exec_lo, exec_lo, s13
.LBB277_958:                            ;   in Loop: Header=BB277_799 Depth=1
	s_delay_alu instid0(SALU_CYCLE_1)
	s_or_b32 exec_lo, exec_lo, s12
.LBB277_959:                            ;   in Loop: Header=BB277_799 Depth=1
	s_delay_alu instid0(SALU_CYCLE_1) | instskip(NEXT) | instid1(SALU_CYCLE_1)
	s_or_b32 exec_lo, exec_lo, s10
	s_mov_b32 s12, exec_lo
	v_cmpx_lt_u32_e32 0xffffff, v112
	s_cbranch_execz .LBB277_967
; %bb.960:                              ;   in Loop: Header=BB277_799 Depth=1
	v_lshrrev_b32_e32 v113, 24, v112
	v_dual_mov_b32 v19, s9 :: v_dual_mov_b32 v18, s8
	s_mov_b32 s13, exec_lo
	s_delay_alu instid0(VALU_DEP_2)
	v_cmpx_ne_u32_e32 0x80, v113
	s_cbranch_execz .LBB277_966
; %bb.961:                              ;   in Loop: Header=BB277_799 Depth=1
	s_mov_b32 s10, s8
	v_bfe_u32 v112, v112, 24, 7
	v_dual_mov_b32 v19, s11 :: v_dual_mov_b32 v18, s10
	s_mov_b32 s10, exec_lo
	s_delay_alu instid0(VALU_DEP_2)
	v_cmpx_ne_u32_e32 0x7f, v112
	s_cbranch_execz .LBB277_965
; %bb.962:                              ;   in Loop: Header=BB277_799 Depth=1
	v_and_b32_e32 v6, 7, v113
	v_lshrrev_b32_e32 v18, 3, v112
	s_mov_b32 s15, exec_lo
	v_cmpx_gt_u32_e32 8, v112
; %bb.963:                              ;   in Loop: Header=BB277_799 Depth=1
	s_delay_alu instid0(VALU_DEP_3) | instskip(NEXT) | instid1(VALU_DEP_1)
	v_clz_i32_u32_e32 v18, v6
	v_min_u32_e32 v18, 32, v18
	s_delay_alu instid0(VALU_DEP_1) | instskip(SKIP_1) | instid1(VALU_DEP_2)
	v_subrev_nc_u32_e32 v19, 28, v18
	v_sub_nc_u32_e32 v18, 29, v18
	v_lshlrev_b64 v[114:115], v19, v[6:7]
	s_delay_alu instid0(VALU_DEP_1)
	v_and_b32_e32 v6, 7, v114
; %bb.964:                              ;   in Loop: Header=BB277_799 Depth=1
	s_or_b32 exec_lo, exec_lo, s15
	v_lshlrev_b32_e32 v19, 24, v113
	s_delay_alu instid0(VALU_DEP_2) | instskip(SKIP_1) | instid1(VALU_DEP_3)
	v_lshlrev_b32_e32 v6, 20, v6
	v_lshl_add_u32 v18, v18, 23, 0x3c000000
	v_and_b32_e32 v19, 0x80000000, v19
	s_delay_alu instid0(VALU_DEP_1)
	v_or3_b32 v19, v6, v19, v18
	v_mov_b32_e32 v18, v7
.LBB277_965:                            ;   in Loop: Header=BB277_799 Depth=1
	s_or_b32 exec_lo, exec_lo, s10
.LBB277_966:                            ;   in Loop: Header=BB277_799 Depth=1
	s_delay_alu instid0(SALU_CYCLE_1)
	s_or_b32 exec_lo, exec_lo, s13
.LBB277_967:                            ;   in Loop: Header=BB277_799 Depth=1
	s_delay_alu instid0(SALU_CYCLE_1) | instskip(SKIP_4) | instid1(VALU_DEP_4)
	s_or_b32 exec_lo, exec_lo, s12
	v_or_b32_e32 v5, v15, v5
	v_or_b32_e32 v4, v14, v4
	;; [unrolled: 1-line block ×4, first 2 shown]
	v_mul_f32_e32 v115, v68, v5
	s_delay_alu instid0(VALU_DEP_4) | instskip(NEXT) | instid1(VALU_DEP_4)
	v_mul_f32_e32 v114, v64, v4
	v_mul_f32_e32 v112, v68, v6
	s_delay_alu instid0(VALU_DEP_4)
	v_mul_f32_e32 v113, v64, v14
	s_and_saveexec_b32 s10, vcc_lo
; %bb.968:                              ;   in Loop: Header=BB277_799 Depth=1
	v_cmp_lt_i32_e64 s0, v81, v88
	s_delay_alu instid0(VALU_DEP_1) | instskip(SKIP_1) | instid1(VALU_DEP_1)
	v_cndmask_b32_e64 v114, 0, v114, s0
	v_cmp_lt_i32_e64 s0, v83, v88
	v_cndmask_b32_e64 v115, 0, v115, s0
	v_cmp_lt_i32_e64 s0, v82, v88
	s_delay_alu instid0(VALU_DEP_1) | instskip(SKIP_1) | instid1(VALU_DEP_1)
	v_cndmask_b32_e64 v113, 0, v113, s0
	v_cmp_lt_i32_e64 s0, v66, v88
	v_cndmask_b32_e64 v112, 0, v112, s0
; %bb.969:                              ;   in Loop: Header=BB277_799 Depth=1
	s_or_b32 exec_lo, exec_lo, s10
	flat_load_b32 v116, v[12:13] offset:640
	v_mov_b32_e32 v14, 0
	v_mov_b32_e32 v15, 0
	s_mov_b32 s10, exec_lo
	s_waitcnt vmcnt(0) lgkmcnt(0)
	v_and_b32_e32 v6, 0xff, v116
	s_delay_alu instid0(VALU_DEP_2) | instskip(NEXT) | instid1(VALU_DEP_2)
	v_dual_mov_b32 v4, v14 :: v_dual_mov_b32 v5, v15
	v_cmpx_ne_u16_e32 0, v6
	s_cbranch_execz .LBB277_977
; %bb.970:                              ;   in Loop: Header=BB277_799 Depth=1
	v_bfrev_b32_e32 v4, 1
	v_mov_b32_e32 v5, 0
	s_mov_b32 s12, exec_lo
	v_cmpx_ne_u16_e32 0x80, v6
	s_cbranch_execz .LBB277_976
; %bb.971:                              ;   in Loop: Header=BB277_799 Depth=1
	v_mov_b32_e32 v4, 0x7f800001
	v_dual_mov_b32 v5, 0 :: v_dual_and_b32 v16, 0x7f, v116
	s_mov_b32 s13, exec_lo
	s_delay_alu instid0(VALU_DEP_1)
	v_cmpx_ne_u32_e32 0x7f, v16
	s_cbranch_execz .LBB277_975
; %bb.972:                              ;   in Loop: Header=BB277_799 Depth=1
	v_and_b32_e32 v6, 7, v116
	v_lshrrev_b32_e32 v4, 3, v16
	s_mov_b32 s15, exec_lo
	v_cmpx_gt_u32_e32 8, v16
; %bb.973:                              ;   in Loop: Header=BB277_799 Depth=1
	s_delay_alu instid0(VALU_DEP_3) | instskip(NEXT) | instid1(VALU_DEP_1)
	v_clz_i32_u32_e32 v4, v6
	v_min_u32_e32 v4, 32, v4
	s_delay_alu instid0(VALU_DEP_1) | instskip(SKIP_1) | instid1(VALU_DEP_2)
	v_subrev_nc_u32_e32 v5, 28, v4
	v_sub_nc_u32_e32 v4, 29, v4
	v_lshlrev_b64 v[5:6], v5, v[6:7]
	s_delay_alu instid0(VALU_DEP_1)
	v_and_b32_e32 v6, 7, v5
; %bb.974:                              ;   in Loop: Header=BB277_799 Depth=1
	s_or_b32 exec_lo, exec_lo, s15
	v_lshlrev_b32_e32 v5, 24, v116
	s_delay_alu instid0(VALU_DEP_2) | instskip(SKIP_1) | instid1(VALU_DEP_3)
	v_lshlrev_b32_e32 v6, 20, v6
	v_lshl_add_u32 v4, v4, 23, 0x3c000000
	v_and_b32_e32 v5, 0x80000000, v5
	s_delay_alu instid0(VALU_DEP_1) | instskip(NEXT) | instid1(VALU_DEP_1)
	v_or3_b32 v6, v6, v5, v4
	v_dual_mov_b32 v4, v6 :: v_dual_mov_b32 v5, v7
.LBB277_975:                            ;   in Loop: Header=BB277_799 Depth=1
	s_or_b32 exec_lo, exec_lo, s13
.LBB277_976:                            ;   in Loop: Header=BB277_799 Depth=1
	s_delay_alu instid0(SALU_CYCLE_1)
	s_or_b32 exec_lo, exec_lo, s12
.LBB277_977:                            ;   in Loop: Header=BB277_799 Depth=1
	s_delay_alu instid0(SALU_CYCLE_1) | instskip(SKIP_2) | instid1(VALU_DEP_1)
	s_or_b32 exec_lo, exec_lo, s10
	v_lshrrev_b16 v6, 8, v116
	s_mov_b32 s12, exec_lo
	v_cmpx_ne_u16_e32 0, v6
	s_cbranch_execz .LBB277_985
; %bb.978:                              ;   in Loop: Header=BB277_799 Depth=1
	v_dual_mov_b32 v15, s9 :: v_dual_mov_b32 v14, s8
	s_mov_b32 s13, exec_lo
	v_cmpx_ne_u16_e32 0x80, v6
	s_cbranch_execz .LBB277_984
; %bb.979:                              ;   in Loop: Header=BB277_799 Depth=1
	s_mov_b32 s10, s8
	v_dual_mov_b32 v15, s11 :: v_dual_and_b32 v6, 0xffff, v6
	v_mov_b32_e32 v14, s10
	s_mov_b32 s10, exec_lo
	s_delay_alu instid0(VALU_DEP_2) | instskip(NEXT) | instid1(VALU_DEP_1)
	v_and_b32_e32 v16, 0x7f, v6
	v_cmpx_ne_u32_e32 0x7f, v16
	s_cbranch_execz .LBB277_983
; %bb.980:                              ;   in Loop: Header=BB277_799 Depth=1
	v_and_b32_e32 v6, 7, v6
	v_lshrrev_b32_e32 v14, 3, v16
	s_mov_b32 s15, exec_lo
	v_cmpx_gt_u32_e32 8, v16
; %bb.981:                              ;   in Loop: Header=BB277_799 Depth=1
	s_delay_alu instid0(VALU_DEP_3) | instskip(NEXT) | instid1(VALU_DEP_1)
	v_clz_i32_u32_e32 v14, v6
	v_min_u32_e32 v14, 32, v14
	s_delay_alu instid0(VALU_DEP_1) | instskip(SKIP_1) | instid1(VALU_DEP_2)
	v_subrev_nc_u32_e32 v15, 28, v14
	v_sub_nc_u32_e32 v14, 29, v14
	v_lshlrev_b64 v[15:16], v15, v[6:7]
	s_delay_alu instid0(VALU_DEP_1)
	v_and_b32_e32 v6, 7, v15
; %bb.982:                              ;   in Loop: Header=BB277_799 Depth=1
	s_or_b32 exec_lo, exec_lo, s15
	v_lshlrev_b32_e32 v15, 16, v116
	s_delay_alu instid0(VALU_DEP_2) | instskip(SKIP_1) | instid1(VALU_DEP_3)
	v_lshlrev_b32_e32 v6, 20, v6
	v_lshl_add_u32 v14, v14, 23, 0x3c000000
	v_and_b32_e32 v15, 0x80000000, v15
	s_delay_alu instid0(VALU_DEP_1)
	v_or3_b32 v15, v6, v15, v14
	v_mov_b32_e32 v14, v7
.LBB277_983:                            ;   in Loop: Header=BB277_799 Depth=1
	s_or_b32 exec_lo, exec_lo, s10
.LBB277_984:                            ;   in Loop: Header=BB277_799 Depth=1
	s_delay_alu instid0(SALU_CYCLE_1)
	s_or_b32 exec_lo, exec_lo, s13
.LBB277_985:                            ;   in Loop: Header=BB277_799 Depth=1
	s_delay_alu instid0(SALU_CYCLE_1) | instskip(SKIP_4) | instid1(VALU_DEP_2)
	s_or_b32 exec_lo, exec_lo, s12
	v_mov_b32_e32 v18, 0
	v_lshrrev_b32_e32 v117, 16, v116
	v_mov_b32_e32 v19, 0
	s_mov_b32 s10, exec_lo
	v_and_b32_e32 v6, 0xff, v117
	s_delay_alu instid0(VALU_DEP_2) | instskip(NEXT) | instid1(VALU_DEP_2)
	v_dual_mov_b32 v16, v18 :: v_dual_mov_b32 v17, v19
	v_cmpx_ne_u16_e32 0, v6
	s_cbranch_execz .LBB277_993
; %bb.986:                              ;   in Loop: Header=BB277_799 Depth=1
	v_bfrev_b32_e32 v16, 1
	v_mov_b32_e32 v17, 0
	s_mov_b32 s12, exec_lo
	v_cmpx_ne_u16_e32 0x80, v6
	s_cbranch_execz .LBB277_992
; %bb.987:                              ;   in Loop: Header=BB277_799 Depth=1
	v_mov_b32_e32 v16, 0x7f800001
	v_bfe_u32 v118, v116, 16, 7
	v_mov_b32_e32 v17, 0
	s_mov_b32 s13, exec_lo
	s_delay_alu instid0(VALU_DEP_2)
	v_cmpx_ne_u32_e32 0x7f, v118
	s_cbranch_execz .LBB277_991
; %bb.988:                              ;   in Loop: Header=BB277_799 Depth=1
	v_and_b32_e32 v6, 7, v117
	v_lshrrev_b32_e32 v16, 3, v118
	s_mov_b32 s15, exec_lo
	v_cmpx_gt_u32_e32 8, v118
; %bb.989:                              ;   in Loop: Header=BB277_799 Depth=1
	s_delay_alu instid0(VALU_DEP_3) | instskip(NEXT) | instid1(VALU_DEP_1)
	v_clz_i32_u32_e32 v16, v6
	v_min_u32_e32 v16, 32, v16
	s_delay_alu instid0(VALU_DEP_1) | instskip(SKIP_1) | instid1(VALU_DEP_2)
	v_subrev_nc_u32_e32 v17, 28, v16
	v_sub_nc_u32_e32 v16, 29, v16
	v_lshlrev_b64 v[118:119], v17, v[6:7]
	s_delay_alu instid0(VALU_DEP_1)
	v_and_b32_e32 v6, 7, v118
; %bb.990:                              ;   in Loop: Header=BB277_799 Depth=1
	s_or_b32 exec_lo, exec_lo, s15
	v_lshlrev_b32_e32 v17, 24, v117
	s_delay_alu instid0(VALU_DEP_2) | instskip(SKIP_1) | instid1(VALU_DEP_3)
	v_lshlrev_b32_e32 v6, 20, v6
	v_lshl_add_u32 v16, v16, 23, 0x3c000000
	v_and_b32_e32 v17, 0x80000000, v17
	s_delay_alu instid0(VALU_DEP_1) | instskip(NEXT) | instid1(VALU_DEP_1)
	v_or3_b32 v6, v6, v17, v16
	v_dual_mov_b32 v17, v7 :: v_dual_mov_b32 v16, v6
.LBB277_991:                            ;   in Loop: Header=BB277_799 Depth=1
	s_or_b32 exec_lo, exec_lo, s13
.LBB277_992:                            ;   in Loop: Header=BB277_799 Depth=1
	s_delay_alu instid0(SALU_CYCLE_1)
	s_or_b32 exec_lo, exec_lo, s12
.LBB277_993:                            ;   in Loop: Header=BB277_799 Depth=1
	s_delay_alu instid0(SALU_CYCLE_1) | instskip(NEXT) | instid1(SALU_CYCLE_1)
	s_or_b32 exec_lo, exec_lo, s10
	s_mov_b32 s12, exec_lo
	v_cmpx_lt_u32_e32 0xffffff, v116
	s_cbranch_execz .LBB277_1001
; %bb.994:                              ;   in Loop: Header=BB277_799 Depth=1
	v_lshrrev_b32_e32 v117, 24, v116
	v_dual_mov_b32 v19, s9 :: v_dual_mov_b32 v18, s8
	s_mov_b32 s13, exec_lo
	s_delay_alu instid0(VALU_DEP_2)
	v_cmpx_ne_u32_e32 0x80, v117
	s_cbranch_execz .LBB277_1000
; %bb.995:                              ;   in Loop: Header=BB277_799 Depth=1
	s_mov_b32 s10, s8
	v_bfe_u32 v116, v116, 24, 7
	v_dual_mov_b32 v19, s11 :: v_dual_mov_b32 v18, s10
	s_mov_b32 s10, exec_lo
	s_delay_alu instid0(VALU_DEP_2)
	v_cmpx_ne_u32_e32 0x7f, v116
	s_cbranch_execz .LBB277_999
; %bb.996:                              ;   in Loop: Header=BB277_799 Depth=1
	v_and_b32_e32 v6, 7, v117
	v_lshrrev_b32_e32 v18, 3, v116
	s_mov_b32 s15, exec_lo
	v_cmpx_gt_u32_e32 8, v116
; %bb.997:                              ;   in Loop: Header=BB277_799 Depth=1
	s_delay_alu instid0(VALU_DEP_3) | instskip(NEXT) | instid1(VALU_DEP_1)
	v_clz_i32_u32_e32 v18, v6
	v_min_u32_e32 v18, 32, v18
	s_delay_alu instid0(VALU_DEP_1) | instskip(SKIP_1) | instid1(VALU_DEP_2)
	v_subrev_nc_u32_e32 v19, 28, v18
	v_sub_nc_u32_e32 v18, 29, v18
	v_lshlrev_b64 v[118:119], v19, v[6:7]
	s_delay_alu instid0(VALU_DEP_1)
	v_and_b32_e32 v6, 7, v118
; %bb.998:                              ;   in Loop: Header=BB277_799 Depth=1
	s_or_b32 exec_lo, exec_lo, s15
	v_lshlrev_b32_e32 v19, 24, v117
	s_delay_alu instid0(VALU_DEP_2) | instskip(SKIP_1) | instid1(VALU_DEP_3)
	v_lshlrev_b32_e32 v6, 20, v6
	v_lshl_add_u32 v18, v18, 23, 0x3c000000
	v_and_b32_e32 v19, 0x80000000, v19
	s_delay_alu instid0(VALU_DEP_1)
	v_or3_b32 v19, v6, v19, v18
	v_mov_b32_e32 v18, v7
.LBB277_999:                            ;   in Loop: Header=BB277_799 Depth=1
	s_or_b32 exec_lo, exec_lo, s10
.LBB277_1000:                           ;   in Loop: Header=BB277_799 Depth=1
	s_delay_alu instid0(SALU_CYCLE_1)
	s_or_b32 exec_lo, exec_lo, s13
.LBB277_1001:                           ;   in Loop: Header=BB277_799 Depth=1
	s_delay_alu instid0(SALU_CYCLE_1) | instskip(SKIP_4) | instid1(VALU_DEP_4)
	s_or_b32 exec_lo, exec_lo, s12
	v_or_b32_e32 v5, v15, v5
	v_or_b32_e32 v4, v14, v4
	;; [unrolled: 1-line block ×4, first 2 shown]
	v_mul_f32_e32 v119, v68, v5
	s_delay_alu instid0(VALU_DEP_4) | instskip(NEXT) | instid1(VALU_DEP_4)
	v_mul_f32_e32 v118, v64, v4
	v_mul_f32_e32 v116, v68, v6
	s_delay_alu instid0(VALU_DEP_4)
	v_mul_f32_e32 v117, v64, v14
	s_and_saveexec_b32 s10, vcc_lo
; %bb.1002:                             ;   in Loop: Header=BB277_799 Depth=1
	v_cmp_lt_i32_e64 s0, v81, v88
	s_delay_alu instid0(VALU_DEP_1) | instskip(SKIP_1) | instid1(VALU_DEP_1)
	v_cndmask_b32_e64 v118, 0, v118, s0
	v_cmp_lt_i32_e64 s0, v83, v88
	v_cndmask_b32_e64 v119, 0, v119, s0
	v_cmp_lt_i32_e64 s0, v82, v88
	s_delay_alu instid0(VALU_DEP_1) | instskip(SKIP_1) | instid1(VALU_DEP_1)
	v_cndmask_b32_e64 v117, 0, v117, s0
	v_cmp_lt_i32_e64 s0, v66, v88
	v_cndmask_b32_e64 v116, 0, v116, s0
; %bb.1003:                             ;   in Loop: Header=BB277_799 Depth=1
	s_or_b32 exec_lo, exec_lo, s10
	flat_load_b32 v128, v[12:13] offset:768
	v_mov_b32_e32 v14, 0
	v_mov_b32_e32 v15, 0
	s_mov_b32 s10, exec_lo
	s_waitcnt vmcnt(0) lgkmcnt(0)
	v_and_b32_e32 v6, 0xff, v128
	s_delay_alu instid0(VALU_DEP_2) | instskip(NEXT) | instid1(VALU_DEP_2)
	v_dual_mov_b32 v4, v14 :: v_dual_mov_b32 v5, v15
	v_cmpx_ne_u16_e32 0, v6
	s_cbranch_execz .LBB277_1011
; %bb.1004:                             ;   in Loop: Header=BB277_799 Depth=1
	v_bfrev_b32_e32 v4, 1
	v_mov_b32_e32 v5, 0
	s_mov_b32 s12, exec_lo
	v_cmpx_ne_u16_e32 0x80, v6
	s_cbranch_execz .LBB277_1010
; %bb.1005:                             ;   in Loop: Header=BB277_799 Depth=1
	v_mov_b32_e32 v4, 0x7f800001
	v_dual_mov_b32 v5, 0 :: v_dual_and_b32 v16, 0x7f, v128
	s_mov_b32 s13, exec_lo
	s_delay_alu instid0(VALU_DEP_1)
	v_cmpx_ne_u32_e32 0x7f, v16
	s_cbranch_execz .LBB277_1009
; %bb.1006:                             ;   in Loop: Header=BB277_799 Depth=1
	v_and_b32_e32 v6, 7, v128
	v_lshrrev_b32_e32 v4, 3, v16
	s_mov_b32 s15, exec_lo
	v_cmpx_gt_u32_e32 8, v16
; %bb.1007:                             ;   in Loop: Header=BB277_799 Depth=1
	s_delay_alu instid0(VALU_DEP_3) | instskip(NEXT) | instid1(VALU_DEP_1)
	v_clz_i32_u32_e32 v4, v6
	v_min_u32_e32 v4, 32, v4
	s_delay_alu instid0(VALU_DEP_1) | instskip(SKIP_1) | instid1(VALU_DEP_2)
	v_subrev_nc_u32_e32 v5, 28, v4
	v_sub_nc_u32_e32 v4, 29, v4
	v_lshlrev_b64 v[5:6], v5, v[6:7]
	s_delay_alu instid0(VALU_DEP_1)
	v_and_b32_e32 v6, 7, v5
; %bb.1008:                             ;   in Loop: Header=BB277_799 Depth=1
	s_or_b32 exec_lo, exec_lo, s15
	v_lshlrev_b32_e32 v5, 24, v128
	s_delay_alu instid0(VALU_DEP_2) | instskip(SKIP_1) | instid1(VALU_DEP_3)
	v_lshlrev_b32_e32 v6, 20, v6
	v_lshl_add_u32 v4, v4, 23, 0x3c000000
	v_and_b32_e32 v5, 0x80000000, v5
	s_delay_alu instid0(VALU_DEP_1) | instskip(NEXT) | instid1(VALU_DEP_1)
	v_or3_b32 v6, v6, v5, v4
	v_dual_mov_b32 v4, v6 :: v_dual_mov_b32 v5, v7
.LBB277_1009:                           ;   in Loop: Header=BB277_799 Depth=1
	s_or_b32 exec_lo, exec_lo, s13
.LBB277_1010:                           ;   in Loop: Header=BB277_799 Depth=1
	s_delay_alu instid0(SALU_CYCLE_1)
	s_or_b32 exec_lo, exec_lo, s12
.LBB277_1011:                           ;   in Loop: Header=BB277_799 Depth=1
	s_delay_alu instid0(SALU_CYCLE_1) | instskip(SKIP_2) | instid1(VALU_DEP_1)
	s_or_b32 exec_lo, exec_lo, s10
	v_lshrrev_b16 v6, 8, v128
	s_mov_b32 s12, exec_lo
	v_cmpx_ne_u16_e32 0, v6
	s_cbranch_execz .LBB277_1019
; %bb.1012:                             ;   in Loop: Header=BB277_799 Depth=1
	v_dual_mov_b32 v15, s9 :: v_dual_mov_b32 v14, s8
	s_mov_b32 s13, exec_lo
	v_cmpx_ne_u16_e32 0x80, v6
	s_cbranch_execz .LBB277_1018
; %bb.1013:                             ;   in Loop: Header=BB277_799 Depth=1
	s_mov_b32 s10, s8
	v_dual_mov_b32 v15, s11 :: v_dual_and_b32 v6, 0xffff, v6
	v_mov_b32_e32 v14, s10
	s_mov_b32 s10, exec_lo
	s_delay_alu instid0(VALU_DEP_2) | instskip(NEXT) | instid1(VALU_DEP_1)
	v_and_b32_e32 v16, 0x7f, v6
	v_cmpx_ne_u32_e32 0x7f, v16
	s_cbranch_execz .LBB277_1017
; %bb.1014:                             ;   in Loop: Header=BB277_799 Depth=1
	v_and_b32_e32 v6, 7, v6
	v_lshrrev_b32_e32 v14, 3, v16
	s_mov_b32 s15, exec_lo
	v_cmpx_gt_u32_e32 8, v16
; %bb.1015:                             ;   in Loop: Header=BB277_799 Depth=1
	s_delay_alu instid0(VALU_DEP_3) | instskip(NEXT) | instid1(VALU_DEP_1)
	v_clz_i32_u32_e32 v14, v6
	v_min_u32_e32 v14, 32, v14
	s_delay_alu instid0(VALU_DEP_1) | instskip(SKIP_1) | instid1(VALU_DEP_2)
	v_subrev_nc_u32_e32 v15, 28, v14
	v_sub_nc_u32_e32 v14, 29, v14
	v_lshlrev_b64 v[15:16], v15, v[6:7]
	s_delay_alu instid0(VALU_DEP_1)
	v_and_b32_e32 v6, 7, v15
; %bb.1016:                             ;   in Loop: Header=BB277_799 Depth=1
	s_or_b32 exec_lo, exec_lo, s15
	v_lshlrev_b32_e32 v15, 16, v128
	s_delay_alu instid0(VALU_DEP_2) | instskip(SKIP_1) | instid1(VALU_DEP_3)
	v_lshlrev_b32_e32 v6, 20, v6
	v_lshl_add_u32 v14, v14, 23, 0x3c000000
	v_and_b32_e32 v15, 0x80000000, v15
	s_delay_alu instid0(VALU_DEP_1)
	v_or3_b32 v15, v6, v15, v14
	v_mov_b32_e32 v14, v7
.LBB277_1017:                           ;   in Loop: Header=BB277_799 Depth=1
	s_or_b32 exec_lo, exec_lo, s10
.LBB277_1018:                           ;   in Loop: Header=BB277_799 Depth=1
	s_delay_alu instid0(SALU_CYCLE_1)
	s_or_b32 exec_lo, exec_lo, s13
.LBB277_1019:                           ;   in Loop: Header=BB277_799 Depth=1
	s_delay_alu instid0(SALU_CYCLE_1) | instskip(SKIP_4) | instid1(VALU_DEP_2)
	s_or_b32 exec_lo, exec_lo, s12
	v_mov_b32_e32 v18, 0
	v_lshrrev_b32_e32 v129, 16, v128
	v_mov_b32_e32 v19, 0
	s_mov_b32 s10, exec_lo
	v_and_b32_e32 v6, 0xff, v129
	s_delay_alu instid0(VALU_DEP_2) | instskip(NEXT) | instid1(VALU_DEP_2)
	v_dual_mov_b32 v16, v18 :: v_dual_mov_b32 v17, v19
	v_cmpx_ne_u16_e32 0, v6
	s_cbranch_execz .LBB277_1027
; %bb.1020:                             ;   in Loop: Header=BB277_799 Depth=1
	v_bfrev_b32_e32 v16, 1
	v_mov_b32_e32 v17, 0
	s_mov_b32 s12, exec_lo
	v_cmpx_ne_u16_e32 0x80, v6
	s_cbranch_execz .LBB277_1026
; %bb.1021:                             ;   in Loop: Header=BB277_799 Depth=1
	v_mov_b32_e32 v16, 0x7f800001
	v_bfe_u32 v130, v128, 16, 7
	v_mov_b32_e32 v17, 0
	s_mov_b32 s13, exec_lo
	s_delay_alu instid0(VALU_DEP_2)
	v_cmpx_ne_u32_e32 0x7f, v130
	s_cbranch_execz .LBB277_1025
; %bb.1022:                             ;   in Loop: Header=BB277_799 Depth=1
	v_and_b32_e32 v6, 7, v129
	v_lshrrev_b32_e32 v16, 3, v130
	s_mov_b32 s15, exec_lo
	v_cmpx_gt_u32_e32 8, v130
; %bb.1023:                             ;   in Loop: Header=BB277_799 Depth=1
	s_delay_alu instid0(VALU_DEP_3) | instskip(NEXT) | instid1(VALU_DEP_1)
	v_clz_i32_u32_e32 v16, v6
	v_min_u32_e32 v16, 32, v16
	s_delay_alu instid0(VALU_DEP_1) | instskip(SKIP_1) | instid1(VALU_DEP_2)
	v_subrev_nc_u32_e32 v17, 28, v16
	v_sub_nc_u32_e32 v16, 29, v16
	v_lshlrev_b64 v[130:131], v17, v[6:7]
	s_delay_alu instid0(VALU_DEP_1)
	v_and_b32_e32 v6, 7, v130
; %bb.1024:                             ;   in Loop: Header=BB277_799 Depth=1
	s_or_b32 exec_lo, exec_lo, s15
	v_lshlrev_b32_e32 v17, 24, v129
	s_delay_alu instid0(VALU_DEP_2) | instskip(SKIP_1) | instid1(VALU_DEP_3)
	v_lshlrev_b32_e32 v6, 20, v6
	v_lshl_add_u32 v16, v16, 23, 0x3c000000
	v_and_b32_e32 v17, 0x80000000, v17
	s_delay_alu instid0(VALU_DEP_1) | instskip(NEXT) | instid1(VALU_DEP_1)
	v_or3_b32 v6, v6, v17, v16
	v_dual_mov_b32 v17, v7 :: v_dual_mov_b32 v16, v6
.LBB277_1025:                           ;   in Loop: Header=BB277_799 Depth=1
	s_or_b32 exec_lo, exec_lo, s13
.LBB277_1026:                           ;   in Loop: Header=BB277_799 Depth=1
	s_delay_alu instid0(SALU_CYCLE_1)
	s_or_b32 exec_lo, exec_lo, s12
.LBB277_1027:                           ;   in Loop: Header=BB277_799 Depth=1
	s_delay_alu instid0(SALU_CYCLE_1) | instskip(NEXT) | instid1(SALU_CYCLE_1)
	s_or_b32 exec_lo, exec_lo, s10
	s_mov_b32 s12, exec_lo
	v_cmpx_lt_u32_e32 0xffffff, v128
	s_cbranch_execz .LBB277_1035
; %bb.1028:                             ;   in Loop: Header=BB277_799 Depth=1
	v_lshrrev_b32_e32 v129, 24, v128
	v_dual_mov_b32 v19, s9 :: v_dual_mov_b32 v18, s8
	s_mov_b32 s13, exec_lo
	s_delay_alu instid0(VALU_DEP_2)
	v_cmpx_ne_u32_e32 0x80, v129
	s_cbranch_execz .LBB277_1034
; %bb.1029:                             ;   in Loop: Header=BB277_799 Depth=1
	s_mov_b32 s10, s8
	v_bfe_u32 v128, v128, 24, 7
	v_dual_mov_b32 v19, s11 :: v_dual_mov_b32 v18, s10
	s_mov_b32 s10, exec_lo
	s_delay_alu instid0(VALU_DEP_2)
	v_cmpx_ne_u32_e32 0x7f, v128
	s_cbranch_execz .LBB277_1033
; %bb.1030:                             ;   in Loop: Header=BB277_799 Depth=1
	v_and_b32_e32 v6, 7, v129
	v_lshrrev_b32_e32 v18, 3, v128
	s_mov_b32 s15, exec_lo
	v_cmpx_gt_u32_e32 8, v128
; %bb.1031:                             ;   in Loop: Header=BB277_799 Depth=1
	s_delay_alu instid0(VALU_DEP_3) | instskip(NEXT) | instid1(VALU_DEP_1)
	v_clz_i32_u32_e32 v18, v6
	v_min_u32_e32 v18, 32, v18
	s_delay_alu instid0(VALU_DEP_1) | instskip(SKIP_1) | instid1(VALU_DEP_2)
	v_subrev_nc_u32_e32 v19, 28, v18
	v_sub_nc_u32_e32 v18, 29, v18
	v_lshlrev_b64 v[130:131], v19, v[6:7]
	s_delay_alu instid0(VALU_DEP_1)
	v_and_b32_e32 v6, 7, v130
; %bb.1032:                             ;   in Loop: Header=BB277_799 Depth=1
	s_or_b32 exec_lo, exec_lo, s15
	v_lshlrev_b32_e32 v19, 24, v129
	s_delay_alu instid0(VALU_DEP_2) | instskip(SKIP_1) | instid1(VALU_DEP_3)
	v_lshlrev_b32_e32 v6, 20, v6
	v_lshl_add_u32 v18, v18, 23, 0x3c000000
	v_and_b32_e32 v19, 0x80000000, v19
	s_delay_alu instid0(VALU_DEP_1)
	v_or3_b32 v19, v6, v19, v18
	v_mov_b32_e32 v18, v7
.LBB277_1033:                           ;   in Loop: Header=BB277_799 Depth=1
	s_or_b32 exec_lo, exec_lo, s10
.LBB277_1034:                           ;   in Loop: Header=BB277_799 Depth=1
	s_delay_alu instid0(SALU_CYCLE_1)
	s_or_b32 exec_lo, exec_lo, s13
.LBB277_1035:                           ;   in Loop: Header=BB277_799 Depth=1
	s_delay_alu instid0(SALU_CYCLE_1) | instskip(SKIP_4) | instid1(VALU_DEP_4)
	s_or_b32 exec_lo, exec_lo, s12
	v_or_b32_e32 v5, v15, v5
	v_or_b32_e32 v4, v14, v4
	;; [unrolled: 1-line block ×4, first 2 shown]
	v_mul_f32_e32 v131, v68, v5
	s_delay_alu instid0(VALU_DEP_4) | instskip(NEXT) | instid1(VALU_DEP_4)
	v_mul_f32_e32 v130, v64, v4
	v_mul_f32_e32 v128, v68, v6
	s_delay_alu instid0(VALU_DEP_4)
	v_mul_f32_e32 v129, v64, v14
	s_and_saveexec_b32 s10, vcc_lo
; %bb.1036:                             ;   in Loop: Header=BB277_799 Depth=1
	v_cmp_lt_i32_e64 s0, v81, v88
	s_delay_alu instid0(VALU_DEP_1) | instskip(SKIP_1) | instid1(VALU_DEP_1)
	v_cndmask_b32_e64 v130, 0, v130, s0
	v_cmp_lt_i32_e64 s0, v83, v88
	v_cndmask_b32_e64 v131, 0, v131, s0
	v_cmp_lt_i32_e64 s0, v82, v88
	s_delay_alu instid0(VALU_DEP_1) | instskip(SKIP_1) | instid1(VALU_DEP_1)
	v_cndmask_b32_e64 v129, 0, v129, s0
	v_cmp_lt_i32_e64 s0, v66, v88
	v_cndmask_b32_e64 v128, 0, v128, s0
; %bb.1037:                             ;   in Loop: Header=BB277_799 Depth=1
	s_or_b32 exec_lo, exec_lo, s10
	flat_load_b32 v132, v[12:13] offset:896
	v_mov_b32_e32 v14, 0
	v_mov_b32_e32 v15, 0
	s_mov_b32 s10, exec_lo
	s_waitcnt vmcnt(0) lgkmcnt(0)
	v_and_b32_e32 v6, 0xff, v132
	s_delay_alu instid0(VALU_DEP_2) | instskip(NEXT) | instid1(VALU_DEP_2)
	v_dual_mov_b32 v4, v14 :: v_dual_mov_b32 v5, v15
	v_cmpx_ne_u16_e32 0, v6
	s_cbranch_execz .LBB277_1045
; %bb.1038:                             ;   in Loop: Header=BB277_799 Depth=1
	v_bfrev_b32_e32 v4, 1
	v_mov_b32_e32 v5, 0
	s_mov_b32 s12, exec_lo
	v_cmpx_ne_u16_e32 0x80, v6
	s_cbranch_execz .LBB277_1044
; %bb.1039:                             ;   in Loop: Header=BB277_799 Depth=1
	v_mov_b32_e32 v4, 0x7f800001
	v_dual_mov_b32 v5, 0 :: v_dual_and_b32 v16, 0x7f, v132
	s_mov_b32 s13, exec_lo
	s_delay_alu instid0(VALU_DEP_1)
	v_cmpx_ne_u32_e32 0x7f, v16
	s_cbranch_execz .LBB277_1043
; %bb.1040:                             ;   in Loop: Header=BB277_799 Depth=1
	v_and_b32_e32 v6, 7, v132
	v_lshrrev_b32_e32 v4, 3, v16
	s_mov_b32 s15, exec_lo
	v_cmpx_gt_u32_e32 8, v16
; %bb.1041:                             ;   in Loop: Header=BB277_799 Depth=1
	s_delay_alu instid0(VALU_DEP_3) | instskip(NEXT) | instid1(VALU_DEP_1)
	v_clz_i32_u32_e32 v4, v6
	v_min_u32_e32 v4, 32, v4
	s_delay_alu instid0(VALU_DEP_1) | instskip(SKIP_1) | instid1(VALU_DEP_2)
	v_subrev_nc_u32_e32 v5, 28, v4
	v_sub_nc_u32_e32 v4, 29, v4
	v_lshlrev_b64 v[5:6], v5, v[6:7]
	s_delay_alu instid0(VALU_DEP_1)
	v_and_b32_e32 v6, 7, v5
; %bb.1042:                             ;   in Loop: Header=BB277_799 Depth=1
	s_or_b32 exec_lo, exec_lo, s15
	v_lshlrev_b32_e32 v5, 24, v132
	s_delay_alu instid0(VALU_DEP_2) | instskip(SKIP_1) | instid1(VALU_DEP_3)
	v_lshlrev_b32_e32 v6, 20, v6
	v_lshl_add_u32 v4, v4, 23, 0x3c000000
	v_and_b32_e32 v5, 0x80000000, v5
	s_delay_alu instid0(VALU_DEP_1) | instskip(NEXT) | instid1(VALU_DEP_1)
	v_or3_b32 v6, v6, v5, v4
	v_dual_mov_b32 v4, v6 :: v_dual_mov_b32 v5, v7
.LBB277_1043:                           ;   in Loop: Header=BB277_799 Depth=1
	s_or_b32 exec_lo, exec_lo, s13
.LBB277_1044:                           ;   in Loop: Header=BB277_799 Depth=1
	s_delay_alu instid0(SALU_CYCLE_1)
	s_or_b32 exec_lo, exec_lo, s12
.LBB277_1045:                           ;   in Loop: Header=BB277_799 Depth=1
	s_delay_alu instid0(SALU_CYCLE_1) | instskip(SKIP_2) | instid1(VALU_DEP_1)
	s_or_b32 exec_lo, exec_lo, s10
	v_lshrrev_b16 v6, 8, v132
	s_mov_b32 s12, exec_lo
	v_cmpx_ne_u16_e32 0, v6
	s_cbranch_execz .LBB277_1053
; %bb.1046:                             ;   in Loop: Header=BB277_799 Depth=1
	v_dual_mov_b32 v15, s9 :: v_dual_mov_b32 v14, s8
	s_mov_b32 s13, exec_lo
	v_cmpx_ne_u16_e32 0x80, v6
	s_cbranch_execz .LBB277_1052
; %bb.1047:                             ;   in Loop: Header=BB277_799 Depth=1
	s_mov_b32 s10, s8
	v_dual_mov_b32 v15, s11 :: v_dual_and_b32 v6, 0xffff, v6
	v_mov_b32_e32 v14, s10
	s_mov_b32 s10, exec_lo
	s_delay_alu instid0(VALU_DEP_2) | instskip(NEXT) | instid1(VALU_DEP_1)
	v_and_b32_e32 v16, 0x7f, v6
	v_cmpx_ne_u32_e32 0x7f, v16
	s_cbranch_execz .LBB277_1051
; %bb.1048:                             ;   in Loop: Header=BB277_799 Depth=1
	v_and_b32_e32 v6, 7, v6
	v_lshrrev_b32_e32 v14, 3, v16
	s_mov_b32 s15, exec_lo
	v_cmpx_gt_u32_e32 8, v16
; %bb.1049:                             ;   in Loop: Header=BB277_799 Depth=1
	s_delay_alu instid0(VALU_DEP_3) | instskip(NEXT) | instid1(VALU_DEP_1)
	v_clz_i32_u32_e32 v14, v6
	v_min_u32_e32 v14, 32, v14
	s_delay_alu instid0(VALU_DEP_1) | instskip(SKIP_1) | instid1(VALU_DEP_2)
	v_subrev_nc_u32_e32 v15, 28, v14
	v_sub_nc_u32_e32 v14, 29, v14
	v_lshlrev_b64 v[15:16], v15, v[6:7]
	s_delay_alu instid0(VALU_DEP_1)
	v_and_b32_e32 v6, 7, v15
; %bb.1050:                             ;   in Loop: Header=BB277_799 Depth=1
	s_or_b32 exec_lo, exec_lo, s15
	v_lshlrev_b32_e32 v15, 16, v132
	s_delay_alu instid0(VALU_DEP_2) | instskip(SKIP_1) | instid1(VALU_DEP_3)
	v_lshlrev_b32_e32 v6, 20, v6
	v_lshl_add_u32 v14, v14, 23, 0x3c000000
	v_and_b32_e32 v15, 0x80000000, v15
	s_delay_alu instid0(VALU_DEP_1)
	v_or3_b32 v15, v6, v15, v14
	v_mov_b32_e32 v14, v7
.LBB277_1051:                           ;   in Loop: Header=BB277_799 Depth=1
	s_or_b32 exec_lo, exec_lo, s10
.LBB277_1052:                           ;   in Loop: Header=BB277_799 Depth=1
	s_delay_alu instid0(SALU_CYCLE_1)
	s_or_b32 exec_lo, exec_lo, s13
.LBB277_1053:                           ;   in Loop: Header=BB277_799 Depth=1
	s_delay_alu instid0(SALU_CYCLE_1) | instskip(SKIP_4) | instid1(VALU_DEP_2)
	s_or_b32 exec_lo, exec_lo, s12
	v_mov_b32_e32 v18, 0
	v_lshrrev_b32_e32 v133, 16, v132
	v_mov_b32_e32 v19, 0
	s_mov_b32 s10, exec_lo
	v_and_b32_e32 v6, 0xff, v133
	s_delay_alu instid0(VALU_DEP_2) | instskip(NEXT) | instid1(VALU_DEP_2)
	v_dual_mov_b32 v16, v18 :: v_dual_mov_b32 v17, v19
	v_cmpx_ne_u16_e32 0, v6
	s_cbranch_execz .LBB277_1061
; %bb.1054:                             ;   in Loop: Header=BB277_799 Depth=1
	v_bfrev_b32_e32 v16, 1
	v_mov_b32_e32 v17, 0
	s_mov_b32 s12, exec_lo
	v_cmpx_ne_u16_e32 0x80, v6
	s_cbranch_execz .LBB277_1060
; %bb.1055:                             ;   in Loop: Header=BB277_799 Depth=1
	v_mov_b32_e32 v16, 0x7f800001
	v_bfe_u32 v134, v132, 16, 7
	v_mov_b32_e32 v17, 0
	s_mov_b32 s13, exec_lo
	s_delay_alu instid0(VALU_DEP_2)
	v_cmpx_ne_u32_e32 0x7f, v134
	s_cbranch_execz .LBB277_1059
; %bb.1056:                             ;   in Loop: Header=BB277_799 Depth=1
	v_and_b32_e32 v6, 7, v133
	v_lshrrev_b32_e32 v16, 3, v134
	s_mov_b32 s15, exec_lo
	v_cmpx_gt_u32_e32 8, v134
; %bb.1057:                             ;   in Loop: Header=BB277_799 Depth=1
	s_delay_alu instid0(VALU_DEP_3) | instskip(NEXT) | instid1(VALU_DEP_1)
	v_clz_i32_u32_e32 v16, v6
	v_min_u32_e32 v16, 32, v16
	s_delay_alu instid0(VALU_DEP_1) | instskip(SKIP_1) | instid1(VALU_DEP_2)
	v_subrev_nc_u32_e32 v17, 28, v16
	v_sub_nc_u32_e32 v16, 29, v16
	v_lshlrev_b64 v[134:135], v17, v[6:7]
	s_delay_alu instid0(VALU_DEP_1)
	v_and_b32_e32 v6, 7, v134
; %bb.1058:                             ;   in Loop: Header=BB277_799 Depth=1
	s_or_b32 exec_lo, exec_lo, s15
	v_lshlrev_b32_e32 v17, 24, v133
	s_delay_alu instid0(VALU_DEP_2) | instskip(SKIP_1) | instid1(VALU_DEP_3)
	v_lshlrev_b32_e32 v6, 20, v6
	v_lshl_add_u32 v16, v16, 23, 0x3c000000
	v_and_b32_e32 v17, 0x80000000, v17
	s_delay_alu instid0(VALU_DEP_1) | instskip(NEXT) | instid1(VALU_DEP_1)
	v_or3_b32 v6, v6, v17, v16
	v_dual_mov_b32 v17, v7 :: v_dual_mov_b32 v16, v6
.LBB277_1059:                           ;   in Loop: Header=BB277_799 Depth=1
	s_or_b32 exec_lo, exec_lo, s13
.LBB277_1060:                           ;   in Loop: Header=BB277_799 Depth=1
	s_delay_alu instid0(SALU_CYCLE_1)
	s_or_b32 exec_lo, exec_lo, s12
.LBB277_1061:                           ;   in Loop: Header=BB277_799 Depth=1
	s_delay_alu instid0(SALU_CYCLE_1) | instskip(NEXT) | instid1(SALU_CYCLE_1)
	s_or_b32 exec_lo, exec_lo, s10
	s_mov_b32 s12, exec_lo
	v_cmpx_lt_u32_e32 0xffffff, v132
	s_cbranch_execz .LBB277_1069
; %bb.1062:                             ;   in Loop: Header=BB277_799 Depth=1
	v_lshrrev_b32_e32 v133, 24, v132
	v_dual_mov_b32 v19, s9 :: v_dual_mov_b32 v18, s8
	s_mov_b32 s13, exec_lo
	s_delay_alu instid0(VALU_DEP_2)
	v_cmpx_ne_u32_e32 0x80, v133
	s_cbranch_execz .LBB277_1068
; %bb.1063:                             ;   in Loop: Header=BB277_799 Depth=1
	s_mov_b32 s10, s8
	v_bfe_u32 v132, v132, 24, 7
	v_dual_mov_b32 v19, s11 :: v_dual_mov_b32 v18, s10
	s_mov_b32 s10, exec_lo
	s_delay_alu instid0(VALU_DEP_2)
	v_cmpx_ne_u32_e32 0x7f, v132
	s_cbranch_execz .LBB277_1067
; %bb.1064:                             ;   in Loop: Header=BB277_799 Depth=1
	v_and_b32_e32 v6, 7, v133
	v_lshrrev_b32_e32 v18, 3, v132
	s_mov_b32 s15, exec_lo
	v_cmpx_gt_u32_e32 8, v132
; %bb.1065:                             ;   in Loop: Header=BB277_799 Depth=1
	s_delay_alu instid0(VALU_DEP_3) | instskip(NEXT) | instid1(VALU_DEP_1)
	v_clz_i32_u32_e32 v18, v6
	v_min_u32_e32 v18, 32, v18
	s_delay_alu instid0(VALU_DEP_1) | instskip(SKIP_1) | instid1(VALU_DEP_2)
	v_subrev_nc_u32_e32 v19, 28, v18
	v_sub_nc_u32_e32 v18, 29, v18
	v_lshlrev_b64 v[134:135], v19, v[6:7]
	s_delay_alu instid0(VALU_DEP_1)
	v_and_b32_e32 v6, 7, v134
; %bb.1066:                             ;   in Loop: Header=BB277_799 Depth=1
	s_or_b32 exec_lo, exec_lo, s15
	v_lshlrev_b32_e32 v19, 24, v133
	s_delay_alu instid0(VALU_DEP_2) | instskip(SKIP_1) | instid1(VALU_DEP_3)
	v_lshlrev_b32_e32 v6, 20, v6
	v_lshl_add_u32 v18, v18, 23, 0x3c000000
	v_and_b32_e32 v19, 0x80000000, v19
	s_delay_alu instid0(VALU_DEP_1)
	v_or3_b32 v19, v6, v19, v18
	v_mov_b32_e32 v18, v7
.LBB277_1067:                           ;   in Loop: Header=BB277_799 Depth=1
	s_or_b32 exec_lo, exec_lo, s10
.LBB277_1068:                           ;   in Loop: Header=BB277_799 Depth=1
	s_delay_alu instid0(SALU_CYCLE_1)
	s_or_b32 exec_lo, exec_lo, s13
.LBB277_1069:                           ;   in Loop: Header=BB277_799 Depth=1
	s_delay_alu instid0(SALU_CYCLE_1) | instskip(SKIP_4) | instid1(VALU_DEP_4)
	s_or_b32 exec_lo, exec_lo, s12
	v_or_b32_e32 v5, v15, v5
	v_or_b32_e32 v4, v14, v4
	v_or_b32_e32 v6, v19, v17
	v_or_b32_e32 v14, v18, v16
	v_mul_f32_e32 v135, v68, v5
	s_delay_alu instid0(VALU_DEP_4) | instskip(NEXT) | instid1(VALU_DEP_4)
	v_mul_f32_e32 v134, v64, v4
	v_mul_f32_e32 v132, v68, v6
	s_delay_alu instid0(VALU_DEP_4)
	v_mul_f32_e32 v133, v64, v14
	s_and_saveexec_b32 s10, vcc_lo
; %bb.1070:                             ;   in Loop: Header=BB277_799 Depth=1
	v_cmp_lt_i32_e64 s0, v81, v88
	s_delay_alu instid0(VALU_DEP_1) | instskip(SKIP_1) | instid1(VALU_DEP_1)
	v_cndmask_b32_e64 v134, 0, v134, s0
	v_cmp_lt_i32_e64 s0, v83, v88
	v_cndmask_b32_e64 v135, 0, v135, s0
	v_cmp_lt_i32_e64 s0, v82, v88
	s_delay_alu instid0(VALU_DEP_1) | instskip(SKIP_1) | instid1(VALU_DEP_1)
	v_cndmask_b32_e64 v133, 0, v133, s0
	v_cmp_lt_i32_e64 s0, v66, v88
	v_cndmask_b32_e64 v132, 0, v132, s0
; %bb.1071:                             ;   in Loop: Header=BB277_799 Depth=1
	s_or_b32 exec_lo, exec_lo, s10
	flat_load_b32 v144, v[12:13] offset:1024
	v_mov_b32_e32 v14, 0
	v_mov_b32_e32 v15, 0
	s_mov_b32 s10, exec_lo
	s_waitcnt vmcnt(0) lgkmcnt(0)
	v_and_b32_e32 v6, 0xff, v144
	s_delay_alu instid0(VALU_DEP_2) | instskip(NEXT) | instid1(VALU_DEP_2)
	v_dual_mov_b32 v4, v14 :: v_dual_mov_b32 v5, v15
	v_cmpx_ne_u16_e32 0, v6
	s_cbranch_execz .LBB277_1079
; %bb.1072:                             ;   in Loop: Header=BB277_799 Depth=1
	v_bfrev_b32_e32 v4, 1
	v_mov_b32_e32 v5, 0
	s_mov_b32 s12, exec_lo
	v_cmpx_ne_u16_e32 0x80, v6
	s_cbranch_execz .LBB277_1078
; %bb.1073:                             ;   in Loop: Header=BB277_799 Depth=1
	v_mov_b32_e32 v4, 0x7f800001
	v_dual_mov_b32 v5, 0 :: v_dual_and_b32 v16, 0x7f, v144
	s_mov_b32 s13, exec_lo
	s_delay_alu instid0(VALU_DEP_1)
	v_cmpx_ne_u32_e32 0x7f, v16
	s_cbranch_execz .LBB277_1077
; %bb.1074:                             ;   in Loop: Header=BB277_799 Depth=1
	v_and_b32_e32 v6, 7, v144
	v_lshrrev_b32_e32 v4, 3, v16
	s_mov_b32 s15, exec_lo
	v_cmpx_gt_u32_e32 8, v16
; %bb.1075:                             ;   in Loop: Header=BB277_799 Depth=1
	s_delay_alu instid0(VALU_DEP_3) | instskip(NEXT) | instid1(VALU_DEP_1)
	v_clz_i32_u32_e32 v4, v6
	v_min_u32_e32 v4, 32, v4
	s_delay_alu instid0(VALU_DEP_1) | instskip(SKIP_1) | instid1(VALU_DEP_2)
	v_subrev_nc_u32_e32 v5, 28, v4
	v_sub_nc_u32_e32 v4, 29, v4
	v_lshlrev_b64 v[5:6], v5, v[6:7]
	s_delay_alu instid0(VALU_DEP_1)
	v_and_b32_e32 v6, 7, v5
; %bb.1076:                             ;   in Loop: Header=BB277_799 Depth=1
	s_or_b32 exec_lo, exec_lo, s15
	v_lshlrev_b32_e32 v5, 24, v144
	s_delay_alu instid0(VALU_DEP_2) | instskip(SKIP_1) | instid1(VALU_DEP_3)
	v_lshlrev_b32_e32 v6, 20, v6
	v_lshl_add_u32 v4, v4, 23, 0x3c000000
	v_and_b32_e32 v5, 0x80000000, v5
	s_delay_alu instid0(VALU_DEP_1) | instskip(NEXT) | instid1(VALU_DEP_1)
	v_or3_b32 v6, v6, v5, v4
	v_dual_mov_b32 v4, v6 :: v_dual_mov_b32 v5, v7
.LBB277_1077:                           ;   in Loop: Header=BB277_799 Depth=1
	s_or_b32 exec_lo, exec_lo, s13
.LBB277_1078:                           ;   in Loop: Header=BB277_799 Depth=1
	s_delay_alu instid0(SALU_CYCLE_1)
	s_or_b32 exec_lo, exec_lo, s12
.LBB277_1079:                           ;   in Loop: Header=BB277_799 Depth=1
	s_delay_alu instid0(SALU_CYCLE_1) | instskip(SKIP_2) | instid1(VALU_DEP_1)
	s_or_b32 exec_lo, exec_lo, s10
	v_lshrrev_b16 v6, 8, v144
	s_mov_b32 s12, exec_lo
	v_cmpx_ne_u16_e32 0, v6
	s_cbranch_execz .LBB277_1087
; %bb.1080:                             ;   in Loop: Header=BB277_799 Depth=1
	v_dual_mov_b32 v15, s9 :: v_dual_mov_b32 v14, s8
	s_mov_b32 s13, exec_lo
	v_cmpx_ne_u16_e32 0x80, v6
	s_cbranch_execz .LBB277_1086
; %bb.1081:                             ;   in Loop: Header=BB277_799 Depth=1
	s_mov_b32 s10, s8
	v_dual_mov_b32 v15, s11 :: v_dual_and_b32 v6, 0xffff, v6
	v_mov_b32_e32 v14, s10
	s_mov_b32 s10, exec_lo
	s_delay_alu instid0(VALU_DEP_2) | instskip(NEXT) | instid1(VALU_DEP_1)
	v_and_b32_e32 v16, 0x7f, v6
	v_cmpx_ne_u32_e32 0x7f, v16
	s_cbranch_execz .LBB277_1085
; %bb.1082:                             ;   in Loop: Header=BB277_799 Depth=1
	v_and_b32_e32 v6, 7, v6
	v_lshrrev_b32_e32 v14, 3, v16
	s_mov_b32 s15, exec_lo
	v_cmpx_gt_u32_e32 8, v16
; %bb.1083:                             ;   in Loop: Header=BB277_799 Depth=1
	s_delay_alu instid0(VALU_DEP_3) | instskip(NEXT) | instid1(VALU_DEP_1)
	v_clz_i32_u32_e32 v14, v6
	v_min_u32_e32 v14, 32, v14
	s_delay_alu instid0(VALU_DEP_1) | instskip(SKIP_1) | instid1(VALU_DEP_2)
	v_subrev_nc_u32_e32 v15, 28, v14
	v_sub_nc_u32_e32 v14, 29, v14
	v_lshlrev_b64 v[15:16], v15, v[6:7]
	s_delay_alu instid0(VALU_DEP_1)
	v_and_b32_e32 v6, 7, v15
; %bb.1084:                             ;   in Loop: Header=BB277_799 Depth=1
	s_or_b32 exec_lo, exec_lo, s15
	v_lshlrev_b32_e32 v15, 16, v144
	s_delay_alu instid0(VALU_DEP_2) | instskip(SKIP_1) | instid1(VALU_DEP_3)
	v_lshlrev_b32_e32 v6, 20, v6
	v_lshl_add_u32 v14, v14, 23, 0x3c000000
	v_and_b32_e32 v15, 0x80000000, v15
	s_delay_alu instid0(VALU_DEP_1)
	v_or3_b32 v15, v6, v15, v14
	v_mov_b32_e32 v14, v7
.LBB277_1085:                           ;   in Loop: Header=BB277_799 Depth=1
	s_or_b32 exec_lo, exec_lo, s10
.LBB277_1086:                           ;   in Loop: Header=BB277_799 Depth=1
	s_delay_alu instid0(SALU_CYCLE_1)
	s_or_b32 exec_lo, exec_lo, s13
.LBB277_1087:                           ;   in Loop: Header=BB277_799 Depth=1
	s_delay_alu instid0(SALU_CYCLE_1) | instskip(SKIP_4) | instid1(VALU_DEP_2)
	s_or_b32 exec_lo, exec_lo, s12
	v_mov_b32_e32 v18, 0
	v_lshrrev_b32_e32 v145, 16, v144
	v_mov_b32_e32 v19, 0
	s_mov_b32 s10, exec_lo
	v_and_b32_e32 v6, 0xff, v145
	s_delay_alu instid0(VALU_DEP_2) | instskip(NEXT) | instid1(VALU_DEP_2)
	v_dual_mov_b32 v16, v18 :: v_dual_mov_b32 v17, v19
	v_cmpx_ne_u16_e32 0, v6
	s_cbranch_execz .LBB277_1095
; %bb.1088:                             ;   in Loop: Header=BB277_799 Depth=1
	v_bfrev_b32_e32 v16, 1
	v_mov_b32_e32 v17, 0
	s_mov_b32 s12, exec_lo
	v_cmpx_ne_u16_e32 0x80, v6
	s_cbranch_execz .LBB277_1094
; %bb.1089:                             ;   in Loop: Header=BB277_799 Depth=1
	v_mov_b32_e32 v16, 0x7f800001
	v_bfe_u32 v146, v144, 16, 7
	v_mov_b32_e32 v17, 0
	s_mov_b32 s13, exec_lo
	s_delay_alu instid0(VALU_DEP_2)
	v_cmpx_ne_u32_e32 0x7f, v146
	s_cbranch_execz .LBB277_1093
; %bb.1090:                             ;   in Loop: Header=BB277_799 Depth=1
	v_and_b32_e32 v6, 7, v145
	v_lshrrev_b32_e32 v16, 3, v146
	s_mov_b32 s15, exec_lo
	v_cmpx_gt_u32_e32 8, v146
; %bb.1091:                             ;   in Loop: Header=BB277_799 Depth=1
	s_delay_alu instid0(VALU_DEP_3) | instskip(NEXT) | instid1(VALU_DEP_1)
	v_clz_i32_u32_e32 v16, v6
	v_min_u32_e32 v16, 32, v16
	s_delay_alu instid0(VALU_DEP_1) | instskip(SKIP_1) | instid1(VALU_DEP_2)
	v_subrev_nc_u32_e32 v17, 28, v16
	v_sub_nc_u32_e32 v16, 29, v16
	v_lshlrev_b64 v[146:147], v17, v[6:7]
	s_delay_alu instid0(VALU_DEP_1)
	v_and_b32_e32 v6, 7, v146
; %bb.1092:                             ;   in Loop: Header=BB277_799 Depth=1
	s_or_b32 exec_lo, exec_lo, s15
	v_lshlrev_b32_e32 v17, 24, v145
	s_delay_alu instid0(VALU_DEP_2) | instskip(SKIP_1) | instid1(VALU_DEP_3)
	v_lshlrev_b32_e32 v6, 20, v6
	v_lshl_add_u32 v16, v16, 23, 0x3c000000
	v_and_b32_e32 v17, 0x80000000, v17
	s_delay_alu instid0(VALU_DEP_1) | instskip(NEXT) | instid1(VALU_DEP_1)
	v_or3_b32 v6, v6, v17, v16
	v_dual_mov_b32 v17, v7 :: v_dual_mov_b32 v16, v6
.LBB277_1093:                           ;   in Loop: Header=BB277_799 Depth=1
	s_or_b32 exec_lo, exec_lo, s13
.LBB277_1094:                           ;   in Loop: Header=BB277_799 Depth=1
	s_delay_alu instid0(SALU_CYCLE_1)
	s_or_b32 exec_lo, exec_lo, s12
.LBB277_1095:                           ;   in Loop: Header=BB277_799 Depth=1
	s_delay_alu instid0(SALU_CYCLE_1) | instskip(NEXT) | instid1(SALU_CYCLE_1)
	s_or_b32 exec_lo, exec_lo, s10
	s_mov_b32 s12, exec_lo
	v_cmpx_lt_u32_e32 0xffffff, v144
	s_cbranch_execz .LBB277_1103
; %bb.1096:                             ;   in Loop: Header=BB277_799 Depth=1
	v_lshrrev_b32_e32 v145, 24, v144
	v_dual_mov_b32 v19, s9 :: v_dual_mov_b32 v18, s8
	s_mov_b32 s13, exec_lo
	s_delay_alu instid0(VALU_DEP_2)
	v_cmpx_ne_u32_e32 0x80, v145
	s_cbranch_execz .LBB277_1102
; %bb.1097:                             ;   in Loop: Header=BB277_799 Depth=1
	s_mov_b32 s10, s8
	v_bfe_u32 v144, v144, 24, 7
	v_dual_mov_b32 v19, s11 :: v_dual_mov_b32 v18, s10
	s_mov_b32 s10, exec_lo
	s_delay_alu instid0(VALU_DEP_2)
	v_cmpx_ne_u32_e32 0x7f, v144
	s_cbranch_execz .LBB277_1101
; %bb.1098:                             ;   in Loop: Header=BB277_799 Depth=1
	v_and_b32_e32 v6, 7, v145
	v_lshrrev_b32_e32 v18, 3, v144
	s_mov_b32 s15, exec_lo
	v_cmpx_gt_u32_e32 8, v144
; %bb.1099:                             ;   in Loop: Header=BB277_799 Depth=1
	s_delay_alu instid0(VALU_DEP_3) | instskip(NEXT) | instid1(VALU_DEP_1)
	v_clz_i32_u32_e32 v18, v6
	v_min_u32_e32 v18, 32, v18
	s_delay_alu instid0(VALU_DEP_1) | instskip(SKIP_1) | instid1(VALU_DEP_2)
	v_subrev_nc_u32_e32 v19, 28, v18
	v_sub_nc_u32_e32 v18, 29, v18
	v_lshlrev_b64 v[146:147], v19, v[6:7]
	s_delay_alu instid0(VALU_DEP_1)
	v_and_b32_e32 v6, 7, v146
; %bb.1100:                             ;   in Loop: Header=BB277_799 Depth=1
	s_or_b32 exec_lo, exec_lo, s15
	v_lshlrev_b32_e32 v19, 24, v145
	s_delay_alu instid0(VALU_DEP_2) | instskip(SKIP_1) | instid1(VALU_DEP_3)
	v_lshlrev_b32_e32 v6, 20, v6
	v_lshl_add_u32 v18, v18, 23, 0x3c000000
	v_and_b32_e32 v19, 0x80000000, v19
	s_delay_alu instid0(VALU_DEP_1)
	v_or3_b32 v19, v6, v19, v18
	v_mov_b32_e32 v18, v7
.LBB277_1101:                           ;   in Loop: Header=BB277_799 Depth=1
	s_or_b32 exec_lo, exec_lo, s10
.LBB277_1102:                           ;   in Loop: Header=BB277_799 Depth=1
	s_delay_alu instid0(SALU_CYCLE_1)
	s_or_b32 exec_lo, exec_lo, s13
.LBB277_1103:                           ;   in Loop: Header=BB277_799 Depth=1
	s_delay_alu instid0(SALU_CYCLE_1) | instskip(SKIP_4) | instid1(VALU_DEP_4)
	s_or_b32 exec_lo, exec_lo, s12
	v_or_b32_e32 v5, v15, v5
	v_or_b32_e32 v4, v14, v4
	;; [unrolled: 1-line block ×4, first 2 shown]
	v_mul_f32_e32 v147, v68, v5
	s_delay_alu instid0(VALU_DEP_4) | instskip(NEXT) | instid1(VALU_DEP_4)
	v_mul_f32_e32 v146, v64, v4
	v_mul_f32_e32 v144, v68, v6
	s_delay_alu instid0(VALU_DEP_4)
	v_mul_f32_e32 v145, v64, v14
	s_and_saveexec_b32 s10, vcc_lo
; %bb.1104:                             ;   in Loop: Header=BB277_799 Depth=1
	v_cmp_lt_i32_e64 s0, v81, v88
	s_delay_alu instid0(VALU_DEP_1) | instskip(SKIP_1) | instid1(VALU_DEP_1)
	v_cndmask_b32_e64 v146, 0, v146, s0
	v_cmp_lt_i32_e64 s0, v83, v88
	v_cndmask_b32_e64 v147, 0, v147, s0
	v_cmp_lt_i32_e64 s0, v82, v88
	s_delay_alu instid0(VALU_DEP_1) | instskip(SKIP_1) | instid1(VALU_DEP_1)
	v_cndmask_b32_e64 v145, 0, v145, s0
	v_cmp_lt_i32_e64 s0, v66, v88
	v_cndmask_b32_e64 v144, 0, v144, s0
; %bb.1105:                             ;   in Loop: Header=BB277_799 Depth=1
	s_or_b32 exec_lo, exec_lo, s10
	flat_load_b32 v148, v[12:13] offset:1152
	v_mov_b32_e32 v14, 0
	v_mov_b32_e32 v15, 0
	s_mov_b32 s10, exec_lo
	s_waitcnt vmcnt(0) lgkmcnt(0)
	v_and_b32_e32 v6, 0xff, v148
	s_delay_alu instid0(VALU_DEP_2) | instskip(NEXT) | instid1(VALU_DEP_2)
	v_dual_mov_b32 v4, v14 :: v_dual_mov_b32 v5, v15
	v_cmpx_ne_u16_e32 0, v6
	s_cbranch_execz .LBB277_1113
; %bb.1106:                             ;   in Loop: Header=BB277_799 Depth=1
	v_bfrev_b32_e32 v4, 1
	v_mov_b32_e32 v5, 0
	s_mov_b32 s12, exec_lo
	v_cmpx_ne_u16_e32 0x80, v6
	s_cbranch_execz .LBB277_1112
; %bb.1107:                             ;   in Loop: Header=BB277_799 Depth=1
	v_mov_b32_e32 v4, 0x7f800001
	v_dual_mov_b32 v5, 0 :: v_dual_and_b32 v16, 0x7f, v148
	s_mov_b32 s13, exec_lo
	s_delay_alu instid0(VALU_DEP_1)
	v_cmpx_ne_u32_e32 0x7f, v16
	s_cbranch_execz .LBB277_1111
; %bb.1108:                             ;   in Loop: Header=BB277_799 Depth=1
	v_and_b32_e32 v6, 7, v148
	v_lshrrev_b32_e32 v4, 3, v16
	s_mov_b32 s15, exec_lo
	v_cmpx_gt_u32_e32 8, v16
; %bb.1109:                             ;   in Loop: Header=BB277_799 Depth=1
	s_delay_alu instid0(VALU_DEP_3) | instskip(NEXT) | instid1(VALU_DEP_1)
	v_clz_i32_u32_e32 v4, v6
	v_min_u32_e32 v4, 32, v4
	s_delay_alu instid0(VALU_DEP_1) | instskip(SKIP_1) | instid1(VALU_DEP_2)
	v_subrev_nc_u32_e32 v5, 28, v4
	v_sub_nc_u32_e32 v4, 29, v4
	v_lshlrev_b64 v[5:6], v5, v[6:7]
	s_delay_alu instid0(VALU_DEP_1)
	v_and_b32_e32 v6, 7, v5
; %bb.1110:                             ;   in Loop: Header=BB277_799 Depth=1
	s_or_b32 exec_lo, exec_lo, s15
	v_lshlrev_b32_e32 v5, 24, v148
	s_delay_alu instid0(VALU_DEP_2) | instskip(SKIP_1) | instid1(VALU_DEP_3)
	v_lshlrev_b32_e32 v6, 20, v6
	v_lshl_add_u32 v4, v4, 23, 0x3c000000
	v_and_b32_e32 v5, 0x80000000, v5
	s_delay_alu instid0(VALU_DEP_1) | instskip(NEXT) | instid1(VALU_DEP_1)
	v_or3_b32 v6, v6, v5, v4
	v_dual_mov_b32 v4, v6 :: v_dual_mov_b32 v5, v7
.LBB277_1111:                           ;   in Loop: Header=BB277_799 Depth=1
	s_or_b32 exec_lo, exec_lo, s13
.LBB277_1112:                           ;   in Loop: Header=BB277_799 Depth=1
	s_delay_alu instid0(SALU_CYCLE_1)
	s_or_b32 exec_lo, exec_lo, s12
.LBB277_1113:                           ;   in Loop: Header=BB277_799 Depth=1
	s_delay_alu instid0(SALU_CYCLE_1) | instskip(SKIP_2) | instid1(VALU_DEP_1)
	s_or_b32 exec_lo, exec_lo, s10
	v_lshrrev_b16 v6, 8, v148
	s_mov_b32 s12, exec_lo
	v_cmpx_ne_u16_e32 0, v6
	s_cbranch_execz .LBB277_1121
; %bb.1114:                             ;   in Loop: Header=BB277_799 Depth=1
	v_dual_mov_b32 v15, s9 :: v_dual_mov_b32 v14, s8
	s_mov_b32 s13, exec_lo
	v_cmpx_ne_u16_e32 0x80, v6
	s_cbranch_execz .LBB277_1120
; %bb.1115:                             ;   in Loop: Header=BB277_799 Depth=1
	s_mov_b32 s10, s8
	v_dual_mov_b32 v15, s11 :: v_dual_and_b32 v6, 0xffff, v6
	v_mov_b32_e32 v14, s10
	s_mov_b32 s10, exec_lo
	s_delay_alu instid0(VALU_DEP_2) | instskip(NEXT) | instid1(VALU_DEP_1)
	v_and_b32_e32 v16, 0x7f, v6
	v_cmpx_ne_u32_e32 0x7f, v16
	s_cbranch_execz .LBB277_1119
; %bb.1116:                             ;   in Loop: Header=BB277_799 Depth=1
	v_and_b32_e32 v6, 7, v6
	v_lshrrev_b32_e32 v14, 3, v16
	s_mov_b32 s15, exec_lo
	v_cmpx_gt_u32_e32 8, v16
; %bb.1117:                             ;   in Loop: Header=BB277_799 Depth=1
	s_delay_alu instid0(VALU_DEP_3) | instskip(NEXT) | instid1(VALU_DEP_1)
	v_clz_i32_u32_e32 v14, v6
	v_min_u32_e32 v14, 32, v14
	s_delay_alu instid0(VALU_DEP_1) | instskip(SKIP_1) | instid1(VALU_DEP_2)
	v_subrev_nc_u32_e32 v15, 28, v14
	v_sub_nc_u32_e32 v14, 29, v14
	v_lshlrev_b64 v[15:16], v15, v[6:7]
	s_delay_alu instid0(VALU_DEP_1)
	v_and_b32_e32 v6, 7, v15
; %bb.1118:                             ;   in Loop: Header=BB277_799 Depth=1
	s_or_b32 exec_lo, exec_lo, s15
	v_lshlrev_b32_e32 v15, 16, v148
	s_delay_alu instid0(VALU_DEP_2) | instskip(SKIP_1) | instid1(VALU_DEP_3)
	v_lshlrev_b32_e32 v6, 20, v6
	v_lshl_add_u32 v14, v14, 23, 0x3c000000
	v_and_b32_e32 v15, 0x80000000, v15
	s_delay_alu instid0(VALU_DEP_1)
	v_or3_b32 v15, v6, v15, v14
	v_mov_b32_e32 v14, v7
.LBB277_1119:                           ;   in Loop: Header=BB277_799 Depth=1
	s_or_b32 exec_lo, exec_lo, s10
.LBB277_1120:                           ;   in Loop: Header=BB277_799 Depth=1
	s_delay_alu instid0(SALU_CYCLE_1)
	s_or_b32 exec_lo, exec_lo, s13
.LBB277_1121:                           ;   in Loop: Header=BB277_799 Depth=1
	s_delay_alu instid0(SALU_CYCLE_1) | instskip(SKIP_4) | instid1(VALU_DEP_2)
	s_or_b32 exec_lo, exec_lo, s12
	v_mov_b32_e32 v18, 0
	v_lshrrev_b32_e32 v149, 16, v148
	v_mov_b32_e32 v19, 0
	s_mov_b32 s10, exec_lo
	v_and_b32_e32 v6, 0xff, v149
	s_delay_alu instid0(VALU_DEP_2) | instskip(NEXT) | instid1(VALU_DEP_2)
	v_dual_mov_b32 v16, v18 :: v_dual_mov_b32 v17, v19
	v_cmpx_ne_u16_e32 0, v6
	s_cbranch_execz .LBB277_1129
; %bb.1122:                             ;   in Loop: Header=BB277_799 Depth=1
	v_bfrev_b32_e32 v16, 1
	v_mov_b32_e32 v17, 0
	s_mov_b32 s12, exec_lo
	v_cmpx_ne_u16_e32 0x80, v6
	s_cbranch_execz .LBB277_1128
; %bb.1123:                             ;   in Loop: Header=BB277_799 Depth=1
	v_mov_b32_e32 v16, 0x7f800001
	v_bfe_u32 v150, v148, 16, 7
	v_mov_b32_e32 v17, 0
	s_mov_b32 s13, exec_lo
	s_delay_alu instid0(VALU_DEP_2)
	v_cmpx_ne_u32_e32 0x7f, v150
	s_cbranch_execz .LBB277_1127
; %bb.1124:                             ;   in Loop: Header=BB277_799 Depth=1
	v_and_b32_e32 v6, 7, v149
	v_lshrrev_b32_e32 v16, 3, v150
	s_mov_b32 s15, exec_lo
	v_cmpx_gt_u32_e32 8, v150
; %bb.1125:                             ;   in Loop: Header=BB277_799 Depth=1
	s_delay_alu instid0(VALU_DEP_3) | instskip(NEXT) | instid1(VALU_DEP_1)
	v_clz_i32_u32_e32 v16, v6
	v_min_u32_e32 v16, 32, v16
	s_delay_alu instid0(VALU_DEP_1) | instskip(SKIP_1) | instid1(VALU_DEP_2)
	v_subrev_nc_u32_e32 v17, 28, v16
	v_sub_nc_u32_e32 v16, 29, v16
	v_lshlrev_b64 v[150:151], v17, v[6:7]
	s_delay_alu instid0(VALU_DEP_1)
	v_and_b32_e32 v6, 7, v150
; %bb.1126:                             ;   in Loop: Header=BB277_799 Depth=1
	s_or_b32 exec_lo, exec_lo, s15
	v_lshlrev_b32_e32 v17, 24, v149
	s_delay_alu instid0(VALU_DEP_2) | instskip(SKIP_1) | instid1(VALU_DEP_3)
	v_lshlrev_b32_e32 v6, 20, v6
	v_lshl_add_u32 v16, v16, 23, 0x3c000000
	v_and_b32_e32 v17, 0x80000000, v17
	s_delay_alu instid0(VALU_DEP_1) | instskip(NEXT) | instid1(VALU_DEP_1)
	v_or3_b32 v6, v6, v17, v16
	v_dual_mov_b32 v17, v7 :: v_dual_mov_b32 v16, v6
.LBB277_1127:                           ;   in Loop: Header=BB277_799 Depth=1
	s_or_b32 exec_lo, exec_lo, s13
.LBB277_1128:                           ;   in Loop: Header=BB277_799 Depth=1
	s_delay_alu instid0(SALU_CYCLE_1)
	s_or_b32 exec_lo, exec_lo, s12
.LBB277_1129:                           ;   in Loop: Header=BB277_799 Depth=1
	s_delay_alu instid0(SALU_CYCLE_1) | instskip(NEXT) | instid1(SALU_CYCLE_1)
	s_or_b32 exec_lo, exec_lo, s10
	s_mov_b32 s12, exec_lo
	v_cmpx_lt_u32_e32 0xffffff, v148
	s_cbranch_execz .LBB277_1137
; %bb.1130:                             ;   in Loop: Header=BB277_799 Depth=1
	v_lshrrev_b32_e32 v149, 24, v148
	v_dual_mov_b32 v19, s9 :: v_dual_mov_b32 v18, s8
	s_mov_b32 s13, exec_lo
	s_delay_alu instid0(VALU_DEP_2)
	v_cmpx_ne_u32_e32 0x80, v149
	s_cbranch_execz .LBB277_1136
; %bb.1131:                             ;   in Loop: Header=BB277_799 Depth=1
	s_mov_b32 s10, s8
	v_bfe_u32 v148, v148, 24, 7
	v_dual_mov_b32 v19, s11 :: v_dual_mov_b32 v18, s10
	s_mov_b32 s10, exec_lo
	s_delay_alu instid0(VALU_DEP_2)
	v_cmpx_ne_u32_e32 0x7f, v148
	s_cbranch_execz .LBB277_1135
; %bb.1132:                             ;   in Loop: Header=BB277_799 Depth=1
	v_and_b32_e32 v6, 7, v149
	v_lshrrev_b32_e32 v18, 3, v148
	s_mov_b32 s15, exec_lo
	v_cmpx_gt_u32_e32 8, v148
; %bb.1133:                             ;   in Loop: Header=BB277_799 Depth=1
	s_delay_alu instid0(VALU_DEP_3) | instskip(NEXT) | instid1(VALU_DEP_1)
	v_clz_i32_u32_e32 v18, v6
	v_min_u32_e32 v18, 32, v18
	s_delay_alu instid0(VALU_DEP_1) | instskip(SKIP_1) | instid1(VALU_DEP_2)
	v_subrev_nc_u32_e32 v19, 28, v18
	v_sub_nc_u32_e32 v18, 29, v18
	v_lshlrev_b64 v[150:151], v19, v[6:7]
	s_delay_alu instid0(VALU_DEP_1)
	v_and_b32_e32 v6, 7, v150
; %bb.1134:                             ;   in Loop: Header=BB277_799 Depth=1
	s_or_b32 exec_lo, exec_lo, s15
	v_lshlrev_b32_e32 v19, 24, v149
	s_delay_alu instid0(VALU_DEP_2) | instskip(SKIP_1) | instid1(VALU_DEP_3)
	v_lshlrev_b32_e32 v6, 20, v6
	v_lshl_add_u32 v18, v18, 23, 0x3c000000
	v_and_b32_e32 v19, 0x80000000, v19
	s_delay_alu instid0(VALU_DEP_1)
	v_or3_b32 v19, v6, v19, v18
	v_mov_b32_e32 v18, v7
.LBB277_1135:                           ;   in Loop: Header=BB277_799 Depth=1
	s_or_b32 exec_lo, exec_lo, s10
.LBB277_1136:                           ;   in Loop: Header=BB277_799 Depth=1
	s_delay_alu instid0(SALU_CYCLE_1)
	s_or_b32 exec_lo, exec_lo, s13
.LBB277_1137:                           ;   in Loop: Header=BB277_799 Depth=1
	s_delay_alu instid0(SALU_CYCLE_1) | instskip(SKIP_4) | instid1(VALU_DEP_4)
	s_or_b32 exec_lo, exec_lo, s12
	v_or_b32_e32 v5, v15, v5
	v_or_b32_e32 v4, v14, v4
	v_or_b32_e32 v6, v19, v17
	v_or_b32_e32 v14, v18, v16
	v_mul_f32_e32 v151, v68, v5
	s_delay_alu instid0(VALU_DEP_4) | instskip(NEXT) | instid1(VALU_DEP_4)
	v_mul_f32_e32 v150, v64, v4
	v_mul_f32_e32 v148, v68, v6
	s_delay_alu instid0(VALU_DEP_4)
	v_mul_f32_e32 v149, v64, v14
	s_and_saveexec_b32 s10, vcc_lo
; %bb.1138:                             ;   in Loop: Header=BB277_799 Depth=1
	v_cmp_lt_i32_e64 s0, v81, v88
	s_delay_alu instid0(VALU_DEP_1) | instskip(SKIP_1) | instid1(VALU_DEP_1)
	v_cndmask_b32_e64 v150, 0, v150, s0
	v_cmp_lt_i32_e64 s0, v83, v88
	v_cndmask_b32_e64 v151, 0, v151, s0
	v_cmp_lt_i32_e64 s0, v82, v88
	s_delay_alu instid0(VALU_DEP_1) | instskip(SKIP_1) | instid1(VALU_DEP_1)
	v_cndmask_b32_e64 v149, 0, v149, s0
	v_cmp_lt_i32_e64 s0, v66, v88
	v_cndmask_b32_e64 v148, 0, v148, s0
; %bb.1139:                             ;   in Loop: Header=BB277_799 Depth=1
	s_or_b32 exec_lo, exec_lo, s10
	flat_load_b32 v160, v[12:13] offset:1280
	v_mov_b32_e32 v14, 0
	v_mov_b32_e32 v15, 0
	s_mov_b32 s10, exec_lo
	s_waitcnt vmcnt(0) lgkmcnt(0)
	v_and_b32_e32 v6, 0xff, v160
	s_delay_alu instid0(VALU_DEP_2) | instskip(NEXT) | instid1(VALU_DEP_2)
	v_dual_mov_b32 v4, v14 :: v_dual_mov_b32 v5, v15
	v_cmpx_ne_u16_e32 0, v6
	s_cbranch_execz .LBB277_1147
; %bb.1140:                             ;   in Loop: Header=BB277_799 Depth=1
	v_bfrev_b32_e32 v4, 1
	v_mov_b32_e32 v5, 0
	s_mov_b32 s12, exec_lo
	v_cmpx_ne_u16_e32 0x80, v6
	s_cbranch_execz .LBB277_1146
; %bb.1141:                             ;   in Loop: Header=BB277_799 Depth=1
	v_mov_b32_e32 v4, 0x7f800001
	v_dual_mov_b32 v5, 0 :: v_dual_and_b32 v16, 0x7f, v160
	s_mov_b32 s13, exec_lo
	s_delay_alu instid0(VALU_DEP_1)
	v_cmpx_ne_u32_e32 0x7f, v16
	s_cbranch_execz .LBB277_1145
; %bb.1142:                             ;   in Loop: Header=BB277_799 Depth=1
	v_and_b32_e32 v6, 7, v160
	v_lshrrev_b32_e32 v4, 3, v16
	s_mov_b32 s15, exec_lo
	v_cmpx_gt_u32_e32 8, v16
; %bb.1143:                             ;   in Loop: Header=BB277_799 Depth=1
	s_delay_alu instid0(VALU_DEP_3) | instskip(NEXT) | instid1(VALU_DEP_1)
	v_clz_i32_u32_e32 v4, v6
	v_min_u32_e32 v4, 32, v4
	s_delay_alu instid0(VALU_DEP_1) | instskip(SKIP_1) | instid1(VALU_DEP_2)
	v_subrev_nc_u32_e32 v5, 28, v4
	v_sub_nc_u32_e32 v4, 29, v4
	v_lshlrev_b64 v[5:6], v5, v[6:7]
	s_delay_alu instid0(VALU_DEP_1)
	v_and_b32_e32 v6, 7, v5
; %bb.1144:                             ;   in Loop: Header=BB277_799 Depth=1
	s_or_b32 exec_lo, exec_lo, s15
	v_lshlrev_b32_e32 v5, 24, v160
	s_delay_alu instid0(VALU_DEP_2) | instskip(SKIP_1) | instid1(VALU_DEP_3)
	v_lshlrev_b32_e32 v6, 20, v6
	v_lshl_add_u32 v4, v4, 23, 0x3c000000
	v_and_b32_e32 v5, 0x80000000, v5
	s_delay_alu instid0(VALU_DEP_1) | instskip(NEXT) | instid1(VALU_DEP_1)
	v_or3_b32 v6, v6, v5, v4
	v_dual_mov_b32 v4, v6 :: v_dual_mov_b32 v5, v7
.LBB277_1145:                           ;   in Loop: Header=BB277_799 Depth=1
	s_or_b32 exec_lo, exec_lo, s13
.LBB277_1146:                           ;   in Loop: Header=BB277_799 Depth=1
	s_delay_alu instid0(SALU_CYCLE_1)
	s_or_b32 exec_lo, exec_lo, s12
.LBB277_1147:                           ;   in Loop: Header=BB277_799 Depth=1
	s_delay_alu instid0(SALU_CYCLE_1) | instskip(SKIP_2) | instid1(VALU_DEP_1)
	s_or_b32 exec_lo, exec_lo, s10
	v_lshrrev_b16 v6, 8, v160
	s_mov_b32 s12, exec_lo
	v_cmpx_ne_u16_e32 0, v6
	s_cbranch_execz .LBB277_1155
; %bb.1148:                             ;   in Loop: Header=BB277_799 Depth=1
	v_dual_mov_b32 v15, s9 :: v_dual_mov_b32 v14, s8
	s_mov_b32 s13, exec_lo
	v_cmpx_ne_u16_e32 0x80, v6
	s_cbranch_execz .LBB277_1154
; %bb.1149:                             ;   in Loop: Header=BB277_799 Depth=1
	s_mov_b32 s10, s8
	v_dual_mov_b32 v15, s11 :: v_dual_and_b32 v6, 0xffff, v6
	v_mov_b32_e32 v14, s10
	s_mov_b32 s10, exec_lo
	s_delay_alu instid0(VALU_DEP_2) | instskip(NEXT) | instid1(VALU_DEP_1)
	v_and_b32_e32 v16, 0x7f, v6
	v_cmpx_ne_u32_e32 0x7f, v16
	s_cbranch_execz .LBB277_1153
; %bb.1150:                             ;   in Loop: Header=BB277_799 Depth=1
	v_and_b32_e32 v6, 7, v6
	v_lshrrev_b32_e32 v14, 3, v16
	s_mov_b32 s15, exec_lo
	v_cmpx_gt_u32_e32 8, v16
; %bb.1151:                             ;   in Loop: Header=BB277_799 Depth=1
	s_delay_alu instid0(VALU_DEP_3) | instskip(NEXT) | instid1(VALU_DEP_1)
	v_clz_i32_u32_e32 v14, v6
	v_min_u32_e32 v14, 32, v14
	s_delay_alu instid0(VALU_DEP_1) | instskip(SKIP_1) | instid1(VALU_DEP_2)
	v_subrev_nc_u32_e32 v15, 28, v14
	v_sub_nc_u32_e32 v14, 29, v14
	v_lshlrev_b64 v[15:16], v15, v[6:7]
	s_delay_alu instid0(VALU_DEP_1)
	v_and_b32_e32 v6, 7, v15
; %bb.1152:                             ;   in Loop: Header=BB277_799 Depth=1
	s_or_b32 exec_lo, exec_lo, s15
	v_lshlrev_b32_e32 v15, 16, v160
	s_delay_alu instid0(VALU_DEP_2) | instskip(SKIP_1) | instid1(VALU_DEP_3)
	v_lshlrev_b32_e32 v6, 20, v6
	v_lshl_add_u32 v14, v14, 23, 0x3c000000
	v_and_b32_e32 v15, 0x80000000, v15
	s_delay_alu instid0(VALU_DEP_1)
	v_or3_b32 v15, v6, v15, v14
	v_mov_b32_e32 v14, v7
.LBB277_1153:                           ;   in Loop: Header=BB277_799 Depth=1
	s_or_b32 exec_lo, exec_lo, s10
.LBB277_1154:                           ;   in Loop: Header=BB277_799 Depth=1
	s_delay_alu instid0(SALU_CYCLE_1)
	s_or_b32 exec_lo, exec_lo, s13
.LBB277_1155:                           ;   in Loop: Header=BB277_799 Depth=1
	s_delay_alu instid0(SALU_CYCLE_1) | instskip(SKIP_4) | instid1(VALU_DEP_2)
	s_or_b32 exec_lo, exec_lo, s12
	v_mov_b32_e32 v18, 0
	v_lshrrev_b32_e32 v161, 16, v160
	v_mov_b32_e32 v19, 0
	s_mov_b32 s10, exec_lo
	v_and_b32_e32 v6, 0xff, v161
	s_delay_alu instid0(VALU_DEP_2) | instskip(NEXT) | instid1(VALU_DEP_2)
	v_dual_mov_b32 v16, v18 :: v_dual_mov_b32 v17, v19
	v_cmpx_ne_u16_e32 0, v6
	s_cbranch_execz .LBB277_1163
; %bb.1156:                             ;   in Loop: Header=BB277_799 Depth=1
	v_bfrev_b32_e32 v16, 1
	v_mov_b32_e32 v17, 0
	s_mov_b32 s12, exec_lo
	v_cmpx_ne_u16_e32 0x80, v6
	s_cbranch_execz .LBB277_1162
; %bb.1157:                             ;   in Loop: Header=BB277_799 Depth=1
	v_mov_b32_e32 v16, 0x7f800001
	v_bfe_u32 v162, v160, 16, 7
	v_mov_b32_e32 v17, 0
	s_mov_b32 s13, exec_lo
	s_delay_alu instid0(VALU_DEP_2)
	v_cmpx_ne_u32_e32 0x7f, v162
	s_cbranch_execz .LBB277_1161
; %bb.1158:                             ;   in Loop: Header=BB277_799 Depth=1
	v_and_b32_e32 v6, 7, v161
	v_lshrrev_b32_e32 v16, 3, v162
	s_mov_b32 s15, exec_lo
	v_cmpx_gt_u32_e32 8, v162
; %bb.1159:                             ;   in Loop: Header=BB277_799 Depth=1
	s_delay_alu instid0(VALU_DEP_3) | instskip(NEXT) | instid1(VALU_DEP_1)
	v_clz_i32_u32_e32 v16, v6
	v_min_u32_e32 v16, 32, v16
	s_delay_alu instid0(VALU_DEP_1) | instskip(SKIP_1) | instid1(VALU_DEP_2)
	v_subrev_nc_u32_e32 v17, 28, v16
	v_sub_nc_u32_e32 v16, 29, v16
	v_lshlrev_b64 v[162:163], v17, v[6:7]
	s_delay_alu instid0(VALU_DEP_1)
	v_and_b32_e32 v6, 7, v162
; %bb.1160:                             ;   in Loop: Header=BB277_799 Depth=1
	s_or_b32 exec_lo, exec_lo, s15
	v_lshlrev_b32_e32 v17, 24, v161
	s_delay_alu instid0(VALU_DEP_2) | instskip(SKIP_1) | instid1(VALU_DEP_3)
	v_lshlrev_b32_e32 v6, 20, v6
	v_lshl_add_u32 v16, v16, 23, 0x3c000000
	v_and_b32_e32 v17, 0x80000000, v17
	s_delay_alu instid0(VALU_DEP_1) | instskip(NEXT) | instid1(VALU_DEP_1)
	v_or3_b32 v6, v6, v17, v16
	v_dual_mov_b32 v17, v7 :: v_dual_mov_b32 v16, v6
.LBB277_1161:                           ;   in Loop: Header=BB277_799 Depth=1
	s_or_b32 exec_lo, exec_lo, s13
.LBB277_1162:                           ;   in Loop: Header=BB277_799 Depth=1
	s_delay_alu instid0(SALU_CYCLE_1)
	s_or_b32 exec_lo, exec_lo, s12
.LBB277_1163:                           ;   in Loop: Header=BB277_799 Depth=1
	s_delay_alu instid0(SALU_CYCLE_1) | instskip(NEXT) | instid1(SALU_CYCLE_1)
	s_or_b32 exec_lo, exec_lo, s10
	s_mov_b32 s12, exec_lo
	v_cmpx_lt_u32_e32 0xffffff, v160
	s_cbranch_execz .LBB277_1171
; %bb.1164:                             ;   in Loop: Header=BB277_799 Depth=1
	v_lshrrev_b32_e32 v161, 24, v160
	v_dual_mov_b32 v19, s9 :: v_dual_mov_b32 v18, s8
	s_mov_b32 s13, exec_lo
	s_delay_alu instid0(VALU_DEP_2)
	v_cmpx_ne_u32_e32 0x80, v161
	s_cbranch_execz .LBB277_1170
; %bb.1165:                             ;   in Loop: Header=BB277_799 Depth=1
	s_mov_b32 s10, s8
	v_bfe_u32 v160, v160, 24, 7
	v_dual_mov_b32 v19, s11 :: v_dual_mov_b32 v18, s10
	s_mov_b32 s10, exec_lo
	s_delay_alu instid0(VALU_DEP_2)
	v_cmpx_ne_u32_e32 0x7f, v160
	s_cbranch_execz .LBB277_1169
; %bb.1166:                             ;   in Loop: Header=BB277_799 Depth=1
	v_and_b32_e32 v6, 7, v161
	v_lshrrev_b32_e32 v18, 3, v160
	s_mov_b32 s15, exec_lo
	v_cmpx_gt_u32_e32 8, v160
; %bb.1167:                             ;   in Loop: Header=BB277_799 Depth=1
	s_delay_alu instid0(VALU_DEP_3) | instskip(NEXT) | instid1(VALU_DEP_1)
	v_clz_i32_u32_e32 v18, v6
	v_min_u32_e32 v18, 32, v18
	s_delay_alu instid0(VALU_DEP_1) | instskip(SKIP_1) | instid1(VALU_DEP_2)
	v_subrev_nc_u32_e32 v19, 28, v18
	v_sub_nc_u32_e32 v18, 29, v18
	v_lshlrev_b64 v[162:163], v19, v[6:7]
	s_delay_alu instid0(VALU_DEP_1)
	v_and_b32_e32 v6, 7, v162
; %bb.1168:                             ;   in Loop: Header=BB277_799 Depth=1
	s_or_b32 exec_lo, exec_lo, s15
	v_lshlrev_b32_e32 v19, 24, v161
	s_delay_alu instid0(VALU_DEP_2) | instskip(SKIP_1) | instid1(VALU_DEP_3)
	v_lshlrev_b32_e32 v6, 20, v6
	v_lshl_add_u32 v18, v18, 23, 0x3c000000
	v_and_b32_e32 v19, 0x80000000, v19
	s_delay_alu instid0(VALU_DEP_1)
	v_or3_b32 v19, v6, v19, v18
	v_mov_b32_e32 v18, v7
.LBB277_1169:                           ;   in Loop: Header=BB277_799 Depth=1
	s_or_b32 exec_lo, exec_lo, s10
.LBB277_1170:                           ;   in Loop: Header=BB277_799 Depth=1
	s_delay_alu instid0(SALU_CYCLE_1)
	s_or_b32 exec_lo, exec_lo, s13
.LBB277_1171:                           ;   in Loop: Header=BB277_799 Depth=1
	s_delay_alu instid0(SALU_CYCLE_1) | instskip(SKIP_4) | instid1(VALU_DEP_4)
	s_or_b32 exec_lo, exec_lo, s12
	v_or_b32_e32 v5, v15, v5
	v_or_b32_e32 v4, v14, v4
	;; [unrolled: 1-line block ×4, first 2 shown]
	v_mul_f32_e32 v163, v68, v5
	s_delay_alu instid0(VALU_DEP_4) | instskip(NEXT) | instid1(VALU_DEP_4)
	v_mul_f32_e32 v162, v64, v4
	v_mul_f32_e32 v160, v68, v6
	s_delay_alu instid0(VALU_DEP_4)
	v_mul_f32_e32 v161, v64, v14
	s_and_saveexec_b32 s10, vcc_lo
; %bb.1172:                             ;   in Loop: Header=BB277_799 Depth=1
	v_cmp_lt_i32_e64 s0, v81, v88
	s_delay_alu instid0(VALU_DEP_1) | instskip(SKIP_1) | instid1(VALU_DEP_1)
	v_cndmask_b32_e64 v162, 0, v162, s0
	v_cmp_lt_i32_e64 s0, v83, v88
	v_cndmask_b32_e64 v163, 0, v163, s0
	v_cmp_lt_i32_e64 s0, v82, v88
	s_delay_alu instid0(VALU_DEP_1) | instskip(SKIP_1) | instid1(VALU_DEP_1)
	v_cndmask_b32_e64 v161, 0, v161, s0
	v_cmp_lt_i32_e64 s0, v66, v88
	v_cndmask_b32_e64 v160, 0, v160, s0
; %bb.1173:                             ;   in Loop: Header=BB277_799 Depth=1
	s_or_b32 exec_lo, exec_lo, s10
	flat_load_b32 v164, v[12:13] offset:1408
	v_mov_b32_e32 v14, 0
	v_mov_b32_e32 v15, 0
	s_mov_b32 s10, exec_lo
	s_waitcnt vmcnt(0) lgkmcnt(0)
	v_and_b32_e32 v6, 0xff, v164
	s_delay_alu instid0(VALU_DEP_2) | instskip(NEXT) | instid1(VALU_DEP_2)
	v_dual_mov_b32 v4, v14 :: v_dual_mov_b32 v5, v15
	v_cmpx_ne_u16_e32 0, v6
	s_cbranch_execz .LBB277_1181
; %bb.1174:                             ;   in Loop: Header=BB277_799 Depth=1
	v_bfrev_b32_e32 v4, 1
	v_mov_b32_e32 v5, 0
	s_mov_b32 s12, exec_lo
	v_cmpx_ne_u16_e32 0x80, v6
	s_cbranch_execz .LBB277_1180
; %bb.1175:                             ;   in Loop: Header=BB277_799 Depth=1
	v_mov_b32_e32 v4, 0x7f800001
	v_dual_mov_b32 v5, 0 :: v_dual_and_b32 v16, 0x7f, v164
	s_mov_b32 s13, exec_lo
	s_delay_alu instid0(VALU_DEP_1)
	v_cmpx_ne_u32_e32 0x7f, v16
	s_cbranch_execz .LBB277_1179
; %bb.1176:                             ;   in Loop: Header=BB277_799 Depth=1
	v_and_b32_e32 v6, 7, v164
	v_lshrrev_b32_e32 v4, 3, v16
	s_mov_b32 s15, exec_lo
	v_cmpx_gt_u32_e32 8, v16
; %bb.1177:                             ;   in Loop: Header=BB277_799 Depth=1
	s_delay_alu instid0(VALU_DEP_3) | instskip(NEXT) | instid1(VALU_DEP_1)
	v_clz_i32_u32_e32 v4, v6
	v_min_u32_e32 v4, 32, v4
	s_delay_alu instid0(VALU_DEP_1) | instskip(SKIP_1) | instid1(VALU_DEP_2)
	v_subrev_nc_u32_e32 v5, 28, v4
	v_sub_nc_u32_e32 v4, 29, v4
	v_lshlrev_b64 v[5:6], v5, v[6:7]
	s_delay_alu instid0(VALU_DEP_1)
	v_and_b32_e32 v6, 7, v5
; %bb.1178:                             ;   in Loop: Header=BB277_799 Depth=1
	s_or_b32 exec_lo, exec_lo, s15
	v_lshlrev_b32_e32 v5, 24, v164
	s_delay_alu instid0(VALU_DEP_2) | instskip(SKIP_1) | instid1(VALU_DEP_3)
	v_lshlrev_b32_e32 v6, 20, v6
	v_lshl_add_u32 v4, v4, 23, 0x3c000000
	v_and_b32_e32 v5, 0x80000000, v5
	s_delay_alu instid0(VALU_DEP_1) | instskip(NEXT) | instid1(VALU_DEP_1)
	v_or3_b32 v6, v6, v5, v4
	v_dual_mov_b32 v4, v6 :: v_dual_mov_b32 v5, v7
.LBB277_1179:                           ;   in Loop: Header=BB277_799 Depth=1
	s_or_b32 exec_lo, exec_lo, s13
.LBB277_1180:                           ;   in Loop: Header=BB277_799 Depth=1
	s_delay_alu instid0(SALU_CYCLE_1)
	s_or_b32 exec_lo, exec_lo, s12
.LBB277_1181:                           ;   in Loop: Header=BB277_799 Depth=1
	s_delay_alu instid0(SALU_CYCLE_1) | instskip(SKIP_2) | instid1(VALU_DEP_1)
	s_or_b32 exec_lo, exec_lo, s10
	v_lshrrev_b16 v6, 8, v164
	s_mov_b32 s12, exec_lo
	v_cmpx_ne_u16_e32 0, v6
	s_cbranch_execz .LBB277_1189
; %bb.1182:                             ;   in Loop: Header=BB277_799 Depth=1
	v_dual_mov_b32 v15, s9 :: v_dual_mov_b32 v14, s8
	s_mov_b32 s13, exec_lo
	v_cmpx_ne_u16_e32 0x80, v6
	s_cbranch_execz .LBB277_1188
; %bb.1183:                             ;   in Loop: Header=BB277_799 Depth=1
	s_mov_b32 s10, s8
	v_dual_mov_b32 v15, s11 :: v_dual_and_b32 v6, 0xffff, v6
	v_mov_b32_e32 v14, s10
	s_mov_b32 s10, exec_lo
	s_delay_alu instid0(VALU_DEP_2) | instskip(NEXT) | instid1(VALU_DEP_1)
	v_and_b32_e32 v16, 0x7f, v6
	v_cmpx_ne_u32_e32 0x7f, v16
	s_cbranch_execz .LBB277_1187
; %bb.1184:                             ;   in Loop: Header=BB277_799 Depth=1
	v_and_b32_e32 v6, 7, v6
	v_lshrrev_b32_e32 v14, 3, v16
	s_mov_b32 s15, exec_lo
	v_cmpx_gt_u32_e32 8, v16
; %bb.1185:                             ;   in Loop: Header=BB277_799 Depth=1
	s_delay_alu instid0(VALU_DEP_3) | instskip(NEXT) | instid1(VALU_DEP_1)
	v_clz_i32_u32_e32 v14, v6
	v_min_u32_e32 v14, 32, v14
	s_delay_alu instid0(VALU_DEP_1) | instskip(SKIP_1) | instid1(VALU_DEP_2)
	v_subrev_nc_u32_e32 v15, 28, v14
	v_sub_nc_u32_e32 v14, 29, v14
	v_lshlrev_b64 v[15:16], v15, v[6:7]
	s_delay_alu instid0(VALU_DEP_1)
	v_and_b32_e32 v6, 7, v15
; %bb.1186:                             ;   in Loop: Header=BB277_799 Depth=1
	s_or_b32 exec_lo, exec_lo, s15
	v_lshlrev_b32_e32 v15, 16, v164
	s_delay_alu instid0(VALU_DEP_2) | instskip(SKIP_1) | instid1(VALU_DEP_3)
	v_lshlrev_b32_e32 v6, 20, v6
	v_lshl_add_u32 v14, v14, 23, 0x3c000000
	v_and_b32_e32 v15, 0x80000000, v15
	s_delay_alu instid0(VALU_DEP_1)
	v_or3_b32 v15, v6, v15, v14
	v_mov_b32_e32 v14, v7
.LBB277_1187:                           ;   in Loop: Header=BB277_799 Depth=1
	s_or_b32 exec_lo, exec_lo, s10
.LBB277_1188:                           ;   in Loop: Header=BB277_799 Depth=1
	s_delay_alu instid0(SALU_CYCLE_1)
	s_or_b32 exec_lo, exec_lo, s13
.LBB277_1189:                           ;   in Loop: Header=BB277_799 Depth=1
	s_delay_alu instid0(SALU_CYCLE_1) | instskip(SKIP_4) | instid1(VALU_DEP_2)
	s_or_b32 exec_lo, exec_lo, s12
	v_mov_b32_e32 v18, 0
	v_lshrrev_b32_e32 v165, 16, v164
	v_mov_b32_e32 v19, 0
	s_mov_b32 s10, exec_lo
	v_and_b32_e32 v6, 0xff, v165
	s_delay_alu instid0(VALU_DEP_2) | instskip(NEXT) | instid1(VALU_DEP_2)
	v_dual_mov_b32 v16, v18 :: v_dual_mov_b32 v17, v19
	v_cmpx_ne_u16_e32 0, v6
	s_cbranch_execz .LBB277_1197
; %bb.1190:                             ;   in Loop: Header=BB277_799 Depth=1
	v_bfrev_b32_e32 v16, 1
	v_mov_b32_e32 v17, 0
	s_mov_b32 s12, exec_lo
	v_cmpx_ne_u16_e32 0x80, v6
	s_cbranch_execz .LBB277_1196
; %bb.1191:                             ;   in Loop: Header=BB277_799 Depth=1
	v_mov_b32_e32 v16, 0x7f800001
	v_bfe_u32 v166, v164, 16, 7
	v_mov_b32_e32 v17, 0
	s_mov_b32 s13, exec_lo
	s_delay_alu instid0(VALU_DEP_2)
	v_cmpx_ne_u32_e32 0x7f, v166
	s_cbranch_execz .LBB277_1195
; %bb.1192:                             ;   in Loop: Header=BB277_799 Depth=1
	v_and_b32_e32 v6, 7, v165
	v_lshrrev_b32_e32 v16, 3, v166
	s_mov_b32 s15, exec_lo
	v_cmpx_gt_u32_e32 8, v166
; %bb.1193:                             ;   in Loop: Header=BB277_799 Depth=1
	s_delay_alu instid0(VALU_DEP_3) | instskip(NEXT) | instid1(VALU_DEP_1)
	v_clz_i32_u32_e32 v16, v6
	v_min_u32_e32 v16, 32, v16
	s_delay_alu instid0(VALU_DEP_1) | instskip(SKIP_1) | instid1(VALU_DEP_2)
	v_subrev_nc_u32_e32 v17, 28, v16
	v_sub_nc_u32_e32 v16, 29, v16
	v_lshlrev_b64 v[166:167], v17, v[6:7]
	s_delay_alu instid0(VALU_DEP_1)
	v_and_b32_e32 v6, 7, v166
; %bb.1194:                             ;   in Loop: Header=BB277_799 Depth=1
	s_or_b32 exec_lo, exec_lo, s15
	v_lshlrev_b32_e32 v17, 24, v165
	s_delay_alu instid0(VALU_DEP_2) | instskip(SKIP_1) | instid1(VALU_DEP_3)
	v_lshlrev_b32_e32 v6, 20, v6
	v_lshl_add_u32 v16, v16, 23, 0x3c000000
	v_and_b32_e32 v17, 0x80000000, v17
	s_delay_alu instid0(VALU_DEP_1) | instskip(NEXT) | instid1(VALU_DEP_1)
	v_or3_b32 v6, v6, v17, v16
	v_dual_mov_b32 v17, v7 :: v_dual_mov_b32 v16, v6
.LBB277_1195:                           ;   in Loop: Header=BB277_799 Depth=1
	s_or_b32 exec_lo, exec_lo, s13
.LBB277_1196:                           ;   in Loop: Header=BB277_799 Depth=1
	s_delay_alu instid0(SALU_CYCLE_1)
	s_or_b32 exec_lo, exec_lo, s12
.LBB277_1197:                           ;   in Loop: Header=BB277_799 Depth=1
	s_delay_alu instid0(SALU_CYCLE_1) | instskip(NEXT) | instid1(SALU_CYCLE_1)
	s_or_b32 exec_lo, exec_lo, s10
	s_mov_b32 s12, exec_lo
	v_cmpx_lt_u32_e32 0xffffff, v164
	s_cbranch_execz .LBB277_1205
; %bb.1198:                             ;   in Loop: Header=BB277_799 Depth=1
	v_lshrrev_b32_e32 v165, 24, v164
	v_dual_mov_b32 v19, s9 :: v_dual_mov_b32 v18, s8
	s_mov_b32 s13, exec_lo
	s_delay_alu instid0(VALU_DEP_2)
	v_cmpx_ne_u32_e32 0x80, v165
	s_cbranch_execz .LBB277_1204
; %bb.1199:                             ;   in Loop: Header=BB277_799 Depth=1
	s_mov_b32 s10, s8
	v_bfe_u32 v164, v164, 24, 7
	v_dual_mov_b32 v19, s11 :: v_dual_mov_b32 v18, s10
	s_mov_b32 s10, exec_lo
	s_delay_alu instid0(VALU_DEP_2)
	v_cmpx_ne_u32_e32 0x7f, v164
	s_cbranch_execz .LBB277_1203
; %bb.1200:                             ;   in Loop: Header=BB277_799 Depth=1
	v_and_b32_e32 v6, 7, v165
	v_lshrrev_b32_e32 v18, 3, v164
	s_mov_b32 s15, exec_lo
	v_cmpx_gt_u32_e32 8, v164
; %bb.1201:                             ;   in Loop: Header=BB277_799 Depth=1
	s_delay_alu instid0(VALU_DEP_3) | instskip(NEXT) | instid1(VALU_DEP_1)
	v_clz_i32_u32_e32 v18, v6
	v_min_u32_e32 v18, 32, v18
	s_delay_alu instid0(VALU_DEP_1) | instskip(SKIP_1) | instid1(VALU_DEP_2)
	v_subrev_nc_u32_e32 v19, 28, v18
	v_sub_nc_u32_e32 v18, 29, v18
	v_lshlrev_b64 v[166:167], v19, v[6:7]
	s_delay_alu instid0(VALU_DEP_1)
	v_and_b32_e32 v6, 7, v166
; %bb.1202:                             ;   in Loop: Header=BB277_799 Depth=1
	s_or_b32 exec_lo, exec_lo, s15
	v_lshlrev_b32_e32 v19, 24, v165
	s_delay_alu instid0(VALU_DEP_2) | instskip(SKIP_1) | instid1(VALU_DEP_3)
	v_lshlrev_b32_e32 v6, 20, v6
	v_lshl_add_u32 v18, v18, 23, 0x3c000000
	v_and_b32_e32 v19, 0x80000000, v19
	s_delay_alu instid0(VALU_DEP_1)
	v_or3_b32 v19, v6, v19, v18
	v_mov_b32_e32 v18, v7
.LBB277_1203:                           ;   in Loop: Header=BB277_799 Depth=1
	s_or_b32 exec_lo, exec_lo, s10
.LBB277_1204:                           ;   in Loop: Header=BB277_799 Depth=1
	s_delay_alu instid0(SALU_CYCLE_1)
	s_or_b32 exec_lo, exec_lo, s13
.LBB277_1205:                           ;   in Loop: Header=BB277_799 Depth=1
	s_delay_alu instid0(SALU_CYCLE_1) | instskip(SKIP_4) | instid1(VALU_DEP_4)
	s_or_b32 exec_lo, exec_lo, s12
	v_or_b32_e32 v5, v15, v5
	v_or_b32_e32 v4, v14, v4
	;; [unrolled: 1-line block ×4, first 2 shown]
	v_mul_f32_e32 v167, v68, v5
	s_delay_alu instid0(VALU_DEP_4) | instskip(NEXT) | instid1(VALU_DEP_4)
	v_mul_f32_e32 v166, v64, v4
	v_mul_f32_e32 v164, v68, v6
	s_delay_alu instid0(VALU_DEP_4)
	v_mul_f32_e32 v165, v64, v14
	s_and_saveexec_b32 s10, vcc_lo
; %bb.1206:                             ;   in Loop: Header=BB277_799 Depth=1
	v_cmp_lt_i32_e64 s0, v81, v88
	s_delay_alu instid0(VALU_DEP_1) | instskip(SKIP_1) | instid1(VALU_DEP_1)
	v_cndmask_b32_e64 v166, 0, v166, s0
	v_cmp_lt_i32_e64 s0, v83, v88
	v_cndmask_b32_e64 v167, 0, v167, s0
	v_cmp_lt_i32_e64 s0, v82, v88
	s_delay_alu instid0(VALU_DEP_1) | instskip(SKIP_1) | instid1(VALU_DEP_1)
	v_cndmask_b32_e64 v165, 0, v165, s0
	v_cmp_lt_i32_e64 s0, v66, v88
	v_cndmask_b32_e64 v164, 0, v164, s0
; %bb.1207:                             ;   in Loop: Header=BB277_799 Depth=1
	s_or_b32 exec_lo, exec_lo, s10
	flat_load_b32 v176, v[12:13] offset:1536
	v_mov_b32_e32 v14, 0
	v_mov_b32_e32 v15, 0
	s_mov_b32 s10, exec_lo
	s_waitcnt vmcnt(0) lgkmcnt(0)
	v_and_b32_e32 v6, 0xff, v176
	s_delay_alu instid0(VALU_DEP_2) | instskip(NEXT) | instid1(VALU_DEP_2)
	v_dual_mov_b32 v4, v14 :: v_dual_mov_b32 v5, v15
	v_cmpx_ne_u16_e32 0, v6
	s_cbranch_execz .LBB277_1215
; %bb.1208:                             ;   in Loop: Header=BB277_799 Depth=1
	v_bfrev_b32_e32 v4, 1
	v_mov_b32_e32 v5, 0
	s_mov_b32 s12, exec_lo
	v_cmpx_ne_u16_e32 0x80, v6
	s_cbranch_execz .LBB277_1214
; %bb.1209:                             ;   in Loop: Header=BB277_799 Depth=1
	v_mov_b32_e32 v4, 0x7f800001
	v_dual_mov_b32 v5, 0 :: v_dual_and_b32 v16, 0x7f, v176
	s_mov_b32 s13, exec_lo
	s_delay_alu instid0(VALU_DEP_1)
	v_cmpx_ne_u32_e32 0x7f, v16
	s_cbranch_execz .LBB277_1213
; %bb.1210:                             ;   in Loop: Header=BB277_799 Depth=1
	v_and_b32_e32 v6, 7, v176
	v_lshrrev_b32_e32 v4, 3, v16
	s_mov_b32 s15, exec_lo
	v_cmpx_gt_u32_e32 8, v16
; %bb.1211:                             ;   in Loop: Header=BB277_799 Depth=1
	s_delay_alu instid0(VALU_DEP_3) | instskip(NEXT) | instid1(VALU_DEP_1)
	v_clz_i32_u32_e32 v4, v6
	v_min_u32_e32 v4, 32, v4
	s_delay_alu instid0(VALU_DEP_1) | instskip(SKIP_1) | instid1(VALU_DEP_2)
	v_subrev_nc_u32_e32 v5, 28, v4
	v_sub_nc_u32_e32 v4, 29, v4
	v_lshlrev_b64 v[5:6], v5, v[6:7]
	s_delay_alu instid0(VALU_DEP_1)
	v_and_b32_e32 v6, 7, v5
; %bb.1212:                             ;   in Loop: Header=BB277_799 Depth=1
	s_or_b32 exec_lo, exec_lo, s15
	v_lshlrev_b32_e32 v5, 24, v176
	s_delay_alu instid0(VALU_DEP_2) | instskip(SKIP_1) | instid1(VALU_DEP_3)
	v_lshlrev_b32_e32 v6, 20, v6
	v_lshl_add_u32 v4, v4, 23, 0x3c000000
	v_and_b32_e32 v5, 0x80000000, v5
	s_delay_alu instid0(VALU_DEP_1) | instskip(NEXT) | instid1(VALU_DEP_1)
	v_or3_b32 v6, v6, v5, v4
	v_dual_mov_b32 v4, v6 :: v_dual_mov_b32 v5, v7
.LBB277_1213:                           ;   in Loop: Header=BB277_799 Depth=1
	s_or_b32 exec_lo, exec_lo, s13
.LBB277_1214:                           ;   in Loop: Header=BB277_799 Depth=1
	s_delay_alu instid0(SALU_CYCLE_1)
	s_or_b32 exec_lo, exec_lo, s12
.LBB277_1215:                           ;   in Loop: Header=BB277_799 Depth=1
	s_delay_alu instid0(SALU_CYCLE_1) | instskip(SKIP_2) | instid1(VALU_DEP_1)
	s_or_b32 exec_lo, exec_lo, s10
	v_lshrrev_b16 v6, 8, v176
	s_mov_b32 s12, exec_lo
	v_cmpx_ne_u16_e32 0, v6
	s_cbranch_execz .LBB277_1223
; %bb.1216:                             ;   in Loop: Header=BB277_799 Depth=1
	v_dual_mov_b32 v15, s9 :: v_dual_mov_b32 v14, s8
	s_mov_b32 s13, exec_lo
	v_cmpx_ne_u16_e32 0x80, v6
	s_cbranch_execz .LBB277_1222
; %bb.1217:                             ;   in Loop: Header=BB277_799 Depth=1
	s_mov_b32 s10, s8
	v_dual_mov_b32 v15, s11 :: v_dual_and_b32 v6, 0xffff, v6
	v_mov_b32_e32 v14, s10
	s_mov_b32 s10, exec_lo
	s_delay_alu instid0(VALU_DEP_2) | instskip(NEXT) | instid1(VALU_DEP_1)
	v_and_b32_e32 v16, 0x7f, v6
	v_cmpx_ne_u32_e32 0x7f, v16
	s_cbranch_execz .LBB277_1221
; %bb.1218:                             ;   in Loop: Header=BB277_799 Depth=1
	v_and_b32_e32 v6, 7, v6
	v_lshrrev_b32_e32 v14, 3, v16
	s_mov_b32 s15, exec_lo
	v_cmpx_gt_u32_e32 8, v16
; %bb.1219:                             ;   in Loop: Header=BB277_799 Depth=1
	s_delay_alu instid0(VALU_DEP_3) | instskip(NEXT) | instid1(VALU_DEP_1)
	v_clz_i32_u32_e32 v14, v6
	v_min_u32_e32 v14, 32, v14
	s_delay_alu instid0(VALU_DEP_1) | instskip(SKIP_1) | instid1(VALU_DEP_2)
	v_subrev_nc_u32_e32 v15, 28, v14
	v_sub_nc_u32_e32 v14, 29, v14
	v_lshlrev_b64 v[15:16], v15, v[6:7]
	s_delay_alu instid0(VALU_DEP_1)
	v_and_b32_e32 v6, 7, v15
; %bb.1220:                             ;   in Loop: Header=BB277_799 Depth=1
	s_or_b32 exec_lo, exec_lo, s15
	v_lshlrev_b32_e32 v15, 16, v176
	s_delay_alu instid0(VALU_DEP_2) | instskip(SKIP_1) | instid1(VALU_DEP_3)
	v_lshlrev_b32_e32 v6, 20, v6
	v_lshl_add_u32 v14, v14, 23, 0x3c000000
	v_and_b32_e32 v15, 0x80000000, v15
	s_delay_alu instid0(VALU_DEP_1)
	v_or3_b32 v15, v6, v15, v14
	v_mov_b32_e32 v14, v7
.LBB277_1221:                           ;   in Loop: Header=BB277_799 Depth=1
	s_or_b32 exec_lo, exec_lo, s10
.LBB277_1222:                           ;   in Loop: Header=BB277_799 Depth=1
	s_delay_alu instid0(SALU_CYCLE_1)
	s_or_b32 exec_lo, exec_lo, s13
.LBB277_1223:                           ;   in Loop: Header=BB277_799 Depth=1
	s_delay_alu instid0(SALU_CYCLE_1) | instskip(SKIP_4) | instid1(VALU_DEP_2)
	s_or_b32 exec_lo, exec_lo, s12
	v_mov_b32_e32 v18, 0
	v_lshrrev_b32_e32 v177, 16, v176
	v_mov_b32_e32 v19, 0
	s_mov_b32 s10, exec_lo
	v_and_b32_e32 v6, 0xff, v177
	s_delay_alu instid0(VALU_DEP_2) | instskip(NEXT) | instid1(VALU_DEP_2)
	v_dual_mov_b32 v16, v18 :: v_dual_mov_b32 v17, v19
	v_cmpx_ne_u16_e32 0, v6
	s_cbranch_execz .LBB277_1231
; %bb.1224:                             ;   in Loop: Header=BB277_799 Depth=1
	v_bfrev_b32_e32 v16, 1
	v_mov_b32_e32 v17, 0
	s_mov_b32 s12, exec_lo
	v_cmpx_ne_u16_e32 0x80, v6
	s_cbranch_execz .LBB277_1230
; %bb.1225:                             ;   in Loop: Header=BB277_799 Depth=1
	v_mov_b32_e32 v16, 0x7f800001
	v_bfe_u32 v178, v176, 16, 7
	v_mov_b32_e32 v17, 0
	s_mov_b32 s13, exec_lo
	s_delay_alu instid0(VALU_DEP_2)
	v_cmpx_ne_u32_e32 0x7f, v178
	s_cbranch_execz .LBB277_1229
; %bb.1226:                             ;   in Loop: Header=BB277_799 Depth=1
	v_and_b32_e32 v6, 7, v177
	v_lshrrev_b32_e32 v16, 3, v178
	s_mov_b32 s15, exec_lo
	v_cmpx_gt_u32_e32 8, v178
; %bb.1227:                             ;   in Loop: Header=BB277_799 Depth=1
	s_delay_alu instid0(VALU_DEP_3) | instskip(NEXT) | instid1(VALU_DEP_1)
	v_clz_i32_u32_e32 v16, v6
	v_min_u32_e32 v16, 32, v16
	s_delay_alu instid0(VALU_DEP_1) | instskip(SKIP_1) | instid1(VALU_DEP_2)
	v_subrev_nc_u32_e32 v17, 28, v16
	v_sub_nc_u32_e32 v16, 29, v16
	v_lshlrev_b64 v[178:179], v17, v[6:7]
	s_delay_alu instid0(VALU_DEP_1)
	v_and_b32_e32 v6, 7, v178
; %bb.1228:                             ;   in Loop: Header=BB277_799 Depth=1
	s_or_b32 exec_lo, exec_lo, s15
	v_lshlrev_b32_e32 v17, 24, v177
	s_delay_alu instid0(VALU_DEP_2) | instskip(SKIP_1) | instid1(VALU_DEP_3)
	v_lshlrev_b32_e32 v6, 20, v6
	v_lshl_add_u32 v16, v16, 23, 0x3c000000
	v_and_b32_e32 v17, 0x80000000, v17
	s_delay_alu instid0(VALU_DEP_1) | instskip(NEXT) | instid1(VALU_DEP_1)
	v_or3_b32 v6, v6, v17, v16
	v_dual_mov_b32 v17, v7 :: v_dual_mov_b32 v16, v6
.LBB277_1229:                           ;   in Loop: Header=BB277_799 Depth=1
	s_or_b32 exec_lo, exec_lo, s13
.LBB277_1230:                           ;   in Loop: Header=BB277_799 Depth=1
	s_delay_alu instid0(SALU_CYCLE_1)
	s_or_b32 exec_lo, exec_lo, s12
.LBB277_1231:                           ;   in Loop: Header=BB277_799 Depth=1
	s_delay_alu instid0(SALU_CYCLE_1) | instskip(NEXT) | instid1(SALU_CYCLE_1)
	s_or_b32 exec_lo, exec_lo, s10
	s_mov_b32 s12, exec_lo
	v_cmpx_lt_u32_e32 0xffffff, v176
	s_cbranch_execz .LBB277_1239
; %bb.1232:                             ;   in Loop: Header=BB277_799 Depth=1
	v_lshrrev_b32_e32 v177, 24, v176
	v_dual_mov_b32 v19, s9 :: v_dual_mov_b32 v18, s8
	s_mov_b32 s13, exec_lo
	s_delay_alu instid0(VALU_DEP_2)
	v_cmpx_ne_u32_e32 0x80, v177
	s_cbranch_execz .LBB277_1238
; %bb.1233:                             ;   in Loop: Header=BB277_799 Depth=1
	s_mov_b32 s10, s8
	v_bfe_u32 v176, v176, 24, 7
	v_dual_mov_b32 v19, s11 :: v_dual_mov_b32 v18, s10
	s_mov_b32 s10, exec_lo
	s_delay_alu instid0(VALU_DEP_2)
	v_cmpx_ne_u32_e32 0x7f, v176
	s_cbranch_execz .LBB277_1237
; %bb.1234:                             ;   in Loop: Header=BB277_799 Depth=1
	v_and_b32_e32 v6, 7, v177
	v_lshrrev_b32_e32 v18, 3, v176
	s_mov_b32 s15, exec_lo
	v_cmpx_gt_u32_e32 8, v176
; %bb.1235:                             ;   in Loop: Header=BB277_799 Depth=1
	s_delay_alu instid0(VALU_DEP_3) | instskip(NEXT) | instid1(VALU_DEP_1)
	v_clz_i32_u32_e32 v18, v6
	v_min_u32_e32 v18, 32, v18
	s_delay_alu instid0(VALU_DEP_1) | instskip(SKIP_1) | instid1(VALU_DEP_2)
	v_subrev_nc_u32_e32 v19, 28, v18
	v_sub_nc_u32_e32 v18, 29, v18
	v_lshlrev_b64 v[178:179], v19, v[6:7]
	s_delay_alu instid0(VALU_DEP_1)
	v_and_b32_e32 v6, 7, v178
; %bb.1236:                             ;   in Loop: Header=BB277_799 Depth=1
	s_or_b32 exec_lo, exec_lo, s15
	v_lshlrev_b32_e32 v19, 24, v177
	s_delay_alu instid0(VALU_DEP_2) | instskip(SKIP_1) | instid1(VALU_DEP_3)
	v_lshlrev_b32_e32 v6, 20, v6
	v_lshl_add_u32 v18, v18, 23, 0x3c000000
	v_and_b32_e32 v19, 0x80000000, v19
	s_delay_alu instid0(VALU_DEP_1)
	v_or3_b32 v19, v6, v19, v18
	v_mov_b32_e32 v18, v7
.LBB277_1237:                           ;   in Loop: Header=BB277_799 Depth=1
	s_or_b32 exec_lo, exec_lo, s10
.LBB277_1238:                           ;   in Loop: Header=BB277_799 Depth=1
	s_delay_alu instid0(SALU_CYCLE_1)
	s_or_b32 exec_lo, exec_lo, s13
.LBB277_1239:                           ;   in Loop: Header=BB277_799 Depth=1
	s_delay_alu instid0(SALU_CYCLE_1) | instskip(SKIP_4) | instid1(VALU_DEP_4)
	s_or_b32 exec_lo, exec_lo, s12
	v_or_b32_e32 v5, v15, v5
	v_or_b32_e32 v4, v14, v4
	;; [unrolled: 1-line block ×4, first 2 shown]
	v_mul_f32_e32 v179, v68, v5
	s_delay_alu instid0(VALU_DEP_4) | instskip(NEXT) | instid1(VALU_DEP_4)
	v_mul_f32_e32 v178, v64, v4
	v_mul_f32_e32 v176, v68, v6
	s_delay_alu instid0(VALU_DEP_4)
	v_mul_f32_e32 v177, v64, v14
	s_and_saveexec_b32 s10, vcc_lo
; %bb.1240:                             ;   in Loop: Header=BB277_799 Depth=1
	v_cmp_lt_i32_e64 s0, v81, v88
	s_delay_alu instid0(VALU_DEP_1) | instskip(SKIP_1) | instid1(VALU_DEP_1)
	v_cndmask_b32_e64 v178, 0, v178, s0
	v_cmp_lt_i32_e64 s0, v83, v88
	v_cndmask_b32_e64 v179, 0, v179, s0
	v_cmp_lt_i32_e64 s0, v82, v88
	s_delay_alu instid0(VALU_DEP_1) | instskip(SKIP_1) | instid1(VALU_DEP_1)
	v_cndmask_b32_e64 v177, 0, v177, s0
	v_cmp_lt_i32_e64 s0, v66, v88
	v_cndmask_b32_e64 v176, 0, v176, s0
; %bb.1241:                             ;   in Loop: Header=BB277_799 Depth=1
	s_or_b32 exec_lo, exec_lo, s10
	flat_load_b32 v180, v[12:13] offset:1664
	v_mov_b32_e32 v14, 0
	v_mov_b32_e32 v15, 0
	s_mov_b32 s10, exec_lo
	s_waitcnt vmcnt(0) lgkmcnt(0)
	v_and_b32_e32 v6, 0xff, v180
	s_delay_alu instid0(VALU_DEP_2) | instskip(NEXT) | instid1(VALU_DEP_2)
	v_dual_mov_b32 v4, v14 :: v_dual_mov_b32 v5, v15
	v_cmpx_ne_u16_e32 0, v6
	s_cbranch_execz .LBB277_1249
; %bb.1242:                             ;   in Loop: Header=BB277_799 Depth=1
	v_bfrev_b32_e32 v4, 1
	v_mov_b32_e32 v5, 0
	s_mov_b32 s12, exec_lo
	v_cmpx_ne_u16_e32 0x80, v6
	s_cbranch_execz .LBB277_1248
; %bb.1243:                             ;   in Loop: Header=BB277_799 Depth=1
	v_mov_b32_e32 v4, 0x7f800001
	v_dual_mov_b32 v5, 0 :: v_dual_and_b32 v16, 0x7f, v180
	s_mov_b32 s13, exec_lo
	s_delay_alu instid0(VALU_DEP_1)
	v_cmpx_ne_u32_e32 0x7f, v16
	s_cbranch_execz .LBB277_1247
; %bb.1244:                             ;   in Loop: Header=BB277_799 Depth=1
	v_and_b32_e32 v6, 7, v180
	v_lshrrev_b32_e32 v4, 3, v16
	s_mov_b32 s15, exec_lo
	v_cmpx_gt_u32_e32 8, v16
; %bb.1245:                             ;   in Loop: Header=BB277_799 Depth=1
	s_delay_alu instid0(VALU_DEP_3) | instskip(NEXT) | instid1(VALU_DEP_1)
	v_clz_i32_u32_e32 v4, v6
	v_min_u32_e32 v4, 32, v4
	s_delay_alu instid0(VALU_DEP_1) | instskip(SKIP_1) | instid1(VALU_DEP_2)
	v_subrev_nc_u32_e32 v5, 28, v4
	v_sub_nc_u32_e32 v4, 29, v4
	v_lshlrev_b64 v[5:6], v5, v[6:7]
	s_delay_alu instid0(VALU_DEP_1)
	v_and_b32_e32 v6, 7, v5
; %bb.1246:                             ;   in Loop: Header=BB277_799 Depth=1
	s_or_b32 exec_lo, exec_lo, s15
	v_lshlrev_b32_e32 v5, 24, v180
	s_delay_alu instid0(VALU_DEP_2) | instskip(SKIP_1) | instid1(VALU_DEP_3)
	v_lshlrev_b32_e32 v6, 20, v6
	v_lshl_add_u32 v4, v4, 23, 0x3c000000
	v_and_b32_e32 v5, 0x80000000, v5
	s_delay_alu instid0(VALU_DEP_1) | instskip(NEXT) | instid1(VALU_DEP_1)
	v_or3_b32 v6, v6, v5, v4
	v_dual_mov_b32 v4, v6 :: v_dual_mov_b32 v5, v7
.LBB277_1247:                           ;   in Loop: Header=BB277_799 Depth=1
	s_or_b32 exec_lo, exec_lo, s13
.LBB277_1248:                           ;   in Loop: Header=BB277_799 Depth=1
	s_delay_alu instid0(SALU_CYCLE_1)
	s_or_b32 exec_lo, exec_lo, s12
.LBB277_1249:                           ;   in Loop: Header=BB277_799 Depth=1
	s_delay_alu instid0(SALU_CYCLE_1) | instskip(SKIP_2) | instid1(VALU_DEP_1)
	s_or_b32 exec_lo, exec_lo, s10
	v_lshrrev_b16 v6, 8, v180
	s_mov_b32 s12, exec_lo
	v_cmpx_ne_u16_e32 0, v6
	s_cbranch_execz .LBB277_1257
; %bb.1250:                             ;   in Loop: Header=BB277_799 Depth=1
	v_dual_mov_b32 v15, s9 :: v_dual_mov_b32 v14, s8
	s_mov_b32 s13, exec_lo
	v_cmpx_ne_u16_e32 0x80, v6
	s_cbranch_execz .LBB277_1256
; %bb.1251:                             ;   in Loop: Header=BB277_799 Depth=1
	s_mov_b32 s10, s8
	v_dual_mov_b32 v15, s11 :: v_dual_and_b32 v6, 0xffff, v6
	v_mov_b32_e32 v14, s10
	s_mov_b32 s10, exec_lo
	s_delay_alu instid0(VALU_DEP_2) | instskip(NEXT) | instid1(VALU_DEP_1)
	v_and_b32_e32 v16, 0x7f, v6
	v_cmpx_ne_u32_e32 0x7f, v16
	s_cbranch_execz .LBB277_1255
; %bb.1252:                             ;   in Loop: Header=BB277_799 Depth=1
	v_and_b32_e32 v6, 7, v6
	v_lshrrev_b32_e32 v14, 3, v16
	s_mov_b32 s15, exec_lo
	v_cmpx_gt_u32_e32 8, v16
; %bb.1253:                             ;   in Loop: Header=BB277_799 Depth=1
	s_delay_alu instid0(VALU_DEP_3) | instskip(NEXT) | instid1(VALU_DEP_1)
	v_clz_i32_u32_e32 v14, v6
	v_min_u32_e32 v14, 32, v14
	s_delay_alu instid0(VALU_DEP_1) | instskip(SKIP_1) | instid1(VALU_DEP_2)
	v_subrev_nc_u32_e32 v15, 28, v14
	v_sub_nc_u32_e32 v14, 29, v14
	v_lshlrev_b64 v[15:16], v15, v[6:7]
	s_delay_alu instid0(VALU_DEP_1)
	v_and_b32_e32 v6, 7, v15
; %bb.1254:                             ;   in Loop: Header=BB277_799 Depth=1
	s_or_b32 exec_lo, exec_lo, s15
	v_lshlrev_b32_e32 v15, 16, v180
	s_delay_alu instid0(VALU_DEP_2) | instskip(SKIP_1) | instid1(VALU_DEP_3)
	v_lshlrev_b32_e32 v6, 20, v6
	v_lshl_add_u32 v14, v14, 23, 0x3c000000
	v_and_b32_e32 v15, 0x80000000, v15
	s_delay_alu instid0(VALU_DEP_1)
	v_or3_b32 v15, v6, v15, v14
	v_mov_b32_e32 v14, v7
.LBB277_1255:                           ;   in Loop: Header=BB277_799 Depth=1
	s_or_b32 exec_lo, exec_lo, s10
.LBB277_1256:                           ;   in Loop: Header=BB277_799 Depth=1
	s_delay_alu instid0(SALU_CYCLE_1)
	s_or_b32 exec_lo, exec_lo, s13
.LBB277_1257:                           ;   in Loop: Header=BB277_799 Depth=1
	s_delay_alu instid0(SALU_CYCLE_1) | instskip(SKIP_4) | instid1(VALU_DEP_2)
	s_or_b32 exec_lo, exec_lo, s12
	v_mov_b32_e32 v18, 0
	v_lshrrev_b32_e32 v181, 16, v180
	v_mov_b32_e32 v19, 0
	s_mov_b32 s10, exec_lo
	v_and_b32_e32 v6, 0xff, v181
	s_delay_alu instid0(VALU_DEP_2) | instskip(NEXT) | instid1(VALU_DEP_2)
	v_dual_mov_b32 v16, v18 :: v_dual_mov_b32 v17, v19
	v_cmpx_ne_u16_e32 0, v6
	s_cbranch_execz .LBB277_1265
; %bb.1258:                             ;   in Loop: Header=BB277_799 Depth=1
	v_bfrev_b32_e32 v16, 1
	v_mov_b32_e32 v17, 0
	s_mov_b32 s12, exec_lo
	v_cmpx_ne_u16_e32 0x80, v6
	s_cbranch_execz .LBB277_1264
; %bb.1259:                             ;   in Loop: Header=BB277_799 Depth=1
	v_mov_b32_e32 v16, 0x7f800001
	v_bfe_u32 v182, v180, 16, 7
	v_mov_b32_e32 v17, 0
	s_mov_b32 s13, exec_lo
	s_delay_alu instid0(VALU_DEP_2)
	v_cmpx_ne_u32_e32 0x7f, v182
	s_cbranch_execz .LBB277_1263
; %bb.1260:                             ;   in Loop: Header=BB277_799 Depth=1
	v_and_b32_e32 v6, 7, v181
	v_lshrrev_b32_e32 v16, 3, v182
	s_mov_b32 s15, exec_lo
	v_cmpx_gt_u32_e32 8, v182
; %bb.1261:                             ;   in Loop: Header=BB277_799 Depth=1
	s_delay_alu instid0(VALU_DEP_3) | instskip(NEXT) | instid1(VALU_DEP_1)
	v_clz_i32_u32_e32 v16, v6
	v_min_u32_e32 v16, 32, v16
	s_delay_alu instid0(VALU_DEP_1) | instskip(SKIP_1) | instid1(VALU_DEP_2)
	v_subrev_nc_u32_e32 v17, 28, v16
	v_sub_nc_u32_e32 v16, 29, v16
	v_lshlrev_b64 v[182:183], v17, v[6:7]
	s_delay_alu instid0(VALU_DEP_1)
	v_and_b32_e32 v6, 7, v182
; %bb.1262:                             ;   in Loop: Header=BB277_799 Depth=1
	s_or_b32 exec_lo, exec_lo, s15
	v_lshlrev_b32_e32 v17, 24, v181
	s_delay_alu instid0(VALU_DEP_2) | instskip(SKIP_1) | instid1(VALU_DEP_3)
	v_lshlrev_b32_e32 v6, 20, v6
	v_lshl_add_u32 v16, v16, 23, 0x3c000000
	v_and_b32_e32 v17, 0x80000000, v17
	s_delay_alu instid0(VALU_DEP_1) | instskip(NEXT) | instid1(VALU_DEP_1)
	v_or3_b32 v6, v6, v17, v16
	v_dual_mov_b32 v17, v7 :: v_dual_mov_b32 v16, v6
.LBB277_1263:                           ;   in Loop: Header=BB277_799 Depth=1
	s_or_b32 exec_lo, exec_lo, s13
.LBB277_1264:                           ;   in Loop: Header=BB277_799 Depth=1
	s_delay_alu instid0(SALU_CYCLE_1)
	s_or_b32 exec_lo, exec_lo, s12
.LBB277_1265:                           ;   in Loop: Header=BB277_799 Depth=1
	s_delay_alu instid0(SALU_CYCLE_1) | instskip(NEXT) | instid1(SALU_CYCLE_1)
	s_or_b32 exec_lo, exec_lo, s10
	s_mov_b32 s12, exec_lo
	v_cmpx_lt_u32_e32 0xffffff, v180
	s_cbranch_execz .LBB277_1273
; %bb.1266:                             ;   in Loop: Header=BB277_799 Depth=1
	v_lshrrev_b32_e32 v181, 24, v180
	v_dual_mov_b32 v19, s9 :: v_dual_mov_b32 v18, s8
	s_mov_b32 s13, exec_lo
	s_delay_alu instid0(VALU_DEP_2)
	v_cmpx_ne_u32_e32 0x80, v181
	s_cbranch_execz .LBB277_1272
; %bb.1267:                             ;   in Loop: Header=BB277_799 Depth=1
	s_mov_b32 s10, s8
	v_bfe_u32 v180, v180, 24, 7
	v_dual_mov_b32 v19, s11 :: v_dual_mov_b32 v18, s10
	s_mov_b32 s10, exec_lo
	s_delay_alu instid0(VALU_DEP_2)
	v_cmpx_ne_u32_e32 0x7f, v180
	s_cbranch_execz .LBB277_1271
; %bb.1268:                             ;   in Loop: Header=BB277_799 Depth=1
	v_and_b32_e32 v6, 7, v181
	v_lshrrev_b32_e32 v18, 3, v180
	s_mov_b32 s15, exec_lo
	v_cmpx_gt_u32_e32 8, v180
; %bb.1269:                             ;   in Loop: Header=BB277_799 Depth=1
	s_delay_alu instid0(VALU_DEP_3) | instskip(NEXT) | instid1(VALU_DEP_1)
	v_clz_i32_u32_e32 v18, v6
	v_min_u32_e32 v18, 32, v18
	s_delay_alu instid0(VALU_DEP_1) | instskip(SKIP_1) | instid1(VALU_DEP_2)
	v_subrev_nc_u32_e32 v19, 28, v18
	v_sub_nc_u32_e32 v18, 29, v18
	v_lshlrev_b64 v[182:183], v19, v[6:7]
	s_delay_alu instid0(VALU_DEP_1)
	v_and_b32_e32 v6, 7, v182
; %bb.1270:                             ;   in Loop: Header=BB277_799 Depth=1
	s_or_b32 exec_lo, exec_lo, s15
	v_lshlrev_b32_e32 v19, 24, v181
	s_delay_alu instid0(VALU_DEP_2) | instskip(SKIP_1) | instid1(VALU_DEP_3)
	v_lshlrev_b32_e32 v6, 20, v6
	v_lshl_add_u32 v18, v18, 23, 0x3c000000
	v_and_b32_e32 v19, 0x80000000, v19
	s_delay_alu instid0(VALU_DEP_1)
	v_or3_b32 v19, v6, v19, v18
	v_mov_b32_e32 v18, v7
.LBB277_1271:                           ;   in Loop: Header=BB277_799 Depth=1
	s_or_b32 exec_lo, exec_lo, s10
.LBB277_1272:                           ;   in Loop: Header=BB277_799 Depth=1
	s_delay_alu instid0(SALU_CYCLE_1)
	s_or_b32 exec_lo, exec_lo, s13
.LBB277_1273:                           ;   in Loop: Header=BB277_799 Depth=1
	s_delay_alu instid0(SALU_CYCLE_1) | instskip(SKIP_4) | instid1(VALU_DEP_4)
	s_or_b32 exec_lo, exec_lo, s12
	v_or_b32_e32 v5, v15, v5
	v_or_b32_e32 v4, v14, v4
	;; [unrolled: 1-line block ×4, first 2 shown]
	v_mul_f32_e32 v183, v68, v5
	s_delay_alu instid0(VALU_DEP_4) | instskip(NEXT) | instid1(VALU_DEP_4)
	v_mul_f32_e32 v182, v64, v4
	v_mul_f32_e32 v180, v68, v6
	s_delay_alu instid0(VALU_DEP_4)
	v_mul_f32_e32 v181, v64, v14
	s_and_saveexec_b32 s10, vcc_lo
; %bb.1274:                             ;   in Loop: Header=BB277_799 Depth=1
	v_cmp_lt_i32_e64 s0, v81, v88
	s_delay_alu instid0(VALU_DEP_1) | instskip(SKIP_1) | instid1(VALU_DEP_1)
	v_cndmask_b32_e64 v182, 0, v182, s0
	v_cmp_lt_i32_e64 s0, v83, v88
	v_cndmask_b32_e64 v183, 0, v183, s0
	v_cmp_lt_i32_e64 s0, v82, v88
	s_delay_alu instid0(VALU_DEP_1) | instskip(SKIP_1) | instid1(VALU_DEP_1)
	v_cndmask_b32_e64 v181, 0, v181, s0
	v_cmp_lt_i32_e64 s0, v66, v88
	v_cndmask_b32_e64 v180, 0, v180, s0
; %bb.1275:                             ;   in Loop: Header=BB277_799 Depth=1
	s_or_b32 exec_lo, exec_lo, s10
	flat_load_b32 v40, v[12:13] offset:1792
	v_mov_b32_e32 v14, 0
	v_mov_b32_e32 v15, 0
	s_mov_b32 s10, exec_lo
	s_waitcnt vmcnt(0) lgkmcnt(0)
	v_and_b32_e32 v6, 0xff, v40
	s_delay_alu instid0(VALU_DEP_2) | instskip(NEXT) | instid1(VALU_DEP_2)
	v_dual_mov_b32 v4, v14 :: v_dual_mov_b32 v5, v15
	v_cmpx_ne_u16_e32 0, v6
	s_cbranch_execz .LBB277_1283
; %bb.1276:                             ;   in Loop: Header=BB277_799 Depth=1
	v_bfrev_b32_e32 v4, 1
	v_mov_b32_e32 v5, 0
	s_mov_b32 s12, exec_lo
	v_cmpx_ne_u16_e32 0x80, v6
	s_cbranch_execz .LBB277_1282
; %bb.1277:                             ;   in Loop: Header=BB277_799 Depth=1
	v_mov_b32_e32 v4, 0x7f800001
	v_dual_mov_b32 v5, 0 :: v_dual_and_b32 v16, 0x7f, v40
	s_mov_b32 s13, exec_lo
	s_delay_alu instid0(VALU_DEP_1)
	v_cmpx_ne_u32_e32 0x7f, v16
	s_cbranch_execz .LBB277_1281
; %bb.1278:                             ;   in Loop: Header=BB277_799 Depth=1
	v_and_b32_e32 v6, 7, v40
	v_lshrrev_b32_e32 v4, 3, v16
	s_mov_b32 s15, exec_lo
	v_cmpx_gt_u32_e32 8, v16
; %bb.1279:                             ;   in Loop: Header=BB277_799 Depth=1
	s_delay_alu instid0(VALU_DEP_3) | instskip(NEXT) | instid1(VALU_DEP_1)
	v_clz_i32_u32_e32 v4, v6
	v_min_u32_e32 v4, 32, v4
	s_delay_alu instid0(VALU_DEP_1) | instskip(SKIP_1) | instid1(VALU_DEP_2)
	v_subrev_nc_u32_e32 v5, 28, v4
	v_sub_nc_u32_e32 v4, 29, v4
	v_lshlrev_b64 v[5:6], v5, v[6:7]
	s_delay_alu instid0(VALU_DEP_1)
	v_and_b32_e32 v6, 7, v5
; %bb.1280:                             ;   in Loop: Header=BB277_799 Depth=1
	s_or_b32 exec_lo, exec_lo, s15
	v_lshlrev_b32_e32 v5, 24, v40
	s_delay_alu instid0(VALU_DEP_2) | instskip(SKIP_1) | instid1(VALU_DEP_3)
	v_lshlrev_b32_e32 v6, 20, v6
	v_lshl_add_u32 v4, v4, 23, 0x3c000000
	v_and_b32_e32 v5, 0x80000000, v5
	s_delay_alu instid0(VALU_DEP_1) | instskip(NEXT) | instid1(VALU_DEP_1)
	v_or3_b32 v6, v6, v5, v4
	v_dual_mov_b32 v4, v6 :: v_dual_mov_b32 v5, v7
.LBB277_1281:                           ;   in Loop: Header=BB277_799 Depth=1
	s_or_b32 exec_lo, exec_lo, s13
.LBB277_1282:                           ;   in Loop: Header=BB277_799 Depth=1
	s_delay_alu instid0(SALU_CYCLE_1)
	s_or_b32 exec_lo, exec_lo, s12
.LBB277_1283:                           ;   in Loop: Header=BB277_799 Depth=1
	s_delay_alu instid0(SALU_CYCLE_1) | instskip(SKIP_2) | instid1(VALU_DEP_1)
	s_or_b32 exec_lo, exec_lo, s10
	v_lshrrev_b16 v6, 8, v40
	s_mov_b32 s12, exec_lo
	v_cmpx_ne_u16_e32 0, v6
	s_cbranch_execz .LBB277_1291
; %bb.1284:                             ;   in Loop: Header=BB277_799 Depth=1
	v_dual_mov_b32 v15, s9 :: v_dual_mov_b32 v14, s8
	s_mov_b32 s13, exec_lo
	v_cmpx_ne_u16_e32 0x80, v6
	s_cbranch_execz .LBB277_1290
; %bb.1285:                             ;   in Loop: Header=BB277_799 Depth=1
	s_mov_b32 s10, s8
	v_dual_mov_b32 v15, s11 :: v_dual_and_b32 v6, 0xffff, v6
	v_mov_b32_e32 v14, s10
	s_mov_b32 s10, exec_lo
	s_delay_alu instid0(VALU_DEP_2) | instskip(NEXT) | instid1(VALU_DEP_1)
	v_and_b32_e32 v16, 0x7f, v6
	v_cmpx_ne_u32_e32 0x7f, v16
	s_cbranch_execz .LBB277_1289
; %bb.1286:                             ;   in Loop: Header=BB277_799 Depth=1
	v_and_b32_e32 v6, 7, v6
	v_lshrrev_b32_e32 v14, 3, v16
	s_mov_b32 s15, exec_lo
	v_cmpx_gt_u32_e32 8, v16
; %bb.1287:                             ;   in Loop: Header=BB277_799 Depth=1
	s_delay_alu instid0(VALU_DEP_3) | instskip(NEXT) | instid1(VALU_DEP_1)
	v_clz_i32_u32_e32 v14, v6
	v_min_u32_e32 v14, 32, v14
	s_delay_alu instid0(VALU_DEP_1) | instskip(SKIP_1) | instid1(VALU_DEP_2)
	v_subrev_nc_u32_e32 v15, 28, v14
	v_sub_nc_u32_e32 v14, 29, v14
	v_lshlrev_b64 v[15:16], v15, v[6:7]
	s_delay_alu instid0(VALU_DEP_1)
	v_and_b32_e32 v6, 7, v15
; %bb.1288:                             ;   in Loop: Header=BB277_799 Depth=1
	s_or_b32 exec_lo, exec_lo, s15
	v_lshlrev_b32_e32 v15, 16, v40
	s_delay_alu instid0(VALU_DEP_2) | instskip(SKIP_1) | instid1(VALU_DEP_3)
	v_lshlrev_b32_e32 v6, 20, v6
	v_lshl_add_u32 v14, v14, 23, 0x3c000000
	v_and_b32_e32 v15, 0x80000000, v15
	s_delay_alu instid0(VALU_DEP_1)
	v_or3_b32 v15, v6, v15, v14
	v_mov_b32_e32 v14, v7
.LBB277_1289:                           ;   in Loop: Header=BB277_799 Depth=1
	s_or_b32 exec_lo, exec_lo, s10
.LBB277_1290:                           ;   in Loop: Header=BB277_799 Depth=1
	s_delay_alu instid0(SALU_CYCLE_1)
	s_or_b32 exec_lo, exec_lo, s13
.LBB277_1291:                           ;   in Loop: Header=BB277_799 Depth=1
	s_delay_alu instid0(SALU_CYCLE_1) | instskip(SKIP_4) | instid1(VALU_DEP_2)
	s_or_b32 exec_lo, exec_lo, s12
	v_mov_b32_e32 v18, 0
	v_lshrrev_b32_e32 v41, 16, v40
	v_mov_b32_e32 v19, 0
	s_mov_b32 s10, exec_lo
	v_and_b32_e32 v6, 0xff, v41
	s_delay_alu instid0(VALU_DEP_2) | instskip(NEXT) | instid1(VALU_DEP_2)
	v_dual_mov_b32 v16, v18 :: v_dual_mov_b32 v17, v19
	v_cmpx_ne_u16_e32 0, v6
	s_cbranch_execz .LBB277_1299
; %bb.1292:                             ;   in Loop: Header=BB277_799 Depth=1
	v_bfrev_b32_e32 v16, 1
	v_mov_b32_e32 v17, 0
	s_mov_b32 s12, exec_lo
	v_cmpx_ne_u16_e32 0x80, v6
	s_cbranch_execz .LBB277_1298
; %bb.1293:                             ;   in Loop: Header=BB277_799 Depth=1
	v_mov_b32_e32 v16, 0x7f800001
	v_bfe_u32 v42, v40, 16, 7
	v_mov_b32_e32 v17, 0
	s_mov_b32 s13, exec_lo
	s_delay_alu instid0(VALU_DEP_2)
	v_cmpx_ne_u32_e32 0x7f, v42
	s_cbranch_execz .LBB277_1297
; %bb.1294:                             ;   in Loop: Header=BB277_799 Depth=1
	v_and_b32_e32 v6, 7, v41
	v_lshrrev_b32_e32 v16, 3, v42
	s_mov_b32 s15, exec_lo
	v_cmpx_gt_u32_e32 8, v42
; %bb.1295:                             ;   in Loop: Header=BB277_799 Depth=1
	s_delay_alu instid0(VALU_DEP_3) | instskip(NEXT) | instid1(VALU_DEP_1)
	v_clz_i32_u32_e32 v16, v6
	v_min_u32_e32 v16, 32, v16
	s_delay_alu instid0(VALU_DEP_1) | instskip(SKIP_1) | instid1(VALU_DEP_2)
	v_subrev_nc_u32_e32 v17, 28, v16
	v_sub_nc_u32_e32 v16, 29, v16
	v_lshlrev_b64 v[42:43], v17, v[6:7]
	s_delay_alu instid0(VALU_DEP_1)
	v_and_b32_e32 v6, 7, v42
; %bb.1296:                             ;   in Loop: Header=BB277_799 Depth=1
	s_or_b32 exec_lo, exec_lo, s15
	v_lshlrev_b32_e32 v17, 24, v41
	s_delay_alu instid0(VALU_DEP_2) | instskip(SKIP_1) | instid1(VALU_DEP_3)
	v_lshlrev_b32_e32 v6, 20, v6
	v_lshl_add_u32 v16, v16, 23, 0x3c000000
	v_and_b32_e32 v17, 0x80000000, v17
	s_delay_alu instid0(VALU_DEP_1) | instskip(NEXT) | instid1(VALU_DEP_1)
	v_or3_b32 v6, v6, v17, v16
	v_dual_mov_b32 v17, v7 :: v_dual_mov_b32 v16, v6
.LBB277_1297:                           ;   in Loop: Header=BB277_799 Depth=1
	s_or_b32 exec_lo, exec_lo, s13
.LBB277_1298:                           ;   in Loop: Header=BB277_799 Depth=1
	s_delay_alu instid0(SALU_CYCLE_1)
	s_or_b32 exec_lo, exec_lo, s12
.LBB277_1299:                           ;   in Loop: Header=BB277_799 Depth=1
	s_delay_alu instid0(SALU_CYCLE_1) | instskip(NEXT) | instid1(SALU_CYCLE_1)
	s_or_b32 exec_lo, exec_lo, s10
	s_mov_b32 s12, exec_lo
	v_cmpx_lt_u32_e32 0xffffff, v40
	s_cbranch_execz .LBB277_1307
; %bb.1300:                             ;   in Loop: Header=BB277_799 Depth=1
	v_lshrrev_b32_e32 v41, 24, v40
	v_dual_mov_b32 v19, s9 :: v_dual_mov_b32 v18, s8
	s_mov_b32 s13, exec_lo
	s_delay_alu instid0(VALU_DEP_2)
	v_cmpx_ne_u32_e32 0x80, v41
	s_cbranch_execz .LBB277_1306
; %bb.1301:                             ;   in Loop: Header=BB277_799 Depth=1
	s_mov_b32 s10, s8
	v_bfe_u32 v40, v40, 24, 7
	v_dual_mov_b32 v19, s11 :: v_dual_mov_b32 v18, s10
	s_mov_b32 s10, exec_lo
	s_delay_alu instid0(VALU_DEP_2)
	v_cmpx_ne_u32_e32 0x7f, v40
	s_cbranch_execz .LBB277_1305
; %bb.1302:                             ;   in Loop: Header=BB277_799 Depth=1
	v_and_b32_e32 v6, 7, v41
	v_lshrrev_b32_e32 v18, 3, v40
	s_mov_b32 s15, exec_lo
	v_cmpx_gt_u32_e32 8, v40
; %bb.1303:                             ;   in Loop: Header=BB277_799 Depth=1
	s_delay_alu instid0(VALU_DEP_3) | instskip(NEXT) | instid1(VALU_DEP_1)
	v_clz_i32_u32_e32 v18, v6
	v_min_u32_e32 v18, 32, v18
	s_delay_alu instid0(VALU_DEP_1) | instskip(SKIP_1) | instid1(VALU_DEP_2)
	v_subrev_nc_u32_e32 v19, 28, v18
	v_sub_nc_u32_e32 v18, 29, v18
	v_lshlrev_b64 v[42:43], v19, v[6:7]
	s_delay_alu instid0(VALU_DEP_1)
	v_and_b32_e32 v6, 7, v42
; %bb.1304:                             ;   in Loop: Header=BB277_799 Depth=1
	s_or_b32 exec_lo, exec_lo, s15
	v_lshlrev_b32_e32 v19, 24, v41
	s_delay_alu instid0(VALU_DEP_2) | instskip(SKIP_1) | instid1(VALU_DEP_3)
	v_lshlrev_b32_e32 v6, 20, v6
	v_lshl_add_u32 v18, v18, 23, 0x3c000000
	v_and_b32_e32 v19, 0x80000000, v19
	s_delay_alu instid0(VALU_DEP_1)
	v_or3_b32 v19, v6, v19, v18
	v_mov_b32_e32 v18, v7
.LBB277_1305:                           ;   in Loop: Header=BB277_799 Depth=1
	s_or_b32 exec_lo, exec_lo, s10
.LBB277_1306:                           ;   in Loop: Header=BB277_799 Depth=1
	s_delay_alu instid0(SALU_CYCLE_1)
	s_or_b32 exec_lo, exec_lo, s13
.LBB277_1307:                           ;   in Loop: Header=BB277_799 Depth=1
	s_delay_alu instid0(SALU_CYCLE_1) | instskip(SKIP_4) | instid1(VALU_DEP_4)
	s_or_b32 exec_lo, exec_lo, s12
	v_or_b32_e32 v5, v15, v5
	v_or_b32_e32 v4, v14, v4
	;; [unrolled: 1-line block ×4, first 2 shown]
	v_mul_f32_e32 v43, v68, v5
	s_delay_alu instid0(VALU_DEP_4) | instskip(NEXT) | instid1(VALU_DEP_4)
	v_mul_f32_e32 v42, v64, v4
	v_mul_f32_e32 v40, v68, v6
	s_delay_alu instid0(VALU_DEP_4)
	v_mul_f32_e32 v41, v64, v14
	s_and_saveexec_b32 s10, vcc_lo
; %bb.1308:                             ;   in Loop: Header=BB277_799 Depth=1
	v_cmp_lt_i32_e64 s0, v81, v88
	s_delay_alu instid0(VALU_DEP_1) | instskip(SKIP_1) | instid1(VALU_DEP_1)
	v_cndmask_b32_e64 v42, 0, v42, s0
	v_cmp_lt_i32_e64 s0, v83, v88
	v_cndmask_b32_e64 v43, 0, v43, s0
	v_cmp_lt_i32_e64 s0, v82, v88
	s_delay_alu instid0(VALU_DEP_1) | instskip(SKIP_1) | instid1(VALU_DEP_1)
	v_cndmask_b32_e64 v41, 0, v41, s0
	v_cmp_lt_i32_e64 s0, v66, v88
	v_cndmask_b32_e64 v40, 0, v40, s0
; %bb.1309:                             ;   in Loop: Header=BB277_799 Depth=1
	s_or_b32 exec_lo, exec_lo, s10
	flat_load_b32 v44, v[12:13] offset:1920
	v_mov_b32_e32 v14, 0
	v_mov_b32_e32 v15, 0
	s_mov_b32 s10, exec_lo
	s_waitcnt vmcnt(0) lgkmcnt(0)
	v_and_b32_e32 v6, 0xff, v44
	s_delay_alu instid0(VALU_DEP_2) | instskip(NEXT) | instid1(VALU_DEP_2)
	v_dual_mov_b32 v4, v14 :: v_dual_mov_b32 v5, v15
	v_cmpx_ne_u16_e32 0, v6
	s_cbranch_execz .LBB277_1317
; %bb.1310:                             ;   in Loop: Header=BB277_799 Depth=1
	v_bfrev_b32_e32 v4, 1
	v_mov_b32_e32 v5, 0
	s_mov_b32 s12, exec_lo
	v_cmpx_ne_u16_e32 0x80, v6
	s_cbranch_execz .LBB277_1316
; %bb.1311:                             ;   in Loop: Header=BB277_799 Depth=1
	v_mov_b32_e32 v4, 0x7f800001
	v_dual_mov_b32 v5, 0 :: v_dual_and_b32 v16, 0x7f, v44
	s_mov_b32 s13, exec_lo
	s_delay_alu instid0(VALU_DEP_1)
	v_cmpx_ne_u32_e32 0x7f, v16
	s_cbranch_execz .LBB277_1315
; %bb.1312:                             ;   in Loop: Header=BB277_799 Depth=1
	v_and_b32_e32 v6, 7, v44
	v_lshrrev_b32_e32 v4, 3, v16
	s_mov_b32 s15, exec_lo
	v_cmpx_gt_u32_e32 8, v16
; %bb.1313:                             ;   in Loop: Header=BB277_799 Depth=1
	s_delay_alu instid0(VALU_DEP_3) | instskip(NEXT) | instid1(VALU_DEP_1)
	v_clz_i32_u32_e32 v4, v6
	v_min_u32_e32 v4, 32, v4
	s_delay_alu instid0(VALU_DEP_1) | instskip(SKIP_1) | instid1(VALU_DEP_2)
	v_subrev_nc_u32_e32 v5, 28, v4
	v_sub_nc_u32_e32 v4, 29, v4
	v_lshlrev_b64 v[5:6], v5, v[6:7]
	s_delay_alu instid0(VALU_DEP_1)
	v_and_b32_e32 v6, 7, v5
; %bb.1314:                             ;   in Loop: Header=BB277_799 Depth=1
	s_or_b32 exec_lo, exec_lo, s15
	v_lshlrev_b32_e32 v5, 24, v44
	s_delay_alu instid0(VALU_DEP_2) | instskip(SKIP_1) | instid1(VALU_DEP_3)
	v_lshlrev_b32_e32 v6, 20, v6
	v_lshl_add_u32 v4, v4, 23, 0x3c000000
	v_and_b32_e32 v5, 0x80000000, v5
	s_delay_alu instid0(VALU_DEP_1) | instskip(NEXT) | instid1(VALU_DEP_1)
	v_or3_b32 v6, v6, v5, v4
	v_dual_mov_b32 v4, v6 :: v_dual_mov_b32 v5, v7
.LBB277_1315:                           ;   in Loop: Header=BB277_799 Depth=1
	s_or_b32 exec_lo, exec_lo, s13
.LBB277_1316:                           ;   in Loop: Header=BB277_799 Depth=1
	s_delay_alu instid0(SALU_CYCLE_1)
	s_or_b32 exec_lo, exec_lo, s12
.LBB277_1317:                           ;   in Loop: Header=BB277_799 Depth=1
	s_delay_alu instid0(SALU_CYCLE_1) | instskip(SKIP_2) | instid1(VALU_DEP_1)
	s_or_b32 exec_lo, exec_lo, s10
	v_lshrrev_b16 v6, 8, v44
	s_mov_b32 s12, exec_lo
	v_cmpx_ne_u16_e32 0, v6
	s_cbranch_execz .LBB277_1325
; %bb.1318:                             ;   in Loop: Header=BB277_799 Depth=1
	v_dual_mov_b32 v15, s9 :: v_dual_mov_b32 v14, s8
	s_mov_b32 s13, exec_lo
	v_cmpx_ne_u16_e32 0x80, v6
	s_cbranch_execz .LBB277_1324
; %bb.1319:                             ;   in Loop: Header=BB277_799 Depth=1
	s_mov_b32 s10, s8
	v_dual_mov_b32 v15, s11 :: v_dual_and_b32 v6, 0xffff, v6
	v_mov_b32_e32 v14, s10
	s_mov_b32 s10, exec_lo
	s_delay_alu instid0(VALU_DEP_2) | instskip(NEXT) | instid1(VALU_DEP_1)
	v_and_b32_e32 v16, 0x7f, v6
	v_cmpx_ne_u32_e32 0x7f, v16
	s_cbranch_execz .LBB277_1323
; %bb.1320:                             ;   in Loop: Header=BB277_799 Depth=1
	v_and_b32_e32 v6, 7, v6
	v_lshrrev_b32_e32 v14, 3, v16
	s_mov_b32 s15, exec_lo
	v_cmpx_gt_u32_e32 8, v16
; %bb.1321:                             ;   in Loop: Header=BB277_799 Depth=1
	s_delay_alu instid0(VALU_DEP_3) | instskip(NEXT) | instid1(VALU_DEP_1)
	v_clz_i32_u32_e32 v14, v6
	v_min_u32_e32 v14, 32, v14
	s_delay_alu instid0(VALU_DEP_1) | instskip(SKIP_1) | instid1(VALU_DEP_2)
	v_subrev_nc_u32_e32 v15, 28, v14
	v_sub_nc_u32_e32 v14, 29, v14
	v_lshlrev_b64 v[15:16], v15, v[6:7]
	s_delay_alu instid0(VALU_DEP_1)
	v_and_b32_e32 v6, 7, v15
; %bb.1322:                             ;   in Loop: Header=BB277_799 Depth=1
	s_or_b32 exec_lo, exec_lo, s15
	v_lshlrev_b32_e32 v15, 16, v44
	s_delay_alu instid0(VALU_DEP_2) | instskip(SKIP_1) | instid1(VALU_DEP_3)
	v_lshlrev_b32_e32 v6, 20, v6
	v_lshl_add_u32 v14, v14, 23, 0x3c000000
	v_and_b32_e32 v15, 0x80000000, v15
	s_delay_alu instid0(VALU_DEP_1)
	v_or3_b32 v15, v6, v15, v14
	v_mov_b32_e32 v14, v7
.LBB277_1323:                           ;   in Loop: Header=BB277_799 Depth=1
	s_or_b32 exec_lo, exec_lo, s10
.LBB277_1324:                           ;   in Loop: Header=BB277_799 Depth=1
	s_delay_alu instid0(SALU_CYCLE_1)
	s_or_b32 exec_lo, exec_lo, s13
.LBB277_1325:                           ;   in Loop: Header=BB277_799 Depth=1
	s_delay_alu instid0(SALU_CYCLE_1) | instskip(SKIP_4) | instid1(VALU_DEP_2)
	s_or_b32 exec_lo, exec_lo, s12
	v_mov_b32_e32 v18, 0
	v_lshrrev_b32_e32 v45, 16, v44
	v_mov_b32_e32 v19, 0
	s_mov_b32 s10, exec_lo
	v_and_b32_e32 v6, 0xff, v45
	s_delay_alu instid0(VALU_DEP_2) | instskip(NEXT) | instid1(VALU_DEP_2)
	v_dual_mov_b32 v16, v18 :: v_dual_mov_b32 v17, v19
	v_cmpx_ne_u16_e32 0, v6
	s_cbranch_execz .LBB277_1333
; %bb.1326:                             ;   in Loop: Header=BB277_799 Depth=1
	v_bfrev_b32_e32 v16, 1
	v_mov_b32_e32 v17, 0
	s_mov_b32 s12, exec_lo
	v_cmpx_ne_u16_e32 0x80, v6
	s_cbranch_execz .LBB277_1332
; %bb.1327:                             ;   in Loop: Header=BB277_799 Depth=1
	v_mov_b32_e32 v16, 0x7f800001
	v_bfe_u32 v46, v44, 16, 7
	v_mov_b32_e32 v17, 0
	s_mov_b32 s13, exec_lo
	s_delay_alu instid0(VALU_DEP_2)
	v_cmpx_ne_u32_e32 0x7f, v46
	s_cbranch_execz .LBB277_1331
; %bb.1328:                             ;   in Loop: Header=BB277_799 Depth=1
	v_and_b32_e32 v6, 7, v45
	v_lshrrev_b32_e32 v16, 3, v46
	s_mov_b32 s15, exec_lo
	v_cmpx_gt_u32_e32 8, v46
; %bb.1329:                             ;   in Loop: Header=BB277_799 Depth=1
	s_delay_alu instid0(VALU_DEP_3) | instskip(NEXT) | instid1(VALU_DEP_1)
	v_clz_i32_u32_e32 v16, v6
	v_min_u32_e32 v16, 32, v16
	s_delay_alu instid0(VALU_DEP_1) | instskip(SKIP_1) | instid1(VALU_DEP_2)
	v_subrev_nc_u32_e32 v17, 28, v16
	v_sub_nc_u32_e32 v16, 29, v16
	v_lshlrev_b64 v[46:47], v17, v[6:7]
	s_delay_alu instid0(VALU_DEP_1)
	v_and_b32_e32 v6, 7, v46
; %bb.1330:                             ;   in Loop: Header=BB277_799 Depth=1
	s_or_b32 exec_lo, exec_lo, s15
	v_lshlrev_b32_e32 v17, 24, v45
	s_delay_alu instid0(VALU_DEP_2) | instskip(SKIP_1) | instid1(VALU_DEP_3)
	v_lshlrev_b32_e32 v6, 20, v6
	v_lshl_add_u32 v16, v16, 23, 0x3c000000
	v_and_b32_e32 v17, 0x80000000, v17
	s_delay_alu instid0(VALU_DEP_1) | instskip(NEXT) | instid1(VALU_DEP_1)
	v_or3_b32 v6, v6, v17, v16
	v_dual_mov_b32 v17, v7 :: v_dual_mov_b32 v16, v6
.LBB277_1331:                           ;   in Loop: Header=BB277_799 Depth=1
	s_or_b32 exec_lo, exec_lo, s13
.LBB277_1332:                           ;   in Loop: Header=BB277_799 Depth=1
	s_delay_alu instid0(SALU_CYCLE_1)
	s_or_b32 exec_lo, exec_lo, s12
.LBB277_1333:                           ;   in Loop: Header=BB277_799 Depth=1
	s_delay_alu instid0(SALU_CYCLE_1) | instskip(NEXT) | instid1(SALU_CYCLE_1)
	s_or_b32 exec_lo, exec_lo, s10
	s_mov_b32 s12, exec_lo
	v_cmpx_lt_u32_e32 0xffffff, v44
	s_cbranch_execz .LBB277_1341
; %bb.1334:                             ;   in Loop: Header=BB277_799 Depth=1
	v_lshrrev_b32_e32 v45, 24, v44
	v_dual_mov_b32 v19, s9 :: v_dual_mov_b32 v18, s8
	s_mov_b32 s13, exec_lo
	s_delay_alu instid0(VALU_DEP_2)
	v_cmpx_ne_u32_e32 0x80, v45
	s_cbranch_execz .LBB277_1340
; %bb.1335:                             ;   in Loop: Header=BB277_799 Depth=1
	s_mov_b32 s10, s8
	v_bfe_u32 v44, v44, 24, 7
	v_dual_mov_b32 v19, s11 :: v_dual_mov_b32 v18, s10
	s_mov_b32 s10, exec_lo
	s_delay_alu instid0(VALU_DEP_2)
	v_cmpx_ne_u32_e32 0x7f, v44
	s_cbranch_execz .LBB277_1339
; %bb.1336:                             ;   in Loop: Header=BB277_799 Depth=1
	v_and_b32_e32 v6, 7, v45
	v_lshrrev_b32_e32 v18, 3, v44
	s_mov_b32 s15, exec_lo
	v_cmpx_gt_u32_e32 8, v44
; %bb.1337:                             ;   in Loop: Header=BB277_799 Depth=1
	s_delay_alu instid0(VALU_DEP_3) | instskip(NEXT) | instid1(VALU_DEP_1)
	v_clz_i32_u32_e32 v18, v6
	v_min_u32_e32 v18, 32, v18
	s_delay_alu instid0(VALU_DEP_1) | instskip(SKIP_1) | instid1(VALU_DEP_2)
	v_subrev_nc_u32_e32 v19, 28, v18
	v_sub_nc_u32_e32 v18, 29, v18
	v_lshlrev_b64 v[46:47], v19, v[6:7]
	s_delay_alu instid0(VALU_DEP_1)
	v_and_b32_e32 v6, 7, v46
; %bb.1338:                             ;   in Loop: Header=BB277_799 Depth=1
	s_or_b32 exec_lo, exec_lo, s15
	v_lshlrev_b32_e32 v19, 24, v45
	s_delay_alu instid0(VALU_DEP_2) | instskip(SKIP_1) | instid1(VALU_DEP_3)
	v_lshlrev_b32_e32 v6, 20, v6
	v_lshl_add_u32 v18, v18, 23, 0x3c000000
	v_and_b32_e32 v19, 0x80000000, v19
	s_delay_alu instid0(VALU_DEP_1)
	v_or3_b32 v19, v6, v19, v18
	v_mov_b32_e32 v18, v7
.LBB277_1339:                           ;   in Loop: Header=BB277_799 Depth=1
	s_or_b32 exec_lo, exec_lo, s10
.LBB277_1340:                           ;   in Loop: Header=BB277_799 Depth=1
	s_delay_alu instid0(SALU_CYCLE_1)
	s_or_b32 exec_lo, exec_lo, s13
.LBB277_1341:                           ;   in Loop: Header=BB277_799 Depth=1
	s_delay_alu instid0(SALU_CYCLE_1) | instskip(SKIP_4) | instid1(VALU_DEP_4)
	s_or_b32 exec_lo, exec_lo, s12
	v_or_b32_e32 v5, v15, v5
	v_or_b32_e32 v4, v14, v4
	;; [unrolled: 1-line block ×4, first 2 shown]
	v_mul_f32_e32 v47, v68, v5
	s_delay_alu instid0(VALU_DEP_4) | instskip(NEXT) | instid1(VALU_DEP_4)
	v_mul_f32_e32 v46, v64, v4
	v_mul_f32_e32 v44, v68, v6
	s_delay_alu instid0(VALU_DEP_4)
	v_mul_f32_e32 v45, v64, v14
	s_and_saveexec_b32 s10, vcc_lo
; %bb.1342:                             ;   in Loop: Header=BB277_799 Depth=1
	v_cmp_lt_i32_e64 s0, v81, v88
	s_delay_alu instid0(VALU_DEP_1) | instskip(SKIP_1) | instid1(VALU_DEP_1)
	v_cndmask_b32_e64 v46, 0, v46, s0
	v_cmp_lt_i32_e64 s0, v83, v88
	v_cndmask_b32_e64 v47, 0, v47, s0
	v_cmp_lt_i32_e64 s0, v82, v88
	s_delay_alu instid0(VALU_DEP_1) | instskip(SKIP_1) | instid1(VALU_DEP_1)
	v_cndmask_b32_e64 v45, 0, v45, s0
	v_cmp_lt_i32_e64 s0, v66, v88
	v_cndmask_b32_e64 v44, 0, v44, s0
; %bb.1343:                             ;   in Loop: Header=BB277_799 Depth=1
	s_or_b32 exec_lo, exec_lo, s10
	flat_load_b32 v56, v[12:13] offset:2048
	v_mov_b32_e32 v14, 0
	v_mov_b32_e32 v15, 0
	s_mov_b32 s10, exec_lo
	s_waitcnt vmcnt(0) lgkmcnt(0)
	v_and_b32_e32 v6, 0xff, v56
	s_delay_alu instid0(VALU_DEP_2) | instskip(NEXT) | instid1(VALU_DEP_2)
	v_dual_mov_b32 v4, v14 :: v_dual_mov_b32 v5, v15
	v_cmpx_ne_u16_e32 0, v6
	s_cbranch_execz .LBB277_1351
; %bb.1344:                             ;   in Loop: Header=BB277_799 Depth=1
	v_bfrev_b32_e32 v4, 1
	v_mov_b32_e32 v5, 0
	s_mov_b32 s12, exec_lo
	v_cmpx_ne_u16_e32 0x80, v6
	s_cbranch_execz .LBB277_1350
; %bb.1345:                             ;   in Loop: Header=BB277_799 Depth=1
	v_mov_b32_e32 v4, 0x7f800001
	v_dual_mov_b32 v5, 0 :: v_dual_and_b32 v16, 0x7f, v56
	s_mov_b32 s13, exec_lo
	s_delay_alu instid0(VALU_DEP_1)
	v_cmpx_ne_u32_e32 0x7f, v16
	s_cbranch_execz .LBB277_1349
; %bb.1346:                             ;   in Loop: Header=BB277_799 Depth=1
	v_and_b32_e32 v6, 7, v56
	v_lshrrev_b32_e32 v4, 3, v16
	s_mov_b32 s15, exec_lo
	v_cmpx_gt_u32_e32 8, v16
; %bb.1347:                             ;   in Loop: Header=BB277_799 Depth=1
	s_delay_alu instid0(VALU_DEP_3) | instskip(NEXT) | instid1(VALU_DEP_1)
	v_clz_i32_u32_e32 v4, v6
	v_min_u32_e32 v4, 32, v4
	s_delay_alu instid0(VALU_DEP_1) | instskip(SKIP_1) | instid1(VALU_DEP_2)
	v_subrev_nc_u32_e32 v5, 28, v4
	v_sub_nc_u32_e32 v4, 29, v4
	v_lshlrev_b64 v[5:6], v5, v[6:7]
	s_delay_alu instid0(VALU_DEP_1)
	v_and_b32_e32 v6, 7, v5
; %bb.1348:                             ;   in Loop: Header=BB277_799 Depth=1
	s_or_b32 exec_lo, exec_lo, s15
	v_lshlrev_b32_e32 v5, 24, v56
	s_delay_alu instid0(VALU_DEP_2) | instskip(SKIP_1) | instid1(VALU_DEP_3)
	v_lshlrev_b32_e32 v6, 20, v6
	v_lshl_add_u32 v4, v4, 23, 0x3c000000
	v_and_b32_e32 v5, 0x80000000, v5
	s_delay_alu instid0(VALU_DEP_1) | instskip(NEXT) | instid1(VALU_DEP_1)
	v_or3_b32 v6, v6, v5, v4
	v_dual_mov_b32 v4, v6 :: v_dual_mov_b32 v5, v7
.LBB277_1349:                           ;   in Loop: Header=BB277_799 Depth=1
	s_or_b32 exec_lo, exec_lo, s13
.LBB277_1350:                           ;   in Loop: Header=BB277_799 Depth=1
	s_delay_alu instid0(SALU_CYCLE_1)
	s_or_b32 exec_lo, exec_lo, s12
.LBB277_1351:                           ;   in Loop: Header=BB277_799 Depth=1
	s_delay_alu instid0(SALU_CYCLE_1) | instskip(SKIP_2) | instid1(VALU_DEP_1)
	s_or_b32 exec_lo, exec_lo, s10
	v_lshrrev_b16 v6, 8, v56
	s_mov_b32 s12, exec_lo
	v_cmpx_ne_u16_e32 0, v6
	s_cbranch_execz .LBB277_1359
; %bb.1352:                             ;   in Loop: Header=BB277_799 Depth=1
	v_dual_mov_b32 v15, s9 :: v_dual_mov_b32 v14, s8
	s_mov_b32 s13, exec_lo
	v_cmpx_ne_u16_e32 0x80, v6
	s_cbranch_execz .LBB277_1358
; %bb.1353:                             ;   in Loop: Header=BB277_799 Depth=1
	s_mov_b32 s10, s8
	v_dual_mov_b32 v15, s11 :: v_dual_and_b32 v6, 0xffff, v6
	v_mov_b32_e32 v14, s10
	s_mov_b32 s10, exec_lo
	s_delay_alu instid0(VALU_DEP_2) | instskip(NEXT) | instid1(VALU_DEP_1)
	v_and_b32_e32 v16, 0x7f, v6
	v_cmpx_ne_u32_e32 0x7f, v16
	s_cbranch_execz .LBB277_1357
; %bb.1354:                             ;   in Loop: Header=BB277_799 Depth=1
	v_and_b32_e32 v6, 7, v6
	v_lshrrev_b32_e32 v14, 3, v16
	s_mov_b32 s15, exec_lo
	v_cmpx_gt_u32_e32 8, v16
; %bb.1355:                             ;   in Loop: Header=BB277_799 Depth=1
	s_delay_alu instid0(VALU_DEP_3) | instskip(NEXT) | instid1(VALU_DEP_1)
	v_clz_i32_u32_e32 v14, v6
	v_min_u32_e32 v14, 32, v14
	s_delay_alu instid0(VALU_DEP_1) | instskip(SKIP_1) | instid1(VALU_DEP_2)
	v_subrev_nc_u32_e32 v15, 28, v14
	v_sub_nc_u32_e32 v14, 29, v14
	v_lshlrev_b64 v[15:16], v15, v[6:7]
	s_delay_alu instid0(VALU_DEP_1)
	v_and_b32_e32 v6, 7, v15
; %bb.1356:                             ;   in Loop: Header=BB277_799 Depth=1
	s_or_b32 exec_lo, exec_lo, s15
	v_lshlrev_b32_e32 v15, 16, v56
	s_delay_alu instid0(VALU_DEP_2) | instskip(SKIP_1) | instid1(VALU_DEP_3)
	v_lshlrev_b32_e32 v6, 20, v6
	v_lshl_add_u32 v14, v14, 23, 0x3c000000
	v_and_b32_e32 v15, 0x80000000, v15
	s_delay_alu instid0(VALU_DEP_1)
	v_or3_b32 v15, v6, v15, v14
	v_mov_b32_e32 v14, v7
.LBB277_1357:                           ;   in Loop: Header=BB277_799 Depth=1
	s_or_b32 exec_lo, exec_lo, s10
.LBB277_1358:                           ;   in Loop: Header=BB277_799 Depth=1
	s_delay_alu instid0(SALU_CYCLE_1)
	s_or_b32 exec_lo, exec_lo, s13
.LBB277_1359:                           ;   in Loop: Header=BB277_799 Depth=1
	s_delay_alu instid0(SALU_CYCLE_1) | instskip(SKIP_4) | instid1(VALU_DEP_2)
	s_or_b32 exec_lo, exec_lo, s12
	v_mov_b32_e32 v18, 0
	v_lshrrev_b32_e32 v57, 16, v56
	v_mov_b32_e32 v19, 0
	s_mov_b32 s10, exec_lo
	v_and_b32_e32 v6, 0xff, v57
	s_delay_alu instid0(VALU_DEP_2) | instskip(NEXT) | instid1(VALU_DEP_2)
	v_dual_mov_b32 v16, v18 :: v_dual_mov_b32 v17, v19
	v_cmpx_ne_u16_e32 0, v6
	s_cbranch_execz .LBB277_1367
; %bb.1360:                             ;   in Loop: Header=BB277_799 Depth=1
	v_bfrev_b32_e32 v16, 1
	v_mov_b32_e32 v17, 0
	s_mov_b32 s12, exec_lo
	v_cmpx_ne_u16_e32 0x80, v6
	s_cbranch_execz .LBB277_1366
; %bb.1361:                             ;   in Loop: Header=BB277_799 Depth=1
	v_mov_b32_e32 v16, 0x7f800001
	v_bfe_u32 v58, v56, 16, 7
	v_mov_b32_e32 v17, 0
	s_mov_b32 s13, exec_lo
	s_delay_alu instid0(VALU_DEP_2)
	v_cmpx_ne_u32_e32 0x7f, v58
	s_cbranch_execz .LBB277_1365
; %bb.1362:                             ;   in Loop: Header=BB277_799 Depth=1
	v_and_b32_e32 v6, 7, v57
	v_lshrrev_b32_e32 v16, 3, v58
	s_mov_b32 s15, exec_lo
	v_cmpx_gt_u32_e32 8, v58
; %bb.1363:                             ;   in Loop: Header=BB277_799 Depth=1
	s_delay_alu instid0(VALU_DEP_3) | instskip(NEXT) | instid1(VALU_DEP_1)
	v_clz_i32_u32_e32 v16, v6
	v_min_u32_e32 v16, 32, v16
	s_delay_alu instid0(VALU_DEP_1) | instskip(SKIP_1) | instid1(VALU_DEP_2)
	v_subrev_nc_u32_e32 v17, 28, v16
	v_sub_nc_u32_e32 v16, 29, v16
	v_lshlrev_b64 v[58:59], v17, v[6:7]
	s_delay_alu instid0(VALU_DEP_1)
	v_and_b32_e32 v6, 7, v58
; %bb.1364:                             ;   in Loop: Header=BB277_799 Depth=1
	s_or_b32 exec_lo, exec_lo, s15
	v_lshlrev_b32_e32 v17, 24, v57
	s_delay_alu instid0(VALU_DEP_2) | instskip(SKIP_1) | instid1(VALU_DEP_3)
	v_lshlrev_b32_e32 v6, 20, v6
	v_lshl_add_u32 v16, v16, 23, 0x3c000000
	v_and_b32_e32 v17, 0x80000000, v17
	s_delay_alu instid0(VALU_DEP_1) | instskip(NEXT) | instid1(VALU_DEP_1)
	v_or3_b32 v6, v6, v17, v16
	v_dual_mov_b32 v17, v7 :: v_dual_mov_b32 v16, v6
.LBB277_1365:                           ;   in Loop: Header=BB277_799 Depth=1
	s_or_b32 exec_lo, exec_lo, s13
.LBB277_1366:                           ;   in Loop: Header=BB277_799 Depth=1
	s_delay_alu instid0(SALU_CYCLE_1)
	s_or_b32 exec_lo, exec_lo, s12
.LBB277_1367:                           ;   in Loop: Header=BB277_799 Depth=1
	s_delay_alu instid0(SALU_CYCLE_1) | instskip(NEXT) | instid1(SALU_CYCLE_1)
	s_or_b32 exec_lo, exec_lo, s10
	s_mov_b32 s12, exec_lo
	v_cmpx_lt_u32_e32 0xffffff, v56
	s_cbranch_execz .LBB277_1375
; %bb.1368:                             ;   in Loop: Header=BB277_799 Depth=1
	v_lshrrev_b32_e32 v57, 24, v56
	v_dual_mov_b32 v19, s9 :: v_dual_mov_b32 v18, s8
	s_mov_b32 s13, exec_lo
	s_delay_alu instid0(VALU_DEP_2)
	v_cmpx_ne_u32_e32 0x80, v57
	s_cbranch_execz .LBB277_1374
; %bb.1369:                             ;   in Loop: Header=BB277_799 Depth=1
	s_mov_b32 s10, s8
	v_bfe_u32 v56, v56, 24, 7
	v_dual_mov_b32 v19, s11 :: v_dual_mov_b32 v18, s10
	s_mov_b32 s10, exec_lo
	s_delay_alu instid0(VALU_DEP_2)
	v_cmpx_ne_u32_e32 0x7f, v56
	s_cbranch_execz .LBB277_1373
; %bb.1370:                             ;   in Loop: Header=BB277_799 Depth=1
	v_and_b32_e32 v6, 7, v57
	v_lshrrev_b32_e32 v18, 3, v56
	s_mov_b32 s15, exec_lo
	v_cmpx_gt_u32_e32 8, v56
; %bb.1371:                             ;   in Loop: Header=BB277_799 Depth=1
	s_delay_alu instid0(VALU_DEP_3) | instskip(NEXT) | instid1(VALU_DEP_1)
	v_clz_i32_u32_e32 v18, v6
	v_min_u32_e32 v18, 32, v18
	s_delay_alu instid0(VALU_DEP_1) | instskip(SKIP_1) | instid1(VALU_DEP_2)
	v_subrev_nc_u32_e32 v19, 28, v18
	v_sub_nc_u32_e32 v18, 29, v18
	v_lshlrev_b64 v[58:59], v19, v[6:7]
	s_delay_alu instid0(VALU_DEP_1)
	v_and_b32_e32 v6, 7, v58
; %bb.1372:                             ;   in Loop: Header=BB277_799 Depth=1
	s_or_b32 exec_lo, exec_lo, s15
	v_lshlrev_b32_e32 v19, 24, v57
	s_delay_alu instid0(VALU_DEP_2) | instskip(SKIP_1) | instid1(VALU_DEP_3)
	v_lshlrev_b32_e32 v6, 20, v6
	v_lshl_add_u32 v18, v18, 23, 0x3c000000
	v_and_b32_e32 v19, 0x80000000, v19
	s_delay_alu instid0(VALU_DEP_1)
	v_or3_b32 v19, v6, v19, v18
	v_mov_b32_e32 v18, v7
.LBB277_1373:                           ;   in Loop: Header=BB277_799 Depth=1
	s_or_b32 exec_lo, exec_lo, s10
.LBB277_1374:                           ;   in Loop: Header=BB277_799 Depth=1
	s_delay_alu instid0(SALU_CYCLE_1)
	s_or_b32 exec_lo, exec_lo, s13
.LBB277_1375:                           ;   in Loop: Header=BB277_799 Depth=1
	s_delay_alu instid0(SALU_CYCLE_1) | instskip(SKIP_4) | instid1(VALU_DEP_4)
	s_or_b32 exec_lo, exec_lo, s12
	v_or_b32_e32 v5, v15, v5
	v_or_b32_e32 v4, v14, v4
	;; [unrolled: 1-line block ×4, first 2 shown]
	v_mul_f32_e32 v59, v68, v5
	s_delay_alu instid0(VALU_DEP_4) | instskip(NEXT) | instid1(VALU_DEP_4)
	v_mul_f32_e32 v58, v64, v4
	v_mul_f32_e32 v56, v68, v6
	s_delay_alu instid0(VALU_DEP_4)
	v_mul_f32_e32 v57, v64, v14
	s_and_saveexec_b32 s10, vcc_lo
; %bb.1376:                             ;   in Loop: Header=BB277_799 Depth=1
	v_cmp_lt_i32_e64 s0, v81, v88
	s_delay_alu instid0(VALU_DEP_1) | instskip(SKIP_1) | instid1(VALU_DEP_1)
	v_cndmask_b32_e64 v58, 0, v58, s0
	v_cmp_lt_i32_e64 s0, v83, v88
	v_cndmask_b32_e64 v59, 0, v59, s0
	v_cmp_lt_i32_e64 s0, v82, v88
	s_delay_alu instid0(VALU_DEP_1) | instskip(SKIP_1) | instid1(VALU_DEP_1)
	v_cndmask_b32_e64 v57, 0, v57, s0
	v_cmp_lt_i32_e64 s0, v66, v88
	v_cndmask_b32_e64 v56, 0, v56, s0
; %bb.1377:                             ;   in Loop: Header=BB277_799 Depth=1
	s_or_b32 exec_lo, exec_lo, s10
	flat_load_b32 v60, v[12:13] offset:2176
	v_mov_b32_e32 v14, 0
	v_mov_b32_e32 v15, 0
	s_mov_b32 s10, exec_lo
	s_waitcnt vmcnt(0) lgkmcnt(0)
	v_and_b32_e32 v6, 0xff, v60
	s_delay_alu instid0(VALU_DEP_2) | instskip(NEXT) | instid1(VALU_DEP_2)
	v_dual_mov_b32 v4, v14 :: v_dual_mov_b32 v5, v15
	v_cmpx_ne_u16_e32 0, v6
	s_cbranch_execz .LBB277_1385
; %bb.1378:                             ;   in Loop: Header=BB277_799 Depth=1
	v_bfrev_b32_e32 v4, 1
	v_mov_b32_e32 v5, 0
	s_mov_b32 s12, exec_lo
	v_cmpx_ne_u16_e32 0x80, v6
	s_cbranch_execz .LBB277_1384
; %bb.1379:                             ;   in Loop: Header=BB277_799 Depth=1
	v_mov_b32_e32 v4, 0x7f800001
	v_dual_mov_b32 v5, 0 :: v_dual_and_b32 v16, 0x7f, v60
	s_mov_b32 s13, exec_lo
	s_delay_alu instid0(VALU_DEP_1)
	v_cmpx_ne_u32_e32 0x7f, v16
	s_cbranch_execz .LBB277_1383
; %bb.1380:                             ;   in Loop: Header=BB277_799 Depth=1
	v_and_b32_e32 v6, 7, v60
	v_lshrrev_b32_e32 v4, 3, v16
	s_mov_b32 s15, exec_lo
	v_cmpx_gt_u32_e32 8, v16
; %bb.1381:                             ;   in Loop: Header=BB277_799 Depth=1
	s_delay_alu instid0(VALU_DEP_3) | instskip(NEXT) | instid1(VALU_DEP_1)
	v_clz_i32_u32_e32 v4, v6
	v_min_u32_e32 v4, 32, v4
	s_delay_alu instid0(VALU_DEP_1) | instskip(SKIP_1) | instid1(VALU_DEP_2)
	v_subrev_nc_u32_e32 v5, 28, v4
	v_sub_nc_u32_e32 v4, 29, v4
	v_lshlrev_b64 v[5:6], v5, v[6:7]
	s_delay_alu instid0(VALU_DEP_1)
	v_and_b32_e32 v6, 7, v5
; %bb.1382:                             ;   in Loop: Header=BB277_799 Depth=1
	s_or_b32 exec_lo, exec_lo, s15
	v_lshlrev_b32_e32 v5, 24, v60
	s_delay_alu instid0(VALU_DEP_2) | instskip(SKIP_1) | instid1(VALU_DEP_3)
	v_lshlrev_b32_e32 v6, 20, v6
	v_lshl_add_u32 v4, v4, 23, 0x3c000000
	v_and_b32_e32 v5, 0x80000000, v5
	s_delay_alu instid0(VALU_DEP_1) | instskip(NEXT) | instid1(VALU_DEP_1)
	v_or3_b32 v6, v6, v5, v4
	v_dual_mov_b32 v4, v6 :: v_dual_mov_b32 v5, v7
.LBB277_1383:                           ;   in Loop: Header=BB277_799 Depth=1
	s_or_b32 exec_lo, exec_lo, s13
.LBB277_1384:                           ;   in Loop: Header=BB277_799 Depth=1
	s_delay_alu instid0(SALU_CYCLE_1)
	s_or_b32 exec_lo, exec_lo, s12
.LBB277_1385:                           ;   in Loop: Header=BB277_799 Depth=1
	s_delay_alu instid0(SALU_CYCLE_1) | instskip(SKIP_2) | instid1(VALU_DEP_1)
	s_or_b32 exec_lo, exec_lo, s10
	v_lshrrev_b16 v6, 8, v60
	s_mov_b32 s12, exec_lo
	v_cmpx_ne_u16_e32 0, v6
	s_cbranch_execz .LBB277_1393
; %bb.1386:                             ;   in Loop: Header=BB277_799 Depth=1
	v_dual_mov_b32 v15, s9 :: v_dual_mov_b32 v14, s8
	s_mov_b32 s13, exec_lo
	v_cmpx_ne_u16_e32 0x80, v6
	s_cbranch_execz .LBB277_1392
; %bb.1387:                             ;   in Loop: Header=BB277_799 Depth=1
	s_mov_b32 s10, s8
	v_dual_mov_b32 v15, s11 :: v_dual_and_b32 v6, 0xffff, v6
	v_mov_b32_e32 v14, s10
	s_mov_b32 s10, exec_lo
	s_delay_alu instid0(VALU_DEP_2) | instskip(NEXT) | instid1(VALU_DEP_1)
	v_and_b32_e32 v16, 0x7f, v6
	v_cmpx_ne_u32_e32 0x7f, v16
	s_cbranch_execz .LBB277_1391
; %bb.1388:                             ;   in Loop: Header=BB277_799 Depth=1
	v_and_b32_e32 v6, 7, v6
	v_lshrrev_b32_e32 v14, 3, v16
	s_mov_b32 s15, exec_lo
	v_cmpx_gt_u32_e32 8, v16
; %bb.1389:                             ;   in Loop: Header=BB277_799 Depth=1
	s_delay_alu instid0(VALU_DEP_3) | instskip(NEXT) | instid1(VALU_DEP_1)
	v_clz_i32_u32_e32 v14, v6
	v_min_u32_e32 v14, 32, v14
	s_delay_alu instid0(VALU_DEP_1) | instskip(SKIP_1) | instid1(VALU_DEP_2)
	v_subrev_nc_u32_e32 v15, 28, v14
	v_sub_nc_u32_e32 v14, 29, v14
	v_lshlrev_b64 v[15:16], v15, v[6:7]
	s_delay_alu instid0(VALU_DEP_1)
	v_and_b32_e32 v6, 7, v15
; %bb.1390:                             ;   in Loop: Header=BB277_799 Depth=1
	s_or_b32 exec_lo, exec_lo, s15
	v_lshlrev_b32_e32 v15, 16, v60
	s_delay_alu instid0(VALU_DEP_2) | instskip(SKIP_1) | instid1(VALU_DEP_3)
	v_lshlrev_b32_e32 v6, 20, v6
	v_lshl_add_u32 v14, v14, 23, 0x3c000000
	v_and_b32_e32 v15, 0x80000000, v15
	s_delay_alu instid0(VALU_DEP_1)
	v_or3_b32 v15, v6, v15, v14
	v_mov_b32_e32 v14, v7
.LBB277_1391:                           ;   in Loop: Header=BB277_799 Depth=1
	s_or_b32 exec_lo, exec_lo, s10
.LBB277_1392:                           ;   in Loop: Header=BB277_799 Depth=1
	s_delay_alu instid0(SALU_CYCLE_1)
	s_or_b32 exec_lo, exec_lo, s13
.LBB277_1393:                           ;   in Loop: Header=BB277_799 Depth=1
	s_delay_alu instid0(SALU_CYCLE_1) | instskip(SKIP_4) | instid1(VALU_DEP_2)
	s_or_b32 exec_lo, exec_lo, s12
	v_mov_b32_e32 v18, 0
	v_lshrrev_b32_e32 v61, 16, v60
	v_mov_b32_e32 v19, 0
	s_mov_b32 s10, exec_lo
	v_and_b32_e32 v6, 0xff, v61
	s_delay_alu instid0(VALU_DEP_2) | instskip(NEXT) | instid1(VALU_DEP_2)
	v_dual_mov_b32 v16, v18 :: v_dual_mov_b32 v17, v19
	v_cmpx_ne_u16_e32 0, v6
	s_cbranch_execz .LBB277_1401
; %bb.1394:                             ;   in Loop: Header=BB277_799 Depth=1
	v_bfrev_b32_e32 v16, 1
	v_mov_b32_e32 v17, 0
	s_mov_b32 s12, exec_lo
	v_cmpx_ne_u16_e32 0x80, v6
	s_cbranch_execz .LBB277_1400
; %bb.1395:                             ;   in Loop: Header=BB277_799 Depth=1
	v_mov_b32_e32 v16, 0x7f800001
	v_bfe_u32 v62, v60, 16, 7
	v_mov_b32_e32 v17, 0
	s_mov_b32 s13, exec_lo
	s_delay_alu instid0(VALU_DEP_2)
	v_cmpx_ne_u32_e32 0x7f, v62
	s_cbranch_execz .LBB277_1399
; %bb.1396:                             ;   in Loop: Header=BB277_799 Depth=1
	v_and_b32_e32 v6, 7, v61
	v_lshrrev_b32_e32 v16, 3, v62
	s_mov_b32 s15, exec_lo
	v_cmpx_gt_u32_e32 8, v62
; %bb.1397:                             ;   in Loop: Header=BB277_799 Depth=1
	s_delay_alu instid0(VALU_DEP_3) | instskip(NEXT) | instid1(VALU_DEP_1)
	v_clz_i32_u32_e32 v16, v6
	v_min_u32_e32 v16, 32, v16
	s_delay_alu instid0(VALU_DEP_1) | instskip(SKIP_1) | instid1(VALU_DEP_2)
	v_subrev_nc_u32_e32 v17, 28, v16
	v_sub_nc_u32_e32 v16, 29, v16
	v_lshlrev_b64 v[62:63], v17, v[6:7]
	s_delay_alu instid0(VALU_DEP_1)
	v_and_b32_e32 v6, 7, v62
; %bb.1398:                             ;   in Loop: Header=BB277_799 Depth=1
	s_or_b32 exec_lo, exec_lo, s15
	v_lshlrev_b32_e32 v17, 24, v61
	s_delay_alu instid0(VALU_DEP_2) | instskip(SKIP_1) | instid1(VALU_DEP_3)
	v_lshlrev_b32_e32 v6, 20, v6
	v_lshl_add_u32 v16, v16, 23, 0x3c000000
	v_and_b32_e32 v17, 0x80000000, v17
	s_delay_alu instid0(VALU_DEP_1) | instskip(NEXT) | instid1(VALU_DEP_1)
	v_or3_b32 v6, v6, v17, v16
	v_dual_mov_b32 v17, v7 :: v_dual_mov_b32 v16, v6
.LBB277_1399:                           ;   in Loop: Header=BB277_799 Depth=1
	s_or_b32 exec_lo, exec_lo, s13
.LBB277_1400:                           ;   in Loop: Header=BB277_799 Depth=1
	s_delay_alu instid0(SALU_CYCLE_1)
	s_or_b32 exec_lo, exec_lo, s12
.LBB277_1401:                           ;   in Loop: Header=BB277_799 Depth=1
	s_delay_alu instid0(SALU_CYCLE_1) | instskip(NEXT) | instid1(SALU_CYCLE_1)
	s_or_b32 exec_lo, exec_lo, s10
	s_mov_b32 s12, exec_lo
	v_cmpx_lt_u32_e32 0xffffff, v60
	s_cbranch_execz .LBB277_1409
; %bb.1402:                             ;   in Loop: Header=BB277_799 Depth=1
	v_lshrrev_b32_e32 v61, 24, v60
	v_dual_mov_b32 v19, s9 :: v_dual_mov_b32 v18, s8
	s_mov_b32 s13, exec_lo
	s_delay_alu instid0(VALU_DEP_2)
	v_cmpx_ne_u32_e32 0x80, v61
	s_cbranch_execz .LBB277_1408
; %bb.1403:                             ;   in Loop: Header=BB277_799 Depth=1
	s_mov_b32 s10, s8
	v_bfe_u32 v60, v60, 24, 7
	v_dual_mov_b32 v19, s11 :: v_dual_mov_b32 v18, s10
	s_mov_b32 s10, exec_lo
	s_delay_alu instid0(VALU_DEP_2)
	v_cmpx_ne_u32_e32 0x7f, v60
	s_cbranch_execz .LBB277_1407
; %bb.1404:                             ;   in Loop: Header=BB277_799 Depth=1
	v_and_b32_e32 v6, 7, v61
	v_lshrrev_b32_e32 v18, 3, v60
	s_mov_b32 s15, exec_lo
	v_cmpx_gt_u32_e32 8, v60
; %bb.1405:                             ;   in Loop: Header=BB277_799 Depth=1
	s_delay_alu instid0(VALU_DEP_3) | instskip(NEXT) | instid1(VALU_DEP_1)
	v_clz_i32_u32_e32 v18, v6
	v_min_u32_e32 v18, 32, v18
	s_delay_alu instid0(VALU_DEP_1) | instskip(SKIP_1) | instid1(VALU_DEP_2)
	v_subrev_nc_u32_e32 v19, 28, v18
	v_sub_nc_u32_e32 v18, 29, v18
	v_lshlrev_b64 v[62:63], v19, v[6:7]
	s_delay_alu instid0(VALU_DEP_1)
	v_and_b32_e32 v6, 7, v62
; %bb.1406:                             ;   in Loop: Header=BB277_799 Depth=1
	s_or_b32 exec_lo, exec_lo, s15
	v_lshlrev_b32_e32 v19, 24, v61
	s_delay_alu instid0(VALU_DEP_2) | instskip(SKIP_1) | instid1(VALU_DEP_3)
	v_lshlrev_b32_e32 v6, 20, v6
	v_lshl_add_u32 v18, v18, 23, 0x3c000000
	v_and_b32_e32 v19, 0x80000000, v19
	s_delay_alu instid0(VALU_DEP_1)
	v_or3_b32 v19, v6, v19, v18
	v_mov_b32_e32 v18, v7
.LBB277_1407:                           ;   in Loop: Header=BB277_799 Depth=1
	s_or_b32 exec_lo, exec_lo, s10
.LBB277_1408:                           ;   in Loop: Header=BB277_799 Depth=1
	s_delay_alu instid0(SALU_CYCLE_1)
	s_or_b32 exec_lo, exec_lo, s13
.LBB277_1409:                           ;   in Loop: Header=BB277_799 Depth=1
	s_delay_alu instid0(SALU_CYCLE_1) | instskip(SKIP_4) | instid1(VALU_DEP_4)
	s_or_b32 exec_lo, exec_lo, s12
	v_or_b32_e32 v5, v15, v5
	v_or_b32_e32 v4, v14, v4
	;; [unrolled: 1-line block ×4, first 2 shown]
	v_mul_f32_e32 v63, v68, v5
	s_delay_alu instid0(VALU_DEP_4) | instskip(NEXT) | instid1(VALU_DEP_4)
	v_mul_f32_e32 v62, v64, v4
	v_mul_f32_e32 v60, v68, v6
	s_delay_alu instid0(VALU_DEP_4)
	v_mul_f32_e32 v61, v64, v14
	s_and_saveexec_b32 s10, vcc_lo
; %bb.1410:                             ;   in Loop: Header=BB277_799 Depth=1
	v_cmp_lt_i32_e64 s0, v81, v88
	s_delay_alu instid0(VALU_DEP_1) | instskip(SKIP_1) | instid1(VALU_DEP_1)
	v_cndmask_b32_e64 v62, 0, v62, s0
	v_cmp_lt_i32_e64 s0, v83, v88
	v_cndmask_b32_e64 v63, 0, v63, s0
	v_cmp_lt_i32_e64 s0, v82, v88
	s_delay_alu instid0(VALU_DEP_1) | instskip(SKIP_1) | instid1(VALU_DEP_1)
	v_cndmask_b32_e64 v61, 0, v61, s0
	v_cmp_lt_i32_e64 s0, v66, v88
	v_cndmask_b32_e64 v60, 0, v60, s0
; %bb.1411:                             ;   in Loop: Header=BB277_799 Depth=1
	s_or_b32 exec_lo, exec_lo, s10
	flat_load_b32 v72, v[12:13] offset:2304
	v_mov_b32_e32 v14, 0
	v_mov_b32_e32 v15, 0
	s_mov_b32 s10, exec_lo
	s_waitcnt vmcnt(0) lgkmcnt(0)
	v_and_b32_e32 v6, 0xff, v72
	s_delay_alu instid0(VALU_DEP_2) | instskip(NEXT) | instid1(VALU_DEP_2)
	v_dual_mov_b32 v4, v14 :: v_dual_mov_b32 v5, v15
	v_cmpx_ne_u16_e32 0, v6
	s_cbranch_execz .LBB277_1419
; %bb.1412:                             ;   in Loop: Header=BB277_799 Depth=1
	v_bfrev_b32_e32 v4, 1
	v_mov_b32_e32 v5, 0
	s_mov_b32 s12, exec_lo
	v_cmpx_ne_u16_e32 0x80, v6
	s_cbranch_execz .LBB277_1418
; %bb.1413:                             ;   in Loop: Header=BB277_799 Depth=1
	v_mov_b32_e32 v4, 0x7f800001
	v_dual_mov_b32 v5, 0 :: v_dual_and_b32 v16, 0x7f, v72
	s_mov_b32 s13, exec_lo
	s_delay_alu instid0(VALU_DEP_1)
	v_cmpx_ne_u32_e32 0x7f, v16
	s_cbranch_execz .LBB277_1417
; %bb.1414:                             ;   in Loop: Header=BB277_799 Depth=1
	v_and_b32_e32 v6, 7, v72
	v_lshrrev_b32_e32 v4, 3, v16
	s_mov_b32 s15, exec_lo
	v_cmpx_gt_u32_e32 8, v16
; %bb.1415:                             ;   in Loop: Header=BB277_799 Depth=1
	s_delay_alu instid0(VALU_DEP_3) | instskip(NEXT) | instid1(VALU_DEP_1)
	v_clz_i32_u32_e32 v4, v6
	v_min_u32_e32 v4, 32, v4
	s_delay_alu instid0(VALU_DEP_1) | instskip(SKIP_1) | instid1(VALU_DEP_2)
	v_subrev_nc_u32_e32 v5, 28, v4
	v_sub_nc_u32_e32 v4, 29, v4
	v_lshlrev_b64 v[5:6], v5, v[6:7]
	s_delay_alu instid0(VALU_DEP_1)
	v_and_b32_e32 v6, 7, v5
; %bb.1416:                             ;   in Loop: Header=BB277_799 Depth=1
	s_or_b32 exec_lo, exec_lo, s15
	v_lshlrev_b32_e32 v5, 24, v72
	s_delay_alu instid0(VALU_DEP_2) | instskip(SKIP_1) | instid1(VALU_DEP_3)
	v_lshlrev_b32_e32 v6, 20, v6
	v_lshl_add_u32 v4, v4, 23, 0x3c000000
	v_and_b32_e32 v5, 0x80000000, v5
	s_delay_alu instid0(VALU_DEP_1) | instskip(NEXT) | instid1(VALU_DEP_1)
	v_or3_b32 v6, v6, v5, v4
	v_dual_mov_b32 v4, v6 :: v_dual_mov_b32 v5, v7
.LBB277_1417:                           ;   in Loop: Header=BB277_799 Depth=1
	s_or_b32 exec_lo, exec_lo, s13
.LBB277_1418:                           ;   in Loop: Header=BB277_799 Depth=1
	s_delay_alu instid0(SALU_CYCLE_1)
	s_or_b32 exec_lo, exec_lo, s12
.LBB277_1419:                           ;   in Loop: Header=BB277_799 Depth=1
	s_delay_alu instid0(SALU_CYCLE_1) | instskip(SKIP_2) | instid1(VALU_DEP_1)
	s_or_b32 exec_lo, exec_lo, s10
	v_lshrrev_b16 v6, 8, v72
	s_mov_b32 s12, exec_lo
	v_cmpx_ne_u16_e32 0, v6
	s_cbranch_execz .LBB277_1427
; %bb.1420:                             ;   in Loop: Header=BB277_799 Depth=1
	v_dual_mov_b32 v15, s9 :: v_dual_mov_b32 v14, s8
	s_mov_b32 s13, exec_lo
	v_cmpx_ne_u16_e32 0x80, v6
	s_cbranch_execz .LBB277_1426
; %bb.1421:                             ;   in Loop: Header=BB277_799 Depth=1
	s_mov_b32 s10, s8
	v_dual_mov_b32 v15, s11 :: v_dual_and_b32 v6, 0xffff, v6
	v_mov_b32_e32 v14, s10
	s_mov_b32 s10, exec_lo
	s_delay_alu instid0(VALU_DEP_2) | instskip(NEXT) | instid1(VALU_DEP_1)
	v_and_b32_e32 v16, 0x7f, v6
	v_cmpx_ne_u32_e32 0x7f, v16
	s_cbranch_execz .LBB277_1425
; %bb.1422:                             ;   in Loop: Header=BB277_799 Depth=1
	v_and_b32_e32 v6, 7, v6
	v_lshrrev_b32_e32 v14, 3, v16
	s_mov_b32 s15, exec_lo
	v_cmpx_gt_u32_e32 8, v16
; %bb.1423:                             ;   in Loop: Header=BB277_799 Depth=1
	s_delay_alu instid0(VALU_DEP_3) | instskip(NEXT) | instid1(VALU_DEP_1)
	v_clz_i32_u32_e32 v14, v6
	v_min_u32_e32 v14, 32, v14
	s_delay_alu instid0(VALU_DEP_1) | instskip(SKIP_1) | instid1(VALU_DEP_2)
	v_subrev_nc_u32_e32 v15, 28, v14
	v_sub_nc_u32_e32 v14, 29, v14
	v_lshlrev_b64 v[15:16], v15, v[6:7]
	s_delay_alu instid0(VALU_DEP_1)
	v_and_b32_e32 v6, 7, v15
; %bb.1424:                             ;   in Loop: Header=BB277_799 Depth=1
	s_or_b32 exec_lo, exec_lo, s15
	v_lshlrev_b32_e32 v15, 16, v72
	s_delay_alu instid0(VALU_DEP_2) | instskip(SKIP_1) | instid1(VALU_DEP_3)
	v_lshlrev_b32_e32 v6, 20, v6
	v_lshl_add_u32 v14, v14, 23, 0x3c000000
	v_and_b32_e32 v15, 0x80000000, v15
	s_delay_alu instid0(VALU_DEP_1)
	v_or3_b32 v15, v6, v15, v14
	v_mov_b32_e32 v14, v7
.LBB277_1425:                           ;   in Loop: Header=BB277_799 Depth=1
	s_or_b32 exec_lo, exec_lo, s10
.LBB277_1426:                           ;   in Loop: Header=BB277_799 Depth=1
	s_delay_alu instid0(SALU_CYCLE_1)
	s_or_b32 exec_lo, exec_lo, s13
.LBB277_1427:                           ;   in Loop: Header=BB277_799 Depth=1
	s_delay_alu instid0(SALU_CYCLE_1) | instskip(SKIP_4) | instid1(VALU_DEP_2)
	s_or_b32 exec_lo, exec_lo, s12
	v_mov_b32_e32 v18, 0
	v_lshrrev_b32_e32 v73, 16, v72
	v_mov_b32_e32 v19, 0
	s_mov_b32 s10, exec_lo
	v_and_b32_e32 v6, 0xff, v73
	s_delay_alu instid0(VALU_DEP_2) | instskip(NEXT) | instid1(VALU_DEP_2)
	v_dual_mov_b32 v16, v18 :: v_dual_mov_b32 v17, v19
	v_cmpx_ne_u16_e32 0, v6
	s_cbranch_execz .LBB277_1435
; %bb.1428:                             ;   in Loop: Header=BB277_799 Depth=1
	v_bfrev_b32_e32 v16, 1
	v_mov_b32_e32 v17, 0
	s_mov_b32 s12, exec_lo
	v_cmpx_ne_u16_e32 0x80, v6
	s_cbranch_execz .LBB277_1434
; %bb.1429:                             ;   in Loop: Header=BB277_799 Depth=1
	v_mov_b32_e32 v16, 0x7f800001
	v_bfe_u32 v74, v72, 16, 7
	v_mov_b32_e32 v17, 0
	s_mov_b32 s13, exec_lo
	s_delay_alu instid0(VALU_DEP_2)
	v_cmpx_ne_u32_e32 0x7f, v74
	s_cbranch_execz .LBB277_1433
; %bb.1430:                             ;   in Loop: Header=BB277_799 Depth=1
	v_and_b32_e32 v6, 7, v73
	v_lshrrev_b32_e32 v16, 3, v74
	s_mov_b32 s15, exec_lo
	v_cmpx_gt_u32_e32 8, v74
; %bb.1431:                             ;   in Loop: Header=BB277_799 Depth=1
	s_delay_alu instid0(VALU_DEP_3) | instskip(NEXT) | instid1(VALU_DEP_1)
	v_clz_i32_u32_e32 v16, v6
	v_min_u32_e32 v16, 32, v16
	s_delay_alu instid0(VALU_DEP_1) | instskip(SKIP_1) | instid1(VALU_DEP_2)
	v_subrev_nc_u32_e32 v17, 28, v16
	v_sub_nc_u32_e32 v16, 29, v16
	v_lshlrev_b64 v[74:75], v17, v[6:7]
	s_delay_alu instid0(VALU_DEP_1)
	v_and_b32_e32 v6, 7, v74
; %bb.1432:                             ;   in Loop: Header=BB277_799 Depth=1
	s_or_b32 exec_lo, exec_lo, s15
	v_lshlrev_b32_e32 v17, 24, v73
	s_delay_alu instid0(VALU_DEP_2) | instskip(SKIP_1) | instid1(VALU_DEP_3)
	v_lshlrev_b32_e32 v6, 20, v6
	v_lshl_add_u32 v16, v16, 23, 0x3c000000
	v_and_b32_e32 v17, 0x80000000, v17
	s_delay_alu instid0(VALU_DEP_1) | instskip(NEXT) | instid1(VALU_DEP_1)
	v_or3_b32 v6, v6, v17, v16
	v_dual_mov_b32 v17, v7 :: v_dual_mov_b32 v16, v6
.LBB277_1433:                           ;   in Loop: Header=BB277_799 Depth=1
	s_or_b32 exec_lo, exec_lo, s13
.LBB277_1434:                           ;   in Loop: Header=BB277_799 Depth=1
	s_delay_alu instid0(SALU_CYCLE_1)
	s_or_b32 exec_lo, exec_lo, s12
.LBB277_1435:                           ;   in Loop: Header=BB277_799 Depth=1
	s_delay_alu instid0(SALU_CYCLE_1) | instskip(NEXT) | instid1(SALU_CYCLE_1)
	s_or_b32 exec_lo, exec_lo, s10
	s_mov_b32 s12, exec_lo
	v_cmpx_lt_u32_e32 0xffffff, v72
	s_cbranch_execz .LBB277_1443
; %bb.1436:                             ;   in Loop: Header=BB277_799 Depth=1
	v_lshrrev_b32_e32 v73, 24, v72
	v_dual_mov_b32 v19, s9 :: v_dual_mov_b32 v18, s8
	s_mov_b32 s13, exec_lo
	s_delay_alu instid0(VALU_DEP_2)
	v_cmpx_ne_u32_e32 0x80, v73
	s_cbranch_execz .LBB277_1442
; %bb.1437:                             ;   in Loop: Header=BB277_799 Depth=1
	s_mov_b32 s10, s8
	v_bfe_u32 v72, v72, 24, 7
	v_dual_mov_b32 v19, s11 :: v_dual_mov_b32 v18, s10
	s_mov_b32 s10, exec_lo
	s_delay_alu instid0(VALU_DEP_2)
	v_cmpx_ne_u32_e32 0x7f, v72
	s_cbranch_execz .LBB277_1441
; %bb.1438:                             ;   in Loop: Header=BB277_799 Depth=1
	v_and_b32_e32 v6, 7, v73
	v_lshrrev_b32_e32 v18, 3, v72
	s_mov_b32 s15, exec_lo
	v_cmpx_gt_u32_e32 8, v72
; %bb.1439:                             ;   in Loop: Header=BB277_799 Depth=1
	s_delay_alu instid0(VALU_DEP_3) | instskip(NEXT) | instid1(VALU_DEP_1)
	v_clz_i32_u32_e32 v18, v6
	v_min_u32_e32 v18, 32, v18
	s_delay_alu instid0(VALU_DEP_1) | instskip(SKIP_1) | instid1(VALU_DEP_2)
	v_subrev_nc_u32_e32 v19, 28, v18
	v_sub_nc_u32_e32 v18, 29, v18
	v_lshlrev_b64 v[74:75], v19, v[6:7]
	s_delay_alu instid0(VALU_DEP_1)
	v_and_b32_e32 v6, 7, v74
; %bb.1440:                             ;   in Loop: Header=BB277_799 Depth=1
	s_or_b32 exec_lo, exec_lo, s15
	v_lshlrev_b32_e32 v19, 24, v73
	s_delay_alu instid0(VALU_DEP_2) | instskip(SKIP_1) | instid1(VALU_DEP_3)
	v_lshlrev_b32_e32 v6, 20, v6
	v_lshl_add_u32 v18, v18, 23, 0x3c000000
	v_and_b32_e32 v19, 0x80000000, v19
	s_delay_alu instid0(VALU_DEP_1)
	v_or3_b32 v19, v6, v19, v18
	v_mov_b32_e32 v18, v7
.LBB277_1441:                           ;   in Loop: Header=BB277_799 Depth=1
	s_or_b32 exec_lo, exec_lo, s10
.LBB277_1442:                           ;   in Loop: Header=BB277_799 Depth=1
	s_delay_alu instid0(SALU_CYCLE_1)
	s_or_b32 exec_lo, exec_lo, s13
.LBB277_1443:                           ;   in Loop: Header=BB277_799 Depth=1
	s_delay_alu instid0(SALU_CYCLE_1) | instskip(SKIP_4) | instid1(VALU_DEP_4)
	s_or_b32 exec_lo, exec_lo, s12
	v_or_b32_e32 v5, v15, v5
	v_or_b32_e32 v4, v14, v4
	;; [unrolled: 1-line block ×4, first 2 shown]
	v_mul_f32_e32 v75, v68, v5
	s_delay_alu instid0(VALU_DEP_4) | instskip(NEXT) | instid1(VALU_DEP_4)
	v_mul_f32_e32 v74, v64, v4
	v_mul_f32_e32 v72, v68, v6
	s_delay_alu instid0(VALU_DEP_4)
	v_mul_f32_e32 v73, v64, v14
	s_and_saveexec_b32 s10, vcc_lo
; %bb.1444:                             ;   in Loop: Header=BB277_799 Depth=1
	v_cmp_lt_i32_e64 s0, v81, v88
	s_delay_alu instid0(VALU_DEP_1) | instskip(SKIP_1) | instid1(VALU_DEP_1)
	v_cndmask_b32_e64 v74, 0, v74, s0
	v_cmp_lt_i32_e64 s0, v83, v88
	v_cndmask_b32_e64 v75, 0, v75, s0
	v_cmp_lt_i32_e64 s0, v82, v88
	s_delay_alu instid0(VALU_DEP_1) | instskip(SKIP_1) | instid1(VALU_DEP_1)
	v_cndmask_b32_e64 v73, 0, v73, s0
	v_cmp_lt_i32_e64 s0, v66, v88
	v_cndmask_b32_e64 v72, 0, v72, s0
; %bb.1445:                             ;   in Loop: Header=BB277_799 Depth=1
	s_or_b32 exec_lo, exec_lo, s10
	flat_load_b32 v76, v[12:13] offset:2432
	v_mov_b32_e32 v14, 0
	v_mov_b32_e32 v15, 0
	s_mov_b32 s10, exec_lo
	s_waitcnt vmcnt(0) lgkmcnt(0)
	v_and_b32_e32 v6, 0xff, v76
	s_delay_alu instid0(VALU_DEP_2) | instskip(NEXT) | instid1(VALU_DEP_2)
	v_dual_mov_b32 v4, v14 :: v_dual_mov_b32 v5, v15
	v_cmpx_ne_u16_e32 0, v6
	s_cbranch_execz .LBB277_1453
; %bb.1446:                             ;   in Loop: Header=BB277_799 Depth=1
	v_bfrev_b32_e32 v4, 1
	v_mov_b32_e32 v5, 0
	s_mov_b32 s12, exec_lo
	v_cmpx_ne_u16_e32 0x80, v6
	s_cbranch_execz .LBB277_1452
; %bb.1447:                             ;   in Loop: Header=BB277_799 Depth=1
	v_mov_b32_e32 v4, 0x7f800001
	v_dual_mov_b32 v5, 0 :: v_dual_and_b32 v16, 0x7f, v76
	s_mov_b32 s13, exec_lo
	s_delay_alu instid0(VALU_DEP_1)
	v_cmpx_ne_u32_e32 0x7f, v16
	s_cbranch_execz .LBB277_1451
; %bb.1448:                             ;   in Loop: Header=BB277_799 Depth=1
	v_and_b32_e32 v6, 7, v76
	v_lshrrev_b32_e32 v4, 3, v16
	s_mov_b32 s15, exec_lo
	v_cmpx_gt_u32_e32 8, v16
; %bb.1449:                             ;   in Loop: Header=BB277_799 Depth=1
	s_delay_alu instid0(VALU_DEP_3) | instskip(NEXT) | instid1(VALU_DEP_1)
	v_clz_i32_u32_e32 v4, v6
	v_min_u32_e32 v4, 32, v4
	s_delay_alu instid0(VALU_DEP_1) | instskip(SKIP_1) | instid1(VALU_DEP_2)
	v_subrev_nc_u32_e32 v5, 28, v4
	v_sub_nc_u32_e32 v4, 29, v4
	v_lshlrev_b64 v[5:6], v5, v[6:7]
	s_delay_alu instid0(VALU_DEP_1)
	v_and_b32_e32 v6, 7, v5
; %bb.1450:                             ;   in Loop: Header=BB277_799 Depth=1
	s_or_b32 exec_lo, exec_lo, s15
	v_lshlrev_b32_e32 v5, 24, v76
	s_delay_alu instid0(VALU_DEP_2) | instskip(SKIP_1) | instid1(VALU_DEP_3)
	v_lshlrev_b32_e32 v6, 20, v6
	v_lshl_add_u32 v4, v4, 23, 0x3c000000
	v_and_b32_e32 v5, 0x80000000, v5
	s_delay_alu instid0(VALU_DEP_1) | instskip(NEXT) | instid1(VALU_DEP_1)
	v_or3_b32 v6, v6, v5, v4
	v_dual_mov_b32 v4, v6 :: v_dual_mov_b32 v5, v7
.LBB277_1451:                           ;   in Loop: Header=BB277_799 Depth=1
	s_or_b32 exec_lo, exec_lo, s13
.LBB277_1452:                           ;   in Loop: Header=BB277_799 Depth=1
	s_delay_alu instid0(SALU_CYCLE_1)
	s_or_b32 exec_lo, exec_lo, s12
.LBB277_1453:                           ;   in Loop: Header=BB277_799 Depth=1
	s_delay_alu instid0(SALU_CYCLE_1) | instskip(SKIP_2) | instid1(VALU_DEP_1)
	s_or_b32 exec_lo, exec_lo, s10
	v_lshrrev_b16 v6, 8, v76
	s_mov_b32 s12, exec_lo
	v_cmpx_ne_u16_e32 0, v6
	s_cbranch_execz .LBB277_1461
; %bb.1454:                             ;   in Loop: Header=BB277_799 Depth=1
	v_dual_mov_b32 v15, s9 :: v_dual_mov_b32 v14, s8
	s_mov_b32 s13, exec_lo
	v_cmpx_ne_u16_e32 0x80, v6
	s_cbranch_execz .LBB277_1460
; %bb.1455:                             ;   in Loop: Header=BB277_799 Depth=1
	s_mov_b32 s10, s8
	v_dual_mov_b32 v15, s11 :: v_dual_and_b32 v6, 0xffff, v6
	v_mov_b32_e32 v14, s10
	s_mov_b32 s10, exec_lo
	s_delay_alu instid0(VALU_DEP_2) | instskip(NEXT) | instid1(VALU_DEP_1)
	v_and_b32_e32 v16, 0x7f, v6
	v_cmpx_ne_u32_e32 0x7f, v16
	s_cbranch_execz .LBB277_1459
; %bb.1456:                             ;   in Loop: Header=BB277_799 Depth=1
	v_and_b32_e32 v6, 7, v6
	v_lshrrev_b32_e32 v14, 3, v16
	s_mov_b32 s15, exec_lo
	v_cmpx_gt_u32_e32 8, v16
; %bb.1457:                             ;   in Loop: Header=BB277_799 Depth=1
	s_delay_alu instid0(VALU_DEP_3) | instskip(NEXT) | instid1(VALU_DEP_1)
	v_clz_i32_u32_e32 v14, v6
	v_min_u32_e32 v14, 32, v14
	s_delay_alu instid0(VALU_DEP_1) | instskip(SKIP_1) | instid1(VALU_DEP_2)
	v_subrev_nc_u32_e32 v15, 28, v14
	v_sub_nc_u32_e32 v14, 29, v14
	v_lshlrev_b64 v[15:16], v15, v[6:7]
	s_delay_alu instid0(VALU_DEP_1)
	v_and_b32_e32 v6, 7, v15
; %bb.1458:                             ;   in Loop: Header=BB277_799 Depth=1
	s_or_b32 exec_lo, exec_lo, s15
	v_lshlrev_b32_e32 v15, 16, v76
	s_delay_alu instid0(VALU_DEP_2) | instskip(SKIP_1) | instid1(VALU_DEP_3)
	v_lshlrev_b32_e32 v6, 20, v6
	v_lshl_add_u32 v14, v14, 23, 0x3c000000
	v_and_b32_e32 v15, 0x80000000, v15
	s_delay_alu instid0(VALU_DEP_1)
	v_or3_b32 v15, v6, v15, v14
	v_mov_b32_e32 v14, v7
.LBB277_1459:                           ;   in Loop: Header=BB277_799 Depth=1
	s_or_b32 exec_lo, exec_lo, s10
.LBB277_1460:                           ;   in Loop: Header=BB277_799 Depth=1
	s_delay_alu instid0(SALU_CYCLE_1)
	s_or_b32 exec_lo, exec_lo, s13
.LBB277_1461:                           ;   in Loop: Header=BB277_799 Depth=1
	s_delay_alu instid0(SALU_CYCLE_1) | instskip(SKIP_4) | instid1(VALU_DEP_2)
	s_or_b32 exec_lo, exec_lo, s12
	v_mov_b32_e32 v18, 0
	v_lshrrev_b32_e32 v77, 16, v76
	v_mov_b32_e32 v19, 0
	s_mov_b32 s10, exec_lo
	v_and_b32_e32 v6, 0xff, v77
	s_delay_alu instid0(VALU_DEP_2) | instskip(NEXT) | instid1(VALU_DEP_2)
	v_dual_mov_b32 v16, v18 :: v_dual_mov_b32 v17, v19
	v_cmpx_ne_u16_e32 0, v6
	s_cbranch_execz .LBB277_1469
; %bb.1462:                             ;   in Loop: Header=BB277_799 Depth=1
	v_bfrev_b32_e32 v16, 1
	v_mov_b32_e32 v17, 0
	s_mov_b32 s12, exec_lo
	v_cmpx_ne_u16_e32 0x80, v6
	s_cbranch_execz .LBB277_1468
; %bb.1463:                             ;   in Loop: Header=BB277_799 Depth=1
	v_mov_b32_e32 v16, 0x7f800001
	v_bfe_u32 v78, v76, 16, 7
	v_mov_b32_e32 v17, 0
	s_mov_b32 s13, exec_lo
	s_delay_alu instid0(VALU_DEP_2)
	v_cmpx_ne_u32_e32 0x7f, v78
	s_cbranch_execz .LBB277_1467
; %bb.1464:                             ;   in Loop: Header=BB277_799 Depth=1
	v_and_b32_e32 v6, 7, v77
	v_lshrrev_b32_e32 v16, 3, v78
	s_mov_b32 s15, exec_lo
	v_cmpx_gt_u32_e32 8, v78
; %bb.1465:                             ;   in Loop: Header=BB277_799 Depth=1
	s_delay_alu instid0(VALU_DEP_3) | instskip(NEXT) | instid1(VALU_DEP_1)
	v_clz_i32_u32_e32 v16, v6
	v_min_u32_e32 v16, 32, v16
	s_delay_alu instid0(VALU_DEP_1) | instskip(SKIP_1) | instid1(VALU_DEP_2)
	v_subrev_nc_u32_e32 v17, 28, v16
	v_sub_nc_u32_e32 v16, 29, v16
	v_lshlrev_b64 v[78:79], v17, v[6:7]
	s_delay_alu instid0(VALU_DEP_1)
	v_and_b32_e32 v6, 7, v78
; %bb.1466:                             ;   in Loop: Header=BB277_799 Depth=1
	s_or_b32 exec_lo, exec_lo, s15
	v_lshlrev_b32_e32 v17, 24, v77
	s_delay_alu instid0(VALU_DEP_2) | instskip(SKIP_1) | instid1(VALU_DEP_3)
	v_lshlrev_b32_e32 v6, 20, v6
	v_lshl_add_u32 v16, v16, 23, 0x3c000000
	v_and_b32_e32 v17, 0x80000000, v17
	s_delay_alu instid0(VALU_DEP_1) | instskip(NEXT) | instid1(VALU_DEP_1)
	v_or3_b32 v6, v6, v17, v16
	v_dual_mov_b32 v17, v7 :: v_dual_mov_b32 v16, v6
.LBB277_1467:                           ;   in Loop: Header=BB277_799 Depth=1
	s_or_b32 exec_lo, exec_lo, s13
.LBB277_1468:                           ;   in Loop: Header=BB277_799 Depth=1
	s_delay_alu instid0(SALU_CYCLE_1)
	s_or_b32 exec_lo, exec_lo, s12
.LBB277_1469:                           ;   in Loop: Header=BB277_799 Depth=1
	s_delay_alu instid0(SALU_CYCLE_1) | instskip(NEXT) | instid1(SALU_CYCLE_1)
	s_or_b32 exec_lo, exec_lo, s10
	s_mov_b32 s12, exec_lo
	v_cmpx_lt_u32_e32 0xffffff, v76
	s_cbranch_execz .LBB277_1477
; %bb.1470:                             ;   in Loop: Header=BB277_799 Depth=1
	v_lshrrev_b32_e32 v77, 24, v76
	v_dual_mov_b32 v19, s9 :: v_dual_mov_b32 v18, s8
	s_mov_b32 s13, exec_lo
	s_delay_alu instid0(VALU_DEP_2)
	v_cmpx_ne_u32_e32 0x80, v77
	s_cbranch_execz .LBB277_1476
; %bb.1471:                             ;   in Loop: Header=BB277_799 Depth=1
	s_mov_b32 s10, s8
	v_bfe_u32 v76, v76, 24, 7
	v_dual_mov_b32 v19, s11 :: v_dual_mov_b32 v18, s10
	s_mov_b32 s10, exec_lo
	s_delay_alu instid0(VALU_DEP_2)
	v_cmpx_ne_u32_e32 0x7f, v76
	s_cbranch_execz .LBB277_1475
; %bb.1472:                             ;   in Loop: Header=BB277_799 Depth=1
	v_and_b32_e32 v6, 7, v77
	v_lshrrev_b32_e32 v18, 3, v76
	s_mov_b32 s15, exec_lo
	v_cmpx_gt_u32_e32 8, v76
; %bb.1473:                             ;   in Loop: Header=BB277_799 Depth=1
	s_delay_alu instid0(VALU_DEP_3) | instskip(NEXT) | instid1(VALU_DEP_1)
	v_clz_i32_u32_e32 v18, v6
	v_min_u32_e32 v18, 32, v18
	s_delay_alu instid0(VALU_DEP_1) | instskip(SKIP_1) | instid1(VALU_DEP_2)
	v_subrev_nc_u32_e32 v19, 28, v18
	v_sub_nc_u32_e32 v18, 29, v18
	v_lshlrev_b64 v[78:79], v19, v[6:7]
	s_delay_alu instid0(VALU_DEP_1)
	v_and_b32_e32 v6, 7, v78
; %bb.1474:                             ;   in Loop: Header=BB277_799 Depth=1
	s_or_b32 exec_lo, exec_lo, s15
	v_lshlrev_b32_e32 v19, 24, v77
	s_delay_alu instid0(VALU_DEP_2) | instskip(SKIP_1) | instid1(VALU_DEP_3)
	v_lshlrev_b32_e32 v6, 20, v6
	v_lshl_add_u32 v18, v18, 23, 0x3c000000
	v_and_b32_e32 v19, 0x80000000, v19
	s_delay_alu instid0(VALU_DEP_1)
	v_or3_b32 v19, v6, v19, v18
	v_mov_b32_e32 v18, v7
.LBB277_1475:                           ;   in Loop: Header=BB277_799 Depth=1
	s_or_b32 exec_lo, exec_lo, s10
.LBB277_1476:                           ;   in Loop: Header=BB277_799 Depth=1
	s_delay_alu instid0(SALU_CYCLE_1)
	s_or_b32 exec_lo, exec_lo, s13
.LBB277_1477:                           ;   in Loop: Header=BB277_799 Depth=1
	s_delay_alu instid0(SALU_CYCLE_1) | instskip(SKIP_4) | instid1(VALU_DEP_4)
	s_or_b32 exec_lo, exec_lo, s12
	v_or_b32_e32 v5, v15, v5
	v_or_b32_e32 v4, v14, v4
	v_or_b32_e32 v6, v19, v17
	v_or_b32_e32 v14, v18, v16
	v_mul_f32_e32 v79, v68, v5
	s_delay_alu instid0(VALU_DEP_4) | instskip(NEXT) | instid1(VALU_DEP_4)
	v_mul_f32_e32 v78, v64, v4
	v_mul_f32_e32 v76, v68, v6
	s_delay_alu instid0(VALU_DEP_4)
	v_mul_f32_e32 v77, v64, v14
	s_and_saveexec_b32 s10, vcc_lo
; %bb.1478:                             ;   in Loop: Header=BB277_799 Depth=1
	v_cmp_lt_i32_e64 s0, v81, v88
	s_delay_alu instid0(VALU_DEP_1) | instskip(SKIP_1) | instid1(VALU_DEP_1)
	v_cndmask_b32_e64 v78, 0, v78, s0
	v_cmp_lt_i32_e64 s0, v83, v88
	v_cndmask_b32_e64 v79, 0, v79, s0
	v_cmp_lt_i32_e64 s0, v82, v88
	s_delay_alu instid0(VALU_DEP_1) | instskip(SKIP_1) | instid1(VALU_DEP_1)
	v_cndmask_b32_e64 v77, 0, v77, s0
	v_cmp_lt_i32_e64 s0, v66, v88
	v_cndmask_b32_e64 v76, 0, v76, s0
; %bb.1479:                             ;   in Loop: Header=BB277_799 Depth=1
	s_or_b32 exec_lo, exec_lo, s10
	flat_load_b32 v89, v[12:13] offset:2560
	v_mov_b32_e32 v14, 0
	v_mov_b32_e32 v15, 0
	s_mov_b32 s10, exec_lo
	s_waitcnt vmcnt(0) lgkmcnt(0)
	v_and_b32_e32 v6, 0xff, v89
	s_delay_alu instid0(VALU_DEP_2) | instskip(NEXT) | instid1(VALU_DEP_2)
	v_dual_mov_b32 v4, v14 :: v_dual_mov_b32 v5, v15
	v_cmpx_ne_u16_e32 0, v6
	s_cbranch_execz .LBB277_1487
; %bb.1480:                             ;   in Loop: Header=BB277_799 Depth=1
	v_bfrev_b32_e32 v4, 1
	v_mov_b32_e32 v5, 0
	s_mov_b32 s12, exec_lo
	v_cmpx_ne_u16_e32 0x80, v6
	s_cbranch_execz .LBB277_1486
; %bb.1481:                             ;   in Loop: Header=BB277_799 Depth=1
	v_mov_b32_e32 v4, 0x7f800001
	v_dual_mov_b32 v5, 0 :: v_dual_and_b32 v16, 0x7f, v89
	s_mov_b32 s13, exec_lo
	s_delay_alu instid0(VALU_DEP_1)
	v_cmpx_ne_u32_e32 0x7f, v16
	s_cbranch_execz .LBB277_1485
; %bb.1482:                             ;   in Loop: Header=BB277_799 Depth=1
	v_and_b32_e32 v6, 7, v89
	v_lshrrev_b32_e32 v4, 3, v16
	s_mov_b32 s15, exec_lo
	v_cmpx_gt_u32_e32 8, v16
; %bb.1483:                             ;   in Loop: Header=BB277_799 Depth=1
	s_delay_alu instid0(VALU_DEP_3) | instskip(NEXT) | instid1(VALU_DEP_1)
	v_clz_i32_u32_e32 v4, v6
	v_min_u32_e32 v4, 32, v4
	s_delay_alu instid0(VALU_DEP_1) | instskip(SKIP_1) | instid1(VALU_DEP_2)
	v_subrev_nc_u32_e32 v5, 28, v4
	v_sub_nc_u32_e32 v4, 29, v4
	v_lshlrev_b64 v[5:6], v5, v[6:7]
	s_delay_alu instid0(VALU_DEP_1)
	v_and_b32_e32 v6, 7, v5
; %bb.1484:                             ;   in Loop: Header=BB277_799 Depth=1
	s_or_b32 exec_lo, exec_lo, s15
	v_lshlrev_b32_e32 v5, 24, v89
	s_delay_alu instid0(VALU_DEP_2) | instskip(SKIP_1) | instid1(VALU_DEP_3)
	v_lshlrev_b32_e32 v6, 20, v6
	v_lshl_add_u32 v4, v4, 23, 0x3c000000
	v_and_b32_e32 v5, 0x80000000, v5
	s_delay_alu instid0(VALU_DEP_1) | instskip(NEXT) | instid1(VALU_DEP_1)
	v_or3_b32 v6, v6, v5, v4
	v_dual_mov_b32 v4, v6 :: v_dual_mov_b32 v5, v7
.LBB277_1485:                           ;   in Loop: Header=BB277_799 Depth=1
	s_or_b32 exec_lo, exec_lo, s13
.LBB277_1486:                           ;   in Loop: Header=BB277_799 Depth=1
	s_delay_alu instid0(SALU_CYCLE_1)
	s_or_b32 exec_lo, exec_lo, s12
.LBB277_1487:                           ;   in Loop: Header=BB277_799 Depth=1
	s_delay_alu instid0(SALU_CYCLE_1) | instskip(SKIP_2) | instid1(VALU_DEP_1)
	s_or_b32 exec_lo, exec_lo, s10
	v_lshrrev_b16 v6, 8, v89
	s_mov_b32 s12, exec_lo
	v_cmpx_ne_u16_e32 0, v6
	s_cbranch_execz .LBB277_1495
; %bb.1488:                             ;   in Loop: Header=BB277_799 Depth=1
	v_dual_mov_b32 v15, s9 :: v_dual_mov_b32 v14, s8
	s_mov_b32 s13, exec_lo
	v_cmpx_ne_u16_e32 0x80, v6
	s_cbranch_execz .LBB277_1494
; %bb.1489:                             ;   in Loop: Header=BB277_799 Depth=1
	s_mov_b32 s10, s8
	v_dual_mov_b32 v15, s11 :: v_dual_and_b32 v6, 0xffff, v6
	v_mov_b32_e32 v14, s10
	s_mov_b32 s10, exec_lo
	s_delay_alu instid0(VALU_DEP_2) | instskip(NEXT) | instid1(VALU_DEP_1)
	v_and_b32_e32 v16, 0x7f, v6
	v_cmpx_ne_u32_e32 0x7f, v16
	s_cbranch_execz .LBB277_1493
; %bb.1490:                             ;   in Loop: Header=BB277_799 Depth=1
	v_and_b32_e32 v6, 7, v6
	v_lshrrev_b32_e32 v14, 3, v16
	s_mov_b32 s15, exec_lo
	v_cmpx_gt_u32_e32 8, v16
; %bb.1491:                             ;   in Loop: Header=BB277_799 Depth=1
	s_delay_alu instid0(VALU_DEP_3) | instskip(NEXT) | instid1(VALU_DEP_1)
	v_clz_i32_u32_e32 v14, v6
	v_min_u32_e32 v14, 32, v14
	s_delay_alu instid0(VALU_DEP_1) | instskip(SKIP_1) | instid1(VALU_DEP_2)
	v_subrev_nc_u32_e32 v15, 28, v14
	v_sub_nc_u32_e32 v14, 29, v14
	v_lshlrev_b64 v[15:16], v15, v[6:7]
	s_delay_alu instid0(VALU_DEP_1)
	v_and_b32_e32 v6, 7, v15
; %bb.1492:                             ;   in Loop: Header=BB277_799 Depth=1
	s_or_b32 exec_lo, exec_lo, s15
	v_lshlrev_b32_e32 v15, 16, v89
	s_delay_alu instid0(VALU_DEP_2) | instskip(SKIP_1) | instid1(VALU_DEP_3)
	v_lshlrev_b32_e32 v6, 20, v6
	v_lshl_add_u32 v14, v14, 23, 0x3c000000
	v_and_b32_e32 v15, 0x80000000, v15
	s_delay_alu instid0(VALU_DEP_1)
	v_or3_b32 v15, v6, v15, v14
	v_mov_b32_e32 v14, v7
.LBB277_1493:                           ;   in Loop: Header=BB277_799 Depth=1
	s_or_b32 exec_lo, exec_lo, s10
.LBB277_1494:                           ;   in Loop: Header=BB277_799 Depth=1
	s_delay_alu instid0(SALU_CYCLE_1)
	s_or_b32 exec_lo, exec_lo, s13
.LBB277_1495:                           ;   in Loop: Header=BB277_799 Depth=1
	s_delay_alu instid0(SALU_CYCLE_1) | instskip(SKIP_4) | instid1(VALU_DEP_2)
	s_or_b32 exec_lo, exec_lo, s12
	v_mov_b32_e32 v18, 0
	v_lshrrev_b32_e32 v90, 16, v89
	v_mov_b32_e32 v19, 0
	s_mov_b32 s10, exec_lo
	v_and_b32_e32 v6, 0xff, v90
	s_delay_alu instid0(VALU_DEP_2) | instskip(NEXT) | instid1(VALU_DEP_2)
	v_dual_mov_b32 v16, v18 :: v_dual_mov_b32 v17, v19
	v_cmpx_ne_u16_e32 0, v6
	s_cbranch_execz .LBB277_1503
; %bb.1496:                             ;   in Loop: Header=BB277_799 Depth=1
	v_bfrev_b32_e32 v16, 1
	v_mov_b32_e32 v17, 0
	s_mov_b32 s12, exec_lo
	v_cmpx_ne_u16_e32 0x80, v6
	s_cbranch_execz .LBB277_1502
; %bb.1497:                             ;   in Loop: Header=BB277_799 Depth=1
	v_mov_b32_e32 v16, 0x7f800001
	v_bfe_u32 v91, v89, 16, 7
	v_mov_b32_e32 v17, 0
	s_mov_b32 s13, exec_lo
	s_delay_alu instid0(VALU_DEP_2)
	v_cmpx_ne_u32_e32 0x7f, v91
	s_cbranch_execz .LBB277_1501
; %bb.1498:                             ;   in Loop: Header=BB277_799 Depth=1
	v_and_b32_e32 v6, 7, v90
	v_lshrrev_b32_e32 v16, 3, v91
	s_mov_b32 s15, exec_lo
	v_cmpx_gt_u32_e32 8, v91
; %bb.1499:                             ;   in Loop: Header=BB277_799 Depth=1
	s_delay_alu instid0(VALU_DEP_3) | instskip(NEXT) | instid1(VALU_DEP_1)
	v_clz_i32_u32_e32 v16, v6
	v_min_u32_e32 v16, 32, v16
	s_delay_alu instid0(VALU_DEP_1) | instskip(SKIP_1) | instid1(VALU_DEP_2)
	v_subrev_nc_u32_e32 v17, 28, v16
	v_sub_nc_u32_e32 v16, 29, v16
	v_lshlrev_b64 v[91:92], v17, v[6:7]
	s_delay_alu instid0(VALU_DEP_1)
	v_and_b32_e32 v6, 7, v91
; %bb.1500:                             ;   in Loop: Header=BB277_799 Depth=1
	s_or_b32 exec_lo, exec_lo, s15
	v_lshlrev_b32_e32 v17, 24, v90
	s_delay_alu instid0(VALU_DEP_2) | instskip(SKIP_1) | instid1(VALU_DEP_3)
	v_lshlrev_b32_e32 v6, 20, v6
	v_lshl_add_u32 v16, v16, 23, 0x3c000000
	v_and_b32_e32 v17, 0x80000000, v17
	s_delay_alu instid0(VALU_DEP_1) | instskip(NEXT) | instid1(VALU_DEP_1)
	v_or3_b32 v6, v6, v17, v16
	v_dual_mov_b32 v17, v7 :: v_dual_mov_b32 v16, v6
.LBB277_1501:                           ;   in Loop: Header=BB277_799 Depth=1
	s_or_b32 exec_lo, exec_lo, s13
.LBB277_1502:                           ;   in Loop: Header=BB277_799 Depth=1
	s_delay_alu instid0(SALU_CYCLE_1)
	s_or_b32 exec_lo, exec_lo, s12
.LBB277_1503:                           ;   in Loop: Header=BB277_799 Depth=1
	s_delay_alu instid0(SALU_CYCLE_1) | instskip(NEXT) | instid1(SALU_CYCLE_1)
	s_or_b32 exec_lo, exec_lo, s10
	s_mov_b32 s12, exec_lo
	v_cmpx_lt_u32_e32 0xffffff, v89
	s_cbranch_execz .LBB277_1511
; %bb.1504:                             ;   in Loop: Header=BB277_799 Depth=1
	v_lshrrev_b32_e32 v90, 24, v89
	v_dual_mov_b32 v19, s9 :: v_dual_mov_b32 v18, s8
	s_mov_b32 s13, exec_lo
	s_delay_alu instid0(VALU_DEP_2)
	v_cmpx_ne_u32_e32 0x80, v90
	s_cbranch_execz .LBB277_1510
; %bb.1505:                             ;   in Loop: Header=BB277_799 Depth=1
	s_mov_b32 s10, s8
	v_bfe_u32 v89, v89, 24, 7
	v_dual_mov_b32 v19, s11 :: v_dual_mov_b32 v18, s10
	s_mov_b32 s10, exec_lo
	s_delay_alu instid0(VALU_DEP_2)
	v_cmpx_ne_u32_e32 0x7f, v89
	s_cbranch_execz .LBB277_1509
; %bb.1506:                             ;   in Loop: Header=BB277_799 Depth=1
	v_and_b32_e32 v6, 7, v90
	v_lshrrev_b32_e32 v18, 3, v89
	s_mov_b32 s15, exec_lo
	v_cmpx_gt_u32_e32 8, v89
; %bb.1507:                             ;   in Loop: Header=BB277_799 Depth=1
	s_delay_alu instid0(VALU_DEP_3) | instskip(NEXT) | instid1(VALU_DEP_1)
	v_clz_i32_u32_e32 v18, v6
	v_min_u32_e32 v18, 32, v18
	s_delay_alu instid0(VALU_DEP_1) | instskip(SKIP_1) | instid1(VALU_DEP_2)
	v_subrev_nc_u32_e32 v19, 28, v18
	v_sub_nc_u32_e32 v18, 29, v18
	v_lshlrev_b64 v[91:92], v19, v[6:7]
	s_delay_alu instid0(VALU_DEP_1)
	v_and_b32_e32 v6, 7, v91
; %bb.1508:                             ;   in Loop: Header=BB277_799 Depth=1
	s_or_b32 exec_lo, exec_lo, s15
	v_lshlrev_b32_e32 v19, 24, v90
	s_delay_alu instid0(VALU_DEP_2) | instskip(SKIP_1) | instid1(VALU_DEP_3)
	v_lshlrev_b32_e32 v6, 20, v6
	v_lshl_add_u32 v18, v18, 23, 0x3c000000
	v_and_b32_e32 v19, 0x80000000, v19
	s_delay_alu instid0(VALU_DEP_1)
	v_or3_b32 v19, v6, v19, v18
	v_mov_b32_e32 v18, v7
.LBB277_1509:                           ;   in Loop: Header=BB277_799 Depth=1
	s_or_b32 exec_lo, exec_lo, s10
.LBB277_1510:                           ;   in Loop: Header=BB277_799 Depth=1
	s_delay_alu instid0(SALU_CYCLE_1)
	s_or_b32 exec_lo, exec_lo, s13
.LBB277_1511:                           ;   in Loop: Header=BB277_799 Depth=1
	s_delay_alu instid0(SALU_CYCLE_1) | instskip(SKIP_4) | instid1(VALU_DEP_4)
	s_or_b32 exec_lo, exec_lo, s12
	v_or_b32_e32 v5, v15, v5
	v_or_b32_e32 v4, v14, v4
	;; [unrolled: 1-line block ×4, first 2 shown]
	v_mul_f32_e32 v92, v68, v5
	s_delay_alu instid0(VALU_DEP_4) | instskip(NEXT) | instid1(VALU_DEP_4)
	v_mul_f32_e32 v91, v64, v4
	v_mul_f32_e32 v89, v68, v6
	s_delay_alu instid0(VALU_DEP_4)
	v_mul_f32_e32 v90, v64, v14
	s_and_saveexec_b32 s10, vcc_lo
; %bb.1512:                             ;   in Loop: Header=BB277_799 Depth=1
	v_cmp_lt_i32_e64 s0, v81, v88
	s_delay_alu instid0(VALU_DEP_1) | instskip(SKIP_1) | instid1(VALU_DEP_1)
	v_cndmask_b32_e64 v91, 0, v91, s0
	v_cmp_lt_i32_e64 s0, v83, v88
	v_cndmask_b32_e64 v92, 0, v92, s0
	v_cmp_lt_i32_e64 s0, v82, v88
	s_delay_alu instid0(VALU_DEP_1) | instskip(SKIP_1) | instid1(VALU_DEP_1)
	v_cndmask_b32_e64 v90, 0, v90, s0
	v_cmp_lt_i32_e64 s0, v66, v88
	v_cndmask_b32_e64 v89, 0, v89, s0
; %bb.1513:                             ;   in Loop: Header=BB277_799 Depth=1
	s_or_b32 exec_lo, exec_lo, s10
	flat_load_b32 v93, v[12:13] offset:2688
	v_mov_b32_e32 v14, 0
	v_mov_b32_e32 v15, 0
	s_mov_b32 s10, exec_lo
	s_waitcnt vmcnt(0) lgkmcnt(0)
	v_and_b32_e32 v6, 0xff, v93
	s_delay_alu instid0(VALU_DEP_2) | instskip(NEXT) | instid1(VALU_DEP_2)
	v_dual_mov_b32 v4, v14 :: v_dual_mov_b32 v5, v15
	v_cmpx_ne_u16_e32 0, v6
	s_cbranch_execz .LBB277_1521
; %bb.1514:                             ;   in Loop: Header=BB277_799 Depth=1
	v_bfrev_b32_e32 v4, 1
	v_mov_b32_e32 v5, 0
	s_mov_b32 s12, exec_lo
	v_cmpx_ne_u16_e32 0x80, v6
	s_cbranch_execz .LBB277_1520
; %bb.1515:                             ;   in Loop: Header=BB277_799 Depth=1
	v_mov_b32_e32 v4, 0x7f800001
	v_dual_mov_b32 v5, 0 :: v_dual_and_b32 v16, 0x7f, v93
	s_mov_b32 s13, exec_lo
	s_delay_alu instid0(VALU_DEP_1)
	v_cmpx_ne_u32_e32 0x7f, v16
	s_cbranch_execz .LBB277_1519
; %bb.1516:                             ;   in Loop: Header=BB277_799 Depth=1
	v_and_b32_e32 v6, 7, v93
	v_lshrrev_b32_e32 v4, 3, v16
	s_mov_b32 s15, exec_lo
	v_cmpx_gt_u32_e32 8, v16
; %bb.1517:                             ;   in Loop: Header=BB277_799 Depth=1
	s_delay_alu instid0(VALU_DEP_3) | instskip(NEXT) | instid1(VALU_DEP_1)
	v_clz_i32_u32_e32 v4, v6
	v_min_u32_e32 v4, 32, v4
	s_delay_alu instid0(VALU_DEP_1) | instskip(SKIP_1) | instid1(VALU_DEP_2)
	v_subrev_nc_u32_e32 v5, 28, v4
	v_sub_nc_u32_e32 v4, 29, v4
	v_lshlrev_b64 v[5:6], v5, v[6:7]
	s_delay_alu instid0(VALU_DEP_1)
	v_and_b32_e32 v6, 7, v5
; %bb.1518:                             ;   in Loop: Header=BB277_799 Depth=1
	s_or_b32 exec_lo, exec_lo, s15
	v_lshlrev_b32_e32 v5, 24, v93
	s_delay_alu instid0(VALU_DEP_2) | instskip(SKIP_1) | instid1(VALU_DEP_3)
	v_lshlrev_b32_e32 v6, 20, v6
	v_lshl_add_u32 v4, v4, 23, 0x3c000000
	v_and_b32_e32 v5, 0x80000000, v5
	s_delay_alu instid0(VALU_DEP_1) | instskip(NEXT) | instid1(VALU_DEP_1)
	v_or3_b32 v6, v6, v5, v4
	v_dual_mov_b32 v4, v6 :: v_dual_mov_b32 v5, v7
.LBB277_1519:                           ;   in Loop: Header=BB277_799 Depth=1
	s_or_b32 exec_lo, exec_lo, s13
.LBB277_1520:                           ;   in Loop: Header=BB277_799 Depth=1
	s_delay_alu instid0(SALU_CYCLE_1)
	s_or_b32 exec_lo, exec_lo, s12
.LBB277_1521:                           ;   in Loop: Header=BB277_799 Depth=1
	s_delay_alu instid0(SALU_CYCLE_1) | instskip(SKIP_2) | instid1(VALU_DEP_1)
	s_or_b32 exec_lo, exec_lo, s10
	v_lshrrev_b16 v6, 8, v93
	s_mov_b32 s12, exec_lo
	v_cmpx_ne_u16_e32 0, v6
	s_cbranch_execz .LBB277_1529
; %bb.1522:                             ;   in Loop: Header=BB277_799 Depth=1
	v_dual_mov_b32 v15, s9 :: v_dual_mov_b32 v14, s8
	s_mov_b32 s13, exec_lo
	v_cmpx_ne_u16_e32 0x80, v6
	s_cbranch_execz .LBB277_1528
; %bb.1523:                             ;   in Loop: Header=BB277_799 Depth=1
	s_mov_b32 s10, s8
	v_dual_mov_b32 v15, s11 :: v_dual_and_b32 v6, 0xffff, v6
	v_mov_b32_e32 v14, s10
	s_mov_b32 s10, exec_lo
	s_delay_alu instid0(VALU_DEP_2) | instskip(NEXT) | instid1(VALU_DEP_1)
	v_and_b32_e32 v16, 0x7f, v6
	v_cmpx_ne_u32_e32 0x7f, v16
	s_cbranch_execz .LBB277_1527
; %bb.1524:                             ;   in Loop: Header=BB277_799 Depth=1
	v_and_b32_e32 v6, 7, v6
	v_lshrrev_b32_e32 v14, 3, v16
	s_mov_b32 s15, exec_lo
	v_cmpx_gt_u32_e32 8, v16
; %bb.1525:                             ;   in Loop: Header=BB277_799 Depth=1
	s_delay_alu instid0(VALU_DEP_3) | instskip(NEXT) | instid1(VALU_DEP_1)
	v_clz_i32_u32_e32 v14, v6
	v_min_u32_e32 v14, 32, v14
	s_delay_alu instid0(VALU_DEP_1) | instskip(SKIP_1) | instid1(VALU_DEP_2)
	v_subrev_nc_u32_e32 v15, 28, v14
	v_sub_nc_u32_e32 v14, 29, v14
	v_lshlrev_b64 v[15:16], v15, v[6:7]
	s_delay_alu instid0(VALU_DEP_1)
	v_and_b32_e32 v6, 7, v15
; %bb.1526:                             ;   in Loop: Header=BB277_799 Depth=1
	s_or_b32 exec_lo, exec_lo, s15
	v_lshlrev_b32_e32 v15, 16, v93
	s_delay_alu instid0(VALU_DEP_2) | instskip(SKIP_1) | instid1(VALU_DEP_3)
	v_lshlrev_b32_e32 v6, 20, v6
	v_lshl_add_u32 v14, v14, 23, 0x3c000000
	v_and_b32_e32 v15, 0x80000000, v15
	s_delay_alu instid0(VALU_DEP_1)
	v_or3_b32 v15, v6, v15, v14
	v_mov_b32_e32 v14, v7
.LBB277_1527:                           ;   in Loop: Header=BB277_799 Depth=1
	s_or_b32 exec_lo, exec_lo, s10
.LBB277_1528:                           ;   in Loop: Header=BB277_799 Depth=1
	s_delay_alu instid0(SALU_CYCLE_1)
	s_or_b32 exec_lo, exec_lo, s13
.LBB277_1529:                           ;   in Loop: Header=BB277_799 Depth=1
	s_delay_alu instid0(SALU_CYCLE_1) | instskip(SKIP_4) | instid1(VALU_DEP_2)
	s_or_b32 exec_lo, exec_lo, s12
	v_mov_b32_e32 v18, 0
	v_lshrrev_b32_e32 v94, 16, v93
	v_mov_b32_e32 v19, 0
	s_mov_b32 s10, exec_lo
	v_and_b32_e32 v6, 0xff, v94
	s_delay_alu instid0(VALU_DEP_2) | instskip(NEXT) | instid1(VALU_DEP_2)
	v_dual_mov_b32 v16, v18 :: v_dual_mov_b32 v17, v19
	v_cmpx_ne_u16_e32 0, v6
	s_cbranch_execz .LBB277_1537
; %bb.1530:                             ;   in Loop: Header=BB277_799 Depth=1
	v_bfrev_b32_e32 v16, 1
	v_mov_b32_e32 v17, 0
	s_mov_b32 s12, exec_lo
	v_cmpx_ne_u16_e32 0x80, v6
	s_cbranch_execz .LBB277_1536
; %bb.1531:                             ;   in Loop: Header=BB277_799 Depth=1
	v_mov_b32_e32 v16, 0x7f800001
	v_bfe_u32 v95, v93, 16, 7
	v_mov_b32_e32 v17, 0
	s_mov_b32 s13, exec_lo
	s_delay_alu instid0(VALU_DEP_2)
	v_cmpx_ne_u32_e32 0x7f, v95
	s_cbranch_execz .LBB277_1535
; %bb.1532:                             ;   in Loop: Header=BB277_799 Depth=1
	v_and_b32_e32 v6, 7, v94
	v_lshrrev_b32_e32 v16, 3, v95
	s_mov_b32 s15, exec_lo
	v_cmpx_gt_u32_e32 8, v95
; %bb.1533:                             ;   in Loop: Header=BB277_799 Depth=1
	s_delay_alu instid0(VALU_DEP_3) | instskip(NEXT) | instid1(VALU_DEP_1)
	v_clz_i32_u32_e32 v16, v6
	v_min_u32_e32 v16, 32, v16
	s_delay_alu instid0(VALU_DEP_1) | instskip(SKIP_1) | instid1(VALU_DEP_2)
	v_subrev_nc_u32_e32 v17, 28, v16
	v_sub_nc_u32_e32 v16, 29, v16
	v_lshlrev_b64 v[104:105], v17, v[6:7]
	s_delay_alu instid0(VALU_DEP_1)
	v_and_b32_e32 v6, 7, v104
; %bb.1534:                             ;   in Loop: Header=BB277_799 Depth=1
	s_or_b32 exec_lo, exec_lo, s15
	v_lshlrev_b32_e32 v17, 24, v94
	s_delay_alu instid0(VALU_DEP_2) | instskip(SKIP_1) | instid1(VALU_DEP_3)
	v_lshlrev_b32_e32 v6, 20, v6
	v_lshl_add_u32 v16, v16, 23, 0x3c000000
	v_and_b32_e32 v17, 0x80000000, v17
	s_delay_alu instid0(VALU_DEP_1) | instskip(NEXT) | instid1(VALU_DEP_1)
	v_or3_b32 v6, v6, v17, v16
	v_dual_mov_b32 v17, v7 :: v_dual_mov_b32 v16, v6
.LBB277_1535:                           ;   in Loop: Header=BB277_799 Depth=1
	s_or_b32 exec_lo, exec_lo, s13
.LBB277_1536:                           ;   in Loop: Header=BB277_799 Depth=1
	s_delay_alu instid0(SALU_CYCLE_1)
	s_or_b32 exec_lo, exec_lo, s12
.LBB277_1537:                           ;   in Loop: Header=BB277_799 Depth=1
	s_delay_alu instid0(SALU_CYCLE_1) | instskip(NEXT) | instid1(SALU_CYCLE_1)
	s_or_b32 exec_lo, exec_lo, s10
	s_mov_b32 s12, exec_lo
	v_cmpx_lt_u32_e32 0xffffff, v93
	s_cbranch_execz .LBB277_1545
; %bb.1538:                             ;   in Loop: Header=BB277_799 Depth=1
	v_lshrrev_b32_e32 v94, 24, v93
	v_dual_mov_b32 v19, s9 :: v_dual_mov_b32 v18, s8
	s_mov_b32 s13, exec_lo
	s_delay_alu instid0(VALU_DEP_2)
	v_cmpx_ne_u32_e32 0x80, v94
	s_cbranch_execz .LBB277_1544
; %bb.1539:                             ;   in Loop: Header=BB277_799 Depth=1
	s_mov_b32 s10, s8
	v_bfe_u32 v93, v93, 24, 7
	v_dual_mov_b32 v19, s11 :: v_dual_mov_b32 v18, s10
	s_mov_b32 s10, exec_lo
	s_delay_alu instid0(VALU_DEP_2)
	v_cmpx_ne_u32_e32 0x7f, v93
	s_cbranch_execz .LBB277_1543
; %bb.1540:                             ;   in Loop: Header=BB277_799 Depth=1
	v_and_b32_e32 v6, 7, v94
	v_lshrrev_b32_e32 v18, 3, v93
	s_mov_b32 s15, exec_lo
	v_cmpx_gt_u32_e32 8, v93
; %bb.1541:                             ;   in Loop: Header=BB277_799 Depth=1
	s_delay_alu instid0(VALU_DEP_3) | instskip(NEXT) | instid1(VALU_DEP_1)
	v_clz_i32_u32_e32 v18, v6
	v_min_u32_e32 v18, 32, v18
	s_delay_alu instid0(VALU_DEP_1) | instskip(SKIP_1) | instid1(VALU_DEP_2)
	v_subrev_nc_u32_e32 v19, 28, v18
	v_sub_nc_u32_e32 v18, 29, v18
	v_lshlrev_b64 v[104:105], v19, v[6:7]
	s_delay_alu instid0(VALU_DEP_1)
	v_and_b32_e32 v6, 7, v104
; %bb.1542:                             ;   in Loop: Header=BB277_799 Depth=1
	s_or_b32 exec_lo, exec_lo, s15
	v_lshlrev_b32_e32 v19, 24, v94
	s_delay_alu instid0(VALU_DEP_2) | instskip(SKIP_1) | instid1(VALU_DEP_3)
	v_lshlrev_b32_e32 v6, 20, v6
	v_lshl_add_u32 v18, v18, 23, 0x3c000000
	v_and_b32_e32 v19, 0x80000000, v19
	s_delay_alu instid0(VALU_DEP_1)
	v_or3_b32 v19, v6, v19, v18
	v_mov_b32_e32 v18, v7
.LBB277_1543:                           ;   in Loop: Header=BB277_799 Depth=1
	s_or_b32 exec_lo, exec_lo, s10
.LBB277_1544:                           ;   in Loop: Header=BB277_799 Depth=1
	s_delay_alu instid0(SALU_CYCLE_1)
	s_or_b32 exec_lo, exec_lo, s13
.LBB277_1545:                           ;   in Loop: Header=BB277_799 Depth=1
	s_delay_alu instid0(SALU_CYCLE_1) | instskip(SKIP_4) | instid1(VALU_DEP_4)
	s_or_b32 exec_lo, exec_lo, s12
	v_or_b32_e32 v5, v15, v5
	v_or_b32_e32 v4, v14, v4
	;; [unrolled: 1-line block ×4, first 2 shown]
	v_mul_f32_e32 v104, v68, v5
	s_delay_alu instid0(VALU_DEP_4) | instskip(NEXT) | instid1(VALU_DEP_4)
	v_mul_f32_e32 v95, v64, v4
	v_mul_f32_e32 v93, v68, v6
	s_delay_alu instid0(VALU_DEP_4)
	v_mul_f32_e32 v94, v64, v14
	s_and_saveexec_b32 s10, vcc_lo
; %bb.1546:                             ;   in Loop: Header=BB277_799 Depth=1
	v_cmp_lt_i32_e64 s0, v81, v88
	s_delay_alu instid0(VALU_DEP_1) | instskip(SKIP_1) | instid1(VALU_DEP_1)
	v_cndmask_b32_e64 v95, 0, v95, s0
	v_cmp_lt_i32_e64 s0, v83, v88
	v_cndmask_b32_e64 v104, 0, v104, s0
	v_cmp_lt_i32_e64 s0, v82, v88
	s_delay_alu instid0(VALU_DEP_1) | instskip(SKIP_1) | instid1(VALU_DEP_1)
	v_cndmask_b32_e64 v94, 0, v94, s0
	v_cmp_lt_i32_e64 s0, v66, v88
	v_cndmask_b32_e64 v93, 0, v93, s0
; %bb.1547:                             ;   in Loop: Header=BB277_799 Depth=1
	s_or_b32 exec_lo, exec_lo, s10
	flat_load_b32 v105, v[12:13] offset:2816
	v_mov_b32_e32 v14, 0
	v_mov_b32_e32 v15, 0
	s_mov_b32 s10, exec_lo
	s_waitcnt vmcnt(0) lgkmcnt(0)
	v_and_b32_e32 v6, 0xff, v105
	s_delay_alu instid0(VALU_DEP_2) | instskip(NEXT) | instid1(VALU_DEP_2)
	v_dual_mov_b32 v4, v14 :: v_dual_mov_b32 v5, v15
	v_cmpx_ne_u16_e32 0, v6
	s_cbranch_execz .LBB277_1555
; %bb.1548:                             ;   in Loop: Header=BB277_799 Depth=1
	v_bfrev_b32_e32 v4, 1
	v_mov_b32_e32 v5, 0
	s_mov_b32 s12, exec_lo
	v_cmpx_ne_u16_e32 0x80, v6
	s_cbranch_execz .LBB277_1554
; %bb.1549:                             ;   in Loop: Header=BB277_799 Depth=1
	v_mov_b32_e32 v4, 0x7f800001
	v_dual_mov_b32 v5, 0 :: v_dual_and_b32 v16, 0x7f, v105
	s_mov_b32 s13, exec_lo
	s_delay_alu instid0(VALU_DEP_1)
	v_cmpx_ne_u32_e32 0x7f, v16
	s_cbranch_execz .LBB277_1553
; %bb.1550:                             ;   in Loop: Header=BB277_799 Depth=1
	v_and_b32_e32 v6, 7, v105
	v_lshrrev_b32_e32 v4, 3, v16
	s_mov_b32 s15, exec_lo
	v_cmpx_gt_u32_e32 8, v16
; %bb.1551:                             ;   in Loop: Header=BB277_799 Depth=1
	s_delay_alu instid0(VALU_DEP_3) | instskip(NEXT) | instid1(VALU_DEP_1)
	v_clz_i32_u32_e32 v4, v6
	v_min_u32_e32 v4, 32, v4
	s_delay_alu instid0(VALU_DEP_1) | instskip(SKIP_1) | instid1(VALU_DEP_2)
	v_subrev_nc_u32_e32 v5, 28, v4
	v_sub_nc_u32_e32 v4, 29, v4
	v_lshlrev_b64 v[5:6], v5, v[6:7]
	s_delay_alu instid0(VALU_DEP_1)
	v_and_b32_e32 v6, 7, v5
; %bb.1552:                             ;   in Loop: Header=BB277_799 Depth=1
	s_or_b32 exec_lo, exec_lo, s15
	v_lshlrev_b32_e32 v5, 24, v105
	s_delay_alu instid0(VALU_DEP_2) | instskip(SKIP_1) | instid1(VALU_DEP_3)
	v_lshlrev_b32_e32 v6, 20, v6
	v_lshl_add_u32 v4, v4, 23, 0x3c000000
	v_and_b32_e32 v5, 0x80000000, v5
	s_delay_alu instid0(VALU_DEP_1) | instskip(NEXT) | instid1(VALU_DEP_1)
	v_or3_b32 v6, v6, v5, v4
	v_dual_mov_b32 v4, v6 :: v_dual_mov_b32 v5, v7
.LBB277_1553:                           ;   in Loop: Header=BB277_799 Depth=1
	s_or_b32 exec_lo, exec_lo, s13
.LBB277_1554:                           ;   in Loop: Header=BB277_799 Depth=1
	s_delay_alu instid0(SALU_CYCLE_1)
	s_or_b32 exec_lo, exec_lo, s12
.LBB277_1555:                           ;   in Loop: Header=BB277_799 Depth=1
	s_delay_alu instid0(SALU_CYCLE_1) | instskip(SKIP_2) | instid1(VALU_DEP_1)
	s_or_b32 exec_lo, exec_lo, s10
	v_lshrrev_b16 v6, 8, v105
	s_mov_b32 s12, exec_lo
	v_cmpx_ne_u16_e32 0, v6
	s_cbranch_execz .LBB277_1563
; %bb.1556:                             ;   in Loop: Header=BB277_799 Depth=1
	v_dual_mov_b32 v15, s9 :: v_dual_mov_b32 v14, s8
	s_mov_b32 s13, exec_lo
	v_cmpx_ne_u16_e32 0x80, v6
	s_cbranch_execz .LBB277_1562
; %bb.1557:                             ;   in Loop: Header=BB277_799 Depth=1
	s_mov_b32 s10, s8
	v_dual_mov_b32 v15, s11 :: v_dual_and_b32 v6, 0xffff, v6
	v_mov_b32_e32 v14, s10
	s_mov_b32 s10, exec_lo
	s_delay_alu instid0(VALU_DEP_2) | instskip(NEXT) | instid1(VALU_DEP_1)
	v_and_b32_e32 v16, 0x7f, v6
	v_cmpx_ne_u32_e32 0x7f, v16
	s_cbranch_execz .LBB277_1561
; %bb.1558:                             ;   in Loop: Header=BB277_799 Depth=1
	v_and_b32_e32 v6, 7, v6
	v_lshrrev_b32_e32 v14, 3, v16
	s_mov_b32 s15, exec_lo
	v_cmpx_gt_u32_e32 8, v16
; %bb.1559:                             ;   in Loop: Header=BB277_799 Depth=1
	s_delay_alu instid0(VALU_DEP_3) | instskip(NEXT) | instid1(VALU_DEP_1)
	v_clz_i32_u32_e32 v14, v6
	v_min_u32_e32 v14, 32, v14
	s_delay_alu instid0(VALU_DEP_1) | instskip(SKIP_1) | instid1(VALU_DEP_2)
	v_subrev_nc_u32_e32 v15, 28, v14
	v_sub_nc_u32_e32 v14, 29, v14
	v_lshlrev_b64 v[15:16], v15, v[6:7]
	s_delay_alu instid0(VALU_DEP_1)
	v_and_b32_e32 v6, 7, v15
; %bb.1560:                             ;   in Loop: Header=BB277_799 Depth=1
	s_or_b32 exec_lo, exec_lo, s15
	v_lshlrev_b32_e32 v15, 16, v105
	s_delay_alu instid0(VALU_DEP_2) | instskip(SKIP_1) | instid1(VALU_DEP_3)
	v_lshlrev_b32_e32 v6, 20, v6
	v_lshl_add_u32 v14, v14, 23, 0x3c000000
	v_and_b32_e32 v15, 0x80000000, v15
	s_delay_alu instid0(VALU_DEP_1)
	v_or3_b32 v15, v6, v15, v14
	v_mov_b32_e32 v14, v7
.LBB277_1561:                           ;   in Loop: Header=BB277_799 Depth=1
	s_or_b32 exec_lo, exec_lo, s10
.LBB277_1562:                           ;   in Loop: Header=BB277_799 Depth=1
	s_delay_alu instid0(SALU_CYCLE_1)
	s_or_b32 exec_lo, exec_lo, s13
.LBB277_1563:                           ;   in Loop: Header=BB277_799 Depth=1
	s_delay_alu instid0(SALU_CYCLE_1) | instskip(SKIP_4) | instid1(VALU_DEP_2)
	s_or_b32 exec_lo, exec_lo, s12
	v_mov_b32_e32 v18, 0
	v_lshrrev_b32_e32 v106, 16, v105
	v_mov_b32_e32 v19, 0
	s_mov_b32 s10, exec_lo
	v_and_b32_e32 v6, 0xff, v106
	s_delay_alu instid0(VALU_DEP_2) | instskip(NEXT) | instid1(VALU_DEP_2)
	v_dual_mov_b32 v16, v18 :: v_dual_mov_b32 v17, v19
	v_cmpx_ne_u16_e32 0, v6
	s_cbranch_execz .LBB277_1571
; %bb.1564:                             ;   in Loop: Header=BB277_799 Depth=1
	v_bfrev_b32_e32 v16, 1
	v_mov_b32_e32 v17, 0
	s_mov_b32 s12, exec_lo
	v_cmpx_ne_u16_e32 0x80, v6
	s_cbranch_execz .LBB277_1570
; %bb.1565:                             ;   in Loop: Header=BB277_799 Depth=1
	v_mov_b32_e32 v16, 0x7f800001
	v_bfe_u32 v107, v105, 16, 7
	v_mov_b32_e32 v17, 0
	s_mov_b32 s13, exec_lo
	s_delay_alu instid0(VALU_DEP_2)
	v_cmpx_ne_u32_e32 0x7f, v107
	s_cbranch_execz .LBB277_1569
; %bb.1566:                             ;   in Loop: Header=BB277_799 Depth=1
	v_and_b32_e32 v6, 7, v106
	v_lshrrev_b32_e32 v16, 3, v107
	s_mov_b32 s15, exec_lo
	v_cmpx_gt_u32_e32 8, v107
; %bb.1567:                             ;   in Loop: Header=BB277_799 Depth=1
	s_delay_alu instid0(VALU_DEP_3) | instskip(NEXT) | instid1(VALU_DEP_1)
	v_clz_i32_u32_e32 v16, v6
	v_min_u32_e32 v16, 32, v16
	s_delay_alu instid0(VALU_DEP_1) | instskip(SKIP_1) | instid1(VALU_DEP_2)
	v_subrev_nc_u32_e32 v17, 28, v16
	v_sub_nc_u32_e32 v16, 29, v16
	v_lshlrev_b64 v[107:108], v17, v[6:7]
	s_delay_alu instid0(VALU_DEP_1)
	v_and_b32_e32 v6, 7, v107
; %bb.1568:                             ;   in Loop: Header=BB277_799 Depth=1
	s_or_b32 exec_lo, exec_lo, s15
	v_lshlrev_b32_e32 v17, 24, v106
	s_delay_alu instid0(VALU_DEP_2) | instskip(SKIP_1) | instid1(VALU_DEP_3)
	v_lshlrev_b32_e32 v6, 20, v6
	v_lshl_add_u32 v16, v16, 23, 0x3c000000
	v_and_b32_e32 v17, 0x80000000, v17
	s_delay_alu instid0(VALU_DEP_1) | instskip(NEXT) | instid1(VALU_DEP_1)
	v_or3_b32 v6, v6, v17, v16
	v_dual_mov_b32 v17, v7 :: v_dual_mov_b32 v16, v6
.LBB277_1569:                           ;   in Loop: Header=BB277_799 Depth=1
	s_or_b32 exec_lo, exec_lo, s13
.LBB277_1570:                           ;   in Loop: Header=BB277_799 Depth=1
	s_delay_alu instid0(SALU_CYCLE_1)
	s_or_b32 exec_lo, exec_lo, s12
.LBB277_1571:                           ;   in Loop: Header=BB277_799 Depth=1
	s_delay_alu instid0(SALU_CYCLE_1) | instskip(NEXT) | instid1(SALU_CYCLE_1)
	s_or_b32 exec_lo, exec_lo, s10
	s_mov_b32 s12, exec_lo
	v_cmpx_lt_u32_e32 0xffffff, v105
	s_cbranch_execz .LBB277_1579
; %bb.1572:                             ;   in Loop: Header=BB277_799 Depth=1
	v_lshrrev_b32_e32 v106, 24, v105
	v_dual_mov_b32 v19, s9 :: v_dual_mov_b32 v18, s8
	s_mov_b32 s13, exec_lo
	s_delay_alu instid0(VALU_DEP_2)
	v_cmpx_ne_u32_e32 0x80, v106
	s_cbranch_execz .LBB277_1578
; %bb.1573:                             ;   in Loop: Header=BB277_799 Depth=1
	s_mov_b32 s10, s8
	v_bfe_u32 v105, v105, 24, 7
	v_dual_mov_b32 v19, s11 :: v_dual_mov_b32 v18, s10
	s_mov_b32 s10, exec_lo
	s_delay_alu instid0(VALU_DEP_2)
	v_cmpx_ne_u32_e32 0x7f, v105
	s_cbranch_execz .LBB277_1577
; %bb.1574:                             ;   in Loop: Header=BB277_799 Depth=1
	v_and_b32_e32 v6, 7, v106
	v_lshrrev_b32_e32 v18, 3, v105
	s_mov_b32 s15, exec_lo
	v_cmpx_gt_u32_e32 8, v105
; %bb.1575:                             ;   in Loop: Header=BB277_799 Depth=1
	s_delay_alu instid0(VALU_DEP_3) | instskip(NEXT) | instid1(VALU_DEP_1)
	v_clz_i32_u32_e32 v18, v6
	v_min_u32_e32 v18, 32, v18
	s_delay_alu instid0(VALU_DEP_1) | instskip(SKIP_1) | instid1(VALU_DEP_2)
	v_subrev_nc_u32_e32 v19, 28, v18
	v_sub_nc_u32_e32 v18, 29, v18
	v_lshlrev_b64 v[107:108], v19, v[6:7]
	s_delay_alu instid0(VALU_DEP_1)
	v_and_b32_e32 v6, 7, v107
; %bb.1576:                             ;   in Loop: Header=BB277_799 Depth=1
	s_or_b32 exec_lo, exec_lo, s15
	v_lshlrev_b32_e32 v19, 24, v106
	s_delay_alu instid0(VALU_DEP_2) | instskip(SKIP_1) | instid1(VALU_DEP_3)
	v_lshlrev_b32_e32 v6, 20, v6
	v_lshl_add_u32 v18, v18, 23, 0x3c000000
	v_and_b32_e32 v19, 0x80000000, v19
	s_delay_alu instid0(VALU_DEP_1)
	v_or3_b32 v19, v6, v19, v18
	v_mov_b32_e32 v18, v7
.LBB277_1577:                           ;   in Loop: Header=BB277_799 Depth=1
	s_or_b32 exec_lo, exec_lo, s10
.LBB277_1578:                           ;   in Loop: Header=BB277_799 Depth=1
	s_delay_alu instid0(SALU_CYCLE_1)
	s_or_b32 exec_lo, exec_lo, s13
.LBB277_1579:                           ;   in Loop: Header=BB277_799 Depth=1
	s_delay_alu instid0(SALU_CYCLE_1) | instskip(SKIP_4) | instid1(VALU_DEP_4)
	s_or_b32 exec_lo, exec_lo, s12
	v_or_b32_e32 v5, v15, v5
	v_or_b32_e32 v4, v14, v4
	;; [unrolled: 1-line block ×4, first 2 shown]
	v_mul_f32_e32 v106, v68, v5
	s_delay_alu instid0(VALU_DEP_4) | instskip(NEXT) | instid1(VALU_DEP_4)
	v_mul_f32_e32 v105, v64, v4
	v_mul_f32_e32 v18, v68, v6
	s_delay_alu instid0(VALU_DEP_4)
	v_mul_f32_e32 v19, v64, v14
	s_and_saveexec_b32 s10, vcc_lo
; %bb.1580:                             ;   in Loop: Header=BB277_799 Depth=1
	v_cmp_lt_i32_e64 s0, v81, v88
	s_delay_alu instid0(VALU_DEP_1) | instskip(SKIP_1) | instid1(VALU_DEP_1)
	v_cndmask_b32_e64 v105, 0, v105, s0
	v_cmp_lt_i32_e64 s0, v83, v88
	v_cndmask_b32_e64 v106, 0, v106, s0
	v_cmp_lt_i32_e64 s0, v82, v88
	s_delay_alu instid0(VALU_DEP_1) | instskip(SKIP_1) | instid1(VALU_DEP_1)
	v_cndmask_b32_e64 v19, 0, v19, s0
	v_cmp_lt_i32_e64 s0, v66, v88
	v_cndmask_b32_e64 v18, 0, v18, s0
; %bb.1581:                             ;   in Loop: Header=BB277_799 Depth=1
	s_or_b32 exec_lo, exec_lo, s10
	flat_load_b32 v107, v[12:13] offset:2944
	v_mov_b32_e32 v12, 0
	v_mov_b32_e32 v13, 0
	s_mov_b32 s10, exec_lo
	s_waitcnt vmcnt(0) lgkmcnt(0)
	v_and_b32_e32 v6, 0xff, v107
	s_delay_alu instid0(VALU_DEP_2) | instskip(NEXT) | instid1(VALU_DEP_2)
	v_dual_mov_b32 v4, v12 :: v_dual_mov_b32 v5, v13
	v_cmpx_ne_u16_e32 0, v6
	s_cbranch_execz .LBB277_1589
; %bb.1582:                             ;   in Loop: Header=BB277_799 Depth=1
	v_bfrev_b32_e32 v4, 1
	v_mov_b32_e32 v5, 0
	s_mov_b32 s12, exec_lo
	v_cmpx_ne_u16_e32 0x80, v6
	s_cbranch_execz .LBB277_1588
; %bb.1583:                             ;   in Loop: Header=BB277_799 Depth=1
	v_mov_b32_e32 v4, 0x7f800001
	v_dual_mov_b32 v5, 0 :: v_dual_and_b32 v14, 0x7f, v107
	s_mov_b32 s13, exec_lo
	s_delay_alu instid0(VALU_DEP_1)
	v_cmpx_ne_u32_e32 0x7f, v14
	s_cbranch_execz .LBB277_1587
; %bb.1584:                             ;   in Loop: Header=BB277_799 Depth=1
	v_and_b32_e32 v6, 7, v107
	v_lshrrev_b32_e32 v4, 3, v14
	s_mov_b32 s15, exec_lo
	v_cmpx_gt_u32_e32 8, v14
; %bb.1585:                             ;   in Loop: Header=BB277_799 Depth=1
	s_delay_alu instid0(VALU_DEP_3) | instskip(NEXT) | instid1(VALU_DEP_1)
	v_clz_i32_u32_e32 v4, v6
	v_min_u32_e32 v4, 32, v4
	s_delay_alu instid0(VALU_DEP_1) | instskip(SKIP_1) | instid1(VALU_DEP_2)
	v_subrev_nc_u32_e32 v5, 28, v4
	v_sub_nc_u32_e32 v4, 29, v4
	v_lshlrev_b64 v[5:6], v5, v[6:7]
	s_delay_alu instid0(VALU_DEP_1)
	v_and_b32_e32 v6, 7, v5
; %bb.1586:                             ;   in Loop: Header=BB277_799 Depth=1
	s_or_b32 exec_lo, exec_lo, s15
	v_lshlrev_b32_e32 v5, 24, v107
	s_delay_alu instid0(VALU_DEP_2) | instskip(SKIP_1) | instid1(VALU_DEP_3)
	v_lshlrev_b32_e32 v6, 20, v6
	v_lshl_add_u32 v4, v4, 23, 0x3c000000
	v_and_b32_e32 v5, 0x80000000, v5
	s_delay_alu instid0(VALU_DEP_1) | instskip(NEXT) | instid1(VALU_DEP_1)
	v_or3_b32 v6, v6, v5, v4
	v_dual_mov_b32 v4, v6 :: v_dual_mov_b32 v5, v7
.LBB277_1587:                           ;   in Loop: Header=BB277_799 Depth=1
	s_or_b32 exec_lo, exec_lo, s13
.LBB277_1588:                           ;   in Loop: Header=BB277_799 Depth=1
	s_delay_alu instid0(SALU_CYCLE_1)
	s_or_b32 exec_lo, exec_lo, s12
.LBB277_1589:                           ;   in Loop: Header=BB277_799 Depth=1
	s_delay_alu instid0(SALU_CYCLE_1) | instskip(SKIP_2) | instid1(VALU_DEP_1)
	s_or_b32 exec_lo, exec_lo, s10
	v_lshrrev_b16 v6, 8, v107
	s_mov_b32 s12, exec_lo
	v_cmpx_ne_u16_e32 0, v6
	s_cbranch_execz .LBB277_1597
; %bb.1590:                             ;   in Loop: Header=BB277_799 Depth=1
	v_dual_mov_b32 v13, s9 :: v_dual_mov_b32 v12, s8
	s_mov_b32 s13, exec_lo
	v_cmpx_ne_u16_e32 0x80, v6
	s_cbranch_execz .LBB277_1596
; %bb.1591:                             ;   in Loop: Header=BB277_799 Depth=1
	s_mov_b32 s10, s8
	v_dual_mov_b32 v13, s11 :: v_dual_and_b32 v6, 0xffff, v6
	v_mov_b32_e32 v12, s10
	s_mov_b32 s10, exec_lo
	s_delay_alu instid0(VALU_DEP_2) | instskip(NEXT) | instid1(VALU_DEP_1)
	v_and_b32_e32 v14, 0x7f, v6
	v_cmpx_ne_u32_e32 0x7f, v14
	s_cbranch_execz .LBB277_1595
; %bb.1592:                             ;   in Loop: Header=BB277_799 Depth=1
	v_and_b32_e32 v6, 7, v6
	v_lshrrev_b32_e32 v12, 3, v14
	s_mov_b32 s15, exec_lo
	v_cmpx_gt_u32_e32 8, v14
; %bb.1593:                             ;   in Loop: Header=BB277_799 Depth=1
	s_delay_alu instid0(VALU_DEP_3) | instskip(NEXT) | instid1(VALU_DEP_1)
	v_clz_i32_u32_e32 v12, v6
	v_min_u32_e32 v12, 32, v12
	s_delay_alu instid0(VALU_DEP_1) | instskip(SKIP_1) | instid1(VALU_DEP_2)
	v_subrev_nc_u32_e32 v13, 28, v12
	v_sub_nc_u32_e32 v12, 29, v12
	v_lshlrev_b64 v[13:14], v13, v[6:7]
	s_delay_alu instid0(VALU_DEP_1)
	v_and_b32_e32 v6, 7, v13
; %bb.1594:                             ;   in Loop: Header=BB277_799 Depth=1
	s_or_b32 exec_lo, exec_lo, s15
	v_lshlrev_b32_e32 v13, 16, v107
	s_delay_alu instid0(VALU_DEP_2) | instskip(SKIP_1) | instid1(VALU_DEP_3)
	v_lshlrev_b32_e32 v6, 20, v6
	v_lshl_add_u32 v12, v12, 23, 0x3c000000
	v_and_b32_e32 v13, 0x80000000, v13
	s_delay_alu instid0(VALU_DEP_1)
	v_or3_b32 v13, v6, v13, v12
	v_mov_b32_e32 v12, v7
.LBB277_1595:                           ;   in Loop: Header=BB277_799 Depth=1
	s_or_b32 exec_lo, exec_lo, s10
.LBB277_1596:                           ;   in Loop: Header=BB277_799 Depth=1
	s_delay_alu instid0(SALU_CYCLE_1)
	s_or_b32 exec_lo, exec_lo, s13
.LBB277_1597:                           ;   in Loop: Header=BB277_799 Depth=1
	s_delay_alu instid0(SALU_CYCLE_1) | instskip(SKIP_4) | instid1(VALU_DEP_2)
	s_or_b32 exec_lo, exec_lo, s12
	v_mov_b32_e32 v16, 0
	v_lshrrev_b32_e32 v108, 16, v107
	v_mov_b32_e32 v17, 0
	s_mov_b32 s10, exec_lo
	v_and_b32_e32 v6, 0xff, v108
	s_delay_alu instid0(VALU_DEP_2) | instskip(NEXT) | instid1(VALU_DEP_2)
	v_dual_mov_b32 v14, v16 :: v_dual_mov_b32 v15, v17
	v_cmpx_ne_u16_e32 0, v6
	s_cbranch_execz .LBB277_1605
; %bb.1598:                             ;   in Loop: Header=BB277_799 Depth=1
	v_bfrev_b32_e32 v14, 1
	v_mov_b32_e32 v15, 0
	s_mov_b32 s12, exec_lo
	v_cmpx_ne_u16_e32 0x80, v6
	s_cbranch_execz .LBB277_1604
; %bb.1599:                             ;   in Loop: Header=BB277_799 Depth=1
	v_mov_b32_e32 v14, 0x7f800001
	v_bfe_u32 v109, v107, 16, 7
	v_mov_b32_e32 v15, 0
	s_mov_b32 s13, exec_lo
	s_delay_alu instid0(VALU_DEP_2)
	v_cmpx_ne_u32_e32 0x7f, v109
	s_cbranch_execz .LBB277_1603
; %bb.1600:                             ;   in Loop: Header=BB277_799 Depth=1
	v_and_b32_e32 v6, 7, v108
	v_lshrrev_b32_e32 v14, 3, v109
	s_mov_b32 s15, exec_lo
	v_cmpx_gt_u32_e32 8, v109
; %bb.1601:                             ;   in Loop: Header=BB277_799 Depth=1
	s_delay_alu instid0(VALU_DEP_3) | instskip(SKIP_1) | instid1(VALU_DEP_2)
	v_clz_i32_u32_e32 v14, v6
	v_mov_b32_e32 v22, v121
	v_min_u32_e32 v14, 32, v14
	s_delay_alu instid0(VALU_DEP_1) | instskip(SKIP_1) | instid1(VALU_DEP_2)
	v_subrev_nc_u32_e32 v15, 28, v14
	v_sub_nc_u32_e32 v14, 29, v14
	v_lshlrev_b64 v[109:110], v15, v[6:7]
	v_mov_b32_e32 v110, v122
	s_delay_alu instid0(VALU_DEP_2)
	v_and_b32_e32 v6, 7, v109
; %bb.1602:                             ;   in Loop: Header=BB277_799 Depth=1
	s_or_b32 exec_lo, exec_lo, s15
	v_lshlrev_b32_e32 v15, 24, v108
	s_delay_alu instid0(VALU_DEP_2) | instskip(SKIP_1) | instid1(VALU_DEP_3)
	v_lshlrev_b32_e32 v6, 20, v6
	v_lshl_add_u32 v14, v14, 23, 0x3c000000
	v_and_b32_e32 v15, 0x80000000, v15
	s_delay_alu instid0(VALU_DEP_1) | instskip(NEXT) | instid1(VALU_DEP_1)
	v_or3_b32 v6, v6, v15, v14
	v_dual_mov_b32 v15, v7 :: v_dual_mov_b32 v14, v6
.LBB277_1603:                           ;   in Loop: Header=BB277_799 Depth=1
	s_or_b32 exec_lo, exec_lo, s13
.LBB277_1604:                           ;   in Loop: Header=BB277_799 Depth=1
	s_delay_alu instid0(SALU_CYCLE_1)
	s_or_b32 exec_lo, exec_lo, s12
.LBB277_1605:                           ;   in Loop: Header=BB277_799 Depth=1
	s_delay_alu instid0(SALU_CYCLE_1) | instskip(NEXT) | instid1(SALU_CYCLE_1)
	s_or_b32 exec_lo, exec_lo, s10
	s_mov_b32 s12, exec_lo
	v_cmpx_lt_u32_e32 0xffffff, v107
	s_cbranch_execz .LBB277_1613
; %bb.1606:                             ;   in Loop: Header=BB277_799 Depth=1
	v_lshrrev_b32_e32 v108, 24, v107
	v_dual_mov_b32 v17, s9 :: v_dual_mov_b32 v16, s8
	s_mov_b32 s13, exec_lo
	s_delay_alu instid0(VALU_DEP_2)
	v_cmpx_ne_u32_e32 0x80, v108
	s_cbranch_execz .LBB277_1612
; %bb.1607:                             ;   in Loop: Header=BB277_799 Depth=1
	s_mov_b32 s10, s8
	v_bfe_u32 v107, v107, 24, 7
	v_dual_mov_b32 v17, s11 :: v_dual_mov_b32 v16, s10
	s_mov_b32 s10, exec_lo
	s_delay_alu instid0(VALU_DEP_2)
	v_cmpx_ne_u32_e32 0x7f, v107
	s_cbranch_execz .LBB277_1611
; %bb.1608:                             ;   in Loop: Header=BB277_799 Depth=1
	v_and_b32_e32 v6, 7, v108
	v_lshrrev_b32_e32 v16, 3, v107
	s_mov_b32 s15, exec_lo
	v_cmpx_gt_u32_e32 8, v107
; %bb.1609:                             ;   in Loop: Header=BB277_799 Depth=1
	s_delay_alu instid0(VALU_DEP_3) | instskip(SKIP_1) | instid1(VALU_DEP_2)
	v_clz_i32_u32_e32 v16, v6
	v_mov_b32_e32 v22, v121
	v_min_u32_e32 v16, 32, v16
	s_delay_alu instid0(VALU_DEP_1) | instskip(SKIP_1) | instid1(VALU_DEP_2)
	v_subrev_nc_u32_e32 v17, 28, v16
	v_sub_nc_u32_e32 v16, 29, v16
	v_lshlrev_b64 v[109:110], v17, v[6:7]
	v_mov_b32_e32 v110, v122
	s_delay_alu instid0(VALU_DEP_2)
	v_and_b32_e32 v6, 7, v109
; %bb.1610:                             ;   in Loop: Header=BB277_799 Depth=1
	s_or_b32 exec_lo, exec_lo, s15
	v_lshlrev_b32_e32 v17, 24, v108
	s_delay_alu instid0(VALU_DEP_2) | instskip(SKIP_1) | instid1(VALU_DEP_3)
	v_lshlrev_b32_e32 v6, 20, v6
	v_lshl_add_u32 v16, v16, 23, 0x3c000000
	v_and_b32_e32 v17, 0x80000000, v17
	s_delay_alu instid0(VALU_DEP_1)
	v_or3_b32 v17, v6, v17, v16
	v_mov_b32_e32 v16, v7
.LBB277_1611:                           ;   in Loop: Header=BB277_799 Depth=1
	s_or_b32 exec_lo, exec_lo, s10
.LBB277_1612:                           ;   in Loop: Header=BB277_799 Depth=1
	s_delay_alu instid0(SALU_CYCLE_1)
	s_or_b32 exec_lo, exec_lo, s13
.LBB277_1613:                           ;   in Loop: Header=BB277_799 Depth=1
	s_delay_alu instid0(SALU_CYCLE_1) | instskip(SKIP_4) | instid1(VALU_DEP_4)
	s_or_b32 exec_lo, exec_lo, s12
	v_or_b32_e32 v5, v13, v5
	v_or_b32_e32 v4, v12, v4
	;; [unrolled: 1-line block ×4, first 2 shown]
	v_mul_f32_e32 v12, v68, v5
	s_delay_alu instid0(VALU_DEP_4) | instskip(NEXT) | instid1(VALU_DEP_4)
	v_mul_f32_e32 v6, v64, v4
	v_mul_f32_e32 v4, v68, v13
	s_delay_alu instid0(VALU_DEP_4)
	v_mul_f32_e32 v5, v64, v14
	s_and_saveexec_b32 s0, vcc_lo
	s_cbranch_execz .LBB277_798
; %bb.1614:                             ;   in Loop: Header=BB277_799 Depth=1
	v_cmp_lt_i32_e32 vcc_lo, v81, v88
	v_cndmask_b32_e32 v6, 0, v6, vcc_lo
	v_cmp_lt_i32_e32 vcc_lo, v83, v88
	v_cndmask_b32_e32 v12, 0, v12, vcc_lo
	;; [unrolled: 2-line block ×4, first 2 shown]
	s_branch .LBB277_798
.LBB277_1615:
	s_or_b32 exec_lo, exec_lo, s5
	v_dual_mov_b32 v0, s6 :: v_dual_mov_b32 v1, s7
.LBB277_1616:
	s_or_b32 exec_lo, exec_lo, s3
	s_delay_alu instid0(VALU_DEP_1)
	v_lshlrev_b64 v[0:1], 2, v[0:1]
	s_getpc_b64 s[6:7]
	s_add_u32 s6, s6, llvm.amdgcn.dynlds.offset.table@rel32@lo+4
	s_addc_u32 s7, s7, llvm.amdgcn.dynlds.offset.table@rel32@hi+12
	s_waitcnt lgkmcnt(0)
	s_waitcnt_vscnt null, 0x0
	s_barrier
	buffer_gl0_inv
	ds_bpermute_b32 v2, v120, v54
	v_add_co_u32 v0, vcc_lo, v0, s6
	v_add_co_ci_u32_e32 v1, vcc_lo, s7, v1, vcc_lo
	ds_bpermute_b32 v17, v120, v30
	ds_bpermute_b32 v18, v120, v29
	;; [unrolled: 1-line block ×3, first 2 shown]
	global_load_b32 v65, v[0:1], off
	ds_bpermute_b32 v1, v120, v55
	ds_bpermute_b32 v0, v120, v53
	;; [unrolled: 1-line block ×20, first 2 shown]
	s_waitcnt lgkmcnt(19)
	v_dual_add_f32 v1, v55, v1 :: v_dual_add_f32 v2, v54, v2
	v_dual_add_f32 v17, v30, v17 :: v_dual_add_f32 v18, v29, v18
	s_waitcnt lgkmcnt(18)
	v_dual_add_f32 v0, v53, v0 :: v_dual_and_b32 v67, 0x3c7, v111
	ds_bpermute_b32 v29, v21, v2
	s_waitcnt lgkmcnt(18)
	v_dual_add_f32 v19, v28, v19 :: v_dual_add_f32 v26, v123, v68
	s_waitcnt lgkmcnt(17)
	v_add_f32_e32 v25, v25, v69
	v_cmp_eq_u32_e32 vcc_lo, 64, v67
	s_waitcnt lgkmcnt(15)
	v_dual_add_f32 v3, v52, v3 :: v_dual_add_f32 v4, v51, v4
	s_waitcnt lgkmcnt(13)
	v_dual_add_f32 v5, v50, v5 :: v_dual_add_f32 v6, v49, v6
	;; [unrolled: 2-line block ×8, first 2 shown]
	v_add_f32_e32 v22, v24, v22
	ds_bpermute_b32 v24, v21, v0
	ds_bpermute_b32 v28, v21, v1
	;; [unrolled: 1-line block ×23, first 2 shown]
	s_waitcnt lgkmcnt(18)
	v_dual_add_f32 v0, v0, v24 :: v_dual_add_f32 v3, v3, v30
	s_waitcnt lgkmcnt(17)
	v_dual_add_f32 v1, v1, v28 :: v_dual_add_f32 v4, v4, v31
	v_dual_add_f32 v26, v26, v66 :: v_dual_add_f32 v25, v25, v67
	scratch_load_b32 v64, off, s32 offset:824 ; 4-byte Folded Reload
	ds_bpermute_b32 v28, v20, v2
	s_waitcnt lgkmcnt(16)
	v_dual_add_f32 v5, v5, v32 :: v_dual_add_f32 v6, v6, v33
	ds_bpermute_b32 v66, v20, v25
	s_waitcnt lgkmcnt(15)
	v_dual_add_f32 v7, v7, v34 :: v_dual_add_f32 v8, v8, v35
	s_waitcnt lgkmcnt(13)
	v_dual_add_f32 v9, v9, v36 :: v_dual_add_f32 v10, v10, v37
	;; [unrolled: 2-line block ×5, first 2 shown]
	ds_bpermute_b32 v21, v20, v0
	ds_bpermute_b32 v22, v20, v1
	;; [unrolled: 1-line block ×3, first 2 shown]
	v_add_f32_e32 v19, v19, v54
	v_dual_add_f32 v15, v15, v50 :: v_dual_add_f32 v16, v16, v51
	v_dual_add_f32 v17, v17, v52 :: v_dual_add_f32 v18, v18, v53
	ds_bpermute_b32 v29, v20, v3
	ds_bpermute_b32 v30, v20, v4
	;; [unrolled: 1-line block ×12, first 2 shown]
	s_waitcnt lgkmcnt(13)
	v_dual_add_f32 v0, v0, v21 :: v_dual_add_f32 v1, v1, v22
	v_add_f32_e32 v2, v2, v28
	s_waitcnt lgkmcnt(12)
	v_dual_add_f32 v21, v26, v55 :: v_dual_add_f32 v22, v25, v66
	scratch_load_b32 v25, off, s32 offset:808 ; 4-byte Folded Reload
	ds_bpermute_b32 v49, v20, v15
	ds_bpermute_b32 v50, v20, v16
	;; [unrolled: 1-line block ×7, first 2 shown]
	s_waitcnt lgkmcnt(17)
	v_dual_add_f32 v3, v3, v29 :: v_dual_add_f32 v4, v4, v30
	s_waitcnt lgkmcnt(15)
	v_dual_add_f32 v5, v5, v31 :: v_dual_add_f32 v6, v6, v32
	;; [unrolled: 2-line block ×9, first 2 shown]
	s_waitcnt lgkmcnt(0)
	v_add_f32_e32 v24, v27, v67
	s_waitcnt vmcnt(1)
	v_lshrrev_b32_e32 v64, 3, v64
	s_delay_alu instid0(VALU_DEP_1)
	v_lshlrev_b32_e32 v26, 2, v64
	s_waitcnt vmcnt(0)
	v_mad_u32_u24 v25, 0x180, v25, v65
	s_and_saveexec_b32 s0, vcc_lo
	s_cbranch_execz .LBB277_1618
; %bb.1617:
	s_delay_alu instid0(VALU_DEP_1)
	v_add3_u32 v27, v25, v26, 0xfffffd00
	ds_store_2addr_b32 v27, v0, v1 offset1:4
	ds_store_2addr_b32 v27, v2, v3 offset0:8 offset1:12
	ds_store_2addr_b32 v27, v4, v5 offset0:16 offset1:20
	;; [unrolled: 1-line block ×11, first 2 shown]
.LBB277_1618:
	s_or_b32 exec_lo, exec_lo, s0
	v_cmp_eq_u32_e32 vcc_lo, 0, v23
	s_mov_b32 s3, exec_lo
	s_waitcnt lgkmcnt(0)
	s_barrier
	buffer_gl0_inv
	v_cmpx_gt_u32_e32 64, v111
	s_cbranch_execz .LBB277_1645
; %bb.1619:
	s_and_saveexec_b32 s0, vcc_lo
	s_cbranch_execnz .LBB277_1677
; %bb.1620:
	s_or_b32 exec_lo, exec_lo, s0
	s_and_saveexec_b32 s0, vcc_lo
	s_cbranch_execnz .LBB277_1678
.LBB277_1621:
	s_or_b32 exec_lo, exec_lo, s0
	s_and_saveexec_b32 s0, vcc_lo
	s_cbranch_execnz .LBB277_1679
.LBB277_1622:
	s_or_b32 exec_lo, exec_lo, s0
	s_and_saveexec_b32 s0, vcc_lo
	s_cbranch_execnz .LBB277_1680
.LBB277_1623:
	s_or_b32 exec_lo, exec_lo, s0
	s_and_saveexec_b32 s0, vcc_lo
	s_cbranch_execnz .LBB277_1681
.LBB277_1624:
	s_or_b32 exec_lo, exec_lo, s0
	s_and_saveexec_b32 s0, vcc_lo
	s_cbranch_execnz .LBB277_1682
.LBB277_1625:
	s_or_b32 exec_lo, exec_lo, s0
	s_and_saveexec_b32 s0, vcc_lo
	s_cbranch_execnz .LBB277_1683
.LBB277_1626:
	s_or_b32 exec_lo, exec_lo, s0
	s_and_saveexec_b32 s0, vcc_lo
	s_cbranch_execnz .LBB277_1684
.LBB277_1627:
	s_or_b32 exec_lo, exec_lo, s0
	s_and_saveexec_b32 s0, vcc_lo
	s_cbranch_execnz .LBB277_1685
.LBB277_1628:
	s_or_b32 exec_lo, exec_lo, s0
	s_and_saveexec_b32 s0, vcc_lo
	s_cbranch_execnz .LBB277_1686
.LBB277_1629:
	s_or_b32 exec_lo, exec_lo, s0
	s_and_saveexec_b32 s0, vcc_lo
	s_cbranch_execnz .LBB277_1687
.LBB277_1630:
	s_or_b32 exec_lo, exec_lo, s0
	s_and_saveexec_b32 s0, vcc_lo
	s_cbranch_execnz .LBB277_1688
.LBB277_1631:
	s_or_b32 exec_lo, exec_lo, s0
	s_and_saveexec_b32 s0, vcc_lo
	s_cbranch_execnz .LBB277_1689
.LBB277_1632:
	s_or_b32 exec_lo, exec_lo, s0
	s_and_saveexec_b32 s0, vcc_lo
	s_cbranch_execnz .LBB277_1690
.LBB277_1633:
	s_or_b32 exec_lo, exec_lo, s0
	s_and_saveexec_b32 s0, vcc_lo
	s_cbranch_execnz .LBB277_1691
.LBB277_1634:
	s_or_b32 exec_lo, exec_lo, s0
	s_and_saveexec_b32 s0, vcc_lo
	s_cbranch_execnz .LBB277_1692
.LBB277_1635:
	s_or_b32 exec_lo, exec_lo, s0
	s_and_saveexec_b32 s0, vcc_lo
	s_cbranch_execnz .LBB277_1693
.LBB277_1636:
	s_or_b32 exec_lo, exec_lo, s0
	s_and_saveexec_b32 s0, vcc_lo
	s_cbranch_execnz .LBB277_1694
.LBB277_1637:
	s_or_b32 exec_lo, exec_lo, s0
	s_and_saveexec_b32 s0, vcc_lo
	s_cbranch_execnz .LBB277_1695
.LBB277_1638:
	s_or_b32 exec_lo, exec_lo, s0
	s_and_saveexec_b32 s0, vcc_lo
	s_cbranch_execnz .LBB277_1696
.LBB277_1639:
	s_or_b32 exec_lo, exec_lo, s0
	s_and_saveexec_b32 s0, vcc_lo
	s_cbranch_execnz .LBB277_1697
.LBB277_1640:
	s_or_b32 exec_lo, exec_lo, s0
	s_and_saveexec_b32 s0, vcc_lo
	s_cbranch_execnz .LBB277_1698
.LBB277_1641:
	s_or_b32 exec_lo, exec_lo, s0
	s_and_saveexec_b32 s0, vcc_lo
	s_cbranch_execnz .LBB277_1699
.LBB277_1642:
	s_or_b32 exec_lo, exec_lo, s0
	s_and_saveexec_b32 s0, vcc_lo
	s_cbranch_execz .LBB277_1644
.LBB277_1643:
	v_lshl_add_u32 v23, v64, 2, v25
	ds_load_b32 v23, v23 offset:368
	s_waitcnt lgkmcnt(0)
	v_add_f32_e32 v24, v23, v24
.LBB277_1644:
	s_or_b32 exec_lo, exec_lo, s0
.LBB277_1645:
	s_delay_alu instid0(SALU_CYCLE_1)
	s_or_b32 exec_lo, exec_lo, s3
	v_and_b32_e32 v23, 0x3e7, v111
	s_mov_b32 s3, exec_lo
	s_barrier
	buffer_gl0_inv
	v_cmpx_eq_u32_e32 32, v23
	s_cbranch_execz .LBB277_1647
; %bb.1646:
	v_add3_u32 v26, v25, v26, 0xfffffe80
	ds_store_2addr_b32 v26, v0, v1 offset1:4
	ds_store_2addr_b32 v26, v2, v3 offset0:8 offset1:12
	ds_store_2addr_b32 v26, v4, v5 offset0:16 offset1:20
	;; [unrolled: 1-line block ×11, first 2 shown]
.LBB277_1647:
	s_or_b32 exec_lo, exec_lo, s3
	s_delay_alu instid0(SALU_CYCLE_1)
	s_mov_b32 s3, exec_lo
	s_waitcnt lgkmcnt(0)
	s_barrier
	buffer_gl0_inv
	v_cmpx_gt_u32_e32 32, v111
	s_cbranch_execz .LBB277_1674
; %bb.1648:
	v_lshl_add_u32 v25, v64, 2, v25
	s_and_saveexec_b32 s0, vcc_lo
	s_cbranch_execnz .LBB277_1700
; %bb.1649:
	s_or_b32 exec_lo, exec_lo, s0
	s_and_saveexec_b32 s0, vcc_lo
	s_cbranch_execnz .LBB277_1701
.LBB277_1650:
	s_or_b32 exec_lo, exec_lo, s0
	s_and_saveexec_b32 s0, vcc_lo
	s_cbranch_execnz .LBB277_1702
.LBB277_1651:
	s_or_b32 exec_lo, exec_lo, s0
	s_and_saveexec_b32 s0, vcc_lo
	s_cbranch_execnz .LBB277_1703
.LBB277_1652:
	s_or_b32 exec_lo, exec_lo, s0
	s_and_saveexec_b32 s0, vcc_lo
	s_cbranch_execnz .LBB277_1704
.LBB277_1653:
	s_or_b32 exec_lo, exec_lo, s0
	s_and_saveexec_b32 s0, vcc_lo
	s_cbranch_execnz .LBB277_1705
.LBB277_1654:
	s_or_b32 exec_lo, exec_lo, s0
	s_and_saveexec_b32 s0, vcc_lo
	s_cbranch_execnz .LBB277_1706
.LBB277_1655:
	s_or_b32 exec_lo, exec_lo, s0
	s_and_saveexec_b32 s0, vcc_lo
	s_cbranch_execnz .LBB277_1707
.LBB277_1656:
	s_or_b32 exec_lo, exec_lo, s0
	s_and_saveexec_b32 s0, vcc_lo
	s_cbranch_execnz .LBB277_1708
.LBB277_1657:
	s_or_b32 exec_lo, exec_lo, s0
	s_and_saveexec_b32 s0, vcc_lo
	s_cbranch_execnz .LBB277_1709
.LBB277_1658:
	s_or_b32 exec_lo, exec_lo, s0
	s_and_saveexec_b32 s0, vcc_lo
	s_cbranch_execnz .LBB277_1710
.LBB277_1659:
	s_or_b32 exec_lo, exec_lo, s0
	s_and_saveexec_b32 s0, vcc_lo
	s_cbranch_execnz .LBB277_1711
.LBB277_1660:
	s_or_b32 exec_lo, exec_lo, s0
	s_and_saveexec_b32 s0, vcc_lo
	s_cbranch_execnz .LBB277_1712
.LBB277_1661:
	s_or_b32 exec_lo, exec_lo, s0
	s_and_saveexec_b32 s0, vcc_lo
	s_cbranch_execnz .LBB277_1713
.LBB277_1662:
	s_or_b32 exec_lo, exec_lo, s0
	s_and_saveexec_b32 s0, vcc_lo
	s_cbranch_execnz .LBB277_1714
.LBB277_1663:
	s_or_b32 exec_lo, exec_lo, s0
	s_and_saveexec_b32 s0, vcc_lo
	s_cbranch_execnz .LBB277_1715
.LBB277_1664:
	s_or_b32 exec_lo, exec_lo, s0
	s_and_saveexec_b32 s0, vcc_lo
	s_cbranch_execnz .LBB277_1716
.LBB277_1665:
	s_or_b32 exec_lo, exec_lo, s0
	s_and_saveexec_b32 s0, vcc_lo
	s_cbranch_execnz .LBB277_1717
.LBB277_1666:
	s_or_b32 exec_lo, exec_lo, s0
	s_and_saveexec_b32 s0, vcc_lo
	s_cbranch_execnz .LBB277_1718
.LBB277_1667:
	s_or_b32 exec_lo, exec_lo, s0
	s_and_saveexec_b32 s0, vcc_lo
	s_cbranch_execnz .LBB277_1719
.LBB277_1668:
	s_or_b32 exec_lo, exec_lo, s0
	s_and_saveexec_b32 s0, vcc_lo
	s_cbranch_execnz .LBB277_1720
.LBB277_1669:
	s_or_b32 exec_lo, exec_lo, s0
	s_and_saveexec_b32 s0, vcc_lo
	s_cbranch_execnz .LBB277_1721
.LBB277_1670:
	s_or_b32 exec_lo, exec_lo, s0
	s_and_saveexec_b32 s0, vcc_lo
	s_cbranch_execnz .LBB277_1722
.LBB277_1671:
	s_or_b32 exec_lo, exec_lo, s0
	s_and_saveexec_b32 s0, vcc_lo
	s_cbranch_execz .LBB277_1673
.LBB277_1672:
	ds_load_b32 v25, v25 offset:368
	s_waitcnt lgkmcnt(0)
	v_add_f32_e32 v24, v25, v24
.LBB277_1673:
	s_or_b32 exec_lo, exec_lo, s0
.LBB277_1674:
	s_delay_alu instid0(SALU_CYCLE_1)
	s_or_b32 exec_lo, exec_lo, s3
	v_cmp_eq_u32_e32 vcc_lo, 0, v23
	s_barrier
	buffer_gl0_inv
	s_and_b32 exec_lo, exec_lo, vcc_lo
	s_cbranch_execz .LBB277_1676
; %bb.1675:
	s_clause 0x1
	scratch_load_b32 v25, off, s32 offset:816
	scratch_load_b32 v26, off, s32 offset:812
	s_mul_i32 s0, s2, 0x60
	s_mul_i32 s2, s4, s1
	;; [unrolled: 1-line block ×3, first 2 shown]
	s_ashr_i32 s3, s2, 31
	s_ashr_i32 s5, s4, 31
	;; [unrolled: 1-line block ×3, first 2 shown]
	s_lshl_b64 s[2:3], s[2:3], 2
	s_lshl_b64 s[4:5], s[4:5], 2
	;; [unrolled: 1-line block ×3, first 2 shown]
	s_add_u32 s2, s4, s2
	s_addc_u32 s3, s5, s3
	s_add_u32 s0, s2, s0
	s_addc_u32 s1, s3, s1
	v_lshrrev_b32_e32 v23, 1, v111
	s_waitcnt vmcnt(1)
	v_add_co_u32 v25, vcc_lo, s0, v25
	s_waitcnt vmcnt(0)
	v_add_co_ci_u32_e32 v26, vcc_lo, s1, v26, vcc_lo
	s_delay_alu instid0(VALU_DEP_2) | instskip(NEXT) | instid1(VALU_DEP_2)
	v_add_co_u32 v25, vcc_lo, v25, v23
	v_add_co_ci_u32_e32 v26, vcc_lo, 0, v26, vcc_lo
	s_clause 0x17
	flat_store_b32 v[25:26], v0
	flat_store_b32 v[25:26], v1 offset:16
	flat_store_b32 v[25:26], v2 offset:32
	;; [unrolled: 1-line block ×23, first 2 shown]
.LBB277_1676:
	s_or_b32 exec_lo, exec_lo, s16
	s_clause 0x1f
	scratch_load_b32 v191, off, s32
	scratch_load_b32 v190, off, s32 offset:4
	scratch_load_b32 v189, off, s32 offset:8
	;; [unrolled: 1-line block ×31, first 2 shown]
	s_clause 0x1f
	scratch_load_b32 v127, off, s32 offset:128
	scratch_load_b32 v126, off, s32 offset:132
	scratch_load_b32 v125, off, s32 offset:136
	scratch_load_b32 v124, off, s32 offset:140
	scratch_load_b32 v123, off, s32 offset:144
	scratch_load_b32 v122, off, s32 offset:148
	scratch_load_b32 v121, off, s32 offset:152
	scratch_load_b32 v120, off, s32 offset:156
	scratch_load_b32 v111, off, s32 offset:160
	scratch_load_b32 v110, off, s32 offset:164
	scratch_load_b32 v109, off, s32 offset:168
	scratch_load_b32 v108, off, s32 offset:172
	scratch_load_b32 v107, off, s32 offset:176
	scratch_load_b32 v106, off, s32 offset:180
	scratch_load_b32 v105, off, s32 offset:184
	scratch_load_b32 v104, off, s32 offset:188
	scratch_load_b32 v95, off, s32 offset:192
	scratch_load_b32 v94, off, s32 offset:196
	scratch_load_b32 v93, off, s32 offset:200
	scratch_load_b32 v92, off, s32 offset:204
	scratch_load_b32 v91, off, s32 offset:208
	scratch_load_b32 v90, off, s32 offset:212
	scratch_load_b32 v89, off, s32 offset:216
	scratch_load_b32 v88, off, s32 offset:220
	scratch_load_b32 v79, off, s32 offset:224
	scratch_load_b32 v78, off, s32 offset:228
	scratch_load_b32 v77, off, s32 offset:232
	scratch_load_b32 v76, off, s32 offset:236
	scratch_load_b32 v75, off, s32 offset:240
	scratch_load_b32 v74, off, s32 offset:244
	scratch_load_b32 v73, off, s32 offset:248
	scratch_load_b32 v72, off, s32 offset:252
	s_clause 0xf
	scratch_load_b32 v63, off, s32 offset:256
	scratch_load_b32 v62, off, s32 offset:260
	;; [unrolled: 1-line block ×16, first 2 shown]
	s_waitcnt vmcnt(0) lgkmcnt(0)
	s_setpc_b64 s[30:31]
.LBB277_1677:
	v_lshl_add_u32 v23, v64, 2, v25
	ds_load_b32 v23, v23
	s_waitcnt lgkmcnt(0)
	v_add_f32_e32 v0, v23, v0
	s_or_b32 exec_lo, exec_lo, s0
	s_and_saveexec_b32 s0, vcc_lo
	s_cbranch_execz .LBB277_1621
.LBB277_1678:
	v_lshl_add_u32 v23, v64, 2, v25
	ds_load_b32 v23, v23 offset:16
	s_waitcnt lgkmcnt(0)
	v_add_f32_e32 v1, v23, v1
	s_or_b32 exec_lo, exec_lo, s0
	s_and_saveexec_b32 s0, vcc_lo
	s_cbranch_execz .LBB277_1622
.LBB277_1679:
	v_lshl_add_u32 v23, v64, 2, v25
	ds_load_b32 v23, v23 offset:32
	s_waitcnt lgkmcnt(0)
	v_add_f32_e32 v2, v23, v2
	s_or_b32 exec_lo, exec_lo, s0
	s_and_saveexec_b32 s0, vcc_lo
	s_cbranch_execz .LBB277_1623
.LBB277_1680:
	v_lshl_add_u32 v23, v64, 2, v25
	ds_load_b32 v23, v23 offset:48
	s_waitcnt lgkmcnt(0)
	v_add_f32_e32 v3, v23, v3
	s_or_b32 exec_lo, exec_lo, s0
	s_and_saveexec_b32 s0, vcc_lo
	s_cbranch_execz .LBB277_1624
.LBB277_1681:
	v_lshl_add_u32 v23, v64, 2, v25
	ds_load_b32 v23, v23 offset:64
	s_waitcnt lgkmcnt(0)
	v_add_f32_e32 v4, v23, v4
	s_or_b32 exec_lo, exec_lo, s0
	s_and_saveexec_b32 s0, vcc_lo
	s_cbranch_execz .LBB277_1625
.LBB277_1682:
	v_lshl_add_u32 v23, v64, 2, v25
	ds_load_b32 v23, v23 offset:80
	s_waitcnt lgkmcnt(0)
	v_add_f32_e32 v5, v23, v5
	s_or_b32 exec_lo, exec_lo, s0
	s_and_saveexec_b32 s0, vcc_lo
	s_cbranch_execz .LBB277_1626
.LBB277_1683:
	v_lshl_add_u32 v23, v64, 2, v25
	ds_load_b32 v23, v23 offset:96
	s_waitcnt lgkmcnt(0)
	v_add_f32_e32 v6, v23, v6
	s_or_b32 exec_lo, exec_lo, s0
	s_and_saveexec_b32 s0, vcc_lo
	s_cbranch_execz .LBB277_1627
.LBB277_1684:
	v_lshl_add_u32 v23, v64, 2, v25
	ds_load_b32 v23, v23 offset:112
	s_waitcnt lgkmcnt(0)
	v_add_f32_e32 v7, v23, v7
	s_or_b32 exec_lo, exec_lo, s0
	s_and_saveexec_b32 s0, vcc_lo
	s_cbranch_execz .LBB277_1628
.LBB277_1685:
	v_lshl_add_u32 v23, v64, 2, v25
	ds_load_b32 v23, v23 offset:128
	s_waitcnt lgkmcnt(0)
	v_add_f32_e32 v8, v23, v8
	s_or_b32 exec_lo, exec_lo, s0
	s_and_saveexec_b32 s0, vcc_lo
	s_cbranch_execz .LBB277_1629
.LBB277_1686:
	v_lshl_add_u32 v23, v64, 2, v25
	ds_load_b32 v23, v23 offset:144
	s_waitcnt lgkmcnt(0)
	v_add_f32_e32 v9, v23, v9
	s_or_b32 exec_lo, exec_lo, s0
	s_and_saveexec_b32 s0, vcc_lo
	s_cbranch_execz .LBB277_1630
.LBB277_1687:
	v_lshl_add_u32 v23, v64, 2, v25
	ds_load_b32 v23, v23 offset:160
	s_waitcnt lgkmcnt(0)
	v_add_f32_e32 v10, v23, v10
	s_or_b32 exec_lo, exec_lo, s0
	s_and_saveexec_b32 s0, vcc_lo
	s_cbranch_execz .LBB277_1631
.LBB277_1688:
	v_lshl_add_u32 v23, v64, 2, v25
	ds_load_b32 v23, v23 offset:176
	s_waitcnt lgkmcnt(0)
	v_add_f32_e32 v11, v23, v11
	s_or_b32 exec_lo, exec_lo, s0
	s_and_saveexec_b32 s0, vcc_lo
	s_cbranch_execz .LBB277_1632
.LBB277_1689:
	v_lshl_add_u32 v23, v64, 2, v25
	ds_load_b32 v23, v23 offset:192
	s_waitcnt lgkmcnt(0)
	v_add_f32_e32 v12, v23, v12
	s_or_b32 exec_lo, exec_lo, s0
	s_and_saveexec_b32 s0, vcc_lo
	s_cbranch_execz .LBB277_1633
.LBB277_1690:
	v_lshl_add_u32 v23, v64, 2, v25
	ds_load_b32 v23, v23 offset:208
	s_waitcnt lgkmcnt(0)
	v_add_f32_e32 v13, v23, v13
	s_or_b32 exec_lo, exec_lo, s0
	s_and_saveexec_b32 s0, vcc_lo
	s_cbranch_execz .LBB277_1634
.LBB277_1691:
	v_lshl_add_u32 v23, v64, 2, v25
	ds_load_b32 v23, v23 offset:224
	s_waitcnt lgkmcnt(0)
	v_add_f32_e32 v14, v23, v14
	s_or_b32 exec_lo, exec_lo, s0
	s_and_saveexec_b32 s0, vcc_lo
	s_cbranch_execz .LBB277_1635
.LBB277_1692:
	v_lshl_add_u32 v23, v64, 2, v25
	ds_load_b32 v23, v23 offset:240
	s_waitcnt lgkmcnt(0)
	v_add_f32_e32 v15, v23, v15
	s_or_b32 exec_lo, exec_lo, s0
	s_and_saveexec_b32 s0, vcc_lo
	s_cbranch_execz .LBB277_1636
.LBB277_1693:
	v_lshl_add_u32 v23, v64, 2, v25
	ds_load_b32 v23, v23 offset:256
	s_waitcnt lgkmcnt(0)
	v_add_f32_e32 v16, v23, v16
	s_or_b32 exec_lo, exec_lo, s0
	s_and_saveexec_b32 s0, vcc_lo
	s_cbranch_execz .LBB277_1637
.LBB277_1694:
	v_lshl_add_u32 v23, v64, 2, v25
	ds_load_b32 v23, v23 offset:272
	s_waitcnt lgkmcnt(0)
	v_add_f32_e32 v17, v23, v17
	s_or_b32 exec_lo, exec_lo, s0
	s_and_saveexec_b32 s0, vcc_lo
	s_cbranch_execz .LBB277_1638
.LBB277_1695:
	v_lshl_add_u32 v23, v64, 2, v25
	ds_load_b32 v23, v23 offset:288
	s_waitcnt lgkmcnt(0)
	v_add_f32_e32 v18, v23, v18
	s_or_b32 exec_lo, exec_lo, s0
	s_and_saveexec_b32 s0, vcc_lo
	s_cbranch_execz .LBB277_1639
.LBB277_1696:
	v_lshl_add_u32 v23, v64, 2, v25
	ds_load_b32 v23, v23 offset:304
	s_waitcnt lgkmcnt(0)
	v_add_f32_e32 v19, v23, v19
	s_or_b32 exec_lo, exec_lo, s0
	s_and_saveexec_b32 s0, vcc_lo
	s_cbranch_execz .LBB277_1640
.LBB277_1697:
	v_lshl_add_u32 v23, v64, 2, v25
	ds_load_b32 v23, v23 offset:320
	s_waitcnt lgkmcnt(0)
	v_add_f32_e32 v20, v23, v20
	s_or_b32 exec_lo, exec_lo, s0
	s_and_saveexec_b32 s0, vcc_lo
	s_cbranch_execz .LBB277_1641
.LBB277_1698:
	v_lshl_add_u32 v23, v64, 2, v25
	ds_load_b32 v23, v23 offset:336
	s_waitcnt lgkmcnt(0)
	v_add_f32_e32 v21, v23, v21
	s_or_b32 exec_lo, exec_lo, s0
	s_and_saveexec_b32 s0, vcc_lo
	s_cbranch_execz .LBB277_1642
.LBB277_1699:
	v_lshl_add_u32 v23, v64, 2, v25
	ds_load_b32 v23, v23 offset:352
	s_waitcnt lgkmcnt(0)
	v_add_f32_e32 v22, v23, v22
	s_or_b32 exec_lo, exec_lo, s0
	s_and_saveexec_b32 s0, vcc_lo
	s_cbranch_execnz .LBB277_1643
	s_branch .LBB277_1644
.LBB277_1700:
	ds_load_b32 v26, v25
	s_waitcnt lgkmcnt(0)
	v_add_f32_e32 v0, v26, v0
	s_or_b32 exec_lo, exec_lo, s0
	s_and_saveexec_b32 s0, vcc_lo
	s_cbranch_execz .LBB277_1650
.LBB277_1701:
	ds_load_b32 v26, v25 offset:16
	s_waitcnt lgkmcnt(0)
	v_add_f32_e32 v1, v26, v1
	s_or_b32 exec_lo, exec_lo, s0
	s_and_saveexec_b32 s0, vcc_lo
	s_cbranch_execz .LBB277_1651
.LBB277_1702:
	ds_load_b32 v26, v25 offset:32
	s_waitcnt lgkmcnt(0)
	v_add_f32_e32 v2, v26, v2
	s_or_b32 exec_lo, exec_lo, s0
	s_and_saveexec_b32 s0, vcc_lo
	s_cbranch_execz .LBB277_1652
.LBB277_1703:
	ds_load_b32 v26, v25 offset:48
	s_waitcnt lgkmcnt(0)
	v_add_f32_e32 v3, v26, v3
	s_or_b32 exec_lo, exec_lo, s0
	s_and_saveexec_b32 s0, vcc_lo
	s_cbranch_execz .LBB277_1653
.LBB277_1704:
	ds_load_b32 v26, v25 offset:64
	s_waitcnt lgkmcnt(0)
	v_add_f32_e32 v4, v26, v4
	s_or_b32 exec_lo, exec_lo, s0
	s_and_saveexec_b32 s0, vcc_lo
	s_cbranch_execz .LBB277_1654
.LBB277_1705:
	ds_load_b32 v26, v25 offset:80
	s_waitcnt lgkmcnt(0)
	v_add_f32_e32 v5, v26, v5
	s_or_b32 exec_lo, exec_lo, s0
	s_and_saveexec_b32 s0, vcc_lo
	s_cbranch_execz .LBB277_1655
.LBB277_1706:
	ds_load_b32 v26, v25 offset:96
	s_waitcnt lgkmcnt(0)
	v_add_f32_e32 v6, v26, v6
	s_or_b32 exec_lo, exec_lo, s0
	s_and_saveexec_b32 s0, vcc_lo
	s_cbranch_execz .LBB277_1656
.LBB277_1707:
	ds_load_b32 v26, v25 offset:112
	s_waitcnt lgkmcnt(0)
	v_add_f32_e32 v7, v26, v7
	s_or_b32 exec_lo, exec_lo, s0
	s_and_saveexec_b32 s0, vcc_lo
	s_cbranch_execz .LBB277_1657
.LBB277_1708:
	ds_load_b32 v26, v25 offset:128
	s_waitcnt lgkmcnt(0)
	v_add_f32_e32 v8, v26, v8
	s_or_b32 exec_lo, exec_lo, s0
	s_and_saveexec_b32 s0, vcc_lo
	s_cbranch_execz .LBB277_1658
.LBB277_1709:
	ds_load_b32 v26, v25 offset:144
	s_waitcnt lgkmcnt(0)
	v_add_f32_e32 v9, v26, v9
	s_or_b32 exec_lo, exec_lo, s0
	s_and_saveexec_b32 s0, vcc_lo
	s_cbranch_execz .LBB277_1659
.LBB277_1710:
	ds_load_b32 v26, v25 offset:160
	s_waitcnt lgkmcnt(0)
	v_add_f32_e32 v10, v26, v10
	s_or_b32 exec_lo, exec_lo, s0
	s_and_saveexec_b32 s0, vcc_lo
	s_cbranch_execz .LBB277_1660
.LBB277_1711:
	ds_load_b32 v26, v25 offset:176
	s_waitcnt lgkmcnt(0)
	v_add_f32_e32 v11, v26, v11
	s_or_b32 exec_lo, exec_lo, s0
	s_and_saveexec_b32 s0, vcc_lo
	s_cbranch_execz .LBB277_1661
.LBB277_1712:
	ds_load_b32 v26, v25 offset:192
	s_waitcnt lgkmcnt(0)
	v_add_f32_e32 v12, v26, v12
	s_or_b32 exec_lo, exec_lo, s0
	s_and_saveexec_b32 s0, vcc_lo
	s_cbranch_execz .LBB277_1662
.LBB277_1713:
	ds_load_b32 v26, v25 offset:208
	s_waitcnt lgkmcnt(0)
	v_add_f32_e32 v13, v26, v13
	s_or_b32 exec_lo, exec_lo, s0
	s_and_saveexec_b32 s0, vcc_lo
	s_cbranch_execz .LBB277_1663
.LBB277_1714:
	ds_load_b32 v26, v25 offset:224
	s_waitcnt lgkmcnt(0)
	v_add_f32_e32 v14, v26, v14
	s_or_b32 exec_lo, exec_lo, s0
	s_and_saveexec_b32 s0, vcc_lo
	s_cbranch_execz .LBB277_1664
.LBB277_1715:
	ds_load_b32 v26, v25 offset:240
	s_waitcnt lgkmcnt(0)
	v_add_f32_e32 v15, v26, v15
	s_or_b32 exec_lo, exec_lo, s0
	s_and_saveexec_b32 s0, vcc_lo
	s_cbranch_execz .LBB277_1665
.LBB277_1716:
	ds_load_b32 v26, v25 offset:256
	s_waitcnt lgkmcnt(0)
	v_add_f32_e32 v16, v26, v16
	s_or_b32 exec_lo, exec_lo, s0
	s_and_saveexec_b32 s0, vcc_lo
	s_cbranch_execz .LBB277_1666
.LBB277_1717:
	ds_load_b32 v26, v25 offset:272
	s_waitcnt lgkmcnt(0)
	v_add_f32_e32 v17, v26, v17
	s_or_b32 exec_lo, exec_lo, s0
	s_and_saveexec_b32 s0, vcc_lo
	s_cbranch_execz .LBB277_1667
.LBB277_1718:
	ds_load_b32 v26, v25 offset:288
	s_waitcnt lgkmcnt(0)
	v_add_f32_e32 v18, v26, v18
	s_or_b32 exec_lo, exec_lo, s0
	s_and_saveexec_b32 s0, vcc_lo
	s_cbranch_execz .LBB277_1668
.LBB277_1719:
	ds_load_b32 v26, v25 offset:304
	s_waitcnt lgkmcnt(0)
	v_add_f32_e32 v19, v26, v19
	s_or_b32 exec_lo, exec_lo, s0
	s_and_saveexec_b32 s0, vcc_lo
	s_cbranch_execz .LBB277_1669
.LBB277_1720:
	ds_load_b32 v26, v25 offset:320
	s_waitcnt lgkmcnt(0)
	v_add_f32_e32 v20, v26, v20
	s_or_b32 exec_lo, exec_lo, s0
	s_and_saveexec_b32 s0, vcc_lo
	s_cbranch_execz .LBB277_1670
.LBB277_1721:
	ds_load_b32 v26, v25 offset:336
	s_waitcnt lgkmcnt(0)
	v_add_f32_e32 v21, v26, v21
	s_or_b32 exec_lo, exec_lo, s0
	s_and_saveexec_b32 s0, vcc_lo
	s_cbranch_execz .LBB277_1671
.LBB277_1722:
	ds_load_b32 v26, v25 offset:352
	s_waitcnt lgkmcnt(0)
	v_add_f32_e32 v22, v26, v22
	s_or_b32 exec_lo, exec_lo, s0
	s_and_saveexec_b32 s0, vcc_lo
	s_cbranch_execnz .LBB277_1672
	s_branch .LBB277_1673
.Lfunc_end277:
	.size	_ZN4vllm22paged_attention_kernelIfhLi96ELi32ELi128ELNS_18Fp8KVCacheDataTypeE1ELb0ELi512EEEvPfS2_PT_PKS3_PKT0_S9_ifPKiSB_iPKfiiiSD_SD_iiiii, .Lfunc_end277-_ZN4vllm22paged_attention_kernelIfhLi96ELi32ELi128ELNS_18Fp8KVCacheDataTypeE1ELb0ELi512EEEvPfS2_PT_PKS3_PKT0_S9_ifPKiSB_iPKfiiiSD_SD_iiiii
                                        ; -- End function
	.section	.AMDGPU.csdata,"",@progbits
; Function info:
; codeLenInByte = 58704
; NumSgprs: 35
; NumVgprs: 192
; ScratchSize: 896
; MemoryBound: 0
	.section	.text._ZN4vllm25paged_attention_v2_kernelIfhLi96ELi32ELi128ELNS_18Fp8KVCacheDataTypeE1ELb0ELi512EEEvPfS2_PT_PKS3_PKT0_S9_ifPKiSB_iPKfiiiSD_SD_iiiii,"axG",@progbits,_ZN4vllm25paged_attention_v2_kernelIfhLi96ELi32ELi128ELNS_18Fp8KVCacheDataTypeE1ELb0ELi512EEEvPfS2_PT_PKS3_PKT0_S9_ifPKiSB_iPKfiiiSD_SD_iiiii,comdat
	.protected	_ZN4vllm25paged_attention_v2_kernelIfhLi96ELi32ELi128ELNS_18Fp8KVCacheDataTypeE1ELb0ELi512EEEvPfS2_PT_PKS3_PKT0_S9_ifPKiSB_iPKfiiiSD_SD_iiiii ; -- Begin function _ZN4vllm25paged_attention_v2_kernelIfhLi96ELi32ELi128ELNS_18Fp8KVCacheDataTypeE1ELb0ELi512EEEvPfS2_PT_PKS3_PKT0_S9_ifPKiSB_iPKfiiiSD_SD_iiiii
	.globl	_ZN4vllm25paged_attention_v2_kernelIfhLi96ELi32ELi128ELNS_18Fp8KVCacheDataTypeE1ELb0ELi512EEEvPfS2_PT_PKS3_PKT0_S9_ifPKiSB_iPKfiiiSD_SD_iiiii
	.p2align	8
	.type	_ZN4vllm25paged_attention_v2_kernelIfhLi96ELi32ELi128ELNS_18Fp8KVCacheDataTypeE1ELb0ELi512EEEvPfS2_PT_PKS3_PKT0_S9_ifPKiSB_iPKfiiiSD_SD_iiiii,@function
_ZN4vllm25paged_attention_v2_kernelIfhLi96ELi32ELi128ELNS_18Fp8KVCacheDataTypeE1ELb0ELi512EEEvPfS2_PT_PKS3_PKT0_S9_ifPKiSB_iPKfiiiSD_SD_iiiii: ; @_ZN4vllm25paged_attention_v2_kernelIfhLi96ELi32ELi128ELNS_18Fp8KVCacheDataTypeE1ELb0ELi512EEEvPfS2_PT_PKS3_PKT0_S9_ifPKiSB_iPKfiiiSD_SD_iiiii
; %bb.0:
	s_clause 0x5
	s_load_b256 s[24:31], s[0:1], 0x0
	s_load_b256 s[16:23], s[0:1], 0x20
	s_load_b64 s[2:3], s[0:1], 0x40
	s_load_b64 s[4:5], s[0:1], 0x50
	s_load_b32 s6, s[0:1], 0x48
	s_load_b256 s[36:43], s[0:1], 0x58
	v_mov_b32_e32 v31, v0
	s_add_u32 s8, s0, 0x90
	s_mov_b32 s12, s13
	s_addc_u32 s9, s1, 0
	s_mov_b32 s13, s14
	s_mov_b32 s14, s15
	s_movk_i32 s15, 0x51
	s_mov_b32 s32, 0
	s_getpc_b64 s[0:1]
	s_add_u32 s0, s0, _ZN4vllm22paged_attention_kernelIfhLi96ELi32ELi128ELNS_18Fp8KVCacheDataTypeE1ELb0ELi512EEEvPfS2_PT_PKS3_PKT0_S9_ifPKiSB_iPKfiiiSD_SD_iiiii@rel32@lo+4
	s_addc_u32 s1, s1, _ZN4vllm22paged_attention_kernelIfhLi96ELi32ELi128ELNS_18Fp8KVCacheDataTypeE1ELb0ELi512EEEvPfS2_PT_PKS3_PKT0_S9_ifPKiSB_iPKfiiiSD_SD_iiiii@rel32@hi+12
	s_waitcnt lgkmcnt(0)
	v_dual_mov_b32 v0, s24 :: v_dual_mov_b32 v1, s25
	v_dual_mov_b32 v2, s26 :: v_dual_mov_b32 v3, s27
	;; [unrolled: 1-line block ×14, first 2 shown]
	s_swappc_b64 s[30:31], s[0:1]
	s_endpgm
	.section	.rodata,"a",@progbits
	.p2align	6, 0x0
	.amdhsa_kernel _ZN4vllm25paged_attention_v2_kernelIfhLi96ELi32ELi128ELNS_18Fp8KVCacheDataTypeE1ELb0ELi512EEEvPfS2_PT_PKS3_PKT0_S9_ifPKiSB_iPKfiiiSD_SD_iiiii
		.amdhsa_group_segment_fixed_size 416
		.amdhsa_private_segment_fixed_size 896
		.amdhsa_kernarg_size 400
		.amdhsa_user_sgpr_count 13
		.amdhsa_user_sgpr_dispatch_ptr 0
		.amdhsa_user_sgpr_queue_ptr 0
		.amdhsa_user_sgpr_kernarg_segment_ptr 1
		.amdhsa_user_sgpr_dispatch_id 0
		.amdhsa_user_sgpr_private_segment_size 0
		.amdhsa_wavefront_size32 1
		.amdhsa_uses_dynamic_stack 0
		.amdhsa_enable_private_segment 1
		.amdhsa_system_sgpr_workgroup_id_x 1
		.amdhsa_system_sgpr_workgroup_id_y 1
		.amdhsa_system_sgpr_workgroup_id_z 1
		.amdhsa_system_sgpr_workgroup_info 0
		.amdhsa_system_vgpr_workitem_id 0
		.amdhsa_next_free_vgpr 192
		.amdhsa_next_free_sgpr 44
		.amdhsa_reserve_vcc 1
		.amdhsa_float_round_mode_32 0
		.amdhsa_float_round_mode_16_64 0
		.amdhsa_float_denorm_mode_32 3
		.amdhsa_float_denorm_mode_16_64 3
		.amdhsa_dx10_clamp 1
		.amdhsa_ieee_mode 1
		.amdhsa_fp16_overflow 0
		.amdhsa_workgroup_processor_mode 1
		.amdhsa_memory_ordered 1
		.amdhsa_forward_progress 0
		.amdhsa_shared_vgpr_count 0
		.amdhsa_exception_fp_ieee_invalid_op 0
		.amdhsa_exception_fp_denorm_src 0
		.amdhsa_exception_fp_ieee_div_zero 0
		.amdhsa_exception_fp_ieee_overflow 0
		.amdhsa_exception_fp_ieee_underflow 0
		.amdhsa_exception_fp_ieee_inexact 0
		.amdhsa_exception_int_div_zero 0
	.end_amdhsa_kernel
	.section	.text._ZN4vllm25paged_attention_v2_kernelIfhLi96ELi32ELi128ELNS_18Fp8KVCacheDataTypeE1ELb0ELi512EEEvPfS2_PT_PKS3_PKT0_S9_ifPKiSB_iPKfiiiSD_SD_iiiii,"axG",@progbits,_ZN4vllm25paged_attention_v2_kernelIfhLi96ELi32ELi128ELNS_18Fp8KVCacheDataTypeE1ELb0ELi512EEEvPfS2_PT_PKS3_PKT0_S9_ifPKiSB_iPKfiiiSD_SD_iiiii,comdat
.Lfunc_end278:
	.size	_ZN4vllm25paged_attention_v2_kernelIfhLi96ELi32ELi128ELNS_18Fp8KVCacheDataTypeE1ELb0ELi512EEEvPfS2_PT_PKS3_PKT0_S9_ifPKiSB_iPKfiiiSD_SD_iiiii, .Lfunc_end278-_ZN4vllm25paged_attention_v2_kernelIfhLi96ELi32ELi128ELNS_18Fp8KVCacheDataTypeE1ELb0ELi512EEEvPfS2_PT_PKS3_PKT0_S9_ifPKiSB_iPKfiiiSD_SD_iiiii
                                        ; -- End function
	.section	.AMDGPU.csdata,"",@progbits
; Kernel info:
; codeLenInByte = 232
; NumSgprs: 46
; NumVgprs: 192
; ScratchSize: 896
; MemoryBound: 0
; FloatMode: 240
; IeeeMode: 1
; LDSByteSize: 416 bytes/workgroup (compile time only)
; SGPRBlocks: 5
; VGPRBlocks: 23
; NumSGPRsForWavesPerEU: 46
; NumVGPRsForWavesPerEU: 192
; Occupancy: 8
; WaveLimiterHint : 1
; COMPUTE_PGM_RSRC2:SCRATCH_EN: 1
; COMPUTE_PGM_RSRC2:USER_SGPR: 13
; COMPUTE_PGM_RSRC2:TRAP_HANDLER: 0
; COMPUTE_PGM_RSRC2:TGID_X_EN: 1
; COMPUTE_PGM_RSRC2:TGID_Y_EN: 1
; COMPUTE_PGM_RSRC2:TGID_Z_EN: 1
; COMPUTE_PGM_RSRC2:TIDIG_COMP_CNT: 0
	.text
	.p2align	2                               ; -- Begin function _ZN4vllm22paged_attention_kernelIfhLi112ELi32ELi128ELNS_18Fp8KVCacheDataTypeE1ELb0ELi512EEEvPfS2_PT_PKS3_PKT0_S9_ifPKiSB_iPKfiiiSD_SD_iiiii
	.type	_ZN4vllm22paged_attention_kernelIfhLi112ELi32ELi128ELNS_18Fp8KVCacheDataTypeE1ELb0ELi512EEEvPfS2_PT_PKS3_PKT0_S9_ifPKiSB_iPKfiiiSD_SD_iiiii,@function
_ZN4vllm22paged_attention_kernelIfhLi112ELi32ELi128ELNS_18Fp8KVCacheDataTypeE1ELb0ELi512EEEvPfS2_PT_PKS3_PKT0_S9_ifPKiSB_iPKfiiiSD_SD_iiiii: ; @_ZN4vllm22paged_attention_kernelIfhLi112ELi32ELi128ELNS_18Fp8KVCacheDataTypeE1ELb0ELi512EEEvPfS2_PT_PKS3_PKT0_S9_ifPKiSB_iPKfiiiSD_SD_iiiii
; %bb.0:
	s_waitcnt vmcnt(0) expcnt(0) lgkmcnt(0)
	s_clause 0x1f
	scratch_store_b32 off, v40, s32 offset:316
	; meta instruction
	scratch_store_b32 off, v41, s32 offset:312
	; meta instruction
	;; [unrolled: 2-line block ×31, first 2 shown]
	scratch_store_b32 off, v95, s32 offset:192
	s_clause 0x1f
	scratch_store_b32 off, v104, s32 offset:188
	; meta instruction
	scratch_store_b32 off, v105, s32 offset:184
	; meta instruction
	;; [unrolled: 2-line block ×31, first 2 shown]
	scratch_store_b32 off, v159, s32 offset:64
	s_clause 0xf
	scratch_store_b32 off, v168, s32 offset:60
	; meta instruction
	scratch_store_b32 off, v169, s32 offset:56
	; meta instruction
	;; [unrolled: 2-line block ×15, first 2 shown]
	scratch_store_b32 off, v191, s32
	s_mov_b32 s10, s13
	s_ashr_i32 s11, s13, 31
	v_mov_b32_e32 v32, v0
	s_lshl_b64 s[0:1], s[10:11], 2
	v_mov_b32_e32 v30, v1
	v_add_co_u32 v0, vcc_lo, v16, s0
	v_add_co_ci_u32_e32 v1, vcc_lo, s1, v17, vcc_lo
	s_clause 0x3
	scratch_store_b64 off, v[24:25], s32 offset:528
	scratch_store_b32 off, v22, s32 offset:520
	scratch_store_b32 off, v5, s32 offset:1004
	;; [unrolled: 1-line block ×3, first 2 shown]
	v_dual_mov_b32 v28, v3 :: v_dual_mov_b32 v29, v2
	flat_load_b32 v122, v[0:1]
	s_lshl_b32 s11, s14, 9
	s_mov_b32 s16, exec_lo
	s_waitcnt vmcnt(0) lgkmcnt(0)
	v_cmpx_lt_i32_e64 s11, v122
	s_cbranch_execz .LBB279_1948
; %bb.1:
	v_sub_nc_u32_e32 v0, 0, v12
	s_clause 0x1
	s_load_b32 s0, s[8:9], 0x10
	s_load_b32 s1, s[8:9], 0x0
	s_mov_b32 s6, s15
	v_mov_b32_e32 v141, 0
	v_max_i32_e32 v0, v12, v0
	s_delay_alu instid0(VALU_DEP_1) | instskip(SKIP_1) | instid1(VALU_DEP_2)
	v_cvt_f32_u32_e32 v1, v0
	v_sub_nc_u32_e32 v2, 0, v0
	v_rcp_iflag_f32_e32 v1, v1
	s_waitcnt lgkmcnt(0)
	s_lshr_b32 s0, s0, 16
	s_delay_alu instid0(SALU_CYCLE_1) | instskip(SKIP_3) | instid1(SALU_CYCLE_1)
	s_cmp_lg_u32 s0, 0
	s_waitcnt_depctr 0xfff
	v_mul_f32_e32 v1, 0x4f7ffffe, v1
	s_cselect_b32 s0, -1, 0
	s_cmp_lg_u32 s0, 0
	s_delay_alu instid0(VALU_DEP_1) | instskip(SKIP_3) | instid1(VALU_DEP_1)
	v_cvt_u32_f32_e32 v1, v1
	s_addc_u32 s15, s1, 0
	s_mov_b32 s1, exec_lo
	s_abs_i32 s0, s15
	v_mul_lo_u32 v2, v2, v1
	s_delay_alu instid0(VALU_DEP_1) | instskip(NEXT) | instid1(VALU_DEP_1)
	v_mul_hi_u32 v2, v1, v2
	v_add_nc_u32_e32 v1, v1, v2
	s_delay_alu instid0(VALU_DEP_1) | instskip(NEXT) | instid1(VALU_DEP_1)
	v_mul_hi_u32 v1, s0, v1
	v_mul_lo_u32 v2, v1, v0
	v_add_nc_u32_e32 v3, 1, v1
	s_delay_alu instid0(VALU_DEP_2) | instskip(SKIP_1) | instid1(VALU_DEP_1)
	v_sub_nc_u32_e32 v2, s0, v2
	s_abs_i32 s0, s12
	v_sub_nc_u32_e32 v4, v2, v0
	v_cmp_ge_u32_e32 vcc_lo, v2, v0
	s_delay_alu instid0(VALU_DEP_2) | instskip(SKIP_1) | instid1(VALU_DEP_2)
	v_dual_cndmask_b32 v1, v1, v3 :: v_dual_cndmask_b32 v2, v2, v4
	v_xor_b32_e32 v3, s15, v12
	v_add_nc_u32_e32 v4, 1, v1
	s_delay_alu instid0(VALU_DEP_3) | instskip(NEXT) | instid1(VALU_DEP_3)
	v_cmp_ge_u32_e32 vcc_lo, v2, v0
	v_ashrrev_i32_e32 v3, 31, v3
	s_delay_alu instid0(VALU_DEP_3) | instskip(NEXT) | instid1(VALU_DEP_1)
	v_cndmask_b32_e32 v0, v1, v4, vcc_lo
	v_xor_b32_e32 v0, v0, v3
	s_delay_alu instid0(VALU_DEP_1) | instskip(NEXT) | instid1(VALU_DEP_1)
	v_sub_nc_u32_e32 v3, v0, v3
	v_sub_nc_u32_e32 v0, 0, v3
	s_delay_alu instid0(VALU_DEP_1) | instskip(NEXT) | instid1(VALU_DEP_1)
	v_max_i32_e32 v2, v3, v0
	v_cvt_f32_u32_e32 v0, v2
	v_sub_nc_u32_e32 v1, 0, v2
	s_delay_alu instid0(VALU_DEP_2) | instskip(SKIP_2) | instid1(VALU_DEP_1)
	v_rcp_iflag_f32_e32 v0, v0
	s_waitcnt_depctr 0xfff
	v_mul_f32_e32 v0, 0x4f7ffffe, v0
	v_cvt_u32_f32_e32 v0, v0
	s_delay_alu instid0(VALU_DEP_1) | instskip(NEXT) | instid1(VALU_DEP_1)
	v_mul_lo_u32 v1, v1, v0
	v_mul_hi_u32 v1, v0, v1
	s_delay_alu instid0(VALU_DEP_1) | instskip(NEXT) | instid1(VALU_DEP_1)
	v_add_nc_u32_e32 v4, v0, v1
	v_mad_u64_u32 v[0:1], null, s0, v4, 0
	v_cmpx_ne_u64_e32 0, v[19:20]
	s_cbranch_execz .LBB279_3
; %bb.2:
	s_ashr_i32 s13, s12, 31
	s_delay_alu instid0(SALU_CYCLE_1) | instskip(NEXT) | instid1(SALU_CYCLE_1)
	s_lshl_b64 s[2:3], s[12:13], 2
	v_add_co_u32 v4, vcc_lo, v19, s2
	v_add_co_ci_u32_e32 v5, vcc_lo, s3, v20, vcc_lo
	flat_load_b32 v141, v[4:5]
.LBB279_3:
	s_or_b32 exec_lo, exec_lo, s1
	v_and_b32_e32 v12, 0x3ff, v31
	v_ashrrev_i32_e32 v0, 31, v3
	s_ashr_i32 s1, s12, 31
	s_mul_i32 s4, s12, 0x70
	s_delay_alu instid0(VALU_DEP_2) | instskip(SKIP_1) | instid1(SALU_CYCLE_1)
	v_cmp_gt_u32_e32 vcc_lo, 28, v12
	s_mov_b32 s2, exec_lo
	s_and_b32 s3, s2, vcc_lo
	scratch_store_b32 off, v12, s32 offset:992 ; 4-byte Folded Spill
	s_mov_b32 exec_lo, s3
	s_cbranch_execz .LBB279_5
; %bb.4:
	scratch_load_b32 v5, off, s32 offset:992 ; 4-byte Folded Reload
	v_mul_lo_u32 v3, s10, v21
	s_ashr_i32 s5, s4, 31
	s_delay_alu instid0(SALU_CYCLE_1) | instskip(NEXT) | instid1(VALU_DEP_1)
	s_lshl_b64 s[18:19], s[4:5], 2
	v_ashrrev_i32_e32 v4, 31, v3
	s_delay_alu instid0(VALU_DEP_1) | instskip(NEXT) | instid1(VALU_DEP_1)
	v_lshlrev_b64 v[3:4], 2, v[3:4]
	v_add_co_u32 v3, vcc_lo, v6, v3
	s_delay_alu instid0(VALU_DEP_2) | instskip(NEXT) | instid1(VALU_DEP_2)
	v_add_co_ci_u32_e32 v4, vcc_lo, v7, v4, vcc_lo
	v_add_co_u32 v3, vcc_lo, v3, s18
	s_delay_alu instid0(VALU_DEP_2) | instskip(SKIP_2) | instid1(VALU_DEP_1)
	v_add_co_ci_u32_e32 v4, vcc_lo, s19, v4, vcc_lo
	s_waitcnt vmcnt(0)
	v_lshlrev_b32_e32 v12, 4, v5
	v_add_co_u32 v3, vcc_lo, v3, v12
	s_delay_alu instid0(VALU_DEP_3)
	v_add_co_ci_u32_e32 v4, vcc_lo, 0, v4, vcc_lo
	flat_load_b128 v[3:6], v[3:4]
	s_waitcnt vmcnt(0) lgkmcnt(0)
	ds_store_b128 v12, v[3:6]
	scratch_load_b32 v12, off, s32 offset:992 ; 4-byte Folded Reload
.LBB279_5:
	s_or_b32 exec_lo, exec_lo, s2
	v_mul_lo_u32 v3, v1, v2
	v_add_nc_u32_e32 v5, 31, v122
	v_xor_b32_e32 v7, s1, v0
	s_lshl_b32 s13, s14, 4
	s_clause 0x1
	s_load_b32 s17, s[8:9], 0x14
	s_load_b32 s5, s[8:9], 0x8
	v_mul_lo_u32 v0, s10, v18
	s_mov_b32 s18, exec_lo
	v_mov_b32_e32 v123, 0xff7fffff
	v_sub_nc_u32_e32 v3, s0, v3
	s_add_i32 s0, s13, 16
	s_delay_alu instid0(VALU_DEP_1) | instskip(SKIP_1) | instid1(VALU_DEP_2)
	v_sub_nc_u32_e32 v6, v3, v2
	v_cmp_ge_u32_e32 vcc_lo, v3, v2
	v_dual_cndmask_b32 v3, v3, v6 :: v_dual_add_nc_u32 v4, 1, v1
	s_delay_alu instid0(VALU_DEP_1) | instskip(SKIP_1) | instid1(VALU_DEP_3)
	v_cndmask_b32_e32 v1, v1, v4, vcc_lo
	v_ashrrev_i32_e32 v4, 31, v5
	v_cmp_ge_u32_e32 vcc_lo, v3, v2
	s_delay_alu instid0(VALU_DEP_3) | instskip(NEXT) | instid1(VALU_DEP_3)
	v_add_nc_u32_e32 v6, 1, v1
	v_lshrrev_b32_e32 v4, 27, v4
	s_delay_alu instid0(VALU_DEP_1) | instskip(SKIP_3) | instid1(VALU_DEP_3)
	v_add_nc_u32_e32 v2, v5, v4
	s_waitcnt vmcnt(0)
	v_lshrrev_b32_e32 v4, 5, v12
	v_cndmask_b32_e32 v1, v1, v6, vcc_lo
	v_ashrrev_i32_e32 v18, 5, v2
	scratch_store_b32 off, v4, s32 offset:1000 ; 4-byte Folded Spill
	v_add_nc_u32_e32 v4, s13, v4
	v_xor_b32_e32 v1, v1, v7
	v_and_b32_e32 v2, 31, v12
	s_delay_alu instid0(VALU_DEP_3) | instskip(NEXT) | instid1(VALU_DEP_3)
	v_ashrrev_i32_e32 v5, 31, v4
	v_sub_nc_u32_e32 v3, v1, v7
	v_ashrrev_i32_e32 v1, 31, v0
	s_delay_alu instid0(VALU_DEP_2) | instskip(SKIP_1) | instid1(VALU_DEP_3)
	v_mul_lo_u32 v19, v3, v23
	v_min_i32_e32 v3, s0, v18
	v_lshlrev_b64 v[16:17], 2, v[0:1]
	v_lshlrev_b32_e32 v23, 2, v2
	s_clause 0x1
	scratch_store_b64 off, v[4:5], s32 offset:320
	scratch_store_b32 off, v3, s32 offset:524
	v_cmp_ge_i32_e64 s0, v4, v3
	scratch_store_b32 off, v2, s32 offset:996 ; 4-byte Folded Spill
	v_ashrrev_i32_e32 v69, 31, v19
	s_waitcnt lgkmcnt(0)
	s_waitcnt_vscnt null, 0x0
	s_barrier
	buffer_gl0_inv
	v_cmpx_lt_i32_e64 v4, v3
	s_cbranch_execz .LBB279_905
; %bb.6:
	s_clause 0x7
	scratch_store_b32 off, v18, s32 offset:1060
	scratch_store_b32 off, v29, s32 offset:1048
	;; [unrolled: 1-line block ×7, first 2 shown]
	scratch_store_b64 off, v[26:27], s32 offset:1020
	s_clause 0x1
	scratch_load_b32 v4, off, s32 offset:996
	scratch_load_b64 v[5:6], off, s32 offset:320
	v_add_co_u32 v1, vcc_lo, v8, v19
	v_add_co_ci_u32_e32 v2, vcc_lo, v9, v69, vcc_lo
	s_ashr_i32 s7, s6, 31
	s_getpc_b64 s[2:3]
	s_add_u32 s2, s2, llvm.amdgcn.dynlds.offset.table@rel32@lo+4
	s_addc_u32 s3, s3, llvm.amdgcn.dynlds.offset.table@rel32@hi+12
	s_lshl_b64 s[8:9], s[6:7], 2
	v_sub_nc_u32_e32 v140, 1, v122
	s_add_u32 s2, s8, s2
	s_addc_u32 s3, s9, s3
	s_mov_b32 s9, 0x7f800001
	s_load_b32 s2, s[2:3], 0x0
	v_mov_b32_e32 v79, 0
	s_clause 0x3
	scratch_store_b32 off, v15, s32 offset:1012
	scratch_store_b32 off, v14, s32 offset:1016
	scratch_store_b64 off, v[16:17], s32 offset:1052
	scratch_store_b32 off, v23, s32 offset:1072
	s_waitcnt vmcnt(1)
	v_dual_mov_b32 v123, 0xff7fffff :: v_dual_lshlrev_b32 v0, 4, v4
	s_delay_alu instid0(VALU_DEP_1)
	v_add_co_u32 v0, vcc_lo, v1, v0
	v_add_co_ci_u32_e32 v1, vcc_lo, 0, v2, vcc_lo
	v_cmp_neq_f32_e32 vcc_lo, 0, v141
	scratch_store_b64 off, v[0:1], s32 offset:536 ; 8-byte Folded Spill
	ds_load_b128 v[0:3], v79
	s_waitcnt lgkmcnt(0)
	scratch_store_b128 off, v[0:3], s32 offset:544 ; 16-byte Folded Spill
	ds_load_b128 v[0:3], v79 offset:16
	s_waitcnt lgkmcnt(0)
	scratch_store_b128 off, v[0:3], s32 offset:560 ; 16-byte Folded Spill
	ds_load_b128 v[0:3], v79 offset:32
	scratch_store_b32 off, v19, s32 offset:1064 ; 4-byte Folded Spill
	s_waitcnt lgkmcnt(0)
	scratch_store_b128 off, v[0:3], s32 offset:576 ; 16-byte Folded Spill
	ds_load_b128 v[0:3], v79 offset:48
	scratch_store_b32 off, v69, s32 offset:1068 ; 4-byte Folded Spill
	s_waitcnt lgkmcnt(0)
	scratch_store_b128 off, v[0:3], s32 offset:592 ; 16-byte Folded Spill
	ds_load_b128 v[0:3], v79 offset:64
	s_waitcnt lgkmcnt(0)
	scratch_store_b128 off, v[0:3], s32 offset:608 ; 16-byte Folded Spill
	ds_load_b128 v[0:3], v79 offset:80
	;; [unrolled: 3-line block ×10, first 2 shown]
	s_waitcnt lgkmcnt(0)
	scratch_store_b128 off, v[0:3], s32 offset:752 ; 16-byte Folded Spill
	scratch_load_b32 v3, off, s32 offset:1000 ; 4-byte Folded Reload
	s_waitcnt vmcnt(1)
	v_lshlrev_b64 v[0:1], 2, v[5:6]
	ds_load_b128 v[6:9], v79 offset:224
	v_add_co_u32 v0, s1, v16, v0
	s_delay_alu instid0(VALU_DEP_1) | instskip(NEXT) | instid1(VALU_DEP_2)
	v_add_co_ci_u32_e64 v1, s1, v17, v1, s1
	v_add_co_u32 v90, s1, v14, v0
	s_delay_alu instid0(VALU_DEP_1)
	v_add_co_ci_u32_e64 v91, s1, v15, v1, s1
	s_waitcnt lgkmcnt(0)
	scratch_store_b128 off, v[6:9], s32 offset:768 ; 16-byte Folded Spill
	ds_load_b128 v[6:9], v79 offset:240
	s_waitcnt lgkmcnt(0)
	scratch_store_b128 off, v[6:9], s32 offset:784 ; 16-byte Folded Spill
	ds_load_b128 v[6:9], v79 offset:256
	;; [unrolled: 3-line block ×13, first 2 shown]
	s_waitcnt lgkmcnt(0)
	scratch_store_b128 off, v[6:9], s32 offset:976 ; 16-byte Folded Spill
	s_waitcnt vmcnt(0)
	v_lshlrev_b32_e32 v2, 5, v3
	v_lshl_or_b32 v3, v3, 7, v23
	v_mov_b32_e32 v23, v5
	s_delay_alu instid0(VALU_DEP_3) | instskip(NEXT) | instid1(VALU_DEP_3)
	v_add3_u32 v10, s11, v2, v4
	v_add_nc_u32_e32 v22, s2, v3
	s_mov_b32 s2, 0
	s_brev_b32 s3, 1
	s_mov_b32 s7, s2
	s_branch .LBB279_11
.LBB279_7:                              ;   in Loop: Header=BB279_11 Depth=1
	s_or_b32 exec_lo, exec_lo, s21
	v_lshlrev_b32_e32 v5, 24, v8
	v_lshlrev_b32_e32 v8, 20, v78
	v_lshl_add_u32 v4, v4, 23, 0x3c000000
	s_delay_alu instid0(VALU_DEP_3) | instskip(NEXT) | instid1(VALU_DEP_1)
	v_and_b32_e32 v5, 0x80000000, v5
	v_or3_b32 v5, v8, v5, v4
	v_mov_b32_e32 v4, v79
.LBB279_8:                              ;   in Loop: Header=BB279_11 Depth=1
	s_or_b32 exec_lo, exec_lo, s8
.LBB279_9:                              ;   in Loop: Header=BB279_11 Depth=1
	s_delay_alu instid0(SALU_CYCLE_1)
	s_or_b32 exec_lo, exec_lo, s20
.LBB279_10:                             ;   in Loop: Header=BB279_11 Depth=1
	s_delay_alu instid0(SALU_CYCLE_1)
	s_or_b32 exec_lo, exec_lo, s19
	v_or_b32_e32 v8, v2, v106
	v_or_b32_e32 v3, v3, v107
	;; [unrolled: 1-line block ×4, first 2 shown]
	v_cmp_lt_i32_e64 s1, v10, v122
	v_mul_f32_e32 v78, v126, v8
	v_or_b32_e32 v8, v88, v110
	v_mul_f32_e32 v2, v126, v3
	v_or_b32_e32 v3, v89, v111
	v_mul_f32_e32 v107, v126, v9
	v_or_b32_e32 v9, v184, v188
	v_mul_f32_e32 v88, v126, v8
	v_or_b32_e32 v8, v169, v173
	v_mul_f32_e32 v3, v126, v3
	s_delay_alu instid0(VALU_DEP_4) | instskip(SKIP_1) | instid1(VALU_DEP_4)
	v_dual_mul_f32 v110, v126, v9 :: v_dual_add_nc_u32 v23, 4, v23
	v_or_b32_e32 v9, v124, v138
	v_mul_f32_e32 v89, v126, v8
	v_or_b32_e32 v8, v185, v189
	s_delay_alu instid0(VALU_DEP_1) | instskip(SKIP_3) | instid1(VALU_DEP_3)
	v_mul_f32_e32 v106, v126, v8
	v_or_b32_e32 v8, v125, v139
	v_mul_f32_e32 v125, v126, v9
	v_or_b32_e32 v9, v142, v154
	;; [unrolled: 2-line block ×3, first 2 shown]
	s_delay_alu instid0(VALU_DEP_3) | instskip(SKIP_1) | instid1(VALU_DEP_3)
	v_mul_f32_e32 v127, v126, v9
	v_or_b32_e32 v9, v92, v104
	v_mul_f32_e32 v124, v126, v8
	v_or_b32_e32 v8, v93, v105
	s_delay_alu instid0(VALU_DEP_3) | instskip(SKIP_1) | instid1(VALU_DEP_3)
	v_mul_f32_e32 v104, v126, v9
	v_or_b32_e32 v9, v108, v120
	v_mul_f32_e32 v92, v126, v8
	v_or_b32_e32 v8, v109, v121
	;; [unrolled: 5-line block ×3, first 2 shown]
	s_delay_alu instid0(VALU_DEP_3) | instskip(SKIP_2) | instid1(VALU_DEP_4)
	v_mul_f32_e32 v73, v126, v9
	v_or_b32_e32 v9, v20, v18
	v_mul_f32_e32 v4, v126, v4
	v_mul_f32_e32 v72, v126, v8
	v_or_b32_e32 v8, v21, v19
	s_delay_alu instid0(VALU_DEP_4) | instskip(SKIP_1) | instid1(VALU_DEP_3)
	v_mul_f32_e32 v21, v126, v9
	v_or_b32_e32 v9, v56, v58
	v_mul_f32_e32 v20, v126, v8
	v_or_b32_e32 v8, v57, v59
	s_delay_alu instid0(VALU_DEP_3) | instskip(SKIP_1) | instid1(VALU_DEP_3)
	v_mul_f32_e32 v56, v126, v9
	v_or_b32_e32 v9, v60, v62
	v_mul_f32_e32 v58, v126, v8
	v_or_b32_e32 v8, v61, v63
	s_delay_alu instid0(VALU_DEP_3) | instskip(SKIP_1) | instid1(VALU_DEP_3)
	;; [unrolled: 5-line block ×24, first 2 shown]
	v_mul_f32_e32 v35, v126, v9
	v_or_b32_e32 v9, v16, v24
	v_mul_f32_e32 v33, v126, v8
	v_or_b32_e32 v8, v17, v25
	scratch_load_b64 v[24:25], off, s32 offset:512 ; 8-byte Folded Reload
	v_mul_f32_e32 v18, v126, v9
	v_or_b32_e32 v9, v28, v30
	v_mul_f32_e32 v16, v126, v8
	v_or_b32_e32 v8, v29, v31
	s_delay_alu instid0(VALU_DEP_3) | instskip(NEXT) | instid1(VALU_DEP_2)
	v_mul_f32_e32 v19, v126, v9
	v_mul_f32_e32 v17, v126, v8
	s_waitcnt vmcnt(0)
	v_or_b32_e32 v8, v27, v25
	v_or_b32_e32 v9, v26, v24
	scratch_load_b64 v[24:25], off, s32 offset:496 ; 8-byte Folded Reload
	v_mul_f32_e32 v26, v126, v8
	v_mul_f32_e32 v28, v126, v9
	scratch_load_b64 v[8:9], off, s32 offset:504 ; 8-byte Folded Reload
	s_waitcnt vmcnt(0)
	v_or_b32_e32 v7, v7, v9
	v_or_b32_e32 v6, v6, v8
	s_delay_alu instid0(VALU_DEP_2) | instskip(NEXT) | instid1(VALU_DEP_2)
	v_mul_f32_e32 v27, v126, v7
	v_mul_f32_e32 v29, v126, v6
	scratch_load_b64 v[6:7], off, s32 offset:488 ; 8-byte Folded Reload
	v_or_b32_e32 v1, v1, v25
	v_or_b32_e32 v0, v0, v24
	scratch_load_b64 v[24:25], off, s32 offset:480 ; 8-byte Folded Reload
	v_mul_f32_e32 v30, v126, v1
	v_mul_f32_e32 v31, v126, v0
	s_waitcnt vmcnt(1)
	v_or_b32_e32 v0, v15, v7
	v_or_b32_e32 v1, v14, v6
	scratch_load_b64 v[6:7], off, s32 offset:472 ; 8-byte Folded Reload
	v_mul_f32_e32 v14, v126, v0
	v_mul_f32_e32 v15, v126, v1
	s_waitcnt vmcnt(1)
	v_or_b32_e32 v0, v191, v25
	v_or_b32_e32 v1, v190, v24
	scratch_load_b64 v[24:25], off, s32 offset:464 ; 8-byte Folded Reload
	v_mul_f32_e32 v36, v126, v0
	v_mul_f32_e32 v37, v126, v1
	s_waitcnt vmcnt(1)
	v_or_b32_e32 v0, v12, v7
	v_or_b32_e32 v1, v11, v6
	scratch_load_b64 v[6:7], off, s32 offset:456 ; 8-byte Folded Reload
	v_mul_f32_e32 v12, v126, v0
	v_mul_f32_e32 v38, v126, v1
	s_waitcnt vmcnt(1)
	v_or_b32_e32 v0, v175, v25
	v_or_b32_e32 v1, v174, v24
	scratch_load_b64 v[24:25], off, s32 offset:448 ; 8-byte Folded Reload
	v_mul_f32_e32 v39, v126, v0
	v_mul_f32_e32 v52, v126, v1
	s_waitcnt vmcnt(1)
	v_or_b32_e32 v0, v187, v7
	v_or_b32_e32 v1, v186, v6
	scratch_load_b64 v[6:7], off, s32 offset:440 ; 8-byte Folded Reload
	v_mul_f32_e32 v53, v126, v0
	v_mul_f32_e32 v54, v126, v1
	s_waitcnt vmcnt(1)
	v_or_b32_e32 v0, v159, v25
	v_or_b32_e32 v1, v158, v24
	scratch_load_b64 v[24:25], off, s32 offset:432 ; 8-byte Folded Reload
	v_mul_f32_e32 v55, v126, v0
	v_mul_f32_e32 v68, v126, v1
	s_waitcnt vmcnt(1)
	v_or_b32_e32 v0, v171, v7
	v_or_b32_e32 v1, v170, v6
	scratch_load_b64 v[6:7], off, s32 offset:424 ; 8-byte Folded Reload
	v_mul_f32_e32 v69, v126, v0
	v_mul_f32_e32 v70, v126, v1
	s_waitcnt vmcnt(1)
	v_or_b32_e32 v0, v153, v25
	v_or_b32_e32 v1, v152, v24
	s_delay_alu instid0(VALU_DEP_2) | instskip(NEXT) | instid1(VALU_DEP_2)
	v_mul_f32_e32 v71, v126, v0
	v_mul_f32_e32 v84, v126, v1
	s_waitcnt vmcnt(0)
	v_or_b32_e32 v0, v157, v7
	v_or_b32_e32 v1, v156, v6
	s_clause 0x1
	scratch_load_b64 v[24:25], off, s32 offset:416
	scratch_load_b64 v[6:7], off, s32 offset:392
	v_mul_f32_e32 v85, v126, v0
	v_mul_f32_e32 v86, v126, v1
	s_waitcnt vmcnt(0)
	v_or_b32_e32 v0, v7, v25
	v_or_b32_e32 v1, v6, v24
	s_clause 0x1
	scratch_load_b64 v[6:7], off, s32 offset:400
	scratch_load_b64 v[8:9], off, s32 offset:408
	v_mul_f32_e32 v87, v126, v0
	v_mul_f32_e32 v100, v126, v1
	s_waitcnt vmcnt(0)
	v_or_b32_e32 v0, v9, v7
	v_or_b32_e32 v1, v8, v6
	s_clause 0x1
	scratch_load_b64 v[24:25], off, s32 offset:384
	scratch_load_b64 v[6:7], off, s32 offset:360
	v_mul_f32_e32 v101, v126, v0
	v_mul_f32_e32 v102, v126, v1
	s_waitcnt vmcnt(0)
	v_or_b32_e32 v0, v7, v25
	v_or_b32_e32 v1, v6, v24
	s_clause 0x1
	scratch_load_b64 v[6:7], off, s32 offset:368
	scratch_load_b64 v[24:25], off, s32 offset:376
	v_mul_f32_e32 v8, v126, v0
	v_mul_f32_e32 v9, v126, v1
	s_waitcnt vmcnt(0)
	v_or_b32_e32 v0, v25, v7
	v_or_b32_e32 v1, v24, v6
	s_clause 0x1
	scratch_load_b64 v[24:25], off, s32 offset:352
	scratch_load_b64 v[6:7], off, s32 offset:328
	v_mul_f32_e32 v11, v126, v0
	v_mul_f32_e32 v103, v126, v1
	s_waitcnt vmcnt(0)
	v_or_b32_e32 v0, v7, v25
	v_or_b32_e32 v1, v6, v24
	s_clause 0x3
	scratch_load_b64 v[6:7], off, s32 offset:336
	scratch_load_b64 v[24:25], off, s32 offset:344
	scratch_load_b128 v[148:151], off, s32 offset:560
	scratch_load_b128 v[132:135], off, s32 offset:544
	v_mul_f32_e32 v116, v126, v0
	v_mul_f32_e32 v117, v126, v1
	s_waitcnt vmcnt(2)
	v_or_b32_e32 v1, v24, v6
	v_or_b32_e32 v0, v25, v7
	s_waitcnt vmcnt(1)
	v_dual_mul_f32 v8, v149, v8 :: v_dual_mul_f32 v11, v151, v11
	v_or_b32_e32 v7, v136, v76
	v_mul_f32_e32 v119, v126, v1
	v_or_b32_e32 v1, v137, v77
	s_waitcnt vmcnt(0)
	v_fmac_f32_e32 v8, v133, v116
	v_mul_f32_e32 v118, v126, v0
	v_add_nc_u32_e32 v0, v140, v10
	v_add_nc_u32_e32 v10, 0x80, v10
	v_mul_f32_e32 v6, v126, v1
	v_or_b32_e32 v1, v5, v95
	v_mul_f32_e32 v5, v148, v9
	v_mul_f32_e32 v9, v150, v103
	v_fmac_f32_e32 v11, v135, v118
	v_cvt_f32_i32_e32 v0, v0
	v_mul_f32_e32 v7, v126, v7
	v_fmac_f32_e32 v5, v132, v117
	v_fmac_f32_e32 v9, v134, v119
	scratch_load_b128 v[116:119], off, s32 offset:576 ; 16-byte Folded Reload
	v_dual_mul_f32 v0, v141, v0 :: v_dual_mul_f32 v1, v126, v1
	s_delay_alu instid0(VALU_DEP_1)
	v_cndmask_b32_e32 v0, 0, v0, vcc_lo
	s_waitcnt vmcnt(0)
	v_fmac_f32_e32 v5, v116, v100
	v_fmac_f32_e32 v9, v118, v102
	;; [unrolled: 1-line block ×3, first 2 shown]
	scratch_load_b128 v[100:103], off, s32 offset:592 ; 16-byte Folded Reload
	s_waitcnt vmcnt(0)
	v_dual_fmac_f32 v8, v117, v87 :: v_dual_fmac_f32 v5, v100, v84
	v_fmac_f32_e32 v9, v102, v86
	v_fmac_f32_e32 v11, v103, v85
	scratch_load_b128 v[84:87], off, s32 offset:608 ; 16-byte Folded Reload
	s_waitcnt vmcnt(0)
	v_dual_fmac_f32 v8, v101, v71 :: v_dual_fmac_f32 v5, v84, v68
	v_fmac_f32_e32 v9, v86, v70
	v_fmac_f32_e32 v11, v87, v69
	;; [unrolled: 5-line block ×3, first 2 shown]
	scratch_load_b128 v[52:55], off, s32 offset:640 ; 16-byte Folded Reload
	s_waitcnt vmcnt(0)
	v_dual_fmac_f32 v8, v69, v39 :: v_dual_fmac_f32 v5, v52, v37
	s_delay_alu instid0(VALU_DEP_1)
	v_dual_fmac_f32 v8, v53, v36 :: v_dual_fmac_f32 v9, v54, v38
	scratch_load_b128 v[36:39], off, s32 offset:656 ; 16-byte Folded Reload
	v_fmac_f32_e32 v11, v55, v12
	s_waitcnt vmcnt(0)
	v_dual_fmac_f32 v5, v36, v31 :: v_dual_fmac_f32 v8, v37, v30
	v_fmac_f32_e32 v9, v38, v15
	s_delay_alu instid0(VALU_DEP_3)
	v_fmac_f32_e32 v11, v39, v14
	scratch_load_b128 v[36:39], off, s32 offset:672 ; 16-byte Folded Reload
	s_waitcnt vmcnt(0)
	v_dual_fmac_f32 v5, v36, v28 :: v_dual_fmac_f32 v8, v37, v26
	v_fmac_f32_e32 v9, v38, v29
	v_fmac_f32_e32 v11, v39, v27
	scratch_load_b128 v[26:29], off, s32 offset:688 ; 16-byte Folded Reload
	s_waitcnt vmcnt(0)
	v_dual_fmac_f32 v8, v27, v16 :: v_dual_fmac_f32 v11, v29, v17
	scratch_load_b128 v[14:17], off, s32 offset:704 ; 16-byte Folded Reload
	v_fmac_f32_e32 v5, v26, v18
	v_fmac_f32_e32 v9, v28, v19
	s_waitcnt vmcnt(0)
	s_delay_alu instid0(VALU_DEP_2) | instskip(NEXT) | instid1(VALU_DEP_2)
	v_dual_fmac_f32 v5, v14, v34 :: v_dual_fmac_f32 v8, v15, v32
	v_fmac_f32_e32 v9, v16, v35
	v_fmac_f32_e32 v11, v17, v33
	scratch_load_b128 v[14:17], off, s32 offset:720 ; 16-byte Folded Reload
	s_waitcnt vmcnt(0)
	v_dual_fmac_f32 v5, v14, v50 :: v_dual_fmac_f32 v8, v15, v48
	v_fmac_f32_e32 v9, v16, v51
	v_fmac_f32_e32 v11, v17, v49
	scratch_load_b128 v[14:17], off, s32 offset:736 ; 16-byte Folded Reload
	s_waitcnt vmcnt(0)
	;; [unrolled: 5-line block ×13, first 2 shown]
	v_fmac_f32_e32 v5, v14, v104
	v_dual_fmac_f32 v8, v15, v92 :: v_dual_fmac_f32 v9, v16, v105
	v_fmac_f32_e32 v11, v17, v93
	scratch_load_b128 v[14:17], off, s32 offset:928 ; 16-byte Folded Reload
	s_waitcnt vmcnt(0)
	v_dual_fmac_f32 v5, v14, v125 :: v_dual_fmac_f32 v8, v15, v111
	v_fmac_f32_e32 v9, v16, v127
	v_fmac_f32_e32 v11, v17, v124
	scratch_load_b128 v[14:17], off, s32 offset:944 ; 16-byte Folded Reload
	s_waitcnt vmcnt(0)
	v_dual_fmac_f32 v5, v14, v107 :: v_dual_fmac_f32 v8, v15, v89
	v_fmac_f32_e32 v9, v16, v110
	v_fmac_f32_e32 v11, v17, v106
	scratch_load_b128 v[14:17], off, s32 offset:960 ; 16-byte Folded Reload
	s_waitcnt vmcnt(0)
	v_fmac_f32_e32 v5, v14, v78
	v_dual_fmac_f32 v8, v15, v2 :: v_dual_fmac_f32 v9, v16, v88
	v_fmac_f32_e32 v11, v17, v3
	scratch_load_b128 v[14:17], off, s32 offset:976 ; 16-byte Folded Reload
	s_waitcnt vmcnt(0)
	v_dual_fmac_f32 v5, v14, v7 :: v_dual_fmac_f32 v8, v15, v6
	v_fmac_f32_e32 v9, v16, v4
	v_fmac_f32_e32 v11, v17, v1
	s_delay_alu instid0(VALU_DEP_3) | instskip(NEXT) | instid1(VALU_DEP_1)
	v_add_f32_e32 v1, v5, v8
	v_add_f32_e32 v1, v9, v1
	s_delay_alu instid0(VALU_DEP_1) | instskip(NEXT) | instid1(VALU_DEP_1)
	v_add_f32_e32 v1, v11, v1
	v_fmac_f32_e32 v0, v1, v13
	s_delay_alu instid0(VALU_DEP_1) | instskip(SKIP_2) | instid1(VALU_DEP_1)
	v_cndmask_b32_e64 v1, 0, v0, s1
	ds_store_b32 v22, v1
	v_dual_max_f32 v1, v123, v123 :: v_dual_add_nc_u32 v22, 0x200, v22
	v_max_f32_e32 v0, v1, v0
	s_delay_alu instid0(VALU_DEP_1) | instskip(SKIP_2) | instid1(VALU_DEP_1)
	v_cndmask_b32_e64 v123, v123, v0, s1
	scratch_load_b32 v0, off, s32 offset:524 ; 4-byte Folded Reload
	v_add_co_u32 v90, s1, v90, 16
	v_add_co_ci_u32_e64 v91, s1, 0, v91, s1
	s_waitcnt vmcnt(0)
	v_cmp_ge_i32_e64 s1, v23, v0
	s_delay_alu instid0(VALU_DEP_1) | instskip(NEXT) | instid1(SALU_CYCLE_1)
	s_or_b32 s7, s1, s7
	s_and_not1_b32 exec_lo, exec_lo, s7
	s_cbranch_execz .LBB279_904
.LBB279_11:                             ; =>This Inner Loop Header: Depth=1
	flat_load_b32 v0, v[90:91]
	s_clause 0x1
	scratch_load_b32 v1, off, s32 offset:520
	scratch_load_b64 v[2:3], off, s32 offset:536
	s_mov_b32 s8, exec_lo
	s_waitcnt vmcnt(0) lgkmcnt(0)
	v_mad_i64_i32 v[136:137], null, v0, v1, v[2:3]
	flat_load_b32 v0, v[136:137]
	scratch_load_b64 v[1:2], off, s32 offset:528 ; 8-byte Folded Reload
	v_mov_b32_e32 v24, 0
	v_mov_b32_e32 v25, 0
	s_waitcnt vmcnt(0)
	flat_load_b32 v126, v[1:2]
	s_waitcnt lgkmcnt(1)
	v_and_b32_e32 v1, 0xff, v0
	s_clause 0x1
	scratch_store_b64 off, v[24:25], s32 offset:328
	scratch_store_b64 off, v[24:25], s32 offset:352
	v_cmpx_ne_u16_e32 0, v1
	s_cbranch_execz .LBB279_19
; %bb.12:                               ;   in Loop: Header=BB279_11 Depth=1
	v_bfrev_b32_e32 v2, 1
	v_mov_b32_e32 v3, 0
	s_mov_b32 s19, exec_lo
	scratch_store_b64 off, v[2:3], s32 offset:352 ; 8-byte Folded Spill
	v_cmpx_ne_u16_e32 0x80, v1
	s_cbranch_execz .LBB279_18
; %bb.13:                               ;   in Loop: Header=BB279_11 Depth=1
	v_mov_b32_e32 v3, 0x7f800001
	v_and_b32_e32 v2, 0x7f, v0
	v_mov_b32_e32 v4, 0
	s_mov_b32 s20, exec_lo
	scratch_store_b64 off, v[3:4], s32 offset:352 ; 8-byte Folded Spill
	v_cmpx_ne_u32_e32 0x7f, v2
	s_cbranch_execz .LBB279_17
; %bb.14:                               ;   in Loop: Header=BB279_11 Depth=1
	v_and_b32_e32 v78, 7, v0
	v_lshrrev_b32_e32 v1, 3, v2
	s_mov_b32 s21, exec_lo
	v_cmpx_gt_u32_e32 8, v2
; %bb.15:                               ;   in Loop: Header=BB279_11 Depth=1
	s_delay_alu instid0(VALU_DEP_3) | instskip(NEXT) | instid1(VALU_DEP_1)
	v_clz_i32_u32_e32 v1, v78
	v_min_u32_e32 v1, 32, v1
	s_delay_alu instid0(VALU_DEP_1) | instskip(SKIP_1) | instid1(VALU_DEP_2)
	v_subrev_nc_u32_e32 v2, 28, v1
	v_sub_nc_u32_e32 v1, 29, v1
	v_lshlrev_b64 v[2:3], v2, v[78:79]
	s_delay_alu instid0(VALU_DEP_1)
	v_and_b32_e32 v78, 7, v2
; %bb.16:                               ;   in Loop: Header=BB279_11 Depth=1
	s_or_b32 exec_lo, exec_lo, s21
	v_lshlrev_b32_e32 v2, 24, v0
	s_delay_alu instid0(VALU_DEP_2) | instskip(SKIP_1) | instid1(VALU_DEP_3)
	v_lshlrev_b32_e32 v3, 20, v78
	v_lshl_add_u32 v1, v1, 23, 0x3c000000
	v_and_b32_e32 v2, 0x80000000, v2
	s_delay_alu instid0(VALU_DEP_1)
	v_or3_b32 v78, v3, v2, v1
	scratch_store_b64 off, v[78:79], s32 offset:352 ; 8-byte Folded Spill
.LBB279_17:                             ;   in Loop: Header=BB279_11 Depth=1
	s_or_b32 exec_lo, exec_lo, s20
.LBB279_18:                             ;   in Loop: Header=BB279_11 Depth=1
	s_delay_alu instid0(SALU_CYCLE_1)
	s_or_b32 exec_lo, exec_lo, s19
.LBB279_19:                             ;   in Loop: Header=BB279_11 Depth=1
	s_delay_alu instid0(SALU_CYCLE_1) | instskip(SKIP_2) | instid1(VALU_DEP_1)
	s_or_b32 exec_lo, exec_lo, s8
	v_lshrrev_b16 v1, 8, v0
	s_mov_b32 s19, exec_lo
	v_cmpx_ne_u16_e32 0, v1
	s_cbranch_execz .LBB279_27
; %bb.20:                               ;   in Loop: Header=BB279_11 Depth=1
	v_dual_mov_b32 v2, s2 :: v_dual_mov_b32 v3, s3
	s_mov_b32 s20, exec_lo
	scratch_store_b64 off, v[2:3], s32 offset:328 ; 8-byte Folded Spill
	v_cmpx_ne_u16_e32 0x80, v1
	s_cbranch_execz .LBB279_26
; %bb.21:                               ;   in Loop: Header=BB279_11 Depth=1
	s_mov_b32 s8, s2
	v_and_b32_e32 v1, 0xffff, v1
	v_dual_mov_b32 v3, s8 :: v_dual_mov_b32 v4, s9
	s_mov_b32 s8, exec_lo
	s_delay_alu instid0(VALU_DEP_2)
	v_and_b32_e32 v2, 0x7f, v1
	scratch_store_b64 off, v[3:4], s32 offset:328 ; 8-byte Folded Spill
	v_cmpx_ne_u32_e32 0x7f, v2
	s_cbranch_execz .LBB279_25
; %bb.22:                               ;   in Loop: Header=BB279_11 Depth=1
	v_and_b32_e32 v78, 7, v1
	v_lshrrev_b32_e32 v1, 3, v2
	s_mov_b32 s21, exec_lo
	v_cmpx_gt_u32_e32 8, v2
; %bb.23:                               ;   in Loop: Header=BB279_11 Depth=1
	s_delay_alu instid0(VALU_DEP_3) | instskip(NEXT) | instid1(VALU_DEP_1)
	v_clz_i32_u32_e32 v1, v78
	v_min_u32_e32 v1, 32, v1
	s_delay_alu instid0(VALU_DEP_1) | instskip(SKIP_1) | instid1(VALU_DEP_2)
	v_subrev_nc_u32_e32 v2, 28, v1
	v_sub_nc_u32_e32 v1, 29, v1
	v_lshlrev_b64 v[2:3], v2, v[78:79]
	s_delay_alu instid0(VALU_DEP_1)
	v_and_b32_e32 v78, 7, v2
; %bb.24:                               ;   in Loop: Header=BB279_11 Depth=1
	s_or_b32 exec_lo, exec_lo, s21
	v_lshlrev_b32_e32 v2, 16, v0
	s_delay_alu instid0(VALU_DEP_2) | instskip(SKIP_1) | instid1(VALU_DEP_3)
	v_lshlrev_b32_e32 v3, 20, v78
	v_lshl_add_u32 v1, v1, 23, 0x3c000000
	v_and_b32_e32 v2, 0x80000000, v2
	s_delay_alu instid0(VALU_DEP_1)
	v_or3_b32 v2, v3, v2, v1
	v_mov_b32_e32 v1, v79
	scratch_store_b64 off, v[1:2], s32 offset:328 ; 8-byte Folded Spill
.LBB279_25:                             ;   in Loop: Header=BB279_11 Depth=1
	s_or_b32 exec_lo, exec_lo, s8
.LBB279_26:                             ;   in Loop: Header=BB279_11 Depth=1
	s_delay_alu instid0(SALU_CYCLE_1)
	s_or_b32 exec_lo, exec_lo, s20
.LBB279_27:                             ;   in Loop: Header=BB279_11 Depth=1
	s_delay_alu instid0(SALU_CYCLE_1)
	s_or_b32 exec_lo, exec_lo, s19
	v_lshrrev_b32_e32 v1, 16, v0
	v_mov_b32_e32 v3, 0
	v_mov_b32_e32 v4, 0
	s_mov_b32 s8, exec_lo
	s_clause 0x1
	scratch_store_b64 off, v[3:4], s32 offset:344
	scratch_store_b64 off, v[3:4], s32 offset:336
	v_and_b32_e32 v2, 0xff, v1
	s_delay_alu instid0(VALU_DEP_1)
	v_cmpx_ne_u16_e32 0, v2
	s_cbranch_execz .LBB279_35
; %bb.28:                               ;   in Loop: Header=BB279_11 Depth=1
	v_bfrev_b32_e32 v3, 1
	v_mov_b32_e32 v4, 0
	s_mov_b32 s19, exec_lo
	scratch_store_b64 off, v[3:4], s32 offset:336 ; 8-byte Folded Spill
	v_cmpx_ne_u16_e32 0x80, v2
	s_cbranch_execz .LBB279_34
; %bb.29:                               ;   in Loop: Header=BB279_11 Depth=1
	v_mov_b32_e32 v4, 0x7f800001
	v_bfe_u32 v3, v0, 16, 7
	v_mov_b32_e32 v5, 0
	s_mov_b32 s20, exec_lo
	scratch_store_b64 off, v[4:5], s32 offset:336 ; 8-byte Folded Spill
	v_cmpx_ne_u32_e32 0x7f, v3
	s_cbranch_execz .LBB279_33
; %bb.30:                               ;   in Loop: Header=BB279_11 Depth=1
	v_and_b32_e32 v78, 7, v1
	v_lshrrev_b32_e32 v2, 3, v3
	s_mov_b32 s21, exec_lo
	v_cmpx_gt_u32_e32 8, v3
; %bb.31:                               ;   in Loop: Header=BB279_11 Depth=1
	s_delay_alu instid0(VALU_DEP_3) | instskip(NEXT) | instid1(VALU_DEP_1)
	v_clz_i32_u32_e32 v2, v78
	v_min_u32_e32 v2, 32, v2
	s_delay_alu instid0(VALU_DEP_1) | instskip(SKIP_1) | instid1(VALU_DEP_2)
	v_subrev_nc_u32_e32 v3, 28, v2
	v_sub_nc_u32_e32 v2, 29, v2
	v_lshlrev_b64 v[3:4], v3, v[78:79]
	s_delay_alu instid0(VALU_DEP_1)
	v_and_b32_e32 v78, 7, v3
; %bb.32:                               ;   in Loop: Header=BB279_11 Depth=1
	s_or_b32 exec_lo, exec_lo, s21
	v_lshlrev_b32_e32 v1, 24, v1
	s_delay_alu instid0(VALU_DEP_2) | instskip(SKIP_1) | instid1(VALU_DEP_3)
	v_lshlrev_b32_e32 v3, 20, v78
	v_lshl_add_u32 v2, v2, 23, 0x3c000000
	v_and_b32_e32 v1, 0x80000000, v1
	s_delay_alu instid0(VALU_DEP_1)
	v_or3_b32 v78, v3, v1, v2
	scratch_store_b64 off, v[78:79], s32 offset:336 ; 8-byte Folded Spill
.LBB279_33:                             ;   in Loop: Header=BB279_11 Depth=1
	s_or_b32 exec_lo, exec_lo, s20
.LBB279_34:                             ;   in Loop: Header=BB279_11 Depth=1
	s_delay_alu instid0(SALU_CYCLE_1)
	s_or_b32 exec_lo, exec_lo, s19
.LBB279_35:                             ;   in Loop: Header=BB279_11 Depth=1
	s_delay_alu instid0(SALU_CYCLE_1) | instskip(NEXT) | instid1(SALU_CYCLE_1)
	s_or_b32 exec_lo, exec_lo, s8
	s_mov_b32 s19, exec_lo
	v_cmpx_lt_u32_e32 0xffffff, v0
	s_cbranch_execz .LBB279_43
; %bb.36:                               ;   in Loop: Header=BB279_11 Depth=1
	v_lshrrev_b32_e32 v1, 24, v0
	v_dual_mov_b32 v2, s2 :: v_dual_mov_b32 v3, s3
	s_mov_b32 s20, exec_lo
	scratch_store_b64 off, v[2:3], s32 offset:344 ; 8-byte Folded Spill
	v_cmpx_ne_u32_e32 0x80, v1
	s_cbranch_execz .LBB279_42
; %bb.37:                               ;   in Loop: Header=BB279_11 Depth=1
	s_mov_b32 s8, s2
	v_bfe_u32 v2, v0, 24, 7
	v_dual_mov_b32 v3, s8 :: v_dual_mov_b32 v4, s9
	s_mov_b32 s8, exec_lo
	scratch_store_b64 off, v[3:4], s32 offset:344 ; 8-byte Folded Spill
	v_cmpx_ne_u32_e32 0x7f, v2
	s_cbranch_execz .LBB279_41
; %bb.38:                               ;   in Loop: Header=BB279_11 Depth=1
	v_and_b32_e32 v78, 7, v1
	v_lshrrev_b32_e32 v0, 3, v2
	s_mov_b32 s21, exec_lo
	v_cmpx_gt_u32_e32 8, v2
; %bb.39:                               ;   in Loop: Header=BB279_11 Depth=1
	s_delay_alu instid0(VALU_DEP_3) | instskip(NEXT) | instid1(VALU_DEP_1)
	v_clz_i32_u32_e32 v0, v78
	v_min_u32_e32 v0, 32, v0
	s_delay_alu instid0(VALU_DEP_1) | instskip(SKIP_1) | instid1(VALU_DEP_2)
	v_subrev_nc_u32_e32 v2, 28, v0
	v_sub_nc_u32_e32 v0, 29, v0
	v_lshlrev_b64 v[2:3], v2, v[78:79]
	s_delay_alu instid0(VALU_DEP_1)
	v_and_b32_e32 v78, 7, v2
; %bb.40:                               ;   in Loop: Header=BB279_11 Depth=1
	s_or_b32 exec_lo, exec_lo, s21
	v_lshlrev_b32_e32 v1, 24, v1
	s_delay_alu instid0(VALU_DEP_2) | instskip(SKIP_1) | instid1(VALU_DEP_3)
	v_lshlrev_b32_e32 v2, 20, v78
	v_lshl_add_u32 v0, v0, 23, 0x3c000000
	v_and_b32_e32 v1, 0x80000000, v1
	s_delay_alu instid0(VALU_DEP_1)
	v_or3_b32 v1, v2, v1, v0
	v_mov_b32_e32 v0, v79
	scratch_store_b64 off, v[0:1], s32 offset:344 ; 8-byte Folded Spill
.LBB279_41:                             ;   in Loop: Header=BB279_11 Depth=1
	s_or_b32 exec_lo, exec_lo, s8
.LBB279_42:                             ;   in Loop: Header=BB279_11 Depth=1
	s_delay_alu instid0(SALU_CYCLE_1)
	s_or_b32 exec_lo, exec_lo, s20
.LBB279_43:                             ;   in Loop: Header=BB279_11 Depth=1
	s_delay_alu instid0(SALU_CYCLE_1)
	s_or_b32 exec_lo, exec_lo, s19
	flat_load_b32 v0, v[136:137] offset:4
	v_mov_b32_e32 v24, 0
	v_mov_b32_e32 v25, 0
	s_mov_b32 s8, exec_lo
	s_clause 0x1
	scratch_store_b64 off, v[24:25], s32 offset:360
	scratch_store_b64 off, v[24:25], s32 offset:384
	s_waitcnt vmcnt(0) lgkmcnt(0)
	v_and_b32_e32 v1, 0xff, v0
	s_delay_alu instid0(VALU_DEP_1)
	v_cmpx_ne_u16_e32 0, v1
	s_cbranch_execz .LBB279_51
; %bb.44:                               ;   in Loop: Header=BB279_11 Depth=1
	v_bfrev_b32_e32 v2, 1
	v_mov_b32_e32 v3, 0
	s_mov_b32 s19, exec_lo
	scratch_store_b64 off, v[2:3], s32 offset:384 ; 8-byte Folded Spill
	v_cmpx_ne_u16_e32 0x80, v1
	s_cbranch_execz .LBB279_50
; %bb.45:                               ;   in Loop: Header=BB279_11 Depth=1
	v_mov_b32_e32 v3, 0x7f800001
	v_and_b32_e32 v2, 0x7f, v0
	v_mov_b32_e32 v4, 0
	s_mov_b32 s20, exec_lo
	scratch_store_b64 off, v[3:4], s32 offset:384 ; 8-byte Folded Spill
	v_cmpx_ne_u32_e32 0x7f, v2
	s_cbranch_execz .LBB279_49
; %bb.46:                               ;   in Loop: Header=BB279_11 Depth=1
	v_and_b32_e32 v78, 7, v0
	v_lshrrev_b32_e32 v1, 3, v2
	s_mov_b32 s21, exec_lo
	v_cmpx_gt_u32_e32 8, v2
; %bb.47:                               ;   in Loop: Header=BB279_11 Depth=1
	s_delay_alu instid0(VALU_DEP_3) | instskip(NEXT) | instid1(VALU_DEP_1)
	v_clz_i32_u32_e32 v1, v78
	v_min_u32_e32 v1, 32, v1
	s_delay_alu instid0(VALU_DEP_1) | instskip(SKIP_1) | instid1(VALU_DEP_2)
	v_subrev_nc_u32_e32 v2, 28, v1
	v_sub_nc_u32_e32 v1, 29, v1
	v_lshlrev_b64 v[2:3], v2, v[78:79]
	s_delay_alu instid0(VALU_DEP_1)
	v_and_b32_e32 v78, 7, v2
; %bb.48:                               ;   in Loop: Header=BB279_11 Depth=1
	s_or_b32 exec_lo, exec_lo, s21
	v_lshlrev_b32_e32 v2, 24, v0
	s_delay_alu instid0(VALU_DEP_2) | instskip(SKIP_1) | instid1(VALU_DEP_3)
	v_lshlrev_b32_e32 v3, 20, v78
	v_lshl_add_u32 v1, v1, 23, 0x3c000000
	v_and_b32_e32 v2, 0x80000000, v2
	s_delay_alu instid0(VALU_DEP_1)
	v_or3_b32 v78, v3, v2, v1
	scratch_store_b64 off, v[78:79], s32 offset:384 ; 8-byte Folded Spill
.LBB279_49:                             ;   in Loop: Header=BB279_11 Depth=1
	s_or_b32 exec_lo, exec_lo, s20
.LBB279_50:                             ;   in Loop: Header=BB279_11 Depth=1
	s_delay_alu instid0(SALU_CYCLE_1)
	s_or_b32 exec_lo, exec_lo, s19
.LBB279_51:                             ;   in Loop: Header=BB279_11 Depth=1
	s_delay_alu instid0(SALU_CYCLE_1) | instskip(SKIP_2) | instid1(VALU_DEP_1)
	s_or_b32 exec_lo, exec_lo, s8
	v_lshrrev_b16 v1, 8, v0
	s_mov_b32 s19, exec_lo
	v_cmpx_ne_u16_e32 0, v1
	s_cbranch_execz .LBB279_59
; %bb.52:                               ;   in Loop: Header=BB279_11 Depth=1
	v_dual_mov_b32 v2, s2 :: v_dual_mov_b32 v3, s3
	s_mov_b32 s20, exec_lo
	scratch_store_b64 off, v[2:3], s32 offset:360 ; 8-byte Folded Spill
	v_cmpx_ne_u16_e32 0x80, v1
	s_cbranch_execz .LBB279_58
; %bb.53:                               ;   in Loop: Header=BB279_11 Depth=1
	s_mov_b32 s8, s2
	v_and_b32_e32 v1, 0xffff, v1
	v_dual_mov_b32 v3, s8 :: v_dual_mov_b32 v4, s9
	s_mov_b32 s8, exec_lo
	s_delay_alu instid0(VALU_DEP_2)
	v_and_b32_e32 v2, 0x7f, v1
	scratch_store_b64 off, v[3:4], s32 offset:360 ; 8-byte Folded Spill
	v_cmpx_ne_u32_e32 0x7f, v2
	s_cbranch_execz .LBB279_57
; %bb.54:                               ;   in Loop: Header=BB279_11 Depth=1
	v_and_b32_e32 v78, 7, v1
	v_lshrrev_b32_e32 v1, 3, v2
	s_mov_b32 s21, exec_lo
	v_cmpx_gt_u32_e32 8, v2
; %bb.55:                               ;   in Loop: Header=BB279_11 Depth=1
	s_delay_alu instid0(VALU_DEP_3) | instskip(NEXT) | instid1(VALU_DEP_1)
	v_clz_i32_u32_e32 v1, v78
	v_min_u32_e32 v1, 32, v1
	s_delay_alu instid0(VALU_DEP_1) | instskip(SKIP_1) | instid1(VALU_DEP_2)
	v_subrev_nc_u32_e32 v2, 28, v1
	v_sub_nc_u32_e32 v1, 29, v1
	v_lshlrev_b64 v[2:3], v2, v[78:79]
	s_delay_alu instid0(VALU_DEP_1)
	v_and_b32_e32 v78, 7, v2
; %bb.56:                               ;   in Loop: Header=BB279_11 Depth=1
	s_or_b32 exec_lo, exec_lo, s21
	v_lshlrev_b32_e32 v2, 16, v0
	s_delay_alu instid0(VALU_DEP_2) | instskip(SKIP_1) | instid1(VALU_DEP_3)
	v_lshlrev_b32_e32 v3, 20, v78
	v_lshl_add_u32 v1, v1, 23, 0x3c000000
	v_and_b32_e32 v2, 0x80000000, v2
	s_delay_alu instid0(VALU_DEP_1)
	v_or3_b32 v2, v3, v2, v1
	v_mov_b32_e32 v1, v79
	scratch_store_b64 off, v[1:2], s32 offset:360 ; 8-byte Folded Spill
.LBB279_57:                             ;   in Loop: Header=BB279_11 Depth=1
	s_or_b32 exec_lo, exec_lo, s8
.LBB279_58:                             ;   in Loop: Header=BB279_11 Depth=1
	s_delay_alu instid0(SALU_CYCLE_1)
	s_or_b32 exec_lo, exec_lo, s20
.LBB279_59:                             ;   in Loop: Header=BB279_11 Depth=1
	s_delay_alu instid0(SALU_CYCLE_1)
	s_or_b32 exec_lo, exec_lo, s19
	v_lshrrev_b32_e32 v1, 16, v0
	v_mov_b32_e32 v3, 0
	v_mov_b32_e32 v4, 0
	s_mov_b32 s8, exec_lo
	s_clause 0x1
	scratch_store_b64 off, v[3:4], s32 offset:376
	scratch_store_b64 off, v[3:4], s32 offset:368
	v_and_b32_e32 v2, 0xff, v1
	s_delay_alu instid0(VALU_DEP_1)
	v_cmpx_ne_u16_e32 0, v2
	s_cbranch_execz .LBB279_67
; %bb.60:                               ;   in Loop: Header=BB279_11 Depth=1
	v_bfrev_b32_e32 v3, 1
	v_mov_b32_e32 v4, 0
	s_mov_b32 s19, exec_lo
	scratch_store_b64 off, v[3:4], s32 offset:368 ; 8-byte Folded Spill
	v_cmpx_ne_u16_e32 0x80, v2
	s_cbranch_execz .LBB279_66
; %bb.61:                               ;   in Loop: Header=BB279_11 Depth=1
	v_mov_b32_e32 v4, 0x7f800001
	v_bfe_u32 v3, v0, 16, 7
	v_mov_b32_e32 v5, 0
	s_mov_b32 s20, exec_lo
	scratch_store_b64 off, v[4:5], s32 offset:368 ; 8-byte Folded Spill
	v_cmpx_ne_u32_e32 0x7f, v3
	s_cbranch_execz .LBB279_65
; %bb.62:                               ;   in Loop: Header=BB279_11 Depth=1
	v_and_b32_e32 v78, 7, v1
	v_lshrrev_b32_e32 v2, 3, v3
	s_mov_b32 s21, exec_lo
	v_cmpx_gt_u32_e32 8, v3
; %bb.63:                               ;   in Loop: Header=BB279_11 Depth=1
	s_delay_alu instid0(VALU_DEP_3) | instskip(NEXT) | instid1(VALU_DEP_1)
	v_clz_i32_u32_e32 v2, v78
	v_min_u32_e32 v2, 32, v2
	s_delay_alu instid0(VALU_DEP_1) | instskip(SKIP_1) | instid1(VALU_DEP_2)
	v_subrev_nc_u32_e32 v3, 28, v2
	v_sub_nc_u32_e32 v2, 29, v2
	v_lshlrev_b64 v[3:4], v3, v[78:79]
	s_delay_alu instid0(VALU_DEP_1)
	v_and_b32_e32 v78, 7, v3
; %bb.64:                               ;   in Loop: Header=BB279_11 Depth=1
	s_or_b32 exec_lo, exec_lo, s21
	v_lshlrev_b32_e32 v1, 24, v1
	s_delay_alu instid0(VALU_DEP_2) | instskip(SKIP_1) | instid1(VALU_DEP_3)
	v_lshlrev_b32_e32 v3, 20, v78
	v_lshl_add_u32 v2, v2, 23, 0x3c000000
	v_and_b32_e32 v1, 0x80000000, v1
	s_delay_alu instid0(VALU_DEP_1)
	v_or3_b32 v78, v3, v1, v2
	scratch_store_b64 off, v[78:79], s32 offset:368 ; 8-byte Folded Spill
.LBB279_65:                             ;   in Loop: Header=BB279_11 Depth=1
	s_or_b32 exec_lo, exec_lo, s20
.LBB279_66:                             ;   in Loop: Header=BB279_11 Depth=1
	s_delay_alu instid0(SALU_CYCLE_1)
	s_or_b32 exec_lo, exec_lo, s19
.LBB279_67:                             ;   in Loop: Header=BB279_11 Depth=1
	s_delay_alu instid0(SALU_CYCLE_1) | instskip(NEXT) | instid1(SALU_CYCLE_1)
	s_or_b32 exec_lo, exec_lo, s8
	s_mov_b32 s19, exec_lo
	v_cmpx_lt_u32_e32 0xffffff, v0
	s_cbranch_execz .LBB279_75
; %bb.68:                               ;   in Loop: Header=BB279_11 Depth=1
	v_lshrrev_b32_e32 v1, 24, v0
	v_dual_mov_b32 v2, s2 :: v_dual_mov_b32 v3, s3
	s_mov_b32 s20, exec_lo
	scratch_store_b64 off, v[2:3], s32 offset:376 ; 8-byte Folded Spill
	v_cmpx_ne_u32_e32 0x80, v1
	s_cbranch_execz .LBB279_74
; %bb.69:                               ;   in Loop: Header=BB279_11 Depth=1
	s_mov_b32 s8, s2
	v_bfe_u32 v2, v0, 24, 7
	v_dual_mov_b32 v3, s8 :: v_dual_mov_b32 v4, s9
	s_mov_b32 s8, exec_lo
	scratch_store_b64 off, v[3:4], s32 offset:376 ; 8-byte Folded Spill
	v_cmpx_ne_u32_e32 0x7f, v2
	s_cbranch_execz .LBB279_73
; %bb.70:                               ;   in Loop: Header=BB279_11 Depth=1
	v_and_b32_e32 v78, 7, v1
	v_lshrrev_b32_e32 v0, 3, v2
	s_mov_b32 s21, exec_lo
	v_cmpx_gt_u32_e32 8, v2
; %bb.71:                               ;   in Loop: Header=BB279_11 Depth=1
	s_delay_alu instid0(VALU_DEP_3) | instskip(NEXT) | instid1(VALU_DEP_1)
	v_clz_i32_u32_e32 v0, v78
	v_min_u32_e32 v0, 32, v0
	s_delay_alu instid0(VALU_DEP_1) | instskip(SKIP_1) | instid1(VALU_DEP_2)
	v_subrev_nc_u32_e32 v2, 28, v0
	v_sub_nc_u32_e32 v0, 29, v0
	v_lshlrev_b64 v[2:3], v2, v[78:79]
	s_delay_alu instid0(VALU_DEP_1)
	v_and_b32_e32 v78, 7, v2
; %bb.72:                               ;   in Loop: Header=BB279_11 Depth=1
	s_or_b32 exec_lo, exec_lo, s21
	v_lshlrev_b32_e32 v1, 24, v1
	s_delay_alu instid0(VALU_DEP_2) | instskip(SKIP_1) | instid1(VALU_DEP_3)
	v_lshlrev_b32_e32 v2, 20, v78
	v_lshl_add_u32 v0, v0, 23, 0x3c000000
	v_and_b32_e32 v1, 0x80000000, v1
	s_delay_alu instid0(VALU_DEP_1)
	v_or3_b32 v1, v2, v1, v0
	v_mov_b32_e32 v0, v79
	scratch_store_b64 off, v[0:1], s32 offset:376 ; 8-byte Folded Spill
.LBB279_73:                             ;   in Loop: Header=BB279_11 Depth=1
	s_or_b32 exec_lo, exec_lo, s8
.LBB279_74:                             ;   in Loop: Header=BB279_11 Depth=1
	s_delay_alu instid0(SALU_CYCLE_1)
	s_or_b32 exec_lo, exec_lo, s20
.LBB279_75:                             ;   in Loop: Header=BB279_11 Depth=1
	s_delay_alu instid0(SALU_CYCLE_1)
	s_or_b32 exec_lo, exec_lo, s19
	flat_load_b32 v0, v[136:137] offset:8
	v_mov_b32_e32 v24, 0
	v_mov_b32_e32 v25, 0
	s_mov_b32 s8, exec_lo
	s_clause 0x1
	scratch_store_b64 off, v[24:25], s32 offset:392
	scratch_store_b64 off, v[24:25], s32 offset:416
	s_waitcnt vmcnt(0) lgkmcnt(0)
	v_and_b32_e32 v1, 0xff, v0
	s_delay_alu instid0(VALU_DEP_1)
	v_cmpx_ne_u16_e32 0, v1
	s_cbranch_execz .LBB279_83
; %bb.76:                               ;   in Loop: Header=BB279_11 Depth=1
	v_bfrev_b32_e32 v2, 1
	v_mov_b32_e32 v3, 0
	s_mov_b32 s19, exec_lo
	scratch_store_b64 off, v[2:3], s32 offset:416 ; 8-byte Folded Spill
	v_cmpx_ne_u16_e32 0x80, v1
	s_cbranch_execz .LBB279_82
; %bb.77:                               ;   in Loop: Header=BB279_11 Depth=1
	v_mov_b32_e32 v3, 0x7f800001
	v_and_b32_e32 v2, 0x7f, v0
	v_mov_b32_e32 v4, 0
	s_mov_b32 s20, exec_lo
	scratch_store_b64 off, v[3:4], s32 offset:416 ; 8-byte Folded Spill
	v_cmpx_ne_u32_e32 0x7f, v2
	s_cbranch_execz .LBB279_81
; %bb.78:                               ;   in Loop: Header=BB279_11 Depth=1
	v_and_b32_e32 v78, 7, v0
	v_lshrrev_b32_e32 v1, 3, v2
	s_mov_b32 s21, exec_lo
	v_cmpx_gt_u32_e32 8, v2
; %bb.79:                               ;   in Loop: Header=BB279_11 Depth=1
	s_delay_alu instid0(VALU_DEP_3) | instskip(NEXT) | instid1(VALU_DEP_1)
	v_clz_i32_u32_e32 v1, v78
	v_min_u32_e32 v1, 32, v1
	s_delay_alu instid0(VALU_DEP_1) | instskip(SKIP_1) | instid1(VALU_DEP_2)
	v_subrev_nc_u32_e32 v2, 28, v1
	v_sub_nc_u32_e32 v1, 29, v1
	v_lshlrev_b64 v[2:3], v2, v[78:79]
	s_delay_alu instid0(VALU_DEP_1)
	v_and_b32_e32 v78, 7, v2
; %bb.80:                               ;   in Loop: Header=BB279_11 Depth=1
	s_or_b32 exec_lo, exec_lo, s21
	v_lshlrev_b32_e32 v2, 24, v0
	s_delay_alu instid0(VALU_DEP_2) | instskip(SKIP_1) | instid1(VALU_DEP_3)
	v_lshlrev_b32_e32 v3, 20, v78
	v_lshl_add_u32 v1, v1, 23, 0x3c000000
	v_and_b32_e32 v2, 0x80000000, v2
	s_delay_alu instid0(VALU_DEP_1)
	v_or3_b32 v78, v3, v2, v1
	scratch_store_b64 off, v[78:79], s32 offset:416 ; 8-byte Folded Spill
.LBB279_81:                             ;   in Loop: Header=BB279_11 Depth=1
	s_or_b32 exec_lo, exec_lo, s20
.LBB279_82:                             ;   in Loop: Header=BB279_11 Depth=1
	s_delay_alu instid0(SALU_CYCLE_1)
	s_or_b32 exec_lo, exec_lo, s19
.LBB279_83:                             ;   in Loop: Header=BB279_11 Depth=1
	s_delay_alu instid0(SALU_CYCLE_1) | instskip(SKIP_2) | instid1(VALU_DEP_1)
	s_or_b32 exec_lo, exec_lo, s8
	v_lshrrev_b16 v1, 8, v0
	s_mov_b32 s19, exec_lo
	v_cmpx_ne_u16_e32 0, v1
	s_cbranch_execz .LBB279_91
; %bb.84:                               ;   in Loop: Header=BB279_11 Depth=1
	v_dual_mov_b32 v2, s2 :: v_dual_mov_b32 v3, s3
	s_mov_b32 s20, exec_lo
	scratch_store_b64 off, v[2:3], s32 offset:392 ; 8-byte Folded Spill
	v_cmpx_ne_u16_e32 0x80, v1
	s_cbranch_execz .LBB279_90
; %bb.85:                               ;   in Loop: Header=BB279_11 Depth=1
	s_mov_b32 s8, s2
	v_and_b32_e32 v1, 0xffff, v1
	v_dual_mov_b32 v3, s8 :: v_dual_mov_b32 v4, s9
	s_mov_b32 s8, exec_lo
	s_delay_alu instid0(VALU_DEP_2)
	v_and_b32_e32 v2, 0x7f, v1
	scratch_store_b64 off, v[3:4], s32 offset:392 ; 8-byte Folded Spill
	v_cmpx_ne_u32_e32 0x7f, v2
	s_cbranch_execz .LBB279_89
; %bb.86:                               ;   in Loop: Header=BB279_11 Depth=1
	v_and_b32_e32 v78, 7, v1
	v_lshrrev_b32_e32 v1, 3, v2
	s_mov_b32 s21, exec_lo
	v_cmpx_gt_u32_e32 8, v2
; %bb.87:                               ;   in Loop: Header=BB279_11 Depth=1
	s_delay_alu instid0(VALU_DEP_3) | instskip(NEXT) | instid1(VALU_DEP_1)
	v_clz_i32_u32_e32 v1, v78
	v_min_u32_e32 v1, 32, v1
	s_delay_alu instid0(VALU_DEP_1) | instskip(SKIP_1) | instid1(VALU_DEP_2)
	v_subrev_nc_u32_e32 v2, 28, v1
	v_sub_nc_u32_e32 v1, 29, v1
	v_lshlrev_b64 v[2:3], v2, v[78:79]
	s_delay_alu instid0(VALU_DEP_1)
	v_and_b32_e32 v78, 7, v2
; %bb.88:                               ;   in Loop: Header=BB279_11 Depth=1
	s_or_b32 exec_lo, exec_lo, s21
	v_lshlrev_b32_e32 v2, 16, v0
	s_delay_alu instid0(VALU_DEP_2) | instskip(SKIP_1) | instid1(VALU_DEP_3)
	v_lshlrev_b32_e32 v3, 20, v78
	v_lshl_add_u32 v1, v1, 23, 0x3c000000
	v_and_b32_e32 v2, 0x80000000, v2
	s_delay_alu instid0(VALU_DEP_1)
	v_or3_b32 v2, v3, v2, v1
	v_mov_b32_e32 v1, v79
	scratch_store_b64 off, v[1:2], s32 offset:392 ; 8-byte Folded Spill
.LBB279_89:                             ;   in Loop: Header=BB279_11 Depth=1
	s_or_b32 exec_lo, exec_lo, s8
.LBB279_90:                             ;   in Loop: Header=BB279_11 Depth=1
	s_delay_alu instid0(SALU_CYCLE_1)
	s_or_b32 exec_lo, exec_lo, s20
.LBB279_91:                             ;   in Loop: Header=BB279_11 Depth=1
	s_delay_alu instid0(SALU_CYCLE_1)
	s_or_b32 exec_lo, exec_lo, s19
	v_lshrrev_b32_e32 v1, 16, v0
	v_mov_b32_e32 v3, 0
	v_mov_b32_e32 v4, 0
	s_mov_b32 s8, exec_lo
	s_clause 0x1
	scratch_store_b64 off, v[3:4], s32 offset:408
	scratch_store_b64 off, v[3:4], s32 offset:400
	v_and_b32_e32 v2, 0xff, v1
	s_delay_alu instid0(VALU_DEP_1)
	v_cmpx_ne_u16_e32 0, v2
	s_cbranch_execz .LBB279_99
; %bb.92:                               ;   in Loop: Header=BB279_11 Depth=1
	v_bfrev_b32_e32 v3, 1
	v_mov_b32_e32 v4, 0
	s_mov_b32 s19, exec_lo
	scratch_store_b64 off, v[3:4], s32 offset:400 ; 8-byte Folded Spill
	v_cmpx_ne_u16_e32 0x80, v2
	s_cbranch_execz .LBB279_98
; %bb.93:                               ;   in Loop: Header=BB279_11 Depth=1
	v_mov_b32_e32 v4, 0x7f800001
	v_bfe_u32 v3, v0, 16, 7
	v_mov_b32_e32 v5, 0
	s_mov_b32 s20, exec_lo
	scratch_store_b64 off, v[4:5], s32 offset:400 ; 8-byte Folded Spill
	v_cmpx_ne_u32_e32 0x7f, v3
	s_cbranch_execz .LBB279_97
; %bb.94:                               ;   in Loop: Header=BB279_11 Depth=1
	v_and_b32_e32 v78, 7, v1
	v_lshrrev_b32_e32 v2, 3, v3
	s_mov_b32 s21, exec_lo
	v_cmpx_gt_u32_e32 8, v3
; %bb.95:                               ;   in Loop: Header=BB279_11 Depth=1
	s_delay_alu instid0(VALU_DEP_3) | instskip(NEXT) | instid1(VALU_DEP_1)
	v_clz_i32_u32_e32 v2, v78
	v_min_u32_e32 v2, 32, v2
	s_delay_alu instid0(VALU_DEP_1) | instskip(SKIP_1) | instid1(VALU_DEP_2)
	v_subrev_nc_u32_e32 v3, 28, v2
	v_sub_nc_u32_e32 v2, 29, v2
	v_lshlrev_b64 v[3:4], v3, v[78:79]
	s_delay_alu instid0(VALU_DEP_1)
	v_and_b32_e32 v78, 7, v3
; %bb.96:                               ;   in Loop: Header=BB279_11 Depth=1
	s_or_b32 exec_lo, exec_lo, s21
	v_lshlrev_b32_e32 v1, 24, v1
	s_delay_alu instid0(VALU_DEP_2) | instskip(SKIP_1) | instid1(VALU_DEP_3)
	v_lshlrev_b32_e32 v3, 20, v78
	v_lshl_add_u32 v2, v2, 23, 0x3c000000
	v_and_b32_e32 v1, 0x80000000, v1
	s_delay_alu instid0(VALU_DEP_1)
	v_or3_b32 v78, v3, v1, v2
	scratch_store_b64 off, v[78:79], s32 offset:400 ; 8-byte Folded Spill
.LBB279_97:                             ;   in Loop: Header=BB279_11 Depth=1
	s_or_b32 exec_lo, exec_lo, s20
.LBB279_98:                             ;   in Loop: Header=BB279_11 Depth=1
	s_delay_alu instid0(SALU_CYCLE_1)
	s_or_b32 exec_lo, exec_lo, s19
.LBB279_99:                             ;   in Loop: Header=BB279_11 Depth=1
	s_delay_alu instid0(SALU_CYCLE_1) | instskip(NEXT) | instid1(SALU_CYCLE_1)
	s_or_b32 exec_lo, exec_lo, s8
	s_mov_b32 s19, exec_lo
	v_cmpx_lt_u32_e32 0xffffff, v0
	s_cbranch_execz .LBB279_107
; %bb.100:                              ;   in Loop: Header=BB279_11 Depth=1
	v_lshrrev_b32_e32 v1, 24, v0
	v_dual_mov_b32 v2, s2 :: v_dual_mov_b32 v3, s3
	s_mov_b32 s20, exec_lo
	scratch_store_b64 off, v[2:3], s32 offset:408 ; 8-byte Folded Spill
	v_cmpx_ne_u32_e32 0x80, v1
	s_cbranch_execz .LBB279_106
; %bb.101:                              ;   in Loop: Header=BB279_11 Depth=1
	s_mov_b32 s8, s2
	v_bfe_u32 v2, v0, 24, 7
	v_dual_mov_b32 v3, s8 :: v_dual_mov_b32 v4, s9
	s_mov_b32 s8, exec_lo
	scratch_store_b64 off, v[3:4], s32 offset:408 ; 8-byte Folded Spill
	v_cmpx_ne_u32_e32 0x7f, v2
	s_cbranch_execz .LBB279_105
; %bb.102:                              ;   in Loop: Header=BB279_11 Depth=1
	v_and_b32_e32 v78, 7, v1
	v_lshrrev_b32_e32 v0, 3, v2
	s_mov_b32 s21, exec_lo
	v_cmpx_gt_u32_e32 8, v2
; %bb.103:                              ;   in Loop: Header=BB279_11 Depth=1
	s_delay_alu instid0(VALU_DEP_3) | instskip(NEXT) | instid1(VALU_DEP_1)
	v_clz_i32_u32_e32 v0, v78
	v_min_u32_e32 v0, 32, v0
	s_delay_alu instid0(VALU_DEP_1) | instskip(SKIP_1) | instid1(VALU_DEP_2)
	v_subrev_nc_u32_e32 v2, 28, v0
	v_sub_nc_u32_e32 v0, 29, v0
	v_lshlrev_b64 v[2:3], v2, v[78:79]
	s_delay_alu instid0(VALU_DEP_1)
	v_and_b32_e32 v78, 7, v2
; %bb.104:                              ;   in Loop: Header=BB279_11 Depth=1
	s_or_b32 exec_lo, exec_lo, s21
	v_lshlrev_b32_e32 v1, 24, v1
	s_delay_alu instid0(VALU_DEP_2) | instskip(SKIP_1) | instid1(VALU_DEP_3)
	v_lshlrev_b32_e32 v2, 20, v78
	v_lshl_add_u32 v0, v0, 23, 0x3c000000
	v_and_b32_e32 v1, 0x80000000, v1
	s_delay_alu instid0(VALU_DEP_1)
	v_or3_b32 v1, v2, v1, v0
	v_mov_b32_e32 v0, v79
	scratch_store_b64 off, v[0:1], s32 offset:408 ; 8-byte Folded Spill
.LBB279_105:                            ;   in Loop: Header=BB279_11 Depth=1
	s_or_b32 exec_lo, exec_lo, s8
.LBB279_106:                            ;   in Loop: Header=BB279_11 Depth=1
	s_delay_alu instid0(SALU_CYCLE_1)
	s_or_b32 exec_lo, exec_lo, s20
.LBB279_107:                            ;   in Loop: Header=BB279_11 Depth=1
	s_delay_alu instid0(SALU_CYCLE_1)
	s_or_b32 exec_lo, exec_lo, s19
	flat_load_b32 v0, v[136:137] offset:12
	v_mov_b32_e32 v152, 0
	v_mov_b32_e32 v153, 0
	s_mov_b32 s8, exec_lo
	scratch_store_b64 off, v[152:153], s32 offset:432 ; 8-byte Folded Spill
	s_waitcnt vmcnt(0) lgkmcnt(0)
	v_and_b32_e32 v1, 0xff, v0
	s_delay_alu instid0(VALU_DEP_1)
	v_cmpx_ne_u16_e32 0, v1
	s_cbranch_execz .LBB279_115
; %bb.108:                              ;   in Loop: Header=BB279_11 Depth=1
	v_bfrev_b32_e32 v2, 1
	v_mov_b32_e32 v3, 0
	s_mov_b32 s19, exec_lo
	scratch_store_b64 off, v[2:3], s32 offset:432 ; 8-byte Folded Spill
	v_cmpx_ne_u16_e32 0x80, v1
	s_cbranch_execz .LBB279_114
; %bb.109:                              ;   in Loop: Header=BB279_11 Depth=1
	v_mov_b32_e32 v3, 0x7f800001
	v_and_b32_e32 v2, 0x7f, v0
	v_mov_b32_e32 v4, 0
	s_mov_b32 s20, exec_lo
	scratch_store_b64 off, v[3:4], s32 offset:432 ; 8-byte Folded Spill
	v_cmpx_ne_u32_e32 0x7f, v2
	s_cbranch_execz .LBB279_113
; %bb.110:                              ;   in Loop: Header=BB279_11 Depth=1
	v_and_b32_e32 v78, 7, v0
	v_lshrrev_b32_e32 v1, 3, v2
	s_mov_b32 s21, exec_lo
	v_cmpx_gt_u32_e32 8, v2
; %bb.111:                              ;   in Loop: Header=BB279_11 Depth=1
	s_delay_alu instid0(VALU_DEP_3) | instskip(NEXT) | instid1(VALU_DEP_1)
	v_clz_i32_u32_e32 v1, v78
	v_min_u32_e32 v1, 32, v1
	s_delay_alu instid0(VALU_DEP_1) | instskip(SKIP_1) | instid1(VALU_DEP_2)
	v_subrev_nc_u32_e32 v2, 28, v1
	v_sub_nc_u32_e32 v1, 29, v1
	v_lshlrev_b64 v[2:3], v2, v[78:79]
	s_delay_alu instid0(VALU_DEP_1)
	v_and_b32_e32 v78, 7, v2
; %bb.112:                              ;   in Loop: Header=BB279_11 Depth=1
	s_or_b32 exec_lo, exec_lo, s21
	v_lshlrev_b32_e32 v2, 24, v0
	s_delay_alu instid0(VALU_DEP_2) | instskip(SKIP_1) | instid1(VALU_DEP_3)
	v_lshlrev_b32_e32 v3, 20, v78
	v_lshl_add_u32 v1, v1, 23, 0x3c000000
	v_and_b32_e32 v2, 0x80000000, v2
	s_delay_alu instid0(VALU_DEP_1)
	v_or3_b32 v78, v3, v2, v1
	scratch_store_b64 off, v[78:79], s32 offset:432 ; 8-byte Folded Spill
.LBB279_113:                            ;   in Loop: Header=BB279_11 Depth=1
	s_or_b32 exec_lo, exec_lo, s20
.LBB279_114:                            ;   in Loop: Header=BB279_11 Depth=1
	s_delay_alu instid0(SALU_CYCLE_1)
	s_or_b32 exec_lo, exec_lo, s19
.LBB279_115:                            ;   in Loop: Header=BB279_11 Depth=1
	s_delay_alu instid0(SALU_CYCLE_1) | instskip(SKIP_2) | instid1(VALU_DEP_1)
	s_or_b32 exec_lo, exec_lo, s8
	v_lshrrev_b16 v1, 8, v0
	s_mov_b32 s19, exec_lo
	v_cmpx_ne_u16_e32 0, v1
	s_cbranch_execz .LBB279_123
; %bb.116:                              ;   in Loop: Header=BB279_11 Depth=1
	v_dual_mov_b32 v153, s3 :: v_dual_mov_b32 v152, s2
	s_mov_b32 s20, exec_lo
	v_cmpx_ne_u16_e32 0x80, v1
	s_cbranch_execz .LBB279_122
; %bb.117:                              ;   in Loop: Header=BB279_11 Depth=1
	s_mov_b32 s8, s2
	v_and_b32_e32 v1, 0xffff, v1
	v_dual_mov_b32 v153, s9 :: v_dual_mov_b32 v152, s8
	s_mov_b32 s8, exec_lo
	s_delay_alu instid0(VALU_DEP_2) | instskip(NEXT) | instid1(VALU_DEP_1)
	v_and_b32_e32 v2, 0x7f, v1
	v_cmpx_ne_u32_e32 0x7f, v2
	s_cbranch_execz .LBB279_121
; %bb.118:                              ;   in Loop: Header=BB279_11 Depth=1
	v_and_b32_e32 v78, 7, v1
	v_lshrrev_b32_e32 v1, 3, v2
	s_mov_b32 s21, exec_lo
	v_cmpx_gt_u32_e32 8, v2
; %bb.119:                              ;   in Loop: Header=BB279_11 Depth=1
	s_delay_alu instid0(VALU_DEP_3) | instskip(NEXT) | instid1(VALU_DEP_1)
	v_clz_i32_u32_e32 v1, v78
	v_min_u32_e32 v1, 32, v1
	s_delay_alu instid0(VALU_DEP_1) | instskip(SKIP_1) | instid1(VALU_DEP_2)
	v_subrev_nc_u32_e32 v2, 28, v1
	v_sub_nc_u32_e32 v1, 29, v1
	v_lshlrev_b64 v[2:3], v2, v[78:79]
	s_delay_alu instid0(VALU_DEP_1)
	v_and_b32_e32 v78, 7, v2
; %bb.120:                              ;   in Loop: Header=BB279_11 Depth=1
	s_or_b32 exec_lo, exec_lo, s21
	v_lshlrev_b32_e32 v2, 16, v0
	s_delay_alu instid0(VALU_DEP_2) | instskip(SKIP_1) | instid1(VALU_DEP_3)
	v_dual_mov_b32 v152, v79 :: v_dual_lshlrev_b32 v3, 20, v78
	v_lshl_add_u32 v1, v1, 23, 0x3c000000
	v_and_b32_e32 v2, 0x80000000, v2
	s_delay_alu instid0(VALU_DEP_1)
	v_or3_b32 v153, v3, v2, v1
.LBB279_121:                            ;   in Loop: Header=BB279_11 Depth=1
	s_or_b32 exec_lo, exec_lo, s8
.LBB279_122:                            ;   in Loop: Header=BB279_11 Depth=1
	s_delay_alu instid0(SALU_CYCLE_1)
	s_or_b32 exec_lo, exec_lo, s20
.LBB279_123:                            ;   in Loop: Header=BB279_11 Depth=1
	s_delay_alu instid0(SALU_CYCLE_1) | instskip(SKIP_4) | instid1(VALU_DEP_3)
	s_or_b32 exec_lo, exec_lo, s19
	v_lshrrev_b32_e32 v1, 16, v0
	v_mov_b32_e32 v156, 0
	v_mov_b32_e32 v157, 0
	s_mov_b32 s8, exec_lo
	v_and_b32_e32 v2, 0xff, v1
	scratch_store_b64 off, v[156:157], s32 offset:424 ; 8-byte Folded Spill
	v_cmpx_ne_u16_e32 0, v2
	s_cbranch_execz .LBB279_131
; %bb.124:                              ;   in Loop: Header=BB279_11 Depth=1
	v_bfrev_b32_e32 v3, 1
	v_mov_b32_e32 v4, 0
	s_mov_b32 s19, exec_lo
	scratch_store_b64 off, v[3:4], s32 offset:424 ; 8-byte Folded Spill
	v_cmpx_ne_u16_e32 0x80, v2
	s_cbranch_execz .LBB279_130
; %bb.125:                              ;   in Loop: Header=BB279_11 Depth=1
	v_mov_b32_e32 v4, 0x7f800001
	v_bfe_u32 v3, v0, 16, 7
	v_mov_b32_e32 v5, 0
	s_mov_b32 s20, exec_lo
	scratch_store_b64 off, v[4:5], s32 offset:424 ; 8-byte Folded Spill
	v_cmpx_ne_u32_e32 0x7f, v3
	s_cbranch_execz .LBB279_129
; %bb.126:                              ;   in Loop: Header=BB279_11 Depth=1
	v_and_b32_e32 v78, 7, v1
	v_lshrrev_b32_e32 v2, 3, v3
	s_mov_b32 s21, exec_lo
	v_cmpx_gt_u32_e32 8, v3
; %bb.127:                              ;   in Loop: Header=BB279_11 Depth=1
	s_delay_alu instid0(VALU_DEP_3) | instskip(NEXT) | instid1(VALU_DEP_1)
	v_clz_i32_u32_e32 v2, v78
	v_min_u32_e32 v2, 32, v2
	s_delay_alu instid0(VALU_DEP_1) | instskip(SKIP_1) | instid1(VALU_DEP_2)
	v_subrev_nc_u32_e32 v3, 28, v2
	v_sub_nc_u32_e32 v2, 29, v2
	v_lshlrev_b64 v[3:4], v3, v[78:79]
	s_delay_alu instid0(VALU_DEP_1)
	v_and_b32_e32 v78, 7, v3
; %bb.128:                              ;   in Loop: Header=BB279_11 Depth=1
	s_or_b32 exec_lo, exec_lo, s21
	v_lshlrev_b32_e32 v1, 24, v1
	s_delay_alu instid0(VALU_DEP_2) | instskip(SKIP_1) | instid1(VALU_DEP_3)
	v_lshlrev_b32_e32 v3, 20, v78
	v_lshl_add_u32 v2, v2, 23, 0x3c000000
	v_and_b32_e32 v1, 0x80000000, v1
	s_delay_alu instid0(VALU_DEP_1)
	v_or3_b32 v78, v3, v1, v2
	scratch_store_b64 off, v[78:79], s32 offset:424 ; 8-byte Folded Spill
.LBB279_129:                            ;   in Loop: Header=BB279_11 Depth=1
	s_or_b32 exec_lo, exec_lo, s20
.LBB279_130:                            ;   in Loop: Header=BB279_11 Depth=1
	s_delay_alu instid0(SALU_CYCLE_1)
	s_or_b32 exec_lo, exec_lo, s19
.LBB279_131:                            ;   in Loop: Header=BB279_11 Depth=1
	s_delay_alu instid0(SALU_CYCLE_1) | instskip(NEXT) | instid1(SALU_CYCLE_1)
	s_or_b32 exec_lo, exec_lo, s8
	s_mov_b32 s19, exec_lo
	v_cmpx_lt_u32_e32 0xffffff, v0
	s_cbranch_execz .LBB279_139
; %bb.132:                              ;   in Loop: Header=BB279_11 Depth=1
	v_lshrrev_b32_e32 v1, 24, v0
	v_dual_mov_b32 v157, s3 :: v_dual_mov_b32 v156, s2
	s_mov_b32 s20, exec_lo
	s_delay_alu instid0(VALU_DEP_2)
	v_cmpx_ne_u32_e32 0x80, v1
	s_cbranch_execz .LBB279_138
; %bb.133:                              ;   in Loop: Header=BB279_11 Depth=1
	s_mov_b32 s8, s2
	v_bfe_u32 v2, v0, 24, 7
	v_dual_mov_b32 v157, s9 :: v_dual_mov_b32 v156, s8
	s_mov_b32 s8, exec_lo
	s_delay_alu instid0(VALU_DEP_2)
	v_cmpx_ne_u32_e32 0x7f, v2
	s_cbranch_execz .LBB279_137
; %bb.134:                              ;   in Loop: Header=BB279_11 Depth=1
	v_and_b32_e32 v78, 7, v1
	v_lshrrev_b32_e32 v0, 3, v2
	s_mov_b32 s21, exec_lo
	v_cmpx_gt_u32_e32 8, v2
; %bb.135:                              ;   in Loop: Header=BB279_11 Depth=1
	s_delay_alu instid0(VALU_DEP_3) | instskip(NEXT) | instid1(VALU_DEP_1)
	v_clz_i32_u32_e32 v0, v78
	v_min_u32_e32 v0, 32, v0
	s_delay_alu instid0(VALU_DEP_1) | instskip(SKIP_1) | instid1(VALU_DEP_2)
	v_subrev_nc_u32_e32 v2, 28, v0
	v_sub_nc_u32_e32 v0, 29, v0
	v_lshlrev_b64 v[2:3], v2, v[78:79]
	s_delay_alu instid0(VALU_DEP_1)
	v_and_b32_e32 v78, 7, v2
; %bb.136:                              ;   in Loop: Header=BB279_11 Depth=1
	s_or_b32 exec_lo, exec_lo, s21
	v_dual_mov_b32 v156, v79 :: v_dual_lshlrev_b32 v1, 24, v1
	s_delay_alu instid0(VALU_DEP_2) | instskip(SKIP_1) | instid1(VALU_DEP_3)
	v_lshlrev_b32_e32 v2, 20, v78
	v_lshl_add_u32 v0, v0, 23, 0x3c000000
	v_and_b32_e32 v1, 0x80000000, v1
	s_delay_alu instid0(VALU_DEP_1)
	v_or3_b32 v157, v2, v1, v0
.LBB279_137:                            ;   in Loop: Header=BB279_11 Depth=1
	s_or_b32 exec_lo, exec_lo, s8
.LBB279_138:                            ;   in Loop: Header=BB279_11 Depth=1
	s_delay_alu instid0(SALU_CYCLE_1)
	s_or_b32 exec_lo, exec_lo, s20
.LBB279_139:                            ;   in Loop: Header=BB279_11 Depth=1
	s_delay_alu instid0(SALU_CYCLE_1)
	s_or_b32 exec_lo, exec_lo, s19
	flat_load_b32 v0, v[136:137] offset:512
	v_mov_b32_e32 v158, 0
	v_mov_b32_e32 v159, 0
	s_mov_b32 s8, exec_lo
	scratch_store_b64 off, v[158:159], s32 offset:448 ; 8-byte Folded Spill
	s_waitcnt vmcnt(0) lgkmcnt(0)
	v_and_b32_e32 v1, 0xff, v0
	s_delay_alu instid0(VALU_DEP_1)
	v_cmpx_ne_u16_e32 0, v1
	s_cbranch_execz .LBB279_147
; %bb.140:                              ;   in Loop: Header=BB279_11 Depth=1
	v_cmp_ne_u16_e64 s1, 0x80, v1
	v_bfrev_b32_e32 v1, 1
	v_mov_b32_e32 v2, 0
	scratch_store_b64 off, v[1:2], s32 offset:448 ; 8-byte Folded Spill
	s_and_saveexec_b32 s19, s1
	s_cbranch_execz .LBB279_146
; %bb.141:                              ;   in Loop: Header=BB279_11 Depth=1
	v_mov_b32_e32 v3, 0x7f800001
	v_and_b32_e32 v2, 0x7f, v0
	v_mov_b32_e32 v4, 0
	s_mov_b32 s20, exec_lo
	scratch_store_b64 off, v[3:4], s32 offset:448 ; 8-byte Folded Spill
	v_cmpx_ne_u32_e32 0x7f, v2
	s_cbranch_execz .LBB279_145
; %bb.142:                              ;   in Loop: Header=BB279_11 Depth=1
	v_and_b32_e32 v78, 7, v0
	v_lshrrev_b32_e32 v1, 3, v2
	s_mov_b32 s21, exec_lo
	v_cmpx_gt_u32_e32 8, v2
; %bb.143:                              ;   in Loop: Header=BB279_11 Depth=1
	s_delay_alu instid0(VALU_DEP_3) | instskip(NEXT) | instid1(VALU_DEP_1)
	v_clz_i32_u32_e32 v1, v78
	v_min_u32_e32 v1, 32, v1
	s_delay_alu instid0(VALU_DEP_1) | instskip(SKIP_1) | instid1(VALU_DEP_2)
	v_subrev_nc_u32_e32 v2, 28, v1
	v_sub_nc_u32_e32 v1, 29, v1
	v_lshlrev_b64 v[2:3], v2, v[78:79]
	s_delay_alu instid0(VALU_DEP_1)
	v_and_b32_e32 v78, 7, v2
; %bb.144:                              ;   in Loop: Header=BB279_11 Depth=1
	s_or_b32 exec_lo, exec_lo, s21
	v_lshlrev_b32_e32 v2, 24, v0
	s_delay_alu instid0(VALU_DEP_2) | instskip(SKIP_1) | instid1(VALU_DEP_3)
	v_lshlrev_b32_e32 v3, 20, v78
	v_lshl_add_u32 v1, v1, 23, 0x3c000000
	v_and_b32_e32 v2, 0x80000000, v2
	s_delay_alu instid0(VALU_DEP_1)
	v_or3_b32 v78, v3, v2, v1
	scratch_store_b64 off, v[78:79], s32 offset:448 ; 8-byte Folded Spill
.LBB279_145:                            ;   in Loop: Header=BB279_11 Depth=1
	s_or_b32 exec_lo, exec_lo, s20
.LBB279_146:                            ;   in Loop: Header=BB279_11 Depth=1
	s_delay_alu instid0(SALU_CYCLE_1)
	s_or_b32 exec_lo, exec_lo, s19
.LBB279_147:                            ;   in Loop: Header=BB279_11 Depth=1
	s_delay_alu instid0(SALU_CYCLE_1) | instskip(SKIP_2) | instid1(VALU_DEP_1)
	s_or_b32 exec_lo, exec_lo, s8
	v_lshrrev_b16 v1, 8, v0
	s_mov_b32 s19, exec_lo
	v_cmpx_ne_u16_e32 0, v1
	s_cbranch_execz .LBB279_155
; %bb.148:                              ;   in Loop: Header=BB279_11 Depth=1
	v_dual_mov_b32 v159, s3 :: v_dual_mov_b32 v158, s2
	s_mov_b32 s20, exec_lo
	v_cmpx_ne_u16_e32 0x80, v1
	s_cbranch_execz .LBB279_154
; %bb.149:                              ;   in Loop: Header=BB279_11 Depth=1
	s_mov_b32 s8, s2
	v_and_b32_e32 v1, 0xffff, v1
	v_dual_mov_b32 v159, s9 :: v_dual_mov_b32 v158, s8
	s_mov_b32 s8, exec_lo
	s_delay_alu instid0(VALU_DEP_2) | instskip(NEXT) | instid1(VALU_DEP_1)
	v_and_b32_e32 v2, 0x7f, v1
	v_cmpx_ne_u32_e32 0x7f, v2
	s_cbranch_execz .LBB279_153
; %bb.150:                              ;   in Loop: Header=BB279_11 Depth=1
	v_and_b32_e32 v78, 7, v1
	v_lshrrev_b32_e32 v1, 3, v2
	s_mov_b32 s21, exec_lo
	v_cmpx_gt_u32_e32 8, v2
; %bb.151:                              ;   in Loop: Header=BB279_11 Depth=1
	s_delay_alu instid0(VALU_DEP_3) | instskip(NEXT) | instid1(VALU_DEP_1)
	v_clz_i32_u32_e32 v1, v78
	v_min_u32_e32 v1, 32, v1
	s_delay_alu instid0(VALU_DEP_1) | instskip(SKIP_1) | instid1(VALU_DEP_2)
	v_subrev_nc_u32_e32 v2, 28, v1
	v_sub_nc_u32_e32 v1, 29, v1
	v_lshlrev_b64 v[2:3], v2, v[78:79]
	s_delay_alu instid0(VALU_DEP_1)
	v_and_b32_e32 v78, 7, v2
; %bb.152:                              ;   in Loop: Header=BB279_11 Depth=1
	s_or_b32 exec_lo, exec_lo, s21
	v_lshlrev_b32_e32 v2, 16, v0
	s_delay_alu instid0(VALU_DEP_2) | instskip(SKIP_1) | instid1(VALU_DEP_3)
	v_dual_mov_b32 v158, v79 :: v_dual_lshlrev_b32 v3, 20, v78
	v_lshl_add_u32 v1, v1, 23, 0x3c000000
	v_and_b32_e32 v2, 0x80000000, v2
	s_delay_alu instid0(VALU_DEP_1)
	v_or3_b32 v159, v3, v2, v1
.LBB279_153:                            ;   in Loop: Header=BB279_11 Depth=1
	s_or_b32 exec_lo, exec_lo, s8
.LBB279_154:                            ;   in Loop: Header=BB279_11 Depth=1
	s_delay_alu instid0(SALU_CYCLE_1)
	s_or_b32 exec_lo, exec_lo, s20
.LBB279_155:                            ;   in Loop: Header=BB279_11 Depth=1
	s_delay_alu instid0(SALU_CYCLE_1) | instskip(SKIP_4) | instid1(VALU_DEP_3)
	s_or_b32 exec_lo, exec_lo, s19
	v_lshrrev_b32_e32 v1, 16, v0
	v_mov_b32_e32 v170, 0
	v_mov_b32_e32 v171, 0
	s_mov_b32 s8, exec_lo
	v_and_b32_e32 v2, 0xff, v1
	scratch_store_b64 off, v[170:171], s32 offset:440 ; 8-byte Folded Spill
	v_cmpx_ne_u16_e32 0, v2
	s_cbranch_execz .LBB279_163
; %bb.156:                              ;   in Loop: Header=BB279_11 Depth=1
	v_cmp_ne_u16_e64 s1, 0x80, v2
	v_bfrev_b32_e32 v2, 1
	v_mov_b32_e32 v3, 0
	scratch_store_b64 off, v[2:3], s32 offset:440 ; 8-byte Folded Spill
	s_and_saveexec_b32 s19, s1
	s_cbranch_execz .LBB279_162
; %bb.157:                              ;   in Loop: Header=BB279_11 Depth=1
	v_mov_b32_e32 v4, 0x7f800001
	v_bfe_u32 v3, v0, 16, 7
	v_mov_b32_e32 v5, 0
	s_mov_b32 s20, exec_lo
	scratch_store_b64 off, v[4:5], s32 offset:440 ; 8-byte Folded Spill
	v_cmpx_ne_u32_e32 0x7f, v3
	s_cbranch_execz .LBB279_161
; %bb.158:                              ;   in Loop: Header=BB279_11 Depth=1
	v_and_b32_e32 v78, 7, v1
	v_lshrrev_b32_e32 v2, 3, v3
	s_mov_b32 s21, exec_lo
	v_cmpx_gt_u32_e32 8, v3
; %bb.159:                              ;   in Loop: Header=BB279_11 Depth=1
	s_delay_alu instid0(VALU_DEP_3) | instskip(NEXT) | instid1(VALU_DEP_1)
	v_clz_i32_u32_e32 v2, v78
	v_min_u32_e32 v2, 32, v2
	s_delay_alu instid0(VALU_DEP_1) | instskip(SKIP_1) | instid1(VALU_DEP_2)
	v_subrev_nc_u32_e32 v3, 28, v2
	v_sub_nc_u32_e32 v2, 29, v2
	v_lshlrev_b64 v[3:4], v3, v[78:79]
	s_delay_alu instid0(VALU_DEP_1)
	v_and_b32_e32 v78, 7, v3
; %bb.160:                              ;   in Loop: Header=BB279_11 Depth=1
	s_or_b32 exec_lo, exec_lo, s21
	v_lshlrev_b32_e32 v1, 24, v1
	s_delay_alu instid0(VALU_DEP_2) | instskip(SKIP_1) | instid1(VALU_DEP_3)
	v_lshlrev_b32_e32 v3, 20, v78
	v_lshl_add_u32 v2, v2, 23, 0x3c000000
	v_and_b32_e32 v1, 0x80000000, v1
	s_delay_alu instid0(VALU_DEP_1)
	v_or3_b32 v78, v3, v1, v2
	scratch_store_b64 off, v[78:79], s32 offset:440 ; 8-byte Folded Spill
.LBB279_161:                            ;   in Loop: Header=BB279_11 Depth=1
	s_or_b32 exec_lo, exec_lo, s20
.LBB279_162:                            ;   in Loop: Header=BB279_11 Depth=1
	s_delay_alu instid0(SALU_CYCLE_1)
	s_or_b32 exec_lo, exec_lo, s19
.LBB279_163:                            ;   in Loop: Header=BB279_11 Depth=1
	s_delay_alu instid0(SALU_CYCLE_1) | instskip(NEXT) | instid1(SALU_CYCLE_1)
	s_or_b32 exec_lo, exec_lo, s8
	s_mov_b32 s19, exec_lo
	v_cmpx_lt_u32_e32 0xffffff, v0
	s_cbranch_execz .LBB279_171
; %bb.164:                              ;   in Loop: Header=BB279_11 Depth=1
	v_lshrrev_b32_e32 v1, 24, v0
	v_dual_mov_b32 v171, s3 :: v_dual_mov_b32 v170, s2
	s_mov_b32 s20, exec_lo
	s_delay_alu instid0(VALU_DEP_2)
	v_cmpx_ne_u32_e32 0x80, v1
	s_cbranch_execz .LBB279_170
; %bb.165:                              ;   in Loop: Header=BB279_11 Depth=1
	s_mov_b32 s8, s2
	v_bfe_u32 v2, v0, 24, 7
	v_dual_mov_b32 v171, s9 :: v_dual_mov_b32 v170, s8
	s_mov_b32 s8, exec_lo
	s_delay_alu instid0(VALU_DEP_2)
	v_cmpx_ne_u32_e32 0x7f, v2
	s_cbranch_execz .LBB279_169
; %bb.166:                              ;   in Loop: Header=BB279_11 Depth=1
	v_and_b32_e32 v78, 7, v1
	v_lshrrev_b32_e32 v0, 3, v2
	s_mov_b32 s21, exec_lo
	v_cmpx_gt_u32_e32 8, v2
; %bb.167:                              ;   in Loop: Header=BB279_11 Depth=1
	s_delay_alu instid0(VALU_DEP_3) | instskip(NEXT) | instid1(VALU_DEP_1)
	v_clz_i32_u32_e32 v0, v78
	v_min_u32_e32 v0, 32, v0
	s_delay_alu instid0(VALU_DEP_1) | instskip(SKIP_1) | instid1(VALU_DEP_2)
	v_subrev_nc_u32_e32 v2, 28, v0
	v_sub_nc_u32_e32 v0, 29, v0
	v_lshlrev_b64 v[2:3], v2, v[78:79]
	s_delay_alu instid0(VALU_DEP_1)
	v_and_b32_e32 v78, 7, v2
; %bb.168:                              ;   in Loop: Header=BB279_11 Depth=1
	s_or_b32 exec_lo, exec_lo, s21
	v_dual_mov_b32 v170, v79 :: v_dual_lshlrev_b32 v1, 24, v1
	s_delay_alu instid0(VALU_DEP_2) | instskip(SKIP_1) | instid1(VALU_DEP_3)
	v_lshlrev_b32_e32 v2, 20, v78
	v_lshl_add_u32 v0, v0, 23, 0x3c000000
	v_and_b32_e32 v1, 0x80000000, v1
	s_delay_alu instid0(VALU_DEP_1)
	v_or3_b32 v171, v2, v1, v0
.LBB279_169:                            ;   in Loop: Header=BB279_11 Depth=1
	s_or_b32 exec_lo, exec_lo, s8
.LBB279_170:                            ;   in Loop: Header=BB279_11 Depth=1
	s_delay_alu instid0(SALU_CYCLE_1)
	s_or_b32 exec_lo, exec_lo, s20
.LBB279_171:                            ;   in Loop: Header=BB279_11 Depth=1
	s_delay_alu instid0(SALU_CYCLE_1)
	s_or_b32 exec_lo, exec_lo, s19
	flat_load_b32 v0, v[136:137] offset:516
	v_mov_b32_e32 v174, 0
	v_mov_b32_e32 v175, 0
	s_mov_b32 s8, exec_lo
	scratch_store_b64 off, v[174:175], s32 offset:464 ; 8-byte Folded Spill
	s_waitcnt vmcnt(0) lgkmcnt(0)
	v_and_b32_e32 v1, 0xff, v0
	s_delay_alu instid0(VALU_DEP_1)
	v_cmpx_ne_u16_e32 0, v1
	s_cbranch_execz .LBB279_179
; %bb.172:                              ;   in Loop: Header=BB279_11 Depth=1
	v_cmp_ne_u16_e64 s1, 0x80, v1
	v_bfrev_b32_e32 v1, 1
	v_mov_b32_e32 v2, 0
	scratch_store_b64 off, v[1:2], s32 offset:464 ; 8-byte Folded Spill
	s_and_saveexec_b32 s19, s1
	s_cbranch_execz .LBB279_178
; %bb.173:                              ;   in Loop: Header=BB279_11 Depth=1
	v_mov_b32_e32 v3, 0x7f800001
	v_and_b32_e32 v2, 0x7f, v0
	v_mov_b32_e32 v4, 0
	s_mov_b32 s20, exec_lo
	scratch_store_b64 off, v[3:4], s32 offset:464 ; 8-byte Folded Spill
	v_cmpx_ne_u32_e32 0x7f, v2
	s_cbranch_execz .LBB279_177
; %bb.174:                              ;   in Loop: Header=BB279_11 Depth=1
	v_and_b32_e32 v78, 7, v0
	v_lshrrev_b32_e32 v1, 3, v2
	s_mov_b32 s21, exec_lo
	v_cmpx_gt_u32_e32 8, v2
; %bb.175:                              ;   in Loop: Header=BB279_11 Depth=1
	s_delay_alu instid0(VALU_DEP_3) | instskip(NEXT) | instid1(VALU_DEP_1)
	v_clz_i32_u32_e32 v1, v78
	v_min_u32_e32 v1, 32, v1
	s_delay_alu instid0(VALU_DEP_1) | instskip(SKIP_1) | instid1(VALU_DEP_2)
	v_subrev_nc_u32_e32 v2, 28, v1
	v_sub_nc_u32_e32 v1, 29, v1
	v_lshlrev_b64 v[2:3], v2, v[78:79]
	s_delay_alu instid0(VALU_DEP_1)
	v_and_b32_e32 v78, 7, v2
; %bb.176:                              ;   in Loop: Header=BB279_11 Depth=1
	s_or_b32 exec_lo, exec_lo, s21
	v_lshlrev_b32_e32 v2, 24, v0
	s_delay_alu instid0(VALU_DEP_2) | instskip(SKIP_1) | instid1(VALU_DEP_3)
	v_lshlrev_b32_e32 v3, 20, v78
	v_lshl_add_u32 v1, v1, 23, 0x3c000000
	v_and_b32_e32 v2, 0x80000000, v2
	s_delay_alu instid0(VALU_DEP_1)
	v_or3_b32 v78, v3, v2, v1
	scratch_store_b64 off, v[78:79], s32 offset:464 ; 8-byte Folded Spill
.LBB279_177:                            ;   in Loop: Header=BB279_11 Depth=1
	s_or_b32 exec_lo, exec_lo, s20
.LBB279_178:                            ;   in Loop: Header=BB279_11 Depth=1
	s_delay_alu instid0(SALU_CYCLE_1)
	s_or_b32 exec_lo, exec_lo, s19
.LBB279_179:                            ;   in Loop: Header=BB279_11 Depth=1
	s_delay_alu instid0(SALU_CYCLE_1) | instskip(SKIP_2) | instid1(VALU_DEP_1)
	s_or_b32 exec_lo, exec_lo, s8
	v_lshrrev_b16 v1, 8, v0
	s_mov_b32 s19, exec_lo
	v_cmpx_ne_u16_e32 0, v1
	s_cbranch_execz .LBB279_187
; %bb.180:                              ;   in Loop: Header=BB279_11 Depth=1
	v_dual_mov_b32 v175, s3 :: v_dual_mov_b32 v174, s2
	s_mov_b32 s20, exec_lo
	v_cmpx_ne_u16_e32 0x80, v1
	s_cbranch_execz .LBB279_186
; %bb.181:                              ;   in Loop: Header=BB279_11 Depth=1
	s_mov_b32 s8, s2
	v_and_b32_e32 v1, 0xffff, v1
	v_dual_mov_b32 v175, s9 :: v_dual_mov_b32 v174, s8
	s_mov_b32 s8, exec_lo
	s_delay_alu instid0(VALU_DEP_2) | instskip(NEXT) | instid1(VALU_DEP_1)
	v_and_b32_e32 v2, 0x7f, v1
	v_cmpx_ne_u32_e32 0x7f, v2
	s_cbranch_execz .LBB279_185
; %bb.182:                              ;   in Loop: Header=BB279_11 Depth=1
	v_and_b32_e32 v78, 7, v1
	v_lshrrev_b32_e32 v1, 3, v2
	s_mov_b32 s21, exec_lo
	v_cmpx_gt_u32_e32 8, v2
; %bb.183:                              ;   in Loop: Header=BB279_11 Depth=1
	s_delay_alu instid0(VALU_DEP_3) | instskip(NEXT) | instid1(VALU_DEP_1)
	v_clz_i32_u32_e32 v1, v78
	v_min_u32_e32 v1, 32, v1
	s_delay_alu instid0(VALU_DEP_1) | instskip(SKIP_1) | instid1(VALU_DEP_2)
	v_subrev_nc_u32_e32 v2, 28, v1
	v_sub_nc_u32_e32 v1, 29, v1
	v_lshlrev_b64 v[2:3], v2, v[78:79]
	s_delay_alu instid0(VALU_DEP_1)
	v_and_b32_e32 v78, 7, v2
; %bb.184:                              ;   in Loop: Header=BB279_11 Depth=1
	s_or_b32 exec_lo, exec_lo, s21
	v_lshlrev_b32_e32 v2, 16, v0
	s_delay_alu instid0(VALU_DEP_2) | instskip(SKIP_1) | instid1(VALU_DEP_3)
	v_dual_mov_b32 v174, v79 :: v_dual_lshlrev_b32 v3, 20, v78
	v_lshl_add_u32 v1, v1, 23, 0x3c000000
	v_and_b32_e32 v2, 0x80000000, v2
	s_delay_alu instid0(VALU_DEP_1)
	v_or3_b32 v175, v3, v2, v1
.LBB279_185:                            ;   in Loop: Header=BB279_11 Depth=1
	s_or_b32 exec_lo, exec_lo, s8
.LBB279_186:                            ;   in Loop: Header=BB279_11 Depth=1
	s_delay_alu instid0(SALU_CYCLE_1)
	s_or_b32 exec_lo, exec_lo, s20
.LBB279_187:                            ;   in Loop: Header=BB279_11 Depth=1
	s_delay_alu instid0(SALU_CYCLE_1) | instskip(SKIP_4) | instid1(VALU_DEP_3)
	s_or_b32 exec_lo, exec_lo, s19
	v_lshrrev_b32_e32 v1, 16, v0
	v_mov_b32_e32 v186, 0
	v_mov_b32_e32 v187, 0
	s_mov_b32 s8, exec_lo
	v_and_b32_e32 v2, 0xff, v1
	scratch_store_b64 off, v[186:187], s32 offset:456 ; 8-byte Folded Spill
	v_cmpx_ne_u16_e32 0, v2
	s_cbranch_execz .LBB279_195
; %bb.188:                              ;   in Loop: Header=BB279_11 Depth=1
	v_cmp_ne_u16_e64 s1, 0x80, v2
	v_bfrev_b32_e32 v2, 1
	v_mov_b32_e32 v3, 0
	scratch_store_b64 off, v[2:3], s32 offset:456 ; 8-byte Folded Spill
	s_and_saveexec_b32 s19, s1
	s_cbranch_execz .LBB279_194
; %bb.189:                              ;   in Loop: Header=BB279_11 Depth=1
	v_mov_b32_e32 v4, 0x7f800001
	v_bfe_u32 v3, v0, 16, 7
	v_mov_b32_e32 v5, 0
	s_mov_b32 s20, exec_lo
	scratch_store_b64 off, v[4:5], s32 offset:456 ; 8-byte Folded Spill
	v_cmpx_ne_u32_e32 0x7f, v3
	s_cbranch_execz .LBB279_193
; %bb.190:                              ;   in Loop: Header=BB279_11 Depth=1
	v_and_b32_e32 v78, 7, v1
	v_lshrrev_b32_e32 v2, 3, v3
	s_mov_b32 s21, exec_lo
	v_cmpx_gt_u32_e32 8, v3
; %bb.191:                              ;   in Loop: Header=BB279_11 Depth=1
	s_delay_alu instid0(VALU_DEP_3) | instskip(NEXT) | instid1(VALU_DEP_1)
	v_clz_i32_u32_e32 v2, v78
	v_min_u32_e32 v2, 32, v2
	s_delay_alu instid0(VALU_DEP_1) | instskip(SKIP_1) | instid1(VALU_DEP_2)
	v_subrev_nc_u32_e32 v3, 28, v2
	v_sub_nc_u32_e32 v2, 29, v2
	v_lshlrev_b64 v[3:4], v3, v[78:79]
	s_delay_alu instid0(VALU_DEP_1)
	v_and_b32_e32 v78, 7, v3
; %bb.192:                              ;   in Loop: Header=BB279_11 Depth=1
	s_or_b32 exec_lo, exec_lo, s21
	v_lshlrev_b32_e32 v1, 24, v1
	s_delay_alu instid0(VALU_DEP_2) | instskip(SKIP_1) | instid1(VALU_DEP_3)
	v_lshlrev_b32_e32 v3, 20, v78
	v_lshl_add_u32 v2, v2, 23, 0x3c000000
	v_and_b32_e32 v1, 0x80000000, v1
	s_delay_alu instid0(VALU_DEP_1)
	v_or3_b32 v78, v3, v1, v2
	scratch_store_b64 off, v[78:79], s32 offset:456 ; 8-byte Folded Spill
.LBB279_193:                            ;   in Loop: Header=BB279_11 Depth=1
	s_or_b32 exec_lo, exec_lo, s20
.LBB279_194:                            ;   in Loop: Header=BB279_11 Depth=1
	s_delay_alu instid0(SALU_CYCLE_1)
	s_or_b32 exec_lo, exec_lo, s19
.LBB279_195:                            ;   in Loop: Header=BB279_11 Depth=1
	s_delay_alu instid0(SALU_CYCLE_1) | instskip(NEXT) | instid1(SALU_CYCLE_1)
	s_or_b32 exec_lo, exec_lo, s8
	s_mov_b32 s19, exec_lo
	v_cmpx_lt_u32_e32 0xffffff, v0
	s_cbranch_execz .LBB279_203
; %bb.196:                              ;   in Loop: Header=BB279_11 Depth=1
	v_lshrrev_b32_e32 v1, 24, v0
	v_dual_mov_b32 v187, s3 :: v_dual_mov_b32 v186, s2
	s_mov_b32 s20, exec_lo
	s_delay_alu instid0(VALU_DEP_2)
	v_cmpx_ne_u32_e32 0x80, v1
	s_cbranch_execz .LBB279_202
; %bb.197:                              ;   in Loop: Header=BB279_11 Depth=1
	s_mov_b32 s8, s2
	v_bfe_u32 v2, v0, 24, 7
	v_dual_mov_b32 v187, s9 :: v_dual_mov_b32 v186, s8
	s_mov_b32 s8, exec_lo
	s_delay_alu instid0(VALU_DEP_2)
	v_cmpx_ne_u32_e32 0x7f, v2
	s_cbranch_execz .LBB279_201
; %bb.198:                              ;   in Loop: Header=BB279_11 Depth=1
	v_and_b32_e32 v78, 7, v1
	v_lshrrev_b32_e32 v0, 3, v2
	s_mov_b32 s21, exec_lo
	v_cmpx_gt_u32_e32 8, v2
; %bb.199:                              ;   in Loop: Header=BB279_11 Depth=1
	s_delay_alu instid0(VALU_DEP_3) | instskip(NEXT) | instid1(VALU_DEP_1)
	v_clz_i32_u32_e32 v0, v78
	v_min_u32_e32 v0, 32, v0
	s_delay_alu instid0(VALU_DEP_1) | instskip(SKIP_1) | instid1(VALU_DEP_2)
	v_subrev_nc_u32_e32 v2, 28, v0
	v_sub_nc_u32_e32 v0, 29, v0
	v_lshlrev_b64 v[2:3], v2, v[78:79]
	s_delay_alu instid0(VALU_DEP_1)
	v_and_b32_e32 v78, 7, v2
; %bb.200:                              ;   in Loop: Header=BB279_11 Depth=1
	s_or_b32 exec_lo, exec_lo, s21
	v_dual_mov_b32 v186, v79 :: v_dual_lshlrev_b32 v1, 24, v1
	s_delay_alu instid0(VALU_DEP_2) | instskip(SKIP_1) | instid1(VALU_DEP_3)
	v_lshlrev_b32_e32 v2, 20, v78
	v_lshl_add_u32 v0, v0, 23, 0x3c000000
	v_and_b32_e32 v1, 0x80000000, v1
	s_delay_alu instid0(VALU_DEP_1)
	v_or3_b32 v187, v2, v1, v0
.LBB279_201:                            ;   in Loop: Header=BB279_11 Depth=1
	s_or_b32 exec_lo, exec_lo, s8
.LBB279_202:                            ;   in Loop: Header=BB279_11 Depth=1
	s_delay_alu instid0(SALU_CYCLE_1)
	s_or_b32 exec_lo, exec_lo, s20
.LBB279_203:                            ;   in Loop: Header=BB279_11 Depth=1
	s_delay_alu instid0(SALU_CYCLE_1)
	s_or_b32 exec_lo, exec_lo, s19
	flat_load_b32 v0, v[136:137] offset:520
	v_mov_b32_e32 v190, 0
	v_mov_b32_e32 v191, 0
	s_mov_b32 s8, exec_lo
	scratch_store_b64 off, v[190:191], s32 offset:480 ; 8-byte Folded Spill
	s_waitcnt vmcnt(0) lgkmcnt(0)
	v_and_b32_e32 v1, 0xff, v0
	s_delay_alu instid0(VALU_DEP_1)
	v_cmpx_ne_u16_e32 0, v1
	s_cbranch_execz .LBB279_211
; %bb.204:                              ;   in Loop: Header=BB279_11 Depth=1
	v_cmp_ne_u16_e64 s1, 0x80, v1
	v_bfrev_b32_e32 v1, 1
	v_mov_b32_e32 v2, 0
	scratch_store_b64 off, v[1:2], s32 offset:480 ; 8-byte Folded Spill
	s_and_saveexec_b32 s19, s1
	s_cbranch_execz .LBB279_210
; %bb.205:                              ;   in Loop: Header=BB279_11 Depth=1
	v_mov_b32_e32 v3, 0x7f800001
	v_and_b32_e32 v2, 0x7f, v0
	v_mov_b32_e32 v4, 0
	s_mov_b32 s20, exec_lo
	scratch_store_b64 off, v[3:4], s32 offset:480 ; 8-byte Folded Spill
	v_cmpx_ne_u32_e32 0x7f, v2
	s_cbranch_execz .LBB279_209
; %bb.206:                              ;   in Loop: Header=BB279_11 Depth=1
	v_and_b32_e32 v78, 7, v0
	v_lshrrev_b32_e32 v1, 3, v2
	s_mov_b32 s21, exec_lo
	v_cmpx_gt_u32_e32 8, v2
; %bb.207:                              ;   in Loop: Header=BB279_11 Depth=1
	s_delay_alu instid0(VALU_DEP_3) | instskip(NEXT) | instid1(VALU_DEP_1)
	v_clz_i32_u32_e32 v1, v78
	v_min_u32_e32 v1, 32, v1
	s_delay_alu instid0(VALU_DEP_1) | instskip(SKIP_1) | instid1(VALU_DEP_2)
	v_subrev_nc_u32_e32 v2, 28, v1
	v_sub_nc_u32_e32 v1, 29, v1
	v_lshlrev_b64 v[2:3], v2, v[78:79]
	s_delay_alu instid0(VALU_DEP_1)
	v_and_b32_e32 v78, 7, v2
; %bb.208:                              ;   in Loop: Header=BB279_11 Depth=1
	s_or_b32 exec_lo, exec_lo, s21
	v_lshlrev_b32_e32 v2, 24, v0
	s_delay_alu instid0(VALU_DEP_2) | instskip(SKIP_1) | instid1(VALU_DEP_3)
	v_lshlrev_b32_e32 v3, 20, v78
	v_lshl_add_u32 v1, v1, 23, 0x3c000000
	v_and_b32_e32 v2, 0x80000000, v2
	s_delay_alu instid0(VALU_DEP_1)
	v_or3_b32 v78, v3, v2, v1
	scratch_store_b64 off, v[78:79], s32 offset:480 ; 8-byte Folded Spill
.LBB279_209:                            ;   in Loop: Header=BB279_11 Depth=1
	s_or_b32 exec_lo, exec_lo, s20
.LBB279_210:                            ;   in Loop: Header=BB279_11 Depth=1
	s_delay_alu instid0(SALU_CYCLE_1)
	s_or_b32 exec_lo, exec_lo, s19
.LBB279_211:                            ;   in Loop: Header=BB279_11 Depth=1
	s_delay_alu instid0(SALU_CYCLE_1) | instskip(SKIP_2) | instid1(VALU_DEP_1)
	s_or_b32 exec_lo, exec_lo, s8
	v_lshrrev_b16 v1, 8, v0
	s_mov_b32 s19, exec_lo
	v_cmpx_ne_u16_e32 0, v1
	s_cbranch_execz .LBB279_219
; %bb.212:                              ;   in Loop: Header=BB279_11 Depth=1
	v_dual_mov_b32 v191, s3 :: v_dual_mov_b32 v190, s2
	s_mov_b32 s20, exec_lo
	v_cmpx_ne_u16_e32 0x80, v1
	s_cbranch_execz .LBB279_218
; %bb.213:                              ;   in Loop: Header=BB279_11 Depth=1
	s_mov_b32 s8, s2
	v_and_b32_e32 v1, 0xffff, v1
	v_dual_mov_b32 v191, s9 :: v_dual_mov_b32 v190, s8
	s_mov_b32 s8, exec_lo
	s_delay_alu instid0(VALU_DEP_2) | instskip(NEXT) | instid1(VALU_DEP_1)
	v_and_b32_e32 v2, 0x7f, v1
	v_cmpx_ne_u32_e32 0x7f, v2
	s_cbranch_execz .LBB279_217
; %bb.214:                              ;   in Loop: Header=BB279_11 Depth=1
	v_and_b32_e32 v78, 7, v1
	v_lshrrev_b32_e32 v1, 3, v2
	s_mov_b32 s21, exec_lo
	v_cmpx_gt_u32_e32 8, v2
; %bb.215:                              ;   in Loop: Header=BB279_11 Depth=1
	s_delay_alu instid0(VALU_DEP_3) | instskip(NEXT) | instid1(VALU_DEP_1)
	v_clz_i32_u32_e32 v1, v78
	v_min_u32_e32 v1, 32, v1
	s_delay_alu instid0(VALU_DEP_1) | instskip(SKIP_1) | instid1(VALU_DEP_2)
	v_subrev_nc_u32_e32 v2, 28, v1
	v_sub_nc_u32_e32 v1, 29, v1
	v_lshlrev_b64 v[2:3], v2, v[78:79]
	s_delay_alu instid0(VALU_DEP_1)
	v_and_b32_e32 v78, 7, v2
; %bb.216:                              ;   in Loop: Header=BB279_11 Depth=1
	s_or_b32 exec_lo, exec_lo, s21
	v_lshlrev_b32_e32 v2, 16, v0
	s_delay_alu instid0(VALU_DEP_2) | instskip(SKIP_1) | instid1(VALU_DEP_3)
	v_dual_mov_b32 v190, v79 :: v_dual_lshlrev_b32 v3, 20, v78
	v_lshl_add_u32 v1, v1, 23, 0x3c000000
	v_and_b32_e32 v2, 0x80000000, v2
	s_delay_alu instid0(VALU_DEP_1)
	v_or3_b32 v191, v3, v2, v1
.LBB279_217:                            ;   in Loop: Header=BB279_11 Depth=1
	s_or_b32 exec_lo, exec_lo, s8
.LBB279_218:                            ;   in Loop: Header=BB279_11 Depth=1
	s_delay_alu instid0(SALU_CYCLE_1)
	s_or_b32 exec_lo, exec_lo, s20
.LBB279_219:                            ;   in Loop: Header=BB279_11 Depth=1
	s_delay_alu instid0(SALU_CYCLE_1) | instskip(SKIP_4) | instid1(VALU_DEP_3)
	s_or_b32 exec_lo, exec_lo, s19
	v_lshrrev_b32_e32 v1, 16, v0
	v_mov_b32_e32 v11, 0
	v_mov_b32_e32 v12, 0
	s_mov_b32 s8, exec_lo
	v_and_b32_e32 v2, 0xff, v1
	scratch_store_b64 off, v[11:12], s32 offset:472 ; 8-byte Folded Spill
	v_cmpx_ne_u16_e32 0, v2
	s_cbranch_execz .LBB279_227
; %bb.220:                              ;   in Loop: Header=BB279_11 Depth=1
	v_cmp_ne_u16_e64 s1, 0x80, v2
	v_bfrev_b32_e32 v2, 1
	v_mov_b32_e32 v3, 0
	scratch_store_b64 off, v[2:3], s32 offset:472 ; 8-byte Folded Spill
	s_and_saveexec_b32 s19, s1
	s_cbranch_execz .LBB279_226
; %bb.221:                              ;   in Loop: Header=BB279_11 Depth=1
	v_mov_b32_e32 v4, 0x7f800001
	v_bfe_u32 v3, v0, 16, 7
	v_mov_b32_e32 v5, 0
	s_mov_b32 s20, exec_lo
	scratch_store_b64 off, v[4:5], s32 offset:472 ; 8-byte Folded Spill
	v_cmpx_ne_u32_e32 0x7f, v3
	s_cbranch_execz .LBB279_225
; %bb.222:                              ;   in Loop: Header=BB279_11 Depth=1
	v_and_b32_e32 v78, 7, v1
	v_lshrrev_b32_e32 v2, 3, v3
	s_mov_b32 s21, exec_lo
	v_cmpx_gt_u32_e32 8, v3
; %bb.223:                              ;   in Loop: Header=BB279_11 Depth=1
	s_delay_alu instid0(VALU_DEP_3) | instskip(NEXT) | instid1(VALU_DEP_1)
	v_clz_i32_u32_e32 v2, v78
	v_min_u32_e32 v2, 32, v2
	s_delay_alu instid0(VALU_DEP_1) | instskip(SKIP_1) | instid1(VALU_DEP_2)
	v_subrev_nc_u32_e32 v3, 28, v2
	v_sub_nc_u32_e32 v2, 29, v2
	v_lshlrev_b64 v[3:4], v3, v[78:79]
	s_delay_alu instid0(VALU_DEP_1)
	v_and_b32_e32 v78, 7, v3
; %bb.224:                              ;   in Loop: Header=BB279_11 Depth=1
	s_or_b32 exec_lo, exec_lo, s21
	v_lshlrev_b32_e32 v1, 24, v1
	s_delay_alu instid0(VALU_DEP_2) | instskip(SKIP_1) | instid1(VALU_DEP_3)
	v_lshlrev_b32_e32 v3, 20, v78
	v_lshl_add_u32 v2, v2, 23, 0x3c000000
	v_and_b32_e32 v1, 0x80000000, v1
	s_delay_alu instid0(VALU_DEP_1)
	v_or3_b32 v78, v3, v1, v2
	scratch_store_b64 off, v[78:79], s32 offset:472 ; 8-byte Folded Spill
.LBB279_225:                            ;   in Loop: Header=BB279_11 Depth=1
	s_or_b32 exec_lo, exec_lo, s20
.LBB279_226:                            ;   in Loop: Header=BB279_11 Depth=1
	s_delay_alu instid0(SALU_CYCLE_1)
	s_or_b32 exec_lo, exec_lo, s19
.LBB279_227:                            ;   in Loop: Header=BB279_11 Depth=1
	s_delay_alu instid0(SALU_CYCLE_1) | instskip(NEXT) | instid1(SALU_CYCLE_1)
	s_or_b32 exec_lo, exec_lo, s8
	s_mov_b32 s19, exec_lo
	v_cmpx_lt_u32_e32 0xffffff, v0
	s_cbranch_execz .LBB279_235
; %bb.228:                              ;   in Loop: Header=BB279_11 Depth=1
	v_lshrrev_b32_e32 v1, 24, v0
	v_dual_mov_b32 v12, s3 :: v_dual_mov_b32 v11, s2
	s_mov_b32 s20, exec_lo
	s_delay_alu instid0(VALU_DEP_2)
	v_cmpx_ne_u32_e32 0x80, v1
	s_cbranch_execz .LBB279_234
; %bb.229:                              ;   in Loop: Header=BB279_11 Depth=1
	s_mov_b32 s8, s2
	v_bfe_u32 v2, v0, 24, 7
	v_dual_mov_b32 v12, s9 :: v_dual_mov_b32 v11, s8
	s_mov_b32 s8, exec_lo
	s_delay_alu instid0(VALU_DEP_2)
	v_cmpx_ne_u32_e32 0x7f, v2
	s_cbranch_execz .LBB279_233
; %bb.230:                              ;   in Loop: Header=BB279_11 Depth=1
	v_and_b32_e32 v78, 7, v1
	v_lshrrev_b32_e32 v0, 3, v2
	s_mov_b32 s21, exec_lo
	v_cmpx_gt_u32_e32 8, v2
; %bb.231:                              ;   in Loop: Header=BB279_11 Depth=1
	s_delay_alu instid0(VALU_DEP_3) | instskip(NEXT) | instid1(VALU_DEP_1)
	v_clz_i32_u32_e32 v0, v78
	v_min_u32_e32 v0, 32, v0
	s_delay_alu instid0(VALU_DEP_1) | instskip(SKIP_1) | instid1(VALU_DEP_2)
	v_subrev_nc_u32_e32 v2, 28, v0
	v_sub_nc_u32_e32 v0, 29, v0
	v_lshlrev_b64 v[2:3], v2, v[78:79]
	s_delay_alu instid0(VALU_DEP_1)
	v_and_b32_e32 v78, 7, v2
; %bb.232:                              ;   in Loop: Header=BB279_11 Depth=1
	s_or_b32 exec_lo, exec_lo, s21
	v_lshlrev_b32_e32 v1, 24, v1
	s_delay_alu instid0(VALU_DEP_2) | instskip(SKIP_1) | instid1(VALU_DEP_3)
	v_dual_mov_b32 v11, v79 :: v_dual_lshlrev_b32 v2, 20, v78
	v_lshl_add_u32 v0, v0, 23, 0x3c000000
	v_and_b32_e32 v1, 0x80000000, v1
	s_delay_alu instid0(VALU_DEP_1)
	v_or3_b32 v12, v2, v1, v0
.LBB279_233:                            ;   in Loop: Header=BB279_11 Depth=1
	s_or_b32 exec_lo, exec_lo, s8
.LBB279_234:                            ;   in Loop: Header=BB279_11 Depth=1
	s_delay_alu instid0(SALU_CYCLE_1)
	s_or_b32 exec_lo, exec_lo, s20
.LBB279_235:                            ;   in Loop: Header=BB279_11 Depth=1
	s_delay_alu instid0(SALU_CYCLE_1)
	s_or_b32 exec_lo, exec_lo, s19
	flat_load_b32 v2, v[136:137] offset:524
	v_mov_b32_e32 v0, 0
	v_mov_b32_e32 v1, 0
	s_mov_b32 s8, exec_lo
	scratch_store_b64 off, v[0:1], s32 offset:496 ; 8-byte Folded Spill
	s_waitcnt vmcnt(0) lgkmcnt(0)
	v_and_b32_e32 v3, 0xff, v2
	s_delay_alu instid0(VALU_DEP_1)
	v_cmpx_ne_u16_e32 0, v3
	s_cbranch_execz .LBB279_243
; %bb.236:                              ;   in Loop: Header=BB279_11 Depth=1
	v_cmp_ne_u16_e64 s1, 0x80, v3
	v_bfrev_b32_e32 v3, 1
	v_mov_b32_e32 v4, 0
	scratch_store_b64 off, v[3:4], s32 offset:496 ; 8-byte Folded Spill
	s_and_saveexec_b32 s19, s1
	s_cbranch_execz .LBB279_242
; %bb.237:                              ;   in Loop: Header=BB279_11 Depth=1
	v_mov_b32_e32 v5, 0x7f800001
	v_and_b32_e32 v4, 0x7f, v2
	v_mov_b32_e32 v6, 0
	s_mov_b32 s20, exec_lo
	scratch_store_b64 off, v[5:6], s32 offset:496 ; 8-byte Folded Spill
	v_cmpx_ne_u32_e32 0x7f, v4
	s_cbranch_execz .LBB279_241
; %bb.238:                              ;   in Loop: Header=BB279_11 Depth=1
	v_and_b32_e32 v78, 7, v2
	v_lshrrev_b32_e32 v3, 3, v4
	s_mov_b32 s21, exec_lo
	v_cmpx_gt_u32_e32 8, v4
; %bb.239:                              ;   in Loop: Header=BB279_11 Depth=1
	s_delay_alu instid0(VALU_DEP_3) | instskip(NEXT) | instid1(VALU_DEP_1)
	v_clz_i32_u32_e32 v3, v78
	v_min_u32_e32 v3, 32, v3
	s_delay_alu instid0(VALU_DEP_1) | instskip(SKIP_1) | instid1(VALU_DEP_2)
	v_subrev_nc_u32_e32 v4, 28, v3
	v_sub_nc_u32_e32 v3, 29, v3
	v_lshlrev_b64 v[4:5], v4, v[78:79]
	s_delay_alu instid0(VALU_DEP_1)
	v_and_b32_e32 v78, 7, v4
; %bb.240:                              ;   in Loop: Header=BB279_11 Depth=1
	s_or_b32 exec_lo, exec_lo, s21
	v_lshlrev_b32_e32 v4, 24, v2
	s_delay_alu instid0(VALU_DEP_2) | instskip(SKIP_1) | instid1(VALU_DEP_3)
	v_lshlrev_b32_e32 v5, 20, v78
	v_lshl_add_u32 v3, v3, 23, 0x3c000000
	v_and_b32_e32 v4, 0x80000000, v4
	s_delay_alu instid0(VALU_DEP_1)
	v_or3_b32 v78, v5, v4, v3
	scratch_store_b64 off, v[78:79], s32 offset:496 ; 8-byte Folded Spill
.LBB279_241:                            ;   in Loop: Header=BB279_11 Depth=1
	s_or_b32 exec_lo, exec_lo, s20
.LBB279_242:                            ;   in Loop: Header=BB279_11 Depth=1
	s_delay_alu instid0(SALU_CYCLE_1)
	s_or_b32 exec_lo, exec_lo, s19
.LBB279_243:                            ;   in Loop: Header=BB279_11 Depth=1
	s_delay_alu instid0(SALU_CYCLE_1) | instskip(SKIP_2) | instid1(VALU_DEP_1)
	s_or_b32 exec_lo, exec_lo, s8
	v_lshrrev_b16 v3, 8, v2
	s_mov_b32 s19, exec_lo
	v_cmpx_ne_u16_e32 0, v3
	s_cbranch_execz .LBB279_251
; %bb.244:                              ;   in Loop: Header=BB279_11 Depth=1
	v_dual_mov_b32 v0, s2 :: v_dual_mov_b32 v1, s3
	s_mov_b32 s20, exec_lo
	v_cmpx_ne_u16_e32 0x80, v3
	s_cbranch_execz .LBB279_250
; %bb.245:                              ;   in Loop: Header=BB279_11 Depth=1
	s_mov_b32 s8, s2
	v_and_b32_e32 v4, 0xffff, v3
	v_dual_mov_b32 v0, s8 :: v_dual_mov_b32 v1, s9
	s_mov_b32 s8, exec_lo
	s_delay_alu instid0(VALU_DEP_2) | instskip(NEXT) | instid1(VALU_DEP_1)
	v_and_b32_e32 v3, 0x7f, v4
	v_cmpx_ne_u32_e32 0x7f, v3
	s_cbranch_execz .LBB279_249
; %bb.246:                              ;   in Loop: Header=BB279_11 Depth=1
	v_and_b32_e32 v78, 7, v4
	v_lshrrev_b32_e32 v0, 3, v3
	s_mov_b32 s21, exec_lo
	v_cmpx_gt_u32_e32 8, v3
; %bb.247:                              ;   in Loop: Header=BB279_11 Depth=1
	s_delay_alu instid0(VALU_DEP_3) | instskip(NEXT) | instid1(VALU_DEP_1)
	v_clz_i32_u32_e32 v0, v78
	v_min_u32_e32 v0, 32, v0
	s_delay_alu instid0(VALU_DEP_1) | instskip(SKIP_1) | instid1(VALU_DEP_2)
	v_subrev_nc_u32_e32 v1, 28, v0
	v_sub_nc_u32_e32 v0, 29, v0
	v_lshlrev_b64 v[3:4], v1, v[78:79]
	s_delay_alu instid0(VALU_DEP_1)
	v_and_b32_e32 v78, 7, v3
; %bb.248:                              ;   in Loop: Header=BB279_11 Depth=1
	s_or_b32 exec_lo, exec_lo, s21
	v_lshlrev_b32_e32 v1, 16, v2
	s_delay_alu instid0(VALU_DEP_2) | instskip(SKIP_1) | instid1(VALU_DEP_3)
	v_lshlrev_b32_e32 v3, 20, v78
	v_lshl_add_u32 v0, v0, 23, 0x3c000000
	v_and_b32_e32 v1, 0x80000000, v1
	s_delay_alu instid0(VALU_DEP_1)
	v_or3_b32 v1, v3, v1, v0
	v_mov_b32_e32 v0, v79
.LBB279_249:                            ;   in Loop: Header=BB279_11 Depth=1
	s_or_b32 exec_lo, exec_lo, s8
.LBB279_250:                            ;   in Loop: Header=BB279_11 Depth=1
	s_delay_alu instid0(SALU_CYCLE_1)
	s_or_b32 exec_lo, exec_lo, s20
.LBB279_251:                            ;   in Loop: Header=BB279_11 Depth=1
	s_delay_alu instid0(SALU_CYCLE_1) | instskip(SKIP_4) | instid1(VALU_DEP_3)
	s_or_b32 exec_lo, exec_lo, s19
	v_lshrrev_b32_e32 v3, 16, v2
	v_mov_b32_e32 v14, 0
	v_mov_b32_e32 v15, 0
	s_mov_b32 s8, exec_lo
	v_and_b32_e32 v4, 0xff, v3
	scratch_store_b64 off, v[14:15], s32 offset:488 ; 8-byte Folded Spill
	v_cmpx_ne_u16_e32 0, v4
	s_cbranch_execz .LBB279_259
; %bb.252:                              ;   in Loop: Header=BB279_11 Depth=1
	v_cmp_ne_u16_e64 s1, 0x80, v4
	v_bfrev_b32_e32 v4, 1
	v_mov_b32_e32 v5, 0
	scratch_store_b64 off, v[4:5], s32 offset:488 ; 8-byte Folded Spill
	s_and_saveexec_b32 s19, s1
	s_cbranch_execz .LBB279_258
; %bb.253:                              ;   in Loop: Header=BB279_11 Depth=1
	v_mov_b32_e32 v6, 0x7f800001
	v_bfe_u32 v5, v2, 16, 7
	v_mov_b32_e32 v7, 0
	s_mov_b32 s20, exec_lo
	scratch_store_b64 off, v[6:7], s32 offset:488 ; 8-byte Folded Spill
	v_cmpx_ne_u32_e32 0x7f, v5
	s_cbranch_execz .LBB279_257
; %bb.254:                              ;   in Loop: Header=BB279_11 Depth=1
	v_and_b32_e32 v78, 7, v3
	v_lshrrev_b32_e32 v4, 3, v5
	s_mov_b32 s21, exec_lo
	v_cmpx_gt_u32_e32 8, v5
; %bb.255:                              ;   in Loop: Header=BB279_11 Depth=1
	s_delay_alu instid0(VALU_DEP_3) | instskip(NEXT) | instid1(VALU_DEP_1)
	v_clz_i32_u32_e32 v4, v78
	v_min_u32_e32 v4, 32, v4
	s_delay_alu instid0(VALU_DEP_1) | instskip(SKIP_1) | instid1(VALU_DEP_2)
	v_subrev_nc_u32_e32 v5, 28, v4
	v_sub_nc_u32_e32 v4, 29, v4
	v_lshlrev_b64 v[5:6], v5, v[78:79]
	s_delay_alu instid0(VALU_DEP_1)
	v_and_b32_e32 v78, 7, v5
; %bb.256:                              ;   in Loop: Header=BB279_11 Depth=1
	s_or_b32 exec_lo, exec_lo, s21
	v_lshlrev_b32_e32 v3, 24, v3
	s_delay_alu instid0(VALU_DEP_2) | instskip(SKIP_1) | instid1(VALU_DEP_3)
	v_lshlrev_b32_e32 v5, 20, v78
	v_lshl_add_u32 v4, v4, 23, 0x3c000000
	v_and_b32_e32 v3, 0x80000000, v3
	s_delay_alu instid0(VALU_DEP_1)
	v_or3_b32 v78, v5, v3, v4
	scratch_store_b64 off, v[78:79], s32 offset:488 ; 8-byte Folded Spill
.LBB279_257:                            ;   in Loop: Header=BB279_11 Depth=1
	s_or_b32 exec_lo, exec_lo, s20
.LBB279_258:                            ;   in Loop: Header=BB279_11 Depth=1
	s_delay_alu instid0(SALU_CYCLE_1)
	s_or_b32 exec_lo, exec_lo, s19
.LBB279_259:                            ;   in Loop: Header=BB279_11 Depth=1
	s_delay_alu instid0(SALU_CYCLE_1) | instskip(NEXT) | instid1(SALU_CYCLE_1)
	s_or_b32 exec_lo, exec_lo, s8
	s_mov_b32 s19, exec_lo
	v_cmpx_lt_u32_e32 0xffffff, v2
	s_cbranch_execz .LBB279_267
; %bb.260:                              ;   in Loop: Header=BB279_11 Depth=1
	v_lshrrev_b32_e32 v3, 24, v2
	v_dual_mov_b32 v15, s3 :: v_dual_mov_b32 v14, s2
	s_mov_b32 s20, exec_lo
	s_delay_alu instid0(VALU_DEP_2)
	v_cmpx_ne_u32_e32 0x80, v3
	s_cbranch_execz .LBB279_266
; %bb.261:                              ;   in Loop: Header=BB279_11 Depth=1
	s_mov_b32 s8, s2
	v_bfe_u32 v4, v2, 24, 7
	v_dual_mov_b32 v15, s9 :: v_dual_mov_b32 v14, s8
	s_mov_b32 s8, exec_lo
	s_delay_alu instid0(VALU_DEP_2)
	v_cmpx_ne_u32_e32 0x7f, v4
	s_cbranch_execz .LBB279_265
; %bb.262:                              ;   in Loop: Header=BB279_11 Depth=1
	v_and_b32_e32 v78, 7, v3
	v_lshrrev_b32_e32 v2, 3, v4
	s_mov_b32 s21, exec_lo
	v_cmpx_gt_u32_e32 8, v4
; %bb.263:                              ;   in Loop: Header=BB279_11 Depth=1
	s_delay_alu instid0(VALU_DEP_3) | instskip(NEXT) | instid1(VALU_DEP_1)
	v_clz_i32_u32_e32 v2, v78
	v_min_u32_e32 v2, 32, v2
	s_delay_alu instid0(VALU_DEP_1) | instskip(SKIP_1) | instid1(VALU_DEP_2)
	v_subrev_nc_u32_e32 v4, 28, v2
	v_sub_nc_u32_e32 v2, 29, v2
	v_lshlrev_b64 v[4:5], v4, v[78:79]
	s_delay_alu instid0(VALU_DEP_1)
	v_and_b32_e32 v78, 7, v4
; %bb.264:                              ;   in Loop: Header=BB279_11 Depth=1
	s_or_b32 exec_lo, exec_lo, s21
	v_dual_mov_b32 v14, v79 :: v_dual_lshlrev_b32 v3, 24, v3
	s_delay_alu instid0(VALU_DEP_2) | instskip(SKIP_1) | instid1(VALU_DEP_3)
	v_lshlrev_b32_e32 v4, 20, v78
	v_lshl_add_u32 v2, v2, 23, 0x3c000000
	v_and_b32_e32 v3, 0x80000000, v3
	s_delay_alu instid0(VALU_DEP_1)
	v_or3_b32 v15, v4, v3, v2
.LBB279_265:                            ;   in Loop: Header=BB279_11 Depth=1
	s_or_b32 exec_lo, exec_lo, s8
.LBB279_266:                            ;   in Loop: Header=BB279_11 Depth=1
	s_delay_alu instid0(SALU_CYCLE_1)
	s_or_b32 exec_lo, exec_lo, s20
.LBB279_267:                            ;   in Loop: Header=BB279_11 Depth=1
	s_delay_alu instid0(SALU_CYCLE_1)
	s_or_b32 exec_lo, exec_lo, s19
	flat_load_b32 v2, v[136:137] offset:1024
	v_mov_b32_e32 v26, 0
	v_mov_b32_e32 v27, 0
	s_mov_b32 s8, exec_lo
	scratch_store_b64 off, v[26:27], s32 offset:512 ; 8-byte Folded Spill
	s_waitcnt vmcnt(0) lgkmcnt(0)
	v_and_b32_e32 v3, 0xff, v2
	s_delay_alu instid0(VALU_DEP_1)
	v_cmpx_ne_u16_e32 0, v3
	s_cbranch_execz .LBB279_275
; %bb.268:                              ;   in Loop: Header=BB279_11 Depth=1
	v_cmp_ne_u16_e64 s1, 0x80, v3
	v_bfrev_b32_e32 v3, 1
	v_mov_b32_e32 v4, 0
	scratch_store_b64 off, v[3:4], s32 offset:512 ; 8-byte Folded Spill
	s_and_saveexec_b32 s19, s1
	s_cbranch_execz .LBB279_274
; %bb.269:                              ;   in Loop: Header=BB279_11 Depth=1
	v_mov_b32_e32 v5, 0x7f800001
	v_and_b32_e32 v4, 0x7f, v2
	v_mov_b32_e32 v6, 0
	s_mov_b32 s20, exec_lo
	scratch_store_b64 off, v[5:6], s32 offset:512 ; 8-byte Folded Spill
	v_cmpx_ne_u32_e32 0x7f, v4
	s_cbranch_execz .LBB279_273
; %bb.270:                              ;   in Loop: Header=BB279_11 Depth=1
	v_and_b32_e32 v78, 7, v2
	v_lshrrev_b32_e32 v3, 3, v4
	s_mov_b32 s21, exec_lo
	v_cmpx_gt_u32_e32 8, v4
; %bb.271:                              ;   in Loop: Header=BB279_11 Depth=1
	s_delay_alu instid0(VALU_DEP_3) | instskip(NEXT) | instid1(VALU_DEP_1)
	v_clz_i32_u32_e32 v3, v78
	v_min_u32_e32 v3, 32, v3
	s_delay_alu instid0(VALU_DEP_1) | instskip(SKIP_1) | instid1(VALU_DEP_2)
	v_subrev_nc_u32_e32 v4, 28, v3
	v_sub_nc_u32_e32 v3, 29, v3
	v_lshlrev_b64 v[4:5], v4, v[78:79]
	s_delay_alu instid0(VALU_DEP_1)
	v_and_b32_e32 v78, 7, v4
; %bb.272:                              ;   in Loop: Header=BB279_11 Depth=1
	s_or_b32 exec_lo, exec_lo, s21
	v_lshlrev_b32_e32 v4, 24, v2
	s_delay_alu instid0(VALU_DEP_2) | instskip(SKIP_1) | instid1(VALU_DEP_3)
	v_lshlrev_b32_e32 v5, 20, v78
	v_lshl_add_u32 v3, v3, 23, 0x3c000000
	v_and_b32_e32 v4, 0x80000000, v4
	s_delay_alu instid0(VALU_DEP_1)
	v_or3_b32 v78, v5, v4, v3
	scratch_store_b64 off, v[78:79], s32 offset:512 ; 8-byte Folded Spill
.LBB279_273:                            ;   in Loop: Header=BB279_11 Depth=1
	s_or_b32 exec_lo, exec_lo, s20
.LBB279_274:                            ;   in Loop: Header=BB279_11 Depth=1
	s_delay_alu instid0(SALU_CYCLE_1)
	s_or_b32 exec_lo, exec_lo, s19
.LBB279_275:                            ;   in Loop: Header=BB279_11 Depth=1
	s_delay_alu instid0(SALU_CYCLE_1) | instskip(SKIP_2) | instid1(VALU_DEP_1)
	s_or_b32 exec_lo, exec_lo, s8
	v_lshrrev_b16 v3, 8, v2
	s_mov_b32 s19, exec_lo
	v_cmpx_ne_u16_e32 0, v3
	s_cbranch_execz .LBB279_283
; %bb.276:                              ;   in Loop: Header=BB279_11 Depth=1
	v_dual_mov_b32 v27, s3 :: v_dual_mov_b32 v26, s2
	s_mov_b32 s20, exec_lo
	v_cmpx_ne_u16_e32 0x80, v3
	s_cbranch_execz .LBB279_282
; %bb.277:                              ;   in Loop: Header=BB279_11 Depth=1
	s_mov_b32 s8, s2
	v_and_b32_e32 v3, 0xffff, v3
	v_dual_mov_b32 v27, s9 :: v_dual_mov_b32 v26, s8
	s_mov_b32 s8, exec_lo
	s_delay_alu instid0(VALU_DEP_2) | instskip(NEXT) | instid1(VALU_DEP_1)
	v_and_b32_e32 v4, 0x7f, v3
	v_cmpx_ne_u32_e32 0x7f, v4
	s_cbranch_execz .LBB279_281
; %bb.278:                              ;   in Loop: Header=BB279_11 Depth=1
	v_and_b32_e32 v78, 7, v3
	v_lshrrev_b32_e32 v3, 3, v4
	s_mov_b32 s21, exec_lo
	v_cmpx_gt_u32_e32 8, v4
; %bb.279:                              ;   in Loop: Header=BB279_11 Depth=1
	s_delay_alu instid0(VALU_DEP_3) | instskip(NEXT) | instid1(VALU_DEP_1)
	v_clz_i32_u32_e32 v3, v78
	v_min_u32_e32 v3, 32, v3
	s_delay_alu instid0(VALU_DEP_1) | instskip(SKIP_1) | instid1(VALU_DEP_2)
	v_subrev_nc_u32_e32 v4, 28, v3
	v_sub_nc_u32_e32 v3, 29, v3
	v_lshlrev_b64 v[4:5], v4, v[78:79]
	s_delay_alu instid0(VALU_DEP_1)
	v_and_b32_e32 v78, 7, v4
; %bb.280:                              ;   in Loop: Header=BB279_11 Depth=1
	s_or_b32 exec_lo, exec_lo, s21
	v_lshlrev_b32_e32 v4, 16, v2
	s_delay_alu instid0(VALU_DEP_2) | instskip(SKIP_1) | instid1(VALU_DEP_3)
	v_dual_mov_b32 v26, v79 :: v_dual_lshlrev_b32 v5, 20, v78
	v_lshl_add_u32 v3, v3, 23, 0x3c000000
	v_and_b32_e32 v4, 0x80000000, v4
	s_delay_alu instid0(VALU_DEP_1)
	v_or3_b32 v27, v5, v4, v3
.LBB279_281:                            ;   in Loop: Header=BB279_11 Depth=1
	s_or_b32 exec_lo, exec_lo, s8
.LBB279_282:                            ;   in Loop: Header=BB279_11 Depth=1
	s_delay_alu instid0(SALU_CYCLE_1)
	s_or_b32 exec_lo, exec_lo, s20
.LBB279_283:                            ;   in Loop: Header=BB279_11 Depth=1
	s_delay_alu instid0(SALU_CYCLE_1) | instskip(SKIP_4) | instid1(VALU_DEP_3)
	s_or_b32 exec_lo, exec_lo, s19
	v_lshrrev_b32_e32 v3, 16, v2
	v_mov_b32_e32 v6, 0
	v_mov_b32_e32 v7, 0
	s_mov_b32 s8, exec_lo
	v_and_b32_e32 v4, 0xff, v3
	scratch_store_b64 off, v[6:7], s32 offset:504 ; 8-byte Folded Spill
	v_cmpx_ne_u16_e32 0, v4
	s_cbranch_execz .LBB279_291
; %bb.284:                              ;   in Loop: Header=BB279_11 Depth=1
	v_cmp_ne_u16_e64 s1, 0x80, v4
	v_bfrev_b32_e32 v4, 1
	v_mov_b32_e32 v5, 0
	scratch_store_b64 off, v[4:5], s32 offset:504 ; 8-byte Folded Spill
	s_and_saveexec_b32 s19, s1
	s_cbranch_execz .LBB279_290
; %bb.285:                              ;   in Loop: Header=BB279_11 Depth=1
	v_mov_b32_e32 v8, 0x7f800001
	v_bfe_u32 v5, v2, 16, 7
	v_mov_b32_e32 v9, 0
	s_mov_b32 s20, exec_lo
	scratch_store_b64 off, v[8:9], s32 offset:504 ; 8-byte Folded Spill
	v_cmpx_ne_u32_e32 0x7f, v5
	s_cbranch_execz .LBB279_289
; %bb.286:                              ;   in Loop: Header=BB279_11 Depth=1
	v_and_b32_e32 v78, 7, v3
	v_lshrrev_b32_e32 v4, 3, v5
	s_mov_b32 s21, exec_lo
	v_cmpx_gt_u32_e32 8, v5
; %bb.287:                              ;   in Loop: Header=BB279_11 Depth=1
	s_delay_alu instid0(VALU_DEP_3) | instskip(NEXT) | instid1(VALU_DEP_1)
	v_clz_i32_u32_e32 v4, v78
	v_min_u32_e32 v4, 32, v4
	s_delay_alu instid0(VALU_DEP_1) | instskip(SKIP_1) | instid1(VALU_DEP_2)
	v_subrev_nc_u32_e32 v5, 28, v4
	v_sub_nc_u32_e32 v4, 29, v4
	v_lshlrev_b64 v[8:9], v5, v[78:79]
	s_delay_alu instid0(VALU_DEP_1)
	v_and_b32_e32 v78, 7, v8
; %bb.288:                              ;   in Loop: Header=BB279_11 Depth=1
	s_or_b32 exec_lo, exec_lo, s21
	v_lshlrev_b32_e32 v3, 24, v3
	s_delay_alu instid0(VALU_DEP_2) | instskip(SKIP_1) | instid1(VALU_DEP_3)
	v_lshlrev_b32_e32 v5, 20, v78
	v_lshl_add_u32 v4, v4, 23, 0x3c000000
	v_and_b32_e32 v3, 0x80000000, v3
	s_delay_alu instid0(VALU_DEP_1)
	v_or3_b32 v78, v5, v3, v4
	scratch_store_b64 off, v[78:79], s32 offset:504 ; 8-byte Folded Spill
.LBB279_289:                            ;   in Loop: Header=BB279_11 Depth=1
	s_or_b32 exec_lo, exec_lo, s20
.LBB279_290:                            ;   in Loop: Header=BB279_11 Depth=1
	s_delay_alu instid0(SALU_CYCLE_1)
	s_or_b32 exec_lo, exec_lo, s19
.LBB279_291:                            ;   in Loop: Header=BB279_11 Depth=1
	s_delay_alu instid0(SALU_CYCLE_1) | instskip(NEXT) | instid1(SALU_CYCLE_1)
	s_or_b32 exec_lo, exec_lo, s8
	s_mov_b32 s19, exec_lo
	v_cmpx_lt_u32_e32 0xffffff, v2
	s_cbranch_execz .LBB279_299
; %bb.292:                              ;   in Loop: Header=BB279_11 Depth=1
	v_lshrrev_b32_e32 v3, 24, v2
	v_dual_mov_b32 v7, s3 :: v_dual_mov_b32 v6, s2
	s_mov_b32 s20, exec_lo
	s_delay_alu instid0(VALU_DEP_2)
	v_cmpx_ne_u32_e32 0x80, v3
	s_cbranch_execz .LBB279_298
; %bb.293:                              ;   in Loop: Header=BB279_11 Depth=1
	s_mov_b32 s8, s2
	v_bfe_u32 v4, v2, 24, 7
	v_dual_mov_b32 v6, s8 :: v_dual_mov_b32 v7, s9
	s_mov_b32 s8, exec_lo
	s_delay_alu instid0(VALU_DEP_2)
	v_cmpx_ne_u32_e32 0x7f, v4
	s_cbranch_execz .LBB279_297
; %bb.294:                              ;   in Loop: Header=BB279_11 Depth=1
	v_and_b32_e32 v78, 7, v3
	v_lshrrev_b32_e32 v2, 3, v4
	s_mov_b32 s21, exec_lo
	v_cmpx_gt_u32_e32 8, v4
; %bb.295:                              ;   in Loop: Header=BB279_11 Depth=1
	s_delay_alu instid0(VALU_DEP_3) | instskip(NEXT) | instid1(VALU_DEP_1)
	v_clz_i32_u32_e32 v2, v78
	v_min_u32_e32 v2, 32, v2
	s_delay_alu instid0(VALU_DEP_1) | instskip(SKIP_1) | instid1(VALU_DEP_2)
	v_subrev_nc_u32_e32 v4, 28, v2
	v_sub_nc_u32_e32 v2, 29, v2
	v_lshlrev_b64 v[4:5], v4, v[78:79]
	s_delay_alu instid0(VALU_DEP_1)
	v_and_b32_e32 v78, 7, v4
; %bb.296:                              ;   in Loop: Header=BB279_11 Depth=1
	s_or_b32 exec_lo, exec_lo, s21
	v_dual_mov_b32 v6, v79 :: v_dual_lshlrev_b32 v3, 24, v3
	s_delay_alu instid0(VALU_DEP_2) | instskip(SKIP_1) | instid1(VALU_DEP_3)
	v_lshlrev_b32_e32 v4, 20, v78
	v_lshl_add_u32 v2, v2, 23, 0x3c000000
	v_and_b32_e32 v3, 0x80000000, v3
	s_delay_alu instid0(VALU_DEP_1)
	v_or3_b32 v7, v4, v3, v2
.LBB279_297:                            ;   in Loop: Header=BB279_11 Depth=1
	s_or_b32 exec_lo, exec_lo, s8
.LBB279_298:                            ;   in Loop: Header=BB279_11 Depth=1
	s_delay_alu instid0(SALU_CYCLE_1)
	s_or_b32 exec_lo, exec_lo, s20
.LBB279_299:                            ;   in Loop: Header=BB279_11 Depth=1
	s_delay_alu instid0(SALU_CYCLE_1) | instskip(SKIP_4) | instid1(VALU_DEP_1)
	s_or_b32 exec_lo, exec_lo, s19
	flat_load_b32 v2, v[136:137] offset:1028
	v_mov_b32_e32 v16, 0
	v_mov_b32_e32 v17, 0
	s_mov_b32 s8, exec_lo
	v_dual_mov_b32 v25, v17 :: v_dual_mov_b32 v24, v16
	s_waitcnt vmcnt(0) lgkmcnt(0)
	v_and_b32_e32 v3, 0xff, v2
	s_delay_alu instid0(VALU_DEP_1)
	v_cmpx_ne_u16_e32 0, v3
	s_cbranch_execz .LBB279_307
; %bb.300:                              ;   in Loop: Header=BB279_11 Depth=1
	v_bfrev_b32_e32 v24, 1
	v_mov_b32_e32 v25, 0
	s_mov_b32 s19, exec_lo
	v_cmpx_ne_u16_e32 0x80, v3
	s_cbranch_execz .LBB279_306
; %bb.301:                              ;   in Loop: Header=BB279_11 Depth=1
	v_mov_b32_e32 v24, 0x7f800001
	v_dual_mov_b32 v25, 0 :: v_dual_and_b32 v4, 0x7f, v2
	s_mov_b32 s20, exec_lo
	s_delay_alu instid0(VALU_DEP_1)
	v_cmpx_ne_u32_e32 0x7f, v4
	s_cbranch_execz .LBB279_305
; %bb.302:                              ;   in Loop: Header=BB279_11 Depth=1
	v_and_b32_e32 v78, 7, v2
	v_lshrrev_b32_e32 v3, 3, v4
	s_mov_b32 s21, exec_lo
	v_cmpx_gt_u32_e32 8, v4
; %bb.303:                              ;   in Loop: Header=BB279_11 Depth=1
	s_delay_alu instid0(VALU_DEP_3) | instskip(NEXT) | instid1(VALU_DEP_1)
	v_clz_i32_u32_e32 v3, v78
	v_min_u32_e32 v3, 32, v3
	s_delay_alu instid0(VALU_DEP_1) | instskip(SKIP_1) | instid1(VALU_DEP_2)
	v_subrev_nc_u32_e32 v4, 28, v3
	v_sub_nc_u32_e32 v3, 29, v3
	v_lshlrev_b64 v[4:5], v4, v[78:79]
	s_delay_alu instid0(VALU_DEP_1)
	v_and_b32_e32 v78, 7, v4
; %bb.304:                              ;   in Loop: Header=BB279_11 Depth=1
	s_or_b32 exec_lo, exec_lo, s21
	v_lshlrev_b32_e32 v4, 24, v2
	s_delay_alu instid0(VALU_DEP_2) | instskip(SKIP_1) | instid1(VALU_DEP_3)
	v_lshlrev_b32_e32 v5, 20, v78
	v_lshl_add_u32 v3, v3, 23, 0x3c000000
	v_and_b32_e32 v4, 0x80000000, v4
	s_delay_alu instid0(VALU_DEP_1) | instskip(NEXT) | instid1(VALU_DEP_1)
	v_or3_b32 v78, v5, v4, v3
	v_dual_mov_b32 v24, v78 :: v_dual_mov_b32 v25, v79
.LBB279_305:                            ;   in Loop: Header=BB279_11 Depth=1
	s_or_b32 exec_lo, exec_lo, s20
.LBB279_306:                            ;   in Loop: Header=BB279_11 Depth=1
	s_delay_alu instid0(SALU_CYCLE_1)
	s_or_b32 exec_lo, exec_lo, s19
.LBB279_307:                            ;   in Loop: Header=BB279_11 Depth=1
	s_delay_alu instid0(SALU_CYCLE_1) | instskip(SKIP_2) | instid1(VALU_DEP_1)
	s_or_b32 exec_lo, exec_lo, s8
	v_lshrrev_b16 v3, 8, v2
	s_mov_b32 s19, exec_lo
	v_cmpx_ne_u16_e32 0, v3
	s_cbranch_execz .LBB279_315
; %bb.308:                              ;   in Loop: Header=BB279_11 Depth=1
	v_dual_mov_b32 v17, s3 :: v_dual_mov_b32 v16, s2
	s_mov_b32 s20, exec_lo
	v_cmpx_ne_u16_e32 0x80, v3
	s_cbranch_execz .LBB279_314
; %bb.309:                              ;   in Loop: Header=BB279_11 Depth=1
	s_mov_b32 s8, s2
	v_and_b32_e32 v3, 0xffff, v3
	v_dual_mov_b32 v17, s9 :: v_dual_mov_b32 v16, s8
	s_mov_b32 s8, exec_lo
	s_delay_alu instid0(VALU_DEP_2) | instskip(NEXT) | instid1(VALU_DEP_1)
	v_and_b32_e32 v4, 0x7f, v3
	v_cmpx_ne_u32_e32 0x7f, v4
	s_cbranch_execz .LBB279_313
; %bb.310:                              ;   in Loop: Header=BB279_11 Depth=1
	v_and_b32_e32 v78, 7, v3
	v_lshrrev_b32_e32 v3, 3, v4
	s_mov_b32 s21, exec_lo
	v_cmpx_gt_u32_e32 8, v4
; %bb.311:                              ;   in Loop: Header=BB279_11 Depth=1
	s_delay_alu instid0(VALU_DEP_3) | instskip(NEXT) | instid1(VALU_DEP_1)
	v_clz_i32_u32_e32 v3, v78
	v_min_u32_e32 v3, 32, v3
	s_delay_alu instid0(VALU_DEP_1) | instskip(SKIP_1) | instid1(VALU_DEP_2)
	v_subrev_nc_u32_e32 v4, 28, v3
	v_sub_nc_u32_e32 v3, 29, v3
	v_lshlrev_b64 v[4:5], v4, v[78:79]
	s_delay_alu instid0(VALU_DEP_1)
	v_and_b32_e32 v78, 7, v4
; %bb.312:                              ;   in Loop: Header=BB279_11 Depth=1
	s_or_b32 exec_lo, exec_lo, s21
	v_lshlrev_b32_e32 v4, 16, v2
	s_delay_alu instid0(VALU_DEP_2) | instskip(SKIP_1) | instid1(VALU_DEP_3)
	v_dual_mov_b32 v16, v79 :: v_dual_lshlrev_b32 v5, 20, v78
	v_lshl_add_u32 v3, v3, 23, 0x3c000000
	v_and_b32_e32 v4, 0x80000000, v4
	s_delay_alu instid0(VALU_DEP_1)
	v_or3_b32 v17, v5, v4, v3
.LBB279_313:                            ;   in Loop: Header=BB279_11 Depth=1
	s_or_b32 exec_lo, exec_lo, s8
.LBB279_314:                            ;   in Loop: Header=BB279_11 Depth=1
	s_delay_alu instid0(SALU_CYCLE_1)
	s_or_b32 exec_lo, exec_lo, s20
.LBB279_315:                            ;   in Loop: Header=BB279_11 Depth=1
	s_delay_alu instid0(SALU_CYCLE_1) | instskip(SKIP_4) | instid1(VALU_DEP_1)
	s_or_b32 exec_lo, exec_lo, s19
	v_mov_b32_e32 v28, 0
	v_lshrrev_b32_e32 v3, 16, v2
	v_mov_b32_e32 v29, 0
	s_mov_b32 s8, exec_lo
	v_dual_mov_b32 v31, v29 :: v_dual_and_b32 v4, 0xff, v3
	v_mov_b32_e32 v30, v28
	s_delay_alu instid0(VALU_DEP_2)
	v_cmpx_ne_u16_e32 0, v4
	s_cbranch_execz .LBB279_323
; %bb.316:                              ;   in Loop: Header=BB279_11 Depth=1
	v_bfrev_b32_e32 v30, 1
	v_mov_b32_e32 v31, 0
	s_mov_b32 s19, exec_lo
	v_cmpx_ne_u16_e32 0x80, v4
	s_cbranch_execz .LBB279_322
; %bb.317:                              ;   in Loop: Header=BB279_11 Depth=1
	v_mov_b32_e32 v30, 0x7f800001
	v_bfe_u32 v5, v2, 16, 7
	v_mov_b32_e32 v31, 0
	s_mov_b32 s20, exec_lo
	s_delay_alu instid0(VALU_DEP_2)
	v_cmpx_ne_u32_e32 0x7f, v5
	s_cbranch_execz .LBB279_321
; %bb.318:                              ;   in Loop: Header=BB279_11 Depth=1
	v_and_b32_e32 v78, 7, v3
	v_lshrrev_b32_e32 v4, 3, v5
	s_mov_b32 s21, exec_lo
	v_cmpx_gt_u32_e32 8, v5
; %bb.319:                              ;   in Loop: Header=BB279_11 Depth=1
	s_delay_alu instid0(VALU_DEP_3) | instskip(NEXT) | instid1(VALU_DEP_1)
	v_clz_i32_u32_e32 v4, v78
	v_min_u32_e32 v4, 32, v4
	s_delay_alu instid0(VALU_DEP_1) | instskip(SKIP_1) | instid1(VALU_DEP_2)
	v_subrev_nc_u32_e32 v5, 28, v4
	v_sub_nc_u32_e32 v4, 29, v4
	v_lshlrev_b64 v[8:9], v5, v[78:79]
	s_delay_alu instid0(VALU_DEP_1)
	v_and_b32_e32 v78, 7, v8
; %bb.320:                              ;   in Loop: Header=BB279_11 Depth=1
	s_or_b32 exec_lo, exec_lo, s21
	v_lshlrev_b32_e32 v3, 24, v3
	s_delay_alu instid0(VALU_DEP_2) | instskip(SKIP_1) | instid1(VALU_DEP_3)
	v_lshlrev_b32_e32 v5, 20, v78
	v_lshl_add_u32 v4, v4, 23, 0x3c000000
	v_and_b32_e32 v3, 0x80000000, v3
	s_delay_alu instid0(VALU_DEP_1) | instskip(NEXT) | instid1(VALU_DEP_1)
	v_or3_b32 v78, v5, v3, v4
	v_dual_mov_b32 v30, v78 :: v_dual_mov_b32 v31, v79
.LBB279_321:                            ;   in Loop: Header=BB279_11 Depth=1
	s_or_b32 exec_lo, exec_lo, s20
.LBB279_322:                            ;   in Loop: Header=BB279_11 Depth=1
	s_delay_alu instid0(SALU_CYCLE_1)
	s_or_b32 exec_lo, exec_lo, s19
.LBB279_323:                            ;   in Loop: Header=BB279_11 Depth=1
	s_delay_alu instid0(SALU_CYCLE_1) | instskip(NEXT) | instid1(SALU_CYCLE_1)
	s_or_b32 exec_lo, exec_lo, s8
	s_mov_b32 s19, exec_lo
	v_cmpx_lt_u32_e32 0xffffff, v2
	s_cbranch_execz .LBB279_331
; %bb.324:                              ;   in Loop: Header=BB279_11 Depth=1
	v_lshrrev_b32_e32 v3, 24, v2
	v_dual_mov_b32 v29, s3 :: v_dual_mov_b32 v28, s2
	s_mov_b32 s20, exec_lo
	s_delay_alu instid0(VALU_DEP_2)
	v_cmpx_ne_u32_e32 0x80, v3
	s_cbranch_execz .LBB279_330
; %bb.325:                              ;   in Loop: Header=BB279_11 Depth=1
	s_mov_b32 s8, s2
	v_bfe_u32 v4, v2, 24, 7
	v_dual_mov_b32 v29, s9 :: v_dual_mov_b32 v28, s8
	s_mov_b32 s8, exec_lo
	s_delay_alu instid0(VALU_DEP_2)
	v_cmpx_ne_u32_e32 0x7f, v4
	s_cbranch_execz .LBB279_329
; %bb.326:                              ;   in Loop: Header=BB279_11 Depth=1
	v_and_b32_e32 v78, 7, v3
	v_lshrrev_b32_e32 v2, 3, v4
	s_mov_b32 s21, exec_lo
	v_cmpx_gt_u32_e32 8, v4
; %bb.327:                              ;   in Loop: Header=BB279_11 Depth=1
	s_delay_alu instid0(VALU_DEP_3) | instskip(NEXT) | instid1(VALU_DEP_1)
	v_clz_i32_u32_e32 v2, v78
	v_min_u32_e32 v2, 32, v2
	s_delay_alu instid0(VALU_DEP_1) | instskip(SKIP_1) | instid1(VALU_DEP_2)
	v_subrev_nc_u32_e32 v4, 28, v2
	v_sub_nc_u32_e32 v2, 29, v2
	v_lshlrev_b64 v[4:5], v4, v[78:79]
	s_delay_alu instid0(VALU_DEP_1)
	v_and_b32_e32 v78, 7, v4
; %bb.328:                              ;   in Loop: Header=BB279_11 Depth=1
	s_or_b32 exec_lo, exec_lo, s21
	v_dual_mov_b32 v28, v79 :: v_dual_lshlrev_b32 v3, 24, v3
	s_delay_alu instid0(VALU_DEP_2) | instskip(SKIP_1) | instid1(VALU_DEP_3)
	v_lshlrev_b32_e32 v4, 20, v78
	v_lshl_add_u32 v2, v2, 23, 0x3c000000
	v_and_b32_e32 v3, 0x80000000, v3
	s_delay_alu instid0(VALU_DEP_1)
	v_or3_b32 v29, v4, v3, v2
.LBB279_329:                            ;   in Loop: Header=BB279_11 Depth=1
	s_or_b32 exec_lo, exec_lo, s8
.LBB279_330:                            ;   in Loop: Header=BB279_11 Depth=1
	s_delay_alu instid0(SALU_CYCLE_1)
	s_or_b32 exec_lo, exec_lo, s20
.LBB279_331:                            ;   in Loop: Header=BB279_11 Depth=1
	s_delay_alu instid0(SALU_CYCLE_1) | instskip(SKIP_4) | instid1(VALU_DEP_1)
	s_or_b32 exec_lo, exec_lo, s19
	flat_load_b32 v2, v[136:137] offset:1032
	v_mov_b32_e32 v32, 0
	v_mov_b32_e32 v33, 0
	s_mov_b32 s8, exec_lo
	v_dual_mov_b32 v35, v33 :: v_dual_mov_b32 v34, v32
	s_waitcnt vmcnt(0) lgkmcnt(0)
	v_and_b32_e32 v3, 0xff, v2
	s_delay_alu instid0(VALU_DEP_1)
	v_cmpx_ne_u16_e32 0, v3
	s_cbranch_execz .LBB279_339
; %bb.332:                              ;   in Loop: Header=BB279_11 Depth=1
	v_bfrev_b32_e32 v34, 1
	v_mov_b32_e32 v35, 0
	s_mov_b32 s19, exec_lo
	v_cmpx_ne_u16_e32 0x80, v3
	s_cbranch_execz .LBB279_338
; %bb.333:                              ;   in Loop: Header=BB279_11 Depth=1
	v_mov_b32_e32 v34, 0x7f800001
	v_dual_mov_b32 v35, 0 :: v_dual_and_b32 v4, 0x7f, v2
	s_mov_b32 s20, exec_lo
	s_delay_alu instid0(VALU_DEP_1)
	v_cmpx_ne_u32_e32 0x7f, v4
	s_cbranch_execz .LBB279_337
; %bb.334:                              ;   in Loop: Header=BB279_11 Depth=1
	v_and_b32_e32 v78, 7, v2
	v_lshrrev_b32_e32 v3, 3, v4
	s_mov_b32 s21, exec_lo
	v_cmpx_gt_u32_e32 8, v4
; %bb.335:                              ;   in Loop: Header=BB279_11 Depth=1
	s_delay_alu instid0(VALU_DEP_3) | instskip(NEXT) | instid1(VALU_DEP_1)
	v_clz_i32_u32_e32 v3, v78
	v_min_u32_e32 v3, 32, v3
	s_delay_alu instid0(VALU_DEP_1) | instskip(SKIP_1) | instid1(VALU_DEP_2)
	v_subrev_nc_u32_e32 v4, 28, v3
	v_sub_nc_u32_e32 v3, 29, v3
	v_lshlrev_b64 v[4:5], v4, v[78:79]
	s_delay_alu instid0(VALU_DEP_1)
	v_and_b32_e32 v78, 7, v4
; %bb.336:                              ;   in Loop: Header=BB279_11 Depth=1
	s_or_b32 exec_lo, exec_lo, s21
	v_lshlrev_b32_e32 v4, 24, v2
	s_delay_alu instid0(VALU_DEP_2) | instskip(SKIP_1) | instid1(VALU_DEP_3)
	v_lshlrev_b32_e32 v5, 20, v78
	v_lshl_add_u32 v3, v3, 23, 0x3c000000
	v_and_b32_e32 v4, 0x80000000, v4
	s_delay_alu instid0(VALU_DEP_1) | instskip(NEXT) | instid1(VALU_DEP_1)
	v_or3_b32 v78, v5, v4, v3
	v_dual_mov_b32 v34, v78 :: v_dual_mov_b32 v35, v79
.LBB279_337:                            ;   in Loop: Header=BB279_11 Depth=1
	s_or_b32 exec_lo, exec_lo, s20
.LBB279_338:                            ;   in Loop: Header=BB279_11 Depth=1
	s_delay_alu instid0(SALU_CYCLE_1)
	s_or_b32 exec_lo, exec_lo, s19
.LBB279_339:                            ;   in Loop: Header=BB279_11 Depth=1
	s_delay_alu instid0(SALU_CYCLE_1) | instskip(SKIP_2) | instid1(VALU_DEP_1)
	s_or_b32 exec_lo, exec_lo, s8
	v_lshrrev_b16 v3, 8, v2
	s_mov_b32 s19, exec_lo
	v_cmpx_ne_u16_e32 0, v3
	s_cbranch_execz .LBB279_347
; %bb.340:                              ;   in Loop: Header=BB279_11 Depth=1
	v_dual_mov_b32 v33, s3 :: v_dual_mov_b32 v32, s2
	s_mov_b32 s20, exec_lo
	v_cmpx_ne_u16_e32 0x80, v3
	s_cbranch_execz .LBB279_346
; %bb.341:                              ;   in Loop: Header=BB279_11 Depth=1
	s_mov_b32 s8, s2
	v_and_b32_e32 v3, 0xffff, v3
	v_dual_mov_b32 v33, s9 :: v_dual_mov_b32 v32, s8
	s_mov_b32 s8, exec_lo
	s_delay_alu instid0(VALU_DEP_2) | instskip(NEXT) | instid1(VALU_DEP_1)
	v_and_b32_e32 v4, 0x7f, v3
	v_cmpx_ne_u32_e32 0x7f, v4
	s_cbranch_execz .LBB279_345
; %bb.342:                              ;   in Loop: Header=BB279_11 Depth=1
	v_and_b32_e32 v78, 7, v3
	v_lshrrev_b32_e32 v3, 3, v4
	s_mov_b32 s21, exec_lo
	v_cmpx_gt_u32_e32 8, v4
; %bb.343:                              ;   in Loop: Header=BB279_11 Depth=1
	s_delay_alu instid0(VALU_DEP_3) | instskip(NEXT) | instid1(VALU_DEP_1)
	v_clz_i32_u32_e32 v3, v78
	v_min_u32_e32 v3, 32, v3
	s_delay_alu instid0(VALU_DEP_1) | instskip(SKIP_1) | instid1(VALU_DEP_2)
	v_subrev_nc_u32_e32 v4, 28, v3
	v_sub_nc_u32_e32 v3, 29, v3
	v_lshlrev_b64 v[4:5], v4, v[78:79]
	s_delay_alu instid0(VALU_DEP_1)
	v_and_b32_e32 v78, 7, v4
; %bb.344:                              ;   in Loop: Header=BB279_11 Depth=1
	s_or_b32 exec_lo, exec_lo, s21
	v_lshlrev_b32_e32 v4, 16, v2
	s_delay_alu instid0(VALU_DEP_2) | instskip(SKIP_1) | instid1(VALU_DEP_3)
	v_dual_mov_b32 v32, v79 :: v_dual_lshlrev_b32 v5, 20, v78
	v_lshl_add_u32 v3, v3, 23, 0x3c000000
	v_and_b32_e32 v4, 0x80000000, v4
	s_delay_alu instid0(VALU_DEP_1)
	v_or3_b32 v33, v5, v4, v3
.LBB279_345:                            ;   in Loop: Header=BB279_11 Depth=1
	s_or_b32 exec_lo, exec_lo, s8
.LBB279_346:                            ;   in Loop: Header=BB279_11 Depth=1
	s_delay_alu instid0(SALU_CYCLE_1)
	s_or_b32 exec_lo, exec_lo, s20
.LBB279_347:                            ;   in Loop: Header=BB279_11 Depth=1
	s_delay_alu instid0(SALU_CYCLE_1) | instskip(SKIP_4) | instid1(VALU_DEP_1)
	s_or_b32 exec_lo, exec_lo, s19
	v_mov_b32_e32 v36, 0
	v_lshrrev_b32_e32 v3, 16, v2
	v_mov_b32_e32 v37, 0
	s_mov_b32 s8, exec_lo
	v_dual_mov_b32 v39, v37 :: v_dual_and_b32 v4, 0xff, v3
	v_mov_b32_e32 v38, v36
	s_delay_alu instid0(VALU_DEP_2)
	v_cmpx_ne_u16_e32 0, v4
	s_cbranch_execz .LBB279_355
; %bb.348:                              ;   in Loop: Header=BB279_11 Depth=1
	v_bfrev_b32_e32 v38, 1
	v_mov_b32_e32 v39, 0
	s_mov_b32 s19, exec_lo
	v_cmpx_ne_u16_e32 0x80, v4
	s_cbranch_execz .LBB279_354
; %bb.349:                              ;   in Loop: Header=BB279_11 Depth=1
	v_mov_b32_e32 v38, 0x7f800001
	v_bfe_u32 v5, v2, 16, 7
	v_mov_b32_e32 v39, 0
	s_mov_b32 s20, exec_lo
	s_delay_alu instid0(VALU_DEP_2)
	v_cmpx_ne_u32_e32 0x7f, v5
	s_cbranch_execz .LBB279_353
; %bb.350:                              ;   in Loop: Header=BB279_11 Depth=1
	v_and_b32_e32 v78, 7, v3
	v_lshrrev_b32_e32 v4, 3, v5
	s_mov_b32 s21, exec_lo
	v_cmpx_gt_u32_e32 8, v5
; %bb.351:                              ;   in Loop: Header=BB279_11 Depth=1
	s_delay_alu instid0(VALU_DEP_3) | instskip(NEXT) | instid1(VALU_DEP_1)
	v_clz_i32_u32_e32 v4, v78
	v_min_u32_e32 v4, 32, v4
	s_delay_alu instid0(VALU_DEP_1) | instskip(SKIP_1) | instid1(VALU_DEP_2)
	v_subrev_nc_u32_e32 v5, 28, v4
	v_sub_nc_u32_e32 v4, 29, v4
	v_lshlrev_b64 v[8:9], v5, v[78:79]
	s_delay_alu instid0(VALU_DEP_1)
	v_and_b32_e32 v78, 7, v8
; %bb.352:                              ;   in Loop: Header=BB279_11 Depth=1
	s_or_b32 exec_lo, exec_lo, s21
	v_lshlrev_b32_e32 v3, 24, v3
	s_delay_alu instid0(VALU_DEP_2) | instskip(SKIP_1) | instid1(VALU_DEP_3)
	v_lshlrev_b32_e32 v5, 20, v78
	v_lshl_add_u32 v4, v4, 23, 0x3c000000
	v_and_b32_e32 v3, 0x80000000, v3
	s_delay_alu instid0(VALU_DEP_1) | instskip(NEXT) | instid1(VALU_DEP_1)
	v_or3_b32 v78, v5, v3, v4
	v_dual_mov_b32 v38, v78 :: v_dual_mov_b32 v39, v79
.LBB279_353:                            ;   in Loop: Header=BB279_11 Depth=1
	s_or_b32 exec_lo, exec_lo, s20
.LBB279_354:                            ;   in Loop: Header=BB279_11 Depth=1
	s_delay_alu instid0(SALU_CYCLE_1)
	s_or_b32 exec_lo, exec_lo, s19
.LBB279_355:                            ;   in Loop: Header=BB279_11 Depth=1
	s_delay_alu instid0(SALU_CYCLE_1) | instskip(NEXT) | instid1(SALU_CYCLE_1)
	s_or_b32 exec_lo, exec_lo, s8
	s_mov_b32 s19, exec_lo
	v_cmpx_lt_u32_e32 0xffffff, v2
	s_cbranch_execz .LBB279_363
; %bb.356:                              ;   in Loop: Header=BB279_11 Depth=1
	v_lshrrev_b32_e32 v3, 24, v2
	v_dual_mov_b32 v37, s3 :: v_dual_mov_b32 v36, s2
	s_mov_b32 s20, exec_lo
	s_delay_alu instid0(VALU_DEP_2)
	v_cmpx_ne_u32_e32 0x80, v3
	s_cbranch_execz .LBB279_362
; %bb.357:                              ;   in Loop: Header=BB279_11 Depth=1
	s_mov_b32 s8, s2
	v_bfe_u32 v4, v2, 24, 7
	v_dual_mov_b32 v37, s9 :: v_dual_mov_b32 v36, s8
	s_mov_b32 s8, exec_lo
	s_delay_alu instid0(VALU_DEP_2)
	v_cmpx_ne_u32_e32 0x7f, v4
	s_cbranch_execz .LBB279_361
; %bb.358:                              ;   in Loop: Header=BB279_11 Depth=1
	v_and_b32_e32 v78, 7, v3
	v_lshrrev_b32_e32 v2, 3, v4
	s_mov_b32 s21, exec_lo
	v_cmpx_gt_u32_e32 8, v4
; %bb.359:                              ;   in Loop: Header=BB279_11 Depth=1
	s_delay_alu instid0(VALU_DEP_3) | instskip(NEXT) | instid1(VALU_DEP_1)
	v_clz_i32_u32_e32 v2, v78
	v_min_u32_e32 v2, 32, v2
	s_delay_alu instid0(VALU_DEP_1) | instskip(SKIP_1) | instid1(VALU_DEP_2)
	v_subrev_nc_u32_e32 v4, 28, v2
	v_sub_nc_u32_e32 v2, 29, v2
	v_lshlrev_b64 v[4:5], v4, v[78:79]
	s_delay_alu instid0(VALU_DEP_1)
	v_and_b32_e32 v78, 7, v4
; %bb.360:                              ;   in Loop: Header=BB279_11 Depth=1
	s_or_b32 exec_lo, exec_lo, s21
	v_dual_mov_b32 v36, v79 :: v_dual_lshlrev_b32 v3, 24, v3
	s_delay_alu instid0(VALU_DEP_2) | instskip(SKIP_1) | instid1(VALU_DEP_3)
	v_lshlrev_b32_e32 v4, 20, v78
	v_lshl_add_u32 v2, v2, 23, 0x3c000000
	v_and_b32_e32 v3, 0x80000000, v3
	s_delay_alu instid0(VALU_DEP_1)
	v_or3_b32 v37, v4, v3, v2
.LBB279_361:                            ;   in Loop: Header=BB279_11 Depth=1
	s_or_b32 exec_lo, exec_lo, s8
.LBB279_362:                            ;   in Loop: Header=BB279_11 Depth=1
	s_delay_alu instid0(SALU_CYCLE_1)
	s_or_b32 exec_lo, exec_lo, s20
.LBB279_363:                            ;   in Loop: Header=BB279_11 Depth=1
	s_delay_alu instid0(SALU_CYCLE_1) | instskip(SKIP_4) | instid1(VALU_DEP_1)
	s_or_b32 exec_lo, exec_lo, s19
	flat_load_b32 v2, v[136:137] offset:1036
	v_mov_b32_e32 v48, 0
	v_mov_b32_e32 v49, 0
	s_mov_b32 s8, exec_lo
	v_dual_mov_b32 v51, v49 :: v_dual_mov_b32 v50, v48
	s_waitcnt vmcnt(0) lgkmcnt(0)
	v_and_b32_e32 v3, 0xff, v2
	s_delay_alu instid0(VALU_DEP_1)
	v_cmpx_ne_u16_e32 0, v3
	s_cbranch_execz .LBB279_371
; %bb.364:                              ;   in Loop: Header=BB279_11 Depth=1
	v_bfrev_b32_e32 v50, 1
	v_mov_b32_e32 v51, 0
	s_mov_b32 s19, exec_lo
	v_cmpx_ne_u16_e32 0x80, v3
	s_cbranch_execz .LBB279_370
; %bb.365:                              ;   in Loop: Header=BB279_11 Depth=1
	v_mov_b32_e32 v50, 0x7f800001
	v_dual_mov_b32 v51, 0 :: v_dual_and_b32 v4, 0x7f, v2
	s_mov_b32 s20, exec_lo
	s_delay_alu instid0(VALU_DEP_1)
	v_cmpx_ne_u32_e32 0x7f, v4
	s_cbranch_execz .LBB279_369
; %bb.366:                              ;   in Loop: Header=BB279_11 Depth=1
	v_and_b32_e32 v78, 7, v2
	v_lshrrev_b32_e32 v3, 3, v4
	s_mov_b32 s21, exec_lo
	v_cmpx_gt_u32_e32 8, v4
; %bb.367:                              ;   in Loop: Header=BB279_11 Depth=1
	s_delay_alu instid0(VALU_DEP_3) | instskip(NEXT) | instid1(VALU_DEP_1)
	v_clz_i32_u32_e32 v3, v78
	v_min_u32_e32 v3, 32, v3
	s_delay_alu instid0(VALU_DEP_1) | instskip(SKIP_1) | instid1(VALU_DEP_2)
	v_subrev_nc_u32_e32 v4, 28, v3
	v_sub_nc_u32_e32 v3, 29, v3
	v_lshlrev_b64 v[4:5], v4, v[78:79]
	s_delay_alu instid0(VALU_DEP_1)
	v_and_b32_e32 v78, 7, v4
; %bb.368:                              ;   in Loop: Header=BB279_11 Depth=1
	s_or_b32 exec_lo, exec_lo, s21
	v_lshlrev_b32_e32 v4, 24, v2
	s_delay_alu instid0(VALU_DEP_2) | instskip(SKIP_1) | instid1(VALU_DEP_3)
	v_lshlrev_b32_e32 v5, 20, v78
	v_lshl_add_u32 v3, v3, 23, 0x3c000000
	v_and_b32_e32 v4, 0x80000000, v4
	s_delay_alu instid0(VALU_DEP_1) | instskip(NEXT) | instid1(VALU_DEP_1)
	v_or3_b32 v78, v5, v4, v3
	v_dual_mov_b32 v50, v78 :: v_dual_mov_b32 v51, v79
.LBB279_369:                            ;   in Loop: Header=BB279_11 Depth=1
	s_or_b32 exec_lo, exec_lo, s20
.LBB279_370:                            ;   in Loop: Header=BB279_11 Depth=1
	s_delay_alu instid0(SALU_CYCLE_1)
	s_or_b32 exec_lo, exec_lo, s19
.LBB279_371:                            ;   in Loop: Header=BB279_11 Depth=1
	s_delay_alu instid0(SALU_CYCLE_1) | instskip(SKIP_2) | instid1(VALU_DEP_1)
	s_or_b32 exec_lo, exec_lo, s8
	v_lshrrev_b16 v3, 8, v2
	s_mov_b32 s19, exec_lo
	v_cmpx_ne_u16_e32 0, v3
	s_cbranch_execz .LBB279_379
; %bb.372:                              ;   in Loop: Header=BB279_11 Depth=1
	v_dual_mov_b32 v49, s3 :: v_dual_mov_b32 v48, s2
	s_mov_b32 s20, exec_lo
	v_cmpx_ne_u16_e32 0x80, v3
	s_cbranch_execz .LBB279_378
; %bb.373:                              ;   in Loop: Header=BB279_11 Depth=1
	s_mov_b32 s8, s2
	v_and_b32_e32 v3, 0xffff, v3
	v_dual_mov_b32 v49, s9 :: v_dual_mov_b32 v48, s8
	s_mov_b32 s8, exec_lo
	s_delay_alu instid0(VALU_DEP_2) | instskip(NEXT) | instid1(VALU_DEP_1)
	v_and_b32_e32 v4, 0x7f, v3
	v_cmpx_ne_u32_e32 0x7f, v4
	s_cbranch_execz .LBB279_377
; %bb.374:                              ;   in Loop: Header=BB279_11 Depth=1
	v_and_b32_e32 v78, 7, v3
	v_lshrrev_b32_e32 v3, 3, v4
	s_mov_b32 s21, exec_lo
	v_cmpx_gt_u32_e32 8, v4
; %bb.375:                              ;   in Loop: Header=BB279_11 Depth=1
	s_delay_alu instid0(VALU_DEP_3) | instskip(NEXT) | instid1(VALU_DEP_1)
	v_clz_i32_u32_e32 v3, v78
	v_min_u32_e32 v3, 32, v3
	s_delay_alu instid0(VALU_DEP_1) | instskip(SKIP_1) | instid1(VALU_DEP_2)
	v_subrev_nc_u32_e32 v4, 28, v3
	v_sub_nc_u32_e32 v3, 29, v3
	v_lshlrev_b64 v[4:5], v4, v[78:79]
	s_delay_alu instid0(VALU_DEP_1)
	v_and_b32_e32 v78, 7, v4
; %bb.376:                              ;   in Loop: Header=BB279_11 Depth=1
	s_or_b32 exec_lo, exec_lo, s21
	v_lshlrev_b32_e32 v4, 16, v2
	s_delay_alu instid0(VALU_DEP_2) | instskip(SKIP_1) | instid1(VALU_DEP_3)
	v_dual_mov_b32 v48, v79 :: v_dual_lshlrev_b32 v5, 20, v78
	v_lshl_add_u32 v3, v3, 23, 0x3c000000
	v_and_b32_e32 v4, 0x80000000, v4
	s_delay_alu instid0(VALU_DEP_1)
	v_or3_b32 v49, v5, v4, v3
.LBB279_377:                            ;   in Loop: Header=BB279_11 Depth=1
	s_or_b32 exec_lo, exec_lo, s8
.LBB279_378:                            ;   in Loop: Header=BB279_11 Depth=1
	s_delay_alu instid0(SALU_CYCLE_1)
	s_or_b32 exec_lo, exec_lo, s20
.LBB279_379:                            ;   in Loop: Header=BB279_11 Depth=1
	s_delay_alu instid0(SALU_CYCLE_1) | instskip(SKIP_4) | instid1(VALU_DEP_1)
	s_or_b32 exec_lo, exec_lo, s19
	v_mov_b32_e32 v52, 0
	v_lshrrev_b32_e32 v3, 16, v2
	v_mov_b32_e32 v53, 0
	s_mov_b32 s8, exec_lo
	v_dual_mov_b32 v55, v53 :: v_dual_and_b32 v4, 0xff, v3
	v_mov_b32_e32 v54, v52
	s_delay_alu instid0(VALU_DEP_2)
	v_cmpx_ne_u16_e32 0, v4
	s_cbranch_execz .LBB279_387
; %bb.380:                              ;   in Loop: Header=BB279_11 Depth=1
	v_bfrev_b32_e32 v54, 1
	v_mov_b32_e32 v55, 0
	s_mov_b32 s19, exec_lo
	v_cmpx_ne_u16_e32 0x80, v4
	s_cbranch_execz .LBB279_386
; %bb.381:                              ;   in Loop: Header=BB279_11 Depth=1
	v_mov_b32_e32 v54, 0x7f800001
	v_bfe_u32 v5, v2, 16, 7
	v_mov_b32_e32 v55, 0
	s_mov_b32 s20, exec_lo
	s_delay_alu instid0(VALU_DEP_2)
	v_cmpx_ne_u32_e32 0x7f, v5
	s_cbranch_execz .LBB279_385
; %bb.382:                              ;   in Loop: Header=BB279_11 Depth=1
	v_and_b32_e32 v78, 7, v3
	v_lshrrev_b32_e32 v4, 3, v5
	s_mov_b32 s21, exec_lo
	v_cmpx_gt_u32_e32 8, v5
; %bb.383:                              ;   in Loop: Header=BB279_11 Depth=1
	s_delay_alu instid0(VALU_DEP_3) | instskip(NEXT) | instid1(VALU_DEP_1)
	v_clz_i32_u32_e32 v4, v78
	v_min_u32_e32 v4, 32, v4
	s_delay_alu instid0(VALU_DEP_1) | instskip(SKIP_1) | instid1(VALU_DEP_2)
	v_subrev_nc_u32_e32 v5, 28, v4
	v_sub_nc_u32_e32 v4, 29, v4
	v_lshlrev_b64 v[8:9], v5, v[78:79]
	s_delay_alu instid0(VALU_DEP_1)
	v_and_b32_e32 v78, 7, v8
; %bb.384:                              ;   in Loop: Header=BB279_11 Depth=1
	s_or_b32 exec_lo, exec_lo, s21
	v_lshlrev_b32_e32 v3, 24, v3
	s_delay_alu instid0(VALU_DEP_2) | instskip(SKIP_1) | instid1(VALU_DEP_3)
	v_lshlrev_b32_e32 v5, 20, v78
	v_lshl_add_u32 v4, v4, 23, 0x3c000000
	v_and_b32_e32 v3, 0x80000000, v3
	s_delay_alu instid0(VALU_DEP_1) | instskip(NEXT) | instid1(VALU_DEP_1)
	v_or3_b32 v78, v5, v3, v4
	v_dual_mov_b32 v54, v78 :: v_dual_mov_b32 v55, v79
.LBB279_385:                            ;   in Loop: Header=BB279_11 Depth=1
	s_or_b32 exec_lo, exec_lo, s20
.LBB279_386:                            ;   in Loop: Header=BB279_11 Depth=1
	s_delay_alu instid0(SALU_CYCLE_1)
	s_or_b32 exec_lo, exec_lo, s19
.LBB279_387:                            ;   in Loop: Header=BB279_11 Depth=1
	s_delay_alu instid0(SALU_CYCLE_1) | instskip(NEXT) | instid1(SALU_CYCLE_1)
	s_or_b32 exec_lo, exec_lo, s8
	s_mov_b32 s19, exec_lo
	v_cmpx_lt_u32_e32 0xffffff, v2
	s_cbranch_execz .LBB279_395
; %bb.388:                              ;   in Loop: Header=BB279_11 Depth=1
	v_lshrrev_b32_e32 v3, 24, v2
	v_dual_mov_b32 v53, s3 :: v_dual_mov_b32 v52, s2
	s_mov_b32 s20, exec_lo
	s_delay_alu instid0(VALU_DEP_2)
	v_cmpx_ne_u32_e32 0x80, v3
	s_cbranch_execz .LBB279_394
; %bb.389:                              ;   in Loop: Header=BB279_11 Depth=1
	s_mov_b32 s8, s2
	v_bfe_u32 v4, v2, 24, 7
	v_dual_mov_b32 v53, s9 :: v_dual_mov_b32 v52, s8
	s_mov_b32 s8, exec_lo
	s_delay_alu instid0(VALU_DEP_2)
	v_cmpx_ne_u32_e32 0x7f, v4
	s_cbranch_execz .LBB279_393
; %bb.390:                              ;   in Loop: Header=BB279_11 Depth=1
	v_and_b32_e32 v78, 7, v3
	v_lshrrev_b32_e32 v2, 3, v4
	s_mov_b32 s21, exec_lo
	v_cmpx_gt_u32_e32 8, v4
; %bb.391:                              ;   in Loop: Header=BB279_11 Depth=1
	s_delay_alu instid0(VALU_DEP_3) | instskip(NEXT) | instid1(VALU_DEP_1)
	v_clz_i32_u32_e32 v2, v78
	v_min_u32_e32 v2, 32, v2
	s_delay_alu instid0(VALU_DEP_1) | instskip(SKIP_1) | instid1(VALU_DEP_2)
	v_subrev_nc_u32_e32 v4, 28, v2
	v_sub_nc_u32_e32 v2, 29, v2
	v_lshlrev_b64 v[4:5], v4, v[78:79]
	s_delay_alu instid0(VALU_DEP_1)
	v_and_b32_e32 v78, 7, v4
; %bb.392:                              ;   in Loop: Header=BB279_11 Depth=1
	s_or_b32 exec_lo, exec_lo, s21
	v_dual_mov_b32 v52, v79 :: v_dual_lshlrev_b32 v3, 24, v3
	s_delay_alu instid0(VALU_DEP_2) | instskip(SKIP_1) | instid1(VALU_DEP_3)
	v_lshlrev_b32_e32 v4, 20, v78
	v_lshl_add_u32 v2, v2, 23, 0x3c000000
	v_and_b32_e32 v3, 0x80000000, v3
	s_delay_alu instid0(VALU_DEP_1)
	v_or3_b32 v53, v4, v3, v2
.LBB279_393:                            ;   in Loop: Header=BB279_11 Depth=1
	s_or_b32 exec_lo, exec_lo, s8
.LBB279_394:                            ;   in Loop: Header=BB279_11 Depth=1
	s_delay_alu instid0(SALU_CYCLE_1)
	s_or_b32 exec_lo, exec_lo, s20
.LBB279_395:                            ;   in Loop: Header=BB279_11 Depth=1
	s_delay_alu instid0(SALU_CYCLE_1) | instskip(SKIP_4) | instid1(VALU_DEP_1)
	s_or_b32 exec_lo, exec_lo, s19
	flat_load_b32 v2, v[136:137] offset:1536
	v_mov_b32_e32 v64, 0
	v_mov_b32_e32 v65, 0
	s_mov_b32 s8, exec_lo
	v_dual_mov_b32 v67, v65 :: v_dual_mov_b32 v66, v64
	s_waitcnt vmcnt(0) lgkmcnt(0)
	v_and_b32_e32 v3, 0xff, v2
	s_delay_alu instid0(VALU_DEP_1)
	v_cmpx_ne_u16_e32 0, v3
	s_cbranch_execz .LBB279_403
; %bb.396:                              ;   in Loop: Header=BB279_11 Depth=1
	v_bfrev_b32_e32 v66, 1
	v_mov_b32_e32 v67, 0
	s_mov_b32 s19, exec_lo
	v_cmpx_ne_u16_e32 0x80, v3
	s_cbranch_execz .LBB279_402
; %bb.397:                              ;   in Loop: Header=BB279_11 Depth=1
	v_mov_b32_e32 v66, 0x7f800001
	v_dual_mov_b32 v67, 0 :: v_dual_and_b32 v4, 0x7f, v2
	s_mov_b32 s20, exec_lo
	s_delay_alu instid0(VALU_DEP_1)
	v_cmpx_ne_u32_e32 0x7f, v4
	s_cbranch_execz .LBB279_401
; %bb.398:                              ;   in Loop: Header=BB279_11 Depth=1
	v_and_b32_e32 v78, 7, v2
	v_lshrrev_b32_e32 v3, 3, v4
	s_mov_b32 s21, exec_lo
	v_cmpx_gt_u32_e32 8, v4
; %bb.399:                              ;   in Loop: Header=BB279_11 Depth=1
	s_delay_alu instid0(VALU_DEP_3) | instskip(NEXT) | instid1(VALU_DEP_1)
	v_clz_i32_u32_e32 v3, v78
	v_min_u32_e32 v3, 32, v3
	s_delay_alu instid0(VALU_DEP_1) | instskip(SKIP_1) | instid1(VALU_DEP_2)
	v_subrev_nc_u32_e32 v4, 28, v3
	v_sub_nc_u32_e32 v3, 29, v3
	v_lshlrev_b64 v[4:5], v4, v[78:79]
	s_delay_alu instid0(VALU_DEP_1)
	v_and_b32_e32 v78, 7, v4
; %bb.400:                              ;   in Loop: Header=BB279_11 Depth=1
	s_or_b32 exec_lo, exec_lo, s21
	v_lshlrev_b32_e32 v4, 24, v2
	s_delay_alu instid0(VALU_DEP_2) | instskip(SKIP_1) | instid1(VALU_DEP_3)
	v_lshlrev_b32_e32 v5, 20, v78
	v_lshl_add_u32 v3, v3, 23, 0x3c000000
	v_and_b32_e32 v4, 0x80000000, v4
	s_delay_alu instid0(VALU_DEP_1) | instskip(NEXT) | instid1(VALU_DEP_1)
	v_or3_b32 v78, v5, v4, v3
	v_dual_mov_b32 v66, v78 :: v_dual_mov_b32 v67, v79
.LBB279_401:                            ;   in Loop: Header=BB279_11 Depth=1
	s_or_b32 exec_lo, exec_lo, s20
.LBB279_402:                            ;   in Loop: Header=BB279_11 Depth=1
	s_delay_alu instid0(SALU_CYCLE_1)
	s_or_b32 exec_lo, exec_lo, s19
.LBB279_403:                            ;   in Loop: Header=BB279_11 Depth=1
	s_delay_alu instid0(SALU_CYCLE_1) | instskip(SKIP_2) | instid1(VALU_DEP_1)
	s_or_b32 exec_lo, exec_lo, s8
	v_lshrrev_b16 v3, 8, v2
	s_mov_b32 s19, exec_lo
	v_cmpx_ne_u16_e32 0, v3
	s_cbranch_execz .LBB279_411
; %bb.404:                              ;   in Loop: Header=BB279_11 Depth=1
	v_dual_mov_b32 v65, s3 :: v_dual_mov_b32 v64, s2
	s_mov_b32 s20, exec_lo
	v_cmpx_ne_u16_e32 0x80, v3
	s_cbranch_execz .LBB279_410
; %bb.405:                              ;   in Loop: Header=BB279_11 Depth=1
	s_mov_b32 s8, s2
	v_and_b32_e32 v3, 0xffff, v3
	v_dual_mov_b32 v65, s9 :: v_dual_mov_b32 v64, s8
	s_mov_b32 s8, exec_lo
	s_delay_alu instid0(VALU_DEP_2) | instskip(NEXT) | instid1(VALU_DEP_1)
	v_and_b32_e32 v4, 0x7f, v3
	v_cmpx_ne_u32_e32 0x7f, v4
	s_cbranch_execz .LBB279_409
; %bb.406:                              ;   in Loop: Header=BB279_11 Depth=1
	v_and_b32_e32 v78, 7, v3
	v_lshrrev_b32_e32 v3, 3, v4
	s_mov_b32 s21, exec_lo
	v_cmpx_gt_u32_e32 8, v4
; %bb.407:                              ;   in Loop: Header=BB279_11 Depth=1
	s_delay_alu instid0(VALU_DEP_3) | instskip(NEXT) | instid1(VALU_DEP_1)
	v_clz_i32_u32_e32 v3, v78
	v_min_u32_e32 v3, 32, v3
	s_delay_alu instid0(VALU_DEP_1) | instskip(SKIP_1) | instid1(VALU_DEP_2)
	v_subrev_nc_u32_e32 v4, 28, v3
	v_sub_nc_u32_e32 v3, 29, v3
	v_lshlrev_b64 v[4:5], v4, v[78:79]
	s_delay_alu instid0(VALU_DEP_1)
	v_and_b32_e32 v78, 7, v4
; %bb.408:                              ;   in Loop: Header=BB279_11 Depth=1
	s_or_b32 exec_lo, exec_lo, s21
	v_lshlrev_b32_e32 v4, 16, v2
	s_delay_alu instid0(VALU_DEP_2) | instskip(SKIP_1) | instid1(VALU_DEP_3)
	v_dual_mov_b32 v64, v79 :: v_dual_lshlrev_b32 v5, 20, v78
	v_lshl_add_u32 v3, v3, 23, 0x3c000000
	v_and_b32_e32 v4, 0x80000000, v4
	s_delay_alu instid0(VALU_DEP_1)
	v_or3_b32 v65, v5, v4, v3
.LBB279_409:                            ;   in Loop: Header=BB279_11 Depth=1
	s_or_b32 exec_lo, exec_lo, s8
.LBB279_410:                            ;   in Loop: Header=BB279_11 Depth=1
	s_delay_alu instid0(SALU_CYCLE_1)
	s_or_b32 exec_lo, exec_lo, s20
.LBB279_411:                            ;   in Loop: Header=BB279_11 Depth=1
	s_delay_alu instid0(SALU_CYCLE_1) | instskip(SKIP_4) | instid1(VALU_DEP_1)
	s_or_b32 exec_lo, exec_lo, s19
	v_mov_b32_e32 v68, 0
	v_lshrrev_b32_e32 v3, 16, v2
	v_mov_b32_e32 v69, 0
	s_mov_b32 s8, exec_lo
	v_dual_mov_b32 v71, v69 :: v_dual_and_b32 v4, 0xff, v3
	v_mov_b32_e32 v70, v68
	s_delay_alu instid0(VALU_DEP_2)
	v_cmpx_ne_u16_e32 0, v4
	s_cbranch_execz .LBB279_419
; %bb.412:                              ;   in Loop: Header=BB279_11 Depth=1
	v_bfrev_b32_e32 v70, 1
	v_mov_b32_e32 v71, 0
	s_mov_b32 s19, exec_lo
	v_cmpx_ne_u16_e32 0x80, v4
	s_cbranch_execz .LBB279_418
; %bb.413:                              ;   in Loop: Header=BB279_11 Depth=1
	v_mov_b32_e32 v70, 0x7f800001
	v_bfe_u32 v5, v2, 16, 7
	v_mov_b32_e32 v71, 0
	s_mov_b32 s20, exec_lo
	s_delay_alu instid0(VALU_DEP_2)
	v_cmpx_ne_u32_e32 0x7f, v5
	s_cbranch_execz .LBB279_417
; %bb.414:                              ;   in Loop: Header=BB279_11 Depth=1
	v_and_b32_e32 v78, 7, v3
	v_lshrrev_b32_e32 v4, 3, v5
	s_mov_b32 s21, exec_lo
	v_cmpx_gt_u32_e32 8, v5
; %bb.415:                              ;   in Loop: Header=BB279_11 Depth=1
	s_delay_alu instid0(VALU_DEP_3) | instskip(NEXT) | instid1(VALU_DEP_1)
	v_clz_i32_u32_e32 v4, v78
	v_min_u32_e32 v4, 32, v4
	s_delay_alu instid0(VALU_DEP_1) | instskip(SKIP_1) | instid1(VALU_DEP_2)
	v_subrev_nc_u32_e32 v5, 28, v4
	v_sub_nc_u32_e32 v4, 29, v4
	v_lshlrev_b64 v[8:9], v5, v[78:79]
	s_delay_alu instid0(VALU_DEP_1)
	v_and_b32_e32 v78, 7, v8
; %bb.416:                              ;   in Loop: Header=BB279_11 Depth=1
	s_or_b32 exec_lo, exec_lo, s21
	v_lshlrev_b32_e32 v3, 24, v3
	s_delay_alu instid0(VALU_DEP_2) | instskip(SKIP_1) | instid1(VALU_DEP_3)
	v_lshlrev_b32_e32 v5, 20, v78
	v_lshl_add_u32 v4, v4, 23, 0x3c000000
	v_and_b32_e32 v3, 0x80000000, v3
	s_delay_alu instid0(VALU_DEP_1) | instskip(NEXT) | instid1(VALU_DEP_1)
	v_or3_b32 v78, v5, v3, v4
	v_dual_mov_b32 v70, v78 :: v_dual_mov_b32 v71, v79
.LBB279_417:                            ;   in Loop: Header=BB279_11 Depth=1
	s_or_b32 exec_lo, exec_lo, s20
.LBB279_418:                            ;   in Loop: Header=BB279_11 Depth=1
	s_delay_alu instid0(SALU_CYCLE_1)
	s_or_b32 exec_lo, exec_lo, s19
.LBB279_419:                            ;   in Loop: Header=BB279_11 Depth=1
	s_delay_alu instid0(SALU_CYCLE_1) | instskip(NEXT) | instid1(SALU_CYCLE_1)
	s_or_b32 exec_lo, exec_lo, s8
	s_mov_b32 s19, exec_lo
	v_cmpx_lt_u32_e32 0xffffff, v2
	s_cbranch_execz .LBB279_427
; %bb.420:                              ;   in Loop: Header=BB279_11 Depth=1
	v_lshrrev_b32_e32 v3, 24, v2
	v_dual_mov_b32 v69, s3 :: v_dual_mov_b32 v68, s2
	s_mov_b32 s20, exec_lo
	s_delay_alu instid0(VALU_DEP_2)
	v_cmpx_ne_u32_e32 0x80, v3
	s_cbranch_execz .LBB279_426
; %bb.421:                              ;   in Loop: Header=BB279_11 Depth=1
	s_mov_b32 s8, s2
	v_bfe_u32 v4, v2, 24, 7
	v_dual_mov_b32 v69, s9 :: v_dual_mov_b32 v68, s8
	s_mov_b32 s8, exec_lo
	s_delay_alu instid0(VALU_DEP_2)
	v_cmpx_ne_u32_e32 0x7f, v4
	s_cbranch_execz .LBB279_425
; %bb.422:                              ;   in Loop: Header=BB279_11 Depth=1
	v_and_b32_e32 v78, 7, v3
	v_lshrrev_b32_e32 v2, 3, v4
	s_mov_b32 s21, exec_lo
	v_cmpx_gt_u32_e32 8, v4
; %bb.423:                              ;   in Loop: Header=BB279_11 Depth=1
	s_delay_alu instid0(VALU_DEP_3) | instskip(NEXT) | instid1(VALU_DEP_1)
	v_clz_i32_u32_e32 v2, v78
	v_min_u32_e32 v2, 32, v2
	s_delay_alu instid0(VALU_DEP_1) | instskip(SKIP_1) | instid1(VALU_DEP_2)
	v_subrev_nc_u32_e32 v4, 28, v2
	v_sub_nc_u32_e32 v2, 29, v2
	v_lshlrev_b64 v[4:5], v4, v[78:79]
	s_delay_alu instid0(VALU_DEP_1)
	v_and_b32_e32 v78, 7, v4
; %bb.424:                              ;   in Loop: Header=BB279_11 Depth=1
	s_or_b32 exec_lo, exec_lo, s21
	v_dual_mov_b32 v68, v79 :: v_dual_lshlrev_b32 v3, 24, v3
	s_delay_alu instid0(VALU_DEP_2) | instskip(SKIP_1) | instid1(VALU_DEP_3)
	v_lshlrev_b32_e32 v4, 20, v78
	v_lshl_add_u32 v2, v2, 23, 0x3c000000
	v_and_b32_e32 v3, 0x80000000, v3
	s_delay_alu instid0(VALU_DEP_1)
	v_or3_b32 v69, v4, v3, v2
.LBB279_425:                            ;   in Loop: Header=BB279_11 Depth=1
	s_or_b32 exec_lo, exec_lo, s8
.LBB279_426:                            ;   in Loop: Header=BB279_11 Depth=1
	s_delay_alu instid0(SALU_CYCLE_1)
	s_or_b32 exec_lo, exec_lo, s20
.LBB279_427:                            ;   in Loop: Header=BB279_11 Depth=1
	s_delay_alu instid0(SALU_CYCLE_1) | instskip(SKIP_4) | instid1(VALU_DEP_1)
	s_or_b32 exec_lo, exec_lo, s19
	flat_load_b32 v2, v[136:137] offset:1540
	v_mov_b32_e32 v80, 0
	v_mov_b32_e32 v81, 0
	s_mov_b32 s8, exec_lo
	v_dual_mov_b32 v83, v81 :: v_dual_mov_b32 v82, v80
	s_waitcnt vmcnt(0) lgkmcnt(0)
	v_and_b32_e32 v3, 0xff, v2
	s_delay_alu instid0(VALU_DEP_1)
	v_cmpx_ne_u16_e32 0, v3
	s_cbranch_execz .LBB279_435
; %bb.428:                              ;   in Loop: Header=BB279_11 Depth=1
	v_bfrev_b32_e32 v82, 1
	v_mov_b32_e32 v83, 0
	s_mov_b32 s19, exec_lo
	v_cmpx_ne_u16_e32 0x80, v3
	s_cbranch_execz .LBB279_434
; %bb.429:                              ;   in Loop: Header=BB279_11 Depth=1
	v_mov_b32_e32 v82, 0x7f800001
	v_dual_mov_b32 v83, 0 :: v_dual_and_b32 v4, 0x7f, v2
	s_mov_b32 s20, exec_lo
	s_delay_alu instid0(VALU_DEP_1)
	v_cmpx_ne_u32_e32 0x7f, v4
	s_cbranch_execz .LBB279_433
; %bb.430:                              ;   in Loop: Header=BB279_11 Depth=1
	v_and_b32_e32 v78, 7, v2
	v_lshrrev_b32_e32 v3, 3, v4
	s_mov_b32 s21, exec_lo
	v_cmpx_gt_u32_e32 8, v4
; %bb.431:                              ;   in Loop: Header=BB279_11 Depth=1
	s_delay_alu instid0(VALU_DEP_3) | instskip(NEXT) | instid1(VALU_DEP_1)
	v_clz_i32_u32_e32 v3, v78
	v_min_u32_e32 v3, 32, v3
	s_delay_alu instid0(VALU_DEP_1) | instskip(SKIP_1) | instid1(VALU_DEP_2)
	v_subrev_nc_u32_e32 v4, 28, v3
	v_sub_nc_u32_e32 v3, 29, v3
	v_lshlrev_b64 v[4:5], v4, v[78:79]
	s_delay_alu instid0(VALU_DEP_1)
	v_and_b32_e32 v78, 7, v4
; %bb.432:                              ;   in Loop: Header=BB279_11 Depth=1
	s_or_b32 exec_lo, exec_lo, s21
	v_lshlrev_b32_e32 v4, 24, v2
	s_delay_alu instid0(VALU_DEP_2) | instskip(SKIP_1) | instid1(VALU_DEP_3)
	v_lshlrev_b32_e32 v5, 20, v78
	v_lshl_add_u32 v3, v3, 23, 0x3c000000
	v_and_b32_e32 v4, 0x80000000, v4
	s_delay_alu instid0(VALU_DEP_1) | instskip(NEXT) | instid1(VALU_DEP_1)
	v_or3_b32 v78, v5, v4, v3
	v_dual_mov_b32 v83, v79 :: v_dual_mov_b32 v82, v78
.LBB279_433:                            ;   in Loop: Header=BB279_11 Depth=1
	s_or_b32 exec_lo, exec_lo, s20
.LBB279_434:                            ;   in Loop: Header=BB279_11 Depth=1
	s_delay_alu instid0(SALU_CYCLE_1)
	s_or_b32 exec_lo, exec_lo, s19
.LBB279_435:                            ;   in Loop: Header=BB279_11 Depth=1
	s_delay_alu instid0(SALU_CYCLE_1) | instskip(SKIP_2) | instid1(VALU_DEP_1)
	s_or_b32 exec_lo, exec_lo, s8
	v_lshrrev_b16 v3, 8, v2
	s_mov_b32 s19, exec_lo
	v_cmpx_ne_u16_e32 0, v3
	s_cbranch_execz .LBB279_443
; %bb.436:                              ;   in Loop: Header=BB279_11 Depth=1
	v_dual_mov_b32 v81, s3 :: v_dual_mov_b32 v80, s2
	s_mov_b32 s20, exec_lo
	v_cmpx_ne_u16_e32 0x80, v3
	s_cbranch_execz .LBB279_442
; %bb.437:                              ;   in Loop: Header=BB279_11 Depth=1
	s_mov_b32 s8, s2
	v_and_b32_e32 v3, 0xffff, v3
	v_dual_mov_b32 v81, s9 :: v_dual_mov_b32 v80, s8
	s_mov_b32 s8, exec_lo
	s_delay_alu instid0(VALU_DEP_2) | instskip(NEXT) | instid1(VALU_DEP_1)
	v_and_b32_e32 v4, 0x7f, v3
	v_cmpx_ne_u32_e32 0x7f, v4
	s_cbranch_execz .LBB279_441
; %bb.438:                              ;   in Loop: Header=BB279_11 Depth=1
	v_and_b32_e32 v78, 7, v3
	v_lshrrev_b32_e32 v3, 3, v4
	s_mov_b32 s21, exec_lo
	v_cmpx_gt_u32_e32 8, v4
; %bb.439:                              ;   in Loop: Header=BB279_11 Depth=1
	s_delay_alu instid0(VALU_DEP_3) | instskip(NEXT) | instid1(VALU_DEP_1)
	v_clz_i32_u32_e32 v3, v78
	v_min_u32_e32 v3, 32, v3
	s_delay_alu instid0(VALU_DEP_1) | instskip(SKIP_1) | instid1(VALU_DEP_2)
	v_subrev_nc_u32_e32 v4, 28, v3
	v_sub_nc_u32_e32 v3, 29, v3
	v_lshlrev_b64 v[4:5], v4, v[78:79]
	s_delay_alu instid0(VALU_DEP_1)
	v_and_b32_e32 v78, 7, v4
; %bb.440:                              ;   in Loop: Header=BB279_11 Depth=1
	s_or_b32 exec_lo, exec_lo, s21
	v_lshlrev_b32_e32 v4, 16, v2
	s_delay_alu instid0(VALU_DEP_2) | instskip(SKIP_1) | instid1(VALU_DEP_3)
	v_dual_mov_b32 v80, v79 :: v_dual_lshlrev_b32 v5, 20, v78
	v_lshl_add_u32 v3, v3, 23, 0x3c000000
	v_and_b32_e32 v4, 0x80000000, v4
	s_delay_alu instid0(VALU_DEP_1)
	v_or3_b32 v81, v5, v4, v3
.LBB279_441:                            ;   in Loop: Header=BB279_11 Depth=1
	s_or_b32 exec_lo, exec_lo, s8
.LBB279_442:                            ;   in Loop: Header=BB279_11 Depth=1
	s_delay_alu instid0(SALU_CYCLE_1)
	s_or_b32 exec_lo, exec_lo, s20
.LBB279_443:                            ;   in Loop: Header=BB279_11 Depth=1
	s_delay_alu instid0(SALU_CYCLE_1) | instskip(SKIP_4) | instid1(VALU_DEP_1)
	s_or_b32 exec_lo, exec_lo, s19
	v_mov_b32_e32 v84, 0
	v_lshrrev_b32_e32 v3, 16, v2
	v_mov_b32_e32 v85, 0
	s_mov_b32 s8, exec_lo
	v_dual_mov_b32 v87, v85 :: v_dual_and_b32 v4, 0xff, v3
	v_mov_b32_e32 v86, v84
	s_delay_alu instid0(VALU_DEP_2)
	v_cmpx_ne_u16_e32 0, v4
	s_cbranch_execz .LBB279_451
; %bb.444:                              ;   in Loop: Header=BB279_11 Depth=1
	v_bfrev_b32_e32 v86, 1
	v_mov_b32_e32 v87, 0
	s_mov_b32 s19, exec_lo
	v_cmpx_ne_u16_e32 0x80, v4
	s_cbranch_execz .LBB279_450
; %bb.445:                              ;   in Loop: Header=BB279_11 Depth=1
	v_mov_b32_e32 v86, 0x7f800001
	v_bfe_u32 v5, v2, 16, 7
	v_mov_b32_e32 v87, 0
	s_mov_b32 s20, exec_lo
	s_delay_alu instid0(VALU_DEP_2)
	v_cmpx_ne_u32_e32 0x7f, v5
	s_cbranch_execz .LBB279_449
; %bb.446:                              ;   in Loop: Header=BB279_11 Depth=1
	v_and_b32_e32 v78, 7, v3
	v_lshrrev_b32_e32 v4, 3, v5
	s_mov_b32 s21, exec_lo
	v_cmpx_gt_u32_e32 8, v5
; %bb.447:                              ;   in Loop: Header=BB279_11 Depth=1
	s_delay_alu instid0(VALU_DEP_3) | instskip(NEXT) | instid1(VALU_DEP_1)
	v_clz_i32_u32_e32 v4, v78
	v_min_u32_e32 v4, 32, v4
	s_delay_alu instid0(VALU_DEP_1) | instskip(SKIP_1) | instid1(VALU_DEP_2)
	v_subrev_nc_u32_e32 v5, 28, v4
	v_sub_nc_u32_e32 v4, 29, v4
	v_lshlrev_b64 v[8:9], v5, v[78:79]
	s_delay_alu instid0(VALU_DEP_1)
	v_and_b32_e32 v78, 7, v8
; %bb.448:                              ;   in Loop: Header=BB279_11 Depth=1
	s_or_b32 exec_lo, exec_lo, s21
	v_lshlrev_b32_e32 v3, 24, v3
	s_delay_alu instid0(VALU_DEP_2) | instskip(SKIP_1) | instid1(VALU_DEP_3)
	v_lshlrev_b32_e32 v5, 20, v78
	v_lshl_add_u32 v4, v4, 23, 0x3c000000
	v_and_b32_e32 v3, 0x80000000, v3
	s_delay_alu instid0(VALU_DEP_1) | instskip(NEXT) | instid1(VALU_DEP_1)
	v_or3_b32 v78, v5, v3, v4
	v_dual_mov_b32 v87, v79 :: v_dual_mov_b32 v86, v78
.LBB279_449:                            ;   in Loop: Header=BB279_11 Depth=1
	s_or_b32 exec_lo, exec_lo, s20
.LBB279_450:                            ;   in Loop: Header=BB279_11 Depth=1
	s_delay_alu instid0(SALU_CYCLE_1)
	s_or_b32 exec_lo, exec_lo, s19
.LBB279_451:                            ;   in Loop: Header=BB279_11 Depth=1
	s_delay_alu instid0(SALU_CYCLE_1) | instskip(NEXT) | instid1(SALU_CYCLE_1)
	s_or_b32 exec_lo, exec_lo, s8
	s_mov_b32 s19, exec_lo
	v_cmpx_lt_u32_e32 0xffffff, v2
	s_cbranch_execz .LBB279_459
; %bb.452:                              ;   in Loop: Header=BB279_11 Depth=1
	v_lshrrev_b32_e32 v3, 24, v2
	v_dual_mov_b32 v85, s3 :: v_dual_mov_b32 v84, s2
	s_mov_b32 s20, exec_lo
	s_delay_alu instid0(VALU_DEP_2)
	v_cmpx_ne_u32_e32 0x80, v3
	s_cbranch_execz .LBB279_458
; %bb.453:                              ;   in Loop: Header=BB279_11 Depth=1
	s_mov_b32 s8, s2
	v_bfe_u32 v4, v2, 24, 7
	v_dual_mov_b32 v85, s9 :: v_dual_mov_b32 v84, s8
	s_mov_b32 s8, exec_lo
	s_delay_alu instid0(VALU_DEP_2)
	v_cmpx_ne_u32_e32 0x7f, v4
	s_cbranch_execz .LBB279_457
; %bb.454:                              ;   in Loop: Header=BB279_11 Depth=1
	v_and_b32_e32 v78, 7, v3
	v_lshrrev_b32_e32 v2, 3, v4
	s_mov_b32 s21, exec_lo
	v_cmpx_gt_u32_e32 8, v4
; %bb.455:                              ;   in Loop: Header=BB279_11 Depth=1
	s_delay_alu instid0(VALU_DEP_3) | instskip(NEXT) | instid1(VALU_DEP_1)
	v_clz_i32_u32_e32 v2, v78
	v_min_u32_e32 v2, 32, v2
	s_delay_alu instid0(VALU_DEP_1) | instskip(SKIP_1) | instid1(VALU_DEP_2)
	v_subrev_nc_u32_e32 v4, 28, v2
	v_sub_nc_u32_e32 v2, 29, v2
	v_lshlrev_b64 v[4:5], v4, v[78:79]
	s_delay_alu instid0(VALU_DEP_1)
	v_and_b32_e32 v78, 7, v4
; %bb.456:                              ;   in Loop: Header=BB279_11 Depth=1
	s_or_b32 exec_lo, exec_lo, s21
	v_dual_mov_b32 v84, v79 :: v_dual_lshlrev_b32 v3, 24, v3
	s_delay_alu instid0(VALU_DEP_2) | instskip(SKIP_1) | instid1(VALU_DEP_3)
	v_lshlrev_b32_e32 v4, 20, v78
	v_lshl_add_u32 v2, v2, 23, 0x3c000000
	v_and_b32_e32 v3, 0x80000000, v3
	s_delay_alu instid0(VALU_DEP_1)
	v_or3_b32 v85, v4, v3, v2
.LBB279_457:                            ;   in Loop: Header=BB279_11 Depth=1
	s_or_b32 exec_lo, exec_lo, s8
.LBB279_458:                            ;   in Loop: Header=BB279_11 Depth=1
	s_delay_alu instid0(SALU_CYCLE_1)
	s_or_b32 exec_lo, exec_lo, s20
.LBB279_459:                            ;   in Loop: Header=BB279_11 Depth=1
	s_delay_alu instid0(SALU_CYCLE_1) | instskip(SKIP_4) | instid1(VALU_DEP_1)
	s_or_b32 exec_lo, exec_lo, s19
	flat_load_b32 v2, v[136:137] offset:1544
	v_mov_b32_e32 v96, 0
	v_mov_b32_e32 v97, 0
	s_mov_b32 s8, exec_lo
	v_dual_mov_b32 v99, v97 :: v_dual_mov_b32 v98, v96
	s_waitcnt vmcnt(0) lgkmcnt(0)
	v_and_b32_e32 v3, 0xff, v2
	s_delay_alu instid0(VALU_DEP_1)
	v_cmpx_ne_u16_e32 0, v3
	s_cbranch_execz .LBB279_467
; %bb.460:                              ;   in Loop: Header=BB279_11 Depth=1
	v_bfrev_b32_e32 v98, 1
	v_mov_b32_e32 v99, 0
	s_mov_b32 s19, exec_lo
	v_cmpx_ne_u16_e32 0x80, v3
	s_cbranch_execz .LBB279_466
; %bb.461:                              ;   in Loop: Header=BB279_11 Depth=1
	v_mov_b32_e32 v98, 0x7f800001
	v_dual_mov_b32 v99, 0 :: v_dual_and_b32 v4, 0x7f, v2
	s_mov_b32 s20, exec_lo
	s_delay_alu instid0(VALU_DEP_1)
	v_cmpx_ne_u32_e32 0x7f, v4
	s_cbranch_execz .LBB279_465
; %bb.462:                              ;   in Loop: Header=BB279_11 Depth=1
	v_and_b32_e32 v78, 7, v2
	v_lshrrev_b32_e32 v3, 3, v4
	s_mov_b32 s21, exec_lo
	v_cmpx_gt_u32_e32 8, v4
; %bb.463:                              ;   in Loop: Header=BB279_11 Depth=1
	s_delay_alu instid0(VALU_DEP_3) | instskip(NEXT) | instid1(VALU_DEP_1)
	v_clz_i32_u32_e32 v3, v78
	v_min_u32_e32 v3, 32, v3
	s_delay_alu instid0(VALU_DEP_1) | instskip(SKIP_1) | instid1(VALU_DEP_2)
	v_subrev_nc_u32_e32 v4, 28, v3
	v_sub_nc_u32_e32 v3, 29, v3
	v_lshlrev_b64 v[4:5], v4, v[78:79]
	s_delay_alu instid0(VALU_DEP_1)
	v_and_b32_e32 v78, 7, v4
; %bb.464:                              ;   in Loop: Header=BB279_11 Depth=1
	s_or_b32 exec_lo, exec_lo, s21
	v_lshlrev_b32_e32 v4, 24, v2
	s_delay_alu instid0(VALU_DEP_2) | instskip(SKIP_1) | instid1(VALU_DEP_3)
	v_lshlrev_b32_e32 v5, 20, v78
	v_lshl_add_u32 v3, v3, 23, 0x3c000000
	v_and_b32_e32 v4, 0x80000000, v4
	s_delay_alu instid0(VALU_DEP_1) | instskip(NEXT) | instid1(VALU_DEP_1)
	v_or3_b32 v78, v5, v4, v3
	v_dual_mov_b32 v99, v79 :: v_dual_mov_b32 v98, v78
.LBB279_465:                            ;   in Loop: Header=BB279_11 Depth=1
	s_or_b32 exec_lo, exec_lo, s20
.LBB279_466:                            ;   in Loop: Header=BB279_11 Depth=1
	s_delay_alu instid0(SALU_CYCLE_1)
	s_or_b32 exec_lo, exec_lo, s19
.LBB279_467:                            ;   in Loop: Header=BB279_11 Depth=1
	s_delay_alu instid0(SALU_CYCLE_1) | instskip(SKIP_2) | instid1(VALU_DEP_1)
	s_or_b32 exec_lo, exec_lo, s8
	v_lshrrev_b16 v3, 8, v2
	s_mov_b32 s19, exec_lo
	v_cmpx_ne_u16_e32 0, v3
	s_cbranch_execz .LBB279_475
; %bb.468:                              ;   in Loop: Header=BB279_11 Depth=1
	v_dual_mov_b32 v97, s3 :: v_dual_mov_b32 v96, s2
	s_mov_b32 s20, exec_lo
	v_cmpx_ne_u16_e32 0x80, v3
	s_cbranch_execz .LBB279_474
; %bb.469:                              ;   in Loop: Header=BB279_11 Depth=1
	s_mov_b32 s8, s2
	v_and_b32_e32 v3, 0xffff, v3
	v_dual_mov_b32 v97, s9 :: v_dual_mov_b32 v96, s8
	s_mov_b32 s8, exec_lo
	s_delay_alu instid0(VALU_DEP_2) | instskip(NEXT) | instid1(VALU_DEP_1)
	v_and_b32_e32 v4, 0x7f, v3
	v_cmpx_ne_u32_e32 0x7f, v4
	s_cbranch_execz .LBB279_473
; %bb.470:                              ;   in Loop: Header=BB279_11 Depth=1
	v_and_b32_e32 v78, 7, v3
	v_lshrrev_b32_e32 v3, 3, v4
	s_mov_b32 s21, exec_lo
	v_cmpx_gt_u32_e32 8, v4
; %bb.471:                              ;   in Loop: Header=BB279_11 Depth=1
	s_delay_alu instid0(VALU_DEP_3) | instskip(NEXT) | instid1(VALU_DEP_1)
	v_clz_i32_u32_e32 v3, v78
	v_min_u32_e32 v3, 32, v3
	s_delay_alu instid0(VALU_DEP_1) | instskip(SKIP_1) | instid1(VALU_DEP_2)
	v_subrev_nc_u32_e32 v4, 28, v3
	v_sub_nc_u32_e32 v3, 29, v3
	v_lshlrev_b64 v[4:5], v4, v[78:79]
	s_delay_alu instid0(VALU_DEP_1)
	v_and_b32_e32 v78, 7, v4
; %bb.472:                              ;   in Loop: Header=BB279_11 Depth=1
	s_or_b32 exec_lo, exec_lo, s21
	v_lshlrev_b32_e32 v4, 16, v2
	s_delay_alu instid0(VALU_DEP_2) | instskip(SKIP_1) | instid1(VALU_DEP_3)
	v_dual_mov_b32 v96, v79 :: v_dual_lshlrev_b32 v5, 20, v78
	v_lshl_add_u32 v3, v3, 23, 0x3c000000
	v_and_b32_e32 v4, 0x80000000, v4
	s_delay_alu instid0(VALU_DEP_1)
	v_or3_b32 v97, v5, v4, v3
.LBB279_473:                            ;   in Loop: Header=BB279_11 Depth=1
	s_or_b32 exec_lo, exec_lo, s8
.LBB279_474:                            ;   in Loop: Header=BB279_11 Depth=1
	s_delay_alu instid0(SALU_CYCLE_1)
	s_or_b32 exec_lo, exec_lo, s20
.LBB279_475:                            ;   in Loop: Header=BB279_11 Depth=1
	s_delay_alu instid0(SALU_CYCLE_1) | instskip(SKIP_4) | instid1(VALU_DEP_1)
	s_or_b32 exec_lo, exec_lo, s19
	v_mov_b32_e32 v100, 0
	v_lshrrev_b32_e32 v3, 16, v2
	v_mov_b32_e32 v101, 0
	s_mov_b32 s8, exec_lo
	v_dual_mov_b32 v103, v101 :: v_dual_and_b32 v4, 0xff, v3
	v_mov_b32_e32 v102, v100
	s_delay_alu instid0(VALU_DEP_2)
	v_cmpx_ne_u16_e32 0, v4
	s_cbranch_execz .LBB279_483
; %bb.476:                              ;   in Loop: Header=BB279_11 Depth=1
	v_bfrev_b32_e32 v102, 1
	v_mov_b32_e32 v103, 0
	s_mov_b32 s19, exec_lo
	v_cmpx_ne_u16_e32 0x80, v4
	s_cbranch_execz .LBB279_482
; %bb.477:                              ;   in Loop: Header=BB279_11 Depth=1
	v_mov_b32_e32 v102, 0x7f800001
	v_bfe_u32 v5, v2, 16, 7
	v_mov_b32_e32 v103, 0
	s_mov_b32 s20, exec_lo
	s_delay_alu instid0(VALU_DEP_2)
	v_cmpx_ne_u32_e32 0x7f, v5
	s_cbranch_execz .LBB279_481
; %bb.478:                              ;   in Loop: Header=BB279_11 Depth=1
	v_and_b32_e32 v78, 7, v3
	v_lshrrev_b32_e32 v4, 3, v5
	s_mov_b32 s21, exec_lo
	v_cmpx_gt_u32_e32 8, v5
; %bb.479:                              ;   in Loop: Header=BB279_11 Depth=1
	s_delay_alu instid0(VALU_DEP_3) | instskip(NEXT) | instid1(VALU_DEP_1)
	v_clz_i32_u32_e32 v4, v78
	v_min_u32_e32 v4, 32, v4
	s_delay_alu instid0(VALU_DEP_1) | instskip(SKIP_1) | instid1(VALU_DEP_2)
	v_subrev_nc_u32_e32 v5, 28, v4
	v_sub_nc_u32_e32 v4, 29, v4
	v_lshlrev_b64 v[8:9], v5, v[78:79]
	s_delay_alu instid0(VALU_DEP_1)
	v_and_b32_e32 v78, 7, v8
; %bb.480:                              ;   in Loop: Header=BB279_11 Depth=1
	s_or_b32 exec_lo, exec_lo, s21
	v_lshlrev_b32_e32 v3, 24, v3
	s_delay_alu instid0(VALU_DEP_2) | instskip(SKIP_1) | instid1(VALU_DEP_3)
	v_lshlrev_b32_e32 v5, 20, v78
	v_lshl_add_u32 v4, v4, 23, 0x3c000000
	v_and_b32_e32 v3, 0x80000000, v3
	s_delay_alu instid0(VALU_DEP_1) | instskip(NEXT) | instid1(VALU_DEP_1)
	v_or3_b32 v78, v5, v3, v4
	v_dual_mov_b32 v103, v79 :: v_dual_mov_b32 v102, v78
.LBB279_481:                            ;   in Loop: Header=BB279_11 Depth=1
	s_or_b32 exec_lo, exec_lo, s20
.LBB279_482:                            ;   in Loop: Header=BB279_11 Depth=1
	s_delay_alu instid0(SALU_CYCLE_1)
	s_or_b32 exec_lo, exec_lo, s19
.LBB279_483:                            ;   in Loop: Header=BB279_11 Depth=1
	s_delay_alu instid0(SALU_CYCLE_1) | instskip(NEXT) | instid1(SALU_CYCLE_1)
	s_or_b32 exec_lo, exec_lo, s8
	s_mov_b32 s19, exec_lo
	v_cmpx_lt_u32_e32 0xffffff, v2
	s_cbranch_execz .LBB279_491
; %bb.484:                              ;   in Loop: Header=BB279_11 Depth=1
	v_lshrrev_b32_e32 v3, 24, v2
	v_dual_mov_b32 v101, s3 :: v_dual_mov_b32 v100, s2
	s_mov_b32 s20, exec_lo
	s_delay_alu instid0(VALU_DEP_2)
	v_cmpx_ne_u32_e32 0x80, v3
	s_cbranch_execz .LBB279_490
; %bb.485:                              ;   in Loop: Header=BB279_11 Depth=1
	s_mov_b32 s8, s2
	v_bfe_u32 v4, v2, 24, 7
	v_dual_mov_b32 v101, s9 :: v_dual_mov_b32 v100, s8
	s_mov_b32 s8, exec_lo
	s_delay_alu instid0(VALU_DEP_2)
	v_cmpx_ne_u32_e32 0x7f, v4
	s_cbranch_execz .LBB279_489
; %bb.486:                              ;   in Loop: Header=BB279_11 Depth=1
	v_and_b32_e32 v78, 7, v3
	v_lshrrev_b32_e32 v2, 3, v4
	s_mov_b32 s21, exec_lo
	v_cmpx_gt_u32_e32 8, v4
; %bb.487:                              ;   in Loop: Header=BB279_11 Depth=1
	s_delay_alu instid0(VALU_DEP_3) | instskip(NEXT) | instid1(VALU_DEP_1)
	v_clz_i32_u32_e32 v2, v78
	v_min_u32_e32 v2, 32, v2
	s_delay_alu instid0(VALU_DEP_1) | instskip(SKIP_1) | instid1(VALU_DEP_2)
	v_subrev_nc_u32_e32 v4, 28, v2
	v_sub_nc_u32_e32 v2, 29, v2
	v_lshlrev_b64 v[4:5], v4, v[78:79]
	s_delay_alu instid0(VALU_DEP_1)
	v_and_b32_e32 v78, 7, v4
; %bb.488:                              ;   in Loop: Header=BB279_11 Depth=1
	s_or_b32 exec_lo, exec_lo, s21
	v_dual_mov_b32 v100, v79 :: v_dual_lshlrev_b32 v3, 24, v3
	s_delay_alu instid0(VALU_DEP_2) | instskip(SKIP_1) | instid1(VALU_DEP_3)
	v_lshlrev_b32_e32 v4, 20, v78
	v_lshl_add_u32 v2, v2, 23, 0x3c000000
	v_and_b32_e32 v3, 0x80000000, v3
	s_delay_alu instid0(VALU_DEP_1)
	v_or3_b32 v101, v4, v3, v2
.LBB279_489:                            ;   in Loop: Header=BB279_11 Depth=1
	s_or_b32 exec_lo, exec_lo, s8
.LBB279_490:                            ;   in Loop: Header=BB279_11 Depth=1
	s_delay_alu instid0(SALU_CYCLE_1)
	s_or_b32 exec_lo, exec_lo, s20
.LBB279_491:                            ;   in Loop: Header=BB279_11 Depth=1
	s_delay_alu instid0(SALU_CYCLE_1) | instskip(SKIP_4) | instid1(VALU_DEP_1)
	s_or_b32 exec_lo, exec_lo, s19
	flat_load_b32 v2, v[136:137] offset:1548
	v_mov_b32_e32 v112, 0
	v_mov_b32_e32 v113, 0
	s_mov_b32 s8, exec_lo
	v_dual_mov_b32 v115, v113 :: v_dual_mov_b32 v114, v112
	s_waitcnt vmcnt(0) lgkmcnt(0)
	v_and_b32_e32 v3, 0xff, v2
	s_delay_alu instid0(VALU_DEP_1)
	v_cmpx_ne_u16_e32 0, v3
	s_cbranch_execz .LBB279_499
; %bb.492:                              ;   in Loop: Header=BB279_11 Depth=1
	v_bfrev_b32_e32 v114, 1
	v_mov_b32_e32 v115, 0
	s_mov_b32 s19, exec_lo
	v_cmpx_ne_u16_e32 0x80, v3
	s_cbranch_execz .LBB279_498
; %bb.493:                              ;   in Loop: Header=BB279_11 Depth=1
	v_mov_b32_e32 v114, 0x7f800001
	v_dual_mov_b32 v115, 0 :: v_dual_and_b32 v4, 0x7f, v2
	s_mov_b32 s20, exec_lo
	s_delay_alu instid0(VALU_DEP_1)
	v_cmpx_ne_u32_e32 0x7f, v4
	s_cbranch_execz .LBB279_497
; %bb.494:                              ;   in Loop: Header=BB279_11 Depth=1
	v_and_b32_e32 v78, 7, v2
	v_lshrrev_b32_e32 v3, 3, v4
	s_mov_b32 s21, exec_lo
	v_cmpx_gt_u32_e32 8, v4
; %bb.495:                              ;   in Loop: Header=BB279_11 Depth=1
	s_delay_alu instid0(VALU_DEP_3) | instskip(NEXT) | instid1(VALU_DEP_1)
	v_clz_i32_u32_e32 v3, v78
	v_min_u32_e32 v3, 32, v3
	s_delay_alu instid0(VALU_DEP_1) | instskip(SKIP_1) | instid1(VALU_DEP_2)
	v_subrev_nc_u32_e32 v4, 28, v3
	v_sub_nc_u32_e32 v3, 29, v3
	v_lshlrev_b64 v[4:5], v4, v[78:79]
	s_delay_alu instid0(VALU_DEP_1)
	v_and_b32_e32 v78, 7, v4
; %bb.496:                              ;   in Loop: Header=BB279_11 Depth=1
	s_or_b32 exec_lo, exec_lo, s21
	v_lshlrev_b32_e32 v4, 24, v2
	s_delay_alu instid0(VALU_DEP_2) | instskip(SKIP_1) | instid1(VALU_DEP_3)
	v_lshlrev_b32_e32 v5, 20, v78
	v_lshl_add_u32 v3, v3, 23, 0x3c000000
	v_and_b32_e32 v4, 0x80000000, v4
	s_delay_alu instid0(VALU_DEP_1) | instskip(NEXT) | instid1(VALU_DEP_1)
	v_or3_b32 v78, v5, v4, v3
	v_dual_mov_b32 v115, v79 :: v_dual_mov_b32 v114, v78
.LBB279_497:                            ;   in Loop: Header=BB279_11 Depth=1
	s_or_b32 exec_lo, exec_lo, s20
.LBB279_498:                            ;   in Loop: Header=BB279_11 Depth=1
	s_delay_alu instid0(SALU_CYCLE_1)
	s_or_b32 exec_lo, exec_lo, s19
.LBB279_499:                            ;   in Loop: Header=BB279_11 Depth=1
	s_delay_alu instid0(SALU_CYCLE_1) | instskip(SKIP_2) | instid1(VALU_DEP_1)
	s_or_b32 exec_lo, exec_lo, s8
	v_lshrrev_b16 v3, 8, v2
	s_mov_b32 s19, exec_lo
	v_cmpx_ne_u16_e32 0, v3
	s_cbranch_execz .LBB279_507
; %bb.500:                              ;   in Loop: Header=BB279_11 Depth=1
	v_dual_mov_b32 v113, s3 :: v_dual_mov_b32 v112, s2
	s_mov_b32 s20, exec_lo
	v_cmpx_ne_u16_e32 0x80, v3
	s_cbranch_execz .LBB279_506
; %bb.501:                              ;   in Loop: Header=BB279_11 Depth=1
	s_mov_b32 s8, s2
	v_and_b32_e32 v3, 0xffff, v3
	v_dual_mov_b32 v113, s9 :: v_dual_mov_b32 v112, s8
	s_mov_b32 s8, exec_lo
	s_delay_alu instid0(VALU_DEP_2) | instskip(NEXT) | instid1(VALU_DEP_1)
	v_and_b32_e32 v4, 0x7f, v3
	v_cmpx_ne_u32_e32 0x7f, v4
	s_cbranch_execz .LBB279_505
; %bb.502:                              ;   in Loop: Header=BB279_11 Depth=1
	v_and_b32_e32 v78, 7, v3
	v_lshrrev_b32_e32 v3, 3, v4
	s_mov_b32 s21, exec_lo
	v_cmpx_gt_u32_e32 8, v4
; %bb.503:                              ;   in Loop: Header=BB279_11 Depth=1
	s_delay_alu instid0(VALU_DEP_3) | instskip(NEXT) | instid1(VALU_DEP_1)
	v_clz_i32_u32_e32 v3, v78
	v_min_u32_e32 v3, 32, v3
	s_delay_alu instid0(VALU_DEP_1) | instskip(SKIP_1) | instid1(VALU_DEP_2)
	v_subrev_nc_u32_e32 v4, 28, v3
	v_sub_nc_u32_e32 v3, 29, v3
	v_lshlrev_b64 v[4:5], v4, v[78:79]
	s_delay_alu instid0(VALU_DEP_1)
	v_and_b32_e32 v78, 7, v4
; %bb.504:                              ;   in Loop: Header=BB279_11 Depth=1
	s_or_b32 exec_lo, exec_lo, s21
	v_lshlrev_b32_e32 v4, 16, v2
	s_delay_alu instid0(VALU_DEP_2) | instskip(SKIP_1) | instid1(VALU_DEP_3)
	v_dual_mov_b32 v112, v79 :: v_dual_lshlrev_b32 v5, 20, v78
	v_lshl_add_u32 v3, v3, 23, 0x3c000000
	v_and_b32_e32 v4, 0x80000000, v4
	s_delay_alu instid0(VALU_DEP_1)
	v_or3_b32 v113, v5, v4, v3
.LBB279_505:                            ;   in Loop: Header=BB279_11 Depth=1
	s_or_b32 exec_lo, exec_lo, s8
.LBB279_506:                            ;   in Loop: Header=BB279_11 Depth=1
	s_delay_alu instid0(SALU_CYCLE_1)
	s_or_b32 exec_lo, exec_lo, s20
.LBB279_507:                            ;   in Loop: Header=BB279_11 Depth=1
	s_delay_alu instid0(SALU_CYCLE_1) | instskip(SKIP_4) | instid1(VALU_DEP_1)
	s_or_b32 exec_lo, exec_lo, s19
	v_mov_b32_e32 v116, 0
	v_lshrrev_b32_e32 v3, 16, v2
	v_mov_b32_e32 v117, 0
	s_mov_b32 s8, exec_lo
	v_dual_mov_b32 v119, v117 :: v_dual_and_b32 v4, 0xff, v3
	v_mov_b32_e32 v118, v116
	s_delay_alu instid0(VALU_DEP_2)
	v_cmpx_ne_u16_e32 0, v4
	s_cbranch_execz .LBB279_515
; %bb.508:                              ;   in Loop: Header=BB279_11 Depth=1
	v_bfrev_b32_e32 v118, 1
	v_mov_b32_e32 v119, 0
	s_mov_b32 s19, exec_lo
	v_cmpx_ne_u16_e32 0x80, v4
	s_cbranch_execz .LBB279_514
; %bb.509:                              ;   in Loop: Header=BB279_11 Depth=1
	v_mov_b32_e32 v118, 0x7f800001
	v_bfe_u32 v5, v2, 16, 7
	v_mov_b32_e32 v119, 0
	s_mov_b32 s20, exec_lo
	s_delay_alu instid0(VALU_DEP_2)
	v_cmpx_ne_u32_e32 0x7f, v5
	s_cbranch_execz .LBB279_513
; %bb.510:                              ;   in Loop: Header=BB279_11 Depth=1
	v_and_b32_e32 v78, 7, v3
	v_lshrrev_b32_e32 v4, 3, v5
	s_mov_b32 s21, exec_lo
	v_cmpx_gt_u32_e32 8, v5
; %bb.511:                              ;   in Loop: Header=BB279_11 Depth=1
	s_delay_alu instid0(VALU_DEP_3) | instskip(NEXT) | instid1(VALU_DEP_1)
	v_clz_i32_u32_e32 v4, v78
	v_min_u32_e32 v4, 32, v4
	s_delay_alu instid0(VALU_DEP_1) | instskip(SKIP_1) | instid1(VALU_DEP_2)
	v_subrev_nc_u32_e32 v5, 28, v4
	v_sub_nc_u32_e32 v4, 29, v4
	v_lshlrev_b64 v[8:9], v5, v[78:79]
	s_delay_alu instid0(VALU_DEP_1)
	v_and_b32_e32 v78, 7, v8
; %bb.512:                              ;   in Loop: Header=BB279_11 Depth=1
	s_or_b32 exec_lo, exec_lo, s21
	v_lshlrev_b32_e32 v3, 24, v3
	s_delay_alu instid0(VALU_DEP_2) | instskip(SKIP_1) | instid1(VALU_DEP_3)
	v_lshlrev_b32_e32 v5, 20, v78
	v_lshl_add_u32 v4, v4, 23, 0x3c000000
	v_and_b32_e32 v3, 0x80000000, v3
	s_delay_alu instid0(VALU_DEP_1) | instskip(NEXT) | instid1(VALU_DEP_1)
	v_or3_b32 v78, v5, v3, v4
	v_dual_mov_b32 v119, v79 :: v_dual_mov_b32 v118, v78
.LBB279_513:                            ;   in Loop: Header=BB279_11 Depth=1
	s_or_b32 exec_lo, exec_lo, s20
.LBB279_514:                            ;   in Loop: Header=BB279_11 Depth=1
	s_delay_alu instid0(SALU_CYCLE_1)
	s_or_b32 exec_lo, exec_lo, s19
.LBB279_515:                            ;   in Loop: Header=BB279_11 Depth=1
	s_delay_alu instid0(SALU_CYCLE_1) | instskip(NEXT) | instid1(SALU_CYCLE_1)
	s_or_b32 exec_lo, exec_lo, s8
	s_mov_b32 s19, exec_lo
	v_cmpx_lt_u32_e32 0xffffff, v2
	s_cbranch_execz .LBB279_523
; %bb.516:                              ;   in Loop: Header=BB279_11 Depth=1
	v_lshrrev_b32_e32 v3, 24, v2
	v_dual_mov_b32 v117, s3 :: v_dual_mov_b32 v116, s2
	s_mov_b32 s20, exec_lo
	s_delay_alu instid0(VALU_DEP_2)
	v_cmpx_ne_u32_e32 0x80, v3
	s_cbranch_execz .LBB279_522
; %bb.517:                              ;   in Loop: Header=BB279_11 Depth=1
	s_mov_b32 s8, s2
	v_bfe_u32 v4, v2, 24, 7
	v_dual_mov_b32 v117, s9 :: v_dual_mov_b32 v116, s8
	s_mov_b32 s8, exec_lo
	s_delay_alu instid0(VALU_DEP_2)
	v_cmpx_ne_u32_e32 0x7f, v4
	s_cbranch_execz .LBB279_521
; %bb.518:                              ;   in Loop: Header=BB279_11 Depth=1
	v_and_b32_e32 v78, 7, v3
	v_lshrrev_b32_e32 v2, 3, v4
	s_mov_b32 s21, exec_lo
	v_cmpx_gt_u32_e32 8, v4
; %bb.519:                              ;   in Loop: Header=BB279_11 Depth=1
	s_delay_alu instid0(VALU_DEP_3) | instskip(NEXT) | instid1(VALU_DEP_1)
	v_clz_i32_u32_e32 v2, v78
	v_min_u32_e32 v2, 32, v2
	s_delay_alu instid0(VALU_DEP_1) | instskip(SKIP_1) | instid1(VALU_DEP_2)
	v_subrev_nc_u32_e32 v4, 28, v2
	v_sub_nc_u32_e32 v2, 29, v2
	v_lshlrev_b64 v[4:5], v4, v[78:79]
	s_delay_alu instid0(VALU_DEP_1)
	v_and_b32_e32 v78, 7, v4
; %bb.520:                              ;   in Loop: Header=BB279_11 Depth=1
	s_or_b32 exec_lo, exec_lo, s21
	v_dual_mov_b32 v116, v79 :: v_dual_lshlrev_b32 v3, 24, v3
	s_delay_alu instid0(VALU_DEP_2) | instskip(SKIP_1) | instid1(VALU_DEP_3)
	v_lshlrev_b32_e32 v4, 20, v78
	v_lshl_add_u32 v2, v2, 23, 0x3c000000
	v_and_b32_e32 v3, 0x80000000, v3
	s_delay_alu instid0(VALU_DEP_1)
	v_or3_b32 v117, v4, v3, v2
.LBB279_521:                            ;   in Loop: Header=BB279_11 Depth=1
	s_or_b32 exec_lo, exec_lo, s8
.LBB279_522:                            ;   in Loop: Header=BB279_11 Depth=1
	s_delay_alu instid0(SALU_CYCLE_1)
	s_or_b32 exec_lo, exec_lo, s20
.LBB279_523:                            ;   in Loop: Header=BB279_11 Depth=1
	s_delay_alu instid0(SALU_CYCLE_1) | instskip(SKIP_4) | instid1(VALU_DEP_1)
	s_or_b32 exec_lo, exec_lo, s19
	flat_load_b32 v2, v[136:137] offset:2048
	v_mov_b32_e32 v128, 0
	v_mov_b32_e32 v129, 0
	s_mov_b32 s8, exec_lo
	v_dual_mov_b32 v131, v129 :: v_dual_mov_b32 v130, v128
	s_waitcnt vmcnt(0) lgkmcnt(0)
	v_and_b32_e32 v3, 0xff, v2
	s_delay_alu instid0(VALU_DEP_1)
	v_cmpx_ne_u16_e32 0, v3
	s_cbranch_execz .LBB279_531
; %bb.524:                              ;   in Loop: Header=BB279_11 Depth=1
	v_bfrev_b32_e32 v130, 1
	v_mov_b32_e32 v131, 0
	s_mov_b32 s19, exec_lo
	v_cmpx_ne_u16_e32 0x80, v3
	s_cbranch_execz .LBB279_530
; %bb.525:                              ;   in Loop: Header=BB279_11 Depth=1
	v_mov_b32_e32 v130, 0x7f800001
	v_dual_mov_b32 v131, 0 :: v_dual_and_b32 v4, 0x7f, v2
	s_mov_b32 s20, exec_lo
	s_delay_alu instid0(VALU_DEP_1)
	v_cmpx_ne_u32_e32 0x7f, v4
	s_cbranch_execz .LBB279_529
; %bb.526:                              ;   in Loop: Header=BB279_11 Depth=1
	v_and_b32_e32 v78, 7, v2
	v_lshrrev_b32_e32 v3, 3, v4
	s_mov_b32 s21, exec_lo
	v_cmpx_gt_u32_e32 8, v4
; %bb.527:                              ;   in Loop: Header=BB279_11 Depth=1
	s_delay_alu instid0(VALU_DEP_3) | instskip(NEXT) | instid1(VALU_DEP_1)
	v_clz_i32_u32_e32 v3, v78
	v_min_u32_e32 v3, 32, v3
	s_delay_alu instid0(VALU_DEP_1) | instskip(SKIP_1) | instid1(VALU_DEP_2)
	v_subrev_nc_u32_e32 v4, 28, v3
	v_sub_nc_u32_e32 v3, 29, v3
	v_lshlrev_b64 v[4:5], v4, v[78:79]
	s_delay_alu instid0(VALU_DEP_1)
	v_and_b32_e32 v78, 7, v4
; %bb.528:                              ;   in Loop: Header=BB279_11 Depth=1
	s_or_b32 exec_lo, exec_lo, s21
	v_lshlrev_b32_e32 v4, 24, v2
	s_delay_alu instid0(VALU_DEP_2) | instskip(SKIP_1) | instid1(VALU_DEP_3)
	v_lshlrev_b32_e32 v5, 20, v78
	v_lshl_add_u32 v3, v3, 23, 0x3c000000
	v_and_b32_e32 v4, 0x80000000, v4
	s_delay_alu instid0(VALU_DEP_1) | instskip(NEXT) | instid1(VALU_DEP_1)
	v_or3_b32 v78, v5, v4, v3
	v_dual_mov_b32 v131, v79 :: v_dual_mov_b32 v130, v78
.LBB279_529:                            ;   in Loop: Header=BB279_11 Depth=1
	s_or_b32 exec_lo, exec_lo, s20
.LBB279_530:                            ;   in Loop: Header=BB279_11 Depth=1
	s_delay_alu instid0(SALU_CYCLE_1)
	s_or_b32 exec_lo, exec_lo, s19
.LBB279_531:                            ;   in Loop: Header=BB279_11 Depth=1
	s_delay_alu instid0(SALU_CYCLE_1) | instskip(SKIP_2) | instid1(VALU_DEP_1)
	s_or_b32 exec_lo, exec_lo, s8
	v_lshrrev_b16 v3, 8, v2
	s_mov_b32 s19, exec_lo
	v_cmpx_ne_u16_e32 0, v3
	s_cbranch_execz .LBB279_539
; %bb.532:                              ;   in Loop: Header=BB279_11 Depth=1
	v_dual_mov_b32 v129, s3 :: v_dual_mov_b32 v128, s2
	s_mov_b32 s20, exec_lo
	v_cmpx_ne_u16_e32 0x80, v3
	s_cbranch_execz .LBB279_538
; %bb.533:                              ;   in Loop: Header=BB279_11 Depth=1
	s_mov_b32 s8, s2
	v_and_b32_e32 v3, 0xffff, v3
	v_dual_mov_b32 v129, s9 :: v_dual_mov_b32 v128, s8
	s_mov_b32 s8, exec_lo
	s_delay_alu instid0(VALU_DEP_2) | instskip(NEXT) | instid1(VALU_DEP_1)
	v_and_b32_e32 v4, 0x7f, v3
	v_cmpx_ne_u32_e32 0x7f, v4
	s_cbranch_execz .LBB279_537
; %bb.534:                              ;   in Loop: Header=BB279_11 Depth=1
	v_and_b32_e32 v78, 7, v3
	v_lshrrev_b32_e32 v3, 3, v4
	s_mov_b32 s21, exec_lo
	v_cmpx_gt_u32_e32 8, v4
; %bb.535:                              ;   in Loop: Header=BB279_11 Depth=1
	s_delay_alu instid0(VALU_DEP_3) | instskip(NEXT) | instid1(VALU_DEP_1)
	v_clz_i32_u32_e32 v3, v78
	v_min_u32_e32 v3, 32, v3
	s_delay_alu instid0(VALU_DEP_1) | instskip(SKIP_1) | instid1(VALU_DEP_2)
	v_subrev_nc_u32_e32 v4, 28, v3
	v_sub_nc_u32_e32 v3, 29, v3
	v_lshlrev_b64 v[4:5], v4, v[78:79]
	s_delay_alu instid0(VALU_DEP_1)
	v_and_b32_e32 v78, 7, v4
; %bb.536:                              ;   in Loop: Header=BB279_11 Depth=1
	s_or_b32 exec_lo, exec_lo, s21
	v_lshlrev_b32_e32 v4, 16, v2
	s_delay_alu instid0(VALU_DEP_2) | instskip(SKIP_1) | instid1(VALU_DEP_3)
	v_dual_mov_b32 v128, v79 :: v_dual_lshlrev_b32 v5, 20, v78
	v_lshl_add_u32 v3, v3, 23, 0x3c000000
	v_and_b32_e32 v4, 0x80000000, v4
	s_delay_alu instid0(VALU_DEP_1)
	v_or3_b32 v129, v5, v4, v3
.LBB279_537:                            ;   in Loop: Header=BB279_11 Depth=1
	s_or_b32 exec_lo, exec_lo, s8
.LBB279_538:                            ;   in Loop: Header=BB279_11 Depth=1
	s_delay_alu instid0(SALU_CYCLE_1)
	s_or_b32 exec_lo, exec_lo, s20
.LBB279_539:                            ;   in Loop: Header=BB279_11 Depth=1
	s_delay_alu instid0(SALU_CYCLE_1) | instskip(SKIP_4) | instid1(VALU_DEP_1)
	s_or_b32 exec_lo, exec_lo, s19
	v_mov_b32_e32 v132, 0
	v_lshrrev_b32_e32 v3, 16, v2
	v_mov_b32_e32 v133, 0
	s_mov_b32 s8, exec_lo
	v_dual_mov_b32 v135, v133 :: v_dual_and_b32 v4, 0xff, v3
	v_mov_b32_e32 v134, v132
	s_delay_alu instid0(VALU_DEP_2)
	v_cmpx_ne_u16_e32 0, v4
	s_cbranch_execz .LBB279_547
; %bb.540:                              ;   in Loop: Header=BB279_11 Depth=1
	v_bfrev_b32_e32 v134, 1
	v_mov_b32_e32 v135, 0
	s_mov_b32 s19, exec_lo
	v_cmpx_ne_u16_e32 0x80, v4
	s_cbranch_execz .LBB279_546
; %bb.541:                              ;   in Loop: Header=BB279_11 Depth=1
	v_mov_b32_e32 v134, 0x7f800001
	v_bfe_u32 v5, v2, 16, 7
	v_mov_b32_e32 v135, 0
	s_mov_b32 s20, exec_lo
	s_delay_alu instid0(VALU_DEP_2)
	v_cmpx_ne_u32_e32 0x7f, v5
	s_cbranch_execz .LBB279_545
; %bb.542:                              ;   in Loop: Header=BB279_11 Depth=1
	v_and_b32_e32 v78, 7, v3
	v_lshrrev_b32_e32 v4, 3, v5
	s_mov_b32 s21, exec_lo
	v_cmpx_gt_u32_e32 8, v5
; %bb.543:                              ;   in Loop: Header=BB279_11 Depth=1
	s_delay_alu instid0(VALU_DEP_3) | instskip(NEXT) | instid1(VALU_DEP_1)
	v_clz_i32_u32_e32 v4, v78
	v_min_u32_e32 v4, 32, v4
	s_delay_alu instid0(VALU_DEP_1) | instskip(SKIP_1) | instid1(VALU_DEP_2)
	v_subrev_nc_u32_e32 v5, 28, v4
	v_sub_nc_u32_e32 v4, 29, v4
	v_lshlrev_b64 v[8:9], v5, v[78:79]
	s_delay_alu instid0(VALU_DEP_1)
	v_and_b32_e32 v78, 7, v8
; %bb.544:                              ;   in Loop: Header=BB279_11 Depth=1
	s_or_b32 exec_lo, exec_lo, s21
	v_lshlrev_b32_e32 v3, 24, v3
	s_delay_alu instid0(VALU_DEP_2) | instskip(SKIP_1) | instid1(VALU_DEP_3)
	v_lshlrev_b32_e32 v5, 20, v78
	v_lshl_add_u32 v4, v4, 23, 0x3c000000
	v_and_b32_e32 v3, 0x80000000, v3
	s_delay_alu instid0(VALU_DEP_1) | instskip(NEXT) | instid1(VALU_DEP_1)
	v_or3_b32 v78, v5, v3, v4
	v_dual_mov_b32 v135, v79 :: v_dual_mov_b32 v134, v78
.LBB279_545:                            ;   in Loop: Header=BB279_11 Depth=1
	s_or_b32 exec_lo, exec_lo, s20
.LBB279_546:                            ;   in Loop: Header=BB279_11 Depth=1
	s_delay_alu instid0(SALU_CYCLE_1)
	s_or_b32 exec_lo, exec_lo, s19
.LBB279_547:                            ;   in Loop: Header=BB279_11 Depth=1
	s_delay_alu instid0(SALU_CYCLE_1) | instskip(NEXT) | instid1(SALU_CYCLE_1)
	s_or_b32 exec_lo, exec_lo, s8
	s_mov_b32 s19, exec_lo
	v_cmpx_lt_u32_e32 0xffffff, v2
	s_cbranch_execz .LBB279_555
; %bb.548:                              ;   in Loop: Header=BB279_11 Depth=1
	v_lshrrev_b32_e32 v3, 24, v2
	v_dual_mov_b32 v133, s3 :: v_dual_mov_b32 v132, s2
	s_mov_b32 s20, exec_lo
	s_delay_alu instid0(VALU_DEP_2)
	v_cmpx_ne_u32_e32 0x80, v3
	s_cbranch_execz .LBB279_554
; %bb.549:                              ;   in Loop: Header=BB279_11 Depth=1
	s_mov_b32 s8, s2
	v_bfe_u32 v4, v2, 24, 7
	v_dual_mov_b32 v133, s9 :: v_dual_mov_b32 v132, s8
	s_mov_b32 s8, exec_lo
	s_delay_alu instid0(VALU_DEP_2)
	v_cmpx_ne_u32_e32 0x7f, v4
	s_cbranch_execz .LBB279_553
; %bb.550:                              ;   in Loop: Header=BB279_11 Depth=1
	v_and_b32_e32 v78, 7, v3
	v_lshrrev_b32_e32 v2, 3, v4
	s_mov_b32 s21, exec_lo
	v_cmpx_gt_u32_e32 8, v4
; %bb.551:                              ;   in Loop: Header=BB279_11 Depth=1
	s_delay_alu instid0(VALU_DEP_3) | instskip(NEXT) | instid1(VALU_DEP_1)
	v_clz_i32_u32_e32 v2, v78
	v_min_u32_e32 v2, 32, v2
	s_delay_alu instid0(VALU_DEP_1) | instskip(SKIP_1) | instid1(VALU_DEP_2)
	v_subrev_nc_u32_e32 v4, 28, v2
	v_sub_nc_u32_e32 v2, 29, v2
	v_lshlrev_b64 v[4:5], v4, v[78:79]
	s_delay_alu instid0(VALU_DEP_1)
	v_and_b32_e32 v78, 7, v4
; %bb.552:                              ;   in Loop: Header=BB279_11 Depth=1
	s_or_b32 exec_lo, exec_lo, s21
	v_dual_mov_b32 v132, v79 :: v_dual_lshlrev_b32 v3, 24, v3
	s_delay_alu instid0(VALU_DEP_2) | instskip(SKIP_1) | instid1(VALU_DEP_3)
	v_lshlrev_b32_e32 v4, 20, v78
	v_lshl_add_u32 v2, v2, 23, 0x3c000000
	v_and_b32_e32 v3, 0x80000000, v3
	s_delay_alu instid0(VALU_DEP_1)
	v_or3_b32 v133, v4, v3, v2
.LBB279_553:                            ;   in Loop: Header=BB279_11 Depth=1
	s_or_b32 exec_lo, exec_lo, s8
.LBB279_554:                            ;   in Loop: Header=BB279_11 Depth=1
	s_delay_alu instid0(SALU_CYCLE_1)
	s_or_b32 exec_lo, exec_lo, s20
.LBB279_555:                            ;   in Loop: Header=BB279_11 Depth=1
	s_delay_alu instid0(SALU_CYCLE_1) | instskip(SKIP_4) | instid1(VALU_DEP_1)
	s_or_b32 exec_lo, exec_lo, s19
	flat_load_b32 v2, v[136:137] offset:2052
	v_mov_b32_e32 v144, 0
	v_mov_b32_e32 v145, 0
	s_mov_b32 s8, exec_lo
	v_dual_mov_b32 v147, v145 :: v_dual_mov_b32 v146, v144
	s_waitcnt vmcnt(0) lgkmcnt(0)
	v_and_b32_e32 v3, 0xff, v2
	s_delay_alu instid0(VALU_DEP_1)
	v_cmpx_ne_u16_e32 0, v3
	s_cbranch_execz .LBB279_563
; %bb.556:                              ;   in Loop: Header=BB279_11 Depth=1
	v_bfrev_b32_e32 v146, 1
	v_mov_b32_e32 v147, 0
	s_mov_b32 s19, exec_lo
	v_cmpx_ne_u16_e32 0x80, v3
	s_cbranch_execz .LBB279_562
; %bb.557:                              ;   in Loop: Header=BB279_11 Depth=1
	v_mov_b32_e32 v146, 0x7f800001
	v_dual_mov_b32 v147, 0 :: v_dual_and_b32 v4, 0x7f, v2
	s_mov_b32 s20, exec_lo
	s_delay_alu instid0(VALU_DEP_1)
	v_cmpx_ne_u32_e32 0x7f, v4
	s_cbranch_execz .LBB279_561
; %bb.558:                              ;   in Loop: Header=BB279_11 Depth=1
	v_and_b32_e32 v78, 7, v2
	v_lshrrev_b32_e32 v3, 3, v4
	s_mov_b32 s21, exec_lo
	v_cmpx_gt_u32_e32 8, v4
; %bb.559:                              ;   in Loop: Header=BB279_11 Depth=1
	s_delay_alu instid0(VALU_DEP_3) | instskip(NEXT) | instid1(VALU_DEP_1)
	v_clz_i32_u32_e32 v3, v78
	v_min_u32_e32 v3, 32, v3
	s_delay_alu instid0(VALU_DEP_1) | instskip(SKIP_1) | instid1(VALU_DEP_2)
	v_subrev_nc_u32_e32 v4, 28, v3
	v_sub_nc_u32_e32 v3, 29, v3
	v_lshlrev_b64 v[4:5], v4, v[78:79]
	s_delay_alu instid0(VALU_DEP_1)
	v_and_b32_e32 v78, 7, v4
; %bb.560:                              ;   in Loop: Header=BB279_11 Depth=1
	s_or_b32 exec_lo, exec_lo, s21
	v_lshlrev_b32_e32 v4, 24, v2
	s_delay_alu instid0(VALU_DEP_2) | instskip(SKIP_1) | instid1(VALU_DEP_3)
	v_lshlrev_b32_e32 v5, 20, v78
	v_lshl_add_u32 v3, v3, 23, 0x3c000000
	v_and_b32_e32 v4, 0x80000000, v4
	s_delay_alu instid0(VALU_DEP_1) | instskip(NEXT) | instid1(VALU_DEP_1)
	v_or3_b32 v78, v5, v4, v3
	v_dual_mov_b32 v147, v79 :: v_dual_mov_b32 v146, v78
.LBB279_561:                            ;   in Loop: Header=BB279_11 Depth=1
	s_or_b32 exec_lo, exec_lo, s20
.LBB279_562:                            ;   in Loop: Header=BB279_11 Depth=1
	s_delay_alu instid0(SALU_CYCLE_1)
	s_or_b32 exec_lo, exec_lo, s19
.LBB279_563:                            ;   in Loop: Header=BB279_11 Depth=1
	s_delay_alu instid0(SALU_CYCLE_1) | instskip(SKIP_2) | instid1(VALU_DEP_1)
	s_or_b32 exec_lo, exec_lo, s8
	v_lshrrev_b16 v3, 8, v2
	s_mov_b32 s19, exec_lo
	v_cmpx_ne_u16_e32 0, v3
	s_cbranch_execz .LBB279_571
; %bb.564:                              ;   in Loop: Header=BB279_11 Depth=1
	v_dual_mov_b32 v145, s3 :: v_dual_mov_b32 v144, s2
	s_mov_b32 s20, exec_lo
	v_cmpx_ne_u16_e32 0x80, v3
	s_cbranch_execz .LBB279_570
; %bb.565:                              ;   in Loop: Header=BB279_11 Depth=1
	s_mov_b32 s8, s2
	v_and_b32_e32 v3, 0xffff, v3
	v_dual_mov_b32 v145, s9 :: v_dual_mov_b32 v144, s8
	s_mov_b32 s8, exec_lo
	s_delay_alu instid0(VALU_DEP_2) | instskip(NEXT) | instid1(VALU_DEP_1)
	v_and_b32_e32 v4, 0x7f, v3
	v_cmpx_ne_u32_e32 0x7f, v4
	s_cbranch_execz .LBB279_569
; %bb.566:                              ;   in Loop: Header=BB279_11 Depth=1
	v_and_b32_e32 v78, 7, v3
	v_lshrrev_b32_e32 v3, 3, v4
	s_mov_b32 s21, exec_lo
	v_cmpx_gt_u32_e32 8, v4
; %bb.567:                              ;   in Loop: Header=BB279_11 Depth=1
	s_delay_alu instid0(VALU_DEP_3) | instskip(NEXT) | instid1(VALU_DEP_1)
	v_clz_i32_u32_e32 v3, v78
	v_min_u32_e32 v3, 32, v3
	s_delay_alu instid0(VALU_DEP_1) | instskip(SKIP_1) | instid1(VALU_DEP_2)
	v_subrev_nc_u32_e32 v4, 28, v3
	v_sub_nc_u32_e32 v3, 29, v3
	v_lshlrev_b64 v[4:5], v4, v[78:79]
	s_delay_alu instid0(VALU_DEP_1)
	v_and_b32_e32 v78, 7, v4
; %bb.568:                              ;   in Loop: Header=BB279_11 Depth=1
	s_or_b32 exec_lo, exec_lo, s21
	v_lshlrev_b32_e32 v4, 16, v2
	s_delay_alu instid0(VALU_DEP_2) | instskip(SKIP_1) | instid1(VALU_DEP_3)
	v_dual_mov_b32 v144, v79 :: v_dual_lshlrev_b32 v5, 20, v78
	v_lshl_add_u32 v3, v3, 23, 0x3c000000
	v_and_b32_e32 v4, 0x80000000, v4
	s_delay_alu instid0(VALU_DEP_1)
	v_or3_b32 v145, v5, v4, v3
.LBB279_569:                            ;   in Loop: Header=BB279_11 Depth=1
	s_or_b32 exec_lo, exec_lo, s8
.LBB279_570:                            ;   in Loop: Header=BB279_11 Depth=1
	s_delay_alu instid0(SALU_CYCLE_1)
	s_or_b32 exec_lo, exec_lo, s20
.LBB279_571:                            ;   in Loop: Header=BB279_11 Depth=1
	s_delay_alu instid0(SALU_CYCLE_1) | instskip(SKIP_4) | instid1(VALU_DEP_1)
	s_or_b32 exec_lo, exec_lo, s19
	v_mov_b32_e32 v148, 0
	v_lshrrev_b32_e32 v3, 16, v2
	v_mov_b32_e32 v149, 0
	s_mov_b32 s8, exec_lo
	v_dual_mov_b32 v151, v149 :: v_dual_and_b32 v4, 0xff, v3
	v_mov_b32_e32 v150, v148
	s_delay_alu instid0(VALU_DEP_2)
	v_cmpx_ne_u16_e32 0, v4
	s_cbranch_execz .LBB279_579
; %bb.572:                              ;   in Loop: Header=BB279_11 Depth=1
	v_bfrev_b32_e32 v150, 1
	v_mov_b32_e32 v151, 0
	s_mov_b32 s19, exec_lo
	v_cmpx_ne_u16_e32 0x80, v4
	s_cbranch_execz .LBB279_578
; %bb.573:                              ;   in Loop: Header=BB279_11 Depth=1
	v_mov_b32_e32 v150, 0x7f800001
	v_bfe_u32 v5, v2, 16, 7
	v_mov_b32_e32 v151, 0
	s_mov_b32 s20, exec_lo
	s_delay_alu instid0(VALU_DEP_2)
	v_cmpx_ne_u32_e32 0x7f, v5
	s_cbranch_execz .LBB279_577
; %bb.574:                              ;   in Loop: Header=BB279_11 Depth=1
	v_and_b32_e32 v78, 7, v3
	v_lshrrev_b32_e32 v4, 3, v5
	s_mov_b32 s21, exec_lo
	v_cmpx_gt_u32_e32 8, v5
; %bb.575:                              ;   in Loop: Header=BB279_11 Depth=1
	s_delay_alu instid0(VALU_DEP_3) | instskip(NEXT) | instid1(VALU_DEP_1)
	v_clz_i32_u32_e32 v4, v78
	v_min_u32_e32 v4, 32, v4
	s_delay_alu instid0(VALU_DEP_1) | instskip(SKIP_1) | instid1(VALU_DEP_2)
	v_subrev_nc_u32_e32 v5, 28, v4
	v_sub_nc_u32_e32 v4, 29, v4
	v_lshlrev_b64 v[8:9], v5, v[78:79]
	s_delay_alu instid0(VALU_DEP_1)
	v_and_b32_e32 v78, 7, v8
; %bb.576:                              ;   in Loop: Header=BB279_11 Depth=1
	s_or_b32 exec_lo, exec_lo, s21
	v_lshlrev_b32_e32 v3, 24, v3
	s_delay_alu instid0(VALU_DEP_2) | instskip(SKIP_1) | instid1(VALU_DEP_3)
	v_lshlrev_b32_e32 v5, 20, v78
	v_lshl_add_u32 v4, v4, 23, 0x3c000000
	v_and_b32_e32 v3, 0x80000000, v3
	s_delay_alu instid0(VALU_DEP_1) | instskip(NEXT) | instid1(VALU_DEP_1)
	v_or3_b32 v78, v5, v3, v4
	v_dual_mov_b32 v151, v79 :: v_dual_mov_b32 v150, v78
.LBB279_577:                            ;   in Loop: Header=BB279_11 Depth=1
	s_or_b32 exec_lo, exec_lo, s20
.LBB279_578:                            ;   in Loop: Header=BB279_11 Depth=1
	s_delay_alu instid0(SALU_CYCLE_1)
	s_or_b32 exec_lo, exec_lo, s19
.LBB279_579:                            ;   in Loop: Header=BB279_11 Depth=1
	s_delay_alu instid0(SALU_CYCLE_1) | instskip(NEXT) | instid1(SALU_CYCLE_1)
	s_or_b32 exec_lo, exec_lo, s8
	s_mov_b32 s19, exec_lo
	v_cmpx_lt_u32_e32 0xffffff, v2
	s_cbranch_execz .LBB279_587
; %bb.580:                              ;   in Loop: Header=BB279_11 Depth=1
	v_lshrrev_b32_e32 v3, 24, v2
	v_dual_mov_b32 v149, s3 :: v_dual_mov_b32 v148, s2
	s_mov_b32 s20, exec_lo
	s_delay_alu instid0(VALU_DEP_2)
	v_cmpx_ne_u32_e32 0x80, v3
	s_cbranch_execz .LBB279_586
; %bb.581:                              ;   in Loop: Header=BB279_11 Depth=1
	s_mov_b32 s8, s2
	v_bfe_u32 v4, v2, 24, 7
	v_dual_mov_b32 v149, s9 :: v_dual_mov_b32 v148, s8
	s_mov_b32 s8, exec_lo
	s_delay_alu instid0(VALU_DEP_2)
	v_cmpx_ne_u32_e32 0x7f, v4
	s_cbranch_execz .LBB279_585
; %bb.582:                              ;   in Loop: Header=BB279_11 Depth=1
	v_and_b32_e32 v78, 7, v3
	v_lshrrev_b32_e32 v2, 3, v4
	s_mov_b32 s21, exec_lo
	v_cmpx_gt_u32_e32 8, v4
; %bb.583:                              ;   in Loop: Header=BB279_11 Depth=1
	s_delay_alu instid0(VALU_DEP_3) | instskip(NEXT) | instid1(VALU_DEP_1)
	v_clz_i32_u32_e32 v2, v78
	v_min_u32_e32 v2, 32, v2
	s_delay_alu instid0(VALU_DEP_1) | instskip(SKIP_1) | instid1(VALU_DEP_2)
	v_subrev_nc_u32_e32 v4, 28, v2
	v_sub_nc_u32_e32 v2, 29, v2
	v_lshlrev_b64 v[4:5], v4, v[78:79]
	s_delay_alu instid0(VALU_DEP_1)
	v_and_b32_e32 v78, 7, v4
; %bb.584:                              ;   in Loop: Header=BB279_11 Depth=1
	s_or_b32 exec_lo, exec_lo, s21
	v_dual_mov_b32 v148, v79 :: v_dual_lshlrev_b32 v3, 24, v3
	s_delay_alu instid0(VALU_DEP_2) | instskip(SKIP_1) | instid1(VALU_DEP_3)
	v_lshlrev_b32_e32 v4, 20, v78
	v_lshl_add_u32 v2, v2, 23, 0x3c000000
	v_and_b32_e32 v3, 0x80000000, v3
	s_delay_alu instid0(VALU_DEP_1)
	v_or3_b32 v149, v4, v3, v2
.LBB279_585:                            ;   in Loop: Header=BB279_11 Depth=1
	s_or_b32 exec_lo, exec_lo, s8
.LBB279_586:                            ;   in Loop: Header=BB279_11 Depth=1
	s_delay_alu instid0(SALU_CYCLE_1)
	s_or_b32 exec_lo, exec_lo, s20
.LBB279_587:                            ;   in Loop: Header=BB279_11 Depth=1
	s_delay_alu instid0(SALU_CYCLE_1) | instskip(SKIP_4) | instid1(VALU_DEP_1)
	s_or_b32 exec_lo, exec_lo, s19
	flat_load_b32 v2, v[136:137] offset:2056
	v_mov_b32_e32 v160, 0
	v_mov_b32_e32 v161, 0
	s_mov_b32 s8, exec_lo
	v_dual_mov_b32 v163, v161 :: v_dual_mov_b32 v162, v160
	s_waitcnt vmcnt(0) lgkmcnt(0)
	v_and_b32_e32 v3, 0xff, v2
	s_delay_alu instid0(VALU_DEP_1)
	v_cmpx_ne_u16_e32 0, v3
	s_cbranch_execz .LBB279_595
; %bb.588:                              ;   in Loop: Header=BB279_11 Depth=1
	v_bfrev_b32_e32 v162, 1
	v_mov_b32_e32 v163, 0
	s_mov_b32 s19, exec_lo
	v_cmpx_ne_u16_e32 0x80, v3
	s_cbranch_execz .LBB279_594
; %bb.589:                              ;   in Loop: Header=BB279_11 Depth=1
	v_mov_b32_e32 v162, 0x7f800001
	v_dual_mov_b32 v163, 0 :: v_dual_and_b32 v4, 0x7f, v2
	s_mov_b32 s20, exec_lo
	s_delay_alu instid0(VALU_DEP_1)
	v_cmpx_ne_u32_e32 0x7f, v4
	s_cbranch_execz .LBB279_593
; %bb.590:                              ;   in Loop: Header=BB279_11 Depth=1
	v_and_b32_e32 v78, 7, v2
	v_lshrrev_b32_e32 v3, 3, v4
	s_mov_b32 s21, exec_lo
	v_cmpx_gt_u32_e32 8, v4
; %bb.591:                              ;   in Loop: Header=BB279_11 Depth=1
	s_delay_alu instid0(VALU_DEP_3) | instskip(NEXT) | instid1(VALU_DEP_1)
	v_clz_i32_u32_e32 v3, v78
	v_min_u32_e32 v3, 32, v3
	s_delay_alu instid0(VALU_DEP_1) | instskip(SKIP_1) | instid1(VALU_DEP_2)
	v_subrev_nc_u32_e32 v4, 28, v3
	v_sub_nc_u32_e32 v3, 29, v3
	v_lshlrev_b64 v[4:5], v4, v[78:79]
	s_delay_alu instid0(VALU_DEP_1)
	v_and_b32_e32 v78, 7, v4
; %bb.592:                              ;   in Loop: Header=BB279_11 Depth=1
	s_or_b32 exec_lo, exec_lo, s21
	v_lshlrev_b32_e32 v4, 24, v2
	s_delay_alu instid0(VALU_DEP_2) | instskip(SKIP_1) | instid1(VALU_DEP_3)
	v_lshlrev_b32_e32 v5, 20, v78
	v_lshl_add_u32 v3, v3, 23, 0x3c000000
	v_and_b32_e32 v4, 0x80000000, v4
	s_delay_alu instid0(VALU_DEP_1) | instskip(NEXT) | instid1(VALU_DEP_1)
	v_or3_b32 v78, v5, v4, v3
	v_dual_mov_b32 v163, v79 :: v_dual_mov_b32 v162, v78
.LBB279_593:                            ;   in Loop: Header=BB279_11 Depth=1
	s_or_b32 exec_lo, exec_lo, s20
.LBB279_594:                            ;   in Loop: Header=BB279_11 Depth=1
	s_delay_alu instid0(SALU_CYCLE_1)
	s_or_b32 exec_lo, exec_lo, s19
.LBB279_595:                            ;   in Loop: Header=BB279_11 Depth=1
	s_delay_alu instid0(SALU_CYCLE_1) | instskip(SKIP_2) | instid1(VALU_DEP_1)
	s_or_b32 exec_lo, exec_lo, s8
	v_lshrrev_b16 v3, 8, v2
	s_mov_b32 s19, exec_lo
	v_cmpx_ne_u16_e32 0, v3
	s_cbranch_execz .LBB279_603
; %bb.596:                              ;   in Loop: Header=BB279_11 Depth=1
	v_dual_mov_b32 v161, s3 :: v_dual_mov_b32 v160, s2
	s_mov_b32 s20, exec_lo
	v_cmpx_ne_u16_e32 0x80, v3
	s_cbranch_execz .LBB279_602
; %bb.597:                              ;   in Loop: Header=BB279_11 Depth=1
	s_mov_b32 s8, s2
	v_and_b32_e32 v3, 0xffff, v3
	v_dual_mov_b32 v161, s9 :: v_dual_mov_b32 v160, s8
	s_mov_b32 s8, exec_lo
	s_delay_alu instid0(VALU_DEP_2) | instskip(NEXT) | instid1(VALU_DEP_1)
	v_and_b32_e32 v4, 0x7f, v3
	v_cmpx_ne_u32_e32 0x7f, v4
	s_cbranch_execz .LBB279_601
; %bb.598:                              ;   in Loop: Header=BB279_11 Depth=1
	v_and_b32_e32 v78, 7, v3
	v_lshrrev_b32_e32 v3, 3, v4
	s_mov_b32 s21, exec_lo
	v_cmpx_gt_u32_e32 8, v4
; %bb.599:                              ;   in Loop: Header=BB279_11 Depth=1
	s_delay_alu instid0(VALU_DEP_3) | instskip(NEXT) | instid1(VALU_DEP_1)
	v_clz_i32_u32_e32 v3, v78
	v_min_u32_e32 v3, 32, v3
	s_delay_alu instid0(VALU_DEP_1) | instskip(SKIP_1) | instid1(VALU_DEP_2)
	v_subrev_nc_u32_e32 v4, 28, v3
	v_sub_nc_u32_e32 v3, 29, v3
	v_lshlrev_b64 v[4:5], v4, v[78:79]
	s_delay_alu instid0(VALU_DEP_1)
	v_and_b32_e32 v78, 7, v4
; %bb.600:                              ;   in Loop: Header=BB279_11 Depth=1
	s_or_b32 exec_lo, exec_lo, s21
	v_lshlrev_b32_e32 v4, 16, v2
	s_delay_alu instid0(VALU_DEP_2) | instskip(SKIP_1) | instid1(VALU_DEP_3)
	v_dual_mov_b32 v160, v79 :: v_dual_lshlrev_b32 v5, 20, v78
	v_lshl_add_u32 v3, v3, 23, 0x3c000000
	v_and_b32_e32 v4, 0x80000000, v4
	s_delay_alu instid0(VALU_DEP_1)
	v_or3_b32 v161, v5, v4, v3
.LBB279_601:                            ;   in Loop: Header=BB279_11 Depth=1
	s_or_b32 exec_lo, exec_lo, s8
.LBB279_602:                            ;   in Loop: Header=BB279_11 Depth=1
	s_delay_alu instid0(SALU_CYCLE_1)
	s_or_b32 exec_lo, exec_lo, s20
.LBB279_603:                            ;   in Loop: Header=BB279_11 Depth=1
	s_delay_alu instid0(SALU_CYCLE_1) | instskip(SKIP_4) | instid1(VALU_DEP_1)
	s_or_b32 exec_lo, exec_lo, s19
	v_mov_b32_e32 v164, 0
	v_lshrrev_b32_e32 v3, 16, v2
	v_mov_b32_e32 v165, 0
	s_mov_b32 s8, exec_lo
	v_dual_mov_b32 v167, v165 :: v_dual_and_b32 v4, 0xff, v3
	v_mov_b32_e32 v166, v164
	s_delay_alu instid0(VALU_DEP_2)
	v_cmpx_ne_u16_e32 0, v4
	s_cbranch_execz .LBB279_611
; %bb.604:                              ;   in Loop: Header=BB279_11 Depth=1
	v_bfrev_b32_e32 v166, 1
	v_mov_b32_e32 v167, 0
	s_mov_b32 s19, exec_lo
	v_cmpx_ne_u16_e32 0x80, v4
	s_cbranch_execz .LBB279_610
; %bb.605:                              ;   in Loop: Header=BB279_11 Depth=1
	v_mov_b32_e32 v166, 0x7f800001
	v_bfe_u32 v5, v2, 16, 7
	v_mov_b32_e32 v167, 0
	s_mov_b32 s20, exec_lo
	s_delay_alu instid0(VALU_DEP_2)
	v_cmpx_ne_u32_e32 0x7f, v5
	s_cbranch_execz .LBB279_609
; %bb.606:                              ;   in Loop: Header=BB279_11 Depth=1
	v_and_b32_e32 v78, 7, v3
	v_lshrrev_b32_e32 v4, 3, v5
	s_mov_b32 s21, exec_lo
	v_cmpx_gt_u32_e32 8, v5
; %bb.607:                              ;   in Loop: Header=BB279_11 Depth=1
	s_delay_alu instid0(VALU_DEP_3) | instskip(NEXT) | instid1(VALU_DEP_1)
	v_clz_i32_u32_e32 v4, v78
	v_min_u32_e32 v4, 32, v4
	s_delay_alu instid0(VALU_DEP_1) | instskip(SKIP_1) | instid1(VALU_DEP_2)
	v_subrev_nc_u32_e32 v5, 28, v4
	v_sub_nc_u32_e32 v4, 29, v4
	v_lshlrev_b64 v[8:9], v5, v[78:79]
	s_delay_alu instid0(VALU_DEP_1)
	v_and_b32_e32 v78, 7, v8
; %bb.608:                              ;   in Loop: Header=BB279_11 Depth=1
	s_or_b32 exec_lo, exec_lo, s21
	v_lshlrev_b32_e32 v3, 24, v3
	s_delay_alu instid0(VALU_DEP_2) | instskip(SKIP_1) | instid1(VALU_DEP_3)
	v_lshlrev_b32_e32 v5, 20, v78
	v_lshl_add_u32 v4, v4, 23, 0x3c000000
	v_and_b32_e32 v3, 0x80000000, v3
	s_delay_alu instid0(VALU_DEP_1) | instskip(NEXT) | instid1(VALU_DEP_1)
	v_or3_b32 v78, v5, v3, v4
	v_dual_mov_b32 v167, v79 :: v_dual_mov_b32 v166, v78
.LBB279_609:                            ;   in Loop: Header=BB279_11 Depth=1
	s_or_b32 exec_lo, exec_lo, s20
.LBB279_610:                            ;   in Loop: Header=BB279_11 Depth=1
	s_delay_alu instid0(SALU_CYCLE_1)
	s_or_b32 exec_lo, exec_lo, s19
.LBB279_611:                            ;   in Loop: Header=BB279_11 Depth=1
	s_delay_alu instid0(SALU_CYCLE_1) | instskip(NEXT) | instid1(SALU_CYCLE_1)
	s_or_b32 exec_lo, exec_lo, s8
	s_mov_b32 s19, exec_lo
	v_cmpx_lt_u32_e32 0xffffff, v2
	s_cbranch_execz .LBB279_619
; %bb.612:                              ;   in Loop: Header=BB279_11 Depth=1
	v_lshrrev_b32_e32 v3, 24, v2
	v_dual_mov_b32 v165, s3 :: v_dual_mov_b32 v164, s2
	s_mov_b32 s20, exec_lo
	s_delay_alu instid0(VALU_DEP_2)
	v_cmpx_ne_u32_e32 0x80, v3
	s_cbranch_execz .LBB279_618
; %bb.613:                              ;   in Loop: Header=BB279_11 Depth=1
	s_mov_b32 s8, s2
	v_bfe_u32 v4, v2, 24, 7
	v_dual_mov_b32 v165, s9 :: v_dual_mov_b32 v164, s8
	s_mov_b32 s8, exec_lo
	s_delay_alu instid0(VALU_DEP_2)
	v_cmpx_ne_u32_e32 0x7f, v4
	s_cbranch_execz .LBB279_617
; %bb.614:                              ;   in Loop: Header=BB279_11 Depth=1
	v_and_b32_e32 v78, 7, v3
	v_lshrrev_b32_e32 v2, 3, v4
	s_mov_b32 s21, exec_lo
	v_cmpx_gt_u32_e32 8, v4
; %bb.615:                              ;   in Loop: Header=BB279_11 Depth=1
	s_delay_alu instid0(VALU_DEP_3) | instskip(NEXT) | instid1(VALU_DEP_1)
	v_clz_i32_u32_e32 v2, v78
	v_min_u32_e32 v2, 32, v2
	s_delay_alu instid0(VALU_DEP_1) | instskip(SKIP_1) | instid1(VALU_DEP_2)
	v_subrev_nc_u32_e32 v4, 28, v2
	v_sub_nc_u32_e32 v2, 29, v2
	v_lshlrev_b64 v[4:5], v4, v[78:79]
	s_delay_alu instid0(VALU_DEP_1)
	v_and_b32_e32 v78, 7, v4
; %bb.616:                              ;   in Loop: Header=BB279_11 Depth=1
	s_or_b32 exec_lo, exec_lo, s21
	v_dual_mov_b32 v164, v79 :: v_dual_lshlrev_b32 v3, 24, v3
	s_delay_alu instid0(VALU_DEP_2) | instskip(SKIP_1) | instid1(VALU_DEP_3)
	v_lshlrev_b32_e32 v4, 20, v78
	v_lshl_add_u32 v2, v2, 23, 0x3c000000
	v_and_b32_e32 v3, 0x80000000, v3
	s_delay_alu instid0(VALU_DEP_1)
	v_or3_b32 v165, v4, v3, v2
.LBB279_617:                            ;   in Loop: Header=BB279_11 Depth=1
	s_or_b32 exec_lo, exec_lo, s8
.LBB279_618:                            ;   in Loop: Header=BB279_11 Depth=1
	s_delay_alu instid0(SALU_CYCLE_1)
	s_or_b32 exec_lo, exec_lo, s20
.LBB279_619:                            ;   in Loop: Header=BB279_11 Depth=1
	s_delay_alu instid0(SALU_CYCLE_1) | instskip(SKIP_4) | instid1(VALU_DEP_1)
	s_or_b32 exec_lo, exec_lo, s19
	flat_load_b32 v2, v[136:137] offset:2060
	v_mov_b32_e32 v176, 0
	v_mov_b32_e32 v177, 0
	s_mov_b32 s8, exec_lo
	v_dual_mov_b32 v179, v177 :: v_dual_mov_b32 v178, v176
	s_waitcnt vmcnt(0) lgkmcnt(0)
	v_and_b32_e32 v3, 0xff, v2
	s_delay_alu instid0(VALU_DEP_1)
	v_cmpx_ne_u16_e32 0, v3
	s_cbranch_execz .LBB279_627
; %bb.620:                              ;   in Loop: Header=BB279_11 Depth=1
	v_bfrev_b32_e32 v178, 1
	v_mov_b32_e32 v179, 0
	s_mov_b32 s19, exec_lo
	v_cmpx_ne_u16_e32 0x80, v3
	s_cbranch_execz .LBB279_626
; %bb.621:                              ;   in Loop: Header=BB279_11 Depth=1
	v_mov_b32_e32 v178, 0x7f800001
	v_dual_mov_b32 v179, 0 :: v_dual_and_b32 v4, 0x7f, v2
	s_mov_b32 s20, exec_lo
	s_delay_alu instid0(VALU_DEP_1)
	v_cmpx_ne_u32_e32 0x7f, v4
	s_cbranch_execz .LBB279_625
; %bb.622:                              ;   in Loop: Header=BB279_11 Depth=1
	v_and_b32_e32 v78, 7, v2
	v_lshrrev_b32_e32 v3, 3, v4
	s_mov_b32 s21, exec_lo
	v_cmpx_gt_u32_e32 8, v4
; %bb.623:                              ;   in Loop: Header=BB279_11 Depth=1
	s_delay_alu instid0(VALU_DEP_3) | instskip(NEXT) | instid1(VALU_DEP_1)
	v_clz_i32_u32_e32 v3, v78
	v_min_u32_e32 v3, 32, v3
	s_delay_alu instid0(VALU_DEP_1) | instskip(SKIP_1) | instid1(VALU_DEP_2)
	v_subrev_nc_u32_e32 v4, 28, v3
	v_sub_nc_u32_e32 v3, 29, v3
	v_lshlrev_b64 v[4:5], v4, v[78:79]
	s_delay_alu instid0(VALU_DEP_1)
	v_and_b32_e32 v78, 7, v4
; %bb.624:                              ;   in Loop: Header=BB279_11 Depth=1
	s_or_b32 exec_lo, exec_lo, s21
	v_lshlrev_b32_e32 v4, 24, v2
	s_delay_alu instid0(VALU_DEP_2) | instskip(SKIP_1) | instid1(VALU_DEP_3)
	v_lshlrev_b32_e32 v5, 20, v78
	v_lshl_add_u32 v3, v3, 23, 0x3c000000
	v_and_b32_e32 v4, 0x80000000, v4
	s_delay_alu instid0(VALU_DEP_1) | instskip(NEXT) | instid1(VALU_DEP_1)
	v_or3_b32 v78, v5, v4, v3
	v_dual_mov_b32 v179, v79 :: v_dual_mov_b32 v178, v78
.LBB279_625:                            ;   in Loop: Header=BB279_11 Depth=1
	s_or_b32 exec_lo, exec_lo, s20
.LBB279_626:                            ;   in Loop: Header=BB279_11 Depth=1
	s_delay_alu instid0(SALU_CYCLE_1)
	s_or_b32 exec_lo, exec_lo, s19
.LBB279_627:                            ;   in Loop: Header=BB279_11 Depth=1
	s_delay_alu instid0(SALU_CYCLE_1) | instskip(SKIP_2) | instid1(VALU_DEP_1)
	s_or_b32 exec_lo, exec_lo, s8
	v_lshrrev_b16 v3, 8, v2
	s_mov_b32 s19, exec_lo
	v_cmpx_ne_u16_e32 0, v3
	s_cbranch_execz .LBB279_635
; %bb.628:                              ;   in Loop: Header=BB279_11 Depth=1
	v_dual_mov_b32 v177, s3 :: v_dual_mov_b32 v176, s2
	s_mov_b32 s20, exec_lo
	v_cmpx_ne_u16_e32 0x80, v3
	s_cbranch_execz .LBB279_634
; %bb.629:                              ;   in Loop: Header=BB279_11 Depth=1
	s_mov_b32 s8, s2
	v_and_b32_e32 v3, 0xffff, v3
	v_dual_mov_b32 v177, s9 :: v_dual_mov_b32 v176, s8
	s_mov_b32 s8, exec_lo
	s_delay_alu instid0(VALU_DEP_2) | instskip(NEXT) | instid1(VALU_DEP_1)
	v_and_b32_e32 v4, 0x7f, v3
	v_cmpx_ne_u32_e32 0x7f, v4
	s_cbranch_execz .LBB279_633
; %bb.630:                              ;   in Loop: Header=BB279_11 Depth=1
	v_and_b32_e32 v78, 7, v3
	v_lshrrev_b32_e32 v3, 3, v4
	s_mov_b32 s21, exec_lo
	v_cmpx_gt_u32_e32 8, v4
; %bb.631:                              ;   in Loop: Header=BB279_11 Depth=1
	s_delay_alu instid0(VALU_DEP_3) | instskip(NEXT) | instid1(VALU_DEP_1)
	v_clz_i32_u32_e32 v3, v78
	v_min_u32_e32 v3, 32, v3
	s_delay_alu instid0(VALU_DEP_1) | instskip(SKIP_1) | instid1(VALU_DEP_2)
	v_subrev_nc_u32_e32 v4, 28, v3
	v_sub_nc_u32_e32 v3, 29, v3
	v_lshlrev_b64 v[4:5], v4, v[78:79]
	s_delay_alu instid0(VALU_DEP_1)
	v_and_b32_e32 v78, 7, v4
; %bb.632:                              ;   in Loop: Header=BB279_11 Depth=1
	s_or_b32 exec_lo, exec_lo, s21
	v_lshlrev_b32_e32 v4, 16, v2
	s_delay_alu instid0(VALU_DEP_2) | instskip(SKIP_1) | instid1(VALU_DEP_3)
	v_dual_mov_b32 v176, v79 :: v_dual_lshlrev_b32 v5, 20, v78
	v_lshl_add_u32 v3, v3, 23, 0x3c000000
	v_and_b32_e32 v4, 0x80000000, v4
	s_delay_alu instid0(VALU_DEP_1)
	v_or3_b32 v177, v5, v4, v3
.LBB279_633:                            ;   in Loop: Header=BB279_11 Depth=1
	s_or_b32 exec_lo, exec_lo, s8
.LBB279_634:                            ;   in Loop: Header=BB279_11 Depth=1
	s_delay_alu instid0(SALU_CYCLE_1)
	s_or_b32 exec_lo, exec_lo, s20
.LBB279_635:                            ;   in Loop: Header=BB279_11 Depth=1
	s_delay_alu instid0(SALU_CYCLE_1) | instskip(SKIP_4) | instid1(VALU_DEP_1)
	s_or_b32 exec_lo, exec_lo, s19
	v_mov_b32_e32 v180, 0
	v_lshrrev_b32_e32 v3, 16, v2
	v_mov_b32_e32 v181, 0
	s_mov_b32 s8, exec_lo
	v_dual_mov_b32 v183, v181 :: v_dual_and_b32 v4, 0xff, v3
	v_mov_b32_e32 v182, v180
	s_delay_alu instid0(VALU_DEP_2)
	v_cmpx_ne_u16_e32 0, v4
	s_cbranch_execz .LBB279_643
; %bb.636:                              ;   in Loop: Header=BB279_11 Depth=1
	v_bfrev_b32_e32 v182, 1
	v_mov_b32_e32 v183, 0
	s_mov_b32 s19, exec_lo
	v_cmpx_ne_u16_e32 0x80, v4
	s_cbranch_execz .LBB279_642
; %bb.637:                              ;   in Loop: Header=BB279_11 Depth=1
	v_mov_b32_e32 v182, 0x7f800001
	v_bfe_u32 v5, v2, 16, 7
	v_mov_b32_e32 v183, 0
	s_mov_b32 s20, exec_lo
	s_delay_alu instid0(VALU_DEP_2)
	v_cmpx_ne_u32_e32 0x7f, v5
	s_cbranch_execz .LBB279_641
; %bb.638:                              ;   in Loop: Header=BB279_11 Depth=1
	v_and_b32_e32 v78, 7, v3
	v_lshrrev_b32_e32 v4, 3, v5
	s_mov_b32 s21, exec_lo
	v_cmpx_gt_u32_e32 8, v5
; %bb.639:                              ;   in Loop: Header=BB279_11 Depth=1
	s_delay_alu instid0(VALU_DEP_3) | instskip(NEXT) | instid1(VALU_DEP_1)
	v_clz_i32_u32_e32 v4, v78
	v_min_u32_e32 v4, 32, v4
	s_delay_alu instid0(VALU_DEP_1) | instskip(SKIP_1) | instid1(VALU_DEP_2)
	v_subrev_nc_u32_e32 v5, 28, v4
	v_sub_nc_u32_e32 v4, 29, v4
	v_lshlrev_b64 v[8:9], v5, v[78:79]
	s_delay_alu instid0(VALU_DEP_1)
	v_and_b32_e32 v78, 7, v8
; %bb.640:                              ;   in Loop: Header=BB279_11 Depth=1
	s_or_b32 exec_lo, exec_lo, s21
	v_lshlrev_b32_e32 v3, 24, v3
	s_delay_alu instid0(VALU_DEP_2) | instskip(SKIP_1) | instid1(VALU_DEP_3)
	v_lshlrev_b32_e32 v5, 20, v78
	v_lshl_add_u32 v4, v4, 23, 0x3c000000
	v_and_b32_e32 v3, 0x80000000, v3
	s_delay_alu instid0(VALU_DEP_1) | instskip(NEXT) | instid1(VALU_DEP_1)
	v_or3_b32 v78, v5, v3, v4
	v_dual_mov_b32 v183, v79 :: v_dual_mov_b32 v182, v78
.LBB279_641:                            ;   in Loop: Header=BB279_11 Depth=1
	s_or_b32 exec_lo, exec_lo, s20
.LBB279_642:                            ;   in Loop: Header=BB279_11 Depth=1
	s_delay_alu instid0(SALU_CYCLE_1)
	s_or_b32 exec_lo, exec_lo, s19
.LBB279_643:                            ;   in Loop: Header=BB279_11 Depth=1
	s_delay_alu instid0(SALU_CYCLE_1) | instskip(NEXT) | instid1(SALU_CYCLE_1)
	s_or_b32 exec_lo, exec_lo, s8
	s_mov_b32 s19, exec_lo
	v_cmpx_lt_u32_e32 0xffffff, v2
	s_cbranch_execz .LBB279_651
; %bb.644:                              ;   in Loop: Header=BB279_11 Depth=1
	v_lshrrev_b32_e32 v3, 24, v2
	v_dual_mov_b32 v181, s3 :: v_dual_mov_b32 v180, s2
	s_mov_b32 s20, exec_lo
	s_delay_alu instid0(VALU_DEP_2)
	v_cmpx_ne_u32_e32 0x80, v3
	s_cbranch_execz .LBB279_650
; %bb.645:                              ;   in Loop: Header=BB279_11 Depth=1
	s_mov_b32 s8, s2
	v_bfe_u32 v4, v2, 24, 7
	v_dual_mov_b32 v181, s9 :: v_dual_mov_b32 v180, s8
	s_mov_b32 s8, exec_lo
	s_delay_alu instid0(VALU_DEP_2)
	v_cmpx_ne_u32_e32 0x7f, v4
	s_cbranch_execz .LBB279_649
; %bb.646:                              ;   in Loop: Header=BB279_11 Depth=1
	v_and_b32_e32 v78, 7, v3
	v_lshrrev_b32_e32 v2, 3, v4
	s_mov_b32 s21, exec_lo
	v_cmpx_gt_u32_e32 8, v4
; %bb.647:                              ;   in Loop: Header=BB279_11 Depth=1
	s_delay_alu instid0(VALU_DEP_3) | instskip(NEXT) | instid1(VALU_DEP_1)
	v_clz_i32_u32_e32 v2, v78
	v_min_u32_e32 v2, 32, v2
	s_delay_alu instid0(VALU_DEP_1) | instskip(SKIP_1) | instid1(VALU_DEP_2)
	v_subrev_nc_u32_e32 v4, 28, v2
	v_sub_nc_u32_e32 v2, 29, v2
	v_lshlrev_b64 v[4:5], v4, v[78:79]
	s_delay_alu instid0(VALU_DEP_1)
	v_and_b32_e32 v78, 7, v4
; %bb.648:                              ;   in Loop: Header=BB279_11 Depth=1
	s_or_b32 exec_lo, exec_lo, s21
	v_dual_mov_b32 v180, v79 :: v_dual_lshlrev_b32 v3, 24, v3
	s_delay_alu instid0(VALU_DEP_2) | instskip(SKIP_1) | instid1(VALU_DEP_3)
	v_lshlrev_b32_e32 v4, 20, v78
	v_lshl_add_u32 v2, v2, 23, 0x3c000000
	v_and_b32_e32 v3, 0x80000000, v3
	s_delay_alu instid0(VALU_DEP_1)
	v_or3_b32 v181, v4, v3, v2
.LBB279_649:                            ;   in Loop: Header=BB279_11 Depth=1
	s_or_b32 exec_lo, exec_lo, s8
.LBB279_650:                            ;   in Loop: Header=BB279_11 Depth=1
	s_delay_alu instid0(SALU_CYCLE_1)
	s_or_b32 exec_lo, exec_lo, s20
.LBB279_651:                            ;   in Loop: Header=BB279_11 Depth=1
	s_delay_alu instid0(SALU_CYCLE_1) | instskip(SKIP_4) | instid1(VALU_DEP_1)
	s_or_b32 exec_lo, exec_lo, s19
	flat_load_b32 v2, v[136:137] offset:2560
	v_mov_b32_e32 v40, 0
	v_mov_b32_e32 v41, 0
	s_mov_b32 s8, exec_lo
	v_dual_mov_b32 v43, v41 :: v_dual_mov_b32 v42, v40
	s_waitcnt vmcnt(0) lgkmcnt(0)
	v_and_b32_e32 v3, 0xff, v2
	s_delay_alu instid0(VALU_DEP_1)
	v_cmpx_ne_u16_e32 0, v3
	s_cbranch_execz .LBB279_659
; %bb.652:                              ;   in Loop: Header=BB279_11 Depth=1
	v_bfrev_b32_e32 v42, 1
	v_mov_b32_e32 v43, 0
	s_mov_b32 s19, exec_lo
	v_cmpx_ne_u16_e32 0x80, v3
	s_cbranch_execz .LBB279_658
; %bb.653:                              ;   in Loop: Header=BB279_11 Depth=1
	v_mov_b32_e32 v42, 0x7f800001
	v_dual_mov_b32 v43, 0 :: v_dual_and_b32 v4, 0x7f, v2
	s_mov_b32 s20, exec_lo
	s_delay_alu instid0(VALU_DEP_1)
	v_cmpx_ne_u32_e32 0x7f, v4
	s_cbranch_execz .LBB279_657
; %bb.654:                              ;   in Loop: Header=BB279_11 Depth=1
	v_and_b32_e32 v78, 7, v2
	v_lshrrev_b32_e32 v3, 3, v4
	s_mov_b32 s21, exec_lo
	v_cmpx_gt_u32_e32 8, v4
; %bb.655:                              ;   in Loop: Header=BB279_11 Depth=1
	s_delay_alu instid0(VALU_DEP_3) | instskip(NEXT) | instid1(VALU_DEP_1)
	v_clz_i32_u32_e32 v3, v78
	v_min_u32_e32 v3, 32, v3
	s_delay_alu instid0(VALU_DEP_1) | instskip(SKIP_1) | instid1(VALU_DEP_2)
	v_subrev_nc_u32_e32 v4, 28, v3
	v_sub_nc_u32_e32 v3, 29, v3
	v_lshlrev_b64 v[4:5], v4, v[78:79]
	s_delay_alu instid0(VALU_DEP_1)
	v_and_b32_e32 v78, 7, v4
; %bb.656:                              ;   in Loop: Header=BB279_11 Depth=1
	s_or_b32 exec_lo, exec_lo, s21
	v_lshlrev_b32_e32 v4, 24, v2
	s_delay_alu instid0(VALU_DEP_2) | instskip(SKIP_1) | instid1(VALU_DEP_3)
	v_lshlrev_b32_e32 v5, 20, v78
	v_lshl_add_u32 v3, v3, 23, 0x3c000000
	v_and_b32_e32 v4, 0x80000000, v4
	s_delay_alu instid0(VALU_DEP_1) | instskip(NEXT) | instid1(VALU_DEP_1)
	v_or3_b32 v78, v5, v4, v3
	v_dual_mov_b32 v42, v78 :: v_dual_mov_b32 v43, v79
.LBB279_657:                            ;   in Loop: Header=BB279_11 Depth=1
	s_or_b32 exec_lo, exec_lo, s20
.LBB279_658:                            ;   in Loop: Header=BB279_11 Depth=1
	s_delay_alu instid0(SALU_CYCLE_1)
	s_or_b32 exec_lo, exec_lo, s19
.LBB279_659:                            ;   in Loop: Header=BB279_11 Depth=1
	s_delay_alu instid0(SALU_CYCLE_1) | instskip(SKIP_2) | instid1(VALU_DEP_1)
	s_or_b32 exec_lo, exec_lo, s8
	v_lshrrev_b16 v3, 8, v2
	s_mov_b32 s19, exec_lo
	v_cmpx_ne_u16_e32 0, v3
	s_cbranch_execz .LBB279_667
; %bb.660:                              ;   in Loop: Header=BB279_11 Depth=1
	v_dual_mov_b32 v41, s3 :: v_dual_mov_b32 v40, s2
	s_mov_b32 s20, exec_lo
	v_cmpx_ne_u16_e32 0x80, v3
	s_cbranch_execz .LBB279_666
; %bb.661:                              ;   in Loop: Header=BB279_11 Depth=1
	s_mov_b32 s8, s2
	v_and_b32_e32 v3, 0xffff, v3
	v_dual_mov_b32 v41, s9 :: v_dual_mov_b32 v40, s8
	s_mov_b32 s8, exec_lo
	s_delay_alu instid0(VALU_DEP_2) | instskip(NEXT) | instid1(VALU_DEP_1)
	v_and_b32_e32 v4, 0x7f, v3
	v_cmpx_ne_u32_e32 0x7f, v4
	s_cbranch_execz .LBB279_665
; %bb.662:                              ;   in Loop: Header=BB279_11 Depth=1
	v_and_b32_e32 v78, 7, v3
	v_lshrrev_b32_e32 v3, 3, v4
	s_mov_b32 s21, exec_lo
	v_cmpx_gt_u32_e32 8, v4
; %bb.663:                              ;   in Loop: Header=BB279_11 Depth=1
	s_delay_alu instid0(VALU_DEP_3) | instskip(NEXT) | instid1(VALU_DEP_1)
	v_clz_i32_u32_e32 v3, v78
	v_min_u32_e32 v3, 32, v3
	s_delay_alu instid0(VALU_DEP_1) | instskip(SKIP_1) | instid1(VALU_DEP_2)
	v_subrev_nc_u32_e32 v4, 28, v3
	v_sub_nc_u32_e32 v3, 29, v3
	v_lshlrev_b64 v[4:5], v4, v[78:79]
	s_delay_alu instid0(VALU_DEP_1)
	v_and_b32_e32 v78, 7, v4
; %bb.664:                              ;   in Loop: Header=BB279_11 Depth=1
	s_or_b32 exec_lo, exec_lo, s21
	v_lshlrev_b32_e32 v4, 16, v2
	s_delay_alu instid0(VALU_DEP_2) | instskip(SKIP_1) | instid1(VALU_DEP_3)
	v_dual_mov_b32 v40, v79 :: v_dual_lshlrev_b32 v5, 20, v78
	v_lshl_add_u32 v3, v3, 23, 0x3c000000
	v_and_b32_e32 v4, 0x80000000, v4
	s_delay_alu instid0(VALU_DEP_1)
	v_or3_b32 v41, v5, v4, v3
.LBB279_665:                            ;   in Loop: Header=BB279_11 Depth=1
	s_or_b32 exec_lo, exec_lo, s8
.LBB279_666:                            ;   in Loop: Header=BB279_11 Depth=1
	s_delay_alu instid0(SALU_CYCLE_1)
	s_or_b32 exec_lo, exec_lo, s20
.LBB279_667:                            ;   in Loop: Header=BB279_11 Depth=1
	s_delay_alu instid0(SALU_CYCLE_1) | instskip(SKIP_4) | instid1(VALU_DEP_1)
	s_or_b32 exec_lo, exec_lo, s19
	v_mov_b32_e32 v44, 0
	v_lshrrev_b32_e32 v3, 16, v2
	v_mov_b32_e32 v45, 0
	s_mov_b32 s8, exec_lo
	v_dual_mov_b32 v47, v45 :: v_dual_and_b32 v4, 0xff, v3
	v_mov_b32_e32 v46, v44
	s_delay_alu instid0(VALU_DEP_2)
	v_cmpx_ne_u16_e32 0, v4
	s_cbranch_execz .LBB279_675
; %bb.668:                              ;   in Loop: Header=BB279_11 Depth=1
	v_bfrev_b32_e32 v46, 1
	v_mov_b32_e32 v47, 0
	s_mov_b32 s19, exec_lo
	v_cmpx_ne_u16_e32 0x80, v4
	s_cbranch_execz .LBB279_674
; %bb.669:                              ;   in Loop: Header=BB279_11 Depth=1
	v_mov_b32_e32 v46, 0x7f800001
	v_bfe_u32 v5, v2, 16, 7
	v_mov_b32_e32 v47, 0
	s_mov_b32 s20, exec_lo
	s_delay_alu instid0(VALU_DEP_2)
	v_cmpx_ne_u32_e32 0x7f, v5
	s_cbranch_execz .LBB279_673
; %bb.670:                              ;   in Loop: Header=BB279_11 Depth=1
	v_and_b32_e32 v78, 7, v3
	v_lshrrev_b32_e32 v4, 3, v5
	s_mov_b32 s21, exec_lo
	v_cmpx_gt_u32_e32 8, v5
; %bb.671:                              ;   in Loop: Header=BB279_11 Depth=1
	s_delay_alu instid0(VALU_DEP_3) | instskip(NEXT) | instid1(VALU_DEP_1)
	v_clz_i32_u32_e32 v4, v78
	v_min_u32_e32 v4, 32, v4
	s_delay_alu instid0(VALU_DEP_1) | instskip(SKIP_1) | instid1(VALU_DEP_2)
	v_subrev_nc_u32_e32 v5, 28, v4
	v_sub_nc_u32_e32 v4, 29, v4
	v_lshlrev_b64 v[8:9], v5, v[78:79]
	s_delay_alu instid0(VALU_DEP_1)
	v_and_b32_e32 v78, 7, v8
; %bb.672:                              ;   in Loop: Header=BB279_11 Depth=1
	s_or_b32 exec_lo, exec_lo, s21
	v_lshlrev_b32_e32 v3, 24, v3
	s_delay_alu instid0(VALU_DEP_2) | instskip(SKIP_1) | instid1(VALU_DEP_3)
	v_lshlrev_b32_e32 v5, 20, v78
	v_lshl_add_u32 v4, v4, 23, 0x3c000000
	v_and_b32_e32 v3, 0x80000000, v3
	s_delay_alu instid0(VALU_DEP_1) | instskip(NEXT) | instid1(VALU_DEP_1)
	v_or3_b32 v78, v5, v3, v4
	v_dual_mov_b32 v46, v78 :: v_dual_mov_b32 v47, v79
.LBB279_673:                            ;   in Loop: Header=BB279_11 Depth=1
	s_or_b32 exec_lo, exec_lo, s20
.LBB279_674:                            ;   in Loop: Header=BB279_11 Depth=1
	s_delay_alu instid0(SALU_CYCLE_1)
	s_or_b32 exec_lo, exec_lo, s19
.LBB279_675:                            ;   in Loop: Header=BB279_11 Depth=1
	s_delay_alu instid0(SALU_CYCLE_1) | instskip(NEXT) | instid1(SALU_CYCLE_1)
	s_or_b32 exec_lo, exec_lo, s8
	s_mov_b32 s19, exec_lo
	v_cmpx_lt_u32_e32 0xffffff, v2
	s_cbranch_execz .LBB279_683
; %bb.676:                              ;   in Loop: Header=BB279_11 Depth=1
	v_lshrrev_b32_e32 v3, 24, v2
	v_dual_mov_b32 v45, s3 :: v_dual_mov_b32 v44, s2
	s_mov_b32 s20, exec_lo
	s_delay_alu instid0(VALU_DEP_2)
	v_cmpx_ne_u32_e32 0x80, v3
	s_cbranch_execz .LBB279_682
; %bb.677:                              ;   in Loop: Header=BB279_11 Depth=1
	s_mov_b32 s8, s2
	v_bfe_u32 v4, v2, 24, 7
	v_dual_mov_b32 v45, s9 :: v_dual_mov_b32 v44, s8
	s_mov_b32 s8, exec_lo
	s_delay_alu instid0(VALU_DEP_2)
	v_cmpx_ne_u32_e32 0x7f, v4
	s_cbranch_execz .LBB279_681
; %bb.678:                              ;   in Loop: Header=BB279_11 Depth=1
	v_and_b32_e32 v78, 7, v3
	v_lshrrev_b32_e32 v2, 3, v4
	s_mov_b32 s21, exec_lo
	v_cmpx_gt_u32_e32 8, v4
; %bb.679:                              ;   in Loop: Header=BB279_11 Depth=1
	s_delay_alu instid0(VALU_DEP_3) | instskip(NEXT) | instid1(VALU_DEP_1)
	v_clz_i32_u32_e32 v2, v78
	v_min_u32_e32 v2, 32, v2
	s_delay_alu instid0(VALU_DEP_1) | instskip(SKIP_1) | instid1(VALU_DEP_2)
	v_subrev_nc_u32_e32 v4, 28, v2
	v_sub_nc_u32_e32 v2, 29, v2
	v_lshlrev_b64 v[4:5], v4, v[78:79]
	s_delay_alu instid0(VALU_DEP_1)
	v_and_b32_e32 v78, 7, v4
; %bb.680:                              ;   in Loop: Header=BB279_11 Depth=1
	s_or_b32 exec_lo, exec_lo, s21
	v_dual_mov_b32 v44, v79 :: v_dual_lshlrev_b32 v3, 24, v3
	s_delay_alu instid0(VALU_DEP_2) | instskip(SKIP_1) | instid1(VALU_DEP_3)
	v_lshlrev_b32_e32 v4, 20, v78
	v_lshl_add_u32 v2, v2, 23, 0x3c000000
	v_and_b32_e32 v3, 0x80000000, v3
	s_delay_alu instid0(VALU_DEP_1)
	v_or3_b32 v45, v4, v3, v2
.LBB279_681:                            ;   in Loop: Header=BB279_11 Depth=1
	s_or_b32 exec_lo, exec_lo, s8
.LBB279_682:                            ;   in Loop: Header=BB279_11 Depth=1
	s_delay_alu instid0(SALU_CYCLE_1)
	s_or_b32 exec_lo, exec_lo, s20
.LBB279_683:                            ;   in Loop: Header=BB279_11 Depth=1
	s_delay_alu instid0(SALU_CYCLE_1) | instskip(SKIP_4) | instid1(VALU_DEP_1)
	s_or_b32 exec_lo, exec_lo, s19
	flat_load_b32 v2, v[136:137] offset:2564
	v_mov_b32_e32 v56, 0
	v_mov_b32_e32 v57, 0
	s_mov_b32 s8, exec_lo
	v_dual_mov_b32 v59, v57 :: v_dual_mov_b32 v58, v56
	s_waitcnt vmcnt(0) lgkmcnt(0)
	v_and_b32_e32 v3, 0xff, v2
	s_delay_alu instid0(VALU_DEP_1)
	v_cmpx_ne_u16_e32 0, v3
	s_cbranch_execz .LBB279_691
; %bb.684:                              ;   in Loop: Header=BB279_11 Depth=1
	v_bfrev_b32_e32 v58, 1
	v_mov_b32_e32 v59, 0
	s_mov_b32 s19, exec_lo
	v_cmpx_ne_u16_e32 0x80, v3
	s_cbranch_execz .LBB279_690
; %bb.685:                              ;   in Loop: Header=BB279_11 Depth=1
	v_mov_b32_e32 v58, 0x7f800001
	v_dual_mov_b32 v59, 0 :: v_dual_and_b32 v4, 0x7f, v2
	s_mov_b32 s20, exec_lo
	s_delay_alu instid0(VALU_DEP_1)
	v_cmpx_ne_u32_e32 0x7f, v4
	s_cbranch_execz .LBB279_689
; %bb.686:                              ;   in Loop: Header=BB279_11 Depth=1
	v_and_b32_e32 v78, 7, v2
	v_lshrrev_b32_e32 v3, 3, v4
	s_mov_b32 s21, exec_lo
	v_cmpx_gt_u32_e32 8, v4
; %bb.687:                              ;   in Loop: Header=BB279_11 Depth=1
	s_delay_alu instid0(VALU_DEP_3) | instskip(NEXT) | instid1(VALU_DEP_1)
	v_clz_i32_u32_e32 v3, v78
	v_min_u32_e32 v3, 32, v3
	s_delay_alu instid0(VALU_DEP_1) | instskip(SKIP_1) | instid1(VALU_DEP_2)
	v_subrev_nc_u32_e32 v4, 28, v3
	v_sub_nc_u32_e32 v3, 29, v3
	v_lshlrev_b64 v[4:5], v4, v[78:79]
	s_delay_alu instid0(VALU_DEP_1)
	v_and_b32_e32 v78, 7, v4
; %bb.688:                              ;   in Loop: Header=BB279_11 Depth=1
	s_or_b32 exec_lo, exec_lo, s21
	v_lshlrev_b32_e32 v4, 24, v2
	s_delay_alu instid0(VALU_DEP_2) | instskip(SKIP_1) | instid1(VALU_DEP_3)
	v_lshlrev_b32_e32 v5, 20, v78
	v_lshl_add_u32 v3, v3, 23, 0x3c000000
	v_and_b32_e32 v4, 0x80000000, v4
	s_delay_alu instid0(VALU_DEP_1) | instskip(NEXT) | instid1(VALU_DEP_1)
	v_or3_b32 v78, v5, v4, v3
	v_dual_mov_b32 v58, v78 :: v_dual_mov_b32 v59, v79
.LBB279_689:                            ;   in Loop: Header=BB279_11 Depth=1
	s_or_b32 exec_lo, exec_lo, s20
.LBB279_690:                            ;   in Loop: Header=BB279_11 Depth=1
	s_delay_alu instid0(SALU_CYCLE_1)
	s_or_b32 exec_lo, exec_lo, s19
.LBB279_691:                            ;   in Loop: Header=BB279_11 Depth=1
	s_delay_alu instid0(SALU_CYCLE_1) | instskip(SKIP_2) | instid1(VALU_DEP_1)
	s_or_b32 exec_lo, exec_lo, s8
	v_lshrrev_b16 v3, 8, v2
	s_mov_b32 s19, exec_lo
	v_cmpx_ne_u16_e32 0, v3
	s_cbranch_execz .LBB279_699
; %bb.692:                              ;   in Loop: Header=BB279_11 Depth=1
	v_dual_mov_b32 v57, s3 :: v_dual_mov_b32 v56, s2
	s_mov_b32 s20, exec_lo
	v_cmpx_ne_u16_e32 0x80, v3
	s_cbranch_execz .LBB279_698
; %bb.693:                              ;   in Loop: Header=BB279_11 Depth=1
	s_mov_b32 s8, s2
	v_and_b32_e32 v3, 0xffff, v3
	v_dual_mov_b32 v57, s9 :: v_dual_mov_b32 v56, s8
	s_mov_b32 s8, exec_lo
	s_delay_alu instid0(VALU_DEP_2) | instskip(NEXT) | instid1(VALU_DEP_1)
	v_and_b32_e32 v4, 0x7f, v3
	v_cmpx_ne_u32_e32 0x7f, v4
	s_cbranch_execz .LBB279_697
; %bb.694:                              ;   in Loop: Header=BB279_11 Depth=1
	v_and_b32_e32 v78, 7, v3
	v_lshrrev_b32_e32 v3, 3, v4
	s_mov_b32 s21, exec_lo
	v_cmpx_gt_u32_e32 8, v4
; %bb.695:                              ;   in Loop: Header=BB279_11 Depth=1
	s_delay_alu instid0(VALU_DEP_3) | instskip(NEXT) | instid1(VALU_DEP_1)
	v_clz_i32_u32_e32 v3, v78
	v_min_u32_e32 v3, 32, v3
	s_delay_alu instid0(VALU_DEP_1) | instskip(SKIP_1) | instid1(VALU_DEP_2)
	v_subrev_nc_u32_e32 v4, 28, v3
	v_sub_nc_u32_e32 v3, 29, v3
	v_lshlrev_b64 v[4:5], v4, v[78:79]
	s_delay_alu instid0(VALU_DEP_1)
	v_and_b32_e32 v78, 7, v4
; %bb.696:                              ;   in Loop: Header=BB279_11 Depth=1
	s_or_b32 exec_lo, exec_lo, s21
	v_lshlrev_b32_e32 v4, 16, v2
	s_delay_alu instid0(VALU_DEP_2) | instskip(SKIP_1) | instid1(VALU_DEP_3)
	v_dual_mov_b32 v56, v79 :: v_dual_lshlrev_b32 v5, 20, v78
	v_lshl_add_u32 v3, v3, 23, 0x3c000000
	v_and_b32_e32 v4, 0x80000000, v4
	s_delay_alu instid0(VALU_DEP_1)
	v_or3_b32 v57, v5, v4, v3
.LBB279_697:                            ;   in Loop: Header=BB279_11 Depth=1
	s_or_b32 exec_lo, exec_lo, s8
.LBB279_698:                            ;   in Loop: Header=BB279_11 Depth=1
	s_delay_alu instid0(SALU_CYCLE_1)
	s_or_b32 exec_lo, exec_lo, s20
.LBB279_699:                            ;   in Loop: Header=BB279_11 Depth=1
	s_delay_alu instid0(SALU_CYCLE_1) | instskip(SKIP_4) | instid1(VALU_DEP_1)
	s_or_b32 exec_lo, exec_lo, s19
	v_mov_b32_e32 v60, 0
	v_lshrrev_b32_e32 v3, 16, v2
	v_mov_b32_e32 v61, 0
	s_mov_b32 s8, exec_lo
	v_dual_mov_b32 v63, v61 :: v_dual_and_b32 v4, 0xff, v3
	v_mov_b32_e32 v62, v60
	s_delay_alu instid0(VALU_DEP_2)
	v_cmpx_ne_u16_e32 0, v4
	s_cbranch_execz .LBB279_707
; %bb.700:                              ;   in Loop: Header=BB279_11 Depth=1
	v_bfrev_b32_e32 v62, 1
	v_mov_b32_e32 v63, 0
	s_mov_b32 s19, exec_lo
	v_cmpx_ne_u16_e32 0x80, v4
	s_cbranch_execz .LBB279_706
; %bb.701:                              ;   in Loop: Header=BB279_11 Depth=1
	v_mov_b32_e32 v62, 0x7f800001
	v_bfe_u32 v5, v2, 16, 7
	v_mov_b32_e32 v63, 0
	s_mov_b32 s20, exec_lo
	s_delay_alu instid0(VALU_DEP_2)
	v_cmpx_ne_u32_e32 0x7f, v5
	s_cbranch_execz .LBB279_705
; %bb.702:                              ;   in Loop: Header=BB279_11 Depth=1
	v_and_b32_e32 v78, 7, v3
	v_lshrrev_b32_e32 v4, 3, v5
	s_mov_b32 s21, exec_lo
	v_cmpx_gt_u32_e32 8, v5
; %bb.703:                              ;   in Loop: Header=BB279_11 Depth=1
	s_delay_alu instid0(VALU_DEP_3) | instskip(NEXT) | instid1(VALU_DEP_1)
	v_clz_i32_u32_e32 v4, v78
	v_min_u32_e32 v4, 32, v4
	s_delay_alu instid0(VALU_DEP_1) | instskip(SKIP_1) | instid1(VALU_DEP_2)
	v_subrev_nc_u32_e32 v5, 28, v4
	v_sub_nc_u32_e32 v4, 29, v4
	v_lshlrev_b64 v[8:9], v5, v[78:79]
	s_delay_alu instid0(VALU_DEP_1)
	v_and_b32_e32 v78, 7, v8
; %bb.704:                              ;   in Loop: Header=BB279_11 Depth=1
	s_or_b32 exec_lo, exec_lo, s21
	v_lshlrev_b32_e32 v3, 24, v3
	s_delay_alu instid0(VALU_DEP_2) | instskip(SKIP_1) | instid1(VALU_DEP_3)
	v_lshlrev_b32_e32 v5, 20, v78
	v_lshl_add_u32 v4, v4, 23, 0x3c000000
	v_and_b32_e32 v3, 0x80000000, v3
	s_delay_alu instid0(VALU_DEP_1) | instskip(NEXT) | instid1(VALU_DEP_1)
	v_or3_b32 v78, v5, v3, v4
	v_dual_mov_b32 v62, v78 :: v_dual_mov_b32 v63, v79
.LBB279_705:                            ;   in Loop: Header=BB279_11 Depth=1
	s_or_b32 exec_lo, exec_lo, s20
.LBB279_706:                            ;   in Loop: Header=BB279_11 Depth=1
	s_delay_alu instid0(SALU_CYCLE_1)
	s_or_b32 exec_lo, exec_lo, s19
.LBB279_707:                            ;   in Loop: Header=BB279_11 Depth=1
	s_delay_alu instid0(SALU_CYCLE_1) | instskip(NEXT) | instid1(SALU_CYCLE_1)
	s_or_b32 exec_lo, exec_lo, s8
	s_mov_b32 s19, exec_lo
	v_cmpx_lt_u32_e32 0xffffff, v2
	s_cbranch_execz .LBB279_715
; %bb.708:                              ;   in Loop: Header=BB279_11 Depth=1
	v_lshrrev_b32_e32 v3, 24, v2
	v_dual_mov_b32 v61, s3 :: v_dual_mov_b32 v60, s2
	s_mov_b32 s20, exec_lo
	s_delay_alu instid0(VALU_DEP_2)
	v_cmpx_ne_u32_e32 0x80, v3
	s_cbranch_execz .LBB279_714
; %bb.709:                              ;   in Loop: Header=BB279_11 Depth=1
	s_mov_b32 s8, s2
	v_bfe_u32 v4, v2, 24, 7
	v_dual_mov_b32 v61, s9 :: v_dual_mov_b32 v60, s8
	s_mov_b32 s8, exec_lo
	s_delay_alu instid0(VALU_DEP_2)
	v_cmpx_ne_u32_e32 0x7f, v4
	s_cbranch_execz .LBB279_713
; %bb.710:                              ;   in Loop: Header=BB279_11 Depth=1
	v_and_b32_e32 v78, 7, v3
	v_lshrrev_b32_e32 v2, 3, v4
	s_mov_b32 s21, exec_lo
	v_cmpx_gt_u32_e32 8, v4
; %bb.711:                              ;   in Loop: Header=BB279_11 Depth=1
	s_delay_alu instid0(VALU_DEP_3) | instskip(NEXT) | instid1(VALU_DEP_1)
	v_clz_i32_u32_e32 v2, v78
	v_min_u32_e32 v2, 32, v2
	s_delay_alu instid0(VALU_DEP_1) | instskip(SKIP_1) | instid1(VALU_DEP_2)
	v_subrev_nc_u32_e32 v4, 28, v2
	v_sub_nc_u32_e32 v2, 29, v2
	v_lshlrev_b64 v[4:5], v4, v[78:79]
	s_delay_alu instid0(VALU_DEP_1)
	v_and_b32_e32 v78, 7, v4
; %bb.712:                              ;   in Loop: Header=BB279_11 Depth=1
	s_or_b32 exec_lo, exec_lo, s21
	v_dual_mov_b32 v60, v79 :: v_dual_lshlrev_b32 v3, 24, v3
	s_delay_alu instid0(VALU_DEP_2) | instskip(SKIP_1) | instid1(VALU_DEP_3)
	v_lshlrev_b32_e32 v4, 20, v78
	v_lshl_add_u32 v2, v2, 23, 0x3c000000
	v_and_b32_e32 v3, 0x80000000, v3
	s_delay_alu instid0(VALU_DEP_1)
	v_or3_b32 v61, v4, v3, v2
.LBB279_713:                            ;   in Loop: Header=BB279_11 Depth=1
	s_or_b32 exec_lo, exec_lo, s8
.LBB279_714:                            ;   in Loop: Header=BB279_11 Depth=1
	s_delay_alu instid0(SALU_CYCLE_1)
	s_or_b32 exec_lo, exec_lo, s20
.LBB279_715:                            ;   in Loop: Header=BB279_11 Depth=1
	s_delay_alu instid0(SALU_CYCLE_1) | instskip(SKIP_4) | instid1(VALU_DEP_1)
	s_or_b32 exec_lo, exec_lo, s19
	flat_load_b32 v2, v[136:137] offset:2568
	v_mov_b32_e32 v72, 0
	v_mov_b32_e32 v73, 0
	s_mov_b32 s8, exec_lo
	v_dual_mov_b32 v75, v73 :: v_dual_mov_b32 v74, v72
	s_waitcnt vmcnt(0) lgkmcnt(0)
	v_and_b32_e32 v3, 0xff, v2
	s_delay_alu instid0(VALU_DEP_1)
	v_cmpx_ne_u16_e32 0, v3
	s_cbranch_execz .LBB279_723
; %bb.716:                              ;   in Loop: Header=BB279_11 Depth=1
	v_bfrev_b32_e32 v74, 1
	v_mov_b32_e32 v75, 0
	s_mov_b32 s19, exec_lo
	v_cmpx_ne_u16_e32 0x80, v3
	s_cbranch_execz .LBB279_722
; %bb.717:                              ;   in Loop: Header=BB279_11 Depth=1
	v_mov_b32_e32 v74, 0x7f800001
	v_dual_mov_b32 v75, 0 :: v_dual_and_b32 v4, 0x7f, v2
	s_mov_b32 s20, exec_lo
	s_delay_alu instid0(VALU_DEP_1)
	v_cmpx_ne_u32_e32 0x7f, v4
	s_cbranch_execz .LBB279_721
; %bb.718:                              ;   in Loop: Header=BB279_11 Depth=1
	v_and_b32_e32 v78, 7, v2
	v_lshrrev_b32_e32 v3, 3, v4
	s_mov_b32 s21, exec_lo
	v_cmpx_gt_u32_e32 8, v4
; %bb.719:                              ;   in Loop: Header=BB279_11 Depth=1
	s_delay_alu instid0(VALU_DEP_3) | instskip(NEXT) | instid1(VALU_DEP_1)
	v_clz_i32_u32_e32 v3, v78
	v_min_u32_e32 v3, 32, v3
	s_delay_alu instid0(VALU_DEP_1) | instskip(SKIP_1) | instid1(VALU_DEP_2)
	v_subrev_nc_u32_e32 v4, 28, v3
	v_sub_nc_u32_e32 v3, 29, v3
	v_lshlrev_b64 v[4:5], v4, v[78:79]
	s_delay_alu instid0(VALU_DEP_1)
	v_and_b32_e32 v78, 7, v4
; %bb.720:                              ;   in Loop: Header=BB279_11 Depth=1
	s_or_b32 exec_lo, exec_lo, s21
	v_lshlrev_b32_e32 v4, 24, v2
	s_delay_alu instid0(VALU_DEP_2) | instskip(SKIP_1) | instid1(VALU_DEP_3)
	v_lshlrev_b32_e32 v5, 20, v78
	v_lshl_add_u32 v3, v3, 23, 0x3c000000
	v_and_b32_e32 v4, 0x80000000, v4
	s_delay_alu instid0(VALU_DEP_1) | instskip(NEXT) | instid1(VALU_DEP_1)
	v_or3_b32 v78, v5, v4, v3
	v_dual_mov_b32 v74, v78 :: v_dual_mov_b32 v75, v79
.LBB279_721:                            ;   in Loop: Header=BB279_11 Depth=1
	s_or_b32 exec_lo, exec_lo, s20
.LBB279_722:                            ;   in Loop: Header=BB279_11 Depth=1
	s_delay_alu instid0(SALU_CYCLE_1)
	s_or_b32 exec_lo, exec_lo, s19
.LBB279_723:                            ;   in Loop: Header=BB279_11 Depth=1
	s_delay_alu instid0(SALU_CYCLE_1) | instskip(SKIP_2) | instid1(VALU_DEP_1)
	s_or_b32 exec_lo, exec_lo, s8
	v_lshrrev_b16 v3, 8, v2
	s_mov_b32 s19, exec_lo
	v_cmpx_ne_u16_e32 0, v3
	s_cbranch_execz .LBB279_731
; %bb.724:                              ;   in Loop: Header=BB279_11 Depth=1
	v_dual_mov_b32 v73, s3 :: v_dual_mov_b32 v72, s2
	s_mov_b32 s20, exec_lo
	v_cmpx_ne_u16_e32 0x80, v3
	s_cbranch_execz .LBB279_730
; %bb.725:                              ;   in Loop: Header=BB279_11 Depth=1
	s_mov_b32 s8, s2
	v_and_b32_e32 v3, 0xffff, v3
	v_dual_mov_b32 v73, s9 :: v_dual_mov_b32 v72, s8
	s_mov_b32 s8, exec_lo
	s_delay_alu instid0(VALU_DEP_2) | instskip(NEXT) | instid1(VALU_DEP_1)
	v_and_b32_e32 v4, 0x7f, v3
	v_cmpx_ne_u32_e32 0x7f, v4
	s_cbranch_execz .LBB279_729
; %bb.726:                              ;   in Loop: Header=BB279_11 Depth=1
	v_and_b32_e32 v78, 7, v3
	v_lshrrev_b32_e32 v3, 3, v4
	s_mov_b32 s21, exec_lo
	v_cmpx_gt_u32_e32 8, v4
; %bb.727:                              ;   in Loop: Header=BB279_11 Depth=1
	s_delay_alu instid0(VALU_DEP_3) | instskip(NEXT) | instid1(VALU_DEP_1)
	v_clz_i32_u32_e32 v3, v78
	v_min_u32_e32 v3, 32, v3
	s_delay_alu instid0(VALU_DEP_1) | instskip(SKIP_1) | instid1(VALU_DEP_2)
	v_subrev_nc_u32_e32 v4, 28, v3
	v_sub_nc_u32_e32 v3, 29, v3
	v_lshlrev_b64 v[4:5], v4, v[78:79]
	s_delay_alu instid0(VALU_DEP_1)
	v_and_b32_e32 v78, 7, v4
; %bb.728:                              ;   in Loop: Header=BB279_11 Depth=1
	s_or_b32 exec_lo, exec_lo, s21
	v_lshlrev_b32_e32 v4, 16, v2
	s_delay_alu instid0(VALU_DEP_2) | instskip(SKIP_1) | instid1(VALU_DEP_3)
	v_dual_mov_b32 v72, v79 :: v_dual_lshlrev_b32 v5, 20, v78
	v_lshl_add_u32 v3, v3, 23, 0x3c000000
	v_and_b32_e32 v4, 0x80000000, v4
	s_delay_alu instid0(VALU_DEP_1)
	v_or3_b32 v73, v5, v4, v3
.LBB279_729:                            ;   in Loop: Header=BB279_11 Depth=1
	s_or_b32 exec_lo, exec_lo, s8
.LBB279_730:                            ;   in Loop: Header=BB279_11 Depth=1
	s_delay_alu instid0(SALU_CYCLE_1)
	s_or_b32 exec_lo, exec_lo, s20
.LBB279_731:                            ;   in Loop: Header=BB279_11 Depth=1
	s_delay_alu instid0(SALU_CYCLE_1) | instskip(SKIP_4) | instid1(VALU_DEP_2)
	s_or_b32 exec_lo, exec_lo, s19
	v_mov_b32_e32 v20, 0
	v_lshrrev_b32_e32 v3, 16, v2
	v_mov_b32_e32 v21, 0
	s_mov_b32 s8, exec_lo
	v_and_b32_e32 v4, 0xff, v3
	s_delay_alu instid0(VALU_DEP_2) | instskip(NEXT) | instid1(VALU_DEP_2)
	v_dual_mov_b32 v18, v20 :: v_dual_mov_b32 v19, v21
	v_cmpx_ne_u16_e32 0, v4
	s_cbranch_execz .LBB279_739
; %bb.732:                              ;   in Loop: Header=BB279_11 Depth=1
	v_bfrev_b32_e32 v18, 1
	v_mov_b32_e32 v19, 0
	s_mov_b32 s19, exec_lo
	v_cmpx_ne_u16_e32 0x80, v4
	s_cbranch_execz .LBB279_738
; %bb.733:                              ;   in Loop: Header=BB279_11 Depth=1
	v_mov_b32_e32 v18, 0x7f800001
	v_bfe_u32 v5, v2, 16, 7
	v_mov_b32_e32 v19, 0
	s_mov_b32 s20, exec_lo
	s_delay_alu instid0(VALU_DEP_2)
	v_cmpx_ne_u32_e32 0x7f, v5
	s_cbranch_execz .LBB279_737
; %bb.734:                              ;   in Loop: Header=BB279_11 Depth=1
	v_and_b32_e32 v78, 7, v3
	v_lshrrev_b32_e32 v4, 3, v5
	s_mov_b32 s21, exec_lo
	v_cmpx_gt_u32_e32 8, v5
; %bb.735:                              ;   in Loop: Header=BB279_11 Depth=1
	s_delay_alu instid0(VALU_DEP_3) | instskip(NEXT) | instid1(VALU_DEP_1)
	v_clz_i32_u32_e32 v4, v78
	v_min_u32_e32 v4, 32, v4
	s_delay_alu instid0(VALU_DEP_1) | instskip(SKIP_1) | instid1(VALU_DEP_2)
	v_subrev_nc_u32_e32 v5, 28, v4
	v_sub_nc_u32_e32 v4, 29, v4
	v_lshlrev_b64 v[8:9], v5, v[78:79]
	s_delay_alu instid0(VALU_DEP_1)
	v_and_b32_e32 v78, 7, v8
; %bb.736:                              ;   in Loop: Header=BB279_11 Depth=1
	s_or_b32 exec_lo, exec_lo, s21
	v_lshlrev_b32_e32 v3, 24, v3
	s_delay_alu instid0(VALU_DEP_2) | instskip(SKIP_1) | instid1(VALU_DEP_3)
	v_lshlrev_b32_e32 v5, 20, v78
	v_lshl_add_u32 v4, v4, 23, 0x3c000000
	v_and_b32_e32 v3, 0x80000000, v3
	s_delay_alu instid0(VALU_DEP_1) | instskip(NEXT) | instid1(VALU_DEP_1)
	v_or3_b32 v78, v5, v3, v4
	v_dual_mov_b32 v18, v78 :: v_dual_mov_b32 v19, v79
.LBB279_737:                            ;   in Loop: Header=BB279_11 Depth=1
	s_or_b32 exec_lo, exec_lo, s20
.LBB279_738:                            ;   in Loop: Header=BB279_11 Depth=1
	s_delay_alu instid0(SALU_CYCLE_1)
	s_or_b32 exec_lo, exec_lo, s19
.LBB279_739:                            ;   in Loop: Header=BB279_11 Depth=1
	s_delay_alu instid0(SALU_CYCLE_1) | instskip(NEXT) | instid1(SALU_CYCLE_1)
	s_or_b32 exec_lo, exec_lo, s8
	s_mov_b32 s19, exec_lo
	v_cmpx_lt_u32_e32 0xffffff, v2
	s_cbranch_execz .LBB279_747
; %bb.740:                              ;   in Loop: Header=BB279_11 Depth=1
	v_lshrrev_b32_e32 v3, 24, v2
	v_dual_mov_b32 v21, s3 :: v_dual_mov_b32 v20, s2
	s_mov_b32 s20, exec_lo
	s_delay_alu instid0(VALU_DEP_2)
	v_cmpx_ne_u32_e32 0x80, v3
	s_cbranch_execz .LBB279_746
; %bb.741:                              ;   in Loop: Header=BB279_11 Depth=1
	s_mov_b32 s8, s2
	v_bfe_u32 v4, v2, 24, 7
	v_dual_mov_b32 v21, s9 :: v_dual_mov_b32 v20, s8
	s_mov_b32 s8, exec_lo
	s_delay_alu instid0(VALU_DEP_2)
	v_cmpx_ne_u32_e32 0x7f, v4
	s_cbranch_execz .LBB279_745
; %bb.742:                              ;   in Loop: Header=BB279_11 Depth=1
	v_and_b32_e32 v78, 7, v3
	v_lshrrev_b32_e32 v2, 3, v4
	s_mov_b32 s21, exec_lo
	v_cmpx_gt_u32_e32 8, v4
; %bb.743:                              ;   in Loop: Header=BB279_11 Depth=1
	s_delay_alu instid0(VALU_DEP_3) | instskip(NEXT) | instid1(VALU_DEP_1)
	v_clz_i32_u32_e32 v2, v78
	v_min_u32_e32 v2, 32, v2
	s_delay_alu instid0(VALU_DEP_1) | instskip(SKIP_1) | instid1(VALU_DEP_2)
	v_subrev_nc_u32_e32 v4, 28, v2
	v_sub_nc_u32_e32 v2, 29, v2
	v_lshlrev_b64 v[4:5], v4, v[78:79]
	s_delay_alu instid0(VALU_DEP_1)
	v_and_b32_e32 v78, 7, v4
; %bb.744:                              ;   in Loop: Header=BB279_11 Depth=1
	s_or_b32 exec_lo, exec_lo, s21
	v_dual_mov_b32 v20, v79 :: v_dual_lshlrev_b32 v3, 24, v3
	s_delay_alu instid0(VALU_DEP_2) | instskip(SKIP_1) | instid1(VALU_DEP_3)
	v_lshlrev_b32_e32 v4, 20, v78
	v_lshl_add_u32 v2, v2, 23, 0x3c000000
	v_and_b32_e32 v3, 0x80000000, v3
	s_delay_alu instid0(VALU_DEP_1)
	v_or3_b32 v21, v4, v3, v2
.LBB279_745:                            ;   in Loop: Header=BB279_11 Depth=1
	s_or_b32 exec_lo, exec_lo, s8
.LBB279_746:                            ;   in Loop: Header=BB279_11 Depth=1
	s_delay_alu instid0(SALU_CYCLE_1)
	s_or_b32 exec_lo, exec_lo, s20
.LBB279_747:                            ;   in Loop: Header=BB279_11 Depth=1
	s_delay_alu instid0(SALU_CYCLE_1) | instskip(SKIP_4) | instid1(VALU_DEP_1)
	s_or_b32 exec_lo, exec_lo, s19
	flat_load_b32 v2, v[136:137] offset:2572
	v_mov_b32_e32 v92, 0
	v_mov_b32_e32 v93, 0
	s_mov_b32 s8, exec_lo
	v_dual_mov_b32 v105, v93 :: v_dual_mov_b32 v104, v92
	s_waitcnt vmcnt(0) lgkmcnt(0)
	v_and_b32_e32 v3, 0xff, v2
	s_delay_alu instid0(VALU_DEP_1)
	v_cmpx_ne_u16_e32 0, v3
	s_cbranch_execz .LBB279_755
; %bb.748:                              ;   in Loop: Header=BB279_11 Depth=1
	v_bfrev_b32_e32 v104, 1
	v_mov_b32_e32 v105, 0
	s_mov_b32 s19, exec_lo
	v_cmpx_ne_u16_e32 0x80, v3
	s_cbranch_execz .LBB279_754
; %bb.749:                              ;   in Loop: Header=BB279_11 Depth=1
	v_mov_b32_e32 v104, 0x7f800001
	v_dual_mov_b32 v105, 0 :: v_dual_and_b32 v4, 0x7f, v2
	s_mov_b32 s20, exec_lo
	s_delay_alu instid0(VALU_DEP_1)
	v_cmpx_ne_u32_e32 0x7f, v4
	s_cbranch_execz .LBB279_753
; %bb.750:                              ;   in Loop: Header=BB279_11 Depth=1
	v_and_b32_e32 v78, 7, v2
	v_lshrrev_b32_e32 v3, 3, v4
	s_mov_b32 s21, exec_lo
	v_cmpx_gt_u32_e32 8, v4
; %bb.751:                              ;   in Loop: Header=BB279_11 Depth=1
	s_delay_alu instid0(VALU_DEP_3) | instskip(NEXT) | instid1(VALU_DEP_1)
	v_clz_i32_u32_e32 v3, v78
	v_min_u32_e32 v3, 32, v3
	s_delay_alu instid0(VALU_DEP_1) | instskip(SKIP_1) | instid1(VALU_DEP_2)
	v_subrev_nc_u32_e32 v4, 28, v3
	v_sub_nc_u32_e32 v3, 29, v3
	v_lshlrev_b64 v[4:5], v4, v[78:79]
	s_delay_alu instid0(VALU_DEP_1)
	v_and_b32_e32 v78, 7, v4
; %bb.752:                              ;   in Loop: Header=BB279_11 Depth=1
	s_or_b32 exec_lo, exec_lo, s21
	v_lshlrev_b32_e32 v4, 24, v2
	s_delay_alu instid0(VALU_DEP_2) | instskip(SKIP_1) | instid1(VALU_DEP_3)
	v_lshlrev_b32_e32 v5, 20, v78
	v_lshl_add_u32 v3, v3, 23, 0x3c000000
	v_and_b32_e32 v4, 0x80000000, v4
	s_delay_alu instid0(VALU_DEP_1) | instskip(NEXT) | instid1(VALU_DEP_1)
	v_or3_b32 v78, v5, v4, v3
	v_dual_mov_b32 v105, v79 :: v_dual_mov_b32 v104, v78
.LBB279_753:                            ;   in Loop: Header=BB279_11 Depth=1
	s_or_b32 exec_lo, exec_lo, s20
.LBB279_754:                            ;   in Loop: Header=BB279_11 Depth=1
	s_delay_alu instid0(SALU_CYCLE_1)
	s_or_b32 exec_lo, exec_lo, s19
.LBB279_755:                            ;   in Loop: Header=BB279_11 Depth=1
	s_delay_alu instid0(SALU_CYCLE_1) | instskip(SKIP_2) | instid1(VALU_DEP_1)
	s_or_b32 exec_lo, exec_lo, s8
	v_lshrrev_b16 v3, 8, v2
	s_mov_b32 s19, exec_lo
	v_cmpx_ne_u16_e32 0, v3
	s_cbranch_execz .LBB279_763
; %bb.756:                              ;   in Loop: Header=BB279_11 Depth=1
	v_dual_mov_b32 v93, s3 :: v_dual_mov_b32 v92, s2
	s_mov_b32 s20, exec_lo
	v_cmpx_ne_u16_e32 0x80, v3
	s_cbranch_execz .LBB279_762
; %bb.757:                              ;   in Loop: Header=BB279_11 Depth=1
	s_mov_b32 s8, s2
	v_and_b32_e32 v3, 0xffff, v3
	v_dual_mov_b32 v93, s9 :: v_dual_mov_b32 v92, s8
	s_mov_b32 s8, exec_lo
	s_delay_alu instid0(VALU_DEP_2) | instskip(NEXT) | instid1(VALU_DEP_1)
	v_and_b32_e32 v4, 0x7f, v3
	v_cmpx_ne_u32_e32 0x7f, v4
	s_cbranch_execz .LBB279_761
; %bb.758:                              ;   in Loop: Header=BB279_11 Depth=1
	v_and_b32_e32 v78, 7, v3
	v_lshrrev_b32_e32 v3, 3, v4
	s_mov_b32 s21, exec_lo
	v_cmpx_gt_u32_e32 8, v4
; %bb.759:                              ;   in Loop: Header=BB279_11 Depth=1
	s_delay_alu instid0(VALU_DEP_3) | instskip(NEXT) | instid1(VALU_DEP_1)
	v_clz_i32_u32_e32 v3, v78
	v_min_u32_e32 v3, 32, v3
	s_delay_alu instid0(VALU_DEP_1) | instskip(SKIP_1) | instid1(VALU_DEP_2)
	v_subrev_nc_u32_e32 v4, 28, v3
	v_sub_nc_u32_e32 v3, 29, v3
	v_lshlrev_b64 v[4:5], v4, v[78:79]
	s_delay_alu instid0(VALU_DEP_1)
	v_and_b32_e32 v78, 7, v4
; %bb.760:                              ;   in Loop: Header=BB279_11 Depth=1
	s_or_b32 exec_lo, exec_lo, s21
	v_lshlrev_b32_e32 v4, 16, v2
	s_delay_alu instid0(VALU_DEP_2) | instskip(SKIP_1) | instid1(VALU_DEP_3)
	v_dual_mov_b32 v92, v79 :: v_dual_lshlrev_b32 v5, 20, v78
	v_lshl_add_u32 v3, v3, 23, 0x3c000000
	v_and_b32_e32 v4, 0x80000000, v4
	s_delay_alu instid0(VALU_DEP_1)
	v_or3_b32 v93, v5, v4, v3
.LBB279_761:                            ;   in Loop: Header=BB279_11 Depth=1
	s_or_b32 exec_lo, exec_lo, s8
.LBB279_762:                            ;   in Loop: Header=BB279_11 Depth=1
	s_delay_alu instid0(SALU_CYCLE_1)
	s_or_b32 exec_lo, exec_lo, s20
.LBB279_763:                            ;   in Loop: Header=BB279_11 Depth=1
	s_delay_alu instid0(SALU_CYCLE_1) | instskip(SKIP_4) | instid1(VALU_DEP_1)
	s_or_b32 exec_lo, exec_lo, s19
	v_mov_b32_e32 v108, 0
	v_lshrrev_b32_e32 v3, 16, v2
	v_mov_b32_e32 v109, 0
	s_mov_b32 s8, exec_lo
	v_dual_mov_b32 v121, v109 :: v_dual_and_b32 v4, 0xff, v3
	v_mov_b32_e32 v120, v108
	s_delay_alu instid0(VALU_DEP_2)
	v_cmpx_ne_u16_e32 0, v4
	s_cbranch_execz .LBB279_771
; %bb.764:                              ;   in Loop: Header=BB279_11 Depth=1
	v_bfrev_b32_e32 v120, 1
	v_mov_b32_e32 v121, 0
	s_mov_b32 s19, exec_lo
	v_cmpx_ne_u16_e32 0x80, v4
	s_cbranch_execz .LBB279_770
; %bb.765:                              ;   in Loop: Header=BB279_11 Depth=1
	v_mov_b32_e32 v120, 0x7f800001
	v_bfe_u32 v5, v2, 16, 7
	v_mov_b32_e32 v121, 0
	s_mov_b32 s20, exec_lo
	s_delay_alu instid0(VALU_DEP_2)
	v_cmpx_ne_u32_e32 0x7f, v5
	s_cbranch_execz .LBB279_769
; %bb.766:                              ;   in Loop: Header=BB279_11 Depth=1
	v_and_b32_e32 v78, 7, v3
	v_lshrrev_b32_e32 v4, 3, v5
	s_mov_b32 s21, exec_lo
	v_cmpx_gt_u32_e32 8, v5
; %bb.767:                              ;   in Loop: Header=BB279_11 Depth=1
	s_delay_alu instid0(VALU_DEP_3) | instskip(NEXT) | instid1(VALU_DEP_1)
	v_clz_i32_u32_e32 v4, v78
	v_min_u32_e32 v4, 32, v4
	s_delay_alu instid0(VALU_DEP_1) | instskip(SKIP_1) | instid1(VALU_DEP_2)
	v_subrev_nc_u32_e32 v5, 28, v4
	v_sub_nc_u32_e32 v4, 29, v4
	v_lshlrev_b64 v[8:9], v5, v[78:79]
	s_delay_alu instid0(VALU_DEP_1)
	v_and_b32_e32 v78, 7, v8
; %bb.768:                              ;   in Loop: Header=BB279_11 Depth=1
	s_or_b32 exec_lo, exec_lo, s21
	v_lshlrev_b32_e32 v3, 24, v3
	s_delay_alu instid0(VALU_DEP_2) | instskip(SKIP_1) | instid1(VALU_DEP_3)
	v_lshlrev_b32_e32 v5, 20, v78
	v_lshl_add_u32 v4, v4, 23, 0x3c000000
	v_and_b32_e32 v3, 0x80000000, v3
	s_delay_alu instid0(VALU_DEP_1) | instskip(NEXT) | instid1(VALU_DEP_1)
	v_or3_b32 v78, v5, v3, v4
	v_dual_mov_b32 v121, v79 :: v_dual_mov_b32 v120, v78
.LBB279_769:                            ;   in Loop: Header=BB279_11 Depth=1
	s_or_b32 exec_lo, exec_lo, s20
.LBB279_770:                            ;   in Loop: Header=BB279_11 Depth=1
	s_delay_alu instid0(SALU_CYCLE_1)
	s_or_b32 exec_lo, exec_lo, s19
.LBB279_771:                            ;   in Loop: Header=BB279_11 Depth=1
	s_delay_alu instid0(SALU_CYCLE_1) | instskip(NEXT) | instid1(SALU_CYCLE_1)
	s_or_b32 exec_lo, exec_lo, s8
	s_mov_b32 s19, exec_lo
	v_cmpx_lt_u32_e32 0xffffff, v2
	s_cbranch_execz .LBB279_779
; %bb.772:                              ;   in Loop: Header=BB279_11 Depth=1
	v_lshrrev_b32_e32 v3, 24, v2
	v_dual_mov_b32 v109, s3 :: v_dual_mov_b32 v108, s2
	s_mov_b32 s20, exec_lo
	s_delay_alu instid0(VALU_DEP_2)
	v_cmpx_ne_u32_e32 0x80, v3
	s_cbranch_execz .LBB279_778
; %bb.773:                              ;   in Loop: Header=BB279_11 Depth=1
	s_mov_b32 s8, s2
	v_bfe_u32 v4, v2, 24, 7
	v_dual_mov_b32 v109, s9 :: v_dual_mov_b32 v108, s8
	s_mov_b32 s8, exec_lo
	s_delay_alu instid0(VALU_DEP_2)
	v_cmpx_ne_u32_e32 0x7f, v4
	s_cbranch_execz .LBB279_777
; %bb.774:                              ;   in Loop: Header=BB279_11 Depth=1
	v_and_b32_e32 v78, 7, v3
	v_lshrrev_b32_e32 v2, 3, v4
	s_mov_b32 s21, exec_lo
	v_cmpx_gt_u32_e32 8, v4
; %bb.775:                              ;   in Loop: Header=BB279_11 Depth=1
	s_delay_alu instid0(VALU_DEP_3) | instskip(NEXT) | instid1(VALU_DEP_1)
	v_clz_i32_u32_e32 v2, v78
	v_min_u32_e32 v2, 32, v2
	s_delay_alu instid0(VALU_DEP_1) | instskip(SKIP_1) | instid1(VALU_DEP_2)
	v_subrev_nc_u32_e32 v4, 28, v2
	v_sub_nc_u32_e32 v2, 29, v2
	v_lshlrev_b64 v[4:5], v4, v[78:79]
	s_delay_alu instid0(VALU_DEP_1)
	v_and_b32_e32 v78, 7, v4
; %bb.776:                              ;   in Loop: Header=BB279_11 Depth=1
	s_or_b32 exec_lo, exec_lo, s21
	v_dual_mov_b32 v108, v79 :: v_dual_lshlrev_b32 v3, 24, v3
	s_delay_alu instid0(VALU_DEP_2) | instskip(SKIP_1) | instid1(VALU_DEP_3)
	v_lshlrev_b32_e32 v4, 20, v78
	v_lshl_add_u32 v2, v2, 23, 0x3c000000
	v_and_b32_e32 v3, 0x80000000, v3
	s_delay_alu instid0(VALU_DEP_1)
	v_or3_b32 v109, v4, v3, v2
.LBB279_777:                            ;   in Loop: Header=BB279_11 Depth=1
	s_or_b32 exec_lo, exec_lo, s8
.LBB279_778:                            ;   in Loop: Header=BB279_11 Depth=1
	s_delay_alu instid0(SALU_CYCLE_1)
	s_or_b32 exec_lo, exec_lo, s20
.LBB279_779:                            ;   in Loop: Header=BB279_11 Depth=1
	s_delay_alu instid0(SALU_CYCLE_1) | instskip(SKIP_4) | instid1(VALU_DEP_1)
	s_or_b32 exec_lo, exec_lo, s19
	flat_load_b32 v2, v[136:137] offset:3072
	v_mov_b32_e32 v124, 0
	v_mov_b32_e32 v125, 0
	s_mov_b32 s8, exec_lo
	v_dual_mov_b32 v139, v125 :: v_dual_mov_b32 v138, v124
	s_waitcnt vmcnt(0) lgkmcnt(0)
	v_and_b32_e32 v3, 0xff, v2
	s_delay_alu instid0(VALU_DEP_1)
	v_cmpx_ne_u16_e32 0, v3
	s_cbranch_execz .LBB279_787
; %bb.780:                              ;   in Loop: Header=BB279_11 Depth=1
	v_bfrev_b32_e32 v138, 1
	v_mov_b32_e32 v139, 0
	s_mov_b32 s19, exec_lo
	v_cmpx_ne_u16_e32 0x80, v3
	s_cbranch_execz .LBB279_786
; %bb.781:                              ;   in Loop: Header=BB279_11 Depth=1
	v_mov_b32_e32 v138, 0x7f800001
	v_dual_mov_b32 v139, 0 :: v_dual_and_b32 v4, 0x7f, v2
	s_mov_b32 s20, exec_lo
	s_delay_alu instid0(VALU_DEP_1)
	v_cmpx_ne_u32_e32 0x7f, v4
	s_cbranch_execz .LBB279_785
; %bb.782:                              ;   in Loop: Header=BB279_11 Depth=1
	v_and_b32_e32 v78, 7, v2
	v_lshrrev_b32_e32 v3, 3, v4
	s_mov_b32 s21, exec_lo
	v_cmpx_gt_u32_e32 8, v4
; %bb.783:                              ;   in Loop: Header=BB279_11 Depth=1
	s_delay_alu instid0(VALU_DEP_3) | instskip(NEXT) | instid1(VALU_DEP_1)
	v_clz_i32_u32_e32 v3, v78
	v_min_u32_e32 v3, 32, v3
	s_delay_alu instid0(VALU_DEP_1) | instskip(SKIP_1) | instid1(VALU_DEP_2)
	v_subrev_nc_u32_e32 v4, 28, v3
	v_sub_nc_u32_e32 v3, 29, v3
	v_lshlrev_b64 v[4:5], v4, v[78:79]
	s_delay_alu instid0(VALU_DEP_1)
	v_and_b32_e32 v78, 7, v4
; %bb.784:                              ;   in Loop: Header=BB279_11 Depth=1
	s_or_b32 exec_lo, exec_lo, s21
	v_lshlrev_b32_e32 v4, 24, v2
	s_delay_alu instid0(VALU_DEP_2) | instskip(SKIP_1) | instid1(VALU_DEP_3)
	v_lshlrev_b32_e32 v5, 20, v78
	v_lshl_add_u32 v3, v3, 23, 0x3c000000
	v_and_b32_e32 v4, 0x80000000, v4
	s_delay_alu instid0(VALU_DEP_1) | instskip(NEXT) | instid1(VALU_DEP_1)
	v_or3_b32 v78, v5, v4, v3
	v_dual_mov_b32 v139, v79 :: v_dual_mov_b32 v138, v78
.LBB279_785:                            ;   in Loop: Header=BB279_11 Depth=1
	s_or_b32 exec_lo, exec_lo, s20
.LBB279_786:                            ;   in Loop: Header=BB279_11 Depth=1
	s_delay_alu instid0(SALU_CYCLE_1)
	s_or_b32 exec_lo, exec_lo, s19
.LBB279_787:                            ;   in Loop: Header=BB279_11 Depth=1
	s_delay_alu instid0(SALU_CYCLE_1) | instskip(SKIP_2) | instid1(VALU_DEP_1)
	s_or_b32 exec_lo, exec_lo, s8
	v_lshrrev_b16 v3, 8, v2
	s_mov_b32 s19, exec_lo
	v_cmpx_ne_u16_e32 0, v3
	s_cbranch_execz .LBB279_795
; %bb.788:                              ;   in Loop: Header=BB279_11 Depth=1
	v_dual_mov_b32 v125, s3 :: v_dual_mov_b32 v124, s2
	s_mov_b32 s20, exec_lo
	v_cmpx_ne_u16_e32 0x80, v3
	s_cbranch_execz .LBB279_794
; %bb.789:                              ;   in Loop: Header=BB279_11 Depth=1
	s_mov_b32 s8, s2
	v_and_b32_e32 v3, 0xffff, v3
	v_dual_mov_b32 v125, s9 :: v_dual_mov_b32 v124, s8
	s_mov_b32 s8, exec_lo
	s_delay_alu instid0(VALU_DEP_2) | instskip(NEXT) | instid1(VALU_DEP_1)
	v_and_b32_e32 v4, 0x7f, v3
	v_cmpx_ne_u32_e32 0x7f, v4
	s_cbranch_execz .LBB279_793
; %bb.790:                              ;   in Loop: Header=BB279_11 Depth=1
	v_and_b32_e32 v78, 7, v3
	v_lshrrev_b32_e32 v3, 3, v4
	s_mov_b32 s21, exec_lo
	v_cmpx_gt_u32_e32 8, v4
; %bb.791:                              ;   in Loop: Header=BB279_11 Depth=1
	s_delay_alu instid0(VALU_DEP_3) | instskip(NEXT) | instid1(VALU_DEP_1)
	v_clz_i32_u32_e32 v3, v78
	v_min_u32_e32 v3, 32, v3
	s_delay_alu instid0(VALU_DEP_1) | instskip(SKIP_1) | instid1(VALU_DEP_2)
	v_subrev_nc_u32_e32 v4, 28, v3
	v_sub_nc_u32_e32 v3, 29, v3
	v_lshlrev_b64 v[4:5], v4, v[78:79]
	s_delay_alu instid0(VALU_DEP_1)
	v_and_b32_e32 v78, 7, v4
; %bb.792:                              ;   in Loop: Header=BB279_11 Depth=1
	s_or_b32 exec_lo, exec_lo, s21
	v_lshlrev_b32_e32 v4, 16, v2
	s_delay_alu instid0(VALU_DEP_2) | instskip(SKIP_1) | instid1(VALU_DEP_3)
	v_dual_mov_b32 v124, v79 :: v_dual_lshlrev_b32 v5, 20, v78
	v_lshl_add_u32 v3, v3, 23, 0x3c000000
	v_and_b32_e32 v4, 0x80000000, v4
	s_delay_alu instid0(VALU_DEP_1)
	v_or3_b32 v125, v5, v4, v3
.LBB279_793:                            ;   in Loop: Header=BB279_11 Depth=1
	s_or_b32 exec_lo, exec_lo, s8
.LBB279_794:                            ;   in Loop: Header=BB279_11 Depth=1
	s_delay_alu instid0(SALU_CYCLE_1)
	s_or_b32 exec_lo, exec_lo, s20
.LBB279_795:                            ;   in Loop: Header=BB279_11 Depth=1
	s_delay_alu instid0(SALU_CYCLE_1) | instskip(SKIP_4) | instid1(VALU_DEP_1)
	s_or_b32 exec_lo, exec_lo, s19
	v_mov_b32_e32 v142, 0
	v_lshrrev_b32_e32 v3, 16, v2
	v_mov_b32_e32 v143, 0
	s_mov_b32 s8, exec_lo
	v_dual_mov_b32 v155, v143 :: v_dual_and_b32 v4, 0xff, v3
	v_mov_b32_e32 v154, v142
	s_delay_alu instid0(VALU_DEP_2)
	v_cmpx_ne_u16_e32 0, v4
	s_cbranch_execz .LBB279_803
; %bb.796:                              ;   in Loop: Header=BB279_11 Depth=1
	v_bfrev_b32_e32 v154, 1
	v_mov_b32_e32 v155, 0
	s_mov_b32 s19, exec_lo
	v_cmpx_ne_u16_e32 0x80, v4
	s_cbranch_execz .LBB279_802
; %bb.797:                              ;   in Loop: Header=BB279_11 Depth=1
	v_mov_b32_e32 v154, 0x7f800001
	v_bfe_u32 v5, v2, 16, 7
	v_mov_b32_e32 v155, 0
	s_mov_b32 s20, exec_lo
	s_delay_alu instid0(VALU_DEP_2)
	v_cmpx_ne_u32_e32 0x7f, v5
	s_cbranch_execz .LBB279_801
; %bb.798:                              ;   in Loop: Header=BB279_11 Depth=1
	v_and_b32_e32 v78, 7, v3
	v_lshrrev_b32_e32 v4, 3, v5
	s_mov_b32 s21, exec_lo
	v_cmpx_gt_u32_e32 8, v5
; %bb.799:                              ;   in Loop: Header=BB279_11 Depth=1
	s_delay_alu instid0(VALU_DEP_3) | instskip(NEXT) | instid1(VALU_DEP_1)
	v_clz_i32_u32_e32 v4, v78
	v_min_u32_e32 v4, 32, v4
	s_delay_alu instid0(VALU_DEP_1) | instskip(SKIP_1) | instid1(VALU_DEP_2)
	v_subrev_nc_u32_e32 v5, 28, v4
	v_sub_nc_u32_e32 v4, 29, v4
	v_lshlrev_b64 v[8:9], v5, v[78:79]
	s_delay_alu instid0(VALU_DEP_1)
	v_and_b32_e32 v78, 7, v8
; %bb.800:                              ;   in Loop: Header=BB279_11 Depth=1
	s_or_b32 exec_lo, exec_lo, s21
	v_lshlrev_b32_e32 v3, 24, v3
	s_delay_alu instid0(VALU_DEP_2) | instskip(SKIP_1) | instid1(VALU_DEP_3)
	v_lshlrev_b32_e32 v5, 20, v78
	v_lshl_add_u32 v4, v4, 23, 0x3c000000
	v_and_b32_e32 v3, 0x80000000, v3
	s_delay_alu instid0(VALU_DEP_1) | instskip(NEXT) | instid1(VALU_DEP_1)
	v_or3_b32 v78, v5, v3, v4
	v_dual_mov_b32 v155, v79 :: v_dual_mov_b32 v154, v78
.LBB279_801:                            ;   in Loop: Header=BB279_11 Depth=1
	s_or_b32 exec_lo, exec_lo, s20
.LBB279_802:                            ;   in Loop: Header=BB279_11 Depth=1
	s_delay_alu instid0(SALU_CYCLE_1)
	s_or_b32 exec_lo, exec_lo, s19
.LBB279_803:                            ;   in Loop: Header=BB279_11 Depth=1
	s_delay_alu instid0(SALU_CYCLE_1) | instskip(NEXT) | instid1(SALU_CYCLE_1)
	s_or_b32 exec_lo, exec_lo, s8
	s_mov_b32 s19, exec_lo
	v_cmpx_lt_u32_e32 0xffffff, v2
	s_cbranch_execz .LBB279_811
; %bb.804:                              ;   in Loop: Header=BB279_11 Depth=1
	v_lshrrev_b32_e32 v3, 24, v2
	v_dual_mov_b32 v143, s3 :: v_dual_mov_b32 v142, s2
	s_mov_b32 s20, exec_lo
	s_delay_alu instid0(VALU_DEP_2)
	v_cmpx_ne_u32_e32 0x80, v3
	s_cbranch_execz .LBB279_810
; %bb.805:                              ;   in Loop: Header=BB279_11 Depth=1
	s_mov_b32 s8, s2
	v_bfe_u32 v4, v2, 24, 7
	v_dual_mov_b32 v143, s9 :: v_dual_mov_b32 v142, s8
	s_mov_b32 s8, exec_lo
	s_delay_alu instid0(VALU_DEP_2)
	v_cmpx_ne_u32_e32 0x7f, v4
	s_cbranch_execz .LBB279_809
; %bb.806:                              ;   in Loop: Header=BB279_11 Depth=1
	v_and_b32_e32 v78, 7, v3
	v_lshrrev_b32_e32 v2, 3, v4
	s_mov_b32 s21, exec_lo
	v_cmpx_gt_u32_e32 8, v4
; %bb.807:                              ;   in Loop: Header=BB279_11 Depth=1
	s_delay_alu instid0(VALU_DEP_3) | instskip(NEXT) | instid1(VALU_DEP_1)
	v_clz_i32_u32_e32 v2, v78
	v_min_u32_e32 v2, 32, v2
	s_delay_alu instid0(VALU_DEP_1) | instskip(SKIP_1) | instid1(VALU_DEP_2)
	v_subrev_nc_u32_e32 v4, 28, v2
	v_sub_nc_u32_e32 v2, 29, v2
	v_lshlrev_b64 v[4:5], v4, v[78:79]
	s_delay_alu instid0(VALU_DEP_1)
	v_and_b32_e32 v78, 7, v4
; %bb.808:                              ;   in Loop: Header=BB279_11 Depth=1
	s_or_b32 exec_lo, exec_lo, s21
	v_dual_mov_b32 v142, v79 :: v_dual_lshlrev_b32 v3, 24, v3
	s_delay_alu instid0(VALU_DEP_2) | instskip(SKIP_1) | instid1(VALU_DEP_3)
	v_lshlrev_b32_e32 v4, 20, v78
	v_lshl_add_u32 v2, v2, 23, 0x3c000000
	v_and_b32_e32 v3, 0x80000000, v3
	s_delay_alu instid0(VALU_DEP_1)
	v_or3_b32 v143, v4, v3, v2
.LBB279_809:                            ;   in Loop: Header=BB279_11 Depth=1
	s_or_b32 exec_lo, exec_lo, s8
.LBB279_810:                            ;   in Loop: Header=BB279_11 Depth=1
	s_delay_alu instid0(SALU_CYCLE_1)
	s_or_b32 exec_lo, exec_lo, s20
.LBB279_811:                            ;   in Loop: Header=BB279_11 Depth=1
	s_delay_alu instid0(SALU_CYCLE_1) | instskip(SKIP_4) | instid1(VALU_DEP_1)
	s_or_b32 exec_lo, exec_lo, s19
	flat_load_b32 v2, v[136:137] offset:3076
	v_mov_b32_e32 v168, 0
	v_mov_b32_e32 v169, 0
	s_mov_b32 s8, exec_lo
	v_dual_mov_b32 v173, v169 :: v_dual_mov_b32 v172, v168
	s_waitcnt vmcnt(0) lgkmcnt(0)
	v_and_b32_e32 v3, 0xff, v2
	s_delay_alu instid0(VALU_DEP_1)
	v_cmpx_ne_u16_e32 0, v3
	s_cbranch_execz .LBB279_819
; %bb.812:                              ;   in Loop: Header=BB279_11 Depth=1
	v_bfrev_b32_e32 v172, 1
	v_mov_b32_e32 v173, 0
	s_mov_b32 s19, exec_lo
	v_cmpx_ne_u16_e32 0x80, v3
	s_cbranch_execz .LBB279_818
; %bb.813:                              ;   in Loop: Header=BB279_11 Depth=1
	v_mov_b32_e32 v172, 0x7f800001
	v_dual_mov_b32 v173, 0 :: v_dual_and_b32 v4, 0x7f, v2
	s_mov_b32 s20, exec_lo
	s_delay_alu instid0(VALU_DEP_1)
	v_cmpx_ne_u32_e32 0x7f, v4
	s_cbranch_execz .LBB279_817
; %bb.814:                              ;   in Loop: Header=BB279_11 Depth=1
	v_and_b32_e32 v78, 7, v2
	v_lshrrev_b32_e32 v3, 3, v4
	s_mov_b32 s21, exec_lo
	v_cmpx_gt_u32_e32 8, v4
; %bb.815:                              ;   in Loop: Header=BB279_11 Depth=1
	s_delay_alu instid0(VALU_DEP_3) | instskip(NEXT) | instid1(VALU_DEP_1)
	v_clz_i32_u32_e32 v3, v78
	v_min_u32_e32 v3, 32, v3
	s_delay_alu instid0(VALU_DEP_1) | instskip(SKIP_1) | instid1(VALU_DEP_2)
	v_subrev_nc_u32_e32 v4, 28, v3
	v_sub_nc_u32_e32 v3, 29, v3
	v_lshlrev_b64 v[4:5], v4, v[78:79]
	s_delay_alu instid0(VALU_DEP_1)
	v_and_b32_e32 v78, 7, v4
; %bb.816:                              ;   in Loop: Header=BB279_11 Depth=1
	s_or_b32 exec_lo, exec_lo, s21
	v_lshlrev_b32_e32 v4, 24, v2
	s_delay_alu instid0(VALU_DEP_2) | instskip(SKIP_1) | instid1(VALU_DEP_3)
	v_lshlrev_b32_e32 v5, 20, v78
	v_lshl_add_u32 v3, v3, 23, 0x3c000000
	v_and_b32_e32 v4, 0x80000000, v4
	s_delay_alu instid0(VALU_DEP_1) | instskip(NEXT) | instid1(VALU_DEP_1)
	v_or3_b32 v78, v5, v4, v3
	v_dual_mov_b32 v173, v79 :: v_dual_mov_b32 v172, v78
.LBB279_817:                            ;   in Loop: Header=BB279_11 Depth=1
	s_or_b32 exec_lo, exec_lo, s20
.LBB279_818:                            ;   in Loop: Header=BB279_11 Depth=1
	s_delay_alu instid0(SALU_CYCLE_1)
	s_or_b32 exec_lo, exec_lo, s19
.LBB279_819:                            ;   in Loop: Header=BB279_11 Depth=1
	s_delay_alu instid0(SALU_CYCLE_1) | instskip(SKIP_2) | instid1(VALU_DEP_1)
	s_or_b32 exec_lo, exec_lo, s8
	v_lshrrev_b16 v3, 8, v2
	s_mov_b32 s19, exec_lo
	v_cmpx_ne_u16_e32 0, v3
	s_cbranch_execz .LBB279_827
; %bb.820:                              ;   in Loop: Header=BB279_11 Depth=1
	v_dual_mov_b32 v169, s3 :: v_dual_mov_b32 v168, s2
	s_mov_b32 s20, exec_lo
	v_cmpx_ne_u16_e32 0x80, v3
	s_cbranch_execz .LBB279_826
; %bb.821:                              ;   in Loop: Header=BB279_11 Depth=1
	s_mov_b32 s8, s2
	v_and_b32_e32 v3, 0xffff, v3
	v_dual_mov_b32 v169, s9 :: v_dual_mov_b32 v168, s8
	s_mov_b32 s8, exec_lo
	s_delay_alu instid0(VALU_DEP_2) | instskip(NEXT) | instid1(VALU_DEP_1)
	v_and_b32_e32 v4, 0x7f, v3
	v_cmpx_ne_u32_e32 0x7f, v4
	s_cbranch_execz .LBB279_825
; %bb.822:                              ;   in Loop: Header=BB279_11 Depth=1
	v_and_b32_e32 v78, 7, v3
	v_lshrrev_b32_e32 v3, 3, v4
	s_mov_b32 s21, exec_lo
	v_cmpx_gt_u32_e32 8, v4
; %bb.823:                              ;   in Loop: Header=BB279_11 Depth=1
	s_delay_alu instid0(VALU_DEP_3) | instskip(NEXT) | instid1(VALU_DEP_1)
	v_clz_i32_u32_e32 v3, v78
	v_min_u32_e32 v3, 32, v3
	s_delay_alu instid0(VALU_DEP_1) | instskip(SKIP_1) | instid1(VALU_DEP_2)
	v_subrev_nc_u32_e32 v4, 28, v3
	v_sub_nc_u32_e32 v3, 29, v3
	v_lshlrev_b64 v[4:5], v4, v[78:79]
	s_delay_alu instid0(VALU_DEP_1)
	v_and_b32_e32 v78, 7, v4
; %bb.824:                              ;   in Loop: Header=BB279_11 Depth=1
	s_or_b32 exec_lo, exec_lo, s21
	v_lshlrev_b32_e32 v4, 16, v2
	s_delay_alu instid0(VALU_DEP_2) | instskip(SKIP_1) | instid1(VALU_DEP_3)
	v_dual_mov_b32 v168, v79 :: v_dual_lshlrev_b32 v5, 20, v78
	v_lshl_add_u32 v3, v3, 23, 0x3c000000
	v_and_b32_e32 v4, 0x80000000, v4
	s_delay_alu instid0(VALU_DEP_1)
	v_or3_b32 v169, v5, v4, v3
.LBB279_825:                            ;   in Loop: Header=BB279_11 Depth=1
	s_or_b32 exec_lo, exec_lo, s8
.LBB279_826:                            ;   in Loop: Header=BB279_11 Depth=1
	s_delay_alu instid0(SALU_CYCLE_1)
	s_or_b32 exec_lo, exec_lo, s20
.LBB279_827:                            ;   in Loop: Header=BB279_11 Depth=1
	s_delay_alu instid0(SALU_CYCLE_1) | instskip(SKIP_4) | instid1(VALU_DEP_1)
	s_or_b32 exec_lo, exec_lo, s19
	v_mov_b32_e32 v184, 0
	v_lshrrev_b32_e32 v3, 16, v2
	v_mov_b32_e32 v185, 0
	s_mov_b32 s8, exec_lo
	v_dual_mov_b32 v189, v185 :: v_dual_and_b32 v4, 0xff, v3
	v_mov_b32_e32 v188, v184
	s_delay_alu instid0(VALU_DEP_2)
	v_cmpx_ne_u16_e32 0, v4
	s_cbranch_execz .LBB279_835
; %bb.828:                              ;   in Loop: Header=BB279_11 Depth=1
	v_bfrev_b32_e32 v188, 1
	v_mov_b32_e32 v189, 0
	s_mov_b32 s19, exec_lo
	v_cmpx_ne_u16_e32 0x80, v4
	s_cbranch_execz .LBB279_834
; %bb.829:                              ;   in Loop: Header=BB279_11 Depth=1
	v_mov_b32_e32 v188, 0x7f800001
	v_bfe_u32 v5, v2, 16, 7
	v_mov_b32_e32 v189, 0
	s_mov_b32 s20, exec_lo
	s_delay_alu instid0(VALU_DEP_2)
	v_cmpx_ne_u32_e32 0x7f, v5
	s_cbranch_execz .LBB279_833
; %bb.830:                              ;   in Loop: Header=BB279_11 Depth=1
	v_and_b32_e32 v78, 7, v3
	v_lshrrev_b32_e32 v4, 3, v5
	s_mov_b32 s21, exec_lo
	v_cmpx_gt_u32_e32 8, v5
; %bb.831:                              ;   in Loop: Header=BB279_11 Depth=1
	s_delay_alu instid0(VALU_DEP_3) | instskip(NEXT) | instid1(VALU_DEP_1)
	v_clz_i32_u32_e32 v4, v78
	v_min_u32_e32 v4, 32, v4
	s_delay_alu instid0(VALU_DEP_1) | instskip(SKIP_1) | instid1(VALU_DEP_2)
	v_subrev_nc_u32_e32 v5, 28, v4
	v_sub_nc_u32_e32 v4, 29, v4
	v_lshlrev_b64 v[8:9], v5, v[78:79]
	s_delay_alu instid0(VALU_DEP_1)
	v_and_b32_e32 v78, 7, v8
; %bb.832:                              ;   in Loop: Header=BB279_11 Depth=1
	s_or_b32 exec_lo, exec_lo, s21
	v_lshlrev_b32_e32 v3, 24, v3
	s_delay_alu instid0(VALU_DEP_2) | instskip(SKIP_1) | instid1(VALU_DEP_3)
	v_lshlrev_b32_e32 v5, 20, v78
	v_lshl_add_u32 v4, v4, 23, 0x3c000000
	v_and_b32_e32 v3, 0x80000000, v3
	s_delay_alu instid0(VALU_DEP_1) | instskip(NEXT) | instid1(VALU_DEP_1)
	v_or3_b32 v78, v5, v3, v4
	v_dual_mov_b32 v189, v79 :: v_dual_mov_b32 v188, v78
.LBB279_833:                            ;   in Loop: Header=BB279_11 Depth=1
	s_or_b32 exec_lo, exec_lo, s20
.LBB279_834:                            ;   in Loop: Header=BB279_11 Depth=1
	s_delay_alu instid0(SALU_CYCLE_1)
	s_or_b32 exec_lo, exec_lo, s19
.LBB279_835:                            ;   in Loop: Header=BB279_11 Depth=1
	s_delay_alu instid0(SALU_CYCLE_1) | instskip(NEXT) | instid1(SALU_CYCLE_1)
	s_or_b32 exec_lo, exec_lo, s8
	s_mov_b32 s19, exec_lo
	v_cmpx_lt_u32_e32 0xffffff, v2
	s_cbranch_execz .LBB279_843
; %bb.836:                              ;   in Loop: Header=BB279_11 Depth=1
	v_lshrrev_b32_e32 v3, 24, v2
	v_dual_mov_b32 v185, s3 :: v_dual_mov_b32 v184, s2
	s_mov_b32 s20, exec_lo
	s_delay_alu instid0(VALU_DEP_2)
	v_cmpx_ne_u32_e32 0x80, v3
	s_cbranch_execz .LBB279_842
; %bb.837:                              ;   in Loop: Header=BB279_11 Depth=1
	s_mov_b32 s8, s2
	v_bfe_u32 v4, v2, 24, 7
	v_dual_mov_b32 v185, s9 :: v_dual_mov_b32 v184, s8
	s_mov_b32 s8, exec_lo
	s_delay_alu instid0(VALU_DEP_2)
	v_cmpx_ne_u32_e32 0x7f, v4
	s_cbranch_execz .LBB279_841
; %bb.838:                              ;   in Loop: Header=BB279_11 Depth=1
	v_and_b32_e32 v78, 7, v3
	v_lshrrev_b32_e32 v2, 3, v4
	s_mov_b32 s21, exec_lo
	v_cmpx_gt_u32_e32 8, v4
; %bb.839:                              ;   in Loop: Header=BB279_11 Depth=1
	s_delay_alu instid0(VALU_DEP_3) | instskip(NEXT) | instid1(VALU_DEP_1)
	v_clz_i32_u32_e32 v2, v78
	v_min_u32_e32 v2, 32, v2
	s_delay_alu instid0(VALU_DEP_1) | instskip(SKIP_1) | instid1(VALU_DEP_2)
	v_subrev_nc_u32_e32 v4, 28, v2
	v_sub_nc_u32_e32 v2, 29, v2
	v_lshlrev_b64 v[4:5], v4, v[78:79]
	s_delay_alu instid0(VALU_DEP_1)
	v_and_b32_e32 v78, 7, v4
; %bb.840:                              ;   in Loop: Header=BB279_11 Depth=1
	s_or_b32 exec_lo, exec_lo, s21
	v_dual_mov_b32 v184, v79 :: v_dual_lshlrev_b32 v3, 24, v3
	s_delay_alu instid0(VALU_DEP_2) | instskip(SKIP_1) | instid1(VALU_DEP_3)
	v_lshlrev_b32_e32 v4, 20, v78
	v_lshl_add_u32 v2, v2, 23, 0x3c000000
	v_and_b32_e32 v3, 0x80000000, v3
	s_delay_alu instid0(VALU_DEP_1)
	v_or3_b32 v185, v4, v3, v2
.LBB279_841:                            ;   in Loop: Header=BB279_11 Depth=1
	s_or_b32 exec_lo, exec_lo, s8
.LBB279_842:                            ;   in Loop: Header=BB279_11 Depth=1
	s_delay_alu instid0(SALU_CYCLE_1)
	s_or_b32 exec_lo, exec_lo, s20
.LBB279_843:                            ;   in Loop: Header=BB279_11 Depth=1
	s_delay_alu instid0(SALU_CYCLE_1) | instskip(SKIP_4) | instid1(VALU_DEP_1)
	s_or_b32 exec_lo, exec_lo, s19
	flat_load_b32 v4, v[136:137] offset:3080
	v_mov_b32_e32 v2, 0
	v_mov_b32_e32 v3, 0
	s_mov_b32 s8, exec_lo
	v_dual_mov_b32 v107, v3 :: v_dual_mov_b32 v106, v2
	s_waitcnt vmcnt(0) lgkmcnt(0)
	v_and_b32_e32 v5, 0xff, v4
	s_delay_alu instid0(VALU_DEP_1)
	v_cmpx_ne_u16_e32 0, v5
	s_cbranch_execz .LBB279_851
; %bb.844:                              ;   in Loop: Header=BB279_11 Depth=1
	v_bfrev_b32_e32 v106, 1
	v_mov_b32_e32 v107, 0
	s_mov_b32 s19, exec_lo
	v_cmpx_ne_u16_e32 0x80, v5
	s_cbranch_execz .LBB279_850
; %bb.845:                              ;   in Loop: Header=BB279_11 Depth=1
	v_mov_b32_e32 v106, 0x7f800001
	v_dual_mov_b32 v107, 0 :: v_dual_and_b32 v8, 0x7f, v4
	s_mov_b32 s20, exec_lo
	s_delay_alu instid0(VALU_DEP_1)
	v_cmpx_ne_u32_e32 0x7f, v8
	s_cbranch_execz .LBB279_849
; %bb.846:                              ;   in Loop: Header=BB279_11 Depth=1
	v_and_b32_e32 v78, 7, v4
	v_lshrrev_b32_e32 v5, 3, v8
	s_mov_b32 s21, exec_lo
	v_cmpx_gt_u32_e32 8, v8
; %bb.847:                              ;   in Loop: Header=BB279_11 Depth=1
	s_delay_alu instid0(VALU_DEP_3) | instskip(NEXT) | instid1(VALU_DEP_1)
	v_clz_i32_u32_e32 v5, v78
	v_min_u32_e32 v5, 32, v5
	s_delay_alu instid0(VALU_DEP_1) | instskip(SKIP_1) | instid1(VALU_DEP_2)
	v_subrev_nc_u32_e32 v8, 28, v5
	v_sub_nc_u32_e32 v5, 29, v5
	v_lshlrev_b64 v[8:9], v8, v[78:79]
	s_delay_alu instid0(VALU_DEP_1)
	v_and_b32_e32 v78, 7, v8
; %bb.848:                              ;   in Loop: Header=BB279_11 Depth=1
	s_or_b32 exec_lo, exec_lo, s21
	v_lshlrev_b32_e32 v8, 24, v4
	s_delay_alu instid0(VALU_DEP_2) | instskip(SKIP_1) | instid1(VALU_DEP_3)
	v_lshlrev_b32_e32 v9, 20, v78
	v_lshl_add_u32 v5, v5, 23, 0x3c000000
	v_and_b32_e32 v8, 0x80000000, v8
	s_delay_alu instid0(VALU_DEP_1) | instskip(NEXT) | instid1(VALU_DEP_1)
	v_or3_b32 v78, v9, v8, v5
	v_dual_mov_b32 v107, v79 :: v_dual_mov_b32 v106, v78
.LBB279_849:                            ;   in Loop: Header=BB279_11 Depth=1
	s_or_b32 exec_lo, exec_lo, s20
.LBB279_850:                            ;   in Loop: Header=BB279_11 Depth=1
	s_delay_alu instid0(SALU_CYCLE_1)
	s_or_b32 exec_lo, exec_lo, s19
.LBB279_851:                            ;   in Loop: Header=BB279_11 Depth=1
	s_delay_alu instid0(SALU_CYCLE_1) | instskip(SKIP_2) | instid1(VALU_DEP_1)
	s_or_b32 exec_lo, exec_lo, s8
	v_lshrrev_b16 v5, 8, v4
	s_mov_b32 s19, exec_lo
	v_cmpx_ne_u16_e32 0, v5
	s_cbranch_execz .LBB279_859
; %bb.852:                              ;   in Loop: Header=BB279_11 Depth=1
	v_dual_mov_b32 v2, s2 :: v_dual_mov_b32 v3, s3
	s_mov_b32 s20, exec_lo
	v_cmpx_ne_u16_e32 0x80, v5
	s_cbranch_execz .LBB279_858
; %bb.853:                              ;   in Loop: Header=BB279_11 Depth=1
	s_mov_b32 s8, s2
	v_and_b32_e32 v8, 0xffff, v5
	v_dual_mov_b32 v2, s8 :: v_dual_mov_b32 v3, s9
	s_mov_b32 s8, exec_lo
	s_delay_alu instid0(VALU_DEP_2) | instskip(NEXT) | instid1(VALU_DEP_1)
	v_and_b32_e32 v5, 0x7f, v8
	v_cmpx_ne_u32_e32 0x7f, v5
	s_cbranch_execz .LBB279_857
; %bb.854:                              ;   in Loop: Header=BB279_11 Depth=1
	v_and_b32_e32 v78, 7, v8
	v_lshrrev_b32_e32 v2, 3, v5
	s_mov_b32 s21, exec_lo
	v_cmpx_gt_u32_e32 8, v5
; %bb.855:                              ;   in Loop: Header=BB279_11 Depth=1
	s_delay_alu instid0(VALU_DEP_3) | instskip(NEXT) | instid1(VALU_DEP_1)
	v_clz_i32_u32_e32 v2, v78
	v_min_u32_e32 v2, 32, v2
	s_delay_alu instid0(VALU_DEP_1) | instskip(SKIP_1) | instid1(VALU_DEP_2)
	v_subrev_nc_u32_e32 v3, 28, v2
	v_sub_nc_u32_e32 v2, 29, v2
	v_lshlrev_b64 v[8:9], v3, v[78:79]
	s_delay_alu instid0(VALU_DEP_1)
	v_and_b32_e32 v78, 7, v8
; %bb.856:                              ;   in Loop: Header=BB279_11 Depth=1
	s_or_b32 exec_lo, exec_lo, s21
	v_lshlrev_b32_e32 v3, 16, v4
	s_delay_alu instid0(VALU_DEP_2) | instskip(SKIP_1) | instid1(VALU_DEP_3)
	v_lshlrev_b32_e32 v5, 20, v78
	v_lshl_add_u32 v2, v2, 23, 0x3c000000
	v_and_b32_e32 v3, 0x80000000, v3
	s_delay_alu instid0(VALU_DEP_1)
	v_or3_b32 v3, v5, v3, v2
	v_mov_b32_e32 v2, v79
.LBB279_857:                            ;   in Loop: Header=BB279_11 Depth=1
	s_or_b32 exec_lo, exec_lo, s8
.LBB279_858:                            ;   in Loop: Header=BB279_11 Depth=1
	s_delay_alu instid0(SALU_CYCLE_1)
	s_or_b32 exec_lo, exec_lo, s20
.LBB279_859:                            ;   in Loop: Header=BB279_11 Depth=1
	s_delay_alu instid0(SALU_CYCLE_1) | instskip(SKIP_4) | instid1(VALU_DEP_1)
	s_or_b32 exec_lo, exec_lo, s19
	v_mov_b32_e32 v88, 0
	v_lshrrev_b32_e32 v5, 16, v4
	v_mov_b32_e32 v89, 0
	s_mov_b32 s8, exec_lo
	v_dual_mov_b32 v111, v89 :: v_dual_and_b32 v8, 0xff, v5
	v_mov_b32_e32 v110, v88
	s_delay_alu instid0(VALU_DEP_2)
	v_cmpx_ne_u16_e32 0, v8
	s_cbranch_execz .LBB279_867
; %bb.860:                              ;   in Loop: Header=BB279_11 Depth=1
	v_bfrev_b32_e32 v110, 1
	v_mov_b32_e32 v111, 0
	s_mov_b32 s19, exec_lo
	v_cmpx_ne_u16_e32 0x80, v8
	s_cbranch_execz .LBB279_866
; %bb.861:                              ;   in Loop: Header=BB279_11 Depth=1
	v_mov_b32_e32 v110, 0x7f800001
	v_bfe_u32 v9, v4, 16, 7
	v_mov_b32_e32 v111, 0
	s_mov_b32 s20, exec_lo
	s_delay_alu instid0(VALU_DEP_2)
	v_cmpx_ne_u32_e32 0x7f, v9
	s_cbranch_execz .LBB279_865
; %bb.862:                              ;   in Loop: Header=BB279_11 Depth=1
	v_and_b32_e32 v78, 7, v5
	v_lshrrev_b32_e32 v8, 3, v9
	s_mov_b32 s21, exec_lo
	v_cmpx_gt_u32_e32 8, v9
; %bb.863:                              ;   in Loop: Header=BB279_11 Depth=1
	s_delay_alu instid0(VALU_DEP_3) | instskip(NEXT) | instid1(VALU_DEP_1)
	v_clz_i32_u32_e32 v8, v78
	v_min_u32_e32 v8, 32, v8
	s_delay_alu instid0(VALU_DEP_1) | instskip(SKIP_1) | instid1(VALU_DEP_2)
	v_subrev_nc_u32_e32 v9, 28, v8
	v_sub_nc_u32_e32 v8, 29, v8
	v_lshlrev_b64 v[76:77], v9, v[78:79]
	s_delay_alu instid0(VALU_DEP_1)
	v_and_b32_e32 v78, 7, v76
; %bb.864:                              ;   in Loop: Header=BB279_11 Depth=1
	s_or_b32 exec_lo, exec_lo, s21
	v_lshlrev_b32_e32 v5, 24, v5
	s_delay_alu instid0(VALU_DEP_2) | instskip(SKIP_1) | instid1(VALU_DEP_3)
	v_lshlrev_b32_e32 v9, 20, v78
	v_lshl_add_u32 v8, v8, 23, 0x3c000000
	v_and_b32_e32 v5, 0x80000000, v5
	s_delay_alu instid0(VALU_DEP_1) | instskip(NEXT) | instid1(VALU_DEP_1)
	v_or3_b32 v78, v9, v5, v8
	v_dual_mov_b32 v111, v79 :: v_dual_mov_b32 v110, v78
.LBB279_865:                            ;   in Loop: Header=BB279_11 Depth=1
	s_or_b32 exec_lo, exec_lo, s20
.LBB279_866:                            ;   in Loop: Header=BB279_11 Depth=1
	s_delay_alu instid0(SALU_CYCLE_1)
	s_or_b32 exec_lo, exec_lo, s19
.LBB279_867:                            ;   in Loop: Header=BB279_11 Depth=1
	s_delay_alu instid0(SALU_CYCLE_1) | instskip(NEXT) | instid1(SALU_CYCLE_1)
	s_or_b32 exec_lo, exec_lo, s8
	s_mov_b32 s19, exec_lo
	v_cmpx_lt_u32_e32 0xffffff, v4
	s_cbranch_execz .LBB279_875
; %bb.868:                              ;   in Loop: Header=BB279_11 Depth=1
	v_lshrrev_b32_e32 v5, 24, v4
	v_dual_mov_b32 v89, s3 :: v_dual_mov_b32 v88, s2
	s_mov_b32 s20, exec_lo
	s_delay_alu instid0(VALU_DEP_2)
	v_cmpx_ne_u32_e32 0x80, v5
	s_cbranch_execz .LBB279_874
; %bb.869:                              ;   in Loop: Header=BB279_11 Depth=1
	s_mov_b32 s8, s2
	v_bfe_u32 v8, v4, 24, 7
	v_dual_mov_b32 v89, s9 :: v_dual_mov_b32 v88, s8
	s_mov_b32 s8, exec_lo
	s_delay_alu instid0(VALU_DEP_2)
	v_cmpx_ne_u32_e32 0x7f, v8
	s_cbranch_execz .LBB279_873
; %bb.870:                              ;   in Loop: Header=BB279_11 Depth=1
	v_and_b32_e32 v78, 7, v5
	v_lshrrev_b32_e32 v4, 3, v8
	s_mov_b32 s21, exec_lo
	v_cmpx_gt_u32_e32 8, v8
; %bb.871:                              ;   in Loop: Header=BB279_11 Depth=1
	s_delay_alu instid0(VALU_DEP_3) | instskip(NEXT) | instid1(VALU_DEP_1)
	v_clz_i32_u32_e32 v4, v78
	v_min_u32_e32 v4, 32, v4
	s_delay_alu instid0(VALU_DEP_1) | instskip(SKIP_1) | instid1(VALU_DEP_2)
	v_subrev_nc_u32_e32 v8, 28, v4
	v_sub_nc_u32_e32 v4, 29, v4
	v_lshlrev_b64 v[8:9], v8, v[78:79]
	s_delay_alu instid0(VALU_DEP_1)
	v_and_b32_e32 v78, 7, v8
; %bb.872:                              ;   in Loop: Header=BB279_11 Depth=1
	s_or_b32 exec_lo, exec_lo, s21
	v_dual_mov_b32 v88, v79 :: v_dual_lshlrev_b32 v5, 24, v5
	s_delay_alu instid0(VALU_DEP_2) | instskip(SKIP_1) | instid1(VALU_DEP_3)
	v_lshlrev_b32_e32 v8, 20, v78
	v_lshl_add_u32 v4, v4, 23, 0x3c000000
	v_and_b32_e32 v5, 0x80000000, v5
	s_delay_alu instid0(VALU_DEP_1)
	v_or3_b32 v89, v8, v5, v4
.LBB279_873:                            ;   in Loop: Header=BB279_11 Depth=1
	s_or_b32 exec_lo, exec_lo, s8
.LBB279_874:                            ;   in Loop: Header=BB279_11 Depth=1
	s_delay_alu instid0(SALU_CYCLE_1)
	s_or_b32 exec_lo, exec_lo, s20
.LBB279_875:                            ;   in Loop: Header=BB279_11 Depth=1
	s_delay_alu instid0(SALU_CYCLE_1)
	s_or_b32 exec_lo, exec_lo, s19
	flat_load_b32 v127, v[136:137] offset:3084
	v_mov_b32_e32 v136, 0
	v_mov_b32_e32 v137, 0
	s_mov_b32 s8, exec_lo
	s_waitcnt vmcnt(0) lgkmcnt(0)
	v_and_b32_e32 v4, 0xff, v127
	s_delay_alu instid0(VALU_DEP_2) | instskip(NEXT) | instid1(VALU_DEP_2)
	v_dual_mov_b32 v76, v136 :: v_dual_mov_b32 v77, v137
	v_cmpx_ne_u16_e32 0, v4
	s_cbranch_execz .LBB279_883
; %bb.876:                              ;   in Loop: Header=BB279_11 Depth=1
	v_bfrev_b32_e32 v76, 1
	v_mov_b32_e32 v77, 0
	s_mov_b32 s19, exec_lo
	v_cmpx_ne_u16_e32 0x80, v4
	s_cbranch_execz .LBB279_882
; %bb.877:                              ;   in Loop: Header=BB279_11 Depth=1
	v_mov_b32_e32 v76, 0x7f800001
	v_and_b32_e32 v5, 0x7f, v127
	v_mov_b32_e32 v77, 0
	s_mov_b32 s20, exec_lo
	s_delay_alu instid0(VALU_DEP_2)
	v_cmpx_ne_u32_e32 0x7f, v5
	s_cbranch_execz .LBB279_881
; %bb.878:                              ;   in Loop: Header=BB279_11 Depth=1
	v_and_b32_e32 v78, 7, v127
	v_lshrrev_b32_e32 v4, 3, v5
	s_mov_b32 s21, exec_lo
	v_cmpx_gt_u32_e32 8, v5
; %bb.879:                              ;   in Loop: Header=BB279_11 Depth=1
	s_delay_alu instid0(VALU_DEP_3) | instskip(NEXT) | instid1(VALU_DEP_1)
	v_clz_i32_u32_e32 v4, v78
	v_min_u32_e32 v4, 32, v4
	s_delay_alu instid0(VALU_DEP_1) | instskip(SKIP_1) | instid1(VALU_DEP_2)
	v_subrev_nc_u32_e32 v5, 28, v4
	v_sub_nc_u32_e32 v4, 29, v4
	v_lshlrev_b64 v[8:9], v5, v[78:79]
	s_delay_alu instid0(VALU_DEP_1)
	v_and_b32_e32 v78, 7, v8
; %bb.880:                              ;   in Loop: Header=BB279_11 Depth=1
	s_or_b32 exec_lo, exec_lo, s21
	v_lshlrev_b32_e32 v5, 24, v127
	s_delay_alu instid0(VALU_DEP_2) | instskip(SKIP_1) | instid1(VALU_DEP_3)
	v_lshlrev_b32_e32 v8, 20, v78
	v_lshl_add_u32 v4, v4, 23, 0x3c000000
	v_and_b32_e32 v5, 0x80000000, v5
	s_delay_alu instid0(VALU_DEP_1) | instskip(NEXT) | instid1(VALU_DEP_1)
	v_or3_b32 v78, v8, v5, v4
	v_dual_mov_b32 v76, v78 :: v_dual_mov_b32 v77, v79
.LBB279_881:                            ;   in Loop: Header=BB279_11 Depth=1
	s_or_b32 exec_lo, exec_lo, s20
.LBB279_882:                            ;   in Loop: Header=BB279_11 Depth=1
	s_delay_alu instid0(SALU_CYCLE_1)
	s_or_b32 exec_lo, exec_lo, s19
.LBB279_883:                            ;   in Loop: Header=BB279_11 Depth=1
	s_delay_alu instid0(SALU_CYCLE_1) | instskip(SKIP_2) | instid1(VALU_DEP_1)
	s_or_b32 exec_lo, exec_lo, s8
	v_lshrrev_b16 v4, 8, v127
	s_mov_b32 s19, exec_lo
	v_cmpx_ne_u16_e32 0, v4
	s_cbranch_execz .LBB279_891
; %bb.884:                              ;   in Loop: Header=BB279_11 Depth=1
	v_dual_mov_b32 v137, s3 :: v_dual_mov_b32 v136, s2
	s_mov_b32 s20, exec_lo
	v_cmpx_ne_u16_e32 0x80, v4
	s_cbranch_execz .LBB279_890
; %bb.885:                              ;   in Loop: Header=BB279_11 Depth=1
	s_mov_b32 s8, s2
	v_dual_mov_b32 v137, s9 :: v_dual_and_b32 v4, 0xffff, v4
	v_mov_b32_e32 v136, s8
	s_mov_b32 s8, exec_lo
	s_delay_alu instid0(VALU_DEP_2) | instskip(NEXT) | instid1(VALU_DEP_1)
	v_and_b32_e32 v5, 0x7f, v4
	v_cmpx_ne_u32_e32 0x7f, v5
	s_cbranch_execz .LBB279_889
; %bb.886:                              ;   in Loop: Header=BB279_11 Depth=1
	v_and_b32_e32 v78, 7, v4
	v_lshrrev_b32_e32 v4, 3, v5
	s_mov_b32 s21, exec_lo
	v_cmpx_gt_u32_e32 8, v5
; %bb.887:                              ;   in Loop: Header=BB279_11 Depth=1
	s_delay_alu instid0(VALU_DEP_3) | instskip(NEXT) | instid1(VALU_DEP_1)
	v_clz_i32_u32_e32 v4, v78
	v_min_u32_e32 v4, 32, v4
	s_delay_alu instid0(VALU_DEP_1) | instskip(SKIP_1) | instid1(VALU_DEP_2)
	v_subrev_nc_u32_e32 v5, 28, v4
	v_sub_nc_u32_e32 v4, 29, v4
	v_lshlrev_b64 v[8:9], v5, v[78:79]
	s_delay_alu instid0(VALU_DEP_1)
	v_and_b32_e32 v78, 7, v8
; %bb.888:                              ;   in Loop: Header=BB279_11 Depth=1
	s_or_b32 exec_lo, exec_lo, s21
	v_dual_mov_b32 v136, v79 :: v_dual_lshlrev_b32 v5, 16, v127
	s_delay_alu instid0(VALU_DEP_2) | instskip(SKIP_1) | instid1(VALU_DEP_3)
	v_lshlrev_b32_e32 v8, 20, v78
	v_lshl_add_u32 v4, v4, 23, 0x3c000000
	v_and_b32_e32 v5, 0x80000000, v5
	s_delay_alu instid0(VALU_DEP_1)
	v_or3_b32 v137, v8, v5, v4
.LBB279_889:                            ;   in Loop: Header=BB279_11 Depth=1
	s_or_b32 exec_lo, exec_lo, s8
.LBB279_890:                            ;   in Loop: Header=BB279_11 Depth=1
	s_delay_alu instid0(SALU_CYCLE_1)
	s_or_b32 exec_lo, exec_lo, s20
.LBB279_891:                            ;   in Loop: Header=BB279_11 Depth=1
	s_delay_alu instid0(SALU_CYCLE_1) | instskip(SKIP_4) | instid1(VALU_DEP_3)
	s_or_b32 exec_lo, exec_lo, s19
	v_lshrrev_b32_e32 v8, 16, v127
	v_mov_b32_e32 v4, 0
	v_mov_b32_e32 v5, 0
	s_mov_b32 s8, exec_lo
	v_and_b32_e32 v9, 0xff, v8
	s_delay_alu instid0(VALU_DEP_2) | instskip(NEXT) | instid1(VALU_DEP_2)
	v_dual_mov_b32 v95, v5 :: v_dual_mov_b32 v94, v4
	v_cmpx_ne_u16_e32 0, v9
	s_cbranch_execz .LBB279_899
; %bb.892:                              ;   in Loop: Header=BB279_11 Depth=1
	v_bfrev_b32_e32 v94, 1
	v_mov_b32_e32 v95, 0
	s_mov_b32 s19, exec_lo
	v_cmpx_ne_u16_e32 0x80, v9
	s_cbranch_execz .LBB279_898
; %bb.893:                              ;   in Loop: Header=BB279_11 Depth=1
	v_mov_b32_e32 v94, 0x7f800001
	v_bfe_u32 v140, v127, 16, 7
	v_mov_b32_e32 v95, 0
	s_mov_b32 s20, exec_lo
	s_delay_alu instid0(VALU_DEP_2)
	v_cmpx_ne_u32_e32 0x7f, v140
	s_cbranch_execz .LBB279_897
; %bb.894:                              ;   in Loop: Header=BB279_11 Depth=1
	v_and_b32_e32 v78, 7, v8
	v_lshrrev_b32_e32 v9, 3, v140
	s_mov_b32 s21, exec_lo
	v_cmpx_gt_u32_e32 8, v140
; %bb.895:                              ;   in Loop: Header=BB279_11 Depth=1
	s_delay_alu instid0(VALU_DEP_3) | instskip(NEXT) | instid1(VALU_DEP_1)
	v_clz_i32_u32_e32 v9, v78
	v_min_u32_e32 v9, 32, v9
	s_delay_alu instid0(VALU_DEP_1) | instskip(SKIP_1) | instid1(VALU_DEP_2)
	v_subrev_nc_u32_e32 v94, 28, v9
	v_sub_nc_u32_e32 v9, 29, v9
	v_lshlrev_b64 v[94:95], v94, v[78:79]
	s_delay_alu instid0(VALU_DEP_1)
	v_and_b32_e32 v78, 7, v94
; %bb.896:                              ;   in Loop: Header=BB279_11 Depth=1
	s_or_b32 exec_lo, exec_lo, s21
	v_lshlrev_b32_e32 v8, 24, v8
	s_delay_alu instid0(VALU_DEP_2) | instskip(SKIP_1) | instid1(VALU_DEP_3)
	v_lshlrev_b32_e32 v78, 20, v78
	v_lshl_add_u32 v9, v9, 23, 0x3c000000
	v_and_b32_e32 v8, 0x80000000, v8
	s_delay_alu instid0(VALU_DEP_1) | instskip(NEXT) | instid1(VALU_DEP_1)
	v_or3_b32 v78, v78, v8, v9
	v_dual_mov_b32 v95, v79 :: v_dual_mov_b32 v94, v78
.LBB279_897:                            ;   in Loop: Header=BB279_11 Depth=1
	s_or_b32 exec_lo, exec_lo, s20
	v_sub_nc_u32_e32 v140, 1, v122
.LBB279_898:                            ;   in Loop: Header=BB279_11 Depth=1
	s_or_b32 exec_lo, exec_lo, s19
.LBB279_899:                            ;   in Loop: Header=BB279_11 Depth=1
	s_delay_alu instid0(SALU_CYCLE_1) | instskip(NEXT) | instid1(SALU_CYCLE_1)
	s_or_b32 exec_lo, exec_lo, s8
	s_mov_b32 s19, exec_lo
	v_cmpx_lt_u32_e32 0xffffff, v127
	s_cbranch_execz .LBB279_10
; %bb.900:                              ;   in Loop: Header=BB279_11 Depth=1
	v_lshrrev_b32_e32 v8, 24, v127
	v_dual_mov_b32 v5, s3 :: v_dual_mov_b32 v4, s2
	s_mov_b32 s20, exec_lo
	s_delay_alu instid0(VALU_DEP_2)
	v_cmpx_ne_u32_e32 0x80, v8
	s_cbranch_execz .LBB279_9
; %bb.901:                              ;   in Loop: Header=BB279_11 Depth=1
	s_mov_b32 s8, s2
	v_bfe_u32 v9, v127, 24, 7
	v_dual_mov_b32 v4, s8 :: v_dual_mov_b32 v5, s9
	s_mov_b32 s8, exec_lo
	s_delay_alu instid0(VALU_DEP_2)
	v_cmpx_ne_u32_e32 0x7f, v9
	s_cbranch_execz .LBB279_8
; %bb.902:                              ;   in Loop: Header=BB279_11 Depth=1
	v_and_b32_e32 v78, 7, v8
	v_lshrrev_b32_e32 v4, 3, v9
	s_mov_b32 s21, exec_lo
	v_cmpx_gt_u32_e32 8, v9
	s_cbranch_execz .LBB279_7
; %bb.903:                              ;   in Loop: Header=BB279_11 Depth=1
	v_clz_i32_u32_e32 v4, v78
	v_mov_b32_e32 v9, v141
	s_delay_alu instid0(VALU_DEP_2) | instskip(NEXT) | instid1(VALU_DEP_1)
	v_min_u32_e32 v4, 32, v4
	v_subrev_nc_u32_e32 v5, 28, v4
	v_sub_nc_u32_e32 v4, 29, v4
	s_delay_alu instid0(VALU_DEP_2) | instskip(NEXT) | instid1(VALU_DEP_1)
	v_lshlrev_b64 v[140:141], v5, v[78:79]
	v_dual_mov_b32 v141, v9 :: v_dual_and_b32 v78, 7, v140
	v_sub_nc_u32_e32 v140, 1, v122
	s_branch .LBB279_7
.LBB279_904:
	s_or_b32 exec_lo, exec_lo, s7
	s_clause 0xe
	scratch_load_b32 v12, off, s32 offset:992
	scratch_load_b32 v15, off, s32 offset:1012
	;; [unrolled: 1-line block ×3, first 2 shown]
	scratch_load_b64 v[26:27], off, s32 offset:1020
	scratch_load_b32 v11, off, s32 offset:1028
	scratch_load_b32 v10, off, s32 offset:1032
	;; [unrolled: 1-line block ×6, first 2 shown]
	scratch_load_b64 v[16:17], off, s32 offset:1052
	scratch_load_b32 v18, off, s32 offset:1060
	scratch_load_b32 v19, off, s32 offset:1064
	;; [unrolled: 1-line block ×4, first 2 shown]
.LBB279_905:
	s_or_b32 exec_lo, exec_lo, s18
	v_mbcnt_lo_u32_b32 v0, -1, 0
	s_lshr_b32 s8, s17, 16
	v_max_f32_e32 v4, v123, v123
	s_delay_alu instid0(VALU_DEP_2) | instskip(SKIP_2) | instid1(VALU_DEP_3)
	v_xor_b32_e32 v1, 16, v0
	v_xor_b32_e32 v3, 8, v0
	v_xor_b32_e32 v5, 4, v0
	v_cmp_gt_i32_e32 vcc_lo, 32, v1
	v_cndmask_b32_e32 v1, v0, v1, vcc_lo
	s_delay_alu instid0(VALU_DEP_4) | instskip(NEXT) | instid1(VALU_DEP_2)
	v_cmp_gt_i32_e32 vcc_lo, 32, v3
	v_dual_cndmask_b32 v3, v0, v3 :: v_dual_lshlrev_b32 v2, 2, v1
	v_cmp_gt_i32_e32 vcc_lo, 32, v5
	ds_bpermute_b32 v1, v2, v123
	v_lshlrev_b32_e32 v3, 2, v3
	v_cndmask_b32_e32 v5, v0, v5, vcc_lo
	s_waitcnt lgkmcnt(0)
	v_max_f32_e32 v1, v1, v1
	s_delay_alu instid0(VALU_DEP_1)
	v_max_f32_e32 v1, v4, v1
	ds_bpermute_b32 v4, v3, v1
	s_waitcnt lgkmcnt(0)
	v_max_f32_e32 v4, v4, v4
	v_lshlrev_b32_e32 v22, 2, v5
	v_xor_b32_e32 v5, 2, v0
	s_delay_alu instid0(VALU_DEP_3) | instskip(NEXT) | instid1(VALU_DEP_2)
	v_max_f32_e32 v1, v1, v4
	v_cmp_gt_i32_e32 vcc_lo, 32, v5
	ds_bpermute_b32 v4, v22, v1
	v_cndmask_b32_e32 v5, v0, v5, vcc_lo
	s_delay_alu instid0(VALU_DEP_1) | instskip(SKIP_1) | instid1(VALU_DEP_1)
	v_lshlrev_b32_e32 v21, 2, v5
	v_xor_b32_e32 v5, 1, v0
	v_cmp_gt_i32_e32 vcc_lo, 32, v5
	v_cndmask_b32_e32 v5, v0, v5, vcc_lo
	s_waitcnt lgkmcnt(0)
	v_max_f32_e32 v4, v4, v4
	s_delay_alu instid0(VALU_DEP_1) | instskip(SKIP_3) | instid1(VALU_DEP_1)
	v_dual_max_f32 v1, v1, v4 :: v_dual_lshlrev_b32 v20, 2, v5
	ds_bpermute_b32 v4, v21, v1
	s_waitcnt lgkmcnt(0)
	v_max_f32_e32 v4, v4, v4
	v_max_f32_e32 v0, v1, v4
	scratch_load_b32 v4, off, s32 offset:996 ; 4-byte Folded Reload
	ds_bpermute_b32 v1, v20, v0
	s_waitcnt vmcnt(0)
	v_cmp_eq_u32_e32 vcc_lo, 0, v4
	scratch_load_b32 v4, off, s32 offset:1000 ; 4-byte Folded Reload
	s_waitcnt vmcnt(0)
	v_lshlrev_b32_e32 v4, 2, v4
	s_and_saveexec_b32 s1, vcc_lo
	s_cbranch_execz .LBB279_907
; %bb.906:
	s_waitcnt lgkmcnt(0)
	v_dual_max_f32 v1, v1, v1 :: v_dual_max_f32 v0, v0, v0
	s_delay_alu instid0(VALU_DEP_1)
	v_max_f32_e32 v0, v0, v1
	ds_store_b32 v4, v0 offset:448
.LBB279_907:
	s_or_b32 exec_lo, exec_lo, s1
	scratch_load_b32 v0, off, s32 offset:996 ; 4-byte Folded Reload
	s_waitcnt vmcnt(0) lgkmcnt(0)
	s_waitcnt_vscnt null, 0x0
	s_barrier
	buffer_gl0_inv
	v_cmp_gt_u32_e64 s1, 4, v0
	v_mov_b32_e32 v0, 0xff7fffff
	s_delay_alu instid0(VALU_DEP_2)
	s_and_saveexec_b32 s2, s1
	s_cbranch_execz .LBB279_909
; %bb.908:
	ds_load_b32 v0, v23 offset:448
.LBB279_909:
	s_or_b32 exec_lo, exec_lo, s2
	scratch_load_b32 v5, off, s32 offset:524 ; 4-byte Folded Reload
	s_waitcnt lgkmcnt(0)
	ds_bpermute_b32 v1, v21, v0
	s_waitcnt lgkmcnt(0)
	v_dual_max_f32 v0, v0, v0 :: v_dual_max_f32 v1, v1, v1
	s_delay_alu instid0(VALU_DEP_1)
	v_max_f32_e32 v0, v0, v1
	s_waitcnt vmcnt(0)
	v_subrev_nc_u32_e32 v6, s13, v5
	v_mov_b32_e32 v5, 0
	ds_bpermute_b32 v1, v20, v0
	s_waitcnt lgkmcnt(0)
	v_max_f32_e32 v1, v1, v1
	s_delay_alu instid0(VALU_DEP_1) | instskip(SKIP_3) | instid1(VALU_DEP_1)
	v_max_f32_e32 v0, v0, v1
	v_lshl_add_u32 v1, v6, 5, s11
	ds_bpermute_b32 v0, v5, v0
	v_min_i32_e32 v1, v1, v122
	v_subrev_nc_u32_e32 v1, s11, v1
	s_delay_alu instid0(VALU_DEP_1) | instskip(NEXT) | instid1(VALU_DEP_1)
	v_cmp_lt_i32_e64 s2, v12, v1
	s_and_saveexec_b32 s9, s2
	s_cbranch_execz .LBB279_913
; %bb.910:
	s_getpc_b64 s[18:19]
	s_add_u32 s18, s18, llvm.amdgcn.dynlds.offset.table@rel32@lo+4
	s_addc_u32 s19, s19, llvm.amdgcn.dynlds.offset.table@rel32@hi+12
	s_ashr_i32 s7, s6, 31
	v_mov_b32_e32 v5, 0
	s_lshl_b64 s[20:21], s[6:7], 2
	v_mov_b32_e32 v7, v12
	s_add_u32 s18, s20, s18
	s_addc_u32 s19, s21, s19
	s_mov_b32 s7, 0
	s_load_b32 s3, s[18:19], 0x0
	s_waitcnt lgkmcnt(0)
	v_lshl_add_u32 v6, v12, 2, s3
	.p2align	6
.LBB279_911:                            ; =>This Inner Loop Header: Depth=1
	ds_load_b32 v8, v6
	v_add_nc_u32_e32 v7, 0x80, v7
	s_delay_alu instid0(VALU_DEP_1) | instskip(NEXT) | instid1(VALU_DEP_1)
	v_cmp_ge_i32_e64 s3, v7, v1
	s_or_b32 s7, s3, s7
	s_waitcnt lgkmcnt(0)
	v_sub_f32_e32 v8, v8, v0
	s_delay_alu instid0(VALU_DEP_1) | instskip(NEXT) | instid1(VALU_DEP_1)
	v_mul_f32_e32 v8, 0x3fb8aa3b, v8
	v_exp_f32_e32 v8, v8
	ds_store_b32 v6, v8
	v_dual_add_f32 v5, v5, v8 :: v_dual_add_nc_u32 v6, 0x200, v6
	s_and_not1_b32 exec_lo, exec_lo, s7
	s_cbranch_execnz .LBB279_911
; %bb.912:
	s_or_b32 exec_lo, exec_lo, s7
.LBB279_913:
	s_delay_alu instid0(SALU_CYCLE_1)
	s_or_b32 exec_lo, exec_lo, s9
	ds_bpermute_b32 v2, v2, v5
	s_waitcnt lgkmcnt(0)
	v_add_f32_e32 v2, v5, v2
	ds_bpermute_b32 v3, v3, v2
	s_waitcnt lgkmcnt(0)
	v_add_f32_e32 v2, v2, v3
	;; [unrolled: 3-line block ×5, first 2 shown]
	s_and_saveexec_b32 s3, vcc_lo
	s_cbranch_execz .LBB279_915
; %bb.914:
	ds_store_b32 v4, v2 offset:464
.LBB279_915:
	s_or_b32 exec_lo, exec_lo, s3
	s_waitcnt lgkmcnt(0)
	s_barrier
	buffer_gl0_inv
	s_and_saveexec_b32 s3, s1
	s_cbranch_execz .LBB279_917
; %bb.916:
	ds_load_b32 v2, v23 offset:464
.LBB279_917:
	s_or_b32 exec_lo, exec_lo, s3
	s_waitcnt lgkmcnt(0)
	ds_bpermute_b32 v3, v21, v2
	s_waitcnt lgkmcnt(0)
	v_add_f32_e32 v2, v2, v3
	ds_bpermute_b32 v3, v20, v2
	s_waitcnt lgkmcnt(0)
	v_dual_add_f32 v2, v2, v3 :: v_dual_mov_b32 v3, 0
	ds_bpermute_b32 v2, v3, v2
	s_and_saveexec_b32 s1, s2
	s_cbranch_execz .LBB279_920
; %bb.918:
	s_waitcnt lgkmcnt(0)
	v_add_f32_e32 v4, 0x358637bd, v2
	s_getpc_b64 s[2:3]
	s_add_u32 s2, s2, llvm.amdgcn.dynlds.offset.table@rel32@lo+4
	s_addc_u32 s3, s3, llvm.amdgcn.dynlds.offset.table@rel32@hi+12
	s_ashr_i32 s7, s6, 31
	s_delay_alu instid0(SALU_CYCLE_1) | instskip(SKIP_4) | instid1(VALU_DEP_1)
	s_lshl_b64 s[18:19], s[6:7], 2
	v_div_scale_f32 v3, null, v4, v4, 1.0
	s_add_u32 s2, s18, s2
	s_addc_u32 s3, s19, s3
	s_load_b32 s2, s[2:3], 0x0
	v_rcp_f32_e32 v5, v3
	s_waitcnt_depctr 0xfff
	v_fma_f32 v6, -v3, v5, 1.0
	s_delay_alu instid0(VALU_DEP_1) | instskip(SKIP_1) | instid1(VALU_DEP_1)
	v_fmac_f32_e32 v5, v6, v5
	v_div_scale_f32 v7, vcc_lo, 1.0, v4, 1.0
	v_mul_f32_e32 v6, v7, v5
	s_delay_alu instid0(VALU_DEP_1) | instskip(NEXT) | instid1(VALU_DEP_1)
	v_fma_f32 v8, -v3, v6, v7
	v_fmac_f32_e32 v6, v8, v5
	s_delay_alu instid0(VALU_DEP_1) | instskip(NEXT) | instid1(VALU_DEP_1)
	v_fma_f32 v3, -v3, v6, v7
	v_div_fmas_f32 v5, v3, v5, v6
	s_waitcnt lgkmcnt(0)
	v_lshl_add_u32 v3, v12, 2, s2
	s_mov_b32 s2, 0
	s_delay_alu instid0(VALU_DEP_2)
	v_div_fixup_f32 v4, v5, v4, 1.0
	v_mov_b32_e32 v5, v12
.LBB279_919:                            ; =>This Inner Loop Header: Depth=1
	ds_load_b32 v6, v3
	s_waitcnt lgkmcnt(0)
	v_dual_mul_f32 v6, v4, v6 :: v_dual_add_nc_u32 v5, 0x80, v5
	s_delay_alu instid0(VALU_DEP_1) | instskip(SKIP_3) | instid1(SALU_CYCLE_1)
	v_cmp_ge_i32_e32 vcc_lo, v5, v1
	ds_store_b32 v3, v6
	v_add_nc_u32_e32 v3, 0x200, v3
	s_or_b32 s2, vcc_lo, s2
	s_and_not1_b32 exec_lo, exec_lo, s2
	s_cbranch_execnz .LBB279_919
.LBB279_920:
	s_or_b32 exec_lo, exec_lo, s1
	v_cmp_ne_u16_e64 s1, s8, 0
	s_waitcnt lgkmcnt(0)
	s_barrier
	buffer_gl0_inv
	s_cmp_lg_u32 s1, 0
	s_addc_u32 s1, s5, 0
	s_mov_b32 s5, exec_lo
	s_mul_i32 s2, s1, s10
	s_delay_alu instid0(SALU_CYCLE_1)
	s_mul_i32 s2, s2, s15
	v_cmpx_eq_u32_e32 0, v12
	s_cbranch_execz .LBB279_922
; %bb.921:
	s_mul_i32 s8, s1, s12
	s_ashr_i32 s15, s14, 31
	s_ashr_i32 s9, s8, 31
	;; [unrolled: 1-line block ×3, first 2 shown]
	s_lshl_b64 s[8:9], s[8:9], 2
	s_lshl_b64 s[12:13], s[14:15], 2
	;; [unrolled: 1-line block ×3, first 2 shown]
	s_add_u32 s3, s12, s8
	s_addc_u32 s7, s13, s9
	s_add_u32 s3, s3, s18
	s_addc_u32 s7, s7, s19
	v_add_co_u32 v3, vcc_lo, s3, v29
	v_add_co_ci_u32_e32 v4, vcc_lo, s7, v28, vcc_lo
	v_add_co_u32 v5, vcc_lo, s3, v32
	v_add_co_ci_u32_e32 v6, vcc_lo, s7, v30, vcc_lo
	flat_store_b32 v[3:4], v0
	flat_store_b32 v[5:6], v2
.LBB279_922:
	s_or_b32 exec_lo, exec_lo, s5
                                        ; implicit-def: $sgpr5
	s_and_saveexec_b32 s3, s0
	s_delay_alu instid0(SALU_CYCLE_1)
	s_xor_b32 s0, exec_lo, s3
	s_cbranch_execz .LBB279_924
; %bb.923:
	s_ashr_i32 s7, s6, 31
	s_mov_b32 s5, 0
                                        ; implicit-def: $vgpr0
                                        ; kill: killed $vgpr0
                                        ; implicit-def: $vgpr0
                                        ; implicit-def: $vgpr122
                                        ; implicit-def: $vgpr18
	scratch_store_b64 off, v[0:1], s32 offset:320 ; 8-byte Folded Spill
                                        ; implicit-def: $vgpr10
                                        ; implicit-def: $vgpr11
                                        ; implicit-def: $vgpr14
                                        ; implicit-def: $vgpr15
                                        ; implicit-def: $vgpr0
                                        ; kill: killed $vgpr0
                                        ; implicit-def: $vgpr26_vgpr27
                                        ; implicit-def: $vgpr19
                                        ; implicit-def: $vgpr69
                                        ; implicit-def: $vgpr16_vgpr17
.LBB279_924:
	s_or_saveexec_b32 s3, s0
	v_dual_mov_b32 v65, s5 :: v_dual_mov_b32 v0, s6
	v_dual_mov_b32 v1, s7 :: v_dual_mov_b32 v66, s5
	v_dual_mov_b32 v64, s5 :: v_dual_and_b32 v23, 7, v12
	v_dual_mov_b32 v67, s5 :: v_dual_mov_b32 v54, s5
	v_dual_mov_b32 v55, s5 :: v_dual_mov_b32 v52, s5
	;; [unrolled: 1-line block ×12, first 2 shown]
	v_mov_b32_e32 v25, s5
	s_xor_b32 exec_lo, exec_lo, s3
	s_cbranch_execz .LBB279_1880
; %bb.925:
	s_clause 0x1
	scratch_load_b64 v[0:1], off, s32 offset:320
	scratch_load_b32 v8, off, s32 offset:1000
	flat_load_b32 v68, v[26:27]
	s_ashr_i32 s7, s6, 31
	s_getpc_b64 s[8:9]
	s_add_u32 s8, s8, llvm.amdgcn.dynlds.offset.table@rel32@lo+4
	s_addc_u32 s9, s9, llvm.amdgcn.dynlds.offset.table@rel32@hi+12
	v_dual_mov_b32 v7, 0 :: v_dual_lshlrev_b32 v2, 2, v12
	v_add_co_u32 v3, vcc_lo, v10, v19
	v_dual_mov_b32 v25, 0 :: v_dual_lshlrev_b32 v6, 4, v23
	s_delay_alu instid0(VALU_DEP_3)
	v_and_b32_e32 v10, 28, v2
	v_and_b32_e32 v2, 0x7c, v2
	v_add_co_ci_u32_e32 v4, vcc_lo, v11, v69, vcc_lo
	v_dual_mov_b32 v24, 0 :: v_dual_add_nc_u32 v69, -1, v18
	v_dual_mov_b32 v155, 0 :: v_dual_mov_b32 v156, 0
	v_dual_mov_b32 v28, 0 :: v_dual_mov_b32 v29, 0
	;; [unrolled: 1-line block ×13, first 2 shown]
	s_waitcnt vmcnt(2)
	v_lshlrev_b64 v[0:1], 2, v[0:1]
	s_waitcnt vmcnt(1)
	v_lshl_add_u32 v5, v8, 5, s11
	s_lshl_b64 s[10:11], s[6:7], 2
	v_lshl_or_b32 v6, v8, 7, v6
	s_add_u32 s8, s10, s8
	s_addc_u32 s9, s11, s9
	v_add_co_u32 v0, vcc_lo, v16, v0
	s_load_b32 s0, s[8:9], 0x0
	v_add_co_ci_u32_e32 v1, vcc_lo, v17, v1, vcc_lo
	v_add_co_u32 v8, vcc_lo, v3, v2
	v_add_co_ci_u32_e32 v9, vcc_lo, 0, v4, vcc_lo
	v_add3_u32 v70, v5, v10, 3
	v_add_co_u32 v10, vcc_lo, v14, v0
	v_add_co_ci_u32_e32 v11, vcc_lo, v15, v1, vcc_lo
	s_mov_b32 s8, 0
	s_brev_b32 s9, 1
	s_mov_b32 s11, 0x7f800001
	s_mov_b32 s5, s8
	s_waitcnt vmcnt(0) lgkmcnt(0)
	v_dual_mov_b32 v80, v68 :: v_dual_add_nc_u32 v71, s0, v6
	s_branch .LBB279_927
.LBB279_926:                            ;   in Loop: Header=BB279_927 Depth=1
	s_or_b32 exec_lo, exec_lo, s0
	v_mul_f32_e32 v14, v1, v140
	v_mul_f32_e32 v13, v1, v142
	v_add_co_u32 v10, s0, v10, 16
	s_delay_alu instid0(VALU_DEP_1) | instskip(NEXT) | instid1(VALU_DEP_4)
	v_add_co_ci_u32_e64 v11, s0, 0, v11, s0
	v_dual_fmac_f32 v14, v0, v139 :: v_dual_mul_f32 v15, v1, v136
	s_delay_alu instid0(VALU_DEP_4) | instskip(SKIP_1) | instid1(VALU_DEP_3)
	v_fmac_f32_e32 v13, v0, v141
	v_dual_mul_f32 v16, v1, v124 :: v_dual_add_nc_u32 v71, 0x200, v71
	v_dual_fmac_f32 v14, v2, v138 :: v_dual_fmac_f32 v15, v0, v127
	s_delay_alu instid0(VALU_DEP_3) | instskip(SKIP_1) | instid1(VALU_DEP_4)
	v_fmac_f32_e32 v13, v2, v19
	v_mul_f32_e32 v17, v1, v111
	v_fmac_f32_e32 v16, v0, v123
	s_delay_alu instid0(VALU_DEP_4) | instskip(SKIP_2) | instid1(VALU_DEP_4)
	v_dual_fmac_f32 v14, v3, v137 :: v_dual_fmac_f32 v15, v2, v126
	v_mul_f32_e32 v19, v1, v107
	v_dual_fmac_f32 v13, v3, v18 :: v_dual_mul_f32 v18, v1, v91
	v_dual_fmac_f32 v16, v2, v121 :: v_dual_mul_f32 v85, v1, v95
	s_delay_alu instid0(VALU_DEP_3) | instskip(SKIP_1) | instid1(VALU_DEP_4)
	v_fmac_f32_e32 v19, v0, v106
	v_add_nc_u32_e32 v70, 0x80, v70
	v_fmac_f32_e32 v18, v0, v90
	v_add_f32_e32 v155, v155, v14
	v_fmac_f32_e32 v16, v3, v120
	v_dual_mul_f32 v14, v1, v75 :: v_dual_fmac_f32 v19, v2, v105
	s_delay_alu instid0(VALU_DEP_4) | instskip(NEXT) | instid1(VALU_DEP_3)
	v_dual_fmac_f32 v18, v2, v89 :: v_dual_fmac_f32 v17, v0, v110
	v_dual_fmac_f32 v15, v3, v125 :: v_dual_add_f32 v28, v28, v16
	s_delay_alu instid0(VALU_DEP_3) | instskip(NEXT) | instid1(VALU_DEP_3)
	v_dual_mul_f32 v16, v1, v59 :: v_dual_fmac_f32 v19, v3, v104
	v_dual_fmac_f32 v85, v0, v94 :: v_dual_fmac_f32 v18, v3, v88
	s_delay_alu instid0(VALU_DEP_4) | instskip(NEXT) | instid1(VALU_DEP_3)
	v_dual_fmac_f32 v17, v2, v109 :: v_dual_fmac_f32 v14, v0, v74
	v_add_f32_e32 v30, v30, v19
	s_delay_alu instid0(VALU_DEP_3) | instskip(NEXT) | instid1(VALU_DEP_3)
	v_dual_fmac_f32 v85, v2, v93 :: v_dual_add_f32 v32, v32, v18
	v_dual_fmac_f32 v17, v3, v108 :: v_dual_fmac_f32 v16, v0, v58
	v_dual_add_f32 v25, v25, v13 :: v_dual_add_f32 v156, v156, v15
	s_delay_alu instid0(VALU_DEP_3) | instskip(NEXT) | instid1(VALU_DEP_3)
	v_dual_fmac_f32 v85, v3, v92 :: v_dual_fmac_f32 v14, v2, v73
	v_dual_fmac_f32 v16, v2, v57 :: v_dual_mul_f32 v13, v1, v79
	s_delay_alu instid0(VALU_DEP_2) | instskip(NEXT) | instid1(VALU_DEP_2)
	v_dual_add_f32 v29, v29, v17 :: v_dual_fmac_f32 v14, v3, v72
	v_dual_fmac_f32 v16, v3, v56 :: v_dual_fmac_f32 v13, v0, v78
	s_delay_alu instid0(VALU_DEP_4) | instskip(NEXT) | instid1(VALU_DEP_3)
	v_add_f32_e32 v31, v31, v85
	v_dual_mul_f32 v15, v1, v63 :: v_dual_add_f32 v34, v34, v14
	s_delay_alu instid0(VALU_DEP_3) | instskip(NEXT) | instid1(VALU_DEP_4)
	v_add_f32_e32 v36, v36, v16
	v_dual_mul_f32 v14, v1, v183 :: v_dual_fmac_f32 v13, v2, v77
	v_mul_f32_e32 v16, v1, v167
	s_delay_alu instid0(VALU_DEP_2) | instskip(NEXT) | instid1(VALU_DEP_2)
	v_dual_mul_f32 v17, v1, v47 :: v_dual_fmac_f32 v14, v0, v182
	v_dual_fmac_f32 v13, v3, v76 :: v_dual_fmac_f32 v16, v0, v166
	v_fmac_f32_e32 v15, v0, v62
	s_delay_alu instid0(VALU_DEP_3) | instskip(NEXT) | instid1(VALU_DEP_3)
	v_dual_fmac_f32 v17, v0, v46 :: v_dual_fmac_f32 v14, v2, v181
	v_fmac_f32_e32 v16, v2, v165
	s_delay_alu instid0(VALU_DEP_3) | instskip(NEXT) | instid1(VALU_DEP_3)
	v_fmac_f32_e32 v15, v2, v61
	v_dual_fmac_f32 v17, v2, v45 :: v_dual_fmac_f32 v14, v3, v180
	s_delay_alu instid0(VALU_DEP_3) | instskip(NEXT) | instid1(VALU_DEP_3)
	v_fmac_f32_e32 v16, v3, v164
	v_fmac_f32_e32 v15, v3, v60
	s_delay_alu instid0(VALU_DEP_3) | instskip(NEXT) | instid1(VALU_DEP_4)
	v_fmac_f32_e32 v17, v3, v44
	v_dual_add_f32 v39, v39, v14 :: v_dual_mul_f32 v14, v1, v147
	s_delay_alu instid0(VALU_DEP_4) | instskip(SKIP_4) | instid1(VALU_DEP_4)
	v_add_f32_e32 v49, v49, v16
	v_mul_f32_e32 v16, v1, v131
	v_add_f32_e32 v35, v35, v15
	v_add_f32_e32 v37, v37, v17
	v_dual_mul_f32 v17, v1, v163 :: v_dual_fmac_f32 v14, v0, v146
	v_dual_fmac_f32 v16, v0, v130 :: v_dual_mul_f32 v15, v1, v179
	s_delay_alu instid0(VALU_DEP_2) | instskip(NEXT) | instid1(VALU_DEP_2)
	v_dual_fmac_f32 v17, v0, v162 :: v_dual_fmac_f32 v14, v2, v145
	v_dual_fmac_f32 v16, v2, v129 :: v_dual_fmac_f32 v15, v0, v178
	s_delay_alu instid0(VALU_DEP_2) | instskip(NEXT) | instid1(VALU_DEP_2)
	v_dual_fmac_f32 v17, v2, v161 :: v_dual_fmac_f32 v14, v3, v144
	v_dual_fmac_f32 v16, v3, v128 :: v_dual_fmac_f32 v15, v2, v177
	s_delay_alu instid0(VALU_DEP_2) | instskip(NEXT) | instid1(VALU_DEP_2)
	v_dual_fmac_f32 v17, v3, v160 :: v_dual_add_f32 v52, v52, v14
	v_add_f32_e32 v54, v54, v16
	s_delay_alu instid0(VALU_DEP_3) | instskip(SKIP_1) | instid1(VALU_DEP_4)
	v_fmac_f32_e32 v15, v3, v176
	v_add_f32_e32 v33, v33, v13
	v_dual_mul_f32 v13, v1, v43 :: v_dual_add_f32 v50, v50, v17
	v_mul_f32_e32 v16, v1, v84
	v_mul_f32_e32 v14, v1, v103
	;; [unrolled: 1-line block ×3, first 2 shown]
	s_delay_alu instid0(VALU_DEP_4) | instskip(NEXT) | instid1(VALU_DEP_4)
	v_fmac_f32_e32 v13, v0, v42
	v_fmac_f32_e32 v16, v0, v83
	v_add_f32_e32 v48, v48, v15
	s_delay_alu instid0(VALU_DEP_3) | instskip(SKIP_1) | instid1(VALU_DEP_4)
	v_dual_fmac_f32 v14, v0, v102 :: v_dual_fmac_f32 v13, v2, v41
	v_fmac_f32_e32 v17, v0, v118
	v_dual_fmac_f32 v16, v2, v82 :: v_dual_mul_f32 v15, v1, v135
	s_delay_alu instid0(VALU_DEP_3) | instskip(NEXT) | instid1(VALU_DEP_3)
	v_dual_fmac_f32 v14, v2, v101 :: v_dual_fmac_f32 v13, v3, v40
	v_fmac_f32_e32 v17, v2, v117
	s_delay_alu instid0(VALU_DEP_3) | instskip(NEXT) | instid1(VALU_DEP_3)
	v_dual_fmac_f32 v16, v3, v81 :: v_dual_fmac_f32 v15, v0, v134
	v_fmac_f32_e32 v14, v3, v100
	s_delay_alu instid0(VALU_DEP_4) | instskip(NEXT) | instid1(VALU_DEP_4)
	v_dual_add_f32 v38, v38, v13 :: v_dual_mul_f32 v13, v1, v151
	v_fmac_f32_e32 v17, v3, v116
	s_delay_alu instid0(VALU_DEP_4) | instskip(NEXT) | instid1(VALU_DEP_4)
	v_fmac_f32_e32 v15, v2, v133
	v_dual_add_f32 v66, v66, v14 :: v_dual_add_f32 v65, v65, v16
	s_delay_alu instid0(VALU_DEP_4) | instskip(NEXT) | instid1(VALU_DEP_4)
	v_fmac_f32_e32 v13, v0, v150
	v_add_f32_e32 v55, v55, v17
	s_delay_alu instid0(VALU_DEP_4) | instskip(NEXT) | instid1(VALU_DEP_3)
	v_fmac_f32_e32 v15, v3, v132
	v_fmac_f32_e32 v13, v2, v149
	s_delay_alu instid0(VALU_DEP_2) | instskip(SKIP_1) | instid1(VALU_DEP_3)
	v_add_f32_e32 v53, v53, v15
	v_mul_f32_e32 v15, v1, v99
	v_fmac_f32_e32 v13, v3, v148
	s_delay_alu instid0(VALU_DEP_2) | instskip(NEXT) | instid1(VALU_DEP_2)
	v_fmac_f32_e32 v15, v0, v98
	v_add_f32_e32 v51, v51, v13
	v_mul_f32_e32 v13, v1, v115
	v_mul_f32_e32 v1, v1, v12
	s_delay_alu instid0(VALU_DEP_4) | instskip(NEXT) | instid1(VALU_DEP_3)
	v_fmac_f32_e32 v15, v2, v97
	v_fmac_f32_e32 v13, v0, v114
	s_delay_alu instid0(VALU_DEP_3) | instskip(NEXT) | instid1(VALU_DEP_3)
	v_fmac_f32_e32 v1, v0, v6
	v_fmac_f32_e32 v15, v3, v96
	s_delay_alu instid0(VALU_DEP_3) | instskip(NEXT) | instid1(VALU_DEP_3)
	;; [unrolled: 3-line block ×3, first 2 shown]
	v_add_f32_e32 v67, v67, v15
	v_fmac_f32_e32 v13, v3, v112
	s_delay_alu instid0(VALU_DEP_3)
	v_fmac_f32_e32 v1, v3, v4
	scratch_load_b64 v[2:3], off, s32 offset:320 ; 8-byte Folded Reload
	v_add_f32_e32 v64, v64, v13
	v_add_f32_e32 v24, v24, v1
	s_waitcnt vmcnt(0)
	v_add_nc_u32_e32 v2, 4, v2
	s_delay_alu instid0(VALU_DEP_1)
	v_mov_b32_e32 v0, v2
	scratch_store_b64 off, v[0:1], s32 offset:320 ; 8-byte Folded Spill
	scratch_load_b32 v0, off, s32 offset:524 ; 4-byte Folded Reload
	s_waitcnt vmcnt(0)
	v_cmp_ge_i32_e32 vcc_lo, v2, v0
	s_or_b32 s5, vcc_lo, s5
	s_delay_alu instid0(SALU_CYCLE_1)
	s_and_not1_b32 exec_lo, exec_lo, s5
	s_cbranch_execz .LBB279_1879
.LBB279_927:                            ; =>This Inner Loop Header: Depth=1
	flat_load_b32 v0, v[10:11]
	scratch_load_b32 v1, off, s32 offset:520 ; 4-byte Folded Reload
	v_mov_b32_e32 v14, 0
	s_mov_b32 s0, exec_lo
	s_waitcnt vmcnt(0) lgkmcnt(0)
	v_mad_i64_i32 v[12:13], null, v0, v1, v[8:9]
	ds_load_b128 v[0:3], v71
	flat_load_b32 v81, v[12:13]
	s_waitcnt vmcnt(0) lgkmcnt(0)
	v_dual_mov_b32 v15, 0 :: v_dual_and_b32 v6, 0xff, v81
	s_delay_alu instid0(VALU_DEP_1) | instskip(NEXT) | instid1(VALU_DEP_2)
	v_dual_mov_b32 v4, v14 :: v_dual_mov_b32 v5, v15
	v_cmpx_ne_u16_e32 0, v6
	s_cbranch_execz .LBB279_935
; %bb.928:                              ;   in Loop: Header=BB279_927 Depth=1
	v_bfrev_b32_e32 v4, 1
	v_mov_b32_e32 v5, 0
	s_mov_b32 s10, exec_lo
	v_cmpx_ne_u16_e32 0x80, v6
	s_cbranch_execz .LBB279_934
; %bb.929:                              ;   in Loop: Header=BB279_927 Depth=1
	v_mov_b32_e32 v4, 0x7f800001
	v_dual_mov_b32 v5, 0 :: v_dual_and_b32 v16, 0x7f, v81
	s_mov_b32 s12, exec_lo
	s_delay_alu instid0(VALU_DEP_1)
	v_cmpx_ne_u32_e32 0x7f, v16
	s_cbranch_execz .LBB279_933
; %bb.930:                              ;   in Loop: Header=BB279_927 Depth=1
	v_and_b32_e32 v6, 7, v81
	v_lshrrev_b32_e32 v4, 3, v16
	s_mov_b32 s13, exec_lo
	v_cmpx_gt_u32_e32 8, v16
; %bb.931:                              ;   in Loop: Header=BB279_927 Depth=1
	s_delay_alu instid0(VALU_DEP_3) | instskip(NEXT) | instid1(VALU_DEP_1)
	v_clz_i32_u32_e32 v4, v6
	v_min_u32_e32 v4, 32, v4
	s_delay_alu instid0(VALU_DEP_1) | instskip(SKIP_1) | instid1(VALU_DEP_2)
	v_subrev_nc_u32_e32 v5, 28, v4
	v_sub_nc_u32_e32 v4, 29, v4
	v_lshlrev_b64 v[5:6], v5, v[6:7]
	s_delay_alu instid0(VALU_DEP_1)
	v_and_b32_e32 v6, 7, v5
; %bb.932:                              ;   in Loop: Header=BB279_927 Depth=1
	s_or_b32 exec_lo, exec_lo, s13
	v_lshlrev_b32_e32 v5, 24, v81
	s_delay_alu instid0(VALU_DEP_2) | instskip(SKIP_1) | instid1(VALU_DEP_3)
	v_lshlrev_b32_e32 v6, 20, v6
	v_lshl_add_u32 v4, v4, 23, 0x3c000000
	v_and_b32_e32 v5, 0x80000000, v5
	s_delay_alu instid0(VALU_DEP_1) | instskip(NEXT) | instid1(VALU_DEP_1)
	v_or3_b32 v6, v6, v5, v4
	v_dual_mov_b32 v4, v6 :: v_dual_mov_b32 v5, v7
.LBB279_933:                            ;   in Loop: Header=BB279_927 Depth=1
	s_or_b32 exec_lo, exec_lo, s12
.LBB279_934:                            ;   in Loop: Header=BB279_927 Depth=1
	s_delay_alu instid0(SALU_CYCLE_1)
	s_or_b32 exec_lo, exec_lo, s10
.LBB279_935:                            ;   in Loop: Header=BB279_927 Depth=1
	s_delay_alu instid0(SALU_CYCLE_1) | instskip(SKIP_2) | instid1(VALU_DEP_1)
	s_or_b32 exec_lo, exec_lo, s0
	v_lshrrev_b16 v6, 8, v81
	s_mov_b32 s0, exec_lo
	v_cmpx_ne_u16_e32 0, v6
	s_cbranch_execz .LBB279_943
; %bb.936:                              ;   in Loop: Header=BB279_927 Depth=1
	v_dual_mov_b32 v15, s9 :: v_dual_mov_b32 v14, s8
	s_mov_b32 s12, exec_lo
	v_cmpx_ne_u16_e32 0x80, v6
	s_cbranch_execz .LBB279_942
; %bb.937:                              ;   in Loop: Header=BB279_927 Depth=1
	s_mov_b32 s10, s8
	v_dual_mov_b32 v15, s11 :: v_dual_and_b32 v6, 0xffff, v6
	v_mov_b32_e32 v14, s10
	s_mov_b32 s10, exec_lo
	s_delay_alu instid0(VALU_DEP_2) | instskip(NEXT) | instid1(VALU_DEP_1)
	v_and_b32_e32 v16, 0x7f, v6
	v_cmpx_ne_u32_e32 0x7f, v16
	s_cbranch_execz .LBB279_941
; %bb.938:                              ;   in Loop: Header=BB279_927 Depth=1
	v_and_b32_e32 v6, 7, v6
	v_lshrrev_b32_e32 v14, 3, v16
	s_mov_b32 s13, exec_lo
	v_cmpx_gt_u32_e32 8, v16
; %bb.939:                              ;   in Loop: Header=BB279_927 Depth=1
	s_delay_alu instid0(VALU_DEP_3) | instskip(NEXT) | instid1(VALU_DEP_1)
	v_clz_i32_u32_e32 v14, v6
	v_min_u32_e32 v14, 32, v14
	s_delay_alu instid0(VALU_DEP_1) | instskip(SKIP_1) | instid1(VALU_DEP_2)
	v_subrev_nc_u32_e32 v15, 28, v14
	v_sub_nc_u32_e32 v14, 29, v14
	v_lshlrev_b64 v[15:16], v15, v[6:7]
	s_delay_alu instid0(VALU_DEP_1)
	v_and_b32_e32 v6, 7, v15
; %bb.940:                              ;   in Loop: Header=BB279_927 Depth=1
	s_or_b32 exec_lo, exec_lo, s13
	v_lshlrev_b32_e32 v15, 16, v81
	s_delay_alu instid0(VALU_DEP_2) | instskip(SKIP_1) | instid1(VALU_DEP_3)
	v_lshlrev_b32_e32 v6, 20, v6
	v_lshl_add_u32 v14, v14, 23, 0x3c000000
	v_and_b32_e32 v15, 0x80000000, v15
	s_delay_alu instid0(VALU_DEP_1)
	v_or3_b32 v15, v6, v15, v14
	v_mov_b32_e32 v14, v7
.LBB279_941:                            ;   in Loop: Header=BB279_927 Depth=1
	s_or_b32 exec_lo, exec_lo, s10
.LBB279_942:                            ;   in Loop: Header=BB279_927 Depth=1
	s_delay_alu instid0(SALU_CYCLE_1)
	s_or_b32 exec_lo, exec_lo, s12
.LBB279_943:                            ;   in Loop: Header=BB279_927 Depth=1
	s_delay_alu instid0(SALU_CYCLE_1) | instskip(SKIP_4) | instid1(VALU_DEP_2)
	s_or_b32 exec_lo, exec_lo, s0
	v_mov_b32_e32 v18, 0
	v_lshrrev_b32_e32 v82, 16, v81
	v_mov_b32_e32 v19, 0
	s_mov_b32 s0, exec_lo
	v_and_b32_e32 v6, 0xff, v82
	s_delay_alu instid0(VALU_DEP_2) | instskip(NEXT) | instid1(VALU_DEP_2)
	v_dual_mov_b32 v16, v18 :: v_dual_mov_b32 v17, v19
	v_cmpx_ne_u16_e32 0, v6
	s_cbranch_execz .LBB279_951
; %bb.944:                              ;   in Loop: Header=BB279_927 Depth=1
	v_bfrev_b32_e32 v16, 1
	v_mov_b32_e32 v17, 0
	s_mov_b32 s10, exec_lo
	v_cmpx_ne_u16_e32 0x80, v6
	s_cbranch_execz .LBB279_950
; %bb.945:                              ;   in Loop: Header=BB279_927 Depth=1
	v_mov_b32_e32 v16, 0x7f800001
	v_bfe_u32 v83, v81, 16, 7
	v_mov_b32_e32 v17, 0
	s_mov_b32 s12, exec_lo
	s_delay_alu instid0(VALU_DEP_2)
	v_cmpx_ne_u32_e32 0x7f, v83
	s_cbranch_execz .LBB279_949
; %bb.946:                              ;   in Loop: Header=BB279_927 Depth=1
	v_and_b32_e32 v6, 7, v82
	v_lshrrev_b32_e32 v16, 3, v83
	s_mov_b32 s13, exec_lo
	v_cmpx_gt_u32_e32 8, v83
; %bb.947:                              ;   in Loop: Header=BB279_927 Depth=1
	s_delay_alu instid0(VALU_DEP_3) | instskip(NEXT) | instid1(VALU_DEP_1)
	v_clz_i32_u32_e32 v16, v6
	v_min_u32_e32 v16, 32, v16
	s_delay_alu instid0(VALU_DEP_1) | instskip(SKIP_1) | instid1(VALU_DEP_2)
	v_subrev_nc_u32_e32 v17, 28, v16
	v_sub_nc_u32_e32 v16, 29, v16
	v_lshlrev_b64 v[83:84], v17, v[6:7]
	s_delay_alu instid0(VALU_DEP_1)
	v_and_b32_e32 v6, 7, v83
; %bb.948:                              ;   in Loop: Header=BB279_927 Depth=1
	s_or_b32 exec_lo, exec_lo, s13
	v_lshlrev_b32_e32 v17, 24, v82
	s_delay_alu instid0(VALU_DEP_2) | instskip(SKIP_1) | instid1(VALU_DEP_3)
	v_lshlrev_b32_e32 v6, 20, v6
	v_lshl_add_u32 v16, v16, 23, 0x3c000000
	v_and_b32_e32 v17, 0x80000000, v17
	s_delay_alu instid0(VALU_DEP_1) | instskip(NEXT) | instid1(VALU_DEP_1)
	v_or3_b32 v6, v6, v17, v16
	v_dual_mov_b32 v17, v7 :: v_dual_mov_b32 v16, v6
.LBB279_949:                            ;   in Loop: Header=BB279_927 Depth=1
	s_or_b32 exec_lo, exec_lo, s12
.LBB279_950:                            ;   in Loop: Header=BB279_927 Depth=1
	s_delay_alu instid0(SALU_CYCLE_1)
	s_or_b32 exec_lo, exec_lo, s10
.LBB279_951:                            ;   in Loop: Header=BB279_927 Depth=1
	s_delay_alu instid0(SALU_CYCLE_1) | instskip(NEXT) | instid1(SALU_CYCLE_1)
	s_or_b32 exec_lo, exec_lo, s0
	s_mov_b32 s0, exec_lo
	v_cmpx_lt_u32_e32 0xffffff, v81
	s_cbranch_execz .LBB279_959
; %bb.952:                              ;   in Loop: Header=BB279_927 Depth=1
	v_lshrrev_b32_e32 v82, 24, v81
	v_dual_mov_b32 v19, s9 :: v_dual_mov_b32 v18, s8
	s_mov_b32 s12, exec_lo
	s_delay_alu instid0(VALU_DEP_2)
	v_cmpx_ne_u32_e32 0x80, v82
	s_cbranch_execz .LBB279_958
; %bb.953:                              ;   in Loop: Header=BB279_927 Depth=1
	s_mov_b32 s10, s8
	v_bfe_u32 v81, v81, 24, 7
	v_dual_mov_b32 v19, s11 :: v_dual_mov_b32 v18, s10
	s_mov_b32 s10, exec_lo
	s_delay_alu instid0(VALU_DEP_2)
	v_cmpx_ne_u32_e32 0x7f, v81
	s_cbranch_execz .LBB279_957
; %bb.954:                              ;   in Loop: Header=BB279_927 Depth=1
	v_and_b32_e32 v6, 7, v82
	v_lshrrev_b32_e32 v18, 3, v81
	s_mov_b32 s13, exec_lo
	v_cmpx_gt_u32_e32 8, v81
; %bb.955:                              ;   in Loop: Header=BB279_927 Depth=1
	s_delay_alu instid0(VALU_DEP_3) | instskip(NEXT) | instid1(VALU_DEP_1)
	v_clz_i32_u32_e32 v18, v6
	v_min_u32_e32 v18, 32, v18
	s_delay_alu instid0(VALU_DEP_1) | instskip(SKIP_1) | instid1(VALU_DEP_2)
	v_subrev_nc_u32_e32 v19, 28, v18
	v_sub_nc_u32_e32 v18, 29, v18
	v_lshlrev_b64 v[83:84], v19, v[6:7]
	s_delay_alu instid0(VALU_DEP_1)
	v_and_b32_e32 v6, 7, v83
; %bb.956:                              ;   in Loop: Header=BB279_927 Depth=1
	s_or_b32 exec_lo, exec_lo, s13
	v_lshlrev_b32_e32 v19, 24, v82
	s_delay_alu instid0(VALU_DEP_2) | instskip(SKIP_1) | instid1(VALU_DEP_3)
	v_lshlrev_b32_e32 v6, 20, v6
	v_lshl_add_u32 v18, v18, 23, 0x3c000000
	v_and_b32_e32 v19, 0x80000000, v19
	s_delay_alu instid0(VALU_DEP_1)
	v_or3_b32 v19, v6, v19, v18
	v_mov_b32_e32 v18, v7
.LBB279_957:                            ;   in Loop: Header=BB279_927 Depth=1
	s_or_b32 exec_lo, exec_lo, s10
.LBB279_958:                            ;   in Loop: Header=BB279_927 Depth=1
	s_delay_alu instid0(SALU_CYCLE_1)
	s_or_b32 exec_lo, exec_lo, s12
.LBB279_959:                            ;   in Loop: Header=BB279_927 Depth=1
	s_delay_alu instid0(SALU_CYCLE_1)
	s_or_b32 exec_lo, exec_lo, s0
	v_or_b32_e32 v5, v15, v5
	v_or_b32_e32 v4, v14, v4
	;; [unrolled: 1-line block ×3, first 2 shown]
	scratch_load_b64 v[15:16], off, s32 offset:320 ; 8-byte Folded Reload
	v_or_b32_e32 v6, v19, v17
	v_dual_mul_f32 v84, v80, v5 :: v_dual_add_nc_u32 v85, -3, v70
	v_dual_mul_f32 v83, v68, v4 :: v_dual_add_nc_u32 v86, -1, v70
	s_delay_alu instid0(VALU_DEP_3)
	v_mul_f32_e32 v81, v80, v6
	v_mul_f32_e32 v82, v68, v14
	v_add_nc_u32_e32 v87, -2, v70
	s_waitcnt vmcnt(0)
	v_cmp_eq_u32_e32 vcc_lo, v69, v15
	s_and_saveexec_b32 s10, vcc_lo
; %bb.960:                              ;   in Loop: Header=BB279_927 Depth=1
	v_cmp_lt_i32_e64 s0, v85, v122
	s_delay_alu instid0(VALU_DEP_1) | instskip(SKIP_1) | instid1(VALU_DEP_1)
	v_cndmask_b32_e64 v83, 0, v83, s0
	v_cmp_lt_i32_e64 s0, v87, v122
	v_cndmask_b32_e64 v84, 0, v84, s0
	v_cmp_lt_i32_e64 s0, v86, v122
	s_delay_alu instid0(VALU_DEP_1) | instskip(SKIP_1) | instid1(VALU_DEP_1)
	v_cndmask_b32_e64 v82, 0, v82, s0
	v_cmp_lt_i32_e64 s0, v70, v122
	v_cndmask_b32_e64 v81, 0, v81, s0
; %bb.961:                              ;   in Loop: Header=BB279_927 Depth=1
	s_or_b32 exec_lo, exec_lo, s10
	flat_load_b32 v96, v[12:13] offset:128
	v_mov_b32_e32 v14, 0
	v_mov_b32_e32 v15, 0
	s_mov_b32 s10, exec_lo
	s_waitcnt vmcnt(0) lgkmcnt(0)
	v_and_b32_e32 v6, 0xff, v96
	s_delay_alu instid0(VALU_DEP_2) | instskip(NEXT) | instid1(VALU_DEP_2)
	v_dual_mov_b32 v4, v14 :: v_dual_mov_b32 v5, v15
	v_cmpx_ne_u16_e32 0, v6
	s_cbranch_execz .LBB279_969
; %bb.962:                              ;   in Loop: Header=BB279_927 Depth=1
	v_bfrev_b32_e32 v4, 1
	v_mov_b32_e32 v5, 0
	s_mov_b32 s12, exec_lo
	v_cmpx_ne_u16_e32 0x80, v6
	s_cbranch_execz .LBB279_968
; %bb.963:                              ;   in Loop: Header=BB279_927 Depth=1
	v_mov_b32_e32 v4, 0x7f800001
	v_dual_mov_b32 v5, 0 :: v_dual_and_b32 v16, 0x7f, v96
	s_mov_b32 s13, exec_lo
	s_delay_alu instid0(VALU_DEP_1)
	v_cmpx_ne_u32_e32 0x7f, v16
	s_cbranch_execz .LBB279_967
; %bb.964:                              ;   in Loop: Header=BB279_927 Depth=1
	v_and_b32_e32 v6, 7, v96
	v_lshrrev_b32_e32 v4, 3, v16
	s_mov_b32 s15, exec_lo
	v_cmpx_gt_u32_e32 8, v16
; %bb.965:                              ;   in Loop: Header=BB279_927 Depth=1
	s_delay_alu instid0(VALU_DEP_3) | instskip(NEXT) | instid1(VALU_DEP_1)
	v_clz_i32_u32_e32 v4, v6
	v_min_u32_e32 v4, 32, v4
	s_delay_alu instid0(VALU_DEP_1) | instskip(SKIP_1) | instid1(VALU_DEP_2)
	v_subrev_nc_u32_e32 v5, 28, v4
	v_sub_nc_u32_e32 v4, 29, v4
	v_lshlrev_b64 v[5:6], v5, v[6:7]
	s_delay_alu instid0(VALU_DEP_1)
	v_and_b32_e32 v6, 7, v5
; %bb.966:                              ;   in Loop: Header=BB279_927 Depth=1
	s_or_b32 exec_lo, exec_lo, s15
	v_lshlrev_b32_e32 v5, 24, v96
	s_delay_alu instid0(VALU_DEP_2) | instskip(SKIP_1) | instid1(VALU_DEP_3)
	v_lshlrev_b32_e32 v6, 20, v6
	v_lshl_add_u32 v4, v4, 23, 0x3c000000
	v_and_b32_e32 v5, 0x80000000, v5
	s_delay_alu instid0(VALU_DEP_1) | instskip(NEXT) | instid1(VALU_DEP_1)
	v_or3_b32 v6, v6, v5, v4
	v_dual_mov_b32 v4, v6 :: v_dual_mov_b32 v5, v7
.LBB279_967:                            ;   in Loop: Header=BB279_927 Depth=1
	s_or_b32 exec_lo, exec_lo, s13
.LBB279_968:                            ;   in Loop: Header=BB279_927 Depth=1
	s_delay_alu instid0(SALU_CYCLE_1)
	s_or_b32 exec_lo, exec_lo, s12
.LBB279_969:                            ;   in Loop: Header=BB279_927 Depth=1
	s_delay_alu instid0(SALU_CYCLE_1) | instskip(SKIP_2) | instid1(VALU_DEP_1)
	s_or_b32 exec_lo, exec_lo, s10
	v_lshrrev_b16 v6, 8, v96
	s_mov_b32 s12, exec_lo
	v_cmpx_ne_u16_e32 0, v6
	s_cbranch_execz .LBB279_977
; %bb.970:                              ;   in Loop: Header=BB279_927 Depth=1
	v_dual_mov_b32 v15, s9 :: v_dual_mov_b32 v14, s8
	s_mov_b32 s13, exec_lo
	v_cmpx_ne_u16_e32 0x80, v6
	s_cbranch_execz .LBB279_976
; %bb.971:                              ;   in Loop: Header=BB279_927 Depth=1
	s_mov_b32 s10, s8
	v_dual_mov_b32 v15, s11 :: v_dual_and_b32 v6, 0xffff, v6
	v_mov_b32_e32 v14, s10
	s_mov_b32 s10, exec_lo
	s_delay_alu instid0(VALU_DEP_2) | instskip(NEXT) | instid1(VALU_DEP_1)
	v_and_b32_e32 v16, 0x7f, v6
	v_cmpx_ne_u32_e32 0x7f, v16
	s_cbranch_execz .LBB279_975
; %bb.972:                              ;   in Loop: Header=BB279_927 Depth=1
	v_and_b32_e32 v6, 7, v6
	v_lshrrev_b32_e32 v14, 3, v16
	s_mov_b32 s15, exec_lo
	v_cmpx_gt_u32_e32 8, v16
; %bb.973:                              ;   in Loop: Header=BB279_927 Depth=1
	s_delay_alu instid0(VALU_DEP_3) | instskip(NEXT) | instid1(VALU_DEP_1)
	v_clz_i32_u32_e32 v14, v6
	v_min_u32_e32 v14, 32, v14
	s_delay_alu instid0(VALU_DEP_1) | instskip(SKIP_1) | instid1(VALU_DEP_2)
	v_subrev_nc_u32_e32 v15, 28, v14
	v_sub_nc_u32_e32 v14, 29, v14
	v_lshlrev_b64 v[15:16], v15, v[6:7]
	s_delay_alu instid0(VALU_DEP_1)
	v_and_b32_e32 v6, 7, v15
; %bb.974:                              ;   in Loop: Header=BB279_927 Depth=1
	s_or_b32 exec_lo, exec_lo, s15
	v_lshlrev_b32_e32 v15, 16, v96
	s_delay_alu instid0(VALU_DEP_2) | instskip(SKIP_1) | instid1(VALU_DEP_3)
	v_lshlrev_b32_e32 v6, 20, v6
	v_lshl_add_u32 v14, v14, 23, 0x3c000000
	v_and_b32_e32 v15, 0x80000000, v15
	s_delay_alu instid0(VALU_DEP_1)
	v_or3_b32 v15, v6, v15, v14
	v_mov_b32_e32 v14, v7
.LBB279_975:                            ;   in Loop: Header=BB279_927 Depth=1
	s_or_b32 exec_lo, exec_lo, s10
.LBB279_976:                            ;   in Loop: Header=BB279_927 Depth=1
	s_delay_alu instid0(SALU_CYCLE_1)
	s_or_b32 exec_lo, exec_lo, s13
.LBB279_977:                            ;   in Loop: Header=BB279_927 Depth=1
	s_delay_alu instid0(SALU_CYCLE_1) | instskip(SKIP_4) | instid1(VALU_DEP_2)
	s_or_b32 exec_lo, exec_lo, s12
	v_mov_b32_e32 v18, 0
	v_lshrrev_b32_e32 v97, 16, v96
	v_mov_b32_e32 v19, 0
	s_mov_b32 s10, exec_lo
	v_and_b32_e32 v6, 0xff, v97
	s_delay_alu instid0(VALU_DEP_2) | instskip(NEXT) | instid1(VALU_DEP_2)
	v_dual_mov_b32 v16, v18 :: v_dual_mov_b32 v17, v19
	v_cmpx_ne_u16_e32 0, v6
	s_cbranch_execz .LBB279_985
; %bb.978:                              ;   in Loop: Header=BB279_927 Depth=1
	v_bfrev_b32_e32 v16, 1
	v_mov_b32_e32 v17, 0
	s_mov_b32 s12, exec_lo
	v_cmpx_ne_u16_e32 0x80, v6
	s_cbranch_execz .LBB279_984
; %bb.979:                              ;   in Loop: Header=BB279_927 Depth=1
	v_mov_b32_e32 v16, 0x7f800001
	v_bfe_u32 v98, v96, 16, 7
	v_mov_b32_e32 v17, 0
	s_mov_b32 s13, exec_lo
	s_delay_alu instid0(VALU_DEP_2)
	v_cmpx_ne_u32_e32 0x7f, v98
	s_cbranch_execz .LBB279_983
; %bb.980:                              ;   in Loop: Header=BB279_927 Depth=1
	v_and_b32_e32 v6, 7, v97
	v_lshrrev_b32_e32 v16, 3, v98
	s_mov_b32 s15, exec_lo
	v_cmpx_gt_u32_e32 8, v98
; %bb.981:                              ;   in Loop: Header=BB279_927 Depth=1
	s_delay_alu instid0(VALU_DEP_3) | instskip(NEXT) | instid1(VALU_DEP_1)
	v_clz_i32_u32_e32 v16, v6
	v_min_u32_e32 v16, 32, v16
	s_delay_alu instid0(VALU_DEP_1) | instskip(SKIP_1) | instid1(VALU_DEP_2)
	v_subrev_nc_u32_e32 v17, 28, v16
	v_sub_nc_u32_e32 v16, 29, v16
	v_lshlrev_b64 v[98:99], v17, v[6:7]
	s_delay_alu instid0(VALU_DEP_1)
	v_and_b32_e32 v6, 7, v98
; %bb.982:                              ;   in Loop: Header=BB279_927 Depth=1
	s_or_b32 exec_lo, exec_lo, s15
	v_lshlrev_b32_e32 v17, 24, v97
	s_delay_alu instid0(VALU_DEP_2) | instskip(SKIP_1) | instid1(VALU_DEP_3)
	v_lshlrev_b32_e32 v6, 20, v6
	v_lshl_add_u32 v16, v16, 23, 0x3c000000
	v_and_b32_e32 v17, 0x80000000, v17
	s_delay_alu instid0(VALU_DEP_1) | instskip(NEXT) | instid1(VALU_DEP_1)
	v_or3_b32 v6, v6, v17, v16
	v_dual_mov_b32 v17, v7 :: v_dual_mov_b32 v16, v6
.LBB279_983:                            ;   in Loop: Header=BB279_927 Depth=1
	s_or_b32 exec_lo, exec_lo, s13
.LBB279_984:                            ;   in Loop: Header=BB279_927 Depth=1
	s_delay_alu instid0(SALU_CYCLE_1)
	s_or_b32 exec_lo, exec_lo, s12
.LBB279_985:                            ;   in Loop: Header=BB279_927 Depth=1
	s_delay_alu instid0(SALU_CYCLE_1) | instskip(NEXT) | instid1(SALU_CYCLE_1)
	s_or_b32 exec_lo, exec_lo, s10
	s_mov_b32 s12, exec_lo
	v_cmpx_lt_u32_e32 0xffffff, v96
	s_cbranch_execz .LBB279_993
; %bb.986:                              ;   in Loop: Header=BB279_927 Depth=1
	v_lshrrev_b32_e32 v97, 24, v96
	v_dual_mov_b32 v19, s9 :: v_dual_mov_b32 v18, s8
	s_mov_b32 s13, exec_lo
	s_delay_alu instid0(VALU_DEP_2)
	v_cmpx_ne_u32_e32 0x80, v97
	s_cbranch_execz .LBB279_992
; %bb.987:                              ;   in Loop: Header=BB279_927 Depth=1
	s_mov_b32 s10, s8
	v_bfe_u32 v96, v96, 24, 7
	v_dual_mov_b32 v19, s11 :: v_dual_mov_b32 v18, s10
	s_mov_b32 s10, exec_lo
	s_delay_alu instid0(VALU_DEP_2)
	v_cmpx_ne_u32_e32 0x7f, v96
	s_cbranch_execz .LBB279_991
; %bb.988:                              ;   in Loop: Header=BB279_927 Depth=1
	v_and_b32_e32 v6, 7, v97
	v_lshrrev_b32_e32 v18, 3, v96
	s_mov_b32 s15, exec_lo
	v_cmpx_gt_u32_e32 8, v96
; %bb.989:                              ;   in Loop: Header=BB279_927 Depth=1
	s_delay_alu instid0(VALU_DEP_3) | instskip(NEXT) | instid1(VALU_DEP_1)
	v_clz_i32_u32_e32 v18, v6
	v_min_u32_e32 v18, 32, v18
	s_delay_alu instid0(VALU_DEP_1) | instskip(SKIP_1) | instid1(VALU_DEP_2)
	v_subrev_nc_u32_e32 v19, 28, v18
	v_sub_nc_u32_e32 v18, 29, v18
	v_lshlrev_b64 v[98:99], v19, v[6:7]
	s_delay_alu instid0(VALU_DEP_1)
	v_and_b32_e32 v6, 7, v98
; %bb.990:                              ;   in Loop: Header=BB279_927 Depth=1
	s_or_b32 exec_lo, exec_lo, s15
	v_lshlrev_b32_e32 v19, 24, v97
	s_delay_alu instid0(VALU_DEP_2) | instskip(SKIP_1) | instid1(VALU_DEP_3)
	v_lshlrev_b32_e32 v6, 20, v6
	v_lshl_add_u32 v18, v18, 23, 0x3c000000
	v_and_b32_e32 v19, 0x80000000, v19
	s_delay_alu instid0(VALU_DEP_1)
	v_or3_b32 v19, v6, v19, v18
	v_mov_b32_e32 v18, v7
.LBB279_991:                            ;   in Loop: Header=BB279_927 Depth=1
	s_or_b32 exec_lo, exec_lo, s10
.LBB279_992:                            ;   in Loop: Header=BB279_927 Depth=1
	s_delay_alu instid0(SALU_CYCLE_1)
	s_or_b32 exec_lo, exec_lo, s13
.LBB279_993:                            ;   in Loop: Header=BB279_927 Depth=1
	s_delay_alu instid0(SALU_CYCLE_1) | instskip(SKIP_4) | instid1(VALU_DEP_4)
	s_or_b32 exec_lo, exec_lo, s12
	v_or_b32_e32 v5, v15, v5
	v_or_b32_e32 v4, v14, v4
	;; [unrolled: 1-line block ×4, first 2 shown]
	v_mul_f32_e32 v99, v80, v5
	s_delay_alu instid0(VALU_DEP_4) | instskip(NEXT) | instid1(VALU_DEP_4)
	v_mul_f32_e32 v98, v68, v4
	v_mul_f32_e32 v96, v80, v6
	s_delay_alu instid0(VALU_DEP_4)
	v_mul_f32_e32 v97, v68, v14
	s_and_saveexec_b32 s10, vcc_lo
; %bb.994:                              ;   in Loop: Header=BB279_927 Depth=1
	v_cmp_lt_i32_e64 s0, v85, v122
	s_delay_alu instid0(VALU_DEP_1) | instskip(SKIP_1) | instid1(VALU_DEP_1)
	v_cndmask_b32_e64 v98, 0, v98, s0
	v_cmp_lt_i32_e64 s0, v87, v122
	v_cndmask_b32_e64 v99, 0, v99, s0
	v_cmp_lt_i32_e64 s0, v86, v122
	s_delay_alu instid0(VALU_DEP_1) | instskip(SKIP_1) | instid1(VALU_DEP_1)
	v_cndmask_b32_e64 v97, 0, v97, s0
	v_cmp_lt_i32_e64 s0, v70, v122
	v_cndmask_b32_e64 v96, 0, v96, s0
; %bb.995:                              ;   in Loop: Header=BB279_927 Depth=1
	s_or_b32 exec_lo, exec_lo, s10
	flat_load_b32 v100, v[12:13] offset:256
	v_mov_b32_e32 v14, 0
	v_mov_b32_e32 v15, 0
	s_mov_b32 s10, exec_lo
	s_waitcnt vmcnt(0) lgkmcnt(0)
	v_and_b32_e32 v6, 0xff, v100
	s_delay_alu instid0(VALU_DEP_2) | instskip(NEXT) | instid1(VALU_DEP_2)
	v_dual_mov_b32 v4, v14 :: v_dual_mov_b32 v5, v15
	v_cmpx_ne_u16_e32 0, v6
	s_cbranch_execz .LBB279_1003
; %bb.996:                              ;   in Loop: Header=BB279_927 Depth=1
	v_bfrev_b32_e32 v4, 1
	v_mov_b32_e32 v5, 0
	s_mov_b32 s12, exec_lo
	v_cmpx_ne_u16_e32 0x80, v6
	s_cbranch_execz .LBB279_1002
; %bb.997:                              ;   in Loop: Header=BB279_927 Depth=1
	v_mov_b32_e32 v4, 0x7f800001
	v_dual_mov_b32 v5, 0 :: v_dual_and_b32 v16, 0x7f, v100
	s_mov_b32 s13, exec_lo
	s_delay_alu instid0(VALU_DEP_1)
	v_cmpx_ne_u32_e32 0x7f, v16
	s_cbranch_execz .LBB279_1001
; %bb.998:                              ;   in Loop: Header=BB279_927 Depth=1
	v_and_b32_e32 v6, 7, v100
	v_lshrrev_b32_e32 v4, 3, v16
	s_mov_b32 s15, exec_lo
	v_cmpx_gt_u32_e32 8, v16
; %bb.999:                              ;   in Loop: Header=BB279_927 Depth=1
	s_delay_alu instid0(VALU_DEP_3) | instskip(NEXT) | instid1(VALU_DEP_1)
	v_clz_i32_u32_e32 v4, v6
	v_min_u32_e32 v4, 32, v4
	s_delay_alu instid0(VALU_DEP_1) | instskip(SKIP_1) | instid1(VALU_DEP_2)
	v_subrev_nc_u32_e32 v5, 28, v4
	v_sub_nc_u32_e32 v4, 29, v4
	v_lshlrev_b64 v[5:6], v5, v[6:7]
	s_delay_alu instid0(VALU_DEP_1)
	v_and_b32_e32 v6, 7, v5
; %bb.1000:                             ;   in Loop: Header=BB279_927 Depth=1
	s_or_b32 exec_lo, exec_lo, s15
	v_lshlrev_b32_e32 v5, 24, v100
	s_delay_alu instid0(VALU_DEP_2) | instskip(SKIP_1) | instid1(VALU_DEP_3)
	v_lshlrev_b32_e32 v6, 20, v6
	v_lshl_add_u32 v4, v4, 23, 0x3c000000
	v_and_b32_e32 v5, 0x80000000, v5
	s_delay_alu instid0(VALU_DEP_1) | instskip(NEXT) | instid1(VALU_DEP_1)
	v_or3_b32 v6, v6, v5, v4
	v_dual_mov_b32 v4, v6 :: v_dual_mov_b32 v5, v7
.LBB279_1001:                           ;   in Loop: Header=BB279_927 Depth=1
	s_or_b32 exec_lo, exec_lo, s13
.LBB279_1002:                           ;   in Loop: Header=BB279_927 Depth=1
	s_delay_alu instid0(SALU_CYCLE_1)
	s_or_b32 exec_lo, exec_lo, s12
.LBB279_1003:                           ;   in Loop: Header=BB279_927 Depth=1
	s_delay_alu instid0(SALU_CYCLE_1) | instskip(SKIP_2) | instid1(VALU_DEP_1)
	s_or_b32 exec_lo, exec_lo, s10
	v_lshrrev_b16 v6, 8, v100
	s_mov_b32 s12, exec_lo
	v_cmpx_ne_u16_e32 0, v6
	s_cbranch_execz .LBB279_1011
; %bb.1004:                             ;   in Loop: Header=BB279_927 Depth=1
	v_dual_mov_b32 v15, s9 :: v_dual_mov_b32 v14, s8
	s_mov_b32 s13, exec_lo
	v_cmpx_ne_u16_e32 0x80, v6
	s_cbranch_execz .LBB279_1010
; %bb.1005:                             ;   in Loop: Header=BB279_927 Depth=1
	s_mov_b32 s10, s8
	v_dual_mov_b32 v15, s11 :: v_dual_and_b32 v6, 0xffff, v6
	v_mov_b32_e32 v14, s10
	s_mov_b32 s10, exec_lo
	s_delay_alu instid0(VALU_DEP_2) | instskip(NEXT) | instid1(VALU_DEP_1)
	v_and_b32_e32 v16, 0x7f, v6
	v_cmpx_ne_u32_e32 0x7f, v16
	s_cbranch_execz .LBB279_1009
; %bb.1006:                             ;   in Loop: Header=BB279_927 Depth=1
	v_and_b32_e32 v6, 7, v6
	v_lshrrev_b32_e32 v14, 3, v16
	s_mov_b32 s15, exec_lo
	v_cmpx_gt_u32_e32 8, v16
; %bb.1007:                             ;   in Loop: Header=BB279_927 Depth=1
	s_delay_alu instid0(VALU_DEP_3) | instskip(NEXT) | instid1(VALU_DEP_1)
	v_clz_i32_u32_e32 v14, v6
	v_min_u32_e32 v14, 32, v14
	s_delay_alu instid0(VALU_DEP_1) | instskip(SKIP_1) | instid1(VALU_DEP_2)
	v_subrev_nc_u32_e32 v15, 28, v14
	v_sub_nc_u32_e32 v14, 29, v14
	v_lshlrev_b64 v[15:16], v15, v[6:7]
	s_delay_alu instid0(VALU_DEP_1)
	v_and_b32_e32 v6, 7, v15
; %bb.1008:                             ;   in Loop: Header=BB279_927 Depth=1
	s_or_b32 exec_lo, exec_lo, s15
	v_lshlrev_b32_e32 v15, 16, v100
	s_delay_alu instid0(VALU_DEP_2) | instskip(SKIP_1) | instid1(VALU_DEP_3)
	v_lshlrev_b32_e32 v6, 20, v6
	v_lshl_add_u32 v14, v14, 23, 0x3c000000
	v_and_b32_e32 v15, 0x80000000, v15
	s_delay_alu instid0(VALU_DEP_1)
	v_or3_b32 v15, v6, v15, v14
	v_mov_b32_e32 v14, v7
.LBB279_1009:                           ;   in Loop: Header=BB279_927 Depth=1
	s_or_b32 exec_lo, exec_lo, s10
.LBB279_1010:                           ;   in Loop: Header=BB279_927 Depth=1
	s_delay_alu instid0(SALU_CYCLE_1)
	s_or_b32 exec_lo, exec_lo, s13
.LBB279_1011:                           ;   in Loop: Header=BB279_927 Depth=1
	s_delay_alu instid0(SALU_CYCLE_1) | instskip(SKIP_4) | instid1(VALU_DEP_2)
	s_or_b32 exec_lo, exec_lo, s12
	v_mov_b32_e32 v18, 0
	v_lshrrev_b32_e32 v101, 16, v100
	v_mov_b32_e32 v19, 0
	s_mov_b32 s10, exec_lo
	v_and_b32_e32 v6, 0xff, v101
	s_delay_alu instid0(VALU_DEP_2) | instskip(NEXT) | instid1(VALU_DEP_2)
	v_dual_mov_b32 v16, v18 :: v_dual_mov_b32 v17, v19
	v_cmpx_ne_u16_e32 0, v6
	s_cbranch_execz .LBB279_1019
; %bb.1012:                             ;   in Loop: Header=BB279_927 Depth=1
	v_bfrev_b32_e32 v16, 1
	v_mov_b32_e32 v17, 0
	s_mov_b32 s12, exec_lo
	v_cmpx_ne_u16_e32 0x80, v6
	s_cbranch_execz .LBB279_1018
; %bb.1013:                             ;   in Loop: Header=BB279_927 Depth=1
	v_mov_b32_e32 v16, 0x7f800001
	v_bfe_u32 v102, v100, 16, 7
	v_mov_b32_e32 v17, 0
	s_mov_b32 s13, exec_lo
	s_delay_alu instid0(VALU_DEP_2)
	v_cmpx_ne_u32_e32 0x7f, v102
	s_cbranch_execz .LBB279_1017
; %bb.1014:                             ;   in Loop: Header=BB279_927 Depth=1
	v_and_b32_e32 v6, 7, v101
	v_lshrrev_b32_e32 v16, 3, v102
	s_mov_b32 s15, exec_lo
	v_cmpx_gt_u32_e32 8, v102
; %bb.1015:                             ;   in Loop: Header=BB279_927 Depth=1
	s_delay_alu instid0(VALU_DEP_3) | instskip(NEXT) | instid1(VALU_DEP_1)
	v_clz_i32_u32_e32 v16, v6
	v_min_u32_e32 v16, 32, v16
	s_delay_alu instid0(VALU_DEP_1) | instskip(SKIP_1) | instid1(VALU_DEP_2)
	v_subrev_nc_u32_e32 v17, 28, v16
	v_sub_nc_u32_e32 v16, 29, v16
	v_lshlrev_b64 v[102:103], v17, v[6:7]
	s_delay_alu instid0(VALU_DEP_1)
	v_and_b32_e32 v6, 7, v102
; %bb.1016:                             ;   in Loop: Header=BB279_927 Depth=1
	s_or_b32 exec_lo, exec_lo, s15
	v_lshlrev_b32_e32 v17, 24, v101
	s_delay_alu instid0(VALU_DEP_2) | instskip(SKIP_1) | instid1(VALU_DEP_3)
	v_lshlrev_b32_e32 v6, 20, v6
	v_lshl_add_u32 v16, v16, 23, 0x3c000000
	v_and_b32_e32 v17, 0x80000000, v17
	s_delay_alu instid0(VALU_DEP_1) | instskip(NEXT) | instid1(VALU_DEP_1)
	v_or3_b32 v6, v6, v17, v16
	v_dual_mov_b32 v17, v7 :: v_dual_mov_b32 v16, v6
.LBB279_1017:                           ;   in Loop: Header=BB279_927 Depth=1
	s_or_b32 exec_lo, exec_lo, s13
.LBB279_1018:                           ;   in Loop: Header=BB279_927 Depth=1
	s_delay_alu instid0(SALU_CYCLE_1)
	s_or_b32 exec_lo, exec_lo, s12
.LBB279_1019:                           ;   in Loop: Header=BB279_927 Depth=1
	s_delay_alu instid0(SALU_CYCLE_1) | instskip(NEXT) | instid1(SALU_CYCLE_1)
	s_or_b32 exec_lo, exec_lo, s10
	s_mov_b32 s12, exec_lo
	v_cmpx_lt_u32_e32 0xffffff, v100
	s_cbranch_execz .LBB279_1027
; %bb.1020:                             ;   in Loop: Header=BB279_927 Depth=1
	v_lshrrev_b32_e32 v101, 24, v100
	v_dual_mov_b32 v19, s9 :: v_dual_mov_b32 v18, s8
	s_mov_b32 s13, exec_lo
	s_delay_alu instid0(VALU_DEP_2)
	v_cmpx_ne_u32_e32 0x80, v101
	s_cbranch_execz .LBB279_1026
; %bb.1021:                             ;   in Loop: Header=BB279_927 Depth=1
	s_mov_b32 s10, s8
	v_bfe_u32 v100, v100, 24, 7
	v_dual_mov_b32 v19, s11 :: v_dual_mov_b32 v18, s10
	s_mov_b32 s10, exec_lo
	s_delay_alu instid0(VALU_DEP_2)
	v_cmpx_ne_u32_e32 0x7f, v100
	s_cbranch_execz .LBB279_1025
; %bb.1022:                             ;   in Loop: Header=BB279_927 Depth=1
	v_and_b32_e32 v6, 7, v101
	v_lshrrev_b32_e32 v18, 3, v100
	s_mov_b32 s15, exec_lo
	v_cmpx_gt_u32_e32 8, v100
; %bb.1023:                             ;   in Loop: Header=BB279_927 Depth=1
	s_delay_alu instid0(VALU_DEP_3) | instskip(NEXT) | instid1(VALU_DEP_1)
	v_clz_i32_u32_e32 v18, v6
	v_min_u32_e32 v18, 32, v18
	s_delay_alu instid0(VALU_DEP_1) | instskip(SKIP_1) | instid1(VALU_DEP_2)
	v_subrev_nc_u32_e32 v19, 28, v18
	v_sub_nc_u32_e32 v18, 29, v18
	v_lshlrev_b64 v[102:103], v19, v[6:7]
	s_delay_alu instid0(VALU_DEP_1)
	v_and_b32_e32 v6, 7, v102
; %bb.1024:                             ;   in Loop: Header=BB279_927 Depth=1
	s_or_b32 exec_lo, exec_lo, s15
	v_lshlrev_b32_e32 v19, 24, v101
	s_delay_alu instid0(VALU_DEP_2) | instskip(SKIP_1) | instid1(VALU_DEP_3)
	v_lshlrev_b32_e32 v6, 20, v6
	v_lshl_add_u32 v18, v18, 23, 0x3c000000
	v_and_b32_e32 v19, 0x80000000, v19
	s_delay_alu instid0(VALU_DEP_1)
	v_or3_b32 v19, v6, v19, v18
	v_mov_b32_e32 v18, v7
.LBB279_1025:                           ;   in Loop: Header=BB279_927 Depth=1
	s_or_b32 exec_lo, exec_lo, s10
.LBB279_1026:                           ;   in Loop: Header=BB279_927 Depth=1
	s_delay_alu instid0(SALU_CYCLE_1)
	s_or_b32 exec_lo, exec_lo, s13
.LBB279_1027:                           ;   in Loop: Header=BB279_927 Depth=1
	s_delay_alu instid0(SALU_CYCLE_1) | instskip(SKIP_4) | instid1(VALU_DEP_4)
	s_or_b32 exec_lo, exec_lo, s12
	v_or_b32_e32 v5, v15, v5
	v_or_b32_e32 v4, v14, v4
	;; [unrolled: 1-line block ×4, first 2 shown]
	v_mul_f32_e32 v103, v80, v5
	s_delay_alu instid0(VALU_DEP_4) | instskip(NEXT) | instid1(VALU_DEP_4)
	v_mul_f32_e32 v102, v68, v4
	v_mul_f32_e32 v100, v80, v6
	s_delay_alu instid0(VALU_DEP_4)
	v_mul_f32_e32 v101, v68, v14
	s_and_saveexec_b32 s10, vcc_lo
; %bb.1028:                             ;   in Loop: Header=BB279_927 Depth=1
	v_cmp_lt_i32_e64 s0, v85, v122
	s_delay_alu instid0(VALU_DEP_1) | instskip(SKIP_1) | instid1(VALU_DEP_1)
	v_cndmask_b32_e64 v102, 0, v102, s0
	v_cmp_lt_i32_e64 s0, v87, v122
	v_cndmask_b32_e64 v103, 0, v103, s0
	v_cmp_lt_i32_e64 s0, v86, v122
	s_delay_alu instid0(VALU_DEP_1) | instskip(SKIP_1) | instid1(VALU_DEP_1)
	v_cndmask_b32_e64 v101, 0, v101, s0
	v_cmp_lt_i32_e64 s0, v70, v122
	v_cndmask_b32_e64 v100, 0, v100, s0
; %bb.1029:                             ;   in Loop: Header=BB279_927 Depth=1
	s_or_b32 exec_lo, exec_lo, s10
	flat_load_b32 v112, v[12:13] offset:384
	v_mov_b32_e32 v14, 0
	v_mov_b32_e32 v15, 0
	s_mov_b32 s10, exec_lo
	s_waitcnt vmcnt(0) lgkmcnt(0)
	v_and_b32_e32 v6, 0xff, v112
	s_delay_alu instid0(VALU_DEP_2) | instskip(NEXT) | instid1(VALU_DEP_2)
	v_dual_mov_b32 v4, v14 :: v_dual_mov_b32 v5, v15
	v_cmpx_ne_u16_e32 0, v6
	s_cbranch_execz .LBB279_1037
; %bb.1030:                             ;   in Loop: Header=BB279_927 Depth=1
	v_bfrev_b32_e32 v4, 1
	v_mov_b32_e32 v5, 0
	s_mov_b32 s12, exec_lo
	v_cmpx_ne_u16_e32 0x80, v6
	s_cbranch_execz .LBB279_1036
; %bb.1031:                             ;   in Loop: Header=BB279_927 Depth=1
	v_mov_b32_e32 v4, 0x7f800001
	v_dual_mov_b32 v5, 0 :: v_dual_and_b32 v16, 0x7f, v112
	s_mov_b32 s13, exec_lo
	s_delay_alu instid0(VALU_DEP_1)
	v_cmpx_ne_u32_e32 0x7f, v16
	s_cbranch_execz .LBB279_1035
; %bb.1032:                             ;   in Loop: Header=BB279_927 Depth=1
	v_and_b32_e32 v6, 7, v112
	v_lshrrev_b32_e32 v4, 3, v16
	s_mov_b32 s15, exec_lo
	v_cmpx_gt_u32_e32 8, v16
; %bb.1033:                             ;   in Loop: Header=BB279_927 Depth=1
	s_delay_alu instid0(VALU_DEP_3) | instskip(NEXT) | instid1(VALU_DEP_1)
	v_clz_i32_u32_e32 v4, v6
	v_min_u32_e32 v4, 32, v4
	s_delay_alu instid0(VALU_DEP_1) | instskip(SKIP_1) | instid1(VALU_DEP_2)
	v_subrev_nc_u32_e32 v5, 28, v4
	v_sub_nc_u32_e32 v4, 29, v4
	v_lshlrev_b64 v[5:6], v5, v[6:7]
	s_delay_alu instid0(VALU_DEP_1)
	v_and_b32_e32 v6, 7, v5
; %bb.1034:                             ;   in Loop: Header=BB279_927 Depth=1
	s_or_b32 exec_lo, exec_lo, s15
	v_lshlrev_b32_e32 v5, 24, v112
	s_delay_alu instid0(VALU_DEP_2) | instskip(SKIP_1) | instid1(VALU_DEP_3)
	v_lshlrev_b32_e32 v6, 20, v6
	v_lshl_add_u32 v4, v4, 23, 0x3c000000
	v_and_b32_e32 v5, 0x80000000, v5
	s_delay_alu instid0(VALU_DEP_1) | instskip(NEXT) | instid1(VALU_DEP_1)
	v_or3_b32 v6, v6, v5, v4
	v_dual_mov_b32 v4, v6 :: v_dual_mov_b32 v5, v7
.LBB279_1035:                           ;   in Loop: Header=BB279_927 Depth=1
	s_or_b32 exec_lo, exec_lo, s13
.LBB279_1036:                           ;   in Loop: Header=BB279_927 Depth=1
	s_delay_alu instid0(SALU_CYCLE_1)
	s_or_b32 exec_lo, exec_lo, s12
.LBB279_1037:                           ;   in Loop: Header=BB279_927 Depth=1
	s_delay_alu instid0(SALU_CYCLE_1) | instskip(SKIP_2) | instid1(VALU_DEP_1)
	s_or_b32 exec_lo, exec_lo, s10
	v_lshrrev_b16 v6, 8, v112
	s_mov_b32 s12, exec_lo
	v_cmpx_ne_u16_e32 0, v6
	s_cbranch_execz .LBB279_1045
; %bb.1038:                             ;   in Loop: Header=BB279_927 Depth=1
	v_dual_mov_b32 v15, s9 :: v_dual_mov_b32 v14, s8
	s_mov_b32 s13, exec_lo
	v_cmpx_ne_u16_e32 0x80, v6
	s_cbranch_execz .LBB279_1044
; %bb.1039:                             ;   in Loop: Header=BB279_927 Depth=1
	s_mov_b32 s10, s8
	v_dual_mov_b32 v15, s11 :: v_dual_and_b32 v6, 0xffff, v6
	v_mov_b32_e32 v14, s10
	s_mov_b32 s10, exec_lo
	s_delay_alu instid0(VALU_DEP_2) | instskip(NEXT) | instid1(VALU_DEP_1)
	v_and_b32_e32 v16, 0x7f, v6
	v_cmpx_ne_u32_e32 0x7f, v16
	s_cbranch_execz .LBB279_1043
; %bb.1040:                             ;   in Loop: Header=BB279_927 Depth=1
	v_and_b32_e32 v6, 7, v6
	v_lshrrev_b32_e32 v14, 3, v16
	s_mov_b32 s15, exec_lo
	v_cmpx_gt_u32_e32 8, v16
; %bb.1041:                             ;   in Loop: Header=BB279_927 Depth=1
	s_delay_alu instid0(VALU_DEP_3) | instskip(NEXT) | instid1(VALU_DEP_1)
	v_clz_i32_u32_e32 v14, v6
	v_min_u32_e32 v14, 32, v14
	s_delay_alu instid0(VALU_DEP_1) | instskip(SKIP_1) | instid1(VALU_DEP_2)
	v_subrev_nc_u32_e32 v15, 28, v14
	v_sub_nc_u32_e32 v14, 29, v14
	v_lshlrev_b64 v[15:16], v15, v[6:7]
	s_delay_alu instid0(VALU_DEP_1)
	v_and_b32_e32 v6, 7, v15
; %bb.1042:                             ;   in Loop: Header=BB279_927 Depth=1
	s_or_b32 exec_lo, exec_lo, s15
	v_lshlrev_b32_e32 v15, 16, v112
	s_delay_alu instid0(VALU_DEP_2) | instskip(SKIP_1) | instid1(VALU_DEP_3)
	v_lshlrev_b32_e32 v6, 20, v6
	v_lshl_add_u32 v14, v14, 23, 0x3c000000
	v_and_b32_e32 v15, 0x80000000, v15
	s_delay_alu instid0(VALU_DEP_1)
	v_or3_b32 v15, v6, v15, v14
	v_mov_b32_e32 v14, v7
.LBB279_1043:                           ;   in Loop: Header=BB279_927 Depth=1
	s_or_b32 exec_lo, exec_lo, s10
.LBB279_1044:                           ;   in Loop: Header=BB279_927 Depth=1
	s_delay_alu instid0(SALU_CYCLE_1)
	s_or_b32 exec_lo, exec_lo, s13
.LBB279_1045:                           ;   in Loop: Header=BB279_927 Depth=1
	s_delay_alu instid0(SALU_CYCLE_1) | instskip(SKIP_4) | instid1(VALU_DEP_2)
	s_or_b32 exec_lo, exec_lo, s12
	v_mov_b32_e32 v18, 0
	v_lshrrev_b32_e32 v113, 16, v112
	v_mov_b32_e32 v19, 0
	s_mov_b32 s10, exec_lo
	v_and_b32_e32 v6, 0xff, v113
	s_delay_alu instid0(VALU_DEP_2) | instskip(NEXT) | instid1(VALU_DEP_2)
	v_dual_mov_b32 v16, v18 :: v_dual_mov_b32 v17, v19
	v_cmpx_ne_u16_e32 0, v6
	s_cbranch_execz .LBB279_1053
; %bb.1046:                             ;   in Loop: Header=BB279_927 Depth=1
	v_bfrev_b32_e32 v16, 1
	v_mov_b32_e32 v17, 0
	s_mov_b32 s12, exec_lo
	v_cmpx_ne_u16_e32 0x80, v6
	s_cbranch_execz .LBB279_1052
; %bb.1047:                             ;   in Loop: Header=BB279_927 Depth=1
	v_mov_b32_e32 v16, 0x7f800001
	v_bfe_u32 v114, v112, 16, 7
	v_mov_b32_e32 v17, 0
	s_mov_b32 s13, exec_lo
	s_delay_alu instid0(VALU_DEP_2)
	v_cmpx_ne_u32_e32 0x7f, v114
	s_cbranch_execz .LBB279_1051
; %bb.1048:                             ;   in Loop: Header=BB279_927 Depth=1
	v_and_b32_e32 v6, 7, v113
	v_lshrrev_b32_e32 v16, 3, v114
	s_mov_b32 s15, exec_lo
	v_cmpx_gt_u32_e32 8, v114
; %bb.1049:                             ;   in Loop: Header=BB279_927 Depth=1
	s_delay_alu instid0(VALU_DEP_3) | instskip(NEXT) | instid1(VALU_DEP_1)
	v_clz_i32_u32_e32 v16, v6
	v_min_u32_e32 v16, 32, v16
	s_delay_alu instid0(VALU_DEP_1) | instskip(SKIP_1) | instid1(VALU_DEP_2)
	v_subrev_nc_u32_e32 v17, 28, v16
	v_sub_nc_u32_e32 v16, 29, v16
	v_lshlrev_b64 v[114:115], v17, v[6:7]
	s_delay_alu instid0(VALU_DEP_1)
	v_and_b32_e32 v6, 7, v114
; %bb.1050:                             ;   in Loop: Header=BB279_927 Depth=1
	s_or_b32 exec_lo, exec_lo, s15
	v_lshlrev_b32_e32 v17, 24, v113
	s_delay_alu instid0(VALU_DEP_2) | instskip(SKIP_1) | instid1(VALU_DEP_3)
	v_lshlrev_b32_e32 v6, 20, v6
	v_lshl_add_u32 v16, v16, 23, 0x3c000000
	v_and_b32_e32 v17, 0x80000000, v17
	s_delay_alu instid0(VALU_DEP_1) | instskip(NEXT) | instid1(VALU_DEP_1)
	v_or3_b32 v6, v6, v17, v16
	v_dual_mov_b32 v17, v7 :: v_dual_mov_b32 v16, v6
.LBB279_1051:                           ;   in Loop: Header=BB279_927 Depth=1
	s_or_b32 exec_lo, exec_lo, s13
.LBB279_1052:                           ;   in Loop: Header=BB279_927 Depth=1
	s_delay_alu instid0(SALU_CYCLE_1)
	s_or_b32 exec_lo, exec_lo, s12
.LBB279_1053:                           ;   in Loop: Header=BB279_927 Depth=1
	s_delay_alu instid0(SALU_CYCLE_1) | instskip(NEXT) | instid1(SALU_CYCLE_1)
	s_or_b32 exec_lo, exec_lo, s10
	s_mov_b32 s12, exec_lo
	v_cmpx_lt_u32_e32 0xffffff, v112
	s_cbranch_execz .LBB279_1061
; %bb.1054:                             ;   in Loop: Header=BB279_927 Depth=1
	v_lshrrev_b32_e32 v113, 24, v112
	v_dual_mov_b32 v19, s9 :: v_dual_mov_b32 v18, s8
	s_mov_b32 s13, exec_lo
	s_delay_alu instid0(VALU_DEP_2)
	v_cmpx_ne_u32_e32 0x80, v113
	s_cbranch_execz .LBB279_1060
; %bb.1055:                             ;   in Loop: Header=BB279_927 Depth=1
	s_mov_b32 s10, s8
	v_bfe_u32 v112, v112, 24, 7
	v_dual_mov_b32 v19, s11 :: v_dual_mov_b32 v18, s10
	s_mov_b32 s10, exec_lo
	s_delay_alu instid0(VALU_DEP_2)
	v_cmpx_ne_u32_e32 0x7f, v112
	s_cbranch_execz .LBB279_1059
; %bb.1056:                             ;   in Loop: Header=BB279_927 Depth=1
	v_and_b32_e32 v6, 7, v113
	v_lshrrev_b32_e32 v18, 3, v112
	s_mov_b32 s15, exec_lo
	v_cmpx_gt_u32_e32 8, v112
; %bb.1057:                             ;   in Loop: Header=BB279_927 Depth=1
	s_delay_alu instid0(VALU_DEP_3) | instskip(NEXT) | instid1(VALU_DEP_1)
	v_clz_i32_u32_e32 v18, v6
	v_min_u32_e32 v18, 32, v18
	s_delay_alu instid0(VALU_DEP_1) | instskip(SKIP_1) | instid1(VALU_DEP_2)
	v_subrev_nc_u32_e32 v19, 28, v18
	v_sub_nc_u32_e32 v18, 29, v18
	v_lshlrev_b64 v[114:115], v19, v[6:7]
	s_delay_alu instid0(VALU_DEP_1)
	v_and_b32_e32 v6, 7, v114
; %bb.1058:                             ;   in Loop: Header=BB279_927 Depth=1
	s_or_b32 exec_lo, exec_lo, s15
	v_lshlrev_b32_e32 v19, 24, v113
	s_delay_alu instid0(VALU_DEP_2) | instskip(SKIP_1) | instid1(VALU_DEP_3)
	v_lshlrev_b32_e32 v6, 20, v6
	v_lshl_add_u32 v18, v18, 23, 0x3c000000
	v_and_b32_e32 v19, 0x80000000, v19
	s_delay_alu instid0(VALU_DEP_1)
	v_or3_b32 v19, v6, v19, v18
	v_mov_b32_e32 v18, v7
.LBB279_1059:                           ;   in Loop: Header=BB279_927 Depth=1
	s_or_b32 exec_lo, exec_lo, s10
.LBB279_1060:                           ;   in Loop: Header=BB279_927 Depth=1
	s_delay_alu instid0(SALU_CYCLE_1)
	s_or_b32 exec_lo, exec_lo, s13
.LBB279_1061:                           ;   in Loop: Header=BB279_927 Depth=1
	s_delay_alu instid0(SALU_CYCLE_1) | instskip(SKIP_4) | instid1(VALU_DEP_4)
	s_or_b32 exec_lo, exec_lo, s12
	v_or_b32_e32 v5, v15, v5
	v_or_b32_e32 v4, v14, v4
	;; [unrolled: 1-line block ×4, first 2 shown]
	v_mul_f32_e32 v115, v80, v5
	s_delay_alu instid0(VALU_DEP_4) | instskip(NEXT) | instid1(VALU_DEP_4)
	v_mul_f32_e32 v114, v68, v4
	v_mul_f32_e32 v112, v80, v6
	s_delay_alu instid0(VALU_DEP_4)
	v_mul_f32_e32 v113, v68, v14
	s_and_saveexec_b32 s10, vcc_lo
; %bb.1062:                             ;   in Loop: Header=BB279_927 Depth=1
	v_cmp_lt_i32_e64 s0, v85, v122
	s_delay_alu instid0(VALU_DEP_1) | instskip(SKIP_1) | instid1(VALU_DEP_1)
	v_cndmask_b32_e64 v114, 0, v114, s0
	v_cmp_lt_i32_e64 s0, v87, v122
	v_cndmask_b32_e64 v115, 0, v115, s0
	v_cmp_lt_i32_e64 s0, v86, v122
	s_delay_alu instid0(VALU_DEP_1) | instskip(SKIP_1) | instid1(VALU_DEP_1)
	v_cndmask_b32_e64 v113, 0, v113, s0
	v_cmp_lt_i32_e64 s0, v70, v122
	v_cndmask_b32_e64 v112, 0, v112, s0
; %bb.1063:                             ;   in Loop: Header=BB279_927 Depth=1
	s_or_b32 exec_lo, exec_lo, s10
	flat_load_b32 v116, v[12:13] offset:512
	v_mov_b32_e32 v14, 0
	v_mov_b32_e32 v15, 0
	s_mov_b32 s10, exec_lo
	s_waitcnt vmcnt(0) lgkmcnt(0)
	v_and_b32_e32 v6, 0xff, v116
	s_delay_alu instid0(VALU_DEP_2) | instskip(NEXT) | instid1(VALU_DEP_2)
	v_dual_mov_b32 v4, v14 :: v_dual_mov_b32 v5, v15
	v_cmpx_ne_u16_e32 0, v6
	s_cbranch_execz .LBB279_1071
; %bb.1064:                             ;   in Loop: Header=BB279_927 Depth=1
	v_bfrev_b32_e32 v4, 1
	v_mov_b32_e32 v5, 0
	s_mov_b32 s12, exec_lo
	v_cmpx_ne_u16_e32 0x80, v6
	s_cbranch_execz .LBB279_1070
; %bb.1065:                             ;   in Loop: Header=BB279_927 Depth=1
	v_mov_b32_e32 v4, 0x7f800001
	v_dual_mov_b32 v5, 0 :: v_dual_and_b32 v16, 0x7f, v116
	s_mov_b32 s13, exec_lo
	s_delay_alu instid0(VALU_DEP_1)
	v_cmpx_ne_u32_e32 0x7f, v16
	s_cbranch_execz .LBB279_1069
; %bb.1066:                             ;   in Loop: Header=BB279_927 Depth=1
	v_and_b32_e32 v6, 7, v116
	v_lshrrev_b32_e32 v4, 3, v16
	s_mov_b32 s15, exec_lo
	v_cmpx_gt_u32_e32 8, v16
; %bb.1067:                             ;   in Loop: Header=BB279_927 Depth=1
	s_delay_alu instid0(VALU_DEP_3) | instskip(NEXT) | instid1(VALU_DEP_1)
	v_clz_i32_u32_e32 v4, v6
	v_min_u32_e32 v4, 32, v4
	s_delay_alu instid0(VALU_DEP_1) | instskip(SKIP_1) | instid1(VALU_DEP_2)
	v_subrev_nc_u32_e32 v5, 28, v4
	v_sub_nc_u32_e32 v4, 29, v4
	v_lshlrev_b64 v[5:6], v5, v[6:7]
	s_delay_alu instid0(VALU_DEP_1)
	v_and_b32_e32 v6, 7, v5
; %bb.1068:                             ;   in Loop: Header=BB279_927 Depth=1
	s_or_b32 exec_lo, exec_lo, s15
	v_lshlrev_b32_e32 v5, 24, v116
	s_delay_alu instid0(VALU_DEP_2) | instskip(SKIP_1) | instid1(VALU_DEP_3)
	v_lshlrev_b32_e32 v6, 20, v6
	v_lshl_add_u32 v4, v4, 23, 0x3c000000
	v_and_b32_e32 v5, 0x80000000, v5
	s_delay_alu instid0(VALU_DEP_1) | instskip(NEXT) | instid1(VALU_DEP_1)
	v_or3_b32 v6, v6, v5, v4
	v_dual_mov_b32 v4, v6 :: v_dual_mov_b32 v5, v7
.LBB279_1069:                           ;   in Loop: Header=BB279_927 Depth=1
	s_or_b32 exec_lo, exec_lo, s13
.LBB279_1070:                           ;   in Loop: Header=BB279_927 Depth=1
	s_delay_alu instid0(SALU_CYCLE_1)
	s_or_b32 exec_lo, exec_lo, s12
.LBB279_1071:                           ;   in Loop: Header=BB279_927 Depth=1
	s_delay_alu instid0(SALU_CYCLE_1) | instskip(SKIP_2) | instid1(VALU_DEP_1)
	s_or_b32 exec_lo, exec_lo, s10
	v_lshrrev_b16 v6, 8, v116
	s_mov_b32 s12, exec_lo
	v_cmpx_ne_u16_e32 0, v6
	s_cbranch_execz .LBB279_1079
; %bb.1072:                             ;   in Loop: Header=BB279_927 Depth=1
	v_dual_mov_b32 v15, s9 :: v_dual_mov_b32 v14, s8
	s_mov_b32 s13, exec_lo
	v_cmpx_ne_u16_e32 0x80, v6
	s_cbranch_execz .LBB279_1078
; %bb.1073:                             ;   in Loop: Header=BB279_927 Depth=1
	s_mov_b32 s10, s8
	v_dual_mov_b32 v15, s11 :: v_dual_and_b32 v6, 0xffff, v6
	v_mov_b32_e32 v14, s10
	s_mov_b32 s10, exec_lo
	s_delay_alu instid0(VALU_DEP_2) | instskip(NEXT) | instid1(VALU_DEP_1)
	v_and_b32_e32 v16, 0x7f, v6
	v_cmpx_ne_u32_e32 0x7f, v16
	s_cbranch_execz .LBB279_1077
; %bb.1074:                             ;   in Loop: Header=BB279_927 Depth=1
	v_and_b32_e32 v6, 7, v6
	v_lshrrev_b32_e32 v14, 3, v16
	s_mov_b32 s15, exec_lo
	v_cmpx_gt_u32_e32 8, v16
; %bb.1075:                             ;   in Loop: Header=BB279_927 Depth=1
	s_delay_alu instid0(VALU_DEP_3) | instskip(NEXT) | instid1(VALU_DEP_1)
	v_clz_i32_u32_e32 v14, v6
	v_min_u32_e32 v14, 32, v14
	s_delay_alu instid0(VALU_DEP_1) | instskip(SKIP_1) | instid1(VALU_DEP_2)
	v_subrev_nc_u32_e32 v15, 28, v14
	v_sub_nc_u32_e32 v14, 29, v14
	v_lshlrev_b64 v[15:16], v15, v[6:7]
	s_delay_alu instid0(VALU_DEP_1)
	v_and_b32_e32 v6, 7, v15
; %bb.1076:                             ;   in Loop: Header=BB279_927 Depth=1
	s_or_b32 exec_lo, exec_lo, s15
	v_lshlrev_b32_e32 v15, 16, v116
	s_delay_alu instid0(VALU_DEP_2) | instskip(SKIP_1) | instid1(VALU_DEP_3)
	v_lshlrev_b32_e32 v6, 20, v6
	v_lshl_add_u32 v14, v14, 23, 0x3c000000
	v_and_b32_e32 v15, 0x80000000, v15
	s_delay_alu instid0(VALU_DEP_1)
	v_or3_b32 v15, v6, v15, v14
	v_mov_b32_e32 v14, v7
.LBB279_1077:                           ;   in Loop: Header=BB279_927 Depth=1
	s_or_b32 exec_lo, exec_lo, s10
.LBB279_1078:                           ;   in Loop: Header=BB279_927 Depth=1
	s_delay_alu instid0(SALU_CYCLE_1)
	s_or_b32 exec_lo, exec_lo, s13
.LBB279_1079:                           ;   in Loop: Header=BB279_927 Depth=1
	s_delay_alu instid0(SALU_CYCLE_1) | instskip(SKIP_4) | instid1(VALU_DEP_2)
	s_or_b32 exec_lo, exec_lo, s12
	v_mov_b32_e32 v18, 0
	v_lshrrev_b32_e32 v117, 16, v116
	v_mov_b32_e32 v19, 0
	s_mov_b32 s10, exec_lo
	v_and_b32_e32 v6, 0xff, v117
	s_delay_alu instid0(VALU_DEP_2) | instskip(NEXT) | instid1(VALU_DEP_2)
	v_dual_mov_b32 v16, v18 :: v_dual_mov_b32 v17, v19
	v_cmpx_ne_u16_e32 0, v6
	s_cbranch_execz .LBB279_1087
; %bb.1080:                             ;   in Loop: Header=BB279_927 Depth=1
	v_bfrev_b32_e32 v16, 1
	v_mov_b32_e32 v17, 0
	s_mov_b32 s12, exec_lo
	v_cmpx_ne_u16_e32 0x80, v6
	s_cbranch_execz .LBB279_1086
; %bb.1081:                             ;   in Loop: Header=BB279_927 Depth=1
	v_mov_b32_e32 v16, 0x7f800001
	v_bfe_u32 v118, v116, 16, 7
	v_mov_b32_e32 v17, 0
	s_mov_b32 s13, exec_lo
	s_delay_alu instid0(VALU_DEP_2)
	v_cmpx_ne_u32_e32 0x7f, v118
	s_cbranch_execz .LBB279_1085
; %bb.1082:                             ;   in Loop: Header=BB279_927 Depth=1
	v_and_b32_e32 v6, 7, v117
	v_lshrrev_b32_e32 v16, 3, v118
	s_mov_b32 s15, exec_lo
	v_cmpx_gt_u32_e32 8, v118
; %bb.1083:                             ;   in Loop: Header=BB279_927 Depth=1
	s_delay_alu instid0(VALU_DEP_3) | instskip(NEXT) | instid1(VALU_DEP_1)
	v_clz_i32_u32_e32 v16, v6
	v_min_u32_e32 v16, 32, v16
	s_delay_alu instid0(VALU_DEP_1) | instskip(SKIP_1) | instid1(VALU_DEP_2)
	v_subrev_nc_u32_e32 v17, 28, v16
	v_sub_nc_u32_e32 v16, 29, v16
	v_lshlrev_b64 v[118:119], v17, v[6:7]
	s_delay_alu instid0(VALU_DEP_1)
	v_and_b32_e32 v6, 7, v118
; %bb.1084:                             ;   in Loop: Header=BB279_927 Depth=1
	s_or_b32 exec_lo, exec_lo, s15
	v_lshlrev_b32_e32 v17, 24, v117
	s_delay_alu instid0(VALU_DEP_2) | instskip(SKIP_1) | instid1(VALU_DEP_3)
	v_lshlrev_b32_e32 v6, 20, v6
	v_lshl_add_u32 v16, v16, 23, 0x3c000000
	v_and_b32_e32 v17, 0x80000000, v17
	s_delay_alu instid0(VALU_DEP_1) | instskip(NEXT) | instid1(VALU_DEP_1)
	v_or3_b32 v6, v6, v17, v16
	v_dual_mov_b32 v17, v7 :: v_dual_mov_b32 v16, v6
.LBB279_1085:                           ;   in Loop: Header=BB279_927 Depth=1
	s_or_b32 exec_lo, exec_lo, s13
.LBB279_1086:                           ;   in Loop: Header=BB279_927 Depth=1
	s_delay_alu instid0(SALU_CYCLE_1)
	s_or_b32 exec_lo, exec_lo, s12
.LBB279_1087:                           ;   in Loop: Header=BB279_927 Depth=1
	s_delay_alu instid0(SALU_CYCLE_1) | instskip(NEXT) | instid1(SALU_CYCLE_1)
	s_or_b32 exec_lo, exec_lo, s10
	s_mov_b32 s12, exec_lo
	v_cmpx_lt_u32_e32 0xffffff, v116
	s_cbranch_execz .LBB279_1095
; %bb.1088:                             ;   in Loop: Header=BB279_927 Depth=1
	v_lshrrev_b32_e32 v117, 24, v116
	v_dual_mov_b32 v19, s9 :: v_dual_mov_b32 v18, s8
	s_mov_b32 s13, exec_lo
	s_delay_alu instid0(VALU_DEP_2)
	v_cmpx_ne_u32_e32 0x80, v117
	s_cbranch_execz .LBB279_1094
; %bb.1089:                             ;   in Loop: Header=BB279_927 Depth=1
	s_mov_b32 s10, s8
	v_bfe_u32 v116, v116, 24, 7
	v_dual_mov_b32 v19, s11 :: v_dual_mov_b32 v18, s10
	s_mov_b32 s10, exec_lo
	s_delay_alu instid0(VALU_DEP_2)
	v_cmpx_ne_u32_e32 0x7f, v116
	s_cbranch_execz .LBB279_1093
; %bb.1090:                             ;   in Loop: Header=BB279_927 Depth=1
	v_and_b32_e32 v6, 7, v117
	v_lshrrev_b32_e32 v18, 3, v116
	s_mov_b32 s15, exec_lo
	v_cmpx_gt_u32_e32 8, v116
; %bb.1091:                             ;   in Loop: Header=BB279_927 Depth=1
	s_delay_alu instid0(VALU_DEP_3) | instskip(NEXT) | instid1(VALU_DEP_1)
	v_clz_i32_u32_e32 v18, v6
	v_min_u32_e32 v18, 32, v18
	s_delay_alu instid0(VALU_DEP_1) | instskip(SKIP_1) | instid1(VALU_DEP_2)
	v_subrev_nc_u32_e32 v19, 28, v18
	v_sub_nc_u32_e32 v18, 29, v18
	v_lshlrev_b64 v[118:119], v19, v[6:7]
	s_delay_alu instid0(VALU_DEP_1)
	v_and_b32_e32 v6, 7, v118
; %bb.1092:                             ;   in Loop: Header=BB279_927 Depth=1
	s_or_b32 exec_lo, exec_lo, s15
	v_lshlrev_b32_e32 v19, 24, v117
	s_delay_alu instid0(VALU_DEP_2) | instskip(SKIP_1) | instid1(VALU_DEP_3)
	v_lshlrev_b32_e32 v6, 20, v6
	v_lshl_add_u32 v18, v18, 23, 0x3c000000
	v_and_b32_e32 v19, 0x80000000, v19
	s_delay_alu instid0(VALU_DEP_1)
	v_or3_b32 v19, v6, v19, v18
	v_mov_b32_e32 v18, v7
.LBB279_1093:                           ;   in Loop: Header=BB279_927 Depth=1
	s_or_b32 exec_lo, exec_lo, s10
.LBB279_1094:                           ;   in Loop: Header=BB279_927 Depth=1
	s_delay_alu instid0(SALU_CYCLE_1)
	s_or_b32 exec_lo, exec_lo, s13
.LBB279_1095:                           ;   in Loop: Header=BB279_927 Depth=1
	s_delay_alu instid0(SALU_CYCLE_1) | instskip(SKIP_4) | instid1(VALU_DEP_4)
	s_or_b32 exec_lo, exec_lo, s12
	v_or_b32_e32 v5, v15, v5
	v_or_b32_e32 v4, v14, v4
	;; [unrolled: 1-line block ×4, first 2 shown]
	v_mul_f32_e32 v119, v80, v5
	s_delay_alu instid0(VALU_DEP_4) | instskip(NEXT) | instid1(VALU_DEP_4)
	v_mul_f32_e32 v118, v68, v4
	v_mul_f32_e32 v116, v80, v6
	s_delay_alu instid0(VALU_DEP_4)
	v_mul_f32_e32 v117, v68, v14
	s_and_saveexec_b32 s10, vcc_lo
; %bb.1096:                             ;   in Loop: Header=BB279_927 Depth=1
	v_cmp_lt_i32_e64 s0, v85, v122
	s_delay_alu instid0(VALU_DEP_1) | instskip(SKIP_1) | instid1(VALU_DEP_1)
	v_cndmask_b32_e64 v118, 0, v118, s0
	v_cmp_lt_i32_e64 s0, v87, v122
	v_cndmask_b32_e64 v119, 0, v119, s0
	v_cmp_lt_i32_e64 s0, v86, v122
	s_delay_alu instid0(VALU_DEP_1) | instskip(SKIP_1) | instid1(VALU_DEP_1)
	v_cndmask_b32_e64 v117, 0, v117, s0
	v_cmp_lt_i32_e64 s0, v70, v122
	v_cndmask_b32_e64 v116, 0, v116, s0
; %bb.1097:                             ;   in Loop: Header=BB279_927 Depth=1
	s_or_b32 exec_lo, exec_lo, s10
	flat_load_b32 v128, v[12:13] offset:640
	v_mov_b32_e32 v14, 0
	v_mov_b32_e32 v15, 0
	s_mov_b32 s10, exec_lo
	s_waitcnt vmcnt(0) lgkmcnt(0)
	v_and_b32_e32 v6, 0xff, v128
	s_delay_alu instid0(VALU_DEP_2) | instskip(NEXT) | instid1(VALU_DEP_2)
	v_dual_mov_b32 v4, v14 :: v_dual_mov_b32 v5, v15
	v_cmpx_ne_u16_e32 0, v6
	s_cbranch_execz .LBB279_1105
; %bb.1098:                             ;   in Loop: Header=BB279_927 Depth=1
	v_bfrev_b32_e32 v4, 1
	v_mov_b32_e32 v5, 0
	s_mov_b32 s12, exec_lo
	v_cmpx_ne_u16_e32 0x80, v6
	s_cbranch_execz .LBB279_1104
; %bb.1099:                             ;   in Loop: Header=BB279_927 Depth=1
	v_mov_b32_e32 v4, 0x7f800001
	v_dual_mov_b32 v5, 0 :: v_dual_and_b32 v16, 0x7f, v128
	s_mov_b32 s13, exec_lo
	s_delay_alu instid0(VALU_DEP_1)
	v_cmpx_ne_u32_e32 0x7f, v16
	s_cbranch_execz .LBB279_1103
; %bb.1100:                             ;   in Loop: Header=BB279_927 Depth=1
	v_and_b32_e32 v6, 7, v128
	v_lshrrev_b32_e32 v4, 3, v16
	s_mov_b32 s15, exec_lo
	v_cmpx_gt_u32_e32 8, v16
; %bb.1101:                             ;   in Loop: Header=BB279_927 Depth=1
	s_delay_alu instid0(VALU_DEP_3) | instskip(NEXT) | instid1(VALU_DEP_1)
	v_clz_i32_u32_e32 v4, v6
	v_min_u32_e32 v4, 32, v4
	s_delay_alu instid0(VALU_DEP_1) | instskip(SKIP_1) | instid1(VALU_DEP_2)
	v_subrev_nc_u32_e32 v5, 28, v4
	v_sub_nc_u32_e32 v4, 29, v4
	v_lshlrev_b64 v[5:6], v5, v[6:7]
	s_delay_alu instid0(VALU_DEP_1)
	v_and_b32_e32 v6, 7, v5
; %bb.1102:                             ;   in Loop: Header=BB279_927 Depth=1
	s_or_b32 exec_lo, exec_lo, s15
	v_lshlrev_b32_e32 v5, 24, v128
	s_delay_alu instid0(VALU_DEP_2) | instskip(SKIP_1) | instid1(VALU_DEP_3)
	v_lshlrev_b32_e32 v6, 20, v6
	v_lshl_add_u32 v4, v4, 23, 0x3c000000
	v_and_b32_e32 v5, 0x80000000, v5
	s_delay_alu instid0(VALU_DEP_1) | instskip(NEXT) | instid1(VALU_DEP_1)
	v_or3_b32 v6, v6, v5, v4
	v_dual_mov_b32 v4, v6 :: v_dual_mov_b32 v5, v7
.LBB279_1103:                           ;   in Loop: Header=BB279_927 Depth=1
	s_or_b32 exec_lo, exec_lo, s13
.LBB279_1104:                           ;   in Loop: Header=BB279_927 Depth=1
	s_delay_alu instid0(SALU_CYCLE_1)
	s_or_b32 exec_lo, exec_lo, s12
.LBB279_1105:                           ;   in Loop: Header=BB279_927 Depth=1
	s_delay_alu instid0(SALU_CYCLE_1) | instskip(SKIP_2) | instid1(VALU_DEP_1)
	s_or_b32 exec_lo, exec_lo, s10
	v_lshrrev_b16 v6, 8, v128
	s_mov_b32 s12, exec_lo
	v_cmpx_ne_u16_e32 0, v6
	s_cbranch_execz .LBB279_1113
; %bb.1106:                             ;   in Loop: Header=BB279_927 Depth=1
	v_dual_mov_b32 v15, s9 :: v_dual_mov_b32 v14, s8
	s_mov_b32 s13, exec_lo
	v_cmpx_ne_u16_e32 0x80, v6
	s_cbranch_execz .LBB279_1112
; %bb.1107:                             ;   in Loop: Header=BB279_927 Depth=1
	s_mov_b32 s10, s8
	v_dual_mov_b32 v15, s11 :: v_dual_and_b32 v6, 0xffff, v6
	v_mov_b32_e32 v14, s10
	s_mov_b32 s10, exec_lo
	s_delay_alu instid0(VALU_DEP_2) | instskip(NEXT) | instid1(VALU_DEP_1)
	v_and_b32_e32 v16, 0x7f, v6
	v_cmpx_ne_u32_e32 0x7f, v16
	s_cbranch_execz .LBB279_1111
; %bb.1108:                             ;   in Loop: Header=BB279_927 Depth=1
	v_and_b32_e32 v6, 7, v6
	v_lshrrev_b32_e32 v14, 3, v16
	s_mov_b32 s15, exec_lo
	v_cmpx_gt_u32_e32 8, v16
; %bb.1109:                             ;   in Loop: Header=BB279_927 Depth=1
	s_delay_alu instid0(VALU_DEP_3) | instskip(NEXT) | instid1(VALU_DEP_1)
	v_clz_i32_u32_e32 v14, v6
	v_min_u32_e32 v14, 32, v14
	s_delay_alu instid0(VALU_DEP_1) | instskip(SKIP_1) | instid1(VALU_DEP_2)
	v_subrev_nc_u32_e32 v15, 28, v14
	v_sub_nc_u32_e32 v14, 29, v14
	v_lshlrev_b64 v[15:16], v15, v[6:7]
	s_delay_alu instid0(VALU_DEP_1)
	v_and_b32_e32 v6, 7, v15
; %bb.1110:                             ;   in Loop: Header=BB279_927 Depth=1
	s_or_b32 exec_lo, exec_lo, s15
	v_lshlrev_b32_e32 v15, 16, v128
	s_delay_alu instid0(VALU_DEP_2) | instskip(SKIP_1) | instid1(VALU_DEP_3)
	v_lshlrev_b32_e32 v6, 20, v6
	v_lshl_add_u32 v14, v14, 23, 0x3c000000
	v_and_b32_e32 v15, 0x80000000, v15
	s_delay_alu instid0(VALU_DEP_1)
	v_or3_b32 v15, v6, v15, v14
	v_mov_b32_e32 v14, v7
.LBB279_1111:                           ;   in Loop: Header=BB279_927 Depth=1
	s_or_b32 exec_lo, exec_lo, s10
.LBB279_1112:                           ;   in Loop: Header=BB279_927 Depth=1
	s_delay_alu instid0(SALU_CYCLE_1)
	s_or_b32 exec_lo, exec_lo, s13
.LBB279_1113:                           ;   in Loop: Header=BB279_927 Depth=1
	s_delay_alu instid0(SALU_CYCLE_1) | instskip(SKIP_4) | instid1(VALU_DEP_2)
	s_or_b32 exec_lo, exec_lo, s12
	v_mov_b32_e32 v18, 0
	v_lshrrev_b32_e32 v129, 16, v128
	v_mov_b32_e32 v19, 0
	s_mov_b32 s10, exec_lo
	v_and_b32_e32 v6, 0xff, v129
	s_delay_alu instid0(VALU_DEP_2) | instskip(NEXT) | instid1(VALU_DEP_2)
	v_dual_mov_b32 v16, v18 :: v_dual_mov_b32 v17, v19
	v_cmpx_ne_u16_e32 0, v6
	s_cbranch_execz .LBB279_1121
; %bb.1114:                             ;   in Loop: Header=BB279_927 Depth=1
	v_bfrev_b32_e32 v16, 1
	v_mov_b32_e32 v17, 0
	s_mov_b32 s12, exec_lo
	v_cmpx_ne_u16_e32 0x80, v6
	s_cbranch_execz .LBB279_1120
; %bb.1115:                             ;   in Loop: Header=BB279_927 Depth=1
	v_mov_b32_e32 v16, 0x7f800001
	v_bfe_u32 v130, v128, 16, 7
	v_mov_b32_e32 v17, 0
	s_mov_b32 s13, exec_lo
	s_delay_alu instid0(VALU_DEP_2)
	v_cmpx_ne_u32_e32 0x7f, v130
	s_cbranch_execz .LBB279_1119
; %bb.1116:                             ;   in Loop: Header=BB279_927 Depth=1
	v_and_b32_e32 v6, 7, v129
	v_lshrrev_b32_e32 v16, 3, v130
	s_mov_b32 s15, exec_lo
	v_cmpx_gt_u32_e32 8, v130
; %bb.1117:                             ;   in Loop: Header=BB279_927 Depth=1
	s_delay_alu instid0(VALU_DEP_3) | instskip(NEXT) | instid1(VALU_DEP_1)
	v_clz_i32_u32_e32 v16, v6
	v_min_u32_e32 v16, 32, v16
	s_delay_alu instid0(VALU_DEP_1) | instskip(SKIP_1) | instid1(VALU_DEP_2)
	v_subrev_nc_u32_e32 v17, 28, v16
	v_sub_nc_u32_e32 v16, 29, v16
	v_lshlrev_b64 v[130:131], v17, v[6:7]
	s_delay_alu instid0(VALU_DEP_1)
	v_and_b32_e32 v6, 7, v130
; %bb.1118:                             ;   in Loop: Header=BB279_927 Depth=1
	s_or_b32 exec_lo, exec_lo, s15
	v_lshlrev_b32_e32 v17, 24, v129
	s_delay_alu instid0(VALU_DEP_2) | instskip(SKIP_1) | instid1(VALU_DEP_3)
	v_lshlrev_b32_e32 v6, 20, v6
	v_lshl_add_u32 v16, v16, 23, 0x3c000000
	v_and_b32_e32 v17, 0x80000000, v17
	s_delay_alu instid0(VALU_DEP_1) | instskip(NEXT) | instid1(VALU_DEP_1)
	v_or3_b32 v6, v6, v17, v16
	v_dual_mov_b32 v17, v7 :: v_dual_mov_b32 v16, v6
.LBB279_1119:                           ;   in Loop: Header=BB279_927 Depth=1
	s_or_b32 exec_lo, exec_lo, s13
.LBB279_1120:                           ;   in Loop: Header=BB279_927 Depth=1
	s_delay_alu instid0(SALU_CYCLE_1)
	s_or_b32 exec_lo, exec_lo, s12
.LBB279_1121:                           ;   in Loop: Header=BB279_927 Depth=1
	s_delay_alu instid0(SALU_CYCLE_1) | instskip(NEXT) | instid1(SALU_CYCLE_1)
	s_or_b32 exec_lo, exec_lo, s10
	s_mov_b32 s12, exec_lo
	v_cmpx_lt_u32_e32 0xffffff, v128
	s_cbranch_execz .LBB279_1129
; %bb.1122:                             ;   in Loop: Header=BB279_927 Depth=1
	v_lshrrev_b32_e32 v129, 24, v128
	v_dual_mov_b32 v19, s9 :: v_dual_mov_b32 v18, s8
	s_mov_b32 s13, exec_lo
	s_delay_alu instid0(VALU_DEP_2)
	v_cmpx_ne_u32_e32 0x80, v129
	s_cbranch_execz .LBB279_1128
; %bb.1123:                             ;   in Loop: Header=BB279_927 Depth=1
	s_mov_b32 s10, s8
	v_bfe_u32 v128, v128, 24, 7
	v_dual_mov_b32 v19, s11 :: v_dual_mov_b32 v18, s10
	s_mov_b32 s10, exec_lo
	s_delay_alu instid0(VALU_DEP_2)
	v_cmpx_ne_u32_e32 0x7f, v128
	s_cbranch_execz .LBB279_1127
; %bb.1124:                             ;   in Loop: Header=BB279_927 Depth=1
	v_and_b32_e32 v6, 7, v129
	v_lshrrev_b32_e32 v18, 3, v128
	s_mov_b32 s15, exec_lo
	v_cmpx_gt_u32_e32 8, v128
; %bb.1125:                             ;   in Loop: Header=BB279_927 Depth=1
	s_delay_alu instid0(VALU_DEP_3) | instskip(NEXT) | instid1(VALU_DEP_1)
	v_clz_i32_u32_e32 v18, v6
	v_min_u32_e32 v18, 32, v18
	s_delay_alu instid0(VALU_DEP_1) | instskip(SKIP_1) | instid1(VALU_DEP_2)
	v_subrev_nc_u32_e32 v19, 28, v18
	v_sub_nc_u32_e32 v18, 29, v18
	v_lshlrev_b64 v[130:131], v19, v[6:7]
	s_delay_alu instid0(VALU_DEP_1)
	v_and_b32_e32 v6, 7, v130
; %bb.1126:                             ;   in Loop: Header=BB279_927 Depth=1
	s_or_b32 exec_lo, exec_lo, s15
	v_lshlrev_b32_e32 v19, 24, v129
	s_delay_alu instid0(VALU_DEP_2) | instskip(SKIP_1) | instid1(VALU_DEP_3)
	v_lshlrev_b32_e32 v6, 20, v6
	v_lshl_add_u32 v18, v18, 23, 0x3c000000
	v_and_b32_e32 v19, 0x80000000, v19
	s_delay_alu instid0(VALU_DEP_1)
	v_or3_b32 v19, v6, v19, v18
	v_mov_b32_e32 v18, v7
.LBB279_1127:                           ;   in Loop: Header=BB279_927 Depth=1
	s_or_b32 exec_lo, exec_lo, s10
.LBB279_1128:                           ;   in Loop: Header=BB279_927 Depth=1
	s_delay_alu instid0(SALU_CYCLE_1)
	s_or_b32 exec_lo, exec_lo, s13
.LBB279_1129:                           ;   in Loop: Header=BB279_927 Depth=1
	s_delay_alu instid0(SALU_CYCLE_1) | instskip(SKIP_4) | instid1(VALU_DEP_4)
	s_or_b32 exec_lo, exec_lo, s12
	v_or_b32_e32 v5, v15, v5
	v_or_b32_e32 v4, v14, v4
	v_or_b32_e32 v6, v19, v17
	v_or_b32_e32 v14, v18, v16
	v_mul_f32_e32 v131, v80, v5
	s_delay_alu instid0(VALU_DEP_4) | instskip(NEXT) | instid1(VALU_DEP_4)
	v_mul_f32_e32 v130, v68, v4
	v_mul_f32_e32 v128, v80, v6
	s_delay_alu instid0(VALU_DEP_4)
	v_mul_f32_e32 v129, v68, v14
	s_and_saveexec_b32 s10, vcc_lo
; %bb.1130:                             ;   in Loop: Header=BB279_927 Depth=1
	v_cmp_lt_i32_e64 s0, v85, v122
	s_delay_alu instid0(VALU_DEP_1) | instskip(SKIP_1) | instid1(VALU_DEP_1)
	v_cndmask_b32_e64 v130, 0, v130, s0
	v_cmp_lt_i32_e64 s0, v87, v122
	v_cndmask_b32_e64 v131, 0, v131, s0
	v_cmp_lt_i32_e64 s0, v86, v122
	s_delay_alu instid0(VALU_DEP_1) | instskip(SKIP_1) | instid1(VALU_DEP_1)
	v_cndmask_b32_e64 v129, 0, v129, s0
	v_cmp_lt_i32_e64 s0, v70, v122
	v_cndmask_b32_e64 v128, 0, v128, s0
; %bb.1131:                             ;   in Loop: Header=BB279_927 Depth=1
	s_or_b32 exec_lo, exec_lo, s10
	flat_load_b32 v132, v[12:13] offset:768
	v_mov_b32_e32 v14, 0
	v_mov_b32_e32 v15, 0
	s_mov_b32 s10, exec_lo
	s_waitcnt vmcnt(0) lgkmcnt(0)
	v_and_b32_e32 v6, 0xff, v132
	s_delay_alu instid0(VALU_DEP_2) | instskip(NEXT) | instid1(VALU_DEP_2)
	v_dual_mov_b32 v4, v14 :: v_dual_mov_b32 v5, v15
	v_cmpx_ne_u16_e32 0, v6
	s_cbranch_execz .LBB279_1139
; %bb.1132:                             ;   in Loop: Header=BB279_927 Depth=1
	v_bfrev_b32_e32 v4, 1
	v_mov_b32_e32 v5, 0
	s_mov_b32 s12, exec_lo
	v_cmpx_ne_u16_e32 0x80, v6
	s_cbranch_execz .LBB279_1138
; %bb.1133:                             ;   in Loop: Header=BB279_927 Depth=1
	v_mov_b32_e32 v4, 0x7f800001
	v_dual_mov_b32 v5, 0 :: v_dual_and_b32 v16, 0x7f, v132
	s_mov_b32 s13, exec_lo
	s_delay_alu instid0(VALU_DEP_1)
	v_cmpx_ne_u32_e32 0x7f, v16
	s_cbranch_execz .LBB279_1137
; %bb.1134:                             ;   in Loop: Header=BB279_927 Depth=1
	v_and_b32_e32 v6, 7, v132
	v_lshrrev_b32_e32 v4, 3, v16
	s_mov_b32 s15, exec_lo
	v_cmpx_gt_u32_e32 8, v16
; %bb.1135:                             ;   in Loop: Header=BB279_927 Depth=1
	s_delay_alu instid0(VALU_DEP_3) | instskip(NEXT) | instid1(VALU_DEP_1)
	v_clz_i32_u32_e32 v4, v6
	v_min_u32_e32 v4, 32, v4
	s_delay_alu instid0(VALU_DEP_1) | instskip(SKIP_1) | instid1(VALU_DEP_2)
	v_subrev_nc_u32_e32 v5, 28, v4
	v_sub_nc_u32_e32 v4, 29, v4
	v_lshlrev_b64 v[5:6], v5, v[6:7]
	s_delay_alu instid0(VALU_DEP_1)
	v_and_b32_e32 v6, 7, v5
; %bb.1136:                             ;   in Loop: Header=BB279_927 Depth=1
	s_or_b32 exec_lo, exec_lo, s15
	v_lshlrev_b32_e32 v5, 24, v132
	s_delay_alu instid0(VALU_DEP_2) | instskip(SKIP_1) | instid1(VALU_DEP_3)
	v_lshlrev_b32_e32 v6, 20, v6
	v_lshl_add_u32 v4, v4, 23, 0x3c000000
	v_and_b32_e32 v5, 0x80000000, v5
	s_delay_alu instid0(VALU_DEP_1) | instskip(NEXT) | instid1(VALU_DEP_1)
	v_or3_b32 v6, v6, v5, v4
	v_dual_mov_b32 v4, v6 :: v_dual_mov_b32 v5, v7
.LBB279_1137:                           ;   in Loop: Header=BB279_927 Depth=1
	s_or_b32 exec_lo, exec_lo, s13
.LBB279_1138:                           ;   in Loop: Header=BB279_927 Depth=1
	s_delay_alu instid0(SALU_CYCLE_1)
	s_or_b32 exec_lo, exec_lo, s12
.LBB279_1139:                           ;   in Loop: Header=BB279_927 Depth=1
	s_delay_alu instid0(SALU_CYCLE_1) | instskip(SKIP_2) | instid1(VALU_DEP_1)
	s_or_b32 exec_lo, exec_lo, s10
	v_lshrrev_b16 v6, 8, v132
	s_mov_b32 s12, exec_lo
	v_cmpx_ne_u16_e32 0, v6
	s_cbranch_execz .LBB279_1147
; %bb.1140:                             ;   in Loop: Header=BB279_927 Depth=1
	v_dual_mov_b32 v15, s9 :: v_dual_mov_b32 v14, s8
	s_mov_b32 s13, exec_lo
	v_cmpx_ne_u16_e32 0x80, v6
	s_cbranch_execz .LBB279_1146
; %bb.1141:                             ;   in Loop: Header=BB279_927 Depth=1
	s_mov_b32 s10, s8
	v_dual_mov_b32 v15, s11 :: v_dual_and_b32 v6, 0xffff, v6
	v_mov_b32_e32 v14, s10
	s_mov_b32 s10, exec_lo
	s_delay_alu instid0(VALU_DEP_2) | instskip(NEXT) | instid1(VALU_DEP_1)
	v_and_b32_e32 v16, 0x7f, v6
	v_cmpx_ne_u32_e32 0x7f, v16
	s_cbranch_execz .LBB279_1145
; %bb.1142:                             ;   in Loop: Header=BB279_927 Depth=1
	v_and_b32_e32 v6, 7, v6
	v_lshrrev_b32_e32 v14, 3, v16
	s_mov_b32 s15, exec_lo
	v_cmpx_gt_u32_e32 8, v16
; %bb.1143:                             ;   in Loop: Header=BB279_927 Depth=1
	s_delay_alu instid0(VALU_DEP_3) | instskip(NEXT) | instid1(VALU_DEP_1)
	v_clz_i32_u32_e32 v14, v6
	v_min_u32_e32 v14, 32, v14
	s_delay_alu instid0(VALU_DEP_1) | instskip(SKIP_1) | instid1(VALU_DEP_2)
	v_subrev_nc_u32_e32 v15, 28, v14
	v_sub_nc_u32_e32 v14, 29, v14
	v_lshlrev_b64 v[15:16], v15, v[6:7]
	s_delay_alu instid0(VALU_DEP_1)
	v_and_b32_e32 v6, 7, v15
; %bb.1144:                             ;   in Loop: Header=BB279_927 Depth=1
	s_or_b32 exec_lo, exec_lo, s15
	v_lshlrev_b32_e32 v15, 16, v132
	s_delay_alu instid0(VALU_DEP_2) | instskip(SKIP_1) | instid1(VALU_DEP_3)
	v_lshlrev_b32_e32 v6, 20, v6
	v_lshl_add_u32 v14, v14, 23, 0x3c000000
	v_and_b32_e32 v15, 0x80000000, v15
	s_delay_alu instid0(VALU_DEP_1)
	v_or3_b32 v15, v6, v15, v14
	v_mov_b32_e32 v14, v7
.LBB279_1145:                           ;   in Loop: Header=BB279_927 Depth=1
	s_or_b32 exec_lo, exec_lo, s10
.LBB279_1146:                           ;   in Loop: Header=BB279_927 Depth=1
	s_delay_alu instid0(SALU_CYCLE_1)
	s_or_b32 exec_lo, exec_lo, s13
.LBB279_1147:                           ;   in Loop: Header=BB279_927 Depth=1
	s_delay_alu instid0(SALU_CYCLE_1) | instskip(SKIP_4) | instid1(VALU_DEP_2)
	s_or_b32 exec_lo, exec_lo, s12
	v_mov_b32_e32 v18, 0
	v_lshrrev_b32_e32 v133, 16, v132
	v_mov_b32_e32 v19, 0
	s_mov_b32 s10, exec_lo
	v_and_b32_e32 v6, 0xff, v133
	s_delay_alu instid0(VALU_DEP_2) | instskip(NEXT) | instid1(VALU_DEP_2)
	v_dual_mov_b32 v16, v18 :: v_dual_mov_b32 v17, v19
	v_cmpx_ne_u16_e32 0, v6
	s_cbranch_execz .LBB279_1155
; %bb.1148:                             ;   in Loop: Header=BB279_927 Depth=1
	v_bfrev_b32_e32 v16, 1
	v_mov_b32_e32 v17, 0
	s_mov_b32 s12, exec_lo
	v_cmpx_ne_u16_e32 0x80, v6
	s_cbranch_execz .LBB279_1154
; %bb.1149:                             ;   in Loop: Header=BB279_927 Depth=1
	v_mov_b32_e32 v16, 0x7f800001
	v_bfe_u32 v134, v132, 16, 7
	v_mov_b32_e32 v17, 0
	s_mov_b32 s13, exec_lo
	s_delay_alu instid0(VALU_DEP_2)
	v_cmpx_ne_u32_e32 0x7f, v134
	s_cbranch_execz .LBB279_1153
; %bb.1150:                             ;   in Loop: Header=BB279_927 Depth=1
	v_and_b32_e32 v6, 7, v133
	v_lshrrev_b32_e32 v16, 3, v134
	s_mov_b32 s15, exec_lo
	v_cmpx_gt_u32_e32 8, v134
; %bb.1151:                             ;   in Loop: Header=BB279_927 Depth=1
	s_delay_alu instid0(VALU_DEP_3) | instskip(NEXT) | instid1(VALU_DEP_1)
	v_clz_i32_u32_e32 v16, v6
	v_min_u32_e32 v16, 32, v16
	s_delay_alu instid0(VALU_DEP_1) | instskip(SKIP_1) | instid1(VALU_DEP_2)
	v_subrev_nc_u32_e32 v17, 28, v16
	v_sub_nc_u32_e32 v16, 29, v16
	v_lshlrev_b64 v[134:135], v17, v[6:7]
	s_delay_alu instid0(VALU_DEP_1)
	v_and_b32_e32 v6, 7, v134
; %bb.1152:                             ;   in Loop: Header=BB279_927 Depth=1
	s_or_b32 exec_lo, exec_lo, s15
	v_lshlrev_b32_e32 v17, 24, v133
	s_delay_alu instid0(VALU_DEP_2) | instskip(SKIP_1) | instid1(VALU_DEP_3)
	v_lshlrev_b32_e32 v6, 20, v6
	v_lshl_add_u32 v16, v16, 23, 0x3c000000
	v_and_b32_e32 v17, 0x80000000, v17
	s_delay_alu instid0(VALU_DEP_1) | instskip(NEXT) | instid1(VALU_DEP_1)
	v_or3_b32 v6, v6, v17, v16
	v_dual_mov_b32 v17, v7 :: v_dual_mov_b32 v16, v6
.LBB279_1153:                           ;   in Loop: Header=BB279_927 Depth=1
	s_or_b32 exec_lo, exec_lo, s13
.LBB279_1154:                           ;   in Loop: Header=BB279_927 Depth=1
	s_delay_alu instid0(SALU_CYCLE_1)
	s_or_b32 exec_lo, exec_lo, s12
.LBB279_1155:                           ;   in Loop: Header=BB279_927 Depth=1
	s_delay_alu instid0(SALU_CYCLE_1) | instskip(NEXT) | instid1(SALU_CYCLE_1)
	s_or_b32 exec_lo, exec_lo, s10
	s_mov_b32 s12, exec_lo
	v_cmpx_lt_u32_e32 0xffffff, v132
	s_cbranch_execz .LBB279_1163
; %bb.1156:                             ;   in Loop: Header=BB279_927 Depth=1
	v_lshrrev_b32_e32 v133, 24, v132
	v_dual_mov_b32 v19, s9 :: v_dual_mov_b32 v18, s8
	s_mov_b32 s13, exec_lo
	s_delay_alu instid0(VALU_DEP_2)
	v_cmpx_ne_u32_e32 0x80, v133
	s_cbranch_execz .LBB279_1162
; %bb.1157:                             ;   in Loop: Header=BB279_927 Depth=1
	s_mov_b32 s10, s8
	v_bfe_u32 v132, v132, 24, 7
	v_dual_mov_b32 v19, s11 :: v_dual_mov_b32 v18, s10
	s_mov_b32 s10, exec_lo
	s_delay_alu instid0(VALU_DEP_2)
	v_cmpx_ne_u32_e32 0x7f, v132
	s_cbranch_execz .LBB279_1161
; %bb.1158:                             ;   in Loop: Header=BB279_927 Depth=1
	v_and_b32_e32 v6, 7, v133
	v_lshrrev_b32_e32 v18, 3, v132
	s_mov_b32 s15, exec_lo
	v_cmpx_gt_u32_e32 8, v132
; %bb.1159:                             ;   in Loop: Header=BB279_927 Depth=1
	s_delay_alu instid0(VALU_DEP_3) | instskip(NEXT) | instid1(VALU_DEP_1)
	v_clz_i32_u32_e32 v18, v6
	v_min_u32_e32 v18, 32, v18
	s_delay_alu instid0(VALU_DEP_1) | instskip(SKIP_1) | instid1(VALU_DEP_2)
	v_subrev_nc_u32_e32 v19, 28, v18
	v_sub_nc_u32_e32 v18, 29, v18
	v_lshlrev_b64 v[134:135], v19, v[6:7]
	s_delay_alu instid0(VALU_DEP_1)
	v_and_b32_e32 v6, 7, v134
; %bb.1160:                             ;   in Loop: Header=BB279_927 Depth=1
	s_or_b32 exec_lo, exec_lo, s15
	v_lshlrev_b32_e32 v19, 24, v133
	s_delay_alu instid0(VALU_DEP_2) | instskip(SKIP_1) | instid1(VALU_DEP_3)
	v_lshlrev_b32_e32 v6, 20, v6
	v_lshl_add_u32 v18, v18, 23, 0x3c000000
	v_and_b32_e32 v19, 0x80000000, v19
	s_delay_alu instid0(VALU_DEP_1)
	v_or3_b32 v19, v6, v19, v18
	v_mov_b32_e32 v18, v7
.LBB279_1161:                           ;   in Loop: Header=BB279_927 Depth=1
	s_or_b32 exec_lo, exec_lo, s10
.LBB279_1162:                           ;   in Loop: Header=BB279_927 Depth=1
	s_delay_alu instid0(SALU_CYCLE_1)
	s_or_b32 exec_lo, exec_lo, s13
.LBB279_1163:                           ;   in Loop: Header=BB279_927 Depth=1
	s_delay_alu instid0(SALU_CYCLE_1) | instskip(SKIP_4) | instid1(VALU_DEP_4)
	s_or_b32 exec_lo, exec_lo, s12
	v_or_b32_e32 v5, v15, v5
	v_or_b32_e32 v4, v14, v4
	;; [unrolled: 1-line block ×4, first 2 shown]
	v_mul_f32_e32 v135, v80, v5
	s_delay_alu instid0(VALU_DEP_4) | instskip(NEXT) | instid1(VALU_DEP_4)
	v_mul_f32_e32 v134, v68, v4
	v_mul_f32_e32 v132, v80, v6
	s_delay_alu instid0(VALU_DEP_4)
	v_mul_f32_e32 v133, v68, v14
	s_and_saveexec_b32 s10, vcc_lo
; %bb.1164:                             ;   in Loop: Header=BB279_927 Depth=1
	v_cmp_lt_i32_e64 s0, v85, v122
	s_delay_alu instid0(VALU_DEP_1) | instskip(SKIP_1) | instid1(VALU_DEP_1)
	v_cndmask_b32_e64 v134, 0, v134, s0
	v_cmp_lt_i32_e64 s0, v87, v122
	v_cndmask_b32_e64 v135, 0, v135, s0
	v_cmp_lt_i32_e64 s0, v86, v122
	s_delay_alu instid0(VALU_DEP_1) | instskip(SKIP_1) | instid1(VALU_DEP_1)
	v_cndmask_b32_e64 v133, 0, v133, s0
	v_cmp_lt_i32_e64 s0, v70, v122
	v_cndmask_b32_e64 v132, 0, v132, s0
; %bb.1165:                             ;   in Loop: Header=BB279_927 Depth=1
	s_or_b32 exec_lo, exec_lo, s10
	flat_load_b32 v144, v[12:13] offset:896
	v_mov_b32_e32 v14, 0
	v_mov_b32_e32 v15, 0
	s_mov_b32 s10, exec_lo
	s_waitcnt vmcnt(0) lgkmcnt(0)
	v_and_b32_e32 v6, 0xff, v144
	s_delay_alu instid0(VALU_DEP_2) | instskip(NEXT) | instid1(VALU_DEP_2)
	v_dual_mov_b32 v4, v14 :: v_dual_mov_b32 v5, v15
	v_cmpx_ne_u16_e32 0, v6
	s_cbranch_execz .LBB279_1173
; %bb.1166:                             ;   in Loop: Header=BB279_927 Depth=1
	v_bfrev_b32_e32 v4, 1
	v_mov_b32_e32 v5, 0
	s_mov_b32 s12, exec_lo
	v_cmpx_ne_u16_e32 0x80, v6
	s_cbranch_execz .LBB279_1172
; %bb.1167:                             ;   in Loop: Header=BB279_927 Depth=1
	v_mov_b32_e32 v4, 0x7f800001
	v_dual_mov_b32 v5, 0 :: v_dual_and_b32 v16, 0x7f, v144
	s_mov_b32 s13, exec_lo
	s_delay_alu instid0(VALU_DEP_1)
	v_cmpx_ne_u32_e32 0x7f, v16
	s_cbranch_execz .LBB279_1171
; %bb.1168:                             ;   in Loop: Header=BB279_927 Depth=1
	v_and_b32_e32 v6, 7, v144
	v_lshrrev_b32_e32 v4, 3, v16
	s_mov_b32 s15, exec_lo
	v_cmpx_gt_u32_e32 8, v16
; %bb.1169:                             ;   in Loop: Header=BB279_927 Depth=1
	s_delay_alu instid0(VALU_DEP_3) | instskip(NEXT) | instid1(VALU_DEP_1)
	v_clz_i32_u32_e32 v4, v6
	v_min_u32_e32 v4, 32, v4
	s_delay_alu instid0(VALU_DEP_1) | instskip(SKIP_1) | instid1(VALU_DEP_2)
	v_subrev_nc_u32_e32 v5, 28, v4
	v_sub_nc_u32_e32 v4, 29, v4
	v_lshlrev_b64 v[5:6], v5, v[6:7]
	s_delay_alu instid0(VALU_DEP_1)
	v_and_b32_e32 v6, 7, v5
; %bb.1170:                             ;   in Loop: Header=BB279_927 Depth=1
	s_or_b32 exec_lo, exec_lo, s15
	v_lshlrev_b32_e32 v5, 24, v144
	s_delay_alu instid0(VALU_DEP_2) | instskip(SKIP_1) | instid1(VALU_DEP_3)
	v_lshlrev_b32_e32 v6, 20, v6
	v_lshl_add_u32 v4, v4, 23, 0x3c000000
	v_and_b32_e32 v5, 0x80000000, v5
	s_delay_alu instid0(VALU_DEP_1) | instskip(NEXT) | instid1(VALU_DEP_1)
	v_or3_b32 v6, v6, v5, v4
	v_dual_mov_b32 v4, v6 :: v_dual_mov_b32 v5, v7
.LBB279_1171:                           ;   in Loop: Header=BB279_927 Depth=1
	s_or_b32 exec_lo, exec_lo, s13
.LBB279_1172:                           ;   in Loop: Header=BB279_927 Depth=1
	s_delay_alu instid0(SALU_CYCLE_1)
	s_or_b32 exec_lo, exec_lo, s12
.LBB279_1173:                           ;   in Loop: Header=BB279_927 Depth=1
	s_delay_alu instid0(SALU_CYCLE_1) | instskip(SKIP_2) | instid1(VALU_DEP_1)
	s_or_b32 exec_lo, exec_lo, s10
	v_lshrrev_b16 v6, 8, v144
	s_mov_b32 s12, exec_lo
	v_cmpx_ne_u16_e32 0, v6
	s_cbranch_execz .LBB279_1181
; %bb.1174:                             ;   in Loop: Header=BB279_927 Depth=1
	v_dual_mov_b32 v15, s9 :: v_dual_mov_b32 v14, s8
	s_mov_b32 s13, exec_lo
	v_cmpx_ne_u16_e32 0x80, v6
	s_cbranch_execz .LBB279_1180
; %bb.1175:                             ;   in Loop: Header=BB279_927 Depth=1
	s_mov_b32 s10, s8
	v_dual_mov_b32 v15, s11 :: v_dual_and_b32 v6, 0xffff, v6
	v_mov_b32_e32 v14, s10
	s_mov_b32 s10, exec_lo
	s_delay_alu instid0(VALU_DEP_2) | instskip(NEXT) | instid1(VALU_DEP_1)
	v_and_b32_e32 v16, 0x7f, v6
	v_cmpx_ne_u32_e32 0x7f, v16
	s_cbranch_execz .LBB279_1179
; %bb.1176:                             ;   in Loop: Header=BB279_927 Depth=1
	v_and_b32_e32 v6, 7, v6
	v_lshrrev_b32_e32 v14, 3, v16
	s_mov_b32 s15, exec_lo
	v_cmpx_gt_u32_e32 8, v16
; %bb.1177:                             ;   in Loop: Header=BB279_927 Depth=1
	s_delay_alu instid0(VALU_DEP_3) | instskip(NEXT) | instid1(VALU_DEP_1)
	v_clz_i32_u32_e32 v14, v6
	v_min_u32_e32 v14, 32, v14
	s_delay_alu instid0(VALU_DEP_1) | instskip(SKIP_1) | instid1(VALU_DEP_2)
	v_subrev_nc_u32_e32 v15, 28, v14
	v_sub_nc_u32_e32 v14, 29, v14
	v_lshlrev_b64 v[15:16], v15, v[6:7]
	s_delay_alu instid0(VALU_DEP_1)
	v_and_b32_e32 v6, 7, v15
; %bb.1178:                             ;   in Loop: Header=BB279_927 Depth=1
	s_or_b32 exec_lo, exec_lo, s15
	v_lshlrev_b32_e32 v15, 16, v144
	s_delay_alu instid0(VALU_DEP_2) | instskip(SKIP_1) | instid1(VALU_DEP_3)
	v_lshlrev_b32_e32 v6, 20, v6
	v_lshl_add_u32 v14, v14, 23, 0x3c000000
	v_and_b32_e32 v15, 0x80000000, v15
	s_delay_alu instid0(VALU_DEP_1)
	v_or3_b32 v15, v6, v15, v14
	v_mov_b32_e32 v14, v7
.LBB279_1179:                           ;   in Loop: Header=BB279_927 Depth=1
	s_or_b32 exec_lo, exec_lo, s10
.LBB279_1180:                           ;   in Loop: Header=BB279_927 Depth=1
	s_delay_alu instid0(SALU_CYCLE_1)
	s_or_b32 exec_lo, exec_lo, s13
.LBB279_1181:                           ;   in Loop: Header=BB279_927 Depth=1
	s_delay_alu instid0(SALU_CYCLE_1) | instskip(SKIP_4) | instid1(VALU_DEP_2)
	s_or_b32 exec_lo, exec_lo, s12
	v_mov_b32_e32 v18, 0
	v_lshrrev_b32_e32 v145, 16, v144
	v_mov_b32_e32 v19, 0
	s_mov_b32 s10, exec_lo
	v_and_b32_e32 v6, 0xff, v145
	s_delay_alu instid0(VALU_DEP_2) | instskip(NEXT) | instid1(VALU_DEP_2)
	v_dual_mov_b32 v16, v18 :: v_dual_mov_b32 v17, v19
	v_cmpx_ne_u16_e32 0, v6
	s_cbranch_execz .LBB279_1189
; %bb.1182:                             ;   in Loop: Header=BB279_927 Depth=1
	v_bfrev_b32_e32 v16, 1
	v_mov_b32_e32 v17, 0
	s_mov_b32 s12, exec_lo
	v_cmpx_ne_u16_e32 0x80, v6
	s_cbranch_execz .LBB279_1188
; %bb.1183:                             ;   in Loop: Header=BB279_927 Depth=1
	v_mov_b32_e32 v16, 0x7f800001
	v_bfe_u32 v146, v144, 16, 7
	v_mov_b32_e32 v17, 0
	s_mov_b32 s13, exec_lo
	s_delay_alu instid0(VALU_DEP_2)
	v_cmpx_ne_u32_e32 0x7f, v146
	s_cbranch_execz .LBB279_1187
; %bb.1184:                             ;   in Loop: Header=BB279_927 Depth=1
	v_and_b32_e32 v6, 7, v145
	v_lshrrev_b32_e32 v16, 3, v146
	s_mov_b32 s15, exec_lo
	v_cmpx_gt_u32_e32 8, v146
; %bb.1185:                             ;   in Loop: Header=BB279_927 Depth=1
	s_delay_alu instid0(VALU_DEP_3) | instskip(NEXT) | instid1(VALU_DEP_1)
	v_clz_i32_u32_e32 v16, v6
	v_min_u32_e32 v16, 32, v16
	s_delay_alu instid0(VALU_DEP_1) | instskip(SKIP_1) | instid1(VALU_DEP_2)
	v_subrev_nc_u32_e32 v17, 28, v16
	v_sub_nc_u32_e32 v16, 29, v16
	v_lshlrev_b64 v[146:147], v17, v[6:7]
	s_delay_alu instid0(VALU_DEP_1)
	v_and_b32_e32 v6, 7, v146
; %bb.1186:                             ;   in Loop: Header=BB279_927 Depth=1
	s_or_b32 exec_lo, exec_lo, s15
	v_lshlrev_b32_e32 v17, 24, v145
	s_delay_alu instid0(VALU_DEP_2) | instskip(SKIP_1) | instid1(VALU_DEP_3)
	v_lshlrev_b32_e32 v6, 20, v6
	v_lshl_add_u32 v16, v16, 23, 0x3c000000
	v_and_b32_e32 v17, 0x80000000, v17
	s_delay_alu instid0(VALU_DEP_1) | instskip(NEXT) | instid1(VALU_DEP_1)
	v_or3_b32 v6, v6, v17, v16
	v_dual_mov_b32 v17, v7 :: v_dual_mov_b32 v16, v6
.LBB279_1187:                           ;   in Loop: Header=BB279_927 Depth=1
	s_or_b32 exec_lo, exec_lo, s13
.LBB279_1188:                           ;   in Loop: Header=BB279_927 Depth=1
	s_delay_alu instid0(SALU_CYCLE_1)
	s_or_b32 exec_lo, exec_lo, s12
.LBB279_1189:                           ;   in Loop: Header=BB279_927 Depth=1
	s_delay_alu instid0(SALU_CYCLE_1) | instskip(NEXT) | instid1(SALU_CYCLE_1)
	s_or_b32 exec_lo, exec_lo, s10
	s_mov_b32 s12, exec_lo
	v_cmpx_lt_u32_e32 0xffffff, v144
	s_cbranch_execz .LBB279_1197
; %bb.1190:                             ;   in Loop: Header=BB279_927 Depth=1
	v_lshrrev_b32_e32 v145, 24, v144
	v_dual_mov_b32 v19, s9 :: v_dual_mov_b32 v18, s8
	s_mov_b32 s13, exec_lo
	s_delay_alu instid0(VALU_DEP_2)
	v_cmpx_ne_u32_e32 0x80, v145
	s_cbranch_execz .LBB279_1196
; %bb.1191:                             ;   in Loop: Header=BB279_927 Depth=1
	s_mov_b32 s10, s8
	v_bfe_u32 v144, v144, 24, 7
	v_dual_mov_b32 v19, s11 :: v_dual_mov_b32 v18, s10
	s_mov_b32 s10, exec_lo
	s_delay_alu instid0(VALU_DEP_2)
	v_cmpx_ne_u32_e32 0x7f, v144
	s_cbranch_execz .LBB279_1195
; %bb.1192:                             ;   in Loop: Header=BB279_927 Depth=1
	v_and_b32_e32 v6, 7, v145
	v_lshrrev_b32_e32 v18, 3, v144
	s_mov_b32 s15, exec_lo
	v_cmpx_gt_u32_e32 8, v144
; %bb.1193:                             ;   in Loop: Header=BB279_927 Depth=1
	s_delay_alu instid0(VALU_DEP_3) | instskip(NEXT) | instid1(VALU_DEP_1)
	v_clz_i32_u32_e32 v18, v6
	v_min_u32_e32 v18, 32, v18
	s_delay_alu instid0(VALU_DEP_1) | instskip(SKIP_1) | instid1(VALU_DEP_2)
	v_subrev_nc_u32_e32 v19, 28, v18
	v_sub_nc_u32_e32 v18, 29, v18
	v_lshlrev_b64 v[146:147], v19, v[6:7]
	s_delay_alu instid0(VALU_DEP_1)
	v_and_b32_e32 v6, 7, v146
; %bb.1194:                             ;   in Loop: Header=BB279_927 Depth=1
	s_or_b32 exec_lo, exec_lo, s15
	v_lshlrev_b32_e32 v19, 24, v145
	s_delay_alu instid0(VALU_DEP_2) | instskip(SKIP_1) | instid1(VALU_DEP_3)
	v_lshlrev_b32_e32 v6, 20, v6
	v_lshl_add_u32 v18, v18, 23, 0x3c000000
	v_and_b32_e32 v19, 0x80000000, v19
	s_delay_alu instid0(VALU_DEP_1)
	v_or3_b32 v19, v6, v19, v18
	v_mov_b32_e32 v18, v7
.LBB279_1195:                           ;   in Loop: Header=BB279_927 Depth=1
	s_or_b32 exec_lo, exec_lo, s10
.LBB279_1196:                           ;   in Loop: Header=BB279_927 Depth=1
	s_delay_alu instid0(SALU_CYCLE_1)
	s_or_b32 exec_lo, exec_lo, s13
.LBB279_1197:                           ;   in Loop: Header=BB279_927 Depth=1
	s_delay_alu instid0(SALU_CYCLE_1) | instskip(SKIP_4) | instid1(VALU_DEP_4)
	s_or_b32 exec_lo, exec_lo, s12
	v_or_b32_e32 v5, v15, v5
	v_or_b32_e32 v4, v14, v4
	;; [unrolled: 1-line block ×4, first 2 shown]
	v_mul_f32_e32 v147, v80, v5
	s_delay_alu instid0(VALU_DEP_4) | instskip(NEXT) | instid1(VALU_DEP_4)
	v_mul_f32_e32 v146, v68, v4
	v_mul_f32_e32 v144, v80, v6
	s_delay_alu instid0(VALU_DEP_4)
	v_mul_f32_e32 v145, v68, v14
	s_and_saveexec_b32 s10, vcc_lo
; %bb.1198:                             ;   in Loop: Header=BB279_927 Depth=1
	v_cmp_lt_i32_e64 s0, v85, v122
	s_delay_alu instid0(VALU_DEP_1) | instskip(SKIP_1) | instid1(VALU_DEP_1)
	v_cndmask_b32_e64 v146, 0, v146, s0
	v_cmp_lt_i32_e64 s0, v87, v122
	v_cndmask_b32_e64 v147, 0, v147, s0
	v_cmp_lt_i32_e64 s0, v86, v122
	s_delay_alu instid0(VALU_DEP_1) | instskip(SKIP_1) | instid1(VALU_DEP_1)
	v_cndmask_b32_e64 v145, 0, v145, s0
	v_cmp_lt_i32_e64 s0, v70, v122
	v_cndmask_b32_e64 v144, 0, v144, s0
; %bb.1199:                             ;   in Loop: Header=BB279_927 Depth=1
	s_or_b32 exec_lo, exec_lo, s10
	flat_load_b32 v148, v[12:13] offset:1024
	v_mov_b32_e32 v14, 0
	v_mov_b32_e32 v15, 0
	s_mov_b32 s10, exec_lo
	s_waitcnt vmcnt(0) lgkmcnt(0)
	v_and_b32_e32 v6, 0xff, v148
	s_delay_alu instid0(VALU_DEP_2) | instskip(NEXT) | instid1(VALU_DEP_2)
	v_dual_mov_b32 v4, v14 :: v_dual_mov_b32 v5, v15
	v_cmpx_ne_u16_e32 0, v6
	s_cbranch_execz .LBB279_1207
; %bb.1200:                             ;   in Loop: Header=BB279_927 Depth=1
	v_bfrev_b32_e32 v4, 1
	v_mov_b32_e32 v5, 0
	s_mov_b32 s12, exec_lo
	v_cmpx_ne_u16_e32 0x80, v6
	s_cbranch_execz .LBB279_1206
; %bb.1201:                             ;   in Loop: Header=BB279_927 Depth=1
	v_mov_b32_e32 v4, 0x7f800001
	v_dual_mov_b32 v5, 0 :: v_dual_and_b32 v16, 0x7f, v148
	s_mov_b32 s13, exec_lo
	s_delay_alu instid0(VALU_DEP_1)
	v_cmpx_ne_u32_e32 0x7f, v16
	s_cbranch_execz .LBB279_1205
; %bb.1202:                             ;   in Loop: Header=BB279_927 Depth=1
	v_and_b32_e32 v6, 7, v148
	v_lshrrev_b32_e32 v4, 3, v16
	s_mov_b32 s15, exec_lo
	v_cmpx_gt_u32_e32 8, v16
; %bb.1203:                             ;   in Loop: Header=BB279_927 Depth=1
	s_delay_alu instid0(VALU_DEP_3) | instskip(NEXT) | instid1(VALU_DEP_1)
	v_clz_i32_u32_e32 v4, v6
	v_min_u32_e32 v4, 32, v4
	s_delay_alu instid0(VALU_DEP_1) | instskip(SKIP_1) | instid1(VALU_DEP_2)
	v_subrev_nc_u32_e32 v5, 28, v4
	v_sub_nc_u32_e32 v4, 29, v4
	v_lshlrev_b64 v[5:6], v5, v[6:7]
	s_delay_alu instid0(VALU_DEP_1)
	v_and_b32_e32 v6, 7, v5
; %bb.1204:                             ;   in Loop: Header=BB279_927 Depth=1
	s_or_b32 exec_lo, exec_lo, s15
	v_lshlrev_b32_e32 v5, 24, v148
	s_delay_alu instid0(VALU_DEP_2) | instskip(SKIP_1) | instid1(VALU_DEP_3)
	v_lshlrev_b32_e32 v6, 20, v6
	v_lshl_add_u32 v4, v4, 23, 0x3c000000
	v_and_b32_e32 v5, 0x80000000, v5
	s_delay_alu instid0(VALU_DEP_1) | instskip(NEXT) | instid1(VALU_DEP_1)
	v_or3_b32 v6, v6, v5, v4
	v_dual_mov_b32 v4, v6 :: v_dual_mov_b32 v5, v7
.LBB279_1205:                           ;   in Loop: Header=BB279_927 Depth=1
	s_or_b32 exec_lo, exec_lo, s13
.LBB279_1206:                           ;   in Loop: Header=BB279_927 Depth=1
	s_delay_alu instid0(SALU_CYCLE_1)
	s_or_b32 exec_lo, exec_lo, s12
.LBB279_1207:                           ;   in Loop: Header=BB279_927 Depth=1
	s_delay_alu instid0(SALU_CYCLE_1) | instskip(SKIP_2) | instid1(VALU_DEP_1)
	s_or_b32 exec_lo, exec_lo, s10
	v_lshrrev_b16 v6, 8, v148
	s_mov_b32 s12, exec_lo
	v_cmpx_ne_u16_e32 0, v6
	s_cbranch_execz .LBB279_1215
; %bb.1208:                             ;   in Loop: Header=BB279_927 Depth=1
	v_dual_mov_b32 v15, s9 :: v_dual_mov_b32 v14, s8
	s_mov_b32 s13, exec_lo
	v_cmpx_ne_u16_e32 0x80, v6
	s_cbranch_execz .LBB279_1214
; %bb.1209:                             ;   in Loop: Header=BB279_927 Depth=1
	s_mov_b32 s10, s8
	v_dual_mov_b32 v15, s11 :: v_dual_and_b32 v6, 0xffff, v6
	v_mov_b32_e32 v14, s10
	s_mov_b32 s10, exec_lo
	s_delay_alu instid0(VALU_DEP_2) | instskip(NEXT) | instid1(VALU_DEP_1)
	v_and_b32_e32 v16, 0x7f, v6
	v_cmpx_ne_u32_e32 0x7f, v16
	s_cbranch_execz .LBB279_1213
; %bb.1210:                             ;   in Loop: Header=BB279_927 Depth=1
	v_and_b32_e32 v6, 7, v6
	v_lshrrev_b32_e32 v14, 3, v16
	s_mov_b32 s15, exec_lo
	v_cmpx_gt_u32_e32 8, v16
; %bb.1211:                             ;   in Loop: Header=BB279_927 Depth=1
	s_delay_alu instid0(VALU_DEP_3) | instskip(NEXT) | instid1(VALU_DEP_1)
	v_clz_i32_u32_e32 v14, v6
	v_min_u32_e32 v14, 32, v14
	s_delay_alu instid0(VALU_DEP_1) | instskip(SKIP_1) | instid1(VALU_DEP_2)
	v_subrev_nc_u32_e32 v15, 28, v14
	v_sub_nc_u32_e32 v14, 29, v14
	v_lshlrev_b64 v[15:16], v15, v[6:7]
	s_delay_alu instid0(VALU_DEP_1)
	v_and_b32_e32 v6, 7, v15
; %bb.1212:                             ;   in Loop: Header=BB279_927 Depth=1
	s_or_b32 exec_lo, exec_lo, s15
	v_lshlrev_b32_e32 v15, 16, v148
	s_delay_alu instid0(VALU_DEP_2) | instskip(SKIP_1) | instid1(VALU_DEP_3)
	v_lshlrev_b32_e32 v6, 20, v6
	v_lshl_add_u32 v14, v14, 23, 0x3c000000
	v_and_b32_e32 v15, 0x80000000, v15
	s_delay_alu instid0(VALU_DEP_1)
	v_or3_b32 v15, v6, v15, v14
	v_mov_b32_e32 v14, v7
.LBB279_1213:                           ;   in Loop: Header=BB279_927 Depth=1
	s_or_b32 exec_lo, exec_lo, s10
.LBB279_1214:                           ;   in Loop: Header=BB279_927 Depth=1
	s_delay_alu instid0(SALU_CYCLE_1)
	s_or_b32 exec_lo, exec_lo, s13
.LBB279_1215:                           ;   in Loop: Header=BB279_927 Depth=1
	s_delay_alu instid0(SALU_CYCLE_1) | instskip(SKIP_4) | instid1(VALU_DEP_2)
	s_or_b32 exec_lo, exec_lo, s12
	v_mov_b32_e32 v18, 0
	v_lshrrev_b32_e32 v149, 16, v148
	v_mov_b32_e32 v19, 0
	s_mov_b32 s10, exec_lo
	v_and_b32_e32 v6, 0xff, v149
	s_delay_alu instid0(VALU_DEP_2) | instskip(NEXT) | instid1(VALU_DEP_2)
	v_dual_mov_b32 v16, v18 :: v_dual_mov_b32 v17, v19
	v_cmpx_ne_u16_e32 0, v6
	s_cbranch_execz .LBB279_1223
; %bb.1216:                             ;   in Loop: Header=BB279_927 Depth=1
	v_bfrev_b32_e32 v16, 1
	v_mov_b32_e32 v17, 0
	s_mov_b32 s12, exec_lo
	v_cmpx_ne_u16_e32 0x80, v6
	s_cbranch_execz .LBB279_1222
; %bb.1217:                             ;   in Loop: Header=BB279_927 Depth=1
	v_mov_b32_e32 v16, 0x7f800001
	v_bfe_u32 v150, v148, 16, 7
	v_mov_b32_e32 v17, 0
	s_mov_b32 s13, exec_lo
	s_delay_alu instid0(VALU_DEP_2)
	v_cmpx_ne_u32_e32 0x7f, v150
	s_cbranch_execz .LBB279_1221
; %bb.1218:                             ;   in Loop: Header=BB279_927 Depth=1
	v_and_b32_e32 v6, 7, v149
	v_lshrrev_b32_e32 v16, 3, v150
	s_mov_b32 s15, exec_lo
	v_cmpx_gt_u32_e32 8, v150
; %bb.1219:                             ;   in Loop: Header=BB279_927 Depth=1
	s_delay_alu instid0(VALU_DEP_3) | instskip(NEXT) | instid1(VALU_DEP_1)
	v_clz_i32_u32_e32 v16, v6
	v_min_u32_e32 v16, 32, v16
	s_delay_alu instid0(VALU_DEP_1) | instskip(SKIP_1) | instid1(VALU_DEP_2)
	v_subrev_nc_u32_e32 v17, 28, v16
	v_sub_nc_u32_e32 v16, 29, v16
	v_lshlrev_b64 v[150:151], v17, v[6:7]
	s_delay_alu instid0(VALU_DEP_1)
	v_and_b32_e32 v6, 7, v150
; %bb.1220:                             ;   in Loop: Header=BB279_927 Depth=1
	s_or_b32 exec_lo, exec_lo, s15
	v_lshlrev_b32_e32 v17, 24, v149
	s_delay_alu instid0(VALU_DEP_2) | instskip(SKIP_1) | instid1(VALU_DEP_3)
	v_lshlrev_b32_e32 v6, 20, v6
	v_lshl_add_u32 v16, v16, 23, 0x3c000000
	v_and_b32_e32 v17, 0x80000000, v17
	s_delay_alu instid0(VALU_DEP_1) | instskip(NEXT) | instid1(VALU_DEP_1)
	v_or3_b32 v6, v6, v17, v16
	v_dual_mov_b32 v17, v7 :: v_dual_mov_b32 v16, v6
.LBB279_1221:                           ;   in Loop: Header=BB279_927 Depth=1
	s_or_b32 exec_lo, exec_lo, s13
.LBB279_1222:                           ;   in Loop: Header=BB279_927 Depth=1
	s_delay_alu instid0(SALU_CYCLE_1)
	s_or_b32 exec_lo, exec_lo, s12
.LBB279_1223:                           ;   in Loop: Header=BB279_927 Depth=1
	s_delay_alu instid0(SALU_CYCLE_1) | instskip(NEXT) | instid1(SALU_CYCLE_1)
	s_or_b32 exec_lo, exec_lo, s10
	s_mov_b32 s12, exec_lo
	v_cmpx_lt_u32_e32 0xffffff, v148
	s_cbranch_execz .LBB279_1231
; %bb.1224:                             ;   in Loop: Header=BB279_927 Depth=1
	v_lshrrev_b32_e32 v149, 24, v148
	v_dual_mov_b32 v19, s9 :: v_dual_mov_b32 v18, s8
	s_mov_b32 s13, exec_lo
	s_delay_alu instid0(VALU_DEP_2)
	v_cmpx_ne_u32_e32 0x80, v149
	s_cbranch_execz .LBB279_1230
; %bb.1225:                             ;   in Loop: Header=BB279_927 Depth=1
	s_mov_b32 s10, s8
	v_bfe_u32 v148, v148, 24, 7
	v_dual_mov_b32 v19, s11 :: v_dual_mov_b32 v18, s10
	s_mov_b32 s10, exec_lo
	s_delay_alu instid0(VALU_DEP_2)
	v_cmpx_ne_u32_e32 0x7f, v148
	s_cbranch_execz .LBB279_1229
; %bb.1226:                             ;   in Loop: Header=BB279_927 Depth=1
	v_and_b32_e32 v6, 7, v149
	v_lshrrev_b32_e32 v18, 3, v148
	s_mov_b32 s15, exec_lo
	v_cmpx_gt_u32_e32 8, v148
; %bb.1227:                             ;   in Loop: Header=BB279_927 Depth=1
	s_delay_alu instid0(VALU_DEP_3) | instskip(NEXT) | instid1(VALU_DEP_1)
	v_clz_i32_u32_e32 v18, v6
	v_min_u32_e32 v18, 32, v18
	s_delay_alu instid0(VALU_DEP_1) | instskip(SKIP_1) | instid1(VALU_DEP_2)
	v_subrev_nc_u32_e32 v19, 28, v18
	v_sub_nc_u32_e32 v18, 29, v18
	v_lshlrev_b64 v[150:151], v19, v[6:7]
	s_delay_alu instid0(VALU_DEP_1)
	v_and_b32_e32 v6, 7, v150
; %bb.1228:                             ;   in Loop: Header=BB279_927 Depth=1
	s_or_b32 exec_lo, exec_lo, s15
	v_lshlrev_b32_e32 v19, 24, v149
	s_delay_alu instid0(VALU_DEP_2) | instskip(SKIP_1) | instid1(VALU_DEP_3)
	v_lshlrev_b32_e32 v6, 20, v6
	v_lshl_add_u32 v18, v18, 23, 0x3c000000
	v_and_b32_e32 v19, 0x80000000, v19
	s_delay_alu instid0(VALU_DEP_1)
	v_or3_b32 v19, v6, v19, v18
	v_mov_b32_e32 v18, v7
.LBB279_1229:                           ;   in Loop: Header=BB279_927 Depth=1
	s_or_b32 exec_lo, exec_lo, s10
.LBB279_1230:                           ;   in Loop: Header=BB279_927 Depth=1
	s_delay_alu instid0(SALU_CYCLE_1)
	s_or_b32 exec_lo, exec_lo, s13
.LBB279_1231:                           ;   in Loop: Header=BB279_927 Depth=1
	s_delay_alu instid0(SALU_CYCLE_1) | instskip(SKIP_4) | instid1(VALU_DEP_4)
	s_or_b32 exec_lo, exec_lo, s12
	v_or_b32_e32 v5, v15, v5
	v_or_b32_e32 v4, v14, v4
	;; [unrolled: 1-line block ×4, first 2 shown]
	v_mul_f32_e32 v151, v80, v5
	s_delay_alu instid0(VALU_DEP_4) | instskip(NEXT) | instid1(VALU_DEP_4)
	v_mul_f32_e32 v150, v68, v4
	v_mul_f32_e32 v148, v80, v6
	s_delay_alu instid0(VALU_DEP_4)
	v_mul_f32_e32 v149, v68, v14
	s_and_saveexec_b32 s10, vcc_lo
; %bb.1232:                             ;   in Loop: Header=BB279_927 Depth=1
	v_cmp_lt_i32_e64 s0, v85, v122
	s_delay_alu instid0(VALU_DEP_1) | instskip(SKIP_1) | instid1(VALU_DEP_1)
	v_cndmask_b32_e64 v150, 0, v150, s0
	v_cmp_lt_i32_e64 s0, v87, v122
	v_cndmask_b32_e64 v151, 0, v151, s0
	v_cmp_lt_i32_e64 s0, v86, v122
	s_delay_alu instid0(VALU_DEP_1) | instskip(SKIP_1) | instid1(VALU_DEP_1)
	v_cndmask_b32_e64 v149, 0, v149, s0
	v_cmp_lt_i32_e64 s0, v70, v122
	v_cndmask_b32_e64 v148, 0, v148, s0
; %bb.1233:                             ;   in Loop: Header=BB279_927 Depth=1
	s_or_b32 exec_lo, exec_lo, s10
	flat_load_b32 v160, v[12:13] offset:1152
	v_mov_b32_e32 v14, 0
	v_mov_b32_e32 v15, 0
	s_mov_b32 s10, exec_lo
	s_waitcnt vmcnt(0) lgkmcnt(0)
	v_and_b32_e32 v6, 0xff, v160
	s_delay_alu instid0(VALU_DEP_2) | instskip(NEXT) | instid1(VALU_DEP_2)
	v_dual_mov_b32 v4, v14 :: v_dual_mov_b32 v5, v15
	v_cmpx_ne_u16_e32 0, v6
	s_cbranch_execz .LBB279_1241
; %bb.1234:                             ;   in Loop: Header=BB279_927 Depth=1
	v_bfrev_b32_e32 v4, 1
	v_mov_b32_e32 v5, 0
	s_mov_b32 s12, exec_lo
	v_cmpx_ne_u16_e32 0x80, v6
	s_cbranch_execz .LBB279_1240
; %bb.1235:                             ;   in Loop: Header=BB279_927 Depth=1
	v_mov_b32_e32 v4, 0x7f800001
	v_dual_mov_b32 v5, 0 :: v_dual_and_b32 v16, 0x7f, v160
	s_mov_b32 s13, exec_lo
	s_delay_alu instid0(VALU_DEP_1)
	v_cmpx_ne_u32_e32 0x7f, v16
	s_cbranch_execz .LBB279_1239
; %bb.1236:                             ;   in Loop: Header=BB279_927 Depth=1
	v_and_b32_e32 v6, 7, v160
	v_lshrrev_b32_e32 v4, 3, v16
	s_mov_b32 s15, exec_lo
	v_cmpx_gt_u32_e32 8, v16
; %bb.1237:                             ;   in Loop: Header=BB279_927 Depth=1
	s_delay_alu instid0(VALU_DEP_3) | instskip(NEXT) | instid1(VALU_DEP_1)
	v_clz_i32_u32_e32 v4, v6
	v_min_u32_e32 v4, 32, v4
	s_delay_alu instid0(VALU_DEP_1) | instskip(SKIP_1) | instid1(VALU_DEP_2)
	v_subrev_nc_u32_e32 v5, 28, v4
	v_sub_nc_u32_e32 v4, 29, v4
	v_lshlrev_b64 v[5:6], v5, v[6:7]
	s_delay_alu instid0(VALU_DEP_1)
	v_and_b32_e32 v6, 7, v5
; %bb.1238:                             ;   in Loop: Header=BB279_927 Depth=1
	s_or_b32 exec_lo, exec_lo, s15
	v_lshlrev_b32_e32 v5, 24, v160
	s_delay_alu instid0(VALU_DEP_2) | instskip(SKIP_1) | instid1(VALU_DEP_3)
	v_lshlrev_b32_e32 v6, 20, v6
	v_lshl_add_u32 v4, v4, 23, 0x3c000000
	v_and_b32_e32 v5, 0x80000000, v5
	s_delay_alu instid0(VALU_DEP_1) | instskip(NEXT) | instid1(VALU_DEP_1)
	v_or3_b32 v6, v6, v5, v4
	v_dual_mov_b32 v4, v6 :: v_dual_mov_b32 v5, v7
.LBB279_1239:                           ;   in Loop: Header=BB279_927 Depth=1
	s_or_b32 exec_lo, exec_lo, s13
.LBB279_1240:                           ;   in Loop: Header=BB279_927 Depth=1
	s_delay_alu instid0(SALU_CYCLE_1)
	s_or_b32 exec_lo, exec_lo, s12
.LBB279_1241:                           ;   in Loop: Header=BB279_927 Depth=1
	s_delay_alu instid0(SALU_CYCLE_1) | instskip(SKIP_2) | instid1(VALU_DEP_1)
	s_or_b32 exec_lo, exec_lo, s10
	v_lshrrev_b16 v6, 8, v160
	s_mov_b32 s12, exec_lo
	v_cmpx_ne_u16_e32 0, v6
	s_cbranch_execz .LBB279_1249
; %bb.1242:                             ;   in Loop: Header=BB279_927 Depth=1
	v_dual_mov_b32 v15, s9 :: v_dual_mov_b32 v14, s8
	s_mov_b32 s13, exec_lo
	v_cmpx_ne_u16_e32 0x80, v6
	s_cbranch_execz .LBB279_1248
; %bb.1243:                             ;   in Loop: Header=BB279_927 Depth=1
	s_mov_b32 s10, s8
	v_dual_mov_b32 v15, s11 :: v_dual_and_b32 v6, 0xffff, v6
	v_mov_b32_e32 v14, s10
	s_mov_b32 s10, exec_lo
	s_delay_alu instid0(VALU_DEP_2) | instskip(NEXT) | instid1(VALU_DEP_1)
	v_and_b32_e32 v16, 0x7f, v6
	v_cmpx_ne_u32_e32 0x7f, v16
	s_cbranch_execz .LBB279_1247
; %bb.1244:                             ;   in Loop: Header=BB279_927 Depth=1
	v_and_b32_e32 v6, 7, v6
	v_lshrrev_b32_e32 v14, 3, v16
	s_mov_b32 s15, exec_lo
	v_cmpx_gt_u32_e32 8, v16
; %bb.1245:                             ;   in Loop: Header=BB279_927 Depth=1
	s_delay_alu instid0(VALU_DEP_3) | instskip(NEXT) | instid1(VALU_DEP_1)
	v_clz_i32_u32_e32 v14, v6
	v_min_u32_e32 v14, 32, v14
	s_delay_alu instid0(VALU_DEP_1) | instskip(SKIP_1) | instid1(VALU_DEP_2)
	v_subrev_nc_u32_e32 v15, 28, v14
	v_sub_nc_u32_e32 v14, 29, v14
	v_lshlrev_b64 v[15:16], v15, v[6:7]
	s_delay_alu instid0(VALU_DEP_1)
	v_and_b32_e32 v6, 7, v15
; %bb.1246:                             ;   in Loop: Header=BB279_927 Depth=1
	s_or_b32 exec_lo, exec_lo, s15
	v_lshlrev_b32_e32 v15, 16, v160
	s_delay_alu instid0(VALU_DEP_2) | instskip(SKIP_1) | instid1(VALU_DEP_3)
	v_lshlrev_b32_e32 v6, 20, v6
	v_lshl_add_u32 v14, v14, 23, 0x3c000000
	v_and_b32_e32 v15, 0x80000000, v15
	s_delay_alu instid0(VALU_DEP_1)
	v_or3_b32 v15, v6, v15, v14
	v_mov_b32_e32 v14, v7
.LBB279_1247:                           ;   in Loop: Header=BB279_927 Depth=1
	s_or_b32 exec_lo, exec_lo, s10
.LBB279_1248:                           ;   in Loop: Header=BB279_927 Depth=1
	s_delay_alu instid0(SALU_CYCLE_1)
	s_or_b32 exec_lo, exec_lo, s13
.LBB279_1249:                           ;   in Loop: Header=BB279_927 Depth=1
	s_delay_alu instid0(SALU_CYCLE_1) | instskip(SKIP_4) | instid1(VALU_DEP_2)
	s_or_b32 exec_lo, exec_lo, s12
	v_mov_b32_e32 v18, 0
	v_lshrrev_b32_e32 v161, 16, v160
	v_mov_b32_e32 v19, 0
	s_mov_b32 s10, exec_lo
	v_and_b32_e32 v6, 0xff, v161
	s_delay_alu instid0(VALU_DEP_2) | instskip(NEXT) | instid1(VALU_DEP_2)
	v_dual_mov_b32 v16, v18 :: v_dual_mov_b32 v17, v19
	v_cmpx_ne_u16_e32 0, v6
	s_cbranch_execz .LBB279_1257
; %bb.1250:                             ;   in Loop: Header=BB279_927 Depth=1
	v_bfrev_b32_e32 v16, 1
	v_mov_b32_e32 v17, 0
	s_mov_b32 s12, exec_lo
	v_cmpx_ne_u16_e32 0x80, v6
	s_cbranch_execz .LBB279_1256
; %bb.1251:                             ;   in Loop: Header=BB279_927 Depth=1
	v_mov_b32_e32 v16, 0x7f800001
	v_bfe_u32 v162, v160, 16, 7
	v_mov_b32_e32 v17, 0
	s_mov_b32 s13, exec_lo
	s_delay_alu instid0(VALU_DEP_2)
	v_cmpx_ne_u32_e32 0x7f, v162
	s_cbranch_execz .LBB279_1255
; %bb.1252:                             ;   in Loop: Header=BB279_927 Depth=1
	v_and_b32_e32 v6, 7, v161
	v_lshrrev_b32_e32 v16, 3, v162
	s_mov_b32 s15, exec_lo
	v_cmpx_gt_u32_e32 8, v162
; %bb.1253:                             ;   in Loop: Header=BB279_927 Depth=1
	s_delay_alu instid0(VALU_DEP_3) | instskip(NEXT) | instid1(VALU_DEP_1)
	v_clz_i32_u32_e32 v16, v6
	v_min_u32_e32 v16, 32, v16
	s_delay_alu instid0(VALU_DEP_1) | instskip(SKIP_1) | instid1(VALU_DEP_2)
	v_subrev_nc_u32_e32 v17, 28, v16
	v_sub_nc_u32_e32 v16, 29, v16
	v_lshlrev_b64 v[162:163], v17, v[6:7]
	s_delay_alu instid0(VALU_DEP_1)
	v_and_b32_e32 v6, 7, v162
; %bb.1254:                             ;   in Loop: Header=BB279_927 Depth=1
	s_or_b32 exec_lo, exec_lo, s15
	v_lshlrev_b32_e32 v17, 24, v161
	s_delay_alu instid0(VALU_DEP_2) | instskip(SKIP_1) | instid1(VALU_DEP_3)
	v_lshlrev_b32_e32 v6, 20, v6
	v_lshl_add_u32 v16, v16, 23, 0x3c000000
	v_and_b32_e32 v17, 0x80000000, v17
	s_delay_alu instid0(VALU_DEP_1) | instskip(NEXT) | instid1(VALU_DEP_1)
	v_or3_b32 v6, v6, v17, v16
	v_dual_mov_b32 v17, v7 :: v_dual_mov_b32 v16, v6
.LBB279_1255:                           ;   in Loop: Header=BB279_927 Depth=1
	s_or_b32 exec_lo, exec_lo, s13
.LBB279_1256:                           ;   in Loop: Header=BB279_927 Depth=1
	s_delay_alu instid0(SALU_CYCLE_1)
	s_or_b32 exec_lo, exec_lo, s12
.LBB279_1257:                           ;   in Loop: Header=BB279_927 Depth=1
	s_delay_alu instid0(SALU_CYCLE_1) | instskip(NEXT) | instid1(SALU_CYCLE_1)
	s_or_b32 exec_lo, exec_lo, s10
	s_mov_b32 s12, exec_lo
	v_cmpx_lt_u32_e32 0xffffff, v160
	s_cbranch_execz .LBB279_1265
; %bb.1258:                             ;   in Loop: Header=BB279_927 Depth=1
	v_lshrrev_b32_e32 v161, 24, v160
	v_dual_mov_b32 v19, s9 :: v_dual_mov_b32 v18, s8
	s_mov_b32 s13, exec_lo
	s_delay_alu instid0(VALU_DEP_2)
	v_cmpx_ne_u32_e32 0x80, v161
	s_cbranch_execz .LBB279_1264
; %bb.1259:                             ;   in Loop: Header=BB279_927 Depth=1
	s_mov_b32 s10, s8
	v_bfe_u32 v160, v160, 24, 7
	v_dual_mov_b32 v19, s11 :: v_dual_mov_b32 v18, s10
	s_mov_b32 s10, exec_lo
	s_delay_alu instid0(VALU_DEP_2)
	v_cmpx_ne_u32_e32 0x7f, v160
	s_cbranch_execz .LBB279_1263
; %bb.1260:                             ;   in Loop: Header=BB279_927 Depth=1
	v_and_b32_e32 v6, 7, v161
	v_lshrrev_b32_e32 v18, 3, v160
	s_mov_b32 s15, exec_lo
	v_cmpx_gt_u32_e32 8, v160
; %bb.1261:                             ;   in Loop: Header=BB279_927 Depth=1
	s_delay_alu instid0(VALU_DEP_3) | instskip(NEXT) | instid1(VALU_DEP_1)
	v_clz_i32_u32_e32 v18, v6
	v_min_u32_e32 v18, 32, v18
	s_delay_alu instid0(VALU_DEP_1) | instskip(SKIP_1) | instid1(VALU_DEP_2)
	v_subrev_nc_u32_e32 v19, 28, v18
	v_sub_nc_u32_e32 v18, 29, v18
	v_lshlrev_b64 v[162:163], v19, v[6:7]
	s_delay_alu instid0(VALU_DEP_1)
	v_and_b32_e32 v6, 7, v162
; %bb.1262:                             ;   in Loop: Header=BB279_927 Depth=1
	s_or_b32 exec_lo, exec_lo, s15
	v_lshlrev_b32_e32 v19, 24, v161
	s_delay_alu instid0(VALU_DEP_2) | instskip(SKIP_1) | instid1(VALU_DEP_3)
	v_lshlrev_b32_e32 v6, 20, v6
	v_lshl_add_u32 v18, v18, 23, 0x3c000000
	v_and_b32_e32 v19, 0x80000000, v19
	s_delay_alu instid0(VALU_DEP_1)
	v_or3_b32 v19, v6, v19, v18
	v_mov_b32_e32 v18, v7
.LBB279_1263:                           ;   in Loop: Header=BB279_927 Depth=1
	s_or_b32 exec_lo, exec_lo, s10
.LBB279_1264:                           ;   in Loop: Header=BB279_927 Depth=1
	s_delay_alu instid0(SALU_CYCLE_1)
	s_or_b32 exec_lo, exec_lo, s13
.LBB279_1265:                           ;   in Loop: Header=BB279_927 Depth=1
	s_delay_alu instid0(SALU_CYCLE_1) | instskip(SKIP_4) | instid1(VALU_DEP_4)
	s_or_b32 exec_lo, exec_lo, s12
	v_or_b32_e32 v5, v15, v5
	v_or_b32_e32 v4, v14, v4
	v_or_b32_e32 v6, v19, v17
	v_or_b32_e32 v14, v18, v16
	v_mul_f32_e32 v163, v80, v5
	s_delay_alu instid0(VALU_DEP_4) | instskip(NEXT) | instid1(VALU_DEP_4)
	v_mul_f32_e32 v162, v68, v4
	v_mul_f32_e32 v160, v80, v6
	s_delay_alu instid0(VALU_DEP_4)
	v_mul_f32_e32 v161, v68, v14
	s_and_saveexec_b32 s10, vcc_lo
; %bb.1266:                             ;   in Loop: Header=BB279_927 Depth=1
	v_cmp_lt_i32_e64 s0, v85, v122
	s_delay_alu instid0(VALU_DEP_1) | instskip(SKIP_1) | instid1(VALU_DEP_1)
	v_cndmask_b32_e64 v162, 0, v162, s0
	v_cmp_lt_i32_e64 s0, v87, v122
	v_cndmask_b32_e64 v163, 0, v163, s0
	v_cmp_lt_i32_e64 s0, v86, v122
	s_delay_alu instid0(VALU_DEP_1) | instskip(SKIP_1) | instid1(VALU_DEP_1)
	v_cndmask_b32_e64 v161, 0, v161, s0
	v_cmp_lt_i32_e64 s0, v70, v122
	v_cndmask_b32_e64 v160, 0, v160, s0
; %bb.1267:                             ;   in Loop: Header=BB279_927 Depth=1
	s_or_b32 exec_lo, exec_lo, s10
	flat_load_b32 v164, v[12:13] offset:1280
	v_mov_b32_e32 v14, 0
	v_mov_b32_e32 v15, 0
	s_mov_b32 s10, exec_lo
	s_waitcnt vmcnt(0) lgkmcnt(0)
	v_and_b32_e32 v6, 0xff, v164
	s_delay_alu instid0(VALU_DEP_2) | instskip(NEXT) | instid1(VALU_DEP_2)
	v_dual_mov_b32 v4, v14 :: v_dual_mov_b32 v5, v15
	v_cmpx_ne_u16_e32 0, v6
	s_cbranch_execz .LBB279_1275
; %bb.1268:                             ;   in Loop: Header=BB279_927 Depth=1
	v_bfrev_b32_e32 v4, 1
	v_mov_b32_e32 v5, 0
	s_mov_b32 s12, exec_lo
	v_cmpx_ne_u16_e32 0x80, v6
	s_cbranch_execz .LBB279_1274
; %bb.1269:                             ;   in Loop: Header=BB279_927 Depth=1
	v_mov_b32_e32 v4, 0x7f800001
	v_dual_mov_b32 v5, 0 :: v_dual_and_b32 v16, 0x7f, v164
	s_mov_b32 s13, exec_lo
	s_delay_alu instid0(VALU_DEP_1)
	v_cmpx_ne_u32_e32 0x7f, v16
	s_cbranch_execz .LBB279_1273
; %bb.1270:                             ;   in Loop: Header=BB279_927 Depth=1
	v_and_b32_e32 v6, 7, v164
	v_lshrrev_b32_e32 v4, 3, v16
	s_mov_b32 s15, exec_lo
	v_cmpx_gt_u32_e32 8, v16
; %bb.1271:                             ;   in Loop: Header=BB279_927 Depth=1
	s_delay_alu instid0(VALU_DEP_3) | instskip(NEXT) | instid1(VALU_DEP_1)
	v_clz_i32_u32_e32 v4, v6
	v_min_u32_e32 v4, 32, v4
	s_delay_alu instid0(VALU_DEP_1) | instskip(SKIP_1) | instid1(VALU_DEP_2)
	v_subrev_nc_u32_e32 v5, 28, v4
	v_sub_nc_u32_e32 v4, 29, v4
	v_lshlrev_b64 v[5:6], v5, v[6:7]
	s_delay_alu instid0(VALU_DEP_1)
	v_and_b32_e32 v6, 7, v5
; %bb.1272:                             ;   in Loop: Header=BB279_927 Depth=1
	s_or_b32 exec_lo, exec_lo, s15
	v_lshlrev_b32_e32 v5, 24, v164
	s_delay_alu instid0(VALU_DEP_2) | instskip(SKIP_1) | instid1(VALU_DEP_3)
	v_lshlrev_b32_e32 v6, 20, v6
	v_lshl_add_u32 v4, v4, 23, 0x3c000000
	v_and_b32_e32 v5, 0x80000000, v5
	s_delay_alu instid0(VALU_DEP_1) | instskip(NEXT) | instid1(VALU_DEP_1)
	v_or3_b32 v6, v6, v5, v4
	v_dual_mov_b32 v4, v6 :: v_dual_mov_b32 v5, v7
.LBB279_1273:                           ;   in Loop: Header=BB279_927 Depth=1
	s_or_b32 exec_lo, exec_lo, s13
.LBB279_1274:                           ;   in Loop: Header=BB279_927 Depth=1
	s_delay_alu instid0(SALU_CYCLE_1)
	s_or_b32 exec_lo, exec_lo, s12
.LBB279_1275:                           ;   in Loop: Header=BB279_927 Depth=1
	s_delay_alu instid0(SALU_CYCLE_1) | instskip(SKIP_2) | instid1(VALU_DEP_1)
	s_or_b32 exec_lo, exec_lo, s10
	v_lshrrev_b16 v6, 8, v164
	s_mov_b32 s12, exec_lo
	v_cmpx_ne_u16_e32 0, v6
	s_cbranch_execz .LBB279_1283
; %bb.1276:                             ;   in Loop: Header=BB279_927 Depth=1
	v_dual_mov_b32 v15, s9 :: v_dual_mov_b32 v14, s8
	s_mov_b32 s13, exec_lo
	v_cmpx_ne_u16_e32 0x80, v6
	s_cbranch_execz .LBB279_1282
; %bb.1277:                             ;   in Loop: Header=BB279_927 Depth=1
	s_mov_b32 s10, s8
	v_dual_mov_b32 v15, s11 :: v_dual_and_b32 v6, 0xffff, v6
	v_mov_b32_e32 v14, s10
	s_mov_b32 s10, exec_lo
	s_delay_alu instid0(VALU_DEP_2) | instskip(NEXT) | instid1(VALU_DEP_1)
	v_and_b32_e32 v16, 0x7f, v6
	v_cmpx_ne_u32_e32 0x7f, v16
	s_cbranch_execz .LBB279_1281
; %bb.1278:                             ;   in Loop: Header=BB279_927 Depth=1
	v_and_b32_e32 v6, 7, v6
	v_lshrrev_b32_e32 v14, 3, v16
	s_mov_b32 s15, exec_lo
	v_cmpx_gt_u32_e32 8, v16
; %bb.1279:                             ;   in Loop: Header=BB279_927 Depth=1
	s_delay_alu instid0(VALU_DEP_3) | instskip(NEXT) | instid1(VALU_DEP_1)
	v_clz_i32_u32_e32 v14, v6
	v_min_u32_e32 v14, 32, v14
	s_delay_alu instid0(VALU_DEP_1) | instskip(SKIP_1) | instid1(VALU_DEP_2)
	v_subrev_nc_u32_e32 v15, 28, v14
	v_sub_nc_u32_e32 v14, 29, v14
	v_lshlrev_b64 v[15:16], v15, v[6:7]
	s_delay_alu instid0(VALU_DEP_1)
	v_and_b32_e32 v6, 7, v15
; %bb.1280:                             ;   in Loop: Header=BB279_927 Depth=1
	s_or_b32 exec_lo, exec_lo, s15
	v_lshlrev_b32_e32 v15, 16, v164
	s_delay_alu instid0(VALU_DEP_2) | instskip(SKIP_1) | instid1(VALU_DEP_3)
	v_lshlrev_b32_e32 v6, 20, v6
	v_lshl_add_u32 v14, v14, 23, 0x3c000000
	v_and_b32_e32 v15, 0x80000000, v15
	s_delay_alu instid0(VALU_DEP_1)
	v_or3_b32 v15, v6, v15, v14
	v_mov_b32_e32 v14, v7
.LBB279_1281:                           ;   in Loop: Header=BB279_927 Depth=1
	s_or_b32 exec_lo, exec_lo, s10
.LBB279_1282:                           ;   in Loop: Header=BB279_927 Depth=1
	s_delay_alu instid0(SALU_CYCLE_1)
	s_or_b32 exec_lo, exec_lo, s13
.LBB279_1283:                           ;   in Loop: Header=BB279_927 Depth=1
	s_delay_alu instid0(SALU_CYCLE_1) | instskip(SKIP_4) | instid1(VALU_DEP_2)
	s_or_b32 exec_lo, exec_lo, s12
	v_mov_b32_e32 v18, 0
	v_lshrrev_b32_e32 v165, 16, v164
	v_mov_b32_e32 v19, 0
	s_mov_b32 s10, exec_lo
	v_and_b32_e32 v6, 0xff, v165
	s_delay_alu instid0(VALU_DEP_2) | instskip(NEXT) | instid1(VALU_DEP_2)
	v_dual_mov_b32 v16, v18 :: v_dual_mov_b32 v17, v19
	v_cmpx_ne_u16_e32 0, v6
	s_cbranch_execz .LBB279_1291
; %bb.1284:                             ;   in Loop: Header=BB279_927 Depth=1
	v_bfrev_b32_e32 v16, 1
	v_mov_b32_e32 v17, 0
	s_mov_b32 s12, exec_lo
	v_cmpx_ne_u16_e32 0x80, v6
	s_cbranch_execz .LBB279_1290
; %bb.1285:                             ;   in Loop: Header=BB279_927 Depth=1
	v_mov_b32_e32 v16, 0x7f800001
	v_bfe_u32 v166, v164, 16, 7
	v_mov_b32_e32 v17, 0
	s_mov_b32 s13, exec_lo
	s_delay_alu instid0(VALU_DEP_2)
	v_cmpx_ne_u32_e32 0x7f, v166
	s_cbranch_execz .LBB279_1289
; %bb.1286:                             ;   in Loop: Header=BB279_927 Depth=1
	v_and_b32_e32 v6, 7, v165
	v_lshrrev_b32_e32 v16, 3, v166
	s_mov_b32 s15, exec_lo
	v_cmpx_gt_u32_e32 8, v166
; %bb.1287:                             ;   in Loop: Header=BB279_927 Depth=1
	s_delay_alu instid0(VALU_DEP_3) | instskip(NEXT) | instid1(VALU_DEP_1)
	v_clz_i32_u32_e32 v16, v6
	v_min_u32_e32 v16, 32, v16
	s_delay_alu instid0(VALU_DEP_1) | instskip(SKIP_1) | instid1(VALU_DEP_2)
	v_subrev_nc_u32_e32 v17, 28, v16
	v_sub_nc_u32_e32 v16, 29, v16
	v_lshlrev_b64 v[166:167], v17, v[6:7]
	s_delay_alu instid0(VALU_DEP_1)
	v_and_b32_e32 v6, 7, v166
; %bb.1288:                             ;   in Loop: Header=BB279_927 Depth=1
	s_or_b32 exec_lo, exec_lo, s15
	v_lshlrev_b32_e32 v17, 24, v165
	s_delay_alu instid0(VALU_DEP_2) | instskip(SKIP_1) | instid1(VALU_DEP_3)
	v_lshlrev_b32_e32 v6, 20, v6
	v_lshl_add_u32 v16, v16, 23, 0x3c000000
	v_and_b32_e32 v17, 0x80000000, v17
	s_delay_alu instid0(VALU_DEP_1) | instskip(NEXT) | instid1(VALU_DEP_1)
	v_or3_b32 v6, v6, v17, v16
	v_dual_mov_b32 v17, v7 :: v_dual_mov_b32 v16, v6
.LBB279_1289:                           ;   in Loop: Header=BB279_927 Depth=1
	s_or_b32 exec_lo, exec_lo, s13
.LBB279_1290:                           ;   in Loop: Header=BB279_927 Depth=1
	s_delay_alu instid0(SALU_CYCLE_1)
	s_or_b32 exec_lo, exec_lo, s12
.LBB279_1291:                           ;   in Loop: Header=BB279_927 Depth=1
	s_delay_alu instid0(SALU_CYCLE_1) | instskip(NEXT) | instid1(SALU_CYCLE_1)
	s_or_b32 exec_lo, exec_lo, s10
	s_mov_b32 s12, exec_lo
	v_cmpx_lt_u32_e32 0xffffff, v164
	s_cbranch_execz .LBB279_1299
; %bb.1292:                             ;   in Loop: Header=BB279_927 Depth=1
	v_lshrrev_b32_e32 v165, 24, v164
	v_dual_mov_b32 v19, s9 :: v_dual_mov_b32 v18, s8
	s_mov_b32 s13, exec_lo
	s_delay_alu instid0(VALU_DEP_2)
	v_cmpx_ne_u32_e32 0x80, v165
	s_cbranch_execz .LBB279_1298
; %bb.1293:                             ;   in Loop: Header=BB279_927 Depth=1
	s_mov_b32 s10, s8
	v_bfe_u32 v164, v164, 24, 7
	v_dual_mov_b32 v19, s11 :: v_dual_mov_b32 v18, s10
	s_mov_b32 s10, exec_lo
	s_delay_alu instid0(VALU_DEP_2)
	v_cmpx_ne_u32_e32 0x7f, v164
	s_cbranch_execz .LBB279_1297
; %bb.1294:                             ;   in Loop: Header=BB279_927 Depth=1
	v_and_b32_e32 v6, 7, v165
	v_lshrrev_b32_e32 v18, 3, v164
	s_mov_b32 s15, exec_lo
	v_cmpx_gt_u32_e32 8, v164
; %bb.1295:                             ;   in Loop: Header=BB279_927 Depth=1
	s_delay_alu instid0(VALU_DEP_3) | instskip(NEXT) | instid1(VALU_DEP_1)
	v_clz_i32_u32_e32 v18, v6
	v_min_u32_e32 v18, 32, v18
	s_delay_alu instid0(VALU_DEP_1) | instskip(SKIP_1) | instid1(VALU_DEP_2)
	v_subrev_nc_u32_e32 v19, 28, v18
	v_sub_nc_u32_e32 v18, 29, v18
	v_lshlrev_b64 v[166:167], v19, v[6:7]
	s_delay_alu instid0(VALU_DEP_1)
	v_and_b32_e32 v6, 7, v166
; %bb.1296:                             ;   in Loop: Header=BB279_927 Depth=1
	s_or_b32 exec_lo, exec_lo, s15
	v_lshlrev_b32_e32 v19, 24, v165
	s_delay_alu instid0(VALU_DEP_2) | instskip(SKIP_1) | instid1(VALU_DEP_3)
	v_lshlrev_b32_e32 v6, 20, v6
	v_lshl_add_u32 v18, v18, 23, 0x3c000000
	v_and_b32_e32 v19, 0x80000000, v19
	s_delay_alu instid0(VALU_DEP_1)
	v_or3_b32 v19, v6, v19, v18
	v_mov_b32_e32 v18, v7
.LBB279_1297:                           ;   in Loop: Header=BB279_927 Depth=1
	s_or_b32 exec_lo, exec_lo, s10
.LBB279_1298:                           ;   in Loop: Header=BB279_927 Depth=1
	s_delay_alu instid0(SALU_CYCLE_1)
	s_or_b32 exec_lo, exec_lo, s13
.LBB279_1299:                           ;   in Loop: Header=BB279_927 Depth=1
	s_delay_alu instid0(SALU_CYCLE_1) | instskip(SKIP_4) | instid1(VALU_DEP_4)
	s_or_b32 exec_lo, exec_lo, s12
	v_or_b32_e32 v5, v15, v5
	v_or_b32_e32 v4, v14, v4
	;; [unrolled: 1-line block ×4, first 2 shown]
	v_mul_f32_e32 v167, v80, v5
	s_delay_alu instid0(VALU_DEP_4) | instskip(NEXT) | instid1(VALU_DEP_4)
	v_mul_f32_e32 v166, v68, v4
	v_mul_f32_e32 v164, v80, v6
	s_delay_alu instid0(VALU_DEP_4)
	v_mul_f32_e32 v165, v68, v14
	s_and_saveexec_b32 s10, vcc_lo
; %bb.1300:                             ;   in Loop: Header=BB279_927 Depth=1
	v_cmp_lt_i32_e64 s0, v85, v122
	s_delay_alu instid0(VALU_DEP_1) | instskip(SKIP_1) | instid1(VALU_DEP_1)
	v_cndmask_b32_e64 v166, 0, v166, s0
	v_cmp_lt_i32_e64 s0, v87, v122
	v_cndmask_b32_e64 v167, 0, v167, s0
	v_cmp_lt_i32_e64 s0, v86, v122
	s_delay_alu instid0(VALU_DEP_1) | instskip(SKIP_1) | instid1(VALU_DEP_1)
	v_cndmask_b32_e64 v165, 0, v165, s0
	v_cmp_lt_i32_e64 s0, v70, v122
	v_cndmask_b32_e64 v164, 0, v164, s0
; %bb.1301:                             ;   in Loop: Header=BB279_927 Depth=1
	s_or_b32 exec_lo, exec_lo, s10
	flat_load_b32 v176, v[12:13] offset:1408
	v_mov_b32_e32 v14, 0
	v_mov_b32_e32 v15, 0
	s_mov_b32 s10, exec_lo
	s_waitcnt vmcnt(0) lgkmcnt(0)
	v_and_b32_e32 v6, 0xff, v176
	s_delay_alu instid0(VALU_DEP_2) | instskip(NEXT) | instid1(VALU_DEP_2)
	v_dual_mov_b32 v4, v14 :: v_dual_mov_b32 v5, v15
	v_cmpx_ne_u16_e32 0, v6
	s_cbranch_execz .LBB279_1309
; %bb.1302:                             ;   in Loop: Header=BB279_927 Depth=1
	v_bfrev_b32_e32 v4, 1
	v_mov_b32_e32 v5, 0
	s_mov_b32 s12, exec_lo
	v_cmpx_ne_u16_e32 0x80, v6
	s_cbranch_execz .LBB279_1308
; %bb.1303:                             ;   in Loop: Header=BB279_927 Depth=1
	v_mov_b32_e32 v4, 0x7f800001
	v_dual_mov_b32 v5, 0 :: v_dual_and_b32 v16, 0x7f, v176
	s_mov_b32 s13, exec_lo
	s_delay_alu instid0(VALU_DEP_1)
	v_cmpx_ne_u32_e32 0x7f, v16
	s_cbranch_execz .LBB279_1307
; %bb.1304:                             ;   in Loop: Header=BB279_927 Depth=1
	v_and_b32_e32 v6, 7, v176
	v_lshrrev_b32_e32 v4, 3, v16
	s_mov_b32 s15, exec_lo
	v_cmpx_gt_u32_e32 8, v16
; %bb.1305:                             ;   in Loop: Header=BB279_927 Depth=1
	s_delay_alu instid0(VALU_DEP_3) | instskip(NEXT) | instid1(VALU_DEP_1)
	v_clz_i32_u32_e32 v4, v6
	v_min_u32_e32 v4, 32, v4
	s_delay_alu instid0(VALU_DEP_1) | instskip(SKIP_1) | instid1(VALU_DEP_2)
	v_subrev_nc_u32_e32 v5, 28, v4
	v_sub_nc_u32_e32 v4, 29, v4
	v_lshlrev_b64 v[5:6], v5, v[6:7]
	s_delay_alu instid0(VALU_DEP_1)
	v_and_b32_e32 v6, 7, v5
; %bb.1306:                             ;   in Loop: Header=BB279_927 Depth=1
	s_or_b32 exec_lo, exec_lo, s15
	v_lshlrev_b32_e32 v5, 24, v176
	s_delay_alu instid0(VALU_DEP_2) | instskip(SKIP_1) | instid1(VALU_DEP_3)
	v_lshlrev_b32_e32 v6, 20, v6
	v_lshl_add_u32 v4, v4, 23, 0x3c000000
	v_and_b32_e32 v5, 0x80000000, v5
	s_delay_alu instid0(VALU_DEP_1) | instskip(NEXT) | instid1(VALU_DEP_1)
	v_or3_b32 v6, v6, v5, v4
	v_dual_mov_b32 v4, v6 :: v_dual_mov_b32 v5, v7
.LBB279_1307:                           ;   in Loop: Header=BB279_927 Depth=1
	s_or_b32 exec_lo, exec_lo, s13
.LBB279_1308:                           ;   in Loop: Header=BB279_927 Depth=1
	s_delay_alu instid0(SALU_CYCLE_1)
	s_or_b32 exec_lo, exec_lo, s12
.LBB279_1309:                           ;   in Loop: Header=BB279_927 Depth=1
	s_delay_alu instid0(SALU_CYCLE_1) | instskip(SKIP_2) | instid1(VALU_DEP_1)
	s_or_b32 exec_lo, exec_lo, s10
	v_lshrrev_b16 v6, 8, v176
	s_mov_b32 s12, exec_lo
	v_cmpx_ne_u16_e32 0, v6
	s_cbranch_execz .LBB279_1317
; %bb.1310:                             ;   in Loop: Header=BB279_927 Depth=1
	v_dual_mov_b32 v15, s9 :: v_dual_mov_b32 v14, s8
	s_mov_b32 s13, exec_lo
	v_cmpx_ne_u16_e32 0x80, v6
	s_cbranch_execz .LBB279_1316
; %bb.1311:                             ;   in Loop: Header=BB279_927 Depth=1
	s_mov_b32 s10, s8
	v_dual_mov_b32 v15, s11 :: v_dual_and_b32 v6, 0xffff, v6
	v_mov_b32_e32 v14, s10
	s_mov_b32 s10, exec_lo
	s_delay_alu instid0(VALU_DEP_2) | instskip(NEXT) | instid1(VALU_DEP_1)
	v_and_b32_e32 v16, 0x7f, v6
	v_cmpx_ne_u32_e32 0x7f, v16
	s_cbranch_execz .LBB279_1315
; %bb.1312:                             ;   in Loop: Header=BB279_927 Depth=1
	v_and_b32_e32 v6, 7, v6
	v_lshrrev_b32_e32 v14, 3, v16
	s_mov_b32 s15, exec_lo
	v_cmpx_gt_u32_e32 8, v16
; %bb.1313:                             ;   in Loop: Header=BB279_927 Depth=1
	s_delay_alu instid0(VALU_DEP_3) | instskip(NEXT) | instid1(VALU_DEP_1)
	v_clz_i32_u32_e32 v14, v6
	v_min_u32_e32 v14, 32, v14
	s_delay_alu instid0(VALU_DEP_1) | instskip(SKIP_1) | instid1(VALU_DEP_2)
	v_subrev_nc_u32_e32 v15, 28, v14
	v_sub_nc_u32_e32 v14, 29, v14
	v_lshlrev_b64 v[15:16], v15, v[6:7]
	s_delay_alu instid0(VALU_DEP_1)
	v_and_b32_e32 v6, 7, v15
; %bb.1314:                             ;   in Loop: Header=BB279_927 Depth=1
	s_or_b32 exec_lo, exec_lo, s15
	v_lshlrev_b32_e32 v15, 16, v176
	s_delay_alu instid0(VALU_DEP_2) | instskip(SKIP_1) | instid1(VALU_DEP_3)
	v_lshlrev_b32_e32 v6, 20, v6
	v_lshl_add_u32 v14, v14, 23, 0x3c000000
	v_and_b32_e32 v15, 0x80000000, v15
	s_delay_alu instid0(VALU_DEP_1)
	v_or3_b32 v15, v6, v15, v14
	v_mov_b32_e32 v14, v7
.LBB279_1315:                           ;   in Loop: Header=BB279_927 Depth=1
	s_or_b32 exec_lo, exec_lo, s10
.LBB279_1316:                           ;   in Loop: Header=BB279_927 Depth=1
	s_delay_alu instid0(SALU_CYCLE_1)
	s_or_b32 exec_lo, exec_lo, s13
.LBB279_1317:                           ;   in Loop: Header=BB279_927 Depth=1
	s_delay_alu instid0(SALU_CYCLE_1) | instskip(SKIP_4) | instid1(VALU_DEP_2)
	s_or_b32 exec_lo, exec_lo, s12
	v_mov_b32_e32 v18, 0
	v_lshrrev_b32_e32 v177, 16, v176
	v_mov_b32_e32 v19, 0
	s_mov_b32 s10, exec_lo
	v_and_b32_e32 v6, 0xff, v177
	s_delay_alu instid0(VALU_DEP_2) | instskip(NEXT) | instid1(VALU_DEP_2)
	v_dual_mov_b32 v16, v18 :: v_dual_mov_b32 v17, v19
	v_cmpx_ne_u16_e32 0, v6
	s_cbranch_execz .LBB279_1325
; %bb.1318:                             ;   in Loop: Header=BB279_927 Depth=1
	v_bfrev_b32_e32 v16, 1
	v_mov_b32_e32 v17, 0
	s_mov_b32 s12, exec_lo
	v_cmpx_ne_u16_e32 0x80, v6
	s_cbranch_execz .LBB279_1324
; %bb.1319:                             ;   in Loop: Header=BB279_927 Depth=1
	v_mov_b32_e32 v16, 0x7f800001
	v_bfe_u32 v178, v176, 16, 7
	v_mov_b32_e32 v17, 0
	s_mov_b32 s13, exec_lo
	s_delay_alu instid0(VALU_DEP_2)
	v_cmpx_ne_u32_e32 0x7f, v178
	s_cbranch_execz .LBB279_1323
; %bb.1320:                             ;   in Loop: Header=BB279_927 Depth=1
	v_and_b32_e32 v6, 7, v177
	v_lshrrev_b32_e32 v16, 3, v178
	s_mov_b32 s15, exec_lo
	v_cmpx_gt_u32_e32 8, v178
; %bb.1321:                             ;   in Loop: Header=BB279_927 Depth=1
	s_delay_alu instid0(VALU_DEP_3) | instskip(NEXT) | instid1(VALU_DEP_1)
	v_clz_i32_u32_e32 v16, v6
	v_min_u32_e32 v16, 32, v16
	s_delay_alu instid0(VALU_DEP_1) | instskip(SKIP_1) | instid1(VALU_DEP_2)
	v_subrev_nc_u32_e32 v17, 28, v16
	v_sub_nc_u32_e32 v16, 29, v16
	v_lshlrev_b64 v[178:179], v17, v[6:7]
	s_delay_alu instid0(VALU_DEP_1)
	v_and_b32_e32 v6, 7, v178
; %bb.1322:                             ;   in Loop: Header=BB279_927 Depth=1
	s_or_b32 exec_lo, exec_lo, s15
	v_lshlrev_b32_e32 v17, 24, v177
	s_delay_alu instid0(VALU_DEP_2) | instskip(SKIP_1) | instid1(VALU_DEP_3)
	v_lshlrev_b32_e32 v6, 20, v6
	v_lshl_add_u32 v16, v16, 23, 0x3c000000
	v_and_b32_e32 v17, 0x80000000, v17
	s_delay_alu instid0(VALU_DEP_1) | instskip(NEXT) | instid1(VALU_DEP_1)
	v_or3_b32 v6, v6, v17, v16
	v_dual_mov_b32 v17, v7 :: v_dual_mov_b32 v16, v6
.LBB279_1323:                           ;   in Loop: Header=BB279_927 Depth=1
	s_or_b32 exec_lo, exec_lo, s13
.LBB279_1324:                           ;   in Loop: Header=BB279_927 Depth=1
	s_delay_alu instid0(SALU_CYCLE_1)
	s_or_b32 exec_lo, exec_lo, s12
.LBB279_1325:                           ;   in Loop: Header=BB279_927 Depth=1
	s_delay_alu instid0(SALU_CYCLE_1) | instskip(NEXT) | instid1(SALU_CYCLE_1)
	s_or_b32 exec_lo, exec_lo, s10
	s_mov_b32 s12, exec_lo
	v_cmpx_lt_u32_e32 0xffffff, v176
	s_cbranch_execz .LBB279_1333
; %bb.1326:                             ;   in Loop: Header=BB279_927 Depth=1
	v_lshrrev_b32_e32 v177, 24, v176
	v_dual_mov_b32 v19, s9 :: v_dual_mov_b32 v18, s8
	s_mov_b32 s13, exec_lo
	s_delay_alu instid0(VALU_DEP_2)
	v_cmpx_ne_u32_e32 0x80, v177
	s_cbranch_execz .LBB279_1332
; %bb.1327:                             ;   in Loop: Header=BB279_927 Depth=1
	s_mov_b32 s10, s8
	v_bfe_u32 v176, v176, 24, 7
	v_dual_mov_b32 v19, s11 :: v_dual_mov_b32 v18, s10
	s_mov_b32 s10, exec_lo
	s_delay_alu instid0(VALU_DEP_2)
	v_cmpx_ne_u32_e32 0x7f, v176
	s_cbranch_execz .LBB279_1331
; %bb.1328:                             ;   in Loop: Header=BB279_927 Depth=1
	v_and_b32_e32 v6, 7, v177
	v_lshrrev_b32_e32 v18, 3, v176
	s_mov_b32 s15, exec_lo
	v_cmpx_gt_u32_e32 8, v176
; %bb.1329:                             ;   in Loop: Header=BB279_927 Depth=1
	s_delay_alu instid0(VALU_DEP_3) | instskip(NEXT) | instid1(VALU_DEP_1)
	v_clz_i32_u32_e32 v18, v6
	v_min_u32_e32 v18, 32, v18
	s_delay_alu instid0(VALU_DEP_1) | instskip(SKIP_1) | instid1(VALU_DEP_2)
	v_subrev_nc_u32_e32 v19, 28, v18
	v_sub_nc_u32_e32 v18, 29, v18
	v_lshlrev_b64 v[178:179], v19, v[6:7]
	s_delay_alu instid0(VALU_DEP_1)
	v_and_b32_e32 v6, 7, v178
; %bb.1330:                             ;   in Loop: Header=BB279_927 Depth=1
	s_or_b32 exec_lo, exec_lo, s15
	v_lshlrev_b32_e32 v19, 24, v177
	s_delay_alu instid0(VALU_DEP_2) | instskip(SKIP_1) | instid1(VALU_DEP_3)
	v_lshlrev_b32_e32 v6, 20, v6
	v_lshl_add_u32 v18, v18, 23, 0x3c000000
	v_and_b32_e32 v19, 0x80000000, v19
	s_delay_alu instid0(VALU_DEP_1)
	v_or3_b32 v19, v6, v19, v18
	v_mov_b32_e32 v18, v7
.LBB279_1331:                           ;   in Loop: Header=BB279_927 Depth=1
	s_or_b32 exec_lo, exec_lo, s10
.LBB279_1332:                           ;   in Loop: Header=BB279_927 Depth=1
	s_delay_alu instid0(SALU_CYCLE_1)
	s_or_b32 exec_lo, exec_lo, s13
.LBB279_1333:                           ;   in Loop: Header=BB279_927 Depth=1
	s_delay_alu instid0(SALU_CYCLE_1) | instskip(SKIP_4) | instid1(VALU_DEP_4)
	s_or_b32 exec_lo, exec_lo, s12
	v_or_b32_e32 v5, v15, v5
	v_or_b32_e32 v4, v14, v4
	v_or_b32_e32 v6, v19, v17
	v_or_b32_e32 v14, v18, v16
	v_mul_f32_e32 v179, v80, v5
	s_delay_alu instid0(VALU_DEP_4) | instskip(NEXT) | instid1(VALU_DEP_4)
	v_mul_f32_e32 v178, v68, v4
	v_mul_f32_e32 v176, v80, v6
	s_delay_alu instid0(VALU_DEP_4)
	v_mul_f32_e32 v177, v68, v14
	s_and_saveexec_b32 s10, vcc_lo
; %bb.1334:                             ;   in Loop: Header=BB279_927 Depth=1
	v_cmp_lt_i32_e64 s0, v85, v122
	s_delay_alu instid0(VALU_DEP_1) | instskip(SKIP_1) | instid1(VALU_DEP_1)
	v_cndmask_b32_e64 v178, 0, v178, s0
	v_cmp_lt_i32_e64 s0, v87, v122
	v_cndmask_b32_e64 v179, 0, v179, s0
	v_cmp_lt_i32_e64 s0, v86, v122
	s_delay_alu instid0(VALU_DEP_1) | instskip(SKIP_1) | instid1(VALU_DEP_1)
	v_cndmask_b32_e64 v177, 0, v177, s0
	v_cmp_lt_i32_e64 s0, v70, v122
	v_cndmask_b32_e64 v176, 0, v176, s0
; %bb.1335:                             ;   in Loop: Header=BB279_927 Depth=1
	s_or_b32 exec_lo, exec_lo, s10
	flat_load_b32 v180, v[12:13] offset:1536
	v_mov_b32_e32 v14, 0
	v_mov_b32_e32 v15, 0
	s_mov_b32 s10, exec_lo
	s_waitcnt vmcnt(0) lgkmcnt(0)
	v_and_b32_e32 v6, 0xff, v180
	s_delay_alu instid0(VALU_DEP_2) | instskip(NEXT) | instid1(VALU_DEP_2)
	v_dual_mov_b32 v4, v14 :: v_dual_mov_b32 v5, v15
	v_cmpx_ne_u16_e32 0, v6
	s_cbranch_execz .LBB279_1343
; %bb.1336:                             ;   in Loop: Header=BB279_927 Depth=1
	v_bfrev_b32_e32 v4, 1
	v_mov_b32_e32 v5, 0
	s_mov_b32 s12, exec_lo
	v_cmpx_ne_u16_e32 0x80, v6
	s_cbranch_execz .LBB279_1342
; %bb.1337:                             ;   in Loop: Header=BB279_927 Depth=1
	v_mov_b32_e32 v4, 0x7f800001
	v_dual_mov_b32 v5, 0 :: v_dual_and_b32 v16, 0x7f, v180
	s_mov_b32 s13, exec_lo
	s_delay_alu instid0(VALU_DEP_1)
	v_cmpx_ne_u32_e32 0x7f, v16
	s_cbranch_execz .LBB279_1341
; %bb.1338:                             ;   in Loop: Header=BB279_927 Depth=1
	v_and_b32_e32 v6, 7, v180
	v_lshrrev_b32_e32 v4, 3, v16
	s_mov_b32 s15, exec_lo
	v_cmpx_gt_u32_e32 8, v16
; %bb.1339:                             ;   in Loop: Header=BB279_927 Depth=1
	s_delay_alu instid0(VALU_DEP_3) | instskip(NEXT) | instid1(VALU_DEP_1)
	v_clz_i32_u32_e32 v4, v6
	v_min_u32_e32 v4, 32, v4
	s_delay_alu instid0(VALU_DEP_1) | instskip(SKIP_1) | instid1(VALU_DEP_2)
	v_subrev_nc_u32_e32 v5, 28, v4
	v_sub_nc_u32_e32 v4, 29, v4
	v_lshlrev_b64 v[5:6], v5, v[6:7]
	s_delay_alu instid0(VALU_DEP_1)
	v_and_b32_e32 v6, 7, v5
; %bb.1340:                             ;   in Loop: Header=BB279_927 Depth=1
	s_or_b32 exec_lo, exec_lo, s15
	v_lshlrev_b32_e32 v5, 24, v180
	s_delay_alu instid0(VALU_DEP_2) | instskip(SKIP_1) | instid1(VALU_DEP_3)
	v_lshlrev_b32_e32 v6, 20, v6
	v_lshl_add_u32 v4, v4, 23, 0x3c000000
	v_and_b32_e32 v5, 0x80000000, v5
	s_delay_alu instid0(VALU_DEP_1) | instskip(NEXT) | instid1(VALU_DEP_1)
	v_or3_b32 v6, v6, v5, v4
	v_dual_mov_b32 v4, v6 :: v_dual_mov_b32 v5, v7
.LBB279_1341:                           ;   in Loop: Header=BB279_927 Depth=1
	s_or_b32 exec_lo, exec_lo, s13
.LBB279_1342:                           ;   in Loop: Header=BB279_927 Depth=1
	s_delay_alu instid0(SALU_CYCLE_1)
	s_or_b32 exec_lo, exec_lo, s12
.LBB279_1343:                           ;   in Loop: Header=BB279_927 Depth=1
	s_delay_alu instid0(SALU_CYCLE_1) | instskip(SKIP_2) | instid1(VALU_DEP_1)
	s_or_b32 exec_lo, exec_lo, s10
	v_lshrrev_b16 v6, 8, v180
	s_mov_b32 s12, exec_lo
	v_cmpx_ne_u16_e32 0, v6
	s_cbranch_execz .LBB279_1351
; %bb.1344:                             ;   in Loop: Header=BB279_927 Depth=1
	v_dual_mov_b32 v15, s9 :: v_dual_mov_b32 v14, s8
	s_mov_b32 s13, exec_lo
	v_cmpx_ne_u16_e32 0x80, v6
	s_cbranch_execz .LBB279_1350
; %bb.1345:                             ;   in Loop: Header=BB279_927 Depth=1
	s_mov_b32 s10, s8
	v_dual_mov_b32 v15, s11 :: v_dual_and_b32 v6, 0xffff, v6
	v_mov_b32_e32 v14, s10
	s_mov_b32 s10, exec_lo
	s_delay_alu instid0(VALU_DEP_2) | instskip(NEXT) | instid1(VALU_DEP_1)
	v_and_b32_e32 v16, 0x7f, v6
	v_cmpx_ne_u32_e32 0x7f, v16
	s_cbranch_execz .LBB279_1349
; %bb.1346:                             ;   in Loop: Header=BB279_927 Depth=1
	v_and_b32_e32 v6, 7, v6
	v_lshrrev_b32_e32 v14, 3, v16
	s_mov_b32 s15, exec_lo
	v_cmpx_gt_u32_e32 8, v16
; %bb.1347:                             ;   in Loop: Header=BB279_927 Depth=1
	s_delay_alu instid0(VALU_DEP_3) | instskip(NEXT) | instid1(VALU_DEP_1)
	v_clz_i32_u32_e32 v14, v6
	v_min_u32_e32 v14, 32, v14
	s_delay_alu instid0(VALU_DEP_1) | instskip(SKIP_1) | instid1(VALU_DEP_2)
	v_subrev_nc_u32_e32 v15, 28, v14
	v_sub_nc_u32_e32 v14, 29, v14
	v_lshlrev_b64 v[15:16], v15, v[6:7]
	s_delay_alu instid0(VALU_DEP_1)
	v_and_b32_e32 v6, 7, v15
; %bb.1348:                             ;   in Loop: Header=BB279_927 Depth=1
	s_or_b32 exec_lo, exec_lo, s15
	v_lshlrev_b32_e32 v15, 16, v180
	s_delay_alu instid0(VALU_DEP_2) | instskip(SKIP_1) | instid1(VALU_DEP_3)
	v_lshlrev_b32_e32 v6, 20, v6
	v_lshl_add_u32 v14, v14, 23, 0x3c000000
	v_and_b32_e32 v15, 0x80000000, v15
	s_delay_alu instid0(VALU_DEP_1)
	v_or3_b32 v15, v6, v15, v14
	v_mov_b32_e32 v14, v7
.LBB279_1349:                           ;   in Loop: Header=BB279_927 Depth=1
	s_or_b32 exec_lo, exec_lo, s10
.LBB279_1350:                           ;   in Loop: Header=BB279_927 Depth=1
	s_delay_alu instid0(SALU_CYCLE_1)
	s_or_b32 exec_lo, exec_lo, s13
.LBB279_1351:                           ;   in Loop: Header=BB279_927 Depth=1
	s_delay_alu instid0(SALU_CYCLE_1) | instskip(SKIP_4) | instid1(VALU_DEP_2)
	s_or_b32 exec_lo, exec_lo, s12
	v_mov_b32_e32 v18, 0
	v_lshrrev_b32_e32 v181, 16, v180
	v_mov_b32_e32 v19, 0
	s_mov_b32 s10, exec_lo
	v_and_b32_e32 v6, 0xff, v181
	s_delay_alu instid0(VALU_DEP_2) | instskip(NEXT) | instid1(VALU_DEP_2)
	v_dual_mov_b32 v16, v18 :: v_dual_mov_b32 v17, v19
	v_cmpx_ne_u16_e32 0, v6
	s_cbranch_execz .LBB279_1359
; %bb.1352:                             ;   in Loop: Header=BB279_927 Depth=1
	v_bfrev_b32_e32 v16, 1
	v_mov_b32_e32 v17, 0
	s_mov_b32 s12, exec_lo
	v_cmpx_ne_u16_e32 0x80, v6
	s_cbranch_execz .LBB279_1358
; %bb.1353:                             ;   in Loop: Header=BB279_927 Depth=1
	v_mov_b32_e32 v16, 0x7f800001
	v_bfe_u32 v182, v180, 16, 7
	v_mov_b32_e32 v17, 0
	s_mov_b32 s13, exec_lo
	s_delay_alu instid0(VALU_DEP_2)
	v_cmpx_ne_u32_e32 0x7f, v182
	s_cbranch_execz .LBB279_1357
; %bb.1354:                             ;   in Loop: Header=BB279_927 Depth=1
	v_and_b32_e32 v6, 7, v181
	v_lshrrev_b32_e32 v16, 3, v182
	s_mov_b32 s15, exec_lo
	v_cmpx_gt_u32_e32 8, v182
; %bb.1355:                             ;   in Loop: Header=BB279_927 Depth=1
	s_delay_alu instid0(VALU_DEP_3) | instskip(NEXT) | instid1(VALU_DEP_1)
	v_clz_i32_u32_e32 v16, v6
	v_min_u32_e32 v16, 32, v16
	s_delay_alu instid0(VALU_DEP_1) | instskip(SKIP_1) | instid1(VALU_DEP_2)
	v_subrev_nc_u32_e32 v17, 28, v16
	v_sub_nc_u32_e32 v16, 29, v16
	v_lshlrev_b64 v[182:183], v17, v[6:7]
	s_delay_alu instid0(VALU_DEP_1)
	v_and_b32_e32 v6, 7, v182
; %bb.1356:                             ;   in Loop: Header=BB279_927 Depth=1
	s_or_b32 exec_lo, exec_lo, s15
	v_lshlrev_b32_e32 v17, 24, v181
	s_delay_alu instid0(VALU_DEP_2) | instskip(SKIP_1) | instid1(VALU_DEP_3)
	v_lshlrev_b32_e32 v6, 20, v6
	v_lshl_add_u32 v16, v16, 23, 0x3c000000
	v_and_b32_e32 v17, 0x80000000, v17
	s_delay_alu instid0(VALU_DEP_1) | instskip(NEXT) | instid1(VALU_DEP_1)
	v_or3_b32 v6, v6, v17, v16
	v_dual_mov_b32 v17, v7 :: v_dual_mov_b32 v16, v6
.LBB279_1357:                           ;   in Loop: Header=BB279_927 Depth=1
	s_or_b32 exec_lo, exec_lo, s13
.LBB279_1358:                           ;   in Loop: Header=BB279_927 Depth=1
	s_delay_alu instid0(SALU_CYCLE_1)
	s_or_b32 exec_lo, exec_lo, s12
.LBB279_1359:                           ;   in Loop: Header=BB279_927 Depth=1
	s_delay_alu instid0(SALU_CYCLE_1) | instskip(NEXT) | instid1(SALU_CYCLE_1)
	s_or_b32 exec_lo, exec_lo, s10
	s_mov_b32 s12, exec_lo
	v_cmpx_lt_u32_e32 0xffffff, v180
	s_cbranch_execz .LBB279_1367
; %bb.1360:                             ;   in Loop: Header=BB279_927 Depth=1
	v_lshrrev_b32_e32 v181, 24, v180
	v_dual_mov_b32 v19, s9 :: v_dual_mov_b32 v18, s8
	s_mov_b32 s13, exec_lo
	s_delay_alu instid0(VALU_DEP_2)
	v_cmpx_ne_u32_e32 0x80, v181
	s_cbranch_execz .LBB279_1366
; %bb.1361:                             ;   in Loop: Header=BB279_927 Depth=1
	s_mov_b32 s10, s8
	v_bfe_u32 v180, v180, 24, 7
	v_dual_mov_b32 v19, s11 :: v_dual_mov_b32 v18, s10
	s_mov_b32 s10, exec_lo
	s_delay_alu instid0(VALU_DEP_2)
	v_cmpx_ne_u32_e32 0x7f, v180
	s_cbranch_execz .LBB279_1365
; %bb.1362:                             ;   in Loop: Header=BB279_927 Depth=1
	v_and_b32_e32 v6, 7, v181
	v_lshrrev_b32_e32 v18, 3, v180
	s_mov_b32 s15, exec_lo
	v_cmpx_gt_u32_e32 8, v180
; %bb.1363:                             ;   in Loop: Header=BB279_927 Depth=1
	s_delay_alu instid0(VALU_DEP_3) | instskip(NEXT) | instid1(VALU_DEP_1)
	v_clz_i32_u32_e32 v18, v6
	v_min_u32_e32 v18, 32, v18
	s_delay_alu instid0(VALU_DEP_1) | instskip(SKIP_1) | instid1(VALU_DEP_2)
	v_subrev_nc_u32_e32 v19, 28, v18
	v_sub_nc_u32_e32 v18, 29, v18
	v_lshlrev_b64 v[182:183], v19, v[6:7]
	s_delay_alu instid0(VALU_DEP_1)
	v_and_b32_e32 v6, 7, v182
; %bb.1364:                             ;   in Loop: Header=BB279_927 Depth=1
	s_or_b32 exec_lo, exec_lo, s15
	v_lshlrev_b32_e32 v19, 24, v181
	s_delay_alu instid0(VALU_DEP_2) | instskip(SKIP_1) | instid1(VALU_DEP_3)
	v_lshlrev_b32_e32 v6, 20, v6
	v_lshl_add_u32 v18, v18, 23, 0x3c000000
	v_and_b32_e32 v19, 0x80000000, v19
	s_delay_alu instid0(VALU_DEP_1)
	v_or3_b32 v19, v6, v19, v18
	v_mov_b32_e32 v18, v7
.LBB279_1365:                           ;   in Loop: Header=BB279_927 Depth=1
	s_or_b32 exec_lo, exec_lo, s10
.LBB279_1366:                           ;   in Loop: Header=BB279_927 Depth=1
	s_delay_alu instid0(SALU_CYCLE_1)
	s_or_b32 exec_lo, exec_lo, s13
.LBB279_1367:                           ;   in Loop: Header=BB279_927 Depth=1
	s_delay_alu instid0(SALU_CYCLE_1) | instskip(SKIP_4) | instid1(VALU_DEP_4)
	s_or_b32 exec_lo, exec_lo, s12
	v_or_b32_e32 v5, v15, v5
	v_or_b32_e32 v4, v14, v4
	;; [unrolled: 1-line block ×4, first 2 shown]
	v_mul_f32_e32 v183, v80, v5
	s_delay_alu instid0(VALU_DEP_4) | instskip(NEXT) | instid1(VALU_DEP_4)
	v_mul_f32_e32 v182, v68, v4
	v_mul_f32_e32 v180, v80, v6
	s_delay_alu instid0(VALU_DEP_4)
	v_mul_f32_e32 v181, v68, v14
	s_and_saveexec_b32 s10, vcc_lo
; %bb.1368:                             ;   in Loop: Header=BB279_927 Depth=1
	v_cmp_lt_i32_e64 s0, v85, v122
	s_delay_alu instid0(VALU_DEP_1) | instskip(SKIP_1) | instid1(VALU_DEP_1)
	v_cndmask_b32_e64 v182, 0, v182, s0
	v_cmp_lt_i32_e64 s0, v87, v122
	v_cndmask_b32_e64 v183, 0, v183, s0
	v_cmp_lt_i32_e64 s0, v86, v122
	s_delay_alu instid0(VALU_DEP_1) | instskip(SKIP_1) | instid1(VALU_DEP_1)
	v_cndmask_b32_e64 v181, 0, v181, s0
	v_cmp_lt_i32_e64 s0, v70, v122
	v_cndmask_b32_e64 v180, 0, v180, s0
; %bb.1369:                             ;   in Loop: Header=BB279_927 Depth=1
	s_or_b32 exec_lo, exec_lo, s10
	flat_load_b32 v40, v[12:13] offset:1664
	v_mov_b32_e32 v14, 0
	v_mov_b32_e32 v15, 0
	s_mov_b32 s10, exec_lo
	s_waitcnt vmcnt(0) lgkmcnt(0)
	v_and_b32_e32 v6, 0xff, v40
	s_delay_alu instid0(VALU_DEP_2) | instskip(NEXT) | instid1(VALU_DEP_2)
	v_dual_mov_b32 v4, v14 :: v_dual_mov_b32 v5, v15
	v_cmpx_ne_u16_e32 0, v6
	s_cbranch_execz .LBB279_1377
; %bb.1370:                             ;   in Loop: Header=BB279_927 Depth=1
	v_bfrev_b32_e32 v4, 1
	v_mov_b32_e32 v5, 0
	s_mov_b32 s12, exec_lo
	v_cmpx_ne_u16_e32 0x80, v6
	s_cbranch_execz .LBB279_1376
; %bb.1371:                             ;   in Loop: Header=BB279_927 Depth=1
	v_mov_b32_e32 v4, 0x7f800001
	v_dual_mov_b32 v5, 0 :: v_dual_and_b32 v16, 0x7f, v40
	s_mov_b32 s13, exec_lo
	s_delay_alu instid0(VALU_DEP_1)
	v_cmpx_ne_u32_e32 0x7f, v16
	s_cbranch_execz .LBB279_1375
; %bb.1372:                             ;   in Loop: Header=BB279_927 Depth=1
	v_and_b32_e32 v6, 7, v40
	v_lshrrev_b32_e32 v4, 3, v16
	s_mov_b32 s15, exec_lo
	v_cmpx_gt_u32_e32 8, v16
; %bb.1373:                             ;   in Loop: Header=BB279_927 Depth=1
	s_delay_alu instid0(VALU_DEP_3) | instskip(NEXT) | instid1(VALU_DEP_1)
	v_clz_i32_u32_e32 v4, v6
	v_min_u32_e32 v4, 32, v4
	s_delay_alu instid0(VALU_DEP_1) | instskip(SKIP_1) | instid1(VALU_DEP_2)
	v_subrev_nc_u32_e32 v5, 28, v4
	v_sub_nc_u32_e32 v4, 29, v4
	v_lshlrev_b64 v[5:6], v5, v[6:7]
	s_delay_alu instid0(VALU_DEP_1)
	v_and_b32_e32 v6, 7, v5
; %bb.1374:                             ;   in Loop: Header=BB279_927 Depth=1
	s_or_b32 exec_lo, exec_lo, s15
	v_lshlrev_b32_e32 v5, 24, v40
	s_delay_alu instid0(VALU_DEP_2) | instskip(SKIP_1) | instid1(VALU_DEP_3)
	v_lshlrev_b32_e32 v6, 20, v6
	v_lshl_add_u32 v4, v4, 23, 0x3c000000
	v_and_b32_e32 v5, 0x80000000, v5
	s_delay_alu instid0(VALU_DEP_1) | instskip(NEXT) | instid1(VALU_DEP_1)
	v_or3_b32 v6, v6, v5, v4
	v_dual_mov_b32 v4, v6 :: v_dual_mov_b32 v5, v7
.LBB279_1375:                           ;   in Loop: Header=BB279_927 Depth=1
	s_or_b32 exec_lo, exec_lo, s13
.LBB279_1376:                           ;   in Loop: Header=BB279_927 Depth=1
	s_delay_alu instid0(SALU_CYCLE_1)
	s_or_b32 exec_lo, exec_lo, s12
.LBB279_1377:                           ;   in Loop: Header=BB279_927 Depth=1
	s_delay_alu instid0(SALU_CYCLE_1) | instskip(SKIP_2) | instid1(VALU_DEP_1)
	s_or_b32 exec_lo, exec_lo, s10
	v_lshrrev_b16 v6, 8, v40
	s_mov_b32 s12, exec_lo
	v_cmpx_ne_u16_e32 0, v6
	s_cbranch_execz .LBB279_1385
; %bb.1378:                             ;   in Loop: Header=BB279_927 Depth=1
	v_dual_mov_b32 v15, s9 :: v_dual_mov_b32 v14, s8
	s_mov_b32 s13, exec_lo
	v_cmpx_ne_u16_e32 0x80, v6
	s_cbranch_execz .LBB279_1384
; %bb.1379:                             ;   in Loop: Header=BB279_927 Depth=1
	s_mov_b32 s10, s8
	v_dual_mov_b32 v15, s11 :: v_dual_and_b32 v6, 0xffff, v6
	v_mov_b32_e32 v14, s10
	s_mov_b32 s10, exec_lo
	s_delay_alu instid0(VALU_DEP_2) | instskip(NEXT) | instid1(VALU_DEP_1)
	v_and_b32_e32 v16, 0x7f, v6
	v_cmpx_ne_u32_e32 0x7f, v16
	s_cbranch_execz .LBB279_1383
; %bb.1380:                             ;   in Loop: Header=BB279_927 Depth=1
	v_and_b32_e32 v6, 7, v6
	v_lshrrev_b32_e32 v14, 3, v16
	s_mov_b32 s15, exec_lo
	v_cmpx_gt_u32_e32 8, v16
; %bb.1381:                             ;   in Loop: Header=BB279_927 Depth=1
	s_delay_alu instid0(VALU_DEP_3) | instskip(NEXT) | instid1(VALU_DEP_1)
	v_clz_i32_u32_e32 v14, v6
	v_min_u32_e32 v14, 32, v14
	s_delay_alu instid0(VALU_DEP_1) | instskip(SKIP_1) | instid1(VALU_DEP_2)
	v_subrev_nc_u32_e32 v15, 28, v14
	v_sub_nc_u32_e32 v14, 29, v14
	v_lshlrev_b64 v[15:16], v15, v[6:7]
	s_delay_alu instid0(VALU_DEP_1)
	v_and_b32_e32 v6, 7, v15
; %bb.1382:                             ;   in Loop: Header=BB279_927 Depth=1
	s_or_b32 exec_lo, exec_lo, s15
	v_lshlrev_b32_e32 v15, 16, v40
	s_delay_alu instid0(VALU_DEP_2) | instskip(SKIP_1) | instid1(VALU_DEP_3)
	v_lshlrev_b32_e32 v6, 20, v6
	v_lshl_add_u32 v14, v14, 23, 0x3c000000
	v_and_b32_e32 v15, 0x80000000, v15
	s_delay_alu instid0(VALU_DEP_1)
	v_or3_b32 v15, v6, v15, v14
	v_mov_b32_e32 v14, v7
.LBB279_1383:                           ;   in Loop: Header=BB279_927 Depth=1
	s_or_b32 exec_lo, exec_lo, s10
.LBB279_1384:                           ;   in Loop: Header=BB279_927 Depth=1
	s_delay_alu instid0(SALU_CYCLE_1)
	s_or_b32 exec_lo, exec_lo, s13
.LBB279_1385:                           ;   in Loop: Header=BB279_927 Depth=1
	s_delay_alu instid0(SALU_CYCLE_1) | instskip(SKIP_4) | instid1(VALU_DEP_2)
	s_or_b32 exec_lo, exec_lo, s12
	v_mov_b32_e32 v18, 0
	v_lshrrev_b32_e32 v41, 16, v40
	v_mov_b32_e32 v19, 0
	s_mov_b32 s10, exec_lo
	v_and_b32_e32 v6, 0xff, v41
	s_delay_alu instid0(VALU_DEP_2) | instskip(NEXT) | instid1(VALU_DEP_2)
	v_dual_mov_b32 v16, v18 :: v_dual_mov_b32 v17, v19
	v_cmpx_ne_u16_e32 0, v6
	s_cbranch_execz .LBB279_1393
; %bb.1386:                             ;   in Loop: Header=BB279_927 Depth=1
	v_bfrev_b32_e32 v16, 1
	v_mov_b32_e32 v17, 0
	s_mov_b32 s12, exec_lo
	v_cmpx_ne_u16_e32 0x80, v6
	s_cbranch_execz .LBB279_1392
; %bb.1387:                             ;   in Loop: Header=BB279_927 Depth=1
	v_mov_b32_e32 v16, 0x7f800001
	v_bfe_u32 v42, v40, 16, 7
	v_mov_b32_e32 v17, 0
	s_mov_b32 s13, exec_lo
	s_delay_alu instid0(VALU_DEP_2)
	v_cmpx_ne_u32_e32 0x7f, v42
	s_cbranch_execz .LBB279_1391
; %bb.1388:                             ;   in Loop: Header=BB279_927 Depth=1
	v_and_b32_e32 v6, 7, v41
	v_lshrrev_b32_e32 v16, 3, v42
	s_mov_b32 s15, exec_lo
	v_cmpx_gt_u32_e32 8, v42
; %bb.1389:                             ;   in Loop: Header=BB279_927 Depth=1
	s_delay_alu instid0(VALU_DEP_3) | instskip(NEXT) | instid1(VALU_DEP_1)
	v_clz_i32_u32_e32 v16, v6
	v_min_u32_e32 v16, 32, v16
	s_delay_alu instid0(VALU_DEP_1) | instskip(SKIP_1) | instid1(VALU_DEP_2)
	v_subrev_nc_u32_e32 v17, 28, v16
	v_sub_nc_u32_e32 v16, 29, v16
	v_lshlrev_b64 v[42:43], v17, v[6:7]
	s_delay_alu instid0(VALU_DEP_1)
	v_and_b32_e32 v6, 7, v42
; %bb.1390:                             ;   in Loop: Header=BB279_927 Depth=1
	s_or_b32 exec_lo, exec_lo, s15
	v_lshlrev_b32_e32 v17, 24, v41
	s_delay_alu instid0(VALU_DEP_2) | instskip(SKIP_1) | instid1(VALU_DEP_3)
	v_lshlrev_b32_e32 v6, 20, v6
	v_lshl_add_u32 v16, v16, 23, 0x3c000000
	v_and_b32_e32 v17, 0x80000000, v17
	s_delay_alu instid0(VALU_DEP_1) | instskip(NEXT) | instid1(VALU_DEP_1)
	v_or3_b32 v6, v6, v17, v16
	v_dual_mov_b32 v17, v7 :: v_dual_mov_b32 v16, v6
.LBB279_1391:                           ;   in Loop: Header=BB279_927 Depth=1
	s_or_b32 exec_lo, exec_lo, s13
.LBB279_1392:                           ;   in Loop: Header=BB279_927 Depth=1
	s_delay_alu instid0(SALU_CYCLE_1)
	s_or_b32 exec_lo, exec_lo, s12
.LBB279_1393:                           ;   in Loop: Header=BB279_927 Depth=1
	s_delay_alu instid0(SALU_CYCLE_1) | instskip(NEXT) | instid1(SALU_CYCLE_1)
	s_or_b32 exec_lo, exec_lo, s10
	s_mov_b32 s12, exec_lo
	v_cmpx_lt_u32_e32 0xffffff, v40
	s_cbranch_execz .LBB279_1401
; %bb.1394:                             ;   in Loop: Header=BB279_927 Depth=1
	v_lshrrev_b32_e32 v41, 24, v40
	v_dual_mov_b32 v19, s9 :: v_dual_mov_b32 v18, s8
	s_mov_b32 s13, exec_lo
	s_delay_alu instid0(VALU_DEP_2)
	v_cmpx_ne_u32_e32 0x80, v41
	s_cbranch_execz .LBB279_1400
; %bb.1395:                             ;   in Loop: Header=BB279_927 Depth=1
	s_mov_b32 s10, s8
	v_bfe_u32 v40, v40, 24, 7
	v_dual_mov_b32 v19, s11 :: v_dual_mov_b32 v18, s10
	s_mov_b32 s10, exec_lo
	s_delay_alu instid0(VALU_DEP_2)
	v_cmpx_ne_u32_e32 0x7f, v40
	s_cbranch_execz .LBB279_1399
; %bb.1396:                             ;   in Loop: Header=BB279_927 Depth=1
	v_and_b32_e32 v6, 7, v41
	v_lshrrev_b32_e32 v18, 3, v40
	s_mov_b32 s15, exec_lo
	v_cmpx_gt_u32_e32 8, v40
; %bb.1397:                             ;   in Loop: Header=BB279_927 Depth=1
	s_delay_alu instid0(VALU_DEP_3) | instskip(NEXT) | instid1(VALU_DEP_1)
	v_clz_i32_u32_e32 v18, v6
	v_min_u32_e32 v18, 32, v18
	s_delay_alu instid0(VALU_DEP_1) | instskip(SKIP_1) | instid1(VALU_DEP_2)
	v_subrev_nc_u32_e32 v19, 28, v18
	v_sub_nc_u32_e32 v18, 29, v18
	v_lshlrev_b64 v[42:43], v19, v[6:7]
	s_delay_alu instid0(VALU_DEP_1)
	v_and_b32_e32 v6, 7, v42
; %bb.1398:                             ;   in Loop: Header=BB279_927 Depth=1
	s_or_b32 exec_lo, exec_lo, s15
	v_lshlrev_b32_e32 v19, 24, v41
	s_delay_alu instid0(VALU_DEP_2) | instskip(SKIP_1) | instid1(VALU_DEP_3)
	v_lshlrev_b32_e32 v6, 20, v6
	v_lshl_add_u32 v18, v18, 23, 0x3c000000
	v_and_b32_e32 v19, 0x80000000, v19
	s_delay_alu instid0(VALU_DEP_1)
	v_or3_b32 v19, v6, v19, v18
	v_mov_b32_e32 v18, v7
.LBB279_1399:                           ;   in Loop: Header=BB279_927 Depth=1
	s_or_b32 exec_lo, exec_lo, s10
.LBB279_1400:                           ;   in Loop: Header=BB279_927 Depth=1
	s_delay_alu instid0(SALU_CYCLE_1)
	s_or_b32 exec_lo, exec_lo, s13
.LBB279_1401:                           ;   in Loop: Header=BB279_927 Depth=1
	s_delay_alu instid0(SALU_CYCLE_1) | instskip(SKIP_4) | instid1(VALU_DEP_4)
	s_or_b32 exec_lo, exec_lo, s12
	v_or_b32_e32 v5, v15, v5
	v_or_b32_e32 v4, v14, v4
	;; [unrolled: 1-line block ×4, first 2 shown]
	v_mul_f32_e32 v43, v80, v5
	s_delay_alu instid0(VALU_DEP_4) | instskip(NEXT) | instid1(VALU_DEP_4)
	v_mul_f32_e32 v42, v68, v4
	v_mul_f32_e32 v40, v80, v6
	s_delay_alu instid0(VALU_DEP_4)
	v_mul_f32_e32 v41, v68, v14
	s_and_saveexec_b32 s10, vcc_lo
; %bb.1402:                             ;   in Loop: Header=BB279_927 Depth=1
	v_cmp_lt_i32_e64 s0, v85, v122
	s_delay_alu instid0(VALU_DEP_1) | instskip(SKIP_1) | instid1(VALU_DEP_1)
	v_cndmask_b32_e64 v42, 0, v42, s0
	v_cmp_lt_i32_e64 s0, v87, v122
	v_cndmask_b32_e64 v43, 0, v43, s0
	v_cmp_lt_i32_e64 s0, v86, v122
	s_delay_alu instid0(VALU_DEP_1) | instskip(SKIP_1) | instid1(VALU_DEP_1)
	v_cndmask_b32_e64 v41, 0, v41, s0
	v_cmp_lt_i32_e64 s0, v70, v122
	v_cndmask_b32_e64 v40, 0, v40, s0
; %bb.1403:                             ;   in Loop: Header=BB279_927 Depth=1
	s_or_b32 exec_lo, exec_lo, s10
	flat_load_b32 v44, v[12:13] offset:1792
	v_mov_b32_e32 v14, 0
	v_mov_b32_e32 v15, 0
	s_mov_b32 s10, exec_lo
	s_waitcnt vmcnt(0) lgkmcnt(0)
	v_and_b32_e32 v6, 0xff, v44
	s_delay_alu instid0(VALU_DEP_2) | instskip(NEXT) | instid1(VALU_DEP_2)
	v_dual_mov_b32 v4, v14 :: v_dual_mov_b32 v5, v15
	v_cmpx_ne_u16_e32 0, v6
	s_cbranch_execz .LBB279_1411
; %bb.1404:                             ;   in Loop: Header=BB279_927 Depth=1
	v_bfrev_b32_e32 v4, 1
	v_mov_b32_e32 v5, 0
	s_mov_b32 s12, exec_lo
	v_cmpx_ne_u16_e32 0x80, v6
	s_cbranch_execz .LBB279_1410
; %bb.1405:                             ;   in Loop: Header=BB279_927 Depth=1
	v_mov_b32_e32 v4, 0x7f800001
	v_dual_mov_b32 v5, 0 :: v_dual_and_b32 v16, 0x7f, v44
	s_mov_b32 s13, exec_lo
	s_delay_alu instid0(VALU_DEP_1)
	v_cmpx_ne_u32_e32 0x7f, v16
	s_cbranch_execz .LBB279_1409
; %bb.1406:                             ;   in Loop: Header=BB279_927 Depth=1
	v_and_b32_e32 v6, 7, v44
	v_lshrrev_b32_e32 v4, 3, v16
	s_mov_b32 s15, exec_lo
	v_cmpx_gt_u32_e32 8, v16
; %bb.1407:                             ;   in Loop: Header=BB279_927 Depth=1
	s_delay_alu instid0(VALU_DEP_3) | instskip(NEXT) | instid1(VALU_DEP_1)
	v_clz_i32_u32_e32 v4, v6
	v_min_u32_e32 v4, 32, v4
	s_delay_alu instid0(VALU_DEP_1) | instskip(SKIP_1) | instid1(VALU_DEP_2)
	v_subrev_nc_u32_e32 v5, 28, v4
	v_sub_nc_u32_e32 v4, 29, v4
	v_lshlrev_b64 v[5:6], v5, v[6:7]
	s_delay_alu instid0(VALU_DEP_1)
	v_and_b32_e32 v6, 7, v5
; %bb.1408:                             ;   in Loop: Header=BB279_927 Depth=1
	s_or_b32 exec_lo, exec_lo, s15
	v_lshlrev_b32_e32 v5, 24, v44
	s_delay_alu instid0(VALU_DEP_2) | instskip(SKIP_1) | instid1(VALU_DEP_3)
	v_lshlrev_b32_e32 v6, 20, v6
	v_lshl_add_u32 v4, v4, 23, 0x3c000000
	v_and_b32_e32 v5, 0x80000000, v5
	s_delay_alu instid0(VALU_DEP_1) | instskip(NEXT) | instid1(VALU_DEP_1)
	v_or3_b32 v6, v6, v5, v4
	v_dual_mov_b32 v4, v6 :: v_dual_mov_b32 v5, v7
.LBB279_1409:                           ;   in Loop: Header=BB279_927 Depth=1
	s_or_b32 exec_lo, exec_lo, s13
.LBB279_1410:                           ;   in Loop: Header=BB279_927 Depth=1
	s_delay_alu instid0(SALU_CYCLE_1)
	s_or_b32 exec_lo, exec_lo, s12
.LBB279_1411:                           ;   in Loop: Header=BB279_927 Depth=1
	s_delay_alu instid0(SALU_CYCLE_1) | instskip(SKIP_2) | instid1(VALU_DEP_1)
	s_or_b32 exec_lo, exec_lo, s10
	v_lshrrev_b16 v6, 8, v44
	s_mov_b32 s12, exec_lo
	v_cmpx_ne_u16_e32 0, v6
	s_cbranch_execz .LBB279_1419
; %bb.1412:                             ;   in Loop: Header=BB279_927 Depth=1
	v_dual_mov_b32 v15, s9 :: v_dual_mov_b32 v14, s8
	s_mov_b32 s13, exec_lo
	v_cmpx_ne_u16_e32 0x80, v6
	s_cbranch_execz .LBB279_1418
; %bb.1413:                             ;   in Loop: Header=BB279_927 Depth=1
	s_mov_b32 s10, s8
	v_dual_mov_b32 v15, s11 :: v_dual_and_b32 v6, 0xffff, v6
	v_mov_b32_e32 v14, s10
	s_mov_b32 s10, exec_lo
	s_delay_alu instid0(VALU_DEP_2) | instskip(NEXT) | instid1(VALU_DEP_1)
	v_and_b32_e32 v16, 0x7f, v6
	v_cmpx_ne_u32_e32 0x7f, v16
	s_cbranch_execz .LBB279_1417
; %bb.1414:                             ;   in Loop: Header=BB279_927 Depth=1
	v_and_b32_e32 v6, 7, v6
	v_lshrrev_b32_e32 v14, 3, v16
	s_mov_b32 s15, exec_lo
	v_cmpx_gt_u32_e32 8, v16
; %bb.1415:                             ;   in Loop: Header=BB279_927 Depth=1
	s_delay_alu instid0(VALU_DEP_3) | instskip(NEXT) | instid1(VALU_DEP_1)
	v_clz_i32_u32_e32 v14, v6
	v_min_u32_e32 v14, 32, v14
	s_delay_alu instid0(VALU_DEP_1) | instskip(SKIP_1) | instid1(VALU_DEP_2)
	v_subrev_nc_u32_e32 v15, 28, v14
	v_sub_nc_u32_e32 v14, 29, v14
	v_lshlrev_b64 v[15:16], v15, v[6:7]
	s_delay_alu instid0(VALU_DEP_1)
	v_and_b32_e32 v6, 7, v15
; %bb.1416:                             ;   in Loop: Header=BB279_927 Depth=1
	s_or_b32 exec_lo, exec_lo, s15
	v_lshlrev_b32_e32 v15, 16, v44
	s_delay_alu instid0(VALU_DEP_2) | instskip(SKIP_1) | instid1(VALU_DEP_3)
	v_lshlrev_b32_e32 v6, 20, v6
	v_lshl_add_u32 v14, v14, 23, 0x3c000000
	v_and_b32_e32 v15, 0x80000000, v15
	s_delay_alu instid0(VALU_DEP_1)
	v_or3_b32 v15, v6, v15, v14
	v_mov_b32_e32 v14, v7
.LBB279_1417:                           ;   in Loop: Header=BB279_927 Depth=1
	s_or_b32 exec_lo, exec_lo, s10
.LBB279_1418:                           ;   in Loop: Header=BB279_927 Depth=1
	s_delay_alu instid0(SALU_CYCLE_1)
	s_or_b32 exec_lo, exec_lo, s13
.LBB279_1419:                           ;   in Loop: Header=BB279_927 Depth=1
	s_delay_alu instid0(SALU_CYCLE_1) | instskip(SKIP_4) | instid1(VALU_DEP_2)
	s_or_b32 exec_lo, exec_lo, s12
	v_mov_b32_e32 v18, 0
	v_lshrrev_b32_e32 v45, 16, v44
	v_mov_b32_e32 v19, 0
	s_mov_b32 s10, exec_lo
	v_and_b32_e32 v6, 0xff, v45
	s_delay_alu instid0(VALU_DEP_2) | instskip(NEXT) | instid1(VALU_DEP_2)
	v_dual_mov_b32 v16, v18 :: v_dual_mov_b32 v17, v19
	v_cmpx_ne_u16_e32 0, v6
	s_cbranch_execz .LBB279_1427
; %bb.1420:                             ;   in Loop: Header=BB279_927 Depth=1
	v_bfrev_b32_e32 v16, 1
	v_mov_b32_e32 v17, 0
	s_mov_b32 s12, exec_lo
	v_cmpx_ne_u16_e32 0x80, v6
	s_cbranch_execz .LBB279_1426
; %bb.1421:                             ;   in Loop: Header=BB279_927 Depth=1
	v_mov_b32_e32 v16, 0x7f800001
	v_bfe_u32 v46, v44, 16, 7
	v_mov_b32_e32 v17, 0
	s_mov_b32 s13, exec_lo
	s_delay_alu instid0(VALU_DEP_2)
	v_cmpx_ne_u32_e32 0x7f, v46
	s_cbranch_execz .LBB279_1425
; %bb.1422:                             ;   in Loop: Header=BB279_927 Depth=1
	v_and_b32_e32 v6, 7, v45
	v_lshrrev_b32_e32 v16, 3, v46
	s_mov_b32 s15, exec_lo
	v_cmpx_gt_u32_e32 8, v46
; %bb.1423:                             ;   in Loop: Header=BB279_927 Depth=1
	s_delay_alu instid0(VALU_DEP_3) | instskip(NEXT) | instid1(VALU_DEP_1)
	v_clz_i32_u32_e32 v16, v6
	v_min_u32_e32 v16, 32, v16
	s_delay_alu instid0(VALU_DEP_1) | instskip(SKIP_1) | instid1(VALU_DEP_2)
	v_subrev_nc_u32_e32 v17, 28, v16
	v_sub_nc_u32_e32 v16, 29, v16
	v_lshlrev_b64 v[46:47], v17, v[6:7]
	s_delay_alu instid0(VALU_DEP_1)
	v_and_b32_e32 v6, 7, v46
; %bb.1424:                             ;   in Loop: Header=BB279_927 Depth=1
	s_or_b32 exec_lo, exec_lo, s15
	v_lshlrev_b32_e32 v17, 24, v45
	s_delay_alu instid0(VALU_DEP_2) | instskip(SKIP_1) | instid1(VALU_DEP_3)
	v_lshlrev_b32_e32 v6, 20, v6
	v_lshl_add_u32 v16, v16, 23, 0x3c000000
	v_and_b32_e32 v17, 0x80000000, v17
	s_delay_alu instid0(VALU_DEP_1) | instskip(NEXT) | instid1(VALU_DEP_1)
	v_or3_b32 v6, v6, v17, v16
	v_dual_mov_b32 v17, v7 :: v_dual_mov_b32 v16, v6
.LBB279_1425:                           ;   in Loop: Header=BB279_927 Depth=1
	s_or_b32 exec_lo, exec_lo, s13
.LBB279_1426:                           ;   in Loop: Header=BB279_927 Depth=1
	s_delay_alu instid0(SALU_CYCLE_1)
	s_or_b32 exec_lo, exec_lo, s12
.LBB279_1427:                           ;   in Loop: Header=BB279_927 Depth=1
	s_delay_alu instid0(SALU_CYCLE_1) | instskip(NEXT) | instid1(SALU_CYCLE_1)
	s_or_b32 exec_lo, exec_lo, s10
	s_mov_b32 s12, exec_lo
	v_cmpx_lt_u32_e32 0xffffff, v44
	s_cbranch_execz .LBB279_1435
; %bb.1428:                             ;   in Loop: Header=BB279_927 Depth=1
	v_lshrrev_b32_e32 v45, 24, v44
	v_dual_mov_b32 v19, s9 :: v_dual_mov_b32 v18, s8
	s_mov_b32 s13, exec_lo
	s_delay_alu instid0(VALU_DEP_2)
	v_cmpx_ne_u32_e32 0x80, v45
	s_cbranch_execz .LBB279_1434
; %bb.1429:                             ;   in Loop: Header=BB279_927 Depth=1
	s_mov_b32 s10, s8
	v_bfe_u32 v44, v44, 24, 7
	v_dual_mov_b32 v19, s11 :: v_dual_mov_b32 v18, s10
	s_mov_b32 s10, exec_lo
	s_delay_alu instid0(VALU_DEP_2)
	v_cmpx_ne_u32_e32 0x7f, v44
	s_cbranch_execz .LBB279_1433
; %bb.1430:                             ;   in Loop: Header=BB279_927 Depth=1
	v_and_b32_e32 v6, 7, v45
	v_lshrrev_b32_e32 v18, 3, v44
	s_mov_b32 s15, exec_lo
	v_cmpx_gt_u32_e32 8, v44
; %bb.1431:                             ;   in Loop: Header=BB279_927 Depth=1
	s_delay_alu instid0(VALU_DEP_3) | instskip(NEXT) | instid1(VALU_DEP_1)
	v_clz_i32_u32_e32 v18, v6
	v_min_u32_e32 v18, 32, v18
	s_delay_alu instid0(VALU_DEP_1) | instskip(SKIP_1) | instid1(VALU_DEP_2)
	v_subrev_nc_u32_e32 v19, 28, v18
	v_sub_nc_u32_e32 v18, 29, v18
	v_lshlrev_b64 v[46:47], v19, v[6:7]
	s_delay_alu instid0(VALU_DEP_1)
	v_and_b32_e32 v6, 7, v46
; %bb.1432:                             ;   in Loop: Header=BB279_927 Depth=1
	s_or_b32 exec_lo, exec_lo, s15
	v_lshlrev_b32_e32 v19, 24, v45
	s_delay_alu instid0(VALU_DEP_2) | instskip(SKIP_1) | instid1(VALU_DEP_3)
	v_lshlrev_b32_e32 v6, 20, v6
	v_lshl_add_u32 v18, v18, 23, 0x3c000000
	v_and_b32_e32 v19, 0x80000000, v19
	s_delay_alu instid0(VALU_DEP_1)
	v_or3_b32 v19, v6, v19, v18
	v_mov_b32_e32 v18, v7
.LBB279_1433:                           ;   in Loop: Header=BB279_927 Depth=1
	s_or_b32 exec_lo, exec_lo, s10
.LBB279_1434:                           ;   in Loop: Header=BB279_927 Depth=1
	s_delay_alu instid0(SALU_CYCLE_1)
	s_or_b32 exec_lo, exec_lo, s13
.LBB279_1435:                           ;   in Loop: Header=BB279_927 Depth=1
	s_delay_alu instid0(SALU_CYCLE_1) | instskip(SKIP_4) | instid1(VALU_DEP_4)
	s_or_b32 exec_lo, exec_lo, s12
	v_or_b32_e32 v5, v15, v5
	v_or_b32_e32 v4, v14, v4
	v_or_b32_e32 v6, v19, v17
	v_or_b32_e32 v14, v18, v16
	v_mul_f32_e32 v47, v80, v5
	s_delay_alu instid0(VALU_DEP_4) | instskip(NEXT) | instid1(VALU_DEP_4)
	v_mul_f32_e32 v46, v68, v4
	v_mul_f32_e32 v44, v80, v6
	s_delay_alu instid0(VALU_DEP_4)
	v_mul_f32_e32 v45, v68, v14
	s_and_saveexec_b32 s10, vcc_lo
; %bb.1436:                             ;   in Loop: Header=BB279_927 Depth=1
	v_cmp_lt_i32_e64 s0, v85, v122
	s_delay_alu instid0(VALU_DEP_1) | instskip(SKIP_1) | instid1(VALU_DEP_1)
	v_cndmask_b32_e64 v46, 0, v46, s0
	v_cmp_lt_i32_e64 s0, v87, v122
	v_cndmask_b32_e64 v47, 0, v47, s0
	v_cmp_lt_i32_e64 s0, v86, v122
	s_delay_alu instid0(VALU_DEP_1) | instskip(SKIP_1) | instid1(VALU_DEP_1)
	v_cndmask_b32_e64 v45, 0, v45, s0
	v_cmp_lt_i32_e64 s0, v70, v122
	v_cndmask_b32_e64 v44, 0, v44, s0
; %bb.1437:                             ;   in Loop: Header=BB279_927 Depth=1
	s_or_b32 exec_lo, exec_lo, s10
	flat_load_b32 v56, v[12:13] offset:1920
	v_mov_b32_e32 v14, 0
	v_mov_b32_e32 v15, 0
	s_mov_b32 s10, exec_lo
	s_waitcnt vmcnt(0) lgkmcnt(0)
	v_and_b32_e32 v6, 0xff, v56
	s_delay_alu instid0(VALU_DEP_2) | instskip(NEXT) | instid1(VALU_DEP_2)
	v_dual_mov_b32 v4, v14 :: v_dual_mov_b32 v5, v15
	v_cmpx_ne_u16_e32 0, v6
	s_cbranch_execz .LBB279_1445
; %bb.1438:                             ;   in Loop: Header=BB279_927 Depth=1
	v_bfrev_b32_e32 v4, 1
	v_mov_b32_e32 v5, 0
	s_mov_b32 s12, exec_lo
	v_cmpx_ne_u16_e32 0x80, v6
	s_cbranch_execz .LBB279_1444
; %bb.1439:                             ;   in Loop: Header=BB279_927 Depth=1
	v_mov_b32_e32 v4, 0x7f800001
	v_dual_mov_b32 v5, 0 :: v_dual_and_b32 v16, 0x7f, v56
	s_mov_b32 s13, exec_lo
	s_delay_alu instid0(VALU_DEP_1)
	v_cmpx_ne_u32_e32 0x7f, v16
	s_cbranch_execz .LBB279_1443
; %bb.1440:                             ;   in Loop: Header=BB279_927 Depth=1
	v_and_b32_e32 v6, 7, v56
	v_lshrrev_b32_e32 v4, 3, v16
	s_mov_b32 s15, exec_lo
	v_cmpx_gt_u32_e32 8, v16
; %bb.1441:                             ;   in Loop: Header=BB279_927 Depth=1
	s_delay_alu instid0(VALU_DEP_3) | instskip(NEXT) | instid1(VALU_DEP_1)
	v_clz_i32_u32_e32 v4, v6
	v_min_u32_e32 v4, 32, v4
	s_delay_alu instid0(VALU_DEP_1) | instskip(SKIP_1) | instid1(VALU_DEP_2)
	v_subrev_nc_u32_e32 v5, 28, v4
	v_sub_nc_u32_e32 v4, 29, v4
	v_lshlrev_b64 v[5:6], v5, v[6:7]
	s_delay_alu instid0(VALU_DEP_1)
	v_and_b32_e32 v6, 7, v5
; %bb.1442:                             ;   in Loop: Header=BB279_927 Depth=1
	s_or_b32 exec_lo, exec_lo, s15
	v_lshlrev_b32_e32 v5, 24, v56
	s_delay_alu instid0(VALU_DEP_2) | instskip(SKIP_1) | instid1(VALU_DEP_3)
	v_lshlrev_b32_e32 v6, 20, v6
	v_lshl_add_u32 v4, v4, 23, 0x3c000000
	v_and_b32_e32 v5, 0x80000000, v5
	s_delay_alu instid0(VALU_DEP_1) | instskip(NEXT) | instid1(VALU_DEP_1)
	v_or3_b32 v6, v6, v5, v4
	v_dual_mov_b32 v4, v6 :: v_dual_mov_b32 v5, v7
.LBB279_1443:                           ;   in Loop: Header=BB279_927 Depth=1
	s_or_b32 exec_lo, exec_lo, s13
.LBB279_1444:                           ;   in Loop: Header=BB279_927 Depth=1
	s_delay_alu instid0(SALU_CYCLE_1)
	s_or_b32 exec_lo, exec_lo, s12
.LBB279_1445:                           ;   in Loop: Header=BB279_927 Depth=1
	s_delay_alu instid0(SALU_CYCLE_1) | instskip(SKIP_2) | instid1(VALU_DEP_1)
	s_or_b32 exec_lo, exec_lo, s10
	v_lshrrev_b16 v6, 8, v56
	s_mov_b32 s12, exec_lo
	v_cmpx_ne_u16_e32 0, v6
	s_cbranch_execz .LBB279_1453
; %bb.1446:                             ;   in Loop: Header=BB279_927 Depth=1
	v_dual_mov_b32 v15, s9 :: v_dual_mov_b32 v14, s8
	s_mov_b32 s13, exec_lo
	v_cmpx_ne_u16_e32 0x80, v6
	s_cbranch_execz .LBB279_1452
; %bb.1447:                             ;   in Loop: Header=BB279_927 Depth=1
	s_mov_b32 s10, s8
	v_dual_mov_b32 v15, s11 :: v_dual_and_b32 v6, 0xffff, v6
	v_mov_b32_e32 v14, s10
	s_mov_b32 s10, exec_lo
	s_delay_alu instid0(VALU_DEP_2) | instskip(NEXT) | instid1(VALU_DEP_1)
	v_and_b32_e32 v16, 0x7f, v6
	v_cmpx_ne_u32_e32 0x7f, v16
	s_cbranch_execz .LBB279_1451
; %bb.1448:                             ;   in Loop: Header=BB279_927 Depth=1
	v_and_b32_e32 v6, 7, v6
	v_lshrrev_b32_e32 v14, 3, v16
	s_mov_b32 s15, exec_lo
	v_cmpx_gt_u32_e32 8, v16
; %bb.1449:                             ;   in Loop: Header=BB279_927 Depth=1
	s_delay_alu instid0(VALU_DEP_3) | instskip(NEXT) | instid1(VALU_DEP_1)
	v_clz_i32_u32_e32 v14, v6
	v_min_u32_e32 v14, 32, v14
	s_delay_alu instid0(VALU_DEP_1) | instskip(SKIP_1) | instid1(VALU_DEP_2)
	v_subrev_nc_u32_e32 v15, 28, v14
	v_sub_nc_u32_e32 v14, 29, v14
	v_lshlrev_b64 v[15:16], v15, v[6:7]
	s_delay_alu instid0(VALU_DEP_1)
	v_and_b32_e32 v6, 7, v15
; %bb.1450:                             ;   in Loop: Header=BB279_927 Depth=1
	s_or_b32 exec_lo, exec_lo, s15
	v_lshlrev_b32_e32 v15, 16, v56
	s_delay_alu instid0(VALU_DEP_2) | instskip(SKIP_1) | instid1(VALU_DEP_3)
	v_lshlrev_b32_e32 v6, 20, v6
	v_lshl_add_u32 v14, v14, 23, 0x3c000000
	v_and_b32_e32 v15, 0x80000000, v15
	s_delay_alu instid0(VALU_DEP_1)
	v_or3_b32 v15, v6, v15, v14
	v_mov_b32_e32 v14, v7
.LBB279_1451:                           ;   in Loop: Header=BB279_927 Depth=1
	s_or_b32 exec_lo, exec_lo, s10
.LBB279_1452:                           ;   in Loop: Header=BB279_927 Depth=1
	s_delay_alu instid0(SALU_CYCLE_1)
	s_or_b32 exec_lo, exec_lo, s13
.LBB279_1453:                           ;   in Loop: Header=BB279_927 Depth=1
	s_delay_alu instid0(SALU_CYCLE_1) | instskip(SKIP_4) | instid1(VALU_DEP_2)
	s_or_b32 exec_lo, exec_lo, s12
	v_mov_b32_e32 v18, 0
	v_lshrrev_b32_e32 v57, 16, v56
	v_mov_b32_e32 v19, 0
	s_mov_b32 s10, exec_lo
	v_and_b32_e32 v6, 0xff, v57
	s_delay_alu instid0(VALU_DEP_2) | instskip(NEXT) | instid1(VALU_DEP_2)
	v_dual_mov_b32 v16, v18 :: v_dual_mov_b32 v17, v19
	v_cmpx_ne_u16_e32 0, v6
	s_cbranch_execz .LBB279_1461
; %bb.1454:                             ;   in Loop: Header=BB279_927 Depth=1
	v_bfrev_b32_e32 v16, 1
	v_mov_b32_e32 v17, 0
	s_mov_b32 s12, exec_lo
	v_cmpx_ne_u16_e32 0x80, v6
	s_cbranch_execz .LBB279_1460
; %bb.1455:                             ;   in Loop: Header=BB279_927 Depth=1
	v_mov_b32_e32 v16, 0x7f800001
	v_bfe_u32 v58, v56, 16, 7
	v_mov_b32_e32 v17, 0
	s_mov_b32 s13, exec_lo
	s_delay_alu instid0(VALU_DEP_2)
	v_cmpx_ne_u32_e32 0x7f, v58
	s_cbranch_execz .LBB279_1459
; %bb.1456:                             ;   in Loop: Header=BB279_927 Depth=1
	v_and_b32_e32 v6, 7, v57
	v_lshrrev_b32_e32 v16, 3, v58
	s_mov_b32 s15, exec_lo
	v_cmpx_gt_u32_e32 8, v58
; %bb.1457:                             ;   in Loop: Header=BB279_927 Depth=1
	s_delay_alu instid0(VALU_DEP_3) | instskip(NEXT) | instid1(VALU_DEP_1)
	v_clz_i32_u32_e32 v16, v6
	v_min_u32_e32 v16, 32, v16
	s_delay_alu instid0(VALU_DEP_1) | instskip(SKIP_1) | instid1(VALU_DEP_2)
	v_subrev_nc_u32_e32 v17, 28, v16
	v_sub_nc_u32_e32 v16, 29, v16
	v_lshlrev_b64 v[58:59], v17, v[6:7]
	s_delay_alu instid0(VALU_DEP_1)
	v_and_b32_e32 v6, 7, v58
; %bb.1458:                             ;   in Loop: Header=BB279_927 Depth=1
	s_or_b32 exec_lo, exec_lo, s15
	v_lshlrev_b32_e32 v17, 24, v57
	s_delay_alu instid0(VALU_DEP_2) | instskip(SKIP_1) | instid1(VALU_DEP_3)
	v_lshlrev_b32_e32 v6, 20, v6
	v_lshl_add_u32 v16, v16, 23, 0x3c000000
	v_and_b32_e32 v17, 0x80000000, v17
	s_delay_alu instid0(VALU_DEP_1) | instskip(NEXT) | instid1(VALU_DEP_1)
	v_or3_b32 v6, v6, v17, v16
	v_dual_mov_b32 v17, v7 :: v_dual_mov_b32 v16, v6
.LBB279_1459:                           ;   in Loop: Header=BB279_927 Depth=1
	s_or_b32 exec_lo, exec_lo, s13
.LBB279_1460:                           ;   in Loop: Header=BB279_927 Depth=1
	s_delay_alu instid0(SALU_CYCLE_1)
	s_or_b32 exec_lo, exec_lo, s12
.LBB279_1461:                           ;   in Loop: Header=BB279_927 Depth=1
	s_delay_alu instid0(SALU_CYCLE_1) | instskip(NEXT) | instid1(SALU_CYCLE_1)
	s_or_b32 exec_lo, exec_lo, s10
	s_mov_b32 s12, exec_lo
	v_cmpx_lt_u32_e32 0xffffff, v56
	s_cbranch_execz .LBB279_1469
; %bb.1462:                             ;   in Loop: Header=BB279_927 Depth=1
	v_lshrrev_b32_e32 v57, 24, v56
	v_dual_mov_b32 v19, s9 :: v_dual_mov_b32 v18, s8
	s_mov_b32 s13, exec_lo
	s_delay_alu instid0(VALU_DEP_2)
	v_cmpx_ne_u32_e32 0x80, v57
	s_cbranch_execz .LBB279_1468
; %bb.1463:                             ;   in Loop: Header=BB279_927 Depth=1
	s_mov_b32 s10, s8
	v_bfe_u32 v56, v56, 24, 7
	v_dual_mov_b32 v19, s11 :: v_dual_mov_b32 v18, s10
	s_mov_b32 s10, exec_lo
	s_delay_alu instid0(VALU_DEP_2)
	v_cmpx_ne_u32_e32 0x7f, v56
	s_cbranch_execz .LBB279_1467
; %bb.1464:                             ;   in Loop: Header=BB279_927 Depth=1
	v_and_b32_e32 v6, 7, v57
	v_lshrrev_b32_e32 v18, 3, v56
	s_mov_b32 s15, exec_lo
	v_cmpx_gt_u32_e32 8, v56
; %bb.1465:                             ;   in Loop: Header=BB279_927 Depth=1
	s_delay_alu instid0(VALU_DEP_3) | instskip(NEXT) | instid1(VALU_DEP_1)
	v_clz_i32_u32_e32 v18, v6
	v_min_u32_e32 v18, 32, v18
	s_delay_alu instid0(VALU_DEP_1) | instskip(SKIP_1) | instid1(VALU_DEP_2)
	v_subrev_nc_u32_e32 v19, 28, v18
	v_sub_nc_u32_e32 v18, 29, v18
	v_lshlrev_b64 v[58:59], v19, v[6:7]
	s_delay_alu instid0(VALU_DEP_1)
	v_and_b32_e32 v6, 7, v58
; %bb.1466:                             ;   in Loop: Header=BB279_927 Depth=1
	s_or_b32 exec_lo, exec_lo, s15
	v_lshlrev_b32_e32 v19, 24, v57
	s_delay_alu instid0(VALU_DEP_2) | instskip(SKIP_1) | instid1(VALU_DEP_3)
	v_lshlrev_b32_e32 v6, 20, v6
	v_lshl_add_u32 v18, v18, 23, 0x3c000000
	v_and_b32_e32 v19, 0x80000000, v19
	s_delay_alu instid0(VALU_DEP_1)
	v_or3_b32 v19, v6, v19, v18
	v_mov_b32_e32 v18, v7
.LBB279_1467:                           ;   in Loop: Header=BB279_927 Depth=1
	s_or_b32 exec_lo, exec_lo, s10
.LBB279_1468:                           ;   in Loop: Header=BB279_927 Depth=1
	s_delay_alu instid0(SALU_CYCLE_1)
	s_or_b32 exec_lo, exec_lo, s13
.LBB279_1469:                           ;   in Loop: Header=BB279_927 Depth=1
	s_delay_alu instid0(SALU_CYCLE_1) | instskip(SKIP_4) | instid1(VALU_DEP_4)
	s_or_b32 exec_lo, exec_lo, s12
	v_or_b32_e32 v5, v15, v5
	v_or_b32_e32 v4, v14, v4
	;; [unrolled: 1-line block ×4, first 2 shown]
	v_mul_f32_e32 v59, v80, v5
	s_delay_alu instid0(VALU_DEP_4) | instskip(NEXT) | instid1(VALU_DEP_4)
	v_mul_f32_e32 v58, v68, v4
	v_mul_f32_e32 v56, v80, v6
	s_delay_alu instid0(VALU_DEP_4)
	v_mul_f32_e32 v57, v68, v14
	s_and_saveexec_b32 s10, vcc_lo
; %bb.1470:                             ;   in Loop: Header=BB279_927 Depth=1
	v_cmp_lt_i32_e64 s0, v85, v122
	s_delay_alu instid0(VALU_DEP_1) | instskip(SKIP_1) | instid1(VALU_DEP_1)
	v_cndmask_b32_e64 v58, 0, v58, s0
	v_cmp_lt_i32_e64 s0, v87, v122
	v_cndmask_b32_e64 v59, 0, v59, s0
	v_cmp_lt_i32_e64 s0, v86, v122
	s_delay_alu instid0(VALU_DEP_1) | instskip(SKIP_1) | instid1(VALU_DEP_1)
	v_cndmask_b32_e64 v57, 0, v57, s0
	v_cmp_lt_i32_e64 s0, v70, v122
	v_cndmask_b32_e64 v56, 0, v56, s0
; %bb.1471:                             ;   in Loop: Header=BB279_927 Depth=1
	s_or_b32 exec_lo, exec_lo, s10
	flat_load_b32 v60, v[12:13] offset:2048
	v_mov_b32_e32 v14, 0
	v_mov_b32_e32 v15, 0
	s_mov_b32 s10, exec_lo
	s_waitcnt vmcnt(0) lgkmcnt(0)
	v_and_b32_e32 v6, 0xff, v60
	s_delay_alu instid0(VALU_DEP_2) | instskip(NEXT) | instid1(VALU_DEP_2)
	v_dual_mov_b32 v4, v14 :: v_dual_mov_b32 v5, v15
	v_cmpx_ne_u16_e32 0, v6
	s_cbranch_execz .LBB279_1479
; %bb.1472:                             ;   in Loop: Header=BB279_927 Depth=1
	v_bfrev_b32_e32 v4, 1
	v_mov_b32_e32 v5, 0
	s_mov_b32 s12, exec_lo
	v_cmpx_ne_u16_e32 0x80, v6
	s_cbranch_execz .LBB279_1478
; %bb.1473:                             ;   in Loop: Header=BB279_927 Depth=1
	v_mov_b32_e32 v4, 0x7f800001
	v_dual_mov_b32 v5, 0 :: v_dual_and_b32 v16, 0x7f, v60
	s_mov_b32 s13, exec_lo
	s_delay_alu instid0(VALU_DEP_1)
	v_cmpx_ne_u32_e32 0x7f, v16
	s_cbranch_execz .LBB279_1477
; %bb.1474:                             ;   in Loop: Header=BB279_927 Depth=1
	v_and_b32_e32 v6, 7, v60
	v_lshrrev_b32_e32 v4, 3, v16
	s_mov_b32 s15, exec_lo
	v_cmpx_gt_u32_e32 8, v16
; %bb.1475:                             ;   in Loop: Header=BB279_927 Depth=1
	s_delay_alu instid0(VALU_DEP_3) | instskip(NEXT) | instid1(VALU_DEP_1)
	v_clz_i32_u32_e32 v4, v6
	v_min_u32_e32 v4, 32, v4
	s_delay_alu instid0(VALU_DEP_1) | instskip(SKIP_1) | instid1(VALU_DEP_2)
	v_subrev_nc_u32_e32 v5, 28, v4
	v_sub_nc_u32_e32 v4, 29, v4
	v_lshlrev_b64 v[5:6], v5, v[6:7]
	s_delay_alu instid0(VALU_DEP_1)
	v_and_b32_e32 v6, 7, v5
; %bb.1476:                             ;   in Loop: Header=BB279_927 Depth=1
	s_or_b32 exec_lo, exec_lo, s15
	v_lshlrev_b32_e32 v5, 24, v60
	s_delay_alu instid0(VALU_DEP_2) | instskip(SKIP_1) | instid1(VALU_DEP_3)
	v_lshlrev_b32_e32 v6, 20, v6
	v_lshl_add_u32 v4, v4, 23, 0x3c000000
	v_and_b32_e32 v5, 0x80000000, v5
	s_delay_alu instid0(VALU_DEP_1) | instskip(NEXT) | instid1(VALU_DEP_1)
	v_or3_b32 v6, v6, v5, v4
	v_dual_mov_b32 v4, v6 :: v_dual_mov_b32 v5, v7
.LBB279_1477:                           ;   in Loop: Header=BB279_927 Depth=1
	s_or_b32 exec_lo, exec_lo, s13
.LBB279_1478:                           ;   in Loop: Header=BB279_927 Depth=1
	s_delay_alu instid0(SALU_CYCLE_1)
	s_or_b32 exec_lo, exec_lo, s12
.LBB279_1479:                           ;   in Loop: Header=BB279_927 Depth=1
	s_delay_alu instid0(SALU_CYCLE_1) | instskip(SKIP_2) | instid1(VALU_DEP_1)
	s_or_b32 exec_lo, exec_lo, s10
	v_lshrrev_b16 v6, 8, v60
	s_mov_b32 s12, exec_lo
	v_cmpx_ne_u16_e32 0, v6
	s_cbranch_execz .LBB279_1487
; %bb.1480:                             ;   in Loop: Header=BB279_927 Depth=1
	v_dual_mov_b32 v15, s9 :: v_dual_mov_b32 v14, s8
	s_mov_b32 s13, exec_lo
	v_cmpx_ne_u16_e32 0x80, v6
	s_cbranch_execz .LBB279_1486
; %bb.1481:                             ;   in Loop: Header=BB279_927 Depth=1
	s_mov_b32 s10, s8
	v_dual_mov_b32 v15, s11 :: v_dual_and_b32 v6, 0xffff, v6
	v_mov_b32_e32 v14, s10
	s_mov_b32 s10, exec_lo
	s_delay_alu instid0(VALU_DEP_2) | instskip(NEXT) | instid1(VALU_DEP_1)
	v_and_b32_e32 v16, 0x7f, v6
	v_cmpx_ne_u32_e32 0x7f, v16
	s_cbranch_execz .LBB279_1485
; %bb.1482:                             ;   in Loop: Header=BB279_927 Depth=1
	v_and_b32_e32 v6, 7, v6
	v_lshrrev_b32_e32 v14, 3, v16
	s_mov_b32 s15, exec_lo
	v_cmpx_gt_u32_e32 8, v16
; %bb.1483:                             ;   in Loop: Header=BB279_927 Depth=1
	s_delay_alu instid0(VALU_DEP_3) | instskip(NEXT) | instid1(VALU_DEP_1)
	v_clz_i32_u32_e32 v14, v6
	v_min_u32_e32 v14, 32, v14
	s_delay_alu instid0(VALU_DEP_1) | instskip(SKIP_1) | instid1(VALU_DEP_2)
	v_subrev_nc_u32_e32 v15, 28, v14
	v_sub_nc_u32_e32 v14, 29, v14
	v_lshlrev_b64 v[15:16], v15, v[6:7]
	s_delay_alu instid0(VALU_DEP_1)
	v_and_b32_e32 v6, 7, v15
; %bb.1484:                             ;   in Loop: Header=BB279_927 Depth=1
	s_or_b32 exec_lo, exec_lo, s15
	v_lshlrev_b32_e32 v15, 16, v60
	s_delay_alu instid0(VALU_DEP_2) | instskip(SKIP_1) | instid1(VALU_DEP_3)
	v_lshlrev_b32_e32 v6, 20, v6
	v_lshl_add_u32 v14, v14, 23, 0x3c000000
	v_and_b32_e32 v15, 0x80000000, v15
	s_delay_alu instid0(VALU_DEP_1)
	v_or3_b32 v15, v6, v15, v14
	v_mov_b32_e32 v14, v7
.LBB279_1485:                           ;   in Loop: Header=BB279_927 Depth=1
	s_or_b32 exec_lo, exec_lo, s10
.LBB279_1486:                           ;   in Loop: Header=BB279_927 Depth=1
	s_delay_alu instid0(SALU_CYCLE_1)
	s_or_b32 exec_lo, exec_lo, s13
.LBB279_1487:                           ;   in Loop: Header=BB279_927 Depth=1
	s_delay_alu instid0(SALU_CYCLE_1) | instskip(SKIP_4) | instid1(VALU_DEP_2)
	s_or_b32 exec_lo, exec_lo, s12
	v_mov_b32_e32 v18, 0
	v_lshrrev_b32_e32 v61, 16, v60
	v_mov_b32_e32 v19, 0
	s_mov_b32 s10, exec_lo
	v_and_b32_e32 v6, 0xff, v61
	s_delay_alu instid0(VALU_DEP_2) | instskip(NEXT) | instid1(VALU_DEP_2)
	v_dual_mov_b32 v16, v18 :: v_dual_mov_b32 v17, v19
	v_cmpx_ne_u16_e32 0, v6
	s_cbranch_execz .LBB279_1495
; %bb.1488:                             ;   in Loop: Header=BB279_927 Depth=1
	v_bfrev_b32_e32 v16, 1
	v_mov_b32_e32 v17, 0
	s_mov_b32 s12, exec_lo
	v_cmpx_ne_u16_e32 0x80, v6
	s_cbranch_execz .LBB279_1494
; %bb.1489:                             ;   in Loop: Header=BB279_927 Depth=1
	v_mov_b32_e32 v16, 0x7f800001
	v_bfe_u32 v62, v60, 16, 7
	v_mov_b32_e32 v17, 0
	s_mov_b32 s13, exec_lo
	s_delay_alu instid0(VALU_DEP_2)
	v_cmpx_ne_u32_e32 0x7f, v62
	s_cbranch_execz .LBB279_1493
; %bb.1490:                             ;   in Loop: Header=BB279_927 Depth=1
	v_and_b32_e32 v6, 7, v61
	v_lshrrev_b32_e32 v16, 3, v62
	s_mov_b32 s15, exec_lo
	v_cmpx_gt_u32_e32 8, v62
; %bb.1491:                             ;   in Loop: Header=BB279_927 Depth=1
	s_delay_alu instid0(VALU_DEP_3) | instskip(NEXT) | instid1(VALU_DEP_1)
	v_clz_i32_u32_e32 v16, v6
	v_min_u32_e32 v16, 32, v16
	s_delay_alu instid0(VALU_DEP_1) | instskip(SKIP_1) | instid1(VALU_DEP_2)
	v_subrev_nc_u32_e32 v17, 28, v16
	v_sub_nc_u32_e32 v16, 29, v16
	v_lshlrev_b64 v[62:63], v17, v[6:7]
	s_delay_alu instid0(VALU_DEP_1)
	v_and_b32_e32 v6, 7, v62
; %bb.1492:                             ;   in Loop: Header=BB279_927 Depth=1
	s_or_b32 exec_lo, exec_lo, s15
	v_lshlrev_b32_e32 v17, 24, v61
	s_delay_alu instid0(VALU_DEP_2) | instskip(SKIP_1) | instid1(VALU_DEP_3)
	v_lshlrev_b32_e32 v6, 20, v6
	v_lshl_add_u32 v16, v16, 23, 0x3c000000
	v_and_b32_e32 v17, 0x80000000, v17
	s_delay_alu instid0(VALU_DEP_1) | instskip(NEXT) | instid1(VALU_DEP_1)
	v_or3_b32 v6, v6, v17, v16
	v_dual_mov_b32 v17, v7 :: v_dual_mov_b32 v16, v6
.LBB279_1493:                           ;   in Loop: Header=BB279_927 Depth=1
	s_or_b32 exec_lo, exec_lo, s13
.LBB279_1494:                           ;   in Loop: Header=BB279_927 Depth=1
	s_delay_alu instid0(SALU_CYCLE_1)
	s_or_b32 exec_lo, exec_lo, s12
.LBB279_1495:                           ;   in Loop: Header=BB279_927 Depth=1
	s_delay_alu instid0(SALU_CYCLE_1) | instskip(NEXT) | instid1(SALU_CYCLE_1)
	s_or_b32 exec_lo, exec_lo, s10
	s_mov_b32 s12, exec_lo
	v_cmpx_lt_u32_e32 0xffffff, v60
	s_cbranch_execz .LBB279_1503
; %bb.1496:                             ;   in Loop: Header=BB279_927 Depth=1
	v_lshrrev_b32_e32 v61, 24, v60
	v_dual_mov_b32 v19, s9 :: v_dual_mov_b32 v18, s8
	s_mov_b32 s13, exec_lo
	s_delay_alu instid0(VALU_DEP_2)
	v_cmpx_ne_u32_e32 0x80, v61
	s_cbranch_execz .LBB279_1502
; %bb.1497:                             ;   in Loop: Header=BB279_927 Depth=1
	s_mov_b32 s10, s8
	v_bfe_u32 v60, v60, 24, 7
	v_dual_mov_b32 v19, s11 :: v_dual_mov_b32 v18, s10
	s_mov_b32 s10, exec_lo
	s_delay_alu instid0(VALU_DEP_2)
	v_cmpx_ne_u32_e32 0x7f, v60
	s_cbranch_execz .LBB279_1501
; %bb.1498:                             ;   in Loop: Header=BB279_927 Depth=1
	v_and_b32_e32 v6, 7, v61
	v_lshrrev_b32_e32 v18, 3, v60
	s_mov_b32 s15, exec_lo
	v_cmpx_gt_u32_e32 8, v60
; %bb.1499:                             ;   in Loop: Header=BB279_927 Depth=1
	s_delay_alu instid0(VALU_DEP_3) | instskip(NEXT) | instid1(VALU_DEP_1)
	v_clz_i32_u32_e32 v18, v6
	v_min_u32_e32 v18, 32, v18
	s_delay_alu instid0(VALU_DEP_1) | instskip(SKIP_1) | instid1(VALU_DEP_2)
	v_subrev_nc_u32_e32 v19, 28, v18
	v_sub_nc_u32_e32 v18, 29, v18
	v_lshlrev_b64 v[62:63], v19, v[6:7]
	s_delay_alu instid0(VALU_DEP_1)
	v_and_b32_e32 v6, 7, v62
; %bb.1500:                             ;   in Loop: Header=BB279_927 Depth=1
	s_or_b32 exec_lo, exec_lo, s15
	v_lshlrev_b32_e32 v19, 24, v61
	s_delay_alu instid0(VALU_DEP_2) | instskip(SKIP_1) | instid1(VALU_DEP_3)
	v_lshlrev_b32_e32 v6, 20, v6
	v_lshl_add_u32 v18, v18, 23, 0x3c000000
	v_and_b32_e32 v19, 0x80000000, v19
	s_delay_alu instid0(VALU_DEP_1)
	v_or3_b32 v19, v6, v19, v18
	v_mov_b32_e32 v18, v7
.LBB279_1501:                           ;   in Loop: Header=BB279_927 Depth=1
	s_or_b32 exec_lo, exec_lo, s10
.LBB279_1502:                           ;   in Loop: Header=BB279_927 Depth=1
	s_delay_alu instid0(SALU_CYCLE_1)
	s_or_b32 exec_lo, exec_lo, s13
.LBB279_1503:                           ;   in Loop: Header=BB279_927 Depth=1
	s_delay_alu instid0(SALU_CYCLE_1) | instskip(SKIP_4) | instid1(VALU_DEP_4)
	s_or_b32 exec_lo, exec_lo, s12
	v_or_b32_e32 v5, v15, v5
	v_or_b32_e32 v4, v14, v4
	;; [unrolled: 1-line block ×4, first 2 shown]
	v_mul_f32_e32 v63, v80, v5
	s_delay_alu instid0(VALU_DEP_4) | instskip(NEXT) | instid1(VALU_DEP_4)
	v_mul_f32_e32 v62, v68, v4
	v_mul_f32_e32 v60, v80, v6
	s_delay_alu instid0(VALU_DEP_4)
	v_mul_f32_e32 v61, v68, v14
	s_and_saveexec_b32 s10, vcc_lo
; %bb.1504:                             ;   in Loop: Header=BB279_927 Depth=1
	v_cmp_lt_i32_e64 s0, v85, v122
	s_delay_alu instid0(VALU_DEP_1) | instskip(SKIP_1) | instid1(VALU_DEP_1)
	v_cndmask_b32_e64 v62, 0, v62, s0
	v_cmp_lt_i32_e64 s0, v87, v122
	v_cndmask_b32_e64 v63, 0, v63, s0
	v_cmp_lt_i32_e64 s0, v86, v122
	s_delay_alu instid0(VALU_DEP_1) | instskip(SKIP_1) | instid1(VALU_DEP_1)
	v_cndmask_b32_e64 v61, 0, v61, s0
	v_cmp_lt_i32_e64 s0, v70, v122
	v_cndmask_b32_e64 v60, 0, v60, s0
; %bb.1505:                             ;   in Loop: Header=BB279_927 Depth=1
	s_or_b32 exec_lo, exec_lo, s10
	flat_load_b32 v72, v[12:13] offset:2176
	v_mov_b32_e32 v14, 0
	v_mov_b32_e32 v15, 0
	s_mov_b32 s10, exec_lo
	s_waitcnt vmcnt(0) lgkmcnt(0)
	v_and_b32_e32 v6, 0xff, v72
	s_delay_alu instid0(VALU_DEP_2) | instskip(NEXT) | instid1(VALU_DEP_2)
	v_dual_mov_b32 v4, v14 :: v_dual_mov_b32 v5, v15
	v_cmpx_ne_u16_e32 0, v6
	s_cbranch_execz .LBB279_1513
; %bb.1506:                             ;   in Loop: Header=BB279_927 Depth=1
	v_bfrev_b32_e32 v4, 1
	v_mov_b32_e32 v5, 0
	s_mov_b32 s12, exec_lo
	v_cmpx_ne_u16_e32 0x80, v6
	s_cbranch_execz .LBB279_1512
; %bb.1507:                             ;   in Loop: Header=BB279_927 Depth=1
	v_mov_b32_e32 v4, 0x7f800001
	v_dual_mov_b32 v5, 0 :: v_dual_and_b32 v16, 0x7f, v72
	s_mov_b32 s13, exec_lo
	s_delay_alu instid0(VALU_DEP_1)
	v_cmpx_ne_u32_e32 0x7f, v16
	s_cbranch_execz .LBB279_1511
; %bb.1508:                             ;   in Loop: Header=BB279_927 Depth=1
	v_and_b32_e32 v6, 7, v72
	v_lshrrev_b32_e32 v4, 3, v16
	s_mov_b32 s15, exec_lo
	v_cmpx_gt_u32_e32 8, v16
; %bb.1509:                             ;   in Loop: Header=BB279_927 Depth=1
	s_delay_alu instid0(VALU_DEP_3) | instskip(NEXT) | instid1(VALU_DEP_1)
	v_clz_i32_u32_e32 v4, v6
	v_min_u32_e32 v4, 32, v4
	s_delay_alu instid0(VALU_DEP_1) | instskip(SKIP_1) | instid1(VALU_DEP_2)
	v_subrev_nc_u32_e32 v5, 28, v4
	v_sub_nc_u32_e32 v4, 29, v4
	v_lshlrev_b64 v[5:6], v5, v[6:7]
	s_delay_alu instid0(VALU_DEP_1)
	v_and_b32_e32 v6, 7, v5
; %bb.1510:                             ;   in Loop: Header=BB279_927 Depth=1
	s_or_b32 exec_lo, exec_lo, s15
	v_lshlrev_b32_e32 v5, 24, v72
	s_delay_alu instid0(VALU_DEP_2) | instskip(SKIP_1) | instid1(VALU_DEP_3)
	v_lshlrev_b32_e32 v6, 20, v6
	v_lshl_add_u32 v4, v4, 23, 0x3c000000
	v_and_b32_e32 v5, 0x80000000, v5
	s_delay_alu instid0(VALU_DEP_1) | instskip(NEXT) | instid1(VALU_DEP_1)
	v_or3_b32 v6, v6, v5, v4
	v_dual_mov_b32 v4, v6 :: v_dual_mov_b32 v5, v7
.LBB279_1511:                           ;   in Loop: Header=BB279_927 Depth=1
	s_or_b32 exec_lo, exec_lo, s13
.LBB279_1512:                           ;   in Loop: Header=BB279_927 Depth=1
	s_delay_alu instid0(SALU_CYCLE_1)
	s_or_b32 exec_lo, exec_lo, s12
.LBB279_1513:                           ;   in Loop: Header=BB279_927 Depth=1
	s_delay_alu instid0(SALU_CYCLE_1) | instskip(SKIP_2) | instid1(VALU_DEP_1)
	s_or_b32 exec_lo, exec_lo, s10
	v_lshrrev_b16 v6, 8, v72
	s_mov_b32 s12, exec_lo
	v_cmpx_ne_u16_e32 0, v6
	s_cbranch_execz .LBB279_1521
; %bb.1514:                             ;   in Loop: Header=BB279_927 Depth=1
	v_dual_mov_b32 v15, s9 :: v_dual_mov_b32 v14, s8
	s_mov_b32 s13, exec_lo
	v_cmpx_ne_u16_e32 0x80, v6
	s_cbranch_execz .LBB279_1520
; %bb.1515:                             ;   in Loop: Header=BB279_927 Depth=1
	s_mov_b32 s10, s8
	v_dual_mov_b32 v15, s11 :: v_dual_and_b32 v6, 0xffff, v6
	v_mov_b32_e32 v14, s10
	s_mov_b32 s10, exec_lo
	s_delay_alu instid0(VALU_DEP_2) | instskip(NEXT) | instid1(VALU_DEP_1)
	v_and_b32_e32 v16, 0x7f, v6
	v_cmpx_ne_u32_e32 0x7f, v16
	s_cbranch_execz .LBB279_1519
; %bb.1516:                             ;   in Loop: Header=BB279_927 Depth=1
	v_and_b32_e32 v6, 7, v6
	v_lshrrev_b32_e32 v14, 3, v16
	s_mov_b32 s15, exec_lo
	v_cmpx_gt_u32_e32 8, v16
; %bb.1517:                             ;   in Loop: Header=BB279_927 Depth=1
	s_delay_alu instid0(VALU_DEP_3) | instskip(NEXT) | instid1(VALU_DEP_1)
	v_clz_i32_u32_e32 v14, v6
	v_min_u32_e32 v14, 32, v14
	s_delay_alu instid0(VALU_DEP_1) | instskip(SKIP_1) | instid1(VALU_DEP_2)
	v_subrev_nc_u32_e32 v15, 28, v14
	v_sub_nc_u32_e32 v14, 29, v14
	v_lshlrev_b64 v[15:16], v15, v[6:7]
	s_delay_alu instid0(VALU_DEP_1)
	v_and_b32_e32 v6, 7, v15
; %bb.1518:                             ;   in Loop: Header=BB279_927 Depth=1
	s_or_b32 exec_lo, exec_lo, s15
	v_lshlrev_b32_e32 v15, 16, v72
	s_delay_alu instid0(VALU_DEP_2) | instskip(SKIP_1) | instid1(VALU_DEP_3)
	v_lshlrev_b32_e32 v6, 20, v6
	v_lshl_add_u32 v14, v14, 23, 0x3c000000
	v_and_b32_e32 v15, 0x80000000, v15
	s_delay_alu instid0(VALU_DEP_1)
	v_or3_b32 v15, v6, v15, v14
	v_mov_b32_e32 v14, v7
.LBB279_1519:                           ;   in Loop: Header=BB279_927 Depth=1
	s_or_b32 exec_lo, exec_lo, s10
.LBB279_1520:                           ;   in Loop: Header=BB279_927 Depth=1
	s_delay_alu instid0(SALU_CYCLE_1)
	s_or_b32 exec_lo, exec_lo, s13
.LBB279_1521:                           ;   in Loop: Header=BB279_927 Depth=1
	s_delay_alu instid0(SALU_CYCLE_1) | instskip(SKIP_4) | instid1(VALU_DEP_2)
	s_or_b32 exec_lo, exec_lo, s12
	v_mov_b32_e32 v18, 0
	v_lshrrev_b32_e32 v73, 16, v72
	v_mov_b32_e32 v19, 0
	s_mov_b32 s10, exec_lo
	v_and_b32_e32 v6, 0xff, v73
	s_delay_alu instid0(VALU_DEP_2) | instskip(NEXT) | instid1(VALU_DEP_2)
	v_dual_mov_b32 v16, v18 :: v_dual_mov_b32 v17, v19
	v_cmpx_ne_u16_e32 0, v6
	s_cbranch_execz .LBB279_1529
; %bb.1522:                             ;   in Loop: Header=BB279_927 Depth=1
	v_bfrev_b32_e32 v16, 1
	v_mov_b32_e32 v17, 0
	s_mov_b32 s12, exec_lo
	v_cmpx_ne_u16_e32 0x80, v6
	s_cbranch_execz .LBB279_1528
; %bb.1523:                             ;   in Loop: Header=BB279_927 Depth=1
	v_mov_b32_e32 v16, 0x7f800001
	v_bfe_u32 v74, v72, 16, 7
	v_mov_b32_e32 v17, 0
	s_mov_b32 s13, exec_lo
	s_delay_alu instid0(VALU_DEP_2)
	v_cmpx_ne_u32_e32 0x7f, v74
	s_cbranch_execz .LBB279_1527
; %bb.1524:                             ;   in Loop: Header=BB279_927 Depth=1
	v_and_b32_e32 v6, 7, v73
	v_lshrrev_b32_e32 v16, 3, v74
	s_mov_b32 s15, exec_lo
	v_cmpx_gt_u32_e32 8, v74
; %bb.1525:                             ;   in Loop: Header=BB279_927 Depth=1
	s_delay_alu instid0(VALU_DEP_3) | instskip(NEXT) | instid1(VALU_DEP_1)
	v_clz_i32_u32_e32 v16, v6
	v_min_u32_e32 v16, 32, v16
	s_delay_alu instid0(VALU_DEP_1) | instskip(SKIP_1) | instid1(VALU_DEP_2)
	v_subrev_nc_u32_e32 v17, 28, v16
	v_sub_nc_u32_e32 v16, 29, v16
	v_lshlrev_b64 v[74:75], v17, v[6:7]
	s_delay_alu instid0(VALU_DEP_1)
	v_and_b32_e32 v6, 7, v74
; %bb.1526:                             ;   in Loop: Header=BB279_927 Depth=1
	s_or_b32 exec_lo, exec_lo, s15
	v_lshlrev_b32_e32 v17, 24, v73
	s_delay_alu instid0(VALU_DEP_2) | instskip(SKIP_1) | instid1(VALU_DEP_3)
	v_lshlrev_b32_e32 v6, 20, v6
	v_lshl_add_u32 v16, v16, 23, 0x3c000000
	v_and_b32_e32 v17, 0x80000000, v17
	s_delay_alu instid0(VALU_DEP_1) | instskip(NEXT) | instid1(VALU_DEP_1)
	v_or3_b32 v6, v6, v17, v16
	v_dual_mov_b32 v17, v7 :: v_dual_mov_b32 v16, v6
.LBB279_1527:                           ;   in Loop: Header=BB279_927 Depth=1
	s_or_b32 exec_lo, exec_lo, s13
.LBB279_1528:                           ;   in Loop: Header=BB279_927 Depth=1
	s_delay_alu instid0(SALU_CYCLE_1)
	s_or_b32 exec_lo, exec_lo, s12
.LBB279_1529:                           ;   in Loop: Header=BB279_927 Depth=1
	s_delay_alu instid0(SALU_CYCLE_1) | instskip(NEXT) | instid1(SALU_CYCLE_1)
	s_or_b32 exec_lo, exec_lo, s10
	s_mov_b32 s12, exec_lo
	v_cmpx_lt_u32_e32 0xffffff, v72
	s_cbranch_execz .LBB279_1537
; %bb.1530:                             ;   in Loop: Header=BB279_927 Depth=1
	v_lshrrev_b32_e32 v73, 24, v72
	v_dual_mov_b32 v19, s9 :: v_dual_mov_b32 v18, s8
	s_mov_b32 s13, exec_lo
	s_delay_alu instid0(VALU_DEP_2)
	v_cmpx_ne_u32_e32 0x80, v73
	s_cbranch_execz .LBB279_1536
; %bb.1531:                             ;   in Loop: Header=BB279_927 Depth=1
	s_mov_b32 s10, s8
	v_bfe_u32 v72, v72, 24, 7
	v_dual_mov_b32 v19, s11 :: v_dual_mov_b32 v18, s10
	s_mov_b32 s10, exec_lo
	s_delay_alu instid0(VALU_DEP_2)
	v_cmpx_ne_u32_e32 0x7f, v72
	s_cbranch_execz .LBB279_1535
; %bb.1532:                             ;   in Loop: Header=BB279_927 Depth=1
	v_and_b32_e32 v6, 7, v73
	v_lshrrev_b32_e32 v18, 3, v72
	s_mov_b32 s15, exec_lo
	v_cmpx_gt_u32_e32 8, v72
; %bb.1533:                             ;   in Loop: Header=BB279_927 Depth=1
	s_delay_alu instid0(VALU_DEP_3) | instskip(NEXT) | instid1(VALU_DEP_1)
	v_clz_i32_u32_e32 v18, v6
	v_min_u32_e32 v18, 32, v18
	s_delay_alu instid0(VALU_DEP_1) | instskip(SKIP_1) | instid1(VALU_DEP_2)
	v_subrev_nc_u32_e32 v19, 28, v18
	v_sub_nc_u32_e32 v18, 29, v18
	v_lshlrev_b64 v[74:75], v19, v[6:7]
	s_delay_alu instid0(VALU_DEP_1)
	v_and_b32_e32 v6, 7, v74
; %bb.1534:                             ;   in Loop: Header=BB279_927 Depth=1
	s_or_b32 exec_lo, exec_lo, s15
	v_lshlrev_b32_e32 v19, 24, v73
	s_delay_alu instid0(VALU_DEP_2) | instskip(SKIP_1) | instid1(VALU_DEP_3)
	v_lshlrev_b32_e32 v6, 20, v6
	v_lshl_add_u32 v18, v18, 23, 0x3c000000
	v_and_b32_e32 v19, 0x80000000, v19
	s_delay_alu instid0(VALU_DEP_1)
	v_or3_b32 v19, v6, v19, v18
	v_mov_b32_e32 v18, v7
.LBB279_1535:                           ;   in Loop: Header=BB279_927 Depth=1
	s_or_b32 exec_lo, exec_lo, s10
.LBB279_1536:                           ;   in Loop: Header=BB279_927 Depth=1
	s_delay_alu instid0(SALU_CYCLE_1)
	s_or_b32 exec_lo, exec_lo, s13
.LBB279_1537:                           ;   in Loop: Header=BB279_927 Depth=1
	s_delay_alu instid0(SALU_CYCLE_1) | instskip(SKIP_4) | instid1(VALU_DEP_4)
	s_or_b32 exec_lo, exec_lo, s12
	v_or_b32_e32 v5, v15, v5
	v_or_b32_e32 v4, v14, v4
	;; [unrolled: 1-line block ×4, first 2 shown]
	v_mul_f32_e32 v75, v80, v5
	s_delay_alu instid0(VALU_DEP_4) | instskip(NEXT) | instid1(VALU_DEP_4)
	v_mul_f32_e32 v74, v68, v4
	v_mul_f32_e32 v72, v80, v6
	s_delay_alu instid0(VALU_DEP_4)
	v_mul_f32_e32 v73, v68, v14
	s_and_saveexec_b32 s10, vcc_lo
; %bb.1538:                             ;   in Loop: Header=BB279_927 Depth=1
	v_cmp_lt_i32_e64 s0, v85, v122
	s_delay_alu instid0(VALU_DEP_1) | instskip(SKIP_1) | instid1(VALU_DEP_1)
	v_cndmask_b32_e64 v74, 0, v74, s0
	v_cmp_lt_i32_e64 s0, v87, v122
	v_cndmask_b32_e64 v75, 0, v75, s0
	v_cmp_lt_i32_e64 s0, v86, v122
	s_delay_alu instid0(VALU_DEP_1) | instskip(SKIP_1) | instid1(VALU_DEP_1)
	v_cndmask_b32_e64 v73, 0, v73, s0
	v_cmp_lt_i32_e64 s0, v70, v122
	v_cndmask_b32_e64 v72, 0, v72, s0
; %bb.1539:                             ;   in Loop: Header=BB279_927 Depth=1
	s_or_b32 exec_lo, exec_lo, s10
	flat_load_b32 v76, v[12:13] offset:2304
	v_mov_b32_e32 v14, 0
	v_mov_b32_e32 v15, 0
	s_mov_b32 s10, exec_lo
	s_waitcnt vmcnt(0) lgkmcnt(0)
	v_and_b32_e32 v6, 0xff, v76
	s_delay_alu instid0(VALU_DEP_2) | instskip(NEXT) | instid1(VALU_DEP_2)
	v_dual_mov_b32 v4, v14 :: v_dual_mov_b32 v5, v15
	v_cmpx_ne_u16_e32 0, v6
	s_cbranch_execz .LBB279_1547
; %bb.1540:                             ;   in Loop: Header=BB279_927 Depth=1
	v_bfrev_b32_e32 v4, 1
	v_mov_b32_e32 v5, 0
	s_mov_b32 s12, exec_lo
	v_cmpx_ne_u16_e32 0x80, v6
	s_cbranch_execz .LBB279_1546
; %bb.1541:                             ;   in Loop: Header=BB279_927 Depth=1
	v_mov_b32_e32 v4, 0x7f800001
	v_dual_mov_b32 v5, 0 :: v_dual_and_b32 v16, 0x7f, v76
	s_mov_b32 s13, exec_lo
	s_delay_alu instid0(VALU_DEP_1)
	v_cmpx_ne_u32_e32 0x7f, v16
	s_cbranch_execz .LBB279_1545
; %bb.1542:                             ;   in Loop: Header=BB279_927 Depth=1
	v_and_b32_e32 v6, 7, v76
	v_lshrrev_b32_e32 v4, 3, v16
	s_mov_b32 s15, exec_lo
	v_cmpx_gt_u32_e32 8, v16
; %bb.1543:                             ;   in Loop: Header=BB279_927 Depth=1
	s_delay_alu instid0(VALU_DEP_3) | instskip(NEXT) | instid1(VALU_DEP_1)
	v_clz_i32_u32_e32 v4, v6
	v_min_u32_e32 v4, 32, v4
	s_delay_alu instid0(VALU_DEP_1) | instskip(SKIP_1) | instid1(VALU_DEP_2)
	v_subrev_nc_u32_e32 v5, 28, v4
	v_sub_nc_u32_e32 v4, 29, v4
	v_lshlrev_b64 v[5:6], v5, v[6:7]
	s_delay_alu instid0(VALU_DEP_1)
	v_and_b32_e32 v6, 7, v5
; %bb.1544:                             ;   in Loop: Header=BB279_927 Depth=1
	s_or_b32 exec_lo, exec_lo, s15
	v_lshlrev_b32_e32 v5, 24, v76
	s_delay_alu instid0(VALU_DEP_2) | instskip(SKIP_1) | instid1(VALU_DEP_3)
	v_lshlrev_b32_e32 v6, 20, v6
	v_lshl_add_u32 v4, v4, 23, 0x3c000000
	v_and_b32_e32 v5, 0x80000000, v5
	s_delay_alu instid0(VALU_DEP_1) | instskip(NEXT) | instid1(VALU_DEP_1)
	v_or3_b32 v6, v6, v5, v4
	v_dual_mov_b32 v4, v6 :: v_dual_mov_b32 v5, v7
.LBB279_1545:                           ;   in Loop: Header=BB279_927 Depth=1
	s_or_b32 exec_lo, exec_lo, s13
.LBB279_1546:                           ;   in Loop: Header=BB279_927 Depth=1
	s_delay_alu instid0(SALU_CYCLE_1)
	s_or_b32 exec_lo, exec_lo, s12
.LBB279_1547:                           ;   in Loop: Header=BB279_927 Depth=1
	s_delay_alu instid0(SALU_CYCLE_1) | instskip(SKIP_2) | instid1(VALU_DEP_1)
	s_or_b32 exec_lo, exec_lo, s10
	v_lshrrev_b16 v6, 8, v76
	s_mov_b32 s12, exec_lo
	v_cmpx_ne_u16_e32 0, v6
	s_cbranch_execz .LBB279_1555
; %bb.1548:                             ;   in Loop: Header=BB279_927 Depth=1
	v_dual_mov_b32 v15, s9 :: v_dual_mov_b32 v14, s8
	s_mov_b32 s13, exec_lo
	v_cmpx_ne_u16_e32 0x80, v6
	s_cbranch_execz .LBB279_1554
; %bb.1549:                             ;   in Loop: Header=BB279_927 Depth=1
	s_mov_b32 s10, s8
	v_dual_mov_b32 v15, s11 :: v_dual_and_b32 v6, 0xffff, v6
	v_mov_b32_e32 v14, s10
	s_mov_b32 s10, exec_lo
	s_delay_alu instid0(VALU_DEP_2) | instskip(NEXT) | instid1(VALU_DEP_1)
	v_and_b32_e32 v16, 0x7f, v6
	v_cmpx_ne_u32_e32 0x7f, v16
	s_cbranch_execz .LBB279_1553
; %bb.1550:                             ;   in Loop: Header=BB279_927 Depth=1
	v_and_b32_e32 v6, 7, v6
	v_lshrrev_b32_e32 v14, 3, v16
	s_mov_b32 s15, exec_lo
	v_cmpx_gt_u32_e32 8, v16
; %bb.1551:                             ;   in Loop: Header=BB279_927 Depth=1
	s_delay_alu instid0(VALU_DEP_3) | instskip(NEXT) | instid1(VALU_DEP_1)
	v_clz_i32_u32_e32 v14, v6
	v_min_u32_e32 v14, 32, v14
	s_delay_alu instid0(VALU_DEP_1) | instskip(SKIP_1) | instid1(VALU_DEP_2)
	v_subrev_nc_u32_e32 v15, 28, v14
	v_sub_nc_u32_e32 v14, 29, v14
	v_lshlrev_b64 v[15:16], v15, v[6:7]
	s_delay_alu instid0(VALU_DEP_1)
	v_and_b32_e32 v6, 7, v15
; %bb.1552:                             ;   in Loop: Header=BB279_927 Depth=1
	s_or_b32 exec_lo, exec_lo, s15
	v_lshlrev_b32_e32 v15, 16, v76
	s_delay_alu instid0(VALU_DEP_2) | instskip(SKIP_1) | instid1(VALU_DEP_3)
	v_lshlrev_b32_e32 v6, 20, v6
	v_lshl_add_u32 v14, v14, 23, 0x3c000000
	v_and_b32_e32 v15, 0x80000000, v15
	s_delay_alu instid0(VALU_DEP_1)
	v_or3_b32 v15, v6, v15, v14
	v_mov_b32_e32 v14, v7
.LBB279_1553:                           ;   in Loop: Header=BB279_927 Depth=1
	s_or_b32 exec_lo, exec_lo, s10
.LBB279_1554:                           ;   in Loop: Header=BB279_927 Depth=1
	s_delay_alu instid0(SALU_CYCLE_1)
	s_or_b32 exec_lo, exec_lo, s13
.LBB279_1555:                           ;   in Loop: Header=BB279_927 Depth=1
	s_delay_alu instid0(SALU_CYCLE_1) | instskip(SKIP_4) | instid1(VALU_DEP_2)
	s_or_b32 exec_lo, exec_lo, s12
	v_mov_b32_e32 v18, 0
	v_lshrrev_b32_e32 v77, 16, v76
	v_mov_b32_e32 v19, 0
	s_mov_b32 s10, exec_lo
	v_and_b32_e32 v6, 0xff, v77
	s_delay_alu instid0(VALU_DEP_2) | instskip(NEXT) | instid1(VALU_DEP_2)
	v_dual_mov_b32 v16, v18 :: v_dual_mov_b32 v17, v19
	v_cmpx_ne_u16_e32 0, v6
	s_cbranch_execz .LBB279_1563
; %bb.1556:                             ;   in Loop: Header=BB279_927 Depth=1
	v_bfrev_b32_e32 v16, 1
	v_mov_b32_e32 v17, 0
	s_mov_b32 s12, exec_lo
	v_cmpx_ne_u16_e32 0x80, v6
	s_cbranch_execz .LBB279_1562
; %bb.1557:                             ;   in Loop: Header=BB279_927 Depth=1
	v_mov_b32_e32 v16, 0x7f800001
	v_bfe_u32 v78, v76, 16, 7
	v_mov_b32_e32 v17, 0
	s_mov_b32 s13, exec_lo
	s_delay_alu instid0(VALU_DEP_2)
	v_cmpx_ne_u32_e32 0x7f, v78
	s_cbranch_execz .LBB279_1561
; %bb.1558:                             ;   in Loop: Header=BB279_927 Depth=1
	v_and_b32_e32 v6, 7, v77
	v_lshrrev_b32_e32 v16, 3, v78
	s_mov_b32 s15, exec_lo
	v_cmpx_gt_u32_e32 8, v78
; %bb.1559:                             ;   in Loop: Header=BB279_927 Depth=1
	s_delay_alu instid0(VALU_DEP_3) | instskip(NEXT) | instid1(VALU_DEP_1)
	v_clz_i32_u32_e32 v16, v6
	v_min_u32_e32 v16, 32, v16
	s_delay_alu instid0(VALU_DEP_1) | instskip(SKIP_1) | instid1(VALU_DEP_2)
	v_subrev_nc_u32_e32 v17, 28, v16
	v_sub_nc_u32_e32 v16, 29, v16
	v_lshlrev_b64 v[78:79], v17, v[6:7]
	s_delay_alu instid0(VALU_DEP_1)
	v_and_b32_e32 v6, 7, v78
; %bb.1560:                             ;   in Loop: Header=BB279_927 Depth=1
	s_or_b32 exec_lo, exec_lo, s15
	v_lshlrev_b32_e32 v17, 24, v77
	s_delay_alu instid0(VALU_DEP_2) | instskip(SKIP_1) | instid1(VALU_DEP_3)
	v_lshlrev_b32_e32 v6, 20, v6
	v_lshl_add_u32 v16, v16, 23, 0x3c000000
	v_and_b32_e32 v17, 0x80000000, v17
	s_delay_alu instid0(VALU_DEP_1) | instskip(NEXT) | instid1(VALU_DEP_1)
	v_or3_b32 v6, v6, v17, v16
	v_dual_mov_b32 v17, v7 :: v_dual_mov_b32 v16, v6
.LBB279_1561:                           ;   in Loop: Header=BB279_927 Depth=1
	s_or_b32 exec_lo, exec_lo, s13
.LBB279_1562:                           ;   in Loop: Header=BB279_927 Depth=1
	s_delay_alu instid0(SALU_CYCLE_1)
	s_or_b32 exec_lo, exec_lo, s12
.LBB279_1563:                           ;   in Loop: Header=BB279_927 Depth=1
	s_delay_alu instid0(SALU_CYCLE_1) | instskip(NEXT) | instid1(SALU_CYCLE_1)
	s_or_b32 exec_lo, exec_lo, s10
	s_mov_b32 s12, exec_lo
	v_cmpx_lt_u32_e32 0xffffff, v76
	s_cbranch_execz .LBB279_1571
; %bb.1564:                             ;   in Loop: Header=BB279_927 Depth=1
	v_lshrrev_b32_e32 v77, 24, v76
	v_dual_mov_b32 v19, s9 :: v_dual_mov_b32 v18, s8
	s_mov_b32 s13, exec_lo
	s_delay_alu instid0(VALU_DEP_2)
	v_cmpx_ne_u32_e32 0x80, v77
	s_cbranch_execz .LBB279_1570
; %bb.1565:                             ;   in Loop: Header=BB279_927 Depth=1
	s_mov_b32 s10, s8
	v_bfe_u32 v76, v76, 24, 7
	v_dual_mov_b32 v19, s11 :: v_dual_mov_b32 v18, s10
	s_mov_b32 s10, exec_lo
	s_delay_alu instid0(VALU_DEP_2)
	v_cmpx_ne_u32_e32 0x7f, v76
	s_cbranch_execz .LBB279_1569
; %bb.1566:                             ;   in Loop: Header=BB279_927 Depth=1
	v_and_b32_e32 v6, 7, v77
	v_lshrrev_b32_e32 v18, 3, v76
	s_mov_b32 s15, exec_lo
	v_cmpx_gt_u32_e32 8, v76
; %bb.1567:                             ;   in Loop: Header=BB279_927 Depth=1
	s_delay_alu instid0(VALU_DEP_3) | instskip(NEXT) | instid1(VALU_DEP_1)
	v_clz_i32_u32_e32 v18, v6
	v_min_u32_e32 v18, 32, v18
	s_delay_alu instid0(VALU_DEP_1) | instskip(SKIP_1) | instid1(VALU_DEP_2)
	v_subrev_nc_u32_e32 v19, 28, v18
	v_sub_nc_u32_e32 v18, 29, v18
	v_lshlrev_b64 v[78:79], v19, v[6:7]
	s_delay_alu instid0(VALU_DEP_1)
	v_and_b32_e32 v6, 7, v78
; %bb.1568:                             ;   in Loop: Header=BB279_927 Depth=1
	s_or_b32 exec_lo, exec_lo, s15
	v_lshlrev_b32_e32 v19, 24, v77
	s_delay_alu instid0(VALU_DEP_2) | instskip(SKIP_1) | instid1(VALU_DEP_3)
	v_lshlrev_b32_e32 v6, 20, v6
	v_lshl_add_u32 v18, v18, 23, 0x3c000000
	v_and_b32_e32 v19, 0x80000000, v19
	s_delay_alu instid0(VALU_DEP_1)
	v_or3_b32 v19, v6, v19, v18
	v_mov_b32_e32 v18, v7
.LBB279_1569:                           ;   in Loop: Header=BB279_927 Depth=1
	s_or_b32 exec_lo, exec_lo, s10
.LBB279_1570:                           ;   in Loop: Header=BB279_927 Depth=1
	s_delay_alu instid0(SALU_CYCLE_1)
	s_or_b32 exec_lo, exec_lo, s13
.LBB279_1571:                           ;   in Loop: Header=BB279_927 Depth=1
	s_delay_alu instid0(SALU_CYCLE_1) | instskip(SKIP_4) | instid1(VALU_DEP_4)
	s_or_b32 exec_lo, exec_lo, s12
	v_or_b32_e32 v5, v15, v5
	v_or_b32_e32 v4, v14, v4
	;; [unrolled: 1-line block ×4, first 2 shown]
	v_mul_f32_e32 v79, v80, v5
	s_delay_alu instid0(VALU_DEP_4) | instskip(NEXT) | instid1(VALU_DEP_4)
	v_mul_f32_e32 v78, v68, v4
	v_mul_f32_e32 v76, v80, v6
	s_delay_alu instid0(VALU_DEP_4)
	v_mul_f32_e32 v77, v68, v14
	s_and_saveexec_b32 s10, vcc_lo
; %bb.1572:                             ;   in Loop: Header=BB279_927 Depth=1
	v_cmp_lt_i32_e64 s0, v85, v122
	s_delay_alu instid0(VALU_DEP_1) | instskip(SKIP_1) | instid1(VALU_DEP_1)
	v_cndmask_b32_e64 v78, 0, v78, s0
	v_cmp_lt_i32_e64 s0, v87, v122
	v_cndmask_b32_e64 v79, 0, v79, s0
	v_cmp_lt_i32_e64 s0, v86, v122
	s_delay_alu instid0(VALU_DEP_1) | instskip(SKIP_1) | instid1(VALU_DEP_1)
	v_cndmask_b32_e64 v77, 0, v77, s0
	v_cmp_lt_i32_e64 s0, v70, v122
	v_cndmask_b32_e64 v76, 0, v76, s0
; %bb.1573:                             ;   in Loop: Header=BB279_927 Depth=1
	s_or_b32 exec_lo, exec_lo, s10
	flat_load_b32 v88, v[12:13] offset:2432
	v_mov_b32_e32 v14, 0
	v_mov_b32_e32 v15, 0
	s_mov_b32 s10, exec_lo
	s_waitcnt vmcnt(0) lgkmcnt(0)
	v_and_b32_e32 v6, 0xff, v88
	s_delay_alu instid0(VALU_DEP_2) | instskip(NEXT) | instid1(VALU_DEP_2)
	v_dual_mov_b32 v4, v14 :: v_dual_mov_b32 v5, v15
	v_cmpx_ne_u16_e32 0, v6
	s_cbranch_execz .LBB279_1581
; %bb.1574:                             ;   in Loop: Header=BB279_927 Depth=1
	v_bfrev_b32_e32 v4, 1
	v_mov_b32_e32 v5, 0
	s_mov_b32 s12, exec_lo
	v_cmpx_ne_u16_e32 0x80, v6
	s_cbranch_execz .LBB279_1580
; %bb.1575:                             ;   in Loop: Header=BB279_927 Depth=1
	v_mov_b32_e32 v4, 0x7f800001
	v_dual_mov_b32 v5, 0 :: v_dual_and_b32 v16, 0x7f, v88
	s_mov_b32 s13, exec_lo
	s_delay_alu instid0(VALU_DEP_1)
	v_cmpx_ne_u32_e32 0x7f, v16
	s_cbranch_execz .LBB279_1579
; %bb.1576:                             ;   in Loop: Header=BB279_927 Depth=1
	v_and_b32_e32 v6, 7, v88
	v_lshrrev_b32_e32 v4, 3, v16
	s_mov_b32 s15, exec_lo
	v_cmpx_gt_u32_e32 8, v16
; %bb.1577:                             ;   in Loop: Header=BB279_927 Depth=1
	s_delay_alu instid0(VALU_DEP_3) | instskip(NEXT) | instid1(VALU_DEP_1)
	v_clz_i32_u32_e32 v4, v6
	v_min_u32_e32 v4, 32, v4
	s_delay_alu instid0(VALU_DEP_1) | instskip(SKIP_1) | instid1(VALU_DEP_2)
	v_subrev_nc_u32_e32 v5, 28, v4
	v_sub_nc_u32_e32 v4, 29, v4
	v_lshlrev_b64 v[5:6], v5, v[6:7]
	s_delay_alu instid0(VALU_DEP_1)
	v_and_b32_e32 v6, 7, v5
; %bb.1578:                             ;   in Loop: Header=BB279_927 Depth=1
	s_or_b32 exec_lo, exec_lo, s15
	v_lshlrev_b32_e32 v5, 24, v88
	s_delay_alu instid0(VALU_DEP_2) | instskip(SKIP_1) | instid1(VALU_DEP_3)
	v_lshlrev_b32_e32 v6, 20, v6
	v_lshl_add_u32 v4, v4, 23, 0x3c000000
	v_and_b32_e32 v5, 0x80000000, v5
	s_delay_alu instid0(VALU_DEP_1) | instskip(NEXT) | instid1(VALU_DEP_1)
	v_or3_b32 v6, v6, v5, v4
	v_dual_mov_b32 v4, v6 :: v_dual_mov_b32 v5, v7
.LBB279_1579:                           ;   in Loop: Header=BB279_927 Depth=1
	s_or_b32 exec_lo, exec_lo, s13
.LBB279_1580:                           ;   in Loop: Header=BB279_927 Depth=1
	s_delay_alu instid0(SALU_CYCLE_1)
	s_or_b32 exec_lo, exec_lo, s12
.LBB279_1581:                           ;   in Loop: Header=BB279_927 Depth=1
	s_delay_alu instid0(SALU_CYCLE_1) | instskip(SKIP_2) | instid1(VALU_DEP_1)
	s_or_b32 exec_lo, exec_lo, s10
	v_lshrrev_b16 v6, 8, v88
	s_mov_b32 s12, exec_lo
	v_cmpx_ne_u16_e32 0, v6
	s_cbranch_execz .LBB279_1589
; %bb.1582:                             ;   in Loop: Header=BB279_927 Depth=1
	v_dual_mov_b32 v15, s9 :: v_dual_mov_b32 v14, s8
	s_mov_b32 s13, exec_lo
	v_cmpx_ne_u16_e32 0x80, v6
	s_cbranch_execz .LBB279_1588
; %bb.1583:                             ;   in Loop: Header=BB279_927 Depth=1
	s_mov_b32 s10, s8
	v_dual_mov_b32 v15, s11 :: v_dual_and_b32 v6, 0xffff, v6
	v_mov_b32_e32 v14, s10
	s_mov_b32 s10, exec_lo
	s_delay_alu instid0(VALU_DEP_2) | instskip(NEXT) | instid1(VALU_DEP_1)
	v_and_b32_e32 v16, 0x7f, v6
	v_cmpx_ne_u32_e32 0x7f, v16
	s_cbranch_execz .LBB279_1587
; %bb.1584:                             ;   in Loop: Header=BB279_927 Depth=1
	v_and_b32_e32 v6, 7, v6
	v_lshrrev_b32_e32 v14, 3, v16
	s_mov_b32 s15, exec_lo
	v_cmpx_gt_u32_e32 8, v16
; %bb.1585:                             ;   in Loop: Header=BB279_927 Depth=1
	s_delay_alu instid0(VALU_DEP_3) | instskip(NEXT) | instid1(VALU_DEP_1)
	v_clz_i32_u32_e32 v14, v6
	v_min_u32_e32 v14, 32, v14
	s_delay_alu instid0(VALU_DEP_1) | instskip(SKIP_1) | instid1(VALU_DEP_2)
	v_subrev_nc_u32_e32 v15, 28, v14
	v_sub_nc_u32_e32 v14, 29, v14
	v_lshlrev_b64 v[15:16], v15, v[6:7]
	s_delay_alu instid0(VALU_DEP_1)
	v_and_b32_e32 v6, 7, v15
; %bb.1586:                             ;   in Loop: Header=BB279_927 Depth=1
	s_or_b32 exec_lo, exec_lo, s15
	v_lshlrev_b32_e32 v15, 16, v88
	s_delay_alu instid0(VALU_DEP_2) | instskip(SKIP_1) | instid1(VALU_DEP_3)
	v_lshlrev_b32_e32 v6, 20, v6
	v_lshl_add_u32 v14, v14, 23, 0x3c000000
	v_and_b32_e32 v15, 0x80000000, v15
	s_delay_alu instid0(VALU_DEP_1)
	v_or3_b32 v15, v6, v15, v14
	v_mov_b32_e32 v14, v7
.LBB279_1587:                           ;   in Loop: Header=BB279_927 Depth=1
	s_or_b32 exec_lo, exec_lo, s10
.LBB279_1588:                           ;   in Loop: Header=BB279_927 Depth=1
	s_delay_alu instid0(SALU_CYCLE_1)
	s_or_b32 exec_lo, exec_lo, s13
.LBB279_1589:                           ;   in Loop: Header=BB279_927 Depth=1
	s_delay_alu instid0(SALU_CYCLE_1) | instskip(SKIP_4) | instid1(VALU_DEP_2)
	s_or_b32 exec_lo, exec_lo, s12
	v_mov_b32_e32 v18, 0
	v_lshrrev_b32_e32 v89, 16, v88
	v_mov_b32_e32 v19, 0
	s_mov_b32 s10, exec_lo
	v_and_b32_e32 v6, 0xff, v89
	s_delay_alu instid0(VALU_DEP_2) | instskip(NEXT) | instid1(VALU_DEP_2)
	v_dual_mov_b32 v16, v18 :: v_dual_mov_b32 v17, v19
	v_cmpx_ne_u16_e32 0, v6
	s_cbranch_execz .LBB279_1597
; %bb.1590:                             ;   in Loop: Header=BB279_927 Depth=1
	v_bfrev_b32_e32 v16, 1
	v_mov_b32_e32 v17, 0
	s_mov_b32 s12, exec_lo
	v_cmpx_ne_u16_e32 0x80, v6
	s_cbranch_execz .LBB279_1596
; %bb.1591:                             ;   in Loop: Header=BB279_927 Depth=1
	v_mov_b32_e32 v16, 0x7f800001
	v_bfe_u32 v90, v88, 16, 7
	v_mov_b32_e32 v17, 0
	s_mov_b32 s13, exec_lo
	s_delay_alu instid0(VALU_DEP_2)
	v_cmpx_ne_u32_e32 0x7f, v90
	s_cbranch_execz .LBB279_1595
; %bb.1592:                             ;   in Loop: Header=BB279_927 Depth=1
	v_and_b32_e32 v6, 7, v89
	v_lshrrev_b32_e32 v16, 3, v90
	s_mov_b32 s15, exec_lo
	v_cmpx_gt_u32_e32 8, v90
; %bb.1593:                             ;   in Loop: Header=BB279_927 Depth=1
	s_delay_alu instid0(VALU_DEP_3) | instskip(NEXT) | instid1(VALU_DEP_1)
	v_clz_i32_u32_e32 v16, v6
	v_min_u32_e32 v16, 32, v16
	s_delay_alu instid0(VALU_DEP_1) | instskip(SKIP_1) | instid1(VALU_DEP_2)
	v_subrev_nc_u32_e32 v17, 28, v16
	v_sub_nc_u32_e32 v16, 29, v16
	v_lshlrev_b64 v[90:91], v17, v[6:7]
	s_delay_alu instid0(VALU_DEP_1)
	v_and_b32_e32 v6, 7, v90
; %bb.1594:                             ;   in Loop: Header=BB279_927 Depth=1
	s_or_b32 exec_lo, exec_lo, s15
	v_lshlrev_b32_e32 v17, 24, v89
	s_delay_alu instid0(VALU_DEP_2) | instskip(SKIP_1) | instid1(VALU_DEP_3)
	v_lshlrev_b32_e32 v6, 20, v6
	v_lshl_add_u32 v16, v16, 23, 0x3c000000
	v_and_b32_e32 v17, 0x80000000, v17
	s_delay_alu instid0(VALU_DEP_1) | instskip(NEXT) | instid1(VALU_DEP_1)
	v_or3_b32 v6, v6, v17, v16
	v_dual_mov_b32 v17, v7 :: v_dual_mov_b32 v16, v6
.LBB279_1595:                           ;   in Loop: Header=BB279_927 Depth=1
	s_or_b32 exec_lo, exec_lo, s13
.LBB279_1596:                           ;   in Loop: Header=BB279_927 Depth=1
	s_delay_alu instid0(SALU_CYCLE_1)
	s_or_b32 exec_lo, exec_lo, s12
.LBB279_1597:                           ;   in Loop: Header=BB279_927 Depth=1
	s_delay_alu instid0(SALU_CYCLE_1) | instskip(NEXT) | instid1(SALU_CYCLE_1)
	s_or_b32 exec_lo, exec_lo, s10
	s_mov_b32 s12, exec_lo
	v_cmpx_lt_u32_e32 0xffffff, v88
	s_cbranch_execz .LBB279_1605
; %bb.1598:                             ;   in Loop: Header=BB279_927 Depth=1
	v_lshrrev_b32_e32 v89, 24, v88
	v_dual_mov_b32 v19, s9 :: v_dual_mov_b32 v18, s8
	s_mov_b32 s13, exec_lo
	s_delay_alu instid0(VALU_DEP_2)
	v_cmpx_ne_u32_e32 0x80, v89
	s_cbranch_execz .LBB279_1604
; %bb.1599:                             ;   in Loop: Header=BB279_927 Depth=1
	s_mov_b32 s10, s8
	v_bfe_u32 v88, v88, 24, 7
	v_dual_mov_b32 v19, s11 :: v_dual_mov_b32 v18, s10
	s_mov_b32 s10, exec_lo
	s_delay_alu instid0(VALU_DEP_2)
	v_cmpx_ne_u32_e32 0x7f, v88
	s_cbranch_execz .LBB279_1603
; %bb.1600:                             ;   in Loop: Header=BB279_927 Depth=1
	v_and_b32_e32 v6, 7, v89
	v_lshrrev_b32_e32 v18, 3, v88
	s_mov_b32 s15, exec_lo
	v_cmpx_gt_u32_e32 8, v88
; %bb.1601:                             ;   in Loop: Header=BB279_927 Depth=1
	s_delay_alu instid0(VALU_DEP_3) | instskip(NEXT) | instid1(VALU_DEP_1)
	v_clz_i32_u32_e32 v18, v6
	v_min_u32_e32 v18, 32, v18
	s_delay_alu instid0(VALU_DEP_1) | instskip(SKIP_1) | instid1(VALU_DEP_2)
	v_subrev_nc_u32_e32 v19, 28, v18
	v_sub_nc_u32_e32 v18, 29, v18
	v_lshlrev_b64 v[90:91], v19, v[6:7]
	s_delay_alu instid0(VALU_DEP_1)
	v_and_b32_e32 v6, 7, v90
; %bb.1602:                             ;   in Loop: Header=BB279_927 Depth=1
	s_or_b32 exec_lo, exec_lo, s15
	v_lshlrev_b32_e32 v19, 24, v89
	s_delay_alu instid0(VALU_DEP_2) | instskip(SKIP_1) | instid1(VALU_DEP_3)
	v_lshlrev_b32_e32 v6, 20, v6
	v_lshl_add_u32 v18, v18, 23, 0x3c000000
	v_and_b32_e32 v19, 0x80000000, v19
	s_delay_alu instid0(VALU_DEP_1)
	v_or3_b32 v19, v6, v19, v18
	v_mov_b32_e32 v18, v7
.LBB279_1603:                           ;   in Loop: Header=BB279_927 Depth=1
	s_or_b32 exec_lo, exec_lo, s10
.LBB279_1604:                           ;   in Loop: Header=BB279_927 Depth=1
	s_delay_alu instid0(SALU_CYCLE_1)
	s_or_b32 exec_lo, exec_lo, s13
.LBB279_1605:                           ;   in Loop: Header=BB279_927 Depth=1
	s_delay_alu instid0(SALU_CYCLE_1) | instskip(SKIP_4) | instid1(VALU_DEP_4)
	s_or_b32 exec_lo, exec_lo, s12
	v_or_b32_e32 v5, v15, v5
	v_or_b32_e32 v4, v14, v4
	;; [unrolled: 1-line block ×4, first 2 shown]
	v_mul_f32_e32 v91, v80, v5
	s_delay_alu instid0(VALU_DEP_4) | instskip(NEXT) | instid1(VALU_DEP_4)
	v_mul_f32_e32 v90, v68, v4
	v_mul_f32_e32 v88, v80, v6
	s_delay_alu instid0(VALU_DEP_4)
	v_mul_f32_e32 v89, v68, v14
	s_and_saveexec_b32 s10, vcc_lo
; %bb.1606:                             ;   in Loop: Header=BB279_927 Depth=1
	v_cmp_lt_i32_e64 s0, v85, v122
	s_delay_alu instid0(VALU_DEP_1) | instskip(SKIP_1) | instid1(VALU_DEP_1)
	v_cndmask_b32_e64 v90, 0, v90, s0
	v_cmp_lt_i32_e64 s0, v87, v122
	v_cndmask_b32_e64 v91, 0, v91, s0
	v_cmp_lt_i32_e64 s0, v86, v122
	s_delay_alu instid0(VALU_DEP_1) | instskip(SKIP_1) | instid1(VALU_DEP_1)
	v_cndmask_b32_e64 v89, 0, v89, s0
	v_cmp_lt_i32_e64 s0, v70, v122
	v_cndmask_b32_e64 v88, 0, v88, s0
; %bb.1607:                             ;   in Loop: Header=BB279_927 Depth=1
	s_or_b32 exec_lo, exec_lo, s10
	flat_load_b32 v92, v[12:13] offset:2560
	v_mov_b32_e32 v14, 0
	v_mov_b32_e32 v15, 0
	s_mov_b32 s10, exec_lo
	s_waitcnt vmcnt(0) lgkmcnt(0)
	v_and_b32_e32 v6, 0xff, v92
	s_delay_alu instid0(VALU_DEP_2) | instskip(NEXT) | instid1(VALU_DEP_2)
	v_dual_mov_b32 v4, v14 :: v_dual_mov_b32 v5, v15
	v_cmpx_ne_u16_e32 0, v6
	s_cbranch_execz .LBB279_1615
; %bb.1608:                             ;   in Loop: Header=BB279_927 Depth=1
	v_bfrev_b32_e32 v4, 1
	v_mov_b32_e32 v5, 0
	s_mov_b32 s12, exec_lo
	v_cmpx_ne_u16_e32 0x80, v6
	s_cbranch_execz .LBB279_1614
; %bb.1609:                             ;   in Loop: Header=BB279_927 Depth=1
	v_mov_b32_e32 v4, 0x7f800001
	v_dual_mov_b32 v5, 0 :: v_dual_and_b32 v16, 0x7f, v92
	s_mov_b32 s13, exec_lo
	s_delay_alu instid0(VALU_DEP_1)
	v_cmpx_ne_u32_e32 0x7f, v16
	s_cbranch_execz .LBB279_1613
; %bb.1610:                             ;   in Loop: Header=BB279_927 Depth=1
	v_and_b32_e32 v6, 7, v92
	v_lshrrev_b32_e32 v4, 3, v16
	s_mov_b32 s15, exec_lo
	v_cmpx_gt_u32_e32 8, v16
; %bb.1611:                             ;   in Loop: Header=BB279_927 Depth=1
	s_delay_alu instid0(VALU_DEP_3) | instskip(NEXT) | instid1(VALU_DEP_1)
	v_clz_i32_u32_e32 v4, v6
	v_min_u32_e32 v4, 32, v4
	s_delay_alu instid0(VALU_DEP_1) | instskip(SKIP_1) | instid1(VALU_DEP_2)
	v_subrev_nc_u32_e32 v5, 28, v4
	v_sub_nc_u32_e32 v4, 29, v4
	v_lshlrev_b64 v[5:6], v5, v[6:7]
	s_delay_alu instid0(VALU_DEP_1)
	v_and_b32_e32 v6, 7, v5
; %bb.1612:                             ;   in Loop: Header=BB279_927 Depth=1
	s_or_b32 exec_lo, exec_lo, s15
	v_lshlrev_b32_e32 v5, 24, v92
	s_delay_alu instid0(VALU_DEP_2) | instskip(SKIP_1) | instid1(VALU_DEP_3)
	v_lshlrev_b32_e32 v6, 20, v6
	v_lshl_add_u32 v4, v4, 23, 0x3c000000
	v_and_b32_e32 v5, 0x80000000, v5
	s_delay_alu instid0(VALU_DEP_1) | instskip(NEXT) | instid1(VALU_DEP_1)
	v_or3_b32 v6, v6, v5, v4
	v_dual_mov_b32 v4, v6 :: v_dual_mov_b32 v5, v7
.LBB279_1613:                           ;   in Loop: Header=BB279_927 Depth=1
	s_or_b32 exec_lo, exec_lo, s13
.LBB279_1614:                           ;   in Loop: Header=BB279_927 Depth=1
	s_delay_alu instid0(SALU_CYCLE_1)
	s_or_b32 exec_lo, exec_lo, s12
.LBB279_1615:                           ;   in Loop: Header=BB279_927 Depth=1
	s_delay_alu instid0(SALU_CYCLE_1) | instskip(SKIP_2) | instid1(VALU_DEP_1)
	s_or_b32 exec_lo, exec_lo, s10
	v_lshrrev_b16 v6, 8, v92
	s_mov_b32 s12, exec_lo
	v_cmpx_ne_u16_e32 0, v6
	s_cbranch_execz .LBB279_1623
; %bb.1616:                             ;   in Loop: Header=BB279_927 Depth=1
	v_dual_mov_b32 v15, s9 :: v_dual_mov_b32 v14, s8
	s_mov_b32 s13, exec_lo
	v_cmpx_ne_u16_e32 0x80, v6
	s_cbranch_execz .LBB279_1622
; %bb.1617:                             ;   in Loop: Header=BB279_927 Depth=1
	s_mov_b32 s10, s8
	v_dual_mov_b32 v15, s11 :: v_dual_and_b32 v6, 0xffff, v6
	v_mov_b32_e32 v14, s10
	s_mov_b32 s10, exec_lo
	s_delay_alu instid0(VALU_DEP_2) | instskip(NEXT) | instid1(VALU_DEP_1)
	v_and_b32_e32 v16, 0x7f, v6
	v_cmpx_ne_u32_e32 0x7f, v16
	s_cbranch_execz .LBB279_1621
; %bb.1618:                             ;   in Loop: Header=BB279_927 Depth=1
	v_and_b32_e32 v6, 7, v6
	v_lshrrev_b32_e32 v14, 3, v16
	s_mov_b32 s15, exec_lo
	v_cmpx_gt_u32_e32 8, v16
; %bb.1619:                             ;   in Loop: Header=BB279_927 Depth=1
	s_delay_alu instid0(VALU_DEP_3) | instskip(NEXT) | instid1(VALU_DEP_1)
	v_clz_i32_u32_e32 v14, v6
	v_min_u32_e32 v14, 32, v14
	s_delay_alu instid0(VALU_DEP_1) | instskip(SKIP_1) | instid1(VALU_DEP_2)
	v_subrev_nc_u32_e32 v15, 28, v14
	v_sub_nc_u32_e32 v14, 29, v14
	v_lshlrev_b64 v[15:16], v15, v[6:7]
	s_delay_alu instid0(VALU_DEP_1)
	v_and_b32_e32 v6, 7, v15
; %bb.1620:                             ;   in Loop: Header=BB279_927 Depth=1
	s_or_b32 exec_lo, exec_lo, s15
	v_lshlrev_b32_e32 v15, 16, v92
	s_delay_alu instid0(VALU_DEP_2) | instskip(SKIP_1) | instid1(VALU_DEP_3)
	v_lshlrev_b32_e32 v6, 20, v6
	v_lshl_add_u32 v14, v14, 23, 0x3c000000
	v_and_b32_e32 v15, 0x80000000, v15
	s_delay_alu instid0(VALU_DEP_1)
	v_or3_b32 v15, v6, v15, v14
	v_mov_b32_e32 v14, v7
.LBB279_1621:                           ;   in Loop: Header=BB279_927 Depth=1
	s_or_b32 exec_lo, exec_lo, s10
.LBB279_1622:                           ;   in Loop: Header=BB279_927 Depth=1
	s_delay_alu instid0(SALU_CYCLE_1)
	s_or_b32 exec_lo, exec_lo, s13
.LBB279_1623:                           ;   in Loop: Header=BB279_927 Depth=1
	s_delay_alu instid0(SALU_CYCLE_1) | instskip(SKIP_4) | instid1(VALU_DEP_2)
	s_or_b32 exec_lo, exec_lo, s12
	v_mov_b32_e32 v18, 0
	v_lshrrev_b32_e32 v93, 16, v92
	v_mov_b32_e32 v19, 0
	s_mov_b32 s10, exec_lo
	v_and_b32_e32 v6, 0xff, v93
	s_delay_alu instid0(VALU_DEP_2) | instskip(NEXT) | instid1(VALU_DEP_2)
	v_dual_mov_b32 v16, v18 :: v_dual_mov_b32 v17, v19
	v_cmpx_ne_u16_e32 0, v6
	s_cbranch_execz .LBB279_1631
; %bb.1624:                             ;   in Loop: Header=BB279_927 Depth=1
	v_bfrev_b32_e32 v16, 1
	v_mov_b32_e32 v17, 0
	s_mov_b32 s12, exec_lo
	v_cmpx_ne_u16_e32 0x80, v6
	s_cbranch_execz .LBB279_1630
; %bb.1625:                             ;   in Loop: Header=BB279_927 Depth=1
	v_mov_b32_e32 v16, 0x7f800001
	v_bfe_u32 v94, v92, 16, 7
	v_mov_b32_e32 v17, 0
	s_mov_b32 s13, exec_lo
	s_delay_alu instid0(VALU_DEP_2)
	v_cmpx_ne_u32_e32 0x7f, v94
	s_cbranch_execz .LBB279_1629
; %bb.1626:                             ;   in Loop: Header=BB279_927 Depth=1
	v_and_b32_e32 v6, 7, v93
	v_lshrrev_b32_e32 v16, 3, v94
	s_mov_b32 s15, exec_lo
	v_cmpx_gt_u32_e32 8, v94
; %bb.1627:                             ;   in Loop: Header=BB279_927 Depth=1
	s_delay_alu instid0(VALU_DEP_3) | instskip(NEXT) | instid1(VALU_DEP_1)
	v_clz_i32_u32_e32 v16, v6
	v_min_u32_e32 v16, 32, v16
	s_delay_alu instid0(VALU_DEP_1) | instskip(SKIP_1) | instid1(VALU_DEP_2)
	v_subrev_nc_u32_e32 v17, 28, v16
	v_sub_nc_u32_e32 v16, 29, v16
	v_lshlrev_b64 v[94:95], v17, v[6:7]
	s_delay_alu instid0(VALU_DEP_1)
	v_and_b32_e32 v6, 7, v94
; %bb.1628:                             ;   in Loop: Header=BB279_927 Depth=1
	s_or_b32 exec_lo, exec_lo, s15
	v_lshlrev_b32_e32 v17, 24, v93
	s_delay_alu instid0(VALU_DEP_2) | instskip(SKIP_1) | instid1(VALU_DEP_3)
	v_lshlrev_b32_e32 v6, 20, v6
	v_lshl_add_u32 v16, v16, 23, 0x3c000000
	v_and_b32_e32 v17, 0x80000000, v17
	s_delay_alu instid0(VALU_DEP_1) | instskip(NEXT) | instid1(VALU_DEP_1)
	v_or3_b32 v6, v6, v17, v16
	v_dual_mov_b32 v17, v7 :: v_dual_mov_b32 v16, v6
.LBB279_1629:                           ;   in Loop: Header=BB279_927 Depth=1
	s_or_b32 exec_lo, exec_lo, s13
.LBB279_1630:                           ;   in Loop: Header=BB279_927 Depth=1
	s_delay_alu instid0(SALU_CYCLE_1)
	s_or_b32 exec_lo, exec_lo, s12
.LBB279_1631:                           ;   in Loop: Header=BB279_927 Depth=1
	s_delay_alu instid0(SALU_CYCLE_1) | instskip(NEXT) | instid1(SALU_CYCLE_1)
	s_or_b32 exec_lo, exec_lo, s10
	s_mov_b32 s12, exec_lo
	v_cmpx_lt_u32_e32 0xffffff, v92
	s_cbranch_execz .LBB279_1639
; %bb.1632:                             ;   in Loop: Header=BB279_927 Depth=1
	v_lshrrev_b32_e32 v93, 24, v92
	v_dual_mov_b32 v19, s9 :: v_dual_mov_b32 v18, s8
	s_mov_b32 s13, exec_lo
	s_delay_alu instid0(VALU_DEP_2)
	v_cmpx_ne_u32_e32 0x80, v93
	s_cbranch_execz .LBB279_1638
; %bb.1633:                             ;   in Loop: Header=BB279_927 Depth=1
	s_mov_b32 s10, s8
	v_bfe_u32 v92, v92, 24, 7
	v_dual_mov_b32 v19, s11 :: v_dual_mov_b32 v18, s10
	s_mov_b32 s10, exec_lo
	s_delay_alu instid0(VALU_DEP_2)
	v_cmpx_ne_u32_e32 0x7f, v92
	s_cbranch_execz .LBB279_1637
; %bb.1634:                             ;   in Loop: Header=BB279_927 Depth=1
	v_and_b32_e32 v6, 7, v93
	v_lshrrev_b32_e32 v18, 3, v92
	s_mov_b32 s15, exec_lo
	v_cmpx_gt_u32_e32 8, v92
; %bb.1635:                             ;   in Loop: Header=BB279_927 Depth=1
	s_delay_alu instid0(VALU_DEP_3) | instskip(NEXT) | instid1(VALU_DEP_1)
	v_clz_i32_u32_e32 v18, v6
	v_min_u32_e32 v18, 32, v18
	s_delay_alu instid0(VALU_DEP_1) | instskip(SKIP_1) | instid1(VALU_DEP_2)
	v_subrev_nc_u32_e32 v19, 28, v18
	v_sub_nc_u32_e32 v18, 29, v18
	v_lshlrev_b64 v[94:95], v19, v[6:7]
	s_delay_alu instid0(VALU_DEP_1)
	v_and_b32_e32 v6, 7, v94
; %bb.1636:                             ;   in Loop: Header=BB279_927 Depth=1
	s_or_b32 exec_lo, exec_lo, s15
	v_lshlrev_b32_e32 v19, 24, v93
	s_delay_alu instid0(VALU_DEP_2) | instskip(SKIP_1) | instid1(VALU_DEP_3)
	v_lshlrev_b32_e32 v6, 20, v6
	v_lshl_add_u32 v18, v18, 23, 0x3c000000
	v_and_b32_e32 v19, 0x80000000, v19
	s_delay_alu instid0(VALU_DEP_1)
	v_or3_b32 v19, v6, v19, v18
	v_mov_b32_e32 v18, v7
.LBB279_1637:                           ;   in Loop: Header=BB279_927 Depth=1
	s_or_b32 exec_lo, exec_lo, s10
.LBB279_1638:                           ;   in Loop: Header=BB279_927 Depth=1
	s_delay_alu instid0(SALU_CYCLE_1)
	s_or_b32 exec_lo, exec_lo, s13
.LBB279_1639:                           ;   in Loop: Header=BB279_927 Depth=1
	s_delay_alu instid0(SALU_CYCLE_1) | instskip(SKIP_4) | instid1(VALU_DEP_4)
	s_or_b32 exec_lo, exec_lo, s12
	v_or_b32_e32 v5, v15, v5
	v_or_b32_e32 v4, v14, v4
	;; [unrolled: 1-line block ×4, first 2 shown]
	v_mul_f32_e32 v95, v80, v5
	s_delay_alu instid0(VALU_DEP_4) | instskip(NEXT) | instid1(VALU_DEP_4)
	v_mul_f32_e32 v94, v68, v4
	v_mul_f32_e32 v92, v80, v6
	s_delay_alu instid0(VALU_DEP_4)
	v_mul_f32_e32 v93, v68, v14
	s_and_saveexec_b32 s10, vcc_lo
; %bb.1640:                             ;   in Loop: Header=BB279_927 Depth=1
	v_cmp_lt_i32_e64 s0, v85, v122
	s_delay_alu instid0(VALU_DEP_1) | instskip(SKIP_1) | instid1(VALU_DEP_1)
	v_cndmask_b32_e64 v94, 0, v94, s0
	v_cmp_lt_i32_e64 s0, v87, v122
	v_cndmask_b32_e64 v95, 0, v95, s0
	v_cmp_lt_i32_e64 s0, v86, v122
	s_delay_alu instid0(VALU_DEP_1) | instskip(SKIP_1) | instid1(VALU_DEP_1)
	v_cndmask_b32_e64 v93, 0, v93, s0
	v_cmp_lt_i32_e64 s0, v70, v122
	v_cndmask_b32_e64 v92, 0, v92, s0
; %bb.1641:                             ;   in Loop: Header=BB279_927 Depth=1
	s_or_b32 exec_lo, exec_lo, s10
	flat_load_b32 v104, v[12:13] offset:2688
	v_mov_b32_e32 v14, 0
	v_mov_b32_e32 v15, 0
	s_mov_b32 s10, exec_lo
	s_waitcnt vmcnt(0) lgkmcnt(0)
	v_and_b32_e32 v6, 0xff, v104
	s_delay_alu instid0(VALU_DEP_2) | instskip(NEXT) | instid1(VALU_DEP_2)
	v_dual_mov_b32 v4, v14 :: v_dual_mov_b32 v5, v15
	v_cmpx_ne_u16_e32 0, v6
	s_cbranch_execz .LBB279_1649
; %bb.1642:                             ;   in Loop: Header=BB279_927 Depth=1
	v_bfrev_b32_e32 v4, 1
	v_mov_b32_e32 v5, 0
	s_mov_b32 s12, exec_lo
	v_cmpx_ne_u16_e32 0x80, v6
	s_cbranch_execz .LBB279_1648
; %bb.1643:                             ;   in Loop: Header=BB279_927 Depth=1
	v_mov_b32_e32 v4, 0x7f800001
	v_dual_mov_b32 v5, 0 :: v_dual_and_b32 v16, 0x7f, v104
	s_mov_b32 s13, exec_lo
	s_delay_alu instid0(VALU_DEP_1)
	v_cmpx_ne_u32_e32 0x7f, v16
	s_cbranch_execz .LBB279_1647
; %bb.1644:                             ;   in Loop: Header=BB279_927 Depth=1
	v_and_b32_e32 v6, 7, v104
	v_lshrrev_b32_e32 v4, 3, v16
	s_mov_b32 s15, exec_lo
	v_cmpx_gt_u32_e32 8, v16
; %bb.1645:                             ;   in Loop: Header=BB279_927 Depth=1
	s_delay_alu instid0(VALU_DEP_3) | instskip(NEXT) | instid1(VALU_DEP_1)
	v_clz_i32_u32_e32 v4, v6
	v_min_u32_e32 v4, 32, v4
	s_delay_alu instid0(VALU_DEP_1) | instskip(SKIP_1) | instid1(VALU_DEP_2)
	v_subrev_nc_u32_e32 v5, 28, v4
	v_sub_nc_u32_e32 v4, 29, v4
	v_lshlrev_b64 v[5:6], v5, v[6:7]
	s_delay_alu instid0(VALU_DEP_1)
	v_and_b32_e32 v6, 7, v5
; %bb.1646:                             ;   in Loop: Header=BB279_927 Depth=1
	s_or_b32 exec_lo, exec_lo, s15
	v_lshlrev_b32_e32 v5, 24, v104
	s_delay_alu instid0(VALU_DEP_2) | instskip(SKIP_1) | instid1(VALU_DEP_3)
	v_lshlrev_b32_e32 v6, 20, v6
	v_lshl_add_u32 v4, v4, 23, 0x3c000000
	v_and_b32_e32 v5, 0x80000000, v5
	s_delay_alu instid0(VALU_DEP_1) | instskip(NEXT) | instid1(VALU_DEP_1)
	v_or3_b32 v6, v6, v5, v4
	v_dual_mov_b32 v4, v6 :: v_dual_mov_b32 v5, v7
.LBB279_1647:                           ;   in Loop: Header=BB279_927 Depth=1
	s_or_b32 exec_lo, exec_lo, s13
.LBB279_1648:                           ;   in Loop: Header=BB279_927 Depth=1
	s_delay_alu instid0(SALU_CYCLE_1)
	s_or_b32 exec_lo, exec_lo, s12
.LBB279_1649:                           ;   in Loop: Header=BB279_927 Depth=1
	s_delay_alu instid0(SALU_CYCLE_1) | instskip(SKIP_2) | instid1(VALU_DEP_1)
	s_or_b32 exec_lo, exec_lo, s10
	v_lshrrev_b16 v6, 8, v104
	s_mov_b32 s12, exec_lo
	v_cmpx_ne_u16_e32 0, v6
	s_cbranch_execz .LBB279_1657
; %bb.1650:                             ;   in Loop: Header=BB279_927 Depth=1
	v_dual_mov_b32 v15, s9 :: v_dual_mov_b32 v14, s8
	s_mov_b32 s13, exec_lo
	v_cmpx_ne_u16_e32 0x80, v6
	s_cbranch_execz .LBB279_1656
; %bb.1651:                             ;   in Loop: Header=BB279_927 Depth=1
	s_mov_b32 s10, s8
	v_dual_mov_b32 v15, s11 :: v_dual_and_b32 v6, 0xffff, v6
	v_mov_b32_e32 v14, s10
	s_mov_b32 s10, exec_lo
	s_delay_alu instid0(VALU_DEP_2) | instskip(NEXT) | instid1(VALU_DEP_1)
	v_and_b32_e32 v16, 0x7f, v6
	v_cmpx_ne_u32_e32 0x7f, v16
	s_cbranch_execz .LBB279_1655
; %bb.1652:                             ;   in Loop: Header=BB279_927 Depth=1
	v_and_b32_e32 v6, 7, v6
	v_lshrrev_b32_e32 v14, 3, v16
	s_mov_b32 s15, exec_lo
	v_cmpx_gt_u32_e32 8, v16
; %bb.1653:                             ;   in Loop: Header=BB279_927 Depth=1
	s_delay_alu instid0(VALU_DEP_3) | instskip(NEXT) | instid1(VALU_DEP_1)
	v_clz_i32_u32_e32 v14, v6
	v_min_u32_e32 v14, 32, v14
	s_delay_alu instid0(VALU_DEP_1) | instskip(SKIP_1) | instid1(VALU_DEP_2)
	v_subrev_nc_u32_e32 v15, 28, v14
	v_sub_nc_u32_e32 v14, 29, v14
	v_lshlrev_b64 v[15:16], v15, v[6:7]
	s_delay_alu instid0(VALU_DEP_1)
	v_and_b32_e32 v6, 7, v15
; %bb.1654:                             ;   in Loop: Header=BB279_927 Depth=1
	s_or_b32 exec_lo, exec_lo, s15
	v_lshlrev_b32_e32 v15, 16, v104
	s_delay_alu instid0(VALU_DEP_2) | instskip(SKIP_1) | instid1(VALU_DEP_3)
	v_lshlrev_b32_e32 v6, 20, v6
	v_lshl_add_u32 v14, v14, 23, 0x3c000000
	v_and_b32_e32 v15, 0x80000000, v15
	s_delay_alu instid0(VALU_DEP_1)
	v_or3_b32 v15, v6, v15, v14
	v_mov_b32_e32 v14, v7
.LBB279_1655:                           ;   in Loop: Header=BB279_927 Depth=1
	s_or_b32 exec_lo, exec_lo, s10
.LBB279_1656:                           ;   in Loop: Header=BB279_927 Depth=1
	s_delay_alu instid0(SALU_CYCLE_1)
	s_or_b32 exec_lo, exec_lo, s13
.LBB279_1657:                           ;   in Loop: Header=BB279_927 Depth=1
	s_delay_alu instid0(SALU_CYCLE_1) | instskip(SKIP_4) | instid1(VALU_DEP_2)
	s_or_b32 exec_lo, exec_lo, s12
	v_mov_b32_e32 v18, 0
	v_lshrrev_b32_e32 v105, 16, v104
	v_mov_b32_e32 v19, 0
	s_mov_b32 s10, exec_lo
	v_and_b32_e32 v6, 0xff, v105
	s_delay_alu instid0(VALU_DEP_2) | instskip(NEXT) | instid1(VALU_DEP_2)
	v_dual_mov_b32 v16, v18 :: v_dual_mov_b32 v17, v19
	v_cmpx_ne_u16_e32 0, v6
	s_cbranch_execz .LBB279_1665
; %bb.1658:                             ;   in Loop: Header=BB279_927 Depth=1
	v_bfrev_b32_e32 v16, 1
	v_mov_b32_e32 v17, 0
	s_mov_b32 s12, exec_lo
	v_cmpx_ne_u16_e32 0x80, v6
	s_cbranch_execz .LBB279_1664
; %bb.1659:                             ;   in Loop: Header=BB279_927 Depth=1
	v_mov_b32_e32 v16, 0x7f800001
	v_bfe_u32 v106, v104, 16, 7
	v_mov_b32_e32 v17, 0
	s_mov_b32 s13, exec_lo
	s_delay_alu instid0(VALU_DEP_2)
	v_cmpx_ne_u32_e32 0x7f, v106
	s_cbranch_execz .LBB279_1663
; %bb.1660:                             ;   in Loop: Header=BB279_927 Depth=1
	v_and_b32_e32 v6, 7, v105
	v_lshrrev_b32_e32 v16, 3, v106
	s_mov_b32 s15, exec_lo
	v_cmpx_gt_u32_e32 8, v106
; %bb.1661:                             ;   in Loop: Header=BB279_927 Depth=1
	s_delay_alu instid0(VALU_DEP_3) | instskip(NEXT) | instid1(VALU_DEP_1)
	v_clz_i32_u32_e32 v16, v6
	v_min_u32_e32 v16, 32, v16
	s_delay_alu instid0(VALU_DEP_1) | instskip(SKIP_1) | instid1(VALU_DEP_2)
	v_subrev_nc_u32_e32 v17, 28, v16
	v_sub_nc_u32_e32 v16, 29, v16
	v_lshlrev_b64 v[106:107], v17, v[6:7]
	s_delay_alu instid0(VALU_DEP_1)
	v_and_b32_e32 v6, 7, v106
; %bb.1662:                             ;   in Loop: Header=BB279_927 Depth=1
	s_or_b32 exec_lo, exec_lo, s15
	v_lshlrev_b32_e32 v17, 24, v105
	s_delay_alu instid0(VALU_DEP_2) | instskip(SKIP_1) | instid1(VALU_DEP_3)
	v_lshlrev_b32_e32 v6, 20, v6
	v_lshl_add_u32 v16, v16, 23, 0x3c000000
	v_and_b32_e32 v17, 0x80000000, v17
	s_delay_alu instid0(VALU_DEP_1) | instskip(NEXT) | instid1(VALU_DEP_1)
	v_or3_b32 v6, v6, v17, v16
	v_dual_mov_b32 v17, v7 :: v_dual_mov_b32 v16, v6
.LBB279_1663:                           ;   in Loop: Header=BB279_927 Depth=1
	s_or_b32 exec_lo, exec_lo, s13
.LBB279_1664:                           ;   in Loop: Header=BB279_927 Depth=1
	s_delay_alu instid0(SALU_CYCLE_1)
	s_or_b32 exec_lo, exec_lo, s12
.LBB279_1665:                           ;   in Loop: Header=BB279_927 Depth=1
	s_delay_alu instid0(SALU_CYCLE_1) | instskip(NEXT) | instid1(SALU_CYCLE_1)
	s_or_b32 exec_lo, exec_lo, s10
	s_mov_b32 s12, exec_lo
	v_cmpx_lt_u32_e32 0xffffff, v104
	s_cbranch_execz .LBB279_1673
; %bb.1666:                             ;   in Loop: Header=BB279_927 Depth=1
	v_lshrrev_b32_e32 v105, 24, v104
	v_dual_mov_b32 v19, s9 :: v_dual_mov_b32 v18, s8
	s_mov_b32 s13, exec_lo
	s_delay_alu instid0(VALU_DEP_2)
	v_cmpx_ne_u32_e32 0x80, v105
	s_cbranch_execz .LBB279_1672
; %bb.1667:                             ;   in Loop: Header=BB279_927 Depth=1
	s_mov_b32 s10, s8
	v_bfe_u32 v104, v104, 24, 7
	v_dual_mov_b32 v19, s11 :: v_dual_mov_b32 v18, s10
	s_mov_b32 s10, exec_lo
	s_delay_alu instid0(VALU_DEP_2)
	v_cmpx_ne_u32_e32 0x7f, v104
	s_cbranch_execz .LBB279_1671
; %bb.1668:                             ;   in Loop: Header=BB279_927 Depth=1
	v_and_b32_e32 v6, 7, v105
	v_lshrrev_b32_e32 v18, 3, v104
	s_mov_b32 s15, exec_lo
	v_cmpx_gt_u32_e32 8, v104
; %bb.1669:                             ;   in Loop: Header=BB279_927 Depth=1
	s_delay_alu instid0(VALU_DEP_3) | instskip(NEXT) | instid1(VALU_DEP_1)
	v_clz_i32_u32_e32 v18, v6
	v_min_u32_e32 v18, 32, v18
	s_delay_alu instid0(VALU_DEP_1) | instskip(SKIP_1) | instid1(VALU_DEP_2)
	v_subrev_nc_u32_e32 v19, 28, v18
	v_sub_nc_u32_e32 v18, 29, v18
	v_lshlrev_b64 v[106:107], v19, v[6:7]
	s_delay_alu instid0(VALU_DEP_1)
	v_and_b32_e32 v6, 7, v106
; %bb.1670:                             ;   in Loop: Header=BB279_927 Depth=1
	s_or_b32 exec_lo, exec_lo, s15
	v_lshlrev_b32_e32 v19, 24, v105
	s_delay_alu instid0(VALU_DEP_2) | instskip(SKIP_1) | instid1(VALU_DEP_3)
	v_lshlrev_b32_e32 v6, 20, v6
	v_lshl_add_u32 v18, v18, 23, 0x3c000000
	v_and_b32_e32 v19, 0x80000000, v19
	s_delay_alu instid0(VALU_DEP_1)
	v_or3_b32 v19, v6, v19, v18
	v_mov_b32_e32 v18, v7
.LBB279_1671:                           ;   in Loop: Header=BB279_927 Depth=1
	s_or_b32 exec_lo, exec_lo, s10
.LBB279_1672:                           ;   in Loop: Header=BB279_927 Depth=1
	s_delay_alu instid0(SALU_CYCLE_1)
	s_or_b32 exec_lo, exec_lo, s13
.LBB279_1673:                           ;   in Loop: Header=BB279_927 Depth=1
	s_delay_alu instid0(SALU_CYCLE_1) | instskip(SKIP_4) | instid1(VALU_DEP_4)
	s_or_b32 exec_lo, exec_lo, s12
	v_or_b32_e32 v5, v15, v5
	v_or_b32_e32 v4, v14, v4
	;; [unrolled: 1-line block ×4, first 2 shown]
	v_mul_f32_e32 v107, v80, v5
	s_delay_alu instid0(VALU_DEP_4) | instskip(NEXT) | instid1(VALU_DEP_4)
	v_mul_f32_e32 v106, v68, v4
	v_mul_f32_e32 v104, v80, v6
	s_delay_alu instid0(VALU_DEP_4)
	v_mul_f32_e32 v105, v68, v14
	s_and_saveexec_b32 s10, vcc_lo
; %bb.1674:                             ;   in Loop: Header=BB279_927 Depth=1
	v_cmp_lt_i32_e64 s0, v85, v122
	s_delay_alu instid0(VALU_DEP_1) | instskip(SKIP_1) | instid1(VALU_DEP_1)
	v_cndmask_b32_e64 v106, 0, v106, s0
	v_cmp_lt_i32_e64 s0, v87, v122
	v_cndmask_b32_e64 v107, 0, v107, s0
	v_cmp_lt_i32_e64 s0, v86, v122
	s_delay_alu instid0(VALU_DEP_1) | instskip(SKIP_1) | instid1(VALU_DEP_1)
	v_cndmask_b32_e64 v105, 0, v105, s0
	v_cmp_lt_i32_e64 s0, v70, v122
	v_cndmask_b32_e64 v104, 0, v104, s0
; %bb.1675:                             ;   in Loop: Header=BB279_927 Depth=1
	s_or_b32 exec_lo, exec_lo, s10
	flat_load_b32 v108, v[12:13] offset:2816
	v_mov_b32_e32 v14, 0
	v_mov_b32_e32 v15, 0
	s_mov_b32 s10, exec_lo
	s_waitcnt vmcnt(0) lgkmcnt(0)
	v_and_b32_e32 v6, 0xff, v108
	s_delay_alu instid0(VALU_DEP_2) | instskip(NEXT) | instid1(VALU_DEP_2)
	v_dual_mov_b32 v4, v14 :: v_dual_mov_b32 v5, v15
	v_cmpx_ne_u16_e32 0, v6
	s_cbranch_execz .LBB279_1683
; %bb.1676:                             ;   in Loop: Header=BB279_927 Depth=1
	v_bfrev_b32_e32 v4, 1
	v_mov_b32_e32 v5, 0
	s_mov_b32 s12, exec_lo
	v_cmpx_ne_u16_e32 0x80, v6
	s_cbranch_execz .LBB279_1682
; %bb.1677:                             ;   in Loop: Header=BB279_927 Depth=1
	v_mov_b32_e32 v4, 0x7f800001
	v_dual_mov_b32 v5, 0 :: v_dual_and_b32 v16, 0x7f, v108
	s_mov_b32 s13, exec_lo
	s_delay_alu instid0(VALU_DEP_1)
	v_cmpx_ne_u32_e32 0x7f, v16
	s_cbranch_execz .LBB279_1681
; %bb.1678:                             ;   in Loop: Header=BB279_927 Depth=1
	v_and_b32_e32 v6, 7, v108
	v_lshrrev_b32_e32 v4, 3, v16
	s_mov_b32 s15, exec_lo
	v_cmpx_gt_u32_e32 8, v16
; %bb.1679:                             ;   in Loop: Header=BB279_927 Depth=1
	s_delay_alu instid0(VALU_DEP_3) | instskip(NEXT) | instid1(VALU_DEP_1)
	v_clz_i32_u32_e32 v4, v6
	v_min_u32_e32 v4, 32, v4
	s_delay_alu instid0(VALU_DEP_1) | instskip(SKIP_1) | instid1(VALU_DEP_2)
	v_subrev_nc_u32_e32 v5, 28, v4
	v_sub_nc_u32_e32 v4, 29, v4
	v_lshlrev_b64 v[5:6], v5, v[6:7]
	s_delay_alu instid0(VALU_DEP_1)
	v_and_b32_e32 v6, 7, v5
; %bb.1680:                             ;   in Loop: Header=BB279_927 Depth=1
	s_or_b32 exec_lo, exec_lo, s15
	v_lshlrev_b32_e32 v5, 24, v108
	s_delay_alu instid0(VALU_DEP_2) | instskip(SKIP_1) | instid1(VALU_DEP_3)
	v_lshlrev_b32_e32 v6, 20, v6
	v_lshl_add_u32 v4, v4, 23, 0x3c000000
	v_and_b32_e32 v5, 0x80000000, v5
	s_delay_alu instid0(VALU_DEP_1) | instskip(NEXT) | instid1(VALU_DEP_1)
	v_or3_b32 v6, v6, v5, v4
	v_dual_mov_b32 v4, v6 :: v_dual_mov_b32 v5, v7
.LBB279_1681:                           ;   in Loop: Header=BB279_927 Depth=1
	s_or_b32 exec_lo, exec_lo, s13
.LBB279_1682:                           ;   in Loop: Header=BB279_927 Depth=1
	s_delay_alu instid0(SALU_CYCLE_1)
	s_or_b32 exec_lo, exec_lo, s12
.LBB279_1683:                           ;   in Loop: Header=BB279_927 Depth=1
	s_delay_alu instid0(SALU_CYCLE_1) | instskip(SKIP_2) | instid1(VALU_DEP_1)
	s_or_b32 exec_lo, exec_lo, s10
	v_lshrrev_b16 v6, 8, v108
	s_mov_b32 s12, exec_lo
	v_cmpx_ne_u16_e32 0, v6
	s_cbranch_execz .LBB279_1691
; %bb.1684:                             ;   in Loop: Header=BB279_927 Depth=1
	v_dual_mov_b32 v15, s9 :: v_dual_mov_b32 v14, s8
	s_mov_b32 s13, exec_lo
	v_cmpx_ne_u16_e32 0x80, v6
	s_cbranch_execz .LBB279_1690
; %bb.1685:                             ;   in Loop: Header=BB279_927 Depth=1
	s_mov_b32 s10, s8
	v_dual_mov_b32 v15, s11 :: v_dual_and_b32 v6, 0xffff, v6
	v_mov_b32_e32 v14, s10
	s_mov_b32 s10, exec_lo
	s_delay_alu instid0(VALU_DEP_2) | instskip(NEXT) | instid1(VALU_DEP_1)
	v_and_b32_e32 v16, 0x7f, v6
	v_cmpx_ne_u32_e32 0x7f, v16
	s_cbranch_execz .LBB279_1689
; %bb.1686:                             ;   in Loop: Header=BB279_927 Depth=1
	v_and_b32_e32 v6, 7, v6
	v_lshrrev_b32_e32 v14, 3, v16
	s_mov_b32 s15, exec_lo
	v_cmpx_gt_u32_e32 8, v16
; %bb.1687:                             ;   in Loop: Header=BB279_927 Depth=1
	s_delay_alu instid0(VALU_DEP_3) | instskip(NEXT) | instid1(VALU_DEP_1)
	v_clz_i32_u32_e32 v14, v6
	v_min_u32_e32 v14, 32, v14
	s_delay_alu instid0(VALU_DEP_1) | instskip(SKIP_1) | instid1(VALU_DEP_2)
	v_subrev_nc_u32_e32 v15, 28, v14
	v_sub_nc_u32_e32 v14, 29, v14
	v_lshlrev_b64 v[15:16], v15, v[6:7]
	s_delay_alu instid0(VALU_DEP_1)
	v_and_b32_e32 v6, 7, v15
; %bb.1688:                             ;   in Loop: Header=BB279_927 Depth=1
	s_or_b32 exec_lo, exec_lo, s15
	v_lshlrev_b32_e32 v15, 16, v108
	s_delay_alu instid0(VALU_DEP_2) | instskip(SKIP_1) | instid1(VALU_DEP_3)
	v_lshlrev_b32_e32 v6, 20, v6
	v_lshl_add_u32 v14, v14, 23, 0x3c000000
	v_and_b32_e32 v15, 0x80000000, v15
	s_delay_alu instid0(VALU_DEP_1)
	v_or3_b32 v15, v6, v15, v14
	v_mov_b32_e32 v14, v7
.LBB279_1689:                           ;   in Loop: Header=BB279_927 Depth=1
	s_or_b32 exec_lo, exec_lo, s10
.LBB279_1690:                           ;   in Loop: Header=BB279_927 Depth=1
	s_delay_alu instid0(SALU_CYCLE_1)
	s_or_b32 exec_lo, exec_lo, s13
.LBB279_1691:                           ;   in Loop: Header=BB279_927 Depth=1
	s_delay_alu instid0(SALU_CYCLE_1) | instskip(SKIP_4) | instid1(VALU_DEP_2)
	s_or_b32 exec_lo, exec_lo, s12
	v_mov_b32_e32 v18, 0
	v_lshrrev_b32_e32 v109, 16, v108
	v_mov_b32_e32 v19, 0
	s_mov_b32 s10, exec_lo
	v_and_b32_e32 v6, 0xff, v109
	s_delay_alu instid0(VALU_DEP_2) | instskip(NEXT) | instid1(VALU_DEP_2)
	v_dual_mov_b32 v16, v18 :: v_dual_mov_b32 v17, v19
	v_cmpx_ne_u16_e32 0, v6
	s_cbranch_execz .LBB279_1699
; %bb.1692:                             ;   in Loop: Header=BB279_927 Depth=1
	v_bfrev_b32_e32 v16, 1
	v_mov_b32_e32 v17, 0
	s_mov_b32 s12, exec_lo
	v_cmpx_ne_u16_e32 0x80, v6
	s_cbranch_execz .LBB279_1698
; %bb.1693:                             ;   in Loop: Header=BB279_927 Depth=1
	v_mov_b32_e32 v16, 0x7f800001
	v_bfe_u32 v110, v108, 16, 7
	v_mov_b32_e32 v17, 0
	s_mov_b32 s13, exec_lo
	s_delay_alu instid0(VALU_DEP_2)
	v_cmpx_ne_u32_e32 0x7f, v110
	s_cbranch_execz .LBB279_1697
; %bb.1694:                             ;   in Loop: Header=BB279_927 Depth=1
	v_and_b32_e32 v6, 7, v109
	v_lshrrev_b32_e32 v16, 3, v110
	s_mov_b32 s15, exec_lo
	v_cmpx_gt_u32_e32 8, v110
; %bb.1695:                             ;   in Loop: Header=BB279_927 Depth=1
	s_delay_alu instid0(VALU_DEP_3) | instskip(NEXT) | instid1(VALU_DEP_1)
	v_clz_i32_u32_e32 v16, v6
	v_min_u32_e32 v16, 32, v16
	s_delay_alu instid0(VALU_DEP_1) | instskip(SKIP_1) | instid1(VALU_DEP_2)
	v_subrev_nc_u32_e32 v17, 28, v16
	v_sub_nc_u32_e32 v16, 29, v16
	v_lshlrev_b64 v[110:111], v17, v[6:7]
	s_delay_alu instid0(VALU_DEP_1)
	v_and_b32_e32 v6, 7, v110
; %bb.1696:                             ;   in Loop: Header=BB279_927 Depth=1
	s_or_b32 exec_lo, exec_lo, s15
	v_lshlrev_b32_e32 v17, 24, v109
	s_delay_alu instid0(VALU_DEP_2) | instskip(SKIP_1) | instid1(VALU_DEP_3)
	v_lshlrev_b32_e32 v6, 20, v6
	v_lshl_add_u32 v16, v16, 23, 0x3c000000
	v_and_b32_e32 v17, 0x80000000, v17
	s_delay_alu instid0(VALU_DEP_1) | instskip(NEXT) | instid1(VALU_DEP_1)
	v_or3_b32 v6, v6, v17, v16
	v_dual_mov_b32 v17, v7 :: v_dual_mov_b32 v16, v6
.LBB279_1697:                           ;   in Loop: Header=BB279_927 Depth=1
	s_or_b32 exec_lo, exec_lo, s13
.LBB279_1698:                           ;   in Loop: Header=BB279_927 Depth=1
	s_delay_alu instid0(SALU_CYCLE_1)
	s_or_b32 exec_lo, exec_lo, s12
.LBB279_1699:                           ;   in Loop: Header=BB279_927 Depth=1
	s_delay_alu instid0(SALU_CYCLE_1) | instskip(NEXT) | instid1(SALU_CYCLE_1)
	s_or_b32 exec_lo, exec_lo, s10
	s_mov_b32 s12, exec_lo
	v_cmpx_lt_u32_e32 0xffffff, v108
	s_cbranch_execz .LBB279_1707
; %bb.1700:                             ;   in Loop: Header=BB279_927 Depth=1
	v_lshrrev_b32_e32 v109, 24, v108
	v_dual_mov_b32 v19, s9 :: v_dual_mov_b32 v18, s8
	s_mov_b32 s13, exec_lo
	s_delay_alu instid0(VALU_DEP_2)
	v_cmpx_ne_u32_e32 0x80, v109
	s_cbranch_execz .LBB279_1706
; %bb.1701:                             ;   in Loop: Header=BB279_927 Depth=1
	s_mov_b32 s10, s8
	v_bfe_u32 v108, v108, 24, 7
	v_dual_mov_b32 v19, s11 :: v_dual_mov_b32 v18, s10
	s_mov_b32 s10, exec_lo
	s_delay_alu instid0(VALU_DEP_2)
	v_cmpx_ne_u32_e32 0x7f, v108
	s_cbranch_execz .LBB279_1705
; %bb.1702:                             ;   in Loop: Header=BB279_927 Depth=1
	v_and_b32_e32 v6, 7, v109
	v_lshrrev_b32_e32 v18, 3, v108
	s_mov_b32 s15, exec_lo
	v_cmpx_gt_u32_e32 8, v108
; %bb.1703:                             ;   in Loop: Header=BB279_927 Depth=1
	s_delay_alu instid0(VALU_DEP_3) | instskip(NEXT) | instid1(VALU_DEP_1)
	v_clz_i32_u32_e32 v18, v6
	v_min_u32_e32 v18, 32, v18
	s_delay_alu instid0(VALU_DEP_1) | instskip(SKIP_1) | instid1(VALU_DEP_2)
	v_subrev_nc_u32_e32 v19, 28, v18
	v_sub_nc_u32_e32 v18, 29, v18
	v_lshlrev_b64 v[110:111], v19, v[6:7]
	s_delay_alu instid0(VALU_DEP_1)
	v_and_b32_e32 v6, 7, v110
; %bb.1704:                             ;   in Loop: Header=BB279_927 Depth=1
	s_or_b32 exec_lo, exec_lo, s15
	v_lshlrev_b32_e32 v19, 24, v109
	s_delay_alu instid0(VALU_DEP_2) | instskip(SKIP_1) | instid1(VALU_DEP_3)
	v_lshlrev_b32_e32 v6, 20, v6
	v_lshl_add_u32 v18, v18, 23, 0x3c000000
	v_and_b32_e32 v19, 0x80000000, v19
	s_delay_alu instid0(VALU_DEP_1)
	v_or3_b32 v19, v6, v19, v18
	v_mov_b32_e32 v18, v7
.LBB279_1705:                           ;   in Loop: Header=BB279_927 Depth=1
	s_or_b32 exec_lo, exec_lo, s10
.LBB279_1706:                           ;   in Loop: Header=BB279_927 Depth=1
	s_delay_alu instid0(SALU_CYCLE_1)
	s_or_b32 exec_lo, exec_lo, s13
.LBB279_1707:                           ;   in Loop: Header=BB279_927 Depth=1
	s_delay_alu instid0(SALU_CYCLE_1) | instskip(SKIP_4) | instid1(VALU_DEP_4)
	s_or_b32 exec_lo, exec_lo, s12
	v_or_b32_e32 v5, v15, v5
	v_or_b32_e32 v4, v14, v4
	;; [unrolled: 1-line block ×4, first 2 shown]
	v_mul_f32_e32 v111, v80, v5
	s_delay_alu instid0(VALU_DEP_4) | instskip(NEXT) | instid1(VALU_DEP_4)
	v_mul_f32_e32 v110, v68, v4
	v_mul_f32_e32 v108, v80, v6
	s_delay_alu instid0(VALU_DEP_4)
	v_mul_f32_e32 v109, v68, v14
	s_and_saveexec_b32 s10, vcc_lo
; %bb.1708:                             ;   in Loop: Header=BB279_927 Depth=1
	v_cmp_lt_i32_e64 s0, v85, v122
	s_delay_alu instid0(VALU_DEP_1) | instskip(SKIP_1) | instid1(VALU_DEP_1)
	v_cndmask_b32_e64 v110, 0, v110, s0
	v_cmp_lt_i32_e64 s0, v87, v122
	v_cndmask_b32_e64 v111, 0, v111, s0
	v_cmp_lt_i32_e64 s0, v86, v122
	s_delay_alu instid0(VALU_DEP_1) | instskip(SKIP_1) | instid1(VALU_DEP_1)
	v_cndmask_b32_e64 v109, 0, v109, s0
	v_cmp_lt_i32_e64 s0, v70, v122
	v_cndmask_b32_e64 v108, 0, v108, s0
; %bb.1709:                             ;   in Loop: Header=BB279_927 Depth=1
	s_or_b32 exec_lo, exec_lo, s10
	flat_load_b32 v120, v[12:13] offset:2944
	v_mov_b32_e32 v14, 0
	v_mov_b32_e32 v15, 0
	s_mov_b32 s10, exec_lo
	s_waitcnt vmcnt(0) lgkmcnt(0)
	v_and_b32_e32 v6, 0xff, v120
	s_delay_alu instid0(VALU_DEP_2) | instskip(NEXT) | instid1(VALU_DEP_2)
	v_dual_mov_b32 v4, v14 :: v_dual_mov_b32 v5, v15
	v_cmpx_ne_u16_e32 0, v6
	s_cbranch_execz .LBB279_1717
; %bb.1710:                             ;   in Loop: Header=BB279_927 Depth=1
	v_bfrev_b32_e32 v4, 1
	v_mov_b32_e32 v5, 0
	s_mov_b32 s12, exec_lo
	v_cmpx_ne_u16_e32 0x80, v6
	s_cbranch_execz .LBB279_1716
; %bb.1711:                             ;   in Loop: Header=BB279_927 Depth=1
	v_mov_b32_e32 v4, 0x7f800001
	v_dual_mov_b32 v5, 0 :: v_dual_and_b32 v16, 0x7f, v120
	s_mov_b32 s13, exec_lo
	s_delay_alu instid0(VALU_DEP_1)
	v_cmpx_ne_u32_e32 0x7f, v16
	s_cbranch_execz .LBB279_1715
; %bb.1712:                             ;   in Loop: Header=BB279_927 Depth=1
	v_and_b32_e32 v6, 7, v120
	v_lshrrev_b32_e32 v4, 3, v16
	s_mov_b32 s15, exec_lo
	v_cmpx_gt_u32_e32 8, v16
; %bb.1713:                             ;   in Loop: Header=BB279_927 Depth=1
	s_delay_alu instid0(VALU_DEP_3) | instskip(NEXT) | instid1(VALU_DEP_1)
	v_clz_i32_u32_e32 v4, v6
	v_min_u32_e32 v4, 32, v4
	s_delay_alu instid0(VALU_DEP_1) | instskip(SKIP_1) | instid1(VALU_DEP_2)
	v_subrev_nc_u32_e32 v5, 28, v4
	v_sub_nc_u32_e32 v4, 29, v4
	v_lshlrev_b64 v[5:6], v5, v[6:7]
	s_delay_alu instid0(VALU_DEP_1)
	v_and_b32_e32 v6, 7, v5
; %bb.1714:                             ;   in Loop: Header=BB279_927 Depth=1
	s_or_b32 exec_lo, exec_lo, s15
	v_lshlrev_b32_e32 v5, 24, v120
	s_delay_alu instid0(VALU_DEP_2) | instskip(SKIP_1) | instid1(VALU_DEP_3)
	v_lshlrev_b32_e32 v6, 20, v6
	v_lshl_add_u32 v4, v4, 23, 0x3c000000
	v_and_b32_e32 v5, 0x80000000, v5
	s_delay_alu instid0(VALU_DEP_1) | instskip(NEXT) | instid1(VALU_DEP_1)
	v_or3_b32 v6, v6, v5, v4
	v_dual_mov_b32 v4, v6 :: v_dual_mov_b32 v5, v7
.LBB279_1715:                           ;   in Loop: Header=BB279_927 Depth=1
	s_or_b32 exec_lo, exec_lo, s13
.LBB279_1716:                           ;   in Loop: Header=BB279_927 Depth=1
	s_delay_alu instid0(SALU_CYCLE_1)
	s_or_b32 exec_lo, exec_lo, s12
.LBB279_1717:                           ;   in Loop: Header=BB279_927 Depth=1
	s_delay_alu instid0(SALU_CYCLE_1) | instskip(SKIP_2) | instid1(VALU_DEP_1)
	s_or_b32 exec_lo, exec_lo, s10
	v_lshrrev_b16 v6, 8, v120
	s_mov_b32 s12, exec_lo
	v_cmpx_ne_u16_e32 0, v6
	s_cbranch_execz .LBB279_1725
; %bb.1718:                             ;   in Loop: Header=BB279_927 Depth=1
	v_dual_mov_b32 v15, s9 :: v_dual_mov_b32 v14, s8
	s_mov_b32 s13, exec_lo
	v_cmpx_ne_u16_e32 0x80, v6
	s_cbranch_execz .LBB279_1724
; %bb.1719:                             ;   in Loop: Header=BB279_927 Depth=1
	s_mov_b32 s10, s8
	v_dual_mov_b32 v15, s11 :: v_dual_and_b32 v6, 0xffff, v6
	v_mov_b32_e32 v14, s10
	s_mov_b32 s10, exec_lo
	s_delay_alu instid0(VALU_DEP_2) | instskip(NEXT) | instid1(VALU_DEP_1)
	v_and_b32_e32 v16, 0x7f, v6
	v_cmpx_ne_u32_e32 0x7f, v16
	s_cbranch_execz .LBB279_1723
; %bb.1720:                             ;   in Loop: Header=BB279_927 Depth=1
	v_and_b32_e32 v6, 7, v6
	v_lshrrev_b32_e32 v14, 3, v16
	s_mov_b32 s15, exec_lo
	v_cmpx_gt_u32_e32 8, v16
; %bb.1721:                             ;   in Loop: Header=BB279_927 Depth=1
	s_delay_alu instid0(VALU_DEP_3) | instskip(NEXT) | instid1(VALU_DEP_1)
	v_clz_i32_u32_e32 v14, v6
	v_min_u32_e32 v14, 32, v14
	s_delay_alu instid0(VALU_DEP_1) | instskip(SKIP_1) | instid1(VALU_DEP_2)
	v_subrev_nc_u32_e32 v15, 28, v14
	v_sub_nc_u32_e32 v14, 29, v14
	v_lshlrev_b64 v[15:16], v15, v[6:7]
	s_delay_alu instid0(VALU_DEP_1)
	v_and_b32_e32 v6, 7, v15
; %bb.1722:                             ;   in Loop: Header=BB279_927 Depth=1
	s_or_b32 exec_lo, exec_lo, s15
	v_lshlrev_b32_e32 v15, 16, v120
	s_delay_alu instid0(VALU_DEP_2) | instskip(SKIP_1) | instid1(VALU_DEP_3)
	v_lshlrev_b32_e32 v6, 20, v6
	v_lshl_add_u32 v14, v14, 23, 0x3c000000
	v_and_b32_e32 v15, 0x80000000, v15
	s_delay_alu instid0(VALU_DEP_1)
	v_or3_b32 v15, v6, v15, v14
	v_mov_b32_e32 v14, v7
.LBB279_1723:                           ;   in Loop: Header=BB279_927 Depth=1
	s_or_b32 exec_lo, exec_lo, s10
.LBB279_1724:                           ;   in Loop: Header=BB279_927 Depth=1
	s_delay_alu instid0(SALU_CYCLE_1)
	s_or_b32 exec_lo, exec_lo, s13
.LBB279_1725:                           ;   in Loop: Header=BB279_927 Depth=1
	s_delay_alu instid0(SALU_CYCLE_1) | instskip(SKIP_4) | instid1(VALU_DEP_2)
	s_or_b32 exec_lo, exec_lo, s12
	v_mov_b32_e32 v18, 0
	v_lshrrev_b32_e32 v121, 16, v120
	v_mov_b32_e32 v19, 0
	s_mov_b32 s10, exec_lo
	v_and_b32_e32 v6, 0xff, v121
	s_delay_alu instid0(VALU_DEP_2) | instskip(NEXT) | instid1(VALU_DEP_2)
	v_dual_mov_b32 v16, v18 :: v_dual_mov_b32 v17, v19
	v_cmpx_ne_u16_e32 0, v6
	s_cbranch_execz .LBB279_1733
; %bb.1726:                             ;   in Loop: Header=BB279_927 Depth=1
	v_bfrev_b32_e32 v16, 1
	v_mov_b32_e32 v17, 0
	s_mov_b32 s12, exec_lo
	v_cmpx_ne_u16_e32 0x80, v6
	s_cbranch_execz .LBB279_1732
; %bb.1727:                             ;   in Loop: Header=BB279_927 Depth=1
	v_mov_b32_e32 v16, 0x7f800001
	v_bfe_u32 v123, v120, 16, 7
	v_mov_b32_e32 v17, 0
	s_mov_b32 s13, exec_lo
	s_delay_alu instid0(VALU_DEP_2)
	v_cmpx_ne_u32_e32 0x7f, v123
	s_cbranch_execz .LBB279_1731
; %bb.1728:                             ;   in Loop: Header=BB279_927 Depth=1
	v_and_b32_e32 v6, 7, v121
	v_lshrrev_b32_e32 v16, 3, v123
	s_mov_b32 s15, exec_lo
	v_cmpx_gt_u32_e32 8, v123
; %bb.1729:                             ;   in Loop: Header=BB279_927 Depth=1
	s_delay_alu instid0(VALU_DEP_3) | instskip(NEXT) | instid1(VALU_DEP_1)
	v_clz_i32_u32_e32 v16, v6
	v_min_u32_e32 v16, 32, v16
	s_delay_alu instid0(VALU_DEP_1) | instskip(SKIP_1) | instid1(VALU_DEP_2)
	v_subrev_nc_u32_e32 v17, 28, v16
	v_sub_nc_u32_e32 v16, 29, v16
	v_lshlrev_b64 v[123:124], v17, v[6:7]
	s_delay_alu instid0(VALU_DEP_1)
	v_and_b32_e32 v6, 7, v123
; %bb.1730:                             ;   in Loop: Header=BB279_927 Depth=1
	s_or_b32 exec_lo, exec_lo, s15
	v_lshlrev_b32_e32 v17, 24, v121
	s_delay_alu instid0(VALU_DEP_2) | instskip(SKIP_1) | instid1(VALU_DEP_3)
	v_lshlrev_b32_e32 v6, 20, v6
	v_lshl_add_u32 v16, v16, 23, 0x3c000000
	v_and_b32_e32 v17, 0x80000000, v17
	s_delay_alu instid0(VALU_DEP_1) | instskip(NEXT) | instid1(VALU_DEP_1)
	v_or3_b32 v6, v6, v17, v16
	v_dual_mov_b32 v17, v7 :: v_dual_mov_b32 v16, v6
.LBB279_1731:                           ;   in Loop: Header=BB279_927 Depth=1
	s_or_b32 exec_lo, exec_lo, s13
.LBB279_1732:                           ;   in Loop: Header=BB279_927 Depth=1
	s_delay_alu instid0(SALU_CYCLE_1)
	s_or_b32 exec_lo, exec_lo, s12
.LBB279_1733:                           ;   in Loop: Header=BB279_927 Depth=1
	s_delay_alu instid0(SALU_CYCLE_1) | instskip(NEXT) | instid1(SALU_CYCLE_1)
	s_or_b32 exec_lo, exec_lo, s10
	s_mov_b32 s12, exec_lo
	v_cmpx_lt_u32_e32 0xffffff, v120
	s_cbranch_execz .LBB279_1741
; %bb.1734:                             ;   in Loop: Header=BB279_927 Depth=1
	v_lshrrev_b32_e32 v121, 24, v120
	v_dual_mov_b32 v19, s9 :: v_dual_mov_b32 v18, s8
	s_mov_b32 s13, exec_lo
	s_delay_alu instid0(VALU_DEP_2)
	v_cmpx_ne_u32_e32 0x80, v121
	s_cbranch_execz .LBB279_1740
; %bb.1735:                             ;   in Loop: Header=BB279_927 Depth=1
	s_mov_b32 s10, s8
	v_bfe_u32 v120, v120, 24, 7
	v_dual_mov_b32 v19, s11 :: v_dual_mov_b32 v18, s10
	s_mov_b32 s10, exec_lo
	s_delay_alu instid0(VALU_DEP_2)
	v_cmpx_ne_u32_e32 0x7f, v120
	s_cbranch_execz .LBB279_1739
; %bb.1736:                             ;   in Loop: Header=BB279_927 Depth=1
	v_and_b32_e32 v6, 7, v121
	v_lshrrev_b32_e32 v18, 3, v120
	s_mov_b32 s15, exec_lo
	v_cmpx_gt_u32_e32 8, v120
; %bb.1737:                             ;   in Loop: Header=BB279_927 Depth=1
	s_delay_alu instid0(VALU_DEP_3) | instskip(NEXT) | instid1(VALU_DEP_1)
	v_clz_i32_u32_e32 v18, v6
	v_min_u32_e32 v18, 32, v18
	s_delay_alu instid0(VALU_DEP_1) | instskip(SKIP_1) | instid1(VALU_DEP_2)
	v_subrev_nc_u32_e32 v19, 28, v18
	v_sub_nc_u32_e32 v18, 29, v18
	v_lshlrev_b64 v[123:124], v19, v[6:7]
	s_delay_alu instid0(VALU_DEP_1)
	v_and_b32_e32 v6, 7, v123
; %bb.1738:                             ;   in Loop: Header=BB279_927 Depth=1
	s_or_b32 exec_lo, exec_lo, s15
	v_lshlrev_b32_e32 v19, 24, v121
	s_delay_alu instid0(VALU_DEP_2) | instskip(SKIP_1) | instid1(VALU_DEP_3)
	v_lshlrev_b32_e32 v6, 20, v6
	v_lshl_add_u32 v18, v18, 23, 0x3c000000
	v_and_b32_e32 v19, 0x80000000, v19
	s_delay_alu instid0(VALU_DEP_1)
	v_or3_b32 v19, v6, v19, v18
	v_mov_b32_e32 v18, v7
.LBB279_1739:                           ;   in Loop: Header=BB279_927 Depth=1
	s_or_b32 exec_lo, exec_lo, s10
.LBB279_1740:                           ;   in Loop: Header=BB279_927 Depth=1
	s_delay_alu instid0(SALU_CYCLE_1)
	s_or_b32 exec_lo, exec_lo, s13
.LBB279_1741:                           ;   in Loop: Header=BB279_927 Depth=1
	s_delay_alu instid0(SALU_CYCLE_1) | instskip(SKIP_4) | instid1(VALU_DEP_4)
	s_or_b32 exec_lo, exec_lo, s12
	v_or_b32_e32 v5, v15, v5
	v_or_b32_e32 v4, v14, v4
	;; [unrolled: 1-line block ×4, first 2 shown]
	v_mul_f32_e32 v124, v80, v5
	s_delay_alu instid0(VALU_DEP_4) | instskip(NEXT) | instid1(VALU_DEP_4)
	v_mul_f32_e32 v123, v68, v4
	v_mul_f32_e32 v120, v80, v6
	s_delay_alu instid0(VALU_DEP_4)
	v_mul_f32_e32 v121, v68, v14
	s_and_saveexec_b32 s10, vcc_lo
; %bb.1742:                             ;   in Loop: Header=BB279_927 Depth=1
	v_cmp_lt_i32_e64 s0, v85, v122
	s_delay_alu instid0(VALU_DEP_1) | instskip(SKIP_1) | instid1(VALU_DEP_1)
	v_cndmask_b32_e64 v123, 0, v123, s0
	v_cmp_lt_i32_e64 s0, v87, v122
	v_cndmask_b32_e64 v124, 0, v124, s0
	v_cmp_lt_i32_e64 s0, v86, v122
	s_delay_alu instid0(VALU_DEP_1) | instskip(SKIP_1) | instid1(VALU_DEP_1)
	v_cndmask_b32_e64 v121, 0, v121, s0
	v_cmp_lt_i32_e64 s0, v70, v122
	v_cndmask_b32_e64 v120, 0, v120, s0
; %bb.1743:                             ;   in Loop: Header=BB279_927 Depth=1
	s_or_b32 exec_lo, exec_lo, s10
	flat_load_b32 v125, v[12:13] offset:3072
	v_mov_b32_e32 v14, 0
	v_mov_b32_e32 v15, 0
	s_mov_b32 s10, exec_lo
	s_waitcnt vmcnt(0) lgkmcnt(0)
	v_and_b32_e32 v6, 0xff, v125
	s_delay_alu instid0(VALU_DEP_2) | instskip(NEXT) | instid1(VALU_DEP_2)
	v_dual_mov_b32 v4, v14 :: v_dual_mov_b32 v5, v15
	v_cmpx_ne_u16_e32 0, v6
	s_cbranch_execz .LBB279_1751
; %bb.1744:                             ;   in Loop: Header=BB279_927 Depth=1
	v_bfrev_b32_e32 v4, 1
	v_mov_b32_e32 v5, 0
	s_mov_b32 s12, exec_lo
	v_cmpx_ne_u16_e32 0x80, v6
	s_cbranch_execz .LBB279_1750
; %bb.1745:                             ;   in Loop: Header=BB279_927 Depth=1
	v_mov_b32_e32 v4, 0x7f800001
	v_dual_mov_b32 v5, 0 :: v_dual_and_b32 v16, 0x7f, v125
	s_mov_b32 s13, exec_lo
	s_delay_alu instid0(VALU_DEP_1)
	v_cmpx_ne_u32_e32 0x7f, v16
	s_cbranch_execz .LBB279_1749
; %bb.1746:                             ;   in Loop: Header=BB279_927 Depth=1
	v_and_b32_e32 v6, 7, v125
	v_lshrrev_b32_e32 v4, 3, v16
	s_mov_b32 s15, exec_lo
	v_cmpx_gt_u32_e32 8, v16
; %bb.1747:                             ;   in Loop: Header=BB279_927 Depth=1
	s_delay_alu instid0(VALU_DEP_3) | instskip(NEXT) | instid1(VALU_DEP_1)
	v_clz_i32_u32_e32 v4, v6
	v_min_u32_e32 v4, 32, v4
	s_delay_alu instid0(VALU_DEP_1) | instskip(SKIP_1) | instid1(VALU_DEP_2)
	v_subrev_nc_u32_e32 v5, 28, v4
	v_sub_nc_u32_e32 v4, 29, v4
	v_lshlrev_b64 v[5:6], v5, v[6:7]
	s_delay_alu instid0(VALU_DEP_1)
	v_and_b32_e32 v6, 7, v5
; %bb.1748:                             ;   in Loop: Header=BB279_927 Depth=1
	s_or_b32 exec_lo, exec_lo, s15
	v_lshlrev_b32_e32 v5, 24, v125
	s_delay_alu instid0(VALU_DEP_2) | instskip(SKIP_1) | instid1(VALU_DEP_3)
	v_lshlrev_b32_e32 v6, 20, v6
	v_lshl_add_u32 v4, v4, 23, 0x3c000000
	v_and_b32_e32 v5, 0x80000000, v5
	s_delay_alu instid0(VALU_DEP_1) | instskip(NEXT) | instid1(VALU_DEP_1)
	v_or3_b32 v6, v6, v5, v4
	v_dual_mov_b32 v4, v6 :: v_dual_mov_b32 v5, v7
.LBB279_1749:                           ;   in Loop: Header=BB279_927 Depth=1
	s_or_b32 exec_lo, exec_lo, s13
.LBB279_1750:                           ;   in Loop: Header=BB279_927 Depth=1
	s_delay_alu instid0(SALU_CYCLE_1)
	s_or_b32 exec_lo, exec_lo, s12
.LBB279_1751:                           ;   in Loop: Header=BB279_927 Depth=1
	s_delay_alu instid0(SALU_CYCLE_1) | instskip(SKIP_2) | instid1(VALU_DEP_1)
	s_or_b32 exec_lo, exec_lo, s10
	v_lshrrev_b16 v6, 8, v125
	s_mov_b32 s12, exec_lo
	v_cmpx_ne_u16_e32 0, v6
	s_cbranch_execz .LBB279_1759
; %bb.1752:                             ;   in Loop: Header=BB279_927 Depth=1
	v_dual_mov_b32 v15, s9 :: v_dual_mov_b32 v14, s8
	s_mov_b32 s13, exec_lo
	v_cmpx_ne_u16_e32 0x80, v6
	s_cbranch_execz .LBB279_1758
; %bb.1753:                             ;   in Loop: Header=BB279_927 Depth=1
	s_mov_b32 s10, s8
	v_dual_mov_b32 v15, s11 :: v_dual_and_b32 v6, 0xffff, v6
	v_mov_b32_e32 v14, s10
	s_mov_b32 s10, exec_lo
	s_delay_alu instid0(VALU_DEP_2) | instskip(NEXT) | instid1(VALU_DEP_1)
	v_and_b32_e32 v16, 0x7f, v6
	v_cmpx_ne_u32_e32 0x7f, v16
	s_cbranch_execz .LBB279_1757
; %bb.1754:                             ;   in Loop: Header=BB279_927 Depth=1
	v_and_b32_e32 v6, 7, v6
	v_lshrrev_b32_e32 v14, 3, v16
	s_mov_b32 s15, exec_lo
	v_cmpx_gt_u32_e32 8, v16
; %bb.1755:                             ;   in Loop: Header=BB279_927 Depth=1
	s_delay_alu instid0(VALU_DEP_3) | instskip(NEXT) | instid1(VALU_DEP_1)
	v_clz_i32_u32_e32 v14, v6
	v_min_u32_e32 v14, 32, v14
	s_delay_alu instid0(VALU_DEP_1) | instskip(SKIP_1) | instid1(VALU_DEP_2)
	v_subrev_nc_u32_e32 v15, 28, v14
	v_sub_nc_u32_e32 v14, 29, v14
	v_lshlrev_b64 v[15:16], v15, v[6:7]
	s_delay_alu instid0(VALU_DEP_1)
	v_and_b32_e32 v6, 7, v15
; %bb.1756:                             ;   in Loop: Header=BB279_927 Depth=1
	s_or_b32 exec_lo, exec_lo, s15
	v_lshlrev_b32_e32 v15, 16, v125
	s_delay_alu instid0(VALU_DEP_2) | instskip(SKIP_1) | instid1(VALU_DEP_3)
	v_lshlrev_b32_e32 v6, 20, v6
	v_lshl_add_u32 v14, v14, 23, 0x3c000000
	v_and_b32_e32 v15, 0x80000000, v15
	s_delay_alu instid0(VALU_DEP_1)
	v_or3_b32 v15, v6, v15, v14
	v_mov_b32_e32 v14, v7
.LBB279_1757:                           ;   in Loop: Header=BB279_927 Depth=1
	s_or_b32 exec_lo, exec_lo, s10
.LBB279_1758:                           ;   in Loop: Header=BB279_927 Depth=1
	s_delay_alu instid0(SALU_CYCLE_1)
	s_or_b32 exec_lo, exec_lo, s13
.LBB279_1759:                           ;   in Loop: Header=BB279_927 Depth=1
	s_delay_alu instid0(SALU_CYCLE_1) | instskip(SKIP_4) | instid1(VALU_DEP_2)
	s_or_b32 exec_lo, exec_lo, s12
	v_mov_b32_e32 v18, 0
	v_lshrrev_b32_e32 v126, 16, v125
	v_mov_b32_e32 v19, 0
	s_mov_b32 s10, exec_lo
	v_and_b32_e32 v6, 0xff, v126
	s_delay_alu instid0(VALU_DEP_2) | instskip(NEXT) | instid1(VALU_DEP_2)
	v_dual_mov_b32 v16, v18 :: v_dual_mov_b32 v17, v19
	v_cmpx_ne_u16_e32 0, v6
	s_cbranch_execz .LBB279_1767
; %bb.1760:                             ;   in Loop: Header=BB279_927 Depth=1
	v_bfrev_b32_e32 v16, 1
	v_mov_b32_e32 v17, 0
	s_mov_b32 s12, exec_lo
	v_cmpx_ne_u16_e32 0x80, v6
	s_cbranch_execz .LBB279_1766
; %bb.1761:                             ;   in Loop: Header=BB279_927 Depth=1
	v_mov_b32_e32 v16, 0x7f800001
	v_bfe_u32 v127, v125, 16, 7
	v_mov_b32_e32 v17, 0
	s_mov_b32 s13, exec_lo
	s_delay_alu instid0(VALU_DEP_2)
	v_cmpx_ne_u32_e32 0x7f, v127
	s_cbranch_execz .LBB279_1765
; %bb.1762:                             ;   in Loop: Header=BB279_927 Depth=1
	v_and_b32_e32 v6, 7, v126
	v_lshrrev_b32_e32 v16, 3, v127
	s_mov_b32 s15, exec_lo
	v_cmpx_gt_u32_e32 8, v127
; %bb.1763:                             ;   in Loop: Header=BB279_927 Depth=1
	s_delay_alu instid0(VALU_DEP_3) | instskip(NEXT) | instid1(VALU_DEP_1)
	v_clz_i32_u32_e32 v16, v6
	v_min_u32_e32 v16, 32, v16
	s_delay_alu instid0(VALU_DEP_1) | instskip(SKIP_1) | instid1(VALU_DEP_2)
	v_subrev_nc_u32_e32 v17, 28, v16
	v_sub_nc_u32_e32 v16, 29, v16
	v_lshlrev_b64 v[136:137], v17, v[6:7]
	s_delay_alu instid0(VALU_DEP_1)
	v_and_b32_e32 v6, 7, v136
; %bb.1764:                             ;   in Loop: Header=BB279_927 Depth=1
	s_or_b32 exec_lo, exec_lo, s15
	v_lshlrev_b32_e32 v17, 24, v126
	s_delay_alu instid0(VALU_DEP_2) | instskip(SKIP_1) | instid1(VALU_DEP_3)
	v_lshlrev_b32_e32 v6, 20, v6
	v_lshl_add_u32 v16, v16, 23, 0x3c000000
	v_and_b32_e32 v17, 0x80000000, v17
	s_delay_alu instid0(VALU_DEP_1) | instskip(NEXT) | instid1(VALU_DEP_1)
	v_or3_b32 v6, v6, v17, v16
	v_dual_mov_b32 v17, v7 :: v_dual_mov_b32 v16, v6
.LBB279_1765:                           ;   in Loop: Header=BB279_927 Depth=1
	s_or_b32 exec_lo, exec_lo, s13
.LBB279_1766:                           ;   in Loop: Header=BB279_927 Depth=1
	s_delay_alu instid0(SALU_CYCLE_1)
	s_or_b32 exec_lo, exec_lo, s12
.LBB279_1767:                           ;   in Loop: Header=BB279_927 Depth=1
	s_delay_alu instid0(SALU_CYCLE_1) | instskip(NEXT) | instid1(SALU_CYCLE_1)
	s_or_b32 exec_lo, exec_lo, s10
	s_mov_b32 s12, exec_lo
	v_cmpx_lt_u32_e32 0xffffff, v125
	s_cbranch_execz .LBB279_1775
; %bb.1768:                             ;   in Loop: Header=BB279_927 Depth=1
	v_lshrrev_b32_e32 v126, 24, v125
	v_dual_mov_b32 v19, s9 :: v_dual_mov_b32 v18, s8
	s_mov_b32 s13, exec_lo
	s_delay_alu instid0(VALU_DEP_2)
	v_cmpx_ne_u32_e32 0x80, v126
	s_cbranch_execz .LBB279_1774
; %bb.1769:                             ;   in Loop: Header=BB279_927 Depth=1
	s_mov_b32 s10, s8
	v_bfe_u32 v125, v125, 24, 7
	v_dual_mov_b32 v19, s11 :: v_dual_mov_b32 v18, s10
	s_mov_b32 s10, exec_lo
	s_delay_alu instid0(VALU_DEP_2)
	v_cmpx_ne_u32_e32 0x7f, v125
	s_cbranch_execz .LBB279_1773
; %bb.1770:                             ;   in Loop: Header=BB279_927 Depth=1
	v_and_b32_e32 v6, 7, v126
	v_lshrrev_b32_e32 v18, 3, v125
	s_mov_b32 s15, exec_lo
	v_cmpx_gt_u32_e32 8, v125
; %bb.1771:                             ;   in Loop: Header=BB279_927 Depth=1
	s_delay_alu instid0(VALU_DEP_3) | instskip(NEXT) | instid1(VALU_DEP_1)
	v_clz_i32_u32_e32 v18, v6
	v_min_u32_e32 v18, 32, v18
	s_delay_alu instid0(VALU_DEP_1) | instskip(SKIP_1) | instid1(VALU_DEP_2)
	v_subrev_nc_u32_e32 v19, 28, v18
	v_sub_nc_u32_e32 v18, 29, v18
	v_lshlrev_b64 v[136:137], v19, v[6:7]
	s_delay_alu instid0(VALU_DEP_1)
	v_and_b32_e32 v6, 7, v136
; %bb.1772:                             ;   in Loop: Header=BB279_927 Depth=1
	s_or_b32 exec_lo, exec_lo, s15
	v_lshlrev_b32_e32 v19, 24, v126
	s_delay_alu instid0(VALU_DEP_2) | instskip(SKIP_1) | instid1(VALU_DEP_3)
	v_lshlrev_b32_e32 v6, 20, v6
	v_lshl_add_u32 v18, v18, 23, 0x3c000000
	v_and_b32_e32 v19, 0x80000000, v19
	s_delay_alu instid0(VALU_DEP_1)
	v_or3_b32 v19, v6, v19, v18
	v_mov_b32_e32 v18, v7
.LBB279_1773:                           ;   in Loop: Header=BB279_927 Depth=1
	s_or_b32 exec_lo, exec_lo, s10
.LBB279_1774:                           ;   in Loop: Header=BB279_927 Depth=1
	s_delay_alu instid0(SALU_CYCLE_1)
	s_or_b32 exec_lo, exec_lo, s13
.LBB279_1775:                           ;   in Loop: Header=BB279_927 Depth=1
	s_delay_alu instid0(SALU_CYCLE_1) | instskip(SKIP_4) | instid1(VALU_DEP_4)
	s_or_b32 exec_lo, exec_lo, s12
	v_or_b32_e32 v5, v15, v5
	v_or_b32_e32 v4, v14, v4
	;; [unrolled: 1-line block ×4, first 2 shown]
	v_mul_f32_e32 v136, v80, v5
	s_delay_alu instid0(VALU_DEP_4) | instskip(NEXT) | instid1(VALU_DEP_4)
	v_mul_f32_e32 v127, v68, v4
	v_mul_f32_e32 v125, v80, v6
	s_delay_alu instid0(VALU_DEP_4)
	v_mul_f32_e32 v126, v68, v14
	s_and_saveexec_b32 s10, vcc_lo
; %bb.1776:                             ;   in Loop: Header=BB279_927 Depth=1
	v_cmp_lt_i32_e64 s0, v85, v122
	s_delay_alu instid0(VALU_DEP_1) | instskip(SKIP_1) | instid1(VALU_DEP_1)
	v_cndmask_b32_e64 v127, 0, v127, s0
	v_cmp_lt_i32_e64 s0, v87, v122
	v_cndmask_b32_e64 v136, 0, v136, s0
	v_cmp_lt_i32_e64 s0, v86, v122
	s_delay_alu instid0(VALU_DEP_1) | instskip(SKIP_1) | instid1(VALU_DEP_1)
	v_cndmask_b32_e64 v126, 0, v126, s0
	v_cmp_lt_i32_e64 s0, v70, v122
	v_cndmask_b32_e64 v125, 0, v125, s0
; %bb.1777:                             ;   in Loop: Header=BB279_927 Depth=1
	s_or_b32 exec_lo, exec_lo, s10
	flat_load_b32 v137, v[12:13] offset:3200
	v_mov_b32_e32 v14, 0
	v_mov_b32_e32 v15, 0
	s_mov_b32 s10, exec_lo
	s_waitcnt vmcnt(0) lgkmcnt(0)
	v_and_b32_e32 v6, 0xff, v137
	s_delay_alu instid0(VALU_DEP_2) | instskip(NEXT) | instid1(VALU_DEP_2)
	v_dual_mov_b32 v4, v14 :: v_dual_mov_b32 v5, v15
	v_cmpx_ne_u16_e32 0, v6
	s_cbranch_execz .LBB279_1785
; %bb.1778:                             ;   in Loop: Header=BB279_927 Depth=1
	v_bfrev_b32_e32 v4, 1
	v_mov_b32_e32 v5, 0
	s_mov_b32 s12, exec_lo
	v_cmpx_ne_u16_e32 0x80, v6
	s_cbranch_execz .LBB279_1784
; %bb.1779:                             ;   in Loop: Header=BB279_927 Depth=1
	v_mov_b32_e32 v4, 0x7f800001
	v_dual_mov_b32 v5, 0 :: v_dual_and_b32 v16, 0x7f, v137
	s_mov_b32 s13, exec_lo
	s_delay_alu instid0(VALU_DEP_1)
	v_cmpx_ne_u32_e32 0x7f, v16
	s_cbranch_execz .LBB279_1783
; %bb.1780:                             ;   in Loop: Header=BB279_927 Depth=1
	v_and_b32_e32 v6, 7, v137
	v_lshrrev_b32_e32 v4, 3, v16
	s_mov_b32 s15, exec_lo
	v_cmpx_gt_u32_e32 8, v16
; %bb.1781:                             ;   in Loop: Header=BB279_927 Depth=1
	s_delay_alu instid0(VALU_DEP_3) | instskip(NEXT) | instid1(VALU_DEP_1)
	v_clz_i32_u32_e32 v4, v6
	v_min_u32_e32 v4, 32, v4
	s_delay_alu instid0(VALU_DEP_1) | instskip(SKIP_1) | instid1(VALU_DEP_2)
	v_subrev_nc_u32_e32 v5, 28, v4
	v_sub_nc_u32_e32 v4, 29, v4
	v_lshlrev_b64 v[5:6], v5, v[6:7]
	s_delay_alu instid0(VALU_DEP_1)
	v_and_b32_e32 v6, 7, v5
; %bb.1782:                             ;   in Loop: Header=BB279_927 Depth=1
	s_or_b32 exec_lo, exec_lo, s15
	v_lshlrev_b32_e32 v5, 24, v137
	s_delay_alu instid0(VALU_DEP_2) | instskip(SKIP_1) | instid1(VALU_DEP_3)
	v_lshlrev_b32_e32 v6, 20, v6
	v_lshl_add_u32 v4, v4, 23, 0x3c000000
	v_and_b32_e32 v5, 0x80000000, v5
	s_delay_alu instid0(VALU_DEP_1) | instskip(NEXT) | instid1(VALU_DEP_1)
	v_or3_b32 v6, v6, v5, v4
	v_dual_mov_b32 v4, v6 :: v_dual_mov_b32 v5, v7
.LBB279_1783:                           ;   in Loop: Header=BB279_927 Depth=1
	s_or_b32 exec_lo, exec_lo, s13
.LBB279_1784:                           ;   in Loop: Header=BB279_927 Depth=1
	s_delay_alu instid0(SALU_CYCLE_1)
	s_or_b32 exec_lo, exec_lo, s12
.LBB279_1785:                           ;   in Loop: Header=BB279_927 Depth=1
	s_delay_alu instid0(SALU_CYCLE_1) | instskip(SKIP_2) | instid1(VALU_DEP_1)
	s_or_b32 exec_lo, exec_lo, s10
	v_lshrrev_b16 v6, 8, v137
	s_mov_b32 s12, exec_lo
	v_cmpx_ne_u16_e32 0, v6
	s_cbranch_execz .LBB279_1793
; %bb.1786:                             ;   in Loop: Header=BB279_927 Depth=1
	v_dual_mov_b32 v15, s9 :: v_dual_mov_b32 v14, s8
	s_mov_b32 s13, exec_lo
	v_cmpx_ne_u16_e32 0x80, v6
	s_cbranch_execz .LBB279_1792
; %bb.1787:                             ;   in Loop: Header=BB279_927 Depth=1
	s_mov_b32 s10, s8
	v_dual_mov_b32 v15, s11 :: v_dual_and_b32 v6, 0xffff, v6
	v_mov_b32_e32 v14, s10
	s_mov_b32 s10, exec_lo
	s_delay_alu instid0(VALU_DEP_2) | instskip(NEXT) | instid1(VALU_DEP_1)
	v_and_b32_e32 v16, 0x7f, v6
	v_cmpx_ne_u32_e32 0x7f, v16
	s_cbranch_execz .LBB279_1791
; %bb.1788:                             ;   in Loop: Header=BB279_927 Depth=1
	v_and_b32_e32 v6, 7, v6
	v_lshrrev_b32_e32 v14, 3, v16
	s_mov_b32 s15, exec_lo
	v_cmpx_gt_u32_e32 8, v16
; %bb.1789:                             ;   in Loop: Header=BB279_927 Depth=1
	s_delay_alu instid0(VALU_DEP_3) | instskip(NEXT) | instid1(VALU_DEP_1)
	v_clz_i32_u32_e32 v14, v6
	v_min_u32_e32 v14, 32, v14
	s_delay_alu instid0(VALU_DEP_1) | instskip(SKIP_1) | instid1(VALU_DEP_2)
	v_subrev_nc_u32_e32 v15, 28, v14
	v_sub_nc_u32_e32 v14, 29, v14
	v_lshlrev_b64 v[15:16], v15, v[6:7]
	s_delay_alu instid0(VALU_DEP_1)
	v_and_b32_e32 v6, 7, v15
; %bb.1790:                             ;   in Loop: Header=BB279_927 Depth=1
	s_or_b32 exec_lo, exec_lo, s15
	v_lshlrev_b32_e32 v15, 16, v137
	s_delay_alu instid0(VALU_DEP_2) | instskip(SKIP_1) | instid1(VALU_DEP_3)
	v_lshlrev_b32_e32 v6, 20, v6
	v_lshl_add_u32 v14, v14, 23, 0x3c000000
	v_and_b32_e32 v15, 0x80000000, v15
	s_delay_alu instid0(VALU_DEP_1)
	v_or3_b32 v15, v6, v15, v14
	v_mov_b32_e32 v14, v7
.LBB279_1791:                           ;   in Loop: Header=BB279_927 Depth=1
	s_or_b32 exec_lo, exec_lo, s10
.LBB279_1792:                           ;   in Loop: Header=BB279_927 Depth=1
	s_delay_alu instid0(SALU_CYCLE_1)
	s_or_b32 exec_lo, exec_lo, s13
.LBB279_1793:                           ;   in Loop: Header=BB279_927 Depth=1
	s_delay_alu instid0(SALU_CYCLE_1) | instskip(SKIP_4) | instid1(VALU_DEP_2)
	s_or_b32 exec_lo, exec_lo, s12
	v_mov_b32_e32 v18, 0
	v_lshrrev_b32_e32 v138, 16, v137
	v_mov_b32_e32 v19, 0
	s_mov_b32 s10, exec_lo
	v_and_b32_e32 v6, 0xff, v138
	s_delay_alu instid0(VALU_DEP_2) | instskip(NEXT) | instid1(VALU_DEP_2)
	v_dual_mov_b32 v16, v18 :: v_dual_mov_b32 v17, v19
	v_cmpx_ne_u16_e32 0, v6
	s_cbranch_execz .LBB279_1801
; %bb.1794:                             ;   in Loop: Header=BB279_927 Depth=1
	v_bfrev_b32_e32 v16, 1
	v_mov_b32_e32 v17, 0
	s_mov_b32 s12, exec_lo
	v_cmpx_ne_u16_e32 0x80, v6
	s_cbranch_execz .LBB279_1800
; %bb.1795:                             ;   in Loop: Header=BB279_927 Depth=1
	v_mov_b32_e32 v16, 0x7f800001
	v_bfe_u32 v139, v137, 16, 7
	v_mov_b32_e32 v17, 0
	s_mov_b32 s13, exec_lo
	s_delay_alu instid0(VALU_DEP_2)
	v_cmpx_ne_u32_e32 0x7f, v139
	s_cbranch_execz .LBB279_1799
; %bb.1796:                             ;   in Loop: Header=BB279_927 Depth=1
	v_and_b32_e32 v6, 7, v138
	v_lshrrev_b32_e32 v16, 3, v139
	s_mov_b32 s15, exec_lo
	v_cmpx_gt_u32_e32 8, v139
; %bb.1797:                             ;   in Loop: Header=BB279_927 Depth=1
	s_delay_alu instid0(VALU_DEP_3) | instskip(NEXT) | instid1(VALU_DEP_1)
	v_clz_i32_u32_e32 v16, v6
	v_min_u32_e32 v16, 32, v16
	s_delay_alu instid0(VALU_DEP_1) | instskip(SKIP_1) | instid1(VALU_DEP_2)
	v_subrev_nc_u32_e32 v17, 28, v16
	v_sub_nc_u32_e32 v16, 29, v16
	v_lshlrev_b64 v[139:140], v17, v[6:7]
	s_delay_alu instid0(VALU_DEP_1)
	v_and_b32_e32 v6, 7, v139
; %bb.1798:                             ;   in Loop: Header=BB279_927 Depth=1
	s_or_b32 exec_lo, exec_lo, s15
	v_lshlrev_b32_e32 v17, 24, v138
	s_delay_alu instid0(VALU_DEP_2) | instskip(SKIP_1) | instid1(VALU_DEP_3)
	v_lshlrev_b32_e32 v6, 20, v6
	v_lshl_add_u32 v16, v16, 23, 0x3c000000
	v_and_b32_e32 v17, 0x80000000, v17
	s_delay_alu instid0(VALU_DEP_1) | instskip(NEXT) | instid1(VALU_DEP_1)
	v_or3_b32 v6, v6, v17, v16
	v_dual_mov_b32 v17, v7 :: v_dual_mov_b32 v16, v6
.LBB279_1799:                           ;   in Loop: Header=BB279_927 Depth=1
	s_or_b32 exec_lo, exec_lo, s13
.LBB279_1800:                           ;   in Loop: Header=BB279_927 Depth=1
	s_delay_alu instid0(SALU_CYCLE_1)
	s_or_b32 exec_lo, exec_lo, s12
.LBB279_1801:                           ;   in Loop: Header=BB279_927 Depth=1
	s_delay_alu instid0(SALU_CYCLE_1) | instskip(NEXT) | instid1(SALU_CYCLE_1)
	s_or_b32 exec_lo, exec_lo, s10
	s_mov_b32 s12, exec_lo
	v_cmpx_lt_u32_e32 0xffffff, v137
	s_cbranch_execz .LBB279_1809
; %bb.1802:                             ;   in Loop: Header=BB279_927 Depth=1
	v_lshrrev_b32_e32 v138, 24, v137
	v_dual_mov_b32 v19, s9 :: v_dual_mov_b32 v18, s8
	s_mov_b32 s13, exec_lo
	s_delay_alu instid0(VALU_DEP_2)
	v_cmpx_ne_u32_e32 0x80, v138
	s_cbranch_execz .LBB279_1808
; %bb.1803:                             ;   in Loop: Header=BB279_927 Depth=1
	s_mov_b32 s10, s8
	v_bfe_u32 v137, v137, 24, 7
	v_dual_mov_b32 v19, s11 :: v_dual_mov_b32 v18, s10
	s_mov_b32 s10, exec_lo
	s_delay_alu instid0(VALU_DEP_2)
	v_cmpx_ne_u32_e32 0x7f, v137
	s_cbranch_execz .LBB279_1807
; %bb.1804:                             ;   in Loop: Header=BB279_927 Depth=1
	v_and_b32_e32 v6, 7, v138
	v_lshrrev_b32_e32 v18, 3, v137
	s_mov_b32 s15, exec_lo
	v_cmpx_gt_u32_e32 8, v137
; %bb.1805:                             ;   in Loop: Header=BB279_927 Depth=1
	s_delay_alu instid0(VALU_DEP_3) | instskip(NEXT) | instid1(VALU_DEP_1)
	v_clz_i32_u32_e32 v18, v6
	v_min_u32_e32 v18, 32, v18
	s_delay_alu instid0(VALU_DEP_1) | instskip(SKIP_1) | instid1(VALU_DEP_2)
	v_subrev_nc_u32_e32 v19, 28, v18
	v_sub_nc_u32_e32 v18, 29, v18
	v_lshlrev_b64 v[139:140], v19, v[6:7]
	s_delay_alu instid0(VALU_DEP_1)
	v_and_b32_e32 v6, 7, v139
; %bb.1806:                             ;   in Loop: Header=BB279_927 Depth=1
	s_or_b32 exec_lo, exec_lo, s15
	v_lshlrev_b32_e32 v19, 24, v138
	s_delay_alu instid0(VALU_DEP_2) | instskip(SKIP_1) | instid1(VALU_DEP_3)
	v_lshlrev_b32_e32 v6, 20, v6
	v_lshl_add_u32 v18, v18, 23, 0x3c000000
	v_and_b32_e32 v19, 0x80000000, v19
	s_delay_alu instid0(VALU_DEP_1)
	v_or3_b32 v19, v6, v19, v18
	v_mov_b32_e32 v18, v7
.LBB279_1807:                           ;   in Loop: Header=BB279_927 Depth=1
	s_or_b32 exec_lo, exec_lo, s10
.LBB279_1808:                           ;   in Loop: Header=BB279_927 Depth=1
	s_delay_alu instid0(SALU_CYCLE_1)
	s_or_b32 exec_lo, exec_lo, s13
.LBB279_1809:                           ;   in Loop: Header=BB279_927 Depth=1
	s_delay_alu instid0(SALU_CYCLE_1) | instskip(SKIP_4) | instid1(VALU_DEP_4)
	s_or_b32 exec_lo, exec_lo, s12
	v_or_b32_e32 v5, v15, v5
	v_or_b32_e32 v4, v14, v4
	;; [unrolled: 1-line block ×4, first 2 shown]
	v_mul_f32_e32 v140, v80, v5
	s_delay_alu instid0(VALU_DEP_4) | instskip(NEXT) | instid1(VALU_DEP_4)
	v_mul_f32_e32 v139, v68, v4
	v_mul_f32_e32 v137, v80, v6
	s_delay_alu instid0(VALU_DEP_4)
	v_mul_f32_e32 v138, v68, v14
	s_and_saveexec_b32 s10, vcc_lo
; %bb.1810:                             ;   in Loop: Header=BB279_927 Depth=1
	v_cmp_lt_i32_e64 s0, v85, v122
	s_delay_alu instid0(VALU_DEP_1) | instskip(SKIP_1) | instid1(VALU_DEP_1)
	v_cndmask_b32_e64 v139, 0, v139, s0
	v_cmp_lt_i32_e64 s0, v87, v122
	v_cndmask_b32_e64 v140, 0, v140, s0
	v_cmp_lt_i32_e64 s0, v86, v122
	s_delay_alu instid0(VALU_DEP_1) | instskip(SKIP_1) | instid1(VALU_DEP_1)
	v_cndmask_b32_e64 v138, 0, v138, s0
	v_cmp_lt_i32_e64 s0, v70, v122
	v_cndmask_b32_e64 v137, 0, v137, s0
; %bb.1811:                             ;   in Loop: Header=BB279_927 Depth=1
	s_or_b32 exec_lo, exec_lo, s10
	flat_load_b32 v141, v[12:13] offset:3328
	v_mov_b32_e32 v14, 0
	v_mov_b32_e32 v15, 0
	s_mov_b32 s10, exec_lo
	s_waitcnt vmcnt(0) lgkmcnt(0)
	v_and_b32_e32 v6, 0xff, v141
	s_delay_alu instid0(VALU_DEP_2) | instskip(NEXT) | instid1(VALU_DEP_2)
	v_dual_mov_b32 v4, v14 :: v_dual_mov_b32 v5, v15
	v_cmpx_ne_u16_e32 0, v6
	s_cbranch_execz .LBB279_1819
; %bb.1812:                             ;   in Loop: Header=BB279_927 Depth=1
	v_bfrev_b32_e32 v4, 1
	v_mov_b32_e32 v5, 0
	s_mov_b32 s12, exec_lo
	v_cmpx_ne_u16_e32 0x80, v6
	s_cbranch_execz .LBB279_1818
; %bb.1813:                             ;   in Loop: Header=BB279_927 Depth=1
	v_mov_b32_e32 v4, 0x7f800001
	v_dual_mov_b32 v5, 0 :: v_dual_and_b32 v16, 0x7f, v141
	s_mov_b32 s13, exec_lo
	s_delay_alu instid0(VALU_DEP_1)
	v_cmpx_ne_u32_e32 0x7f, v16
	s_cbranch_execz .LBB279_1817
; %bb.1814:                             ;   in Loop: Header=BB279_927 Depth=1
	v_and_b32_e32 v6, 7, v141
	v_lshrrev_b32_e32 v4, 3, v16
	s_mov_b32 s15, exec_lo
	v_cmpx_gt_u32_e32 8, v16
; %bb.1815:                             ;   in Loop: Header=BB279_927 Depth=1
	s_delay_alu instid0(VALU_DEP_3) | instskip(NEXT) | instid1(VALU_DEP_1)
	v_clz_i32_u32_e32 v4, v6
	v_min_u32_e32 v4, 32, v4
	s_delay_alu instid0(VALU_DEP_1) | instskip(SKIP_1) | instid1(VALU_DEP_2)
	v_subrev_nc_u32_e32 v5, 28, v4
	v_sub_nc_u32_e32 v4, 29, v4
	v_lshlrev_b64 v[5:6], v5, v[6:7]
	s_delay_alu instid0(VALU_DEP_1)
	v_and_b32_e32 v6, 7, v5
; %bb.1816:                             ;   in Loop: Header=BB279_927 Depth=1
	s_or_b32 exec_lo, exec_lo, s15
	v_lshlrev_b32_e32 v5, 24, v141
	s_delay_alu instid0(VALU_DEP_2) | instskip(SKIP_1) | instid1(VALU_DEP_3)
	v_lshlrev_b32_e32 v6, 20, v6
	v_lshl_add_u32 v4, v4, 23, 0x3c000000
	v_and_b32_e32 v5, 0x80000000, v5
	s_delay_alu instid0(VALU_DEP_1) | instskip(NEXT) | instid1(VALU_DEP_1)
	v_or3_b32 v6, v6, v5, v4
	v_dual_mov_b32 v4, v6 :: v_dual_mov_b32 v5, v7
.LBB279_1817:                           ;   in Loop: Header=BB279_927 Depth=1
	s_or_b32 exec_lo, exec_lo, s13
.LBB279_1818:                           ;   in Loop: Header=BB279_927 Depth=1
	s_delay_alu instid0(SALU_CYCLE_1)
	s_or_b32 exec_lo, exec_lo, s12
.LBB279_1819:                           ;   in Loop: Header=BB279_927 Depth=1
	s_delay_alu instid0(SALU_CYCLE_1) | instskip(SKIP_2) | instid1(VALU_DEP_1)
	s_or_b32 exec_lo, exec_lo, s10
	v_lshrrev_b16 v6, 8, v141
	s_mov_b32 s12, exec_lo
	v_cmpx_ne_u16_e32 0, v6
	s_cbranch_execz .LBB279_1827
; %bb.1820:                             ;   in Loop: Header=BB279_927 Depth=1
	v_dual_mov_b32 v15, s9 :: v_dual_mov_b32 v14, s8
	s_mov_b32 s13, exec_lo
	v_cmpx_ne_u16_e32 0x80, v6
	s_cbranch_execz .LBB279_1826
; %bb.1821:                             ;   in Loop: Header=BB279_927 Depth=1
	s_mov_b32 s10, s8
	v_dual_mov_b32 v15, s11 :: v_dual_and_b32 v6, 0xffff, v6
	v_mov_b32_e32 v14, s10
	s_mov_b32 s10, exec_lo
	s_delay_alu instid0(VALU_DEP_2) | instskip(NEXT) | instid1(VALU_DEP_1)
	v_and_b32_e32 v16, 0x7f, v6
	v_cmpx_ne_u32_e32 0x7f, v16
	s_cbranch_execz .LBB279_1825
; %bb.1822:                             ;   in Loop: Header=BB279_927 Depth=1
	v_and_b32_e32 v6, 7, v6
	v_lshrrev_b32_e32 v14, 3, v16
	s_mov_b32 s15, exec_lo
	v_cmpx_gt_u32_e32 8, v16
; %bb.1823:                             ;   in Loop: Header=BB279_927 Depth=1
	s_delay_alu instid0(VALU_DEP_3) | instskip(NEXT) | instid1(VALU_DEP_1)
	v_clz_i32_u32_e32 v14, v6
	v_min_u32_e32 v14, 32, v14
	s_delay_alu instid0(VALU_DEP_1) | instskip(SKIP_1) | instid1(VALU_DEP_2)
	v_subrev_nc_u32_e32 v15, 28, v14
	v_sub_nc_u32_e32 v14, 29, v14
	v_lshlrev_b64 v[15:16], v15, v[6:7]
	s_delay_alu instid0(VALU_DEP_1)
	v_and_b32_e32 v6, 7, v15
; %bb.1824:                             ;   in Loop: Header=BB279_927 Depth=1
	s_or_b32 exec_lo, exec_lo, s15
	v_lshlrev_b32_e32 v15, 16, v141
	s_delay_alu instid0(VALU_DEP_2) | instskip(SKIP_1) | instid1(VALU_DEP_3)
	v_lshlrev_b32_e32 v6, 20, v6
	v_lshl_add_u32 v14, v14, 23, 0x3c000000
	v_and_b32_e32 v15, 0x80000000, v15
	s_delay_alu instid0(VALU_DEP_1)
	v_or3_b32 v15, v6, v15, v14
	v_mov_b32_e32 v14, v7
.LBB279_1825:                           ;   in Loop: Header=BB279_927 Depth=1
	s_or_b32 exec_lo, exec_lo, s10
.LBB279_1826:                           ;   in Loop: Header=BB279_927 Depth=1
	s_delay_alu instid0(SALU_CYCLE_1)
	s_or_b32 exec_lo, exec_lo, s13
.LBB279_1827:                           ;   in Loop: Header=BB279_927 Depth=1
	s_delay_alu instid0(SALU_CYCLE_1) | instskip(SKIP_4) | instid1(VALU_DEP_2)
	s_or_b32 exec_lo, exec_lo, s12
	v_mov_b32_e32 v18, 0
	v_lshrrev_b32_e32 v142, 16, v141
	v_mov_b32_e32 v19, 0
	s_mov_b32 s10, exec_lo
	v_and_b32_e32 v6, 0xff, v142
	s_delay_alu instid0(VALU_DEP_2) | instskip(NEXT) | instid1(VALU_DEP_2)
	v_dual_mov_b32 v16, v18 :: v_dual_mov_b32 v17, v19
	v_cmpx_ne_u16_e32 0, v6
	s_cbranch_execz .LBB279_1835
; %bb.1828:                             ;   in Loop: Header=BB279_927 Depth=1
	v_bfrev_b32_e32 v16, 1
	v_mov_b32_e32 v17, 0
	s_mov_b32 s12, exec_lo
	v_cmpx_ne_u16_e32 0x80, v6
	s_cbranch_execz .LBB279_1834
; %bb.1829:                             ;   in Loop: Header=BB279_927 Depth=1
	v_mov_b32_e32 v16, 0x7f800001
	v_bfe_u32 v143, v141, 16, 7
	v_mov_b32_e32 v17, 0
	s_mov_b32 s13, exec_lo
	s_delay_alu instid0(VALU_DEP_2)
	v_cmpx_ne_u32_e32 0x7f, v143
	s_cbranch_execz .LBB279_1833
; %bb.1830:                             ;   in Loop: Header=BB279_927 Depth=1
	v_and_b32_e32 v6, 7, v142
	v_lshrrev_b32_e32 v16, 3, v143
	s_mov_b32 s15, exec_lo
	v_cmpx_gt_u32_e32 8, v143
; %bb.1831:                             ;   in Loop: Header=BB279_927 Depth=1
	s_delay_alu instid0(VALU_DEP_3) | instskip(NEXT) | instid1(VALU_DEP_1)
	v_clz_i32_u32_e32 v16, v6
	v_min_u32_e32 v16, 32, v16
	s_delay_alu instid0(VALU_DEP_1) | instskip(SKIP_1) | instid1(VALU_DEP_2)
	v_subrev_nc_u32_e32 v17, 28, v16
	v_sub_nc_u32_e32 v16, 29, v16
	v_lshlrev_b64 v[152:153], v17, v[6:7]
	s_delay_alu instid0(VALU_DEP_1)
	v_and_b32_e32 v6, 7, v152
; %bb.1832:                             ;   in Loop: Header=BB279_927 Depth=1
	s_or_b32 exec_lo, exec_lo, s15
	v_lshlrev_b32_e32 v17, 24, v142
	s_delay_alu instid0(VALU_DEP_2) | instskip(SKIP_1) | instid1(VALU_DEP_3)
	v_lshlrev_b32_e32 v6, 20, v6
	v_lshl_add_u32 v16, v16, 23, 0x3c000000
	v_and_b32_e32 v17, 0x80000000, v17
	s_delay_alu instid0(VALU_DEP_1) | instskip(NEXT) | instid1(VALU_DEP_1)
	v_or3_b32 v6, v6, v17, v16
	v_dual_mov_b32 v17, v7 :: v_dual_mov_b32 v16, v6
.LBB279_1833:                           ;   in Loop: Header=BB279_927 Depth=1
	s_or_b32 exec_lo, exec_lo, s13
.LBB279_1834:                           ;   in Loop: Header=BB279_927 Depth=1
	s_delay_alu instid0(SALU_CYCLE_1)
	s_or_b32 exec_lo, exec_lo, s12
.LBB279_1835:                           ;   in Loop: Header=BB279_927 Depth=1
	s_delay_alu instid0(SALU_CYCLE_1) | instskip(NEXT) | instid1(SALU_CYCLE_1)
	s_or_b32 exec_lo, exec_lo, s10
	s_mov_b32 s12, exec_lo
	v_cmpx_lt_u32_e32 0xffffff, v141
	s_cbranch_execz .LBB279_1843
; %bb.1836:                             ;   in Loop: Header=BB279_927 Depth=1
	v_lshrrev_b32_e32 v142, 24, v141
	v_dual_mov_b32 v19, s9 :: v_dual_mov_b32 v18, s8
	s_mov_b32 s13, exec_lo
	s_delay_alu instid0(VALU_DEP_2)
	v_cmpx_ne_u32_e32 0x80, v142
	s_cbranch_execz .LBB279_1842
; %bb.1837:                             ;   in Loop: Header=BB279_927 Depth=1
	s_mov_b32 s10, s8
	v_bfe_u32 v141, v141, 24, 7
	v_dual_mov_b32 v19, s11 :: v_dual_mov_b32 v18, s10
	s_mov_b32 s10, exec_lo
	s_delay_alu instid0(VALU_DEP_2)
	v_cmpx_ne_u32_e32 0x7f, v141
	s_cbranch_execz .LBB279_1841
; %bb.1838:                             ;   in Loop: Header=BB279_927 Depth=1
	v_and_b32_e32 v6, 7, v142
	v_lshrrev_b32_e32 v18, 3, v141
	s_mov_b32 s15, exec_lo
	v_cmpx_gt_u32_e32 8, v141
; %bb.1839:                             ;   in Loop: Header=BB279_927 Depth=1
	s_delay_alu instid0(VALU_DEP_3) | instskip(NEXT) | instid1(VALU_DEP_1)
	v_clz_i32_u32_e32 v18, v6
	v_min_u32_e32 v18, 32, v18
	s_delay_alu instid0(VALU_DEP_1) | instskip(SKIP_1) | instid1(VALU_DEP_2)
	v_subrev_nc_u32_e32 v19, 28, v18
	v_sub_nc_u32_e32 v18, 29, v18
	v_lshlrev_b64 v[152:153], v19, v[6:7]
	s_delay_alu instid0(VALU_DEP_1)
	v_and_b32_e32 v6, 7, v152
; %bb.1840:                             ;   in Loop: Header=BB279_927 Depth=1
	s_or_b32 exec_lo, exec_lo, s15
	v_lshlrev_b32_e32 v19, 24, v142
	s_delay_alu instid0(VALU_DEP_2) | instskip(SKIP_1) | instid1(VALU_DEP_3)
	v_lshlrev_b32_e32 v6, 20, v6
	v_lshl_add_u32 v18, v18, 23, 0x3c000000
	v_and_b32_e32 v19, 0x80000000, v19
	s_delay_alu instid0(VALU_DEP_1)
	v_or3_b32 v19, v6, v19, v18
	v_mov_b32_e32 v18, v7
.LBB279_1841:                           ;   in Loop: Header=BB279_927 Depth=1
	s_or_b32 exec_lo, exec_lo, s10
.LBB279_1842:                           ;   in Loop: Header=BB279_927 Depth=1
	s_delay_alu instid0(SALU_CYCLE_1)
	s_or_b32 exec_lo, exec_lo, s13
.LBB279_1843:                           ;   in Loop: Header=BB279_927 Depth=1
	s_delay_alu instid0(SALU_CYCLE_1) | instskip(SKIP_4) | instid1(VALU_DEP_4)
	s_or_b32 exec_lo, exec_lo, s12
	v_or_b32_e32 v5, v15, v5
	v_or_b32_e32 v4, v14, v4
	;; [unrolled: 1-line block ×4, first 2 shown]
	v_mul_f32_e32 v142, v80, v5
	s_delay_alu instid0(VALU_DEP_4) | instskip(NEXT) | instid1(VALU_DEP_4)
	v_mul_f32_e32 v141, v68, v4
	v_mul_f32_e32 v18, v80, v6
	s_delay_alu instid0(VALU_DEP_4)
	v_mul_f32_e32 v19, v68, v14
	s_and_saveexec_b32 s10, vcc_lo
; %bb.1844:                             ;   in Loop: Header=BB279_927 Depth=1
	v_cmp_lt_i32_e64 s0, v85, v122
	s_delay_alu instid0(VALU_DEP_1) | instskip(SKIP_1) | instid1(VALU_DEP_1)
	v_cndmask_b32_e64 v141, 0, v141, s0
	v_cmp_lt_i32_e64 s0, v87, v122
	v_cndmask_b32_e64 v142, 0, v142, s0
	v_cmp_lt_i32_e64 s0, v86, v122
	s_delay_alu instid0(VALU_DEP_1) | instskip(SKIP_1) | instid1(VALU_DEP_1)
	v_cndmask_b32_e64 v19, 0, v19, s0
	v_cmp_lt_i32_e64 s0, v70, v122
	v_cndmask_b32_e64 v18, 0, v18, s0
; %bb.1845:                             ;   in Loop: Header=BB279_927 Depth=1
	s_or_b32 exec_lo, exec_lo, s10
	flat_load_b32 v143, v[12:13] offset:3456
	v_mov_b32_e32 v12, 0
	v_mov_b32_e32 v13, 0
	s_mov_b32 s10, exec_lo
	s_waitcnt vmcnt(0) lgkmcnt(0)
	v_and_b32_e32 v6, 0xff, v143
	s_delay_alu instid0(VALU_DEP_2) | instskip(NEXT) | instid1(VALU_DEP_2)
	v_dual_mov_b32 v4, v12 :: v_dual_mov_b32 v5, v13
	v_cmpx_ne_u16_e32 0, v6
	s_cbranch_execz .LBB279_1853
; %bb.1846:                             ;   in Loop: Header=BB279_927 Depth=1
	v_bfrev_b32_e32 v4, 1
	v_mov_b32_e32 v5, 0
	s_mov_b32 s12, exec_lo
	v_cmpx_ne_u16_e32 0x80, v6
	s_cbranch_execz .LBB279_1852
; %bb.1847:                             ;   in Loop: Header=BB279_927 Depth=1
	v_mov_b32_e32 v4, 0x7f800001
	v_dual_mov_b32 v5, 0 :: v_dual_and_b32 v14, 0x7f, v143
	s_mov_b32 s13, exec_lo
	s_delay_alu instid0(VALU_DEP_1)
	v_cmpx_ne_u32_e32 0x7f, v14
	s_cbranch_execz .LBB279_1851
; %bb.1848:                             ;   in Loop: Header=BB279_927 Depth=1
	v_and_b32_e32 v6, 7, v143
	v_lshrrev_b32_e32 v4, 3, v14
	s_mov_b32 s15, exec_lo
	v_cmpx_gt_u32_e32 8, v14
; %bb.1849:                             ;   in Loop: Header=BB279_927 Depth=1
	s_delay_alu instid0(VALU_DEP_3) | instskip(NEXT) | instid1(VALU_DEP_1)
	v_clz_i32_u32_e32 v4, v6
	v_min_u32_e32 v4, 32, v4
	s_delay_alu instid0(VALU_DEP_1) | instskip(SKIP_1) | instid1(VALU_DEP_2)
	v_subrev_nc_u32_e32 v5, 28, v4
	v_sub_nc_u32_e32 v4, 29, v4
	v_lshlrev_b64 v[5:6], v5, v[6:7]
	s_delay_alu instid0(VALU_DEP_1)
	v_and_b32_e32 v6, 7, v5
; %bb.1850:                             ;   in Loop: Header=BB279_927 Depth=1
	s_or_b32 exec_lo, exec_lo, s15
	v_lshlrev_b32_e32 v5, 24, v143
	s_delay_alu instid0(VALU_DEP_2) | instskip(SKIP_1) | instid1(VALU_DEP_3)
	v_lshlrev_b32_e32 v6, 20, v6
	v_lshl_add_u32 v4, v4, 23, 0x3c000000
	v_and_b32_e32 v5, 0x80000000, v5
	s_delay_alu instid0(VALU_DEP_1) | instskip(NEXT) | instid1(VALU_DEP_1)
	v_or3_b32 v6, v6, v5, v4
	v_dual_mov_b32 v4, v6 :: v_dual_mov_b32 v5, v7
.LBB279_1851:                           ;   in Loop: Header=BB279_927 Depth=1
	s_or_b32 exec_lo, exec_lo, s13
.LBB279_1852:                           ;   in Loop: Header=BB279_927 Depth=1
	s_delay_alu instid0(SALU_CYCLE_1)
	s_or_b32 exec_lo, exec_lo, s12
.LBB279_1853:                           ;   in Loop: Header=BB279_927 Depth=1
	s_delay_alu instid0(SALU_CYCLE_1) | instskip(SKIP_2) | instid1(VALU_DEP_1)
	s_or_b32 exec_lo, exec_lo, s10
	v_lshrrev_b16 v6, 8, v143
	s_mov_b32 s12, exec_lo
	v_cmpx_ne_u16_e32 0, v6
	s_cbranch_execz .LBB279_1861
; %bb.1854:                             ;   in Loop: Header=BB279_927 Depth=1
	v_dual_mov_b32 v13, s9 :: v_dual_mov_b32 v12, s8
	s_mov_b32 s13, exec_lo
	v_cmpx_ne_u16_e32 0x80, v6
	s_cbranch_execz .LBB279_1860
; %bb.1855:                             ;   in Loop: Header=BB279_927 Depth=1
	s_mov_b32 s10, s8
	v_dual_mov_b32 v13, s11 :: v_dual_and_b32 v6, 0xffff, v6
	v_mov_b32_e32 v12, s10
	s_mov_b32 s10, exec_lo
	s_delay_alu instid0(VALU_DEP_2) | instskip(NEXT) | instid1(VALU_DEP_1)
	v_and_b32_e32 v14, 0x7f, v6
	v_cmpx_ne_u32_e32 0x7f, v14
	s_cbranch_execz .LBB279_1859
; %bb.1856:                             ;   in Loop: Header=BB279_927 Depth=1
	v_and_b32_e32 v6, 7, v6
	v_lshrrev_b32_e32 v12, 3, v14
	s_mov_b32 s15, exec_lo
	v_cmpx_gt_u32_e32 8, v14
; %bb.1857:                             ;   in Loop: Header=BB279_927 Depth=1
	s_delay_alu instid0(VALU_DEP_3) | instskip(NEXT) | instid1(VALU_DEP_1)
	v_clz_i32_u32_e32 v12, v6
	v_min_u32_e32 v12, 32, v12
	s_delay_alu instid0(VALU_DEP_1) | instskip(SKIP_1) | instid1(VALU_DEP_2)
	v_subrev_nc_u32_e32 v13, 28, v12
	v_sub_nc_u32_e32 v12, 29, v12
	v_lshlrev_b64 v[13:14], v13, v[6:7]
	s_delay_alu instid0(VALU_DEP_1)
	v_and_b32_e32 v6, 7, v13
; %bb.1858:                             ;   in Loop: Header=BB279_927 Depth=1
	s_or_b32 exec_lo, exec_lo, s15
	v_lshlrev_b32_e32 v13, 16, v143
	s_delay_alu instid0(VALU_DEP_2) | instskip(SKIP_1) | instid1(VALU_DEP_3)
	v_lshlrev_b32_e32 v6, 20, v6
	v_lshl_add_u32 v12, v12, 23, 0x3c000000
	v_and_b32_e32 v13, 0x80000000, v13
	s_delay_alu instid0(VALU_DEP_1)
	v_or3_b32 v13, v6, v13, v12
	v_mov_b32_e32 v12, v7
.LBB279_1859:                           ;   in Loop: Header=BB279_927 Depth=1
	s_or_b32 exec_lo, exec_lo, s10
.LBB279_1860:                           ;   in Loop: Header=BB279_927 Depth=1
	s_delay_alu instid0(SALU_CYCLE_1)
	s_or_b32 exec_lo, exec_lo, s13
.LBB279_1861:                           ;   in Loop: Header=BB279_927 Depth=1
	s_delay_alu instid0(SALU_CYCLE_1) | instskip(SKIP_4) | instid1(VALU_DEP_2)
	s_or_b32 exec_lo, exec_lo, s12
	v_mov_b32_e32 v16, 0
	v_lshrrev_b32_e32 v152, 16, v143
	v_mov_b32_e32 v17, 0
	s_mov_b32 s10, exec_lo
	v_and_b32_e32 v6, 0xff, v152
	s_delay_alu instid0(VALU_DEP_2) | instskip(NEXT) | instid1(VALU_DEP_2)
	v_dual_mov_b32 v14, v16 :: v_dual_mov_b32 v15, v17
	v_cmpx_ne_u16_e32 0, v6
	s_cbranch_execz .LBB279_1869
; %bb.1862:                             ;   in Loop: Header=BB279_927 Depth=1
	v_bfrev_b32_e32 v14, 1
	v_mov_b32_e32 v15, 0
	s_mov_b32 s12, exec_lo
	v_cmpx_ne_u16_e32 0x80, v6
	s_cbranch_execz .LBB279_1868
; %bb.1863:                             ;   in Loop: Header=BB279_927 Depth=1
	v_mov_b32_e32 v14, 0x7f800001
	v_bfe_u32 v153, v143, 16, 7
	v_mov_b32_e32 v15, 0
	s_mov_b32 s13, exec_lo
	s_delay_alu instid0(VALU_DEP_2)
	v_cmpx_ne_u32_e32 0x7f, v153
	s_cbranch_execz .LBB279_1867
; %bb.1864:                             ;   in Loop: Header=BB279_927 Depth=1
	v_and_b32_e32 v6, 7, v152
	v_lshrrev_b32_e32 v14, 3, v153
	s_mov_b32 s15, exec_lo
	v_cmpx_gt_u32_e32 8, v153
; %bb.1865:                             ;   in Loop: Header=BB279_927 Depth=1
	s_delay_alu instid0(VALU_DEP_3) | instskip(NEXT) | instid1(VALU_DEP_1)
	v_clz_i32_u32_e32 v14, v6
	v_min_u32_e32 v14, 32, v14
	s_delay_alu instid0(VALU_DEP_1) | instskip(SKIP_1) | instid1(VALU_DEP_2)
	v_subrev_nc_u32_e32 v15, 28, v14
	v_sub_nc_u32_e32 v14, 29, v14
	v_lshlrev_b64 v[153:154], v15, v[6:7]
	s_delay_alu instid0(VALU_DEP_1)
	v_and_b32_e32 v6, 7, v153
; %bb.1866:                             ;   in Loop: Header=BB279_927 Depth=1
	s_or_b32 exec_lo, exec_lo, s15
	v_lshlrev_b32_e32 v15, 24, v152
	s_delay_alu instid0(VALU_DEP_2) | instskip(SKIP_1) | instid1(VALU_DEP_3)
	v_lshlrev_b32_e32 v6, 20, v6
	v_lshl_add_u32 v14, v14, 23, 0x3c000000
	v_and_b32_e32 v15, 0x80000000, v15
	s_delay_alu instid0(VALU_DEP_1) | instskip(NEXT) | instid1(VALU_DEP_1)
	v_or3_b32 v6, v6, v15, v14
	v_dual_mov_b32 v15, v7 :: v_dual_mov_b32 v14, v6
.LBB279_1867:                           ;   in Loop: Header=BB279_927 Depth=1
	s_or_b32 exec_lo, exec_lo, s13
.LBB279_1868:                           ;   in Loop: Header=BB279_927 Depth=1
	s_delay_alu instid0(SALU_CYCLE_1)
	s_or_b32 exec_lo, exec_lo, s12
.LBB279_1869:                           ;   in Loop: Header=BB279_927 Depth=1
	s_delay_alu instid0(SALU_CYCLE_1) | instskip(NEXT) | instid1(SALU_CYCLE_1)
	s_or_b32 exec_lo, exec_lo, s10
	s_mov_b32 s12, exec_lo
	v_cmpx_lt_u32_e32 0xffffff, v143
	s_cbranch_execz .LBB279_1877
; %bb.1870:                             ;   in Loop: Header=BB279_927 Depth=1
	v_lshrrev_b32_e32 v152, 24, v143
	v_dual_mov_b32 v17, s9 :: v_dual_mov_b32 v16, s8
	s_mov_b32 s13, exec_lo
	s_delay_alu instid0(VALU_DEP_2)
	v_cmpx_ne_u32_e32 0x80, v152
	s_cbranch_execz .LBB279_1876
; %bb.1871:                             ;   in Loop: Header=BB279_927 Depth=1
	s_mov_b32 s10, s8
	v_bfe_u32 v143, v143, 24, 7
	v_dual_mov_b32 v17, s11 :: v_dual_mov_b32 v16, s10
	s_mov_b32 s10, exec_lo
	s_delay_alu instid0(VALU_DEP_2)
	v_cmpx_ne_u32_e32 0x7f, v143
	s_cbranch_execz .LBB279_1875
; %bb.1872:                             ;   in Loop: Header=BB279_927 Depth=1
	v_and_b32_e32 v6, 7, v152
	v_lshrrev_b32_e32 v16, 3, v143
	s_mov_b32 s15, exec_lo
	v_cmpx_gt_u32_e32 8, v143
; %bb.1873:                             ;   in Loop: Header=BB279_927 Depth=1
	s_delay_alu instid0(VALU_DEP_3) | instskip(NEXT) | instid1(VALU_DEP_1)
	v_clz_i32_u32_e32 v16, v6
	v_min_u32_e32 v16, 32, v16
	s_delay_alu instid0(VALU_DEP_1) | instskip(SKIP_1) | instid1(VALU_DEP_2)
	v_subrev_nc_u32_e32 v17, 28, v16
	v_sub_nc_u32_e32 v16, 29, v16
	v_lshlrev_b64 v[153:154], v17, v[6:7]
	s_delay_alu instid0(VALU_DEP_1)
	v_and_b32_e32 v6, 7, v153
; %bb.1874:                             ;   in Loop: Header=BB279_927 Depth=1
	s_or_b32 exec_lo, exec_lo, s15
	v_lshlrev_b32_e32 v17, 24, v152
	s_delay_alu instid0(VALU_DEP_2) | instskip(SKIP_1) | instid1(VALU_DEP_3)
	v_lshlrev_b32_e32 v6, 20, v6
	v_lshl_add_u32 v16, v16, 23, 0x3c000000
	v_and_b32_e32 v17, 0x80000000, v17
	s_delay_alu instid0(VALU_DEP_1)
	v_or3_b32 v17, v6, v17, v16
	v_mov_b32_e32 v16, v7
.LBB279_1875:                           ;   in Loop: Header=BB279_927 Depth=1
	s_or_b32 exec_lo, exec_lo, s10
.LBB279_1876:                           ;   in Loop: Header=BB279_927 Depth=1
	s_delay_alu instid0(SALU_CYCLE_1)
	s_or_b32 exec_lo, exec_lo, s13
.LBB279_1877:                           ;   in Loop: Header=BB279_927 Depth=1
	s_delay_alu instid0(SALU_CYCLE_1) | instskip(SKIP_4) | instid1(VALU_DEP_4)
	s_or_b32 exec_lo, exec_lo, s12
	v_or_b32_e32 v5, v13, v5
	v_or_b32_e32 v4, v12, v4
	;; [unrolled: 1-line block ×4, first 2 shown]
	v_mul_f32_e32 v12, v80, v5
	s_delay_alu instid0(VALU_DEP_4) | instskip(NEXT) | instid1(VALU_DEP_4)
	v_mul_f32_e32 v6, v68, v4
	v_mul_f32_e32 v4, v80, v13
	s_delay_alu instid0(VALU_DEP_4)
	v_mul_f32_e32 v5, v68, v14
	s_and_saveexec_b32 s0, vcc_lo
	s_cbranch_execz .LBB279_926
; %bb.1878:                             ;   in Loop: Header=BB279_927 Depth=1
	v_cmp_lt_i32_e32 vcc_lo, v85, v122
	v_cndmask_b32_e32 v6, 0, v6, vcc_lo
	v_cmp_lt_i32_e32 vcc_lo, v87, v122
	v_cndmask_b32_e32 v12, 0, v12, vcc_lo
	v_cmp_lt_i32_e32 vcc_lo, v86, v122
	v_cndmask_b32_e32 v5, 0, v5, vcc_lo
	v_cmp_lt_i32_e32 vcc_lo, v70, v122
	v_cndmask_b32_e32 v4, 0, v4, vcc_lo
	s_branch .LBB279_926
.LBB279_1879:
	s_or_b32 exec_lo, exec_lo, s5
	v_dual_mov_b32 v0, s6 :: v_dual_mov_b32 v1, s7
.LBB279_1880:
	s_or_b32 exec_lo, exec_lo, s3
	s_waitcnt lgkmcnt(0)
	s_waitcnt_vscnt null, 0x0
	s_barrier
	buffer_gl0_inv
	scratch_load_b32 v68, off, s32 offset:992 ; 4-byte Folded Reload
	ds_bpermute_b32 v2, v22, v66
	v_lshlrev_b64 v[0:1], 2, v[0:1]
	ds_bpermute_b32 v17, v22, v34
	ds_bpermute_b32 v18, v22, v33
	s_getpc_b64 s[6:7]
	s_add_u32 s6, s6, llvm.amdgcn.dynlds.offset.table@rel32@lo+4
	s_addc_u32 s7, s7, llvm.amdgcn.dynlds.offset.table@rel32@hi+12
	ds_bpermute_b32 v5, v22, v54
	ds_bpermute_b32 v70, v22, v31
	v_add_co_u32 v0, vcc_lo, v0, s6
	v_add_co_ci_u32_e32 v1, vcc_lo, s7, v1, vcc_lo
	ds_bpermute_b32 v71, v22, v30
	ds_bpermute_b32 v80, v22, v29
	ds_bpermute_b32 v3, v22, v64
	global_load_b32 v69, v[0:1], off
	ds_bpermute_b32 v0, v22, v65
	ds_bpermute_b32 v1, v22, v67
	;; [unrolled: 1-line block ×20, first 2 shown]
	s_waitcnt lgkmcnt(25)
	v_dual_add_f32 v17, v34, v17 :: v_dual_add_f32 v18, v33, v18
	s_waitcnt lgkmcnt(18)
	v_dual_add_f32 v0, v65, v0 :: v_dual_add_f32 v1, v67, v1
	;; [unrolled: 2-line block ×3, first 2 shown]
	v_dual_add_f32 v31, v31, v70 :: v_dual_add_f32 v30, v30, v71
	v_add_f32_e32 v29, v29, v80
	v_dual_add_f32 v3, v64, v3 :: v_dual_add_f32 v4, v55, v4
	s_waitcnt lgkmcnt(14)
	v_dual_add_f32 v7, v52, v7 :: v_dual_add_f32 v8, v51, v8
	s_waitcnt lgkmcnt(12)
	;; [unrolled: 2-line block ×6, first 2 shown]
	v_dual_add_f32 v19, v32, v19 :: v_dual_add_f32 v26, v155, v84
	v_add_f32_e32 v28, v28, v81
	s_waitcnt lgkmcnt(0)
	v_dual_add_f32 v25, v25, v85 :: v_dual_add_f32 v22, v24, v22
	ds_bpermute_b32 v32, v21, v1
	ds_bpermute_b32 v36, v21, v5
	;; [unrolled: 1-line block ×22, first 2 shown]
	s_waitcnt lgkmcnt(21)
	v_add_f32_e32 v1, v1, v32
	s_waitcnt lgkmcnt(19)
	v_dual_add_f32 v5, v5, v36 :: v_dual_add_f32 v30, v30, v70
	s_waitcnt lgkmcnt(18)
	v_add_f32_e32 v29, v29, v71
	s_waitcnt lgkmcnt(15)
	v_add_f32_e32 v4, v4, v35
	;; [unrolled: 2-line block ×3, first 2 shown]
	ds_bpermute_b32 v35, v20, v5
	v_dual_add_f32 v0, v0, v24 :: v_dual_add_f32 v3, v3, v34
	ds_bpermute_b32 v70, v20, v29
	s_waitcnt lgkmcnt(14)
	v_dual_add_f32 v7, v7, v38 :: v_dual_add_f32 v8, v8, v39
	s_waitcnt lgkmcnt(12)
	v_dual_add_f32 v9, v9, v48 :: v_dual_add_f32 v10, v10, v49
	;; [unrolled: 2-line block ×6, first 2 shown]
	ds_bpermute_b32 v34, v20, v4
	ds_bpermute_b32 v36, v20, v6
	;; [unrolled: 1-line block ×14, first 2 shown]
	v_add_f32_e32 v2, v66, v2
	ds_bpermute_b32 v66, v21, v19
	s_waitcnt lgkmcnt(16)
	v_dual_add_f32 v28, v28, v80 :: v_dual_add_f32 v5, v5, v35
	ds_bpermute_b32 v33, v21, v2
	v_add_f32_e32 v27, v156, v82
	ds_bpermute_b32 v82, v21, v26
	ds_bpermute_b32 v71, v20, v28
	s_waitcnt lgkmcnt(17)
	v_add_f32_e32 v4, v4, v34
	s_waitcnt lgkmcnt(15)
	v_dual_add_f32 v6, v6, v36 :: v_dual_add_f32 v7, v7, v37
	s_waitcnt lgkmcnt(11)
	v_dual_add_f32 v8, v8, v38 :: v_dual_add_f32 v11, v11, v49
	;; [unrolled: 2-line block ×5, first 2 shown]
	v_add_f32_e32 v9, v9, v39
	s_waitcnt lgkmcnt(2)
	v_dual_add_f32 v19, v19, v66 :: v_dual_add_f32 v2, v2, v33
	ds_bpermute_b32 v81, v21, v27
	s_waitcnt lgkmcnt(2)
	v_add_f32_e32 v26, v26, v82
	ds_bpermute_b32 v33, v20, v3
	ds_bpermute_b32 v65, v20, v19
	s_waitcnt lgkmcnt(2)
	v_dual_add_f32 v16, v16, v54 :: v_dual_add_f32 v27, v27, v81
	ds_bpermute_b32 v81, v20, v26
	s_waitcnt lgkmcnt(2)
	v_add_f32_e32 v3, v3, v33
	s_waitcnt lgkmcnt(1)
	v_add_f32_e32 v19, v19, v65
	ds_bpermute_b32 v80, v20, v27
	s_waitcnt vmcnt(1) lgkmcnt(1)
	v_dual_add_f32 v26, v26, v81 :: v_dual_and_b32 v83, 0x3c7, v68
	scratch_load_b32 v68, off, s32 offset:996 ; 4-byte Folded Reload
	v_cmp_eq_u32_e32 vcc_lo, 64, v83
	ds_bpermute_b32 v83, v21, v25
	ds_bpermute_b32 v21, v21, v22
	s_waitcnt lgkmcnt(0)
	v_add_f32_e32 v32, v22, v21
	ds_bpermute_b32 v22, v20, v1
	v_add_f32_e32 v24, v31, v67
	ds_bpermute_b32 v21, v20, v0
	;; [unrolled: 2-line block ×3, first 2 shown]
	ds_bpermute_b32 v67, v20, v30
	ds_bpermute_b32 v83, v20, v32
	s_waitcnt lgkmcnt(4)
	v_add_f32_e32 v1, v1, v22
	v_add_f32_e32 v22, v29, v70
	scratch_load_b32 v29, off, s32 offset:1000 ; 4-byte Folded Reload
	ds_bpermute_b32 v66, v20, v24
	s_waitcnt lgkmcnt(4)
	v_add_f32_e32 v0, v0, v21
	ds_bpermute_b32 v82, v20, v31
	s_waitcnt lgkmcnt(4)
	v_add_f32_e32 v2, v2, v25
	v_add_f32_e32 v18, v18, v64
	;; [unrolled: 1-line block ×3, first 2 shown]
	s_waitcnt lgkmcnt(1)
	v_dual_add_f32 v21, v30, v67 :: v_dual_add_f32 v20, v24, v66
	s_waitcnt lgkmcnt(0)
	v_dual_add_f32 v24, v28, v71 :: v_dual_add_f32 v27, v31, v82
	v_add_f32_e32 v28, v32, v83
	s_waitcnt vmcnt(1)
	v_lshrrev_b32_e32 v68, 3, v68
	s_delay_alu instid0(VALU_DEP_1)
	v_lshlrev_b32_e32 v30, 2, v68
	s_waitcnt vmcnt(0)
	v_mad_u32_u24 v29, 0x1c0, v29, v69
	s_and_saveexec_b32 s0, vcc_lo
	s_cbranch_execz .LBB279_1882
; %bb.1881:
	s_delay_alu instid0(VALU_DEP_1)
	v_add3_u32 v31, v29, v30, 0xfffffc80
	ds_store_2addr_b32 v31, v0, v1 offset1:4
	ds_store_2addr_b32 v31, v2, v3 offset0:8 offset1:12
	ds_store_2addr_b32 v31, v4, v5 offset0:16 offset1:20
	;; [unrolled: 1-line block ×13, first 2 shown]
.LBB279_1882:
	s_or_b32 exec_lo, exec_lo, s0
	v_cmp_eq_u32_e32 vcc_lo, 0, v23
	scratch_load_b32 v23, off, s32 offset:992 ; 4-byte Folded Reload
	s_mov_b32 s3, exec_lo
	s_waitcnt vmcnt(0) lgkmcnt(0)
	s_barrier
	buffer_gl0_inv
	v_cmpx_gt_u32_e32 64, v23
	s_cbranch_execz .LBB279_1913
; %bb.1883:
	s_and_saveexec_b32 s0, vcc_lo
	s_cbranch_execnz .LBB279_1949
; %bb.1884:
	s_or_b32 exec_lo, exec_lo, s0
	s_and_saveexec_b32 s0, vcc_lo
	s_cbranch_execnz .LBB279_1950
.LBB279_1885:
	s_or_b32 exec_lo, exec_lo, s0
	s_and_saveexec_b32 s0, vcc_lo
	s_cbranch_execnz .LBB279_1951
.LBB279_1886:
	s_or_b32 exec_lo, exec_lo, s0
	s_and_saveexec_b32 s0, vcc_lo
	s_cbranch_execnz .LBB279_1952
.LBB279_1887:
	s_or_b32 exec_lo, exec_lo, s0
	s_and_saveexec_b32 s0, vcc_lo
	s_cbranch_execnz .LBB279_1953
.LBB279_1888:
	s_or_b32 exec_lo, exec_lo, s0
	s_and_saveexec_b32 s0, vcc_lo
	s_cbranch_execnz .LBB279_1954
.LBB279_1889:
	s_or_b32 exec_lo, exec_lo, s0
	s_and_saveexec_b32 s0, vcc_lo
	s_cbranch_execnz .LBB279_1955
.LBB279_1890:
	s_or_b32 exec_lo, exec_lo, s0
	s_and_saveexec_b32 s0, vcc_lo
	s_cbranch_execnz .LBB279_1956
.LBB279_1891:
	s_or_b32 exec_lo, exec_lo, s0
	s_and_saveexec_b32 s0, vcc_lo
	s_cbranch_execnz .LBB279_1957
.LBB279_1892:
	s_or_b32 exec_lo, exec_lo, s0
	s_and_saveexec_b32 s0, vcc_lo
	s_cbranch_execnz .LBB279_1958
.LBB279_1893:
	s_or_b32 exec_lo, exec_lo, s0
	s_and_saveexec_b32 s0, vcc_lo
	s_cbranch_execnz .LBB279_1959
.LBB279_1894:
	s_or_b32 exec_lo, exec_lo, s0
	s_and_saveexec_b32 s0, vcc_lo
	s_cbranch_execnz .LBB279_1960
.LBB279_1895:
	s_or_b32 exec_lo, exec_lo, s0
	s_and_saveexec_b32 s0, vcc_lo
	s_cbranch_execnz .LBB279_1961
.LBB279_1896:
	s_or_b32 exec_lo, exec_lo, s0
	s_and_saveexec_b32 s0, vcc_lo
	s_cbranch_execnz .LBB279_1962
.LBB279_1897:
	s_or_b32 exec_lo, exec_lo, s0
	s_and_saveexec_b32 s0, vcc_lo
	s_cbranch_execnz .LBB279_1963
.LBB279_1898:
	s_or_b32 exec_lo, exec_lo, s0
	s_and_saveexec_b32 s0, vcc_lo
	s_cbranch_execnz .LBB279_1964
.LBB279_1899:
	s_or_b32 exec_lo, exec_lo, s0
	s_and_saveexec_b32 s0, vcc_lo
	s_cbranch_execnz .LBB279_1965
.LBB279_1900:
	s_or_b32 exec_lo, exec_lo, s0
	s_and_saveexec_b32 s0, vcc_lo
	s_cbranch_execnz .LBB279_1966
.LBB279_1901:
	s_or_b32 exec_lo, exec_lo, s0
	s_and_saveexec_b32 s0, vcc_lo
	s_cbranch_execnz .LBB279_1967
.LBB279_1902:
	s_or_b32 exec_lo, exec_lo, s0
	s_and_saveexec_b32 s0, vcc_lo
	s_cbranch_execnz .LBB279_1968
.LBB279_1903:
	s_or_b32 exec_lo, exec_lo, s0
	s_and_saveexec_b32 s0, vcc_lo
	s_cbranch_execnz .LBB279_1969
.LBB279_1904:
	s_or_b32 exec_lo, exec_lo, s0
	s_and_saveexec_b32 s0, vcc_lo
	s_cbranch_execnz .LBB279_1970
.LBB279_1905:
	s_or_b32 exec_lo, exec_lo, s0
	s_and_saveexec_b32 s0, vcc_lo
	s_cbranch_execnz .LBB279_1971
.LBB279_1906:
	s_or_b32 exec_lo, exec_lo, s0
	s_and_saveexec_b32 s0, vcc_lo
	s_cbranch_execnz .LBB279_1972
.LBB279_1907:
	s_or_b32 exec_lo, exec_lo, s0
	s_and_saveexec_b32 s0, vcc_lo
	s_cbranch_execnz .LBB279_1973
.LBB279_1908:
	s_or_b32 exec_lo, exec_lo, s0
	s_and_saveexec_b32 s0, vcc_lo
	s_cbranch_execnz .LBB279_1974
.LBB279_1909:
	s_or_b32 exec_lo, exec_lo, s0
	s_and_saveexec_b32 s0, vcc_lo
	s_cbranch_execnz .LBB279_1975
.LBB279_1910:
	s_or_b32 exec_lo, exec_lo, s0
	s_and_saveexec_b32 s0, vcc_lo
	s_cbranch_execz .LBB279_1912
.LBB279_1911:
	v_lshl_add_u32 v23, v68, 2, v29
	ds_load_b32 v23, v23 offset:432
	s_waitcnt lgkmcnt(0)
	v_add_f32_e32 v28, v23, v28
.LBB279_1912:
	s_or_b32 exec_lo, exec_lo, s0
.LBB279_1913:
	s_delay_alu instid0(SALU_CYCLE_1)
	s_or_b32 exec_lo, exec_lo, s3
	scratch_load_b32 v23, off, s32 offset:992 ; 4-byte Folded Reload
	s_mov_b32 s3, exec_lo
	s_waitcnt vmcnt(0)
	s_barrier
	buffer_gl0_inv
	v_and_b32_e32 v23, 0x3e7, v23
	s_delay_alu instid0(VALU_DEP_1)
	v_cmpx_eq_u32_e32 32, v23
	s_cbranch_execz .LBB279_1915
; %bb.1914:
	v_add3_u32 v30, v29, v30, 0xfffffe40
	ds_store_2addr_b32 v30, v0, v1 offset1:4
	ds_store_2addr_b32 v30, v2, v3 offset0:8 offset1:12
	ds_store_2addr_b32 v30, v4, v5 offset0:16 offset1:20
	;; [unrolled: 1-line block ×13, first 2 shown]
.LBB279_1915:
	s_or_b32 exec_lo, exec_lo, s3
	scratch_load_b32 v30, off, s32 offset:992 ; 4-byte Folded Reload
	s_mov_b32 s3, exec_lo
	s_waitcnt vmcnt(0) lgkmcnt(0)
	s_barrier
	buffer_gl0_inv
	v_cmpx_gt_u32_e32 32, v30
	s_cbranch_execz .LBB279_1946
; %bb.1916:
	v_lshl_add_u32 v29, v68, 2, v29
	s_and_saveexec_b32 s0, vcc_lo
	s_cbranch_execnz .LBB279_1976
; %bb.1917:
	s_or_b32 exec_lo, exec_lo, s0
	s_and_saveexec_b32 s0, vcc_lo
	s_cbranch_execnz .LBB279_1977
.LBB279_1918:
	s_or_b32 exec_lo, exec_lo, s0
	s_and_saveexec_b32 s0, vcc_lo
	s_cbranch_execnz .LBB279_1978
.LBB279_1919:
	s_or_b32 exec_lo, exec_lo, s0
	s_and_saveexec_b32 s0, vcc_lo
	s_cbranch_execnz .LBB279_1979
.LBB279_1920:
	s_or_b32 exec_lo, exec_lo, s0
	s_and_saveexec_b32 s0, vcc_lo
	s_cbranch_execnz .LBB279_1980
.LBB279_1921:
	s_or_b32 exec_lo, exec_lo, s0
	s_and_saveexec_b32 s0, vcc_lo
	s_cbranch_execnz .LBB279_1981
.LBB279_1922:
	s_or_b32 exec_lo, exec_lo, s0
	s_and_saveexec_b32 s0, vcc_lo
	s_cbranch_execnz .LBB279_1982
.LBB279_1923:
	s_or_b32 exec_lo, exec_lo, s0
	s_and_saveexec_b32 s0, vcc_lo
	s_cbranch_execnz .LBB279_1983
.LBB279_1924:
	s_or_b32 exec_lo, exec_lo, s0
	s_and_saveexec_b32 s0, vcc_lo
	s_cbranch_execnz .LBB279_1984
.LBB279_1925:
	s_or_b32 exec_lo, exec_lo, s0
	s_and_saveexec_b32 s0, vcc_lo
	s_cbranch_execnz .LBB279_1985
.LBB279_1926:
	s_or_b32 exec_lo, exec_lo, s0
	s_and_saveexec_b32 s0, vcc_lo
	s_cbranch_execnz .LBB279_1986
.LBB279_1927:
	s_or_b32 exec_lo, exec_lo, s0
	s_and_saveexec_b32 s0, vcc_lo
	s_cbranch_execnz .LBB279_1987
.LBB279_1928:
	s_or_b32 exec_lo, exec_lo, s0
	s_and_saveexec_b32 s0, vcc_lo
	s_cbranch_execnz .LBB279_1988
.LBB279_1929:
	s_or_b32 exec_lo, exec_lo, s0
	s_and_saveexec_b32 s0, vcc_lo
	s_cbranch_execnz .LBB279_1989
.LBB279_1930:
	s_or_b32 exec_lo, exec_lo, s0
	s_and_saveexec_b32 s0, vcc_lo
	s_cbranch_execnz .LBB279_1990
.LBB279_1931:
	s_or_b32 exec_lo, exec_lo, s0
	s_and_saveexec_b32 s0, vcc_lo
	s_cbranch_execnz .LBB279_1991
.LBB279_1932:
	s_or_b32 exec_lo, exec_lo, s0
	s_and_saveexec_b32 s0, vcc_lo
	s_cbranch_execnz .LBB279_1992
.LBB279_1933:
	s_or_b32 exec_lo, exec_lo, s0
	s_and_saveexec_b32 s0, vcc_lo
	s_cbranch_execnz .LBB279_1993
.LBB279_1934:
	s_or_b32 exec_lo, exec_lo, s0
	s_and_saveexec_b32 s0, vcc_lo
	s_cbranch_execnz .LBB279_1994
.LBB279_1935:
	s_or_b32 exec_lo, exec_lo, s0
	s_and_saveexec_b32 s0, vcc_lo
	s_cbranch_execnz .LBB279_1995
.LBB279_1936:
	s_or_b32 exec_lo, exec_lo, s0
	s_and_saveexec_b32 s0, vcc_lo
	s_cbranch_execnz .LBB279_1996
.LBB279_1937:
	s_or_b32 exec_lo, exec_lo, s0
	s_and_saveexec_b32 s0, vcc_lo
	s_cbranch_execnz .LBB279_1997
.LBB279_1938:
	s_or_b32 exec_lo, exec_lo, s0
	s_and_saveexec_b32 s0, vcc_lo
	s_cbranch_execnz .LBB279_1998
.LBB279_1939:
	s_or_b32 exec_lo, exec_lo, s0
	s_and_saveexec_b32 s0, vcc_lo
	s_cbranch_execnz .LBB279_1999
.LBB279_1940:
	s_or_b32 exec_lo, exec_lo, s0
	s_and_saveexec_b32 s0, vcc_lo
	s_cbranch_execnz .LBB279_2000
.LBB279_1941:
	s_or_b32 exec_lo, exec_lo, s0
	s_and_saveexec_b32 s0, vcc_lo
	s_cbranch_execnz .LBB279_2001
.LBB279_1942:
	s_or_b32 exec_lo, exec_lo, s0
	s_and_saveexec_b32 s0, vcc_lo
	s_cbranch_execnz .LBB279_2002
.LBB279_1943:
	s_or_b32 exec_lo, exec_lo, s0
	s_and_saveexec_b32 s0, vcc_lo
	s_cbranch_execz .LBB279_1945
.LBB279_1944:
	ds_load_b32 v29, v29 offset:432
	s_waitcnt lgkmcnt(0)
	v_add_f32_e32 v28, v29, v28
.LBB279_1945:
	s_or_b32 exec_lo, exec_lo, s0
.LBB279_1946:
	s_delay_alu instid0(SALU_CYCLE_1)
	s_or_b32 exec_lo, exec_lo, s3
	v_cmp_eq_u32_e32 vcc_lo, 0, v23
	s_barrier
	buffer_gl0_inv
	s_and_b32 exec_lo, exec_lo, vcc_lo
	s_cbranch_execz .LBB279_1948
; %bb.1947:
	s_clause 0x2
	scratch_load_b32 v23, off, s32 offset:992
	scratch_load_b32 v30, off, s32 offset:1004
	;; [unrolled: 1-line block ×3, first 2 shown]
	s_mul_i32 s0, s2, 0x70
	s_mul_i32 s2, s4, s1
	;; [unrolled: 1-line block ×3, first 2 shown]
	s_ashr_i32 s3, s2, 31
	s_ashr_i32 s5, s4, 31
	;; [unrolled: 1-line block ×3, first 2 shown]
	s_lshl_b64 s[2:3], s[2:3], 2
	s_lshl_b64 s[4:5], s[4:5], 2
	;; [unrolled: 1-line block ×3, first 2 shown]
	s_add_u32 s2, s4, s2
	s_addc_u32 s3, s5, s3
	s_add_u32 s0, s2, s0
	s_addc_u32 s1, s3, s1
	s_waitcnt vmcnt(2)
	v_lshrrev_b32_e32 v23, 1, v23
	s_waitcnt vmcnt(0)
	v_add_co_u32 v29, vcc_lo, s0, v29
	v_add_co_ci_u32_e32 v30, vcc_lo, s1, v30, vcc_lo
	s_delay_alu instid0(VALU_DEP_2) | instskip(NEXT) | instid1(VALU_DEP_2)
	v_add_co_u32 v29, vcc_lo, v29, v23
	v_add_co_ci_u32_e32 v30, vcc_lo, 0, v30, vcc_lo
	s_clause 0x1b
	flat_store_b32 v[29:30], v0
	flat_store_b32 v[29:30], v1 offset:16
	flat_store_b32 v[29:30], v2 offset:32
	;; [unrolled: 1-line block ×27, first 2 shown]
.LBB279_1948:
	s_or_b32 exec_lo, exec_lo, s16
	s_clause 0x1f
	scratch_load_b32 v191, off, s32
	scratch_load_b32 v190, off, s32 offset:4
	scratch_load_b32 v189, off, s32 offset:8
	;; [unrolled: 1-line block ×31, first 2 shown]
	s_clause 0x1f
	scratch_load_b32 v127, off, s32 offset:128
	scratch_load_b32 v126, off, s32 offset:132
	;; [unrolled: 1-line block ×32, first 2 shown]
	s_clause 0xf
	scratch_load_b32 v63, off, s32 offset:256
	scratch_load_b32 v62, off, s32 offset:260
	;; [unrolled: 1-line block ×16, first 2 shown]
	s_waitcnt vmcnt(0) lgkmcnt(0)
	s_setpc_b64 s[30:31]
.LBB279_1949:
	v_lshl_add_u32 v23, v68, 2, v29
	ds_load_b32 v23, v23
	s_waitcnt lgkmcnt(0)
	v_add_f32_e32 v0, v23, v0
	s_or_b32 exec_lo, exec_lo, s0
	s_and_saveexec_b32 s0, vcc_lo
	s_cbranch_execz .LBB279_1885
.LBB279_1950:
	v_lshl_add_u32 v23, v68, 2, v29
	ds_load_b32 v23, v23 offset:16
	s_waitcnt lgkmcnt(0)
	v_add_f32_e32 v1, v23, v1
	s_or_b32 exec_lo, exec_lo, s0
	s_and_saveexec_b32 s0, vcc_lo
	s_cbranch_execz .LBB279_1886
.LBB279_1951:
	v_lshl_add_u32 v23, v68, 2, v29
	ds_load_b32 v23, v23 offset:32
	s_waitcnt lgkmcnt(0)
	v_add_f32_e32 v2, v23, v2
	s_or_b32 exec_lo, exec_lo, s0
	s_and_saveexec_b32 s0, vcc_lo
	s_cbranch_execz .LBB279_1887
.LBB279_1952:
	v_lshl_add_u32 v23, v68, 2, v29
	ds_load_b32 v23, v23 offset:48
	s_waitcnt lgkmcnt(0)
	v_add_f32_e32 v3, v23, v3
	s_or_b32 exec_lo, exec_lo, s0
	s_and_saveexec_b32 s0, vcc_lo
	s_cbranch_execz .LBB279_1888
.LBB279_1953:
	v_lshl_add_u32 v23, v68, 2, v29
	ds_load_b32 v23, v23 offset:64
	s_waitcnt lgkmcnt(0)
	v_add_f32_e32 v4, v23, v4
	s_or_b32 exec_lo, exec_lo, s0
	s_and_saveexec_b32 s0, vcc_lo
	s_cbranch_execz .LBB279_1889
.LBB279_1954:
	v_lshl_add_u32 v23, v68, 2, v29
	ds_load_b32 v23, v23 offset:80
	s_waitcnt lgkmcnt(0)
	v_add_f32_e32 v5, v23, v5
	s_or_b32 exec_lo, exec_lo, s0
	s_and_saveexec_b32 s0, vcc_lo
	s_cbranch_execz .LBB279_1890
.LBB279_1955:
	v_lshl_add_u32 v23, v68, 2, v29
	ds_load_b32 v23, v23 offset:96
	s_waitcnt lgkmcnt(0)
	v_add_f32_e32 v6, v23, v6
	s_or_b32 exec_lo, exec_lo, s0
	s_and_saveexec_b32 s0, vcc_lo
	s_cbranch_execz .LBB279_1891
.LBB279_1956:
	v_lshl_add_u32 v23, v68, 2, v29
	ds_load_b32 v23, v23 offset:112
	s_waitcnt lgkmcnt(0)
	v_add_f32_e32 v7, v23, v7
	s_or_b32 exec_lo, exec_lo, s0
	s_and_saveexec_b32 s0, vcc_lo
	s_cbranch_execz .LBB279_1892
.LBB279_1957:
	v_lshl_add_u32 v23, v68, 2, v29
	ds_load_b32 v23, v23 offset:128
	s_waitcnt lgkmcnt(0)
	v_add_f32_e32 v8, v23, v8
	s_or_b32 exec_lo, exec_lo, s0
	s_and_saveexec_b32 s0, vcc_lo
	s_cbranch_execz .LBB279_1893
.LBB279_1958:
	v_lshl_add_u32 v23, v68, 2, v29
	ds_load_b32 v23, v23 offset:144
	s_waitcnt lgkmcnt(0)
	v_add_f32_e32 v9, v23, v9
	s_or_b32 exec_lo, exec_lo, s0
	s_and_saveexec_b32 s0, vcc_lo
	s_cbranch_execz .LBB279_1894
.LBB279_1959:
	v_lshl_add_u32 v23, v68, 2, v29
	ds_load_b32 v23, v23 offset:160
	s_waitcnt lgkmcnt(0)
	v_add_f32_e32 v10, v23, v10
	s_or_b32 exec_lo, exec_lo, s0
	s_and_saveexec_b32 s0, vcc_lo
	s_cbranch_execz .LBB279_1895
.LBB279_1960:
	v_lshl_add_u32 v23, v68, 2, v29
	ds_load_b32 v23, v23 offset:176
	s_waitcnt lgkmcnt(0)
	v_add_f32_e32 v11, v23, v11
	s_or_b32 exec_lo, exec_lo, s0
	s_and_saveexec_b32 s0, vcc_lo
	s_cbranch_execz .LBB279_1896
.LBB279_1961:
	v_lshl_add_u32 v23, v68, 2, v29
	ds_load_b32 v23, v23 offset:192
	s_waitcnt lgkmcnt(0)
	v_add_f32_e32 v12, v23, v12
	s_or_b32 exec_lo, exec_lo, s0
	s_and_saveexec_b32 s0, vcc_lo
	s_cbranch_execz .LBB279_1897
.LBB279_1962:
	v_lshl_add_u32 v23, v68, 2, v29
	ds_load_b32 v23, v23 offset:208
	s_waitcnt lgkmcnt(0)
	v_add_f32_e32 v13, v23, v13
	s_or_b32 exec_lo, exec_lo, s0
	s_and_saveexec_b32 s0, vcc_lo
	s_cbranch_execz .LBB279_1898
.LBB279_1963:
	v_lshl_add_u32 v23, v68, 2, v29
	ds_load_b32 v23, v23 offset:224
	s_waitcnt lgkmcnt(0)
	v_add_f32_e32 v14, v23, v14
	s_or_b32 exec_lo, exec_lo, s0
	s_and_saveexec_b32 s0, vcc_lo
	s_cbranch_execz .LBB279_1899
.LBB279_1964:
	v_lshl_add_u32 v23, v68, 2, v29
	ds_load_b32 v23, v23 offset:240
	s_waitcnt lgkmcnt(0)
	v_add_f32_e32 v15, v23, v15
	s_or_b32 exec_lo, exec_lo, s0
	s_and_saveexec_b32 s0, vcc_lo
	s_cbranch_execz .LBB279_1900
.LBB279_1965:
	v_lshl_add_u32 v23, v68, 2, v29
	ds_load_b32 v23, v23 offset:256
	s_waitcnt lgkmcnt(0)
	v_add_f32_e32 v16, v23, v16
	s_or_b32 exec_lo, exec_lo, s0
	s_and_saveexec_b32 s0, vcc_lo
	s_cbranch_execz .LBB279_1901
.LBB279_1966:
	v_lshl_add_u32 v23, v68, 2, v29
	ds_load_b32 v23, v23 offset:272
	s_waitcnt lgkmcnt(0)
	v_add_f32_e32 v17, v23, v17
	s_or_b32 exec_lo, exec_lo, s0
	s_and_saveexec_b32 s0, vcc_lo
	s_cbranch_execz .LBB279_1902
.LBB279_1967:
	v_lshl_add_u32 v23, v68, 2, v29
	ds_load_b32 v23, v23 offset:288
	s_waitcnt lgkmcnt(0)
	v_add_f32_e32 v18, v23, v18
	s_or_b32 exec_lo, exec_lo, s0
	s_and_saveexec_b32 s0, vcc_lo
	s_cbranch_execz .LBB279_1903
.LBB279_1968:
	v_lshl_add_u32 v23, v68, 2, v29
	ds_load_b32 v23, v23 offset:304
	s_waitcnt lgkmcnt(0)
	v_add_f32_e32 v19, v23, v19
	s_or_b32 exec_lo, exec_lo, s0
	s_and_saveexec_b32 s0, vcc_lo
	s_cbranch_execz .LBB279_1904
.LBB279_1969:
	v_lshl_add_u32 v23, v68, 2, v29
	ds_load_b32 v23, v23 offset:320
	s_waitcnt lgkmcnt(0)
	v_add_f32_e32 v20, v23, v20
	s_or_b32 exec_lo, exec_lo, s0
	s_and_saveexec_b32 s0, vcc_lo
	s_cbranch_execz .LBB279_1905
.LBB279_1970:
	v_lshl_add_u32 v23, v68, 2, v29
	ds_load_b32 v23, v23 offset:336
	s_waitcnt lgkmcnt(0)
	v_add_f32_e32 v21, v23, v21
	s_or_b32 exec_lo, exec_lo, s0
	s_and_saveexec_b32 s0, vcc_lo
	s_cbranch_execz .LBB279_1906
.LBB279_1971:
	v_lshl_add_u32 v23, v68, 2, v29
	ds_load_b32 v23, v23 offset:352
	s_waitcnt lgkmcnt(0)
	v_add_f32_e32 v22, v23, v22
	s_or_b32 exec_lo, exec_lo, s0
	s_and_saveexec_b32 s0, vcc_lo
	s_cbranch_execz .LBB279_1907
.LBB279_1972:
	v_lshl_add_u32 v23, v68, 2, v29
	ds_load_b32 v23, v23 offset:368
	s_waitcnt lgkmcnt(0)
	v_add_f32_e32 v24, v23, v24
	s_or_b32 exec_lo, exec_lo, s0
	s_and_saveexec_b32 s0, vcc_lo
	s_cbranch_execz .LBB279_1908
.LBB279_1973:
	v_lshl_add_u32 v23, v68, 2, v29
	ds_load_b32 v23, v23 offset:384
	s_waitcnt lgkmcnt(0)
	v_add_f32_e32 v25, v23, v25
	s_or_b32 exec_lo, exec_lo, s0
	s_and_saveexec_b32 s0, vcc_lo
	s_cbranch_execz .LBB279_1909
.LBB279_1974:
	v_lshl_add_u32 v23, v68, 2, v29
	ds_load_b32 v23, v23 offset:400
	s_waitcnt lgkmcnt(0)
	v_add_f32_e32 v26, v23, v26
	s_or_b32 exec_lo, exec_lo, s0
	s_and_saveexec_b32 s0, vcc_lo
	s_cbranch_execz .LBB279_1910
.LBB279_1975:
	v_lshl_add_u32 v23, v68, 2, v29
	ds_load_b32 v23, v23 offset:416
	s_waitcnt lgkmcnt(0)
	v_add_f32_e32 v27, v23, v27
	s_or_b32 exec_lo, exec_lo, s0
	s_and_saveexec_b32 s0, vcc_lo
	s_cbranch_execnz .LBB279_1911
	s_branch .LBB279_1912
.LBB279_1976:
	ds_load_b32 v30, v29
	s_waitcnt lgkmcnt(0)
	v_add_f32_e32 v0, v30, v0
	s_or_b32 exec_lo, exec_lo, s0
	s_and_saveexec_b32 s0, vcc_lo
	s_cbranch_execz .LBB279_1918
.LBB279_1977:
	ds_load_b32 v30, v29 offset:16
	s_waitcnt lgkmcnt(0)
	v_add_f32_e32 v1, v30, v1
	s_or_b32 exec_lo, exec_lo, s0
	s_and_saveexec_b32 s0, vcc_lo
	s_cbranch_execz .LBB279_1919
.LBB279_1978:
	ds_load_b32 v30, v29 offset:32
	s_waitcnt lgkmcnt(0)
	v_add_f32_e32 v2, v30, v2
	s_or_b32 exec_lo, exec_lo, s0
	s_and_saveexec_b32 s0, vcc_lo
	s_cbranch_execz .LBB279_1920
.LBB279_1979:
	ds_load_b32 v30, v29 offset:48
	s_waitcnt lgkmcnt(0)
	v_add_f32_e32 v3, v30, v3
	s_or_b32 exec_lo, exec_lo, s0
	s_and_saveexec_b32 s0, vcc_lo
	s_cbranch_execz .LBB279_1921
.LBB279_1980:
	ds_load_b32 v30, v29 offset:64
	s_waitcnt lgkmcnt(0)
	v_add_f32_e32 v4, v30, v4
	s_or_b32 exec_lo, exec_lo, s0
	s_and_saveexec_b32 s0, vcc_lo
	s_cbranch_execz .LBB279_1922
.LBB279_1981:
	ds_load_b32 v30, v29 offset:80
	s_waitcnt lgkmcnt(0)
	v_add_f32_e32 v5, v30, v5
	s_or_b32 exec_lo, exec_lo, s0
	s_and_saveexec_b32 s0, vcc_lo
	s_cbranch_execz .LBB279_1923
.LBB279_1982:
	ds_load_b32 v30, v29 offset:96
	s_waitcnt lgkmcnt(0)
	v_add_f32_e32 v6, v30, v6
	s_or_b32 exec_lo, exec_lo, s0
	s_and_saveexec_b32 s0, vcc_lo
	s_cbranch_execz .LBB279_1924
.LBB279_1983:
	ds_load_b32 v30, v29 offset:112
	s_waitcnt lgkmcnt(0)
	v_add_f32_e32 v7, v30, v7
	s_or_b32 exec_lo, exec_lo, s0
	s_and_saveexec_b32 s0, vcc_lo
	s_cbranch_execz .LBB279_1925
.LBB279_1984:
	ds_load_b32 v30, v29 offset:128
	s_waitcnt lgkmcnt(0)
	v_add_f32_e32 v8, v30, v8
	s_or_b32 exec_lo, exec_lo, s0
	s_and_saveexec_b32 s0, vcc_lo
	s_cbranch_execz .LBB279_1926
.LBB279_1985:
	ds_load_b32 v30, v29 offset:144
	s_waitcnt lgkmcnt(0)
	v_add_f32_e32 v9, v30, v9
	s_or_b32 exec_lo, exec_lo, s0
	s_and_saveexec_b32 s0, vcc_lo
	s_cbranch_execz .LBB279_1927
.LBB279_1986:
	ds_load_b32 v30, v29 offset:160
	s_waitcnt lgkmcnt(0)
	v_add_f32_e32 v10, v30, v10
	s_or_b32 exec_lo, exec_lo, s0
	s_and_saveexec_b32 s0, vcc_lo
	s_cbranch_execz .LBB279_1928
.LBB279_1987:
	ds_load_b32 v30, v29 offset:176
	s_waitcnt lgkmcnt(0)
	v_add_f32_e32 v11, v30, v11
	s_or_b32 exec_lo, exec_lo, s0
	s_and_saveexec_b32 s0, vcc_lo
	s_cbranch_execz .LBB279_1929
.LBB279_1988:
	ds_load_b32 v30, v29 offset:192
	s_waitcnt lgkmcnt(0)
	v_add_f32_e32 v12, v30, v12
	s_or_b32 exec_lo, exec_lo, s0
	s_and_saveexec_b32 s0, vcc_lo
	s_cbranch_execz .LBB279_1930
.LBB279_1989:
	ds_load_b32 v30, v29 offset:208
	s_waitcnt lgkmcnt(0)
	v_add_f32_e32 v13, v30, v13
	s_or_b32 exec_lo, exec_lo, s0
	s_and_saveexec_b32 s0, vcc_lo
	s_cbranch_execz .LBB279_1931
.LBB279_1990:
	ds_load_b32 v30, v29 offset:224
	s_waitcnt lgkmcnt(0)
	v_add_f32_e32 v14, v30, v14
	s_or_b32 exec_lo, exec_lo, s0
	s_and_saveexec_b32 s0, vcc_lo
	s_cbranch_execz .LBB279_1932
.LBB279_1991:
	ds_load_b32 v30, v29 offset:240
	s_waitcnt lgkmcnt(0)
	v_add_f32_e32 v15, v30, v15
	s_or_b32 exec_lo, exec_lo, s0
	s_and_saveexec_b32 s0, vcc_lo
	s_cbranch_execz .LBB279_1933
.LBB279_1992:
	ds_load_b32 v30, v29 offset:256
	s_waitcnt lgkmcnt(0)
	v_add_f32_e32 v16, v30, v16
	s_or_b32 exec_lo, exec_lo, s0
	s_and_saveexec_b32 s0, vcc_lo
	s_cbranch_execz .LBB279_1934
.LBB279_1993:
	ds_load_b32 v30, v29 offset:272
	s_waitcnt lgkmcnt(0)
	v_add_f32_e32 v17, v30, v17
	s_or_b32 exec_lo, exec_lo, s0
	s_and_saveexec_b32 s0, vcc_lo
	s_cbranch_execz .LBB279_1935
.LBB279_1994:
	ds_load_b32 v30, v29 offset:288
	s_waitcnt lgkmcnt(0)
	v_add_f32_e32 v18, v30, v18
	s_or_b32 exec_lo, exec_lo, s0
	s_and_saveexec_b32 s0, vcc_lo
	s_cbranch_execz .LBB279_1936
.LBB279_1995:
	ds_load_b32 v30, v29 offset:304
	s_waitcnt lgkmcnt(0)
	v_add_f32_e32 v19, v30, v19
	s_or_b32 exec_lo, exec_lo, s0
	s_and_saveexec_b32 s0, vcc_lo
	s_cbranch_execz .LBB279_1937
.LBB279_1996:
	ds_load_b32 v30, v29 offset:320
	s_waitcnt lgkmcnt(0)
	v_add_f32_e32 v20, v30, v20
	s_or_b32 exec_lo, exec_lo, s0
	s_and_saveexec_b32 s0, vcc_lo
	s_cbranch_execz .LBB279_1938
.LBB279_1997:
	ds_load_b32 v30, v29 offset:336
	s_waitcnt lgkmcnt(0)
	v_add_f32_e32 v21, v30, v21
	s_or_b32 exec_lo, exec_lo, s0
	s_and_saveexec_b32 s0, vcc_lo
	s_cbranch_execz .LBB279_1939
.LBB279_1998:
	ds_load_b32 v30, v29 offset:352
	s_waitcnt lgkmcnt(0)
	v_add_f32_e32 v22, v30, v22
	s_or_b32 exec_lo, exec_lo, s0
	s_and_saveexec_b32 s0, vcc_lo
	s_cbranch_execz .LBB279_1940
.LBB279_1999:
	ds_load_b32 v30, v29 offset:368
	s_waitcnt lgkmcnt(0)
	v_add_f32_e32 v24, v30, v24
	s_or_b32 exec_lo, exec_lo, s0
	s_and_saveexec_b32 s0, vcc_lo
	s_cbranch_execz .LBB279_1941
.LBB279_2000:
	ds_load_b32 v30, v29 offset:384
	s_waitcnt lgkmcnt(0)
	v_add_f32_e32 v25, v30, v25
	s_or_b32 exec_lo, exec_lo, s0
	s_and_saveexec_b32 s0, vcc_lo
	s_cbranch_execz .LBB279_1942
.LBB279_2001:
	ds_load_b32 v30, v29 offset:400
	s_waitcnt lgkmcnt(0)
	v_add_f32_e32 v26, v30, v26
	s_or_b32 exec_lo, exec_lo, s0
	s_and_saveexec_b32 s0, vcc_lo
	s_cbranch_execz .LBB279_1943
.LBB279_2002:
	ds_load_b32 v30, v29 offset:416
	s_waitcnt lgkmcnt(0)
	v_add_f32_e32 v27, v30, v27
	s_or_b32 exec_lo, exec_lo, s0
	s_and_saveexec_b32 s0, vcc_lo
	s_cbranch_execnz .LBB279_1944
	s_branch .LBB279_1945
.Lfunc_end279:
	.size	_ZN4vllm22paged_attention_kernelIfhLi112ELi32ELi128ELNS_18Fp8KVCacheDataTypeE1ELb0ELi512EEEvPfS2_PT_PKS3_PKT0_S9_ifPKiSB_iPKfiiiSD_SD_iiiii, .Lfunc_end279-_ZN4vllm22paged_attention_kernelIfhLi112ELi32ELi128ELNS_18Fp8KVCacheDataTypeE1ELb0ELi512EEEvPfS2_PT_PKS3_PKT0_S9_ifPKiSB_iPKfiiiSD_SD_iiiii
                                        ; -- End function
	.section	.AMDGPU.csdata,"",@progbits
; Function info:
; codeLenInByte = 68288
; NumSgprs: 35
; NumVgprs: 192
; ScratchSize: 1080
; MemoryBound: 0
	.section	.text._ZN4vllm25paged_attention_v2_kernelIfhLi112ELi32ELi128ELNS_18Fp8KVCacheDataTypeE1ELb0ELi512EEEvPfS2_PT_PKS3_PKT0_S9_ifPKiSB_iPKfiiiSD_SD_iiiii,"axG",@progbits,_ZN4vllm25paged_attention_v2_kernelIfhLi112ELi32ELi128ELNS_18Fp8KVCacheDataTypeE1ELb0ELi512EEEvPfS2_PT_PKS3_PKT0_S9_ifPKiSB_iPKfiiiSD_SD_iiiii,comdat
	.protected	_ZN4vllm25paged_attention_v2_kernelIfhLi112ELi32ELi128ELNS_18Fp8KVCacheDataTypeE1ELb0ELi512EEEvPfS2_PT_PKS3_PKT0_S9_ifPKiSB_iPKfiiiSD_SD_iiiii ; -- Begin function _ZN4vllm25paged_attention_v2_kernelIfhLi112ELi32ELi128ELNS_18Fp8KVCacheDataTypeE1ELb0ELi512EEEvPfS2_PT_PKS3_PKT0_S9_ifPKiSB_iPKfiiiSD_SD_iiiii
	.globl	_ZN4vllm25paged_attention_v2_kernelIfhLi112ELi32ELi128ELNS_18Fp8KVCacheDataTypeE1ELb0ELi512EEEvPfS2_PT_PKS3_PKT0_S9_ifPKiSB_iPKfiiiSD_SD_iiiii
	.p2align	8
	.type	_ZN4vllm25paged_attention_v2_kernelIfhLi112ELi32ELi128ELNS_18Fp8KVCacheDataTypeE1ELb0ELi512EEEvPfS2_PT_PKS3_PKT0_S9_ifPKiSB_iPKfiiiSD_SD_iiiii,@function
_ZN4vllm25paged_attention_v2_kernelIfhLi112ELi32ELi128ELNS_18Fp8KVCacheDataTypeE1ELb0ELi512EEEvPfS2_PT_PKS3_PKT0_S9_ifPKiSB_iPKfiiiSD_SD_iiiii: ; @_ZN4vllm25paged_attention_v2_kernelIfhLi112ELi32ELi128ELNS_18Fp8KVCacheDataTypeE1ELb0ELi512EEEvPfS2_PT_PKS3_PKT0_S9_ifPKiSB_iPKfiiiSD_SD_iiiii
; %bb.0:
	s_clause 0x5
	s_load_b256 s[24:31], s[0:1], 0x0
	s_load_b256 s[16:23], s[0:1], 0x20
	s_load_b64 s[2:3], s[0:1], 0x40
	s_load_b64 s[4:5], s[0:1], 0x50
	s_load_b32 s6, s[0:1], 0x48
	s_load_b256 s[36:43], s[0:1], 0x58
	v_mov_b32_e32 v31, v0
	s_add_u32 s8, s0, 0x90
	s_mov_b32 s12, s13
	s_addc_u32 s9, s1, 0
	s_mov_b32 s13, s14
	s_mov_b32 s14, s15
	;; [unrolled: 1-line block ×4, first 2 shown]
	s_getpc_b64 s[0:1]
	s_add_u32 s0, s0, _ZN4vllm22paged_attention_kernelIfhLi112ELi32ELi128ELNS_18Fp8KVCacheDataTypeE1ELb0ELi512EEEvPfS2_PT_PKS3_PKT0_S9_ifPKiSB_iPKfiiiSD_SD_iiiii@rel32@lo+4
	s_addc_u32 s1, s1, _ZN4vllm22paged_attention_kernelIfhLi112ELi32ELi128ELNS_18Fp8KVCacheDataTypeE1ELb0ELi512EEEvPfS2_PT_PKS3_PKT0_S9_ifPKiSB_iPKfiiiSD_SD_iiiii@rel32@hi+12
	s_waitcnt lgkmcnt(0)
	v_dual_mov_b32 v0, s24 :: v_dual_mov_b32 v1, s25
	v_dual_mov_b32 v2, s26 :: v_dual_mov_b32 v3, s27
	;; [unrolled: 1-line block ×14, first 2 shown]
	s_swappc_b64 s[30:31], s[0:1]
	s_endpgm
	.section	.rodata,"a",@progbits
	.p2align	6, 0x0
	.amdhsa_kernel _ZN4vllm25paged_attention_v2_kernelIfhLi112ELi32ELi128ELNS_18Fp8KVCacheDataTypeE1ELb0ELi512EEEvPfS2_PT_PKS3_PKT0_S9_ifPKiSB_iPKfiiiSD_SD_iiiii
		.amdhsa_group_segment_fixed_size 480
		.amdhsa_private_segment_fixed_size 1080
		.amdhsa_kernarg_size 400
		.amdhsa_user_sgpr_count 13
		.amdhsa_user_sgpr_dispatch_ptr 0
		.amdhsa_user_sgpr_queue_ptr 0
		.amdhsa_user_sgpr_kernarg_segment_ptr 1
		.amdhsa_user_sgpr_dispatch_id 0
		.amdhsa_user_sgpr_private_segment_size 0
		.amdhsa_wavefront_size32 1
		.amdhsa_uses_dynamic_stack 0
		.amdhsa_enable_private_segment 1
		.amdhsa_system_sgpr_workgroup_id_x 1
		.amdhsa_system_sgpr_workgroup_id_y 1
		.amdhsa_system_sgpr_workgroup_id_z 1
		.amdhsa_system_sgpr_workgroup_info 0
		.amdhsa_system_vgpr_workitem_id 0
		.amdhsa_next_free_vgpr 192
		.amdhsa_next_free_sgpr 44
		.amdhsa_reserve_vcc 1
		.amdhsa_float_round_mode_32 0
		.amdhsa_float_round_mode_16_64 0
		.amdhsa_float_denorm_mode_32 3
		.amdhsa_float_denorm_mode_16_64 3
		.amdhsa_dx10_clamp 1
		.amdhsa_ieee_mode 1
		.amdhsa_fp16_overflow 0
		.amdhsa_workgroup_processor_mode 1
		.amdhsa_memory_ordered 1
		.amdhsa_forward_progress 0
		.amdhsa_shared_vgpr_count 0
		.amdhsa_exception_fp_ieee_invalid_op 0
		.amdhsa_exception_fp_denorm_src 0
		.amdhsa_exception_fp_ieee_div_zero 0
		.amdhsa_exception_fp_ieee_overflow 0
		.amdhsa_exception_fp_ieee_underflow 0
		.amdhsa_exception_fp_ieee_inexact 0
		.amdhsa_exception_int_div_zero 0
	.end_amdhsa_kernel
	.section	.text._ZN4vllm25paged_attention_v2_kernelIfhLi112ELi32ELi128ELNS_18Fp8KVCacheDataTypeE1ELb0ELi512EEEvPfS2_PT_PKS3_PKT0_S9_ifPKiSB_iPKfiiiSD_SD_iiiii,"axG",@progbits,_ZN4vllm25paged_attention_v2_kernelIfhLi112ELi32ELi128ELNS_18Fp8KVCacheDataTypeE1ELb0ELi512EEEvPfS2_PT_PKS3_PKT0_S9_ifPKiSB_iPKfiiiSD_SD_iiiii,comdat
.Lfunc_end280:
	.size	_ZN4vllm25paged_attention_v2_kernelIfhLi112ELi32ELi128ELNS_18Fp8KVCacheDataTypeE1ELb0ELi512EEEvPfS2_PT_PKS3_PKT0_S9_ifPKiSB_iPKfiiiSD_SD_iiiii, .Lfunc_end280-_ZN4vllm25paged_attention_v2_kernelIfhLi112ELi32ELi128ELNS_18Fp8KVCacheDataTypeE1ELb0ELi512EEEvPfS2_PT_PKS3_PKT0_S9_ifPKiSB_iPKfiiiSD_SD_iiiii
                                        ; -- End function
	.section	.AMDGPU.csdata,"",@progbits
; Kernel info:
; codeLenInByte = 232
; NumSgprs: 46
; NumVgprs: 192
; ScratchSize: 1080
; MemoryBound: 0
; FloatMode: 240
; IeeeMode: 1
; LDSByteSize: 480 bytes/workgroup (compile time only)
; SGPRBlocks: 5
; VGPRBlocks: 23
; NumSGPRsForWavesPerEU: 46
; NumVGPRsForWavesPerEU: 192
; Occupancy: 8
; WaveLimiterHint : 1
; COMPUTE_PGM_RSRC2:SCRATCH_EN: 1
; COMPUTE_PGM_RSRC2:USER_SGPR: 13
; COMPUTE_PGM_RSRC2:TRAP_HANDLER: 0
; COMPUTE_PGM_RSRC2:TGID_X_EN: 1
; COMPUTE_PGM_RSRC2:TGID_Y_EN: 1
; COMPUTE_PGM_RSRC2:TGID_Z_EN: 1
; COMPUTE_PGM_RSRC2:TIDIG_COMP_CNT: 0
	.text
	.p2align	2                               ; -- Begin function _ZN4vllm22paged_attention_kernelIfhLi120ELi32ELi128ELNS_18Fp8KVCacheDataTypeE1ELb0ELi512EEEvPfS2_PT_PKS3_PKT0_S9_ifPKiSB_iPKfiiiSD_SD_iiiii
	.type	_ZN4vllm22paged_attention_kernelIfhLi120ELi32ELi128ELNS_18Fp8KVCacheDataTypeE1ELb0ELi512EEEvPfS2_PT_PKS3_PKT0_S9_ifPKiSB_iPKfiiiSD_SD_iiiii,@function
_ZN4vllm22paged_attention_kernelIfhLi120ELi32ELi128ELNS_18Fp8KVCacheDataTypeE1ELb0ELi512EEEvPfS2_PT_PKS3_PKT0_S9_ifPKiSB_iPKfiiiSD_SD_iiiii: ; @_ZN4vllm22paged_attention_kernelIfhLi120ELi32ELi128ELNS_18Fp8KVCacheDataTypeE1ELb0ELi512EEEvPfS2_PT_PKS3_PKT0_S9_ifPKiSB_iPKfiiiSD_SD_iiiii
; %bb.0:
	s_waitcnt vmcnt(0) expcnt(0) lgkmcnt(0)
	s_clause 0x1f
	scratch_store_b32 off, v40, s32 offset:316
	; meta instruction
	scratch_store_b32 off, v41, s32 offset:312
	; meta instruction
	scratch_store_b32 off, v42, s32 offset:308
	; meta instruction
	scratch_store_b32 off, v43, s32 offset:304
	; meta instruction
	scratch_store_b32 off, v44, s32 offset:300
	; meta instruction
	scratch_store_b32 off, v45, s32 offset:296
	; meta instruction
	scratch_store_b32 off, v46, s32 offset:292
	; meta instruction
	scratch_store_b32 off, v47, s32 offset:288
	; meta instruction
	scratch_store_b32 off, v56, s32 offset:284
	; meta instruction
	scratch_store_b32 off, v57, s32 offset:280
	; meta instruction
	scratch_store_b32 off, v58, s32 offset:276
	; meta instruction
	scratch_store_b32 off, v59, s32 offset:272
	; meta instruction
	scratch_store_b32 off, v60, s32 offset:268
	; meta instruction
	scratch_store_b32 off, v61, s32 offset:264
	; meta instruction
	scratch_store_b32 off, v62, s32 offset:260
	; meta instruction
	scratch_store_b32 off, v63, s32 offset:256
	; meta instruction
	scratch_store_b32 off, v72, s32 offset:252
	; meta instruction
	scratch_store_b32 off, v73, s32 offset:248
	; meta instruction
	scratch_store_b32 off, v74, s32 offset:244
	; meta instruction
	scratch_store_b32 off, v75, s32 offset:240
	; meta instruction
	scratch_store_b32 off, v76, s32 offset:236
	; meta instruction
	scratch_store_b32 off, v77, s32 offset:232
	; meta instruction
	scratch_store_b32 off, v78, s32 offset:228
	; meta instruction
	scratch_store_b32 off, v79, s32 offset:224
	; meta instruction
	scratch_store_b32 off, v88, s32 offset:220
	; meta instruction
	scratch_store_b32 off, v89, s32 offset:216
	; meta instruction
	scratch_store_b32 off, v90, s32 offset:212
	; meta instruction
	scratch_store_b32 off, v91, s32 offset:208
	; meta instruction
	scratch_store_b32 off, v92, s32 offset:204
	; meta instruction
	scratch_store_b32 off, v93, s32 offset:200
	; meta instruction
	scratch_store_b32 off, v94, s32 offset:196
	; meta instruction
	scratch_store_b32 off, v95, s32 offset:192
	s_clause 0x1f
	scratch_store_b32 off, v104, s32 offset:188
	; meta instruction
	scratch_store_b32 off, v105, s32 offset:184
	; meta instruction
	;; [unrolled: 2-line block ×31, first 2 shown]
	scratch_store_b32 off, v159, s32 offset:64
	s_clause 0xf
	scratch_store_b32 off, v168, s32 offset:60
	; meta instruction
	scratch_store_b32 off, v169, s32 offset:56
	; meta instruction
	;; [unrolled: 2-line block ×15, first 2 shown]
	scratch_store_b32 off, v191, s32
	s_mov_b32 s10, s13
	s_ashr_i32 s11, s13, 31
	s_clause 0x1
	scratch_store_b64 off, v[24:25], s32 offset:584
	scratch_store_b32 off, v4, s32 offset:1096
	s_lshl_b64 s[0:1], s[10:11], 2
	v_mov_b32_e32 v25, v0
	v_add_co_u32 v0, vcc_lo, v16, s0
	v_dual_mov_b32 v29, v2 :: v_dual_mov_b32 v24, v1
	v_add_co_ci_u32_e32 v1, vcc_lo, s1, v17, vcc_lo
	v_dual_mov_b32 v187, v5 :: v_dual_mov_b32 v28, v3
	s_lshl_b32 s11, s14, 9
	flat_load_b32 v170, v[0:1]
	s_mov_b32 s16, exec_lo
	s_waitcnt vmcnt(0) lgkmcnt(0)
	v_cmpx_lt_i32_e64 s11, v170
	s_cbranch_execz .LBB281_2084
; %bb.1:
	v_sub_nc_u32_e32 v0, 0, v12
	s_clause 0x1
	s_load_b32 s0, s[8:9], 0x10
	s_load_b32 s1, s[8:9], 0x0
	s_mov_b32 s6, s15
	v_max_i32_e32 v0, v12, v0
	s_delay_alu instid0(VALU_DEP_1) | instskip(SKIP_1) | instid1(VALU_DEP_2)
	v_cvt_f32_u32_e32 v1, v0
	v_sub_nc_u32_e32 v2, 0, v0
	v_rcp_iflag_f32_e32 v1, v1
	s_waitcnt lgkmcnt(0)
	s_lshr_b32 s0, s0, 16
	s_delay_alu instid0(SALU_CYCLE_1)
	s_cmp_lg_u32 s0, 0
	s_cselect_b32 s0, -1, 0
	s_waitcnt_depctr 0xfff
	v_mul_f32_e32 v1, 0x4f7ffffe, v1
	s_cmp_lg_u32 s0, 0
	s_addc_u32 s15, s1, 0
	s_mov_b32 s1, exec_lo
	s_delay_alu instid0(VALU_DEP_1) | instskip(SKIP_1) | instid1(VALU_DEP_1)
	v_cvt_u32_f32_e32 v1, v1
	s_abs_i32 s0, s15
	v_mul_lo_u32 v2, v2, v1
	s_delay_alu instid0(VALU_DEP_1) | instskip(NEXT) | instid1(VALU_DEP_1)
	v_mul_hi_u32 v2, v1, v2
	v_add_nc_u32_e32 v1, v1, v2
	s_delay_alu instid0(VALU_DEP_1) | instskip(NEXT) | instid1(VALU_DEP_1)
	v_mul_hi_u32 v1, s0, v1
	v_mul_lo_u32 v2, v1, v0
	v_add_nc_u32_e32 v3, 1, v1
	s_delay_alu instid0(VALU_DEP_2) | instskip(SKIP_1) | instid1(VALU_DEP_1)
	v_sub_nc_u32_e32 v2, s0, v2
	s_abs_i32 s0, s12
	v_sub_nc_u32_e32 v4, v2, v0
	v_cmp_ge_u32_e32 vcc_lo, v2, v0
	s_delay_alu instid0(VALU_DEP_2) | instskip(SKIP_1) | instid1(VALU_DEP_2)
	v_dual_cndmask_b32 v1, v1, v3 :: v_dual_cndmask_b32 v2, v2, v4
	v_xor_b32_e32 v3, s15, v12
	v_add_nc_u32_e32 v4, 1, v1
	s_delay_alu instid0(VALU_DEP_3) | instskip(NEXT) | instid1(VALU_DEP_3)
	v_cmp_ge_u32_e32 vcc_lo, v2, v0
	v_ashrrev_i32_e32 v3, 31, v3
	s_delay_alu instid0(VALU_DEP_3) | instskip(NEXT) | instid1(VALU_DEP_1)
	v_cndmask_b32_e32 v0, v1, v4, vcc_lo
	v_xor_b32_e32 v0, v0, v3
	s_delay_alu instid0(VALU_DEP_1) | instskip(NEXT) | instid1(VALU_DEP_1)
	v_sub_nc_u32_e32 v3, v0, v3
	v_sub_nc_u32_e32 v0, 0, v3
	s_delay_alu instid0(VALU_DEP_1) | instskip(NEXT) | instid1(VALU_DEP_1)
	v_max_i32_e32 v2, v3, v0
	v_cvt_f32_u32_e32 v0, v2
	v_sub_nc_u32_e32 v1, 0, v2
	s_delay_alu instid0(VALU_DEP_2) | instskip(SKIP_2) | instid1(VALU_DEP_1)
	v_rcp_iflag_f32_e32 v0, v0
	s_waitcnt_depctr 0xfff
	v_mul_f32_e32 v0, 0x4f7ffffe, v0
	v_cvt_u32_f32_e32 v0, v0
	s_delay_alu instid0(VALU_DEP_1) | instskip(NEXT) | instid1(VALU_DEP_1)
	v_mul_lo_u32 v1, v1, v0
	v_mul_hi_u32 v1, v0, v1
	s_delay_alu instid0(VALU_DEP_1) | instskip(NEXT) | instid1(VALU_DEP_1)
	v_add_nc_u32_e32 v4, v0, v1
	v_mad_u64_u32 v[0:1], null, s0, v4, 0
	v_mov_b32_e32 v0, 0
	scratch_store_b32 off, v0, s32 offset:592 ; 4-byte Folded Spill
	v_cmpx_ne_u64_e32 0, v[19:20]
	s_cbranch_execz .LBB281_3
; %bb.2:
	s_ashr_i32 s13, s12, 31
	s_delay_alu instid0(SALU_CYCLE_1) | instskip(NEXT) | instid1(SALU_CYCLE_1)
	s_lshl_b64 s[2:3], s[12:13], 2
	v_add_co_u32 v4, vcc_lo, v19, s2
	v_add_co_ci_u32_e32 v5, vcc_lo, s3, v20, vcc_lo
	flat_load_b32 v0, v[4:5]
	s_waitcnt vmcnt(0) lgkmcnt(0)
	scratch_store_b32 off, v0, s32 offset:592 ; 4-byte Folded Spill
.LBB281_3:
	s_or_b32 exec_lo, exec_lo, s1
	v_and_b32_e32 v12, 0x3ff, v31
	v_ashrrev_i32_e32 v0, 31, v3
	s_ashr_i32 s1, s12, 31
	s_mul_i32 s4, s12, 0x78
	s_mov_b32 s2, exec_lo
	v_cmpx_gt_u32_e32 30, v12
	s_cbranch_execz .LBB281_5
; %bb.4:
	v_mul_lo_u32 v3, s10, v21
	s_ashr_i32 s5, s4, 31
	v_lshlrev_b32_e32 v16, 4, v12
	s_lshl_b64 s[18:19], s[4:5], 2
	s_delay_alu instid0(VALU_DEP_2) | instskip(NEXT) | instid1(VALU_DEP_1)
	v_ashrrev_i32_e32 v4, 31, v3
	v_lshlrev_b64 v[3:4], 2, v[3:4]
	s_delay_alu instid0(VALU_DEP_1) | instskip(NEXT) | instid1(VALU_DEP_2)
	v_add_co_u32 v3, vcc_lo, v6, v3
	v_add_co_ci_u32_e32 v4, vcc_lo, v7, v4, vcc_lo
	s_delay_alu instid0(VALU_DEP_2) | instskip(NEXT) | instid1(VALU_DEP_2)
	v_add_co_u32 v3, vcc_lo, v3, s18
	v_add_co_ci_u32_e32 v4, vcc_lo, s19, v4, vcc_lo
	s_delay_alu instid0(VALU_DEP_2) | instskip(NEXT) | instid1(VALU_DEP_2)
	v_add_co_u32 v3, vcc_lo, v3, v16
	v_add_co_ci_u32_e32 v4, vcc_lo, 0, v4, vcc_lo
	flat_load_b128 v[3:6], v[3:4]
	s_waitcnt vmcnt(0) lgkmcnt(0)
	ds_store_b128 v16, v[3:6]
.LBB281_5:
	s_or_b32 exec_lo, exec_lo, s2
	v_mul_lo_u32 v3, v1, v2
	v_add_nc_u32_e32 v5, 31, v170
	v_xor_b32_e32 v7, s1, v0
	s_lshl_b32 s13, s14, 4
	v_mul_lo_u32 v0, s10, v18
	s_clause 0x1
	s_load_b32 s17, s[8:9], 0x14
	s_load_b32 s5, s[8:9], 0x8
	v_mov_b32_e32 v171, 0xff7fffff
	v_sub_nc_u32_e32 v3, s0, v3
	s_add_i32 s0, s13, 16
	s_delay_alu instid0(VALU_DEP_1) | instskip(SKIP_1) | instid1(VALU_DEP_2)
	v_sub_nc_u32_e32 v6, v3, v2
	v_cmp_ge_u32_e32 vcc_lo, v3, v2
	v_dual_cndmask_b32 v3, v3, v6 :: v_dual_add_nc_u32 v4, 1, v1
	s_delay_alu instid0(VALU_DEP_1) | instskip(SKIP_1) | instid1(VALU_DEP_3)
	v_cndmask_b32_e32 v1, v1, v4, vcc_lo
	v_ashrrev_i32_e32 v4, 31, v5
	v_cmp_ge_u32_e32 vcc_lo, v3, v2
	s_delay_alu instid0(VALU_DEP_3) | instskip(NEXT) | instid1(VALU_DEP_3)
	v_add_nc_u32_e32 v6, 1, v1
	v_lshrrev_b32_e32 v4, 27, v4
	s_delay_alu instid0(VALU_DEP_1) | instskip(SKIP_1) | instid1(VALU_DEP_4)
	v_add_nc_u32_e32 v2, v5, v4
	v_lshrrev_b32_e32 v4, 5, v12
	v_dual_cndmask_b32 v1, v1, v6 :: v_dual_and_b32 v6, 31, v12
	s_delay_alu instid0(VALU_DEP_3) | instskip(NEXT) | instid1(VALU_DEP_3)
	v_ashrrev_i32_e32 v18, 5, v2
	v_add_nc_u32_e32 v2, s13, v4
	s_delay_alu instid0(VALU_DEP_3) | instskip(NEXT) | instid1(VALU_DEP_3)
	v_xor_b32_e32 v1, v1, v7
	v_min_i32_e32 v186, s0, v18
	s_delay_alu instid0(VALU_DEP_2) | instskip(SKIP_1) | instid1(VALU_DEP_3)
	v_sub_nc_u32_e32 v3, v1, v7
	v_ashrrev_i32_e32 v1, 31, v0
	v_cmp_ge_i32_e64 s0, v2, v186
	v_cmp_lt_i32_e32 vcc_lo, v2, v186
	s_delay_alu instid0(VALU_DEP_4) | instskip(NEXT) | instid1(VALU_DEP_4)
	v_mul_lo_u32 v19, v3, v23
	v_lshlrev_b64 v[16:17], 2, v[0:1]
	v_ashrrev_i32_e32 v3, 31, v2
	v_lshlrev_b32_e32 v23, 2, v6
	s_clause 0x1
	scratch_store_b32 off, v4, s32 offset:1092
	scratch_store_b64 off, v[2:3], s32 offset:1104
	v_ashrrev_i32_e32 v71, 31, v19
	s_waitcnt lgkmcnt(0)
	s_waitcnt_vscnt null, 0x0
	s_barrier
	buffer_gl0_inv
	s_mov_b32 s18, exec_lo
	s_delay_alu instid0(SALU_CYCLE_1)
	s_and_b32 s1, s18, vcc_lo
	scratch_store_b32 off, v6, s32 offset:1100 ; 4-byte Folded Spill
	s_mov_b32 exec_lo, s1
	s_cbranch_execz .LBB281_969
; %bb.6:
	v_dual_mov_b32 v95, 0 :: v_dual_lshlrev_b32 v0, 4, v6
	v_add_co_u32 v1, vcc_lo, v8, v19
	v_add_co_ci_u32_e32 v2, vcc_lo, v9, v71, vcc_lo
	s_clause 0x8
	scratch_store_b32 off, v18, s32 offset:1164
	scratch_store_b32 off, v29, s32 offset:1152
	;; [unrolled: 1-line block ×7, first 2 shown]
	scratch_store_b64 off, v[26:27], s32 offset:1124
	scratch_store_b32 off, v12, s32 offset:1112
	v_add_co_u32 v0, vcc_lo, v1, v0
	v_add_co_ci_u32_e32 v1, vcc_lo, 0, v2, vcc_lo
	scratch_load_b64 v[4:5], off, s32 offset:1104 ; 8-byte Folded Reload
	ds_load_b128 v[7:10], v95 offset:224
	s_ashr_i32 s7, s6, 31
	s_clause 0x1
	scratch_store_b64 off, v[0:1], s32 offset:596
	scratch_store_b32 off, v15, s32 offset:1116
	ds_load_b128 v[0:3], v95
	s_getpc_b64 s[2:3]
	s_add_u32 s2, s2, llvm.amdgcn.dynlds.offset.table@rel32@lo+4
	s_addc_u32 s3, s3, llvm.amdgcn.dynlds.offset.table@rel32@hi+12
	s_lshl_b64 s[8:9], s[6:7], 2
	s_clause 0x1
	scratch_store_b32 off, v19, s32 offset:1168
	scratch_store_b32 off, v23, s32 offset:1176
	s_add_u32 s2, s8, s2
	s_addc_u32 s3, s9, s3
	s_mov_b32 s9, 0x7f800001
	s_load_b32 s2, s[2:3], 0x0
	s_clause 0x1
	scratch_store_b32 off, v14, s32 offset:1120
	scratch_store_b64 off, v[16:17], s32 offset:1156
	v_mov_b32_e32 v171, 0xff7fffff
	s_waitcnt lgkmcnt(0)
	scratch_store_b128 off, v[7:10], s32 offset:828 ; 16-byte Folded Spill
	ds_load_b128 v[7:10], v95 offset:240
	scratch_store_b128 off, v[0:3], s32 offset:604 ; 16-byte Folded Spill
	ds_load_b128 v[0:3], v95 offset:16
	s_waitcnt lgkmcnt(1)
	scratch_store_b128 off, v[7:10], s32 offset:844 ; 16-byte Folded Spill
	ds_load_b128 v[7:10], v95 offset:256
	s_waitcnt lgkmcnt(1)
	;; [unrolled: 3-line block ×26, first 2 shown]
	scratch_store_b128 off, v[0:3], s32 offset:812 ; 16-byte Folded Spill
	s_clause 0x1
	scratch_load_b32 v2, off, s32 offset:592
	scratch_load_b32 v3, off, s32 offset:1092
	s_waitcnt lgkmcnt(0)
	scratch_store_b128 off, v[7:10], s32 offset:1052 ; 16-byte Folded Spill
	ds_load_b128 v[7:10], v95 offset:464
	scratch_store_b32 off, v71, s32 offset:1172 ; 4-byte Folded Spill
	s_waitcnt vmcnt(2)
	v_lshlrev_b64 v[0:1], 2, v[4:5]
	v_mov_b32_e32 v51, v4
	s_delay_alu instid0(VALU_DEP_2) | instskip(NEXT) | instid1(VALU_DEP_1)
	v_add_co_u32 v0, s1, v16, v0
	v_add_co_ci_u32_e64 v1, s1, v17, v1, s1
	s_delay_alu instid0(VALU_DEP_2) | instskip(NEXT) | instid1(VALU_DEP_1)
	v_add_co_u32 v106, s1, v14, v0
	v_add_co_ci_u32_e64 v107, s1, v15, v1, s1
	s_waitcnt lgkmcnt(0)
	s_clause 0x2
	scratch_store_b128 off, v[7:10], s32 offset:1068
	scratch_store_b32 off, v22, s32 offset:1084
	scratch_store_b32 off, v186, s32 offset:1088
	s_waitcnt vmcnt(1)
	v_cmp_neq_f32_e32 vcc_lo, 0, v2
	s_waitcnt vmcnt(0)
	v_lshlrev_b32_e32 v2, 5, v3
	v_lshl_or_b32 v3, v3, 7, v23
	s_delay_alu instid0(VALU_DEP_2) | instskip(NEXT) | instid1(VALU_DEP_2)
	v_add3_u32 v10, s11, v2, v6
	v_add_nc_u32_e32 v50, s2, v3
	s_mov_b32 s2, 0
	s_brev_b32 s3, 1
	s_mov_b32 s7, s2
	s_branch .LBB281_11
.LBB281_7:                              ;   in Loop: Header=BB281_11 Depth=1
	s_or_b32 exec_lo, exec_lo, s21
	v_lshlrev_b32_e32 v31, 24, v54
	v_lshlrev_b32_e32 v54, 20, v94
	v_lshl_add_u32 v30, v30, 23, 0x3c000000
	s_delay_alu instid0(VALU_DEP_3) | instskip(NEXT) | instid1(VALU_DEP_1)
	v_and_b32_e32 v31, 0x80000000, v31
	v_or3_b32 v31, v54, v31, v30
	v_mov_b32_e32 v30, v95
.LBB281_8:                              ;   in Loop: Header=BB281_11 Depth=1
	s_or_b32 exec_lo, exec_lo, s8
.LBB281_9:                              ;   in Loop: Header=BB281_11 Depth=1
	s_delay_alu instid0(SALU_CYCLE_1)
	s_or_b32 exec_lo, exec_lo, s20
.LBB281_10:                             ;   in Loop: Header=BB281_11 Depth=1
	s_delay_alu instid0(SALU_CYCLE_1)
	s_or_b32 exec_lo, exec_lo, s19
	v_or_b32_e32 v54, v34, v156
	v_or_b32_e32 v35, v35, v157
	;; [unrolled: 1-line block ×5, first 2 shown]
	v_mul_f32_e32 v94, v174, v54
	v_or_b32_e32 v54, v126, v138
	v_mul_f32_e32 v34, v174, v35
	v_or_b32_e32 v35, v39, v159
	v_or_b32_e32 v39, v8, v122
	;; [unrolled: 1-line block ×3, first 2 shown]
	v_mul_f32_e32 v122, v174, v54
	v_or_b32_e32 v54, v2, v104
	v_mul_f32_e32 v2, v174, v3
	v_or_b32_e32 v3, v111, v67
	scratch_load_b64 v[66:67], off, s32 offset:576 ; 8-byte Folded Reload
	v_mul_f32_e32 v110, v174, v55
	v_mul_f32_e32 v104, v174, v54
	v_or_b32_e32 v54, v184, v188
	v_or_b32_e32 v55, v168, v172
	;; [unrolled: 1-line block ×5, first 2 shown]
	v_mul_f32_e32 v105, v174, v54
	v_or_b32_e32 v54, v92, v4
	v_mul_f32_e32 v4, v174, v5
	v_mul_f32_e32 v111, v174, v55
	v_or_b32_e32 v55, v108, v120
	v_mul_f32_e32 v20, v174, v21
	;; [unrolled: 3-line block ×3, first 2 shown]
	v_mul_f32_e32 v120, v174, v55
	v_or_b32_e32 v55, v124, v136
	v_or_b32_e32 v24, v73, v75
	v_mul_f32_e32 v92, v174, v54
	v_or_b32_e32 v54, v169, v173
	v_or_b32_e32 v25, v72, v74
	;; [unrolled: 1-line block ×3, first 2 shown]
	v_cmp_lt_i32_e64 s1, v10, v170
	v_add_nc_u32_e32 v51, 4, v51
	v_mul_f32_e32 v93, v174, v54
	v_or_b32_e32 v54, v109, v121
	v_mul_f32_e32 v121, v174, v55
	v_or_b32_e32 v55, v88, v90
	s_delay_alu instid0(VALU_DEP_3) | instskip(SKIP_1) | instid1(VALU_DEP_1)
	v_mul_f32_e32 v108, v174, v54
	v_or_b32_e32 v54, v125, v137
	v_mul_f32_e32 v109, v174, v54
	v_or_b32_e32 v54, v89, v91
	v_mul_f32_e32 v89, v174, v55
	v_or_b32_e32 v55, v56, v58
	s_delay_alu instid0(VALU_DEP_3) | instskip(SKIP_1) | instid1(VALU_DEP_3)
	v_mul_f32_e32 v88, v174, v54
	v_or_b32_e32 v54, v76, v78
	v_mul_f32_e32 v58, v174, v55
	v_or_b32_e32 v55, v60, v62
	s_delay_alu instid0(VALU_DEP_3) | instskip(SKIP_1) | instid1(VALU_DEP_3)
	v_mul_f32_e32 v73, v174, v54
	v_or_b32_e32 v54, v57, v59
	v_mul_f32_e32 v59, v174, v55
	v_or_b32_e32 v55, v40, v42
	;; [unrolled: 5-line block ×4, first 2 shown]
	s_delay_alu instid0(VALU_DEP_3) | instskip(SKIP_1) | instid1(VALU_DEP_1)
	v_mul_f32_e32 v40, v174, v54
	v_or_b32_e32 v54, v45, v47
	v_mul_f32_e32 v41, v174, v54
	v_or_b32_e32 v54, v177, v179
	;; [unrolled: 2-line block ×3, first 2 shown]
	s_delay_alu instid0(VALU_DEP_3) | instskip(SKIP_1) | instid1(VALU_DEP_3)
	v_mul_f32_e32 v176, v174, v54
	v_or_b32_e32 v54, v181, v183
	v_mul_f32_e32 v178, v174, v55
	v_or_b32_e32 v55, v160, v162
	s_delay_alu instid0(VALU_DEP_3) | instskip(SKIP_1) | instid1(VALU_DEP_3)
	v_mul_f32_e32 v177, v174, v54
	v_or_b32_e32 v54, v161, v163
	v_mul_f32_e32 v162, v174, v55
	v_or_b32_e32 v55, v164, v166
	;; [unrolled: 5-line block ×12, first 2 shown]
	s_delay_alu instid0(VALU_DEP_3) | instskip(SKIP_1) | instid1(VALU_DEP_3)
	v_mul_f32_e32 v80, v174, v54
	v_or_b32_e32 v54, v85, v87
	v_mul_f32_e32 v83, v174, v55
	s_delay_alu instid0(VALU_DEP_2) | instskip(SKIP_3) | instid1(VALU_DEP_2)
	v_mul_f32_e32 v81, v174, v54
	s_waitcnt vmcnt(0)
	v_or_b32_e32 v54, v65, v67
	v_or_b32_e32 v55, v64, v66
	v_mul_f32_e32 v64, v174, v54
	s_delay_alu instid0(VALU_DEP_2) | instskip(SKIP_2) | instid1(VALU_DEP_2)
	v_mul_f32_e32 v66, v174, v55
	v_or_b32_e32 v54, v69, v71
	v_or_b32_e32 v55, v68, v70
	v_mul_f32_e32 v65, v174, v54
	s_delay_alu instid0(VALU_DEP_2) | instskip(SKIP_4) | instid1(VALU_DEP_2)
	v_mul_f32_e32 v67, v174, v55
	scratch_load_b64 v[54:55], off, s32 offset:560 ; 8-byte Folded Reload
	s_waitcnt vmcnt(0)
	v_or_b32_e32 v54, v48, v54
	v_or_b32_e32 v49, v49, v55
	v_mul_f32_e32 v68, v174, v54
	scratch_load_b64 v[54:55], off, s32 offset:568 ; 8-byte Folded Reload
	v_mul_f32_e32 v48, v174, v49
	s_waitcnt vmcnt(0)
	v_or_b32_e32 v49, v53, v55
	v_or_b32_e32 v52, v52, v54
	scratch_load_b64 v[53:54], off, s32 offset:544 ; 8-byte Folded Reload
	v_mul_f32_e32 v49, v174, v49
	v_mul_f32_e32 v52, v174, v52
	s_waitcnt vmcnt(0)
	v_or_b32_e32 v33, v33, v54
	scratch_load_b64 v[54:55], off, s32 offset:552 ; 8-byte Folded Reload
	v_or_b32_e32 v53, v32, v53
	v_mul_f32_e32 v32, v174, v33
	s_delay_alu instid0(VALU_DEP_2)
	v_mul_f32_e32 v53, v174, v53
	s_waitcnt vmcnt(0)
	v_or_b32_e32 v33, v37, v55
	v_or_b32_e32 v36, v36, v54
	scratch_load_b64 v[54:55], off, s32 offset:528 ; 8-byte Folded Reload
	v_mul_f32_e32 v33, v174, v33
	v_mul_f32_e32 v36, v174, v36
	s_waitcnt vmcnt(0)
	v_or_b32_e32 v17, v17, v55
	v_or_b32_e32 v16, v16, v54
	scratch_load_b64 v[54:55], off, s32 offset:536 ; 8-byte Folded Reload
	v_mul_f32_e32 v17, v174, v17
	v_mul_f32_e32 v37, v174, v16
	s_waitcnt vmcnt(0)
	v_or_b32_e32 v16, v29, v55
	v_or_b32_e32 v29, v28, v54
	scratch_load_b64 v[54:55], off, s32 offset:512 ; 8-byte Folded Reload
	v_mul_f32_e32 v28, v174, v16
	v_mul_f32_e32 v29, v174, v29
	s_waitcnt vmcnt(0)
	v_or_b32_e32 v16, v27, v55
	v_or_b32_e32 v26, v26, v54
	scratch_load_b64 v[54:55], off, s32 offset:520 ; 8-byte Folded Reload
	v_mul_f32_e32 v27, v174, v16
	v_mul_f32_e32 v26, v174, v26
	s_waitcnt vmcnt(0)
	v_or_b32_e32 v7, v7, v55
	v_or_b32_e32 v6, v6, v54
	s_delay_alu instid0(VALU_DEP_2) | instskip(NEXT) | instid1(VALU_DEP_2)
	v_mul_f32_e32 v54, v174, v7
	v_mul_f32_e32 v55, v174, v6
	scratch_load_b64 v[6:7], off, s32 offset:496 ; 8-byte Folded Reload
	s_waitcnt vmcnt(0)
	v_or_b32_e32 v1, v1, v7
	v_or_b32_e32 v0, v0, v6
	scratch_load_b64 v[6:7], off, s32 offset:504 ; 8-byte Folded Reload
	v_mul_f32_e32 v69, v174, v1
	v_mul_f32_e32 v70, v174, v0
	s_waitcnt vmcnt(0)
	v_or_b32_e32 v0, v15, v7
	v_or_b32_e32 v1, v14, v6
	scratch_load_b64 v[6:7], off, s32 offset:480 ; 8-byte Folded Reload
	v_mul_f32_e32 v71, v174, v0
	v_mul_f32_e32 v84, v174, v1
	;; [unrolled: 6-line block ×3, first 2 shown]
	s_waitcnt vmcnt(0)
	v_or_b32_e32 v0, v12, v7
	v_or_b32_e32 v1, v11, v6
	s_clause 0x1
	scratch_load_b64 v[6:7], off, s32 offset:448
	scratch_load_b64 v[11:12], off, s32 offset:456
	v_mul_f32_e32 v87, v174, v0
	v_mul_f32_e32 v100, v174, v1
	s_waitcnt vmcnt(0)
	v_or_b32_e32 v0, v7, v12
	v_or_b32_e32 v1, v6, v11
	s_clause 0x1
	scratch_load_b64 v[6:7], off, s32 offset:464
	scratch_load_b64 v[11:12], off, s32 offset:472
	v_mul_f32_e32 v101, v174, v0
	v_mul_f32_e32 v102, v174, v1
	;; [unrolled: 8-line block ×9, first 2 shown]
	s_waitcnt vmcnt(0)
	v_or_b32_e32 v0, v150, v7
	v_or_b32_e32 v1, v149, v6
	s_clause 0x2
	scratch_load_b64 v[6:7], off, s32 offset:336
	scratch_load_b64 v[164:165], off, s32 offset:344
	scratch_load_b128 v[44:47], off, s32 offset:620
	v_mul_f32_e32 v3, v174, v3
	v_mul_f32_e32 v149, v174, v0
	;; [unrolled: 1-line block ×3, first 2 shown]
	scratch_load_b128 v[180:183], off, s32 offset:604 ; 16-byte Folded Reload
	s_waitcnt vmcnt(2)
	v_or_b32_e32 v1, v164, v6
	s_waitcnt vmcnt(1)
	v_dual_mul_f32 v12, v44, v12 :: v_dual_mul_f32 v123, v174, v23
	v_or_b32_e32 v23, v185, v189
	v_mul_f32_e32 v14, v45, v14
	v_mul_f32_e32 v164, v174, v1
	s_waitcnt vmcnt(0)
	v_fmac_f32_e32 v12, v180, v150
	scratch_load_b32 v1, off, s32 offset:592 ; 4-byte Folded Reload
	v_mul_f32_e32 v23, v174, v23
	v_mul_f32_e32 v15, v46, v15
	v_or_b32_e32 v0, v165, v7
	v_fmac_f32_e32 v14, v181, v149
	v_mul_f32_e32 v16, v47, v16
	v_mul_f32_e32 v72, v174, v25
	v_fmac_f32_e32 v15, v182, v164
	scratch_load_b128 v[164:167], off, s32 offset:636 ; 16-byte Folded Reload
	v_mul_f32_e32 v151, v174, v0
	v_or_b32_e32 v25, v77, v79
	v_sub_nc_u32_e32 v0, 1, v170
	v_mul_f32_e32 v35, v174, v35
	v_or_b32_e32 v6, v152, v18
	v_fmac_f32_e32 v16, v183, v151
	s_delay_alu instid0(VALU_DEP_4) | instskip(SKIP_1) | instid1(VALU_DEP_2)
	v_add_nc_u32_e32 v0, v0, v10
	v_add_nc_u32_e32 v10, 0x80, v10
	v_cvt_f32_i32_e32 v0, v0
	s_waitcnt vmcnt(1)
	s_delay_alu instid0(VALU_DEP_1) | instskip(SKIP_1) | instid1(VALU_DEP_2)
	v_dual_mul_f32 v39, v174, v39 :: v_dual_mul_f32 v0, v1, v0
	v_or_b32_e32 v1, v153, v19
	v_cndmask_b32_e32 v0, 0, v0, vcc_lo
	s_waitcnt vmcnt(0)
	v_fmac_f32_e32 v15, v166, v148
	scratch_load_b128 v[148:151], off, s32 offset:652 ; 16-byte Folded Reload
	v_fmac_f32_e32 v12, v164, v134
	v_fmac_f32_e32 v14, v165, v133
	v_dual_fmac_f32 v16, v167, v135 :: v_dual_mul_f32 v25, v174, v25
	v_mul_f32_e32 v24, v174, v24
	s_waitcnt vmcnt(0)
	v_fmac_f32_e32 v15, v150, v132
	scratch_load_b128 v[132:135], off, s32 offset:668 ; 16-byte Folded Reload
	v_fmac_f32_e32 v12, v148, v118
	v_fmac_f32_e32 v14, v149, v117
	s_waitcnt vmcnt(0)
	v_dual_fmac_f32 v16, v151, v119 :: v_dual_fmac_f32 v15, v134, v116
	scratch_load_b128 v[116:119], off, s32 offset:684 ; 16-byte Folded Reload
	v_fmac_f32_e32 v12, v132, v102
	v_fmac_f32_e32 v14, v133, v101
	s_waitcnt vmcnt(0)
	v_dual_fmac_f32 v16, v135, v103 :: v_dual_fmac_f32 v15, v118, v100
	;; [unrolled: 5-line block ×3, first 2 shown]
	scratch_load_b128 v[84:87], off, s32 offset:716 ; 16-byte Folded Reload
	v_fmac_f32_e32 v12, v100, v70
	v_fmac_f32_e32 v14, v101, v69
	;; [unrolled: 1-line block ×3, first 2 shown]
	s_waitcnt vmcnt(0)
	s_delay_alu instid0(VALU_DEP_3) | instskip(NEXT) | instid1(VALU_DEP_3)
	v_fmac_f32_e32 v12, v84, v26
	v_fmac_f32_e32 v14, v85, v27
	s_delay_alu instid0(VALU_DEP_3)
	v_dual_fmac_f32 v15, v86, v55 :: v_dual_fmac_f32 v16, v87, v54
	scratch_load_b128 v[84:87], off, s32 offset:732 ; 16-byte Folded Reload
	s_waitcnt vmcnt(0)
	v_dual_fmac_f32 v15, v86, v29 :: v_dual_fmac_f32 v16, v87, v28
	scratch_load_b128 v[26:29], off, s32 offset:748 ; 16-byte Folded Reload
	v_fmac_f32_e32 v12, v84, v37
	v_fmac_f32_e32 v14, v85, v17
	s_waitcnt vmcnt(0)
	s_delay_alu instid0(VALU_DEP_2) | instskip(NEXT) | instid1(VALU_DEP_2)
	v_fmac_f32_e32 v12, v26, v53
	v_fmac_f32_e32 v14, v27, v32
	v_dual_fmac_f32 v15, v28, v36 :: v_dual_fmac_f32 v16, v29, v33
	scratch_load_b128 v[26:29], off, s32 offset:764 ; 16-byte Folded Reload
	s_waitcnt vmcnt(0)
	v_fmac_f32_e32 v12, v26, v68
	v_fmac_f32_e32 v14, v27, v48
	v_dual_fmac_f32 v15, v28, v52 :: v_dual_fmac_f32 v16, v29, v49
	scratch_load_b128 v[26:29], off, s32 offset:780 ; 16-byte Folded Reload
	s_waitcnt vmcnt(0)
	v_fmac_f32_e32 v12, v26, v66
	v_fmac_f32_e32 v14, v27, v64
	v_fmac_f32_e32 v16, v29, v65
	v_dual_mul_f32 v38, v174, v38 :: v_dual_fmac_f32 v15, v28, v67
	scratch_load_b128 v[26:29], off, s32 offset:796 ; 16-byte Folded Reload
	v_mul_f32_e32 v8, v174, v9
	v_or_b32_e32 v9, v127, v139
	s_delay_alu instid0(VALU_DEP_1)
	v_mul_f32_e32 v9, v174, v9
	s_waitcnt vmcnt(0)
	v_fmac_f32_e32 v12, v26, v82
	v_dual_fmac_f32 v14, v27, v80 :: v_dual_fmac_f32 v15, v28, v83
	v_fmac_f32_e32 v16, v29, v81
	scratch_load_b128 v[26:29], off, s32 offset:812 ; 16-byte Folded Reload
	s_waitcnt vmcnt(0)
	v_fmac_f32_e32 v12, v26, v98
	v_dual_fmac_f32 v14, v27, v96 :: v_dual_fmac_f32 v15, v28, v99
	v_fmac_f32_e32 v16, v29, v97
	scratch_load_b128 v[26:29], off, s32 offset:828 ; 16-byte Folded Reload
	;; [unrolled: 5-line block ×7, first 2 shown]
	v_mul_f32_e32 v7, v174, v1
	v_or_b32_e32 v1, v31, v143
	s_waitcnt vmcnt(0)
	v_fmac_f32_e32 v14, v27, v40
	v_dual_fmac_f32 v12, v26, v42 :: v_dual_fmac_f32 v15, v28, v43
	v_fmac_f32_e32 v16, v29, v41
	scratch_load_b128 v[26:29], off, s32 offset:924 ; 16-byte Folded Reload
	v_mul_f32_e32 v11, v174, v6
	v_or_b32_e32 v6, v30, v142
	s_delay_alu instid0(VALU_DEP_1)
	v_mul_f32_e32 v6, v174, v6
	s_waitcnt vmcnt(0)
	v_fmac_f32_e32 v14, v27, v56
	v_dual_fmac_f32 v12, v26, v58 :: v_dual_fmac_f32 v15, v28, v59
	v_fmac_f32_e32 v16, v29, v57
	scratch_load_b128 v[26:29], off, s32 offset:940 ; 16-byte Folded Reload
	s_waitcnt vmcnt(0)
	v_dual_mul_f32 v1, v174, v1 :: v_dual_fmac_f32 v14, v27, v24
	v_fmac_f32_e32 v12, v26, v72
	v_fmac_f32_e32 v16, v29, v25
	scratch_load_b128 v[24:27], off, s32 offset:956 ; 16-byte Folded Reload
	s_waitcnt vmcnt(0)
	v_dual_fmac_f32 v15, v28, v73 :: v_dual_fmac_f32 v16, v27, v20
	scratch_load_b128 v[17:20], off, s32 offset:972 ; 16-byte Folded Reload
	v_fmac_f32_e32 v12, v24, v89
	v_dual_fmac_f32 v14, v25, v88 :: v_dual_fmac_f32 v15, v26, v21
	s_waitcnt vmcnt(0)
	s_delay_alu instid0(VALU_DEP_1) | instskip(NEXT) | instid1(VALU_DEP_3)
	v_dual_fmac_f32 v14, v18, v108 :: v_dual_fmac_f32 v15, v19, v121
	v_fmac_f32_e32 v12, v17, v120
	v_fmac_f32_e32 v16, v20, v109
	scratch_load_b128 v[17:20], off, s32 offset:988 ; 16-byte Folded Reload
	s_waitcnt vmcnt(0)
	v_fmac_f32_e32 v12, v17, v110
	v_dual_fmac_f32 v14, v18, v92 :: v_dual_fmac_f32 v15, v19, v111
	v_fmac_f32_e32 v16, v20, v93
	scratch_load_b128 v[17:20], off, s32 offset:1004 ; 16-byte Folded Reload
	s_waitcnt vmcnt(0)
	v_fmac_f32_e32 v16, v20, v4
	v_fmac_f32_e32 v12, v17, v105
	v_dual_fmac_f32 v14, v18, v23 :: v_dual_fmac_f32 v15, v19, v5
	scratch_load_b128 v[17:20], off, s32 offset:1020 ; 16-byte Folded Reload
	s_waitcnt vmcnt(0)
	v_fmac_f32_e32 v14, v18, v2
	v_fmac_f32_e32 v16, v20, v3
	scratch_load_b128 v[2:5], off, s32 offset:1036 ; 16-byte Folded Reload
	v_dual_fmac_f32 v12, v17, v104 :: v_dual_fmac_f32 v15, v19, v123
	s_waitcnt vmcnt(0)
	s_delay_alu instid0(VALU_DEP_1) | instskip(NEXT) | instid1(VALU_DEP_2)
	v_fmac_f32_e32 v12, v2, v39
	v_dual_fmac_f32 v14, v3, v8 :: v_dual_fmac_f32 v15, v4, v122
	v_fmac_f32_e32 v16, v5, v9
	scratch_load_b128 v[2:5], off, s32 offset:1052 ; 16-byte Folded Reload
	s_waitcnt vmcnt(0)
	v_fmac_f32_e32 v12, v2, v94
	v_fmac_f32_e32 v14, v3, v34
	v_dual_fmac_f32 v15, v4, v38 :: v_dual_fmac_f32 v16, v5, v35
	scratch_load_b128 v[2:5], off, s32 offset:1068 ; 16-byte Folded Reload
	s_waitcnt vmcnt(0)
	v_fmac_f32_e32 v12, v2, v11
	v_dual_fmac_f32 v14, v3, v7 :: v_dual_fmac_f32 v15, v4, v6
	s_delay_alu instid0(VALU_DEP_1) | instskip(NEXT) | instid1(VALU_DEP_1)
	v_dual_fmac_f32 v16, v5, v1 :: v_dual_add_f32 v1, v12, v14
	v_add_f32_e32 v1, v15, v1
	s_delay_alu instid0(VALU_DEP_1) | instskip(NEXT) | instid1(VALU_DEP_1)
	v_add_f32_e32 v1, v16, v1
	v_fmac_f32_e32 v0, v1, v13
	s_delay_alu instid0(VALU_DEP_1) | instskip(SKIP_2) | instid1(VALU_DEP_1)
	v_cndmask_b32_e64 v1, 0, v0, s1
	ds_store_b32 v50, v1
	v_dual_max_f32 v1, v171, v171 :: v_dual_add_nc_u32 v50, 0x200, v50
	v_max_f32_e32 v0, v1, v0
	s_delay_alu instid0(VALU_DEP_1) | instskip(SKIP_1) | instid1(VALU_DEP_1)
	v_cndmask_b32_e64 v171, v171, v0, s1
	v_add_co_u32 v106, s1, v106, 16
	v_add_co_ci_u32_e64 v107, s1, 0, v107, s1
	v_cmp_ge_i32_e64 s1, v51, v186
	s_delay_alu instid0(VALU_DEP_1) | instskip(NEXT) | instid1(SALU_CYCLE_1)
	s_or_b32 s7, s1, s7
	s_and_not1_b32 exec_lo, exec_lo, s7
	s_cbranch_execz .LBB281_968
.LBB281_11:                             ; =>This Inner Loop Header: Depth=1
	flat_load_b32 v0, v[106:107]
	scratch_load_b64 v[1:2], off, s32 offset:596 ; 8-byte Folded Reload
	s_mov_b32 s8, exec_lo
	s_waitcnt vmcnt(0) lgkmcnt(0)
	v_mad_i64_i32 v[152:153], null, v0, v22, v[1:2]
	flat_load_b32 v0, v[152:153]
	scratch_load_b64 v[1:2], off, s32 offset:584 ; 8-byte Folded Reload
	s_waitcnt vmcnt(0)
	flat_load_b32 v174, v[1:2]
	s_waitcnt lgkmcnt(1)
	v_dual_mov_b32 v2, 0 :: v_dual_and_b32 v1, 0xff, v0
	v_mov_b32_e32 v3, 0
	s_clause 0x1
	scratch_store_b64 off, v[2:3], s32 offset:328
	scratch_store_b64 off, v[2:3], s32 offset:320
	v_cmpx_ne_u16_e32 0, v1
	s_cbranch_execz .LBB281_19
; %bb.12:                               ;   in Loop: Header=BB281_11 Depth=1
	v_bfrev_b32_e32 v2, 1
	v_mov_b32_e32 v3, 0
	s_mov_b32 s19, exec_lo
	scratch_store_b64 off, v[2:3], s32 offset:320 ; 8-byte Folded Spill
	v_cmpx_ne_u16_e32 0x80, v1
	s_cbranch_execz .LBB281_18
; %bb.13:                               ;   in Loop: Header=BB281_11 Depth=1
	v_mov_b32_e32 v3, 0x7f800001
	v_and_b32_e32 v2, 0x7f, v0
	v_mov_b32_e32 v4, 0
	s_mov_b32 s20, exec_lo
	scratch_store_b64 off, v[3:4], s32 offset:320 ; 8-byte Folded Spill
	v_cmpx_ne_u32_e32 0x7f, v2
	s_cbranch_execz .LBB281_17
; %bb.14:                               ;   in Loop: Header=BB281_11 Depth=1
	v_and_b32_e32 v94, 7, v0
	v_lshrrev_b32_e32 v1, 3, v2
	s_mov_b32 s21, exec_lo
	v_cmpx_gt_u32_e32 8, v2
; %bb.15:                               ;   in Loop: Header=BB281_11 Depth=1
	s_delay_alu instid0(VALU_DEP_3) | instskip(NEXT) | instid1(VALU_DEP_1)
	v_clz_i32_u32_e32 v1, v94
	v_min_u32_e32 v1, 32, v1
	s_delay_alu instid0(VALU_DEP_1) | instskip(SKIP_1) | instid1(VALU_DEP_2)
	v_subrev_nc_u32_e32 v2, 28, v1
	v_sub_nc_u32_e32 v1, 29, v1
	v_lshlrev_b64 v[2:3], v2, v[94:95]
	s_delay_alu instid0(VALU_DEP_1)
	v_and_b32_e32 v94, 7, v2
; %bb.16:                               ;   in Loop: Header=BB281_11 Depth=1
	s_or_b32 exec_lo, exec_lo, s21
	v_lshlrev_b32_e32 v2, 24, v0
	s_delay_alu instid0(VALU_DEP_2) | instskip(SKIP_1) | instid1(VALU_DEP_3)
	v_lshlrev_b32_e32 v3, 20, v94
	v_lshl_add_u32 v1, v1, 23, 0x3c000000
	v_and_b32_e32 v2, 0x80000000, v2
	s_delay_alu instid0(VALU_DEP_1)
	v_or3_b32 v94, v3, v2, v1
	scratch_store_b64 off, v[94:95], s32 offset:320 ; 8-byte Folded Spill
.LBB281_17:                             ;   in Loop: Header=BB281_11 Depth=1
	s_or_b32 exec_lo, exec_lo, s20
.LBB281_18:                             ;   in Loop: Header=BB281_11 Depth=1
	s_delay_alu instid0(SALU_CYCLE_1)
	s_or_b32 exec_lo, exec_lo, s19
.LBB281_19:                             ;   in Loop: Header=BB281_11 Depth=1
	s_delay_alu instid0(SALU_CYCLE_1) | instskip(SKIP_2) | instid1(VALU_DEP_1)
	s_or_b32 exec_lo, exec_lo, s8
	v_lshrrev_b16 v1, 8, v0
	s_mov_b32 s19, exec_lo
	v_cmpx_ne_u16_e32 0, v1
	s_cbranch_execz .LBB281_27
; %bb.20:                               ;   in Loop: Header=BB281_11 Depth=1
	v_dual_mov_b32 v2, s2 :: v_dual_mov_b32 v3, s3
	s_mov_b32 s20, exec_lo
	scratch_store_b64 off, v[2:3], s32 offset:328 ; 8-byte Folded Spill
	v_cmpx_ne_u16_e32 0x80, v1
	s_cbranch_execz .LBB281_26
; %bb.21:                               ;   in Loop: Header=BB281_11 Depth=1
	s_mov_b32 s8, s2
	v_and_b32_e32 v1, 0xffff, v1
	v_dual_mov_b32 v3, s8 :: v_dual_mov_b32 v4, s9
	s_mov_b32 s8, exec_lo
	s_delay_alu instid0(VALU_DEP_2)
	v_and_b32_e32 v2, 0x7f, v1
	scratch_store_b64 off, v[3:4], s32 offset:328 ; 8-byte Folded Spill
	v_cmpx_ne_u32_e32 0x7f, v2
	s_cbranch_execz .LBB281_25
; %bb.22:                               ;   in Loop: Header=BB281_11 Depth=1
	v_and_b32_e32 v94, 7, v1
	v_lshrrev_b32_e32 v1, 3, v2
	s_mov_b32 s21, exec_lo
	v_cmpx_gt_u32_e32 8, v2
; %bb.23:                               ;   in Loop: Header=BB281_11 Depth=1
	s_delay_alu instid0(VALU_DEP_3) | instskip(NEXT) | instid1(VALU_DEP_1)
	v_clz_i32_u32_e32 v1, v94
	v_min_u32_e32 v1, 32, v1
	s_delay_alu instid0(VALU_DEP_1) | instskip(SKIP_1) | instid1(VALU_DEP_2)
	v_subrev_nc_u32_e32 v2, 28, v1
	v_sub_nc_u32_e32 v1, 29, v1
	v_lshlrev_b64 v[2:3], v2, v[94:95]
	s_delay_alu instid0(VALU_DEP_1)
	v_and_b32_e32 v94, 7, v2
; %bb.24:                               ;   in Loop: Header=BB281_11 Depth=1
	s_or_b32 exec_lo, exec_lo, s21
	v_lshlrev_b32_e32 v2, 16, v0
	s_delay_alu instid0(VALU_DEP_2) | instskip(SKIP_1) | instid1(VALU_DEP_3)
	v_lshlrev_b32_e32 v3, 20, v94
	v_lshl_add_u32 v1, v1, 23, 0x3c000000
	v_and_b32_e32 v2, 0x80000000, v2
	s_delay_alu instid0(VALU_DEP_1)
	v_or3_b32 v2, v3, v2, v1
	v_mov_b32_e32 v1, v95
	scratch_store_b64 off, v[1:2], s32 offset:328 ; 8-byte Folded Spill
.LBB281_25:                             ;   in Loop: Header=BB281_11 Depth=1
	s_or_b32 exec_lo, exec_lo, s8
.LBB281_26:                             ;   in Loop: Header=BB281_11 Depth=1
	s_delay_alu instid0(SALU_CYCLE_1)
	s_or_b32 exec_lo, exec_lo, s20
.LBB281_27:                             ;   in Loop: Header=BB281_11 Depth=1
	s_delay_alu instid0(SALU_CYCLE_1)
	s_or_b32 exec_lo, exec_lo, s19
	v_lshrrev_b32_e32 v1, 16, v0
	v_mov_b32_e32 v3, 0
	v_mov_b32_e32 v4, 0
	s_mov_b32 s8, exec_lo
	s_clause 0x1
	scratch_store_b64 off, v[3:4], s32 offset:344
	scratch_store_b64 off, v[3:4], s32 offset:336
	v_and_b32_e32 v2, 0xff, v1
	s_delay_alu instid0(VALU_DEP_1)
	v_cmpx_ne_u16_e32 0, v2
	s_cbranch_execz .LBB281_35
; %bb.28:                               ;   in Loop: Header=BB281_11 Depth=1
	v_bfrev_b32_e32 v3, 1
	v_mov_b32_e32 v4, 0
	s_mov_b32 s19, exec_lo
	scratch_store_b64 off, v[3:4], s32 offset:336 ; 8-byte Folded Spill
	v_cmpx_ne_u16_e32 0x80, v2
	s_cbranch_execz .LBB281_34
; %bb.29:                               ;   in Loop: Header=BB281_11 Depth=1
	v_mov_b32_e32 v4, 0x7f800001
	v_bfe_u32 v3, v0, 16, 7
	v_mov_b32_e32 v5, 0
	s_mov_b32 s20, exec_lo
	scratch_store_b64 off, v[4:5], s32 offset:336 ; 8-byte Folded Spill
	v_cmpx_ne_u32_e32 0x7f, v3
	s_cbranch_execz .LBB281_33
; %bb.30:                               ;   in Loop: Header=BB281_11 Depth=1
	v_and_b32_e32 v94, 7, v1
	v_lshrrev_b32_e32 v2, 3, v3
	s_mov_b32 s21, exec_lo
	v_cmpx_gt_u32_e32 8, v3
; %bb.31:                               ;   in Loop: Header=BB281_11 Depth=1
	s_delay_alu instid0(VALU_DEP_3) | instskip(NEXT) | instid1(VALU_DEP_1)
	v_clz_i32_u32_e32 v2, v94
	v_min_u32_e32 v2, 32, v2
	s_delay_alu instid0(VALU_DEP_1) | instskip(SKIP_1) | instid1(VALU_DEP_2)
	v_subrev_nc_u32_e32 v3, 28, v2
	v_sub_nc_u32_e32 v2, 29, v2
	v_lshlrev_b64 v[3:4], v3, v[94:95]
	s_delay_alu instid0(VALU_DEP_1)
	v_and_b32_e32 v94, 7, v3
; %bb.32:                               ;   in Loop: Header=BB281_11 Depth=1
	s_or_b32 exec_lo, exec_lo, s21
	v_lshlrev_b32_e32 v1, 24, v1
	s_delay_alu instid0(VALU_DEP_2) | instskip(SKIP_1) | instid1(VALU_DEP_3)
	v_lshlrev_b32_e32 v3, 20, v94
	v_lshl_add_u32 v2, v2, 23, 0x3c000000
	v_and_b32_e32 v1, 0x80000000, v1
	s_delay_alu instid0(VALU_DEP_1)
	v_or3_b32 v94, v3, v1, v2
	scratch_store_b64 off, v[94:95], s32 offset:336 ; 8-byte Folded Spill
.LBB281_33:                             ;   in Loop: Header=BB281_11 Depth=1
	s_or_b32 exec_lo, exec_lo, s20
.LBB281_34:                             ;   in Loop: Header=BB281_11 Depth=1
	s_delay_alu instid0(SALU_CYCLE_1)
	s_or_b32 exec_lo, exec_lo, s19
.LBB281_35:                             ;   in Loop: Header=BB281_11 Depth=1
	s_delay_alu instid0(SALU_CYCLE_1) | instskip(NEXT) | instid1(SALU_CYCLE_1)
	s_or_b32 exec_lo, exec_lo, s8
	s_mov_b32 s19, exec_lo
	v_cmpx_lt_u32_e32 0xffffff, v0
	s_cbranch_execz .LBB281_43
; %bb.36:                               ;   in Loop: Header=BB281_11 Depth=1
	v_lshrrev_b32_e32 v1, 24, v0
	v_dual_mov_b32 v2, s2 :: v_dual_mov_b32 v3, s3
	s_mov_b32 s20, exec_lo
	scratch_store_b64 off, v[2:3], s32 offset:344 ; 8-byte Folded Spill
	v_cmpx_ne_u32_e32 0x80, v1
	s_cbranch_execz .LBB281_42
; %bb.37:                               ;   in Loop: Header=BB281_11 Depth=1
	s_mov_b32 s8, s2
	v_bfe_u32 v2, v0, 24, 7
	v_dual_mov_b32 v3, s8 :: v_dual_mov_b32 v4, s9
	s_mov_b32 s8, exec_lo
	scratch_store_b64 off, v[3:4], s32 offset:344 ; 8-byte Folded Spill
	v_cmpx_ne_u32_e32 0x7f, v2
	s_cbranch_execz .LBB281_41
; %bb.38:                               ;   in Loop: Header=BB281_11 Depth=1
	v_and_b32_e32 v94, 7, v1
	v_lshrrev_b32_e32 v0, 3, v2
	s_mov_b32 s21, exec_lo
	v_cmpx_gt_u32_e32 8, v2
; %bb.39:                               ;   in Loop: Header=BB281_11 Depth=1
	s_delay_alu instid0(VALU_DEP_3) | instskip(NEXT) | instid1(VALU_DEP_1)
	v_clz_i32_u32_e32 v0, v94
	v_min_u32_e32 v0, 32, v0
	s_delay_alu instid0(VALU_DEP_1) | instskip(SKIP_1) | instid1(VALU_DEP_2)
	v_subrev_nc_u32_e32 v2, 28, v0
	v_sub_nc_u32_e32 v0, 29, v0
	v_lshlrev_b64 v[2:3], v2, v[94:95]
	s_delay_alu instid0(VALU_DEP_1)
	v_and_b32_e32 v94, 7, v2
; %bb.40:                               ;   in Loop: Header=BB281_11 Depth=1
	s_or_b32 exec_lo, exec_lo, s21
	v_lshlrev_b32_e32 v1, 24, v1
	s_delay_alu instid0(VALU_DEP_2) | instskip(SKIP_1) | instid1(VALU_DEP_3)
	v_lshlrev_b32_e32 v2, 20, v94
	v_lshl_add_u32 v0, v0, 23, 0x3c000000
	v_and_b32_e32 v1, 0x80000000, v1
	s_delay_alu instid0(VALU_DEP_1)
	v_or3_b32 v1, v2, v1, v0
	v_mov_b32_e32 v0, v95
	scratch_store_b64 off, v[0:1], s32 offset:344 ; 8-byte Folded Spill
.LBB281_41:                             ;   in Loop: Header=BB281_11 Depth=1
	s_or_b32 exec_lo, exec_lo, s8
.LBB281_42:                             ;   in Loop: Header=BB281_11 Depth=1
	s_delay_alu instid0(SALU_CYCLE_1)
	s_or_b32 exec_lo, exec_lo, s20
.LBB281_43:                             ;   in Loop: Header=BB281_11 Depth=1
	s_delay_alu instid0(SALU_CYCLE_1)
	s_or_b32 exec_lo, exec_lo, s19
	flat_load_b32 v0, v[152:153] offset:4
	v_mov_b32_e32 v2, 0
	v_mov_b32_e32 v3, 0
	s_mov_b32 s8, exec_lo
	s_clause 0x1
	scratch_store_b64 off, v[2:3], s32 offset:360
	scratch_store_b64 off, v[2:3], s32 offset:352
	s_waitcnt vmcnt(0) lgkmcnt(0)
	v_and_b32_e32 v1, 0xff, v0
	s_delay_alu instid0(VALU_DEP_1)
	v_cmpx_ne_u16_e32 0, v1
	s_cbranch_execz .LBB281_51
; %bb.44:                               ;   in Loop: Header=BB281_11 Depth=1
	v_bfrev_b32_e32 v2, 1
	v_mov_b32_e32 v3, 0
	s_mov_b32 s19, exec_lo
	scratch_store_b64 off, v[2:3], s32 offset:352 ; 8-byte Folded Spill
	v_cmpx_ne_u16_e32 0x80, v1
	s_cbranch_execz .LBB281_50
; %bb.45:                               ;   in Loop: Header=BB281_11 Depth=1
	v_mov_b32_e32 v3, 0x7f800001
	v_and_b32_e32 v2, 0x7f, v0
	v_mov_b32_e32 v4, 0
	s_mov_b32 s20, exec_lo
	scratch_store_b64 off, v[3:4], s32 offset:352 ; 8-byte Folded Spill
	v_cmpx_ne_u32_e32 0x7f, v2
	s_cbranch_execz .LBB281_49
; %bb.46:                               ;   in Loop: Header=BB281_11 Depth=1
	v_and_b32_e32 v94, 7, v0
	v_lshrrev_b32_e32 v1, 3, v2
	s_mov_b32 s21, exec_lo
	v_cmpx_gt_u32_e32 8, v2
; %bb.47:                               ;   in Loop: Header=BB281_11 Depth=1
	s_delay_alu instid0(VALU_DEP_3) | instskip(NEXT) | instid1(VALU_DEP_1)
	v_clz_i32_u32_e32 v1, v94
	v_min_u32_e32 v1, 32, v1
	s_delay_alu instid0(VALU_DEP_1) | instskip(SKIP_1) | instid1(VALU_DEP_2)
	v_subrev_nc_u32_e32 v2, 28, v1
	v_sub_nc_u32_e32 v1, 29, v1
	v_lshlrev_b64 v[2:3], v2, v[94:95]
	s_delay_alu instid0(VALU_DEP_1)
	v_and_b32_e32 v94, 7, v2
; %bb.48:                               ;   in Loop: Header=BB281_11 Depth=1
	s_or_b32 exec_lo, exec_lo, s21
	v_lshlrev_b32_e32 v2, 24, v0
	s_delay_alu instid0(VALU_DEP_2) | instskip(SKIP_1) | instid1(VALU_DEP_3)
	v_lshlrev_b32_e32 v3, 20, v94
	v_lshl_add_u32 v1, v1, 23, 0x3c000000
	v_and_b32_e32 v2, 0x80000000, v2
	s_delay_alu instid0(VALU_DEP_1)
	v_or3_b32 v94, v3, v2, v1
	scratch_store_b64 off, v[94:95], s32 offset:352 ; 8-byte Folded Spill
.LBB281_49:                             ;   in Loop: Header=BB281_11 Depth=1
	s_or_b32 exec_lo, exec_lo, s20
.LBB281_50:                             ;   in Loop: Header=BB281_11 Depth=1
	s_delay_alu instid0(SALU_CYCLE_1)
	s_or_b32 exec_lo, exec_lo, s19
.LBB281_51:                             ;   in Loop: Header=BB281_11 Depth=1
	s_delay_alu instid0(SALU_CYCLE_1) | instskip(SKIP_2) | instid1(VALU_DEP_1)
	s_or_b32 exec_lo, exec_lo, s8
	v_lshrrev_b16 v1, 8, v0
	s_mov_b32 s19, exec_lo
	v_cmpx_ne_u16_e32 0, v1
	s_cbranch_execz .LBB281_59
; %bb.52:                               ;   in Loop: Header=BB281_11 Depth=1
	v_dual_mov_b32 v2, s2 :: v_dual_mov_b32 v3, s3
	s_mov_b32 s20, exec_lo
	scratch_store_b64 off, v[2:3], s32 offset:360 ; 8-byte Folded Spill
	v_cmpx_ne_u16_e32 0x80, v1
	s_cbranch_execz .LBB281_58
; %bb.53:                               ;   in Loop: Header=BB281_11 Depth=1
	s_mov_b32 s8, s2
	v_and_b32_e32 v1, 0xffff, v1
	v_dual_mov_b32 v3, s8 :: v_dual_mov_b32 v4, s9
	s_mov_b32 s8, exec_lo
	s_delay_alu instid0(VALU_DEP_2)
	v_and_b32_e32 v2, 0x7f, v1
	scratch_store_b64 off, v[3:4], s32 offset:360 ; 8-byte Folded Spill
	v_cmpx_ne_u32_e32 0x7f, v2
	s_cbranch_execz .LBB281_57
; %bb.54:                               ;   in Loop: Header=BB281_11 Depth=1
	v_and_b32_e32 v94, 7, v1
	v_lshrrev_b32_e32 v1, 3, v2
	s_mov_b32 s21, exec_lo
	v_cmpx_gt_u32_e32 8, v2
; %bb.55:                               ;   in Loop: Header=BB281_11 Depth=1
	s_delay_alu instid0(VALU_DEP_3) | instskip(NEXT) | instid1(VALU_DEP_1)
	v_clz_i32_u32_e32 v1, v94
	v_min_u32_e32 v1, 32, v1
	s_delay_alu instid0(VALU_DEP_1) | instskip(SKIP_1) | instid1(VALU_DEP_2)
	v_subrev_nc_u32_e32 v2, 28, v1
	v_sub_nc_u32_e32 v1, 29, v1
	v_lshlrev_b64 v[2:3], v2, v[94:95]
	s_delay_alu instid0(VALU_DEP_1)
	v_and_b32_e32 v94, 7, v2
; %bb.56:                               ;   in Loop: Header=BB281_11 Depth=1
	s_or_b32 exec_lo, exec_lo, s21
	v_lshlrev_b32_e32 v2, 16, v0
	s_delay_alu instid0(VALU_DEP_2) | instskip(SKIP_1) | instid1(VALU_DEP_3)
	v_lshlrev_b32_e32 v3, 20, v94
	v_lshl_add_u32 v1, v1, 23, 0x3c000000
	v_and_b32_e32 v2, 0x80000000, v2
	s_delay_alu instid0(VALU_DEP_1)
	v_or3_b32 v2, v3, v2, v1
	v_mov_b32_e32 v1, v95
	scratch_store_b64 off, v[1:2], s32 offset:360 ; 8-byte Folded Spill
.LBB281_57:                             ;   in Loop: Header=BB281_11 Depth=1
	s_or_b32 exec_lo, exec_lo, s8
.LBB281_58:                             ;   in Loop: Header=BB281_11 Depth=1
	s_delay_alu instid0(SALU_CYCLE_1)
	s_or_b32 exec_lo, exec_lo, s20
.LBB281_59:                             ;   in Loop: Header=BB281_11 Depth=1
	s_delay_alu instid0(SALU_CYCLE_1)
	s_or_b32 exec_lo, exec_lo, s19
	v_lshrrev_b32_e32 v1, 16, v0
	v_mov_b32_e32 v3, 0
	v_mov_b32_e32 v4, 0
	s_mov_b32 s8, exec_lo
	s_clause 0x1
	scratch_store_b64 off, v[3:4], s32 offset:376
	scratch_store_b64 off, v[3:4], s32 offset:368
	v_and_b32_e32 v2, 0xff, v1
	s_delay_alu instid0(VALU_DEP_1)
	v_cmpx_ne_u16_e32 0, v2
	s_cbranch_execz .LBB281_67
; %bb.60:                               ;   in Loop: Header=BB281_11 Depth=1
	v_bfrev_b32_e32 v3, 1
	v_mov_b32_e32 v4, 0
	s_mov_b32 s19, exec_lo
	scratch_store_b64 off, v[3:4], s32 offset:368 ; 8-byte Folded Spill
	v_cmpx_ne_u16_e32 0x80, v2
	s_cbranch_execz .LBB281_66
; %bb.61:                               ;   in Loop: Header=BB281_11 Depth=1
	v_mov_b32_e32 v4, 0x7f800001
	v_bfe_u32 v3, v0, 16, 7
	v_mov_b32_e32 v5, 0
	s_mov_b32 s20, exec_lo
	scratch_store_b64 off, v[4:5], s32 offset:368 ; 8-byte Folded Spill
	v_cmpx_ne_u32_e32 0x7f, v3
	s_cbranch_execz .LBB281_65
; %bb.62:                               ;   in Loop: Header=BB281_11 Depth=1
	v_and_b32_e32 v94, 7, v1
	v_lshrrev_b32_e32 v2, 3, v3
	s_mov_b32 s21, exec_lo
	v_cmpx_gt_u32_e32 8, v3
; %bb.63:                               ;   in Loop: Header=BB281_11 Depth=1
	s_delay_alu instid0(VALU_DEP_3) | instskip(NEXT) | instid1(VALU_DEP_1)
	v_clz_i32_u32_e32 v2, v94
	v_min_u32_e32 v2, 32, v2
	s_delay_alu instid0(VALU_DEP_1) | instskip(SKIP_1) | instid1(VALU_DEP_2)
	v_subrev_nc_u32_e32 v3, 28, v2
	v_sub_nc_u32_e32 v2, 29, v2
	v_lshlrev_b64 v[3:4], v3, v[94:95]
	s_delay_alu instid0(VALU_DEP_1)
	v_and_b32_e32 v94, 7, v3
; %bb.64:                               ;   in Loop: Header=BB281_11 Depth=1
	s_or_b32 exec_lo, exec_lo, s21
	v_lshlrev_b32_e32 v1, 24, v1
	s_delay_alu instid0(VALU_DEP_2) | instskip(SKIP_1) | instid1(VALU_DEP_3)
	v_lshlrev_b32_e32 v3, 20, v94
	v_lshl_add_u32 v2, v2, 23, 0x3c000000
	v_and_b32_e32 v1, 0x80000000, v1
	s_delay_alu instid0(VALU_DEP_1)
	v_or3_b32 v94, v3, v1, v2
	scratch_store_b64 off, v[94:95], s32 offset:368 ; 8-byte Folded Spill
.LBB281_65:                             ;   in Loop: Header=BB281_11 Depth=1
	s_or_b32 exec_lo, exec_lo, s20
.LBB281_66:                             ;   in Loop: Header=BB281_11 Depth=1
	s_delay_alu instid0(SALU_CYCLE_1)
	s_or_b32 exec_lo, exec_lo, s19
.LBB281_67:                             ;   in Loop: Header=BB281_11 Depth=1
	s_delay_alu instid0(SALU_CYCLE_1) | instskip(NEXT) | instid1(SALU_CYCLE_1)
	s_or_b32 exec_lo, exec_lo, s8
	s_mov_b32 s19, exec_lo
	v_cmpx_lt_u32_e32 0xffffff, v0
	s_cbranch_execz .LBB281_75
; %bb.68:                               ;   in Loop: Header=BB281_11 Depth=1
	v_lshrrev_b32_e32 v1, 24, v0
	v_dual_mov_b32 v2, s2 :: v_dual_mov_b32 v3, s3
	s_mov_b32 s20, exec_lo
	scratch_store_b64 off, v[2:3], s32 offset:376 ; 8-byte Folded Spill
	v_cmpx_ne_u32_e32 0x80, v1
	s_cbranch_execz .LBB281_74
; %bb.69:                               ;   in Loop: Header=BB281_11 Depth=1
	s_mov_b32 s8, s2
	v_bfe_u32 v2, v0, 24, 7
	v_dual_mov_b32 v3, s8 :: v_dual_mov_b32 v4, s9
	s_mov_b32 s8, exec_lo
	scratch_store_b64 off, v[3:4], s32 offset:376 ; 8-byte Folded Spill
	v_cmpx_ne_u32_e32 0x7f, v2
	s_cbranch_execz .LBB281_73
; %bb.70:                               ;   in Loop: Header=BB281_11 Depth=1
	v_and_b32_e32 v94, 7, v1
	v_lshrrev_b32_e32 v0, 3, v2
	s_mov_b32 s21, exec_lo
	v_cmpx_gt_u32_e32 8, v2
; %bb.71:                               ;   in Loop: Header=BB281_11 Depth=1
	s_delay_alu instid0(VALU_DEP_3) | instskip(NEXT) | instid1(VALU_DEP_1)
	v_clz_i32_u32_e32 v0, v94
	v_min_u32_e32 v0, 32, v0
	s_delay_alu instid0(VALU_DEP_1) | instskip(SKIP_1) | instid1(VALU_DEP_2)
	v_subrev_nc_u32_e32 v2, 28, v0
	v_sub_nc_u32_e32 v0, 29, v0
	v_lshlrev_b64 v[2:3], v2, v[94:95]
	s_delay_alu instid0(VALU_DEP_1)
	v_and_b32_e32 v94, 7, v2
; %bb.72:                               ;   in Loop: Header=BB281_11 Depth=1
	s_or_b32 exec_lo, exec_lo, s21
	v_lshlrev_b32_e32 v1, 24, v1
	s_delay_alu instid0(VALU_DEP_2) | instskip(SKIP_1) | instid1(VALU_DEP_3)
	v_lshlrev_b32_e32 v2, 20, v94
	v_lshl_add_u32 v0, v0, 23, 0x3c000000
	v_and_b32_e32 v1, 0x80000000, v1
	s_delay_alu instid0(VALU_DEP_1)
	v_or3_b32 v1, v2, v1, v0
	v_mov_b32_e32 v0, v95
	scratch_store_b64 off, v[0:1], s32 offset:376 ; 8-byte Folded Spill
.LBB281_73:                             ;   in Loop: Header=BB281_11 Depth=1
	s_or_b32 exec_lo, exec_lo, s8
.LBB281_74:                             ;   in Loop: Header=BB281_11 Depth=1
	s_delay_alu instid0(SALU_CYCLE_1)
	s_or_b32 exec_lo, exec_lo, s20
.LBB281_75:                             ;   in Loop: Header=BB281_11 Depth=1
	s_delay_alu instid0(SALU_CYCLE_1)
	s_or_b32 exec_lo, exec_lo, s19
	flat_load_b32 v0, v[152:153] offset:8
	v_mov_b32_e32 v2, 0
	v_mov_b32_e32 v3, 0
	s_mov_b32 s8, exec_lo
	s_clause 0x1
	scratch_store_b64 off, v[2:3], s32 offset:392
	scratch_store_b64 off, v[2:3], s32 offset:384
	s_waitcnt vmcnt(0) lgkmcnt(0)
	v_and_b32_e32 v1, 0xff, v0
	s_delay_alu instid0(VALU_DEP_1)
	v_cmpx_ne_u16_e32 0, v1
	s_cbranch_execz .LBB281_83
; %bb.76:                               ;   in Loop: Header=BB281_11 Depth=1
	v_bfrev_b32_e32 v2, 1
	v_mov_b32_e32 v3, 0
	s_mov_b32 s19, exec_lo
	scratch_store_b64 off, v[2:3], s32 offset:384 ; 8-byte Folded Spill
	v_cmpx_ne_u16_e32 0x80, v1
	s_cbranch_execz .LBB281_82
; %bb.77:                               ;   in Loop: Header=BB281_11 Depth=1
	v_mov_b32_e32 v3, 0x7f800001
	v_and_b32_e32 v2, 0x7f, v0
	v_mov_b32_e32 v4, 0
	s_mov_b32 s20, exec_lo
	scratch_store_b64 off, v[3:4], s32 offset:384 ; 8-byte Folded Spill
	v_cmpx_ne_u32_e32 0x7f, v2
	s_cbranch_execz .LBB281_81
; %bb.78:                               ;   in Loop: Header=BB281_11 Depth=1
	v_and_b32_e32 v94, 7, v0
	v_lshrrev_b32_e32 v1, 3, v2
	s_mov_b32 s21, exec_lo
	v_cmpx_gt_u32_e32 8, v2
; %bb.79:                               ;   in Loop: Header=BB281_11 Depth=1
	s_delay_alu instid0(VALU_DEP_3) | instskip(NEXT) | instid1(VALU_DEP_1)
	v_clz_i32_u32_e32 v1, v94
	v_min_u32_e32 v1, 32, v1
	s_delay_alu instid0(VALU_DEP_1) | instskip(SKIP_1) | instid1(VALU_DEP_2)
	v_subrev_nc_u32_e32 v2, 28, v1
	v_sub_nc_u32_e32 v1, 29, v1
	v_lshlrev_b64 v[2:3], v2, v[94:95]
	s_delay_alu instid0(VALU_DEP_1)
	v_and_b32_e32 v94, 7, v2
; %bb.80:                               ;   in Loop: Header=BB281_11 Depth=1
	s_or_b32 exec_lo, exec_lo, s21
	v_lshlrev_b32_e32 v2, 24, v0
	s_delay_alu instid0(VALU_DEP_2) | instskip(SKIP_1) | instid1(VALU_DEP_3)
	v_lshlrev_b32_e32 v3, 20, v94
	v_lshl_add_u32 v1, v1, 23, 0x3c000000
	v_and_b32_e32 v2, 0x80000000, v2
	s_delay_alu instid0(VALU_DEP_1)
	v_or3_b32 v94, v3, v2, v1
	scratch_store_b64 off, v[94:95], s32 offset:384 ; 8-byte Folded Spill
.LBB281_81:                             ;   in Loop: Header=BB281_11 Depth=1
	s_or_b32 exec_lo, exec_lo, s20
.LBB281_82:                             ;   in Loop: Header=BB281_11 Depth=1
	s_delay_alu instid0(SALU_CYCLE_1)
	s_or_b32 exec_lo, exec_lo, s19
.LBB281_83:                             ;   in Loop: Header=BB281_11 Depth=1
	s_delay_alu instid0(SALU_CYCLE_1) | instskip(SKIP_2) | instid1(VALU_DEP_1)
	s_or_b32 exec_lo, exec_lo, s8
	v_lshrrev_b16 v1, 8, v0
	s_mov_b32 s19, exec_lo
	v_cmpx_ne_u16_e32 0, v1
	s_cbranch_execz .LBB281_91
; %bb.84:                               ;   in Loop: Header=BB281_11 Depth=1
	v_dual_mov_b32 v2, s2 :: v_dual_mov_b32 v3, s3
	s_mov_b32 s20, exec_lo
	scratch_store_b64 off, v[2:3], s32 offset:392 ; 8-byte Folded Spill
	v_cmpx_ne_u16_e32 0x80, v1
	s_cbranch_execz .LBB281_90
; %bb.85:                               ;   in Loop: Header=BB281_11 Depth=1
	s_mov_b32 s8, s2
	v_and_b32_e32 v1, 0xffff, v1
	v_dual_mov_b32 v3, s8 :: v_dual_mov_b32 v4, s9
	s_mov_b32 s8, exec_lo
	s_delay_alu instid0(VALU_DEP_2)
	v_and_b32_e32 v2, 0x7f, v1
	scratch_store_b64 off, v[3:4], s32 offset:392 ; 8-byte Folded Spill
	v_cmpx_ne_u32_e32 0x7f, v2
	s_cbranch_execz .LBB281_89
; %bb.86:                               ;   in Loop: Header=BB281_11 Depth=1
	v_and_b32_e32 v94, 7, v1
	v_lshrrev_b32_e32 v1, 3, v2
	s_mov_b32 s21, exec_lo
	v_cmpx_gt_u32_e32 8, v2
; %bb.87:                               ;   in Loop: Header=BB281_11 Depth=1
	s_delay_alu instid0(VALU_DEP_3) | instskip(NEXT) | instid1(VALU_DEP_1)
	v_clz_i32_u32_e32 v1, v94
	v_min_u32_e32 v1, 32, v1
	s_delay_alu instid0(VALU_DEP_1) | instskip(SKIP_1) | instid1(VALU_DEP_2)
	v_subrev_nc_u32_e32 v2, 28, v1
	v_sub_nc_u32_e32 v1, 29, v1
	v_lshlrev_b64 v[2:3], v2, v[94:95]
	s_delay_alu instid0(VALU_DEP_1)
	v_and_b32_e32 v94, 7, v2
; %bb.88:                               ;   in Loop: Header=BB281_11 Depth=1
	s_or_b32 exec_lo, exec_lo, s21
	v_lshlrev_b32_e32 v2, 16, v0
	s_delay_alu instid0(VALU_DEP_2) | instskip(SKIP_1) | instid1(VALU_DEP_3)
	v_lshlrev_b32_e32 v3, 20, v94
	v_lshl_add_u32 v1, v1, 23, 0x3c000000
	v_and_b32_e32 v2, 0x80000000, v2
	s_delay_alu instid0(VALU_DEP_1)
	v_or3_b32 v2, v3, v2, v1
	v_mov_b32_e32 v1, v95
	scratch_store_b64 off, v[1:2], s32 offset:392 ; 8-byte Folded Spill
.LBB281_89:                             ;   in Loop: Header=BB281_11 Depth=1
	s_or_b32 exec_lo, exec_lo, s8
.LBB281_90:                             ;   in Loop: Header=BB281_11 Depth=1
	s_delay_alu instid0(SALU_CYCLE_1)
	s_or_b32 exec_lo, exec_lo, s20
.LBB281_91:                             ;   in Loop: Header=BB281_11 Depth=1
	s_delay_alu instid0(SALU_CYCLE_1)
	s_or_b32 exec_lo, exec_lo, s19
	v_lshrrev_b32_e32 v1, 16, v0
	v_mov_b32_e32 v3, 0
	v_mov_b32_e32 v4, 0
	s_mov_b32 s8, exec_lo
	s_clause 0x1
	scratch_store_b64 off, v[3:4], s32 offset:408
	scratch_store_b64 off, v[3:4], s32 offset:400
	v_and_b32_e32 v2, 0xff, v1
	s_delay_alu instid0(VALU_DEP_1)
	v_cmpx_ne_u16_e32 0, v2
	s_cbranch_execz .LBB281_99
; %bb.92:                               ;   in Loop: Header=BB281_11 Depth=1
	v_bfrev_b32_e32 v3, 1
	v_mov_b32_e32 v4, 0
	s_mov_b32 s19, exec_lo
	scratch_store_b64 off, v[3:4], s32 offset:400 ; 8-byte Folded Spill
	v_cmpx_ne_u16_e32 0x80, v2
	s_cbranch_execz .LBB281_98
; %bb.93:                               ;   in Loop: Header=BB281_11 Depth=1
	v_mov_b32_e32 v4, 0x7f800001
	v_bfe_u32 v3, v0, 16, 7
	v_mov_b32_e32 v5, 0
	s_mov_b32 s20, exec_lo
	scratch_store_b64 off, v[4:5], s32 offset:400 ; 8-byte Folded Spill
	v_cmpx_ne_u32_e32 0x7f, v3
	s_cbranch_execz .LBB281_97
; %bb.94:                               ;   in Loop: Header=BB281_11 Depth=1
	v_and_b32_e32 v94, 7, v1
	v_lshrrev_b32_e32 v2, 3, v3
	s_mov_b32 s21, exec_lo
	v_cmpx_gt_u32_e32 8, v3
; %bb.95:                               ;   in Loop: Header=BB281_11 Depth=1
	s_delay_alu instid0(VALU_DEP_3) | instskip(NEXT) | instid1(VALU_DEP_1)
	v_clz_i32_u32_e32 v2, v94
	v_min_u32_e32 v2, 32, v2
	s_delay_alu instid0(VALU_DEP_1) | instskip(SKIP_1) | instid1(VALU_DEP_2)
	v_subrev_nc_u32_e32 v3, 28, v2
	v_sub_nc_u32_e32 v2, 29, v2
	v_lshlrev_b64 v[3:4], v3, v[94:95]
	s_delay_alu instid0(VALU_DEP_1)
	v_and_b32_e32 v94, 7, v3
; %bb.96:                               ;   in Loop: Header=BB281_11 Depth=1
	s_or_b32 exec_lo, exec_lo, s21
	v_lshlrev_b32_e32 v1, 24, v1
	s_delay_alu instid0(VALU_DEP_2) | instskip(SKIP_1) | instid1(VALU_DEP_3)
	v_lshlrev_b32_e32 v3, 20, v94
	v_lshl_add_u32 v2, v2, 23, 0x3c000000
	v_and_b32_e32 v1, 0x80000000, v1
	s_delay_alu instid0(VALU_DEP_1)
	v_or3_b32 v94, v3, v1, v2
	scratch_store_b64 off, v[94:95], s32 offset:400 ; 8-byte Folded Spill
.LBB281_97:                             ;   in Loop: Header=BB281_11 Depth=1
	s_or_b32 exec_lo, exec_lo, s20
.LBB281_98:                             ;   in Loop: Header=BB281_11 Depth=1
	s_delay_alu instid0(SALU_CYCLE_1)
	s_or_b32 exec_lo, exec_lo, s19
.LBB281_99:                             ;   in Loop: Header=BB281_11 Depth=1
	s_delay_alu instid0(SALU_CYCLE_1) | instskip(NEXT) | instid1(SALU_CYCLE_1)
	s_or_b32 exec_lo, exec_lo, s8
	s_mov_b32 s19, exec_lo
	v_cmpx_lt_u32_e32 0xffffff, v0
	s_cbranch_execz .LBB281_107
; %bb.100:                              ;   in Loop: Header=BB281_11 Depth=1
	v_lshrrev_b32_e32 v1, 24, v0
	v_dual_mov_b32 v2, s2 :: v_dual_mov_b32 v3, s3
	s_mov_b32 s20, exec_lo
	scratch_store_b64 off, v[2:3], s32 offset:408 ; 8-byte Folded Spill
	v_cmpx_ne_u32_e32 0x80, v1
	s_cbranch_execz .LBB281_106
; %bb.101:                              ;   in Loop: Header=BB281_11 Depth=1
	s_mov_b32 s8, s2
	v_bfe_u32 v2, v0, 24, 7
	v_dual_mov_b32 v3, s8 :: v_dual_mov_b32 v4, s9
	s_mov_b32 s8, exec_lo
	scratch_store_b64 off, v[3:4], s32 offset:408 ; 8-byte Folded Spill
	v_cmpx_ne_u32_e32 0x7f, v2
	s_cbranch_execz .LBB281_105
; %bb.102:                              ;   in Loop: Header=BB281_11 Depth=1
	v_and_b32_e32 v94, 7, v1
	v_lshrrev_b32_e32 v0, 3, v2
	s_mov_b32 s21, exec_lo
	v_cmpx_gt_u32_e32 8, v2
; %bb.103:                              ;   in Loop: Header=BB281_11 Depth=1
	s_delay_alu instid0(VALU_DEP_3) | instskip(NEXT) | instid1(VALU_DEP_1)
	v_clz_i32_u32_e32 v0, v94
	v_min_u32_e32 v0, 32, v0
	s_delay_alu instid0(VALU_DEP_1) | instskip(SKIP_1) | instid1(VALU_DEP_2)
	v_subrev_nc_u32_e32 v2, 28, v0
	v_sub_nc_u32_e32 v0, 29, v0
	v_lshlrev_b64 v[2:3], v2, v[94:95]
	s_delay_alu instid0(VALU_DEP_1)
	v_and_b32_e32 v94, 7, v2
; %bb.104:                              ;   in Loop: Header=BB281_11 Depth=1
	s_or_b32 exec_lo, exec_lo, s21
	v_lshlrev_b32_e32 v1, 24, v1
	s_delay_alu instid0(VALU_DEP_2) | instskip(SKIP_1) | instid1(VALU_DEP_3)
	v_lshlrev_b32_e32 v2, 20, v94
	v_lshl_add_u32 v0, v0, 23, 0x3c000000
	v_and_b32_e32 v1, 0x80000000, v1
	s_delay_alu instid0(VALU_DEP_1)
	v_or3_b32 v1, v2, v1, v0
	v_mov_b32_e32 v0, v95
	scratch_store_b64 off, v[0:1], s32 offset:408 ; 8-byte Folded Spill
.LBB281_105:                            ;   in Loop: Header=BB281_11 Depth=1
	s_or_b32 exec_lo, exec_lo, s8
.LBB281_106:                            ;   in Loop: Header=BB281_11 Depth=1
	s_delay_alu instid0(SALU_CYCLE_1)
	s_or_b32 exec_lo, exec_lo, s20
.LBB281_107:                            ;   in Loop: Header=BB281_11 Depth=1
	s_delay_alu instid0(SALU_CYCLE_1)
	s_or_b32 exec_lo, exec_lo, s19
	flat_load_b32 v0, v[152:153] offset:12
	v_mov_b32_e32 v2, 0
	v_mov_b32_e32 v3, 0
	s_mov_b32 s8, exec_lo
	s_clause 0x1
	scratch_store_b64 off, v[2:3], s32 offset:416
	scratch_store_b64 off, v[2:3], s32 offset:424
	s_waitcnt vmcnt(0) lgkmcnt(0)
	v_and_b32_e32 v1, 0xff, v0
	s_delay_alu instid0(VALU_DEP_1)
	v_cmpx_ne_u16_e32 0, v1
	s_cbranch_execz .LBB281_115
; %bb.108:                              ;   in Loop: Header=BB281_11 Depth=1
	v_cmp_ne_u16_e64 s1, 0x80, v1
	v_bfrev_b32_e32 v1, 1
	v_mov_b32_e32 v2, 0
	scratch_store_b64 off, v[1:2], s32 offset:424 ; 8-byte Folded Spill
	s_and_saveexec_b32 s19, s1
	s_cbranch_execz .LBB281_114
; %bb.109:                              ;   in Loop: Header=BB281_11 Depth=1
	v_mov_b32_e32 v3, 0x7f800001
	v_and_b32_e32 v2, 0x7f, v0
	v_mov_b32_e32 v4, 0
	s_mov_b32 s20, exec_lo
	scratch_store_b64 off, v[3:4], s32 offset:424 ; 8-byte Folded Spill
	v_cmpx_ne_u32_e32 0x7f, v2
	s_cbranch_execz .LBB281_113
; %bb.110:                              ;   in Loop: Header=BB281_11 Depth=1
	v_and_b32_e32 v94, 7, v0
	v_lshrrev_b32_e32 v1, 3, v2
	s_mov_b32 s21, exec_lo
	v_cmpx_gt_u32_e32 8, v2
; %bb.111:                              ;   in Loop: Header=BB281_11 Depth=1
	s_delay_alu instid0(VALU_DEP_3) | instskip(NEXT) | instid1(VALU_DEP_1)
	v_clz_i32_u32_e32 v1, v94
	v_min_u32_e32 v1, 32, v1
	s_delay_alu instid0(VALU_DEP_1) | instskip(SKIP_1) | instid1(VALU_DEP_2)
	v_subrev_nc_u32_e32 v2, 28, v1
	v_sub_nc_u32_e32 v1, 29, v1
	v_lshlrev_b64 v[2:3], v2, v[94:95]
	s_delay_alu instid0(VALU_DEP_1)
	v_and_b32_e32 v94, 7, v2
; %bb.112:                              ;   in Loop: Header=BB281_11 Depth=1
	s_or_b32 exec_lo, exec_lo, s21
	v_lshlrev_b32_e32 v2, 24, v0
	s_delay_alu instid0(VALU_DEP_2) | instskip(SKIP_1) | instid1(VALU_DEP_3)
	v_lshlrev_b32_e32 v3, 20, v94
	v_lshl_add_u32 v1, v1, 23, 0x3c000000
	v_and_b32_e32 v2, 0x80000000, v2
	s_delay_alu instid0(VALU_DEP_1)
	v_or3_b32 v94, v3, v2, v1
	scratch_store_b64 off, v[94:95], s32 offset:424 ; 8-byte Folded Spill
.LBB281_113:                            ;   in Loop: Header=BB281_11 Depth=1
	s_or_b32 exec_lo, exec_lo, s20
.LBB281_114:                            ;   in Loop: Header=BB281_11 Depth=1
	s_delay_alu instid0(SALU_CYCLE_1)
	s_or_b32 exec_lo, exec_lo, s19
.LBB281_115:                            ;   in Loop: Header=BB281_11 Depth=1
	s_delay_alu instid0(SALU_CYCLE_1) | instskip(SKIP_2) | instid1(VALU_DEP_1)
	s_or_b32 exec_lo, exec_lo, s8
	v_lshrrev_b16 v1, 8, v0
	s_mov_b32 s19, exec_lo
	v_cmpx_ne_u16_e32 0, v1
	s_cbranch_execz .LBB281_123
; %bb.116:                              ;   in Loop: Header=BB281_11 Depth=1
	v_dual_mov_b32 v2, s2 :: v_dual_mov_b32 v3, s3
	s_mov_b32 s20, exec_lo
	scratch_store_b64 off, v[2:3], s32 offset:416 ; 8-byte Folded Spill
	v_cmpx_ne_u16_e32 0x80, v1
	s_cbranch_execz .LBB281_122
; %bb.117:                              ;   in Loop: Header=BB281_11 Depth=1
	s_mov_b32 s8, s2
	v_and_b32_e32 v1, 0xffff, v1
	v_dual_mov_b32 v3, s8 :: v_dual_mov_b32 v4, s9
	s_mov_b32 s8, exec_lo
	s_delay_alu instid0(VALU_DEP_2)
	v_and_b32_e32 v2, 0x7f, v1
	scratch_store_b64 off, v[3:4], s32 offset:416 ; 8-byte Folded Spill
	v_cmpx_ne_u32_e32 0x7f, v2
	s_cbranch_execz .LBB281_121
; %bb.118:                              ;   in Loop: Header=BB281_11 Depth=1
	v_and_b32_e32 v94, 7, v1
	v_lshrrev_b32_e32 v1, 3, v2
	s_mov_b32 s21, exec_lo
	v_cmpx_gt_u32_e32 8, v2
; %bb.119:                              ;   in Loop: Header=BB281_11 Depth=1
	s_delay_alu instid0(VALU_DEP_3) | instskip(NEXT) | instid1(VALU_DEP_1)
	v_clz_i32_u32_e32 v1, v94
	v_min_u32_e32 v1, 32, v1
	s_delay_alu instid0(VALU_DEP_1) | instskip(SKIP_1) | instid1(VALU_DEP_2)
	v_subrev_nc_u32_e32 v2, 28, v1
	v_sub_nc_u32_e32 v1, 29, v1
	v_lshlrev_b64 v[2:3], v2, v[94:95]
	s_delay_alu instid0(VALU_DEP_1)
	v_and_b32_e32 v94, 7, v2
; %bb.120:                              ;   in Loop: Header=BB281_11 Depth=1
	s_or_b32 exec_lo, exec_lo, s21
	v_lshlrev_b32_e32 v2, 16, v0
	s_delay_alu instid0(VALU_DEP_2) | instskip(SKIP_1) | instid1(VALU_DEP_3)
	v_lshlrev_b32_e32 v3, 20, v94
	v_lshl_add_u32 v1, v1, 23, 0x3c000000
	v_and_b32_e32 v2, 0x80000000, v2
	s_delay_alu instid0(VALU_DEP_1)
	v_or3_b32 v2, v3, v2, v1
	v_mov_b32_e32 v1, v95
	scratch_store_b64 off, v[1:2], s32 offset:416 ; 8-byte Folded Spill
.LBB281_121:                            ;   in Loop: Header=BB281_11 Depth=1
	s_or_b32 exec_lo, exec_lo, s8
.LBB281_122:                            ;   in Loop: Header=BB281_11 Depth=1
	s_delay_alu instid0(SALU_CYCLE_1)
	s_or_b32 exec_lo, exec_lo, s20
.LBB281_123:                            ;   in Loop: Header=BB281_11 Depth=1
	s_delay_alu instid0(SALU_CYCLE_1)
	s_or_b32 exec_lo, exec_lo, s19
	v_lshrrev_b32_e32 v1, 16, v0
	v_mov_b32_e32 v3, 0
	v_mov_b32_e32 v4, 0
	s_mov_b32 s8, exec_lo
	s_clause 0x1
	scratch_store_b64 off, v[3:4], s32 offset:432
	scratch_store_b64 off, v[3:4], s32 offset:440
	v_and_b32_e32 v2, 0xff, v1
	s_delay_alu instid0(VALU_DEP_1)
	v_cmpx_ne_u16_e32 0, v2
	s_cbranch_execz .LBB281_131
; %bb.124:                              ;   in Loop: Header=BB281_11 Depth=1
	v_cmp_ne_u16_e64 s1, 0x80, v2
	v_bfrev_b32_e32 v2, 1
	v_mov_b32_e32 v3, 0
	scratch_store_b64 off, v[2:3], s32 offset:440 ; 8-byte Folded Spill
	s_and_saveexec_b32 s19, s1
	s_cbranch_execz .LBB281_130
; %bb.125:                              ;   in Loop: Header=BB281_11 Depth=1
	v_mov_b32_e32 v4, 0x7f800001
	v_bfe_u32 v3, v0, 16, 7
	v_mov_b32_e32 v5, 0
	s_mov_b32 s20, exec_lo
	scratch_store_b64 off, v[4:5], s32 offset:440 ; 8-byte Folded Spill
	v_cmpx_ne_u32_e32 0x7f, v3
	s_cbranch_execz .LBB281_129
; %bb.126:                              ;   in Loop: Header=BB281_11 Depth=1
	v_and_b32_e32 v94, 7, v1
	v_lshrrev_b32_e32 v2, 3, v3
	s_mov_b32 s21, exec_lo
	v_cmpx_gt_u32_e32 8, v3
; %bb.127:                              ;   in Loop: Header=BB281_11 Depth=1
	s_delay_alu instid0(VALU_DEP_3) | instskip(NEXT) | instid1(VALU_DEP_1)
	v_clz_i32_u32_e32 v2, v94
	v_min_u32_e32 v2, 32, v2
	s_delay_alu instid0(VALU_DEP_1) | instskip(SKIP_1) | instid1(VALU_DEP_2)
	v_subrev_nc_u32_e32 v3, 28, v2
	v_sub_nc_u32_e32 v2, 29, v2
	v_lshlrev_b64 v[3:4], v3, v[94:95]
	s_delay_alu instid0(VALU_DEP_1)
	v_and_b32_e32 v94, 7, v3
; %bb.128:                              ;   in Loop: Header=BB281_11 Depth=1
	s_or_b32 exec_lo, exec_lo, s21
	v_lshlrev_b32_e32 v1, 24, v1
	s_delay_alu instid0(VALU_DEP_2) | instskip(SKIP_1) | instid1(VALU_DEP_3)
	v_lshlrev_b32_e32 v3, 20, v94
	v_lshl_add_u32 v2, v2, 23, 0x3c000000
	v_and_b32_e32 v1, 0x80000000, v1
	s_delay_alu instid0(VALU_DEP_1)
	v_or3_b32 v94, v3, v1, v2
	scratch_store_b64 off, v[94:95], s32 offset:440 ; 8-byte Folded Spill
.LBB281_129:                            ;   in Loop: Header=BB281_11 Depth=1
	s_or_b32 exec_lo, exec_lo, s20
.LBB281_130:                            ;   in Loop: Header=BB281_11 Depth=1
	s_delay_alu instid0(SALU_CYCLE_1)
	s_or_b32 exec_lo, exec_lo, s19
.LBB281_131:                            ;   in Loop: Header=BB281_11 Depth=1
	s_delay_alu instid0(SALU_CYCLE_1) | instskip(NEXT) | instid1(SALU_CYCLE_1)
	s_or_b32 exec_lo, exec_lo, s8
	s_mov_b32 s19, exec_lo
	v_cmpx_lt_u32_e32 0xffffff, v0
	s_cbranch_execz .LBB281_139
; %bb.132:                              ;   in Loop: Header=BB281_11 Depth=1
	v_lshrrev_b32_e32 v1, 24, v0
	v_dual_mov_b32 v2, s2 :: v_dual_mov_b32 v3, s3
	s_mov_b32 s20, exec_lo
	scratch_store_b64 off, v[2:3], s32 offset:432 ; 8-byte Folded Spill
	v_cmpx_ne_u32_e32 0x80, v1
	s_cbranch_execz .LBB281_138
; %bb.133:                              ;   in Loop: Header=BB281_11 Depth=1
	s_mov_b32 s8, s2
	v_bfe_u32 v2, v0, 24, 7
	v_dual_mov_b32 v3, s8 :: v_dual_mov_b32 v4, s9
	s_mov_b32 s8, exec_lo
	scratch_store_b64 off, v[3:4], s32 offset:432 ; 8-byte Folded Spill
	v_cmpx_ne_u32_e32 0x7f, v2
	s_cbranch_execz .LBB281_137
; %bb.134:                              ;   in Loop: Header=BB281_11 Depth=1
	v_and_b32_e32 v94, 7, v1
	v_lshrrev_b32_e32 v0, 3, v2
	s_mov_b32 s21, exec_lo
	v_cmpx_gt_u32_e32 8, v2
; %bb.135:                              ;   in Loop: Header=BB281_11 Depth=1
	s_delay_alu instid0(VALU_DEP_3) | instskip(NEXT) | instid1(VALU_DEP_1)
	v_clz_i32_u32_e32 v0, v94
	v_min_u32_e32 v0, 32, v0
	s_delay_alu instid0(VALU_DEP_1) | instskip(SKIP_1) | instid1(VALU_DEP_2)
	v_subrev_nc_u32_e32 v2, 28, v0
	v_sub_nc_u32_e32 v0, 29, v0
	v_lshlrev_b64 v[2:3], v2, v[94:95]
	s_delay_alu instid0(VALU_DEP_1)
	v_and_b32_e32 v94, 7, v2
; %bb.136:                              ;   in Loop: Header=BB281_11 Depth=1
	s_or_b32 exec_lo, exec_lo, s21
	v_lshlrev_b32_e32 v1, 24, v1
	s_delay_alu instid0(VALU_DEP_2) | instskip(SKIP_1) | instid1(VALU_DEP_3)
	v_lshlrev_b32_e32 v2, 20, v94
	v_lshl_add_u32 v0, v0, 23, 0x3c000000
	v_and_b32_e32 v1, 0x80000000, v1
	s_delay_alu instid0(VALU_DEP_1)
	v_or3_b32 v1, v2, v1, v0
	v_mov_b32_e32 v0, v95
	scratch_store_b64 off, v[0:1], s32 offset:432 ; 8-byte Folded Spill
.LBB281_137:                            ;   in Loop: Header=BB281_11 Depth=1
	s_or_b32 exec_lo, exec_lo, s8
.LBB281_138:                            ;   in Loop: Header=BB281_11 Depth=1
	s_delay_alu instid0(SALU_CYCLE_1)
	s_or_b32 exec_lo, exec_lo, s20
.LBB281_139:                            ;   in Loop: Header=BB281_11 Depth=1
	s_delay_alu instid0(SALU_CYCLE_1)
	s_or_b32 exec_lo, exec_lo, s19
	flat_load_b32 v0, v[152:153] offset:512
	v_mov_b32_e32 v2, 0
	v_mov_b32_e32 v3, 0
	s_mov_b32 s8, exec_lo
	s_clause 0x1
	scratch_store_b64 off, v[2:3], s32 offset:448
	scratch_store_b64 off, v[2:3], s32 offset:456
	s_waitcnt vmcnt(0) lgkmcnt(0)
	v_and_b32_e32 v1, 0xff, v0
	s_delay_alu instid0(VALU_DEP_1)
	v_cmpx_ne_u16_e32 0, v1
	s_cbranch_execz .LBB281_147
; %bb.140:                              ;   in Loop: Header=BB281_11 Depth=1
	v_cmp_ne_u16_e64 s1, 0x80, v1
	v_bfrev_b32_e32 v1, 1
	v_mov_b32_e32 v2, 0
	scratch_store_b64 off, v[1:2], s32 offset:456 ; 8-byte Folded Spill
	s_and_saveexec_b32 s19, s1
	s_cbranch_execz .LBB281_146
; %bb.141:                              ;   in Loop: Header=BB281_11 Depth=1
	v_mov_b32_e32 v3, 0x7f800001
	v_and_b32_e32 v2, 0x7f, v0
	v_mov_b32_e32 v4, 0
	s_mov_b32 s20, exec_lo
	scratch_store_b64 off, v[3:4], s32 offset:456 ; 8-byte Folded Spill
	v_cmpx_ne_u32_e32 0x7f, v2
	s_cbranch_execz .LBB281_145
; %bb.142:                              ;   in Loop: Header=BB281_11 Depth=1
	v_and_b32_e32 v94, 7, v0
	v_lshrrev_b32_e32 v1, 3, v2
	s_mov_b32 s21, exec_lo
	v_cmpx_gt_u32_e32 8, v2
; %bb.143:                              ;   in Loop: Header=BB281_11 Depth=1
	s_delay_alu instid0(VALU_DEP_3) | instskip(NEXT) | instid1(VALU_DEP_1)
	v_clz_i32_u32_e32 v1, v94
	v_min_u32_e32 v1, 32, v1
	s_delay_alu instid0(VALU_DEP_1) | instskip(SKIP_1) | instid1(VALU_DEP_2)
	v_subrev_nc_u32_e32 v2, 28, v1
	v_sub_nc_u32_e32 v1, 29, v1
	v_lshlrev_b64 v[2:3], v2, v[94:95]
	s_delay_alu instid0(VALU_DEP_1)
	v_and_b32_e32 v94, 7, v2
; %bb.144:                              ;   in Loop: Header=BB281_11 Depth=1
	s_or_b32 exec_lo, exec_lo, s21
	v_lshlrev_b32_e32 v2, 24, v0
	s_delay_alu instid0(VALU_DEP_2) | instskip(SKIP_1) | instid1(VALU_DEP_3)
	v_lshlrev_b32_e32 v3, 20, v94
	v_lshl_add_u32 v1, v1, 23, 0x3c000000
	v_and_b32_e32 v2, 0x80000000, v2
	s_delay_alu instid0(VALU_DEP_1)
	v_or3_b32 v94, v3, v2, v1
	scratch_store_b64 off, v[94:95], s32 offset:456 ; 8-byte Folded Spill
.LBB281_145:                            ;   in Loop: Header=BB281_11 Depth=1
	s_or_b32 exec_lo, exec_lo, s20
.LBB281_146:                            ;   in Loop: Header=BB281_11 Depth=1
	s_delay_alu instid0(SALU_CYCLE_1)
	s_or_b32 exec_lo, exec_lo, s19
.LBB281_147:                            ;   in Loop: Header=BB281_11 Depth=1
	s_delay_alu instid0(SALU_CYCLE_1) | instskip(SKIP_2) | instid1(VALU_DEP_1)
	s_or_b32 exec_lo, exec_lo, s8
	v_lshrrev_b16 v1, 8, v0
	s_mov_b32 s19, exec_lo
	v_cmpx_ne_u16_e32 0, v1
	s_cbranch_execz .LBB281_155
; %bb.148:                              ;   in Loop: Header=BB281_11 Depth=1
	v_dual_mov_b32 v2, s2 :: v_dual_mov_b32 v3, s3
	s_mov_b32 s20, exec_lo
	scratch_store_b64 off, v[2:3], s32 offset:448 ; 8-byte Folded Spill
	v_cmpx_ne_u16_e32 0x80, v1
	s_cbranch_execz .LBB281_154
; %bb.149:                              ;   in Loop: Header=BB281_11 Depth=1
	s_mov_b32 s8, s2
	v_and_b32_e32 v1, 0xffff, v1
	v_dual_mov_b32 v3, s8 :: v_dual_mov_b32 v4, s9
	s_mov_b32 s8, exec_lo
	s_delay_alu instid0(VALU_DEP_2)
	v_and_b32_e32 v2, 0x7f, v1
	scratch_store_b64 off, v[3:4], s32 offset:448 ; 8-byte Folded Spill
	v_cmpx_ne_u32_e32 0x7f, v2
	s_cbranch_execz .LBB281_153
; %bb.150:                              ;   in Loop: Header=BB281_11 Depth=1
	v_and_b32_e32 v94, 7, v1
	v_lshrrev_b32_e32 v1, 3, v2
	s_mov_b32 s21, exec_lo
	v_cmpx_gt_u32_e32 8, v2
; %bb.151:                              ;   in Loop: Header=BB281_11 Depth=1
	s_delay_alu instid0(VALU_DEP_3) | instskip(NEXT) | instid1(VALU_DEP_1)
	v_clz_i32_u32_e32 v1, v94
	v_min_u32_e32 v1, 32, v1
	s_delay_alu instid0(VALU_DEP_1) | instskip(SKIP_1) | instid1(VALU_DEP_2)
	v_subrev_nc_u32_e32 v2, 28, v1
	v_sub_nc_u32_e32 v1, 29, v1
	v_lshlrev_b64 v[2:3], v2, v[94:95]
	s_delay_alu instid0(VALU_DEP_1)
	v_and_b32_e32 v94, 7, v2
; %bb.152:                              ;   in Loop: Header=BB281_11 Depth=1
	s_or_b32 exec_lo, exec_lo, s21
	v_lshlrev_b32_e32 v2, 16, v0
	s_delay_alu instid0(VALU_DEP_2) | instskip(SKIP_1) | instid1(VALU_DEP_3)
	v_lshlrev_b32_e32 v3, 20, v94
	v_lshl_add_u32 v1, v1, 23, 0x3c000000
	v_and_b32_e32 v2, 0x80000000, v2
	s_delay_alu instid0(VALU_DEP_1)
	v_or3_b32 v2, v3, v2, v1
	v_mov_b32_e32 v1, v95
	scratch_store_b64 off, v[1:2], s32 offset:448 ; 8-byte Folded Spill
.LBB281_153:                            ;   in Loop: Header=BB281_11 Depth=1
	s_or_b32 exec_lo, exec_lo, s8
.LBB281_154:                            ;   in Loop: Header=BB281_11 Depth=1
	s_delay_alu instid0(SALU_CYCLE_1)
	s_or_b32 exec_lo, exec_lo, s20
.LBB281_155:                            ;   in Loop: Header=BB281_11 Depth=1
	s_delay_alu instid0(SALU_CYCLE_1)
	s_or_b32 exec_lo, exec_lo, s19
	v_lshrrev_b32_e32 v1, 16, v0
	v_mov_b32_e32 v3, 0
	v_mov_b32_e32 v4, 0
	s_mov_b32 s8, exec_lo
	s_clause 0x1
	scratch_store_b64 off, v[3:4], s32 offset:464
	scratch_store_b64 off, v[3:4], s32 offset:472
	v_and_b32_e32 v2, 0xff, v1
	s_delay_alu instid0(VALU_DEP_1)
	v_cmpx_ne_u16_e32 0, v2
	s_cbranch_execz .LBB281_163
; %bb.156:                              ;   in Loop: Header=BB281_11 Depth=1
	v_cmp_ne_u16_e64 s1, 0x80, v2
	v_bfrev_b32_e32 v2, 1
	v_mov_b32_e32 v3, 0
	scratch_store_b64 off, v[2:3], s32 offset:472 ; 8-byte Folded Spill
	s_and_saveexec_b32 s19, s1
	s_cbranch_execz .LBB281_162
; %bb.157:                              ;   in Loop: Header=BB281_11 Depth=1
	v_mov_b32_e32 v4, 0x7f800001
	v_bfe_u32 v3, v0, 16, 7
	v_mov_b32_e32 v5, 0
	s_mov_b32 s20, exec_lo
	scratch_store_b64 off, v[4:5], s32 offset:472 ; 8-byte Folded Spill
	v_cmpx_ne_u32_e32 0x7f, v3
	s_cbranch_execz .LBB281_161
; %bb.158:                              ;   in Loop: Header=BB281_11 Depth=1
	v_and_b32_e32 v94, 7, v1
	v_lshrrev_b32_e32 v2, 3, v3
	s_mov_b32 s21, exec_lo
	v_cmpx_gt_u32_e32 8, v3
; %bb.159:                              ;   in Loop: Header=BB281_11 Depth=1
	s_delay_alu instid0(VALU_DEP_3) | instskip(NEXT) | instid1(VALU_DEP_1)
	v_clz_i32_u32_e32 v2, v94
	v_min_u32_e32 v2, 32, v2
	s_delay_alu instid0(VALU_DEP_1) | instskip(SKIP_1) | instid1(VALU_DEP_2)
	v_subrev_nc_u32_e32 v3, 28, v2
	v_sub_nc_u32_e32 v2, 29, v2
	v_lshlrev_b64 v[3:4], v3, v[94:95]
	s_delay_alu instid0(VALU_DEP_1)
	v_and_b32_e32 v94, 7, v3
; %bb.160:                              ;   in Loop: Header=BB281_11 Depth=1
	s_or_b32 exec_lo, exec_lo, s21
	v_lshlrev_b32_e32 v1, 24, v1
	s_delay_alu instid0(VALU_DEP_2) | instskip(SKIP_1) | instid1(VALU_DEP_3)
	v_lshlrev_b32_e32 v3, 20, v94
	v_lshl_add_u32 v2, v2, 23, 0x3c000000
	v_and_b32_e32 v1, 0x80000000, v1
	s_delay_alu instid0(VALU_DEP_1)
	v_or3_b32 v94, v3, v1, v2
	scratch_store_b64 off, v[94:95], s32 offset:472 ; 8-byte Folded Spill
.LBB281_161:                            ;   in Loop: Header=BB281_11 Depth=1
	s_or_b32 exec_lo, exec_lo, s20
.LBB281_162:                            ;   in Loop: Header=BB281_11 Depth=1
	s_delay_alu instid0(SALU_CYCLE_1)
	s_or_b32 exec_lo, exec_lo, s19
.LBB281_163:                            ;   in Loop: Header=BB281_11 Depth=1
	s_delay_alu instid0(SALU_CYCLE_1) | instskip(NEXT) | instid1(SALU_CYCLE_1)
	s_or_b32 exec_lo, exec_lo, s8
	s_mov_b32 s19, exec_lo
	v_cmpx_lt_u32_e32 0xffffff, v0
	s_cbranch_execz .LBB281_171
; %bb.164:                              ;   in Loop: Header=BB281_11 Depth=1
	v_lshrrev_b32_e32 v1, 24, v0
	v_dual_mov_b32 v2, s2 :: v_dual_mov_b32 v3, s3
	s_mov_b32 s20, exec_lo
	scratch_store_b64 off, v[2:3], s32 offset:464 ; 8-byte Folded Spill
	v_cmpx_ne_u32_e32 0x80, v1
	s_cbranch_execz .LBB281_170
; %bb.165:                              ;   in Loop: Header=BB281_11 Depth=1
	s_mov_b32 s8, s2
	v_bfe_u32 v2, v0, 24, 7
	v_dual_mov_b32 v3, s8 :: v_dual_mov_b32 v4, s9
	s_mov_b32 s8, exec_lo
	scratch_store_b64 off, v[3:4], s32 offset:464 ; 8-byte Folded Spill
	v_cmpx_ne_u32_e32 0x7f, v2
	s_cbranch_execz .LBB281_169
; %bb.166:                              ;   in Loop: Header=BB281_11 Depth=1
	v_and_b32_e32 v94, 7, v1
	v_lshrrev_b32_e32 v0, 3, v2
	s_mov_b32 s21, exec_lo
	v_cmpx_gt_u32_e32 8, v2
; %bb.167:                              ;   in Loop: Header=BB281_11 Depth=1
	s_delay_alu instid0(VALU_DEP_3) | instskip(NEXT) | instid1(VALU_DEP_1)
	v_clz_i32_u32_e32 v0, v94
	v_min_u32_e32 v0, 32, v0
	s_delay_alu instid0(VALU_DEP_1) | instskip(SKIP_1) | instid1(VALU_DEP_2)
	v_subrev_nc_u32_e32 v2, 28, v0
	v_sub_nc_u32_e32 v0, 29, v0
	v_lshlrev_b64 v[2:3], v2, v[94:95]
	s_delay_alu instid0(VALU_DEP_1)
	v_and_b32_e32 v94, 7, v2
; %bb.168:                              ;   in Loop: Header=BB281_11 Depth=1
	s_or_b32 exec_lo, exec_lo, s21
	v_lshlrev_b32_e32 v1, 24, v1
	s_delay_alu instid0(VALU_DEP_2) | instskip(SKIP_1) | instid1(VALU_DEP_3)
	v_lshlrev_b32_e32 v2, 20, v94
	v_lshl_add_u32 v0, v0, 23, 0x3c000000
	v_and_b32_e32 v1, 0x80000000, v1
	s_delay_alu instid0(VALU_DEP_1)
	v_or3_b32 v1, v2, v1, v0
	v_mov_b32_e32 v0, v95
	scratch_store_b64 off, v[0:1], s32 offset:464 ; 8-byte Folded Spill
.LBB281_169:                            ;   in Loop: Header=BB281_11 Depth=1
	s_or_b32 exec_lo, exec_lo, s8
.LBB281_170:                            ;   in Loop: Header=BB281_11 Depth=1
	s_delay_alu instid0(SALU_CYCLE_1)
	s_or_b32 exec_lo, exec_lo, s20
.LBB281_171:                            ;   in Loop: Header=BB281_11 Depth=1
	s_delay_alu instid0(SALU_CYCLE_1)
	s_or_b32 exec_lo, exec_lo, s19
	flat_load_b32 v0, v[152:153] offset:516
	v_mov_b32_e32 v190, 0
	v_mov_b32_e32 v191, 0
	s_mov_b32 s8, exec_lo
	scratch_store_b64 off, v[190:191], s32 offset:480 ; 8-byte Folded Spill
	s_waitcnt vmcnt(0) lgkmcnt(0)
	v_and_b32_e32 v1, 0xff, v0
	s_delay_alu instid0(VALU_DEP_1)
	v_cmpx_ne_u16_e32 0, v1
	s_cbranch_execz .LBB281_179
; %bb.172:                              ;   in Loop: Header=BB281_11 Depth=1
	v_cmp_ne_u16_e64 s1, 0x80, v1
	v_bfrev_b32_e32 v1, 1
	v_mov_b32_e32 v2, 0
	scratch_store_b64 off, v[1:2], s32 offset:480 ; 8-byte Folded Spill
	s_and_saveexec_b32 s19, s1
	s_cbranch_execz .LBB281_178
; %bb.173:                              ;   in Loop: Header=BB281_11 Depth=1
	v_mov_b32_e32 v3, 0x7f800001
	v_and_b32_e32 v2, 0x7f, v0
	v_mov_b32_e32 v4, 0
	s_mov_b32 s20, exec_lo
	scratch_store_b64 off, v[3:4], s32 offset:480 ; 8-byte Folded Spill
	v_cmpx_ne_u32_e32 0x7f, v2
	s_cbranch_execz .LBB281_177
; %bb.174:                              ;   in Loop: Header=BB281_11 Depth=1
	v_and_b32_e32 v94, 7, v0
	v_lshrrev_b32_e32 v1, 3, v2
	s_mov_b32 s21, exec_lo
	v_cmpx_gt_u32_e32 8, v2
; %bb.175:                              ;   in Loop: Header=BB281_11 Depth=1
	s_delay_alu instid0(VALU_DEP_3) | instskip(NEXT) | instid1(VALU_DEP_1)
	v_clz_i32_u32_e32 v1, v94
	v_min_u32_e32 v1, 32, v1
	s_delay_alu instid0(VALU_DEP_1) | instskip(SKIP_1) | instid1(VALU_DEP_2)
	v_subrev_nc_u32_e32 v2, 28, v1
	v_sub_nc_u32_e32 v1, 29, v1
	v_lshlrev_b64 v[2:3], v2, v[94:95]
	s_delay_alu instid0(VALU_DEP_1)
	v_and_b32_e32 v94, 7, v2
; %bb.176:                              ;   in Loop: Header=BB281_11 Depth=1
	s_or_b32 exec_lo, exec_lo, s21
	v_lshlrev_b32_e32 v2, 24, v0
	s_delay_alu instid0(VALU_DEP_2) | instskip(SKIP_1) | instid1(VALU_DEP_3)
	v_lshlrev_b32_e32 v3, 20, v94
	v_lshl_add_u32 v1, v1, 23, 0x3c000000
	v_and_b32_e32 v2, 0x80000000, v2
	s_delay_alu instid0(VALU_DEP_1)
	v_or3_b32 v94, v3, v2, v1
	scratch_store_b64 off, v[94:95], s32 offset:480 ; 8-byte Folded Spill
.LBB281_177:                            ;   in Loop: Header=BB281_11 Depth=1
	s_or_b32 exec_lo, exec_lo, s20
.LBB281_178:                            ;   in Loop: Header=BB281_11 Depth=1
	s_delay_alu instid0(SALU_CYCLE_1)
	s_or_b32 exec_lo, exec_lo, s19
.LBB281_179:                            ;   in Loop: Header=BB281_11 Depth=1
	s_delay_alu instid0(SALU_CYCLE_1) | instskip(SKIP_2) | instid1(VALU_DEP_1)
	s_or_b32 exec_lo, exec_lo, s8
	v_lshrrev_b16 v1, 8, v0
	s_mov_b32 s19, exec_lo
	v_cmpx_ne_u16_e32 0, v1
	s_cbranch_execz .LBB281_187
; %bb.180:                              ;   in Loop: Header=BB281_11 Depth=1
	v_dual_mov_b32 v191, s3 :: v_dual_mov_b32 v190, s2
	s_mov_b32 s20, exec_lo
	v_cmpx_ne_u16_e32 0x80, v1
	s_cbranch_execz .LBB281_186
; %bb.181:                              ;   in Loop: Header=BB281_11 Depth=1
	s_mov_b32 s8, s2
	v_and_b32_e32 v1, 0xffff, v1
	v_dual_mov_b32 v191, s9 :: v_dual_mov_b32 v190, s8
	s_mov_b32 s8, exec_lo
	s_delay_alu instid0(VALU_DEP_2) | instskip(NEXT) | instid1(VALU_DEP_1)
	v_and_b32_e32 v2, 0x7f, v1
	v_cmpx_ne_u32_e32 0x7f, v2
	s_cbranch_execz .LBB281_185
; %bb.182:                              ;   in Loop: Header=BB281_11 Depth=1
	v_and_b32_e32 v94, 7, v1
	v_lshrrev_b32_e32 v1, 3, v2
	s_mov_b32 s21, exec_lo
	v_cmpx_gt_u32_e32 8, v2
; %bb.183:                              ;   in Loop: Header=BB281_11 Depth=1
	s_delay_alu instid0(VALU_DEP_3) | instskip(NEXT) | instid1(VALU_DEP_1)
	v_clz_i32_u32_e32 v1, v94
	v_min_u32_e32 v1, 32, v1
	s_delay_alu instid0(VALU_DEP_1) | instskip(SKIP_1) | instid1(VALU_DEP_2)
	v_subrev_nc_u32_e32 v2, 28, v1
	v_sub_nc_u32_e32 v1, 29, v1
	v_lshlrev_b64 v[2:3], v2, v[94:95]
	s_delay_alu instid0(VALU_DEP_1)
	v_and_b32_e32 v94, 7, v2
; %bb.184:                              ;   in Loop: Header=BB281_11 Depth=1
	s_or_b32 exec_lo, exec_lo, s21
	v_lshlrev_b32_e32 v2, 16, v0
	s_delay_alu instid0(VALU_DEP_2) | instskip(SKIP_1) | instid1(VALU_DEP_3)
	v_dual_mov_b32 v190, v95 :: v_dual_lshlrev_b32 v3, 20, v94
	v_lshl_add_u32 v1, v1, 23, 0x3c000000
	v_and_b32_e32 v2, 0x80000000, v2
	s_delay_alu instid0(VALU_DEP_1)
	v_or3_b32 v191, v3, v2, v1
.LBB281_185:                            ;   in Loop: Header=BB281_11 Depth=1
	s_or_b32 exec_lo, exec_lo, s8
.LBB281_186:                            ;   in Loop: Header=BB281_11 Depth=1
	s_delay_alu instid0(SALU_CYCLE_1)
	s_or_b32 exec_lo, exec_lo, s20
.LBB281_187:                            ;   in Loop: Header=BB281_11 Depth=1
	s_delay_alu instid0(SALU_CYCLE_1) | instskip(SKIP_4) | instid1(VALU_DEP_3)
	s_or_b32 exec_lo, exec_lo, s19
	v_lshrrev_b32_e32 v1, 16, v0
	v_mov_b32_e32 v11, 0
	v_mov_b32_e32 v12, 0
	s_mov_b32 s8, exec_lo
	v_and_b32_e32 v2, 0xff, v1
	scratch_store_b64 off, v[11:12], s32 offset:488 ; 8-byte Folded Spill
	v_cmpx_ne_u16_e32 0, v2
	s_cbranch_execz .LBB281_195
; %bb.188:                              ;   in Loop: Header=BB281_11 Depth=1
	v_cmp_ne_u16_e64 s1, 0x80, v2
	v_bfrev_b32_e32 v2, 1
	v_mov_b32_e32 v3, 0
	scratch_store_b64 off, v[2:3], s32 offset:488 ; 8-byte Folded Spill
	s_and_saveexec_b32 s19, s1
	s_cbranch_execz .LBB281_194
; %bb.189:                              ;   in Loop: Header=BB281_11 Depth=1
	v_mov_b32_e32 v4, 0x7f800001
	v_bfe_u32 v3, v0, 16, 7
	v_mov_b32_e32 v5, 0
	s_mov_b32 s20, exec_lo
	scratch_store_b64 off, v[4:5], s32 offset:488 ; 8-byte Folded Spill
	v_cmpx_ne_u32_e32 0x7f, v3
	s_cbranch_execz .LBB281_193
; %bb.190:                              ;   in Loop: Header=BB281_11 Depth=1
	v_and_b32_e32 v94, 7, v1
	v_lshrrev_b32_e32 v2, 3, v3
	s_mov_b32 s21, exec_lo
	v_cmpx_gt_u32_e32 8, v3
; %bb.191:                              ;   in Loop: Header=BB281_11 Depth=1
	s_delay_alu instid0(VALU_DEP_3) | instskip(NEXT) | instid1(VALU_DEP_1)
	v_clz_i32_u32_e32 v2, v94
	v_min_u32_e32 v2, 32, v2
	s_delay_alu instid0(VALU_DEP_1) | instskip(SKIP_1) | instid1(VALU_DEP_2)
	v_subrev_nc_u32_e32 v3, 28, v2
	v_sub_nc_u32_e32 v2, 29, v2
	v_lshlrev_b64 v[3:4], v3, v[94:95]
	s_delay_alu instid0(VALU_DEP_1)
	v_and_b32_e32 v94, 7, v3
; %bb.192:                              ;   in Loop: Header=BB281_11 Depth=1
	s_or_b32 exec_lo, exec_lo, s21
	v_lshlrev_b32_e32 v1, 24, v1
	s_delay_alu instid0(VALU_DEP_2) | instskip(SKIP_1) | instid1(VALU_DEP_3)
	v_lshlrev_b32_e32 v3, 20, v94
	v_lshl_add_u32 v2, v2, 23, 0x3c000000
	v_and_b32_e32 v1, 0x80000000, v1
	s_delay_alu instid0(VALU_DEP_1)
	v_or3_b32 v94, v3, v1, v2
	scratch_store_b64 off, v[94:95], s32 offset:488 ; 8-byte Folded Spill
.LBB281_193:                            ;   in Loop: Header=BB281_11 Depth=1
	s_or_b32 exec_lo, exec_lo, s20
.LBB281_194:                            ;   in Loop: Header=BB281_11 Depth=1
	s_delay_alu instid0(SALU_CYCLE_1)
	s_or_b32 exec_lo, exec_lo, s19
.LBB281_195:                            ;   in Loop: Header=BB281_11 Depth=1
	s_delay_alu instid0(SALU_CYCLE_1) | instskip(NEXT) | instid1(SALU_CYCLE_1)
	s_or_b32 exec_lo, exec_lo, s8
	s_mov_b32 s19, exec_lo
	v_cmpx_lt_u32_e32 0xffffff, v0
	s_cbranch_execz .LBB281_203
; %bb.196:                              ;   in Loop: Header=BB281_11 Depth=1
	v_lshrrev_b32_e32 v1, 24, v0
	v_dual_mov_b32 v12, s3 :: v_dual_mov_b32 v11, s2
	s_mov_b32 s20, exec_lo
	s_delay_alu instid0(VALU_DEP_2)
	v_cmpx_ne_u32_e32 0x80, v1
	s_cbranch_execz .LBB281_202
; %bb.197:                              ;   in Loop: Header=BB281_11 Depth=1
	s_mov_b32 s8, s2
	v_bfe_u32 v2, v0, 24, 7
	v_dual_mov_b32 v12, s9 :: v_dual_mov_b32 v11, s8
	s_mov_b32 s8, exec_lo
	s_delay_alu instid0(VALU_DEP_2)
	v_cmpx_ne_u32_e32 0x7f, v2
	s_cbranch_execz .LBB281_201
; %bb.198:                              ;   in Loop: Header=BB281_11 Depth=1
	v_and_b32_e32 v94, 7, v1
	v_lshrrev_b32_e32 v0, 3, v2
	s_mov_b32 s21, exec_lo
	v_cmpx_gt_u32_e32 8, v2
; %bb.199:                              ;   in Loop: Header=BB281_11 Depth=1
	s_delay_alu instid0(VALU_DEP_3) | instskip(NEXT) | instid1(VALU_DEP_1)
	v_clz_i32_u32_e32 v0, v94
	v_min_u32_e32 v0, 32, v0
	s_delay_alu instid0(VALU_DEP_1) | instskip(SKIP_1) | instid1(VALU_DEP_2)
	v_subrev_nc_u32_e32 v2, 28, v0
	v_sub_nc_u32_e32 v0, 29, v0
	v_lshlrev_b64 v[2:3], v2, v[94:95]
	s_delay_alu instid0(VALU_DEP_1)
	v_and_b32_e32 v94, 7, v2
; %bb.200:                              ;   in Loop: Header=BB281_11 Depth=1
	s_or_b32 exec_lo, exec_lo, s21
	v_lshlrev_b32_e32 v1, 24, v1
	s_delay_alu instid0(VALU_DEP_2) | instskip(SKIP_1) | instid1(VALU_DEP_3)
	v_dual_mov_b32 v11, v95 :: v_dual_lshlrev_b32 v2, 20, v94
	v_lshl_add_u32 v0, v0, 23, 0x3c000000
	v_and_b32_e32 v1, 0x80000000, v1
	s_delay_alu instid0(VALU_DEP_1)
	v_or3_b32 v12, v2, v1, v0
.LBB281_201:                            ;   in Loop: Header=BB281_11 Depth=1
	s_or_b32 exec_lo, exec_lo, s8
.LBB281_202:                            ;   in Loop: Header=BB281_11 Depth=1
	s_delay_alu instid0(SALU_CYCLE_1)
	s_or_b32 exec_lo, exec_lo, s20
.LBB281_203:                            ;   in Loop: Header=BB281_11 Depth=1
	s_delay_alu instid0(SALU_CYCLE_1)
	s_or_b32 exec_lo, exec_lo, s19
	flat_load_b32 v2, v[152:153] offset:520
	v_mov_b32_e32 v0, 0
	v_mov_b32_e32 v1, 0
	s_mov_b32 s8, exec_lo
	scratch_store_b64 off, v[0:1], s32 offset:496 ; 8-byte Folded Spill
	s_waitcnt vmcnt(0) lgkmcnt(0)
	v_and_b32_e32 v3, 0xff, v2
	s_delay_alu instid0(VALU_DEP_1)
	v_cmpx_ne_u16_e32 0, v3
	s_cbranch_execz .LBB281_211
; %bb.204:                              ;   in Loop: Header=BB281_11 Depth=1
	v_cmp_ne_u16_e64 s1, 0x80, v3
	v_bfrev_b32_e32 v3, 1
	v_mov_b32_e32 v4, 0
	scratch_store_b64 off, v[3:4], s32 offset:496 ; 8-byte Folded Spill
	s_and_saveexec_b32 s19, s1
	s_cbranch_execz .LBB281_210
; %bb.205:                              ;   in Loop: Header=BB281_11 Depth=1
	v_mov_b32_e32 v5, 0x7f800001
	v_and_b32_e32 v4, 0x7f, v2
	v_mov_b32_e32 v6, 0
	s_mov_b32 s20, exec_lo
	scratch_store_b64 off, v[5:6], s32 offset:496 ; 8-byte Folded Spill
	v_cmpx_ne_u32_e32 0x7f, v4
	s_cbranch_execz .LBB281_209
; %bb.206:                              ;   in Loop: Header=BB281_11 Depth=1
	v_and_b32_e32 v94, 7, v2
	v_lshrrev_b32_e32 v3, 3, v4
	s_mov_b32 s21, exec_lo
	v_cmpx_gt_u32_e32 8, v4
; %bb.207:                              ;   in Loop: Header=BB281_11 Depth=1
	s_delay_alu instid0(VALU_DEP_3) | instskip(NEXT) | instid1(VALU_DEP_1)
	v_clz_i32_u32_e32 v3, v94
	v_min_u32_e32 v3, 32, v3
	s_delay_alu instid0(VALU_DEP_1) | instskip(SKIP_1) | instid1(VALU_DEP_2)
	v_subrev_nc_u32_e32 v4, 28, v3
	v_sub_nc_u32_e32 v3, 29, v3
	v_lshlrev_b64 v[4:5], v4, v[94:95]
	s_delay_alu instid0(VALU_DEP_1)
	v_and_b32_e32 v94, 7, v4
; %bb.208:                              ;   in Loop: Header=BB281_11 Depth=1
	s_or_b32 exec_lo, exec_lo, s21
	v_lshlrev_b32_e32 v4, 24, v2
	s_delay_alu instid0(VALU_DEP_2) | instskip(SKIP_1) | instid1(VALU_DEP_3)
	v_lshlrev_b32_e32 v5, 20, v94
	v_lshl_add_u32 v3, v3, 23, 0x3c000000
	v_and_b32_e32 v4, 0x80000000, v4
	s_delay_alu instid0(VALU_DEP_1)
	v_or3_b32 v94, v5, v4, v3
	scratch_store_b64 off, v[94:95], s32 offset:496 ; 8-byte Folded Spill
.LBB281_209:                            ;   in Loop: Header=BB281_11 Depth=1
	s_or_b32 exec_lo, exec_lo, s20
.LBB281_210:                            ;   in Loop: Header=BB281_11 Depth=1
	s_delay_alu instid0(SALU_CYCLE_1)
	s_or_b32 exec_lo, exec_lo, s19
.LBB281_211:                            ;   in Loop: Header=BB281_11 Depth=1
	s_delay_alu instid0(SALU_CYCLE_1) | instskip(SKIP_2) | instid1(VALU_DEP_1)
	s_or_b32 exec_lo, exec_lo, s8
	v_lshrrev_b16 v3, 8, v2
	s_mov_b32 s19, exec_lo
	v_cmpx_ne_u16_e32 0, v3
	s_cbranch_execz .LBB281_219
; %bb.212:                              ;   in Loop: Header=BB281_11 Depth=1
	v_dual_mov_b32 v0, s2 :: v_dual_mov_b32 v1, s3
	s_mov_b32 s20, exec_lo
	v_cmpx_ne_u16_e32 0x80, v3
	s_cbranch_execz .LBB281_218
; %bb.213:                              ;   in Loop: Header=BB281_11 Depth=1
	s_mov_b32 s8, s2
	v_and_b32_e32 v4, 0xffff, v3
	v_dual_mov_b32 v0, s8 :: v_dual_mov_b32 v1, s9
	s_mov_b32 s8, exec_lo
	s_delay_alu instid0(VALU_DEP_2) | instskip(NEXT) | instid1(VALU_DEP_1)
	v_and_b32_e32 v3, 0x7f, v4
	v_cmpx_ne_u32_e32 0x7f, v3
	s_cbranch_execz .LBB281_217
; %bb.214:                              ;   in Loop: Header=BB281_11 Depth=1
	v_and_b32_e32 v94, 7, v4
	v_lshrrev_b32_e32 v0, 3, v3
	s_mov_b32 s21, exec_lo
	v_cmpx_gt_u32_e32 8, v3
; %bb.215:                              ;   in Loop: Header=BB281_11 Depth=1
	s_delay_alu instid0(VALU_DEP_3) | instskip(NEXT) | instid1(VALU_DEP_1)
	v_clz_i32_u32_e32 v0, v94
	v_min_u32_e32 v0, 32, v0
	s_delay_alu instid0(VALU_DEP_1) | instskip(SKIP_1) | instid1(VALU_DEP_2)
	v_subrev_nc_u32_e32 v1, 28, v0
	v_sub_nc_u32_e32 v0, 29, v0
	v_lshlrev_b64 v[3:4], v1, v[94:95]
	s_delay_alu instid0(VALU_DEP_1)
	v_and_b32_e32 v94, 7, v3
; %bb.216:                              ;   in Loop: Header=BB281_11 Depth=1
	s_or_b32 exec_lo, exec_lo, s21
	v_lshlrev_b32_e32 v1, 16, v2
	s_delay_alu instid0(VALU_DEP_2) | instskip(SKIP_1) | instid1(VALU_DEP_3)
	v_lshlrev_b32_e32 v3, 20, v94
	v_lshl_add_u32 v0, v0, 23, 0x3c000000
	v_and_b32_e32 v1, 0x80000000, v1
	s_delay_alu instid0(VALU_DEP_1)
	v_or3_b32 v1, v3, v1, v0
	v_mov_b32_e32 v0, v95
.LBB281_217:                            ;   in Loop: Header=BB281_11 Depth=1
	s_or_b32 exec_lo, exec_lo, s8
.LBB281_218:                            ;   in Loop: Header=BB281_11 Depth=1
	s_delay_alu instid0(SALU_CYCLE_1)
	s_or_b32 exec_lo, exec_lo, s20
.LBB281_219:                            ;   in Loop: Header=BB281_11 Depth=1
	s_delay_alu instid0(SALU_CYCLE_1) | instskip(SKIP_4) | instid1(VALU_DEP_3)
	s_or_b32 exec_lo, exec_lo, s19
	v_lshrrev_b32_e32 v3, 16, v2
	v_mov_b32_e32 v14, 0
	v_mov_b32_e32 v15, 0
	s_mov_b32 s8, exec_lo
	v_and_b32_e32 v4, 0xff, v3
	scratch_store_b64 off, v[14:15], s32 offset:504 ; 8-byte Folded Spill
	v_cmpx_ne_u16_e32 0, v4
	s_cbranch_execz .LBB281_227
; %bb.220:                              ;   in Loop: Header=BB281_11 Depth=1
	v_cmp_ne_u16_e64 s1, 0x80, v4
	v_bfrev_b32_e32 v4, 1
	v_mov_b32_e32 v5, 0
	scratch_store_b64 off, v[4:5], s32 offset:504 ; 8-byte Folded Spill
	s_and_saveexec_b32 s19, s1
	s_cbranch_execz .LBB281_226
; %bb.221:                              ;   in Loop: Header=BB281_11 Depth=1
	v_mov_b32_e32 v6, 0x7f800001
	v_bfe_u32 v5, v2, 16, 7
	v_mov_b32_e32 v7, 0
	s_mov_b32 s20, exec_lo
	scratch_store_b64 off, v[6:7], s32 offset:504 ; 8-byte Folded Spill
	v_cmpx_ne_u32_e32 0x7f, v5
	s_cbranch_execz .LBB281_225
; %bb.222:                              ;   in Loop: Header=BB281_11 Depth=1
	v_and_b32_e32 v94, 7, v3
	v_lshrrev_b32_e32 v4, 3, v5
	s_mov_b32 s21, exec_lo
	v_cmpx_gt_u32_e32 8, v5
; %bb.223:                              ;   in Loop: Header=BB281_11 Depth=1
	s_delay_alu instid0(VALU_DEP_3) | instskip(NEXT) | instid1(VALU_DEP_1)
	v_clz_i32_u32_e32 v4, v94
	v_min_u32_e32 v4, 32, v4
	s_delay_alu instid0(VALU_DEP_1) | instskip(SKIP_1) | instid1(VALU_DEP_2)
	v_subrev_nc_u32_e32 v5, 28, v4
	v_sub_nc_u32_e32 v4, 29, v4
	v_lshlrev_b64 v[5:6], v5, v[94:95]
	s_delay_alu instid0(VALU_DEP_1)
	v_and_b32_e32 v94, 7, v5
; %bb.224:                              ;   in Loop: Header=BB281_11 Depth=1
	s_or_b32 exec_lo, exec_lo, s21
	v_lshlrev_b32_e32 v3, 24, v3
	s_delay_alu instid0(VALU_DEP_2) | instskip(SKIP_1) | instid1(VALU_DEP_3)
	v_lshlrev_b32_e32 v5, 20, v94
	v_lshl_add_u32 v4, v4, 23, 0x3c000000
	v_and_b32_e32 v3, 0x80000000, v3
	s_delay_alu instid0(VALU_DEP_1)
	v_or3_b32 v94, v5, v3, v4
	scratch_store_b64 off, v[94:95], s32 offset:504 ; 8-byte Folded Spill
.LBB281_225:                            ;   in Loop: Header=BB281_11 Depth=1
	s_or_b32 exec_lo, exec_lo, s20
.LBB281_226:                            ;   in Loop: Header=BB281_11 Depth=1
	s_delay_alu instid0(SALU_CYCLE_1)
	s_or_b32 exec_lo, exec_lo, s19
.LBB281_227:                            ;   in Loop: Header=BB281_11 Depth=1
	s_delay_alu instid0(SALU_CYCLE_1) | instskip(NEXT) | instid1(SALU_CYCLE_1)
	s_or_b32 exec_lo, exec_lo, s8
	s_mov_b32 s19, exec_lo
	v_cmpx_lt_u32_e32 0xffffff, v2
	s_cbranch_execz .LBB281_235
; %bb.228:                              ;   in Loop: Header=BB281_11 Depth=1
	v_lshrrev_b32_e32 v3, 24, v2
	v_dual_mov_b32 v15, s3 :: v_dual_mov_b32 v14, s2
	s_mov_b32 s20, exec_lo
	s_delay_alu instid0(VALU_DEP_2)
	v_cmpx_ne_u32_e32 0x80, v3
	s_cbranch_execz .LBB281_234
; %bb.229:                              ;   in Loop: Header=BB281_11 Depth=1
	s_mov_b32 s8, s2
	v_bfe_u32 v4, v2, 24, 7
	v_dual_mov_b32 v15, s9 :: v_dual_mov_b32 v14, s8
	s_mov_b32 s8, exec_lo
	s_delay_alu instid0(VALU_DEP_2)
	v_cmpx_ne_u32_e32 0x7f, v4
	s_cbranch_execz .LBB281_233
; %bb.230:                              ;   in Loop: Header=BB281_11 Depth=1
	v_and_b32_e32 v94, 7, v3
	v_lshrrev_b32_e32 v2, 3, v4
	s_mov_b32 s21, exec_lo
	v_cmpx_gt_u32_e32 8, v4
; %bb.231:                              ;   in Loop: Header=BB281_11 Depth=1
	s_delay_alu instid0(VALU_DEP_3) | instskip(NEXT) | instid1(VALU_DEP_1)
	v_clz_i32_u32_e32 v2, v94
	v_min_u32_e32 v2, 32, v2
	s_delay_alu instid0(VALU_DEP_1) | instskip(SKIP_1) | instid1(VALU_DEP_2)
	v_subrev_nc_u32_e32 v4, 28, v2
	v_sub_nc_u32_e32 v2, 29, v2
	v_lshlrev_b64 v[4:5], v4, v[94:95]
	s_delay_alu instid0(VALU_DEP_1)
	v_and_b32_e32 v94, 7, v4
; %bb.232:                              ;   in Loop: Header=BB281_11 Depth=1
	s_or_b32 exec_lo, exec_lo, s21
	v_dual_mov_b32 v14, v95 :: v_dual_lshlrev_b32 v3, 24, v3
	s_delay_alu instid0(VALU_DEP_2) | instskip(SKIP_1) | instid1(VALU_DEP_3)
	v_lshlrev_b32_e32 v4, 20, v94
	v_lshl_add_u32 v2, v2, 23, 0x3c000000
	v_and_b32_e32 v3, 0x80000000, v3
	s_delay_alu instid0(VALU_DEP_1)
	v_or3_b32 v15, v4, v3, v2
.LBB281_233:                            ;   in Loop: Header=BB281_11 Depth=1
	s_or_b32 exec_lo, exec_lo, s8
.LBB281_234:                            ;   in Loop: Header=BB281_11 Depth=1
	s_delay_alu instid0(SALU_CYCLE_1)
	s_or_b32 exec_lo, exec_lo, s20
.LBB281_235:                            ;   in Loop: Header=BB281_11 Depth=1
	s_delay_alu instid0(SALU_CYCLE_1)
	s_or_b32 exec_lo, exec_lo, s19
	flat_load_b32 v2, v[152:153] offset:524
	v_mov_b32_e32 v26, 0
	v_mov_b32_e32 v27, 0
	s_mov_b32 s8, exec_lo
	scratch_store_b64 off, v[26:27], s32 offset:512 ; 8-byte Folded Spill
	s_waitcnt vmcnt(0) lgkmcnt(0)
	v_and_b32_e32 v3, 0xff, v2
	s_delay_alu instid0(VALU_DEP_1)
	v_cmpx_ne_u16_e32 0, v3
	s_cbranch_execz .LBB281_243
; %bb.236:                              ;   in Loop: Header=BB281_11 Depth=1
	v_cmp_ne_u16_e64 s1, 0x80, v3
	v_bfrev_b32_e32 v3, 1
	v_mov_b32_e32 v4, 0
	scratch_store_b64 off, v[3:4], s32 offset:512 ; 8-byte Folded Spill
	s_and_saveexec_b32 s19, s1
	s_cbranch_execz .LBB281_242
; %bb.237:                              ;   in Loop: Header=BB281_11 Depth=1
	v_mov_b32_e32 v5, 0x7f800001
	v_and_b32_e32 v4, 0x7f, v2
	v_mov_b32_e32 v6, 0
	s_mov_b32 s20, exec_lo
	scratch_store_b64 off, v[5:6], s32 offset:512 ; 8-byte Folded Spill
	v_cmpx_ne_u32_e32 0x7f, v4
	s_cbranch_execz .LBB281_241
; %bb.238:                              ;   in Loop: Header=BB281_11 Depth=1
	v_and_b32_e32 v94, 7, v2
	v_lshrrev_b32_e32 v3, 3, v4
	s_mov_b32 s21, exec_lo
	v_cmpx_gt_u32_e32 8, v4
; %bb.239:                              ;   in Loop: Header=BB281_11 Depth=1
	s_delay_alu instid0(VALU_DEP_3) | instskip(NEXT) | instid1(VALU_DEP_1)
	v_clz_i32_u32_e32 v3, v94
	v_min_u32_e32 v3, 32, v3
	s_delay_alu instid0(VALU_DEP_1) | instskip(SKIP_1) | instid1(VALU_DEP_2)
	v_subrev_nc_u32_e32 v4, 28, v3
	v_sub_nc_u32_e32 v3, 29, v3
	v_lshlrev_b64 v[4:5], v4, v[94:95]
	s_delay_alu instid0(VALU_DEP_1)
	v_and_b32_e32 v94, 7, v4
; %bb.240:                              ;   in Loop: Header=BB281_11 Depth=1
	s_or_b32 exec_lo, exec_lo, s21
	v_lshlrev_b32_e32 v4, 24, v2
	s_delay_alu instid0(VALU_DEP_2) | instskip(SKIP_1) | instid1(VALU_DEP_3)
	v_lshlrev_b32_e32 v5, 20, v94
	v_lshl_add_u32 v3, v3, 23, 0x3c000000
	v_and_b32_e32 v4, 0x80000000, v4
	s_delay_alu instid0(VALU_DEP_1)
	v_or3_b32 v94, v5, v4, v3
	scratch_store_b64 off, v[94:95], s32 offset:512 ; 8-byte Folded Spill
.LBB281_241:                            ;   in Loop: Header=BB281_11 Depth=1
	s_or_b32 exec_lo, exec_lo, s20
.LBB281_242:                            ;   in Loop: Header=BB281_11 Depth=1
	s_delay_alu instid0(SALU_CYCLE_1)
	s_or_b32 exec_lo, exec_lo, s19
.LBB281_243:                            ;   in Loop: Header=BB281_11 Depth=1
	s_delay_alu instid0(SALU_CYCLE_1) | instskip(SKIP_2) | instid1(VALU_DEP_1)
	s_or_b32 exec_lo, exec_lo, s8
	v_lshrrev_b16 v3, 8, v2
	s_mov_b32 s19, exec_lo
	v_cmpx_ne_u16_e32 0, v3
	s_cbranch_execz .LBB281_251
; %bb.244:                              ;   in Loop: Header=BB281_11 Depth=1
	v_dual_mov_b32 v27, s3 :: v_dual_mov_b32 v26, s2
	s_mov_b32 s20, exec_lo
	v_cmpx_ne_u16_e32 0x80, v3
	s_cbranch_execz .LBB281_250
; %bb.245:                              ;   in Loop: Header=BB281_11 Depth=1
	s_mov_b32 s8, s2
	v_and_b32_e32 v3, 0xffff, v3
	v_dual_mov_b32 v27, s9 :: v_dual_mov_b32 v26, s8
	s_mov_b32 s8, exec_lo
	s_delay_alu instid0(VALU_DEP_2) | instskip(NEXT) | instid1(VALU_DEP_1)
	v_and_b32_e32 v4, 0x7f, v3
	v_cmpx_ne_u32_e32 0x7f, v4
	s_cbranch_execz .LBB281_249
; %bb.246:                              ;   in Loop: Header=BB281_11 Depth=1
	v_and_b32_e32 v94, 7, v3
	v_lshrrev_b32_e32 v3, 3, v4
	s_mov_b32 s21, exec_lo
	v_cmpx_gt_u32_e32 8, v4
; %bb.247:                              ;   in Loop: Header=BB281_11 Depth=1
	s_delay_alu instid0(VALU_DEP_3) | instskip(NEXT) | instid1(VALU_DEP_1)
	v_clz_i32_u32_e32 v3, v94
	v_min_u32_e32 v3, 32, v3
	s_delay_alu instid0(VALU_DEP_1) | instskip(SKIP_1) | instid1(VALU_DEP_2)
	v_subrev_nc_u32_e32 v4, 28, v3
	v_sub_nc_u32_e32 v3, 29, v3
	v_lshlrev_b64 v[4:5], v4, v[94:95]
	s_delay_alu instid0(VALU_DEP_1)
	v_and_b32_e32 v94, 7, v4
; %bb.248:                              ;   in Loop: Header=BB281_11 Depth=1
	s_or_b32 exec_lo, exec_lo, s21
	v_lshlrev_b32_e32 v4, 16, v2
	s_delay_alu instid0(VALU_DEP_2) | instskip(SKIP_1) | instid1(VALU_DEP_3)
	v_dual_mov_b32 v26, v95 :: v_dual_lshlrev_b32 v5, 20, v94
	v_lshl_add_u32 v3, v3, 23, 0x3c000000
	v_and_b32_e32 v4, 0x80000000, v4
	s_delay_alu instid0(VALU_DEP_1)
	v_or3_b32 v27, v5, v4, v3
.LBB281_249:                            ;   in Loop: Header=BB281_11 Depth=1
	s_or_b32 exec_lo, exec_lo, s8
.LBB281_250:                            ;   in Loop: Header=BB281_11 Depth=1
	s_delay_alu instid0(SALU_CYCLE_1)
	s_or_b32 exec_lo, exec_lo, s20
.LBB281_251:                            ;   in Loop: Header=BB281_11 Depth=1
	s_delay_alu instid0(SALU_CYCLE_1) | instskip(SKIP_4) | instid1(VALU_DEP_3)
	s_or_b32 exec_lo, exec_lo, s19
	v_lshrrev_b32_e32 v3, 16, v2
	v_mov_b32_e32 v6, 0
	v_mov_b32_e32 v7, 0
	s_mov_b32 s8, exec_lo
	v_and_b32_e32 v4, 0xff, v3
	scratch_store_b64 off, v[6:7], s32 offset:520 ; 8-byte Folded Spill
	v_cmpx_ne_u16_e32 0, v4
	s_cbranch_execz .LBB281_259
; %bb.252:                              ;   in Loop: Header=BB281_11 Depth=1
	v_cmp_ne_u16_e64 s1, 0x80, v4
	v_bfrev_b32_e32 v4, 1
	v_mov_b32_e32 v5, 0
	scratch_store_b64 off, v[4:5], s32 offset:520 ; 8-byte Folded Spill
	s_and_saveexec_b32 s19, s1
	s_cbranch_execz .LBB281_258
; %bb.253:                              ;   in Loop: Header=BB281_11 Depth=1
	v_mov_b32_e32 v8, 0x7f800001
	v_bfe_u32 v5, v2, 16, 7
	v_mov_b32_e32 v9, 0
	s_mov_b32 s20, exec_lo
	scratch_store_b64 off, v[8:9], s32 offset:520 ; 8-byte Folded Spill
	v_cmpx_ne_u32_e32 0x7f, v5
	s_cbranch_execz .LBB281_257
; %bb.254:                              ;   in Loop: Header=BB281_11 Depth=1
	v_and_b32_e32 v94, 7, v3
	v_lshrrev_b32_e32 v4, 3, v5
	s_mov_b32 s21, exec_lo
	v_cmpx_gt_u32_e32 8, v5
; %bb.255:                              ;   in Loop: Header=BB281_11 Depth=1
	s_delay_alu instid0(VALU_DEP_3) | instskip(NEXT) | instid1(VALU_DEP_1)
	v_clz_i32_u32_e32 v4, v94
	v_min_u32_e32 v4, 32, v4
	s_delay_alu instid0(VALU_DEP_1) | instskip(SKIP_1) | instid1(VALU_DEP_2)
	v_subrev_nc_u32_e32 v5, 28, v4
	v_sub_nc_u32_e32 v4, 29, v4
	v_lshlrev_b64 v[8:9], v5, v[94:95]
	s_delay_alu instid0(VALU_DEP_1)
	v_and_b32_e32 v94, 7, v8
; %bb.256:                              ;   in Loop: Header=BB281_11 Depth=1
	s_or_b32 exec_lo, exec_lo, s21
	v_lshlrev_b32_e32 v3, 24, v3
	s_delay_alu instid0(VALU_DEP_2) | instskip(SKIP_1) | instid1(VALU_DEP_3)
	v_lshlrev_b32_e32 v5, 20, v94
	v_lshl_add_u32 v4, v4, 23, 0x3c000000
	v_and_b32_e32 v3, 0x80000000, v3
	s_delay_alu instid0(VALU_DEP_1)
	v_or3_b32 v94, v5, v3, v4
	scratch_store_b64 off, v[94:95], s32 offset:520 ; 8-byte Folded Spill
.LBB281_257:                            ;   in Loop: Header=BB281_11 Depth=1
	s_or_b32 exec_lo, exec_lo, s20
.LBB281_258:                            ;   in Loop: Header=BB281_11 Depth=1
	s_delay_alu instid0(SALU_CYCLE_1)
	s_or_b32 exec_lo, exec_lo, s19
.LBB281_259:                            ;   in Loop: Header=BB281_11 Depth=1
	s_delay_alu instid0(SALU_CYCLE_1) | instskip(NEXT) | instid1(SALU_CYCLE_1)
	s_or_b32 exec_lo, exec_lo, s8
	s_mov_b32 s19, exec_lo
	v_cmpx_lt_u32_e32 0xffffff, v2
	s_cbranch_execz .LBB281_267
; %bb.260:                              ;   in Loop: Header=BB281_11 Depth=1
	v_lshrrev_b32_e32 v3, 24, v2
	v_dual_mov_b32 v7, s3 :: v_dual_mov_b32 v6, s2
	s_mov_b32 s20, exec_lo
	s_delay_alu instid0(VALU_DEP_2)
	v_cmpx_ne_u32_e32 0x80, v3
	s_cbranch_execz .LBB281_266
; %bb.261:                              ;   in Loop: Header=BB281_11 Depth=1
	s_mov_b32 s8, s2
	v_bfe_u32 v4, v2, 24, 7
	v_dual_mov_b32 v6, s8 :: v_dual_mov_b32 v7, s9
	s_mov_b32 s8, exec_lo
	s_delay_alu instid0(VALU_DEP_2)
	v_cmpx_ne_u32_e32 0x7f, v4
	s_cbranch_execz .LBB281_265
; %bb.262:                              ;   in Loop: Header=BB281_11 Depth=1
	v_and_b32_e32 v94, 7, v3
	v_lshrrev_b32_e32 v2, 3, v4
	s_mov_b32 s21, exec_lo
	v_cmpx_gt_u32_e32 8, v4
; %bb.263:                              ;   in Loop: Header=BB281_11 Depth=1
	s_delay_alu instid0(VALU_DEP_3) | instskip(NEXT) | instid1(VALU_DEP_1)
	v_clz_i32_u32_e32 v2, v94
	v_min_u32_e32 v2, 32, v2
	s_delay_alu instid0(VALU_DEP_1) | instskip(SKIP_1) | instid1(VALU_DEP_2)
	v_subrev_nc_u32_e32 v4, 28, v2
	v_sub_nc_u32_e32 v2, 29, v2
	v_lshlrev_b64 v[4:5], v4, v[94:95]
	s_delay_alu instid0(VALU_DEP_1)
	v_and_b32_e32 v94, 7, v4
; %bb.264:                              ;   in Loop: Header=BB281_11 Depth=1
	s_or_b32 exec_lo, exec_lo, s21
	v_dual_mov_b32 v6, v95 :: v_dual_lshlrev_b32 v3, 24, v3
	s_delay_alu instid0(VALU_DEP_2) | instskip(SKIP_1) | instid1(VALU_DEP_3)
	v_lshlrev_b32_e32 v4, 20, v94
	v_lshl_add_u32 v2, v2, 23, 0x3c000000
	v_and_b32_e32 v3, 0x80000000, v3
	s_delay_alu instid0(VALU_DEP_1)
	v_or3_b32 v7, v4, v3, v2
.LBB281_265:                            ;   in Loop: Header=BB281_11 Depth=1
	s_or_b32 exec_lo, exec_lo, s8
.LBB281_266:                            ;   in Loop: Header=BB281_11 Depth=1
	s_delay_alu instid0(SALU_CYCLE_1)
	s_or_b32 exec_lo, exec_lo, s20
.LBB281_267:                            ;   in Loop: Header=BB281_11 Depth=1
	s_delay_alu instid0(SALU_CYCLE_1)
	s_or_b32 exec_lo, exec_lo, s19
	flat_load_b32 v2, v[152:153] offset:1024
	v_mov_b32_e32 v16, 0
	v_mov_b32_e32 v17, 0
	s_mov_b32 s8, exec_lo
	scratch_store_b64 off, v[16:17], s32 offset:528 ; 8-byte Folded Spill
	s_waitcnt vmcnt(0) lgkmcnt(0)
	v_and_b32_e32 v3, 0xff, v2
	s_delay_alu instid0(VALU_DEP_1)
	v_cmpx_ne_u16_e32 0, v3
	s_cbranch_execz .LBB281_275
; %bb.268:                              ;   in Loop: Header=BB281_11 Depth=1
	v_cmp_ne_u16_e64 s1, 0x80, v3
	v_bfrev_b32_e32 v3, 1
	v_mov_b32_e32 v4, 0
	scratch_store_b64 off, v[3:4], s32 offset:528 ; 8-byte Folded Spill
	s_and_saveexec_b32 s19, s1
	s_cbranch_execz .LBB281_274
; %bb.269:                              ;   in Loop: Header=BB281_11 Depth=1
	v_mov_b32_e32 v8, 0x7f800001
	v_dual_mov_b32 v9, 0 :: v_dual_and_b32 v4, 0x7f, v2
	s_mov_b32 s20, exec_lo
	scratch_store_b64 off, v[8:9], s32 offset:528 ; 8-byte Folded Spill
	v_cmpx_ne_u32_e32 0x7f, v4
	s_cbranch_execz .LBB281_273
; %bb.270:                              ;   in Loop: Header=BB281_11 Depth=1
	v_and_b32_e32 v94, 7, v2
	v_lshrrev_b32_e32 v3, 3, v4
	s_mov_b32 s21, exec_lo
	v_cmpx_gt_u32_e32 8, v4
; %bb.271:                              ;   in Loop: Header=BB281_11 Depth=1
	s_delay_alu instid0(VALU_DEP_3) | instskip(NEXT) | instid1(VALU_DEP_1)
	v_clz_i32_u32_e32 v3, v94
	v_min_u32_e32 v3, 32, v3
	s_delay_alu instid0(VALU_DEP_1) | instskip(SKIP_1) | instid1(VALU_DEP_2)
	v_subrev_nc_u32_e32 v4, 28, v3
	v_sub_nc_u32_e32 v3, 29, v3
	v_lshlrev_b64 v[4:5], v4, v[94:95]
	s_delay_alu instid0(VALU_DEP_1)
	v_and_b32_e32 v94, 7, v4
; %bb.272:                              ;   in Loop: Header=BB281_11 Depth=1
	s_or_b32 exec_lo, exec_lo, s21
	v_lshlrev_b32_e32 v4, 24, v2
	s_delay_alu instid0(VALU_DEP_2) | instskip(SKIP_1) | instid1(VALU_DEP_3)
	v_lshlrev_b32_e32 v5, 20, v94
	v_lshl_add_u32 v3, v3, 23, 0x3c000000
	v_and_b32_e32 v4, 0x80000000, v4
	s_delay_alu instid0(VALU_DEP_1)
	v_or3_b32 v94, v5, v4, v3
	scratch_store_b64 off, v[94:95], s32 offset:528 ; 8-byte Folded Spill
.LBB281_273:                            ;   in Loop: Header=BB281_11 Depth=1
	s_or_b32 exec_lo, exec_lo, s20
.LBB281_274:                            ;   in Loop: Header=BB281_11 Depth=1
	s_delay_alu instid0(SALU_CYCLE_1)
	s_or_b32 exec_lo, exec_lo, s19
.LBB281_275:                            ;   in Loop: Header=BB281_11 Depth=1
	s_delay_alu instid0(SALU_CYCLE_1) | instskip(SKIP_2) | instid1(VALU_DEP_1)
	s_or_b32 exec_lo, exec_lo, s8
	v_lshrrev_b16 v3, 8, v2
	s_mov_b32 s19, exec_lo
	v_cmpx_ne_u16_e32 0, v3
	s_cbranch_execz .LBB281_283
; %bb.276:                              ;   in Loop: Header=BB281_11 Depth=1
	v_dual_mov_b32 v17, s3 :: v_dual_mov_b32 v16, s2
	s_mov_b32 s20, exec_lo
	v_cmpx_ne_u16_e32 0x80, v3
	s_cbranch_execz .LBB281_282
; %bb.277:                              ;   in Loop: Header=BB281_11 Depth=1
	s_mov_b32 s8, s2
	v_and_b32_e32 v3, 0xffff, v3
	v_dual_mov_b32 v17, s9 :: v_dual_mov_b32 v16, s8
	s_mov_b32 s8, exec_lo
	s_delay_alu instid0(VALU_DEP_2) | instskip(NEXT) | instid1(VALU_DEP_1)
	v_and_b32_e32 v4, 0x7f, v3
	v_cmpx_ne_u32_e32 0x7f, v4
	s_cbranch_execz .LBB281_281
; %bb.278:                              ;   in Loop: Header=BB281_11 Depth=1
	v_and_b32_e32 v94, 7, v3
	v_lshrrev_b32_e32 v3, 3, v4
	s_mov_b32 s21, exec_lo
	v_cmpx_gt_u32_e32 8, v4
; %bb.279:                              ;   in Loop: Header=BB281_11 Depth=1
	s_delay_alu instid0(VALU_DEP_3) | instskip(NEXT) | instid1(VALU_DEP_1)
	v_clz_i32_u32_e32 v3, v94
	v_min_u32_e32 v3, 32, v3
	s_delay_alu instid0(VALU_DEP_1) | instskip(SKIP_1) | instid1(VALU_DEP_2)
	v_subrev_nc_u32_e32 v4, 28, v3
	v_sub_nc_u32_e32 v3, 29, v3
	v_lshlrev_b64 v[4:5], v4, v[94:95]
	s_delay_alu instid0(VALU_DEP_1)
	v_and_b32_e32 v94, 7, v4
; %bb.280:                              ;   in Loop: Header=BB281_11 Depth=1
	s_or_b32 exec_lo, exec_lo, s21
	v_lshlrev_b32_e32 v4, 16, v2
	s_delay_alu instid0(VALU_DEP_2) | instskip(SKIP_1) | instid1(VALU_DEP_3)
	v_dual_mov_b32 v16, v95 :: v_dual_lshlrev_b32 v5, 20, v94
	v_lshl_add_u32 v3, v3, 23, 0x3c000000
	v_and_b32_e32 v4, 0x80000000, v4
	s_delay_alu instid0(VALU_DEP_1)
	v_or3_b32 v17, v5, v4, v3
.LBB281_281:                            ;   in Loop: Header=BB281_11 Depth=1
	s_or_b32 exec_lo, exec_lo, s8
.LBB281_282:                            ;   in Loop: Header=BB281_11 Depth=1
	s_delay_alu instid0(SALU_CYCLE_1)
	s_or_b32 exec_lo, exec_lo, s20
.LBB281_283:                            ;   in Loop: Header=BB281_11 Depth=1
	s_delay_alu instid0(SALU_CYCLE_1) | instskip(SKIP_4) | instid1(VALU_DEP_3)
	s_or_b32 exec_lo, exec_lo, s19
	v_lshrrev_b32_e32 v3, 16, v2
	v_mov_b32_e32 v28, 0
	v_mov_b32_e32 v29, 0
	s_mov_b32 s8, exec_lo
	v_and_b32_e32 v4, 0xff, v3
	scratch_store_b64 off, v[28:29], s32 offset:536 ; 8-byte Folded Spill
	v_cmpx_ne_u16_e32 0, v4
	s_cbranch_execz .LBB281_291
; %bb.284:                              ;   in Loop: Header=BB281_11 Depth=1
	v_cmp_ne_u16_e64 s1, 0x80, v4
	v_bfrev_b32_e32 v4, 1
	v_mov_b32_e32 v5, 0
	scratch_store_b64 off, v[4:5], s32 offset:536 ; 8-byte Folded Spill
	s_and_saveexec_b32 s19, s1
	s_cbranch_execz .LBB281_290
; %bb.285:                              ;   in Loop: Header=BB281_11 Depth=1
	v_mov_b32_e32 v8, 0x7f800001
	v_bfe_u32 v5, v2, 16, 7
	v_mov_b32_e32 v9, 0
	s_mov_b32 s20, exec_lo
	scratch_store_b64 off, v[8:9], s32 offset:536 ; 8-byte Folded Spill
	v_cmpx_ne_u32_e32 0x7f, v5
	s_cbranch_execz .LBB281_289
; %bb.286:                              ;   in Loop: Header=BB281_11 Depth=1
	v_and_b32_e32 v94, 7, v3
	v_lshrrev_b32_e32 v4, 3, v5
	s_mov_b32 s21, exec_lo
	v_cmpx_gt_u32_e32 8, v5
; %bb.287:                              ;   in Loop: Header=BB281_11 Depth=1
	s_delay_alu instid0(VALU_DEP_3) | instskip(NEXT) | instid1(VALU_DEP_1)
	v_clz_i32_u32_e32 v4, v94
	v_min_u32_e32 v4, 32, v4
	s_delay_alu instid0(VALU_DEP_1) | instskip(SKIP_1) | instid1(VALU_DEP_2)
	v_subrev_nc_u32_e32 v5, 28, v4
	v_sub_nc_u32_e32 v4, 29, v4
	v_lshlrev_b64 v[8:9], v5, v[94:95]
	s_delay_alu instid0(VALU_DEP_1)
	v_and_b32_e32 v94, 7, v8
; %bb.288:                              ;   in Loop: Header=BB281_11 Depth=1
	s_or_b32 exec_lo, exec_lo, s21
	v_lshlrev_b32_e32 v3, 24, v3
	s_delay_alu instid0(VALU_DEP_2) | instskip(SKIP_1) | instid1(VALU_DEP_3)
	v_lshlrev_b32_e32 v5, 20, v94
	v_lshl_add_u32 v4, v4, 23, 0x3c000000
	v_and_b32_e32 v3, 0x80000000, v3
	s_delay_alu instid0(VALU_DEP_1)
	v_or3_b32 v94, v5, v3, v4
	scratch_store_b64 off, v[94:95], s32 offset:536 ; 8-byte Folded Spill
.LBB281_289:                            ;   in Loop: Header=BB281_11 Depth=1
	s_or_b32 exec_lo, exec_lo, s20
.LBB281_290:                            ;   in Loop: Header=BB281_11 Depth=1
	s_delay_alu instid0(SALU_CYCLE_1)
	s_or_b32 exec_lo, exec_lo, s19
.LBB281_291:                            ;   in Loop: Header=BB281_11 Depth=1
	s_delay_alu instid0(SALU_CYCLE_1) | instskip(NEXT) | instid1(SALU_CYCLE_1)
	s_or_b32 exec_lo, exec_lo, s8
	s_mov_b32 s19, exec_lo
	v_cmpx_lt_u32_e32 0xffffff, v2
	s_cbranch_execz .LBB281_299
; %bb.292:                              ;   in Loop: Header=BB281_11 Depth=1
	v_lshrrev_b32_e32 v3, 24, v2
	v_dual_mov_b32 v29, s3 :: v_dual_mov_b32 v28, s2
	s_mov_b32 s20, exec_lo
	s_delay_alu instid0(VALU_DEP_2)
	v_cmpx_ne_u32_e32 0x80, v3
	s_cbranch_execz .LBB281_298
; %bb.293:                              ;   in Loop: Header=BB281_11 Depth=1
	s_mov_b32 s8, s2
	v_bfe_u32 v4, v2, 24, 7
	v_dual_mov_b32 v29, s9 :: v_dual_mov_b32 v28, s8
	s_mov_b32 s8, exec_lo
	s_delay_alu instid0(VALU_DEP_2)
	v_cmpx_ne_u32_e32 0x7f, v4
	s_cbranch_execz .LBB281_297
; %bb.294:                              ;   in Loop: Header=BB281_11 Depth=1
	v_and_b32_e32 v94, 7, v3
	v_lshrrev_b32_e32 v2, 3, v4
	s_mov_b32 s21, exec_lo
	v_cmpx_gt_u32_e32 8, v4
; %bb.295:                              ;   in Loop: Header=BB281_11 Depth=1
	s_delay_alu instid0(VALU_DEP_3) | instskip(NEXT) | instid1(VALU_DEP_1)
	v_clz_i32_u32_e32 v2, v94
	v_min_u32_e32 v2, 32, v2
	s_delay_alu instid0(VALU_DEP_1) | instskip(SKIP_1) | instid1(VALU_DEP_2)
	v_subrev_nc_u32_e32 v4, 28, v2
	v_sub_nc_u32_e32 v2, 29, v2
	v_lshlrev_b64 v[4:5], v4, v[94:95]
	s_delay_alu instid0(VALU_DEP_1)
	v_and_b32_e32 v94, 7, v4
; %bb.296:                              ;   in Loop: Header=BB281_11 Depth=1
	s_or_b32 exec_lo, exec_lo, s21
	v_dual_mov_b32 v28, v95 :: v_dual_lshlrev_b32 v3, 24, v3
	s_delay_alu instid0(VALU_DEP_2) | instskip(SKIP_1) | instid1(VALU_DEP_3)
	v_lshlrev_b32_e32 v4, 20, v94
	v_lshl_add_u32 v2, v2, 23, 0x3c000000
	v_and_b32_e32 v3, 0x80000000, v3
	s_delay_alu instid0(VALU_DEP_1)
	v_or3_b32 v29, v4, v3, v2
.LBB281_297:                            ;   in Loop: Header=BB281_11 Depth=1
	s_or_b32 exec_lo, exec_lo, s8
.LBB281_298:                            ;   in Loop: Header=BB281_11 Depth=1
	s_delay_alu instid0(SALU_CYCLE_1)
	s_or_b32 exec_lo, exec_lo, s20
.LBB281_299:                            ;   in Loop: Header=BB281_11 Depth=1
	s_delay_alu instid0(SALU_CYCLE_1)
	s_or_b32 exec_lo, exec_lo, s19
	flat_load_b32 v2, v[152:153] offset:1028
	v_mov_b32_e32 v32, 0
	v_mov_b32_e32 v33, 0
	s_mov_b32 s8, exec_lo
	scratch_store_b64 off, v[32:33], s32 offset:544 ; 8-byte Folded Spill
	s_waitcnt vmcnt(0) lgkmcnt(0)
	v_and_b32_e32 v3, 0xff, v2
	s_delay_alu instid0(VALU_DEP_1)
	v_cmpx_ne_u16_e32 0, v3
	s_cbranch_execz .LBB281_307
; %bb.300:                              ;   in Loop: Header=BB281_11 Depth=1
	v_cmp_ne_u16_e64 s1, 0x80, v3
	v_bfrev_b32_e32 v3, 1
	v_mov_b32_e32 v4, 0
	scratch_store_b64 off, v[3:4], s32 offset:544 ; 8-byte Folded Spill
	s_and_saveexec_b32 s19, s1
	s_cbranch_execz .LBB281_306
; %bb.301:                              ;   in Loop: Header=BB281_11 Depth=1
	v_mov_b32_e32 v8, 0x7f800001
	v_dual_mov_b32 v9, 0 :: v_dual_and_b32 v4, 0x7f, v2
	s_mov_b32 s20, exec_lo
	scratch_store_b64 off, v[8:9], s32 offset:544 ; 8-byte Folded Spill
	v_cmpx_ne_u32_e32 0x7f, v4
	s_cbranch_execz .LBB281_305
; %bb.302:                              ;   in Loop: Header=BB281_11 Depth=1
	v_and_b32_e32 v94, 7, v2
	v_lshrrev_b32_e32 v3, 3, v4
	s_mov_b32 s21, exec_lo
	v_cmpx_gt_u32_e32 8, v4
; %bb.303:                              ;   in Loop: Header=BB281_11 Depth=1
	s_delay_alu instid0(VALU_DEP_3) | instskip(NEXT) | instid1(VALU_DEP_1)
	v_clz_i32_u32_e32 v3, v94
	v_min_u32_e32 v3, 32, v3
	s_delay_alu instid0(VALU_DEP_1) | instskip(SKIP_1) | instid1(VALU_DEP_2)
	v_subrev_nc_u32_e32 v4, 28, v3
	v_sub_nc_u32_e32 v3, 29, v3
	v_lshlrev_b64 v[4:5], v4, v[94:95]
	s_delay_alu instid0(VALU_DEP_1)
	v_and_b32_e32 v94, 7, v4
; %bb.304:                              ;   in Loop: Header=BB281_11 Depth=1
	s_or_b32 exec_lo, exec_lo, s21
	v_lshlrev_b32_e32 v4, 24, v2
	s_delay_alu instid0(VALU_DEP_2) | instskip(SKIP_1) | instid1(VALU_DEP_3)
	v_lshlrev_b32_e32 v5, 20, v94
	v_lshl_add_u32 v3, v3, 23, 0x3c000000
	v_and_b32_e32 v4, 0x80000000, v4
	s_delay_alu instid0(VALU_DEP_1)
	v_or3_b32 v94, v5, v4, v3
	scratch_store_b64 off, v[94:95], s32 offset:544 ; 8-byte Folded Spill
.LBB281_305:                            ;   in Loop: Header=BB281_11 Depth=1
	s_or_b32 exec_lo, exec_lo, s20
.LBB281_306:                            ;   in Loop: Header=BB281_11 Depth=1
	s_delay_alu instid0(SALU_CYCLE_1)
	s_or_b32 exec_lo, exec_lo, s19
.LBB281_307:                            ;   in Loop: Header=BB281_11 Depth=1
	s_delay_alu instid0(SALU_CYCLE_1) | instskip(SKIP_2) | instid1(VALU_DEP_1)
	s_or_b32 exec_lo, exec_lo, s8
	v_lshrrev_b16 v3, 8, v2
	s_mov_b32 s19, exec_lo
	v_cmpx_ne_u16_e32 0, v3
	s_cbranch_execz .LBB281_315
; %bb.308:                              ;   in Loop: Header=BB281_11 Depth=1
	v_dual_mov_b32 v33, s3 :: v_dual_mov_b32 v32, s2
	s_mov_b32 s20, exec_lo
	v_cmpx_ne_u16_e32 0x80, v3
	s_cbranch_execz .LBB281_314
; %bb.309:                              ;   in Loop: Header=BB281_11 Depth=1
	s_mov_b32 s8, s2
	v_and_b32_e32 v3, 0xffff, v3
	v_dual_mov_b32 v33, s9 :: v_dual_mov_b32 v32, s8
	s_mov_b32 s8, exec_lo
	s_delay_alu instid0(VALU_DEP_2) | instskip(NEXT) | instid1(VALU_DEP_1)
	v_and_b32_e32 v4, 0x7f, v3
	v_cmpx_ne_u32_e32 0x7f, v4
	s_cbranch_execz .LBB281_313
; %bb.310:                              ;   in Loop: Header=BB281_11 Depth=1
	v_and_b32_e32 v94, 7, v3
	v_lshrrev_b32_e32 v3, 3, v4
	s_mov_b32 s21, exec_lo
	v_cmpx_gt_u32_e32 8, v4
; %bb.311:                              ;   in Loop: Header=BB281_11 Depth=1
	s_delay_alu instid0(VALU_DEP_3) | instskip(NEXT) | instid1(VALU_DEP_1)
	v_clz_i32_u32_e32 v3, v94
	v_min_u32_e32 v3, 32, v3
	s_delay_alu instid0(VALU_DEP_1) | instskip(SKIP_1) | instid1(VALU_DEP_2)
	v_subrev_nc_u32_e32 v4, 28, v3
	v_sub_nc_u32_e32 v3, 29, v3
	v_lshlrev_b64 v[4:5], v4, v[94:95]
	s_delay_alu instid0(VALU_DEP_1)
	v_and_b32_e32 v94, 7, v4
; %bb.312:                              ;   in Loop: Header=BB281_11 Depth=1
	s_or_b32 exec_lo, exec_lo, s21
	v_lshlrev_b32_e32 v4, 16, v2
	s_delay_alu instid0(VALU_DEP_2) | instskip(SKIP_1) | instid1(VALU_DEP_3)
	v_dual_mov_b32 v32, v95 :: v_dual_lshlrev_b32 v5, 20, v94
	v_lshl_add_u32 v3, v3, 23, 0x3c000000
	v_and_b32_e32 v4, 0x80000000, v4
	s_delay_alu instid0(VALU_DEP_1)
	v_or3_b32 v33, v5, v4, v3
.LBB281_313:                            ;   in Loop: Header=BB281_11 Depth=1
	s_or_b32 exec_lo, exec_lo, s8
.LBB281_314:                            ;   in Loop: Header=BB281_11 Depth=1
	s_delay_alu instid0(SALU_CYCLE_1)
	s_or_b32 exec_lo, exec_lo, s20
.LBB281_315:                            ;   in Loop: Header=BB281_11 Depth=1
	s_delay_alu instid0(SALU_CYCLE_1) | instskip(SKIP_4) | instid1(VALU_DEP_3)
	s_or_b32 exec_lo, exec_lo, s19
	v_lshrrev_b32_e32 v3, 16, v2
	v_mov_b32_e32 v36, 0
	v_mov_b32_e32 v37, 0
	s_mov_b32 s8, exec_lo
	v_and_b32_e32 v4, 0xff, v3
	scratch_store_b64 off, v[36:37], s32 offset:552 ; 8-byte Folded Spill
	v_cmpx_ne_u16_e32 0, v4
	s_cbranch_execz .LBB281_323
; %bb.316:                              ;   in Loop: Header=BB281_11 Depth=1
	v_cmp_ne_u16_e64 s1, 0x80, v4
	v_bfrev_b32_e32 v4, 1
	v_mov_b32_e32 v5, 0
	scratch_store_b64 off, v[4:5], s32 offset:552 ; 8-byte Folded Spill
	s_and_saveexec_b32 s19, s1
	s_cbranch_execz .LBB281_322
; %bb.317:                              ;   in Loop: Header=BB281_11 Depth=1
	v_mov_b32_e32 v8, 0x7f800001
	v_bfe_u32 v5, v2, 16, 7
	v_mov_b32_e32 v9, 0
	s_mov_b32 s20, exec_lo
	scratch_store_b64 off, v[8:9], s32 offset:552 ; 8-byte Folded Spill
	v_cmpx_ne_u32_e32 0x7f, v5
	s_cbranch_execz .LBB281_321
; %bb.318:                              ;   in Loop: Header=BB281_11 Depth=1
	v_and_b32_e32 v94, 7, v3
	v_lshrrev_b32_e32 v4, 3, v5
	s_mov_b32 s21, exec_lo
	v_cmpx_gt_u32_e32 8, v5
; %bb.319:                              ;   in Loop: Header=BB281_11 Depth=1
	s_delay_alu instid0(VALU_DEP_3) | instskip(NEXT) | instid1(VALU_DEP_1)
	v_clz_i32_u32_e32 v4, v94
	v_min_u32_e32 v4, 32, v4
	s_delay_alu instid0(VALU_DEP_1) | instskip(SKIP_1) | instid1(VALU_DEP_2)
	v_subrev_nc_u32_e32 v5, 28, v4
	v_sub_nc_u32_e32 v4, 29, v4
	v_lshlrev_b64 v[8:9], v5, v[94:95]
	s_delay_alu instid0(VALU_DEP_1)
	v_and_b32_e32 v94, 7, v8
; %bb.320:                              ;   in Loop: Header=BB281_11 Depth=1
	s_or_b32 exec_lo, exec_lo, s21
	v_lshlrev_b32_e32 v3, 24, v3
	s_delay_alu instid0(VALU_DEP_2) | instskip(SKIP_1) | instid1(VALU_DEP_3)
	v_lshlrev_b32_e32 v5, 20, v94
	v_lshl_add_u32 v4, v4, 23, 0x3c000000
	v_and_b32_e32 v3, 0x80000000, v3
	s_delay_alu instid0(VALU_DEP_1)
	v_or3_b32 v94, v5, v3, v4
	scratch_store_b64 off, v[94:95], s32 offset:552 ; 8-byte Folded Spill
.LBB281_321:                            ;   in Loop: Header=BB281_11 Depth=1
	s_or_b32 exec_lo, exec_lo, s20
.LBB281_322:                            ;   in Loop: Header=BB281_11 Depth=1
	s_delay_alu instid0(SALU_CYCLE_1)
	s_or_b32 exec_lo, exec_lo, s19
.LBB281_323:                            ;   in Loop: Header=BB281_11 Depth=1
	s_delay_alu instid0(SALU_CYCLE_1) | instskip(NEXT) | instid1(SALU_CYCLE_1)
	s_or_b32 exec_lo, exec_lo, s8
	s_mov_b32 s19, exec_lo
	v_cmpx_lt_u32_e32 0xffffff, v2
	s_cbranch_execz .LBB281_331
; %bb.324:                              ;   in Loop: Header=BB281_11 Depth=1
	v_lshrrev_b32_e32 v3, 24, v2
	v_dual_mov_b32 v37, s3 :: v_dual_mov_b32 v36, s2
	s_mov_b32 s20, exec_lo
	s_delay_alu instid0(VALU_DEP_2)
	v_cmpx_ne_u32_e32 0x80, v3
	s_cbranch_execz .LBB281_330
; %bb.325:                              ;   in Loop: Header=BB281_11 Depth=1
	s_mov_b32 s8, s2
	v_bfe_u32 v4, v2, 24, 7
	v_dual_mov_b32 v37, s9 :: v_dual_mov_b32 v36, s8
	s_mov_b32 s8, exec_lo
	s_delay_alu instid0(VALU_DEP_2)
	v_cmpx_ne_u32_e32 0x7f, v4
	s_cbranch_execz .LBB281_329
; %bb.326:                              ;   in Loop: Header=BB281_11 Depth=1
	v_and_b32_e32 v94, 7, v3
	v_lshrrev_b32_e32 v2, 3, v4
	s_mov_b32 s21, exec_lo
	v_cmpx_gt_u32_e32 8, v4
; %bb.327:                              ;   in Loop: Header=BB281_11 Depth=1
	s_delay_alu instid0(VALU_DEP_3) | instskip(NEXT) | instid1(VALU_DEP_1)
	v_clz_i32_u32_e32 v2, v94
	v_min_u32_e32 v2, 32, v2
	s_delay_alu instid0(VALU_DEP_1) | instskip(SKIP_1) | instid1(VALU_DEP_2)
	v_subrev_nc_u32_e32 v4, 28, v2
	v_sub_nc_u32_e32 v2, 29, v2
	v_lshlrev_b64 v[4:5], v4, v[94:95]
	s_delay_alu instid0(VALU_DEP_1)
	v_and_b32_e32 v94, 7, v4
; %bb.328:                              ;   in Loop: Header=BB281_11 Depth=1
	s_or_b32 exec_lo, exec_lo, s21
	v_dual_mov_b32 v36, v95 :: v_dual_lshlrev_b32 v3, 24, v3
	s_delay_alu instid0(VALU_DEP_2) | instskip(SKIP_1) | instid1(VALU_DEP_3)
	v_lshlrev_b32_e32 v4, 20, v94
	v_lshl_add_u32 v2, v2, 23, 0x3c000000
	v_and_b32_e32 v3, 0x80000000, v3
	s_delay_alu instid0(VALU_DEP_1)
	v_or3_b32 v37, v4, v3, v2
.LBB281_329:                            ;   in Loop: Header=BB281_11 Depth=1
	s_or_b32 exec_lo, exec_lo, s8
.LBB281_330:                            ;   in Loop: Header=BB281_11 Depth=1
	s_delay_alu instid0(SALU_CYCLE_1)
	s_or_b32 exec_lo, exec_lo, s20
.LBB281_331:                            ;   in Loop: Header=BB281_11 Depth=1
	s_delay_alu instid0(SALU_CYCLE_1)
	s_or_b32 exec_lo, exec_lo, s19
	flat_load_b32 v2, v[152:153] offset:1032
	v_mov_b32_e32 v48, 0
	v_mov_b32_e32 v49, 0
	s_mov_b32 s8, exec_lo
	scratch_store_b64 off, v[48:49], s32 offset:560 ; 8-byte Folded Spill
	s_waitcnt vmcnt(0) lgkmcnt(0)
	v_and_b32_e32 v3, 0xff, v2
	s_delay_alu instid0(VALU_DEP_1)
	v_cmpx_ne_u16_e32 0, v3
	s_cbranch_execz .LBB281_339
; %bb.332:                              ;   in Loop: Header=BB281_11 Depth=1
	v_cmp_ne_u16_e64 s1, 0x80, v3
	v_bfrev_b32_e32 v3, 1
	v_mov_b32_e32 v4, 0
	scratch_store_b64 off, v[3:4], s32 offset:560 ; 8-byte Folded Spill
	s_and_saveexec_b32 s19, s1
	s_cbranch_execz .LBB281_338
; %bb.333:                              ;   in Loop: Header=BB281_11 Depth=1
	v_mov_b32_e32 v8, 0x7f800001
	v_dual_mov_b32 v9, 0 :: v_dual_and_b32 v4, 0x7f, v2
	s_mov_b32 s20, exec_lo
	scratch_store_b64 off, v[8:9], s32 offset:560 ; 8-byte Folded Spill
	v_cmpx_ne_u32_e32 0x7f, v4
	s_cbranch_execz .LBB281_337
; %bb.334:                              ;   in Loop: Header=BB281_11 Depth=1
	v_and_b32_e32 v94, 7, v2
	v_lshrrev_b32_e32 v3, 3, v4
	s_mov_b32 s21, exec_lo
	v_cmpx_gt_u32_e32 8, v4
; %bb.335:                              ;   in Loop: Header=BB281_11 Depth=1
	s_delay_alu instid0(VALU_DEP_3) | instskip(NEXT) | instid1(VALU_DEP_1)
	v_clz_i32_u32_e32 v3, v94
	v_min_u32_e32 v3, 32, v3
	s_delay_alu instid0(VALU_DEP_1) | instskip(SKIP_1) | instid1(VALU_DEP_2)
	v_subrev_nc_u32_e32 v4, 28, v3
	v_sub_nc_u32_e32 v3, 29, v3
	v_lshlrev_b64 v[4:5], v4, v[94:95]
	s_delay_alu instid0(VALU_DEP_1)
	v_and_b32_e32 v94, 7, v4
; %bb.336:                              ;   in Loop: Header=BB281_11 Depth=1
	s_or_b32 exec_lo, exec_lo, s21
	v_lshlrev_b32_e32 v4, 24, v2
	s_delay_alu instid0(VALU_DEP_2) | instskip(SKIP_1) | instid1(VALU_DEP_3)
	v_lshlrev_b32_e32 v5, 20, v94
	v_lshl_add_u32 v3, v3, 23, 0x3c000000
	v_and_b32_e32 v4, 0x80000000, v4
	s_delay_alu instid0(VALU_DEP_1)
	v_or3_b32 v94, v5, v4, v3
	scratch_store_b64 off, v[94:95], s32 offset:560 ; 8-byte Folded Spill
.LBB281_337:                            ;   in Loop: Header=BB281_11 Depth=1
	s_or_b32 exec_lo, exec_lo, s20
.LBB281_338:                            ;   in Loop: Header=BB281_11 Depth=1
	s_delay_alu instid0(SALU_CYCLE_1)
	s_or_b32 exec_lo, exec_lo, s19
.LBB281_339:                            ;   in Loop: Header=BB281_11 Depth=1
	s_delay_alu instid0(SALU_CYCLE_1) | instskip(SKIP_2) | instid1(VALU_DEP_1)
	s_or_b32 exec_lo, exec_lo, s8
	v_lshrrev_b16 v3, 8, v2
	s_mov_b32 s19, exec_lo
	v_cmpx_ne_u16_e32 0, v3
	s_cbranch_execz .LBB281_347
; %bb.340:                              ;   in Loop: Header=BB281_11 Depth=1
	v_dual_mov_b32 v49, s3 :: v_dual_mov_b32 v48, s2
	s_mov_b32 s20, exec_lo
	v_cmpx_ne_u16_e32 0x80, v3
	s_cbranch_execz .LBB281_346
; %bb.341:                              ;   in Loop: Header=BB281_11 Depth=1
	s_mov_b32 s8, s2
	v_and_b32_e32 v3, 0xffff, v3
	v_dual_mov_b32 v49, s9 :: v_dual_mov_b32 v48, s8
	s_mov_b32 s8, exec_lo
	s_delay_alu instid0(VALU_DEP_2) | instskip(NEXT) | instid1(VALU_DEP_1)
	v_and_b32_e32 v4, 0x7f, v3
	v_cmpx_ne_u32_e32 0x7f, v4
	s_cbranch_execz .LBB281_345
; %bb.342:                              ;   in Loop: Header=BB281_11 Depth=1
	v_and_b32_e32 v94, 7, v3
	v_lshrrev_b32_e32 v3, 3, v4
	s_mov_b32 s21, exec_lo
	v_cmpx_gt_u32_e32 8, v4
; %bb.343:                              ;   in Loop: Header=BB281_11 Depth=1
	s_delay_alu instid0(VALU_DEP_3) | instskip(NEXT) | instid1(VALU_DEP_1)
	v_clz_i32_u32_e32 v3, v94
	v_min_u32_e32 v3, 32, v3
	s_delay_alu instid0(VALU_DEP_1) | instskip(SKIP_1) | instid1(VALU_DEP_2)
	v_subrev_nc_u32_e32 v4, 28, v3
	v_sub_nc_u32_e32 v3, 29, v3
	v_lshlrev_b64 v[4:5], v4, v[94:95]
	s_delay_alu instid0(VALU_DEP_1)
	v_and_b32_e32 v94, 7, v4
; %bb.344:                              ;   in Loop: Header=BB281_11 Depth=1
	s_or_b32 exec_lo, exec_lo, s21
	v_lshlrev_b32_e32 v4, 16, v2
	s_delay_alu instid0(VALU_DEP_2) | instskip(SKIP_1) | instid1(VALU_DEP_3)
	v_dual_mov_b32 v48, v95 :: v_dual_lshlrev_b32 v5, 20, v94
	v_lshl_add_u32 v3, v3, 23, 0x3c000000
	v_and_b32_e32 v4, 0x80000000, v4
	s_delay_alu instid0(VALU_DEP_1)
	v_or3_b32 v49, v5, v4, v3
.LBB281_345:                            ;   in Loop: Header=BB281_11 Depth=1
	s_or_b32 exec_lo, exec_lo, s8
.LBB281_346:                            ;   in Loop: Header=BB281_11 Depth=1
	s_delay_alu instid0(SALU_CYCLE_1)
	s_or_b32 exec_lo, exec_lo, s20
.LBB281_347:                            ;   in Loop: Header=BB281_11 Depth=1
	s_delay_alu instid0(SALU_CYCLE_1) | instskip(SKIP_4) | instid1(VALU_DEP_3)
	s_or_b32 exec_lo, exec_lo, s19
	v_lshrrev_b32_e32 v3, 16, v2
	v_mov_b32_e32 v52, 0
	v_mov_b32_e32 v53, 0
	s_mov_b32 s8, exec_lo
	v_and_b32_e32 v4, 0xff, v3
	scratch_store_b64 off, v[52:53], s32 offset:568 ; 8-byte Folded Spill
	v_cmpx_ne_u16_e32 0, v4
	s_cbranch_execz .LBB281_355
; %bb.348:                              ;   in Loop: Header=BB281_11 Depth=1
	v_cmp_ne_u16_e64 s1, 0x80, v4
	v_bfrev_b32_e32 v4, 1
	v_mov_b32_e32 v5, 0
	scratch_store_b64 off, v[4:5], s32 offset:568 ; 8-byte Folded Spill
	s_and_saveexec_b32 s19, s1
	s_cbranch_execz .LBB281_354
; %bb.349:                              ;   in Loop: Header=BB281_11 Depth=1
	v_mov_b32_e32 v8, 0x7f800001
	v_bfe_u32 v5, v2, 16, 7
	v_mov_b32_e32 v9, 0
	s_mov_b32 s20, exec_lo
	scratch_store_b64 off, v[8:9], s32 offset:568 ; 8-byte Folded Spill
	v_cmpx_ne_u32_e32 0x7f, v5
	s_cbranch_execz .LBB281_353
; %bb.350:                              ;   in Loop: Header=BB281_11 Depth=1
	v_and_b32_e32 v94, 7, v3
	v_lshrrev_b32_e32 v4, 3, v5
	s_mov_b32 s21, exec_lo
	v_cmpx_gt_u32_e32 8, v5
; %bb.351:                              ;   in Loop: Header=BB281_11 Depth=1
	s_delay_alu instid0(VALU_DEP_3) | instskip(NEXT) | instid1(VALU_DEP_1)
	v_clz_i32_u32_e32 v4, v94
	v_min_u32_e32 v4, 32, v4
	s_delay_alu instid0(VALU_DEP_1) | instskip(SKIP_1) | instid1(VALU_DEP_2)
	v_subrev_nc_u32_e32 v5, 28, v4
	v_sub_nc_u32_e32 v4, 29, v4
	v_lshlrev_b64 v[8:9], v5, v[94:95]
	s_delay_alu instid0(VALU_DEP_1)
	v_and_b32_e32 v94, 7, v8
; %bb.352:                              ;   in Loop: Header=BB281_11 Depth=1
	s_or_b32 exec_lo, exec_lo, s21
	v_lshlrev_b32_e32 v3, 24, v3
	s_delay_alu instid0(VALU_DEP_2) | instskip(SKIP_1) | instid1(VALU_DEP_3)
	v_lshlrev_b32_e32 v5, 20, v94
	v_lshl_add_u32 v4, v4, 23, 0x3c000000
	v_and_b32_e32 v3, 0x80000000, v3
	s_delay_alu instid0(VALU_DEP_1)
	v_or3_b32 v94, v5, v3, v4
	scratch_store_b64 off, v[94:95], s32 offset:568 ; 8-byte Folded Spill
.LBB281_353:                            ;   in Loop: Header=BB281_11 Depth=1
	s_or_b32 exec_lo, exec_lo, s20
.LBB281_354:                            ;   in Loop: Header=BB281_11 Depth=1
	s_delay_alu instid0(SALU_CYCLE_1)
	s_or_b32 exec_lo, exec_lo, s19
.LBB281_355:                            ;   in Loop: Header=BB281_11 Depth=1
	s_delay_alu instid0(SALU_CYCLE_1) | instskip(NEXT) | instid1(SALU_CYCLE_1)
	s_or_b32 exec_lo, exec_lo, s8
	s_mov_b32 s19, exec_lo
	v_cmpx_lt_u32_e32 0xffffff, v2
	s_cbranch_execz .LBB281_363
; %bb.356:                              ;   in Loop: Header=BB281_11 Depth=1
	v_lshrrev_b32_e32 v3, 24, v2
	v_dual_mov_b32 v53, s3 :: v_dual_mov_b32 v52, s2
	s_mov_b32 s20, exec_lo
	s_delay_alu instid0(VALU_DEP_2)
	v_cmpx_ne_u32_e32 0x80, v3
	s_cbranch_execz .LBB281_362
; %bb.357:                              ;   in Loop: Header=BB281_11 Depth=1
	s_mov_b32 s8, s2
	v_bfe_u32 v4, v2, 24, 7
	v_dual_mov_b32 v53, s9 :: v_dual_mov_b32 v52, s8
	s_mov_b32 s8, exec_lo
	s_delay_alu instid0(VALU_DEP_2)
	v_cmpx_ne_u32_e32 0x7f, v4
	s_cbranch_execz .LBB281_361
; %bb.358:                              ;   in Loop: Header=BB281_11 Depth=1
	v_and_b32_e32 v94, 7, v3
	v_lshrrev_b32_e32 v2, 3, v4
	s_mov_b32 s21, exec_lo
	v_cmpx_gt_u32_e32 8, v4
; %bb.359:                              ;   in Loop: Header=BB281_11 Depth=1
	s_delay_alu instid0(VALU_DEP_3) | instskip(NEXT) | instid1(VALU_DEP_1)
	v_clz_i32_u32_e32 v2, v94
	v_min_u32_e32 v2, 32, v2
	s_delay_alu instid0(VALU_DEP_1) | instskip(SKIP_1) | instid1(VALU_DEP_2)
	v_subrev_nc_u32_e32 v4, 28, v2
	v_sub_nc_u32_e32 v2, 29, v2
	v_lshlrev_b64 v[4:5], v4, v[94:95]
	s_delay_alu instid0(VALU_DEP_1)
	v_and_b32_e32 v94, 7, v4
; %bb.360:                              ;   in Loop: Header=BB281_11 Depth=1
	s_or_b32 exec_lo, exec_lo, s21
	v_dual_mov_b32 v52, v95 :: v_dual_lshlrev_b32 v3, 24, v3
	s_delay_alu instid0(VALU_DEP_2) | instskip(SKIP_1) | instid1(VALU_DEP_3)
	v_lshlrev_b32_e32 v4, 20, v94
	v_lshl_add_u32 v2, v2, 23, 0x3c000000
	v_and_b32_e32 v3, 0x80000000, v3
	s_delay_alu instid0(VALU_DEP_1)
	v_or3_b32 v53, v4, v3, v2
.LBB281_361:                            ;   in Loop: Header=BB281_11 Depth=1
	s_or_b32 exec_lo, exec_lo, s8
.LBB281_362:                            ;   in Loop: Header=BB281_11 Depth=1
	s_delay_alu instid0(SALU_CYCLE_1)
	s_or_b32 exec_lo, exec_lo, s20
.LBB281_363:                            ;   in Loop: Header=BB281_11 Depth=1
	s_delay_alu instid0(SALU_CYCLE_1)
	s_or_b32 exec_lo, exec_lo, s19
	flat_load_b32 v2, v[152:153] offset:1036
	v_mov_b32_e32 v64, 0
	v_mov_b32_e32 v65, 0
	s_mov_b32 s8, exec_lo
	scratch_store_b64 off, v[64:65], s32 offset:576 ; 8-byte Folded Spill
	s_waitcnt vmcnt(0) lgkmcnt(0)
	v_and_b32_e32 v3, 0xff, v2
	s_delay_alu instid0(VALU_DEP_1)
	v_cmpx_ne_u16_e32 0, v3
	s_cbranch_execz .LBB281_371
; %bb.364:                              ;   in Loop: Header=BB281_11 Depth=1
	v_cmp_ne_u16_e64 s1, 0x80, v3
	v_bfrev_b32_e32 v3, 1
	v_mov_b32_e32 v4, 0
	scratch_store_b64 off, v[3:4], s32 offset:576 ; 8-byte Folded Spill
	s_and_saveexec_b32 s19, s1
	s_cbranch_execz .LBB281_370
; %bb.365:                              ;   in Loop: Header=BB281_11 Depth=1
	v_mov_b32_e32 v8, 0x7f800001
	v_dual_mov_b32 v9, 0 :: v_dual_and_b32 v4, 0x7f, v2
	s_mov_b32 s20, exec_lo
	scratch_store_b64 off, v[8:9], s32 offset:576 ; 8-byte Folded Spill
	v_cmpx_ne_u32_e32 0x7f, v4
	s_cbranch_execz .LBB281_369
; %bb.366:                              ;   in Loop: Header=BB281_11 Depth=1
	v_and_b32_e32 v94, 7, v2
	v_lshrrev_b32_e32 v3, 3, v4
	s_mov_b32 s21, exec_lo
	v_cmpx_gt_u32_e32 8, v4
; %bb.367:                              ;   in Loop: Header=BB281_11 Depth=1
	s_delay_alu instid0(VALU_DEP_3) | instskip(NEXT) | instid1(VALU_DEP_1)
	v_clz_i32_u32_e32 v3, v94
	v_min_u32_e32 v3, 32, v3
	s_delay_alu instid0(VALU_DEP_1) | instskip(SKIP_1) | instid1(VALU_DEP_2)
	v_subrev_nc_u32_e32 v4, 28, v3
	v_sub_nc_u32_e32 v3, 29, v3
	v_lshlrev_b64 v[4:5], v4, v[94:95]
	s_delay_alu instid0(VALU_DEP_1)
	v_and_b32_e32 v94, 7, v4
; %bb.368:                              ;   in Loop: Header=BB281_11 Depth=1
	s_or_b32 exec_lo, exec_lo, s21
	v_lshlrev_b32_e32 v4, 24, v2
	s_delay_alu instid0(VALU_DEP_2) | instskip(SKIP_1) | instid1(VALU_DEP_3)
	v_lshlrev_b32_e32 v5, 20, v94
	v_lshl_add_u32 v3, v3, 23, 0x3c000000
	v_and_b32_e32 v4, 0x80000000, v4
	s_delay_alu instid0(VALU_DEP_1)
	v_or3_b32 v94, v5, v4, v3
	scratch_store_b64 off, v[94:95], s32 offset:576 ; 8-byte Folded Spill
.LBB281_369:                            ;   in Loop: Header=BB281_11 Depth=1
	s_or_b32 exec_lo, exec_lo, s20
.LBB281_370:                            ;   in Loop: Header=BB281_11 Depth=1
	s_delay_alu instid0(SALU_CYCLE_1)
	s_or_b32 exec_lo, exec_lo, s19
.LBB281_371:                            ;   in Loop: Header=BB281_11 Depth=1
	s_delay_alu instid0(SALU_CYCLE_1) | instskip(SKIP_2) | instid1(VALU_DEP_1)
	s_or_b32 exec_lo, exec_lo, s8
	v_lshrrev_b16 v3, 8, v2
	s_mov_b32 s19, exec_lo
	v_cmpx_ne_u16_e32 0, v3
	s_cbranch_execz .LBB281_379
; %bb.372:                              ;   in Loop: Header=BB281_11 Depth=1
	v_dual_mov_b32 v65, s3 :: v_dual_mov_b32 v64, s2
	s_mov_b32 s20, exec_lo
	v_cmpx_ne_u16_e32 0x80, v3
	s_cbranch_execz .LBB281_378
; %bb.373:                              ;   in Loop: Header=BB281_11 Depth=1
	s_mov_b32 s8, s2
	v_and_b32_e32 v3, 0xffff, v3
	v_dual_mov_b32 v65, s9 :: v_dual_mov_b32 v64, s8
	s_mov_b32 s8, exec_lo
	s_delay_alu instid0(VALU_DEP_2) | instskip(NEXT) | instid1(VALU_DEP_1)
	v_and_b32_e32 v4, 0x7f, v3
	v_cmpx_ne_u32_e32 0x7f, v4
	s_cbranch_execz .LBB281_377
; %bb.374:                              ;   in Loop: Header=BB281_11 Depth=1
	v_and_b32_e32 v94, 7, v3
	v_lshrrev_b32_e32 v3, 3, v4
	s_mov_b32 s21, exec_lo
	v_cmpx_gt_u32_e32 8, v4
; %bb.375:                              ;   in Loop: Header=BB281_11 Depth=1
	s_delay_alu instid0(VALU_DEP_3) | instskip(NEXT) | instid1(VALU_DEP_1)
	v_clz_i32_u32_e32 v3, v94
	v_min_u32_e32 v3, 32, v3
	s_delay_alu instid0(VALU_DEP_1) | instskip(SKIP_1) | instid1(VALU_DEP_2)
	v_subrev_nc_u32_e32 v4, 28, v3
	v_sub_nc_u32_e32 v3, 29, v3
	v_lshlrev_b64 v[4:5], v4, v[94:95]
	s_delay_alu instid0(VALU_DEP_1)
	v_and_b32_e32 v94, 7, v4
; %bb.376:                              ;   in Loop: Header=BB281_11 Depth=1
	s_or_b32 exec_lo, exec_lo, s21
	v_lshlrev_b32_e32 v4, 16, v2
	s_delay_alu instid0(VALU_DEP_2) | instskip(SKIP_1) | instid1(VALU_DEP_3)
	v_dual_mov_b32 v64, v95 :: v_dual_lshlrev_b32 v5, 20, v94
	v_lshl_add_u32 v3, v3, 23, 0x3c000000
	v_and_b32_e32 v4, 0x80000000, v4
	s_delay_alu instid0(VALU_DEP_1)
	v_or3_b32 v65, v5, v4, v3
.LBB281_377:                            ;   in Loop: Header=BB281_11 Depth=1
	s_or_b32 exec_lo, exec_lo, s8
.LBB281_378:                            ;   in Loop: Header=BB281_11 Depth=1
	s_delay_alu instid0(SALU_CYCLE_1)
	s_or_b32 exec_lo, exec_lo, s20
.LBB281_379:                            ;   in Loop: Header=BB281_11 Depth=1
	s_delay_alu instid0(SALU_CYCLE_1) | instskip(SKIP_4) | instid1(VALU_DEP_1)
	s_or_b32 exec_lo, exec_lo, s19
	v_mov_b32_e32 v68, 0
	v_lshrrev_b32_e32 v3, 16, v2
	v_mov_b32_e32 v69, 0
	s_mov_b32 s8, exec_lo
	v_dual_mov_b32 v71, v69 :: v_dual_and_b32 v4, 0xff, v3
	v_mov_b32_e32 v70, v68
	s_delay_alu instid0(VALU_DEP_2)
	v_cmpx_ne_u16_e32 0, v4
	s_cbranch_execz .LBB281_387
; %bb.380:                              ;   in Loop: Header=BB281_11 Depth=1
	v_bfrev_b32_e32 v70, 1
	v_mov_b32_e32 v71, 0
	s_mov_b32 s19, exec_lo
	v_cmpx_ne_u16_e32 0x80, v4
	s_cbranch_execz .LBB281_386
; %bb.381:                              ;   in Loop: Header=BB281_11 Depth=1
	v_mov_b32_e32 v70, 0x7f800001
	v_bfe_u32 v5, v2, 16, 7
	v_mov_b32_e32 v71, 0
	s_mov_b32 s20, exec_lo
	s_delay_alu instid0(VALU_DEP_2)
	v_cmpx_ne_u32_e32 0x7f, v5
	s_cbranch_execz .LBB281_385
; %bb.382:                              ;   in Loop: Header=BB281_11 Depth=1
	v_and_b32_e32 v94, 7, v3
	v_lshrrev_b32_e32 v4, 3, v5
	s_mov_b32 s21, exec_lo
	v_cmpx_gt_u32_e32 8, v5
; %bb.383:                              ;   in Loop: Header=BB281_11 Depth=1
	s_delay_alu instid0(VALU_DEP_3) | instskip(NEXT) | instid1(VALU_DEP_1)
	v_clz_i32_u32_e32 v4, v94
	v_min_u32_e32 v4, 32, v4
	s_delay_alu instid0(VALU_DEP_1) | instskip(SKIP_1) | instid1(VALU_DEP_2)
	v_subrev_nc_u32_e32 v5, 28, v4
	v_sub_nc_u32_e32 v4, 29, v4
	v_lshlrev_b64 v[8:9], v5, v[94:95]
	s_delay_alu instid0(VALU_DEP_1)
	v_and_b32_e32 v94, 7, v8
; %bb.384:                              ;   in Loop: Header=BB281_11 Depth=1
	s_or_b32 exec_lo, exec_lo, s21
	v_lshlrev_b32_e32 v3, 24, v3
	s_delay_alu instid0(VALU_DEP_2) | instskip(SKIP_1) | instid1(VALU_DEP_3)
	v_lshlrev_b32_e32 v5, 20, v94
	v_lshl_add_u32 v4, v4, 23, 0x3c000000
	v_and_b32_e32 v3, 0x80000000, v3
	s_delay_alu instid0(VALU_DEP_1) | instskip(NEXT) | instid1(VALU_DEP_1)
	v_or3_b32 v94, v5, v3, v4
	v_dual_mov_b32 v70, v94 :: v_dual_mov_b32 v71, v95
.LBB281_385:                            ;   in Loop: Header=BB281_11 Depth=1
	s_or_b32 exec_lo, exec_lo, s20
.LBB281_386:                            ;   in Loop: Header=BB281_11 Depth=1
	s_delay_alu instid0(SALU_CYCLE_1)
	s_or_b32 exec_lo, exec_lo, s19
.LBB281_387:                            ;   in Loop: Header=BB281_11 Depth=1
	s_delay_alu instid0(SALU_CYCLE_1) | instskip(NEXT) | instid1(SALU_CYCLE_1)
	s_or_b32 exec_lo, exec_lo, s8
	s_mov_b32 s19, exec_lo
	v_cmpx_lt_u32_e32 0xffffff, v2
	s_cbranch_execz .LBB281_395
; %bb.388:                              ;   in Loop: Header=BB281_11 Depth=1
	v_lshrrev_b32_e32 v3, 24, v2
	v_dual_mov_b32 v69, s3 :: v_dual_mov_b32 v68, s2
	s_mov_b32 s20, exec_lo
	s_delay_alu instid0(VALU_DEP_2)
	v_cmpx_ne_u32_e32 0x80, v3
	s_cbranch_execz .LBB281_394
; %bb.389:                              ;   in Loop: Header=BB281_11 Depth=1
	s_mov_b32 s8, s2
	v_bfe_u32 v4, v2, 24, 7
	v_dual_mov_b32 v69, s9 :: v_dual_mov_b32 v68, s8
	s_mov_b32 s8, exec_lo
	s_delay_alu instid0(VALU_DEP_2)
	v_cmpx_ne_u32_e32 0x7f, v4
	s_cbranch_execz .LBB281_393
; %bb.390:                              ;   in Loop: Header=BB281_11 Depth=1
	v_and_b32_e32 v94, 7, v3
	v_lshrrev_b32_e32 v2, 3, v4
	s_mov_b32 s21, exec_lo
	v_cmpx_gt_u32_e32 8, v4
; %bb.391:                              ;   in Loop: Header=BB281_11 Depth=1
	s_delay_alu instid0(VALU_DEP_3) | instskip(NEXT) | instid1(VALU_DEP_1)
	v_clz_i32_u32_e32 v2, v94
	v_min_u32_e32 v2, 32, v2
	s_delay_alu instid0(VALU_DEP_1) | instskip(SKIP_1) | instid1(VALU_DEP_2)
	v_subrev_nc_u32_e32 v4, 28, v2
	v_sub_nc_u32_e32 v2, 29, v2
	v_lshlrev_b64 v[4:5], v4, v[94:95]
	s_delay_alu instid0(VALU_DEP_1)
	v_and_b32_e32 v94, 7, v4
; %bb.392:                              ;   in Loop: Header=BB281_11 Depth=1
	s_or_b32 exec_lo, exec_lo, s21
	v_dual_mov_b32 v68, v95 :: v_dual_lshlrev_b32 v3, 24, v3
	s_delay_alu instid0(VALU_DEP_2) | instskip(SKIP_1) | instid1(VALU_DEP_3)
	v_lshlrev_b32_e32 v4, 20, v94
	v_lshl_add_u32 v2, v2, 23, 0x3c000000
	v_and_b32_e32 v3, 0x80000000, v3
	s_delay_alu instid0(VALU_DEP_1)
	v_or3_b32 v69, v4, v3, v2
.LBB281_393:                            ;   in Loop: Header=BB281_11 Depth=1
	s_or_b32 exec_lo, exec_lo, s8
.LBB281_394:                            ;   in Loop: Header=BB281_11 Depth=1
	s_delay_alu instid0(SALU_CYCLE_1)
	s_or_b32 exec_lo, exec_lo, s20
.LBB281_395:                            ;   in Loop: Header=BB281_11 Depth=1
	s_delay_alu instid0(SALU_CYCLE_1) | instskip(SKIP_4) | instid1(VALU_DEP_1)
	s_or_b32 exec_lo, exec_lo, s19
	flat_load_b32 v2, v[152:153] offset:1536
	v_mov_b32_e32 v80, 0
	v_mov_b32_e32 v81, 0
	s_mov_b32 s8, exec_lo
	v_dual_mov_b32 v83, v81 :: v_dual_mov_b32 v82, v80
	s_waitcnt vmcnt(0) lgkmcnt(0)
	v_and_b32_e32 v3, 0xff, v2
	s_delay_alu instid0(VALU_DEP_1)
	v_cmpx_ne_u16_e32 0, v3
	s_cbranch_execz .LBB281_403
; %bb.396:                              ;   in Loop: Header=BB281_11 Depth=1
	v_bfrev_b32_e32 v82, 1
	v_mov_b32_e32 v83, 0
	s_mov_b32 s19, exec_lo
	v_cmpx_ne_u16_e32 0x80, v3
	s_cbranch_execz .LBB281_402
; %bb.397:                              ;   in Loop: Header=BB281_11 Depth=1
	v_mov_b32_e32 v82, 0x7f800001
	v_dual_mov_b32 v83, 0 :: v_dual_and_b32 v4, 0x7f, v2
	s_mov_b32 s20, exec_lo
	s_delay_alu instid0(VALU_DEP_1)
	v_cmpx_ne_u32_e32 0x7f, v4
	s_cbranch_execz .LBB281_401
; %bb.398:                              ;   in Loop: Header=BB281_11 Depth=1
	v_and_b32_e32 v94, 7, v2
	v_lshrrev_b32_e32 v3, 3, v4
	s_mov_b32 s21, exec_lo
	v_cmpx_gt_u32_e32 8, v4
; %bb.399:                              ;   in Loop: Header=BB281_11 Depth=1
	s_delay_alu instid0(VALU_DEP_3) | instskip(NEXT) | instid1(VALU_DEP_1)
	v_clz_i32_u32_e32 v3, v94
	v_min_u32_e32 v3, 32, v3
	s_delay_alu instid0(VALU_DEP_1) | instskip(SKIP_1) | instid1(VALU_DEP_2)
	v_subrev_nc_u32_e32 v4, 28, v3
	v_sub_nc_u32_e32 v3, 29, v3
	v_lshlrev_b64 v[4:5], v4, v[94:95]
	s_delay_alu instid0(VALU_DEP_1)
	v_and_b32_e32 v94, 7, v4
; %bb.400:                              ;   in Loop: Header=BB281_11 Depth=1
	s_or_b32 exec_lo, exec_lo, s21
	v_lshlrev_b32_e32 v4, 24, v2
	s_delay_alu instid0(VALU_DEP_2) | instskip(SKIP_1) | instid1(VALU_DEP_3)
	v_lshlrev_b32_e32 v5, 20, v94
	v_lshl_add_u32 v3, v3, 23, 0x3c000000
	v_and_b32_e32 v4, 0x80000000, v4
	s_delay_alu instid0(VALU_DEP_1) | instskip(NEXT) | instid1(VALU_DEP_1)
	v_or3_b32 v94, v5, v4, v3
	v_dual_mov_b32 v82, v94 :: v_dual_mov_b32 v83, v95
.LBB281_401:                            ;   in Loop: Header=BB281_11 Depth=1
	s_or_b32 exec_lo, exec_lo, s20
.LBB281_402:                            ;   in Loop: Header=BB281_11 Depth=1
	s_delay_alu instid0(SALU_CYCLE_1)
	s_or_b32 exec_lo, exec_lo, s19
.LBB281_403:                            ;   in Loop: Header=BB281_11 Depth=1
	s_delay_alu instid0(SALU_CYCLE_1) | instskip(SKIP_2) | instid1(VALU_DEP_1)
	s_or_b32 exec_lo, exec_lo, s8
	v_lshrrev_b16 v3, 8, v2
	s_mov_b32 s19, exec_lo
	v_cmpx_ne_u16_e32 0, v3
	s_cbranch_execz .LBB281_411
; %bb.404:                              ;   in Loop: Header=BB281_11 Depth=1
	v_dual_mov_b32 v81, s3 :: v_dual_mov_b32 v80, s2
	s_mov_b32 s20, exec_lo
	v_cmpx_ne_u16_e32 0x80, v3
	s_cbranch_execz .LBB281_410
; %bb.405:                              ;   in Loop: Header=BB281_11 Depth=1
	s_mov_b32 s8, s2
	v_and_b32_e32 v3, 0xffff, v3
	v_dual_mov_b32 v81, s9 :: v_dual_mov_b32 v80, s8
	s_mov_b32 s8, exec_lo
	s_delay_alu instid0(VALU_DEP_2) | instskip(NEXT) | instid1(VALU_DEP_1)
	v_and_b32_e32 v4, 0x7f, v3
	v_cmpx_ne_u32_e32 0x7f, v4
	s_cbranch_execz .LBB281_409
; %bb.406:                              ;   in Loop: Header=BB281_11 Depth=1
	v_and_b32_e32 v94, 7, v3
	v_lshrrev_b32_e32 v3, 3, v4
	s_mov_b32 s21, exec_lo
	v_cmpx_gt_u32_e32 8, v4
; %bb.407:                              ;   in Loop: Header=BB281_11 Depth=1
	s_delay_alu instid0(VALU_DEP_3) | instskip(NEXT) | instid1(VALU_DEP_1)
	v_clz_i32_u32_e32 v3, v94
	v_min_u32_e32 v3, 32, v3
	s_delay_alu instid0(VALU_DEP_1) | instskip(SKIP_1) | instid1(VALU_DEP_2)
	v_subrev_nc_u32_e32 v4, 28, v3
	v_sub_nc_u32_e32 v3, 29, v3
	v_lshlrev_b64 v[4:5], v4, v[94:95]
	s_delay_alu instid0(VALU_DEP_1)
	v_and_b32_e32 v94, 7, v4
; %bb.408:                              ;   in Loop: Header=BB281_11 Depth=1
	s_or_b32 exec_lo, exec_lo, s21
	v_lshlrev_b32_e32 v4, 16, v2
	s_delay_alu instid0(VALU_DEP_2) | instskip(SKIP_1) | instid1(VALU_DEP_3)
	v_dual_mov_b32 v80, v95 :: v_dual_lshlrev_b32 v5, 20, v94
	v_lshl_add_u32 v3, v3, 23, 0x3c000000
	v_and_b32_e32 v4, 0x80000000, v4
	s_delay_alu instid0(VALU_DEP_1)
	v_or3_b32 v81, v5, v4, v3
.LBB281_409:                            ;   in Loop: Header=BB281_11 Depth=1
	s_or_b32 exec_lo, exec_lo, s8
.LBB281_410:                            ;   in Loop: Header=BB281_11 Depth=1
	s_delay_alu instid0(SALU_CYCLE_1)
	s_or_b32 exec_lo, exec_lo, s20
.LBB281_411:                            ;   in Loop: Header=BB281_11 Depth=1
	s_delay_alu instid0(SALU_CYCLE_1) | instskip(SKIP_4) | instid1(VALU_DEP_1)
	s_or_b32 exec_lo, exec_lo, s19
	v_mov_b32_e32 v84, 0
	v_lshrrev_b32_e32 v3, 16, v2
	v_mov_b32_e32 v85, 0
	s_mov_b32 s8, exec_lo
	v_dual_mov_b32 v87, v85 :: v_dual_and_b32 v4, 0xff, v3
	v_mov_b32_e32 v86, v84
	s_delay_alu instid0(VALU_DEP_2)
	v_cmpx_ne_u16_e32 0, v4
	s_cbranch_execz .LBB281_419
; %bb.412:                              ;   in Loop: Header=BB281_11 Depth=1
	v_bfrev_b32_e32 v86, 1
	v_mov_b32_e32 v87, 0
	s_mov_b32 s19, exec_lo
	v_cmpx_ne_u16_e32 0x80, v4
	s_cbranch_execz .LBB281_418
; %bb.413:                              ;   in Loop: Header=BB281_11 Depth=1
	v_mov_b32_e32 v86, 0x7f800001
	v_bfe_u32 v5, v2, 16, 7
	v_mov_b32_e32 v87, 0
	s_mov_b32 s20, exec_lo
	s_delay_alu instid0(VALU_DEP_2)
	v_cmpx_ne_u32_e32 0x7f, v5
	s_cbranch_execz .LBB281_417
; %bb.414:                              ;   in Loop: Header=BB281_11 Depth=1
	v_and_b32_e32 v94, 7, v3
	v_lshrrev_b32_e32 v4, 3, v5
	s_mov_b32 s21, exec_lo
	v_cmpx_gt_u32_e32 8, v5
; %bb.415:                              ;   in Loop: Header=BB281_11 Depth=1
	s_delay_alu instid0(VALU_DEP_3) | instskip(NEXT) | instid1(VALU_DEP_1)
	v_clz_i32_u32_e32 v4, v94
	v_min_u32_e32 v4, 32, v4
	s_delay_alu instid0(VALU_DEP_1) | instskip(SKIP_1) | instid1(VALU_DEP_2)
	v_subrev_nc_u32_e32 v5, 28, v4
	v_sub_nc_u32_e32 v4, 29, v4
	v_lshlrev_b64 v[8:9], v5, v[94:95]
	s_delay_alu instid0(VALU_DEP_1)
	v_and_b32_e32 v94, 7, v8
; %bb.416:                              ;   in Loop: Header=BB281_11 Depth=1
	s_or_b32 exec_lo, exec_lo, s21
	v_lshlrev_b32_e32 v3, 24, v3
	s_delay_alu instid0(VALU_DEP_2) | instskip(SKIP_1) | instid1(VALU_DEP_3)
	v_lshlrev_b32_e32 v5, 20, v94
	v_lshl_add_u32 v4, v4, 23, 0x3c000000
	v_and_b32_e32 v3, 0x80000000, v3
	s_delay_alu instid0(VALU_DEP_1) | instskip(NEXT) | instid1(VALU_DEP_1)
	v_or3_b32 v94, v5, v3, v4
	v_dual_mov_b32 v86, v94 :: v_dual_mov_b32 v87, v95
.LBB281_417:                            ;   in Loop: Header=BB281_11 Depth=1
	s_or_b32 exec_lo, exec_lo, s20
.LBB281_418:                            ;   in Loop: Header=BB281_11 Depth=1
	s_delay_alu instid0(SALU_CYCLE_1)
	s_or_b32 exec_lo, exec_lo, s19
.LBB281_419:                            ;   in Loop: Header=BB281_11 Depth=1
	s_delay_alu instid0(SALU_CYCLE_1) | instskip(NEXT) | instid1(SALU_CYCLE_1)
	s_or_b32 exec_lo, exec_lo, s8
	s_mov_b32 s19, exec_lo
	v_cmpx_lt_u32_e32 0xffffff, v2
	s_cbranch_execz .LBB281_427
; %bb.420:                              ;   in Loop: Header=BB281_11 Depth=1
	v_lshrrev_b32_e32 v3, 24, v2
	v_dual_mov_b32 v85, s3 :: v_dual_mov_b32 v84, s2
	s_mov_b32 s20, exec_lo
	s_delay_alu instid0(VALU_DEP_2)
	v_cmpx_ne_u32_e32 0x80, v3
	s_cbranch_execz .LBB281_426
; %bb.421:                              ;   in Loop: Header=BB281_11 Depth=1
	s_mov_b32 s8, s2
	v_bfe_u32 v4, v2, 24, 7
	v_dual_mov_b32 v85, s9 :: v_dual_mov_b32 v84, s8
	s_mov_b32 s8, exec_lo
	s_delay_alu instid0(VALU_DEP_2)
	v_cmpx_ne_u32_e32 0x7f, v4
	s_cbranch_execz .LBB281_425
; %bb.422:                              ;   in Loop: Header=BB281_11 Depth=1
	v_and_b32_e32 v94, 7, v3
	v_lshrrev_b32_e32 v2, 3, v4
	s_mov_b32 s21, exec_lo
	v_cmpx_gt_u32_e32 8, v4
; %bb.423:                              ;   in Loop: Header=BB281_11 Depth=1
	s_delay_alu instid0(VALU_DEP_3) | instskip(NEXT) | instid1(VALU_DEP_1)
	v_clz_i32_u32_e32 v2, v94
	v_min_u32_e32 v2, 32, v2
	s_delay_alu instid0(VALU_DEP_1) | instskip(SKIP_1) | instid1(VALU_DEP_2)
	v_subrev_nc_u32_e32 v4, 28, v2
	v_sub_nc_u32_e32 v2, 29, v2
	v_lshlrev_b64 v[4:5], v4, v[94:95]
	s_delay_alu instid0(VALU_DEP_1)
	v_and_b32_e32 v94, 7, v4
; %bb.424:                              ;   in Loop: Header=BB281_11 Depth=1
	s_or_b32 exec_lo, exec_lo, s21
	v_dual_mov_b32 v84, v95 :: v_dual_lshlrev_b32 v3, 24, v3
	s_delay_alu instid0(VALU_DEP_2) | instskip(SKIP_1) | instid1(VALU_DEP_3)
	v_lshlrev_b32_e32 v4, 20, v94
	v_lshl_add_u32 v2, v2, 23, 0x3c000000
	v_and_b32_e32 v3, 0x80000000, v3
	s_delay_alu instid0(VALU_DEP_1)
	v_or3_b32 v85, v4, v3, v2
.LBB281_425:                            ;   in Loop: Header=BB281_11 Depth=1
	s_or_b32 exec_lo, exec_lo, s8
.LBB281_426:                            ;   in Loop: Header=BB281_11 Depth=1
	s_delay_alu instid0(SALU_CYCLE_1)
	s_or_b32 exec_lo, exec_lo, s20
.LBB281_427:                            ;   in Loop: Header=BB281_11 Depth=1
	s_delay_alu instid0(SALU_CYCLE_1) | instskip(SKIP_4) | instid1(VALU_DEP_1)
	s_or_b32 exec_lo, exec_lo, s19
	flat_load_b32 v2, v[152:153] offset:1540
	v_mov_b32_e32 v96, 0
	v_mov_b32_e32 v97, 0
	s_mov_b32 s8, exec_lo
	v_dual_mov_b32 v99, v97 :: v_dual_mov_b32 v98, v96
	s_waitcnt vmcnt(0) lgkmcnt(0)
	v_and_b32_e32 v3, 0xff, v2
	s_delay_alu instid0(VALU_DEP_1)
	v_cmpx_ne_u16_e32 0, v3
	s_cbranch_execz .LBB281_435
; %bb.428:                              ;   in Loop: Header=BB281_11 Depth=1
	v_bfrev_b32_e32 v98, 1
	v_mov_b32_e32 v99, 0
	s_mov_b32 s19, exec_lo
	v_cmpx_ne_u16_e32 0x80, v3
	s_cbranch_execz .LBB281_434
; %bb.429:                              ;   in Loop: Header=BB281_11 Depth=1
	v_mov_b32_e32 v98, 0x7f800001
	v_dual_mov_b32 v99, 0 :: v_dual_and_b32 v4, 0x7f, v2
	s_mov_b32 s20, exec_lo
	s_delay_alu instid0(VALU_DEP_1)
	v_cmpx_ne_u32_e32 0x7f, v4
	s_cbranch_execz .LBB281_433
; %bb.430:                              ;   in Loop: Header=BB281_11 Depth=1
	v_and_b32_e32 v94, 7, v2
	v_lshrrev_b32_e32 v3, 3, v4
	s_mov_b32 s21, exec_lo
	v_cmpx_gt_u32_e32 8, v4
; %bb.431:                              ;   in Loop: Header=BB281_11 Depth=1
	s_delay_alu instid0(VALU_DEP_3) | instskip(NEXT) | instid1(VALU_DEP_1)
	v_clz_i32_u32_e32 v3, v94
	v_min_u32_e32 v3, 32, v3
	s_delay_alu instid0(VALU_DEP_1) | instskip(SKIP_1) | instid1(VALU_DEP_2)
	v_subrev_nc_u32_e32 v4, 28, v3
	v_sub_nc_u32_e32 v3, 29, v3
	v_lshlrev_b64 v[4:5], v4, v[94:95]
	s_delay_alu instid0(VALU_DEP_1)
	v_and_b32_e32 v94, 7, v4
; %bb.432:                              ;   in Loop: Header=BB281_11 Depth=1
	s_or_b32 exec_lo, exec_lo, s21
	v_lshlrev_b32_e32 v4, 24, v2
	s_delay_alu instid0(VALU_DEP_2) | instskip(SKIP_1) | instid1(VALU_DEP_3)
	v_lshlrev_b32_e32 v5, 20, v94
	v_lshl_add_u32 v3, v3, 23, 0x3c000000
	v_and_b32_e32 v4, 0x80000000, v4
	s_delay_alu instid0(VALU_DEP_1) | instskip(NEXT) | instid1(VALU_DEP_1)
	v_or3_b32 v94, v5, v4, v3
	v_dual_mov_b32 v99, v95 :: v_dual_mov_b32 v98, v94
.LBB281_433:                            ;   in Loop: Header=BB281_11 Depth=1
	s_or_b32 exec_lo, exec_lo, s20
.LBB281_434:                            ;   in Loop: Header=BB281_11 Depth=1
	s_delay_alu instid0(SALU_CYCLE_1)
	s_or_b32 exec_lo, exec_lo, s19
.LBB281_435:                            ;   in Loop: Header=BB281_11 Depth=1
	s_delay_alu instid0(SALU_CYCLE_1) | instskip(SKIP_2) | instid1(VALU_DEP_1)
	s_or_b32 exec_lo, exec_lo, s8
	v_lshrrev_b16 v3, 8, v2
	s_mov_b32 s19, exec_lo
	v_cmpx_ne_u16_e32 0, v3
	s_cbranch_execz .LBB281_443
; %bb.436:                              ;   in Loop: Header=BB281_11 Depth=1
	v_dual_mov_b32 v97, s3 :: v_dual_mov_b32 v96, s2
	s_mov_b32 s20, exec_lo
	v_cmpx_ne_u16_e32 0x80, v3
	s_cbranch_execz .LBB281_442
; %bb.437:                              ;   in Loop: Header=BB281_11 Depth=1
	s_mov_b32 s8, s2
	v_and_b32_e32 v3, 0xffff, v3
	v_dual_mov_b32 v97, s9 :: v_dual_mov_b32 v96, s8
	s_mov_b32 s8, exec_lo
	s_delay_alu instid0(VALU_DEP_2) | instskip(NEXT) | instid1(VALU_DEP_1)
	v_and_b32_e32 v4, 0x7f, v3
	v_cmpx_ne_u32_e32 0x7f, v4
	s_cbranch_execz .LBB281_441
; %bb.438:                              ;   in Loop: Header=BB281_11 Depth=1
	v_and_b32_e32 v94, 7, v3
	v_lshrrev_b32_e32 v3, 3, v4
	s_mov_b32 s21, exec_lo
	v_cmpx_gt_u32_e32 8, v4
; %bb.439:                              ;   in Loop: Header=BB281_11 Depth=1
	s_delay_alu instid0(VALU_DEP_3) | instskip(NEXT) | instid1(VALU_DEP_1)
	v_clz_i32_u32_e32 v3, v94
	v_min_u32_e32 v3, 32, v3
	s_delay_alu instid0(VALU_DEP_1) | instskip(SKIP_1) | instid1(VALU_DEP_2)
	v_subrev_nc_u32_e32 v4, 28, v3
	v_sub_nc_u32_e32 v3, 29, v3
	v_lshlrev_b64 v[4:5], v4, v[94:95]
	s_delay_alu instid0(VALU_DEP_1)
	v_and_b32_e32 v94, 7, v4
; %bb.440:                              ;   in Loop: Header=BB281_11 Depth=1
	s_or_b32 exec_lo, exec_lo, s21
	v_lshlrev_b32_e32 v4, 16, v2
	s_delay_alu instid0(VALU_DEP_2) | instskip(SKIP_1) | instid1(VALU_DEP_3)
	v_dual_mov_b32 v96, v95 :: v_dual_lshlrev_b32 v5, 20, v94
	v_lshl_add_u32 v3, v3, 23, 0x3c000000
	v_and_b32_e32 v4, 0x80000000, v4
	s_delay_alu instid0(VALU_DEP_1)
	v_or3_b32 v97, v5, v4, v3
.LBB281_441:                            ;   in Loop: Header=BB281_11 Depth=1
	s_or_b32 exec_lo, exec_lo, s8
.LBB281_442:                            ;   in Loop: Header=BB281_11 Depth=1
	s_delay_alu instid0(SALU_CYCLE_1)
	s_or_b32 exec_lo, exec_lo, s20
.LBB281_443:                            ;   in Loop: Header=BB281_11 Depth=1
	s_delay_alu instid0(SALU_CYCLE_1) | instskip(SKIP_4) | instid1(VALU_DEP_1)
	s_or_b32 exec_lo, exec_lo, s19
	v_mov_b32_e32 v100, 0
	v_lshrrev_b32_e32 v3, 16, v2
	v_mov_b32_e32 v101, 0
	s_mov_b32 s8, exec_lo
	v_dual_mov_b32 v103, v101 :: v_dual_and_b32 v4, 0xff, v3
	v_mov_b32_e32 v102, v100
	s_delay_alu instid0(VALU_DEP_2)
	v_cmpx_ne_u16_e32 0, v4
	s_cbranch_execz .LBB281_451
; %bb.444:                              ;   in Loop: Header=BB281_11 Depth=1
	v_bfrev_b32_e32 v102, 1
	v_mov_b32_e32 v103, 0
	s_mov_b32 s19, exec_lo
	v_cmpx_ne_u16_e32 0x80, v4
	s_cbranch_execz .LBB281_450
; %bb.445:                              ;   in Loop: Header=BB281_11 Depth=1
	v_mov_b32_e32 v102, 0x7f800001
	v_bfe_u32 v5, v2, 16, 7
	v_mov_b32_e32 v103, 0
	s_mov_b32 s20, exec_lo
	s_delay_alu instid0(VALU_DEP_2)
	v_cmpx_ne_u32_e32 0x7f, v5
	s_cbranch_execz .LBB281_449
; %bb.446:                              ;   in Loop: Header=BB281_11 Depth=1
	v_and_b32_e32 v94, 7, v3
	v_lshrrev_b32_e32 v4, 3, v5
	s_mov_b32 s21, exec_lo
	v_cmpx_gt_u32_e32 8, v5
; %bb.447:                              ;   in Loop: Header=BB281_11 Depth=1
	s_delay_alu instid0(VALU_DEP_3) | instskip(NEXT) | instid1(VALU_DEP_1)
	v_clz_i32_u32_e32 v4, v94
	v_min_u32_e32 v4, 32, v4
	s_delay_alu instid0(VALU_DEP_1) | instskip(SKIP_1) | instid1(VALU_DEP_2)
	v_subrev_nc_u32_e32 v5, 28, v4
	v_sub_nc_u32_e32 v4, 29, v4
	v_lshlrev_b64 v[8:9], v5, v[94:95]
	s_delay_alu instid0(VALU_DEP_1)
	v_and_b32_e32 v94, 7, v8
; %bb.448:                              ;   in Loop: Header=BB281_11 Depth=1
	s_or_b32 exec_lo, exec_lo, s21
	v_lshlrev_b32_e32 v3, 24, v3
	s_delay_alu instid0(VALU_DEP_2) | instskip(SKIP_1) | instid1(VALU_DEP_3)
	v_lshlrev_b32_e32 v5, 20, v94
	v_lshl_add_u32 v4, v4, 23, 0x3c000000
	v_and_b32_e32 v3, 0x80000000, v3
	s_delay_alu instid0(VALU_DEP_1) | instskip(NEXT) | instid1(VALU_DEP_1)
	v_or3_b32 v94, v5, v3, v4
	v_dual_mov_b32 v103, v95 :: v_dual_mov_b32 v102, v94
.LBB281_449:                            ;   in Loop: Header=BB281_11 Depth=1
	s_or_b32 exec_lo, exec_lo, s20
.LBB281_450:                            ;   in Loop: Header=BB281_11 Depth=1
	s_delay_alu instid0(SALU_CYCLE_1)
	s_or_b32 exec_lo, exec_lo, s19
.LBB281_451:                            ;   in Loop: Header=BB281_11 Depth=1
	s_delay_alu instid0(SALU_CYCLE_1) | instskip(NEXT) | instid1(SALU_CYCLE_1)
	s_or_b32 exec_lo, exec_lo, s8
	s_mov_b32 s19, exec_lo
	v_cmpx_lt_u32_e32 0xffffff, v2
	s_cbranch_execz .LBB281_459
; %bb.452:                              ;   in Loop: Header=BB281_11 Depth=1
	v_lshrrev_b32_e32 v3, 24, v2
	v_dual_mov_b32 v101, s3 :: v_dual_mov_b32 v100, s2
	s_mov_b32 s20, exec_lo
	s_delay_alu instid0(VALU_DEP_2)
	v_cmpx_ne_u32_e32 0x80, v3
	s_cbranch_execz .LBB281_458
; %bb.453:                              ;   in Loop: Header=BB281_11 Depth=1
	s_mov_b32 s8, s2
	v_bfe_u32 v4, v2, 24, 7
	v_dual_mov_b32 v101, s9 :: v_dual_mov_b32 v100, s8
	s_mov_b32 s8, exec_lo
	s_delay_alu instid0(VALU_DEP_2)
	v_cmpx_ne_u32_e32 0x7f, v4
	s_cbranch_execz .LBB281_457
; %bb.454:                              ;   in Loop: Header=BB281_11 Depth=1
	v_and_b32_e32 v94, 7, v3
	v_lshrrev_b32_e32 v2, 3, v4
	s_mov_b32 s21, exec_lo
	v_cmpx_gt_u32_e32 8, v4
; %bb.455:                              ;   in Loop: Header=BB281_11 Depth=1
	s_delay_alu instid0(VALU_DEP_3) | instskip(NEXT) | instid1(VALU_DEP_1)
	v_clz_i32_u32_e32 v2, v94
	v_min_u32_e32 v2, 32, v2
	s_delay_alu instid0(VALU_DEP_1) | instskip(SKIP_1) | instid1(VALU_DEP_2)
	v_subrev_nc_u32_e32 v4, 28, v2
	v_sub_nc_u32_e32 v2, 29, v2
	v_lshlrev_b64 v[4:5], v4, v[94:95]
	s_delay_alu instid0(VALU_DEP_1)
	v_and_b32_e32 v94, 7, v4
; %bb.456:                              ;   in Loop: Header=BB281_11 Depth=1
	s_or_b32 exec_lo, exec_lo, s21
	v_dual_mov_b32 v100, v95 :: v_dual_lshlrev_b32 v3, 24, v3
	s_delay_alu instid0(VALU_DEP_2) | instskip(SKIP_1) | instid1(VALU_DEP_3)
	v_lshlrev_b32_e32 v4, 20, v94
	v_lshl_add_u32 v2, v2, 23, 0x3c000000
	v_and_b32_e32 v3, 0x80000000, v3
	s_delay_alu instid0(VALU_DEP_1)
	v_or3_b32 v101, v4, v3, v2
.LBB281_457:                            ;   in Loop: Header=BB281_11 Depth=1
	s_or_b32 exec_lo, exec_lo, s8
.LBB281_458:                            ;   in Loop: Header=BB281_11 Depth=1
	s_delay_alu instid0(SALU_CYCLE_1)
	s_or_b32 exec_lo, exec_lo, s20
.LBB281_459:                            ;   in Loop: Header=BB281_11 Depth=1
	s_delay_alu instid0(SALU_CYCLE_1) | instskip(SKIP_4) | instid1(VALU_DEP_1)
	s_or_b32 exec_lo, exec_lo, s19
	flat_load_b32 v2, v[152:153] offset:1544
	v_mov_b32_e32 v112, 0
	v_mov_b32_e32 v113, 0
	s_mov_b32 s8, exec_lo
	v_dual_mov_b32 v115, v113 :: v_dual_mov_b32 v114, v112
	s_waitcnt vmcnt(0) lgkmcnt(0)
	v_and_b32_e32 v3, 0xff, v2
	s_delay_alu instid0(VALU_DEP_1)
	v_cmpx_ne_u16_e32 0, v3
	s_cbranch_execz .LBB281_467
; %bb.460:                              ;   in Loop: Header=BB281_11 Depth=1
	v_bfrev_b32_e32 v114, 1
	v_mov_b32_e32 v115, 0
	s_mov_b32 s19, exec_lo
	v_cmpx_ne_u16_e32 0x80, v3
	s_cbranch_execz .LBB281_466
; %bb.461:                              ;   in Loop: Header=BB281_11 Depth=1
	v_mov_b32_e32 v114, 0x7f800001
	v_dual_mov_b32 v115, 0 :: v_dual_and_b32 v4, 0x7f, v2
	s_mov_b32 s20, exec_lo
	s_delay_alu instid0(VALU_DEP_1)
	v_cmpx_ne_u32_e32 0x7f, v4
	s_cbranch_execz .LBB281_465
; %bb.462:                              ;   in Loop: Header=BB281_11 Depth=1
	v_and_b32_e32 v94, 7, v2
	v_lshrrev_b32_e32 v3, 3, v4
	s_mov_b32 s21, exec_lo
	v_cmpx_gt_u32_e32 8, v4
; %bb.463:                              ;   in Loop: Header=BB281_11 Depth=1
	s_delay_alu instid0(VALU_DEP_3) | instskip(NEXT) | instid1(VALU_DEP_1)
	v_clz_i32_u32_e32 v3, v94
	v_min_u32_e32 v3, 32, v3
	s_delay_alu instid0(VALU_DEP_1) | instskip(SKIP_1) | instid1(VALU_DEP_2)
	v_subrev_nc_u32_e32 v4, 28, v3
	v_sub_nc_u32_e32 v3, 29, v3
	v_lshlrev_b64 v[4:5], v4, v[94:95]
	s_delay_alu instid0(VALU_DEP_1)
	v_and_b32_e32 v94, 7, v4
; %bb.464:                              ;   in Loop: Header=BB281_11 Depth=1
	s_or_b32 exec_lo, exec_lo, s21
	v_lshlrev_b32_e32 v4, 24, v2
	s_delay_alu instid0(VALU_DEP_2) | instskip(SKIP_1) | instid1(VALU_DEP_3)
	v_lshlrev_b32_e32 v5, 20, v94
	v_lshl_add_u32 v3, v3, 23, 0x3c000000
	v_and_b32_e32 v4, 0x80000000, v4
	s_delay_alu instid0(VALU_DEP_1) | instskip(NEXT) | instid1(VALU_DEP_1)
	v_or3_b32 v94, v5, v4, v3
	v_dual_mov_b32 v115, v95 :: v_dual_mov_b32 v114, v94
.LBB281_465:                            ;   in Loop: Header=BB281_11 Depth=1
	s_or_b32 exec_lo, exec_lo, s20
.LBB281_466:                            ;   in Loop: Header=BB281_11 Depth=1
	s_delay_alu instid0(SALU_CYCLE_1)
	s_or_b32 exec_lo, exec_lo, s19
.LBB281_467:                            ;   in Loop: Header=BB281_11 Depth=1
	s_delay_alu instid0(SALU_CYCLE_1) | instskip(SKIP_2) | instid1(VALU_DEP_1)
	s_or_b32 exec_lo, exec_lo, s8
	v_lshrrev_b16 v3, 8, v2
	s_mov_b32 s19, exec_lo
	v_cmpx_ne_u16_e32 0, v3
	s_cbranch_execz .LBB281_475
; %bb.468:                              ;   in Loop: Header=BB281_11 Depth=1
	v_dual_mov_b32 v113, s3 :: v_dual_mov_b32 v112, s2
	s_mov_b32 s20, exec_lo
	v_cmpx_ne_u16_e32 0x80, v3
	s_cbranch_execz .LBB281_474
; %bb.469:                              ;   in Loop: Header=BB281_11 Depth=1
	s_mov_b32 s8, s2
	v_and_b32_e32 v3, 0xffff, v3
	v_dual_mov_b32 v113, s9 :: v_dual_mov_b32 v112, s8
	s_mov_b32 s8, exec_lo
	s_delay_alu instid0(VALU_DEP_2) | instskip(NEXT) | instid1(VALU_DEP_1)
	v_and_b32_e32 v4, 0x7f, v3
	v_cmpx_ne_u32_e32 0x7f, v4
	s_cbranch_execz .LBB281_473
; %bb.470:                              ;   in Loop: Header=BB281_11 Depth=1
	v_and_b32_e32 v94, 7, v3
	v_lshrrev_b32_e32 v3, 3, v4
	s_mov_b32 s21, exec_lo
	v_cmpx_gt_u32_e32 8, v4
; %bb.471:                              ;   in Loop: Header=BB281_11 Depth=1
	s_delay_alu instid0(VALU_DEP_3) | instskip(NEXT) | instid1(VALU_DEP_1)
	v_clz_i32_u32_e32 v3, v94
	v_min_u32_e32 v3, 32, v3
	s_delay_alu instid0(VALU_DEP_1) | instskip(SKIP_1) | instid1(VALU_DEP_2)
	v_subrev_nc_u32_e32 v4, 28, v3
	v_sub_nc_u32_e32 v3, 29, v3
	v_lshlrev_b64 v[4:5], v4, v[94:95]
	s_delay_alu instid0(VALU_DEP_1)
	v_and_b32_e32 v94, 7, v4
; %bb.472:                              ;   in Loop: Header=BB281_11 Depth=1
	s_or_b32 exec_lo, exec_lo, s21
	v_lshlrev_b32_e32 v4, 16, v2
	s_delay_alu instid0(VALU_DEP_2) | instskip(SKIP_1) | instid1(VALU_DEP_3)
	v_dual_mov_b32 v112, v95 :: v_dual_lshlrev_b32 v5, 20, v94
	v_lshl_add_u32 v3, v3, 23, 0x3c000000
	v_and_b32_e32 v4, 0x80000000, v4
	s_delay_alu instid0(VALU_DEP_1)
	v_or3_b32 v113, v5, v4, v3
.LBB281_473:                            ;   in Loop: Header=BB281_11 Depth=1
	s_or_b32 exec_lo, exec_lo, s8
.LBB281_474:                            ;   in Loop: Header=BB281_11 Depth=1
	s_delay_alu instid0(SALU_CYCLE_1)
	s_or_b32 exec_lo, exec_lo, s20
.LBB281_475:                            ;   in Loop: Header=BB281_11 Depth=1
	s_delay_alu instid0(SALU_CYCLE_1) | instskip(SKIP_4) | instid1(VALU_DEP_1)
	s_or_b32 exec_lo, exec_lo, s19
	v_mov_b32_e32 v116, 0
	v_lshrrev_b32_e32 v3, 16, v2
	v_mov_b32_e32 v117, 0
	s_mov_b32 s8, exec_lo
	v_dual_mov_b32 v119, v117 :: v_dual_and_b32 v4, 0xff, v3
	v_mov_b32_e32 v118, v116
	s_delay_alu instid0(VALU_DEP_2)
	v_cmpx_ne_u16_e32 0, v4
	s_cbranch_execz .LBB281_483
; %bb.476:                              ;   in Loop: Header=BB281_11 Depth=1
	v_bfrev_b32_e32 v118, 1
	v_mov_b32_e32 v119, 0
	s_mov_b32 s19, exec_lo
	v_cmpx_ne_u16_e32 0x80, v4
	s_cbranch_execz .LBB281_482
; %bb.477:                              ;   in Loop: Header=BB281_11 Depth=1
	v_mov_b32_e32 v118, 0x7f800001
	v_bfe_u32 v5, v2, 16, 7
	v_mov_b32_e32 v119, 0
	s_mov_b32 s20, exec_lo
	s_delay_alu instid0(VALU_DEP_2)
	v_cmpx_ne_u32_e32 0x7f, v5
	s_cbranch_execz .LBB281_481
; %bb.478:                              ;   in Loop: Header=BB281_11 Depth=1
	v_and_b32_e32 v94, 7, v3
	v_lshrrev_b32_e32 v4, 3, v5
	s_mov_b32 s21, exec_lo
	v_cmpx_gt_u32_e32 8, v5
; %bb.479:                              ;   in Loop: Header=BB281_11 Depth=1
	s_delay_alu instid0(VALU_DEP_3) | instskip(NEXT) | instid1(VALU_DEP_1)
	v_clz_i32_u32_e32 v4, v94
	v_min_u32_e32 v4, 32, v4
	s_delay_alu instid0(VALU_DEP_1) | instskip(SKIP_1) | instid1(VALU_DEP_2)
	v_subrev_nc_u32_e32 v5, 28, v4
	v_sub_nc_u32_e32 v4, 29, v4
	v_lshlrev_b64 v[8:9], v5, v[94:95]
	s_delay_alu instid0(VALU_DEP_1)
	v_and_b32_e32 v94, 7, v8
; %bb.480:                              ;   in Loop: Header=BB281_11 Depth=1
	s_or_b32 exec_lo, exec_lo, s21
	v_lshlrev_b32_e32 v3, 24, v3
	s_delay_alu instid0(VALU_DEP_2) | instskip(SKIP_1) | instid1(VALU_DEP_3)
	v_lshlrev_b32_e32 v5, 20, v94
	v_lshl_add_u32 v4, v4, 23, 0x3c000000
	v_and_b32_e32 v3, 0x80000000, v3
	s_delay_alu instid0(VALU_DEP_1) | instskip(NEXT) | instid1(VALU_DEP_1)
	v_or3_b32 v94, v5, v3, v4
	v_dual_mov_b32 v119, v95 :: v_dual_mov_b32 v118, v94
.LBB281_481:                            ;   in Loop: Header=BB281_11 Depth=1
	s_or_b32 exec_lo, exec_lo, s20
.LBB281_482:                            ;   in Loop: Header=BB281_11 Depth=1
	s_delay_alu instid0(SALU_CYCLE_1)
	s_or_b32 exec_lo, exec_lo, s19
.LBB281_483:                            ;   in Loop: Header=BB281_11 Depth=1
	s_delay_alu instid0(SALU_CYCLE_1) | instskip(NEXT) | instid1(SALU_CYCLE_1)
	s_or_b32 exec_lo, exec_lo, s8
	s_mov_b32 s19, exec_lo
	v_cmpx_lt_u32_e32 0xffffff, v2
	s_cbranch_execz .LBB281_491
; %bb.484:                              ;   in Loop: Header=BB281_11 Depth=1
	v_lshrrev_b32_e32 v3, 24, v2
	v_dual_mov_b32 v117, s3 :: v_dual_mov_b32 v116, s2
	s_mov_b32 s20, exec_lo
	s_delay_alu instid0(VALU_DEP_2)
	v_cmpx_ne_u32_e32 0x80, v3
	s_cbranch_execz .LBB281_490
; %bb.485:                              ;   in Loop: Header=BB281_11 Depth=1
	s_mov_b32 s8, s2
	v_bfe_u32 v4, v2, 24, 7
	v_dual_mov_b32 v117, s9 :: v_dual_mov_b32 v116, s8
	s_mov_b32 s8, exec_lo
	s_delay_alu instid0(VALU_DEP_2)
	v_cmpx_ne_u32_e32 0x7f, v4
	s_cbranch_execz .LBB281_489
; %bb.486:                              ;   in Loop: Header=BB281_11 Depth=1
	v_and_b32_e32 v94, 7, v3
	v_lshrrev_b32_e32 v2, 3, v4
	s_mov_b32 s21, exec_lo
	v_cmpx_gt_u32_e32 8, v4
; %bb.487:                              ;   in Loop: Header=BB281_11 Depth=1
	s_delay_alu instid0(VALU_DEP_3) | instskip(NEXT) | instid1(VALU_DEP_1)
	v_clz_i32_u32_e32 v2, v94
	v_min_u32_e32 v2, 32, v2
	s_delay_alu instid0(VALU_DEP_1) | instskip(SKIP_1) | instid1(VALU_DEP_2)
	v_subrev_nc_u32_e32 v4, 28, v2
	v_sub_nc_u32_e32 v2, 29, v2
	v_lshlrev_b64 v[4:5], v4, v[94:95]
	s_delay_alu instid0(VALU_DEP_1)
	v_and_b32_e32 v94, 7, v4
; %bb.488:                              ;   in Loop: Header=BB281_11 Depth=1
	s_or_b32 exec_lo, exec_lo, s21
	v_dual_mov_b32 v116, v95 :: v_dual_lshlrev_b32 v3, 24, v3
	s_delay_alu instid0(VALU_DEP_2) | instskip(SKIP_1) | instid1(VALU_DEP_3)
	v_lshlrev_b32_e32 v4, 20, v94
	v_lshl_add_u32 v2, v2, 23, 0x3c000000
	v_and_b32_e32 v3, 0x80000000, v3
	s_delay_alu instid0(VALU_DEP_1)
	v_or3_b32 v117, v4, v3, v2
.LBB281_489:                            ;   in Loop: Header=BB281_11 Depth=1
	s_or_b32 exec_lo, exec_lo, s8
.LBB281_490:                            ;   in Loop: Header=BB281_11 Depth=1
	s_delay_alu instid0(SALU_CYCLE_1)
	s_or_b32 exec_lo, exec_lo, s20
.LBB281_491:                            ;   in Loop: Header=BB281_11 Depth=1
	s_delay_alu instid0(SALU_CYCLE_1) | instskip(SKIP_4) | instid1(VALU_DEP_1)
	s_or_b32 exec_lo, exec_lo, s19
	flat_load_b32 v2, v[152:153] offset:1548
	v_mov_b32_e32 v128, 0
	v_mov_b32_e32 v129, 0
	s_mov_b32 s8, exec_lo
	v_dual_mov_b32 v131, v129 :: v_dual_mov_b32 v130, v128
	s_waitcnt vmcnt(0) lgkmcnt(0)
	v_and_b32_e32 v3, 0xff, v2
	s_delay_alu instid0(VALU_DEP_1)
	v_cmpx_ne_u16_e32 0, v3
	s_cbranch_execz .LBB281_499
; %bb.492:                              ;   in Loop: Header=BB281_11 Depth=1
	v_bfrev_b32_e32 v130, 1
	v_mov_b32_e32 v131, 0
	s_mov_b32 s19, exec_lo
	v_cmpx_ne_u16_e32 0x80, v3
	s_cbranch_execz .LBB281_498
; %bb.493:                              ;   in Loop: Header=BB281_11 Depth=1
	v_mov_b32_e32 v130, 0x7f800001
	v_dual_mov_b32 v131, 0 :: v_dual_and_b32 v4, 0x7f, v2
	s_mov_b32 s20, exec_lo
	s_delay_alu instid0(VALU_DEP_1)
	v_cmpx_ne_u32_e32 0x7f, v4
	s_cbranch_execz .LBB281_497
; %bb.494:                              ;   in Loop: Header=BB281_11 Depth=1
	v_and_b32_e32 v94, 7, v2
	v_lshrrev_b32_e32 v3, 3, v4
	s_mov_b32 s21, exec_lo
	v_cmpx_gt_u32_e32 8, v4
; %bb.495:                              ;   in Loop: Header=BB281_11 Depth=1
	s_delay_alu instid0(VALU_DEP_3) | instskip(NEXT) | instid1(VALU_DEP_1)
	v_clz_i32_u32_e32 v3, v94
	v_min_u32_e32 v3, 32, v3
	s_delay_alu instid0(VALU_DEP_1) | instskip(SKIP_1) | instid1(VALU_DEP_2)
	v_subrev_nc_u32_e32 v4, 28, v3
	v_sub_nc_u32_e32 v3, 29, v3
	v_lshlrev_b64 v[4:5], v4, v[94:95]
	s_delay_alu instid0(VALU_DEP_1)
	v_and_b32_e32 v94, 7, v4
; %bb.496:                              ;   in Loop: Header=BB281_11 Depth=1
	s_or_b32 exec_lo, exec_lo, s21
	v_lshlrev_b32_e32 v4, 24, v2
	s_delay_alu instid0(VALU_DEP_2) | instskip(SKIP_1) | instid1(VALU_DEP_3)
	v_lshlrev_b32_e32 v5, 20, v94
	v_lshl_add_u32 v3, v3, 23, 0x3c000000
	v_and_b32_e32 v4, 0x80000000, v4
	s_delay_alu instid0(VALU_DEP_1) | instskip(NEXT) | instid1(VALU_DEP_1)
	v_or3_b32 v94, v5, v4, v3
	v_dual_mov_b32 v131, v95 :: v_dual_mov_b32 v130, v94
.LBB281_497:                            ;   in Loop: Header=BB281_11 Depth=1
	s_or_b32 exec_lo, exec_lo, s20
.LBB281_498:                            ;   in Loop: Header=BB281_11 Depth=1
	s_delay_alu instid0(SALU_CYCLE_1)
	s_or_b32 exec_lo, exec_lo, s19
.LBB281_499:                            ;   in Loop: Header=BB281_11 Depth=1
	s_delay_alu instid0(SALU_CYCLE_1) | instskip(SKIP_2) | instid1(VALU_DEP_1)
	s_or_b32 exec_lo, exec_lo, s8
	v_lshrrev_b16 v3, 8, v2
	s_mov_b32 s19, exec_lo
	v_cmpx_ne_u16_e32 0, v3
	s_cbranch_execz .LBB281_507
; %bb.500:                              ;   in Loop: Header=BB281_11 Depth=1
	v_dual_mov_b32 v129, s3 :: v_dual_mov_b32 v128, s2
	s_mov_b32 s20, exec_lo
	v_cmpx_ne_u16_e32 0x80, v3
	s_cbranch_execz .LBB281_506
; %bb.501:                              ;   in Loop: Header=BB281_11 Depth=1
	s_mov_b32 s8, s2
	v_and_b32_e32 v3, 0xffff, v3
	v_dual_mov_b32 v129, s9 :: v_dual_mov_b32 v128, s8
	s_mov_b32 s8, exec_lo
	s_delay_alu instid0(VALU_DEP_2) | instskip(NEXT) | instid1(VALU_DEP_1)
	v_and_b32_e32 v4, 0x7f, v3
	v_cmpx_ne_u32_e32 0x7f, v4
	s_cbranch_execz .LBB281_505
; %bb.502:                              ;   in Loop: Header=BB281_11 Depth=1
	v_and_b32_e32 v94, 7, v3
	v_lshrrev_b32_e32 v3, 3, v4
	s_mov_b32 s21, exec_lo
	v_cmpx_gt_u32_e32 8, v4
; %bb.503:                              ;   in Loop: Header=BB281_11 Depth=1
	s_delay_alu instid0(VALU_DEP_3) | instskip(NEXT) | instid1(VALU_DEP_1)
	v_clz_i32_u32_e32 v3, v94
	v_min_u32_e32 v3, 32, v3
	s_delay_alu instid0(VALU_DEP_1) | instskip(SKIP_1) | instid1(VALU_DEP_2)
	v_subrev_nc_u32_e32 v4, 28, v3
	v_sub_nc_u32_e32 v3, 29, v3
	v_lshlrev_b64 v[4:5], v4, v[94:95]
	s_delay_alu instid0(VALU_DEP_1)
	v_and_b32_e32 v94, 7, v4
; %bb.504:                              ;   in Loop: Header=BB281_11 Depth=1
	s_or_b32 exec_lo, exec_lo, s21
	v_lshlrev_b32_e32 v4, 16, v2
	s_delay_alu instid0(VALU_DEP_2) | instskip(SKIP_1) | instid1(VALU_DEP_3)
	v_dual_mov_b32 v128, v95 :: v_dual_lshlrev_b32 v5, 20, v94
	v_lshl_add_u32 v3, v3, 23, 0x3c000000
	v_and_b32_e32 v4, 0x80000000, v4
	s_delay_alu instid0(VALU_DEP_1)
	v_or3_b32 v129, v5, v4, v3
.LBB281_505:                            ;   in Loop: Header=BB281_11 Depth=1
	s_or_b32 exec_lo, exec_lo, s8
.LBB281_506:                            ;   in Loop: Header=BB281_11 Depth=1
	s_delay_alu instid0(SALU_CYCLE_1)
	s_or_b32 exec_lo, exec_lo, s20
.LBB281_507:                            ;   in Loop: Header=BB281_11 Depth=1
	s_delay_alu instid0(SALU_CYCLE_1) | instskip(SKIP_4) | instid1(VALU_DEP_1)
	s_or_b32 exec_lo, exec_lo, s19
	v_mov_b32_e32 v132, 0
	v_lshrrev_b32_e32 v3, 16, v2
	v_mov_b32_e32 v133, 0
	s_mov_b32 s8, exec_lo
	v_dual_mov_b32 v135, v133 :: v_dual_and_b32 v4, 0xff, v3
	v_mov_b32_e32 v134, v132
	s_delay_alu instid0(VALU_DEP_2)
	v_cmpx_ne_u16_e32 0, v4
	s_cbranch_execz .LBB281_515
; %bb.508:                              ;   in Loop: Header=BB281_11 Depth=1
	v_bfrev_b32_e32 v134, 1
	v_mov_b32_e32 v135, 0
	s_mov_b32 s19, exec_lo
	v_cmpx_ne_u16_e32 0x80, v4
	s_cbranch_execz .LBB281_514
; %bb.509:                              ;   in Loop: Header=BB281_11 Depth=1
	v_mov_b32_e32 v134, 0x7f800001
	v_bfe_u32 v5, v2, 16, 7
	v_mov_b32_e32 v135, 0
	s_mov_b32 s20, exec_lo
	s_delay_alu instid0(VALU_DEP_2)
	v_cmpx_ne_u32_e32 0x7f, v5
	s_cbranch_execz .LBB281_513
; %bb.510:                              ;   in Loop: Header=BB281_11 Depth=1
	v_and_b32_e32 v94, 7, v3
	v_lshrrev_b32_e32 v4, 3, v5
	s_mov_b32 s21, exec_lo
	v_cmpx_gt_u32_e32 8, v5
; %bb.511:                              ;   in Loop: Header=BB281_11 Depth=1
	s_delay_alu instid0(VALU_DEP_3) | instskip(NEXT) | instid1(VALU_DEP_1)
	v_clz_i32_u32_e32 v4, v94
	v_min_u32_e32 v4, 32, v4
	s_delay_alu instid0(VALU_DEP_1) | instskip(SKIP_1) | instid1(VALU_DEP_2)
	v_subrev_nc_u32_e32 v5, 28, v4
	v_sub_nc_u32_e32 v4, 29, v4
	v_lshlrev_b64 v[8:9], v5, v[94:95]
	s_delay_alu instid0(VALU_DEP_1)
	v_and_b32_e32 v94, 7, v8
; %bb.512:                              ;   in Loop: Header=BB281_11 Depth=1
	s_or_b32 exec_lo, exec_lo, s21
	v_lshlrev_b32_e32 v3, 24, v3
	s_delay_alu instid0(VALU_DEP_2) | instskip(SKIP_1) | instid1(VALU_DEP_3)
	v_lshlrev_b32_e32 v5, 20, v94
	v_lshl_add_u32 v4, v4, 23, 0x3c000000
	v_and_b32_e32 v3, 0x80000000, v3
	s_delay_alu instid0(VALU_DEP_1) | instskip(NEXT) | instid1(VALU_DEP_1)
	v_or3_b32 v94, v5, v3, v4
	v_dual_mov_b32 v135, v95 :: v_dual_mov_b32 v134, v94
.LBB281_513:                            ;   in Loop: Header=BB281_11 Depth=1
	s_or_b32 exec_lo, exec_lo, s20
.LBB281_514:                            ;   in Loop: Header=BB281_11 Depth=1
	s_delay_alu instid0(SALU_CYCLE_1)
	s_or_b32 exec_lo, exec_lo, s19
.LBB281_515:                            ;   in Loop: Header=BB281_11 Depth=1
	s_delay_alu instid0(SALU_CYCLE_1) | instskip(NEXT) | instid1(SALU_CYCLE_1)
	s_or_b32 exec_lo, exec_lo, s8
	s_mov_b32 s19, exec_lo
	v_cmpx_lt_u32_e32 0xffffff, v2
	s_cbranch_execz .LBB281_523
; %bb.516:                              ;   in Loop: Header=BB281_11 Depth=1
	v_lshrrev_b32_e32 v3, 24, v2
	v_dual_mov_b32 v133, s3 :: v_dual_mov_b32 v132, s2
	s_mov_b32 s20, exec_lo
	s_delay_alu instid0(VALU_DEP_2)
	v_cmpx_ne_u32_e32 0x80, v3
	s_cbranch_execz .LBB281_522
; %bb.517:                              ;   in Loop: Header=BB281_11 Depth=1
	s_mov_b32 s8, s2
	v_bfe_u32 v4, v2, 24, 7
	v_dual_mov_b32 v133, s9 :: v_dual_mov_b32 v132, s8
	s_mov_b32 s8, exec_lo
	s_delay_alu instid0(VALU_DEP_2)
	v_cmpx_ne_u32_e32 0x7f, v4
	s_cbranch_execz .LBB281_521
; %bb.518:                              ;   in Loop: Header=BB281_11 Depth=1
	v_and_b32_e32 v94, 7, v3
	v_lshrrev_b32_e32 v2, 3, v4
	s_mov_b32 s21, exec_lo
	v_cmpx_gt_u32_e32 8, v4
; %bb.519:                              ;   in Loop: Header=BB281_11 Depth=1
	s_delay_alu instid0(VALU_DEP_3) | instskip(NEXT) | instid1(VALU_DEP_1)
	v_clz_i32_u32_e32 v2, v94
	v_min_u32_e32 v2, 32, v2
	s_delay_alu instid0(VALU_DEP_1) | instskip(SKIP_1) | instid1(VALU_DEP_2)
	v_subrev_nc_u32_e32 v4, 28, v2
	v_sub_nc_u32_e32 v2, 29, v2
	v_lshlrev_b64 v[4:5], v4, v[94:95]
	s_delay_alu instid0(VALU_DEP_1)
	v_and_b32_e32 v94, 7, v4
; %bb.520:                              ;   in Loop: Header=BB281_11 Depth=1
	s_or_b32 exec_lo, exec_lo, s21
	v_dual_mov_b32 v132, v95 :: v_dual_lshlrev_b32 v3, 24, v3
	s_delay_alu instid0(VALU_DEP_2) | instskip(SKIP_1) | instid1(VALU_DEP_3)
	v_lshlrev_b32_e32 v4, 20, v94
	v_lshl_add_u32 v2, v2, 23, 0x3c000000
	v_and_b32_e32 v3, 0x80000000, v3
	s_delay_alu instid0(VALU_DEP_1)
	v_or3_b32 v133, v4, v3, v2
.LBB281_521:                            ;   in Loop: Header=BB281_11 Depth=1
	s_or_b32 exec_lo, exec_lo, s8
.LBB281_522:                            ;   in Loop: Header=BB281_11 Depth=1
	s_delay_alu instid0(SALU_CYCLE_1)
	s_or_b32 exec_lo, exec_lo, s20
.LBB281_523:                            ;   in Loop: Header=BB281_11 Depth=1
	s_delay_alu instid0(SALU_CYCLE_1) | instskip(SKIP_4) | instid1(VALU_DEP_1)
	s_or_b32 exec_lo, exec_lo, s19
	flat_load_b32 v2, v[152:153] offset:2048
	v_mov_b32_e32 v144, 0
	v_mov_b32_e32 v145, 0
	s_mov_b32 s8, exec_lo
	v_dual_mov_b32 v147, v145 :: v_dual_mov_b32 v146, v144
	s_waitcnt vmcnt(0) lgkmcnt(0)
	v_and_b32_e32 v3, 0xff, v2
	s_delay_alu instid0(VALU_DEP_1)
	v_cmpx_ne_u16_e32 0, v3
	s_cbranch_execz .LBB281_531
; %bb.524:                              ;   in Loop: Header=BB281_11 Depth=1
	v_bfrev_b32_e32 v146, 1
	v_mov_b32_e32 v147, 0
	s_mov_b32 s19, exec_lo
	v_cmpx_ne_u16_e32 0x80, v3
	s_cbranch_execz .LBB281_530
; %bb.525:                              ;   in Loop: Header=BB281_11 Depth=1
	v_mov_b32_e32 v146, 0x7f800001
	v_dual_mov_b32 v147, 0 :: v_dual_and_b32 v4, 0x7f, v2
	s_mov_b32 s20, exec_lo
	s_delay_alu instid0(VALU_DEP_1)
	v_cmpx_ne_u32_e32 0x7f, v4
	s_cbranch_execz .LBB281_529
; %bb.526:                              ;   in Loop: Header=BB281_11 Depth=1
	v_and_b32_e32 v94, 7, v2
	v_lshrrev_b32_e32 v3, 3, v4
	s_mov_b32 s21, exec_lo
	v_cmpx_gt_u32_e32 8, v4
; %bb.527:                              ;   in Loop: Header=BB281_11 Depth=1
	s_delay_alu instid0(VALU_DEP_3) | instskip(NEXT) | instid1(VALU_DEP_1)
	v_clz_i32_u32_e32 v3, v94
	v_min_u32_e32 v3, 32, v3
	s_delay_alu instid0(VALU_DEP_1) | instskip(SKIP_1) | instid1(VALU_DEP_2)
	v_subrev_nc_u32_e32 v4, 28, v3
	v_sub_nc_u32_e32 v3, 29, v3
	v_lshlrev_b64 v[4:5], v4, v[94:95]
	s_delay_alu instid0(VALU_DEP_1)
	v_and_b32_e32 v94, 7, v4
; %bb.528:                              ;   in Loop: Header=BB281_11 Depth=1
	s_or_b32 exec_lo, exec_lo, s21
	v_lshlrev_b32_e32 v4, 24, v2
	s_delay_alu instid0(VALU_DEP_2) | instskip(SKIP_1) | instid1(VALU_DEP_3)
	v_lshlrev_b32_e32 v5, 20, v94
	v_lshl_add_u32 v3, v3, 23, 0x3c000000
	v_and_b32_e32 v4, 0x80000000, v4
	s_delay_alu instid0(VALU_DEP_1) | instskip(NEXT) | instid1(VALU_DEP_1)
	v_or3_b32 v94, v5, v4, v3
	v_dual_mov_b32 v147, v95 :: v_dual_mov_b32 v146, v94
.LBB281_529:                            ;   in Loop: Header=BB281_11 Depth=1
	s_or_b32 exec_lo, exec_lo, s20
.LBB281_530:                            ;   in Loop: Header=BB281_11 Depth=1
	s_delay_alu instid0(SALU_CYCLE_1)
	s_or_b32 exec_lo, exec_lo, s19
.LBB281_531:                            ;   in Loop: Header=BB281_11 Depth=1
	s_delay_alu instid0(SALU_CYCLE_1) | instskip(SKIP_2) | instid1(VALU_DEP_1)
	s_or_b32 exec_lo, exec_lo, s8
	v_lshrrev_b16 v3, 8, v2
	s_mov_b32 s19, exec_lo
	v_cmpx_ne_u16_e32 0, v3
	s_cbranch_execz .LBB281_539
; %bb.532:                              ;   in Loop: Header=BB281_11 Depth=1
	v_dual_mov_b32 v145, s3 :: v_dual_mov_b32 v144, s2
	s_mov_b32 s20, exec_lo
	v_cmpx_ne_u16_e32 0x80, v3
	s_cbranch_execz .LBB281_538
; %bb.533:                              ;   in Loop: Header=BB281_11 Depth=1
	s_mov_b32 s8, s2
	v_and_b32_e32 v3, 0xffff, v3
	v_dual_mov_b32 v145, s9 :: v_dual_mov_b32 v144, s8
	s_mov_b32 s8, exec_lo
	s_delay_alu instid0(VALU_DEP_2) | instskip(NEXT) | instid1(VALU_DEP_1)
	v_and_b32_e32 v4, 0x7f, v3
	v_cmpx_ne_u32_e32 0x7f, v4
	s_cbranch_execz .LBB281_537
; %bb.534:                              ;   in Loop: Header=BB281_11 Depth=1
	v_and_b32_e32 v94, 7, v3
	v_lshrrev_b32_e32 v3, 3, v4
	s_mov_b32 s21, exec_lo
	v_cmpx_gt_u32_e32 8, v4
; %bb.535:                              ;   in Loop: Header=BB281_11 Depth=1
	s_delay_alu instid0(VALU_DEP_3) | instskip(NEXT) | instid1(VALU_DEP_1)
	v_clz_i32_u32_e32 v3, v94
	v_min_u32_e32 v3, 32, v3
	s_delay_alu instid0(VALU_DEP_1) | instskip(SKIP_1) | instid1(VALU_DEP_2)
	v_subrev_nc_u32_e32 v4, 28, v3
	v_sub_nc_u32_e32 v3, 29, v3
	v_lshlrev_b64 v[4:5], v4, v[94:95]
	s_delay_alu instid0(VALU_DEP_1)
	v_and_b32_e32 v94, 7, v4
; %bb.536:                              ;   in Loop: Header=BB281_11 Depth=1
	s_or_b32 exec_lo, exec_lo, s21
	v_lshlrev_b32_e32 v4, 16, v2
	s_delay_alu instid0(VALU_DEP_2) | instskip(SKIP_1) | instid1(VALU_DEP_3)
	v_dual_mov_b32 v144, v95 :: v_dual_lshlrev_b32 v5, 20, v94
	v_lshl_add_u32 v3, v3, 23, 0x3c000000
	v_and_b32_e32 v4, 0x80000000, v4
	s_delay_alu instid0(VALU_DEP_1)
	v_or3_b32 v145, v5, v4, v3
.LBB281_537:                            ;   in Loop: Header=BB281_11 Depth=1
	s_or_b32 exec_lo, exec_lo, s8
.LBB281_538:                            ;   in Loop: Header=BB281_11 Depth=1
	s_delay_alu instid0(SALU_CYCLE_1)
	s_or_b32 exec_lo, exec_lo, s20
.LBB281_539:                            ;   in Loop: Header=BB281_11 Depth=1
	s_delay_alu instid0(SALU_CYCLE_1) | instskip(SKIP_4) | instid1(VALU_DEP_1)
	s_or_b32 exec_lo, exec_lo, s19
	v_mov_b32_e32 v148, 0
	v_lshrrev_b32_e32 v3, 16, v2
	v_mov_b32_e32 v149, 0
	s_mov_b32 s8, exec_lo
	v_dual_mov_b32 v151, v149 :: v_dual_and_b32 v4, 0xff, v3
	v_mov_b32_e32 v150, v148
	s_delay_alu instid0(VALU_DEP_2)
	v_cmpx_ne_u16_e32 0, v4
	s_cbranch_execz .LBB281_547
; %bb.540:                              ;   in Loop: Header=BB281_11 Depth=1
	v_bfrev_b32_e32 v150, 1
	v_mov_b32_e32 v151, 0
	s_mov_b32 s19, exec_lo
	v_cmpx_ne_u16_e32 0x80, v4
	s_cbranch_execz .LBB281_546
; %bb.541:                              ;   in Loop: Header=BB281_11 Depth=1
	v_mov_b32_e32 v150, 0x7f800001
	v_bfe_u32 v5, v2, 16, 7
	v_mov_b32_e32 v151, 0
	s_mov_b32 s20, exec_lo
	s_delay_alu instid0(VALU_DEP_2)
	v_cmpx_ne_u32_e32 0x7f, v5
	s_cbranch_execz .LBB281_545
; %bb.542:                              ;   in Loop: Header=BB281_11 Depth=1
	v_and_b32_e32 v94, 7, v3
	v_lshrrev_b32_e32 v4, 3, v5
	s_mov_b32 s21, exec_lo
	v_cmpx_gt_u32_e32 8, v5
; %bb.543:                              ;   in Loop: Header=BB281_11 Depth=1
	s_delay_alu instid0(VALU_DEP_3) | instskip(NEXT) | instid1(VALU_DEP_1)
	v_clz_i32_u32_e32 v4, v94
	v_min_u32_e32 v4, 32, v4
	s_delay_alu instid0(VALU_DEP_1) | instskip(SKIP_1) | instid1(VALU_DEP_2)
	v_subrev_nc_u32_e32 v5, 28, v4
	v_sub_nc_u32_e32 v4, 29, v4
	v_lshlrev_b64 v[8:9], v5, v[94:95]
	s_delay_alu instid0(VALU_DEP_1)
	v_and_b32_e32 v94, 7, v8
; %bb.544:                              ;   in Loop: Header=BB281_11 Depth=1
	s_or_b32 exec_lo, exec_lo, s21
	v_lshlrev_b32_e32 v3, 24, v3
	s_delay_alu instid0(VALU_DEP_2) | instskip(SKIP_1) | instid1(VALU_DEP_3)
	v_lshlrev_b32_e32 v5, 20, v94
	v_lshl_add_u32 v4, v4, 23, 0x3c000000
	v_and_b32_e32 v3, 0x80000000, v3
	s_delay_alu instid0(VALU_DEP_1) | instskip(NEXT) | instid1(VALU_DEP_1)
	v_or3_b32 v94, v5, v3, v4
	v_dual_mov_b32 v151, v95 :: v_dual_mov_b32 v150, v94
.LBB281_545:                            ;   in Loop: Header=BB281_11 Depth=1
	s_or_b32 exec_lo, exec_lo, s20
.LBB281_546:                            ;   in Loop: Header=BB281_11 Depth=1
	s_delay_alu instid0(SALU_CYCLE_1)
	s_or_b32 exec_lo, exec_lo, s19
.LBB281_547:                            ;   in Loop: Header=BB281_11 Depth=1
	s_delay_alu instid0(SALU_CYCLE_1) | instskip(NEXT) | instid1(SALU_CYCLE_1)
	s_or_b32 exec_lo, exec_lo, s8
	s_mov_b32 s19, exec_lo
	v_cmpx_lt_u32_e32 0xffffff, v2
	s_cbranch_execz .LBB281_555
; %bb.548:                              ;   in Loop: Header=BB281_11 Depth=1
	v_lshrrev_b32_e32 v3, 24, v2
	v_dual_mov_b32 v149, s3 :: v_dual_mov_b32 v148, s2
	s_mov_b32 s20, exec_lo
	s_delay_alu instid0(VALU_DEP_2)
	v_cmpx_ne_u32_e32 0x80, v3
	s_cbranch_execz .LBB281_554
; %bb.549:                              ;   in Loop: Header=BB281_11 Depth=1
	s_mov_b32 s8, s2
	v_bfe_u32 v4, v2, 24, 7
	v_dual_mov_b32 v149, s9 :: v_dual_mov_b32 v148, s8
	s_mov_b32 s8, exec_lo
	s_delay_alu instid0(VALU_DEP_2)
	v_cmpx_ne_u32_e32 0x7f, v4
	s_cbranch_execz .LBB281_553
; %bb.550:                              ;   in Loop: Header=BB281_11 Depth=1
	v_and_b32_e32 v94, 7, v3
	v_lshrrev_b32_e32 v2, 3, v4
	s_mov_b32 s21, exec_lo
	v_cmpx_gt_u32_e32 8, v4
; %bb.551:                              ;   in Loop: Header=BB281_11 Depth=1
	s_delay_alu instid0(VALU_DEP_3) | instskip(NEXT) | instid1(VALU_DEP_1)
	v_clz_i32_u32_e32 v2, v94
	v_min_u32_e32 v2, 32, v2
	s_delay_alu instid0(VALU_DEP_1) | instskip(SKIP_1) | instid1(VALU_DEP_2)
	v_subrev_nc_u32_e32 v4, 28, v2
	v_sub_nc_u32_e32 v2, 29, v2
	v_lshlrev_b64 v[4:5], v4, v[94:95]
	s_delay_alu instid0(VALU_DEP_1)
	v_and_b32_e32 v94, 7, v4
; %bb.552:                              ;   in Loop: Header=BB281_11 Depth=1
	s_or_b32 exec_lo, exec_lo, s21
	v_dual_mov_b32 v148, v95 :: v_dual_lshlrev_b32 v3, 24, v3
	s_delay_alu instid0(VALU_DEP_2) | instskip(SKIP_1) | instid1(VALU_DEP_3)
	v_lshlrev_b32_e32 v4, 20, v94
	v_lshl_add_u32 v2, v2, 23, 0x3c000000
	v_and_b32_e32 v3, 0x80000000, v3
	s_delay_alu instid0(VALU_DEP_1)
	v_or3_b32 v149, v4, v3, v2
.LBB281_553:                            ;   in Loop: Header=BB281_11 Depth=1
	s_or_b32 exec_lo, exec_lo, s8
.LBB281_554:                            ;   in Loop: Header=BB281_11 Depth=1
	s_delay_alu instid0(SALU_CYCLE_1)
	s_or_b32 exec_lo, exec_lo, s20
.LBB281_555:                            ;   in Loop: Header=BB281_11 Depth=1
	s_delay_alu instid0(SALU_CYCLE_1) | instskip(SKIP_4) | instid1(VALU_DEP_1)
	s_or_b32 exec_lo, exec_lo, s19
	flat_load_b32 v2, v[152:153] offset:2052
	v_mov_b32_e32 v160, 0
	v_mov_b32_e32 v161, 0
	s_mov_b32 s8, exec_lo
	v_dual_mov_b32 v163, v161 :: v_dual_mov_b32 v162, v160
	s_waitcnt vmcnt(0) lgkmcnt(0)
	v_and_b32_e32 v3, 0xff, v2
	s_delay_alu instid0(VALU_DEP_1)
	v_cmpx_ne_u16_e32 0, v3
	s_cbranch_execz .LBB281_563
; %bb.556:                              ;   in Loop: Header=BB281_11 Depth=1
	v_bfrev_b32_e32 v162, 1
	v_mov_b32_e32 v163, 0
	s_mov_b32 s19, exec_lo
	v_cmpx_ne_u16_e32 0x80, v3
	s_cbranch_execz .LBB281_562
; %bb.557:                              ;   in Loop: Header=BB281_11 Depth=1
	v_mov_b32_e32 v162, 0x7f800001
	v_dual_mov_b32 v163, 0 :: v_dual_and_b32 v4, 0x7f, v2
	s_mov_b32 s20, exec_lo
	s_delay_alu instid0(VALU_DEP_1)
	v_cmpx_ne_u32_e32 0x7f, v4
	s_cbranch_execz .LBB281_561
; %bb.558:                              ;   in Loop: Header=BB281_11 Depth=1
	v_and_b32_e32 v94, 7, v2
	v_lshrrev_b32_e32 v3, 3, v4
	s_mov_b32 s21, exec_lo
	v_cmpx_gt_u32_e32 8, v4
; %bb.559:                              ;   in Loop: Header=BB281_11 Depth=1
	s_delay_alu instid0(VALU_DEP_3) | instskip(NEXT) | instid1(VALU_DEP_1)
	v_clz_i32_u32_e32 v3, v94
	v_min_u32_e32 v3, 32, v3
	s_delay_alu instid0(VALU_DEP_1) | instskip(SKIP_1) | instid1(VALU_DEP_2)
	v_subrev_nc_u32_e32 v4, 28, v3
	v_sub_nc_u32_e32 v3, 29, v3
	v_lshlrev_b64 v[4:5], v4, v[94:95]
	s_delay_alu instid0(VALU_DEP_1)
	v_and_b32_e32 v94, 7, v4
; %bb.560:                              ;   in Loop: Header=BB281_11 Depth=1
	s_or_b32 exec_lo, exec_lo, s21
	v_lshlrev_b32_e32 v4, 24, v2
	s_delay_alu instid0(VALU_DEP_2) | instskip(SKIP_1) | instid1(VALU_DEP_3)
	v_lshlrev_b32_e32 v5, 20, v94
	v_lshl_add_u32 v3, v3, 23, 0x3c000000
	v_and_b32_e32 v4, 0x80000000, v4
	s_delay_alu instid0(VALU_DEP_1) | instskip(NEXT) | instid1(VALU_DEP_1)
	v_or3_b32 v94, v5, v4, v3
	v_dual_mov_b32 v163, v95 :: v_dual_mov_b32 v162, v94
.LBB281_561:                            ;   in Loop: Header=BB281_11 Depth=1
	s_or_b32 exec_lo, exec_lo, s20
.LBB281_562:                            ;   in Loop: Header=BB281_11 Depth=1
	s_delay_alu instid0(SALU_CYCLE_1)
	s_or_b32 exec_lo, exec_lo, s19
.LBB281_563:                            ;   in Loop: Header=BB281_11 Depth=1
	s_delay_alu instid0(SALU_CYCLE_1) | instskip(SKIP_2) | instid1(VALU_DEP_1)
	s_or_b32 exec_lo, exec_lo, s8
	v_lshrrev_b16 v3, 8, v2
	s_mov_b32 s19, exec_lo
	v_cmpx_ne_u16_e32 0, v3
	s_cbranch_execz .LBB281_571
; %bb.564:                              ;   in Loop: Header=BB281_11 Depth=1
	v_dual_mov_b32 v161, s3 :: v_dual_mov_b32 v160, s2
	s_mov_b32 s20, exec_lo
	v_cmpx_ne_u16_e32 0x80, v3
	s_cbranch_execz .LBB281_570
; %bb.565:                              ;   in Loop: Header=BB281_11 Depth=1
	s_mov_b32 s8, s2
	v_and_b32_e32 v3, 0xffff, v3
	v_dual_mov_b32 v161, s9 :: v_dual_mov_b32 v160, s8
	s_mov_b32 s8, exec_lo
	s_delay_alu instid0(VALU_DEP_2) | instskip(NEXT) | instid1(VALU_DEP_1)
	v_and_b32_e32 v4, 0x7f, v3
	v_cmpx_ne_u32_e32 0x7f, v4
	s_cbranch_execz .LBB281_569
; %bb.566:                              ;   in Loop: Header=BB281_11 Depth=1
	v_and_b32_e32 v94, 7, v3
	v_lshrrev_b32_e32 v3, 3, v4
	s_mov_b32 s21, exec_lo
	v_cmpx_gt_u32_e32 8, v4
; %bb.567:                              ;   in Loop: Header=BB281_11 Depth=1
	s_delay_alu instid0(VALU_DEP_3) | instskip(NEXT) | instid1(VALU_DEP_1)
	v_clz_i32_u32_e32 v3, v94
	v_min_u32_e32 v3, 32, v3
	s_delay_alu instid0(VALU_DEP_1) | instskip(SKIP_1) | instid1(VALU_DEP_2)
	v_subrev_nc_u32_e32 v4, 28, v3
	v_sub_nc_u32_e32 v3, 29, v3
	v_lshlrev_b64 v[4:5], v4, v[94:95]
	s_delay_alu instid0(VALU_DEP_1)
	v_and_b32_e32 v94, 7, v4
; %bb.568:                              ;   in Loop: Header=BB281_11 Depth=1
	s_or_b32 exec_lo, exec_lo, s21
	v_lshlrev_b32_e32 v4, 16, v2
	s_delay_alu instid0(VALU_DEP_2) | instskip(SKIP_1) | instid1(VALU_DEP_3)
	v_dual_mov_b32 v160, v95 :: v_dual_lshlrev_b32 v5, 20, v94
	v_lshl_add_u32 v3, v3, 23, 0x3c000000
	v_and_b32_e32 v4, 0x80000000, v4
	s_delay_alu instid0(VALU_DEP_1)
	v_or3_b32 v161, v5, v4, v3
.LBB281_569:                            ;   in Loop: Header=BB281_11 Depth=1
	s_or_b32 exec_lo, exec_lo, s8
.LBB281_570:                            ;   in Loop: Header=BB281_11 Depth=1
	s_delay_alu instid0(SALU_CYCLE_1)
	s_or_b32 exec_lo, exec_lo, s20
.LBB281_571:                            ;   in Loop: Header=BB281_11 Depth=1
	s_delay_alu instid0(SALU_CYCLE_1) | instskip(SKIP_4) | instid1(VALU_DEP_1)
	s_or_b32 exec_lo, exec_lo, s19
	v_mov_b32_e32 v164, 0
	v_lshrrev_b32_e32 v3, 16, v2
	v_mov_b32_e32 v165, 0
	s_mov_b32 s8, exec_lo
	v_dual_mov_b32 v167, v165 :: v_dual_and_b32 v4, 0xff, v3
	v_mov_b32_e32 v166, v164
	s_delay_alu instid0(VALU_DEP_2)
	v_cmpx_ne_u16_e32 0, v4
	s_cbranch_execz .LBB281_579
; %bb.572:                              ;   in Loop: Header=BB281_11 Depth=1
	v_bfrev_b32_e32 v166, 1
	v_mov_b32_e32 v167, 0
	s_mov_b32 s19, exec_lo
	v_cmpx_ne_u16_e32 0x80, v4
	s_cbranch_execz .LBB281_578
; %bb.573:                              ;   in Loop: Header=BB281_11 Depth=1
	v_mov_b32_e32 v166, 0x7f800001
	v_bfe_u32 v5, v2, 16, 7
	v_mov_b32_e32 v167, 0
	s_mov_b32 s20, exec_lo
	s_delay_alu instid0(VALU_DEP_2)
	v_cmpx_ne_u32_e32 0x7f, v5
	s_cbranch_execz .LBB281_577
; %bb.574:                              ;   in Loop: Header=BB281_11 Depth=1
	v_and_b32_e32 v94, 7, v3
	v_lshrrev_b32_e32 v4, 3, v5
	s_mov_b32 s21, exec_lo
	v_cmpx_gt_u32_e32 8, v5
; %bb.575:                              ;   in Loop: Header=BB281_11 Depth=1
	s_delay_alu instid0(VALU_DEP_3) | instskip(NEXT) | instid1(VALU_DEP_1)
	v_clz_i32_u32_e32 v4, v94
	v_min_u32_e32 v4, 32, v4
	s_delay_alu instid0(VALU_DEP_1) | instskip(SKIP_1) | instid1(VALU_DEP_2)
	v_subrev_nc_u32_e32 v5, 28, v4
	v_sub_nc_u32_e32 v4, 29, v4
	v_lshlrev_b64 v[8:9], v5, v[94:95]
	s_delay_alu instid0(VALU_DEP_1)
	v_and_b32_e32 v94, 7, v8
; %bb.576:                              ;   in Loop: Header=BB281_11 Depth=1
	s_or_b32 exec_lo, exec_lo, s21
	v_lshlrev_b32_e32 v3, 24, v3
	s_delay_alu instid0(VALU_DEP_2) | instskip(SKIP_1) | instid1(VALU_DEP_3)
	v_lshlrev_b32_e32 v5, 20, v94
	v_lshl_add_u32 v4, v4, 23, 0x3c000000
	v_and_b32_e32 v3, 0x80000000, v3
	s_delay_alu instid0(VALU_DEP_1) | instskip(NEXT) | instid1(VALU_DEP_1)
	v_or3_b32 v94, v5, v3, v4
	v_dual_mov_b32 v167, v95 :: v_dual_mov_b32 v166, v94
.LBB281_577:                            ;   in Loop: Header=BB281_11 Depth=1
	s_or_b32 exec_lo, exec_lo, s20
.LBB281_578:                            ;   in Loop: Header=BB281_11 Depth=1
	s_delay_alu instid0(SALU_CYCLE_1)
	s_or_b32 exec_lo, exec_lo, s19
.LBB281_579:                            ;   in Loop: Header=BB281_11 Depth=1
	s_delay_alu instid0(SALU_CYCLE_1) | instskip(NEXT) | instid1(SALU_CYCLE_1)
	s_or_b32 exec_lo, exec_lo, s8
	s_mov_b32 s19, exec_lo
	v_cmpx_lt_u32_e32 0xffffff, v2
	s_cbranch_execz .LBB281_587
; %bb.580:                              ;   in Loop: Header=BB281_11 Depth=1
	v_lshrrev_b32_e32 v3, 24, v2
	v_dual_mov_b32 v165, s3 :: v_dual_mov_b32 v164, s2
	s_mov_b32 s20, exec_lo
	s_delay_alu instid0(VALU_DEP_2)
	v_cmpx_ne_u32_e32 0x80, v3
	s_cbranch_execz .LBB281_586
; %bb.581:                              ;   in Loop: Header=BB281_11 Depth=1
	s_mov_b32 s8, s2
	v_bfe_u32 v4, v2, 24, 7
	v_dual_mov_b32 v165, s9 :: v_dual_mov_b32 v164, s8
	s_mov_b32 s8, exec_lo
	s_delay_alu instid0(VALU_DEP_2)
	v_cmpx_ne_u32_e32 0x7f, v4
	s_cbranch_execz .LBB281_585
; %bb.582:                              ;   in Loop: Header=BB281_11 Depth=1
	v_and_b32_e32 v94, 7, v3
	v_lshrrev_b32_e32 v2, 3, v4
	s_mov_b32 s21, exec_lo
	v_cmpx_gt_u32_e32 8, v4
; %bb.583:                              ;   in Loop: Header=BB281_11 Depth=1
	s_delay_alu instid0(VALU_DEP_3) | instskip(NEXT) | instid1(VALU_DEP_1)
	v_clz_i32_u32_e32 v2, v94
	v_min_u32_e32 v2, 32, v2
	s_delay_alu instid0(VALU_DEP_1) | instskip(SKIP_1) | instid1(VALU_DEP_2)
	v_subrev_nc_u32_e32 v4, 28, v2
	v_sub_nc_u32_e32 v2, 29, v2
	v_lshlrev_b64 v[4:5], v4, v[94:95]
	s_delay_alu instid0(VALU_DEP_1)
	v_and_b32_e32 v94, 7, v4
; %bb.584:                              ;   in Loop: Header=BB281_11 Depth=1
	s_or_b32 exec_lo, exec_lo, s21
	v_dual_mov_b32 v164, v95 :: v_dual_lshlrev_b32 v3, 24, v3
	s_delay_alu instid0(VALU_DEP_2) | instskip(SKIP_1) | instid1(VALU_DEP_3)
	v_lshlrev_b32_e32 v4, 20, v94
	v_lshl_add_u32 v2, v2, 23, 0x3c000000
	v_and_b32_e32 v3, 0x80000000, v3
	s_delay_alu instid0(VALU_DEP_1)
	v_or3_b32 v165, v4, v3, v2
.LBB281_585:                            ;   in Loop: Header=BB281_11 Depth=1
	s_or_b32 exec_lo, exec_lo, s8
.LBB281_586:                            ;   in Loop: Header=BB281_11 Depth=1
	s_delay_alu instid0(SALU_CYCLE_1)
	s_or_b32 exec_lo, exec_lo, s20
.LBB281_587:                            ;   in Loop: Header=BB281_11 Depth=1
	s_delay_alu instid0(SALU_CYCLE_1) | instskip(SKIP_4) | instid1(VALU_DEP_1)
	s_or_b32 exec_lo, exec_lo, s19
	flat_load_b32 v2, v[152:153] offset:2056
	v_mov_b32_e32 v176, 0
	v_mov_b32_e32 v177, 0
	s_mov_b32 s8, exec_lo
	v_dual_mov_b32 v179, v177 :: v_dual_mov_b32 v178, v176
	s_waitcnt vmcnt(0) lgkmcnt(0)
	v_and_b32_e32 v3, 0xff, v2
	s_delay_alu instid0(VALU_DEP_1)
	v_cmpx_ne_u16_e32 0, v3
	s_cbranch_execz .LBB281_595
; %bb.588:                              ;   in Loop: Header=BB281_11 Depth=1
	v_bfrev_b32_e32 v178, 1
	v_mov_b32_e32 v179, 0
	s_mov_b32 s19, exec_lo
	v_cmpx_ne_u16_e32 0x80, v3
	s_cbranch_execz .LBB281_594
; %bb.589:                              ;   in Loop: Header=BB281_11 Depth=1
	v_mov_b32_e32 v178, 0x7f800001
	v_dual_mov_b32 v179, 0 :: v_dual_and_b32 v4, 0x7f, v2
	s_mov_b32 s20, exec_lo
	s_delay_alu instid0(VALU_DEP_1)
	v_cmpx_ne_u32_e32 0x7f, v4
	s_cbranch_execz .LBB281_593
; %bb.590:                              ;   in Loop: Header=BB281_11 Depth=1
	v_and_b32_e32 v94, 7, v2
	v_lshrrev_b32_e32 v3, 3, v4
	s_mov_b32 s21, exec_lo
	v_cmpx_gt_u32_e32 8, v4
; %bb.591:                              ;   in Loop: Header=BB281_11 Depth=1
	s_delay_alu instid0(VALU_DEP_3) | instskip(NEXT) | instid1(VALU_DEP_1)
	v_clz_i32_u32_e32 v3, v94
	v_min_u32_e32 v3, 32, v3
	s_delay_alu instid0(VALU_DEP_1) | instskip(SKIP_1) | instid1(VALU_DEP_2)
	v_subrev_nc_u32_e32 v4, 28, v3
	v_sub_nc_u32_e32 v3, 29, v3
	v_lshlrev_b64 v[4:5], v4, v[94:95]
	s_delay_alu instid0(VALU_DEP_1)
	v_and_b32_e32 v94, 7, v4
; %bb.592:                              ;   in Loop: Header=BB281_11 Depth=1
	s_or_b32 exec_lo, exec_lo, s21
	v_lshlrev_b32_e32 v4, 24, v2
	s_delay_alu instid0(VALU_DEP_2) | instskip(SKIP_1) | instid1(VALU_DEP_3)
	v_lshlrev_b32_e32 v5, 20, v94
	v_lshl_add_u32 v3, v3, 23, 0x3c000000
	v_and_b32_e32 v4, 0x80000000, v4
	s_delay_alu instid0(VALU_DEP_1) | instskip(NEXT) | instid1(VALU_DEP_1)
	v_or3_b32 v94, v5, v4, v3
	v_dual_mov_b32 v179, v95 :: v_dual_mov_b32 v178, v94
.LBB281_593:                            ;   in Loop: Header=BB281_11 Depth=1
	s_or_b32 exec_lo, exec_lo, s20
.LBB281_594:                            ;   in Loop: Header=BB281_11 Depth=1
	s_delay_alu instid0(SALU_CYCLE_1)
	s_or_b32 exec_lo, exec_lo, s19
.LBB281_595:                            ;   in Loop: Header=BB281_11 Depth=1
	s_delay_alu instid0(SALU_CYCLE_1) | instskip(SKIP_2) | instid1(VALU_DEP_1)
	s_or_b32 exec_lo, exec_lo, s8
	v_lshrrev_b16 v3, 8, v2
	s_mov_b32 s19, exec_lo
	v_cmpx_ne_u16_e32 0, v3
	s_cbranch_execz .LBB281_603
; %bb.596:                              ;   in Loop: Header=BB281_11 Depth=1
	v_dual_mov_b32 v177, s3 :: v_dual_mov_b32 v176, s2
	s_mov_b32 s20, exec_lo
	v_cmpx_ne_u16_e32 0x80, v3
	s_cbranch_execz .LBB281_602
; %bb.597:                              ;   in Loop: Header=BB281_11 Depth=1
	s_mov_b32 s8, s2
	v_and_b32_e32 v3, 0xffff, v3
	v_dual_mov_b32 v177, s9 :: v_dual_mov_b32 v176, s8
	s_mov_b32 s8, exec_lo
	s_delay_alu instid0(VALU_DEP_2) | instskip(NEXT) | instid1(VALU_DEP_1)
	v_and_b32_e32 v4, 0x7f, v3
	v_cmpx_ne_u32_e32 0x7f, v4
	s_cbranch_execz .LBB281_601
; %bb.598:                              ;   in Loop: Header=BB281_11 Depth=1
	v_and_b32_e32 v94, 7, v3
	v_lshrrev_b32_e32 v3, 3, v4
	s_mov_b32 s21, exec_lo
	v_cmpx_gt_u32_e32 8, v4
; %bb.599:                              ;   in Loop: Header=BB281_11 Depth=1
	s_delay_alu instid0(VALU_DEP_3) | instskip(NEXT) | instid1(VALU_DEP_1)
	v_clz_i32_u32_e32 v3, v94
	v_min_u32_e32 v3, 32, v3
	s_delay_alu instid0(VALU_DEP_1) | instskip(SKIP_1) | instid1(VALU_DEP_2)
	v_subrev_nc_u32_e32 v4, 28, v3
	v_sub_nc_u32_e32 v3, 29, v3
	v_lshlrev_b64 v[4:5], v4, v[94:95]
	s_delay_alu instid0(VALU_DEP_1)
	v_and_b32_e32 v94, 7, v4
; %bb.600:                              ;   in Loop: Header=BB281_11 Depth=1
	s_or_b32 exec_lo, exec_lo, s21
	v_lshlrev_b32_e32 v4, 16, v2
	s_delay_alu instid0(VALU_DEP_2) | instskip(SKIP_1) | instid1(VALU_DEP_3)
	v_dual_mov_b32 v176, v95 :: v_dual_lshlrev_b32 v5, 20, v94
	v_lshl_add_u32 v3, v3, 23, 0x3c000000
	v_and_b32_e32 v4, 0x80000000, v4
	s_delay_alu instid0(VALU_DEP_1)
	v_or3_b32 v177, v5, v4, v3
.LBB281_601:                            ;   in Loop: Header=BB281_11 Depth=1
	s_or_b32 exec_lo, exec_lo, s8
.LBB281_602:                            ;   in Loop: Header=BB281_11 Depth=1
	s_delay_alu instid0(SALU_CYCLE_1)
	s_or_b32 exec_lo, exec_lo, s20
.LBB281_603:                            ;   in Loop: Header=BB281_11 Depth=1
	s_delay_alu instid0(SALU_CYCLE_1) | instskip(SKIP_4) | instid1(VALU_DEP_1)
	s_or_b32 exec_lo, exec_lo, s19
	v_mov_b32_e32 v180, 0
	v_lshrrev_b32_e32 v3, 16, v2
	v_mov_b32_e32 v181, 0
	s_mov_b32 s8, exec_lo
	v_dual_mov_b32 v183, v181 :: v_dual_and_b32 v4, 0xff, v3
	v_mov_b32_e32 v182, v180
	s_delay_alu instid0(VALU_DEP_2)
	v_cmpx_ne_u16_e32 0, v4
	s_cbranch_execz .LBB281_611
; %bb.604:                              ;   in Loop: Header=BB281_11 Depth=1
	v_bfrev_b32_e32 v182, 1
	v_mov_b32_e32 v183, 0
	s_mov_b32 s19, exec_lo
	v_cmpx_ne_u16_e32 0x80, v4
	s_cbranch_execz .LBB281_610
; %bb.605:                              ;   in Loop: Header=BB281_11 Depth=1
	v_mov_b32_e32 v182, 0x7f800001
	v_bfe_u32 v5, v2, 16, 7
	v_mov_b32_e32 v183, 0
	s_mov_b32 s20, exec_lo
	s_delay_alu instid0(VALU_DEP_2)
	v_cmpx_ne_u32_e32 0x7f, v5
	s_cbranch_execz .LBB281_609
; %bb.606:                              ;   in Loop: Header=BB281_11 Depth=1
	v_and_b32_e32 v94, 7, v3
	v_lshrrev_b32_e32 v4, 3, v5
	s_mov_b32 s21, exec_lo
	v_cmpx_gt_u32_e32 8, v5
; %bb.607:                              ;   in Loop: Header=BB281_11 Depth=1
	s_delay_alu instid0(VALU_DEP_3) | instskip(NEXT) | instid1(VALU_DEP_1)
	v_clz_i32_u32_e32 v4, v94
	v_min_u32_e32 v4, 32, v4
	s_delay_alu instid0(VALU_DEP_1) | instskip(SKIP_1) | instid1(VALU_DEP_2)
	v_subrev_nc_u32_e32 v5, 28, v4
	v_sub_nc_u32_e32 v4, 29, v4
	v_lshlrev_b64 v[8:9], v5, v[94:95]
	s_delay_alu instid0(VALU_DEP_1)
	v_and_b32_e32 v94, 7, v8
; %bb.608:                              ;   in Loop: Header=BB281_11 Depth=1
	s_or_b32 exec_lo, exec_lo, s21
	v_lshlrev_b32_e32 v3, 24, v3
	s_delay_alu instid0(VALU_DEP_2) | instskip(SKIP_1) | instid1(VALU_DEP_3)
	v_lshlrev_b32_e32 v5, 20, v94
	v_lshl_add_u32 v4, v4, 23, 0x3c000000
	v_and_b32_e32 v3, 0x80000000, v3
	s_delay_alu instid0(VALU_DEP_1) | instskip(NEXT) | instid1(VALU_DEP_1)
	v_or3_b32 v94, v5, v3, v4
	v_dual_mov_b32 v183, v95 :: v_dual_mov_b32 v182, v94
.LBB281_609:                            ;   in Loop: Header=BB281_11 Depth=1
	s_or_b32 exec_lo, exec_lo, s20
.LBB281_610:                            ;   in Loop: Header=BB281_11 Depth=1
	s_delay_alu instid0(SALU_CYCLE_1)
	s_or_b32 exec_lo, exec_lo, s19
.LBB281_611:                            ;   in Loop: Header=BB281_11 Depth=1
	s_delay_alu instid0(SALU_CYCLE_1) | instskip(NEXT) | instid1(SALU_CYCLE_1)
	s_or_b32 exec_lo, exec_lo, s8
	s_mov_b32 s19, exec_lo
	v_cmpx_lt_u32_e32 0xffffff, v2
	s_cbranch_execz .LBB281_619
; %bb.612:                              ;   in Loop: Header=BB281_11 Depth=1
	v_lshrrev_b32_e32 v3, 24, v2
	v_dual_mov_b32 v181, s3 :: v_dual_mov_b32 v180, s2
	s_mov_b32 s20, exec_lo
	s_delay_alu instid0(VALU_DEP_2)
	v_cmpx_ne_u32_e32 0x80, v3
	s_cbranch_execz .LBB281_618
; %bb.613:                              ;   in Loop: Header=BB281_11 Depth=1
	s_mov_b32 s8, s2
	v_bfe_u32 v4, v2, 24, 7
	v_dual_mov_b32 v181, s9 :: v_dual_mov_b32 v180, s8
	s_mov_b32 s8, exec_lo
	s_delay_alu instid0(VALU_DEP_2)
	v_cmpx_ne_u32_e32 0x7f, v4
	s_cbranch_execz .LBB281_617
; %bb.614:                              ;   in Loop: Header=BB281_11 Depth=1
	v_and_b32_e32 v94, 7, v3
	v_lshrrev_b32_e32 v2, 3, v4
	s_mov_b32 s21, exec_lo
	v_cmpx_gt_u32_e32 8, v4
; %bb.615:                              ;   in Loop: Header=BB281_11 Depth=1
	s_delay_alu instid0(VALU_DEP_3) | instskip(NEXT) | instid1(VALU_DEP_1)
	v_clz_i32_u32_e32 v2, v94
	v_min_u32_e32 v2, 32, v2
	s_delay_alu instid0(VALU_DEP_1) | instskip(SKIP_1) | instid1(VALU_DEP_2)
	v_subrev_nc_u32_e32 v4, 28, v2
	v_sub_nc_u32_e32 v2, 29, v2
	v_lshlrev_b64 v[4:5], v4, v[94:95]
	s_delay_alu instid0(VALU_DEP_1)
	v_and_b32_e32 v94, 7, v4
; %bb.616:                              ;   in Loop: Header=BB281_11 Depth=1
	s_or_b32 exec_lo, exec_lo, s21
	v_dual_mov_b32 v180, v95 :: v_dual_lshlrev_b32 v3, 24, v3
	s_delay_alu instid0(VALU_DEP_2) | instskip(SKIP_1) | instid1(VALU_DEP_3)
	v_lshlrev_b32_e32 v4, 20, v94
	v_lshl_add_u32 v2, v2, 23, 0x3c000000
	v_and_b32_e32 v3, 0x80000000, v3
	s_delay_alu instid0(VALU_DEP_1)
	v_or3_b32 v181, v4, v3, v2
.LBB281_617:                            ;   in Loop: Header=BB281_11 Depth=1
	s_or_b32 exec_lo, exec_lo, s8
.LBB281_618:                            ;   in Loop: Header=BB281_11 Depth=1
	s_delay_alu instid0(SALU_CYCLE_1)
	s_or_b32 exec_lo, exec_lo, s20
.LBB281_619:                            ;   in Loop: Header=BB281_11 Depth=1
	s_delay_alu instid0(SALU_CYCLE_1) | instskip(SKIP_4) | instid1(VALU_DEP_1)
	s_or_b32 exec_lo, exec_lo, s19
	flat_load_b32 v2, v[152:153] offset:2060
	v_mov_b32_e32 v40, 0
	v_mov_b32_e32 v41, 0
	s_mov_b32 s8, exec_lo
	v_dual_mov_b32 v43, v41 :: v_dual_mov_b32 v42, v40
	s_waitcnt vmcnt(0) lgkmcnt(0)
	v_and_b32_e32 v3, 0xff, v2
	s_delay_alu instid0(VALU_DEP_1)
	v_cmpx_ne_u16_e32 0, v3
	s_cbranch_execz .LBB281_627
; %bb.620:                              ;   in Loop: Header=BB281_11 Depth=1
	v_bfrev_b32_e32 v42, 1
	v_mov_b32_e32 v43, 0
	s_mov_b32 s19, exec_lo
	v_cmpx_ne_u16_e32 0x80, v3
	s_cbranch_execz .LBB281_626
; %bb.621:                              ;   in Loop: Header=BB281_11 Depth=1
	v_mov_b32_e32 v42, 0x7f800001
	v_dual_mov_b32 v43, 0 :: v_dual_and_b32 v4, 0x7f, v2
	s_mov_b32 s20, exec_lo
	s_delay_alu instid0(VALU_DEP_1)
	v_cmpx_ne_u32_e32 0x7f, v4
	s_cbranch_execz .LBB281_625
; %bb.622:                              ;   in Loop: Header=BB281_11 Depth=1
	v_and_b32_e32 v94, 7, v2
	v_lshrrev_b32_e32 v3, 3, v4
	s_mov_b32 s21, exec_lo
	v_cmpx_gt_u32_e32 8, v4
; %bb.623:                              ;   in Loop: Header=BB281_11 Depth=1
	s_delay_alu instid0(VALU_DEP_3) | instskip(NEXT) | instid1(VALU_DEP_1)
	v_clz_i32_u32_e32 v3, v94
	v_min_u32_e32 v3, 32, v3
	s_delay_alu instid0(VALU_DEP_1) | instskip(SKIP_1) | instid1(VALU_DEP_2)
	v_subrev_nc_u32_e32 v4, 28, v3
	v_sub_nc_u32_e32 v3, 29, v3
	v_lshlrev_b64 v[4:5], v4, v[94:95]
	s_delay_alu instid0(VALU_DEP_1)
	v_and_b32_e32 v94, 7, v4
; %bb.624:                              ;   in Loop: Header=BB281_11 Depth=1
	s_or_b32 exec_lo, exec_lo, s21
	v_lshlrev_b32_e32 v4, 24, v2
	s_delay_alu instid0(VALU_DEP_2) | instskip(SKIP_1) | instid1(VALU_DEP_3)
	v_lshlrev_b32_e32 v5, 20, v94
	v_lshl_add_u32 v3, v3, 23, 0x3c000000
	v_and_b32_e32 v4, 0x80000000, v4
	s_delay_alu instid0(VALU_DEP_1) | instskip(NEXT) | instid1(VALU_DEP_1)
	v_or3_b32 v94, v5, v4, v3
	v_dual_mov_b32 v42, v94 :: v_dual_mov_b32 v43, v95
.LBB281_625:                            ;   in Loop: Header=BB281_11 Depth=1
	s_or_b32 exec_lo, exec_lo, s20
.LBB281_626:                            ;   in Loop: Header=BB281_11 Depth=1
	s_delay_alu instid0(SALU_CYCLE_1)
	s_or_b32 exec_lo, exec_lo, s19
.LBB281_627:                            ;   in Loop: Header=BB281_11 Depth=1
	s_delay_alu instid0(SALU_CYCLE_1) | instskip(SKIP_2) | instid1(VALU_DEP_1)
	s_or_b32 exec_lo, exec_lo, s8
	v_lshrrev_b16 v3, 8, v2
	s_mov_b32 s19, exec_lo
	v_cmpx_ne_u16_e32 0, v3
	s_cbranch_execz .LBB281_635
; %bb.628:                              ;   in Loop: Header=BB281_11 Depth=1
	v_dual_mov_b32 v41, s3 :: v_dual_mov_b32 v40, s2
	s_mov_b32 s20, exec_lo
	v_cmpx_ne_u16_e32 0x80, v3
	s_cbranch_execz .LBB281_634
; %bb.629:                              ;   in Loop: Header=BB281_11 Depth=1
	s_mov_b32 s8, s2
	v_and_b32_e32 v3, 0xffff, v3
	v_dual_mov_b32 v41, s9 :: v_dual_mov_b32 v40, s8
	s_mov_b32 s8, exec_lo
	s_delay_alu instid0(VALU_DEP_2) | instskip(NEXT) | instid1(VALU_DEP_1)
	v_and_b32_e32 v4, 0x7f, v3
	v_cmpx_ne_u32_e32 0x7f, v4
	s_cbranch_execz .LBB281_633
; %bb.630:                              ;   in Loop: Header=BB281_11 Depth=1
	v_and_b32_e32 v94, 7, v3
	v_lshrrev_b32_e32 v3, 3, v4
	s_mov_b32 s21, exec_lo
	v_cmpx_gt_u32_e32 8, v4
; %bb.631:                              ;   in Loop: Header=BB281_11 Depth=1
	s_delay_alu instid0(VALU_DEP_3) | instskip(NEXT) | instid1(VALU_DEP_1)
	v_clz_i32_u32_e32 v3, v94
	v_min_u32_e32 v3, 32, v3
	s_delay_alu instid0(VALU_DEP_1) | instskip(SKIP_1) | instid1(VALU_DEP_2)
	v_subrev_nc_u32_e32 v4, 28, v3
	v_sub_nc_u32_e32 v3, 29, v3
	v_lshlrev_b64 v[4:5], v4, v[94:95]
	s_delay_alu instid0(VALU_DEP_1)
	v_and_b32_e32 v94, 7, v4
; %bb.632:                              ;   in Loop: Header=BB281_11 Depth=1
	s_or_b32 exec_lo, exec_lo, s21
	v_lshlrev_b32_e32 v4, 16, v2
	s_delay_alu instid0(VALU_DEP_2) | instskip(SKIP_1) | instid1(VALU_DEP_3)
	v_dual_mov_b32 v40, v95 :: v_dual_lshlrev_b32 v5, 20, v94
	v_lshl_add_u32 v3, v3, 23, 0x3c000000
	v_and_b32_e32 v4, 0x80000000, v4
	s_delay_alu instid0(VALU_DEP_1)
	v_or3_b32 v41, v5, v4, v3
.LBB281_633:                            ;   in Loop: Header=BB281_11 Depth=1
	s_or_b32 exec_lo, exec_lo, s8
.LBB281_634:                            ;   in Loop: Header=BB281_11 Depth=1
	s_delay_alu instid0(SALU_CYCLE_1)
	s_or_b32 exec_lo, exec_lo, s20
.LBB281_635:                            ;   in Loop: Header=BB281_11 Depth=1
	s_delay_alu instid0(SALU_CYCLE_1) | instskip(SKIP_4) | instid1(VALU_DEP_1)
	s_or_b32 exec_lo, exec_lo, s19
	v_mov_b32_e32 v44, 0
	v_lshrrev_b32_e32 v3, 16, v2
	v_mov_b32_e32 v45, 0
	s_mov_b32 s8, exec_lo
	v_dual_mov_b32 v47, v45 :: v_dual_and_b32 v4, 0xff, v3
	v_mov_b32_e32 v46, v44
	s_delay_alu instid0(VALU_DEP_2)
	v_cmpx_ne_u16_e32 0, v4
	s_cbranch_execz .LBB281_643
; %bb.636:                              ;   in Loop: Header=BB281_11 Depth=1
	v_bfrev_b32_e32 v46, 1
	v_mov_b32_e32 v47, 0
	s_mov_b32 s19, exec_lo
	v_cmpx_ne_u16_e32 0x80, v4
	s_cbranch_execz .LBB281_642
; %bb.637:                              ;   in Loop: Header=BB281_11 Depth=1
	v_mov_b32_e32 v46, 0x7f800001
	v_bfe_u32 v5, v2, 16, 7
	v_mov_b32_e32 v47, 0
	s_mov_b32 s20, exec_lo
	s_delay_alu instid0(VALU_DEP_2)
	v_cmpx_ne_u32_e32 0x7f, v5
	s_cbranch_execz .LBB281_641
; %bb.638:                              ;   in Loop: Header=BB281_11 Depth=1
	v_and_b32_e32 v94, 7, v3
	v_lshrrev_b32_e32 v4, 3, v5
	s_mov_b32 s21, exec_lo
	v_cmpx_gt_u32_e32 8, v5
; %bb.639:                              ;   in Loop: Header=BB281_11 Depth=1
	s_delay_alu instid0(VALU_DEP_3) | instskip(NEXT) | instid1(VALU_DEP_1)
	v_clz_i32_u32_e32 v4, v94
	v_min_u32_e32 v4, 32, v4
	s_delay_alu instid0(VALU_DEP_1) | instskip(SKIP_1) | instid1(VALU_DEP_2)
	v_subrev_nc_u32_e32 v5, 28, v4
	v_sub_nc_u32_e32 v4, 29, v4
	v_lshlrev_b64 v[8:9], v5, v[94:95]
	s_delay_alu instid0(VALU_DEP_1)
	v_and_b32_e32 v94, 7, v8
; %bb.640:                              ;   in Loop: Header=BB281_11 Depth=1
	s_or_b32 exec_lo, exec_lo, s21
	v_lshlrev_b32_e32 v3, 24, v3
	s_delay_alu instid0(VALU_DEP_2) | instskip(SKIP_1) | instid1(VALU_DEP_3)
	v_lshlrev_b32_e32 v5, 20, v94
	v_lshl_add_u32 v4, v4, 23, 0x3c000000
	v_and_b32_e32 v3, 0x80000000, v3
	s_delay_alu instid0(VALU_DEP_1) | instskip(NEXT) | instid1(VALU_DEP_1)
	v_or3_b32 v94, v5, v3, v4
	v_dual_mov_b32 v46, v94 :: v_dual_mov_b32 v47, v95
.LBB281_641:                            ;   in Loop: Header=BB281_11 Depth=1
	s_or_b32 exec_lo, exec_lo, s20
.LBB281_642:                            ;   in Loop: Header=BB281_11 Depth=1
	s_delay_alu instid0(SALU_CYCLE_1)
	s_or_b32 exec_lo, exec_lo, s19
.LBB281_643:                            ;   in Loop: Header=BB281_11 Depth=1
	s_delay_alu instid0(SALU_CYCLE_1) | instskip(NEXT) | instid1(SALU_CYCLE_1)
	s_or_b32 exec_lo, exec_lo, s8
	s_mov_b32 s19, exec_lo
	v_cmpx_lt_u32_e32 0xffffff, v2
	s_cbranch_execz .LBB281_651
; %bb.644:                              ;   in Loop: Header=BB281_11 Depth=1
	v_lshrrev_b32_e32 v3, 24, v2
	v_dual_mov_b32 v45, s3 :: v_dual_mov_b32 v44, s2
	s_mov_b32 s20, exec_lo
	s_delay_alu instid0(VALU_DEP_2)
	v_cmpx_ne_u32_e32 0x80, v3
	s_cbranch_execz .LBB281_650
; %bb.645:                              ;   in Loop: Header=BB281_11 Depth=1
	s_mov_b32 s8, s2
	v_bfe_u32 v4, v2, 24, 7
	v_dual_mov_b32 v45, s9 :: v_dual_mov_b32 v44, s8
	s_mov_b32 s8, exec_lo
	s_delay_alu instid0(VALU_DEP_2)
	v_cmpx_ne_u32_e32 0x7f, v4
	s_cbranch_execz .LBB281_649
; %bb.646:                              ;   in Loop: Header=BB281_11 Depth=1
	v_and_b32_e32 v94, 7, v3
	v_lshrrev_b32_e32 v2, 3, v4
	s_mov_b32 s21, exec_lo
	v_cmpx_gt_u32_e32 8, v4
; %bb.647:                              ;   in Loop: Header=BB281_11 Depth=1
	s_delay_alu instid0(VALU_DEP_3) | instskip(NEXT) | instid1(VALU_DEP_1)
	v_clz_i32_u32_e32 v2, v94
	v_min_u32_e32 v2, 32, v2
	s_delay_alu instid0(VALU_DEP_1) | instskip(SKIP_1) | instid1(VALU_DEP_2)
	v_subrev_nc_u32_e32 v4, 28, v2
	v_sub_nc_u32_e32 v2, 29, v2
	v_lshlrev_b64 v[4:5], v4, v[94:95]
	s_delay_alu instid0(VALU_DEP_1)
	v_and_b32_e32 v94, 7, v4
; %bb.648:                              ;   in Loop: Header=BB281_11 Depth=1
	s_or_b32 exec_lo, exec_lo, s21
	v_dual_mov_b32 v44, v95 :: v_dual_lshlrev_b32 v3, 24, v3
	s_delay_alu instid0(VALU_DEP_2) | instskip(SKIP_1) | instid1(VALU_DEP_3)
	v_lshlrev_b32_e32 v4, 20, v94
	v_lshl_add_u32 v2, v2, 23, 0x3c000000
	v_and_b32_e32 v3, 0x80000000, v3
	s_delay_alu instid0(VALU_DEP_1)
	v_or3_b32 v45, v4, v3, v2
.LBB281_649:                            ;   in Loop: Header=BB281_11 Depth=1
	s_or_b32 exec_lo, exec_lo, s8
.LBB281_650:                            ;   in Loop: Header=BB281_11 Depth=1
	s_delay_alu instid0(SALU_CYCLE_1)
	s_or_b32 exec_lo, exec_lo, s20
.LBB281_651:                            ;   in Loop: Header=BB281_11 Depth=1
	s_delay_alu instid0(SALU_CYCLE_1) | instskip(SKIP_4) | instid1(VALU_DEP_1)
	s_or_b32 exec_lo, exec_lo, s19
	flat_load_b32 v2, v[152:153] offset:2560
	v_mov_b32_e32 v56, 0
	v_mov_b32_e32 v57, 0
	s_mov_b32 s8, exec_lo
	v_dual_mov_b32 v59, v57 :: v_dual_mov_b32 v58, v56
	s_waitcnt vmcnt(0) lgkmcnt(0)
	v_and_b32_e32 v3, 0xff, v2
	s_delay_alu instid0(VALU_DEP_1)
	v_cmpx_ne_u16_e32 0, v3
	s_cbranch_execz .LBB281_659
; %bb.652:                              ;   in Loop: Header=BB281_11 Depth=1
	v_bfrev_b32_e32 v58, 1
	v_mov_b32_e32 v59, 0
	s_mov_b32 s19, exec_lo
	v_cmpx_ne_u16_e32 0x80, v3
	s_cbranch_execz .LBB281_658
; %bb.653:                              ;   in Loop: Header=BB281_11 Depth=1
	v_mov_b32_e32 v58, 0x7f800001
	v_dual_mov_b32 v59, 0 :: v_dual_and_b32 v4, 0x7f, v2
	s_mov_b32 s20, exec_lo
	s_delay_alu instid0(VALU_DEP_1)
	v_cmpx_ne_u32_e32 0x7f, v4
	s_cbranch_execz .LBB281_657
; %bb.654:                              ;   in Loop: Header=BB281_11 Depth=1
	v_and_b32_e32 v94, 7, v2
	v_lshrrev_b32_e32 v3, 3, v4
	s_mov_b32 s21, exec_lo
	v_cmpx_gt_u32_e32 8, v4
; %bb.655:                              ;   in Loop: Header=BB281_11 Depth=1
	s_delay_alu instid0(VALU_DEP_3) | instskip(NEXT) | instid1(VALU_DEP_1)
	v_clz_i32_u32_e32 v3, v94
	v_min_u32_e32 v3, 32, v3
	s_delay_alu instid0(VALU_DEP_1) | instskip(SKIP_1) | instid1(VALU_DEP_2)
	v_subrev_nc_u32_e32 v4, 28, v3
	v_sub_nc_u32_e32 v3, 29, v3
	v_lshlrev_b64 v[4:5], v4, v[94:95]
	s_delay_alu instid0(VALU_DEP_1)
	v_and_b32_e32 v94, 7, v4
; %bb.656:                              ;   in Loop: Header=BB281_11 Depth=1
	s_or_b32 exec_lo, exec_lo, s21
	v_lshlrev_b32_e32 v4, 24, v2
	s_delay_alu instid0(VALU_DEP_2) | instskip(SKIP_1) | instid1(VALU_DEP_3)
	v_lshlrev_b32_e32 v5, 20, v94
	v_lshl_add_u32 v3, v3, 23, 0x3c000000
	v_and_b32_e32 v4, 0x80000000, v4
	s_delay_alu instid0(VALU_DEP_1) | instskip(NEXT) | instid1(VALU_DEP_1)
	v_or3_b32 v94, v5, v4, v3
	v_dual_mov_b32 v58, v94 :: v_dual_mov_b32 v59, v95
.LBB281_657:                            ;   in Loop: Header=BB281_11 Depth=1
	s_or_b32 exec_lo, exec_lo, s20
.LBB281_658:                            ;   in Loop: Header=BB281_11 Depth=1
	s_delay_alu instid0(SALU_CYCLE_1)
	s_or_b32 exec_lo, exec_lo, s19
.LBB281_659:                            ;   in Loop: Header=BB281_11 Depth=1
	s_delay_alu instid0(SALU_CYCLE_1) | instskip(SKIP_2) | instid1(VALU_DEP_1)
	s_or_b32 exec_lo, exec_lo, s8
	v_lshrrev_b16 v3, 8, v2
	s_mov_b32 s19, exec_lo
	v_cmpx_ne_u16_e32 0, v3
	s_cbranch_execz .LBB281_667
; %bb.660:                              ;   in Loop: Header=BB281_11 Depth=1
	v_dual_mov_b32 v57, s3 :: v_dual_mov_b32 v56, s2
	s_mov_b32 s20, exec_lo
	v_cmpx_ne_u16_e32 0x80, v3
	s_cbranch_execz .LBB281_666
; %bb.661:                              ;   in Loop: Header=BB281_11 Depth=1
	s_mov_b32 s8, s2
	v_and_b32_e32 v3, 0xffff, v3
	v_dual_mov_b32 v57, s9 :: v_dual_mov_b32 v56, s8
	s_mov_b32 s8, exec_lo
	s_delay_alu instid0(VALU_DEP_2) | instskip(NEXT) | instid1(VALU_DEP_1)
	v_and_b32_e32 v4, 0x7f, v3
	v_cmpx_ne_u32_e32 0x7f, v4
	s_cbranch_execz .LBB281_665
; %bb.662:                              ;   in Loop: Header=BB281_11 Depth=1
	v_and_b32_e32 v94, 7, v3
	v_lshrrev_b32_e32 v3, 3, v4
	s_mov_b32 s21, exec_lo
	v_cmpx_gt_u32_e32 8, v4
; %bb.663:                              ;   in Loop: Header=BB281_11 Depth=1
	s_delay_alu instid0(VALU_DEP_3) | instskip(NEXT) | instid1(VALU_DEP_1)
	v_clz_i32_u32_e32 v3, v94
	v_min_u32_e32 v3, 32, v3
	s_delay_alu instid0(VALU_DEP_1) | instskip(SKIP_1) | instid1(VALU_DEP_2)
	v_subrev_nc_u32_e32 v4, 28, v3
	v_sub_nc_u32_e32 v3, 29, v3
	v_lshlrev_b64 v[4:5], v4, v[94:95]
	s_delay_alu instid0(VALU_DEP_1)
	v_and_b32_e32 v94, 7, v4
; %bb.664:                              ;   in Loop: Header=BB281_11 Depth=1
	s_or_b32 exec_lo, exec_lo, s21
	v_lshlrev_b32_e32 v4, 16, v2
	s_delay_alu instid0(VALU_DEP_2) | instskip(SKIP_1) | instid1(VALU_DEP_3)
	v_dual_mov_b32 v56, v95 :: v_dual_lshlrev_b32 v5, 20, v94
	v_lshl_add_u32 v3, v3, 23, 0x3c000000
	v_and_b32_e32 v4, 0x80000000, v4
	s_delay_alu instid0(VALU_DEP_1)
	v_or3_b32 v57, v5, v4, v3
.LBB281_665:                            ;   in Loop: Header=BB281_11 Depth=1
	s_or_b32 exec_lo, exec_lo, s8
.LBB281_666:                            ;   in Loop: Header=BB281_11 Depth=1
	s_delay_alu instid0(SALU_CYCLE_1)
	s_or_b32 exec_lo, exec_lo, s20
.LBB281_667:                            ;   in Loop: Header=BB281_11 Depth=1
	s_delay_alu instid0(SALU_CYCLE_1) | instskip(SKIP_4) | instid1(VALU_DEP_1)
	s_or_b32 exec_lo, exec_lo, s19
	v_mov_b32_e32 v60, 0
	v_lshrrev_b32_e32 v3, 16, v2
	v_mov_b32_e32 v61, 0
	s_mov_b32 s8, exec_lo
	v_dual_mov_b32 v63, v61 :: v_dual_and_b32 v4, 0xff, v3
	v_mov_b32_e32 v62, v60
	s_delay_alu instid0(VALU_DEP_2)
	v_cmpx_ne_u16_e32 0, v4
	s_cbranch_execz .LBB281_675
; %bb.668:                              ;   in Loop: Header=BB281_11 Depth=1
	v_bfrev_b32_e32 v62, 1
	v_mov_b32_e32 v63, 0
	s_mov_b32 s19, exec_lo
	v_cmpx_ne_u16_e32 0x80, v4
	s_cbranch_execz .LBB281_674
; %bb.669:                              ;   in Loop: Header=BB281_11 Depth=1
	v_mov_b32_e32 v62, 0x7f800001
	v_bfe_u32 v5, v2, 16, 7
	v_mov_b32_e32 v63, 0
	s_mov_b32 s20, exec_lo
	s_delay_alu instid0(VALU_DEP_2)
	v_cmpx_ne_u32_e32 0x7f, v5
	s_cbranch_execz .LBB281_673
; %bb.670:                              ;   in Loop: Header=BB281_11 Depth=1
	v_and_b32_e32 v94, 7, v3
	v_lshrrev_b32_e32 v4, 3, v5
	s_mov_b32 s21, exec_lo
	v_cmpx_gt_u32_e32 8, v5
; %bb.671:                              ;   in Loop: Header=BB281_11 Depth=1
	s_delay_alu instid0(VALU_DEP_3) | instskip(NEXT) | instid1(VALU_DEP_1)
	v_clz_i32_u32_e32 v4, v94
	v_min_u32_e32 v4, 32, v4
	s_delay_alu instid0(VALU_DEP_1) | instskip(SKIP_1) | instid1(VALU_DEP_2)
	v_subrev_nc_u32_e32 v5, 28, v4
	v_sub_nc_u32_e32 v4, 29, v4
	v_lshlrev_b64 v[8:9], v5, v[94:95]
	s_delay_alu instid0(VALU_DEP_1)
	v_and_b32_e32 v94, 7, v8
; %bb.672:                              ;   in Loop: Header=BB281_11 Depth=1
	s_or_b32 exec_lo, exec_lo, s21
	v_lshlrev_b32_e32 v3, 24, v3
	s_delay_alu instid0(VALU_DEP_2) | instskip(SKIP_1) | instid1(VALU_DEP_3)
	v_lshlrev_b32_e32 v5, 20, v94
	v_lshl_add_u32 v4, v4, 23, 0x3c000000
	v_and_b32_e32 v3, 0x80000000, v3
	s_delay_alu instid0(VALU_DEP_1) | instskip(NEXT) | instid1(VALU_DEP_1)
	v_or3_b32 v94, v5, v3, v4
	v_dual_mov_b32 v62, v94 :: v_dual_mov_b32 v63, v95
.LBB281_673:                            ;   in Loop: Header=BB281_11 Depth=1
	s_or_b32 exec_lo, exec_lo, s20
.LBB281_674:                            ;   in Loop: Header=BB281_11 Depth=1
	s_delay_alu instid0(SALU_CYCLE_1)
	s_or_b32 exec_lo, exec_lo, s19
.LBB281_675:                            ;   in Loop: Header=BB281_11 Depth=1
	s_delay_alu instid0(SALU_CYCLE_1) | instskip(NEXT) | instid1(SALU_CYCLE_1)
	s_or_b32 exec_lo, exec_lo, s8
	s_mov_b32 s19, exec_lo
	v_cmpx_lt_u32_e32 0xffffff, v2
	s_cbranch_execz .LBB281_683
; %bb.676:                              ;   in Loop: Header=BB281_11 Depth=1
	v_lshrrev_b32_e32 v3, 24, v2
	v_dual_mov_b32 v61, s3 :: v_dual_mov_b32 v60, s2
	s_mov_b32 s20, exec_lo
	s_delay_alu instid0(VALU_DEP_2)
	v_cmpx_ne_u32_e32 0x80, v3
	s_cbranch_execz .LBB281_682
; %bb.677:                              ;   in Loop: Header=BB281_11 Depth=1
	s_mov_b32 s8, s2
	v_bfe_u32 v4, v2, 24, 7
	v_dual_mov_b32 v61, s9 :: v_dual_mov_b32 v60, s8
	s_mov_b32 s8, exec_lo
	s_delay_alu instid0(VALU_DEP_2)
	v_cmpx_ne_u32_e32 0x7f, v4
	s_cbranch_execz .LBB281_681
; %bb.678:                              ;   in Loop: Header=BB281_11 Depth=1
	v_and_b32_e32 v94, 7, v3
	v_lshrrev_b32_e32 v2, 3, v4
	s_mov_b32 s21, exec_lo
	v_cmpx_gt_u32_e32 8, v4
; %bb.679:                              ;   in Loop: Header=BB281_11 Depth=1
	s_delay_alu instid0(VALU_DEP_3) | instskip(NEXT) | instid1(VALU_DEP_1)
	v_clz_i32_u32_e32 v2, v94
	v_min_u32_e32 v2, 32, v2
	s_delay_alu instid0(VALU_DEP_1) | instskip(SKIP_1) | instid1(VALU_DEP_2)
	v_subrev_nc_u32_e32 v4, 28, v2
	v_sub_nc_u32_e32 v2, 29, v2
	v_lshlrev_b64 v[4:5], v4, v[94:95]
	s_delay_alu instid0(VALU_DEP_1)
	v_and_b32_e32 v94, 7, v4
; %bb.680:                              ;   in Loop: Header=BB281_11 Depth=1
	s_or_b32 exec_lo, exec_lo, s21
	v_dual_mov_b32 v60, v95 :: v_dual_lshlrev_b32 v3, 24, v3
	s_delay_alu instid0(VALU_DEP_2) | instskip(SKIP_1) | instid1(VALU_DEP_3)
	v_lshlrev_b32_e32 v4, 20, v94
	v_lshl_add_u32 v2, v2, 23, 0x3c000000
	v_and_b32_e32 v3, 0x80000000, v3
	s_delay_alu instid0(VALU_DEP_1)
	v_or3_b32 v61, v4, v3, v2
.LBB281_681:                            ;   in Loop: Header=BB281_11 Depth=1
	s_or_b32 exec_lo, exec_lo, s8
.LBB281_682:                            ;   in Loop: Header=BB281_11 Depth=1
	s_delay_alu instid0(SALU_CYCLE_1)
	s_or_b32 exec_lo, exec_lo, s20
.LBB281_683:                            ;   in Loop: Header=BB281_11 Depth=1
	s_delay_alu instid0(SALU_CYCLE_1) | instskip(SKIP_4) | instid1(VALU_DEP_1)
	s_or_b32 exec_lo, exec_lo, s19
	flat_load_b32 v2, v[152:153] offset:2564
	v_mov_b32_e32 v72, 0
	v_mov_b32_e32 v73, 0
	s_mov_b32 s8, exec_lo
	v_dual_mov_b32 v75, v73 :: v_dual_mov_b32 v74, v72
	s_waitcnt vmcnt(0) lgkmcnt(0)
	v_and_b32_e32 v3, 0xff, v2
	s_delay_alu instid0(VALU_DEP_1)
	v_cmpx_ne_u16_e32 0, v3
	s_cbranch_execz .LBB281_691
; %bb.684:                              ;   in Loop: Header=BB281_11 Depth=1
	v_bfrev_b32_e32 v74, 1
	v_mov_b32_e32 v75, 0
	s_mov_b32 s19, exec_lo
	v_cmpx_ne_u16_e32 0x80, v3
	s_cbranch_execz .LBB281_690
; %bb.685:                              ;   in Loop: Header=BB281_11 Depth=1
	v_mov_b32_e32 v74, 0x7f800001
	v_dual_mov_b32 v75, 0 :: v_dual_and_b32 v4, 0x7f, v2
	s_mov_b32 s20, exec_lo
	s_delay_alu instid0(VALU_DEP_1)
	v_cmpx_ne_u32_e32 0x7f, v4
	s_cbranch_execz .LBB281_689
; %bb.686:                              ;   in Loop: Header=BB281_11 Depth=1
	v_and_b32_e32 v94, 7, v2
	v_lshrrev_b32_e32 v3, 3, v4
	s_mov_b32 s21, exec_lo
	v_cmpx_gt_u32_e32 8, v4
; %bb.687:                              ;   in Loop: Header=BB281_11 Depth=1
	s_delay_alu instid0(VALU_DEP_3) | instskip(NEXT) | instid1(VALU_DEP_1)
	v_clz_i32_u32_e32 v3, v94
	v_min_u32_e32 v3, 32, v3
	s_delay_alu instid0(VALU_DEP_1) | instskip(SKIP_1) | instid1(VALU_DEP_2)
	v_subrev_nc_u32_e32 v4, 28, v3
	v_sub_nc_u32_e32 v3, 29, v3
	v_lshlrev_b64 v[4:5], v4, v[94:95]
	s_delay_alu instid0(VALU_DEP_1)
	v_and_b32_e32 v94, 7, v4
; %bb.688:                              ;   in Loop: Header=BB281_11 Depth=1
	s_or_b32 exec_lo, exec_lo, s21
	v_lshlrev_b32_e32 v4, 24, v2
	s_delay_alu instid0(VALU_DEP_2) | instskip(SKIP_1) | instid1(VALU_DEP_3)
	v_lshlrev_b32_e32 v5, 20, v94
	v_lshl_add_u32 v3, v3, 23, 0x3c000000
	v_and_b32_e32 v4, 0x80000000, v4
	s_delay_alu instid0(VALU_DEP_1) | instskip(NEXT) | instid1(VALU_DEP_1)
	v_or3_b32 v94, v5, v4, v3
	v_dual_mov_b32 v74, v94 :: v_dual_mov_b32 v75, v95
.LBB281_689:                            ;   in Loop: Header=BB281_11 Depth=1
	s_or_b32 exec_lo, exec_lo, s20
.LBB281_690:                            ;   in Loop: Header=BB281_11 Depth=1
	s_delay_alu instid0(SALU_CYCLE_1)
	s_or_b32 exec_lo, exec_lo, s19
.LBB281_691:                            ;   in Loop: Header=BB281_11 Depth=1
	s_delay_alu instid0(SALU_CYCLE_1) | instskip(SKIP_2) | instid1(VALU_DEP_1)
	s_or_b32 exec_lo, exec_lo, s8
	v_lshrrev_b16 v3, 8, v2
	s_mov_b32 s19, exec_lo
	v_cmpx_ne_u16_e32 0, v3
	s_cbranch_execz .LBB281_699
; %bb.692:                              ;   in Loop: Header=BB281_11 Depth=1
	v_dual_mov_b32 v73, s3 :: v_dual_mov_b32 v72, s2
	s_mov_b32 s20, exec_lo
	v_cmpx_ne_u16_e32 0x80, v3
	s_cbranch_execz .LBB281_698
; %bb.693:                              ;   in Loop: Header=BB281_11 Depth=1
	s_mov_b32 s8, s2
	v_and_b32_e32 v3, 0xffff, v3
	v_dual_mov_b32 v73, s9 :: v_dual_mov_b32 v72, s8
	s_mov_b32 s8, exec_lo
	s_delay_alu instid0(VALU_DEP_2) | instskip(NEXT) | instid1(VALU_DEP_1)
	v_and_b32_e32 v4, 0x7f, v3
	v_cmpx_ne_u32_e32 0x7f, v4
	s_cbranch_execz .LBB281_697
; %bb.694:                              ;   in Loop: Header=BB281_11 Depth=1
	v_and_b32_e32 v94, 7, v3
	v_lshrrev_b32_e32 v3, 3, v4
	s_mov_b32 s21, exec_lo
	v_cmpx_gt_u32_e32 8, v4
; %bb.695:                              ;   in Loop: Header=BB281_11 Depth=1
	s_delay_alu instid0(VALU_DEP_3) | instskip(NEXT) | instid1(VALU_DEP_1)
	v_clz_i32_u32_e32 v3, v94
	v_min_u32_e32 v3, 32, v3
	s_delay_alu instid0(VALU_DEP_1) | instskip(SKIP_1) | instid1(VALU_DEP_2)
	v_subrev_nc_u32_e32 v4, 28, v3
	v_sub_nc_u32_e32 v3, 29, v3
	v_lshlrev_b64 v[4:5], v4, v[94:95]
	s_delay_alu instid0(VALU_DEP_1)
	v_and_b32_e32 v94, 7, v4
; %bb.696:                              ;   in Loop: Header=BB281_11 Depth=1
	s_or_b32 exec_lo, exec_lo, s21
	v_lshlrev_b32_e32 v4, 16, v2
	s_delay_alu instid0(VALU_DEP_2) | instskip(SKIP_1) | instid1(VALU_DEP_3)
	v_dual_mov_b32 v72, v95 :: v_dual_lshlrev_b32 v5, 20, v94
	v_lshl_add_u32 v3, v3, 23, 0x3c000000
	v_and_b32_e32 v4, 0x80000000, v4
	s_delay_alu instid0(VALU_DEP_1)
	v_or3_b32 v73, v5, v4, v3
.LBB281_697:                            ;   in Loop: Header=BB281_11 Depth=1
	s_or_b32 exec_lo, exec_lo, s8
.LBB281_698:                            ;   in Loop: Header=BB281_11 Depth=1
	s_delay_alu instid0(SALU_CYCLE_1)
	s_or_b32 exec_lo, exec_lo, s20
.LBB281_699:                            ;   in Loop: Header=BB281_11 Depth=1
	s_delay_alu instid0(SALU_CYCLE_1) | instskip(SKIP_4) | instid1(VALU_DEP_1)
	s_or_b32 exec_lo, exec_lo, s19
	v_mov_b32_e32 v76, 0
	v_lshrrev_b32_e32 v3, 16, v2
	v_mov_b32_e32 v77, 0
	s_mov_b32 s8, exec_lo
	v_dual_mov_b32 v79, v77 :: v_dual_and_b32 v4, 0xff, v3
	v_mov_b32_e32 v78, v76
	s_delay_alu instid0(VALU_DEP_2)
	v_cmpx_ne_u16_e32 0, v4
	s_cbranch_execz .LBB281_707
; %bb.700:                              ;   in Loop: Header=BB281_11 Depth=1
	v_bfrev_b32_e32 v78, 1
	v_mov_b32_e32 v79, 0
	s_mov_b32 s19, exec_lo
	v_cmpx_ne_u16_e32 0x80, v4
	s_cbranch_execz .LBB281_706
; %bb.701:                              ;   in Loop: Header=BB281_11 Depth=1
	v_mov_b32_e32 v78, 0x7f800001
	v_bfe_u32 v5, v2, 16, 7
	v_mov_b32_e32 v79, 0
	s_mov_b32 s20, exec_lo
	s_delay_alu instid0(VALU_DEP_2)
	v_cmpx_ne_u32_e32 0x7f, v5
	s_cbranch_execz .LBB281_705
; %bb.702:                              ;   in Loop: Header=BB281_11 Depth=1
	v_and_b32_e32 v94, 7, v3
	v_lshrrev_b32_e32 v4, 3, v5
	s_mov_b32 s21, exec_lo
	v_cmpx_gt_u32_e32 8, v5
; %bb.703:                              ;   in Loop: Header=BB281_11 Depth=1
	s_delay_alu instid0(VALU_DEP_3) | instskip(NEXT) | instid1(VALU_DEP_1)
	v_clz_i32_u32_e32 v4, v94
	v_min_u32_e32 v4, 32, v4
	s_delay_alu instid0(VALU_DEP_1) | instskip(SKIP_1) | instid1(VALU_DEP_2)
	v_subrev_nc_u32_e32 v5, 28, v4
	v_sub_nc_u32_e32 v4, 29, v4
	v_lshlrev_b64 v[8:9], v5, v[94:95]
	s_delay_alu instid0(VALU_DEP_1)
	v_and_b32_e32 v94, 7, v8
; %bb.704:                              ;   in Loop: Header=BB281_11 Depth=1
	s_or_b32 exec_lo, exec_lo, s21
	v_lshlrev_b32_e32 v3, 24, v3
	s_delay_alu instid0(VALU_DEP_2) | instskip(SKIP_1) | instid1(VALU_DEP_3)
	v_lshlrev_b32_e32 v5, 20, v94
	v_lshl_add_u32 v4, v4, 23, 0x3c000000
	v_and_b32_e32 v3, 0x80000000, v3
	s_delay_alu instid0(VALU_DEP_1) | instskip(NEXT) | instid1(VALU_DEP_1)
	v_or3_b32 v94, v5, v3, v4
	v_dual_mov_b32 v78, v94 :: v_dual_mov_b32 v79, v95
.LBB281_705:                            ;   in Loop: Header=BB281_11 Depth=1
	s_or_b32 exec_lo, exec_lo, s20
.LBB281_706:                            ;   in Loop: Header=BB281_11 Depth=1
	s_delay_alu instid0(SALU_CYCLE_1)
	s_or_b32 exec_lo, exec_lo, s19
.LBB281_707:                            ;   in Loop: Header=BB281_11 Depth=1
	s_delay_alu instid0(SALU_CYCLE_1) | instskip(NEXT) | instid1(SALU_CYCLE_1)
	s_or_b32 exec_lo, exec_lo, s8
	s_mov_b32 s19, exec_lo
	v_cmpx_lt_u32_e32 0xffffff, v2
	s_cbranch_execz .LBB281_715
; %bb.708:                              ;   in Loop: Header=BB281_11 Depth=1
	v_lshrrev_b32_e32 v3, 24, v2
	v_dual_mov_b32 v77, s3 :: v_dual_mov_b32 v76, s2
	s_mov_b32 s20, exec_lo
	s_delay_alu instid0(VALU_DEP_2)
	v_cmpx_ne_u32_e32 0x80, v3
	s_cbranch_execz .LBB281_714
; %bb.709:                              ;   in Loop: Header=BB281_11 Depth=1
	s_mov_b32 s8, s2
	v_bfe_u32 v4, v2, 24, 7
	v_dual_mov_b32 v77, s9 :: v_dual_mov_b32 v76, s8
	s_mov_b32 s8, exec_lo
	s_delay_alu instid0(VALU_DEP_2)
	v_cmpx_ne_u32_e32 0x7f, v4
	s_cbranch_execz .LBB281_713
; %bb.710:                              ;   in Loop: Header=BB281_11 Depth=1
	v_and_b32_e32 v94, 7, v3
	v_lshrrev_b32_e32 v2, 3, v4
	s_mov_b32 s21, exec_lo
	v_cmpx_gt_u32_e32 8, v4
; %bb.711:                              ;   in Loop: Header=BB281_11 Depth=1
	s_delay_alu instid0(VALU_DEP_3) | instskip(NEXT) | instid1(VALU_DEP_1)
	v_clz_i32_u32_e32 v2, v94
	v_min_u32_e32 v2, 32, v2
	s_delay_alu instid0(VALU_DEP_1) | instskip(SKIP_1) | instid1(VALU_DEP_2)
	v_subrev_nc_u32_e32 v4, 28, v2
	v_sub_nc_u32_e32 v2, 29, v2
	v_lshlrev_b64 v[4:5], v4, v[94:95]
	s_delay_alu instid0(VALU_DEP_1)
	v_and_b32_e32 v94, 7, v4
; %bb.712:                              ;   in Loop: Header=BB281_11 Depth=1
	s_or_b32 exec_lo, exec_lo, s21
	v_dual_mov_b32 v76, v95 :: v_dual_lshlrev_b32 v3, 24, v3
	s_delay_alu instid0(VALU_DEP_2) | instskip(SKIP_1) | instid1(VALU_DEP_3)
	v_lshlrev_b32_e32 v4, 20, v94
	v_lshl_add_u32 v2, v2, 23, 0x3c000000
	v_and_b32_e32 v3, 0x80000000, v3
	s_delay_alu instid0(VALU_DEP_1)
	v_or3_b32 v77, v4, v3, v2
.LBB281_713:                            ;   in Loop: Header=BB281_11 Depth=1
	s_or_b32 exec_lo, exec_lo, s8
.LBB281_714:                            ;   in Loop: Header=BB281_11 Depth=1
	s_delay_alu instid0(SALU_CYCLE_1)
	s_or_b32 exec_lo, exec_lo, s20
.LBB281_715:                            ;   in Loop: Header=BB281_11 Depth=1
	s_delay_alu instid0(SALU_CYCLE_1) | instskip(SKIP_4) | instid1(VALU_DEP_1)
	s_or_b32 exec_lo, exec_lo, s19
	flat_load_b32 v2, v[152:153] offset:2568
	v_mov_b32_e32 v88, 0
	v_mov_b32_e32 v89, 0
	s_mov_b32 s8, exec_lo
	v_dual_mov_b32 v91, v89 :: v_dual_mov_b32 v90, v88
	s_waitcnt vmcnt(0) lgkmcnt(0)
	v_and_b32_e32 v3, 0xff, v2
	s_delay_alu instid0(VALU_DEP_1)
	v_cmpx_ne_u16_e32 0, v3
	s_cbranch_execz .LBB281_723
; %bb.716:                              ;   in Loop: Header=BB281_11 Depth=1
	v_bfrev_b32_e32 v90, 1
	v_mov_b32_e32 v91, 0
	s_mov_b32 s19, exec_lo
	v_cmpx_ne_u16_e32 0x80, v3
	s_cbranch_execz .LBB281_722
; %bb.717:                              ;   in Loop: Header=BB281_11 Depth=1
	v_mov_b32_e32 v90, 0x7f800001
	v_dual_mov_b32 v91, 0 :: v_dual_and_b32 v4, 0x7f, v2
	s_mov_b32 s20, exec_lo
	s_delay_alu instid0(VALU_DEP_1)
	v_cmpx_ne_u32_e32 0x7f, v4
	s_cbranch_execz .LBB281_721
; %bb.718:                              ;   in Loop: Header=BB281_11 Depth=1
	v_and_b32_e32 v94, 7, v2
	v_lshrrev_b32_e32 v3, 3, v4
	s_mov_b32 s21, exec_lo
	v_cmpx_gt_u32_e32 8, v4
; %bb.719:                              ;   in Loop: Header=BB281_11 Depth=1
	s_delay_alu instid0(VALU_DEP_3) | instskip(NEXT) | instid1(VALU_DEP_1)
	v_clz_i32_u32_e32 v3, v94
	v_min_u32_e32 v3, 32, v3
	s_delay_alu instid0(VALU_DEP_1) | instskip(SKIP_1) | instid1(VALU_DEP_2)
	v_subrev_nc_u32_e32 v4, 28, v3
	v_sub_nc_u32_e32 v3, 29, v3
	v_lshlrev_b64 v[4:5], v4, v[94:95]
	s_delay_alu instid0(VALU_DEP_1)
	v_and_b32_e32 v94, 7, v4
; %bb.720:                              ;   in Loop: Header=BB281_11 Depth=1
	s_or_b32 exec_lo, exec_lo, s21
	v_lshlrev_b32_e32 v4, 24, v2
	s_delay_alu instid0(VALU_DEP_2) | instskip(SKIP_1) | instid1(VALU_DEP_3)
	v_lshlrev_b32_e32 v5, 20, v94
	v_lshl_add_u32 v3, v3, 23, 0x3c000000
	v_and_b32_e32 v4, 0x80000000, v4
	s_delay_alu instid0(VALU_DEP_1) | instskip(NEXT) | instid1(VALU_DEP_1)
	v_or3_b32 v94, v5, v4, v3
	v_dual_mov_b32 v90, v94 :: v_dual_mov_b32 v91, v95
.LBB281_721:                            ;   in Loop: Header=BB281_11 Depth=1
	s_or_b32 exec_lo, exec_lo, s20
.LBB281_722:                            ;   in Loop: Header=BB281_11 Depth=1
	s_delay_alu instid0(SALU_CYCLE_1)
	s_or_b32 exec_lo, exec_lo, s19
.LBB281_723:                            ;   in Loop: Header=BB281_11 Depth=1
	s_delay_alu instid0(SALU_CYCLE_1) | instskip(SKIP_2) | instid1(VALU_DEP_1)
	s_or_b32 exec_lo, exec_lo, s8
	v_lshrrev_b16 v3, 8, v2
	s_mov_b32 s19, exec_lo
	v_cmpx_ne_u16_e32 0, v3
	s_cbranch_execz .LBB281_731
; %bb.724:                              ;   in Loop: Header=BB281_11 Depth=1
	v_dual_mov_b32 v89, s3 :: v_dual_mov_b32 v88, s2
	s_mov_b32 s20, exec_lo
	v_cmpx_ne_u16_e32 0x80, v3
	s_cbranch_execz .LBB281_730
; %bb.725:                              ;   in Loop: Header=BB281_11 Depth=1
	s_mov_b32 s8, s2
	v_and_b32_e32 v3, 0xffff, v3
	v_dual_mov_b32 v89, s9 :: v_dual_mov_b32 v88, s8
	s_mov_b32 s8, exec_lo
	s_delay_alu instid0(VALU_DEP_2) | instskip(NEXT) | instid1(VALU_DEP_1)
	v_and_b32_e32 v4, 0x7f, v3
	v_cmpx_ne_u32_e32 0x7f, v4
	s_cbranch_execz .LBB281_729
; %bb.726:                              ;   in Loop: Header=BB281_11 Depth=1
	v_and_b32_e32 v94, 7, v3
	v_lshrrev_b32_e32 v3, 3, v4
	s_mov_b32 s21, exec_lo
	v_cmpx_gt_u32_e32 8, v4
; %bb.727:                              ;   in Loop: Header=BB281_11 Depth=1
	s_delay_alu instid0(VALU_DEP_3) | instskip(NEXT) | instid1(VALU_DEP_1)
	v_clz_i32_u32_e32 v3, v94
	v_min_u32_e32 v3, 32, v3
	s_delay_alu instid0(VALU_DEP_1) | instskip(SKIP_1) | instid1(VALU_DEP_2)
	v_subrev_nc_u32_e32 v4, 28, v3
	v_sub_nc_u32_e32 v3, 29, v3
	v_lshlrev_b64 v[4:5], v4, v[94:95]
	s_delay_alu instid0(VALU_DEP_1)
	v_and_b32_e32 v94, 7, v4
; %bb.728:                              ;   in Loop: Header=BB281_11 Depth=1
	s_or_b32 exec_lo, exec_lo, s21
	v_lshlrev_b32_e32 v4, 16, v2
	s_delay_alu instid0(VALU_DEP_2) | instskip(SKIP_1) | instid1(VALU_DEP_3)
	v_dual_mov_b32 v88, v95 :: v_dual_lshlrev_b32 v5, 20, v94
	v_lshl_add_u32 v3, v3, 23, 0x3c000000
	v_and_b32_e32 v4, 0x80000000, v4
	s_delay_alu instid0(VALU_DEP_1)
	v_or3_b32 v89, v5, v4, v3
.LBB281_729:                            ;   in Loop: Header=BB281_11 Depth=1
	s_or_b32 exec_lo, exec_lo, s8
.LBB281_730:                            ;   in Loop: Header=BB281_11 Depth=1
	s_delay_alu instid0(SALU_CYCLE_1)
	s_or_b32 exec_lo, exec_lo, s20
.LBB281_731:                            ;   in Loop: Header=BB281_11 Depth=1
	s_delay_alu instid0(SALU_CYCLE_1) | instskip(SKIP_4) | instid1(VALU_DEP_1)
	s_or_b32 exec_lo, exec_lo, s19
	v_mov_b32_e32 v20, 0
	v_lshrrev_b32_e32 v3, 16, v2
	v_mov_b32_e32 v21, 0
	s_mov_b32 s8, exec_lo
	v_dual_mov_b32 v25, v21 :: v_dual_and_b32 v4, 0xff, v3
	v_mov_b32_e32 v24, v20
	s_delay_alu instid0(VALU_DEP_2)
	v_cmpx_ne_u16_e32 0, v4
	s_cbranch_execz .LBB281_739
; %bb.732:                              ;   in Loop: Header=BB281_11 Depth=1
	v_bfrev_b32_e32 v24, 1
	v_mov_b32_e32 v25, 0
	s_mov_b32 s19, exec_lo
	v_cmpx_ne_u16_e32 0x80, v4
	s_cbranch_execz .LBB281_738
; %bb.733:                              ;   in Loop: Header=BB281_11 Depth=1
	v_mov_b32_e32 v24, 0x7f800001
	v_bfe_u32 v5, v2, 16, 7
	v_mov_b32_e32 v25, 0
	s_mov_b32 s20, exec_lo
	s_delay_alu instid0(VALU_DEP_2)
	v_cmpx_ne_u32_e32 0x7f, v5
	s_cbranch_execz .LBB281_737
; %bb.734:                              ;   in Loop: Header=BB281_11 Depth=1
	v_and_b32_e32 v94, 7, v3
	v_lshrrev_b32_e32 v4, 3, v5
	s_mov_b32 s21, exec_lo
	v_cmpx_gt_u32_e32 8, v5
; %bb.735:                              ;   in Loop: Header=BB281_11 Depth=1
	s_delay_alu instid0(VALU_DEP_3) | instskip(NEXT) | instid1(VALU_DEP_1)
	v_clz_i32_u32_e32 v4, v94
	v_min_u32_e32 v4, 32, v4
	s_delay_alu instid0(VALU_DEP_1) | instskip(SKIP_1) | instid1(VALU_DEP_2)
	v_subrev_nc_u32_e32 v5, 28, v4
	v_sub_nc_u32_e32 v4, 29, v4
	v_lshlrev_b64 v[8:9], v5, v[94:95]
	s_delay_alu instid0(VALU_DEP_1)
	v_and_b32_e32 v94, 7, v8
; %bb.736:                              ;   in Loop: Header=BB281_11 Depth=1
	s_or_b32 exec_lo, exec_lo, s21
	v_lshlrev_b32_e32 v3, 24, v3
	s_delay_alu instid0(VALU_DEP_2) | instskip(SKIP_1) | instid1(VALU_DEP_3)
	v_lshlrev_b32_e32 v5, 20, v94
	v_lshl_add_u32 v4, v4, 23, 0x3c000000
	v_and_b32_e32 v3, 0x80000000, v3
	s_delay_alu instid0(VALU_DEP_1) | instskip(NEXT) | instid1(VALU_DEP_1)
	v_or3_b32 v94, v5, v3, v4
	v_dual_mov_b32 v24, v94 :: v_dual_mov_b32 v25, v95
.LBB281_737:                            ;   in Loop: Header=BB281_11 Depth=1
	s_or_b32 exec_lo, exec_lo, s20
.LBB281_738:                            ;   in Loop: Header=BB281_11 Depth=1
	s_delay_alu instid0(SALU_CYCLE_1)
	s_or_b32 exec_lo, exec_lo, s19
.LBB281_739:                            ;   in Loop: Header=BB281_11 Depth=1
	s_delay_alu instid0(SALU_CYCLE_1) | instskip(NEXT) | instid1(SALU_CYCLE_1)
	s_or_b32 exec_lo, exec_lo, s8
	s_mov_b32 s19, exec_lo
	v_cmpx_lt_u32_e32 0xffffff, v2
	s_cbranch_execz .LBB281_747
; %bb.740:                              ;   in Loop: Header=BB281_11 Depth=1
	v_lshrrev_b32_e32 v3, 24, v2
	v_dual_mov_b32 v21, s3 :: v_dual_mov_b32 v20, s2
	s_mov_b32 s20, exec_lo
	s_delay_alu instid0(VALU_DEP_2)
	v_cmpx_ne_u32_e32 0x80, v3
	s_cbranch_execz .LBB281_746
; %bb.741:                              ;   in Loop: Header=BB281_11 Depth=1
	s_mov_b32 s8, s2
	v_bfe_u32 v4, v2, 24, 7
	v_dual_mov_b32 v21, s9 :: v_dual_mov_b32 v20, s8
	s_mov_b32 s8, exec_lo
	s_delay_alu instid0(VALU_DEP_2)
	v_cmpx_ne_u32_e32 0x7f, v4
	s_cbranch_execz .LBB281_745
; %bb.742:                              ;   in Loop: Header=BB281_11 Depth=1
	v_and_b32_e32 v94, 7, v3
	v_lshrrev_b32_e32 v2, 3, v4
	s_mov_b32 s21, exec_lo
	v_cmpx_gt_u32_e32 8, v4
; %bb.743:                              ;   in Loop: Header=BB281_11 Depth=1
	s_delay_alu instid0(VALU_DEP_3) | instskip(NEXT) | instid1(VALU_DEP_1)
	v_clz_i32_u32_e32 v2, v94
	v_min_u32_e32 v2, 32, v2
	s_delay_alu instid0(VALU_DEP_1) | instskip(SKIP_1) | instid1(VALU_DEP_2)
	v_subrev_nc_u32_e32 v4, 28, v2
	v_sub_nc_u32_e32 v2, 29, v2
	v_lshlrev_b64 v[4:5], v4, v[94:95]
	s_delay_alu instid0(VALU_DEP_1)
	v_and_b32_e32 v94, 7, v4
; %bb.744:                              ;   in Loop: Header=BB281_11 Depth=1
	s_or_b32 exec_lo, exec_lo, s21
	v_dual_mov_b32 v20, v95 :: v_dual_lshlrev_b32 v3, 24, v3
	s_delay_alu instid0(VALU_DEP_2) | instskip(SKIP_1) | instid1(VALU_DEP_3)
	v_lshlrev_b32_e32 v4, 20, v94
	v_lshl_add_u32 v2, v2, 23, 0x3c000000
	v_and_b32_e32 v3, 0x80000000, v3
	s_delay_alu instid0(VALU_DEP_1)
	v_or3_b32 v21, v4, v3, v2
.LBB281_745:                            ;   in Loop: Header=BB281_11 Depth=1
	s_or_b32 exec_lo, exec_lo, s8
.LBB281_746:                            ;   in Loop: Header=BB281_11 Depth=1
	s_delay_alu instid0(SALU_CYCLE_1)
	s_or_b32 exec_lo, exec_lo, s20
.LBB281_747:                            ;   in Loop: Header=BB281_11 Depth=1
	s_delay_alu instid0(SALU_CYCLE_1) | instskip(SKIP_4) | instid1(VALU_DEP_1)
	s_or_b32 exec_lo, exec_lo, s19
	flat_load_b32 v2, v[152:153] offset:2572
	v_mov_b32_e32 v108, 0
	v_mov_b32_e32 v109, 0
	s_mov_b32 s8, exec_lo
	v_dual_mov_b32 v121, v109 :: v_dual_mov_b32 v120, v108
	s_waitcnt vmcnt(0) lgkmcnt(0)
	v_and_b32_e32 v3, 0xff, v2
	s_delay_alu instid0(VALU_DEP_1)
	v_cmpx_ne_u16_e32 0, v3
	s_cbranch_execz .LBB281_755
; %bb.748:                              ;   in Loop: Header=BB281_11 Depth=1
	v_bfrev_b32_e32 v120, 1
	v_mov_b32_e32 v121, 0
	s_mov_b32 s19, exec_lo
	v_cmpx_ne_u16_e32 0x80, v3
	s_cbranch_execz .LBB281_754
; %bb.749:                              ;   in Loop: Header=BB281_11 Depth=1
	v_mov_b32_e32 v120, 0x7f800001
	v_dual_mov_b32 v121, 0 :: v_dual_and_b32 v4, 0x7f, v2
	s_mov_b32 s20, exec_lo
	s_delay_alu instid0(VALU_DEP_1)
	v_cmpx_ne_u32_e32 0x7f, v4
	s_cbranch_execz .LBB281_753
; %bb.750:                              ;   in Loop: Header=BB281_11 Depth=1
	v_and_b32_e32 v94, 7, v2
	v_lshrrev_b32_e32 v3, 3, v4
	s_mov_b32 s21, exec_lo
	v_cmpx_gt_u32_e32 8, v4
; %bb.751:                              ;   in Loop: Header=BB281_11 Depth=1
	s_delay_alu instid0(VALU_DEP_3) | instskip(NEXT) | instid1(VALU_DEP_1)
	v_clz_i32_u32_e32 v3, v94
	v_min_u32_e32 v3, 32, v3
	s_delay_alu instid0(VALU_DEP_1) | instskip(SKIP_1) | instid1(VALU_DEP_2)
	v_subrev_nc_u32_e32 v4, 28, v3
	v_sub_nc_u32_e32 v3, 29, v3
	v_lshlrev_b64 v[4:5], v4, v[94:95]
	s_delay_alu instid0(VALU_DEP_1)
	v_and_b32_e32 v94, 7, v4
; %bb.752:                              ;   in Loop: Header=BB281_11 Depth=1
	s_or_b32 exec_lo, exec_lo, s21
	v_lshlrev_b32_e32 v4, 24, v2
	s_delay_alu instid0(VALU_DEP_2) | instskip(SKIP_1) | instid1(VALU_DEP_3)
	v_lshlrev_b32_e32 v5, 20, v94
	v_lshl_add_u32 v3, v3, 23, 0x3c000000
	v_and_b32_e32 v4, 0x80000000, v4
	s_delay_alu instid0(VALU_DEP_1) | instskip(NEXT) | instid1(VALU_DEP_1)
	v_or3_b32 v94, v5, v4, v3
	v_dual_mov_b32 v121, v95 :: v_dual_mov_b32 v120, v94
.LBB281_753:                            ;   in Loop: Header=BB281_11 Depth=1
	s_or_b32 exec_lo, exec_lo, s20
.LBB281_754:                            ;   in Loop: Header=BB281_11 Depth=1
	s_delay_alu instid0(SALU_CYCLE_1)
	s_or_b32 exec_lo, exec_lo, s19
.LBB281_755:                            ;   in Loop: Header=BB281_11 Depth=1
	s_delay_alu instid0(SALU_CYCLE_1) | instskip(SKIP_2) | instid1(VALU_DEP_1)
	s_or_b32 exec_lo, exec_lo, s8
	v_lshrrev_b16 v3, 8, v2
	s_mov_b32 s19, exec_lo
	v_cmpx_ne_u16_e32 0, v3
	s_cbranch_execz .LBB281_763
; %bb.756:                              ;   in Loop: Header=BB281_11 Depth=1
	v_dual_mov_b32 v109, s3 :: v_dual_mov_b32 v108, s2
	s_mov_b32 s20, exec_lo
	v_cmpx_ne_u16_e32 0x80, v3
	s_cbranch_execz .LBB281_762
; %bb.757:                              ;   in Loop: Header=BB281_11 Depth=1
	s_mov_b32 s8, s2
	v_and_b32_e32 v3, 0xffff, v3
	v_dual_mov_b32 v109, s9 :: v_dual_mov_b32 v108, s8
	s_mov_b32 s8, exec_lo
	s_delay_alu instid0(VALU_DEP_2) | instskip(NEXT) | instid1(VALU_DEP_1)
	v_and_b32_e32 v4, 0x7f, v3
	v_cmpx_ne_u32_e32 0x7f, v4
	s_cbranch_execz .LBB281_761
; %bb.758:                              ;   in Loop: Header=BB281_11 Depth=1
	v_and_b32_e32 v94, 7, v3
	v_lshrrev_b32_e32 v3, 3, v4
	s_mov_b32 s21, exec_lo
	v_cmpx_gt_u32_e32 8, v4
; %bb.759:                              ;   in Loop: Header=BB281_11 Depth=1
	s_delay_alu instid0(VALU_DEP_3) | instskip(NEXT) | instid1(VALU_DEP_1)
	v_clz_i32_u32_e32 v3, v94
	v_min_u32_e32 v3, 32, v3
	s_delay_alu instid0(VALU_DEP_1) | instskip(SKIP_1) | instid1(VALU_DEP_2)
	v_subrev_nc_u32_e32 v4, 28, v3
	v_sub_nc_u32_e32 v3, 29, v3
	v_lshlrev_b64 v[4:5], v4, v[94:95]
	s_delay_alu instid0(VALU_DEP_1)
	v_and_b32_e32 v94, 7, v4
; %bb.760:                              ;   in Loop: Header=BB281_11 Depth=1
	s_or_b32 exec_lo, exec_lo, s21
	v_lshlrev_b32_e32 v4, 16, v2
	s_delay_alu instid0(VALU_DEP_2) | instskip(SKIP_1) | instid1(VALU_DEP_3)
	v_dual_mov_b32 v108, v95 :: v_dual_lshlrev_b32 v5, 20, v94
	v_lshl_add_u32 v3, v3, 23, 0x3c000000
	v_and_b32_e32 v4, 0x80000000, v4
	s_delay_alu instid0(VALU_DEP_1)
	v_or3_b32 v109, v5, v4, v3
.LBB281_761:                            ;   in Loop: Header=BB281_11 Depth=1
	s_or_b32 exec_lo, exec_lo, s8
.LBB281_762:                            ;   in Loop: Header=BB281_11 Depth=1
	s_delay_alu instid0(SALU_CYCLE_1)
	s_or_b32 exec_lo, exec_lo, s20
.LBB281_763:                            ;   in Loop: Header=BB281_11 Depth=1
	s_delay_alu instid0(SALU_CYCLE_1) | instskip(SKIP_4) | instid1(VALU_DEP_1)
	s_or_b32 exec_lo, exec_lo, s19
	v_mov_b32_e32 v124, 0
	v_lshrrev_b32_e32 v3, 16, v2
	v_mov_b32_e32 v125, 0
	s_mov_b32 s8, exec_lo
	v_dual_mov_b32 v137, v125 :: v_dual_and_b32 v4, 0xff, v3
	v_mov_b32_e32 v136, v124
	s_delay_alu instid0(VALU_DEP_2)
	v_cmpx_ne_u16_e32 0, v4
	s_cbranch_execz .LBB281_771
; %bb.764:                              ;   in Loop: Header=BB281_11 Depth=1
	v_bfrev_b32_e32 v136, 1
	v_mov_b32_e32 v137, 0
	s_mov_b32 s19, exec_lo
	v_cmpx_ne_u16_e32 0x80, v4
	s_cbranch_execz .LBB281_770
; %bb.765:                              ;   in Loop: Header=BB281_11 Depth=1
	v_mov_b32_e32 v136, 0x7f800001
	v_bfe_u32 v5, v2, 16, 7
	v_mov_b32_e32 v137, 0
	s_mov_b32 s20, exec_lo
	s_delay_alu instid0(VALU_DEP_2)
	v_cmpx_ne_u32_e32 0x7f, v5
	s_cbranch_execz .LBB281_769
; %bb.766:                              ;   in Loop: Header=BB281_11 Depth=1
	v_and_b32_e32 v94, 7, v3
	v_lshrrev_b32_e32 v4, 3, v5
	s_mov_b32 s21, exec_lo
	v_cmpx_gt_u32_e32 8, v5
; %bb.767:                              ;   in Loop: Header=BB281_11 Depth=1
	s_delay_alu instid0(VALU_DEP_3) | instskip(NEXT) | instid1(VALU_DEP_1)
	v_clz_i32_u32_e32 v4, v94
	v_min_u32_e32 v4, 32, v4
	s_delay_alu instid0(VALU_DEP_1) | instskip(SKIP_1) | instid1(VALU_DEP_2)
	v_subrev_nc_u32_e32 v5, 28, v4
	v_sub_nc_u32_e32 v4, 29, v4
	v_lshlrev_b64 v[8:9], v5, v[94:95]
	s_delay_alu instid0(VALU_DEP_1)
	v_and_b32_e32 v94, 7, v8
; %bb.768:                              ;   in Loop: Header=BB281_11 Depth=1
	s_or_b32 exec_lo, exec_lo, s21
	v_lshlrev_b32_e32 v3, 24, v3
	s_delay_alu instid0(VALU_DEP_2) | instskip(SKIP_1) | instid1(VALU_DEP_3)
	v_lshlrev_b32_e32 v5, 20, v94
	v_lshl_add_u32 v4, v4, 23, 0x3c000000
	v_and_b32_e32 v3, 0x80000000, v3
	s_delay_alu instid0(VALU_DEP_1) | instskip(NEXT) | instid1(VALU_DEP_1)
	v_or3_b32 v94, v5, v3, v4
	v_dual_mov_b32 v137, v95 :: v_dual_mov_b32 v136, v94
.LBB281_769:                            ;   in Loop: Header=BB281_11 Depth=1
	s_or_b32 exec_lo, exec_lo, s20
.LBB281_770:                            ;   in Loop: Header=BB281_11 Depth=1
	s_delay_alu instid0(SALU_CYCLE_1)
	s_or_b32 exec_lo, exec_lo, s19
.LBB281_771:                            ;   in Loop: Header=BB281_11 Depth=1
	s_delay_alu instid0(SALU_CYCLE_1) | instskip(NEXT) | instid1(SALU_CYCLE_1)
	s_or_b32 exec_lo, exec_lo, s8
	s_mov_b32 s19, exec_lo
	v_cmpx_lt_u32_e32 0xffffff, v2
	s_cbranch_execz .LBB281_779
; %bb.772:                              ;   in Loop: Header=BB281_11 Depth=1
	v_lshrrev_b32_e32 v3, 24, v2
	v_dual_mov_b32 v125, s3 :: v_dual_mov_b32 v124, s2
	s_mov_b32 s20, exec_lo
	s_delay_alu instid0(VALU_DEP_2)
	v_cmpx_ne_u32_e32 0x80, v3
	s_cbranch_execz .LBB281_778
; %bb.773:                              ;   in Loop: Header=BB281_11 Depth=1
	s_mov_b32 s8, s2
	v_bfe_u32 v4, v2, 24, 7
	v_dual_mov_b32 v125, s9 :: v_dual_mov_b32 v124, s8
	s_mov_b32 s8, exec_lo
	s_delay_alu instid0(VALU_DEP_2)
	v_cmpx_ne_u32_e32 0x7f, v4
	s_cbranch_execz .LBB281_777
; %bb.774:                              ;   in Loop: Header=BB281_11 Depth=1
	v_and_b32_e32 v94, 7, v3
	v_lshrrev_b32_e32 v2, 3, v4
	s_mov_b32 s21, exec_lo
	v_cmpx_gt_u32_e32 8, v4
; %bb.775:                              ;   in Loop: Header=BB281_11 Depth=1
	s_delay_alu instid0(VALU_DEP_3) | instskip(NEXT) | instid1(VALU_DEP_1)
	v_clz_i32_u32_e32 v2, v94
	v_min_u32_e32 v2, 32, v2
	s_delay_alu instid0(VALU_DEP_1) | instskip(SKIP_1) | instid1(VALU_DEP_2)
	v_subrev_nc_u32_e32 v4, 28, v2
	v_sub_nc_u32_e32 v2, 29, v2
	v_lshlrev_b64 v[4:5], v4, v[94:95]
	s_delay_alu instid0(VALU_DEP_1)
	v_and_b32_e32 v94, 7, v4
; %bb.776:                              ;   in Loop: Header=BB281_11 Depth=1
	s_or_b32 exec_lo, exec_lo, s21
	v_dual_mov_b32 v124, v95 :: v_dual_lshlrev_b32 v3, 24, v3
	s_delay_alu instid0(VALU_DEP_2) | instskip(SKIP_1) | instid1(VALU_DEP_3)
	v_lshlrev_b32_e32 v4, 20, v94
	v_lshl_add_u32 v2, v2, 23, 0x3c000000
	v_and_b32_e32 v3, 0x80000000, v3
	s_delay_alu instid0(VALU_DEP_1)
	v_or3_b32 v125, v4, v3, v2
.LBB281_777:                            ;   in Loop: Header=BB281_11 Depth=1
	s_or_b32 exec_lo, exec_lo, s8
.LBB281_778:                            ;   in Loop: Header=BB281_11 Depth=1
	s_delay_alu instid0(SALU_CYCLE_1)
	s_or_b32 exec_lo, exec_lo, s20
.LBB281_779:                            ;   in Loop: Header=BB281_11 Depth=1
	s_delay_alu instid0(SALU_CYCLE_1) | instskip(SKIP_4) | instid1(VALU_DEP_1)
	s_or_b32 exec_lo, exec_lo, s19
	flat_load_b32 v2, v[152:153] offset:3072
	v_mov_b32_e32 v140, 0
	v_mov_b32_e32 v141, 0
	s_mov_b32 s8, exec_lo
	v_dual_mov_b32 v155, v141 :: v_dual_mov_b32 v154, v140
	s_waitcnt vmcnt(0) lgkmcnt(0)
	v_and_b32_e32 v3, 0xff, v2
	s_delay_alu instid0(VALU_DEP_1)
	v_cmpx_ne_u16_e32 0, v3
	s_cbranch_execz .LBB281_787
; %bb.780:                              ;   in Loop: Header=BB281_11 Depth=1
	v_bfrev_b32_e32 v154, 1
	v_mov_b32_e32 v155, 0
	s_mov_b32 s19, exec_lo
	v_cmpx_ne_u16_e32 0x80, v3
	s_cbranch_execz .LBB281_786
; %bb.781:                              ;   in Loop: Header=BB281_11 Depth=1
	v_mov_b32_e32 v154, 0x7f800001
	v_dual_mov_b32 v155, 0 :: v_dual_and_b32 v4, 0x7f, v2
	s_mov_b32 s20, exec_lo
	s_delay_alu instid0(VALU_DEP_1)
	v_cmpx_ne_u32_e32 0x7f, v4
	s_cbranch_execz .LBB281_785
; %bb.782:                              ;   in Loop: Header=BB281_11 Depth=1
	v_and_b32_e32 v94, 7, v2
	v_lshrrev_b32_e32 v3, 3, v4
	s_mov_b32 s21, exec_lo
	v_cmpx_gt_u32_e32 8, v4
; %bb.783:                              ;   in Loop: Header=BB281_11 Depth=1
	s_delay_alu instid0(VALU_DEP_3) | instskip(NEXT) | instid1(VALU_DEP_1)
	v_clz_i32_u32_e32 v3, v94
	v_min_u32_e32 v3, 32, v3
	s_delay_alu instid0(VALU_DEP_1) | instskip(SKIP_1) | instid1(VALU_DEP_2)
	v_subrev_nc_u32_e32 v4, 28, v3
	v_sub_nc_u32_e32 v3, 29, v3
	v_lshlrev_b64 v[4:5], v4, v[94:95]
	s_delay_alu instid0(VALU_DEP_1)
	v_and_b32_e32 v94, 7, v4
; %bb.784:                              ;   in Loop: Header=BB281_11 Depth=1
	s_or_b32 exec_lo, exec_lo, s21
	v_lshlrev_b32_e32 v4, 24, v2
	s_delay_alu instid0(VALU_DEP_2) | instskip(SKIP_1) | instid1(VALU_DEP_3)
	v_lshlrev_b32_e32 v5, 20, v94
	v_lshl_add_u32 v3, v3, 23, 0x3c000000
	v_and_b32_e32 v4, 0x80000000, v4
	s_delay_alu instid0(VALU_DEP_1) | instskip(NEXT) | instid1(VALU_DEP_1)
	v_or3_b32 v94, v5, v4, v3
	v_dual_mov_b32 v155, v95 :: v_dual_mov_b32 v154, v94
.LBB281_785:                            ;   in Loop: Header=BB281_11 Depth=1
	s_or_b32 exec_lo, exec_lo, s20
.LBB281_786:                            ;   in Loop: Header=BB281_11 Depth=1
	s_delay_alu instid0(SALU_CYCLE_1)
	s_or_b32 exec_lo, exec_lo, s19
.LBB281_787:                            ;   in Loop: Header=BB281_11 Depth=1
	s_delay_alu instid0(SALU_CYCLE_1) | instskip(SKIP_2) | instid1(VALU_DEP_1)
	s_or_b32 exec_lo, exec_lo, s8
	v_lshrrev_b16 v3, 8, v2
	s_mov_b32 s19, exec_lo
	v_cmpx_ne_u16_e32 0, v3
	s_cbranch_execz .LBB281_795
; %bb.788:                              ;   in Loop: Header=BB281_11 Depth=1
	v_dual_mov_b32 v141, s3 :: v_dual_mov_b32 v140, s2
	s_mov_b32 s20, exec_lo
	v_cmpx_ne_u16_e32 0x80, v3
	s_cbranch_execz .LBB281_794
; %bb.789:                              ;   in Loop: Header=BB281_11 Depth=1
	s_mov_b32 s8, s2
	v_and_b32_e32 v3, 0xffff, v3
	v_dual_mov_b32 v141, s9 :: v_dual_mov_b32 v140, s8
	s_mov_b32 s8, exec_lo
	s_delay_alu instid0(VALU_DEP_2) | instskip(NEXT) | instid1(VALU_DEP_1)
	v_and_b32_e32 v4, 0x7f, v3
	v_cmpx_ne_u32_e32 0x7f, v4
	s_cbranch_execz .LBB281_793
; %bb.790:                              ;   in Loop: Header=BB281_11 Depth=1
	v_and_b32_e32 v94, 7, v3
	v_lshrrev_b32_e32 v3, 3, v4
	s_mov_b32 s21, exec_lo
	v_cmpx_gt_u32_e32 8, v4
; %bb.791:                              ;   in Loop: Header=BB281_11 Depth=1
	s_delay_alu instid0(VALU_DEP_3) | instskip(NEXT) | instid1(VALU_DEP_1)
	v_clz_i32_u32_e32 v3, v94
	v_min_u32_e32 v3, 32, v3
	s_delay_alu instid0(VALU_DEP_1) | instskip(SKIP_1) | instid1(VALU_DEP_2)
	v_subrev_nc_u32_e32 v4, 28, v3
	v_sub_nc_u32_e32 v3, 29, v3
	v_lshlrev_b64 v[4:5], v4, v[94:95]
	s_delay_alu instid0(VALU_DEP_1)
	v_and_b32_e32 v94, 7, v4
; %bb.792:                              ;   in Loop: Header=BB281_11 Depth=1
	s_or_b32 exec_lo, exec_lo, s21
	v_lshlrev_b32_e32 v4, 16, v2
	s_delay_alu instid0(VALU_DEP_2) | instskip(SKIP_1) | instid1(VALU_DEP_3)
	v_dual_mov_b32 v140, v95 :: v_dual_lshlrev_b32 v5, 20, v94
	v_lshl_add_u32 v3, v3, 23, 0x3c000000
	v_and_b32_e32 v4, 0x80000000, v4
	s_delay_alu instid0(VALU_DEP_1)
	v_or3_b32 v141, v5, v4, v3
.LBB281_793:                            ;   in Loop: Header=BB281_11 Depth=1
	s_or_b32 exec_lo, exec_lo, s8
.LBB281_794:                            ;   in Loop: Header=BB281_11 Depth=1
	s_delay_alu instid0(SALU_CYCLE_1)
	s_or_b32 exec_lo, exec_lo, s20
.LBB281_795:                            ;   in Loop: Header=BB281_11 Depth=1
	s_delay_alu instid0(SALU_CYCLE_1) | instskip(SKIP_4) | instid1(VALU_DEP_1)
	s_or_b32 exec_lo, exec_lo, s19
	v_mov_b32_e32 v168, 0
	v_lshrrev_b32_e32 v3, 16, v2
	v_mov_b32_e32 v169, 0
	s_mov_b32 s8, exec_lo
	v_dual_mov_b32 v173, v169 :: v_dual_and_b32 v4, 0xff, v3
	v_mov_b32_e32 v172, v168
	s_delay_alu instid0(VALU_DEP_2)
	v_cmpx_ne_u16_e32 0, v4
	s_cbranch_execz .LBB281_803
; %bb.796:                              ;   in Loop: Header=BB281_11 Depth=1
	v_bfrev_b32_e32 v172, 1
	v_mov_b32_e32 v173, 0
	s_mov_b32 s19, exec_lo
	v_cmpx_ne_u16_e32 0x80, v4
	s_cbranch_execz .LBB281_802
; %bb.797:                              ;   in Loop: Header=BB281_11 Depth=1
	v_mov_b32_e32 v172, 0x7f800001
	v_bfe_u32 v5, v2, 16, 7
	v_mov_b32_e32 v173, 0
	s_mov_b32 s20, exec_lo
	s_delay_alu instid0(VALU_DEP_2)
	v_cmpx_ne_u32_e32 0x7f, v5
	s_cbranch_execz .LBB281_801
; %bb.798:                              ;   in Loop: Header=BB281_11 Depth=1
	v_and_b32_e32 v94, 7, v3
	v_lshrrev_b32_e32 v4, 3, v5
	s_mov_b32 s21, exec_lo
	v_cmpx_gt_u32_e32 8, v5
; %bb.799:                              ;   in Loop: Header=BB281_11 Depth=1
	s_delay_alu instid0(VALU_DEP_3) | instskip(NEXT) | instid1(VALU_DEP_1)
	v_clz_i32_u32_e32 v4, v94
	v_min_u32_e32 v4, 32, v4
	s_delay_alu instid0(VALU_DEP_1) | instskip(SKIP_1) | instid1(VALU_DEP_2)
	v_subrev_nc_u32_e32 v5, 28, v4
	v_sub_nc_u32_e32 v4, 29, v4
	v_lshlrev_b64 v[8:9], v5, v[94:95]
	s_delay_alu instid0(VALU_DEP_1)
	v_and_b32_e32 v94, 7, v8
; %bb.800:                              ;   in Loop: Header=BB281_11 Depth=1
	s_or_b32 exec_lo, exec_lo, s21
	v_lshlrev_b32_e32 v3, 24, v3
	s_delay_alu instid0(VALU_DEP_2) | instskip(SKIP_1) | instid1(VALU_DEP_3)
	v_lshlrev_b32_e32 v5, 20, v94
	v_lshl_add_u32 v4, v4, 23, 0x3c000000
	v_and_b32_e32 v3, 0x80000000, v3
	s_delay_alu instid0(VALU_DEP_1) | instskip(NEXT) | instid1(VALU_DEP_1)
	v_or3_b32 v94, v5, v3, v4
	v_dual_mov_b32 v173, v95 :: v_dual_mov_b32 v172, v94
.LBB281_801:                            ;   in Loop: Header=BB281_11 Depth=1
	s_or_b32 exec_lo, exec_lo, s20
.LBB281_802:                            ;   in Loop: Header=BB281_11 Depth=1
	s_delay_alu instid0(SALU_CYCLE_1)
	s_or_b32 exec_lo, exec_lo, s19
.LBB281_803:                            ;   in Loop: Header=BB281_11 Depth=1
	s_delay_alu instid0(SALU_CYCLE_1) | instskip(NEXT) | instid1(SALU_CYCLE_1)
	s_or_b32 exec_lo, exec_lo, s8
	s_mov_b32 s19, exec_lo
	v_cmpx_lt_u32_e32 0xffffff, v2
	s_cbranch_execz .LBB281_811
; %bb.804:                              ;   in Loop: Header=BB281_11 Depth=1
	v_lshrrev_b32_e32 v3, 24, v2
	v_dual_mov_b32 v169, s3 :: v_dual_mov_b32 v168, s2
	s_mov_b32 s20, exec_lo
	s_delay_alu instid0(VALU_DEP_2)
	v_cmpx_ne_u32_e32 0x80, v3
	s_cbranch_execz .LBB281_810
; %bb.805:                              ;   in Loop: Header=BB281_11 Depth=1
	s_mov_b32 s8, s2
	v_bfe_u32 v4, v2, 24, 7
	v_dual_mov_b32 v169, s9 :: v_dual_mov_b32 v168, s8
	s_mov_b32 s8, exec_lo
	s_delay_alu instid0(VALU_DEP_2)
	v_cmpx_ne_u32_e32 0x7f, v4
	s_cbranch_execz .LBB281_809
; %bb.806:                              ;   in Loop: Header=BB281_11 Depth=1
	v_and_b32_e32 v94, 7, v3
	v_lshrrev_b32_e32 v2, 3, v4
	s_mov_b32 s21, exec_lo
	v_cmpx_gt_u32_e32 8, v4
; %bb.807:                              ;   in Loop: Header=BB281_11 Depth=1
	s_delay_alu instid0(VALU_DEP_3) | instskip(NEXT) | instid1(VALU_DEP_1)
	v_clz_i32_u32_e32 v2, v94
	v_min_u32_e32 v2, 32, v2
	s_delay_alu instid0(VALU_DEP_1) | instskip(SKIP_1) | instid1(VALU_DEP_2)
	v_subrev_nc_u32_e32 v4, 28, v2
	v_sub_nc_u32_e32 v2, 29, v2
	v_lshlrev_b64 v[4:5], v4, v[94:95]
	s_delay_alu instid0(VALU_DEP_1)
	v_and_b32_e32 v94, 7, v4
; %bb.808:                              ;   in Loop: Header=BB281_11 Depth=1
	s_or_b32 exec_lo, exec_lo, s21
	v_dual_mov_b32 v168, v95 :: v_dual_lshlrev_b32 v3, 24, v3
	s_delay_alu instid0(VALU_DEP_2) | instskip(SKIP_1) | instid1(VALU_DEP_3)
	v_lshlrev_b32_e32 v4, 20, v94
	v_lshl_add_u32 v2, v2, 23, 0x3c000000
	v_and_b32_e32 v3, 0x80000000, v3
	s_delay_alu instid0(VALU_DEP_1)
	v_or3_b32 v169, v4, v3, v2
.LBB281_809:                            ;   in Loop: Header=BB281_11 Depth=1
	s_or_b32 exec_lo, exec_lo, s8
.LBB281_810:                            ;   in Loop: Header=BB281_11 Depth=1
	s_delay_alu instid0(SALU_CYCLE_1)
	s_or_b32 exec_lo, exec_lo, s20
.LBB281_811:                            ;   in Loop: Header=BB281_11 Depth=1
	s_delay_alu instid0(SALU_CYCLE_1) | instskip(SKIP_4) | instid1(VALU_DEP_1)
	s_or_b32 exec_lo, exec_lo, s19
	flat_load_b32 v2, v[152:153] offset:3076
	v_mov_b32_e32 v184, 0
	v_mov_b32_e32 v185, 0
	s_mov_b32 s8, exec_lo
	v_dual_mov_b32 v189, v185 :: v_dual_mov_b32 v188, v184
	s_waitcnt vmcnt(0) lgkmcnt(0)
	v_and_b32_e32 v3, 0xff, v2
	s_delay_alu instid0(VALU_DEP_1)
	v_cmpx_ne_u16_e32 0, v3
	s_cbranch_execz .LBB281_819
; %bb.812:                              ;   in Loop: Header=BB281_11 Depth=1
	v_bfrev_b32_e32 v188, 1
	v_mov_b32_e32 v189, 0
	s_mov_b32 s19, exec_lo
	v_cmpx_ne_u16_e32 0x80, v3
	s_cbranch_execz .LBB281_818
; %bb.813:                              ;   in Loop: Header=BB281_11 Depth=1
	v_mov_b32_e32 v188, 0x7f800001
	v_dual_mov_b32 v189, 0 :: v_dual_and_b32 v4, 0x7f, v2
	s_mov_b32 s20, exec_lo
	s_delay_alu instid0(VALU_DEP_1)
	v_cmpx_ne_u32_e32 0x7f, v4
	s_cbranch_execz .LBB281_817
; %bb.814:                              ;   in Loop: Header=BB281_11 Depth=1
	v_and_b32_e32 v94, 7, v2
	v_lshrrev_b32_e32 v3, 3, v4
	s_mov_b32 s21, exec_lo
	v_cmpx_gt_u32_e32 8, v4
; %bb.815:                              ;   in Loop: Header=BB281_11 Depth=1
	s_delay_alu instid0(VALU_DEP_3) | instskip(NEXT) | instid1(VALU_DEP_1)
	v_clz_i32_u32_e32 v3, v94
	v_min_u32_e32 v3, 32, v3
	s_delay_alu instid0(VALU_DEP_1) | instskip(SKIP_1) | instid1(VALU_DEP_2)
	v_subrev_nc_u32_e32 v4, 28, v3
	v_sub_nc_u32_e32 v3, 29, v3
	v_lshlrev_b64 v[4:5], v4, v[94:95]
	s_delay_alu instid0(VALU_DEP_1)
	v_and_b32_e32 v94, 7, v4
; %bb.816:                              ;   in Loop: Header=BB281_11 Depth=1
	s_or_b32 exec_lo, exec_lo, s21
	v_lshlrev_b32_e32 v4, 24, v2
	s_delay_alu instid0(VALU_DEP_2) | instskip(SKIP_1) | instid1(VALU_DEP_3)
	v_lshlrev_b32_e32 v5, 20, v94
	v_lshl_add_u32 v3, v3, 23, 0x3c000000
	v_and_b32_e32 v4, 0x80000000, v4
	s_delay_alu instid0(VALU_DEP_1) | instskip(NEXT) | instid1(VALU_DEP_1)
	v_or3_b32 v94, v5, v4, v3
	v_dual_mov_b32 v189, v95 :: v_dual_mov_b32 v188, v94
.LBB281_817:                            ;   in Loop: Header=BB281_11 Depth=1
	s_or_b32 exec_lo, exec_lo, s20
.LBB281_818:                            ;   in Loop: Header=BB281_11 Depth=1
	s_delay_alu instid0(SALU_CYCLE_1)
	s_or_b32 exec_lo, exec_lo, s19
.LBB281_819:                            ;   in Loop: Header=BB281_11 Depth=1
	s_delay_alu instid0(SALU_CYCLE_1) | instskip(SKIP_2) | instid1(VALU_DEP_1)
	s_or_b32 exec_lo, exec_lo, s8
	v_lshrrev_b16 v3, 8, v2
	s_mov_b32 s19, exec_lo
	v_cmpx_ne_u16_e32 0, v3
	s_cbranch_execz .LBB281_827
; %bb.820:                              ;   in Loop: Header=BB281_11 Depth=1
	v_dual_mov_b32 v185, s3 :: v_dual_mov_b32 v184, s2
	s_mov_b32 s20, exec_lo
	v_cmpx_ne_u16_e32 0x80, v3
	s_cbranch_execz .LBB281_826
; %bb.821:                              ;   in Loop: Header=BB281_11 Depth=1
	s_mov_b32 s8, s2
	v_and_b32_e32 v3, 0xffff, v3
	v_dual_mov_b32 v185, s9 :: v_dual_mov_b32 v184, s8
	s_mov_b32 s8, exec_lo
	s_delay_alu instid0(VALU_DEP_2) | instskip(NEXT) | instid1(VALU_DEP_1)
	v_and_b32_e32 v4, 0x7f, v3
	v_cmpx_ne_u32_e32 0x7f, v4
	s_cbranch_execz .LBB281_825
; %bb.822:                              ;   in Loop: Header=BB281_11 Depth=1
	v_and_b32_e32 v94, 7, v3
	v_lshrrev_b32_e32 v3, 3, v4
	s_mov_b32 s21, exec_lo
	v_cmpx_gt_u32_e32 8, v4
; %bb.823:                              ;   in Loop: Header=BB281_11 Depth=1
	s_delay_alu instid0(VALU_DEP_3) | instskip(NEXT) | instid1(VALU_DEP_1)
	v_clz_i32_u32_e32 v3, v94
	v_min_u32_e32 v3, 32, v3
	s_delay_alu instid0(VALU_DEP_1) | instskip(SKIP_1) | instid1(VALU_DEP_2)
	v_subrev_nc_u32_e32 v4, 28, v3
	v_sub_nc_u32_e32 v3, 29, v3
	v_lshlrev_b64 v[4:5], v4, v[94:95]
	s_delay_alu instid0(VALU_DEP_1)
	v_and_b32_e32 v94, 7, v4
; %bb.824:                              ;   in Loop: Header=BB281_11 Depth=1
	s_or_b32 exec_lo, exec_lo, s21
	v_lshlrev_b32_e32 v4, 16, v2
	s_delay_alu instid0(VALU_DEP_2) | instskip(SKIP_1) | instid1(VALU_DEP_3)
	v_dual_mov_b32 v184, v95 :: v_dual_lshlrev_b32 v5, 20, v94
	v_lshl_add_u32 v3, v3, 23, 0x3c000000
	v_and_b32_e32 v4, 0x80000000, v4
	s_delay_alu instid0(VALU_DEP_1)
	v_or3_b32 v185, v5, v4, v3
.LBB281_825:                            ;   in Loop: Header=BB281_11 Depth=1
	s_or_b32 exec_lo, exec_lo, s8
.LBB281_826:                            ;   in Loop: Header=BB281_11 Depth=1
	s_delay_alu instid0(SALU_CYCLE_1)
	s_or_b32 exec_lo, exec_lo, s20
.LBB281_827:                            ;   in Loop: Header=BB281_11 Depth=1
	s_delay_alu instid0(SALU_CYCLE_1) | instskip(SKIP_4) | instid1(VALU_DEP_2)
	s_or_b32 exec_lo, exec_lo, s19
	v_mov_b32_e32 v92, 0
	v_lshrrev_b32_e32 v3, 16, v2
	v_mov_b32_e32 v93, 0
	s_mov_b32 s8, exec_lo
	v_and_b32_e32 v8, 0xff, v3
	s_delay_alu instid0(VALU_DEP_2) | instskip(NEXT) | instid1(VALU_DEP_2)
	v_dual_mov_b32 v4, v92 :: v_dual_mov_b32 v5, v93
	v_cmpx_ne_u16_e32 0, v8
	s_cbranch_execz .LBB281_835
; %bb.828:                              ;   in Loop: Header=BB281_11 Depth=1
	v_bfrev_b32_e32 v4, 1
	v_mov_b32_e32 v5, 0
	s_mov_b32 s19, exec_lo
	v_cmpx_ne_u16_e32 0x80, v8
	s_cbranch_execz .LBB281_834
; %bb.829:                              ;   in Loop: Header=BB281_11 Depth=1
	v_mov_b32_e32 v4, 0x7f800001
	v_bfe_u32 v8, v2, 16, 7
	v_mov_b32_e32 v5, 0
	s_mov_b32 s20, exec_lo
	s_delay_alu instid0(VALU_DEP_2)
	v_cmpx_ne_u32_e32 0x7f, v8
	s_cbranch_execz .LBB281_833
; %bb.830:                              ;   in Loop: Header=BB281_11 Depth=1
	v_and_b32_e32 v94, 7, v3
	v_lshrrev_b32_e32 v4, 3, v8
	s_mov_b32 s21, exec_lo
	v_cmpx_gt_u32_e32 8, v8
; %bb.831:                              ;   in Loop: Header=BB281_11 Depth=1
	s_delay_alu instid0(VALU_DEP_3) | instskip(NEXT) | instid1(VALU_DEP_1)
	v_clz_i32_u32_e32 v4, v94
	v_min_u32_e32 v4, 32, v4
	s_delay_alu instid0(VALU_DEP_1) | instskip(SKIP_1) | instid1(VALU_DEP_2)
	v_subrev_nc_u32_e32 v5, 28, v4
	v_sub_nc_u32_e32 v4, 29, v4
	v_lshlrev_b64 v[8:9], v5, v[94:95]
	s_delay_alu instid0(VALU_DEP_1)
	v_and_b32_e32 v94, 7, v8
; %bb.832:                              ;   in Loop: Header=BB281_11 Depth=1
	s_or_b32 exec_lo, exec_lo, s21
	v_lshlrev_b32_e32 v3, 24, v3
	s_delay_alu instid0(VALU_DEP_2) | instskip(SKIP_1) | instid1(VALU_DEP_3)
	v_lshlrev_b32_e32 v5, 20, v94
	v_lshl_add_u32 v4, v4, 23, 0x3c000000
	v_and_b32_e32 v3, 0x80000000, v3
	s_delay_alu instid0(VALU_DEP_1) | instskip(NEXT) | instid1(VALU_DEP_1)
	v_or3_b32 v94, v5, v3, v4
	v_dual_mov_b32 v4, v94 :: v_dual_mov_b32 v5, v95
.LBB281_833:                            ;   in Loop: Header=BB281_11 Depth=1
	s_or_b32 exec_lo, exec_lo, s20
.LBB281_834:                            ;   in Loop: Header=BB281_11 Depth=1
	s_delay_alu instid0(SALU_CYCLE_1)
	s_or_b32 exec_lo, exec_lo, s19
.LBB281_835:                            ;   in Loop: Header=BB281_11 Depth=1
	s_delay_alu instid0(SALU_CYCLE_1) | instskip(NEXT) | instid1(SALU_CYCLE_1)
	s_or_b32 exec_lo, exec_lo, s8
	s_mov_b32 s19, exec_lo
	v_cmpx_lt_u32_e32 0xffffff, v2
	s_cbranch_execz .LBB281_843
; %bb.836:                              ;   in Loop: Header=BB281_11 Depth=1
	v_lshrrev_b32_e32 v3, 24, v2
	v_dual_mov_b32 v93, s3 :: v_dual_mov_b32 v92, s2
	s_mov_b32 s20, exec_lo
	s_delay_alu instid0(VALU_DEP_2)
	v_cmpx_ne_u32_e32 0x80, v3
	s_cbranch_execz .LBB281_842
; %bb.837:                              ;   in Loop: Header=BB281_11 Depth=1
	s_mov_b32 s8, s2
	v_bfe_u32 v8, v2, 24, 7
	v_dual_mov_b32 v93, s9 :: v_dual_mov_b32 v92, s8
	s_mov_b32 s8, exec_lo
	s_delay_alu instid0(VALU_DEP_2)
	v_cmpx_ne_u32_e32 0x7f, v8
	s_cbranch_execz .LBB281_841
; %bb.838:                              ;   in Loop: Header=BB281_11 Depth=1
	v_and_b32_e32 v94, 7, v3
	v_lshrrev_b32_e32 v2, 3, v8
	s_mov_b32 s21, exec_lo
	v_cmpx_gt_u32_e32 8, v8
; %bb.839:                              ;   in Loop: Header=BB281_11 Depth=1
	s_delay_alu instid0(VALU_DEP_3) | instskip(NEXT) | instid1(VALU_DEP_1)
	v_clz_i32_u32_e32 v2, v94
	v_min_u32_e32 v2, 32, v2
	s_delay_alu instid0(VALU_DEP_1) | instskip(SKIP_1) | instid1(VALU_DEP_2)
	v_subrev_nc_u32_e32 v8, 28, v2
	v_sub_nc_u32_e32 v2, 29, v2
	v_lshlrev_b64 v[8:9], v8, v[94:95]
	s_delay_alu instid0(VALU_DEP_1)
	v_and_b32_e32 v94, 7, v8
; %bb.840:                              ;   in Loop: Header=BB281_11 Depth=1
	s_or_b32 exec_lo, exec_lo, s21
	v_dual_mov_b32 v92, v95 :: v_dual_lshlrev_b32 v3, 24, v3
	s_delay_alu instid0(VALU_DEP_2) | instskip(SKIP_1) | instid1(VALU_DEP_3)
	v_lshlrev_b32_e32 v8, 20, v94
	v_lshl_add_u32 v2, v2, 23, 0x3c000000
	v_and_b32_e32 v3, 0x80000000, v3
	s_delay_alu instid0(VALU_DEP_1)
	v_or3_b32 v93, v8, v3, v2
.LBB281_841:                            ;   in Loop: Header=BB281_11 Depth=1
	s_or_b32 exec_lo, exec_lo, s8
.LBB281_842:                            ;   in Loop: Header=BB281_11 Depth=1
	s_delay_alu instid0(SALU_CYCLE_1)
	s_or_b32 exec_lo, exec_lo, s20
.LBB281_843:                            ;   in Loop: Header=BB281_11 Depth=1
	s_delay_alu instid0(SALU_CYCLE_1) | instskip(SKIP_4) | instid1(VALU_DEP_1)
	s_or_b32 exec_lo, exec_lo, s19
	flat_load_b32 v8, v[152:153] offset:3080
	v_mov_b32_e32 v2, 0
	v_mov_b32_e32 v3, 0
	s_mov_b32 s8, exec_lo
	v_dual_mov_b32 v105, v3 :: v_dual_mov_b32 v104, v2
	s_waitcnt vmcnt(0) lgkmcnt(0)
	v_and_b32_e32 v9, 0xff, v8
	s_delay_alu instid0(VALU_DEP_1)
	v_cmpx_ne_u16_e32 0, v9
	s_cbranch_execz .LBB281_851
; %bb.844:                              ;   in Loop: Header=BB281_11 Depth=1
	v_bfrev_b32_e32 v104, 1
	v_mov_b32_e32 v105, 0
	s_mov_b32 s19, exec_lo
	v_cmpx_ne_u16_e32 0x80, v9
	s_cbranch_execz .LBB281_850
; %bb.845:                              ;   in Loop: Header=BB281_11 Depth=1
	v_mov_b32_e32 v104, 0x7f800001
	v_dual_mov_b32 v105, 0 :: v_dual_and_b32 v18, 0x7f, v8
	s_mov_b32 s20, exec_lo
	s_delay_alu instid0(VALU_DEP_1)
	v_cmpx_ne_u32_e32 0x7f, v18
	s_cbranch_execz .LBB281_849
; %bb.846:                              ;   in Loop: Header=BB281_11 Depth=1
	v_and_b32_e32 v94, 7, v8
	v_lshrrev_b32_e32 v9, 3, v18
	s_mov_b32 s21, exec_lo
	v_cmpx_gt_u32_e32 8, v18
; %bb.847:                              ;   in Loop: Header=BB281_11 Depth=1
	s_delay_alu instid0(VALU_DEP_3) | instskip(NEXT) | instid1(VALU_DEP_1)
	v_clz_i32_u32_e32 v9, v94
	v_min_u32_e32 v9, 32, v9
	s_delay_alu instid0(VALU_DEP_1) | instskip(SKIP_1) | instid1(VALU_DEP_2)
	v_subrev_nc_u32_e32 v18, 28, v9
	v_sub_nc_u32_e32 v9, 29, v9
	v_lshlrev_b64 v[18:19], v18, v[94:95]
	s_delay_alu instid0(VALU_DEP_1)
	v_and_b32_e32 v94, 7, v18
; %bb.848:                              ;   in Loop: Header=BB281_11 Depth=1
	s_or_b32 exec_lo, exec_lo, s21
	v_lshlrev_b32_e32 v18, 24, v8
	s_delay_alu instid0(VALU_DEP_2) | instskip(SKIP_1) | instid1(VALU_DEP_3)
	v_lshlrev_b32_e32 v19, 20, v94
	v_lshl_add_u32 v9, v9, 23, 0x3c000000
	v_and_b32_e32 v18, 0x80000000, v18
	s_delay_alu instid0(VALU_DEP_1) | instskip(NEXT) | instid1(VALU_DEP_1)
	v_or3_b32 v94, v19, v18, v9
	v_dual_mov_b32 v105, v95 :: v_dual_mov_b32 v104, v94
.LBB281_849:                            ;   in Loop: Header=BB281_11 Depth=1
	s_or_b32 exec_lo, exec_lo, s20
.LBB281_850:                            ;   in Loop: Header=BB281_11 Depth=1
	s_delay_alu instid0(SALU_CYCLE_1)
	s_or_b32 exec_lo, exec_lo, s19
.LBB281_851:                            ;   in Loop: Header=BB281_11 Depth=1
	s_delay_alu instid0(SALU_CYCLE_1) | instskip(SKIP_2) | instid1(VALU_DEP_1)
	s_or_b32 exec_lo, exec_lo, s8
	v_lshrrev_b16 v9, 8, v8
	s_mov_b32 s19, exec_lo
	v_cmpx_ne_u16_e32 0, v9
	s_cbranch_execz .LBB281_859
; %bb.852:                              ;   in Loop: Header=BB281_11 Depth=1
	v_dual_mov_b32 v2, s2 :: v_dual_mov_b32 v3, s3
	s_mov_b32 s20, exec_lo
	v_cmpx_ne_u16_e32 0x80, v9
	s_cbranch_execz .LBB281_858
; %bb.853:                              ;   in Loop: Header=BB281_11 Depth=1
	s_mov_b32 s8, s2
	v_and_b32_e32 v18, 0xffff, v9
	v_dual_mov_b32 v2, s8 :: v_dual_mov_b32 v3, s9
	s_mov_b32 s8, exec_lo
	s_delay_alu instid0(VALU_DEP_2) | instskip(NEXT) | instid1(VALU_DEP_1)
	v_and_b32_e32 v9, 0x7f, v18
	v_cmpx_ne_u32_e32 0x7f, v9
	s_cbranch_execz .LBB281_857
; %bb.854:                              ;   in Loop: Header=BB281_11 Depth=1
	v_and_b32_e32 v94, 7, v18
	v_lshrrev_b32_e32 v2, 3, v9
	s_mov_b32 s21, exec_lo
	v_cmpx_gt_u32_e32 8, v9
; %bb.855:                              ;   in Loop: Header=BB281_11 Depth=1
	s_delay_alu instid0(VALU_DEP_3) | instskip(NEXT) | instid1(VALU_DEP_1)
	v_clz_i32_u32_e32 v2, v94
	v_min_u32_e32 v2, 32, v2
	s_delay_alu instid0(VALU_DEP_1) | instskip(SKIP_1) | instid1(VALU_DEP_2)
	v_subrev_nc_u32_e32 v3, 28, v2
	v_sub_nc_u32_e32 v2, 29, v2
	v_lshlrev_b64 v[18:19], v3, v[94:95]
	s_delay_alu instid0(VALU_DEP_1)
	v_and_b32_e32 v94, 7, v18
; %bb.856:                              ;   in Loop: Header=BB281_11 Depth=1
	s_or_b32 exec_lo, exec_lo, s21
	v_lshlrev_b32_e32 v3, 16, v8
	s_delay_alu instid0(VALU_DEP_2) | instskip(SKIP_1) | instid1(VALU_DEP_3)
	v_lshlrev_b32_e32 v9, 20, v94
	v_lshl_add_u32 v2, v2, 23, 0x3c000000
	v_and_b32_e32 v3, 0x80000000, v3
	s_delay_alu instid0(VALU_DEP_1)
	v_or3_b32 v3, v9, v3, v2
	v_mov_b32_e32 v2, v95
.LBB281_857:                            ;   in Loop: Header=BB281_11 Depth=1
	s_or_b32 exec_lo, exec_lo, s8
.LBB281_858:                            ;   in Loop: Header=BB281_11 Depth=1
	s_delay_alu instid0(SALU_CYCLE_1)
	s_or_b32 exec_lo, exec_lo, s20
.LBB281_859:                            ;   in Loop: Header=BB281_11 Depth=1
	s_delay_alu instid0(SALU_CYCLE_1) | instskip(SKIP_4) | instid1(VALU_DEP_2)
	s_or_b32 exec_lo, exec_lo, s19
	v_mov_b32_e32 v110, 0
	v_lshrrev_b32_e32 v9, 16, v8
	v_mov_b32_e32 v111, 0
	s_mov_b32 s8, exec_lo
	v_and_b32_e32 v18, 0xff, v9
	s_delay_alu instid0(VALU_DEP_2) | instskip(NEXT) | instid1(VALU_DEP_2)
	v_dual_mov_b32 v66, v110 :: v_dual_mov_b32 v67, v111
	v_cmpx_ne_u16_e32 0, v18
	s_cbranch_execz .LBB281_867
; %bb.860:                              ;   in Loop: Header=BB281_11 Depth=1
	v_bfrev_b32_e32 v66, 1
	v_mov_b32_e32 v67, 0
	s_mov_b32 s19, exec_lo
	v_cmpx_ne_u16_e32 0x80, v18
	s_cbranch_execz .LBB281_866
; %bb.861:                              ;   in Loop: Header=BB281_11 Depth=1
	v_mov_b32_e32 v66, 0x7f800001
	v_bfe_u32 v19, v8, 16, 7
	v_mov_b32_e32 v67, 0
	s_mov_b32 s20, exec_lo
	s_delay_alu instid0(VALU_DEP_2)
	v_cmpx_ne_u32_e32 0x7f, v19
	s_cbranch_execz .LBB281_865
; %bb.862:                              ;   in Loop: Header=BB281_11 Depth=1
	v_and_b32_e32 v94, 7, v9
	v_lshrrev_b32_e32 v18, 3, v19
	s_mov_b32 s21, exec_lo
	v_cmpx_gt_u32_e32 8, v19
; %bb.863:                              ;   in Loop: Header=BB281_11 Depth=1
	s_delay_alu instid0(VALU_DEP_3) | instskip(NEXT) | instid1(VALU_DEP_1)
	v_clz_i32_u32_e32 v18, v94
	v_min_u32_e32 v18, 32, v18
	s_delay_alu instid0(VALU_DEP_1) | instskip(SKIP_1) | instid1(VALU_DEP_2)
	v_subrev_nc_u32_e32 v19, 28, v18
	v_sub_nc_u32_e32 v18, 29, v18
	v_lshlrev_b64 v[30:31], v19, v[94:95]
	s_delay_alu instid0(VALU_DEP_1)
	v_and_b32_e32 v94, 7, v30
; %bb.864:                              ;   in Loop: Header=BB281_11 Depth=1
	s_or_b32 exec_lo, exec_lo, s21
	v_lshlrev_b32_e32 v9, 24, v9
	s_delay_alu instid0(VALU_DEP_2) | instskip(SKIP_1) | instid1(VALU_DEP_3)
	v_lshlrev_b32_e32 v19, 20, v94
	v_lshl_add_u32 v18, v18, 23, 0x3c000000
	v_and_b32_e32 v9, 0x80000000, v9
	s_delay_alu instid0(VALU_DEP_1) | instskip(NEXT) | instid1(VALU_DEP_1)
	v_or3_b32 v94, v19, v9, v18
	v_dual_mov_b32 v66, v94 :: v_dual_mov_b32 v67, v95
.LBB281_865:                            ;   in Loop: Header=BB281_11 Depth=1
	s_or_b32 exec_lo, exec_lo, s20
.LBB281_866:                            ;   in Loop: Header=BB281_11 Depth=1
	s_delay_alu instid0(SALU_CYCLE_1)
	s_or_b32 exec_lo, exec_lo, s19
.LBB281_867:                            ;   in Loop: Header=BB281_11 Depth=1
	s_delay_alu instid0(SALU_CYCLE_1) | instskip(NEXT) | instid1(SALU_CYCLE_1)
	s_or_b32 exec_lo, exec_lo, s8
	s_mov_b32 s19, exec_lo
	v_cmpx_lt_u32_e32 0xffffff, v8
	s_cbranch_execz .LBB281_875
; %bb.868:                              ;   in Loop: Header=BB281_11 Depth=1
	v_lshrrev_b32_e32 v9, 24, v8
	v_dual_mov_b32 v111, s3 :: v_dual_mov_b32 v110, s2
	s_mov_b32 s20, exec_lo
	s_delay_alu instid0(VALU_DEP_2)
	v_cmpx_ne_u32_e32 0x80, v9
	s_cbranch_execz .LBB281_874
; %bb.869:                              ;   in Loop: Header=BB281_11 Depth=1
	s_mov_b32 s8, s2
	v_bfe_u32 v18, v8, 24, 7
	v_dual_mov_b32 v111, s9 :: v_dual_mov_b32 v110, s8
	s_mov_b32 s8, exec_lo
	s_delay_alu instid0(VALU_DEP_2)
	v_cmpx_ne_u32_e32 0x7f, v18
	s_cbranch_execz .LBB281_873
; %bb.870:                              ;   in Loop: Header=BB281_11 Depth=1
	v_and_b32_e32 v94, 7, v9
	v_lshrrev_b32_e32 v8, 3, v18
	s_mov_b32 s21, exec_lo
	v_cmpx_gt_u32_e32 8, v18
; %bb.871:                              ;   in Loop: Header=BB281_11 Depth=1
	s_delay_alu instid0(VALU_DEP_3) | instskip(NEXT) | instid1(VALU_DEP_1)
	v_clz_i32_u32_e32 v8, v94
	v_min_u32_e32 v8, 32, v8
	s_delay_alu instid0(VALU_DEP_1) | instskip(SKIP_1) | instid1(VALU_DEP_2)
	v_subrev_nc_u32_e32 v18, 28, v8
	v_sub_nc_u32_e32 v8, 29, v8
	v_lshlrev_b64 v[18:19], v18, v[94:95]
	s_delay_alu instid0(VALU_DEP_1)
	v_and_b32_e32 v94, 7, v18
; %bb.872:                              ;   in Loop: Header=BB281_11 Depth=1
	s_or_b32 exec_lo, exec_lo, s21
	v_dual_mov_b32 v110, v95 :: v_dual_lshlrev_b32 v9, 24, v9
	s_delay_alu instid0(VALU_DEP_2) | instskip(SKIP_1) | instid1(VALU_DEP_3)
	v_lshlrev_b32_e32 v18, 20, v94
	v_lshl_add_u32 v8, v8, 23, 0x3c000000
	v_and_b32_e32 v9, 0x80000000, v9
	s_delay_alu instid0(VALU_DEP_1)
	v_or3_b32 v111, v18, v9, v8
.LBB281_873:                            ;   in Loop: Header=BB281_11 Depth=1
	s_or_b32 exec_lo, exec_lo, s8
.LBB281_874:                            ;   in Loop: Header=BB281_11 Depth=1
	s_delay_alu instid0(SALU_CYCLE_1)
	s_or_b32 exec_lo, exec_lo, s20
.LBB281_875:                            ;   in Loop: Header=BB281_11 Depth=1
	s_delay_alu instid0(SALU_CYCLE_1) | instskip(SKIP_4) | instid1(VALU_DEP_1)
	s_or_b32 exec_lo, exec_lo, s19
	flat_load_b32 v18, v[152:153] offset:3084
	v_mov_b32_e32 v8, 0
	v_mov_b32_e32 v9, 0
	s_mov_b32 s8, exec_lo
	v_dual_mov_b32 v123, v9 :: v_dual_mov_b32 v122, v8
	s_waitcnt vmcnt(0) lgkmcnt(0)
	v_and_b32_e32 v19, 0xff, v18
	s_delay_alu instid0(VALU_DEP_1)
	v_cmpx_ne_u16_e32 0, v19
	s_cbranch_execz .LBB281_883
; %bb.876:                              ;   in Loop: Header=BB281_11 Depth=1
	v_bfrev_b32_e32 v122, 1
	v_mov_b32_e32 v123, 0
	s_mov_b32 s19, exec_lo
	v_cmpx_ne_u16_e32 0x80, v19
	s_cbranch_execz .LBB281_882
; %bb.877:                              ;   in Loop: Header=BB281_11 Depth=1
	v_mov_b32_e32 v122, 0x7f800001
	v_dual_mov_b32 v123, 0 :: v_dual_and_b32 v30, 0x7f, v18
	s_mov_b32 s20, exec_lo
	s_delay_alu instid0(VALU_DEP_1)
	v_cmpx_ne_u32_e32 0x7f, v30
	s_cbranch_execz .LBB281_881
; %bb.878:                              ;   in Loop: Header=BB281_11 Depth=1
	v_and_b32_e32 v94, 7, v18
	v_lshrrev_b32_e32 v19, 3, v30
	s_mov_b32 s21, exec_lo
	v_cmpx_gt_u32_e32 8, v30
; %bb.879:                              ;   in Loop: Header=BB281_11 Depth=1
	s_delay_alu instid0(VALU_DEP_3) | instskip(NEXT) | instid1(VALU_DEP_1)
	v_clz_i32_u32_e32 v19, v94
	v_min_u32_e32 v19, 32, v19
	s_delay_alu instid0(VALU_DEP_1) | instskip(SKIP_1) | instid1(VALU_DEP_2)
	v_subrev_nc_u32_e32 v30, 28, v19
	v_sub_nc_u32_e32 v19, 29, v19
	v_lshlrev_b64 v[30:31], v30, v[94:95]
	s_delay_alu instid0(VALU_DEP_1)
	v_and_b32_e32 v94, 7, v30
; %bb.880:                              ;   in Loop: Header=BB281_11 Depth=1
	s_or_b32 exec_lo, exec_lo, s21
	v_lshlrev_b32_e32 v30, 24, v18
	s_delay_alu instid0(VALU_DEP_2) | instskip(SKIP_1) | instid1(VALU_DEP_3)
	v_lshlrev_b32_e32 v31, 20, v94
	v_lshl_add_u32 v19, v19, 23, 0x3c000000
	v_and_b32_e32 v30, 0x80000000, v30
	s_delay_alu instid0(VALU_DEP_1) | instskip(NEXT) | instid1(VALU_DEP_1)
	v_or3_b32 v94, v31, v30, v19
	v_dual_mov_b32 v123, v95 :: v_dual_mov_b32 v122, v94
.LBB281_881:                            ;   in Loop: Header=BB281_11 Depth=1
	s_or_b32 exec_lo, exec_lo, s20
.LBB281_882:                            ;   in Loop: Header=BB281_11 Depth=1
	s_delay_alu instid0(SALU_CYCLE_1)
	s_or_b32 exec_lo, exec_lo, s19
.LBB281_883:                            ;   in Loop: Header=BB281_11 Depth=1
	s_delay_alu instid0(SALU_CYCLE_1) | instskip(SKIP_2) | instid1(VALU_DEP_1)
	s_or_b32 exec_lo, exec_lo, s8
	v_lshrrev_b16 v19, 8, v18
	s_mov_b32 s19, exec_lo
	v_cmpx_ne_u16_e32 0, v19
	s_cbranch_execz .LBB281_891
; %bb.884:                              ;   in Loop: Header=BB281_11 Depth=1
	v_dual_mov_b32 v9, s3 :: v_dual_mov_b32 v8, s2
	s_mov_b32 s20, exec_lo
	v_cmpx_ne_u16_e32 0x80, v19
	s_cbranch_execz .LBB281_890
; %bb.885:                              ;   in Loop: Header=BB281_11 Depth=1
	s_mov_b32 s8, s2
	v_and_b32_e32 v30, 0xffff, v19
	v_dual_mov_b32 v8, s8 :: v_dual_mov_b32 v9, s9
	s_mov_b32 s8, exec_lo
	s_delay_alu instid0(VALU_DEP_2) | instskip(NEXT) | instid1(VALU_DEP_1)
	v_and_b32_e32 v19, 0x7f, v30
	v_cmpx_ne_u32_e32 0x7f, v19
	s_cbranch_execz .LBB281_889
; %bb.886:                              ;   in Loop: Header=BB281_11 Depth=1
	v_and_b32_e32 v94, 7, v30
	v_lshrrev_b32_e32 v8, 3, v19
	s_mov_b32 s21, exec_lo
	v_cmpx_gt_u32_e32 8, v19
; %bb.887:                              ;   in Loop: Header=BB281_11 Depth=1
	s_delay_alu instid0(VALU_DEP_3) | instskip(NEXT) | instid1(VALU_DEP_1)
	v_clz_i32_u32_e32 v8, v94
	v_min_u32_e32 v8, 32, v8
	s_delay_alu instid0(VALU_DEP_1) | instskip(SKIP_1) | instid1(VALU_DEP_2)
	v_subrev_nc_u32_e32 v9, 28, v8
	v_sub_nc_u32_e32 v8, 29, v8
	v_lshlrev_b64 v[30:31], v9, v[94:95]
	s_delay_alu instid0(VALU_DEP_1)
	v_and_b32_e32 v94, 7, v30
; %bb.888:                              ;   in Loop: Header=BB281_11 Depth=1
	s_or_b32 exec_lo, exec_lo, s21
	v_lshlrev_b32_e32 v9, 16, v18
	s_delay_alu instid0(VALU_DEP_2) | instskip(SKIP_1) | instid1(VALU_DEP_3)
	v_lshlrev_b32_e32 v19, 20, v94
	v_lshl_add_u32 v8, v8, 23, 0x3c000000
	v_and_b32_e32 v9, 0x80000000, v9
	s_delay_alu instid0(VALU_DEP_1)
	v_or3_b32 v9, v19, v9, v8
	v_mov_b32_e32 v8, v95
.LBB281_889:                            ;   in Loop: Header=BB281_11 Depth=1
	s_or_b32 exec_lo, exec_lo, s8
.LBB281_890:                            ;   in Loop: Header=BB281_11 Depth=1
	s_delay_alu instid0(SALU_CYCLE_1)
	s_or_b32 exec_lo, exec_lo, s20
.LBB281_891:                            ;   in Loop: Header=BB281_11 Depth=1
	s_delay_alu instid0(SALU_CYCLE_1) | instskip(SKIP_4) | instid1(VALU_DEP_1)
	s_or_b32 exec_lo, exec_lo, s19
	v_mov_b32_e32 v126, 0
	v_lshrrev_b32_e32 v19, 16, v18
	v_mov_b32_e32 v127, 0
	s_mov_b32 s8, exec_lo
	v_dual_mov_b32 v139, v127 :: v_dual_and_b32 v30, 0xff, v19
	v_mov_b32_e32 v138, v126
	s_delay_alu instid0(VALU_DEP_2)
	v_cmpx_ne_u16_e32 0, v30
	s_cbranch_execz .LBB281_899
; %bb.892:                              ;   in Loop: Header=BB281_11 Depth=1
	v_bfrev_b32_e32 v138, 1
	v_mov_b32_e32 v139, 0
	s_mov_b32 s19, exec_lo
	v_cmpx_ne_u16_e32 0x80, v30
	s_cbranch_execz .LBB281_898
; %bb.893:                              ;   in Loop: Header=BB281_11 Depth=1
	v_mov_b32_e32 v138, 0x7f800001
	v_bfe_u32 v31, v18, 16, 7
	v_mov_b32_e32 v139, 0
	s_mov_b32 s20, exec_lo
	s_delay_alu instid0(VALU_DEP_2)
	v_cmpx_ne_u32_e32 0x7f, v31
	s_cbranch_execz .LBB281_897
; %bb.894:                              ;   in Loop: Header=BB281_11 Depth=1
	v_and_b32_e32 v94, 7, v19
	v_lshrrev_b32_e32 v30, 3, v31
	s_mov_b32 s21, exec_lo
	v_cmpx_gt_u32_e32 8, v31
; %bb.895:                              ;   in Loop: Header=BB281_11 Depth=1
	s_delay_alu instid0(VALU_DEP_3) | instskip(NEXT) | instid1(VALU_DEP_1)
	v_clz_i32_u32_e32 v30, v94
	v_min_u32_e32 v30, 32, v30
	s_delay_alu instid0(VALU_DEP_1) | instskip(SKIP_1) | instid1(VALU_DEP_2)
	v_subrev_nc_u32_e32 v31, 28, v30
	v_sub_nc_u32_e32 v30, 29, v30
	v_lshlrev_b64 v[34:35], v31, v[94:95]
	s_delay_alu instid0(VALU_DEP_1)
	v_and_b32_e32 v94, 7, v34
; %bb.896:                              ;   in Loop: Header=BB281_11 Depth=1
	s_or_b32 exec_lo, exec_lo, s21
	v_lshlrev_b32_e32 v19, 24, v19
	s_delay_alu instid0(VALU_DEP_2) | instskip(SKIP_1) | instid1(VALU_DEP_3)
	v_lshlrev_b32_e32 v31, 20, v94
	v_lshl_add_u32 v30, v30, 23, 0x3c000000
	v_and_b32_e32 v19, 0x80000000, v19
	s_delay_alu instid0(VALU_DEP_1) | instskip(NEXT) | instid1(VALU_DEP_1)
	v_or3_b32 v94, v31, v19, v30
	v_dual_mov_b32 v139, v95 :: v_dual_mov_b32 v138, v94
.LBB281_897:                            ;   in Loop: Header=BB281_11 Depth=1
	s_or_b32 exec_lo, exec_lo, s20
.LBB281_898:                            ;   in Loop: Header=BB281_11 Depth=1
	s_delay_alu instid0(SALU_CYCLE_1)
	s_or_b32 exec_lo, exec_lo, s19
.LBB281_899:                            ;   in Loop: Header=BB281_11 Depth=1
	s_delay_alu instid0(SALU_CYCLE_1) | instskip(NEXT) | instid1(SALU_CYCLE_1)
	s_or_b32 exec_lo, exec_lo, s8
	s_mov_b32 s19, exec_lo
	v_cmpx_lt_u32_e32 0xffffff, v18
	s_cbranch_execz .LBB281_907
; %bb.900:                              ;   in Loop: Header=BB281_11 Depth=1
	v_lshrrev_b32_e32 v19, 24, v18
	v_dual_mov_b32 v127, s3 :: v_dual_mov_b32 v126, s2
	s_mov_b32 s20, exec_lo
	s_delay_alu instid0(VALU_DEP_2)
	v_cmpx_ne_u32_e32 0x80, v19
	s_cbranch_execz .LBB281_906
; %bb.901:                              ;   in Loop: Header=BB281_11 Depth=1
	s_mov_b32 s8, s2
	v_bfe_u32 v30, v18, 24, 7
	v_dual_mov_b32 v127, s9 :: v_dual_mov_b32 v126, s8
	s_mov_b32 s8, exec_lo
	s_delay_alu instid0(VALU_DEP_2)
	v_cmpx_ne_u32_e32 0x7f, v30
	s_cbranch_execz .LBB281_905
; %bb.902:                              ;   in Loop: Header=BB281_11 Depth=1
	v_and_b32_e32 v94, 7, v19
	v_lshrrev_b32_e32 v18, 3, v30
	s_mov_b32 s21, exec_lo
	v_cmpx_gt_u32_e32 8, v30
; %bb.903:                              ;   in Loop: Header=BB281_11 Depth=1
	s_delay_alu instid0(VALU_DEP_3) | instskip(NEXT) | instid1(VALU_DEP_1)
	v_clz_i32_u32_e32 v18, v94
	v_min_u32_e32 v18, 32, v18
	s_delay_alu instid0(VALU_DEP_1) | instskip(SKIP_1) | instid1(VALU_DEP_2)
	v_subrev_nc_u32_e32 v30, 28, v18
	v_sub_nc_u32_e32 v18, 29, v18
	v_lshlrev_b64 v[30:31], v30, v[94:95]
	s_delay_alu instid0(VALU_DEP_1)
	v_and_b32_e32 v94, 7, v30
; %bb.904:                              ;   in Loop: Header=BB281_11 Depth=1
	s_or_b32 exec_lo, exec_lo, s21
	v_dual_mov_b32 v126, v95 :: v_dual_lshlrev_b32 v19, 24, v19
	s_delay_alu instid0(VALU_DEP_2) | instskip(SKIP_1) | instid1(VALU_DEP_3)
	v_lshlrev_b32_e32 v30, 20, v94
	v_lshl_add_u32 v18, v18, 23, 0x3c000000
	v_and_b32_e32 v19, 0x80000000, v19
	s_delay_alu instid0(VALU_DEP_1)
	v_or3_b32 v127, v30, v19, v18
.LBB281_905:                            ;   in Loop: Header=BB281_11 Depth=1
	s_or_b32 exec_lo, exec_lo, s8
.LBB281_906:                            ;   in Loop: Header=BB281_11 Depth=1
	s_delay_alu instid0(SALU_CYCLE_1)
	s_or_b32 exec_lo, exec_lo, s20
.LBB281_907:                            ;   in Loop: Header=BB281_11 Depth=1
	s_delay_alu instid0(SALU_CYCLE_1) | instskip(SKIP_4) | instid1(VALU_DEP_1)
	s_or_b32 exec_lo, exec_lo, s19
	flat_load_b32 v18, v[152:153] offset:3584
	v_mov_b32_e32 v34, 0
	v_mov_b32_e32 v35, 0
	s_mov_b32 s8, exec_lo
	v_dual_mov_b32 v157, v35 :: v_dual_mov_b32 v156, v34
	s_waitcnt vmcnt(0) lgkmcnt(0)
	v_and_b32_e32 v19, 0xff, v18
	s_delay_alu instid0(VALU_DEP_1)
	v_cmpx_ne_u16_e32 0, v19
	s_cbranch_execz .LBB281_915
; %bb.908:                              ;   in Loop: Header=BB281_11 Depth=1
	v_bfrev_b32_e32 v156, 1
	v_mov_b32_e32 v157, 0
	s_mov_b32 s19, exec_lo
	v_cmpx_ne_u16_e32 0x80, v19
	s_cbranch_execz .LBB281_914
; %bb.909:                              ;   in Loop: Header=BB281_11 Depth=1
	v_mov_b32_e32 v156, 0x7f800001
	v_dual_mov_b32 v157, 0 :: v_dual_and_b32 v30, 0x7f, v18
	s_mov_b32 s20, exec_lo
	s_delay_alu instid0(VALU_DEP_1)
	v_cmpx_ne_u32_e32 0x7f, v30
	s_cbranch_execz .LBB281_913
; %bb.910:                              ;   in Loop: Header=BB281_11 Depth=1
	v_and_b32_e32 v94, 7, v18
	v_lshrrev_b32_e32 v19, 3, v30
	s_mov_b32 s21, exec_lo
	v_cmpx_gt_u32_e32 8, v30
; %bb.911:                              ;   in Loop: Header=BB281_11 Depth=1
	s_delay_alu instid0(VALU_DEP_3) | instskip(NEXT) | instid1(VALU_DEP_1)
	v_clz_i32_u32_e32 v19, v94
	v_min_u32_e32 v19, 32, v19
	s_delay_alu instid0(VALU_DEP_1) | instskip(SKIP_1) | instid1(VALU_DEP_2)
	v_subrev_nc_u32_e32 v30, 28, v19
	v_sub_nc_u32_e32 v19, 29, v19
	v_lshlrev_b64 v[30:31], v30, v[94:95]
	s_delay_alu instid0(VALU_DEP_1)
	v_and_b32_e32 v94, 7, v30
; %bb.912:                              ;   in Loop: Header=BB281_11 Depth=1
	s_or_b32 exec_lo, exec_lo, s21
	v_lshlrev_b32_e32 v30, 24, v18
	s_delay_alu instid0(VALU_DEP_2) | instskip(SKIP_1) | instid1(VALU_DEP_3)
	v_lshlrev_b32_e32 v31, 20, v94
	v_lshl_add_u32 v19, v19, 23, 0x3c000000
	v_and_b32_e32 v30, 0x80000000, v30
	s_delay_alu instid0(VALU_DEP_1) | instskip(NEXT) | instid1(VALU_DEP_1)
	v_or3_b32 v94, v31, v30, v19
	v_dual_mov_b32 v157, v95 :: v_dual_mov_b32 v156, v94
.LBB281_913:                            ;   in Loop: Header=BB281_11 Depth=1
	s_or_b32 exec_lo, exec_lo, s20
.LBB281_914:                            ;   in Loop: Header=BB281_11 Depth=1
	s_delay_alu instid0(SALU_CYCLE_1)
	s_or_b32 exec_lo, exec_lo, s19
.LBB281_915:                            ;   in Loop: Header=BB281_11 Depth=1
	s_delay_alu instid0(SALU_CYCLE_1) | instskip(SKIP_2) | instid1(VALU_DEP_1)
	s_or_b32 exec_lo, exec_lo, s8
	v_lshrrev_b16 v19, 8, v18
	s_mov_b32 s19, exec_lo
	v_cmpx_ne_u16_e32 0, v19
	s_cbranch_execz .LBB281_923
; %bb.916:                              ;   in Loop: Header=BB281_11 Depth=1
	v_dual_mov_b32 v35, s3 :: v_dual_mov_b32 v34, s2
	s_mov_b32 s20, exec_lo
	v_cmpx_ne_u16_e32 0x80, v19
	s_cbranch_execz .LBB281_922
; %bb.917:                              ;   in Loop: Header=BB281_11 Depth=1
	s_mov_b32 s8, s2
	v_and_b32_e32 v19, 0xffff, v19
	v_dual_mov_b32 v35, s9 :: v_dual_mov_b32 v34, s8
	s_mov_b32 s8, exec_lo
	s_delay_alu instid0(VALU_DEP_2) | instskip(NEXT) | instid1(VALU_DEP_1)
	v_and_b32_e32 v30, 0x7f, v19
	v_cmpx_ne_u32_e32 0x7f, v30
	s_cbranch_execz .LBB281_921
; %bb.918:                              ;   in Loop: Header=BB281_11 Depth=1
	v_and_b32_e32 v94, 7, v19
	v_lshrrev_b32_e32 v19, 3, v30
	s_mov_b32 s21, exec_lo
	v_cmpx_gt_u32_e32 8, v30
; %bb.919:                              ;   in Loop: Header=BB281_11 Depth=1
	s_delay_alu instid0(VALU_DEP_3) | instskip(NEXT) | instid1(VALU_DEP_1)
	v_clz_i32_u32_e32 v19, v94
	v_min_u32_e32 v19, 32, v19
	s_delay_alu instid0(VALU_DEP_1) | instskip(SKIP_1) | instid1(VALU_DEP_2)
	v_subrev_nc_u32_e32 v30, 28, v19
	v_sub_nc_u32_e32 v19, 29, v19
	v_lshlrev_b64 v[30:31], v30, v[94:95]
	s_delay_alu instid0(VALU_DEP_1)
	v_and_b32_e32 v94, 7, v30
; %bb.920:                              ;   in Loop: Header=BB281_11 Depth=1
	s_or_b32 exec_lo, exec_lo, s21
	v_lshlrev_b32_e32 v30, 16, v18
	s_delay_alu instid0(VALU_DEP_2) | instskip(SKIP_1) | instid1(VALU_DEP_3)
	v_dual_mov_b32 v34, v95 :: v_dual_lshlrev_b32 v31, 20, v94
	v_lshl_add_u32 v19, v19, 23, 0x3c000000
	v_and_b32_e32 v30, 0x80000000, v30
	s_delay_alu instid0(VALU_DEP_1)
	v_or3_b32 v35, v31, v30, v19
.LBB281_921:                            ;   in Loop: Header=BB281_11 Depth=1
	s_or_b32 exec_lo, exec_lo, s8
.LBB281_922:                            ;   in Loop: Header=BB281_11 Depth=1
	s_delay_alu instid0(SALU_CYCLE_1)
	s_or_b32 exec_lo, exec_lo, s20
.LBB281_923:                            ;   in Loop: Header=BB281_11 Depth=1
	s_delay_alu instid0(SALU_CYCLE_1) | instskip(SKIP_4) | instid1(VALU_DEP_1)
	s_or_b32 exec_lo, exec_lo, s19
	v_mov_b32_e32 v38, 0
	v_lshrrev_b32_e32 v19, 16, v18
	v_mov_b32_e32 v39, 0
	s_mov_b32 s8, exec_lo
	v_dual_mov_b32 v159, v39 :: v_dual_and_b32 v30, 0xff, v19
	v_mov_b32_e32 v158, v38
	s_delay_alu instid0(VALU_DEP_2)
	v_cmpx_ne_u16_e32 0, v30
	s_cbranch_execz .LBB281_931
; %bb.924:                              ;   in Loop: Header=BB281_11 Depth=1
	v_bfrev_b32_e32 v158, 1
	v_mov_b32_e32 v159, 0
	s_mov_b32 s19, exec_lo
	v_cmpx_ne_u16_e32 0x80, v30
	s_cbranch_execz .LBB281_930
; %bb.925:                              ;   in Loop: Header=BB281_11 Depth=1
	v_mov_b32_e32 v158, 0x7f800001
	v_bfe_u32 v31, v18, 16, 7
	v_mov_b32_e32 v159, 0
	s_mov_b32 s20, exec_lo
	s_delay_alu instid0(VALU_DEP_2)
	v_cmpx_ne_u32_e32 0x7f, v31
	s_cbranch_execz .LBB281_929
; %bb.926:                              ;   in Loop: Header=BB281_11 Depth=1
	v_and_b32_e32 v94, 7, v19
	v_lshrrev_b32_e32 v30, 3, v31
	s_mov_b32 s21, exec_lo
	v_cmpx_gt_u32_e32 8, v31
; %bb.927:                              ;   in Loop: Header=BB281_11 Depth=1
	s_delay_alu instid0(VALU_DEP_3) | instskip(NEXT) | instid1(VALU_DEP_1)
	v_clz_i32_u32_e32 v30, v94
	v_min_u32_e32 v30, 32, v30
	s_delay_alu instid0(VALU_DEP_1) | instskip(SKIP_1) | instid1(VALU_DEP_2)
	v_subrev_nc_u32_e32 v31, 28, v30
	v_sub_nc_u32_e32 v30, 29, v30
	v_lshlrev_b64 v[54:55], v31, v[94:95]
	s_delay_alu instid0(VALU_DEP_1)
	v_and_b32_e32 v94, 7, v54
; %bb.928:                              ;   in Loop: Header=BB281_11 Depth=1
	s_or_b32 exec_lo, exec_lo, s21
	v_lshlrev_b32_e32 v19, 24, v19
	s_delay_alu instid0(VALU_DEP_2) | instskip(SKIP_1) | instid1(VALU_DEP_3)
	v_lshlrev_b32_e32 v31, 20, v94
	v_lshl_add_u32 v30, v30, 23, 0x3c000000
	v_and_b32_e32 v19, 0x80000000, v19
	s_delay_alu instid0(VALU_DEP_1) | instskip(NEXT) | instid1(VALU_DEP_1)
	v_or3_b32 v94, v31, v19, v30
	v_dual_mov_b32 v159, v95 :: v_dual_mov_b32 v158, v94
.LBB281_929:                            ;   in Loop: Header=BB281_11 Depth=1
	s_or_b32 exec_lo, exec_lo, s20
.LBB281_930:                            ;   in Loop: Header=BB281_11 Depth=1
	s_delay_alu instid0(SALU_CYCLE_1)
	s_or_b32 exec_lo, exec_lo, s19
.LBB281_931:                            ;   in Loop: Header=BB281_11 Depth=1
	s_delay_alu instid0(SALU_CYCLE_1) | instskip(NEXT) | instid1(SALU_CYCLE_1)
	s_or_b32 exec_lo, exec_lo, s8
	s_mov_b32 s19, exec_lo
	v_cmpx_lt_u32_e32 0xffffff, v18
	s_cbranch_execz .LBB281_939
; %bb.932:                              ;   in Loop: Header=BB281_11 Depth=1
	v_lshrrev_b32_e32 v19, 24, v18
	v_dual_mov_b32 v39, s3 :: v_dual_mov_b32 v38, s2
	s_mov_b32 s20, exec_lo
	s_delay_alu instid0(VALU_DEP_2)
	v_cmpx_ne_u32_e32 0x80, v19
	s_cbranch_execz .LBB281_938
; %bb.933:                              ;   in Loop: Header=BB281_11 Depth=1
	s_mov_b32 s8, s2
	v_bfe_u32 v30, v18, 24, 7
	v_dual_mov_b32 v39, s9 :: v_dual_mov_b32 v38, s8
	s_mov_b32 s8, exec_lo
	s_delay_alu instid0(VALU_DEP_2)
	v_cmpx_ne_u32_e32 0x7f, v30
	s_cbranch_execz .LBB281_937
; %bb.934:                              ;   in Loop: Header=BB281_11 Depth=1
	v_and_b32_e32 v94, 7, v19
	v_lshrrev_b32_e32 v18, 3, v30
	s_mov_b32 s21, exec_lo
	v_cmpx_gt_u32_e32 8, v30
; %bb.935:                              ;   in Loop: Header=BB281_11 Depth=1
	s_delay_alu instid0(VALU_DEP_3) | instskip(NEXT) | instid1(VALU_DEP_1)
	v_clz_i32_u32_e32 v18, v94
	v_min_u32_e32 v18, 32, v18
	s_delay_alu instid0(VALU_DEP_1) | instskip(SKIP_1) | instid1(VALU_DEP_2)
	v_subrev_nc_u32_e32 v30, 28, v18
	v_sub_nc_u32_e32 v18, 29, v18
	v_lshlrev_b64 v[30:31], v30, v[94:95]
	s_delay_alu instid0(VALU_DEP_1)
	v_and_b32_e32 v94, 7, v30
; %bb.936:                              ;   in Loop: Header=BB281_11 Depth=1
	s_or_b32 exec_lo, exec_lo, s21
	v_dual_mov_b32 v38, v95 :: v_dual_lshlrev_b32 v19, 24, v19
	s_delay_alu instid0(VALU_DEP_2) | instskip(SKIP_1) | instid1(VALU_DEP_3)
	v_lshlrev_b32_e32 v30, 20, v94
	v_lshl_add_u32 v18, v18, 23, 0x3c000000
	v_and_b32_e32 v19, 0x80000000, v19
	s_delay_alu instid0(VALU_DEP_1)
	v_or3_b32 v39, v30, v19, v18
.LBB281_937:                            ;   in Loop: Header=BB281_11 Depth=1
	s_or_b32 exec_lo, exec_lo, s8
.LBB281_938:                            ;   in Loop: Header=BB281_11 Depth=1
	s_delay_alu instid0(SALU_CYCLE_1)
	s_or_b32 exec_lo, exec_lo, s20
.LBB281_939:                            ;   in Loop: Header=BB281_11 Depth=1
	s_delay_alu instid0(SALU_CYCLE_1)
	s_or_b32 exec_lo, exec_lo, s19
	flat_load_b32 v175, v[152:153] offset:3588
	v_mov_b32_e32 v152, 0
	v_mov_b32_e32 v153, 0
	s_mov_b32 s8, exec_lo
	s_waitcnt vmcnt(0) lgkmcnt(0)
	v_and_b32_e32 v30, 0xff, v175
	s_delay_alu instid0(VALU_DEP_2) | instskip(NEXT) | instid1(VALU_DEP_2)
	v_dual_mov_b32 v18, v152 :: v_dual_mov_b32 v19, v153
	v_cmpx_ne_u16_e32 0, v30
	s_cbranch_execz .LBB281_947
; %bb.940:                              ;   in Loop: Header=BB281_11 Depth=1
	v_bfrev_b32_e32 v18, 1
	v_mov_b32_e32 v19, 0
	s_mov_b32 s19, exec_lo
	v_cmpx_ne_u16_e32 0x80, v30
	s_cbranch_execz .LBB281_946
; %bb.941:                              ;   in Loop: Header=BB281_11 Depth=1
	v_mov_b32_e32 v18, 0x7f800001
	v_dual_mov_b32 v19, 0 :: v_dual_and_b32 v30, 0x7f, v175
	s_mov_b32 s20, exec_lo
	s_delay_alu instid0(VALU_DEP_1)
	v_cmpx_ne_u32_e32 0x7f, v30
	s_cbranch_execz .LBB281_945
; %bb.942:                              ;   in Loop: Header=BB281_11 Depth=1
	v_and_b32_e32 v94, 7, v175
	v_lshrrev_b32_e32 v18, 3, v30
	s_mov_b32 s21, exec_lo
	v_cmpx_gt_u32_e32 8, v30
; %bb.943:                              ;   in Loop: Header=BB281_11 Depth=1
	s_delay_alu instid0(VALU_DEP_3) | instskip(NEXT) | instid1(VALU_DEP_1)
	v_clz_i32_u32_e32 v18, v94
	v_min_u32_e32 v18, 32, v18
	s_delay_alu instid0(VALU_DEP_1) | instskip(SKIP_1) | instid1(VALU_DEP_2)
	v_subrev_nc_u32_e32 v19, 28, v18
	v_sub_nc_u32_e32 v18, 29, v18
	v_lshlrev_b64 v[30:31], v19, v[94:95]
	s_delay_alu instid0(VALU_DEP_1)
	v_and_b32_e32 v94, 7, v30
; %bb.944:                              ;   in Loop: Header=BB281_11 Depth=1
	s_or_b32 exec_lo, exec_lo, s21
	v_lshlrev_b32_e32 v19, 24, v175
	s_delay_alu instid0(VALU_DEP_2) | instskip(SKIP_1) | instid1(VALU_DEP_3)
	v_lshlrev_b32_e32 v30, 20, v94
	v_lshl_add_u32 v18, v18, 23, 0x3c000000
	v_and_b32_e32 v19, 0x80000000, v19
	s_delay_alu instid0(VALU_DEP_1) | instskip(NEXT) | instid1(VALU_DEP_1)
	v_or3_b32 v94, v30, v19, v18
	v_dual_mov_b32 v18, v94 :: v_dual_mov_b32 v19, v95
.LBB281_945:                            ;   in Loop: Header=BB281_11 Depth=1
	s_or_b32 exec_lo, exec_lo, s20
.LBB281_946:                            ;   in Loop: Header=BB281_11 Depth=1
	s_delay_alu instid0(SALU_CYCLE_1)
	s_or_b32 exec_lo, exec_lo, s19
.LBB281_947:                            ;   in Loop: Header=BB281_11 Depth=1
	s_delay_alu instid0(SALU_CYCLE_1) | instskip(SKIP_2) | instid1(VALU_DEP_1)
	s_or_b32 exec_lo, exec_lo, s8
	v_lshrrev_b16 v30, 8, v175
	s_mov_b32 s19, exec_lo
	v_cmpx_ne_u16_e32 0, v30
	s_cbranch_execz .LBB281_955
; %bb.948:                              ;   in Loop: Header=BB281_11 Depth=1
	v_dual_mov_b32 v153, s3 :: v_dual_mov_b32 v152, s2
	s_mov_b32 s20, exec_lo
	v_cmpx_ne_u16_e32 0x80, v30
	s_cbranch_execz .LBB281_954
; %bb.949:                              ;   in Loop: Header=BB281_11 Depth=1
	s_mov_b32 s8, s2
	v_dual_mov_b32 v153, s9 :: v_dual_and_b32 v30, 0xffff, v30
	v_mov_b32_e32 v152, s8
	s_mov_b32 s8, exec_lo
	s_delay_alu instid0(VALU_DEP_2) | instskip(NEXT) | instid1(VALU_DEP_1)
	v_and_b32_e32 v31, 0x7f, v30
	v_cmpx_ne_u32_e32 0x7f, v31
	s_cbranch_execz .LBB281_953
; %bb.950:                              ;   in Loop: Header=BB281_11 Depth=1
	v_and_b32_e32 v94, 7, v30
	v_lshrrev_b32_e32 v30, 3, v31
	s_mov_b32 s21, exec_lo
	v_cmpx_gt_u32_e32 8, v31
; %bb.951:                              ;   in Loop: Header=BB281_11 Depth=1
	s_delay_alu instid0(VALU_DEP_3) | instskip(NEXT) | instid1(VALU_DEP_1)
	v_clz_i32_u32_e32 v30, v94
	v_min_u32_e32 v30, 32, v30
	s_delay_alu instid0(VALU_DEP_1) | instskip(SKIP_1) | instid1(VALU_DEP_2)
	v_subrev_nc_u32_e32 v31, 28, v30
	v_sub_nc_u32_e32 v30, 29, v30
	v_lshlrev_b64 v[54:55], v31, v[94:95]
	s_delay_alu instid0(VALU_DEP_1)
	v_and_b32_e32 v94, 7, v54
; %bb.952:                              ;   in Loop: Header=BB281_11 Depth=1
	s_or_b32 exec_lo, exec_lo, s21
	v_dual_mov_b32 v152, v95 :: v_dual_lshlrev_b32 v31, 16, v175
	s_delay_alu instid0(VALU_DEP_2) | instskip(SKIP_1) | instid1(VALU_DEP_3)
	v_lshlrev_b32_e32 v54, 20, v94
	v_lshl_add_u32 v30, v30, 23, 0x3c000000
	v_and_b32_e32 v31, 0x80000000, v31
	s_delay_alu instid0(VALU_DEP_1)
	v_or3_b32 v153, v54, v31, v30
.LBB281_953:                            ;   in Loop: Header=BB281_11 Depth=1
	s_or_b32 exec_lo, exec_lo, s8
.LBB281_954:                            ;   in Loop: Header=BB281_11 Depth=1
	s_delay_alu instid0(SALU_CYCLE_1)
	s_or_b32 exec_lo, exec_lo, s20
.LBB281_955:                            ;   in Loop: Header=BB281_11 Depth=1
	s_delay_alu instid0(SALU_CYCLE_1) | instskip(SKIP_4) | instid1(VALU_DEP_3)
	s_or_b32 exec_lo, exec_lo, s19
	v_lshrrev_b32_e32 v54, 16, v175
	v_mov_b32_e32 v30, 0
	v_mov_b32_e32 v31, 0
	s_mov_b32 s8, exec_lo
	v_and_b32_e32 v55, 0xff, v54
	s_delay_alu instid0(VALU_DEP_2) | instskip(NEXT) | instid1(VALU_DEP_2)
	v_dual_mov_b32 v143, v31 :: v_dual_mov_b32 v142, v30
	v_cmpx_ne_u16_e32 0, v55
	s_cbranch_execz .LBB281_963
; %bb.956:                              ;   in Loop: Header=BB281_11 Depth=1
	v_bfrev_b32_e32 v142, 1
	v_mov_b32_e32 v143, 0
	s_mov_b32 s19, exec_lo
	v_cmpx_ne_u16_e32 0x80, v55
	s_cbranch_execz .LBB281_962
; %bb.957:                              ;   in Loop: Header=BB281_11 Depth=1
	v_mov_b32_e32 v142, 0x7f800001
	v_bfe_u32 v186, v175, 16, 7
	v_mov_b32_e32 v143, 0
	s_mov_b32 s20, exec_lo
	s_delay_alu instid0(VALU_DEP_2)
	v_cmpx_ne_u32_e32 0x7f, v186
	s_cbranch_execz .LBB281_961
; %bb.958:                              ;   in Loop: Header=BB281_11 Depth=1
	v_and_b32_e32 v94, 7, v54
	v_lshrrev_b32_e32 v55, 3, v186
	s_mov_b32 s21, exec_lo
	v_cmpx_gt_u32_e32 8, v186
; %bb.959:                              ;   in Loop: Header=BB281_11 Depth=1
	s_delay_alu instid0(VALU_DEP_3) | instskip(NEXT) | instid1(VALU_DEP_1)
	v_clz_i32_u32_e32 v55, v94
	v_min_u32_e32 v55, 32, v55
	s_delay_alu instid0(VALU_DEP_1) | instskip(SKIP_1) | instid1(VALU_DEP_2)
	v_subrev_nc_u32_e32 v142, 28, v55
	v_sub_nc_u32_e32 v55, 29, v55
	v_lshlrev_b64 v[142:143], v142, v[94:95]
	s_delay_alu instid0(VALU_DEP_1)
	v_and_b32_e32 v94, 7, v142
; %bb.960:                              ;   in Loop: Header=BB281_11 Depth=1
	s_or_b32 exec_lo, exec_lo, s21
	v_lshlrev_b32_e32 v54, 24, v54
	s_delay_alu instid0(VALU_DEP_2) | instskip(SKIP_1) | instid1(VALU_DEP_3)
	v_lshlrev_b32_e32 v94, 20, v94
	v_lshl_add_u32 v55, v55, 23, 0x3c000000
	v_and_b32_e32 v54, 0x80000000, v54
	s_delay_alu instid0(VALU_DEP_1) | instskip(NEXT) | instid1(VALU_DEP_1)
	v_or3_b32 v94, v94, v54, v55
	v_dual_mov_b32 v143, v95 :: v_dual_mov_b32 v142, v94
.LBB281_961:                            ;   in Loop: Header=BB281_11 Depth=1
	s_or_b32 exec_lo, exec_lo, s20
	s_clause 0x1
	scratch_load_b32 v22, off, s32 offset:1084
	scratch_load_b32 v186, off, s32 offset:1088
.LBB281_962:                            ;   in Loop: Header=BB281_11 Depth=1
	s_or_b32 exec_lo, exec_lo, s19
.LBB281_963:                            ;   in Loop: Header=BB281_11 Depth=1
	s_delay_alu instid0(SALU_CYCLE_1) | instskip(NEXT) | instid1(SALU_CYCLE_1)
	s_or_b32 exec_lo, exec_lo, s8
	s_mov_b32 s19, exec_lo
	v_cmpx_lt_u32_e32 0xffffff, v175
	s_cbranch_execz .LBB281_10
; %bb.964:                              ;   in Loop: Header=BB281_11 Depth=1
	v_lshrrev_b32_e32 v54, 24, v175
	v_dual_mov_b32 v31, s3 :: v_dual_mov_b32 v30, s2
	s_mov_b32 s20, exec_lo
	s_delay_alu instid0(VALU_DEP_2)
	v_cmpx_ne_u32_e32 0x80, v54
	s_cbranch_execz .LBB281_9
; %bb.965:                              ;   in Loop: Header=BB281_11 Depth=1
	s_mov_b32 s8, s2
	v_bfe_u32 v55, v175, 24, 7
	v_dual_mov_b32 v31, s9 :: v_dual_mov_b32 v30, s8
	s_mov_b32 s8, exec_lo
	s_delay_alu instid0(VALU_DEP_2)
	v_cmpx_ne_u32_e32 0x7f, v55
	s_cbranch_execz .LBB281_8
; %bb.966:                              ;   in Loop: Header=BB281_11 Depth=1
	v_and_b32_e32 v94, 7, v54
	v_lshrrev_b32_e32 v30, 3, v55
	s_mov_b32 s21, exec_lo
	v_cmpx_gt_u32_e32 8, v55
	s_cbranch_execz .LBB281_7
; %bb.967:                              ;   in Loop: Header=BB281_11 Depth=1
	v_clz_i32_u32_e32 v30, v94
	v_mov_b32_e32 v55, v187
	s_delay_alu instid0(VALU_DEP_2) | instskip(NEXT) | instid1(VALU_DEP_1)
	v_min_u32_e32 v30, 32, v30
	v_subrev_nc_u32_e32 v31, 28, v30
	v_sub_nc_u32_e32 v30, 29, v30
	s_waitcnt vmcnt(0)
	s_delay_alu instid0(VALU_DEP_2) | instskip(NEXT) | instid1(VALU_DEP_1)
	v_lshlrev_b64 v[186:187], v31, v[94:95]
	v_and_b32_e32 v94, 7, v186
	s_clause 0x1
	scratch_load_b32 v186, off, s32 offset:1088
	scratch_load_b32 v22, off, s32 offset:1084
	v_mov_b32_e32 v187, v55
	s_branch .LBB281_7
.LBB281_968:
	s_or_b32 exec_lo, exec_lo, s7
	s_clause 0xf
	scratch_load_b32 v12, off, s32 offset:1112
	scratch_load_b32 v6, off, s32 offset:1100
	;; [unrolled: 1-line block ×4, first 2 shown]
	scratch_load_b64 v[26:27], off, s32 offset:1124
	scratch_load_b32 v11, off, s32 offset:1132
	scratch_load_b32 v10, off, s32 offset:1136
	;; [unrolled: 1-line block ×6, first 2 shown]
	scratch_load_b64 v[16:17], off, s32 offset:1156
	scratch_load_b32 v18, off, s32 offset:1164
	scratch_load_b32 v19, off, s32 offset:1168
	;; [unrolled: 1-line block ×4, first 2 shown]
.LBB281_969:
	s_or_b32 exec_lo, exec_lo, s18
	v_mbcnt_lo_u32_b32 v0, -1, 0
	s_lshr_b32 s8, s17, 16
	v_max_f32_e32 v4, v171, v171
	s_delay_alu instid0(VALU_DEP_2) | instskip(SKIP_2) | instid1(VALU_DEP_3)
	v_xor_b32_e32 v1, 16, v0
	v_xor_b32_e32 v3, 8, v0
	;; [unrolled: 1-line block ×3, first 2 shown]
	v_cmp_gt_i32_e32 vcc_lo, 32, v1
	v_cndmask_b32_e32 v1, v0, v1, vcc_lo
	s_delay_alu instid0(VALU_DEP_4) | instskip(NEXT) | instid1(VALU_DEP_2)
	v_cmp_gt_i32_e32 vcc_lo, 32, v3
	v_dual_cndmask_b32 v3, v0, v3 :: v_dual_lshlrev_b32 v2, 2, v1
	v_cmp_gt_i32_e32 vcc_lo, 32, v5
	ds_bpermute_b32 v1, v2, v171
	v_lshlrev_b32_e32 v3, 2, v3
	v_cndmask_b32_e32 v5, v0, v5, vcc_lo
	s_waitcnt lgkmcnt(0)
	v_max_f32_e32 v1, v1, v1
	s_delay_alu instid0(VALU_DEP_1)
	v_max_f32_e32 v1, v4, v1
	ds_bpermute_b32 v4, v3, v1
	s_waitcnt lgkmcnt(0)
	v_max_f32_e32 v4, v4, v4
	v_lshlrev_b32_e32 v174, 2, v5
	v_xor_b32_e32 v5, 2, v0
	s_delay_alu instid0(VALU_DEP_3) | instskip(NEXT) | instid1(VALU_DEP_2)
	v_max_f32_e32 v1, v1, v4
	v_cmp_gt_i32_e32 vcc_lo, 32, v5
	ds_bpermute_b32 v4, v174, v1
	v_cndmask_b32_e32 v5, v0, v5, vcc_lo
	s_delay_alu instid0(VALU_DEP_1) | instskip(SKIP_1) | instid1(VALU_DEP_1)
	v_lshlrev_b32_e32 v21, 2, v5
	v_xor_b32_e32 v5, 1, v0
	v_cmp_gt_i32_e32 vcc_lo, 32, v5
	v_cndmask_b32_e32 v5, v0, v5, vcc_lo
	s_waitcnt vmcnt(14)
	v_cmp_eq_u32_e32 vcc_lo, 0, v6
	s_waitcnt lgkmcnt(0)
	v_max_f32_e32 v4, v4, v4
	s_delay_alu instid0(VALU_DEP_1) | instskip(SKIP_3) | instid1(VALU_DEP_1)
	v_dual_max_f32 v1, v1, v4 :: v_dual_lshlrev_b32 v20, 2, v5
	ds_bpermute_b32 v4, v21, v1
	s_waitcnt lgkmcnt(0)
	v_max_f32_e32 v4, v4, v4
	v_max_f32_e32 v0, v1, v4
	scratch_load_b32 v4, off, s32 offset:1092 ; 4-byte Folded Reload
	ds_bpermute_b32 v1, v20, v0
	s_waitcnt vmcnt(0)
	v_lshlrev_b32_e32 v4, 2, v4
	s_and_saveexec_b32 s1, vcc_lo
	s_cbranch_execz .LBB281_971
; %bb.970:
	s_waitcnt lgkmcnt(0)
	v_dual_max_f32 v1, v1, v1 :: v_dual_max_f32 v0, v0, v0
	s_delay_alu instid0(VALU_DEP_1)
	v_max_f32_e32 v0, v0, v1
	ds_store_b32 v4, v0 offset:480
.LBB281_971:
	s_or_b32 exec_lo, exec_lo, s1
	v_cmp_gt_u32_e64 s1, 4, v6
	v_mov_b32_e32 v0, 0xff7fffff
	s_waitcnt lgkmcnt(0)
	s_waitcnt_vscnt null, 0x0
	s_barrier
	buffer_gl0_inv
	s_mov_b32 s2, exec_lo
	scratch_load_b64 v[171:172], off, s32 offset:1104 ; 8-byte Folded Reload
	s_and_b32 s3, s2, s1
	s_delay_alu instid0(SALU_CYCLE_1)
	s_mov_b32 exec_lo, s3
	s_cbranch_execz .LBB281_973
; %bb.972:
	ds_load_b32 v0, v23 offset:480
.LBB281_973:
	s_or_b32 exec_lo, exec_lo, s2
	s_waitcnt lgkmcnt(0)
	ds_bpermute_b32 v1, v21, v0
	v_max_f32_e32 v0, v0, v0
	v_subrev_nc_u32_e32 v6, s13, v186
	v_mov_b32_e32 v5, 0
	s_waitcnt lgkmcnt(0)
	v_max_f32_e32 v1, v1, v1
	s_delay_alu instid0(VALU_DEP_1) | instskip(SKIP_3) | instid1(VALU_DEP_1)
	v_max_f32_e32 v0, v0, v1
	ds_bpermute_b32 v1, v20, v0
	s_waitcnt lgkmcnt(0)
	v_max_f32_e32 v1, v1, v1
	v_max_f32_e32 v0, v0, v1
	v_lshl_add_u32 v1, v6, 5, s11
	ds_bpermute_b32 v0, v5, v0
	v_min_i32_e32 v1, v1, v170
	s_delay_alu instid0(VALU_DEP_1) | instskip(NEXT) | instid1(VALU_DEP_1)
	v_subrev_nc_u32_e32 v1, s11, v1
	v_cmp_lt_i32_e64 s2, v12, v1
	s_delay_alu instid0(VALU_DEP_1)
	s_and_saveexec_b32 s9, s2
	s_cbranch_execz .LBB281_977
; %bb.974:
	s_getpc_b64 s[18:19]
	s_add_u32 s18, s18, llvm.amdgcn.dynlds.offset.table@rel32@lo+4
	s_addc_u32 s19, s19, llvm.amdgcn.dynlds.offset.table@rel32@hi+12
	s_ashr_i32 s7, s6, 31
	v_mov_b32_e32 v5, 0
	s_lshl_b64 s[20:21], s[6:7], 2
	v_mov_b32_e32 v7, v12
	s_add_u32 s18, s20, s18
	s_addc_u32 s19, s21, s19
	s_mov_b32 s7, 0
	s_load_b32 s3, s[18:19], 0x0
	s_waitcnt lgkmcnt(0)
	v_lshl_add_u32 v6, v12, 2, s3
	.p2align	6
.LBB281_975:                            ; =>This Inner Loop Header: Depth=1
	ds_load_b32 v8, v6
	v_add_nc_u32_e32 v7, 0x80, v7
	s_delay_alu instid0(VALU_DEP_1) | instskip(NEXT) | instid1(VALU_DEP_1)
	v_cmp_ge_i32_e64 s3, v7, v1
	s_or_b32 s7, s3, s7
	s_waitcnt lgkmcnt(0)
	v_sub_f32_e32 v8, v8, v0
	s_delay_alu instid0(VALU_DEP_1) | instskip(NEXT) | instid1(VALU_DEP_1)
	v_mul_f32_e32 v8, 0x3fb8aa3b, v8
	v_exp_f32_e32 v8, v8
	ds_store_b32 v6, v8
	v_dual_add_f32 v5, v5, v8 :: v_dual_add_nc_u32 v6, 0x200, v6
	s_and_not1_b32 exec_lo, exec_lo, s7
	s_cbranch_execnz .LBB281_975
; %bb.976:
	s_or_b32 exec_lo, exec_lo, s7
.LBB281_977:
	s_delay_alu instid0(SALU_CYCLE_1)
	s_or_b32 exec_lo, exec_lo, s9
	ds_bpermute_b32 v2, v2, v5
	s_waitcnt lgkmcnt(0)
	v_add_f32_e32 v2, v5, v2
	ds_bpermute_b32 v3, v3, v2
	s_waitcnt lgkmcnt(0)
	v_add_f32_e32 v2, v2, v3
	;; [unrolled: 3-line block ×5, first 2 shown]
	s_and_saveexec_b32 s3, vcc_lo
	s_cbranch_execz .LBB281_979
; %bb.978:
	ds_store_b32 v4, v2 offset:496
.LBB281_979:
	s_or_b32 exec_lo, exec_lo, s3
	s_waitcnt vmcnt(0) lgkmcnt(0)
	s_barrier
	buffer_gl0_inv
	s_and_saveexec_b32 s3, s1
	s_cbranch_execz .LBB281_981
; %bb.980:
	ds_load_b32 v2, v23 offset:496
.LBB281_981:
	s_or_b32 exec_lo, exec_lo, s3
	s_waitcnt lgkmcnt(0)
	ds_bpermute_b32 v3, v21, v2
	s_waitcnt lgkmcnt(0)
	v_add_f32_e32 v2, v2, v3
	ds_bpermute_b32 v3, v20, v2
	s_waitcnt lgkmcnt(0)
	v_dual_add_f32 v2, v2, v3 :: v_dual_mov_b32 v3, 0
	ds_bpermute_b32 v2, v3, v2
	s_and_saveexec_b32 s1, s2
	s_cbranch_execz .LBB281_984
; %bb.982:
	s_waitcnt lgkmcnt(0)
	v_add_f32_e32 v4, 0x358637bd, v2
	s_getpc_b64 s[2:3]
	s_add_u32 s2, s2, llvm.amdgcn.dynlds.offset.table@rel32@lo+4
	s_addc_u32 s3, s3, llvm.amdgcn.dynlds.offset.table@rel32@hi+12
	s_ashr_i32 s7, s6, 31
	s_delay_alu instid0(SALU_CYCLE_1) | instskip(SKIP_4) | instid1(VALU_DEP_1)
	s_lshl_b64 s[18:19], s[6:7], 2
	v_div_scale_f32 v3, null, v4, v4, 1.0
	s_add_u32 s2, s18, s2
	s_addc_u32 s3, s19, s3
	s_load_b32 s2, s[2:3], 0x0
	v_rcp_f32_e32 v5, v3
	s_waitcnt_depctr 0xfff
	v_fma_f32 v6, -v3, v5, 1.0
	s_delay_alu instid0(VALU_DEP_1) | instskip(SKIP_1) | instid1(VALU_DEP_1)
	v_fmac_f32_e32 v5, v6, v5
	v_div_scale_f32 v7, vcc_lo, 1.0, v4, 1.0
	v_mul_f32_e32 v6, v7, v5
	s_delay_alu instid0(VALU_DEP_1) | instskip(NEXT) | instid1(VALU_DEP_1)
	v_fma_f32 v8, -v3, v6, v7
	v_fmac_f32_e32 v6, v8, v5
	s_delay_alu instid0(VALU_DEP_1) | instskip(NEXT) | instid1(VALU_DEP_1)
	v_fma_f32 v3, -v3, v6, v7
	v_div_fmas_f32 v5, v3, v5, v6
	s_waitcnt lgkmcnt(0)
	v_lshl_add_u32 v3, v12, 2, s2
	s_mov_b32 s2, 0
	s_delay_alu instid0(VALU_DEP_2)
	v_div_fixup_f32 v4, v5, v4, 1.0
	v_mov_b32_e32 v5, v12
.LBB281_983:                            ; =>This Inner Loop Header: Depth=1
	ds_load_b32 v6, v3
	s_waitcnt lgkmcnt(0)
	v_dual_mul_f32 v6, v4, v6 :: v_dual_add_nc_u32 v5, 0x80, v5
	s_delay_alu instid0(VALU_DEP_1) | instskip(SKIP_3) | instid1(SALU_CYCLE_1)
	v_cmp_ge_i32_e32 vcc_lo, v5, v1
	ds_store_b32 v3, v6
	v_add_nc_u32_e32 v3, 0x200, v3
	s_or_b32 s2, vcc_lo, s2
	s_and_not1_b32 exec_lo, exec_lo, s2
	s_cbranch_execnz .LBB281_983
.LBB281_984:
	s_or_b32 exec_lo, exec_lo, s1
	v_cmp_ne_u16_e64 s1, s8, 0
	s_waitcnt lgkmcnt(0)
	s_barrier
	buffer_gl0_inv
	s_cmp_lg_u32 s1, 0
	s_addc_u32 s1, s5, 0
	s_mov_b32 s5, exec_lo
	s_mul_i32 s2, s1, s10
	s_delay_alu instid0(SALU_CYCLE_1)
	s_mul_i32 s2, s2, s15
	v_cmpx_eq_u32_e32 0, v12
	s_cbranch_execz .LBB281_986
; %bb.985:
	s_mul_i32 s8, s1, s12
	s_ashr_i32 s15, s14, 31
	s_ashr_i32 s9, s8, 31
	;; [unrolled: 1-line block ×3, first 2 shown]
	s_lshl_b64 s[8:9], s[8:9], 2
	s_lshl_b64 s[12:13], s[14:15], 2
	;; [unrolled: 1-line block ×3, first 2 shown]
	s_add_u32 s3, s12, s8
	s_addc_u32 s7, s13, s9
	s_add_u32 s3, s3, s18
	s_addc_u32 s7, s7, s19
	v_add_co_u32 v3, vcc_lo, s3, v29
	v_add_co_ci_u32_e32 v4, vcc_lo, s7, v28, vcc_lo
	v_add_co_u32 v5, vcc_lo, s3, v25
	v_add_co_ci_u32_e32 v6, vcc_lo, s7, v24, vcc_lo
	flat_store_b32 v[3:4], v0
	flat_store_b32 v[5:6], v2
.LBB281_986:
	s_or_b32 exec_lo, exec_lo, s5
                                        ; implicit-def: $sgpr5
	s_and_saveexec_b32 s3, s0
	s_delay_alu instid0(SALU_CYCLE_1)
	s_xor_b32 s0, exec_lo, s3
; %bb.987:
	s_ashr_i32 s7, s6, 31
	s_mov_b32 s5, 0
                                        ; implicit-def: $vgpr170
                                        ; implicit-def: $vgpr18
                                        ; implicit-def: $vgpr186
                                        ; implicit-def: $vgpr171
                                        ; implicit-def: $vgpr10
                                        ; implicit-def: $vgpr11
                                        ; implicit-def: $vgpr14
                                        ; implicit-def: $vgpr15
                                        ; implicit-def: $vgpr22
                                        ; implicit-def: $vgpr26_vgpr27
                                        ; implicit-def: $vgpr19
                                        ; implicit-def: $vgpr71
                                        ; implicit-def: $vgpr16_vgpr17
; %bb.988:
	s_or_saveexec_b32 s3, s0
	v_dual_mov_b32 v67, s5 :: v_dual_mov_b32 v0, s6
	v_dual_mov_b32 v1, s7 :: v_dual_mov_b32 v68, s5
	;; [unrolled: 1-line block ×3, first 2 shown]
	v_dual_mov_b32 v64, s5 :: v_dual_and_b32 v23, 7, v12
	v_dual_mov_b32 v69, s5 :: v_dual_mov_b32 v54, s5
	v_dual_mov_b32 v65, s5 :: v_dual_mov_b32 v52, s5
	;; [unrolled: 1-line block ×12, first 2 shown]
	v_mov_b32_e32 v185, s5
	v_mov_b32_e32 v25, s5
	s_xor_b32 exec_lo, exec_lo, s3
	s_cbranch_execz .LBB281_2012
; %bb.989:
	scratch_load_b32 v8, off, s32 offset:1092 ; 4-byte Folded Reload
	flat_load_b32 v70, v[26:27]
	s_ashr_i32 s7, s6, 31
	s_getpc_b64 s[8:9]
	s_add_u32 s8, s8, llvm.amdgcn.dynlds.offset.table@rel32@lo+4
	s_addc_u32 s9, s9, llvm.amdgcn.dynlds.offset.table@rel32@hi+12
	v_dual_mov_b32 v7, 0 :: v_dual_lshlrev_b32 v2, 2, v173
	v_lshlrev_b64 v[0:1], 2, v[171:172]
	v_add_co_u32 v3, vcc_lo, v10, v19
	v_dual_mov_b32 v25, 0 :: v_dual_lshlrev_b32 v6, 4, v23
	s_delay_alu instid0(VALU_DEP_4)
	v_and_b32_e32 v10, 28, v2
	v_and_b32_e32 v2, 0x7c, v2
	v_add_co_ci_u32_e32 v4, vcc_lo, v11, v71, vcc_lo
	v_add_co_u32 v0, vcc_lo, v16, v0
	v_add_co_ci_u32_e32 v1, vcc_lo, v17, v1, vcc_lo
	v_dual_mov_b32 v24, 0 :: v_dual_add_nc_u32 v71, -1, v18
	v_dual_mov_b32 v184, 0 :: v_dual_mov_b32 v185, 0
	v_dual_mov_b32 v28, 0 :: v_dual_mov_b32 v29, 0
	;; [unrolled: 1-line block ×14, first 2 shown]
	s_waitcnt vmcnt(1)
	v_lshl_add_u32 v5, v8, 5, s11
	s_lshl_b64 s[10:11], s[6:7], 2
	v_lshl_or_b32 v6, v8, 7, v6
	s_add_u32 s8, s10, s8
	s_addc_u32 s9, s11, s9
	v_add_co_u32 v8, vcc_lo, v3, v2
	s_load_b32 s0, s[8:9], 0x0
	v_add_co_ci_u32_e32 v9, vcc_lo, 0, v4, vcc_lo
	v_add3_u32 v80, v5, v10, 3
	v_add_co_u32 v10, vcc_lo, v14, v0
	v_add_co_ci_u32_e32 v11, vcc_lo, v15, v1, vcc_lo
	s_mov_b32 s8, 0
	s_brev_b32 s9, 1
	s_mov_b32 s11, 0x7f800001
	s_mov_b32 s5, s8
	s_waitcnt vmcnt(0) lgkmcnt(0)
	v_dual_mov_b32 v82, v70 :: v_dual_add_nc_u32 v81, s0, v6
	s_branch .LBB281_991
.LBB281_990:                            ;   in Loop: Header=BB281_991 Depth=1
	s_or_b32 exec_lo, exec_lo, s0
	v_mul_f32_e32 v14, v1, v157
	v_mul_f32_e32 v16, v1, v141
	;; [unrolled: 1-line block ×4, first 2 shown]
	s_delay_alu instid0(VALU_DEP_4) | instskip(NEXT) | instid1(VALU_DEP_4)
	v_dual_fmac_f32 v14, v0, v156 :: v_dual_add_nc_u32 v171, 4, v171
	v_dual_fmac_f32 v16, v0, v140 :: v_dual_mul_f32 v17, v1, v137
	s_delay_alu instid0(VALU_DEP_4) | instskip(NEXT) | instid1(VALU_DEP_3)
	v_fmac_f32_e32 v13, v0, v158
	v_dual_fmac_f32 v15, v0, v152 :: v_dual_fmac_f32 v14, v2, v155
	s_delay_alu instid0(VALU_DEP_3) | instskip(NEXT) | instid1(VALU_DEP_3)
	v_dual_fmac_f32 v16, v2, v139 :: v_dual_fmac_f32 v17, v0, v136
	v_fmac_f32_e32 v13, v2, v19
	s_delay_alu instid0(VALU_DEP_3) | instskip(NEXT) | instid1(VALU_DEP_3)
	v_dual_fmac_f32 v15, v2, v143 :: v_dual_fmac_f32 v14, v3, v154
	v_dual_fmac_f32 v16, v3, v138 :: v_dual_fmac_f32 v17, v2, v127
	s_delay_alu instid0(VALU_DEP_3) | instskip(NEXT) | instid1(VALU_DEP_3)
	v_fmac_f32_e32 v13, v3, v18
	v_fmac_f32_e32 v15, v3, v142
	s_delay_alu instid0(VALU_DEP_4) | instskip(NEXT) | instid1(VALU_DEP_4)
	v_add_f32_e32 v184, v184, v14
	v_dual_mul_f32 v14, v1, v121 :: v_dual_fmac_f32 v17, v3, v126
	v_add_f32_e32 v28, v28, v16
	v_mul_f32_e32 v16, v1, v105
	s_delay_alu instid0(VALU_DEP_3) | instskip(SKIP_1) | instid1(VALU_DEP_3)
	v_dual_add_f32 v25, v25, v13 :: v_dual_fmac_f32 v14, v0, v120
	v_mul_f32_e32 v13, v1, v125
	v_dual_add_f32 v29, v29, v17 :: v_dual_fmac_f32 v16, v0, v104
	v_cmp_ge_i32_e32 vcc_lo, v171, v186
	s_delay_alu instid0(VALU_DEP_3) | instskip(SKIP_1) | instid1(VALU_DEP_4)
	v_dual_fmac_f32 v14, v2, v111 :: v_dual_fmac_f32 v13, v0, v124
	v_add_co_u32 v10, s0, v10, 16
	v_dual_fmac_f32 v16, v2, v95 :: v_dual_mul_f32 v17, v1, v93
	s_delay_alu instid0(VALU_DEP_3) | instskip(SKIP_1) | instid1(VALU_DEP_3)
	v_dual_fmac_f32 v13, v2, v123 :: v_dual_fmac_f32 v14, v3, v110
	v_add_co_ci_u32_e64 v11, s0, 0, v11, s0
	v_dual_fmac_f32 v16, v3, v94 :: v_dual_fmac_f32 v17, v0, v92
	s_delay_alu instid0(VALU_DEP_3) | instskip(SKIP_2) | instid1(VALU_DEP_4)
	v_fmac_f32_e32 v13, v3, v122
	v_add_f32_e32 v185, v185, v15
	v_mul_f32_e32 v15, v1, v109
	v_add_f32_e32 v33, v33, v16
	v_dual_mul_f32 v16, v1, v61 :: v_dual_fmac_f32 v17, v2, v91
	v_add_nc_u32_e32 v81, 0x200, v81
	s_or_b32 s5, vcc_lo, s5
	v_add_nc_u32_e32 v80, 0x80, v80
	s_delay_alu instid0(VALU_DEP_3) | instskip(NEXT) | instid1(VALU_DEP_1)
	v_dual_fmac_f32 v16, v0, v60 :: v_dual_fmac_f32 v17, v3, v90
	v_dual_fmac_f32 v16, v2, v59 :: v_dual_fmac_f32 v15, v0, v108
	s_delay_alu instid0(VALU_DEP_2) | instskip(NEXT) | instid1(VALU_DEP_2)
	v_add_f32_e32 v34, v34, v17
	v_fmac_f32_e32 v16, v3, v58
	v_dual_add_f32 v31, v31, v14 :: v_dual_mul_f32 v14, v1, v77
	s_delay_alu instid0(VALU_DEP_4) | instskip(NEXT) | instid1(VALU_DEP_3)
	v_fmac_f32_e32 v15, v2, v107
	v_add_f32_e32 v38, v38, v16
	v_mul_f32_e32 v16, v1, v177
	s_delay_alu instid0(VALU_DEP_3) | instskip(NEXT) | instid1(VALU_DEP_2)
	v_dual_fmac_f32 v14, v0, v76 :: v_dual_fmac_f32 v15, v3, v106
	v_fmac_f32_e32 v16, v0, v176
	s_delay_alu instid0(VALU_DEP_2) | instskip(NEXT) | instid1(VALU_DEP_3)
	v_fmac_f32_e32 v14, v2, v75
	v_add_f32_e32 v32, v32, v15
	v_add_f32_e32 v30, v30, v13
	s_delay_alu instid0(VALU_DEP_4) | instskip(NEXT) | instid1(VALU_DEP_4)
	v_dual_mul_f32 v13, v1, v89 :: v_dual_fmac_f32 v16, v2, v167
	v_dual_fmac_f32 v14, v3, v74 :: v_dual_mul_f32 v15, v1, v73
	s_delay_alu instid0(VALU_DEP_2) | instskip(NEXT) | instid1(VALU_DEP_2)
	v_dual_fmac_f32 v13, v0, v88 :: v_dual_fmac_f32 v16, v3, v166
	v_add_f32_e32 v36, v36, v14
	v_mul_f32_e32 v14, v1, v41
	v_mul_f32_e32 v17, v1, v57
	s_delay_alu instid0(VALU_DEP_4) | instskip(SKIP_1) | instid1(VALU_DEP_4)
	v_fmac_f32_e32 v13, v2, v79
	v_dual_add_f32 v51, v51, v16 :: v_dual_mul_f32 v16, v1, v133
	v_fmac_f32_e32 v14, v0, v40
	s_delay_alu instid0(VALU_DEP_4) | instskip(NEXT) | instid1(VALU_DEP_4)
	v_fmac_f32_e32 v17, v0, v56
	v_fmac_f32_e32 v13, v3, v78
	;; [unrolled: 1-line block ×6, first 2 shown]
	v_add_f32_e32 v35, v35, v13
	s_delay_alu instid0(VALU_DEP_4) | instskip(NEXT) | instid1(VALU_DEP_4)
	v_dual_mul_f32 v13, v1, v45 :: v_dual_fmac_f32 v16, v2, v131
	v_fmac_f32_e32 v14, v3, v182
	s_delay_alu instid0(VALU_DEP_4) | instskip(NEXT) | instid1(VALU_DEP_3)
	v_fmac_f32_e32 v17, v3, v46
	v_dual_fmac_f32 v13, v0, v44 :: v_dual_fmac_f32 v16, v3, v130
	s_delay_alu instid0(VALU_DEP_3) | instskip(SKIP_1) | instid1(VALU_DEP_4)
	v_add_f32_e32 v49, v49, v14
	v_mul_f32_e32 v14, v1, v149
	v_add_f32_e32 v39, v39, v17
	v_mul_f32_e32 v17, v1, v165
	v_dual_fmac_f32 v13, v2, v43 :: v_dual_add_f32 v64, v64, v16
	s_delay_alu instid0(VALU_DEP_4) | instskip(NEXT) | instid1(VALU_DEP_3)
	v_fmac_f32_e32 v14, v0, v148
	v_dual_mul_f32 v16, v1, v86 :: v_dual_fmac_f32 v17, v0, v164
	s_delay_alu instid0(VALU_DEP_3) | instskip(SKIP_1) | instid1(VALU_DEP_4)
	v_fmac_f32_e32 v13, v3, v42
	v_fmac_f32_e32 v15, v2, v63
	;; [unrolled: 1-line block ×3, first 2 shown]
	s_delay_alu instid0(VALU_DEP_4) | instskip(NEXT) | instid1(VALU_DEP_4)
	v_dual_fmac_f32 v16, v0, v85 :: v_dual_fmac_f32 v17, v2, v163
	v_add_f32_e32 v48, v48, v13
	s_delay_alu instid0(VALU_DEP_3) | instskip(NEXT) | instid1(VALU_DEP_3)
	v_fmac_f32_e32 v14, v3, v146
	v_dual_fmac_f32 v16, v2, v84 :: v_dual_fmac_f32 v17, v3, v162
	v_fmac_f32_e32 v15, v3, v62
	s_delay_alu instid0(VALU_DEP_3) | instskip(SKIP_1) | instid1(VALU_DEP_3)
	v_add_f32_e32 v54, v54, v14
	v_mul_f32_e32 v14, v1, v113
	v_dual_add_f32 v52, v52, v17 :: v_dual_add_f32 v37, v37, v15
	v_dual_mul_f32 v15, v1, v181 :: v_dual_fmac_f32 v16, v3, v83
	s_delay_alu instid0(VALU_DEP_3) | instskip(NEXT) | instid1(VALU_DEP_2)
	v_dual_fmac_f32 v14, v0, v112 :: v_dual_mul_f32 v13, v1, v161
	v_fmac_f32_e32 v15, v0, v180
	s_delay_alu instid0(VALU_DEP_2) | instskip(NEXT) | instid1(VALU_DEP_3)
	v_dual_add_f32 v67, v67, v16 :: v_dual_fmac_f32 v14, v2, v103
	v_fmac_f32_e32 v13, v0, v160
	s_delay_alu instid0(VALU_DEP_2) | instskip(NEXT) | instid1(VALU_DEP_2)
	v_dual_fmac_f32 v15, v2, v179 :: v_dual_fmac_f32 v14, v3, v102
	v_fmac_f32_e32 v13, v2, v151
	v_mul_f32_e32 v17, v1, v129
	s_delay_alu instid0(VALU_DEP_3) | instskip(NEXT) | instid1(VALU_DEP_4)
	v_fmac_f32_e32 v15, v3, v178
	v_add_f32_e32 v68, v68, v14
	s_delay_alu instid0(VALU_DEP_4) | instskip(NEXT) | instid1(VALU_DEP_3)
	v_fmac_f32_e32 v13, v3, v150
	v_dual_fmac_f32 v17, v0, v128 :: v_dual_add_f32 v50, v50, v15
	v_mul_f32_e32 v15, v1, v145
	s_delay_alu instid0(VALU_DEP_3) | instskip(SKIP_1) | instid1(VALU_DEP_4)
	v_add_f32_e32 v53, v53, v13
	v_mul_f32_e32 v13, v1, v117
	v_fmac_f32_e32 v17, v2, v119
	s_delay_alu instid0(VALU_DEP_4) | instskip(NEXT) | instid1(VALU_DEP_3)
	v_fmac_f32_e32 v15, v0, v144
	v_fmac_f32_e32 v13, v0, v116
	s_delay_alu instid0(VALU_DEP_3) | instskip(NEXT) | instid1(VALU_DEP_3)
	v_fmac_f32_e32 v17, v3, v118
	v_fmac_f32_e32 v15, v2, v135
	s_delay_alu instid0(VALU_DEP_3) | instskip(NEXT) | instid1(VALU_DEP_3)
	v_fmac_f32_e32 v13, v2, v115
	v_add_f32_e32 v65, v65, v17
	s_delay_alu instid0(VALU_DEP_3) | instskip(NEXT) | instid1(VALU_DEP_3)
	v_fmac_f32_e32 v15, v3, v134
	v_fmac_f32_e32 v13, v3, v114
	s_delay_alu instid0(VALU_DEP_2) | instskip(SKIP_1) | instid1(VALU_DEP_3)
	v_add_f32_e32 v55, v55, v15
	v_mul_f32_e32 v15, v1, v101
	v_dual_mul_f32 v1, v1, v12 :: v_dual_add_f32 v66, v66, v13
	s_delay_alu instid0(VALU_DEP_2) | instskip(NEXT) | instid1(VALU_DEP_2)
	v_fmac_f32_e32 v15, v0, v100
	v_fmac_f32_e32 v1, v0, v6
	s_delay_alu instid0(VALU_DEP_2) | instskip(NEXT) | instid1(VALU_DEP_2)
	v_fmac_f32_e32 v15, v2, v99
	v_fmac_f32_e32 v1, v2, v5
	;; [unrolled: 3-line block ×3, first 2 shown]
	s_delay_alu instid0(VALU_DEP_1)
	v_dual_add_f32 v69, v69, v15 :: v_dual_add_f32 v24, v24, v1
	s_and_not1_b32 exec_lo, exec_lo, s5
	s_cbranch_execz .LBB281_2011
.LBB281_991:                            ; =>This Inner Loop Header: Depth=1
	flat_load_b32 v0, v[10:11]
	v_mov_b32_e32 v14, 0
	s_mov_b32 s0, exec_lo
	s_waitcnt vmcnt(0) lgkmcnt(0)
	v_mad_i64_i32 v[12:13], null, v0, v22, v[8:9]
	ds_load_b128 v[0:3], v81
	flat_load_b32 v83, v[12:13]
	s_waitcnt vmcnt(0) lgkmcnt(0)
	v_dual_mov_b32 v15, 0 :: v_dual_and_b32 v6, 0xff, v83
	s_delay_alu instid0(VALU_DEP_1) | instskip(NEXT) | instid1(VALU_DEP_2)
	v_dual_mov_b32 v4, v14 :: v_dual_mov_b32 v5, v15
	v_cmpx_ne_u16_e32 0, v6
	s_cbranch_execz .LBB281_999
; %bb.992:                              ;   in Loop: Header=BB281_991 Depth=1
	v_bfrev_b32_e32 v4, 1
	v_mov_b32_e32 v5, 0
	s_mov_b32 s10, exec_lo
	v_cmpx_ne_u16_e32 0x80, v6
	s_cbranch_execz .LBB281_998
; %bb.993:                              ;   in Loop: Header=BB281_991 Depth=1
	v_mov_b32_e32 v4, 0x7f800001
	v_dual_mov_b32 v5, 0 :: v_dual_and_b32 v16, 0x7f, v83
	s_mov_b32 s12, exec_lo
	s_delay_alu instid0(VALU_DEP_1)
	v_cmpx_ne_u32_e32 0x7f, v16
	s_cbranch_execz .LBB281_997
; %bb.994:                              ;   in Loop: Header=BB281_991 Depth=1
	v_and_b32_e32 v6, 7, v83
	v_lshrrev_b32_e32 v4, 3, v16
	s_mov_b32 s13, exec_lo
	v_cmpx_gt_u32_e32 8, v16
; %bb.995:                              ;   in Loop: Header=BB281_991 Depth=1
	s_delay_alu instid0(VALU_DEP_3) | instskip(NEXT) | instid1(VALU_DEP_1)
	v_clz_i32_u32_e32 v4, v6
	v_min_u32_e32 v4, 32, v4
	s_delay_alu instid0(VALU_DEP_1) | instskip(SKIP_1) | instid1(VALU_DEP_2)
	v_subrev_nc_u32_e32 v5, 28, v4
	v_sub_nc_u32_e32 v4, 29, v4
	v_lshlrev_b64 v[5:6], v5, v[6:7]
	s_delay_alu instid0(VALU_DEP_1)
	v_and_b32_e32 v6, 7, v5
; %bb.996:                              ;   in Loop: Header=BB281_991 Depth=1
	s_or_b32 exec_lo, exec_lo, s13
	v_lshlrev_b32_e32 v5, 24, v83
	s_delay_alu instid0(VALU_DEP_2) | instskip(SKIP_1) | instid1(VALU_DEP_3)
	v_lshlrev_b32_e32 v6, 20, v6
	v_lshl_add_u32 v4, v4, 23, 0x3c000000
	v_and_b32_e32 v5, 0x80000000, v5
	s_delay_alu instid0(VALU_DEP_1) | instskip(NEXT) | instid1(VALU_DEP_1)
	v_or3_b32 v6, v6, v5, v4
	v_dual_mov_b32 v4, v6 :: v_dual_mov_b32 v5, v7
.LBB281_997:                            ;   in Loop: Header=BB281_991 Depth=1
	s_or_b32 exec_lo, exec_lo, s12
.LBB281_998:                            ;   in Loop: Header=BB281_991 Depth=1
	s_delay_alu instid0(SALU_CYCLE_1)
	s_or_b32 exec_lo, exec_lo, s10
.LBB281_999:                            ;   in Loop: Header=BB281_991 Depth=1
	s_delay_alu instid0(SALU_CYCLE_1) | instskip(SKIP_2) | instid1(VALU_DEP_1)
	s_or_b32 exec_lo, exec_lo, s0
	v_lshrrev_b16 v6, 8, v83
	s_mov_b32 s0, exec_lo
	v_cmpx_ne_u16_e32 0, v6
	s_cbranch_execz .LBB281_1007
; %bb.1000:                             ;   in Loop: Header=BB281_991 Depth=1
	v_dual_mov_b32 v15, s9 :: v_dual_mov_b32 v14, s8
	s_mov_b32 s12, exec_lo
	v_cmpx_ne_u16_e32 0x80, v6
	s_cbranch_execz .LBB281_1006
; %bb.1001:                             ;   in Loop: Header=BB281_991 Depth=1
	s_mov_b32 s10, s8
	v_dual_mov_b32 v15, s11 :: v_dual_and_b32 v6, 0xffff, v6
	v_mov_b32_e32 v14, s10
	s_mov_b32 s10, exec_lo
	s_delay_alu instid0(VALU_DEP_2) | instskip(NEXT) | instid1(VALU_DEP_1)
	v_and_b32_e32 v16, 0x7f, v6
	v_cmpx_ne_u32_e32 0x7f, v16
	s_cbranch_execz .LBB281_1005
; %bb.1002:                             ;   in Loop: Header=BB281_991 Depth=1
	v_and_b32_e32 v6, 7, v6
	v_lshrrev_b32_e32 v14, 3, v16
	s_mov_b32 s13, exec_lo
	v_cmpx_gt_u32_e32 8, v16
; %bb.1003:                             ;   in Loop: Header=BB281_991 Depth=1
	s_delay_alu instid0(VALU_DEP_3) | instskip(NEXT) | instid1(VALU_DEP_1)
	v_clz_i32_u32_e32 v14, v6
	v_min_u32_e32 v14, 32, v14
	s_delay_alu instid0(VALU_DEP_1) | instskip(SKIP_1) | instid1(VALU_DEP_2)
	v_subrev_nc_u32_e32 v15, 28, v14
	v_sub_nc_u32_e32 v14, 29, v14
	v_lshlrev_b64 v[15:16], v15, v[6:7]
	s_delay_alu instid0(VALU_DEP_1)
	v_and_b32_e32 v6, 7, v15
; %bb.1004:                             ;   in Loop: Header=BB281_991 Depth=1
	s_or_b32 exec_lo, exec_lo, s13
	v_lshlrev_b32_e32 v15, 16, v83
	s_delay_alu instid0(VALU_DEP_2) | instskip(SKIP_1) | instid1(VALU_DEP_3)
	v_lshlrev_b32_e32 v6, 20, v6
	v_lshl_add_u32 v14, v14, 23, 0x3c000000
	v_and_b32_e32 v15, 0x80000000, v15
	s_delay_alu instid0(VALU_DEP_1)
	v_or3_b32 v15, v6, v15, v14
	v_mov_b32_e32 v14, v7
.LBB281_1005:                           ;   in Loop: Header=BB281_991 Depth=1
	s_or_b32 exec_lo, exec_lo, s10
.LBB281_1006:                           ;   in Loop: Header=BB281_991 Depth=1
	s_delay_alu instid0(SALU_CYCLE_1)
	s_or_b32 exec_lo, exec_lo, s12
.LBB281_1007:                           ;   in Loop: Header=BB281_991 Depth=1
	s_delay_alu instid0(SALU_CYCLE_1) | instskip(SKIP_4) | instid1(VALU_DEP_2)
	s_or_b32 exec_lo, exec_lo, s0
	v_mov_b32_e32 v18, 0
	v_lshrrev_b32_e32 v84, 16, v83
	v_mov_b32_e32 v19, 0
	s_mov_b32 s0, exec_lo
	v_and_b32_e32 v6, 0xff, v84
	s_delay_alu instid0(VALU_DEP_2) | instskip(NEXT) | instid1(VALU_DEP_2)
	v_dual_mov_b32 v16, v18 :: v_dual_mov_b32 v17, v19
	v_cmpx_ne_u16_e32 0, v6
	s_cbranch_execz .LBB281_1015
; %bb.1008:                             ;   in Loop: Header=BB281_991 Depth=1
	v_bfrev_b32_e32 v16, 1
	v_mov_b32_e32 v17, 0
	s_mov_b32 s10, exec_lo
	v_cmpx_ne_u16_e32 0x80, v6
	s_cbranch_execz .LBB281_1014
; %bb.1009:                             ;   in Loop: Header=BB281_991 Depth=1
	v_mov_b32_e32 v16, 0x7f800001
	v_bfe_u32 v85, v83, 16, 7
	v_mov_b32_e32 v17, 0
	s_mov_b32 s12, exec_lo
	s_delay_alu instid0(VALU_DEP_2)
	v_cmpx_ne_u32_e32 0x7f, v85
	s_cbranch_execz .LBB281_1013
; %bb.1010:                             ;   in Loop: Header=BB281_991 Depth=1
	v_and_b32_e32 v6, 7, v84
	v_lshrrev_b32_e32 v16, 3, v85
	s_mov_b32 s13, exec_lo
	v_cmpx_gt_u32_e32 8, v85
; %bb.1011:                             ;   in Loop: Header=BB281_991 Depth=1
	s_delay_alu instid0(VALU_DEP_3) | instskip(NEXT) | instid1(VALU_DEP_1)
	v_clz_i32_u32_e32 v16, v6
	v_min_u32_e32 v16, 32, v16
	s_delay_alu instid0(VALU_DEP_1) | instskip(SKIP_1) | instid1(VALU_DEP_2)
	v_subrev_nc_u32_e32 v17, 28, v16
	v_sub_nc_u32_e32 v16, 29, v16
	v_lshlrev_b64 v[85:86], v17, v[6:7]
	s_delay_alu instid0(VALU_DEP_1)
	v_and_b32_e32 v6, 7, v85
; %bb.1012:                             ;   in Loop: Header=BB281_991 Depth=1
	s_or_b32 exec_lo, exec_lo, s13
	v_lshlrev_b32_e32 v17, 24, v84
	s_delay_alu instid0(VALU_DEP_2) | instskip(SKIP_1) | instid1(VALU_DEP_3)
	v_lshlrev_b32_e32 v6, 20, v6
	v_lshl_add_u32 v16, v16, 23, 0x3c000000
	v_and_b32_e32 v17, 0x80000000, v17
	s_delay_alu instid0(VALU_DEP_1) | instskip(NEXT) | instid1(VALU_DEP_1)
	v_or3_b32 v6, v6, v17, v16
	v_dual_mov_b32 v17, v7 :: v_dual_mov_b32 v16, v6
.LBB281_1013:                           ;   in Loop: Header=BB281_991 Depth=1
	s_or_b32 exec_lo, exec_lo, s12
.LBB281_1014:                           ;   in Loop: Header=BB281_991 Depth=1
	s_delay_alu instid0(SALU_CYCLE_1)
	s_or_b32 exec_lo, exec_lo, s10
.LBB281_1015:                           ;   in Loop: Header=BB281_991 Depth=1
	s_delay_alu instid0(SALU_CYCLE_1) | instskip(NEXT) | instid1(SALU_CYCLE_1)
	s_or_b32 exec_lo, exec_lo, s0
	s_mov_b32 s0, exec_lo
	v_cmpx_lt_u32_e32 0xffffff, v83
	s_cbranch_execz .LBB281_1023
; %bb.1016:                             ;   in Loop: Header=BB281_991 Depth=1
	v_lshrrev_b32_e32 v84, 24, v83
	v_dual_mov_b32 v19, s9 :: v_dual_mov_b32 v18, s8
	s_mov_b32 s12, exec_lo
	s_delay_alu instid0(VALU_DEP_2)
	v_cmpx_ne_u32_e32 0x80, v84
	s_cbranch_execz .LBB281_1022
; %bb.1017:                             ;   in Loop: Header=BB281_991 Depth=1
	s_mov_b32 s10, s8
	v_bfe_u32 v83, v83, 24, 7
	v_dual_mov_b32 v19, s11 :: v_dual_mov_b32 v18, s10
	s_mov_b32 s10, exec_lo
	s_delay_alu instid0(VALU_DEP_2)
	v_cmpx_ne_u32_e32 0x7f, v83
	s_cbranch_execz .LBB281_1021
; %bb.1018:                             ;   in Loop: Header=BB281_991 Depth=1
	v_and_b32_e32 v6, 7, v84
	v_lshrrev_b32_e32 v18, 3, v83
	s_mov_b32 s13, exec_lo
	v_cmpx_gt_u32_e32 8, v83
; %bb.1019:                             ;   in Loop: Header=BB281_991 Depth=1
	s_delay_alu instid0(VALU_DEP_3) | instskip(NEXT) | instid1(VALU_DEP_1)
	v_clz_i32_u32_e32 v18, v6
	v_min_u32_e32 v18, 32, v18
	s_delay_alu instid0(VALU_DEP_1) | instskip(SKIP_1) | instid1(VALU_DEP_2)
	v_subrev_nc_u32_e32 v19, 28, v18
	v_sub_nc_u32_e32 v18, 29, v18
	v_lshlrev_b64 v[85:86], v19, v[6:7]
	s_delay_alu instid0(VALU_DEP_1)
	v_and_b32_e32 v6, 7, v85
; %bb.1020:                             ;   in Loop: Header=BB281_991 Depth=1
	s_or_b32 exec_lo, exec_lo, s13
	v_lshlrev_b32_e32 v19, 24, v84
	s_delay_alu instid0(VALU_DEP_2) | instskip(SKIP_1) | instid1(VALU_DEP_3)
	v_lshlrev_b32_e32 v6, 20, v6
	v_lshl_add_u32 v18, v18, 23, 0x3c000000
	v_and_b32_e32 v19, 0x80000000, v19
	s_delay_alu instid0(VALU_DEP_1)
	v_or3_b32 v19, v6, v19, v18
	v_mov_b32_e32 v18, v7
.LBB281_1021:                           ;   in Loop: Header=BB281_991 Depth=1
	s_or_b32 exec_lo, exec_lo, s10
.LBB281_1022:                           ;   in Loop: Header=BB281_991 Depth=1
	s_delay_alu instid0(SALU_CYCLE_1)
	s_or_b32 exec_lo, exec_lo, s12
.LBB281_1023:                           ;   in Loop: Header=BB281_991 Depth=1
	s_delay_alu instid0(SALU_CYCLE_1) | instskip(SKIP_4) | instid1(VALU_DEP_4)
	s_or_b32 exec_lo, exec_lo, s0
	v_or_b32_e32 v5, v15, v5
	v_or_b32_e32 v4, v14, v4
	;; [unrolled: 1-line block ×4, first 2 shown]
	v_dual_mul_f32 v86, v82, v5 :: v_dual_add_nc_u32 v87, -3, v80
	v_cmp_eq_u32_e32 vcc_lo, v71, v171
	v_mul_f32_e32 v85, v70, v4
	v_dual_mul_f32 v83, v82, v6 :: v_dual_add_nc_u32 v96, -1, v80
	v_dual_mul_f32 v84, v70, v14 :: v_dual_add_nc_u32 v97, -2, v80
	s_and_saveexec_b32 s10, vcc_lo
; %bb.1024:                             ;   in Loop: Header=BB281_991 Depth=1
	v_cmp_lt_i32_e64 s0, v87, v170
	s_delay_alu instid0(VALU_DEP_1) | instskip(NEXT) | instid1(VALU_DEP_3)
	v_cndmask_b32_e64 v85, 0, v85, s0
	v_cmp_lt_i32_e64 s0, v97, v170
	s_delay_alu instid0(VALU_DEP_1) | instskip(SKIP_1) | instid1(VALU_DEP_1)
	v_cndmask_b32_e64 v86, 0, v86, s0
	v_cmp_lt_i32_e64 s0, v96, v170
	v_cndmask_b32_e64 v84, 0, v84, s0
	v_cmp_lt_i32_e64 s0, v80, v170
	s_delay_alu instid0(VALU_DEP_1)
	v_cndmask_b32_e64 v83, 0, v83, s0
; %bb.1025:                             ;   in Loop: Header=BB281_991 Depth=1
	s_or_b32 exec_lo, exec_lo, s10
	flat_load_b32 v98, v[12:13] offset:128
	v_mov_b32_e32 v14, 0
	v_mov_b32_e32 v15, 0
	s_mov_b32 s10, exec_lo
	s_waitcnt vmcnt(0) lgkmcnt(0)
	v_and_b32_e32 v6, 0xff, v98
	s_delay_alu instid0(VALU_DEP_2) | instskip(NEXT) | instid1(VALU_DEP_2)
	v_dual_mov_b32 v4, v14 :: v_dual_mov_b32 v5, v15
	v_cmpx_ne_u16_e32 0, v6
	s_cbranch_execz .LBB281_1033
; %bb.1026:                             ;   in Loop: Header=BB281_991 Depth=1
	v_bfrev_b32_e32 v4, 1
	v_mov_b32_e32 v5, 0
	s_mov_b32 s12, exec_lo
	v_cmpx_ne_u16_e32 0x80, v6
	s_cbranch_execz .LBB281_1032
; %bb.1027:                             ;   in Loop: Header=BB281_991 Depth=1
	v_mov_b32_e32 v4, 0x7f800001
	v_dual_mov_b32 v5, 0 :: v_dual_and_b32 v16, 0x7f, v98
	s_mov_b32 s13, exec_lo
	s_delay_alu instid0(VALU_DEP_1)
	v_cmpx_ne_u32_e32 0x7f, v16
	s_cbranch_execz .LBB281_1031
; %bb.1028:                             ;   in Loop: Header=BB281_991 Depth=1
	v_and_b32_e32 v6, 7, v98
	v_lshrrev_b32_e32 v4, 3, v16
	s_mov_b32 s15, exec_lo
	v_cmpx_gt_u32_e32 8, v16
; %bb.1029:                             ;   in Loop: Header=BB281_991 Depth=1
	s_delay_alu instid0(VALU_DEP_3) | instskip(NEXT) | instid1(VALU_DEP_1)
	v_clz_i32_u32_e32 v4, v6
	v_min_u32_e32 v4, 32, v4
	s_delay_alu instid0(VALU_DEP_1) | instskip(SKIP_1) | instid1(VALU_DEP_2)
	v_subrev_nc_u32_e32 v5, 28, v4
	v_sub_nc_u32_e32 v4, 29, v4
	v_lshlrev_b64 v[5:6], v5, v[6:7]
	s_delay_alu instid0(VALU_DEP_1)
	v_and_b32_e32 v6, 7, v5
; %bb.1030:                             ;   in Loop: Header=BB281_991 Depth=1
	s_or_b32 exec_lo, exec_lo, s15
	v_lshlrev_b32_e32 v5, 24, v98
	s_delay_alu instid0(VALU_DEP_2) | instskip(SKIP_1) | instid1(VALU_DEP_3)
	v_lshlrev_b32_e32 v6, 20, v6
	v_lshl_add_u32 v4, v4, 23, 0x3c000000
	v_and_b32_e32 v5, 0x80000000, v5
	s_delay_alu instid0(VALU_DEP_1) | instskip(NEXT) | instid1(VALU_DEP_1)
	v_or3_b32 v6, v6, v5, v4
	v_dual_mov_b32 v4, v6 :: v_dual_mov_b32 v5, v7
.LBB281_1031:                           ;   in Loop: Header=BB281_991 Depth=1
	s_or_b32 exec_lo, exec_lo, s13
.LBB281_1032:                           ;   in Loop: Header=BB281_991 Depth=1
	s_delay_alu instid0(SALU_CYCLE_1)
	s_or_b32 exec_lo, exec_lo, s12
.LBB281_1033:                           ;   in Loop: Header=BB281_991 Depth=1
	s_delay_alu instid0(SALU_CYCLE_1) | instskip(SKIP_2) | instid1(VALU_DEP_1)
	s_or_b32 exec_lo, exec_lo, s10
	v_lshrrev_b16 v6, 8, v98
	s_mov_b32 s12, exec_lo
	v_cmpx_ne_u16_e32 0, v6
	s_cbranch_execz .LBB281_1041
; %bb.1034:                             ;   in Loop: Header=BB281_991 Depth=1
	v_dual_mov_b32 v15, s9 :: v_dual_mov_b32 v14, s8
	s_mov_b32 s13, exec_lo
	v_cmpx_ne_u16_e32 0x80, v6
	s_cbranch_execz .LBB281_1040
; %bb.1035:                             ;   in Loop: Header=BB281_991 Depth=1
	s_mov_b32 s10, s8
	v_dual_mov_b32 v15, s11 :: v_dual_and_b32 v6, 0xffff, v6
	v_mov_b32_e32 v14, s10
	s_mov_b32 s10, exec_lo
	s_delay_alu instid0(VALU_DEP_2) | instskip(NEXT) | instid1(VALU_DEP_1)
	v_and_b32_e32 v16, 0x7f, v6
	v_cmpx_ne_u32_e32 0x7f, v16
	s_cbranch_execz .LBB281_1039
; %bb.1036:                             ;   in Loop: Header=BB281_991 Depth=1
	v_and_b32_e32 v6, 7, v6
	v_lshrrev_b32_e32 v14, 3, v16
	s_mov_b32 s15, exec_lo
	v_cmpx_gt_u32_e32 8, v16
; %bb.1037:                             ;   in Loop: Header=BB281_991 Depth=1
	s_delay_alu instid0(VALU_DEP_3) | instskip(NEXT) | instid1(VALU_DEP_1)
	v_clz_i32_u32_e32 v14, v6
	v_min_u32_e32 v14, 32, v14
	s_delay_alu instid0(VALU_DEP_1) | instskip(SKIP_1) | instid1(VALU_DEP_2)
	v_subrev_nc_u32_e32 v15, 28, v14
	v_sub_nc_u32_e32 v14, 29, v14
	v_lshlrev_b64 v[15:16], v15, v[6:7]
	s_delay_alu instid0(VALU_DEP_1)
	v_and_b32_e32 v6, 7, v15
; %bb.1038:                             ;   in Loop: Header=BB281_991 Depth=1
	s_or_b32 exec_lo, exec_lo, s15
	v_lshlrev_b32_e32 v15, 16, v98
	s_delay_alu instid0(VALU_DEP_2) | instskip(SKIP_1) | instid1(VALU_DEP_3)
	v_lshlrev_b32_e32 v6, 20, v6
	v_lshl_add_u32 v14, v14, 23, 0x3c000000
	v_and_b32_e32 v15, 0x80000000, v15
	s_delay_alu instid0(VALU_DEP_1)
	v_or3_b32 v15, v6, v15, v14
	v_mov_b32_e32 v14, v7
.LBB281_1039:                           ;   in Loop: Header=BB281_991 Depth=1
	s_or_b32 exec_lo, exec_lo, s10
.LBB281_1040:                           ;   in Loop: Header=BB281_991 Depth=1
	s_delay_alu instid0(SALU_CYCLE_1)
	s_or_b32 exec_lo, exec_lo, s13
.LBB281_1041:                           ;   in Loop: Header=BB281_991 Depth=1
	s_delay_alu instid0(SALU_CYCLE_1) | instskip(SKIP_4) | instid1(VALU_DEP_2)
	s_or_b32 exec_lo, exec_lo, s12
	v_mov_b32_e32 v18, 0
	v_lshrrev_b32_e32 v99, 16, v98
	v_mov_b32_e32 v19, 0
	s_mov_b32 s10, exec_lo
	v_and_b32_e32 v6, 0xff, v99
	s_delay_alu instid0(VALU_DEP_2) | instskip(NEXT) | instid1(VALU_DEP_2)
	v_dual_mov_b32 v16, v18 :: v_dual_mov_b32 v17, v19
	v_cmpx_ne_u16_e32 0, v6
	s_cbranch_execz .LBB281_1049
; %bb.1042:                             ;   in Loop: Header=BB281_991 Depth=1
	v_bfrev_b32_e32 v16, 1
	v_mov_b32_e32 v17, 0
	s_mov_b32 s12, exec_lo
	v_cmpx_ne_u16_e32 0x80, v6
	s_cbranch_execz .LBB281_1048
; %bb.1043:                             ;   in Loop: Header=BB281_991 Depth=1
	v_mov_b32_e32 v16, 0x7f800001
	v_bfe_u32 v100, v98, 16, 7
	v_mov_b32_e32 v17, 0
	s_mov_b32 s13, exec_lo
	s_delay_alu instid0(VALU_DEP_2)
	v_cmpx_ne_u32_e32 0x7f, v100
	s_cbranch_execz .LBB281_1047
; %bb.1044:                             ;   in Loop: Header=BB281_991 Depth=1
	v_and_b32_e32 v6, 7, v99
	v_lshrrev_b32_e32 v16, 3, v100
	s_mov_b32 s15, exec_lo
	v_cmpx_gt_u32_e32 8, v100
; %bb.1045:                             ;   in Loop: Header=BB281_991 Depth=1
	s_delay_alu instid0(VALU_DEP_3) | instskip(NEXT) | instid1(VALU_DEP_1)
	v_clz_i32_u32_e32 v16, v6
	v_min_u32_e32 v16, 32, v16
	s_delay_alu instid0(VALU_DEP_1) | instskip(SKIP_1) | instid1(VALU_DEP_2)
	v_subrev_nc_u32_e32 v17, 28, v16
	v_sub_nc_u32_e32 v16, 29, v16
	v_lshlrev_b64 v[100:101], v17, v[6:7]
	s_delay_alu instid0(VALU_DEP_1)
	v_and_b32_e32 v6, 7, v100
; %bb.1046:                             ;   in Loop: Header=BB281_991 Depth=1
	s_or_b32 exec_lo, exec_lo, s15
	v_lshlrev_b32_e32 v17, 24, v99
	s_delay_alu instid0(VALU_DEP_2) | instskip(SKIP_1) | instid1(VALU_DEP_3)
	v_lshlrev_b32_e32 v6, 20, v6
	v_lshl_add_u32 v16, v16, 23, 0x3c000000
	v_and_b32_e32 v17, 0x80000000, v17
	s_delay_alu instid0(VALU_DEP_1) | instskip(NEXT) | instid1(VALU_DEP_1)
	v_or3_b32 v6, v6, v17, v16
	v_dual_mov_b32 v17, v7 :: v_dual_mov_b32 v16, v6
.LBB281_1047:                           ;   in Loop: Header=BB281_991 Depth=1
	s_or_b32 exec_lo, exec_lo, s13
.LBB281_1048:                           ;   in Loop: Header=BB281_991 Depth=1
	s_delay_alu instid0(SALU_CYCLE_1)
	s_or_b32 exec_lo, exec_lo, s12
.LBB281_1049:                           ;   in Loop: Header=BB281_991 Depth=1
	s_delay_alu instid0(SALU_CYCLE_1) | instskip(NEXT) | instid1(SALU_CYCLE_1)
	s_or_b32 exec_lo, exec_lo, s10
	s_mov_b32 s12, exec_lo
	v_cmpx_lt_u32_e32 0xffffff, v98
	s_cbranch_execz .LBB281_1057
; %bb.1050:                             ;   in Loop: Header=BB281_991 Depth=1
	v_lshrrev_b32_e32 v99, 24, v98
	v_dual_mov_b32 v19, s9 :: v_dual_mov_b32 v18, s8
	s_mov_b32 s13, exec_lo
	s_delay_alu instid0(VALU_DEP_2)
	v_cmpx_ne_u32_e32 0x80, v99
	s_cbranch_execz .LBB281_1056
; %bb.1051:                             ;   in Loop: Header=BB281_991 Depth=1
	s_mov_b32 s10, s8
	v_bfe_u32 v98, v98, 24, 7
	v_dual_mov_b32 v19, s11 :: v_dual_mov_b32 v18, s10
	s_mov_b32 s10, exec_lo
	s_delay_alu instid0(VALU_DEP_2)
	v_cmpx_ne_u32_e32 0x7f, v98
	s_cbranch_execz .LBB281_1055
; %bb.1052:                             ;   in Loop: Header=BB281_991 Depth=1
	v_and_b32_e32 v6, 7, v99
	v_lshrrev_b32_e32 v18, 3, v98
	s_mov_b32 s15, exec_lo
	v_cmpx_gt_u32_e32 8, v98
; %bb.1053:                             ;   in Loop: Header=BB281_991 Depth=1
	s_delay_alu instid0(VALU_DEP_3) | instskip(NEXT) | instid1(VALU_DEP_1)
	v_clz_i32_u32_e32 v18, v6
	v_min_u32_e32 v18, 32, v18
	s_delay_alu instid0(VALU_DEP_1) | instskip(SKIP_1) | instid1(VALU_DEP_2)
	v_subrev_nc_u32_e32 v19, 28, v18
	v_sub_nc_u32_e32 v18, 29, v18
	v_lshlrev_b64 v[100:101], v19, v[6:7]
	s_delay_alu instid0(VALU_DEP_1)
	v_and_b32_e32 v6, 7, v100
; %bb.1054:                             ;   in Loop: Header=BB281_991 Depth=1
	s_or_b32 exec_lo, exec_lo, s15
	v_lshlrev_b32_e32 v19, 24, v99
	s_delay_alu instid0(VALU_DEP_2) | instskip(SKIP_1) | instid1(VALU_DEP_3)
	v_lshlrev_b32_e32 v6, 20, v6
	v_lshl_add_u32 v18, v18, 23, 0x3c000000
	v_and_b32_e32 v19, 0x80000000, v19
	s_delay_alu instid0(VALU_DEP_1)
	v_or3_b32 v19, v6, v19, v18
	v_mov_b32_e32 v18, v7
.LBB281_1055:                           ;   in Loop: Header=BB281_991 Depth=1
	s_or_b32 exec_lo, exec_lo, s10
.LBB281_1056:                           ;   in Loop: Header=BB281_991 Depth=1
	s_delay_alu instid0(SALU_CYCLE_1)
	s_or_b32 exec_lo, exec_lo, s13
.LBB281_1057:                           ;   in Loop: Header=BB281_991 Depth=1
	s_delay_alu instid0(SALU_CYCLE_1) | instskip(SKIP_4) | instid1(VALU_DEP_4)
	s_or_b32 exec_lo, exec_lo, s12
	v_or_b32_e32 v5, v15, v5
	v_or_b32_e32 v4, v14, v4
	;; [unrolled: 1-line block ×4, first 2 shown]
	v_mul_f32_e32 v101, v82, v5
	s_delay_alu instid0(VALU_DEP_4) | instskip(NEXT) | instid1(VALU_DEP_4)
	v_mul_f32_e32 v100, v70, v4
	v_mul_f32_e32 v98, v82, v6
	s_delay_alu instid0(VALU_DEP_4)
	v_mul_f32_e32 v99, v70, v14
	s_and_saveexec_b32 s10, vcc_lo
; %bb.1058:                             ;   in Loop: Header=BB281_991 Depth=1
	v_cmp_lt_i32_e64 s0, v87, v170
	s_delay_alu instid0(VALU_DEP_1) | instskip(SKIP_1) | instid1(VALU_DEP_1)
	v_cndmask_b32_e64 v100, 0, v100, s0
	v_cmp_lt_i32_e64 s0, v97, v170
	v_cndmask_b32_e64 v101, 0, v101, s0
	v_cmp_lt_i32_e64 s0, v96, v170
	s_delay_alu instid0(VALU_DEP_1) | instskip(SKIP_1) | instid1(VALU_DEP_1)
	v_cndmask_b32_e64 v99, 0, v99, s0
	v_cmp_lt_i32_e64 s0, v80, v170
	v_cndmask_b32_e64 v98, 0, v98, s0
; %bb.1059:                             ;   in Loop: Header=BB281_991 Depth=1
	s_or_b32 exec_lo, exec_lo, s10
	flat_load_b32 v102, v[12:13] offset:256
	v_mov_b32_e32 v14, 0
	v_mov_b32_e32 v15, 0
	s_mov_b32 s10, exec_lo
	s_waitcnt vmcnt(0) lgkmcnt(0)
	v_and_b32_e32 v6, 0xff, v102
	s_delay_alu instid0(VALU_DEP_2) | instskip(NEXT) | instid1(VALU_DEP_2)
	v_dual_mov_b32 v4, v14 :: v_dual_mov_b32 v5, v15
	v_cmpx_ne_u16_e32 0, v6
	s_cbranch_execz .LBB281_1067
; %bb.1060:                             ;   in Loop: Header=BB281_991 Depth=1
	v_bfrev_b32_e32 v4, 1
	v_mov_b32_e32 v5, 0
	s_mov_b32 s12, exec_lo
	v_cmpx_ne_u16_e32 0x80, v6
	s_cbranch_execz .LBB281_1066
; %bb.1061:                             ;   in Loop: Header=BB281_991 Depth=1
	v_mov_b32_e32 v4, 0x7f800001
	v_dual_mov_b32 v5, 0 :: v_dual_and_b32 v16, 0x7f, v102
	s_mov_b32 s13, exec_lo
	s_delay_alu instid0(VALU_DEP_1)
	v_cmpx_ne_u32_e32 0x7f, v16
	s_cbranch_execz .LBB281_1065
; %bb.1062:                             ;   in Loop: Header=BB281_991 Depth=1
	v_and_b32_e32 v6, 7, v102
	v_lshrrev_b32_e32 v4, 3, v16
	s_mov_b32 s15, exec_lo
	v_cmpx_gt_u32_e32 8, v16
; %bb.1063:                             ;   in Loop: Header=BB281_991 Depth=1
	s_delay_alu instid0(VALU_DEP_3) | instskip(NEXT) | instid1(VALU_DEP_1)
	v_clz_i32_u32_e32 v4, v6
	v_min_u32_e32 v4, 32, v4
	s_delay_alu instid0(VALU_DEP_1) | instskip(SKIP_1) | instid1(VALU_DEP_2)
	v_subrev_nc_u32_e32 v5, 28, v4
	v_sub_nc_u32_e32 v4, 29, v4
	v_lshlrev_b64 v[5:6], v5, v[6:7]
	s_delay_alu instid0(VALU_DEP_1)
	v_and_b32_e32 v6, 7, v5
; %bb.1064:                             ;   in Loop: Header=BB281_991 Depth=1
	s_or_b32 exec_lo, exec_lo, s15
	v_lshlrev_b32_e32 v5, 24, v102
	s_delay_alu instid0(VALU_DEP_2) | instskip(SKIP_1) | instid1(VALU_DEP_3)
	v_lshlrev_b32_e32 v6, 20, v6
	v_lshl_add_u32 v4, v4, 23, 0x3c000000
	v_and_b32_e32 v5, 0x80000000, v5
	s_delay_alu instid0(VALU_DEP_1) | instskip(NEXT) | instid1(VALU_DEP_1)
	v_or3_b32 v6, v6, v5, v4
	v_dual_mov_b32 v4, v6 :: v_dual_mov_b32 v5, v7
.LBB281_1065:                           ;   in Loop: Header=BB281_991 Depth=1
	s_or_b32 exec_lo, exec_lo, s13
.LBB281_1066:                           ;   in Loop: Header=BB281_991 Depth=1
	s_delay_alu instid0(SALU_CYCLE_1)
	s_or_b32 exec_lo, exec_lo, s12
.LBB281_1067:                           ;   in Loop: Header=BB281_991 Depth=1
	s_delay_alu instid0(SALU_CYCLE_1) | instskip(SKIP_2) | instid1(VALU_DEP_1)
	s_or_b32 exec_lo, exec_lo, s10
	v_lshrrev_b16 v6, 8, v102
	s_mov_b32 s12, exec_lo
	v_cmpx_ne_u16_e32 0, v6
	s_cbranch_execz .LBB281_1075
; %bb.1068:                             ;   in Loop: Header=BB281_991 Depth=1
	v_dual_mov_b32 v15, s9 :: v_dual_mov_b32 v14, s8
	s_mov_b32 s13, exec_lo
	v_cmpx_ne_u16_e32 0x80, v6
	s_cbranch_execz .LBB281_1074
; %bb.1069:                             ;   in Loop: Header=BB281_991 Depth=1
	s_mov_b32 s10, s8
	v_dual_mov_b32 v15, s11 :: v_dual_and_b32 v6, 0xffff, v6
	v_mov_b32_e32 v14, s10
	s_mov_b32 s10, exec_lo
	s_delay_alu instid0(VALU_DEP_2) | instskip(NEXT) | instid1(VALU_DEP_1)
	v_and_b32_e32 v16, 0x7f, v6
	v_cmpx_ne_u32_e32 0x7f, v16
	s_cbranch_execz .LBB281_1073
; %bb.1070:                             ;   in Loop: Header=BB281_991 Depth=1
	v_and_b32_e32 v6, 7, v6
	v_lshrrev_b32_e32 v14, 3, v16
	s_mov_b32 s15, exec_lo
	v_cmpx_gt_u32_e32 8, v16
; %bb.1071:                             ;   in Loop: Header=BB281_991 Depth=1
	s_delay_alu instid0(VALU_DEP_3) | instskip(NEXT) | instid1(VALU_DEP_1)
	v_clz_i32_u32_e32 v14, v6
	v_min_u32_e32 v14, 32, v14
	s_delay_alu instid0(VALU_DEP_1) | instskip(SKIP_1) | instid1(VALU_DEP_2)
	v_subrev_nc_u32_e32 v15, 28, v14
	v_sub_nc_u32_e32 v14, 29, v14
	v_lshlrev_b64 v[15:16], v15, v[6:7]
	s_delay_alu instid0(VALU_DEP_1)
	v_and_b32_e32 v6, 7, v15
; %bb.1072:                             ;   in Loop: Header=BB281_991 Depth=1
	s_or_b32 exec_lo, exec_lo, s15
	v_lshlrev_b32_e32 v15, 16, v102
	s_delay_alu instid0(VALU_DEP_2) | instskip(SKIP_1) | instid1(VALU_DEP_3)
	v_lshlrev_b32_e32 v6, 20, v6
	v_lshl_add_u32 v14, v14, 23, 0x3c000000
	v_and_b32_e32 v15, 0x80000000, v15
	s_delay_alu instid0(VALU_DEP_1)
	v_or3_b32 v15, v6, v15, v14
	v_mov_b32_e32 v14, v7
.LBB281_1073:                           ;   in Loop: Header=BB281_991 Depth=1
	s_or_b32 exec_lo, exec_lo, s10
.LBB281_1074:                           ;   in Loop: Header=BB281_991 Depth=1
	s_delay_alu instid0(SALU_CYCLE_1)
	s_or_b32 exec_lo, exec_lo, s13
.LBB281_1075:                           ;   in Loop: Header=BB281_991 Depth=1
	s_delay_alu instid0(SALU_CYCLE_1) | instskip(SKIP_4) | instid1(VALU_DEP_2)
	s_or_b32 exec_lo, exec_lo, s12
	v_mov_b32_e32 v18, 0
	v_lshrrev_b32_e32 v103, 16, v102
	v_mov_b32_e32 v19, 0
	s_mov_b32 s10, exec_lo
	v_and_b32_e32 v6, 0xff, v103
	s_delay_alu instid0(VALU_DEP_2) | instskip(NEXT) | instid1(VALU_DEP_2)
	v_dual_mov_b32 v16, v18 :: v_dual_mov_b32 v17, v19
	v_cmpx_ne_u16_e32 0, v6
	s_cbranch_execz .LBB281_1083
; %bb.1076:                             ;   in Loop: Header=BB281_991 Depth=1
	v_bfrev_b32_e32 v16, 1
	v_mov_b32_e32 v17, 0
	s_mov_b32 s12, exec_lo
	v_cmpx_ne_u16_e32 0x80, v6
	s_cbranch_execz .LBB281_1082
; %bb.1077:                             ;   in Loop: Header=BB281_991 Depth=1
	v_mov_b32_e32 v16, 0x7f800001
	v_bfe_u32 v112, v102, 16, 7
	v_mov_b32_e32 v17, 0
	s_mov_b32 s13, exec_lo
	s_delay_alu instid0(VALU_DEP_2)
	v_cmpx_ne_u32_e32 0x7f, v112
	s_cbranch_execz .LBB281_1081
; %bb.1078:                             ;   in Loop: Header=BB281_991 Depth=1
	v_and_b32_e32 v6, 7, v103
	v_lshrrev_b32_e32 v16, 3, v112
	s_mov_b32 s15, exec_lo
	v_cmpx_gt_u32_e32 8, v112
; %bb.1079:                             ;   in Loop: Header=BB281_991 Depth=1
	s_delay_alu instid0(VALU_DEP_3) | instskip(NEXT) | instid1(VALU_DEP_1)
	v_clz_i32_u32_e32 v16, v6
	v_min_u32_e32 v16, 32, v16
	s_delay_alu instid0(VALU_DEP_1) | instskip(SKIP_1) | instid1(VALU_DEP_2)
	v_subrev_nc_u32_e32 v17, 28, v16
	v_sub_nc_u32_e32 v16, 29, v16
	v_lshlrev_b64 v[112:113], v17, v[6:7]
	s_delay_alu instid0(VALU_DEP_1)
	v_and_b32_e32 v6, 7, v112
; %bb.1080:                             ;   in Loop: Header=BB281_991 Depth=1
	s_or_b32 exec_lo, exec_lo, s15
	v_lshlrev_b32_e32 v17, 24, v103
	s_delay_alu instid0(VALU_DEP_2) | instskip(SKIP_1) | instid1(VALU_DEP_3)
	v_lshlrev_b32_e32 v6, 20, v6
	v_lshl_add_u32 v16, v16, 23, 0x3c000000
	v_and_b32_e32 v17, 0x80000000, v17
	s_delay_alu instid0(VALU_DEP_1) | instskip(NEXT) | instid1(VALU_DEP_1)
	v_or3_b32 v6, v6, v17, v16
	v_dual_mov_b32 v17, v7 :: v_dual_mov_b32 v16, v6
.LBB281_1081:                           ;   in Loop: Header=BB281_991 Depth=1
	s_or_b32 exec_lo, exec_lo, s13
.LBB281_1082:                           ;   in Loop: Header=BB281_991 Depth=1
	s_delay_alu instid0(SALU_CYCLE_1)
	s_or_b32 exec_lo, exec_lo, s12
.LBB281_1083:                           ;   in Loop: Header=BB281_991 Depth=1
	s_delay_alu instid0(SALU_CYCLE_1) | instskip(NEXT) | instid1(SALU_CYCLE_1)
	s_or_b32 exec_lo, exec_lo, s10
	s_mov_b32 s12, exec_lo
	v_cmpx_lt_u32_e32 0xffffff, v102
	s_cbranch_execz .LBB281_1091
; %bb.1084:                             ;   in Loop: Header=BB281_991 Depth=1
	v_lshrrev_b32_e32 v103, 24, v102
	v_dual_mov_b32 v19, s9 :: v_dual_mov_b32 v18, s8
	s_mov_b32 s13, exec_lo
	s_delay_alu instid0(VALU_DEP_2)
	v_cmpx_ne_u32_e32 0x80, v103
	s_cbranch_execz .LBB281_1090
; %bb.1085:                             ;   in Loop: Header=BB281_991 Depth=1
	s_mov_b32 s10, s8
	v_bfe_u32 v102, v102, 24, 7
	v_dual_mov_b32 v19, s11 :: v_dual_mov_b32 v18, s10
	s_mov_b32 s10, exec_lo
	s_delay_alu instid0(VALU_DEP_2)
	v_cmpx_ne_u32_e32 0x7f, v102
	s_cbranch_execz .LBB281_1089
; %bb.1086:                             ;   in Loop: Header=BB281_991 Depth=1
	v_and_b32_e32 v6, 7, v103
	v_lshrrev_b32_e32 v18, 3, v102
	s_mov_b32 s15, exec_lo
	v_cmpx_gt_u32_e32 8, v102
; %bb.1087:                             ;   in Loop: Header=BB281_991 Depth=1
	s_delay_alu instid0(VALU_DEP_3) | instskip(NEXT) | instid1(VALU_DEP_1)
	v_clz_i32_u32_e32 v18, v6
	v_min_u32_e32 v18, 32, v18
	s_delay_alu instid0(VALU_DEP_1) | instskip(SKIP_1) | instid1(VALU_DEP_2)
	v_subrev_nc_u32_e32 v19, 28, v18
	v_sub_nc_u32_e32 v18, 29, v18
	v_lshlrev_b64 v[112:113], v19, v[6:7]
	s_delay_alu instid0(VALU_DEP_1)
	v_and_b32_e32 v6, 7, v112
; %bb.1088:                             ;   in Loop: Header=BB281_991 Depth=1
	s_or_b32 exec_lo, exec_lo, s15
	v_lshlrev_b32_e32 v19, 24, v103
	s_delay_alu instid0(VALU_DEP_2) | instskip(SKIP_1) | instid1(VALU_DEP_3)
	v_lshlrev_b32_e32 v6, 20, v6
	v_lshl_add_u32 v18, v18, 23, 0x3c000000
	v_and_b32_e32 v19, 0x80000000, v19
	s_delay_alu instid0(VALU_DEP_1)
	v_or3_b32 v19, v6, v19, v18
	v_mov_b32_e32 v18, v7
.LBB281_1089:                           ;   in Loop: Header=BB281_991 Depth=1
	s_or_b32 exec_lo, exec_lo, s10
.LBB281_1090:                           ;   in Loop: Header=BB281_991 Depth=1
	s_delay_alu instid0(SALU_CYCLE_1)
	s_or_b32 exec_lo, exec_lo, s13
.LBB281_1091:                           ;   in Loop: Header=BB281_991 Depth=1
	s_delay_alu instid0(SALU_CYCLE_1) | instskip(SKIP_4) | instid1(VALU_DEP_4)
	s_or_b32 exec_lo, exec_lo, s12
	v_or_b32_e32 v5, v15, v5
	v_or_b32_e32 v4, v14, v4
	;; [unrolled: 1-line block ×4, first 2 shown]
	v_mul_f32_e32 v113, v82, v5
	s_delay_alu instid0(VALU_DEP_4) | instskip(NEXT) | instid1(VALU_DEP_4)
	v_mul_f32_e32 v112, v70, v4
	v_mul_f32_e32 v102, v82, v6
	s_delay_alu instid0(VALU_DEP_4)
	v_mul_f32_e32 v103, v70, v14
	s_and_saveexec_b32 s10, vcc_lo
; %bb.1092:                             ;   in Loop: Header=BB281_991 Depth=1
	v_cmp_lt_i32_e64 s0, v87, v170
	s_delay_alu instid0(VALU_DEP_1) | instskip(SKIP_1) | instid1(VALU_DEP_1)
	v_cndmask_b32_e64 v112, 0, v112, s0
	v_cmp_lt_i32_e64 s0, v97, v170
	v_cndmask_b32_e64 v113, 0, v113, s0
	v_cmp_lt_i32_e64 s0, v96, v170
	s_delay_alu instid0(VALU_DEP_1) | instskip(SKIP_1) | instid1(VALU_DEP_1)
	v_cndmask_b32_e64 v103, 0, v103, s0
	v_cmp_lt_i32_e64 s0, v80, v170
	v_cndmask_b32_e64 v102, 0, v102, s0
; %bb.1093:                             ;   in Loop: Header=BB281_991 Depth=1
	s_or_b32 exec_lo, exec_lo, s10
	flat_load_b32 v114, v[12:13] offset:384
	v_mov_b32_e32 v14, 0
	v_mov_b32_e32 v15, 0
	s_mov_b32 s10, exec_lo
	s_waitcnt vmcnt(0) lgkmcnt(0)
	v_and_b32_e32 v6, 0xff, v114
	s_delay_alu instid0(VALU_DEP_2) | instskip(NEXT) | instid1(VALU_DEP_2)
	v_dual_mov_b32 v4, v14 :: v_dual_mov_b32 v5, v15
	v_cmpx_ne_u16_e32 0, v6
	s_cbranch_execz .LBB281_1101
; %bb.1094:                             ;   in Loop: Header=BB281_991 Depth=1
	v_bfrev_b32_e32 v4, 1
	v_mov_b32_e32 v5, 0
	s_mov_b32 s12, exec_lo
	v_cmpx_ne_u16_e32 0x80, v6
	s_cbranch_execz .LBB281_1100
; %bb.1095:                             ;   in Loop: Header=BB281_991 Depth=1
	v_mov_b32_e32 v4, 0x7f800001
	v_dual_mov_b32 v5, 0 :: v_dual_and_b32 v16, 0x7f, v114
	s_mov_b32 s13, exec_lo
	s_delay_alu instid0(VALU_DEP_1)
	v_cmpx_ne_u32_e32 0x7f, v16
	s_cbranch_execz .LBB281_1099
; %bb.1096:                             ;   in Loop: Header=BB281_991 Depth=1
	v_and_b32_e32 v6, 7, v114
	v_lshrrev_b32_e32 v4, 3, v16
	s_mov_b32 s15, exec_lo
	v_cmpx_gt_u32_e32 8, v16
; %bb.1097:                             ;   in Loop: Header=BB281_991 Depth=1
	s_delay_alu instid0(VALU_DEP_3) | instskip(NEXT) | instid1(VALU_DEP_1)
	v_clz_i32_u32_e32 v4, v6
	v_min_u32_e32 v4, 32, v4
	s_delay_alu instid0(VALU_DEP_1) | instskip(SKIP_1) | instid1(VALU_DEP_2)
	v_subrev_nc_u32_e32 v5, 28, v4
	v_sub_nc_u32_e32 v4, 29, v4
	v_lshlrev_b64 v[5:6], v5, v[6:7]
	s_delay_alu instid0(VALU_DEP_1)
	v_and_b32_e32 v6, 7, v5
; %bb.1098:                             ;   in Loop: Header=BB281_991 Depth=1
	s_or_b32 exec_lo, exec_lo, s15
	v_lshlrev_b32_e32 v5, 24, v114
	s_delay_alu instid0(VALU_DEP_2) | instskip(SKIP_1) | instid1(VALU_DEP_3)
	v_lshlrev_b32_e32 v6, 20, v6
	v_lshl_add_u32 v4, v4, 23, 0x3c000000
	v_and_b32_e32 v5, 0x80000000, v5
	s_delay_alu instid0(VALU_DEP_1) | instskip(NEXT) | instid1(VALU_DEP_1)
	v_or3_b32 v6, v6, v5, v4
	v_dual_mov_b32 v4, v6 :: v_dual_mov_b32 v5, v7
.LBB281_1099:                           ;   in Loop: Header=BB281_991 Depth=1
	s_or_b32 exec_lo, exec_lo, s13
.LBB281_1100:                           ;   in Loop: Header=BB281_991 Depth=1
	s_delay_alu instid0(SALU_CYCLE_1)
	s_or_b32 exec_lo, exec_lo, s12
.LBB281_1101:                           ;   in Loop: Header=BB281_991 Depth=1
	s_delay_alu instid0(SALU_CYCLE_1) | instskip(SKIP_2) | instid1(VALU_DEP_1)
	s_or_b32 exec_lo, exec_lo, s10
	v_lshrrev_b16 v6, 8, v114
	s_mov_b32 s12, exec_lo
	v_cmpx_ne_u16_e32 0, v6
	s_cbranch_execz .LBB281_1109
; %bb.1102:                             ;   in Loop: Header=BB281_991 Depth=1
	v_dual_mov_b32 v15, s9 :: v_dual_mov_b32 v14, s8
	s_mov_b32 s13, exec_lo
	v_cmpx_ne_u16_e32 0x80, v6
	s_cbranch_execz .LBB281_1108
; %bb.1103:                             ;   in Loop: Header=BB281_991 Depth=1
	s_mov_b32 s10, s8
	v_dual_mov_b32 v15, s11 :: v_dual_and_b32 v6, 0xffff, v6
	v_mov_b32_e32 v14, s10
	s_mov_b32 s10, exec_lo
	s_delay_alu instid0(VALU_DEP_2) | instskip(NEXT) | instid1(VALU_DEP_1)
	v_and_b32_e32 v16, 0x7f, v6
	v_cmpx_ne_u32_e32 0x7f, v16
	s_cbranch_execz .LBB281_1107
; %bb.1104:                             ;   in Loop: Header=BB281_991 Depth=1
	v_and_b32_e32 v6, 7, v6
	v_lshrrev_b32_e32 v14, 3, v16
	s_mov_b32 s15, exec_lo
	v_cmpx_gt_u32_e32 8, v16
; %bb.1105:                             ;   in Loop: Header=BB281_991 Depth=1
	s_delay_alu instid0(VALU_DEP_3) | instskip(NEXT) | instid1(VALU_DEP_1)
	v_clz_i32_u32_e32 v14, v6
	v_min_u32_e32 v14, 32, v14
	s_delay_alu instid0(VALU_DEP_1) | instskip(SKIP_1) | instid1(VALU_DEP_2)
	v_subrev_nc_u32_e32 v15, 28, v14
	v_sub_nc_u32_e32 v14, 29, v14
	v_lshlrev_b64 v[15:16], v15, v[6:7]
	s_delay_alu instid0(VALU_DEP_1)
	v_and_b32_e32 v6, 7, v15
; %bb.1106:                             ;   in Loop: Header=BB281_991 Depth=1
	s_or_b32 exec_lo, exec_lo, s15
	v_lshlrev_b32_e32 v15, 16, v114
	s_delay_alu instid0(VALU_DEP_2) | instskip(SKIP_1) | instid1(VALU_DEP_3)
	v_lshlrev_b32_e32 v6, 20, v6
	v_lshl_add_u32 v14, v14, 23, 0x3c000000
	v_and_b32_e32 v15, 0x80000000, v15
	s_delay_alu instid0(VALU_DEP_1)
	v_or3_b32 v15, v6, v15, v14
	v_mov_b32_e32 v14, v7
.LBB281_1107:                           ;   in Loop: Header=BB281_991 Depth=1
	s_or_b32 exec_lo, exec_lo, s10
.LBB281_1108:                           ;   in Loop: Header=BB281_991 Depth=1
	s_delay_alu instid0(SALU_CYCLE_1)
	s_or_b32 exec_lo, exec_lo, s13
.LBB281_1109:                           ;   in Loop: Header=BB281_991 Depth=1
	s_delay_alu instid0(SALU_CYCLE_1) | instskip(SKIP_4) | instid1(VALU_DEP_2)
	s_or_b32 exec_lo, exec_lo, s12
	v_mov_b32_e32 v18, 0
	v_lshrrev_b32_e32 v115, 16, v114
	v_mov_b32_e32 v19, 0
	s_mov_b32 s10, exec_lo
	v_and_b32_e32 v6, 0xff, v115
	s_delay_alu instid0(VALU_DEP_2) | instskip(NEXT) | instid1(VALU_DEP_2)
	v_dual_mov_b32 v16, v18 :: v_dual_mov_b32 v17, v19
	v_cmpx_ne_u16_e32 0, v6
	s_cbranch_execz .LBB281_1117
; %bb.1110:                             ;   in Loop: Header=BB281_991 Depth=1
	v_bfrev_b32_e32 v16, 1
	v_mov_b32_e32 v17, 0
	s_mov_b32 s12, exec_lo
	v_cmpx_ne_u16_e32 0x80, v6
	s_cbranch_execz .LBB281_1116
; %bb.1111:                             ;   in Loop: Header=BB281_991 Depth=1
	v_mov_b32_e32 v16, 0x7f800001
	v_bfe_u32 v116, v114, 16, 7
	v_mov_b32_e32 v17, 0
	s_mov_b32 s13, exec_lo
	s_delay_alu instid0(VALU_DEP_2)
	v_cmpx_ne_u32_e32 0x7f, v116
	s_cbranch_execz .LBB281_1115
; %bb.1112:                             ;   in Loop: Header=BB281_991 Depth=1
	v_and_b32_e32 v6, 7, v115
	v_lshrrev_b32_e32 v16, 3, v116
	s_mov_b32 s15, exec_lo
	v_cmpx_gt_u32_e32 8, v116
; %bb.1113:                             ;   in Loop: Header=BB281_991 Depth=1
	s_delay_alu instid0(VALU_DEP_3) | instskip(NEXT) | instid1(VALU_DEP_1)
	v_clz_i32_u32_e32 v16, v6
	v_min_u32_e32 v16, 32, v16
	s_delay_alu instid0(VALU_DEP_1) | instskip(SKIP_1) | instid1(VALU_DEP_2)
	v_subrev_nc_u32_e32 v17, 28, v16
	v_sub_nc_u32_e32 v16, 29, v16
	v_lshlrev_b64 v[116:117], v17, v[6:7]
	s_delay_alu instid0(VALU_DEP_1)
	v_and_b32_e32 v6, 7, v116
; %bb.1114:                             ;   in Loop: Header=BB281_991 Depth=1
	s_or_b32 exec_lo, exec_lo, s15
	v_lshlrev_b32_e32 v17, 24, v115
	s_delay_alu instid0(VALU_DEP_2) | instskip(SKIP_1) | instid1(VALU_DEP_3)
	v_lshlrev_b32_e32 v6, 20, v6
	v_lshl_add_u32 v16, v16, 23, 0x3c000000
	v_and_b32_e32 v17, 0x80000000, v17
	s_delay_alu instid0(VALU_DEP_1) | instskip(NEXT) | instid1(VALU_DEP_1)
	v_or3_b32 v6, v6, v17, v16
	v_dual_mov_b32 v17, v7 :: v_dual_mov_b32 v16, v6
.LBB281_1115:                           ;   in Loop: Header=BB281_991 Depth=1
	s_or_b32 exec_lo, exec_lo, s13
.LBB281_1116:                           ;   in Loop: Header=BB281_991 Depth=1
	s_delay_alu instid0(SALU_CYCLE_1)
	s_or_b32 exec_lo, exec_lo, s12
.LBB281_1117:                           ;   in Loop: Header=BB281_991 Depth=1
	s_delay_alu instid0(SALU_CYCLE_1) | instskip(NEXT) | instid1(SALU_CYCLE_1)
	s_or_b32 exec_lo, exec_lo, s10
	s_mov_b32 s12, exec_lo
	v_cmpx_lt_u32_e32 0xffffff, v114
	s_cbranch_execz .LBB281_1125
; %bb.1118:                             ;   in Loop: Header=BB281_991 Depth=1
	v_lshrrev_b32_e32 v115, 24, v114
	v_dual_mov_b32 v19, s9 :: v_dual_mov_b32 v18, s8
	s_mov_b32 s13, exec_lo
	s_delay_alu instid0(VALU_DEP_2)
	v_cmpx_ne_u32_e32 0x80, v115
	s_cbranch_execz .LBB281_1124
; %bb.1119:                             ;   in Loop: Header=BB281_991 Depth=1
	s_mov_b32 s10, s8
	v_bfe_u32 v114, v114, 24, 7
	v_dual_mov_b32 v19, s11 :: v_dual_mov_b32 v18, s10
	s_mov_b32 s10, exec_lo
	s_delay_alu instid0(VALU_DEP_2)
	v_cmpx_ne_u32_e32 0x7f, v114
	s_cbranch_execz .LBB281_1123
; %bb.1120:                             ;   in Loop: Header=BB281_991 Depth=1
	v_and_b32_e32 v6, 7, v115
	v_lshrrev_b32_e32 v18, 3, v114
	s_mov_b32 s15, exec_lo
	v_cmpx_gt_u32_e32 8, v114
; %bb.1121:                             ;   in Loop: Header=BB281_991 Depth=1
	s_delay_alu instid0(VALU_DEP_3) | instskip(NEXT) | instid1(VALU_DEP_1)
	v_clz_i32_u32_e32 v18, v6
	v_min_u32_e32 v18, 32, v18
	s_delay_alu instid0(VALU_DEP_1) | instskip(SKIP_1) | instid1(VALU_DEP_2)
	v_subrev_nc_u32_e32 v19, 28, v18
	v_sub_nc_u32_e32 v18, 29, v18
	v_lshlrev_b64 v[116:117], v19, v[6:7]
	s_delay_alu instid0(VALU_DEP_1)
	v_and_b32_e32 v6, 7, v116
; %bb.1122:                             ;   in Loop: Header=BB281_991 Depth=1
	s_or_b32 exec_lo, exec_lo, s15
	v_lshlrev_b32_e32 v19, 24, v115
	s_delay_alu instid0(VALU_DEP_2) | instskip(SKIP_1) | instid1(VALU_DEP_3)
	v_lshlrev_b32_e32 v6, 20, v6
	v_lshl_add_u32 v18, v18, 23, 0x3c000000
	v_and_b32_e32 v19, 0x80000000, v19
	s_delay_alu instid0(VALU_DEP_1)
	v_or3_b32 v19, v6, v19, v18
	v_mov_b32_e32 v18, v7
.LBB281_1123:                           ;   in Loop: Header=BB281_991 Depth=1
	s_or_b32 exec_lo, exec_lo, s10
.LBB281_1124:                           ;   in Loop: Header=BB281_991 Depth=1
	s_delay_alu instid0(SALU_CYCLE_1)
	s_or_b32 exec_lo, exec_lo, s13
.LBB281_1125:                           ;   in Loop: Header=BB281_991 Depth=1
	s_delay_alu instid0(SALU_CYCLE_1) | instskip(SKIP_4) | instid1(VALU_DEP_4)
	s_or_b32 exec_lo, exec_lo, s12
	v_or_b32_e32 v5, v15, v5
	v_or_b32_e32 v4, v14, v4
	;; [unrolled: 1-line block ×4, first 2 shown]
	v_mul_f32_e32 v117, v82, v5
	s_delay_alu instid0(VALU_DEP_4) | instskip(NEXT) | instid1(VALU_DEP_4)
	v_mul_f32_e32 v116, v70, v4
	v_mul_f32_e32 v114, v82, v6
	s_delay_alu instid0(VALU_DEP_4)
	v_mul_f32_e32 v115, v70, v14
	s_and_saveexec_b32 s10, vcc_lo
; %bb.1126:                             ;   in Loop: Header=BB281_991 Depth=1
	v_cmp_lt_i32_e64 s0, v87, v170
	s_delay_alu instid0(VALU_DEP_1) | instskip(SKIP_1) | instid1(VALU_DEP_1)
	v_cndmask_b32_e64 v116, 0, v116, s0
	v_cmp_lt_i32_e64 s0, v97, v170
	v_cndmask_b32_e64 v117, 0, v117, s0
	v_cmp_lt_i32_e64 s0, v96, v170
	s_delay_alu instid0(VALU_DEP_1) | instskip(SKIP_1) | instid1(VALU_DEP_1)
	v_cndmask_b32_e64 v115, 0, v115, s0
	v_cmp_lt_i32_e64 s0, v80, v170
	v_cndmask_b32_e64 v114, 0, v114, s0
; %bb.1127:                             ;   in Loop: Header=BB281_991 Depth=1
	s_or_b32 exec_lo, exec_lo, s10
	flat_load_b32 v118, v[12:13] offset:512
	v_mov_b32_e32 v14, 0
	v_mov_b32_e32 v15, 0
	s_mov_b32 s10, exec_lo
	s_waitcnt vmcnt(0) lgkmcnt(0)
	v_and_b32_e32 v6, 0xff, v118
	s_delay_alu instid0(VALU_DEP_2) | instskip(NEXT) | instid1(VALU_DEP_2)
	v_dual_mov_b32 v4, v14 :: v_dual_mov_b32 v5, v15
	v_cmpx_ne_u16_e32 0, v6
	s_cbranch_execz .LBB281_1135
; %bb.1128:                             ;   in Loop: Header=BB281_991 Depth=1
	v_bfrev_b32_e32 v4, 1
	v_mov_b32_e32 v5, 0
	s_mov_b32 s12, exec_lo
	v_cmpx_ne_u16_e32 0x80, v6
	s_cbranch_execz .LBB281_1134
; %bb.1129:                             ;   in Loop: Header=BB281_991 Depth=1
	v_mov_b32_e32 v4, 0x7f800001
	v_dual_mov_b32 v5, 0 :: v_dual_and_b32 v16, 0x7f, v118
	s_mov_b32 s13, exec_lo
	s_delay_alu instid0(VALU_DEP_1)
	v_cmpx_ne_u32_e32 0x7f, v16
	s_cbranch_execz .LBB281_1133
; %bb.1130:                             ;   in Loop: Header=BB281_991 Depth=1
	v_and_b32_e32 v6, 7, v118
	v_lshrrev_b32_e32 v4, 3, v16
	s_mov_b32 s15, exec_lo
	v_cmpx_gt_u32_e32 8, v16
; %bb.1131:                             ;   in Loop: Header=BB281_991 Depth=1
	s_delay_alu instid0(VALU_DEP_3) | instskip(NEXT) | instid1(VALU_DEP_1)
	v_clz_i32_u32_e32 v4, v6
	v_min_u32_e32 v4, 32, v4
	s_delay_alu instid0(VALU_DEP_1) | instskip(SKIP_1) | instid1(VALU_DEP_2)
	v_subrev_nc_u32_e32 v5, 28, v4
	v_sub_nc_u32_e32 v4, 29, v4
	v_lshlrev_b64 v[5:6], v5, v[6:7]
	s_delay_alu instid0(VALU_DEP_1)
	v_and_b32_e32 v6, 7, v5
; %bb.1132:                             ;   in Loop: Header=BB281_991 Depth=1
	s_or_b32 exec_lo, exec_lo, s15
	v_lshlrev_b32_e32 v5, 24, v118
	s_delay_alu instid0(VALU_DEP_2) | instskip(SKIP_1) | instid1(VALU_DEP_3)
	v_lshlrev_b32_e32 v6, 20, v6
	v_lshl_add_u32 v4, v4, 23, 0x3c000000
	v_and_b32_e32 v5, 0x80000000, v5
	s_delay_alu instid0(VALU_DEP_1) | instskip(NEXT) | instid1(VALU_DEP_1)
	v_or3_b32 v6, v6, v5, v4
	v_dual_mov_b32 v4, v6 :: v_dual_mov_b32 v5, v7
.LBB281_1133:                           ;   in Loop: Header=BB281_991 Depth=1
	s_or_b32 exec_lo, exec_lo, s13
.LBB281_1134:                           ;   in Loop: Header=BB281_991 Depth=1
	s_delay_alu instid0(SALU_CYCLE_1)
	s_or_b32 exec_lo, exec_lo, s12
.LBB281_1135:                           ;   in Loop: Header=BB281_991 Depth=1
	s_delay_alu instid0(SALU_CYCLE_1) | instskip(SKIP_2) | instid1(VALU_DEP_1)
	s_or_b32 exec_lo, exec_lo, s10
	v_lshrrev_b16 v6, 8, v118
	s_mov_b32 s12, exec_lo
	v_cmpx_ne_u16_e32 0, v6
	s_cbranch_execz .LBB281_1143
; %bb.1136:                             ;   in Loop: Header=BB281_991 Depth=1
	v_dual_mov_b32 v15, s9 :: v_dual_mov_b32 v14, s8
	s_mov_b32 s13, exec_lo
	v_cmpx_ne_u16_e32 0x80, v6
	s_cbranch_execz .LBB281_1142
; %bb.1137:                             ;   in Loop: Header=BB281_991 Depth=1
	s_mov_b32 s10, s8
	v_dual_mov_b32 v15, s11 :: v_dual_and_b32 v6, 0xffff, v6
	v_mov_b32_e32 v14, s10
	s_mov_b32 s10, exec_lo
	s_delay_alu instid0(VALU_DEP_2) | instskip(NEXT) | instid1(VALU_DEP_1)
	v_and_b32_e32 v16, 0x7f, v6
	v_cmpx_ne_u32_e32 0x7f, v16
	s_cbranch_execz .LBB281_1141
; %bb.1138:                             ;   in Loop: Header=BB281_991 Depth=1
	v_and_b32_e32 v6, 7, v6
	v_lshrrev_b32_e32 v14, 3, v16
	s_mov_b32 s15, exec_lo
	v_cmpx_gt_u32_e32 8, v16
; %bb.1139:                             ;   in Loop: Header=BB281_991 Depth=1
	s_delay_alu instid0(VALU_DEP_3) | instskip(NEXT) | instid1(VALU_DEP_1)
	v_clz_i32_u32_e32 v14, v6
	v_min_u32_e32 v14, 32, v14
	s_delay_alu instid0(VALU_DEP_1) | instskip(SKIP_1) | instid1(VALU_DEP_2)
	v_subrev_nc_u32_e32 v15, 28, v14
	v_sub_nc_u32_e32 v14, 29, v14
	v_lshlrev_b64 v[15:16], v15, v[6:7]
	s_delay_alu instid0(VALU_DEP_1)
	v_and_b32_e32 v6, 7, v15
; %bb.1140:                             ;   in Loop: Header=BB281_991 Depth=1
	s_or_b32 exec_lo, exec_lo, s15
	v_lshlrev_b32_e32 v15, 16, v118
	s_delay_alu instid0(VALU_DEP_2) | instskip(SKIP_1) | instid1(VALU_DEP_3)
	v_lshlrev_b32_e32 v6, 20, v6
	v_lshl_add_u32 v14, v14, 23, 0x3c000000
	v_and_b32_e32 v15, 0x80000000, v15
	s_delay_alu instid0(VALU_DEP_1)
	v_or3_b32 v15, v6, v15, v14
	v_mov_b32_e32 v14, v7
.LBB281_1141:                           ;   in Loop: Header=BB281_991 Depth=1
	s_or_b32 exec_lo, exec_lo, s10
.LBB281_1142:                           ;   in Loop: Header=BB281_991 Depth=1
	s_delay_alu instid0(SALU_CYCLE_1)
	s_or_b32 exec_lo, exec_lo, s13
.LBB281_1143:                           ;   in Loop: Header=BB281_991 Depth=1
	s_delay_alu instid0(SALU_CYCLE_1) | instskip(SKIP_4) | instid1(VALU_DEP_2)
	s_or_b32 exec_lo, exec_lo, s12
	v_mov_b32_e32 v18, 0
	v_lshrrev_b32_e32 v119, 16, v118
	v_mov_b32_e32 v19, 0
	s_mov_b32 s10, exec_lo
	v_and_b32_e32 v6, 0xff, v119
	s_delay_alu instid0(VALU_DEP_2) | instskip(NEXT) | instid1(VALU_DEP_2)
	v_dual_mov_b32 v16, v18 :: v_dual_mov_b32 v17, v19
	v_cmpx_ne_u16_e32 0, v6
	s_cbranch_execz .LBB281_1151
; %bb.1144:                             ;   in Loop: Header=BB281_991 Depth=1
	v_bfrev_b32_e32 v16, 1
	v_mov_b32_e32 v17, 0
	s_mov_b32 s12, exec_lo
	v_cmpx_ne_u16_e32 0x80, v6
	s_cbranch_execz .LBB281_1150
; %bb.1145:                             ;   in Loop: Header=BB281_991 Depth=1
	v_mov_b32_e32 v16, 0x7f800001
	v_bfe_u32 v128, v118, 16, 7
	v_mov_b32_e32 v17, 0
	s_mov_b32 s13, exec_lo
	s_delay_alu instid0(VALU_DEP_2)
	v_cmpx_ne_u32_e32 0x7f, v128
	s_cbranch_execz .LBB281_1149
; %bb.1146:                             ;   in Loop: Header=BB281_991 Depth=1
	v_and_b32_e32 v6, 7, v119
	v_lshrrev_b32_e32 v16, 3, v128
	s_mov_b32 s15, exec_lo
	v_cmpx_gt_u32_e32 8, v128
; %bb.1147:                             ;   in Loop: Header=BB281_991 Depth=1
	s_delay_alu instid0(VALU_DEP_3) | instskip(NEXT) | instid1(VALU_DEP_1)
	v_clz_i32_u32_e32 v16, v6
	v_min_u32_e32 v16, 32, v16
	s_delay_alu instid0(VALU_DEP_1) | instskip(SKIP_1) | instid1(VALU_DEP_2)
	v_subrev_nc_u32_e32 v17, 28, v16
	v_sub_nc_u32_e32 v16, 29, v16
	v_lshlrev_b64 v[128:129], v17, v[6:7]
	s_delay_alu instid0(VALU_DEP_1)
	v_and_b32_e32 v6, 7, v128
; %bb.1148:                             ;   in Loop: Header=BB281_991 Depth=1
	s_or_b32 exec_lo, exec_lo, s15
	v_lshlrev_b32_e32 v17, 24, v119
	s_delay_alu instid0(VALU_DEP_2) | instskip(SKIP_1) | instid1(VALU_DEP_3)
	v_lshlrev_b32_e32 v6, 20, v6
	v_lshl_add_u32 v16, v16, 23, 0x3c000000
	v_and_b32_e32 v17, 0x80000000, v17
	s_delay_alu instid0(VALU_DEP_1) | instskip(NEXT) | instid1(VALU_DEP_1)
	v_or3_b32 v6, v6, v17, v16
	v_dual_mov_b32 v17, v7 :: v_dual_mov_b32 v16, v6
.LBB281_1149:                           ;   in Loop: Header=BB281_991 Depth=1
	s_or_b32 exec_lo, exec_lo, s13
.LBB281_1150:                           ;   in Loop: Header=BB281_991 Depth=1
	s_delay_alu instid0(SALU_CYCLE_1)
	s_or_b32 exec_lo, exec_lo, s12
.LBB281_1151:                           ;   in Loop: Header=BB281_991 Depth=1
	s_delay_alu instid0(SALU_CYCLE_1) | instskip(NEXT) | instid1(SALU_CYCLE_1)
	s_or_b32 exec_lo, exec_lo, s10
	s_mov_b32 s12, exec_lo
	v_cmpx_lt_u32_e32 0xffffff, v118
	s_cbranch_execz .LBB281_1159
; %bb.1152:                             ;   in Loop: Header=BB281_991 Depth=1
	v_lshrrev_b32_e32 v119, 24, v118
	v_dual_mov_b32 v19, s9 :: v_dual_mov_b32 v18, s8
	s_mov_b32 s13, exec_lo
	s_delay_alu instid0(VALU_DEP_2)
	v_cmpx_ne_u32_e32 0x80, v119
	s_cbranch_execz .LBB281_1158
; %bb.1153:                             ;   in Loop: Header=BB281_991 Depth=1
	s_mov_b32 s10, s8
	v_bfe_u32 v118, v118, 24, 7
	v_dual_mov_b32 v19, s11 :: v_dual_mov_b32 v18, s10
	s_mov_b32 s10, exec_lo
	s_delay_alu instid0(VALU_DEP_2)
	v_cmpx_ne_u32_e32 0x7f, v118
	s_cbranch_execz .LBB281_1157
; %bb.1154:                             ;   in Loop: Header=BB281_991 Depth=1
	v_and_b32_e32 v6, 7, v119
	v_lshrrev_b32_e32 v18, 3, v118
	s_mov_b32 s15, exec_lo
	v_cmpx_gt_u32_e32 8, v118
; %bb.1155:                             ;   in Loop: Header=BB281_991 Depth=1
	s_delay_alu instid0(VALU_DEP_3) | instskip(NEXT) | instid1(VALU_DEP_1)
	v_clz_i32_u32_e32 v18, v6
	v_min_u32_e32 v18, 32, v18
	s_delay_alu instid0(VALU_DEP_1) | instskip(SKIP_1) | instid1(VALU_DEP_2)
	v_subrev_nc_u32_e32 v19, 28, v18
	v_sub_nc_u32_e32 v18, 29, v18
	v_lshlrev_b64 v[128:129], v19, v[6:7]
	s_delay_alu instid0(VALU_DEP_1)
	v_and_b32_e32 v6, 7, v128
; %bb.1156:                             ;   in Loop: Header=BB281_991 Depth=1
	s_or_b32 exec_lo, exec_lo, s15
	v_lshlrev_b32_e32 v19, 24, v119
	s_delay_alu instid0(VALU_DEP_2) | instskip(SKIP_1) | instid1(VALU_DEP_3)
	v_lshlrev_b32_e32 v6, 20, v6
	v_lshl_add_u32 v18, v18, 23, 0x3c000000
	v_and_b32_e32 v19, 0x80000000, v19
	s_delay_alu instid0(VALU_DEP_1)
	v_or3_b32 v19, v6, v19, v18
	v_mov_b32_e32 v18, v7
.LBB281_1157:                           ;   in Loop: Header=BB281_991 Depth=1
	s_or_b32 exec_lo, exec_lo, s10
.LBB281_1158:                           ;   in Loop: Header=BB281_991 Depth=1
	s_delay_alu instid0(SALU_CYCLE_1)
	s_or_b32 exec_lo, exec_lo, s13
.LBB281_1159:                           ;   in Loop: Header=BB281_991 Depth=1
	s_delay_alu instid0(SALU_CYCLE_1) | instskip(SKIP_4) | instid1(VALU_DEP_4)
	s_or_b32 exec_lo, exec_lo, s12
	v_or_b32_e32 v5, v15, v5
	v_or_b32_e32 v4, v14, v4
	;; [unrolled: 1-line block ×4, first 2 shown]
	v_mul_f32_e32 v129, v82, v5
	s_delay_alu instid0(VALU_DEP_4) | instskip(NEXT) | instid1(VALU_DEP_4)
	v_mul_f32_e32 v128, v70, v4
	v_mul_f32_e32 v118, v82, v6
	s_delay_alu instid0(VALU_DEP_4)
	v_mul_f32_e32 v119, v70, v14
	s_and_saveexec_b32 s10, vcc_lo
; %bb.1160:                             ;   in Loop: Header=BB281_991 Depth=1
	v_cmp_lt_i32_e64 s0, v87, v170
	s_delay_alu instid0(VALU_DEP_1) | instskip(SKIP_1) | instid1(VALU_DEP_1)
	v_cndmask_b32_e64 v128, 0, v128, s0
	v_cmp_lt_i32_e64 s0, v97, v170
	v_cndmask_b32_e64 v129, 0, v129, s0
	v_cmp_lt_i32_e64 s0, v96, v170
	s_delay_alu instid0(VALU_DEP_1) | instskip(SKIP_1) | instid1(VALU_DEP_1)
	v_cndmask_b32_e64 v119, 0, v119, s0
	v_cmp_lt_i32_e64 s0, v80, v170
	v_cndmask_b32_e64 v118, 0, v118, s0
; %bb.1161:                             ;   in Loop: Header=BB281_991 Depth=1
	s_or_b32 exec_lo, exec_lo, s10
	flat_load_b32 v130, v[12:13] offset:640
	v_mov_b32_e32 v14, 0
	v_mov_b32_e32 v15, 0
	s_mov_b32 s10, exec_lo
	s_waitcnt vmcnt(0) lgkmcnt(0)
	v_and_b32_e32 v6, 0xff, v130
	s_delay_alu instid0(VALU_DEP_2) | instskip(NEXT) | instid1(VALU_DEP_2)
	v_dual_mov_b32 v4, v14 :: v_dual_mov_b32 v5, v15
	v_cmpx_ne_u16_e32 0, v6
	s_cbranch_execz .LBB281_1169
; %bb.1162:                             ;   in Loop: Header=BB281_991 Depth=1
	v_bfrev_b32_e32 v4, 1
	v_mov_b32_e32 v5, 0
	s_mov_b32 s12, exec_lo
	v_cmpx_ne_u16_e32 0x80, v6
	s_cbranch_execz .LBB281_1168
; %bb.1163:                             ;   in Loop: Header=BB281_991 Depth=1
	v_mov_b32_e32 v4, 0x7f800001
	v_dual_mov_b32 v5, 0 :: v_dual_and_b32 v16, 0x7f, v130
	s_mov_b32 s13, exec_lo
	s_delay_alu instid0(VALU_DEP_1)
	v_cmpx_ne_u32_e32 0x7f, v16
	s_cbranch_execz .LBB281_1167
; %bb.1164:                             ;   in Loop: Header=BB281_991 Depth=1
	v_and_b32_e32 v6, 7, v130
	v_lshrrev_b32_e32 v4, 3, v16
	s_mov_b32 s15, exec_lo
	v_cmpx_gt_u32_e32 8, v16
; %bb.1165:                             ;   in Loop: Header=BB281_991 Depth=1
	s_delay_alu instid0(VALU_DEP_3) | instskip(NEXT) | instid1(VALU_DEP_1)
	v_clz_i32_u32_e32 v4, v6
	v_min_u32_e32 v4, 32, v4
	s_delay_alu instid0(VALU_DEP_1) | instskip(SKIP_1) | instid1(VALU_DEP_2)
	v_subrev_nc_u32_e32 v5, 28, v4
	v_sub_nc_u32_e32 v4, 29, v4
	v_lshlrev_b64 v[5:6], v5, v[6:7]
	s_delay_alu instid0(VALU_DEP_1)
	v_and_b32_e32 v6, 7, v5
; %bb.1166:                             ;   in Loop: Header=BB281_991 Depth=1
	s_or_b32 exec_lo, exec_lo, s15
	v_lshlrev_b32_e32 v5, 24, v130
	s_delay_alu instid0(VALU_DEP_2) | instskip(SKIP_1) | instid1(VALU_DEP_3)
	v_lshlrev_b32_e32 v6, 20, v6
	v_lshl_add_u32 v4, v4, 23, 0x3c000000
	v_and_b32_e32 v5, 0x80000000, v5
	s_delay_alu instid0(VALU_DEP_1) | instskip(NEXT) | instid1(VALU_DEP_1)
	v_or3_b32 v6, v6, v5, v4
	v_dual_mov_b32 v4, v6 :: v_dual_mov_b32 v5, v7
.LBB281_1167:                           ;   in Loop: Header=BB281_991 Depth=1
	s_or_b32 exec_lo, exec_lo, s13
.LBB281_1168:                           ;   in Loop: Header=BB281_991 Depth=1
	s_delay_alu instid0(SALU_CYCLE_1)
	s_or_b32 exec_lo, exec_lo, s12
.LBB281_1169:                           ;   in Loop: Header=BB281_991 Depth=1
	s_delay_alu instid0(SALU_CYCLE_1) | instskip(SKIP_2) | instid1(VALU_DEP_1)
	s_or_b32 exec_lo, exec_lo, s10
	v_lshrrev_b16 v6, 8, v130
	s_mov_b32 s12, exec_lo
	v_cmpx_ne_u16_e32 0, v6
	s_cbranch_execz .LBB281_1177
; %bb.1170:                             ;   in Loop: Header=BB281_991 Depth=1
	v_dual_mov_b32 v15, s9 :: v_dual_mov_b32 v14, s8
	s_mov_b32 s13, exec_lo
	v_cmpx_ne_u16_e32 0x80, v6
	s_cbranch_execz .LBB281_1176
; %bb.1171:                             ;   in Loop: Header=BB281_991 Depth=1
	s_mov_b32 s10, s8
	v_dual_mov_b32 v15, s11 :: v_dual_and_b32 v6, 0xffff, v6
	v_mov_b32_e32 v14, s10
	s_mov_b32 s10, exec_lo
	s_delay_alu instid0(VALU_DEP_2) | instskip(NEXT) | instid1(VALU_DEP_1)
	v_and_b32_e32 v16, 0x7f, v6
	v_cmpx_ne_u32_e32 0x7f, v16
	s_cbranch_execz .LBB281_1175
; %bb.1172:                             ;   in Loop: Header=BB281_991 Depth=1
	v_and_b32_e32 v6, 7, v6
	v_lshrrev_b32_e32 v14, 3, v16
	s_mov_b32 s15, exec_lo
	v_cmpx_gt_u32_e32 8, v16
; %bb.1173:                             ;   in Loop: Header=BB281_991 Depth=1
	s_delay_alu instid0(VALU_DEP_3) | instskip(NEXT) | instid1(VALU_DEP_1)
	v_clz_i32_u32_e32 v14, v6
	v_min_u32_e32 v14, 32, v14
	s_delay_alu instid0(VALU_DEP_1) | instskip(SKIP_1) | instid1(VALU_DEP_2)
	v_subrev_nc_u32_e32 v15, 28, v14
	v_sub_nc_u32_e32 v14, 29, v14
	v_lshlrev_b64 v[15:16], v15, v[6:7]
	s_delay_alu instid0(VALU_DEP_1)
	v_and_b32_e32 v6, 7, v15
; %bb.1174:                             ;   in Loop: Header=BB281_991 Depth=1
	s_or_b32 exec_lo, exec_lo, s15
	v_lshlrev_b32_e32 v15, 16, v130
	s_delay_alu instid0(VALU_DEP_2) | instskip(SKIP_1) | instid1(VALU_DEP_3)
	v_lshlrev_b32_e32 v6, 20, v6
	v_lshl_add_u32 v14, v14, 23, 0x3c000000
	v_and_b32_e32 v15, 0x80000000, v15
	s_delay_alu instid0(VALU_DEP_1)
	v_or3_b32 v15, v6, v15, v14
	v_mov_b32_e32 v14, v7
.LBB281_1175:                           ;   in Loop: Header=BB281_991 Depth=1
	s_or_b32 exec_lo, exec_lo, s10
.LBB281_1176:                           ;   in Loop: Header=BB281_991 Depth=1
	s_delay_alu instid0(SALU_CYCLE_1)
	s_or_b32 exec_lo, exec_lo, s13
.LBB281_1177:                           ;   in Loop: Header=BB281_991 Depth=1
	s_delay_alu instid0(SALU_CYCLE_1) | instskip(SKIP_4) | instid1(VALU_DEP_2)
	s_or_b32 exec_lo, exec_lo, s12
	v_mov_b32_e32 v18, 0
	v_lshrrev_b32_e32 v131, 16, v130
	v_mov_b32_e32 v19, 0
	s_mov_b32 s10, exec_lo
	v_and_b32_e32 v6, 0xff, v131
	s_delay_alu instid0(VALU_DEP_2) | instskip(NEXT) | instid1(VALU_DEP_2)
	v_dual_mov_b32 v16, v18 :: v_dual_mov_b32 v17, v19
	v_cmpx_ne_u16_e32 0, v6
	s_cbranch_execz .LBB281_1185
; %bb.1178:                             ;   in Loop: Header=BB281_991 Depth=1
	v_bfrev_b32_e32 v16, 1
	v_mov_b32_e32 v17, 0
	s_mov_b32 s12, exec_lo
	v_cmpx_ne_u16_e32 0x80, v6
	s_cbranch_execz .LBB281_1184
; %bb.1179:                             ;   in Loop: Header=BB281_991 Depth=1
	v_mov_b32_e32 v16, 0x7f800001
	v_bfe_u32 v132, v130, 16, 7
	v_mov_b32_e32 v17, 0
	s_mov_b32 s13, exec_lo
	s_delay_alu instid0(VALU_DEP_2)
	v_cmpx_ne_u32_e32 0x7f, v132
	s_cbranch_execz .LBB281_1183
; %bb.1180:                             ;   in Loop: Header=BB281_991 Depth=1
	v_and_b32_e32 v6, 7, v131
	v_lshrrev_b32_e32 v16, 3, v132
	s_mov_b32 s15, exec_lo
	v_cmpx_gt_u32_e32 8, v132
; %bb.1181:                             ;   in Loop: Header=BB281_991 Depth=1
	s_delay_alu instid0(VALU_DEP_3) | instskip(NEXT) | instid1(VALU_DEP_1)
	v_clz_i32_u32_e32 v16, v6
	v_min_u32_e32 v16, 32, v16
	s_delay_alu instid0(VALU_DEP_1) | instskip(SKIP_1) | instid1(VALU_DEP_2)
	v_subrev_nc_u32_e32 v17, 28, v16
	v_sub_nc_u32_e32 v16, 29, v16
	v_lshlrev_b64 v[132:133], v17, v[6:7]
	s_delay_alu instid0(VALU_DEP_1)
	v_and_b32_e32 v6, 7, v132
; %bb.1182:                             ;   in Loop: Header=BB281_991 Depth=1
	s_or_b32 exec_lo, exec_lo, s15
	v_lshlrev_b32_e32 v17, 24, v131
	s_delay_alu instid0(VALU_DEP_2) | instskip(SKIP_1) | instid1(VALU_DEP_3)
	v_lshlrev_b32_e32 v6, 20, v6
	v_lshl_add_u32 v16, v16, 23, 0x3c000000
	v_and_b32_e32 v17, 0x80000000, v17
	s_delay_alu instid0(VALU_DEP_1) | instskip(NEXT) | instid1(VALU_DEP_1)
	v_or3_b32 v6, v6, v17, v16
	v_dual_mov_b32 v17, v7 :: v_dual_mov_b32 v16, v6
.LBB281_1183:                           ;   in Loop: Header=BB281_991 Depth=1
	s_or_b32 exec_lo, exec_lo, s13
.LBB281_1184:                           ;   in Loop: Header=BB281_991 Depth=1
	s_delay_alu instid0(SALU_CYCLE_1)
	s_or_b32 exec_lo, exec_lo, s12
.LBB281_1185:                           ;   in Loop: Header=BB281_991 Depth=1
	s_delay_alu instid0(SALU_CYCLE_1) | instskip(NEXT) | instid1(SALU_CYCLE_1)
	s_or_b32 exec_lo, exec_lo, s10
	s_mov_b32 s12, exec_lo
	v_cmpx_lt_u32_e32 0xffffff, v130
	s_cbranch_execz .LBB281_1193
; %bb.1186:                             ;   in Loop: Header=BB281_991 Depth=1
	v_lshrrev_b32_e32 v131, 24, v130
	v_dual_mov_b32 v19, s9 :: v_dual_mov_b32 v18, s8
	s_mov_b32 s13, exec_lo
	s_delay_alu instid0(VALU_DEP_2)
	v_cmpx_ne_u32_e32 0x80, v131
	s_cbranch_execz .LBB281_1192
; %bb.1187:                             ;   in Loop: Header=BB281_991 Depth=1
	s_mov_b32 s10, s8
	v_bfe_u32 v130, v130, 24, 7
	v_dual_mov_b32 v19, s11 :: v_dual_mov_b32 v18, s10
	s_mov_b32 s10, exec_lo
	s_delay_alu instid0(VALU_DEP_2)
	v_cmpx_ne_u32_e32 0x7f, v130
	s_cbranch_execz .LBB281_1191
; %bb.1188:                             ;   in Loop: Header=BB281_991 Depth=1
	v_and_b32_e32 v6, 7, v131
	v_lshrrev_b32_e32 v18, 3, v130
	s_mov_b32 s15, exec_lo
	v_cmpx_gt_u32_e32 8, v130
; %bb.1189:                             ;   in Loop: Header=BB281_991 Depth=1
	s_delay_alu instid0(VALU_DEP_3) | instskip(NEXT) | instid1(VALU_DEP_1)
	v_clz_i32_u32_e32 v18, v6
	v_min_u32_e32 v18, 32, v18
	s_delay_alu instid0(VALU_DEP_1) | instskip(SKIP_1) | instid1(VALU_DEP_2)
	v_subrev_nc_u32_e32 v19, 28, v18
	v_sub_nc_u32_e32 v18, 29, v18
	v_lshlrev_b64 v[132:133], v19, v[6:7]
	s_delay_alu instid0(VALU_DEP_1)
	v_and_b32_e32 v6, 7, v132
; %bb.1190:                             ;   in Loop: Header=BB281_991 Depth=1
	s_or_b32 exec_lo, exec_lo, s15
	v_lshlrev_b32_e32 v19, 24, v131
	s_delay_alu instid0(VALU_DEP_2) | instskip(SKIP_1) | instid1(VALU_DEP_3)
	v_lshlrev_b32_e32 v6, 20, v6
	v_lshl_add_u32 v18, v18, 23, 0x3c000000
	v_and_b32_e32 v19, 0x80000000, v19
	s_delay_alu instid0(VALU_DEP_1)
	v_or3_b32 v19, v6, v19, v18
	v_mov_b32_e32 v18, v7
.LBB281_1191:                           ;   in Loop: Header=BB281_991 Depth=1
	s_or_b32 exec_lo, exec_lo, s10
.LBB281_1192:                           ;   in Loop: Header=BB281_991 Depth=1
	s_delay_alu instid0(SALU_CYCLE_1)
	s_or_b32 exec_lo, exec_lo, s13
.LBB281_1193:                           ;   in Loop: Header=BB281_991 Depth=1
	s_delay_alu instid0(SALU_CYCLE_1) | instskip(SKIP_4) | instid1(VALU_DEP_4)
	s_or_b32 exec_lo, exec_lo, s12
	v_or_b32_e32 v5, v15, v5
	v_or_b32_e32 v4, v14, v4
	;; [unrolled: 1-line block ×4, first 2 shown]
	v_mul_f32_e32 v133, v82, v5
	s_delay_alu instid0(VALU_DEP_4) | instskip(NEXT) | instid1(VALU_DEP_4)
	v_mul_f32_e32 v132, v70, v4
	v_mul_f32_e32 v130, v82, v6
	s_delay_alu instid0(VALU_DEP_4)
	v_mul_f32_e32 v131, v70, v14
	s_and_saveexec_b32 s10, vcc_lo
; %bb.1194:                             ;   in Loop: Header=BB281_991 Depth=1
	v_cmp_lt_i32_e64 s0, v87, v170
	s_delay_alu instid0(VALU_DEP_1) | instskip(SKIP_1) | instid1(VALU_DEP_1)
	v_cndmask_b32_e64 v132, 0, v132, s0
	v_cmp_lt_i32_e64 s0, v97, v170
	v_cndmask_b32_e64 v133, 0, v133, s0
	v_cmp_lt_i32_e64 s0, v96, v170
	s_delay_alu instid0(VALU_DEP_1) | instskip(SKIP_1) | instid1(VALU_DEP_1)
	v_cndmask_b32_e64 v131, 0, v131, s0
	v_cmp_lt_i32_e64 s0, v80, v170
	v_cndmask_b32_e64 v130, 0, v130, s0
; %bb.1195:                             ;   in Loop: Header=BB281_991 Depth=1
	s_or_b32 exec_lo, exec_lo, s10
	flat_load_b32 v134, v[12:13] offset:768
	v_mov_b32_e32 v14, 0
	v_mov_b32_e32 v15, 0
	s_mov_b32 s10, exec_lo
	s_waitcnt vmcnt(0) lgkmcnt(0)
	v_and_b32_e32 v6, 0xff, v134
	s_delay_alu instid0(VALU_DEP_2) | instskip(NEXT) | instid1(VALU_DEP_2)
	v_dual_mov_b32 v4, v14 :: v_dual_mov_b32 v5, v15
	v_cmpx_ne_u16_e32 0, v6
	s_cbranch_execz .LBB281_1203
; %bb.1196:                             ;   in Loop: Header=BB281_991 Depth=1
	v_bfrev_b32_e32 v4, 1
	v_mov_b32_e32 v5, 0
	s_mov_b32 s12, exec_lo
	v_cmpx_ne_u16_e32 0x80, v6
	s_cbranch_execz .LBB281_1202
; %bb.1197:                             ;   in Loop: Header=BB281_991 Depth=1
	v_mov_b32_e32 v4, 0x7f800001
	v_dual_mov_b32 v5, 0 :: v_dual_and_b32 v16, 0x7f, v134
	s_mov_b32 s13, exec_lo
	s_delay_alu instid0(VALU_DEP_1)
	v_cmpx_ne_u32_e32 0x7f, v16
	s_cbranch_execz .LBB281_1201
; %bb.1198:                             ;   in Loop: Header=BB281_991 Depth=1
	v_and_b32_e32 v6, 7, v134
	v_lshrrev_b32_e32 v4, 3, v16
	s_mov_b32 s15, exec_lo
	v_cmpx_gt_u32_e32 8, v16
; %bb.1199:                             ;   in Loop: Header=BB281_991 Depth=1
	s_delay_alu instid0(VALU_DEP_3) | instskip(NEXT) | instid1(VALU_DEP_1)
	v_clz_i32_u32_e32 v4, v6
	v_min_u32_e32 v4, 32, v4
	s_delay_alu instid0(VALU_DEP_1) | instskip(SKIP_1) | instid1(VALU_DEP_2)
	v_subrev_nc_u32_e32 v5, 28, v4
	v_sub_nc_u32_e32 v4, 29, v4
	v_lshlrev_b64 v[5:6], v5, v[6:7]
	s_delay_alu instid0(VALU_DEP_1)
	v_and_b32_e32 v6, 7, v5
; %bb.1200:                             ;   in Loop: Header=BB281_991 Depth=1
	s_or_b32 exec_lo, exec_lo, s15
	v_lshlrev_b32_e32 v5, 24, v134
	s_delay_alu instid0(VALU_DEP_2) | instskip(SKIP_1) | instid1(VALU_DEP_3)
	v_lshlrev_b32_e32 v6, 20, v6
	v_lshl_add_u32 v4, v4, 23, 0x3c000000
	v_and_b32_e32 v5, 0x80000000, v5
	s_delay_alu instid0(VALU_DEP_1) | instskip(NEXT) | instid1(VALU_DEP_1)
	v_or3_b32 v6, v6, v5, v4
	v_dual_mov_b32 v4, v6 :: v_dual_mov_b32 v5, v7
.LBB281_1201:                           ;   in Loop: Header=BB281_991 Depth=1
	s_or_b32 exec_lo, exec_lo, s13
.LBB281_1202:                           ;   in Loop: Header=BB281_991 Depth=1
	s_delay_alu instid0(SALU_CYCLE_1)
	s_or_b32 exec_lo, exec_lo, s12
.LBB281_1203:                           ;   in Loop: Header=BB281_991 Depth=1
	s_delay_alu instid0(SALU_CYCLE_1) | instskip(SKIP_2) | instid1(VALU_DEP_1)
	s_or_b32 exec_lo, exec_lo, s10
	v_lshrrev_b16 v6, 8, v134
	s_mov_b32 s12, exec_lo
	v_cmpx_ne_u16_e32 0, v6
	s_cbranch_execz .LBB281_1211
; %bb.1204:                             ;   in Loop: Header=BB281_991 Depth=1
	v_dual_mov_b32 v15, s9 :: v_dual_mov_b32 v14, s8
	s_mov_b32 s13, exec_lo
	v_cmpx_ne_u16_e32 0x80, v6
	s_cbranch_execz .LBB281_1210
; %bb.1205:                             ;   in Loop: Header=BB281_991 Depth=1
	s_mov_b32 s10, s8
	v_dual_mov_b32 v15, s11 :: v_dual_and_b32 v6, 0xffff, v6
	v_mov_b32_e32 v14, s10
	s_mov_b32 s10, exec_lo
	s_delay_alu instid0(VALU_DEP_2) | instskip(NEXT) | instid1(VALU_DEP_1)
	v_and_b32_e32 v16, 0x7f, v6
	v_cmpx_ne_u32_e32 0x7f, v16
	s_cbranch_execz .LBB281_1209
; %bb.1206:                             ;   in Loop: Header=BB281_991 Depth=1
	v_and_b32_e32 v6, 7, v6
	v_lshrrev_b32_e32 v14, 3, v16
	s_mov_b32 s15, exec_lo
	v_cmpx_gt_u32_e32 8, v16
; %bb.1207:                             ;   in Loop: Header=BB281_991 Depth=1
	s_delay_alu instid0(VALU_DEP_3) | instskip(NEXT) | instid1(VALU_DEP_1)
	v_clz_i32_u32_e32 v14, v6
	v_min_u32_e32 v14, 32, v14
	s_delay_alu instid0(VALU_DEP_1) | instskip(SKIP_1) | instid1(VALU_DEP_2)
	v_subrev_nc_u32_e32 v15, 28, v14
	v_sub_nc_u32_e32 v14, 29, v14
	v_lshlrev_b64 v[15:16], v15, v[6:7]
	s_delay_alu instid0(VALU_DEP_1)
	v_and_b32_e32 v6, 7, v15
; %bb.1208:                             ;   in Loop: Header=BB281_991 Depth=1
	s_or_b32 exec_lo, exec_lo, s15
	v_lshlrev_b32_e32 v15, 16, v134
	s_delay_alu instid0(VALU_DEP_2) | instskip(SKIP_1) | instid1(VALU_DEP_3)
	v_lshlrev_b32_e32 v6, 20, v6
	v_lshl_add_u32 v14, v14, 23, 0x3c000000
	v_and_b32_e32 v15, 0x80000000, v15
	s_delay_alu instid0(VALU_DEP_1)
	v_or3_b32 v15, v6, v15, v14
	v_mov_b32_e32 v14, v7
.LBB281_1209:                           ;   in Loop: Header=BB281_991 Depth=1
	s_or_b32 exec_lo, exec_lo, s10
.LBB281_1210:                           ;   in Loop: Header=BB281_991 Depth=1
	s_delay_alu instid0(SALU_CYCLE_1)
	s_or_b32 exec_lo, exec_lo, s13
.LBB281_1211:                           ;   in Loop: Header=BB281_991 Depth=1
	s_delay_alu instid0(SALU_CYCLE_1) | instskip(SKIP_4) | instid1(VALU_DEP_2)
	s_or_b32 exec_lo, exec_lo, s12
	v_mov_b32_e32 v18, 0
	v_lshrrev_b32_e32 v135, 16, v134
	v_mov_b32_e32 v19, 0
	s_mov_b32 s10, exec_lo
	v_and_b32_e32 v6, 0xff, v135
	s_delay_alu instid0(VALU_DEP_2) | instskip(NEXT) | instid1(VALU_DEP_2)
	v_dual_mov_b32 v16, v18 :: v_dual_mov_b32 v17, v19
	v_cmpx_ne_u16_e32 0, v6
	s_cbranch_execz .LBB281_1219
; %bb.1212:                             ;   in Loop: Header=BB281_991 Depth=1
	v_bfrev_b32_e32 v16, 1
	v_mov_b32_e32 v17, 0
	s_mov_b32 s12, exec_lo
	v_cmpx_ne_u16_e32 0x80, v6
	s_cbranch_execz .LBB281_1218
; %bb.1213:                             ;   in Loop: Header=BB281_991 Depth=1
	v_mov_b32_e32 v16, 0x7f800001
	v_bfe_u32 v144, v134, 16, 7
	v_mov_b32_e32 v17, 0
	s_mov_b32 s13, exec_lo
	s_delay_alu instid0(VALU_DEP_2)
	v_cmpx_ne_u32_e32 0x7f, v144
	s_cbranch_execz .LBB281_1217
; %bb.1214:                             ;   in Loop: Header=BB281_991 Depth=1
	v_and_b32_e32 v6, 7, v135
	v_lshrrev_b32_e32 v16, 3, v144
	s_mov_b32 s15, exec_lo
	v_cmpx_gt_u32_e32 8, v144
; %bb.1215:                             ;   in Loop: Header=BB281_991 Depth=1
	s_delay_alu instid0(VALU_DEP_3) | instskip(NEXT) | instid1(VALU_DEP_1)
	v_clz_i32_u32_e32 v16, v6
	v_min_u32_e32 v16, 32, v16
	s_delay_alu instid0(VALU_DEP_1) | instskip(SKIP_1) | instid1(VALU_DEP_2)
	v_subrev_nc_u32_e32 v17, 28, v16
	v_sub_nc_u32_e32 v16, 29, v16
	v_lshlrev_b64 v[144:145], v17, v[6:7]
	s_delay_alu instid0(VALU_DEP_1)
	v_and_b32_e32 v6, 7, v144
; %bb.1216:                             ;   in Loop: Header=BB281_991 Depth=1
	s_or_b32 exec_lo, exec_lo, s15
	v_lshlrev_b32_e32 v17, 24, v135
	s_delay_alu instid0(VALU_DEP_2) | instskip(SKIP_1) | instid1(VALU_DEP_3)
	v_lshlrev_b32_e32 v6, 20, v6
	v_lshl_add_u32 v16, v16, 23, 0x3c000000
	v_and_b32_e32 v17, 0x80000000, v17
	s_delay_alu instid0(VALU_DEP_1) | instskip(NEXT) | instid1(VALU_DEP_1)
	v_or3_b32 v6, v6, v17, v16
	v_dual_mov_b32 v17, v7 :: v_dual_mov_b32 v16, v6
.LBB281_1217:                           ;   in Loop: Header=BB281_991 Depth=1
	s_or_b32 exec_lo, exec_lo, s13
.LBB281_1218:                           ;   in Loop: Header=BB281_991 Depth=1
	s_delay_alu instid0(SALU_CYCLE_1)
	s_or_b32 exec_lo, exec_lo, s12
.LBB281_1219:                           ;   in Loop: Header=BB281_991 Depth=1
	s_delay_alu instid0(SALU_CYCLE_1) | instskip(NEXT) | instid1(SALU_CYCLE_1)
	s_or_b32 exec_lo, exec_lo, s10
	s_mov_b32 s12, exec_lo
	v_cmpx_lt_u32_e32 0xffffff, v134
	s_cbranch_execz .LBB281_1227
; %bb.1220:                             ;   in Loop: Header=BB281_991 Depth=1
	v_lshrrev_b32_e32 v135, 24, v134
	v_dual_mov_b32 v19, s9 :: v_dual_mov_b32 v18, s8
	s_mov_b32 s13, exec_lo
	s_delay_alu instid0(VALU_DEP_2)
	v_cmpx_ne_u32_e32 0x80, v135
	s_cbranch_execz .LBB281_1226
; %bb.1221:                             ;   in Loop: Header=BB281_991 Depth=1
	s_mov_b32 s10, s8
	v_bfe_u32 v134, v134, 24, 7
	v_dual_mov_b32 v19, s11 :: v_dual_mov_b32 v18, s10
	s_mov_b32 s10, exec_lo
	s_delay_alu instid0(VALU_DEP_2)
	v_cmpx_ne_u32_e32 0x7f, v134
	s_cbranch_execz .LBB281_1225
; %bb.1222:                             ;   in Loop: Header=BB281_991 Depth=1
	v_and_b32_e32 v6, 7, v135
	v_lshrrev_b32_e32 v18, 3, v134
	s_mov_b32 s15, exec_lo
	v_cmpx_gt_u32_e32 8, v134
; %bb.1223:                             ;   in Loop: Header=BB281_991 Depth=1
	s_delay_alu instid0(VALU_DEP_3) | instskip(NEXT) | instid1(VALU_DEP_1)
	v_clz_i32_u32_e32 v18, v6
	v_min_u32_e32 v18, 32, v18
	s_delay_alu instid0(VALU_DEP_1) | instskip(SKIP_1) | instid1(VALU_DEP_2)
	v_subrev_nc_u32_e32 v19, 28, v18
	v_sub_nc_u32_e32 v18, 29, v18
	v_lshlrev_b64 v[144:145], v19, v[6:7]
	s_delay_alu instid0(VALU_DEP_1)
	v_and_b32_e32 v6, 7, v144
; %bb.1224:                             ;   in Loop: Header=BB281_991 Depth=1
	s_or_b32 exec_lo, exec_lo, s15
	v_lshlrev_b32_e32 v19, 24, v135
	s_delay_alu instid0(VALU_DEP_2) | instskip(SKIP_1) | instid1(VALU_DEP_3)
	v_lshlrev_b32_e32 v6, 20, v6
	v_lshl_add_u32 v18, v18, 23, 0x3c000000
	v_and_b32_e32 v19, 0x80000000, v19
	s_delay_alu instid0(VALU_DEP_1)
	v_or3_b32 v19, v6, v19, v18
	v_mov_b32_e32 v18, v7
.LBB281_1225:                           ;   in Loop: Header=BB281_991 Depth=1
	s_or_b32 exec_lo, exec_lo, s10
.LBB281_1226:                           ;   in Loop: Header=BB281_991 Depth=1
	s_delay_alu instid0(SALU_CYCLE_1)
	s_or_b32 exec_lo, exec_lo, s13
.LBB281_1227:                           ;   in Loop: Header=BB281_991 Depth=1
	s_delay_alu instid0(SALU_CYCLE_1) | instskip(SKIP_4) | instid1(VALU_DEP_4)
	s_or_b32 exec_lo, exec_lo, s12
	v_or_b32_e32 v5, v15, v5
	v_or_b32_e32 v4, v14, v4
	;; [unrolled: 1-line block ×4, first 2 shown]
	v_mul_f32_e32 v145, v82, v5
	s_delay_alu instid0(VALU_DEP_4) | instskip(NEXT) | instid1(VALU_DEP_4)
	v_mul_f32_e32 v144, v70, v4
	v_mul_f32_e32 v134, v82, v6
	s_delay_alu instid0(VALU_DEP_4)
	v_mul_f32_e32 v135, v70, v14
	s_and_saveexec_b32 s10, vcc_lo
; %bb.1228:                             ;   in Loop: Header=BB281_991 Depth=1
	v_cmp_lt_i32_e64 s0, v87, v170
	s_delay_alu instid0(VALU_DEP_1) | instskip(SKIP_1) | instid1(VALU_DEP_1)
	v_cndmask_b32_e64 v144, 0, v144, s0
	v_cmp_lt_i32_e64 s0, v97, v170
	v_cndmask_b32_e64 v145, 0, v145, s0
	v_cmp_lt_i32_e64 s0, v96, v170
	s_delay_alu instid0(VALU_DEP_1) | instskip(SKIP_1) | instid1(VALU_DEP_1)
	v_cndmask_b32_e64 v135, 0, v135, s0
	v_cmp_lt_i32_e64 s0, v80, v170
	v_cndmask_b32_e64 v134, 0, v134, s0
; %bb.1229:                             ;   in Loop: Header=BB281_991 Depth=1
	s_or_b32 exec_lo, exec_lo, s10
	flat_load_b32 v146, v[12:13] offset:896
	v_mov_b32_e32 v14, 0
	v_mov_b32_e32 v15, 0
	s_mov_b32 s10, exec_lo
	s_waitcnt vmcnt(0) lgkmcnt(0)
	v_and_b32_e32 v6, 0xff, v146
	s_delay_alu instid0(VALU_DEP_2) | instskip(NEXT) | instid1(VALU_DEP_2)
	v_dual_mov_b32 v4, v14 :: v_dual_mov_b32 v5, v15
	v_cmpx_ne_u16_e32 0, v6
	s_cbranch_execz .LBB281_1237
; %bb.1230:                             ;   in Loop: Header=BB281_991 Depth=1
	v_bfrev_b32_e32 v4, 1
	v_mov_b32_e32 v5, 0
	s_mov_b32 s12, exec_lo
	v_cmpx_ne_u16_e32 0x80, v6
	s_cbranch_execz .LBB281_1236
; %bb.1231:                             ;   in Loop: Header=BB281_991 Depth=1
	v_mov_b32_e32 v4, 0x7f800001
	v_dual_mov_b32 v5, 0 :: v_dual_and_b32 v16, 0x7f, v146
	s_mov_b32 s13, exec_lo
	s_delay_alu instid0(VALU_DEP_1)
	v_cmpx_ne_u32_e32 0x7f, v16
	s_cbranch_execz .LBB281_1235
; %bb.1232:                             ;   in Loop: Header=BB281_991 Depth=1
	v_and_b32_e32 v6, 7, v146
	v_lshrrev_b32_e32 v4, 3, v16
	s_mov_b32 s15, exec_lo
	v_cmpx_gt_u32_e32 8, v16
; %bb.1233:                             ;   in Loop: Header=BB281_991 Depth=1
	s_delay_alu instid0(VALU_DEP_3) | instskip(NEXT) | instid1(VALU_DEP_1)
	v_clz_i32_u32_e32 v4, v6
	v_min_u32_e32 v4, 32, v4
	s_delay_alu instid0(VALU_DEP_1) | instskip(SKIP_1) | instid1(VALU_DEP_2)
	v_subrev_nc_u32_e32 v5, 28, v4
	v_sub_nc_u32_e32 v4, 29, v4
	v_lshlrev_b64 v[5:6], v5, v[6:7]
	s_delay_alu instid0(VALU_DEP_1)
	v_and_b32_e32 v6, 7, v5
; %bb.1234:                             ;   in Loop: Header=BB281_991 Depth=1
	s_or_b32 exec_lo, exec_lo, s15
	v_lshlrev_b32_e32 v5, 24, v146
	s_delay_alu instid0(VALU_DEP_2) | instskip(SKIP_1) | instid1(VALU_DEP_3)
	v_lshlrev_b32_e32 v6, 20, v6
	v_lshl_add_u32 v4, v4, 23, 0x3c000000
	v_and_b32_e32 v5, 0x80000000, v5
	s_delay_alu instid0(VALU_DEP_1) | instskip(NEXT) | instid1(VALU_DEP_1)
	v_or3_b32 v6, v6, v5, v4
	v_dual_mov_b32 v4, v6 :: v_dual_mov_b32 v5, v7
.LBB281_1235:                           ;   in Loop: Header=BB281_991 Depth=1
	s_or_b32 exec_lo, exec_lo, s13
.LBB281_1236:                           ;   in Loop: Header=BB281_991 Depth=1
	s_delay_alu instid0(SALU_CYCLE_1)
	s_or_b32 exec_lo, exec_lo, s12
.LBB281_1237:                           ;   in Loop: Header=BB281_991 Depth=1
	s_delay_alu instid0(SALU_CYCLE_1) | instskip(SKIP_2) | instid1(VALU_DEP_1)
	s_or_b32 exec_lo, exec_lo, s10
	v_lshrrev_b16 v6, 8, v146
	s_mov_b32 s12, exec_lo
	v_cmpx_ne_u16_e32 0, v6
	s_cbranch_execz .LBB281_1245
; %bb.1238:                             ;   in Loop: Header=BB281_991 Depth=1
	v_dual_mov_b32 v15, s9 :: v_dual_mov_b32 v14, s8
	s_mov_b32 s13, exec_lo
	v_cmpx_ne_u16_e32 0x80, v6
	s_cbranch_execz .LBB281_1244
; %bb.1239:                             ;   in Loop: Header=BB281_991 Depth=1
	s_mov_b32 s10, s8
	v_dual_mov_b32 v15, s11 :: v_dual_and_b32 v6, 0xffff, v6
	v_mov_b32_e32 v14, s10
	s_mov_b32 s10, exec_lo
	s_delay_alu instid0(VALU_DEP_2) | instskip(NEXT) | instid1(VALU_DEP_1)
	v_and_b32_e32 v16, 0x7f, v6
	v_cmpx_ne_u32_e32 0x7f, v16
	s_cbranch_execz .LBB281_1243
; %bb.1240:                             ;   in Loop: Header=BB281_991 Depth=1
	v_and_b32_e32 v6, 7, v6
	v_lshrrev_b32_e32 v14, 3, v16
	s_mov_b32 s15, exec_lo
	v_cmpx_gt_u32_e32 8, v16
; %bb.1241:                             ;   in Loop: Header=BB281_991 Depth=1
	s_delay_alu instid0(VALU_DEP_3) | instskip(NEXT) | instid1(VALU_DEP_1)
	v_clz_i32_u32_e32 v14, v6
	v_min_u32_e32 v14, 32, v14
	s_delay_alu instid0(VALU_DEP_1) | instskip(SKIP_1) | instid1(VALU_DEP_2)
	v_subrev_nc_u32_e32 v15, 28, v14
	v_sub_nc_u32_e32 v14, 29, v14
	v_lshlrev_b64 v[15:16], v15, v[6:7]
	s_delay_alu instid0(VALU_DEP_1)
	v_and_b32_e32 v6, 7, v15
; %bb.1242:                             ;   in Loop: Header=BB281_991 Depth=1
	s_or_b32 exec_lo, exec_lo, s15
	v_lshlrev_b32_e32 v15, 16, v146
	s_delay_alu instid0(VALU_DEP_2) | instskip(SKIP_1) | instid1(VALU_DEP_3)
	v_lshlrev_b32_e32 v6, 20, v6
	v_lshl_add_u32 v14, v14, 23, 0x3c000000
	v_and_b32_e32 v15, 0x80000000, v15
	s_delay_alu instid0(VALU_DEP_1)
	v_or3_b32 v15, v6, v15, v14
	v_mov_b32_e32 v14, v7
.LBB281_1243:                           ;   in Loop: Header=BB281_991 Depth=1
	s_or_b32 exec_lo, exec_lo, s10
.LBB281_1244:                           ;   in Loop: Header=BB281_991 Depth=1
	s_delay_alu instid0(SALU_CYCLE_1)
	s_or_b32 exec_lo, exec_lo, s13
.LBB281_1245:                           ;   in Loop: Header=BB281_991 Depth=1
	s_delay_alu instid0(SALU_CYCLE_1) | instskip(SKIP_4) | instid1(VALU_DEP_2)
	s_or_b32 exec_lo, exec_lo, s12
	v_mov_b32_e32 v18, 0
	v_lshrrev_b32_e32 v147, 16, v146
	v_mov_b32_e32 v19, 0
	s_mov_b32 s10, exec_lo
	v_and_b32_e32 v6, 0xff, v147
	s_delay_alu instid0(VALU_DEP_2) | instskip(NEXT) | instid1(VALU_DEP_2)
	v_dual_mov_b32 v16, v18 :: v_dual_mov_b32 v17, v19
	v_cmpx_ne_u16_e32 0, v6
	s_cbranch_execz .LBB281_1253
; %bb.1246:                             ;   in Loop: Header=BB281_991 Depth=1
	v_bfrev_b32_e32 v16, 1
	v_mov_b32_e32 v17, 0
	s_mov_b32 s12, exec_lo
	v_cmpx_ne_u16_e32 0x80, v6
	s_cbranch_execz .LBB281_1252
; %bb.1247:                             ;   in Loop: Header=BB281_991 Depth=1
	v_mov_b32_e32 v16, 0x7f800001
	v_bfe_u32 v148, v146, 16, 7
	v_mov_b32_e32 v17, 0
	s_mov_b32 s13, exec_lo
	s_delay_alu instid0(VALU_DEP_2)
	v_cmpx_ne_u32_e32 0x7f, v148
	s_cbranch_execz .LBB281_1251
; %bb.1248:                             ;   in Loop: Header=BB281_991 Depth=1
	v_and_b32_e32 v6, 7, v147
	v_lshrrev_b32_e32 v16, 3, v148
	s_mov_b32 s15, exec_lo
	v_cmpx_gt_u32_e32 8, v148
; %bb.1249:                             ;   in Loop: Header=BB281_991 Depth=1
	s_delay_alu instid0(VALU_DEP_3) | instskip(NEXT) | instid1(VALU_DEP_1)
	v_clz_i32_u32_e32 v16, v6
	v_min_u32_e32 v16, 32, v16
	s_delay_alu instid0(VALU_DEP_1) | instskip(SKIP_1) | instid1(VALU_DEP_2)
	v_subrev_nc_u32_e32 v17, 28, v16
	v_sub_nc_u32_e32 v16, 29, v16
	v_lshlrev_b64 v[148:149], v17, v[6:7]
	s_delay_alu instid0(VALU_DEP_1)
	v_and_b32_e32 v6, 7, v148
; %bb.1250:                             ;   in Loop: Header=BB281_991 Depth=1
	s_or_b32 exec_lo, exec_lo, s15
	v_lshlrev_b32_e32 v17, 24, v147
	s_delay_alu instid0(VALU_DEP_2) | instskip(SKIP_1) | instid1(VALU_DEP_3)
	v_lshlrev_b32_e32 v6, 20, v6
	v_lshl_add_u32 v16, v16, 23, 0x3c000000
	v_and_b32_e32 v17, 0x80000000, v17
	s_delay_alu instid0(VALU_DEP_1) | instskip(NEXT) | instid1(VALU_DEP_1)
	v_or3_b32 v6, v6, v17, v16
	v_dual_mov_b32 v17, v7 :: v_dual_mov_b32 v16, v6
.LBB281_1251:                           ;   in Loop: Header=BB281_991 Depth=1
	s_or_b32 exec_lo, exec_lo, s13
.LBB281_1252:                           ;   in Loop: Header=BB281_991 Depth=1
	s_delay_alu instid0(SALU_CYCLE_1)
	s_or_b32 exec_lo, exec_lo, s12
.LBB281_1253:                           ;   in Loop: Header=BB281_991 Depth=1
	s_delay_alu instid0(SALU_CYCLE_1) | instskip(NEXT) | instid1(SALU_CYCLE_1)
	s_or_b32 exec_lo, exec_lo, s10
	s_mov_b32 s12, exec_lo
	v_cmpx_lt_u32_e32 0xffffff, v146
	s_cbranch_execz .LBB281_1261
; %bb.1254:                             ;   in Loop: Header=BB281_991 Depth=1
	v_lshrrev_b32_e32 v147, 24, v146
	v_dual_mov_b32 v19, s9 :: v_dual_mov_b32 v18, s8
	s_mov_b32 s13, exec_lo
	s_delay_alu instid0(VALU_DEP_2)
	v_cmpx_ne_u32_e32 0x80, v147
	s_cbranch_execz .LBB281_1260
; %bb.1255:                             ;   in Loop: Header=BB281_991 Depth=1
	s_mov_b32 s10, s8
	v_bfe_u32 v146, v146, 24, 7
	v_dual_mov_b32 v19, s11 :: v_dual_mov_b32 v18, s10
	s_mov_b32 s10, exec_lo
	s_delay_alu instid0(VALU_DEP_2)
	v_cmpx_ne_u32_e32 0x7f, v146
	s_cbranch_execz .LBB281_1259
; %bb.1256:                             ;   in Loop: Header=BB281_991 Depth=1
	v_and_b32_e32 v6, 7, v147
	v_lshrrev_b32_e32 v18, 3, v146
	s_mov_b32 s15, exec_lo
	v_cmpx_gt_u32_e32 8, v146
; %bb.1257:                             ;   in Loop: Header=BB281_991 Depth=1
	s_delay_alu instid0(VALU_DEP_3) | instskip(NEXT) | instid1(VALU_DEP_1)
	v_clz_i32_u32_e32 v18, v6
	v_min_u32_e32 v18, 32, v18
	s_delay_alu instid0(VALU_DEP_1) | instskip(SKIP_1) | instid1(VALU_DEP_2)
	v_subrev_nc_u32_e32 v19, 28, v18
	v_sub_nc_u32_e32 v18, 29, v18
	v_lshlrev_b64 v[148:149], v19, v[6:7]
	s_delay_alu instid0(VALU_DEP_1)
	v_and_b32_e32 v6, 7, v148
; %bb.1258:                             ;   in Loop: Header=BB281_991 Depth=1
	s_or_b32 exec_lo, exec_lo, s15
	v_lshlrev_b32_e32 v19, 24, v147
	s_delay_alu instid0(VALU_DEP_2) | instskip(SKIP_1) | instid1(VALU_DEP_3)
	v_lshlrev_b32_e32 v6, 20, v6
	v_lshl_add_u32 v18, v18, 23, 0x3c000000
	v_and_b32_e32 v19, 0x80000000, v19
	s_delay_alu instid0(VALU_DEP_1)
	v_or3_b32 v19, v6, v19, v18
	v_mov_b32_e32 v18, v7
.LBB281_1259:                           ;   in Loop: Header=BB281_991 Depth=1
	s_or_b32 exec_lo, exec_lo, s10
.LBB281_1260:                           ;   in Loop: Header=BB281_991 Depth=1
	s_delay_alu instid0(SALU_CYCLE_1)
	s_or_b32 exec_lo, exec_lo, s13
.LBB281_1261:                           ;   in Loop: Header=BB281_991 Depth=1
	s_delay_alu instid0(SALU_CYCLE_1) | instskip(SKIP_4) | instid1(VALU_DEP_4)
	s_or_b32 exec_lo, exec_lo, s12
	v_or_b32_e32 v5, v15, v5
	v_or_b32_e32 v4, v14, v4
	;; [unrolled: 1-line block ×4, first 2 shown]
	v_mul_f32_e32 v149, v82, v5
	s_delay_alu instid0(VALU_DEP_4) | instskip(NEXT) | instid1(VALU_DEP_4)
	v_mul_f32_e32 v148, v70, v4
	v_mul_f32_e32 v146, v82, v6
	s_delay_alu instid0(VALU_DEP_4)
	v_mul_f32_e32 v147, v70, v14
	s_and_saveexec_b32 s10, vcc_lo
; %bb.1262:                             ;   in Loop: Header=BB281_991 Depth=1
	v_cmp_lt_i32_e64 s0, v87, v170
	s_delay_alu instid0(VALU_DEP_1) | instskip(SKIP_1) | instid1(VALU_DEP_1)
	v_cndmask_b32_e64 v148, 0, v148, s0
	v_cmp_lt_i32_e64 s0, v97, v170
	v_cndmask_b32_e64 v149, 0, v149, s0
	v_cmp_lt_i32_e64 s0, v96, v170
	s_delay_alu instid0(VALU_DEP_1) | instskip(SKIP_1) | instid1(VALU_DEP_1)
	v_cndmask_b32_e64 v147, 0, v147, s0
	v_cmp_lt_i32_e64 s0, v80, v170
	v_cndmask_b32_e64 v146, 0, v146, s0
; %bb.1263:                             ;   in Loop: Header=BB281_991 Depth=1
	s_or_b32 exec_lo, exec_lo, s10
	flat_load_b32 v150, v[12:13] offset:1024
	v_mov_b32_e32 v14, 0
	v_mov_b32_e32 v15, 0
	s_mov_b32 s10, exec_lo
	s_waitcnt vmcnt(0) lgkmcnt(0)
	v_and_b32_e32 v6, 0xff, v150
	s_delay_alu instid0(VALU_DEP_2) | instskip(NEXT) | instid1(VALU_DEP_2)
	v_dual_mov_b32 v4, v14 :: v_dual_mov_b32 v5, v15
	v_cmpx_ne_u16_e32 0, v6
	s_cbranch_execz .LBB281_1271
; %bb.1264:                             ;   in Loop: Header=BB281_991 Depth=1
	v_bfrev_b32_e32 v4, 1
	v_mov_b32_e32 v5, 0
	s_mov_b32 s12, exec_lo
	v_cmpx_ne_u16_e32 0x80, v6
	s_cbranch_execz .LBB281_1270
; %bb.1265:                             ;   in Loop: Header=BB281_991 Depth=1
	v_mov_b32_e32 v4, 0x7f800001
	v_dual_mov_b32 v5, 0 :: v_dual_and_b32 v16, 0x7f, v150
	s_mov_b32 s13, exec_lo
	s_delay_alu instid0(VALU_DEP_1)
	v_cmpx_ne_u32_e32 0x7f, v16
	s_cbranch_execz .LBB281_1269
; %bb.1266:                             ;   in Loop: Header=BB281_991 Depth=1
	v_and_b32_e32 v6, 7, v150
	v_lshrrev_b32_e32 v4, 3, v16
	s_mov_b32 s15, exec_lo
	v_cmpx_gt_u32_e32 8, v16
; %bb.1267:                             ;   in Loop: Header=BB281_991 Depth=1
	s_delay_alu instid0(VALU_DEP_3) | instskip(NEXT) | instid1(VALU_DEP_1)
	v_clz_i32_u32_e32 v4, v6
	v_min_u32_e32 v4, 32, v4
	s_delay_alu instid0(VALU_DEP_1) | instskip(SKIP_1) | instid1(VALU_DEP_2)
	v_subrev_nc_u32_e32 v5, 28, v4
	v_sub_nc_u32_e32 v4, 29, v4
	v_lshlrev_b64 v[5:6], v5, v[6:7]
	s_delay_alu instid0(VALU_DEP_1)
	v_and_b32_e32 v6, 7, v5
; %bb.1268:                             ;   in Loop: Header=BB281_991 Depth=1
	s_or_b32 exec_lo, exec_lo, s15
	v_lshlrev_b32_e32 v5, 24, v150
	s_delay_alu instid0(VALU_DEP_2) | instskip(SKIP_1) | instid1(VALU_DEP_3)
	v_lshlrev_b32_e32 v6, 20, v6
	v_lshl_add_u32 v4, v4, 23, 0x3c000000
	v_and_b32_e32 v5, 0x80000000, v5
	s_delay_alu instid0(VALU_DEP_1) | instskip(NEXT) | instid1(VALU_DEP_1)
	v_or3_b32 v6, v6, v5, v4
	v_dual_mov_b32 v4, v6 :: v_dual_mov_b32 v5, v7
.LBB281_1269:                           ;   in Loop: Header=BB281_991 Depth=1
	s_or_b32 exec_lo, exec_lo, s13
.LBB281_1270:                           ;   in Loop: Header=BB281_991 Depth=1
	s_delay_alu instid0(SALU_CYCLE_1)
	s_or_b32 exec_lo, exec_lo, s12
.LBB281_1271:                           ;   in Loop: Header=BB281_991 Depth=1
	s_delay_alu instid0(SALU_CYCLE_1) | instskip(SKIP_2) | instid1(VALU_DEP_1)
	s_or_b32 exec_lo, exec_lo, s10
	v_lshrrev_b16 v6, 8, v150
	s_mov_b32 s12, exec_lo
	v_cmpx_ne_u16_e32 0, v6
	s_cbranch_execz .LBB281_1279
; %bb.1272:                             ;   in Loop: Header=BB281_991 Depth=1
	v_dual_mov_b32 v15, s9 :: v_dual_mov_b32 v14, s8
	s_mov_b32 s13, exec_lo
	v_cmpx_ne_u16_e32 0x80, v6
	s_cbranch_execz .LBB281_1278
; %bb.1273:                             ;   in Loop: Header=BB281_991 Depth=1
	s_mov_b32 s10, s8
	v_dual_mov_b32 v15, s11 :: v_dual_and_b32 v6, 0xffff, v6
	v_mov_b32_e32 v14, s10
	s_mov_b32 s10, exec_lo
	s_delay_alu instid0(VALU_DEP_2) | instskip(NEXT) | instid1(VALU_DEP_1)
	v_and_b32_e32 v16, 0x7f, v6
	v_cmpx_ne_u32_e32 0x7f, v16
	s_cbranch_execz .LBB281_1277
; %bb.1274:                             ;   in Loop: Header=BB281_991 Depth=1
	v_and_b32_e32 v6, 7, v6
	v_lshrrev_b32_e32 v14, 3, v16
	s_mov_b32 s15, exec_lo
	v_cmpx_gt_u32_e32 8, v16
; %bb.1275:                             ;   in Loop: Header=BB281_991 Depth=1
	s_delay_alu instid0(VALU_DEP_3) | instskip(NEXT) | instid1(VALU_DEP_1)
	v_clz_i32_u32_e32 v14, v6
	v_min_u32_e32 v14, 32, v14
	s_delay_alu instid0(VALU_DEP_1) | instskip(SKIP_1) | instid1(VALU_DEP_2)
	v_subrev_nc_u32_e32 v15, 28, v14
	v_sub_nc_u32_e32 v14, 29, v14
	v_lshlrev_b64 v[15:16], v15, v[6:7]
	s_delay_alu instid0(VALU_DEP_1)
	v_and_b32_e32 v6, 7, v15
; %bb.1276:                             ;   in Loop: Header=BB281_991 Depth=1
	s_or_b32 exec_lo, exec_lo, s15
	v_lshlrev_b32_e32 v15, 16, v150
	s_delay_alu instid0(VALU_DEP_2) | instskip(SKIP_1) | instid1(VALU_DEP_3)
	v_lshlrev_b32_e32 v6, 20, v6
	v_lshl_add_u32 v14, v14, 23, 0x3c000000
	v_and_b32_e32 v15, 0x80000000, v15
	s_delay_alu instid0(VALU_DEP_1)
	v_or3_b32 v15, v6, v15, v14
	v_mov_b32_e32 v14, v7
.LBB281_1277:                           ;   in Loop: Header=BB281_991 Depth=1
	s_or_b32 exec_lo, exec_lo, s10
.LBB281_1278:                           ;   in Loop: Header=BB281_991 Depth=1
	s_delay_alu instid0(SALU_CYCLE_1)
	s_or_b32 exec_lo, exec_lo, s13
.LBB281_1279:                           ;   in Loop: Header=BB281_991 Depth=1
	s_delay_alu instid0(SALU_CYCLE_1) | instskip(SKIP_4) | instid1(VALU_DEP_2)
	s_or_b32 exec_lo, exec_lo, s12
	v_mov_b32_e32 v18, 0
	v_lshrrev_b32_e32 v151, 16, v150
	v_mov_b32_e32 v19, 0
	s_mov_b32 s10, exec_lo
	v_and_b32_e32 v6, 0xff, v151
	s_delay_alu instid0(VALU_DEP_2) | instskip(NEXT) | instid1(VALU_DEP_2)
	v_dual_mov_b32 v16, v18 :: v_dual_mov_b32 v17, v19
	v_cmpx_ne_u16_e32 0, v6
	s_cbranch_execz .LBB281_1287
; %bb.1280:                             ;   in Loop: Header=BB281_991 Depth=1
	v_bfrev_b32_e32 v16, 1
	v_mov_b32_e32 v17, 0
	s_mov_b32 s12, exec_lo
	v_cmpx_ne_u16_e32 0x80, v6
	s_cbranch_execz .LBB281_1286
; %bb.1281:                             ;   in Loop: Header=BB281_991 Depth=1
	v_mov_b32_e32 v16, 0x7f800001
	v_bfe_u32 v160, v150, 16, 7
	v_mov_b32_e32 v17, 0
	s_mov_b32 s13, exec_lo
	s_delay_alu instid0(VALU_DEP_2)
	v_cmpx_ne_u32_e32 0x7f, v160
	s_cbranch_execz .LBB281_1285
; %bb.1282:                             ;   in Loop: Header=BB281_991 Depth=1
	v_and_b32_e32 v6, 7, v151
	v_lshrrev_b32_e32 v16, 3, v160
	s_mov_b32 s15, exec_lo
	v_cmpx_gt_u32_e32 8, v160
; %bb.1283:                             ;   in Loop: Header=BB281_991 Depth=1
	s_delay_alu instid0(VALU_DEP_3) | instskip(NEXT) | instid1(VALU_DEP_1)
	v_clz_i32_u32_e32 v16, v6
	v_min_u32_e32 v16, 32, v16
	s_delay_alu instid0(VALU_DEP_1) | instskip(SKIP_1) | instid1(VALU_DEP_2)
	v_subrev_nc_u32_e32 v17, 28, v16
	v_sub_nc_u32_e32 v16, 29, v16
	v_lshlrev_b64 v[160:161], v17, v[6:7]
	s_delay_alu instid0(VALU_DEP_1)
	v_and_b32_e32 v6, 7, v160
; %bb.1284:                             ;   in Loop: Header=BB281_991 Depth=1
	s_or_b32 exec_lo, exec_lo, s15
	v_lshlrev_b32_e32 v17, 24, v151
	s_delay_alu instid0(VALU_DEP_2) | instskip(SKIP_1) | instid1(VALU_DEP_3)
	v_lshlrev_b32_e32 v6, 20, v6
	v_lshl_add_u32 v16, v16, 23, 0x3c000000
	v_and_b32_e32 v17, 0x80000000, v17
	s_delay_alu instid0(VALU_DEP_1) | instskip(NEXT) | instid1(VALU_DEP_1)
	v_or3_b32 v6, v6, v17, v16
	v_dual_mov_b32 v17, v7 :: v_dual_mov_b32 v16, v6
.LBB281_1285:                           ;   in Loop: Header=BB281_991 Depth=1
	s_or_b32 exec_lo, exec_lo, s13
.LBB281_1286:                           ;   in Loop: Header=BB281_991 Depth=1
	s_delay_alu instid0(SALU_CYCLE_1)
	s_or_b32 exec_lo, exec_lo, s12
.LBB281_1287:                           ;   in Loop: Header=BB281_991 Depth=1
	s_delay_alu instid0(SALU_CYCLE_1) | instskip(NEXT) | instid1(SALU_CYCLE_1)
	s_or_b32 exec_lo, exec_lo, s10
	s_mov_b32 s12, exec_lo
	v_cmpx_lt_u32_e32 0xffffff, v150
	s_cbranch_execz .LBB281_1295
; %bb.1288:                             ;   in Loop: Header=BB281_991 Depth=1
	v_lshrrev_b32_e32 v151, 24, v150
	v_dual_mov_b32 v19, s9 :: v_dual_mov_b32 v18, s8
	s_mov_b32 s13, exec_lo
	s_delay_alu instid0(VALU_DEP_2)
	v_cmpx_ne_u32_e32 0x80, v151
	s_cbranch_execz .LBB281_1294
; %bb.1289:                             ;   in Loop: Header=BB281_991 Depth=1
	s_mov_b32 s10, s8
	v_bfe_u32 v150, v150, 24, 7
	v_dual_mov_b32 v19, s11 :: v_dual_mov_b32 v18, s10
	s_mov_b32 s10, exec_lo
	s_delay_alu instid0(VALU_DEP_2)
	v_cmpx_ne_u32_e32 0x7f, v150
	s_cbranch_execz .LBB281_1293
; %bb.1290:                             ;   in Loop: Header=BB281_991 Depth=1
	v_and_b32_e32 v6, 7, v151
	v_lshrrev_b32_e32 v18, 3, v150
	s_mov_b32 s15, exec_lo
	v_cmpx_gt_u32_e32 8, v150
; %bb.1291:                             ;   in Loop: Header=BB281_991 Depth=1
	s_delay_alu instid0(VALU_DEP_3) | instskip(NEXT) | instid1(VALU_DEP_1)
	v_clz_i32_u32_e32 v18, v6
	v_min_u32_e32 v18, 32, v18
	s_delay_alu instid0(VALU_DEP_1) | instskip(SKIP_1) | instid1(VALU_DEP_2)
	v_subrev_nc_u32_e32 v19, 28, v18
	v_sub_nc_u32_e32 v18, 29, v18
	v_lshlrev_b64 v[160:161], v19, v[6:7]
	s_delay_alu instid0(VALU_DEP_1)
	v_and_b32_e32 v6, 7, v160
; %bb.1292:                             ;   in Loop: Header=BB281_991 Depth=1
	s_or_b32 exec_lo, exec_lo, s15
	v_lshlrev_b32_e32 v19, 24, v151
	s_delay_alu instid0(VALU_DEP_2) | instskip(SKIP_1) | instid1(VALU_DEP_3)
	v_lshlrev_b32_e32 v6, 20, v6
	v_lshl_add_u32 v18, v18, 23, 0x3c000000
	v_and_b32_e32 v19, 0x80000000, v19
	s_delay_alu instid0(VALU_DEP_1)
	v_or3_b32 v19, v6, v19, v18
	v_mov_b32_e32 v18, v7
.LBB281_1293:                           ;   in Loop: Header=BB281_991 Depth=1
	s_or_b32 exec_lo, exec_lo, s10
.LBB281_1294:                           ;   in Loop: Header=BB281_991 Depth=1
	s_delay_alu instid0(SALU_CYCLE_1)
	s_or_b32 exec_lo, exec_lo, s13
.LBB281_1295:                           ;   in Loop: Header=BB281_991 Depth=1
	s_delay_alu instid0(SALU_CYCLE_1) | instskip(SKIP_4) | instid1(VALU_DEP_4)
	s_or_b32 exec_lo, exec_lo, s12
	v_or_b32_e32 v5, v15, v5
	v_or_b32_e32 v4, v14, v4
	;; [unrolled: 1-line block ×4, first 2 shown]
	v_mul_f32_e32 v161, v82, v5
	s_delay_alu instid0(VALU_DEP_4) | instskip(NEXT) | instid1(VALU_DEP_4)
	v_mul_f32_e32 v160, v70, v4
	v_mul_f32_e32 v150, v82, v6
	s_delay_alu instid0(VALU_DEP_4)
	v_mul_f32_e32 v151, v70, v14
	s_and_saveexec_b32 s10, vcc_lo
; %bb.1296:                             ;   in Loop: Header=BB281_991 Depth=1
	v_cmp_lt_i32_e64 s0, v87, v170
	s_delay_alu instid0(VALU_DEP_1) | instskip(SKIP_1) | instid1(VALU_DEP_1)
	v_cndmask_b32_e64 v160, 0, v160, s0
	v_cmp_lt_i32_e64 s0, v97, v170
	v_cndmask_b32_e64 v161, 0, v161, s0
	v_cmp_lt_i32_e64 s0, v96, v170
	s_delay_alu instid0(VALU_DEP_1) | instskip(SKIP_1) | instid1(VALU_DEP_1)
	v_cndmask_b32_e64 v151, 0, v151, s0
	v_cmp_lt_i32_e64 s0, v80, v170
	v_cndmask_b32_e64 v150, 0, v150, s0
; %bb.1297:                             ;   in Loop: Header=BB281_991 Depth=1
	s_or_b32 exec_lo, exec_lo, s10
	flat_load_b32 v162, v[12:13] offset:1152
	v_mov_b32_e32 v14, 0
	v_mov_b32_e32 v15, 0
	s_mov_b32 s10, exec_lo
	s_waitcnt vmcnt(0) lgkmcnt(0)
	v_and_b32_e32 v6, 0xff, v162
	s_delay_alu instid0(VALU_DEP_2) | instskip(NEXT) | instid1(VALU_DEP_2)
	v_dual_mov_b32 v4, v14 :: v_dual_mov_b32 v5, v15
	v_cmpx_ne_u16_e32 0, v6
	s_cbranch_execz .LBB281_1305
; %bb.1298:                             ;   in Loop: Header=BB281_991 Depth=1
	v_bfrev_b32_e32 v4, 1
	v_mov_b32_e32 v5, 0
	s_mov_b32 s12, exec_lo
	v_cmpx_ne_u16_e32 0x80, v6
	s_cbranch_execz .LBB281_1304
; %bb.1299:                             ;   in Loop: Header=BB281_991 Depth=1
	v_mov_b32_e32 v4, 0x7f800001
	v_dual_mov_b32 v5, 0 :: v_dual_and_b32 v16, 0x7f, v162
	s_mov_b32 s13, exec_lo
	s_delay_alu instid0(VALU_DEP_1)
	v_cmpx_ne_u32_e32 0x7f, v16
	s_cbranch_execz .LBB281_1303
; %bb.1300:                             ;   in Loop: Header=BB281_991 Depth=1
	v_and_b32_e32 v6, 7, v162
	v_lshrrev_b32_e32 v4, 3, v16
	s_mov_b32 s15, exec_lo
	v_cmpx_gt_u32_e32 8, v16
; %bb.1301:                             ;   in Loop: Header=BB281_991 Depth=1
	s_delay_alu instid0(VALU_DEP_3) | instskip(NEXT) | instid1(VALU_DEP_1)
	v_clz_i32_u32_e32 v4, v6
	v_min_u32_e32 v4, 32, v4
	s_delay_alu instid0(VALU_DEP_1) | instskip(SKIP_1) | instid1(VALU_DEP_2)
	v_subrev_nc_u32_e32 v5, 28, v4
	v_sub_nc_u32_e32 v4, 29, v4
	v_lshlrev_b64 v[5:6], v5, v[6:7]
	s_delay_alu instid0(VALU_DEP_1)
	v_and_b32_e32 v6, 7, v5
; %bb.1302:                             ;   in Loop: Header=BB281_991 Depth=1
	s_or_b32 exec_lo, exec_lo, s15
	v_lshlrev_b32_e32 v5, 24, v162
	s_delay_alu instid0(VALU_DEP_2) | instskip(SKIP_1) | instid1(VALU_DEP_3)
	v_lshlrev_b32_e32 v6, 20, v6
	v_lshl_add_u32 v4, v4, 23, 0x3c000000
	v_and_b32_e32 v5, 0x80000000, v5
	s_delay_alu instid0(VALU_DEP_1) | instskip(NEXT) | instid1(VALU_DEP_1)
	v_or3_b32 v6, v6, v5, v4
	v_dual_mov_b32 v4, v6 :: v_dual_mov_b32 v5, v7
.LBB281_1303:                           ;   in Loop: Header=BB281_991 Depth=1
	s_or_b32 exec_lo, exec_lo, s13
.LBB281_1304:                           ;   in Loop: Header=BB281_991 Depth=1
	s_delay_alu instid0(SALU_CYCLE_1)
	s_or_b32 exec_lo, exec_lo, s12
.LBB281_1305:                           ;   in Loop: Header=BB281_991 Depth=1
	s_delay_alu instid0(SALU_CYCLE_1) | instskip(SKIP_2) | instid1(VALU_DEP_1)
	s_or_b32 exec_lo, exec_lo, s10
	v_lshrrev_b16 v6, 8, v162
	s_mov_b32 s12, exec_lo
	v_cmpx_ne_u16_e32 0, v6
	s_cbranch_execz .LBB281_1313
; %bb.1306:                             ;   in Loop: Header=BB281_991 Depth=1
	v_dual_mov_b32 v15, s9 :: v_dual_mov_b32 v14, s8
	s_mov_b32 s13, exec_lo
	v_cmpx_ne_u16_e32 0x80, v6
	s_cbranch_execz .LBB281_1312
; %bb.1307:                             ;   in Loop: Header=BB281_991 Depth=1
	s_mov_b32 s10, s8
	v_dual_mov_b32 v15, s11 :: v_dual_and_b32 v6, 0xffff, v6
	v_mov_b32_e32 v14, s10
	s_mov_b32 s10, exec_lo
	s_delay_alu instid0(VALU_DEP_2) | instskip(NEXT) | instid1(VALU_DEP_1)
	v_and_b32_e32 v16, 0x7f, v6
	v_cmpx_ne_u32_e32 0x7f, v16
	s_cbranch_execz .LBB281_1311
; %bb.1308:                             ;   in Loop: Header=BB281_991 Depth=1
	v_and_b32_e32 v6, 7, v6
	v_lshrrev_b32_e32 v14, 3, v16
	s_mov_b32 s15, exec_lo
	v_cmpx_gt_u32_e32 8, v16
; %bb.1309:                             ;   in Loop: Header=BB281_991 Depth=1
	s_delay_alu instid0(VALU_DEP_3) | instskip(NEXT) | instid1(VALU_DEP_1)
	v_clz_i32_u32_e32 v14, v6
	v_min_u32_e32 v14, 32, v14
	s_delay_alu instid0(VALU_DEP_1) | instskip(SKIP_1) | instid1(VALU_DEP_2)
	v_subrev_nc_u32_e32 v15, 28, v14
	v_sub_nc_u32_e32 v14, 29, v14
	v_lshlrev_b64 v[15:16], v15, v[6:7]
	s_delay_alu instid0(VALU_DEP_1)
	v_and_b32_e32 v6, 7, v15
; %bb.1310:                             ;   in Loop: Header=BB281_991 Depth=1
	s_or_b32 exec_lo, exec_lo, s15
	v_lshlrev_b32_e32 v15, 16, v162
	s_delay_alu instid0(VALU_DEP_2) | instskip(SKIP_1) | instid1(VALU_DEP_3)
	v_lshlrev_b32_e32 v6, 20, v6
	v_lshl_add_u32 v14, v14, 23, 0x3c000000
	v_and_b32_e32 v15, 0x80000000, v15
	s_delay_alu instid0(VALU_DEP_1)
	v_or3_b32 v15, v6, v15, v14
	v_mov_b32_e32 v14, v7
.LBB281_1311:                           ;   in Loop: Header=BB281_991 Depth=1
	s_or_b32 exec_lo, exec_lo, s10
.LBB281_1312:                           ;   in Loop: Header=BB281_991 Depth=1
	s_delay_alu instid0(SALU_CYCLE_1)
	s_or_b32 exec_lo, exec_lo, s13
.LBB281_1313:                           ;   in Loop: Header=BB281_991 Depth=1
	s_delay_alu instid0(SALU_CYCLE_1) | instskip(SKIP_4) | instid1(VALU_DEP_2)
	s_or_b32 exec_lo, exec_lo, s12
	v_mov_b32_e32 v18, 0
	v_lshrrev_b32_e32 v163, 16, v162
	v_mov_b32_e32 v19, 0
	s_mov_b32 s10, exec_lo
	v_and_b32_e32 v6, 0xff, v163
	s_delay_alu instid0(VALU_DEP_2) | instskip(NEXT) | instid1(VALU_DEP_2)
	v_dual_mov_b32 v16, v18 :: v_dual_mov_b32 v17, v19
	v_cmpx_ne_u16_e32 0, v6
	s_cbranch_execz .LBB281_1321
; %bb.1314:                             ;   in Loop: Header=BB281_991 Depth=1
	v_bfrev_b32_e32 v16, 1
	v_mov_b32_e32 v17, 0
	s_mov_b32 s12, exec_lo
	v_cmpx_ne_u16_e32 0x80, v6
	s_cbranch_execz .LBB281_1320
; %bb.1315:                             ;   in Loop: Header=BB281_991 Depth=1
	v_mov_b32_e32 v16, 0x7f800001
	v_bfe_u32 v164, v162, 16, 7
	v_mov_b32_e32 v17, 0
	s_mov_b32 s13, exec_lo
	s_delay_alu instid0(VALU_DEP_2)
	v_cmpx_ne_u32_e32 0x7f, v164
	s_cbranch_execz .LBB281_1319
; %bb.1316:                             ;   in Loop: Header=BB281_991 Depth=1
	v_and_b32_e32 v6, 7, v163
	v_lshrrev_b32_e32 v16, 3, v164
	s_mov_b32 s15, exec_lo
	v_cmpx_gt_u32_e32 8, v164
; %bb.1317:                             ;   in Loop: Header=BB281_991 Depth=1
	s_delay_alu instid0(VALU_DEP_3) | instskip(NEXT) | instid1(VALU_DEP_1)
	v_clz_i32_u32_e32 v16, v6
	v_min_u32_e32 v16, 32, v16
	s_delay_alu instid0(VALU_DEP_1) | instskip(SKIP_1) | instid1(VALU_DEP_2)
	v_subrev_nc_u32_e32 v17, 28, v16
	v_sub_nc_u32_e32 v16, 29, v16
	v_lshlrev_b64 v[164:165], v17, v[6:7]
	s_delay_alu instid0(VALU_DEP_1)
	v_and_b32_e32 v6, 7, v164
; %bb.1318:                             ;   in Loop: Header=BB281_991 Depth=1
	s_or_b32 exec_lo, exec_lo, s15
	v_lshlrev_b32_e32 v17, 24, v163
	s_delay_alu instid0(VALU_DEP_2) | instskip(SKIP_1) | instid1(VALU_DEP_3)
	v_lshlrev_b32_e32 v6, 20, v6
	v_lshl_add_u32 v16, v16, 23, 0x3c000000
	v_and_b32_e32 v17, 0x80000000, v17
	s_delay_alu instid0(VALU_DEP_1) | instskip(NEXT) | instid1(VALU_DEP_1)
	v_or3_b32 v6, v6, v17, v16
	v_dual_mov_b32 v17, v7 :: v_dual_mov_b32 v16, v6
.LBB281_1319:                           ;   in Loop: Header=BB281_991 Depth=1
	s_or_b32 exec_lo, exec_lo, s13
.LBB281_1320:                           ;   in Loop: Header=BB281_991 Depth=1
	s_delay_alu instid0(SALU_CYCLE_1)
	s_or_b32 exec_lo, exec_lo, s12
.LBB281_1321:                           ;   in Loop: Header=BB281_991 Depth=1
	s_delay_alu instid0(SALU_CYCLE_1) | instskip(NEXT) | instid1(SALU_CYCLE_1)
	s_or_b32 exec_lo, exec_lo, s10
	s_mov_b32 s12, exec_lo
	v_cmpx_lt_u32_e32 0xffffff, v162
	s_cbranch_execz .LBB281_1329
; %bb.1322:                             ;   in Loop: Header=BB281_991 Depth=1
	v_lshrrev_b32_e32 v163, 24, v162
	v_dual_mov_b32 v19, s9 :: v_dual_mov_b32 v18, s8
	s_mov_b32 s13, exec_lo
	s_delay_alu instid0(VALU_DEP_2)
	v_cmpx_ne_u32_e32 0x80, v163
	s_cbranch_execz .LBB281_1328
; %bb.1323:                             ;   in Loop: Header=BB281_991 Depth=1
	s_mov_b32 s10, s8
	v_bfe_u32 v162, v162, 24, 7
	v_dual_mov_b32 v19, s11 :: v_dual_mov_b32 v18, s10
	s_mov_b32 s10, exec_lo
	s_delay_alu instid0(VALU_DEP_2)
	v_cmpx_ne_u32_e32 0x7f, v162
	s_cbranch_execz .LBB281_1327
; %bb.1324:                             ;   in Loop: Header=BB281_991 Depth=1
	v_and_b32_e32 v6, 7, v163
	v_lshrrev_b32_e32 v18, 3, v162
	s_mov_b32 s15, exec_lo
	v_cmpx_gt_u32_e32 8, v162
; %bb.1325:                             ;   in Loop: Header=BB281_991 Depth=1
	s_delay_alu instid0(VALU_DEP_3) | instskip(NEXT) | instid1(VALU_DEP_1)
	v_clz_i32_u32_e32 v18, v6
	v_min_u32_e32 v18, 32, v18
	s_delay_alu instid0(VALU_DEP_1) | instskip(SKIP_1) | instid1(VALU_DEP_2)
	v_subrev_nc_u32_e32 v19, 28, v18
	v_sub_nc_u32_e32 v18, 29, v18
	v_lshlrev_b64 v[164:165], v19, v[6:7]
	s_delay_alu instid0(VALU_DEP_1)
	v_and_b32_e32 v6, 7, v164
; %bb.1326:                             ;   in Loop: Header=BB281_991 Depth=1
	s_or_b32 exec_lo, exec_lo, s15
	v_lshlrev_b32_e32 v19, 24, v163
	s_delay_alu instid0(VALU_DEP_2) | instskip(SKIP_1) | instid1(VALU_DEP_3)
	v_lshlrev_b32_e32 v6, 20, v6
	v_lshl_add_u32 v18, v18, 23, 0x3c000000
	v_and_b32_e32 v19, 0x80000000, v19
	s_delay_alu instid0(VALU_DEP_1)
	v_or3_b32 v19, v6, v19, v18
	v_mov_b32_e32 v18, v7
.LBB281_1327:                           ;   in Loop: Header=BB281_991 Depth=1
	s_or_b32 exec_lo, exec_lo, s10
.LBB281_1328:                           ;   in Loop: Header=BB281_991 Depth=1
	s_delay_alu instid0(SALU_CYCLE_1)
	s_or_b32 exec_lo, exec_lo, s13
.LBB281_1329:                           ;   in Loop: Header=BB281_991 Depth=1
	s_delay_alu instid0(SALU_CYCLE_1) | instskip(SKIP_4) | instid1(VALU_DEP_4)
	s_or_b32 exec_lo, exec_lo, s12
	v_or_b32_e32 v5, v15, v5
	v_or_b32_e32 v4, v14, v4
	;; [unrolled: 1-line block ×4, first 2 shown]
	v_mul_f32_e32 v165, v82, v5
	s_delay_alu instid0(VALU_DEP_4) | instskip(NEXT) | instid1(VALU_DEP_4)
	v_mul_f32_e32 v164, v70, v4
	v_mul_f32_e32 v162, v82, v6
	s_delay_alu instid0(VALU_DEP_4)
	v_mul_f32_e32 v163, v70, v14
	s_and_saveexec_b32 s10, vcc_lo
; %bb.1330:                             ;   in Loop: Header=BB281_991 Depth=1
	v_cmp_lt_i32_e64 s0, v87, v170
	s_delay_alu instid0(VALU_DEP_1) | instskip(SKIP_1) | instid1(VALU_DEP_1)
	v_cndmask_b32_e64 v164, 0, v164, s0
	v_cmp_lt_i32_e64 s0, v97, v170
	v_cndmask_b32_e64 v165, 0, v165, s0
	v_cmp_lt_i32_e64 s0, v96, v170
	s_delay_alu instid0(VALU_DEP_1) | instskip(SKIP_1) | instid1(VALU_DEP_1)
	v_cndmask_b32_e64 v163, 0, v163, s0
	v_cmp_lt_i32_e64 s0, v80, v170
	v_cndmask_b32_e64 v162, 0, v162, s0
; %bb.1331:                             ;   in Loop: Header=BB281_991 Depth=1
	s_or_b32 exec_lo, exec_lo, s10
	flat_load_b32 v166, v[12:13] offset:1280
	v_mov_b32_e32 v14, 0
	v_mov_b32_e32 v15, 0
	s_mov_b32 s10, exec_lo
	s_waitcnt vmcnt(0) lgkmcnt(0)
	v_and_b32_e32 v6, 0xff, v166
	s_delay_alu instid0(VALU_DEP_2) | instskip(NEXT) | instid1(VALU_DEP_2)
	v_dual_mov_b32 v4, v14 :: v_dual_mov_b32 v5, v15
	v_cmpx_ne_u16_e32 0, v6
	s_cbranch_execz .LBB281_1339
; %bb.1332:                             ;   in Loop: Header=BB281_991 Depth=1
	v_bfrev_b32_e32 v4, 1
	v_mov_b32_e32 v5, 0
	s_mov_b32 s12, exec_lo
	v_cmpx_ne_u16_e32 0x80, v6
	s_cbranch_execz .LBB281_1338
; %bb.1333:                             ;   in Loop: Header=BB281_991 Depth=1
	v_mov_b32_e32 v4, 0x7f800001
	v_dual_mov_b32 v5, 0 :: v_dual_and_b32 v16, 0x7f, v166
	s_mov_b32 s13, exec_lo
	s_delay_alu instid0(VALU_DEP_1)
	v_cmpx_ne_u32_e32 0x7f, v16
	s_cbranch_execz .LBB281_1337
; %bb.1334:                             ;   in Loop: Header=BB281_991 Depth=1
	v_and_b32_e32 v6, 7, v166
	v_lshrrev_b32_e32 v4, 3, v16
	s_mov_b32 s15, exec_lo
	v_cmpx_gt_u32_e32 8, v16
; %bb.1335:                             ;   in Loop: Header=BB281_991 Depth=1
	s_delay_alu instid0(VALU_DEP_3) | instskip(NEXT) | instid1(VALU_DEP_1)
	v_clz_i32_u32_e32 v4, v6
	v_min_u32_e32 v4, 32, v4
	s_delay_alu instid0(VALU_DEP_1) | instskip(SKIP_1) | instid1(VALU_DEP_2)
	v_subrev_nc_u32_e32 v5, 28, v4
	v_sub_nc_u32_e32 v4, 29, v4
	v_lshlrev_b64 v[5:6], v5, v[6:7]
	s_delay_alu instid0(VALU_DEP_1)
	v_and_b32_e32 v6, 7, v5
; %bb.1336:                             ;   in Loop: Header=BB281_991 Depth=1
	s_or_b32 exec_lo, exec_lo, s15
	v_lshlrev_b32_e32 v5, 24, v166
	s_delay_alu instid0(VALU_DEP_2) | instskip(SKIP_1) | instid1(VALU_DEP_3)
	v_lshlrev_b32_e32 v6, 20, v6
	v_lshl_add_u32 v4, v4, 23, 0x3c000000
	v_and_b32_e32 v5, 0x80000000, v5
	s_delay_alu instid0(VALU_DEP_1) | instskip(NEXT) | instid1(VALU_DEP_1)
	v_or3_b32 v6, v6, v5, v4
	v_dual_mov_b32 v4, v6 :: v_dual_mov_b32 v5, v7
.LBB281_1337:                           ;   in Loop: Header=BB281_991 Depth=1
	s_or_b32 exec_lo, exec_lo, s13
.LBB281_1338:                           ;   in Loop: Header=BB281_991 Depth=1
	s_delay_alu instid0(SALU_CYCLE_1)
	s_or_b32 exec_lo, exec_lo, s12
.LBB281_1339:                           ;   in Loop: Header=BB281_991 Depth=1
	s_delay_alu instid0(SALU_CYCLE_1) | instskip(SKIP_2) | instid1(VALU_DEP_1)
	s_or_b32 exec_lo, exec_lo, s10
	v_lshrrev_b16 v6, 8, v166
	s_mov_b32 s12, exec_lo
	v_cmpx_ne_u16_e32 0, v6
	s_cbranch_execz .LBB281_1347
; %bb.1340:                             ;   in Loop: Header=BB281_991 Depth=1
	v_dual_mov_b32 v15, s9 :: v_dual_mov_b32 v14, s8
	s_mov_b32 s13, exec_lo
	v_cmpx_ne_u16_e32 0x80, v6
	s_cbranch_execz .LBB281_1346
; %bb.1341:                             ;   in Loop: Header=BB281_991 Depth=1
	s_mov_b32 s10, s8
	v_dual_mov_b32 v15, s11 :: v_dual_and_b32 v6, 0xffff, v6
	v_mov_b32_e32 v14, s10
	s_mov_b32 s10, exec_lo
	s_delay_alu instid0(VALU_DEP_2) | instskip(NEXT) | instid1(VALU_DEP_1)
	v_and_b32_e32 v16, 0x7f, v6
	v_cmpx_ne_u32_e32 0x7f, v16
	s_cbranch_execz .LBB281_1345
; %bb.1342:                             ;   in Loop: Header=BB281_991 Depth=1
	v_and_b32_e32 v6, 7, v6
	v_lshrrev_b32_e32 v14, 3, v16
	s_mov_b32 s15, exec_lo
	v_cmpx_gt_u32_e32 8, v16
; %bb.1343:                             ;   in Loop: Header=BB281_991 Depth=1
	s_delay_alu instid0(VALU_DEP_3) | instskip(NEXT) | instid1(VALU_DEP_1)
	v_clz_i32_u32_e32 v14, v6
	v_min_u32_e32 v14, 32, v14
	s_delay_alu instid0(VALU_DEP_1) | instskip(SKIP_1) | instid1(VALU_DEP_2)
	v_subrev_nc_u32_e32 v15, 28, v14
	v_sub_nc_u32_e32 v14, 29, v14
	v_lshlrev_b64 v[15:16], v15, v[6:7]
	s_delay_alu instid0(VALU_DEP_1)
	v_and_b32_e32 v6, 7, v15
; %bb.1344:                             ;   in Loop: Header=BB281_991 Depth=1
	s_or_b32 exec_lo, exec_lo, s15
	v_lshlrev_b32_e32 v15, 16, v166
	s_delay_alu instid0(VALU_DEP_2) | instskip(SKIP_1) | instid1(VALU_DEP_3)
	v_lshlrev_b32_e32 v6, 20, v6
	v_lshl_add_u32 v14, v14, 23, 0x3c000000
	v_and_b32_e32 v15, 0x80000000, v15
	s_delay_alu instid0(VALU_DEP_1)
	v_or3_b32 v15, v6, v15, v14
	v_mov_b32_e32 v14, v7
.LBB281_1345:                           ;   in Loop: Header=BB281_991 Depth=1
	s_or_b32 exec_lo, exec_lo, s10
.LBB281_1346:                           ;   in Loop: Header=BB281_991 Depth=1
	s_delay_alu instid0(SALU_CYCLE_1)
	s_or_b32 exec_lo, exec_lo, s13
.LBB281_1347:                           ;   in Loop: Header=BB281_991 Depth=1
	s_delay_alu instid0(SALU_CYCLE_1) | instskip(SKIP_4) | instid1(VALU_DEP_2)
	s_or_b32 exec_lo, exec_lo, s12
	v_mov_b32_e32 v18, 0
	v_lshrrev_b32_e32 v167, 16, v166
	v_mov_b32_e32 v19, 0
	s_mov_b32 s10, exec_lo
	v_and_b32_e32 v6, 0xff, v167
	s_delay_alu instid0(VALU_DEP_2) | instskip(NEXT) | instid1(VALU_DEP_2)
	v_dual_mov_b32 v16, v18 :: v_dual_mov_b32 v17, v19
	v_cmpx_ne_u16_e32 0, v6
	s_cbranch_execz .LBB281_1355
; %bb.1348:                             ;   in Loop: Header=BB281_991 Depth=1
	v_bfrev_b32_e32 v16, 1
	v_mov_b32_e32 v17, 0
	s_mov_b32 s12, exec_lo
	v_cmpx_ne_u16_e32 0x80, v6
	s_cbranch_execz .LBB281_1354
; %bb.1349:                             ;   in Loop: Header=BB281_991 Depth=1
	v_mov_b32_e32 v16, 0x7f800001
	v_bfe_u32 v176, v166, 16, 7
	v_mov_b32_e32 v17, 0
	s_mov_b32 s13, exec_lo
	s_delay_alu instid0(VALU_DEP_2)
	v_cmpx_ne_u32_e32 0x7f, v176
	s_cbranch_execz .LBB281_1353
; %bb.1350:                             ;   in Loop: Header=BB281_991 Depth=1
	v_and_b32_e32 v6, 7, v167
	v_lshrrev_b32_e32 v16, 3, v176
	s_mov_b32 s15, exec_lo
	v_cmpx_gt_u32_e32 8, v176
; %bb.1351:                             ;   in Loop: Header=BB281_991 Depth=1
	s_delay_alu instid0(VALU_DEP_3) | instskip(NEXT) | instid1(VALU_DEP_1)
	v_clz_i32_u32_e32 v16, v6
	v_min_u32_e32 v16, 32, v16
	s_delay_alu instid0(VALU_DEP_1) | instskip(SKIP_1) | instid1(VALU_DEP_2)
	v_subrev_nc_u32_e32 v17, 28, v16
	v_sub_nc_u32_e32 v16, 29, v16
	v_lshlrev_b64 v[176:177], v17, v[6:7]
	s_delay_alu instid0(VALU_DEP_1)
	v_and_b32_e32 v6, 7, v176
; %bb.1352:                             ;   in Loop: Header=BB281_991 Depth=1
	s_or_b32 exec_lo, exec_lo, s15
	v_lshlrev_b32_e32 v17, 24, v167
	s_delay_alu instid0(VALU_DEP_2) | instskip(SKIP_1) | instid1(VALU_DEP_3)
	v_lshlrev_b32_e32 v6, 20, v6
	v_lshl_add_u32 v16, v16, 23, 0x3c000000
	v_and_b32_e32 v17, 0x80000000, v17
	s_delay_alu instid0(VALU_DEP_1) | instskip(NEXT) | instid1(VALU_DEP_1)
	v_or3_b32 v6, v6, v17, v16
	v_dual_mov_b32 v17, v7 :: v_dual_mov_b32 v16, v6
.LBB281_1353:                           ;   in Loop: Header=BB281_991 Depth=1
	s_or_b32 exec_lo, exec_lo, s13
.LBB281_1354:                           ;   in Loop: Header=BB281_991 Depth=1
	s_delay_alu instid0(SALU_CYCLE_1)
	s_or_b32 exec_lo, exec_lo, s12
.LBB281_1355:                           ;   in Loop: Header=BB281_991 Depth=1
	s_delay_alu instid0(SALU_CYCLE_1) | instskip(NEXT) | instid1(SALU_CYCLE_1)
	s_or_b32 exec_lo, exec_lo, s10
	s_mov_b32 s12, exec_lo
	v_cmpx_lt_u32_e32 0xffffff, v166
	s_cbranch_execz .LBB281_1363
; %bb.1356:                             ;   in Loop: Header=BB281_991 Depth=1
	v_lshrrev_b32_e32 v167, 24, v166
	v_dual_mov_b32 v19, s9 :: v_dual_mov_b32 v18, s8
	s_mov_b32 s13, exec_lo
	s_delay_alu instid0(VALU_DEP_2)
	v_cmpx_ne_u32_e32 0x80, v167
	s_cbranch_execz .LBB281_1362
; %bb.1357:                             ;   in Loop: Header=BB281_991 Depth=1
	s_mov_b32 s10, s8
	v_bfe_u32 v166, v166, 24, 7
	v_dual_mov_b32 v19, s11 :: v_dual_mov_b32 v18, s10
	s_mov_b32 s10, exec_lo
	s_delay_alu instid0(VALU_DEP_2)
	v_cmpx_ne_u32_e32 0x7f, v166
	s_cbranch_execz .LBB281_1361
; %bb.1358:                             ;   in Loop: Header=BB281_991 Depth=1
	v_and_b32_e32 v6, 7, v167
	v_lshrrev_b32_e32 v18, 3, v166
	s_mov_b32 s15, exec_lo
	v_cmpx_gt_u32_e32 8, v166
; %bb.1359:                             ;   in Loop: Header=BB281_991 Depth=1
	s_delay_alu instid0(VALU_DEP_3) | instskip(NEXT) | instid1(VALU_DEP_1)
	v_clz_i32_u32_e32 v18, v6
	v_min_u32_e32 v18, 32, v18
	s_delay_alu instid0(VALU_DEP_1) | instskip(SKIP_1) | instid1(VALU_DEP_2)
	v_subrev_nc_u32_e32 v19, 28, v18
	v_sub_nc_u32_e32 v18, 29, v18
	v_lshlrev_b64 v[176:177], v19, v[6:7]
	s_delay_alu instid0(VALU_DEP_1)
	v_and_b32_e32 v6, 7, v176
; %bb.1360:                             ;   in Loop: Header=BB281_991 Depth=1
	s_or_b32 exec_lo, exec_lo, s15
	v_lshlrev_b32_e32 v19, 24, v167
	s_delay_alu instid0(VALU_DEP_2) | instskip(SKIP_1) | instid1(VALU_DEP_3)
	v_lshlrev_b32_e32 v6, 20, v6
	v_lshl_add_u32 v18, v18, 23, 0x3c000000
	v_and_b32_e32 v19, 0x80000000, v19
	s_delay_alu instid0(VALU_DEP_1)
	v_or3_b32 v19, v6, v19, v18
	v_mov_b32_e32 v18, v7
.LBB281_1361:                           ;   in Loop: Header=BB281_991 Depth=1
	s_or_b32 exec_lo, exec_lo, s10
.LBB281_1362:                           ;   in Loop: Header=BB281_991 Depth=1
	s_delay_alu instid0(SALU_CYCLE_1)
	s_or_b32 exec_lo, exec_lo, s13
.LBB281_1363:                           ;   in Loop: Header=BB281_991 Depth=1
	s_delay_alu instid0(SALU_CYCLE_1) | instskip(SKIP_4) | instid1(VALU_DEP_4)
	s_or_b32 exec_lo, exec_lo, s12
	v_or_b32_e32 v5, v15, v5
	v_or_b32_e32 v4, v14, v4
	v_or_b32_e32 v6, v19, v17
	v_or_b32_e32 v14, v18, v16
	v_mul_f32_e32 v177, v82, v5
	s_delay_alu instid0(VALU_DEP_4) | instskip(NEXT) | instid1(VALU_DEP_4)
	v_mul_f32_e32 v176, v70, v4
	v_mul_f32_e32 v166, v82, v6
	s_delay_alu instid0(VALU_DEP_4)
	v_mul_f32_e32 v167, v70, v14
	s_and_saveexec_b32 s10, vcc_lo
; %bb.1364:                             ;   in Loop: Header=BB281_991 Depth=1
	v_cmp_lt_i32_e64 s0, v87, v170
	s_delay_alu instid0(VALU_DEP_1) | instskip(SKIP_1) | instid1(VALU_DEP_1)
	v_cndmask_b32_e64 v176, 0, v176, s0
	v_cmp_lt_i32_e64 s0, v97, v170
	v_cndmask_b32_e64 v177, 0, v177, s0
	v_cmp_lt_i32_e64 s0, v96, v170
	s_delay_alu instid0(VALU_DEP_1) | instskip(SKIP_1) | instid1(VALU_DEP_1)
	v_cndmask_b32_e64 v167, 0, v167, s0
	v_cmp_lt_i32_e64 s0, v80, v170
	v_cndmask_b32_e64 v166, 0, v166, s0
; %bb.1365:                             ;   in Loop: Header=BB281_991 Depth=1
	s_or_b32 exec_lo, exec_lo, s10
	flat_load_b32 v178, v[12:13] offset:1408
	v_mov_b32_e32 v14, 0
	v_mov_b32_e32 v15, 0
	s_mov_b32 s10, exec_lo
	s_waitcnt vmcnt(0) lgkmcnt(0)
	v_and_b32_e32 v6, 0xff, v178
	s_delay_alu instid0(VALU_DEP_2) | instskip(NEXT) | instid1(VALU_DEP_2)
	v_dual_mov_b32 v4, v14 :: v_dual_mov_b32 v5, v15
	v_cmpx_ne_u16_e32 0, v6
	s_cbranch_execz .LBB281_1373
; %bb.1366:                             ;   in Loop: Header=BB281_991 Depth=1
	v_bfrev_b32_e32 v4, 1
	v_mov_b32_e32 v5, 0
	s_mov_b32 s12, exec_lo
	v_cmpx_ne_u16_e32 0x80, v6
	s_cbranch_execz .LBB281_1372
; %bb.1367:                             ;   in Loop: Header=BB281_991 Depth=1
	v_mov_b32_e32 v4, 0x7f800001
	v_dual_mov_b32 v5, 0 :: v_dual_and_b32 v16, 0x7f, v178
	s_mov_b32 s13, exec_lo
	s_delay_alu instid0(VALU_DEP_1)
	v_cmpx_ne_u32_e32 0x7f, v16
	s_cbranch_execz .LBB281_1371
; %bb.1368:                             ;   in Loop: Header=BB281_991 Depth=1
	v_and_b32_e32 v6, 7, v178
	v_lshrrev_b32_e32 v4, 3, v16
	s_mov_b32 s15, exec_lo
	v_cmpx_gt_u32_e32 8, v16
; %bb.1369:                             ;   in Loop: Header=BB281_991 Depth=1
	s_delay_alu instid0(VALU_DEP_3) | instskip(NEXT) | instid1(VALU_DEP_1)
	v_clz_i32_u32_e32 v4, v6
	v_min_u32_e32 v4, 32, v4
	s_delay_alu instid0(VALU_DEP_1) | instskip(SKIP_1) | instid1(VALU_DEP_2)
	v_subrev_nc_u32_e32 v5, 28, v4
	v_sub_nc_u32_e32 v4, 29, v4
	v_lshlrev_b64 v[5:6], v5, v[6:7]
	s_delay_alu instid0(VALU_DEP_1)
	v_and_b32_e32 v6, 7, v5
; %bb.1370:                             ;   in Loop: Header=BB281_991 Depth=1
	s_or_b32 exec_lo, exec_lo, s15
	v_lshlrev_b32_e32 v5, 24, v178
	s_delay_alu instid0(VALU_DEP_2) | instskip(SKIP_1) | instid1(VALU_DEP_3)
	v_lshlrev_b32_e32 v6, 20, v6
	v_lshl_add_u32 v4, v4, 23, 0x3c000000
	v_and_b32_e32 v5, 0x80000000, v5
	s_delay_alu instid0(VALU_DEP_1) | instskip(NEXT) | instid1(VALU_DEP_1)
	v_or3_b32 v6, v6, v5, v4
	v_dual_mov_b32 v4, v6 :: v_dual_mov_b32 v5, v7
.LBB281_1371:                           ;   in Loop: Header=BB281_991 Depth=1
	s_or_b32 exec_lo, exec_lo, s13
.LBB281_1372:                           ;   in Loop: Header=BB281_991 Depth=1
	s_delay_alu instid0(SALU_CYCLE_1)
	s_or_b32 exec_lo, exec_lo, s12
.LBB281_1373:                           ;   in Loop: Header=BB281_991 Depth=1
	s_delay_alu instid0(SALU_CYCLE_1) | instskip(SKIP_2) | instid1(VALU_DEP_1)
	s_or_b32 exec_lo, exec_lo, s10
	v_lshrrev_b16 v6, 8, v178
	s_mov_b32 s12, exec_lo
	v_cmpx_ne_u16_e32 0, v6
	s_cbranch_execz .LBB281_1381
; %bb.1374:                             ;   in Loop: Header=BB281_991 Depth=1
	v_dual_mov_b32 v15, s9 :: v_dual_mov_b32 v14, s8
	s_mov_b32 s13, exec_lo
	v_cmpx_ne_u16_e32 0x80, v6
	s_cbranch_execz .LBB281_1380
; %bb.1375:                             ;   in Loop: Header=BB281_991 Depth=1
	s_mov_b32 s10, s8
	v_dual_mov_b32 v15, s11 :: v_dual_and_b32 v6, 0xffff, v6
	v_mov_b32_e32 v14, s10
	s_mov_b32 s10, exec_lo
	s_delay_alu instid0(VALU_DEP_2) | instskip(NEXT) | instid1(VALU_DEP_1)
	v_and_b32_e32 v16, 0x7f, v6
	v_cmpx_ne_u32_e32 0x7f, v16
	s_cbranch_execz .LBB281_1379
; %bb.1376:                             ;   in Loop: Header=BB281_991 Depth=1
	v_and_b32_e32 v6, 7, v6
	v_lshrrev_b32_e32 v14, 3, v16
	s_mov_b32 s15, exec_lo
	v_cmpx_gt_u32_e32 8, v16
; %bb.1377:                             ;   in Loop: Header=BB281_991 Depth=1
	s_delay_alu instid0(VALU_DEP_3) | instskip(NEXT) | instid1(VALU_DEP_1)
	v_clz_i32_u32_e32 v14, v6
	v_min_u32_e32 v14, 32, v14
	s_delay_alu instid0(VALU_DEP_1) | instskip(SKIP_1) | instid1(VALU_DEP_2)
	v_subrev_nc_u32_e32 v15, 28, v14
	v_sub_nc_u32_e32 v14, 29, v14
	v_lshlrev_b64 v[15:16], v15, v[6:7]
	s_delay_alu instid0(VALU_DEP_1)
	v_and_b32_e32 v6, 7, v15
; %bb.1378:                             ;   in Loop: Header=BB281_991 Depth=1
	s_or_b32 exec_lo, exec_lo, s15
	v_lshlrev_b32_e32 v15, 16, v178
	s_delay_alu instid0(VALU_DEP_2) | instskip(SKIP_1) | instid1(VALU_DEP_3)
	v_lshlrev_b32_e32 v6, 20, v6
	v_lshl_add_u32 v14, v14, 23, 0x3c000000
	v_and_b32_e32 v15, 0x80000000, v15
	s_delay_alu instid0(VALU_DEP_1)
	v_or3_b32 v15, v6, v15, v14
	v_mov_b32_e32 v14, v7
.LBB281_1379:                           ;   in Loop: Header=BB281_991 Depth=1
	s_or_b32 exec_lo, exec_lo, s10
.LBB281_1380:                           ;   in Loop: Header=BB281_991 Depth=1
	s_delay_alu instid0(SALU_CYCLE_1)
	s_or_b32 exec_lo, exec_lo, s13
.LBB281_1381:                           ;   in Loop: Header=BB281_991 Depth=1
	s_delay_alu instid0(SALU_CYCLE_1) | instskip(SKIP_4) | instid1(VALU_DEP_2)
	s_or_b32 exec_lo, exec_lo, s12
	v_mov_b32_e32 v18, 0
	v_lshrrev_b32_e32 v179, 16, v178
	v_mov_b32_e32 v19, 0
	s_mov_b32 s10, exec_lo
	v_and_b32_e32 v6, 0xff, v179
	s_delay_alu instid0(VALU_DEP_2) | instskip(NEXT) | instid1(VALU_DEP_2)
	v_dual_mov_b32 v16, v18 :: v_dual_mov_b32 v17, v19
	v_cmpx_ne_u16_e32 0, v6
	s_cbranch_execz .LBB281_1389
; %bb.1382:                             ;   in Loop: Header=BB281_991 Depth=1
	v_bfrev_b32_e32 v16, 1
	v_mov_b32_e32 v17, 0
	s_mov_b32 s12, exec_lo
	v_cmpx_ne_u16_e32 0x80, v6
	s_cbranch_execz .LBB281_1388
; %bb.1383:                             ;   in Loop: Header=BB281_991 Depth=1
	v_mov_b32_e32 v16, 0x7f800001
	v_bfe_u32 v180, v178, 16, 7
	v_mov_b32_e32 v17, 0
	s_mov_b32 s13, exec_lo
	s_delay_alu instid0(VALU_DEP_2)
	v_cmpx_ne_u32_e32 0x7f, v180
	s_cbranch_execz .LBB281_1387
; %bb.1384:                             ;   in Loop: Header=BB281_991 Depth=1
	v_and_b32_e32 v6, 7, v179
	v_lshrrev_b32_e32 v16, 3, v180
	s_mov_b32 s15, exec_lo
	v_cmpx_gt_u32_e32 8, v180
; %bb.1385:                             ;   in Loop: Header=BB281_991 Depth=1
	s_delay_alu instid0(VALU_DEP_3) | instskip(NEXT) | instid1(VALU_DEP_1)
	v_clz_i32_u32_e32 v16, v6
	v_min_u32_e32 v16, 32, v16
	s_delay_alu instid0(VALU_DEP_1) | instskip(SKIP_1) | instid1(VALU_DEP_2)
	v_subrev_nc_u32_e32 v17, 28, v16
	v_sub_nc_u32_e32 v16, 29, v16
	v_lshlrev_b64 v[180:181], v17, v[6:7]
	s_delay_alu instid0(VALU_DEP_1)
	v_and_b32_e32 v6, 7, v180
; %bb.1386:                             ;   in Loop: Header=BB281_991 Depth=1
	s_or_b32 exec_lo, exec_lo, s15
	v_lshlrev_b32_e32 v17, 24, v179
	s_delay_alu instid0(VALU_DEP_2) | instskip(SKIP_1) | instid1(VALU_DEP_3)
	v_lshlrev_b32_e32 v6, 20, v6
	v_lshl_add_u32 v16, v16, 23, 0x3c000000
	v_and_b32_e32 v17, 0x80000000, v17
	s_delay_alu instid0(VALU_DEP_1) | instskip(NEXT) | instid1(VALU_DEP_1)
	v_or3_b32 v6, v6, v17, v16
	v_dual_mov_b32 v17, v7 :: v_dual_mov_b32 v16, v6
.LBB281_1387:                           ;   in Loop: Header=BB281_991 Depth=1
	s_or_b32 exec_lo, exec_lo, s13
.LBB281_1388:                           ;   in Loop: Header=BB281_991 Depth=1
	s_delay_alu instid0(SALU_CYCLE_1)
	s_or_b32 exec_lo, exec_lo, s12
.LBB281_1389:                           ;   in Loop: Header=BB281_991 Depth=1
	s_delay_alu instid0(SALU_CYCLE_1) | instskip(NEXT) | instid1(SALU_CYCLE_1)
	s_or_b32 exec_lo, exec_lo, s10
	s_mov_b32 s12, exec_lo
	v_cmpx_lt_u32_e32 0xffffff, v178
	s_cbranch_execz .LBB281_1397
; %bb.1390:                             ;   in Loop: Header=BB281_991 Depth=1
	v_lshrrev_b32_e32 v179, 24, v178
	v_dual_mov_b32 v19, s9 :: v_dual_mov_b32 v18, s8
	s_mov_b32 s13, exec_lo
	s_delay_alu instid0(VALU_DEP_2)
	v_cmpx_ne_u32_e32 0x80, v179
	s_cbranch_execz .LBB281_1396
; %bb.1391:                             ;   in Loop: Header=BB281_991 Depth=1
	s_mov_b32 s10, s8
	v_bfe_u32 v178, v178, 24, 7
	v_dual_mov_b32 v19, s11 :: v_dual_mov_b32 v18, s10
	s_mov_b32 s10, exec_lo
	s_delay_alu instid0(VALU_DEP_2)
	v_cmpx_ne_u32_e32 0x7f, v178
	s_cbranch_execz .LBB281_1395
; %bb.1392:                             ;   in Loop: Header=BB281_991 Depth=1
	v_and_b32_e32 v6, 7, v179
	v_lshrrev_b32_e32 v18, 3, v178
	s_mov_b32 s15, exec_lo
	v_cmpx_gt_u32_e32 8, v178
; %bb.1393:                             ;   in Loop: Header=BB281_991 Depth=1
	s_delay_alu instid0(VALU_DEP_3) | instskip(NEXT) | instid1(VALU_DEP_1)
	v_clz_i32_u32_e32 v18, v6
	v_min_u32_e32 v18, 32, v18
	s_delay_alu instid0(VALU_DEP_1) | instskip(SKIP_1) | instid1(VALU_DEP_2)
	v_subrev_nc_u32_e32 v19, 28, v18
	v_sub_nc_u32_e32 v18, 29, v18
	v_lshlrev_b64 v[180:181], v19, v[6:7]
	s_delay_alu instid0(VALU_DEP_1)
	v_and_b32_e32 v6, 7, v180
; %bb.1394:                             ;   in Loop: Header=BB281_991 Depth=1
	s_or_b32 exec_lo, exec_lo, s15
	v_lshlrev_b32_e32 v19, 24, v179
	s_delay_alu instid0(VALU_DEP_2) | instskip(SKIP_1) | instid1(VALU_DEP_3)
	v_lshlrev_b32_e32 v6, 20, v6
	v_lshl_add_u32 v18, v18, 23, 0x3c000000
	v_and_b32_e32 v19, 0x80000000, v19
	s_delay_alu instid0(VALU_DEP_1)
	v_or3_b32 v19, v6, v19, v18
	v_mov_b32_e32 v18, v7
.LBB281_1395:                           ;   in Loop: Header=BB281_991 Depth=1
	s_or_b32 exec_lo, exec_lo, s10
.LBB281_1396:                           ;   in Loop: Header=BB281_991 Depth=1
	s_delay_alu instid0(SALU_CYCLE_1)
	s_or_b32 exec_lo, exec_lo, s13
.LBB281_1397:                           ;   in Loop: Header=BB281_991 Depth=1
	s_delay_alu instid0(SALU_CYCLE_1) | instskip(SKIP_4) | instid1(VALU_DEP_4)
	s_or_b32 exec_lo, exec_lo, s12
	v_or_b32_e32 v5, v15, v5
	v_or_b32_e32 v4, v14, v4
	;; [unrolled: 1-line block ×4, first 2 shown]
	v_mul_f32_e32 v181, v82, v5
	s_delay_alu instid0(VALU_DEP_4) | instskip(NEXT) | instid1(VALU_DEP_4)
	v_mul_f32_e32 v180, v70, v4
	v_mul_f32_e32 v178, v82, v6
	s_delay_alu instid0(VALU_DEP_4)
	v_mul_f32_e32 v179, v70, v14
	s_and_saveexec_b32 s10, vcc_lo
; %bb.1398:                             ;   in Loop: Header=BB281_991 Depth=1
	v_cmp_lt_i32_e64 s0, v87, v170
	s_delay_alu instid0(VALU_DEP_1) | instskip(SKIP_1) | instid1(VALU_DEP_1)
	v_cndmask_b32_e64 v180, 0, v180, s0
	v_cmp_lt_i32_e64 s0, v97, v170
	v_cndmask_b32_e64 v181, 0, v181, s0
	v_cmp_lt_i32_e64 s0, v96, v170
	s_delay_alu instid0(VALU_DEP_1) | instskip(SKIP_1) | instid1(VALU_DEP_1)
	v_cndmask_b32_e64 v179, 0, v179, s0
	v_cmp_lt_i32_e64 s0, v80, v170
	v_cndmask_b32_e64 v178, 0, v178, s0
; %bb.1399:                             ;   in Loop: Header=BB281_991 Depth=1
	s_or_b32 exec_lo, exec_lo, s10
	flat_load_b32 v182, v[12:13] offset:1536
	v_mov_b32_e32 v14, 0
	v_mov_b32_e32 v15, 0
	s_mov_b32 s10, exec_lo
	s_waitcnt vmcnt(0) lgkmcnt(0)
	v_and_b32_e32 v6, 0xff, v182
	s_delay_alu instid0(VALU_DEP_2) | instskip(NEXT) | instid1(VALU_DEP_2)
	v_dual_mov_b32 v4, v14 :: v_dual_mov_b32 v5, v15
	v_cmpx_ne_u16_e32 0, v6
	s_cbranch_execz .LBB281_1407
; %bb.1400:                             ;   in Loop: Header=BB281_991 Depth=1
	v_bfrev_b32_e32 v4, 1
	v_mov_b32_e32 v5, 0
	s_mov_b32 s12, exec_lo
	v_cmpx_ne_u16_e32 0x80, v6
	s_cbranch_execz .LBB281_1406
; %bb.1401:                             ;   in Loop: Header=BB281_991 Depth=1
	v_mov_b32_e32 v4, 0x7f800001
	v_dual_mov_b32 v5, 0 :: v_dual_and_b32 v16, 0x7f, v182
	s_mov_b32 s13, exec_lo
	s_delay_alu instid0(VALU_DEP_1)
	v_cmpx_ne_u32_e32 0x7f, v16
	s_cbranch_execz .LBB281_1405
; %bb.1402:                             ;   in Loop: Header=BB281_991 Depth=1
	v_and_b32_e32 v6, 7, v182
	v_lshrrev_b32_e32 v4, 3, v16
	s_mov_b32 s15, exec_lo
	v_cmpx_gt_u32_e32 8, v16
; %bb.1403:                             ;   in Loop: Header=BB281_991 Depth=1
	s_delay_alu instid0(VALU_DEP_3) | instskip(NEXT) | instid1(VALU_DEP_1)
	v_clz_i32_u32_e32 v4, v6
	v_min_u32_e32 v4, 32, v4
	s_delay_alu instid0(VALU_DEP_1) | instskip(SKIP_1) | instid1(VALU_DEP_2)
	v_subrev_nc_u32_e32 v5, 28, v4
	v_sub_nc_u32_e32 v4, 29, v4
	v_lshlrev_b64 v[5:6], v5, v[6:7]
	s_delay_alu instid0(VALU_DEP_1)
	v_and_b32_e32 v6, 7, v5
; %bb.1404:                             ;   in Loop: Header=BB281_991 Depth=1
	s_or_b32 exec_lo, exec_lo, s15
	v_lshlrev_b32_e32 v5, 24, v182
	s_delay_alu instid0(VALU_DEP_2) | instskip(SKIP_1) | instid1(VALU_DEP_3)
	v_lshlrev_b32_e32 v6, 20, v6
	v_lshl_add_u32 v4, v4, 23, 0x3c000000
	v_and_b32_e32 v5, 0x80000000, v5
	s_delay_alu instid0(VALU_DEP_1) | instskip(NEXT) | instid1(VALU_DEP_1)
	v_or3_b32 v6, v6, v5, v4
	v_dual_mov_b32 v4, v6 :: v_dual_mov_b32 v5, v7
.LBB281_1405:                           ;   in Loop: Header=BB281_991 Depth=1
	s_or_b32 exec_lo, exec_lo, s13
.LBB281_1406:                           ;   in Loop: Header=BB281_991 Depth=1
	s_delay_alu instid0(SALU_CYCLE_1)
	s_or_b32 exec_lo, exec_lo, s12
.LBB281_1407:                           ;   in Loop: Header=BB281_991 Depth=1
	s_delay_alu instid0(SALU_CYCLE_1) | instskip(SKIP_2) | instid1(VALU_DEP_1)
	s_or_b32 exec_lo, exec_lo, s10
	v_lshrrev_b16 v6, 8, v182
	s_mov_b32 s12, exec_lo
	v_cmpx_ne_u16_e32 0, v6
	s_cbranch_execz .LBB281_1415
; %bb.1408:                             ;   in Loop: Header=BB281_991 Depth=1
	v_dual_mov_b32 v15, s9 :: v_dual_mov_b32 v14, s8
	s_mov_b32 s13, exec_lo
	v_cmpx_ne_u16_e32 0x80, v6
	s_cbranch_execz .LBB281_1414
; %bb.1409:                             ;   in Loop: Header=BB281_991 Depth=1
	s_mov_b32 s10, s8
	v_dual_mov_b32 v15, s11 :: v_dual_and_b32 v6, 0xffff, v6
	v_mov_b32_e32 v14, s10
	s_mov_b32 s10, exec_lo
	s_delay_alu instid0(VALU_DEP_2) | instskip(NEXT) | instid1(VALU_DEP_1)
	v_and_b32_e32 v16, 0x7f, v6
	v_cmpx_ne_u32_e32 0x7f, v16
	s_cbranch_execz .LBB281_1413
; %bb.1410:                             ;   in Loop: Header=BB281_991 Depth=1
	v_and_b32_e32 v6, 7, v6
	v_lshrrev_b32_e32 v14, 3, v16
	s_mov_b32 s15, exec_lo
	v_cmpx_gt_u32_e32 8, v16
; %bb.1411:                             ;   in Loop: Header=BB281_991 Depth=1
	s_delay_alu instid0(VALU_DEP_3) | instskip(NEXT) | instid1(VALU_DEP_1)
	v_clz_i32_u32_e32 v14, v6
	v_min_u32_e32 v14, 32, v14
	s_delay_alu instid0(VALU_DEP_1) | instskip(SKIP_1) | instid1(VALU_DEP_2)
	v_subrev_nc_u32_e32 v15, 28, v14
	v_sub_nc_u32_e32 v14, 29, v14
	v_lshlrev_b64 v[15:16], v15, v[6:7]
	s_delay_alu instid0(VALU_DEP_1)
	v_and_b32_e32 v6, 7, v15
; %bb.1412:                             ;   in Loop: Header=BB281_991 Depth=1
	s_or_b32 exec_lo, exec_lo, s15
	v_lshlrev_b32_e32 v15, 16, v182
	s_delay_alu instid0(VALU_DEP_2) | instskip(SKIP_1) | instid1(VALU_DEP_3)
	v_lshlrev_b32_e32 v6, 20, v6
	v_lshl_add_u32 v14, v14, 23, 0x3c000000
	v_and_b32_e32 v15, 0x80000000, v15
	s_delay_alu instid0(VALU_DEP_1)
	v_or3_b32 v15, v6, v15, v14
	v_mov_b32_e32 v14, v7
.LBB281_1413:                           ;   in Loop: Header=BB281_991 Depth=1
	s_or_b32 exec_lo, exec_lo, s10
.LBB281_1414:                           ;   in Loop: Header=BB281_991 Depth=1
	s_delay_alu instid0(SALU_CYCLE_1)
	s_or_b32 exec_lo, exec_lo, s13
.LBB281_1415:                           ;   in Loop: Header=BB281_991 Depth=1
	s_delay_alu instid0(SALU_CYCLE_1) | instskip(SKIP_4) | instid1(VALU_DEP_2)
	s_or_b32 exec_lo, exec_lo, s12
	v_mov_b32_e32 v18, 0
	v_lshrrev_b32_e32 v183, 16, v182
	v_mov_b32_e32 v19, 0
	s_mov_b32 s10, exec_lo
	v_and_b32_e32 v6, 0xff, v183
	s_delay_alu instid0(VALU_DEP_2) | instskip(NEXT) | instid1(VALU_DEP_2)
	v_dual_mov_b32 v16, v18 :: v_dual_mov_b32 v17, v19
	v_cmpx_ne_u16_e32 0, v6
	s_cbranch_execz .LBB281_1423
; %bb.1416:                             ;   in Loop: Header=BB281_991 Depth=1
	v_bfrev_b32_e32 v16, 1
	v_mov_b32_e32 v17, 0
	s_mov_b32 s12, exec_lo
	v_cmpx_ne_u16_e32 0x80, v6
	s_cbranch_execz .LBB281_1422
; %bb.1417:                             ;   in Loop: Header=BB281_991 Depth=1
	v_mov_b32_e32 v16, 0x7f800001
	v_bfe_u32 v40, v182, 16, 7
	v_mov_b32_e32 v17, 0
	s_mov_b32 s13, exec_lo
	s_delay_alu instid0(VALU_DEP_2)
	v_cmpx_ne_u32_e32 0x7f, v40
	s_cbranch_execz .LBB281_1421
; %bb.1418:                             ;   in Loop: Header=BB281_991 Depth=1
	v_and_b32_e32 v6, 7, v183
	v_lshrrev_b32_e32 v16, 3, v40
	s_mov_b32 s15, exec_lo
	v_cmpx_gt_u32_e32 8, v40
; %bb.1419:                             ;   in Loop: Header=BB281_991 Depth=1
	s_delay_alu instid0(VALU_DEP_3) | instskip(NEXT) | instid1(VALU_DEP_1)
	v_clz_i32_u32_e32 v16, v6
	v_min_u32_e32 v16, 32, v16
	s_delay_alu instid0(VALU_DEP_1) | instskip(SKIP_1) | instid1(VALU_DEP_2)
	v_subrev_nc_u32_e32 v17, 28, v16
	v_sub_nc_u32_e32 v16, 29, v16
	v_lshlrev_b64 v[40:41], v17, v[6:7]
	s_delay_alu instid0(VALU_DEP_1)
	v_and_b32_e32 v6, 7, v40
; %bb.1420:                             ;   in Loop: Header=BB281_991 Depth=1
	s_or_b32 exec_lo, exec_lo, s15
	v_lshlrev_b32_e32 v17, 24, v183
	s_delay_alu instid0(VALU_DEP_2) | instskip(SKIP_1) | instid1(VALU_DEP_3)
	v_lshlrev_b32_e32 v6, 20, v6
	v_lshl_add_u32 v16, v16, 23, 0x3c000000
	v_and_b32_e32 v17, 0x80000000, v17
	s_delay_alu instid0(VALU_DEP_1) | instskip(NEXT) | instid1(VALU_DEP_1)
	v_or3_b32 v6, v6, v17, v16
	v_dual_mov_b32 v17, v7 :: v_dual_mov_b32 v16, v6
.LBB281_1421:                           ;   in Loop: Header=BB281_991 Depth=1
	s_or_b32 exec_lo, exec_lo, s13
.LBB281_1422:                           ;   in Loop: Header=BB281_991 Depth=1
	s_delay_alu instid0(SALU_CYCLE_1)
	s_or_b32 exec_lo, exec_lo, s12
.LBB281_1423:                           ;   in Loop: Header=BB281_991 Depth=1
	s_delay_alu instid0(SALU_CYCLE_1) | instskip(NEXT) | instid1(SALU_CYCLE_1)
	s_or_b32 exec_lo, exec_lo, s10
	s_mov_b32 s12, exec_lo
	v_cmpx_lt_u32_e32 0xffffff, v182
	s_cbranch_execz .LBB281_1431
; %bb.1424:                             ;   in Loop: Header=BB281_991 Depth=1
	v_lshrrev_b32_e32 v183, 24, v182
	v_dual_mov_b32 v19, s9 :: v_dual_mov_b32 v18, s8
	s_mov_b32 s13, exec_lo
	s_delay_alu instid0(VALU_DEP_2)
	v_cmpx_ne_u32_e32 0x80, v183
	s_cbranch_execz .LBB281_1430
; %bb.1425:                             ;   in Loop: Header=BB281_991 Depth=1
	s_mov_b32 s10, s8
	v_bfe_u32 v182, v182, 24, 7
	v_dual_mov_b32 v19, s11 :: v_dual_mov_b32 v18, s10
	s_mov_b32 s10, exec_lo
	s_delay_alu instid0(VALU_DEP_2)
	v_cmpx_ne_u32_e32 0x7f, v182
	s_cbranch_execz .LBB281_1429
; %bb.1426:                             ;   in Loop: Header=BB281_991 Depth=1
	v_and_b32_e32 v6, 7, v183
	v_lshrrev_b32_e32 v18, 3, v182
	s_mov_b32 s15, exec_lo
	v_cmpx_gt_u32_e32 8, v182
; %bb.1427:                             ;   in Loop: Header=BB281_991 Depth=1
	s_delay_alu instid0(VALU_DEP_3) | instskip(NEXT) | instid1(VALU_DEP_1)
	v_clz_i32_u32_e32 v18, v6
	v_min_u32_e32 v18, 32, v18
	s_delay_alu instid0(VALU_DEP_1) | instskip(SKIP_1) | instid1(VALU_DEP_2)
	v_subrev_nc_u32_e32 v19, 28, v18
	v_sub_nc_u32_e32 v18, 29, v18
	v_lshlrev_b64 v[40:41], v19, v[6:7]
	s_delay_alu instid0(VALU_DEP_1)
	v_and_b32_e32 v6, 7, v40
; %bb.1428:                             ;   in Loop: Header=BB281_991 Depth=1
	s_or_b32 exec_lo, exec_lo, s15
	v_lshlrev_b32_e32 v19, 24, v183
	s_delay_alu instid0(VALU_DEP_2) | instskip(SKIP_1) | instid1(VALU_DEP_3)
	v_lshlrev_b32_e32 v6, 20, v6
	v_lshl_add_u32 v18, v18, 23, 0x3c000000
	v_and_b32_e32 v19, 0x80000000, v19
	s_delay_alu instid0(VALU_DEP_1)
	v_or3_b32 v19, v6, v19, v18
	v_mov_b32_e32 v18, v7
.LBB281_1429:                           ;   in Loop: Header=BB281_991 Depth=1
	s_or_b32 exec_lo, exec_lo, s10
.LBB281_1430:                           ;   in Loop: Header=BB281_991 Depth=1
	s_delay_alu instid0(SALU_CYCLE_1)
	s_or_b32 exec_lo, exec_lo, s13
.LBB281_1431:                           ;   in Loop: Header=BB281_991 Depth=1
	s_delay_alu instid0(SALU_CYCLE_1) | instskip(SKIP_4) | instid1(VALU_DEP_4)
	s_or_b32 exec_lo, exec_lo, s12
	v_or_b32_e32 v5, v15, v5
	v_or_b32_e32 v4, v14, v4
	v_or_b32_e32 v6, v19, v17
	v_or_b32_e32 v14, v18, v16
	v_mul_f32_e32 v41, v82, v5
	s_delay_alu instid0(VALU_DEP_4) | instskip(NEXT) | instid1(VALU_DEP_4)
	v_mul_f32_e32 v40, v70, v4
	v_mul_f32_e32 v182, v82, v6
	s_delay_alu instid0(VALU_DEP_4)
	v_mul_f32_e32 v183, v70, v14
	s_and_saveexec_b32 s10, vcc_lo
; %bb.1432:                             ;   in Loop: Header=BB281_991 Depth=1
	v_cmp_lt_i32_e64 s0, v87, v170
	s_delay_alu instid0(VALU_DEP_1) | instskip(SKIP_1) | instid1(VALU_DEP_1)
	v_cndmask_b32_e64 v40, 0, v40, s0
	v_cmp_lt_i32_e64 s0, v97, v170
	v_cndmask_b32_e64 v41, 0, v41, s0
	v_cmp_lt_i32_e64 s0, v96, v170
	s_delay_alu instid0(VALU_DEP_1) | instskip(SKIP_1) | instid1(VALU_DEP_1)
	v_cndmask_b32_e64 v183, 0, v183, s0
	v_cmp_lt_i32_e64 s0, v80, v170
	v_cndmask_b32_e64 v182, 0, v182, s0
; %bb.1433:                             ;   in Loop: Header=BB281_991 Depth=1
	s_or_b32 exec_lo, exec_lo, s10
	flat_load_b32 v42, v[12:13] offset:1664
	v_mov_b32_e32 v14, 0
	v_mov_b32_e32 v15, 0
	s_mov_b32 s10, exec_lo
	s_waitcnt vmcnt(0) lgkmcnt(0)
	v_and_b32_e32 v6, 0xff, v42
	s_delay_alu instid0(VALU_DEP_2) | instskip(NEXT) | instid1(VALU_DEP_2)
	v_dual_mov_b32 v4, v14 :: v_dual_mov_b32 v5, v15
	v_cmpx_ne_u16_e32 0, v6
	s_cbranch_execz .LBB281_1441
; %bb.1434:                             ;   in Loop: Header=BB281_991 Depth=1
	v_bfrev_b32_e32 v4, 1
	v_mov_b32_e32 v5, 0
	s_mov_b32 s12, exec_lo
	v_cmpx_ne_u16_e32 0x80, v6
	s_cbranch_execz .LBB281_1440
; %bb.1435:                             ;   in Loop: Header=BB281_991 Depth=1
	v_mov_b32_e32 v4, 0x7f800001
	v_dual_mov_b32 v5, 0 :: v_dual_and_b32 v16, 0x7f, v42
	s_mov_b32 s13, exec_lo
	s_delay_alu instid0(VALU_DEP_1)
	v_cmpx_ne_u32_e32 0x7f, v16
	s_cbranch_execz .LBB281_1439
; %bb.1436:                             ;   in Loop: Header=BB281_991 Depth=1
	v_and_b32_e32 v6, 7, v42
	v_lshrrev_b32_e32 v4, 3, v16
	s_mov_b32 s15, exec_lo
	v_cmpx_gt_u32_e32 8, v16
; %bb.1437:                             ;   in Loop: Header=BB281_991 Depth=1
	s_delay_alu instid0(VALU_DEP_3) | instskip(NEXT) | instid1(VALU_DEP_1)
	v_clz_i32_u32_e32 v4, v6
	v_min_u32_e32 v4, 32, v4
	s_delay_alu instid0(VALU_DEP_1) | instskip(SKIP_1) | instid1(VALU_DEP_2)
	v_subrev_nc_u32_e32 v5, 28, v4
	v_sub_nc_u32_e32 v4, 29, v4
	v_lshlrev_b64 v[5:6], v5, v[6:7]
	s_delay_alu instid0(VALU_DEP_1)
	v_and_b32_e32 v6, 7, v5
; %bb.1438:                             ;   in Loop: Header=BB281_991 Depth=1
	s_or_b32 exec_lo, exec_lo, s15
	v_lshlrev_b32_e32 v5, 24, v42
	s_delay_alu instid0(VALU_DEP_2) | instskip(SKIP_1) | instid1(VALU_DEP_3)
	v_lshlrev_b32_e32 v6, 20, v6
	v_lshl_add_u32 v4, v4, 23, 0x3c000000
	v_and_b32_e32 v5, 0x80000000, v5
	s_delay_alu instid0(VALU_DEP_1) | instskip(NEXT) | instid1(VALU_DEP_1)
	v_or3_b32 v6, v6, v5, v4
	v_dual_mov_b32 v4, v6 :: v_dual_mov_b32 v5, v7
.LBB281_1439:                           ;   in Loop: Header=BB281_991 Depth=1
	s_or_b32 exec_lo, exec_lo, s13
.LBB281_1440:                           ;   in Loop: Header=BB281_991 Depth=1
	s_delay_alu instid0(SALU_CYCLE_1)
	s_or_b32 exec_lo, exec_lo, s12
.LBB281_1441:                           ;   in Loop: Header=BB281_991 Depth=1
	s_delay_alu instid0(SALU_CYCLE_1) | instskip(SKIP_2) | instid1(VALU_DEP_1)
	s_or_b32 exec_lo, exec_lo, s10
	v_lshrrev_b16 v6, 8, v42
	s_mov_b32 s12, exec_lo
	v_cmpx_ne_u16_e32 0, v6
	s_cbranch_execz .LBB281_1449
; %bb.1442:                             ;   in Loop: Header=BB281_991 Depth=1
	v_dual_mov_b32 v15, s9 :: v_dual_mov_b32 v14, s8
	s_mov_b32 s13, exec_lo
	v_cmpx_ne_u16_e32 0x80, v6
	s_cbranch_execz .LBB281_1448
; %bb.1443:                             ;   in Loop: Header=BB281_991 Depth=1
	s_mov_b32 s10, s8
	v_dual_mov_b32 v15, s11 :: v_dual_and_b32 v6, 0xffff, v6
	v_mov_b32_e32 v14, s10
	s_mov_b32 s10, exec_lo
	s_delay_alu instid0(VALU_DEP_2) | instskip(NEXT) | instid1(VALU_DEP_1)
	v_and_b32_e32 v16, 0x7f, v6
	v_cmpx_ne_u32_e32 0x7f, v16
	s_cbranch_execz .LBB281_1447
; %bb.1444:                             ;   in Loop: Header=BB281_991 Depth=1
	v_and_b32_e32 v6, 7, v6
	v_lshrrev_b32_e32 v14, 3, v16
	s_mov_b32 s15, exec_lo
	v_cmpx_gt_u32_e32 8, v16
; %bb.1445:                             ;   in Loop: Header=BB281_991 Depth=1
	s_delay_alu instid0(VALU_DEP_3) | instskip(NEXT) | instid1(VALU_DEP_1)
	v_clz_i32_u32_e32 v14, v6
	v_min_u32_e32 v14, 32, v14
	s_delay_alu instid0(VALU_DEP_1) | instskip(SKIP_1) | instid1(VALU_DEP_2)
	v_subrev_nc_u32_e32 v15, 28, v14
	v_sub_nc_u32_e32 v14, 29, v14
	v_lshlrev_b64 v[15:16], v15, v[6:7]
	s_delay_alu instid0(VALU_DEP_1)
	v_and_b32_e32 v6, 7, v15
; %bb.1446:                             ;   in Loop: Header=BB281_991 Depth=1
	s_or_b32 exec_lo, exec_lo, s15
	v_lshlrev_b32_e32 v15, 16, v42
	s_delay_alu instid0(VALU_DEP_2) | instskip(SKIP_1) | instid1(VALU_DEP_3)
	v_lshlrev_b32_e32 v6, 20, v6
	v_lshl_add_u32 v14, v14, 23, 0x3c000000
	v_and_b32_e32 v15, 0x80000000, v15
	s_delay_alu instid0(VALU_DEP_1)
	v_or3_b32 v15, v6, v15, v14
	v_mov_b32_e32 v14, v7
.LBB281_1447:                           ;   in Loop: Header=BB281_991 Depth=1
	s_or_b32 exec_lo, exec_lo, s10
.LBB281_1448:                           ;   in Loop: Header=BB281_991 Depth=1
	s_delay_alu instid0(SALU_CYCLE_1)
	s_or_b32 exec_lo, exec_lo, s13
.LBB281_1449:                           ;   in Loop: Header=BB281_991 Depth=1
	s_delay_alu instid0(SALU_CYCLE_1) | instskip(SKIP_4) | instid1(VALU_DEP_2)
	s_or_b32 exec_lo, exec_lo, s12
	v_mov_b32_e32 v18, 0
	v_lshrrev_b32_e32 v43, 16, v42
	v_mov_b32_e32 v19, 0
	s_mov_b32 s10, exec_lo
	v_and_b32_e32 v6, 0xff, v43
	s_delay_alu instid0(VALU_DEP_2) | instskip(NEXT) | instid1(VALU_DEP_2)
	v_dual_mov_b32 v16, v18 :: v_dual_mov_b32 v17, v19
	v_cmpx_ne_u16_e32 0, v6
	s_cbranch_execz .LBB281_1457
; %bb.1450:                             ;   in Loop: Header=BB281_991 Depth=1
	v_bfrev_b32_e32 v16, 1
	v_mov_b32_e32 v17, 0
	s_mov_b32 s12, exec_lo
	v_cmpx_ne_u16_e32 0x80, v6
	s_cbranch_execz .LBB281_1456
; %bb.1451:                             ;   in Loop: Header=BB281_991 Depth=1
	v_mov_b32_e32 v16, 0x7f800001
	v_bfe_u32 v44, v42, 16, 7
	v_mov_b32_e32 v17, 0
	s_mov_b32 s13, exec_lo
	s_delay_alu instid0(VALU_DEP_2)
	v_cmpx_ne_u32_e32 0x7f, v44
	s_cbranch_execz .LBB281_1455
; %bb.1452:                             ;   in Loop: Header=BB281_991 Depth=1
	v_and_b32_e32 v6, 7, v43
	v_lshrrev_b32_e32 v16, 3, v44
	s_mov_b32 s15, exec_lo
	v_cmpx_gt_u32_e32 8, v44
; %bb.1453:                             ;   in Loop: Header=BB281_991 Depth=1
	s_delay_alu instid0(VALU_DEP_3) | instskip(NEXT) | instid1(VALU_DEP_1)
	v_clz_i32_u32_e32 v16, v6
	v_min_u32_e32 v16, 32, v16
	s_delay_alu instid0(VALU_DEP_1) | instskip(SKIP_1) | instid1(VALU_DEP_2)
	v_subrev_nc_u32_e32 v17, 28, v16
	v_sub_nc_u32_e32 v16, 29, v16
	v_lshlrev_b64 v[44:45], v17, v[6:7]
	s_delay_alu instid0(VALU_DEP_1)
	v_and_b32_e32 v6, 7, v44
; %bb.1454:                             ;   in Loop: Header=BB281_991 Depth=1
	s_or_b32 exec_lo, exec_lo, s15
	v_lshlrev_b32_e32 v17, 24, v43
	s_delay_alu instid0(VALU_DEP_2) | instskip(SKIP_1) | instid1(VALU_DEP_3)
	v_lshlrev_b32_e32 v6, 20, v6
	v_lshl_add_u32 v16, v16, 23, 0x3c000000
	v_and_b32_e32 v17, 0x80000000, v17
	s_delay_alu instid0(VALU_DEP_1) | instskip(NEXT) | instid1(VALU_DEP_1)
	v_or3_b32 v6, v6, v17, v16
	v_dual_mov_b32 v17, v7 :: v_dual_mov_b32 v16, v6
.LBB281_1455:                           ;   in Loop: Header=BB281_991 Depth=1
	s_or_b32 exec_lo, exec_lo, s13
.LBB281_1456:                           ;   in Loop: Header=BB281_991 Depth=1
	s_delay_alu instid0(SALU_CYCLE_1)
	s_or_b32 exec_lo, exec_lo, s12
.LBB281_1457:                           ;   in Loop: Header=BB281_991 Depth=1
	s_delay_alu instid0(SALU_CYCLE_1) | instskip(NEXT) | instid1(SALU_CYCLE_1)
	s_or_b32 exec_lo, exec_lo, s10
	s_mov_b32 s12, exec_lo
	v_cmpx_lt_u32_e32 0xffffff, v42
	s_cbranch_execz .LBB281_1465
; %bb.1458:                             ;   in Loop: Header=BB281_991 Depth=1
	v_lshrrev_b32_e32 v43, 24, v42
	v_dual_mov_b32 v19, s9 :: v_dual_mov_b32 v18, s8
	s_mov_b32 s13, exec_lo
	s_delay_alu instid0(VALU_DEP_2)
	v_cmpx_ne_u32_e32 0x80, v43
	s_cbranch_execz .LBB281_1464
; %bb.1459:                             ;   in Loop: Header=BB281_991 Depth=1
	s_mov_b32 s10, s8
	v_bfe_u32 v42, v42, 24, 7
	v_dual_mov_b32 v19, s11 :: v_dual_mov_b32 v18, s10
	s_mov_b32 s10, exec_lo
	s_delay_alu instid0(VALU_DEP_2)
	v_cmpx_ne_u32_e32 0x7f, v42
	s_cbranch_execz .LBB281_1463
; %bb.1460:                             ;   in Loop: Header=BB281_991 Depth=1
	v_and_b32_e32 v6, 7, v43
	v_lshrrev_b32_e32 v18, 3, v42
	s_mov_b32 s15, exec_lo
	v_cmpx_gt_u32_e32 8, v42
; %bb.1461:                             ;   in Loop: Header=BB281_991 Depth=1
	s_delay_alu instid0(VALU_DEP_3) | instskip(NEXT) | instid1(VALU_DEP_1)
	v_clz_i32_u32_e32 v18, v6
	v_min_u32_e32 v18, 32, v18
	s_delay_alu instid0(VALU_DEP_1) | instskip(SKIP_1) | instid1(VALU_DEP_2)
	v_subrev_nc_u32_e32 v19, 28, v18
	v_sub_nc_u32_e32 v18, 29, v18
	v_lshlrev_b64 v[44:45], v19, v[6:7]
	s_delay_alu instid0(VALU_DEP_1)
	v_and_b32_e32 v6, 7, v44
; %bb.1462:                             ;   in Loop: Header=BB281_991 Depth=1
	s_or_b32 exec_lo, exec_lo, s15
	v_lshlrev_b32_e32 v19, 24, v43
	s_delay_alu instid0(VALU_DEP_2) | instskip(SKIP_1) | instid1(VALU_DEP_3)
	v_lshlrev_b32_e32 v6, 20, v6
	v_lshl_add_u32 v18, v18, 23, 0x3c000000
	v_and_b32_e32 v19, 0x80000000, v19
	s_delay_alu instid0(VALU_DEP_1)
	v_or3_b32 v19, v6, v19, v18
	v_mov_b32_e32 v18, v7
.LBB281_1463:                           ;   in Loop: Header=BB281_991 Depth=1
	s_or_b32 exec_lo, exec_lo, s10
.LBB281_1464:                           ;   in Loop: Header=BB281_991 Depth=1
	s_delay_alu instid0(SALU_CYCLE_1)
	s_or_b32 exec_lo, exec_lo, s13
.LBB281_1465:                           ;   in Loop: Header=BB281_991 Depth=1
	s_delay_alu instid0(SALU_CYCLE_1) | instskip(SKIP_4) | instid1(VALU_DEP_4)
	s_or_b32 exec_lo, exec_lo, s12
	v_or_b32_e32 v5, v15, v5
	v_or_b32_e32 v4, v14, v4
	;; [unrolled: 1-line block ×4, first 2 shown]
	v_mul_f32_e32 v45, v82, v5
	s_delay_alu instid0(VALU_DEP_4) | instskip(NEXT) | instid1(VALU_DEP_4)
	v_mul_f32_e32 v44, v70, v4
	v_mul_f32_e32 v42, v82, v6
	s_delay_alu instid0(VALU_DEP_4)
	v_mul_f32_e32 v43, v70, v14
	s_and_saveexec_b32 s10, vcc_lo
; %bb.1466:                             ;   in Loop: Header=BB281_991 Depth=1
	v_cmp_lt_i32_e64 s0, v87, v170
	s_delay_alu instid0(VALU_DEP_1) | instskip(SKIP_1) | instid1(VALU_DEP_1)
	v_cndmask_b32_e64 v44, 0, v44, s0
	v_cmp_lt_i32_e64 s0, v97, v170
	v_cndmask_b32_e64 v45, 0, v45, s0
	v_cmp_lt_i32_e64 s0, v96, v170
	s_delay_alu instid0(VALU_DEP_1) | instskip(SKIP_1) | instid1(VALU_DEP_1)
	v_cndmask_b32_e64 v43, 0, v43, s0
	v_cmp_lt_i32_e64 s0, v80, v170
	v_cndmask_b32_e64 v42, 0, v42, s0
; %bb.1467:                             ;   in Loop: Header=BB281_991 Depth=1
	s_or_b32 exec_lo, exec_lo, s10
	flat_load_b32 v46, v[12:13] offset:1792
	v_mov_b32_e32 v14, 0
	v_mov_b32_e32 v15, 0
	s_mov_b32 s10, exec_lo
	s_waitcnt vmcnt(0) lgkmcnt(0)
	v_and_b32_e32 v6, 0xff, v46
	s_delay_alu instid0(VALU_DEP_2) | instskip(NEXT) | instid1(VALU_DEP_2)
	v_dual_mov_b32 v4, v14 :: v_dual_mov_b32 v5, v15
	v_cmpx_ne_u16_e32 0, v6
	s_cbranch_execz .LBB281_1475
; %bb.1468:                             ;   in Loop: Header=BB281_991 Depth=1
	v_bfrev_b32_e32 v4, 1
	v_mov_b32_e32 v5, 0
	s_mov_b32 s12, exec_lo
	v_cmpx_ne_u16_e32 0x80, v6
	s_cbranch_execz .LBB281_1474
; %bb.1469:                             ;   in Loop: Header=BB281_991 Depth=1
	v_mov_b32_e32 v4, 0x7f800001
	v_dual_mov_b32 v5, 0 :: v_dual_and_b32 v16, 0x7f, v46
	s_mov_b32 s13, exec_lo
	s_delay_alu instid0(VALU_DEP_1)
	v_cmpx_ne_u32_e32 0x7f, v16
	s_cbranch_execz .LBB281_1473
; %bb.1470:                             ;   in Loop: Header=BB281_991 Depth=1
	v_and_b32_e32 v6, 7, v46
	v_lshrrev_b32_e32 v4, 3, v16
	s_mov_b32 s15, exec_lo
	v_cmpx_gt_u32_e32 8, v16
; %bb.1471:                             ;   in Loop: Header=BB281_991 Depth=1
	s_delay_alu instid0(VALU_DEP_3) | instskip(NEXT) | instid1(VALU_DEP_1)
	v_clz_i32_u32_e32 v4, v6
	v_min_u32_e32 v4, 32, v4
	s_delay_alu instid0(VALU_DEP_1) | instskip(SKIP_1) | instid1(VALU_DEP_2)
	v_subrev_nc_u32_e32 v5, 28, v4
	v_sub_nc_u32_e32 v4, 29, v4
	v_lshlrev_b64 v[5:6], v5, v[6:7]
	s_delay_alu instid0(VALU_DEP_1)
	v_and_b32_e32 v6, 7, v5
; %bb.1472:                             ;   in Loop: Header=BB281_991 Depth=1
	s_or_b32 exec_lo, exec_lo, s15
	v_lshlrev_b32_e32 v5, 24, v46
	s_delay_alu instid0(VALU_DEP_2) | instskip(SKIP_1) | instid1(VALU_DEP_3)
	v_lshlrev_b32_e32 v6, 20, v6
	v_lshl_add_u32 v4, v4, 23, 0x3c000000
	v_and_b32_e32 v5, 0x80000000, v5
	s_delay_alu instid0(VALU_DEP_1) | instskip(NEXT) | instid1(VALU_DEP_1)
	v_or3_b32 v6, v6, v5, v4
	v_dual_mov_b32 v4, v6 :: v_dual_mov_b32 v5, v7
.LBB281_1473:                           ;   in Loop: Header=BB281_991 Depth=1
	s_or_b32 exec_lo, exec_lo, s13
.LBB281_1474:                           ;   in Loop: Header=BB281_991 Depth=1
	s_delay_alu instid0(SALU_CYCLE_1)
	s_or_b32 exec_lo, exec_lo, s12
.LBB281_1475:                           ;   in Loop: Header=BB281_991 Depth=1
	s_delay_alu instid0(SALU_CYCLE_1) | instskip(SKIP_2) | instid1(VALU_DEP_1)
	s_or_b32 exec_lo, exec_lo, s10
	v_lshrrev_b16 v6, 8, v46
	s_mov_b32 s12, exec_lo
	v_cmpx_ne_u16_e32 0, v6
	s_cbranch_execz .LBB281_1483
; %bb.1476:                             ;   in Loop: Header=BB281_991 Depth=1
	v_dual_mov_b32 v15, s9 :: v_dual_mov_b32 v14, s8
	s_mov_b32 s13, exec_lo
	v_cmpx_ne_u16_e32 0x80, v6
	s_cbranch_execz .LBB281_1482
; %bb.1477:                             ;   in Loop: Header=BB281_991 Depth=1
	s_mov_b32 s10, s8
	v_dual_mov_b32 v15, s11 :: v_dual_and_b32 v6, 0xffff, v6
	v_mov_b32_e32 v14, s10
	s_mov_b32 s10, exec_lo
	s_delay_alu instid0(VALU_DEP_2) | instskip(NEXT) | instid1(VALU_DEP_1)
	v_and_b32_e32 v16, 0x7f, v6
	v_cmpx_ne_u32_e32 0x7f, v16
	s_cbranch_execz .LBB281_1481
; %bb.1478:                             ;   in Loop: Header=BB281_991 Depth=1
	v_and_b32_e32 v6, 7, v6
	v_lshrrev_b32_e32 v14, 3, v16
	s_mov_b32 s15, exec_lo
	v_cmpx_gt_u32_e32 8, v16
; %bb.1479:                             ;   in Loop: Header=BB281_991 Depth=1
	s_delay_alu instid0(VALU_DEP_3) | instskip(NEXT) | instid1(VALU_DEP_1)
	v_clz_i32_u32_e32 v14, v6
	v_min_u32_e32 v14, 32, v14
	s_delay_alu instid0(VALU_DEP_1) | instskip(SKIP_1) | instid1(VALU_DEP_2)
	v_subrev_nc_u32_e32 v15, 28, v14
	v_sub_nc_u32_e32 v14, 29, v14
	v_lshlrev_b64 v[15:16], v15, v[6:7]
	s_delay_alu instid0(VALU_DEP_1)
	v_and_b32_e32 v6, 7, v15
; %bb.1480:                             ;   in Loop: Header=BB281_991 Depth=1
	s_or_b32 exec_lo, exec_lo, s15
	v_lshlrev_b32_e32 v15, 16, v46
	s_delay_alu instid0(VALU_DEP_2) | instskip(SKIP_1) | instid1(VALU_DEP_3)
	v_lshlrev_b32_e32 v6, 20, v6
	v_lshl_add_u32 v14, v14, 23, 0x3c000000
	v_and_b32_e32 v15, 0x80000000, v15
	s_delay_alu instid0(VALU_DEP_1)
	v_or3_b32 v15, v6, v15, v14
	v_mov_b32_e32 v14, v7
.LBB281_1481:                           ;   in Loop: Header=BB281_991 Depth=1
	s_or_b32 exec_lo, exec_lo, s10
.LBB281_1482:                           ;   in Loop: Header=BB281_991 Depth=1
	s_delay_alu instid0(SALU_CYCLE_1)
	s_or_b32 exec_lo, exec_lo, s13
.LBB281_1483:                           ;   in Loop: Header=BB281_991 Depth=1
	s_delay_alu instid0(SALU_CYCLE_1) | instskip(SKIP_4) | instid1(VALU_DEP_2)
	s_or_b32 exec_lo, exec_lo, s12
	v_mov_b32_e32 v18, 0
	v_lshrrev_b32_e32 v47, 16, v46
	v_mov_b32_e32 v19, 0
	s_mov_b32 s10, exec_lo
	v_and_b32_e32 v6, 0xff, v47
	s_delay_alu instid0(VALU_DEP_2) | instskip(NEXT) | instid1(VALU_DEP_2)
	v_dual_mov_b32 v16, v18 :: v_dual_mov_b32 v17, v19
	v_cmpx_ne_u16_e32 0, v6
	s_cbranch_execz .LBB281_1491
; %bb.1484:                             ;   in Loop: Header=BB281_991 Depth=1
	v_bfrev_b32_e32 v16, 1
	v_mov_b32_e32 v17, 0
	s_mov_b32 s12, exec_lo
	v_cmpx_ne_u16_e32 0x80, v6
	s_cbranch_execz .LBB281_1490
; %bb.1485:                             ;   in Loop: Header=BB281_991 Depth=1
	v_mov_b32_e32 v16, 0x7f800001
	v_bfe_u32 v56, v46, 16, 7
	v_mov_b32_e32 v17, 0
	s_mov_b32 s13, exec_lo
	s_delay_alu instid0(VALU_DEP_2)
	v_cmpx_ne_u32_e32 0x7f, v56
	s_cbranch_execz .LBB281_1489
; %bb.1486:                             ;   in Loop: Header=BB281_991 Depth=1
	v_and_b32_e32 v6, 7, v47
	v_lshrrev_b32_e32 v16, 3, v56
	s_mov_b32 s15, exec_lo
	v_cmpx_gt_u32_e32 8, v56
; %bb.1487:                             ;   in Loop: Header=BB281_991 Depth=1
	s_delay_alu instid0(VALU_DEP_3) | instskip(NEXT) | instid1(VALU_DEP_1)
	v_clz_i32_u32_e32 v16, v6
	v_min_u32_e32 v16, 32, v16
	s_delay_alu instid0(VALU_DEP_1) | instskip(SKIP_1) | instid1(VALU_DEP_2)
	v_subrev_nc_u32_e32 v17, 28, v16
	v_sub_nc_u32_e32 v16, 29, v16
	v_lshlrev_b64 v[56:57], v17, v[6:7]
	s_delay_alu instid0(VALU_DEP_1)
	v_and_b32_e32 v6, 7, v56
; %bb.1488:                             ;   in Loop: Header=BB281_991 Depth=1
	s_or_b32 exec_lo, exec_lo, s15
	v_lshlrev_b32_e32 v17, 24, v47
	s_delay_alu instid0(VALU_DEP_2) | instskip(SKIP_1) | instid1(VALU_DEP_3)
	v_lshlrev_b32_e32 v6, 20, v6
	v_lshl_add_u32 v16, v16, 23, 0x3c000000
	v_and_b32_e32 v17, 0x80000000, v17
	s_delay_alu instid0(VALU_DEP_1) | instskip(NEXT) | instid1(VALU_DEP_1)
	v_or3_b32 v6, v6, v17, v16
	v_dual_mov_b32 v17, v7 :: v_dual_mov_b32 v16, v6
.LBB281_1489:                           ;   in Loop: Header=BB281_991 Depth=1
	s_or_b32 exec_lo, exec_lo, s13
.LBB281_1490:                           ;   in Loop: Header=BB281_991 Depth=1
	s_delay_alu instid0(SALU_CYCLE_1)
	s_or_b32 exec_lo, exec_lo, s12
.LBB281_1491:                           ;   in Loop: Header=BB281_991 Depth=1
	s_delay_alu instid0(SALU_CYCLE_1) | instskip(NEXT) | instid1(SALU_CYCLE_1)
	s_or_b32 exec_lo, exec_lo, s10
	s_mov_b32 s12, exec_lo
	v_cmpx_lt_u32_e32 0xffffff, v46
	s_cbranch_execz .LBB281_1499
; %bb.1492:                             ;   in Loop: Header=BB281_991 Depth=1
	v_lshrrev_b32_e32 v47, 24, v46
	v_dual_mov_b32 v19, s9 :: v_dual_mov_b32 v18, s8
	s_mov_b32 s13, exec_lo
	s_delay_alu instid0(VALU_DEP_2)
	v_cmpx_ne_u32_e32 0x80, v47
	s_cbranch_execz .LBB281_1498
; %bb.1493:                             ;   in Loop: Header=BB281_991 Depth=1
	s_mov_b32 s10, s8
	v_bfe_u32 v46, v46, 24, 7
	v_dual_mov_b32 v19, s11 :: v_dual_mov_b32 v18, s10
	s_mov_b32 s10, exec_lo
	s_delay_alu instid0(VALU_DEP_2)
	v_cmpx_ne_u32_e32 0x7f, v46
	s_cbranch_execz .LBB281_1497
; %bb.1494:                             ;   in Loop: Header=BB281_991 Depth=1
	v_and_b32_e32 v6, 7, v47
	v_lshrrev_b32_e32 v18, 3, v46
	s_mov_b32 s15, exec_lo
	v_cmpx_gt_u32_e32 8, v46
; %bb.1495:                             ;   in Loop: Header=BB281_991 Depth=1
	s_delay_alu instid0(VALU_DEP_3) | instskip(NEXT) | instid1(VALU_DEP_1)
	v_clz_i32_u32_e32 v18, v6
	v_min_u32_e32 v18, 32, v18
	s_delay_alu instid0(VALU_DEP_1) | instskip(SKIP_1) | instid1(VALU_DEP_2)
	v_subrev_nc_u32_e32 v19, 28, v18
	v_sub_nc_u32_e32 v18, 29, v18
	v_lshlrev_b64 v[56:57], v19, v[6:7]
	s_delay_alu instid0(VALU_DEP_1)
	v_and_b32_e32 v6, 7, v56
; %bb.1496:                             ;   in Loop: Header=BB281_991 Depth=1
	s_or_b32 exec_lo, exec_lo, s15
	v_lshlrev_b32_e32 v19, 24, v47
	s_delay_alu instid0(VALU_DEP_2) | instskip(SKIP_1) | instid1(VALU_DEP_3)
	v_lshlrev_b32_e32 v6, 20, v6
	v_lshl_add_u32 v18, v18, 23, 0x3c000000
	v_and_b32_e32 v19, 0x80000000, v19
	s_delay_alu instid0(VALU_DEP_1)
	v_or3_b32 v19, v6, v19, v18
	v_mov_b32_e32 v18, v7
.LBB281_1497:                           ;   in Loop: Header=BB281_991 Depth=1
	s_or_b32 exec_lo, exec_lo, s10
.LBB281_1498:                           ;   in Loop: Header=BB281_991 Depth=1
	s_delay_alu instid0(SALU_CYCLE_1)
	s_or_b32 exec_lo, exec_lo, s13
.LBB281_1499:                           ;   in Loop: Header=BB281_991 Depth=1
	s_delay_alu instid0(SALU_CYCLE_1) | instskip(SKIP_4) | instid1(VALU_DEP_4)
	s_or_b32 exec_lo, exec_lo, s12
	v_or_b32_e32 v5, v15, v5
	v_or_b32_e32 v4, v14, v4
	;; [unrolled: 1-line block ×4, first 2 shown]
	v_mul_f32_e32 v57, v82, v5
	s_delay_alu instid0(VALU_DEP_4) | instskip(NEXT) | instid1(VALU_DEP_4)
	v_mul_f32_e32 v56, v70, v4
	v_mul_f32_e32 v46, v82, v6
	s_delay_alu instid0(VALU_DEP_4)
	v_mul_f32_e32 v47, v70, v14
	s_and_saveexec_b32 s10, vcc_lo
; %bb.1500:                             ;   in Loop: Header=BB281_991 Depth=1
	v_cmp_lt_i32_e64 s0, v87, v170
	s_delay_alu instid0(VALU_DEP_1) | instskip(SKIP_1) | instid1(VALU_DEP_1)
	v_cndmask_b32_e64 v56, 0, v56, s0
	v_cmp_lt_i32_e64 s0, v97, v170
	v_cndmask_b32_e64 v57, 0, v57, s0
	v_cmp_lt_i32_e64 s0, v96, v170
	s_delay_alu instid0(VALU_DEP_1) | instskip(SKIP_1) | instid1(VALU_DEP_1)
	v_cndmask_b32_e64 v47, 0, v47, s0
	v_cmp_lt_i32_e64 s0, v80, v170
	v_cndmask_b32_e64 v46, 0, v46, s0
; %bb.1501:                             ;   in Loop: Header=BB281_991 Depth=1
	s_or_b32 exec_lo, exec_lo, s10
	flat_load_b32 v58, v[12:13] offset:1920
	v_mov_b32_e32 v14, 0
	v_mov_b32_e32 v15, 0
	s_mov_b32 s10, exec_lo
	s_waitcnt vmcnt(0) lgkmcnt(0)
	v_and_b32_e32 v6, 0xff, v58
	s_delay_alu instid0(VALU_DEP_2) | instskip(NEXT) | instid1(VALU_DEP_2)
	v_dual_mov_b32 v4, v14 :: v_dual_mov_b32 v5, v15
	v_cmpx_ne_u16_e32 0, v6
	s_cbranch_execz .LBB281_1509
; %bb.1502:                             ;   in Loop: Header=BB281_991 Depth=1
	v_bfrev_b32_e32 v4, 1
	v_mov_b32_e32 v5, 0
	s_mov_b32 s12, exec_lo
	v_cmpx_ne_u16_e32 0x80, v6
	s_cbranch_execz .LBB281_1508
; %bb.1503:                             ;   in Loop: Header=BB281_991 Depth=1
	v_mov_b32_e32 v4, 0x7f800001
	v_dual_mov_b32 v5, 0 :: v_dual_and_b32 v16, 0x7f, v58
	s_mov_b32 s13, exec_lo
	s_delay_alu instid0(VALU_DEP_1)
	v_cmpx_ne_u32_e32 0x7f, v16
	s_cbranch_execz .LBB281_1507
; %bb.1504:                             ;   in Loop: Header=BB281_991 Depth=1
	v_and_b32_e32 v6, 7, v58
	v_lshrrev_b32_e32 v4, 3, v16
	s_mov_b32 s15, exec_lo
	v_cmpx_gt_u32_e32 8, v16
; %bb.1505:                             ;   in Loop: Header=BB281_991 Depth=1
	s_delay_alu instid0(VALU_DEP_3) | instskip(NEXT) | instid1(VALU_DEP_1)
	v_clz_i32_u32_e32 v4, v6
	v_min_u32_e32 v4, 32, v4
	s_delay_alu instid0(VALU_DEP_1) | instskip(SKIP_1) | instid1(VALU_DEP_2)
	v_subrev_nc_u32_e32 v5, 28, v4
	v_sub_nc_u32_e32 v4, 29, v4
	v_lshlrev_b64 v[5:6], v5, v[6:7]
	s_delay_alu instid0(VALU_DEP_1)
	v_and_b32_e32 v6, 7, v5
; %bb.1506:                             ;   in Loop: Header=BB281_991 Depth=1
	s_or_b32 exec_lo, exec_lo, s15
	v_lshlrev_b32_e32 v5, 24, v58
	s_delay_alu instid0(VALU_DEP_2) | instskip(SKIP_1) | instid1(VALU_DEP_3)
	v_lshlrev_b32_e32 v6, 20, v6
	v_lshl_add_u32 v4, v4, 23, 0x3c000000
	v_and_b32_e32 v5, 0x80000000, v5
	s_delay_alu instid0(VALU_DEP_1) | instskip(NEXT) | instid1(VALU_DEP_1)
	v_or3_b32 v6, v6, v5, v4
	v_dual_mov_b32 v4, v6 :: v_dual_mov_b32 v5, v7
.LBB281_1507:                           ;   in Loop: Header=BB281_991 Depth=1
	s_or_b32 exec_lo, exec_lo, s13
.LBB281_1508:                           ;   in Loop: Header=BB281_991 Depth=1
	s_delay_alu instid0(SALU_CYCLE_1)
	s_or_b32 exec_lo, exec_lo, s12
.LBB281_1509:                           ;   in Loop: Header=BB281_991 Depth=1
	s_delay_alu instid0(SALU_CYCLE_1) | instskip(SKIP_2) | instid1(VALU_DEP_1)
	s_or_b32 exec_lo, exec_lo, s10
	v_lshrrev_b16 v6, 8, v58
	s_mov_b32 s12, exec_lo
	v_cmpx_ne_u16_e32 0, v6
	s_cbranch_execz .LBB281_1517
; %bb.1510:                             ;   in Loop: Header=BB281_991 Depth=1
	v_dual_mov_b32 v15, s9 :: v_dual_mov_b32 v14, s8
	s_mov_b32 s13, exec_lo
	v_cmpx_ne_u16_e32 0x80, v6
	s_cbranch_execz .LBB281_1516
; %bb.1511:                             ;   in Loop: Header=BB281_991 Depth=1
	s_mov_b32 s10, s8
	v_dual_mov_b32 v15, s11 :: v_dual_and_b32 v6, 0xffff, v6
	v_mov_b32_e32 v14, s10
	s_mov_b32 s10, exec_lo
	s_delay_alu instid0(VALU_DEP_2) | instskip(NEXT) | instid1(VALU_DEP_1)
	v_and_b32_e32 v16, 0x7f, v6
	v_cmpx_ne_u32_e32 0x7f, v16
	s_cbranch_execz .LBB281_1515
; %bb.1512:                             ;   in Loop: Header=BB281_991 Depth=1
	v_and_b32_e32 v6, 7, v6
	v_lshrrev_b32_e32 v14, 3, v16
	s_mov_b32 s15, exec_lo
	v_cmpx_gt_u32_e32 8, v16
; %bb.1513:                             ;   in Loop: Header=BB281_991 Depth=1
	s_delay_alu instid0(VALU_DEP_3) | instskip(NEXT) | instid1(VALU_DEP_1)
	v_clz_i32_u32_e32 v14, v6
	v_min_u32_e32 v14, 32, v14
	s_delay_alu instid0(VALU_DEP_1) | instskip(SKIP_1) | instid1(VALU_DEP_2)
	v_subrev_nc_u32_e32 v15, 28, v14
	v_sub_nc_u32_e32 v14, 29, v14
	v_lshlrev_b64 v[15:16], v15, v[6:7]
	s_delay_alu instid0(VALU_DEP_1)
	v_and_b32_e32 v6, 7, v15
; %bb.1514:                             ;   in Loop: Header=BB281_991 Depth=1
	s_or_b32 exec_lo, exec_lo, s15
	v_lshlrev_b32_e32 v15, 16, v58
	s_delay_alu instid0(VALU_DEP_2) | instskip(SKIP_1) | instid1(VALU_DEP_3)
	v_lshlrev_b32_e32 v6, 20, v6
	v_lshl_add_u32 v14, v14, 23, 0x3c000000
	v_and_b32_e32 v15, 0x80000000, v15
	s_delay_alu instid0(VALU_DEP_1)
	v_or3_b32 v15, v6, v15, v14
	v_mov_b32_e32 v14, v7
.LBB281_1515:                           ;   in Loop: Header=BB281_991 Depth=1
	s_or_b32 exec_lo, exec_lo, s10
.LBB281_1516:                           ;   in Loop: Header=BB281_991 Depth=1
	s_delay_alu instid0(SALU_CYCLE_1)
	s_or_b32 exec_lo, exec_lo, s13
.LBB281_1517:                           ;   in Loop: Header=BB281_991 Depth=1
	s_delay_alu instid0(SALU_CYCLE_1) | instskip(SKIP_4) | instid1(VALU_DEP_2)
	s_or_b32 exec_lo, exec_lo, s12
	v_mov_b32_e32 v18, 0
	v_lshrrev_b32_e32 v59, 16, v58
	v_mov_b32_e32 v19, 0
	s_mov_b32 s10, exec_lo
	v_and_b32_e32 v6, 0xff, v59
	s_delay_alu instid0(VALU_DEP_2) | instskip(NEXT) | instid1(VALU_DEP_2)
	v_dual_mov_b32 v16, v18 :: v_dual_mov_b32 v17, v19
	v_cmpx_ne_u16_e32 0, v6
	s_cbranch_execz .LBB281_1525
; %bb.1518:                             ;   in Loop: Header=BB281_991 Depth=1
	v_bfrev_b32_e32 v16, 1
	v_mov_b32_e32 v17, 0
	s_mov_b32 s12, exec_lo
	v_cmpx_ne_u16_e32 0x80, v6
	s_cbranch_execz .LBB281_1524
; %bb.1519:                             ;   in Loop: Header=BB281_991 Depth=1
	v_mov_b32_e32 v16, 0x7f800001
	v_bfe_u32 v60, v58, 16, 7
	v_mov_b32_e32 v17, 0
	s_mov_b32 s13, exec_lo
	s_delay_alu instid0(VALU_DEP_2)
	v_cmpx_ne_u32_e32 0x7f, v60
	s_cbranch_execz .LBB281_1523
; %bb.1520:                             ;   in Loop: Header=BB281_991 Depth=1
	v_and_b32_e32 v6, 7, v59
	v_lshrrev_b32_e32 v16, 3, v60
	s_mov_b32 s15, exec_lo
	v_cmpx_gt_u32_e32 8, v60
; %bb.1521:                             ;   in Loop: Header=BB281_991 Depth=1
	s_delay_alu instid0(VALU_DEP_3) | instskip(NEXT) | instid1(VALU_DEP_1)
	v_clz_i32_u32_e32 v16, v6
	v_min_u32_e32 v16, 32, v16
	s_delay_alu instid0(VALU_DEP_1) | instskip(SKIP_1) | instid1(VALU_DEP_2)
	v_subrev_nc_u32_e32 v17, 28, v16
	v_sub_nc_u32_e32 v16, 29, v16
	v_lshlrev_b64 v[60:61], v17, v[6:7]
	s_delay_alu instid0(VALU_DEP_1)
	v_and_b32_e32 v6, 7, v60
; %bb.1522:                             ;   in Loop: Header=BB281_991 Depth=1
	s_or_b32 exec_lo, exec_lo, s15
	v_lshlrev_b32_e32 v17, 24, v59
	s_delay_alu instid0(VALU_DEP_2) | instskip(SKIP_1) | instid1(VALU_DEP_3)
	v_lshlrev_b32_e32 v6, 20, v6
	v_lshl_add_u32 v16, v16, 23, 0x3c000000
	v_and_b32_e32 v17, 0x80000000, v17
	s_delay_alu instid0(VALU_DEP_1) | instskip(NEXT) | instid1(VALU_DEP_1)
	v_or3_b32 v6, v6, v17, v16
	v_dual_mov_b32 v17, v7 :: v_dual_mov_b32 v16, v6
.LBB281_1523:                           ;   in Loop: Header=BB281_991 Depth=1
	s_or_b32 exec_lo, exec_lo, s13
.LBB281_1524:                           ;   in Loop: Header=BB281_991 Depth=1
	s_delay_alu instid0(SALU_CYCLE_1)
	s_or_b32 exec_lo, exec_lo, s12
.LBB281_1525:                           ;   in Loop: Header=BB281_991 Depth=1
	s_delay_alu instid0(SALU_CYCLE_1) | instskip(NEXT) | instid1(SALU_CYCLE_1)
	s_or_b32 exec_lo, exec_lo, s10
	s_mov_b32 s12, exec_lo
	v_cmpx_lt_u32_e32 0xffffff, v58
	s_cbranch_execz .LBB281_1533
; %bb.1526:                             ;   in Loop: Header=BB281_991 Depth=1
	v_lshrrev_b32_e32 v59, 24, v58
	v_dual_mov_b32 v19, s9 :: v_dual_mov_b32 v18, s8
	s_mov_b32 s13, exec_lo
	s_delay_alu instid0(VALU_DEP_2)
	v_cmpx_ne_u32_e32 0x80, v59
	s_cbranch_execz .LBB281_1532
; %bb.1527:                             ;   in Loop: Header=BB281_991 Depth=1
	s_mov_b32 s10, s8
	v_bfe_u32 v58, v58, 24, 7
	v_dual_mov_b32 v19, s11 :: v_dual_mov_b32 v18, s10
	s_mov_b32 s10, exec_lo
	s_delay_alu instid0(VALU_DEP_2)
	v_cmpx_ne_u32_e32 0x7f, v58
	s_cbranch_execz .LBB281_1531
; %bb.1528:                             ;   in Loop: Header=BB281_991 Depth=1
	v_and_b32_e32 v6, 7, v59
	v_lshrrev_b32_e32 v18, 3, v58
	s_mov_b32 s15, exec_lo
	v_cmpx_gt_u32_e32 8, v58
; %bb.1529:                             ;   in Loop: Header=BB281_991 Depth=1
	s_delay_alu instid0(VALU_DEP_3) | instskip(NEXT) | instid1(VALU_DEP_1)
	v_clz_i32_u32_e32 v18, v6
	v_min_u32_e32 v18, 32, v18
	s_delay_alu instid0(VALU_DEP_1) | instskip(SKIP_1) | instid1(VALU_DEP_2)
	v_subrev_nc_u32_e32 v19, 28, v18
	v_sub_nc_u32_e32 v18, 29, v18
	v_lshlrev_b64 v[60:61], v19, v[6:7]
	s_delay_alu instid0(VALU_DEP_1)
	v_and_b32_e32 v6, 7, v60
; %bb.1530:                             ;   in Loop: Header=BB281_991 Depth=1
	s_or_b32 exec_lo, exec_lo, s15
	v_lshlrev_b32_e32 v19, 24, v59
	s_delay_alu instid0(VALU_DEP_2) | instskip(SKIP_1) | instid1(VALU_DEP_3)
	v_lshlrev_b32_e32 v6, 20, v6
	v_lshl_add_u32 v18, v18, 23, 0x3c000000
	v_and_b32_e32 v19, 0x80000000, v19
	s_delay_alu instid0(VALU_DEP_1)
	v_or3_b32 v19, v6, v19, v18
	v_mov_b32_e32 v18, v7
.LBB281_1531:                           ;   in Loop: Header=BB281_991 Depth=1
	s_or_b32 exec_lo, exec_lo, s10
.LBB281_1532:                           ;   in Loop: Header=BB281_991 Depth=1
	s_delay_alu instid0(SALU_CYCLE_1)
	s_or_b32 exec_lo, exec_lo, s13
.LBB281_1533:                           ;   in Loop: Header=BB281_991 Depth=1
	s_delay_alu instid0(SALU_CYCLE_1) | instskip(SKIP_4) | instid1(VALU_DEP_4)
	s_or_b32 exec_lo, exec_lo, s12
	v_or_b32_e32 v5, v15, v5
	v_or_b32_e32 v4, v14, v4
	;; [unrolled: 1-line block ×4, first 2 shown]
	v_mul_f32_e32 v61, v82, v5
	s_delay_alu instid0(VALU_DEP_4) | instskip(NEXT) | instid1(VALU_DEP_4)
	v_mul_f32_e32 v60, v70, v4
	v_mul_f32_e32 v58, v82, v6
	s_delay_alu instid0(VALU_DEP_4)
	v_mul_f32_e32 v59, v70, v14
	s_and_saveexec_b32 s10, vcc_lo
; %bb.1534:                             ;   in Loop: Header=BB281_991 Depth=1
	v_cmp_lt_i32_e64 s0, v87, v170
	s_delay_alu instid0(VALU_DEP_1) | instskip(SKIP_1) | instid1(VALU_DEP_1)
	v_cndmask_b32_e64 v60, 0, v60, s0
	v_cmp_lt_i32_e64 s0, v97, v170
	v_cndmask_b32_e64 v61, 0, v61, s0
	v_cmp_lt_i32_e64 s0, v96, v170
	s_delay_alu instid0(VALU_DEP_1) | instskip(SKIP_1) | instid1(VALU_DEP_1)
	v_cndmask_b32_e64 v59, 0, v59, s0
	v_cmp_lt_i32_e64 s0, v80, v170
	v_cndmask_b32_e64 v58, 0, v58, s0
; %bb.1535:                             ;   in Loop: Header=BB281_991 Depth=1
	s_or_b32 exec_lo, exec_lo, s10
	flat_load_b32 v62, v[12:13] offset:2048
	v_mov_b32_e32 v14, 0
	v_mov_b32_e32 v15, 0
	s_mov_b32 s10, exec_lo
	s_waitcnt vmcnt(0) lgkmcnt(0)
	v_and_b32_e32 v6, 0xff, v62
	s_delay_alu instid0(VALU_DEP_2) | instskip(NEXT) | instid1(VALU_DEP_2)
	v_dual_mov_b32 v4, v14 :: v_dual_mov_b32 v5, v15
	v_cmpx_ne_u16_e32 0, v6
	s_cbranch_execz .LBB281_1543
; %bb.1536:                             ;   in Loop: Header=BB281_991 Depth=1
	v_bfrev_b32_e32 v4, 1
	v_mov_b32_e32 v5, 0
	s_mov_b32 s12, exec_lo
	v_cmpx_ne_u16_e32 0x80, v6
	s_cbranch_execz .LBB281_1542
; %bb.1537:                             ;   in Loop: Header=BB281_991 Depth=1
	v_mov_b32_e32 v4, 0x7f800001
	v_dual_mov_b32 v5, 0 :: v_dual_and_b32 v16, 0x7f, v62
	s_mov_b32 s13, exec_lo
	s_delay_alu instid0(VALU_DEP_1)
	v_cmpx_ne_u32_e32 0x7f, v16
	s_cbranch_execz .LBB281_1541
; %bb.1538:                             ;   in Loop: Header=BB281_991 Depth=1
	v_and_b32_e32 v6, 7, v62
	v_lshrrev_b32_e32 v4, 3, v16
	s_mov_b32 s15, exec_lo
	v_cmpx_gt_u32_e32 8, v16
; %bb.1539:                             ;   in Loop: Header=BB281_991 Depth=1
	s_delay_alu instid0(VALU_DEP_3) | instskip(NEXT) | instid1(VALU_DEP_1)
	v_clz_i32_u32_e32 v4, v6
	v_min_u32_e32 v4, 32, v4
	s_delay_alu instid0(VALU_DEP_1) | instskip(SKIP_1) | instid1(VALU_DEP_2)
	v_subrev_nc_u32_e32 v5, 28, v4
	v_sub_nc_u32_e32 v4, 29, v4
	v_lshlrev_b64 v[5:6], v5, v[6:7]
	s_delay_alu instid0(VALU_DEP_1)
	v_and_b32_e32 v6, 7, v5
; %bb.1540:                             ;   in Loop: Header=BB281_991 Depth=1
	s_or_b32 exec_lo, exec_lo, s15
	v_lshlrev_b32_e32 v5, 24, v62
	s_delay_alu instid0(VALU_DEP_2) | instskip(SKIP_1) | instid1(VALU_DEP_3)
	v_lshlrev_b32_e32 v6, 20, v6
	v_lshl_add_u32 v4, v4, 23, 0x3c000000
	v_and_b32_e32 v5, 0x80000000, v5
	s_delay_alu instid0(VALU_DEP_1) | instskip(NEXT) | instid1(VALU_DEP_1)
	v_or3_b32 v6, v6, v5, v4
	v_dual_mov_b32 v4, v6 :: v_dual_mov_b32 v5, v7
.LBB281_1541:                           ;   in Loop: Header=BB281_991 Depth=1
	s_or_b32 exec_lo, exec_lo, s13
.LBB281_1542:                           ;   in Loop: Header=BB281_991 Depth=1
	s_delay_alu instid0(SALU_CYCLE_1)
	s_or_b32 exec_lo, exec_lo, s12
.LBB281_1543:                           ;   in Loop: Header=BB281_991 Depth=1
	s_delay_alu instid0(SALU_CYCLE_1) | instskip(SKIP_2) | instid1(VALU_DEP_1)
	s_or_b32 exec_lo, exec_lo, s10
	v_lshrrev_b16 v6, 8, v62
	s_mov_b32 s12, exec_lo
	v_cmpx_ne_u16_e32 0, v6
	s_cbranch_execz .LBB281_1551
; %bb.1544:                             ;   in Loop: Header=BB281_991 Depth=1
	v_dual_mov_b32 v15, s9 :: v_dual_mov_b32 v14, s8
	s_mov_b32 s13, exec_lo
	v_cmpx_ne_u16_e32 0x80, v6
	s_cbranch_execz .LBB281_1550
; %bb.1545:                             ;   in Loop: Header=BB281_991 Depth=1
	s_mov_b32 s10, s8
	v_dual_mov_b32 v15, s11 :: v_dual_and_b32 v6, 0xffff, v6
	v_mov_b32_e32 v14, s10
	s_mov_b32 s10, exec_lo
	s_delay_alu instid0(VALU_DEP_2) | instskip(NEXT) | instid1(VALU_DEP_1)
	v_and_b32_e32 v16, 0x7f, v6
	v_cmpx_ne_u32_e32 0x7f, v16
	s_cbranch_execz .LBB281_1549
; %bb.1546:                             ;   in Loop: Header=BB281_991 Depth=1
	v_and_b32_e32 v6, 7, v6
	v_lshrrev_b32_e32 v14, 3, v16
	s_mov_b32 s15, exec_lo
	v_cmpx_gt_u32_e32 8, v16
; %bb.1547:                             ;   in Loop: Header=BB281_991 Depth=1
	s_delay_alu instid0(VALU_DEP_3) | instskip(NEXT) | instid1(VALU_DEP_1)
	v_clz_i32_u32_e32 v14, v6
	v_min_u32_e32 v14, 32, v14
	s_delay_alu instid0(VALU_DEP_1) | instskip(SKIP_1) | instid1(VALU_DEP_2)
	v_subrev_nc_u32_e32 v15, 28, v14
	v_sub_nc_u32_e32 v14, 29, v14
	v_lshlrev_b64 v[15:16], v15, v[6:7]
	s_delay_alu instid0(VALU_DEP_1)
	v_and_b32_e32 v6, 7, v15
; %bb.1548:                             ;   in Loop: Header=BB281_991 Depth=1
	s_or_b32 exec_lo, exec_lo, s15
	v_lshlrev_b32_e32 v15, 16, v62
	s_delay_alu instid0(VALU_DEP_2) | instskip(SKIP_1) | instid1(VALU_DEP_3)
	v_lshlrev_b32_e32 v6, 20, v6
	v_lshl_add_u32 v14, v14, 23, 0x3c000000
	v_and_b32_e32 v15, 0x80000000, v15
	s_delay_alu instid0(VALU_DEP_1)
	v_or3_b32 v15, v6, v15, v14
	v_mov_b32_e32 v14, v7
.LBB281_1549:                           ;   in Loop: Header=BB281_991 Depth=1
	s_or_b32 exec_lo, exec_lo, s10
.LBB281_1550:                           ;   in Loop: Header=BB281_991 Depth=1
	s_delay_alu instid0(SALU_CYCLE_1)
	s_or_b32 exec_lo, exec_lo, s13
.LBB281_1551:                           ;   in Loop: Header=BB281_991 Depth=1
	s_delay_alu instid0(SALU_CYCLE_1) | instskip(SKIP_4) | instid1(VALU_DEP_2)
	s_or_b32 exec_lo, exec_lo, s12
	v_mov_b32_e32 v18, 0
	v_lshrrev_b32_e32 v63, 16, v62
	v_mov_b32_e32 v19, 0
	s_mov_b32 s10, exec_lo
	v_and_b32_e32 v6, 0xff, v63
	s_delay_alu instid0(VALU_DEP_2) | instskip(NEXT) | instid1(VALU_DEP_2)
	v_dual_mov_b32 v16, v18 :: v_dual_mov_b32 v17, v19
	v_cmpx_ne_u16_e32 0, v6
	s_cbranch_execz .LBB281_1559
; %bb.1552:                             ;   in Loop: Header=BB281_991 Depth=1
	v_bfrev_b32_e32 v16, 1
	v_mov_b32_e32 v17, 0
	s_mov_b32 s12, exec_lo
	v_cmpx_ne_u16_e32 0x80, v6
	s_cbranch_execz .LBB281_1558
; %bb.1553:                             ;   in Loop: Header=BB281_991 Depth=1
	v_mov_b32_e32 v16, 0x7f800001
	v_bfe_u32 v72, v62, 16, 7
	v_mov_b32_e32 v17, 0
	s_mov_b32 s13, exec_lo
	s_delay_alu instid0(VALU_DEP_2)
	v_cmpx_ne_u32_e32 0x7f, v72
	s_cbranch_execz .LBB281_1557
; %bb.1554:                             ;   in Loop: Header=BB281_991 Depth=1
	v_and_b32_e32 v6, 7, v63
	v_lshrrev_b32_e32 v16, 3, v72
	s_mov_b32 s15, exec_lo
	v_cmpx_gt_u32_e32 8, v72
; %bb.1555:                             ;   in Loop: Header=BB281_991 Depth=1
	s_delay_alu instid0(VALU_DEP_3) | instskip(NEXT) | instid1(VALU_DEP_1)
	v_clz_i32_u32_e32 v16, v6
	v_min_u32_e32 v16, 32, v16
	s_delay_alu instid0(VALU_DEP_1) | instskip(SKIP_1) | instid1(VALU_DEP_2)
	v_subrev_nc_u32_e32 v17, 28, v16
	v_sub_nc_u32_e32 v16, 29, v16
	v_lshlrev_b64 v[72:73], v17, v[6:7]
	s_delay_alu instid0(VALU_DEP_1)
	v_and_b32_e32 v6, 7, v72
; %bb.1556:                             ;   in Loop: Header=BB281_991 Depth=1
	s_or_b32 exec_lo, exec_lo, s15
	v_lshlrev_b32_e32 v17, 24, v63
	s_delay_alu instid0(VALU_DEP_2) | instskip(SKIP_1) | instid1(VALU_DEP_3)
	v_lshlrev_b32_e32 v6, 20, v6
	v_lshl_add_u32 v16, v16, 23, 0x3c000000
	v_and_b32_e32 v17, 0x80000000, v17
	s_delay_alu instid0(VALU_DEP_1) | instskip(NEXT) | instid1(VALU_DEP_1)
	v_or3_b32 v6, v6, v17, v16
	v_dual_mov_b32 v17, v7 :: v_dual_mov_b32 v16, v6
.LBB281_1557:                           ;   in Loop: Header=BB281_991 Depth=1
	s_or_b32 exec_lo, exec_lo, s13
.LBB281_1558:                           ;   in Loop: Header=BB281_991 Depth=1
	s_delay_alu instid0(SALU_CYCLE_1)
	s_or_b32 exec_lo, exec_lo, s12
.LBB281_1559:                           ;   in Loop: Header=BB281_991 Depth=1
	s_delay_alu instid0(SALU_CYCLE_1) | instskip(NEXT) | instid1(SALU_CYCLE_1)
	s_or_b32 exec_lo, exec_lo, s10
	s_mov_b32 s12, exec_lo
	v_cmpx_lt_u32_e32 0xffffff, v62
	s_cbranch_execz .LBB281_1567
; %bb.1560:                             ;   in Loop: Header=BB281_991 Depth=1
	v_lshrrev_b32_e32 v63, 24, v62
	v_dual_mov_b32 v19, s9 :: v_dual_mov_b32 v18, s8
	s_mov_b32 s13, exec_lo
	s_delay_alu instid0(VALU_DEP_2)
	v_cmpx_ne_u32_e32 0x80, v63
	s_cbranch_execz .LBB281_1566
; %bb.1561:                             ;   in Loop: Header=BB281_991 Depth=1
	s_mov_b32 s10, s8
	v_bfe_u32 v62, v62, 24, 7
	v_dual_mov_b32 v19, s11 :: v_dual_mov_b32 v18, s10
	s_mov_b32 s10, exec_lo
	s_delay_alu instid0(VALU_DEP_2)
	v_cmpx_ne_u32_e32 0x7f, v62
	s_cbranch_execz .LBB281_1565
; %bb.1562:                             ;   in Loop: Header=BB281_991 Depth=1
	v_and_b32_e32 v6, 7, v63
	v_lshrrev_b32_e32 v18, 3, v62
	s_mov_b32 s15, exec_lo
	v_cmpx_gt_u32_e32 8, v62
; %bb.1563:                             ;   in Loop: Header=BB281_991 Depth=1
	s_delay_alu instid0(VALU_DEP_3) | instskip(NEXT) | instid1(VALU_DEP_1)
	v_clz_i32_u32_e32 v18, v6
	v_min_u32_e32 v18, 32, v18
	s_delay_alu instid0(VALU_DEP_1) | instskip(SKIP_1) | instid1(VALU_DEP_2)
	v_subrev_nc_u32_e32 v19, 28, v18
	v_sub_nc_u32_e32 v18, 29, v18
	v_lshlrev_b64 v[72:73], v19, v[6:7]
	s_delay_alu instid0(VALU_DEP_1)
	v_and_b32_e32 v6, 7, v72
; %bb.1564:                             ;   in Loop: Header=BB281_991 Depth=1
	s_or_b32 exec_lo, exec_lo, s15
	v_lshlrev_b32_e32 v19, 24, v63
	s_delay_alu instid0(VALU_DEP_2) | instskip(SKIP_1) | instid1(VALU_DEP_3)
	v_lshlrev_b32_e32 v6, 20, v6
	v_lshl_add_u32 v18, v18, 23, 0x3c000000
	v_and_b32_e32 v19, 0x80000000, v19
	s_delay_alu instid0(VALU_DEP_1)
	v_or3_b32 v19, v6, v19, v18
	v_mov_b32_e32 v18, v7
.LBB281_1565:                           ;   in Loop: Header=BB281_991 Depth=1
	s_or_b32 exec_lo, exec_lo, s10
.LBB281_1566:                           ;   in Loop: Header=BB281_991 Depth=1
	s_delay_alu instid0(SALU_CYCLE_1)
	s_or_b32 exec_lo, exec_lo, s13
.LBB281_1567:                           ;   in Loop: Header=BB281_991 Depth=1
	s_delay_alu instid0(SALU_CYCLE_1) | instskip(SKIP_4) | instid1(VALU_DEP_4)
	s_or_b32 exec_lo, exec_lo, s12
	v_or_b32_e32 v5, v15, v5
	v_or_b32_e32 v4, v14, v4
	;; [unrolled: 1-line block ×4, first 2 shown]
	v_mul_f32_e32 v73, v82, v5
	s_delay_alu instid0(VALU_DEP_4) | instskip(NEXT) | instid1(VALU_DEP_4)
	v_mul_f32_e32 v72, v70, v4
	v_mul_f32_e32 v62, v82, v6
	s_delay_alu instid0(VALU_DEP_4)
	v_mul_f32_e32 v63, v70, v14
	s_and_saveexec_b32 s10, vcc_lo
; %bb.1568:                             ;   in Loop: Header=BB281_991 Depth=1
	v_cmp_lt_i32_e64 s0, v87, v170
	s_delay_alu instid0(VALU_DEP_1) | instskip(SKIP_1) | instid1(VALU_DEP_1)
	v_cndmask_b32_e64 v72, 0, v72, s0
	v_cmp_lt_i32_e64 s0, v97, v170
	v_cndmask_b32_e64 v73, 0, v73, s0
	v_cmp_lt_i32_e64 s0, v96, v170
	s_delay_alu instid0(VALU_DEP_1) | instskip(SKIP_1) | instid1(VALU_DEP_1)
	v_cndmask_b32_e64 v63, 0, v63, s0
	v_cmp_lt_i32_e64 s0, v80, v170
	v_cndmask_b32_e64 v62, 0, v62, s0
; %bb.1569:                             ;   in Loop: Header=BB281_991 Depth=1
	s_or_b32 exec_lo, exec_lo, s10
	flat_load_b32 v74, v[12:13] offset:2176
	v_mov_b32_e32 v14, 0
	v_mov_b32_e32 v15, 0
	s_mov_b32 s10, exec_lo
	s_waitcnt vmcnt(0) lgkmcnt(0)
	v_and_b32_e32 v6, 0xff, v74
	s_delay_alu instid0(VALU_DEP_2) | instskip(NEXT) | instid1(VALU_DEP_2)
	v_dual_mov_b32 v4, v14 :: v_dual_mov_b32 v5, v15
	v_cmpx_ne_u16_e32 0, v6
	s_cbranch_execz .LBB281_1577
; %bb.1570:                             ;   in Loop: Header=BB281_991 Depth=1
	v_bfrev_b32_e32 v4, 1
	v_mov_b32_e32 v5, 0
	s_mov_b32 s12, exec_lo
	v_cmpx_ne_u16_e32 0x80, v6
	s_cbranch_execz .LBB281_1576
; %bb.1571:                             ;   in Loop: Header=BB281_991 Depth=1
	v_mov_b32_e32 v4, 0x7f800001
	v_dual_mov_b32 v5, 0 :: v_dual_and_b32 v16, 0x7f, v74
	s_mov_b32 s13, exec_lo
	s_delay_alu instid0(VALU_DEP_1)
	v_cmpx_ne_u32_e32 0x7f, v16
	s_cbranch_execz .LBB281_1575
; %bb.1572:                             ;   in Loop: Header=BB281_991 Depth=1
	v_and_b32_e32 v6, 7, v74
	v_lshrrev_b32_e32 v4, 3, v16
	s_mov_b32 s15, exec_lo
	v_cmpx_gt_u32_e32 8, v16
; %bb.1573:                             ;   in Loop: Header=BB281_991 Depth=1
	s_delay_alu instid0(VALU_DEP_3) | instskip(NEXT) | instid1(VALU_DEP_1)
	v_clz_i32_u32_e32 v4, v6
	v_min_u32_e32 v4, 32, v4
	s_delay_alu instid0(VALU_DEP_1) | instskip(SKIP_1) | instid1(VALU_DEP_2)
	v_subrev_nc_u32_e32 v5, 28, v4
	v_sub_nc_u32_e32 v4, 29, v4
	v_lshlrev_b64 v[5:6], v5, v[6:7]
	s_delay_alu instid0(VALU_DEP_1)
	v_and_b32_e32 v6, 7, v5
; %bb.1574:                             ;   in Loop: Header=BB281_991 Depth=1
	s_or_b32 exec_lo, exec_lo, s15
	v_lshlrev_b32_e32 v5, 24, v74
	s_delay_alu instid0(VALU_DEP_2) | instskip(SKIP_1) | instid1(VALU_DEP_3)
	v_lshlrev_b32_e32 v6, 20, v6
	v_lshl_add_u32 v4, v4, 23, 0x3c000000
	v_and_b32_e32 v5, 0x80000000, v5
	s_delay_alu instid0(VALU_DEP_1) | instskip(NEXT) | instid1(VALU_DEP_1)
	v_or3_b32 v6, v6, v5, v4
	v_dual_mov_b32 v4, v6 :: v_dual_mov_b32 v5, v7
.LBB281_1575:                           ;   in Loop: Header=BB281_991 Depth=1
	s_or_b32 exec_lo, exec_lo, s13
.LBB281_1576:                           ;   in Loop: Header=BB281_991 Depth=1
	s_delay_alu instid0(SALU_CYCLE_1)
	s_or_b32 exec_lo, exec_lo, s12
.LBB281_1577:                           ;   in Loop: Header=BB281_991 Depth=1
	s_delay_alu instid0(SALU_CYCLE_1) | instskip(SKIP_2) | instid1(VALU_DEP_1)
	s_or_b32 exec_lo, exec_lo, s10
	v_lshrrev_b16 v6, 8, v74
	s_mov_b32 s12, exec_lo
	v_cmpx_ne_u16_e32 0, v6
	s_cbranch_execz .LBB281_1585
; %bb.1578:                             ;   in Loop: Header=BB281_991 Depth=1
	v_dual_mov_b32 v15, s9 :: v_dual_mov_b32 v14, s8
	s_mov_b32 s13, exec_lo
	v_cmpx_ne_u16_e32 0x80, v6
	s_cbranch_execz .LBB281_1584
; %bb.1579:                             ;   in Loop: Header=BB281_991 Depth=1
	s_mov_b32 s10, s8
	v_dual_mov_b32 v15, s11 :: v_dual_and_b32 v6, 0xffff, v6
	v_mov_b32_e32 v14, s10
	s_mov_b32 s10, exec_lo
	s_delay_alu instid0(VALU_DEP_2) | instskip(NEXT) | instid1(VALU_DEP_1)
	v_and_b32_e32 v16, 0x7f, v6
	v_cmpx_ne_u32_e32 0x7f, v16
	s_cbranch_execz .LBB281_1583
; %bb.1580:                             ;   in Loop: Header=BB281_991 Depth=1
	v_and_b32_e32 v6, 7, v6
	v_lshrrev_b32_e32 v14, 3, v16
	s_mov_b32 s15, exec_lo
	v_cmpx_gt_u32_e32 8, v16
; %bb.1581:                             ;   in Loop: Header=BB281_991 Depth=1
	s_delay_alu instid0(VALU_DEP_3) | instskip(NEXT) | instid1(VALU_DEP_1)
	v_clz_i32_u32_e32 v14, v6
	v_min_u32_e32 v14, 32, v14
	s_delay_alu instid0(VALU_DEP_1) | instskip(SKIP_1) | instid1(VALU_DEP_2)
	v_subrev_nc_u32_e32 v15, 28, v14
	v_sub_nc_u32_e32 v14, 29, v14
	v_lshlrev_b64 v[15:16], v15, v[6:7]
	s_delay_alu instid0(VALU_DEP_1)
	v_and_b32_e32 v6, 7, v15
; %bb.1582:                             ;   in Loop: Header=BB281_991 Depth=1
	s_or_b32 exec_lo, exec_lo, s15
	v_lshlrev_b32_e32 v15, 16, v74
	s_delay_alu instid0(VALU_DEP_2) | instskip(SKIP_1) | instid1(VALU_DEP_3)
	v_lshlrev_b32_e32 v6, 20, v6
	v_lshl_add_u32 v14, v14, 23, 0x3c000000
	v_and_b32_e32 v15, 0x80000000, v15
	s_delay_alu instid0(VALU_DEP_1)
	v_or3_b32 v15, v6, v15, v14
	v_mov_b32_e32 v14, v7
.LBB281_1583:                           ;   in Loop: Header=BB281_991 Depth=1
	s_or_b32 exec_lo, exec_lo, s10
.LBB281_1584:                           ;   in Loop: Header=BB281_991 Depth=1
	s_delay_alu instid0(SALU_CYCLE_1)
	s_or_b32 exec_lo, exec_lo, s13
.LBB281_1585:                           ;   in Loop: Header=BB281_991 Depth=1
	s_delay_alu instid0(SALU_CYCLE_1) | instskip(SKIP_4) | instid1(VALU_DEP_2)
	s_or_b32 exec_lo, exec_lo, s12
	v_mov_b32_e32 v18, 0
	v_lshrrev_b32_e32 v75, 16, v74
	v_mov_b32_e32 v19, 0
	s_mov_b32 s10, exec_lo
	v_and_b32_e32 v6, 0xff, v75
	s_delay_alu instid0(VALU_DEP_2) | instskip(NEXT) | instid1(VALU_DEP_2)
	v_dual_mov_b32 v16, v18 :: v_dual_mov_b32 v17, v19
	v_cmpx_ne_u16_e32 0, v6
	s_cbranch_execz .LBB281_1593
; %bb.1586:                             ;   in Loop: Header=BB281_991 Depth=1
	v_bfrev_b32_e32 v16, 1
	v_mov_b32_e32 v17, 0
	s_mov_b32 s12, exec_lo
	v_cmpx_ne_u16_e32 0x80, v6
	s_cbranch_execz .LBB281_1592
; %bb.1587:                             ;   in Loop: Header=BB281_991 Depth=1
	v_mov_b32_e32 v16, 0x7f800001
	v_bfe_u32 v76, v74, 16, 7
	v_mov_b32_e32 v17, 0
	s_mov_b32 s13, exec_lo
	s_delay_alu instid0(VALU_DEP_2)
	v_cmpx_ne_u32_e32 0x7f, v76
	s_cbranch_execz .LBB281_1591
; %bb.1588:                             ;   in Loop: Header=BB281_991 Depth=1
	v_and_b32_e32 v6, 7, v75
	v_lshrrev_b32_e32 v16, 3, v76
	s_mov_b32 s15, exec_lo
	v_cmpx_gt_u32_e32 8, v76
; %bb.1589:                             ;   in Loop: Header=BB281_991 Depth=1
	s_delay_alu instid0(VALU_DEP_3) | instskip(NEXT) | instid1(VALU_DEP_1)
	v_clz_i32_u32_e32 v16, v6
	v_min_u32_e32 v16, 32, v16
	s_delay_alu instid0(VALU_DEP_1) | instskip(SKIP_1) | instid1(VALU_DEP_2)
	v_subrev_nc_u32_e32 v17, 28, v16
	v_sub_nc_u32_e32 v16, 29, v16
	v_lshlrev_b64 v[76:77], v17, v[6:7]
	s_delay_alu instid0(VALU_DEP_1)
	v_and_b32_e32 v6, 7, v76
; %bb.1590:                             ;   in Loop: Header=BB281_991 Depth=1
	s_or_b32 exec_lo, exec_lo, s15
	v_lshlrev_b32_e32 v17, 24, v75
	s_delay_alu instid0(VALU_DEP_2) | instskip(SKIP_1) | instid1(VALU_DEP_3)
	v_lshlrev_b32_e32 v6, 20, v6
	v_lshl_add_u32 v16, v16, 23, 0x3c000000
	v_and_b32_e32 v17, 0x80000000, v17
	s_delay_alu instid0(VALU_DEP_1) | instskip(NEXT) | instid1(VALU_DEP_1)
	v_or3_b32 v6, v6, v17, v16
	v_dual_mov_b32 v17, v7 :: v_dual_mov_b32 v16, v6
.LBB281_1591:                           ;   in Loop: Header=BB281_991 Depth=1
	s_or_b32 exec_lo, exec_lo, s13
.LBB281_1592:                           ;   in Loop: Header=BB281_991 Depth=1
	s_delay_alu instid0(SALU_CYCLE_1)
	s_or_b32 exec_lo, exec_lo, s12
.LBB281_1593:                           ;   in Loop: Header=BB281_991 Depth=1
	s_delay_alu instid0(SALU_CYCLE_1) | instskip(NEXT) | instid1(SALU_CYCLE_1)
	s_or_b32 exec_lo, exec_lo, s10
	s_mov_b32 s12, exec_lo
	v_cmpx_lt_u32_e32 0xffffff, v74
	s_cbranch_execz .LBB281_1601
; %bb.1594:                             ;   in Loop: Header=BB281_991 Depth=1
	v_lshrrev_b32_e32 v75, 24, v74
	v_dual_mov_b32 v19, s9 :: v_dual_mov_b32 v18, s8
	s_mov_b32 s13, exec_lo
	s_delay_alu instid0(VALU_DEP_2)
	v_cmpx_ne_u32_e32 0x80, v75
	s_cbranch_execz .LBB281_1600
; %bb.1595:                             ;   in Loop: Header=BB281_991 Depth=1
	s_mov_b32 s10, s8
	v_bfe_u32 v74, v74, 24, 7
	v_dual_mov_b32 v19, s11 :: v_dual_mov_b32 v18, s10
	s_mov_b32 s10, exec_lo
	s_delay_alu instid0(VALU_DEP_2)
	v_cmpx_ne_u32_e32 0x7f, v74
	s_cbranch_execz .LBB281_1599
; %bb.1596:                             ;   in Loop: Header=BB281_991 Depth=1
	v_and_b32_e32 v6, 7, v75
	v_lshrrev_b32_e32 v18, 3, v74
	s_mov_b32 s15, exec_lo
	v_cmpx_gt_u32_e32 8, v74
; %bb.1597:                             ;   in Loop: Header=BB281_991 Depth=1
	s_delay_alu instid0(VALU_DEP_3) | instskip(NEXT) | instid1(VALU_DEP_1)
	v_clz_i32_u32_e32 v18, v6
	v_min_u32_e32 v18, 32, v18
	s_delay_alu instid0(VALU_DEP_1) | instskip(SKIP_1) | instid1(VALU_DEP_2)
	v_subrev_nc_u32_e32 v19, 28, v18
	v_sub_nc_u32_e32 v18, 29, v18
	v_lshlrev_b64 v[76:77], v19, v[6:7]
	s_delay_alu instid0(VALU_DEP_1)
	v_and_b32_e32 v6, 7, v76
; %bb.1598:                             ;   in Loop: Header=BB281_991 Depth=1
	s_or_b32 exec_lo, exec_lo, s15
	v_lshlrev_b32_e32 v19, 24, v75
	s_delay_alu instid0(VALU_DEP_2) | instskip(SKIP_1) | instid1(VALU_DEP_3)
	v_lshlrev_b32_e32 v6, 20, v6
	v_lshl_add_u32 v18, v18, 23, 0x3c000000
	v_and_b32_e32 v19, 0x80000000, v19
	s_delay_alu instid0(VALU_DEP_1)
	v_or3_b32 v19, v6, v19, v18
	v_mov_b32_e32 v18, v7
.LBB281_1599:                           ;   in Loop: Header=BB281_991 Depth=1
	s_or_b32 exec_lo, exec_lo, s10
.LBB281_1600:                           ;   in Loop: Header=BB281_991 Depth=1
	s_delay_alu instid0(SALU_CYCLE_1)
	s_or_b32 exec_lo, exec_lo, s13
.LBB281_1601:                           ;   in Loop: Header=BB281_991 Depth=1
	s_delay_alu instid0(SALU_CYCLE_1) | instskip(SKIP_4) | instid1(VALU_DEP_4)
	s_or_b32 exec_lo, exec_lo, s12
	v_or_b32_e32 v5, v15, v5
	v_or_b32_e32 v4, v14, v4
	;; [unrolled: 1-line block ×4, first 2 shown]
	v_mul_f32_e32 v77, v82, v5
	s_delay_alu instid0(VALU_DEP_4) | instskip(NEXT) | instid1(VALU_DEP_4)
	v_mul_f32_e32 v76, v70, v4
	v_mul_f32_e32 v74, v82, v6
	s_delay_alu instid0(VALU_DEP_4)
	v_mul_f32_e32 v75, v70, v14
	s_and_saveexec_b32 s10, vcc_lo
; %bb.1602:                             ;   in Loop: Header=BB281_991 Depth=1
	v_cmp_lt_i32_e64 s0, v87, v170
	s_delay_alu instid0(VALU_DEP_1) | instskip(SKIP_1) | instid1(VALU_DEP_1)
	v_cndmask_b32_e64 v76, 0, v76, s0
	v_cmp_lt_i32_e64 s0, v97, v170
	v_cndmask_b32_e64 v77, 0, v77, s0
	v_cmp_lt_i32_e64 s0, v96, v170
	s_delay_alu instid0(VALU_DEP_1) | instskip(SKIP_1) | instid1(VALU_DEP_1)
	v_cndmask_b32_e64 v75, 0, v75, s0
	v_cmp_lt_i32_e64 s0, v80, v170
	v_cndmask_b32_e64 v74, 0, v74, s0
; %bb.1603:                             ;   in Loop: Header=BB281_991 Depth=1
	s_or_b32 exec_lo, exec_lo, s10
	flat_load_b32 v78, v[12:13] offset:2304
	v_mov_b32_e32 v14, 0
	v_mov_b32_e32 v15, 0
	s_mov_b32 s10, exec_lo
	s_waitcnt vmcnt(0) lgkmcnt(0)
	v_and_b32_e32 v6, 0xff, v78
	s_delay_alu instid0(VALU_DEP_2) | instskip(NEXT) | instid1(VALU_DEP_2)
	v_dual_mov_b32 v4, v14 :: v_dual_mov_b32 v5, v15
	v_cmpx_ne_u16_e32 0, v6
	s_cbranch_execz .LBB281_1611
; %bb.1604:                             ;   in Loop: Header=BB281_991 Depth=1
	v_bfrev_b32_e32 v4, 1
	v_mov_b32_e32 v5, 0
	s_mov_b32 s12, exec_lo
	v_cmpx_ne_u16_e32 0x80, v6
	s_cbranch_execz .LBB281_1610
; %bb.1605:                             ;   in Loop: Header=BB281_991 Depth=1
	v_mov_b32_e32 v4, 0x7f800001
	v_dual_mov_b32 v5, 0 :: v_dual_and_b32 v16, 0x7f, v78
	s_mov_b32 s13, exec_lo
	s_delay_alu instid0(VALU_DEP_1)
	v_cmpx_ne_u32_e32 0x7f, v16
	s_cbranch_execz .LBB281_1609
; %bb.1606:                             ;   in Loop: Header=BB281_991 Depth=1
	v_and_b32_e32 v6, 7, v78
	v_lshrrev_b32_e32 v4, 3, v16
	s_mov_b32 s15, exec_lo
	v_cmpx_gt_u32_e32 8, v16
; %bb.1607:                             ;   in Loop: Header=BB281_991 Depth=1
	s_delay_alu instid0(VALU_DEP_3) | instskip(NEXT) | instid1(VALU_DEP_1)
	v_clz_i32_u32_e32 v4, v6
	v_min_u32_e32 v4, 32, v4
	s_delay_alu instid0(VALU_DEP_1) | instskip(SKIP_1) | instid1(VALU_DEP_2)
	v_subrev_nc_u32_e32 v5, 28, v4
	v_sub_nc_u32_e32 v4, 29, v4
	v_lshlrev_b64 v[5:6], v5, v[6:7]
	s_delay_alu instid0(VALU_DEP_1)
	v_and_b32_e32 v6, 7, v5
; %bb.1608:                             ;   in Loop: Header=BB281_991 Depth=1
	s_or_b32 exec_lo, exec_lo, s15
	v_lshlrev_b32_e32 v5, 24, v78
	s_delay_alu instid0(VALU_DEP_2) | instskip(SKIP_1) | instid1(VALU_DEP_3)
	v_lshlrev_b32_e32 v6, 20, v6
	v_lshl_add_u32 v4, v4, 23, 0x3c000000
	v_and_b32_e32 v5, 0x80000000, v5
	s_delay_alu instid0(VALU_DEP_1) | instskip(NEXT) | instid1(VALU_DEP_1)
	v_or3_b32 v6, v6, v5, v4
	v_dual_mov_b32 v4, v6 :: v_dual_mov_b32 v5, v7
.LBB281_1609:                           ;   in Loop: Header=BB281_991 Depth=1
	s_or_b32 exec_lo, exec_lo, s13
.LBB281_1610:                           ;   in Loop: Header=BB281_991 Depth=1
	s_delay_alu instid0(SALU_CYCLE_1)
	s_or_b32 exec_lo, exec_lo, s12
.LBB281_1611:                           ;   in Loop: Header=BB281_991 Depth=1
	s_delay_alu instid0(SALU_CYCLE_1) | instskip(SKIP_2) | instid1(VALU_DEP_1)
	s_or_b32 exec_lo, exec_lo, s10
	v_lshrrev_b16 v6, 8, v78
	s_mov_b32 s12, exec_lo
	v_cmpx_ne_u16_e32 0, v6
	s_cbranch_execz .LBB281_1619
; %bb.1612:                             ;   in Loop: Header=BB281_991 Depth=1
	v_dual_mov_b32 v15, s9 :: v_dual_mov_b32 v14, s8
	s_mov_b32 s13, exec_lo
	v_cmpx_ne_u16_e32 0x80, v6
	s_cbranch_execz .LBB281_1618
; %bb.1613:                             ;   in Loop: Header=BB281_991 Depth=1
	s_mov_b32 s10, s8
	v_dual_mov_b32 v15, s11 :: v_dual_and_b32 v6, 0xffff, v6
	v_mov_b32_e32 v14, s10
	s_mov_b32 s10, exec_lo
	s_delay_alu instid0(VALU_DEP_2) | instskip(NEXT) | instid1(VALU_DEP_1)
	v_and_b32_e32 v16, 0x7f, v6
	v_cmpx_ne_u32_e32 0x7f, v16
	s_cbranch_execz .LBB281_1617
; %bb.1614:                             ;   in Loop: Header=BB281_991 Depth=1
	v_and_b32_e32 v6, 7, v6
	v_lshrrev_b32_e32 v14, 3, v16
	s_mov_b32 s15, exec_lo
	v_cmpx_gt_u32_e32 8, v16
; %bb.1615:                             ;   in Loop: Header=BB281_991 Depth=1
	s_delay_alu instid0(VALU_DEP_3) | instskip(NEXT) | instid1(VALU_DEP_1)
	v_clz_i32_u32_e32 v14, v6
	v_min_u32_e32 v14, 32, v14
	s_delay_alu instid0(VALU_DEP_1) | instskip(SKIP_1) | instid1(VALU_DEP_2)
	v_subrev_nc_u32_e32 v15, 28, v14
	v_sub_nc_u32_e32 v14, 29, v14
	v_lshlrev_b64 v[15:16], v15, v[6:7]
	s_delay_alu instid0(VALU_DEP_1)
	v_and_b32_e32 v6, 7, v15
; %bb.1616:                             ;   in Loop: Header=BB281_991 Depth=1
	s_or_b32 exec_lo, exec_lo, s15
	v_lshlrev_b32_e32 v15, 16, v78
	s_delay_alu instid0(VALU_DEP_2) | instskip(SKIP_1) | instid1(VALU_DEP_3)
	v_lshlrev_b32_e32 v6, 20, v6
	v_lshl_add_u32 v14, v14, 23, 0x3c000000
	v_and_b32_e32 v15, 0x80000000, v15
	s_delay_alu instid0(VALU_DEP_1)
	v_or3_b32 v15, v6, v15, v14
	v_mov_b32_e32 v14, v7
.LBB281_1617:                           ;   in Loop: Header=BB281_991 Depth=1
	s_or_b32 exec_lo, exec_lo, s10
.LBB281_1618:                           ;   in Loop: Header=BB281_991 Depth=1
	s_delay_alu instid0(SALU_CYCLE_1)
	s_or_b32 exec_lo, exec_lo, s13
.LBB281_1619:                           ;   in Loop: Header=BB281_991 Depth=1
	s_delay_alu instid0(SALU_CYCLE_1) | instskip(SKIP_4) | instid1(VALU_DEP_2)
	s_or_b32 exec_lo, exec_lo, s12
	v_mov_b32_e32 v18, 0
	v_lshrrev_b32_e32 v79, 16, v78
	v_mov_b32_e32 v19, 0
	s_mov_b32 s10, exec_lo
	v_and_b32_e32 v6, 0xff, v79
	s_delay_alu instid0(VALU_DEP_2) | instskip(NEXT) | instid1(VALU_DEP_2)
	v_dual_mov_b32 v16, v18 :: v_dual_mov_b32 v17, v19
	v_cmpx_ne_u16_e32 0, v6
	s_cbranch_execz .LBB281_1627
; %bb.1620:                             ;   in Loop: Header=BB281_991 Depth=1
	v_bfrev_b32_e32 v16, 1
	v_mov_b32_e32 v17, 0
	s_mov_b32 s12, exec_lo
	v_cmpx_ne_u16_e32 0x80, v6
	s_cbranch_execz .LBB281_1626
; %bb.1621:                             ;   in Loop: Header=BB281_991 Depth=1
	v_mov_b32_e32 v16, 0x7f800001
	v_bfe_u32 v88, v78, 16, 7
	v_mov_b32_e32 v17, 0
	s_mov_b32 s13, exec_lo
	s_delay_alu instid0(VALU_DEP_2)
	v_cmpx_ne_u32_e32 0x7f, v88
	s_cbranch_execz .LBB281_1625
; %bb.1622:                             ;   in Loop: Header=BB281_991 Depth=1
	v_and_b32_e32 v6, 7, v79
	v_lshrrev_b32_e32 v16, 3, v88
	s_mov_b32 s15, exec_lo
	v_cmpx_gt_u32_e32 8, v88
; %bb.1623:                             ;   in Loop: Header=BB281_991 Depth=1
	s_delay_alu instid0(VALU_DEP_3) | instskip(NEXT) | instid1(VALU_DEP_1)
	v_clz_i32_u32_e32 v16, v6
	v_min_u32_e32 v16, 32, v16
	s_delay_alu instid0(VALU_DEP_1) | instskip(SKIP_1) | instid1(VALU_DEP_2)
	v_subrev_nc_u32_e32 v17, 28, v16
	v_sub_nc_u32_e32 v16, 29, v16
	v_lshlrev_b64 v[88:89], v17, v[6:7]
	s_delay_alu instid0(VALU_DEP_1)
	v_and_b32_e32 v6, 7, v88
; %bb.1624:                             ;   in Loop: Header=BB281_991 Depth=1
	s_or_b32 exec_lo, exec_lo, s15
	v_lshlrev_b32_e32 v17, 24, v79
	s_delay_alu instid0(VALU_DEP_2) | instskip(SKIP_1) | instid1(VALU_DEP_3)
	v_lshlrev_b32_e32 v6, 20, v6
	v_lshl_add_u32 v16, v16, 23, 0x3c000000
	v_and_b32_e32 v17, 0x80000000, v17
	s_delay_alu instid0(VALU_DEP_1) | instskip(NEXT) | instid1(VALU_DEP_1)
	v_or3_b32 v6, v6, v17, v16
	v_dual_mov_b32 v17, v7 :: v_dual_mov_b32 v16, v6
.LBB281_1625:                           ;   in Loop: Header=BB281_991 Depth=1
	s_or_b32 exec_lo, exec_lo, s13
.LBB281_1626:                           ;   in Loop: Header=BB281_991 Depth=1
	s_delay_alu instid0(SALU_CYCLE_1)
	s_or_b32 exec_lo, exec_lo, s12
.LBB281_1627:                           ;   in Loop: Header=BB281_991 Depth=1
	s_delay_alu instid0(SALU_CYCLE_1) | instskip(NEXT) | instid1(SALU_CYCLE_1)
	s_or_b32 exec_lo, exec_lo, s10
	s_mov_b32 s12, exec_lo
	v_cmpx_lt_u32_e32 0xffffff, v78
	s_cbranch_execz .LBB281_1635
; %bb.1628:                             ;   in Loop: Header=BB281_991 Depth=1
	v_lshrrev_b32_e32 v79, 24, v78
	v_dual_mov_b32 v19, s9 :: v_dual_mov_b32 v18, s8
	s_mov_b32 s13, exec_lo
	s_delay_alu instid0(VALU_DEP_2)
	v_cmpx_ne_u32_e32 0x80, v79
	s_cbranch_execz .LBB281_1634
; %bb.1629:                             ;   in Loop: Header=BB281_991 Depth=1
	s_mov_b32 s10, s8
	v_bfe_u32 v78, v78, 24, 7
	v_dual_mov_b32 v19, s11 :: v_dual_mov_b32 v18, s10
	s_mov_b32 s10, exec_lo
	s_delay_alu instid0(VALU_DEP_2)
	v_cmpx_ne_u32_e32 0x7f, v78
	s_cbranch_execz .LBB281_1633
; %bb.1630:                             ;   in Loop: Header=BB281_991 Depth=1
	v_and_b32_e32 v6, 7, v79
	v_lshrrev_b32_e32 v18, 3, v78
	s_mov_b32 s15, exec_lo
	v_cmpx_gt_u32_e32 8, v78
; %bb.1631:                             ;   in Loop: Header=BB281_991 Depth=1
	s_delay_alu instid0(VALU_DEP_3) | instskip(NEXT) | instid1(VALU_DEP_1)
	v_clz_i32_u32_e32 v18, v6
	v_min_u32_e32 v18, 32, v18
	s_delay_alu instid0(VALU_DEP_1) | instskip(SKIP_1) | instid1(VALU_DEP_2)
	v_subrev_nc_u32_e32 v19, 28, v18
	v_sub_nc_u32_e32 v18, 29, v18
	v_lshlrev_b64 v[88:89], v19, v[6:7]
	s_delay_alu instid0(VALU_DEP_1)
	v_and_b32_e32 v6, 7, v88
; %bb.1632:                             ;   in Loop: Header=BB281_991 Depth=1
	s_or_b32 exec_lo, exec_lo, s15
	v_lshlrev_b32_e32 v19, 24, v79
	s_delay_alu instid0(VALU_DEP_2) | instskip(SKIP_1) | instid1(VALU_DEP_3)
	v_lshlrev_b32_e32 v6, 20, v6
	v_lshl_add_u32 v18, v18, 23, 0x3c000000
	v_and_b32_e32 v19, 0x80000000, v19
	s_delay_alu instid0(VALU_DEP_1)
	v_or3_b32 v19, v6, v19, v18
	v_mov_b32_e32 v18, v7
.LBB281_1633:                           ;   in Loop: Header=BB281_991 Depth=1
	s_or_b32 exec_lo, exec_lo, s10
.LBB281_1634:                           ;   in Loop: Header=BB281_991 Depth=1
	s_delay_alu instid0(SALU_CYCLE_1)
	s_or_b32 exec_lo, exec_lo, s13
.LBB281_1635:                           ;   in Loop: Header=BB281_991 Depth=1
	s_delay_alu instid0(SALU_CYCLE_1) | instskip(SKIP_4) | instid1(VALU_DEP_4)
	s_or_b32 exec_lo, exec_lo, s12
	v_or_b32_e32 v5, v15, v5
	v_or_b32_e32 v4, v14, v4
	;; [unrolled: 1-line block ×4, first 2 shown]
	v_mul_f32_e32 v89, v82, v5
	s_delay_alu instid0(VALU_DEP_4) | instskip(NEXT) | instid1(VALU_DEP_4)
	v_mul_f32_e32 v88, v70, v4
	v_mul_f32_e32 v78, v82, v6
	s_delay_alu instid0(VALU_DEP_4)
	v_mul_f32_e32 v79, v70, v14
	s_and_saveexec_b32 s10, vcc_lo
; %bb.1636:                             ;   in Loop: Header=BB281_991 Depth=1
	v_cmp_lt_i32_e64 s0, v87, v170
	s_delay_alu instid0(VALU_DEP_1) | instskip(SKIP_1) | instid1(VALU_DEP_1)
	v_cndmask_b32_e64 v88, 0, v88, s0
	v_cmp_lt_i32_e64 s0, v97, v170
	v_cndmask_b32_e64 v89, 0, v89, s0
	v_cmp_lt_i32_e64 s0, v96, v170
	s_delay_alu instid0(VALU_DEP_1) | instskip(SKIP_1) | instid1(VALU_DEP_1)
	v_cndmask_b32_e64 v79, 0, v79, s0
	v_cmp_lt_i32_e64 s0, v80, v170
	v_cndmask_b32_e64 v78, 0, v78, s0
; %bb.1637:                             ;   in Loop: Header=BB281_991 Depth=1
	s_or_b32 exec_lo, exec_lo, s10
	flat_load_b32 v90, v[12:13] offset:2432
	v_mov_b32_e32 v14, 0
	v_mov_b32_e32 v15, 0
	s_mov_b32 s10, exec_lo
	s_waitcnt vmcnt(0) lgkmcnt(0)
	v_and_b32_e32 v6, 0xff, v90
	s_delay_alu instid0(VALU_DEP_2) | instskip(NEXT) | instid1(VALU_DEP_2)
	v_dual_mov_b32 v4, v14 :: v_dual_mov_b32 v5, v15
	v_cmpx_ne_u16_e32 0, v6
	s_cbranch_execz .LBB281_1645
; %bb.1638:                             ;   in Loop: Header=BB281_991 Depth=1
	v_bfrev_b32_e32 v4, 1
	v_mov_b32_e32 v5, 0
	s_mov_b32 s12, exec_lo
	v_cmpx_ne_u16_e32 0x80, v6
	s_cbranch_execz .LBB281_1644
; %bb.1639:                             ;   in Loop: Header=BB281_991 Depth=1
	v_mov_b32_e32 v4, 0x7f800001
	v_dual_mov_b32 v5, 0 :: v_dual_and_b32 v16, 0x7f, v90
	s_mov_b32 s13, exec_lo
	s_delay_alu instid0(VALU_DEP_1)
	v_cmpx_ne_u32_e32 0x7f, v16
	s_cbranch_execz .LBB281_1643
; %bb.1640:                             ;   in Loop: Header=BB281_991 Depth=1
	v_and_b32_e32 v6, 7, v90
	v_lshrrev_b32_e32 v4, 3, v16
	s_mov_b32 s15, exec_lo
	v_cmpx_gt_u32_e32 8, v16
; %bb.1641:                             ;   in Loop: Header=BB281_991 Depth=1
	s_delay_alu instid0(VALU_DEP_3) | instskip(NEXT) | instid1(VALU_DEP_1)
	v_clz_i32_u32_e32 v4, v6
	v_min_u32_e32 v4, 32, v4
	s_delay_alu instid0(VALU_DEP_1) | instskip(SKIP_1) | instid1(VALU_DEP_2)
	v_subrev_nc_u32_e32 v5, 28, v4
	v_sub_nc_u32_e32 v4, 29, v4
	v_lshlrev_b64 v[5:6], v5, v[6:7]
	s_delay_alu instid0(VALU_DEP_1)
	v_and_b32_e32 v6, 7, v5
; %bb.1642:                             ;   in Loop: Header=BB281_991 Depth=1
	s_or_b32 exec_lo, exec_lo, s15
	v_lshlrev_b32_e32 v5, 24, v90
	s_delay_alu instid0(VALU_DEP_2) | instskip(SKIP_1) | instid1(VALU_DEP_3)
	v_lshlrev_b32_e32 v6, 20, v6
	v_lshl_add_u32 v4, v4, 23, 0x3c000000
	v_and_b32_e32 v5, 0x80000000, v5
	s_delay_alu instid0(VALU_DEP_1) | instskip(NEXT) | instid1(VALU_DEP_1)
	v_or3_b32 v6, v6, v5, v4
	v_dual_mov_b32 v4, v6 :: v_dual_mov_b32 v5, v7
.LBB281_1643:                           ;   in Loop: Header=BB281_991 Depth=1
	s_or_b32 exec_lo, exec_lo, s13
.LBB281_1644:                           ;   in Loop: Header=BB281_991 Depth=1
	s_delay_alu instid0(SALU_CYCLE_1)
	s_or_b32 exec_lo, exec_lo, s12
.LBB281_1645:                           ;   in Loop: Header=BB281_991 Depth=1
	s_delay_alu instid0(SALU_CYCLE_1) | instskip(SKIP_2) | instid1(VALU_DEP_1)
	s_or_b32 exec_lo, exec_lo, s10
	v_lshrrev_b16 v6, 8, v90
	s_mov_b32 s12, exec_lo
	v_cmpx_ne_u16_e32 0, v6
	s_cbranch_execz .LBB281_1653
; %bb.1646:                             ;   in Loop: Header=BB281_991 Depth=1
	v_dual_mov_b32 v15, s9 :: v_dual_mov_b32 v14, s8
	s_mov_b32 s13, exec_lo
	v_cmpx_ne_u16_e32 0x80, v6
	s_cbranch_execz .LBB281_1652
; %bb.1647:                             ;   in Loop: Header=BB281_991 Depth=1
	s_mov_b32 s10, s8
	v_dual_mov_b32 v15, s11 :: v_dual_and_b32 v6, 0xffff, v6
	v_mov_b32_e32 v14, s10
	s_mov_b32 s10, exec_lo
	s_delay_alu instid0(VALU_DEP_2) | instskip(NEXT) | instid1(VALU_DEP_1)
	v_and_b32_e32 v16, 0x7f, v6
	v_cmpx_ne_u32_e32 0x7f, v16
	s_cbranch_execz .LBB281_1651
; %bb.1648:                             ;   in Loop: Header=BB281_991 Depth=1
	v_and_b32_e32 v6, 7, v6
	v_lshrrev_b32_e32 v14, 3, v16
	s_mov_b32 s15, exec_lo
	v_cmpx_gt_u32_e32 8, v16
; %bb.1649:                             ;   in Loop: Header=BB281_991 Depth=1
	s_delay_alu instid0(VALU_DEP_3) | instskip(NEXT) | instid1(VALU_DEP_1)
	v_clz_i32_u32_e32 v14, v6
	v_min_u32_e32 v14, 32, v14
	s_delay_alu instid0(VALU_DEP_1) | instskip(SKIP_1) | instid1(VALU_DEP_2)
	v_subrev_nc_u32_e32 v15, 28, v14
	v_sub_nc_u32_e32 v14, 29, v14
	v_lshlrev_b64 v[15:16], v15, v[6:7]
	s_delay_alu instid0(VALU_DEP_1)
	v_and_b32_e32 v6, 7, v15
; %bb.1650:                             ;   in Loop: Header=BB281_991 Depth=1
	s_or_b32 exec_lo, exec_lo, s15
	v_lshlrev_b32_e32 v15, 16, v90
	s_delay_alu instid0(VALU_DEP_2) | instskip(SKIP_1) | instid1(VALU_DEP_3)
	v_lshlrev_b32_e32 v6, 20, v6
	v_lshl_add_u32 v14, v14, 23, 0x3c000000
	v_and_b32_e32 v15, 0x80000000, v15
	s_delay_alu instid0(VALU_DEP_1)
	v_or3_b32 v15, v6, v15, v14
	v_mov_b32_e32 v14, v7
.LBB281_1651:                           ;   in Loop: Header=BB281_991 Depth=1
	s_or_b32 exec_lo, exec_lo, s10
.LBB281_1652:                           ;   in Loop: Header=BB281_991 Depth=1
	s_delay_alu instid0(SALU_CYCLE_1)
	s_or_b32 exec_lo, exec_lo, s13
.LBB281_1653:                           ;   in Loop: Header=BB281_991 Depth=1
	s_delay_alu instid0(SALU_CYCLE_1) | instskip(SKIP_4) | instid1(VALU_DEP_2)
	s_or_b32 exec_lo, exec_lo, s12
	v_mov_b32_e32 v18, 0
	v_lshrrev_b32_e32 v91, 16, v90
	v_mov_b32_e32 v19, 0
	s_mov_b32 s10, exec_lo
	v_and_b32_e32 v6, 0xff, v91
	s_delay_alu instid0(VALU_DEP_2) | instskip(NEXT) | instid1(VALU_DEP_2)
	v_dual_mov_b32 v16, v18 :: v_dual_mov_b32 v17, v19
	v_cmpx_ne_u16_e32 0, v6
	s_cbranch_execz .LBB281_1661
; %bb.1654:                             ;   in Loop: Header=BB281_991 Depth=1
	v_bfrev_b32_e32 v16, 1
	v_mov_b32_e32 v17, 0
	s_mov_b32 s12, exec_lo
	v_cmpx_ne_u16_e32 0x80, v6
	s_cbranch_execz .LBB281_1660
; %bb.1655:                             ;   in Loop: Header=BB281_991 Depth=1
	v_mov_b32_e32 v16, 0x7f800001
	v_bfe_u32 v92, v90, 16, 7
	v_mov_b32_e32 v17, 0
	s_mov_b32 s13, exec_lo
	s_delay_alu instid0(VALU_DEP_2)
	v_cmpx_ne_u32_e32 0x7f, v92
	s_cbranch_execz .LBB281_1659
; %bb.1656:                             ;   in Loop: Header=BB281_991 Depth=1
	v_and_b32_e32 v6, 7, v91
	v_lshrrev_b32_e32 v16, 3, v92
	s_mov_b32 s15, exec_lo
	v_cmpx_gt_u32_e32 8, v92
; %bb.1657:                             ;   in Loop: Header=BB281_991 Depth=1
	s_delay_alu instid0(VALU_DEP_3) | instskip(NEXT) | instid1(VALU_DEP_1)
	v_clz_i32_u32_e32 v16, v6
	v_min_u32_e32 v16, 32, v16
	s_delay_alu instid0(VALU_DEP_1) | instskip(SKIP_1) | instid1(VALU_DEP_2)
	v_subrev_nc_u32_e32 v17, 28, v16
	v_sub_nc_u32_e32 v16, 29, v16
	v_lshlrev_b64 v[92:93], v17, v[6:7]
	s_delay_alu instid0(VALU_DEP_1)
	v_and_b32_e32 v6, 7, v92
; %bb.1658:                             ;   in Loop: Header=BB281_991 Depth=1
	s_or_b32 exec_lo, exec_lo, s15
	v_lshlrev_b32_e32 v17, 24, v91
	s_delay_alu instid0(VALU_DEP_2) | instskip(SKIP_1) | instid1(VALU_DEP_3)
	v_lshlrev_b32_e32 v6, 20, v6
	v_lshl_add_u32 v16, v16, 23, 0x3c000000
	v_and_b32_e32 v17, 0x80000000, v17
	s_delay_alu instid0(VALU_DEP_1) | instskip(NEXT) | instid1(VALU_DEP_1)
	v_or3_b32 v6, v6, v17, v16
	v_dual_mov_b32 v17, v7 :: v_dual_mov_b32 v16, v6
.LBB281_1659:                           ;   in Loop: Header=BB281_991 Depth=1
	s_or_b32 exec_lo, exec_lo, s13
.LBB281_1660:                           ;   in Loop: Header=BB281_991 Depth=1
	s_delay_alu instid0(SALU_CYCLE_1)
	s_or_b32 exec_lo, exec_lo, s12
.LBB281_1661:                           ;   in Loop: Header=BB281_991 Depth=1
	s_delay_alu instid0(SALU_CYCLE_1) | instskip(NEXT) | instid1(SALU_CYCLE_1)
	s_or_b32 exec_lo, exec_lo, s10
	s_mov_b32 s12, exec_lo
	v_cmpx_lt_u32_e32 0xffffff, v90
	s_cbranch_execz .LBB281_1669
; %bb.1662:                             ;   in Loop: Header=BB281_991 Depth=1
	v_lshrrev_b32_e32 v91, 24, v90
	v_dual_mov_b32 v19, s9 :: v_dual_mov_b32 v18, s8
	s_mov_b32 s13, exec_lo
	s_delay_alu instid0(VALU_DEP_2)
	v_cmpx_ne_u32_e32 0x80, v91
	s_cbranch_execz .LBB281_1668
; %bb.1663:                             ;   in Loop: Header=BB281_991 Depth=1
	s_mov_b32 s10, s8
	v_bfe_u32 v90, v90, 24, 7
	v_dual_mov_b32 v19, s11 :: v_dual_mov_b32 v18, s10
	s_mov_b32 s10, exec_lo
	s_delay_alu instid0(VALU_DEP_2)
	v_cmpx_ne_u32_e32 0x7f, v90
	s_cbranch_execz .LBB281_1667
; %bb.1664:                             ;   in Loop: Header=BB281_991 Depth=1
	v_and_b32_e32 v6, 7, v91
	v_lshrrev_b32_e32 v18, 3, v90
	s_mov_b32 s15, exec_lo
	v_cmpx_gt_u32_e32 8, v90
; %bb.1665:                             ;   in Loop: Header=BB281_991 Depth=1
	s_delay_alu instid0(VALU_DEP_3) | instskip(NEXT) | instid1(VALU_DEP_1)
	v_clz_i32_u32_e32 v18, v6
	v_min_u32_e32 v18, 32, v18
	s_delay_alu instid0(VALU_DEP_1) | instskip(SKIP_1) | instid1(VALU_DEP_2)
	v_subrev_nc_u32_e32 v19, 28, v18
	v_sub_nc_u32_e32 v18, 29, v18
	v_lshlrev_b64 v[92:93], v19, v[6:7]
	s_delay_alu instid0(VALU_DEP_1)
	v_and_b32_e32 v6, 7, v92
; %bb.1666:                             ;   in Loop: Header=BB281_991 Depth=1
	s_or_b32 exec_lo, exec_lo, s15
	v_lshlrev_b32_e32 v19, 24, v91
	s_delay_alu instid0(VALU_DEP_2) | instskip(SKIP_1) | instid1(VALU_DEP_3)
	v_lshlrev_b32_e32 v6, 20, v6
	v_lshl_add_u32 v18, v18, 23, 0x3c000000
	v_and_b32_e32 v19, 0x80000000, v19
	s_delay_alu instid0(VALU_DEP_1)
	v_or3_b32 v19, v6, v19, v18
	v_mov_b32_e32 v18, v7
.LBB281_1667:                           ;   in Loop: Header=BB281_991 Depth=1
	s_or_b32 exec_lo, exec_lo, s10
.LBB281_1668:                           ;   in Loop: Header=BB281_991 Depth=1
	s_delay_alu instid0(SALU_CYCLE_1)
	s_or_b32 exec_lo, exec_lo, s13
.LBB281_1669:                           ;   in Loop: Header=BB281_991 Depth=1
	s_delay_alu instid0(SALU_CYCLE_1) | instskip(SKIP_4) | instid1(VALU_DEP_4)
	s_or_b32 exec_lo, exec_lo, s12
	v_or_b32_e32 v5, v15, v5
	v_or_b32_e32 v4, v14, v4
	;; [unrolled: 1-line block ×4, first 2 shown]
	v_mul_f32_e32 v93, v82, v5
	s_delay_alu instid0(VALU_DEP_4) | instskip(NEXT) | instid1(VALU_DEP_4)
	v_mul_f32_e32 v92, v70, v4
	v_mul_f32_e32 v90, v82, v6
	s_delay_alu instid0(VALU_DEP_4)
	v_mul_f32_e32 v91, v70, v14
	s_and_saveexec_b32 s10, vcc_lo
; %bb.1670:                             ;   in Loop: Header=BB281_991 Depth=1
	v_cmp_lt_i32_e64 s0, v87, v170
	s_delay_alu instid0(VALU_DEP_1) | instskip(SKIP_1) | instid1(VALU_DEP_1)
	v_cndmask_b32_e64 v92, 0, v92, s0
	v_cmp_lt_i32_e64 s0, v97, v170
	v_cndmask_b32_e64 v93, 0, v93, s0
	v_cmp_lt_i32_e64 s0, v96, v170
	s_delay_alu instid0(VALU_DEP_1) | instskip(SKIP_1) | instid1(VALU_DEP_1)
	v_cndmask_b32_e64 v91, 0, v91, s0
	v_cmp_lt_i32_e64 s0, v80, v170
	v_cndmask_b32_e64 v90, 0, v90, s0
; %bb.1671:                             ;   in Loop: Header=BB281_991 Depth=1
	s_or_b32 exec_lo, exec_lo, s10
	flat_load_b32 v94, v[12:13] offset:2560
	v_mov_b32_e32 v14, 0
	v_mov_b32_e32 v15, 0
	s_mov_b32 s10, exec_lo
	s_waitcnt vmcnt(0) lgkmcnt(0)
	v_and_b32_e32 v6, 0xff, v94
	s_delay_alu instid0(VALU_DEP_2) | instskip(NEXT) | instid1(VALU_DEP_2)
	v_dual_mov_b32 v4, v14 :: v_dual_mov_b32 v5, v15
	v_cmpx_ne_u16_e32 0, v6
	s_cbranch_execz .LBB281_1679
; %bb.1672:                             ;   in Loop: Header=BB281_991 Depth=1
	v_bfrev_b32_e32 v4, 1
	v_mov_b32_e32 v5, 0
	s_mov_b32 s12, exec_lo
	v_cmpx_ne_u16_e32 0x80, v6
	s_cbranch_execz .LBB281_1678
; %bb.1673:                             ;   in Loop: Header=BB281_991 Depth=1
	v_mov_b32_e32 v4, 0x7f800001
	v_dual_mov_b32 v5, 0 :: v_dual_and_b32 v16, 0x7f, v94
	s_mov_b32 s13, exec_lo
	s_delay_alu instid0(VALU_DEP_1)
	v_cmpx_ne_u32_e32 0x7f, v16
	s_cbranch_execz .LBB281_1677
; %bb.1674:                             ;   in Loop: Header=BB281_991 Depth=1
	v_and_b32_e32 v6, 7, v94
	v_lshrrev_b32_e32 v4, 3, v16
	s_mov_b32 s15, exec_lo
	v_cmpx_gt_u32_e32 8, v16
; %bb.1675:                             ;   in Loop: Header=BB281_991 Depth=1
	s_delay_alu instid0(VALU_DEP_3) | instskip(NEXT) | instid1(VALU_DEP_1)
	v_clz_i32_u32_e32 v4, v6
	v_min_u32_e32 v4, 32, v4
	s_delay_alu instid0(VALU_DEP_1) | instskip(SKIP_1) | instid1(VALU_DEP_2)
	v_subrev_nc_u32_e32 v5, 28, v4
	v_sub_nc_u32_e32 v4, 29, v4
	v_lshlrev_b64 v[5:6], v5, v[6:7]
	s_delay_alu instid0(VALU_DEP_1)
	v_and_b32_e32 v6, 7, v5
; %bb.1676:                             ;   in Loop: Header=BB281_991 Depth=1
	s_or_b32 exec_lo, exec_lo, s15
	v_lshlrev_b32_e32 v5, 24, v94
	s_delay_alu instid0(VALU_DEP_2) | instskip(SKIP_1) | instid1(VALU_DEP_3)
	v_lshlrev_b32_e32 v6, 20, v6
	v_lshl_add_u32 v4, v4, 23, 0x3c000000
	v_and_b32_e32 v5, 0x80000000, v5
	s_delay_alu instid0(VALU_DEP_1) | instskip(NEXT) | instid1(VALU_DEP_1)
	v_or3_b32 v6, v6, v5, v4
	v_dual_mov_b32 v4, v6 :: v_dual_mov_b32 v5, v7
.LBB281_1677:                           ;   in Loop: Header=BB281_991 Depth=1
	s_or_b32 exec_lo, exec_lo, s13
.LBB281_1678:                           ;   in Loop: Header=BB281_991 Depth=1
	s_delay_alu instid0(SALU_CYCLE_1)
	s_or_b32 exec_lo, exec_lo, s12
.LBB281_1679:                           ;   in Loop: Header=BB281_991 Depth=1
	s_delay_alu instid0(SALU_CYCLE_1) | instskip(SKIP_2) | instid1(VALU_DEP_1)
	s_or_b32 exec_lo, exec_lo, s10
	v_lshrrev_b16 v6, 8, v94
	s_mov_b32 s12, exec_lo
	v_cmpx_ne_u16_e32 0, v6
	s_cbranch_execz .LBB281_1687
; %bb.1680:                             ;   in Loop: Header=BB281_991 Depth=1
	v_dual_mov_b32 v15, s9 :: v_dual_mov_b32 v14, s8
	s_mov_b32 s13, exec_lo
	v_cmpx_ne_u16_e32 0x80, v6
	s_cbranch_execz .LBB281_1686
; %bb.1681:                             ;   in Loop: Header=BB281_991 Depth=1
	s_mov_b32 s10, s8
	v_dual_mov_b32 v15, s11 :: v_dual_and_b32 v6, 0xffff, v6
	v_mov_b32_e32 v14, s10
	s_mov_b32 s10, exec_lo
	s_delay_alu instid0(VALU_DEP_2) | instskip(NEXT) | instid1(VALU_DEP_1)
	v_and_b32_e32 v16, 0x7f, v6
	v_cmpx_ne_u32_e32 0x7f, v16
	s_cbranch_execz .LBB281_1685
; %bb.1682:                             ;   in Loop: Header=BB281_991 Depth=1
	v_and_b32_e32 v6, 7, v6
	v_lshrrev_b32_e32 v14, 3, v16
	s_mov_b32 s15, exec_lo
	v_cmpx_gt_u32_e32 8, v16
; %bb.1683:                             ;   in Loop: Header=BB281_991 Depth=1
	s_delay_alu instid0(VALU_DEP_3) | instskip(NEXT) | instid1(VALU_DEP_1)
	v_clz_i32_u32_e32 v14, v6
	v_min_u32_e32 v14, 32, v14
	s_delay_alu instid0(VALU_DEP_1) | instskip(SKIP_1) | instid1(VALU_DEP_2)
	v_subrev_nc_u32_e32 v15, 28, v14
	v_sub_nc_u32_e32 v14, 29, v14
	v_lshlrev_b64 v[15:16], v15, v[6:7]
	s_delay_alu instid0(VALU_DEP_1)
	v_and_b32_e32 v6, 7, v15
; %bb.1684:                             ;   in Loop: Header=BB281_991 Depth=1
	s_or_b32 exec_lo, exec_lo, s15
	v_lshlrev_b32_e32 v15, 16, v94
	s_delay_alu instid0(VALU_DEP_2) | instskip(SKIP_1) | instid1(VALU_DEP_3)
	v_lshlrev_b32_e32 v6, 20, v6
	v_lshl_add_u32 v14, v14, 23, 0x3c000000
	v_and_b32_e32 v15, 0x80000000, v15
	s_delay_alu instid0(VALU_DEP_1)
	v_or3_b32 v15, v6, v15, v14
	v_mov_b32_e32 v14, v7
.LBB281_1685:                           ;   in Loop: Header=BB281_991 Depth=1
	s_or_b32 exec_lo, exec_lo, s10
.LBB281_1686:                           ;   in Loop: Header=BB281_991 Depth=1
	s_delay_alu instid0(SALU_CYCLE_1)
	s_or_b32 exec_lo, exec_lo, s13
.LBB281_1687:                           ;   in Loop: Header=BB281_991 Depth=1
	s_delay_alu instid0(SALU_CYCLE_1) | instskip(SKIP_4) | instid1(VALU_DEP_2)
	s_or_b32 exec_lo, exec_lo, s12
	v_mov_b32_e32 v18, 0
	v_lshrrev_b32_e32 v95, 16, v94
	v_mov_b32_e32 v19, 0
	s_mov_b32 s10, exec_lo
	v_and_b32_e32 v6, 0xff, v95
	s_delay_alu instid0(VALU_DEP_2) | instskip(NEXT) | instid1(VALU_DEP_2)
	v_dual_mov_b32 v16, v18 :: v_dual_mov_b32 v17, v19
	v_cmpx_ne_u16_e32 0, v6
	s_cbranch_execz .LBB281_1695
; %bb.1688:                             ;   in Loop: Header=BB281_991 Depth=1
	v_bfrev_b32_e32 v16, 1
	v_mov_b32_e32 v17, 0
	s_mov_b32 s12, exec_lo
	v_cmpx_ne_u16_e32 0x80, v6
	s_cbranch_execz .LBB281_1694
; %bb.1689:                             ;   in Loop: Header=BB281_991 Depth=1
	v_mov_b32_e32 v16, 0x7f800001
	v_bfe_u32 v104, v94, 16, 7
	v_mov_b32_e32 v17, 0
	s_mov_b32 s13, exec_lo
	s_delay_alu instid0(VALU_DEP_2)
	v_cmpx_ne_u32_e32 0x7f, v104
	s_cbranch_execz .LBB281_1693
; %bb.1690:                             ;   in Loop: Header=BB281_991 Depth=1
	v_and_b32_e32 v6, 7, v95
	v_lshrrev_b32_e32 v16, 3, v104
	s_mov_b32 s15, exec_lo
	v_cmpx_gt_u32_e32 8, v104
; %bb.1691:                             ;   in Loop: Header=BB281_991 Depth=1
	s_delay_alu instid0(VALU_DEP_3) | instskip(NEXT) | instid1(VALU_DEP_1)
	v_clz_i32_u32_e32 v16, v6
	v_min_u32_e32 v16, 32, v16
	s_delay_alu instid0(VALU_DEP_1) | instskip(SKIP_1) | instid1(VALU_DEP_2)
	v_subrev_nc_u32_e32 v17, 28, v16
	v_sub_nc_u32_e32 v16, 29, v16
	v_lshlrev_b64 v[104:105], v17, v[6:7]
	s_delay_alu instid0(VALU_DEP_1)
	v_and_b32_e32 v6, 7, v104
; %bb.1692:                             ;   in Loop: Header=BB281_991 Depth=1
	s_or_b32 exec_lo, exec_lo, s15
	v_lshlrev_b32_e32 v17, 24, v95
	s_delay_alu instid0(VALU_DEP_2) | instskip(SKIP_1) | instid1(VALU_DEP_3)
	v_lshlrev_b32_e32 v6, 20, v6
	v_lshl_add_u32 v16, v16, 23, 0x3c000000
	v_and_b32_e32 v17, 0x80000000, v17
	s_delay_alu instid0(VALU_DEP_1) | instskip(NEXT) | instid1(VALU_DEP_1)
	v_or3_b32 v6, v6, v17, v16
	v_dual_mov_b32 v17, v7 :: v_dual_mov_b32 v16, v6
.LBB281_1693:                           ;   in Loop: Header=BB281_991 Depth=1
	s_or_b32 exec_lo, exec_lo, s13
.LBB281_1694:                           ;   in Loop: Header=BB281_991 Depth=1
	s_delay_alu instid0(SALU_CYCLE_1)
	s_or_b32 exec_lo, exec_lo, s12
.LBB281_1695:                           ;   in Loop: Header=BB281_991 Depth=1
	s_delay_alu instid0(SALU_CYCLE_1) | instskip(NEXT) | instid1(SALU_CYCLE_1)
	s_or_b32 exec_lo, exec_lo, s10
	s_mov_b32 s12, exec_lo
	v_cmpx_lt_u32_e32 0xffffff, v94
	s_cbranch_execz .LBB281_1703
; %bb.1696:                             ;   in Loop: Header=BB281_991 Depth=1
	v_lshrrev_b32_e32 v95, 24, v94
	v_dual_mov_b32 v19, s9 :: v_dual_mov_b32 v18, s8
	s_mov_b32 s13, exec_lo
	s_delay_alu instid0(VALU_DEP_2)
	v_cmpx_ne_u32_e32 0x80, v95
	s_cbranch_execz .LBB281_1702
; %bb.1697:                             ;   in Loop: Header=BB281_991 Depth=1
	s_mov_b32 s10, s8
	v_bfe_u32 v94, v94, 24, 7
	v_dual_mov_b32 v19, s11 :: v_dual_mov_b32 v18, s10
	s_mov_b32 s10, exec_lo
	s_delay_alu instid0(VALU_DEP_2)
	v_cmpx_ne_u32_e32 0x7f, v94
	s_cbranch_execz .LBB281_1701
; %bb.1698:                             ;   in Loop: Header=BB281_991 Depth=1
	v_and_b32_e32 v6, 7, v95
	v_lshrrev_b32_e32 v18, 3, v94
	s_mov_b32 s15, exec_lo
	v_cmpx_gt_u32_e32 8, v94
; %bb.1699:                             ;   in Loop: Header=BB281_991 Depth=1
	s_delay_alu instid0(VALU_DEP_3) | instskip(NEXT) | instid1(VALU_DEP_1)
	v_clz_i32_u32_e32 v18, v6
	v_min_u32_e32 v18, 32, v18
	s_delay_alu instid0(VALU_DEP_1) | instskip(SKIP_1) | instid1(VALU_DEP_2)
	v_subrev_nc_u32_e32 v19, 28, v18
	v_sub_nc_u32_e32 v18, 29, v18
	v_lshlrev_b64 v[104:105], v19, v[6:7]
	s_delay_alu instid0(VALU_DEP_1)
	v_and_b32_e32 v6, 7, v104
; %bb.1700:                             ;   in Loop: Header=BB281_991 Depth=1
	s_or_b32 exec_lo, exec_lo, s15
	v_lshlrev_b32_e32 v19, 24, v95
	s_delay_alu instid0(VALU_DEP_2) | instskip(SKIP_1) | instid1(VALU_DEP_3)
	v_lshlrev_b32_e32 v6, 20, v6
	v_lshl_add_u32 v18, v18, 23, 0x3c000000
	v_and_b32_e32 v19, 0x80000000, v19
	s_delay_alu instid0(VALU_DEP_1)
	v_or3_b32 v19, v6, v19, v18
	v_mov_b32_e32 v18, v7
.LBB281_1701:                           ;   in Loop: Header=BB281_991 Depth=1
	s_or_b32 exec_lo, exec_lo, s10
.LBB281_1702:                           ;   in Loop: Header=BB281_991 Depth=1
	s_delay_alu instid0(SALU_CYCLE_1)
	s_or_b32 exec_lo, exec_lo, s13
.LBB281_1703:                           ;   in Loop: Header=BB281_991 Depth=1
	s_delay_alu instid0(SALU_CYCLE_1) | instskip(SKIP_4) | instid1(VALU_DEP_4)
	s_or_b32 exec_lo, exec_lo, s12
	v_or_b32_e32 v5, v15, v5
	v_or_b32_e32 v4, v14, v4
	;; [unrolled: 1-line block ×4, first 2 shown]
	v_mul_f32_e32 v105, v82, v5
	s_delay_alu instid0(VALU_DEP_4) | instskip(NEXT) | instid1(VALU_DEP_4)
	v_mul_f32_e32 v104, v70, v4
	v_mul_f32_e32 v94, v82, v6
	s_delay_alu instid0(VALU_DEP_4)
	v_mul_f32_e32 v95, v70, v14
	s_and_saveexec_b32 s10, vcc_lo
; %bb.1704:                             ;   in Loop: Header=BB281_991 Depth=1
	v_cmp_lt_i32_e64 s0, v87, v170
	s_delay_alu instid0(VALU_DEP_1) | instskip(SKIP_1) | instid1(VALU_DEP_1)
	v_cndmask_b32_e64 v104, 0, v104, s0
	v_cmp_lt_i32_e64 s0, v97, v170
	v_cndmask_b32_e64 v105, 0, v105, s0
	v_cmp_lt_i32_e64 s0, v96, v170
	s_delay_alu instid0(VALU_DEP_1) | instskip(SKIP_1) | instid1(VALU_DEP_1)
	v_cndmask_b32_e64 v95, 0, v95, s0
	v_cmp_lt_i32_e64 s0, v80, v170
	v_cndmask_b32_e64 v94, 0, v94, s0
; %bb.1705:                             ;   in Loop: Header=BB281_991 Depth=1
	s_or_b32 exec_lo, exec_lo, s10
	flat_load_b32 v106, v[12:13] offset:2688
	v_mov_b32_e32 v14, 0
	v_mov_b32_e32 v15, 0
	s_mov_b32 s10, exec_lo
	s_waitcnt vmcnt(0) lgkmcnt(0)
	v_and_b32_e32 v6, 0xff, v106
	s_delay_alu instid0(VALU_DEP_2) | instskip(NEXT) | instid1(VALU_DEP_2)
	v_dual_mov_b32 v4, v14 :: v_dual_mov_b32 v5, v15
	v_cmpx_ne_u16_e32 0, v6
	s_cbranch_execz .LBB281_1713
; %bb.1706:                             ;   in Loop: Header=BB281_991 Depth=1
	v_bfrev_b32_e32 v4, 1
	v_mov_b32_e32 v5, 0
	s_mov_b32 s12, exec_lo
	v_cmpx_ne_u16_e32 0x80, v6
	s_cbranch_execz .LBB281_1712
; %bb.1707:                             ;   in Loop: Header=BB281_991 Depth=1
	v_mov_b32_e32 v4, 0x7f800001
	v_dual_mov_b32 v5, 0 :: v_dual_and_b32 v16, 0x7f, v106
	s_mov_b32 s13, exec_lo
	s_delay_alu instid0(VALU_DEP_1)
	v_cmpx_ne_u32_e32 0x7f, v16
	s_cbranch_execz .LBB281_1711
; %bb.1708:                             ;   in Loop: Header=BB281_991 Depth=1
	v_and_b32_e32 v6, 7, v106
	v_lshrrev_b32_e32 v4, 3, v16
	s_mov_b32 s15, exec_lo
	v_cmpx_gt_u32_e32 8, v16
; %bb.1709:                             ;   in Loop: Header=BB281_991 Depth=1
	s_delay_alu instid0(VALU_DEP_3) | instskip(NEXT) | instid1(VALU_DEP_1)
	v_clz_i32_u32_e32 v4, v6
	v_min_u32_e32 v4, 32, v4
	s_delay_alu instid0(VALU_DEP_1) | instskip(SKIP_1) | instid1(VALU_DEP_2)
	v_subrev_nc_u32_e32 v5, 28, v4
	v_sub_nc_u32_e32 v4, 29, v4
	v_lshlrev_b64 v[5:6], v5, v[6:7]
	s_delay_alu instid0(VALU_DEP_1)
	v_and_b32_e32 v6, 7, v5
; %bb.1710:                             ;   in Loop: Header=BB281_991 Depth=1
	s_or_b32 exec_lo, exec_lo, s15
	v_lshlrev_b32_e32 v5, 24, v106
	s_delay_alu instid0(VALU_DEP_2) | instskip(SKIP_1) | instid1(VALU_DEP_3)
	v_lshlrev_b32_e32 v6, 20, v6
	v_lshl_add_u32 v4, v4, 23, 0x3c000000
	v_and_b32_e32 v5, 0x80000000, v5
	s_delay_alu instid0(VALU_DEP_1) | instskip(NEXT) | instid1(VALU_DEP_1)
	v_or3_b32 v6, v6, v5, v4
	v_dual_mov_b32 v4, v6 :: v_dual_mov_b32 v5, v7
.LBB281_1711:                           ;   in Loop: Header=BB281_991 Depth=1
	s_or_b32 exec_lo, exec_lo, s13
.LBB281_1712:                           ;   in Loop: Header=BB281_991 Depth=1
	s_delay_alu instid0(SALU_CYCLE_1)
	s_or_b32 exec_lo, exec_lo, s12
.LBB281_1713:                           ;   in Loop: Header=BB281_991 Depth=1
	s_delay_alu instid0(SALU_CYCLE_1) | instskip(SKIP_2) | instid1(VALU_DEP_1)
	s_or_b32 exec_lo, exec_lo, s10
	v_lshrrev_b16 v6, 8, v106
	s_mov_b32 s12, exec_lo
	v_cmpx_ne_u16_e32 0, v6
	s_cbranch_execz .LBB281_1721
; %bb.1714:                             ;   in Loop: Header=BB281_991 Depth=1
	v_dual_mov_b32 v15, s9 :: v_dual_mov_b32 v14, s8
	s_mov_b32 s13, exec_lo
	v_cmpx_ne_u16_e32 0x80, v6
	s_cbranch_execz .LBB281_1720
; %bb.1715:                             ;   in Loop: Header=BB281_991 Depth=1
	s_mov_b32 s10, s8
	v_dual_mov_b32 v15, s11 :: v_dual_and_b32 v6, 0xffff, v6
	v_mov_b32_e32 v14, s10
	s_mov_b32 s10, exec_lo
	s_delay_alu instid0(VALU_DEP_2) | instskip(NEXT) | instid1(VALU_DEP_1)
	v_and_b32_e32 v16, 0x7f, v6
	v_cmpx_ne_u32_e32 0x7f, v16
	s_cbranch_execz .LBB281_1719
; %bb.1716:                             ;   in Loop: Header=BB281_991 Depth=1
	v_and_b32_e32 v6, 7, v6
	v_lshrrev_b32_e32 v14, 3, v16
	s_mov_b32 s15, exec_lo
	v_cmpx_gt_u32_e32 8, v16
; %bb.1717:                             ;   in Loop: Header=BB281_991 Depth=1
	s_delay_alu instid0(VALU_DEP_3) | instskip(NEXT) | instid1(VALU_DEP_1)
	v_clz_i32_u32_e32 v14, v6
	v_min_u32_e32 v14, 32, v14
	s_delay_alu instid0(VALU_DEP_1) | instskip(SKIP_1) | instid1(VALU_DEP_2)
	v_subrev_nc_u32_e32 v15, 28, v14
	v_sub_nc_u32_e32 v14, 29, v14
	v_lshlrev_b64 v[15:16], v15, v[6:7]
	s_delay_alu instid0(VALU_DEP_1)
	v_and_b32_e32 v6, 7, v15
; %bb.1718:                             ;   in Loop: Header=BB281_991 Depth=1
	s_or_b32 exec_lo, exec_lo, s15
	v_lshlrev_b32_e32 v15, 16, v106
	s_delay_alu instid0(VALU_DEP_2) | instskip(SKIP_1) | instid1(VALU_DEP_3)
	v_lshlrev_b32_e32 v6, 20, v6
	v_lshl_add_u32 v14, v14, 23, 0x3c000000
	v_and_b32_e32 v15, 0x80000000, v15
	s_delay_alu instid0(VALU_DEP_1)
	v_or3_b32 v15, v6, v15, v14
	v_mov_b32_e32 v14, v7
.LBB281_1719:                           ;   in Loop: Header=BB281_991 Depth=1
	s_or_b32 exec_lo, exec_lo, s10
.LBB281_1720:                           ;   in Loop: Header=BB281_991 Depth=1
	s_delay_alu instid0(SALU_CYCLE_1)
	s_or_b32 exec_lo, exec_lo, s13
.LBB281_1721:                           ;   in Loop: Header=BB281_991 Depth=1
	s_delay_alu instid0(SALU_CYCLE_1) | instskip(SKIP_4) | instid1(VALU_DEP_2)
	s_or_b32 exec_lo, exec_lo, s12
	v_mov_b32_e32 v18, 0
	v_lshrrev_b32_e32 v107, 16, v106
	v_mov_b32_e32 v19, 0
	s_mov_b32 s10, exec_lo
	v_and_b32_e32 v6, 0xff, v107
	s_delay_alu instid0(VALU_DEP_2) | instskip(NEXT) | instid1(VALU_DEP_2)
	v_dual_mov_b32 v16, v18 :: v_dual_mov_b32 v17, v19
	v_cmpx_ne_u16_e32 0, v6
	s_cbranch_execz .LBB281_1729
; %bb.1722:                             ;   in Loop: Header=BB281_991 Depth=1
	v_bfrev_b32_e32 v16, 1
	v_mov_b32_e32 v17, 0
	s_mov_b32 s12, exec_lo
	v_cmpx_ne_u16_e32 0x80, v6
	s_cbranch_execz .LBB281_1728
; %bb.1723:                             ;   in Loop: Header=BB281_991 Depth=1
	v_mov_b32_e32 v16, 0x7f800001
	v_bfe_u32 v108, v106, 16, 7
	v_mov_b32_e32 v17, 0
	s_mov_b32 s13, exec_lo
	s_delay_alu instid0(VALU_DEP_2)
	v_cmpx_ne_u32_e32 0x7f, v108
	s_cbranch_execz .LBB281_1727
; %bb.1724:                             ;   in Loop: Header=BB281_991 Depth=1
	v_and_b32_e32 v6, 7, v107
	v_lshrrev_b32_e32 v16, 3, v108
	s_mov_b32 s15, exec_lo
	v_cmpx_gt_u32_e32 8, v108
; %bb.1725:                             ;   in Loop: Header=BB281_991 Depth=1
	s_delay_alu instid0(VALU_DEP_3) | instskip(NEXT) | instid1(VALU_DEP_1)
	v_clz_i32_u32_e32 v16, v6
	v_min_u32_e32 v16, 32, v16
	s_delay_alu instid0(VALU_DEP_1) | instskip(SKIP_1) | instid1(VALU_DEP_2)
	v_subrev_nc_u32_e32 v17, 28, v16
	v_sub_nc_u32_e32 v16, 29, v16
	v_lshlrev_b64 v[108:109], v17, v[6:7]
	s_delay_alu instid0(VALU_DEP_1)
	v_and_b32_e32 v6, 7, v108
; %bb.1726:                             ;   in Loop: Header=BB281_991 Depth=1
	s_or_b32 exec_lo, exec_lo, s15
	v_lshlrev_b32_e32 v17, 24, v107
	s_delay_alu instid0(VALU_DEP_2) | instskip(SKIP_1) | instid1(VALU_DEP_3)
	v_lshlrev_b32_e32 v6, 20, v6
	v_lshl_add_u32 v16, v16, 23, 0x3c000000
	v_and_b32_e32 v17, 0x80000000, v17
	s_delay_alu instid0(VALU_DEP_1) | instskip(NEXT) | instid1(VALU_DEP_1)
	v_or3_b32 v6, v6, v17, v16
	v_dual_mov_b32 v17, v7 :: v_dual_mov_b32 v16, v6
.LBB281_1727:                           ;   in Loop: Header=BB281_991 Depth=1
	s_or_b32 exec_lo, exec_lo, s13
.LBB281_1728:                           ;   in Loop: Header=BB281_991 Depth=1
	s_delay_alu instid0(SALU_CYCLE_1)
	s_or_b32 exec_lo, exec_lo, s12
.LBB281_1729:                           ;   in Loop: Header=BB281_991 Depth=1
	s_delay_alu instid0(SALU_CYCLE_1) | instskip(NEXT) | instid1(SALU_CYCLE_1)
	s_or_b32 exec_lo, exec_lo, s10
	s_mov_b32 s12, exec_lo
	v_cmpx_lt_u32_e32 0xffffff, v106
	s_cbranch_execz .LBB281_1737
; %bb.1730:                             ;   in Loop: Header=BB281_991 Depth=1
	v_lshrrev_b32_e32 v107, 24, v106
	v_dual_mov_b32 v19, s9 :: v_dual_mov_b32 v18, s8
	s_mov_b32 s13, exec_lo
	s_delay_alu instid0(VALU_DEP_2)
	v_cmpx_ne_u32_e32 0x80, v107
	s_cbranch_execz .LBB281_1736
; %bb.1731:                             ;   in Loop: Header=BB281_991 Depth=1
	s_mov_b32 s10, s8
	v_bfe_u32 v106, v106, 24, 7
	v_dual_mov_b32 v19, s11 :: v_dual_mov_b32 v18, s10
	s_mov_b32 s10, exec_lo
	s_delay_alu instid0(VALU_DEP_2)
	v_cmpx_ne_u32_e32 0x7f, v106
	s_cbranch_execz .LBB281_1735
; %bb.1732:                             ;   in Loop: Header=BB281_991 Depth=1
	v_and_b32_e32 v6, 7, v107
	v_lshrrev_b32_e32 v18, 3, v106
	s_mov_b32 s15, exec_lo
	v_cmpx_gt_u32_e32 8, v106
; %bb.1733:                             ;   in Loop: Header=BB281_991 Depth=1
	s_delay_alu instid0(VALU_DEP_3) | instskip(NEXT) | instid1(VALU_DEP_1)
	v_clz_i32_u32_e32 v18, v6
	v_min_u32_e32 v18, 32, v18
	s_delay_alu instid0(VALU_DEP_1) | instskip(SKIP_1) | instid1(VALU_DEP_2)
	v_subrev_nc_u32_e32 v19, 28, v18
	v_sub_nc_u32_e32 v18, 29, v18
	v_lshlrev_b64 v[108:109], v19, v[6:7]
	s_delay_alu instid0(VALU_DEP_1)
	v_and_b32_e32 v6, 7, v108
; %bb.1734:                             ;   in Loop: Header=BB281_991 Depth=1
	s_or_b32 exec_lo, exec_lo, s15
	v_lshlrev_b32_e32 v19, 24, v107
	s_delay_alu instid0(VALU_DEP_2) | instskip(SKIP_1) | instid1(VALU_DEP_3)
	v_lshlrev_b32_e32 v6, 20, v6
	v_lshl_add_u32 v18, v18, 23, 0x3c000000
	v_and_b32_e32 v19, 0x80000000, v19
	s_delay_alu instid0(VALU_DEP_1)
	v_or3_b32 v19, v6, v19, v18
	v_mov_b32_e32 v18, v7
.LBB281_1735:                           ;   in Loop: Header=BB281_991 Depth=1
	s_or_b32 exec_lo, exec_lo, s10
.LBB281_1736:                           ;   in Loop: Header=BB281_991 Depth=1
	s_delay_alu instid0(SALU_CYCLE_1)
	s_or_b32 exec_lo, exec_lo, s13
.LBB281_1737:                           ;   in Loop: Header=BB281_991 Depth=1
	s_delay_alu instid0(SALU_CYCLE_1) | instskip(SKIP_4) | instid1(VALU_DEP_4)
	s_or_b32 exec_lo, exec_lo, s12
	v_or_b32_e32 v5, v15, v5
	v_or_b32_e32 v4, v14, v4
	;; [unrolled: 1-line block ×4, first 2 shown]
	v_mul_f32_e32 v109, v82, v5
	s_delay_alu instid0(VALU_DEP_4) | instskip(NEXT) | instid1(VALU_DEP_4)
	v_mul_f32_e32 v108, v70, v4
	v_mul_f32_e32 v106, v82, v6
	s_delay_alu instid0(VALU_DEP_4)
	v_mul_f32_e32 v107, v70, v14
	s_and_saveexec_b32 s10, vcc_lo
; %bb.1738:                             ;   in Loop: Header=BB281_991 Depth=1
	v_cmp_lt_i32_e64 s0, v87, v170
	s_delay_alu instid0(VALU_DEP_1) | instskip(SKIP_1) | instid1(VALU_DEP_1)
	v_cndmask_b32_e64 v108, 0, v108, s0
	v_cmp_lt_i32_e64 s0, v97, v170
	v_cndmask_b32_e64 v109, 0, v109, s0
	v_cmp_lt_i32_e64 s0, v96, v170
	s_delay_alu instid0(VALU_DEP_1) | instskip(SKIP_1) | instid1(VALU_DEP_1)
	v_cndmask_b32_e64 v107, 0, v107, s0
	v_cmp_lt_i32_e64 s0, v80, v170
	v_cndmask_b32_e64 v106, 0, v106, s0
; %bb.1739:                             ;   in Loop: Header=BB281_991 Depth=1
	s_or_b32 exec_lo, exec_lo, s10
	flat_load_b32 v110, v[12:13] offset:2816
	v_mov_b32_e32 v14, 0
	v_mov_b32_e32 v15, 0
	s_mov_b32 s10, exec_lo
	s_waitcnt vmcnt(0) lgkmcnt(0)
	v_and_b32_e32 v6, 0xff, v110
	s_delay_alu instid0(VALU_DEP_2) | instskip(NEXT) | instid1(VALU_DEP_2)
	v_dual_mov_b32 v4, v14 :: v_dual_mov_b32 v5, v15
	v_cmpx_ne_u16_e32 0, v6
	s_cbranch_execz .LBB281_1747
; %bb.1740:                             ;   in Loop: Header=BB281_991 Depth=1
	v_bfrev_b32_e32 v4, 1
	v_mov_b32_e32 v5, 0
	s_mov_b32 s12, exec_lo
	v_cmpx_ne_u16_e32 0x80, v6
	s_cbranch_execz .LBB281_1746
; %bb.1741:                             ;   in Loop: Header=BB281_991 Depth=1
	v_mov_b32_e32 v4, 0x7f800001
	v_dual_mov_b32 v5, 0 :: v_dual_and_b32 v16, 0x7f, v110
	s_mov_b32 s13, exec_lo
	s_delay_alu instid0(VALU_DEP_1)
	v_cmpx_ne_u32_e32 0x7f, v16
	s_cbranch_execz .LBB281_1745
; %bb.1742:                             ;   in Loop: Header=BB281_991 Depth=1
	v_and_b32_e32 v6, 7, v110
	v_lshrrev_b32_e32 v4, 3, v16
	s_mov_b32 s15, exec_lo
	v_cmpx_gt_u32_e32 8, v16
; %bb.1743:                             ;   in Loop: Header=BB281_991 Depth=1
	s_delay_alu instid0(VALU_DEP_3) | instskip(NEXT) | instid1(VALU_DEP_1)
	v_clz_i32_u32_e32 v4, v6
	v_min_u32_e32 v4, 32, v4
	s_delay_alu instid0(VALU_DEP_1) | instskip(SKIP_1) | instid1(VALU_DEP_2)
	v_subrev_nc_u32_e32 v5, 28, v4
	v_sub_nc_u32_e32 v4, 29, v4
	v_lshlrev_b64 v[5:6], v5, v[6:7]
	s_delay_alu instid0(VALU_DEP_1)
	v_and_b32_e32 v6, 7, v5
; %bb.1744:                             ;   in Loop: Header=BB281_991 Depth=1
	s_or_b32 exec_lo, exec_lo, s15
	v_lshlrev_b32_e32 v5, 24, v110
	s_delay_alu instid0(VALU_DEP_2) | instskip(SKIP_1) | instid1(VALU_DEP_3)
	v_lshlrev_b32_e32 v6, 20, v6
	v_lshl_add_u32 v4, v4, 23, 0x3c000000
	v_and_b32_e32 v5, 0x80000000, v5
	s_delay_alu instid0(VALU_DEP_1) | instskip(NEXT) | instid1(VALU_DEP_1)
	v_or3_b32 v6, v6, v5, v4
	v_dual_mov_b32 v4, v6 :: v_dual_mov_b32 v5, v7
.LBB281_1745:                           ;   in Loop: Header=BB281_991 Depth=1
	s_or_b32 exec_lo, exec_lo, s13
.LBB281_1746:                           ;   in Loop: Header=BB281_991 Depth=1
	s_delay_alu instid0(SALU_CYCLE_1)
	s_or_b32 exec_lo, exec_lo, s12
.LBB281_1747:                           ;   in Loop: Header=BB281_991 Depth=1
	s_delay_alu instid0(SALU_CYCLE_1) | instskip(SKIP_2) | instid1(VALU_DEP_1)
	s_or_b32 exec_lo, exec_lo, s10
	v_lshrrev_b16 v6, 8, v110
	s_mov_b32 s12, exec_lo
	v_cmpx_ne_u16_e32 0, v6
	s_cbranch_execz .LBB281_1755
; %bb.1748:                             ;   in Loop: Header=BB281_991 Depth=1
	v_dual_mov_b32 v15, s9 :: v_dual_mov_b32 v14, s8
	s_mov_b32 s13, exec_lo
	v_cmpx_ne_u16_e32 0x80, v6
	s_cbranch_execz .LBB281_1754
; %bb.1749:                             ;   in Loop: Header=BB281_991 Depth=1
	s_mov_b32 s10, s8
	v_dual_mov_b32 v15, s11 :: v_dual_and_b32 v6, 0xffff, v6
	v_mov_b32_e32 v14, s10
	s_mov_b32 s10, exec_lo
	s_delay_alu instid0(VALU_DEP_2) | instskip(NEXT) | instid1(VALU_DEP_1)
	v_and_b32_e32 v16, 0x7f, v6
	v_cmpx_ne_u32_e32 0x7f, v16
	s_cbranch_execz .LBB281_1753
; %bb.1750:                             ;   in Loop: Header=BB281_991 Depth=1
	v_and_b32_e32 v6, 7, v6
	v_lshrrev_b32_e32 v14, 3, v16
	s_mov_b32 s15, exec_lo
	v_cmpx_gt_u32_e32 8, v16
; %bb.1751:                             ;   in Loop: Header=BB281_991 Depth=1
	s_delay_alu instid0(VALU_DEP_3) | instskip(NEXT) | instid1(VALU_DEP_1)
	v_clz_i32_u32_e32 v14, v6
	v_min_u32_e32 v14, 32, v14
	s_delay_alu instid0(VALU_DEP_1) | instskip(SKIP_1) | instid1(VALU_DEP_2)
	v_subrev_nc_u32_e32 v15, 28, v14
	v_sub_nc_u32_e32 v14, 29, v14
	v_lshlrev_b64 v[15:16], v15, v[6:7]
	s_delay_alu instid0(VALU_DEP_1)
	v_and_b32_e32 v6, 7, v15
; %bb.1752:                             ;   in Loop: Header=BB281_991 Depth=1
	s_or_b32 exec_lo, exec_lo, s15
	v_lshlrev_b32_e32 v15, 16, v110
	s_delay_alu instid0(VALU_DEP_2) | instskip(SKIP_1) | instid1(VALU_DEP_3)
	v_lshlrev_b32_e32 v6, 20, v6
	v_lshl_add_u32 v14, v14, 23, 0x3c000000
	v_and_b32_e32 v15, 0x80000000, v15
	s_delay_alu instid0(VALU_DEP_1)
	v_or3_b32 v15, v6, v15, v14
	v_mov_b32_e32 v14, v7
.LBB281_1753:                           ;   in Loop: Header=BB281_991 Depth=1
	s_or_b32 exec_lo, exec_lo, s10
.LBB281_1754:                           ;   in Loop: Header=BB281_991 Depth=1
	s_delay_alu instid0(SALU_CYCLE_1)
	s_or_b32 exec_lo, exec_lo, s13
.LBB281_1755:                           ;   in Loop: Header=BB281_991 Depth=1
	s_delay_alu instid0(SALU_CYCLE_1) | instskip(SKIP_4) | instid1(VALU_DEP_2)
	s_or_b32 exec_lo, exec_lo, s12
	v_mov_b32_e32 v18, 0
	v_lshrrev_b32_e32 v111, 16, v110
	v_mov_b32_e32 v19, 0
	s_mov_b32 s10, exec_lo
	v_and_b32_e32 v6, 0xff, v111
	s_delay_alu instid0(VALU_DEP_2) | instskip(NEXT) | instid1(VALU_DEP_2)
	v_dual_mov_b32 v16, v18 :: v_dual_mov_b32 v17, v19
	v_cmpx_ne_u16_e32 0, v6
	s_cbranch_execz .LBB281_1763
; %bb.1756:                             ;   in Loop: Header=BB281_991 Depth=1
	v_bfrev_b32_e32 v16, 1
	v_mov_b32_e32 v17, 0
	s_mov_b32 s12, exec_lo
	v_cmpx_ne_u16_e32 0x80, v6
	s_cbranch_execz .LBB281_1762
; %bb.1757:                             ;   in Loop: Header=BB281_991 Depth=1
	v_mov_b32_e32 v16, 0x7f800001
	v_bfe_u32 v120, v110, 16, 7
	v_mov_b32_e32 v17, 0
	s_mov_b32 s13, exec_lo
	s_delay_alu instid0(VALU_DEP_2)
	v_cmpx_ne_u32_e32 0x7f, v120
	s_cbranch_execz .LBB281_1761
; %bb.1758:                             ;   in Loop: Header=BB281_991 Depth=1
	v_and_b32_e32 v6, 7, v111
	v_lshrrev_b32_e32 v16, 3, v120
	s_mov_b32 s15, exec_lo
	v_cmpx_gt_u32_e32 8, v120
; %bb.1759:                             ;   in Loop: Header=BB281_991 Depth=1
	s_delay_alu instid0(VALU_DEP_3) | instskip(NEXT) | instid1(VALU_DEP_1)
	v_clz_i32_u32_e32 v16, v6
	v_min_u32_e32 v16, 32, v16
	s_delay_alu instid0(VALU_DEP_1) | instskip(SKIP_1) | instid1(VALU_DEP_2)
	v_subrev_nc_u32_e32 v17, 28, v16
	v_sub_nc_u32_e32 v16, 29, v16
	v_lshlrev_b64 v[120:121], v17, v[6:7]
	s_delay_alu instid0(VALU_DEP_1)
	v_and_b32_e32 v6, 7, v120
; %bb.1760:                             ;   in Loop: Header=BB281_991 Depth=1
	s_or_b32 exec_lo, exec_lo, s15
	v_lshlrev_b32_e32 v17, 24, v111
	s_delay_alu instid0(VALU_DEP_2) | instskip(SKIP_1) | instid1(VALU_DEP_3)
	v_lshlrev_b32_e32 v6, 20, v6
	v_lshl_add_u32 v16, v16, 23, 0x3c000000
	v_and_b32_e32 v17, 0x80000000, v17
	s_delay_alu instid0(VALU_DEP_1) | instskip(NEXT) | instid1(VALU_DEP_1)
	v_or3_b32 v6, v6, v17, v16
	v_dual_mov_b32 v17, v7 :: v_dual_mov_b32 v16, v6
.LBB281_1761:                           ;   in Loop: Header=BB281_991 Depth=1
	s_or_b32 exec_lo, exec_lo, s13
.LBB281_1762:                           ;   in Loop: Header=BB281_991 Depth=1
	s_delay_alu instid0(SALU_CYCLE_1)
	s_or_b32 exec_lo, exec_lo, s12
.LBB281_1763:                           ;   in Loop: Header=BB281_991 Depth=1
	s_delay_alu instid0(SALU_CYCLE_1) | instskip(NEXT) | instid1(SALU_CYCLE_1)
	s_or_b32 exec_lo, exec_lo, s10
	s_mov_b32 s12, exec_lo
	v_cmpx_lt_u32_e32 0xffffff, v110
	s_cbranch_execz .LBB281_1771
; %bb.1764:                             ;   in Loop: Header=BB281_991 Depth=1
	v_lshrrev_b32_e32 v111, 24, v110
	v_dual_mov_b32 v19, s9 :: v_dual_mov_b32 v18, s8
	s_mov_b32 s13, exec_lo
	s_delay_alu instid0(VALU_DEP_2)
	v_cmpx_ne_u32_e32 0x80, v111
	s_cbranch_execz .LBB281_1770
; %bb.1765:                             ;   in Loop: Header=BB281_991 Depth=1
	s_mov_b32 s10, s8
	v_bfe_u32 v110, v110, 24, 7
	v_dual_mov_b32 v19, s11 :: v_dual_mov_b32 v18, s10
	s_mov_b32 s10, exec_lo
	s_delay_alu instid0(VALU_DEP_2)
	v_cmpx_ne_u32_e32 0x7f, v110
	s_cbranch_execz .LBB281_1769
; %bb.1766:                             ;   in Loop: Header=BB281_991 Depth=1
	v_and_b32_e32 v6, 7, v111
	v_lshrrev_b32_e32 v18, 3, v110
	s_mov_b32 s15, exec_lo
	v_cmpx_gt_u32_e32 8, v110
; %bb.1767:                             ;   in Loop: Header=BB281_991 Depth=1
	s_delay_alu instid0(VALU_DEP_3) | instskip(NEXT) | instid1(VALU_DEP_1)
	v_clz_i32_u32_e32 v18, v6
	v_min_u32_e32 v18, 32, v18
	s_delay_alu instid0(VALU_DEP_1) | instskip(SKIP_1) | instid1(VALU_DEP_2)
	v_subrev_nc_u32_e32 v19, 28, v18
	v_sub_nc_u32_e32 v18, 29, v18
	v_lshlrev_b64 v[120:121], v19, v[6:7]
	s_delay_alu instid0(VALU_DEP_1)
	v_and_b32_e32 v6, 7, v120
; %bb.1768:                             ;   in Loop: Header=BB281_991 Depth=1
	s_or_b32 exec_lo, exec_lo, s15
	v_lshlrev_b32_e32 v19, 24, v111
	s_delay_alu instid0(VALU_DEP_2) | instskip(SKIP_1) | instid1(VALU_DEP_3)
	v_lshlrev_b32_e32 v6, 20, v6
	v_lshl_add_u32 v18, v18, 23, 0x3c000000
	v_and_b32_e32 v19, 0x80000000, v19
	s_delay_alu instid0(VALU_DEP_1)
	v_or3_b32 v19, v6, v19, v18
	v_mov_b32_e32 v18, v7
.LBB281_1769:                           ;   in Loop: Header=BB281_991 Depth=1
	s_or_b32 exec_lo, exec_lo, s10
.LBB281_1770:                           ;   in Loop: Header=BB281_991 Depth=1
	s_delay_alu instid0(SALU_CYCLE_1)
	s_or_b32 exec_lo, exec_lo, s13
.LBB281_1771:                           ;   in Loop: Header=BB281_991 Depth=1
	s_delay_alu instid0(SALU_CYCLE_1) | instskip(SKIP_4) | instid1(VALU_DEP_4)
	s_or_b32 exec_lo, exec_lo, s12
	v_or_b32_e32 v5, v15, v5
	v_or_b32_e32 v4, v14, v4
	;; [unrolled: 1-line block ×4, first 2 shown]
	v_mul_f32_e32 v121, v82, v5
	s_delay_alu instid0(VALU_DEP_4) | instskip(NEXT) | instid1(VALU_DEP_4)
	v_mul_f32_e32 v120, v70, v4
	v_mul_f32_e32 v110, v82, v6
	s_delay_alu instid0(VALU_DEP_4)
	v_mul_f32_e32 v111, v70, v14
	s_and_saveexec_b32 s10, vcc_lo
; %bb.1772:                             ;   in Loop: Header=BB281_991 Depth=1
	v_cmp_lt_i32_e64 s0, v87, v170
	s_delay_alu instid0(VALU_DEP_1) | instskip(SKIP_1) | instid1(VALU_DEP_1)
	v_cndmask_b32_e64 v120, 0, v120, s0
	v_cmp_lt_i32_e64 s0, v97, v170
	v_cndmask_b32_e64 v121, 0, v121, s0
	v_cmp_lt_i32_e64 s0, v96, v170
	s_delay_alu instid0(VALU_DEP_1) | instskip(SKIP_1) | instid1(VALU_DEP_1)
	v_cndmask_b32_e64 v111, 0, v111, s0
	v_cmp_lt_i32_e64 s0, v80, v170
	v_cndmask_b32_e64 v110, 0, v110, s0
; %bb.1773:                             ;   in Loop: Header=BB281_991 Depth=1
	s_or_b32 exec_lo, exec_lo, s10
	flat_load_b32 v122, v[12:13] offset:2944
	v_mov_b32_e32 v14, 0
	v_mov_b32_e32 v15, 0
	s_mov_b32 s10, exec_lo
	s_waitcnt vmcnt(0) lgkmcnt(0)
	v_and_b32_e32 v6, 0xff, v122
	s_delay_alu instid0(VALU_DEP_2) | instskip(NEXT) | instid1(VALU_DEP_2)
	v_dual_mov_b32 v4, v14 :: v_dual_mov_b32 v5, v15
	v_cmpx_ne_u16_e32 0, v6
	s_cbranch_execz .LBB281_1781
; %bb.1774:                             ;   in Loop: Header=BB281_991 Depth=1
	v_bfrev_b32_e32 v4, 1
	v_mov_b32_e32 v5, 0
	s_mov_b32 s12, exec_lo
	v_cmpx_ne_u16_e32 0x80, v6
	s_cbranch_execz .LBB281_1780
; %bb.1775:                             ;   in Loop: Header=BB281_991 Depth=1
	v_mov_b32_e32 v4, 0x7f800001
	v_dual_mov_b32 v5, 0 :: v_dual_and_b32 v16, 0x7f, v122
	s_mov_b32 s13, exec_lo
	s_delay_alu instid0(VALU_DEP_1)
	v_cmpx_ne_u32_e32 0x7f, v16
	s_cbranch_execz .LBB281_1779
; %bb.1776:                             ;   in Loop: Header=BB281_991 Depth=1
	v_and_b32_e32 v6, 7, v122
	v_lshrrev_b32_e32 v4, 3, v16
	s_mov_b32 s15, exec_lo
	v_cmpx_gt_u32_e32 8, v16
; %bb.1777:                             ;   in Loop: Header=BB281_991 Depth=1
	s_delay_alu instid0(VALU_DEP_3) | instskip(NEXT) | instid1(VALU_DEP_1)
	v_clz_i32_u32_e32 v4, v6
	v_min_u32_e32 v4, 32, v4
	s_delay_alu instid0(VALU_DEP_1) | instskip(SKIP_1) | instid1(VALU_DEP_2)
	v_subrev_nc_u32_e32 v5, 28, v4
	v_sub_nc_u32_e32 v4, 29, v4
	v_lshlrev_b64 v[5:6], v5, v[6:7]
	s_delay_alu instid0(VALU_DEP_1)
	v_and_b32_e32 v6, 7, v5
; %bb.1778:                             ;   in Loop: Header=BB281_991 Depth=1
	s_or_b32 exec_lo, exec_lo, s15
	v_lshlrev_b32_e32 v5, 24, v122
	s_delay_alu instid0(VALU_DEP_2) | instskip(SKIP_1) | instid1(VALU_DEP_3)
	v_lshlrev_b32_e32 v6, 20, v6
	v_lshl_add_u32 v4, v4, 23, 0x3c000000
	v_and_b32_e32 v5, 0x80000000, v5
	s_delay_alu instid0(VALU_DEP_1) | instskip(NEXT) | instid1(VALU_DEP_1)
	v_or3_b32 v6, v6, v5, v4
	v_dual_mov_b32 v4, v6 :: v_dual_mov_b32 v5, v7
.LBB281_1779:                           ;   in Loop: Header=BB281_991 Depth=1
	s_or_b32 exec_lo, exec_lo, s13
.LBB281_1780:                           ;   in Loop: Header=BB281_991 Depth=1
	s_delay_alu instid0(SALU_CYCLE_1)
	s_or_b32 exec_lo, exec_lo, s12
.LBB281_1781:                           ;   in Loop: Header=BB281_991 Depth=1
	s_delay_alu instid0(SALU_CYCLE_1) | instskip(SKIP_2) | instid1(VALU_DEP_1)
	s_or_b32 exec_lo, exec_lo, s10
	v_lshrrev_b16 v6, 8, v122
	s_mov_b32 s12, exec_lo
	v_cmpx_ne_u16_e32 0, v6
	s_cbranch_execz .LBB281_1789
; %bb.1782:                             ;   in Loop: Header=BB281_991 Depth=1
	v_dual_mov_b32 v15, s9 :: v_dual_mov_b32 v14, s8
	s_mov_b32 s13, exec_lo
	v_cmpx_ne_u16_e32 0x80, v6
	s_cbranch_execz .LBB281_1788
; %bb.1783:                             ;   in Loop: Header=BB281_991 Depth=1
	s_mov_b32 s10, s8
	v_dual_mov_b32 v15, s11 :: v_dual_and_b32 v6, 0xffff, v6
	v_mov_b32_e32 v14, s10
	s_mov_b32 s10, exec_lo
	s_delay_alu instid0(VALU_DEP_2) | instskip(NEXT) | instid1(VALU_DEP_1)
	v_and_b32_e32 v16, 0x7f, v6
	v_cmpx_ne_u32_e32 0x7f, v16
	s_cbranch_execz .LBB281_1787
; %bb.1784:                             ;   in Loop: Header=BB281_991 Depth=1
	v_and_b32_e32 v6, 7, v6
	v_lshrrev_b32_e32 v14, 3, v16
	s_mov_b32 s15, exec_lo
	v_cmpx_gt_u32_e32 8, v16
; %bb.1785:                             ;   in Loop: Header=BB281_991 Depth=1
	s_delay_alu instid0(VALU_DEP_3) | instskip(NEXT) | instid1(VALU_DEP_1)
	v_clz_i32_u32_e32 v14, v6
	v_min_u32_e32 v14, 32, v14
	s_delay_alu instid0(VALU_DEP_1) | instskip(SKIP_1) | instid1(VALU_DEP_2)
	v_subrev_nc_u32_e32 v15, 28, v14
	v_sub_nc_u32_e32 v14, 29, v14
	v_lshlrev_b64 v[15:16], v15, v[6:7]
	s_delay_alu instid0(VALU_DEP_1)
	v_and_b32_e32 v6, 7, v15
; %bb.1786:                             ;   in Loop: Header=BB281_991 Depth=1
	s_or_b32 exec_lo, exec_lo, s15
	v_lshlrev_b32_e32 v15, 16, v122
	s_delay_alu instid0(VALU_DEP_2) | instskip(SKIP_1) | instid1(VALU_DEP_3)
	v_lshlrev_b32_e32 v6, 20, v6
	v_lshl_add_u32 v14, v14, 23, 0x3c000000
	v_and_b32_e32 v15, 0x80000000, v15
	s_delay_alu instid0(VALU_DEP_1)
	v_or3_b32 v15, v6, v15, v14
	v_mov_b32_e32 v14, v7
.LBB281_1787:                           ;   in Loop: Header=BB281_991 Depth=1
	s_or_b32 exec_lo, exec_lo, s10
.LBB281_1788:                           ;   in Loop: Header=BB281_991 Depth=1
	s_delay_alu instid0(SALU_CYCLE_1)
	s_or_b32 exec_lo, exec_lo, s13
.LBB281_1789:                           ;   in Loop: Header=BB281_991 Depth=1
	s_delay_alu instid0(SALU_CYCLE_1) | instskip(SKIP_4) | instid1(VALU_DEP_2)
	s_or_b32 exec_lo, exec_lo, s12
	v_mov_b32_e32 v18, 0
	v_lshrrev_b32_e32 v123, 16, v122
	v_mov_b32_e32 v19, 0
	s_mov_b32 s10, exec_lo
	v_and_b32_e32 v6, 0xff, v123
	s_delay_alu instid0(VALU_DEP_2) | instskip(NEXT) | instid1(VALU_DEP_2)
	v_dual_mov_b32 v16, v18 :: v_dual_mov_b32 v17, v19
	v_cmpx_ne_u16_e32 0, v6
	s_cbranch_execz .LBB281_1797
; %bb.1790:                             ;   in Loop: Header=BB281_991 Depth=1
	v_bfrev_b32_e32 v16, 1
	v_mov_b32_e32 v17, 0
	s_mov_b32 s12, exec_lo
	v_cmpx_ne_u16_e32 0x80, v6
	s_cbranch_execz .LBB281_1796
; %bb.1791:                             ;   in Loop: Header=BB281_991 Depth=1
	v_mov_b32_e32 v16, 0x7f800001
	v_bfe_u32 v124, v122, 16, 7
	v_mov_b32_e32 v17, 0
	s_mov_b32 s13, exec_lo
	s_delay_alu instid0(VALU_DEP_2)
	v_cmpx_ne_u32_e32 0x7f, v124
	s_cbranch_execz .LBB281_1795
; %bb.1792:                             ;   in Loop: Header=BB281_991 Depth=1
	v_and_b32_e32 v6, 7, v123
	v_lshrrev_b32_e32 v16, 3, v124
	s_mov_b32 s15, exec_lo
	v_cmpx_gt_u32_e32 8, v124
; %bb.1793:                             ;   in Loop: Header=BB281_991 Depth=1
	s_delay_alu instid0(VALU_DEP_3) | instskip(NEXT) | instid1(VALU_DEP_1)
	v_clz_i32_u32_e32 v16, v6
	v_min_u32_e32 v16, 32, v16
	s_delay_alu instid0(VALU_DEP_1) | instskip(SKIP_1) | instid1(VALU_DEP_2)
	v_subrev_nc_u32_e32 v17, 28, v16
	v_sub_nc_u32_e32 v16, 29, v16
	v_lshlrev_b64 v[124:125], v17, v[6:7]
	s_delay_alu instid0(VALU_DEP_1)
	v_and_b32_e32 v6, 7, v124
; %bb.1794:                             ;   in Loop: Header=BB281_991 Depth=1
	s_or_b32 exec_lo, exec_lo, s15
	v_lshlrev_b32_e32 v17, 24, v123
	s_delay_alu instid0(VALU_DEP_2) | instskip(SKIP_1) | instid1(VALU_DEP_3)
	v_lshlrev_b32_e32 v6, 20, v6
	v_lshl_add_u32 v16, v16, 23, 0x3c000000
	v_and_b32_e32 v17, 0x80000000, v17
	s_delay_alu instid0(VALU_DEP_1) | instskip(NEXT) | instid1(VALU_DEP_1)
	v_or3_b32 v6, v6, v17, v16
	v_dual_mov_b32 v17, v7 :: v_dual_mov_b32 v16, v6
.LBB281_1795:                           ;   in Loop: Header=BB281_991 Depth=1
	s_or_b32 exec_lo, exec_lo, s13
.LBB281_1796:                           ;   in Loop: Header=BB281_991 Depth=1
	s_delay_alu instid0(SALU_CYCLE_1)
	s_or_b32 exec_lo, exec_lo, s12
.LBB281_1797:                           ;   in Loop: Header=BB281_991 Depth=1
	s_delay_alu instid0(SALU_CYCLE_1) | instskip(NEXT) | instid1(SALU_CYCLE_1)
	s_or_b32 exec_lo, exec_lo, s10
	s_mov_b32 s12, exec_lo
	v_cmpx_lt_u32_e32 0xffffff, v122
	s_cbranch_execz .LBB281_1805
; %bb.1798:                             ;   in Loop: Header=BB281_991 Depth=1
	v_lshrrev_b32_e32 v123, 24, v122
	v_dual_mov_b32 v19, s9 :: v_dual_mov_b32 v18, s8
	s_mov_b32 s13, exec_lo
	s_delay_alu instid0(VALU_DEP_2)
	v_cmpx_ne_u32_e32 0x80, v123
	s_cbranch_execz .LBB281_1804
; %bb.1799:                             ;   in Loop: Header=BB281_991 Depth=1
	s_mov_b32 s10, s8
	v_bfe_u32 v122, v122, 24, 7
	v_dual_mov_b32 v19, s11 :: v_dual_mov_b32 v18, s10
	s_mov_b32 s10, exec_lo
	s_delay_alu instid0(VALU_DEP_2)
	v_cmpx_ne_u32_e32 0x7f, v122
	s_cbranch_execz .LBB281_1803
; %bb.1800:                             ;   in Loop: Header=BB281_991 Depth=1
	v_and_b32_e32 v6, 7, v123
	v_lshrrev_b32_e32 v18, 3, v122
	s_mov_b32 s15, exec_lo
	v_cmpx_gt_u32_e32 8, v122
; %bb.1801:                             ;   in Loop: Header=BB281_991 Depth=1
	s_delay_alu instid0(VALU_DEP_3) | instskip(NEXT) | instid1(VALU_DEP_1)
	v_clz_i32_u32_e32 v18, v6
	v_min_u32_e32 v18, 32, v18
	s_delay_alu instid0(VALU_DEP_1) | instskip(SKIP_1) | instid1(VALU_DEP_2)
	v_subrev_nc_u32_e32 v19, 28, v18
	v_sub_nc_u32_e32 v18, 29, v18
	v_lshlrev_b64 v[124:125], v19, v[6:7]
	s_delay_alu instid0(VALU_DEP_1)
	v_and_b32_e32 v6, 7, v124
; %bb.1802:                             ;   in Loop: Header=BB281_991 Depth=1
	s_or_b32 exec_lo, exec_lo, s15
	v_lshlrev_b32_e32 v19, 24, v123
	s_delay_alu instid0(VALU_DEP_2) | instskip(SKIP_1) | instid1(VALU_DEP_3)
	v_lshlrev_b32_e32 v6, 20, v6
	v_lshl_add_u32 v18, v18, 23, 0x3c000000
	v_and_b32_e32 v19, 0x80000000, v19
	s_delay_alu instid0(VALU_DEP_1)
	v_or3_b32 v19, v6, v19, v18
	v_mov_b32_e32 v18, v7
.LBB281_1803:                           ;   in Loop: Header=BB281_991 Depth=1
	s_or_b32 exec_lo, exec_lo, s10
.LBB281_1804:                           ;   in Loop: Header=BB281_991 Depth=1
	s_delay_alu instid0(SALU_CYCLE_1)
	s_or_b32 exec_lo, exec_lo, s13
.LBB281_1805:                           ;   in Loop: Header=BB281_991 Depth=1
	s_delay_alu instid0(SALU_CYCLE_1) | instskip(SKIP_4) | instid1(VALU_DEP_4)
	s_or_b32 exec_lo, exec_lo, s12
	v_or_b32_e32 v5, v15, v5
	v_or_b32_e32 v4, v14, v4
	;; [unrolled: 1-line block ×4, first 2 shown]
	v_mul_f32_e32 v125, v82, v5
	s_delay_alu instid0(VALU_DEP_4) | instskip(NEXT) | instid1(VALU_DEP_4)
	v_mul_f32_e32 v124, v70, v4
	v_mul_f32_e32 v122, v82, v6
	s_delay_alu instid0(VALU_DEP_4)
	v_mul_f32_e32 v123, v70, v14
	s_and_saveexec_b32 s10, vcc_lo
; %bb.1806:                             ;   in Loop: Header=BB281_991 Depth=1
	v_cmp_lt_i32_e64 s0, v87, v170
	s_delay_alu instid0(VALU_DEP_1) | instskip(SKIP_1) | instid1(VALU_DEP_1)
	v_cndmask_b32_e64 v124, 0, v124, s0
	v_cmp_lt_i32_e64 s0, v97, v170
	v_cndmask_b32_e64 v125, 0, v125, s0
	v_cmp_lt_i32_e64 s0, v96, v170
	s_delay_alu instid0(VALU_DEP_1) | instskip(SKIP_1) | instid1(VALU_DEP_1)
	v_cndmask_b32_e64 v123, 0, v123, s0
	v_cmp_lt_i32_e64 s0, v80, v170
	v_cndmask_b32_e64 v122, 0, v122, s0
; %bb.1807:                             ;   in Loop: Header=BB281_991 Depth=1
	s_or_b32 exec_lo, exec_lo, s10
	flat_load_b32 v126, v[12:13] offset:3072
	v_mov_b32_e32 v14, 0
	v_mov_b32_e32 v15, 0
	s_mov_b32 s10, exec_lo
	s_waitcnt vmcnt(0) lgkmcnt(0)
	v_and_b32_e32 v6, 0xff, v126
	s_delay_alu instid0(VALU_DEP_2) | instskip(NEXT) | instid1(VALU_DEP_2)
	v_dual_mov_b32 v4, v14 :: v_dual_mov_b32 v5, v15
	v_cmpx_ne_u16_e32 0, v6
	s_cbranch_execz .LBB281_1815
; %bb.1808:                             ;   in Loop: Header=BB281_991 Depth=1
	v_bfrev_b32_e32 v4, 1
	v_mov_b32_e32 v5, 0
	s_mov_b32 s12, exec_lo
	v_cmpx_ne_u16_e32 0x80, v6
	s_cbranch_execz .LBB281_1814
; %bb.1809:                             ;   in Loop: Header=BB281_991 Depth=1
	v_mov_b32_e32 v4, 0x7f800001
	v_dual_mov_b32 v5, 0 :: v_dual_and_b32 v16, 0x7f, v126
	s_mov_b32 s13, exec_lo
	s_delay_alu instid0(VALU_DEP_1)
	v_cmpx_ne_u32_e32 0x7f, v16
	s_cbranch_execz .LBB281_1813
; %bb.1810:                             ;   in Loop: Header=BB281_991 Depth=1
	v_and_b32_e32 v6, 7, v126
	v_lshrrev_b32_e32 v4, 3, v16
	s_mov_b32 s15, exec_lo
	v_cmpx_gt_u32_e32 8, v16
; %bb.1811:                             ;   in Loop: Header=BB281_991 Depth=1
	s_delay_alu instid0(VALU_DEP_3) | instskip(NEXT) | instid1(VALU_DEP_1)
	v_clz_i32_u32_e32 v4, v6
	v_min_u32_e32 v4, 32, v4
	s_delay_alu instid0(VALU_DEP_1) | instskip(SKIP_1) | instid1(VALU_DEP_2)
	v_subrev_nc_u32_e32 v5, 28, v4
	v_sub_nc_u32_e32 v4, 29, v4
	v_lshlrev_b64 v[5:6], v5, v[6:7]
	s_delay_alu instid0(VALU_DEP_1)
	v_and_b32_e32 v6, 7, v5
; %bb.1812:                             ;   in Loop: Header=BB281_991 Depth=1
	s_or_b32 exec_lo, exec_lo, s15
	v_lshlrev_b32_e32 v5, 24, v126
	s_delay_alu instid0(VALU_DEP_2) | instskip(SKIP_1) | instid1(VALU_DEP_3)
	v_lshlrev_b32_e32 v6, 20, v6
	v_lshl_add_u32 v4, v4, 23, 0x3c000000
	v_and_b32_e32 v5, 0x80000000, v5
	s_delay_alu instid0(VALU_DEP_1) | instskip(NEXT) | instid1(VALU_DEP_1)
	v_or3_b32 v6, v6, v5, v4
	v_dual_mov_b32 v4, v6 :: v_dual_mov_b32 v5, v7
.LBB281_1813:                           ;   in Loop: Header=BB281_991 Depth=1
	s_or_b32 exec_lo, exec_lo, s13
.LBB281_1814:                           ;   in Loop: Header=BB281_991 Depth=1
	s_delay_alu instid0(SALU_CYCLE_1)
	s_or_b32 exec_lo, exec_lo, s12
.LBB281_1815:                           ;   in Loop: Header=BB281_991 Depth=1
	s_delay_alu instid0(SALU_CYCLE_1) | instskip(SKIP_2) | instid1(VALU_DEP_1)
	s_or_b32 exec_lo, exec_lo, s10
	v_lshrrev_b16 v6, 8, v126
	s_mov_b32 s12, exec_lo
	v_cmpx_ne_u16_e32 0, v6
	s_cbranch_execz .LBB281_1823
; %bb.1816:                             ;   in Loop: Header=BB281_991 Depth=1
	v_dual_mov_b32 v15, s9 :: v_dual_mov_b32 v14, s8
	s_mov_b32 s13, exec_lo
	v_cmpx_ne_u16_e32 0x80, v6
	s_cbranch_execz .LBB281_1822
; %bb.1817:                             ;   in Loop: Header=BB281_991 Depth=1
	s_mov_b32 s10, s8
	v_dual_mov_b32 v15, s11 :: v_dual_and_b32 v6, 0xffff, v6
	v_mov_b32_e32 v14, s10
	s_mov_b32 s10, exec_lo
	s_delay_alu instid0(VALU_DEP_2) | instskip(NEXT) | instid1(VALU_DEP_1)
	v_and_b32_e32 v16, 0x7f, v6
	v_cmpx_ne_u32_e32 0x7f, v16
	s_cbranch_execz .LBB281_1821
; %bb.1818:                             ;   in Loop: Header=BB281_991 Depth=1
	v_and_b32_e32 v6, 7, v6
	v_lshrrev_b32_e32 v14, 3, v16
	s_mov_b32 s15, exec_lo
	v_cmpx_gt_u32_e32 8, v16
; %bb.1819:                             ;   in Loop: Header=BB281_991 Depth=1
	s_delay_alu instid0(VALU_DEP_3) | instskip(NEXT) | instid1(VALU_DEP_1)
	v_clz_i32_u32_e32 v14, v6
	v_min_u32_e32 v14, 32, v14
	s_delay_alu instid0(VALU_DEP_1) | instskip(SKIP_1) | instid1(VALU_DEP_2)
	v_subrev_nc_u32_e32 v15, 28, v14
	v_sub_nc_u32_e32 v14, 29, v14
	v_lshlrev_b64 v[15:16], v15, v[6:7]
	s_delay_alu instid0(VALU_DEP_1)
	v_and_b32_e32 v6, 7, v15
; %bb.1820:                             ;   in Loop: Header=BB281_991 Depth=1
	s_or_b32 exec_lo, exec_lo, s15
	v_lshlrev_b32_e32 v15, 16, v126
	s_delay_alu instid0(VALU_DEP_2) | instskip(SKIP_1) | instid1(VALU_DEP_3)
	v_lshlrev_b32_e32 v6, 20, v6
	v_lshl_add_u32 v14, v14, 23, 0x3c000000
	v_and_b32_e32 v15, 0x80000000, v15
	s_delay_alu instid0(VALU_DEP_1)
	v_or3_b32 v15, v6, v15, v14
	v_mov_b32_e32 v14, v7
.LBB281_1821:                           ;   in Loop: Header=BB281_991 Depth=1
	s_or_b32 exec_lo, exec_lo, s10
.LBB281_1822:                           ;   in Loop: Header=BB281_991 Depth=1
	s_delay_alu instid0(SALU_CYCLE_1)
	s_or_b32 exec_lo, exec_lo, s13
.LBB281_1823:                           ;   in Loop: Header=BB281_991 Depth=1
	s_delay_alu instid0(SALU_CYCLE_1) | instskip(SKIP_4) | instid1(VALU_DEP_2)
	s_or_b32 exec_lo, exec_lo, s12
	v_mov_b32_e32 v18, 0
	v_lshrrev_b32_e32 v127, 16, v126
	v_mov_b32_e32 v19, 0
	s_mov_b32 s10, exec_lo
	v_and_b32_e32 v6, 0xff, v127
	s_delay_alu instid0(VALU_DEP_2) | instskip(NEXT) | instid1(VALU_DEP_2)
	v_dual_mov_b32 v16, v18 :: v_dual_mov_b32 v17, v19
	v_cmpx_ne_u16_e32 0, v6
	s_cbranch_execz .LBB281_1831
; %bb.1824:                             ;   in Loop: Header=BB281_991 Depth=1
	v_bfrev_b32_e32 v16, 1
	v_mov_b32_e32 v17, 0
	s_mov_b32 s12, exec_lo
	v_cmpx_ne_u16_e32 0x80, v6
	s_cbranch_execz .LBB281_1830
; %bb.1825:                             ;   in Loop: Header=BB281_991 Depth=1
	v_mov_b32_e32 v16, 0x7f800001
	v_bfe_u32 v136, v126, 16, 7
	v_mov_b32_e32 v17, 0
	s_mov_b32 s13, exec_lo
	s_delay_alu instid0(VALU_DEP_2)
	v_cmpx_ne_u32_e32 0x7f, v136
	s_cbranch_execz .LBB281_1829
; %bb.1826:                             ;   in Loop: Header=BB281_991 Depth=1
	v_and_b32_e32 v6, 7, v127
	v_lshrrev_b32_e32 v16, 3, v136
	s_mov_b32 s15, exec_lo
	v_cmpx_gt_u32_e32 8, v136
; %bb.1827:                             ;   in Loop: Header=BB281_991 Depth=1
	s_delay_alu instid0(VALU_DEP_3) | instskip(NEXT) | instid1(VALU_DEP_1)
	v_clz_i32_u32_e32 v16, v6
	v_min_u32_e32 v16, 32, v16
	s_delay_alu instid0(VALU_DEP_1) | instskip(SKIP_1) | instid1(VALU_DEP_2)
	v_subrev_nc_u32_e32 v17, 28, v16
	v_sub_nc_u32_e32 v16, 29, v16
	v_lshlrev_b64 v[136:137], v17, v[6:7]
	s_delay_alu instid0(VALU_DEP_1)
	v_and_b32_e32 v6, 7, v136
; %bb.1828:                             ;   in Loop: Header=BB281_991 Depth=1
	s_or_b32 exec_lo, exec_lo, s15
	v_lshlrev_b32_e32 v17, 24, v127
	s_delay_alu instid0(VALU_DEP_2) | instskip(SKIP_1) | instid1(VALU_DEP_3)
	v_lshlrev_b32_e32 v6, 20, v6
	v_lshl_add_u32 v16, v16, 23, 0x3c000000
	v_and_b32_e32 v17, 0x80000000, v17
	s_delay_alu instid0(VALU_DEP_1) | instskip(NEXT) | instid1(VALU_DEP_1)
	v_or3_b32 v6, v6, v17, v16
	v_dual_mov_b32 v17, v7 :: v_dual_mov_b32 v16, v6
.LBB281_1829:                           ;   in Loop: Header=BB281_991 Depth=1
	s_or_b32 exec_lo, exec_lo, s13
.LBB281_1830:                           ;   in Loop: Header=BB281_991 Depth=1
	s_delay_alu instid0(SALU_CYCLE_1)
	s_or_b32 exec_lo, exec_lo, s12
.LBB281_1831:                           ;   in Loop: Header=BB281_991 Depth=1
	s_delay_alu instid0(SALU_CYCLE_1) | instskip(NEXT) | instid1(SALU_CYCLE_1)
	s_or_b32 exec_lo, exec_lo, s10
	s_mov_b32 s12, exec_lo
	v_cmpx_lt_u32_e32 0xffffff, v126
	s_cbranch_execz .LBB281_1839
; %bb.1832:                             ;   in Loop: Header=BB281_991 Depth=1
	v_lshrrev_b32_e32 v127, 24, v126
	v_dual_mov_b32 v19, s9 :: v_dual_mov_b32 v18, s8
	s_mov_b32 s13, exec_lo
	s_delay_alu instid0(VALU_DEP_2)
	v_cmpx_ne_u32_e32 0x80, v127
	s_cbranch_execz .LBB281_1838
; %bb.1833:                             ;   in Loop: Header=BB281_991 Depth=1
	s_mov_b32 s10, s8
	v_bfe_u32 v126, v126, 24, 7
	v_dual_mov_b32 v19, s11 :: v_dual_mov_b32 v18, s10
	s_mov_b32 s10, exec_lo
	s_delay_alu instid0(VALU_DEP_2)
	v_cmpx_ne_u32_e32 0x7f, v126
	s_cbranch_execz .LBB281_1837
; %bb.1834:                             ;   in Loop: Header=BB281_991 Depth=1
	v_and_b32_e32 v6, 7, v127
	v_lshrrev_b32_e32 v18, 3, v126
	s_mov_b32 s15, exec_lo
	v_cmpx_gt_u32_e32 8, v126
; %bb.1835:                             ;   in Loop: Header=BB281_991 Depth=1
	s_delay_alu instid0(VALU_DEP_3) | instskip(NEXT) | instid1(VALU_DEP_1)
	v_clz_i32_u32_e32 v18, v6
	v_min_u32_e32 v18, 32, v18
	s_delay_alu instid0(VALU_DEP_1) | instskip(SKIP_1) | instid1(VALU_DEP_2)
	v_subrev_nc_u32_e32 v19, 28, v18
	v_sub_nc_u32_e32 v18, 29, v18
	v_lshlrev_b64 v[136:137], v19, v[6:7]
	s_delay_alu instid0(VALU_DEP_1)
	v_and_b32_e32 v6, 7, v136
; %bb.1836:                             ;   in Loop: Header=BB281_991 Depth=1
	s_or_b32 exec_lo, exec_lo, s15
	v_lshlrev_b32_e32 v19, 24, v127
	s_delay_alu instid0(VALU_DEP_2) | instskip(SKIP_1) | instid1(VALU_DEP_3)
	v_lshlrev_b32_e32 v6, 20, v6
	v_lshl_add_u32 v18, v18, 23, 0x3c000000
	v_and_b32_e32 v19, 0x80000000, v19
	s_delay_alu instid0(VALU_DEP_1)
	v_or3_b32 v19, v6, v19, v18
	v_mov_b32_e32 v18, v7
.LBB281_1837:                           ;   in Loop: Header=BB281_991 Depth=1
	s_or_b32 exec_lo, exec_lo, s10
.LBB281_1838:                           ;   in Loop: Header=BB281_991 Depth=1
	s_delay_alu instid0(SALU_CYCLE_1)
	s_or_b32 exec_lo, exec_lo, s13
.LBB281_1839:                           ;   in Loop: Header=BB281_991 Depth=1
	s_delay_alu instid0(SALU_CYCLE_1) | instskip(SKIP_4) | instid1(VALU_DEP_4)
	s_or_b32 exec_lo, exec_lo, s12
	v_or_b32_e32 v5, v15, v5
	v_or_b32_e32 v4, v14, v4
	;; [unrolled: 1-line block ×4, first 2 shown]
	v_mul_f32_e32 v137, v82, v5
	s_delay_alu instid0(VALU_DEP_4) | instskip(NEXT) | instid1(VALU_DEP_4)
	v_mul_f32_e32 v136, v70, v4
	v_mul_f32_e32 v126, v82, v6
	s_delay_alu instid0(VALU_DEP_4)
	v_mul_f32_e32 v127, v70, v14
	s_and_saveexec_b32 s10, vcc_lo
; %bb.1840:                             ;   in Loop: Header=BB281_991 Depth=1
	v_cmp_lt_i32_e64 s0, v87, v170
	s_delay_alu instid0(VALU_DEP_1) | instskip(SKIP_1) | instid1(VALU_DEP_1)
	v_cndmask_b32_e64 v136, 0, v136, s0
	v_cmp_lt_i32_e64 s0, v97, v170
	v_cndmask_b32_e64 v137, 0, v137, s0
	v_cmp_lt_i32_e64 s0, v96, v170
	s_delay_alu instid0(VALU_DEP_1) | instskip(SKIP_1) | instid1(VALU_DEP_1)
	v_cndmask_b32_e64 v127, 0, v127, s0
	v_cmp_lt_i32_e64 s0, v80, v170
	v_cndmask_b32_e64 v126, 0, v126, s0
; %bb.1841:                             ;   in Loop: Header=BB281_991 Depth=1
	s_or_b32 exec_lo, exec_lo, s10
	flat_load_b32 v138, v[12:13] offset:3200
	v_mov_b32_e32 v14, 0
	v_mov_b32_e32 v15, 0
	s_mov_b32 s10, exec_lo
	s_waitcnt vmcnt(0) lgkmcnt(0)
	v_and_b32_e32 v6, 0xff, v138
	s_delay_alu instid0(VALU_DEP_2) | instskip(NEXT) | instid1(VALU_DEP_2)
	v_dual_mov_b32 v4, v14 :: v_dual_mov_b32 v5, v15
	v_cmpx_ne_u16_e32 0, v6
	s_cbranch_execz .LBB281_1849
; %bb.1842:                             ;   in Loop: Header=BB281_991 Depth=1
	v_bfrev_b32_e32 v4, 1
	v_mov_b32_e32 v5, 0
	s_mov_b32 s12, exec_lo
	v_cmpx_ne_u16_e32 0x80, v6
	s_cbranch_execz .LBB281_1848
; %bb.1843:                             ;   in Loop: Header=BB281_991 Depth=1
	v_mov_b32_e32 v4, 0x7f800001
	v_dual_mov_b32 v5, 0 :: v_dual_and_b32 v16, 0x7f, v138
	s_mov_b32 s13, exec_lo
	s_delay_alu instid0(VALU_DEP_1)
	v_cmpx_ne_u32_e32 0x7f, v16
	s_cbranch_execz .LBB281_1847
; %bb.1844:                             ;   in Loop: Header=BB281_991 Depth=1
	v_and_b32_e32 v6, 7, v138
	v_lshrrev_b32_e32 v4, 3, v16
	s_mov_b32 s15, exec_lo
	v_cmpx_gt_u32_e32 8, v16
; %bb.1845:                             ;   in Loop: Header=BB281_991 Depth=1
	s_delay_alu instid0(VALU_DEP_3) | instskip(NEXT) | instid1(VALU_DEP_1)
	v_clz_i32_u32_e32 v4, v6
	v_min_u32_e32 v4, 32, v4
	s_delay_alu instid0(VALU_DEP_1) | instskip(SKIP_1) | instid1(VALU_DEP_2)
	v_subrev_nc_u32_e32 v5, 28, v4
	v_sub_nc_u32_e32 v4, 29, v4
	v_lshlrev_b64 v[5:6], v5, v[6:7]
	s_delay_alu instid0(VALU_DEP_1)
	v_and_b32_e32 v6, 7, v5
; %bb.1846:                             ;   in Loop: Header=BB281_991 Depth=1
	s_or_b32 exec_lo, exec_lo, s15
	v_lshlrev_b32_e32 v5, 24, v138
	s_delay_alu instid0(VALU_DEP_2) | instskip(SKIP_1) | instid1(VALU_DEP_3)
	v_lshlrev_b32_e32 v6, 20, v6
	v_lshl_add_u32 v4, v4, 23, 0x3c000000
	v_and_b32_e32 v5, 0x80000000, v5
	s_delay_alu instid0(VALU_DEP_1) | instskip(NEXT) | instid1(VALU_DEP_1)
	v_or3_b32 v6, v6, v5, v4
	v_dual_mov_b32 v4, v6 :: v_dual_mov_b32 v5, v7
.LBB281_1847:                           ;   in Loop: Header=BB281_991 Depth=1
	s_or_b32 exec_lo, exec_lo, s13
.LBB281_1848:                           ;   in Loop: Header=BB281_991 Depth=1
	s_delay_alu instid0(SALU_CYCLE_1)
	s_or_b32 exec_lo, exec_lo, s12
.LBB281_1849:                           ;   in Loop: Header=BB281_991 Depth=1
	s_delay_alu instid0(SALU_CYCLE_1) | instskip(SKIP_2) | instid1(VALU_DEP_1)
	s_or_b32 exec_lo, exec_lo, s10
	v_lshrrev_b16 v6, 8, v138
	s_mov_b32 s12, exec_lo
	v_cmpx_ne_u16_e32 0, v6
	s_cbranch_execz .LBB281_1857
; %bb.1850:                             ;   in Loop: Header=BB281_991 Depth=1
	v_dual_mov_b32 v15, s9 :: v_dual_mov_b32 v14, s8
	s_mov_b32 s13, exec_lo
	v_cmpx_ne_u16_e32 0x80, v6
	s_cbranch_execz .LBB281_1856
; %bb.1851:                             ;   in Loop: Header=BB281_991 Depth=1
	s_mov_b32 s10, s8
	v_dual_mov_b32 v15, s11 :: v_dual_and_b32 v6, 0xffff, v6
	v_mov_b32_e32 v14, s10
	s_mov_b32 s10, exec_lo
	s_delay_alu instid0(VALU_DEP_2) | instskip(NEXT) | instid1(VALU_DEP_1)
	v_and_b32_e32 v16, 0x7f, v6
	v_cmpx_ne_u32_e32 0x7f, v16
	s_cbranch_execz .LBB281_1855
; %bb.1852:                             ;   in Loop: Header=BB281_991 Depth=1
	v_and_b32_e32 v6, 7, v6
	v_lshrrev_b32_e32 v14, 3, v16
	s_mov_b32 s15, exec_lo
	v_cmpx_gt_u32_e32 8, v16
; %bb.1853:                             ;   in Loop: Header=BB281_991 Depth=1
	s_delay_alu instid0(VALU_DEP_3) | instskip(NEXT) | instid1(VALU_DEP_1)
	v_clz_i32_u32_e32 v14, v6
	v_min_u32_e32 v14, 32, v14
	s_delay_alu instid0(VALU_DEP_1) | instskip(SKIP_1) | instid1(VALU_DEP_2)
	v_subrev_nc_u32_e32 v15, 28, v14
	v_sub_nc_u32_e32 v14, 29, v14
	v_lshlrev_b64 v[15:16], v15, v[6:7]
	s_delay_alu instid0(VALU_DEP_1)
	v_and_b32_e32 v6, 7, v15
; %bb.1854:                             ;   in Loop: Header=BB281_991 Depth=1
	s_or_b32 exec_lo, exec_lo, s15
	v_lshlrev_b32_e32 v15, 16, v138
	s_delay_alu instid0(VALU_DEP_2) | instskip(SKIP_1) | instid1(VALU_DEP_3)
	v_lshlrev_b32_e32 v6, 20, v6
	v_lshl_add_u32 v14, v14, 23, 0x3c000000
	v_and_b32_e32 v15, 0x80000000, v15
	s_delay_alu instid0(VALU_DEP_1)
	v_or3_b32 v15, v6, v15, v14
	v_mov_b32_e32 v14, v7
.LBB281_1855:                           ;   in Loop: Header=BB281_991 Depth=1
	s_or_b32 exec_lo, exec_lo, s10
.LBB281_1856:                           ;   in Loop: Header=BB281_991 Depth=1
	s_delay_alu instid0(SALU_CYCLE_1)
	s_or_b32 exec_lo, exec_lo, s13
.LBB281_1857:                           ;   in Loop: Header=BB281_991 Depth=1
	s_delay_alu instid0(SALU_CYCLE_1) | instskip(SKIP_4) | instid1(VALU_DEP_2)
	s_or_b32 exec_lo, exec_lo, s12
	v_mov_b32_e32 v18, 0
	v_lshrrev_b32_e32 v139, 16, v138
	v_mov_b32_e32 v19, 0
	s_mov_b32 s10, exec_lo
	v_and_b32_e32 v6, 0xff, v139
	s_delay_alu instid0(VALU_DEP_2) | instskip(NEXT) | instid1(VALU_DEP_2)
	v_dual_mov_b32 v16, v18 :: v_dual_mov_b32 v17, v19
	v_cmpx_ne_u16_e32 0, v6
	s_cbranch_execz .LBB281_1865
; %bb.1858:                             ;   in Loop: Header=BB281_991 Depth=1
	v_bfrev_b32_e32 v16, 1
	v_mov_b32_e32 v17, 0
	s_mov_b32 s12, exec_lo
	v_cmpx_ne_u16_e32 0x80, v6
	s_cbranch_execz .LBB281_1864
; %bb.1859:                             ;   in Loop: Header=BB281_991 Depth=1
	v_mov_b32_e32 v16, 0x7f800001
	v_bfe_u32 v140, v138, 16, 7
	v_mov_b32_e32 v17, 0
	s_mov_b32 s13, exec_lo
	s_delay_alu instid0(VALU_DEP_2)
	v_cmpx_ne_u32_e32 0x7f, v140
	s_cbranch_execz .LBB281_1863
; %bb.1860:                             ;   in Loop: Header=BB281_991 Depth=1
	v_and_b32_e32 v6, 7, v139
	v_lshrrev_b32_e32 v16, 3, v140
	s_mov_b32 s15, exec_lo
	v_cmpx_gt_u32_e32 8, v140
; %bb.1861:                             ;   in Loop: Header=BB281_991 Depth=1
	s_delay_alu instid0(VALU_DEP_3) | instskip(NEXT) | instid1(VALU_DEP_1)
	v_clz_i32_u32_e32 v16, v6
	v_min_u32_e32 v16, 32, v16
	s_delay_alu instid0(VALU_DEP_1) | instskip(SKIP_1) | instid1(VALU_DEP_2)
	v_subrev_nc_u32_e32 v17, 28, v16
	v_sub_nc_u32_e32 v16, 29, v16
	v_lshlrev_b64 v[140:141], v17, v[6:7]
	s_delay_alu instid0(VALU_DEP_1)
	v_and_b32_e32 v6, 7, v140
; %bb.1862:                             ;   in Loop: Header=BB281_991 Depth=1
	s_or_b32 exec_lo, exec_lo, s15
	v_lshlrev_b32_e32 v17, 24, v139
	s_delay_alu instid0(VALU_DEP_2) | instskip(SKIP_1) | instid1(VALU_DEP_3)
	v_lshlrev_b32_e32 v6, 20, v6
	v_lshl_add_u32 v16, v16, 23, 0x3c000000
	v_and_b32_e32 v17, 0x80000000, v17
	s_delay_alu instid0(VALU_DEP_1) | instskip(NEXT) | instid1(VALU_DEP_1)
	v_or3_b32 v6, v6, v17, v16
	v_dual_mov_b32 v17, v7 :: v_dual_mov_b32 v16, v6
.LBB281_1863:                           ;   in Loop: Header=BB281_991 Depth=1
	s_or_b32 exec_lo, exec_lo, s13
.LBB281_1864:                           ;   in Loop: Header=BB281_991 Depth=1
	s_delay_alu instid0(SALU_CYCLE_1)
	s_or_b32 exec_lo, exec_lo, s12
.LBB281_1865:                           ;   in Loop: Header=BB281_991 Depth=1
	s_delay_alu instid0(SALU_CYCLE_1) | instskip(NEXT) | instid1(SALU_CYCLE_1)
	s_or_b32 exec_lo, exec_lo, s10
	s_mov_b32 s12, exec_lo
	v_cmpx_lt_u32_e32 0xffffff, v138
	s_cbranch_execz .LBB281_1873
; %bb.1866:                             ;   in Loop: Header=BB281_991 Depth=1
	v_lshrrev_b32_e32 v139, 24, v138
	v_dual_mov_b32 v19, s9 :: v_dual_mov_b32 v18, s8
	s_mov_b32 s13, exec_lo
	s_delay_alu instid0(VALU_DEP_2)
	v_cmpx_ne_u32_e32 0x80, v139
	s_cbranch_execz .LBB281_1872
; %bb.1867:                             ;   in Loop: Header=BB281_991 Depth=1
	s_mov_b32 s10, s8
	v_bfe_u32 v138, v138, 24, 7
	v_dual_mov_b32 v19, s11 :: v_dual_mov_b32 v18, s10
	s_mov_b32 s10, exec_lo
	s_delay_alu instid0(VALU_DEP_2)
	v_cmpx_ne_u32_e32 0x7f, v138
	s_cbranch_execz .LBB281_1871
; %bb.1868:                             ;   in Loop: Header=BB281_991 Depth=1
	v_and_b32_e32 v6, 7, v139
	v_lshrrev_b32_e32 v18, 3, v138
	s_mov_b32 s15, exec_lo
	v_cmpx_gt_u32_e32 8, v138
; %bb.1869:                             ;   in Loop: Header=BB281_991 Depth=1
	s_delay_alu instid0(VALU_DEP_3) | instskip(NEXT) | instid1(VALU_DEP_1)
	v_clz_i32_u32_e32 v18, v6
	v_min_u32_e32 v18, 32, v18
	s_delay_alu instid0(VALU_DEP_1) | instskip(SKIP_1) | instid1(VALU_DEP_2)
	v_subrev_nc_u32_e32 v19, 28, v18
	v_sub_nc_u32_e32 v18, 29, v18
	v_lshlrev_b64 v[140:141], v19, v[6:7]
	s_delay_alu instid0(VALU_DEP_1)
	v_and_b32_e32 v6, 7, v140
; %bb.1870:                             ;   in Loop: Header=BB281_991 Depth=1
	s_or_b32 exec_lo, exec_lo, s15
	v_lshlrev_b32_e32 v19, 24, v139
	s_delay_alu instid0(VALU_DEP_2) | instskip(SKIP_1) | instid1(VALU_DEP_3)
	v_lshlrev_b32_e32 v6, 20, v6
	v_lshl_add_u32 v18, v18, 23, 0x3c000000
	v_and_b32_e32 v19, 0x80000000, v19
	s_delay_alu instid0(VALU_DEP_1)
	v_or3_b32 v19, v6, v19, v18
	v_mov_b32_e32 v18, v7
.LBB281_1871:                           ;   in Loop: Header=BB281_991 Depth=1
	s_or_b32 exec_lo, exec_lo, s10
.LBB281_1872:                           ;   in Loop: Header=BB281_991 Depth=1
	s_delay_alu instid0(SALU_CYCLE_1)
	s_or_b32 exec_lo, exec_lo, s13
.LBB281_1873:                           ;   in Loop: Header=BB281_991 Depth=1
	s_delay_alu instid0(SALU_CYCLE_1) | instskip(SKIP_4) | instid1(VALU_DEP_4)
	s_or_b32 exec_lo, exec_lo, s12
	v_or_b32_e32 v5, v15, v5
	v_or_b32_e32 v4, v14, v4
	;; [unrolled: 1-line block ×4, first 2 shown]
	v_mul_f32_e32 v141, v82, v5
	s_delay_alu instid0(VALU_DEP_4) | instskip(NEXT) | instid1(VALU_DEP_4)
	v_mul_f32_e32 v140, v70, v4
	v_mul_f32_e32 v138, v82, v6
	s_delay_alu instid0(VALU_DEP_4)
	v_mul_f32_e32 v139, v70, v14
	s_and_saveexec_b32 s10, vcc_lo
; %bb.1874:                             ;   in Loop: Header=BB281_991 Depth=1
	v_cmp_lt_i32_e64 s0, v87, v170
	s_delay_alu instid0(VALU_DEP_1) | instskip(SKIP_1) | instid1(VALU_DEP_1)
	v_cndmask_b32_e64 v140, 0, v140, s0
	v_cmp_lt_i32_e64 s0, v97, v170
	v_cndmask_b32_e64 v141, 0, v141, s0
	v_cmp_lt_i32_e64 s0, v96, v170
	s_delay_alu instid0(VALU_DEP_1) | instskip(SKIP_1) | instid1(VALU_DEP_1)
	v_cndmask_b32_e64 v139, 0, v139, s0
	v_cmp_lt_i32_e64 s0, v80, v170
	v_cndmask_b32_e64 v138, 0, v138, s0
; %bb.1875:                             ;   in Loop: Header=BB281_991 Depth=1
	s_or_b32 exec_lo, exec_lo, s10
	flat_load_b32 v142, v[12:13] offset:3328
	v_mov_b32_e32 v14, 0
	v_mov_b32_e32 v15, 0
	s_mov_b32 s10, exec_lo
	s_waitcnt vmcnt(0) lgkmcnt(0)
	v_and_b32_e32 v6, 0xff, v142
	s_delay_alu instid0(VALU_DEP_2) | instskip(NEXT) | instid1(VALU_DEP_2)
	v_dual_mov_b32 v4, v14 :: v_dual_mov_b32 v5, v15
	v_cmpx_ne_u16_e32 0, v6
	s_cbranch_execz .LBB281_1883
; %bb.1876:                             ;   in Loop: Header=BB281_991 Depth=1
	v_bfrev_b32_e32 v4, 1
	v_mov_b32_e32 v5, 0
	s_mov_b32 s12, exec_lo
	v_cmpx_ne_u16_e32 0x80, v6
	s_cbranch_execz .LBB281_1882
; %bb.1877:                             ;   in Loop: Header=BB281_991 Depth=1
	v_mov_b32_e32 v4, 0x7f800001
	v_dual_mov_b32 v5, 0 :: v_dual_and_b32 v16, 0x7f, v142
	s_mov_b32 s13, exec_lo
	s_delay_alu instid0(VALU_DEP_1)
	v_cmpx_ne_u32_e32 0x7f, v16
	s_cbranch_execz .LBB281_1881
; %bb.1878:                             ;   in Loop: Header=BB281_991 Depth=1
	v_and_b32_e32 v6, 7, v142
	v_lshrrev_b32_e32 v4, 3, v16
	s_mov_b32 s15, exec_lo
	v_cmpx_gt_u32_e32 8, v16
; %bb.1879:                             ;   in Loop: Header=BB281_991 Depth=1
	s_delay_alu instid0(VALU_DEP_3) | instskip(NEXT) | instid1(VALU_DEP_1)
	v_clz_i32_u32_e32 v4, v6
	v_min_u32_e32 v4, 32, v4
	s_delay_alu instid0(VALU_DEP_1) | instskip(SKIP_1) | instid1(VALU_DEP_2)
	v_subrev_nc_u32_e32 v5, 28, v4
	v_sub_nc_u32_e32 v4, 29, v4
	v_lshlrev_b64 v[5:6], v5, v[6:7]
	s_delay_alu instid0(VALU_DEP_1)
	v_and_b32_e32 v6, 7, v5
; %bb.1880:                             ;   in Loop: Header=BB281_991 Depth=1
	s_or_b32 exec_lo, exec_lo, s15
	v_lshlrev_b32_e32 v5, 24, v142
	s_delay_alu instid0(VALU_DEP_2) | instskip(SKIP_1) | instid1(VALU_DEP_3)
	v_lshlrev_b32_e32 v6, 20, v6
	v_lshl_add_u32 v4, v4, 23, 0x3c000000
	v_and_b32_e32 v5, 0x80000000, v5
	s_delay_alu instid0(VALU_DEP_1) | instskip(NEXT) | instid1(VALU_DEP_1)
	v_or3_b32 v6, v6, v5, v4
	v_dual_mov_b32 v4, v6 :: v_dual_mov_b32 v5, v7
.LBB281_1881:                           ;   in Loop: Header=BB281_991 Depth=1
	s_or_b32 exec_lo, exec_lo, s13
.LBB281_1882:                           ;   in Loop: Header=BB281_991 Depth=1
	s_delay_alu instid0(SALU_CYCLE_1)
	s_or_b32 exec_lo, exec_lo, s12
.LBB281_1883:                           ;   in Loop: Header=BB281_991 Depth=1
	s_delay_alu instid0(SALU_CYCLE_1) | instskip(SKIP_2) | instid1(VALU_DEP_1)
	s_or_b32 exec_lo, exec_lo, s10
	v_lshrrev_b16 v6, 8, v142
	s_mov_b32 s12, exec_lo
	v_cmpx_ne_u16_e32 0, v6
	s_cbranch_execz .LBB281_1891
; %bb.1884:                             ;   in Loop: Header=BB281_991 Depth=1
	v_dual_mov_b32 v15, s9 :: v_dual_mov_b32 v14, s8
	s_mov_b32 s13, exec_lo
	v_cmpx_ne_u16_e32 0x80, v6
	s_cbranch_execz .LBB281_1890
; %bb.1885:                             ;   in Loop: Header=BB281_991 Depth=1
	s_mov_b32 s10, s8
	v_dual_mov_b32 v15, s11 :: v_dual_and_b32 v6, 0xffff, v6
	v_mov_b32_e32 v14, s10
	s_mov_b32 s10, exec_lo
	s_delay_alu instid0(VALU_DEP_2) | instskip(NEXT) | instid1(VALU_DEP_1)
	v_and_b32_e32 v16, 0x7f, v6
	v_cmpx_ne_u32_e32 0x7f, v16
	s_cbranch_execz .LBB281_1889
; %bb.1886:                             ;   in Loop: Header=BB281_991 Depth=1
	v_and_b32_e32 v6, 7, v6
	v_lshrrev_b32_e32 v14, 3, v16
	s_mov_b32 s15, exec_lo
	v_cmpx_gt_u32_e32 8, v16
; %bb.1887:                             ;   in Loop: Header=BB281_991 Depth=1
	s_delay_alu instid0(VALU_DEP_3) | instskip(NEXT) | instid1(VALU_DEP_1)
	v_clz_i32_u32_e32 v14, v6
	v_min_u32_e32 v14, 32, v14
	s_delay_alu instid0(VALU_DEP_1) | instskip(SKIP_1) | instid1(VALU_DEP_2)
	v_subrev_nc_u32_e32 v15, 28, v14
	v_sub_nc_u32_e32 v14, 29, v14
	v_lshlrev_b64 v[15:16], v15, v[6:7]
	s_delay_alu instid0(VALU_DEP_1)
	v_and_b32_e32 v6, 7, v15
; %bb.1888:                             ;   in Loop: Header=BB281_991 Depth=1
	s_or_b32 exec_lo, exec_lo, s15
	v_lshlrev_b32_e32 v15, 16, v142
	s_delay_alu instid0(VALU_DEP_2) | instskip(SKIP_1) | instid1(VALU_DEP_3)
	v_lshlrev_b32_e32 v6, 20, v6
	v_lshl_add_u32 v14, v14, 23, 0x3c000000
	v_and_b32_e32 v15, 0x80000000, v15
	s_delay_alu instid0(VALU_DEP_1)
	v_or3_b32 v15, v6, v15, v14
	v_mov_b32_e32 v14, v7
.LBB281_1889:                           ;   in Loop: Header=BB281_991 Depth=1
	s_or_b32 exec_lo, exec_lo, s10
.LBB281_1890:                           ;   in Loop: Header=BB281_991 Depth=1
	s_delay_alu instid0(SALU_CYCLE_1)
	s_or_b32 exec_lo, exec_lo, s13
.LBB281_1891:                           ;   in Loop: Header=BB281_991 Depth=1
	s_delay_alu instid0(SALU_CYCLE_1) | instskip(SKIP_4) | instid1(VALU_DEP_2)
	s_or_b32 exec_lo, exec_lo, s12
	v_mov_b32_e32 v18, 0
	v_lshrrev_b32_e32 v143, 16, v142
	v_mov_b32_e32 v19, 0
	s_mov_b32 s10, exec_lo
	v_and_b32_e32 v6, 0xff, v143
	s_delay_alu instid0(VALU_DEP_2) | instskip(NEXT) | instid1(VALU_DEP_2)
	v_dual_mov_b32 v16, v18 :: v_dual_mov_b32 v17, v19
	v_cmpx_ne_u16_e32 0, v6
	s_cbranch_execz .LBB281_1899
; %bb.1892:                             ;   in Loop: Header=BB281_991 Depth=1
	v_bfrev_b32_e32 v16, 1
	v_mov_b32_e32 v17, 0
	s_mov_b32 s12, exec_lo
	v_cmpx_ne_u16_e32 0x80, v6
	s_cbranch_execz .LBB281_1898
; %bb.1893:                             ;   in Loop: Header=BB281_991 Depth=1
	v_mov_b32_e32 v16, 0x7f800001
	v_bfe_u32 v152, v142, 16, 7
	v_mov_b32_e32 v17, 0
	s_mov_b32 s13, exec_lo
	s_delay_alu instid0(VALU_DEP_2)
	v_cmpx_ne_u32_e32 0x7f, v152
	s_cbranch_execz .LBB281_1897
; %bb.1894:                             ;   in Loop: Header=BB281_991 Depth=1
	v_and_b32_e32 v6, 7, v143
	v_lshrrev_b32_e32 v16, 3, v152
	s_mov_b32 s15, exec_lo
	v_cmpx_gt_u32_e32 8, v152
; %bb.1895:                             ;   in Loop: Header=BB281_991 Depth=1
	s_delay_alu instid0(VALU_DEP_3) | instskip(NEXT) | instid1(VALU_DEP_1)
	v_clz_i32_u32_e32 v16, v6
	v_min_u32_e32 v16, 32, v16
	s_delay_alu instid0(VALU_DEP_1) | instskip(SKIP_1) | instid1(VALU_DEP_2)
	v_subrev_nc_u32_e32 v17, 28, v16
	v_sub_nc_u32_e32 v16, 29, v16
	v_lshlrev_b64 v[152:153], v17, v[6:7]
	s_delay_alu instid0(VALU_DEP_1)
	v_and_b32_e32 v6, 7, v152
; %bb.1896:                             ;   in Loop: Header=BB281_991 Depth=1
	s_or_b32 exec_lo, exec_lo, s15
	v_lshlrev_b32_e32 v17, 24, v143
	s_delay_alu instid0(VALU_DEP_2) | instskip(SKIP_1) | instid1(VALU_DEP_3)
	v_lshlrev_b32_e32 v6, 20, v6
	v_lshl_add_u32 v16, v16, 23, 0x3c000000
	v_and_b32_e32 v17, 0x80000000, v17
	s_delay_alu instid0(VALU_DEP_1) | instskip(NEXT) | instid1(VALU_DEP_1)
	v_or3_b32 v6, v6, v17, v16
	v_dual_mov_b32 v17, v7 :: v_dual_mov_b32 v16, v6
.LBB281_1897:                           ;   in Loop: Header=BB281_991 Depth=1
	s_or_b32 exec_lo, exec_lo, s13
.LBB281_1898:                           ;   in Loop: Header=BB281_991 Depth=1
	s_delay_alu instid0(SALU_CYCLE_1)
	s_or_b32 exec_lo, exec_lo, s12
.LBB281_1899:                           ;   in Loop: Header=BB281_991 Depth=1
	s_delay_alu instid0(SALU_CYCLE_1) | instskip(NEXT) | instid1(SALU_CYCLE_1)
	s_or_b32 exec_lo, exec_lo, s10
	s_mov_b32 s12, exec_lo
	v_cmpx_lt_u32_e32 0xffffff, v142
	s_cbranch_execz .LBB281_1907
; %bb.1900:                             ;   in Loop: Header=BB281_991 Depth=1
	v_lshrrev_b32_e32 v143, 24, v142
	v_dual_mov_b32 v19, s9 :: v_dual_mov_b32 v18, s8
	s_mov_b32 s13, exec_lo
	s_delay_alu instid0(VALU_DEP_2)
	v_cmpx_ne_u32_e32 0x80, v143
	s_cbranch_execz .LBB281_1906
; %bb.1901:                             ;   in Loop: Header=BB281_991 Depth=1
	s_mov_b32 s10, s8
	v_bfe_u32 v142, v142, 24, 7
	v_dual_mov_b32 v19, s11 :: v_dual_mov_b32 v18, s10
	s_mov_b32 s10, exec_lo
	s_delay_alu instid0(VALU_DEP_2)
	v_cmpx_ne_u32_e32 0x7f, v142
	s_cbranch_execz .LBB281_1905
; %bb.1902:                             ;   in Loop: Header=BB281_991 Depth=1
	v_and_b32_e32 v6, 7, v143
	v_lshrrev_b32_e32 v18, 3, v142
	s_mov_b32 s15, exec_lo
	v_cmpx_gt_u32_e32 8, v142
; %bb.1903:                             ;   in Loop: Header=BB281_991 Depth=1
	s_delay_alu instid0(VALU_DEP_3) | instskip(NEXT) | instid1(VALU_DEP_1)
	v_clz_i32_u32_e32 v18, v6
	v_min_u32_e32 v18, 32, v18
	s_delay_alu instid0(VALU_DEP_1) | instskip(SKIP_1) | instid1(VALU_DEP_2)
	v_subrev_nc_u32_e32 v19, 28, v18
	v_sub_nc_u32_e32 v18, 29, v18
	v_lshlrev_b64 v[152:153], v19, v[6:7]
	s_delay_alu instid0(VALU_DEP_1)
	v_and_b32_e32 v6, 7, v152
; %bb.1904:                             ;   in Loop: Header=BB281_991 Depth=1
	s_or_b32 exec_lo, exec_lo, s15
	v_lshlrev_b32_e32 v19, 24, v143
	s_delay_alu instid0(VALU_DEP_2) | instskip(SKIP_1) | instid1(VALU_DEP_3)
	v_lshlrev_b32_e32 v6, 20, v6
	v_lshl_add_u32 v18, v18, 23, 0x3c000000
	v_and_b32_e32 v19, 0x80000000, v19
	s_delay_alu instid0(VALU_DEP_1)
	v_or3_b32 v19, v6, v19, v18
	v_mov_b32_e32 v18, v7
.LBB281_1905:                           ;   in Loop: Header=BB281_991 Depth=1
	s_or_b32 exec_lo, exec_lo, s10
.LBB281_1906:                           ;   in Loop: Header=BB281_991 Depth=1
	s_delay_alu instid0(SALU_CYCLE_1)
	s_or_b32 exec_lo, exec_lo, s13
.LBB281_1907:                           ;   in Loop: Header=BB281_991 Depth=1
	s_delay_alu instid0(SALU_CYCLE_1) | instskip(SKIP_4) | instid1(VALU_DEP_4)
	s_or_b32 exec_lo, exec_lo, s12
	v_or_b32_e32 v5, v15, v5
	v_or_b32_e32 v4, v14, v4
	;; [unrolled: 1-line block ×4, first 2 shown]
	v_mul_f32_e32 v153, v82, v5
	s_delay_alu instid0(VALU_DEP_4) | instskip(NEXT) | instid1(VALU_DEP_4)
	v_mul_f32_e32 v152, v70, v4
	v_mul_f32_e32 v142, v82, v6
	s_delay_alu instid0(VALU_DEP_4)
	v_mul_f32_e32 v143, v70, v14
	s_and_saveexec_b32 s10, vcc_lo
; %bb.1908:                             ;   in Loop: Header=BB281_991 Depth=1
	v_cmp_lt_i32_e64 s0, v87, v170
	s_delay_alu instid0(VALU_DEP_1) | instskip(SKIP_1) | instid1(VALU_DEP_1)
	v_cndmask_b32_e64 v152, 0, v152, s0
	v_cmp_lt_i32_e64 s0, v97, v170
	v_cndmask_b32_e64 v153, 0, v153, s0
	v_cmp_lt_i32_e64 s0, v96, v170
	s_delay_alu instid0(VALU_DEP_1) | instskip(SKIP_1) | instid1(VALU_DEP_1)
	v_cndmask_b32_e64 v143, 0, v143, s0
	v_cmp_lt_i32_e64 s0, v80, v170
	v_cndmask_b32_e64 v142, 0, v142, s0
; %bb.1909:                             ;   in Loop: Header=BB281_991 Depth=1
	s_or_b32 exec_lo, exec_lo, s10
	flat_load_b32 v154, v[12:13] offset:3456
	v_mov_b32_e32 v14, 0
	v_mov_b32_e32 v15, 0
	s_mov_b32 s10, exec_lo
	s_waitcnt vmcnt(0) lgkmcnt(0)
	v_and_b32_e32 v6, 0xff, v154
	s_delay_alu instid0(VALU_DEP_2) | instskip(NEXT) | instid1(VALU_DEP_2)
	v_dual_mov_b32 v4, v14 :: v_dual_mov_b32 v5, v15
	v_cmpx_ne_u16_e32 0, v6
	s_cbranch_execz .LBB281_1917
; %bb.1910:                             ;   in Loop: Header=BB281_991 Depth=1
	v_bfrev_b32_e32 v4, 1
	v_mov_b32_e32 v5, 0
	s_mov_b32 s12, exec_lo
	v_cmpx_ne_u16_e32 0x80, v6
	s_cbranch_execz .LBB281_1916
; %bb.1911:                             ;   in Loop: Header=BB281_991 Depth=1
	v_mov_b32_e32 v4, 0x7f800001
	v_dual_mov_b32 v5, 0 :: v_dual_and_b32 v16, 0x7f, v154
	s_mov_b32 s13, exec_lo
	s_delay_alu instid0(VALU_DEP_1)
	v_cmpx_ne_u32_e32 0x7f, v16
	s_cbranch_execz .LBB281_1915
; %bb.1912:                             ;   in Loop: Header=BB281_991 Depth=1
	v_and_b32_e32 v6, 7, v154
	v_lshrrev_b32_e32 v4, 3, v16
	s_mov_b32 s15, exec_lo
	v_cmpx_gt_u32_e32 8, v16
; %bb.1913:                             ;   in Loop: Header=BB281_991 Depth=1
	s_delay_alu instid0(VALU_DEP_3) | instskip(NEXT) | instid1(VALU_DEP_1)
	v_clz_i32_u32_e32 v4, v6
	v_min_u32_e32 v4, 32, v4
	s_delay_alu instid0(VALU_DEP_1) | instskip(SKIP_1) | instid1(VALU_DEP_2)
	v_subrev_nc_u32_e32 v5, 28, v4
	v_sub_nc_u32_e32 v4, 29, v4
	v_lshlrev_b64 v[5:6], v5, v[6:7]
	s_delay_alu instid0(VALU_DEP_1)
	v_and_b32_e32 v6, 7, v5
; %bb.1914:                             ;   in Loop: Header=BB281_991 Depth=1
	s_or_b32 exec_lo, exec_lo, s15
	v_lshlrev_b32_e32 v5, 24, v154
	s_delay_alu instid0(VALU_DEP_2) | instskip(SKIP_1) | instid1(VALU_DEP_3)
	v_lshlrev_b32_e32 v6, 20, v6
	v_lshl_add_u32 v4, v4, 23, 0x3c000000
	v_and_b32_e32 v5, 0x80000000, v5
	s_delay_alu instid0(VALU_DEP_1) | instskip(NEXT) | instid1(VALU_DEP_1)
	v_or3_b32 v6, v6, v5, v4
	v_dual_mov_b32 v4, v6 :: v_dual_mov_b32 v5, v7
.LBB281_1915:                           ;   in Loop: Header=BB281_991 Depth=1
	s_or_b32 exec_lo, exec_lo, s13
.LBB281_1916:                           ;   in Loop: Header=BB281_991 Depth=1
	s_delay_alu instid0(SALU_CYCLE_1)
	s_or_b32 exec_lo, exec_lo, s12
.LBB281_1917:                           ;   in Loop: Header=BB281_991 Depth=1
	s_delay_alu instid0(SALU_CYCLE_1) | instskip(SKIP_2) | instid1(VALU_DEP_1)
	s_or_b32 exec_lo, exec_lo, s10
	v_lshrrev_b16 v6, 8, v154
	s_mov_b32 s12, exec_lo
	v_cmpx_ne_u16_e32 0, v6
	s_cbranch_execz .LBB281_1925
; %bb.1918:                             ;   in Loop: Header=BB281_991 Depth=1
	v_dual_mov_b32 v15, s9 :: v_dual_mov_b32 v14, s8
	s_mov_b32 s13, exec_lo
	v_cmpx_ne_u16_e32 0x80, v6
	s_cbranch_execz .LBB281_1924
; %bb.1919:                             ;   in Loop: Header=BB281_991 Depth=1
	s_mov_b32 s10, s8
	v_dual_mov_b32 v15, s11 :: v_dual_and_b32 v6, 0xffff, v6
	v_mov_b32_e32 v14, s10
	s_mov_b32 s10, exec_lo
	s_delay_alu instid0(VALU_DEP_2) | instskip(NEXT) | instid1(VALU_DEP_1)
	v_and_b32_e32 v16, 0x7f, v6
	v_cmpx_ne_u32_e32 0x7f, v16
	s_cbranch_execz .LBB281_1923
; %bb.1920:                             ;   in Loop: Header=BB281_991 Depth=1
	v_and_b32_e32 v6, 7, v6
	v_lshrrev_b32_e32 v14, 3, v16
	s_mov_b32 s15, exec_lo
	v_cmpx_gt_u32_e32 8, v16
; %bb.1921:                             ;   in Loop: Header=BB281_991 Depth=1
	s_delay_alu instid0(VALU_DEP_3) | instskip(NEXT) | instid1(VALU_DEP_1)
	v_clz_i32_u32_e32 v14, v6
	v_min_u32_e32 v14, 32, v14
	s_delay_alu instid0(VALU_DEP_1) | instskip(SKIP_1) | instid1(VALU_DEP_2)
	v_subrev_nc_u32_e32 v15, 28, v14
	v_sub_nc_u32_e32 v14, 29, v14
	v_lshlrev_b64 v[15:16], v15, v[6:7]
	s_delay_alu instid0(VALU_DEP_1)
	v_and_b32_e32 v6, 7, v15
; %bb.1922:                             ;   in Loop: Header=BB281_991 Depth=1
	s_or_b32 exec_lo, exec_lo, s15
	v_lshlrev_b32_e32 v15, 16, v154
	s_delay_alu instid0(VALU_DEP_2) | instskip(SKIP_1) | instid1(VALU_DEP_3)
	v_lshlrev_b32_e32 v6, 20, v6
	v_lshl_add_u32 v14, v14, 23, 0x3c000000
	v_and_b32_e32 v15, 0x80000000, v15
	s_delay_alu instid0(VALU_DEP_1)
	v_or3_b32 v15, v6, v15, v14
	v_mov_b32_e32 v14, v7
.LBB281_1923:                           ;   in Loop: Header=BB281_991 Depth=1
	s_or_b32 exec_lo, exec_lo, s10
.LBB281_1924:                           ;   in Loop: Header=BB281_991 Depth=1
	s_delay_alu instid0(SALU_CYCLE_1)
	s_or_b32 exec_lo, exec_lo, s13
.LBB281_1925:                           ;   in Loop: Header=BB281_991 Depth=1
	s_delay_alu instid0(SALU_CYCLE_1) | instskip(SKIP_4) | instid1(VALU_DEP_2)
	s_or_b32 exec_lo, exec_lo, s12
	v_mov_b32_e32 v18, 0
	v_lshrrev_b32_e32 v155, 16, v154
	v_mov_b32_e32 v19, 0
	s_mov_b32 s10, exec_lo
	v_and_b32_e32 v6, 0xff, v155
	s_delay_alu instid0(VALU_DEP_2) | instskip(NEXT) | instid1(VALU_DEP_2)
	v_dual_mov_b32 v16, v18 :: v_dual_mov_b32 v17, v19
	v_cmpx_ne_u16_e32 0, v6
	s_cbranch_execz .LBB281_1933
; %bb.1926:                             ;   in Loop: Header=BB281_991 Depth=1
	v_bfrev_b32_e32 v16, 1
	v_mov_b32_e32 v17, 0
	s_mov_b32 s12, exec_lo
	v_cmpx_ne_u16_e32 0x80, v6
	s_cbranch_execz .LBB281_1932
; %bb.1927:                             ;   in Loop: Header=BB281_991 Depth=1
	v_mov_b32_e32 v16, 0x7f800001
	v_bfe_u32 v156, v154, 16, 7
	v_mov_b32_e32 v17, 0
	s_mov_b32 s13, exec_lo
	s_delay_alu instid0(VALU_DEP_2)
	v_cmpx_ne_u32_e32 0x7f, v156
	s_cbranch_execz .LBB281_1931
; %bb.1928:                             ;   in Loop: Header=BB281_991 Depth=1
	v_and_b32_e32 v6, 7, v155
	v_lshrrev_b32_e32 v16, 3, v156
	s_mov_b32 s15, exec_lo
	v_cmpx_gt_u32_e32 8, v156
; %bb.1929:                             ;   in Loop: Header=BB281_991 Depth=1
	s_delay_alu instid0(VALU_DEP_3) | instskip(NEXT) | instid1(VALU_DEP_1)
	v_clz_i32_u32_e32 v16, v6
	v_min_u32_e32 v16, 32, v16
	s_delay_alu instid0(VALU_DEP_1) | instskip(SKIP_1) | instid1(VALU_DEP_2)
	v_subrev_nc_u32_e32 v17, 28, v16
	v_sub_nc_u32_e32 v16, 29, v16
	v_lshlrev_b64 v[156:157], v17, v[6:7]
	s_delay_alu instid0(VALU_DEP_1)
	v_and_b32_e32 v6, 7, v156
; %bb.1930:                             ;   in Loop: Header=BB281_991 Depth=1
	s_or_b32 exec_lo, exec_lo, s15
	v_lshlrev_b32_e32 v17, 24, v155
	s_delay_alu instid0(VALU_DEP_2) | instskip(SKIP_1) | instid1(VALU_DEP_3)
	v_lshlrev_b32_e32 v6, 20, v6
	v_lshl_add_u32 v16, v16, 23, 0x3c000000
	v_and_b32_e32 v17, 0x80000000, v17
	s_delay_alu instid0(VALU_DEP_1) | instskip(NEXT) | instid1(VALU_DEP_1)
	v_or3_b32 v6, v6, v17, v16
	v_dual_mov_b32 v17, v7 :: v_dual_mov_b32 v16, v6
.LBB281_1931:                           ;   in Loop: Header=BB281_991 Depth=1
	s_or_b32 exec_lo, exec_lo, s13
.LBB281_1932:                           ;   in Loop: Header=BB281_991 Depth=1
	s_delay_alu instid0(SALU_CYCLE_1)
	s_or_b32 exec_lo, exec_lo, s12
.LBB281_1933:                           ;   in Loop: Header=BB281_991 Depth=1
	s_delay_alu instid0(SALU_CYCLE_1) | instskip(NEXT) | instid1(SALU_CYCLE_1)
	s_or_b32 exec_lo, exec_lo, s10
	s_mov_b32 s12, exec_lo
	v_cmpx_lt_u32_e32 0xffffff, v154
	s_cbranch_execz .LBB281_1941
; %bb.1934:                             ;   in Loop: Header=BB281_991 Depth=1
	v_lshrrev_b32_e32 v155, 24, v154
	v_dual_mov_b32 v19, s9 :: v_dual_mov_b32 v18, s8
	s_mov_b32 s13, exec_lo
	s_delay_alu instid0(VALU_DEP_2)
	v_cmpx_ne_u32_e32 0x80, v155
	s_cbranch_execz .LBB281_1940
; %bb.1935:                             ;   in Loop: Header=BB281_991 Depth=1
	s_mov_b32 s10, s8
	v_bfe_u32 v154, v154, 24, 7
	v_dual_mov_b32 v19, s11 :: v_dual_mov_b32 v18, s10
	s_mov_b32 s10, exec_lo
	s_delay_alu instid0(VALU_DEP_2)
	v_cmpx_ne_u32_e32 0x7f, v154
	s_cbranch_execz .LBB281_1939
; %bb.1936:                             ;   in Loop: Header=BB281_991 Depth=1
	v_and_b32_e32 v6, 7, v155
	v_lshrrev_b32_e32 v18, 3, v154
	s_mov_b32 s15, exec_lo
	v_cmpx_gt_u32_e32 8, v154
; %bb.1937:                             ;   in Loop: Header=BB281_991 Depth=1
	s_delay_alu instid0(VALU_DEP_3) | instskip(NEXT) | instid1(VALU_DEP_1)
	v_clz_i32_u32_e32 v18, v6
	v_min_u32_e32 v18, 32, v18
	s_delay_alu instid0(VALU_DEP_1) | instskip(SKIP_1) | instid1(VALU_DEP_2)
	v_subrev_nc_u32_e32 v19, 28, v18
	v_sub_nc_u32_e32 v18, 29, v18
	v_lshlrev_b64 v[156:157], v19, v[6:7]
	s_delay_alu instid0(VALU_DEP_1)
	v_and_b32_e32 v6, 7, v156
; %bb.1938:                             ;   in Loop: Header=BB281_991 Depth=1
	s_or_b32 exec_lo, exec_lo, s15
	v_lshlrev_b32_e32 v19, 24, v155
	s_delay_alu instid0(VALU_DEP_2) | instskip(SKIP_1) | instid1(VALU_DEP_3)
	v_lshlrev_b32_e32 v6, 20, v6
	v_lshl_add_u32 v18, v18, 23, 0x3c000000
	v_and_b32_e32 v19, 0x80000000, v19
	s_delay_alu instid0(VALU_DEP_1)
	v_or3_b32 v19, v6, v19, v18
	v_mov_b32_e32 v18, v7
.LBB281_1939:                           ;   in Loop: Header=BB281_991 Depth=1
	s_or_b32 exec_lo, exec_lo, s10
.LBB281_1940:                           ;   in Loop: Header=BB281_991 Depth=1
	s_delay_alu instid0(SALU_CYCLE_1)
	s_or_b32 exec_lo, exec_lo, s13
.LBB281_1941:                           ;   in Loop: Header=BB281_991 Depth=1
	s_delay_alu instid0(SALU_CYCLE_1) | instskip(SKIP_4) | instid1(VALU_DEP_4)
	s_or_b32 exec_lo, exec_lo, s12
	v_or_b32_e32 v5, v15, v5
	v_or_b32_e32 v4, v14, v4
	;; [unrolled: 1-line block ×4, first 2 shown]
	v_mul_f32_e32 v157, v82, v5
	s_delay_alu instid0(VALU_DEP_4) | instskip(NEXT) | instid1(VALU_DEP_4)
	v_mul_f32_e32 v156, v70, v4
	v_mul_f32_e32 v154, v82, v6
	s_delay_alu instid0(VALU_DEP_4)
	v_mul_f32_e32 v155, v70, v14
	s_and_saveexec_b32 s10, vcc_lo
; %bb.1942:                             ;   in Loop: Header=BB281_991 Depth=1
	v_cmp_lt_i32_e64 s0, v87, v170
	s_delay_alu instid0(VALU_DEP_1) | instskip(SKIP_1) | instid1(VALU_DEP_1)
	v_cndmask_b32_e64 v156, 0, v156, s0
	v_cmp_lt_i32_e64 s0, v97, v170
	v_cndmask_b32_e64 v157, 0, v157, s0
	v_cmp_lt_i32_e64 s0, v96, v170
	s_delay_alu instid0(VALU_DEP_1) | instskip(SKIP_1) | instid1(VALU_DEP_1)
	v_cndmask_b32_e64 v155, 0, v155, s0
	v_cmp_lt_i32_e64 s0, v80, v170
	v_cndmask_b32_e64 v154, 0, v154, s0
; %bb.1943:                             ;   in Loop: Header=BB281_991 Depth=1
	s_or_b32 exec_lo, exec_lo, s10
	flat_load_b32 v158, v[12:13] offset:3584
	v_mov_b32_e32 v14, 0
	v_mov_b32_e32 v15, 0
	s_mov_b32 s10, exec_lo
	s_waitcnt vmcnt(0) lgkmcnt(0)
	v_and_b32_e32 v6, 0xff, v158
	s_delay_alu instid0(VALU_DEP_2) | instskip(NEXT) | instid1(VALU_DEP_2)
	v_dual_mov_b32 v4, v14 :: v_dual_mov_b32 v5, v15
	v_cmpx_ne_u16_e32 0, v6
	s_cbranch_execz .LBB281_1951
; %bb.1944:                             ;   in Loop: Header=BB281_991 Depth=1
	v_bfrev_b32_e32 v4, 1
	v_mov_b32_e32 v5, 0
	s_mov_b32 s12, exec_lo
	v_cmpx_ne_u16_e32 0x80, v6
	s_cbranch_execz .LBB281_1950
; %bb.1945:                             ;   in Loop: Header=BB281_991 Depth=1
	v_mov_b32_e32 v4, 0x7f800001
	v_dual_mov_b32 v5, 0 :: v_dual_and_b32 v16, 0x7f, v158
	s_mov_b32 s13, exec_lo
	s_delay_alu instid0(VALU_DEP_1)
	v_cmpx_ne_u32_e32 0x7f, v16
	s_cbranch_execz .LBB281_1949
; %bb.1946:                             ;   in Loop: Header=BB281_991 Depth=1
	v_and_b32_e32 v6, 7, v158
	v_lshrrev_b32_e32 v4, 3, v16
	s_mov_b32 s15, exec_lo
	v_cmpx_gt_u32_e32 8, v16
; %bb.1947:                             ;   in Loop: Header=BB281_991 Depth=1
	s_delay_alu instid0(VALU_DEP_3) | instskip(NEXT) | instid1(VALU_DEP_1)
	v_clz_i32_u32_e32 v4, v6
	v_min_u32_e32 v4, 32, v4
	s_delay_alu instid0(VALU_DEP_1) | instskip(SKIP_1) | instid1(VALU_DEP_2)
	v_subrev_nc_u32_e32 v5, 28, v4
	v_sub_nc_u32_e32 v4, 29, v4
	v_lshlrev_b64 v[5:6], v5, v[6:7]
	s_delay_alu instid0(VALU_DEP_1)
	v_and_b32_e32 v6, 7, v5
; %bb.1948:                             ;   in Loop: Header=BB281_991 Depth=1
	s_or_b32 exec_lo, exec_lo, s15
	v_lshlrev_b32_e32 v5, 24, v158
	s_delay_alu instid0(VALU_DEP_2) | instskip(SKIP_1) | instid1(VALU_DEP_3)
	v_lshlrev_b32_e32 v6, 20, v6
	v_lshl_add_u32 v4, v4, 23, 0x3c000000
	v_and_b32_e32 v5, 0x80000000, v5
	s_delay_alu instid0(VALU_DEP_1) | instskip(NEXT) | instid1(VALU_DEP_1)
	v_or3_b32 v6, v6, v5, v4
	v_dual_mov_b32 v4, v6 :: v_dual_mov_b32 v5, v7
.LBB281_1949:                           ;   in Loop: Header=BB281_991 Depth=1
	s_or_b32 exec_lo, exec_lo, s13
.LBB281_1950:                           ;   in Loop: Header=BB281_991 Depth=1
	s_delay_alu instid0(SALU_CYCLE_1)
	s_or_b32 exec_lo, exec_lo, s12
.LBB281_1951:                           ;   in Loop: Header=BB281_991 Depth=1
	s_delay_alu instid0(SALU_CYCLE_1) | instskip(SKIP_2) | instid1(VALU_DEP_1)
	s_or_b32 exec_lo, exec_lo, s10
	v_lshrrev_b16 v6, 8, v158
	s_mov_b32 s12, exec_lo
	v_cmpx_ne_u16_e32 0, v6
	s_cbranch_execz .LBB281_1959
; %bb.1952:                             ;   in Loop: Header=BB281_991 Depth=1
	v_dual_mov_b32 v15, s9 :: v_dual_mov_b32 v14, s8
	s_mov_b32 s13, exec_lo
	v_cmpx_ne_u16_e32 0x80, v6
	s_cbranch_execz .LBB281_1958
; %bb.1953:                             ;   in Loop: Header=BB281_991 Depth=1
	s_mov_b32 s10, s8
	v_dual_mov_b32 v15, s11 :: v_dual_and_b32 v6, 0xffff, v6
	v_mov_b32_e32 v14, s10
	s_mov_b32 s10, exec_lo
	s_delay_alu instid0(VALU_DEP_2) | instskip(NEXT) | instid1(VALU_DEP_1)
	v_and_b32_e32 v16, 0x7f, v6
	v_cmpx_ne_u32_e32 0x7f, v16
	s_cbranch_execz .LBB281_1957
; %bb.1954:                             ;   in Loop: Header=BB281_991 Depth=1
	v_and_b32_e32 v6, 7, v6
	v_lshrrev_b32_e32 v14, 3, v16
	s_mov_b32 s15, exec_lo
	v_cmpx_gt_u32_e32 8, v16
; %bb.1955:                             ;   in Loop: Header=BB281_991 Depth=1
	s_delay_alu instid0(VALU_DEP_3) | instskip(NEXT) | instid1(VALU_DEP_1)
	v_clz_i32_u32_e32 v14, v6
	v_min_u32_e32 v14, 32, v14
	s_delay_alu instid0(VALU_DEP_1) | instskip(SKIP_1) | instid1(VALU_DEP_2)
	v_subrev_nc_u32_e32 v15, 28, v14
	v_sub_nc_u32_e32 v14, 29, v14
	v_lshlrev_b64 v[15:16], v15, v[6:7]
	s_delay_alu instid0(VALU_DEP_1)
	v_and_b32_e32 v6, 7, v15
; %bb.1956:                             ;   in Loop: Header=BB281_991 Depth=1
	s_or_b32 exec_lo, exec_lo, s15
	v_lshlrev_b32_e32 v15, 16, v158
	s_delay_alu instid0(VALU_DEP_2) | instskip(SKIP_1) | instid1(VALU_DEP_3)
	v_lshlrev_b32_e32 v6, 20, v6
	v_lshl_add_u32 v14, v14, 23, 0x3c000000
	v_and_b32_e32 v15, 0x80000000, v15
	s_delay_alu instid0(VALU_DEP_1)
	v_or3_b32 v15, v6, v15, v14
	v_mov_b32_e32 v14, v7
.LBB281_1957:                           ;   in Loop: Header=BB281_991 Depth=1
	s_or_b32 exec_lo, exec_lo, s10
.LBB281_1958:                           ;   in Loop: Header=BB281_991 Depth=1
	s_delay_alu instid0(SALU_CYCLE_1)
	s_or_b32 exec_lo, exec_lo, s13
.LBB281_1959:                           ;   in Loop: Header=BB281_991 Depth=1
	s_delay_alu instid0(SALU_CYCLE_1) | instskip(SKIP_4) | instid1(VALU_DEP_2)
	s_or_b32 exec_lo, exec_lo, s12
	v_mov_b32_e32 v18, 0
	v_lshrrev_b32_e32 v159, 16, v158
	v_mov_b32_e32 v19, 0
	s_mov_b32 s10, exec_lo
	v_and_b32_e32 v6, 0xff, v159
	s_delay_alu instid0(VALU_DEP_2) | instskip(NEXT) | instid1(VALU_DEP_2)
	v_dual_mov_b32 v16, v18 :: v_dual_mov_b32 v17, v19
	v_cmpx_ne_u16_e32 0, v6
	s_cbranch_execz .LBB281_1967
; %bb.1960:                             ;   in Loop: Header=BB281_991 Depth=1
	v_bfrev_b32_e32 v16, 1
	v_mov_b32_e32 v17, 0
	s_mov_b32 s12, exec_lo
	v_cmpx_ne_u16_e32 0x80, v6
	s_cbranch_execz .LBB281_1966
; %bb.1961:                             ;   in Loop: Header=BB281_991 Depth=1
	v_mov_b32_e32 v16, 0x7f800001
	v_bfe_u32 v168, v158, 16, 7
	v_mov_b32_e32 v17, 0
	s_mov_b32 s13, exec_lo
	s_delay_alu instid0(VALU_DEP_2)
	v_cmpx_ne_u32_e32 0x7f, v168
	s_cbranch_execz .LBB281_1965
; %bb.1962:                             ;   in Loop: Header=BB281_991 Depth=1
	v_and_b32_e32 v6, 7, v159
	v_lshrrev_b32_e32 v16, 3, v168
	s_mov_b32 s15, exec_lo
	v_cmpx_gt_u32_e32 8, v168
; %bb.1963:                             ;   in Loop: Header=BB281_991 Depth=1
	s_delay_alu instid0(VALU_DEP_3) | instskip(NEXT) | instid1(VALU_DEP_1)
	v_clz_i32_u32_e32 v16, v6
	v_min_u32_e32 v16, 32, v16
	s_delay_alu instid0(VALU_DEP_1) | instskip(SKIP_1) | instid1(VALU_DEP_2)
	v_subrev_nc_u32_e32 v17, 28, v16
	v_sub_nc_u32_e32 v16, 29, v16
	v_lshlrev_b64 v[168:169], v17, v[6:7]
	s_delay_alu instid0(VALU_DEP_1)
	v_and_b32_e32 v6, 7, v168
; %bb.1964:                             ;   in Loop: Header=BB281_991 Depth=1
	s_or_b32 exec_lo, exec_lo, s15
	v_lshlrev_b32_e32 v17, 24, v159
	s_delay_alu instid0(VALU_DEP_2) | instskip(SKIP_1) | instid1(VALU_DEP_3)
	v_lshlrev_b32_e32 v6, 20, v6
	v_lshl_add_u32 v16, v16, 23, 0x3c000000
	v_and_b32_e32 v17, 0x80000000, v17
	s_delay_alu instid0(VALU_DEP_1) | instskip(NEXT) | instid1(VALU_DEP_1)
	v_or3_b32 v6, v6, v17, v16
	v_dual_mov_b32 v17, v7 :: v_dual_mov_b32 v16, v6
.LBB281_1965:                           ;   in Loop: Header=BB281_991 Depth=1
	s_or_b32 exec_lo, exec_lo, s13
.LBB281_1966:                           ;   in Loop: Header=BB281_991 Depth=1
	s_delay_alu instid0(SALU_CYCLE_1)
	s_or_b32 exec_lo, exec_lo, s12
.LBB281_1967:                           ;   in Loop: Header=BB281_991 Depth=1
	s_delay_alu instid0(SALU_CYCLE_1) | instskip(NEXT) | instid1(SALU_CYCLE_1)
	s_or_b32 exec_lo, exec_lo, s10
	s_mov_b32 s12, exec_lo
	v_cmpx_lt_u32_e32 0xffffff, v158
	s_cbranch_execz .LBB281_1975
; %bb.1968:                             ;   in Loop: Header=BB281_991 Depth=1
	v_lshrrev_b32_e32 v159, 24, v158
	v_dual_mov_b32 v19, s9 :: v_dual_mov_b32 v18, s8
	s_mov_b32 s13, exec_lo
	s_delay_alu instid0(VALU_DEP_2)
	v_cmpx_ne_u32_e32 0x80, v159
	s_cbranch_execz .LBB281_1974
; %bb.1969:                             ;   in Loop: Header=BB281_991 Depth=1
	s_mov_b32 s10, s8
	v_bfe_u32 v158, v158, 24, 7
	v_dual_mov_b32 v19, s11 :: v_dual_mov_b32 v18, s10
	s_mov_b32 s10, exec_lo
	s_delay_alu instid0(VALU_DEP_2)
	v_cmpx_ne_u32_e32 0x7f, v158
	s_cbranch_execz .LBB281_1973
; %bb.1970:                             ;   in Loop: Header=BB281_991 Depth=1
	v_and_b32_e32 v6, 7, v159
	v_lshrrev_b32_e32 v18, 3, v158
	s_mov_b32 s15, exec_lo
	v_cmpx_gt_u32_e32 8, v158
; %bb.1971:                             ;   in Loop: Header=BB281_991 Depth=1
	s_delay_alu instid0(VALU_DEP_3) | instskip(NEXT) | instid1(VALU_DEP_1)
	v_clz_i32_u32_e32 v18, v6
	v_min_u32_e32 v18, 32, v18
	s_delay_alu instid0(VALU_DEP_1) | instskip(SKIP_1) | instid1(VALU_DEP_2)
	v_subrev_nc_u32_e32 v19, 28, v18
	v_sub_nc_u32_e32 v18, 29, v18
	v_lshlrev_b64 v[168:169], v19, v[6:7]
	s_delay_alu instid0(VALU_DEP_1)
	v_and_b32_e32 v6, 7, v168
; %bb.1972:                             ;   in Loop: Header=BB281_991 Depth=1
	s_or_b32 exec_lo, exec_lo, s15
	v_lshlrev_b32_e32 v19, 24, v159
	s_delay_alu instid0(VALU_DEP_2) | instskip(SKIP_1) | instid1(VALU_DEP_3)
	v_lshlrev_b32_e32 v6, 20, v6
	v_lshl_add_u32 v18, v18, 23, 0x3c000000
	v_and_b32_e32 v19, 0x80000000, v19
	s_delay_alu instid0(VALU_DEP_1)
	v_or3_b32 v19, v6, v19, v18
	v_mov_b32_e32 v18, v7
.LBB281_1973:                           ;   in Loop: Header=BB281_991 Depth=1
	s_or_b32 exec_lo, exec_lo, s10
.LBB281_1974:                           ;   in Loop: Header=BB281_991 Depth=1
	s_delay_alu instid0(SALU_CYCLE_1)
	s_or_b32 exec_lo, exec_lo, s13
.LBB281_1975:                           ;   in Loop: Header=BB281_991 Depth=1
	s_delay_alu instid0(SALU_CYCLE_1) | instskip(SKIP_4) | instid1(VALU_DEP_4)
	s_or_b32 exec_lo, exec_lo, s12
	v_or_b32_e32 v5, v15, v5
	v_or_b32_e32 v4, v14, v4
	;; [unrolled: 1-line block ×4, first 2 shown]
	v_mul_f32_e32 v159, v82, v5
	s_delay_alu instid0(VALU_DEP_4) | instskip(NEXT) | instid1(VALU_DEP_4)
	v_mul_f32_e32 v158, v70, v4
	v_mul_f32_e32 v18, v82, v6
	s_delay_alu instid0(VALU_DEP_4)
	v_mul_f32_e32 v19, v70, v14
	s_and_saveexec_b32 s10, vcc_lo
; %bb.1976:                             ;   in Loop: Header=BB281_991 Depth=1
	v_cmp_lt_i32_e64 s0, v87, v170
	s_delay_alu instid0(VALU_DEP_1) | instskip(SKIP_1) | instid1(VALU_DEP_1)
	v_cndmask_b32_e64 v158, 0, v158, s0
	v_cmp_lt_i32_e64 s0, v97, v170
	v_cndmask_b32_e64 v159, 0, v159, s0
	v_cmp_lt_i32_e64 s0, v96, v170
	s_delay_alu instid0(VALU_DEP_1) | instskip(SKIP_1) | instid1(VALU_DEP_1)
	v_cndmask_b32_e64 v19, 0, v19, s0
	v_cmp_lt_i32_e64 s0, v80, v170
	v_cndmask_b32_e64 v18, 0, v18, s0
; %bb.1977:                             ;   in Loop: Header=BB281_991 Depth=1
	s_or_b32 exec_lo, exec_lo, s10
	flat_load_b32 v168, v[12:13] offset:3712
	v_mov_b32_e32 v12, 0
	v_mov_b32_e32 v13, 0
	s_mov_b32 s10, exec_lo
	s_waitcnt vmcnt(0) lgkmcnt(0)
	v_and_b32_e32 v6, 0xff, v168
	s_delay_alu instid0(VALU_DEP_2) | instskip(NEXT) | instid1(VALU_DEP_2)
	v_dual_mov_b32 v4, v12 :: v_dual_mov_b32 v5, v13
	v_cmpx_ne_u16_e32 0, v6
	s_cbranch_execz .LBB281_1985
; %bb.1978:                             ;   in Loop: Header=BB281_991 Depth=1
	v_bfrev_b32_e32 v4, 1
	v_mov_b32_e32 v5, 0
	s_mov_b32 s12, exec_lo
	v_cmpx_ne_u16_e32 0x80, v6
	s_cbranch_execz .LBB281_1984
; %bb.1979:                             ;   in Loop: Header=BB281_991 Depth=1
	v_mov_b32_e32 v4, 0x7f800001
	v_dual_mov_b32 v5, 0 :: v_dual_and_b32 v14, 0x7f, v168
	s_mov_b32 s13, exec_lo
	s_delay_alu instid0(VALU_DEP_1)
	v_cmpx_ne_u32_e32 0x7f, v14
	s_cbranch_execz .LBB281_1983
; %bb.1980:                             ;   in Loop: Header=BB281_991 Depth=1
	v_and_b32_e32 v6, 7, v168
	v_lshrrev_b32_e32 v4, 3, v14
	s_mov_b32 s15, exec_lo
	v_cmpx_gt_u32_e32 8, v14
; %bb.1981:                             ;   in Loop: Header=BB281_991 Depth=1
	s_delay_alu instid0(VALU_DEP_3) | instskip(NEXT) | instid1(VALU_DEP_1)
	v_clz_i32_u32_e32 v4, v6
	v_min_u32_e32 v4, 32, v4
	s_delay_alu instid0(VALU_DEP_1) | instskip(SKIP_1) | instid1(VALU_DEP_2)
	v_subrev_nc_u32_e32 v5, 28, v4
	v_sub_nc_u32_e32 v4, 29, v4
	v_lshlrev_b64 v[5:6], v5, v[6:7]
	s_delay_alu instid0(VALU_DEP_1)
	v_and_b32_e32 v6, 7, v5
; %bb.1982:                             ;   in Loop: Header=BB281_991 Depth=1
	s_or_b32 exec_lo, exec_lo, s15
	v_lshlrev_b32_e32 v5, 24, v168
	s_delay_alu instid0(VALU_DEP_2) | instskip(SKIP_1) | instid1(VALU_DEP_3)
	v_lshlrev_b32_e32 v6, 20, v6
	v_lshl_add_u32 v4, v4, 23, 0x3c000000
	v_and_b32_e32 v5, 0x80000000, v5
	s_delay_alu instid0(VALU_DEP_1) | instskip(NEXT) | instid1(VALU_DEP_1)
	v_or3_b32 v6, v6, v5, v4
	v_dual_mov_b32 v4, v6 :: v_dual_mov_b32 v5, v7
.LBB281_1983:                           ;   in Loop: Header=BB281_991 Depth=1
	s_or_b32 exec_lo, exec_lo, s13
.LBB281_1984:                           ;   in Loop: Header=BB281_991 Depth=1
	s_delay_alu instid0(SALU_CYCLE_1)
	s_or_b32 exec_lo, exec_lo, s12
.LBB281_1985:                           ;   in Loop: Header=BB281_991 Depth=1
	s_delay_alu instid0(SALU_CYCLE_1) | instskip(SKIP_2) | instid1(VALU_DEP_1)
	s_or_b32 exec_lo, exec_lo, s10
	v_lshrrev_b16 v6, 8, v168
	s_mov_b32 s12, exec_lo
	v_cmpx_ne_u16_e32 0, v6
	s_cbranch_execz .LBB281_1993
; %bb.1986:                             ;   in Loop: Header=BB281_991 Depth=1
	v_dual_mov_b32 v13, s9 :: v_dual_mov_b32 v12, s8
	s_mov_b32 s13, exec_lo
	v_cmpx_ne_u16_e32 0x80, v6
	s_cbranch_execz .LBB281_1992
; %bb.1987:                             ;   in Loop: Header=BB281_991 Depth=1
	s_mov_b32 s10, s8
	v_dual_mov_b32 v13, s11 :: v_dual_and_b32 v6, 0xffff, v6
	v_mov_b32_e32 v12, s10
	s_mov_b32 s10, exec_lo
	s_delay_alu instid0(VALU_DEP_2) | instskip(NEXT) | instid1(VALU_DEP_1)
	v_and_b32_e32 v14, 0x7f, v6
	v_cmpx_ne_u32_e32 0x7f, v14
	s_cbranch_execz .LBB281_1991
; %bb.1988:                             ;   in Loop: Header=BB281_991 Depth=1
	v_and_b32_e32 v6, 7, v6
	v_lshrrev_b32_e32 v12, 3, v14
	s_mov_b32 s15, exec_lo
	v_cmpx_gt_u32_e32 8, v14
; %bb.1989:                             ;   in Loop: Header=BB281_991 Depth=1
	s_delay_alu instid0(VALU_DEP_3) | instskip(NEXT) | instid1(VALU_DEP_1)
	v_clz_i32_u32_e32 v12, v6
	v_min_u32_e32 v12, 32, v12
	s_delay_alu instid0(VALU_DEP_1) | instskip(SKIP_1) | instid1(VALU_DEP_2)
	v_subrev_nc_u32_e32 v13, 28, v12
	v_sub_nc_u32_e32 v12, 29, v12
	v_lshlrev_b64 v[13:14], v13, v[6:7]
	s_delay_alu instid0(VALU_DEP_1)
	v_and_b32_e32 v6, 7, v13
; %bb.1990:                             ;   in Loop: Header=BB281_991 Depth=1
	s_or_b32 exec_lo, exec_lo, s15
	v_lshlrev_b32_e32 v13, 16, v168
	s_delay_alu instid0(VALU_DEP_2) | instskip(SKIP_1) | instid1(VALU_DEP_3)
	v_lshlrev_b32_e32 v6, 20, v6
	v_lshl_add_u32 v12, v12, 23, 0x3c000000
	v_and_b32_e32 v13, 0x80000000, v13
	s_delay_alu instid0(VALU_DEP_1)
	v_or3_b32 v13, v6, v13, v12
	v_mov_b32_e32 v12, v7
.LBB281_1991:                           ;   in Loop: Header=BB281_991 Depth=1
	s_or_b32 exec_lo, exec_lo, s10
.LBB281_1992:                           ;   in Loop: Header=BB281_991 Depth=1
	s_delay_alu instid0(SALU_CYCLE_1)
	s_or_b32 exec_lo, exec_lo, s13
.LBB281_1993:                           ;   in Loop: Header=BB281_991 Depth=1
	s_delay_alu instid0(SALU_CYCLE_1) | instskip(SKIP_4) | instid1(VALU_DEP_2)
	s_or_b32 exec_lo, exec_lo, s12
	v_mov_b32_e32 v16, 0
	v_lshrrev_b32_e32 v169, 16, v168
	v_mov_b32_e32 v17, 0
	s_mov_b32 s10, exec_lo
	v_and_b32_e32 v6, 0xff, v169
	s_delay_alu instid0(VALU_DEP_2) | instskip(NEXT) | instid1(VALU_DEP_2)
	v_dual_mov_b32 v14, v16 :: v_dual_mov_b32 v15, v17
	v_cmpx_ne_u16_e32 0, v6
	s_cbranch_execz .LBB281_2001
; %bb.1994:                             ;   in Loop: Header=BB281_991 Depth=1
	v_bfrev_b32_e32 v14, 1
	v_mov_b32_e32 v15, 0
	s_mov_b32 s12, exec_lo
	v_cmpx_ne_u16_e32 0x80, v6
	s_cbranch_execz .LBB281_2000
; %bb.1995:                             ;   in Loop: Header=BB281_991 Depth=1
	v_dual_mov_b32 v175, v171 :: v_dual_mov_b32 v14, 0x7f800001
	v_bfe_u32 v171, v168, 16, 7
	v_mov_b32_e32 v15, 0
	s_mov_b32 s13, exec_lo
	s_delay_alu instid0(VALU_DEP_2)
	v_cmpx_ne_u32_e32 0x7f, v171
	s_cbranch_execz .LBB281_1999
; %bb.1996:                             ;   in Loop: Header=BB281_991 Depth=1
	v_and_b32_e32 v6, 7, v169
	v_lshrrev_b32_e32 v14, 3, v171
	s_mov_b32 s15, exec_lo
	v_cmpx_gt_u32_e32 8, v171
; %bb.1997:                             ;   in Loop: Header=BB281_991 Depth=1
	s_delay_alu instid0(VALU_DEP_3) | instskip(NEXT) | instid1(VALU_DEP_1)
	v_clz_i32_u32_e32 v14, v6
	v_min_u32_e32 v14, 32, v14
	s_delay_alu instid0(VALU_DEP_1) | instskip(SKIP_1) | instid1(VALU_DEP_2)
	v_subrev_nc_u32_e32 v15, 28, v14
	v_sub_nc_u32_e32 v14, 29, v14
	v_lshlrev_b64 v[171:172], v15, v[6:7]
	s_delay_alu instid0(VALU_DEP_1)
	v_and_b32_e32 v6, 7, v171
; %bb.1998:                             ;   in Loop: Header=BB281_991 Depth=1
	s_or_b32 exec_lo, exec_lo, s15
	v_lshlrev_b32_e32 v15, 24, v169
	s_delay_alu instid0(VALU_DEP_2) | instskip(SKIP_1) | instid1(VALU_DEP_3)
	v_lshlrev_b32_e32 v6, 20, v6
	v_lshl_add_u32 v14, v14, 23, 0x3c000000
	v_and_b32_e32 v15, 0x80000000, v15
	s_delay_alu instid0(VALU_DEP_1) | instskip(NEXT) | instid1(VALU_DEP_1)
	v_or3_b32 v6, v6, v15, v14
	v_dual_mov_b32 v15, v7 :: v_dual_mov_b32 v14, v6
.LBB281_1999:                           ;   in Loop: Header=BB281_991 Depth=1
	s_or_b32 exec_lo, exec_lo, s13
	v_mov_b32_e32 v171, v175
.LBB281_2000:                           ;   in Loop: Header=BB281_991 Depth=1
	s_or_b32 exec_lo, exec_lo, s12
.LBB281_2001:                           ;   in Loop: Header=BB281_991 Depth=1
	s_delay_alu instid0(SALU_CYCLE_1) | instskip(NEXT) | instid1(SALU_CYCLE_1)
	s_or_b32 exec_lo, exec_lo, s10
	s_mov_b32 s12, exec_lo
	v_cmpx_lt_u32_e32 0xffffff, v168
	s_cbranch_execz .LBB281_2009
; %bb.2002:                             ;   in Loop: Header=BB281_991 Depth=1
	v_lshrrev_b32_e32 v169, 24, v168
	v_dual_mov_b32 v17, s9 :: v_dual_mov_b32 v16, s8
	s_mov_b32 s13, exec_lo
	s_delay_alu instid0(VALU_DEP_2)
	v_cmpx_ne_u32_e32 0x80, v169
	s_cbranch_execz .LBB281_2008
; %bb.2003:                             ;   in Loop: Header=BB281_991 Depth=1
	s_mov_b32 s10, s8
	v_bfe_u32 v168, v168, 24, 7
	v_dual_mov_b32 v17, s11 :: v_dual_mov_b32 v16, s10
	s_mov_b32 s10, exec_lo
	s_delay_alu instid0(VALU_DEP_2)
	v_cmpx_ne_u32_e32 0x7f, v168
	s_cbranch_execz .LBB281_2007
; %bb.2004:                             ;   in Loop: Header=BB281_991 Depth=1
	v_and_b32_e32 v6, 7, v169
	v_lshrrev_b32_e32 v16, 3, v168
	s_mov_b32 s15, exec_lo
	v_cmpx_gt_u32_e32 8, v168
; %bb.2005:                             ;   in Loop: Header=BB281_991 Depth=1
	s_delay_alu instid0(VALU_DEP_3) | instskip(SKIP_1) | instid1(VALU_DEP_2)
	v_clz_i32_u32_e32 v16, v6
	v_mov_b32_e32 v168, v171
	v_min_u32_e32 v16, 32, v16
	s_delay_alu instid0(VALU_DEP_1) | instskip(SKIP_1) | instid1(VALU_DEP_2)
	v_subrev_nc_u32_e32 v17, 28, v16
	v_sub_nc_u32_e32 v16, 29, v16
	v_lshlrev_b64 v[171:172], v17, v[6:7]
	s_delay_alu instid0(VALU_DEP_1)
	v_dual_mov_b32 v171, v168 :: v_dual_and_b32 v6, 7, v171
; %bb.2006:                             ;   in Loop: Header=BB281_991 Depth=1
	s_or_b32 exec_lo, exec_lo, s15
	v_lshlrev_b32_e32 v17, 24, v169
	s_delay_alu instid0(VALU_DEP_2) | instskip(SKIP_1) | instid1(VALU_DEP_3)
	v_lshlrev_b32_e32 v6, 20, v6
	v_lshl_add_u32 v16, v16, 23, 0x3c000000
	v_and_b32_e32 v17, 0x80000000, v17
	s_delay_alu instid0(VALU_DEP_1)
	v_or3_b32 v17, v6, v17, v16
	v_mov_b32_e32 v16, v7
.LBB281_2007:                           ;   in Loop: Header=BB281_991 Depth=1
	s_or_b32 exec_lo, exec_lo, s10
.LBB281_2008:                           ;   in Loop: Header=BB281_991 Depth=1
	s_delay_alu instid0(SALU_CYCLE_1)
	s_or_b32 exec_lo, exec_lo, s13
.LBB281_2009:                           ;   in Loop: Header=BB281_991 Depth=1
	s_delay_alu instid0(SALU_CYCLE_1) | instskip(SKIP_4) | instid1(VALU_DEP_4)
	s_or_b32 exec_lo, exec_lo, s12
	v_or_b32_e32 v5, v13, v5
	v_or_b32_e32 v4, v12, v4
	;; [unrolled: 1-line block ×4, first 2 shown]
	v_mul_f32_e32 v12, v82, v5
	s_delay_alu instid0(VALU_DEP_4) | instskip(NEXT) | instid1(VALU_DEP_4)
	v_mul_f32_e32 v6, v70, v4
	v_mul_f32_e32 v4, v82, v13
	s_delay_alu instid0(VALU_DEP_4)
	v_mul_f32_e32 v5, v70, v14
	s_and_saveexec_b32 s0, vcc_lo
	s_cbranch_execz .LBB281_990
; %bb.2010:                             ;   in Loop: Header=BB281_991 Depth=1
	v_cmp_lt_i32_e32 vcc_lo, v87, v170
	v_cndmask_b32_e32 v6, 0, v6, vcc_lo
	v_cmp_lt_i32_e32 vcc_lo, v97, v170
	v_cndmask_b32_e32 v12, 0, v12, vcc_lo
	;; [unrolled: 2-line block ×4, first 2 shown]
	s_branch .LBB281_990
.LBB281_2011:
	s_or_b32 exec_lo, exec_lo, s5
	v_dual_mov_b32 v0, s6 :: v_dual_mov_b32 v1, s7
.LBB281_2012:
	s_or_b32 exec_lo, exec_lo, s3
	s_delay_alu instid0(VALU_DEP_1)
	v_lshlrev_b64 v[0:1], 2, v[0:1]
	s_getpc_b64 s[6:7]
	s_add_u32 s6, s6, llvm.amdgcn.dynlds.offset.table@rel32@lo+4
	s_addc_u32 s7, s7, llvm.amdgcn.dynlds.offset.table@rel32@hi+12
	s_waitcnt lgkmcnt(0)
	s_waitcnt_vscnt null, 0x0
	s_barrier
	buffer_gl0_inv
	ds_bpermute_b32 v84, v174, v29
	v_add_co_u32 v0, vcc_lo, v0, s6
	v_add_co_ci_u32_e32 v1, vcc_lo, s7, v1, vcc_lo
	ds_bpermute_b32 v22, v174, v24
	ds_bpermute_b32 v3, v174, v66
	;; [unrolled: 1-line block ×3, first 2 shown]
	global_load_b32 v71, v[0:1], off
	ds_bpermute_b32 v0, v174, v67
	ds_bpermute_b32 v1, v174, v69
	;; [unrolled: 1-line block ×24, first 2 shown]
	s_waitcnt lgkmcnt(23)
	v_dual_add_f32 v0, v67, v0 :: v_dual_and_b32 v87, 0x3c7, v173
	ds_bpermute_b32 v96, v174, v184
	ds_bpermute_b32 v97, v174, v25
	v_dual_add_f32 v29, v29, v84 :: v_dual_add_f32 v22, v24, v22
	ds_bpermute_b32 v24, v21, v0
	s_waitcnt lgkmcnt(21)
	v_dual_add_f32 v1, v69, v1 :: v_dual_add_f32 v2, v68, v2
	v_dual_add_f32 v3, v66, v3 :: v_dual_add_f32 v4, v65, v4
	;; [unrolled: 1-line block ×3, first 2 shown]
	v_add_f32_e32 v31, v31, v82
	s_waitcnt lgkmcnt(19)
	v_dual_add_f32 v5, v64, v5 :: v_dual_add_f32 v6, v55, v6
	s_waitcnt lgkmcnt(17)
	v_dual_add_f32 v7, v54, v7 :: v_dual_add_f32 v8, v53, v8
	;; [unrolled: 2-line block ×10, first 2 shown]
	s_waitcnt lgkmcnt(0)
	v_add_f32_e32 v0, v0, v24
	ds_bpermute_b32 v34, v21, v1
	ds_bpermute_b32 v36, v21, v3
	;; [unrolled: 1-line block ×5, first 2 shown]
	v_cmp_eq_u32_e32 vcc_lo, 64, v87
	ds_bpermute_b32 v35, v21, v2
	ds_bpermute_b32 v38, v21, v5
	;; [unrolled: 1-line block ×24, first 2 shown]
	s_waitcnt lgkmcnt(23)
	v_dual_add_f32 v1, v1, v34 :: v_dual_add_f32 v2, v2, v35
	v_dual_add_f32 v3, v3, v36 :: v_dual_add_f32 v4, v4, v37
	;; [unrolled: 1-line block ×3, first 2 shown]
	scratch_load_b32 v70, off, s32 offset:1100 ; 4-byte Folded Reload
	s_waitcnt lgkmcnt(21)
	v_dual_add_f32 v5, v5, v38 :: v_dual_add_f32 v6, v6, v39
	ds_bpermute_b32 v36, v20, v4
	ds_bpermute_b32 v80, v20, v31
	s_waitcnt lgkmcnt(9)
	v_dual_add_f32 v19, v19, v68 :: v_dual_add_f32 v24, v33, v69
	ds_bpermute_b32 v69, v20, v32
	v_dual_add_f32 v7, v7, v48 :: v_dual_add_f32 v8, v8, v49
	v_dual_add_f32 v9, v9, v50 :: v_dual_add_f32 v10, v10, v51
	;; [unrolled: 1-line block ×3, first 2 shown]
	s_waitcnt lgkmcnt(3)
	v_add_f32_e32 v35, v22, v21
	ds_bpermute_b32 v21, v20, v0
	ds_bpermute_b32 v22, v20, v1
	v_dual_add_f32 v13, v13, v54 :: v_dual_add_f32 v14, v14, v55
	v_dual_add_f32 v15, v15, v64 :: v_dual_add_f32 v16, v16, v65
	v_dual_add_f32 v17, v17, v66 :: v_dual_add_f32 v18, v18, v67
	v_dual_add_f32 v30, v30, v82 :: v_dual_add_f32 v29, v29, v83
	v_dual_add_f32 v28, v28, v84 :: v_dual_add_f32 v27, v27, v85
	v_dual_add_f32 v33, v26, v86 :: v_dual_add_f32 v34, v25, v87
	ds_bpermute_b32 v25, v20, v2
	ds_bpermute_b32 v26, v20, v3
	;; [unrolled: 1-line block ×6, first 2 shown]
	s_waitcnt lgkmcnt(6)
	v_dual_add_f32 v0, v0, v21 :: v_dual_add_f32 v1, v1, v22
	v_dual_add_f32 v21, v32, v69 :: v_dual_add_f32 v22, v31, v80
	scratch_load_b32 v31, off, s32 offset:1092 ; 4-byte Folded Reload
	ds_bpermute_b32 v49, v20, v9
	ds_bpermute_b32 v50, v20, v10
	;; [unrolled: 1-line block ×18, first 2 shown]
	v_add_f32_e32 v4, v4, v36
	ds_bpermute_b32 v87, v20, v35
	s_waitcnt lgkmcnt(23)
	v_dual_add_f32 v2, v2, v25 :: v_dual_add_f32 v3, v3, v26
	s_waitcnt lgkmcnt(21)
	v_dual_add_f32 v5, v5, v37 :: v_dual_add_f32 v6, v6, v38
	;; [unrolled: 2-line block ×12, first 2 shown]
	s_waitcnt lgkmcnt(0)
	v_add_f32_e32 v30, v35, v87
	s_waitcnt vmcnt(1)
	v_lshrrev_b32_e32 v70, 3, v70
	s_delay_alu instid0(VALU_DEP_1)
	v_lshlrev_b32_e32 v32, 2, v70
	s_waitcnt vmcnt(0)
	v_mad_u32_u24 v31, 0x1e0, v31, v71
	s_and_saveexec_b32 s0, vcc_lo
	s_cbranch_execz .LBB281_2014
; %bb.2013:
	s_delay_alu instid0(VALU_DEP_1)
	v_add3_u32 v33, v31, v32, 0xfffffc40
	ds_store_2addr_b32 v33, v0, v1 offset1:4
	ds_store_2addr_b32 v33, v2, v3 offset0:8 offset1:12
	ds_store_2addr_b32 v33, v4, v5 offset0:16 offset1:20
	;; [unrolled: 1-line block ×14, first 2 shown]
.LBB281_2014:
	s_or_b32 exec_lo, exec_lo, s0
	v_cmp_eq_u32_e32 vcc_lo, 0, v23
	s_mov_b32 s3, exec_lo
	s_waitcnt lgkmcnt(0)
	s_barrier
	buffer_gl0_inv
	v_cmpx_gt_u32_e32 64, v173
	s_cbranch_execz .LBB281_2047
; %bb.2015:
	s_and_saveexec_b32 s0, vcc_lo
	s_cbranch_execnz .LBB281_2085
; %bb.2016:
	s_or_b32 exec_lo, exec_lo, s0
	s_and_saveexec_b32 s0, vcc_lo
	s_cbranch_execnz .LBB281_2086
.LBB281_2017:
	s_or_b32 exec_lo, exec_lo, s0
	s_and_saveexec_b32 s0, vcc_lo
	s_cbranch_execnz .LBB281_2087
.LBB281_2018:
	s_or_b32 exec_lo, exec_lo, s0
	s_and_saveexec_b32 s0, vcc_lo
	s_cbranch_execnz .LBB281_2088
.LBB281_2019:
	s_or_b32 exec_lo, exec_lo, s0
	s_and_saveexec_b32 s0, vcc_lo
	s_cbranch_execnz .LBB281_2089
.LBB281_2020:
	s_or_b32 exec_lo, exec_lo, s0
	s_and_saveexec_b32 s0, vcc_lo
	s_cbranch_execnz .LBB281_2090
.LBB281_2021:
	s_or_b32 exec_lo, exec_lo, s0
	s_and_saveexec_b32 s0, vcc_lo
	s_cbranch_execnz .LBB281_2091
.LBB281_2022:
	s_or_b32 exec_lo, exec_lo, s0
	s_and_saveexec_b32 s0, vcc_lo
	s_cbranch_execnz .LBB281_2092
.LBB281_2023:
	s_or_b32 exec_lo, exec_lo, s0
	s_and_saveexec_b32 s0, vcc_lo
	s_cbranch_execnz .LBB281_2093
.LBB281_2024:
	s_or_b32 exec_lo, exec_lo, s0
	s_and_saveexec_b32 s0, vcc_lo
	s_cbranch_execnz .LBB281_2094
.LBB281_2025:
	s_or_b32 exec_lo, exec_lo, s0
	s_and_saveexec_b32 s0, vcc_lo
	s_cbranch_execnz .LBB281_2095
.LBB281_2026:
	s_or_b32 exec_lo, exec_lo, s0
	s_and_saveexec_b32 s0, vcc_lo
	s_cbranch_execnz .LBB281_2096
.LBB281_2027:
	s_or_b32 exec_lo, exec_lo, s0
	s_and_saveexec_b32 s0, vcc_lo
	s_cbranch_execnz .LBB281_2097
.LBB281_2028:
	s_or_b32 exec_lo, exec_lo, s0
	s_and_saveexec_b32 s0, vcc_lo
	s_cbranch_execnz .LBB281_2098
.LBB281_2029:
	s_or_b32 exec_lo, exec_lo, s0
	s_and_saveexec_b32 s0, vcc_lo
	s_cbranch_execnz .LBB281_2099
.LBB281_2030:
	s_or_b32 exec_lo, exec_lo, s0
	s_and_saveexec_b32 s0, vcc_lo
	s_cbranch_execnz .LBB281_2100
.LBB281_2031:
	s_or_b32 exec_lo, exec_lo, s0
	s_and_saveexec_b32 s0, vcc_lo
	s_cbranch_execnz .LBB281_2101
.LBB281_2032:
	s_or_b32 exec_lo, exec_lo, s0
	s_and_saveexec_b32 s0, vcc_lo
	s_cbranch_execnz .LBB281_2102
.LBB281_2033:
	s_or_b32 exec_lo, exec_lo, s0
	s_and_saveexec_b32 s0, vcc_lo
	s_cbranch_execnz .LBB281_2103
.LBB281_2034:
	s_or_b32 exec_lo, exec_lo, s0
	s_and_saveexec_b32 s0, vcc_lo
	s_cbranch_execnz .LBB281_2104
.LBB281_2035:
	s_or_b32 exec_lo, exec_lo, s0
	s_and_saveexec_b32 s0, vcc_lo
	s_cbranch_execnz .LBB281_2105
.LBB281_2036:
	s_or_b32 exec_lo, exec_lo, s0
	s_and_saveexec_b32 s0, vcc_lo
	s_cbranch_execnz .LBB281_2106
.LBB281_2037:
	s_or_b32 exec_lo, exec_lo, s0
	s_and_saveexec_b32 s0, vcc_lo
	s_cbranch_execnz .LBB281_2107
.LBB281_2038:
	s_or_b32 exec_lo, exec_lo, s0
	s_and_saveexec_b32 s0, vcc_lo
	s_cbranch_execnz .LBB281_2108
.LBB281_2039:
	s_or_b32 exec_lo, exec_lo, s0
	s_and_saveexec_b32 s0, vcc_lo
	s_cbranch_execnz .LBB281_2109
.LBB281_2040:
	s_or_b32 exec_lo, exec_lo, s0
	s_and_saveexec_b32 s0, vcc_lo
	s_cbranch_execnz .LBB281_2110
.LBB281_2041:
	s_or_b32 exec_lo, exec_lo, s0
	s_and_saveexec_b32 s0, vcc_lo
	s_cbranch_execnz .LBB281_2111
.LBB281_2042:
	s_or_b32 exec_lo, exec_lo, s0
	s_and_saveexec_b32 s0, vcc_lo
	s_cbranch_execnz .LBB281_2112
.LBB281_2043:
	s_or_b32 exec_lo, exec_lo, s0
	s_and_saveexec_b32 s0, vcc_lo
	s_cbranch_execnz .LBB281_2113
.LBB281_2044:
	s_or_b32 exec_lo, exec_lo, s0
	s_and_saveexec_b32 s0, vcc_lo
	s_cbranch_execz .LBB281_2046
.LBB281_2045:
	v_lshl_add_u32 v23, v70, 2, v31
	ds_load_b32 v23, v23 offset:464
	s_waitcnt lgkmcnt(0)
	v_add_f32_e32 v30, v23, v30
.LBB281_2046:
	s_or_b32 exec_lo, exec_lo, s0
.LBB281_2047:
	s_delay_alu instid0(SALU_CYCLE_1)
	s_or_b32 exec_lo, exec_lo, s3
	v_and_b32_e32 v23, 0x3e7, v173
	s_mov_b32 s3, exec_lo
	s_barrier
	buffer_gl0_inv
	v_cmpx_eq_u32_e32 32, v23
	s_cbranch_execz .LBB281_2049
; %bb.2048:
	v_add3_u32 v32, v31, v32, 0xfffffe20
	ds_store_2addr_b32 v32, v0, v1 offset1:4
	ds_store_2addr_b32 v32, v2, v3 offset0:8 offset1:12
	ds_store_2addr_b32 v32, v4, v5 offset0:16 offset1:20
	;; [unrolled: 1-line block ×14, first 2 shown]
.LBB281_2049:
	s_or_b32 exec_lo, exec_lo, s3
	s_delay_alu instid0(SALU_CYCLE_1)
	s_mov_b32 s3, exec_lo
	s_waitcnt lgkmcnt(0)
	s_barrier
	buffer_gl0_inv
	v_cmpx_gt_u32_e32 32, v173
	s_cbranch_execz .LBB281_2082
; %bb.2050:
	v_lshl_add_u32 v31, v70, 2, v31
	s_and_saveexec_b32 s0, vcc_lo
	s_cbranch_execnz .LBB281_2114
; %bb.2051:
	s_or_b32 exec_lo, exec_lo, s0
	s_and_saveexec_b32 s0, vcc_lo
	s_cbranch_execnz .LBB281_2115
.LBB281_2052:
	s_or_b32 exec_lo, exec_lo, s0
	s_and_saveexec_b32 s0, vcc_lo
	s_cbranch_execnz .LBB281_2116
.LBB281_2053:
	s_or_b32 exec_lo, exec_lo, s0
	s_and_saveexec_b32 s0, vcc_lo
	s_cbranch_execnz .LBB281_2117
.LBB281_2054:
	s_or_b32 exec_lo, exec_lo, s0
	s_and_saveexec_b32 s0, vcc_lo
	s_cbranch_execnz .LBB281_2118
.LBB281_2055:
	s_or_b32 exec_lo, exec_lo, s0
	s_and_saveexec_b32 s0, vcc_lo
	s_cbranch_execnz .LBB281_2119
.LBB281_2056:
	s_or_b32 exec_lo, exec_lo, s0
	s_and_saveexec_b32 s0, vcc_lo
	s_cbranch_execnz .LBB281_2120
.LBB281_2057:
	s_or_b32 exec_lo, exec_lo, s0
	s_and_saveexec_b32 s0, vcc_lo
	s_cbranch_execnz .LBB281_2121
.LBB281_2058:
	s_or_b32 exec_lo, exec_lo, s0
	s_and_saveexec_b32 s0, vcc_lo
	s_cbranch_execnz .LBB281_2122
.LBB281_2059:
	s_or_b32 exec_lo, exec_lo, s0
	s_and_saveexec_b32 s0, vcc_lo
	s_cbranch_execnz .LBB281_2123
.LBB281_2060:
	s_or_b32 exec_lo, exec_lo, s0
	s_and_saveexec_b32 s0, vcc_lo
	s_cbranch_execnz .LBB281_2124
.LBB281_2061:
	s_or_b32 exec_lo, exec_lo, s0
	s_and_saveexec_b32 s0, vcc_lo
	s_cbranch_execnz .LBB281_2125
.LBB281_2062:
	s_or_b32 exec_lo, exec_lo, s0
	s_and_saveexec_b32 s0, vcc_lo
	s_cbranch_execnz .LBB281_2126
.LBB281_2063:
	s_or_b32 exec_lo, exec_lo, s0
	s_and_saveexec_b32 s0, vcc_lo
	s_cbranch_execnz .LBB281_2127
.LBB281_2064:
	s_or_b32 exec_lo, exec_lo, s0
	s_and_saveexec_b32 s0, vcc_lo
	s_cbranch_execnz .LBB281_2128
.LBB281_2065:
	s_or_b32 exec_lo, exec_lo, s0
	s_and_saveexec_b32 s0, vcc_lo
	s_cbranch_execnz .LBB281_2129
.LBB281_2066:
	s_or_b32 exec_lo, exec_lo, s0
	s_and_saveexec_b32 s0, vcc_lo
	s_cbranch_execnz .LBB281_2130
.LBB281_2067:
	s_or_b32 exec_lo, exec_lo, s0
	s_and_saveexec_b32 s0, vcc_lo
	s_cbranch_execnz .LBB281_2131
.LBB281_2068:
	s_or_b32 exec_lo, exec_lo, s0
	s_and_saveexec_b32 s0, vcc_lo
	s_cbranch_execnz .LBB281_2132
.LBB281_2069:
	s_or_b32 exec_lo, exec_lo, s0
	s_and_saveexec_b32 s0, vcc_lo
	s_cbranch_execnz .LBB281_2133
.LBB281_2070:
	s_or_b32 exec_lo, exec_lo, s0
	s_and_saveexec_b32 s0, vcc_lo
	s_cbranch_execnz .LBB281_2134
.LBB281_2071:
	s_or_b32 exec_lo, exec_lo, s0
	s_and_saveexec_b32 s0, vcc_lo
	s_cbranch_execnz .LBB281_2135
.LBB281_2072:
	s_or_b32 exec_lo, exec_lo, s0
	s_and_saveexec_b32 s0, vcc_lo
	s_cbranch_execnz .LBB281_2136
.LBB281_2073:
	s_or_b32 exec_lo, exec_lo, s0
	s_and_saveexec_b32 s0, vcc_lo
	s_cbranch_execnz .LBB281_2137
.LBB281_2074:
	s_or_b32 exec_lo, exec_lo, s0
	s_and_saveexec_b32 s0, vcc_lo
	s_cbranch_execnz .LBB281_2138
.LBB281_2075:
	s_or_b32 exec_lo, exec_lo, s0
	s_and_saveexec_b32 s0, vcc_lo
	s_cbranch_execnz .LBB281_2139
.LBB281_2076:
	s_or_b32 exec_lo, exec_lo, s0
	s_and_saveexec_b32 s0, vcc_lo
	s_cbranch_execnz .LBB281_2140
.LBB281_2077:
	s_or_b32 exec_lo, exec_lo, s0
	s_and_saveexec_b32 s0, vcc_lo
	s_cbranch_execnz .LBB281_2141
.LBB281_2078:
	s_or_b32 exec_lo, exec_lo, s0
	s_and_saveexec_b32 s0, vcc_lo
	s_cbranch_execnz .LBB281_2142
.LBB281_2079:
	s_or_b32 exec_lo, exec_lo, s0
	s_and_saveexec_b32 s0, vcc_lo
	s_cbranch_execz .LBB281_2081
.LBB281_2080:
	ds_load_b32 v31, v31 offset:464
	s_waitcnt lgkmcnt(0)
	v_add_f32_e32 v30, v31, v30
.LBB281_2081:
	s_or_b32 exec_lo, exec_lo, s0
.LBB281_2082:
	s_delay_alu instid0(SALU_CYCLE_1)
	s_or_b32 exec_lo, exec_lo, s3
	v_cmp_eq_u32_e32 vcc_lo, 0, v23
	s_barrier
	buffer_gl0_inv
	s_and_b32 exec_lo, exec_lo, vcc_lo
	s_cbranch_execz .LBB281_2084
; %bb.2083:
	scratch_load_b32 v31, off, s32 offset:1096 ; 4-byte Folded Reload
	s_mul_i32 s0, s2, 0x78
	s_mul_i32 s2, s4, s1
	;; [unrolled: 1-line block ×3, first 2 shown]
	s_ashr_i32 s3, s2, 31
	s_ashr_i32 s5, s4, 31
	;; [unrolled: 1-line block ×3, first 2 shown]
	s_lshl_b64 s[2:3], s[2:3], 2
	s_lshl_b64 s[4:5], s[4:5], 2
	;; [unrolled: 1-line block ×3, first 2 shown]
	s_add_u32 s2, s4, s2
	s_addc_u32 s3, s5, s3
	s_add_u32 s0, s2, s0
	s_addc_u32 s1, s3, s1
	v_lshrrev_b32_e32 v23, 1, v173
	s_waitcnt vmcnt(0)
	v_add_co_u32 v31, vcc_lo, s0, v31
	v_add_co_ci_u32_e32 v32, vcc_lo, s1, v187, vcc_lo
	s_delay_alu instid0(VALU_DEP_2) | instskip(NEXT) | instid1(VALU_DEP_2)
	v_add_co_u32 v31, vcc_lo, v31, v23
	v_add_co_ci_u32_e32 v32, vcc_lo, 0, v32, vcc_lo
	s_clause 0x1d
	flat_store_b32 v[31:32], v0
	flat_store_b32 v[31:32], v1 offset:16
	flat_store_b32 v[31:32], v2 offset:32
	;; [unrolled: 1-line block ×29, first 2 shown]
.LBB281_2084:
	s_or_b32 exec_lo, exec_lo, s16
	s_clause 0x1f
	scratch_load_b32 v191, off, s32
	scratch_load_b32 v190, off, s32 offset:4
	scratch_load_b32 v189, off, s32 offset:8
	;; [unrolled: 1-line block ×31, first 2 shown]
	s_clause 0x1f
	scratch_load_b32 v127, off, s32 offset:128
	scratch_load_b32 v126, off, s32 offset:132
	;; [unrolled: 1-line block ×32, first 2 shown]
	s_clause 0xf
	scratch_load_b32 v63, off, s32 offset:256
	scratch_load_b32 v62, off, s32 offset:260
	;; [unrolled: 1-line block ×16, first 2 shown]
	s_waitcnt vmcnt(0) lgkmcnt(0)
	s_setpc_b64 s[30:31]
.LBB281_2085:
	v_lshl_add_u32 v23, v70, 2, v31
	ds_load_b32 v23, v23
	s_waitcnt lgkmcnt(0)
	v_add_f32_e32 v0, v23, v0
	s_or_b32 exec_lo, exec_lo, s0
	s_and_saveexec_b32 s0, vcc_lo
	s_cbranch_execz .LBB281_2017
.LBB281_2086:
	v_lshl_add_u32 v23, v70, 2, v31
	ds_load_b32 v23, v23 offset:16
	s_waitcnt lgkmcnt(0)
	v_add_f32_e32 v1, v23, v1
	s_or_b32 exec_lo, exec_lo, s0
	s_and_saveexec_b32 s0, vcc_lo
	s_cbranch_execz .LBB281_2018
.LBB281_2087:
	v_lshl_add_u32 v23, v70, 2, v31
	ds_load_b32 v23, v23 offset:32
	s_waitcnt lgkmcnt(0)
	v_add_f32_e32 v2, v23, v2
	s_or_b32 exec_lo, exec_lo, s0
	s_and_saveexec_b32 s0, vcc_lo
	s_cbranch_execz .LBB281_2019
.LBB281_2088:
	v_lshl_add_u32 v23, v70, 2, v31
	ds_load_b32 v23, v23 offset:48
	s_waitcnt lgkmcnt(0)
	v_add_f32_e32 v3, v23, v3
	s_or_b32 exec_lo, exec_lo, s0
	s_and_saveexec_b32 s0, vcc_lo
	s_cbranch_execz .LBB281_2020
.LBB281_2089:
	v_lshl_add_u32 v23, v70, 2, v31
	ds_load_b32 v23, v23 offset:64
	s_waitcnt lgkmcnt(0)
	v_add_f32_e32 v4, v23, v4
	s_or_b32 exec_lo, exec_lo, s0
	s_and_saveexec_b32 s0, vcc_lo
	s_cbranch_execz .LBB281_2021
.LBB281_2090:
	v_lshl_add_u32 v23, v70, 2, v31
	ds_load_b32 v23, v23 offset:80
	s_waitcnt lgkmcnt(0)
	v_add_f32_e32 v5, v23, v5
	s_or_b32 exec_lo, exec_lo, s0
	s_and_saveexec_b32 s0, vcc_lo
	s_cbranch_execz .LBB281_2022
.LBB281_2091:
	v_lshl_add_u32 v23, v70, 2, v31
	ds_load_b32 v23, v23 offset:96
	s_waitcnt lgkmcnt(0)
	v_add_f32_e32 v6, v23, v6
	s_or_b32 exec_lo, exec_lo, s0
	s_and_saveexec_b32 s0, vcc_lo
	s_cbranch_execz .LBB281_2023
.LBB281_2092:
	v_lshl_add_u32 v23, v70, 2, v31
	ds_load_b32 v23, v23 offset:112
	s_waitcnt lgkmcnt(0)
	v_add_f32_e32 v7, v23, v7
	s_or_b32 exec_lo, exec_lo, s0
	s_and_saveexec_b32 s0, vcc_lo
	s_cbranch_execz .LBB281_2024
.LBB281_2093:
	v_lshl_add_u32 v23, v70, 2, v31
	ds_load_b32 v23, v23 offset:128
	s_waitcnt lgkmcnt(0)
	v_add_f32_e32 v8, v23, v8
	s_or_b32 exec_lo, exec_lo, s0
	s_and_saveexec_b32 s0, vcc_lo
	s_cbranch_execz .LBB281_2025
.LBB281_2094:
	v_lshl_add_u32 v23, v70, 2, v31
	ds_load_b32 v23, v23 offset:144
	s_waitcnt lgkmcnt(0)
	v_add_f32_e32 v9, v23, v9
	s_or_b32 exec_lo, exec_lo, s0
	s_and_saveexec_b32 s0, vcc_lo
	s_cbranch_execz .LBB281_2026
.LBB281_2095:
	v_lshl_add_u32 v23, v70, 2, v31
	ds_load_b32 v23, v23 offset:160
	s_waitcnt lgkmcnt(0)
	v_add_f32_e32 v10, v23, v10
	s_or_b32 exec_lo, exec_lo, s0
	s_and_saveexec_b32 s0, vcc_lo
	s_cbranch_execz .LBB281_2027
.LBB281_2096:
	v_lshl_add_u32 v23, v70, 2, v31
	ds_load_b32 v23, v23 offset:176
	s_waitcnt lgkmcnt(0)
	v_add_f32_e32 v11, v23, v11
	s_or_b32 exec_lo, exec_lo, s0
	s_and_saveexec_b32 s0, vcc_lo
	s_cbranch_execz .LBB281_2028
.LBB281_2097:
	v_lshl_add_u32 v23, v70, 2, v31
	ds_load_b32 v23, v23 offset:192
	s_waitcnt lgkmcnt(0)
	v_add_f32_e32 v12, v23, v12
	s_or_b32 exec_lo, exec_lo, s0
	s_and_saveexec_b32 s0, vcc_lo
	s_cbranch_execz .LBB281_2029
.LBB281_2098:
	v_lshl_add_u32 v23, v70, 2, v31
	ds_load_b32 v23, v23 offset:208
	s_waitcnt lgkmcnt(0)
	v_add_f32_e32 v13, v23, v13
	s_or_b32 exec_lo, exec_lo, s0
	s_and_saveexec_b32 s0, vcc_lo
	s_cbranch_execz .LBB281_2030
.LBB281_2099:
	v_lshl_add_u32 v23, v70, 2, v31
	ds_load_b32 v23, v23 offset:224
	s_waitcnt lgkmcnt(0)
	v_add_f32_e32 v14, v23, v14
	s_or_b32 exec_lo, exec_lo, s0
	s_and_saveexec_b32 s0, vcc_lo
	s_cbranch_execz .LBB281_2031
.LBB281_2100:
	v_lshl_add_u32 v23, v70, 2, v31
	ds_load_b32 v23, v23 offset:240
	s_waitcnt lgkmcnt(0)
	v_add_f32_e32 v15, v23, v15
	s_or_b32 exec_lo, exec_lo, s0
	s_and_saveexec_b32 s0, vcc_lo
	s_cbranch_execz .LBB281_2032
.LBB281_2101:
	v_lshl_add_u32 v23, v70, 2, v31
	ds_load_b32 v23, v23 offset:256
	s_waitcnt lgkmcnt(0)
	v_add_f32_e32 v16, v23, v16
	s_or_b32 exec_lo, exec_lo, s0
	s_and_saveexec_b32 s0, vcc_lo
	s_cbranch_execz .LBB281_2033
.LBB281_2102:
	v_lshl_add_u32 v23, v70, 2, v31
	ds_load_b32 v23, v23 offset:272
	s_waitcnt lgkmcnt(0)
	v_add_f32_e32 v17, v23, v17
	s_or_b32 exec_lo, exec_lo, s0
	s_and_saveexec_b32 s0, vcc_lo
	s_cbranch_execz .LBB281_2034
.LBB281_2103:
	v_lshl_add_u32 v23, v70, 2, v31
	ds_load_b32 v23, v23 offset:288
	s_waitcnt lgkmcnt(0)
	v_add_f32_e32 v18, v23, v18
	s_or_b32 exec_lo, exec_lo, s0
	s_and_saveexec_b32 s0, vcc_lo
	s_cbranch_execz .LBB281_2035
.LBB281_2104:
	v_lshl_add_u32 v23, v70, 2, v31
	ds_load_b32 v23, v23 offset:304
	s_waitcnt lgkmcnt(0)
	v_add_f32_e32 v19, v23, v19
	s_or_b32 exec_lo, exec_lo, s0
	s_and_saveexec_b32 s0, vcc_lo
	s_cbranch_execz .LBB281_2036
.LBB281_2105:
	v_lshl_add_u32 v23, v70, 2, v31
	ds_load_b32 v23, v23 offset:320
	s_waitcnt lgkmcnt(0)
	v_add_f32_e32 v20, v23, v20
	s_or_b32 exec_lo, exec_lo, s0
	s_and_saveexec_b32 s0, vcc_lo
	s_cbranch_execz .LBB281_2037
.LBB281_2106:
	v_lshl_add_u32 v23, v70, 2, v31
	ds_load_b32 v23, v23 offset:336
	s_waitcnt lgkmcnt(0)
	v_add_f32_e32 v21, v23, v21
	s_or_b32 exec_lo, exec_lo, s0
	s_and_saveexec_b32 s0, vcc_lo
	s_cbranch_execz .LBB281_2038
.LBB281_2107:
	v_lshl_add_u32 v23, v70, 2, v31
	ds_load_b32 v23, v23 offset:352
	s_waitcnt lgkmcnt(0)
	v_add_f32_e32 v22, v23, v22
	s_or_b32 exec_lo, exec_lo, s0
	s_and_saveexec_b32 s0, vcc_lo
	s_cbranch_execz .LBB281_2039
.LBB281_2108:
	v_lshl_add_u32 v23, v70, 2, v31
	ds_load_b32 v23, v23 offset:368
	s_waitcnt lgkmcnt(0)
	v_add_f32_e32 v24, v23, v24
	s_or_b32 exec_lo, exec_lo, s0
	s_and_saveexec_b32 s0, vcc_lo
	s_cbranch_execz .LBB281_2040
.LBB281_2109:
	v_lshl_add_u32 v23, v70, 2, v31
	ds_load_b32 v23, v23 offset:384
	s_waitcnt lgkmcnt(0)
	v_add_f32_e32 v25, v23, v25
	s_or_b32 exec_lo, exec_lo, s0
	s_and_saveexec_b32 s0, vcc_lo
	s_cbranch_execz .LBB281_2041
.LBB281_2110:
	v_lshl_add_u32 v23, v70, 2, v31
	ds_load_b32 v23, v23 offset:400
	s_waitcnt lgkmcnt(0)
	v_add_f32_e32 v26, v23, v26
	s_or_b32 exec_lo, exec_lo, s0
	s_and_saveexec_b32 s0, vcc_lo
	s_cbranch_execz .LBB281_2042
.LBB281_2111:
	v_lshl_add_u32 v23, v70, 2, v31
	ds_load_b32 v23, v23 offset:416
	s_waitcnt lgkmcnt(0)
	v_add_f32_e32 v27, v23, v27
	s_or_b32 exec_lo, exec_lo, s0
	s_and_saveexec_b32 s0, vcc_lo
	s_cbranch_execz .LBB281_2043
.LBB281_2112:
	v_lshl_add_u32 v23, v70, 2, v31
	ds_load_b32 v23, v23 offset:432
	s_waitcnt lgkmcnt(0)
	v_add_f32_e32 v28, v23, v28
	s_or_b32 exec_lo, exec_lo, s0
	s_and_saveexec_b32 s0, vcc_lo
	s_cbranch_execz .LBB281_2044
.LBB281_2113:
	v_lshl_add_u32 v23, v70, 2, v31
	ds_load_b32 v23, v23 offset:448
	s_waitcnt lgkmcnt(0)
	v_add_f32_e32 v29, v23, v29
	s_or_b32 exec_lo, exec_lo, s0
	s_and_saveexec_b32 s0, vcc_lo
	s_cbranch_execnz .LBB281_2045
	s_branch .LBB281_2046
.LBB281_2114:
	ds_load_b32 v32, v31
	s_waitcnt lgkmcnt(0)
	v_add_f32_e32 v0, v32, v0
	s_or_b32 exec_lo, exec_lo, s0
	s_and_saveexec_b32 s0, vcc_lo
	s_cbranch_execz .LBB281_2052
.LBB281_2115:
	ds_load_b32 v32, v31 offset:16
	s_waitcnt lgkmcnt(0)
	v_add_f32_e32 v1, v32, v1
	s_or_b32 exec_lo, exec_lo, s0
	s_and_saveexec_b32 s0, vcc_lo
	s_cbranch_execz .LBB281_2053
.LBB281_2116:
	ds_load_b32 v32, v31 offset:32
	s_waitcnt lgkmcnt(0)
	v_add_f32_e32 v2, v32, v2
	s_or_b32 exec_lo, exec_lo, s0
	s_and_saveexec_b32 s0, vcc_lo
	s_cbranch_execz .LBB281_2054
.LBB281_2117:
	ds_load_b32 v32, v31 offset:48
	s_waitcnt lgkmcnt(0)
	v_add_f32_e32 v3, v32, v3
	s_or_b32 exec_lo, exec_lo, s0
	s_and_saveexec_b32 s0, vcc_lo
	s_cbranch_execz .LBB281_2055
.LBB281_2118:
	ds_load_b32 v32, v31 offset:64
	s_waitcnt lgkmcnt(0)
	v_add_f32_e32 v4, v32, v4
	s_or_b32 exec_lo, exec_lo, s0
	s_and_saveexec_b32 s0, vcc_lo
	s_cbranch_execz .LBB281_2056
.LBB281_2119:
	ds_load_b32 v32, v31 offset:80
	s_waitcnt lgkmcnt(0)
	v_add_f32_e32 v5, v32, v5
	s_or_b32 exec_lo, exec_lo, s0
	s_and_saveexec_b32 s0, vcc_lo
	s_cbranch_execz .LBB281_2057
.LBB281_2120:
	ds_load_b32 v32, v31 offset:96
	s_waitcnt lgkmcnt(0)
	v_add_f32_e32 v6, v32, v6
	s_or_b32 exec_lo, exec_lo, s0
	s_and_saveexec_b32 s0, vcc_lo
	s_cbranch_execz .LBB281_2058
.LBB281_2121:
	ds_load_b32 v32, v31 offset:112
	s_waitcnt lgkmcnt(0)
	v_add_f32_e32 v7, v32, v7
	s_or_b32 exec_lo, exec_lo, s0
	s_and_saveexec_b32 s0, vcc_lo
	s_cbranch_execz .LBB281_2059
.LBB281_2122:
	ds_load_b32 v32, v31 offset:128
	s_waitcnt lgkmcnt(0)
	v_add_f32_e32 v8, v32, v8
	s_or_b32 exec_lo, exec_lo, s0
	s_and_saveexec_b32 s0, vcc_lo
	s_cbranch_execz .LBB281_2060
.LBB281_2123:
	ds_load_b32 v32, v31 offset:144
	s_waitcnt lgkmcnt(0)
	v_add_f32_e32 v9, v32, v9
	s_or_b32 exec_lo, exec_lo, s0
	s_and_saveexec_b32 s0, vcc_lo
	s_cbranch_execz .LBB281_2061
.LBB281_2124:
	ds_load_b32 v32, v31 offset:160
	s_waitcnt lgkmcnt(0)
	v_add_f32_e32 v10, v32, v10
	s_or_b32 exec_lo, exec_lo, s0
	s_and_saveexec_b32 s0, vcc_lo
	s_cbranch_execz .LBB281_2062
.LBB281_2125:
	ds_load_b32 v32, v31 offset:176
	s_waitcnt lgkmcnt(0)
	v_add_f32_e32 v11, v32, v11
	s_or_b32 exec_lo, exec_lo, s0
	s_and_saveexec_b32 s0, vcc_lo
	s_cbranch_execz .LBB281_2063
.LBB281_2126:
	ds_load_b32 v32, v31 offset:192
	s_waitcnt lgkmcnt(0)
	v_add_f32_e32 v12, v32, v12
	s_or_b32 exec_lo, exec_lo, s0
	s_and_saveexec_b32 s0, vcc_lo
	s_cbranch_execz .LBB281_2064
.LBB281_2127:
	ds_load_b32 v32, v31 offset:208
	s_waitcnt lgkmcnt(0)
	v_add_f32_e32 v13, v32, v13
	s_or_b32 exec_lo, exec_lo, s0
	s_and_saveexec_b32 s0, vcc_lo
	s_cbranch_execz .LBB281_2065
.LBB281_2128:
	ds_load_b32 v32, v31 offset:224
	s_waitcnt lgkmcnt(0)
	v_add_f32_e32 v14, v32, v14
	s_or_b32 exec_lo, exec_lo, s0
	s_and_saveexec_b32 s0, vcc_lo
	s_cbranch_execz .LBB281_2066
.LBB281_2129:
	ds_load_b32 v32, v31 offset:240
	s_waitcnt lgkmcnt(0)
	v_add_f32_e32 v15, v32, v15
	s_or_b32 exec_lo, exec_lo, s0
	s_and_saveexec_b32 s0, vcc_lo
	s_cbranch_execz .LBB281_2067
.LBB281_2130:
	ds_load_b32 v32, v31 offset:256
	s_waitcnt lgkmcnt(0)
	v_add_f32_e32 v16, v32, v16
	s_or_b32 exec_lo, exec_lo, s0
	s_and_saveexec_b32 s0, vcc_lo
	s_cbranch_execz .LBB281_2068
.LBB281_2131:
	ds_load_b32 v32, v31 offset:272
	s_waitcnt lgkmcnt(0)
	v_add_f32_e32 v17, v32, v17
	s_or_b32 exec_lo, exec_lo, s0
	s_and_saveexec_b32 s0, vcc_lo
	s_cbranch_execz .LBB281_2069
.LBB281_2132:
	ds_load_b32 v32, v31 offset:288
	s_waitcnt lgkmcnt(0)
	v_add_f32_e32 v18, v32, v18
	s_or_b32 exec_lo, exec_lo, s0
	s_and_saveexec_b32 s0, vcc_lo
	s_cbranch_execz .LBB281_2070
.LBB281_2133:
	ds_load_b32 v32, v31 offset:304
	s_waitcnt lgkmcnt(0)
	v_add_f32_e32 v19, v32, v19
	s_or_b32 exec_lo, exec_lo, s0
	s_and_saveexec_b32 s0, vcc_lo
	s_cbranch_execz .LBB281_2071
.LBB281_2134:
	ds_load_b32 v32, v31 offset:320
	s_waitcnt lgkmcnt(0)
	v_add_f32_e32 v20, v32, v20
	s_or_b32 exec_lo, exec_lo, s0
	s_and_saveexec_b32 s0, vcc_lo
	s_cbranch_execz .LBB281_2072
.LBB281_2135:
	ds_load_b32 v32, v31 offset:336
	s_waitcnt lgkmcnt(0)
	v_add_f32_e32 v21, v32, v21
	s_or_b32 exec_lo, exec_lo, s0
	s_and_saveexec_b32 s0, vcc_lo
	s_cbranch_execz .LBB281_2073
.LBB281_2136:
	ds_load_b32 v32, v31 offset:352
	s_waitcnt lgkmcnt(0)
	v_add_f32_e32 v22, v32, v22
	s_or_b32 exec_lo, exec_lo, s0
	s_and_saveexec_b32 s0, vcc_lo
	s_cbranch_execz .LBB281_2074
.LBB281_2137:
	ds_load_b32 v32, v31 offset:368
	s_waitcnt lgkmcnt(0)
	v_add_f32_e32 v24, v32, v24
	s_or_b32 exec_lo, exec_lo, s0
	s_and_saveexec_b32 s0, vcc_lo
	s_cbranch_execz .LBB281_2075
.LBB281_2138:
	ds_load_b32 v32, v31 offset:384
	s_waitcnt lgkmcnt(0)
	v_add_f32_e32 v25, v32, v25
	s_or_b32 exec_lo, exec_lo, s0
	s_and_saveexec_b32 s0, vcc_lo
	s_cbranch_execz .LBB281_2076
.LBB281_2139:
	ds_load_b32 v32, v31 offset:400
	s_waitcnt lgkmcnt(0)
	v_add_f32_e32 v26, v32, v26
	s_or_b32 exec_lo, exec_lo, s0
	s_and_saveexec_b32 s0, vcc_lo
	s_cbranch_execz .LBB281_2077
.LBB281_2140:
	ds_load_b32 v32, v31 offset:416
	s_waitcnt lgkmcnt(0)
	v_add_f32_e32 v27, v32, v27
	s_or_b32 exec_lo, exec_lo, s0
	s_and_saveexec_b32 s0, vcc_lo
	s_cbranch_execz .LBB281_2078
.LBB281_2141:
	ds_load_b32 v32, v31 offset:432
	s_waitcnt lgkmcnt(0)
	v_add_f32_e32 v28, v32, v28
	s_or_b32 exec_lo, exec_lo, s0
	s_and_saveexec_b32 s0, vcc_lo
	s_cbranch_execz .LBB281_2079
.LBB281_2142:
	ds_load_b32 v32, v31 offset:448
	s_waitcnt lgkmcnt(0)
	v_add_f32_e32 v29, v32, v29
	s_or_b32 exec_lo, exec_lo, s0
	s_and_saveexec_b32 s0, vcc_lo
	s_cbranch_execnz .LBB281_2080
	s_branch .LBB281_2081
.Lfunc_end281:
	.size	_ZN4vllm22paged_attention_kernelIfhLi120ELi32ELi128ELNS_18Fp8KVCacheDataTypeE1ELb0ELi512EEEvPfS2_PT_PKS3_PKT0_S9_ifPKiSB_iPKfiiiSD_SD_iiiii, .Lfunc_end281-_ZN4vllm22paged_attention_kernelIfhLi120ELi32ELi128ELNS_18Fp8KVCacheDataTypeE1ELb0ELi512EEEvPfS2_PT_PKS3_PKT0_S9_ifPKiSB_iPKfiiiSD_SD_iiiii
                                        ; -- End function
	.section	.AMDGPU.csdata,"",@progbits
; Function info:
; codeLenInByte = 72892
; NumSgprs: 35
; NumVgprs: 192
; ScratchSize: 1184
; MemoryBound: 0
	.section	.text._ZN4vllm25paged_attention_v2_kernelIfhLi120ELi32ELi128ELNS_18Fp8KVCacheDataTypeE1ELb0ELi512EEEvPfS2_PT_PKS3_PKT0_S9_ifPKiSB_iPKfiiiSD_SD_iiiii,"axG",@progbits,_ZN4vllm25paged_attention_v2_kernelIfhLi120ELi32ELi128ELNS_18Fp8KVCacheDataTypeE1ELb0ELi512EEEvPfS2_PT_PKS3_PKT0_S9_ifPKiSB_iPKfiiiSD_SD_iiiii,comdat
	.protected	_ZN4vllm25paged_attention_v2_kernelIfhLi120ELi32ELi128ELNS_18Fp8KVCacheDataTypeE1ELb0ELi512EEEvPfS2_PT_PKS3_PKT0_S9_ifPKiSB_iPKfiiiSD_SD_iiiii ; -- Begin function _ZN4vllm25paged_attention_v2_kernelIfhLi120ELi32ELi128ELNS_18Fp8KVCacheDataTypeE1ELb0ELi512EEEvPfS2_PT_PKS3_PKT0_S9_ifPKiSB_iPKfiiiSD_SD_iiiii
	.globl	_ZN4vllm25paged_attention_v2_kernelIfhLi120ELi32ELi128ELNS_18Fp8KVCacheDataTypeE1ELb0ELi512EEEvPfS2_PT_PKS3_PKT0_S9_ifPKiSB_iPKfiiiSD_SD_iiiii
	.p2align	8
	.type	_ZN4vllm25paged_attention_v2_kernelIfhLi120ELi32ELi128ELNS_18Fp8KVCacheDataTypeE1ELb0ELi512EEEvPfS2_PT_PKS3_PKT0_S9_ifPKiSB_iPKfiiiSD_SD_iiiii,@function
_ZN4vllm25paged_attention_v2_kernelIfhLi120ELi32ELi128ELNS_18Fp8KVCacheDataTypeE1ELb0ELi512EEEvPfS2_PT_PKS3_PKT0_S9_ifPKiSB_iPKfiiiSD_SD_iiiii: ; @_ZN4vllm25paged_attention_v2_kernelIfhLi120ELi32ELi128ELNS_18Fp8KVCacheDataTypeE1ELb0ELi512EEEvPfS2_PT_PKS3_PKT0_S9_ifPKiSB_iPKfiiiSD_SD_iiiii
; %bb.0:
	s_clause 0x5
	s_load_b256 s[24:31], s[0:1], 0x0
	s_load_b256 s[16:23], s[0:1], 0x20
	s_load_b64 s[2:3], s[0:1], 0x40
	s_load_b64 s[4:5], s[0:1], 0x50
	s_load_b32 s6, s[0:1], 0x48
	s_load_b256 s[36:43], s[0:1], 0x58
	v_mov_b32_e32 v31, v0
	s_add_u32 s8, s0, 0x90
	s_mov_b32 s12, s13
	s_addc_u32 s9, s1, 0
	s_mov_b32 s13, s14
	s_mov_b32 s14, s15
	;; [unrolled: 1-line block ×4, first 2 shown]
	s_getpc_b64 s[0:1]
	s_add_u32 s0, s0, _ZN4vllm22paged_attention_kernelIfhLi120ELi32ELi128ELNS_18Fp8KVCacheDataTypeE1ELb0ELi512EEEvPfS2_PT_PKS3_PKT0_S9_ifPKiSB_iPKfiiiSD_SD_iiiii@rel32@lo+4
	s_addc_u32 s1, s1, _ZN4vllm22paged_attention_kernelIfhLi120ELi32ELi128ELNS_18Fp8KVCacheDataTypeE1ELb0ELi512EEEvPfS2_PT_PKS3_PKT0_S9_ifPKiSB_iPKfiiiSD_SD_iiiii@rel32@hi+12
	s_waitcnt lgkmcnt(0)
	v_dual_mov_b32 v0, s24 :: v_dual_mov_b32 v1, s25
	v_dual_mov_b32 v2, s26 :: v_dual_mov_b32 v3, s27
	;; [unrolled: 1-line block ×14, first 2 shown]
	s_swappc_b64 s[30:31], s[0:1]
	s_endpgm
	.section	.rodata,"a",@progbits
	.p2align	6, 0x0
	.amdhsa_kernel _ZN4vllm25paged_attention_v2_kernelIfhLi120ELi32ELi128ELNS_18Fp8KVCacheDataTypeE1ELb0ELi512EEEvPfS2_PT_PKS3_PKT0_S9_ifPKiSB_iPKfiiiSD_SD_iiiii
		.amdhsa_group_segment_fixed_size 512
		.amdhsa_private_segment_fixed_size 1184
		.amdhsa_kernarg_size 400
		.amdhsa_user_sgpr_count 13
		.amdhsa_user_sgpr_dispatch_ptr 0
		.amdhsa_user_sgpr_queue_ptr 0
		.amdhsa_user_sgpr_kernarg_segment_ptr 1
		.amdhsa_user_sgpr_dispatch_id 0
		.amdhsa_user_sgpr_private_segment_size 0
		.amdhsa_wavefront_size32 1
		.amdhsa_uses_dynamic_stack 0
		.amdhsa_enable_private_segment 1
		.amdhsa_system_sgpr_workgroup_id_x 1
		.amdhsa_system_sgpr_workgroup_id_y 1
		.amdhsa_system_sgpr_workgroup_id_z 1
		.amdhsa_system_sgpr_workgroup_info 0
		.amdhsa_system_vgpr_workitem_id 0
		.amdhsa_next_free_vgpr 192
		.amdhsa_next_free_sgpr 44
		.amdhsa_reserve_vcc 1
		.amdhsa_float_round_mode_32 0
		.amdhsa_float_round_mode_16_64 0
		.amdhsa_float_denorm_mode_32 3
		.amdhsa_float_denorm_mode_16_64 3
		.amdhsa_dx10_clamp 1
		.amdhsa_ieee_mode 1
		.amdhsa_fp16_overflow 0
		.amdhsa_workgroup_processor_mode 1
		.amdhsa_memory_ordered 1
		.amdhsa_forward_progress 0
		.amdhsa_shared_vgpr_count 0
		.amdhsa_exception_fp_ieee_invalid_op 0
		.amdhsa_exception_fp_denorm_src 0
		.amdhsa_exception_fp_ieee_div_zero 0
		.amdhsa_exception_fp_ieee_overflow 0
		.amdhsa_exception_fp_ieee_underflow 0
		.amdhsa_exception_fp_ieee_inexact 0
		.amdhsa_exception_int_div_zero 0
	.end_amdhsa_kernel
	.section	.text._ZN4vllm25paged_attention_v2_kernelIfhLi120ELi32ELi128ELNS_18Fp8KVCacheDataTypeE1ELb0ELi512EEEvPfS2_PT_PKS3_PKT0_S9_ifPKiSB_iPKfiiiSD_SD_iiiii,"axG",@progbits,_ZN4vllm25paged_attention_v2_kernelIfhLi120ELi32ELi128ELNS_18Fp8KVCacheDataTypeE1ELb0ELi512EEEvPfS2_PT_PKS3_PKT0_S9_ifPKiSB_iPKfiiiSD_SD_iiiii,comdat
.Lfunc_end282:
	.size	_ZN4vllm25paged_attention_v2_kernelIfhLi120ELi32ELi128ELNS_18Fp8KVCacheDataTypeE1ELb0ELi512EEEvPfS2_PT_PKS3_PKT0_S9_ifPKiSB_iPKfiiiSD_SD_iiiii, .Lfunc_end282-_ZN4vllm25paged_attention_v2_kernelIfhLi120ELi32ELi128ELNS_18Fp8KVCacheDataTypeE1ELb0ELi512EEEvPfS2_PT_PKS3_PKT0_S9_ifPKiSB_iPKfiiiSD_SD_iiiii
                                        ; -- End function
	.section	.AMDGPU.csdata,"",@progbits
; Kernel info:
; codeLenInByte = 232
; NumSgprs: 46
; NumVgprs: 192
; ScratchSize: 1184
; MemoryBound: 0
; FloatMode: 240
; IeeeMode: 1
; LDSByteSize: 512 bytes/workgroup (compile time only)
; SGPRBlocks: 5
; VGPRBlocks: 23
; NumSGPRsForWavesPerEU: 46
; NumVGPRsForWavesPerEU: 192
; Occupancy: 8
; WaveLimiterHint : 1
; COMPUTE_PGM_RSRC2:SCRATCH_EN: 1
; COMPUTE_PGM_RSRC2:USER_SGPR: 13
; COMPUTE_PGM_RSRC2:TRAP_HANDLER: 0
; COMPUTE_PGM_RSRC2:TGID_X_EN: 1
; COMPUTE_PGM_RSRC2:TGID_Y_EN: 1
; COMPUTE_PGM_RSRC2:TGID_Z_EN: 1
; COMPUTE_PGM_RSRC2:TIDIG_COMP_CNT: 0
	.text
	.p2align	2                               ; -- Begin function _ZN4vllm22paged_attention_kernelIfhLi128ELi32ELi128ELNS_18Fp8KVCacheDataTypeE1ELb0ELi512EEEvPfS2_PT_PKS3_PKT0_S9_ifPKiSB_iPKfiiiSD_SD_iiiii
	.type	_ZN4vllm22paged_attention_kernelIfhLi128ELi32ELi128ELNS_18Fp8KVCacheDataTypeE1ELb0ELi512EEEvPfS2_PT_PKS3_PKT0_S9_ifPKiSB_iPKfiiiSD_SD_iiiii,@function
_ZN4vllm22paged_attention_kernelIfhLi128ELi32ELi128ELNS_18Fp8KVCacheDataTypeE1ELb0ELi512EEEvPfS2_PT_PKS3_PKT0_S9_ifPKiSB_iPKfiiiSD_SD_iiiii: ; @_ZN4vllm22paged_attention_kernelIfhLi128ELi32ELi128ELNS_18Fp8KVCacheDataTypeE1ELb0ELi512EEEvPfS2_PT_PKS3_PKT0_S9_ifPKiSB_iPKfiiiSD_SD_iiiii
; %bb.0:
	s_waitcnt vmcnt(0) expcnt(0) lgkmcnt(0)
	s_clause 0x1f
	scratch_store_b32 off, v40, s32 offset:316
	; meta instruction
	scratch_store_b32 off, v41, s32 offset:312
	; meta instruction
	;; [unrolled: 2-line block ×31, first 2 shown]
	scratch_store_b32 off, v95, s32 offset:192
	s_clause 0x1f
	scratch_store_b32 off, v104, s32 offset:188
	; meta instruction
	scratch_store_b32 off, v105, s32 offset:184
	; meta instruction
	;; [unrolled: 2-line block ×31, first 2 shown]
	scratch_store_b32 off, v159, s32 offset:64
	s_clause 0xf
	scratch_store_b32 off, v168, s32 offset:60
	; meta instruction
	scratch_store_b32 off, v169, s32 offset:56
	; meta instruction
	;; [unrolled: 2-line block ×15, first 2 shown]
	scratch_store_b32 off, v191, s32
	s_mov_b32 s10, s13
	s_ashr_i32 s11, s13, 31
	s_clause 0x4
	scratch_store_b64 off, v[24:25], s32 offset:640
	scratch_store_b32 off, v22, s32 offset:632
	scratch_store_b32 off, v13, s32 offset:648
	;; [unrolled: 1-line block ×4, first 2 shown]
	s_lshl_b64 s[0:1], s[10:11], 2
	v_dual_mov_b32 v22, v1 :: v_dual_mov_b32 v25, v0
	v_add_co_u32 v0, vcc_lo, v16, s0
	v_add_co_ci_u32_e32 v1, vcc_lo, s1, v17, vcc_lo
	v_dual_mov_b32 v28, v3 :: v_dual_mov_b32 v29, v2
	s_lshl_b32 s11, s14, 9
	flat_load_b32 v98, v[0:1]
	s_mov_b32 s16, exec_lo
	s_waitcnt vmcnt(0) lgkmcnt(0)
	v_cmpx_lt_i32_e64 s11, v98
	s_cbranch_execz .LBB283_2220
; %bb.1:
	v_sub_nc_u32_e32 v0, 0, v12
	s_clause 0x1
	s_load_b32 s0, s[8:9], 0x10
	s_load_b32 s1, s[8:9], 0x0
	s_mov_b32 s6, s15
	v_max_i32_e32 v0, v12, v0
	s_delay_alu instid0(VALU_DEP_1) | instskip(SKIP_1) | instid1(VALU_DEP_2)
	v_cvt_f32_u32_e32 v1, v0
	v_sub_nc_u32_e32 v2, 0, v0
	v_rcp_iflag_f32_e32 v1, v1
	s_waitcnt lgkmcnt(0)
	s_lshr_b32 s0, s0, 16
	s_delay_alu instid0(SALU_CYCLE_1)
	s_cmp_lg_u32 s0, 0
	s_cselect_b32 s0, -1, 0
	s_waitcnt_depctr 0xfff
	v_mul_f32_e32 v1, 0x4f7ffffe, v1
	s_cmp_lg_u32 s0, 0
	s_addc_u32 s15, s1, 0
	s_mov_b32 s1, exec_lo
	s_delay_alu instid0(VALU_DEP_1) | instskip(SKIP_1) | instid1(VALU_DEP_1)
	v_cvt_u32_f32_e32 v1, v1
	s_abs_i32 s0, s15
	v_mul_lo_u32 v2, v2, v1
	s_delay_alu instid0(VALU_DEP_1) | instskip(NEXT) | instid1(VALU_DEP_1)
	v_mul_hi_u32 v2, v1, v2
	v_add_nc_u32_e32 v1, v1, v2
	s_delay_alu instid0(VALU_DEP_1) | instskip(NEXT) | instid1(VALU_DEP_1)
	v_mul_hi_u32 v1, s0, v1
	v_mul_lo_u32 v2, v1, v0
	v_add_nc_u32_e32 v3, 1, v1
	s_delay_alu instid0(VALU_DEP_2) | instskip(SKIP_1) | instid1(VALU_DEP_1)
	v_sub_nc_u32_e32 v2, s0, v2
	s_abs_i32 s0, s12
	v_sub_nc_u32_e32 v4, v2, v0
	v_cmp_ge_u32_e32 vcc_lo, v2, v0
	s_delay_alu instid0(VALU_DEP_2) | instskip(SKIP_1) | instid1(VALU_DEP_2)
	v_dual_cndmask_b32 v1, v1, v3 :: v_dual_cndmask_b32 v2, v2, v4
	v_xor_b32_e32 v3, s15, v12
	v_add_nc_u32_e32 v4, 1, v1
	s_delay_alu instid0(VALU_DEP_3) | instskip(NEXT) | instid1(VALU_DEP_3)
	v_cmp_ge_u32_e32 vcc_lo, v2, v0
	v_ashrrev_i32_e32 v3, 31, v3
	s_delay_alu instid0(VALU_DEP_3) | instskip(NEXT) | instid1(VALU_DEP_1)
	v_cndmask_b32_e32 v0, v1, v4, vcc_lo
	v_xor_b32_e32 v0, v0, v3
	s_delay_alu instid0(VALU_DEP_1) | instskip(NEXT) | instid1(VALU_DEP_1)
	v_sub_nc_u32_e32 v3, v0, v3
	v_sub_nc_u32_e32 v0, 0, v3
	s_delay_alu instid0(VALU_DEP_1) | instskip(NEXT) | instid1(VALU_DEP_1)
	v_max_i32_e32 v2, v3, v0
	v_cvt_f32_u32_e32 v0, v2
	v_sub_nc_u32_e32 v1, 0, v2
	s_delay_alu instid0(VALU_DEP_2) | instskip(SKIP_2) | instid1(VALU_DEP_1)
	v_rcp_iflag_f32_e32 v0, v0
	s_waitcnt_depctr 0xfff
	v_mul_f32_e32 v0, 0x4f7ffffe, v0
	v_cvt_u32_f32_e32 v0, v0
	s_delay_alu instid0(VALU_DEP_1) | instskip(NEXT) | instid1(VALU_DEP_1)
	v_mul_lo_u32 v1, v1, v0
	v_mul_hi_u32 v1, v0, v1
	s_delay_alu instid0(VALU_DEP_1) | instskip(NEXT) | instid1(VALU_DEP_1)
	v_add_nc_u32_e32 v4, v0, v1
	v_mad_u64_u32 v[0:1], null, s0, v4, 0
	v_mov_b32_e32 v0, 0
	scratch_store_b32 off, v0, s32 offset:652 ; 4-byte Folded Spill
	v_cmpx_ne_u64_e32 0, v[19:20]
	s_cbranch_execz .LBB283_3
; %bb.2:
	s_ashr_i32 s13, s12, 31
	s_delay_alu instid0(SALU_CYCLE_1) | instskip(NEXT) | instid1(SALU_CYCLE_1)
	s_lshl_b64 s[2:3], s[12:13], 2
	v_add_co_u32 v4, vcc_lo, v19, s2
	v_add_co_ci_u32_e32 v5, vcc_lo, s3, v20, vcc_lo
	flat_load_b32 v0, v[4:5]
	s_waitcnt vmcnt(0) lgkmcnt(0)
	scratch_store_b32 off, v0, s32 offset:652 ; 4-byte Folded Spill
.LBB283_3:
	s_or_b32 exec_lo, exec_lo, s1
	v_and_b32_e32 v12, 0x3ff, v31
	v_ashrrev_i32_e32 v0, 31, v3
	s_ashr_i32 s1, s12, 31
	s_lshl_b32 s4, s12, 7
	s_mov_b32 s2, exec_lo
	v_cmpx_gt_u32_e32 32, v12
	s_cbranch_execz .LBB283_5
; %bb.4:
	v_mul_lo_u32 v3, s10, v21
	s_ashr_i32 s5, s4, 31
	v_lshlrev_b32_e32 v13, 4, v12
	s_lshl_b64 s[18:19], s[4:5], 2
	s_delay_alu instid0(VALU_DEP_2) | instskip(NEXT) | instid1(VALU_DEP_1)
	v_ashrrev_i32_e32 v4, 31, v3
	v_lshlrev_b64 v[3:4], 2, v[3:4]
	s_delay_alu instid0(VALU_DEP_1) | instskip(NEXT) | instid1(VALU_DEP_2)
	v_add_co_u32 v3, vcc_lo, v6, v3
	v_add_co_ci_u32_e32 v4, vcc_lo, v7, v4, vcc_lo
	s_delay_alu instid0(VALU_DEP_2) | instskip(NEXT) | instid1(VALU_DEP_2)
	v_add_co_u32 v3, vcc_lo, v3, s18
	v_add_co_ci_u32_e32 v4, vcc_lo, s19, v4, vcc_lo
	s_delay_alu instid0(VALU_DEP_2) | instskip(NEXT) | instid1(VALU_DEP_2)
	v_add_co_u32 v3, vcc_lo, v3, v13
	v_add_co_ci_u32_e32 v4, vcc_lo, 0, v4, vcc_lo
	flat_load_b128 v[3:6], v[3:4]
	s_waitcnt vmcnt(0) lgkmcnt(0)
	ds_store_b128 v13, v[3:6]
.LBB283_5:
	s_or_b32 exec_lo, exec_lo, s2
	v_mul_lo_u32 v3, v1, v2
	v_add_nc_u32_e32 v5, 31, v98
	v_xor_b32_e32 v7, s1, v0
	v_mul_lo_u32 v0, s10, v18
	s_clause 0x1
	s_load_b32 s17, s[8:9], 0x14
	s_load_b32 s5, s[8:9], 0x8
	s_lshl_b32 s13, s14, 4
	s_mov_b32 s18, exec_lo
	v_mov_b32_e32 v99, 0xff7fffff
	v_sub_nc_u32_e32 v3, s0, v3
	s_add_i32 s0, s13, 16
	s_delay_alu instid0(VALU_DEP_1) | instskip(SKIP_1) | instid1(VALU_DEP_2)
	v_sub_nc_u32_e32 v6, v3, v2
	v_cmp_ge_u32_e32 vcc_lo, v3, v2
	v_dual_cndmask_b32 v3, v3, v6 :: v_dual_add_nc_u32 v4, 1, v1
	s_delay_alu instid0(VALU_DEP_1) | instskip(SKIP_1) | instid1(VALU_DEP_3)
	v_cndmask_b32_e32 v1, v1, v4, vcc_lo
	v_ashrrev_i32_e32 v4, 31, v5
	v_cmp_ge_u32_e32 vcc_lo, v3, v2
	s_delay_alu instid0(VALU_DEP_3) | instskip(NEXT) | instid1(VALU_DEP_3)
	v_add_nc_u32_e32 v6, 1, v1
	v_lshrrev_b32_e32 v4, 27, v4
	s_delay_alu instid0(VALU_DEP_2) | instskip(NEXT) | instid1(VALU_DEP_2)
	v_cndmask_b32_e32 v1, v1, v6, vcc_lo
	v_add_nc_u32_e32 v2, v5, v4
	v_lshrrev_b32_e32 v4, 5, v12
	s_delay_alu instid0(VALU_DEP_2) | instskip(SKIP_2) | instid1(VALU_DEP_4)
	v_ashrrev_i32_e32 v18, 5, v2
	v_and_b32_e32 v2, 31, v12
	v_xor_b32_e32 v1, v1, v7
	v_add_nc_u32_e32 v83, s13, v4
	s_delay_alu instid0(VALU_DEP_3) | instskip(NEXT) | instid1(VALU_DEP_3)
	v_lshlrev_b32_e32 v21, 2, v2
	v_sub_nc_u32_e32 v3, v1, v7
	v_ashrrev_i32_e32 v1, 31, v0
	s_delay_alu instid0(VALU_DEP_4)
	v_ashrrev_i32_e32 v84, 31, v83
	scratch_store_b32 off, v2, s32 offset:1180 ; 4-byte Folded Spill
	v_mul_lo_u32 v19, v3, v23
	v_min_i32_e32 v3, s0, v18
	v_lshlrev_b64 v[16:17], 2, v[0:1]
	s_clause 0x1
	scratch_store_b32 off, v12, s32 offset:1176
	scratch_store_b32 off, v4, s32 offset:1184
	v_cmp_ge_i32_e64 s0, v83, v3
	scratch_store_b32 off, v3, s32 offset:636 ; 4-byte Folded Spill
	v_ashrrev_i32_e32 v20, 31, v19
	s_waitcnt lgkmcnt(0)
	s_waitcnt_vscnt null, 0x0
	s_barrier
	buffer_gl0_inv
	v_cmpx_lt_i32_e64 v83, v3
	s_cbranch_execz .LBB283_1033
; %bb.6:
	s_clause 0x7
	scratch_store_b32 off, v18, s32 offset:1252
	scratch_store_b32 off, v29, s32 offset:1240
	;; [unrolled: 1-line block ×7, first 2 shown]
	scratch_store_b64 off, v[26:27], s32 offset:1212
	scratch_load_b32 v4, off, s32 offset:1180 ; 4-byte Folded Reload
	v_add_co_u32 v1, vcc_lo, v8, v19
	v_add_co_ci_u32_e32 v2, vcc_lo, v9, v20, vcc_lo
	s_ashr_i32 s7, s6, 31
	s_getpc_b64 s[2:3]
	s_add_u32 s2, s2, llvm.amdgcn.dynlds.offset.table@rel32@lo+4
	s_addc_u32 s3, s3, llvm.amdgcn.dynlds.offset.table@rel32@hi+12
	s_lshl_b64 s[8:9], s[6:7], 2
	v_mov_b32_e32 v111, 0
	s_add_u32 s2, s8, s2
	s_addc_u32 s3, s9, s3
	s_mov_b32 s9, 0x7f800001
	s_load_b32 s2, s[2:3], 0x0
	ds_load_b128 v[5:8], v111 offset:224
	s_clause 0x3
	scratch_store_b64 off, v[83:84], s32 offset:1196
	scratch_store_b32 off, v15, s32 offset:1204
	scratch_store_b32 off, v14, s32 offset:1208
	scratch_store_b64 off, v[16:17], s32 offset:1244
	v_mov_b32_e32 v99, 0xff7fffff
	s_waitcnt lgkmcnt(0)
	scratch_store_b128 off, v[5:8], s32 offset:888 ; 16-byte Folded Spill
	ds_load_b128 v[5:8], v111 offset:240
	s_waitcnt lgkmcnt(0)
	scratch_store_b128 off, v[5:8], s32 offset:904 ; 16-byte Folded Spill
	ds_load_b128 v[5:8], v111 offset:256
	;; [unrolled: 3-line block ×14, first 2 shown]
	s_waitcnt vmcnt(0)
	v_lshlrev_b32_e32 v0, 4, v4
	s_delay_alu instid0(VALU_DEP_1)
	v_add_co_u32 v0, vcc_lo, v1, v0
	v_add_co_ci_u32_e32 v1, vcc_lo, 0, v2, vcc_lo
	s_waitcnt lgkmcnt(0)
	scratch_store_b128 off, v[5:8], s32 offset:1112 ; 16-byte Folded Spill
	ds_load_b128 v[5:8], v111 offset:464
	s_clause 0x1
	scratch_store_b32 off, v21, s32 offset:1264
	scratch_store_b64 off, v[0:1], s32 offset:656
	ds_load_b128 v[0:3], v111
	scratch_store_b32 off, v20, s32 offset:1260 ; 4-byte Folded Spill
	s_waitcnt lgkmcnt(1)
	scratch_store_b128 off, v[5:8], s32 offset:1128 ; 16-byte Folded Spill
	ds_load_b128 v[5:8], v111 offset:480
	s_waitcnt lgkmcnt(1)
	scratch_store_b128 off, v[0:3], s32 offset:664 ; 16-byte Folded Spill
	ds_load_b128 v[0:3], v111 offset:16
	;; [unrolled: 3-line block ×3, first 2 shown]
	scratch_store_b32 off, v19, s32 offset:1256 ; 4-byte Folded Spill
	s_waitcnt lgkmcnt(1)
	scratch_store_b128 off, v[0:3], s32 offset:680 ; 16-byte Folded Spill
	ds_load_b128 v[0:3], v111 offset:32
	s_waitcnt lgkmcnt(1)
	scratch_store_b128 off, v[5:8], s32 offset:1160 ; 16-byte Folded Spill
	s_waitcnt lgkmcnt(0)
	scratch_store_b128 off, v[0:3], s32 offset:696 ; 16-byte Folded Spill
	ds_load_b128 v[0:3], v111 offset:48
	s_waitcnt lgkmcnt(0)
	scratch_store_b128 off, v[0:3], s32 offset:712 ; 16-byte Folded Spill
	ds_load_b128 v[0:3], v111 offset:64
	s_waitcnt lgkmcnt(0)
	scratch_store_b128 off, v[0:3], s32 offset:728 ; 16-byte Folded Spill
	ds_load_b128 v[0:3], v111 offset:80
	s_waitcnt lgkmcnt(0)
	scratch_store_b128 off, v[0:3], s32 offset:744 ; 16-byte Folded Spill
	ds_load_b128 v[0:3], v111 offset:96
	s_waitcnt lgkmcnt(0)
	scratch_store_b128 off, v[0:3], s32 offset:760 ; 16-byte Folded Spill
	ds_load_b128 v[0:3], v111 offset:112
	s_waitcnt lgkmcnt(0)
	scratch_store_b128 off, v[0:3], s32 offset:776 ; 16-byte Folded Spill
	ds_load_b128 v[0:3], v111 offset:128
	s_waitcnt lgkmcnt(0)
	scratch_store_b128 off, v[0:3], s32 offset:792 ; 16-byte Folded Spill
	ds_load_b128 v[0:3], v111 offset:144
	s_waitcnt lgkmcnt(0)
	scratch_store_b128 off, v[0:3], s32 offset:808 ; 16-byte Folded Spill
	ds_load_b128 v[0:3], v111 offset:160
	s_waitcnt lgkmcnt(0)
	scratch_store_b128 off, v[0:3], s32 offset:824 ; 16-byte Folded Spill
	ds_load_b128 v[0:3], v111 offset:176
	s_waitcnt lgkmcnt(0)
	scratch_store_b128 off, v[0:3], s32 offset:840 ; 16-byte Folded Spill
	ds_load_b128 v[0:3], v111 offset:192
	s_waitcnt lgkmcnt(0)
	scratch_store_b128 off, v[0:3], s32 offset:856 ; 16-byte Folded Spill
	ds_load_b128 v[0:3], v111 offset:208
	s_waitcnt lgkmcnt(0)
	scratch_store_b128 off, v[0:3], s32 offset:872 ; 16-byte Folded Spill
	s_clause 0x1
	scratch_load_b32 v2, off, s32 offset:652
	scratch_load_b32 v3, off, s32 offset:1184
	v_lshlrev_b64 v[0:1], 2, v[83:84]
	s_delay_alu instid0(VALU_DEP_1) | instskip(NEXT) | instid1(VALU_DEP_1)
	v_add_co_u32 v0, s1, v16, v0
	v_add_co_ci_u32_e64 v1, s1, v17, v1, s1
	s_delay_alu instid0(VALU_DEP_2) | instskip(NEXT) | instid1(VALU_DEP_1)
	v_add_co_u32 v122, s1, v14, v0
	v_add_co_ci_u32_e64 v123, s1, v15, v1, s1
	v_mov_b32_e32 v0, v83
	s_waitcnt vmcnt(1)
	v_cmp_neq_f32_e32 vcc_lo, 0, v2
	s_waitcnt vmcnt(0)
	v_lshlrev_b32_e32 v2, 5, v3
	v_lshl_or_b32 v3, v3, 7, v21
	s_delay_alu instid0(VALU_DEP_2) | instskip(NEXT) | instid1(VALU_DEP_2)
	v_add3_u32 v14, s11, v2, v4
	v_add_nc_u32_e32 v15, s2, v3
	s_mov_b32 s2, 0
	s_brev_b32 s3, 1
	s_mov_b32 s7, s2
	s_branch .LBB283_11
.LBB283_7:                              ;   in Loop: Header=BB283_11 Depth=1
	s_or_b32 exec_lo, exec_lo, s21
	v_lshlrev_b32_e32 v27, 24, v27
	s_delay_alu instid0(VALU_DEP_2) | instskip(SKIP_1) | instid1(VALU_DEP_3)
	v_lshlrev_b32_e32 v70, 20, v110
	v_lshl_add_u32 v26, v26, 23, 0x3c000000
	v_and_b32_e32 v27, 0x80000000, v27
	s_delay_alu instid0(VALU_DEP_1)
	v_or3_b32 v71, v70, v27, v26
	v_mov_b32_e32 v70, v111
.LBB283_8:                              ;   in Loop: Header=BB283_11 Depth=1
	s_or_b32 exec_lo, exec_lo, s8
.LBB283_9:                              ;   in Loop: Header=BB283_11 Depth=1
	s_delay_alu instid0(SALU_CYCLE_1)
	s_or_b32 exec_lo, exec_lo, s20
.LBB283_10:                             ;   in Loop: Header=BB283_11 Depth=1
	s_delay_alu instid0(SALU_CYCLE_1)
	s_or_b32 exec_lo, exec_lo, s19
	scratch_load_b64 v[102:103], off, s32 offset:616 ; 8-byte Folded Reload
	v_or_b32_e32 v26, v82, v10
	v_or_b32_e32 v11, v83, v11
	;; [unrolled: 1-line block ×5, first 2 shown]
	v_mul_f32_e32 v82, v1, v26
	v_or_b32_e32 v26, v54, v168
	v_mul_f32_e32 v10, v1, v11
	v_or_b32_e32 v11, v13, v87
	v_or_b32_e32 v13, v55, v169
	v_mul_f32_e32 v83, v1, v27
	v_mul_f32_e32 v55, v1, v26
	v_or_b32_e32 v26, v175, v187
	v_or_b32_e32 v27, v142, v154
	;; [unrolled: 1-line block ×5, first 2 shown]
	v_mul_f32_e32 v54, v1, v26
	v_or_b32_e32 v26, v143, v155
	v_mul_f32_e32 v87, v1, v27
	v_or_b32_e32 v27, v50, v156
	v_mul_f32_e32 v20, v1, v21
	v_mul_f32_e32 v8, v1, v9
	;; [unrolled: 1-line block ×3, first 2 shown]
	v_or_b32_e32 v26, v51, v157
	v_mul_f32_e32 v51, v1, v27
	v_or_b32_e32 v27, v126, v34
	v_or_b32_e32 v9, v19, v31
	;; [unrolled: 1-line block ×3, first 2 shown]
	v_mul_f32_e32 v50, v1, v26
	v_or_b32_e32 v26, v127, v35
	v_mul_f32_e32 v110, v1, v27
	v_or_b32_e32 v27, v138, v38
	v_or_b32_e32 v19, v108, v4
	v_mul_f32_e32 v21, v1, v24
	v_mul_f32_e32 v34, v1, v26
	v_or_b32_e32 v26, v139, v39
	v_mul_f32_e32 v38, v1, v27
	v_or_b32_e32 v27, v124, v136
	v_or_b32_e32 v24, v89, v91
	;; [unrolled: 1-line block ×3, first 2 shown]
	v_mul_f32_e32 v35, v1, v26
	v_or_b32_e32 v26, v184, v188
	v_mul_f32_e32 v109, v1, v27
	v_or_b32_e32 v27, v140, v152
	v_or_b32_e32 v23, v158, v170
	;; [unrolled: 1-line block ×3, first 2 shown]
	v_mul_f32_e32 v31, v1, v26
	v_or_b32_e32 v26, v125, v137
	v_cmp_lt_i32_e64 s1, v14, v98
	v_or_b32_e32 v3, v3, v121
	s_delay_alu instid0(VALU_DEP_3) | instskip(SKIP_1) | instid1(VALU_DEP_1)
	v_dual_mul_f32 v39, v1, v26 :: v_dual_add_nc_u32 v0, 4, v0
	v_or_b32_e32 v26, v141, v153
	v_mul_f32_e32 v108, v1, v26
	v_or_b32_e32 v26, v105, v107
	v_mul_f32_e32 v4, v1, v5
	v_mul_f32_e32 v5, v1, v19
	v_or_b32_e32 v19, v2, v120
	v_mul_f32_e32 v120, v1, v27
	v_or_b32_e32 v27, v104, v106
	;; [unrolled: 2-line block ×6, first 2 shown]
	s_delay_alu instid0(VALU_DEP_3) | instskip(SKIP_1) | instid1(VALU_DEP_3)
	v_mul_f32_e32 v74, v1, v27
	v_or_b32_e32 v27, v76, v78
	v_mul_f32_e32 v72, v1, v26
	v_or_b32_e32 v26, v77, v79
	s_delay_alu instid0(VALU_DEP_3) | instskip(SKIP_1) | instid1(VALU_DEP_3)
	v_mul_f32_e32 v75, v1, v27
	v_or_b32_e32 v27, v56, v58
	v_mul_f32_e32 v73, v1, v26
	v_or_b32_e32 v26, v57, v59
	;; [unrolled: 5-line block ×10, first 2 shown]
	v_mul_f32_e32 v24, v1, v24
	s_delay_alu instid0(VALU_DEP_4) | instskip(SKIP_1) | instid1(VALU_DEP_4)
	v_mul_f32_e32 v146, v1, v27
	v_or_b32_e32 v27, v148, v150
	v_mul_f32_e32 v144, v1, v26
	v_or_b32_e32 v26, v149, v151
	s_delay_alu instid0(VALU_DEP_3) | instskip(SKIP_1) | instid1(VALU_DEP_3)
	v_mul_f32_e32 v147, v1, v27
	v_or_b32_e32 v27, v128, v130
	v_mul_f32_e32 v145, v1, v26
	v_or_b32_e32 v26, v129, v131
	s_delay_alu instid0(VALU_DEP_3) | instskip(SKIP_1) | instid1(VALU_DEP_3)
	;; [unrolled: 5-line block ×4, first 2 shown]
	v_mul_f32_e32 v114, v1, v27
	v_or_b32_e32 v27, v116, v118
	v_mul_f32_e32 v112, v1, v26
	v_or_b32_e32 v26, v117, v119
	s_delay_alu instid0(VALU_DEP_3) | instskip(NEXT) | instid1(VALU_DEP_2)
	v_mul_f32_e32 v115, v1, v27
	v_mul_f32_e32 v113, v1, v26
	s_waitcnt vmcnt(0)
	v_or_b32_e32 v26, v97, v103
	v_or_b32_e32 v27, v96, v102
	scratch_load_b64 v[102:103], off, s32 offset:624 ; 8-byte Folded Reload
	v_mul_f32_e32 v96, v1, v26
	v_mul_f32_e32 v116, v1, v27
	s_waitcnt vmcnt(0)
	v_or_b32_e32 v26, v101, v103
	v_or_b32_e32 v27, v100, v102
	scratch_load_b64 v[101:102], off, s32 offset:600 ; 8-byte Folded Reload
	v_mul_f32_e32 v97, v1, v26
	v_mul_f32_e32 v100, v1, v27
	;; [unrolled: 1-line block ×3, first 2 shown]
	v_or_b32_e32 v23, v185, v189
	s_waitcnt vmcnt(0)
	v_or_b32_e32 v26, v81, v102
	scratch_load_b64 v[102:103], off, s32 offset:608 ; 8-byte Folded Reload
	v_or_b32_e32 v27, v80, v101
	v_mul_f32_e32 v80, v1, v26
	s_delay_alu instid0(VALU_DEP_2)
	v_mul_f32_e32 v101, v1, v27
	s_waitcnt vmcnt(0)
	v_or_b32_e32 v26, v85, v103
	v_or_b32_e32 v27, v84, v102
	scratch_load_b64 v[102:103], off, s32 offset:584 ; 8-byte Folded Reload
	v_mul_f32_e32 v81, v1, v26
	v_mul_f32_e32 v84, v1, v27
	s_waitcnt vmcnt(0)
	v_or_b32_e32 v26, v65, v103
	v_or_b32_e32 v27, v64, v102
	scratch_load_b64 v[102:103], off, s32 offset:592 ; 8-byte Folded Reload
	v_mul_f32_e32 v64, v1, v26
	v_mul_f32_e32 v85, v1, v27
	s_waitcnt vmcnt(0)
	v_or_b32_e32 v26, v69, v103
	v_or_b32_e32 v27, v68, v102
	scratch_load_b64 v[102:103], off, s32 offset:568 ; 8-byte Folded Reload
	v_mul_f32_e32 v65, v1, v26
	v_mul_f32_e32 v68, v1, v27
	s_waitcnt vmcnt(0)
	v_or_b32_e32 v26, v49, v103
	v_or_b32_e32 v27, v48, v102
	scratch_load_b64 v[102:103], off, s32 offset:576 ; 8-byte Folded Reload
	v_mul_f32_e32 v48, v1, v26
	v_mul_f32_e32 v69, v1, v27
	s_waitcnt vmcnt(0)
	v_or_b32_e32 v26, v53, v103
	v_or_b32_e32 v27, v52, v102
	scratch_load_b64 v[102:103], off, s32 offset:552 ; 8-byte Folded Reload
	v_mul_f32_e32 v49, v1, v26
	v_mul_f32_e32 v52, v1, v27
	s_waitcnt vmcnt(0)
	v_or_b32_e32 v26, v33, v103
	v_or_b32_e32 v27, v32, v102
	scratch_load_b64 v[102:103], off, s32 offset:560 ; 8-byte Folded Reload
	v_mul_f32_e32 v32, v1, v26
	v_mul_f32_e32 v53, v1, v27
	s_waitcnt vmcnt(0)
	v_or_b32_e32 v26, v37, v103
	v_or_b32_e32 v27, v36, v102
	s_delay_alu instid0(VALU_DEP_2) | instskip(NEXT) | instid1(VALU_DEP_2)
	v_mul_f32_e32 v33, v1, v26
	v_mul_f32_e32 v36, v1, v27
	scratch_load_b64 v[26:27], off, s32 offset:536 ; 8-byte Folded Reload
	s_waitcnt vmcnt(0)
	v_or_b32_e32 v17, v17, v27
	v_or_b32_e32 v16, v16, v26
	scratch_load_b64 v[26:27], off, s32 offset:544 ; 8-byte Folded Reload
	v_mul_f32_e32 v37, v1, v17
	v_mul_f32_e32 v102, v1, v16
	s_waitcnt vmcnt(0)
	v_or_b32_e32 v16, v29, v27
	v_or_b32_e32 v17, v28, v26
	s_clause 0x1
	scratch_load_b64 v[26:27], off, s32 offset:512
	scratch_load_b64 v[28:29], off, s32 offset:520
	v_mul_f32_e32 v103, v1, v16
	v_mul_f32_e32 v117, v1, v17
	s_waitcnt vmcnt(0)
	v_or_b32_e32 v16, v27, v29
	v_or_b32_e32 v17, v26, v28
	s_delay_alu instid0(VALU_DEP_2) | instskip(NEXT) | instid1(VALU_DEP_2)
	v_mul_f32_e32 v118, v1, v16
	v_mul_f32_e32 v119, v1, v17
	scratch_load_b64 v[16:17], off, s32 offset:528 ; 8-byte Folded Reload
	s_waitcnt vmcnt(0)
	v_or_b32_e32 v7, v7, v17
	v_or_b32_e32 v6, v6, v16
	s_clause 0x1
	scratch_load_b64 v[16:17], off, s32 offset:480
	scratch_load_b64 v[26:27], off, s32 offset:488
	v_mul_f32_e32 v132, v1, v7
	v_mul_f32_e32 v133, v1, v6
	s_waitcnt vmcnt(0)
	v_or_b32_e32 v6, v17, v27
	v_or_b32_e32 v7, v16, v26
	s_clause 0x1
	scratch_load_b64 v[16:17], off, s32 offset:496
	scratch_load_b64 v[26:27], off, s32 offset:504
	v_mul_f32_e32 v134, v1, v6
	v_mul_f32_e32 v135, v1, v7
	;; [unrolled: 8-line block ×11, first 2 shown]
	s_waitcnt vmcnt(0)
	v_or_b32_e32 v6, v47, v17
	v_or_b32_e32 v7, v46, v16
	s_clause 0x3
	scratch_load_b64 v[16:17], off, s32 offset:336
	scratch_load_b64 v[60:61], off, s32 offset:344
	scratch_load_b128 v[90:93], off, s32 offset:680
	scratch_load_b128 v[76:79], off, s32 offset:664
	v_mul_f32_e32 v46, v1, v6
	s_waitcnt vmcnt(2)
	v_or_b32_e32 v6, v61, v17
	s_waitcnt vmcnt(1)
	v_mul_f32_e32 v27, v91, v27
	v_mul_f32_e32 v47, v1, v7
	v_or_b32_e32 v7, v60, v16
	v_mul_f32_e32 v28, v92, v28
	v_mul_f32_e32 v60, v1, v6
	v_sub_nc_u32_e32 v6, 1, v98
	v_mul_f32_e32 v11, v1, v11
	v_mul_f32_e32 v61, v1, v7
	scratch_load_b32 v7, off, s32 offset:652 ; 4-byte Folded Reload
	v_mul_f32_e32 v26, v90, v26
	v_add_nc_u32_e32 v6, v6, v14
	v_or_b32_e32 v17, v172, v66
	s_waitcnt vmcnt(1)
	v_fmac_f32_e32 v28, v78, v61
	v_or_b32_e32 v66, v70, v190
	v_fmac_f32_e32 v26, v76, v47
	v_cvt_f32_i32_e32 v6, v6
	v_mul_f32_e32 v13, v1, v13
	v_fmac_f32_e32 v27, v77, v46
	v_dual_mul_f32 v17, v1, v17 :: v_dual_add_nc_u32 v14, 0x80, v14
	s_waitcnt vmcnt(0)
	v_mul_f32_e32 v6, v7, v6
	v_or_b32_e32 v7, v173, v67
	s_delay_alu instid0(VALU_DEP_2) | instskip(NEXT) | instid1(VALU_DEP_2)
	v_dual_cndmask_b32 v6, 0, v6 :: v_dual_mul_f32 v29, v93, v29
	v_mul_f32_e32 v16, v1, v7
	v_or_b32_e32 v7, v71, v191
	s_delay_alu instid0(VALU_DEP_3)
	v_fmac_f32_e32 v29, v79, v60
	scratch_load_b128 v[60:63], off, s32 offset:696 ; 16-byte Folded Reload
	v_mul_f32_e32 v9, v1, v9
	s_waitcnt vmcnt(0)
	v_dual_mul_f32 v7, v1, v7 :: v_dual_fmac_f32 v28, v62, v45
	v_fmac_f32_e32 v29, v63, v44
	scratch_load_b128 v[44:47], off, s32 offset:712 ; 16-byte Folded Reload
	v_mul_f32_e32 v23, v1, v23
	v_dual_fmac_f32 v26, v60, v183 :: v_dual_fmac_f32 v27, v61, v182
	s_waitcnt vmcnt(0)
	v_dual_fmac_f32 v28, v46, v181 :: v_dual_fmac_f32 v29, v47, v180
	scratch_load_b128 v[180:183], off, s32 offset:728 ; 16-byte Folded Reload
	v_dual_fmac_f32 v26, v44, v167 :: v_dual_fmac_f32 v27, v45, v166
	s_waitcnt vmcnt(0)
	v_dual_fmac_f32 v28, v182, v165 :: v_dual_fmac_f32 v29, v183, v164
	scratch_load_b128 v[164:167], off, s32 offset:744 ; 16-byte Folded Reload
	;; [unrolled: 4-line block ×3, first 2 shown]
	v_dual_fmac_f32 v26, v164, v135 :: v_dual_fmac_f32 v27, v165, v134
	s_waitcnt vmcnt(0)
	s_delay_alu instid0(VALU_DEP_1)
	v_dual_mul_f32 v25, v1, v25 :: v_dual_fmac_f32 v26, v148, v119
	v_dual_fmac_f32 v28, v150, v133 :: v_dual_fmac_f32 v29, v151, v132
	scratch_load_b128 v[132:135], off, s32 offset:776 ; 16-byte Folded Reload
	v_fmac_f32_e32 v27, v149, v118
	s_waitcnt vmcnt(0)
	v_dual_mul_f32 v12, v1, v12 :: v_dual_fmac_f32 v29, v135, v103
	s_delay_alu instid0(VALU_DEP_2)
	v_dual_fmac_f32 v26, v132, v102 :: v_dual_fmac_f32 v27, v133, v37
	v_fmac_f32_e32 v28, v134, v117
	scratch_load_b128 v[132:135], off, s32 offset:792 ; 16-byte Folded Reload
	s_waitcnt vmcnt(0)
	v_dual_fmac_f32 v26, v132, v53 :: v_dual_fmac_f32 v27, v133, v32
	v_dual_fmac_f32 v28, v134, v36 :: v_dual_fmac_f32 v29, v135, v33
	scratch_load_b128 v[132:135], off, s32 offset:808 ; 16-byte Folded Reload
	s_waitcnt vmcnt(0)
	v_dual_mul_f32 v22, v1, v22 :: v_dual_fmac_f32 v29, v135, v49
	v_dual_fmac_f32 v26, v132, v69 :: v_dual_fmac_f32 v27, v133, v48
	v_fmac_f32_e32 v28, v134, v52
	scratch_load_b128 v[132:135], off, s32 offset:824 ; 16-byte Folded Reload
	s_waitcnt vmcnt(0)
	v_dual_mul_f32 v18, v1, v18 :: v_dual_fmac_f32 v29, v135, v65
	v_mul_f32_e32 v2, v1, v3
	v_dual_mul_f32 v3, v1, v19 :: v_dual_fmac_f32 v26, v132, v85
	v_or_b32_e32 v19, v159, v171
	v_fmac_f32_e32 v27, v133, v64
	s_delay_alu instid0(VALU_DEP_2)
	v_dual_fmac_f32 v28, v134, v68 :: v_dual_mul_f32 v19, v1, v19
	v_mul_f32_e32 v1, v1, v66
	scratch_load_b128 v[64:67], off, s32 offset:840 ; 16-byte Folded Reload
	s_waitcnt vmcnt(0)
	v_dual_fmac_f32 v26, v64, v101 :: v_dual_fmac_f32 v27, v65, v80
	v_dual_fmac_f32 v28, v66, v84 :: v_dual_fmac_f32 v29, v67, v81
	scratch_load_b128 v[64:67], off, s32 offset:856 ; 16-byte Folded Reload
	s_waitcnt vmcnt(0)
	v_fmac_f32_e32 v26, v64, v116
	v_fmac_f32_e32 v27, v65, v96
	v_dual_fmac_f32 v28, v66, v100 :: v_dual_fmac_f32 v29, v67, v97
	scratch_load_b128 v[64:67], off, s32 offset:872 ; 16-byte Folded Reload
	s_waitcnt vmcnt(0)
	v_dual_fmac_f32 v26, v64, v114 :: v_dual_fmac_f32 v27, v65, v112
	v_dual_fmac_f32 v28, v66, v115 :: v_dual_fmac_f32 v29, v67, v113
	scratch_load_b128 v[64:67], off, s32 offset:888 ; 16-byte Folded Reload
	s_waitcnt vmcnt(0)
	v_dual_fmac_f32 v26, v64, v130 :: v_dual_fmac_f32 v27, v65, v128
	;; [unrolled: 4-line block ×6, first 2 shown]
	v_dual_fmac_f32 v28, v66, v43 :: v_dual_fmac_f32 v29, v67, v41
	scratch_load_b128 v[64:67], off, s32 offset:968 ; 16-byte Folded Reload
	s_waitcnt vmcnt(0)
	v_fmac_f32_e32 v26, v64, v58
	v_dual_fmac_f32 v28, v66, v59 :: v_dual_fmac_f32 v29, v67, v57
	v_fmac_f32_e32 v27, v65, v56
	scratch_load_b128 v[64:67], off, s32 offset:984 ; 16-byte Folded Reload
	s_waitcnt vmcnt(0)
	v_dual_fmac_f32 v26, v64, v74 :: v_dual_fmac_f32 v27, v65, v72
	v_dual_fmac_f32 v28, v66, v75 :: v_dual_fmac_f32 v29, v67, v73
	scratch_load_b128 v[64:67], off, s32 offset:1000 ; 16-byte Folded Reload
	s_waitcnt vmcnt(0)
	v_fmac_f32_e32 v26, v64, v88
	v_dual_fmac_f32 v27, v65, v24 :: v_dual_fmac_f32 v28, v66, v89
	v_fmac_f32_e32 v29, v67, v25
	scratch_load_b128 v[64:67], off, s32 offset:1016 ; 16-byte Folded Reload
	s_waitcnt vmcnt(0)
	v_dual_fmac_f32 v26, v64, v105 :: v_dual_fmac_f32 v27, v65, v104
	v_dual_fmac_f32 v28, v66, v21 :: v_dual_fmac_f32 v29, v67, v20
	scratch_load_b128 v[64:67], off, s32 offset:1032 ; 16-byte Folded Reload
	s_waitcnt vmcnt(0)
	v_dual_fmac_f32 v26, v64, v109 :: v_dual_fmac_f32 v27, v65, v39
	v_fmac_f32_e32 v28, v66, v120
	v_fmac_f32_e32 v29, v67, v108
	scratch_load_b128 v[64:67], off, s32 offset:1048 ; 16-byte Folded Reload
	s_waitcnt vmcnt(0)
	v_fmac_f32_e32 v26, v64, v30
	v_fmac_f32_e32 v28, v66, v31
	scratch_load_b128 v[30:33], off, s32 offset:1064 ; 16-byte Folded Reload
	v_fmac_f32_e32 v27, v65, v19
	s_waitcnt vmcnt(0)
	v_dual_fmac_f32 v29, v67, v23 :: v_dual_fmac_f32 v26, v30, v5
	s_delay_alu instid0(VALU_DEP_2) | instskip(NEXT) | instid1(VALU_DEP_2)
	v_dual_fmac_f32 v27, v31, v4 :: v_dual_fmac_f32 v28, v32, v3
	v_fmac_f32_e32 v29, v33, v2
	scratch_load_b128 v[2:5], off, s32 offset:1080 ; 16-byte Folded Reload
	s_waitcnt vmcnt(0)
	v_dual_fmac_f32 v26, v2, v22 :: v_dual_fmac_f32 v27, v3, v8
	v_dual_fmac_f32 v28, v4, v18 :: v_dual_fmac_f32 v29, v5, v9
	scratch_load_b128 v[2:5], off, s32 offset:1096 ; 16-byte Folded Reload
	s_waitcnt vmcnt(0)
	v_fmac_f32_e32 v26, v2, v110
	v_fmac_f32_e32 v27, v3, v34
	v_dual_fmac_f32 v28, v4, v38 :: v_dual_fmac_f32 v29, v5, v35
	scratch_load_b128 v[2:5], off, s32 offset:1112 ; 16-byte Folded Reload
	s_waitcnt vmcnt(0)
	v_fmac_f32_e32 v28, v4, v51
	v_dual_fmac_f32 v26, v2, v87 :: v_dual_fmac_f32 v27, v3, v86
	v_fmac_f32_e32 v29, v5, v50
	scratch_load_b128 v[2:5], off, s32 offset:1128 ; 16-byte Folded Reload
	s_waitcnt vmcnt(0)
	v_dual_fmac_f32 v26, v2, v55 :: v_dual_fmac_f32 v27, v3, v13
	v_dual_fmac_f32 v28, v4, v83 :: v_dual_fmac_f32 v29, v5, v54
	scratch_load_b128 v[2:5], off, s32 offset:1144 ; 16-byte Folded Reload
	s_waitcnt vmcnt(0)
	v_fmac_f32_e32 v26, v2, v82
	v_dual_fmac_f32 v27, v3, v10 :: v_dual_fmac_f32 v28, v4, v12
	v_fmac_f32_e32 v29, v5, v11
	scratch_load_b128 v[2:5], off, s32 offset:1160 ; 16-byte Folded Reload
	s_waitcnt vmcnt(0)
	v_fmac_f32_e32 v26, v2, v17
	scratch_load_b32 v2, off, s32 offset:648 ; 4-byte Folded Reload
	v_dual_fmac_f32 v27, v3, v16 :: v_dual_fmac_f32 v28, v4, v1
	v_fmac_f32_e32 v29, v5, v7
	s_delay_alu instid0(VALU_DEP_2) | instskip(NEXT) | instid1(VALU_DEP_1)
	v_add_f32_e32 v1, v26, v27
	v_add_f32_e32 v1, v28, v1
	s_delay_alu instid0(VALU_DEP_1) | instskip(SKIP_1) | instid1(VALU_DEP_1)
	v_add_f32_e32 v1, v29, v1
	s_waitcnt vmcnt(0)
	v_fmac_f32_e32 v6, v1, v2
	s_delay_alu instid0(VALU_DEP_1) | instskip(SKIP_3) | instid1(VALU_DEP_2)
	v_cndmask_b32_e64 v1, 0, v6, s1
	ds_store_b32 v15, v1
	v_max_f32_e32 v1, v99, v99
	v_add_nc_u32_e32 v15, 0x200, v15
	v_max_f32_e32 v1, v1, v6
	s_delay_alu instid0(VALU_DEP_1) | instskip(SKIP_2) | instid1(VALU_DEP_1)
	v_cndmask_b32_e64 v99, v99, v1, s1
	scratch_load_b32 v1, off, s32 offset:636 ; 4-byte Folded Reload
	v_add_co_u32 v122, s1, v122, 16
	v_add_co_ci_u32_e64 v123, s1, 0, v123, s1
	s_waitcnt vmcnt(0)
	v_cmp_ge_i32_e64 s1, v0, v1
	s_delay_alu instid0(VALU_DEP_1) | instskip(NEXT) | instid1(SALU_CYCLE_1)
	s_or_b32 s7, s1, s7
	s_and_not1_b32 exec_lo, exec_lo, s7
	s_cbranch_execz .LBB283_1032
.LBB283_11:                             ; =>This Inner Loop Header: Depth=1
	flat_load_b32 v1, v[122:123]
	s_clause 0x1
	scratch_load_b32 v2, off, s32 offset:632
	scratch_load_b64 v[3:4], off, s32 offset:656
	s_mov_b32 s8, exec_lo
	s_waitcnt vmcnt(0) lgkmcnt(0)
	v_mad_i64_i32 v[172:173], null, v1, v2, v[3:4]
	flat_load_b32 v2, v[172:173]
	scratch_load_b64 v[3:4], off, s32 offset:640 ; 8-byte Folded Reload
	s_waitcnt vmcnt(0)
	flat_load_b32 v1, v[3:4]
	s_waitcnt lgkmcnt(1)
	v_dual_mov_b32 v4, 0 :: v_dual_and_b32 v3, 0xff, v2
	v_mov_b32_e32 v5, 0
	s_clause 0x1
	scratch_store_b64 off, v[4:5], s32 offset:328
	scratch_store_b64 off, v[4:5], s32 offset:320
	v_cmpx_ne_u16_e32 0, v3
	s_cbranch_execz .LBB283_19
; %bb.12:                               ;   in Loop: Header=BB283_11 Depth=1
	v_bfrev_b32_e32 v4, 1
	v_mov_b32_e32 v5, 0
	s_mov_b32 s19, exec_lo
	scratch_store_b64 off, v[4:5], s32 offset:320 ; 8-byte Folded Spill
	v_cmpx_ne_u16_e32 0x80, v3
	s_cbranch_execz .LBB283_18
; %bb.13:                               ;   in Loop: Header=BB283_11 Depth=1
	v_mov_b32_e32 v5, 0x7f800001
	v_and_b32_e32 v4, 0x7f, v2
	v_mov_b32_e32 v6, 0
	s_mov_b32 s20, exec_lo
	scratch_store_b64 off, v[5:6], s32 offset:320 ; 8-byte Folded Spill
	v_cmpx_ne_u32_e32 0x7f, v4
	s_cbranch_execz .LBB283_17
; %bb.14:                               ;   in Loop: Header=BB283_11 Depth=1
	v_and_b32_e32 v110, 7, v2
	v_lshrrev_b32_e32 v3, 3, v4
	s_mov_b32 s21, exec_lo
	v_cmpx_gt_u32_e32 8, v4
; %bb.15:                               ;   in Loop: Header=BB283_11 Depth=1
	s_delay_alu instid0(VALU_DEP_3) | instskip(NEXT) | instid1(VALU_DEP_1)
	v_clz_i32_u32_e32 v3, v110
	v_min_u32_e32 v3, 32, v3
	s_delay_alu instid0(VALU_DEP_1) | instskip(SKIP_1) | instid1(VALU_DEP_2)
	v_subrev_nc_u32_e32 v4, 28, v3
	v_sub_nc_u32_e32 v3, 29, v3
	v_lshlrev_b64 v[4:5], v4, v[110:111]
	s_delay_alu instid0(VALU_DEP_1)
	v_and_b32_e32 v110, 7, v4
; %bb.16:                               ;   in Loop: Header=BB283_11 Depth=1
	s_or_b32 exec_lo, exec_lo, s21
	v_lshlrev_b32_e32 v4, 24, v2
	s_delay_alu instid0(VALU_DEP_2) | instskip(SKIP_1) | instid1(VALU_DEP_3)
	v_lshlrev_b32_e32 v5, 20, v110
	v_lshl_add_u32 v3, v3, 23, 0x3c000000
	v_and_b32_e32 v4, 0x80000000, v4
	s_delay_alu instid0(VALU_DEP_1)
	v_or3_b32 v110, v5, v4, v3
	scratch_store_b64 off, v[110:111], s32 offset:320 ; 8-byte Folded Spill
.LBB283_17:                             ;   in Loop: Header=BB283_11 Depth=1
	s_or_b32 exec_lo, exec_lo, s20
.LBB283_18:                             ;   in Loop: Header=BB283_11 Depth=1
	s_delay_alu instid0(SALU_CYCLE_1)
	s_or_b32 exec_lo, exec_lo, s19
.LBB283_19:                             ;   in Loop: Header=BB283_11 Depth=1
	s_delay_alu instid0(SALU_CYCLE_1) | instskip(SKIP_2) | instid1(VALU_DEP_1)
	s_or_b32 exec_lo, exec_lo, s8
	v_lshrrev_b16 v3, 8, v2
	s_mov_b32 s19, exec_lo
	v_cmpx_ne_u16_e32 0, v3
	s_cbranch_execz .LBB283_27
; %bb.20:                               ;   in Loop: Header=BB283_11 Depth=1
	v_dual_mov_b32 v5, s3 :: v_dual_mov_b32 v4, s2
	s_mov_b32 s20, exec_lo
	scratch_store_b64 off, v[4:5], s32 offset:328 ; 8-byte Folded Spill
	v_cmpx_ne_u16_e32 0x80, v3
	s_cbranch_execz .LBB283_26
; %bb.21:                               ;   in Loop: Header=BB283_11 Depth=1
	s_mov_b32 s8, s2
	v_and_b32_e32 v3, 0xffff, v3
	v_dual_mov_b32 v5, s8 :: v_dual_mov_b32 v6, s9
	s_mov_b32 s8, exec_lo
	s_delay_alu instid0(VALU_DEP_2)
	v_and_b32_e32 v4, 0x7f, v3
	scratch_store_b64 off, v[5:6], s32 offset:328 ; 8-byte Folded Spill
	v_cmpx_ne_u32_e32 0x7f, v4
	s_cbranch_execz .LBB283_25
; %bb.22:                               ;   in Loop: Header=BB283_11 Depth=1
	v_and_b32_e32 v110, 7, v3
	v_lshrrev_b32_e32 v3, 3, v4
	s_mov_b32 s21, exec_lo
	v_cmpx_gt_u32_e32 8, v4
; %bb.23:                               ;   in Loop: Header=BB283_11 Depth=1
	s_delay_alu instid0(VALU_DEP_3) | instskip(NEXT) | instid1(VALU_DEP_1)
	v_clz_i32_u32_e32 v3, v110
	v_min_u32_e32 v3, 32, v3
	s_delay_alu instid0(VALU_DEP_1) | instskip(SKIP_1) | instid1(VALU_DEP_2)
	v_subrev_nc_u32_e32 v4, 28, v3
	v_sub_nc_u32_e32 v3, 29, v3
	v_lshlrev_b64 v[4:5], v4, v[110:111]
	s_delay_alu instid0(VALU_DEP_1)
	v_and_b32_e32 v110, 7, v4
; %bb.24:                               ;   in Loop: Header=BB283_11 Depth=1
	s_or_b32 exec_lo, exec_lo, s21
	v_lshlrev_b32_e32 v4, 16, v2
	s_delay_alu instid0(VALU_DEP_2) | instskip(SKIP_1) | instid1(VALU_DEP_3)
	v_lshlrev_b32_e32 v5, 20, v110
	v_lshl_add_u32 v3, v3, 23, 0x3c000000
	v_and_b32_e32 v4, 0x80000000, v4
	s_delay_alu instid0(VALU_DEP_1)
	v_or3_b32 v4, v5, v4, v3
	v_mov_b32_e32 v3, v111
	scratch_store_b64 off, v[3:4], s32 offset:328 ; 8-byte Folded Spill
.LBB283_25:                             ;   in Loop: Header=BB283_11 Depth=1
	s_or_b32 exec_lo, exec_lo, s8
.LBB283_26:                             ;   in Loop: Header=BB283_11 Depth=1
	s_delay_alu instid0(SALU_CYCLE_1)
	s_or_b32 exec_lo, exec_lo, s20
.LBB283_27:                             ;   in Loop: Header=BB283_11 Depth=1
	s_delay_alu instid0(SALU_CYCLE_1)
	s_or_b32 exec_lo, exec_lo, s19
	v_lshrrev_b32_e32 v3, 16, v2
	v_mov_b32_e32 v5, 0
	v_mov_b32_e32 v6, 0
	s_mov_b32 s8, exec_lo
	s_clause 0x1
	scratch_store_b64 off, v[5:6], s32 offset:344
	scratch_store_b64 off, v[5:6], s32 offset:336
	v_and_b32_e32 v4, 0xff, v3
	s_delay_alu instid0(VALU_DEP_1)
	v_cmpx_ne_u16_e32 0, v4
	s_cbranch_execz .LBB283_35
; %bb.28:                               ;   in Loop: Header=BB283_11 Depth=1
	v_bfrev_b32_e32 v5, 1
	v_mov_b32_e32 v6, 0
	s_mov_b32 s19, exec_lo
	scratch_store_b64 off, v[5:6], s32 offset:336 ; 8-byte Folded Spill
	v_cmpx_ne_u16_e32 0x80, v4
	s_cbranch_execz .LBB283_34
; %bb.29:                               ;   in Loop: Header=BB283_11 Depth=1
	v_mov_b32_e32 v6, 0x7f800001
	v_bfe_u32 v5, v2, 16, 7
	v_mov_b32_e32 v7, 0
	s_mov_b32 s20, exec_lo
	scratch_store_b64 off, v[6:7], s32 offset:336 ; 8-byte Folded Spill
	v_cmpx_ne_u32_e32 0x7f, v5
	s_cbranch_execz .LBB283_33
; %bb.30:                               ;   in Loop: Header=BB283_11 Depth=1
	v_and_b32_e32 v110, 7, v3
	v_lshrrev_b32_e32 v4, 3, v5
	s_mov_b32 s21, exec_lo
	v_cmpx_gt_u32_e32 8, v5
; %bb.31:                               ;   in Loop: Header=BB283_11 Depth=1
	s_delay_alu instid0(VALU_DEP_3) | instskip(NEXT) | instid1(VALU_DEP_1)
	v_clz_i32_u32_e32 v4, v110
	v_min_u32_e32 v4, 32, v4
	s_delay_alu instid0(VALU_DEP_1) | instskip(SKIP_1) | instid1(VALU_DEP_2)
	v_subrev_nc_u32_e32 v5, 28, v4
	v_sub_nc_u32_e32 v4, 29, v4
	v_lshlrev_b64 v[5:6], v5, v[110:111]
	s_delay_alu instid0(VALU_DEP_1)
	v_and_b32_e32 v110, 7, v5
; %bb.32:                               ;   in Loop: Header=BB283_11 Depth=1
	s_or_b32 exec_lo, exec_lo, s21
	v_lshlrev_b32_e32 v3, 24, v3
	s_delay_alu instid0(VALU_DEP_2) | instskip(SKIP_1) | instid1(VALU_DEP_3)
	v_lshlrev_b32_e32 v5, 20, v110
	v_lshl_add_u32 v4, v4, 23, 0x3c000000
	v_and_b32_e32 v3, 0x80000000, v3
	s_delay_alu instid0(VALU_DEP_1)
	v_or3_b32 v110, v5, v3, v4
	scratch_store_b64 off, v[110:111], s32 offset:336 ; 8-byte Folded Spill
.LBB283_33:                             ;   in Loop: Header=BB283_11 Depth=1
	s_or_b32 exec_lo, exec_lo, s20
.LBB283_34:                             ;   in Loop: Header=BB283_11 Depth=1
	s_delay_alu instid0(SALU_CYCLE_1)
	s_or_b32 exec_lo, exec_lo, s19
.LBB283_35:                             ;   in Loop: Header=BB283_11 Depth=1
	s_delay_alu instid0(SALU_CYCLE_1) | instskip(NEXT) | instid1(SALU_CYCLE_1)
	s_or_b32 exec_lo, exec_lo, s8
	s_mov_b32 s19, exec_lo
	v_cmpx_lt_u32_e32 0xffffff, v2
	s_cbranch_execz .LBB283_43
; %bb.36:                               ;   in Loop: Header=BB283_11 Depth=1
	v_lshrrev_b32_e32 v3, 24, v2
	v_dual_mov_b32 v5, s3 :: v_dual_mov_b32 v4, s2
	s_mov_b32 s20, exec_lo
	scratch_store_b64 off, v[4:5], s32 offset:344 ; 8-byte Folded Spill
	v_cmpx_ne_u32_e32 0x80, v3
	s_cbranch_execz .LBB283_42
; %bb.37:                               ;   in Loop: Header=BB283_11 Depth=1
	s_mov_b32 s8, s2
	v_bfe_u32 v4, v2, 24, 7
	v_dual_mov_b32 v5, s8 :: v_dual_mov_b32 v6, s9
	s_mov_b32 s8, exec_lo
	scratch_store_b64 off, v[5:6], s32 offset:344 ; 8-byte Folded Spill
	v_cmpx_ne_u32_e32 0x7f, v4
	s_cbranch_execz .LBB283_41
; %bb.38:                               ;   in Loop: Header=BB283_11 Depth=1
	v_and_b32_e32 v110, 7, v3
	v_lshrrev_b32_e32 v2, 3, v4
	s_mov_b32 s21, exec_lo
	v_cmpx_gt_u32_e32 8, v4
; %bb.39:                               ;   in Loop: Header=BB283_11 Depth=1
	s_delay_alu instid0(VALU_DEP_3) | instskip(NEXT) | instid1(VALU_DEP_1)
	v_clz_i32_u32_e32 v2, v110
	v_min_u32_e32 v2, 32, v2
	s_delay_alu instid0(VALU_DEP_1) | instskip(SKIP_1) | instid1(VALU_DEP_2)
	v_subrev_nc_u32_e32 v4, 28, v2
	v_sub_nc_u32_e32 v2, 29, v2
	v_lshlrev_b64 v[4:5], v4, v[110:111]
	s_delay_alu instid0(VALU_DEP_1)
	v_and_b32_e32 v110, 7, v4
; %bb.40:                               ;   in Loop: Header=BB283_11 Depth=1
	s_or_b32 exec_lo, exec_lo, s21
	v_lshlrev_b32_e32 v3, 24, v3
	s_delay_alu instid0(VALU_DEP_2) | instskip(SKIP_1) | instid1(VALU_DEP_3)
	v_lshlrev_b32_e32 v4, 20, v110
	v_lshl_add_u32 v2, v2, 23, 0x3c000000
	v_and_b32_e32 v3, 0x80000000, v3
	s_delay_alu instid0(VALU_DEP_1)
	v_or3_b32 v3, v4, v3, v2
	v_mov_b32_e32 v2, v111
	scratch_store_b64 off, v[2:3], s32 offset:344 ; 8-byte Folded Spill
.LBB283_41:                             ;   in Loop: Header=BB283_11 Depth=1
	s_or_b32 exec_lo, exec_lo, s8
.LBB283_42:                             ;   in Loop: Header=BB283_11 Depth=1
	s_delay_alu instid0(SALU_CYCLE_1)
	s_or_b32 exec_lo, exec_lo, s20
.LBB283_43:                             ;   in Loop: Header=BB283_11 Depth=1
	s_delay_alu instid0(SALU_CYCLE_1)
	s_or_b32 exec_lo, exec_lo, s19
	flat_load_b32 v2, v[172:173] offset:4
	v_mov_b32_e32 v4, 0
	v_mov_b32_e32 v5, 0
	s_mov_b32 s8, exec_lo
	s_clause 0x1
	scratch_store_b64 off, v[4:5], s32 offset:360
	scratch_store_b64 off, v[4:5], s32 offset:352
	s_waitcnt vmcnt(0) lgkmcnt(0)
	v_and_b32_e32 v3, 0xff, v2
	s_delay_alu instid0(VALU_DEP_1)
	v_cmpx_ne_u16_e32 0, v3
	s_cbranch_execz .LBB283_51
; %bb.44:                               ;   in Loop: Header=BB283_11 Depth=1
	v_bfrev_b32_e32 v4, 1
	v_mov_b32_e32 v5, 0
	s_mov_b32 s19, exec_lo
	scratch_store_b64 off, v[4:5], s32 offset:352 ; 8-byte Folded Spill
	v_cmpx_ne_u16_e32 0x80, v3
	s_cbranch_execz .LBB283_50
; %bb.45:                               ;   in Loop: Header=BB283_11 Depth=1
	v_mov_b32_e32 v5, 0x7f800001
	v_and_b32_e32 v4, 0x7f, v2
	v_mov_b32_e32 v6, 0
	s_mov_b32 s20, exec_lo
	scratch_store_b64 off, v[5:6], s32 offset:352 ; 8-byte Folded Spill
	v_cmpx_ne_u32_e32 0x7f, v4
	s_cbranch_execz .LBB283_49
; %bb.46:                               ;   in Loop: Header=BB283_11 Depth=1
	v_and_b32_e32 v110, 7, v2
	v_lshrrev_b32_e32 v3, 3, v4
	s_mov_b32 s21, exec_lo
	v_cmpx_gt_u32_e32 8, v4
; %bb.47:                               ;   in Loop: Header=BB283_11 Depth=1
	s_delay_alu instid0(VALU_DEP_3) | instskip(NEXT) | instid1(VALU_DEP_1)
	v_clz_i32_u32_e32 v3, v110
	v_min_u32_e32 v3, 32, v3
	s_delay_alu instid0(VALU_DEP_1) | instskip(SKIP_1) | instid1(VALU_DEP_2)
	v_subrev_nc_u32_e32 v4, 28, v3
	v_sub_nc_u32_e32 v3, 29, v3
	v_lshlrev_b64 v[4:5], v4, v[110:111]
	s_delay_alu instid0(VALU_DEP_1)
	v_and_b32_e32 v110, 7, v4
; %bb.48:                               ;   in Loop: Header=BB283_11 Depth=1
	s_or_b32 exec_lo, exec_lo, s21
	v_lshlrev_b32_e32 v4, 24, v2
	s_delay_alu instid0(VALU_DEP_2) | instskip(SKIP_1) | instid1(VALU_DEP_3)
	v_lshlrev_b32_e32 v5, 20, v110
	v_lshl_add_u32 v3, v3, 23, 0x3c000000
	v_and_b32_e32 v4, 0x80000000, v4
	s_delay_alu instid0(VALU_DEP_1)
	v_or3_b32 v110, v5, v4, v3
	scratch_store_b64 off, v[110:111], s32 offset:352 ; 8-byte Folded Spill
.LBB283_49:                             ;   in Loop: Header=BB283_11 Depth=1
	s_or_b32 exec_lo, exec_lo, s20
.LBB283_50:                             ;   in Loop: Header=BB283_11 Depth=1
	s_delay_alu instid0(SALU_CYCLE_1)
	s_or_b32 exec_lo, exec_lo, s19
.LBB283_51:                             ;   in Loop: Header=BB283_11 Depth=1
	s_delay_alu instid0(SALU_CYCLE_1) | instskip(SKIP_2) | instid1(VALU_DEP_1)
	s_or_b32 exec_lo, exec_lo, s8
	v_lshrrev_b16 v3, 8, v2
	s_mov_b32 s19, exec_lo
	v_cmpx_ne_u16_e32 0, v3
	s_cbranch_execz .LBB283_59
; %bb.52:                               ;   in Loop: Header=BB283_11 Depth=1
	v_dual_mov_b32 v5, s3 :: v_dual_mov_b32 v4, s2
	s_mov_b32 s20, exec_lo
	scratch_store_b64 off, v[4:5], s32 offset:360 ; 8-byte Folded Spill
	v_cmpx_ne_u16_e32 0x80, v3
	s_cbranch_execz .LBB283_58
; %bb.53:                               ;   in Loop: Header=BB283_11 Depth=1
	s_mov_b32 s8, s2
	v_and_b32_e32 v3, 0xffff, v3
	v_dual_mov_b32 v5, s8 :: v_dual_mov_b32 v6, s9
	s_mov_b32 s8, exec_lo
	s_delay_alu instid0(VALU_DEP_2)
	v_and_b32_e32 v4, 0x7f, v3
	scratch_store_b64 off, v[5:6], s32 offset:360 ; 8-byte Folded Spill
	v_cmpx_ne_u32_e32 0x7f, v4
	s_cbranch_execz .LBB283_57
; %bb.54:                               ;   in Loop: Header=BB283_11 Depth=1
	v_and_b32_e32 v110, 7, v3
	v_lshrrev_b32_e32 v3, 3, v4
	s_mov_b32 s21, exec_lo
	v_cmpx_gt_u32_e32 8, v4
; %bb.55:                               ;   in Loop: Header=BB283_11 Depth=1
	s_delay_alu instid0(VALU_DEP_3) | instskip(NEXT) | instid1(VALU_DEP_1)
	v_clz_i32_u32_e32 v3, v110
	v_min_u32_e32 v3, 32, v3
	s_delay_alu instid0(VALU_DEP_1) | instskip(SKIP_1) | instid1(VALU_DEP_2)
	v_subrev_nc_u32_e32 v4, 28, v3
	v_sub_nc_u32_e32 v3, 29, v3
	v_lshlrev_b64 v[4:5], v4, v[110:111]
	s_delay_alu instid0(VALU_DEP_1)
	v_and_b32_e32 v110, 7, v4
; %bb.56:                               ;   in Loop: Header=BB283_11 Depth=1
	s_or_b32 exec_lo, exec_lo, s21
	v_lshlrev_b32_e32 v4, 16, v2
	s_delay_alu instid0(VALU_DEP_2) | instskip(SKIP_1) | instid1(VALU_DEP_3)
	v_lshlrev_b32_e32 v5, 20, v110
	v_lshl_add_u32 v3, v3, 23, 0x3c000000
	v_and_b32_e32 v4, 0x80000000, v4
	s_delay_alu instid0(VALU_DEP_1)
	v_or3_b32 v4, v5, v4, v3
	v_mov_b32_e32 v3, v111
	scratch_store_b64 off, v[3:4], s32 offset:360 ; 8-byte Folded Spill
.LBB283_57:                             ;   in Loop: Header=BB283_11 Depth=1
	s_or_b32 exec_lo, exec_lo, s8
.LBB283_58:                             ;   in Loop: Header=BB283_11 Depth=1
	s_delay_alu instid0(SALU_CYCLE_1)
	s_or_b32 exec_lo, exec_lo, s20
.LBB283_59:                             ;   in Loop: Header=BB283_11 Depth=1
	s_delay_alu instid0(SALU_CYCLE_1)
	s_or_b32 exec_lo, exec_lo, s19
	v_lshrrev_b32_e32 v3, 16, v2
	v_mov_b32_e32 v5, 0
	v_mov_b32_e32 v6, 0
	s_mov_b32 s8, exec_lo
	s_clause 0x1
	scratch_store_b64 off, v[5:6], s32 offset:376
	scratch_store_b64 off, v[5:6], s32 offset:368
	v_and_b32_e32 v4, 0xff, v3
	s_delay_alu instid0(VALU_DEP_1)
	v_cmpx_ne_u16_e32 0, v4
	s_cbranch_execz .LBB283_67
; %bb.60:                               ;   in Loop: Header=BB283_11 Depth=1
	v_bfrev_b32_e32 v5, 1
	v_mov_b32_e32 v6, 0
	s_mov_b32 s19, exec_lo
	scratch_store_b64 off, v[5:6], s32 offset:368 ; 8-byte Folded Spill
	v_cmpx_ne_u16_e32 0x80, v4
	s_cbranch_execz .LBB283_66
; %bb.61:                               ;   in Loop: Header=BB283_11 Depth=1
	v_mov_b32_e32 v6, 0x7f800001
	v_bfe_u32 v5, v2, 16, 7
	v_mov_b32_e32 v7, 0
	s_mov_b32 s20, exec_lo
	scratch_store_b64 off, v[6:7], s32 offset:368 ; 8-byte Folded Spill
	v_cmpx_ne_u32_e32 0x7f, v5
	s_cbranch_execz .LBB283_65
; %bb.62:                               ;   in Loop: Header=BB283_11 Depth=1
	v_and_b32_e32 v110, 7, v3
	v_lshrrev_b32_e32 v4, 3, v5
	s_mov_b32 s21, exec_lo
	v_cmpx_gt_u32_e32 8, v5
; %bb.63:                               ;   in Loop: Header=BB283_11 Depth=1
	s_delay_alu instid0(VALU_DEP_3) | instskip(NEXT) | instid1(VALU_DEP_1)
	v_clz_i32_u32_e32 v4, v110
	v_min_u32_e32 v4, 32, v4
	s_delay_alu instid0(VALU_DEP_1) | instskip(SKIP_1) | instid1(VALU_DEP_2)
	v_subrev_nc_u32_e32 v5, 28, v4
	v_sub_nc_u32_e32 v4, 29, v4
	v_lshlrev_b64 v[5:6], v5, v[110:111]
	s_delay_alu instid0(VALU_DEP_1)
	v_and_b32_e32 v110, 7, v5
; %bb.64:                               ;   in Loop: Header=BB283_11 Depth=1
	s_or_b32 exec_lo, exec_lo, s21
	v_lshlrev_b32_e32 v3, 24, v3
	s_delay_alu instid0(VALU_DEP_2) | instskip(SKIP_1) | instid1(VALU_DEP_3)
	v_lshlrev_b32_e32 v5, 20, v110
	v_lshl_add_u32 v4, v4, 23, 0x3c000000
	v_and_b32_e32 v3, 0x80000000, v3
	s_delay_alu instid0(VALU_DEP_1)
	v_or3_b32 v110, v5, v3, v4
	scratch_store_b64 off, v[110:111], s32 offset:368 ; 8-byte Folded Spill
.LBB283_65:                             ;   in Loop: Header=BB283_11 Depth=1
	s_or_b32 exec_lo, exec_lo, s20
.LBB283_66:                             ;   in Loop: Header=BB283_11 Depth=1
	s_delay_alu instid0(SALU_CYCLE_1)
	s_or_b32 exec_lo, exec_lo, s19
.LBB283_67:                             ;   in Loop: Header=BB283_11 Depth=1
	s_delay_alu instid0(SALU_CYCLE_1) | instskip(NEXT) | instid1(SALU_CYCLE_1)
	s_or_b32 exec_lo, exec_lo, s8
	s_mov_b32 s19, exec_lo
	v_cmpx_lt_u32_e32 0xffffff, v2
	s_cbranch_execz .LBB283_75
; %bb.68:                               ;   in Loop: Header=BB283_11 Depth=1
	v_lshrrev_b32_e32 v3, 24, v2
	v_dual_mov_b32 v5, s3 :: v_dual_mov_b32 v4, s2
	s_mov_b32 s20, exec_lo
	scratch_store_b64 off, v[4:5], s32 offset:376 ; 8-byte Folded Spill
	v_cmpx_ne_u32_e32 0x80, v3
	s_cbranch_execz .LBB283_74
; %bb.69:                               ;   in Loop: Header=BB283_11 Depth=1
	s_mov_b32 s8, s2
	v_bfe_u32 v4, v2, 24, 7
	v_dual_mov_b32 v5, s8 :: v_dual_mov_b32 v6, s9
	s_mov_b32 s8, exec_lo
	scratch_store_b64 off, v[5:6], s32 offset:376 ; 8-byte Folded Spill
	v_cmpx_ne_u32_e32 0x7f, v4
	s_cbranch_execz .LBB283_73
; %bb.70:                               ;   in Loop: Header=BB283_11 Depth=1
	v_and_b32_e32 v110, 7, v3
	v_lshrrev_b32_e32 v2, 3, v4
	s_mov_b32 s21, exec_lo
	v_cmpx_gt_u32_e32 8, v4
; %bb.71:                               ;   in Loop: Header=BB283_11 Depth=1
	s_delay_alu instid0(VALU_DEP_3) | instskip(NEXT) | instid1(VALU_DEP_1)
	v_clz_i32_u32_e32 v2, v110
	v_min_u32_e32 v2, 32, v2
	s_delay_alu instid0(VALU_DEP_1) | instskip(SKIP_1) | instid1(VALU_DEP_2)
	v_subrev_nc_u32_e32 v4, 28, v2
	v_sub_nc_u32_e32 v2, 29, v2
	v_lshlrev_b64 v[4:5], v4, v[110:111]
	s_delay_alu instid0(VALU_DEP_1)
	v_and_b32_e32 v110, 7, v4
; %bb.72:                               ;   in Loop: Header=BB283_11 Depth=1
	s_or_b32 exec_lo, exec_lo, s21
	v_lshlrev_b32_e32 v3, 24, v3
	s_delay_alu instid0(VALU_DEP_2) | instskip(SKIP_1) | instid1(VALU_DEP_3)
	v_lshlrev_b32_e32 v4, 20, v110
	v_lshl_add_u32 v2, v2, 23, 0x3c000000
	v_and_b32_e32 v3, 0x80000000, v3
	s_delay_alu instid0(VALU_DEP_1)
	v_or3_b32 v3, v4, v3, v2
	v_mov_b32_e32 v2, v111
	scratch_store_b64 off, v[2:3], s32 offset:376 ; 8-byte Folded Spill
.LBB283_73:                             ;   in Loop: Header=BB283_11 Depth=1
	s_or_b32 exec_lo, exec_lo, s8
.LBB283_74:                             ;   in Loop: Header=BB283_11 Depth=1
	s_delay_alu instid0(SALU_CYCLE_1)
	s_or_b32 exec_lo, exec_lo, s20
.LBB283_75:                             ;   in Loop: Header=BB283_11 Depth=1
	s_delay_alu instid0(SALU_CYCLE_1)
	s_or_b32 exec_lo, exec_lo, s19
	flat_load_b32 v2, v[172:173] offset:8
	v_mov_b32_e32 v4, 0
	v_mov_b32_e32 v5, 0
	s_mov_b32 s8, exec_lo
	s_clause 0x1
	scratch_store_b64 off, v[4:5], s32 offset:384
	scratch_store_b64 off, v[4:5], s32 offset:392
	s_waitcnt vmcnt(0) lgkmcnt(0)
	v_and_b32_e32 v3, 0xff, v2
	s_delay_alu instid0(VALU_DEP_1)
	v_cmpx_ne_u16_e32 0, v3
	s_cbranch_execz .LBB283_83
; %bb.76:                               ;   in Loop: Header=BB283_11 Depth=1
	v_cmp_ne_u16_e64 s1, 0x80, v3
	v_bfrev_b32_e32 v3, 1
	v_mov_b32_e32 v4, 0
	scratch_store_b64 off, v[3:4], s32 offset:392 ; 8-byte Folded Spill
	s_and_saveexec_b32 s19, s1
	s_cbranch_execz .LBB283_82
; %bb.77:                               ;   in Loop: Header=BB283_11 Depth=1
	v_mov_b32_e32 v5, 0x7f800001
	v_and_b32_e32 v4, 0x7f, v2
	v_mov_b32_e32 v6, 0
	s_mov_b32 s20, exec_lo
	scratch_store_b64 off, v[5:6], s32 offset:392 ; 8-byte Folded Spill
	v_cmpx_ne_u32_e32 0x7f, v4
	s_cbranch_execz .LBB283_81
; %bb.78:                               ;   in Loop: Header=BB283_11 Depth=1
	v_and_b32_e32 v110, 7, v2
	v_lshrrev_b32_e32 v3, 3, v4
	s_mov_b32 s21, exec_lo
	v_cmpx_gt_u32_e32 8, v4
; %bb.79:                               ;   in Loop: Header=BB283_11 Depth=1
	s_delay_alu instid0(VALU_DEP_3) | instskip(NEXT) | instid1(VALU_DEP_1)
	v_clz_i32_u32_e32 v3, v110
	v_min_u32_e32 v3, 32, v3
	s_delay_alu instid0(VALU_DEP_1) | instskip(SKIP_1) | instid1(VALU_DEP_2)
	v_subrev_nc_u32_e32 v4, 28, v3
	v_sub_nc_u32_e32 v3, 29, v3
	v_lshlrev_b64 v[4:5], v4, v[110:111]
	s_delay_alu instid0(VALU_DEP_1)
	v_and_b32_e32 v110, 7, v4
; %bb.80:                               ;   in Loop: Header=BB283_11 Depth=1
	s_or_b32 exec_lo, exec_lo, s21
	v_lshlrev_b32_e32 v4, 24, v2
	s_delay_alu instid0(VALU_DEP_2) | instskip(SKIP_1) | instid1(VALU_DEP_3)
	v_lshlrev_b32_e32 v5, 20, v110
	v_lshl_add_u32 v3, v3, 23, 0x3c000000
	v_and_b32_e32 v4, 0x80000000, v4
	s_delay_alu instid0(VALU_DEP_1)
	v_or3_b32 v110, v5, v4, v3
	scratch_store_b64 off, v[110:111], s32 offset:392 ; 8-byte Folded Spill
.LBB283_81:                             ;   in Loop: Header=BB283_11 Depth=1
	s_or_b32 exec_lo, exec_lo, s20
.LBB283_82:                             ;   in Loop: Header=BB283_11 Depth=1
	s_delay_alu instid0(SALU_CYCLE_1)
	s_or_b32 exec_lo, exec_lo, s19
.LBB283_83:                             ;   in Loop: Header=BB283_11 Depth=1
	s_delay_alu instid0(SALU_CYCLE_1) | instskip(SKIP_2) | instid1(VALU_DEP_1)
	s_or_b32 exec_lo, exec_lo, s8
	v_lshrrev_b16 v3, 8, v2
	s_mov_b32 s19, exec_lo
	v_cmpx_ne_u16_e32 0, v3
	s_cbranch_execz .LBB283_91
; %bb.84:                               ;   in Loop: Header=BB283_11 Depth=1
	v_dual_mov_b32 v5, s3 :: v_dual_mov_b32 v4, s2
	s_mov_b32 s20, exec_lo
	scratch_store_b64 off, v[4:5], s32 offset:384 ; 8-byte Folded Spill
	v_cmpx_ne_u16_e32 0x80, v3
	s_cbranch_execz .LBB283_90
; %bb.85:                               ;   in Loop: Header=BB283_11 Depth=1
	s_mov_b32 s8, s2
	v_and_b32_e32 v3, 0xffff, v3
	v_dual_mov_b32 v5, s8 :: v_dual_mov_b32 v6, s9
	s_mov_b32 s8, exec_lo
	s_delay_alu instid0(VALU_DEP_2)
	v_and_b32_e32 v4, 0x7f, v3
	scratch_store_b64 off, v[5:6], s32 offset:384 ; 8-byte Folded Spill
	v_cmpx_ne_u32_e32 0x7f, v4
	s_cbranch_execz .LBB283_89
; %bb.86:                               ;   in Loop: Header=BB283_11 Depth=1
	v_and_b32_e32 v110, 7, v3
	v_lshrrev_b32_e32 v3, 3, v4
	s_mov_b32 s21, exec_lo
	v_cmpx_gt_u32_e32 8, v4
; %bb.87:                               ;   in Loop: Header=BB283_11 Depth=1
	s_delay_alu instid0(VALU_DEP_3) | instskip(NEXT) | instid1(VALU_DEP_1)
	v_clz_i32_u32_e32 v3, v110
	v_min_u32_e32 v3, 32, v3
	s_delay_alu instid0(VALU_DEP_1) | instskip(SKIP_1) | instid1(VALU_DEP_2)
	v_subrev_nc_u32_e32 v4, 28, v3
	v_sub_nc_u32_e32 v3, 29, v3
	v_lshlrev_b64 v[4:5], v4, v[110:111]
	s_delay_alu instid0(VALU_DEP_1)
	v_and_b32_e32 v110, 7, v4
; %bb.88:                               ;   in Loop: Header=BB283_11 Depth=1
	s_or_b32 exec_lo, exec_lo, s21
	v_lshlrev_b32_e32 v4, 16, v2
	s_delay_alu instid0(VALU_DEP_2) | instskip(SKIP_1) | instid1(VALU_DEP_3)
	v_lshlrev_b32_e32 v5, 20, v110
	v_lshl_add_u32 v3, v3, 23, 0x3c000000
	v_and_b32_e32 v4, 0x80000000, v4
	s_delay_alu instid0(VALU_DEP_1)
	v_or3_b32 v4, v5, v4, v3
	v_mov_b32_e32 v3, v111
	scratch_store_b64 off, v[3:4], s32 offset:384 ; 8-byte Folded Spill
.LBB283_89:                             ;   in Loop: Header=BB283_11 Depth=1
	s_or_b32 exec_lo, exec_lo, s8
.LBB283_90:                             ;   in Loop: Header=BB283_11 Depth=1
	s_delay_alu instid0(SALU_CYCLE_1)
	s_or_b32 exec_lo, exec_lo, s20
.LBB283_91:                             ;   in Loop: Header=BB283_11 Depth=1
	s_delay_alu instid0(SALU_CYCLE_1)
	s_or_b32 exec_lo, exec_lo, s19
	v_lshrrev_b32_e32 v3, 16, v2
	v_mov_b32_e32 v5, 0
	v_mov_b32_e32 v6, 0
	s_mov_b32 s8, exec_lo
	s_clause 0x1
	scratch_store_b64 off, v[5:6], s32 offset:400
	scratch_store_b64 off, v[5:6], s32 offset:408
	v_and_b32_e32 v4, 0xff, v3
	s_delay_alu instid0(VALU_DEP_1)
	v_cmpx_ne_u16_e32 0, v4
	s_cbranch_execz .LBB283_99
; %bb.92:                               ;   in Loop: Header=BB283_11 Depth=1
	v_cmp_ne_u16_e64 s1, 0x80, v4
	v_bfrev_b32_e32 v4, 1
	v_mov_b32_e32 v5, 0
	scratch_store_b64 off, v[4:5], s32 offset:408 ; 8-byte Folded Spill
	s_and_saveexec_b32 s19, s1
	s_cbranch_execz .LBB283_98
; %bb.93:                               ;   in Loop: Header=BB283_11 Depth=1
	v_mov_b32_e32 v6, 0x7f800001
	v_bfe_u32 v5, v2, 16, 7
	v_mov_b32_e32 v7, 0
	s_mov_b32 s20, exec_lo
	scratch_store_b64 off, v[6:7], s32 offset:408 ; 8-byte Folded Spill
	v_cmpx_ne_u32_e32 0x7f, v5
	s_cbranch_execz .LBB283_97
; %bb.94:                               ;   in Loop: Header=BB283_11 Depth=1
	v_and_b32_e32 v110, 7, v3
	v_lshrrev_b32_e32 v4, 3, v5
	s_mov_b32 s21, exec_lo
	v_cmpx_gt_u32_e32 8, v5
; %bb.95:                               ;   in Loop: Header=BB283_11 Depth=1
	s_delay_alu instid0(VALU_DEP_3) | instskip(NEXT) | instid1(VALU_DEP_1)
	v_clz_i32_u32_e32 v4, v110
	v_min_u32_e32 v4, 32, v4
	s_delay_alu instid0(VALU_DEP_1) | instskip(SKIP_1) | instid1(VALU_DEP_2)
	v_subrev_nc_u32_e32 v5, 28, v4
	v_sub_nc_u32_e32 v4, 29, v4
	v_lshlrev_b64 v[5:6], v5, v[110:111]
	s_delay_alu instid0(VALU_DEP_1)
	v_and_b32_e32 v110, 7, v5
; %bb.96:                               ;   in Loop: Header=BB283_11 Depth=1
	s_or_b32 exec_lo, exec_lo, s21
	v_lshlrev_b32_e32 v3, 24, v3
	s_delay_alu instid0(VALU_DEP_2) | instskip(SKIP_1) | instid1(VALU_DEP_3)
	v_lshlrev_b32_e32 v5, 20, v110
	v_lshl_add_u32 v4, v4, 23, 0x3c000000
	v_and_b32_e32 v3, 0x80000000, v3
	s_delay_alu instid0(VALU_DEP_1)
	v_or3_b32 v110, v5, v3, v4
	scratch_store_b64 off, v[110:111], s32 offset:408 ; 8-byte Folded Spill
.LBB283_97:                             ;   in Loop: Header=BB283_11 Depth=1
	s_or_b32 exec_lo, exec_lo, s20
.LBB283_98:                             ;   in Loop: Header=BB283_11 Depth=1
	s_delay_alu instid0(SALU_CYCLE_1)
	s_or_b32 exec_lo, exec_lo, s19
.LBB283_99:                             ;   in Loop: Header=BB283_11 Depth=1
	s_delay_alu instid0(SALU_CYCLE_1) | instskip(NEXT) | instid1(SALU_CYCLE_1)
	s_or_b32 exec_lo, exec_lo, s8
	s_mov_b32 s19, exec_lo
	v_cmpx_lt_u32_e32 0xffffff, v2
	s_cbranch_execz .LBB283_107
; %bb.100:                              ;   in Loop: Header=BB283_11 Depth=1
	v_lshrrev_b32_e32 v3, 24, v2
	v_dual_mov_b32 v5, s3 :: v_dual_mov_b32 v4, s2
	s_mov_b32 s20, exec_lo
	scratch_store_b64 off, v[4:5], s32 offset:400 ; 8-byte Folded Spill
	v_cmpx_ne_u32_e32 0x80, v3
	s_cbranch_execz .LBB283_106
; %bb.101:                              ;   in Loop: Header=BB283_11 Depth=1
	s_mov_b32 s8, s2
	v_bfe_u32 v4, v2, 24, 7
	v_dual_mov_b32 v5, s8 :: v_dual_mov_b32 v6, s9
	s_mov_b32 s8, exec_lo
	scratch_store_b64 off, v[5:6], s32 offset:400 ; 8-byte Folded Spill
	v_cmpx_ne_u32_e32 0x7f, v4
	s_cbranch_execz .LBB283_105
; %bb.102:                              ;   in Loop: Header=BB283_11 Depth=1
	v_and_b32_e32 v110, 7, v3
	v_lshrrev_b32_e32 v2, 3, v4
	s_mov_b32 s21, exec_lo
	v_cmpx_gt_u32_e32 8, v4
; %bb.103:                              ;   in Loop: Header=BB283_11 Depth=1
	s_delay_alu instid0(VALU_DEP_3) | instskip(NEXT) | instid1(VALU_DEP_1)
	v_clz_i32_u32_e32 v2, v110
	v_min_u32_e32 v2, 32, v2
	s_delay_alu instid0(VALU_DEP_1) | instskip(SKIP_1) | instid1(VALU_DEP_2)
	v_subrev_nc_u32_e32 v4, 28, v2
	v_sub_nc_u32_e32 v2, 29, v2
	v_lshlrev_b64 v[4:5], v4, v[110:111]
	s_delay_alu instid0(VALU_DEP_1)
	v_and_b32_e32 v110, 7, v4
; %bb.104:                              ;   in Loop: Header=BB283_11 Depth=1
	s_or_b32 exec_lo, exec_lo, s21
	v_lshlrev_b32_e32 v3, 24, v3
	s_delay_alu instid0(VALU_DEP_2) | instskip(SKIP_1) | instid1(VALU_DEP_3)
	v_lshlrev_b32_e32 v4, 20, v110
	v_lshl_add_u32 v2, v2, 23, 0x3c000000
	v_and_b32_e32 v3, 0x80000000, v3
	s_delay_alu instid0(VALU_DEP_1)
	v_or3_b32 v3, v4, v3, v2
	v_mov_b32_e32 v2, v111
	scratch_store_b64 off, v[2:3], s32 offset:400 ; 8-byte Folded Spill
.LBB283_105:                            ;   in Loop: Header=BB283_11 Depth=1
	s_or_b32 exec_lo, exec_lo, s8
.LBB283_106:                            ;   in Loop: Header=BB283_11 Depth=1
	s_delay_alu instid0(SALU_CYCLE_1)
	s_or_b32 exec_lo, exec_lo, s20
.LBB283_107:                            ;   in Loop: Header=BB283_11 Depth=1
	s_delay_alu instid0(SALU_CYCLE_1)
	s_or_b32 exec_lo, exec_lo, s19
	flat_load_b32 v2, v[172:173] offset:12
	v_mov_b32_e32 v4, 0
	v_mov_b32_e32 v5, 0
	s_mov_b32 s8, exec_lo
	s_clause 0x1
	scratch_store_b64 off, v[4:5], s32 offset:416
	scratch_store_b64 off, v[4:5], s32 offset:424
	s_waitcnt vmcnt(0) lgkmcnt(0)
	v_and_b32_e32 v3, 0xff, v2
	s_delay_alu instid0(VALU_DEP_1)
	v_cmpx_ne_u16_e32 0, v3
	s_cbranch_execz .LBB283_115
; %bb.108:                              ;   in Loop: Header=BB283_11 Depth=1
	v_cmp_ne_u16_e64 s1, 0x80, v3
	v_bfrev_b32_e32 v3, 1
	v_mov_b32_e32 v4, 0
	scratch_store_b64 off, v[3:4], s32 offset:424 ; 8-byte Folded Spill
	s_and_saveexec_b32 s19, s1
	s_cbranch_execz .LBB283_114
; %bb.109:                              ;   in Loop: Header=BB283_11 Depth=1
	v_mov_b32_e32 v5, 0x7f800001
	v_and_b32_e32 v4, 0x7f, v2
	v_mov_b32_e32 v6, 0
	s_mov_b32 s20, exec_lo
	scratch_store_b64 off, v[5:6], s32 offset:424 ; 8-byte Folded Spill
	v_cmpx_ne_u32_e32 0x7f, v4
	s_cbranch_execz .LBB283_113
; %bb.110:                              ;   in Loop: Header=BB283_11 Depth=1
	v_and_b32_e32 v110, 7, v2
	v_lshrrev_b32_e32 v3, 3, v4
	s_mov_b32 s21, exec_lo
	v_cmpx_gt_u32_e32 8, v4
; %bb.111:                              ;   in Loop: Header=BB283_11 Depth=1
	s_delay_alu instid0(VALU_DEP_3) | instskip(NEXT) | instid1(VALU_DEP_1)
	v_clz_i32_u32_e32 v3, v110
	v_min_u32_e32 v3, 32, v3
	s_delay_alu instid0(VALU_DEP_1) | instskip(SKIP_1) | instid1(VALU_DEP_2)
	v_subrev_nc_u32_e32 v4, 28, v3
	v_sub_nc_u32_e32 v3, 29, v3
	v_lshlrev_b64 v[4:5], v4, v[110:111]
	s_delay_alu instid0(VALU_DEP_1)
	v_and_b32_e32 v110, 7, v4
; %bb.112:                              ;   in Loop: Header=BB283_11 Depth=1
	s_or_b32 exec_lo, exec_lo, s21
	v_lshlrev_b32_e32 v4, 24, v2
	s_delay_alu instid0(VALU_DEP_2) | instskip(SKIP_1) | instid1(VALU_DEP_3)
	v_lshlrev_b32_e32 v5, 20, v110
	v_lshl_add_u32 v3, v3, 23, 0x3c000000
	v_and_b32_e32 v4, 0x80000000, v4
	s_delay_alu instid0(VALU_DEP_1)
	v_or3_b32 v110, v5, v4, v3
	scratch_store_b64 off, v[110:111], s32 offset:424 ; 8-byte Folded Spill
.LBB283_113:                            ;   in Loop: Header=BB283_11 Depth=1
	s_or_b32 exec_lo, exec_lo, s20
.LBB283_114:                            ;   in Loop: Header=BB283_11 Depth=1
	s_delay_alu instid0(SALU_CYCLE_1)
	s_or_b32 exec_lo, exec_lo, s19
.LBB283_115:                            ;   in Loop: Header=BB283_11 Depth=1
	s_delay_alu instid0(SALU_CYCLE_1) | instskip(SKIP_2) | instid1(VALU_DEP_1)
	s_or_b32 exec_lo, exec_lo, s8
	v_lshrrev_b16 v3, 8, v2
	s_mov_b32 s19, exec_lo
	v_cmpx_ne_u16_e32 0, v3
	s_cbranch_execz .LBB283_123
; %bb.116:                              ;   in Loop: Header=BB283_11 Depth=1
	v_dual_mov_b32 v5, s3 :: v_dual_mov_b32 v4, s2
	s_mov_b32 s20, exec_lo
	scratch_store_b64 off, v[4:5], s32 offset:416 ; 8-byte Folded Spill
	v_cmpx_ne_u16_e32 0x80, v3
	s_cbranch_execz .LBB283_122
; %bb.117:                              ;   in Loop: Header=BB283_11 Depth=1
	s_mov_b32 s8, s2
	v_and_b32_e32 v3, 0xffff, v3
	v_dual_mov_b32 v5, s8 :: v_dual_mov_b32 v6, s9
	s_mov_b32 s8, exec_lo
	s_delay_alu instid0(VALU_DEP_2)
	v_and_b32_e32 v4, 0x7f, v3
	scratch_store_b64 off, v[5:6], s32 offset:416 ; 8-byte Folded Spill
	v_cmpx_ne_u32_e32 0x7f, v4
	s_cbranch_execz .LBB283_121
; %bb.118:                              ;   in Loop: Header=BB283_11 Depth=1
	v_and_b32_e32 v110, 7, v3
	v_lshrrev_b32_e32 v3, 3, v4
	s_mov_b32 s21, exec_lo
	v_cmpx_gt_u32_e32 8, v4
; %bb.119:                              ;   in Loop: Header=BB283_11 Depth=1
	s_delay_alu instid0(VALU_DEP_3) | instskip(NEXT) | instid1(VALU_DEP_1)
	v_clz_i32_u32_e32 v3, v110
	v_min_u32_e32 v3, 32, v3
	s_delay_alu instid0(VALU_DEP_1) | instskip(SKIP_1) | instid1(VALU_DEP_2)
	v_subrev_nc_u32_e32 v4, 28, v3
	v_sub_nc_u32_e32 v3, 29, v3
	v_lshlrev_b64 v[4:5], v4, v[110:111]
	s_delay_alu instid0(VALU_DEP_1)
	v_and_b32_e32 v110, 7, v4
; %bb.120:                              ;   in Loop: Header=BB283_11 Depth=1
	s_or_b32 exec_lo, exec_lo, s21
	v_lshlrev_b32_e32 v4, 16, v2
	s_delay_alu instid0(VALU_DEP_2) | instskip(SKIP_1) | instid1(VALU_DEP_3)
	v_lshlrev_b32_e32 v5, 20, v110
	v_lshl_add_u32 v3, v3, 23, 0x3c000000
	v_and_b32_e32 v4, 0x80000000, v4
	s_delay_alu instid0(VALU_DEP_1)
	v_or3_b32 v4, v5, v4, v3
	v_mov_b32_e32 v3, v111
	scratch_store_b64 off, v[3:4], s32 offset:416 ; 8-byte Folded Spill
.LBB283_121:                            ;   in Loop: Header=BB283_11 Depth=1
	s_or_b32 exec_lo, exec_lo, s8
.LBB283_122:                            ;   in Loop: Header=BB283_11 Depth=1
	s_delay_alu instid0(SALU_CYCLE_1)
	s_or_b32 exec_lo, exec_lo, s20
.LBB283_123:                            ;   in Loop: Header=BB283_11 Depth=1
	s_delay_alu instid0(SALU_CYCLE_1)
	s_or_b32 exec_lo, exec_lo, s19
	v_lshrrev_b32_e32 v3, 16, v2
	v_mov_b32_e32 v5, 0
	v_mov_b32_e32 v6, 0
	s_mov_b32 s8, exec_lo
	s_clause 0x1
	scratch_store_b64 off, v[5:6], s32 offset:432
	scratch_store_b64 off, v[5:6], s32 offset:440
	v_and_b32_e32 v4, 0xff, v3
	s_delay_alu instid0(VALU_DEP_1)
	v_cmpx_ne_u16_e32 0, v4
	s_cbranch_execz .LBB283_131
; %bb.124:                              ;   in Loop: Header=BB283_11 Depth=1
	v_cmp_ne_u16_e64 s1, 0x80, v4
	v_bfrev_b32_e32 v4, 1
	v_mov_b32_e32 v5, 0
	scratch_store_b64 off, v[4:5], s32 offset:440 ; 8-byte Folded Spill
	s_and_saveexec_b32 s19, s1
	s_cbranch_execz .LBB283_130
; %bb.125:                              ;   in Loop: Header=BB283_11 Depth=1
	v_mov_b32_e32 v6, 0x7f800001
	v_bfe_u32 v5, v2, 16, 7
	v_mov_b32_e32 v7, 0
	s_mov_b32 s20, exec_lo
	scratch_store_b64 off, v[6:7], s32 offset:440 ; 8-byte Folded Spill
	v_cmpx_ne_u32_e32 0x7f, v5
	s_cbranch_execz .LBB283_129
; %bb.126:                              ;   in Loop: Header=BB283_11 Depth=1
	v_and_b32_e32 v110, 7, v3
	v_lshrrev_b32_e32 v4, 3, v5
	s_mov_b32 s21, exec_lo
	v_cmpx_gt_u32_e32 8, v5
; %bb.127:                              ;   in Loop: Header=BB283_11 Depth=1
	s_delay_alu instid0(VALU_DEP_3) | instskip(NEXT) | instid1(VALU_DEP_1)
	v_clz_i32_u32_e32 v4, v110
	v_min_u32_e32 v4, 32, v4
	s_delay_alu instid0(VALU_DEP_1) | instskip(SKIP_1) | instid1(VALU_DEP_2)
	v_subrev_nc_u32_e32 v5, 28, v4
	v_sub_nc_u32_e32 v4, 29, v4
	v_lshlrev_b64 v[5:6], v5, v[110:111]
	s_delay_alu instid0(VALU_DEP_1)
	v_and_b32_e32 v110, 7, v5
; %bb.128:                              ;   in Loop: Header=BB283_11 Depth=1
	s_or_b32 exec_lo, exec_lo, s21
	v_lshlrev_b32_e32 v3, 24, v3
	s_delay_alu instid0(VALU_DEP_2) | instskip(SKIP_1) | instid1(VALU_DEP_3)
	v_lshlrev_b32_e32 v5, 20, v110
	v_lshl_add_u32 v4, v4, 23, 0x3c000000
	v_and_b32_e32 v3, 0x80000000, v3
	s_delay_alu instid0(VALU_DEP_1)
	v_or3_b32 v110, v5, v3, v4
	scratch_store_b64 off, v[110:111], s32 offset:440 ; 8-byte Folded Spill
.LBB283_129:                            ;   in Loop: Header=BB283_11 Depth=1
	s_or_b32 exec_lo, exec_lo, s20
.LBB283_130:                            ;   in Loop: Header=BB283_11 Depth=1
	s_delay_alu instid0(SALU_CYCLE_1)
	s_or_b32 exec_lo, exec_lo, s19
.LBB283_131:                            ;   in Loop: Header=BB283_11 Depth=1
	s_delay_alu instid0(SALU_CYCLE_1) | instskip(NEXT) | instid1(SALU_CYCLE_1)
	s_or_b32 exec_lo, exec_lo, s8
	s_mov_b32 s19, exec_lo
	v_cmpx_lt_u32_e32 0xffffff, v2
	s_cbranch_execz .LBB283_139
; %bb.132:                              ;   in Loop: Header=BB283_11 Depth=1
	v_lshrrev_b32_e32 v3, 24, v2
	v_dual_mov_b32 v5, s3 :: v_dual_mov_b32 v4, s2
	s_mov_b32 s20, exec_lo
	scratch_store_b64 off, v[4:5], s32 offset:432 ; 8-byte Folded Spill
	v_cmpx_ne_u32_e32 0x80, v3
	s_cbranch_execz .LBB283_138
; %bb.133:                              ;   in Loop: Header=BB283_11 Depth=1
	s_mov_b32 s8, s2
	v_bfe_u32 v4, v2, 24, 7
	v_dual_mov_b32 v5, s8 :: v_dual_mov_b32 v6, s9
	s_mov_b32 s8, exec_lo
	scratch_store_b64 off, v[5:6], s32 offset:432 ; 8-byte Folded Spill
	v_cmpx_ne_u32_e32 0x7f, v4
	s_cbranch_execz .LBB283_137
; %bb.134:                              ;   in Loop: Header=BB283_11 Depth=1
	v_and_b32_e32 v110, 7, v3
	v_lshrrev_b32_e32 v2, 3, v4
	s_mov_b32 s21, exec_lo
	v_cmpx_gt_u32_e32 8, v4
; %bb.135:                              ;   in Loop: Header=BB283_11 Depth=1
	s_delay_alu instid0(VALU_DEP_3) | instskip(NEXT) | instid1(VALU_DEP_1)
	v_clz_i32_u32_e32 v2, v110
	v_min_u32_e32 v2, 32, v2
	s_delay_alu instid0(VALU_DEP_1) | instskip(SKIP_1) | instid1(VALU_DEP_2)
	v_subrev_nc_u32_e32 v4, 28, v2
	v_sub_nc_u32_e32 v2, 29, v2
	v_lshlrev_b64 v[4:5], v4, v[110:111]
	s_delay_alu instid0(VALU_DEP_1)
	v_and_b32_e32 v110, 7, v4
; %bb.136:                              ;   in Loop: Header=BB283_11 Depth=1
	s_or_b32 exec_lo, exec_lo, s21
	v_lshlrev_b32_e32 v3, 24, v3
	s_delay_alu instid0(VALU_DEP_2) | instskip(SKIP_1) | instid1(VALU_DEP_3)
	v_lshlrev_b32_e32 v4, 20, v110
	v_lshl_add_u32 v2, v2, 23, 0x3c000000
	v_and_b32_e32 v3, 0x80000000, v3
	s_delay_alu instid0(VALU_DEP_1)
	v_or3_b32 v3, v4, v3, v2
	v_mov_b32_e32 v2, v111
	scratch_store_b64 off, v[2:3], s32 offset:432 ; 8-byte Folded Spill
.LBB283_137:                            ;   in Loop: Header=BB283_11 Depth=1
	s_or_b32 exec_lo, exec_lo, s8
.LBB283_138:                            ;   in Loop: Header=BB283_11 Depth=1
	s_delay_alu instid0(SALU_CYCLE_1)
	s_or_b32 exec_lo, exec_lo, s20
.LBB283_139:                            ;   in Loop: Header=BB283_11 Depth=1
	s_delay_alu instid0(SALU_CYCLE_1)
	s_or_b32 exec_lo, exec_lo, s19
	flat_load_b32 v2, v[172:173] offset:512
	v_mov_b32_e32 v4, 0
	v_mov_b32_e32 v5, 0
	s_mov_b32 s8, exec_lo
	s_clause 0x1
	scratch_store_b64 off, v[4:5], s32 offset:448
	scratch_store_b64 off, v[4:5], s32 offset:456
	s_waitcnt vmcnt(0) lgkmcnt(0)
	v_and_b32_e32 v3, 0xff, v2
	s_delay_alu instid0(VALU_DEP_1)
	v_cmpx_ne_u16_e32 0, v3
	s_cbranch_execz .LBB283_147
; %bb.140:                              ;   in Loop: Header=BB283_11 Depth=1
	v_cmp_ne_u16_e64 s1, 0x80, v3
	v_bfrev_b32_e32 v3, 1
	v_mov_b32_e32 v4, 0
	scratch_store_b64 off, v[3:4], s32 offset:456 ; 8-byte Folded Spill
	s_and_saveexec_b32 s19, s1
	s_cbranch_execz .LBB283_146
; %bb.141:                              ;   in Loop: Header=BB283_11 Depth=1
	v_mov_b32_e32 v5, 0x7f800001
	v_and_b32_e32 v4, 0x7f, v2
	v_mov_b32_e32 v6, 0
	s_mov_b32 s20, exec_lo
	scratch_store_b64 off, v[5:6], s32 offset:456 ; 8-byte Folded Spill
	v_cmpx_ne_u32_e32 0x7f, v4
	s_cbranch_execz .LBB283_145
; %bb.142:                              ;   in Loop: Header=BB283_11 Depth=1
	v_and_b32_e32 v110, 7, v2
	v_lshrrev_b32_e32 v3, 3, v4
	s_mov_b32 s21, exec_lo
	v_cmpx_gt_u32_e32 8, v4
; %bb.143:                              ;   in Loop: Header=BB283_11 Depth=1
	s_delay_alu instid0(VALU_DEP_3) | instskip(NEXT) | instid1(VALU_DEP_1)
	v_clz_i32_u32_e32 v3, v110
	v_min_u32_e32 v3, 32, v3
	s_delay_alu instid0(VALU_DEP_1) | instskip(SKIP_1) | instid1(VALU_DEP_2)
	v_subrev_nc_u32_e32 v4, 28, v3
	v_sub_nc_u32_e32 v3, 29, v3
	v_lshlrev_b64 v[4:5], v4, v[110:111]
	s_delay_alu instid0(VALU_DEP_1)
	v_and_b32_e32 v110, 7, v4
; %bb.144:                              ;   in Loop: Header=BB283_11 Depth=1
	s_or_b32 exec_lo, exec_lo, s21
	v_lshlrev_b32_e32 v4, 24, v2
	s_delay_alu instid0(VALU_DEP_2) | instskip(SKIP_1) | instid1(VALU_DEP_3)
	v_lshlrev_b32_e32 v5, 20, v110
	v_lshl_add_u32 v3, v3, 23, 0x3c000000
	v_and_b32_e32 v4, 0x80000000, v4
	s_delay_alu instid0(VALU_DEP_1)
	v_or3_b32 v110, v5, v4, v3
	scratch_store_b64 off, v[110:111], s32 offset:456 ; 8-byte Folded Spill
.LBB283_145:                            ;   in Loop: Header=BB283_11 Depth=1
	s_or_b32 exec_lo, exec_lo, s20
.LBB283_146:                            ;   in Loop: Header=BB283_11 Depth=1
	s_delay_alu instid0(SALU_CYCLE_1)
	s_or_b32 exec_lo, exec_lo, s19
.LBB283_147:                            ;   in Loop: Header=BB283_11 Depth=1
	s_delay_alu instid0(SALU_CYCLE_1) | instskip(SKIP_2) | instid1(VALU_DEP_1)
	s_or_b32 exec_lo, exec_lo, s8
	v_lshrrev_b16 v3, 8, v2
	s_mov_b32 s19, exec_lo
	v_cmpx_ne_u16_e32 0, v3
	s_cbranch_execz .LBB283_155
; %bb.148:                              ;   in Loop: Header=BB283_11 Depth=1
	v_dual_mov_b32 v5, s3 :: v_dual_mov_b32 v4, s2
	s_mov_b32 s20, exec_lo
	scratch_store_b64 off, v[4:5], s32 offset:448 ; 8-byte Folded Spill
	v_cmpx_ne_u16_e32 0x80, v3
	s_cbranch_execz .LBB283_154
; %bb.149:                              ;   in Loop: Header=BB283_11 Depth=1
	s_mov_b32 s8, s2
	v_and_b32_e32 v3, 0xffff, v3
	v_dual_mov_b32 v5, s8 :: v_dual_mov_b32 v6, s9
	s_mov_b32 s8, exec_lo
	s_delay_alu instid0(VALU_DEP_2)
	v_and_b32_e32 v4, 0x7f, v3
	scratch_store_b64 off, v[5:6], s32 offset:448 ; 8-byte Folded Spill
	v_cmpx_ne_u32_e32 0x7f, v4
	s_cbranch_execz .LBB283_153
; %bb.150:                              ;   in Loop: Header=BB283_11 Depth=1
	v_and_b32_e32 v110, 7, v3
	v_lshrrev_b32_e32 v3, 3, v4
	s_mov_b32 s21, exec_lo
	v_cmpx_gt_u32_e32 8, v4
; %bb.151:                              ;   in Loop: Header=BB283_11 Depth=1
	s_delay_alu instid0(VALU_DEP_3) | instskip(NEXT) | instid1(VALU_DEP_1)
	v_clz_i32_u32_e32 v3, v110
	v_min_u32_e32 v3, 32, v3
	s_delay_alu instid0(VALU_DEP_1) | instskip(SKIP_1) | instid1(VALU_DEP_2)
	v_subrev_nc_u32_e32 v4, 28, v3
	v_sub_nc_u32_e32 v3, 29, v3
	v_lshlrev_b64 v[4:5], v4, v[110:111]
	s_delay_alu instid0(VALU_DEP_1)
	v_and_b32_e32 v110, 7, v4
; %bb.152:                              ;   in Loop: Header=BB283_11 Depth=1
	s_or_b32 exec_lo, exec_lo, s21
	v_lshlrev_b32_e32 v4, 16, v2
	s_delay_alu instid0(VALU_DEP_2) | instskip(SKIP_1) | instid1(VALU_DEP_3)
	v_lshlrev_b32_e32 v5, 20, v110
	v_lshl_add_u32 v3, v3, 23, 0x3c000000
	v_and_b32_e32 v4, 0x80000000, v4
	s_delay_alu instid0(VALU_DEP_1)
	v_or3_b32 v4, v5, v4, v3
	v_mov_b32_e32 v3, v111
	scratch_store_b64 off, v[3:4], s32 offset:448 ; 8-byte Folded Spill
.LBB283_153:                            ;   in Loop: Header=BB283_11 Depth=1
	s_or_b32 exec_lo, exec_lo, s8
.LBB283_154:                            ;   in Loop: Header=BB283_11 Depth=1
	s_delay_alu instid0(SALU_CYCLE_1)
	s_or_b32 exec_lo, exec_lo, s20
.LBB283_155:                            ;   in Loop: Header=BB283_11 Depth=1
	s_delay_alu instid0(SALU_CYCLE_1)
	s_or_b32 exec_lo, exec_lo, s19
	v_lshrrev_b32_e32 v3, 16, v2
	v_mov_b32_e32 v5, 0
	v_mov_b32_e32 v6, 0
	s_mov_b32 s8, exec_lo
	s_clause 0x1
	scratch_store_b64 off, v[5:6], s32 offset:464
	scratch_store_b64 off, v[5:6], s32 offset:472
	v_and_b32_e32 v4, 0xff, v3
	s_delay_alu instid0(VALU_DEP_1)
	v_cmpx_ne_u16_e32 0, v4
	s_cbranch_execz .LBB283_163
; %bb.156:                              ;   in Loop: Header=BB283_11 Depth=1
	v_cmp_ne_u16_e64 s1, 0x80, v4
	v_bfrev_b32_e32 v4, 1
	v_mov_b32_e32 v5, 0
	scratch_store_b64 off, v[4:5], s32 offset:472 ; 8-byte Folded Spill
	s_and_saveexec_b32 s19, s1
	s_cbranch_execz .LBB283_162
; %bb.157:                              ;   in Loop: Header=BB283_11 Depth=1
	v_mov_b32_e32 v6, 0x7f800001
	v_bfe_u32 v5, v2, 16, 7
	v_mov_b32_e32 v7, 0
	s_mov_b32 s20, exec_lo
	scratch_store_b64 off, v[6:7], s32 offset:472 ; 8-byte Folded Spill
	v_cmpx_ne_u32_e32 0x7f, v5
	s_cbranch_execz .LBB283_161
; %bb.158:                              ;   in Loop: Header=BB283_11 Depth=1
	v_and_b32_e32 v110, 7, v3
	v_lshrrev_b32_e32 v4, 3, v5
	s_mov_b32 s21, exec_lo
	v_cmpx_gt_u32_e32 8, v5
; %bb.159:                              ;   in Loop: Header=BB283_11 Depth=1
	s_delay_alu instid0(VALU_DEP_3) | instskip(NEXT) | instid1(VALU_DEP_1)
	v_clz_i32_u32_e32 v4, v110
	v_min_u32_e32 v4, 32, v4
	s_delay_alu instid0(VALU_DEP_1) | instskip(SKIP_1) | instid1(VALU_DEP_2)
	v_subrev_nc_u32_e32 v5, 28, v4
	v_sub_nc_u32_e32 v4, 29, v4
	v_lshlrev_b64 v[5:6], v5, v[110:111]
	s_delay_alu instid0(VALU_DEP_1)
	v_and_b32_e32 v110, 7, v5
; %bb.160:                              ;   in Loop: Header=BB283_11 Depth=1
	s_or_b32 exec_lo, exec_lo, s21
	v_lshlrev_b32_e32 v3, 24, v3
	s_delay_alu instid0(VALU_DEP_2) | instskip(SKIP_1) | instid1(VALU_DEP_3)
	v_lshlrev_b32_e32 v5, 20, v110
	v_lshl_add_u32 v4, v4, 23, 0x3c000000
	v_and_b32_e32 v3, 0x80000000, v3
	s_delay_alu instid0(VALU_DEP_1)
	v_or3_b32 v110, v5, v3, v4
	scratch_store_b64 off, v[110:111], s32 offset:472 ; 8-byte Folded Spill
.LBB283_161:                            ;   in Loop: Header=BB283_11 Depth=1
	s_or_b32 exec_lo, exec_lo, s20
.LBB283_162:                            ;   in Loop: Header=BB283_11 Depth=1
	s_delay_alu instid0(SALU_CYCLE_1)
	s_or_b32 exec_lo, exec_lo, s19
.LBB283_163:                            ;   in Loop: Header=BB283_11 Depth=1
	s_delay_alu instid0(SALU_CYCLE_1) | instskip(NEXT) | instid1(SALU_CYCLE_1)
	s_or_b32 exec_lo, exec_lo, s8
	s_mov_b32 s19, exec_lo
	v_cmpx_lt_u32_e32 0xffffff, v2
	s_cbranch_execz .LBB283_171
; %bb.164:                              ;   in Loop: Header=BB283_11 Depth=1
	v_lshrrev_b32_e32 v3, 24, v2
	v_dual_mov_b32 v5, s3 :: v_dual_mov_b32 v4, s2
	s_mov_b32 s20, exec_lo
	scratch_store_b64 off, v[4:5], s32 offset:464 ; 8-byte Folded Spill
	v_cmpx_ne_u32_e32 0x80, v3
	s_cbranch_execz .LBB283_170
; %bb.165:                              ;   in Loop: Header=BB283_11 Depth=1
	s_mov_b32 s8, s2
	v_bfe_u32 v4, v2, 24, 7
	v_dual_mov_b32 v5, s8 :: v_dual_mov_b32 v6, s9
	s_mov_b32 s8, exec_lo
	scratch_store_b64 off, v[5:6], s32 offset:464 ; 8-byte Folded Spill
	v_cmpx_ne_u32_e32 0x7f, v4
	s_cbranch_execz .LBB283_169
; %bb.166:                              ;   in Loop: Header=BB283_11 Depth=1
	v_and_b32_e32 v110, 7, v3
	v_lshrrev_b32_e32 v2, 3, v4
	s_mov_b32 s21, exec_lo
	v_cmpx_gt_u32_e32 8, v4
; %bb.167:                              ;   in Loop: Header=BB283_11 Depth=1
	s_delay_alu instid0(VALU_DEP_3) | instskip(NEXT) | instid1(VALU_DEP_1)
	v_clz_i32_u32_e32 v2, v110
	v_min_u32_e32 v2, 32, v2
	s_delay_alu instid0(VALU_DEP_1) | instskip(SKIP_1) | instid1(VALU_DEP_2)
	v_subrev_nc_u32_e32 v4, 28, v2
	v_sub_nc_u32_e32 v2, 29, v2
	v_lshlrev_b64 v[4:5], v4, v[110:111]
	s_delay_alu instid0(VALU_DEP_1)
	v_and_b32_e32 v110, 7, v4
; %bb.168:                              ;   in Loop: Header=BB283_11 Depth=1
	s_or_b32 exec_lo, exec_lo, s21
	v_lshlrev_b32_e32 v3, 24, v3
	s_delay_alu instid0(VALU_DEP_2) | instskip(SKIP_1) | instid1(VALU_DEP_3)
	v_lshlrev_b32_e32 v4, 20, v110
	v_lshl_add_u32 v2, v2, 23, 0x3c000000
	v_and_b32_e32 v3, 0x80000000, v3
	s_delay_alu instid0(VALU_DEP_1)
	v_or3_b32 v3, v4, v3, v2
	v_mov_b32_e32 v2, v111
	scratch_store_b64 off, v[2:3], s32 offset:464 ; 8-byte Folded Spill
.LBB283_169:                            ;   in Loop: Header=BB283_11 Depth=1
	s_or_b32 exec_lo, exec_lo, s8
.LBB283_170:                            ;   in Loop: Header=BB283_11 Depth=1
	s_delay_alu instid0(SALU_CYCLE_1)
	s_or_b32 exec_lo, exec_lo, s20
.LBB283_171:                            ;   in Loop: Header=BB283_11 Depth=1
	s_delay_alu instid0(SALU_CYCLE_1)
	s_or_b32 exec_lo, exec_lo, s19
	flat_load_b32 v2, v[172:173] offset:516
	v_mov_b32_e32 v4, 0
	v_mov_b32_e32 v5, 0
	s_mov_b32 s8, exec_lo
	s_clause 0x1
	scratch_store_b64 off, v[4:5], s32 offset:480
	scratch_store_b64 off, v[4:5], s32 offset:488
	s_waitcnt vmcnt(0) lgkmcnt(0)
	v_and_b32_e32 v3, 0xff, v2
	s_delay_alu instid0(VALU_DEP_1)
	v_cmpx_ne_u16_e32 0, v3
	s_cbranch_execz .LBB283_179
; %bb.172:                              ;   in Loop: Header=BB283_11 Depth=1
	v_cmp_ne_u16_e64 s1, 0x80, v3
	v_bfrev_b32_e32 v3, 1
	v_mov_b32_e32 v4, 0
	scratch_store_b64 off, v[3:4], s32 offset:488 ; 8-byte Folded Spill
	s_and_saveexec_b32 s19, s1
	s_cbranch_execz .LBB283_178
; %bb.173:                              ;   in Loop: Header=BB283_11 Depth=1
	v_mov_b32_e32 v5, 0x7f800001
	v_and_b32_e32 v4, 0x7f, v2
	v_mov_b32_e32 v6, 0
	s_mov_b32 s20, exec_lo
	scratch_store_b64 off, v[5:6], s32 offset:488 ; 8-byte Folded Spill
	v_cmpx_ne_u32_e32 0x7f, v4
	s_cbranch_execz .LBB283_177
; %bb.174:                              ;   in Loop: Header=BB283_11 Depth=1
	v_and_b32_e32 v110, 7, v2
	v_lshrrev_b32_e32 v3, 3, v4
	s_mov_b32 s21, exec_lo
	v_cmpx_gt_u32_e32 8, v4
; %bb.175:                              ;   in Loop: Header=BB283_11 Depth=1
	s_delay_alu instid0(VALU_DEP_3) | instskip(NEXT) | instid1(VALU_DEP_1)
	v_clz_i32_u32_e32 v3, v110
	v_min_u32_e32 v3, 32, v3
	s_delay_alu instid0(VALU_DEP_1) | instskip(SKIP_1) | instid1(VALU_DEP_2)
	v_subrev_nc_u32_e32 v4, 28, v3
	v_sub_nc_u32_e32 v3, 29, v3
	v_lshlrev_b64 v[4:5], v4, v[110:111]
	s_delay_alu instid0(VALU_DEP_1)
	v_and_b32_e32 v110, 7, v4
; %bb.176:                              ;   in Loop: Header=BB283_11 Depth=1
	s_or_b32 exec_lo, exec_lo, s21
	v_lshlrev_b32_e32 v4, 24, v2
	s_delay_alu instid0(VALU_DEP_2) | instskip(SKIP_1) | instid1(VALU_DEP_3)
	v_lshlrev_b32_e32 v5, 20, v110
	v_lshl_add_u32 v3, v3, 23, 0x3c000000
	v_and_b32_e32 v4, 0x80000000, v4
	s_delay_alu instid0(VALU_DEP_1)
	v_or3_b32 v110, v5, v4, v3
	scratch_store_b64 off, v[110:111], s32 offset:488 ; 8-byte Folded Spill
.LBB283_177:                            ;   in Loop: Header=BB283_11 Depth=1
	s_or_b32 exec_lo, exec_lo, s20
.LBB283_178:                            ;   in Loop: Header=BB283_11 Depth=1
	s_delay_alu instid0(SALU_CYCLE_1)
	s_or_b32 exec_lo, exec_lo, s19
.LBB283_179:                            ;   in Loop: Header=BB283_11 Depth=1
	s_delay_alu instid0(SALU_CYCLE_1) | instskip(SKIP_2) | instid1(VALU_DEP_1)
	s_or_b32 exec_lo, exec_lo, s8
	v_lshrrev_b16 v3, 8, v2
	s_mov_b32 s19, exec_lo
	v_cmpx_ne_u16_e32 0, v3
	s_cbranch_execz .LBB283_187
; %bb.180:                              ;   in Loop: Header=BB283_11 Depth=1
	v_dual_mov_b32 v5, s3 :: v_dual_mov_b32 v4, s2
	s_mov_b32 s20, exec_lo
	scratch_store_b64 off, v[4:5], s32 offset:480 ; 8-byte Folded Spill
	v_cmpx_ne_u16_e32 0x80, v3
	s_cbranch_execz .LBB283_186
; %bb.181:                              ;   in Loop: Header=BB283_11 Depth=1
	s_mov_b32 s8, s2
	v_and_b32_e32 v3, 0xffff, v3
	v_dual_mov_b32 v5, s8 :: v_dual_mov_b32 v6, s9
	s_mov_b32 s8, exec_lo
	s_delay_alu instid0(VALU_DEP_2)
	v_and_b32_e32 v4, 0x7f, v3
	scratch_store_b64 off, v[5:6], s32 offset:480 ; 8-byte Folded Spill
	v_cmpx_ne_u32_e32 0x7f, v4
	s_cbranch_execz .LBB283_185
; %bb.182:                              ;   in Loop: Header=BB283_11 Depth=1
	v_and_b32_e32 v110, 7, v3
	v_lshrrev_b32_e32 v3, 3, v4
	s_mov_b32 s21, exec_lo
	v_cmpx_gt_u32_e32 8, v4
; %bb.183:                              ;   in Loop: Header=BB283_11 Depth=1
	s_delay_alu instid0(VALU_DEP_3) | instskip(NEXT) | instid1(VALU_DEP_1)
	v_clz_i32_u32_e32 v3, v110
	v_min_u32_e32 v3, 32, v3
	s_delay_alu instid0(VALU_DEP_1) | instskip(SKIP_1) | instid1(VALU_DEP_2)
	v_subrev_nc_u32_e32 v4, 28, v3
	v_sub_nc_u32_e32 v3, 29, v3
	v_lshlrev_b64 v[4:5], v4, v[110:111]
	s_delay_alu instid0(VALU_DEP_1)
	v_and_b32_e32 v110, 7, v4
; %bb.184:                              ;   in Loop: Header=BB283_11 Depth=1
	s_or_b32 exec_lo, exec_lo, s21
	v_lshlrev_b32_e32 v4, 16, v2
	s_delay_alu instid0(VALU_DEP_2) | instskip(SKIP_1) | instid1(VALU_DEP_3)
	v_lshlrev_b32_e32 v5, 20, v110
	v_lshl_add_u32 v3, v3, 23, 0x3c000000
	v_and_b32_e32 v4, 0x80000000, v4
	s_delay_alu instid0(VALU_DEP_1)
	v_or3_b32 v4, v5, v4, v3
	v_mov_b32_e32 v3, v111
	scratch_store_b64 off, v[3:4], s32 offset:480 ; 8-byte Folded Spill
.LBB283_185:                            ;   in Loop: Header=BB283_11 Depth=1
	s_or_b32 exec_lo, exec_lo, s8
.LBB283_186:                            ;   in Loop: Header=BB283_11 Depth=1
	s_delay_alu instid0(SALU_CYCLE_1)
	s_or_b32 exec_lo, exec_lo, s20
.LBB283_187:                            ;   in Loop: Header=BB283_11 Depth=1
	s_delay_alu instid0(SALU_CYCLE_1)
	s_or_b32 exec_lo, exec_lo, s19
	v_lshrrev_b32_e32 v3, 16, v2
	v_mov_b32_e32 v5, 0
	v_mov_b32_e32 v6, 0
	s_mov_b32 s8, exec_lo
	s_clause 0x1
	scratch_store_b64 off, v[5:6], s32 offset:496
	scratch_store_b64 off, v[5:6], s32 offset:504
	v_and_b32_e32 v4, 0xff, v3
	s_delay_alu instid0(VALU_DEP_1)
	v_cmpx_ne_u16_e32 0, v4
	s_cbranch_execz .LBB283_195
; %bb.188:                              ;   in Loop: Header=BB283_11 Depth=1
	v_cmp_ne_u16_e64 s1, 0x80, v4
	v_bfrev_b32_e32 v4, 1
	v_mov_b32_e32 v5, 0
	scratch_store_b64 off, v[4:5], s32 offset:504 ; 8-byte Folded Spill
	s_and_saveexec_b32 s19, s1
	s_cbranch_execz .LBB283_194
; %bb.189:                              ;   in Loop: Header=BB283_11 Depth=1
	v_mov_b32_e32 v6, 0x7f800001
	v_bfe_u32 v5, v2, 16, 7
	v_mov_b32_e32 v7, 0
	s_mov_b32 s20, exec_lo
	scratch_store_b64 off, v[6:7], s32 offset:504 ; 8-byte Folded Spill
	v_cmpx_ne_u32_e32 0x7f, v5
	s_cbranch_execz .LBB283_193
; %bb.190:                              ;   in Loop: Header=BB283_11 Depth=1
	v_and_b32_e32 v110, 7, v3
	v_lshrrev_b32_e32 v4, 3, v5
	s_mov_b32 s21, exec_lo
	v_cmpx_gt_u32_e32 8, v5
; %bb.191:                              ;   in Loop: Header=BB283_11 Depth=1
	s_delay_alu instid0(VALU_DEP_3) | instskip(NEXT) | instid1(VALU_DEP_1)
	v_clz_i32_u32_e32 v4, v110
	v_min_u32_e32 v4, 32, v4
	s_delay_alu instid0(VALU_DEP_1) | instskip(SKIP_1) | instid1(VALU_DEP_2)
	v_subrev_nc_u32_e32 v5, 28, v4
	v_sub_nc_u32_e32 v4, 29, v4
	v_lshlrev_b64 v[5:6], v5, v[110:111]
	s_delay_alu instid0(VALU_DEP_1)
	v_and_b32_e32 v110, 7, v5
; %bb.192:                              ;   in Loop: Header=BB283_11 Depth=1
	s_or_b32 exec_lo, exec_lo, s21
	v_lshlrev_b32_e32 v3, 24, v3
	s_delay_alu instid0(VALU_DEP_2) | instskip(SKIP_1) | instid1(VALU_DEP_3)
	v_lshlrev_b32_e32 v5, 20, v110
	v_lshl_add_u32 v4, v4, 23, 0x3c000000
	v_and_b32_e32 v3, 0x80000000, v3
	s_delay_alu instid0(VALU_DEP_1)
	v_or3_b32 v110, v5, v3, v4
	scratch_store_b64 off, v[110:111], s32 offset:504 ; 8-byte Folded Spill
.LBB283_193:                            ;   in Loop: Header=BB283_11 Depth=1
	s_or_b32 exec_lo, exec_lo, s20
.LBB283_194:                            ;   in Loop: Header=BB283_11 Depth=1
	s_delay_alu instid0(SALU_CYCLE_1)
	s_or_b32 exec_lo, exec_lo, s19
.LBB283_195:                            ;   in Loop: Header=BB283_11 Depth=1
	s_delay_alu instid0(SALU_CYCLE_1) | instskip(NEXT) | instid1(SALU_CYCLE_1)
	s_or_b32 exec_lo, exec_lo, s8
	s_mov_b32 s19, exec_lo
	v_cmpx_lt_u32_e32 0xffffff, v2
	s_cbranch_execz .LBB283_203
; %bb.196:                              ;   in Loop: Header=BB283_11 Depth=1
	v_lshrrev_b32_e32 v3, 24, v2
	v_dual_mov_b32 v5, s3 :: v_dual_mov_b32 v4, s2
	s_mov_b32 s20, exec_lo
	scratch_store_b64 off, v[4:5], s32 offset:496 ; 8-byte Folded Spill
	v_cmpx_ne_u32_e32 0x80, v3
	s_cbranch_execz .LBB283_202
; %bb.197:                              ;   in Loop: Header=BB283_11 Depth=1
	s_mov_b32 s8, s2
	v_bfe_u32 v4, v2, 24, 7
	v_dual_mov_b32 v5, s8 :: v_dual_mov_b32 v6, s9
	s_mov_b32 s8, exec_lo
	scratch_store_b64 off, v[5:6], s32 offset:496 ; 8-byte Folded Spill
	v_cmpx_ne_u32_e32 0x7f, v4
	s_cbranch_execz .LBB283_201
; %bb.198:                              ;   in Loop: Header=BB283_11 Depth=1
	v_and_b32_e32 v110, 7, v3
	v_lshrrev_b32_e32 v2, 3, v4
	s_mov_b32 s21, exec_lo
	v_cmpx_gt_u32_e32 8, v4
; %bb.199:                              ;   in Loop: Header=BB283_11 Depth=1
	s_delay_alu instid0(VALU_DEP_3) | instskip(NEXT) | instid1(VALU_DEP_1)
	v_clz_i32_u32_e32 v2, v110
	v_min_u32_e32 v2, 32, v2
	s_delay_alu instid0(VALU_DEP_1) | instskip(SKIP_1) | instid1(VALU_DEP_2)
	v_subrev_nc_u32_e32 v4, 28, v2
	v_sub_nc_u32_e32 v2, 29, v2
	v_lshlrev_b64 v[4:5], v4, v[110:111]
	s_delay_alu instid0(VALU_DEP_1)
	v_and_b32_e32 v110, 7, v4
; %bb.200:                              ;   in Loop: Header=BB283_11 Depth=1
	s_or_b32 exec_lo, exec_lo, s21
	v_lshlrev_b32_e32 v3, 24, v3
	s_delay_alu instid0(VALU_DEP_2) | instskip(SKIP_1) | instid1(VALU_DEP_3)
	v_lshlrev_b32_e32 v4, 20, v110
	v_lshl_add_u32 v2, v2, 23, 0x3c000000
	v_and_b32_e32 v3, 0x80000000, v3
	s_delay_alu instid0(VALU_DEP_1)
	v_or3_b32 v3, v4, v3, v2
	v_mov_b32_e32 v2, v111
	scratch_store_b64 off, v[2:3], s32 offset:496 ; 8-byte Folded Spill
.LBB283_201:                            ;   in Loop: Header=BB283_11 Depth=1
	s_or_b32 exec_lo, exec_lo, s8
.LBB283_202:                            ;   in Loop: Header=BB283_11 Depth=1
	s_delay_alu instid0(SALU_CYCLE_1)
	s_or_b32 exec_lo, exec_lo, s20
.LBB283_203:                            ;   in Loop: Header=BB283_11 Depth=1
	s_delay_alu instid0(SALU_CYCLE_1)
	s_or_b32 exec_lo, exec_lo, s19
	flat_load_b32 v2, v[172:173] offset:520
	v_mov_b32_e32 v4, 0
	v_mov_b32_e32 v5, 0
	s_mov_b32 s8, exec_lo
	s_clause 0x1
	scratch_store_b64 off, v[4:5], s32 offset:512
	scratch_store_b64 off, v[4:5], s32 offset:520
	s_waitcnt vmcnt(0) lgkmcnt(0)
	v_and_b32_e32 v3, 0xff, v2
	s_delay_alu instid0(VALU_DEP_1)
	v_cmpx_ne_u16_e32 0, v3
	s_cbranch_execz .LBB283_211
; %bb.204:                              ;   in Loop: Header=BB283_11 Depth=1
	v_cmp_ne_u16_e64 s1, 0x80, v3
	v_bfrev_b32_e32 v3, 1
	v_mov_b32_e32 v4, 0
	scratch_store_b64 off, v[3:4], s32 offset:520 ; 8-byte Folded Spill
	s_and_saveexec_b32 s19, s1
	s_cbranch_execz .LBB283_210
; %bb.205:                              ;   in Loop: Header=BB283_11 Depth=1
	v_mov_b32_e32 v5, 0x7f800001
	v_and_b32_e32 v4, 0x7f, v2
	v_mov_b32_e32 v6, 0
	s_mov_b32 s20, exec_lo
	scratch_store_b64 off, v[5:6], s32 offset:520 ; 8-byte Folded Spill
	v_cmpx_ne_u32_e32 0x7f, v4
	s_cbranch_execz .LBB283_209
; %bb.206:                              ;   in Loop: Header=BB283_11 Depth=1
	v_and_b32_e32 v110, 7, v2
	v_lshrrev_b32_e32 v3, 3, v4
	s_mov_b32 s21, exec_lo
	v_cmpx_gt_u32_e32 8, v4
; %bb.207:                              ;   in Loop: Header=BB283_11 Depth=1
	s_delay_alu instid0(VALU_DEP_3) | instskip(NEXT) | instid1(VALU_DEP_1)
	v_clz_i32_u32_e32 v3, v110
	v_min_u32_e32 v3, 32, v3
	s_delay_alu instid0(VALU_DEP_1) | instskip(SKIP_1) | instid1(VALU_DEP_2)
	v_subrev_nc_u32_e32 v4, 28, v3
	v_sub_nc_u32_e32 v3, 29, v3
	v_lshlrev_b64 v[4:5], v4, v[110:111]
	s_delay_alu instid0(VALU_DEP_1)
	v_and_b32_e32 v110, 7, v4
; %bb.208:                              ;   in Loop: Header=BB283_11 Depth=1
	s_or_b32 exec_lo, exec_lo, s21
	v_lshlrev_b32_e32 v4, 24, v2
	s_delay_alu instid0(VALU_DEP_2) | instskip(SKIP_1) | instid1(VALU_DEP_3)
	v_lshlrev_b32_e32 v5, 20, v110
	v_lshl_add_u32 v3, v3, 23, 0x3c000000
	v_and_b32_e32 v4, 0x80000000, v4
	s_delay_alu instid0(VALU_DEP_1)
	v_or3_b32 v110, v5, v4, v3
	scratch_store_b64 off, v[110:111], s32 offset:520 ; 8-byte Folded Spill
.LBB283_209:                            ;   in Loop: Header=BB283_11 Depth=1
	s_or_b32 exec_lo, exec_lo, s20
.LBB283_210:                            ;   in Loop: Header=BB283_11 Depth=1
	s_delay_alu instid0(SALU_CYCLE_1)
	s_or_b32 exec_lo, exec_lo, s19
.LBB283_211:                            ;   in Loop: Header=BB283_11 Depth=1
	s_delay_alu instid0(SALU_CYCLE_1) | instskip(SKIP_2) | instid1(VALU_DEP_1)
	s_or_b32 exec_lo, exec_lo, s8
	v_lshrrev_b16 v3, 8, v2
	s_mov_b32 s19, exec_lo
	v_cmpx_ne_u16_e32 0, v3
	s_cbranch_execz .LBB283_219
; %bb.212:                              ;   in Loop: Header=BB283_11 Depth=1
	v_dual_mov_b32 v5, s3 :: v_dual_mov_b32 v4, s2
	s_mov_b32 s20, exec_lo
	scratch_store_b64 off, v[4:5], s32 offset:512 ; 8-byte Folded Spill
	v_cmpx_ne_u16_e32 0x80, v3
	s_cbranch_execz .LBB283_218
; %bb.213:                              ;   in Loop: Header=BB283_11 Depth=1
	s_mov_b32 s8, s2
	v_and_b32_e32 v3, 0xffff, v3
	v_dual_mov_b32 v5, s8 :: v_dual_mov_b32 v6, s9
	s_mov_b32 s8, exec_lo
	s_delay_alu instid0(VALU_DEP_2)
	v_and_b32_e32 v4, 0x7f, v3
	scratch_store_b64 off, v[5:6], s32 offset:512 ; 8-byte Folded Spill
	v_cmpx_ne_u32_e32 0x7f, v4
	s_cbranch_execz .LBB283_217
; %bb.214:                              ;   in Loop: Header=BB283_11 Depth=1
	v_and_b32_e32 v110, 7, v3
	v_lshrrev_b32_e32 v3, 3, v4
	s_mov_b32 s21, exec_lo
	v_cmpx_gt_u32_e32 8, v4
; %bb.215:                              ;   in Loop: Header=BB283_11 Depth=1
	s_delay_alu instid0(VALU_DEP_3) | instskip(NEXT) | instid1(VALU_DEP_1)
	v_clz_i32_u32_e32 v3, v110
	v_min_u32_e32 v3, 32, v3
	s_delay_alu instid0(VALU_DEP_1) | instskip(SKIP_1) | instid1(VALU_DEP_2)
	v_subrev_nc_u32_e32 v4, 28, v3
	v_sub_nc_u32_e32 v3, 29, v3
	v_lshlrev_b64 v[4:5], v4, v[110:111]
	s_delay_alu instid0(VALU_DEP_1)
	v_and_b32_e32 v110, 7, v4
; %bb.216:                              ;   in Loop: Header=BB283_11 Depth=1
	s_or_b32 exec_lo, exec_lo, s21
	v_lshlrev_b32_e32 v4, 16, v2
	s_delay_alu instid0(VALU_DEP_2) | instskip(SKIP_1) | instid1(VALU_DEP_3)
	v_lshlrev_b32_e32 v5, 20, v110
	v_lshl_add_u32 v3, v3, 23, 0x3c000000
	v_and_b32_e32 v4, 0x80000000, v4
	s_delay_alu instid0(VALU_DEP_1)
	v_or3_b32 v4, v5, v4, v3
	v_mov_b32_e32 v3, v111
	scratch_store_b64 off, v[3:4], s32 offset:512 ; 8-byte Folded Spill
.LBB283_217:                            ;   in Loop: Header=BB283_11 Depth=1
	s_or_b32 exec_lo, exec_lo, s8
.LBB283_218:                            ;   in Loop: Header=BB283_11 Depth=1
	s_delay_alu instid0(SALU_CYCLE_1)
	s_or_b32 exec_lo, exec_lo, s20
.LBB283_219:                            ;   in Loop: Header=BB283_11 Depth=1
	s_delay_alu instid0(SALU_CYCLE_1) | instskip(SKIP_4) | instid1(VALU_DEP_3)
	s_or_b32 exec_lo, exec_lo, s19
	v_lshrrev_b32_e32 v3, 16, v2
	v_mov_b32_e32 v6, 0
	v_mov_b32_e32 v7, 0
	s_mov_b32 s8, exec_lo
	v_and_b32_e32 v4, 0xff, v3
	scratch_store_b64 off, v[6:7], s32 offset:528 ; 8-byte Folded Spill
	v_cmpx_ne_u16_e32 0, v4
	s_cbranch_execz .LBB283_227
; %bb.220:                              ;   in Loop: Header=BB283_11 Depth=1
	v_cmp_ne_u16_e64 s1, 0x80, v4
	v_bfrev_b32_e32 v4, 1
	v_mov_b32_e32 v5, 0
	scratch_store_b64 off, v[4:5], s32 offset:528 ; 8-byte Folded Spill
	s_and_saveexec_b32 s19, s1
	s_cbranch_execz .LBB283_226
; %bb.221:                              ;   in Loop: Header=BB283_11 Depth=1
	v_mov_b32_e32 v8, 0x7f800001
	v_bfe_u32 v5, v2, 16, 7
	v_mov_b32_e32 v9, 0
	s_mov_b32 s20, exec_lo
	scratch_store_b64 off, v[8:9], s32 offset:528 ; 8-byte Folded Spill
	v_cmpx_ne_u32_e32 0x7f, v5
	s_cbranch_execz .LBB283_225
; %bb.222:                              ;   in Loop: Header=BB283_11 Depth=1
	v_and_b32_e32 v110, 7, v3
	v_lshrrev_b32_e32 v4, 3, v5
	s_mov_b32 s21, exec_lo
	v_cmpx_gt_u32_e32 8, v5
; %bb.223:                              ;   in Loop: Header=BB283_11 Depth=1
	s_delay_alu instid0(VALU_DEP_3) | instskip(NEXT) | instid1(VALU_DEP_1)
	v_clz_i32_u32_e32 v4, v110
	v_min_u32_e32 v4, 32, v4
	s_delay_alu instid0(VALU_DEP_1) | instskip(SKIP_1) | instid1(VALU_DEP_2)
	v_subrev_nc_u32_e32 v5, 28, v4
	v_sub_nc_u32_e32 v4, 29, v4
	v_lshlrev_b64 v[8:9], v5, v[110:111]
	s_delay_alu instid0(VALU_DEP_1)
	v_and_b32_e32 v110, 7, v8
; %bb.224:                              ;   in Loop: Header=BB283_11 Depth=1
	s_or_b32 exec_lo, exec_lo, s21
	v_lshlrev_b32_e32 v3, 24, v3
	s_delay_alu instid0(VALU_DEP_2) | instskip(SKIP_1) | instid1(VALU_DEP_3)
	v_lshlrev_b32_e32 v5, 20, v110
	v_lshl_add_u32 v4, v4, 23, 0x3c000000
	v_and_b32_e32 v3, 0x80000000, v3
	s_delay_alu instid0(VALU_DEP_1)
	v_or3_b32 v110, v5, v3, v4
	scratch_store_b64 off, v[110:111], s32 offset:528 ; 8-byte Folded Spill
.LBB283_225:                            ;   in Loop: Header=BB283_11 Depth=1
	s_or_b32 exec_lo, exec_lo, s20
.LBB283_226:                            ;   in Loop: Header=BB283_11 Depth=1
	s_delay_alu instid0(SALU_CYCLE_1)
	s_or_b32 exec_lo, exec_lo, s19
.LBB283_227:                            ;   in Loop: Header=BB283_11 Depth=1
	s_delay_alu instid0(SALU_CYCLE_1) | instskip(NEXT) | instid1(SALU_CYCLE_1)
	s_or_b32 exec_lo, exec_lo, s8
	s_mov_b32 s19, exec_lo
	v_cmpx_lt_u32_e32 0xffffff, v2
	s_cbranch_execz .LBB283_235
; %bb.228:                              ;   in Loop: Header=BB283_11 Depth=1
	v_lshrrev_b32_e32 v3, 24, v2
	v_dual_mov_b32 v7, s3 :: v_dual_mov_b32 v6, s2
	s_mov_b32 s20, exec_lo
	s_delay_alu instid0(VALU_DEP_2)
	v_cmpx_ne_u32_e32 0x80, v3
	s_cbranch_execz .LBB283_234
; %bb.229:                              ;   in Loop: Header=BB283_11 Depth=1
	s_mov_b32 s8, s2
	v_bfe_u32 v4, v2, 24, 7
	v_dual_mov_b32 v6, s8 :: v_dual_mov_b32 v7, s9
	s_mov_b32 s8, exec_lo
	s_delay_alu instid0(VALU_DEP_2)
	v_cmpx_ne_u32_e32 0x7f, v4
	s_cbranch_execz .LBB283_233
; %bb.230:                              ;   in Loop: Header=BB283_11 Depth=1
	v_and_b32_e32 v110, 7, v3
	v_lshrrev_b32_e32 v2, 3, v4
	s_mov_b32 s21, exec_lo
	v_cmpx_gt_u32_e32 8, v4
; %bb.231:                              ;   in Loop: Header=BB283_11 Depth=1
	s_delay_alu instid0(VALU_DEP_3) | instskip(NEXT) | instid1(VALU_DEP_1)
	v_clz_i32_u32_e32 v2, v110
	v_min_u32_e32 v2, 32, v2
	s_delay_alu instid0(VALU_DEP_1) | instskip(SKIP_1) | instid1(VALU_DEP_2)
	v_subrev_nc_u32_e32 v4, 28, v2
	v_sub_nc_u32_e32 v2, 29, v2
	v_lshlrev_b64 v[4:5], v4, v[110:111]
	s_delay_alu instid0(VALU_DEP_1)
	v_and_b32_e32 v110, 7, v4
; %bb.232:                              ;   in Loop: Header=BB283_11 Depth=1
	s_or_b32 exec_lo, exec_lo, s21
	v_dual_mov_b32 v6, v111 :: v_dual_lshlrev_b32 v3, 24, v3
	s_delay_alu instid0(VALU_DEP_2) | instskip(SKIP_1) | instid1(VALU_DEP_3)
	v_lshlrev_b32_e32 v4, 20, v110
	v_lshl_add_u32 v2, v2, 23, 0x3c000000
	v_and_b32_e32 v3, 0x80000000, v3
	s_delay_alu instid0(VALU_DEP_1)
	v_or3_b32 v7, v4, v3, v2
.LBB283_233:                            ;   in Loop: Header=BB283_11 Depth=1
	s_or_b32 exec_lo, exec_lo, s8
.LBB283_234:                            ;   in Loop: Header=BB283_11 Depth=1
	s_delay_alu instid0(SALU_CYCLE_1)
	s_or_b32 exec_lo, exec_lo, s20
.LBB283_235:                            ;   in Loop: Header=BB283_11 Depth=1
	s_delay_alu instid0(SALU_CYCLE_1)
	s_or_b32 exec_lo, exec_lo, s19
	flat_load_b32 v2, v[172:173] offset:524
	v_mov_b32_e32 v16, 0
	v_mov_b32_e32 v17, 0
	s_mov_b32 s8, exec_lo
	scratch_store_b64 off, v[16:17], s32 offset:536 ; 8-byte Folded Spill
	s_waitcnt vmcnt(0) lgkmcnt(0)
	v_and_b32_e32 v3, 0xff, v2
	s_delay_alu instid0(VALU_DEP_1)
	v_cmpx_ne_u16_e32 0, v3
	s_cbranch_execz .LBB283_243
; %bb.236:                              ;   in Loop: Header=BB283_11 Depth=1
	v_cmp_ne_u16_e64 s1, 0x80, v3
	v_bfrev_b32_e32 v3, 1
	v_mov_b32_e32 v4, 0
	scratch_store_b64 off, v[3:4], s32 offset:536 ; 8-byte Folded Spill
	s_and_saveexec_b32 s19, s1
	s_cbranch_execz .LBB283_242
; %bb.237:                              ;   in Loop: Header=BB283_11 Depth=1
	v_mov_b32_e32 v8, 0x7f800001
	v_dual_mov_b32 v9, 0 :: v_dual_and_b32 v4, 0x7f, v2
	s_mov_b32 s20, exec_lo
	scratch_store_b64 off, v[8:9], s32 offset:536 ; 8-byte Folded Spill
	v_cmpx_ne_u32_e32 0x7f, v4
	s_cbranch_execz .LBB283_241
; %bb.238:                              ;   in Loop: Header=BB283_11 Depth=1
	v_and_b32_e32 v110, 7, v2
	v_lshrrev_b32_e32 v3, 3, v4
	s_mov_b32 s21, exec_lo
	v_cmpx_gt_u32_e32 8, v4
; %bb.239:                              ;   in Loop: Header=BB283_11 Depth=1
	s_delay_alu instid0(VALU_DEP_3) | instskip(NEXT) | instid1(VALU_DEP_1)
	v_clz_i32_u32_e32 v3, v110
	v_min_u32_e32 v3, 32, v3
	s_delay_alu instid0(VALU_DEP_1) | instskip(SKIP_1) | instid1(VALU_DEP_2)
	v_subrev_nc_u32_e32 v4, 28, v3
	v_sub_nc_u32_e32 v3, 29, v3
	v_lshlrev_b64 v[4:5], v4, v[110:111]
	s_delay_alu instid0(VALU_DEP_1)
	v_and_b32_e32 v110, 7, v4
; %bb.240:                              ;   in Loop: Header=BB283_11 Depth=1
	s_or_b32 exec_lo, exec_lo, s21
	v_lshlrev_b32_e32 v4, 24, v2
	s_delay_alu instid0(VALU_DEP_2) | instskip(SKIP_1) | instid1(VALU_DEP_3)
	v_lshlrev_b32_e32 v5, 20, v110
	v_lshl_add_u32 v3, v3, 23, 0x3c000000
	v_and_b32_e32 v4, 0x80000000, v4
	s_delay_alu instid0(VALU_DEP_1)
	v_or3_b32 v110, v5, v4, v3
	scratch_store_b64 off, v[110:111], s32 offset:536 ; 8-byte Folded Spill
.LBB283_241:                            ;   in Loop: Header=BB283_11 Depth=1
	s_or_b32 exec_lo, exec_lo, s20
.LBB283_242:                            ;   in Loop: Header=BB283_11 Depth=1
	s_delay_alu instid0(SALU_CYCLE_1)
	s_or_b32 exec_lo, exec_lo, s19
.LBB283_243:                            ;   in Loop: Header=BB283_11 Depth=1
	s_delay_alu instid0(SALU_CYCLE_1) | instskip(SKIP_2) | instid1(VALU_DEP_1)
	s_or_b32 exec_lo, exec_lo, s8
	v_lshrrev_b16 v3, 8, v2
	s_mov_b32 s19, exec_lo
	v_cmpx_ne_u16_e32 0, v3
	s_cbranch_execz .LBB283_251
; %bb.244:                              ;   in Loop: Header=BB283_11 Depth=1
	v_dual_mov_b32 v17, s3 :: v_dual_mov_b32 v16, s2
	s_mov_b32 s20, exec_lo
	v_cmpx_ne_u16_e32 0x80, v3
	s_cbranch_execz .LBB283_250
; %bb.245:                              ;   in Loop: Header=BB283_11 Depth=1
	s_mov_b32 s8, s2
	v_and_b32_e32 v3, 0xffff, v3
	v_dual_mov_b32 v17, s9 :: v_dual_mov_b32 v16, s8
	s_mov_b32 s8, exec_lo
	s_delay_alu instid0(VALU_DEP_2) | instskip(NEXT) | instid1(VALU_DEP_1)
	v_and_b32_e32 v4, 0x7f, v3
	v_cmpx_ne_u32_e32 0x7f, v4
	s_cbranch_execz .LBB283_249
; %bb.246:                              ;   in Loop: Header=BB283_11 Depth=1
	v_and_b32_e32 v110, 7, v3
	v_lshrrev_b32_e32 v3, 3, v4
	s_mov_b32 s21, exec_lo
	v_cmpx_gt_u32_e32 8, v4
; %bb.247:                              ;   in Loop: Header=BB283_11 Depth=1
	s_delay_alu instid0(VALU_DEP_3) | instskip(NEXT) | instid1(VALU_DEP_1)
	v_clz_i32_u32_e32 v3, v110
	v_min_u32_e32 v3, 32, v3
	s_delay_alu instid0(VALU_DEP_1) | instskip(SKIP_1) | instid1(VALU_DEP_2)
	v_subrev_nc_u32_e32 v4, 28, v3
	v_sub_nc_u32_e32 v3, 29, v3
	v_lshlrev_b64 v[4:5], v4, v[110:111]
	s_delay_alu instid0(VALU_DEP_1)
	v_and_b32_e32 v110, 7, v4
; %bb.248:                              ;   in Loop: Header=BB283_11 Depth=1
	s_or_b32 exec_lo, exec_lo, s21
	v_lshlrev_b32_e32 v4, 16, v2
	s_delay_alu instid0(VALU_DEP_2) | instskip(SKIP_1) | instid1(VALU_DEP_3)
	v_dual_mov_b32 v16, v111 :: v_dual_lshlrev_b32 v5, 20, v110
	v_lshl_add_u32 v3, v3, 23, 0x3c000000
	v_and_b32_e32 v4, 0x80000000, v4
	s_delay_alu instid0(VALU_DEP_1)
	v_or3_b32 v17, v5, v4, v3
.LBB283_249:                            ;   in Loop: Header=BB283_11 Depth=1
	s_or_b32 exec_lo, exec_lo, s8
.LBB283_250:                            ;   in Loop: Header=BB283_11 Depth=1
	s_delay_alu instid0(SALU_CYCLE_1)
	s_or_b32 exec_lo, exec_lo, s20
.LBB283_251:                            ;   in Loop: Header=BB283_11 Depth=1
	s_delay_alu instid0(SALU_CYCLE_1) | instskip(SKIP_4) | instid1(VALU_DEP_3)
	s_or_b32 exec_lo, exec_lo, s19
	v_lshrrev_b32_e32 v3, 16, v2
	v_mov_b32_e32 v28, 0
	v_mov_b32_e32 v29, 0
	s_mov_b32 s8, exec_lo
	v_and_b32_e32 v4, 0xff, v3
	scratch_store_b64 off, v[28:29], s32 offset:544 ; 8-byte Folded Spill
	v_cmpx_ne_u16_e32 0, v4
	s_cbranch_execz .LBB283_259
; %bb.252:                              ;   in Loop: Header=BB283_11 Depth=1
	v_cmp_ne_u16_e64 s1, 0x80, v4
	v_bfrev_b32_e32 v4, 1
	v_mov_b32_e32 v5, 0
	scratch_store_b64 off, v[4:5], s32 offset:544 ; 8-byte Folded Spill
	s_and_saveexec_b32 s19, s1
	s_cbranch_execz .LBB283_258
; %bb.253:                              ;   in Loop: Header=BB283_11 Depth=1
	v_mov_b32_e32 v8, 0x7f800001
	v_bfe_u32 v5, v2, 16, 7
	v_mov_b32_e32 v9, 0
	s_mov_b32 s20, exec_lo
	scratch_store_b64 off, v[8:9], s32 offset:544 ; 8-byte Folded Spill
	v_cmpx_ne_u32_e32 0x7f, v5
	s_cbranch_execz .LBB283_257
; %bb.254:                              ;   in Loop: Header=BB283_11 Depth=1
	v_and_b32_e32 v110, 7, v3
	v_lshrrev_b32_e32 v4, 3, v5
	s_mov_b32 s21, exec_lo
	v_cmpx_gt_u32_e32 8, v5
; %bb.255:                              ;   in Loop: Header=BB283_11 Depth=1
	s_delay_alu instid0(VALU_DEP_3) | instskip(NEXT) | instid1(VALU_DEP_1)
	v_clz_i32_u32_e32 v4, v110
	v_min_u32_e32 v4, 32, v4
	s_delay_alu instid0(VALU_DEP_1) | instskip(SKIP_1) | instid1(VALU_DEP_2)
	v_subrev_nc_u32_e32 v5, 28, v4
	v_sub_nc_u32_e32 v4, 29, v4
	v_lshlrev_b64 v[8:9], v5, v[110:111]
	s_delay_alu instid0(VALU_DEP_1)
	v_and_b32_e32 v110, 7, v8
; %bb.256:                              ;   in Loop: Header=BB283_11 Depth=1
	s_or_b32 exec_lo, exec_lo, s21
	v_lshlrev_b32_e32 v3, 24, v3
	s_delay_alu instid0(VALU_DEP_2) | instskip(SKIP_1) | instid1(VALU_DEP_3)
	v_lshlrev_b32_e32 v5, 20, v110
	v_lshl_add_u32 v4, v4, 23, 0x3c000000
	v_and_b32_e32 v3, 0x80000000, v3
	s_delay_alu instid0(VALU_DEP_1)
	v_or3_b32 v110, v5, v3, v4
	scratch_store_b64 off, v[110:111], s32 offset:544 ; 8-byte Folded Spill
.LBB283_257:                            ;   in Loop: Header=BB283_11 Depth=1
	s_or_b32 exec_lo, exec_lo, s20
.LBB283_258:                            ;   in Loop: Header=BB283_11 Depth=1
	s_delay_alu instid0(SALU_CYCLE_1)
	s_or_b32 exec_lo, exec_lo, s19
.LBB283_259:                            ;   in Loop: Header=BB283_11 Depth=1
	s_delay_alu instid0(SALU_CYCLE_1) | instskip(NEXT) | instid1(SALU_CYCLE_1)
	s_or_b32 exec_lo, exec_lo, s8
	s_mov_b32 s19, exec_lo
	v_cmpx_lt_u32_e32 0xffffff, v2
	s_cbranch_execz .LBB283_267
; %bb.260:                              ;   in Loop: Header=BB283_11 Depth=1
	v_lshrrev_b32_e32 v3, 24, v2
	v_dual_mov_b32 v29, s3 :: v_dual_mov_b32 v28, s2
	s_mov_b32 s20, exec_lo
	s_delay_alu instid0(VALU_DEP_2)
	v_cmpx_ne_u32_e32 0x80, v3
	s_cbranch_execz .LBB283_266
; %bb.261:                              ;   in Loop: Header=BB283_11 Depth=1
	s_mov_b32 s8, s2
	v_bfe_u32 v4, v2, 24, 7
	v_dual_mov_b32 v29, s9 :: v_dual_mov_b32 v28, s8
	s_mov_b32 s8, exec_lo
	s_delay_alu instid0(VALU_DEP_2)
	v_cmpx_ne_u32_e32 0x7f, v4
	s_cbranch_execz .LBB283_265
; %bb.262:                              ;   in Loop: Header=BB283_11 Depth=1
	v_and_b32_e32 v110, 7, v3
	v_lshrrev_b32_e32 v2, 3, v4
	s_mov_b32 s21, exec_lo
	v_cmpx_gt_u32_e32 8, v4
; %bb.263:                              ;   in Loop: Header=BB283_11 Depth=1
	s_delay_alu instid0(VALU_DEP_3) | instskip(NEXT) | instid1(VALU_DEP_1)
	v_clz_i32_u32_e32 v2, v110
	v_min_u32_e32 v2, 32, v2
	s_delay_alu instid0(VALU_DEP_1) | instskip(SKIP_1) | instid1(VALU_DEP_2)
	v_subrev_nc_u32_e32 v4, 28, v2
	v_sub_nc_u32_e32 v2, 29, v2
	v_lshlrev_b64 v[4:5], v4, v[110:111]
	s_delay_alu instid0(VALU_DEP_1)
	v_and_b32_e32 v110, 7, v4
; %bb.264:                              ;   in Loop: Header=BB283_11 Depth=1
	s_or_b32 exec_lo, exec_lo, s21
	v_dual_mov_b32 v28, v111 :: v_dual_lshlrev_b32 v3, 24, v3
	s_delay_alu instid0(VALU_DEP_2) | instskip(SKIP_1) | instid1(VALU_DEP_3)
	v_lshlrev_b32_e32 v4, 20, v110
	v_lshl_add_u32 v2, v2, 23, 0x3c000000
	v_and_b32_e32 v3, 0x80000000, v3
	s_delay_alu instid0(VALU_DEP_1)
	v_or3_b32 v29, v4, v3, v2
.LBB283_265:                            ;   in Loop: Header=BB283_11 Depth=1
	s_or_b32 exec_lo, exec_lo, s8
.LBB283_266:                            ;   in Loop: Header=BB283_11 Depth=1
	s_delay_alu instid0(SALU_CYCLE_1)
	s_or_b32 exec_lo, exec_lo, s20
.LBB283_267:                            ;   in Loop: Header=BB283_11 Depth=1
	s_delay_alu instid0(SALU_CYCLE_1)
	s_or_b32 exec_lo, exec_lo, s19
	flat_load_b32 v2, v[172:173] offset:1024
	v_mov_b32_e32 v32, 0
	v_mov_b32_e32 v33, 0
	s_mov_b32 s8, exec_lo
	scratch_store_b64 off, v[32:33], s32 offset:552 ; 8-byte Folded Spill
	s_waitcnt vmcnt(0) lgkmcnt(0)
	v_and_b32_e32 v3, 0xff, v2
	s_delay_alu instid0(VALU_DEP_1)
	v_cmpx_ne_u16_e32 0, v3
	s_cbranch_execz .LBB283_275
; %bb.268:                              ;   in Loop: Header=BB283_11 Depth=1
	v_cmp_ne_u16_e64 s1, 0x80, v3
	v_bfrev_b32_e32 v3, 1
	v_mov_b32_e32 v4, 0
	scratch_store_b64 off, v[3:4], s32 offset:552 ; 8-byte Folded Spill
	s_and_saveexec_b32 s19, s1
	s_cbranch_execz .LBB283_274
; %bb.269:                              ;   in Loop: Header=BB283_11 Depth=1
	v_mov_b32_e32 v8, 0x7f800001
	v_dual_mov_b32 v9, 0 :: v_dual_and_b32 v4, 0x7f, v2
	s_mov_b32 s20, exec_lo
	scratch_store_b64 off, v[8:9], s32 offset:552 ; 8-byte Folded Spill
	v_cmpx_ne_u32_e32 0x7f, v4
	s_cbranch_execz .LBB283_273
; %bb.270:                              ;   in Loop: Header=BB283_11 Depth=1
	v_and_b32_e32 v110, 7, v2
	v_lshrrev_b32_e32 v3, 3, v4
	s_mov_b32 s21, exec_lo
	v_cmpx_gt_u32_e32 8, v4
; %bb.271:                              ;   in Loop: Header=BB283_11 Depth=1
	s_delay_alu instid0(VALU_DEP_3) | instskip(NEXT) | instid1(VALU_DEP_1)
	v_clz_i32_u32_e32 v3, v110
	v_min_u32_e32 v3, 32, v3
	s_delay_alu instid0(VALU_DEP_1) | instskip(SKIP_1) | instid1(VALU_DEP_2)
	v_subrev_nc_u32_e32 v4, 28, v3
	v_sub_nc_u32_e32 v3, 29, v3
	v_lshlrev_b64 v[4:5], v4, v[110:111]
	s_delay_alu instid0(VALU_DEP_1)
	v_and_b32_e32 v110, 7, v4
; %bb.272:                              ;   in Loop: Header=BB283_11 Depth=1
	s_or_b32 exec_lo, exec_lo, s21
	v_lshlrev_b32_e32 v4, 24, v2
	s_delay_alu instid0(VALU_DEP_2) | instskip(SKIP_1) | instid1(VALU_DEP_3)
	v_lshlrev_b32_e32 v5, 20, v110
	v_lshl_add_u32 v3, v3, 23, 0x3c000000
	v_and_b32_e32 v4, 0x80000000, v4
	s_delay_alu instid0(VALU_DEP_1)
	v_or3_b32 v110, v5, v4, v3
	scratch_store_b64 off, v[110:111], s32 offset:552 ; 8-byte Folded Spill
.LBB283_273:                            ;   in Loop: Header=BB283_11 Depth=1
	s_or_b32 exec_lo, exec_lo, s20
.LBB283_274:                            ;   in Loop: Header=BB283_11 Depth=1
	s_delay_alu instid0(SALU_CYCLE_1)
	s_or_b32 exec_lo, exec_lo, s19
.LBB283_275:                            ;   in Loop: Header=BB283_11 Depth=1
	s_delay_alu instid0(SALU_CYCLE_1) | instskip(SKIP_2) | instid1(VALU_DEP_1)
	s_or_b32 exec_lo, exec_lo, s8
	v_lshrrev_b16 v3, 8, v2
	s_mov_b32 s19, exec_lo
	v_cmpx_ne_u16_e32 0, v3
	s_cbranch_execz .LBB283_283
; %bb.276:                              ;   in Loop: Header=BB283_11 Depth=1
	v_dual_mov_b32 v33, s3 :: v_dual_mov_b32 v32, s2
	s_mov_b32 s20, exec_lo
	v_cmpx_ne_u16_e32 0x80, v3
	s_cbranch_execz .LBB283_282
; %bb.277:                              ;   in Loop: Header=BB283_11 Depth=1
	s_mov_b32 s8, s2
	v_and_b32_e32 v3, 0xffff, v3
	v_dual_mov_b32 v33, s9 :: v_dual_mov_b32 v32, s8
	s_mov_b32 s8, exec_lo
	s_delay_alu instid0(VALU_DEP_2) | instskip(NEXT) | instid1(VALU_DEP_1)
	v_and_b32_e32 v4, 0x7f, v3
	v_cmpx_ne_u32_e32 0x7f, v4
	s_cbranch_execz .LBB283_281
; %bb.278:                              ;   in Loop: Header=BB283_11 Depth=1
	v_and_b32_e32 v110, 7, v3
	v_lshrrev_b32_e32 v3, 3, v4
	s_mov_b32 s21, exec_lo
	v_cmpx_gt_u32_e32 8, v4
; %bb.279:                              ;   in Loop: Header=BB283_11 Depth=1
	s_delay_alu instid0(VALU_DEP_3) | instskip(NEXT) | instid1(VALU_DEP_1)
	v_clz_i32_u32_e32 v3, v110
	v_min_u32_e32 v3, 32, v3
	s_delay_alu instid0(VALU_DEP_1) | instskip(SKIP_1) | instid1(VALU_DEP_2)
	v_subrev_nc_u32_e32 v4, 28, v3
	v_sub_nc_u32_e32 v3, 29, v3
	v_lshlrev_b64 v[4:5], v4, v[110:111]
	s_delay_alu instid0(VALU_DEP_1)
	v_and_b32_e32 v110, 7, v4
; %bb.280:                              ;   in Loop: Header=BB283_11 Depth=1
	s_or_b32 exec_lo, exec_lo, s21
	v_lshlrev_b32_e32 v4, 16, v2
	s_delay_alu instid0(VALU_DEP_2) | instskip(SKIP_1) | instid1(VALU_DEP_3)
	v_dual_mov_b32 v32, v111 :: v_dual_lshlrev_b32 v5, 20, v110
	v_lshl_add_u32 v3, v3, 23, 0x3c000000
	v_and_b32_e32 v4, 0x80000000, v4
	s_delay_alu instid0(VALU_DEP_1)
	v_or3_b32 v33, v5, v4, v3
.LBB283_281:                            ;   in Loop: Header=BB283_11 Depth=1
	s_or_b32 exec_lo, exec_lo, s8
.LBB283_282:                            ;   in Loop: Header=BB283_11 Depth=1
	s_delay_alu instid0(SALU_CYCLE_1)
	s_or_b32 exec_lo, exec_lo, s20
.LBB283_283:                            ;   in Loop: Header=BB283_11 Depth=1
	s_delay_alu instid0(SALU_CYCLE_1) | instskip(SKIP_4) | instid1(VALU_DEP_3)
	s_or_b32 exec_lo, exec_lo, s19
	v_lshrrev_b32_e32 v3, 16, v2
	v_mov_b32_e32 v36, 0
	v_mov_b32_e32 v37, 0
	s_mov_b32 s8, exec_lo
	v_and_b32_e32 v4, 0xff, v3
	scratch_store_b64 off, v[36:37], s32 offset:560 ; 8-byte Folded Spill
	v_cmpx_ne_u16_e32 0, v4
	s_cbranch_execz .LBB283_291
; %bb.284:                              ;   in Loop: Header=BB283_11 Depth=1
	v_cmp_ne_u16_e64 s1, 0x80, v4
	v_bfrev_b32_e32 v4, 1
	v_mov_b32_e32 v5, 0
	scratch_store_b64 off, v[4:5], s32 offset:560 ; 8-byte Folded Spill
	s_and_saveexec_b32 s19, s1
	s_cbranch_execz .LBB283_290
; %bb.285:                              ;   in Loop: Header=BB283_11 Depth=1
	v_mov_b32_e32 v8, 0x7f800001
	v_bfe_u32 v5, v2, 16, 7
	v_mov_b32_e32 v9, 0
	s_mov_b32 s20, exec_lo
	scratch_store_b64 off, v[8:9], s32 offset:560 ; 8-byte Folded Spill
	v_cmpx_ne_u32_e32 0x7f, v5
	s_cbranch_execz .LBB283_289
; %bb.286:                              ;   in Loop: Header=BB283_11 Depth=1
	v_and_b32_e32 v110, 7, v3
	v_lshrrev_b32_e32 v4, 3, v5
	s_mov_b32 s21, exec_lo
	v_cmpx_gt_u32_e32 8, v5
; %bb.287:                              ;   in Loop: Header=BB283_11 Depth=1
	s_delay_alu instid0(VALU_DEP_3) | instskip(NEXT) | instid1(VALU_DEP_1)
	v_clz_i32_u32_e32 v4, v110
	v_min_u32_e32 v4, 32, v4
	s_delay_alu instid0(VALU_DEP_1) | instskip(SKIP_1) | instid1(VALU_DEP_2)
	v_subrev_nc_u32_e32 v5, 28, v4
	v_sub_nc_u32_e32 v4, 29, v4
	v_lshlrev_b64 v[8:9], v5, v[110:111]
	s_delay_alu instid0(VALU_DEP_1)
	v_and_b32_e32 v110, 7, v8
; %bb.288:                              ;   in Loop: Header=BB283_11 Depth=1
	s_or_b32 exec_lo, exec_lo, s21
	v_lshlrev_b32_e32 v3, 24, v3
	s_delay_alu instid0(VALU_DEP_2) | instskip(SKIP_1) | instid1(VALU_DEP_3)
	v_lshlrev_b32_e32 v5, 20, v110
	v_lshl_add_u32 v4, v4, 23, 0x3c000000
	v_and_b32_e32 v3, 0x80000000, v3
	s_delay_alu instid0(VALU_DEP_1)
	v_or3_b32 v110, v5, v3, v4
	scratch_store_b64 off, v[110:111], s32 offset:560 ; 8-byte Folded Spill
.LBB283_289:                            ;   in Loop: Header=BB283_11 Depth=1
	s_or_b32 exec_lo, exec_lo, s20
.LBB283_290:                            ;   in Loop: Header=BB283_11 Depth=1
	s_delay_alu instid0(SALU_CYCLE_1)
	s_or_b32 exec_lo, exec_lo, s19
.LBB283_291:                            ;   in Loop: Header=BB283_11 Depth=1
	s_delay_alu instid0(SALU_CYCLE_1) | instskip(NEXT) | instid1(SALU_CYCLE_1)
	s_or_b32 exec_lo, exec_lo, s8
	s_mov_b32 s19, exec_lo
	v_cmpx_lt_u32_e32 0xffffff, v2
	s_cbranch_execz .LBB283_299
; %bb.292:                              ;   in Loop: Header=BB283_11 Depth=1
	v_lshrrev_b32_e32 v3, 24, v2
	v_dual_mov_b32 v37, s3 :: v_dual_mov_b32 v36, s2
	s_mov_b32 s20, exec_lo
	s_delay_alu instid0(VALU_DEP_2)
	v_cmpx_ne_u32_e32 0x80, v3
	s_cbranch_execz .LBB283_298
; %bb.293:                              ;   in Loop: Header=BB283_11 Depth=1
	s_mov_b32 s8, s2
	v_bfe_u32 v4, v2, 24, 7
	v_dual_mov_b32 v37, s9 :: v_dual_mov_b32 v36, s8
	s_mov_b32 s8, exec_lo
	s_delay_alu instid0(VALU_DEP_2)
	v_cmpx_ne_u32_e32 0x7f, v4
	s_cbranch_execz .LBB283_297
; %bb.294:                              ;   in Loop: Header=BB283_11 Depth=1
	v_and_b32_e32 v110, 7, v3
	v_lshrrev_b32_e32 v2, 3, v4
	s_mov_b32 s21, exec_lo
	v_cmpx_gt_u32_e32 8, v4
; %bb.295:                              ;   in Loop: Header=BB283_11 Depth=1
	s_delay_alu instid0(VALU_DEP_3) | instskip(NEXT) | instid1(VALU_DEP_1)
	v_clz_i32_u32_e32 v2, v110
	v_min_u32_e32 v2, 32, v2
	s_delay_alu instid0(VALU_DEP_1) | instskip(SKIP_1) | instid1(VALU_DEP_2)
	v_subrev_nc_u32_e32 v4, 28, v2
	v_sub_nc_u32_e32 v2, 29, v2
	v_lshlrev_b64 v[4:5], v4, v[110:111]
	s_delay_alu instid0(VALU_DEP_1)
	v_and_b32_e32 v110, 7, v4
; %bb.296:                              ;   in Loop: Header=BB283_11 Depth=1
	s_or_b32 exec_lo, exec_lo, s21
	v_dual_mov_b32 v36, v111 :: v_dual_lshlrev_b32 v3, 24, v3
	s_delay_alu instid0(VALU_DEP_2) | instskip(SKIP_1) | instid1(VALU_DEP_3)
	v_lshlrev_b32_e32 v4, 20, v110
	v_lshl_add_u32 v2, v2, 23, 0x3c000000
	v_and_b32_e32 v3, 0x80000000, v3
	s_delay_alu instid0(VALU_DEP_1)
	v_or3_b32 v37, v4, v3, v2
.LBB283_297:                            ;   in Loop: Header=BB283_11 Depth=1
	s_or_b32 exec_lo, exec_lo, s8
.LBB283_298:                            ;   in Loop: Header=BB283_11 Depth=1
	s_delay_alu instid0(SALU_CYCLE_1)
	s_or_b32 exec_lo, exec_lo, s20
.LBB283_299:                            ;   in Loop: Header=BB283_11 Depth=1
	s_delay_alu instid0(SALU_CYCLE_1)
	s_or_b32 exec_lo, exec_lo, s19
	flat_load_b32 v2, v[172:173] offset:1028
	v_mov_b32_e32 v48, 0
	v_mov_b32_e32 v49, 0
	s_mov_b32 s8, exec_lo
	scratch_store_b64 off, v[48:49], s32 offset:568 ; 8-byte Folded Spill
	s_waitcnt vmcnt(0) lgkmcnt(0)
	v_and_b32_e32 v3, 0xff, v2
	s_delay_alu instid0(VALU_DEP_1)
	v_cmpx_ne_u16_e32 0, v3
	s_cbranch_execz .LBB283_307
; %bb.300:                              ;   in Loop: Header=BB283_11 Depth=1
	v_cmp_ne_u16_e64 s1, 0x80, v3
	v_bfrev_b32_e32 v3, 1
	v_mov_b32_e32 v4, 0
	scratch_store_b64 off, v[3:4], s32 offset:568 ; 8-byte Folded Spill
	s_and_saveexec_b32 s19, s1
	s_cbranch_execz .LBB283_306
; %bb.301:                              ;   in Loop: Header=BB283_11 Depth=1
	v_mov_b32_e32 v8, 0x7f800001
	v_dual_mov_b32 v9, 0 :: v_dual_and_b32 v4, 0x7f, v2
	s_mov_b32 s20, exec_lo
	scratch_store_b64 off, v[8:9], s32 offset:568 ; 8-byte Folded Spill
	v_cmpx_ne_u32_e32 0x7f, v4
	s_cbranch_execz .LBB283_305
; %bb.302:                              ;   in Loop: Header=BB283_11 Depth=1
	v_and_b32_e32 v110, 7, v2
	v_lshrrev_b32_e32 v3, 3, v4
	s_mov_b32 s21, exec_lo
	v_cmpx_gt_u32_e32 8, v4
; %bb.303:                              ;   in Loop: Header=BB283_11 Depth=1
	s_delay_alu instid0(VALU_DEP_3) | instskip(NEXT) | instid1(VALU_DEP_1)
	v_clz_i32_u32_e32 v3, v110
	v_min_u32_e32 v3, 32, v3
	s_delay_alu instid0(VALU_DEP_1) | instskip(SKIP_1) | instid1(VALU_DEP_2)
	v_subrev_nc_u32_e32 v4, 28, v3
	v_sub_nc_u32_e32 v3, 29, v3
	v_lshlrev_b64 v[4:5], v4, v[110:111]
	s_delay_alu instid0(VALU_DEP_1)
	v_and_b32_e32 v110, 7, v4
; %bb.304:                              ;   in Loop: Header=BB283_11 Depth=1
	s_or_b32 exec_lo, exec_lo, s21
	v_lshlrev_b32_e32 v4, 24, v2
	s_delay_alu instid0(VALU_DEP_2) | instskip(SKIP_1) | instid1(VALU_DEP_3)
	v_lshlrev_b32_e32 v5, 20, v110
	v_lshl_add_u32 v3, v3, 23, 0x3c000000
	v_and_b32_e32 v4, 0x80000000, v4
	s_delay_alu instid0(VALU_DEP_1)
	v_or3_b32 v110, v5, v4, v3
	scratch_store_b64 off, v[110:111], s32 offset:568 ; 8-byte Folded Spill
.LBB283_305:                            ;   in Loop: Header=BB283_11 Depth=1
	s_or_b32 exec_lo, exec_lo, s20
.LBB283_306:                            ;   in Loop: Header=BB283_11 Depth=1
	s_delay_alu instid0(SALU_CYCLE_1)
	s_or_b32 exec_lo, exec_lo, s19
.LBB283_307:                            ;   in Loop: Header=BB283_11 Depth=1
	s_delay_alu instid0(SALU_CYCLE_1) | instskip(SKIP_2) | instid1(VALU_DEP_1)
	s_or_b32 exec_lo, exec_lo, s8
	v_lshrrev_b16 v3, 8, v2
	s_mov_b32 s19, exec_lo
	v_cmpx_ne_u16_e32 0, v3
	s_cbranch_execz .LBB283_315
; %bb.308:                              ;   in Loop: Header=BB283_11 Depth=1
	v_dual_mov_b32 v49, s3 :: v_dual_mov_b32 v48, s2
	s_mov_b32 s20, exec_lo
	v_cmpx_ne_u16_e32 0x80, v3
	s_cbranch_execz .LBB283_314
; %bb.309:                              ;   in Loop: Header=BB283_11 Depth=1
	s_mov_b32 s8, s2
	v_and_b32_e32 v3, 0xffff, v3
	v_dual_mov_b32 v49, s9 :: v_dual_mov_b32 v48, s8
	s_mov_b32 s8, exec_lo
	s_delay_alu instid0(VALU_DEP_2) | instskip(NEXT) | instid1(VALU_DEP_1)
	v_and_b32_e32 v4, 0x7f, v3
	v_cmpx_ne_u32_e32 0x7f, v4
	s_cbranch_execz .LBB283_313
; %bb.310:                              ;   in Loop: Header=BB283_11 Depth=1
	v_and_b32_e32 v110, 7, v3
	v_lshrrev_b32_e32 v3, 3, v4
	s_mov_b32 s21, exec_lo
	v_cmpx_gt_u32_e32 8, v4
; %bb.311:                              ;   in Loop: Header=BB283_11 Depth=1
	s_delay_alu instid0(VALU_DEP_3) | instskip(NEXT) | instid1(VALU_DEP_1)
	v_clz_i32_u32_e32 v3, v110
	v_min_u32_e32 v3, 32, v3
	s_delay_alu instid0(VALU_DEP_1) | instskip(SKIP_1) | instid1(VALU_DEP_2)
	v_subrev_nc_u32_e32 v4, 28, v3
	v_sub_nc_u32_e32 v3, 29, v3
	v_lshlrev_b64 v[4:5], v4, v[110:111]
	s_delay_alu instid0(VALU_DEP_1)
	v_and_b32_e32 v110, 7, v4
; %bb.312:                              ;   in Loop: Header=BB283_11 Depth=1
	s_or_b32 exec_lo, exec_lo, s21
	v_lshlrev_b32_e32 v4, 16, v2
	s_delay_alu instid0(VALU_DEP_2) | instskip(SKIP_1) | instid1(VALU_DEP_3)
	v_dual_mov_b32 v48, v111 :: v_dual_lshlrev_b32 v5, 20, v110
	v_lshl_add_u32 v3, v3, 23, 0x3c000000
	v_and_b32_e32 v4, 0x80000000, v4
	s_delay_alu instid0(VALU_DEP_1)
	v_or3_b32 v49, v5, v4, v3
.LBB283_313:                            ;   in Loop: Header=BB283_11 Depth=1
	s_or_b32 exec_lo, exec_lo, s8
.LBB283_314:                            ;   in Loop: Header=BB283_11 Depth=1
	s_delay_alu instid0(SALU_CYCLE_1)
	s_or_b32 exec_lo, exec_lo, s20
.LBB283_315:                            ;   in Loop: Header=BB283_11 Depth=1
	s_delay_alu instid0(SALU_CYCLE_1) | instskip(SKIP_4) | instid1(VALU_DEP_3)
	s_or_b32 exec_lo, exec_lo, s19
	v_lshrrev_b32_e32 v3, 16, v2
	v_mov_b32_e32 v52, 0
	v_mov_b32_e32 v53, 0
	s_mov_b32 s8, exec_lo
	v_and_b32_e32 v4, 0xff, v3
	scratch_store_b64 off, v[52:53], s32 offset:576 ; 8-byte Folded Spill
	v_cmpx_ne_u16_e32 0, v4
	s_cbranch_execz .LBB283_323
; %bb.316:                              ;   in Loop: Header=BB283_11 Depth=1
	v_cmp_ne_u16_e64 s1, 0x80, v4
	v_bfrev_b32_e32 v4, 1
	v_mov_b32_e32 v5, 0
	scratch_store_b64 off, v[4:5], s32 offset:576 ; 8-byte Folded Spill
	s_and_saveexec_b32 s19, s1
	s_cbranch_execz .LBB283_322
; %bb.317:                              ;   in Loop: Header=BB283_11 Depth=1
	v_mov_b32_e32 v8, 0x7f800001
	v_bfe_u32 v5, v2, 16, 7
	v_mov_b32_e32 v9, 0
	s_mov_b32 s20, exec_lo
	scratch_store_b64 off, v[8:9], s32 offset:576 ; 8-byte Folded Spill
	v_cmpx_ne_u32_e32 0x7f, v5
	s_cbranch_execz .LBB283_321
; %bb.318:                              ;   in Loop: Header=BB283_11 Depth=1
	v_and_b32_e32 v110, 7, v3
	v_lshrrev_b32_e32 v4, 3, v5
	s_mov_b32 s21, exec_lo
	v_cmpx_gt_u32_e32 8, v5
; %bb.319:                              ;   in Loop: Header=BB283_11 Depth=1
	s_delay_alu instid0(VALU_DEP_3) | instskip(NEXT) | instid1(VALU_DEP_1)
	v_clz_i32_u32_e32 v4, v110
	v_min_u32_e32 v4, 32, v4
	s_delay_alu instid0(VALU_DEP_1) | instskip(SKIP_1) | instid1(VALU_DEP_2)
	v_subrev_nc_u32_e32 v5, 28, v4
	v_sub_nc_u32_e32 v4, 29, v4
	v_lshlrev_b64 v[8:9], v5, v[110:111]
	s_delay_alu instid0(VALU_DEP_1)
	v_and_b32_e32 v110, 7, v8
; %bb.320:                              ;   in Loop: Header=BB283_11 Depth=1
	s_or_b32 exec_lo, exec_lo, s21
	v_lshlrev_b32_e32 v3, 24, v3
	s_delay_alu instid0(VALU_DEP_2) | instskip(SKIP_1) | instid1(VALU_DEP_3)
	v_lshlrev_b32_e32 v5, 20, v110
	v_lshl_add_u32 v4, v4, 23, 0x3c000000
	v_and_b32_e32 v3, 0x80000000, v3
	s_delay_alu instid0(VALU_DEP_1)
	v_or3_b32 v110, v5, v3, v4
	scratch_store_b64 off, v[110:111], s32 offset:576 ; 8-byte Folded Spill
.LBB283_321:                            ;   in Loop: Header=BB283_11 Depth=1
	s_or_b32 exec_lo, exec_lo, s20
.LBB283_322:                            ;   in Loop: Header=BB283_11 Depth=1
	s_delay_alu instid0(SALU_CYCLE_1)
	s_or_b32 exec_lo, exec_lo, s19
.LBB283_323:                            ;   in Loop: Header=BB283_11 Depth=1
	s_delay_alu instid0(SALU_CYCLE_1) | instskip(NEXT) | instid1(SALU_CYCLE_1)
	s_or_b32 exec_lo, exec_lo, s8
	s_mov_b32 s19, exec_lo
	v_cmpx_lt_u32_e32 0xffffff, v2
	s_cbranch_execz .LBB283_331
; %bb.324:                              ;   in Loop: Header=BB283_11 Depth=1
	v_lshrrev_b32_e32 v3, 24, v2
	v_dual_mov_b32 v53, s3 :: v_dual_mov_b32 v52, s2
	s_mov_b32 s20, exec_lo
	s_delay_alu instid0(VALU_DEP_2)
	v_cmpx_ne_u32_e32 0x80, v3
	s_cbranch_execz .LBB283_330
; %bb.325:                              ;   in Loop: Header=BB283_11 Depth=1
	s_mov_b32 s8, s2
	v_bfe_u32 v4, v2, 24, 7
	v_dual_mov_b32 v53, s9 :: v_dual_mov_b32 v52, s8
	s_mov_b32 s8, exec_lo
	s_delay_alu instid0(VALU_DEP_2)
	v_cmpx_ne_u32_e32 0x7f, v4
	s_cbranch_execz .LBB283_329
; %bb.326:                              ;   in Loop: Header=BB283_11 Depth=1
	v_and_b32_e32 v110, 7, v3
	v_lshrrev_b32_e32 v2, 3, v4
	s_mov_b32 s21, exec_lo
	v_cmpx_gt_u32_e32 8, v4
; %bb.327:                              ;   in Loop: Header=BB283_11 Depth=1
	s_delay_alu instid0(VALU_DEP_3) | instskip(NEXT) | instid1(VALU_DEP_1)
	v_clz_i32_u32_e32 v2, v110
	v_min_u32_e32 v2, 32, v2
	s_delay_alu instid0(VALU_DEP_1) | instskip(SKIP_1) | instid1(VALU_DEP_2)
	v_subrev_nc_u32_e32 v4, 28, v2
	v_sub_nc_u32_e32 v2, 29, v2
	v_lshlrev_b64 v[4:5], v4, v[110:111]
	s_delay_alu instid0(VALU_DEP_1)
	v_and_b32_e32 v110, 7, v4
; %bb.328:                              ;   in Loop: Header=BB283_11 Depth=1
	s_or_b32 exec_lo, exec_lo, s21
	v_dual_mov_b32 v52, v111 :: v_dual_lshlrev_b32 v3, 24, v3
	s_delay_alu instid0(VALU_DEP_2) | instskip(SKIP_1) | instid1(VALU_DEP_3)
	v_lshlrev_b32_e32 v4, 20, v110
	v_lshl_add_u32 v2, v2, 23, 0x3c000000
	v_and_b32_e32 v3, 0x80000000, v3
	s_delay_alu instid0(VALU_DEP_1)
	v_or3_b32 v53, v4, v3, v2
.LBB283_329:                            ;   in Loop: Header=BB283_11 Depth=1
	s_or_b32 exec_lo, exec_lo, s8
.LBB283_330:                            ;   in Loop: Header=BB283_11 Depth=1
	s_delay_alu instid0(SALU_CYCLE_1)
	s_or_b32 exec_lo, exec_lo, s20
.LBB283_331:                            ;   in Loop: Header=BB283_11 Depth=1
	s_delay_alu instid0(SALU_CYCLE_1)
	s_or_b32 exec_lo, exec_lo, s19
	flat_load_b32 v2, v[172:173] offset:1032
	v_mov_b32_e32 v64, 0
	v_mov_b32_e32 v65, 0
	s_mov_b32 s8, exec_lo
	scratch_store_b64 off, v[64:65], s32 offset:584 ; 8-byte Folded Spill
	s_waitcnt vmcnt(0) lgkmcnt(0)
	v_and_b32_e32 v3, 0xff, v2
	s_delay_alu instid0(VALU_DEP_1)
	v_cmpx_ne_u16_e32 0, v3
	s_cbranch_execz .LBB283_339
; %bb.332:                              ;   in Loop: Header=BB283_11 Depth=1
	v_cmp_ne_u16_e64 s1, 0x80, v3
	v_bfrev_b32_e32 v3, 1
	v_mov_b32_e32 v4, 0
	scratch_store_b64 off, v[3:4], s32 offset:584 ; 8-byte Folded Spill
	s_and_saveexec_b32 s19, s1
	s_cbranch_execz .LBB283_338
; %bb.333:                              ;   in Loop: Header=BB283_11 Depth=1
	v_mov_b32_e32 v8, 0x7f800001
	v_dual_mov_b32 v9, 0 :: v_dual_and_b32 v4, 0x7f, v2
	s_mov_b32 s20, exec_lo
	scratch_store_b64 off, v[8:9], s32 offset:584 ; 8-byte Folded Spill
	v_cmpx_ne_u32_e32 0x7f, v4
	s_cbranch_execz .LBB283_337
; %bb.334:                              ;   in Loop: Header=BB283_11 Depth=1
	v_and_b32_e32 v110, 7, v2
	v_lshrrev_b32_e32 v3, 3, v4
	s_mov_b32 s21, exec_lo
	v_cmpx_gt_u32_e32 8, v4
; %bb.335:                              ;   in Loop: Header=BB283_11 Depth=1
	s_delay_alu instid0(VALU_DEP_3) | instskip(NEXT) | instid1(VALU_DEP_1)
	v_clz_i32_u32_e32 v3, v110
	v_min_u32_e32 v3, 32, v3
	s_delay_alu instid0(VALU_DEP_1) | instskip(SKIP_1) | instid1(VALU_DEP_2)
	v_subrev_nc_u32_e32 v4, 28, v3
	v_sub_nc_u32_e32 v3, 29, v3
	v_lshlrev_b64 v[4:5], v4, v[110:111]
	s_delay_alu instid0(VALU_DEP_1)
	v_and_b32_e32 v110, 7, v4
; %bb.336:                              ;   in Loop: Header=BB283_11 Depth=1
	s_or_b32 exec_lo, exec_lo, s21
	v_lshlrev_b32_e32 v4, 24, v2
	s_delay_alu instid0(VALU_DEP_2) | instskip(SKIP_1) | instid1(VALU_DEP_3)
	v_lshlrev_b32_e32 v5, 20, v110
	v_lshl_add_u32 v3, v3, 23, 0x3c000000
	v_and_b32_e32 v4, 0x80000000, v4
	s_delay_alu instid0(VALU_DEP_1)
	v_or3_b32 v110, v5, v4, v3
	scratch_store_b64 off, v[110:111], s32 offset:584 ; 8-byte Folded Spill
.LBB283_337:                            ;   in Loop: Header=BB283_11 Depth=1
	s_or_b32 exec_lo, exec_lo, s20
.LBB283_338:                            ;   in Loop: Header=BB283_11 Depth=1
	s_delay_alu instid0(SALU_CYCLE_1)
	s_or_b32 exec_lo, exec_lo, s19
.LBB283_339:                            ;   in Loop: Header=BB283_11 Depth=1
	s_delay_alu instid0(SALU_CYCLE_1) | instskip(SKIP_2) | instid1(VALU_DEP_1)
	s_or_b32 exec_lo, exec_lo, s8
	v_lshrrev_b16 v3, 8, v2
	s_mov_b32 s19, exec_lo
	v_cmpx_ne_u16_e32 0, v3
	s_cbranch_execz .LBB283_347
; %bb.340:                              ;   in Loop: Header=BB283_11 Depth=1
	v_dual_mov_b32 v65, s3 :: v_dual_mov_b32 v64, s2
	s_mov_b32 s20, exec_lo
	v_cmpx_ne_u16_e32 0x80, v3
	s_cbranch_execz .LBB283_346
; %bb.341:                              ;   in Loop: Header=BB283_11 Depth=1
	s_mov_b32 s8, s2
	v_and_b32_e32 v3, 0xffff, v3
	v_dual_mov_b32 v65, s9 :: v_dual_mov_b32 v64, s8
	s_mov_b32 s8, exec_lo
	s_delay_alu instid0(VALU_DEP_2) | instskip(NEXT) | instid1(VALU_DEP_1)
	v_and_b32_e32 v4, 0x7f, v3
	v_cmpx_ne_u32_e32 0x7f, v4
	s_cbranch_execz .LBB283_345
; %bb.342:                              ;   in Loop: Header=BB283_11 Depth=1
	v_and_b32_e32 v110, 7, v3
	v_lshrrev_b32_e32 v3, 3, v4
	s_mov_b32 s21, exec_lo
	v_cmpx_gt_u32_e32 8, v4
; %bb.343:                              ;   in Loop: Header=BB283_11 Depth=1
	s_delay_alu instid0(VALU_DEP_3) | instskip(NEXT) | instid1(VALU_DEP_1)
	v_clz_i32_u32_e32 v3, v110
	v_min_u32_e32 v3, 32, v3
	s_delay_alu instid0(VALU_DEP_1) | instskip(SKIP_1) | instid1(VALU_DEP_2)
	v_subrev_nc_u32_e32 v4, 28, v3
	v_sub_nc_u32_e32 v3, 29, v3
	v_lshlrev_b64 v[4:5], v4, v[110:111]
	s_delay_alu instid0(VALU_DEP_1)
	v_and_b32_e32 v110, 7, v4
; %bb.344:                              ;   in Loop: Header=BB283_11 Depth=1
	s_or_b32 exec_lo, exec_lo, s21
	v_lshlrev_b32_e32 v4, 16, v2
	s_delay_alu instid0(VALU_DEP_2) | instskip(SKIP_1) | instid1(VALU_DEP_3)
	v_dual_mov_b32 v64, v111 :: v_dual_lshlrev_b32 v5, 20, v110
	v_lshl_add_u32 v3, v3, 23, 0x3c000000
	v_and_b32_e32 v4, 0x80000000, v4
	s_delay_alu instid0(VALU_DEP_1)
	v_or3_b32 v65, v5, v4, v3
.LBB283_345:                            ;   in Loop: Header=BB283_11 Depth=1
	s_or_b32 exec_lo, exec_lo, s8
.LBB283_346:                            ;   in Loop: Header=BB283_11 Depth=1
	s_delay_alu instid0(SALU_CYCLE_1)
	s_or_b32 exec_lo, exec_lo, s20
.LBB283_347:                            ;   in Loop: Header=BB283_11 Depth=1
	s_delay_alu instid0(SALU_CYCLE_1) | instskip(SKIP_4) | instid1(VALU_DEP_3)
	s_or_b32 exec_lo, exec_lo, s19
	v_lshrrev_b32_e32 v3, 16, v2
	v_mov_b32_e32 v68, 0
	v_mov_b32_e32 v69, 0
	s_mov_b32 s8, exec_lo
	v_and_b32_e32 v4, 0xff, v3
	scratch_store_b64 off, v[68:69], s32 offset:592 ; 8-byte Folded Spill
	v_cmpx_ne_u16_e32 0, v4
	s_cbranch_execz .LBB283_355
; %bb.348:                              ;   in Loop: Header=BB283_11 Depth=1
	v_cmp_ne_u16_e64 s1, 0x80, v4
	v_bfrev_b32_e32 v4, 1
	v_mov_b32_e32 v5, 0
	scratch_store_b64 off, v[4:5], s32 offset:592 ; 8-byte Folded Spill
	s_and_saveexec_b32 s19, s1
	s_cbranch_execz .LBB283_354
; %bb.349:                              ;   in Loop: Header=BB283_11 Depth=1
	v_mov_b32_e32 v8, 0x7f800001
	v_bfe_u32 v5, v2, 16, 7
	v_mov_b32_e32 v9, 0
	s_mov_b32 s20, exec_lo
	scratch_store_b64 off, v[8:9], s32 offset:592 ; 8-byte Folded Spill
	v_cmpx_ne_u32_e32 0x7f, v5
	s_cbranch_execz .LBB283_353
; %bb.350:                              ;   in Loop: Header=BB283_11 Depth=1
	v_and_b32_e32 v110, 7, v3
	v_lshrrev_b32_e32 v4, 3, v5
	s_mov_b32 s21, exec_lo
	v_cmpx_gt_u32_e32 8, v5
; %bb.351:                              ;   in Loop: Header=BB283_11 Depth=1
	s_delay_alu instid0(VALU_DEP_3) | instskip(NEXT) | instid1(VALU_DEP_1)
	v_clz_i32_u32_e32 v4, v110
	v_min_u32_e32 v4, 32, v4
	s_delay_alu instid0(VALU_DEP_1) | instskip(SKIP_1) | instid1(VALU_DEP_2)
	v_subrev_nc_u32_e32 v5, 28, v4
	v_sub_nc_u32_e32 v4, 29, v4
	v_lshlrev_b64 v[8:9], v5, v[110:111]
	s_delay_alu instid0(VALU_DEP_1)
	v_and_b32_e32 v110, 7, v8
; %bb.352:                              ;   in Loop: Header=BB283_11 Depth=1
	s_or_b32 exec_lo, exec_lo, s21
	v_lshlrev_b32_e32 v3, 24, v3
	s_delay_alu instid0(VALU_DEP_2) | instskip(SKIP_1) | instid1(VALU_DEP_3)
	v_lshlrev_b32_e32 v5, 20, v110
	v_lshl_add_u32 v4, v4, 23, 0x3c000000
	v_and_b32_e32 v3, 0x80000000, v3
	s_delay_alu instid0(VALU_DEP_1)
	v_or3_b32 v110, v5, v3, v4
	scratch_store_b64 off, v[110:111], s32 offset:592 ; 8-byte Folded Spill
.LBB283_353:                            ;   in Loop: Header=BB283_11 Depth=1
	s_or_b32 exec_lo, exec_lo, s20
.LBB283_354:                            ;   in Loop: Header=BB283_11 Depth=1
	s_delay_alu instid0(SALU_CYCLE_1)
	s_or_b32 exec_lo, exec_lo, s19
.LBB283_355:                            ;   in Loop: Header=BB283_11 Depth=1
	s_delay_alu instid0(SALU_CYCLE_1) | instskip(NEXT) | instid1(SALU_CYCLE_1)
	s_or_b32 exec_lo, exec_lo, s8
	s_mov_b32 s19, exec_lo
	v_cmpx_lt_u32_e32 0xffffff, v2
	s_cbranch_execz .LBB283_363
; %bb.356:                              ;   in Loop: Header=BB283_11 Depth=1
	v_lshrrev_b32_e32 v3, 24, v2
	v_dual_mov_b32 v69, s3 :: v_dual_mov_b32 v68, s2
	s_mov_b32 s20, exec_lo
	s_delay_alu instid0(VALU_DEP_2)
	v_cmpx_ne_u32_e32 0x80, v3
	s_cbranch_execz .LBB283_362
; %bb.357:                              ;   in Loop: Header=BB283_11 Depth=1
	s_mov_b32 s8, s2
	v_bfe_u32 v4, v2, 24, 7
	v_dual_mov_b32 v69, s9 :: v_dual_mov_b32 v68, s8
	s_mov_b32 s8, exec_lo
	s_delay_alu instid0(VALU_DEP_2)
	v_cmpx_ne_u32_e32 0x7f, v4
	s_cbranch_execz .LBB283_361
; %bb.358:                              ;   in Loop: Header=BB283_11 Depth=1
	v_and_b32_e32 v110, 7, v3
	v_lshrrev_b32_e32 v2, 3, v4
	s_mov_b32 s21, exec_lo
	v_cmpx_gt_u32_e32 8, v4
; %bb.359:                              ;   in Loop: Header=BB283_11 Depth=1
	s_delay_alu instid0(VALU_DEP_3) | instskip(NEXT) | instid1(VALU_DEP_1)
	v_clz_i32_u32_e32 v2, v110
	v_min_u32_e32 v2, 32, v2
	s_delay_alu instid0(VALU_DEP_1) | instskip(SKIP_1) | instid1(VALU_DEP_2)
	v_subrev_nc_u32_e32 v4, 28, v2
	v_sub_nc_u32_e32 v2, 29, v2
	v_lshlrev_b64 v[4:5], v4, v[110:111]
	s_delay_alu instid0(VALU_DEP_1)
	v_and_b32_e32 v110, 7, v4
; %bb.360:                              ;   in Loop: Header=BB283_11 Depth=1
	s_or_b32 exec_lo, exec_lo, s21
	v_dual_mov_b32 v68, v111 :: v_dual_lshlrev_b32 v3, 24, v3
	s_delay_alu instid0(VALU_DEP_2) | instskip(SKIP_1) | instid1(VALU_DEP_3)
	v_lshlrev_b32_e32 v4, 20, v110
	v_lshl_add_u32 v2, v2, 23, 0x3c000000
	v_and_b32_e32 v3, 0x80000000, v3
	s_delay_alu instid0(VALU_DEP_1)
	v_or3_b32 v69, v4, v3, v2
.LBB283_361:                            ;   in Loop: Header=BB283_11 Depth=1
	s_or_b32 exec_lo, exec_lo, s8
.LBB283_362:                            ;   in Loop: Header=BB283_11 Depth=1
	s_delay_alu instid0(SALU_CYCLE_1)
	s_or_b32 exec_lo, exec_lo, s20
.LBB283_363:                            ;   in Loop: Header=BB283_11 Depth=1
	s_delay_alu instid0(SALU_CYCLE_1)
	s_or_b32 exec_lo, exec_lo, s19
	flat_load_b32 v2, v[172:173] offset:1036
	v_mov_b32_e32 v80, 0
	v_mov_b32_e32 v81, 0
	s_mov_b32 s8, exec_lo
	scratch_store_b64 off, v[80:81], s32 offset:600 ; 8-byte Folded Spill
	s_waitcnt vmcnt(0) lgkmcnt(0)
	v_and_b32_e32 v3, 0xff, v2
	s_delay_alu instid0(VALU_DEP_1)
	v_cmpx_ne_u16_e32 0, v3
	s_cbranch_execz .LBB283_371
; %bb.364:                              ;   in Loop: Header=BB283_11 Depth=1
	v_cmp_ne_u16_e64 s1, 0x80, v3
	v_bfrev_b32_e32 v3, 1
	v_mov_b32_e32 v4, 0
	scratch_store_b64 off, v[3:4], s32 offset:600 ; 8-byte Folded Spill
	s_and_saveexec_b32 s19, s1
	s_cbranch_execz .LBB283_370
; %bb.365:                              ;   in Loop: Header=BB283_11 Depth=1
	v_mov_b32_e32 v8, 0x7f800001
	v_dual_mov_b32 v9, 0 :: v_dual_and_b32 v4, 0x7f, v2
	s_mov_b32 s20, exec_lo
	scratch_store_b64 off, v[8:9], s32 offset:600 ; 8-byte Folded Spill
	v_cmpx_ne_u32_e32 0x7f, v4
	s_cbranch_execz .LBB283_369
; %bb.366:                              ;   in Loop: Header=BB283_11 Depth=1
	v_and_b32_e32 v110, 7, v2
	v_lshrrev_b32_e32 v3, 3, v4
	s_mov_b32 s21, exec_lo
	v_cmpx_gt_u32_e32 8, v4
; %bb.367:                              ;   in Loop: Header=BB283_11 Depth=1
	s_delay_alu instid0(VALU_DEP_3) | instskip(NEXT) | instid1(VALU_DEP_1)
	v_clz_i32_u32_e32 v3, v110
	v_min_u32_e32 v3, 32, v3
	s_delay_alu instid0(VALU_DEP_1) | instskip(SKIP_1) | instid1(VALU_DEP_2)
	v_subrev_nc_u32_e32 v4, 28, v3
	v_sub_nc_u32_e32 v3, 29, v3
	v_lshlrev_b64 v[4:5], v4, v[110:111]
	s_delay_alu instid0(VALU_DEP_1)
	v_and_b32_e32 v110, 7, v4
; %bb.368:                              ;   in Loop: Header=BB283_11 Depth=1
	s_or_b32 exec_lo, exec_lo, s21
	v_lshlrev_b32_e32 v4, 24, v2
	s_delay_alu instid0(VALU_DEP_2) | instskip(SKIP_1) | instid1(VALU_DEP_3)
	v_lshlrev_b32_e32 v5, 20, v110
	v_lshl_add_u32 v3, v3, 23, 0x3c000000
	v_and_b32_e32 v4, 0x80000000, v4
	s_delay_alu instid0(VALU_DEP_1)
	v_or3_b32 v110, v5, v4, v3
	scratch_store_b64 off, v[110:111], s32 offset:600 ; 8-byte Folded Spill
.LBB283_369:                            ;   in Loop: Header=BB283_11 Depth=1
	s_or_b32 exec_lo, exec_lo, s20
.LBB283_370:                            ;   in Loop: Header=BB283_11 Depth=1
	s_delay_alu instid0(SALU_CYCLE_1)
	s_or_b32 exec_lo, exec_lo, s19
.LBB283_371:                            ;   in Loop: Header=BB283_11 Depth=1
	s_delay_alu instid0(SALU_CYCLE_1) | instskip(SKIP_2) | instid1(VALU_DEP_1)
	s_or_b32 exec_lo, exec_lo, s8
	v_lshrrev_b16 v3, 8, v2
	s_mov_b32 s19, exec_lo
	v_cmpx_ne_u16_e32 0, v3
	s_cbranch_execz .LBB283_379
; %bb.372:                              ;   in Loop: Header=BB283_11 Depth=1
	v_dual_mov_b32 v81, s3 :: v_dual_mov_b32 v80, s2
	s_mov_b32 s20, exec_lo
	v_cmpx_ne_u16_e32 0x80, v3
	s_cbranch_execz .LBB283_378
; %bb.373:                              ;   in Loop: Header=BB283_11 Depth=1
	s_mov_b32 s8, s2
	v_and_b32_e32 v3, 0xffff, v3
	v_dual_mov_b32 v81, s9 :: v_dual_mov_b32 v80, s8
	s_mov_b32 s8, exec_lo
	s_delay_alu instid0(VALU_DEP_2) | instskip(NEXT) | instid1(VALU_DEP_1)
	v_and_b32_e32 v4, 0x7f, v3
	v_cmpx_ne_u32_e32 0x7f, v4
	s_cbranch_execz .LBB283_377
; %bb.374:                              ;   in Loop: Header=BB283_11 Depth=1
	v_and_b32_e32 v110, 7, v3
	v_lshrrev_b32_e32 v3, 3, v4
	s_mov_b32 s21, exec_lo
	v_cmpx_gt_u32_e32 8, v4
; %bb.375:                              ;   in Loop: Header=BB283_11 Depth=1
	s_delay_alu instid0(VALU_DEP_3) | instskip(NEXT) | instid1(VALU_DEP_1)
	v_clz_i32_u32_e32 v3, v110
	v_min_u32_e32 v3, 32, v3
	s_delay_alu instid0(VALU_DEP_1) | instskip(SKIP_1) | instid1(VALU_DEP_2)
	v_subrev_nc_u32_e32 v4, 28, v3
	v_sub_nc_u32_e32 v3, 29, v3
	v_lshlrev_b64 v[4:5], v4, v[110:111]
	s_delay_alu instid0(VALU_DEP_1)
	v_and_b32_e32 v110, 7, v4
; %bb.376:                              ;   in Loop: Header=BB283_11 Depth=1
	s_or_b32 exec_lo, exec_lo, s21
	v_lshlrev_b32_e32 v4, 16, v2
	s_delay_alu instid0(VALU_DEP_2) | instskip(SKIP_1) | instid1(VALU_DEP_3)
	v_dual_mov_b32 v80, v111 :: v_dual_lshlrev_b32 v5, 20, v110
	v_lshl_add_u32 v3, v3, 23, 0x3c000000
	v_and_b32_e32 v4, 0x80000000, v4
	s_delay_alu instid0(VALU_DEP_1)
	v_or3_b32 v81, v5, v4, v3
.LBB283_377:                            ;   in Loop: Header=BB283_11 Depth=1
	s_or_b32 exec_lo, exec_lo, s8
.LBB283_378:                            ;   in Loop: Header=BB283_11 Depth=1
	s_delay_alu instid0(SALU_CYCLE_1)
	s_or_b32 exec_lo, exec_lo, s20
.LBB283_379:                            ;   in Loop: Header=BB283_11 Depth=1
	s_delay_alu instid0(SALU_CYCLE_1) | instskip(SKIP_4) | instid1(VALU_DEP_3)
	s_or_b32 exec_lo, exec_lo, s19
	v_lshrrev_b32_e32 v3, 16, v2
	v_mov_b32_e32 v84, 0
	v_mov_b32_e32 v85, 0
	s_mov_b32 s8, exec_lo
	v_and_b32_e32 v4, 0xff, v3
	scratch_store_b64 off, v[84:85], s32 offset:608 ; 8-byte Folded Spill
	v_cmpx_ne_u16_e32 0, v4
	s_cbranch_execz .LBB283_387
; %bb.380:                              ;   in Loop: Header=BB283_11 Depth=1
	v_cmp_ne_u16_e64 s1, 0x80, v4
	v_bfrev_b32_e32 v4, 1
	v_mov_b32_e32 v5, 0
	scratch_store_b64 off, v[4:5], s32 offset:608 ; 8-byte Folded Spill
	s_and_saveexec_b32 s19, s1
	s_cbranch_execz .LBB283_386
; %bb.381:                              ;   in Loop: Header=BB283_11 Depth=1
	v_mov_b32_e32 v8, 0x7f800001
	v_bfe_u32 v5, v2, 16, 7
	v_mov_b32_e32 v9, 0
	s_mov_b32 s20, exec_lo
	scratch_store_b64 off, v[8:9], s32 offset:608 ; 8-byte Folded Spill
	v_cmpx_ne_u32_e32 0x7f, v5
	s_cbranch_execz .LBB283_385
; %bb.382:                              ;   in Loop: Header=BB283_11 Depth=1
	v_and_b32_e32 v110, 7, v3
	v_lshrrev_b32_e32 v4, 3, v5
	s_mov_b32 s21, exec_lo
	v_cmpx_gt_u32_e32 8, v5
; %bb.383:                              ;   in Loop: Header=BB283_11 Depth=1
	s_delay_alu instid0(VALU_DEP_3) | instskip(NEXT) | instid1(VALU_DEP_1)
	v_clz_i32_u32_e32 v4, v110
	v_min_u32_e32 v4, 32, v4
	s_delay_alu instid0(VALU_DEP_1) | instskip(SKIP_1) | instid1(VALU_DEP_2)
	v_subrev_nc_u32_e32 v5, 28, v4
	v_sub_nc_u32_e32 v4, 29, v4
	v_lshlrev_b64 v[8:9], v5, v[110:111]
	s_delay_alu instid0(VALU_DEP_1)
	v_and_b32_e32 v110, 7, v8
; %bb.384:                              ;   in Loop: Header=BB283_11 Depth=1
	s_or_b32 exec_lo, exec_lo, s21
	v_lshlrev_b32_e32 v3, 24, v3
	s_delay_alu instid0(VALU_DEP_2) | instskip(SKIP_1) | instid1(VALU_DEP_3)
	v_lshlrev_b32_e32 v5, 20, v110
	v_lshl_add_u32 v4, v4, 23, 0x3c000000
	v_and_b32_e32 v3, 0x80000000, v3
	s_delay_alu instid0(VALU_DEP_1)
	v_or3_b32 v110, v5, v3, v4
	scratch_store_b64 off, v[110:111], s32 offset:608 ; 8-byte Folded Spill
.LBB283_385:                            ;   in Loop: Header=BB283_11 Depth=1
	s_or_b32 exec_lo, exec_lo, s20
.LBB283_386:                            ;   in Loop: Header=BB283_11 Depth=1
	s_delay_alu instid0(SALU_CYCLE_1)
	s_or_b32 exec_lo, exec_lo, s19
.LBB283_387:                            ;   in Loop: Header=BB283_11 Depth=1
	s_delay_alu instid0(SALU_CYCLE_1) | instskip(NEXT) | instid1(SALU_CYCLE_1)
	s_or_b32 exec_lo, exec_lo, s8
	s_mov_b32 s19, exec_lo
	v_cmpx_lt_u32_e32 0xffffff, v2
	s_cbranch_execz .LBB283_395
; %bb.388:                              ;   in Loop: Header=BB283_11 Depth=1
	v_lshrrev_b32_e32 v3, 24, v2
	v_dual_mov_b32 v85, s3 :: v_dual_mov_b32 v84, s2
	s_mov_b32 s20, exec_lo
	s_delay_alu instid0(VALU_DEP_2)
	v_cmpx_ne_u32_e32 0x80, v3
	s_cbranch_execz .LBB283_394
; %bb.389:                              ;   in Loop: Header=BB283_11 Depth=1
	s_mov_b32 s8, s2
	v_bfe_u32 v4, v2, 24, 7
	v_dual_mov_b32 v85, s9 :: v_dual_mov_b32 v84, s8
	s_mov_b32 s8, exec_lo
	s_delay_alu instid0(VALU_DEP_2)
	v_cmpx_ne_u32_e32 0x7f, v4
	s_cbranch_execz .LBB283_393
; %bb.390:                              ;   in Loop: Header=BB283_11 Depth=1
	v_and_b32_e32 v110, 7, v3
	v_lshrrev_b32_e32 v2, 3, v4
	s_mov_b32 s21, exec_lo
	v_cmpx_gt_u32_e32 8, v4
; %bb.391:                              ;   in Loop: Header=BB283_11 Depth=1
	s_delay_alu instid0(VALU_DEP_3) | instskip(NEXT) | instid1(VALU_DEP_1)
	v_clz_i32_u32_e32 v2, v110
	v_min_u32_e32 v2, 32, v2
	s_delay_alu instid0(VALU_DEP_1) | instskip(SKIP_1) | instid1(VALU_DEP_2)
	v_subrev_nc_u32_e32 v4, 28, v2
	v_sub_nc_u32_e32 v2, 29, v2
	v_lshlrev_b64 v[4:5], v4, v[110:111]
	s_delay_alu instid0(VALU_DEP_1)
	v_and_b32_e32 v110, 7, v4
; %bb.392:                              ;   in Loop: Header=BB283_11 Depth=1
	s_or_b32 exec_lo, exec_lo, s21
	v_dual_mov_b32 v84, v111 :: v_dual_lshlrev_b32 v3, 24, v3
	s_delay_alu instid0(VALU_DEP_2) | instskip(SKIP_1) | instid1(VALU_DEP_3)
	v_lshlrev_b32_e32 v4, 20, v110
	v_lshl_add_u32 v2, v2, 23, 0x3c000000
	v_and_b32_e32 v3, 0x80000000, v3
	s_delay_alu instid0(VALU_DEP_1)
	v_or3_b32 v85, v4, v3, v2
.LBB283_393:                            ;   in Loop: Header=BB283_11 Depth=1
	s_or_b32 exec_lo, exec_lo, s8
.LBB283_394:                            ;   in Loop: Header=BB283_11 Depth=1
	s_delay_alu instid0(SALU_CYCLE_1)
	s_or_b32 exec_lo, exec_lo, s20
.LBB283_395:                            ;   in Loop: Header=BB283_11 Depth=1
	s_delay_alu instid0(SALU_CYCLE_1)
	s_or_b32 exec_lo, exec_lo, s19
	flat_load_b32 v2, v[172:173] offset:1536
	v_mov_b32_e32 v96, 0
	v_mov_b32_e32 v97, 0
	s_mov_b32 s8, exec_lo
	scratch_store_b64 off, v[96:97], s32 offset:616 ; 8-byte Folded Spill
	s_waitcnt vmcnt(0) lgkmcnt(0)
	v_and_b32_e32 v3, 0xff, v2
	s_delay_alu instid0(VALU_DEP_1)
	v_cmpx_ne_u16_e32 0, v3
	s_cbranch_execz .LBB283_403
; %bb.396:                              ;   in Loop: Header=BB283_11 Depth=1
	v_cmp_ne_u16_e64 s1, 0x80, v3
	v_bfrev_b32_e32 v3, 1
	v_mov_b32_e32 v4, 0
	scratch_store_b64 off, v[3:4], s32 offset:616 ; 8-byte Folded Spill
	s_and_saveexec_b32 s19, s1
	s_cbranch_execz .LBB283_402
; %bb.397:                              ;   in Loop: Header=BB283_11 Depth=1
	v_mov_b32_e32 v8, 0x7f800001
	v_dual_mov_b32 v9, 0 :: v_dual_and_b32 v4, 0x7f, v2
	s_mov_b32 s20, exec_lo
	scratch_store_b64 off, v[8:9], s32 offset:616 ; 8-byte Folded Spill
	v_cmpx_ne_u32_e32 0x7f, v4
	s_cbranch_execz .LBB283_401
; %bb.398:                              ;   in Loop: Header=BB283_11 Depth=1
	v_and_b32_e32 v110, 7, v2
	v_lshrrev_b32_e32 v3, 3, v4
	s_mov_b32 s21, exec_lo
	v_cmpx_gt_u32_e32 8, v4
; %bb.399:                              ;   in Loop: Header=BB283_11 Depth=1
	s_delay_alu instid0(VALU_DEP_3) | instskip(NEXT) | instid1(VALU_DEP_1)
	v_clz_i32_u32_e32 v3, v110
	v_min_u32_e32 v3, 32, v3
	s_delay_alu instid0(VALU_DEP_1) | instskip(SKIP_1) | instid1(VALU_DEP_2)
	v_subrev_nc_u32_e32 v4, 28, v3
	v_sub_nc_u32_e32 v3, 29, v3
	v_lshlrev_b64 v[4:5], v4, v[110:111]
	s_delay_alu instid0(VALU_DEP_1)
	v_and_b32_e32 v110, 7, v4
; %bb.400:                              ;   in Loop: Header=BB283_11 Depth=1
	s_or_b32 exec_lo, exec_lo, s21
	v_lshlrev_b32_e32 v4, 24, v2
	s_delay_alu instid0(VALU_DEP_2) | instskip(SKIP_1) | instid1(VALU_DEP_3)
	v_lshlrev_b32_e32 v5, 20, v110
	v_lshl_add_u32 v3, v3, 23, 0x3c000000
	v_and_b32_e32 v4, 0x80000000, v4
	s_delay_alu instid0(VALU_DEP_1)
	v_or3_b32 v110, v5, v4, v3
	scratch_store_b64 off, v[110:111], s32 offset:616 ; 8-byte Folded Spill
.LBB283_401:                            ;   in Loop: Header=BB283_11 Depth=1
	s_or_b32 exec_lo, exec_lo, s20
.LBB283_402:                            ;   in Loop: Header=BB283_11 Depth=1
	s_delay_alu instid0(SALU_CYCLE_1)
	s_or_b32 exec_lo, exec_lo, s19
.LBB283_403:                            ;   in Loop: Header=BB283_11 Depth=1
	s_delay_alu instid0(SALU_CYCLE_1) | instskip(SKIP_2) | instid1(VALU_DEP_1)
	s_or_b32 exec_lo, exec_lo, s8
	v_lshrrev_b16 v3, 8, v2
	s_mov_b32 s19, exec_lo
	v_cmpx_ne_u16_e32 0, v3
	s_cbranch_execz .LBB283_411
; %bb.404:                              ;   in Loop: Header=BB283_11 Depth=1
	v_dual_mov_b32 v97, s3 :: v_dual_mov_b32 v96, s2
	s_mov_b32 s20, exec_lo
	v_cmpx_ne_u16_e32 0x80, v3
	s_cbranch_execz .LBB283_410
; %bb.405:                              ;   in Loop: Header=BB283_11 Depth=1
	s_mov_b32 s8, s2
	v_and_b32_e32 v3, 0xffff, v3
	v_dual_mov_b32 v97, s9 :: v_dual_mov_b32 v96, s8
	s_mov_b32 s8, exec_lo
	s_delay_alu instid0(VALU_DEP_2) | instskip(NEXT) | instid1(VALU_DEP_1)
	v_and_b32_e32 v4, 0x7f, v3
	v_cmpx_ne_u32_e32 0x7f, v4
	s_cbranch_execz .LBB283_409
; %bb.406:                              ;   in Loop: Header=BB283_11 Depth=1
	v_and_b32_e32 v110, 7, v3
	v_lshrrev_b32_e32 v3, 3, v4
	s_mov_b32 s21, exec_lo
	v_cmpx_gt_u32_e32 8, v4
; %bb.407:                              ;   in Loop: Header=BB283_11 Depth=1
	s_delay_alu instid0(VALU_DEP_3) | instskip(NEXT) | instid1(VALU_DEP_1)
	v_clz_i32_u32_e32 v3, v110
	v_min_u32_e32 v3, 32, v3
	s_delay_alu instid0(VALU_DEP_1) | instskip(SKIP_1) | instid1(VALU_DEP_2)
	v_subrev_nc_u32_e32 v4, 28, v3
	v_sub_nc_u32_e32 v3, 29, v3
	v_lshlrev_b64 v[4:5], v4, v[110:111]
	s_delay_alu instid0(VALU_DEP_1)
	v_and_b32_e32 v110, 7, v4
; %bb.408:                              ;   in Loop: Header=BB283_11 Depth=1
	s_or_b32 exec_lo, exec_lo, s21
	v_lshlrev_b32_e32 v4, 16, v2
	s_delay_alu instid0(VALU_DEP_2) | instskip(SKIP_1) | instid1(VALU_DEP_3)
	v_dual_mov_b32 v96, v111 :: v_dual_lshlrev_b32 v5, 20, v110
	v_lshl_add_u32 v3, v3, 23, 0x3c000000
	v_and_b32_e32 v4, 0x80000000, v4
	s_delay_alu instid0(VALU_DEP_1)
	v_or3_b32 v97, v5, v4, v3
.LBB283_409:                            ;   in Loop: Header=BB283_11 Depth=1
	s_or_b32 exec_lo, exec_lo, s8
.LBB283_410:                            ;   in Loop: Header=BB283_11 Depth=1
	s_delay_alu instid0(SALU_CYCLE_1)
	s_or_b32 exec_lo, exec_lo, s20
.LBB283_411:                            ;   in Loop: Header=BB283_11 Depth=1
	s_delay_alu instid0(SALU_CYCLE_1) | instskip(SKIP_4) | instid1(VALU_DEP_3)
	s_or_b32 exec_lo, exec_lo, s19
	v_lshrrev_b32_e32 v3, 16, v2
	v_mov_b32_e32 v100, 0
	v_mov_b32_e32 v101, 0
	s_mov_b32 s8, exec_lo
	v_and_b32_e32 v4, 0xff, v3
	scratch_store_b64 off, v[100:101], s32 offset:624 ; 8-byte Folded Spill
	v_cmpx_ne_u16_e32 0, v4
	s_cbranch_execz .LBB283_419
; %bb.412:                              ;   in Loop: Header=BB283_11 Depth=1
	v_cmp_ne_u16_e64 s1, 0x80, v4
	v_bfrev_b32_e32 v4, 1
	v_mov_b32_e32 v5, 0
	scratch_store_b64 off, v[4:5], s32 offset:624 ; 8-byte Folded Spill
	s_and_saveexec_b32 s19, s1
	s_cbranch_execz .LBB283_418
; %bb.413:                              ;   in Loop: Header=BB283_11 Depth=1
	v_mov_b32_e32 v8, 0x7f800001
	v_bfe_u32 v5, v2, 16, 7
	v_mov_b32_e32 v9, 0
	s_mov_b32 s20, exec_lo
	scratch_store_b64 off, v[8:9], s32 offset:624 ; 8-byte Folded Spill
	v_cmpx_ne_u32_e32 0x7f, v5
	s_cbranch_execz .LBB283_417
; %bb.414:                              ;   in Loop: Header=BB283_11 Depth=1
	v_and_b32_e32 v110, 7, v3
	v_lshrrev_b32_e32 v4, 3, v5
	s_mov_b32 s21, exec_lo
	v_cmpx_gt_u32_e32 8, v5
; %bb.415:                              ;   in Loop: Header=BB283_11 Depth=1
	s_delay_alu instid0(VALU_DEP_3) | instskip(NEXT) | instid1(VALU_DEP_1)
	v_clz_i32_u32_e32 v4, v110
	v_min_u32_e32 v4, 32, v4
	s_delay_alu instid0(VALU_DEP_1) | instskip(SKIP_1) | instid1(VALU_DEP_2)
	v_subrev_nc_u32_e32 v5, 28, v4
	v_sub_nc_u32_e32 v4, 29, v4
	v_lshlrev_b64 v[8:9], v5, v[110:111]
	s_delay_alu instid0(VALU_DEP_1)
	v_and_b32_e32 v110, 7, v8
; %bb.416:                              ;   in Loop: Header=BB283_11 Depth=1
	s_or_b32 exec_lo, exec_lo, s21
	v_lshlrev_b32_e32 v3, 24, v3
	s_delay_alu instid0(VALU_DEP_2) | instskip(SKIP_1) | instid1(VALU_DEP_3)
	v_lshlrev_b32_e32 v5, 20, v110
	v_lshl_add_u32 v4, v4, 23, 0x3c000000
	v_and_b32_e32 v3, 0x80000000, v3
	s_delay_alu instid0(VALU_DEP_1)
	v_or3_b32 v110, v5, v3, v4
	scratch_store_b64 off, v[110:111], s32 offset:624 ; 8-byte Folded Spill
.LBB283_417:                            ;   in Loop: Header=BB283_11 Depth=1
	s_or_b32 exec_lo, exec_lo, s20
.LBB283_418:                            ;   in Loop: Header=BB283_11 Depth=1
	s_delay_alu instid0(SALU_CYCLE_1)
	s_or_b32 exec_lo, exec_lo, s19
.LBB283_419:                            ;   in Loop: Header=BB283_11 Depth=1
	s_delay_alu instid0(SALU_CYCLE_1) | instskip(NEXT) | instid1(SALU_CYCLE_1)
	s_or_b32 exec_lo, exec_lo, s8
	s_mov_b32 s19, exec_lo
	v_cmpx_lt_u32_e32 0xffffff, v2
	s_cbranch_execz .LBB283_427
; %bb.420:                              ;   in Loop: Header=BB283_11 Depth=1
	v_lshrrev_b32_e32 v3, 24, v2
	v_dual_mov_b32 v101, s3 :: v_dual_mov_b32 v100, s2
	s_mov_b32 s20, exec_lo
	s_delay_alu instid0(VALU_DEP_2)
	v_cmpx_ne_u32_e32 0x80, v3
	s_cbranch_execz .LBB283_426
; %bb.421:                              ;   in Loop: Header=BB283_11 Depth=1
	s_mov_b32 s8, s2
	v_bfe_u32 v4, v2, 24, 7
	v_dual_mov_b32 v101, s9 :: v_dual_mov_b32 v100, s8
	s_mov_b32 s8, exec_lo
	s_delay_alu instid0(VALU_DEP_2)
	v_cmpx_ne_u32_e32 0x7f, v4
	s_cbranch_execz .LBB283_425
; %bb.422:                              ;   in Loop: Header=BB283_11 Depth=1
	v_and_b32_e32 v110, 7, v3
	v_lshrrev_b32_e32 v2, 3, v4
	s_mov_b32 s21, exec_lo
	v_cmpx_gt_u32_e32 8, v4
; %bb.423:                              ;   in Loop: Header=BB283_11 Depth=1
	s_delay_alu instid0(VALU_DEP_3) | instskip(NEXT) | instid1(VALU_DEP_1)
	v_clz_i32_u32_e32 v2, v110
	v_min_u32_e32 v2, 32, v2
	s_delay_alu instid0(VALU_DEP_1) | instskip(SKIP_1) | instid1(VALU_DEP_2)
	v_subrev_nc_u32_e32 v4, 28, v2
	v_sub_nc_u32_e32 v2, 29, v2
	v_lshlrev_b64 v[4:5], v4, v[110:111]
	s_delay_alu instid0(VALU_DEP_1)
	v_and_b32_e32 v110, 7, v4
; %bb.424:                              ;   in Loop: Header=BB283_11 Depth=1
	s_or_b32 exec_lo, exec_lo, s21
	v_dual_mov_b32 v100, v111 :: v_dual_lshlrev_b32 v3, 24, v3
	s_delay_alu instid0(VALU_DEP_2) | instskip(SKIP_1) | instid1(VALU_DEP_3)
	v_lshlrev_b32_e32 v4, 20, v110
	v_lshl_add_u32 v2, v2, 23, 0x3c000000
	v_and_b32_e32 v3, 0x80000000, v3
	s_delay_alu instid0(VALU_DEP_1)
	v_or3_b32 v101, v4, v3, v2
.LBB283_425:                            ;   in Loop: Header=BB283_11 Depth=1
	s_or_b32 exec_lo, exec_lo, s8
.LBB283_426:                            ;   in Loop: Header=BB283_11 Depth=1
	s_delay_alu instid0(SALU_CYCLE_1)
	s_or_b32 exec_lo, exec_lo, s20
.LBB283_427:                            ;   in Loop: Header=BB283_11 Depth=1
	s_delay_alu instid0(SALU_CYCLE_1) | instskip(SKIP_4) | instid1(VALU_DEP_1)
	s_or_b32 exec_lo, exec_lo, s19
	flat_load_b32 v2, v[172:173] offset:1540
	v_mov_b32_e32 v112, 0
	v_mov_b32_e32 v113, 0
	s_mov_b32 s8, exec_lo
	v_dual_mov_b32 v115, v113 :: v_dual_mov_b32 v114, v112
	s_waitcnt vmcnt(0) lgkmcnt(0)
	v_and_b32_e32 v3, 0xff, v2
	s_delay_alu instid0(VALU_DEP_1)
	v_cmpx_ne_u16_e32 0, v3
	s_cbranch_execz .LBB283_435
; %bb.428:                              ;   in Loop: Header=BB283_11 Depth=1
	v_bfrev_b32_e32 v114, 1
	v_mov_b32_e32 v115, 0
	s_mov_b32 s19, exec_lo
	v_cmpx_ne_u16_e32 0x80, v3
	s_cbranch_execz .LBB283_434
; %bb.429:                              ;   in Loop: Header=BB283_11 Depth=1
	v_mov_b32_e32 v114, 0x7f800001
	v_dual_mov_b32 v115, 0 :: v_dual_and_b32 v4, 0x7f, v2
	s_mov_b32 s20, exec_lo
	s_delay_alu instid0(VALU_DEP_1)
	v_cmpx_ne_u32_e32 0x7f, v4
	s_cbranch_execz .LBB283_433
; %bb.430:                              ;   in Loop: Header=BB283_11 Depth=1
	v_and_b32_e32 v110, 7, v2
	v_lshrrev_b32_e32 v3, 3, v4
	s_mov_b32 s21, exec_lo
	v_cmpx_gt_u32_e32 8, v4
; %bb.431:                              ;   in Loop: Header=BB283_11 Depth=1
	s_delay_alu instid0(VALU_DEP_3) | instskip(NEXT) | instid1(VALU_DEP_1)
	v_clz_i32_u32_e32 v3, v110
	v_min_u32_e32 v3, 32, v3
	s_delay_alu instid0(VALU_DEP_1) | instskip(SKIP_1) | instid1(VALU_DEP_2)
	v_subrev_nc_u32_e32 v4, 28, v3
	v_sub_nc_u32_e32 v3, 29, v3
	v_lshlrev_b64 v[4:5], v4, v[110:111]
	s_delay_alu instid0(VALU_DEP_1)
	v_and_b32_e32 v110, 7, v4
; %bb.432:                              ;   in Loop: Header=BB283_11 Depth=1
	s_or_b32 exec_lo, exec_lo, s21
	v_lshlrev_b32_e32 v4, 24, v2
	s_delay_alu instid0(VALU_DEP_2) | instskip(SKIP_1) | instid1(VALU_DEP_3)
	v_lshlrev_b32_e32 v5, 20, v110
	v_lshl_add_u32 v3, v3, 23, 0x3c000000
	v_and_b32_e32 v4, 0x80000000, v4
	s_delay_alu instid0(VALU_DEP_1) | instskip(NEXT) | instid1(VALU_DEP_1)
	v_or3_b32 v110, v5, v4, v3
	v_dual_mov_b32 v115, v111 :: v_dual_mov_b32 v114, v110
.LBB283_433:                            ;   in Loop: Header=BB283_11 Depth=1
	s_or_b32 exec_lo, exec_lo, s20
.LBB283_434:                            ;   in Loop: Header=BB283_11 Depth=1
	s_delay_alu instid0(SALU_CYCLE_1)
	s_or_b32 exec_lo, exec_lo, s19
.LBB283_435:                            ;   in Loop: Header=BB283_11 Depth=1
	s_delay_alu instid0(SALU_CYCLE_1) | instskip(SKIP_2) | instid1(VALU_DEP_1)
	s_or_b32 exec_lo, exec_lo, s8
	v_lshrrev_b16 v3, 8, v2
	s_mov_b32 s19, exec_lo
	v_cmpx_ne_u16_e32 0, v3
	s_cbranch_execz .LBB283_443
; %bb.436:                              ;   in Loop: Header=BB283_11 Depth=1
	v_dual_mov_b32 v113, s3 :: v_dual_mov_b32 v112, s2
	s_mov_b32 s20, exec_lo
	v_cmpx_ne_u16_e32 0x80, v3
	s_cbranch_execz .LBB283_442
; %bb.437:                              ;   in Loop: Header=BB283_11 Depth=1
	s_mov_b32 s8, s2
	v_and_b32_e32 v3, 0xffff, v3
	v_dual_mov_b32 v113, s9 :: v_dual_mov_b32 v112, s8
	s_mov_b32 s8, exec_lo
	s_delay_alu instid0(VALU_DEP_2) | instskip(NEXT) | instid1(VALU_DEP_1)
	v_and_b32_e32 v4, 0x7f, v3
	v_cmpx_ne_u32_e32 0x7f, v4
	s_cbranch_execz .LBB283_441
; %bb.438:                              ;   in Loop: Header=BB283_11 Depth=1
	v_and_b32_e32 v110, 7, v3
	v_lshrrev_b32_e32 v3, 3, v4
	s_mov_b32 s21, exec_lo
	v_cmpx_gt_u32_e32 8, v4
; %bb.439:                              ;   in Loop: Header=BB283_11 Depth=1
	s_delay_alu instid0(VALU_DEP_3) | instskip(NEXT) | instid1(VALU_DEP_1)
	v_clz_i32_u32_e32 v3, v110
	v_min_u32_e32 v3, 32, v3
	s_delay_alu instid0(VALU_DEP_1) | instskip(SKIP_1) | instid1(VALU_DEP_2)
	v_subrev_nc_u32_e32 v4, 28, v3
	v_sub_nc_u32_e32 v3, 29, v3
	v_lshlrev_b64 v[4:5], v4, v[110:111]
	s_delay_alu instid0(VALU_DEP_1)
	v_and_b32_e32 v110, 7, v4
; %bb.440:                              ;   in Loop: Header=BB283_11 Depth=1
	s_or_b32 exec_lo, exec_lo, s21
	v_lshlrev_b32_e32 v4, 16, v2
	s_delay_alu instid0(VALU_DEP_2) | instskip(SKIP_1) | instid1(VALU_DEP_3)
	v_dual_mov_b32 v112, v111 :: v_dual_lshlrev_b32 v5, 20, v110
	v_lshl_add_u32 v3, v3, 23, 0x3c000000
	v_and_b32_e32 v4, 0x80000000, v4
	s_delay_alu instid0(VALU_DEP_1)
	v_or3_b32 v113, v5, v4, v3
.LBB283_441:                            ;   in Loop: Header=BB283_11 Depth=1
	s_or_b32 exec_lo, exec_lo, s8
.LBB283_442:                            ;   in Loop: Header=BB283_11 Depth=1
	s_delay_alu instid0(SALU_CYCLE_1)
	s_or_b32 exec_lo, exec_lo, s20
.LBB283_443:                            ;   in Loop: Header=BB283_11 Depth=1
	s_delay_alu instid0(SALU_CYCLE_1) | instskip(SKIP_4) | instid1(VALU_DEP_1)
	s_or_b32 exec_lo, exec_lo, s19
	v_mov_b32_e32 v116, 0
	v_lshrrev_b32_e32 v3, 16, v2
	v_mov_b32_e32 v117, 0
	s_mov_b32 s8, exec_lo
	v_dual_mov_b32 v119, v117 :: v_dual_and_b32 v4, 0xff, v3
	v_mov_b32_e32 v118, v116
	s_delay_alu instid0(VALU_DEP_2)
	v_cmpx_ne_u16_e32 0, v4
	s_cbranch_execz .LBB283_451
; %bb.444:                              ;   in Loop: Header=BB283_11 Depth=1
	v_bfrev_b32_e32 v118, 1
	v_mov_b32_e32 v119, 0
	s_mov_b32 s19, exec_lo
	v_cmpx_ne_u16_e32 0x80, v4
	s_cbranch_execz .LBB283_450
; %bb.445:                              ;   in Loop: Header=BB283_11 Depth=1
	v_mov_b32_e32 v118, 0x7f800001
	v_bfe_u32 v5, v2, 16, 7
	v_mov_b32_e32 v119, 0
	s_mov_b32 s20, exec_lo
	s_delay_alu instid0(VALU_DEP_2)
	v_cmpx_ne_u32_e32 0x7f, v5
	s_cbranch_execz .LBB283_449
; %bb.446:                              ;   in Loop: Header=BB283_11 Depth=1
	v_and_b32_e32 v110, 7, v3
	v_lshrrev_b32_e32 v4, 3, v5
	s_mov_b32 s21, exec_lo
	v_cmpx_gt_u32_e32 8, v5
; %bb.447:                              ;   in Loop: Header=BB283_11 Depth=1
	s_delay_alu instid0(VALU_DEP_3) | instskip(NEXT) | instid1(VALU_DEP_1)
	v_clz_i32_u32_e32 v4, v110
	v_min_u32_e32 v4, 32, v4
	s_delay_alu instid0(VALU_DEP_1) | instskip(SKIP_1) | instid1(VALU_DEP_2)
	v_subrev_nc_u32_e32 v5, 28, v4
	v_sub_nc_u32_e32 v4, 29, v4
	v_lshlrev_b64 v[8:9], v5, v[110:111]
	s_delay_alu instid0(VALU_DEP_1)
	v_and_b32_e32 v110, 7, v8
; %bb.448:                              ;   in Loop: Header=BB283_11 Depth=1
	s_or_b32 exec_lo, exec_lo, s21
	v_lshlrev_b32_e32 v3, 24, v3
	s_delay_alu instid0(VALU_DEP_2) | instskip(SKIP_1) | instid1(VALU_DEP_3)
	v_lshlrev_b32_e32 v5, 20, v110
	v_lshl_add_u32 v4, v4, 23, 0x3c000000
	v_and_b32_e32 v3, 0x80000000, v3
	s_delay_alu instid0(VALU_DEP_1) | instskip(NEXT) | instid1(VALU_DEP_1)
	v_or3_b32 v110, v5, v3, v4
	v_dual_mov_b32 v119, v111 :: v_dual_mov_b32 v118, v110
.LBB283_449:                            ;   in Loop: Header=BB283_11 Depth=1
	s_or_b32 exec_lo, exec_lo, s20
.LBB283_450:                            ;   in Loop: Header=BB283_11 Depth=1
	s_delay_alu instid0(SALU_CYCLE_1)
	s_or_b32 exec_lo, exec_lo, s19
.LBB283_451:                            ;   in Loop: Header=BB283_11 Depth=1
	s_delay_alu instid0(SALU_CYCLE_1) | instskip(NEXT) | instid1(SALU_CYCLE_1)
	s_or_b32 exec_lo, exec_lo, s8
	s_mov_b32 s19, exec_lo
	v_cmpx_lt_u32_e32 0xffffff, v2
	s_cbranch_execz .LBB283_459
; %bb.452:                              ;   in Loop: Header=BB283_11 Depth=1
	v_lshrrev_b32_e32 v3, 24, v2
	v_dual_mov_b32 v117, s3 :: v_dual_mov_b32 v116, s2
	s_mov_b32 s20, exec_lo
	s_delay_alu instid0(VALU_DEP_2)
	v_cmpx_ne_u32_e32 0x80, v3
	s_cbranch_execz .LBB283_458
; %bb.453:                              ;   in Loop: Header=BB283_11 Depth=1
	s_mov_b32 s8, s2
	v_bfe_u32 v4, v2, 24, 7
	v_dual_mov_b32 v117, s9 :: v_dual_mov_b32 v116, s8
	s_mov_b32 s8, exec_lo
	s_delay_alu instid0(VALU_DEP_2)
	v_cmpx_ne_u32_e32 0x7f, v4
	s_cbranch_execz .LBB283_457
; %bb.454:                              ;   in Loop: Header=BB283_11 Depth=1
	v_and_b32_e32 v110, 7, v3
	v_lshrrev_b32_e32 v2, 3, v4
	s_mov_b32 s21, exec_lo
	v_cmpx_gt_u32_e32 8, v4
; %bb.455:                              ;   in Loop: Header=BB283_11 Depth=1
	s_delay_alu instid0(VALU_DEP_3) | instskip(NEXT) | instid1(VALU_DEP_1)
	v_clz_i32_u32_e32 v2, v110
	v_min_u32_e32 v2, 32, v2
	s_delay_alu instid0(VALU_DEP_1) | instskip(SKIP_1) | instid1(VALU_DEP_2)
	v_subrev_nc_u32_e32 v4, 28, v2
	v_sub_nc_u32_e32 v2, 29, v2
	v_lshlrev_b64 v[4:5], v4, v[110:111]
	s_delay_alu instid0(VALU_DEP_1)
	v_and_b32_e32 v110, 7, v4
; %bb.456:                              ;   in Loop: Header=BB283_11 Depth=1
	s_or_b32 exec_lo, exec_lo, s21
	v_dual_mov_b32 v116, v111 :: v_dual_lshlrev_b32 v3, 24, v3
	s_delay_alu instid0(VALU_DEP_2) | instskip(SKIP_1) | instid1(VALU_DEP_3)
	v_lshlrev_b32_e32 v4, 20, v110
	v_lshl_add_u32 v2, v2, 23, 0x3c000000
	v_and_b32_e32 v3, 0x80000000, v3
	s_delay_alu instid0(VALU_DEP_1)
	v_or3_b32 v117, v4, v3, v2
.LBB283_457:                            ;   in Loop: Header=BB283_11 Depth=1
	s_or_b32 exec_lo, exec_lo, s8
.LBB283_458:                            ;   in Loop: Header=BB283_11 Depth=1
	s_delay_alu instid0(SALU_CYCLE_1)
	s_or_b32 exec_lo, exec_lo, s20
.LBB283_459:                            ;   in Loop: Header=BB283_11 Depth=1
	s_delay_alu instid0(SALU_CYCLE_1) | instskip(SKIP_4) | instid1(VALU_DEP_1)
	s_or_b32 exec_lo, exec_lo, s19
	flat_load_b32 v2, v[172:173] offset:1544
	v_mov_b32_e32 v128, 0
	v_mov_b32_e32 v129, 0
	s_mov_b32 s8, exec_lo
	v_dual_mov_b32 v131, v129 :: v_dual_mov_b32 v130, v128
	s_waitcnt vmcnt(0) lgkmcnt(0)
	v_and_b32_e32 v3, 0xff, v2
	s_delay_alu instid0(VALU_DEP_1)
	v_cmpx_ne_u16_e32 0, v3
	s_cbranch_execz .LBB283_467
; %bb.460:                              ;   in Loop: Header=BB283_11 Depth=1
	v_bfrev_b32_e32 v130, 1
	v_mov_b32_e32 v131, 0
	s_mov_b32 s19, exec_lo
	v_cmpx_ne_u16_e32 0x80, v3
	s_cbranch_execz .LBB283_466
; %bb.461:                              ;   in Loop: Header=BB283_11 Depth=1
	v_mov_b32_e32 v130, 0x7f800001
	v_dual_mov_b32 v131, 0 :: v_dual_and_b32 v4, 0x7f, v2
	s_mov_b32 s20, exec_lo
	s_delay_alu instid0(VALU_DEP_1)
	v_cmpx_ne_u32_e32 0x7f, v4
	s_cbranch_execz .LBB283_465
; %bb.462:                              ;   in Loop: Header=BB283_11 Depth=1
	v_and_b32_e32 v110, 7, v2
	v_lshrrev_b32_e32 v3, 3, v4
	s_mov_b32 s21, exec_lo
	v_cmpx_gt_u32_e32 8, v4
; %bb.463:                              ;   in Loop: Header=BB283_11 Depth=1
	s_delay_alu instid0(VALU_DEP_3) | instskip(NEXT) | instid1(VALU_DEP_1)
	v_clz_i32_u32_e32 v3, v110
	v_min_u32_e32 v3, 32, v3
	s_delay_alu instid0(VALU_DEP_1) | instskip(SKIP_1) | instid1(VALU_DEP_2)
	v_subrev_nc_u32_e32 v4, 28, v3
	v_sub_nc_u32_e32 v3, 29, v3
	v_lshlrev_b64 v[4:5], v4, v[110:111]
	s_delay_alu instid0(VALU_DEP_1)
	v_and_b32_e32 v110, 7, v4
; %bb.464:                              ;   in Loop: Header=BB283_11 Depth=1
	s_or_b32 exec_lo, exec_lo, s21
	v_lshlrev_b32_e32 v4, 24, v2
	s_delay_alu instid0(VALU_DEP_2) | instskip(SKIP_1) | instid1(VALU_DEP_3)
	v_lshlrev_b32_e32 v5, 20, v110
	v_lshl_add_u32 v3, v3, 23, 0x3c000000
	v_and_b32_e32 v4, 0x80000000, v4
	s_delay_alu instid0(VALU_DEP_1) | instskip(NEXT) | instid1(VALU_DEP_1)
	v_or3_b32 v110, v5, v4, v3
	v_dual_mov_b32 v131, v111 :: v_dual_mov_b32 v130, v110
.LBB283_465:                            ;   in Loop: Header=BB283_11 Depth=1
	s_or_b32 exec_lo, exec_lo, s20
.LBB283_466:                            ;   in Loop: Header=BB283_11 Depth=1
	s_delay_alu instid0(SALU_CYCLE_1)
	s_or_b32 exec_lo, exec_lo, s19
.LBB283_467:                            ;   in Loop: Header=BB283_11 Depth=1
	s_delay_alu instid0(SALU_CYCLE_1) | instskip(SKIP_2) | instid1(VALU_DEP_1)
	s_or_b32 exec_lo, exec_lo, s8
	v_lshrrev_b16 v3, 8, v2
	s_mov_b32 s19, exec_lo
	v_cmpx_ne_u16_e32 0, v3
	s_cbranch_execz .LBB283_475
; %bb.468:                              ;   in Loop: Header=BB283_11 Depth=1
	v_dual_mov_b32 v129, s3 :: v_dual_mov_b32 v128, s2
	s_mov_b32 s20, exec_lo
	v_cmpx_ne_u16_e32 0x80, v3
	s_cbranch_execz .LBB283_474
; %bb.469:                              ;   in Loop: Header=BB283_11 Depth=1
	s_mov_b32 s8, s2
	v_and_b32_e32 v3, 0xffff, v3
	v_dual_mov_b32 v129, s9 :: v_dual_mov_b32 v128, s8
	s_mov_b32 s8, exec_lo
	s_delay_alu instid0(VALU_DEP_2) | instskip(NEXT) | instid1(VALU_DEP_1)
	v_and_b32_e32 v4, 0x7f, v3
	v_cmpx_ne_u32_e32 0x7f, v4
	s_cbranch_execz .LBB283_473
; %bb.470:                              ;   in Loop: Header=BB283_11 Depth=1
	v_and_b32_e32 v110, 7, v3
	v_lshrrev_b32_e32 v3, 3, v4
	s_mov_b32 s21, exec_lo
	v_cmpx_gt_u32_e32 8, v4
; %bb.471:                              ;   in Loop: Header=BB283_11 Depth=1
	s_delay_alu instid0(VALU_DEP_3) | instskip(NEXT) | instid1(VALU_DEP_1)
	v_clz_i32_u32_e32 v3, v110
	v_min_u32_e32 v3, 32, v3
	s_delay_alu instid0(VALU_DEP_1) | instskip(SKIP_1) | instid1(VALU_DEP_2)
	v_subrev_nc_u32_e32 v4, 28, v3
	v_sub_nc_u32_e32 v3, 29, v3
	v_lshlrev_b64 v[4:5], v4, v[110:111]
	s_delay_alu instid0(VALU_DEP_1)
	v_and_b32_e32 v110, 7, v4
; %bb.472:                              ;   in Loop: Header=BB283_11 Depth=1
	s_or_b32 exec_lo, exec_lo, s21
	v_lshlrev_b32_e32 v4, 16, v2
	s_delay_alu instid0(VALU_DEP_2) | instskip(SKIP_1) | instid1(VALU_DEP_3)
	v_dual_mov_b32 v128, v111 :: v_dual_lshlrev_b32 v5, 20, v110
	v_lshl_add_u32 v3, v3, 23, 0x3c000000
	v_and_b32_e32 v4, 0x80000000, v4
	s_delay_alu instid0(VALU_DEP_1)
	v_or3_b32 v129, v5, v4, v3
.LBB283_473:                            ;   in Loop: Header=BB283_11 Depth=1
	s_or_b32 exec_lo, exec_lo, s8
.LBB283_474:                            ;   in Loop: Header=BB283_11 Depth=1
	s_delay_alu instid0(SALU_CYCLE_1)
	s_or_b32 exec_lo, exec_lo, s20
.LBB283_475:                            ;   in Loop: Header=BB283_11 Depth=1
	s_delay_alu instid0(SALU_CYCLE_1) | instskip(SKIP_4) | instid1(VALU_DEP_1)
	s_or_b32 exec_lo, exec_lo, s19
	v_mov_b32_e32 v132, 0
	v_lshrrev_b32_e32 v3, 16, v2
	v_mov_b32_e32 v133, 0
	s_mov_b32 s8, exec_lo
	v_dual_mov_b32 v135, v133 :: v_dual_and_b32 v4, 0xff, v3
	v_mov_b32_e32 v134, v132
	s_delay_alu instid0(VALU_DEP_2)
	v_cmpx_ne_u16_e32 0, v4
	s_cbranch_execz .LBB283_483
; %bb.476:                              ;   in Loop: Header=BB283_11 Depth=1
	v_bfrev_b32_e32 v134, 1
	v_mov_b32_e32 v135, 0
	s_mov_b32 s19, exec_lo
	v_cmpx_ne_u16_e32 0x80, v4
	s_cbranch_execz .LBB283_482
; %bb.477:                              ;   in Loop: Header=BB283_11 Depth=1
	v_mov_b32_e32 v134, 0x7f800001
	v_bfe_u32 v5, v2, 16, 7
	v_mov_b32_e32 v135, 0
	s_mov_b32 s20, exec_lo
	s_delay_alu instid0(VALU_DEP_2)
	v_cmpx_ne_u32_e32 0x7f, v5
	s_cbranch_execz .LBB283_481
; %bb.478:                              ;   in Loop: Header=BB283_11 Depth=1
	v_and_b32_e32 v110, 7, v3
	v_lshrrev_b32_e32 v4, 3, v5
	s_mov_b32 s21, exec_lo
	v_cmpx_gt_u32_e32 8, v5
; %bb.479:                              ;   in Loop: Header=BB283_11 Depth=1
	s_delay_alu instid0(VALU_DEP_3) | instskip(NEXT) | instid1(VALU_DEP_1)
	v_clz_i32_u32_e32 v4, v110
	v_min_u32_e32 v4, 32, v4
	s_delay_alu instid0(VALU_DEP_1) | instskip(SKIP_1) | instid1(VALU_DEP_2)
	v_subrev_nc_u32_e32 v5, 28, v4
	v_sub_nc_u32_e32 v4, 29, v4
	v_lshlrev_b64 v[8:9], v5, v[110:111]
	s_delay_alu instid0(VALU_DEP_1)
	v_and_b32_e32 v110, 7, v8
; %bb.480:                              ;   in Loop: Header=BB283_11 Depth=1
	s_or_b32 exec_lo, exec_lo, s21
	v_lshlrev_b32_e32 v3, 24, v3
	s_delay_alu instid0(VALU_DEP_2) | instskip(SKIP_1) | instid1(VALU_DEP_3)
	v_lshlrev_b32_e32 v5, 20, v110
	v_lshl_add_u32 v4, v4, 23, 0x3c000000
	v_and_b32_e32 v3, 0x80000000, v3
	s_delay_alu instid0(VALU_DEP_1) | instskip(NEXT) | instid1(VALU_DEP_1)
	v_or3_b32 v110, v5, v3, v4
	v_dual_mov_b32 v135, v111 :: v_dual_mov_b32 v134, v110
.LBB283_481:                            ;   in Loop: Header=BB283_11 Depth=1
	s_or_b32 exec_lo, exec_lo, s20
.LBB283_482:                            ;   in Loop: Header=BB283_11 Depth=1
	s_delay_alu instid0(SALU_CYCLE_1)
	s_or_b32 exec_lo, exec_lo, s19
.LBB283_483:                            ;   in Loop: Header=BB283_11 Depth=1
	s_delay_alu instid0(SALU_CYCLE_1) | instskip(NEXT) | instid1(SALU_CYCLE_1)
	s_or_b32 exec_lo, exec_lo, s8
	s_mov_b32 s19, exec_lo
	v_cmpx_lt_u32_e32 0xffffff, v2
	s_cbranch_execz .LBB283_491
; %bb.484:                              ;   in Loop: Header=BB283_11 Depth=1
	v_lshrrev_b32_e32 v3, 24, v2
	v_dual_mov_b32 v133, s3 :: v_dual_mov_b32 v132, s2
	s_mov_b32 s20, exec_lo
	s_delay_alu instid0(VALU_DEP_2)
	v_cmpx_ne_u32_e32 0x80, v3
	s_cbranch_execz .LBB283_490
; %bb.485:                              ;   in Loop: Header=BB283_11 Depth=1
	s_mov_b32 s8, s2
	v_bfe_u32 v4, v2, 24, 7
	v_dual_mov_b32 v133, s9 :: v_dual_mov_b32 v132, s8
	s_mov_b32 s8, exec_lo
	s_delay_alu instid0(VALU_DEP_2)
	v_cmpx_ne_u32_e32 0x7f, v4
	s_cbranch_execz .LBB283_489
; %bb.486:                              ;   in Loop: Header=BB283_11 Depth=1
	v_and_b32_e32 v110, 7, v3
	v_lshrrev_b32_e32 v2, 3, v4
	s_mov_b32 s21, exec_lo
	v_cmpx_gt_u32_e32 8, v4
; %bb.487:                              ;   in Loop: Header=BB283_11 Depth=1
	s_delay_alu instid0(VALU_DEP_3) | instskip(NEXT) | instid1(VALU_DEP_1)
	v_clz_i32_u32_e32 v2, v110
	v_min_u32_e32 v2, 32, v2
	s_delay_alu instid0(VALU_DEP_1) | instskip(SKIP_1) | instid1(VALU_DEP_2)
	v_subrev_nc_u32_e32 v4, 28, v2
	v_sub_nc_u32_e32 v2, 29, v2
	v_lshlrev_b64 v[4:5], v4, v[110:111]
	s_delay_alu instid0(VALU_DEP_1)
	v_and_b32_e32 v110, 7, v4
; %bb.488:                              ;   in Loop: Header=BB283_11 Depth=1
	s_or_b32 exec_lo, exec_lo, s21
	v_dual_mov_b32 v132, v111 :: v_dual_lshlrev_b32 v3, 24, v3
	s_delay_alu instid0(VALU_DEP_2) | instskip(SKIP_1) | instid1(VALU_DEP_3)
	v_lshlrev_b32_e32 v4, 20, v110
	v_lshl_add_u32 v2, v2, 23, 0x3c000000
	v_and_b32_e32 v3, 0x80000000, v3
	s_delay_alu instid0(VALU_DEP_1)
	v_or3_b32 v133, v4, v3, v2
.LBB283_489:                            ;   in Loop: Header=BB283_11 Depth=1
	s_or_b32 exec_lo, exec_lo, s8
.LBB283_490:                            ;   in Loop: Header=BB283_11 Depth=1
	s_delay_alu instid0(SALU_CYCLE_1)
	s_or_b32 exec_lo, exec_lo, s20
.LBB283_491:                            ;   in Loop: Header=BB283_11 Depth=1
	s_delay_alu instid0(SALU_CYCLE_1) | instskip(SKIP_4) | instid1(VALU_DEP_1)
	s_or_b32 exec_lo, exec_lo, s19
	flat_load_b32 v2, v[172:173] offset:1548
	v_mov_b32_e32 v144, 0
	v_mov_b32_e32 v145, 0
	s_mov_b32 s8, exec_lo
	v_dual_mov_b32 v147, v145 :: v_dual_mov_b32 v146, v144
	s_waitcnt vmcnt(0) lgkmcnt(0)
	v_and_b32_e32 v3, 0xff, v2
	s_delay_alu instid0(VALU_DEP_1)
	v_cmpx_ne_u16_e32 0, v3
	s_cbranch_execz .LBB283_499
; %bb.492:                              ;   in Loop: Header=BB283_11 Depth=1
	v_bfrev_b32_e32 v146, 1
	v_mov_b32_e32 v147, 0
	s_mov_b32 s19, exec_lo
	v_cmpx_ne_u16_e32 0x80, v3
	s_cbranch_execz .LBB283_498
; %bb.493:                              ;   in Loop: Header=BB283_11 Depth=1
	v_mov_b32_e32 v146, 0x7f800001
	v_dual_mov_b32 v147, 0 :: v_dual_and_b32 v4, 0x7f, v2
	s_mov_b32 s20, exec_lo
	s_delay_alu instid0(VALU_DEP_1)
	v_cmpx_ne_u32_e32 0x7f, v4
	s_cbranch_execz .LBB283_497
; %bb.494:                              ;   in Loop: Header=BB283_11 Depth=1
	v_and_b32_e32 v110, 7, v2
	v_lshrrev_b32_e32 v3, 3, v4
	s_mov_b32 s21, exec_lo
	v_cmpx_gt_u32_e32 8, v4
; %bb.495:                              ;   in Loop: Header=BB283_11 Depth=1
	s_delay_alu instid0(VALU_DEP_3) | instskip(NEXT) | instid1(VALU_DEP_1)
	v_clz_i32_u32_e32 v3, v110
	v_min_u32_e32 v3, 32, v3
	s_delay_alu instid0(VALU_DEP_1) | instskip(SKIP_1) | instid1(VALU_DEP_2)
	v_subrev_nc_u32_e32 v4, 28, v3
	v_sub_nc_u32_e32 v3, 29, v3
	v_lshlrev_b64 v[4:5], v4, v[110:111]
	s_delay_alu instid0(VALU_DEP_1)
	v_and_b32_e32 v110, 7, v4
; %bb.496:                              ;   in Loop: Header=BB283_11 Depth=1
	s_or_b32 exec_lo, exec_lo, s21
	v_lshlrev_b32_e32 v4, 24, v2
	s_delay_alu instid0(VALU_DEP_2) | instskip(SKIP_1) | instid1(VALU_DEP_3)
	v_lshlrev_b32_e32 v5, 20, v110
	v_lshl_add_u32 v3, v3, 23, 0x3c000000
	v_and_b32_e32 v4, 0x80000000, v4
	s_delay_alu instid0(VALU_DEP_1) | instskip(NEXT) | instid1(VALU_DEP_1)
	v_or3_b32 v110, v5, v4, v3
	v_dual_mov_b32 v147, v111 :: v_dual_mov_b32 v146, v110
.LBB283_497:                            ;   in Loop: Header=BB283_11 Depth=1
	s_or_b32 exec_lo, exec_lo, s20
.LBB283_498:                            ;   in Loop: Header=BB283_11 Depth=1
	s_delay_alu instid0(SALU_CYCLE_1)
	s_or_b32 exec_lo, exec_lo, s19
.LBB283_499:                            ;   in Loop: Header=BB283_11 Depth=1
	s_delay_alu instid0(SALU_CYCLE_1) | instskip(SKIP_2) | instid1(VALU_DEP_1)
	s_or_b32 exec_lo, exec_lo, s8
	v_lshrrev_b16 v3, 8, v2
	s_mov_b32 s19, exec_lo
	v_cmpx_ne_u16_e32 0, v3
	s_cbranch_execz .LBB283_507
; %bb.500:                              ;   in Loop: Header=BB283_11 Depth=1
	v_dual_mov_b32 v145, s3 :: v_dual_mov_b32 v144, s2
	s_mov_b32 s20, exec_lo
	v_cmpx_ne_u16_e32 0x80, v3
	s_cbranch_execz .LBB283_506
; %bb.501:                              ;   in Loop: Header=BB283_11 Depth=1
	s_mov_b32 s8, s2
	v_and_b32_e32 v3, 0xffff, v3
	v_dual_mov_b32 v145, s9 :: v_dual_mov_b32 v144, s8
	s_mov_b32 s8, exec_lo
	s_delay_alu instid0(VALU_DEP_2) | instskip(NEXT) | instid1(VALU_DEP_1)
	v_and_b32_e32 v4, 0x7f, v3
	v_cmpx_ne_u32_e32 0x7f, v4
	s_cbranch_execz .LBB283_505
; %bb.502:                              ;   in Loop: Header=BB283_11 Depth=1
	v_and_b32_e32 v110, 7, v3
	v_lshrrev_b32_e32 v3, 3, v4
	s_mov_b32 s21, exec_lo
	v_cmpx_gt_u32_e32 8, v4
; %bb.503:                              ;   in Loop: Header=BB283_11 Depth=1
	s_delay_alu instid0(VALU_DEP_3) | instskip(NEXT) | instid1(VALU_DEP_1)
	v_clz_i32_u32_e32 v3, v110
	v_min_u32_e32 v3, 32, v3
	s_delay_alu instid0(VALU_DEP_1) | instskip(SKIP_1) | instid1(VALU_DEP_2)
	v_subrev_nc_u32_e32 v4, 28, v3
	v_sub_nc_u32_e32 v3, 29, v3
	v_lshlrev_b64 v[4:5], v4, v[110:111]
	s_delay_alu instid0(VALU_DEP_1)
	v_and_b32_e32 v110, 7, v4
; %bb.504:                              ;   in Loop: Header=BB283_11 Depth=1
	s_or_b32 exec_lo, exec_lo, s21
	v_lshlrev_b32_e32 v4, 16, v2
	s_delay_alu instid0(VALU_DEP_2) | instskip(SKIP_1) | instid1(VALU_DEP_3)
	v_dual_mov_b32 v144, v111 :: v_dual_lshlrev_b32 v5, 20, v110
	v_lshl_add_u32 v3, v3, 23, 0x3c000000
	v_and_b32_e32 v4, 0x80000000, v4
	s_delay_alu instid0(VALU_DEP_1)
	v_or3_b32 v145, v5, v4, v3
.LBB283_505:                            ;   in Loop: Header=BB283_11 Depth=1
	s_or_b32 exec_lo, exec_lo, s8
.LBB283_506:                            ;   in Loop: Header=BB283_11 Depth=1
	s_delay_alu instid0(SALU_CYCLE_1)
	s_or_b32 exec_lo, exec_lo, s20
.LBB283_507:                            ;   in Loop: Header=BB283_11 Depth=1
	s_delay_alu instid0(SALU_CYCLE_1) | instskip(SKIP_4) | instid1(VALU_DEP_1)
	s_or_b32 exec_lo, exec_lo, s19
	v_mov_b32_e32 v148, 0
	v_lshrrev_b32_e32 v3, 16, v2
	v_mov_b32_e32 v149, 0
	s_mov_b32 s8, exec_lo
	v_dual_mov_b32 v151, v149 :: v_dual_and_b32 v4, 0xff, v3
	v_mov_b32_e32 v150, v148
	s_delay_alu instid0(VALU_DEP_2)
	v_cmpx_ne_u16_e32 0, v4
	s_cbranch_execz .LBB283_515
; %bb.508:                              ;   in Loop: Header=BB283_11 Depth=1
	v_bfrev_b32_e32 v150, 1
	v_mov_b32_e32 v151, 0
	s_mov_b32 s19, exec_lo
	v_cmpx_ne_u16_e32 0x80, v4
	s_cbranch_execz .LBB283_514
; %bb.509:                              ;   in Loop: Header=BB283_11 Depth=1
	v_mov_b32_e32 v150, 0x7f800001
	v_bfe_u32 v5, v2, 16, 7
	v_mov_b32_e32 v151, 0
	s_mov_b32 s20, exec_lo
	s_delay_alu instid0(VALU_DEP_2)
	v_cmpx_ne_u32_e32 0x7f, v5
	s_cbranch_execz .LBB283_513
; %bb.510:                              ;   in Loop: Header=BB283_11 Depth=1
	v_and_b32_e32 v110, 7, v3
	v_lshrrev_b32_e32 v4, 3, v5
	s_mov_b32 s21, exec_lo
	v_cmpx_gt_u32_e32 8, v5
; %bb.511:                              ;   in Loop: Header=BB283_11 Depth=1
	s_delay_alu instid0(VALU_DEP_3) | instskip(NEXT) | instid1(VALU_DEP_1)
	v_clz_i32_u32_e32 v4, v110
	v_min_u32_e32 v4, 32, v4
	s_delay_alu instid0(VALU_DEP_1) | instskip(SKIP_1) | instid1(VALU_DEP_2)
	v_subrev_nc_u32_e32 v5, 28, v4
	v_sub_nc_u32_e32 v4, 29, v4
	v_lshlrev_b64 v[8:9], v5, v[110:111]
	s_delay_alu instid0(VALU_DEP_1)
	v_and_b32_e32 v110, 7, v8
; %bb.512:                              ;   in Loop: Header=BB283_11 Depth=1
	s_or_b32 exec_lo, exec_lo, s21
	v_lshlrev_b32_e32 v3, 24, v3
	s_delay_alu instid0(VALU_DEP_2) | instskip(SKIP_1) | instid1(VALU_DEP_3)
	v_lshlrev_b32_e32 v5, 20, v110
	v_lshl_add_u32 v4, v4, 23, 0x3c000000
	v_and_b32_e32 v3, 0x80000000, v3
	s_delay_alu instid0(VALU_DEP_1) | instskip(NEXT) | instid1(VALU_DEP_1)
	v_or3_b32 v110, v5, v3, v4
	v_dual_mov_b32 v151, v111 :: v_dual_mov_b32 v150, v110
.LBB283_513:                            ;   in Loop: Header=BB283_11 Depth=1
	s_or_b32 exec_lo, exec_lo, s20
.LBB283_514:                            ;   in Loop: Header=BB283_11 Depth=1
	s_delay_alu instid0(SALU_CYCLE_1)
	s_or_b32 exec_lo, exec_lo, s19
.LBB283_515:                            ;   in Loop: Header=BB283_11 Depth=1
	s_delay_alu instid0(SALU_CYCLE_1) | instskip(NEXT) | instid1(SALU_CYCLE_1)
	s_or_b32 exec_lo, exec_lo, s8
	s_mov_b32 s19, exec_lo
	v_cmpx_lt_u32_e32 0xffffff, v2
	s_cbranch_execz .LBB283_523
; %bb.516:                              ;   in Loop: Header=BB283_11 Depth=1
	v_lshrrev_b32_e32 v3, 24, v2
	v_dual_mov_b32 v149, s3 :: v_dual_mov_b32 v148, s2
	s_mov_b32 s20, exec_lo
	s_delay_alu instid0(VALU_DEP_2)
	v_cmpx_ne_u32_e32 0x80, v3
	s_cbranch_execz .LBB283_522
; %bb.517:                              ;   in Loop: Header=BB283_11 Depth=1
	s_mov_b32 s8, s2
	v_bfe_u32 v4, v2, 24, 7
	v_dual_mov_b32 v149, s9 :: v_dual_mov_b32 v148, s8
	s_mov_b32 s8, exec_lo
	s_delay_alu instid0(VALU_DEP_2)
	v_cmpx_ne_u32_e32 0x7f, v4
	s_cbranch_execz .LBB283_521
; %bb.518:                              ;   in Loop: Header=BB283_11 Depth=1
	v_and_b32_e32 v110, 7, v3
	v_lshrrev_b32_e32 v2, 3, v4
	s_mov_b32 s21, exec_lo
	v_cmpx_gt_u32_e32 8, v4
; %bb.519:                              ;   in Loop: Header=BB283_11 Depth=1
	s_delay_alu instid0(VALU_DEP_3) | instskip(NEXT) | instid1(VALU_DEP_1)
	v_clz_i32_u32_e32 v2, v110
	v_min_u32_e32 v2, 32, v2
	s_delay_alu instid0(VALU_DEP_1) | instskip(SKIP_1) | instid1(VALU_DEP_2)
	v_subrev_nc_u32_e32 v4, 28, v2
	v_sub_nc_u32_e32 v2, 29, v2
	v_lshlrev_b64 v[4:5], v4, v[110:111]
	s_delay_alu instid0(VALU_DEP_1)
	v_and_b32_e32 v110, 7, v4
; %bb.520:                              ;   in Loop: Header=BB283_11 Depth=1
	s_or_b32 exec_lo, exec_lo, s21
	v_dual_mov_b32 v148, v111 :: v_dual_lshlrev_b32 v3, 24, v3
	s_delay_alu instid0(VALU_DEP_2) | instskip(SKIP_1) | instid1(VALU_DEP_3)
	v_lshlrev_b32_e32 v4, 20, v110
	v_lshl_add_u32 v2, v2, 23, 0x3c000000
	v_and_b32_e32 v3, 0x80000000, v3
	s_delay_alu instid0(VALU_DEP_1)
	v_or3_b32 v149, v4, v3, v2
.LBB283_521:                            ;   in Loop: Header=BB283_11 Depth=1
	s_or_b32 exec_lo, exec_lo, s8
.LBB283_522:                            ;   in Loop: Header=BB283_11 Depth=1
	s_delay_alu instid0(SALU_CYCLE_1)
	s_or_b32 exec_lo, exec_lo, s20
.LBB283_523:                            ;   in Loop: Header=BB283_11 Depth=1
	s_delay_alu instid0(SALU_CYCLE_1) | instskip(SKIP_4) | instid1(VALU_DEP_1)
	s_or_b32 exec_lo, exec_lo, s19
	flat_load_b32 v2, v[172:173] offset:2048
	v_mov_b32_e32 v160, 0
	v_mov_b32_e32 v161, 0
	s_mov_b32 s8, exec_lo
	v_dual_mov_b32 v163, v161 :: v_dual_mov_b32 v162, v160
	s_waitcnt vmcnt(0) lgkmcnt(0)
	v_and_b32_e32 v3, 0xff, v2
	s_delay_alu instid0(VALU_DEP_1)
	v_cmpx_ne_u16_e32 0, v3
	s_cbranch_execz .LBB283_531
; %bb.524:                              ;   in Loop: Header=BB283_11 Depth=1
	v_bfrev_b32_e32 v162, 1
	v_mov_b32_e32 v163, 0
	s_mov_b32 s19, exec_lo
	v_cmpx_ne_u16_e32 0x80, v3
	s_cbranch_execz .LBB283_530
; %bb.525:                              ;   in Loop: Header=BB283_11 Depth=1
	v_mov_b32_e32 v162, 0x7f800001
	v_dual_mov_b32 v163, 0 :: v_dual_and_b32 v4, 0x7f, v2
	s_mov_b32 s20, exec_lo
	s_delay_alu instid0(VALU_DEP_1)
	v_cmpx_ne_u32_e32 0x7f, v4
	s_cbranch_execz .LBB283_529
; %bb.526:                              ;   in Loop: Header=BB283_11 Depth=1
	v_and_b32_e32 v110, 7, v2
	v_lshrrev_b32_e32 v3, 3, v4
	s_mov_b32 s21, exec_lo
	v_cmpx_gt_u32_e32 8, v4
; %bb.527:                              ;   in Loop: Header=BB283_11 Depth=1
	s_delay_alu instid0(VALU_DEP_3) | instskip(NEXT) | instid1(VALU_DEP_1)
	v_clz_i32_u32_e32 v3, v110
	v_min_u32_e32 v3, 32, v3
	s_delay_alu instid0(VALU_DEP_1) | instskip(SKIP_1) | instid1(VALU_DEP_2)
	v_subrev_nc_u32_e32 v4, 28, v3
	v_sub_nc_u32_e32 v3, 29, v3
	v_lshlrev_b64 v[4:5], v4, v[110:111]
	s_delay_alu instid0(VALU_DEP_1)
	v_and_b32_e32 v110, 7, v4
; %bb.528:                              ;   in Loop: Header=BB283_11 Depth=1
	s_or_b32 exec_lo, exec_lo, s21
	v_lshlrev_b32_e32 v4, 24, v2
	s_delay_alu instid0(VALU_DEP_2) | instskip(SKIP_1) | instid1(VALU_DEP_3)
	v_lshlrev_b32_e32 v5, 20, v110
	v_lshl_add_u32 v3, v3, 23, 0x3c000000
	v_and_b32_e32 v4, 0x80000000, v4
	s_delay_alu instid0(VALU_DEP_1) | instskip(NEXT) | instid1(VALU_DEP_1)
	v_or3_b32 v110, v5, v4, v3
	v_dual_mov_b32 v163, v111 :: v_dual_mov_b32 v162, v110
.LBB283_529:                            ;   in Loop: Header=BB283_11 Depth=1
	s_or_b32 exec_lo, exec_lo, s20
.LBB283_530:                            ;   in Loop: Header=BB283_11 Depth=1
	s_delay_alu instid0(SALU_CYCLE_1)
	s_or_b32 exec_lo, exec_lo, s19
.LBB283_531:                            ;   in Loop: Header=BB283_11 Depth=1
	s_delay_alu instid0(SALU_CYCLE_1) | instskip(SKIP_2) | instid1(VALU_DEP_1)
	s_or_b32 exec_lo, exec_lo, s8
	v_lshrrev_b16 v3, 8, v2
	s_mov_b32 s19, exec_lo
	v_cmpx_ne_u16_e32 0, v3
	s_cbranch_execz .LBB283_539
; %bb.532:                              ;   in Loop: Header=BB283_11 Depth=1
	v_dual_mov_b32 v161, s3 :: v_dual_mov_b32 v160, s2
	s_mov_b32 s20, exec_lo
	v_cmpx_ne_u16_e32 0x80, v3
	s_cbranch_execz .LBB283_538
; %bb.533:                              ;   in Loop: Header=BB283_11 Depth=1
	s_mov_b32 s8, s2
	v_and_b32_e32 v3, 0xffff, v3
	v_dual_mov_b32 v161, s9 :: v_dual_mov_b32 v160, s8
	s_mov_b32 s8, exec_lo
	s_delay_alu instid0(VALU_DEP_2) | instskip(NEXT) | instid1(VALU_DEP_1)
	v_and_b32_e32 v4, 0x7f, v3
	v_cmpx_ne_u32_e32 0x7f, v4
	s_cbranch_execz .LBB283_537
; %bb.534:                              ;   in Loop: Header=BB283_11 Depth=1
	v_and_b32_e32 v110, 7, v3
	v_lshrrev_b32_e32 v3, 3, v4
	s_mov_b32 s21, exec_lo
	v_cmpx_gt_u32_e32 8, v4
; %bb.535:                              ;   in Loop: Header=BB283_11 Depth=1
	s_delay_alu instid0(VALU_DEP_3) | instskip(NEXT) | instid1(VALU_DEP_1)
	v_clz_i32_u32_e32 v3, v110
	v_min_u32_e32 v3, 32, v3
	s_delay_alu instid0(VALU_DEP_1) | instskip(SKIP_1) | instid1(VALU_DEP_2)
	v_subrev_nc_u32_e32 v4, 28, v3
	v_sub_nc_u32_e32 v3, 29, v3
	v_lshlrev_b64 v[4:5], v4, v[110:111]
	s_delay_alu instid0(VALU_DEP_1)
	v_and_b32_e32 v110, 7, v4
; %bb.536:                              ;   in Loop: Header=BB283_11 Depth=1
	s_or_b32 exec_lo, exec_lo, s21
	v_lshlrev_b32_e32 v4, 16, v2
	s_delay_alu instid0(VALU_DEP_2) | instskip(SKIP_1) | instid1(VALU_DEP_3)
	v_dual_mov_b32 v160, v111 :: v_dual_lshlrev_b32 v5, 20, v110
	v_lshl_add_u32 v3, v3, 23, 0x3c000000
	v_and_b32_e32 v4, 0x80000000, v4
	s_delay_alu instid0(VALU_DEP_1)
	v_or3_b32 v161, v5, v4, v3
.LBB283_537:                            ;   in Loop: Header=BB283_11 Depth=1
	s_or_b32 exec_lo, exec_lo, s8
.LBB283_538:                            ;   in Loop: Header=BB283_11 Depth=1
	s_delay_alu instid0(SALU_CYCLE_1)
	s_or_b32 exec_lo, exec_lo, s20
.LBB283_539:                            ;   in Loop: Header=BB283_11 Depth=1
	s_delay_alu instid0(SALU_CYCLE_1) | instskip(SKIP_4) | instid1(VALU_DEP_1)
	s_or_b32 exec_lo, exec_lo, s19
	v_mov_b32_e32 v164, 0
	v_lshrrev_b32_e32 v3, 16, v2
	v_mov_b32_e32 v165, 0
	s_mov_b32 s8, exec_lo
	v_dual_mov_b32 v167, v165 :: v_dual_and_b32 v4, 0xff, v3
	v_mov_b32_e32 v166, v164
	s_delay_alu instid0(VALU_DEP_2)
	v_cmpx_ne_u16_e32 0, v4
	s_cbranch_execz .LBB283_547
; %bb.540:                              ;   in Loop: Header=BB283_11 Depth=1
	v_bfrev_b32_e32 v166, 1
	v_mov_b32_e32 v167, 0
	s_mov_b32 s19, exec_lo
	v_cmpx_ne_u16_e32 0x80, v4
	s_cbranch_execz .LBB283_546
; %bb.541:                              ;   in Loop: Header=BB283_11 Depth=1
	v_mov_b32_e32 v166, 0x7f800001
	v_bfe_u32 v5, v2, 16, 7
	v_mov_b32_e32 v167, 0
	s_mov_b32 s20, exec_lo
	s_delay_alu instid0(VALU_DEP_2)
	v_cmpx_ne_u32_e32 0x7f, v5
	s_cbranch_execz .LBB283_545
; %bb.542:                              ;   in Loop: Header=BB283_11 Depth=1
	v_and_b32_e32 v110, 7, v3
	v_lshrrev_b32_e32 v4, 3, v5
	s_mov_b32 s21, exec_lo
	v_cmpx_gt_u32_e32 8, v5
; %bb.543:                              ;   in Loop: Header=BB283_11 Depth=1
	s_delay_alu instid0(VALU_DEP_3) | instskip(NEXT) | instid1(VALU_DEP_1)
	v_clz_i32_u32_e32 v4, v110
	v_min_u32_e32 v4, 32, v4
	s_delay_alu instid0(VALU_DEP_1) | instskip(SKIP_1) | instid1(VALU_DEP_2)
	v_subrev_nc_u32_e32 v5, 28, v4
	v_sub_nc_u32_e32 v4, 29, v4
	v_lshlrev_b64 v[8:9], v5, v[110:111]
	s_delay_alu instid0(VALU_DEP_1)
	v_and_b32_e32 v110, 7, v8
; %bb.544:                              ;   in Loop: Header=BB283_11 Depth=1
	s_or_b32 exec_lo, exec_lo, s21
	v_lshlrev_b32_e32 v3, 24, v3
	s_delay_alu instid0(VALU_DEP_2) | instskip(SKIP_1) | instid1(VALU_DEP_3)
	v_lshlrev_b32_e32 v5, 20, v110
	v_lshl_add_u32 v4, v4, 23, 0x3c000000
	v_and_b32_e32 v3, 0x80000000, v3
	s_delay_alu instid0(VALU_DEP_1) | instskip(NEXT) | instid1(VALU_DEP_1)
	v_or3_b32 v110, v5, v3, v4
	v_dual_mov_b32 v167, v111 :: v_dual_mov_b32 v166, v110
.LBB283_545:                            ;   in Loop: Header=BB283_11 Depth=1
	s_or_b32 exec_lo, exec_lo, s20
.LBB283_546:                            ;   in Loop: Header=BB283_11 Depth=1
	s_delay_alu instid0(SALU_CYCLE_1)
	s_or_b32 exec_lo, exec_lo, s19
.LBB283_547:                            ;   in Loop: Header=BB283_11 Depth=1
	s_delay_alu instid0(SALU_CYCLE_1) | instskip(NEXT) | instid1(SALU_CYCLE_1)
	s_or_b32 exec_lo, exec_lo, s8
	s_mov_b32 s19, exec_lo
	v_cmpx_lt_u32_e32 0xffffff, v2
	s_cbranch_execz .LBB283_555
; %bb.548:                              ;   in Loop: Header=BB283_11 Depth=1
	v_lshrrev_b32_e32 v3, 24, v2
	v_dual_mov_b32 v165, s3 :: v_dual_mov_b32 v164, s2
	s_mov_b32 s20, exec_lo
	s_delay_alu instid0(VALU_DEP_2)
	v_cmpx_ne_u32_e32 0x80, v3
	s_cbranch_execz .LBB283_554
; %bb.549:                              ;   in Loop: Header=BB283_11 Depth=1
	s_mov_b32 s8, s2
	v_bfe_u32 v4, v2, 24, 7
	v_dual_mov_b32 v165, s9 :: v_dual_mov_b32 v164, s8
	s_mov_b32 s8, exec_lo
	s_delay_alu instid0(VALU_DEP_2)
	v_cmpx_ne_u32_e32 0x7f, v4
	s_cbranch_execz .LBB283_553
; %bb.550:                              ;   in Loop: Header=BB283_11 Depth=1
	v_and_b32_e32 v110, 7, v3
	v_lshrrev_b32_e32 v2, 3, v4
	s_mov_b32 s21, exec_lo
	v_cmpx_gt_u32_e32 8, v4
; %bb.551:                              ;   in Loop: Header=BB283_11 Depth=1
	s_delay_alu instid0(VALU_DEP_3) | instskip(NEXT) | instid1(VALU_DEP_1)
	v_clz_i32_u32_e32 v2, v110
	v_min_u32_e32 v2, 32, v2
	s_delay_alu instid0(VALU_DEP_1) | instskip(SKIP_1) | instid1(VALU_DEP_2)
	v_subrev_nc_u32_e32 v4, 28, v2
	v_sub_nc_u32_e32 v2, 29, v2
	v_lshlrev_b64 v[4:5], v4, v[110:111]
	s_delay_alu instid0(VALU_DEP_1)
	v_and_b32_e32 v110, 7, v4
; %bb.552:                              ;   in Loop: Header=BB283_11 Depth=1
	s_or_b32 exec_lo, exec_lo, s21
	v_dual_mov_b32 v164, v111 :: v_dual_lshlrev_b32 v3, 24, v3
	s_delay_alu instid0(VALU_DEP_2) | instskip(SKIP_1) | instid1(VALU_DEP_3)
	v_lshlrev_b32_e32 v4, 20, v110
	v_lshl_add_u32 v2, v2, 23, 0x3c000000
	v_and_b32_e32 v3, 0x80000000, v3
	s_delay_alu instid0(VALU_DEP_1)
	v_or3_b32 v165, v4, v3, v2
.LBB283_553:                            ;   in Loop: Header=BB283_11 Depth=1
	s_or_b32 exec_lo, exec_lo, s8
.LBB283_554:                            ;   in Loop: Header=BB283_11 Depth=1
	s_delay_alu instid0(SALU_CYCLE_1)
	s_or_b32 exec_lo, exec_lo, s20
.LBB283_555:                            ;   in Loop: Header=BB283_11 Depth=1
	s_delay_alu instid0(SALU_CYCLE_1) | instskip(SKIP_4) | instid1(VALU_DEP_1)
	s_or_b32 exec_lo, exec_lo, s19
	flat_load_b32 v2, v[172:173] offset:2052
	v_mov_b32_e32 v176, 0
	v_mov_b32_e32 v177, 0
	s_mov_b32 s8, exec_lo
	v_dual_mov_b32 v179, v177 :: v_dual_mov_b32 v178, v176
	s_waitcnt vmcnt(0) lgkmcnt(0)
	v_and_b32_e32 v3, 0xff, v2
	s_delay_alu instid0(VALU_DEP_1)
	v_cmpx_ne_u16_e32 0, v3
	s_cbranch_execz .LBB283_563
; %bb.556:                              ;   in Loop: Header=BB283_11 Depth=1
	v_bfrev_b32_e32 v178, 1
	v_mov_b32_e32 v179, 0
	s_mov_b32 s19, exec_lo
	v_cmpx_ne_u16_e32 0x80, v3
	s_cbranch_execz .LBB283_562
; %bb.557:                              ;   in Loop: Header=BB283_11 Depth=1
	v_mov_b32_e32 v178, 0x7f800001
	v_dual_mov_b32 v179, 0 :: v_dual_and_b32 v4, 0x7f, v2
	s_mov_b32 s20, exec_lo
	s_delay_alu instid0(VALU_DEP_1)
	v_cmpx_ne_u32_e32 0x7f, v4
	s_cbranch_execz .LBB283_561
; %bb.558:                              ;   in Loop: Header=BB283_11 Depth=1
	v_and_b32_e32 v110, 7, v2
	v_lshrrev_b32_e32 v3, 3, v4
	s_mov_b32 s21, exec_lo
	v_cmpx_gt_u32_e32 8, v4
; %bb.559:                              ;   in Loop: Header=BB283_11 Depth=1
	s_delay_alu instid0(VALU_DEP_3) | instskip(NEXT) | instid1(VALU_DEP_1)
	v_clz_i32_u32_e32 v3, v110
	v_min_u32_e32 v3, 32, v3
	s_delay_alu instid0(VALU_DEP_1) | instskip(SKIP_1) | instid1(VALU_DEP_2)
	v_subrev_nc_u32_e32 v4, 28, v3
	v_sub_nc_u32_e32 v3, 29, v3
	v_lshlrev_b64 v[4:5], v4, v[110:111]
	s_delay_alu instid0(VALU_DEP_1)
	v_and_b32_e32 v110, 7, v4
; %bb.560:                              ;   in Loop: Header=BB283_11 Depth=1
	s_or_b32 exec_lo, exec_lo, s21
	v_lshlrev_b32_e32 v4, 24, v2
	s_delay_alu instid0(VALU_DEP_2) | instskip(SKIP_1) | instid1(VALU_DEP_3)
	v_lshlrev_b32_e32 v5, 20, v110
	v_lshl_add_u32 v3, v3, 23, 0x3c000000
	v_and_b32_e32 v4, 0x80000000, v4
	s_delay_alu instid0(VALU_DEP_1) | instskip(NEXT) | instid1(VALU_DEP_1)
	v_or3_b32 v110, v5, v4, v3
	v_dual_mov_b32 v179, v111 :: v_dual_mov_b32 v178, v110
.LBB283_561:                            ;   in Loop: Header=BB283_11 Depth=1
	s_or_b32 exec_lo, exec_lo, s20
.LBB283_562:                            ;   in Loop: Header=BB283_11 Depth=1
	s_delay_alu instid0(SALU_CYCLE_1)
	s_or_b32 exec_lo, exec_lo, s19
.LBB283_563:                            ;   in Loop: Header=BB283_11 Depth=1
	s_delay_alu instid0(SALU_CYCLE_1) | instskip(SKIP_2) | instid1(VALU_DEP_1)
	s_or_b32 exec_lo, exec_lo, s8
	v_lshrrev_b16 v3, 8, v2
	s_mov_b32 s19, exec_lo
	v_cmpx_ne_u16_e32 0, v3
	s_cbranch_execz .LBB283_571
; %bb.564:                              ;   in Loop: Header=BB283_11 Depth=1
	v_dual_mov_b32 v177, s3 :: v_dual_mov_b32 v176, s2
	s_mov_b32 s20, exec_lo
	v_cmpx_ne_u16_e32 0x80, v3
	s_cbranch_execz .LBB283_570
; %bb.565:                              ;   in Loop: Header=BB283_11 Depth=1
	s_mov_b32 s8, s2
	v_and_b32_e32 v3, 0xffff, v3
	v_dual_mov_b32 v177, s9 :: v_dual_mov_b32 v176, s8
	s_mov_b32 s8, exec_lo
	s_delay_alu instid0(VALU_DEP_2) | instskip(NEXT) | instid1(VALU_DEP_1)
	v_and_b32_e32 v4, 0x7f, v3
	v_cmpx_ne_u32_e32 0x7f, v4
	s_cbranch_execz .LBB283_569
; %bb.566:                              ;   in Loop: Header=BB283_11 Depth=1
	v_and_b32_e32 v110, 7, v3
	v_lshrrev_b32_e32 v3, 3, v4
	s_mov_b32 s21, exec_lo
	v_cmpx_gt_u32_e32 8, v4
; %bb.567:                              ;   in Loop: Header=BB283_11 Depth=1
	s_delay_alu instid0(VALU_DEP_3) | instskip(NEXT) | instid1(VALU_DEP_1)
	v_clz_i32_u32_e32 v3, v110
	v_min_u32_e32 v3, 32, v3
	s_delay_alu instid0(VALU_DEP_1) | instskip(SKIP_1) | instid1(VALU_DEP_2)
	v_subrev_nc_u32_e32 v4, 28, v3
	v_sub_nc_u32_e32 v3, 29, v3
	v_lshlrev_b64 v[4:5], v4, v[110:111]
	s_delay_alu instid0(VALU_DEP_1)
	v_and_b32_e32 v110, 7, v4
; %bb.568:                              ;   in Loop: Header=BB283_11 Depth=1
	s_or_b32 exec_lo, exec_lo, s21
	v_lshlrev_b32_e32 v4, 16, v2
	s_delay_alu instid0(VALU_DEP_2) | instskip(SKIP_1) | instid1(VALU_DEP_3)
	v_dual_mov_b32 v176, v111 :: v_dual_lshlrev_b32 v5, 20, v110
	v_lshl_add_u32 v3, v3, 23, 0x3c000000
	v_and_b32_e32 v4, 0x80000000, v4
	s_delay_alu instid0(VALU_DEP_1)
	v_or3_b32 v177, v5, v4, v3
.LBB283_569:                            ;   in Loop: Header=BB283_11 Depth=1
	s_or_b32 exec_lo, exec_lo, s8
.LBB283_570:                            ;   in Loop: Header=BB283_11 Depth=1
	s_delay_alu instid0(SALU_CYCLE_1)
	s_or_b32 exec_lo, exec_lo, s20
.LBB283_571:                            ;   in Loop: Header=BB283_11 Depth=1
	s_delay_alu instid0(SALU_CYCLE_1) | instskip(SKIP_4) | instid1(VALU_DEP_1)
	s_or_b32 exec_lo, exec_lo, s19
	v_mov_b32_e32 v180, 0
	v_lshrrev_b32_e32 v3, 16, v2
	v_mov_b32_e32 v181, 0
	s_mov_b32 s8, exec_lo
	v_dual_mov_b32 v183, v181 :: v_dual_and_b32 v4, 0xff, v3
	v_mov_b32_e32 v182, v180
	s_delay_alu instid0(VALU_DEP_2)
	v_cmpx_ne_u16_e32 0, v4
	s_cbranch_execz .LBB283_579
; %bb.572:                              ;   in Loop: Header=BB283_11 Depth=1
	v_bfrev_b32_e32 v182, 1
	v_mov_b32_e32 v183, 0
	s_mov_b32 s19, exec_lo
	v_cmpx_ne_u16_e32 0x80, v4
	s_cbranch_execz .LBB283_578
; %bb.573:                              ;   in Loop: Header=BB283_11 Depth=1
	v_mov_b32_e32 v182, 0x7f800001
	v_bfe_u32 v5, v2, 16, 7
	v_mov_b32_e32 v183, 0
	s_mov_b32 s20, exec_lo
	s_delay_alu instid0(VALU_DEP_2)
	v_cmpx_ne_u32_e32 0x7f, v5
	s_cbranch_execz .LBB283_577
; %bb.574:                              ;   in Loop: Header=BB283_11 Depth=1
	v_and_b32_e32 v110, 7, v3
	v_lshrrev_b32_e32 v4, 3, v5
	s_mov_b32 s21, exec_lo
	v_cmpx_gt_u32_e32 8, v5
; %bb.575:                              ;   in Loop: Header=BB283_11 Depth=1
	s_delay_alu instid0(VALU_DEP_3) | instskip(NEXT) | instid1(VALU_DEP_1)
	v_clz_i32_u32_e32 v4, v110
	v_min_u32_e32 v4, 32, v4
	s_delay_alu instid0(VALU_DEP_1) | instskip(SKIP_1) | instid1(VALU_DEP_2)
	v_subrev_nc_u32_e32 v5, 28, v4
	v_sub_nc_u32_e32 v4, 29, v4
	v_lshlrev_b64 v[8:9], v5, v[110:111]
	s_delay_alu instid0(VALU_DEP_1)
	v_and_b32_e32 v110, 7, v8
; %bb.576:                              ;   in Loop: Header=BB283_11 Depth=1
	s_or_b32 exec_lo, exec_lo, s21
	v_lshlrev_b32_e32 v3, 24, v3
	s_delay_alu instid0(VALU_DEP_2) | instskip(SKIP_1) | instid1(VALU_DEP_3)
	v_lshlrev_b32_e32 v5, 20, v110
	v_lshl_add_u32 v4, v4, 23, 0x3c000000
	v_and_b32_e32 v3, 0x80000000, v3
	s_delay_alu instid0(VALU_DEP_1) | instskip(NEXT) | instid1(VALU_DEP_1)
	v_or3_b32 v110, v5, v3, v4
	v_dual_mov_b32 v183, v111 :: v_dual_mov_b32 v182, v110
.LBB283_577:                            ;   in Loop: Header=BB283_11 Depth=1
	s_or_b32 exec_lo, exec_lo, s20
.LBB283_578:                            ;   in Loop: Header=BB283_11 Depth=1
	s_delay_alu instid0(SALU_CYCLE_1)
	s_or_b32 exec_lo, exec_lo, s19
.LBB283_579:                            ;   in Loop: Header=BB283_11 Depth=1
	s_delay_alu instid0(SALU_CYCLE_1) | instskip(NEXT) | instid1(SALU_CYCLE_1)
	s_or_b32 exec_lo, exec_lo, s8
	s_mov_b32 s19, exec_lo
	v_cmpx_lt_u32_e32 0xffffff, v2
	s_cbranch_execz .LBB283_587
; %bb.580:                              ;   in Loop: Header=BB283_11 Depth=1
	v_lshrrev_b32_e32 v3, 24, v2
	v_dual_mov_b32 v181, s3 :: v_dual_mov_b32 v180, s2
	s_mov_b32 s20, exec_lo
	s_delay_alu instid0(VALU_DEP_2)
	v_cmpx_ne_u32_e32 0x80, v3
	s_cbranch_execz .LBB283_586
; %bb.581:                              ;   in Loop: Header=BB283_11 Depth=1
	s_mov_b32 s8, s2
	v_bfe_u32 v4, v2, 24, 7
	v_dual_mov_b32 v181, s9 :: v_dual_mov_b32 v180, s8
	s_mov_b32 s8, exec_lo
	s_delay_alu instid0(VALU_DEP_2)
	v_cmpx_ne_u32_e32 0x7f, v4
	s_cbranch_execz .LBB283_585
; %bb.582:                              ;   in Loop: Header=BB283_11 Depth=1
	v_and_b32_e32 v110, 7, v3
	v_lshrrev_b32_e32 v2, 3, v4
	s_mov_b32 s21, exec_lo
	v_cmpx_gt_u32_e32 8, v4
; %bb.583:                              ;   in Loop: Header=BB283_11 Depth=1
	s_delay_alu instid0(VALU_DEP_3) | instskip(NEXT) | instid1(VALU_DEP_1)
	v_clz_i32_u32_e32 v2, v110
	v_min_u32_e32 v2, 32, v2
	s_delay_alu instid0(VALU_DEP_1) | instskip(SKIP_1) | instid1(VALU_DEP_2)
	v_subrev_nc_u32_e32 v4, 28, v2
	v_sub_nc_u32_e32 v2, 29, v2
	v_lshlrev_b64 v[4:5], v4, v[110:111]
	s_delay_alu instid0(VALU_DEP_1)
	v_and_b32_e32 v110, 7, v4
; %bb.584:                              ;   in Loop: Header=BB283_11 Depth=1
	s_or_b32 exec_lo, exec_lo, s21
	v_dual_mov_b32 v180, v111 :: v_dual_lshlrev_b32 v3, 24, v3
	s_delay_alu instid0(VALU_DEP_2) | instskip(SKIP_1) | instid1(VALU_DEP_3)
	v_lshlrev_b32_e32 v4, 20, v110
	v_lshl_add_u32 v2, v2, 23, 0x3c000000
	v_and_b32_e32 v3, 0x80000000, v3
	s_delay_alu instid0(VALU_DEP_1)
	v_or3_b32 v181, v4, v3, v2
.LBB283_585:                            ;   in Loop: Header=BB283_11 Depth=1
	s_or_b32 exec_lo, exec_lo, s8
.LBB283_586:                            ;   in Loop: Header=BB283_11 Depth=1
	s_delay_alu instid0(SALU_CYCLE_1)
	s_or_b32 exec_lo, exec_lo, s20
.LBB283_587:                            ;   in Loop: Header=BB283_11 Depth=1
	s_delay_alu instid0(SALU_CYCLE_1) | instskip(SKIP_4) | instid1(VALU_DEP_1)
	s_or_b32 exec_lo, exec_lo, s19
	flat_load_b32 v2, v[172:173] offset:2056
	v_mov_b32_e32 v40, 0
	v_mov_b32_e32 v41, 0
	s_mov_b32 s8, exec_lo
	v_dual_mov_b32 v43, v41 :: v_dual_mov_b32 v42, v40
	s_waitcnt vmcnt(0) lgkmcnt(0)
	v_and_b32_e32 v3, 0xff, v2
	s_delay_alu instid0(VALU_DEP_1)
	v_cmpx_ne_u16_e32 0, v3
	s_cbranch_execz .LBB283_595
; %bb.588:                              ;   in Loop: Header=BB283_11 Depth=1
	v_bfrev_b32_e32 v42, 1
	v_mov_b32_e32 v43, 0
	s_mov_b32 s19, exec_lo
	v_cmpx_ne_u16_e32 0x80, v3
	s_cbranch_execz .LBB283_594
; %bb.589:                              ;   in Loop: Header=BB283_11 Depth=1
	v_mov_b32_e32 v42, 0x7f800001
	v_dual_mov_b32 v43, 0 :: v_dual_and_b32 v4, 0x7f, v2
	s_mov_b32 s20, exec_lo
	s_delay_alu instid0(VALU_DEP_1)
	v_cmpx_ne_u32_e32 0x7f, v4
	s_cbranch_execz .LBB283_593
; %bb.590:                              ;   in Loop: Header=BB283_11 Depth=1
	v_and_b32_e32 v110, 7, v2
	v_lshrrev_b32_e32 v3, 3, v4
	s_mov_b32 s21, exec_lo
	v_cmpx_gt_u32_e32 8, v4
; %bb.591:                              ;   in Loop: Header=BB283_11 Depth=1
	s_delay_alu instid0(VALU_DEP_3) | instskip(NEXT) | instid1(VALU_DEP_1)
	v_clz_i32_u32_e32 v3, v110
	v_min_u32_e32 v3, 32, v3
	s_delay_alu instid0(VALU_DEP_1) | instskip(SKIP_1) | instid1(VALU_DEP_2)
	v_subrev_nc_u32_e32 v4, 28, v3
	v_sub_nc_u32_e32 v3, 29, v3
	v_lshlrev_b64 v[4:5], v4, v[110:111]
	s_delay_alu instid0(VALU_DEP_1)
	v_and_b32_e32 v110, 7, v4
; %bb.592:                              ;   in Loop: Header=BB283_11 Depth=1
	s_or_b32 exec_lo, exec_lo, s21
	v_lshlrev_b32_e32 v4, 24, v2
	s_delay_alu instid0(VALU_DEP_2) | instskip(SKIP_1) | instid1(VALU_DEP_3)
	v_lshlrev_b32_e32 v5, 20, v110
	v_lshl_add_u32 v3, v3, 23, 0x3c000000
	v_and_b32_e32 v4, 0x80000000, v4
	s_delay_alu instid0(VALU_DEP_1) | instskip(NEXT) | instid1(VALU_DEP_1)
	v_or3_b32 v110, v5, v4, v3
	v_dual_mov_b32 v42, v110 :: v_dual_mov_b32 v43, v111
.LBB283_593:                            ;   in Loop: Header=BB283_11 Depth=1
	s_or_b32 exec_lo, exec_lo, s20
.LBB283_594:                            ;   in Loop: Header=BB283_11 Depth=1
	s_delay_alu instid0(SALU_CYCLE_1)
	s_or_b32 exec_lo, exec_lo, s19
.LBB283_595:                            ;   in Loop: Header=BB283_11 Depth=1
	s_delay_alu instid0(SALU_CYCLE_1) | instskip(SKIP_2) | instid1(VALU_DEP_1)
	s_or_b32 exec_lo, exec_lo, s8
	v_lshrrev_b16 v3, 8, v2
	s_mov_b32 s19, exec_lo
	v_cmpx_ne_u16_e32 0, v3
	s_cbranch_execz .LBB283_603
; %bb.596:                              ;   in Loop: Header=BB283_11 Depth=1
	v_dual_mov_b32 v41, s3 :: v_dual_mov_b32 v40, s2
	s_mov_b32 s20, exec_lo
	v_cmpx_ne_u16_e32 0x80, v3
	s_cbranch_execz .LBB283_602
; %bb.597:                              ;   in Loop: Header=BB283_11 Depth=1
	s_mov_b32 s8, s2
	v_and_b32_e32 v3, 0xffff, v3
	v_dual_mov_b32 v41, s9 :: v_dual_mov_b32 v40, s8
	s_mov_b32 s8, exec_lo
	s_delay_alu instid0(VALU_DEP_2) | instskip(NEXT) | instid1(VALU_DEP_1)
	v_and_b32_e32 v4, 0x7f, v3
	v_cmpx_ne_u32_e32 0x7f, v4
	s_cbranch_execz .LBB283_601
; %bb.598:                              ;   in Loop: Header=BB283_11 Depth=1
	v_and_b32_e32 v110, 7, v3
	v_lshrrev_b32_e32 v3, 3, v4
	s_mov_b32 s21, exec_lo
	v_cmpx_gt_u32_e32 8, v4
; %bb.599:                              ;   in Loop: Header=BB283_11 Depth=1
	s_delay_alu instid0(VALU_DEP_3) | instskip(NEXT) | instid1(VALU_DEP_1)
	v_clz_i32_u32_e32 v3, v110
	v_min_u32_e32 v3, 32, v3
	s_delay_alu instid0(VALU_DEP_1) | instskip(SKIP_1) | instid1(VALU_DEP_2)
	v_subrev_nc_u32_e32 v4, 28, v3
	v_sub_nc_u32_e32 v3, 29, v3
	v_lshlrev_b64 v[4:5], v4, v[110:111]
	s_delay_alu instid0(VALU_DEP_1)
	v_and_b32_e32 v110, 7, v4
; %bb.600:                              ;   in Loop: Header=BB283_11 Depth=1
	s_or_b32 exec_lo, exec_lo, s21
	v_lshlrev_b32_e32 v4, 16, v2
	s_delay_alu instid0(VALU_DEP_2) | instskip(SKIP_1) | instid1(VALU_DEP_3)
	v_dual_mov_b32 v40, v111 :: v_dual_lshlrev_b32 v5, 20, v110
	v_lshl_add_u32 v3, v3, 23, 0x3c000000
	v_and_b32_e32 v4, 0x80000000, v4
	s_delay_alu instid0(VALU_DEP_1)
	v_or3_b32 v41, v5, v4, v3
.LBB283_601:                            ;   in Loop: Header=BB283_11 Depth=1
	s_or_b32 exec_lo, exec_lo, s8
.LBB283_602:                            ;   in Loop: Header=BB283_11 Depth=1
	s_delay_alu instid0(SALU_CYCLE_1)
	s_or_b32 exec_lo, exec_lo, s20
.LBB283_603:                            ;   in Loop: Header=BB283_11 Depth=1
	s_delay_alu instid0(SALU_CYCLE_1) | instskip(SKIP_4) | instid1(VALU_DEP_1)
	s_or_b32 exec_lo, exec_lo, s19
	v_mov_b32_e32 v44, 0
	v_lshrrev_b32_e32 v3, 16, v2
	v_mov_b32_e32 v45, 0
	s_mov_b32 s8, exec_lo
	v_dual_mov_b32 v47, v45 :: v_dual_and_b32 v4, 0xff, v3
	v_mov_b32_e32 v46, v44
	s_delay_alu instid0(VALU_DEP_2)
	v_cmpx_ne_u16_e32 0, v4
	s_cbranch_execz .LBB283_611
; %bb.604:                              ;   in Loop: Header=BB283_11 Depth=1
	v_bfrev_b32_e32 v46, 1
	v_mov_b32_e32 v47, 0
	s_mov_b32 s19, exec_lo
	v_cmpx_ne_u16_e32 0x80, v4
	s_cbranch_execz .LBB283_610
; %bb.605:                              ;   in Loop: Header=BB283_11 Depth=1
	v_mov_b32_e32 v46, 0x7f800001
	v_bfe_u32 v5, v2, 16, 7
	v_mov_b32_e32 v47, 0
	s_mov_b32 s20, exec_lo
	s_delay_alu instid0(VALU_DEP_2)
	v_cmpx_ne_u32_e32 0x7f, v5
	s_cbranch_execz .LBB283_609
; %bb.606:                              ;   in Loop: Header=BB283_11 Depth=1
	v_and_b32_e32 v110, 7, v3
	v_lshrrev_b32_e32 v4, 3, v5
	s_mov_b32 s21, exec_lo
	v_cmpx_gt_u32_e32 8, v5
; %bb.607:                              ;   in Loop: Header=BB283_11 Depth=1
	s_delay_alu instid0(VALU_DEP_3) | instskip(NEXT) | instid1(VALU_DEP_1)
	v_clz_i32_u32_e32 v4, v110
	v_min_u32_e32 v4, 32, v4
	s_delay_alu instid0(VALU_DEP_1) | instskip(SKIP_1) | instid1(VALU_DEP_2)
	v_subrev_nc_u32_e32 v5, 28, v4
	v_sub_nc_u32_e32 v4, 29, v4
	v_lshlrev_b64 v[8:9], v5, v[110:111]
	s_delay_alu instid0(VALU_DEP_1)
	v_and_b32_e32 v110, 7, v8
; %bb.608:                              ;   in Loop: Header=BB283_11 Depth=1
	s_or_b32 exec_lo, exec_lo, s21
	v_lshlrev_b32_e32 v3, 24, v3
	s_delay_alu instid0(VALU_DEP_2) | instskip(SKIP_1) | instid1(VALU_DEP_3)
	v_lshlrev_b32_e32 v5, 20, v110
	v_lshl_add_u32 v4, v4, 23, 0x3c000000
	v_and_b32_e32 v3, 0x80000000, v3
	s_delay_alu instid0(VALU_DEP_1) | instskip(NEXT) | instid1(VALU_DEP_1)
	v_or3_b32 v110, v5, v3, v4
	v_dual_mov_b32 v46, v110 :: v_dual_mov_b32 v47, v111
.LBB283_609:                            ;   in Loop: Header=BB283_11 Depth=1
	s_or_b32 exec_lo, exec_lo, s20
.LBB283_610:                            ;   in Loop: Header=BB283_11 Depth=1
	s_delay_alu instid0(SALU_CYCLE_1)
	s_or_b32 exec_lo, exec_lo, s19
.LBB283_611:                            ;   in Loop: Header=BB283_11 Depth=1
	s_delay_alu instid0(SALU_CYCLE_1) | instskip(NEXT) | instid1(SALU_CYCLE_1)
	s_or_b32 exec_lo, exec_lo, s8
	s_mov_b32 s19, exec_lo
	v_cmpx_lt_u32_e32 0xffffff, v2
	s_cbranch_execz .LBB283_619
; %bb.612:                              ;   in Loop: Header=BB283_11 Depth=1
	v_lshrrev_b32_e32 v3, 24, v2
	v_dual_mov_b32 v45, s3 :: v_dual_mov_b32 v44, s2
	s_mov_b32 s20, exec_lo
	s_delay_alu instid0(VALU_DEP_2)
	v_cmpx_ne_u32_e32 0x80, v3
	s_cbranch_execz .LBB283_618
; %bb.613:                              ;   in Loop: Header=BB283_11 Depth=1
	s_mov_b32 s8, s2
	v_bfe_u32 v4, v2, 24, 7
	v_dual_mov_b32 v45, s9 :: v_dual_mov_b32 v44, s8
	s_mov_b32 s8, exec_lo
	s_delay_alu instid0(VALU_DEP_2)
	v_cmpx_ne_u32_e32 0x7f, v4
	s_cbranch_execz .LBB283_617
; %bb.614:                              ;   in Loop: Header=BB283_11 Depth=1
	v_and_b32_e32 v110, 7, v3
	v_lshrrev_b32_e32 v2, 3, v4
	s_mov_b32 s21, exec_lo
	v_cmpx_gt_u32_e32 8, v4
; %bb.615:                              ;   in Loop: Header=BB283_11 Depth=1
	s_delay_alu instid0(VALU_DEP_3) | instskip(NEXT) | instid1(VALU_DEP_1)
	v_clz_i32_u32_e32 v2, v110
	v_min_u32_e32 v2, 32, v2
	s_delay_alu instid0(VALU_DEP_1) | instskip(SKIP_1) | instid1(VALU_DEP_2)
	v_subrev_nc_u32_e32 v4, 28, v2
	v_sub_nc_u32_e32 v2, 29, v2
	v_lshlrev_b64 v[4:5], v4, v[110:111]
	s_delay_alu instid0(VALU_DEP_1)
	v_and_b32_e32 v110, 7, v4
; %bb.616:                              ;   in Loop: Header=BB283_11 Depth=1
	s_or_b32 exec_lo, exec_lo, s21
	v_dual_mov_b32 v44, v111 :: v_dual_lshlrev_b32 v3, 24, v3
	s_delay_alu instid0(VALU_DEP_2) | instskip(SKIP_1) | instid1(VALU_DEP_3)
	v_lshlrev_b32_e32 v4, 20, v110
	v_lshl_add_u32 v2, v2, 23, 0x3c000000
	v_and_b32_e32 v3, 0x80000000, v3
	s_delay_alu instid0(VALU_DEP_1)
	v_or3_b32 v45, v4, v3, v2
.LBB283_617:                            ;   in Loop: Header=BB283_11 Depth=1
	s_or_b32 exec_lo, exec_lo, s8
.LBB283_618:                            ;   in Loop: Header=BB283_11 Depth=1
	s_delay_alu instid0(SALU_CYCLE_1)
	s_or_b32 exec_lo, exec_lo, s20
.LBB283_619:                            ;   in Loop: Header=BB283_11 Depth=1
	s_delay_alu instid0(SALU_CYCLE_1) | instskip(SKIP_4) | instid1(VALU_DEP_1)
	s_or_b32 exec_lo, exec_lo, s19
	flat_load_b32 v2, v[172:173] offset:2060
	v_mov_b32_e32 v56, 0
	v_mov_b32_e32 v57, 0
	s_mov_b32 s8, exec_lo
	v_dual_mov_b32 v59, v57 :: v_dual_mov_b32 v58, v56
	s_waitcnt vmcnt(0) lgkmcnt(0)
	v_and_b32_e32 v3, 0xff, v2
	s_delay_alu instid0(VALU_DEP_1)
	v_cmpx_ne_u16_e32 0, v3
	s_cbranch_execz .LBB283_627
; %bb.620:                              ;   in Loop: Header=BB283_11 Depth=1
	v_bfrev_b32_e32 v58, 1
	v_mov_b32_e32 v59, 0
	s_mov_b32 s19, exec_lo
	v_cmpx_ne_u16_e32 0x80, v3
	s_cbranch_execz .LBB283_626
; %bb.621:                              ;   in Loop: Header=BB283_11 Depth=1
	v_mov_b32_e32 v58, 0x7f800001
	v_dual_mov_b32 v59, 0 :: v_dual_and_b32 v4, 0x7f, v2
	s_mov_b32 s20, exec_lo
	s_delay_alu instid0(VALU_DEP_1)
	v_cmpx_ne_u32_e32 0x7f, v4
	s_cbranch_execz .LBB283_625
; %bb.622:                              ;   in Loop: Header=BB283_11 Depth=1
	v_and_b32_e32 v110, 7, v2
	v_lshrrev_b32_e32 v3, 3, v4
	s_mov_b32 s21, exec_lo
	v_cmpx_gt_u32_e32 8, v4
; %bb.623:                              ;   in Loop: Header=BB283_11 Depth=1
	s_delay_alu instid0(VALU_DEP_3) | instskip(NEXT) | instid1(VALU_DEP_1)
	v_clz_i32_u32_e32 v3, v110
	v_min_u32_e32 v3, 32, v3
	s_delay_alu instid0(VALU_DEP_1) | instskip(SKIP_1) | instid1(VALU_DEP_2)
	v_subrev_nc_u32_e32 v4, 28, v3
	v_sub_nc_u32_e32 v3, 29, v3
	v_lshlrev_b64 v[4:5], v4, v[110:111]
	s_delay_alu instid0(VALU_DEP_1)
	v_and_b32_e32 v110, 7, v4
; %bb.624:                              ;   in Loop: Header=BB283_11 Depth=1
	s_or_b32 exec_lo, exec_lo, s21
	v_lshlrev_b32_e32 v4, 24, v2
	s_delay_alu instid0(VALU_DEP_2) | instskip(SKIP_1) | instid1(VALU_DEP_3)
	v_lshlrev_b32_e32 v5, 20, v110
	v_lshl_add_u32 v3, v3, 23, 0x3c000000
	v_and_b32_e32 v4, 0x80000000, v4
	s_delay_alu instid0(VALU_DEP_1) | instskip(NEXT) | instid1(VALU_DEP_1)
	v_or3_b32 v110, v5, v4, v3
	v_dual_mov_b32 v58, v110 :: v_dual_mov_b32 v59, v111
.LBB283_625:                            ;   in Loop: Header=BB283_11 Depth=1
	s_or_b32 exec_lo, exec_lo, s20
.LBB283_626:                            ;   in Loop: Header=BB283_11 Depth=1
	s_delay_alu instid0(SALU_CYCLE_1)
	s_or_b32 exec_lo, exec_lo, s19
.LBB283_627:                            ;   in Loop: Header=BB283_11 Depth=1
	s_delay_alu instid0(SALU_CYCLE_1) | instskip(SKIP_2) | instid1(VALU_DEP_1)
	s_or_b32 exec_lo, exec_lo, s8
	v_lshrrev_b16 v3, 8, v2
	s_mov_b32 s19, exec_lo
	v_cmpx_ne_u16_e32 0, v3
	s_cbranch_execz .LBB283_635
; %bb.628:                              ;   in Loop: Header=BB283_11 Depth=1
	v_dual_mov_b32 v57, s3 :: v_dual_mov_b32 v56, s2
	s_mov_b32 s20, exec_lo
	v_cmpx_ne_u16_e32 0x80, v3
	s_cbranch_execz .LBB283_634
; %bb.629:                              ;   in Loop: Header=BB283_11 Depth=1
	s_mov_b32 s8, s2
	v_and_b32_e32 v3, 0xffff, v3
	v_dual_mov_b32 v57, s9 :: v_dual_mov_b32 v56, s8
	s_mov_b32 s8, exec_lo
	s_delay_alu instid0(VALU_DEP_2) | instskip(NEXT) | instid1(VALU_DEP_1)
	v_and_b32_e32 v4, 0x7f, v3
	v_cmpx_ne_u32_e32 0x7f, v4
	s_cbranch_execz .LBB283_633
; %bb.630:                              ;   in Loop: Header=BB283_11 Depth=1
	v_and_b32_e32 v110, 7, v3
	v_lshrrev_b32_e32 v3, 3, v4
	s_mov_b32 s21, exec_lo
	v_cmpx_gt_u32_e32 8, v4
; %bb.631:                              ;   in Loop: Header=BB283_11 Depth=1
	s_delay_alu instid0(VALU_DEP_3) | instskip(NEXT) | instid1(VALU_DEP_1)
	v_clz_i32_u32_e32 v3, v110
	v_min_u32_e32 v3, 32, v3
	s_delay_alu instid0(VALU_DEP_1) | instskip(SKIP_1) | instid1(VALU_DEP_2)
	v_subrev_nc_u32_e32 v4, 28, v3
	v_sub_nc_u32_e32 v3, 29, v3
	v_lshlrev_b64 v[4:5], v4, v[110:111]
	s_delay_alu instid0(VALU_DEP_1)
	v_and_b32_e32 v110, 7, v4
; %bb.632:                              ;   in Loop: Header=BB283_11 Depth=1
	s_or_b32 exec_lo, exec_lo, s21
	v_lshlrev_b32_e32 v4, 16, v2
	s_delay_alu instid0(VALU_DEP_2) | instskip(SKIP_1) | instid1(VALU_DEP_3)
	v_dual_mov_b32 v56, v111 :: v_dual_lshlrev_b32 v5, 20, v110
	v_lshl_add_u32 v3, v3, 23, 0x3c000000
	v_and_b32_e32 v4, 0x80000000, v4
	s_delay_alu instid0(VALU_DEP_1)
	v_or3_b32 v57, v5, v4, v3
.LBB283_633:                            ;   in Loop: Header=BB283_11 Depth=1
	s_or_b32 exec_lo, exec_lo, s8
.LBB283_634:                            ;   in Loop: Header=BB283_11 Depth=1
	s_delay_alu instid0(SALU_CYCLE_1)
	s_or_b32 exec_lo, exec_lo, s20
.LBB283_635:                            ;   in Loop: Header=BB283_11 Depth=1
	s_delay_alu instid0(SALU_CYCLE_1) | instskip(SKIP_4) | instid1(VALU_DEP_1)
	s_or_b32 exec_lo, exec_lo, s19
	v_mov_b32_e32 v60, 0
	v_lshrrev_b32_e32 v3, 16, v2
	v_mov_b32_e32 v61, 0
	s_mov_b32 s8, exec_lo
	v_dual_mov_b32 v63, v61 :: v_dual_and_b32 v4, 0xff, v3
	v_mov_b32_e32 v62, v60
	s_delay_alu instid0(VALU_DEP_2)
	v_cmpx_ne_u16_e32 0, v4
	s_cbranch_execz .LBB283_643
; %bb.636:                              ;   in Loop: Header=BB283_11 Depth=1
	v_bfrev_b32_e32 v62, 1
	v_mov_b32_e32 v63, 0
	s_mov_b32 s19, exec_lo
	v_cmpx_ne_u16_e32 0x80, v4
	s_cbranch_execz .LBB283_642
; %bb.637:                              ;   in Loop: Header=BB283_11 Depth=1
	v_mov_b32_e32 v62, 0x7f800001
	v_bfe_u32 v5, v2, 16, 7
	v_mov_b32_e32 v63, 0
	s_mov_b32 s20, exec_lo
	s_delay_alu instid0(VALU_DEP_2)
	v_cmpx_ne_u32_e32 0x7f, v5
	s_cbranch_execz .LBB283_641
; %bb.638:                              ;   in Loop: Header=BB283_11 Depth=1
	v_and_b32_e32 v110, 7, v3
	v_lshrrev_b32_e32 v4, 3, v5
	s_mov_b32 s21, exec_lo
	v_cmpx_gt_u32_e32 8, v5
; %bb.639:                              ;   in Loop: Header=BB283_11 Depth=1
	s_delay_alu instid0(VALU_DEP_3) | instskip(NEXT) | instid1(VALU_DEP_1)
	v_clz_i32_u32_e32 v4, v110
	v_min_u32_e32 v4, 32, v4
	s_delay_alu instid0(VALU_DEP_1) | instskip(SKIP_1) | instid1(VALU_DEP_2)
	v_subrev_nc_u32_e32 v5, 28, v4
	v_sub_nc_u32_e32 v4, 29, v4
	v_lshlrev_b64 v[8:9], v5, v[110:111]
	s_delay_alu instid0(VALU_DEP_1)
	v_and_b32_e32 v110, 7, v8
; %bb.640:                              ;   in Loop: Header=BB283_11 Depth=1
	s_or_b32 exec_lo, exec_lo, s21
	v_lshlrev_b32_e32 v3, 24, v3
	s_delay_alu instid0(VALU_DEP_2) | instskip(SKIP_1) | instid1(VALU_DEP_3)
	v_lshlrev_b32_e32 v5, 20, v110
	v_lshl_add_u32 v4, v4, 23, 0x3c000000
	v_and_b32_e32 v3, 0x80000000, v3
	s_delay_alu instid0(VALU_DEP_1) | instskip(NEXT) | instid1(VALU_DEP_1)
	v_or3_b32 v110, v5, v3, v4
	v_dual_mov_b32 v62, v110 :: v_dual_mov_b32 v63, v111
.LBB283_641:                            ;   in Loop: Header=BB283_11 Depth=1
	s_or_b32 exec_lo, exec_lo, s20
.LBB283_642:                            ;   in Loop: Header=BB283_11 Depth=1
	s_delay_alu instid0(SALU_CYCLE_1)
	s_or_b32 exec_lo, exec_lo, s19
.LBB283_643:                            ;   in Loop: Header=BB283_11 Depth=1
	s_delay_alu instid0(SALU_CYCLE_1) | instskip(NEXT) | instid1(SALU_CYCLE_1)
	s_or_b32 exec_lo, exec_lo, s8
	s_mov_b32 s19, exec_lo
	v_cmpx_lt_u32_e32 0xffffff, v2
	s_cbranch_execz .LBB283_651
; %bb.644:                              ;   in Loop: Header=BB283_11 Depth=1
	v_lshrrev_b32_e32 v3, 24, v2
	v_dual_mov_b32 v61, s3 :: v_dual_mov_b32 v60, s2
	s_mov_b32 s20, exec_lo
	s_delay_alu instid0(VALU_DEP_2)
	v_cmpx_ne_u32_e32 0x80, v3
	s_cbranch_execz .LBB283_650
; %bb.645:                              ;   in Loop: Header=BB283_11 Depth=1
	s_mov_b32 s8, s2
	v_bfe_u32 v4, v2, 24, 7
	v_dual_mov_b32 v61, s9 :: v_dual_mov_b32 v60, s8
	s_mov_b32 s8, exec_lo
	s_delay_alu instid0(VALU_DEP_2)
	v_cmpx_ne_u32_e32 0x7f, v4
	s_cbranch_execz .LBB283_649
; %bb.646:                              ;   in Loop: Header=BB283_11 Depth=1
	v_and_b32_e32 v110, 7, v3
	v_lshrrev_b32_e32 v2, 3, v4
	s_mov_b32 s21, exec_lo
	v_cmpx_gt_u32_e32 8, v4
; %bb.647:                              ;   in Loop: Header=BB283_11 Depth=1
	s_delay_alu instid0(VALU_DEP_3) | instskip(NEXT) | instid1(VALU_DEP_1)
	v_clz_i32_u32_e32 v2, v110
	v_min_u32_e32 v2, 32, v2
	s_delay_alu instid0(VALU_DEP_1) | instskip(SKIP_1) | instid1(VALU_DEP_2)
	v_subrev_nc_u32_e32 v4, 28, v2
	v_sub_nc_u32_e32 v2, 29, v2
	v_lshlrev_b64 v[4:5], v4, v[110:111]
	s_delay_alu instid0(VALU_DEP_1)
	v_and_b32_e32 v110, 7, v4
; %bb.648:                              ;   in Loop: Header=BB283_11 Depth=1
	s_or_b32 exec_lo, exec_lo, s21
	v_dual_mov_b32 v60, v111 :: v_dual_lshlrev_b32 v3, 24, v3
	s_delay_alu instid0(VALU_DEP_2) | instskip(SKIP_1) | instid1(VALU_DEP_3)
	v_lshlrev_b32_e32 v4, 20, v110
	v_lshl_add_u32 v2, v2, 23, 0x3c000000
	v_and_b32_e32 v3, 0x80000000, v3
	s_delay_alu instid0(VALU_DEP_1)
	v_or3_b32 v61, v4, v3, v2
.LBB283_649:                            ;   in Loop: Header=BB283_11 Depth=1
	s_or_b32 exec_lo, exec_lo, s8
.LBB283_650:                            ;   in Loop: Header=BB283_11 Depth=1
	s_delay_alu instid0(SALU_CYCLE_1)
	s_or_b32 exec_lo, exec_lo, s20
.LBB283_651:                            ;   in Loop: Header=BB283_11 Depth=1
	s_delay_alu instid0(SALU_CYCLE_1) | instskip(SKIP_4) | instid1(VALU_DEP_1)
	s_or_b32 exec_lo, exec_lo, s19
	flat_load_b32 v2, v[172:173] offset:2560
	v_mov_b32_e32 v72, 0
	v_mov_b32_e32 v73, 0
	s_mov_b32 s8, exec_lo
	v_dual_mov_b32 v75, v73 :: v_dual_mov_b32 v74, v72
	s_waitcnt vmcnt(0) lgkmcnt(0)
	v_and_b32_e32 v3, 0xff, v2
	s_delay_alu instid0(VALU_DEP_1)
	v_cmpx_ne_u16_e32 0, v3
	s_cbranch_execz .LBB283_659
; %bb.652:                              ;   in Loop: Header=BB283_11 Depth=1
	v_bfrev_b32_e32 v74, 1
	v_mov_b32_e32 v75, 0
	s_mov_b32 s19, exec_lo
	v_cmpx_ne_u16_e32 0x80, v3
	s_cbranch_execz .LBB283_658
; %bb.653:                              ;   in Loop: Header=BB283_11 Depth=1
	v_mov_b32_e32 v74, 0x7f800001
	v_dual_mov_b32 v75, 0 :: v_dual_and_b32 v4, 0x7f, v2
	s_mov_b32 s20, exec_lo
	s_delay_alu instid0(VALU_DEP_1)
	v_cmpx_ne_u32_e32 0x7f, v4
	s_cbranch_execz .LBB283_657
; %bb.654:                              ;   in Loop: Header=BB283_11 Depth=1
	v_and_b32_e32 v110, 7, v2
	v_lshrrev_b32_e32 v3, 3, v4
	s_mov_b32 s21, exec_lo
	v_cmpx_gt_u32_e32 8, v4
; %bb.655:                              ;   in Loop: Header=BB283_11 Depth=1
	s_delay_alu instid0(VALU_DEP_3) | instskip(NEXT) | instid1(VALU_DEP_1)
	v_clz_i32_u32_e32 v3, v110
	v_min_u32_e32 v3, 32, v3
	s_delay_alu instid0(VALU_DEP_1) | instskip(SKIP_1) | instid1(VALU_DEP_2)
	v_subrev_nc_u32_e32 v4, 28, v3
	v_sub_nc_u32_e32 v3, 29, v3
	v_lshlrev_b64 v[4:5], v4, v[110:111]
	s_delay_alu instid0(VALU_DEP_1)
	v_and_b32_e32 v110, 7, v4
; %bb.656:                              ;   in Loop: Header=BB283_11 Depth=1
	s_or_b32 exec_lo, exec_lo, s21
	v_lshlrev_b32_e32 v4, 24, v2
	s_delay_alu instid0(VALU_DEP_2) | instskip(SKIP_1) | instid1(VALU_DEP_3)
	v_lshlrev_b32_e32 v5, 20, v110
	v_lshl_add_u32 v3, v3, 23, 0x3c000000
	v_and_b32_e32 v4, 0x80000000, v4
	s_delay_alu instid0(VALU_DEP_1) | instskip(NEXT) | instid1(VALU_DEP_1)
	v_or3_b32 v110, v5, v4, v3
	v_dual_mov_b32 v74, v110 :: v_dual_mov_b32 v75, v111
.LBB283_657:                            ;   in Loop: Header=BB283_11 Depth=1
	s_or_b32 exec_lo, exec_lo, s20
.LBB283_658:                            ;   in Loop: Header=BB283_11 Depth=1
	s_delay_alu instid0(SALU_CYCLE_1)
	s_or_b32 exec_lo, exec_lo, s19
.LBB283_659:                            ;   in Loop: Header=BB283_11 Depth=1
	s_delay_alu instid0(SALU_CYCLE_1) | instskip(SKIP_2) | instid1(VALU_DEP_1)
	s_or_b32 exec_lo, exec_lo, s8
	v_lshrrev_b16 v3, 8, v2
	s_mov_b32 s19, exec_lo
	v_cmpx_ne_u16_e32 0, v3
	s_cbranch_execz .LBB283_667
; %bb.660:                              ;   in Loop: Header=BB283_11 Depth=1
	v_dual_mov_b32 v73, s3 :: v_dual_mov_b32 v72, s2
	s_mov_b32 s20, exec_lo
	v_cmpx_ne_u16_e32 0x80, v3
	s_cbranch_execz .LBB283_666
; %bb.661:                              ;   in Loop: Header=BB283_11 Depth=1
	s_mov_b32 s8, s2
	v_and_b32_e32 v3, 0xffff, v3
	v_dual_mov_b32 v73, s9 :: v_dual_mov_b32 v72, s8
	s_mov_b32 s8, exec_lo
	s_delay_alu instid0(VALU_DEP_2) | instskip(NEXT) | instid1(VALU_DEP_1)
	v_and_b32_e32 v4, 0x7f, v3
	v_cmpx_ne_u32_e32 0x7f, v4
	s_cbranch_execz .LBB283_665
; %bb.662:                              ;   in Loop: Header=BB283_11 Depth=1
	v_and_b32_e32 v110, 7, v3
	v_lshrrev_b32_e32 v3, 3, v4
	s_mov_b32 s21, exec_lo
	v_cmpx_gt_u32_e32 8, v4
; %bb.663:                              ;   in Loop: Header=BB283_11 Depth=1
	s_delay_alu instid0(VALU_DEP_3) | instskip(NEXT) | instid1(VALU_DEP_1)
	v_clz_i32_u32_e32 v3, v110
	v_min_u32_e32 v3, 32, v3
	s_delay_alu instid0(VALU_DEP_1) | instskip(SKIP_1) | instid1(VALU_DEP_2)
	v_subrev_nc_u32_e32 v4, 28, v3
	v_sub_nc_u32_e32 v3, 29, v3
	v_lshlrev_b64 v[4:5], v4, v[110:111]
	s_delay_alu instid0(VALU_DEP_1)
	v_and_b32_e32 v110, 7, v4
; %bb.664:                              ;   in Loop: Header=BB283_11 Depth=1
	s_or_b32 exec_lo, exec_lo, s21
	v_lshlrev_b32_e32 v4, 16, v2
	s_delay_alu instid0(VALU_DEP_2) | instskip(SKIP_1) | instid1(VALU_DEP_3)
	v_dual_mov_b32 v72, v111 :: v_dual_lshlrev_b32 v5, 20, v110
	v_lshl_add_u32 v3, v3, 23, 0x3c000000
	v_and_b32_e32 v4, 0x80000000, v4
	s_delay_alu instid0(VALU_DEP_1)
	v_or3_b32 v73, v5, v4, v3
.LBB283_665:                            ;   in Loop: Header=BB283_11 Depth=1
	s_or_b32 exec_lo, exec_lo, s8
.LBB283_666:                            ;   in Loop: Header=BB283_11 Depth=1
	s_delay_alu instid0(SALU_CYCLE_1)
	s_or_b32 exec_lo, exec_lo, s20
.LBB283_667:                            ;   in Loop: Header=BB283_11 Depth=1
	s_delay_alu instid0(SALU_CYCLE_1) | instskip(SKIP_4) | instid1(VALU_DEP_1)
	s_or_b32 exec_lo, exec_lo, s19
	v_mov_b32_e32 v76, 0
	v_lshrrev_b32_e32 v3, 16, v2
	v_mov_b32_e32 v77, 0
	s_mov_b32 s8, exec_lo
	v_dual_mov_b32 v79, v77 :: v_dual_and_b32 v4, 0xff, v3
	v_mov_b32_e32 v78, v76
	s_delay_alu instid0(VALU_DEP_2)
	v_cmpx_ne_u16_e32 0, v4
	s_cbranch_execz .LBB283_675
; %bb.668:                              ;   in Loop: Header=BB283_11 Depth=1
	v_bfrev_b32_e32 v78, 1
	v_mov_b32_e32 v79, 0
	s_mov_b32 s19, exec_lo
	v_cmpx_ne_u16_e32 0x80, v4
	s_cbranch_execz .LBB283_674
; %bb.669:                              ;   in Loop: Header=BB283_11 Depth=1
	v_mov_b32_e32 v78, 0x7f800001
	v_bfe_u32 v5, v2, 16, 7
	v_mov_b32_e32 v79, 0
	s_mov_b32 s20, exec_lo
	s_delay_alu instid0(VALU_DEP_2)
	v_cmpx_ne_u32_e32 0x7f, v5
	s_cbranch_execz .LBB283_673
; %bb.670:                              ;   in Loop: Header=BB283_11 Depth=1
	v_and_b32_e32 v110, 7, v3
	v_lshrrev_b32_e32 v4, 3, v5
	s_mov_b32 s21, exec_lo
	v_cmpx_gt_u32_e32 8, v5
; %bb.671:                              ;   in Loop: Header=BB283_11 Depth=1
	s_delay_alu instid0(VALU_DEP_3) | instskip(NEXT) | instid1(VALU_DEP_1)
	v_clz_i32_u32_e32 v4, v110
	v_min_u32_e32 v4, 32, v4
	s_delay_alu instid0(VALU_DEP_1) | instskip(SKIP_1) | instid1(VALU_DEP_2)
	v_subrev_nc_u32_e32 v5, 28, v4
	v_sub_nc_u32_e32 v4, 29, v4
	v_lshlrev_b64 v[8:9], v5, v[110:111]
	s_delay_alu instid0(VALU_DEP_1)
	v_and_b32_e32 v110, 7, v8
; %bb.672:                              ;   in Loop: Header=BB283_11 Depth=1
	s_or_b32 exec_lo, exec_lo, s21
	v_lshlrev_b32_e32 v3, 24, v3
	s_delay_alu instid0(VALU_DEP_2) | instskip(SKIP_1) | instid1(VALU_DEP_3)
	v_lshlrev_b32_e32 v5, 20, v110
	v_lshl_add_u32 v4, v4, 23, 0x3c000000
	v_and_b32_e32 v3, 0x80000000, v3
	s_delay_alu instid0(VALU_DEP_1) | instskip(NEXT) | instid1(VALU_DEP_1)
	v_or3_b32 v110, v5, v3, v4
	v_dual_mov_b32 v78, v110 :: v_dual_mov_b32 v79, v111
.LBB283_673:                            ;   in Loop: Header=BB283_11 Depth=1
	s_or_b32 exec_lo, exec_lo, s20
.LBB283_674:                            ;   in Loop: Header=BB283_11 Depth=1
	s_delay_alu instid0(SALU_CYCLE_1)
	s_or_b32 exec_lo, exec_lo, s19
.LBB283_675:                            ;   in Loop: Header=BB283_11 Depth=1
	s_delay_alu instid0(SALU_CYCLE_1) | instskip(NEXT) | instid1(SALU_CYCLE_1)
	s_or_b32 exec_lo, exec_lo, s8
	s_mov_b32 s19, exec_lo
	v_cmpx_lt_u32_e32 0xffffff, v2
	s_cbranch_execz .LBB283_683
; %bb.676:                              ;   in Loop: Header=BB283_11 Depth=1
	v_lshrrev_b32_e32 v3, 24, v2
	v_dual_mov_b32 v77, s3 :: v_dual_mov_b32 v76, s2
	s_mov_b32 s20, exec_lo
	s_delay_alu instid0(VALU_DEP_2)
	v_cmpx_ne_u32_e32 0x80, v3
	s_cbranch_execz .LBB283_682
; %bb.677:                              ;   in Loop: Header=BB283_11 Depth=1
	s_mov_b32 s8, s2
	v_bfe_u32 v4, v2, 24, 7
	v_dual_mov_b32 v77, s9 :: v_dual_mov_b32 v76, s8
	s_mov_b32 s8, exec_lo
	s_delay_alu instid0(VALU_DEP_2)
	v_cmpx_ne_u32_e32 0x7f, v4
	s_cbranch_execz .LBB283_681
; %bb.678:                              ;   in Loop: Header=BB283_11 Depth=1
	v_and_b32_e32 v110, 7, v3
	v_lshrrev_b32_e32 v2, 3, v4
	s_mov_b32 s21, exec_lo
	v_cmpx_gt_u32_e32 8, v4
; %bb.679:                              ;   in Loop: Header=BB283_11 Depth=1
	s_delay_alu instid0(VALU_DEP_3) | instskip(NEXT) | instid1(VALU_DEP_1)
	v_clz_i32_u32_e32 v2, v110
	v_min_u32_e32 v2, 32, v2
	s_delay_alu instid0(VALU_DEP_1) | instskip(SKIP_1) | instid1(VALU_DEP_2)
	v_subrev_nc_u32_e32 v4, 28, v2
	v_sub_nc_u32_e32 v2, 29, v2
	v_lshlrev_b64 v[4:5], v4, v[110:111]
	s_delay_alu instid0(VALU_DEP_1)
	v_and_b32_e32 v110, 7, v4
; %bb.680:                              ;   in Loop: Header=BB283_11 Depth=1
	s_or_b32 exec_lo, exec_lo, s21
	v_dual_mov_b32 v76, v111 :: v_dual_lshlrev_b32 v3, 24, v3
	s_delay_alu instid0(VALU_DEP_2) | instskip(SKIP_1) | instid1(VALU_DEP_3)
	v_lshlrev_b32_e32 v4, 20, v110
	v_lshl_add_u32 v2, v2, 23, 0x3c000000
	v_and_b32_e32 v3, 0x80000000, v3
	s_delay_alu instid0(VALU_DEP_1)
	v_or3_b32 v77, v4, v3, v2
.LBB283_681:                            ;   in Loop: Header=BB283_11 Depth=1
	s_or_b32 exec_lo, exec_lo, s8
.LBB283_682:                            ;   in Loop: Header=BB283_11 Depth=1
	s_delay_alu instid0(SALU_CYCLE_1)
	s_or_b32 exec_lo, exec_lo, s20
.LBB283_683:                            ;   in Loop: Header=BB283_11 Depth=1
	s_delay_alu instid0(SALU_CYCLE_1) | instskip(SKIP_4) | instid1(VALU_DEP_1)
	s_or_b32 exec_lo, exec_lo, s19
	flat_load_b32 v2, v[172:173] offset:2564
	v_mov_b32_e32 v88, 0
	v_mov_b32_e32 v89, 0
	s_mov_b32 s8, exec_lo
	v_dual_mov_b32 v91, v89 :: v_dual_mov_b32 v90, v88
	s_waitcnt vmcnt(0) lgkmcnt(0)
	v_and_b32_e32 v3, 0xff, v2
	s_delay_alu instid0(VALU_DEP_1)
	v_cmpx_ne_u16_e32 0, v3
	s_cbranch_execz .LBB283_691
; %bb.684:                              ;   in Loop: Header=BB283_11 Depth=1
	v_bfrev_b32_e32 v90, 1
	v_mov_b32_e32 v91, 0
	s_mov_b32 s19, exec_lo
	v_cmpx_ne_u16_e32 0x80, v3
	s_cbranch_execz .LBB283_690
; %bb.685:                              ;   in Loop: Header=BB283_11 Depth=1
	v_mov_b32_e32 v90, 0x7f800001
	v_dual_mov_b32 v91, 0 :: v_dual_and_b32 v4, 0x7f, v2
	s_mov_b32 s20, exec_lo
	s_delay_alu instid0(VALU_DEP_1)
	v_cmpx_ne_u32_e32 0x7f, v4
	s_cbranch_execz .LBB283_689
; %bb.686:                              ;   in Loop: Header=BB283_11 Depth=1
	v_and_b32_e32 v110, 7, v2
	v_lshrrev_b32_e32 v3, 3, v4
	s_mov_b32 s21, exec_lo
	v_cmpx_gt_u32_e32 8, v4
; %bb.687:                              ;   in Loop: Header=BB283_11 Depth=1
	s_delay_alu instid0(VALU_DEP_3) | instskip(NEXT) | instid1(VALU_DEP_1)
	v_clz_i32_u32_e32 v3, v110
	v_min_u32_e32 v3, 32, v3
	s_delay_alu instid0(VALU_DEP_1) | instskip(SKIP_1) | instid1(VALU_DEP_2)
	v_subrev_nc_u32_e32 v4, 28, v3
	v_sub_nc_u32_e32 v3, 29, v3
	v_lshlrev_b64 v[4:5], v4, v[110:111]
	s_delay_alu instid0(VALU_DEP_1)
	v_and_b32_e32 v110, 7, v4
; %bb.688:                              ;   in Loop: Header=BB283_11 Depth=1
	s_or_b32 exec_lo, exec_lo, s21
	v_lshlrev_b32_e32 v4, 24, v2
	s_delay_alu instid0(VALU_DEP_2) | instskip(SKIP_1) | instid1(VALU_DEP_3)
	v_lshlrev_b32_e32 v5, 20, v110
	v_lshl_add_u32 v3, v3, 23, 0x3c000000
	v_and_b32_e32 v4, 0x80000000, v4
	s_delay_alu instid0(VALU_DEP_1) | instskip(NEXT) | instid1(VALU_DEP_1)
	v_or3_b32 v110, v5, v4, v3
	v_dual_mov_b32 v90, v110 :: v_dual_mov_b32 v91, v111
.LBB283_689:                            ;   in Loop: Header=BB283_11 Depth=1
	s_or_b32 exec_lo, exec_lo, s20
.LBB283_690:                            ;   in Loop: Header=BB283_11 Depth=1
	s_delay_alu instid0(SALU_CYCLE_1)
	s_or_b32 exec_lo, exec_lo, s19
.LBB283_691:                            ;   in Loop: Header=BB283_11 Depth=1
	s_delay_alu instid0(SALU_CYCLE_1) | instskip(SKIP_2) | instid1(VALU_DEP_1)
	s_or_b32 exec_lo, exec_lo, s8
	v_lshrrev_b16 v3, 8, v2
	s_mov_b32 s19, exec_lo
	v_cmpx_ne_u16_e32 0, v3
	s_cbranch_execz .LBB283_699
; %bb.692:                              ;   in Loop: Header=BB283_11 Depth=1
	v_dual_mov_b32 v89, s3 :: v_dual_mov_b32 v88, s2
	s_mov_b32 s20, exec_lo
	v_cmpx_ne_u16_e32 0x80, v3
	s_cbranch_execz .LBB283_698
; %bb.693:                              ;   in Loop: Header=BB283_11 Depth=1
	s_mov_b32 s8, s2
	v_and_b32_e32 v3, 0xffff, v3
	v_dual_mov_b32 v89, s9 :: v_dual_mov_b32 v88, s8
	s_mov_b32 s8, exec_lo
	s_delay_alu instid0(VALU_DEP_2) | instskip(NEXT) | instid1(VALU_DEP_1)
	v_and_b32_e32 v4, 0x7f, v3
	v_cmpx_ne_u32_e32 0x7f, v4
	s_cbranch_execz .LBB283_697
; %bb.694:                              ;   in Loop: Header=BB283_11 Depth=1
	v_and_b32_e32 v110, 7, v3
	v_lshrrev_b32_e32 v3, 3, v4
	s_mov_b32 s21, exec_lo
	v_cmpx_gt_u32_e32 8, v4
; %bb.695:                              ;   in Loop: Header=BB283_11 Depth=1
	s_delay_alu instid0(VALU_DEP_3) | instskip(NEXT) | instid1(VALU_DEP_1)
	v_clz_i32_u32_e32 v3, v110
	v_min_u32_e32 v3, 32, v3
	s_delay_alu instid0(VALU_DEP_1) | instskip(SKIP_1) | instid1(VALU_DEP_2)
	v_subrev_nc_u32_e32 v4, 28, v3
	v_sub_nc_u32_e32 v3, 29, v3
	v_lshlrev_b64 v[4:5], v4, v[110:111]
	s_delay_alu instid0(VALU_DEP_1)
	v_and_b32_e32 v110, 7, v4
; %bb.696:                              ;   in Loop: Header=BB283_11 Depth=1
	s_or_b32 exec_lo, exec_lo, s21
	v_lshlrev_b32_e32 v4, 16, v2
	s_delay_alu instid0(VALU_DEP_2) | instskip(SKIP_1) | instid1(VALU_DEP_3)
	v_dual_mov_b32 v88, v111 :: v_dual_lshlrev_b32 v5, 20, v110
	v_lshl_add_u32 v3, v3, 23, 0x3c000000
	v_and_b32_e32 v4, 0x80000000, v4
	s_delay_alu instid0(VALU_DEP_1)
	v_or3_b32 v89, v5, v4, v3
.LBB283_697:                            ;   in Loop: Header=BB283_11 Depth=1
	s_or_b32 exec_lo, exec_lo, s8
.LBB283_698:                            ;   in Loop: Header=BB283_11 Depth=1
	s_delay_alu instid0(SALU_CYCLE_1)
	s_or_b32 exec_lo, exec_lo, s20
.LBB283_699:                            ;   in Loop: Header=BB283_11 Depth=1
	s_delay_alu instid0(SALU_CYCLE_1) | instskip(SKIP_4) | instid1(VALU_DEP_1)
	s_or_b32 exec_lo, exec_lo, s19
	v_mov_b32_e32 v92, 0
	v_lshrrev_b32_e32 v3, 16, v2
	v_mov_b32_e32 v93, 0
	s_mov_b32 s8, exec_lo
	v_dual_mov_b32 v95, v93 :: v_dual_and_b32 v4, 0xff, v3
	v_mov_b32_e32 v94, v92
	s_delay_alu instid0(VALU_DEP_2)
	v_cmpx_ne_u16_e32 0, v4
	s_cbranch_execz .LBB283_707
; %bb.700:                              ;   in Loop: Header=BB283_11 Depth=1
	v_bfrev_b32_e32 v94, 1
	v_mov_b32_e32 v95, 0
	s_mov_b32 s19, exec_lo
	v_cmpx_ne_u16_e32 0x80, v4
	s_cbranch_execz .LBB283_706
; %bb.701:                              ;   in Loop: Header=BB283_11 Depth=1
	v_mov_b32_e32 v94, 0x7f800001
	v_bfe_u32 v5, v2, 16, 7
	v_mov_b32_e32 v95, 0
	s_mov_b32 s20, exec_lo
	s_delay_alu instid0(VALU_DEP_2)
	v_cmpx_ne_u32_e32 0x7f, v5
	s_cbranch_execz .LBB283_705
; %bb.702:                              ;   in Loop: Header=BB283_11 Depth=1
	v_and_b32_e32 v110, 7, v3
	v_lshrrev_b32_e32 v4, 3, v5
	s_mov_b32 s21, exec_lo
	v_cmpx_gt_u32_e32 8, v5
; %bb.703:                              ;   in Loop: Header=BB283_11 Depth=1
	s_delay_alu instid0(VALU_DEP_3) | instskip(NEXT) | instid1(VALU_DEP_1)
	v_clz_i32_u32_e32 v4, v110
	v_min_u32_e32 v4, 32, v4
	s_delay_alu instid0(VALU_DEP_1) | instskip(SKIP_1) | instid1(VALU_DEP_2)
	v_subrev_nc_u32_e32 v5, 28, v4
	v_sub_nc_u32_e32 v4, 29, v4
	v_lshlrev_b64 v[8:9], v5, v[110:111]
	s_delay_alu instid0(VALU_DEP_1)
	v_and_b32_e32 v110, 7, v8
; %bb.704:                              ;   in Loop: Header=BB283_11 Depth=1
	s_or_b32 exec_lo, exec_lo, s21
	v_lshlrev_b32_e32 v3, 24, v3
	s_delay_alu instid0(VALU_DEP_2) | instskip(SKIP_1) | instid1(VALU_DEP_3)
	v_lshlrev_b32_e32 v5, 20, v110
	v_lshl_add_u32 v4, v4, 23, 0x3c000000
	v_and_b32_e32 v3, 0x80000000, v3
	s_delay_alu instid0(VALU_DEP_1) | instskip(NEXT) | instid1(VALU_DEP_1)
	v_or3_b32 v110, v5, v3, v4
	v_dual_mov_b32 v94, v110 :: v_dual_mov_b32 v95, v111
.LBB283_705:                            ;   in Loop: Header=BB283_11 Depth=1
	s_or_b32 exec_lo, exec_lo, s20
.LBB283_706:                            ;   in Loop: Header=BB283_11 Depth=1
	s_delay_alu instid0(SALU_CYCLE_1)
	s_or_b32 exec_lo, exec_lo, s19
.LBB283_707:                            ;   in Loop: Header=BB283_11 Depth=1
	s_delay_alu instid0(SALU_CYCLE_1) | instskip(NEXT) | instid1(SALU_CYCLE_1)
	s_or_b32 exec_lo, exec_lo, s8
	s_mov_b32 s19, exec_lo
	v_cmpx_lt_u32_e32 0xffffff, v2
	s_cbranch_execz .LBB283_715
; %bb.708:                              ;   in Loop: Header=BB283_11 Depth=1
	v_lshrrev_b32_e32 v3, 24, v2
	v_dual_mov_b32 v93, s3 :: v_dual_mov_b32 v92, s2
	s_mov_b32 s20, exec_lo
	s_delay_alu instid0(VALU_DEP_2)
	v_cmpx_ne_u32_e32 0x80, v3
	s_cbranch_execz .LBB283_714
; %bb.709:                              ;   in Loop: Header=BB283_11 Depth=1
	s_mov_b32 s8, s2
	v_bfe_u32 v4, v2, 24, 7
	v_dual_mov_b32 v93, s9 :: v_dual_mov_b32 v92, s8
	s_mov_b32 s8, exec_lo
	s_delay_alu instid0(VALU_DEP_2)
	v_cmpx_ne_u32_e32 0x7f, v4
	s_cbranch_execz .LBB283_713
; %bb.710:                              ;   in Loop: Header=BB283_11 Depth=1
	v_and_b32_e32 v110, 7, v3
	v_lshrrev_b32_e32 v2, 3, v4
	s_mov_b32 s21, exec_lo
	v_cmpx_gt_u32_e32 8, v4
; %bb.711:                              ;   in Loop: Header=BB283_11 Depth=1
	s_delay_alu instid0(VALU_DEP_3) | instskip(NEXT) | instid1(VALU_DEP_1)
	v_clz_i32_u32_e32 v2, v110
	v_min_u32_e32 v2, 32, v2
	s_delay_alu instid0(VALU_DEP_1) | instskip(SKIP_1) | instid1(VALU_DEP_2)
	v_subrev_nc_u32_e32 v4, 28, v2
	v_sub_nc_u32_e32 v2, 29, v2
	v_lshlrev_b64 v[4:5], v4, v[110:111]
	s_delay_alu instid0(VALU_DEP_1)
	v_and_b32_e32 v110, 7, v4
; %bb.712:                              ;   in Loop: Header=BB283_11 Depth=1
	s_or_b32 exec_lo, exec_lo, s21
	v_dual_mov_b32 v92, v111 :: v_dual_lshlrev_b32 v3, 24, v3
	s_delay_alu instid0(VALU_DEP_2) | instskip(SKIP_1) | instid1(VALU_DEP_3)
	v_lshlrev_b32_e32 v4, 20, v110
	v_lshl_add_u32 v2, v2, 23, 0x3c000000
	v_and_b32_e32 v3, 0x80000000, v3
	s_delay_alu instid0(VALU_DEP_1)
	v_or3_b32 v93, v4, v3, v2
.LBB283_713:                            ;   in Loop: Header=BB283_11 Depth=1
	s_or_b32 exec_lo, exec_lo, s8
.LBB283_714:                            ;   in Loop: Header=BB283_11 Depth=1
	s_delay_alu instid0(SALU_CYCLE_1)
	s_or_b32 exec_lo, exec_lo, s20
.LBB283_715:                            ;   in Loop: Header=BB283_11 Depth=1
	s_delay_alu instid0(SALU_CYCLE_1) | instskip(SKIP_4) | instid1(VALU_DEP_1)
	s_or_b32 exec_lo, exec_lo, s19
	flat_load_b32 v2, v[172:173] offset:2568
	v_mov_b32_e32 v104, 0
	v_mov_b32_e32 v105, 0
	s_mov_b32 s8, exec_lo
	v_dual_mov_b32 v107, v105 :: v_dual_mov_b32 v106, v104
	s_waitcnt vmcnt(0) lgkmcnt(0)
	v_and_b32_e32 v3, 0xff, v2
	s_delay_alu instid0(VALU_DEP_1)
	v_cmpx_ne_u16_e32 0, v3
	s_cbranch_execz .LBB283_723
; %bb.716:                              ;   in Loop: Header=BB283_11 Depth=1
	v_bfrev_b32_e32 v106, 1
	v_mov_b32_e32 v107, 0
	s_mov_b32 s19, exec_lo
	v_cmpx_ne_u16_e32 0x80, v3
	s_cbranch_execz .LBB283_722
; %bb.717:                              ;   in Loop: Header=BB283_11 Depth=1
	v_mov_b32_e32 v106, 0x7f800001
	v_dual_mov_b32 v107, 0 :: v_dual_and_b32 v4, 0x7f, v2
	s_mov_b32 s20, exec_lo
	s_delay_alu instid0(VALU_DEP_1)
	v_cmpx_ne_u32_e32 0x7f, v4
	s_cbranch_execz .LBB283_721
; %bb.718:                              ;   in Loop: Header=BB283_11 Depth=1
	v_and_b32_e32 v110, 7, v2
	v_lshrrev_b32_e32 v3, 3, v4
	s_mov_b32 s21, exec_lo
	v_cmpx_gt_u32_e32 8, v4
; %bb.719:                              ;   in Loop: Header=BB283_11 Depth=1
	s_delay_alu instid0(VALU_DEP_3) | instskip(NEXT) | instid1(VALU_DEP_1)
	v_clz_i32_u32_e32 v3, v110
	v_min_u32_e32 v3, 32, v3
	s_delay_alu instid0(VALU_DEP_1) | instskip(SKIP_1) | instid1(VALU_DEP_2)
	v_subrev_nc_u32_e32 v4, 28, v3
	v_sub_nc_u32_e32 v3, 29, v3
	v_lshlrev_b64 v[4:5], v4, v[110:111]
	s_delay_alu instid0(VALU_DEP_1)
	v_and_b32_e32 v110, 7, v4
; %bb.720:                              ;   in Loop: Header=BB283_11 Depth=1
	s_or_b32 exec_lo, exec_lo, s21
	v_lshlrev_b32_e32 v4, 24, v2
	s_delay_alu instid0(VALU_DEP_2) | instskip(SKIP_1) | instid1(VALU_DEP_3)
	v_lshlrev_b32_e32 v5, 20, v110
	v_lshl_add_u32 v3, v3, 23, 0x3c000000
	v_and_b32_e32 v4, 0x80000000, v4
	s_delay_alu instid0(VALU_DEP_1) | instskip(NEXT) | instid1(VALU_DEP_1)
	v_or3_b32 v110, v5, v4, v3
	v_dual_mov_b32 v106, v110 :: v_dual_mov_b32 v107, v111
.LBB283_721:                            ;   in Loop: Header=BB283_11 Depth=1
	s_or_b32 exec_lo, exec_lo, s20
.LBB283_722:                            ;   in Loop: Header=BB283_11 Depth=1
	s_delay_alu instid0(SALU_CYCLE_1)
	s_or_b32 exec_lo, exec_lo, s19
.LBB283_723:                            ;   in Loop: Header=BB283_11 Depth=1
	s_delay_alu instid0(SALU_CYCLE_1) | instskip(SKIP_2) | instid1(VALU_DEP_1)
	s_or_b32 exec_lo, exec_lo, s8
	v_lshrrev_b16 v3, 8, v2
	s_mov_b32 s19, exec_lo
	v_cmpx_ne_u16_e32 0, v3
	s_cbranch_execz .LBB283_731
; %bb.724:                              ;   in Loop: Header=BB283_11 Depth=1
	v_dual_mov_b32 v105, s3 :: v_dual_mov_b32 v104, s2
	s_mov_b32 s20, exec_lo
	v_cmpx_ne_u16_e32 0x80, v3
	s_cbranch_execz .LBB283_730
; %bb.725:                              ;   in Loop: Header=BB283_11 Depth=1
	s_mov_b32 s8, s2
	v_and_b32_e32 v3, 0xffff, v3
	v_dual_mov_b32 v105, s9 :: v_dual_mov_b32 v104, s8
	s_mov_b32 s8, exec_lo
	s_delay_alu instid0(VALU_DEP_2) | instskip(NEXT) | instid1(VALU_DEP_1)
	v_and_b32_e32 v4, 0x7f, v3
	v_cmpx_ne_u32_e32 0x7f, v4
	s_cbranch_execz .LBB283_729
; %bb.726:                              ;   in Loop: Header=BB283_11 Depth=1
	v_and_b32_e32 v110, 7, v3
	v_lshrrev_b32_e32 v3, 3, v4
	s_mov_b32 s21, exec_lo
	v_cmpx_gt_u32_e32 8, v4
; %bb.727:                              ;   in Loop: Header=BB283_11 Depth=1
	s_delay_alu instid0(VALU_DEP_3) | instskip(NEXT) | instid1(VALU_DEP_1)
	v_clz_i32_u32_e32 v3, v110
	v_min_u32_e32 v3, 32, v3
	s_delay_alu instid0(VALU_DEP_1) | instskip(SKIP_1) | instid1(VALU_DEP_2)
	v_subrev_nc_u32_e32 v4, 28, v3
	v_sub_nc_u32_e32 v3, 29, v3
	v_lshlrev_b64 v[4:5], v4, v[110:111]
	s_delay_alu instid0(VALU_DEP_1)
	v_and_b32_e32 v110, 7, v4
; %bb.728:                              ;   in Loop: Header=BB283_11 Depth=1
	s_or_b32 exec_lo, exec_lo, s21
	v_lshlrev_b32_e32 v4, 16, v2
	s_delay_alu instid0(VALU_DEP_2) | instskip(SKIP_1) | instid1(VALU_DEP_3)
	v_dual_mov_b32 v104, v111 :: v_dual_lshlrev_b32 v5, 20, v110
	v_lshl_add_u32 v3, v3, 23, 0x3c000000
	v_and_b32_e32 v4, 0x80000000, v4
	s_delay_alu instid0(VALU_DEP_1)
	v_or3_b32 v105, v5, v4, v3
.LBB283_729:                            ;   in Loop: Header=BB283_11 Depth=1
	s_or_b32 exec_lo, exec_lo, s8
.LBB283_730:                            ;   in Loop: Header=BB283_11 Depth=1
	s_delay_alu instid0(SALU_CYCLE_1)
	s_or_b32 exec_lo, exec_lo, s20
.LBB283_731:                            ;   in Loop: Header=BB283_11 Depth=1
	s_delay_alu instid0(SALU_CYCLE_1) | instskip(SKIP_4) | instid1(VALU_DEP_1)
	s_or_b32 exec_lo, exec_lo, s19
	v_mov_b32_e32 v20, 0
	v_lshrrev_b32_e32 v3, 16, v2
	v_mov_b32_e32 v21, 0
	s_mov_b32 s8, exec_lo
	v_dual_mov_b32 v25, v21 :: v_dual_and_b32 v4, 0xff, v3
	v_mov_b32_e32 v24, v20
	s_delay_alu instid0(VALU_DEP_2)
	v_cmpx_ne_u16_e32 0, v4
	s_cbranch_execz .LBB283_739
; %bb.732:                              ;   in Loop: Header=BB283_11 Depth=1
	v_bfrev_b32_e32 v24, 1
	v_mov_b32_e32 v25, 0
	s_mov_b32 s19, exec_lo
	v_cmpx_ne_u16_e32 0x80, v4
	s_cbranch_execz .LBB283_738
; %bb.733:                              ;   in Loop: Header=BB283_11 Depth=1
	v_mov_b32_e32 v24, 0x7f800001
	v_bfe_u32 v5, v2, 16, 7
	v_mov_b32_e32 v25, 0
	s_mov_b32 s20, exec_lo
	s_delay_alu instid0(VALU_DEP_2)
	v_cmpx_ne_u32_e32 0x7f, v5
	s_cbranch_execz .LBB283_737
; %bb.734:                              ;   in Loop: Header=BB283_11 Depth=1
	v_and_b32_e32 v110, 7, v3
	v_lshrrev_b32_e32 v4, 3, v5
	s_mov_b32 s21, exec_lo
	v_cmpx_gt_u32_e32 8, v5
; %bb.735:                              ;   in Loop: Header=BB283_11 Depth=1
	s_delay_alu instid0(VALU_DEP_3) | instskip(NEXT) | instid1(VALU_DEP_1)
	v_clz_i32_u32_e32 v4, v110
	v_min_u32_e32 v4, 32, v4
	s_delay_alu instid0(VALU_DEP_1) | instskip(SKIP_1) | instid1(VALU_DEP_2)
	v_subrev_nc_u32_e32 v5, 28, v4
	v_sub_nc_u32_e32 v4, 29, v4
	v_lshlrev_b64 v[8:9], v5, v[110:111]
	s_delay_alu instid0(VALU_DEP_1)
	v_and_b32_e32 v110, 7, v8
; %bb.736:                              ;   in Loop: Header=BB283_11 Depth=1
	s_or_b32 exec_lo, exec_lo, s21
	v_lshlrev_b32_e32 v3, 24, v3
	s_delay_alu instid0(VALU_DEP_2) | instskip(SKIP_1) | instid1(VALU_DEP_3)
	v_lshlrev_b32_e32 v5, 20, v110
	v_lshl_add_u32 v4, v4, 23, 0x3c000000
	v_and_b32_e32 v3, 0x80000000, v3
	s_delay_alu instid0(VALU_DEP_1) | instskip(NEXT) | instid1(VALU_DEP_1)
	v_or3_b32 v110, v5, v3, v4
	v_dual_mov_b32 v24, v110 :: v_dual_mov_b32 v25, v111
.LBB283_737:                            ;   in Loop: Header=BB283_11 Depth=1
	s_or_b32 exec_lo, exec_lo, s20
.LBB283_738:                            ;   in Loop: Header=BB283_11 Depth=1
	s_delay_alu instid0(SALU_CYCLE_1)
	s_or_b32 exec_lo, exec_lo, s19
.LBB283_739:                            ;   in Loop: Header=BB283_11 Depth=1
	s_delay_alu instid0(SALU_CYCLE_1) | instskip(NEXT) | instid1(SALU_CYCLE_1)
	s_or_b32 exec_lo, exec_lo, s8
	s_mov_b32 s19, exec_lo
	v_cmpx_lt_u32_e32 0xffffff, v2
	s_cbranch_execz .LBB283_747
; %bb.740:                              ;   in Loop: Header=BB283_11 Depth=1
	v_lshrrev_b32_e32 v3, 24, v2
	v_dual_mov_b32 v21, s3 :: v_dual_mov_b32 v20, s2
	s_mov_b32 s20, exec_lo
	s_delay_alu instid0(VALU_DEP_2)
	v_cmpx_ne_u32_e32 0x80, v3
	s_cbranch_execz .LBB283_746
; %bb.741:                              ;   in Loop: Header=BB283_11 Depth=1
	s_mov_b32 s8, s2
	v_bfe_u32 v4, v2, 24, 7
	v_dual_mov_b32 v21, s9 :: v_dual_mov_b32 v20, s8
	s_mov_b32 s8, exec_lo
	s_delay_alu instid0(VALU_DEP_2)
	v_cmpx_ne_u32_e32 0x7f, v4
	s_cbranch_execz .LBB283_745
; %bb.742:                              ;   in Loop: Header=BB283_11 Depth=1
	v_and_b32_e32 v110, 7, v3
	v_lshrrev_b32_e32 v2, 3, v4
	s_mov_b32 s21, exec_lo
	v_cmpx_gt_u32_e32 8, v4
; %bb.743:                              ;   in Loop: Header=BB283_11 Depth=1
	s_delay_alu instid0(VALU_DEP_3) | instskip(NEXT) | instid1(VALU_DEP_1)
	v_clz_i32_u32_e32 v2, v110
	v_min_u32_e32 v2, 32, v2
	s_delay_alu instid0(VALU_DEP_1) | instskip(SKIP_1) | instid1(VALU_DEP_2)
	v_subrev_nc_u32_e32 v4, 28, v2
	v_sub_nc_u32_e32 v2, 29, v2
	v_lshlrev_b64 v[4:5], v4, v[110:111]
	s_delay_alu instid0(VALU_DEP_1)
	v_and_b32_e32 v110, 7, v4
; %bb.744:                              ;   in Loop: Header=BB283_11 Depth=1
	s_or_b32 exec_lo, exec_lo, s21
	v_dual_mov_b32 v20, v111 :: v_dual_lshlrev_b32 v3, 24, v3
	s_delay_alu instid0(VALU_DEP_2) | instskip(SKIP_1) | instid1(VALU_DEP_3)
	v_lshlrev_b32_e32 v4, 20, v110
	v_lshl_add_u32 v2, v2, 23, 0x3c000000
	v_and_b32_e32 v3, 0x80000000, v3
	s_delay_alu instid0(VALU_DEP_1)
	v_or3_b32 v21, v4, v3, v2
.LBB283_745:                            ;   in Loop: Header=BB283_11 Depth=1
	s_or_b32 exec_lo, exec_lo, s8
.LBB283_746:                            ;   in Loop: Header=BB283_11 Depth=1
	s_delay_alu instid0(SALU_CYCLE_1)
	s_or_b32 exec_lo, exec_lo, s20
.LBB283_747:                            ;   in Loop: Header=BB283_11 Depth=1
	s_delay_alu instid0(SALU_CYCLE_1) | instskip(SKIP_4) | instid1(VALU_DEP_1)
	s_or_b32 exec_lo, exec_lo, s19
	flat_load_b32 v2, v[172:173] offset:2572
	v_mov_b32_e32 v124, 0
	v_mov_b32_e32 v125, 0
	s_mov_b32 s8, exec_lo
	v_dual_mov_b32 v137, v125 :: v_dual_mov_b32 v136, v124
	s_waitcnt vmcnt(0) lgkmcnt(0)
	v_and_b32_e32 v3, 0xff, v2
	s_delay_alu instid0(VALU_DEP_1)
	v_cmpx_ne_u16_e32 0, v3
	s_cbranch_execz .LBB283_755
; %bb.748:                              ;   in Loop: Header=BB283_11 Depth=1
	v_bfrev_b32_e32 v136, 1
	v_mov_b32_e32 v137, 0
	s_mov_b32 s19, exec_lo
	v_cmpx_ne_u16_e32 0x80, v3
	s_cbranch_execz .LBB283_754
; %bb.749:                              ;   in Loop: Header=BB283_11 Depth=1
	v_mov_b32_e32 v136, 0x7f800001
	v_dual_mov_b32 v137, 0 :: v_dual_and_b32 v4, 0x7f, v2
	s_mov_b32 s20, exec_lo
	s_delay_alu instid0(VALU_DEP_1)
	v_cmpx_ne_u32_e32 0x7f, v4
	s_cbranch_execz .LBB283_753
; %bb.750:                              ;   in Loop: Header=BB283_11 Depth=1
	v_and_b32_e32 v110, 7, v2
	v_lshrrev_b32_e32 v3, 3, v4
	s_mov_b32 s21, exec_lo
	v_cmpx_gt_u32_e32 8, v4
; %bb.751:                              ;   in Loop: Header=BB283_11 Depth=1
	s_delay_alu instid0(VALU_DEP_3) | instskip(NEXT) | instid1(VALU_DEP_1)
	v_clz_i32_u32_e32 v3, v110
	v_min_u32_e32 v3, 32, v3
	s_delay_alu instid0(VALU_DEP_1) | instskip(SKIP_1) | instid1(VALU_DEP_2)
	v_subrev_nc_u32_e32 v4, 28, v3
	v_sub_nc_u32_e32 v3, 29, v3
	v_lshlrev_b64 v[4:5], v4, v[110:111]
	s_delay_alu instid0(VALU_DEP_1)
	v_and_b32_e32 v110, 7, v4
; %bb.752:                              ;   in Loop: Header=BB283_11 Depth=1
	s_or_b32 exec_lo, exec_lo, s21
	v_lshlrev_b32_e32 v4, 24, v2
	s_delay_alu instid0(VALU_DEP_2) | instskip(SKIP_1) | instid1(VALU_DEP_3)
	v_lshlrev_b32_e32 v5, 20, v110
	v_lshl_add_u32 v3, v3, 23, 0x3c000000
	v_and_b32_e32 v4, 0x80000000, v4
	s_delay_alu instid0(VALU_DEP_1) | instskip(NEXT) | instid1(VALU_DEP_1)
	v_or3_b32 v110, v5, v4, v3
	v_dual_mov_b32 v137, v111 :: v_dual_mov_b32 v136, v110
.LBB283_753:                            ;   in Loop: Header=BB283_11 Depth=1
	s_or_b32 exec_lo, exec_lo, s20
.LBB283_754:                            ;   in Loop: Header=BB283_11 Depth=1
	s_delay_alu instid0(SALU_CYCLE_1)
	s_or_b32 exec_lo, exec_lo, s19
.LBB283_755:                            ;   in Loop: Header=BB283_11 Depth=1
	s_delay_alu instid0(SALU_CYCLE_1) | instskip(SKIP_2) | instid1(VALU_DEP_1)
	s_or_b32 exec_lo, exec_lo, s8
	v_lshrrev_b16 v3, 8, v2
	s_mov_b32 s19, exec_lo
	v_cmpx_ne_u16_e32 0, v3
	s_cbranch_execz .LBB283_763
; %bb.756:                              ;   in Loop: Header=BB283_11 Depth=1
	v_dual_mov_b32 v125, s3 :: v_dual_mov_b32 v124, s2
	s_mov_b32 s20, exec_lo
	v_cmpx_ne_u16_e32 0x80, v3
	s_cbranch_execz .LBB283_762
; %bb.757:                              ;   in Loop: Header=BB283_11 Depth=1
	s_mov_b32 s8, s2
	v_and_b32_e32 v3, 0xffff, v3
	v_dual_mov_b32 v125, s9 :: v_dual_mov_b32 v124, s8
	s_mov_b32 s8, exec_lo
	s_delay_alu instid0(VALU_DEP_2) | instskip(NEXT) | instid1(VALU_DEP_1)
	v_and_b32_e32 v4, 0x7f, v3
	v_cmpx_ne_u32_e32 0x7f, v4
	s_cbranch_execz .LBB283_761
; %bb.758:                              ;   in Loop: Header=BB283_11 Depth=1
	v_and_b32_e32 v110, 7, v3
	v_lshrrev_b32_e32 v3, 3, v4
	s_mov_b32 s21, exec_lo
	v_cmpx_gt_u32_e32 8, v4
; %bb.759:                              ;   in Loop: Header=BB283_11 Depth=1
	s_delay_alu instid0(VALU_DEP_3) | instskip(NEXT) | instid1(VALU_DEP_1)
	v_clz_i32_u32_e32 v3, v110
	v_min_u32_e32 v3, 32, v3
	s_delay_alu instid0(VALU_DEP_1) | instskip(SKIP_1) | instid1(VALU_DEP_2)
	v_subrev_nc_u32_e32 v4, 28, v3
	v_sub_nc_u32_e32 v3, 29, v3
	v_lshlrev_b64 v[4:5], v4, v[110:111]
	s_delay_alu instid0(VALU_DEP_1)
	v_and_b32_e32 v110, 7, v4
; %bb.760:                              ;   in Loop: Header=BB283_11 Depth=1
	s_or_b32 exec_lo, exec_lo, s21
	v_lshlrev_b32_e32 v4, 16, v2
	s_delay_alu instid0(VALU_DEP_2) | instskip(SKIP_1) | instid1(VALU_DEP_3)
	v_dual_mov_b32 v124, v111 :: v_dual_lshlrev_b32 v5, 20, v110
	v_lshl_add_u32 v3, v3, 23, 0x3c000000
	v_and_b32_e32 v4, 0x80000000, v4
	s_delay_alu instid0(VALU_DEP_1)
	v_or3_b32 v125, v5, v4, v3
.LBB283_761:                            ;   in Loop: Header=BB283_11 Depth=1
	s_or_b32 exec_lo, exec_lo, s8
.LBB283_762:                            ;   in Loop: Header=BB283_11 Depth=1
	s_delay_alu instid0(SALU_CYCLE_1)
	s_or_b32 exec_lo, exec_lo, s20
.LBB283_763:                            ;   in Loop: Header=BB283_11 Depth=1
	s_delay_alu instid0(SALU_CYCLE_1) | instskip(SKIP_4) | instid1(VALU_DEP_1)
	s_or_b32 exec_lo, exec_lo, s19
	v_mov_b32_e32 v140, 0
	v_lshrrev_b32_e32 v3, 16, v2
	v_mov_b32_e32 v141, 0
	s_mov_b32 s8, exec_lo
	v_dual_mov_b32 v153, v141 :: v_dual_and_b32 v4, 0xff, v3
	v_mov_b32_e32 v152, v140
	s_delay_alu instid0(VALU_DEP_2)
	v_cmpx_ne_u16_e32 0, v4
	s_cbranch_execz .LBB283_771
; %bb.764:                              ;   in Loop: Header=BB283_11 Depth=1
	v_bfrev_b32_e32 v152, 1
	v_mov_b32_e32 v153, 0
	s_mov_b32 s19, exec_lo
	v_cmpx_ne_u16_e32 0x80, v4
	s_cbranch_execz .LBB283_770
; %bb.765:                              ;   in Loop: Header=BB283_11 Depth=1
	v_mov_b32_e32 v152, 0x7f800001
	v_bfe_u32 v5, v2, 16, 7
	v_mov_b32_e32 v153, 0
	s_mov_b32 s20, exec_lo
	s_delay_alu instid0(VALU_DEP_2)
	v_cmpx_ne_u32_e32 0x7f, v5
	s_cbranch_execz .LBB283_769
; %bb.766:                              ;   in Loop: Header=BB283_11 Depth=1
	v_and_b32_e32 v110, 7, v3
	v_lshrrev_b32_e32 v4, 3, v5
	s_mov_b32 s21, exec_lo
	v_cmpx_gt_u32_e32 8, v5
; %bb.767:                              ;   in Loop: Header=BB283_11 Depth=1
	s_delay_alu instid0(VALU_DEP_3) | instskip(NEXT) | instid1(VALU_DEP_1)
	v_clz_i32_u32_e32 v4, v110
	v_min_u32_e32 v4, 32, v4
	s_delay_alu instid0(VALU_DEP_1) | instskip(SKIP_1) | instid1(VALU_DEP_2)
	v_subrev_nc_u32_e32 v5, 28, v4
	v_sub_nc_u32_e32 v4, 29, v4
	v_lshlrev_b64 v[8:9], v5, v[110:111]
	s_delay_alu instid0(VALU_DEP_1)
	v_and_b32_e32 v110, 7, v8
; %bb.768:                              ;   in Loop: Header=BB283_11 Depth=1
	s_or_b32 exec_lo, exec_lo, s21
	v_lshlrev_b32_e32 v3, 24, v3
	s_delay_alu instid0(VALU_DEP_2) | instskip(SKIP_1) | instid1(VALU_DEP_3)
	v_lshlrev_b32_e32 v5, 20, v110
	v_lshl_add_u32 v4, v4, 23, 0x3c000000
	v_and_b32_e32 v3, 0x80000000, v3
	s_delay_alu instid0(VALU_DEP_1) | instskip(NEXT) | instid1(VALU_DEP_1)
	v_or3_b32 v110, v5, v3, v4
	v_dual_mov_b32 v153, v111 :: v_dual_mov_b32 v152, v110
.LBB283_769:                            ;   in Loop: Header=BB283_11 Depth=1
	s_or_b32 exec_lo, exec_lo, s20
.LBB283_770:                            ;   in Loop: Header=BB283_11 Depth=1
	s_delay_alu instid0(SALU_CYCLE_1)
	s_or_b32 exec_lo, exec_lo, s19
.LBB283_771:                            ;   in Loop: Header=BB283_11 Depth=1
	s_delay_alu instid0(SALU_CYCLE_1) | instskip(NEXT) | instid1(SALU_CYCLE_1)
	s_or_b32 exec_lo, exec_lo, s8
	s_mov_b32 s19, exec_lo
	v_cmpx_lt_u32_e32 0xffffff, v2
	s_cbranch_execz .LBB283_779
; %bb.772:                              ;   in Loop: Header=BB283_11 Depth=1
	v_lshrrev_b32_e32 v3, 24, v2
	v_dual_mov_b32 v141, s3 :: v_dual_mov_b32 v140, s2
	s_mov_b32 s20, exec_lo
	s_delay_alu instid0(VALU_DEP_2)
	v_cmpx_ne_u32_e32 0x80, v3
	s_cbranch_execz .LBB283_778
; %bb.773:                              ;   in Loop: Header=BB283_11 Depth=1
	s_mov_b32 s8, s2
	v_bfe_u32 v4, v2, 24, 7
	v_dual_mov_b32 v141, s9 :: v_dual_mov_b32 v140, s8
	s_mov_b32 s8, exec_lo
	s_delay_alu instid0(VALU_DEP_2)
	v_cmpx_ne_u32_e32 0x7f, v4
	s_cbranch_execz .LBB283_777
; %bb.774:                              ;   in Loop: Header=BB283_11 Depth=1
	v_and_b32_e32 v110, 7, v3
	v_lshrrev_b32_e32 v2, 3, v4
	s_mov_b32 s21, exec_lo
	v_cmpx_gt_u32_e32 8, v4
; %bb.775:                              ;   in Loop: Header=BB283_11 Depth=1
	s_delay_alu instid0(VALU_DEP_3) | instskip(NEXT) | instid1(VALU_DEP_1)
	v_clz_i32_u32_e32 v2, v110
	v_min_u32_e32 v2, 32, v2
	s_delay_alu instid0(VALU_DEP_1) | instskip(SKIP_1) | instid1(VALU_DEP_2)
	v_subrev_nc_u32_e32 v4, 28, v2
	v_sub_nc_u32_e32 v2, 29, v2
	v_lshlrev_b64 v[4:5], v4, v[110:111]
	s_delay_alu instid0(VALU_DEP_1)
	v_and_b32_e32 v110, 7, v4
; %bb.776:                              ;   in Loop: Header=BB283_11 Depth=1
	s_or_b32 exec_lo, exec_lo, s21
	v_dual_mov_b32 v140, v111 :: v_dual_lshlrev_b32 v3, 24, v3
	s_delay_alu instid0(VALU_DEP_2) | instskip(SKIP_1) | instid1(VALU_DEP_3)
	v_lshlrev_b32_e32 v4, 20, v110
	v_lshl_add_u32 v2, v2, 23, 0x3c000000
	v_and_b32_e32 v3, 0x80000000, v3
	s_delay_alu instid0(VALU_DEP_1)
	v_or3_b32 v141, v4, v3, v2
.LBB283_777:                            ;   in Loop: Header=BB283_11 Depth=1
	s_or_b32 exec_lo, exec_lo, s8
.LBB283_778:                            ;   in Loop: Header=BB283_11 Depth=1
	s_delay_alu instid0(SALU_CYCLE_1)
	s_or_b32 exec_lo, exec_lo, s20
.LBB283_779:                            ;   in Loop: Header=BB283_11 Depth=1
	s_delay_alu instid0(SALU_CYCLE_1) | instskip(SKIP_4) | instid1(VALU_DEP_1)
	s_or_b32 exec_lo, exec_lo, s19
	flat_load_b32 v2, v[172:173] offset:3072
	v_mov_b32_e32 v158, 0
	v_mov_b32_e32 v159, 0
	s_mov_b32 s8, exec_lo
	v_dual_mov_b32 v171, v159 :: v_dual_mov_b32 v170, v158
	s_waitcnt vmcnt(0) lgkmcnt(0)
	v_and_b32_e32 v3, 0xff, v2
	s_delay_alu instid0(VALU_DEP_1)
	v_cmpx_ne_u16_e32 0, v3
	s_cbranch_execz .LBB283_787
; %bb.780:                              ;   in Loop: Header=BB283_11 Depth=1
	v_bfrev_b32_e32 v170, 1
	v_mov_b32_e32 v171, 0
	s_mov_b32 s19, exec_lo
	v_cmpx_ne_u16_e32 0x80, v3
	s_cbranch_execz .LBB283_786
; %bb.781:                              ;   in Loop: Header=BB283_11 Depth=1
	v_mov_b32_e32 v170, 0x7f800001
	v_dual_mov_b32 v171, 0 :: v_dual_and_b32 v4, 0x7f, v2
	s_mov_b32 s20, exec_lo
	s_delay_alu instid0(VALU_DEP_1)
	v_cmpx_ne_u32_e32 0x7f, v4
	s_cbranch_execz .LBB283_785
; %bb.782:                              ;   in Loop: Header=BB283_11 Depth=1
	v_and_b32_e32 v110, 7, v2
	v_lshrrev_b32_e32 v3, 3, v4
	s_mov_b32 s21, exec_lo
	v_cmpx_gt_u32_e32 8, v4
; %bb.783:                              ;   in Loop: Header=BB283_11 Depth=1
	s_delay_alu instid0(VALU_DEP_3) | instskip(NEXT) | instid1(VALU_DEP_1)
	v_clz_i32_u32_e32 v3, v110
	v_min_u32_e32 v3, 32, v3
	s_delay_alu instid0(VALU_DEP_1) | instskip(SKIP_1) | instid1(VALU_DEP_2)
	v_subrev_nc_u32_e32 v4, 28, v3
	v_sub_nc_u32_e32 v3, 29, v3
	v_lshlrev_b64 v[4:5], v4, v[110:111]
	s_delay_alu instid0(VALU_DEP_1)
	v_and_b32_e32 v110, 7, v4
; %bb.784:                              ;   in Loop: Header=BB283_11 Depth=1
	s_or_b32 exec_lo, exec_lo, s21
	v_lshlrev_b32_e32 v4, 24, v2
	s_delay_alu instid0(VALU_DEP_2) | instskip(SKIP_1) | instid1(VALU_DEP_3)
	v_lshlrev_b32_e32 v5, 20, v110
	v_lshl_add_u32 v3, v3, 23, 0x3c000000
	v_and_b32_e32 v4, 0x80000000, v4
	s_delay_alu instid0(VALU_DEP_1) | instskip(NEXT) | instid1(VALU_DEP_1)
	v_or3_b32 v110, v5, v4, v3
	v_dual_mov_b32 v171, v111 :: v_dual_mov_b32 v170, v110
.LBB283_785:                            ;   in Loop: Header=BB283_11 Depth=1
	s_or_b32 exec_lo, exec_lo, s20
.LBB283_786:                            ;   in Loop: Header=BB283_11 Depth=1
	s_delay_alu instid0(SALU_CYCLE_1)
	s_or_b32 exec_lo, exec_lo, s19
.LBB283_787:                            ;   in Loop: Header=BB283_11 Depth=1
	s_delay_alu instid0(SALU_CYCLE_1) | instskip(SKIP_2) | instid1(VALU_DEP_1)
	s_or_b32 exec_lo, exec_lo, s8
	v_lshrrev_b16 v3, 8, v2
	s_mov_b32 s19, exec_lo
	v_cmpx_ne_u16_e32 0, v3
	s_cbranch_execz .LBB283_795
; %bb.788:                              ;   in Loop: Header=BB283_11 Depth=1
	v_dual_mov_b32 v159, s3 :: v_dual_mov_b32 v158, s2
	s_mov_b32 s20, exec_lo
	v_cmpx_ne_u16_e32 0x80, v3
	s_cbranch_execz .LBB283_794
; %bb.789:                              ;   in Loop: Header=BB283_11 Depth=1
	s_mov_b32 s8, s2
	v_and_b32_e32 v3, 0xffff, v3
	v_dual_mov_b32 v159, s9 :: v_dual_mov_b32 v158, s8
	s_mov_b32 s8, exec_lo
	s_delay_alu instid0(VALU_DEP_2) | instskip(NEXT) | instid1(VALU_DEP_1)
	v_and_b32_e32 v4, 0x7f, v3
	v_cmpx_ne_u32_e32 0x7f, v4
	s_cbranch_execz .LBB283_793
; %bb.790:                              ;   in Loop: Header=BB283_11 Depth=1
	v_and_b32_e32 v110, 7, v3
	v_lshrrev_b32_e32 v3, 3, v4
	s_mov_b32 s21, exec_lo
	v_cmpx_gt_u32_e32 8, v4
; %bb.791:                              ;   in Loop: Header=BB283_11 Depth=1
	s_delay_alu instid0(VALU_DEP_3) | instskip(NEXT) | instid1(VALU_DEP_1)
	v_clz_i32_u32_e32 v3, v110
	v_min_u32_e32 v3, 32, v3
	s_delay_alu instid0(VALU_DEP_1) | instskip(SKIP_1) | instid1(VALU_DEP_2)
	v_subrev_nc_u32_e32 v4, 28, v3
	v_sub_nc_u32_e32 v3, 29, v3
	v_lshlrev_b64 v[4:5], v4, v[110:111]
	s_delay_alu instid0(VALU_DEP_1)
	v_and_b32_e32 v110, 7, v4
; %bb.792:                              ;   in Loop: Header=BB283_11 Depth=1
	s_or_b32 exec_lo, exec_lo, s21
	v_lshlrev_b32_e32 v4, 16, v2
	s_delay_alu instid0(VALU_DEP_2) | instskip(SKIP_1) | instid1(VALU_DEP_3)
	v_dual_mov_b32 v158, v111 :: v_dual_lshlrev_b32 v5, 20, v110
	v_lshl_add_u32 v3, v3, 23, 0x3c000000
	v_and_b32_e32 v4, 0x80000000, v4
	s_delay_alu instid0(VALU_DEP_1)
	v_or3_b32 v159, v5, v4, v3
.LBB283_793:                            ;   in Loop: Header=BB283_11 Depth=1
	s_or_b32 exec_lo, exec_lo, s8
.LBB283_794:                            ;   in Loop: Header=BB283_11 Depth=1
	s_delay_alu instid0(SALU_CYCLE_1)
	s_or_b32 exec_lo, exec_lo, s20
.LBB283_795:                            ;   in Loop: Header=BB283_11 Depth=1
	s_delay_alu instid0(SALU_CYCLE_1) | instskip(SKIP_4) | instid1(VALU_DEP_1)
	s_or_b32 exec_lo, exec_lo, s19
	v_mov_b32_e32 v184, 0
	v_lshrrev_b32_e32 v3, 16, v2
	v_mov_b32_e32 v185, 0
	s_mov_b32 s8, exec_lo
	v_dual_mov_b32 v189, v185 :: v_dual_and_b32 v4, 0xff, v3
	v_mov_b32_e32 v188, v184
	s_delay_alu instid0(VALU_DEP_2)
	v_cmpx_ne_u16_e32 0, v4
	s_cbranch_execz .LBB283_803
; %bb.796:                              ;   in Loop: Header=BB283_11 Depth=1
	v_bfrev_b32_e32 v188, 1
	v_mov_b32_e32 v189, 0
	s_mov_b32 s19, exec_lo
	v_cmpx_ne_u16_e32 0x80, v4
	s_cbranch_execz .LBB283_802
; %bb.797:                              ;   in Loop: Header=BB283_11 Depth=1
	v_mov_b32_e32 v188, 0x7f800001
	v_bfe_u32 v5, v2, 16, 7
	v_mov_b32_e32 v189, 0
	s_mov_b32 s20, exec_lo
	s_delay_alu instid0(VALU_DEP_2)
	v_cmpx_ne_u32_e32 0x7f, v5
	s_cbranch_execz .LBB283_801
; %bb.798:                              ;   in Loop: Header=BB283_11 Depth=1
	v_and_b32_e32 v110, 7, v3
	v_lshrrev_b32_e32 v4, 3, v5
	s_mov_b32 s21, exec_lo
	v_cmpx_gt_u32_e32 8, v5
; %bb.799:                              ;   in Loop: Header=BB283_11 Depth=1
	s_delay_alu instid0(VALU_DEP_3) | instskip(NEXT) | instid1(VALU_DEP_1)
	v_clz_i32_u32_e32 v4, v110
	v_min_u32_e32 v4, 32, v4
	s_delay_alu instid0(VALU_DEP_1) | instskip(SKIP_1) | instid1(VALU_DEP_2)
	v_subrev_nc_u32_e32 v5, 28, v4
	v_sub_nc_u32_e32 v4, 29, v4
	v_lshlrev_b64 v[8:9], v5, v[110:111]
	s_delay_alu instid0(VALU_DEP_1)
	v_and_b32_e32 v110, 7, v8
; %bb.800:                              ;   in Loop: Header=BB283_11 Depth=1
	s_or_b32 exec_lo, exec_lo, s21
	v_lshlrev_b32_e32 v3, 24, v3
	s_delay_alu instid0(VALU_DEP_2) | instskip(SKIP_1) | instid1(VALU_DEP_3)
	v_lshlrev_b32_e32 v5, 20, v110
	v_lshl_add_u32 v4, v4, 23, 0x3c000000
	v_and_b32_e32 v3, 0x80000000, v3
	s_delay_alu instid0(VALU_DEP_1) | instskip(NEXT) | instid1(VALU_DEP_1)
	v_or3_b32 v110, v5, v3, v4
	v_dual_mov_b32 v189, v111 :: v_dual_mov_b32 v188, v110
.LBB283_801:                            ;   in Loop: Header=BB283_11 Depth=1
	s_or_b32 exec_lo, exec_lo, s20
.LBB283_802:                            ;   in Loop: Header=BB283_11 Depth=1
	s_delay_alu instid0(SALU_CYCLE_1)
	s_or_b32 exec_lo, exec_lo, s19
.LBB283_803:                            ;   in Loop: Header=BB283_11 Depth=1
	s_delay_alu instid0(SALU_CYCLE_1) | instskip(NEXT) | instid1(SALU_CYCLE_1)
	s_or_b32 exec_lo, exec_lo, s8
	s_mov_b32 s19, exec_lo
	v_cmpx_lt_u32_e32 0xffffff, v2
	s_cbranch_execz .LBB283_811
; %bb.804:                              ;   in Loop: Header=BB283_11 Depth=1
	v_lshrrev_b32_e32 v3, 24, v2
	v_dual_mov_b32 v185, s3 :: v_dual_mov_b32 v184, s2
	s_mov_b32 s20, exec_lo
	s_delay_alu instid0(VALU_DEP_2)
	v_cmpx_ne_u32_e32 0x80, v3
	s_cbranch_execz .LBB283_810
; %bb.805:                              ;   in Loop: Header=BB283_11 Depth=1
	s_mov_b32 s8, s2
	v_bfe_u32 v4, v2, 24, 7
	v_dual_mov_b32 v185, s9 :: v_dual_mov_b32 v184, s8
	s_mov_b32 s8, exec_lo
	s_delay_alu instid0(VALU_DEP_2)
	v_cmpx_ne_u32_e32 0x7f, v4
	s_cbranch_execz .LBB283_809
; %bb.806:                              ;   in Loop: Header=BB283_11 Depth=1
	v_and_b32_e32 v110, 7, v3
	v_lshrrev_b32_e32 v2, 3, v4
	s_mov_b32 s21, exec_lo
	v_cmpx_gt_u32_e32 8, v4
; %bb.807:                              ;   in Loop: Header=BB283_11 Depth=1
	s_delay_alu instid0(VALU_DEP_3) | instskip(NEXT) | instid1(VALU_DEP_1)
	v_clz_i32_u32_e32 v2, v110
	v_min_u32_e32 v2, 32, v2
	s_delay_alu instid0(VALU_DEP_1) | instskip(SKIP_1) | instid1(VALU_DEP_2)
	v_subrev_nc_u32_e32 v4, 28, v2
	v_sub_nc_u32_e32 v2, 29, v2
	v_lshlrev_b64 v[4:5], v4, v[110:111]
	s_delay_alu instid0(VALU_DEP_1)
	v_and_b32_e32 v110, 7, v4
; %bb.808:                              ;   in Loop: Header=BB283_11 Depth=1
	s_or_b32 exec_lo, exec_lo, s21
	v_dual_mov_b32 v184, v111 :: v_dual_lshlrev_b32 v3, 24, v3
	s_delay_alu instid0(VALU_DEP_2) | instskip(SKIP_1) | instid1(VALU_DEP_3)
	v_lshlrev_b32_e32 v4, 20, v110
	v_lshl_add_u32 v2, v2, 23, 0x3c000000
	v_and_b32_e32 v3, 0x80000000, v3
	s_delay_alu instid0(VALU_DEP_1)
	v_or3_b32 v185, v4, v3, v2
.LBB283_809:                            ;   in Loop: Header=BB283_11 Depth=1
	s_or_b32 exec_lo, exec_lo, s8
.LBB283_810:                            ;   in Loop: Header=BB283_11 Depth=1
	s_delay_alu instid0(SALU_CYCLE_1)
	s_or_b32 exec_lo, exec_lo, s20
.LBB283_811:                            ;   in Loop: Header=BB283_11 Depth=1
	s_delay_alu instid0(SALU_CYCLE_1)
	s_or_b32 exec_lo, exec_lo, s19
	flat_load_b32 v8, v[172:173] offset:3076
	v_mov_b32_e32 v108, 0
	v_mov_b32_e32 v109, 0
	s_mov_b32 s8, exec_lo
	s_waitcnt vmcnt(0) lgkmcnt(0)
	v_and_b32_e32 v2, 0xff, v8
	s_delay_alu instid0(VALU_DEP_2) | instskip(NEXT) | instid1(VALU_DEP_2)
	v_dual_mov_b32 v4, v108 :: v_dual_mov_b32 v5, v109
	v_cmpx_ne_u16_e32 0, v2
	s_cbranch_execz .LBB283_819
; %bb.812:                              ;   in Loop: Header=BB283_11 Depth=1
	v_bfrev_b32_e32 v4, 1
	v_mov_b32_e32 v5, 0
	s_mov_b32 s19, exec_lo
	v_cmpx_ne_u16_e32 0x80, v2
	s_cbranch_execz .LBB283_818
; %bb.813:                              ;   in Loop: Header=BB283_11 Depth=1
	v_mov_b32_e32 v4, 0x7f800001
	v_and_b32_e32 v3, 0x7f, v8
	v_mov_b32_e32 v5, 0
	s_mov_b32 s20, exec_lo
	s_delay_alu instid0(VALU_DEP_2)
	v_cmpx_ne_u32_e32 0x7f, v3
	s_cbranch_execz .LBB283_817
; %bb.814:                              ;   in Loop: Header=BB283_11 Depth=1
	v_and_b32_e32 v110, 7, v8
	v_lshrrev_b32_e32 v2, 3, v3
	s_mov_b32 s21, exec_lo
	v_cmpx_gt_u32_e32 8, v3
; %bb.815:                              ;   in Loop: Header=BB283_11 Depth=1
	s_delay_alu instid0(VALU_DEP_3) | instskip(NEXT) | instid1(VALU_DEP_1)
	v_clz_i32_u32_e32 v2, v110
	v_min_u32_e32 v2, 32, v2
	s_delay_alu instid0(VALU_DEP_1) | instskip(SKIP_1) | instid1(VALU_DEP_2)
	v_subrev_nc_u32_e32 v3, 28, v2
	v_sub_nc_u32_e32 v2, 29, v2
	v_lshlrev_b64 v[3:4], v3, v[110:111]
	s_delay_alu instid0(VALU_DEP_1)
	v_and_b32_e32 v110, 7, v3
; %bb.816:                              ;   in Loop: Header=BB283_11 Depth=1
	s_or_b32 exec_lo, exec_lo, s21
	v_lshlrev_b32_e32 v3, 24, v8
	s_delay_alu instid0(VALU_DEP_2) | instskip(SKIP_1) | instid1(VALU_DEP_3)
	v_lshlrev_b32_e32 v4, 20, v110
	v_lshl_add_u32 v2, v2, 23, 0x3c000000
	v_and_b32_e32 v3, 0x80000000, v3
	s_delay_alu instid0(VALU_DEP_1) | instskip(NEXT) | instid1(VALU_DEP_1)
	v_or3_b32 v110, v4, v3, v2
	v_dual_mov_b32 v4, v110 :: v_dual_mov_b32 v5, v111
.LBB283_817:                            ;   in Loop: Header=BB283_11 Depth=1
	s_or_b32 exec_lo, exec_lo, s20
.LBB283_818:                            ;   in Loop: Header=BB283_11 Depth=1
	s_delay_alu instid0(SALU_CYCLE_1)
	s_or_b32 exec_lo, exec_lo, s19
.LBB283_819:                            ;   in Loop: Header=BB283_11 Depth=1
	s_delay_alu instid0(SALU_CYCLE_1) | instskip(SKIP_2) | instid1(VALU_DEP_1)
	s_or_b32 exec_lo, exec_lo, s8
	v_lshrrev_b16 v2, 8, v8
	s_mov_b32 s19, exec_lo
	v_cmpx_ne_u16_e32 0, v2
	s_cbranch_execz .LBB283_827
; %bb.820:                              ;   in Loop: Header=BB283_11 Depth=1
	v_dual_mov_b32 v109, s3 :: v_dual_mov_b32 v108, s2
	s_mov_b32 s20, exec_lo
	v_cmpx_ne_u16_e32 0x80, v2
	s_cbranch_execz .LBB283_826
; %bb.821:                              ;   in Loop: Header=BB283_11 Depth=1
	s_mov_b32 s8, s2
	v_dual_mov_b32 v109, s9 :: v_dual_and_b32 v2, 0xffff, v2
	v_mov_b32_e32 v108, s8
	s_mov_b32 s8, exec_lo
	s_delay_alu instid0(VALU_DEP_2) | instskip(NEXT) | instid1(VALU_DEP_1)
	v_and_b32_e32 v3, 0x7f, v2
	v_cmpx_ne_u32_e32 0x7f, v3
	s_cbranch_execz .LBB283_825
; %bb.822:                              ;   in Loop: Header=BB283_11 Depth=1
	v_and_b32_e32 v110, 7, v2
	v_lshrrev_b32_e32 v2, 3, v3
	s_mov_b32 s21, exec_lo
	v_cmpx_gt_u32_e32 8, v3
; %bb.823:                              ;   in Loop: Header=BB283_11 Depth=1
	s_delay_alu instid0(VALU_DEP_3) | instskip(NEXT) | instid1(VALU_DEP_1)
	v_clz_i32_u32_e32 v2, v110
	v_min_u32_e32 v2, 32, v2
	s_delay_alu instid0(VALU_DEP_1) | instskip(SKIP_1) | instid1(VALU_DEP_2)
	v_subrev_nc_u32_e32 v3, 28, v2
	v_sub_nc_u32_e32 v2, 29, v2
	v_lshlrev_b64 v[9:10], v3, v[110:111]
	s_delay_alu instid0(VALU_DEP_1)
	v_and_b32_e32 v110, 7, v9
; %bb.824:                              ;   in Loop: Header=BB283_11 Depth=1
	s_or_b32 exec_lo, exec_lo, s21
	v_dual_mov_b32 v108, v111 :: v_dual_lshlrev_b32 v3, 16, v8
	s_delay_alu instid0(VALU_DEP_2) | instskip(SKIP_1) | instid1(VALU_DEP_3)
	v_lshlrev_b32_e32 v9, 20, v110
	v_lshl_add_u32 v2, v2, 23, 0x3c000000
	v_and_b32_e32 v3, 0x80000000, v3
	s_delay_alu instid0(VALU_DEP_1)
	v_or3_b32 v109, v9, v3, v2
.LBB283_825:                            ;   in Loop: Header=BB283_11 Depth=1
	s_or_b32 exec_lo, exec_lo, s8
.LBB283_826:                            ;   in Loop: Header=BB283_11 Depth=1
	s_delay_alu instid0(SALU_CYCLE_1)
	s_or_b32 exec_lo, exec_lo, s20
.LBB283_827:                            ;   in Loop: Header=BB283_11 Depth=1
	s_delay_alu instid0(SALU_CYCLE_1) | instskip(SKIP_4) | instid1(VALU_DEP_1)
	s_or_b32 exec_lo, exec_lo, s19
	v_mov_b32_e32 v2, 0
	v_lshrrev_b32_e32 v9, 16, v8
	v_mov_b32_e32 v3, 0
	s_mov_b32 s8, exec_lo
	v_dual_mov_b32 v121, v3 :: v_dual_and_b32 v10, 0xff, v9
	v_mov_b32_e32 v120, v2
	s_delay_alu instid0(VALU_DEP_2)
	v_cmpx_ne_u16_e32 0, v10
	s_cbranch_execz .LBB283_835
; %bb.828:                              ;   in Loop: Header=BB283_11 Depth=1
	v_bfrev_b32_e32 v120, 1
	v_mov_b32_e32 v121, 0
	s_mov_b32 s19, exec_lo
	v_cmpx_ne_u16_e32 0x80, v10
	s_cbranch_execz .LBB283_834
; %bb.829:                              ;   in Loop: Header=BB283_11 Depth=1
	v_mov_b32_e32 v120, 0x7f800001
	v_bfe_u32 v11, v8, 16, 7
	v_mov_b32_e32 v121, 0
	s_mov_b32 s20, exec_lo
	s_delay_alu instid0(VALU_DEP_2)
	v_cmpx_ne_u32_e32 0x7f, v11
	s_cbranch_execz .LBB283_833
; %bb.830:                              ;   in Loop: Header=BB283_11 Depth=1
	v_and_b32_e32 v110, 7, v9
	v_lshrrev_b32_e32 v10, 3, v11
	s_mov_b32 s21, exec_lo
	v_cmpx_gt_u32_e32 8, v11
; %bb.831:                              ;   in Loop: Header=BB283_11 Depth=1
	s_delay_alu instid0(VALU_DEP_3) | instskip(NEXT) | instid1(VALU_DEP_1)
	v_clz_i32_u32_e32 v10, v110
	v_min_u32_e32 v10, 32, v10
	s_delay_alu instid0(VALU_DEP_1) | instskip(SKIP_1) | instid1(VALU_DEP_2)
	v_subrev_nc_u32_e32 v11, 28, v10
	v_sub_nc_u32_e32 v10, 29, v10
	v_lshlrev_b64 v[11:12], v11, v[110:111]
	s_delay_alu instid0(VALU_DEP_1)
	v_and_b32_e32 v110, 7, v11
; %bb.832:                              ;   in Loop: Header=BB283_11 Depth=1
	s_or_b32 exec_lo, exec_lo, s21
	v_lshlrev_b32_e32 v9, 24, v9
	s_delay_alu instid0(VALU_DEP_2) | instskip(SKIP_1) | instid1(VALU_DEP_3)
	v_lshlrev_b32_e32 v11, 20, v110
	v_lshl_add_u32 v10, v10, 23, 0x3c000000
	v_and_b32_e32 v9, 0x80000000, v9
	s_delay_alu instid0(VALU_DEP_1) | instskip(NEXT) | instid1(VALU_DEP_1)
	v_or3_b32 v110, v11, v9, v10
	v_dual_mov_b32 v121, v111 :: v_dual_mov_b32 v120, v110
.LBB283_833:                            ;   in Loop: Header=BB283_11 Depth=1
	s_or_b32 exec_lo, exec_lo, s20
.LBB283_834:                            ;   in Loop: Header=BB283_11 Depth=1
	s_delay_alu instid0(SALU_CYCLE_1)
	s_or_b32 exec_lo, exec_lo, s19
.LBB283_835:                            ;   in Loop: Header=BB283_11 Depth=1
	s_delay_alu instid0(SALU_CYCLE_1) | instskip(NEXT) | instid1(SALU_CYCLE_1)
	s_or_b32 exec_lo, exec_lo, s8
	s_mov_b32 s19, exec_lo
	v_cmpx_lt_u32_e32 0xffffff, v8
	s_cbranch_execz .LBB283_843
; %bb.836:                              ;   in Loop: Header=BB283_11 Depth=1
	v_lshrrev_b32_e32 v9, 24, v8
	v_dual_mov_b32 v2, s2 :: v_dual_mov_b32 v3, s3
	s_mov_b32 s20, exec_lo
	s_delay_alu instid0(VALU_DEP_2)
	v_cmpx_ne_u32_e32 0x80, v9
	s_cbranch_execz .LBB283_842
; %bb.837:                              ;   in Loop: Header=BB283_11 Depth=1
	s_mov_b32 s8, s2
	v_bfe_u32 v8, v8, 24, 7
	v_dual_mov_b32 v2, s8 :: v_dual_mov_b32 v3, s9
	s_mov_b32 s8, exec_lo
	s_delay_alu instid0(VALU_DEP_2)
	v_cmpx_ne_u32_e32 0x7f, v8
	s_cbranch_execz .LBB283_841
; %bb.838:                              ;   in Loop: Header=BB283_11 Depth=1
	v_and_b32_e32 v110, 7, v9
	v_lshrrev_b32_e32 v2, 3, v8
	s_mov_b32 s21, exec_lo
	v_cmpx_gt_u32_e32 8, v8
; %bb.839:                              ;   in Loop: Header=BB283_11 Depth=1
	s_delay_alu instid0(VALU_DEP_3) | instskip(NEXT) | instid1(VALU_DEP_1)
	v_clz_i32_u32_e32 v2, v110
	v_min_u32_e32 v2, 32, v2
	s_delay_alu instid0(VALU_DEP_1) | instskip(SKIP_1) | instid1(VALU_DEP_2)
	v_subrev_nc_u32_e32 v3, 28, v2
	v_sub_nc_u32_e32 v2, 29, v2
	v_lshlrev_b64 v[10:11], v3, v[110:111]
	s_delay_alu instid0(VALU_DEP_1)
	v_and_b32_e32 v110, 7, v10
; %bb.840:                              ;   in Loop: Header=BB283_11 Depth=1
	s_or_b32 exec_lo, exec_lo, s21
	v_lshlrev_b32_e32 v3, 24, v9
	s_delay_alu instid0(VALU_DEP_2) | instskip(SKIP_1) | instid1(VALU_DEP_3)
	v_lshlrev_b32_e32 v8, 20, v110
	v_lshl_add_u32 v2, v2, 23, 0x3c000000
	v_and_b32_e32 v3, 0x80000000, v3
	s_delay_alu instid0(VALU_DEP_1)
	v_or3_b32 v3, v8, v3, v2
	v_mov_b32_e32 v2, v111
.LBB283_841:                            ;   in Loop: Header=BB283_11 Depth=1
	s_or_b32 exec_lo, exec_lo, s8
.LBB283_842:                            ;   in Loop: Header=BB283_11 Depth=1
	s_delay_alu instid0(SALU_CYCLE_1)
	s_or_b32 exec_lo, exec_lo, s20
.LBB283_843:                            ;   in Loop: Header=BB283_11 Depth=1
	s_delay_alu instid0(SALU_CYCLE_1) | instskip(SKIP_3) | instid1(VALU_DEP_2)
	s_or_b32 exec_lo, exec_lo, s19
	flat_load_b32 v10, v[172:173] offset:3080
	v_mov_b32_e32 v22, 0
	v_mov_b32_e32 v23, 0
	;; [unrolled: 1-line block ×3, first 2 shown]
	s_mov_b32 s8, exec_lo
	s_delay_alu instid0(VALU_DEP_2) | instskip(SKIP_2) | instid1(VALU_DEP_1)
	v_mov_b32_e32 v9, v23
	s_waitcnt vmcnt(0) lgkmcnt(0)
	v_and_b32_e32 v11, 0xff, v10
	v_cmpx_ne_u16_e32 0, v11
	s_cbranch_execz .LBB283_851
; %bb.844:                              ;   in Loop: Header=BB283_11 Depth=1
	v_bfrev_b32_e32 v8, 1
	v_mov_b32_e32 v9, 0
	s_mov_b32 s19, exec_lo
	v_cmpx_ne_u16_e32 0x80, v11
	s_cbranch_execz .LBB283_850
; %bb.845:                              ;   in Loop: Header=BB283_11 Depth=1
	v_mov_b32_e32 v8, 0x7f800001
	v_and_b32_e32 v11, 0x7f, v10
	v_mov_b32_e32 v9, 0
	s_mov_b32 s20, exec_lo
	s_delay_alu instid0(VALU_DEP_2)
	v_cmpx_ne_u32_e32 0x7f, v11
	s_cbranch_execz .LBB283_849
; %bb.846:                              ;   in Loop: Header=BB283_11 Depth=1
	v_and_b32_e32 v110, 7, v10
	v_lshrrev_b32_e32 v8, 3, v11
	s_mov_b32 s21, exec_lo
	v_cmpx_gt_u32_e32 8, v11
; %bb.847:                              ;   in Loop: Header=BB283_11 Depth=1
	s_delay_alu instid0(VALU_DEP_3) | instskip(NEXT) | instid1(VALU_DEP_1)
	v_clz_i32_u32_e32 v8, v110
	v_min_u32_e32 v8, 32, v8
	s_delay_alu instid0(VALU_DEP_1) | instskip(SKIP_1) | instid1(VALU_DEP_2)
	v_subrev_nc_u32_e32 v9, 28, v8
	v_sub_nc_u32_e32 v8, 29, v8
	v_lshlrev_b64 v[11:12], v9, v[110:111]
	s_delay_alu instid0(VALU_DEP_1)
	v_and_b32_e32 v110, 7, v11
; %bb.848:                              ;   in Loop: Header=BB283_11 Depth=1
	s_or_b32 exec_lo, exec_lo, s21
	v_lshlrev_b32_e32 v9, 24, v10
	s_delay_alu instid0(VALU_DEP_2) | instskip(SKIP_1) | instid1(VALU_DEP_3)
	v_lshlrev_b32_e32 v11, 20, v110
	v_lshl_add_u32 v8, v8, 23, 0x3c000000
	v_and_b32_e32 v9, 0x80000000, v9
	s_delay_alu instid0(VALU_DEP_1) | instskip(NEXT) | instid1(VALU_DEP_1)
	v_or3_b32 v110, v11, v9, v8
	v_dual_mov_b32 v8, v110 :: v_dual_mov_b32 v9, v111
.LBB283_849:                            ;   in Loop: Header=BB283_11 Depth=1
	s_or_b32 exec_lo, exec_lo, s20
.LBB283_850:                            ;   in Loop: Header=BB283_11 Depth=1
	s_delay_alu instid0(SALU_CYCLE_1)
	s_or_b32 exec_lo, exec_lo, s19
.LBB283_851:                            ;   in Loop: Header=BB283_11 Depth=1
	s_delay_alu instid0(SALU_CYCLE_1) | instskip(SKIP_2) | instid1(VALU_DEP_1)
	s_or_b32 exec_lo, exec_lo, s8
	v_lshrrev_b16 v11, 8, v10
	s_mov_b32 s19, exec_lo
	v_cmpx_ne_u16_e32 0, v11
	s_cbranch_execz .LBB283_859
; %bb.852:                              ;   in Loop: Header=BB283_11 Depth=1
	v_dual_mov_b32 v23, s3 :: v_dual_mov_b32 v22, s2
	s_mov_b32 s20, exec_lo
	v_cmpx_ne_u16_e32 0x80, v11
	s_cbranch_execz .LBB283_858
; %bb.853:                              ;   in Loop: Header=BB283_11 Depth=1
	s_mov_b32 s8, s2
	v_and_b32_e32 v11, 0xffff, v11
	v_dual_mov_b32 v23, s9 :: v_dual_mov_b32 v22, s8
	s_mov_b32 s8, exec_lo
	s_delay_alu instid0(VALU_DEP_2) | instskip(NEXT) | instid1(VALU_DEP_1)
	v_and_b32_e32 v12, 0x7f, v11
	v_cmpx_ne_u32_e32 0x7f, v12
	s_cbranch_execz .LBB283_857
; %bb.854:                              ;   in Loop: Header=BB283_11 Depth=1
	v_and_b32_e32 v110, 7, v11
	v_lshrrev_b32_e32 v11, 3, v12
	s_mov_b32 s21, exec_lo
	v_cmpx_gt_u32_e32 8, v12
; %bb.855:                              ;   in Loop: Header=BB283_11 Depth=1
	s_delay_alu instid0(VALU_DEP_3) | instskip(NEXT) | instid1(VALU_DEP_1)
	v_clz_i32_u32_e32 v11, v110
	v_min_u32_e32 v11, 32, v11
	s_delay_alu instid0(VALU_DEP_1) | instskip(SKIP_1) | instid1(VALU_DEP_2)
	v_subrev_nc_u32_e32 v12, 28, v11
	v_sub_nc_u32_e32 v11, 29, v11
	v_lshlrev_b64 v[12:13], v12, v[110:111]
	s_delay_alu instid0(VALU_DEP_1)
	v_and_b32_e32 v110, 7, v12
; %bb.856:                              ;   in Loop: Header=BB283_11 Depth=1
	s_or_b32 exec_lo, exec_lo, s21
	v_lshlrev_b32_e32 v12, 16, v10
	s_delay_alu instid0(VALU_DEP_2) | instskip(SKIP_1) | instid1(VALU_DEP_3)
	v_dual_mov_b32 v22, v111 :: v_dual_lshlrev_b32 v13, 20, v110
	v_lshl_add_u32 v11, v11, 23, 0x3c000000
	v_and_b32_e32 v12, 0x80000000, v12
	s_delay_alu instid0(VALU_DEP_1)
	v_or3_b32 v23, v13, v12, v11
.LBB283_857:                            ;   in Loop: Header=BB283_11 Depth=1
	s_or_b32 exec_lo, exec_lo, s8
.LBB283_858:                            ;   in Loop: Header=BB283_11 Depth=1
	s_delay_alu instid0(SALU_CYCLE_1)
	s_or_b32 exec_lo, exec_lo, s20
.LBB283_859:                            ;   in Loop: Header=BB283_11 Depth=1
	s_delay_alu instid0(SALU_CYCLE_1) | instskip(SKIP_4) | instid1(VALU_DEP_1)
	s_or_b32 exec_lo, exec_lo, s19
	v_mov_b32_e32 v18, 0
	v_lshrrev_b32_e32 v11, 16, v10
	v_mov_b32_e32 v19, 0
	s_mov_b32 s8, exec_lo
	v_dual_mov_b32 v31, v19 :: v_dual_and_b32 v12, 0xff, v11
	v_mov_b32_e32 v30, v18
	s_delay_alu instid0(VALU_DEP_2)
	v_cmpx_ne_u16_e32 0, v12
	s_cbranch_execz .LBB283_867
; %bb.860:                              ;   in Loop: Header=BB283_11 Depth=1
	v_bfrev_b32_e32 v30, 1
	v_mov_b32_e32 v31, 0
	s_mov_b32 s19, exec_lo
	v_cmpx_ne_u16_e32 0x80, v12
	s_cbranch_execz .LBB283_866
; %bb.861:                              ;   in Loop: Header=BB283_11 Depth=1
	v_mov_b32_e32 v30, 0x7f800001
	v_bfe_u32 v13, v10, 16, 7
	v_mov_b32_e32 v31, 0
	s_mov_b32 s20, exec_lo
	s_delay_alu instid0(VALU_DEP_2)
	v_cmpx_ne_u32_e32 0x7f, v13
	s_cbranch_execz .LBB283_865
; %bb.862:                              ;   in Loop: Header=BB283_11 Depth=1
	v_and_b32_e32 v110, 7, v11
	v_lshrrev_b32_e32 v12, 3, v13
	s_mov_b32 s21, exec_lo
	v_cmpx_gt_u32_e32 8, v13
; %bb.863:                              ;   in Loop: Header=BB283_11 Depth=1
	s_delay_alu instid0(VALU_DEP_3) | instskip(NEXT) | instid1(VALU_DEP_1)
	v_clz_i32_u32_e32 v12, v110
	v_min_u32_e32 v12, 32, v12
	s_delay_alu instid0(VALU_DEP_1) | instskip(SKIP_1) | instid1(VALU_DEP_2)
	v_subrev_nc_u32_e32 v13, 28, v12
	v_sub_nc_u32_e32 v12, 29, v12
	v_lshlrev_b64 v[26:27], v13, v[110:111]
	s_delay_alu instid0(VALU_DEP_1)
	v_and_b32_e32 v110, 7, v26
; %bb.864:                              ;   in Loop: Header=BB283_11 Depth=1
	s_or_b32 exec_lo, exec_lo, s21
	v_lshlrev_b32_e32 v11, 24, v11
	s_delay_alu instid0(VALU_DEP_2) | instskip(SKIP_1) | instid1(VALU_DEP_3)
	v_lshlrev_b32_e32 v13, 20, v110
	v_lshl_add_u32 v12, v12, 23, 0x3c000000
	v_and_b32_e32 v11, 0x80000000, v11
	s_delay_alu instid0(VALU_DEP_1) | instskip(NEXT) | instid1(VALU_DEP_1)
	v_or3_b32 v110, v13, v11, v12
	v_dual_mov_b32 v30, v110 :: v_dual_mov_b32 v31, v111
.LBB283_865:                            ;   in Loop: Header=BB283_11 Depth=1
	s_or_b32 exec_lo, exec_lo, s20
.LBB283_866:                            ;   in Loop: Header=BB283_11 Depth=1
	s_delay_alu instid0(SALU_CYCLE_1)
	s_or_b32 exec_lo, exec_lo, s19
.LBB283_867:                            ;   in Loop: Header=BB283_11 Depth=1
	s_delay_alu instid0(SALU_CYCLE_1) | instskip(NEXT) | instid1(SALU_CYCLE_1)
	s_or_b32 exec_lo, exec_lo, s8
	s_mov_b32 s19, exec_lo
	v_cmpx_lt_u32_e32 0xffffff, v10
	s_cbranch_execz .LBB283_875
; %bb.868:                              ;   in Loop: Header=BB283_11 Depth=1
	v_lshrrev_b32_e32 v11, 24, v10
	v_dual_mov_b32 v19, s3 :: v_dual_mov_b32 v18, s2
	s_mov_b32 s20, exec_lo
	s_delay_alu instid0(VALU_DEP_2)
	v_cmpx_ne_u32_e32 0x80, v11
	s_cbranch_execz .LBB283_874
; %bb.869:                              ;   in Loop: Header=BB283_11 Depth=1
	s_mov_b32 s8, s2
	v_bfe_u32 v12, v10, 24, 7
	v_dual_mov_b32 v19, s9 :: v_dual_mov_b32 v18, s8
	s_mov_b32 s8, exec_lo
	s_delay_alu instid0(VALU_DEP_2)
	v_cmpx_ne_u32_e32 0x7f, v12
	s_cbranch_execz .LBB283_873
; %bb.870:                              ;   in Loop: Header=BB283_11 Depth=1
	v_and_b32_e32 v110, 7, v11
	v_lshrrev_b32_e32 v10, 3, v12
	s_mov_b32 s21, exec_lo
	v_cmpx_gt_u32_e32 8, v12
; %bb.871:                              ;   in Loop: Header=BB283_11 Depth=1
	s_delay_alu instid0(VALU_DEP_3) | instskip(NEXT) | instid1(VALU_DEP_1)
	v_clz_i32_u32_e32 v10, v110
	v_min_u32_e32 v10, 32, v10
	s_delay_alu instid0(VALU_DEP_1) | instskip(SKIP_1) | instid1(VALU_DEP_2)
	v_subrev_nc_u32_e32 v12, 28, v10
	v_sub_nc_u32_e32 v10, 29, v10
	v_lshlrev_b64 v[12:13], v12, v[110:111]
	s_delay_alu instid0(VALU_DEP_1)
	v_and_b32_e32 v110, 7, v12
; %bb.872:                              ;   in Loop: Header=BB283_11 Depth=1
	s_or_b32 exec_lo, exec_lo, s21
	v_dual_mov_b32 v18, v111 :: v_dual_lshlrev_b32 v11, 24, v11
	s_delay_alu instid0(VALU_DEP_2) | instskip(SKIP_1) | instid1(VALU_DEP_3)
	v_lshlrev_b32_e32 v12, 20, v110
	v_lshl_add_u32 v10, v10, 23, 0x3c000000
	v_and_b32_e32 v11, 0x80000000, v11
	s_delay_alu instid0(VALU_DEP_1)
	v_or3_b32 v19, v12, v11, v10
.LBB283_873:                            ;   in Loop: Header=BB283_11 Depth=1
	s_or_b32 exec_lo, exec_lo, s8
.LBB283_874:                            ;   in Loop: Header=BB283_11 Depth=1
	s_delay_alu instid0(SALU_CYCLE_1)
	s_or_b32 exec_lo, exec_lo, s20
.LBB283_875:                            ;   in Loop: Header=BB283_11 Depth=1
	s_delay_alu instid0(SALU_CYCLE_1) | instskip(SKIP_3) | instid1(VALU_DEP_2)
	s_or_b32 exec_lo, exec_lo, s19
	flat_load_b32 v10, v[172:173] offset:3084
	v_mov_b32_e32 v126, 0
	v_mov_b32_e32 v127, 0
	;; [unrolled: 1-line block ×3, first 2 shown]
	s_mov_b32 s8, exec_lo
	s_delay_alu instid0(VALU_DEP_2) | instskip(SKIP_2) | instid1(VALU_DEP_1)
	v_mov_b32_e32 v35, v127
	s_waitcnt vmcnt(0) lgkmcnt(0)
	v_and_b32_e32 v11, 0xff, v10
	v_cmpx_ne_u16_e32 0, v11
	s_cbranch_execz .LBB283_883
; %bb.876:                              ;   in Loop: Header=BB283_11 Depth=1
	v_bfrev_b32_e32 v34, 1
	v_mov_b32_e32 v35, 0
	s_mov_b32 s19, exec_lo
	v_cmpx_ne_u16_e32 0x80, v11
	s_cbranch_execz .LBB283_882
; %bb.877:                              ;   in Loop: Header=BB283_11 Depth=1
	v_mov_b32_e32 v34, 0x7f800001
	v_dual_mov_b32 v35, 0 :: v_dual_and_b32 v12, 0x7f, v10
	s_mov_b32 s20, exec_lo
	s_delay_alu instid0(VALU_DEP_1)
	v_cmpx_ne_u32_e32 0x7f, v12
	s_cbranch_execz .LBB283_881
; %bb.878:                              ;   in Loop: Header=BB283_11 Depth=1
	v_and_b32_e32 v110, 7, v10
	v_lshrrev_b32_e32 v11, 3, v12
	s_mov_b32 s21, exec_lo
	v_cmpx_gt_u32_e32 8, v12
; %bb.879:                              ;   in Loop: Header=BB283_11 Depth=1
	s_delay_alu instid0(VALU_DEP_3) | instskip(NEXT) | instid1(VALU_DEP_1)
	v_clz_i32_u32_e32 v11, v110
	v_min_u32_e32 v11, 32, v11
	s_delay_alu instid0(VALU_DEP_1) | instskip(SKIP_1) | instid1(VALU_DEP_2)
	v_subrev_nc_u32_e32 v12, 28, v11
	v_sub_nc_u32_e32 v11, 29, v11
	v_lshlrev_b64 v[12:13], v12, v[110:111]
	s_delay_alu instid0(VALU_DEP_1)
	v_and_b32_e32 v110, 7, v12
; %bb.880:                              ;   in Loop: Header=BB283_11 Depth=1
	s_or_b32 exec_lo, exec_lo, s21
	v_lshlrev_b32_e32 v12, 24, v10
	s_delay_alu instid0(VALU_DEP_2) | instskip(SKIP_1) | instid1(VALU_DEP_3)
	v_lshlrev_b32_e32 v13, 20, v110
	v_lshl_add_u32 v11, v11, 23, 0x3c000000
	v_and_b32_e32 v12, 0x80000000, v12
	s_delay_alu instid0(VALU_DEP_1) | instskip(NEXT) | instid1(VALU_DEP_1)
	v_or3_b32 v110, v13, v12, v11
	v_dual_mov_b32 v34, v110 :: v_dual_mov_b32 v35, v111
.LBB283_881:                            ;   in Loop: Header=BB283_11 Depth=1
	s_or_b32 exec_lo, exec_lo, s20
.LBB283_882:                            ;   in Loop: Header=BB283_11 Depth=1
	s_delay_alu instid0(SALU_CYCLE_1)
	s_or_b32 exec_lo, exec_lo, s19
.LBB283_883:                            ;   in Loop: Header=BB283_11 Depth=1
	s_delay_alu instid0(SALU_CYCLE_1) | instskip(SKIP_2) | instid1(VALU_DEP_1)
	s_or_b32 exec_lo, exec_lo, s8
	v_lshrrev_b16 v11, 8, v10
	s_mov_b32 s19, exec_lo
	v_cmpx_ne_u16_e32 0, v11
	s_cbranch_execz .LBB283_891
; %bb.884:                              ;   in Loop: Header=BB283_11 Depth=1
	v_dual_mov_b32 v127, s3 :: v_dual_mov_b32 v126, s2
	s_mov_b32 s20, exec_lo
	v_cmpx_ne_u16_e32 0x80, v11
	s_cbranch_execz .LBB283_890
; %bb.885:                              ;   in Loop: Header=BB283_11 Depth=1
	s_mov_b32 s8, s2
	v_and_b32_e32 v11, 0xffff, v11
	v_dual_mov_b32 v127, s9 :: v_dual_mov_b32 v126, s8
	s_mov_b32 s8, exec_lo
	s_delay_alu instid0(VALU_DEP_2) | instskip(NEXT) | instid1(VALU_DEP_1)
	v_and_b32_e32 v12, 0x7f, v11
	v_cmpx_ne_u32_e32 0x7f, v12
	s_cbranch_execz .LBB283_889
; %bb.886:                              ;   in Loop: Header=BB283_11 Depth=1
	v_and_b32_e32 v110, 7, v11
	v_lshrrev_b32_e32 v11, 3, v12
	s_mov_b32 s21, exec_lo
	v_cmpx_gt_u32_e32 8, v12
; %bb.887:                              ;   in Loop: Header=BB283_11 Depth=1
	s_delay_alu instid0(VALU_DEP_3) | instskip(NEXT) | instid1(VALU_DEP_1)
	v_clz_i32_u32_e32 v11, v110
	v_min_u32_e32 v11, 32, v11
	s_delay_alu instid0(VALU_DEP_1) | instskip(SKIP_1) | instid1(VALU_DEP_2)
	v_subrev_nc_u32_e32 v12, 28, v11
	v_sub_nc_u32_e32 v11, 29, v11
	v_lshlrev_b64 v[12:13], v12, v[110:111]
	s_delay_alu instid0(VALU_DEP_1)
	v_and_b32_e32 v110, 7, v12
; %bb.888:                              ;   in Loop: Header=BB283_11 Depth=1
	s_or_b32 exec_lo, exec_lo, s21
	v_lshlrev_b32_e32 v12, 16, v10
	s_delay_alu instid0(VALU_DEP_2) | instskip(SKIP_1) | instid1(VALU_DEP_3)
	v_dual_mov_b32 v126, v111 :: v_dual_lshlrev_b32 v13, 20, v110
	v_lshl_add_u32 v11, v11, 23, 0x3c000000
	v_and_b32_e32 v12, 0x80000000, v12
	s_delay_alu instid0(VALU_DEP_1)
	v_or3_b32 v127, v13, v12, v11
.LBB283_889:                            ;   in Loop: Header=BB283_11 Depth=1
	s_or_b32 exec_lo, exec_lo, s8
.LBB283_890:                            ;   in Loop: Header=BB283_11 Depth=1
	s_delay_alu instid0(SALU_CYCLE_1)
	s_or_b32 exec_lo, exec_lo, s20
.LBB283_891:                            ;   in Loop: Header=BB283_11 Depth=1
	s_delay_alu instid0(SALU_CYCLE_1) | instskip(SKIP_4) | instid1(VALU_DEP_2)
	s_or_b32 exec_lo, exec_lo, s19
	v_mov_b32_e32 v138, 0
	v_lshrrev_b32_e32 v11, 16, v10
	v_mov_b32_e32 v139, 0
	s_mov_b32 s8, exec_lo
	v_and_b32_e32 v12, 0xff, v11
	s_delay_alu instid0(VALU_DEP_2) | instskip(NEXT) | instid1(VALU_DEP_2)
	v_dual_mov_b32 v38, v138 :: v_dual_mov_b32 v39, v139
	v_cmpx_ne_u16_e32 0, v12
	s_cbranch_execz .LBB283_899
; %bb.892:                              ;   in Loop: Header=BB283_11 Depth=1
	v_bfrev_b32_e32 v38, 1
	v_mov_b32_e32 v39, 0
	s_mov_b32 s19, exec_lo
	v_cmpx_ne_u16_e32 0x80, v12
	s_cbranch_execz .LBB283_898
; %bb.893:                              ;   in Loop: Header=BB283_11 Depth=1
	v_mov_b32_e32 v38, 0x7f800001
	v_bfe_u32 v13, v10, 16, 7
	v_mov_b32_e32 v39, 0
	s_mov_b32 s20, exec_lo
	s_delay_alu instid0(VALU_DEP_2)
	v_cmpx_ne_u32_e32 0x7f, v13
	s_cbranch_execz .LBB283_897
; %bb.894:                              ;   in Loop: Header=BB283_11 Depth=1
	v_and_b32_e32 v110, 7, v11
	v_lshrrev_b32_e32 v12, 3, v13
	s_mov_b32 s21, exec_lo
	v_cmpx_gt_u32_e32 8, v13
; %bb.895:                              ;   in Loop: Header=BB283_11 Depth=1
	s_delay_alu instid0(VALU_DEP_3) | instskip(NEXT) | instid1(VALU_DEP_1)
	v_clz_i32_u32_e32 v12, v110
	v_min_u32_e32 v12, 32, v12
	s_delay_alu instid0(VALU_DEP_1) | instskip(SKIP_1) | instid1(VALU_DEP_2)
	v_subrev_nc_u32_e32 v13, 28, v12
	v_sub_nc_u32_e32 v12, 29, v12
	v_lshlrev_b64 v[26:27], v13, v[110:111]
	s_delay_alu instid0(VALU_DEP_1)
	v_and_b32_e32 v110, 7, v26
; %bb.896:                              ;   in Loop: Header=BB283_11 Depth=1
	s_or_b32 exec_lo, exec_lo, s21
	v_lshlrev_b32_e32 v11, 24, v11
	s_delay_alu instid0(VALU_DEP_2) | instskip(SKIP_1) | instid1(VALU_DEP_3)
	v_lshlrev_b32_e32 v13, 20, v110
	v_lshl_add_u32 v12, v12, 23, 0x3c000000
	v_and_b32_e32 v11, 0x80000000, v11
	s_delay_alu instid0(VALU_DEP_1) | instskip(NEXT) | instid1(VALU_DEP_1)
	v_or3_b32 v110, v13, v11, v12
	v_dual_mov_b32 v38, v110 :: v_dual_mov_b32 v39, v111
.LBB283_897:                            ;   in Loop: Header=BB283_11 Depth=1
	s_or_b32 exec_lo, exec_lo, s20
.LBB283_898:                            ;   in Loop: Header=BB283_11 Depth=1
	s_delay_alu instid0(SALU_CYCLE_1)
	s_or_b32 exec_lo, exec_lo, s19
.LBB283_899:                            ;   in Loop: Header=BB283_11 Depth=1
	s_delay_alu instid0(SALU_CYCLE_1) | instskip(NEXT) | instid1(SALU_CYCLE_1)
	s_or_b32 exec_lo, exec_lo, s8
	s_mov_b32 s19, exec_lo
	v_cmpx_lt_u32_e32 0xffffff, v10
	s_cbranch_execz .LBB283_907
; %bb.900:                              ;   in Loop: Header=BB283_11 Depth=1
	v_lshrrev_b32_e32 v11, 24, v10
	v_dual_mov_b32 v139, s3 :: v_dual_mov_b32 v138, s2
	s_mov_b32 s20, exec_lo
	s_delay_alu instid0(VALU_DEP_2)
	v_cmpx_ne_u32_e32 0x80, v11
	s_cbranch_execz .LBB283_906
; %bb.901:                              ;   in Loop: Header=BB283_11 Depth=1
	s_mov_b32 s8, s2
	v_bfe_u32 v12, v10, 24, 7
	v_dual_mov_b32 v139, s9 :: v_dual_mov_b32 v138, s8
	s_mov_b32 s8, exec_lo
	s_delay_alu instid0(VALU_DEP_2)
	v_cmpx_ne_u32_e32 0x7f, v12
	s_cbranch_execz .LBB283_905
; %bb.902:                              ;   in Loop: Header=BB283_11 Depth=1
	v_and_b32_e32 v110, 7, v11
	v_lshrrev_b32_e32 v10, 3, v12
	s_mov_b32 s21, exec_lo
	v_cmpx_gt_u32_e32 8, v12
; %bb.903:                              ;   in Loop: Header=BB283_11 Depth=1
	s_delay_alu instid0(VALU_DEP_3) | instskip(NEXT) | instid1(VALU_DEP_1)
	v_clz_i32_u32_e32 v10, v110
	v_min_u32_e32 v10, 32, v10
	s_delay_alu instid0(VALU_DEP_1) | instskip(SKIP_1) | instid1(VALU_DEP_2)
	v_subrev_nc_u32_e32 v12, 28, v10
	v_sub_nc_u32_e32 v10, 29, v10
	v_lshlrev_b64 v[12:13], v12, v[110:111]
	s_delay_alu instid0(VALU_DEP_1)
	v_and_b32_e32 v110, 7, v12
; %bb.904:                              ;   in Loop: Header=BB283_11 Depth=1
	s_or_b32 exec_lo, exec_lo, s21
	v_dual_mov_b32 v138, v111 :: v_dual_lshlrev_b32 v11, 24, v11
	s_delay_alu instid0(VALU_DEP_2) | instskip(SKIP_1) | instid1(VALU_DEP_3)
	v_lshlrev_b32_e32 v12, 20, v110
	v_lshl_add_u32 v10, v10, 23, 0x3c000000
	v_and_b32_e32 v11, 0x80000000, v11
	s_delay_alu instid0(VALU_DEP_1)
	v_or3_b32 v139, v12, v11, v10
.LBB283_905:                            ;   in Loop: Header=BB283_11 Depth=1
	s_or_b32 exec_lo, exec_lo, s8
.LBB283_906:                            ;   in Loop: Header=BB283_11 Depth=1
	s_delay_alu instid0(SALU_CYCLE_1)
	s_or_b32 exec_lo, exec_lo, s20
.LBB283_907:                            ;   in Loop: Header=BB283_11 Depth=1
	s_delay_alu instid0(SALU_CYCLE_1) | instskip(SKIP_4) | instid1(VALU_DEP_1)
	s_or_b32 exec_lo, exec_lo, s19
	flat_load_b32 v10, v[172:173] offset:3584
	v_mov_b32_e32 v142, 0
	v_mov_b32_e32 v143, 0
	s_mov_b32 s8, exec_lo
	v_dual_mov_b32 v155, v143 :: v_dual_mov_b32 v154, v142
	s_waitcnt vmcnt(0) lgkmcnt(0)
	v_and_b32_e32 v11, 0xff, v10
	s_delay_alu instid0(VALU_DEP_1)
	v_cmpx_ne_u16_e32 0, v11
	s_cbranch_execz .LBB283_915
; %bb.908:                              ;   in Loop: Header=BB283_11 Depth=1
	v_bfrev_b32_e32 v154, 1
	v_mov_b32_e32 v155, 0
	s_mov_b32 s19, exec_lo
	v_cmpx_ne_u16_e32 0x80, v11
	s_cbranch_execz .LBB283_914
; %bb.909:                              ;   in Loop: Header=BB283_11 Depth=1
	v_mov_b32_e32 v154, 0x7f800001
	v_dual_mov_b32 v155, 0 :: v_dual_and_b32 v12, 0x7f, v10
	s_mov_b32 s20, exec_lo
	s_delay_alu instid0(VALU_DEP_1)
	v_cmpx_ne_u32_e32 0x7f, v12
	s_cbranch_execz .LBB283_913
; %bb.910:                              ;   in Loop: Header=BB283_11 Depth=1
	v_and_b32_e32 v110, 7, v10
	v_lshrrev_b32_e32 v11, 3, v12
	s_mov_b32 s21, exec_lo
	v_cmpx_gt_u32_e32 8, v12
; %bb.911:                              ;   in Loop: Header=BB283_11 Depth=1
	s_delay_alu instid0(VALU_DEP_3) | instskip(NEXT) | instid1(VALU_DEP_1)
	v_clz_i32_u32_e32 v11, v110
	v_min_u32_e32 v11, 32, v11
	s_delay_alu instid0(VALU_DEP_1) | instskip(SKIP_1) | instid1(VALU_DEP_2)
	v_subrev_nc_u32_e32 v12, 28, v11
	v_sub_nc_u32_e32 v11, 29, v11
	v_lshlrev_b64 v[12:13], v12, v[110:111]
	s_delay_alu instid0(VALU_DEP_1)
	v_and_b32_e32 v110, 7, v12
; %bb.912:                              ;   in Loop: Header=BB283_11 Depth=1
	s_or_b32 exec_lo, exec_lo, s21
	v_lshlrev_b32_e32 v12, 24, v10
	s_delay_alu instid0(VALU_DEP_2) | instskip(SKIP_1) | instid1(VALU_DEP_3)
	v_lshlrev_b32_e32 v13, 20, v110
	v_lshl_add_u32 v11, v11, 23, 0x3c000000
	v_and_b32_e32 v12, 0x80000000, v12
	s_delay_alu instid0(VALU_DEP_1) | instskip(NEXT) | instid1(VALU_DEP_1)
	v_or3_b32 v110, v13, v12, v11
	v_dual_mov_b32 v155, v111 :: v_dual_mov_b32 v154, v110
.LBB283_913:                            ;   in Loop: Header=BB283_11 Depth=1
	s_or_b32 exec_lo, exec_lo, s20
.LBB283_914:                            ;   in Loop: Header=BB283_11 Depth=1
	s_delay_alu instid0(SALU_CYCLE_1)
	s_or_b32 exec_lo, exec_lo, s19
.LBB283_915:                            ;   in Loop: Header=BB283_11 Depth=1
	s_delay_alu instid0(SALU_CYCLE_1) | instskip(SKIP_2) | instid1(VALU_DEP_1)
	s_or_b32 exec_lo, exec_lo, s8
	v_lshrrev_b16 v11, 8, v10
	s_mov_b32 s19, exec_lo
	v_cmpx_ne_u16_e32 0, v11
	s_cbranch_execz .LBB283_923
; %bb.916:                              ;   in Loop: Header=BB283_11 Depth=1
	v_dual_mov_b32 v143, s3 :: v_dual_mov_b32 v142, s2
	s_mov_b32 s20, exec_lo
	v_cmpx_ne_u16_e32 0x80, v11
	s_cbranch_execz .LBB283_922
; %bb.917:                              ;   in Loop: Header=BB283_11 Depth=1
	s_mov_b32 s8, s2
	v_and_b32_e32 v11, 0xffff, v11
	v_dual_mov_b32 v143, s9 :: v_dual_mov_b32 v142, s8
	s_mov_b32 s8, exec_lo
	s_delay_alu instid0(VALU_DEP_2) | instskip(NEXT) | instid1(VALU_DEP_1)
	v_and_b32_e32 v12, 0x7f, v11
	v_cmpx_ne_u32_e32 0x7f, v12
	s_cbranch_execz .LBB283_921
; %bb.918:                              ;   in Loop: Header=BB283_11 Depth=1
	v_and_b32_e32 v110, 7, v11
	v_lshrrev_b32_e32 v11, 3, v12
	s_mov_b32 s21, exec_lo
	v_cmpx_gt_u32_e32 8, v12
; %bb.919:                              ;   in Loop: Header=BB283_11 Depth=1
	s_delay_alu instid0(VALU_DEP_3) | instskip(NEXT) | instid1(VALU_DEP_1)
	v_clz_i32_u32_e32 v11, v110
	v_min_u32_e32 v11, 32, v11
	s_delay_alu instid0(VALU_DEP_1) | instskip(SKIP_1) | instid1(VALU_DEP_2)
	v_subrev_nc_u32_e32 v12, 28, v11
	v_sub_nc_u32_e32 v11, 29, v11
	v_lshlrev_b64 v[12:13], v12, v[110:111]
	s_delay_alu instid0(VALU_DEP_1)
	v_and_b32_e32 v110, 7, v12
; %bb.920:                              ;   in Loop: Header=BB283_11 Depth=1
	s_or_b32 exec_lo, exec_lo, s21
	v_lshlrev_b32_e32 v12, 16, v10
	s_delay_alu instid0(VALU_DEP_2) | instskip(SKIP_1) | instid1(VALU_DEP_3)
	v_dual_mov_b32 v142, v111 :: v_dual_lshlrev_b32 v13, 20, v110
	v_lshl_add_u32 v11, v11, 23, 0x3c000000
	v_and_b32_e32 v12, 0x80000000, v12
	s_delay_alu instid0(VALU_DEP_1)
	v_or3_b32 v143, v13, v12, v11
.LBB283_921:                            ;   in Loop: Header=BB283_11 Depth=1
	s_or_b32 exec_lo, exec_lo, s8
.LBB283_922:                            ;   in Loop: Header=BB283_11 Depth=1
	s_delay_alu instid0(SALU_CYCLE_1)
	s_or_b32 exec_lo, exec_lo, s20
.LBB283_923:                            ;   in Loop: Header=BB283_11 Depth=1
	s_delay_alu instid0(SALU_CYCLE_1) | instskip(SKIP_4) | instid1(VALU_DEP_1)
	s_or_b32 exec_lo, exec_lo, s19
	v_mov_b32_e32 v50, 0
	v_lshrrev_b32_e32 v11, 16, v10
	v_mov_b32_e32 v51, 0
	s_mov_b32 s8, exec_lo
	v_dual_mov_b32 v157, v51 :: v_dual_and_b32 v12, 0xff, v11
	v_mov_b32_e32 v156, v50
	s_delay_alu instid0(VALU_DEP_2)
	v_cmpx_ne_u16_e32 0, v12
	s_cbranch_execz .LBB283_931
; %bb.924:                              ;   in Loop: Header=BB283_11 Depth=1
	v_bfrev_b32_e32 v156, 1
	v_mov_b32_e32 v157, 0
	s_mov_b32 s19, exec_lo
	v_cmpx_ne_u16_e32 0x80, v12
	s_cbranch_execz .LBB283_930
; %bb.925:                              ;   in Loop: Header=BB283_11 Depth=1
	v_mov_b32_e32 v156, 0x7f800001
	v_bfe_u32 v13, v10, 16, 7
	v_mov_b32_e32 v157, 0
	s_mov_b32 s20, exec_lo
	s_delay_alu instid0(VALU_DEP_2)
	v_cmpx_ne_u32_e32 0x7f, v13
	s_cbranch_execz .LBB283_929
; %bb.926:                              ;   in Loop: Header=BB283_11 Depth=1
	v_and_b32_e32 v110, 7, v11
	v_lshrrev_b32_e32 v12, 3, v13
	s_mov_b32 s21, exec_lo
	v_cmpx_gt_u32_e32 8, v13
; %bb.927:                              ;   in Loop: Header=BB283_11 Depth=1
	s_delay_alu instid0(VALU_DEP_3) | instskip(NEXT) | instid1(VALU_DEP_1)
	v_clz_i32_u32_e32 v12, v110
	v_min_u32_e32 v12, 32, v12
	s_delay_alu instid0(VALU_DEP_1) | instskip(SKIP_1) | instid1(VALU_DEP_2)
	v_subrev_nc_u32_e32 v13, 28, v12
	v_sub_nc_u32_e32 v12, 29, v12
	v_lshlrev_b64 v[26:27], v13, v[110:111]
	s_delay_alu instid0(VALU_DEP_1)
	v_and_b32_e32 v110, 7, v26
; %bb.928:                              ;   in Loop: Header=BB283_11 Depth=1
	s_or_b32 exec_lo, exec_lo, s21
	v_lshlrev_b32_e32 v11, 24, v11
	s_delay_alu instid0(VALU_DEP_2) | instskip(SKIP_1) | instid1(VALU_DEP_3)
	v_lshlrev_b32_e32 v13, 20, v110
	v_lshl_add_u32 v12, v12, 23, 0x3c000000
	v_and_b32_e32 v11, 0x80000000, v11
	s_delay_alu instid0(VALU_DEP_1) | instskip(NEXT) | instid1(VALU_DEP_1)
	v_or3_b32 v110, v13, v11, v12
	v_dual_mov_b32 v157, v111 :: v_dual_mov_b32 v156, v110
.LBB283_929:                            ;   in Loop: Header=BB283_11 Depth=1
	s_or_b32 exec_lo, exec_lo, s20
.LBB283_930:                            ;   in Loop: Header=BB283_11 Depth=1
	s_delay_alu instid0(SALU_CYCLE_1)
	s_or_b32 exec_lo, exec_lo, s19
.LBB283_931:                            ;   in Loop: Header=BB283_11 Depth=1
	s_delay_alu instid0(SALU_CYCLE_1) | instskip(NEXT) | instid1(SALU_CYCLE_1)
	s_or_b32 exec_lo, exec_lo, s8
	s_mov_b32 s19, exec_lo
	v_cmpx_lt_u32_e32 0xffffff, v10
	s_cbranch_execz .LBB283_939
; %bb.932:                              ;   in Loop: Header=BB283_11 Depth=1
	v_lshrrev_b32_e32 v11, 24, v10
	v_dual_mov_b32 v51, s3 :: v_dual_mov_b32 v50, s2
	s_mov_b32 s20, exec_lo
	s_delay_alu instid0(VALU_DEP_2)
	v_cmpx_ne_u32_e32 0x80, v11
	s_cbranch_execz .LBB283_938
; %bb.933:                              ;   in Loop: Header=BB283_11 Depth=1
	s_mov_b32 s8, s2
	v_bfe_u32 v12, v10, 24, 7
	v_dual_mov_b32 v51, s9 :: v_dual_mov_b32 v50, s8
	s_mov_b32 s8, exec_lo
	s_delay_alu instid0(VALU_DEP_2)
	v_cmpx_ne_u32_e32 0x7f, v12
	s_cbranch_execz .LBB283_937
; %bb.934:                              ;   in Loop: Header=BB283_11 Depth=1
	v_and_b32_e32 v110, 7, v11
	v_lshrrev_b32_e32 v10, 3, v12
	s_mov_b32 s21, exec_lo
	v_cmpx_gt_u32_e32 8, v12
; %bb.935:                              ;   in Loop: Header=BB283_11 Depth=1
	s_delay_alu instid0(VALU_DEP_3) | instskip(NEXT) | instid1(VALU_DEP_1)
	v_clz_i32_u32_e32 v10, v110
	v_min_u32_e32 v10, 32, v10
	s_delay_alu instid0(VALU_DEP_1) | instskip(SKIP_1) | instid1(VALU_DEP_2)
	v_subrev_nc_u32_e32 v12, 28, v10
	v_sub_nc_u32_e32 v10, 29, v10
	v_lshlrev_b64 v[12:13], v12, v[110:111]
	s_delay_alu instid0(VALU_DEP_1)
	v_and_b32_e32 v110, 7, v12
; %bb.936:                              ;   in Loop: Header=BB283_11 Depth=1
	s_or_b32 exec_lo, exec_lo, s21
	v_dual_mov_b32 v50, v111 :: v_dual_lshlrev_b32 v11, 24, v11
	s_delay_alu instid0(VALU_DEP_2) | instskip(SKIP_1) | instid1(VALU_DEP_3)
	v_lshlrev_b32_e32 v12, 20, v110
	v_lshl_add_u32 v10, v10, 23, 0x3c000000
	v_and_b32_e32 v11, 0x80000000, v11
	s_delay_alu instid0(VALU_DEP_1)
	v_or3_b32 v51, v12, v11, v10
.LBB283_937:                            ;   in Loop: Header=BB283_11 Depth=1
	s_or_b32 exec_lo, exec_lo, s8
.LBB283_938:                            ;   in Loop: Header=BB283_11 Depth=1
	s_delay_alu instid0(SALU_CYCLE_1)
	s_or_b32 exec_lo, exec_lo, s20
.LBB283_939:                            ;   in Loop: Header=BB283_11 Depth=1
	s_delay_alu instid0(SALU_CYCLE_1) | instskip(SKIP_4) | instid1(VALU_DEP_1)
	s_or_b32 exec_lo, exec_lo, s19
	flat_load_b32 v10, v[172:173] offset:3588
	v_mov_b32_e32 v54, 0
	v_mov_b32_e32 v55, 0
	s_mov_b32 s8, exec_lo
	v_dual_mov_b32 v169, v55 :: v_dual_mov_b32 v168, v54
	s_waitcnt vmcnt(0) lgkmcnt(0)
	v_and_b32_e32 v11, 0xff, v10
	s_delay_alu instid0(VALU_DEP_1)
	v_cmpx_ne_u16_e32 0, v11
	s_cbranch_execz .LBB283_947
; %bb.940:                              ;   in Loop: Header=BB283_11 Depth=1
	v_bfrev_b32_e32 v168, 1
	v_mov_b32_e32 v169, 0
	s_mov_b32 s19, exec_lo
	v_cmpx_ne_u16_e32 0x80, v11
	s_cbranch_execz .LBB283_946
; %bb.941:                              ;   in Loop: Header=BB283_11 Depth=1
	v_mov_b32_e32 v168, 0x7f800001
	v_dual_mov_b32 v169, 0 :: v_dual_and_b32 v12, 0x7f, v10
	s_mov_b32 s20, exec_lo
	s_delay_alu instid0(VALU_DEP_1)
	v_cmpx_ne_u32_e32 0x7f, v12
	s_cbranch_execz .LBB283_945
; %bb.942:                              ;   in Loop: Header=BB283_11 Depth=1
	v_and_b32_e32 v110, 7, v10
	v_lshrrev_b32_e32 v11, 3, v12
	s_mov_b32 s21, exec_lo
	v_cmpx_gt_u32_e32 8, v12
; %bb.943:                              ;   in Loop: Header=BB283_11 Depth=1
	s_delay_alu instid0(VALU_DEP_3) | instskip(NEXT) | instid1(VALU_DEP_1)
	v_clz_i32_u32_e32 v11, v110
	v_min_u32_e32 v11, 32, v11
	s_delay_alu instid0(VALU_DEP_1) | instskip(SKIP_1) | instid1(VALU_DEP_2)
	v_subrev_nc_u32_e32 v12, 28, v11
	v_sub_nc_u32_e32 v11, 29, v11
	v_lshlrev_b64 v[12:13], v12, v[110:111]
	s_delay_alu instid0(VALU_DEP_1)
	v_and_b32_e32 v110, 7, v12
; %bb.944:                              ;   in Loop: Header=BB283_11 Depth=1
	s_or_b32 exec_lo, exec_lo, s21
	v_lshlrev_b32_e32 v12, 24, v10
	s_delay_alu instid0(VALU_DEP_2) | instskip(SKIP_1) | instid1(VALU_DEP_3)
	v_lshlrev_b32_e32 v13, 20, v110
	v_lshl_add_u32 v11, v11, 23, 0x3c000000
	v_and_b32_e32 v12, 0x80000000, v12
	s_delay_alu instid0(VALU_DEP_1) | instskip(NEXT) | instid1(VALU_DEP_1)
	v_or3_b32 v110, v13, v12, v11
	v_dual_mov_b32 v169, v111 :: v_dual_mov_b32 v168, v110
.LBB283_945:                            ;   in Loop: Header=BB283_11 Depth=1
	s_or_b32 exec_lo, exec_lo, s20
.LBB283_946:                            ;   in Loop: Header=BB283_11 Depth=1
	s_delay_alu instid0(SALU_CYCLE_1)
	s_or_b32 exec_lo, exec_lo, s19
.LBB283_947:                            ;   in Loop: Header=BB283_11 Depth=1
	s_delay_alu instid0(SALU_CYCLE_1) | instskip(SKIP_2) | instid1(VALU_DEP_1)
	s_or_b32 exec_lo, exec_lo, s8
	v_lshrrev_b16 v11, 8, v10
	s_mov_b32 s19, exec_lo
	v_cmpx_ne_u16_e32 0, v11
	s_cbranch_execz .LBB283_955
; %bb.948:                              ;   in Loop: Header=BB283_11 Depth=1
	v_dual_mov_b32 v55, s3 :: v_dual_mov_b32 v54, s2
	s_mov_b32 s20, exec_lo
	v_cmpx_ne_u16_e32 0x80, v11
	s_cbranch_execz .LBB283_954
; %bb.949:                              ;   in Loop: Header=BB283_11 Depth=1
	s_mov_b32 s8, s2
	v_and_b32_e32 v11, 0xffff, v11
	v_dual_mov_b32 v55, s9 :: v_dual_mov_b32 v54, s8
	s_mov_b32 s8, exec_lo
	s_delay_alu instid0(VALU_DEP_2) | instskip(NEXT) | instid1(VALU_DEP_1)
	v_and_b32_e32 v12, 0x7f, v11
	v_cmpx_ne_u32_e32 0x7f, v12
	s_cbranch_execz .LBB283_953
; %bb.950:                              ;   in Loop: Header=BB283_11 Depth=1
	v_and_b32_e32 v110, 7, v11
	v_lshrrev_b32_e32 v11, 3, v12
	s_mov_b32 s21, exec_lo
	v_cmpx_gt_u32_e32 8, v12
; %bb.951:                              ;   in Loop: Header=BB283_11 Depth=1
	s_delay_alu instid0(VALU_DEP_3) | instskip(NEXT) | instid1(VALU_DEP_1)
	v_clz_i32_u32_e32 v11, v110
	v_min_u32_e32 v11, 32, v11
	s_delay_alu instid0(VALU_DEP_1) | instskip(SKIP_1) | instid1(VALU_DEP_2)
	v_subrev_nc_u32_e32 v12, 28, v11
	v_sub_nc_u32_e32 v11, 29, v11
	v_lshlrev_b64 v[12:13], v12, v[110:111]
	s_delay_alu instid0(VALU_DEP_1)
	v_and_b32_e32 v110, 7, v12
; %bb.952:                              ;   in Loop: Header=BB283_11 Depth=1
	s_or_b32 exec_lo, exec_lo, s21
	v_lshlrev_b32_e32 v12, 16, v10
	s_delay_alu instid0(VALU_DEP_2) | instskip(SKIP_1) | instid1(VALU_DEP_3)
	v_dual_mov_b32 v54, v111 :: v_dual_lshlrev_b32 v13, 20, v110
	v_lshl_add_u32 v11, v11, 23, 0x3c000000
	v_and_b32_e32 v12, 0x80000000, v12
	s_delay_alu instid0(VALU_DEP_1)
	v_or3_b32 v55, v13, v12, v11
.LBB283_953:                            ;   in Loop: Header=BB283_11 Depth=1
	s_or_b32 exec_lo, exec_lo, s8
.LBB283_954:                            ;   in Loop: Header=BB283_11 Depth=1
	s_delay_alu instid0(SALU_CYCLE_1)
	s_or_b32 exec_lo, exec_lo, s20
.LBB283_955:                            ;   in Loop: Header=BB283_11 Depth=1
	s_delay_alu instid0(SALU_CYCLE_1) | instskip(SKIP_4) | instid1(VALU_DEP_1)
	s_or_b32 exec_lo, exec_lo, s19
	v_mov_b32_e32 v174, 0
	v_lshrrev_b32_e32 v11, 16, v10
	v_mov_b32_e32 v175, 0
	s_mov_b32 s8, exec_lo
	v_dual_mov_b32 v187, v175 :: v_dual_and_b32 v12, 0xff, v11
	v_mov_b32_e32 v186, v174
	s_delay_alu instid0(VALU_DEP_2)
	v_cmpx_ne_u16_e32 0, v12
	s_cbranch_execz .LBB283_963
; %bb.956:                              ;   in Loop: Header=BB283_11 Depth=1
	v_bfrev_b32_e32 v186, 1
	v_mov_b32_e32 v187, 0
	s_mov_b32 s19, exec_lo
	v_cmpx_ne_u16_e32 0x80, v12
	s_cbranch_execz .LBB283_962
; %bb.957:                              ;   in Loop: Header=BB283_11 Depth=1
	v_mov_b32_e32 v186, 0x7f800001
	v_bfe_u32 v13, v10, 16, 7
	v_mov_b32_e32 v187, 0
	s_mov_b32 s20, exec_lo
	s_delay_alu instid0(VALU_DEP_2)
	v_cmpx_ne_u32_e32 0x7f, v13
	s_cbranch_execz .LBB283_961
; %bb.958:                              ;   in Loop: Header=BB283_11 Depth=1
	v_and_b32_e32 v110, 7, v11
	v_lshrrev_b32_e32 v12, 3, v13
	s_mov_b32 s21, exec_lo
	v_cmpx_gt_u32_e32 8, v13
; %bb.959:                              ;   in Loop: Header=BB283_11 Depth=1
	s_delay_alu instid0(VALU_DEP_3) | instskip(NEXT) | instid1(VALU_DEP_1)
	v_clz_i32_u32_e32 v12, v110
	v_min_u32_e32 v12, 32, v12
	s_delay_alu instid0(VALU_DEP_1) | instskip(SKIP_1) | instid1(VALU_DEP_2)
	v_subrev_nc_u32_e32 v13, 28, v12
	v_sub_nc_u32_e32 v12, 29, v12
	v_lshlrev_b64 v[26:27], v13, v[110:111]
	s_delay_alu instid0(VALU_DEP_1)
	v_and_b32_e32 v110, 7, v26
; %bb.960:                              ;   in Loop: Header=BB283_11 Depth=1
	s_or_b32 exec_lo, exec_lo, s21
	v_lshlrev_b32_e32 v11, 24, v11
	s_delay_alu instid0(VALU_DEP_2) | instskip(SKIP_1) | instid1(VALU_DEP_3)
	v_lshlrev_b32_e32 v13, 20, v110
	v_lshl_add_u32 v12, v12, 23, 0x3c000000
	v_and_b32_e32 v11, 0x80000000, v11
	s_delay_alu instid0(VALU_DEP_1) | instskip(NEXT) | instid1(VALU_DEP_1)
	v_or3_b32 v110, v13, v11, v12
	v_dual_mov_b32 v187, v111 :: v_dual_mov_b32 v186, v110
.LBB283_961:                            ;   in Loop: Header=BB283_11 Depth=1
	s_or_b32 exec_lo, exec_lo, s20
.LBB283_962:                            ;   in Loop: Header=BB283_11 Depth=1
	s_delay_alu instid0(SALU_CYCLE_1)
	s_or_b32 exec_lo, exec_lo, s19
.LBB283_963:                            ;   in Loop: Header=BB283_11 Depth=1
	s_delay_alu instid0(SALU_CYCLE_1) | instskip(NEXT) | instid1(SALU_CYCLE_1)
	s_or_b32 exec_lo, exec_lo, s8
	s_mov_b32 s19, exec_lo
	v_cmpx_lt_u32_e32 0xffffff, v10
	s_cbranch_execz .LBB283_971
; %bb.964:                              ;   in Loop: Header=BB283_11 Depth=1
	v_lshrrev_b32_e32 v11, 24, v10
	v_dual_mov_b32 v175, s3 :: v_dual_mov_b32 v174, s2
	s_mov_b32 s20, exec_lo
	s_delay_alu instid0(VALU_DEP_2)
	v_cmpx_ne_u32_e32 0x80, v11
	s_cbranch_execz .LBB283_970
; %bb.965:                              ;   in Loop: Header=BB283_11 Depth=1
	s_mov_b32 s8, s2
	v_bfe_u32 v12, v10, 24, 7
	v_dual_mov_b32 v175, s9 :: v_dual_mov_b32 v174, s8
	s_mov_b32 s8, exec_lo
	s_delay_alu instid0(VALU_DEP_2)
	v_cmpx_ne_u32_e32 0x7f, v12
	s_cbranch_execz .LBB283_969
; %bb.966:                              ;   in Loop: Header=BB283_11 Depth=1
	v_and_b32_e32 v110, 7, v11
	v_lshrrev_b32_e32 v10, 3, v12
	s_mov_b32 s21, exec_lo
	v_cmpx_gt_u32_e32 8, v12
; %bb.967:                              ;   in Loop: Header=BB283_11 Depth=1
	s_delay_alu instid0(VALU_DEP_3) | instskip(NEXT) | instid1(VALU_DEP_1)
	v_clz_i32_u32_e32 v10, v110
	v_min_u32_e32 v10, 32, v10
	s_delay_alu instid0(VALU_DEP_1) | instskip(SKIP_1) | instid1(VALU_DEP_2)
	v_subrev_nc_u32_e32 v12, 28, v10
	v_sub_nc_u32_e32 v10, 29, v10
	v_lshlrev_b64 v[12:13], v12, v[110:111]
	s_delay_alu instid0(VALU_DEP_1)
	v_and_b32_e32 v110, 7, v12
; %bb.968:                              ;   in Loop: Header=BB283_11 Depth=1
	s_or_b32 exec_lo, exec_lo, s21
	v_dual_mov_b32 v174, v111 :: v_dual_lshlrev_b32 v11, 24, v11
	s_delay_alu instid0(VALU_DEP_2) | instskip(SKIP_1) | instid1(VALU_DEP_3)
	v_lshlrev_b32_e32 v12, 20, v110
	v_lshl_add_u32 v10, v10, 23, 0x3c000000
	v_and_b32_e32 v11, 0x80000000, v11
	s_delay_alu instid0(VALU_DEP_1)
	v_or3_b32 v175, v12, v11, v10
.LBB283_969:                            ;   in Loop: Header=BB283_11 Depth=1
	s_or_b32 exec_lo, exec_lo, s8
.LBB283_970:                            ;   in Loop: Header=BB283_11 Depth=1
	s_delay_alu instid0(SALU_CYCLE_1)
	s_or_b32 exec_lo, exec_lo, s20
.LBB283_971:                            ;   in Loop: Header=BB283_11 Depth=1
	s_delay_alu instid0(SALU_CYCLE_1)
	s_or_b32 exec_lo, exec_lo, s19
	flat_load_b32 v66, v[172:173] offset:3592
	v_mov_b32_e32 v82, 0
	v_mov_b32_e32 v83, 0
	s_mov_b32 s8, exec_lo
	s_waitcnt vmcnt(0) lgkmcnt(0)
	v_and_b32_e32 v12, 0xff, v66
	s_delay_alu instid0(VALU_DEP_2) | instskip(NEXT) | instid1(VALU_DEP_2)
	v_dual_mov_b32 v10, v82 :: v_dual_mov_b32 v11, v83
	v_cmpx_ne_u16_e32 0, v12
	s_cbranch_execz .LBB283_979
; %bb.972:                              ;   in Loop: Header=BB283_11 Depth=1
	v_bfrev_b32_e32 v10, 1
	v_mov_b32_e32 v11, 0
	s_mov_b32 s19, exec_lo
	v_cmpx_ne_u16_e32 0x80, v12
	s_cbranch_execz .LBB283_978
; %bb.973:                              ;   in Loop: Header=BB283_11 Depth=1
	v_mov_b32_e32 v10, 0x7f800001
	v_dual_mov_b32 v11, 0 :: v_dual_and_b32 v12, 0x7f, v66
	s_mov_b32 s20, exec_lo
	s_delay_alu instid0(VALU_DEP_1)
	v_cmpx_ne_u32_e32 0x7f, v12
	s_cbranch_execz .LBB283_977
; %bb.974:                              ;   in Loop: Header=BB283_11 Depth=1
	v_and_b32_e32 v110, 7, v66
	v_lshrrev_b32_e32 v10, 3, v12
	s_mov_b32 s21, exec_lo
	v_cmpx_gt_u32_e32 8, v12
; %bb.975:                              ;   in Loop: Header=BB283_11 Depth=1
	s_delay_alu instid0(VALU_DEP_3) | instskip(NEXT) | instid1(VALU_DEP_1)
	v_clz_i32_u32_e32 v10, v110
	v_min_u32_e32 v10, 32, v10
	s_delay_alu instid0(VALU_DEP_1) | instskip(SKIP_1) | instid1(VALU_DEP_2)
	v_subrev_nc_u32_e32 v11, 28, v10
	v_sub_nc_u32_e32 v10, 29, v10
	v_lshlrev_b64 v[11:12], v11, v[110:111]
	s_delay_alu instid0(VALU_DEP_1)
	v_and_b32_e32 v110, 7, v11
; %bb.976:                              ;   in Loop: Header=BB283_11 Depth=1
	s_or_b32 exec_lo, exec_lo, s21
	v_lshlrev_b32_e32 v11, 24, v66
	s_delay_alu instid0(VALU_DEP_2) | instskip(SKIP_1) | instid1(VALU_DEP_3)
	v_lshlrev_b32_e32 v12, 20, v110
	v_lshl_add_u32 v10, v10, 23, 0x3c000000
	v_and_b32_e32 v11, 0x80000000, v11
	s_delay_alu instid0(VALU_DEP_1) | instskip(NEXT) | instid1(VALU_DEP_1)
	v_or3_b32 v110, v12, v11, v10
	v_dual_mov_b32 v10, v110 :: v_dual_mov_b32 v11, v111
.LBB283_977:                            ;   in Loop: Header=BB283_11 Depth=1
	s_or_b32 exec_lo, exec_lo, s20
.LBB283_978:                            ;   in Loop: Header=BB283_11 Depth=1
	s_delay_alu instid0(SALU_CYCLE_1)
	s_or_b32 exec_lo, exec_lo, s19
.LBB283_979:                            ;   in Loop: Header=BB283_11 Depth=1
	s_delay_alu instid0(SALU_CYCLE_1) | instskip(SKIP_2) | instid1(VALU_DEP_1)
	s_or_b32 exec_lo, exec_lo, s8
	v_lshrrev_b16 v12, 8, v66
	s_mov_b32 s19, exec_lo
	v_cmpx_ne_u16_e32 0, v12
	s_cbranch_execz .LBB283_987
; %bb.980:                              ;   in Loop: Header=BB283_11 Depth=1
	v_dual_mov_b32 v83, s3 :: v_dual_mov_b32 v82, s2
	s_mov_b32 s20, exec_lo
	v_cmpx_ne_u16_e32 0x80, v12
	s_cbranch_execz .LBB283_986
; %bb.981:                              ;   in Loop: Header=BB283_11 Depth=1
	s_mov_b32 s8, s2
	v_dual_mov_b32 v83, s9 :: v_dual_and_b32 v12, 0xffff, v12
	v_mov_b32_e32 v82, s8
	s_mov_b32 s8, exec_lo
	s_delay_alu instid0(VALU_DEP_2) | instskip(NEXT) | instid1(VALU_DEP_1)
	v_and_b32_e32 v13, 0x7f, v12
	v_cmpx_ne_u32_e32 0x7f, v13
	s_cbranch_execz .LBB283_985
; %bb.982:                              ;   in Loop: Header=BB283_11 Depth=1
	v_and_b32_e32 v110, 7, v12
	v_lshrrev_b32_e32 v12, 3, v13
	s_mov_b32 s21, exec_lo
	v_cmpx_gt_u32_e32 8, v13
; %bb.983:                              ;   in Loop: Header=BB283_11 Depth=1
	s_delay_alu instid0(VALU_DEP_3) | instskip(NEXT) | instid1(VALU_DEP_1)
	v_clz_i32_u32_e32 v12, v110
	v_min_u32_e32 v12, 32, v12
	s_delay_alu instid0(VALU_DEP_1) | instskip(SKIP_1) | instid1(VALU_DEP_2)
	v_subrev_nc_u32_e32 v13, 28, v12
	v_sub_nc_u32_e32 v12, 29, v12
	v_lshlrev_b64 v[26:27], v13, v[110:111]
	s_delay_alu instid0(VALU_DEP_1)
	v_and_b32_e32 v110, 7, v26
; %bb.984:                              ;   in Loop: Header=BB283_11 Depth=1
	s_or_b32 exec_lo, exec_lo, s21
	v_dual_mov_b32 v82, v111 :: v_dual_lshlrev_b32 v13, 16, v66
	s_delay_alu instid0(VALU_DEP_2) | instskip(SKIP_1) | instid1(VALU_DEP_3)
	v_lshlrev_b32_e32 v26, 20, v110
	v_lshl_add_u32 v12, v12, 23, 0x3c000000
	v_and_b32_e32 v13, 0x80000000, v13
	s_delay_alu instid0(VALU_DEP_1)
	v_or3_b32 v83, v26, v13, v12
.LBB283_985:                            ;   in Loop: Header=BB283_11 Depth=1
	s_or_b32 exec_lo, exec_lo, s8
.LBB283_986:                            ;   in Loop: Header=BB283_11 Depth=1
	s_delay_alu instid0(SALU_CYCLE_1)
	s_or_b32 exec_lo, exec_lo, s20
.LBB283_987:                            ;   in Loop: Header=BB283_11 Depth=1
	s_delay_alu instid0(SALU_CYCLE_1) | instskip(SKIP_4) | instid1(VALU_DEP_3)
	s_or_b32 exec_lo, exec_lo, s19
	v_lshrrev_b32_e32 v26, 16, v66
	v_mov_b32_e32 v12, 0
	v_mov_b32_e32 v13, 0
	s_mov_b32 s8, exec_lo
	v_and_b32_e32 v27, 0xff, v26
	s_delay_alu instid0(VALU_DEP_2) | instskip(NEXT) | instid1(VALU_DEP_2)
	v_dual_mov_b32 v87, v13 :: v_dual_mov_b32 v86, v12
	v_cmpx_ne_u16_e32 0, v27
	s_cbranch_execz .LBB283_995
; %bb.988:                              ;   in Loop: Header=BB283_11 Depth=1
	v_bfrev_b32_e32 v86, 1
	v_mov_b32_e32 v87, 0
	s_mov_b32 s19, exec_lo
	v_cmpx_ne_u16_e32 0x80, v27
	s_cbranch_execz .LBB283_994
; %bb.989:                              ;   in Loop: Header=BB283_11 Depth=1
	v_mov_b32_e32 v86, 0x7f800001
	v_bfe_u32 v67, v66, 16, 7
	v_mov_b32_e32 v87, 0
	s_mov_b32 s20, exec_lo
	s_delay_alu instid0(VALU_DEP_2)
	v_cmpx_ne_u32_e32 0x7f, v67
	s_cbranch_execz .LBB283_993
; %bb.990:                              ;   in Loop: Header=BB283_11 Depth=1
	v_and_b32_e32 v110, 7, v26
	v_lshrrev_b32_e32 v27, 3, v67
	s_mov_b32 s21, exec_lo
	v_cmpx_gt_u32_e32 8, v67
; %bb.991:                              ;   in Loop: Header=BB283_11 Depth=1
	s_delay_alu instid0(VALU_DEP_3) | instskip(NEXT) | instid1(VALU_DEP_1)
	v_clz_i32_u32_e32 v27, v110
	v_min_u32_e32 v27, 32, v27
	s_delay_alu instid0(VALU_DEP_1) | instskip(SKIP_1) | instid1(VALU_DEP_2)
	v_subrev_nc_u32_e32 v67, 28, v27
	v_sub_nc_u32_e32 v27, 29, v27
	v_lshlrev_b64 v[70:71], v67, v[110:111]
	s_delay_alu instid0(VALU_DEP_1)
	v_and_b32_e32 v110, 7, v70
; %bb.992:                              ;   in Loop: Header=BB283_11 Depth=1
	s_or_b32 exec_lo, exec_lo, s21
	v_lshlrev_b32_e32 v26, 24, v26
	s_delay_alu instid0(VALU_DEP_2) | instskip(SKIP_1) | instid1(VALU_DEP_3)
	v_lshlrev_b32_e32 v67, 20, v110
	v_lshl_add_u32 v27, v27, 23, 0x3c000000
	v_and_b32_e32 v26, 0x80000000, v26
	s_delay_alu instid0(VALU_DEP_1) | instskip(NEXT) | instid1(VALU_DEP_1)
	v_or3_b32 v110, v67, v26, v27
	v_dual_mov_b32 v86, v110 :: v_dual_mov_b32 v87, v111
.LBB283_993:                            ;   in Loop: Header=BB283_11 Depth=1
	s_or_b32 exec_lo, exec_lo, s20
.LBB283_994:                            ;   in Loop: Header=BB283_11 Depth=1
	s_delay_alu instid0(SALU_CYCLE_1)
	s_or_b32 exec_lo, exec_lo, s19
.LBB283_995:                            ;   in Loop: Header=BB283_11 Depth=1
	s_delay_alu instid0(SALU_CYCLE_1) | instskip(NEXT) | instid1(SALU_CYCLE_1)
	s_or_b32 exec_lo, exec_lo, s8
	s_mov_b32 s19, exec_lo
	v_cmpx_lt_u32_e32 0xffffff, v66
	s_cbranch_execz .LBB283_1003
; %bb.996:                              ;   in Loop: Header=BB283_11 Depth=1
	v_lshrrev_b32_e32 v26, 24, v66
	v_dual_mov_b32 v13, s3 :: v_dual_mov_b32 v12, s2
	s_mov_b32 s20, exec_lo
	s_delay_alu instid0(VALU_DEP_2)
	v_cmpx_ne_u32_e32 0x80, v26
	s_cbranch_execz .LBB283_1002
; %bb.997:                              ;   in Loop: Header=BB283_11 Depth=1
	s_mov_b32 s8, s2
	v_bfe_u32 v27, v66, 24, 7
	v_dual_mov_b32 v13, s9 :: v_dual_mov_b32 v12, s8
	s_mov_b32 s8, exec_lo
	s_delay_alu instid0(VALU_DEP_2)
	v_cmpx_ne_u32_e32 0x7f, v27
	s_cbranch_execz .LBB283_1001
; %bb.998:                              ;   in Loop: Header=BB283_11 Depth=1
	v_and_b32_e32 v110, 7, v26
	v_lshrrev_b32_e32 v12, 3, v27
	s_mov_b32 s21, exec_lo
	v_cmpx_gt_u32_e32 8, v27
; %bb.999:                              ;   in Loop: Header=BB283_11 Depth=1
	s_delay_alu instid0(VALU_DEP_3) | instskip(NEXT) | instid1(VALU_DEP_1)
	v_clz_i32_u32_e32 v12, v110
	v_min_u32_e32 v12, 32, v12
	s_delay_alu instid0(VALU_DEP_1) | instskip(SKIP_1) | instid1(VALU_DEP_2)
	v_subrev_nc_u32_e32 v13, 28, v12
	v_sub_nc_u32_e32 v12, 29, v12
	v_lshlrev_b64 v[66:67], v13, v[110:111]
	s_delay_alu instid0(VALU_DEP_1)
	v_and_b32_e32 v110, 7, v66
; %bb.1000:                             ;   in Loop: Header=BB283_11 Depth=1
	s_or_b32 exec_lo, exec_lo, s21
	v_lshlrev_b32_e32 v13, 24, v26
	s_delay_alu instid0(VALU_DEP_2) | instskip(SKIP_1) | instid1(VALU_DEP_3)
	v_lshlrev_b32_e32 v26, 20, v110
	v_lshl_add_u32 v12, v12, 23, 0x3c000000
	v_and_b32_e32 v13, 0x80000000, v13
	s_delay_alu instid0(VALU_DEP_1)
	v_or3_b32 v13, v26, v13, v12
	v_mov_b32_e32 v12, v111
.LBB283_1001:                           ;   in Loop: Header=BB283_11 Depth=1
	s_or_b32 exec_lo, exec_lo, s8
.LBB283_1002:                           ;   in Loop: Header=BB283_11 Depth=1
	s_delay_alu instid0(SALU_CYCLE_1)
	s_or_b32 exec_lo, exec_lo, s20
.LBB283_1003:                           ;   in Loop: Header=BB283_11 Depth=1
	s_delay_alu instid0(SALU_CYCLE_1) | instskip(SKIP_3) | instid1(VALU_DEP_2)
	s_or_b32 exec_lo, exec_lo, s19
	flat_load_b32 v26, v[172:173] offset:3596
	v_mov_b32_e32 v172, 0
	v_mov_b32_e32 v173, 0
	;; [unrolled: 1-line block ×3, first 2 shown]
	s_mov_b32 s8, exec_lo
	s_delay_alu instid0(VALU_DEP_2) | instskip(SKIP_2) | instid1(VALU_DEP_1)
	v_mov_b32_e32 v67, v173
	s_waitcnt vmcnt(0) lgkmcnt(0)
	v_and_b32_e32 v27, 0xff, v26
	v_cmpx_ne_u16_e32 0, v27
	s_cbranch_execz .LBB283_1011
; %bb.1004:                             ;   in Loop: Header=BB283_11 Depth=1
	v_bfrev_b32_e32 v66, 1
	v_mov_b32_e32 v67, 0
	s_mov_b32 s19, exec_lo
	v_cmpx_ne_u16_e32 0x80, v27
	s_cbranch_execz .LBB283_1010
; %bb.1005:                             ;   in Loop: Header=BB283_11 Depth=1
	v_mov_b32_e32 v66, 0x7f800001
	v_dual_mov_b32 v67, 0 :: v_dual_and_b32 v70, 0x7f, v26
	s_mov_b32 s20, exec_lo
	s_delay_alu instid0(VALU_DEP_1)
	v_cmpx_ne_u32_e32 0x7f, v70
	s_cbranch_execz .LBB283_1009
; %bb.1006:                             ;   in Loop: Header=BB283_11 Depth=1
	v_and_b32_e32 v110, 7, v26
	v_lshrrev_b32_e32 v27, 3, v70
	s_mov_b32 s21, exec_lo
	v_cmpx_gt_u32_e32 8, v70
; %bb.1007:                             ;   in Loop: Header=BB283_11 Depth=1
	s_delay_alu instid0(VALU_DEP_3) | instskip(NEXT) | instid1(VALU_DEP_1)
	v_clz_i32_u32_e32 v27, v110
	v_min_u32_e32 v27, 32, v27
	s_delay_alu instid0(VALU_DEP_1) | instskip(SKIP_1) | instid1(VALU_DEP_2)
	v_subrev_nc_u32_e32 v66, 28, v27
	v_sub_nc_u32_e32 v27, 29, v27
	v_lshlrev_b64 v[66:67], v66, v[110:111]
	s_delay_alu instid0(VALU_DEP_1)
	v_and_b32_e32 v110, 7, v66
; %bb.1008:                             ;   in Loop: Header=BB283_11 Depth=1
	s_or_b32 exec_lo, exec_lo, s21
	v_lshlrev_b32_e32 v66, 24, v26
	s_delay_alu instid0(VALU_DEP_2) | instskip(SKIP_1) | instid1(VALU_DEP_3)
	v_lshlrev_b32_e32 v67, 20, v110
	v_lshl_add_u32 v27, v27, 23, 0x3c000000
	v_and_b32_e32 v66, 0x80000000, v66
	s_delay_alu instid0(VALU_DEP_1) | instskip(NEXT) | instid1(VALU_DEP_1)
	v_or3_b32 v110, v67, v66, v27
	v_dual_mov_b32 v66, v110 :: v_dual_mov_b32 v67, v111
.LBB283_1009:                           ;   in Loop: Header=BB283_11 Depth=1
	s_or_b32 exec_lo, exec_lo, s20
.LBB283_1010:                           ;   in Loop: Header=BB283_11 Depth=1
	s_delay_alu instid0(SALU_CYCLE_1)
	s_or_b32 exec_lo, exec_lo, s19
.LBB283_1011:                           ;   in Loop: Header=BB283_11 Depth=1
	s_delay_alu instid0(SALU_CYCLE_1) | instskip(SKIP_2) | instid1(VALU_DEP_1)
	s_or_b32 exec_lo, exec_lo, s8
	v_lshrrev_b16 v27, 8, v26
	s_mov_b32 s19, exec_lo
	v_cmpx_ne_u16_e32 0, v27
	s_cbranch_execz .LBB283_1019
; %bb.1012:                             ;   in Loop: Header=BB283_11 Depth=1
	v_dual_mov_b32 v173, s3 :: v_dual_mov_b32 v172, s2
	s_mov_b32 s20, exec_lo
	v_cmpx_ne_u16_e32 0x80, v27
	s_cbranch_execz .LBB283_1018
; %bb.1013:                             ;   in Loop: Header=BB283_11 Depth=1
	s_mov_b32 s8, s2
	v_and_b32_e32 v27, 0xffff, v27
	v_dual_mov_b32 v173, s9 :: v_dual_mov_b32 v172, s8
	s_mov_b32 s8, exec_lo
	s_delay_alu instid0(VALU_DEP_2) | instskip(NEXT) | instid1(VALU_DEP_1)
	v_and_b32_e32 v70, 0x7f, v27
	v_cmpx_ne_u32_e32 0x7f, v70
	s_cbranch_execz .LBB283_1017
; %bb.1014:                             ;   in Loop: Header=BB283_11 Depth=1
	v_and_b32_e32 v110, 7, v27
	v_lshrrev_b32_e32 v27, 3, v70
	s_mov_b32 s21, exec_lo
	v_cmpx_gt_u32_e32 8, v70
; %bb.1015:                             ;   in Loop: Header=BB283_11 Depth=1
	s_delay_alu instid0(VALU_DEP_3) | instskip(NEXT) | instid1(VALU_DEP_1)
	v_clz_i32_u32_e32 v27, v110
	v_min_u32_e32 v27, 32, v27
	s_delay_alu instid0(VALU_DEP_1) | instskip(SKIP_1) | instid1(VALU_DEP_2)
	v_subrev_nc_u32_e32 v70, 28, v27
	v_sub_nc_u32_e32 v27, 29, v27
	v_lshlrev_b64 v[70:71], v70, v[110:111]
	s_delay_alu instid0(VALU_DEP_1)
	v_and_b32_e32 v110, 7, v70
; %bb.1016:                             ;   in Loop: Header=BB283_11 Depth=1
	s_or_b32 exec_lo, exec_lo, s21
	v_lshlrev_b32_e32 v70, 16, v26
	s_delay_alu instid0(VALU_DEP_2) | instskip(SKIP_1) | instid1(VALU_DEP_3)
	v_dual_mov_b32 v172, v111 :: v_dual_lshlrev_b32 v71, 20, v110
	v_lshl_add_u32 v27, v27, 23, 0x3c000000
	v_and_b32_e32 v70, 0x80000000, v70
	s_delay_alu instid0(VALU_DEP_1)
	v_or3_b32 v173, v71, v70, v27
.LBB283_1017:                           ;   in Loop: Header=BB283_11 Depth=1
	s_or_b32 exec_lo, exec_lo, s8
.LBB283_1018:                           ;   in Loop: Header=BB283_11 Depth=1
	s_delay_alu instid0(SALU_CYCLE_1)
	s_or_b32 exec_lo, exec_lo, s20
.LBB283_1019:                           ;   in Loop: Header=BB283_11 Depth=1
	s_delay_alu instid0(SALU_CYCLE_1) | instskip(SKIP_4) | instid1(VALU_DEP_1)
	s_or_b32 exec_lo, exec_lo, s19
	v_mov_b32_e32 v70, 0
	v_lshrrev_b32_e32 v27, 16, v26
	v_mov_b32_e32 v71, 0
	s_mov_b32 s8, exec_lo
	v_dual_mov_b32 v191, v71 :: v_dual_and_b32 v102, 0xff, v27
	v_mov_b32_e32 v190, v70
	s_delay_alu instid0(VALU_DEP_2)
	v_cmpx_ne_u16_e32 0, v102
	s_cbranch_execz .LBB283_1027
; %bb.1020:                             ;   in Loop: Header=BB283_11 Depth=1
	v_bfrev_b32_e32 v190, 1
	v_mov_b32_e32 v191, 0
	s_mov_b32 s19, exec_lo
	v_cmpx_ne_u16_e32 0x80, v102
	s_cbranch_execz .LBB283_1026
; %bb.1021:                             ;   in Loop: Header=BB283_11 Depth=1
	v_mov_b32_e32 v190, 0x7f800001
	v_bfe_u32 v102, v26, 16, 7
	v_mov_b32_e32 v191, 0
	s_mov_b32 s20, exec_lo
	s_delay_alu instid0(VALU_DEP_2)
	v_cmpx_ne_u32_e32 0x7f, v102
	s_cbranch_execz .LBB283_1025
; %bb.1022:                             ;   in Loop: Header=BB283_11 Depth=1
	v_and_b32_e32 v110, 7, v27
	v_lshrrev_b32_e32 v190, 3, v102
	s_mov_b32 s21, exec_lo
	v_cmpx_gt_u32_e32 8, v102
; %bb.1023:                             ;   in Loop: Header=BB283_11 Depth=1
	s_delay_alu instid0(VALU_DEP_3) | instskip(NEXT) | instid1(VALU_DEP_1)
	v_clz_i32_u32_e32 v102, v110
	v_min_u32_e32 v190, 32, v102
	s_delay_alu instid0(VALU_DEP_1) | instskip(SKIP_1) | instid1(VALU_DEP_2)
	v_subrev_nc_u32_e32 v102, 28, v190
	v_sub_nc_u32_e32 v190, 29, v190
	v_lshlrev_b64 v[102:103], v102, v[110:111]
	s_delay_alu instid0(VALU_DEP_1)
	v_and_b32_e32 v110, 7, v102
; %bb.1024:                             ;   in Loop: Header=BB283_11 Depth=1
	s_or_b32 exec_lo, exec_lo, s21
	v_lshlrev_b32_e32 v27, 24, v27
	s_delay_alu instid0(VALU_DEP_2) | instskip(SKIP_1) | instid1(VALU_DEP_3)
	v_lshlrev_b32_e32 v102, 20, v110
	v_lshl_add_u32 v103, v190, 23, 0x3c000000
	v_and_b32_e32 v27, 0x80000000, v27
	s_delay_alu instid0(VALU_DEP_1) | instskip(NEXT) | instid1(VALU_DEP_1)
	v_or3_b32 v110, v102, v27, v103
	v_dual_mov_b32 v191, v111 :: v_dual_mov_b32 v190, v110
.LBB283_1025:                           ;   in Loop: Header=BB283_11 Depth=1
	s_or_b32 exec_lo, exec_lo, s20
.LBB283_1026:                           ;   in Loop: Header=BB283_11 Depth=1
	s_delay_alu instid0(SALU_CYCLE_1)
	s_or_b32 exec_lo, exec_lo, s19
.LBB283_1027:                           ;   in Loop: Header=BB283_11 Depth=1
	s_delay_alu instid0(SALU_CYCLE_1) | instskip(NEXT) | instid1(SALU_CYCLE_1)
	s_or_b32 exec_lo, exec_lo, s8
	s_mov_b32 s19, exec_lo
	v_cmpx_lt_u32_e32 0xffffff, v26
	s_cbranch_execz .LBB283_10
; %bb.1028:                             ;   in Loop: Header=BB283_11 Depth=1
	v_lshrrev_b32_e32 v27, 24, v26
	v_dual_mov_b32 v71, s3 :: v_dual_mov_b32 v70, s2
	s_mov_b32 s20, exec_lo
	s_delay_alu instid0(VALU_DEP_2)
	v_cmpx_ne_u32_e32 0x80, v27
	s_cbranch_execz .LBB283_9
; %bb.1029:                             ;   in Loop: Header=BB283_11 Depth=1
	s_mov_b32 s8, s2
	v_bfe_u32 v102, v26, 24, 7
	v_dual_mov_b32 v71, s9 :: v_dual_mov_b32 v70, s8
	s_mov_b32 s8, exec_lo
	s_delay_alu instid0(VALU_DEP_2)
	v_cmpx_ne_u32_e32 0x7f, v102
	s_cbranch_execz .LBB283_8
; %bb.1030:                             ;   in Loop: Header=BB283_11 Depth=1
	v_and_b32_e32 v110, 7, v27
	v_lshrrev_b32_e32 v26, 3, v102
	s_mov_b32 s21, exec_lo
	v_cmpx_gt_u32_e32 8, v102
	s_cbranch_execz .LBB283_7
; %bb.1031:                             ;   in Loop: Header=BB283_11 Depth=1
	v_clz_i32_u32_e32 v26, v110
	s_delay_alu instid0(VALU_DEP_1) | instskip(NEXT) | instid1(VALU_DEP_1)
	v_min_u32_e32 v26, 32, v26
	v_subrev_nc_u32_e32 v70, 28, v26
	v_sub_nc_u32_e32 v26, 29, v26
	s_delay_alu instid0(VALU_DEP_2) | instskip(NEXT) | instid1(VALU_DEP_1)
	v_lshlrev_b64 v[70:71], v70, v[110:111]
	v_and_b32_e32 v110, 7, v70
	s_branch .LBB283_7
.LBB283_1032:
	s_or_b32 exec_lo, exec_lo, s7
	s_clause 0xe
	scratch_load_b64 v[83:84], off, s32 offset:1196
	scratch_load_b32 v15, off, s32 offset:1204
	scratch_load_b32 v14, off, s32 offset:1208
	scratch_load_b64 v[26:27], off, s32 offset:1212
	scratch_load_b32 v11, off, s32 offset:1220
	scratch_load_b32 v10, off, s32 offset:1224
	scratch_load_b32 v22, off, s32 offset:1228
	scratch_load_b32 v25, off, s32 offset:1232
	scratch_load_b32 v28, off, s32 offset:1236
	scratch_load_b32 v29, off, s32 offset:1240
	scratch_load_b64 v[16:17], off, s32 offset:1244
	scratch_load_b32 v18, off, s32 offset:1252
	scratch_load_b32 v19, off, s32 offset:1256
	;; [unrolled: 1-line block ×4, first 2 shown]
.LBB283_1033:
	s_or_b32 exec_lo, exec_lo, s18
	v_mbcnt_lo_u32_b32 v0, -1, 0
	s_lshr_b32 s8, s17, 16
	v_max_f32_e32 v4, v99, v99
	s_delay_alu instid0(VALU_DEP_2) | instskip(SKIP_2) | instid1(VALU_DEP_3)
	v_xor_b32_e32 v1, 16, v0
	v_xor_b32_e32 v3, 8, v0
	v_xor_b32_e32 v5, 4, v0
	v_cmp_gt_i32_e32 vcc_lo, 32, v1
	v_cndmask_b32_e32 v1, v0, v1, vcc_lo
	s_delay_alu instid0(VALU_DEP_4) | instskip(NEXT) | instid1(VALU_DEP_2)
	v_cmp_gt_i32_e32 vcc_lo, 32, v3
	v_dual_cndmask_b32 v3, v0, v3 :: v_dual_lshlrev_b32 v2, 2, v1
	v_cmp_gt_i32_e32 vcc_lo, 32, v5
	ds_bpermute_b32 v1, v2, v99
	v_lshlrev_b32_e32 v3, 2, v3
	v_cndmask_b32_e32 v5, v0, v5, vcc_lo
	s_waitcnt lgkmcnt(0)
	v_max_f32_e32 v1, v1, v1
	s_delay_alu instid0(VALU_DEP_1)
	v_max_f32_e32 v1, v4, v1
	ds_bpermute_b32 v4, v3, v1
	s_waitcnt lgkmcnt(0)
	v_max_f32_e32 v4, v4, v4
	v_lshlrev_b32_e32 v24, 2, v5
	v_xor_b32_e32 v5, 2, v0
	s_delay_alu instid0(VALU_DEP_3) | instskip(NEXT) | instid1(VALU_DEP_2)
	v_max_f32_e32 v1, v1, v4
	v_cmp_gt_i32_e32 vcc_lo, 32, v5
	ds_bpermute_b32 v4, v24, v1
	v_cndmask_b32_e32 v5, v0, v5, vcc_lo
	s_waitcnt lgkmcnt(0)
	v_max_f32_e32 v4, v4, v4
	s_delay_alu instid0(VALU_DEP_2) | instskip(SKIP_1) | instid1(VALU_DEP_3)
	v_lshlrev_b32_e32 v12, 2, v5
	v_xor_b32_e32 v5, 1, v0
	v_max_f32_e32 v1, v1, v4
	s_delay_alu instid0(VALU_DEP_2) | instskip(SKIP_3) | instid1(VALU_DEP_1)
	v_cmp_gt_i32_e32 vcc_lo, 32, v5
	ds_bpermute_b32 v4, v12, v1
	v_cndmask_b32_e32 v5, v0, v5, vcc_lo
	s_waitcnt lgkmcnt(0)
	v_dual_max_f32 v4, v4, v4 :: v_dual_lshlrev_b32 v13, 2, v5
	s_delay_alu instid0(VALU_DEP_1)
	v_max_f32_e32 v0, v1, v4
	scratch_load_b32 v4, off, s32 offset:1180 ; 4-byte Folded Reload
	ds_bpermute_b32 v1, v13, v0
	s_waitcnt vmcnt(0)
	v_cmp_eq_u32_e32 vcc_lo, 0, v4
	scratch_load_b32 v4, off, s32 offset:1184 ; 4-byte Folded Reload
	s_waitcnt vmcnt(0)
	v_lshlrev_b32_e32 v4, 2, v4
	s_mov_b32 s1, exec_lo
	scratch_load_b32 v9, off, s32 offset:1176 ; 4-byte Folded Reload
	s_and_b32 s2, s1, vcc_lo
	s_delay_alu instid0(SALU_CYCLE_1)
	s_mov_b32 exec_lo, s2
	s_cbranch_execz .LBB283_1035
; %bb.1034:
	s_waitcnt lgkmcnt(0)
	v_dual_max_f32 v1, v1, v1 :: v_dual_max_f32 v0, v0, v0
	s_delay_alu instid0(VALU_DEP_1)
	v_max_f32_e32 v0, v0, v1
	ds_store_b32 v4, v0 offset:512
.LBB283_1035:
	s_or_b32 exec_lo, exec_lo, s1
	scratch_load_b32 v0, off, s32 offset:1180 ; 4-byte Folded Reload
	s_waitcnt vmcnt(0) lgkmcnt(0)
	s_waitcnt_vscnt null, 0x0
	s_barrier
	buffer_gl0_inv
	v_cmp_gt_u32_e64 s1, 4, v0
	v_mov_b32_e32 v0, 0xff7fffff
	s_delay_alu instid0(VALU_DEP_2)
	s_and_saveexec_b32 s2, s1
	s_cbranch_execz .LBB283_1037
; %bb.1036:
	ds_load_b32 v0, v21 offset:512
.LBB283_1037:
	s_or_b32 exec_lo, exec_lo, s2
	scratch_load_b32 v5, off, s32 offset:636 ; 4-byte Folded Reload
	s_waitcnt lgkmcnt(0)
	ds_bpermute_b32 v1, v12, v0
	s_waitcnt lgkmcnt(0)
	v_dual_max_f32 v0, v0, v0 :: v_dual_max_f32 v1, v1, v1
	s_delay_alu instid0(VALU_DEP_1)
	v_max_f32_e32 v0, v0, v1
	s_waitcnt vmcnt(0)
	v_subrev_nc_u32_e32 v6, s13, v5
	v_mov_b32_e32 v5, 0
	ds_bpermute_b32 v1, v13, v0
	s_waitcnt lgkmcnt(0)
	v_max_f32_e32 v1, v1, v1
	s_delay_alu instid0(VALU_DEP_1) | instskip(SKIP_3) | instid1(VALU_DEP_1)
	v_max_f32_e32 v0, v0, v1
	v_lshl_add_u32 v1, v6, 5, s11
	ds_bpermute_b32 v0, v5, v0
	v_min_i32_e32 v1, v1, v98
	v_subrev_nc_u32_e32 v1, s11, v1
	s_delay_alu instid0(VALU_DEP_1) | instskip(NEXT) | instid1(VALU_DEP_1)
	v_cmp_lt_i32_e64 s2, v9, v1
	s_and_saveexec_b32 s9, s2
	s_cbranch_execz .LBB283_1041
; %bb.1038:
	s_getpc_b64 s[18:19]
	s_add_u32 s18, s18, llvm.amdgcn.dynlds.offset.table@rel32@lo+4
	s_addc_u32 s19, s19, llvm.amdgcn.dynlds.offset.table@rel32@hi+12
	s_ashr_i32 s7, s6, 31
	v_mov_b32_e32 v5, 0
	s_lshl_b64 s[20:21], s[6:7], 2
	v_mov_b32_e32 v7, v9
	s_add_u32 s18, s20, s18
	s_addc_u32 s19, s21, s19
	s_mov_b32 s7, 0
	s_load_b32 s3, s[18:19], 0x0
	s_waitcnt lgkmcnt(0)
	v_lshl_add_u32 v6, v9, 2, s3
	.p2align	6
.LBB283_1039:                           ; =>This Inner Loop Header: Depth=1
	ds_load_b32 v8, v6
	v_add_nc_u32_e32 v7, 0x80, v7
	s_delay_alu instid0(VALU_DEP_1) | instskip(NEXT) | instid1(VALU_DEP_1)
	v_cmp_ge_i32_e64 s3, v7, v1
	s_or_b32 s7, s3, s7
	s_waitcnt lgkmcnt(0)
	v_sub_f32_e32 v8, v8, v0
	s_delay_alu instid0(VALU_DEP_1) | instskip(NEXT) | instid1(VALU_DEP_1)
	v_mul_f32_e32 v8, 0x3fb8aa3b, v8
	v_exp_f32_e32 v8, v8
	ds_store_b32 v6, v8
	v_dual_add_f32 v5, v5, v8 :: v_dual_add_nc_u32 v6, 0x200, v6
	s_and_not1_b32 exec_lo, exec_lo, s7
	s_cbranch_execnz .LBB283_1039
; %bb.1040:
	s_or_b32 exec_lo, exec_lo, s7
.LBB283_1041:
	s_delay_alu instid0(SALU_CYCLE_1)
	s_or_b32 exec_lo, exec_lo, s9
	ds_bpermute_b32 v2, v2, v5
	s_waitcnt lgkmcnt(0)
	v_add_f32_e32 v2, v5, v2
	ds_bpermute_b32 v3, v3, v2
	s_waitcnt lgkmcnt(0)
	v_add_f32_e32 v2, v2, v3
	;; [unrolled: 3-line block ×5, first 2 shown]
	s_and_saveexec_b32 s3, vcc_lo
	s_cbranch_execz .LBB283_1043
; %bb.1042:
	ds_store_b32 v4, v2 offset:528
.LBB283_1043:
	s_or_b32 exec_lo, exec_lo, s3
	s_waitcnt lgkmcnt(0)
	s_barrier
	buffer_gl0_inv
	s_and_saveexec_b32 s3, s1
	s_cbranch_execz .LBB283_1045
; %bb.1044:
	ds_load_b32 v2, v21 offset:528
.LBB283_1045:
	s_or_b32 exec_lo, exec_lo, s3
	s_waitcnt lgkmcnt(0)
	ds_bpermute_b32 v3, v12, v2
	s_waitcnt lgkmcnt(0)
	v_add_f32_e32 v2, v2, v3
	ds_bpermute_b32 v3, v13, v2
	s_waitcnt lgkmcnt(0)
	v_dual_add_f32 v2, v2, v3 :: v_dual_mov_b32 v3, 0
	ds_bpermute_b32 v2, v3, v2
	s_and_saveexec_b32 s1, s2
	s_cbranch_execz .LBB283_1048
; %bb.1046:
	s_waitcnt lgkmcnt(0)
	v_add_f32_e32 v4, 0x358637bd, v2
	s_getpc_b64 s[2:3]
	s_add_u32 s2, s2, llvm.amdgcn.dynlds.offset.table@rel32@lo+4
	s_addc_u32 s3, s3, llvm.amdgcn.dynlds.offset.table@rel32@hi+12
	s_ashr_i32 s7, s6, 31
	s_delay_alu instid0(SALU_CYCLE_1) | instskip(SKIP_4) | instid1(VALU_DEP_1)
	s_lshl_b64 s[18:19], s[6:7], 2
	v_div_scale_f32 v3, null, v4, v4, 1.0
	s_add_u32 s2, s18, s2
	s_addc_u32 s3, s19, s3
	s_load_b32 s2, s[2:3], 0x0
	v_rcp_f32_e32 v5, v3
	s_waitcnt_depctr 0xfff
	v_fma_f32 v6, -v3, v5, 1.0
	s_delay_alu instid0(VALU_DEP_1) | instskip(SKIP_1) | instid1(VALU_DEP_1)
	v_fmac_f32_e32 v5, v6, v5
	v_div_scale_f32 v7, vcc_lo, 1.0, v4, 1.0
	v_mul_f32_e32 v6, v7, v5
	s_delay_alu instid0(VALU_DEP_1) | instskip(NEXT) | instid1(VALU_DEP_1)
	v_fma_f32 v8, -v3, v6, v7
	v_fmac_f32_e32 v6, v8, v5
	s_delay_alu instid0(VALU_DEP_1) | instskip(NEXT) | instid1(VALU_DEP_1)
	v_fma_f32 v3, -v3, v6, v7
	v_div_fmas_f32 v5, v3, v5, v6
	s_waitcnt lgkmcnt(0)
	v_lshl_add_u32 v3, v9, 2, s2
	s_mov_b32 s2, 0
	s_delay_alu instid0(VALU_DEP_2)
	v_div_fixup_f32 v4, v5, v4, 1.0
	v_mov_b32_e32 v5, v9
.LBB283_1047:                           ; =>This Inner Loop Header: Depth=1
	ds_load_b32 v6, v3
	s_waitcnt lgkmcnt(0)
	v_dual_mul_f32 v6, v4, v6 :: v_dual_add_nc_u32 v5, 0x80, v5
	s_delay_alu instid0(VALU_DEP_1) | instskip(SKIP_3) | instid1(SALU_CYCLE_1)
	v_cmp_ge_i32_e32 vcc_lo, v5, v1
	ds_store_b32 v3, v6
	v_add_nc_u32_e32 v3, 0x200, v3
	s_or_b32 s2, vcc_lo, s2
	s_and_not1_b32 exec_lo, exec_lo, s2
	s_cbranch_execnz .LBB283_1047
.LBB283_1048:
	s_or_b32 exec_lo, exec_lo, s1
	v_cmp_ne_u16_e64 s1, s8, 0
	s_waitcnt lgkmcnt(0)
	s_barrier
	buffer_gl0_inv
	s_cmp_lg_u32 s1, 0
	s_addc_u32 s1, s5, 0
	s_mov_b32 s5, exec_lo
	s_mul_i32 s2, s1, s10
	s_delay_alu instid0(SALU_CYCLE_1)
	s_mul_i32 s2, s2, s15
	v_cmpx_eq_u32_e32 0, v9
	s_cbranch_execz .LBB283_1050
; %bb.1049:
	s_mul_i32 s8, s1, s12
	s_ashr_i32 s15, s14, 31
	s_ashr_i32 s9, s8, 31
	;; [unrolled: 1-line block ×3, first 2 shown]
	s_lshl_b64 s[8:9], s[8:9], 2
	s_lshl_b64 s[12:13], s[14:15], 2
	;; [unrolled: 1-line block ×3, first 2 shown]
	s_add_u32 s3, s12, s8
	s_addc_u32 s7, s13, s9
	s_add_u32 s3, s3, s18
	s_addc_u32 s7, s7, s19
	v_add_co_u32 v3, vcc_lo, s3, v29
	v_add_co_ci_u32_e32 v4, vcc_lo, s7, v28, vcc_lo
	v_add_co_u32 v5, vcc_lo, s3, v25
	v_add_co_ci_u32_e32 v6, vcc_lo, s7, v22, vcc_lo
	flat_store_b32 v[3:4], v0
	flat_store_b32 v[5:6], v2
.LBB283_1050:
	s_or_b32 exec_lo, exec_lo, s5
                                        ; implicit-def: $sgpr5
	s_and_saveexec_b32 s3, s0
	s_delay_alu instid0(SALU_CYCLE_1)
	s_xor_b32 s0, exec_lo, s3
; %bb.1051:
	s_ashr_i32 s7, s6, 31
	s_mov_b32 s5, 0
                                        ; implicit-def: $vgpr0
                                        ; implicit-def: $vgpr98
                                        ; implicit-def: $vgpr18
                                        ; kill: killed $vgpr0
                                        ; implicit-def: $vgpr83
                                        ; implicit-def: $vgpr10
                                        ; implicit-def: $vgpr11
                                        ; implicit-def: $vgpr14
                                        ; implicit-def: $vgpr15
                                        ; implicit-def: $vgpr0
                                        ; kill: killed $vgpr0
                                        ; implicit-def: $vgpr26_vgpr27
                                        ; implicit-def: $vgpr19
                                        ; implicit-def: $vgpr20
                                        ; implicit-def: $vgpr16_vgpr17
; %bb.1052:
	s_or_saveexec_b32 s3, s0
	v_dual_mov_b32 v0, s6 :: v_dual_mov_b32 v81, s5
	v_dual_mov_b32 v70, s5 :: v_dual_mov_b32 v1, s7
	v_dual_mov_b32 v71, s5 :: v_dual_and_b32 v2, 7, v9
	v_dual_mov_b32 v80, s5 :: v_dual_mov_b32 v69, s5
	v_dual_mov_b32 v68, s5 :: v_dual_mov_b32 v67, s5
	;; [unrolled: 1-line block ×14, first 2 shown]
	v_mov_b32_e32 v22, s5
	s_clause 0x2
	scratch_store_b32 off, v12, s32 offset:336
	scratch_store_b32 off, v13, s32 offset:328
	;; [unrolled: 1-line block ×3, first 2 shown]
	s_xor_b32 exec_lo, exec_lo, s3
	s_cbranch_execz .LBB283_2144
; %bb.1053:
	s_clause 0x1
	scratch_load_b32 v8, off, s32 offset:1184
	scratch_load_b32 v4, off, s32 offset:320
	flat_load_b32 v82, v[26:27]
	s_ashr_i32 s7, s6, 31
	s_getpc_b64 s[8:9]
	s_add_u32 s8, s8, llvm.amdgcn.dynlds.offset.table@rel32@lo+4
	s_addc_u32 s9, s9, llvm.amdgcn.dynlds.offset.table@rel32@hi+12
	v_lshlrev_b64 v[0:1], 2, v[83:84]
	v_dual_mov_b32 v9, 0 :: v_dual_lshlrev_b32 v2, 2, v9
	v_add_co_u32 v6, vcc_lo, v10, v19
	v_add_co_ci_u32_e32 v7, vcc_lo, v11, v20, vcc_lo
	s_delay_alu instid0(VALU_DEP_4) | instskip(NEXT) | instid1(VALU_DEP_4)
	v_add_co_u32 v0, vcc_lo, v16, v0
	v_and_b32_e32 v5, 28, v2
	v_and_b32_e32 v26, 0x7c, v2
	v_or_b32_e32 v85, 0xf80, v2
	v_add_co_ci_u32_e32 v1, vcc_lo, v17, v1, vcc_lo
	v_add_co_u32 v10, vcc_lo, v14, v0
	v_dual_mov_b32 v22, 0 :: v_dual_add_nc_u32 v25, -1, v18
	v_dual_mov_b32 v28, 0 :: v_dual_mov_b32 v29, 0
	v_dual_mov_b32 v30, 0 :: v_dual_mov_b32 v31, 0
	v_dual_mov_b32 v32, 0 :: v_dual_mov_b32 v33, 0
	v_dual_mov_b32 v34, 0 :: v_dual_mov_b32 v35, 0
	v_dual_mov_b32 v36, 0 :: v_dual_mov_b32 v37, 0
	v_dual_mov_b32 v38, 0 :: v_dual_mov_b32 v39, 0
	v_dual_mov_b32 v48, 0 :: v_dual_mov_b32 v49, 0
	v_dual_mov_b32 v50, 0 :: v_dual_mov_b32 v51, 0
	v_dual_mov_b32 v52, 0 :: v_dual_mov_b32 v53, 0
	v_dual_mov_b32 v54, 0 :: v_dual_mov_b32 v55, 0
	v_dual_mov_b32 v64, 0 :: v_dual_mov_b32 v65, 0
	v_dual_mov_b32 v66, 0 :: v_dual_mov_b32 v67, 0
	v_dual_mov_b32 v68, 0 :: v_dual_mov_b32 v69, 0
	v_dual_mov_b32 v71, 0 :: v_dual_mov_b32 v80, 0
	v_dual_mov_b32 v81, 0 :: v_dual_mov_b32 v70, 0
	v_add_co_ci_u32_e32 v11, vcc_lo, v15, v1, vcc_lo
	scratch_store_b32 off, v24, s32 offset:344 ; 4-byte Folded Spill
	v_mov_b32_e32 v23, 0
	s_waitcnt vmcnt(2)
	v_lshl_add_u32 v3, v8, 5, s11
	s_lshl_b64 s[10:11], s[6:7], 2
	s_waitcnt vmcnt(1)
	v_lshlrev_b32_e32 v4, 4, v4
	s_add_u32 s8, s10, s8
	s_addc_u32 s9, s11, s9
	s_waitcnt vmcnt(0) lgkmcnt(0)
	v_mov_b32_e32 v96, v82
	s_load_b32 s0, s[8:9], 0x0
	v_lshl_or_b32 v2, v8, 7, v4
	v_add3_u32 v86, v3, v5, 3
	s_mov_b32 s8, 0
	s_brev_b32 s9, 1
	s_mov_b32 s11, 0x7f800001
	s_mov_b32 s5, s8
	s_waitcnt lgkmcnt(0)
	v_add_nc_u32_e32 v87, s0, v2
	s_branch .LBB283_1055
.LBB283_1054:                           ;   in Loop: Header=BB283_1055 Depth=1
	s_or_b32 exec_lo, exec_lo, s0
	v_mul_f32_e32 v14, v1, v186
	v_mul_f32_e32 v13, v1, v188
	v_add_co_u32 v10, s0, v10, 16
	s_delay_alu instid0(VALU_DEP_1) | instskip(NEXT) | instid1(VALU_DEP_4)
	v_add_co_ci_u32_e64 v11, s0, 0, v11, s0
	v_dual_fmac_f32 v14, v0, v185 :: v_dual_mul_f32 v15, v1, v184
	s_delay_alu instid0(VALU_DEP_4) | instskip(NEXT) | instid1(VALU_DEP_2)
	v_dual_fmac_f32 v13, v0, v187 :: v_dual_mul_f32 v16, v1, v172
	v_dual_fmac_f32 v14, v2, v21 :: v_dual_add_nc_u32 v87, 0x200, v87
	s_delay_alu instid0(VALU_DEP_3) | instskip(SKIP_1) | instid1(VALU_DEP_4)
	v_dual_mul_f32 v84, v1, v152 :: v_dual_fmac_f32 v15, v0, v175
	v_mul_f32_e32 v83, v1, v156
	v_fmac_f32_e32 v13, v2, v19
	v_dual_mul_f32 v17, v1, v168 :: v_dual_fmac_f32 v16, v0, v171
	s_delay_alu instid0(VALU_DEP_4) | instskip(NEXT) | instid1(VALU_DEP_4)
	v_fmac_f32_e32 v84, v0, v143
	v_dual_fmac_f32 v83, v0, v155 :: v_dual_fmac_f32 v14, v3, v20
	s_delay_alu instid0(VALU_DEP_3) | instskip(SKIP_1) | instid1(VALU_DEP_3)
	v_dual_fmac_f32 v17, v0, v159 :: v_dual_fmac_f32 v16, v2, v170
	v_fmac_f32_e32 v15, v2, v174
	v_fmac_f32_e32 v83, v2, v154
	;; [unrolled: 1-line block ×3, first 2 shown]
	s_delay_alu instid0(VALU_DEP_4) | instskip(SKIP_2) | instid1(VALU_DEP_4)
	v_dual_fmac_f32 v17, v2, v158 :: v_dual_fmac_f32 v16, v3, v169
	v_fmac_f32_e32 v13, v3, v18
	v_dual_fmac_f32 v15, v3, v173 :: v_dual_add_f32 v28, v28, v14
	v_fmac_f32_e32 v84, v3, v141
	s_delay_alu instid0(VALU_DEP_3) | instskip(SKIP_2) | instid1(VALU_DEP_2)
	v_dual_add_f32 v30, v30, v16 :: v_dual_add_f32 v23, v23, v13
	v_dual_mul_f32 v14, v1, v136 :: v_dual_fmac_f32 v83, v3, v153
	v_dual_mul_f32 v16, v1, v120 :: v_dual_fmac_f32 v17, v3, v157
	v_dual_mul_f32 v13, v1, v140 :: v_dual_fmac_f32 v14, v0, v127
	s_delay_alu instid0(VALU_DEP_3) | instskip(NEXT) | instid1(VALU_DEP_3)
	v_add_f32_e32 v32, v32, v83
	v_dual_fmac_f32 v16, v0, v111 :: v_dual_add_f32 v31, v31, v17
	s_delay_alu instid0(VALU_DEP_3) | instskip(NEXT) | instid1(VALU_DEP_2)
	v_dual_add_f32 v29, v29, v15 :: v_dual_fmac_f32 v14, v2, v126
	v_dual_add_f32 v33, v33, v84 :: v_dual_fmac_f32 v16, v2, v110
	v_fmac_f32_e32 v13, v0, v139
	s_delay_alu instid0(VALU_DEP_3) | instskip(NEXT) | instid1(VALU_DEP_3)
	v_dual_mul_f32 v17, v1, v108 :: v_dual_fmac_f32 v14, v3, v125
	v_dual_mov_b32 v83, v24 :: v_dual_fmac_f32 v16, v3, v109
	s_delay_alu instid0(VALU_DEP_3) | instskip(NEXT) | instid1(VALU_DEP_3)
	v_fmac_f32_e32 v13, v2, v138
	v_fmac_f32_e32 v17, v0, v107
	s_delay_alu instid0(VALU_DEP_4) | instskip(NEXT) | instid1(VALU_DEP_4)
	v_dual_add_f32 v35, v35, v14 :: v_dual_mul_f32 v14, v1, v92
	v_add_f32_e32 v37, v37, v16
	s_delay_alu instid0(VALU_DEP_4) | instskip(SKIP_1) | instid1(VALU_DEP_4)
	v_dual_fmac_f32 v13, v3, v137 :: v_dual_mul_f32 v16, v1, v76
	v_mul_f32_e32 v15, v1, v124
	v_dual_fmac_f32 v17, v2, v106 :: v_dual_fmac_f32 v14, v0, v91
	s_delay_alu instid0(VALU_DEP_3) | instskip(NEXT) | instid1(VALU_DEP_4)
	v_add_f32_e32 v34, v34, v13
	v_fmac_f32_e32 v16, v0, v75
	v_add_nc_u32_e32 v83, 4, v83
	s_delay_alu instid0(VALU_DEP_4) | instskip(NEXT) | instid1(VALU_DEP_3)
	v_dual_fmac_f32 v17, v3, v105 :: v_dual_fmac_f32 v14, v2, v90
	v_dual_mul_f32 v13, v1, v104 :: v_dual_fmac_f32 v16, v2, v74
	s_delay_alu instid0(VALU_DEP_2) | instskip(NEXT) | instid1(VALU_DEP_2)
	v_dual_fmac_f32 v15, v0, v123 :: v_dual_add_f32 v38, v38, v17
	v_dual_fmac_f32 v14, v3, v89 :: v_dual_fmac_f32 v13, v0, v95
	s_delay_alu instid0(VALU_DEP_2) | instskip(SKIP_1) | instid1(VALU_DEP_3)
	v_dual_fmac_f32 v16, v3, v73 :: v_dual_fmac_f32 v15, v2, v122
	v_add_nc_u32_e32 v86, 0x80, v86
	v_add_f32_e32 v48, v48, v14
	s_delay_alu instid0(VALU_DEP_4) | instskip(NEXT) | instid1(VALU_DEP_4)
	v_dual_mul_f32 v14, v1, v56 :: v_dual_fmac_f32 v13, v2, v94
	v_dual_fmac_f32 v15, v3, v121 :: v_dual_add_f32 v50, v50, v16
	v_mul_f32_e32 v16, v1, v40
	s_delay_alu instid0(VALU_DEP_3) | instskip(NEXT) | instid1(VALU_DEP_3)
	v_dual_mul_f32 v17, v1, v72 :: v_dual_fmac_f32 v14, v0, v47
	v_dual_add_f32 v36, v36, v15 :: v_dual_mul_f32 v15, v1, v88
	s_delay_alu instid0(VALU_DEP_3) | instskip(NEXT) | instid1(VALU_DEP_3)
	v_dual_fmac_f32 v13, v3, v93 :: v_dual_fmac_f32 v16, v0, v183
	v_dual_fmac_f32 v17, v0, v63 :: v_dual_fmac_f32 v14, v2, v46
	s_delay_alu instid0(VALU_DEP_3) | instskip(NEXT) | instid1(VALU_DEP_3)
	v_fmac_f32_e32 v15, v0, v79
	v_dual_add_f32 v39, v39, v13 :: v_dual_fmac_f32 v16, v2, v182
	v_mul_f32_e32 v13, v1, v60
	s_delay_alu instid0(VALU_DEP_4) | instskip(NEXT) | instid1(VALU_DEP_2)
	v_dual_fmac_f32 v17, v2, v62 :: v_dual_fmac_f32 v14, v3, v45
	v_dual_fmac_f32 v16, v3, v181 :: v_dual_fmac_f32 v13, v0, v59
	s_delay_alu instid0(VALU_DEP_2) | instskip(NEXT) | instid1(VALU_DEP_3)
	v_fmac_f32_e32 v17, v3, v61
	v_add_f32_e32 v53, v53, v14
	v_mul_f32_e32 v14, v1, v164
	s_delay_alu instid0(VALU_DEP_4) | instskip(SKIP_1) | instid1(VALU_DEP_3)
	v_add_f32_e32 v55, v55, v16
	v_dual_fmac_f32 v13, v2, v58 :: v_dual_mul_f32 v16, v1, v148
	v_dual_add_f32 v51, v51, v17 :: v_dual_fmac_f32 v14, v0, v163
	v_mul_f32_e32 v17, v1, v180
	s_delay_alu instid0(VALU_DEP_3) | instskip(NEXT) | instid1(VALU_DEP_4)
	v_fmac_f32_e32 v13, v3, v57
	v_dual_fmac_f32 v15, v2, v78 :: v_dual_fmac_f32 v16, v0, v147
	s_delay_alu instid0(VALU_DEP_4) | instskip(NEXT) | instid1(VALU_DEP_3)
	v_fmac_f32_e32 v14, v2, v162
	v_add_f32_e32 v52, v52, v13
	s_delay_alu instid0(VALU_DEP_3) | instskip(NEXT) | instid1(VALU_DEP_3)
	v_dual_fmac_f32 v15, v3, v77 :: v_dual_fmac_f32 v16, v2, v146
	v_dual_fmac_f32 v14, v3, v161 :: v_dual_fmac_f32 v17, v0, v179
	s_delay_alu instid0(VALU_DEP_2) | instskip(NEXT) | instid1(VALU_DEP_2)
	v_fmac_f32_e32 v16, v3, v145
	v_add_f32_e32 v66, v66, v14
	s_delay_alu instid0(VALU_DEP_3) | instskip(NEXT) | instid1(VALU_DEP_3)
	v_dual_fmac_f32 v17, v2, v178 :: v_dual_mul_f32 v14, v1, v128
	v_add_f32_e32 v68, v68, v16
	v_mul_f32_e32 v16, v1, v101
	s_delay_alu instid0(VALU_DEP_3) | instskip(SKIP_2) | instid1(VALU_DEP_4)
	v_fmac_f32_e32 v17, v3, v177
	v_add_f32_e32 v49, v49, v15
	v_dual_mul_f32 v15, v1, v44 :: v_dual_fmac_f32 v14, v0, v119
	v_fmac_f32_e32 v16, v0, v100
	s_delay_alu instid0(VALU_DEP_4) | instskip(NEXT) | instid1(VALU_DEP_3)
	v_dual_mul_f32 v13, v1, v176 :: v_dual_add_f32 v64, v64, v17
	v_dual_fmac_f32 v15, v0, v43 :: v_dual_fmac_f32 v14, v2, v118
	s_delay_alu instid0(VALU_DEP_3) | instskip(NEXT) | instid1(VALU_DEP_3)
	v_fmac_f32_e32 v16, v2, v99
	v_fmac_f32_e32 v13, v0, v167
	v_mul_f32_e32 v17, v1, v144
	s_delay_alu instid0(VALU_DEP_4) | instskip(NEXT) | instid1(VALU_DEP_3)
	v_dual_fmac_f32 v15, v2, v42 :: v_dual_fmac_f32 v14, v3, v117
	v_dual_fmac_f32 v16, v3, v97 :: v_dual_fmac_f32 v13, v2, v166
	s_delay_alu instid0(VALU_DEP_2) | instskip(NEXT) | instid1(VALU_DEP_2)
	v_dual_fmac_f32 v15, v3, v41 :: v_dual_add_f32 v80, v80, v14
	v_dual_add_f32 v70, v70, v16 :: v_dual_fmac_f32 v13, v3, v165
	s_delay_alu instid0(VALU_DEP_2) | instskip(NEXT) | instid1(VALU_DEP_2)
	v_dual_add_f32 v54, v54, v15 :: v_dual_mul_f32 v15, v1, v160
	v_add_f32_e32 v65, v65, v13
	v_mul_f32_e32 v13, v1, v132
	s_delay_alu instid0(VALU_DEP_3) | instskip(NEXT) | instid1(VALU_DEP_2)
	v_fmac_f32_e32 v15, v0, v151
	v_fmac_f32_e32 v13, v0, v131
	s_delay_alu instid0(VALU_DEP_2) | instskip(NEXT) | instid1(VALU_DEP_2)
	v_fmac_f32_e32 v15, v2, v150
	v_fmac_f32_e32 v13, v2, v130
	s_delay_alu instid0(VALU_DEP_2) | instskip(NEXT) | instid1(VALU_DEP_2)
	v_fmac_f32_e32 v15, v3, v149
	v_fmac_f32_e32 v13, v3, v129
	s_delay_alu instid0(VALU_DEP_2) | instskip(SKIP_2) | instid1(VALU_DEP_4)
	v_add_f32_e32 v67, v67, v15
	v_mul_f32_e32 v15, v1, v116
	v_mul_f32_e32 v1, v1, v12
	v_add_f32_e32 v71, v71, v13
	s_delay_alu instid0(VALU_DEP_3) | instskip(NEXT) | instid1(VALU_DEP_3)
	v_fmac_f32_e32 v15, v0, v115
	v_fmac_f32_e32 v1, v0, v8
	s_delay_alu instid0(VALU_DEP_2) | instskip(NEXT) | instid1(VALU_DEP_2)
	v_fmac_f32_e32 v15, v2, v114
	v_fmac_f32_e32 v1, v2, v5
	s_delay_alu instid0(VALU_DEP_2) | instskip(NEXT) | instid1(VALU_DEP_2)
	v_fmac_f32_e32 v15, v3, v113
	v_fmac_f32_e32 v1, v3, v4
	s_delay_alu instid0(VALU_DEP_1) | instskip(SKIP_3) | instid1(VALU_DEP_1)
	v_dual_add_f32 v81, v81, v15 :: v_dual_add_f32 v22, v22, v1
	v_fmac_f32_e32 v17, v0, v135
	scratch_load_b32 v0, off, s32 offset:636 ; 4-byte Folded Reload
	v_fmac_f32_e32 v17, v2, v134
	v_fmac_f32_e32 v17, v3, v133
	s_delay_alu instid0(VALU_DEP_1) | instskip(SKIP_3) | instid1(SALU_CYCLE_1)
	v_add_f32_e32 v69, v69, v17
	s_waitcnt vmcnt(0)
	v_cmp_ge_i32_e32 vcc_lo, v83, v0
	s_or_b32 s5, vcc_lo, s5
	s_and_not1_b32 exec_lo, exec_lo, s5
	s_cbranch_execz .LBB283_2143
.LBB283_1055:                           ; =>This Inner Loop Header: Depth=1
	flat_load_b32 v0, v[10:11]
	scratch_load_b32 v1, off, s32 offset:632 ; 4-byte Folded Reload
	v_mov_b32_e32 v16, 0
	s_mov_b32 s0, exec_lo
	s_waitcnt vmcnt(0) lgkmcnt(0)
	v_mad_i64_i32 v[12:13], null, v0, v1, v[6:7]
	ds_load_b128 v[0:3], v87
	v_add_co_u32 v14, vcc_lo, v12, v26
	v_add_co_ci_u32_e32 v15, vcc_lo, 0, v13, vcc_lo
	flat_load_b32 v97, v[14:15]
	s_waitcnt vmcnt(0) lgkmcnt(0)
	v_dual_mov_b32 v17, 0 :: v_dual_and_b32 v8, 0xff, v97
	s_delay_alu instid0(VALU_DEP_1) | instskip(NEXT) | instid1(VALU_DEP_2)
	v_dual_mov_b32 v4, v16 :: v_dual_mov_b32 v5, v17
	v_cmpx_ne_u16_e32 0, v8
	s_cbranch_execz .LBB283_1063
; %bb.1056:                             ;   in Loop: Header=BB283_1055 Depth=1
	v_bfrev_b32_e32 v4, 1
	v_mov_b32_e32 v5, 0
	s_mov_b32 s10, exec_lo
	v_cmpx_ne_u16_e32 0x80, v8
	s_cbranch_execz .LBB283_1062
; %bb.1057:                             ;   in Loop: Header=BB283_1055 Depth=1
	v_mov_b32_e32 v4, 0x7f800001
	v_dual_mov_b32 v5, 0 :: v_dual_and_b32 v18, 0x7f, v97
	s_mov_b32 s12, exec_lo
	s_delay_alu instid0(VALU_DEP_1)
	v_cmpx_ne_u32_e32 0x7f, v18
	s_cbranch_execz .LBB283_1061
; %bb.1058:                             ;   in Loop: Header=BB283_1055 Depth=1
	v_and_b32_e32 v8, 7, v97
	v_lshrrev_b32_e32 v4, 3, v18
	s_mov_b32 s13, exec_lo
	v_cmpx_gt_u32_e32 8, v18
; %bb.1059:                             ;   in Loop: Header=BB283_1055 Depth=1
	s_delay_alu instid0(VALU_DEP_3) | instskip(NEXT) | instid1(VALU_DEP_1)
	v_clz_i32_u32_e32 v4, v8
	v_min_u32_e32 v4, 32, v4
	s_delay_alu instid0(VALU_DEP_1) | instskip(SKIP_1) | instid1(VALU_DEP_2)
	v_subrev_nc_u32_e32 v5, 28, v4
	v_sub_nc_u32_e32 v4, 29, v4
	v_lshlrev_b64 v[18:19], v5, v[8:9]
	s_delay_alu instid0(VALU_DEP_1)
	v_and_b32_e32 v8, 7, v18
; %bb.1060:                             ;   in Loop: Header=BB283_1055 Depth=1
	s_or_b32 exec_lo, exec_lo, s13
	v_lshlrev_b32_e32 v5, 24, v97
	s_delay_alu instid0(VALU_DEP_2) | instskip(SKIP_1) | instid1(VALU_DEP_3)
	v_lshlrev_b32_e32 v8, 20, v8
	v_lshl_add_u32 v4, v4, 23, 0x3c000000
	v_and_b32_e32 v5, 0x80000000, v5
	s_delay_alu instid0(VALU_DEP_1) | instskip(NEXT) | instid1(VALU_DEP_1)
	v_or3_b32 v8, v8, v5, v4
	v_dual_mov_b32 v4, v8 :: v_dual_mov_b32 v5, v9
.LBB283_1061:                           ;   in Loop: Header=BB283_1055 Depth=1
	s_or_b32 exec_lo, exec_lo, s12
.LBB283_1062:                           ;   in Loop: Header=BB283_1055 Depth=1
	s_delay_alu instid0(SALU_CYCLE_1)
	s_or_b32 exec_lo, exec_lo, s10
.LBB283_1063:                           ;   in Loop: Header=BB283_1055 Depth=1
	s_delay_alu instid0(SALU_CYCLE_1) | instskip(SKIP_2) | instid1(VALU_DEP_1)
	s_or_b32 exec_lo, exec_lo, s0
	v_lshrrev_b16 v8, 8, v97
	s_mov_b32 s0, exec_lo
	v_cmpx_ne_u16_e32 0, v8
	s_cbranch_execz .LBB283_1071
; %bb.1064:                             ;   in Loop: Header=BB283_1055 Depth=1
	v_dual_mov_b32 v17, s9 :: v_dual_mov_b32 v16, s8
	s_mov_b32 s12, exec_lo
	v_cmpx_ne_u16_e32 0x80, v8
	s_cbranch_execz .LBB283_1070
; %bb.1065:                             ;   in Loop: Header=BB283_1055 Depth=1
	s_mov_b32 s10, s8
	v_dual_mov_b32 v17, s11 :: v_dual_and_b32 v8, 0xffff, v8
	v_mov_b32_e32 v16, s10
	s_mov_b32 s10, exec_lo
	s_delay_alu instid0(VALU_DEP_2) | instskip(NEXT) | instid1(VALU_DEP_1)
	v_and_b32_e32 v18, 0x7f, v8
	v_cmpx_ne_u32_e32 0x7f, v18
	s_cbranch_execz .LBB283_1069
; %bb.1066:                             ;   in Loop: Header=BB283_1055 Depth=1
	v_and_b32_e32 v8, 7, v8
	v_lshrrev_b32_e32 v16, 3, v18
	s_mov_b32 s13, exec_lo
	v_cmpx_gt_u32_e32 8, v18
; %bb.1067:                             ;   in Loop: Header=BB283_1055 Depth=1
	s_delay_alu instid0(VALU_DEP_3) | instskip(NEXT) | instid1(VALU_DEP_1)
	v_clz_i32_u32_e32 v16, v8
	v_min_u32_e32 v16, 32, v16
	s_delay_alu instid0(VALU_DEP_1) | instskip(SKIP_1) | instid1(VALU_DEP_2)
	v_subrev_nc_u32_e32 v17, 28, v16
	v_sub_nc_u32_e32 v16, 29, v16
	v_lshlrev_b64 v[17:18], v17, v[8:9]
	s_delay_alu instid0(VALU_DEP_1)
	v_and_b32_e32 v8, 7, v17
; %bb.1068:                             ;   in Loop: Header=BB283_1055 Depth=1
	s_or_b32 exec_lo, exec_lo, s13
	v_lshlrev_b32_e32 v17, 16, v97
	s_delay_alu instid0(VALU_DEP_2) | instskip(SKIP_1) | instid1(VALU_DEP_3)
	v_lshlrev_b32_e32 v8, 20, v8
	v_lshl_add_u32 v16, v16, 23, 0x3c000000
	v_and_b32_e32 v17, 0x80000000, v17
	s_delay_alu instid0(VALU_DEP_1)
	v_or3_b32 v17, v8, v17, v16
	v_mov_b32_e32 v16, v9
.LBB283_1069:                           ;   in Loop: Header=BB283_1055 Depth=1
	s_or_b32 exec_lo, exec_lo, s10
.LBB283_1070:                           ;   in Loop: Header=BB283_1055 Depth=1
	s_delay_alu instid0(SALU_CYCLE_1)
	s_or_b32 exec_lo, exec_lo, s12
.LBB283_1071:                           ;   in Loop: Header=BB283_1055 Depth=1
	s_delay_alu instid0(SALU_CYCLE_1) | instskip(SKIP_4) | instid1(VALU_DEP_2)
	s_or_b32 exec_lo, exec_lo, s0
	v_mov_b32_e32 v20, 0
	v_lshrrev_b32_e32 v99, 16, v97
	v_mov_b32_e32 v21, 0
	s_mov_b32 s0, exec_lo
	v_and_b32_e32 v8, 0xff, v99
	s_delay_alu instid0(VALU_DEP_2) | instskip(NEXT) | instid1(VALU_DEP_2)
	v_dual_mov_b32 v18, v20 :: v_dual_mov_b32 v19, v21
	v_cmpx_ne_u16_e32 0, v8
	s_cbranch_execz .LBB283_1079
; %bb.1072:                             ;   in Loop: Header=BB283_1055 Depth=1
	v_bfrev_b32_e32 v18, 1
	v_mov_b32_e32 v19, 0
	s_mov_b32 s10, exec_lo
	v_cmpx_ne_u16_e32 0x80, v8
	s_cbranch_execz .LBB283_1078
; %bb.1073:                             ;   in Loop: Header=BB283_1055 Depth=1
	v_mov_b32_e32 v18, 0x7f800001
	v_bfe_u32 v100, v97, 16, 7
	v_mov_b32_e32 v19, 0
	s_mov_b32 s12, exec_lo
	s_delay_alu instid0(VALU_DEP_2)
	v_cmpx_ne_u32_e32 0x7f, v100
	s_cbranch_execz .LBB283_1077
; %bb.1074:                             ;   in Loop: Header=BB283_1055 Depth=1
	v_and_b32_e32 v8, 7, v99
	v_lshrrev_b32_e32 v18, 3, v100
	s_mov_b32 s13, exec_lo
	v_cmpx_gt_u32_e32 8, v100
; %bb.1075:                             ;   in Loop: Header=BB283_1055 Depth=1
	s_delay_alu instid0(VALU_DEP_3) | instskip(NEXT) | instid1(VALU_DEP_1)
	v_clz_i32_u32_e32 v18, v8
	v_min_u32_e32 v18, 32, v18
	s_delay_alu instid0(VALU_DEP_1) | instskip(SKIP_1) | instid1(VALU_DEP_2)
	v_subrev_nc_u32_e32 v19, 28, v18
	v_sub_nc_u32_e32 v18, 29, v18
	v_lshlrev_b64 v[100:101], v19, v[8:9]
	s_delay_alu instid0(VALU_DEP_1)
	v_and_b32_e32 v8, 7, v100
; %bb.1076:                             ;   in Loop: Header=BB283_1055 Depth=1
	s_or_b32 exec_lo, exec_lo, s13
	v_lshlrev_b32_e32 v19, 24, v99
	s_delay_alu instid0(VALU_DEP_2) | instskip(SKIP_1) | instid1(VALU_DEP_3)
	v_lshlrev_b32_e32 v8, 20, v8
	v_lshl_add_u32 v18, v18, 23, 0x3c000000
	v_and_b32_e32 v19, 0x80000000, v19
	s_delay_alu instid0(VALU_DEP_1) | instskip(NEXT) | instid1(VALU_DEP_1)
	v_or3_b32 v8, v8, v19, v18
	v_dual_mov_b32 v19, v9 :: v_dual_mov_b32 v18, v8
.LBB283_1077:                           ;   in Loop: Header=BB283_1055 Depth=1
	s_or_b32 exec_lo, exec_lo, s12
.LBB283_1078:                           ;   in Loop: Header=BB283_1055 Depth=1
	s_delay_alu instid0(SALU_CYCLE_1)
	s_or_b32 exec_lo, exec_lo, s10
.LBB283_1079:                           ;   in Loop: Header=BB283_1055 Depth=1
	s_delay_alu instid0(SALU_CYCLE_1) | instskip(NEXT) | instid1(SALU_CYCLE_1)
	s_or_b32 exec_lo, exec_lo, s0
	s_mov_b32 s0, exec_lo
	v_cmpx_lt_u32_e32 0xffffff, v97
	s_cbranch_execz .LBB283_1087
; %bb.1080:                             ;   in Loop: Header=BB283_1055 Depth=1
	v_lshrrev_b32_e32 v99, 24, v97
	v_dual_mov_b32 v21, s9 :: v_dual_mov_b32 v20, s8
	s_mov_b32 s12, exec_lo
	s_delay_alu instid0(VALU_DEP_2)
	v_cmpx_ne_u32_e32 0x80, v99
	s_cbranch_execz .LBB283_1086
; %bb.1081:                             ;   in Loop: Header=BB283_1055 Depth=1
	s_mov_b32 s10, s8
	v_bfe_u32 v97, v97, 24, 7
	v_dual_mov_b32 v21, s11 :: v_dual_mov_b32 v20, s10
	s_mov_b32 s10, exec_lo
	s_delay_alu instid0(VALU_DEP_2)
	v_cmpx_ne_u32_e32 0x7f, v97
	s_cbranch_execz .LBB283_1085
; %bb.1082:                             ;   in Loop: Header=BB283_1055 Depth=1
	v_and_b32_e32 v8, 7, v99
	v_lshrrev_b32_e32 v20, 3, v97
	s_mov_b32 s13, exec_lo
	v_cmpx_gt_u32_e32 8, v97
; %bb.1083:                             ;   in Loop: Header=BB283_1055 Depth=1
	s_delay_alu instid0(VALU_DEP_3) | instskip(NEXT) | instid1(VALU_DEP_1)
	v_clz_i32_u32_e32 v20, v8
	v_min_u32_e32 v20, 32, v20
	s_delay_alu instid0(VALU_DEP_1) | instskip(SKIP_1) | instid1(VALU_DEP_2)
	v_subrev_nc_u32_e32 v21, 28, v20
	v_sub_nc_u32_e32 v20, 29, v20
	v_lshlrev_b64 v[100:101], v21, v[8:9]
	s_delay_alu instid0(VALU_DEP_1)
	v_and_b32_e32 v8, 7, v100
; %bb.1084:                             ;   in Loop: Header=BB283_1055 Depth=1
	s_or_b32 exec_lo, exec_lo, s13
	v_lshlrev_b32_e32 v21, 24, v99
	s_delay_alu instid0(VALU_DEP_2) | instskip(SKIP_1) | instid1(VALU_DEP_3)
	v_lshlrev_b32_e32 v8, 20, v8
	v_lshl_add_u32 v20, v20, 23, 0x3c000000
	v_and_b32_e32 v21, 0x80000000, v21
	s_delay_alu instid0(VALU_DEP_1)
	v_or3_b32 v21, v8, v21, v20
	v_mov_b32_e32 v20, v9
.LBB283_1085:                           ;   in Loop: Header=BB283_1055 Depth=1
	s_or_b32 exec_lo, exec_lo, s10
.LBB283_1086:                           ;   in Loop: Header=BB283_1055 Depth=1
	s_delay_alu instid0(SALU_CYCLE_1)
	s_or_b32 exec_lo, exec_lo, s12
.LBB283_1087:                           ;   in Loop: Header=BB283_1055 Depth=1
	s_delay_alu instid0(SALU_CYCLE_1) | instskip(SKIP_4) | instid1(VALU_DEP_4)
	s_or_b32 exec_lo, exec_lo, s0
	v_or_b32_e32 v5, v17, v5
	v_or_b32_e32 v4, v16, v4
	;; [unrolled: 1-line block ×4, first 2 shown]
	v_dual_mul_f32 v101, v96, v5 :: v_dual_add_nc_u32 v102, -3, v86
	s_delay_alu instid0(VALU_DEP_3)
	v_dual_mov_b32 v24, v83 :: v_dual_mul_f32 v97, v96, v8
	v_cmp_eq_u32_e32 vcc_lo, v25, v83
	v_dual_mul_f32 v100, v82, v4 :: v_dual_add_nc_u32 v103, -1, v86
	v_dual_mul_f32 v99, v82, v16 :: v_dual_add_nc_u32 v112, -2, v86
	s_and_saveexec_b32 s10, vcc_lo
; %bb.1088:                             ;   in Loop: Header=BB283_1055 Depth=1
	v_cmp_lt_i32_e64 s0, v102, v98
	s_delay_alu instid0(VALU_DEP_1) | instskip(NEXT) | instid1(VALU_DEP_3)
	v_cndmask_b32_e64 v100, 0, v100, s0
	v_cmp_lt_i32_e64 s0, v112, v98
	s_delay_alu instid0(VALU_DEP_1) | instskip(SKIP_1) | instid1(VALU_DEP_1)
	v_cndmask_b32_e64 v101, 0, v101, s0
	v_cmp_lt_i32_e64 s0, v103, v98
	v_cndmask_b32_e64 v99, 0, v99, s0
	v_cmp_lt_i32_e64 s0, v86, v98
	s_delay_alu instid0(VALU_DEP_1)
	v_cndmask_b32_e64 v97, 0, v97, s0
; %bb.1089:                             ;   in Loop: Header=BB283_1055 Depth=1
	s_or_b32 exec_lo, exec_lo, s10
	flat_load_b32 v113, v[14:15] offset:128
	v_mov_b32_e32 v16, 0
	v_mov_b32_e32 v17, 0
	s_mov_b32 s10, exec_lo
	s_waitcnt vmcnt(0) lgkmcnt(0)
	v_and_b32_e32 v8, 0xff, v113
	s_delay_alu instid0(VALU_DEP_2) | instskip(NEXT) | instid1(VALU_DEP_2)
	v_dual_mov_b32 v4, v16 :: v_dual_mov_b32 v5, v17
	v_cmpx_ne_u16_e32 0, v8
	s_cbranch_execz .LBB283_1097
; %bb.1090:                             ;   in Loop: Header=BB283_1055 Depth=1
	v_bfrev_b32_e32 v4, 1
	v_mov_b32_e32 v5, 0
	s_mov_b32 s12, exec_lo
	v_cmpx_ne_u16_e32 0x80, v8
	s_cbranch_execz .LBB283_1096
; %bb.1091:                             ;   in Loop: Header=BB283_1055 Depth=1
	v_mov_b32_e32 v4, 0x7f800001
	v_dual_mov_b32 v5, 0 :: v_dual_and_b32 v18, 0x7f, v113
	s_mov_b32 s13, exec_lo
	s_delay_alu instid0(VALU_DEP_1)
	v_cmpx_ne_u32_e32 0x7f, v18
	s_cbranch_execz .LBB283_1095
; %bb.1092:                             ;   in Loop: Header=BB283_1055 Depth=1
	v_and_b32_e32 v8, 7, v113
	v_lshrrev_b32_e32 v4, 3, v18
	s_mov_b32 s15, exec_lo
	v_cmpx_gt_u32_e32 8, v18
; %bb.1093:                             ;   in Loop: Header=BB283_1055 Depth=1
	s_delay_alu instid0(VALU_DEP_3) | instskip(NEXT) | instid1(VALU_DEP_1)
	v_clz_i32_u32_e32 v4, v8
	v_min_u32_e32 v4, 32, v4
	s_delay_alu instid0(VALU_DEP_1) | instskip(SKIP_1) | instid1(VALU_DEP_2)
	v_subrev_nc_u32_e32 v5, 28, v4
	v_sub_nc_u32_e32 v4, 29, v4
	v_lshlrev_b64 v[18:19], v5, v[8:9]
	s_delay_alu instid0(VALU_DEP_1)
	v_and_b32_e32 v8, 7, v18
; %bb.1094:                             ;   in Loop: Header=BB283_1055 Depth=1
	s_or_b32 exec_lo, exec_lo, s15
	v_lshlrev_b32_e32 v5, 24, v113
	s_delay_alu instid0(VALU_DEP_2) | instskip(SKIP_1) | instid1(VALU_DEP_3)
	v_lshlrev_b32_e32 v8, 20, v8
	v_lshl_add_u32 v4, v4, 23, 0x3c000000
	v_and_b32_e32 v5, 0x80000000, v5
	s_delay_alu instid0(VALU_DEP_1) | instskip(NEXT) | instid1(VALU_DEP_1)
	v_or3_b32 v8, v8, v5, v4
	v_dual_mov_b32 v4, v8 :: v_dual_mov_b32 v5, v9
.LBB283_1095:                           ;   in Loop: Header=BB283_1055 Depth=1
	s_or_b32 exec_lo, exec_lo, s13
.LBB283_1096:                           ;   in Loop: Header=BB283_1055 Depth=1
	s_delay_alu instid0(SALU_CYCLE_1)
	s_or_b32 exec_lo, exec_lo, s12
.LBB283_1097:                           ;   in Loop: Header=BB283_1055 Depth=1
	s_delay_alu instid0(SALU_CYCLE_1) | instskip(SKIP_2) | instid1(VALU_DEP_1)
	s_or_b32 exec_lo, exec_lo, s10
	v_lshrrev_b16 v8, 8, v113
	s_mov_b32 s12, exec_lo
	v_cmpx_ne_u16_e32 0, v8
	s_cbranch_execz .LBB283_1105
; %bb.1098:                             ;   in Loop: Header=BB283_1055 Depth=1
	v_dual_mov_b32 v17, s9 :: v_dual_mov_b32 v16, s8
	s_mov_b32 s13, exec_lo
	v_cmpx_ne_u16_e32 0x80, v8
	s_cbranch_execz .LBB283_1104
; %bb.1099:                             ;   in Loop: Header=BB283_1055 Depth=1
	s_mov_b32 s10, s8
	v_dual_mov_b32 v17, s11 :: v_dual_and_b32 v8, 0xffff, v8
	v_mov_b32_e32 v16, s10
	s_mov_b32 s10, exec_lo
	s_delay_alu instid0(VALU_DEP_2) | instskip(NEXT) | instid1(VALU_DEP_1)
	v_and_b32_e32 v18, 0x7f, v8
	v_cmpx_ne_u32_e32 0x7f, v18
	s_cbranch_execz .LBB283_1103
; %bb.1100:                             ;   in Loop: Header=BB283_1055 Depth=1
	v_and_b32_e32 v8, 7, v8
	v_lshrrev_b32_e32 v16, 3, v18
	s_mov_b32 s15, exec_lo
	v_cmpx_gt_u32_e32 8, v18
; %bb.1101:                             ;   in Loop: Header=BB283_1055 Depth=1
	s_delay_alu instid0(VALU_DEP_3) | instskip(NEXT) | instid1(VALU_DEP_1)
	v_clz_i32_u32_e32 v16, v8
	v_min_u32_e32 v16, 32, v16
	s_delay_alu instid0(VALU_DEP_1) | instskip(SKIP_1) | instid1(VALU_DEP_2)
	v_subrev_nc_u32_e32 v17, 28, v16
	v_sub_nc_u32_e32 v16, 29, v16
	v_lshlrev_b64 v[17:18], v17, v[8:9]
	s_delay_alu instid0(VALU_DEP_1)
	v_and_b32_e32 v8, 7, v17
; %bb.1102:                             ;   in Loop: Header=BB283_1055 Depth=1
	s_or_b32 exec_lo, exec_lo, s15
	v_lshlrev_b32_e32 v17, 16, v113
	s_delay_alu instid0(VALU_DEP_2) | instskip(SKIP_1) | instid1(VALU_DEP_3)
	v_lshlrev_b32_e32 v8, 20, v8
	v_lshl_add_u32 v16, v16, 23, 0x3c000000
	v_and_b32_e32 v17, 0x80000000, v17
	s_delay_alu instid0(VALU_DEP_1)
	v_or3_b32 v17, v8, v17, v16
	v_mov_b32_e32 v16, v9
.LBB283_1103:                           ;   in Loop: Header=BB283_1055 Depth=1
	s_or_b32 exec_lo, exec_lo, s10
.LBB283_1104:                           ;   in Loop: Header=BB283_1055 Depth=1
	s_delay_alu instid0(SALU_CYCLE_1)
	s_or_b32 exec_lo, exec_lo, s13
.LBB283_1105:                           ;   in Loop: Header=BB283_1055 Depth=1
	s_delay_alu instid0(SALU_CYCLE_1) | instskip(SKIP_4) | instid1(VALU_DEP_2)
	s_or_b32 exec_lo, exec_lo, s12
	v_mov_b32_e32 v20, 0
	v_lshrrev_b32_e32 v114, 16, v113
	v_mov_b32_e32 v21, 0
	s_mov_b32 s10, exec_lo
	v_and_b32_e32 v8, 0xff, v114
	s_delay_alu instid0(VALU_DEP_2) | instskip(NEXT) | instid1(VALU_DEP_2)
	v_dual_mov_b32 v18, v20 :: v_dual_mov_b32 v19, v21
	v_cmpx_ne_u16_e32 0, v8
	s_cbranch_execz .LBB283_1113
; %bb.1106:                             ;   in Loop: Header=BB283_1055 Depth=1
	v_bfrev_b32_e32 v18, 1
	v_mov_b32_e32 v19, 0
	s_mov_b32 s12, exec_lo
	v_cmpx_ne_u16_e32 0x80, v8
	s_cbranch_execz .LBB283_1112
; %bb.1107:                             ;   in Loop: Header=BB283_1055 Depth=1
	v_mov_b32_e32 v18, 0x7f800001
	v_bfe_u32 v115, v113, 16, 7
	v_mov_b32_e32 v19, 0
	s_mov_b32 s13, exec_lo
	s_delay_alu instid0(VALU_DEP_2)
	v_cmpx_ne_u32_e32 0x7f, v115
	s_cbranch_execz .LBB283_1111
; %bb.1108:                             ;   in Loop: Header=BB283_1055 Depth=1
	v_and_b32_e32 v8, 7, v114
	v_lshrrev_b32_e32 v18, 3, v115
	s_mov_b32 s15, exec_lo
	v_cmpx_gt_u32_e32 8, v115
; %bb.1109:                             ;   in Loop: Header=BB283_1055 Depth=1
	s_delay_alu instid0(VALU_DEP_3) | instskip(NEXT) | instid1(VALU_DEP_1)
	v_clz_i32_u32_e32 v18, v8
	v_min_u32_e32 v18, 32, v18
	s_delay_alu instid0(VALU_DEP_1) | instskip(SKIP_1) | instid1(VALU_DEP_2)
	v_subrev_nc_u32_e32 v19, 28, v18
	v_sub_nc_u32_e32 v18, 29, v18
	v_lshlrev_b64 v[115:116], v19, v[8:9]
	s_delay_alu instid0(VALU_DEP_1)
	v_and_b32_e32 v8, 7, v115
; %bb.1110:                             ;   in Loop: Header=BB283_1055 Depth=1
	s_or_b32 exec_lo, exec_lo, s15
	v_lshlrev_b32_e32 v19, 24, v114
	s_delay_alu instid0(VALU_DEP_2) | instskip(SKIP_1) | instid1(VALU_DEP_3)
	v_lshlrev_b32_e32 v8, 20, v8
	v_lshl_add_u32 v18, v18, 23, 0x3c000000
	v_and_b32_e32 v19, 0x80000000, v19
	s_delay_alu instid0(VALU_DEP_1) | instskip(NEXT) | instid1(VALU_DEP_1)
	v_or3_b32 v8, v8, v19, v18
	v_dual_mov_b32 v19, v9 :: v_dual_mov_b32 v18, v8
.LBB283_1111:                           ;   in Loop: Header=BB283_1055 Depth=1
	s_or_b32 exec_lo, exec_lo, s13
.LBB283_1112:                           ;   in Loop: Header=BB283_1055 Depth=1
	s_delay_alu instid0(SALU_CYCLE_1)
	s_or_b32 exec_lo, exec_lo, s12
.LBB283_1113:                           ;   in Loop: Header=BB283_1055 Depth=1
	s_delay_alu instid0(SALU_CYCLE_1) | instskip(NEXT) | instid1(SALU_CYCLE_1)
	s_or_b32 exec_lo, exec_lo, s10
	s_mov_b32 s12, exec_lo
	v_cmpx_lt_u32_e32 0xffffff, v113
	s_cbranch_execz .LBB283_1121
; %bb.1114:                             ;   in Loop: Header=BB283_1055 Depth=1
	v_lshrrev_b32_e32 v114, 24, v113
	v_dual_mov_b32 v21, s9 :: v_dual_mov_b32 v20, s8
	s_mov_b32 s13, exec_lo
	s_delay_alu instid0(VALU_DEP_2)
	v_cmpx_ne_u32_e32 0x80, v114
	s_cbranch_execz .LBB283_1120
; %bb.1115:                             ;   in Loop: Header=BB283_1055 Depth=1
	s_mov_b32 s10, s8
	v_bfe_u32 v113, v113, 24, 7
	v_dual_mov_b32 v21, s11 :: v_dual_mov_b32 v20, s10
	s_mov_b32 s10, exec_lo
	s_delay_alu instid0(VALU_DEP_2)
	v_cmpx_ne_u32_e32 0x7f, v113
	s_cbranch_execz .LBB283_1119
; %bb.1116:                             ;   in Loop: Header=BB283_1055 Depth=1
	v_and_b32_e32 v8, 7, v114
	v_lshrrev_b32_e32 v20, 3, v113
	s_mov_b32 s15, exec_lo
	v_cmpx_gt_u32_e32 8, v113
; %bb.1117:                             ;   in Loop: Header=BB283_1055 Depth=1
	s_delay_alu instid0(VALU_DEP_3) | instskip(NEXT) | instid1(VALU_DEP_1)
	v_clz_i32_u32_e32 v20, v8
	v_min_u32_e32 v20, 32, v20
	s_delay_alu instid0(VALU_DEP_1) | instskip(SKIP_1) | instid1(VALU_DEP_2)
	v_subrev_nc_u32_e32 v21, 28, v20
	v_sub_nc_u32_e32 v20, 29, v20
	v_lshlrev_b64 v[115:116], v21, v[8:9]
	s_delay_alu instid0(VALU_DEP_1)
	v_and_b32_e32 v8, 7, v115
; %bb.1118:                             ;   in Loop: Header=BB283_1055 Depth=1
	s_or_b32 exec_lo, exec_lo, s15
	v_lshlrev_b32_e32 v21, 24, v114
	s_delay_alu instid0(VALU_DEP_2) | instskip(SKIP_1) | instid1(VALU_DEP_3)
	v_lshlrev_b32_e32 v8, 20, v8
	v_lshl_add_u32 v20, v20, 23, 0x3c000000
	v_and_b32_e32 v21, 0x80000000, v21
	s_delay_alu instid0(VALU_DEP_1)
	v_or3_b32 v21, v8, v21, v20
	v_mov_b32_e32 v20, v9
.LBB283_1119:                           ;   in Loop: Header=BB283_1055 Depth=1
	s_or_b32 exec_lo, exec_lo, s10
.LBB283_1120:                           ;   in Loop: Header=BB283_1055 Depth=1
	s_delay_alu instid0(SALU_CYCLE_1)
	s_or_b32 exec_lo, exec_lo, s13
.LBB283_1121:                           ;   in Loop: Header=BB283_1055 Depth=1
	s_delay_alu instid0(SALU_CYCLE_1) | instskip(SKIP_4) | instid1(VALU_DEP_3)
	s_or_b32 exec_lo, exec_lo, s12
	v_or_b32_e32 v5, v17, v5
	v_or_b32_e32 v4, v16, v4
	;; [unrolled: 1-line block ×4, first 2 shown]
	v_dual_mul_f32 v116, v96, v5 :: v_dual_mul_f32 v115, v82, v4
	s_delay_alu instid0(VALU_DEP_3) | instskip(NEXT) | instid1(VALU_DEP_3)
	v_mul_f32_e32 v113, v96, v8
	v_mul_f32_e32 v114, v82, v16
	s_and_saveexec_b32 s10, vcc_lo
; %bb.1122:                             ;   in Loop: Header=BB283_1055 Depth=1
	v_cmp_lt_i32_e64 s0, v102, v98
	s_delay_alu instid0(VALU_DEP_1) | instskip(SKIP_1) | instid1(VALU_DEP_1)
	v_cndmask_b32_e64 v115, 0, v115, s0
	v_cmp_lt_i32_e64 s0, v112, v98
	v_cndmask_b32_e64 v116, 0, v116, s0
	v_cmp_lt_i32_e64 s0, v103, v98
	s_delay_alu instid0(VALU_DEP_1) | instskip(SKIP_1) | instid1(VALU_DEP_1)
	v_cndmask_b32_e64 v114, 0, v114, s0
	v_cmp_lt_i32_e64 s0, v86, v98
	v_cndmask_b32_e64 v113, 0, v113, s0
; %bb.1123:                             ;   in Loop: Header=BB283_1055 Depth=1
	s_or_b32 exec_lo, exec_lo, s10
	flat_load_b32 v117, v[14:15] offset:256
	v_mov_b32_e32 v16, 0
	v_mov_b32_e32 v17, 0
	s_mov_b32 s10, exec_lo
	s_waitcnt vmcnt(0) lgkmcnt(0)
	v_and_b32_e32 v8, 0xff, v117
	s_delay_alu instid0(VALU_DEP_2) | instskip(NEXT) | instid1(VALU_DEP_2)
	v_dual_mov_b32 v4, v16 :: v_dual_mov_b32 v5, v17
	v_cmpx_ne_u16_e32 0, v8
	s_cbranch_execz .LBB283_1131
; %bb.1124:                             ;   in Loop: Header=BB283_1055 Depth=1
	v_bfrev_b32_e32 v4, 1
	v_mov_b32_e32 v5, 0
	s_mov_b32 s12, exec_lo
	v_cmpx_ne_u16_e32 0x80, v8
	s_cbranch_execz .LBB283_1130
; %bb.1125:                             ;   in Loop: Header=BB283_1055 Depth=1
	v_mov_b32_e32 v4, 0x7f800001
	v_dual_mov_b32 v5, 0 :: v_dual_and_b32 v18, 0x7f, v117
	s_mov_b32 s13, exec_lo
	s_delay_alu instid0(VALU_DEP_1)
	v_cmpx_ne_u32_e32 0x7f, v18
	s_cbranch_execz .LBB283_1129
; %bb.1126:                             ;   in Loop: Header=BB283_1055 Depth=1
	v_and_b32_e32 v8, 7, v117
	v_lshrrev_b32_e32 v4, 3, v18
	s_mov_b32 s15, exec_lo
	v_cmpx_gt_u32_e32 8, v18
; %bb.1127:                             ;   in Loop: Header=BB283_1055 Depth=1
	s_delay_alu instid0(VALU_DEP_3) | instskip(NEXT) | instid1(VALU_DEP_1)
	v_clz_i32_u32_e32 v4, v8
	v_min_u32_e32 v4, 32, v4
	s_delay_alu instid0(VALU_DEP_1) | instskip(SKIP_1) | instid1(VALU_DEP_2)
	v_subrev_nc_u32_e32 v5, 28, v4
	v_sub_nc_u32_e32 v4, 29, v4
	v_lshlrev_b64 v[18:19], v5, v[8:9]
	s_delay_alu instid0(VALU_DEP_1)
	v_and_b32_e32 v8, 7, v18
; %bb.1128:                             ;   in Loop: Header=BB283_1055 Depth=1
	s_or_b32 exec_lo, exec_lo, s15
	v_lshlrev_b32_e32 v5, 24, v117
	s_delay_alu instid0(VALU_DEP_2) | instskip(SKIP_1) | instid1(VALU_DEP_3)
	v_lshlrev_b32_e32 v8, 20, v8
	v_lshl_add_u32 v4, v4, 23, 0x3c000000
	v_and_b32_e32 v5, 0x80000000, v5
	s_delay_alu instid0(VALU_DEP_1) | instskip(NEXT) | instid1(VALU_DEP_1)
	v_or3_b32 v8, v8, v5, v4
	v_dual_mov_b32 v4, v8 :: v_dual_mov_b32 v5, v9
.LBB283_1129:                           ;   in Loop: Header=BB283_1055 Depth=1
	s_or_b32 exec_lo, exec_lo, s13
.LBB283_1130:                           ;   in Loop: Header=BB283_1055 Depth=1
	s_delay_alu instid0(SALU_CYCLE_1)
	s_or_b32 exec_lo, exec_lo, s12
.LBB283_1131:                           ;   in Loop: Header=BB283_1055 Depth=1
	s_delay_alu instid0(SALU_CYCLE_1) | instskip(SKIP_2) | instid1(VALU_DEP_1)
	s_or_b32 exec_lo, exec_lo, s10
	v_lshrrev_b16 v8, 8, v117
	s_mov_b32 s12, exec_lo
	v_cmpx_ne_u16_e32 0, v8
	s_cbranch_execz .LBB283_1139
; %bb.1132:                             ;   in Loop: Header=BB283_1055 Depth=1
	v_dual_mov_b32 v17, s9 :: v_dual_mov_b32 v16, s8
	s_mov_b32 s13, exec_lo
	v_cmpx_ne_u16_e32 0x80, v8
	s_cbranch_execz .LBB283_1138
; %bb.1133:                             ;   in Loop: Header=BB283_1055 Depth=1
	s_mov_b32 s10, s8
	v_dual_mov_b32 v17, s11 :: v_dual_and_b32 v8, 0xffff, v8
	v_mov_b32_e32 v16, s10
	s_mov_b32 s10, exec_lo
	s_delay_alu instid0(VALU_DEP_2) | instskip(NEXT) | instid1(VALU_DEP_1)
	v_and_b32_e32 v18, 0x7f, v8
	v_cmpx_ne_u32_e32 0x7f, v18
	s_cbranch_execz .LBB283_1137
; %bb.1134:                             ;   in Loop: Header=BB283_1055 Depth=1
	v_and_b32_e32 v8, 7, v8
	v_lshrrev_b32_e32 v16, 3, v18
	s_mov_b32 s15, exec_lo
	v_cmpx_gt_u32_e32 8, v18
; %bb.1135:                             ;   in Loop: Header=BB283_1055 Depth=1
	s_delay_alu instid0(VALU_DEP_3) | instskip(NEXT) | instid1(VALU_DEP_1)
	v_clz_i32_u32_e32 v16, v8
	v_min_u32_e32 v16, 32, v16
	s_delay_alu instid0(VALU_DEP_1) | instskip(SKIP_1) | instid1(VALU_DEP_2)
	v_subrev_nc_u32_e32 v17, 28, v16
	v_sub_nc_u32_e32 v16, 29, v16
	v_lshlrev_b64 v[17:18], v17, v[8:9]
	s_delay_alu instid0(VALU_DEP_1)
	v_and_b32_e32 v8, 7, v17
; %bb.1136:                             ;   in Loop: Header=BB283_1055 Depth=1
	s_or_b32 exec_lo, exec_lo, s15
	v_lshlrev_b32_e32 v17, 16, v117
	s_delay_alu instid0(VALU_DEP_2) | instskip(SKIP_1) | instid1(VALU_DEP_3)
	v_lshlrev_b32_e32 v8, 20, v8
	v_lshl_add_u32 v16, v16, 23, 0x3c000000
	v_and_b32_e32 v17, 0x80000000, v17
	s_delay_alu instid0(VALU_DEP_1)
	v_or3_b32 v17, v8, v17, v16
	v_mov_b32_e32 v16, v9
.LBB283_1137:                           ;   in Loop: Header=BB283_1055 Depth=1
	s_or_b32 exec_lo, exec_lo, s10
.LBB283_1138:                           ;   in Loop: Header=BB283_1055 Depth=1
	s_delay_alu instid0(SALU_CYCLE_1)
	s_or_b32 exec_lo, exec_lo, s13
.LBB283_1139:                           ;   in Loop: Header=BB283_1055 Depth=1
	s_delay_alu instid0(SALU_CYCLE_1) | instskip(SKIP_4) | instid1(VALU_DEP_2)
	s_or_b32 exec_lo, exec_lo, s12
	v_mov_b32_e32 v20, 0
	v_lshrrev_b32_e32 v118, 16, v117
	v_mov_b32_e32 v21, 0
	s_mov_b32 s10, exec_lo
	v_and_b32_e32 v8, 0xff, v118
	s_delay_alu instid0(VALU_DEP_2) | instskip(NEXT) | instid1(VALU_DEP_2)
	v_dual_mov_b32 v18, v20 :: v_dual_mov_b32 v19, v21
	v_cmpx_ne_u16_e32 0, v8
	s_cbranch_execz .LBB283_1147
; %bb.1140:                             ;   in Loop: Header=BB283_1055 Depth=1
	v_bfrev_b32_e32 v18, 1
	v_mov_b32_e32 v19, 0
	s_mov_b32 s12, exec_lo
	v_cmpx_ne_u16_e32 0x80, v8
	s_cbranch_execz .LBB283_1146
; %bb.1141:                             ;   in Loop: Header=BB283_1055 Depth=1
	v_mov_b32_e32 v18, 0x7f800001
	v_bfe_u32 v119, v117, 16, 7
	v_mov_b32_e32 v19, 0
	s_mov_b32 s13, exec_lo
	s_delay_alu instid0(VALU_DEP_2)
	v_cmpx_ne_u32_e32 0x7f, v119
	s_cbranch_execz .LBB283_1145
; %bb.1142:                             ;   in Loop: Header=BB283_1055 Depth=1
	v_and_b32_e32 v8, 7, v118
	v_lshrrev_b32_e32 v18, 3, v119
	s_mov_b32 s15, exec_lo
	v_cmpx_gt_u32_e32 8, v119
; %bb.1143:                             ;   in Loop: Header=BB283_1055 Depth=1
	s_delay_alu instid0(VALU_DEP_3) | instskip(NEXT) | instid1(VALU_DEP_1)
	v_clz_i32_u32_e32 v18, v8
	v_min_u32_e32 v18, 32, v18
	s_delay_alu instid0(VALU_DEP_1) | instskip(SKIP_1) | instid1(VALU_DEP_2)
	v_subrev_nc_u32_e32 v19, 28, v18
	v_sub_nc_u32_e32 v18, 29, v18
	v_lshlrev_b64 v[128:129], v19, v[8:9]
	s_delay_alu instid0(VALU_DEP_1)
	v_and_b32_e32 v8, 7, v128
; %bb.1144:                             ;   in Loop: Header=BB283_1055 Depth=1
	s_or_b32 exec_lo, exec_lo, s15
	v_lshlrev_b32_e32 v19, 24, v118
	s_delay_alu instid0(VALU_DEP_2) | instskip(SKIP_1) | instid1(VALU_DEP_3)
	v_lshlrev_b32_e32 v8, 20, v8
	v_lshl_add_u32 v18, v18, 23, 0x3c000000
	v_and_b32_e32 v19, 0x80000000, v19
	s_delay_alu instid0(VALU_DEP_1) | instskip(NEXT) | instid1(VALU_DEP_1)
	v_or3_b32 v8, v8, v19, v18
	v_dual_mov_b32 v19, v9 :: v_dual_mov_b32 v18, v8
.LBB283_1145:                           ;   in Loop: Header=BB283_1055 Depth=1
	s_or_b32 exec_lo, exec_lo, s13
.LBB283_1146:                           ;   in Loop: Header=BB283_1055 Depth=1
	s_delay_alu instid0(SALU_CYCLE_1)
	s_or_b32 exec_lo, exec_lo, s12
.LBB283_1147:                           ;   in Loop: Header=BB283_1055 Depth=1
	s_delay_alu instid0(SALU_CYCLE_1) | instskip(NEXT) | instid1(SALU_CYCLE_1)
	s_or_b32 exec_lo, exec_lo, s10
	s_mov_b32 s12, exec_lo
	v_cmpx_lt_u32_e32 0xffffff, v117
	s_cbranch_execz .LBB283_1155
; %bb.1148:                             ;   in Loop: Header=BB283_1055 Depth=1
	v_lshrrev_b32_e32 v118, 24, v117
	v_dual_mov_b32 v21, s9 :: v_dual_mov_b32 v20, s8
	s_mov_b32 s13, exec_lo
	s_delay_alu instid0(VALU_DEP_2)
	v_cmpx_ne_u32_e32 0x80, v118
	s_cbranch_execz .LBB283_1154
; %bb.1149:                             ;   in Loop: Header=BB283_1055 Depth=1
	s_mov_b32 s10, s8
	v_bfe_u32 v117, v117, 24, 7
	v_dual_mov_b32 v21, s11 :: v_dual_mov_b32 v20, s10
	s_mov_b32 s10, exec_lo
	s_delay_alu instid0(VALU_DEP_2)
	v_cmpx_ne_u32_e32 0x7f, v117
	s_cbranch_execz .LBB283_1153
; %bb.1150:                             ;   in Loop: Header=BB283_1055 Depth=1
	v_and_b32_e32 v8, 7, v118
	v_lshrrev_b32_e32 v20, 3, v117
	s_mov_b32 s15, exec_lo
	v_cmpx_gt_u32_e32 8, v117
; %bb.1151:                             ;   in Loop: Header=BB283_1055 Depth=1
	s_delay_alu instid0(VALU_DEP_3) | instskip(NEXT) | instid1(VALU_DEP_1)
	v_clz_i32_u32_e32 v20, v8
	v_min_u32_e32 v20, 32, v20
	s_delay_alu instid0(VALU_DEP_1) | instskip(SKIP_1) | instid1(VALU_DEP_2)
	v_subrev_nc_u32_e32 v21, 28, v20
	v_sub_nc_u32_e32 v20, 29, v20
	v_lshlrev_b64 v[128:129], v21, v[8:9]
	s_delay_alu instid0(VALU_DEP_1)
	v_and_b32_e32 v8, 7, v128
; %bb.1152:                             ;   in Loop: Header=BB283_1055 Depth=1
	s_or_b32 exec_lo, exec_lo, s15
	v_lshlrev_b32_e32 v21, 24, v118
	s_delay_alu instid0(VALU_DEP_2) | instskip(SKIP_1) | instid1(VALU_DEP_3)
	v_lshlrev_b32_e32 v8, 20, v8
	v_lshl_add_u32 v20, v20, 23, 0x3c000000
	v_and_b32_e32 v21, 0x80000000, v21
	s_delay_alu instid0(VALU_DEP_1)
	v_or3_b32 v21, v8, v21, v20
	v_mov_b32_e32 v20, v9
.LBB283_1153:                           ;   in Loop: Header=BB283_1055 Depth=1
	s_or_b32 exec_lo, exec_lo, s10
.LBB283_1154:                           ;   in Loop: Header=BB283_1055 Depth=1
	s_delay_alu instid0(SALU_CYCLE_1)
	s_or_b32 exec_lo, exec_lo, s13
.LBB283_1155:                           ;   in Loop: Header=BB283_1055 Depth=1
	s_delay_alu instid0(SALU_CYCLE_1) | instskip(SKIP_4) | instid1(VALU_DEP_3)
	s_or_b32 exec_lo, exec_lo, s12
	v_or_b32_e32 v5, v17, v5
	v_or_b32_e32 v4, v16, v4
	v_or_b32_e32 v8, v21, v19
	v_or_b32_e32 v16, v20, v18
	v_dual_mul_f32 v128, v96, v5 :: v_dual_mul_f32 v119, v82, v4
	s_delay_alu instid0(VALU_DEP_3) | instskip(NEXT) | instid1(VALU_DEP_3)
	v_mul_f32_e32 v117, v96, v8
	v_mul_f32_e32 v118, v82, v16
	s_and_saveexec_b32 s10, vcc_lo
; %bb.1156:                             ;   in Loop: Header=BB283_1055 Depth=1
	v_cmp_lt_i32_e64 s0, v102, v98
	s_delay_alu instid0(VALU_DEP_1) | instskip(SKIP_1) | instid1(VALU_DEP_1)
	v_cndmask_b32_e64 v119, 0, v119, s0
	v_cmp_lt_i32_e64 s0, v112, v98
	v_cndmask_b32_e64 v128, 0, v128, s0
	v_cmp_lt_i32_e64 s0, v103, v98
	s_delay_alu instid0(VALU_DEP_1) | instskip(SKIP_1) | instid1(VALU_DEP_1)
	v_cndmask_b32_e64 v118, 0, v118, s0
	v_cmp_lt_i32_e64 s0, v86, v98
	v_cndmask_b32_e64 v117, 0, v117, s0
; %bb.1157:                             ;   in Loop: Header=BB283_1055 Depth=1
	s_or_b32 exec_lo, exec_lo, s10
	flat_load_b32 v129, v[14:15] offset:384
	v_mov_b32_e32 v16, 0
	v_mov_b32_e32 v17, 0
	s_mov_b32 s10, exec_lo
	s_waitcnt vmcnt(0) lgkmcnt(0)
	v_and_b32_e32 v8, 0xff, v129
	s_delay_alu instid0(VALU_DEP_2) | instskip(NEXT) | instid1(VALU_DEP_2)
	v_dual_mov_b32 v4, v16 :: v_dual_mov_b32 v5, v17
	v_cmpx_ne_u16_e32 0, v8
	s_cbranch_execz .LBB283_1165
; %bb.1158:                             ;   in Loop: Header=BB283_1055 Depth=1
	v_bfrev_b32_e32 v4, 1
	v_mov_b32_e32 v5, 0
	s_mov_b32 s12, exec_lo
	v_cmpx_ne_u16_e32 0x80, v8
	s_cbranch_execz .LBB283_1164
; %bb.1159:                             ;   in Loop: Header=BB283_1055 Depth=1
	v_mov_b32_e32 v4, 0x7f800001
	v_dual_mov_b32 v5, 0 :: v_dual_and_b32 v18, 0x7f, v129
	s_mov_b32 s13, exec_lo
	s_delay_alu instid0(VALU_DEP_1)
	v_cmpx_ne_u32_e32 0x7f, v18
	s_cbranch_execz .LBB283_1163
; %bb.1160:                             ;   in Loop: Header=BB283_1055 Depth=1
	v_and_b32_e32 v8, 7, v129
	v_lshrrev_b32_e32 v4, 3, v18
	s_mov_b32 s15, exec_lo
	v_cmpx_gt_u32_e32 8, v18
; %bb.1161:                             ;   in Loop: Header=BB283_1055 Depth=1
	s_delay_alu instid0(VALU_DEP_3) | instskip(NEXT) | instid1(VALU_DEP_1)
	v_clz_i32_u32_e32 v4, v8
	v_min_u32_e32 v4, 32, v4
	s_delay_alu instid0(VALU_DEP_1) | instskip(SKIP_1) | instid1(VALU_DEP_2)
	v_subrev_nc_u32_e32 v5, 28, v4
	v_sub_nc_u32_e32 v4, 29, v4
	v_lshlrev_b64 v[18:19], v5, v[8:9]
	s_delay_alu instid0(VALU_DEP_1)
	v_and_b32_e32 v8, 7, v18
; %bb.1162:                             ;   in Loop: Header=BB283_1055 Depth=1
	s_or_b32 exec_lo, exec_lo, s15
	v_lshlrev_b32_e32 v5, 24, v129
	s_delay_alu instid0(VALU_DEP_2) | instskip(SKIP_1) | instid1(VALU_DEP_3)
	v_lshlrev_b32_e32 v8, 20, v8
	v_lshl_add_u32 v4, v4, 23, 0x3c000000
	v_and_b32_e32 v5, 0x80000000, v5
	s_delay_alu instid0(VALU_DEP_1) | instskip(NEXT) | instid1(VALU_DEP_1)
	v_or3_b32 v8, v8, v5, v4
	v_dual_mov_b32 v4, v8 :: v_dual_mov_b32 v5, v9
.LBB283_1163:                           ;   in Loop: Header=BB283_1055 Depth=1
	s_or_b32 exec_lo, exec_lo, s13
.LBB283_1164:                           ;   in Loop: Header=BB283_1055 Depth=1
	s_delay_alu instid0(SALU_CYCLE_1)
	s_or_b32 exec_lo, exec_lo, s12
.LBB283_1165:                           ;   in Loop: Header=BB283_1055 Depth=1
	s_delay_alu instid0(SALU_CYCLE_1) | instskip(SKIP_2) | instid1(VALU_DEP_1)
	s_or_b32 exec_lo, exec_lo, s10
	v_lshrrev_b16 v8, 8, v129
	s_mov_b32 s12, exec_lo
	v_cmpx_ne_u16_e32 0, v8
	s_cbranch_execz .LBB283_1173
; %bb.1166:                             ;   in Loop: Header=BB283_1055 Depth=1
	v_dual_mov_b32 v17, s9 :: v_dual_mov_b32 v16, s8
	s_mov_b32 s13, exec_lo
	v_cmpx_ne_u16_e32 0x80, v8
	s_cbranch_execz .LBB283_1172
; %bb.1167:                             ;   in Loop: Header=BB283_1055 Depth=1
	s_mov_b32 s10, s8
	v_dual_mov_b32 v17, s11 :: v_dual_and_b32 v8, 0xffff, v8
	v_mov_b32_e32 v16, s10
	s_mov_b32 s10, exec_lo
	s_delay_alu instid0(VALU_DEP_2) | instskip(NEXT) | instid1(VALU_DEP_1)
	v_and_b32_e32 v18, 0x7f, v8
	v_cmpx_ne_u32_e32 0x7f, v18
	s_cbranch_execz .LBB283_1171
; %bb.1168:                             ;   in Loop: Header=BB283_1055 Depth=1
	v_and_b32_e32 v8, 7, v8
	v_lshrrev_b32_e32 v16, 3, v18
	s_mov_b32 s15, exec_lo
	v_cmpx_gt_u32_e32 8, v18
; %bb.1169:                             ;   in Loop: Header=BB283_1055 Depth=1
	s_delay_alu instid0(VALU_DEP_3) | instskip(NEXT) | instid1(VALU_DEP_1)
	v_clz_i32_u32_e32 v16, v8
	v_min_u32_e32 v16, 32, v16
	s_delay_alu instid0(VALU_DEP_1) | instskip(SKIP_1) | instid1(VALU_DEP_2)
	v_subrev_nc_u32_e32 v17, 28, v16
	v_sub_nc_u32_e32 v16, 29, v16
	v_lshlrev_b64 v[17:18], v17, v[8:9]
	s_delay_alu instid0(VALU_DEP_1)
	v_and_b32_e32 v8, 7, v17
; %bb.1170:                             ;   in Loop: Header=BB283_1055 Depth=1
	s_or_b32 exec_lo, exec_lo, s15
	v_lshlrev_b32_e32 v17, 16, v129
	s_delay_alu instid0(VALU_DEP_2) | instskip(SKIP_1) | instid1(VALU_DEP_3)
	v_lshlrev_b32_e32 v8, 20, v8
	v_lshl_add_u32 v16, v16, 23, 0x3c000000
	v_and_b32_e32 v17, 0x80000000, v17
	s_delay_alu instid0(VALU_DEP_1)
	v_or3_b32 v17, v8, v17, v16
	v_mov_b32_e32 v16, v9
.LBB283_1171:                           ;   in Loop: Header=BB283_1055 Depth=1
	s_or_b32 exec_lo, exec_lo, s10
.LBB283_1172:                           ;   in Loop: Header=BB283_1055 Depth=1
	s_delay_alu instid0(SALU_CYCLE_1)
	s_or_b32 exec_lo, exec_lo, s13
.LBB283_1173:                           ;   in Loop: Header=BB283_1055 Depth=1
	s_delay_alu instid0(SALU_CYCLE_1) | instskip(SKIP_4) | instid1(VALU_DEP_2)
	s_or_b32 exec_lo, exec_lo, s12
	v_mov_b32_e32 v20, 0
	v_lshrrev_b32_e32 v130, 16, v129
	v_mov_b32_e32 v21, 0
	s_mov_b32 s10, exec_lo
	v_and_b32_e32 v8, 0xff, v130
	s_delay_alu instid0(VALU_DEP_2) | instskip(NEXT) | instid1(VALU_DEP_2)
	v_dual_mov_b32 v18, v20 :: v_dual_mov_b32 v19, v21
	v_cmpx_ne_u16_e32 0, v8
	s_cbranch_execz .LBB283_1181
; %bb.1174:                             ;   in Loop: Header=BB283_1055 Depth=1
	v_bfrev_b32_e32 v18, 1
	v_mov_b32_e32 v19, 0
	s_mov_b32 s12, exec_lo
	v_cmpx_ne_u16_e32 0x80, v8
	s_cbranch_execz .LBB283_1180
; %bb.1175:                             ;   in Loop: Header=BB283_1055 Depth=1
	v_mov_b32_e32 v18, 0x7f800001
	v_bfe_u32 v131, v129, 16, 7
	v_mov_b32_e32 v19, 0
	s_mov_b32 s13, exec_lo
	s_delay_alu instid0(VALU_DEP_2)
	v_cmpx_ne_u32_e32 0x7f, v131
	s_cbranch_execz .LBB283_1179
; %bb.1176:                             ;   in Loop: Header=BB283_1055 Depth=1
	v_and_b32_e32 v8, 7, v130
	v_lshrrev_b32_e32 v18, 3, v131
	s_mov_b32 s15, exec_lo
	v_cmpx_gt_u32_e32 8, v131
; %bb.1177:                             ;   in Loop: Header=BB283_1055 Depth=1
	s_delay_alu instid0(VALU_DEP_3) | instskip(NEXT) | instid1(VALU_DEP_1)
	v_clz_i32_u32_e32 v18, v8
	v_min_u32_e32 v18, 32, v18
	s_delay_alu instid0(VALU_DEP_1) | instskip(SKIP_1) | instid1(VALU_DEP_2)
	v_subrev_nc_u32_e32 v19, 28, v18
	v_sub_nc_u32_e32 v18, 29, v18
	v_lshlrev_b64 v[131:132], v19, v[8:9]
	s_delay_alu instid0(VALU_DEP_1)
	v_and_b32_e32 v8, 7, v131
; %bb.1178:                             ;   in Loop: Header=BB283_1055 Depth=1
	s_or_b32 exec_lo, exec_lo, s15
	v_lshlrev_b32_e32 v19, 24, v130
	s_delay_alu instid0(VALU_DEP_2) | instskip(SKIP_1) | instid1(VALU_DEP_3)
	v_lshlrev_b32_e32 v8, 20, v8
	v_lshl_add_u32 v18, v18, 23, 0x3c000000
	v_and_b32_e32 v19, 0x80000000, v19
	s_delay_alu instid0(VALU_DEP_1) | instskip(NEXT) | instid1(VALU_DEP_1)
	v_or3_b32 v8, v8, v19, v18
	v_dual_mov_b32 v19, v9 :: v_dual_mov_b32 v18, v8
.LBB283_1179:                           ;   in Loop: Header=BB283_1055 Depth=1
	s_or_b32 exec_lo, exec_lo, s13
.LBB283_1180:                           ;   in Loop: Header=BB283_1055 Depth=1
	s_delay_alu instid0(SALU_CYCLE_1)
	s_or_b32 exec_lo, exec_lo, s12
.LBB283_1181:                           ;   in Loop: Header=BB283_1055 Depth=1
	s_delay_alu instid0(SALU_CYCLE_1) | instskip(NEXT) | instid1(SALU_CYCLE_1)
	s_or_b32 exec_lo, exec_lo, s10
	s_mov_b32 s12, exec_lo
	v_cmpx_lt_u32_e32 0xffffff, v129
	s_cbranch_execz .LBB283_1189
; %bb.1182:                             ;   in Loop: Header=BB283_1055 Depth=1
	v_lshrrev_b32_e32 v130, 24, v129
	v_dual_mov_b32 v21, s9 :: v_dual_mov_b32 v20, s8
	s_mov_b32 s13, exec_lo
	s_delay_alu instid0(VALU_DEP_2)
	v_cmpx_ne_u32_e32 0x80, v130
	s_cbranch_execz .LBB283_1188
; %bb.1183:                             ;   in Loop: Header=BB283_1055 Depth=1
	s_mov_b32 s10, s8
	v_bfe_u32 v129, v129, 24, 7
	v_dual_mov_b32 v21, s11 :: v_dual_mov_b32 v20, s10
	s_mov_b32 s10, exec_lo
	s_delay_alu instid0(VALU_DEP_2)
	v_cmpx_ne_u32_e32 0x7f, v129
	s_cbranch_execz .LBB283_1187
; %bb.1184:                             ;   in Loop: Header=BB283_1055 Depth=1
	v_and_b32_e32 v8, 7, v130
	v_lshrrev_b32_e32 v20, 3, v129
	s_mov_b32 s15, exec_lo
	v_cmpx_gt_u32_e32 8, v129
; %bb.1185:                             ;   in Loop: Header=BB283_1055 Depth=1
	s_delay_alu instid0(VALU_DEP_3) | instskip(NEXT) | instid1(VALU_DEP_1)
	v_clz_i32_u32_e32 v20, v8
	v_min_u32_e32 v20, 32, v20
	s_delay_alu instid0(VALU_DEP_1) | instskip(SKIP_1) | instid1(VALU_DEP_2)
	v_subrev_nc_u32_e32 v21, 28, v20
	v_sub_nc_u32_e32 v20, 29, v20
	v_lshlrev_b64 v[131:132], v21, v[8:9]
	s_delay_alu instid0(VALU_DEP_1)
	v_and_b32_e32 v8, 7, v131
; %bb.1186:                             ;   in Loop: Header=BB283_1055 Depth=1
	s_or_b32 exec_lo, exec_lo, s15
	v_lshlrev_b32_e32 v21, 24, v130
	s_delay_alu instid0(VALU_DEP_2) | instskip(SKIP_1) | instid1(VALU_DEP_3)
	v_lshlrev_b32_e32 v8, 20, v8
	v_lshl_add_u32 v20, v20, 23, 0x3c000000
	v_and_b32_e32 v21, 0x80000000, v21
	s_delay_alu instid0(VALU_DEP_1)
	v_or3_b32 v21, v8, v21, v20
	v_mov_b32_e32 v20, v9
.LBB283_1187:                           ;   in Loop: Header=BB283_1055 Depth=1
	s_or_b32 exec_lo, exec_lo, s10
.LBB283_1188:                           ;   in Loop: Header=BB283_1055 Depth=1
	s_delay_alu instid0(SALU_CYCLE_1)
	s_or_b32 exec_lo, exec_lo, s13
.LBB283_1189:                           ;   in Loop: Header=BB283_1055 Depth=1
	s_delay_alu instid0(SALU_CYCLE_1) | instskip(SKIP_4) | instid1(VALU_DEP_3)
	s_or_b32 exec_lo, exec_lo, s12
	v_or_b32_e32 v5, v17, v5
	v_or_b32_e32 v4, v16, v4
	;; [unrolled: 1-line block ×4, first 2 shown]
	v_dual_mul_f32 v132, v96, v5 :: v_dual_mul_f32 v131, v82, v4
	s_delay_alu instid0(VALU_DEP_3) | instskip(NEXT) | instid1(VALU_DEP_3)
	v_mul_f32_e32 v129, v96, v8
	v_mul_f32_e32 v130, v82, v16
	s_and_saveexec_b32 s10, vcc_lo
; %bb.1190:                             ;   in Loop: Header=BB283_1055 Depth=1
	v_cmp_lt_i32_e64 s0, v102, v98
	s_delay_alu instid0(VALU_DEP_1) | instskip(SKIP_1) | instid1(VALU_DEP_1)
	v_cndmask_b32_e64 v131, 0, v131, s0
	v_cmp_lt_i32_e64 s0, v112, v98
	v_cndmask_b32_e64 v132, 0, v132, s0
	v_cmp_lt_i32_e64 s0, v103, v98
	s_delay_alu instid0(VALU_DEP_1) | instskip(SKIP_1) | instid1(VALU_DEP_1)
	v_cndmask_b32_e64 v130, 0, v130, s0
	v_cmp_lt_i32_e64 s0, v86, v98
	v_cndmask_b32_e64 v129, 0, v129, s0
; %bb.1191:                             ;   in Loop: Header=BB283_1055 Depth=1
	s_or_b32 exec_lo, exec_lo, s10
	flat_load_b32 v133, v[14:15] offset:512
	v_mov_b32_e32 v16, 0
	v_mov_b32_e32 v17, 0
	s_mov_b32 s10, exec_lo
	s_waitcnt vmcnt(0) lgkmcnt(0)
	v_and_b32_e32 v8, 0xff, v133
	s_delay_alu instid0(VALU_DEP_2) | instskip(NEXT) | instid1(VALU_DEP_2)
	v_dual_mov_b32 v4, v16 :: v_dual_mov_b32 v5, v17
	v_cmpx_ne_u16_e32 0, v8
	s_cbranch_execz .LBB283_1199
; %bb.1192:                             ;   in Loop: Header=BB283_1055 Depth=1
	v_bfrev_b32_e32 v4, 1
	v_mov_b32_e32 v5, 0
	s_mov_b32 s12, exec_lo
	v_cmpx_ne_u16_e32 0x80, v8
	s_cbranch_execz .LBB283_1198
; %bb.1193:                             ;   in Loop: Header=BB283_1055 Depth=1
	v_mov_b32_e32 v4, 0x7f800001
	v_dual_mov_b32 v5, 0 :: v_dual_and_b32 v18, 0x7f, v133
	s_mov_b32 s13, exec_lo
	s_delay_alu instid0(VALU_DEP_1)
	v_cmpx_ne_u32_e32 0x7f, v18
	s_cbranch_execz .LBB283_1197
; %bb.1194:                             ;   in Loop: Header=BB283_1055 Depth=1
	v_and_b32_e32 v8, 7, v133
	v_lshrrev_b32_e32 v4, 3, v18
	s_mov_b32 s15, exec_lo
	v_cmpx_gt_u32_e32 8, v18
; %bb.1195:                             ;   in Loop: Header=BB283_1055 Depth=1
	s_delay_alu instid0(VALU_DEP_3) | instskip(NEXT) | instid1(VALU_DEP_1)
	v_clz_i32_u32_e32 v4, v8
	v_min_u32_e32 v4, 32, v4
	s_delay_alu instid0(VALU_DEP_1) | instskip(SKIP_1) | instid1(VALU_DEP_2)
	v_subrev_nc_u32_e32 v5, 28, v4
	v_sub_nc_u32_e32 v4, 29, v4
	v_lshlrev_b64 v[18:19], v5, v[8:9]
	s_delay_alu instid0(VALU_DEP_1)
	v_and_b32_e32 v8, 7, v18
; %bb.1196:                             ;   in Loop: Header=BB283_1055 Depth=1
	s_or_b32 exec_lo, exec_lo, s15
	v_lshlrev_b32_e32 v5, 24, v133
	s_delay_alu instid0(VALU_DEP_2) | instskip(SKIP_1) | instid1(VALU_DEP_3)
	v_lshlrev_b32_e32 v8, 20, v8
	v_lshl_add_u32 v4, v4, 23, 0x3c000000
	v_and_b32_e32 v5, 0x80000000, v5
	s_delay_alu instid0(VALU_DEP_1) | instskip(NEXT) | instid1(VALU_DEP_1)
	v_or3_b32 v8, v8, v5, v4
	v_dual_mov_b32 v4, v8 :: v_dual_mov_b32 v5, v9
.LBB283_1197:                           ;   in Loop: Header=BB283_1055 Depth=1
	s_or_b32 exec_lo, exec_lo, s13
.LBB283_1198:                           ;   in Loop: Header=BB283_1055 Depth=1
	s_delay_alu instid0(SALU_CYCLE_1)
	s_or_b32 exec_lo, exec_lo, s12
.LBB283_1199:                           ;   in Loop: Header=BB283_1055 Depth=1
	s_delay_alu instid0(SALU_CYCLE_1) | instskip(SKIP_2) | instid1(VALU_DEP_1)
	s_or_b32 exec_lo, exec_lo, s10
	v_lshrrev_b16 v8, 8, v133
	s_mov_b32 s12, exec_lo
	v_cmpx_ne_u16_e32 0, v8
	s_cbranch_execz .LBB283_1207
; %bb.1200:                             ;   in Loop: Header=BB283_1055 Depth=1
	v_dual_mov_b32 v17, s9 :: v_dual_mov_b32 v16, s8
	s_mov_b32 s13, exec_lo
	v_cmpx_ne_u16_e32 0x80, v8
	s_cbranch_execz .LBB283_1206
; %bb.1201:                             ;   in Loop: Header=BB283_1055 Depth=1
	s_mov_b32 s10, s8
	v_dual_mov_b32 v17, s11 :: v_dual_and_b32 v8, 0xffff, v8
	v_mov_b32_e32 v16, s10
	s_mov_b32 s10, exec_lo
	s_delay_alu instid0(VALU_DEP_2) | instskip(NEXT) | instid1(VALU_DEP_1)
	v_and_b32_e32 v18, 0x7f, v8
	v_cmpx_ne_u32_e32 0x7f, v18
	s_cbranch_execz .LBB283_1205
; %bb.1202:                             ;   in Loop: Header=BB283_1055 Depth=1
	v_and_b32_e32 v8, 7, v8
	v_lshrrev_b32_e32 v16, 3, v18
	s_mov_b32 s15, exec_lo
	v_cmpx_gt_u32_e32 8, v18
; %bb.1203:                             ;   in Loop: Header=BB283_1055 Depth=1
	s_delay_alu instid0(VALU_DEP_3) | instskip(NEXT) | instid1(VALU_DEP_1)
	v_clz_i32_u32_e32 v16, v8
	v_min_u32_e32 v16, 32, v16
	s_delay_alu instid0(VALU_DEP_1) | instskip(SKIP_1) | instid1(VALU_DEP_2)
	v_subrev_nc_u32_e32 v17, 28, v16
	v_sub_nc_u32_e32 v16, 29, v16
	v_lshlrev_b64 v[17:18], v17, v[8:9]
	s_delay_alu instid0(VALU_DEP_1)
	v_and_b32_e32 v8, 7, v17
; %bb.1204:                             ;   in Loop: Header=BB283_1055 Depth=1
	s_or_b32 exec_lo, exec_lo, s15
	v_lshlrev_b32_e32 v17, 16, v133
	s_delay_alu instid0(VALU_DEP_2) | instskip(SKIP_1) | instid1(VALU_DEP_3)
	v_lshlrev_b32_e32 v8, 20, v8
	v_lshl_add_u32 v16, v16, 23, 0x3c000000
	v_and_b32_e32 v17, 0x80000000, v17
	s_delay_alu instid0(VALU_DEP_1)
	v_or3_b32 v17, v8, v17, v16
	v_mov_b32_e32 v16, v9
.LBB283_1205:                           ;   in Loop: Header=BB283_1055 Depth=1
	s_or_b32 exec_lo, exec_lo, s10
.LBB283_1206:                           ;   in Loop: Header=BB283_1055 Depth=1
	s_delay_alu instid0(SALU_CYCLE_1)
	s_or_b32 exec_lo, exec_lo, s13
.LBB283_1207:                           ;   in Loop: Header=BB283_1055 Depth=1
	s_delay_alu instid0(SALU_CYCLE_1) | instskip(SKIP_4) | instid1(VALU_DEP_2)
	s_or_b32 exec_lo, exec_lo, s12
	v_mov_b32_e32 v20, 0
	v_lshrrev_b32_e32 v134, 16, v133
	v_mov_b32_e32 v21, 0
	s_mov_b32 s10, exec_lo
	v_and_b32_e32 v8, 0xff, v134
	s_delay_alu instid0(VALU_DEP_2) | instskip(NEXT) | instid1(VALU_DEP_2)
	v_dual_mov_b32 v18, v20 :: v_dual_mov_b32 v19, v21
	v_cmpx_ne_u16_e32 0, v8
	s_cbranch_execz .LBB283_1215
; %bb.1208:                             ;   in Loop: Header=BB283_1055 Depth=1
	v_bfrev_b32_e32 v18, 1
	v_mov_b32_e32 v19, 0
	s_mov_b32 s12, exec_lo
	v_cmpx_ne_u16_e32 0x80, v8
	s_cbranch_execz .LBB283_1214
; %bb.1209:                             ;   in Loop: Header=BB283_1055 Depth=1
	v_mov_b32_e32 v18, 0x7f800001
	v_bfe_u32 v135, v133, 16, 7
	v_mov_b32_e32 v19, 0
	s_mov_b32 s13, exec_lo
	s_delay_alu instid0(VALU_DEP_2)
	v_cmpx_ne_u32_e32 0x7f, v135
	s_cbranch_execz .LBB283_1213
; %bb.1210:                             ;   in Loop: Header=BB283_1055 Depth=1
	v_and_b32_e32 v8, 7, v134
	v_lshrrev_b32_e32 v18, 3, v135
	s_mov_b32 s15, exec_lo
	v_cmpx_gt_u32_e32 8, v135
; %bb.1211:                             ;   in Loop: Header=BB283_1055 Depth=1
	s_delay_alu instid0(VALU_DEP_3) | instskip(NEXT) | instid1(VALU_DEP_1)
	v_clz_i32_u32_e32 v18, v8
	v_min_u32_e32 v18, 32, v18
	s_delay_alu instid0(VALU_DEP_1) | instskip(SKIP_1) | instid1(VALU_DEP_2)
	v_subrev_nc_u32_e32 v19, 28, v18
	v_sub_nc_u32_e32 v18, 29, v18
	v_lshlrev_b64 v[144:145], v19, v[8:9]
	s_delay_alu instid0(VALU_DEP_1)
	v_and_b32_e32 v8, 7, v144
; %bb.1212:                             ;   in Loop: Header=BB283_1055 Depth=1
	s_or_b32 exec_lo, exec_lo, s15
	v_lshlrev_b32_e32 v19, 24, v134
	s_delay_alu instid0(VALU_DEP_2) | instskip(SKIP_1) | instid1(VALU_DEP_3)
	v_lshlrev_b32_e32 v8, 20, v8
	v_lshl_add_u32 v18, v18, 23, 0x3c000000
	v_and_b32_e32 v19, 0x80000000, v19
	s_delay_alu instid0(VALU_DEP_1) | instskip(NEXT) | instid1(VALU_DEP_1)
	v_or3_b32 v8, v8, v19, v18
	v_dual_mov_b32 v19, v9 :: v_dual_mov_b32 v18, v8
.LBB283_1213:                           ;   in Loop: Header=BB283_1055 Depth=1
	s_or_b32 exec_lo, exec_lo, s13
.LBB283_1214:                           ;   in Loop: Header=BB283_1055 Depth=1
	s_delay_alu instid0(SALU_CYCLE_1)
	s_or_b32 exec_lo, exec_lo, s12
.LBB283_1215:                           ;   in Loop: Header=BB283_1055 Depth=1
	s_delay_alu instid0(SALU_CYCLE_1) | instskip(NEXT) | instid1(SALU_CYCLE_1)
	s_or_b32 exec_lo, exec_lo, s10
	s_mov_b32 s12, exec_lo
	v_cmpx_lt_u32_e32 0xffffff, v133
	s_cbranch_execz .LBB283_1223
; %bb.1216:                             ;   in Loop: Header=BB283_1055 Depth=1
	v_lshrrev_b32_e32 v134, 24, v133
	v_dual_mov_b32 v21, s9 :: v_dual_mov_b32 v20, s8
	s_mov_b32 s13, exec_lo
	s_delay_alu instid0(VALU_DEP_2)
	v_cmpx_ne_u32_e32 0x80, v134
	s_cbranch_execz .LBB283_1222
; %bb.1217:                             ;   in Loop: Header=BB283_1055 Depth=1
	s_mov_b32 s10, s8
	v_bfe_u32 v133, v133, 24, 7
	v_dual_mov_b32 v21, s11 :: v_dual_mov_b32 v20, s10
	s_mov_b32 s10, exec_lo
	s_delay_alu instid0(VALU_DEP_2)
	v_cmpx_ne_u32_e32 0x7f, v133
	s_cbranch_execz .LBB283_1221
; %bb.1218:                             ;   in Loop: Header=BB283_1055 Depth=1
	v_and_b32_e32 v8, 7, v134
	v_lshrrev_b32_e32 v20, 3, v133
	s_mov_b32 s15, exec_lo
	v_cmpx_gt_u32_e32 8, v133
; %bb.1219:                             ;   in Loop: Header=BB283_1055 Depth=1
	s_delay_alu instid0(VALU_DEP_3) | instskip(NEXT) | instid1(VALU_DEP_1)
	v_clz_i32_u32_e32 v20, v8
	v_min_u32_e32 v20, 32, v20
	s_delay_alu instid0(VALU_DEP_1) | instskip(SKIP_1) | instid1(VALU_DEP_2)
	v_subrev_nc_u32_e32 v21, 28, v20
	v_sub_nc_u32_e32 v20, 29, v20
	v_lshlrev_b64 v[144:145], v21, v[8:9]
	s_delay_alu instid0(VALU_DEP_1)
	v_and_b32_e32 v8, 7, v144
; %bb.1220:                             ;   in Loop: Header=BB283_1055 Depth=1
	s_or_b32 exec_lo, exec_lo, s15
	v_lshlrev_b32_e32 v21, 24, v134
	s_delay_alu instid0(VALU_DEP_2) | instskip(SKIP_1) | instid1(VALU_DEP_3)
	v_lshlrev_b32_e32 v8, 20, v8
	v_lshl_add_u32 v20, v20, 23, 0x3c000000
	v_and_b32_e32 v21, 0x80000000, v21
	s_delay_alu instid0(VALU_DEP_1)
	v_or3_b32 v21, v8, v21, v20
	v_mov_b32_e32 v20, v9
.LBB283_1221:                           ;   in Loop: Header=BB283_1055 Depth=1
	s_or_b32 exec_lo, exec_lo, s10
.LBB283_1222:                           ;   in Loop: Header=BB283_1055 Depth=1
	s_delay_alu instid0(SALU_CYCLE_1)
	s_or_b32 exec_lo, exec_lo, s13
.LBB283_1223:                           ;   in Loop: Header=BB283_1055 Depth=1
	s_delay_alu instid0(SALU_CYCLE_1) | instskip(SKIP_4) | instid1(VALU_DEP_3)
	s_or_b32 exec_lo, exec_lo, s12
	v_or_b32_e32 v5, v17, v5
	v_or_b32_e32 v4, v16, v4
	;; [unrolled: 1-line block ×4, first 2 shown]
	v_dual_mul_f32 v144, v96, v5 :: v_dual_mul_f32 v135, v82, v4
	s_delay_alu instid0(VALU_DEP_3) | instskip(NEXT) | instid1(VALU_DEP_3)
	v_mul_f32_e32 v133, v96, v8
	v_mul_f32_e32 v134, v82, v16
	s_and_saveexec_b32 s10, vcc_lo
; %bb.1224:                             ;   in Loop: Header=BB283_1055 Depth=1
	v_cmp_lt_i32_e64 s0, v102, v98
	s_delay_alu instid0(VALU_DEP_1) | instskip(SKIP_1) | instid1(VALU_DEP_1)
	v_cndmask_b32_e64 v135, 0, v135, s0
	v_cmp_lt_i32_e64 s0, v112, v98
	v_cndmask_b32_e64 v144, 0, v144, s0
	v_cmp_lt_i32_e64 s0, v103, v98
	s_delay_alu instid0(VALU_DEP_1) | instskip(SKIP_1) | instid1(VALU_DEP_1)
	v_cndmask_b32_e64 v134, 0, v134, s0
	v_cmp_lt_i32_e64 s0, v86, v98
	v_cndmask_b32_e64 v133, 0, v133, s0
; %bb.1225:                             ;   in Loop: Header=BB283_1055 Depth=1
	s_or_b32 exec_lo, exec_lo, s10
	flat_load_b32 v145, v[14:15] offset:640
	v_mov_b32_e32 v16, 0
	v_mov_b32_e32 v17, 0
	s_mov_b32 s10, exec_lo
	s_waitcnt vmcnt(0) lgkmcnt(0)
	v_and_b32_e32 v8, 0xff, v145
	s_delay_alu instid0(VALU_DEP_2) | instskip(NEXT) | instid1(VALU_DEP_2)
	v_dual_mov_b32 v4, v16 :: v_dual_mov_b32 v5, v17
	v_cmpx_ne_u16_e32 0, v8
	s_cbranch_execz .LBB283_1233
; %bb.1226:                             ;   in Loop: Header=BB283_1055 Depth=1
	v_bfrev_b32_e32 v4, 1
	v_mov_b32_e32 v5, 0
	s_mov_b32 s12, exec_lo
	v_cmpx_ne_u16_e32 0x80, v8
	s_cbranch_execz .LBB283_1232
; %bb.1227:                             ;   in Loop: Header=BB283_1055 Depth=1
	v_mov_b32_e32 v4, 0x7f800001
	v_dual_mov_b32 v5, 0 :: v_dual_and_b32 v18, 0x7f, v145
	s_mov_b32 s13, exec_lo
	s_delay_alu instid0(VALU_DEP_1)
	v_cmpx_ne_u32_e32 0x7f, v18
	s_cbranch_execz .LBB283_1231
; %bb.1228:                             ;   in Loop: Header=BB283_1055 Depth=1
	v_and_b32_e32 v8, 7, v145
	v_lshrrev_b32_e32 v4, 3, v18
	s_mov_b32 s15, exec_lo
	v_cmpx_gt_u32_e32 8, v18
; %bb.1229:                             ;   in Loop: Header=BB283_1055 Depth=1
	s_delay_alu instid0(VALU_DEP_3) | instskip(NEXT) | instid1(VALU_DEP_1)
	v_clz_i32_u32_e32 v4, v8
	v_min_u32_e32 v4, 32, v4
	s_delay_alu instid0(VALU_DEP_1) | instskip(SKIP_1) | instid1(VALU_DEP_2)
	v_subrev_nc_u32_e32 v5, 28, v4
	v_sub_nc_u32_e32 v4, 29, v4
	v_lshlrev_b64 v[18:19], v5, v[8:9]
	s_delay_alu instid0(VALU_DEP_1)
	v_and_b32_e32 v8, 7, v18
; %bb.1230:                             ;   in Loop: Header=BB283_1055 Depth=1
	s_or_b32 exec_lo, exec_lo, s15
	v_lshlrev_b32_e32 v5, 24, v145
	s_delay_alu instid0(VALU_DEP_2) | instskip(SKIP_1) | instid1(VALU_DEP_3)
	v_lshlrev_b32_e32 v8, 20, v8
	v_lshl_add_u32 v4, v4, 23, 0x3c000000
	v_and_b32_e32 v5, 0x80000000, v5
	s_delay_alu instid0(VALU_DEP_1) | instskip(NEXT) | instid1(VALU_DEP_1)
	v_or3_b32 v8, v8, v5, v4
	v_dual_mov_b32 v4, v8 :: v_dual_mov_b32 v5, v9
.LBB283_1231:                           ;   in Loop: Header=BB283_1055 Depth=1
	s_or_b32 exec_lo, exec_lo, s13
.LBB283_1232:                           ;   in Loop: Header=BB283_1055 Depth=1
	s_delay_alu instid0(SALU_CYCLE_1)
	s_or_b32 exec_lo, exec_lo, s12
.LBB283_1233:                           ;   in Loop: Header=BB283_1055 Depth=1
	s_delay_alu instid0(SALU_CYCLE_1) | instskip(SKIP_2) | instid1(VALU_DEP_1)
	s_or_b32 exec_lo, exec_lo, s10
	v_lshrrev_b16 v8, 8, v145
	s_mov_b32 s12, exec_lo
	v_cmpx_ne_u16_e32 0, v8
	s_cbranch_execz .LBB283_1241
; %bb.1234:                             ;   in Loop: Header=BB283_1055 Depth=1
	v_dual_mov_b32 v17, s9 :: v_dual_mov_b32 v16, s8
	s_mov_b32 s13, exec_lo
	v_cmpx_ne_u16_e32 0x80, v8
	s_cbranch_execz .LBB283_1240
; %bb.1235:                             ;   in Loop: Header=BB283_1055 Depth=1
	s_mov_b32 s10, s8
	v_dual_mov_b32 v17, s11 :: v_dual_and_b32 v8, 0xffff, v8
	v_mov_b32_e32 v16, s10
	s_mov_b32 s10, exec_lo
	s_delay_alu instid0(VALU_DEP_2) | instskip(NEXT) | instid1(VALU_DEP_1)
	v_and_b32_e32 v18, 0x7f, v8
	v_cmpx_ne_u32_e32 0x7f, v18
	s_cbranch_execz .LBB283_1239
; %bb.1236:                             ;   in Loop: Header=BB283_1055 Depth=1
	v_and_b32_e32 v8, 7, v8
	v_lshrrev_b32_e32 v16, 3, v18
	s_mov_b32 s15, exec_lo
	v_cmpx_gt_u32_e32 8, v18
; %bb.1237:                             ;   in Loop: Header=BB283_1055 Depth=1
	s_delay_alu instid0(VALU_DEP_3) | instskip(NEXT) | instid1(VALU_DEP_1)
	v_clz_i32_u32_e32 v16, v8
	v_min_u32_e32 v16, 32, v16
	s_delay_alu instid0(VALU_DEP_1) | instskip(SKIP_1) | instid1(VALU_DEP_2)
	v_subrev_nc_u32_e32 v17, 28, v16
	v_sub_nc_u32_e32 v16, 29, v16
	v_lshlrev_b64 v[17:18], v17, v[8:9]
	s_delay_alu instid0(VALU_DEP_1)
	v_and_b32_e32 v8, 7, v17
; %bb.1238:                             ;   in Loop: Header=BB283_1055 Depth=1
	s_or_b32 exec_lo, exec_lo, s15
	v_lshlrev_b32_e32 v17, 16, v145
	s_delay_alu instid0(VALU_DEP_2) | instskip(SKIP_1) | instid1(VALU_DEP_3)
	v_lshlrev_b32_e32 v8, 20, v8
	v_lshl_add_u32 v16, v16, 23, 0x3c000000
	v_and_b32_e32 v17, 0x80000000, v17
	s_delay_alu instid0(VALU_DEP_1)
	v_or3_b32 v17, v8, v17, v16
	v_mov_b32_e32 v16, v9
.LBB283_1239:                           ;   in Loop: Header=BB283_1055 Depth=1
	s_or_b32 exec_lo, exec_lo, s10
.LBB283_1240:                           ;   in Loop: Header=BB283_1055 Depth=1
	s_delay_alu instid0(SALU_CYCLE_1)
	s_or_b32 exec_lo, exec_lo, s13
.LBB283_1241:                           ;   in Loop: Header=BB283_1055 Depth=1
	s_delay_alu instid0(SALU_CYCLE_1) | instskip(SKIP_4) | instid1(VALU_DEP_2)
	s_or_b32 exec_lo, exec_lo, s12
	v_mov_b32_e32 v20, 0
	v_lshrrev_b32_e32 v146, 16, v145
	v_mov_b32_e32 v21, 0
	s_mov_b32 s10, exec_lo
	v_and_b32_e32 v8, 0xff, v146
	s_delay_alu instid0(VALU_DEP_2) | instskip(NEXT) | instid1(VALU_DEP_2)
	v_dual_mov_b32 v18, v20 :: v_dual_mov_b32 v19, v21
	v_cmpx_ne_u16_e32 0, v8
	s_cbranch_execz .LBB283_1249
; %bb.1242:                             ;   in Loop: Header=BB283_1055 Depth=1
	v_bfrev_b32_e32 v18, 1
	v_mov_b32_e32 v19, 0
	s_mov_b32 s12, exec_lo
	v_cmpx_ne_u16_e32 0x80, v8
	s_cbranch_execz .LBB283_1248
; %bb.1243:                             ;   in Loop: Header=BB283_1055 Depth=1
	v_mov_b32_e32 v18, 0x7f800001
	v_bfe_u32 v147, v145, 16, 7
	v_mov_b32_e32 v19, 0
	s_mov_b32 s13, exec_lo
	s_delay_alu instid0(VALU_DEP_2)
	v_cmpx_ne_u32_e32 0x7f, v147
	s_cbranch_execz .LBB283_1247
; %bb.1244:                             ;   in Loop: Header=BB283_1055 Depth=1
	v_and_b32_e32 v8, 7, v146
	v_lshrrev_b32_e32 v18, 3, v147
	s_mov_b32 s15, exec_lo
	v_cmpx_gt_u32_e32 8, v147
; %bb.1245:                             ;   in Loop: Header=BB283_1055 Depth=1
	s_delay_alu instid0(VALU_DEP_3) | instskip(NEXT) | instid1(VALU_DEP_1)
	v_clz_i32_u32_e32 v18, v8
	v_min_u32_e32 v18, 32, v18
	s_delay_alu instid0(VALU_DEP_1) | instskip(SKIP_1) | instid1(VALU_DEP_2)
	v_subrev_nc_u32_e32 v19, 28, v18
	v_sub_nc_u32_e32 v18, 29, v18
	v_lshlrev_b64 v[147:148], v19, v[8:9]
	s_delay_alu instid0(VALU_DEP_1)
	v_and_b32_e32 v8, 7, v147
; %bb.1246:                             ;   in Loop: Header=BB283_1055 Depth=1
	s_or_b32 exec_lo, exec_lo, s15
	v_lshlrev_b32_e32 v19, 24, v146
	s_delay_alu instid0(VALU_DEP_2) | instskip(SKIP_1) | instid1(VALU_DEP_3)
	v_lshlrev_b32_e32 v8, 20, v8
	v_lshl_add_u32 v18, v18, 23, 0x3c000000
	v_and_b32_e32 v19, 0x80000000, v19
	s_delay_alu instid0(VALU_DEP_1) | instskip(NEXT) | instid1(VALU_DEP_1)
	v_or3_b32 v8, v8, v19, v18
	v_dual_mov_b32 v19, v9 :: v_dual_mov_b32 v18, v8
.LBB283_1247:                           ;   in Loop: Header=BB283_1055 Depth=1
	s_or_b32 exec_lo, exec_lo, s13
.LBB283_1248:                           ;   in Loop: Header=BB283_1055 Depth=1
	s_delay_alu instid0(SALU_CYCLE_1)
	s_or_b32 exec_lo, exec_lo, s12
.LBB283_1249:                           ;   in Loop: Header=BB283_1055 Depth=1
	s_delay_alu instid0(SALU_CYCLE_1) | instskip(NEXT) | instid1(SALU_CYCLE_1)
	s_or_b32 exec_lo, exec_lo, s10
	s_mov_b32 s12, exec_lo
	v_cmpx_lt_u32_e32 0xffffff, v145
	s_cbranch_execz .LBB283_1257
; %bb.1250:                             ;   in Loop: Header=BB283_1055 Depth=1
	v_lshrrev_b32_e32 v146, 24, v145
	v_dual_mov_b32 v21, s9 :: v_dual_mov_b32 v20, s8
	s_mov_b32 s13, exec_lo
	s_delay_alu instid0(VALU_DEP_2)
	v_cmpx_ne_u32_e32 0x80, v146
	s_cbranch_execz .LBB283_1256
; %bb.1251:                             ;   in Loop: Header=BB283_1055 Depth=1
	s_mov_b32 s10, s8
	v_bfe_u32 v145, v145, 24, 7
	v_dual_mov_b32 v21, s11 :: v_dual_mov_b32 v20, s10
	s_mov_b32 s10, exec_lo
	s_delay_alu instid0(VALU_DEP_2)
	v_cmpx_ne_u32_e32 0x7f, v145
	s_cbranch_execz .LBB283_1255
; %bb.1252:                             ;   in Loop: Header=BB283_1055 Depth=1
	v_and_b32_e32 v8, 7, v146
	v_lshrrev_b32_e32 v20, 3, v145
	s_mov_b32 s15, exec_lo
	v_cmpx_gt_u32_e32 8, v145
; %bb.1253:                             ;   in Loop: Header=BB283_1055 Depth=1
	s_delay_alu instid0(VALU_DEP_3) | instskip(NEXT) | instid1(VALU_DEP_1)
	v_clz_i32_u32_e32 v20, v8
	v_min_u32_e32 v20, 32, v20
	s_delay_alu instid0(VALU_DEP_1) | instskip(SKIP_1) | instid1(VALU_DEP_2)
	v_subrev_nc_u32_e32 v21, 28, v20
	v_sub_nc_u32_e32 v20, 29, v20
	v_lshlrev_b64 v[147:148], v21, v[8:9]
	s_delay_alu instid0(VALU_DEP_1)
	v_and_b32_e32 v8, 7, v147
; %bb.1254:                             ;   in Loop: Header=BB283_1055 Depth=1
	s_or_b32 exec_lo, exec_lo, s15
	v_lshlrev_b32_e32 v21, 24, v146
	s_delay_alu instid0(VALU_DEP_2) | instskip(SKIP_1) | instid1(VALU_DEP_3)
	v_lshlrev_b32_e32 v8, 20, v8
	v_lshl_add_u32 v20, v20, 23, 0x3c000000
	v_and_b32_e32 v21, 0x80000000, v21
	s_delay_alu instid0(VALU_DEP_1)
	v_or3_b32 v21, v8, v21, v20
	v_mov_b32_e32 v20, v9
.LBB283_1255:                           ;   in Loop: Header=BB283_1055 Depth=1
	s_or_b32 exec_lo, exec_lo, s10
.LBB283_1256:                           ;   in Loop: Header=BB283_1055 Depth=1
	s_delay_alu instid0(SALU_CYCLE_1)
	s_or_b32 exec_lo, exec_lo, s13
.LBB283_1257:                           ;   in Loop: Header=BB283_1055 Depth=1
	s_delay_alu instid0(SALU_CYCLE_1) | instskip(SKIP_4) | instid1(VALU_DEP_3)
	s_or_b32 exec_lo, exec_lo, s12
	v_or_b32_e32 v5, v17, v5
	v_or_b32_e32 v4, v16, v4
	;; [unrolled: 1-line block ×4, first 2 shown]
	v_dual_mul_f32 v148, v96, v5 :: v_dual_mul_f32 v147, v82, v4
	s_delay_alu instid0(VALU_DEP_3) | instskip(NEXT) | instid1(VALU_DEP_3)
	v_mul_f32_e32 v145, v96, v8
	v_mul_f32_e32 v146, v82, v16
	s_and_saveexec_b32 s10, vcc_lo
; %bb.1258:                             ;   in Loop: Header=BB283_1055 Depth=1
	v_cmp_lt_i32_e64 s0, v102, v98
	s_delay_alu instid0(VALU_DEP_1) | instskip(SKIP_1) | instid1(VALU_DEP_1)
	v_cndmask_b32_e64 v147, 0, v147, s0
	v_cmp_lt_i32_e64 s0, v112, v98
	v_cndmask_b32_e64 v148, 0, v148, s0
	v_cmp_lt_i32_e64 s0, v103, v98
	s_delay_alu instid0(VALU_DEP_1) | instskip(SKIP_1) | instid1(VALU_DEP_1)
	v_cndmask_b32_e64 v146, 0, v146, s0
	v_cmp_lt_i32_e64 s0, v86, v98
	v_cndmask_b32_e64 v145, 0, v145, s0
; %bb.1259:                             ;   in Loop: Header=BB283_1055 Depth=1
	s_or_b32 exec_lo, exec_lo, s10
	flat_load_b32 v149, v[14:15] offset:768
	v_mov_b32_e32 v16, 0
	v_mov_b32_e32 v17, 0
	s_mov_b32 s10, exec_lo
	s_waitcnt vmcnt(0) lgkmcnt(0)
	v_and_b32_e32 v8, 0xff, v149
	s_delay_alu instid0(VALU_DEP_2) | instskip(NEXT) | instid1(VALU_DEP_2)
	v_dual_mov_b32 v4, v16 :: v_dual_mov_b32 v5, v17
	v_cmpx_ne_u16_e32 0, v8
	s_cbranch_execz .LBB283_1267
; %bb.1260:                             ;   in Loop: Header=BB283_1055 Depth=1
	v_bfrev_b32_e32 v4, 1
	v_mov_b32_e32 v5, 0
	s_mov_b32 s12, exec_lo
	v_cmpx_ne_u16_e32 0x80, v8
	s_cbranch_execz .LBB283_1266
; %bb.1261:                             ;   in Loop: Header=BB283_1055 Depth=1
	v_mov_b32_e32 v4, 0x7f800001
	v_dual_mov_b32 v5, 0 :: v_dual_and_b32 v18, 0x7f, v149
	s_mov_b32 s13, exec_lo
	s_delay_alu instid0(VALU_DEP_1)
	v_cmpx_ne_u32_e32 0x7f, v18
	s_cbranch_execz .LBB283_1265
; %bb.1262:                             ;   in Loop: Header=BB283_1055 Depth=1
	v_and_b32_e32 v8, 7, v149
	v_lshrrev_b32_e32 v4, 3, v18
	s_mov_b32 s15, exec_lo
	v_cmpx_gt_u32_e32 8, v18
; %bb.1263:                             ;   in Loop: Header=BB283_1055 Depth=1
	s_delay_alu instid0(VALU_DEP_3) | instskip(NEXT) | instid1(VALU_DEP_1)
	v_clz_i32_u32_e32 v4, v8
	v_min_u32_e32 v4, 32, v4
	s_delay_alu instid0(VALU_DEP_1) | instskip(SKIP_1) | instid1(VALU_DEP_2)
	v_subrev_nc_u32_e32 v5, 28, v4
	v_sub_nc_u32_e32 v4, 29, v4
	v_lshlrev_b64 v[18:19], v5, v[8:9]
	s_delay_alu instid0(VALU_DEP_1)
	v_and_b32_e32 v8, 7, v18
; %bb.1264:                             ;   in Loop: Header=BB283_1055 Depth=1
	s_or_b32 exec_lo, exec_lo, s15
	v_lshlrev_b32_e32 v5, 24, v149
	s_delay_alu instid0(VALU_DEP_2) | instskip(SKIP_1) | instid1(VALU_DEP_3)
	v_lshlrev_b32_e32 v8, 20, v8
	v_lshl_add_u32 v4, v4, 23, 0x3c000000
	v_and_b32_e32 v5, 0x80000000, v5
	s_delay_alu instid0(VALU_DEP_1) | instskip(NEXT) | instid1(VALU_DEP_1)
	v_or3_b32 v8, v8, v5, v4
	v_dual_mov_b32 v4, v8 :: v_dual_mov_b32 v5, v9
.LBB283_1265:                           ;   in Loop: Header=BB283_1055 Depth=1
	s_or_b32 exec_lo, exec_lo, s13
.LBB283_1266:                           ;   in Loop: Header=BB283_1055 Depth=1
	s_delay_alu instid0(SALU_CYCLE_1)
	s_or_b32 exec_lo, exec_lo, s12
.LBB283_1267:                           ;   in Loop: Header=BB283_1055 Depth=1
	s_delay_alu instid0(SALU_CYCLE_1) | instskip(SKIP_2) | instid1(VALU_DEP_1)
	s_or_b32 exec_lo, exec_lo, s10
	v_lshrrev_b16 v8, 8, v149
	s_mov_b32 s12, exec_lo
	v_cmpx_ne_u16_e32 0, v8
	s_cbranch_execz .LBB283_1275
; %bb.1268:                             ;   in Loop: Header=BB283_1055 Depth=1
	v_dual_mov_b32 v17, s9 :: v_dual_mov_b32 v16, s8
	s_mov_b32 s13, exec_lo
	v_cmpx_ne_u16_e32 0x80, v8
	s_cbranch_execz .LBB283_1274
; %bb.1269:                             ;   in Loop: Header=BB283_1055 Depth=1
	s_mov_b32 s10, s8
	v_dual_mov_b32 v17, s11 :: v_dual_and_b32 v8, 0xffff, v8
	v_mov_b32_e32 v16, s10
	s_mov_b32 s10, exec_lo
	s_delay_alu instid0(VALU_DEP_2) | instskip(NEXT) | instid1(VALU_DEP_1)
	v_and_b32_e32 v18, 0x7f, v8
	v_cmpx_ne_u32_e32 0x7f, v18
	s_cbranch_execz .LBB283_1273
; %bb.1270:                             ;   in Loop: Header=BB283_1055 Depth=1
	v_and_b32_e32 v8, 7, v8
	v_lshrrev_b32_e32 v16, 3, v18
	s_mov_b32 s15, exec_lo
	v_cmpx_gt_u32_e32 8, v18
; %bb.1271:                             ;   in Loop: Header=BB283_1055 Depth=1
	s_delay_alu instid0(VALU_DEP_3) | instskip(NEXT) | instid1(VALU_DEP_1)
	v_clz_i32_u32_e32 v16, v8
	v_min_u32_e32 v16, 32, v16
	s_delay_alu instid0(VALU_DEP_1) | instskip(SKIP_1) | instid1(VALU_DEP_2)
	v_subrev_nc_u32_e32 v17, 28, v16
	v_sub_nc_u32_e32 v16, 29, v16
	v_lshlrev_b64 v[17:18], v17, v[8:9]
	s_delay_alu instid0(VALU_DEP_1)
	v_and_b32_e32 v8, 7, v17
; %bb.1272:                             ;   in Loop: Header=BB283_1055 Depth=1
	s_or_b32 exec_lo, exec_lo, s15
	v_lshlrev_b32_e32 v17, 16, v149
	s_delay_alu instid0(VALU_DEP_2) | instskip(SKIP_1) | instid1(VALU_DEP_3)
	v_lshlrev_b32_e32 v8, 20, v8
	v_lshl_add_u32 v16, v16, 23, 0x3c000000
	v_and_b32_e32 v17, 0x80000000, v17
	s_delay_alu instid0(VALU_DEP_1)
	v_or3_b32 v17, v8, v17, v16
	v_mov_b32_e32 v16, v9
.LBB283_1273:                           ;   in Loop: Header=BB283_1055 Depth=1
	s_or_b32 exec_lo, exec_lo, s10
.LBB283_1274:                           ;   in Loop: Header=BB283_1055 Depth=1
	s_delay_alu instid0(SALU_CYCLE_1)
	s_or_b32 exec_lo, exec_lo, s13
.LBB283_1275:                           ;   in Loop: Header=BB283_1055 Depth=1
	s_delay_alu instid0(SALU_CYCLE_1) | instskip(SKIP_4) | instid1(VALU_DEP_2)
	s_or_b32 exec_lo, exec_lo, s12
	v_mov_b32_e32 v20, 0
	v_lshrrev_b32_e32 v150, 16, v149
	v_mov_b32_e32 v21, 0
	s_mov_b32 s10, exec_lo
	v_and_b32_e32 v8, 0xff, v150
	s_delay_alu instid0(VALU_DEP_2) | instskip(NEXT) | instid1(VALU_DEP_2)
	v_dual_mov_b32 v18, v20 :: v_dual_mov_b32 v19, v21
	v_cmpx_ne_u16_e32 0, v8
	s_cbranch_execz .LBB283_1283
; %bb.1276:                             ;   in Loop: Header=BB283_1055 Depth=1
	v_bfrev_b32_e32 v18, 1
	v_mov_b32_e32 v19, 0
	s_mov_b32 s12, exec_lo
	v_cmpx_ne_u16_e32 0x80, v8
	s_cbranch_execz .LBB283_1282
; %bb.1277:                             ;   in Loop: Header=BB283_1055 Depth=1
	v_mov_b32_e32 v18, 0x7f800001
	v_bfe_u32 v151, v149, 16, 7
	v_mov_b32_e32 v19, 0
	s_mov_b32 s13, exec_lo
	s_delay_alu instid0(VALU_DEP_2)
	v_cmpx_ne_u32_e32 0x7f, v151
	s_cbranch_execz .LBB283_1281
; %bb.1278:                             ;   in Loop: Header=BB283_1055 Depth=1
	v_and_b32_e32 v8, 7, v150
	v_lshrrev_b32_e32 v18, 3, v151
	s_mov_b32 s15, exec_lo
	v_cmpx_gt_u32_e32 8, v151
; %bb.1279:                             ;   in Loop: Header=BB283_1055 Depth=1
	s_delay_alu instid0(VALU_DEP_3) | instskip(NEXT) | instid1(VALU_DEP_1)
	v_clz_i32_u32_e32 v18, v8
	v_min_u32_e32 v18, 32, v18
	s_delay_alu instid0(VALU_DEP_1) | instskip(SKIP_1) | instid1(VALU_DEP_2)
	v_subrev_nc_u32_e32 v19, 28, v18
	v_sub_nc_u32_e32 v18, 29, v18
	v_lshlrev_b64 v[160:161], v19, v[8:9]
	s_delay_alu instid0(VALU_DEP_1)
	v_and_b32_e32 v8, 7, v160
; %bb.1280:                             ;   in Loop: Header=BB283_1055 Depth=1
	s_or_b32 exec_lo, exec_lo, s15
	v_lshlrev_b32_e32 v19, 24, v150
	s_delay_alu instid0(VALU_DEP_2) | instskip(SKIP_1) | instid1(VALU_DEP_3)
	v_lshlrev_b32_e32 v8, 20, v8
	v_lshl_add_u32 v18, v18, 23, 0x3c000000
	v_and_b32_e32 v19, 0x80000000, v19
	s_delay_alu instid0(VALU_DEP_1) | instskip(NEXT) | instid1(VALU_DEP_1)
	v_or3_b32 v8, v8, v19, v18
	v_dual_mov_b32 v19, v9 :: v_dual_mov_b32 v18, v8
.LBB283_1281:                           ;   in Loop: Header=BB283_1055 Depth=1
	s_or_b32 exec_lo, exec_lo, s13
.LBB283_1282:                           ;   in Loop: Header=BB283_1055 Depth=1
	s_delay_alu instid0(SALU_CYCLE_1)
	s_or_b32 exec_lo, exec_lo, s12
.LBB283_1283:                           ;   in Loop: Header=BB283_1055 Depth=1
	s_delay_alu instid0(SALU_CYCLE_1) | instskip(NEXT) | instid1(SALU_CYCLE_1)
	s_or_b32 exec_lo, exec_lo, s10
	s_mov_b32 s12, exec_lo
	v_cmpx_lt_u32_e32 0xffffff, v149
	s_cbranch_execz .LBB283_1291
; %bb.1284:                             ;   in Loop: Header=BB283_1055 Depth=1
	v_lshrrev_b32_e32 v150, 24, v149
	v_dual_mov_b32 v21, s9 :: v_dual_mov_b32 v20, s8
	s_mov_b32 s13, exec_lo
	s_delay_alu instid0(VALU_DEP_2)
	v_cmpx_ne_u32_e32 0x80, v150
	s_cbranch_execz .LBB283_1290
; %bb.1285:                             ;   in Loop: Header=BB283_1055 Depth=1
	s_mov_b32 s10, s8
	v_bfe_u32 v149, v149, 24, 7
	v_dual_mov_b32 v21, s11 :: v_dual_mov_b32 v20, s10
	s_mov_b32 s10, exec_lo
	s_delay_alu instid0(VALU_DEP_2)
	v_cmpx_ne_u32_e32 0x7f, v149
	s_cbranch_execz .LBB283_1289
; %bb.1286:                             ;   in Loop: Header=BB283_1055 Depth=1
	v_and_b32_e32 v8, 7, v150
	v_lshrrev_b32_e32 v20, 3, v149
	s_mov_b32 s15, exec_lo
	v_cmpx_gt_u32_e32 8, v149
; %bb.1287:                             ;   in Loop: Header=BB283_1055 Depth=1
	s_delay_alu instid0(VALU_DEP_3) | instskip(NEXT) | instid1(VALU_DEP_1)
	v_clz_i32_u32_e32 v20, v8
	v_min_u32_e32 v20, 32, v20
	s_delay_alu instid0(VALU_DEP_1) | instskip(SKIP_1) | instid1(VALU_DEP_2)
	v_subrev_nc_u32_e32 v21, 28, v20
	v_sub_nc_u32_e32 v20, 29, v20
	v_lshlrev_b64 v[160:161], v21, v[8:9]
	s_delay_alu instid0(VALU_DEP_1)
	v_and_b32_e32 v8, 7, v160
; %bb.1288:                             ;   in Loop: Header=BB283_1055 Depth=1
	s_or_b32 exec_lo, exec_lo, s15
	v_lshlrev_b32_e32 v21, 24, v150
	s_delay_alu instid0(VALU_DEP_2) | instskip(SKIP_1) | instid1(VALU_DEP_3)
	v_lshlrev_b32_e32 v8, 20, v8
	v_lshl_add_u32 v20, v20, 23, 0x3c000000
	v_and_b32_e32 v21, 0x80000000, v21
	s_delay_alu instid0(VALU_DEP_1)
	v_or3_b32 v21, v8, v21, v20
	v_mov_b32_e32 v20, v9
.LBB283_1289:                           ;   in Loop: Header=BB283_1055 Depth=1
	s_or_b32 exec_lo, exec_lo, s10
.LBB283_1290:                           ;   in Loop: Header=BB283_1055 Depth=1
	s_delay_alu instid0(SALU_CYCLE_1)
	s_or_b32 exec_lo, exec_lo, s13
.LBB283_1291:                           ;   in Loop: Header=BB283_1055 Depth=1
	s_delay_alu instid0(SALU_CYCLE_1) | instskip(SKIP_4) | instid1(VALU_DEP_3)
	s_or_b32 exec_lo, exec_lo, s12
	v_or_b32_e32 v5, v17, v5
	v_or_b32_e32 v4, v16, v4
	;; [unrolled: 1-line block ×4, first 2 shown]
	v_dual_mul_f32 v160, v96, v5 :: v_dual_mul_f32 v151, v82, v4
	s_delay_alu instid0(VALU_DEP_3) | instskip(NEXT) | instid1(VALU_DEP_3)
	v_mul_f32_e32 v149, v96, v8
	v_mul_f32_e32 v150, v82, v16
	s_and_saveexec_b32 s10, vcc_lo
; %bb.1292:                             ;   in Loop: Header=BB283_1055 Depth=1
	v_cmp_lt_i32_e64 s0, v102, v98
	s_delay_alu instid0(VALU_DEP_1) | instskip(SKIP_1) | instid1(VALU_DEP_1)
	v_cndmask_b32_e64 v151, 0, v151, s0
	v_cmp_lt_i32_e64 s0, v112, v98
	v_cndmask_b32_e64 v160, 0, v160, s0
	v_cmp_lt_i32_e64 s0, v103, v98
	s_delay_alu instid0(VALU_DEP_1) | instskip(SKIP_1) | instid1(VALU_DEP_1)
	v_cndmask_b32_e64 v150, 0, v150, s0
	v_cmp_lt_i32_e64 s0, v86, v98
	v_cndmask_b32_e64 v149, 0, v149, s0
; %bb.1293:                             ;   in Loop: Header=BB283_1055 Depth=1
	s_or_b32 exec_lo, exec_lo, s10
	flat_load_b32 v161, v[14:15] offset:896
	v_mov_b32_e32 v16, 0
	v_mov_b32_e32 v17, 0
	s_mov_b32 s10, exec_lo
	s_waitcnt vmcnt(0) lgkmcnt(0)
	v_and_b32_e32 v8, 0xff, v161
	s_delay_alu instid0(VALU_DEP_2) | instskip(NEXT) | instid1(VALU_DEP_2)
	v_dual_mov_b32 v4, v16 :: v_dual_mov_b32 v5, v17
	v_cmpx_ne_u16_e32 0, v8
	s_cbranch_execz .LBB283_1301
; %bb.1294:                             ;   in Loop: Header=BB283_1055 Depth=1
	v_bfrev_b32_e32 v4, 1
	v_mov_b32_e32 v5, 0
	s_mov_b32 s12, exec_lo
	v_cmpx_ne_u16_e32 0x80, v8
	s_cbranch_execz .LBB283_1300
; %bb.1295:                             ;   in Loop: Header=BB283_1055 Depth=1
	v_mov_b32_e32 v4, 0x7f800001
	v_dual_mov_b32 v5, 0 :: v_dual_and_b32 v18, 0x7f, v161
	s_mov_b32 s13, exec_lo
	s_delay_alu instid0(VALU_DEP_1)
	v_cmpx_ne_u32_e32 0x7f, v18
	s_cbranch_execz .LBB283_1299
; %bb.1296:                             ;   in Loop: Header=BB283_1055 Depth=1
	v_and_b32_e32 v8, 7, v161
	v_lshrrev_b32_e32 v4, 3, v18
	s_mov_b32 s15, exec_lo
	v_cmpx_gt_u32_e32 8, v18
; %bb.1297:                             ;   in Loop: Header=BB283_1055 Depth=1
	s_delay_alu instid0(VALU_DEP_3) | instskip(NEXT) | instid1(VALU_DEP_1)
	v_clz_i32_u32_e32 v4, v8
	v_min_u32_e32 v4, 32, v4
	s_delay_alu instid0(VALU_DEP_1) | instskip(SKIP_1) | instid1(VALU_DEP_2)
	v_subrev_nc_u32_e32 v5, 28, v4
	v_sub_nc_u32_e32 v4, 29, v4
	v_lshlrev_b64 v[18:19], v5, v[8:9]
	s_delay_alu instid0(VALU_DEP_1)
	v_and_b32_e32 v8, 7, v18
; %bb.1298:                             ;   in Loop: Header=BB283_1055 Depth=1
	s_or_b32 exec_lo, exec_lo, s15
	v_lshlrev_b32_e32 v5, 24, v161
	s_delay_alu instid0(VALU_DEP_2) | instskip(SKIP_1) | instid1(VALU_DEP_3)
	v_lshlrev_b32_e32 v8, 20, v8
	v_lshl_add_u32 v4, v4, 23, 0x3c000000
	v_and_b32_e32 v5, 0x80000000, v5
	s_delay_alu instid0(VALU_DEP_1) | instskip(NEXT) | instid1(VALU_DEP_1)
	v_or3_b32 v8, v8, v5, v4
	v_dual_mov_b32 v4, v8 :: v_dual_mov_b32 v5, v9
.LBB283_1299:                           ;   in Loop: Header=BB283_1055 Depth=1
	s_or_b32 exec_lo, exec_lo, s13
.LBB283_1300:                           ;   in Loop: Header=BB283_1055 Depth=1
	s_delay_alu instid0(SALU_CYCLE_1)
	s_or_b32 exec_lo, exec_lo, s12
.LBB283_1301:                           ;   in Loop: Header=BB283_1055 Depth=1
	s_delay_alu instid0(SALU_CYCLE_1) | instskip(SKIP_2) | instid1(VALU_DEP_1)
	s_or_b32 exec_lo, exec_lo, s10
	v_lshrrev_b16 v8, 8, v161
	s_mov_b32 s12, exec_lo
	v_cmpx_ne_u16_e32 0, v8
	s_cbranch_execz .LBB283_1309
; %bb.1302:                             ;   in Loop: Header=BB283_1055 Depth=1
	v_dual_mov_b32 v17, s9 :: v_dual_mov_b32 v16, s8
	s_mov_b32 s13, exec_lo
	v_cmpx_ne_u16_e32 0x80, v8
	s_cbranch_execz .LBB283_1308
; %bb.1303:                             ;   in Loop: Header=BB283_1055 Depth=1
	s_mov_b32 s10, s8
	v_dual_mov_b32 v17, s11 :: v_dual_and_b32 v8, 0xffff, v8
	v_mov_b32_e32 v16, s10
	s_mov_b32 s10, exec_lo
	s_delay_alu instid0(VALU_DEP_2) | instskip(NEXT) | instid1(VALU_DEP_1)
	v_and_b32_e32 v18, 0x7f, v8
	v_cmpx_ne_u32_e32 0x7f, v18
	s_cbranch_execz .LBB283_1307
; %bb.1304:                             ;   in Loop: Header=BB283_1055 Depth=1
	v_and_b32_e32 v8, 7, v8
	v_lshrrev_b32_e32 v16, 3, v18
	s_mov_b32 s15, exec_lo
	v_cmpx_gt_u32_e32 8, v18
; %bb.1305:                             ;   in Loop: Header=BB283_1055 Depth=1
	s_delay_alu instid0(VALU_DEP_3) | instskip(NEXT) | instid1(VALU_DEP_1)
	v_clz_i32_u32_e32 v16, v8
	v_min_u32_e32 v16, 32, v16
	s_delay_alu instid0(VALU_DEP_1) | instskip(SKIP_1) | instid1(VALU_DEP_2)
	v_subrev_nc_u32_e32 v17, 28, v16
	v_sub_nc_u32_e32 v16, 29, v16
	v_lshlrev_b64 v[17:18], v17, v[8:9]
	s_delay_alu instid0(VALU_DEP_1)
	v_and_b32_e32 v8, 7, v17
; %bb.1306:                             ;   in Loop: Header=BB283_1055 Depth=1
	s_or_b32 exec_lo, exec_lo, s15
	v_lshlrev_b32_e32 v17, 16, v161
	s_delay_alu instid0(VALU_DEP_2) | instskip(SKIP_1) | instid1(VALU_DEP_3)
	v_lshlrev_b32_e32 v8, 20, v8
	v_lshl_add_u32 v16, v16, 23, 0x3c000000
	v_and_b32_e32 v17, 0x80000000, v17
	s_delay_alu instid0(VALU_DEP_1)
	v_or3_b32 v17, v8, v17, v16
	v_mov_b32_e32 v16, v9
.LBB283_1307:                           ;   in Loop: Header=BB283_1055 Depth=1
	s_or_b32 exec_lo, exec_lo, s10
.LBB283_1308:                           ;   in Loop: Header=BB283_1055 Depth=1
	s_delay_alu instid0(SALU_CYCLE_1)
	s_or_b32 exec_lo, exec_lo, s13
.LBB283_1309:                           ;   in Loop: Header=BB283_1055 Depth=1
	s_delay_alu instid0(SALU_CYCLE_1) | instskip(SKIP_4) | instid1(VALU_DEP_2)
	s_or_b32 exec_lo, exec_lo, s12
	v_mov_b32_e32 v20, 0
	v_lshrrev_b32_e32 v162, 16, v161
	v_mov_b32_e32 v21, 0
	s_mov_b32 s10, exec_lo
	v_and_b32_e32 v8, 0xff, v162
	s_delay_alu instid0(VALU_DEP_2) | instskip(NEXT) | instid1(VALU_DEP_2)
	v_dual_mov_b32 v18, v20 :: v_dual_mov_b32 v19, v21
	v_cmpx_ne_u16_e32 0, v8
	s_cbranch_execz .LBB283_1317
; %bb.1310:                             ;   in Loop: Header=BB283_1055 Depth=1
	v_bfrev_b32_e32 v18, 1
	v_mov_b32_e32 v19, 0
	s_mov_b32 s12, exec_lo
	v_cmpx_ne_u16_e32 0x80, v8
	s_cbranch_execz .LBB283_1316
; %bb.1311:                             ;   in Loop: Header=BB283_1055 Depth=1
	v_mov_b32_e32 v18, 0x7f800001
	v_bfe_u32 v163, v161, 16, 7
	v_mov_b32_e32 v19, 0
	s_mov_b32 s13, exec_lo
	s_delay_alu instid0(VALU_DEP_2)
	v_cmpx_ne_u32_e32 0x7f, v163
	s_cbranch_execz .LBB283_1315
; %bb.1312:                             ;   in Loop: Header=BB283_1055 Depth=1
	v_and_b32_e32 v8, 7, v162
	v_lshrrev_b32_e32 v18, 3, v163
	s_mov_b32 s15, exec_lo
	v_cmpx_gt_u32_e32 8, v163
; %bb.1313:                             ;   in Loop: Header=BB283_1055 Depth=1
	s_delay_alu instid0(VALU_DEP_3) | instskip(NEXT) | instid1(VALU_DEP_1)
	v_clz_i32_u32_e32 v18, v8
	v_min_u32_e32 v18, 32, v18
	s_delay_alu instid0(VALU_DEP_1) | instskip(SKIP_1) | instid1(VALU_DEP_2)
	v_subrev_nc_u32_e32 v19, 28, v18
	v_sub_nc_u32_e32 v18, 29, v18
	v_lshlrev_b64 v[163:164], v19, v[8:9]
	s_delay_alu instid0(VALU_DEP_1)
	v_and_b32_e32 v8, 7, v163
; %bb.1314:                             ;   in Loop: Header=BB283_1055 Depth=1
	s_or_b32 exec_lo, exec_lo, s15
	v_lshlrev_b32_e32 v19, 24, v162
	s_delay_alu instid0(VALU_DEP_2) | instskip(SKIP_1) | instid1(VALU_DEP_3)
	v_lshlrev_b32_e32 v8, 20, v8
	v_lshl_add_u32 v18, v18, 23, 0x3c000000
	v_and_b32_e32 v19, 0x80000000, v19
	s_delay_alu instid0(VALU_DEP_1) | instskip(NEXT) | instid1(VALU_DEP_1)
	v_or3_b32 v8, v8, v19, v18
	v_dual_mov_b32 v19, v9 :: v_dual_mov_b32 v18, v8
.LBB283_1315:                           ;   in Loop: Header=BB283_1055 Depth=1
	s_or_b32 exec_lo, exec_lo, s13
.LBB283_1316:                           ;   in Loop: Header=BB283_1055 Depth=1
	s_delay_alu instid0(SALU_CYCLE_1)
	s_or_b32 exec_lo, exec_lo, s12
.LBB283_1317:                           ;   in Loop: Header=BB283_1055 Depth=1
	s_delay_alu instid0(SALU_CYCLE_1) | instskip(NEXT) | instid1(SALU_CYCLE_1)
	s_or_b32 exec_lo, exec_lo, s10
	s_mov_b32 s12, exec_lo
	v_cmpx_lt_u32_e32 0xffffff, v161
	s_cbranch_execz .LBB283_1325
; %bb.1318:                             ;   in Loop: Header=BB283_1055 Depth=1
	v_lshrrev_b32_e32 v162, 24, v161
	v_dual_mov_b32 v21, s9 :: v_dual_mov_b32 v20, s8
	s_mov_b32 s13, exec_lo
	s_delay_alu instid0(VALU_DEP_2)
	v_cmpx_ne_u32_e32 0x80, v162
	s_cbranch_execz .LBB283_1324
; %bb.1319:                             ;   in Loop: Header=BB283_1055 Depth=1
	s_mov_b32 s10, s8
	v_bfe_u32 v161, v161, 24, 7
	v_dual_mov_b32 v21, s11 :: v_dual_mov_b32 v20, s10
	s_mov_b32 s10, exec_lo
	s_delay_alu instid0(VALU_DEP_2)
	v_cmpx_ne_u32_e32 0x7f, v161
	s_cbranch_execz .LBB283_1323
; %bb.1320:                             ;   in Loop: Header=BB283_1055 Depth=1
	v_and_b32_e32 v8, 7, v162
	v_lshrrev_b32_e32 v20, 3, v161
	s_mov_b32 s15, exec_lo
	v_cmpx_gt_u32_e32 8, v161
; %bb.1321:                             ;   in Loop: Header=BB283_1055 Depth=1
	s_delay_alu instid0(VALU_DEP_3) | instskip(NEXT) | instid1(VALU_DEP_1)
	v_clz_i32_u32_e32 v20, v8
	v_min_u32_e32 v20, 32, v20
	s_delay_alu instid0(VALU_DEP_1) | instskip(SKIP_1) | instid1(VALU_DEP_2)
	v_subrev_nc_u32_e32 v21, 28, v20
	v_sub_nc_u32_e32 v20, 29, v20
	v_lshlrev_b64 v[163:164], v21, v[8:9]
	s_delay_alu instid0(VALU_DEP_1)
	v_and_b32_e32 v8, 7, v163
; %bb.1322:                             ;   in Loop: Header=BB283_1055 Depth=1
	s_or_b32 exec_lo, exec_lo, s15
	v_lshlrev_b32_e32 v21, 24, v162
	s_delay_alu instid0(VALU_DEP_2) | instskip(SKIP_1) | instid1(VALU_DEP_3)
	v_lshlrev_b32_e32 v8, 20, v8
	v_lshl_add_u32 v20, v20, 23, 0x3c000000
	v_and_b32_e32 v21, 0x80000000, v21
	s_delay_alu instid0(VALU_DEP_1)
	v_or3_b32 v21, v8, v21, v20
	v_mov_b32_e32 v20, v9
.LBB283_1323:                           ;   in Loop: Header=BB283_1055 Depth=1
	s_or_b32 exec_lo, exec_lo, s10
.LBB283_1324:                           ;   in Loop: Header=BB283_1055 Depth=1
	s_delay_alu instid0(SALU_CYCLE_1)
	s_or_b32 exec_lo, exec_lo, s13
.LBB283_1325:                           ;   in Loop: Header=BB283_1055 Depth=1
	s_delay_alu instid0(SALU_CYCLE_1) | instskip(SKIP_4) | instid1(VALU_DEP_3)
	s_or_b32 exec_lo, exec_lo, s12
	v_or_b32_e32 v5, v17, v5
	v_or_b32_e32 v4, v16, v4
	;; [unrolled: 1-line block ×4, first 2 shown]
	v_dual_mul_f32 v164, v96, v5 :: v_dual_mul_f32 v163, v82, v4
	s_delay_alu instid0(VALU_DEP_3) | instskip(NEXT) | instid1(VALU_DEP_3)
	v_mul_f32_e32 v161, v96, v8
	v_mul_f32_e32 v162, v82, v16
	s_and_saveexec_b32 s10, vcc_lo
; %bb.1326:                             ;   in Loop: Header=BB283_1055 Depth=1
	v_cmp_lt_i32_e64 s0, v102, v98
	s_delay_alu instid0(VALU_DEP_1) | instskip(SKIP_1) | instid1(VALU_DEP_1)
	v_cndmask_b32_e64 v163, 0, v163, s0
	v_cmp_lt_i32_e64 s0, v112, v98
	v_cndmask_b32_e64 v164, 0, v164, s0
	v_cmp_lt_i32_e64 s0, v103, v98
	s_delay_alu instid0(VALU_DEP_1) | instskip(SKIP_1) | instid1(VALU_DEP_1)
	v_cndmask_b32_e64 v162, 0, v162, s0
	v_cmp_lt_i32_e64 s0, v86, v98
	v_cndmask_b32_e64 v161, 0, v161, s0
; %bb.1327:                             ;   in Loop: Header=BB283_1055 Depth=1
	s_or_b32 exec_lo, exec_lo, s10
	flat_load_b32 v165, v[14:15] offset:1024
	v_mov_b32_e32 v16, 0
	v_mov_b32_e32 v17, 0
	s_mov_b32 s10, exec_lo
	s_waitcnt vmcnt(0) lgkmcnt(0)
	v_and_b32_e32 v8, 0xff, v165
	s_delay_alu instid0(VALU_DEP_2) | instskip(NEXT) | instid1(VALU_DEP_2)
	v_dual_mov_b32 v4, v16 :: v_dual_mov_b32 v5, v17
	v_cmpx_ne_u16_e32 0, v8
	s_cbranch_execz .LBB283_1335
; %bb.1328:                             ;   in Loop: Header=BB283_1055 Depth=1
	v_bfrev_b32_e32 v4, 1
	v_mov_b32_e32 v5, 0
	s_mov_b32 s12, exec_lo
	v_cmpx_ne_u16_e32 0x80, v8
	s_cbranch_execz .LBB283_1334
; %bb.1329:                             ;   in Loop: Header=BB283_1055 Depth=1
	v_mov_b32_e32 v4, 0x7f800001
	v_dual_mov_b32 v5, 0 :: v_dual_and_b32 v18, 0x7f, v165
	s_mov_b32 s13, exec_lo
	s_delay_alu instid0(VALU_DEP_1)
	v_cmpx_ne_u32_e32 0x7f, v18
	s_cbranch_execz .LBB283_1333
; %bb.1330:                             ;   in Loop: Header=BB283_1055 Depth=1
	v_and_b32_e32 v8, 7, v165
	v_lshrrev_b32_e32 v4, 3, v18
	s_mov_b32 s15, exec_lo
	v_cmpx_gt_u32_e32 8, v18
; %bb.1331:                             ;   in Loop: Header=BB283_1055 Depth=1
	s_delay_alu instid0(VALU_DEP_3) | instskip(NEXT) | instid1(VALU_DEP_1)
	v_clz_i32_u32_e32 v4, v8
	v_min_u32_e32 v4, 32, v4
	s_delay_alu instid0(VALU_DEP_1) | instskip(SKIP_1) | instid1(VALU_DEP_2)
	v_subrev_nc_u32_e32 v5, 28, v4
	v_sub_nc_u32_e32 v4, 29, v4
	v_lshlrev_b64 v[18:19], v5, v[8:9]
	s_delay_alu instid0(VALU_DEP_1)
	v_and_b32_e32 v8, 7, v18
; %bb.1332:                             ;   in Loop: Header=BB283_1055 Depth=1
	s_or_b32 exec_lo, exec_lo, s15
	v_lshlrev_b32_e32 v5, 24, v165
	s_delay_alu instid0(VALU_DEP_2) | instskip(SKIP_1) | instid1(VALU_DEP_3)
	v_lshlrev_b32_e32 v8, 20, v8
	v_lshl_add_u32 v4, v4, 23, 0x3c000000
	v_and_b32_e32 v5, 0x80000000, v5
	s_delay_alu instid0(VALU_DEP_1) | instskip(NEXT) | instid1(VALU_DEP_1)
	v_or3_b32 v8, v8, v5, v4
	v_dual_mov_b32 v4, v8 :: v_dual_mov_b32 v5, v9
.LBB283_1333:                           ;   in Loop: Header=BB283_1055 Depth=1
	s_or_b32 exec_lo, exec_lo, s13
.LBB283_1334:                           ;   in Loop: Header=BB283_1055 Depth=1
	s_delay_alu instid0(SALU_CYCLE_1)
	s_or_b32 exec_lo, exec_lo, s12
.LBB283_1335:                           ;   in Loop: Header=BB283_1055 Depth=1
	s_delay_alu instid0(SALU_CYCLE_1) | instskip(SKIP_2) | instid1(VALU_DEP_1)
	s_or_b32 exec_lo, exec_lo, s10
	v_lshrrev_b16 v8, 8, v165
	s_mov_b32 s12, exec_lo
	v_cmpx_ne_u16_e32 0, v8
	s_cbranch_execz .LBB283_1343
; %bb.1336:                             ;   in Loop: Header=BB283_1055 Depth=1
	v_dual_mov_b32 v17, s9 :: v_dual_mov_b32 v16, s8
	s_mov_b32 s13, exec_lo
	v_cmpx_ne_u16_e32 0x80, v8
	s_cbranch_execz .LBB283_1342
; %bb.1337:                             ;   in Loop: Header=BB283_1055 Depth=1
	s_mov_b32 s10, s8
	v_dual_mov_b32 v17, s11 :: v_dual_and_b32 v8, 0xffff, v8
	v_mov_b32_e32 v16, s10
	s_mov_b32 s10, exec_lo
	s_delay_alu instid0(VALU_DEP_2) | instskip(NEXT) | instid1(VALU_DEP_1)
	v_and_b32_e32 v18, 0x7f, v8
	v_cmpx_ne_u32_e32 0x7f, v18
	s_cbranch_execz .LBB283_1341
; %bb.1338:                             ;   in Loop: Header=BB283_1055 Depth=1
	v_and_b32_e32 v8, 7, v8
	v_lshrrev_b32_e32 v16, 3, v18
	s_mov_b32 s15, exec_lo
	v_cmpx_gt_u32_e32 8, v18
; %bb.1339:                             ;   in Loop: Header=BB283_1055 Depth=1
	s_delay_alu instid0(VALU_DEP_3) | instskip(NEXT) | instid1(VALU_DEP_1)
	v_clz_i32_u32_e32 v16, v8
	v_min_u32_e32 v16, 32, v16
	s_delay_alu instid0(VALU_DEP_1) | instskip(SKIP_1) | instid1(VALU_DEP_2)
	v_subrev_nc_u32_e32 v17, 28, v16
	v_sub_nc_u32_e32 v16, 29, v16
	v_lshlrev_b64 v[17:18], v17, v[8:9]
	s_delay_alu instid0(VALU_DEP_1)
	v_and_b32_e32 v8, 7, v17
; %bb.1340:                             ;   in Loop: Header=BB283_1055 Depth=1
	s_or_b32 exec_lo, exec_lo, s15
	v_lshlrev_b32_e32 v17, 16, v165
	s_delay_alu instid0(VALU_DEP_2) | instskip(SKIP_1) | instid1(VALU_DEP_3)
	v_lshlrev_b32_e32 v8, 20, v8
	v_lshl_add_u32 v16, v16, 23, 0x3c000000
	v_and_b32_e32 v17, 0x80000000, v17
	s_delay_alu instid0(VALU_DEP_1)
	v_or3_b32 v17, v8, v17, v16
	v_mov_b32_e32 v16, v9
.LBB283_1341:                           ;   in Loop: Header=BB283_1055 Depth=1
	s_or_b32 exec_lo, exec_lo, s10
.LBB283_1342:                           ;   in Loop: Header=BB283_1055 Depth=1
	s_delay_alu instid0(SALU_CYCLE_1)
	s_or_b32 exec_lo, exec_lo, s13
.LBB283_1343:                           ;   in Loop: Header=BB283_1055 Depth=1
	s_delay_alu instid0(SALU_CYCLE_1) | instskip(SKIP_4) | instid1(VALU_DEP_2)
	s_or_b32 exec_lo, exec_lo, s12
	v_mov_b32_e32 v20, 0
	v_lshrrev_b32_e32 v166, 16, v165
	v_mov_b32_e32 v21, 0
	s_mov_b32 s10, exec_lo
	v_and_b32_e32 v8, 0xff, v166
	s_delay_alu instid0(VALU_DEP_2) | instskip(NEXT) | instid1(VALU_DEP_2)
	v_dual_mov_b32 v18, v20 :: v_dual_mov_b32 v19, v21
	v_cmpx_ne_u16_e32 0, v8
	s_cbranch_execz .LBB283_1351
; %bb.1344:                             ;   in Loop: Header=BB283_1055 Depth=1
	v_bfrev_b32_e32 v18, 1
	v_mov_b32_e32 v19, 0
	s_mov_b32 s12, exec_lo
	v_cmpx_ne_u16_e32 0x80, v8
	s_cbranch_execz .LBB283_1350
; %bb.1345:                             ;   in Loop: Header=BB283_1055 Depth=1
	v_mov_b32_e32 v18, 0x7f800001
	v_bfe_u32 v167, v165, 16, 7
	v_mov_b32_e32 v19, 0
	s_mov_b32 s13, exec_lo
	s_delay_alu instid0(VALU_DEP_2)
	v_cmpx_ne_u32_e32 0x7f, v167
	s_cbranch_execz .LBB283_1349
; %bb.1346:                             ;   in Loop: Header=BB283_1055 Depth=1
	v_and_b32_e32 v8, 7, v166
	v_lshrrev_b32_e32 v18, 3, v167
	s_mov_b32 s15, exec_lo
	v_cmpx_gt_u32_e32 8, v167
; %bb.1347:                             ;   in Loop: Header=BB283_1055 Depth=1
	s_delay_alu instid0(VALU_DEP_3) | instskip(NEXT) | instid1(VALU_DEP_1)
	v_clz_i32_u32_e32 v18, v8
	v_min_u32_e32 v18, 32, v18
	s_delay_alu instid0(VALU_DEP_1) | instskip(SKIP_1) | instid1(VALU_DEP_2)
	v_subrev_nc_u32_e32 v19, 28, v18
	v_sub_nc_u32_e32 v18, 29, v18
	v_lshlrev_b64 v[176:177], v19, v[8:9]
	s_delay_alu instid0(VALU_DEP_1)
	v_and_b32_e32 v8, 7, v176
; %bb.1348:                             ;   in Loop: Header=BB283_1055 Depth=1
	s_or_b32 exec_lo, exec_lo, s15
	v_lshlrev_b32_e32 v19, 24, v166
	s_delay_alu instid0(VALU_DEP_2) | instskip(SKIP_1) | instid1(VALU_DEP_3)
	v_lshlrev_b32_e32 v8, 20, v8
	v_lshl_add_u32 v18, v18, 23, 0x3c000000
	v_and_b32_e32 v19, 0x80000000, v19
	s_delay_alu instid0(VALU_DEP_1) | instskip(NEXT) | instid1(VALU_DEP_1)
	v_or3_b32 v8, v8, v19, v18
	v_dual_mov_b32 v19, v9 :: v_dual_mov_b32 v18, v8
.LBB283_1349:                           ;   in Loop: Header=BB283_1055 Depth=1
	s_or_b32 exec_lo, exec_lo, s13
.LBB283_1350:                           ;   in Loop: Header=BB283_1055 Depth=1
	s_delay_alu instid0(SALU_CYCLE_1)
	s_or_b32 exec_lo, exec_lo, s12
.LBB283_1351:                           ;   in Loop: Header=BB283_1055 Depth=1
	s_delay_alu instid0(SALU_CYCLE_1) | instskip(NEXT) | instid1(SALU_CYCLE_1)
	s_or_b32 exec_lo, exec_lo, s10
	s_mov_b32 s12, exec_lo
	v_cmpx_lt_u32_e32 0xffffff, v165
	s_cbranch_execz .LBB283_1359
; %bb.1352:                             ;   in Loop: Header=BB283_1055 Depth=1
	v_lshrrev_b32_e32 v166, 24, v165
	v_dual_mov_b32 v21, s9 :: v_dual_mov_b32 v20, s8
	s_mov_b32 s13, exec_lo
	s_delay_alu instid0(VALU_DEP_2)
	v_cmpx_ne_u32_e32 0x80, v166
	s_cbranch_execz .LBB283_1358
; %bb.1353:                             ;   in Loop: Header=BB283_1055 Depth=1
	s_mov_b32 s10, s8
	v_bfe_u32 v165, v165, 24, 7
	v_dual_mov_b32 v21, s11 :: v_dual_mov_b32 v20, s10
	s_mov_b32 s10, exec_lo
	s_delay_alu instid0(VALU_DEP_2)
	v_cmpx_ne_u32_e32 0x7f, v165
	s_cbranch_execz .LBB283_1357
; %bb.1354:                             ;   in Loop: Header=BB283_1055 Depth=1
	v_and_b32_e32 v8, 7, v166
	v_lshrrev_b32_e32 v20, 3, v165
	s_mov_b32 s15, exec_lo
	v_cmpx_gt_u32_e32 8, v165
; %bb.1355:                             ;   in Loop: Header=BB283_1055 Depth=1
	s_delay_alu instid0(VALU_DEP_3) | instskip(NEXT) | instid1(VALU_DEP_1)
	v_clz_i32_u32_e32 v20, v8
	v_min_u32_e32 v20, 32, v20
	s_delay_alu instid0(VALU_DEP_1) | instskip(SKIP_1) | instid1(VALU_DEP_2)
	v_subrev_nc_u32_e32 v21, 28, v20
	v_sub_nc_u32_e32 v20, 29, v20
	v_lshlrev_b64 v[176:177], v21, v[8:9]
	s_delay_alu instid0(VALU_DEP_1)
	v_and_b32_e32 v8, 7, v176
; %bb.1356:                             ;   in Loop: Header=BB283_1055 Depth=1
	s_or_b32 exec_lo, exec_lo, s15
	v_lshlrev_b32_e32 v21, 24, v166
	s_delay_alu instid0(VALU_DEP_2) | instskip(SKIP_1) | instid1(VALU_DEP_3)
	v_lshlrev_b32_e32 v8, 20, v8
	v_lshl_add_u32 v20, v20, 23, 0x3c000000
	v_and_b32_e32 v21, 0x80000000, v21
	s_delay_alu instid0(VALU_DEP_1)
	v_or3_b32 v21, v8, v21, v20
	v_mov_b32_e32 v20, v9
.LBB283_1357:                           ;   in Loop: Header=BB283_1055 Depth=1
	s_or_b32 exec_lo, exec_lo, s10
.LBB283_1358:                           ;   in Loop: Header=BB283_1055 Depth=1
	s_delay_alu instid0(SALU_CYCLE_1)
	s_or_b32 exec_lo, exec_lo, s13
.LBB283_1359:                           ;   in Loop: Header=BB283_1055 Depth=1
	s_delay_alu instid0(SALU_CYCLE_1) | instskip(SKIP_4) | instid1(VALU_DEP_3)
	s_or_b32 exec_lo, exec_lo, s12
	v_or_b32_e32 v5, v17, v5
	v_or_b32_e32 v4, v16, v4
	;; [unrolled: 1-line block ×4, first 2 shown]
	v_dual_mul_f32 v176, v96, v5 :: v_dual_mul_f32 v167, v82, v4
	s_delay_alu instid0(VALU_DEP_3) | instskip(NEXT) | instid1(VALU_DEP_3)
	v_mul_f32_e32 v165, v96, v8
	v_mul_f32_e32 v166, v82, v16
	s_and_saveexec_b32 s10, vcc_lo
; %bb.1360:                             ;   in Loop: Header=BB283_1055 Depth=1
	v_cmp_lt_i32_e64 s0, v102, v98
	s_delay_alu instid0(VALU_DEP_1) | instskip(SKIP_1) | instid1(VALU_DEP_1)
	v_cndmask_b32_e64 v167, 0, v167, s0
	v_cmp_lt_i32_e64 s0, v112, v98
	v_cndmask_b32_e64 v176, 0, v176, s0
	v_cmp_lt_i32_e64 s0, v103, v98
	s_delay_alu instid0(VALU_DEP_1) | instskip(SKIP_1) | instid1(VALU_DEP_1)
	v_cndmask_b32_e64 v166, 0, v166, s0
	v_cmp_lt_i32_e64 s0, v86, v98
	v_cndmask_b32_e64 v165, 0, v165, s0
; %bb.1361:                             ;   in Loop: Header=BB283_1055 Depth=1
	s_or_b32 exec_lo, exec_lo, s10
	flat_load_b32 v177, v[14:15] offset:1152
	v_mov_b32_e32 v16, 0
	v_mov_b32_e32 v17, 0
	s_mov_b32 s10, exec_lo
	s_waitcnt vmcnt(0) lgkmcnt(0)
	v_and_b32_e32 v8, 0xff, v177
	s_delay_alu instid0(VALU_DEP_2) | instskip(NEXT) | instid1(VALU_DEP_2)
	v_dual_mov_b32 v4, v16 :: v_dual_mov_b32 v5, v17
	v_cmpx_ne_u16_e32 0, v8
	s_cbranch_execz .LBB283_1369
; %bb.1362:                             ;   in Loop: Header=BB283_1055 Depth=1
	v_bfrev_b32_e32 v4, 1
	v_mov_b32_e32 v5, 0
	s_mov_b32 s12, exec_lo
	v_cmpx_ne_u16_e32 0x80, v8
	s_cbranch_execz .LBB283_1368
; %bb.1363:                             ;   in Loop: Header=BB283_1055 Depth=1
	v_mov_b32_e32 v4, 0x7f800001
	v_dual_mov_b32 v5, 0 :: v_dual_and_b32 v18, 0x7f, v177
	s_mov_b32 s13, exec_lo
	s_delay_alu instid0(VALU_DEP_1)
	v_cmpx_ne_u32_e32 0x7f, v18
	s_cbranch_execz .LBB283_1367
; %bb.1364:                             ;   in Loop: Header=BB283_1055 Depth=1
	v_and_b32_e32 v8, 7, v177
	v_lshrrev_b32_e32 v4, 3, v18
	s_mov_b32 s15, exec_lo
	v_cmpx_gt_u32_e32 8, v18
; %bb.1365:                             ;   in Loop: Header=BB283_1055 Depth=1
	s_delay_alu instid0(VALU_DEP_3) | instskip(NEXT) | instid1(VALU_DEP_1)
	v_clz_i32_u32_e32 v4, v8
	v_min_u32_e32 v4, 32, v4
	s_delay_alu instid0(VALU_DEP_1) | instskip(SKIP_1) | instid1(VALU_DEP_2)
	v_subrev_nc_u32_e32 v5, 28, v4
	v_sub_nc_u32_e32 v4, 29, v4
	v_lshlrev_b64 v[18:19], v5, v[8:9]
	s_delay_alu instid0(VALU_DEP_1)
	v_and_b32_e32 v8, 7, v18
; %bb.1366:                             ;   in Loop: Header=BB283_1055 Depth=1
	s_or_b32 exec_lo, exec_lo, s15
	v_lshlrev_b32_e32 v5, 24, v177
	s_delay_alu instid0(VALU_DEP_2) | instskip(SKIP_1) | instid1(VALU_DEP_3)
	v_lshlrev_b32_e32 v8, 20, v8
	v_lshl_add_u32 v4, v4, 23, 0x3c000000
	v_and_b32_e32 v5, 0x80000000, v5
	s_delay_alu instid0(VALU_DEP_1) | instskip(NEXT) | instid1(VALU_DEP_1)
	v_or3_b32 v8, v8, v5, v4
	v_dual_mov_b32 v4, v8 :: v_dual_mov_b32 v5, v9
.LBB283_1367:                           ;   in Loop: Header=BB283_1055 Depth=1
	s_or_b32 exec_lo, exec_lo, s13
.LBB283_1368:                           ;   in Loop: Header=BB283_1055 Depth=1
	s_delay_alu instid0(SALU_CYCLE_1)
	s_or_b32 exec_lo, exec_lo, s12
.LBB283_1369:                           ;   in Loop: Header=BB283_1055 Depth=1
	s_delay_alu instid0(SALU_CYCLE_1) | instskip(SKIP_2) | instid1(VALU_DEP_1)
	s_or_b32 exec_lo, exec_lo, s10
	v_lshrrev_b16 v8, 8, v177
	s_mov_b32 s12, exec_lo
	v_cmpx_ne_u16_e32 0, v8
	s_cbranch_execz .LBB283_1377
; %bb.1370:                             ;   in Loop: Header=BB283_1055 Depth=1
	v_dual_mov_b32 v17, s9 :: v_dual_mov_b32 v16, s8
	s_mov_b32 s13, exec_lo
	v_cmpx_ne_u16_e32 0x80, v8
	s_cbranch_execz .LBB283_1376
; %bb.1371:                             ;   in Loop: Header=BB283_1055 Depth=1
	s_mov_b32 s10, s8
	v_dual_mov_b32 v17, s11 :: v_dual_and_b32 v8, 0xffff, v8
	v_mov_b32_e32 v16, s10
	s_mov_b32 s10, exec_lo
	s_delay_alu instid0(VALU_DEP_2) | instskip(NEXT) | instid1(VALU_DEP_1)
	v_and_b32_e32 v18, 0x7f, v8
	v_cmpx_ne_u32_e32 0x7f, v18
	s_cbranch_execz .LBB283_1375
; %bb.1372:                             ;   in Loop: Header=BB283_1055 Depth=1
	v_and_b32_e32 v8, 7, v8
	v_lshrrev_b32_e32 v16, 3, v18
	s_mov_b32 s15, exec_lo
	v_cmpx_gt_u32_e32 8, v18
; %bb.1373:                             ;   in Loop: Header=BB283_1055 Depth=1
	s_delay_alu instid0(VALU_DEP_3) | instskip(NEXT) | instid1(VALU_DEP_1)
	v_clz_i32_u32_e32 v16, v8
	v_min_u32_e32 v16, 32, v16
	s_delay_alu instid0(VALU_DEP_1) | instskip(SKIP_1) | instid1(VALU_DEP_2)
	v_subrev_nc_u32_e32 v17, 28, v16
	v_sub_nc_u32_e32 v16, 29, v16
	v_lshlrev_b64 v[17:18], v17, v[8:9]
	s_delay_alu instid0(VALU_DEP_1)
	v_and_b32_e32 v8, 7, v17
; %bb.1374:                             ;   in Loop: Header=BB283_1055 Depth=1
	s_or_b32 exec_lo, exec_lo, s15
	v_lshlrev_b32_e32 v17, 16, v177
	s_delay_alu instid0(VALU_DEP_2) | instskip(SKIP_1) | instid1(VALU_DEP_3)
	v_lshlrev_b32_e32 v8, 20, v8
	v_lshl_add_u32 v16, v16, 23, 0x3c000000
	v_and_b32_e32 v17, 0x80000000, v17
	s_delay_alu instid0(VALU_DEP_1)
	v_or3_b32 v17, v8, v17, v16
	v_mov_b32_e32 v16, v9
.LBB283_1375:                           ;   in Loop: Header=BB283_1055 Depth=1
	s_or_b32 exec_lo, exec_lo, s10
.LBB283_1376:                           ;   in Loop: Header=BB283_1055 Depth=1
	s_delay_alu instid0(SALU_CYCLE_1)
	s_or_b32 exec_lo, exec_lo, s13
.LBB283_1377:                           ;   in Loop: Header=BB283_1055 Depth=1
	s_delay_alu instid0(SALU_CYCLE_1) | instskip(SKIP_4) | instid1(VALU_DEP_2)
	s_or_b32 exec_lo, exec_lo, s12
	v_mov_b32_e32 v20, 0
	v_lshrrev_b32_e32 v178, 16, v177
	v_mov_b32_e32 v21, 0
	s_mov_b32 s10, exec_lo
	v_and_b32_e32 v8, 0xff, v178
	s_delay_alu instid0(VALU_DEP_2) | instskip(NEXT) | instid1(VALU_DEP_2)
	v_dual_mov_b32 v18, v20 :: v_dual_mov_b32 v19, v21
	v_cmpx_ne_u16_e32 0, v8
	s_cbranch_execz .LBB283_1385
; %bb.1378:                             ;   in Loop: Header=BB283_1055 Depth=1
	v_bfrev_b32_e32 v18, 1
	v_mov_b32_e32 v19, 0
	s_mov_b32 s12, exec_lo
	v_cmpx_ne_u16_e32 0x80, v8
	s_cbranch_execz .LBB283_1384
; %bb.1379:                             ;   in Loop: Header=BB283_1055 Depth=1
	v_mov_b32_e32 v18, 0x7f800001
	v_bfe_u32 v179, v177, 16, 7
	v_mov_b32_e32 v19, 0
	s_mov_b32 s13, exec_lo
	s_delay_alu instid0(VALU_DEP_2)
	v_cmpx_ne_u32_e32 0x7f, v179
	s_cbranch_execz .LBB283_1383
; %bb.1380:                             ;   in Loop: Header=BB283_1055 Depth=1
	v_and_b32_e32 v8, 7, v178
	v_lshrrev_b32_e32 v18, 3, v179
	s_mov_b32 s15, exec_lo
	v_cmpx_gt_u32_e32 8, v179
; %bb.1381:                             ;   in Loop: Header=BB283_1055 Depth=1
	s_delay_alu instid0(VALU_DEP_3) | instskip(NEXT) | instid1(VALU_DEP_1)
	v_clz_i32_u32_e32 v18, v8
	v_min_u32_e32 v18, 32, v18
	s_delay_alu instid0(VALU_DEP_1) | instskip(SKIP_1) | instid1(VALU_DEP_2)
	v_subrev_nc_u32_e32 v19, 28, v18
	v_sub_nc_u32_e32 v18, 29, v18
	v_lshlrev_b64 v[179:180], v19, v[8:9]
	s_delay_alu instid0(VALU_DEP_1)
	v_and_b32_e32 v8, 7, v179
; %bb.1382:                             ;   in Loop: Header=BB283_1055 Depth=1
	s_or_b32 exec_lo, exec_lo, s15
	v_lshlrev_b32_e32 v19, 24, v178
	s_delay_alu instid0(VALU_DEP_2) | instskip(SKIP_1) | instid1(VALU_DEP_3)
	v_lshlrev_b32_e32 v8, 20, v8
	v_lshl_add_u32 v18, v18, 23, 0x3c000000
	v_and_b32_e32 v19, 0x80000000, v19
	s_delay_alu instid0(VALU_DEP_1) | instskip(NEXT) | instid1(VALU_DEP_1)
	v_or3_b32 v8, v8, v19, v18
	v_dual_mov_b32 v19, v9 :: v_dual_mov_b32 v18, v8
.LBB283_1383:                           ;   in Loop: Header=BB283_1055 Depth=1
	s_or_b32 exec_lo, exec_lo, s13
.LBB283_1384:                           ;   in Loop: Header=BB283_1055 Depth=1
	s_delay_alu instid0(SALU_CYCLE_1)
	s_or_b32 exec_lo, exec_lo, s12
.LBB283_1385:                           ;   in Loop: Header=BB283_1055 Depth=1
	s_delay_alu instid0(SALU_CYCLE_1) | instskip(NEXT) | instid1(SALU_CYCLE_1)
	s_or_b32 exec_lo, exec_lo, s10
	s_mov_b32 s12, exec_lo
	v_cmpx_lt_u32_e32 0xffffff, v177
	s_cbranch_execz .LBB283_1393
; %bb.1386:                             ;   in Loop: Header=BB283_1055 Depth=1
	v_lshrrev_b32_e32 v178, 24, v177
	v_dual_mov_b32 v21, s9 :: v_dual_mov_b32 v20, s8
	s_mov_b32 s13, exec_lo
	s_delay_alu instid0(VALU_DEP_2)
	v_cmpx_ne_u32_e32 0x80, v178
	s_cbranch_execz .LBB283_1392
; %bb.1387:                             ;   in Loop: Header=BB283_1055 Depth=1
	s_mov_b32 s10, s8
	v_bfe_u32 v177, v177, 24, 7
	v_dual_mov_b32 v21, s11 :: v_dual_mov_b32 v20, s10
	s_mov_b32 s10, exec_lo
	s_delay_alu instid0(VALU_DEP_2)
	v_cmpx_ne_u32_e32 0x7f, v177
	s_cbranch_execz .LBB283_1391
; %bb.1388:                             ;   in Loop: Header=BB283_1055 Depth=1
	v_and_b32_e32 v8, 7, v178
	v_lshrrev_b32_e32 v20, 3, v177
	s_mov_b32 s15, exec_lo
	v_cmpx_gt_u32_e32 8, v177
; %bb.1389:                             ;   in Loop: Header=BB283_1055 Depth=1
	s_delay_alu instid0(VALU_DEP_3) | instskip(NEXT) | instid1(VALU_DEP_1)
	v_clz_i32_u32_e32 v20, v8
	v_min_u32_e32 v20, 32, v20
	s_delay_alu instid0(VALU_DEP_1) | instskip(SKIP_1) | instid1(VALU_DEP_2)
	v_subrev_nc_u32_e32 v21, 28, v20
	v_sub_nc_u32_e32 v20, 29, v20
	v_lshlrev_b64 v[179:180], v21, v[8:9]
	s_delay_alu instid0(VALU_DEP_1)
	v_and_b32_e32 v8, 7, v179
; %bb.1390:                             ;   in Loop: Header=BB283_1055 Depth=1
	s_or_b32 exec_lo, exec_lo, s15
	v_lshlrev_b32_e32 v21, 24, v178
	s_delay_alu instid0(VALU_DEP_2) | instskip(SKIP_1) | instid1(VALU_DEP_3)
	v_lshlrev_b32_e32 v8, 20, v8
	v_lshl_add_u32 v20, v20, 23, 0x3c000000
	v_and_b32_e32 v21, 0x80000000, v21
	s_delay_alu instid0(VALU_DEP_1)
	v_or3_b32 v21, v8, v21, v20
	v_mov_b32_e32 v20, v9
.LBB283_1391:                           ;   in Loop: Header=BB283_1055 Depth=1
	s_or_b32 exec_lo, exec_lo, s10
.LBB283_1392:                           ;   in Loop: Header=BB283_1055 Depth=1
	s_delay_alu instid0(SALU_CYCLE_1)
	s_or_b32 exec_lo, exec_lo, s13
.LBB283_1393:                           ;   in Loop: Header=BB283_1055 Depth=1
	s_delay_alu instid0(SALU_CYCLE_1) | instskip(SKIP_4) | instid1(VALU_DEP_3)
	s_or_b32 exec_lo, exec_lo, s12
	v_or_b32_e32 v5, v17, v5
	v_or_b32_e32 v4, v16, v4
	;; [unrolled: 1-line block ×4, first 2 shown]
	v_dual_mul_f32 v180, v96, v5 :: v_dual_mul_f32 v179, v82, v4
	s_delay_alu instid0(VALU_DEP_3) | instskip(NEXT) | instid1(VALU_DEP_3)
	v_mul_f32_e32 v177, v96, v8
	v_mul_f32_e32 v178, v82, v16
	s_and_saveexec_b32 s10, vcc_lo
; %bb.1394:                             ;   in Loop: Header=BB283_1055 Depth=1
	v_cmp_lt_i32_e64 s0, v102, v98
	s_delay_alu instid0(VALU_DEP_1) | instskip(SKIP_1) | instid1(VALU_DEP_1)
	v_cndmask_b32_e64 v179, 0, v179, s0
	v_cmp_lt_i32_e64 s0, v112, v98
	v_cndmask_b32_e64 v180, 0, v180, s0
	v_cmp_lt_i32_e64 s0, v103, v98
	s_delay_alu instid0(VALU_DEP_1) | instskip(SKIP_1) | instid1(VALU_DEP_1)
	v_cndmask_b32_e64 v178, 0, v178, s0
	v_cmp_lt_i32_e64 s0, v86, v98
	v_cndmask_b32_e64 v177, 0, v177, s0
; %bb.1395:                             ;   in Loop: Header=BB283_1055 Depth=1
	s_or_b32 exec_lo, exec_lo, s10
	flat_load_b32 v181, v[14:15] offset:1280
	v_mov_b32_e32 v16, 0
	v_mov_b32_e32 v17, 0
	s_mov_b32 s10, exec_lo
	s_waitcnt vmcnt(0) lgkmcnt(0)
	v_and_b32_e32 v8, 0xff, v181
	s_delay_alu instid0(VALU_DEP_2) | instskip(NEXT) | instid1(VALU_DEP_2)
	v_dual_mov_b32 v4, v16 :: v_dual_mov_b32 v5, v17
	v_cmpx_ne_u16_e32 0, v8
	s_cbranch_execz .LBB283_1403
; %bb.1396:                             ;   in Loop: Header=BB283_1055 Depth=1
	v_bfrev_b32_e32 v4, 1
	v_mov_b32_e32 v5, 0
	s_mov_b32 s12, exec_lo
	v_cmpx_ne_u16_e32 0x80, v8
	s_cbranch_execz .LBB283_1402
; %bb.1397:                             ;   in Loop: Header=BB283_1055 Depth=1
	v_mov_b32_e32 v4, 0x7f800001
	v_dual_mov_b32 v5, 0 :: v_dual_and_b32 v18, 0x7f, v181
	s_mov_b32 s13, exec_lo
	s_delay_alu instid0(VALU_DEP_1)
	v_cmpx_ne_u32_e32 0x7f, v18
	s_cbranch_execz .LBB283_1401
; %bb.1398:                             ;   in Loop: Header=BB283_1055 Depth=1
	v_and_b32_e32 v8, 7, v181
	v_lshrrev_b32_e32 v4, 3, v18
	s_mov_b32 s15, exec_lo
	v_cmpx_gt_u32_e32 8, v18
; %bb.1399:                             ;   in Loop: Header=BB283_1055 Depth=1
	s_delay_alu instid0(VALU_DEP_3) | instskip(NEXT) | instid1(VALU_DEP_1)
	v_clz_i32_u32_e32 v4, v8
	v_min_u32_e32 v4, 32, v4
	s_delay_alu instid0(VALU_DEP_1) | instskip(SKIP_1) | instid1(VALU_DEP_2)
	v_subrev_nc_u32_e32 v5, 28, v4
	v_sub_nc_u32_e32 v4, 29, v4
	v_lshlrev_b64 v[18:19], v5, v[8:9]
	s_delay_alu instid0(VALU_DEP_1)
	v_and_b32_e32 v8, 7, v18
; %bb.1400:                             ;   in Loop: Header=BB283_1055 Depth=1
	s_or_b32 exec_lo, exec_lo, s15
	v_lshlrev_b32_e32 v5, 24, v181
	s_delay_alu instid0(VALU_DEP_2) | instskip(SKIP_1) | instid1(VALU_DEP_3)
	v_lshlrev_b32_e32 v8, 20, v8
	v_lshl_add_u32 v4, v4, 23, 0x3c000000
	v_and_b32_e32 v5, 0x80000000, v5
	s_delay_alu instid0(VALU_DEP_1) | instskip(NEXT) | instid1(VALU_DEP_1)
	v_or3_b32 v8, v8, v5, v4
	v_dual_mov_b32 v4, v8 :: v_dual_mov_b32 v5, v9
.LBB283_1401:                           ;   in Loop: Header=BB283_1055 Depth=1
	s_or_b32 exec_lo, exec_lo, s13
.LBB283_1402:                           ;   in Loop: Header=BB283_1055 Depth=1
	s_delay_alu instid0(SALU_CYCLE_1)
	s_or_b32 exec_lo, exec_lo, s12
.LBB283_1403:                           ;   in Loop: Header=BB283_1055 Depth=1
	s_delay_alu instid0(SALU_CYCLE_1) | instskip(SKIP_2) | instid1(VALU_DEP_1)
	s_or_b32 exec_lo, exec_lo, s10
	v_lshrrev_b16 v8, 8, v181
	s_mov_b32 s12, exec_lo
	v_cmpx_ne_u16_e32 0, v8
	s_cbranch_execz .LBB283_1411
; %bb.1404:                             ;   in Loop: Header=BB283_1055 Depth=1
	v_dual_mov_b32 v17, s9 :: v_dual_mov_b32 v16, s8
	s_mov_b32 s13, exec_lo
	v_cmpx_ne_u16_e32 0x80, v8
	s_cbranch_execz .LBB283_1410
; %bb.1405:                             ;   in Loop: Header=BB283_1055 Depth=1
	s_mov_b32 s10, s8
	v_dual_mov_b32 v17, s11 :: v_dual_and_b32 v8, 0xffff, v8
	v_mov_b32_e32 v16, s10
	s_mov_b32 s10, exec_lo
	s_delay_alu instid0(VALU_DEP_2) | instskip(NEXT) | instid1(VALU_DEP_1)
	v_and_b32_e32 v18, 0x7f, v8
	v_cmpx_ne_u32_e32 0x7f, v18
	s_cbranch_execz .LBB283_1409
; %bb.1406:                             ;   in Loop: Header=BB283_1055 Depth=1
	v_and_b32_e32 v8, 7, v8
	v_lshrrev_b32_e32 v16, 3, v18
	s_mov_b32 s15, exec_lo
	v_cmpx_gt_u32_e32 8, v18
; %bb.1407:                             ;   in Loop: Header=BB283_1055 Depth=1
	s_delay_alu instid0(VALU_DEP_3) | instskip(NEXT) | instid1(VALU_DEP_1)
	v_clz_i32_u32_e32 v16, v8
	v_min_u32_e32 v16, 32, v16
	s_delay_alu instid0(VALU_DEP_1) | instskip(SKIP_1) | instid1(VALU_DEP_2)
	v_subrev_nc_u32_e32 v17, 28, v16
	v_sub_nc_u32_e32 v16, 29, v16
	v_lshlrev_b64 v[17:18], v17, v[8:9]
	s_delay_alu instid0(VALU_DEP_1)
	v_and_b32_e32 v8, 7, v17
; %bb.1408:                             ;   in Loop: Header=BB283_1055 Depth=1
	s_or_b32 exec_lo, exec_lo, s15
	v_lshlrev_b32_e32 v17, 16, v181
	s_delay_alu instid0(VALU_DEP_2) | instskip(SKIP_1) | instid1(VALU_DEP_3)
	v_lshlrev_b32_e32 v8, 20, v8
	v_lshl_add_u32 v16, v16, 23, 0x3c000000
	v_and_b32_e32 v17, 0x80000000, v17
	s_delay_alu instid0(VALU_DEP_1)
	v_or3_b32 v17, v8, v17, v16
	v_mov_b32_e32 v16, v9
.LBB283_1409:                           ;   in Loop: Header=BB283_1055 Depth=1
	s_or_b32 exec_lo, exec_lo, s10
.LBB283_1410:                           ;   in Loop: Header=BB283_1055 Depth=1
	s_delay_alu instid0(SALU_CYCLE_1)
	s_or_b32 exec_lo, exec_lo, s13
.LBB283_1411:                           ;   in Loop: Header=BB283_1055 Depth=1
	s_delay_alu instid0(SALU_CYCLE_1) | instskip(SKIP_4) | instid1(VALU_DEP_2)
	s_or_b32 exec_lo, exec_lo, s12
	v_mov_b32_e32 v20, 0
	v_lshrrev_b32_e32 v182, 16, v181
	v_mov_b32_e32 v21, 0
	s_mov_b32 s10, exec_lo
	v_and_b32_e32 v8, 0xff, v182
	s_delay_alu instid0(VALU_DEP_2) | instskip(NEXT) | instid1(VALU_DEP_2)
	v_dual_mov_b32 v18, v20 :: v_dual_mov_b32 v19, v21
	v_cmpx_ne_u16_e32 0, v8
	s_cbranch_execz .LBB283_1419
; %bb.1412:                             ;   in Loop: Header=BB283_1055 Depth=1
	v_bfrev_b32_e32 v18, 1
	v_mov_b32_e32 v19, 0
	s_mov_b32 s12, exec_lo
	v_cmpx_ne_u16_e32 0x80, v8
	s_cbranch_execz .LBB283_1418
; %bb.1413:                             ;   in Loop: Header=BB283_1055 Depth=1
	v_mov_b32_e32 v18, 0x7f800001
	v_bfe_u32 v183, v181, 16, 7
	v_mov_b32_e32 v19, 0
	s_mov_b32 s13, exec_lo
	s_delay_alu instid0(VALU_DEP_2)
	v_cmpx_ne_u32_e32 0x7f, v183
	s_cbranch_execz .LBB283_1417
; %bb.1414:                             ;   in Loop: Header=BB283_1055 Depth=1
	v_and_b32_e32 v8, 7, v182
	v_lshrrev_b32_e32 v18, 3, v183
	s_mov_b32 s15, exec_lo
	v_cmpx_gt_u32_e32 8, v183
; %bb.1415:                             ;   in Loop: Header=BB283_1055 Depth=1
	s_delay_alu instid0(VALU_DEP_3) | instskip(NEXT) | instid1(VALU_DEP_1)
	v_clz_i32_u32_e32 v18, v8
	v_min_u32_e32 v18, 32, v18
	s_delay_alu instid0(VALU_DEP_1) | instskip(SKIP_1) | instid1(VALU_DEP_2)
	v_subrev_nc_u32_e32 v19, 28, v18
	v_sub_nc_u32_e32 v18, 29, v18
	v_lshlrev_b64 v[40:41], v19, v[8:9]
	s_delay_alu instid0(VALU_DEP_1)
	v_and_b32_e32 v8, 7, v40
; %bb.1416:                             ;   in Loop: Header=BB283_1055 Depth=1
	s_or_b32 exec_lo, exec_lo, s15
	v_lshlrev_b32_e32 v19, 24, v182
	s_delay_alu instid0(VALU_DEP_2) | instskip(SKIP_1) | instid1(VALU_DEP_3)
	v_lshlrev_b32_e32 v8, 20, v8
	v_lshl_add_u32 v18, v18, 23, 0x3c000000
	v_and_b32_e32 v19, 0x80000000, v19
	s_delay_alu instid0(VALU_DEP_1) | instskip(NEXT) | instid1(VALU_DEP_1)
	v_or3_b32 v8, v8, v19, v18
	v_dual_mov_b32 v19, v9 :: v_dual_mov_b32 v18, v8
.LBB283_1417:                           ;   in Loop: Header=BB283_1055 Depth=1
	s_or_b32 exec_lo, exec_lo, s13
.LBB283_1418:                           ;   in Loop: Header=BB283_1055 Depth=1
	s_delay_alu instid0(SALU_CYCLE_1)
	s_or_b32 exec_lo, exec_lo, s12
.LBB283_1419:                           ;   in Loop: Header=BB283_1055 Depth=1
	s_delay_alu instid0(SALU_CYCLE_1) | instskip(NEXT) | instid1(SALU_CYCLE_1)
	s_or_b32 exec_lo, exec_lo, s10
	s_mov_b32 s12, exec_lo
	v_cmpx_lt_u32_e32 0xffffff, v181
	s_cbranch_execz .LBB283_1427
; %bb.1420:                             ;   in Loop: Header=BB283_1055 Depth=1
	v_lshrrev_b32_e32 v182, 24, v181
	v_dual_mov_b32 v21, s9 :: v_dual_mov_b32 v20, s8
	s_mov_b32 s13, exec_lo
	s_delay_alu instid0(VALU_DEP_2)
	v_cmpx_ne_u32_e32 0x80, v182
	s_cbranch_execz .LBB283_1426
; %bb.1421:                             ;   in Loop: Header=BB283_1055 Depth=1
	s_mov_b32 s10, s8
	v_bfe_u32 v181, v181, 24, 7
	v_dual_mov_b32 v21, s11 :: v_dual_mov_b32 v20, s10
	s_mov_b32 s10, exec_lo
	s_delay_alu instid0(VALU_DEP_2)
	v_cmpx_ne_u32_e32 0x7f, v181
	s_cbranch_execz .LBB283_1425
; %bb.1422:                             ;   in Loop: Header=BB283_1055 Depth=1
	v_and_b32_e32 v8, 7, v182
	v_lshrrev_b32_e32 v20, 3, v181
	s_mov_b32 s15, exec_lo
	v_cmpx_gt_u32_e32 8, v181
; %bb.1423:                             ;   in Loop: Header=BB283_1055 Depth=1
	s_delay_alu instid0(VALU_DEP_3) | instskip(NEXT) | instid1(VALU_DEP_1)
	v_clz_i32_u32_e32 v20, v8
	v_min_u32_e32 v20, 32, v20
	s_delay_alu instid0(VALU_DEP_1) | instskip(SKIP_1) | instid1(VALU_DEP_2)
	v_subrev_nc_u32_e32 v21, 28, v20
	v_sub_nc_u32_e32 v20, 29, v20
	v_lshlrev_b64 v[40:41], v21, v[8:9]
	s_delay_alu instid0(VALU_DEP_1)
	v_and_b32_e32 v8, 7, v40
; %bb.1424:                             ;   in Loop: Header=BB283_1055 Depth=1
	s_or_b32 exec_lo, exec_lo, s15
	v_lshlrev_b32_e32 v21, 24, v182
	s_delay_alu instid0(VALU_DEP_2) | instskip(SKIP_1) | instid1(VALU_DEP_3)
	v_lshlrev_b32_e32 v8, 20, v8
	v_lshl_add_u32 v20, v20, 23, 0x3c000000
	v_and_b32_e32 v21, 0x80000000, v21
	s_delay_alu instid0(VALU_DEP_1)
	v_or3_b32 v21, v8, v21, v20
	v_mov_b32_e32 v20, v9
.LBB283_1425:                           ;   in Loop: Header=BB283_1055 Depth=1
	s_or_b32 exec_lo, exec_lo, s10
.LBB283_1426:                           ;   in Loop: Header=BB283_1055 Depth=1
	s_delay_alu instid0(SALU_CYCLE_1)
	s_or_b32 exec_lo, exec_lo, s13
.LBB283_1427:                           ;   in Loop: Header=BB283_1055 Depth=1
	s_delay_alu instid0(SALU_CYCLE_1) | instskip(SKIP_4) | instid1(VALU_DEP_3)
	s_or_b32 exec_lo, exec_lo, s12
	v_or_b32_e32 v5, v17, v5
	v_or_b32_e32 v4, v16, v4
	;; [unrolled: 1-line block ×4, first 2 shown]
	v_dual_mul_f32 v40, v96, v5 :: v_dual_mul_f32 v183, v82, v4
	s_delay_alu instid0(VALU_DEP_3) | instskip(NEXT) | instid1(VALU_DEP_3)
	v_mul_f32_e32 v181, v96, v8
	v_mul_f32_e32 v182, v82, v16
	s_and_saveexec_b32 s10, vcc_lo
; %bb.1428:                             ;   in Loop: Header=BB283_1055 Depth=1
	v_cmp_lt_i32_e64 s0, v102, v98
	s_delay_alu instid0(VALU_DEP_1) | instskip(SKIP_1) | instid1(VALU_DEP_1)
	v_cndmask_b32_e64 v183, 0, v183, s0
	v_cmp_lt_i32_e64 s0, v112, v98
	v_cndmask_b32_e64 v40, 0, v40, s0
	v_cmp_lt_i32_e64 s0, v103, v98
	s_delay_alu instid0(VALU_DEP_1) | instskip(SKIP_1) | instid1(VALU_DEP_1)
	v_cndmask_b32_e64 v182, 0, v182, s0
	v_cmp_lt_i32_e64 s0, v86, v98
	v_cndmask_b32_e64 v181, 0, v181, s0
; %bb.1429:                             ;   in Loop: Header=BB283_1055 Depth=1
	s_or_b32 exec_lo, exec_lo, s10
	flat_load_b32 v41, v[14:15] offset:1408
	v_mov_b32_e32 v16, 0
	v_mov_b32_e32 v17, 0
	s_mov_b32 s10, exec_lo
	s_waitcnt vmcnt(0) lgkmcnt(0)
	v_and_b32_e32 v8, 0xff, v41
	s_delay_alu instid0(VALU_DEP_2) | instskip(NEXT) | instid1(VALU_DEP_2)
	v_dual_mov_b32 v4, v16 :: v_dual_mov_b32 v5, v17
	v_cmpx_ne_u16_e32 0, v8
	s_cbranch_execz .LBB283_1437
; %bb.1430:                             ;   in Loop: Header=BB283_1055 Depth=1
	v_bfrev_b32_e32 v4, 1
	v_mov_b32_e32 v5, 0
	s_mov_b32 s12, exec_lo
	v_cmpx_ne_u16_e32 0x80, v8
	s_cbranch_execz .LBB283_1436
; %bb.1431:                             ;   in Loop: Header=BB283_1055 Depth=1
	v_mov_b32_e32 v4, 0x7f800001
	v_dual_mov_b32 v5, 0 :: v_dual_and_b32 v18, 0x7f, v41
	s_mov_b32 s13, exec_lo
	s_delay_alu instid0(VALU_DEP_1)
	v_cmpx_ne_u32_e32 0x7f, v18
	s_cbranch_execz .LBB283_1435
; %bb.1432:                             ;   in Loop: Header=BB283_1055 Depth=1
	v_and_b32_e32 v8, 7, v41
	v_lshrrev_b32_e32 v4, 3, v18
	s_mov_b32 s15, exec_lo
	v_cmpx_gt_u32_e32 8, v18
; %bb.1433:                             ;   in Loop: Header=BB283_1055 Depth=1
	s_delay_alu instid0(VALU_DEP_3) | instskip(NEXT) | instid1(VALU_DEP_1)
	v_clz_i32_u32_e32 v4, v8
	v_min_u32_e32 v4, 32, v4
	s_delay_alu instid0(VALU_DEP_1) | instskip(SKIP_1) | instid1(VALU_DEP_2)
	v_subrev_nc_u32_e32 v5, 28, v4
	v_sub_nc_u32_e32 v4, 29, v4
	v_lshlrev_b64 v[18:19], v5, v[8:9]
	s_delay_alu instid0(VALU_DEP_1)
	v_and_b32_e32 v8, 7, v18
; %bb.1434:                             ;   in Loop: Header=BB283_1055 Depth=1
	s_or_b32 exec_lo, exec_lo, s15
	v_lshlrev_b32_e32 v5, 24, v41
	s_delay_alu instid0(VALU_DEP_2) | instskip(SKIP_1) | instid1(VALU_DEP_3)
	v_lshlrev_b32_e32 v8, 20, v8
	v_lshl_add_u32 v4, v4, 23, 0x3c000000
	v_and_b32_e32 v5, 0x80000000, v5
	s_delay_alu instid0(VALU_DEP_1) | instskip(NEXT) | instid1(VALU_DEP_1)
	v_or3_b32 v8, v8, v5, v4
	v_dual_mov_b32 v4, v8 :: v_dual_mov_b32 v5, v9
.LBB283_1435:                           ;   in Loop: Header=BB283_1055 Depth=1
	s_or_b32 exec_lo, exec_lo, s13
.LBB283_1436:                           ;   in Loop: Header=BB283_1055 Depth=1
	s_delay_alu instid0(SALU_CYCLE_1)
	s_or_b32 exec_lo, exec_lo, s12
.LBB283_1437:                           ;   in Loop: Header=BB283_1055 Depth=1
	s_delay_alu instid0(SALU_CYCLE_1) | instskip(SKIP_2) | instid1(VALU_DEP_1)
	s_or_b32 exec_lo, exec_lo, s10
	v_lshrrev_b16 v8, 8, v41
	s_mov_b32 s12, exec_lo
	v_cmpx_ne_u16_e32 0, v8
	s_cbranch_execz .LBB283_1445
; %bb.1438:                             ;   in Loop: Header=BB283_1055 Depth=1
	v_dual_mov_b32 v17, s9 :: v_dual_mov_b32 v16, s8
	s_mov_b32 s13, exec_lo
	v_cmpx_ne_u16_e32 0x80, v8
	s_cbranch_execz .LBB283_1444
; %bb.1439:                             ;   in Loop: Header=BB283_1055 Depth=1
	s_mov_b32 s10, s8
	v_dual_mov_b32 v17, s11 :: v_dual_and_b32 v8, 0xffff, v8
	v_mov_b32_e32 v16, s10
	s_mov_b32 s10, exec_lo
	s_delay_alu instid0(VALU_DEP_2) | instskip(NEXT) | instid1(VALU_DEP_1)
	v_and_b32_e32 v18, 0x7f, v8
	v_cmpx_ne_u32_e32 0x7f, v18
	s_cbranch_execz .LBB283_1443
; %bb.1440:                             ;   in Loop: Header=BB283_1055 Depth=1
	v_and_b32_e32 v8, 7, v8
	v_lshrrev_b32_e32 v16, 3, v18
	s_mov_b32 s15, exec_lo
	v_cmpx_gt_u32_e32 8, v18
; %bb.1441:                             ;   in Loop: Header=BB283_1055 Depth=1
	s_delay_alu instid0(VALU_DEP_3) | instskip(NEXT) | instid1(VALU_DEP_1)
	v_clz_i32_u32_e32 v16, v8
	v_min_u32_e32 v16, 32, v16
	s_delay_alu instid0(VALU_DEP_1) | instskip(SKIP_1) | instid1(VALU_DEP_2)
	v_subrev_nc_u32_e32 v17, 28, v16
	v_sub_nc_u32_e32 v16, 29, v16
	v_lshlrev_b64 v[17:18], v17, v[8:9]
	s_delay_alu instid0(VALU_DEP_1)
	v_and_b32_e32 v8, 7, v17
; %bb.1442:                             ;   in Loop: Header=BB283_1055 Depth=1
	s_or_b32 exec_lo, exec_lo, s15
	v_lshlrev_b32_e32 v17, 16, v41
	s_delay_alu instid0(VALU_DEP_2) | instskip(SKIP_1) | instid1(VALU_DEP_3)
	v_lshlrev_b32_e32 v8, 20, v8
	v_lshl_add_u32 v16, v16, 23, 0x3c000000
	v_and_b32_e32 v17, 0x80000000, v17
	s_delay_alu instid0(VALU_DEP_1)
	v_or3_b32 v17, v8, v17, v16
	v_mov_b32_e32 v16, v9
.LBB283_1443:                           ;   in Loop: Header=BB283_1055 Depth=1
	s_or_b32 exec_lo, exec_lo, s10
.LBB283_1444:                           ;   in Loop: Header=BB283_1055 Depth=1
	s_delay_alu instid0(SALU_CYCLE_1)
	s_or_b32 exec_lo, exec_lo, s13
.LBB283_1445:                           ;   in Loop: Header=BB283_1055 Depth=1
	s_delay_alu instid0(SALU_CYCLE_1) | instskip(SKIP_4) | instid1(VALU_DEP_2)
	s_or_b32 exec_lo, exec_lo, s12
	v_mov_b32_e32 v20, 0
	v_lshrrev_b32_e32 v42, 16, v41
	v_mov_b32_e32 v21, 0
	s_mov_b32 s10, exec_lo
	v_and_b32_e32 v8, 0xff, v42
	s_delay_alu instid0(VALU_DEP_2) | instskip(NEXT) | instid1(VALU_DEP_2)
	v_dual_mov_b32 v18, v20 :: v_dual_mov_b32 v19, v21
	v_cmpx_ne_u16_e32 0, v8
	s_cbranch_execz .LBB283_1453
; %bb.1446:                             ;   in Loop: Header=BB283_1055 Depth=1
	v_bfrev_b32_e32 v18, 1
	v_mov_b32_e32 v19, 0
	s_mov_b32 s12, exec_lo
	v_cmpx_ne_u16_e32 0x80, v8
	s_cbranch_execz .LBB283_1452
; %bb.1447:                             ;   in Loop: Header=BB283_1055 Depth=1
	v_mov_b32_e32 v18, 0x7f800001
	v_bfe_u32 v43, v41, 16, 7
	v_mov_b32_e32 v19, 0
	s_mov_b32 s13, exec_lo
	s_delay_alu instid0(VALU_DEP_2)
	v_cmpx_ne_u32_e32 0x7f, v43
	s_cbranch_execz .LBB283_1451
; %bb.1448:                             ;   in Loop: Header=BB283_1055 Depth=1
	v_and_b32_e32 v8, 7, v42
	v_lshrrev_b32_e32 v18, 3, v43
	s_mov_b32 s15, exec_lo
	v_cmpx_gt_u32_e32 8, v43
; %bb.1449:                             ;   in Loop: Header=BB283_1055 Depth=1
	s_delay_alu instid0(VALU_DEP_3) | instskip(NEXT) | instid1(VALU_DEP_1)
	v_clz_i32_u32_e32 v18, v8
	v_min_u32_e32 v18, 32, v18
	s_delay_alu instid0(VALU_DEP_1) | instskip(SKIP_1) | instid1(VALU_DEP_2)
	v_subrev_nc_u32_e32 v19, 28, v18
	v_sub_nc_u32_e32 v18, 29, v18
	v_lshlrev_b64 v[43:44], v19, v[8:9]
	s_delay_alu instid0(VALU_DEP_1)
	v_and_b32_e32 v8, 7, v43
; %bb.1450:                             ;   in Loop: Header=BB283_1055 Depth=1
	s_or_b32 exec_lo, exec_lo, s15
	v_lshlrev_b32_e32 v19, 24, v42
	s_delay_alu instid0(VALU_DEP_2) | instskip(SKIP_1) | instid1(VALU_DEP_3)
	v_lshlrev_b32_e32 v8, 20, v8
	v_lshl_add_u32 v18, v18, 23, 0x3c000000
	v_and_b32_e32 v19, 0x80000000, v19
	s_delay_alu instid0(VALU_DEP_1) | instskip(NEXT) | instid1(VALU_DEP_1)
	v_or3_b32 v8, v8, v19, v18
	v_dual_mov_b32 v19, v9 :: v_dual_mov_b32 v18, v8
.LBB283_1451:                           ;   in Loop: Header=BB283_1055 Depth=1
	s_or_b32 exec_lo, exec_lo, s13
.LBB283_1452:                           ;   in Loop: Header=BB283_1055 Depth=1
	s_delay_alu instid0(SALU_CYCLE_1)
	s_or_b32 exec_lo, exec_lo, s12
.LBB283_1453:                           ;   in Loop: Header=BB283_1055 Depth=1
	s_delay_alu instid0(SALU_CYCLE_1) | instskip(NEXT) | instid1(SALU_CYCLE_1)
	s_or_b32 exec_lo, exec_lo, s10
	s_mov_b32 s12, exec_lo
	v_cmpx_lt_u32_e32 0xffffff, v41
	s_cbranch_execz .LBB283_1461
; %bb.1454:                             ;   in Loop: Header=BB283_1055 Depth=1
	v_lshrrev_b32_e32 v42, 24, v41
	v_dual_mov_b32 v21, s9 :: v_dual_mov_b32 v20, s8
	s_mov_b32 s13, exec_lo
	s_delay_alu instid0(VALU_DEP_2)
	v_cmpx_ne_u32_e32 0x80, v42
	s_cbranch_execz .LBB283_1460
; %bb.1455:                             ;   in Loop: Header=BB283_1055 Depth=1
	s_mov_b32 s10, s8
	v_bfe_u32 v41, v41, 24, 7
	v_dual_mov_b32 v21, s11 :: v_dual_mov_b32 v20, s10
	s_mov_b32 s10, exec_lo
	s_delay_alu instid0(VALU_DEP_2)
	v_cmpx_ne_u32_e32 0x7f, v41
	s_cbranch_execz .LBB283_1459
; %bb.1456:                             ;   in Loop: Header=BB283_1055 Depth=1
	v_and_b32_e32 v8, 7, v42
	v_lshrrev_b32_e32 v20, 3, v41
	s_mov_b32 s15, exec_lo
	v_cmpx_gt_u32_e32 8, v41
; %bb.1457:                             ;   in Loop: Header=BB283_1055 Depth=1
	s_delay_alu instid0(VALU_DEP_3) | instskip(NEXT) | instid1(VALU_DEP_1)
	v_clz_i32_u32_e32 v20, v8
	v_min_u32_e32 v20, 32, v20
	s_delay_alu instid0(VALU_DEP_1) | instskip(SKIP_1) | instid1(VALU_DEP_2)
	v_subrev_nc_u32_e32 v21, 28, v20
	v_sub_nc_u32_e32 v20, 29, v20
	v_lshlrev_b64 v[43:44], v21, v[8:9]
	s_delay_alu instid0(VALU_DEP_1)
	v_and_b32_e32 v8, 7, v43
; %bb.1458:                             ;   in Loop: Header=BB283_1055 Depth=1
	s_or_b32 exec_lo, exec_lo, s15
	v_lshlrev_b32_e32 v21, 24, v42
	s_delay_alu instid0(VALU_DEP_2) | instskip(SKIP_1) | instid1(VALU_DEP_3)
	v_lshlrev_b32_e32 v8, 20, v8
	v_lshl_add_u32 v20, v20, 23, 0x3c000000
	v_and_b32_e32 v21, 0x80000000, v21
	s_delay_alu instid0(VALU_DEP_1)
	v_or3_b32 v21, v8, v21, v20
	v_mov_b32_e32 v20, v9
.LBB283_1459:                           ;   in Loop: Header=BB283_1055 Depth=1
	s_or_b32 exec_lo, exec_lo, s10
.LBB283_1460:                           ;   in Loop: Header=BB283_1055 Depth=1
	s_delay_alu instid0(SALU_CYCLE_1)
	s_or_b32 exec_lo, exec_lo, s13
.LBB283_1461:                           ;   in Loop: Header=BB283_1055 Depth=1
	s_delay_alu instid0(SALU_CYCLE_1) | instskip(SKIP_4) | instid1(VALU_DEP_3)
	s_or_b32 exec_lo, exec_lo, s12
	v_or_b32_e32 v5, v17, v5
	v_or_b32_e32 v4, v16, v4
	;; [unrolled: 1-line block ×4, first 2 shown]
	v_dual_mul_f32 v44, v96, v5 :: v_dual_mul_f32 v43, v82, v4
	s_delay_alu instid0(VALU_DEP_3) | instskip(NEXT) | instid1(VALU_DEP_3)
	v_mul_f32_e32 v41, v96, v8
	v_mul_f32_e32 v42, v82, v16
	s_and_saveexec_b32 s10, vcc_lo
; %bb.1462:                             ;   in Loop: Header=BB283_1055 Depth=1
	v_cmp_lt_i32_e64 s0, v102, v98
	s_delay_alu instid0(VALU_DEP_1) | instskip(SKIP_1) | instid1(VALU_DEP_1)
	v_cndmask_b32_e64 v43, 0, v43, s0
	v_cmp_lt_i32_e64 s0, v112, v98
	v_cndmask_b32_e64 v44, 0, v44, s0
	v_cmp_lt_i32_e64 s0, v103, v98
	s_delay_alu instid0(VALU_DEP_1) | instskip(SKIP_1) | instid1(VALU_DEP_1)
	v_cndmask_b32_e64 v42, 0, v42, s0
	v_cmp_lt_i32_e64 s0, v86, v98
	v_cndmask_b32_e64 v41, 0, v41, s0
; %bb.1463:                             ;   in Loop: Header=BB283_1055 Depth=1
	s_or_b32 exec_lo, exec_lo, s10
	flat_load_b32 v45, v[14:15] offset:1536
	v_mov_b32_e32 v16, 0
	v_mov_b32_e32 v17, 0
	s_mov_b32 s10, exec_lo
	s_waitcnt vmcnt(0) lgkmcnt(0)
	v_and_b32_e32 v8, 0xff, v45
	s_delay_alu instid0(VALU_DEP_2) | instskip(NEXT) | instid1(VALU_DEP_2)
	v_dual_mov_b32 v4, v16 :: v_dual_mov_b32 v5, v17
	v_cmpx_ne_u16_e32 0, v8
	s_cbranch_execz .LBB283_1471
; %bb.1464:                             ;   in Loop: Header=BB283_1055 Depth=1
	v_bfrev_b32_e32 v4, 1
	v_mov_b32_e32 v5, 0
	s_mov_b32 s12, exec_lo
	v_cmpx_ne_u16_e32 0x80, v8
	s_cbranch_execz .LBB283_1470
; %bb.1465:                             ;   in Loop: Header=BB283_1055 Depth=1
	v_mov_b32_e32 v4, 0x7f800001
	v_dual_mov_b32 v5, 0 :: v_dual_and_b32 v18, 0x7f, v45
	s_mov_b32 s13, exec_lo
	s_delay_alu instid0(VALU_DEP_1)
	v_cmpx_ne_u32_e32 0x7f, v18
	s_cbranch_execz .LBB283_1469
; %bb.1466:                             ;   in Loop: Header=BB283_1055 Depth=1
	v_and_b32_e32 v8, 7, v45
	v_lshrrev_b32_e32 v4, 3, v18
	s_mov_b32 s15, exec_lo
	v_cmpx_gt_u32_e32 8, v18
; %bb.1467:                             ;   in Loop: Header=BB283_1055 Depth=1
	s_delay_alu instid0(VALU_DEP_3) | instskip(NEXT) | instid1(VALU_DEP_1)
	v_clz_i32_u32_e32 v4, v8
	v_min_u32_e32 v4, 32, v4
	s_delay_alu instid0(VALU_DEP_1) | instskip(SKIP_1) | instid1(VALU_DEP_2)
	v_subrev_nc_u32_e32 v5, 28, v4
	v_sub_nc_u32_e32 v4, 29, v4
	v_lshlrev_b64 v[18:19], v5, v[8:9]
	s_delay_alu instid0(VALU_DEP_1)
	v_and_b32_e32 v8, 7, v18
; %bb.1468:                             ;   in Loop: Header=BB283_1055 Depth=1
	s_or_b32 exec_lo, exec_lo, s15
	v_lshlrev_b32_e32 v5, 24, v45
	s_delay_alu instid0(VALU_DEP_2) | instskip(SKIP_1) | instid1(VALU_DEP_3)
	v_lshlrev_b32_e32 v8, 20, v8
	v_lshl_add_u32 v4, v4, 23, 0x3c000000
	v_and_b32_e32 v5, 0x80000000, v5
	s_delay_alu instid0(VALU_DEP_1) | instskip(NEXT) | instid1(VALU_DEP_1)
	v_or3_b32 v8, v8, v5, v4
	v_dual_mov_b32 v4, v8 :: v_dual_mov_b32 v5, v9
.LBB283_1469:                           ;   in Loop: Header=BB283_1055 Depth=1
	s_or_b32 exec_lo, exec_lo, s13
.LBB283_1470:                           ;   in Loop: Header=BB283_1055 Depth=1
	s_delay_alu instid0(SALU_CYCLE_1)
	s_or_b32 exec_lo, exec_lo, s12
.LBB283_1471:                           ;   in Loop: Header=BB283_1055 Depth=1
	s_delay_alu instid0(SALU_CYCLE_1) | instskip(SKIP_2) | instid1(VALU_DEP_1)
	s_or_b32 exec_lo, exec_lo, s10
	v_lshrrev_b16 v8, 8, v45
	s_mov_b32 s12, exec_lo
	v_cmpx_ne_u16_e32 0, v8
	s_cbranch_execz .LBB283_1479
; %bb.1472:                             ;   in Loop: Header=BB283_1055 Depth=1
	v_dual_mov_b32 v17, s9 :: v_dual_mov_b32 v16, s8
	s_mov_b32 s13, exec_lo
	v_cmpx_ne_u16_e32 0x80, v8
	s_cbranch_execz .LBB283_1478
; %bb.1473:                             ;   in Loop: Header=BB283_1055 Depth=1
	s_mov_b32 s10, s8
	v_dual_mov_b32 v17, s11 :: v_dual_and_b32 v8, 0xffff, v8
	v_mov_b32_e32 v16, s10
	s_mov_b32 s10, exec_lo
	s_delay_alu instid0(VALU_DEP_2) | instskip(NEXT) | instid1(VALU_DEP_1)
	v_and_b32_e32 v18, 0x7f, v8
	v_cmpx_ne_u32_e32 0x7f, v18
	s_cbranch_execz .LBB283_1477
; %bb.1474:                             ;   in Loop: Header=BB283_1055 Depth=1
	v_and_b32_e32 v8, 7, v8
	v_lshrrev_b32_e32 v16, 3, v18
	s_mov_b32 s15, exec_lo
	v_cmpx_gt_u32_e32 8, v18
; %bb.1475:                             ;   in Loop: Header=BB283_1055 Depth=1
	s_delay_alu instid0(VALU_DEP_3) | instskip(NEXT) | instid1(VALU_DEP_1)
	v_clz_i32_u32_e32 v16, v8
	v_min_u32_e32 v16, 32, v16
	s_delay_alu instid0(VALU_DEP_1) | instskip(SKIP_1) | instid1(VALU_DEP_2)
	v_subrev_nc_u32_e32 v17, 28, v16
	v_sub_nc_u32_e32 v16, 29, v16
	v_lshlrev_b64 v[17:18], v17, v[8:9]
	s_delay_alu instid0(VALU_DEP_1)
	v_and_b32_e32 v8, 7, v17
; %bb.1476:                             ;   in Loop: Header=BB283_1055 Depth=1
	s_or_b32 exec_lo, exec_lo, s15
	v_lshlrev_b32_e32 v17, 16, v45
	s_delay_alu instid0(VALU_DEP_2) | instskip(SKIP_1) | instid1(VALU_DEP_3)
	v_lshlrev_b32_e32 v8, 20, v8
	v_lshl_add_u32 v16, v16, 23, 0x3c000000
	v_and_b32_e32 v17, 0x80000000, v17
	s_delay_alu instid0(VALU_DEP_1)
	v_or3_b32 v17, v8, v17, v16
	v_mov_b32_e32 v16, v9
.LBB283_1477:                           ;   in Loop: Header=BB283_1055 Depth=1
	s_or_b32 exec_lo, exec_lo, s10
.LBB283_1478:                           ;   in Loop: Header=BB283_1055 Depth=1
	s_delay_alu instid0(SALU_CYCLE_1)
	s_or_b32 exec_lo, exec_lo, s13
.LBB283_1479:                           ;   in Loop: Header=BB283_1055 Depth=1
	s_delay_alu instid0(SALU_CYCLE_1) | instskip(SKIP_4) | instid1(VALU_DEP_2)
	s_or_b32 exec_lo, exec_lo, s12
	v_mov_b32_e32 v20, 0
	v_lshrrev_b32_e32 v46, 16, v45
	v_mov_b32_e32 v21, 0
	s_mov_b32 s10, exec_lo
	v_and_b32_e32 v8, 0xff, v46
	s_delay_alu instid0(VALU_DEP_2) | instskip(NEXT) | instid1(VALU_DEP_2)
	v_dual_mov_b32 v18, v20 :: v_dual_mov_b32 v19, v21
	v_cmpx_ne_u16_e32 0, v8
	s_cbranch_execz .LBB283_1487
; %bb.1480:                             ;   in Loop: Header=BB283_1055 Depth=1
	v_bfrev_b32_e32 v18, 1
	v_mov_b32_e32 v19, 0
	s_mov_b32 s12, exec_lo
	v_cmpx_ne_u16_e32 0x80, v8
	s_cbranch_execz .LBB283_1486
; %bb.1481:                             ;   in Loop: Header=BB283_1055 Depth=1
	v_mov_b32_e32 v18, 0x7f800001
	v_bfe_u32 v47, v45, 16, 7
	v_mov_b32_e32 v19, 0
	s_mov_b32 s13, exec_lo
	s_delay_alu instid0(VALU_DEP_2)
	v_cmpx_ne_u32_e32 0x7f, v47
	s_cbranch_execz .LBB283_1485
; %bb.1482:                             ;   in Loop: Header=BB283_1055 Depth=1
	v_and_b32_e32 v8, 7, v46
	v_lshrrev_b32_e32 v18, 3, v47
	s_mov_b32 s15, exec_lo
	v_cmpx_gt_u32_e32 8, v47
; %bb.1483:                             ;   in Loop: Header=BB283_1055 Depth=1
	s_delay_alu instid0(VALU_DEP_3) | instskip(NEXT) | instid1(VALU_DEP_1)
	v_clz_i32_u32_e32 v18, v8
	v_min_u32_e32 v18, 32, v18
	s_delay_alu instid0(VALU_DEP_1) | instskip(SKIP_1) | instid1(VALU_DEP_2)
	v_subrev_nc_u32_e32 v19, 28, v18
	v_sub_nc_u32_e32 v18, 29, v18
	v_lshlrev_b64 v[56:57], v19, v[8:9]
	s_delay_alu instid0(VALU_DEP_1)
	v_and_b32_e32 v8, 7, v56
; %bb.1484:                             ;   in Loop: Header=BB283_1055 Depth=1
	s_or_b32 exec_lo, exec_lo, s15
	v_lshlrev_b32_e32 v19, 24, v46
	s_delay_alu instid0(VALU_DEP_2) | instskip(SKIP_1) | instid1(VALU_DEP_3)
	v_lshlrev_b32_e32 v8, 20, v8
	v_lshl_add_u32 v18, v18, 23, 0x3c000000
	v_and_b32_e32 v19, 0x80000000, v19
	s_delay_alu instid0(VALU_DEP_1) | instskip(NEXT) | instid1(VALU_DEP_1)
	v_or3_b32 v8, v8, v19, v18
	v_dual_mov_b32 v19, v9 :: v_dual_mov_b32 v18, v8
.LBB283_1485:                           ;   in Loop: Header=BB283_1055 Depth=1
	s_or_b32 exec_lo, exec_lo, s13
.LBB283_1486:                           ;   in Loop: Header=BB283_1055 Depth=1
	s_delay_alu instid0(SALU_CYCLE_1)
	s_or_b32 exec_lo, exec_lo, s12
.LBB283_1487:                           ;   in Loop: Header=BB283_1055 Depth=1
	s_delay_alu instid0(SALU_CYCLE_1) | instskip(NEXT) | instid1(SALU_CYCLE_1)
	s_or_b32 exec_lo, exec_lo, s10
	s_mov_b32 s12, exec_lo
	v_cmpx_lt_u32_e32 0xffffff, v45
	s_cbranch_execz .LBB283_1495
; %bb.1488:                             ;   in Loop: Header=BB283_1055 Depth=1
	v_lshrrev_b32_e32 v46, 24, v45
	v_dual_mov_b32 v21, s9 :: v_dual_mov_b32 v20, s8
	s_mov_b32 s13, exec_lo
	s_delay_alu instid0(VALU_DEP_2)
	v_cmpx_ne_u32_e32 0x80, v46
	s_cbranch_execz .LBB283_1494
; %bb.1489:                             ;   in Loop: Header=BB283_1055 Depth=1
	s_mov_b32 s10, s8
	v_bfe_u32 v45, v45, 24, 7
	v_dual_mov_b32 v21, s11 :: v_dual_mov_b32 v20, s10
	s_mov_b32 s10, exec_lo
	s_delay_alu instid0(VALU_DEP_2)
	v_cmpx_ne_u32_e32 0x7f, v45
	s_cbranch_execz .LBB283_1493
; %bb.1490:                             ;   in Loop: Header=BB283_1055 Depth=1
	v_and_b32_e32 v8, 7, v46
	v_lshrrev_b32_e32 v20, 3, v45
	s_mov_b32 s15, exec_lo
	v_cmpx_gt_u32_e32 8, v45
; %bb.1491:                             ;   in Loop: Header=BB283_1055 Depth=1
	s_delay_alu instid0(VALU_DEP_3) | instskip(NEXT) | instid1(VALU_DEP_1)
	v_clz_i32_u32_e32 v20, v8
	v_min_u32_e32 v20, 32, v20
	s_delay_alu instid0(VALU_DEP_1) | instskip(SKIP_1) | instid1(VALU_DEP_2)
	v_subrev_nc_u32_e32 v21, 28, v20
	v_sub_nc_u32_e32 v20, 29, v20
	v_lshlrev_b64 v[56:57], v21, v[8:9]
	s_delay_alu instid0(VALU_DEP_1)
	v_and_b32_e32 v8, 7, v56
; %bb.1492:                             ;   in Loop: Header=BB283_1055 Depth=1
	s_or_b32 exec_lo, exec_lo, s15
	v_lshlrev_b32_e32 v21, 24, v46
	s_delay_alu instid0(VALU_DEP_2) | instskip(SKIP_1) | instid1(VALU_DEP_3)
	v_lshlrev_b32_e32 v8, 20, v8
	v_lshl_add_u32 v20, v20, 23, 0x3c000000
	v_and_b32_e32 v21, 0x80000000, v21
	s_delay_alu instid0(VALU_DEP_1)
	v_or3_b32 v21, v8, v21, v20
	v_mov_b32_e32 v20, v9
.LBB283_1493:                           ;   in Loop: Header=BB283_1055 Depth=1
	s_or_b32 exec_lo, exec_lo, s10
.LBB283_1494:                           ;   in Loop: Header=BB283_1055 Depth=1
	s_delay_alu instid0(SALU_CYCLE_1)
	s_or_b32 exec_lo, exec_lo, s13
.LBB283_1495:                           ;   in Loop: Header=BB283_1055 Depth=1
	s_delay_alu instid0(SALU_CYCLE_1) | instskip(SKIP_4) | instid1(VALU_DEP_3)
	s_or_b32 exec_lo, exec_lo, s12
	v_or_b32_e32 v5, v17, v5
	v_or_b32_e32 v4, v16, v4
	;; [unrolled: 1-line block ×4, first 2 shown]
	v_dual_mul_f32 v56, v96, v5 :: v_dual_mul_f32 v47, v82, v4
	s_delay_alu instid0(VALU_DEP_3) | instskip(NEXT) | instid1(VALU_DEP_3)
	v_mul_f32_e32 v45, v96, v8
	v_mul_f32_e32 v46, v82, v16
	s_and_saveexec_b32 s10, vcc_lo
; %bb.1496:                             ;   in Loop: Header=BB283_1055 Depth=1
	v_cmp_lt_i32_e64 s0, v102, v98
	s_delay_alu instid0(VALU_DEP_1) | instskip(SKIP_1) | instid1(VALU_DEP_1)
	v_cndmask_b32_e64 v47, 0, v47, s0
	v_cmp_lt_i32_e64 s0, v112, v98
	v_cndmask_b32_e64 v56, 0, v56, s0
	v_cmp_lt_i32_e64 s0, v103, v98
	s_delay_alu instid0(VALU_DEP_1) | instskip(SKIP_1) | instid1(VALU_DEP_1)
	v_cndmask_b32_e64 v46, 0, v46, s0
	v_cmp_lt_i32_e64 s0, v86, v98
	v_cndmask_b32_e64 v45, 0, v45, s0
; %bb.1497:                             ;   in Loop: Header=BB283_1055 Depth=1
	s_or_b32 exec_lo, exec_lo, s10
	flat_load_b32 v57, v[14:15] offset:1664
	v_mov_b32_e32 v16, 0
	v_mov_b32_e32 v17, 0
	s_mov_b32 s10, exec_lo
	s_waitcnt vmcnt(0) lgkmcnt(0)
	v_and_b32_e32 v8, 0xff, v57
	s_delay_alu instid0(VALU_DEP_2) | instskip(NEXT) | instid1(VALU_DEP_2)
	v_dual_mov_b32 v4, v16 :: v_dual_mov_b32 v5, v17
	v_cmpx_ne_u16_e32 0, v8
	s_cbranch_execz .LBB283_1505
; %bb.1498:                             ;   in Loop: Header=BB283_1055 Depth=1
	v_bfrev_b32_e32 v4, 1
	v_mov_b32_e32 v5, 0
	s_mov_b32 s12, exec_lo
	v_cmpx_ne_u16_e32 0x80, v8
	s_cbranch_execz .LBB283_1504
; %bb.1499:                             ;   in Loop: Header=BB283_1055 Depth=1
	v_mov_b32_e32 v4, 0x7f800001
	v_dual_mov_b32 v5, 0 :: v_dual_and_b32 v18, 0x7f, v57
	s_mov_b32 s13, exec_lo
	s_delay_alu instid0(VALU_DEP_1)
	v_cmpx_ne_u32_e32 0x7f, v18
	s_cbranch_execz .LBB283_1503
; %bb.1500:                             ;   in Loop: Header=BB283_1055 Depth=1
	v_and_b32_e32 v8, 7, v57
	v_lshrrev_b32_e32 v4, 3, v18
	s_mov_b32 s15, exec_lo
	v_cmpx_gt_u32_e32 8, v18
; %bb.1501:                             ;   in Loop: Header=BB283_1055 Depth=1
	s_delay_alu instid0(VALU_DEP_3) | instskip(NEXT) | instid1(VALU_DEP_1)
	v_clz_i32_u32_e32 v4, v8
	v_min_u32_e32 v4, 32, v4
	s_delay_alu instid0(VALU_DEP_1) | instskip(SKIP_1) | instid1(VALU_DEP_2)
	v_subrev_nc_u32_e32 v5, 28, v4
	v_sub_nc_u32_e32 v4, 29, v4
	v_lshlrev_b64 v[18:19], v5, v[8:9]
	s_delay_alu instid0(VALU_DEP_1)
	v_and_b32_e32 v8, 7, v18
; %bb.1502:                             ;   in Loop: Header=BB283_1055 Depth=1
	s_or_b32 exec_lo, exec_lo, s15
	v_lshlrev_b32_e32 v5, 24, v57
	s_delay_alu instid0(VALU_DEP_2) | instskip(SKIP_1) | instid1(VALU_DEP_3)
	v_lshlrev_b32_e32 v8, 20, v8
	v_lshl_add_u32 v4, v4, 23, 0x3c000000
	v_and_b32_e32 v5, 0x80000000, v5
	s_delay_alu instid0(VALU_DEP_1) | instskip(NEXT) | instid1(VALU_DEP_1)
	v_or3_b32 v8, v8, v5, v4
	v_dual_mov_b32 v4, v8 :: v_dual_mov_b32 v5, v9
.LBB283_1503:                           ;   in Loop: Header=BB283_1055 Depth=1
	s_or_b32 exec_lo, exec_lo, s13
.LBB283_1504:                           ;   in Loop: Header=BB283_1055 Depth=1
	s_delay_alu instid0(SALU_CYCLE_1)
	s_or_b32 exec_lo, exec_lo, s12
.LBB283_1505:                           ;   in Loop: Header=BB283_1055 Depth=1
	s_delay_alu instid0(SALU_CYCLE_1) | instskip(SKIP_2) | instid1(VALU_DEP_1)
	s_or_b32 exec_lo, exec_lo, s10
	v_lshrrev_b16 v8, 8, v57
	s_mov_b32 s12, exec_lo
	v_cmpx_ne_u16_e32 0, v8
	s_cbranch_execz .LBB283_1513
; %bb.1506:                             ;   in Loop: Header=BB283_1055 Depth=1
	v_dual_mov_b32 v17, s9 :: v_dual_mov_b32 v16, s8
	s_mov_b32 s13, exec_lo
	v_cmpx_ne_u16_e32 0x80, v8
	s_cbranch_execz .LBB283_1512
; %bb.1507:                             ;   in Loop: Header=BB283_1055 Depth=1
	s_mov_b32 s10, s8
	v_dual_mov_b32 v17, s11 :: v_dual_and_b32 v8, 0xffff, v8
	v_mov_b32_e32 v16, s10
	s_mov_b32 s10, exec_lo
	s_delay_alu instid0(VALU_DEP_2) | instskip(NEXT) | instid1(VALU_DEP_1)
	v_and_b32_e32 v18, 0x7f, v8
	v_cmpx_ne_u32_e32 0x7f, v18
	s_cbranch_execz .LBB283_1511
; %bb.1508:                             ;   in Loop: Header=BB283_1055 Depth=1
	v_and_b32_e32 v8, 7, v8
	v_lshrrev_b32_e32 v16, 3, v18
	s_mov_b32 s15, exec_lo
	v_cmpx_gt_u32_e32 8, v18
; %bb.1509:                             ;   in Loop: Header=BB283_1055 Depth=1
	s_delay_alu instid0(VALU_DEP_3) | instskip(NEXT) | instid1(VALU_DEP_1)
	v_clz_i32_u32_e32 v16, v8
	v_min_u32_e32 v16, 32, v16
	s_delay_alu instid0(VALU_DEP_1) | instskip(SKIP_1) | instid1(VALU_DEP_2)
	v_subrev_nc_u32_e32 v17, 28, v16
	v_sub_nc_u32_e32 v16, 29, v16
	v_lshlrev_b64 v[17:18], v17, v[8:9]
	s_delay_alu instid0(VALU_DEP_1)
	v_and_b32_e32 v8, 7, v17
; %bb.1510:                             ;   in Loop: Header=BB283_1055 Depth=1
	s_or_b32 exec_lo, exec_lo, s15
	v_lshlrev_b32_e32 v17, 16, v57
	s_delay_alu instid0(VALU_DEP_2) | instskip(SKIP_1) | instid1(VALU_DEP_3)
	v_lshlrev_b32_e32 v8, 20, v8
	v_lshl_add_u32 v16, v16, 23, 0x3c000000
	v_and_b32_e32 v17, 0x80000000, v17
	s_delay_alu instid0(VALU_DEP_1)
	v_or3_b32 v17, v8, v17, v16
	v_mov_b32_e32 v16, v9
.LBB283_1511:                           ;   in Loop: Header=BB283_1055 Depth=1
	s_or_b32 exec_lo, exec_lo, s10
.LBB283_1512:                           ;   in Loop: Header=BB283_1055 Depth=1
	s_delay_alu instid0(SALU_CYCLE_1)
	s_or_b32 exec_lo, exec_lo, s13
.LBB283_1513:                           ;   in Loop: Header=BB283_1055 Depth=1
	s_delay_alu instid0(SALU_CYCLE_1) | instskip(SKIP_4) | instid1(VALU_DEP_2)
	s_or_b32 exec_lo, exec_lo, s12
	v_mov_b32_e32 v20, 0
	v_lshrrev_b32_e32 v58, 16, v57
	v_mov_b32_e32 v21, 0
	s_mov_b32 s10, exec_lo
	v_and_b32_e32 v8, 0xff, v58
	s_delay_alu instid0(VALU_DEP_2) | instskip(NEXT) | instid1(VALU_DEP_2)
	v_dual_mov_b32 v18, v20 :: v_dual_mov_b32 v19, v21
	v_cmpx_ne_u16_e32 0, v8
	s_cbranch_execz .LBB283_1521
; %bb.1514:                             ;   in Loop: Header=BB283_1055 Depth=1
	v_bfrev_b32_e32 v18, 1
	v_mov_b32_e32 v19, 0
	s_mov_b32 s12, exec_lo
	v_cmpx_ne_u16_e32 0x80, v8
	s_cbranch_execz .LBB283_1520
; %bb.1515:                             ;   in Loop: Header=BB283_1055 Depth=1
	v_mov_b32_e32 v18, 0x7f800001
	v_bfe_u32 v59, v57, 16, 7
	v_mov_b32_e32 v19, 0
	s_mov_b32 s13, exec_lo
	s_delay_alu instid0(VALU_DEP_2)
	v_cmpx_ne_u32_e32 0x7f, v59
	s_cbranch_execz .LBB283_1519
; %bb.1516:                             ;   in Loop: Header=BB283_1055 Depth=1
	v_and_b32_e32 v8, 7, v58
	v_lshrrev_b32_e32 v18, 3, v59
	s_mov_b32 s15, exec_lo
	v_cmpx_gt_u32_e32 8, v59
; %bb.1517:                             ;   in Loop: Header=BB283_1055 Depth=1
	s_delay_alu instid0(VALU_DEP_3) | instskip(NEXT) | instid1(VALU_DEP_1)
	v_clz_i32_u32_e32 v18, v8
	v_min_u32_e32 v18, 32, v18
	s_delay_alu instid0(VALU_DEP_1) | instskip(SKIP_1) | instid1(VALU_DEP_2)
	v_subrev_nc_u32_e32 v19, 28, v18
	v_sub_nc_u32_e32 v18, 29, v18
	v_lshlrev_b64 v[59:60], v19, v[8:9]
	s_delay_alu instid0(VALU_DEP_1)
	v_and_b32_e32 v8, 7, v59
; %bb.1518:                             ;   in Loop: Header=BB283_1055 Depth=1
	s_or_b32 exec_lo, exec_lo, s15
	v_lshlrev_b32_e32 v19, 24, v58
	s_delay_alu instid0(VALU_DEP_2) | instskip(SKIP_1) | instid1(VALU_DEP_3)
	v_lshlrev_b32_e32 v8, 20, v8
	v_lshl_add_u32 v18, v18, 23, 0x3c000000
	v_and_b32_e32 v19, 0x80000000, v19
	s_delay_alu instid0(VALU_DEP_1) | instskip(NEXT) | instid1(VALU_DEP_1)
	v_or3_b32 v8, v8, v19, v18
	v_dual_mov_b32 v19, v9 :: v_dual_mov_b32 v18, v8
.LBB283_1519:                           ;   in Loop: Header=BB283_1055 Depth=1
	s_or_b32 exec_lo, exec_lo, s13
.LBB283_1520:                           ;   in Loop: Header=BB283_1055 Depth=1
	s_delay_alu instid0(SALU_CYCLE_1)
	s_or_b32 exec_lo, exec_lo, s12
.LBB283_1521:                           ;   in Loop: Header=BB283_1055 Depth=1
	s_delay_alu instid0(SALU_CYCLE_1) | instskip(NEXT) | instid1(SALU_CYCLE_1)
	s_or_b32 exec_lo, exec_lo, s10
	s_mov_b32 s12, exec_lo
	v_cmpx_lt_u32_e32 0xffffff, v57
	s_cbranch_execz .LBB283_1529
; %bb.1522:                             ;   in Loop: Header=BB283_1055 Depth=1
	v_lshrrev_b32_e32 v58, 24, v57
	v_dual_mov_b32 v21, s9 :: v_dual_mov_b32 v20, s8
	s_mov_b32 s13, exec_lo
	s_delay_alu instid0(VALU_DEP_2)
	v_cmpx_ne_u32_e32 0x80, v58
	s_cbranch_execz .LBB283_1528
; %bb.1523:                             ;   in Loop: Header=BB283_1055 Depth=1
	s_mov_b32 s10, s8
	v_bfe_u32 v57, v57, 24, 7
	v_dual_mov_b32 v21, s11 :: v_dual_mov_b32 v20, s10
	s_mov_b32 s10, exec_lo
	s_delay_alu instid0(VALU_DEP_2)
	v_cmpx_ne_u32_e32 0x7f, v57
	s_cbranch_execz .LBB283_1527
; %bb.1524:                             ;   in Loop: Header=BB283_1055 Depth=1
	v_and_b32_e32 v8, 7, v58
	v_lshrrev_b32_e32 v20, 3, v57
	s_mov_b32 s15, exec_lo
	v_cmpx_gt_u32_e32 8, v57
; %bb.1525:                             ;   in Loop: Header=BB283_1055 Depth=1
	s_delay_alu instid0(VALU_DEP_3) | instskip(NEXT) | instid1(VALU_DEP_1)
	v_clz_i32_u32_e32 v20, v8
	v_min_u32_e32 v20, 32, v20
	s_delay_alu instid0(VALU_DEP_1) | instskip(SKIP_1) | instid1(VALU_DEP_2)
	v_subrev_nc_u32_e32 v21, 28, v20
	v_sub_nc_u32_e32 v20, 29, v20
	v_lshlrev_b64 v[59:60], v21, v[8:9]
	s_delay_alu instid0(VALU_DEP_1)
	v_and_b32_e32 v8, 7, v59
; %bb.1526:                             ;   in Loop: Header=BB283_1055 Depth=1
	s_or_b32 exec_lo, exec_lo, s15
	v_lshlrev_b32_e32 v21, 24, v58
	s_delay_alu instid0(VALU_DEP_2) | instskip(SKIP_1) | instid1(VALU_DEP_3)
	v_lshlrev_b32_e32 v8, 20, v8
	v_lshl_add_u32 v20, v20, 23, 0x3c000000
	v_and_b32_e32 v21, 0x80000000, v21
	s_delay_alu instid0(VALU_DEP_1)
	v_or3_b32 v21, v8, v21, v20
	v_mov_b32_e32 v20, v9
.LBB283_1527:                           ;   in Loop: Header=BB283_1055 Depth=1
	s_or_b32 exec_lo, exec_lo, s10
.LBB283_1528:                           ;   in Loop: Header=BB283_1055 Depth=1
	s_delay_alu instid0(SALU_CYCLE_1)
	s_or_b32 exec_lo, exec_lo, s13
.LBB283_1529:                           ;   in Loop: Header=BB283_1055 Depth=1
	s_delay_alu instid0(SALU_CYCLE_1) | instskip(SKIP_4) | instid1(VALU_DEP_3)
	s_or_b32 exec_lo, exec_lo, s12
	v_or_b32_e32 v5, v17, v5
	v_or_b32_e32 v4, v16, v4
	;; [unrolled: 1-line block ×4, first 2 shown]
	v_dual_mul_f32 v60, v96, v5 :: v_dual_mul_f32 v59, v82, v4
	s_delay_alu instid0(VALU_DEP_3) | instskip(NEXT) | instid1(VALU_DEP_3)
	v_mul_f32_e32 v57, v96, v8
	v_mul_f32_e32 v58, v82, v16
	s_and_saveexec_b32 s10, vcc_lo
; %bb.1530:                             ;   in Loop: Header=BB283_1055 Depth=1
	v_cmp_lt_i32_e64 s0, v102, v98
	s_delay_alu instid0(VALU_DEP_1) | instskip(SKIP_1) | instid1(VALU_DEP_1)
	v_cndmask_b32_e64 v59, 0, v59, s0
	v_cmp_lt_i32_e64 s0, v112, v98
	v_cndmask_b32_e64 v60, 0, v60, s0
	v_cmp_lt_i32_e64 s0, v103, v98
	s_delay_alu instid0(VALU_DEP_1) | instskip(SKIP_1) | instid1(VALU_DEP_1)
	v_cndmask_b32_e64 v58, 0, v58, s0
	v_cmp_lt_i32_e64 s0, v86, v98
	v_cndmask_b32_e64 v57, 0, v57, s0
; %bb.1531:                             ;   in Loop: Header=BB283_1055 Depth=1
	s_or_b32 exec_lo, exec_lo, s10
	flat_load_b32 v61, v[14:15] offset:1792
	v_mov_b32_e32 v16, 0
	v_mov_b32_e32 v17, 0
	s_mov_b32 s10, exec_lo
	s_waitcnt vmcnt(0) lgkmcnt(0)
	v_and_b32_e32 v8, 0xff, v61
	s_delay_alu instid0(VALU_DEP_2) | instskip(NEXT) | instid1(VALU_DEP_2)
	v_dual_mov_b32 v4, v16 :: v_dual_mov_b32 v5, v17
	v_cmpx_ne_u16_e32 0, v8
	s_cbranch_execz .LBB283_1539
; %bb.1532:                             ;   in Loop: Header=BB283_1055 Depth=1
	v_bfrev_b32_e32 v4, 1
	v_mov_b32_e32 v5, 0
	s_mov_b32 s12, exec_lo
	v_cmpx_ne_u16_e32 0x80, v8
	s_cbranch_execz .LBB283_1538
; %bb.1533:                             ;   in Loop: Header=BB283_1055 Depth=1
	v_mov_b32_e32 v4, 0x7f800001
	v_dual_mov_b32 v5, 0 :: v_dual_and_b32 v18, 0x7f, v61
	s_mov_b32 s13, exec_lo
	s_delay_alu instid0(VALU_DEP_1)
	v_cmpx_ne_u32_e32 0x7f, v18
	s_cbranch_execz .LBB283_1537
; %bb.1534:                             ;   in Loop: Header=BB283_1055 Depth=1
	v_and_b32_e32 v8, 7, v61
	v_lshrrev_b32_e32 v4, 3, v18
	s_mov_b32 s15, exec_lo
	v_cmpx_gt_u32_e32 8, v18
; %bb.1535:                             ;   in Loop: Header=BB283_1055 Depth=1
	s_delay_alu instid0(VALU_DEP_3) | instskip(NEXT) | instid1(VALU_DEP_1)
	v_clz_i32_u32_e32 v4, v8
	v_min_u32_e32 v4, 32, v4
	s_delay_alu instid0(VALU_DEP_1) | instskip(SKIP_1) | instid1(VALU_DEP_2)
	v_subrev_nc_u32_e32 v5, 28, v4
	v_sub_nc_u32_e32 v4, 29, v4
	v_lshlrev_b64 v[18:19], v5, v[8:9]
	s_delay_alu instid0(VALU_DEP_1)
	v_and_b32_e32 v8, 7, v18
; %bb.1536:                             ;   in Loop: Header=BB283_1055 Depth=1
	s_or_b32 exec_lo, exec_lo, s15
	v_lshlrev_b32_e32 v5, 24, v61
	s_delay_alu instid0(VALU_DEP_2) | instskip(SKIP_1) | instid1(VALU_DEP_3)
	v_lshlrev_b32_e32 v8, 20, v8
	v_lshl_add_u32 v4, v4, 23, 0x3c000000
	v_and_b32_e32 v5, 0x80000000, v5
	s_delay_alu instid0(VALU_DEP_1) | instskip(NEXT) | instid1(VALU_DEP_1)
	v_or3_b32 v8, v8, v5, v4
	v_dual_mov_b32 v4, v8 :: v_dual_mov_b32 v5, v9
.LBB283_1537:                           ;   in Loop: Header=BB283_1055 Depth=1
	s_or_b32 exec_lo, exec_lo, s13
.LBB283_1538:                           ;   in Loop: Header=BB283_1055 Depth=1
	s_delay_alu instid0(SALU_CYCLE_1)
	s_or_b32 exec_lo, exec_lo, s12
.LBB283_1539:                           ;   in Loop: Header=BB283_1055 Depth=1
	s_delay_alu instid0(SALU_CYCLE_1) | instskip(SKIP_2) | instid1(VALU_DEP_1)
	s_or_b32 exec_lo, exec_lo, s10
	v_lshrrev_b16 v8, 8, v61
	s_mov_b32 s12, exec_lo
	v_cmpx_ne_u16_e32 0, v8
	s_cbranch_execz .LBB283_1547
; %bb.1540:                             ;   in Loop: Header=BB283_1055 Depth=1
	v_dual_mov_b32 v17, s9 :: v_dual_mov_b32 v16, s8
	s_mov_b32 s13, exec_lo
	v_cmpx_ne_u16_e32 0x80, v8
	s_cbranch_execz .LBB283_1546
; %bb.1541:                             ;   in Loop: Header=BB283_1055 Depth=1
	s_mov_b32 s10, s8
	v_dual_mov_b32 v17, s11 :: v_dual_and_b32 v8, 0xffff, v8
	v_mov_b32_e32 v16, s10
	s_mov_b32 s10, exec_lo
	s_delay_alu instid0(VALU_DEP_2) | instskip(NEXT) | instid1(VALU_DEP_1)
	v_and_b32_e32 v18, 0x7f, v8
	v_cmpx_ne_u32_e32 0x7f, v18
	s_cbranch_execz .LBB283_1545
; %bb.1542:                             ;   in Loop: Header=BB283_1055 Depth=1
	v_and_b32_e32 v8, 7, v8
	v_lshrrev_b32_e32 v16, 3, v18
	s_mov_b32 s15, exec_lo
	v_cmpx_gt_u32_e32 8, v18
; %bb.1543:                             ;   in Loop: Header=BB283_1055 Depth=1
	s_delay_alu instid0(VALU_DEP_3) | instskip(NEXT) | instid1(VALU_DEP_1)
	v_clz_i32_u32_e32 v16, v8
	v_min_u32_e32 v16, 32, v16
	s_delay_alu instid0(VALU_DEP_1) | instskip(SKIP_1) | instid1(VALU_DEP_2)
	v_subrev_nc_u32_e32 v17, 28, v16
	v_sub_nc_u32_e32 v16, 29, v16
	v_lshlrev_b64 v[17:18], v17, v[8:9]
	s_delay_alu instid0(VALU_DEP_1)
	v_and_b32_e32 v8, 7, v17
; %bb.1544:                             ;   in Loop: Header=BB283_1055 Depth=1
	s_or_b32 exec_lo, exec_lo, s15
	v_lshlrev_b32_e32 v17, 16, v61
	s_delay_alu instid0(VALU_DEP_2) | instskip(SKIP_1) | instid1(VALU_DEP_3)
	v_lshlrev_b32_e32 v8, 20, v8
	v_lshl_add_u32 v16, v16, 23, 0x3c000000
	v_and_b32_e32 v17, 0x80000000, v17
	s_delay_alu instid0(VALU_DEP_1)
	v_or3_b32 v17, v8, v17, v16
	v_mov_b32_e32 v16, v9
.LBB283_1545:                           ;   in Loop: Header=BB283_1055 Depth=1
	s_or_b32 exec_lo, exec_lo, s10
.LBB283_1546:                           ;   in Loop: Header=BB283_1055 Depth=1
	s_delay_alu instid0(SALU_CYCLE_1)
	s_or_b32 exec_lo, exec_lo, s13
.LBB283_1547:                           ;   in Loop: Header=BB283_1055 Depth=1
	s_delay_alu instid0(SALU_CYCLE_1) | instskip(SKIP_4) | instid1(VALU_DEP_2)
	s_or_b32 exec_lo, exec_lo, s12
	v_mov_b32_e32 v20, 0
	v_lshrrev_b32_e32 v62, 16, v61
	v_mov_b32_e32 v21, 0
	s_mov_b32 s10, exec_lo
	v_and_b32_e32 v8, 0xff, v62
	s_delay_alu instid0(VALU_DEP_2) | instskip(NEXT) | instid1(VALU_DEP_2)
	v_dual_mov_b32 v18, v20 :: v_dual_mov_b32 v19, v21
	v_cmpx_ne_u16_e32 0, v8
	s_cbranch_execz .LBB283_1555
; %bb.1548:                             ;   in Loop: Header=BB283_1055 Depth=1
	v_bfrev_b32_e32 v18, 1
	v_mov_b32_e32 v19, 0
	s_mov_b32 s12, exec_lo
	v_cmpx_ne_u16_e32 0x80, v8
	s_cbranch_execz .LBB283_1554
; %bb.1549:                             ;   in Loop: Header=BB283_1055 Depth=1
	v_mov_b32_e32 v18, 0x7f800001
	v_bfe_u32 v63, v61, 16, 7
	v_mov_b32_e32 v19, 0
	s_mov_b32 s13, exec_lo
	s_delay_alu instid0(VALU_DEP_2)
	v_cmpx_ne_u32_e32 0x7f, v63
	s_cbranch_execz .LBB283_1553
; %bb.1550:                             ;   in Loop: Header=BB283_1055 Depth=1
	v_and_b32_e32 v8, 7, v62
	v_lshrrev_b32_e32 v18, 3, v63
	s_mov_b32 s15, exec_lo
	v_cmpx_gt_u32_e32 8, v63
; %bb.1551:                             ;   in Loop: Header=BB283_1055 Depth=1
	s_delay_alu instid0(VALU_DEP_3) | instskip(NEXT) | instid1(VALU_DEP_1)
	v_clz_i32_u32_e32 v18, v8
	v_min_u32_e32 v18, 32, v18
	s_delay_alu instid0(VALU_DEP_1) | instskip(SKIP_1) | instid1(VALU_DEP_2)
	v_subrev_nc_u32_e32 v19, 28, v18
	v_sub_nc_u32_e32 v18, 29, v18
	v_lshlrev_b64 v[72:73], v19, v[8:9]
	s_delay_alu instid0(VALU_DEP_1)
	v_and_b32_e32 v8, 7, v72
; %bb.1552:                             ;   in Loop: Header=BB283_1055 Depth=1
	s_or_b32 exec_lo, exec_lo, s15
	v_lshlrev_b32_e32 v19, 24, v62
	s_delay_alu instid0(VALU_DEP_2) | instskip(SKIP_1) | instid1(VALU_DEP_3)
	v_lshlrev_b32_e32 v8, 20, v8
	v_lshl_add_u32 v18, v18, 23, 0x3c000000
	v_and_b32_e32 v19, 0x80000000, v19
	s_delay_alu instid0(VALU_DEP_1) | instskip(NEXT) | instid1(VALU_DEP_1)
	v_or3_b32 v8, v8, v19, v18
	v_dual_mov_b32 v19, v9 :: v_dual_mov_b32 v18, v8
.LBB283_1553:                           ;   in Loop: Header=BB283_1055 Depth=1
	s_or_b32 exec_lo, exec_lo, s13
.LBB283_1554:                           ;   in Loop: Header=BB283_1055 Depth=1
	s_delay_alu instid0(SALU_CYCLE_1)
	s_or_b32 exec_lo, exec_lo, s12
.LBB283_1555:                           ;   in Loop: Header=BB283_1055 Depth=1
	s_delay_alu instid0(SALU_CYCLE_1) | instskip(NEXT) | instid1(SALU_CYCLE_1)
	s_or_b32 exec_lo, exec_lo, s10
	s_mov_b32 s12, exec_lo
	v_cmpx_lt_u32_e32 0xffffff, v61
	s_cbranch_execz .LBB283_1563
; %bb.1556:                             ;   in Loop: Header=BB283_1055 Depth=1
	v_lshrrev_b32_e32 v62, 24, v61
	v_dual_mov_b32 v21, s9 :: v_dual_mov_b32 v20, s8
	s_mov_b32 s13, exec_lo
	s_delay_alu instid0(VALU_DEP_2)
	v_cmpx_ne_u32_e32 0x80, v62
	s_cbranch_execz .LBB283_1562
; %bb.1557:                             ;   in Loop: Header=BB283_1055 Depth=1
	s_mov_b32 s10, s8
	v_bfe_u32 v61, v61, 24, 7
	v_dual_mov_b32 v21, s11 :: v_dual_mov_b32 v20, s10
	s_mov_b32 s10, exec_lo
	s_delay_alu instid0(VALU_DEP_2)
	v_cmpx_ne_u32_e32 0x7f, v61
	s_cbranch_execz .LBB283_1561
; %bb.1558:                             ;   in Loop: Header=BB283_1055 Depth=1
	v_and_b32_e32 v8, 7, v62
	v_lshrrev_b32_e32 v20, 3, v61
	s_mov_b32 s15, exec_lo
	v_cmpx_gt_u32_e32 8, v61
; %bb.1559:                             ;   in Loop: Header=BB283_1055 Depth=1
	s_delay_alu instid0(VALU_DEP_3) | instskip(NEXT) | instid1(VALU_DEP_1)
	v_clz_i32_u32_e32 v20, v8
	v_min_u32_e32 v20, 32, v20
	s_delay_alu instid0(VALU_DEP_1) | instskip(SKIP_1) | instid1(VALU_DEP_2)
	v_subrev_nc_u32_e32 v21, 28, v20
	v_sub_nc_u32_e32 v20, 29, v20
	v_lshlrev_b64 v[72:73], v21, v[8:9]
	s_delay_alu instid0(VALU_DEP_1)
	v_and_b32_e32 v8, 7, v72
; %bb.1560:                             ;   in Loop: Header=BB283_1055 Depth=1
	s_or_b32 exec_lo, exec_lo, s15
	v_lshlrev_b32_e32 v21, 24, v62
	s_delay_alu instid0(VALU_DEP_2) | instskip(SKIP_1) | instid1(VALU_DEP_3)
	v_lshlrev_b32_e32 v8, 20, v8
	v_lshl_add_u32 v20, v20, 23, 0x3c000000
	v_and_b32_e32 v21, 0x80000000, v21
	s_delay_alu instid0(VALU_DEP_1)
	v_or3_b32 v21, v8, v21, v20
	v_mov_b32_e32 v20, v9
.LBB283_1561:                           ;   in Loop: Header=BB283_1055 Depth=1
	s_or_b32 exec_lo, exec_lo, s10
.LBB283_1562:                           ;   in Loop: Header=BB283_1055 Depth=1
	s_delay_alu instid0(SALU_CYCLE_1)
	s_or_b32 exec_lo, exec_lo, s13
.LBB283_1563:                           ;   in Loop: Header=BB283_1055 Depth=1
	s_delay_alu instid0(SALU_CYCLE_1) | instskip(SKIP_4) | instid1(VALU_DEP_3)
	s_or_b32 exec_lo, exec_lo, s12
	v_or_b32_e32 v5, v17, v5
	v_or_b32_e32 v4, v16, v4
	;; [unrolled: 1-line block ×4, first 2 shown]
	v_dual_mul_f32 v72, v96, v5 :: v_dual_mul_f32 v63, v82, v4
	s_delay_alu instid0(VALU_DEP_3) | instskip(NEXT) | instid1(VALU_DEP_3)
	v_mul_f32_e32 v61, v96, v8
	v_mul_f32_e32 v62, v82, v16
	s_and_saveexec_b32 s10, vcc_lo
; %bb.1564:                             ;   in Loop: Header=BB283_1055 Depth=1
	v_cmp_lt_i32_e64 s0, v102, v98
	s_delay_alu instid0(VALU_DEP_1) | instskip(SKIP_1) | instid1(VALU_DEP_1)
	v_cndmask_b32_e64 v63, 0, v63, s0
	v_cmp_lt_i32_e64 s0, v112, v98
	v_cndmask_b32_e64 v72, 0, v72, s0
	v_cmp_lt_i32_e64 s0, v103, v98
	s_delay_alu instid0(VALU_DEP_1) | instskip(SKIP_1) | instid1(VALU_DEP_1)
	v_cndmask_b32_e64 v62, 0, v62, s0
	v_cmp_lt_i32_e64 s0, v86, v98
	v_cndmask_b32_e64 v61, 0, v61, s0
; %bb.1565:                             ;   in Loop: Header=BB283_1055 Depth=1
	s_or_b32 exec_lo, exec_lo, s10
	flat_load_b32 v73, v[14:15] offset:1920
	v_mov_b32_e32 v16, 0
	v_mov_b32_e32 v17, 0
	s_mov_b32 s10, exec_lo
	s_waitcnt vmcnt(0) lgkmcnt(0)
	v_and_b32_e32 v8, 0xff, v73
	s_delay_alu instid0(VALU_DEP_2) | instskip(NEXT) | instid1(VALU_DEP_2)
	v_dual_mov_b32 v4, v16 :: v_dual_mov_b32 v5, v17
	v_cmpx_ne_u16_e32 0, v8
	s_cbranch_execz .LBB283_1573
; %bb.1566:                             ;   in Loop: Header=BB283_1055 Depth=1
	v_bfrev_b32_e32 v4, 1
	v_mov_b32_e32 v5, 0
	s_mov_b32 s12, exec_lo
	v_cmpx_ne_u16_e32 0x80, v8
	s_cbranch_execz .LBB283_1572
; %bb.1567:                             ;   in Loop: Header=BB283_1055 Depth=1
	v_mov_b32_e32 v4, 0x7f800001
	v_dual_mov_b32 v5, 0 :: v_dual_and_b32 v18, 0x7f, v73
	s_mov_b32 s13, exec_lo
	s_delay_alu instid0(VALU_DEP_1)
	v_cmpx_ne_u32_e32 0x7f, v18
	s_cbranch_execz .LBB283_1571
; %bb.1568:                             ;   in Loop: Header=BB283_1055 Depth=1
	v_and_b32_e32 v8, 7, v73
	v_lshrrev_b32_e32 v4, 3, v18
	s_mov_b32 s15, exec_lo
	v_cmpx_gt_u32_e32 8, v18
; %bb.1569:                             ;   in Loop: Header=BB283_1055 Depth=1
	s_delay_alu instid0(VALU_DEP_3) | instskip(NEXT) | instid1(VALU_DEP_1)
	v_clz_i32_u32_e32 v4, v8
	v_min_u32_e32 v4, 32, v4
	s_delay_alu instid0(VALU_DEP_1) | instskip(SKIP_1) | instid1(VALU_DEP_2)
	v_subrev_nc_u32_e32 v5, 28, v4
	v_sub_nc_u32_e32 v4, 29, v4
	v_lshlrev_b64 v[18:19], v5, v[8:9]
	s_delay_alu instid0(VALU_DEP_1)
	v_and_b32_e32 v8, 7, v18
; %bb.1570:                             ;   in Loop: Header=BB283_1055 Depth=1
	s_or_b32 exec_lo, exec_lo, s15
	v_lshlrev_b32_e32 v5, 24, v73
	s_delay_alu instid0(VALU_DEP_2) | instskip(SKIP_1) | instid1(VALU_DEP_3)
	v_lshlrev_b32_e32 v8, 20, v8
	v_lshl_add_u32 v4, v4, 23, 0x3c000000
	v_and_b32_e32 v5, 0x80000000, v5
	s_delay_alu instid0(VALU_DEP_1) | instskip(NEXT) | instid1(VALU_DEP_1)
	v_or3_b32 v8, v8, v5, v4
	v_dual_mov_b32 v4, v8 :: v_dual_mov_b32 v5, v9
.LBB283_1571:                           ;   in Loop: Header=BB283_1055 Depth=1
	s_or_b32 exec_lo, exec_lo, s13
.LBB283_1572:                           ;   in Loop: Header=BB283_1055 Depth=1
	s_delay_alu instid0(SALU_CYCLE_1)
	s_or_b32 exec_lo, exec_lo, s12
.LBB283_1573:                           ;   in Loop: Header=BB283_1055 Depth=1
	s_delay_alu instid0(SALU_CYCLE_1) | instskip(SKIP_2) | instid1(VALU_DEP_1)
	s_or_b32 exec_lo, exec_lo, s10
	v_lshrrev_b16 v8, 8, v73
	s_mov_b32 s12, exec_lo
	v_cmpx_ne_u16_e32 0, v8
	s_cbranch_execz .LBB283_1581
; %bb.1574:                             ;   in Loop: Header=BB283_1055 Depth=1
	v_dual_mov_b32 v17, s9 :: v_dual_mov_b32 v16, s8
	s_mov_b32 s13, exec_lo
	v_cmpx_ne_u16_e32 0x80, v8
	s_cbranch_execz .LBB283_1580
; %bb.1575:                             ;   in Loop: Header=BB283_1055 Depth=1
	s_mov_b32 s10, s8
	v_dual_mov_b32 v17, s11 :: v_dual_and_b32 v8, 0xffff, v8
	v_mov_b32_e32 v16, s10
	s_mov_b32 s10, exec_lo
	s_delay_alu instid0(VALU_DEP_2) | instskip(NEXT) | instid1(VALU_DEP_1)
	v_and_b32_e32 v18, 0x7f, v8
	v_cmpx_ne_u32_e32 0x7f, v18
	s_cbranch_execz .LBB283_1579
; %bb.1576:                             ;   in Loop: Header=BB283_1055 Depth=1
	v_and_b32_e32 v8, 7, v8
	v_lshrrev_b32_e32 v16, 3, v18
	s_mov_b32 s15, exec_lo
	v_cmpx_gt_u32_e32 8, v18
; %bb.1577:                             ;   in Loop: Header=BB283_1055 Depth=1
	s_delay_alu instid0(VALU_DEP_3) | instskip(NEXT) | instid1(VALU_DEP_1)
	v_clz_i32_u32_e32 v16, v8
	v_min_u32_e32 v16, 32, v16
	s_delay_alu instid0(VALU_DEP_1) | instskip(SKIP_1) | instid1(VALU_DEP_2)
	v_subrev_nc_u32_e32 v17, 28, v16
	v_sub_nc_u32_e32 v16, 29, v16
	v_lshlrev_b64 v[17:18], v17, v[8:9]
	s_delay_alu instid0(VALU_DEP_1)
	v_and_b32_e32 v8, 7, v17
; %bb.1578:                             ;   in Loop: Header=BB283_1055 Depth=1
	s_or_b32 exec_lo, exec_lo, s15
	v_lshlrev_b32_e32 v17, 16, v73
	s_delay_alu instid0(VALU_DEP_2) | instskip(SKIP_1) | instid1(VALU_DEP_3)
	v_lshlrev_b32_e32 v8, 20, v8
	v_lshl_add_u32 v16, v16, 23, 0x3c000000
	v_and_b32_e32 v17, 0x80000000, v17
	s_delay_alu instid0(VALU_DEP_1)
	v_or3_b32 v17, v8, v17, v16
	v_mov_b32_e32 v16, v9
.LBB283_1579:                           ;   in Loop: Header=BB283_1055 Depth=1
	s_or_b32 exec_lo, exec_lo, s10
.LBB283_1580:                           ;   in Loop: Header=BB283_1055 Depth=1
	s_delay_alu instid0(SALU_CYCLE_1)
	s_or_b32 exec_lo, exec_lo, s13
.LBB283_1581:                           ;   in Loop: Header=BB283_1055 Depth=1
	s_delay_alu instid0(SALU_CYCLE_1) | instskip(SKIP_4) | instid1(VALU_DEP_2)
	s_or_b32 exec_lo, exec_lo, s12
	v_mov_b32_e32 v20, 0
	v_lshrrev_b32_e32 v74, 16, v73
	v_mov_b32_e32 v21, 0
	s_mov_b32 s10, exec_lo
	v_and_b32_e32 v8, 0xff, v74
	s_delay_alu instid0(VALU_DEP_2) | instskip(NEXT) | instid1(VALU_DEP_2)
	v_dual_mov_b32 v18, v20 :: v_dual_mov_b32 v19, v21
	v_cmpx_ne_u16_e32 0, v8
	s_cbranch_execz .LBB283_1589
; %bb.1582:                             ;   in Loop: Header=BB283_1055 Depth=1
	v_bfrev_b32_e32 v18, 1
	v_mov_b32_e32 v19, 0
	s_mov_b32 s12, exec_lo
	v_cmpx_ne_u16_e32 0x80, v8
	s_cbranch_execz .LBB283_1588
; %bb.1583:                             ;   in Loop: Header=BB283_1055 Depth=1
	v_mov_b32_e32 v18, 0x7f800001
	v_bfe_u32 v75, v73, 16, 7
	v_mov_b32_e32 v19, 0
	s_mov_b32 s13, exec_lo
	s_delay_alu instid0(VALU_DEP_2)
	v_cmpx_ne_u32_e32 0x7f, v75
	s_cbranch_execz .LBB283_1587
; %bb.1584:                             ;   in Loop: Header=BB283_1055 Depth=1
	v_and_b32_e32 v8, 7, v74
	v_lshrrev_b32_e32 v18, 3, v75
	s_mov_b32 s15, exec_lo
	v_cmpx_gt_u32_e32 8, v75
; %bb.1585:                             ;   in Loop: Header=BB283_1055 Depth=1
	s_delay_alu instid0(VALU_DEP_3) | instskip(NEXT) | instid1(VALU_DEP_1)
	v_clz_i32_u32_e32 v18, v8
	v_min_u32_e32 v18, 32, v18
	s_delay_alu instid0(VALU_DEP_1) | instskip(SKIP_1) | instid1(VALU_DEP_2)
	v_subrev_nc_u32_e32 v19, 28, v18
	v_sub_nc_u32_e32 v18, 29, v18
	v_lshlrev_b64 v[75:76], v19, v[8:9]
	s_delay_alu instid0(VALU_DEP_1)
	v_and_b32_e32 v8, 7, v75
; %bb.1586:                             ;   in Loop: Header=BB283_1055 Depth=1
	s_or_b32 exec_lo, exec_lo, s15
	v_lshlrev_b32_e32 v19, 24, v74
	s_delay_alu instid0(VALU_DEP_2) | instskip(SKIP_1) | instid1(VALU_DEP_3)
	v_lshlrev_b32_e32 v8, 20, v8
	v_lshl_add_u32 v18, v18, 23, 0x3c000000
	v_and_b32_e32 v19, 0x80000000, v19
	s_delay_alu instid0(VALU_DEP_1) | instskip(NEXT) | instid1(VALU_DEP_1)
	v_or3_b32 v8, v8, v19, v18
	v_dual_mov_b32 v19, v9 :: v_dual_mov_b32 v18, v8
.LBB283_1587:                           ;   in Loop: Header=BB283_1055 Depth=1
	s_or_b32 exec_lo, exec_lo, s13
.LBB283_1588:                           ;   in Loop: Header=BB283_1055 Depth=1
	s_delay_alu instid0(SALU_CYCLE_1)
	s_or_b32 exec_lo, exec_lo, s12
.LBB283_1589:                           ;   in Loop: Header=BB283_1055 Depth=1
	s_delay_alu instid0(SALU_CYCLE_1) | instskip(NEXT) | instid1(SALU_CYCLE_1)
	s_or_b32 exec_lo, exec_lo, s10
	s_mov_b32 s12, exec_lo
	v_cmpx_lt_u32_e32 0xffffff, v73
	s_cbranch_execz .LBB283_1597
; %bb.1590:                             ;   in Loop: Header=BB283_1055 Depth=1
	v_lshrrev_b32_e32 v74, 24, v73
	v_dual_mov_b32 v21, s9 :: v_dual_mov_b32 v20, s8
	s_mov_b32 s13, exec_lo
	s_delay_alu instid0(VALU_DEP_2)
	v_cmpx_ne_u32_e32 0x80, v74
	s_cbranch_execz .LBB283_1596
; %bb.1591:                             ;   in Loop: Header=BB283_1055 Depth=1
	s_mov_b32 s10, s8
	v_bfe_u32 v73, v73, 24, 7
	v_dual_mov_b32 v21, s11 :: v_dual_mov_b32 v20, s10
	s_mov_b32 s10, exec_lo
	s_delay_alu instid0(VALU_DEP_2)
	v_cmpx_ne_u32_e32 0x7f, v73
	s_cbranch_execz .LBB283_1595
; %bb.1592:                             ;   in Loop: Header=BB283_1055 Depth=1
	v_and_b32_e32 v8, 7, v74
	v_lshrrev_b32_e32 v20, 3, v73
	s_mov_b32 s15, exec_lo
	v_cmpx_gt_u32_e32 8, v73
; %bb.1593:                             ;   in Loop: Header=BB283_1055 Depth=1
	s_delay_alu instid0(VALU_DEP_3) | instskip(NEXT) | instid1(VALU_DEP_1)
	v_clz_i32_u32_e32 v20, v8
	v_min_u32_e32 v20, 32, v20
	s_delay_alu instid0(VALU_DEP_1) | instskip(SKIP_1) | instid1(VALU_DEP_2)
	v_subrev_nc_u32_e32 v21, 28, v20
	v_sub_nc_u32_e32 v20, 29, v20
	v_lshlrev_b64 v[75:76], v21, v[8:9]
	s_delay_alu instid0(VALU_DEP_1)
	v_and_b32_e32 v8, 7, v75
; %bb.1594:                             ;   in Loop: Header=BB283_1055 Depth=1
	s_or_b32 exec_lo, exec_lo, s15
	v_lshlrev_b32_e32 v21, 24, v74
	s_delay_alu instid0(VALU_DEP_2) | instskip(SKIP_1) | instid1(VALU_DEP_3)
	v_lshlrev_b32_e32 v8, 20, v8
	v_lshl_add_u32 v20, v20, 23, 0x3c000000
	v_and_b32_e32 v21, 0x80000000, v21
	s_delay_alu instid0(VALU_DEP_1)
	v_or3_b32 v21, v8, v21, v20
	v_mov_b32_e32 v20, v9
.LBB283_1595:                           ;   in Loop: Header=BB283_1055 Depth=1
	s_or_b32 exec_lo, exec_lo, s10
.LBB283_1596:                           ;   in Loop: Header=BB283_1055 Depth=1
	s_delay_alu instid0(SALU_CYCLE_1)
	s_or_b32 exec_lo, exec_lo, s13
.LBB283_1597:                           ;   in Loop: Header=BB283_1055 Depth=1
	s_delay_alu instid0(SALU_CYCLE_1) | instskip(SKIP_4) | instid1(VALU_DEP_3)
	s_or_b32 exec_lo, exec_lo, s12
	v_or_b32_e32 v5, v17, v5
	v_or_b32_e32 v4, v16, v4
	;; [unrolled: 1-line block ×4, first 2 shown]
	v_dual_mul_f32 v76, v96, v5 :: v_dual_mul_f32 v75, v82, v4
	s_delay_alu instid0(VALU_DEP_3) | instskip(NEXT) | instid1(VALU_DEP_3)
	v_mul_f32_e32 v73, v96, v8
	v_mul_f32_e32 v74, v82, v16
	s_and_saveexec_b32 s10, vcc_lo
; %bb.1598:                             ;   in Loop: Header=BB283_1055 Depth=1
	v_cmp_lt_i32_e64 s0, v102, v98
	s_delay_alu instid0(VALU_DEP_1) | instskip(SKIP_1) | instid1(VALU_DEP_1)
	v_cndmask_b32_e64 v75, 0, v75, s0
	v_cmp_lt_i32_e64 s0, v112, v98
	v_cndmask_b32_e64 v76, 0, v76, s0
	v_cmp_lt_i32_e64 s0, v103, v98
	s_delay_alu instid0(VALU_DEP_1) | instskip(SKIP_1) | instid1(VALU_DEP_1)
	v_cndmask_b32_e64 v74, 0, v74, s0
	v_cmp_lt_i32_e64 s0, v86, v98
	v_cndmask_b32_e64 v73, 0, v73, s0
; %bb.1599:                             ;   in Loop: Header=BB283_1055 Depth=1
	s_or_b32 exec_lo, exec_lo, s10
	flat_load_b32 v77, v[14:15] offset:2048
	v_mov_b32_e32 v16, 0
	v_mov_b32_e32 v17, 0
	s_mov_b32 s10, exec_lo
	s_waitcnt vmcnt(0) lgkmcnt(0)
	v_and_b32_e32 v8, 0xff, v77
	s_delay_alu instid0(VALU_DEP_2) | instskip(NEXT) | instid1(VALU_DEP_2)
	v_dual_mov_b32 v4, v16 :: v_dual_mov_b32 v5, v17
	v_cmpx_ne_u16_e32 0, v8
	s_cbranch_execz .LBB283_1607
; %bb.1600:                             ;   in Loop: Header=BB283_1055 Depth=1
	v_bfrev_b32_e32 v4, 1
	v_mov_b32_e32 v5, 0
	s_mov_b32 s12, exec_lo
	v_cmpx_ne_u16_e32 0x80, v8
	s_cbranch_execz .LBB283_1606
; %bb.1601:                             ;   in Loop: Header=BB283_1055 Depth=1
	v_mov_b32_e32 v4, 0x7f800001
	v_dual_mov_b32 v5, 0 :: v_dual_and_b32 v18, 0x7f, v77
	s_mov_b32 s13, exec_lo
	s_delay_alu instid0(VALU_DEP_1)
	v_cmpx_ne_u32_e32 0x7f, v18
	s_cbranch_execz .LBB283_1605
; %bb.1602:                             ;   in Loop: Header=BB283_1055 Depth=1
	v_and_b32_e32 v8, 7, v77
	v_lshrrev_b32_e32 v4, 3, v18
	s_mov_b32 s15, exec_lo
	v_cmpx_gt_u32_e32 8, v18
; %bb.1603:                             ;   in Loop: Header=BB283_1055 Depth=1
	s_delay_alu instid0(VALU_DEP_3) | instskip(NEXT) | instid1(VALU_DEP_1)
	v_clz_i32_u32_e32 v4, v8
	v_min_u32_e32 v4, 32, v4
	s_delay_alu instid0(VALU_DEP_1) | instskip(SKIP_1) | instid1(VALU_DEP_2)
	v_subrev_nc_u32_e32 v5, 28, v4
	v_sub_nc_u32_e32 v4, 29, v4
	v_lshlrev_b64 v[18:19], v5, v[8:9]
	s_delay_alu instid0(VALU_DEP_1)
	v_and_b32_e32 v8, 7, v18
; %bb.1604:                             ;   in Loop: Header=BB283_1055 Depth=1
	s_or_b32 exec_lo, exec_lo, s15
	v_lshlrev_b32_e32 v5, 24, v77
	s_delay_alu instid0(VALU_DEP_2) | instskip(SKIP_1) | instid1(VALU_DEP_3)
	v_lshlrev_b32_e32 v8, 20, v8
	v_lshl_add_u32 v4, v4, 23, 0x3c000000
	v_and_b32_e32 v5, 0x80000000, v5
	s_delay_alu instid0(VALU_DEP_1) | instskip(NEXT) | instid1(VALU_DEP_1)
	v_or3_b32 v8, v8, v5, v4
	v_dual_mov_b32 v4, v8 :: v_dual_mov_b32 v5, v9
.LBB283_1605:                           ;   in Loop: Header=BB283_1055 Depth=1
	s_or_b32 exec_lo, exec_lo, s13
.LBB283_1606:                           ;   in Loop: Header=BB283_1055 Depth=1
	s_delay_alu instid0(SALU_CYCLE_1)
	s_or_b32 exec_lo, exec_lo, s12
.LBB283_1607:                           ;   in Loop: Header=BB283_1055 Depth=1
	s_delay_alu instid0(SALU_CYCLE_1) | instskip(SKIP_2) | instid1(VALU_DEP_1)
	s_or_b32 exec_lo, exec_lo, s10
	v_lshrrev_b16 v8, 8, v77
	s_mov_b32 s12, exec_lo
	v_cmpx_ne_u16_e32 0, v8
	s_cbranch_execz .LBB283_1615
; %bb.1608:                             ;   in Loop: Header=BB283_1055 Depth=1
	v_dual_mov_b32 v17, s9 :: v_dual_mov_b32 v16, s8
	s_mov_b32 s13, exec_lo
	v_cmpx_ne_u16_e32 0x80, v8
	s_cbranch_execz .LBB283_1614
; %bb.1609:                             ;   in Loop: Header=BB283_1055 Depth=1
	s_mov_b32 s10, s8
	v_dual_mov_b32 v17, s11 :: v_dual_and_b32 v8, 0xffff, v8
	v_mov_b32_e32 v16, s10
	s_mov_b32 s10, exec_lo
	s_delay_alu instid0(VALU_DEP_2) | instskip(NEXT) | instid1(VALU_DEP_1)
	v_and_b32_e32 v18, 0x7f, v8
	v_cmpx_ne_u32_e32 0x7f, v18
	s_cbranch_execz .LBB283_1613
; %bb.1610:                             ;   in Loop: Header=BB283_1055 Depth=1
	v_and_b32_e32 v8, 7, v8
	v_lshrrev_b32_e32 v16, 3, v18
	s_mov_b32 s15, exec_lo
	v_cmpx_gt_u32_e32 8, v18
; %bb.1611:                             ;   in Loop: Header=BB283_1055 Depth=1
	s_delay_alu instid0(VALU_DEP_3) | instskip(NEXT) | instid1(VALU_DEP_1)
	v_clz_i32_u32_e32 v16, v8
	v_min_u32_e32 v16, 32, v16
	s_delay_alu instid0(VALU_DEP_1) | instskip(SKIP_1) | instid1(VALU_DEP_2)
	v_subrev_nc_u32_e32 v17, 28, v16
	v_sub_nc_u32_e32 v16, 29, v16
	v_lshlrev_b64 v[17:18], v17, v[8:9]
	s_delay_alu instid0(VALU_DEP_1)
	v_and_b32_e32 v8, 7, v17
; %bb.1612:                             ;   in Loop: Header=BB283_1055 Depth=1
	s_or_b32 exec_lo, exec_lo, s15
	v_lshlrev_b32_e32 v17, 16, v77
	s_delay_alu instid0(VALU_DEP_2) | instskip(SKIP_1) | instid1(VALU_DEP_3)
	v_lshlrev_b32_e32 v8, 20, v8
	v_lshl_add_u32 v16, v16, 23, 0x3c000000
	v_and_b32_e32 v17, 0x80000000, v17
	s_delay_alu instid0(VALU_DEP_1)
	v_or3_b32 v17, v8, v17, v16
	v_mov_b32_e32 v16, v9
.LBB283_1613:                           ;   in Loop: Header=BB283_1055 Depth=1
	s_or_b32 exec_lo, exec_lo, s10
.LBB283_1614:                           ;   in Loop: Header=BB283_1055 Depth=1
	s_delay_alu instid0(SALU_CYCLE_1)
	s_or_b32 exec_lo, exec_lo, s13
.LBB283_1615:                           ;   in Loop: Header=BB283_1055 Depth=1
	s_delay_alu instid0(SALU_CYCLE_1) | instskip(SKIP_4) | instid1(VALU_DEP_2)
	s_or_b32 exec_lo, exec_lo, s12
	v_mov_b32_e32 v20, 0
	v_lshrrev_b32_e32 v78, 16, v77
	v_mov_b32_e32 v21, 0
	s_mov_b32 s10, exec_lo
	v_and_b32_e32 v8, 0xff, v78
	s_delay_alu instid0(VALU_DEP_2) | instskip(NEXT) | instid1(VALU_DEP_2)
	v_dual_mov_b32 v18, v20 :: v_dual_mov_b32 v19, v21
	v_cmpx_ne_u16_e32 0, v8
	s_cbranch_execz .LBB283_1623
; %bb.1616:                             ;   in Loop: Header=BB283_1055 Depth=1
	v_bfrev_b32_e32 v18, 1
	v_mov_b32_e32 v19, 0
	s_mov_b32 s12, exec_lo
	v_cmpx_ne_u16_e32 0x80, v8
	s_cbranch_execz .LBB283_1622
; %bb.1617:                             ;   in Loop: Header=BB283_1055 Depth=1
	v_mov_b32_e32 v18, 0x7f800001
	v_bfe_u32 v79, v77, 16, 7
	v_mov_b32_e32 v19, 0
	s_mov_b32 s13, exec_lo
	s_delay_alu instid0(VALU_DEP_2)
	v_cmpx_ne_u32_e32 0x7f, v79
	s_cbranch_execz .LBB283_1621
; %bb.1618:                             ;   in Loop: Header=BB283_1055 Depth=1
	v_and_b32_e32 v8, 7, v78
	v_lshrrev_b32_e32 v18, 3, v79
	s_mov_b32 s15, exec_lo
	v_cmpx_gt_u32_e32 8, v79
; %bb.1619:                             ;   in Loop: Header=BB283_1055 Depth=1
	s_delay_alu instid0(VALU_DEP_3) | instskip(NEXT) | instid1(VALU_DEP_1)
	v_clz_i32_u32_e32 v18, v8
	v_min_u32_e32 v18, 32, v18
	s_delay_alu instid0(VALU_DEP_1) | instskip(SKIP_1) | instid1(VALU_DEP_2)
	v_subrev_nc_u32_e32 v19, 28, v18
	v_sub_nc_u32_e32 v18, 29, v18
	v_lshlrev_b64 v[88:89], v19, v[8:9]
	s_delay_alu instid0(VALU_DEP_1)
	v_and_b32_e32 v8, 7, v88
; %bb.1620:                             ;   in Loop: Header=BB283_1055 Depth=1
	s_or_b32 exec_lo, exec_lo, s15
	v_lshlrev_b32_e32 v19, 24, v78
	s_delay_alu instid0(VALU_DEP_2) | instskip(SKIP_1) | instid1(VALU_DEP_3)
	v_lshlrev_b32_e32 v8, 20, v8
	v_lshl_add_u32 v18, v18, 23, 0x3c000000
	v_and_b32_e32 v19, 0x80000000, v19
	s_delay_alu instid0(VALU_DEP_1) | instskip(NEXT) | instid1(VALU_DEP_1)
	v_or3_b32 v8, v8, v19, v18
	v_dual_mov_b32 v19, v9 :: v_dual_mov_b32 v18, v8
.LBB283_1621:                           ;   in Loop: Header=BB283_1055 Depth=1
	s_or_b32 exec_lo, exec_lo, s13
.LBB283_1622:                           ;   in Loop: Header=BB283_1055 Depth=1
	s_delay_alu instid0(SALU_CYCLE_1)
	s_or_b32 exec_lo, exec_lo, s12
.LBB283_1623:                           ;   in Loop: Header=BB283_1055 Depth=1
	s_delay_alu instid0(SALU_CYCLE_1) | instskip(NEXT) | instid1(SALU_CYCLE_1)
	s_or_b32 exec_lo, exec_lo, s10
	s_mov_b32 s12, exec_lo
	v_cmpx_lt_u32_e32 0xffffff, v77
	s_cbranch_execz .LBB283_1631
; %bb.1624:                             ;   in Loop: Header=BB283_1055 Depth=1
	v_lshrrev_b32_e32 v78, 24, v77
	v_dual_mov_b32 v21, s9 :: v_dual_mov_b32 v20, s8
	s_mov_b32 s13, exec_lo
	s_delay_alu instid0(VALU_DEP_2)
	v_cmpx_ne_u32_e32 0x80, v78
	s_cbranch_execz .LBB283_1630
; %bb.1625:                             ;   in Loop: Header=BB283_1055 Depth=1
	s_mov_b32 s10, s8
	v_bfe_u32 v77, v77, 24, 7
	v_dual_mov_b32 v21, s11 :: v_dual_mov_b32 v20, s10
	s_mov_b32 s10, exec_lo
	s_delay_alu instid0(VALU_DEP_2)
	v_cmpx_ne_u32_e32 0x7f, v77
	s_cbranch_execz .LBB283_1629
; %bb.1626:                             ;   in Loop: Header=BB283_1055 Depth=1
	v_and_b32_e32 v8, 7, v78
	v_lshrrev_b32_e32 v20, 3, v77
	s_mov_b32 s15, exec_lo
	v_cmpx_gt_u32_e32 8, v77
; %bb.1627:                             ;   in Loop: Header=BB283_1055 Depth=1
	s_delay_alu instid0(VALU_DEP_3) | instskip(NEXT) | instid1(VALU_DEP_1)
	v_clz_i32_u32_e32 v20, v8
	v_min_u32_e32 v20, 32, v20
	s_delay_alu instid0(VALU_DEP_1) | instskip(SKIP_1) | instid1(VALU_DEP_2)
	v_subrev_nc_u32_e32 v21, 28, v20
	v_sub_nc_u32_e32 v20, 29, v20
	v_lshlrev_b64 v[88:89], v21, v[8:9]
	s_delay_alu instid0(VALU_DEP_1)
	v_and_b32_e32 v8, 7, v88
; %bb.1628:                             ;   in Loop: Header=BB283_1055 Depth=1
	s_or_b32 exec_lo, exec_lo, s15
	v_lshlrev_b32_e32 v21, 24, v78
	s_delay_alu instid0(VALU_DEP_2) | instskip(SKIP_1) | instid1(VALU_DEP_3)
	v_lshlrev_b32_e32 v8, 20, v8
	v_lshl_add_u32 v20, v20, 23, 0x3c000000
	v_and_b32_e32 v21, 0x80000000, v21
	s_delay_alu instid0(VALU_DEP_1)
	v_or3_b32 v21, v8, v21, v20
	v_mov_b32_e32 v20, v9
.LBB283_1629:                           ;   in Loop: Header=BB283_1055 Depth=1
	s_or_b32 exec_lo, exec_lo, s10
.LBB283_1630:                           ;   in Loop: Header=BB283_1055 Depth=1
	s_delay_alu instid0(SALU_CYCLE_1)
	s_or_b32 exec_lo, exec_lo, s13
.LBB283_1631:                           ;   in Loop: Header=BB283_1055 Depth=1
	s_delay_alu instid0(SALU_CYCLE_1) | instskip(SKIP_4) | instid1(VALU_DEP_3)
	s_or_b32 exec_lo, exec_lo, s12
	v_or_b32_e32 v5, v17, v5
	v_or_b32_e32 v4, v16, v4
	v_or_b32_e32 v8, v21, v19
	v_or_b32_e32 v16, v20, v18
	v_dual_mul_f32 v88, v96, v5 :: v_dual_mul_f32 v79, v82, v4
	s_delay_alu instid0(VALU_DEP_3) | instskip(NEXT) | instid1(VALU_DEP_3)
	v_mul_f32_e32 v77, v96, v8
	v_mul_f32_e32 v78, v82, v16
	s_and_saveexec_b32 s10, vcc_lo
; %bb.1632:                             ;   in Loop: Header=BB283_1055 Depth=1
	v_cmp_lt_i32_e64 s0, v102, v98
	s_delay_alu instid0(VALU_DEP_1) | instskip(SKIP_1) | instid1(VALU_DEP_1)
	v_cndmask_b32_e64 v79, 0, v79, s0
	v_cmp_lt_i32_e64 s0, v112, v98
	v_cndmask_b32_e64 v88, 0, v88, s0
	v_cmp_lt_i32_e64 s0, v103, v98
	s_delay_alu instid0(VALU_DEP_1) | instskip(SKIP_1) | instid1(VALU_DEP_1)
	v_cndmask_b32_e64 v78, 0, v78, s0
	v_cmp_lt_i32_e64 s0, v86, v98
	v_cndmask_b32_e64 v77, 0, v77, s0
; %bb.1633:                             ;   in Loop: Header=BB283_1055 Depth=1
	s_or_b32 exec_lo, exec_lo, s10
	flat_load_b32 v89, v[14:15] offset:2176
	v_mov_b32_e32 v16, 0
	v_mov_b32_e32 v17, 0
	s_mov_b32 s10, exec_lo
	s_waitcnt vmcnt(0) lgkmcnt(0)
	v_and_b32_e32 v8, 0xff, v89
	s_delay_alu instid0(VALU_DEP_2) | instskip(NEXT) | instid1(VALU_DEP_2)
	v_dual_mov_b32 v4, v16 :: v_dual_mov_b32 v5, v17
	v_cmpx_ne_u16_e32 0, v8
	s_cbranch_execz .LBB283_1641
; %bb.1634:                             ;   in Loop: Header=BB283_1055 Depth=1
	v_bfrev_b32_e32 v4, 1
	v_mov_b32_e32 v5, 0
	s_mov_b32 s12, exec_lo
	v_cmpx_ne_u16_e32 0x80, v8
	s_cbranch_execz .LBB283_1640
; %bb.1635:                             ;   in Loop: Header=BB283_1055 Depth=1
	v_mov_b32_e32 v4, 0x7f800001
	v_dual_mov_b32 v5, 0 :: v_dual_and_b32 v18, 0x7f, v89
	s_mov_b32 s13, exec_lo
	s_delay_alu instid0(VALU_DEP_1)
	v_cmpx_ne_u32_e32 0x7f, v18
	s_cbranch_execz .LBB283_1639
; %bb.1636:                             ;   in Loop: Header=BB283_1055 Depth=1
	v_and_b32_e32 v8, 7, v89
	v_lshrrev_b32_e32 v4, 3, v18
	s_mov_b32 s15, exec_lo
	v_cmpx_gt_u32_e32 8, v18
; %bb.1637:                             ;   in Loop: Header=BB283_1055 Depth=1
	s_delay_alu instid0(VALU_DEP_3) | instskip(NEXT) | instid1(VALU_DEP_1)
	v_clz_i32_u32_e32 v4, v8
	v_min_u32_e32 v4, 32, v4
	s_delay_alu instid0(VALU_DEP_1) | instskip(SKIP_1) | instid1(VALU_DEP_2)
	v_subrev_nc_u32_e32 v5, 28, v4
	v_sub_nc_u32_e32 v4, 29, v4
	v_lshlrev_b64 v[18:19], v5, v[8:9]
	s_delay_alu instid0(VALU_DEP_1)
	v_and_b32_e32 v8, 7, v18
; %bb.1638:                             ;   in Loop: Header=BB283_1055 Depth=1
	s_or_b32 exec_lo, exec_lo, s15
	v_lshlrev_b32_e32 v5, 24, v89
	s_delay_alu instid0(VALU_DEP_2) | instskip(SKIP_1) | instid1(VALU_DEP_3)
	v_lshlrev_b32_e32 v8, 20, v8
	v_lshl_add_u32 v4, v4, 23, 0x3c000000
	v_and_b32_e32 v5, 0x80000000, v5
	s_delay_alu instid0(VALU_DEP_1) | instskip(NEXT) | instid1(VALU_DEP_1)
	v_or3_b32 v8, v8, v5, v4
	v_dual_mov_b32 v4, v8 :: v_dual_mov_b32 v5, v9
.LBB283_1639:                           ;   in Loop: Header=BB283_1055 Depth=1
	s_or_b32 exec_lo, exec_lo, s13
.LBB283_1640:                           ;   in Loop: Header=BB283_1055 Depth=1
	s_delay_alu instid0(SALU_CYCLE_1)
	s_or_b32 exec_lo, exec_lo, s12
.LBB283_1641:                           ;   in Loop: Header=BB283_1055 Depth=1
	s_delay_alu instid0(SALU_CYCLE_1) | instskip(SKIP_2) | instid1(VALU_DEP_1)
	s_or_b32 exec_lo, exec_lo, s10
	v_lshrrev_b16 v8, 8, v89
	s_mov_b32 s12, exec_lo
	v_cmpx_ne_u16_e32 0, v8
	s_cbranch_execz .LBB283_1649
; %bb.1642:                             ;   in Loop: Header=BB283_1055 Depth=1
	v_dual_mov_b32 v17, s9 :: v_dual_mov_b32 v16, s8
	s_mov_b32 s13, exec_lo
	v_cmpx_ne_u16_e32 0x80, v8
	s_cbranch_execz .LBB283_1648
; %bb.1643:                             ;   in Loop: Header=BB283_1055 Depth=1
	s_mov_b32 s10, s8
	v_dual_mov_b32 v17, s11 :: v_dual_and_b32 v8, 0xffff, v8
	v_mov_b32_e32 v16, s10
	s_mov_b32 s10, exec_lo
	s_delay_alu instid0(VALU_DEP_2) | instskip(NEXT) | instid1(VALU_DEP_1)
	v_and_b32_e32 v18, 0x7f, v8
	v_cmpx_ne_u32_e32 0x7f, v18
	s_cbranch_execz .LBB283_1647
; %bb.1644:                             ;   in Loop: Header=BB283_1055 Depth=1
	v_and_b32_e32 v8, 7, v8
	v_lshrrev_b32_e32 v16, 3, v18
	s_mov_b32 s15, exec_lo
	v_cmpx_gt_u32_e32 8, v18
; %bb.1645:                             ;   in Loop: Header=BB283_1055 Depth=1
	s_delay_alu instid0(VALU_DEP_3) | instskip(NEXT) | instid1(VALU_DEP_1)
	v_clz_i32_u32_e32 v16, v8
	v_min_u32_e32 v16, 32, v16
	s_delay_alu instid0(VALU_DEP_1) | instskip(SKIP_1) | instid1(VALU_DEP_2)
	v_subrev_nc_u32_e32 v17, 28, v16
	v_sub_nc_u32_e32 v16, 29, v16
	v_lshlrev_b64 v[17:18], v17, v[8:9]
	s_delay_alu instid0(VALU_DEP_1)
	v_and_b32_e32 v8, 7, v17
; %bb.1646:                             ;   in Loop: Header=BB283_1055 Depth=1
	s_or_b32 exec_lo, exec_lo, s15
	v_lshlrev_b32_e32 v17, 16, v89
	s_delay_alu instid0(VALU_DEP_2) | instskip(SKIP_1) | instid1(VALU_DEP_3)
	v_lshlrev_b32_e32 v8, 20, v8
	v_lshl_add_u32 v16, v16, 23, 0x3c000000
	v_and_b32_e32 v17, 0x80000000, v17
	s_delay_alu instid0(VALU_DEP_1)
	v_or3_b32 v17, v8, v17, v16
	v_mov_b32_e32 v16, v9
.LBB283_1647:                           ;   in Loop: Header=BB283_1055 Depth=1
	s_or_b32 exec_lo, exec_lo, s10
.LBB283_1648:                           ;   in Loop: Header=BB283_1055 Depth=1
	s_delay_alu instid0(SALU_CYCLE_1)
	s_or_b32 exec_lo, exec_lo, s13
.LBB283_1649:                           ;   in Loop: Header=BB283_1055 Depth=1
	s_delay_alu instid0(SALU_CYCLE_1) | instskip(SKIP_4) | instid1(VALU_DEP_2)
	s_or_b32 exec_lo, exec_lo, s12
	v_mov_b32_e32 v20, 0
	v_lshrrev_b32_e32 v90, 16, v89
	v_mov_b32_e32 v21, 0
	s_mov_b32 s10, exec_lo
	v_and_b32_e32 v8, 0xff, v90
	s_delay_alu instid0(VALU_DEP_2) | instskip(NEXT) | instid1(VALU_DEP_2)
	v_dual_mov_b32 v18, v20 :: v_dual_mov_b32 v19, v21
	v_cmpx_ne_u16_e32 0, v8
	s_cbranch_execz .LBB283_1657
; %bb.1650:                             ;   in Loop: Header=BB283_1055 Depth=1
	v_bfrev_b32_e32 v18, 1
	v_mov_b32_e32 v19, 0
	s_mov_b32 s12, exec_lo
	v_cmpx_ne_u16_e32 0x80, v8
	s_cbranch_execz .LBB283_1656
; %bb.1651:                             ;   in Loop: Header=BB283_1055 Depth=1
	v_mov_b32_e32 v18, 0x7f800001
	v_bfe_u32 v91, v89, 16, 7
	v_mov_b32_e32 v19, 0
	s_mov_b32 s13, exec_lo
	s_delay_alu instid0(VALU_DEP_2)
	v_cmpx_ne_u32_e32 0x7f, v91
	s_cbranch_execz .LBB283_1655
; %bb.1652:                             ;   in Loop: Header=BB283_1055 Depth=1
	v_and_b32_e32 v8, 7, v90
	v_lshrrev_b32_e32 v18, 3, v91
	s_mov_b32 s15, exec_lo
	v_cmpx_gt_u32_e32 8, v91
; %bb.1653:                             ;   in Loop: Header=BB283_1055 Depth=1
	s_delay_alu instid0(VALU_DEP_3) | instskip(NEXT) | instid1(VALU_DEP_1)
	v_clz_i32_u32_e32 v18, v8
	v_min_u32_e32 v18, 32, v18
	s_delay_alu instid0(VALU_DEP_1) | instskip(SKIP_1) | instid1(VALU_DEP_2)
	v_subrev_nc_u32_e32 v19, 28, v18
	v_sub_nc_u32_e32 v18, 29, v18
	v_lshlrev_b64 v[91:92], v19, v[8:9]
	s_delay_alu instid0(VALU_DEP_1)
	v_and_b32_e32 v8, 7, v91
; %bb.1654:                             ;   in Loop: Header=BB283_1055 Depth=1
	s_or_b32 exec_lo, exec_lo, s15
	v_lshlrev_b32_e32 v19, 24, v90
	s_delay_alu instid0(VALU_DEP_2) | instskip(SKIP_1) | instid1(VALU_DEP_3)
	v_lshlrev_b32_e32 v8, 20, v8
	v_lshl_add_u32 v18, v18, 23, 0x3c000000
	v_and_b32_e32 v19, 0x80000000, v19
	s_delay_alu instid0(VALU_DEP_1) | instskip(NEXT) | instid1(VALU_DEP_1)
	v_or3_b32 v8, v8, v19, v18
	v_dual_mov_b32 v19, v9 :: v_dual_mov_b32 v18, v8
.LBB283_1655:                           ;   in Loop: Header=BB283_1055 Depth=1
	s_or_b32 exec_lo, exec_lo, s13
.LBB283_1656:                           ;   in Loop: Header=BB283_1055 Depth=1
	s_delay_alu instid0(SALU_CYCLE_1)
	s_or_b32 exec_lo, exec_lo, s12
.LBB283_1657:                           ;   in Loop: Header=BB283_1055 Depth=1
	s_delay_alu instid0(SALU_CYCLE_1) | instskip(NEXT) | instid1(SALU_CYCLE_1)
	s_or_b32 exec_lo, exec_lo, s10
	s_mov_b32 s12, exec_lo
	v_cmpx_lt_u32_e32 0xffffff, v89
	s_cbranch_execz .LBB283_1665
; %bb.1658:                             ;   in Loop: Header=BB283_1055 Depth=1
	v_lshrrev_b32_e32 v90, 24, v89
	v_dual_mov_b32 v21, s9 :: v_dual_mov_b32 v20, s8
	s_mov_b32 s13, exec_lo
	s_delay_alu instid0(VALU_DEP_2)
	v_cmpx_ne_u32_e32 0x80, v90
	s_cbranch_execz .LBB283_1664
; %bb.1659:                             ;   in Loop: Header=BB283_1055 Depth=1
	s_mov_b32 s10, s8
	v_bfe_u32 v89, v89, 24, 7
	v_dual_mov_b32 v21, s11 :: v_dual_mov_b32 v20, s10
	s_mov_b32 s10, exec_lo
	s_delay_alu instid0(VALU_DEP_2)
	v_cmpx_ne_u32_e32 0x7f, v89
	s_cbranch_execz .LBB283_1663
; %bb.1660:                             ;   in Loop: Header=BB283_1055 Depth=1
	v_and_b32_e32 v8, 7, v90
	v_lshrrev_b32_e32 v20, 3, v89
	s_mov_b32 s15, exec_lo
	v_cmpx_gt_u32_e32 8, v89
; %bb.1661:                             ;   in Loop: Header=BB283_1055 Depth=1
	s_delay_alu instid0(VALU_DEP_3) | instskip(NEXT) | instid1(VALU_DEP_1)
	v_clz_i32_u32_e32 v20, v8
	v_min_u32_e32 v20, 32, v20
	s_delay_alu instid0(VALU_DEP_1) | instskip(SKIP_1) | instid1(VALU_DEP_2)
	v_subrev_nc_u32_e32 v21, 28, v20
	v_sub_nc_u32_e32 v20, 29, v20
	v_lshlrev_b64 v[91:92], v21, v[8:9]
	s_delay_alu instid0(VALU_DEP_1)
	v_and_b32_e32 v8, 7, v91
; %bb.1662:                             ;   in Loop: Header=BB283_1055 Depth=1
	s_or_b32 exec_lo, exec_lo, s15
	v_lshlrev_b32_e32 v21, 24, v90
	s_delay_alu instid0(VALU_DEP_2) | instskip(SKIP_1) | instid1(VALU_DEP_3)
	v_lshlrev_b32_e32 v8, 20, v8
	v_lshl_add_u32 v20, v20, 23, 0x3c000000
	v_and_b32_e32 v21, 0x80000000, v21
	s_delay_alu instid0(VALU_DEP_1)
	v_or3_b32 v21, v8, v21, v20
	v_mov_b32_e32 v20, v9
.LBB283_1663:                           ;   in Loop: Header=BB283_1055 Depth=1
	s_or_b32 exec_lo, exec_lo, s10
.LBB283_1664:                           ;   in Loop: Header=BB283_1055 Depth=1
	s_delay_alu instid0(SALU_CYCLE_1)
	s_or_b32 exec_lo, exec_lo, s13
.LBB283_1665:                           ;   in Loop: Header=BB283_1055 Depth=1
	s_delay_alu instid0(SALU_CYCLE_1) | instskip(SKIP_4) | instid1(VALU_DEP_3)
	s_or_b32 exec_lo, exec_lo, s12
	v_or_b32_e32 v5, v17, v5
	v_or_b32_e32 v4, v16, v4
	;; [unrolled: 1-line block ×4, first 2 shown]
	v_dual_mul_f32 v92, v96, v5 :: v_dual_mul_f32 v91, v82, v4
	s_delay_alu instid0(VALU_DEP_3) | instskip(NEXT) | instid1(VALU_DEP_3)
	v_mul_f32_e32 v89, v96, v8
	v_mul_f32_e32 v90, v82, v16
	s_and_saveexec_b32 s10, vcc_lo
; %bb.1666:                             ;   in Loop: Header=BB283_1055 Depth=1
	v_cmp_lt_i32_e64 s0, v102, v98
	s_delay_alu instid0(VALU_DEP_1) | instskip(SKIP_1) | instid1(VALU_DEP_1)
	v_cndmask_b32_e64 v91, 0, v91, s0
	v_cmp_lt_i32_e64 s0, v112, v98
	v_cndmask_b32_e64 v92, 0, v92, s0
	v_cmp_lt_i32_e64 s0, v103, v98
	s_delay_alu instid0(VALU_DEP_1) | instskip(SKIP_1) | instid1(VALU_DEP_1)
	v_cndmask_b32_e64 v90, 0, v90, s0
	v_cmp_lt_i32_e64 s0, v86, v98
	v_cndmask_b32_e64 v89, 0, v89, s0
; %bb.1667:                             ;   in Loop: Header=BB283_1055 Depth=1
	s_or_b32 exec_lo, exec_lo, s10
	flat_load_b32 v93, v[14:15] offset:2304
	v_mov_b32_e32 v16, 0
	v_mov_b32_e32 v17, 0
	s_mov_b32 s10, exec_lo
	s_waitcnt vmcnt(0) lgkmcnt(0)
	v_and_b32_e32 v8, 0xff, v93
	s_delay_alu instid0(VALU_DEP_2) | instskip(NEXT) | instid1(VALU_DEP_2)
	v_dual_mov_b32 v4, v16 :: v_dual_mov_b32 v5, v17
	v_cmpx_ne_u16_e32 0, v8
	s_cbranch_execz .LBB283_1675
; %bb.1668:                             ;   in Loop: Header=BB283_1055 Depth=1
	v_bfrev_b32_e32 v4, 1
	v_mov_b32_e32 v5, 0
	s_mov_b32 s12, exec_lo
	v_cmpx_ne_u16_e32 0x80, v8
	s_cbranch_execz .LBB283_1674
; %bb.1669:                             ;   in Loop: Header=BB283_1055 Depth=1
	v_mov_b32_e32 v4, 0x7f800001
	v_dual_mov_b32 v5, 0 :: v_dual_and_b32 v18, 0x7f, v93
	s_mov_b32 s13, exec_lo
	s_delay_alu instid0(VALU_DEP_1)
	v_cmpx_ne_u32_e32 0x7f, v18
	s_cbranch_execz .LBB283_1673
; %bb.1670:                             ;   in Loop: Header=BB283_1055 Depth=1
	v_and_b32_e32 v8, 7, v93
	v_lshrrev_b32_e32 v4, 3, v18
	s_mov_b32 s15, exec_lo
	v_cmpx_gt_u32_e32 8, v18
; %bb.1671:                             ;   in Loop: Header=BB283_1055 Depth=1
	s_delay_alu instid0(VALU_DEP_3) | instskip(NEXT) | instid1(VALU_DEP_1)
	v_clz_i32_u32_e32 v4, v8
	v_min_u32_e32 v4, 32, v4
	s_delay_alu instid0(VALU_DEP_1) | instskip(SKIP_1) | instid1(VALU_DEP_2)
	v_subrev_nc_u32_e32 v5, 28, v4
	v_sub_nc_u32_e32 v4, 29, v4
	v_lshlrev_b64 v[18:19], v5, v[8:9]
	s_delay_alu instid0(VALU_DEP_1)
	v_and_b32_e32 v8, 7, v18
; %bb.1672:                             ;   in Loop: Header=BB283_1055 Depth=1
	s_or_b32 exec_lo, exec_lo, s15
	v_lshlrev_b32_e32 v5, 24, v93
	s_delay_alu instid0(VALU_DEP_2) | instskip(SKIP_1) | instid1(VALU_DEP_3)
	v_lshlrev_b32_e32 v8, 20, v8
	v_lshl_add_u32 v4, v4, 23, 0x3c000000
	v_and_b32_e32 v5, 0x80000000, v5
	s_delay_alu instid0(VALU_DEP_1) | instskip(NEXT) | instid1(VALU_DEP_1)
	v_or3_b32 v8, v8, v5, v4
	v_dual_mov_b32 v4, v8 :: v_dual_mov_b32 v5, v9
.LBB283_1673:                           ;   in Loop: Header=BB283_1055 Depth=1
	s_or_b32 exec_lo, exec_lo, s13
.LBB283_1674:                           ;   in Loop: Header=BB283_1055 Depth=1
	s_delay_alu instid0(SALU_CYCLE_1)
	s_or_b32 exec_lo, exec_lo, s12
.LBB283_1675:                           ;   in Loop: Header=BB283_1055 Depth=1
	s_delay_alu instid0(SALU_CYCLE_1) | instskip(SKIP_2) | instid1(VALU_DEP_1)
	s_or_b32 exec_lo, exec_lo, s10
	v_lshrrev_b16 v8, 8, v93
	s_mov_b32 s12, exec_lo
	v_cmpx_ne_u16_e32 0, v8
	s_cbranch_execz .LBB283_1683
; %bb.1676:                             ;   in Loop: Header=BB283_1055 Depth=1
	v_dual_mov_b32 v17, s9 :: v_dual_mov_b32 v16, s8
	s_mov_b32 s13, exec_lo
	v_cmpx_ne_u16_e32 0x80, v8
	s_cbranch_execz .LBB283_1682
; %bb.1677:                             ;   in Loop: Header=BB283_1055 Depth=1
	s_mov_b32 s10, s8
	v_dual_mov_b32 v17, s11 :: v_dual_and_b32 v8, 0xffff, v8
	v_mov_b32_e32 v16, s10
	s_mov_b32 s10, exec_lo
	s_delay_alu instid0(VALU_DEP_2) | instskip(NEXT) | instid1(VALU_DEP_1)
	v_and_b32_e32 v18, 0x7f, v8
	v_cmpx_ne_u32_e32 0x7f, v18
	s_cbranch_execz .LBB283_1681
; %bb.1678:                             ;   in Loop: Header=BB283_1055 Depth=1
	v_and_b32_e32 v8, 7, v8
	v_lshrrev_b32_e32 v16, 3, v18
	s_mov_b32 s15, exec_lo
	v_cmpx_gt_u32_e32 8, v18
; %bb.1679:                             ;   in Loop: Header=BB283_1055 Depth=1
	s_delay_alu instid0(VALU_DEP_3) | instskip(NEXT) | instid1(VALU_DEP_1)
	v_clz_i32_u32_e32 v16, v8
	v_min_u32_e32 v16, 32, v16
	s_delay_alu instid0(VALU_DEP_1) | instskip(SKIP_1) | instid1(VALU_DEP_2)
	v_subrev_nc_u32_e32 v17, 28, v16
	v_sub_nc_u32_e32 v16, 29, v16
	v_lshlrev_b64 v[17:18], v17, v[8:9]
	s_delay_alu instid0(VALU_DEP_1)
	v_and_b32_e32 v8, 7, v17
; %bb.1680:                             ;   in Loop: Header=BB283_1055 Depth=1
	s_or_b32 exec_lo, exec_lo, s15
	v_lshlrev_b32_e32 v17, 16, v93
	s_delay_alu instid0(VALU_DEP_2) | instskip(SKIP_1) | instid1(VALU_DEP_3)
	v_lshlrev_b32_e32 v8, 20, v8
	v_lshl_add_u32 v16, v16, 23, 0x3c000000
	v_and_b32_e32 v17, 0x80000000, v17
	s_delay_alu instid0(VALU_DEP_1)
	v_or3_b32 v17, v8, v17, v16
	v_mov_b32_e32 v16, v9
.LBB283_1681:                           ;   in Loop: Header=BB283_1055 Depth=1
	s_or_b32 exec_lo, exec_lo, s10
.LBB283_1682:                           ;   in Loop: Header=BB283_1055 Depth=1
	s_delay_alu instid0(SALU_CYCLE_1)
	s_or_b32 exec_lo, exec_lo, s13
.LBB283_1683:                           ;   in Loop: Header=BB283_1055 Depth=1
	s_delay_alu instid0(SALU_CYCLE_1) | instskip(SKIP_4) | instid1(VALU_DEP_2)
	s_or_b32 exec_lo, exec_lo, s12
	v_mov_b32_e32 v20, 0
	v_lshrrev_b32_e32 v94, 16, v93
	v_mov_b32_e32 v21, 0
	s_mov_b32 s10, exec_lo
	v_and_b32_e32 v8, 0xff, v94
	s_delay_alu instid0(VALU_DEP_2) | instskip(NEXT) | instid1(VALU_DEP_2)
	v_dual_mov_b32 v18, v20 :: v_dual_mov_b32 v19, v21
	v_cmpx_ne_u16_e32 0, v8
	s_cbranch_execz .LBB283_1691
; %bb.1684:                             ;   in Loop: Header=BB283_1055 Depth=1
	v_bfrev_b32_e32 v18, 1
	v_mov_b32_e32 v19, 0
	s_mov_b32 s12, exec_lo
	v_cmpx_ne_u16_e32 0x80, v8
	s_cbranch_execz .LBB283_1690
; %bb.1685:                             ;   in Loop: Header=BB283_1055 Depth=1
	v_mov_b32_e32 v18, 0x7f800001
	v_bfe_u32 v95, v93, 16, 7
	v_mov_b32_e32 v19, 0
	s_mov_b32 s13, exec_lo
	s_delay_alu instid0(VALU_DEP_2)
	v_cmpx_ne_u32_e32 0x7f, v95
	s_cbranch_execz .LBB283_1689
; %bb.1686:                             ;   in Loop: Header=BB283_1055 Depth=1
	v_and_b32_e32 v8, 7, v94
	v_lshrrev_b32_e32 v18, 3, v95
	s_mov_b32 s15, exec_lo
	v_cmpx_gt_u32_e32 8, v95
; %bb.1687:                             ;   in Loop: Header=BB283_1055 Depth=1
	s_delay_alu instid0(VALU_DEP_3) | instskip(NEXT) | instid1(VALU_DEP_1)
	v_clz_i32_u32_e32 v18, v8
	v_min_u32_e32 v18, 32, v18
	s_delay_alu instid0(VALU_DEP_1) | instskip(SKIP_1) | instid1(VALU_DEP_2)
	v_subrev_nc_u32_e32 v19, 28, v18
	v_sub_nc_u32_e32 v18, 29, v18
	v_lshlrev_b64 v[104:105], v19, v[8:9]
	s_delay_alu instid0(VALU_DEP_1)
	v_and_b32_e32 v8, 7, v104
; %bb.1688:                             ;   in Loop: Header=BB283_1055 Depth=1
	s_or_b32 exec_lo, exec_lo, s15
	v_lshlrev_b32_e32 v19, 24, v94
	s_delay_alu instid0(VALU_DEP_2) | instskip(SKIP_1) | instid1(VALU_DEP_3)
	v_lshlrev_b32_e32 v8, 20, v8
	v_lshl_add_u32 v18, v18, 23, 0x3c000000
	v_and_b32_e32 v19, 0x80000000, v19
	s_delay_alu instid0(VALU_DEP_1) | instskip(NEXT) | instid1(VALU_DEP_1)
	v_or3_b32 v8, v8, v19, v18
	v_dual_mov_b32 v19, v9 :: v_dual_mov_b32 v18, v8
.LBB283_1689:                           ;   in Loop: Header=BB283_1055 Depth=1
	s_or_b32 exec_lo, exec_lo, s13
.LBB283_1690:                           ;   in Loop: Header=BB283_1055 Depth=1
	s_delay_alu instid0(SALU_CYCLE_1)
	s_or_b32 exec_lo, exec_lo, s12
.LBB283_1691:                           ;   in Loop: Header=BB283_1055 Depth=1
	s_delay_alu instid0(SALU_CYCLE_1) | instskip(NEXT) | instid1(SALU_CYCLE_1)
	s_or_b32 exec_lo, exec_lo, s10
	s_mov_b32 s12, exec_lo
	v_cmpx_lt_u32_e32 0xffffff, v93
	s_cbranch_execz .LBB283_1699
; %bb.1692:                             ;   in Loop: Header=BB283_1055 Depth=1
	v_lshrrev_b32_e32 v94, 24, v93
	v_dual_mov_b32 v21, s9 :: v_dual_mov_b32 v20, s8
	s_mov_b32 s13, exec_lo
	s_delay_alu instid0(VALU_DEP_2)
	v_cmpx_ne_u32_e32 0x80, v94
	s_cbranch_execz .LBB283_1698
; %bb.1693:                             ;   in Loop: Header=BB283_1055 Depth=1
	s_mov_b32 s10, s8
	v_bfe_u32 v93, v93, 24, 7
	v_dual_mov_b32 v21, s11 :: v_dual_mov_b32 v20, s10
	s_mov_b32 s10, exec_lo
	s_delay_alu instid0(VALU_DEP_2)
	v_cmpx_ne_u32_e32 0x7f, v93
	s_cbranch_execz .LBB283_1697
; %bb.1694:                             ;   in Loop: Header=BB283_1055 Depth=1
	v_and_b32_e32 v8, 7, v94
	v_lshrrev_b32_e32 v20, 3, v93
	s_mov_b32 s15, exec_lo
	v_cmpx_gt_u32_e32 8, v93
; %bb.1695:                             ;   in Loop: Header=BB283_1055 Depth=1
	s_delay_alu instid0(VALU_DEP_3) | instskip(NEXT) | instid1(VALU_DEP_1)
	v_clz_i32_u32_e32 v20, v8
	v_min_u32_e32 v20, 32, v20
	s_delay_alu instid0(VALU_DEP_1) | instskip(SKIP_1) | instid1(VALU_DEP_2)
	v_subrev_nc_u32_e32 v21, 28, v20
	v_sub_nc_u32_e32 v20, 29, v20
	v_lshlrev_b64 v[104:105], v21, v[8:9]
	s_delay_alu instid0(VALU_DEP_1)
	v_and_b32_e32 v8, 7, v104
; %bb.1696:                             ;   in Loop: Header=BB283_1055 Depth=1
	s_or_b32 exec_lo, exec_lo, s15
	v_lshlrev_b32_e32 v21, 24, v94
	s_delay_alu instid0(VALU_DEP_2) | instskip(SKIP_1) | instid1(VALU_DEP_3)
	v_lshlrev_b32_e32 v8, 20, v8
	v_lshl_add_u32 v20, v20, 23, 0x3c000000
	v_and_b32_e32 v21, 0x80000000, v21
	s_delay_alu instid0(VALU_DEP_1)
	v_or3_b32 v21, v8, v21, v20
	v_mov_b32_e32 v20, v9
.LBB283_1697:                           ;   in Loop: Header=BB283_1055 Depth=1
	s_or_b32 exec_lo, exec_lo, s10
.LBB283_1698:                           ;   in Loop: Header=BB283_1055 Depth=1
	s_delay_alu instid0(SALU_CYCLE_1)
	s_or_b32 exec_lo, exec_lo, s13
.LBB283_1699:                           ;   in Loop: Header=BB283_1055 Depth=1
	s_delay_alu instid0(SALU_CYCLE_1) | instskip(SKIP_4) | instid1(VALU_DEP_3)
	s_or_b32 exec_lo, exec_lo, s12
	v_or_b32_e32 v5, v17, v5
	v_or_b32_e32 v4, v16, v4
	;; [unrolled: 1-line block ×4, first 2 shown]
	v_dual_mul_f32 v104, v96, v5 :: v_dual_mul_f32 v95, v82, v4
	s_delay_alu instid0(VALU_DEP_3) | instskip(NEXT) | instid1(VALU_DEP_3)
	v_mul_f32_e32 v93, v96, v8
	v_mul_f32_e32 v94, v82, v16
	s_and_saveexec_b32 s10, vcc_lo
; %bb.1700:                             ;   in Loop: Header=BB283_1055 Depth=1
	v_cmp_lt_i32_e64 s0, v102, v98
	s_delay_alu instid0(VALU_DEP_1) | instskip(SKIP_1) | instid1(VALU_DEP_1)
	v_cndmask_b32_e64 v95, 0, v95, s0
	v_cmp_lt_i32_e64 s0, v112, v98
	v_cndmask_b32_e64 v104, 0, v104, s0
	v_cmp_lt_i32_e64 s0, v103, v98
	s_delay_alu instid0(VALU_DEP_1) | instskip(SKIP_1) | instid1(VALU_DEP_1)
	v_cndmask_b32_e64 v94, 0, v94, s0
	v_cmp_lt_i32_e64 s0, v86, v98
	v_cndmask_b32_e64 v93, 0, v93, s0
; %bb.1701:                             ;   in Loop: Header=BB283_1055 Depth=1
	s_or_b32 exec_lo, exec_lo, s10
	flat_load_b32 v105, v[14:15] offset:2432
	v_mov_b32_e32 v16, 0
	v_mov_b32_e32 v17, 0
	s_mov_b32 s10, exec_lo
	s_waitcnt vmcnt(0) lgkmcnt(0)
	v_and_b32_e32 v8, 0xff, v105
	s_delay_alu instid0(VALU_DEP_2) | instskip(NEXT) | instid1(VALU_DEP_2)
	v_dual_mov_b32 v4, v16 :: v_dual_mov_b32 v5, v17
	v_cmpx_ne_u16_e32 0, v8
	s_cbranch_execz .LBB283_1709
; %bb.1702:                             ;   in Loop: Header=BB283_1055 Depth=1
	v_bfrev_b32_e32 v4, 1
	v_mov_b32_e32 v5, 0
	s_mov_b32 s12, exec_lo
	v_cmpx_ne_u16_e32 0x80, v8
	s_cbranch_execz .LBB283_1708
; %bb.1703:                             ;   in Loop: Header=BB283_1055 Depth=1
	v_mov_b32_e32 v4, 0x7f800001
	v_dual_mov_b32 v5, 0 :: v_dual_and_b32 v18, 0x7f, v105
	s_mov_b32 s13, exec_lo
	s_delay_alu instid0(VALU_DEP_1)
	v_cmpx_ne_u32_e32 0x7f, v18
	s_cbranch_execz .LBB283_1707
; %bb.1704:                             ;   in Loop: Header=BB283_1055 Depth=1
	v_and_b32_e32 v8, 7, v105
	v_lshrrev_b32_e32 v4, 3, v18
	s_mov_b32 s15, exec_lo
	v_cmpx_gt_u32_e32 8, v18
; %bb.1705:                             ;   in Loop: Header=BB283_1055 Depth=1
	s_delay_alu instid0(VALU_DEP_3) | instskip(NEXT) | instid1(VALU_DEP_1)
	v_clz_i32_u32_e32 v4, v8
	v_min_u32_e32 v4, 32, v4
	s_delay_alu instid0(VALU_DEP_1) | instskip(SKIP_1) | instid1(VALU_DEP_2)
	v_subrev_nc_u32_e32 v5, 28, v4
	v_sub_nc_u32_e32 v4, 29, v4
	v_lshlrev_b64 v[18:19], v5, v[8:9]
	s_delay_alu instid0(VALU_DEP_1)
	v_and_b32_e32 v8, 7, v18
; %bb.1706:                             ;   in Loop: Header=BB283_1055 Depth=1
	s_or_b32 exec_lo, exec_lo, s15
	v_lshlrev_b32_e32 v5, 24, v105
	s_delay_alu instid0(VALU_DEP_2) | instskip(SKIP_1) | instid1(VALU_DEP_3)
	v_lshlrev_b32_e32 v8, 20, v8
	v_lshl_add_u32 v4, v4, 23, 0x3c000000
	v_and_b32_e32 v5, 0x80000000, v5
	s_delay_alu instid0(VALU_DEP_1) | instskip(NEXT) | instid1(VALU_DEP_1)
	v_or3_b32 v8, v8, v5, v4
	v_dual_mov_b32 v4, v8 :: v_dual_mov_b32 v5, v9
.LBB283_1707:                           ;   in Loop: Header=BB283_1055 Depth=1
	s_or_b32 exec_lo, exec_lo, s13
.LBB283_1708:                           ;   in Loop: Header=BB283_1055 Depth=1
	s_delay_alu instid0(SALU_CYCLE_1)
	s_or_b32 exec_lo, exec_lo, s12
.LBB283_1709:                           ;   in Loop: Header=BB283_1055 Depth=1
	s_delay_alu instid0(SALU_CYCLE_1) | instskip(SKIP_2) | instid1(VALU_DEP_1)
	s_or_b32 exec_lo, exec_lo, s10
	v_lshrrev_b16 v8, 8, v105
	s_mov_b32 s12, exec_lo
	v_cmpx_ne_u16_e32 0, v8
	s_cbranch_execz .LBB283_1717
; %bb.1710:                             ;   in Loop: Header=BB283_1055 Depth=1
	v_dual_mov_b32 v17, s9 :: v_dual_mov_b32 v16, s8
	s_mov_b32 s13, exec_lo
	v_cmpx_ne_u16_e32 0x80, v8
	s_cbranch_execz .LBB283_1716
; %bb.1711:                             ;   in Loop: Header=BB283_1055 Depth=1
	s_mov_b32 s10, s8
	v_dual_mov_b32 v17, s11 :: v_dual_and_b32 v8, 0xffff, v8
	v_mov_b32_e32 v16, s10
	s_mov_b32 s10, exec_lo
	s_delay_alu instid0(VALU_DEP_2) | instskip(NEXT) | instid1(VALU_DEP_1)
	v_and_b32_e32 v18, 0x7f, v8
	v_cmpx_ne_u32_e32 0x7f, v18
	s_cbranch_execz .LBB283_1715
; %bb.1712:                             ;   in Loop: Header=BB283_1055 Depth=1
	v_and_b32_e32 v8, 7, v8
	v_lshrrev_b32_e32 v16, 3, v18
	s_mov_b32 s15, exec_lo
	v_cmpx_gt_u32_e32 8, v18
; %bb.1713:                             ;   in Loop: Header=BB283_1055 Depth=1
	s_delay_alu instid0(VALU_DEP_3) | instskip(NEXT) | instid1(VALU_DEP_1)
	v_clz_i32_u32_e32 v16, v8
	v_min_u32_e32 v16, 32, v16
	s_delay_alu instid0(VALU_DEP_1) | instskip(SKIP_1) | instid1(VALU_DEP_2)
	v_subrev_nc_u32_e32 v17, 28, v16
	v_sub_nc_u32_e32 v16, 29, v16
	v_lshlrev_b64 v[17:18], v17, v[8:9]
	s_delay_alu instid0(VALU_DEP_1)
	v_and_b32_e32 v8, 7, v17
; %bb.1714:                             ;   in Loop: Header=BB283_1055 Depth=1
	s_or_b32 exec_lo, exec_lo, s15
	v_lshlrev_b32_e32 v17, 16, v105
	s_delay_alu instid0(VALU_DEP_2) | instskip(SKIP_1) | instid1(VALU_DEP_3)
	v_lshlrev_b32_e32 v8, 20, v8
	v_lshl_add_u32 v16, v16, 23, 0x3c000000
	v_and_b32_e32 v17, 0x80000000, v17
	s_delay_alu instid0(VALU_DEP_1)
	v_or3_b32 v17, v8, v17, v16
	v_mov_b32_e32 v16, v9
.LBB283_1715:                           ;   in Loop: Header=BB283_1055 Depth=1
	s_or_b32 exec_lo, exec_lo, s10
.LBB283_1716:                           ;   in Loop: Header=BB283_1055 Depth=1
	s_delay_alu instid0(SALU_CYCLE_1)
	s_or_b32 exec_lo, exec_lo, s13
.LBB283_1717:                           ;   in Loop: Header=BB283_1055 Depth=1
	s_delay_alu instid0(SALU_CYCLE_1) | instskip(SKIP_4) | instid1(VALU_DEP_2)
	s_or_b32 exec_lo, exec_lo, s12
	v_mov_b32_e32 v20, 0
	v_lshrrev_b32_e32 v106, 16, v105
	v_mov_b32_e32 v21, 0
	s_mov_b32 s10, exec_lo
	v_and_b32_e32 v8, 0xff, v106
	s_delay_alu instid0(VALU_DEP_2) | instskip(NEXT) | instid1(VALU_DEP_2)
	v_dual_mov_b32 v18, v20 :: v_dual_mov_b32 v19, v21
	v_cmpx_ne_u16_e32 0, v8
	s_cbranch_execz .LBB283_1725
; %bb.1718:                             ;   in Loop: Header=BB283_1055 Depth=1
	v_bfrev_b32_e32 v18, 1
	v_mov_b32_e32 v19, 0
	s_mov_b32 s12, exec_lo
	v_cmpx_ne_u16_e32 0x80, v8
	s_cbranch_execz .LBB283_1724
; %bb.1719:                             ;   in Loop: Header=BB283_1055 Depth=1
	v_mov_b32_e32 v18, 0x7f800001
	v_bfe_u32 v107, v105, 16, 7
	v_mov_b32_e32 v19, 0
	s_mov_b32 s13, exec_lo
	s_delay_alu instid0(VALU_DEP_2)
	v_cmpx_ne_u32_e32 0x7f, v107
	s_cbranch_execz .LBB283_1723
; %bb.1720:                             ;   in Loop: Header=BB283_1055 Depth=1
	v_and_b32_e32 v8, 7, v106
	v_lshrrev_b32_e32 v18, 3, v107
	s_mov_b32 s15, exec_lo
	v_cmpx_gt_u32_e32 8, v107
; %bb.1721:                             ;   in Loop: Header=BB283_1055 Depth=1
	s_delay_alu instid0(VALU_DEP_3) | instskip(NEXT) | instid1(VALU_DEP_1)
	v_clz_i32_u32_e32 v18, v8
	v_min_u32_e32 v18, 32, v18
	s_delay_alu instid0(VALU_DEP_1) | instskip(SKIP_1) | instid1(VALU_DEP_2)
	v_subrev_nc_u32_e32 v19, 28, v18
	v_sub_nc_u32_e32 v18, 29, v18
	v_lshlrev_b64 v[107:108], v19, v[8:9]
	s_delay_alu instid0(VALU_DEP_1)
	v_and_b32_e32 v8, 7, v107
; %bb.1722:                             ;   in Loop: Header=BB283_1055 Depth=1
	s_or_b32 exec_lo, exec_lo, s15
	v_lshlrev_b32_e32 v19, 24, v106
	s_delay_alu instid0(VALU_DEP_2) | instskip(SKIP_1) | instid1(VALU_DEP_3)
	v_lshlrev_b32_e32 v8, 20, v8
	v_lshl_add_u32 v18, v18, 23, 0x3c000000
	v_and_b32_e32 v19, 0x80000000, v19
	s_delay_alu instid0(VALU_DEP_1) | instskip(NEXT) | instid1(VALU_DEP_1)
	v_or3_b32 v8, v8, v19, v18
	v_dual_mov_b32 v19, v9 :: v_dual_mov_b32 v18, v8
.LBB283_1723:                           ;   in Loop: Header=BB283_1055 Depth=1
	s_or_b32 exec_lo, exec_lo, s13
.LBB283_1724:                           ;   in Loop: Header=BB283_1055 Depth=1
	s_delay_alu instid0(SALU_CYCLE_1)
	s_or_b32 exec_lo, exec_lo, s12
.LBB283_1725:                           ;   in Loop: Header=BB283_1055 Depth=1
	s_delay_alu instid0(SALU_CYCLE_1) | instskip(NEXT) | instid1(SALU_CYCLE_1)
	s_or_b32 exec_lo, exec_lo, s10
	s_mov_b32 s12, exec_lo
	v_cmpx_lt_u32_e32 0xffffff, v105
	s_cbranch_execz .LBB283_1733
; %bb.1726:                             ;   in Loop: Header=BB283_1055 Depth=1
	v_lshrrev_b32_e32 v106, 24, v105
	v_dual_mov_b32 v21, s9 :: v_dual_mov_b32 v20, s8
	s_mov_b32 s13, exec_lo
	s_delay_alu instid0(VALU_DEP_2)
	v_cmpx_ne_u32_e32 0x80, v106
	s_cbranch_execz .LBB283_1732
; %bb.1727:                             ;   in Loop: Header=BB283_1055 Depth=1
	s_mov_b32 s10, s8
	v_bfe_u32 v105, v105, 24, 7
	v_dual_mov_b32 v21, s11 :: v_dual_mov_b32 v20, s10
	s_mov_b32 s10, exec_lo
	s_delay_alu instid0(VALU_DEP_2)
	v_cmpx_ne_u32_e32 0x7f, v105
	s_cbranch_execz .LBB283_1731
; %bb.1728:                             ;   in Loop: Header=BB283_1055 Depth=1
	v_and_b32_e32 v8, 7, v106
	v_lshrrev_b32_e32 v20, 3, v105
	s_mov_b32 s15, exec_lo
	v_cmpx_gt_u32_e32 8, v105
; %bb.1729:                             ;   in Loop: Header=BB283_1055 Depth=1
	s_delay_alu instid0(VALU_DEP_3) | instskip(NEXT) | instid1(VALU_DEP_1)
	v_clz_i32_u32_e32 v20, v8
	v_min_u32_e32 v20, 32, v20
	s_delay_alu instid0(VALU_DEP_1) | instskip(SKIP_1) | instid1(VALU_DEP_2)
	v_subrev_nc_u32_e32 v21, 28, v20
	v_sub_nc_u32_e32 v20, 29, v20
	v_lshlrev_b64 v[107:108], v21, v[8:9]
	s_delay_alu instid0(VALU_DEP_1)
	v_and_b32_e32 v8, 7, v107
; %bb.1730:                             ;   in Loop: Header=BB283_1055 Depth=1
	s_or_b32 exec_lo, exec_lo, s15
	v_lshlrev_b32_e32 v21, 24, v106
	s_delay_alu instid0(VALU_DEP_2) | instskip(SKIP_1) | instid1(VALU_DEP_3)
	v_lshlrev_b32_e32 v8, 20, v8
	v_lshl_add_u32 v20, v20, 23, 0x3c000000
	v_and_b32_e32 v21, 0x80000000, v21
	s_delay_alu instid0(VALU_DEP_1)
	v_or3_b32 v21, v8, v21, v20
	v_mov_b32_e32 v20, v9
.LBB283_1731:                           ;   in Loop: Header=BB283_1055 Depth=1
	s_or_b32 exec_lo, exec_lo, s10
.LBB283_1732:                           ;   in Loop: Header=BB283_1055 Depth=1
	s_delay_alu instid0(SALU_CYCLE_1)
	s_or_b32 exec_lo, exec_lo, s13
.LBB283_1733:                           ;   in Loop: Header=BB283_1055 Depth=1
	s_delay_alu instid0(SALU_CYCLE_1) | instskip(SKIP_4) | instid1(VALU_DEP_3)
	s_or_b32 exec_lo, exec_lo, s12
	v_or_b32_e32 v5, v17, v5
	v_or_b32_e32 v4, v16, v4
	;; [unrolled: 1-line block ×4, first 2 shown]
	v_dual_mul_f32 v108, v96, v5 :: v_dual_mul_f32 v107, v82, v4
	s_delay_alu instid0(VALU_DEP_3) | instskip(NEXT) | instid1(VALU_DEP_3)
	v_mul_f32_e32 v105, v96, v8
	v_mul_f32_e32 v106, v82, v16
	s_and_saveexec_b32 s10, vcc_lo
; %bb.1734:                             ;   in Loop: Header=BB283_1055 Depth=1
	v_cmp_lt_i32_e64 s0, v102, v98
	s_delay_alu instid0(VALU_DEP_1) | instskip(SKIP_1) | instid1(VALU_DEP_1)
	v_cndmask_b32_e64 v107, 0, v107, s0
	v_cmp_lt_i32_e64 s0, v112, v98
	v_cndmask_b32_e64 v108, 0, v108, s0
	v_cmp_lt_i32_e64 s0, v103, v98
	s_delay_alu instid0(VALU_DEP_1) | instskip(SKIP_1) | instid1(VALU_DEP_1)
	v_cndmask_b32_e64 v106, 0, v106, s0
	v_cmp_lt_i32_e64 s0, v86, v98
	v_cndmask_b32_e64 v105, 0, v105, s0
; %bb.1735:                             ;   in Loop: Header=BB283_1055 Depth=1
	s_or_b32 exec_lo, exec_lo, s10
	flat_load_b32 v109, v[14:15] offset:2560
	v_mov_b32_e32 v16, 0
	v_mov_b32_e32 v17, 0
	s_mov_b32 s10, exec_lo
	s_waitcnt vmcnt(0) lgkmcnt(0)
	v_and_b32_e32 v8, 0xff, v109
	s_delay_alu instid0(VALU_DEP_2) | instskip(NEXT) | instid1(VALU_DEP_2)
	v_dual_mov_b32 v4, v16 :: v_dual_mov_b32 v5, v17
	v_cmpx_ne_u16_e32 0, v8
	s_cbranch_execz .LBB283_1743
; %bb.1736:                             ;   in Loop: Header=BB283_1055 Depth=1
	v_bfrev_b32_e32 v4, 1
	v_mov_b32_e32 v5, 0
	s_mov_b32 s12, exec_lo
	v_cmpx_ne_u16_e32 0x80, v8
	s_cbranch_execz .LBB283_1742
; %bb.1737:                             ;   in Loop: Header=BB283_1055 Depth=1
	v_mov_b32_e32 v4, 0x7f800001
	v_dual_mov_b32 v5, 0 :: v_dual_and_b32 v18, 0x7f, v109
	s_mov_b32 s13, exec_lo
	s_delay_alu instid0(VALU_DEP_1)
	v_cmpx_ne_u32_e32 0x7f, v18
	s_cbranch_execz .LBB283_1741
; %bb.1738:                             ;   in Loop: Header=BB283_1055 Depth=1
	v_and_b32_e32 v8, 7, v109
	v_lshrrev_b32_e32 v4, 3, v18
	s_mov_b32 s15, exec_lo
	v_cmpx_gt_u32_e32 8, v18
; %bb.1739:                             ;   in Loop: Header=BB283_1055 Depth=1
	s_delay_alu instid0(VALU_DEP_3) | instskip(NEXT) | instid1(VALU_DEP_1)
	v_clz_i32_u32_e32 v4, v8
	v_min_u32_e32 v4, 32, v4
	s_delay_alu instid0(VALU_DEP_1) | instskip(SKIP_1) | instid1(VALU_DEP_2)
	v_subrev_nc_u32_e32 v5, 28, v4
	v_sub_nc_u32_e32 v4, 29, v4
	v_lshlrev_b64 v[18:19], v5, v[8:9]
	s_delay_alu instid0(VALU_DEP_1)
	v_and_b32_e32 v8, 7, v18
; %bb.1740:                             ;   in Loop: Header=BB283_1055 Depth=1
	s_or_b32 exec_lo, exec_lo, s15
	v_lshlrev_b32_e32 v5, 24, v109
	s_delay_alu instid0(VALU_DEP_2) | instskip(SKIP_1) | instid1(VALU_DEP_3)
	v_lshlrev_b32_e32 v8, 20, v8
	v_lshl_add_u32 v4, v4, 23, 0x3c000000
	v_and_b32_e32 v5, 0x80000000, v5
	s_delay_alu instid0(VALU_DEP_1) | instskip(NEXT) | instid1(VALU_DEP_1)
	v_or3_b32 v8, v8, v5, v4
	v_dual_mov_b32 v4, v8 :: v_dual_mov_b32 v5, v9
.LBB283_1741:                           ;   in Loop: Header=BB283_1055 Depth=1
	s_or_b32 exec_lo, exec_lo, s13
.LBB283_1742:                           ;   in Loop: Header=BB283_1055 Depth=1
	s_delay_alu instid0(SALU_CYCLE_1)
	s_or_b32 exec_lo, exec_lo, s12
.LBB283_1743:                           ;   in Loop: Header=BB283_1055 Depth=1
	s_delay_alu instid0(SALU_CYCLE_1) | instskip(SKIP_2) | instid1(VALU_DEP_1)
	s_or_b32 exec_lo, exec_lo, s10
	v_lshrrev_b16 v8, 8, v109
	s_mov_b32 s12, exec_lo
	v_cmpx_ne_u16_e32 0, v8
	s_cbranch_execz .LBB283_1751
; %bb.1744:                             ;   in Loop: Header=BB283_1055 Depth=1
	v_dual_mov_b32 v17, s9 :: v_dual_mov_b32 v16, s8
	s_mov_b32 s13, exec_lo
	v_cmpx_ne_u16_e32 0x80, v8
	s_cbranch_execz .LBB283_1750
; %bb.1745:                             ;   in Loop: Header=BB283_1055 Depth=1
	s_mov_b32 s10, s8
	v_dual_mov_b32 v17, s11 :: v_dual_and_b32 v8, 0xffff, v8
	v_mov_b32_e32 v16, s10
	s_mov_b32 s10, exec_lo
	s_delay_alu instid0(VALU_DEP_2) | instskip(NEXT) | instid1(VALU_DEP_1)
	v_and_b32_e32 v18, 0x7f, v8
	v_cmpx_ne_u32_e32 0x7f, v18
	s_cbranch_execz .LBB283_1749
; %bb.1746:                             ;   in Loop: Header=BB283_1055 Depth=1
	v_and_b32_e32 v8, 7, v8
	v_lshrrev_b32_e32 v16, 3, v18
	s_mov_b32 s15, exec_lo
	v_cmpx_gt_u32_e32 8, v18
; %bb.1747:                             ;   in Loop: Header=BB283_1055 Depth=1
	s_delay_alu instid0(VALU_DEP_3) | instskip(NEXT) | instid1(VALU_DEP_1)
	v_clz_i32_u32_e32 v16, v8
	v_min_u32_e32 v16, 32, v16
	s_delay_alu instid0(VALU_DEP_1) | instskip(SKIP_1) | instid1(VALU_DEP_2)
	v_subrev_nc_u32_e32 v17, 28, v16
	v_sub_nc_u32_e32 v16, 29, v16
	v_lshlrev_b64 v[17:18], v17, v[8:9]
	s_delay_alu instid0(VALU_DEP_1)
	v_and_b32_e32 v8, 7, v17
; %bb.1748:                             ;   in Loop: Header=BB283_1055 Depth=1
	s_or_b32 exec_lo, exec_lo, s15
	v_lshlrev_b32_e32 v17, 16, v109
	s_delay_alu instid0(VALU_DEP_2) | instskip(SKIP_1) | instid1(VALU_DEP_3)
	v_lshlrev_b32_e32 v8, 20, v8
	v_lshl_add_u32 v16, v16, 23, 0x3c000000
	v_and_b32_e32 v17, 0x80000000, v17
	s_delay_alu instid0(VALU_DEP_1)
	v_or3_b32 v17, v8, v17, v16
	v_mov_b32_e32 v16, v9
.LBB283_1749:                           ;   in Loop: Header=BB283_1055 Depth=1
	s_or_b32 exec_lo, exec_lo, s10
.LBB283_1750:                           ;   in Loop: Header=BB283_1055 Depth=1
	s_delay_alu instid0(SALU_CYCLE_1)
	s_or_b32 exec_lo, exec_lo, s13
.LBB283_1751:                           ;   in Loop: Header=BB283_1055 Depth=1
	s_delay_alu instid0(SALU_CYCLE_1) | instskip(SKIP_4) | instid1(VALU_DEP_2)
	s_or_b32 exec_lo, exec_lo, s12
	v_mov_b32_e32 v20, 0
	v_lshrrev_b32_e32 v110, 16, v109
	v_mov_b32_e32 v21, 0
	s_mov_b32 s10, exec_lo
	v_and_b32_e32 v8, 0xff, v110
	s_delay_alu instid0(VALU_DEP_2) | instskip(NEXT) | instid1(VALU_DEP_2)
	v_dual_mov_b32 v18, v20 :: v_dual_mov_b32 v19, v21
	v_cmpx_ne_u16_e32 0, v8
	s_cbranch_execz .LBB283_1759
; %bb.1752:                             ;   in Loop: Header=BB283_1055 Depth=1
	v_bfrev_b32_e32 v18, 1
	v_mov_b32_e32 v19, 0
	s_mov_b32 s12, exec_lo
	v_cmpx_ne_u16_e32 0x80, v8
	s_cbranch_execz .LBB283_1758
; %bb.1753:                             ;   in Loop: Header=BB283_1055 Depth=1
	v_mov_b32_e32 v18, 0x7f800001
	v_bfe_u32 v111, v109, 16, 7
	v_mov_b32_e32 v19, 0
	s_mov_b32 s13, exec_lo
	s_delay_alu instid0(VALU_DEP_2)
	v_cmpx_ne_u32_e32 0x7f, v111
	s_cbranch_execz .LBB283_1757
; %bb.1754:                             ;   in Loop: Header=BB283_1055 Depth=1
	v_and_b32_e32 v8, 7, v110
	v_lshrrev_b32_e32 v18, 3, v111
	s_mov_b32 s15, exec_lo
	v_cmpx_gt_u32_e32 8, v111
; %bb.1755:                             ;   in Loop: Header=BB283_1055 Depth=1
	s_delay_alu instid0(VALU_DEP_3) | instskip(NEXT) | instid1(VALU_DEP_1)
	v_clz_i32_u32_e32 v18, v8
	v_min_u32_e32 v18, 32, v18
	s_delay_alu instid0(VALU_DEP_1) | instskip(SKIP_1) | instid1(VALU_DEP_2)
	v_subrev_nc_u32_e32 v19, 28, v18
	v_sub_nc_u32_e32 v18, 29, v18
	v_lshlrev_b64 v[120:121], v19, v[8:9]
	s_delay_alu instid0(VALU_DEP_1)
	v_and_b32_e32 v8, 7, v120
; %bb.1756:                             ;   in Loop: Header=BB283_1055 Depth=1
	s_or_b32 exec_lo, exec_lo, s15
	v_lshlrev_b32_e32 v19, 24, v110
	s_delay_alu instid0(VALU_DEP_2) | instskip(SKIP_1) | instid1(VALU_DEP_3)
	v_lshlrev_b32_e32 v8, 20, v8
	v_lshl_add_u32 v18, v18, 23, 0x3c000000
	v_and_b32_e32 v19, 0x80000000, v19
	s_delay_alu instid0(VALU_DEP_1) | instskip(NEXT) | instid1(VALU_DEP_1)
	v_or3_b32 v8, v8, v19, v18
	v_dual_mov_b32 v19, v9 :: v_dual_mov_b32 v18, v8
.LBB283_1757:                           ;   in Loop: Header=BB283_1055 Depth=1
	s_or_b32 exec_lo, exec_lo, s13
.LBB283_1758:                           ;   in Loop: Header=BB283_1055 Depth=1
	s_delay_alu instid0(SALU_CYCLE_1)
	s_or_b32 exec_lo, exec_lo, s12
.LBB283_1759:                           ;   in Loop: Header=BB283_1055 Depth=1
	s_delay_alu instid0(SALU_CYCLE_1) | instskip(NEXT) | instid1(SALU_CYCLE_1)
	s_or_b32 exec_lo, exec_lo, s10
	s_mov_b32 s12, exec_lo
	v_cmpx_lt_u32_e32 0xffffff, v109
	s_cbranch_execz .LBB283_1767
; %bb.1760:                             ;   in Loop: Header=BB283_1055 Depth=1
	v_lshrrev_b32_e32 v110, 24, v109
	v_dual_mov_b32 v21, s9 :: v_dual_mov_b32 v20, s8
	s_mov_b32 s13, exec_lo
	s_delay_alu instid0(VALU_DEP_2)
	v_cmpx_ne_u32_e32 0x80, v110
	s_cbranch_execz .LBB283_1766
; %bb.1761:                             ;   in Loop: Header=BB283_1055 Depth=1
	s_mov_b32 s10, s8
	v_bfe_u32 v109, v109, 24, 7
	v_dual_mov_b32 v21, s11 :: v_dual_mov_b32 v20, s10
	s_mov_b32 s10, exec_lo
	s_delay_alu instid0(VALU_DEP_2)
	v_cmpx_ne_u32_e32 0x7f, v109
	s_cbranch_execz .LBB283_1765
; %bb.1762:                             ;   in Loop: Header=BB283_1055 Depth=1
	v_and_b32_e32 v8, 7, v110
	v_lshrrev_b32_e32 v20, 3, v109
	s_mov_b32 s15, exec_lo
	v_cmpx_gt_u32_e32 8, v109
; %bb.1763:                             ;   in Loop: Header=BB283_1055 Depth=1
	s_delay_alu instid0(VALU_DEP_3) | instskip(NEXT) | instid1(VALU_DEP_1)
	v_clz_i32_u32_e32 v20, v8
	v_min_u32_e32 v20, 32, v20
	s_delay_alu instid0(VALU_DEP_1) | instskip(SKIP_1) | instid1(VALU_DEP_2)
	v_subrev_nc_u32_e32 v21, 28, v20
	v_sub_nc_u32_e32 v20, 29, v20
	v_lshlrev_b64 v[120:121], v21, v[8:9]
	s_delay_alu instid0(VALU_DEP_1)
	v_and_b32_e32 v8, 7, v120
; %bb.1764:                             ;   in Loop: Header=BB283_1055 Depth=1
	s_or_b32 exec_lo, exec_lo, s15
	v_lshlrev_b32_e32 v21, 24, v110
	s_delay_alu instid0(VALU_DEP_2) | instskip(SKIP_1) | instid1(VALU_DEP_3)
	v_lshlrev_b32_e32 v8, 20, v8
	v_lshl_add_u32 v20, v20, 23, 0x3c000000
	v_and_b32_e32 v21, 0x80000000, v21
	s_delay_alu instid0(VALU_DEP_1)
	v_or3_b32 v21, v8, v21, v20
	v_mov_b32_e32 v20, v9
.LBB283_1765:                           ;   in Loop: Header=BB283_1055 Depth=1
	s_or_b32 exec_lo, exec_lo, s10
.LBB283_1766:                           ;   in Loop: Header=BB283_1055 Depth=1
	s_delay_alu instid0(SALU_CYCLE_1)
	s_or_b32 exec_lo, exec_lo, s13
.LBB283_1767:                           ;   in Loop: Header=BB283_1055 Depth=1
	s_delay_alu instid0(SALU_CYCLE_1) | instskip(SKIP_4) | instid1(VALU_DEP_3)
	s_or_b32 exec_lo, exec_lo, s12
	v_or_b32_e32 v5, v17, v5
	v_or_b32_e32 v4, v16, v4
	;; [unrolled: 1-line block ×4, first 2 shown]
	v_dual_mul_f32 v120, v96, v5 :: v_dual_mul_f32 v111, v82, v4
	s_delay_alu instid0(VALU_DEP_3) | instskip(NEXT) | instid1(VALU_DEP_3)
	v_mul_f32_e32 v109, v96, v8
	v_mul_f32_e32 v110, v82, v16
	s_and_saveexec_b32 s10, vcc_lo
; %bb.1768:                             ;   in Loop: Header=BB283_1055 Depth=1
	v_cmp_lt_i32_e64 s0, v102, v98
	s_delay_alu instid0(VALU_DEP_1) | instskip(SKIP_1) | instid1(VALU_DEP_1)
	v_cndmask_b32_e64 v111, 0, v111, s0
	v_cmp_lt_i32_e64 s0, v112, v98
	v_cndmask_b32_e64 v120, 0, v120, s0
	v_cmp_lt_i32_e64 s0, v103, v98
	s_delay_alu instid0(VALU_DEP_1) | instskip(SKIP_1) | instid1(VALU_DEP_1)
	v_cndmask_b32_e64 v110, 0, v110, s0
	v_cmp_lt_i32_e64 s0, v86, v98
	v_cndmask_b32_e64 v109, 0, v109, s0
; %bb.1769:                             ;   in Loop: Header=BB283_1055 Depth=1
	s_or_b32 exec_lo, exec_lo, s10
	flat_load_b32 v121, v[14:15] offset:2688
	v_mov_b32_e32 v16, 0
	v_mov_b32_e32 v17, 0
	s_mov_b32 s10, exec_lo
	s_waitcnt vmcnt(0) lgkmcnt(0)
	v_and_b32_e32 v8, 0xff, v121
	s_delay_alu instid0(VALU_DEP_2) | instskip(NEXT) | instid1(VALU_DEP_2)
	v_dual_mov_b32 v4, v16 :: v_dual_mov_b32 v5, v17
	v_cmpx_ne_u16_e32 0, v8
	s_cbranch_execz .LBB283_1777
; %bb.1770:                             ;   in Loop: Header=BB283_1055 Depth=1
	v_bfrev_b32_e32 v4, 1
	v_mov_b32_e32 v5, 0
	s_mov_b32 s12, exec_lo
	v_cmpx_ne_u16_e32 0x80, v8
	s_cbranch_execz .LBB283_1776
; %bb.1771:                             ;   in Loop: Header=BB283_1055 Depth=1
	v_mov_b32_e32 v4, 0x7f800001
	v_dual_mov_b32 v5, 0 :: v_dual_and_b32 v18, 0x7f, v121
	s_mov_b32 s13, exec_lo
	s_delay_alu instid0(VALU_DEP_1)
	v_cmpx_ne_u32_e32 0x7f, v18
	s_cbranch_execz .LBB283_1775
; %bb.1772:                             ;   in Loop: Header=BB283_1055 Depth=1
	v_and_b32_e32 v8, 7, v121
	v_lshrrev_b32_e32 v4, 3, v18
	s_mov_b32 s15, exec_lo
	v_cmpx_gt_u32_e32 8, v18
; %bb.1773:                             ;   in Loop: Header=BB283_1055 Depth=1
	s_delay_alu instid0(VALU_DEP_3) | instskip(NEXT) | instid1(VALU_DEP_1)
	v_clz_i32_u32_e32 v4, v8
	v_min_u32_e32 v4, 32, v4
	s_delay_alu instid0(VALU_DEP_1) | instskip(SKIP_1) | instid1(VALU_DEP_2)
	v_subrev_nc_u32_e32 v5, 28, v4
	v_sub_nc_u32_e32 v4, 29, v4
	v_lshlrev_b64 v[18:19], v5, v[8:9]
	s_delay_alu instid0(VALU_DEP_1)
	v_and_b32_e32 v8, 7, v18
; %bb.1774:                             ;   in Loop: Header=BB283_1055 Depth=1
	s_or_b32 exec_lo, exec_lo, s15
	v_lshlrev_b32_e32 v5, 24, v121
	s_delay_alu instid0(VALU_DEP_2) | instskip(SKIP_1) | instid1(VALU_DEP_3)
	v_lshlrev_b32_e32 v8, 20, v8
	v_lshl_add_u32 v4, v4, 23, 0x3c000000
	v_and_b32_e32 v5, 0x80000000, v5
	s_delay_alu instid0(VALU_DEP_1) | instskip(NEXT) | instid1(VALU_DEP_1)
	v_or3_b32 v8, v8, v5, v4
	v_dual_mov_b32 v4, v8 :: v_dual_mov_b32 v5, v9
.LBB283_1775:                           ;   in Loop: Header=BB283_1055 Depth=1
	s_or_b32 exec_lo, exec_lo, s13
.LBB283_1776:                           ;   in Loop: Header=BB283_1055 Depth=1
	s_delay_alu instid0(SALU_CYCLE_1)
	s_or_b32 exec_lo, exec_lo, s12
.LBB283_1777:                           ;   in Loop: Header=BB283_1055 Depth=1
	s_delay_alu instid0(SALU_CYCLE_1) | instskip(SKIP_2) | instid1(VALU_DEP_1)
	s_or_b32 exec_lo, exec_lo, s10
	v_lshrrev_b16 v8, 8, v121
	s_mov_b32 s12, exec_lo
	v_cmpx_ne_u16_e32 0, v8
	s_cbranch_execz .LBB283_1785
; %bb.1778:                             ;   in Loop: Header=BB283_1055 Depth=1
	v_dual_mov_b32 v17, s9 :: v_dual_mov_b32 v16, s8
	s_mov_b32 s13, exec_lo
	v_cmpx_ne_u16_e32 0x80, v8
	s_cbranch_execz .LBB283_1784
; %bb.1779:                             ;   in Loop: Header=BB283_1055 Depth=1
	s_mov_b32 s10, s8
	v_dual_mov_b32 v17, s11 :: v_dual_and_b32 v8, 0xffff, v8
	v_mov_b32_e32 v16, s10
	s_mov_b32 s10, exec_lo
	s_delay_alu instid0(VALU_DEP_2) | instskip(NEXT) | instid1(VALU_DEP_1)
	v_and_b32_e32 v18, 0x7f, v8
	v_cmpx_ne_u32_e32 0x7f, v18
	s_cbranch_execz .LBB283_1783
; %bb.1780:                             ;   in Loop: Header=BB283_1055 Depth=1
	v_and_b32_e32 v8, 7, v8
	v_lshrrev_b32_e32 v16, 3, v18
	s_mov_b32 s15, exec_lo
	v_cmpx_gt_u32_e32 8, v18
; %bb.1781:                             ;   in Loop: Header=BB283_1055 Depth=1
	s_delay_alu instid0(VALU_DEP_3) | instskip(NEXT) | instid1(VALU_DEP_1)
	v_clz_i32_u32_e32 v16, v8
	v_min_u32_e32 v16, 32, v16
	s_delay_alu instid0(VALU_DEP_1) | instskip(SKIP_1) | instid1(VALU_DEP_2)
	v_subrev_nc_u32_e32 v17, 28, v16
	v_sub_nc_u32_e32 v16, 29, v16
	v_lshlrev_b64 v[17:18], v17, v[8:9]
	s_delay_alu instid0(VALU_DEP_1)
	v_and_b32_e32 v8, 7, v17
; %bb.1782:                             ;   in Loop: Header=BB283_1055 Depth=1
	s_or_b32 exec_lo, exec_lo, s15
	v_lshlrev_b32_e32 v17, 16, v121
	s_delay_alu instid0(VALU_DEP_2) | instskip(SKIP_1) | instid1(VALU_DEP_3)
	v_lshlrev_b32_e32 v8, 20, v8
	v_lshl_add_u32 v16, v16, 23, 0x3c000000
	v_and_b32_e32 v17, 0x80000000, v17
	s_delay_alu instid0(VALU_DEP_1)
	v_or3_b32 v17, v8, v17, v16
	v_mov_b32_e32 v16, v9
.LBB283_1783:                           ;   in Loop: Header=BB283_1055 Depth=1
	s_or_b32 exec_lo, exec_lo, s10
.LBB283_1784:                           ;   in Loop: Header=BB283_1055 Depth=1
	s_delay_alu instid0(SALU_CYCLE_1)
	s_or_b32 exec_lo, exec_lo, s13
.LBB283_1785:                           ;   in Loop: Header=BB283_1055 Depth=1
	s_delay_alu instid0(SALU_CYCLE_1) | instskip(SKIP_4) | instid1(VALU_DEP_2)
	s_or_b32 exec_lo, exec_lo, s12
	v_mov_b32_e32 v20, 0
	v_lshrrev_b32_e32 v122, 16, v121
	v_mov_b32_e32 v21, 0
	s_mov_b32 s10, exec_lo
	v_and_b32_e32 v8, 0xff, v122
	s_delay_alu instid0(VALU_DEP_2) | instskip(NEXT) | instid1(VALU_DEP_2)
	v_dual_mov_b32 v18, v20 :: v_dual_mov_b32 v19, v21
	v_cmpx_ne_u16_e32 0, v8
	s_cbranch_execz .LBB283_1793
; %bb.1786:                             ;   in Loop: Header=BB283_1055 Depth=1
	v_bfrev_b32_e32 v18, 1
	v_mov_b32_e32 v19, 0
	s_mov_b32 s12, exec_lo
	v_cmpx_ne_u16_e32 0x80, v8
	s_cbranch_execz .LBB283_1792
; %bb.1787:                             ;   in Loop: Header=BB283_1055 Depth=1
	v_mov_b32_e32 v18, 0x7f800001
	v_bfe_u32 v123, v121, 16, 7
	v_mov_b32_e32 v19, 0
	s_mov_b32 s13, exec_lo
	s_delay_alu instid0(VALU_DEP_2)
	v_cmpx_ne_u32_e32 0x7f, v123
	s_cbranch_execz .LBB283_1791
; %bb.1788:                             ;   in Loop: Header=BB283_1055 Depth=1
	v_and_b32_e32 v8, 7, v122
	v_lshrrev_b32_e32 v18, 3, v123
	s_mov_b32 s15, exec_lo
	v_cmpx_gt_u32_e32 8, v123
; %bb.1789:                             ;   in Loop: Header=BB283_1055 Depth=1
	s_delay_alu instid0(VALU_DEP_3) | instskip(NEXT) | instid1(VALU_DEP_1)
	v_clz_i32_u32_e32 v18, v8
	v_min_u32_e32 v18, 32, v18
	s_delay_alu instid0(VALU_DEP_1) | instskip(SKIP_1) | instid1(VALU_DEP_2)
	v_subrev_nc_u32_e32 v19, 28, v18
	v_sub_nc_u32_e32 v18, 29, v18
	v_lshlrev_b64 v[123:124], v19, v[8:9]
	s_delay_alu instid0(VALU_DEP_1)
	v_and_b32_e32 v8, 7, v123
; %bb.1790:                             ;   in Loop: Header=BB283_1055 Depth=1
	s_or_b32 exec_lo, exec_lo, s15
	v_lshlrev_b32_e32 v19, 24, v122
	s_delay_alu instid0(VALU_DEP_2) | instskip(SKIP_1) | instid1(VALU_DEP_3)
	v_lshlrev_b32_e32 v8, 20, v8
	v_lshl_add_u32 v18, v18, 23, 0x3c000000
	v_and_b32_e32 v19, 0x80000000, v19
	s_delay_alu instid0(VALU_DEP_1) | instskip(NEXT) | instid1(VALU_DEP_1)
	v_or3_b32 v8, v8, v19, v18
	v_dual_mov_b32 v19, v9 :: v_dual_mov_b32 v18, v8
.LBB283_1791:                           ;   in Loop: Header=BB283_1055 Depth=1
	s_or_b32 exec_lo, exec_lo, s13
.LBB283_1792:                           ;   in Loop: Header=BB283_1055 Depth=1
	s_delay_alu instid0(SALU_CYCLE_1)
	s_or_b32 exec_lo, exec_lo, s12
.LBB283_1793:                           ;   in Loop: Header=BB283_1055 Depth=1
	s_delay_alu instid0(SALU_CYCLE_1) | instskip(NEXT) | instid1(SALU_CYCLE_1)
	s_or_b32 exec_lo, exec_lo, s10
	s_mov_b32 s12, exec_lo
	v_cmpx_lt_u32_e32 0xffffff, v121
	s_cbranch_execz .LBB283_1801
; %bb.1794:                             ;   in Loop: Header=BB283_1055 Depth=1
	v_lshrrev_b32_e32 v122, 24, v121
	v_dual_mov_b32 v21, s9 :: v_dual_mov_b32 v20, s8
	s_mov_b32 s13, exec_lo
	s_delay_alu instid0(VALU_DEP_2)
	v_cmpx_ne_u32_e32 0x80, v122
	s_cbranch_execz .LBB283_1800
; %bb.1795:                             ;   in Loop: Header=BB283_1055 Depth=1
	s_mov_b32 s10, s8
	v_bfe_u32 v121, v121, 24, 7
	v_dual_mov_b32 v21, s11 :: v_dual_mov_b32 v20, s10
	s_mov_b32 s10, exec_lo
	s_delay_alu instid0(VALU_DEP_2)
	v_cmpx_ne_u32_e32 0x7f, v121
	s_cbranch_execz .LBB283_1799
; %bb.1796:                             ;   in Loop: Header=BB283_1055 Depth=1
	v_and_b32_e32 v8, 7, v122
	v_lshrrev_b32_e32 v20, 3, v121
	s_mov_b32 s15, exec_lo
	v_cmpx_gt_u32_e32 8, v121
; %bb.1797:                             ;   in Loop: Header=BB283_1055 Depth=1
	s_delay_alu instid0(VALU_DEP_3) | instskip(NEXT) | instid1(VALU_DEP_1)
	v_clz_i32_u32_e32 v20, v8
	v_min_u32_e32 v20, 32, v20
	s_delay_alu instid0(VALU_DEP_1) | instskip(SKIP_1) | instid1(VALU_DEP_2)
	v_subrev_nc_u32_e32 v21, 28, v20
	v_sub_nc_u32_e32 v20, 29, v20
	v_lshlrev_b64 v[123:124], v21, v[8:9]
	s_delay_alu instid0(VALU_DEP_1)
	v_and_b32_e32 v8, 7, v123
; %bb.1798:                             ;   in Loop: Header=BB283_1055 Depth=1
	s_or_b32 exec_lo, exec_lo, s15
	v_lshlrev_b32_e32 v21, 24, v122
	s_delay_alu instid0(VALU_DEP_2) | instskip(SKIP_1) | instid1(VALU_DEP_3)
	v_lshlrev_b32_e32 v8, 20, v8
	v_lshl_add_u32 v20, v20, 23, 0x3c000000
	v_and_b32_e32 v21, 0x80000000, v21
	s_delay_alu instid0(VALU_DEP_1)
	v_or3_b32 v21, v8, v21, v20
	v_mov_b32_e32 v20, v9
.LBB283_1799:                           ;   in Loop: Header=BB283_1055 Depth=1
	s_or_b32 exec_lo, exec_lo, s10
.LBB283_1800:                           ;   in Loop: Header=BB283_1055 Depth=1
	s_delay_alu instid0(SALU_CYCLE_1)
	s_or_b32 exec_lo, exec_lo, s13
.LBB283_1801:                           ;   in Loop: Header=BB283_1055 Depth=1
	s_delay_alu instid0(SALU_CYCLE_1) | instskip(SKIP_4) | instid1(VALU_DEP_3)
	s_or_b32 exec_lo, exec_lo, s12
	v_or_b32_e32 v5, v17, v5
	v_or_b32_e32 v4, v16, v4
	;; [unrolled: 1-line block ×4, first 2 shown]
	v_dual_mul_f32 v124, v96, v5 :: v_dual_mul_f32 v123, v82, v4
	s_delay_alu instid0(VALU_DEP_3) | instskip(NEXT) | instid1(VALU_DEP_3)
	v_mul_f32_e32 v121, v96, v8
	v_mul_f32_e32 v122, v82, v16
	s_and_saveexec_b32 s10, vcc_lo
; %bb.1802:                             ;   in Loop: Header=BB283_1055 Depth=1
	v_cmp_lt_i32_e64 s0, v102, v98
	s_delay_alu instid0(VALU_DEP_1) | instskip(SKIP_1) | instid1(VALU_DEP_1)
	v_cndmask_b32_e64 v123, 0, v123, s0
	v_cmp_lt_i32_e64 s0, v112, v98
	v_cndmask_b32_e64 v124, 0, v124, s0
	v_cmp_lt_i32_e64 s0, v103, v98
	s_delay_alu instid0(VALU_DEP_1) | instskip(SKIP_1) | instid1(VALU_DEP_1)
	v_cndmask_b32_e64 v122, 0, v122, s0
	v_cmp_lt_i32_e64 s0, v86, v98
	v_cndmask_b32_e64 v121, 0, v121, s0
; %bb.1803:                             ;   in Loop: Header=BB283_1055 Depth=1
	s_or_b32 exec_lo, exec_lo, s10
	flat_load_b32 v125, v[14:15] offset:2816
	v_mov_b32_e32 v16, 0
	v_mov_b32_e32 v17, 0
	s_mov_b32 s10, exec_lo
	s_waitcnt vmcnt(0) lgkmcnt(0)
	v_and_b32_e32 v8, 0xff, v125
	s_delay_alu instid0(VALU_DEP_2) | instskip(NEXT) | instid1(VALU_DEP_2)
	v_dual_mov_b32 v4, v16 :: v_dual_mov_b32 v5, v17
	v_cmpx_ne_u16_e32 0, v8
	s_cbranch_execz .LBB283_1811
; %bb.1804:                             ;   in Loop: Header=BB283_1055 Depth=1
	v_bfrev_b32_e32 v4, 1
	v_mov_b32_e32 v5, 0
	s_mov_b32 s12, exec_lo
	v_cmpx_ne_u16_e32 0x80, v8
	s_cbranch_execz .LBB283_1810
; %bb.1805:                             ;   in Loop: Header=BB283_1055 Depth=1
	v_mov_b32_e32 v4, 0x7f800001
	v_dual_mov_b32 v5, 0 :: v_dual_and_b32 v18, 0x7f, v125
	s_mov_b32 s13, exec_lo
	s_delay_alu instid0(VALU_DEP_1)
	v_cmpx_ne_u32_e32 0x7f, v18
	s_cbranch_execz .LBB283_1809
; %bb.1806:                             ;   in Loop: Header=BB283_1055 Depth=1
	v_and_b32_e32 v8, 7, v125
	v_lshrrev_b32_e32 v4, 3, v18
	s_mov_b32 s15, exec_lo
	v_cmpx_gt_u32_e32 8, v18
; %bb.1807:                             ;   in Loop: Header=BB283_1055 Depth=1
	s_delay_alu instid0(VALU_DEP_3) | instskip(NEXT) | instid1(VALU_DEP_1)
	v_clz_i32_u32_e32 v4, v8
	v_min_u32_e32 v4, 32, v4
	s_delay_alu instid0(VALU_DEP_1) | instskip(SKIP_1) | instid1(VALU_DEP_2)
	v_subrev_nc_u32_e32 v5, 28, v4
	v_sub_nc_u32_e32 v4, 29, v4
	v_lshlrev_b64 v[18:19], v5, v[8:9]
	s_delay_alu instid0(VALU_DEP_1)
	v_and_b32_e32 v8, 7, v18
; %bb.1808:                             ;   in Loop: Header=BB283_1055 Depth=1
	s_or_b32 exec_lo, exec_lo, s15
	v_lshlrev_b32_e32 v5, 24, v125
	s_delay_alu instid0(VALU_DEP_2) | instskip(SKIP_1) | instid1(VALU_DEP_3)
	v_lshlrev_b32_e32 v8, 20, v8
	v_lshl_add_u32 v4, v4, 23, 0x3c000000
	v_and_b32_e32 v5, 0x80000000, v5
	s_delay_alu instid0(VALU_DEP_1) | instskip(NEXT) | instid1(VALU_DEP_1)
	v_or3_b32 v8, v8, v5, v4
	v_dual_mov_b32 v4, v8 :: v_dual_mov_b32 v5, v9
.LBB283_1809:                           ;   in Loop: Header=BB283_1055 Depth=1
	s_or_b32 exec_lo, exec_lo, s13
.LBB283_1810:                           ;   in Loop: Header=BB283_1055 Depth=1
	s_delay_alu instid0(SALU_CYCLE_1)
	s_or_b32 exec_lo, exec_lo, s12
.LBB283_1811:                           ;   in Loop: Header=BB283_1055 Depth=1
	s_delay_alu instid0(SALU_CYCLE_1) | instskip(SKIP_2) | instid1(VALU_DEP_1)
	s_or_b32 exec_lo, exec_lo, s10
	v_lshrrev_b16 v8, 8, v125
	s_mov_b32 s12, exec_lo
	v_cmpx_ne_u16_e32 0, v8
	s_cbranch_execz .LBB283_1819
; %bb.1812:                             ;   in Loop: Header=BB283_1055 Depth=1
	v_dual_mov_b32 v17, s9 :: v_dual_mov_b32 v16, s8
	s_mov_b32 s13, exec_lo
	v_cmpx_ne_u16_e32 0x80, v8
	s_cbranch_execz .LBB283_1818
; %bb.1813:                             ;   in Loop: Header=BB283_1055 Depth=1
	s_mov_b32 s10, s8
	v_dual_mov_b32 v17, s11 :: v_dual_and_b32 v8, 0xffff, v8
	v_mov_b32_e32 v16, s10
	s_mov_b32 s10, exec_lo
	s_delay_alu instid0(VALU_DEP_2) | instskip(NEXT) | instid1(VALU_DEP_1)
	v_and_b32_e32 v18, 0x7f, v8
	v_cmpx_ne_u32_e32 0x7f, v18
	s_cbranch_execz .LBB283_1817
; %bb.1814:                             ;   in Loop: Header=BB283_1055 Depth=1
	v_and_b32_e32 v8, 7, v8
	v_lshrrev_b32_e32 v16, 3, v18
	s_mov_b32 s15, exec_lo
	v_cmpx_gt_u32_e32 8, v18
; %bb.1815:                             ;   in Loop: Header=BB283_1055 Depth=1
	s_delay_alu instid0(VALU_DEP_3) | instskip(NEXT) | instid1(VALU_DEP_1)
	v_clz_i32_u32_e32 v16, v8
	v_min_u32_e32 v16, 32, v16
	s_delay_alu instid0(VALU_DEP_1) | instskip(SKIP_1) | instid1(VALU_DEP_2)
	v_subrev_nc_u32_e32 v17, 28, v16
	v_sub_nc_u32_e32 v16, 29, v16
	v_lshlrev_b64 v[17:18], v17, v[8:9]
	s_delay_alu instid0(VALU_DEP_1)
	v_and_b32_e32 v8, 7, v17
; %bb.1816:                             ;   in Loop: Header=BB283_1055 Depth=1
	s_or_b32 exec_lo, exec_lo, s15
	v_lshlrev_b32_e32 v17, 16, v125
	s_delay_alu instid0(VALU_DEP_2) | instskip(SKIP_1) | instid1(VALU_DEP_3)
	v_lshlrev_b32_e32 v8, 20, v8
	v_lshl_add_u32 v16, v16, 23, 0x3c000000
	v_and_b32_e32 v17, 0x80000000, v17
	s_delay_alu instid0(VALU_DEP_1)
	v_or3_b32 v17, v8, v17, v16
	v_mov_b32_e32 v16, v9
.LBB283_1817:                           ;   in Loop: Header=BB283_1055 Depth=1
	s_or_b32 exec_lo, exec_lo, s10
.LBB283_1818:                           ;   in Loop: Header=BB283_1055 Depth=1
	s_delay_alu instid0(SALU_CYCLE_1)
	s_or_b32 exec_lo, exec_lo, s13
.LBB283_1819:                           ;   in Loop: Header=BB283_1055 Depth=1
	s_delay_alu instid0(SALU_CYCLE_1) | instskip(SKIP_4) | instid1(VALU_DEP_2)
	s_or_b32 exec_lo, exec_lo, s12
	v_mov_b32_e32 v20, 0
	v_lshrrev_b32_e32 v126, 16, v125
	v_mov_b32_e32 v21, 0
	s_mov_b32 s10, exec_lo
	v_and_b32_e32 v8, 0xff, v126
	s_delay_alu instid0(VALU_DEP_2) | instskip(NEXT) | instid1(VALU_DEP_2)
	v_dual_mov_b32 v18, v20 :: v_dual_mov_b32 v19, v21
	v_cmpx_ne_u16_e32 0, v8
	s_cbranch_execz .LBB283_1827
; %bb.1820:                             ;   in Loop: Header=BB283_1055 Depth=1
	v_bfrev_b32_e32 v18, 1
	v_mov_b32_e32 v19, 0
	s_mov_b32 s12, exec_lo
	v_cmpx_ne_u16_e32 0x80, v8
	s_cbranch_execz .LBB283_1826
; %bb.1821:                             ;   in Loop: Header=BB283_1055 Depth=1
	v_mov_b32_e32 v18, 0x7f800001
	v_bfe_u32 v127, v125, 16, 7
	v_mov_b32_e32 v19, 0
	s_mov_b32 s13, exec_lo
	s_delay_alu instid0(VALU_DEP_2)
	v_cmpx_ne_u32_e32 0x7f, v127
	s_cbranch_execz .LBB283_1825
; %bb.1822:                             ;   in Loop: Header=BB283_1055 Depth=1
	v_and_b32_e32 v8, 7, v126
	v_lshrrev_b32_e32 v18, 3, v127
	s_mov_b32 s15, exec_lo
	v_cmpx_gt_u32_e32 8, v127
; %bb.1823:                             ;   in Loop: Header=BB283_1055 Depth=1
	s_delay_alu instid0(VALU_DEP_3) | instskip(NEXT) | instid1(VALU_DEP_1)
	v_clz_i32_u32_e32 v18, v8
	v_min_u32_e32 v18, 32, v18
	s_delay_alu instid0(VALU_DEP_1) | instskip(SKIP_1) | instid1(VALU_DEP_2)
	v_subrev_nc_u32_e32 v19, 28, v18
	v_sub_nc_u32_e32 v18, 29, v18
	v_lshlrev_b64 v[136:137], v19, v[8:9]
	s_delay_alu instid0(VALU_DEP_1)
	v_and_b32_e32 v8, 7, v136
; %bb.1824:                             ;   in Loop: Header=BB283_1055 Depth=1
	s_or_b32 exec_lo, exec_lo, s15
	v_lshlrev_b32_e32 v19, 24, v126
	s_delay_alu instid0(VALU_DEP_2) | instskip(SKIP_1) | instid1(VALU_DEP_3)
	v_lshlrev_b32_e32 v8, 20, v8
	v_lshl_add_u32 v18, v18, 23, 0x3c000000
	v_and_b32_e32 v19, 0x80000000, v19
	s_delay_alu instid0(VALU_DEP_1) | instskip(NEXT) | instid1(VALU_DEP_1)
	v_or3_b32 v8, v8, v19, v18
	v_dual_mov_b32 v19, v9 :: v_dual_mov_b32 v18, v8
.LBB283_1825:                           ;   in Loop: Header=BB283_1055 Depth=1
	s_or_b32 exec_lo, exec_lo, s13
.LBB283_1826:                           ;   in Loop: Header=BB283_1055 Depth=1
	s_delay_alu instid0(SALU_CYCLE_1)
	s_or_b32 exec_lo, exec_lo, s12
.LBB283_1827:                           ;   in Loop: Header=BB283_1055 Depth=1
	s_delay_alu instid0(SALU_CYCLE_1) | instskip(NEXT) | instid1(SALU_CYCLE_1)
	s_or_b32 exec_lo, exec_lo, s10
	s_mov_b32 s12, exec_lo
	v_cmpx_lt_u32_e32 0xffffff, v125
	s_cbranch_execz .LBB283_1835
; %bb.1828:                             ;   in Loop: Header=BB283_1055 Depth=1
	v_lshrrev_b32_e32 v126, 24, v125
	v_dual_mov_b32 v21, s9 :: v_dual_mov_b32 v20, s8
	s_mov_b32 s13, exec_lo
	s_delay_alu instid0(VALU_DEP_2)
	v_cmpx_ne_u32_e32 0x80, v126
	s_cbranch_execz .LBB283_1834
; %bb.1829:                             ;   in Loop: Header=BB283_1055 Depth=1
	s_mov_b32 s10, s8
	v_bfe_u32 v125, v125, 24, 7
	v_dual_mov_b32 v21, s11 :: v_dual_mov_b32 v20, s10
	s_mov_b32 s10, exec_lo
	s_delay_alu instid0(VALU_DEP_2)
	v_cmpx_ne_u32_e32 0x7f, v125
	s_cbranch_execz .LBB283_1833
; %bb.1830:                             ;   in Loop: Header=BB283_1055 Depth=1
	v_and_b32_e32 v8, 7, v126
	v_lshrrev_b32_e32 v20, 3, v125
	s_mov_b32 s15, exec_lo
	v_cmpx_gt_u32_e32 8, v125
; %bb.1831:                             ;   in Loop: Header=BB283_1055 Depth=1
	s_delay_alu instid0(VALU_DEP_3) | instskip(NEXT) | instid1(VALU_DEP_1)
	v_clz_i32_u32_e32 v20, v8
	v_min_u32_e32 v20, 32, v20
	s_delay_alu instid0(VALU_DEP_1) | instskip(SKIP_1) | instid1(VALU_DEP_2)
	v_subrev_nc_u32_e32 v21, 28, v20
	v_sub_nc_u32_e32 v20, 29, v20
	v_lshlrev_b64 v[136:137], v21, v[8:9]
	s_delay_alu instid0(VALU_DEP_1)
	v_and_b32_e32 v8, 7, v136
; %bb.1832:                             ;   in Loop: Header=BB283_1055 Depth=1
	s_or_b32 exec_lo, exec_lo, s15
	v_lshlrev_b32_e32 v21, 24, v126
	s_delay_alu instid0(VALU_DEP_2) | instskip(SKIP_1) | instid1(VALU_DEP_3)
	v_lshlrev_b32_e32 v8, 20, v8
	v_lshl_add_u32 v20, v20, 23, 0x3c000000
	v_and_b32_e32 v21, 0x80000000, v21
	s_delay_alu instid0(VALU_DEP_1)
	v_or3_b32 v21, v8, v21, v20
	v_mov_b32_e32 v20, v9
.LBB283_1833:                           ;   in Loop: Header=BB283_1055 Depth=1
	s_or_b32 exec_lo, exec_lo, s10
.LBB283_1834:                           ;   in Loop: Header=BB283_1055 Depth=1
	s_delay_alu instid0(SALU_CYCLE_1)
	s_or_b32 exec_lo, exec_lo, s13
.LBB283_1835:                           ;   in Loop: Header=BB283_1055 Depth=1
	s_delay_alu instid0(SALU_CYCLE_1) | instskip(SKIP_4) | instid1(VALU_DEP_3)
	s_or_b32 exec_lo, exec_lo, s12
	v_or_b32_e32 v5, v17, v5
	v_or_b32_e32 v4, v16, v4
	;; [unrolled: 1-line block ×4, first 2 shown]
	v_dual_mul_f32 v136, v96, v5 :: v_dual_mul_f32 v127, v82, v4
	s_delay_alu instid0(VALU_DEP_3) | instskip(NEXT) | instid1(VALU_DEP_3)
	v_mul_f32_e32 v125, v96, v8
	v_mul_f32_e32 v126, v82, v16
	s_and_saveexec_b32 s10, vcc_lo
; %bb.1836:                             ;   in Loop: Header=BB283_1055 Depth=1
	v_cmp_lt_i32_e64 s0, v102, v98
	s_delay_alu instid0(VALU_DEP_1) | instskip(SKIP_1) | instid1(VALU_DEP_1)
	v_cndmask_b32_e64 v127, 0, v127, s0
	v_cmp_lt_i32_e64 s0, v112, v98
	v_cndmask_b32_e64 v136, 0, v136, s0
	v_cmp_lt_i32_e64 s0, v103, v98
	s_delay_alu instid0(VALU_DEP_1) | instskip(SKIP_1) | instid1(VALU_DEP_1)
	v_cndmask_b32_e64 v126, 0, v126, s0
	v_cmp_lt_i32_e64 s0, v86, v98
	v_cndmask_b32_e64 v125, 0, v125, s0
; %bb.1837:                             ;   in Loop: Header=BB283_1055 Depth=1
	s_or_b32 exec_lo, exec_lo, s10
	flat_load_b32 v137, v[14:15] offset:2944
	v_mov_b32_e32 v16, 0
	v_mov_b32_e32 v17, 0
	s_mov_b32 s10, exec_lo
	s_waitcnt vmcnt(0) lgkmcnt(0)
	v_and_b32_e32 v8, 0xff, v137
	s_delay_alu instid0(VALU_DEP_2) | instskip(NEXT) | instid1(VALU_DEP_2)
	v_dual_mov_b32 v4, v16 :: v_dual_mov_b32 v5, v17
	v_cmpx_ne_u16_e32 0, v8
	s_cbranch_execz .LBB283_1845
; %bb.1838:                             ;   in Loop: Header=BB283_1055 Depth=1
	v_bfrev_b32_e32 v4, 1
	v_mov_b32_e32 v5, 0
	s_mov_b32 s12, exec_lo
	v_cmpx_ne_u16_e32 0x80, v8
	s_cbranch_execz .LBB283_1844
; %bb.1839:                             ;   in Loop: Header=BB283_1055 Depth=1
	v_mov_b32_e32 v4, 0x7f800001
	v_dual_mov_b32 v5, 0 :: v_dual_and_b32 v18, 0x7f, v137
	s_mov_b32 s13, exec_lo
	s_delay_alu instid0(VALU_DEP_1)
	v_cmpx_ne_u32_e32 0x7f, v18
	s_cbranch_execz .LBB283_1843
; %bb.1840:                             ;   in Loop: Header=BB283_1055 Depth=1
	v_and_b32_e32 v8, 7, v137
	v_lshrrev_b32_e32 v4, 3, v18
	s_mov_b32 s15, exec_lo
	v_cmpx_gt_u32_e32 8, v18
; %bb.1841:                             ;   in Loop: Header=BB283_1055 Depth=1
	s_delay_alu instid0(VALU_DEP_3) | instskip(NEXT) | instid1(VALU_DEP_1)
	v_clz_i32_u32_e32 v4, v8
	v_min_u32_e32 v4, 32, v4
	s_delay_alu instid0(VALU_DEP_1) | instskip(SKIP_1) | instid1(VALU_DEP_2)
	v_subrev_nc_u32_e32 v5, 28, v4
	v_sub_nc_u32_e32 v4, 29, v4
	v_lshlrev_b64 v[18:19], v5, v[8:9]
	s_delay_alu instid0(VALU_DEP_1)
	v_and_b32_e32 v8, 7, v18
; %bb.1842:                             ;   in Loop: Header=BB283_1055 Depth=1
	s_or_b32 exec_lo, exec_lo, s15
	v_lshlrev_b32_e32 v5, 24, v137
	s_delay_alu instid0(VALU_DEP_2) | instskip(SKIP_1) | instid1(VALU_DEP_3)
	v_lshlrev_b32_e32 v8, 20, v8
	v_lshl_add_u32 v4, v4, 23, 0x3c000000
	v_and_b32_e32 v5, 0x80000000, v5
	s_delay_alu instid0(VALU_DEP_1) | instskip(NEXT) | instid1(VALU_DEP_1)
	v_or3_b32 v8, v8, v5, v4
	v_dual_mov_b32 v4, v8 :: v_dual_mov_b32 v5, v9
.LBB283_1843:                           ;   in Loop: Header=BB283_1055 Depth=1
	s_or_b32 exec_lo, exec_lo, s13
.LBB283_1844:                           ;   in Loop: Header=BB283_1055 Depth=1
	s_delay_alu instid0(SALU_CYCLE_1)
	s_or_b32 exec_lo, exec_lo, s12
.LBB283_1845:                           ;   in Loop: Header=BB283_1055 Depth=1
	s_delay_alu instid0(SALU_CYCLE_1) | instskip(SKIP_2) | instid1(VALU_DEP_1)
	s_or_b32 exec_lo, exec_lo, s10
	v_lshrrev_b16 v8, 8, v137
	s_mov_b32 s12, exec_lo
	v_cmpx_ne_u16_e32 0, v8
	s_cbranch_execz .LBB283_1853
; %bb.1846:                             ;   in Loop: Header=BB283_1055 Depth=1
	v_dual_mov_b32 v17, s9 :: v_dual_mov_b32 v16, s8
	s_mov_b32 s13, exec_lo
	v_cmpx_ne_u16_e32 0x80, v8
	s_cbranch_execz .LBB283_1852
; %bb.1847:                             ;   in Loop: Header=BB283_1055 Depth=1
	s_mov_b32 s10, s8
	v_dual_mov_b32 v17, s11 :: v_dual_and_b32 v8, 0xffff, v8
	v_mov_b32_e32 v16, s10
	s_mov_b32 s10, exec_lo
	s_delay_alu instid0(VALU_DEP_2) | instskip(NEXT) | instid1(VALU_DEP_1)
	v_and_b32_e32 v18, 0x7f, v8
	v_cmpx_ne_u32_e32 0x7f, v18
	s_cbranch_execz .LBB283_1851
; %bb.1848:                             ;   in Loop: Header=BB283_1055 Depth=1
	v_and_b32_e32 v8, 7, v8
	v_lshrrev_b32_e32 v16, 3, v18
	s_mov_b32 s15, exec_lo
	v_cmpx_gt_u32_e32 8, v18
; %bb.1849:                             ;   in Loop: Header=BB283_1055 Depth=1
	s_delay_alu instid0(VALU_DEP_3) | instskip(NEXT) | instid1(VALU_DEP_1)
	v_clz_i32_u32_e32 v16, v8
	v_min_u32_e32 v16, 32, v16
	s_delay_alu instid0(VALU_DEP_1) | instskip(SKIP_1) | instid1(VALU_DEP_2)
	v_subrev_nc_u32_e32 v17, 28, v16
	v_sub_nc_u32_e32 v16, 29, v16
	v_lshlrev_b64 v[17:18], v17, v[8:9]
	s_delay_alu instid0(VALU_DEP_1)
	v_and_b32_e32 v8, 7, v17
; %bb.1850:                             ;   in Loop: Header=BB283_1055 Depth=1
	s_or_b32 exec_lo, exec_lo, s15
	v_lshlrev_b32_e32 v17, 16, v137
	s_delay_alu instid0(VALU_DEP_2) | instskip(SKIP_1) | instid1(VALU_DEP_3)
	v_lshlrev_b32_e32 v8, 20, v8
	v_lshl_add_u32 v16, v16, 23, 0x3c000000
	v_and_b32_e32 v17, 0x80000000, v17
	s_delay_alu instid0(VALU_DEP_1)
	v_or3_b32 v17, v8, v17, v16
	v_mov_b32_e32 v16, v9
.LBB283_1851:                           ;   in Loop: Header=BB283_1055 Depth=1
	s_or_b32 exec_lo, exec_lo, s10
.LBB283_1852:                           ;   in Loop: Header=BB283_1055 Depth=1
	s_delay_alu instid0(SALU_CYCLE_1)
	s_or_b32 exec_lo, exec_lo, s13
.LBB283_1853:                           ;   in Loop: Header=BB283_1055 Depth=1
	s_delay_alu instid0(SALU_CYCLE_1) | instskip(SKIP_4) | instid1(VALU_DEP_2)
	s_or_b32 exec_lo, exec_lo, s12
	v_mov_b32_e32 v20, 0
	v_lshrrev_b32_e32 v138, 16, v137
	v_mov_b32_e32 v21, 0
	s_mov_b32 s10, exec_lo
	v_and_b32_e32 v8, 0xff, v138
	s_delay_alu instid0(VALU_DEP_2) | instskip(NEXT) | instid1(VALU_DEP_2)
	v_dual_mov_b32 v18, v20 :: v_dual_mov_b32 v19, v21
	v_cmpx_ne_u16_e32 0, v8
	s_cbranch_execz .LBB283_1861
; %bb.1854:                             ;   in Loop: Header=BB283_1055 Depth=1
	v_bfrev_b32_e32 v18, 1
	v_mov_b32_e32 v19, 0
	s_mov_b32 s12, exec_lo
	v_cmpx_ne_u16_e32 0x80, v8
	s_cbranch_execz .LBB283_1860
; %bb.1855:                             ;   in Loop: Header=BB283_1055 Depth=1
	v_mov_b32_e32 v18, 0x7f800001
	v_bfe_u32 v139, v137, 16, 7
	v_mov_b32_e32 v19, 0
	s_mov_b32 s13, exec_lo
	s_delay_alu instid0(VALU_DEP_2)
	v_cmpx_ne_u32_e32 0x7f, v139
	s_cbranch_execz .LBB283_1859
; %bb.1856:                             ;   in Loop: Header=BB283_1055 Depth=1
	v_and_b32_e32 v8, 7, v138
	v_lshrrev_b32_e32 v18, 3, v139
	s_mov_b32 s15, exec_lo
	v_cmpx_gt_u32_e32 8, v139
; %bb.1857:                             ;   in Loop: Header=BB283_1055 Depth=1
	s_delay_alu instid0(VALU_DEP_3) | instskip(NEXT) | instid1(VALU_DEP_1)
	v_clz_i32_u32_e32 v18, v8
	v_min_u32_e32 v18, 32, v18
	s_delay_alu instid0(VALU_DEP_1) | instskip(SKIP_1) | instid1(VALU_DEP_2)
	v_subrev_nc_u32_e32 v19, 28, v18
	v_sub_nc_u32_e32 v18, 29, v18
	v_lshlrev_b64 v[139:140], v19, v[8:9]
	s_delay_alu instid0(VALU_DEP_1)
	v_and_b32_e32 v8, 7, v139
; %bb.1858:                             ;   in Loop: Header=BB283_1055 Depth=1
	s_or_b32 exec_lo, exec_lo, s15
	v_lshlrev_b32_e32 v19, 24, v138
	s_delay_alu instid0(VALU_DEP_2) | instskip(SKIP_1) | instid1(VALU_DEP_3)
	v_lshlrev_b32_e32 v8, 20, v8
	v_lshl_add_u32 v18, v18, 23, 0x3c000000
	v_and_b32_e32 v19, 0x80000000, v19
	s_delay_alu instid0(VALU_DEP_1) | instskip(NEXT) | instid1(VALU_DEP_1)
	v_or3_b32 v8, v8, v19, v18
	v_dual_mov_b32 v19, v9 :: v_dual_mov_b32 v18, v8
.LBB283_1859:                           ;   in Loop: Header=BB283_1055 Depth=1
	s_or_b32 exec_lo, exec_lo, s13
.LBB283_1860:                           ;   in Loop: Header=BB283_1055 Depth=1
	s_delay_alu instid0(SALU_CYCLE_1)
	s_or_b32 exec_lo, exec_lo, s12
.LBB283_1861:                           ;   in Loop: Header=BB283_1055 Depth=1
	s_delay_alu instid0(SALU_CYCLE_1) | instskip(NEXT) | instid1(SALU_CYCLE_1)
	s_or_b32 exec_lo, exec_lo, s10
	s_mov_b32 s12, exec_lo
	v_cmpx_lt_u32_e32 0xffffff, v137
	s_cbranch_execz .LBB283_1869
; %bb.1862:                             ;   in Loop: Header=BB283_1055 Depth=1
	v_lshrrev_b32_e32 v138, 24, v137
	v_dual_mov_b32 v21, s9 :: v_dual_mov_b32 v20, s8
	s_mov_b32 s13, exec_lo
	s_delay_alu instid0(VALU_DEP_2)
	v_cmpx_ne_u32_e32 0x80, v138
	s_cbranch_execz .LBB283_1868
; %bb.1863:                             ;   in Loop: Header=BB283_1055 Depth=1
	s_mov_b32 s10, s8
	v_bfe_u32 v137, v137, 24, 7
	v_dual_mov_b32 v21, s11 :: v_dual_mov_b32 v20, s10
	s_mov_b32 s10, exec_lo
	s_delay_alu instid0(VALU_DEP_2)
	v_cmpx_ne_u32_e32 0x7f, v137
	s_cbranch_execz .LBB283_1867
; %bb.1864:                             ;   in Loop: Header=BB283_1055 Depth=1
	v_and_b32_e32 v8, 7, v138
	v_lshrrev_b32_e32 v20, 3, v137
	s_mov_b32 s15, exec_lo
	v_cmpx_gt_u32_e32 8, v137
; %bb.1865:                             ;   in Loop: Header=BB283_1055 Depth=1
	s_delay_alu instid0(VALU_DEP_3) | instskip(NEXT) | instid1(VALU_DEP_1)
	v_clz_i32_u32_e32 v20, v8
	v_min_u32_e32 v20, 32, v20
	s_delay_alu instid0(VALU_DEP_1) | instskip(SKIP_1) | instid1(VALU_DEP_2)
	v_subrev_nc_u32_e32 v21, 28, v20
	v_sub_nc_u32_e32 v20, 29, v20
	v_lshlrev_b64 v[139:140], v21, v[8:9]
	s_delay_alu instid0(VALU_DEP_1)
	v_and_b32_e32 v8, 7, v139
; %bb.1866:                             ;   in Loop: Header=BB283_1055 Depth=1
	s_or_b32 exec_lo, exec_lo, s15
	v_lshlrev_b32_e32 v21, 24, v138
	s_delay_alu instid0(VALU_DEP_2) | instskip(SKIP_1) | instid1(VALU_DEP_3)
	v_lshlrev_b32_e32 v8, 20, v8
	v_lshl_add_u32 v20, v20, 23, 0x3c000000
	v_and_b32_e32 v21, 0x80000000, v21
	s_delay_alu instid0(VALU_DEP_1)
	v_or3_b32 v21, v8, v21, v20
	v_mov_b32_e32 v20, v9
.LBB283_1867:                           ;   in Loop: Header=BB283_1055 Depth=1
	s_or_b32 exec_lo, exec_lo, s10
.LBB283_1868:                           ;   in Loop: Header=BB283_1055 Depth=1
	s_delay_alu instid0(SALU_CYCLE_1)
	s_or_b32 exec_lo, exec_lo, s13
.LBB283_1869:                           ;   in Loop: Header=BB283_1055 Depth=1
	s_delay_alu instid0(SALU_CYCLE_1) | instskip(SKIP_4) | instid1(VALU_DEP_3)
	s_or_b32 exec_lo, exec_lo, s12
	v_or_b32_e32 v5, v17, v5
	v_or_b32_e32 v4, v16, v4
	;; [unrolled: 1-line block ×4, first 2 shown]
	v_dual_mul_f32 v140, v96, v5 :: v_dual_mul_f32 v139, v82, v4
	s_delay_alu instid0(VALU_DEP_3) | instskip(NEXT) | instid1(VALU_DEP_3)
	v_mul_f32_e32 v137, v96, v8
	v_mul_f32_e32 v138, v82, v16
	s_and_saveexec_b32 s10, vcc_lo
; %bb.1870:                             ;   in Loop: Header=BB283_1055 Depth=1
	v_cmp_lt_i32_e64 s0, v102, v98
	s_delay_alu instid0(VALU_DEP_1) | instskip(SKIP_1) | instid1(VALU_DEP_1)
	v_cndmask_b32_e64 v139, 0, v139, s0
	v_cmp_lt_i32_e64 s0, v112, v98
	v_cndmask_b32_e64 v140, 0, v140, s0
	v_cmp_lt_i32_e64 s0, v103, v98
	s_delay_alu instid0(VALU_DEP_1) | instskip(SKIP_1) | instid1(VALU_DEP_1)
	v_cndmask_b32_e64 v138, 0, v138, s0
	v_cmp_lt_i32_e64 s0, v86, v98
	v_cndmask_b32_e64 v137, 0, v137, s0
; %bb.1871:                             ;   in Loop: Header=BB283_1055 Depth=1
	s_or_b32 exec_lo, exec_lo, s10
	flat_load_b32 v141, v[14:15] offset:3072
	v_mov_b32_e32 v16, 0
	v_mov_b32_e32 v17, 0
	s_mov_b32 s10, exec_lo
	s_waitcnt vmcnt(0) lgkmcnt(0)
	v_and_b32_e32 v8, 0xff, v141
	s_delay_alu instid0(VALU_DEP_2) | instskip(NEXT) | instid1(VALU_DEP_2)
	v_dual_mov_b32 v4, v16 :: v_dual_mov_b32 v5, v17
	v_cmpx_ne_u16_e32 0, v8
	s_cbranch_execz .LBB283_1879
; %bb.1872:                             ;   in Loop: Header=BB283_1055 Depth=1
	v_bfrev_b32_e32 v4, 1
	v_mov_b32_e32 v5, 0
	s_mov_b32 s12, exec_lo
	v_cmpx_ne_u16_e32 0x80, v8
	s_cbranch_execz .LBB283_1878
; %bb.1873:                             ;   in Loop: Header=BB283_1055 Depth=1
	v_mov_b32_e32 v4, 0x7f800001
	v_dual_mov_b32 v5, 0 :: v_dual_and_b32 v18, 0x7f, v141
	s_mov_b32 s13, exec_lo
	s_delay_alu instid0(VALU_DEP_1)
	v_cmpx_ne_u32_e32 0x7f, v18
	s_cbranch_execz .LBB283_1877
; %bb.1874:                             ;   in Loop: Header=BB283_1055 Depth=1
	v_and_b32_e32 v8, 7, v141
	v_lshrrev_b32_e32 v4, 3, v18
	s_mov_b32 s15, exec_lo
	v_cmpx_gt_u32_e32 8, v18
; %bb.1875:                             ;   in Loop: Header=BB283_1055 Depth=1
	s_delay_alu instid0(VALU_DEP_3) | instskip(NEXT) | instid1(VALU_DEP_1)
	v_clz_i32_u32_e32 v4, v8
	v_min_u32_e32 v4, 32, v4
	s_delay_alu instid0(VALU_DEP_1) | instskip(SKIP_1) | instid1(VALU_DEP_2)
	v_subrev_nc_u32_e32 v5, 28, v4
	v_sub_nc_u32_e32 v4, 29, v4
	v_lshlrev_b64 v[18:19], v5, v[8:9]
	s_delay_alu instid0(VALU_DEP_1)
	v_and_b32_e32 v8, 7, v18
; %bb.1876:                             ;   in Loop: Header=BB283_1055 Depth=1
	s_or_b32 exec_lo, exec_lo, s15
	v_lshlrev_b32_e32 v5, 24, v141
	s_delay_alu instid0(VALU_DEP_2) | instskip(SKIP_1) | instid1(VALU_DEP_3)
	v_lshlrev_b32_e32 v8, 20, v8
	v_lshl_add_u32 v4, v4, 23, 0x3c000000
	v_and_b32_e32 v5, 0x80000000, v5
	s_delay_alu instid0(VALU_DEP_1) | instskip(NEXT) | instid1(VALU_DEP_1)
	v_or3_b32 v8, v8, v5, v4
	v_dual_mov_b32 v4, v8 :: v_dual_mov_b32 v5, v9
.LBB283_1877:                           ;   in Loop: Header=BB283_1055 Depth=1
	s_or_b32 exec_lo, exec_lo, s13
.LBB283_1878:                           ;   in Loop: Header=BB283_1055 Depth=1
	s_delay_alu instid0(SALU_CYCLE_1)
	s_or_b32 exec_lo, exec_lo, s12
.LBB283_1879:                           ;   in Loop: Header=BB283_1055 Depth=1
	s_delay_alu instid0(SALU_CYCLE_1) | instskip(SKIP_2) | instid1(VALU_DEP_1)
	s_or_b32 exec_lo, exec_lo, s10
	v_lshrrev_b16 v8, 8, v141
	s_mov_b32 s12, exec_lo
	v_cmpx_ne_u16_e32 0, v8
	s_cbranch_execz .LBB283_1887
; %bb.1880:                             ;   in Loop: Header=BB283_1055 Depth=1
	v_dual_mov_b32 v17, s9 :: v_dual_mov_b32 v16, s8
	s_mov_b32 s13, exec_lo
	v_cmpx_ne_u16_e32 0x80, v8
	s_cbranch_execz .LBB283_1886
; %bb.1881:                             ;   in Loop: Header=BB283_1055 Depth=1
	s_mov_b32 s10, s8
	v_dual_mov_b32 v17, s11 :: v_dual_and_b32 v8, 0xffff, v8
	v_mov_b32_e32 v16, s10
	s_mov_b32 s10, exec_lo
	s_delay_alu instid0(VALU_DEP_2) | instskip(NEXT) | instid1(VALU_DEP_1)
	v_and_b32_e32 v18, 0x7f, v8
	v_cmpx_ne_u32_e32 0x7f, v18
	s_cbranch_execz .LBB283_1885
; %bb.1882:                             ;   in Loop: Header=BB283_1055 Depth=1
	v_and_b32_e32 v8, 7, v8
	v_lshrrev_b32_e32 v16, 3, v18
	s_mov_b32 s15, exec_lo
	v_cmpx_gt_u32_e32 8, v18
; %bb.1883:                             ;   in Loop: Header=BB283_1055 Depth=1
	s_delay_alu instid0(VALU_DEP_3) | instskip(NEXT) | instid1(VALU_DEP_1)
	v_clz_i32_u32_e32 v16, v8
	v_min_u32_e32 v16, 32, v16
	s_delay_alu instid0(VALU_DEP_1) | instskip(SKIP_1) | instid1(VALU_DEP_2)
	v_subrev_nc_u32_e32 v17, 28, v16
	v_sub_nc_u32_e32 v16, 29, v16
	v_lshlrev_b64 v[17:18], v17, v[8:9]
	s_delay_alu instid0(VALU_DEP_1)
	v_and_b32_e32 v8, 7, v17
; %bb.1884:                             ;   in Loop: Header=BB283_1055 Depth=1
	s_or_b32 exec_lo, exec_lo, s15
	v_lshlrev_b32_e32 v17, 16, v141
	s_delay_alu instid0(VALU_DEP_2) | instskip(SKIP_1) | instid1(VALU_DEP_3)
	v_lshlrev_b32_e32 v8, 20, v8
	v_lshl_add_u32 v16, v16, 23, 0x3c000000
	v_and_b32_e32 v17, 0x80000000, v17
	s_delay_alu instid0(VALU_DEP_1)
	v_or3_b32 v17, v8, v17, v16
	v_mov_b32_e32 v16, v9
.LBB283_1885:                           ;   in Loop: Header=BB283_1055 Depth=1
	s_or_b32 exec_lo, exec_lo, s10
.LBB283_1886:                           ;   in Loop: Header=BB283_1055 Depth=1
	s_delay_alu instid0(SALU_CYCLE_1)
	s_or_b32 exec_lo, exec_lo, s13
.LBB283_1887:                           ;   in Loop: Header=BB283_1055 Depth=1
	s_delay_alu instid0(SALU_CYCLE_1) | instskip(SKIP_4) | instid1(VALU_DEP_2)
	s_or_b32 exec_lo, exec_lo, s12
	v_mov_b32_e32 v20, 0
	v_lshrrev_b32_e32 v142, 16, v141
	v_mov_b32_e32 v21, 0
	s_mov_b32 s10, exec_lo
	v_and_b32_e32 v8, 0xff, v142
	s_delay_alu instid0(VALU_DEP_2) | instskip(NEXT) | instid1(VALU_DEP_2)
	v_dual_mov_b32 v18, v20 :: v_dual_mov_b32 v19, v21
	v_cmpx_ne_u16_e32 0, v8
	s_cbranch_execz .LBB283_1895
; %bb.1888:                             ;   in Loop: Header=BB283_1055 Depth=1
	v_bfrev_b32_e32 v18, 1
	v_mov_b32_e32 v19, 0
	s_mov_b32 s12, exec_lo
	v_cmpx_ne_u16_e32 0x80, v8
	s_cbranch_execz .LBB283_1894
; %bb.1889:                             ;   in Loop: Header=BB283_1055 Depth=1
	v_mov_b32_e32 v18, 0x7f800001
	v_bfe_u32 v143, v141, 16, 7
	v_mov_b32_e32 v19, 0
	s_mov_b32 s13, exec_lo
	s_delay_alu instid0(VALU_DEP_2)
	v_cmpx_ne_u32_e32 0x7f, v143
	s_cbranch_execz .LBB283_1893
; %bb.1890:                             ;   in Loop: Header=BB283_1055 Depth=1
	v_and_b32_e32 v8, 7, v142
	v_lshrrev_b32_e32 v18, 3, v143
	s_mov_b32 s15, exec_lo
	v_cmpx_gt_u32_e32 8, v143
; %bb.1891:                             ;   in Loop: Header=BB283_1055 Depth=1
	s_delay_alu instid0(VALU_DEP_3) | instskip(NEXT) | instid1(VALU_DEP_1)
	v_clz_i32_u32_e32 v18, v8
	v_min_u32_e32 v18, 32, v18
	s_delay_alu instid0(VALU_DEP_1) | instskip(SKIP_1) | instid1(VALU_DEP_2)
	v_subrev_nc_u32_e32 v19, 28, v18
	v_sub_nc_u32_e32 v18, 29, v18
	v_lshlrev_b64 v[152:153], v19, v[8:9]
	s_delay_alu instid0(VALU_DEP_1)
	v_and_b32_e32 v8, 7, v152
; %bb.1892:                             ;   in Loop: Header=BB283_1055 Depth=1
	s_or_b32 exec_lo, exec_lo, s15
	v_lshlrev_b32_e32 v19, 24, v142
	s_delay_alu instid0(VALU_DEP_2) | instskip(SKIP_1) | instid1(VALU_DEP_3)
	v_lshlrev_b32_e32 v8, 20, v8
	v_lshl_add_u32 v18, v18, 23, 0x3c000000
	v_and_b32_e32 v19, 0x80000000, v19
	s_delay_alu instid0(VALU_DEP_1) | instskip(NEXT) | instid1(VALU_DEP_1)
	v_or3_b32 v8, v8, v19, v18
	v_dual_mov_b32 v19, v9 :: v_dual_mov_b32 v18, v8
.LBB283_1893:                           ;   in Loop: Header=BB283_1055 Depth=1
	s_or_b32 exec_lo, exec_lo, s13
.LBB283_1894:                           ;   in Loop: Header=BB283_1055 Depth=1
	s_delay_alu instid0(SALU_CYCLE_1)
	s_or_b32 exec_lo, exec_lo, s12
.LBB283_1895:                           ;   in Loop: Header=BB283_1055 Depth=1
	s_delay_alu instid0(SALU_CYCLE_1) | instskip(NEXT) | instid1(SALU_CYCLE_1)
	s_or_b32 exec_lo, exec_lo, s10
	s_mov_b32 s12, exec_lo
	v_cmpx_lt_u32_e32 0xffffff, v141
	s_cbranch_execz .LBB283_1903
; %bb.1896:                             ;   in Loop: Header=BB283_1055 Depth=1
	v_lshrrev_b32_e32 v142, 24, v141
	v_dual_mov_b32 v21, s9 :: v_dual_mov_b32 v20, s8
	s_mov_b32 s13, exec_lo
	s_delay_alu instid0(VALU_DEP_2)
	v_cmpx_ne_u32_e32 0x80, v142
	s_cbranch_execz .LBB283_1902
; %bb.1897:                             ;   in Loop: Header=BB283_1055 Depth=1
	s_mov_b32 s10, s8
	v_bfe_u32 v141, v141, 24, 7
	v_dual_mov_b32 v21, s11 :: v_dual_mov_b32 v20, s10
	s_mov_b32 s10, exec_lo
	s_delay_alu instid0(VALU_DEP_2)
	v_cmpx_ne_u32_e32 0x7f, v141
	s_cbranch_execz .LBB283_1901
; %bb.1898:                             ;   in Loop: Header=BB283_1055 Depth=1
	v_and_b32_e32 v8, 7, v142
	v_lshrrev_b32_e32 v20, 3, v141
	s_mov_b32 s15, exec_lo
	v_cmpx_gt_u32_e32 8, v141
; %bb.1899:                             ;   in Loop: Header=BB283_1055 Depth=1
	s_delay_alu instid0(VALU_DEP_3) | instskip(NEXT) | instid1(VALU_DEP_1)
	v_clz_i32_u32_e32 v20, v8
	v_min_u32_e32 v20, 32, v20
	s_delay_alu instid0(VALU_DEP_1) | instskip(SKIP_1) | instid1(VALU_DEP_2)
	v_subrev_nc_u32_e32 v21, 28, v20
	v_sub_nc_u32_e32 v20, 29, v20
	v_lshlrev_b64 v[152:153], v21, v[8:9]
	s_delay_alu instid0(VALU_DEP_1)
	v_and_b32_e32 v8, 7, v152
; %bb.1900:                             ;   in Loop: Header=BB283_1055 Depth=1
	s_or_b32 exec_lo, exec_lo, s15
	v_lshlrev_b32_e32 v21, 24, v142
	s_delay_alu instid0(VALU_DEP_2) | instskip(SKIP_1) | instid1(VALU_DEP_3)
	v_lshlrev_b32_e32 v8, 20, v8
	v_lshl_add_u32 v20, v20, 23, 0x3c000000
	v_and_b32_e32 v21, 0x80000000, v21
	s_delay_alu instid0(VALU_DEP_1)
	v_or3_b32 v21, v8, v21, v20
	v_mov_b32_e32 v20, v9
.LBB283_1901:                           ;   in Loop: Header=BB283_1055 Depth=1
	s_or_b32 exec_lo, exec_lo, s10
.LBB283_1902:                           ;   in Loop: Header=BB283_1055 Depth=1
	s_delay_alu instid0(SALU_CYCLE_1)
	s_or_b32 exec_lo, exec_lo, s13
.LBB283_1903:                           ;   in Loop: Header=BB283_1055 Depth=1
	s_delay_alu instid0(SALU_CYCLE_1) | instskip(SKIP_4) | instid1(VALU_DEP_3)
	s_or_b32 exec_lo, exec_lo, s12
	v_or_b32_e32 v5, v17, v5
	v_or_b32_e32 v4, v16, v4
	;; [unrolled: 1-line block ×4, first 2 shown]
	v_dual_mul_f32 v152, v96, v5 :: v_dual_mul_f32 v143, v82, v4
	s_delay_alu instid0(VALU_DEP_3) | instskip(NEXT) | instid1(VALU_DEP_3)
	v_mul_f32_e32 v141, v96, v8
	v_mul_f32_e32 v142, v82, v16
	s_and_saveexec_b32 s10, vcc_lo
; %bb.1904:                             ;   in Loop: Header=BB283_1055 Depth=1
	v_cmp_lt_i32_e64 s0, v102, v98
	s_delay_alu instid0(VALU_DEP_1) | instskip(SKIP_1) | instid1(VALU_DEP_1)
	v_cndmask_b32_e64 v143, 0, v143, s0
	v_cmp_lt_i32_e64 s0, v112, v98
	v_cndmask_b32_e64 v152, 0, v152, s0
	v_cmp_lt_i32_e64 s0, v103, v98
	s_delay_alu instid0(VALU_DEP_1) | instskip(SKIP_1) | instid1(VALU_DEP_1)
	v_cndmask_b32_e64 v142, 0, v142, s0
	v_cmp_lt_i32_e64 s0, v86, v98
	v_cndmask_b32_e64 v141, 0, v141, s0
; %bb.1905:                             ;   in Loop: Header=BB283_1055 Depth=1
	s_or_b32 exec_lo, exec_lo, s10
	flat_load_b32 v153, v[14:15] offset:3200
	v_mov_b32_e32 v16, 0
	v_mov_b32_e32 v17, 0
	s_mov_b32 s10, exec_lo
	s_waitcnt vmcnt(0) lgkmcnt(0)
	v_and_b32_e32 v8, 0xff, v153
	s_delay_alu instid0(VALU_DEP_2) | instskip(NEXT) | instid1(VALU_DEP_2)
	v_dual_mov_b32 v4, v16 :: v_dual_mov_b32 v5, v17
	v_cmpx_ne_u16_e32 0, v8
	s_cbranch_execz .LBB283_1913
; %bb.1906:                             ;   in Loop: Header=BB283_1055 Depth=1
	v_bfrev_b32_e32 v4, 1
	v_mov_b32_e32 v5, 0
	s_mov_b32 s12, exec_lo
	v_cmpx_ne_u16_e32 0x80, v8
	s_cbranch_execz .LBB283_1912
; %bb.1907:                             ;   in Loop: Header=BB283_1055 Depth=1
	v_mov_b32_e32 v4, 0x7f800001
	v_dual_mov_b32 v5, 0 :: v_dual_and_b32 v18, 0x7f, v153
	s_mov_b32 s13, exec_lo
	s_delay_alu instid0(VALU_DEP_1)
	v_cmpx_ne_u32_e32 0x7f, v18
	s_cbranch_execz .LBB283_1911
; %bb.1908:                             ;   in Loop: Header=BB283_1055 Depth=1
	v_and_b32_e32 v8, 7, v153
	v_lshrrev_b32_e32 v4, 3, v18
	s_mov_b32 s15, exec_lo
	v_cmpx_gt_u32_e32 8, v18
; %bb.1909:                             ;   in Loop: Header=BB283_1055 Depth=1
	s_delay_alu instid0(VALU_DEP_3) | instskip(NEXT) | instid1(VALU_DEP_1)
	v_clz_i32_u32_e32 v4, v8
	v_min_u32_e32 v4, 32, v4
	s_delay_alu instid0(VALU_DEP_1) | instskip(SKIP_1) | instid1(VALU_DEP_2)
	v_subrev_nc_u32_e32 v5, 28, v4
	v_sub_nc_u32_e32 v4, 29, v4
	v_lshlrev_b64 v[18:19], v5, v[8:9]
	s_delay_alu instid0(VALU_DEP_1)
	v_and_b32_e32 v8, 7, v18
; %bb.1910:                             ;   in Loop: Header=BB283_1055 Depth=1
	s_or_b32 exec_lo, exec_lo, s15
	v_lshlrev_b32_e32 v5, 24, v153
	s_delay_alu instid0(VALU_DEP_2) | instskip(SKIP_1) | instid1(VALU_DEP_3)
	v_lshlrev_b32_e32 v8, 20, v8
	v_lshl_add_u32 v4, v4, 23, 0x3c000000
	v_and_b32_e32 v5, 0x80000000, v5
	s_delay_alu instid0(VALU_DEP_1) | instskip(NEXT) | instid1(VALU_DEP_1)
	v_or3_b32 v8, v8, v5, v4
	v_dual_mov_b32 v4, v8 :: v_dual_mov_b32 v5, v9
.LBB283_1911:                           ;   in Loop: Header=BB283_1055 Depth=1
	s_or_b32 exec_lo, exec_lo, s13
.LBB283_1912:                           ;   in Loop: Header=BB283_1055 Depth=1
	s_delay_alu instid0(SALU_CYCLE_1)
	s_or_b32 exec_lo, exec_lo, s12
.LBB283_1913:                           ;   in Loop: Header=BB283_1055 Depth=1
	s_delay_alu instid0(SALU_CYCLE_1) | instskip(SKIP_2) | instid1(VALU_DEP_1)
	s_or_b32 exec_lo, exec_lo, s10
	v_lshrrev_b16 v8, 8, v153
	s_mov_b32 s12, exec_lo
	v_cmpx_ne_u16_e32 0, v8
	s_cbranch_execz .LBB283_1921
; %bb.1914:                             ;   in Loop: Header=BB283_1055 Depth=1
	v_dual_mov_b32 v17, s9 :: v_dual_mov_b32 v16, s8
	s_mov_b32 s13, exec_lo
	v_cmpx_ne_u16_e32 0x80, v8
	s_cbranch_execz .LBB283_1920
; %bb.1915:                             ;   in Loop: Header=BB283_1055 Depth=1
	s_mov_b32 s10, s8
	v_dual_mov_b32 v17, s11 :: v_dual_and_b32 v8, 0xffff, v8
	v_mov_b32_e32 v16, s10
	s_mov_b32 s10, exec_lo
	s_delay_alu instid0(VALU_DEP_2) | instskip(NEXT) | instid1(VALU_DEP_1)
	v_and_b32_e32 v18, 0x7f, v8
	v_cmpx_ne_u32_e32 0x7f, v18
	s_cbranch_execz .LBB283_1919
; %bb.1916:                             ;   in Loop: Header=BB283_1055 Depth=1
	v_and_b32_e32 v8, 7, v8
	v_lshrrev_b32_e32 v16, 3, v18
	s_mov_b32 s15, exec_lo
	v_cmpx_gt_u32_e32 8, v18
; %bb.1917:                             ;   in Loop: Header=BB283_1055 Depth=1
	s_delay_alu instid0(VALU_DEP_3) | instskip(NEXT) | instid1(VALU_DEP_1)
	v_clz_i32_u32_e32 v16, v8
	v_min_u32_e32 v16, 32, v16
	s_delay_alu instid0(VALU_DEP_1) | instskip(SKIP_1) | instid1(VALU_DEP_2)
	v_subrev_nc_u32_e32 v17, 28, v16
	v_sub_nc_u32_e32 v16, 29, v16
	v_lshlrev_b64 v[17:18], v17, v[8:9]
	s_delay_alu instid0(VALU_DEP_1)
	v_and_b32_e32 v8, 7, v17
; %bb.1918:                             ;   in Loop: Header=BB283_1055 Depth=1
	s_or_b32 exec_lo, exec_lo, s15
	v_lshlrev_b32_e32 v17, 16, v153
	s_delay_alu instid0(VALU_DEP_2) | instskip(SKIP_1) | instid1(VALU_DEP_3)
	v_lshlrev_b32_e32 v8, 20, v8
	v_lshl_add_u32 v16, v16, 23, 0x3c000000
	v_and_b32_e32 v17, 0x80000000, v17
	s_delay_alu instid0(VALU_DEP_1)
	v_or3_b32 v17, v8, v17, v16
	v_mov_b32_e32 v16, v9
.LBB283_1919:                           ;   in Loop: Header=BB283_1055 Depth=1
	s_or_b32 exec_lo, exec_lo, s10
.LBB283_1920:                           ;   in Loop: Header=BB283_1055 Depth=1
	s_delay_alu instid0(SALU_CYCLE_1)
	s_or_b32 exec_lo, exec_lo, s13
.LBB283_1921:                           ;   in Loop: Header=BB283_1055 Depth=1
	s_delay_alu instid0(SALU_CYCLE_1) | instskip(SKIP_4) | instid1(VALU_DEP_2)
	s_or_b32 exec_lo, exec_lo, s12
	v_mov_b32_e32 v20, 0
	v_lshrrev_b32_e32 v154, 16, v153
	v_mov_b32_e32 v21, 0
	s_mov_b32 s10, exec_lo
	v_and_b32_e32 v8, 0xff, v154
	s_delay_alu instid0(VALU_DEP_2) | instskip(NEXT) | instid1(VALU_DEP_2)
	v_dual_mov_b32 v18, v20 :: v_dual_mov_b32 v19, v21
	v_cmpx_ne_u16_e32 0, v8
	s_cbranch_execz .LBB283_1929
; %bb.1922:                             ;   in Loop: Header=BB283_1055 Depth=1
	v_bfrev_b32_e32 v18, 1
	v_mov_b32_e32 v19, 0
	s_mov_b32 s12, exec_lo
	v_cmpx_ne_u16_e32 0x80, v8
	s_cbranch_execz .LBB283_1928
; %bb.1923:                             ;   in Loop: Header=BB283_1055 Depth=1
	v_mov_b32_e32 v18, 0x7f800001
	v_bfe_u32 v155, v153, 16, 7
	v_mov_b32_e32 v19, 0
	s_mov_b32 s13, exec_lo
	s_delay_alu instid0(VALU_DEP_2)
	v_cmpx_ne_u32_e32 0x7f, v155
	s_cbranch_execz .LBB283_1927
; %bb.1924:                             ;   in Loop: Header=BB283_1055 Depth=1
	v_and_b32_e32 v8, 7, v154
	v_lshrrev_b32_e32 v18, 3, v155
	s_mov_b32 s15, exec_lo
	v_cmpx_gt_u32_e32 8, v155
; %bb.1925:                             ;   in Loop: Header=BB283_1055 Depth=1
	s_delay_alu instid0(VALU_DEP_3) | instskip(NEXT) | instid1(VALU_DEP_1)
	v_clz_i32_u32_e32 v18, v8
	v_min_u32_e32 v18, 32, v18
	s_delay_alu instid0(VALU_DEP_1) | instskip(SKIP_1) | instid1(VALU_DEP_2)
	v_subrev_nc_u32_e32 v19, 28, v18
	v_sub_nc_u32_e32 v18, 29, v18
	v_lshlrev_b64 v[155:156], v19, v[8:9]
	s_delay_alu instid0(VALU_DEP_1)
	v_and_b32_e32 v8, 7, v155
; %bb.1926:                             ;   in Loop: Header=BB283_1055 Depth=1
	s_or_b32 exec_lo, exec_lo, s15
	v_lshlrev_b32_e32 v19, 24, v154
	s_delay_alu instid0(VALU_DEP_2) | instskip(SKIP_1) | instid1(VALU_DEP_3)
	v_lshlrev_b32_e32 v8, 20, v8
	v_lshl_add_u32 v18, v18, 23, 0x3c000000
	v_and_b32_e32 v19, 0x80000000, v19
	s_delay_alu instid0(VALU_DEP_1) | instskip(NEXT) | instid1(VALU_DEP_1)
	v_or3_b32 v8, v8, v19, v18
	v_dual_mov_b32 v19, v9 :: v_dual_mov_b32 v18, v8
.LBB283_1927:                           ;   in Loop: Header=BB283_1055 Depth=1
	s_or_b32 exec_lo, exec_lo, s13
.LBB283_1928:                           ;   in Loop: Header=BB283_1055 Depth=1
	s_delay_alu instid0(SALU_CYCLE_1)
	s_or_b32 exec_lo, exec_lo, s12
.LBB283_1929:                           ;   in Loop: Header=BB283_1055 Depth=1
	s_delay_alu instid0(SALU_CYCLE_1) | instskip(NEXT) | instid1(SALU_CYCLE_1)
	s_or_b32 exec_lo, exec_lo, s10
	s_mov_b32 s12, exec_lo
	v_cmpx_lt_u32_e32 0xffffff, v153
	s_cbranch_execz .LBB283_1937
; %bb.1930:                             ;   in Loop: Header=BB283_1055 Depth=1
	v_lshrrev_b32_e32 v154, 24, v153
	v_dual_mov_b32 v21, s9 :: v_dual_mov_b32 v20, s8
	s_mov_b32 s13, exec_lo
	s_delay_alu instid0(VALU_DEP_2)
	v_cmpx_ne_u32_e32 0x80, v154
	s_cbranch_execz .LBB283_1936
; %bb.1931:                             ;   in Loop: Header=BB283_1055 Depth=1
	s_mov_b32 s10, s8
	v_bfe_u32 v153, v153, 24, 7
	v_dual_mov_b32 v21, s11 :: v_dual_mov_b32 v20, s10
	s_mov_b32 s10, exec_lo
	s_delay_alu instid0(VALU_DEP_2)
	v_cmpx_ne_u32_e32 0x7f, v153
	s_cbranch_execz .LBB283_1935
; %bb.1932:                             ;   in Loop: Header=BB283_1055 Depth=1
	v_and_b32_e32 v8, 7, v154
	v_lshrrev_b32_e32 v20, 3, v153
	s_mov_b32 s15, exec_lo
	v_cmpx_gt_u32_e32 8, v153
; %bb.1933:                             ;   in Loop: Header=BB283_1055 Depth=1
	s_delay_alu instid0(VALU_DEP_3) | instskip(NEXT) | instid1(VALU_DEP_1)
	v_clz_i32_u32_e32 v20, v8
	v_min_u32_e32 v20, 32, v20
	s_delay_alu instid0(VALU_DEP_1) | instskip(SKIP_1) | instid1(VALU_DEP_2)
	v_subrev_nc_u32_e32 v21, 28, v20
	v_sub_nc_u32_e32 v20, 29, v20
	v_lshlrev_b64 v[155:156], v21, v[8:9]
	s_delay_alu instid0(VALU_DEP_1)
	v_and_b32_e32 v8, 7, v155
; %bb.1934:                             ;   in Loop: Header=BB283_1055 Depth=1
	s_or_b32 exec_lo, exec_lo, s15
	v_lshlrev_b32_e32 v21, 24, v154
	s_delay_alu instid0(VALU_DEP_2) | instskip(SKIP_1) | instid1(VALU_DEP_3)
	v_lshlrev_b32_e32 v8, 20, v8
	v_lshl_add_u32 v20, v20, 23, 0x3c000000
	v_and_b32_e32 v21, 0x80000000, v21
	s_delay_alu instid0(VALU_DEP_1)
	v_or3_b32 v21, v8, v21, v20
	v_mov_b32_e32 v20, v9
.LBB283_1935:                           ;   in Loop: Header=BB283_1055 Depth=1
	s_or_b32 exec_lo, exec_lo, s10
.LBB283_1936:                           ;   in Loop: Header=BB283_1055 Depth=1
	s_delay_alu instid0(SALU_CYCLE_1)
	s_or_b32 exec_lo, exec_lo, s13
.LBB283_1937:                           ;   in Loop: Header=BB283_1055 Depth=1
	s_delay_alu instid0(SALU_CYCLE_1) | instskip(SKIP_4) | instid1(VALU_DEP_3)
	s_or_b32 exec_lo, exec_lo, s12
	v_or_b32_e32 v5, v17, v5
	v_or_b32_e32 v4, v16, v4
	;; [unrolled: 1-line block ×4, first 2 shown]
	v_dual_mul_f32 v156, v96, v5 :: v_dual_mul_f32 v155, v82, v4
	s_delay_alu instid0(VALU_DEP_3) | instskip(NEXT) | instid1(VALU_DEP_3)
	v_mul_f32_e32 v153, v96, v8
	v_mul_f32_e32 v154, v82, v16
	s_and_saveexec_b32 s10, vcc_lo
; %bb.1938:                             ;   in Loop: Header=BB283_1055 Depth=1
	v_cmp_lt_i32_e64 s0, v102, v98
	s_delay_alu instid0(VALU_DEP_1) | instskip(SKIP_1) | instid1(VALU_DEP_1)
	v_cndmask_b32_e64 v155, 0, v155, s0
	v_cmp_lt_i32_e64 s0, v112, v98
	v_cndmask_b32_e64 v156, 0, v156, s0
	v_cmp_lt_i32_e64 s0, v103, v98
	s_delay_alu instid0(VALU_DEP_1) | instskip(SKIP_1) | instid1(VALU_DEP_1)
	v_cndmask_b32_e64 v154, 0, v154, s0
	v_cmp_lt_i32_e64 s0, v86, v98
	v_cndmask_b32_e64 v153, 0, v153, s0
; %bb.1939:                             ;   in Loop: Header=BB283_1055 Depth=1
	s_or_b32 exec_lo, exec_lo, s10
	flat_load_b32 v157, v[14:15] offset:3328
	v_mov_b32_e32 v16, 0
	v_mov_b32_e32 v17, 0
	s_mov_b32 s10, exec_lo
	s_waitcnt vmcnt(0) lgkmcnt(0)
	v_and_b32_e32 v8, 0xff, v157
	s_delay_alu instid0(VALU_DEP_2) | instskip(NEXT) | instid1(VALU_DEP_2)
	v_dual_mov_b32 v4, v16 :: v_dual_mov_b32 v5, v17
	v_cmpx_ne_u16_e32 0, v8
	s_cbranch_execz .LBB283_1947
; %bb.1940:                             ;   in Loop: Header=BB283_1055 Depth=1
	v_bfrev_b32_e32 v4, 1
	v_mov_b32_e32 v5, 0
	s_mov_b32 s12, exec_lo
	v_cmpx_ne_u16_e32 0x80, v8
	s_cbranch_execz .LBB283_1946
; %bb.1941:                             ;   in Loop: Header=BB283_1055 Depth=1
	v_mov_b32_e32 v4, 0x7f800001
	v_dual_mov_b32 v5, 0 :: v_dual_and_b32 v18, 0x7f, v157
	s_mov_b32 s13, exec_lo
	s_delay_alu instid0(VALU_DEP_1)
	v_cmpx_ne_u32_e32 0x7f, v18
	s_cbranch_execz .LBB283_1945
; %bb.1942:                             ;   in Loop: Header=BB283_1055 Depth=1
	v_and_b32_e32 v8, 7, v157
	v_lshrrev_b32_e32 v4, 3, v18
	s_mov_b32 s15, exec_lo
	v_cmpx_gt_u32_e32 8, v18
; %bb.1943:                             ;   in Loop: Header=BB283_1055 Depth=1
	s_delay_alu instid0(VALU_DEP_3) | instskip(NEXT) | instid1(VALU_DEP_1)
	v_clz_i32_u32_e32 v4, v8
	v_min_u32_e32 v4, 32, v4
	s_delay_alu instid0(VALU_DEP_1) | instskip(SKIP_1) | instid1(VALU_DEP_2)
	v_subrev_nc_u32_e32 v5, 28, v4
	v_sub_nc_u32_e32 v4, 29, v4
	v_lshlrev_b64 v[18:19], v5, v[8:9]
	s_delay_alu instid0(VALU_DEP_1)
	v_and_b32_e32 v8, 7, v18
; %bb.1944:                             ;   in Loop: Header=BB283_1055 Depth=1
	s_or_b32 exec_lo, exec_lo, s15
	v_lshlrev_b32_e32 v5, 24, v157
	s_delay_alu instid0(VALU_DEP_2) | instskip(SKIP_1) | instid1(VALU_DEP_3)
	v_lshlrev_b32_e32 v8, 20, v8
	v_lshl_add_u32 v4, v4, 23, 0x3c000000
	v_and_b32_e32 v5, 0x80000000, v5
	s_delay_alu instid0(VALU_DEP_1) | instskip(NEXT) | instid1(VALU_DEP_1)
	v_or3_b32 v8, v8, v5, v4
	v_dual_mov_b32 v4, v8 :: v_dual_mov_b32 v5, v9
.LBB283_1945:                           ;   in Loop: Header=BB283_1055 Depth=1
	s_or_b32 exec_lo, exec_lo, s13
.LBB283_1946:                           ;   in Loop: Header=BB283_1055 Depth=1
	s_delay_alu instid0(SALU_CYCLE_1)
	s_or_b32 exec_lo, exec_lo, s12
.LBB283_1947:                           ;   in Loop: Header=BB283_1055 Depth=1
	s_delay_alu instid0(SALU_CYCLE_1) | instskip(SKIP_2) | instid1(VALU_DEP_1)
	s_or_b32 exec_lo, exec_lo, s10
	v_lshrrev_b16 v8, 8, v157
	s_mov_b32 s12, exec_lo
	v_cmpx_ne_u16_e32 0, v8
	s_cbranch_execz .LBB283_1955
; %bb.1948:                             ;   in Loop: Header=BB283_1055 Depth=1
	v_dual_mov_b32 v17, s9 :: v_dual_mov_b32 v16, s8
	s_mov_b32 s13, exec_lo
	v_cmpx_ne_u16_e32 0x80, v8
	s_cbranch_execz .LBB283_1954
; %bb.1949:                             ;   in Loop: Header=BB283_1055 Depth=1
	s_mov_b32 s10, s8
	v_dual_mov_b32 v17, s11 :: v_dual_and_b32 v8, 0xffff, v8
	v_mov_b32_e32 v16, s10
	s_mov_b32 s10, exec_lo
	s_delay_alu instid0(VALU_DEP_2) | instskip(NEXT) | instid1(VALU_DEP_1)
	v_and_b32_e32 v18, 0x7f, v8
	v_cmpx_ne_u32_e32 0x7f, v18
	s_cbranch_execz .LBB283_1953
; %bb.1950:                             ;   in Loop: Header=BB283_1055 Depth=1
	v_and_b32_e32 v8, 7, v8
	v_lshrrev_b32_e32 v16, 3, v18
	s_mov_b32 s15, exec_lo
	v_cmpx_gt_u32_e32 8, v18
; %bb.1951:                             ;   in Loop: Header=BB283_1055 Depth=1
	s_delay_alu instid0(VALU_DEP_3) | instskip(NEXT) | instid1(VALU_DEP_1)
	v_clz_i32_u32_e32 v16, v8
	v_min_u32_e32 v16, 32, v16
	s_delay_alu instid0(VALU_DEP_1) | instskip(SKIP_1) | instid1(VALU_DEP_2)
	v_subrev_nc_u32_e32 v17, 28, v16
	v_sub_nc_u32_e32 v16, 29, v16
	v_lshlrev_b64 v[17:18], v17, v[8:9]
	s_delay_alu instid0(VALU_DEP_1)
	v_and_b32_e32 v8, 7, v17
; %bb.1952:                             ;   in Loop: Header=BB283_1055 Depth=1
	s_or_b32 exec_lo, exec_lo, s15
	v_lshlrev_b32_e32 v17, 16, v157
	s_delay_alu instid0(VALU_DEP_2) | instskip(SKIP_1) | instid1(VALU_DEP_3)
	v_lshlrev_b32_e32 v8, 20, v8
	v_lshl_add_u32 v16, v16, 23, 0x3c000000
	v_and_b32_e32 v17, 0x80000000, v17
	s_delay_alu instid0(VALU_DEP_1)
	v_or3_b32 v17, v8, v17, v16
	v_mov_b32_e32 v16, v9
.LBB283_1953:                           ;   in Loop: Header=BB283_1055 Depth=1
	s_or_b32 exec_lo, exec_lo, s10
.LBB283_1954:                           ;   in Loop: Header=BB283_1055 Depth=1
	s_delay_alu instid0(SALU_CYCLE_1)
	s_or_b32 exec_lo, exec_lo, s13
.LBB283_1955:                           ;   in Loop: Header=BB283_1055 Depth=1
	s_delay_alu instid0(SALU_CYCLE_1) | instskip(SKIP_4) | instid1(VALU_DEP_2)
	s_or_b32 exec_lo, exec_lo, s12
	v_mov_b32_e32 v20, 0
	v_lshrrev_b32_e32 v158, 16, v157
	v_mov_b32_e32 v21, 0
	s_mov_b32 s10, exec_lo
	v_and_b32_e32 v8, 0xff, v158
	s_delay_alu instid0(VALU_DEP_2) | instskip(NEXT) | instid1(VALU_DEP_2)
	v_dual_mov_b32 v18, v20 :: v_dual_mov_b32 v19, v21
	v_cmpx_ne_u16_e32 0, v8
	s_cbranch_execz .LBB283_1963
; %bb.1956:                             ;   in Loop: Header=BB283_1055 Depth=1
	v_bfrev_b32_e32 v18, 1
	v_mov_b32_e32 v19, 0
	s_mov_b32 s12, exec_lo
	v_cmpx_ne_u16_e32 0x80, v8
	s_cbranch_execz .LBB283_1962
; %bb.1957:                             ;   in Loop: Header=BB283_1055 Depth=1
	v_mov_b32_e32 v18, 0x7f800001
	v_bfe_u32 v159, v157, 16, 7
	v_mov_b32_e32 v19, 0
	s_mov_b32 s13, exec_lo
	s_delay_alu instid0(VALU_DEP_2)
	v_cmpx_ne_u32_e32 0x7f, v159
	s_cbranch_execz .LBB283_1961
; %bb.1958:                             ;   in Loop: Header=BB283_1055 Depth=1
	v_and_b32_e32 v8, 7, v158
	v_lshrrev_b32_e32 v18, 3, v159
	s_mov_b32 s15, exec_lo
	v_cmpx_gt_u32_e32 8, v159
; %bb.1959:                             ;   in Loop: Header=BB283_1055 Depth=1
	s_delay_alu instid0(VALU_DEP_3) | instskip(NEXT) | instid1(VALU_DEP_1)
	v_clz_i32_u32_e32 v18, v8
	v_min_u32_e32 v18, 32, v18
	s_delay_alu instid0(VALU_DEP_1) | instskip(SKIP_1) | instid1(VALU_DEP_2)
	v_subrev_nc_u32_e32 v19, 28, v18
	v_sub_nc_u32_e32 v18, 29, v18
	v_lshlrev_b64 v[168:169], v19, v[8:9]
	s_delay_alu instid0(VALU_DEP_1)
	v_and_b32_e32 v8, 7, v168
; %bb.1960:                             ;   in Loop: Header=BB283_1055 Depth=1
	s_or_b32 exec_lo, exec_lo, s15
	v_lshlrev_b32_e32 v19, 24, v158
	s_delay_alu instid0(VALU_DEP_2) | instskip(SKIP_1) | instid1(VALU_DEP_3)
	v_lshlrev_b32_e32 v8, 20, v8
	v_lshl_add_u32 v18, v18, 23, 0x3c000000
	v_and_b32_e32 v19, 0x80000000, v19
	s_delay_alu instid0(VALU_DEP_1) | instskip(NEXT) | instid1(VALU_DEP_1)
	v_or3_b32 v8, v8, v19, v18
	v_dual_mov_b32 v19, v9 :: v_dual_mov_b32 v18, v8
.LBB283_1961:                           ;   in Loop: Header=BB283_1055 Depth=1
	s_or_b32 exec_lo, exec_lo, s13
.LBB283_1962:                           ;   in Loop: Header=BB283_1055 Depth=1
	s_delay_alu instid0(SALU_CYCLE_1)
	s_or_b32 exec_lo, exec_lo, s12
.LBB283_1963:                           ;   in Loop: Header=BB283_1055 Depth=1
	s_delay_alu instid0(SALU_CYCLE_1) | instskip(NEXT) | instid1(SALU_CYCLE_1)
	s_or_b32 exec_lo, exec_lo, s10
	s_mov_b32 s12, exec_lo
	v_cmpx_lt_u32_e32 0xffffff, v157
	s_cbranch_execz .LBB283_1971
; %bb.1964:                             ;   in Loop: Header=BB283_1055 Depth=1
	v_lshrrev_b32_e32 v158, 24, v157
	v_dual_mov_b32 v21, s9 :: v_dual_mov_b32 v20, s8
	s_mov_b32 s13, exec_lo
	s_delay_alu instid0(VALU_DEP_2)
	v_cmpx_ne_u32_e32 0x80, v158
	s_cbranch_execz .LBB283_1970
; %bb.1965:                             ;   in Loop: Header=BB283_1055 Depth=1
	s_mov_b32 s10, s8
	v_bfe_u32 v157, v157, 24, 7
	v_dual_mov_b32 v21, s11 :: v_dual_mov_b32 v20, s10
	s_mov_b32 s10, exec_lo
	s_delay_alu instid0(VALU_DEP_2)
	v_cmpx_ne_u32_e32 0x7f, v157
	s_cbranch_execz .LBB283_1969
; %bb.1966:                             ;   in Loop: Header=BB283_1055 Depth=1
	v_and_b32_e32 v8, 7, v158
	v_lshrrev_b32_e32 v20, 3, v157
	s_mov_b32 s15, exec_lo
	v_cmpx_gt_u32_e32 8, v157
; %bb.1967:                             ;   in Loop: Header=BB283_1055 Depth=1
	s_delay_alu instid0(VALU_DEP_3) | instskip(NEXT) | instid1(VALU_DEP_1)
	v_clz_i32_u32_e32 v20, v8
	v_min_u32_e32 v20, 32, v20
	s_delay_alu instid0(VALU_DEP_1) | instskip(SKIP_1) | instid1(VALU_DEP_2)
	v_subrev_nc_u32_e32 v21, 28, v20
	v_sub_nc_u32_e32 v20, 29, v20
	v_lshlrev_b64 v[168:169], v21, v[8:9]
	s_delay_alu instid0(VALU_DEP_1)
	v_and_b32_e32 v8, 7, v168
; %bb.1968:                             ;   in Loop: Header=BB283_1055 Depth=1
	s_or_b32 exec_lo, exec_lo, s15
	v_lshlrev_b32_e32 v21, 24, v158
	s_delay_alu instid0(VALU_DEP_2) | instskip(SKIP_1) | instid1(VALU_DEP_3)
	v_lshlrev_b32_e32 v8, 20, v8
	v_lshl_add_u32 v20, v20, 23, 0x3c000000
	v_and_b32_e32 v21, 0x80000000, v21
	s_delay_alu instid0(VALU_DEP_1)
	v_or3_b32 v21, v8, v21, v20
	v_mov_b32_e32 v20, v9
.LBB283_1969:                           ;   in Loop: Header=BB283_1055 Depth=1
	s_or_b32 exec_lo, exec_lo, s10
.LBB283_1970:                           ;   in Loop: Header=BB283_1055 Depth=1
	s_delay_alu instid0(SALU_CYCLE_1)
	s_or_b32 exec_lo, exec_lo, s13
.LBB283_1971:                           ;   in Loop: Header=BB283_1055 Depth=1
	s_delay_alu instid0(SALU_CYCLE_1) | instskip(SKIP_4) | instid1(VALU_DEP_3)
	s_or_b32 exec_lo, exec_lo, s12
	v_or_b32_e32 v5, v17, v5
	v_or_b32_e32 v4, v16, v4
	;; [unrolled: 1-line block ×4, first 2 shown]
	v_dual_mul_f32 v168, v96, v5 :: v_dual_mul_f32 v159, v82, v4
	s_delay_alu instid0(VALU_DEP_3) | instskip(NEXT) | instid1(VALU_DEP_3)
	v_mul_f32_e32 v157, v96, v8
	v_mul_f32_e32 v158, v82, v16
	s_and_saveexec_b32 s10, vcc_lo
; %bb.1972:                             ;   in Loop: Header=BB283_1055 Depth=1
	v_cmp_lt_i32_e64 s0, v102, v98
	s_delay_alu instid0(VALU_DEP_1) | instskip(SKIP_1) | instid1(VALU_DEP_1)
	v_cndmask_b32_e64 v159, 0, v159, s0
	v_cmp_lt_i32_e64 s0, v112, v98
	v_cndmask_b32_e64 v168, 0, v168, s0
	v_cmp_lt_i32_e64 s0, v103, v98
	s_delay_alu instid0(VALU_DEP_1) | instskip(SKIP_1) | instid1(VALU_DEP_1)
	v_cndmask_b32_e64 v158, 0, v158, s0
	v_cmp_lt_i32_e64 s0, v86, v98
	v_cndmask_b32_e64 v157, 0, v157, s0
; %bb.1973:                             ;   in Loop: Header=BB283_1055 Depth=1
	s_or_b32 exec_lo, exec_lo, s10
	flat_load_b32 v169, v[14:15] offset:3456
	v_mov_b32_e32 v16, 0
	v_mov_b32_e32 v17, 0
	s_mov_b32 s10, exec_lo
	s_waitcnt vmcnt(0) lgkmcnt(0)
	v_and_b32_e32 v8, 0xff, v169
	s_delay_alu instid0(VALU_DEP_2) | instskip(NEXT) | instid1(VALU_DEP_2)
	v_dual_mov_b32 v4, v16 :: v_dual_mov_b32 v5, v17
	v_cmpx_ne_u16_e32 0, v8
	s_cbranch_execz .LBB283_1981
; %bb.1974:                             ;   in Loop: Header=BB283_1055 Depth=1
	v_bfrev_b32_e32 v4, 1
	v_mov_b32_e32 v5, 0
	s_mov_b32 s12, exec_lo
	v_cmpx_ne_u16_e32 0x80, v8
	s_cbranch_execz .LBB283_1980
; %bb.1975:                             ;   in Loop: Header=BB283_1055 Depth=1
	v_mov_b32_e32 v4, 0x7f800001
	v_dual_mov_b32 v5, 0 :: v_dual_and_b32 v18, 0x7f, v169
	s_mov_b32 s13, exec_lo
	s_delay_alu instid0(VALU_DEP_1)
	v_cmpx_ne_u32_e32 0x7f, v18
	s_cbranch_execz .LBB283_1979
; %bb.1976:                             ;   in Loop: Header=BB283_1055 Depth=1
	v_and_b32_e32 v8, 7, v169
	v_lshrrev_b32_e32 v4, 3, v18
	s_mov_b32 s15, exec_lo
	v_cmpx_gt_u32_e32 8, v18
; %bb.1977:                             ;   in Loop: Header=BB283_1055 Depth=1
	s_delay_alu instid0(VALU_DEP_3) | instskip(NEXT) | instid1(VALU_DEP_1)
	v_clz_i32_u32_e32 v4, v8
	v_min_u32_e32 v4, 32, v4
	s_delay_alu instid0(VALU_DEP_1) | instskip(SKIP_1) | instid1(VALU_DEP_2)
	v_subrev_nc_u32_e32 v5, 28, v4
	v_sub_nc_u32_e32 v4, 29, v4
	v_lshlrev_b64 v[18:19], v5, v[8:9]
	s_delay_alu instid0(VALU_DEP_1)
	v_and_b32_e32 v8, 7, v18
; %bb.1978:                             ;   in Loop: Header=BB283_1055 Depth=1
	s_or_b32 exec_lo, exec_lo, s15
	v_lshlrev_b32_e32 v5, 24, v169
	s_delay_alu instid0(VALU_DEP_2) | instskip(SKIP_1) | instid1(VALU_DEP_3)
	v_lshlrev_b32_e32 v8, 20, v8
	v_lshl_add_u32 v4, v4, 23, 0x3c000000
	v_and_b32_e32 v5, 0x80000000, v5
	s_delay_alu instid0(VALU_DEP_1) | instskip(NEXT) | instid1(VALU_DEP_1)
	v_or3_b32 v8, v8, v5, v4
	v_dual_mov_b32 v4, v8 :: v_dual_mov_b32 v5, v9
.LBB283_1979:                           ;   in Loop: Header=BB283_1055 Depth=1
	s_or_b32 exec_lo, exec_lo, s13
.LBB283_1980:                           ;   in Loop: Header=BB283_1055 Depth=1
	s_delay_alu instid0(SALU_CYCLE_1)
	s_or_b32 exec_lo, exec_lo, s12
.LBB283_1981:                           ;   in Loop: Header=BB283_1055 Depth=1
	s_delay_alu instid0(SALU_CYCLE_1) | instskip(SKIP_2) | instid1(VALU_DEP_1)
	s_or_b32 exec_lo, exec_lo, s10
	v_lshrrev_b16 v8, 8, v169
	s_mov_b32 s12, exec_lo
	v_cmpx_ne_u16_e32 0, v8
	s_cbranch_execz .LBB283_1989
; %bb.1982:                             ;   in Loop: Header=BB283_1055 Depth=1
	v_dual_mov_b32 v17, s9 :: v_dual_mov_b32 v16, s8
	s_mov_b32 s13, exec_lo
	v_cmpx_ne_u16_e32 0x80, v8
	s_cbranch_execz .LBB283_1988
; %bb.1983:                             ;   in Loop: Header=BB283_1055 Depth=1
	s_mov_b32 s10, s8
	v_dual_mov_b32 v17, s11 :: v_dual_and_b32 v8, 0xffff, v8
	v_mov_b32_e32 v16, s10
	s_mov_b32 s10, exec_lo
	s_delay_alu instid0(VALU_DEP_2) | instskip(NEXT) | instid1(VALU_DEP_1)
	v_and_b32_e32 v18, 0x7f, v8
	v_cmpx_ne_u32_e32 0x7f, v18
	s_cbranch_execz .LBB283_1987
; %bb.1984:                             ;   in Loop: Header=BB283_1055 Depth=1
	v_and_b32_e32 v8, 7, v8
	v_lshrrev_b32_e32 v16, 3, v18
	s_mov_b32 s15, exec_lo
	v_cmpx_gt_u32_e32 8, v18
; %bb.1985:                             ;   in Loop: Header=BB283_1055 Depth=1
	s_delay_alu instid0(VALU_DEP_3) | instskip(NEXT) | instid1(VALU_DEP_1)
	v_clz_i32_u32_e32 v16, v8
	v_min_u32_e32 v16, 32, v16
	s_delay_alu instid0(VALU_DEP_1) | instskip(SKIP_1) | instid1(VALU_DEP_2)
	v_subrev_nc_u32_e32 v17, 28, v16
	v_sub_nc_u32_e32 v16, 29, v16
	v_lshlrev_b64 v[17:18], v17, v[8:9]
	s_delay_alu instid0(VALU_DEP_1)
	v_and_b32_e32 v8, 7, v17
; %bb.1986:                             ;   in Loop: Header=BB283_1055 Depth=1
	s_or_b32 exec_lo, exec_lo, s15
	v_lshlrev_b32_e32 v17, 16, v169
	s_delay_alu instid0(VALU_DEP_2) | instskip(SKIP_1) | instid1(VALU_DEP_3)
	v_lshlrev_b32_e32 v8, 20, v8
	v_lshl_add_u32 v16, v16, 23, 0x3c000000
	v_and_b32_e32 v17, 0x80000000, v17
	s_delay_alu instid0(VALU_DEP_1)
	v_or3_b32 v17, v8, v17, v16
	v_mov_b32_e32 v16, v9
.LBB283_1987:                           ;   in Loop: Header=BB283_1055 Depth=1
	s_or_b32 exec_lo, exec_lo, s10
.LBB283_1988:                           ;   in Loop: Header=BB283_1055 Depth=1
	s_delay_alu instid0(SALU_CYCLE_1)
	s_or_b32 exec_lo, exec_lo, s13
.LBB283_1989:                           ;   in Loop: Header=BB283_1055 Depth=1
	s_delay_alu instid0(SALU_CYCLE_1) | instskip(SKIP_4) | instid1(VALU_DEP_2)
	s_or_b32 exec_lo, exec_lo, s12
	v_mov_b32_e32 v20, 0
	v_lshrrev_b32_e32 v170, 16, v169
	v_mov_b32_e32 v21, 0
	s_mov_b32 s10, exec_lo
	v_and_b32_e32 v8, 0xff, v170
	s_delay_alu instid0(VALU_DEP_2) | instskip(NEXT) | instid1(VALU_DEP_2)
	v_dual_mov_b32 v18, v20 :: v_dual_mov_b32 v19, v21
	v_cmpx_ne_u16_e32 0, v8
	s_cbranch_execz .LBB283_1997
; %bb.1990:                             ;   in Loop: Header=BB283_1055 Depth=1
	v_bfrev_b32_e32 v18, 1
	v_mov_b32_e32 v19, 0
	s_mov_b32 s12, exec_lo
	v_cmpx_ne_u16_e32 0x80, v8
	s_cbranch_execz .LBB283_1996
; %bb.1991:                             ;   in Loop: Header=BB283_1055 Depth=1
	v_mov_b32_e32 v18, 0x7f800001
	v_bfe_u32 v171, v169, 16, 7
	v_mov_b32_e32 v19, 0
	s_mov_b32 s13, exec_lo
	s_delay_alu instid0(VALU_DEP_2)
	v_cmpx_ne_u32_e32 0x7f, v171
	s_cbranch_execz .LBB283_1995
; %bb.1992:                             ;   in Loop: Header=BB283_1055 Depth=1
	v_and_b32_e32 v8, 7, v170
	v_lshrrev_b32_e32 v18, 3, v171
	s_mov_b32 s15, exec_lo
	v_cmpx_gt_u32_e32 8, v171
; %bb.1993:                             ;   in Loop: Header=BB283_1055 Depth=1
	s_delay_alu instid0(VALU_DEP_3) | instskip(NEXT) | instid1(VALU_DEP_1)
	v_clz_i32_u32_e32 v18, v8
	v_min_u32_e32 v18, 32, v18
	s_delay_alu instid0(VALU_DEP_1) | instskip(SKIP_1) | instid1(VALU_DEP_2)
	v_subrev_nc_u32_e32 v19, 28, v18
	v_sub_nc_u32_e32 v18, 29, v18
	v_lshlrev_b64 v[171:172], v19, v[8:9]
	s_delay_alu instid0(VALU_DEP_1)
	v_and_b32_e32 v8, 7, v171
; %bb.1994:                             ;   in Loop: Header=BB283_1055 Depth=1
	s_or_b32 exec_lo, exec_lo, s15
	v_lshlrev_b32_e32 v19, 24, v170
	s_delay_alu instid0(VALU_DEP_2) | instskip(SKIP_1) | instid1(VALU_DEP_3)
	v_lshlrev_b32_e32 v8, 20, v8
	v_lshl_add_u32 v18, v18, 23, 0x3c000000
	v_and_b32_e32 v19, 0x80000000, v19
	s_delay_alu instid0(VALU_DEP_1) | instskip(NEXT) | instid1(VALU_DEP_1)
	v_or3_b32 v8, v8, v19, v18
	v_dual_mov_b32 v19, v9 :: v_dual_mov_b32 v18, v8
.LBB283_1995:                           ;   in Loop: Header=BB283_1055 Depth=1
	s_or_b32 exec_lo, exec_lo, s13
.LBB283_1996:                           ;   in Loop: Header=BB283_1055 Depth=1
	s_delay_alu instid0(SALU_CYCLE_1)
	s_or_b32 exec_lo, exec_lo, s12
.LBB283_1997:                           ;   in Loop: Header=BB283_1055 Depth=1
	s_delay_alu instid0(SALU_CYCLE_1) | instskip(NEXT) | instid1(SALU_CYCLE_1)
	s_or_b32 exec_lo, exec_lo, s10
	s_mov_b32 s12, exec_lo
	v_cmpx_lt_u32_e32 0xffffff, v169
	s_cbranch_execz .LBB283_2005
; %bb.1998:                             ;   in Loop: Header=BB283_1055 Depth=1
	v_lshrrev_b32_e32 v170, 24, v169
	v_dual_mov_b32 v21, s9 :: v_dual_mov_b32 v20, s8
	s_mov_b32 s13, exec_lo
	s_delay_alu instid0(VALU_DEP_2)
	v_cmpx_ne_u32_e32 0x80, v170
	s_cbranch_execz .LBB283_2004
; %bb.1999:                             ;   in Loop: Header=BB283_1055 Depth=1
	s_mov_b32 s10, s8
	v_bfe_u32 v169, v169, 24, 7
	v_dual_mov_b32 v21, s11 :: v_dual_mov_b32 v20, s10
	s_mov_b32 s10, exec_lo
	s_delay_alu instid0(VALU_DEP_2)
	v_cmpx_ne_u32_e32 0x7f, v169
	s_cbranch_execz .LBB283_2003
; %bb.2000:                             ;   in Loop: Header=BB283_1055 Depth=1
	v_and_b32_e32 v8, 7, v170
	v_lshrrev_b32_e32 v20, 3, v169
	s_mov_b32 s15, exec_lo
	v_cmpx_gt_u32_e32 8, v169
; %bb.2001:                             ;   in Loop: Header=BB283_1055 Depth=1
	s_delay_alu instid0(VALU_DEP_3) | instskip(NEXT) | instid1(VALU_DEP_1)
	v_clz_i32_u32_e32 v20, v8
	v_min_u32_e32 v20, 32, v20
	s_delay_alu instid0(VALU_DEP_1) | instskip(SKIP_1) | instid1(VALU_DEP_2)
	v_subrev_nc_u32_e32 v21, 28, v20
	v_sub_nc_u32_e32 v20, 29, v20
	v_lshlrev_b64 v[171:172], v21, v[8:9]
	s_delay_alu instid0(VALU_DEP_1)
	v_and_b32_e32 v8, 7, v171
; %bb.2002:                             ;   in Loop: Header=BB283_1055 Depth=1
	s_or_b32 exec_lo, exec_lo, s15
	v_lshlrev_b32_e32 v21, 24, v170
	s_delay_alu instid0(VALU_DEP_2) | instskip(SKIP_1) | instid1(VALU_DEP_3)
	v_lshlrev_b32_e32 v8, 20, v8
	v_lshl_add_u32 v20, v20, 23, 0x3c000000
	v_and_b32_e32 v21, 0x80000000, v21
	s_delay_alu instid0(VALU_DEP_1)
	v_or3_b32 v21, v8, v21, v20
	v_mov_b32_e32 v20, v9
.LBB283_2003:                           ;   in Loop: Header=BB283_1055 Depth=1
	s_or_b32 exec_lo, exec_lo, s10
.LBB283_2004:                           ;   in Loop: Header=BB283_1055 Depth=1
	s_delay_alu instid0(SALU_CYCLE_1)
	s_or_b32 exec_lo, exec_lo, s13
.LBB283_2005:                           ;   in Loop: Header=BB283_1055 Depth=1
	s_delay_alu instid0(SALU_CYCLE_1) | instskip(SKIP_4) | instid1(VALU_DEP_3)
	s_or_b32 exec_lo, exec_lo, s12
	v_or_b32_e32 v5, v17, v5
	v_or_b32_e32 v4, v16, v4
	;; [unrolled: 1-line block ×4, first 2 shown]
	v_dual_mul_f32 v172, v96, v5 :: v_dual_mul_f32 v171, v82, v4
	s_delay_alu instid0(VALU_DEP_3) | instskip(NEXT) | instid1(VALU_DEP_3)
	v_mul_f32_e32 v169, v96, v8
	v_mul_f32_e32 v170, v82, v16
	s_and_saveexec_b32 s10, vcc_lo
; %bb.2006:                             ;   in Loop: Header=BB283_1055 Depth=1
	v_cmp_lt_i32_e64 s0, v102, v98
	s_delay_alu instid0(VALU_DEP_1) | instskip(SKIP_1) | instid1(VALU_DEP_1)
	v_cndmask_b32_e64 v171, 0, v171, s0
	v_cmp_lt_i32_e64 s0, v112, v98
	v_cndmask_b32_e64 v172, 0, v172, s0
	v_cmp_lt_i32_e64 s0, v103, v98
	s_delay_alu instid0(VALU_DEP_1) | instskip(SKIP_1) | instid1(VALU_DEP_1)
	v_cndmask_b32_e64 v170, 0, v170, s0
	v_cmp_lt_i32_e64 s0, v86, v98
	v_cndmask_b32_e64 v169, 0, v169, s0
; %bb.2007:                             ;   in Loop: Header=BB283_1055 Depth=1
	s_or_b32 exec_lo, exec_lo, s10
	flat_load_b32 v173, v[14:15] offset:3584
	v_mov_b32_e32 v16, 0
	v_mov_b32_e32 v17, 0
	s_mov_b32 s10, exec_lo
	s_waitcnt vmcnt(0) lgkmcnt(0)
	v_and_b32_e32 v8, 0xff, v173
	s_delay_alu instid0(VALU_DEP_2) | instskip(NEXT) | instid1(VALU_DEP_2)
	v_dual_mov_b32 v4, v16 :: v_dual_mov_b32 v5, v17
	v_cmpx_ne_u16_e32 0, v8
	s_cbranch_execz .LBB283_2015
; %bb.2008:                             ;   in Loop: Header=BB283_1055 Depth=1
	v_bfrev_b32_e32 v4, 1
	v_mov_b32_e32 v5, 0
	s_mov_b32 s12, exec_lo
	v_cmpx_ne_u16_e32 0x80, v8
	s_cbranch_execz .LBB283_2014
; %bb.2009:                             ;   in Loop: Header=BB283_1055 Depth=1
	v_mov_b32_e32 v4, 0x7f800001
	v_dual_mov_b32 v5, 0 :: v_dual_and_b32 v18, 0x7f, v173
	s_mov_b32 s13, exec_lo
	s_delay_alu instid0(VALU_DEP_1)
	v_cmpx_ne_u32_e32 0x7f, v18
	s_cbranch_execz .LBB283_2013
; %bb.2010:                             ;   in Loop: Header=BB283_1055 Depth=1
	v_and_b32_e32 v8, 7, v173
	v_lshrrev_b32_e32 v4, 3, v18
	s_mov_b32 s15, exec_lo
	v_cmpx_gt_u32_e32 8, v18
; %bb.2011:                             ;   in Loop: Header=BB283_1055 Depth=1
	s_delay_alu instid0(VALU_DEP_3) | instskip(NEXT) | instid1(VALU_DEP_1)
	v_clz_i32_u32_e32 v4, v8
	v_min_u32_e32 v4, 32, v4
	s_delay_alu instid0(VALU_DEP_1) | instskip(SKIP_1) | instid1(VALU_DEP_2)
	v_subrev_nc_u32_e32 v5, 28, v4
	v_sub_nc_u32_e32 v4, 29, v4
	v_lshlrev_b64 v[18:19], v5, v[8:9]
	s_delay_alu instid0(VALU_DEP_1)
	v_and_b32_e32 v8, 7, v18
; %bb.2012:                             ;   in Loop: Header=BB283_1055 Depth=1
	s_or_b32 exec_lo, exec_lo, s15
	v_lshlrev_b32_e32 v5, 24, v173
	s_delay_alu instid0(VALU_DEP_2) | instskip(SKIP_1) | instid1(VALU_DEP_3)
	v_lshlrev_b32_e32 v8, 20, v8
	v_lshl_add_u32 v4, v4, 23, 0x3c000000
	v_and_b32_e32 v5, 0x80000000, v5
	s_delay_alu instid0(VALU_DEP_1) | instskip(NEXT) | instid1(VALU_DEP_1)
	v_or3_b32 v8, v8, v5, v4
	v_dual_mov_b32 v4, v8 :: v_dual_mov_b32 v5, v9
.LBB283_2013:                           ;   in Loop: Header=BB283_1055 Depth=1
	s_or_b32 exec_lo, exec_lo, s13
.LBB283_2014:                           ;   in Loop: Header=BB283_1055 Depth=1
	s_delay_alu instid0(SALU_CYCLE_1)
	s_or_b32 exec_lo, exec_lo, s12
.LBB283_2015:                           ;   in Loop: Header=BB283_1055 Depth=1
	s_delay_alu instid0(SALU_CYCLE_1) | instskip(SKIP_2) | instid1(VALU_DEP_1)
	s_or_b32 exec_lo, exec_lo, s10
	v_lshrrev_b16 v8, 8, v173
	s_mov_b32 s12, exec_lo
	v_cmpx_ne_u16_e32 0, v8
	s_cbranch_execz .LBB283_2023
; %bb.2016:                             ;   in Loop: Header=BB283_1055 Depth=1
	v_dual_mov_b32 v17, s9 :: v_dual_mov_b32 v16, s8
	s_mov_b32 s13, exec_lo
	v_cmpx_ne_u16_e32 0x80, v8
	s_cbranch_execz .LBB283_2022
; %bb.2017:                             ;   in Loop: Header=BB283_1055 Depth=1
	s_mov_b32 s10, s8
	v_dual_mov_b32 v17, s11 :: v_dual_and_b32 v8, 0xffff, v8
	v_mov_b32_e32 v16, s10
	s_mov_b32 s10, exec_lo
	s_delay_alu instid0(VALU_DEP_2) | instskip(NEXT) | instid1(VALU_DEP_1)
	v_and_b32_e32 v18, 0x7f, v8
	v_cmpx_ne_u32_e32 0x7f, v18
	s_cbranch_execz .LBB283_2021
; %bb.2018:                             ;   in Loop: Header=BB283_1055 Depth=1
	v_and_b32_e32 v8, 7, v8
	v_lshrrev_b32_e32 v16, 3, v18
	s_mov_b32 s15, exec_lo
	v_cmpx_gt_u32_e32 8, v18
; %bb.2019:                             ;   in Loop: Header=BB283_1055 Depth=1
	s_delay_alu instid0(VALU_DEP_3) | instskip(NEXT) | instid1(VALU_DEP_1)
	v_clz_i32_u32_e32 v16, v8
	v_min_u32_e32 v16, 32, v16
	s_delay_alu instid0(VALU_DEP_1) | instskip(SKIP_1) | instid1(VALU_DEP_2)
	v_subrev_nc_u32_e32 v17, 28, v16
	v_sub_nc_u32_e32 v16, 29, v16
	v_lshlrev_b64 v[17:18], v17, v[8:9]
	s_delay_alu instid0(VALU_DEP_1)
	v_and_b32_e32 v8, 7, v17
; %bb.2020:                             ;   in Loop: Header=BB283_1055 Depth=1
	s_or_b32 exec_lo, exec_lo, s15
	v_lshlrev_b32_e32 v17, 16, v173
	s_delay_alu instid0(VALU_DEP_2) | instskip(SKIP_1) | instid1(VALU_DEP_3)
	v_lshlrev_b32_e32 v8, 20, v8
	v_lshl_add_u32 v16, v16, 23, 0x3c000000
	v_and_b32_e32 v17, 0x80000000, v17
	s_delay_alu instid0(VALU_DEP_1)
	v_or3_b32 v17, v8, v17, v16
	v_mov_b32_e32 v16, v9
.LBB283_2021:                           ;   in Loop: Header=BB283_1055 Depth=1
	s_or_b32 exec_lo, exec_lo, s10
.LBB283_2022:                           ;   in Loop: Header=BB283_1055 Depth=1
	s_delay_alu instid0(SALU_CYCLE_1)
	s_or_b32 exec_lo, exec_lo, s13
.LBB283_2023:                           ;   in Loop: Header=BB283_1055 Depth=1
	s_delay_alu instid0(SALU_CYCLE_1) | instskip(SKIP_4) | instid1(VALU_DEP_2)
	s_or_b32 exec_lo, exec_lo, s12
	v_mov_b32_e32 v20, 0
	v_lshrrev_b32_e32 v174, 16, v173
	v_mov_b32_e32 v21, 0
	s_mov_b32 s10, exec_lo
	v_and_b32_e32 v8, 0xff, v174
	s_delay_alu instid0(VALU_DEP_2) | instskip(NEXT) | instid1(VALU_DEP_2)
	v_dual_mov_b32 v18, v20 :: v_dual_mov_b32 v19, v21
	v_cmpx_ne_u16_e32 0, v8
	s_cbranch_execz .LBB283_2031
; %bb.2024:                             ;   in Loop: Header=BB283_1055 Depth=1
	v_bfrev_b32_e32 v18, 1
	v_mov_b32_e32 v19, 0
	s_mov_b32 s12, exec_lo
	v_cmpx_ne_u16_e32 0x80, v8
	s_cbranch_execz .LBB283_2030
; %bb.2025:                             ;   in Loop: Header=BB283_1055 Depth=1
	v_mov_b32_e32 v18, 0x7f800001
	v_bfe_u32 v175, v173, 16, 7
	v_mov_b32_e32 v19, 0
	s_mov_b32 s13, exec_lo
	s_delay_alu instid0(VALU_DEP_2)
	v_cmpx_ne_u32_e32 0x7f, v175
	s_cbranch_execz .LBB283_2029
; %bb.2026:                             ;   in Loop: Header=BB283_1055 Depth=1
	v_and_b32_e32 v8, 7, v174
	v_lshrrev_b32_e32 v18, 3, v175
	s_mov_b32 s15, exec_lo
	v_cmpx_gt_u32_e32 8, v175
; %bb.2027:                             ;   in Loop: Header=BB283_1055 Depth=1
	s_delay_alu instid0(VALU_DEP_3) | instskip(NEXT) | instid1(VALU_DEP_1)
	v_clz_i32_u32_e32 v18, v8
	v_min_u32_e32 v18, 32, v18
	s_delay_alu instid0(VALU_DEP_1) | instskip(SKIP_1) | instid1(VALU_DEP_2)
	v_subrev_nc_u32_e32 v19, 28, v18
	v_sub_nc_u32_e32 v18, 29, v18
	v_lshlrev_b64 v[184:185], v19, v[8:9]
	s_delay_alu instid0(VALU_DEP_1)
	v_and_b32_e32 v8, 7, v184
; %bb.2028:                             ;   in Loop: Header=BB283_1055 Depth=1
	s_or_b32 exec_lo, exec_lo, s15
	v_lshlrev_b32_e32 v19, 24, v174
	s_delay_alu instid0(VALU_DEP_2) | instskip(SKIP_1) | instid1(VALU_DEP_3)
	v_lshlrev_b32_e32 v8, 20, v8
	v_lshl_add_u32 v18, v18, 23, 0x3c000000
	v_and_b32_e32 v19, 0x80000000, v19
	s_delay_alu instid0(VALU_DEP_1) | instskip(NEXT) | instid1(VALU_DEP_1)
	v_or3_b32 v8, v8, v19, v18
	v_dual_mov_b32 v19, v9 :: v_dual_mov_b32 v18, v8
.LBB283_2029:                           ;   in Loop: Header=BB283_1055 Depth=1
	s_or_b32 exec_lo, exec_lo, s13
.LBB283_2030:                           ;   in Loop: Header=BB283_1055 Depth=1
	s_delay_alu instid0(SALU_CYCLE_1)
	s_or_b32 exec_lo, exec_lo, s12
.LBB283_2031:                           ;   in Loop: Header=BB283_1055 Depth=1
	s_delay_alu instid0(SALU_CYCLE_1) | instskip(NEXT) | instid1(SALU_CYCLE_1)
	s_or_b32 exec_lo, exec_lo, s10
	s_mov_b32 s12, exec_lo
	v_cmpx_lt_u32_e32 0xffffff, v173
	s_cbranch_execz .LBB283_2039
; %bb.2032:                             ;   in Loop: Header=BB283_1055 Depth=1
	v_lshrrev_b32_e32 v174, 24, v173
	v_dual_mov_b32 v21, s9 :: v_dual_mov_b32 v20, s8
	s_mov_b32 s13, exec_lo
	s_delay_alu instid0(VALU_DEP_2)
	v_cmpx_ne_u32_e32 0x80, v174
	s_cbranch_execz .LBB283_2038
; %bb.2033:                             ;   in Loop: Header=BB283_1055 Depth=1
	s_mov_b32 s10, s8
	v_bfe_u32 v173, v173, 24, 7
	v_dual_mov_b32 v21, s11 :: v_dual_mov_b32 v20, s10
	s_mov_b32 s10, exec_lo
	s_delay_alu instid0(VALU_DEP_2)
	v_cmpx_ne_u32_e32 0x7f, v173
	s_cbranch_execz .LBB283_2037
; %bb.2034:                             ;   in Loop: Header=BB283_1055 Depth=1
	v_and_b32_e32 v8, 7, v174
	v_lshrrev_b32_e32 v20, 3, v173
	s_mov_b32 s15, exec_lo
	v_cmpx_gt_u32_e32 8, v173
; %bb.2035:                             ;   in Loop: Header=BB283_1055 Depth=1
	s_delay_alu instid0(VALU_DEP_3) | instskip(NEXT) | instid1(VALU_DEP_1)
	v_clz_i32_u32_e32 v20, v8
	v_min_u32_e32 v20, 32, v20
	s_delay_alu instid0(VALU_DEP_1) | instskip(SKIP_1) | instid1(VALU_DEP_2)
	v_subrev_nc_u32_e32 v21, 28, v20
	v_sub_nc_u32_e32 v20, 29, v20
	v_lshlrev_b64 v[184:185], v21, v[8:9]
	s_delay_alu instid0(VALU_DEP_1)
	v_and_b32_e32 v8, 7, v184
; %bb.2036:                             ;   in Loop: Header=BB283_1055 Depth=1
	s_or_b32 exec_lo, exec_lo, s15
	v_lshlrev_b32_e32 v21, 24, v174
	s_delay_alu instid0(VALU_DEP_2) | instskip(SKIP_1) | instid1(VALU_DEP_3)
	v_lshlrev_b32_e32 v8, 20, v8
	v_lshl_add_u32 v20, v20, 23, 0x3c000000
	v_and_b32_e32 v21, 0x80000000, v21
	s_delay_alu instid0(VALU_DEP_1)
	v_or3_b32 v21, v8, v21, v20
	v_mov_b32_e32 v20, v9
.LBB283_2037:                           ;   in Loop: Header=BB283_1055 Depth=1
	s_or_b32 exec_lo, exec_lo, s10
.LBB283_2038:                           ;   in Loop: Header=BB283_1055 Depth=1
	s_delay_alu instid0(SALU_CYCLE_1)
	s_or_b32 exec_lo, exec_lo, s13
.LBB283_2039:                           ;   in Loop: Header=BB283_1055 Depth=1
	s_delay_alu instid0(SALU_CYCLE_1) | instskip(SKIP_4) | instid1(VALU_DEP_3)
	s_or_b32 exec_lo, exec_lo, s12
	v_or_b32_e32 v5, v17, v5
	v_or_b32_e32 v4, v16, v4
	;; [unrolled: 1-line block ×4, first 2 shown]
	v_dual_mul_f32 v184, v96, v5 :: v_dual_mul_f32 v175, v82, v4
	s_delay_alu instid0(VALU_DEP_3) | instskip(NEXT) | instid1(VALU_DEP_3)
	v_mul_f32_e32 v173, v96, v8
	v_mul_f32_e32 v174, v82, v16
	s_and_saveexec_b32 s10, vcc_lo
; %bb.2040:                             ;   in Loop: Header=BB283_1055 Depth=1
	v_cmp_lt_i32_e64 s0, v102, v98
	s_delay_alu instid0(VALU_DEP_1) | instskip(SKIP_1) | instid1(VALU_DEP_1)
	v_cndmask_b32_e64 v175, 0, v175, s0
	v_cmp_lt_i32_e64 s0, v112, v98
	v_cndmask_b32_e64 v184, 0, v184, s0
	v_cmp_lt_i32_e64 s0, v103, v98
	s_delay_alu instid0(VALU_DEP_1) | instskip(SKIP_1) | instid1(VALU_DEP_1)
	v_cndmask_b32_e64 v174, 0, v174, s0
	v_cmp_lt_i32_e64 s0, v86, v98
	v_cndmask_b32_e64 v173, 0, v173, s0
; %bb.2041:                             ;   in Loop: Header=BB283_1055 Depth=1
	s_or_b32 exec_lo, exec_lo, s10
	flat_load_b32 v185, v[14:15] offset:3712
	v_mov_b32_e32 v16, 0
	v_mov_b32_e32 v17, 0
	s_mov_b32 s10, exec_lo
	s_waitcnt vmcnt(0) lgkmcnt(0)
	v_and_b32_e32 v8, 0xff, v185
	s_delay_alu instid0(VALU_DEP_2) | instskip(NEXT) | instid1(VALU_DEP_2)
	v_dual_mov_b32 v4, v16 :: v_dual_mov_b32 v5, v17
	v_cmpx_ne_u16_e32 0, v8
	s_cbranch_execz .LBB283_2049
; %bb.2042:                             ;   in Loop: Header=BB283_1055 Depth=1
	v_bfrev_b32_e32 v4, 1
	v_mov_b32_e32 v5, 0
	s_mov_b32 s12, exec_lo
	v_cmpx_ne_u16_e32 0x80, v8
	s_cbranch_execz .LBB283_2048
; %bb.2043:                             ;   in Loop: Header=BB283_1055 Depth=1
	v_mov_b32_e32 v4, 0x7f800001
	v_dual_mov_b32 v5, 0 :: v_dual_and_b32 v18, 0x7f, v185
	s_mov_b32 s13, exec_lo
	s_delay_alu instid0(VALU_DEP_1)
	v_cmpx_ne_u32_e32 0x7f, v18
	s_cbranch_execz .LBB283_2047
; %bb.2044:                             ;   in Loop: Header=BB283_1055 Depth=1
	v_and_b32_e32 v8, 7, v185
	v_lshrrev_b32_e32 v4, 3, v18
	s_mov_b32 s15, exec_lo
	v_cmpx_gt_u32_e32 8, v18
; %bb.2045:                             ;   in Loop: Header=BB283_1055 Depth=1
	s_delay_alu instid0(VALU_DEP_3) | instskip(NEXT) | instid1(VALU_DEP_1)
	v_clz_i32_u32_e32 v4, v8
	v_min_u32_e32 v4, 32, v4
	s_delay_alu instid0(VALU_DEP_1) | instskip(SKIP_1) | instid1(VALU_DEP_2)
	v_subrev_nc_u32_e32 v5, 28, v4
	v_sub_nc_u32_e32 v4, 29, v4
	v_lshlrev_b64 v[18:19], v5, v[8:9]
	s_delay_alu instid0(VALU_DEP_1)
	v_and_b32_e32 v8, 7, v18
; %bb.2046:                             ;   in Loop: Header=BB283_1055 Depth=1
	s_or_b32 exec_lo, exec_lo, s15
	v_lshlrev_b32_e32 v5, 24, v185
	s_delay_alu instid0(VALU_DEP_2) | instskip(SKIP_1) | instid1(VALU_DEP_3)
	v_lshlrev_b32_e32 v8, 20, v8
	v_lshl_add_u32 v4, v4, 23, 0x3c000000
	v_and_b32_e32 v5, 0x80000000, v5
	s_delay_alu instid0(VALU_DEP_1) | instskip(NEXT) | instid1(VALU_DEP_1)
	v_or3_b32 v8, v8, v5, v4
	v_dual_mov_b32 v4, v8 :: v_dual_mov_b32 v5, v9
.LBB283_2047:                           ;   in Loop: Header=BB283_1055 Depth=1
	s_or_b32 exec_lo, exec_lo, s13
.LBB283_2048:                           ;   in Loop: Header=BB283_1055 Depth=1
	s_delay_alu instid0(SALU_CYCLE_1)
	s_or_b32 exec_lo, exec_lo, s12
.LBB283_2049:                           ;   in Loop: Header=BB283_1055 Depth=1
	s_delay_alu instid0(SALU_CYCLE_1) | instskip(SKIP_2) | instid1(VALU_DEP_1)
	s_or_b32 exec_lo, exec_lo, s10
	v_lshrrev_b16 v8, 8, v185
	s_mov_b32 s12, exec_lo
	v_cmpx_ne_u16_e32 0, v8
	s_cbranch_execz .LBB283_2057
; %bb.2050:                             ;   in Loop: Header=BB283_1055 Depth=1
	v_dual_mov_b32 v17, s9 :: v_dual_mov_b32 v16, s8
	s_mov_b32 s13, exec_lo
	v_cmpx_ne_u16_e32 0x80, v8
	s_cbranch_execz .LBB283_2056
; %bb.2051:                             ;   in Loop: Header=BB283_1055 Depth=1
	s_mov_b32 s10, s8
	v_dual_mov_b32 v17, s11 :: v_dual_and_b32 v8, 0xffff, v8
	v_mov_b32_e32 v16, s10
	s_mov_b32 s10, exec_lo
	s_delay_alu instid0(VALU_DEP_2) | instskip(NEXT) | instid1(VALU_DEP_1)
	v_and_b32_e32 v18, 0x7f, v8
	v_cmpx_ne_u32_e32 0x7f, v18
	s_cbranch_execz .LBB283_2055
; %bb.2052:                             ;   in Loop: Header=BB283_1055 Depth=1
	v_and_b32_e32 v8, 7, v8
	v_lshrrev_b32_e32 v16, 3, v18
	s_mov_b32 s15, exec_lo
	v_cmpx_gt_u32_e32 8, v18
; %bb.2053:                             ;   in Loop: Header=BB283_1055 Depth=1
	s_delay_alu instid0(VALU_DEP_3) | instskip(NEXT) | instid1(VALU_DEP_1)
	v_clz_i32_u32_e32 v16, v8
	v_min_u32_e32 v16, 32, v16
	s_delay_alu instid0(VALU_DEP_1) | instskip(SKIP_1) | instid1(VALU_DEP_2)
	v_subrev_nc_u32_e32 v17, 28, v16
	v_sub_nc_u32_e32 v16, 29, v16
	v_lshlrev_b64 v[17:18], v17, v[8:9]
	s_delay_alu instid0(VALU_DEP_1)
	v_and_b32_e32 v8, 7, v17
; %bb.2054:                             ;   in Loop: Header=BB283_1055 Depth=1
	s_or_b32 exec_lo, exec_lo, s15
	v_lshlrev_b32_e32 v17, 16, v185
	s_delay_alu instid0(VALU_DEP_2) | instskip(SKIP_1) | instid1(VALU_DEP_3)
	v_lshlrev_b32_e32 v8, 20, v8
	v_lshl_add_u32 v16, v16, 23, 0x3c000000
	v_and_b32_e32 v17, 0x80000000, v17
	s_delay_alu instid0(VALU_DEP_1)
	v_or3_b32 v17, v8, v17, v16
	v_mov_b32_e32 v16, v9
.LBB283_2055:                           ;   in Loop: Header=BB283_1055 Depth=1
	s_or_b32 exec_lo, exec_lo, s10
.LBB283_2056:                           ;   in Loop: Header=BB283_1055 Depth=1
	s_delay_alu instid0(SALU_CYCLE_1)
	s_or_b32 exec_lo, exec_lo, s13
.LBB283_2057:                           ;   in Loop: Header=BB283_1055 Depth=1
	s_delay_alu instid0(SALU_CYCLE_1) | instskip(SKIP_4) | instid1(VALU_DEP_1)
	s_or_b32 exec_lo, exec_lo, s12
	v_mov_b32_e32 v18, 0
	v_lshrrev_b32_e32 v186, 16, v185
	v_mov_b32_e32 v19, 0
	s_mov_b32 s10, exec_lo
	v_dual_mov_b32 v21, v19 :: v_dual_and_b32 v8, 0xff, v186
	v_mov_b32_e32 v20, v18
	s_delay_alu instid0(VALU_DEP_2)
	v_cmpx_ne_u16_e32 0, v8
	s_cbranch_execz .LBB283_2065
; %bb.2058:                             ;   in Loop: Header=BB283_1055 Depth=1
	v_bfrev_b32_e32 v20, 1
	v_mov_b32_e32 v21, 0
	s_mov_b32 s12, exec_lo
	v_cmpx_ne_u16_e32 0x80, v8
	s_cbranch_execz .LBB283_2064
; %bb.2059:                             ;   in Loop: Header=BB283_1055 Depth=1
	v_mov_b32_e32 v20, 0x7f800001
	v_bfe_u32 v187, v185, 16, 7
	v_mov_b32_e32 v21, 0
	s_mov_b32 s13, exec_lo
	s_delay_alu instid0(VALU_DEP_2)
	v_cmpx_ne_u32_e32 0x7f, v187
	s_cbranch_execz .LBB283_2063
; %bb.2060:                             ;   in Loop: Header=BB283_1055 Depth=1
	v_and_b32_e32 v8, 7, v186
	v_lshrrev_b32_e32 v20, 3, v187
	s_mov_b32 s15, exec_lo
	v_cmpx_gt_u32_e32 8, v187
; %bb.2061:                             ;   in Loop: Header=BB283_1055 Depth=1
	s_delay_alu instid0(VALU_DEP_3) | instskip(NEXT) | instid1(VALU_DEP_1)
	v_clz_i32_u32_e32 v20, v8
	v_min_u32_e32 v20, 32, v20
	s_delay_alu instid0(VALU_DEP_1) | instskip(SKIP_1) | instid1(VALU_DEP_2)
	v_subrev_nc_u32_e32 v21, 28, v20
	v_sub_nc_u32_e32 v20, 29, v20
	v_lshlrev_b64 v[187:188], v21, v[8:9]
	s_delay_alu instid0(VALU_DEP_1)
	v_and_b32_e32 v8, 7, v187
; %bb.2062:                             ;   in Loop: Header=BB283_1055 Depth=1
	s_or_b32 exec_lo, exec_lo, s15
	v_lshlrev_b32_e32 v21, 24, v186
	s_delay_alu instid0(VALU_DEP_2) | instskip(SKIP_1) | instid1(VALU_DEP_3)
	v_lshlrev_b32_e32 v8, 20, v8
	v_lshl_add_u32 v20, v20, 23, 0x3c000000
	v_and_b32_e32 v21, 0x80000000, v21
	s_delay_alu instid0(VALU_DEP_1) | instskip(NEXT) | instid1(VALU_DEP_1)
	v_or3_b32 v8, v8, v21, v20
	v_dual_mov_b32 v21, v9 :: v_dual_mov_b32 v20, v8
.LBB283_2063:                           ;   in Loop: Header=BB283_1055 Depth=1
	s_or_b32 exec_lo, exec_lo, s13
.LBB283_2064:                           ;   in Loop: Header=BB283_1055 Depth=1
	s_delay_alu instid0(SALU_CYCLE_1)
	s_or_b32 exec_lo, exec_lo, s12
.LBB283_2065:                           ;   in Loop: Header=BB283_1055 Depth=1
	s_delay_alu instid0(SALU_CYCLE_1) | instskip(NEXT) | instid1(SALU_CYCLE_1)
	s_or_b32 exec_lo, exec_lo, s10
	s_mov_b32 s12, exec_lo
	v_cmpx_lt_u32_e32 0xffffff, v185
	s_cbranch_execz .LBB283_2073
; %bb.2066:                             ;   in Loop: Header=BB283_1055 Depth=1
	v_lshrrev_b32_e32 v186, 24, v185
	v_dual_mov_b32 v19, s9 :: v_dual_mov_b32 v18, s8
	s_mov_b32 s13, exec_lo
	s_delay_alu instid0(VALU_DEP_2)
	v_cmpx_ne_u32_e32 0x80, v186
	s_cbranch_execz .LBB283_2072
; %bb.2067:                             ;   in Loop: Header=BB283_1055 Depth=1
	s_mov_b32 s10, s8
	v_bfe_u32 v185, v185, 24, 7
	v_dual_mov_b32 v19, s11 :: v_dual_mov_b32 v18, s10
	s_mov_b32 s10, exec_lo
	s_delay_alu instid0(VALU_DEP_2)
	v_cmpx_ne_u32_e32 0x7f, v185
	s_cbranch_execz .LBB283_2071
; %bb.2068:                             ;   in Loop: Header=BB283_1055 Depth=1
	v_and_b32_e32 v8, 7, v186
	v_lshrrev_b32_e32 v18, 3, v185
	s_mov_b32 s15, exec_lo
	v_cmpx_gt_u32_e32 8, v185
; %bb.2069:                             ;   in Loop: Header=BB283_1055 Depth=1
	s_delay_alu instid0(VALU_DEP_3) | instskip(NEXT) | instid1(VALU_DEP_1)
	v_clz_i32_u32_e32 v18, v8
	v_min_u32_e32 v18, 32, v18
	s_delay_alu instid0(VALU_DEP_1) | instskip(SKIP_1) | instid1(VALU_DEP_2)
	v_subrev_nc_u32_e32 v19, 28, v18
	v_sub_nc_u32_e32 v18, 29, v18
	v_lshlrev_b64 v[187:188], v19, v[8:9]
	s_delay_alu instid0(VALU_DEP_1)
	v_and_b32_e32 v8, 7, v187
; %bb.2070:                             ;   in Loop: Header=BB283_1055 Depth=1
	s_or_b32 exec_lo, exec_lo, s15
	v_lshlrev_b32_e32 v19, 24, v186
	s_delay_alu instid0(VALU_DEP_2) | instskip(SKIP_1) | instid1(VALU_DEP_3)
	v_lshlrev_b32_e32 v8, 20, v8
	v_lshl_add_u32 v18, v18, 23, 0x3c000000
	v_and_b32_e32 v19, 0x80000000, v19
	s_delay_alu instid0(VALU_DEP_1)
	v_or3_b32 v19, v8, v19, v18
	v_mov_b32_e32 v18, v9
.LBB283_2071:                           ;   in Loop: Header=BB283_1055 Depth=1
	s_or_b32 exec_lo, exec_lo, s10
.LBB283_2072:                           ;   in Loop: Header=BB283_1055 Depth=1
	s_delay_alu instid0(SALU_CYCLE_1)
	s_or_b32 exec_lo, exec_lo, s13
.LBB283_2073:                           ;   in Loop: Header=BB283_1055 Depth=1
	s_delay_alu instid0(SALU_CYCLE_1) | instskip(SKIP_4) | instid1(VALU_DEP_3)
	s_or_b32 exec_lo, exec_lo, s12
	v_or_b32_e32 v5, v17, v5
	v_or_b32_e32 v4, v16, v4
	;; [unrolled: 1-line block ×4, first 2 shown]
	v_dual_mul_f32 v186, v96, v5 :: v_dual_mul_f32 v185, v82, v4
	s_delay_alu instid0(VALU_DEP_3) | instskip(NEXT) | instid1(VALU_DEP_3)
	v_mul_f32_e32 v20, v96, v8
	v_mul_f32_e32 v21, v82, v16
	s_and_saveexec_b32 s10, vcc_lo
; %bb.2074:                             ;   in Loop: Header=BB283_1055 Depth=1
	v_cmp_lt_i32_e64 s0, v102, v98
	s_delay_alu instid0(VALU_DEP_1) | instskip(SKIP_1) | instid1(VALU_DEP_1)
	v_cndmask_b32_e64 v185, 0, v185, s0
	v_cmp_lt_i32_e64 s0, v112, v98
	v_cndmask_b32_e64 v186, 0, v186, s0
	v_cmp_lt_i32_e64 s0, v103, v98
	s_delay_alu instid0(VALU_DEP_1) | instskip(SKIP_1) | instid1(VALU_DEP_1)
	v_cndmask_b32_e64 v21, 0, v21, s0
	v_cmp_lt_i32_e64 s0, v86, v98
	v_cndmask_b32_e64 v20, 0, v20, s0
; %bb.2075:                             ;   in Loop: Header=BB283_1055 Depth=1
	s_or_b32 exec_lo, exec_lo, s10
	flat_load_b32 v187, v[14:15] offset:3840
	v_mov_b32_e32 v14, 0
	v_mov_b32_e32 v15, 0
	s_mov_b32 s10, exec_lo
	s_waitcnt vmcnt(0) lgkmcnt(0)
	v_and_b32_e32 v8, 0xff, v187
	s_delay_alu instid0(VALU_DEP_2) | instskip(NEXT) | instid1(VALU_DEP_2)
	v_dual_mov_b32 v4, v14 :: v_dual_mov_b32 v5, v15
	v_cmpx_ne_u16_e32 0, v8
	s_cbranch_execz .LBB283_2083
; %bb.2076:                             ;   in Loop: Header=BB283_1055 Depth=1
	v_bfrev_b32_e32 v4, 1
	v_mov_b32_e32 v5, 0
	s_mov_b32 s12, exec_lo
	v_cmpx_ne_u16_e32 0x80, v8
	s_cbranch_execz .LBB283_2082
; %bb.2077:                             ;   in Loop: Header=BB283_1055 Depth=1
	v_mov_b32_e32 v4, 0x7f800001
	v_dual_mov_b32 v5, 0 :: v_dual_and_b32 v16, 0x7f, v187
	s_mov_b32 s13, exec_lo
	s_delay_alu instid0(VALU_DEP_1)
	v_cmpx_ne_u32_e32 0x7f, v16
	s_cbranch_execz .LBB283_2081
; %bb.2078:                             ;   in Loop: Header=BB283_1055 Depth=1
	v_and_b32_e32 v8, 7, v187
	v_lshrrev_b32_e32 v4, 3, v16
	s_mov_b32 s15, exec_lo
	v_cmpx_gt_u32_e32 8, v16
; %bb.2079:                             ;   in Loop: Header=BB283_1055 Depth=1
	s_delay_alu instid0(VALU_DEP_3) | instskip(NEXT) | instid1(VALU_DEP_1)
	v_clz_i32_u32_e32 v4, v8
	v_min_u32_e32 v4, 32, v4
	s_delay_alu instid0(VALU_DEP_1) | instskip(SKIP_1) | instid1(VALU_DEP_2)
	v_subrev_nc_u32_e32 v5, 28, v4
	v_sub_nc_u32_e32 v4, 29, v4
	v_lshlrev_b64 v[16:17], v5, v[8:9]
	s_delay_alu instid0(VALU_DEP_1)
	v_and_b32_e32 v8, 7, v16
; %bb.2080:                             ;   in Loop: Header=BB283_1055 Depth=1
	s_or_b32 exec_lo, exec_lo, s15
	v_lshlrev_b32_e32 v5, 24, v187
	s_delay_alu instid0(VALU_DEP_2) | instskip(SKIP_1) | instid1(VALU_DEP_3)
	v_lshlrev_b32_e32 v8, 20, v8
	v_lshl_add_u32 v4, v4, 23, 0x3c000000
	v_and_b32_e32 v5, 0x80000000, v5
	s_delay_alu instid0(VALU_DEP_1) | instskip(NEXT) | instid1(VALU_DEP_1)
	v_or3_b32 v8, v8, v5, v4
	v_dual_mov_b32 v4, v8 :: v_dual_mov_b32 v5, v9
.LBB283_2081:                           ;   in Loop: Header=BB283_1055 Depth=1
	s_or_b32 exec_lo, exec_lo, s13
.LBB283_2082:                           ;   in Loop: Header=BB283_1055 Depth=1
	s_delay_alu instid0(SALU_CYCLE_1)
	s_or_b32 exec_lo, exec_lo, s12
.LBB283_2083:                           ;   in Loop: Header=BB283_1055 Depth=1
	s_delay_alu instid0(SALU_CYCLE_1) | instskip(SKIP_2) | instid1(VALU_DEP_1)
	s_or_b32 exec_lo, exec_lo, s10
	v_lshrrev_b16 v8, 8, v187
	s_mov_b32 s12, exec_lo
	v_cmpx_ne_u16_e32 0, v8
	s_cbranch_execz .LBB283_2091
; %bb.2084:                             ;   in Loop: Header=BB283_1055 Depth=1
	v_dual_mov_b32 v15, s9 :: v_dual_mov_b32 v14, s8
	s_mov_b32 s13, exec_lo
	v_cmpx_ne_u16_e32 0x80, v8
	s_cbranch_execz .LBB283_2090
; %bb.2085:                             ;   in Loop: Header=BB283_1055 Depth=1
	s_mov_b32 s10, s8
	v_dual_mov_b32 v15, s11 :: v_dual_and_b32 v8, 0xffff, v8
	v_mov_b32_e32 v14, s10
	s_mov_b32 s10, exec_lo
	s_delay_alu instid0(VALU_DEP_2) | instskip(NEXT) | instid1(VALU_DEP_1)
	v_and_b32_e32 v16, 0x7f, v8
	v_cmpx_ne_u32_e32 0x7f, v16
	s_cbranch_execz .LBB283_2089
; %bb.2086:                             ;   in Loop: Header=BB283_1055 Depth=1
	v_and_b32_e32 v8, 7, v8
	v_lshrrev_b32_e32 v14, 3, v16
	s_mov_b32 s15, exec_lo
	v_cmpx_gt_u32_e32 8, v16
; %bb.2087:                             ;   in Loop: Header=BB283_1055 Depth=1
	s_delay_alu instid0(VALU_DEP_3) | instskip(NEXT) | instid1(VALU_DEP_1)
	v_clz_i32_u32_e32 v14, v8
	v_min_u32_e32 v14, 32, v14
	s_delay_alu instid0(VALU_DEP_1) | instskip(SKIP_1) | instid1(VALU_DEP_2)
	v_subrev_nc_u32_e32 v15, 28, v14
	v_sub_nc_u32_e32 v14, 29, v14
	v_lshlrev_b64 v[15:16], v15, v[8:9]
	s_delay_alu instid0(VALU_DEP_1)
	v_and_b32_e32 v8, 7, v15
; %bb.2088:                             ;   in Loop: Header=BB283_1055 Depth=1
	s_or_b32 exec_lo, exec_lo, s15
	v_lshlrev_b32_e32 v15, 16, v187
	s_delay_alu instid0(VALU_DEP_2) | instskip(SKIP_1) | instid1(VALU_DEP_3)
	v_lshlrev_b32_e32 v8, 20, v8
	v_lshl_add_u32 v14, v14, 23, 0x3c000000
	v_and_b32_e32 v15, 0x80000000, v15
	s_delay_alu instid0(VALU_DEP_1)
	v_or3_b32 v15, v8, v15, v14
	v_mov_b32_e32 v14, v9
.LBB283_2089:                           ;   in Loop: Header=BB283_1055 Depth=1
	s_or_b32 exec_lo, exec_lo, s10
.LBB283_2090:                           ;   in Loop: Header=BB283_1055 Depth=1
	s_delay_alu instid0(SALU_CYCLE_1)
	s_or_b32 exec_lo, exec_lo, s13
.LBB283_2091:                           ;   in Loop: Header=BB283_1055 Depth=1
	s_delay_alu instid0(SALU_CYCLE_1) | instskip(SKIP_4) | instid1(VALU_DEP_1)
	s_or_b32 exec_lo, exec_lo, s12
	v_mov_b32_e32 v16, 0
	v_lshrrev_b32_e32 v188, 16, v187
	v_mov_b32_e32 v17, 0
	s_mov_b32 s10, exec_lo
	v_dual_mov_b32 v19, v17 :: v_dual_and_b32 v8, 0xff, v188
	v_mov_b32_e32 v18, v16
	s_delay_alu instid0(VALU_DEP_2)
	v_cmpx_ne_u16_e32 0, v8
	s_cbranch_execz .LBB283_2099
; %bb.2092:                             ;   in Loop: Header=BB283_1055 Depth=1
	v_bfrev_b32_e32 v18, 1
	v_mov_b32_e32 v19, 0
	s_mov_b32 s12, exec_lo
	v_cmpx_ne_u16_e32 0x80, v8
	s_cbranch_execz .LBB283_2098
; %bb.2093:                             ;   in Loop: Header=BB283_1055 Depth=1
	v_mov_b32_e32 v18, 0x7f800001
	v_bfe_u32 v189, v187, 16, 7
	v_mov_b32_e32 v19, 0
	s_mov_b32 s13, exec_lo
	s_delay_alu instid0(VALU_DEP_2)
	v_cmpx_ne_u32_e32 0x7f, v189
	s_cbranch_execz .LBB283_2097
; %bb.2094:                             ;   in Loop: Header=BB283_1055 Depth=1
	v_and_b32_e32 v8, 7, v188
	v_lshrrev_b32_e32 v18, 3, v189
	s_mov_b32 s15, exec_lo
	v_cmpx_gt_u32_e32 8, v189
; %bb.2095:                             ;   in Loop: Header=BB283_1055 Depth=1
	s_delay_alu instid0(VALU_DEP_3) | instskip(NEXT) | instid1(VALU_DEP_1)
	v_clz_i32_u32_e32 v18, v8
	v_min_u32_e32 v18, 32, v18
	s_delay_alu instid0(VALU_DEP_1) | instskip(SKIP_1) | instid1(VALU_DEP_2)
	v_subrev_nc_u32_e32 v19, 28, v18
	v_sub_nc_u32_e32 v18, 29, v18
	v_lshlrev_b64 v[189:190], v19, v[8:9]
	s_delay_alu instid0(VALU_DEP_1)
	v_and_b32_e32 v8, 7, v189
; %bb.2096:                             ;   in Loop: Header=BB283_1055 Depth=1
	s_or_b32 exec_lo, exec_lo, s15
	v_lshlrev_b32_e32 v19, 24, v188
	s_delay_alu instid0(VALU_DEP_2) | instskip(SKIP_1) | instid1(VALU_DEP_3)
	v_lshlrev_b32_e32 v8, 20, v8
	v_lshl_add_u32 v18, v18, 23, 0x3c000000
	v_and_b32_e32 v19, 0x80000000, v19
	s_delay_alu instid0(VALU_DEP_1) | instskip(NEXT) | instid1(VALU_DEP_1)
	v_or3_b32 v8, v8, v19, v18
	v_dual_mov_b32 v19, v9 :: v_dual_mov_b32 v18, v8
.LBB283_2097:                           ;   in Loop: Header=BB283_1055 Depth=1
	s_or_b32 exec_lo, exec_lo, s13
.LBB283_2098:                           ;   in Loop: Header=BB283_1055 Depth=1
	s_delay_alu instid0(SALU_CYCLE_1)
	s_or_b32 exec_lo, exec_lo, s12
.LBB283_2099:                           ;   in Loop: Header=BB283_1055 Depth=1
	s_delay_alu instid0(SALU_CYCLE_1) | instskip(NEXT) | instid1(SALU_CYCLE_1)
	s_or_b32 exec_lo, exec_lo, s10
	s_mov_b32 s12, exec_lo
	v_cmpx_lt_u32_e32 0xffffff, v187
	s_cbranch_execz .LBB283_2107
; %bb.2100:                             ;   in Loop: Header=BB283_1055 Depth=1
	v_lshrrev_b32_e32 v188, 24, v187
	v_dual_mov_b32 v17, s9 :: v_dual_mov_b32 v16, s8
	s_mov_b32 s13, exec_lo
	s_delay_alu instid0(VALU_DEP_2)
	v_cmpx_ne_u32_e32 0x80, v188
	s_cbranch_execz .LBB283_2106
; %bb.2101:                             ;   in Loop: Header=BB283_1055 Depth=1
	s_mov_b32 s10, s8
	v_bfe_u32 v187, v187, 24, 7
	v_dual_mov_b32 v17, s11 :: v_dual_mov_b32 v16, s10
	s_mov_b32 s10, exec_lo
	s_delay_alu instid0(VALU_DEP_2)
	v_cmpx_ne_u32_e32 0x7f, v187
	s_cbranch_execz .LBB283_2105
; %bb.2102:                             ;   in Loop: Header=BB283_1055 Depth=1
	v_and_b32_e32 v8, 7, v188
	v_lshrrev_b32_e32 v16, 3, v187
	s_mov_b32 s15, exec_lo
	v_cmpx_gt_u32_e32 8, v187
; %bb.2103:                             ;   in Loop: Header=BB283_1055 Depth=1
	s_delay_alu instid0(VALU_DEP_3) | instskip(NEXT) | instid1(VALU_DEP_1)
	v_clz_i32_u32_e32 v16, v8
	v_min_u32_e32 v16, 32, v16
	s_delay_alu instid0(VALU_DEP_1) | instskip(SKIP_1) | instid1(VALU_DEP_2)
	v_subrev_nc_u32_e32 v17, 28, v16
	v_sub_nc_u32_e32 v16, 29, v16
	v_lshlrev_b64 v[189:190], v17, v[8:9]
	s_delay_alu instid0(VALU_DEP_1)
	v_and_b32_e32 v8, 7, v189
; %bb.2104:                             ;   in Loop: Header=BB283_1055 Depth=1
	s_or_b32 exec_lo, exec_lo, s15
	v_lshlrev_b32_e32 v17, 24, v188
	s_delay_alu instid0(VALU_DEP_2) | instskip(SKIP_1) | instid1(VALU_DEP_3)
	v_lshlrev_b32_e32 v8, 20, v8
	v_lshl_add_u32 v16, v16, 23, 0x3c000000
	v_and_b32_e32 v17, 0x80000000, v17
	s_delay_alu instid0(VALU_DEP_1)
	v_or3_b32 v17, v8, v17, v16
	v_mov_b32_e32 v16, v9
.LBB283_2105:                           ;   in Loop: Header=BB283_1055 Depth=1
	s_or_b32 exec_lo, exec_lo, s10
.LBB283_2106:                           ;   in Loop: Header=BB283_1055 Depth=1
	s_delay_alu instid0(SALU_CYCLE_1)
	s_or_b32 exec_lo, exec_lo, s13
.LBB283_2107:                           ;   in Loop: Header=BB283_1055 Depth=1
	s_delay_alu instid0(SALU_CYCLE_1) | instskip(SKIP_4) | instid1(VALU_DEP_3)
	s_or_b32 exec_lo, exec_lo, s12
	v_or_b32_e32 v5, v15, v5
	v_or_b32_e32 v4, v14, v4
	;; [unrolled: 1-line block ×4, first 2 shown]
	v_dual_mul_f32 v188, v96, v5 :: v_dual_mul_f32 v187, v82, v4
	s_delay_alu instid0(VALU_DEP_2)
	v_dual_mul_f32 v18, v96, v8 :: v_dual_mul_f32 v19, v82, v14
	s_and_saveexec_b32 s10, vcc_lo
; %bb.2108:                             ;   in Loop: Header=BB283_1055 Depth=1
	v_cmp_lt_i32_e64 s0, v102, v98
	s_delay_alu instid0(VALU_DEP_1) | instskip(SKIP_1) | instid1(VALU_DEP_1)
	v_cndmask_b32_e64 v187, 0, v187, s0
	v_cmp_lt_i32_e64 s0, v112, v98
	v_cndmask_b32_e64 v188, 0, v188, s0
	v_cmp_lt_i32_e64 s0, v103, v98
	s_delay_alu instid0(VALU_DEP_1) | instskip(SKIP_1) | instid1(VALU_DEP_1)
	v_cndmask_b32_e64 v19, 0, v19, s0
	v_cmp_lt_i32_e64 s0, v86, v98
	v_cndmask_b32_e64 v18, 0, v18, s0
; %bb.2109:                             ;   in Loop: Header=BB283_1055 Depth=1
	s_or_b32 exec_lo, exec_lo, s10
	v_add_co_u32 v4, s0, v12, v85
	s_delay_alu instid0(VALU_DEP_1)
	v_add_co_ci_u32_e64 v5, s0, 0, v13, s0
	s_mov_b32 s10, exec_lo
	flat_load_b32 v189, v[4:5]
	v_mov_b32_e32 v4, 0
	s_waitcnt vmcnt(0) lgkmcnt(0)
	v_dual_mov_b32 v5, 0 :: v_dual_and_b32 v8, 0xff, v189
	s_delay_alu instid0(VALU_DEP_1) | instskip(NEXT) | instid1(VALU_DEP_2)
	v_dual_mov_b32 v13, v5 :: v_dual_mov_b32 v12, v4
	v_cmpx_ne_u16_e32 0, v8
	s_cbranch_execz .LBB283_2117
; %bb.2110:                             ;   in Loop: Header=BB283_1055 Depth=1
	v_bfrev_b32_e32 v12, 1
	v_mov_b32_e32 v13, 0
	s_mov_b32 s12, exec_lo
	v_cmpx_ne_u16_e32 0x80, v8
	s_cbranch_execz .LBB283_2116
; %bb.2111:                             ;   in Loop: Header=BB283_1055 Depth=1
	v_mov_b32_e32 v12, 0x7f800001
	v_dual_mov_b32 v13, 0 :: v_dual_and_b32 v14, 0x7f, v189
	s_mov_b32 s13, exec_lo
	s_delay_alu instid0(VALU_DEP_1)
	v_cmpx_ne_u32_e32 0x7f, v14
	s_cbranch_execz .LBB283_2115
; %bb.2112:                             ;   in Loop: Header=BB283_1055 Depth=1
	v_and_b32_e32 v8, 7, v189
	v_lshrrev_b32_e32 v12, 3, v14
	s_mov_b32 s15, exec_lo
	v_cmpx_gt_u32_e32 8, v14
; %bb.2113:                             ;   in Loop: Header=BB283_1055 Depth=1
	s_delay_alu instid0(VALU_DEP_3) | instskip(NEXT) | instid1(VALU_DEP_1)
	v_clz_i32_u32_e32 v12, v8
	v_min_u32_e32 v12, 32, v12
	s_delay_alu instid0(VALU_DEP_1) | instskip(SKIP_1) | instid1(VALU_DEP_2)
	v_subrev_nc_u32_e32 v13, 28, v12
	v_sub_nc_u32_e32 v12, 29, v12
	v_lshlrev_b64 v[13:14], v13, v[8:9]
	s_delay_alu instid0(VALU_DEP_1)
	v_and_b32_e32 v8, 7, v13
; %bb.2114:                             ;   in Loop: Header=BB283_1055 Depth=1
	s_or_b32 exec_lo, exec_lo, s15
	v_lshlrev_b32_e32 v13, 24, v189
	s_delay_alu instid0(VALU_DEP_2) | instskip(SKIP_1) | instid1(VALU_DEP_3)
	v_lshlrev_b32_e32 v8, 20, v8
	v_lshl_add_u32 v12, v12, 23, 0x3c000000
	v_and_b32_e32 v13, 0x80000000, v13
	s_delay_alu instid0(VALU_DEP_1) | instskip(NEXT) | instid1(VALU_DEP_1)
	v_or3_b32 v8, v8, v13, v12
	v_dual_mov_b32 v13, v9 :: v_dual_mov_b32 v12, v8
.LBB283_2115:                           ;   in Loop: Header=BB283_1055 Depth=1
	s_or_b32 exec_lo, exec_lo, s13
.LBB283_2116:                           ;   in Loop: Header=BB283_1055 Depth=1
	s_delay_alu instid0(SALU_CYCLE_1)
	s_or_b32 exec_lo, exec_lo, s12
.LBB283_2117:                           ;   in Loop: Header=BB283_1055 Depth=1
	s_delay_alu instid0(SALU_CYCLE_1) | instskip(SKIP_2) | instid1(VALU_DEP_1)
	s_or_b32 exec_lo, exec_lo, s10
	v_lshrrev_b16 v8, 8, v189
	s_mov_b32 s12, exec_lo
	v_cmpx_ne_u16_e32 0, v8
	s_cbranch_execz .LBB283_2125
; %bb.2118:                             ;   in Loop: Header=BB283_1055 Depth=1
	v_dual_mov_b32 v4, s8 :: v_dual_mov_b32 v5, s9
	s_mov_b32 s13, exec_lo
	v_cmpx_ne_u16_e32 0x80, v8
	s_cbranch_execz .LBB283_2124
; %bb.2119:                             ;   in Loop: Header=BB283_1055 Depth=1
	s_mov_b32 s10, s8
	v_and_b32_e32 v8, 0xffff, v8
	v_dual_mov_b32 v4, s10 :: v_dual_mov_b32 v5, s11
	s_mov_b32 s10, exec_lo
	s_delay_alu instid0(VALU_DEP_2) | instskip(NEXT) | instid1(VALU_DEP_1)
	v_and_b32_e32 v14, 0x7f, v8
	v_cmpx_ne_u32_e32 0x7f, v14
	s_cbranch_execz .LBB283_2123
; %bb.2120:                             ;   in Loop: Header=BB283_1055 Depth=1
	v_and_b32_e32 v8, 7, v8
	v_lshrrev_b32_e32 v4, 3, v14
	s_mov_b32 s15, exec_lo
	v_cmpx_gt_u32_e32 8, v14
; %bb.2121:                             ;   in Loop: Header=BB283_1055 Depth=1
	s_delay_alu instid0(VALU_DEP_3) | instskip(NEXT) | instid1(VALU_DEP_1)
	v_clz_i32_u32_e32 v4, v8
	v_min_u32_e32 v4, 32, v4
	s_delay_alu instid0(VALU_DEP_1) | instskip(SKIP_1) | instid1(VALU_DEP_2)
	v_subrev_nc_u32_e32 v5, 28, v4
	v_sub_nc_u32_e32 v4, 29, v4
	v_lshlrev_b64 v[14:15], v5, v[8:9]
	s_delay_alu instid0(VALU_DEP_1)
	v_and_b32_e32 v8, 7, v14
; %bb.2122:                             ;   in Loop: Header=BB283_1055 Depth=1
	s_or_b32 exec_lo, exec_lo, s15
	v_lshlrev_b32_e32 v5, 16, v189
	s_delay_alu instid0(VALU_DEP_2) | instskip(SKIP_1) | instid1(VALU_DEP_3)
	v_lshlrev_b32_e32 v8, 20, v8
	v_lshl_add_u32 v4, v4, 23, 0x3c000000
	v_and_b32_e32 v5, 0x80000000, v5
	s_delay_alu instid0(VALU_DEP_1)
	v_or3_b32 v5, v8, v5, v4
	v_mov_b32_e32 v4, v9
.LBB283_2123:                           ;   in Loop: Header=BB283_1055 Depth=1
	s_or_b32 exec_lo, exec_lo, s10
.LBB283_2124:                           ;   in Loop: Header=BB283_1055 Depth=1
	s_delay_alu instid0(SALU_CYCLE_1)
	s_or_b32 exec_lo, exec_lo, s13
.LBB283_2125:                           ;   in Loop: Header=BB283_1055 Depth=1
	s_delay_alu instid0(SALU_CYCLE_1) | instskip(SKIP_4) | instid1(VALU_DEP_1)
	s_or_b32 exec_lo, exec_lo, s12
	v_mov_b32_e32 v14, 0
	v_lshrrev_b32_e32 v190, 16, v189
	v_mov_b32_e32 v15, 0
	s_mov_b32 s10, exec_lo
	v_dual_mov_b32 v17, v15 :: v_dual_and_b32 v8, 0xff, v190
	v_mov_b32_e32 v16, v14
	s_delay_alu instid0(VALU_DEP_2)
	v_cmpx_ne_u16_e32 0, v8
	s_cbranch_execz .LBB283_2133
; %bb.2126:                             ;   in Loop: Header=BB283_1055 Depth=1
	v_bfrev_b32_e32 v16, 1
	v_mov_b32_e32 v17, 0
	s_mov_b32 s12, exec_lo
	v_cmpx_ne_u16_e32 0x80, v8
	s_cbranch_execz .LBB283_2132
; %bb.2127:                             ;   in Loop: Header=BB283_1055 Depth=1
	v_mov_b32_e32 v16, 0x7f800001
	v_bfe_u32 v191, v189, 16, 7
	v_mov_b32_e32 v17, 0
	s_mov_b32 s13, exec_lo
	s_delay_alu instid0(VALU_DEP_2)
	v_cmpx_ne_u32_e32 0x7f, v191
	s_cbranch_execz .LBB283_2131
; %bb.2128:                             ;   in Loop: Header=BB283_1055 Depth=1
	v_and_b32_e32 v8, 7, v190
	v_lshrrev_b32_e32 v16, 3, v191
	s_mov_b32 s15, exec_lo
	v_cmpx_gt_u32_e32 8, v191
; %bb.2129:                             ;   in Loop: Header=BB283_1055 Depth=1
	s_delay_alu instid0(VALU_DEP_3) | instskip(NEXT) | instid1(VALU_DEP_1)
	v_clz_i32_u32_e32 v16, v8
	v_min_u32_e32 v16, 32, v16
	s_delay_alu instid0(VALU_DEP_1) | instskip(SKIP_1) | instid1(VALU_DEP_2)
	v_subrev_nc_u32_e32 v17, 28, v16
	v_sub_nc_u32_e32 v16, 29, v16
	v_lshlrev_b64 v[83:84], v17, v[8:9]
	s_delay_alu instid0(VALU_DEP_1)
	v_and_b32_e32 v8, 7, v83
; %bb.2130:                             ;   in Loop: Header=BB283_1055 Depth=1
	s_or_b32 exec_lo, exec_lo, s15
	v_lshlrev_b32_e32 v17, 24, v190
	s_delay_alu instid0(VALU_DEP_2) | instskip(SKIP_1) | instid1(VALU_DEP_3)
	v_lshlrev_b32_e32 v8, 20, v8
	v_lshl_add_u32 v16, v16, 23, 0x3c000000
	v_and_b32_e32 v17, 0x80000000, v17
	s_delay_alu instid0(VALU_DEP_1) | instskip(NEXT) | instid1(VALU_DEP_1)
	v_or3_b32 v8, v8, v17, v16
	v_dual_mov_b32 v17, v9 :: v_dual_mov_b32 v16, v8
.LBB283_2131:                           ;   in Loop: Header=BB283_1055 Depth=1
	s_or_b32 exec_lo, exec_lo, s13
.LBB283_2132:                           ;   in Loop: Header=BB283_1055 Depth=1
	s_delay_alu instid0(SALU_CYCLE_1)
	s_or_b32 exec_lo, exec_lo, s12
.LBB283_2133:                           ;   in Loop: Header=BB283_1055 Depth=1
	s_delay_alu instid0(SALU_CYCLE_1) | instskip(NEXT) | instid1(SALU_CYCLE_1)
	s_or_b32 exec_lo, exec_lo, s10
	s_mov_b32 s12, exec_lo
	v_cmpx_lt_u32_e32 0xffffff, v189
	s_cbranch_execz .LBB283_2141
; %bb.2134:                             ;   in Loop: Header=BB283_1055 Depth=1
	v_lshrrev_b32_e32 v190, 24, v189
	v_dual_mov_b32 v15, s9 :: v_dual_mov_b32 v14, s8
	s_mov_b32 s13, exec_lo
	s_delay_alu instid0(VALU_DEP_2)
	v_cmpx_ne_u32_e32 0x80, v190
	s_cbranch_execz .LBB283_2140
; %bb.2135:                             ;   in Loop: Header=BB283_1055 Depth=1
	s_mov_b32 s10, s8
	v_bfe_u32 v189, v189, 24, 7
	v_dual_mov_b32 v15, s11 :: v_dual_mov_b32 v14, s10
	s_mov_b32 s10, exec_lo
	s_delay_alu instid0(VALU_DEP_2)
	v_cmpx_ne_u32_e32 0x7f, v189
	s_cbranch_execz .LBB283_2139
; %bb.2136:                             ;   in Loop: Header=BB283_1055 Depth=1
	v_and_b32_e32 v8, 7, v190
	v_lshrrev_b32_e32 v14, 3, v189
	s_mov_b32 s15, exec_lo
	v_cmpx_gt_u32_e32 8, v189
; %bb.2137:                             ;   in Loop: Header=BB283_1055 Depth=1
	s_delay_alu instid0(VALU_DEP_3) | instskip(NEXT) | instid1(VALU_DEP_1)
	v_clz_i32_u32_e32 v14, v8
	v_min_u32_e32 v14, 32, v14
	s_delay_alu instid0(VALU_DEP_1) | instskip(SKIP_1) | instid1(VALU_DEP_2)
	v_subrev_nc_u32_e32 v15, 28, v14
	v_sub_nc_u32_e32 v14, 29, v14
	v_lshlrev_b64 v[83:84], v15, v[8:9]
	s_delay_alu instid0(VALU_DEP_1)
	v_and_b32_e32 v8, 7, v83
; %bb.2138:                             ;   in Loop: Header=BB283_1055 Depth=1
	s_or_b32 exec_lo, exec_lo, s15
	v_lshlrev_b32_e32 v15, 24, v190
	s_delay_alu instid0(VALU_DEP_2) | instskip(SKIP_1) | instid1(VALU_DEP_3)
	v_lshlrev_b32_e32 v8, 20, v8
	v_lshl_add_u32 v14, v14, 23, 0x3c000000
	v_and_b32_e32 v15, 0x80000000, v15
	s_delay_alu instid0(VALU_DEP_1)
	v_or3_b32 v15, v8, v15, v14
	v_mov_b32_e32 v14, v9
.LBB283_2139:                           ;   in Loop: Header=BB283_1055 Depth=1
	s_or_b32 exec_lo, exec_lo, s10
.LBB283_2140:                           ;   in Loop: Header=BB283_1055 Depth=1
	s_delay_alu instid0(SALU_CYCLE_1)
	s_or_b32 exec_lo, exec_lo, s13
.LBB283_2141:                           ;   in Loop: Header=BB283_1055 Depth=1
	s_delay_alu instid0(SALU_CYCLE_1) | instskip(SKIP_4) | instid1(VALU_DEP_4)
	s_or_b32 exec_lo, exec_lo, s12
	v_or_b32_e32 v5, v5, v13
	v_or_b32_e32 v4, v4, v12
	v_or_b32_e32 v13, v15, v17
	v_or_b32_e32 v14, v14, v16
	v_mul_f32_e32 v12, v96, v5
	s_delay_alu instid0(VALU_DEP_4) | instskip(NEXT) | instid1(VALU_DEP_3)
	v_mul_f32_e32 v8, v82, v4
	v_dual_mul_f32 v4, v96, v13 :: v_dual_mul_f32 v5, v82, v14
	s_and_saveexec_b32 s0, vcc_lo
	s_cbranch_execz .LBB283_1054
; %bb.2142:                             ;   in Loop: Header=BB283_1055 Depth=1
	v_cmp_lt_i32_e32 vcc_lo, v102, v98
	v_cndmask_b32_e32 v8, 0, v8, vcc_lo
	v_cmp_lt_i32_e32 vcc_lo, v112, v98
	v_cndmask_b32_e32 v12, 0, v12, vcc_lo
	;; [unrolled: 2-line block ×4, first 2 shown]
	s_branch .LBB283_1054
.LBB283_2143:
	s_or_b32 exec_lo, exec_lo, s5
	scratch_load_b32 v24, off, s32 offset:344 ; 4-byte Folded Reload
	v_dual_mov_b32 v0, s6 :: v_dual_mov_b32 v1, s7
.LBB283_2144:
	s_or_b32 exec_lo, exec_lo, s3
	s_delay_alu instid0(VALU_DEP_1)
	v_lshlrev_b64 v[0:1], 2, v[0:1]
	s_getpc_b64 s[6:7]
	s_add_u32 s6, s6, llvm.amdgcn.dynlds.offset.table@rel32@lo+4
	s_addc_u32 s7, s7, llvm.amdgcn.dynlds.offset.table@rel32@hi+12
	s_waitcnt vmcnt(0) lgkmcnt(0)
	s_waitcnt_vscnt null, 0x0
	s_barrier
	buffer_gl0_inv
	ds_bpermute_b32 v2, v24, v80
	v_add_co_u32 v0, vcc_lo, v0, s6
	v_add_co_ci_u32_e32 v1, vcc_lo, s7, v1, vcc_lo
	ds_bpermute_b32 v3, v24, v71
	ds_bpermute_b32 v4, v24, v69
	ds_bpermute_b32 v5, v24, v68
	global_load_b32 v83, v[0:1], off
	ds_bpermute_b32 v0, v24, v70
	ds_bpermute_b32 v1, v24, v81
	ds_bpermute_b32 v6, v24, v67
	ds_bpermute_b32 v7, v24, v66
	ds_bpermute_b32 v8, v24, v65
	ds_bpermute_b32 v9, v24, v64
	ds_bpermute_b32 v10, v24, v55
	ds_bpermute_b32 v11, v24, v54
	ds_bpermute_b32 v12, v24, v53
	ds_bpermute_b32 v13, v24, v52
	ds_bpermute_b32 v14, v24, v51
	ds_bpermute_b32 v15, v24, v50
	ds_bpermute_b32 v16, v24, v49
	ds_bpermute_b32 v17, v24, v48
	ds_bpermute_b32 v18, v24, v39
	ds_bpermute_b32 v19, v24, v38
	ds_bpermute_b32 v20, v24, v37
	ds_bpermute_b32 v21, v24, v36
	ds_bpermute_b32 v25, v24, v35
	ds_bpermute_b32 v84, v24, v34
	ds_bpermute_b32 v85, v24, v33
	ds_bpermute_b32 v86, v24, v32
	ds_bpermute_b32 v87, v24, v31
	ds_bpermute_b32 v96, v24, v30
	ds_bpermute_b32 v97, v24, v29
	ds_bpermute_b32 v98, v24, v28
	ds_bpermute_b32 v99, v24, v23
	ds_bpermute_b32 v24, v24, v22
	s_clause 0x1
	scratch_load_b32 v82, off, s32 offset:1180
	scratch_load_b32 v100, off, s32 offset:1176
	s_waitcnt lgkmcnt(26)
	v_dual_add_f32 v0, v70, v0 :: v_dual_add_f32 v1, v81, v1
	v_dual_add_f32 v2, v80, v2 :: v_dual_add_f32 v3, v71, v3
	v_dual_add_f32 v4, v69, v4 :: v_dual_add_f32 v5, v68, v5
	s_waitcnt lgkmcnt(24)
	v_dual_add_f32 v6, v67, v6 :: v_dual_add_f32 v7, v66, v7
	s_waitcnt lgkmcnt(22)
	v_dual_add_f32 v8, v65, v8 :: v_dual_add_f32 v9, v64, v9
	;; [unrolled: 2-line block ×6, first 2 shown]
	scratch_load_b32 v22, off, s32 offset:336 ; 4-byte Folded Reload
	v_dual_add_f32 v16, v49, v16 :: v_dual_add_f32 v17, v48, v17
	v_dual_add_f32 v18, v39, v18 :: v_dual_add_f32 v19, v38, v19
	;; [unrolled: 1-line block ×7, first 2 shown]
	s_mov_b32 s0, exec_lo
	s_waitcnt vmcnt(2)
	v_lshrrev_b32_e32 v82, 3, v82
	s_waitcnt vmcnt(0)
	ds_bpermute_b32 v26, v22, v0
	ds_bpermute_b32 v35, v22, v1
	ds_bpermute_b32 v36, v22, v2
	ds_bpermute_b32 v37, v22, v3
	ds_bpermute_b32 v38, v22, v4
	ds_bpermute_b32 v39, v22, v5
	ds_bpermute_b32 v48, v22, v6
	ds_bpermute_b32 v49, v22, v7
	ds_bpermute_b32 v50, v22, v8
	ds_bpermute_b32 v51, v22, v9
	ds_bpermute_b32 v52, v22, v10
	ds_bpermute_b32 v53, v22, v11
	ds_bpermute_b32 v54, v22, v12
	ds_bpermute_b32 v55, v22, v13
	ds_bpermute_b32 v64, v22, v14
	ds_bpermute_b32 v65, v22, v15
	ds_bpermute_b32 v66, v22, v16
	ds_bpermute_b32 v67, v22, v17
	ds_bpermute_b32 v68, v22, v18
	ds_bpermute_b32 v69, v22, v19
	ds_bpermute_b32 v70, v22, v20
	ds_bpermute_b32 v71, v22, v21
	ds_bpermute_b32 v80, v22, v25
	ds_bpermute_b32 v81, v22, v34
	ds_bpermute_b32 v84, v22, v33
	ds_bpermute_b32 v85, v22, v32
	ds_bpermute_b32 v86, v22, v31
	ds_bpermute_b32 v87, v22, v30
	ds_bpermute_b32 v96, v22, v29
	ds_bpermute_b32 v97, v22, v28
	ds_bpermute_b32 v98, v22, v27
	ds_bpermute_b32 v23, v22, v24
	scratch_load_b32 v22, off, s32 offset:328 ; 4-byte Folded Reload
	s_waitcnt lgkmcnt(30)
	v_dual_add_f32 v1, v1, v35 :: v_dual_and_b32 v100, 0x3c7, v100
	s_waitcnt lgkmcnt(26)
	v_dual_add_f32 v2, v2, v36 :: v_dual_add_f32 v5, v5, v39
	v_dual_add_f32 v0, v0, v26 :: v_dual_add_f32 v3, v3, v37
	s_waitcnt lgkmcnt(13)
	v_add_f32_e32 v18, v18, v68
	s_waitcnt lgkmcnt(10)
	v_dual_add_f32 v20, v20, v70 :: v_dual_add_f32 v21, v21, v71
	s_waitcnt lgkmcnt(9)
	v_dual_add_f32 v25, v25, v80 :: v_dual_add_f32 v4, v4, v38
	v_dual_add_f32 v7, v7, v49 :: v_dual_add_f32 v6, v6, v48
	;; [unrolled: 1-line block ×4, first 2 shown]
	v_add_f32_e32 v13, v13, v55
	s_waitcnt lgkmcnt(0)
	v_add_f32_e32 v36, v24, v23
	v_dual_add_f32 v12, v12, v54 :: v_dual_add_f32 v15, v15, v65
	v_dual_add_f32 v14, v14, v64 :: v_dual_add_f32 v17, v17, v67
	v_dual_add_f32 v16, v16, v66 :: v_dual_add_f32 v19, v19, v69
	v_dual_add_f32 v26, v34, v81 :: v_dual_add_f32 v33, v33, v84
	v_dual_add_f32 v32, v32, v85 :: v_dual_add_f32 v31, v31, v86
	v_dual_add_f32 v30, v30, v87 :: v_dual_add_f32 v29, v29, v96
	v_dual_add_f32 v34, v28, v97 :: v_dual_add_f32 v35, v27, v98
	s_waitcnt vmcnt(0)
	ds_bpermute_b32 v24, v22, v1
	ds_bpermute_b32 v71, v22, v25
	;; [unrolled: 1-line block ×31, first 2 shown]
	s_waitcnt lgkmcnt(30)
	v_add_f32_e32 v1, v1, v24
	ds_bpermute_b32 v98, v22, v36
	s_waitcnt lgkmcnt(30)
	v_add_f32_e32 v22, v25, v71
	scratch_load_b32 v25, off, s32 offset:1184 ; 4-byte Folded Reload
	s_waitcnt lgkmcnt(27)
	v_dual_add_f32 v0, v0, v23 :: v_dual_add_f32 v3, v3, v28
	s_waitcnt lgkmcnt(25)
	v_dual_add_f32 v2, v2, v27 :: v_dual_add_f32 v5, v5, v38
	;; [unrolled: 2-line block ×11, first 2 shown]
	s_waitcnt lgkmcnt(7)
	v_add_f32_e32 v24, v33, v81
	s_waitcnt lgkmcnt(3)
	v_dual_add_f32 v26, v32, v84 :: v_dual_add_f32 v29, v29, v87
	v_dual_add_f32 v27, v31, v85 :: v_dual_add_f32 v28, v30, v86
	s_waitcnt lgkmcnt(1)
	v_dual_add_f32 v31, v35, v97 :: v_dual_add_f32 v30, v34, v96
	s_waitcnt lgkmcnt(0)
	v_add_f32_e32 v32, v36, v98
	s_waitcnt vmcnt(0)
	v_lshl_add_u32 v33, v25, 9, v83
	v_cmpx_eq_u32_e32 64, v100
	s_cbranch_execz .LBB283_2146
; %bb.2145:
	v_lshlrev_b32_e32 v25, 2, v82
	s_delay_alu instid0(VALU_DEP_1)
	v_add3_u32 v25, v33, v25, 0xfffffc00
	ds_store_2addr_b32 v25, v0, v1 offset1:4
	ds_store_2addr_b32 v25, v2, v3 offset0:8 offset1:12
	ds_store_2addr_b32 v25, v4, v5 offset0:16 offset1:20
	ds_store_2addr_b32 v25, v6, v7 offset0:24 offset1:28
	ds_store_2addr_b32 v25, v8, v9 offset0:32 offset1:36
	ds_store_2addr_b32 v25, v10, v11 offset0:40 offset1:44
	ds_store_2addr_b32 v25, v12, v13 offset0:48 offset1:52
	ds_store_2addr_b32 v25, v14, v15 offset0:56 offset1:60
	ds_store_2addr_b32 v25, v16, v17 offset0:64 offset1:68
	ds_store_2addr_b32 v25, v18, v19 offset0:72 offset1:76
	ds_store_2addr_b32 v25, v20, v21 offset0:80 offset1:84
	ds_store_2addr_b32 v25, v22, v23 offset0:88 offset1:92
	ds_store_2addr_b32 v25, v24, v26 offset0:96 offset1:100
	ds_store_2addr_b32 v25, v27, v28 offset0:104 offset1:108
	ds_store_2addr_b32 v25, v29, v30 offset0:112 offset1:116
	ds_store_2addr_b32 v25, v31, v32 offset0:120 offset1:124
.LBB283_2146:
	s_or_b32 exec_lo, exec_lo, s0
	scratch_load_b32 v25, off, s32 offset:320 ; 4-byte Folded Reload
	s_mov_b32 s3, exec_lo
	s_waitcnt vmcnt(0)
	v_cmp_eq_u32_e32 vcc_lo, 0, v25
	scratch_load_b32 v25, off, s32 offset:1176 ; 4-byte Folded Reload
	s_waitcnt vmcnt(0) lgkmcnt(0)
	s_barrier
	buffer_gl0_inv
	v_cmpx_gt_u32_e32 64, v25
	s_cbranch_execz .LBB283_2181
; %bb.2147:
	s_and_saveexec_b32 s0, vcc_lo
	s_cbranch_execnz .LBB283_2221
; %bb.2148:
	s_or_b32 exec_lo, exec_lo, s0
	s_and_saveexec_b32 s0, vcc_lo
	s_cbranch_execnz .LBB283_2222
.LBB283_2149:
	s_or_b32 exec_lo, exec_lo, s0
	s_and_saveexec_b32 s0, vcc_lo
	s_cbranch_execnz .LBB283_2223
.LBB283_2150:
	s_or_b32 exec_lo, exec_lo, s0
	s_and_saveexec_b32 s0, vcc_lo
	s_cbranch_execnz .LBB283_2224
.LBB283_2151:
	s_or_b32 exec_lo, exec_lo, s0
	s_and_saveexec_b32 s0, vcc_lo
	s_cbranch_execnz .LBB283_2225
.LBB283_2152:
	s_or_b32 exec_lo, exec_lo, s0
	s_and_saveexec_b32 s0, vcc_lo
	s_cbranch_execnz .LBB283_2226
.LBB283_2153:
	s_or_b32 exec_lo, exec_lo, s0
	s_and_saveexec_b32 s0, vcc_lo
	s_cbranch_execnz .LBB283_2227
.LBB283_2154:
	s_or_b32 exec_lo, exec_lo, s0
	s_and_saveexec_b32 s0, vcc_lo
	s_cbranch_execnz .LBB283_2228
.LBB283_2155:
	s_or_b32 exec_lo, exec_lo, s0
	s_and_saveexec_b32 s0, vcc_lo
	s_cbranch_execnz .LBB283_2229
.LBB283_2156:
	s_or_b32 exec_lo, exec_lo, s0
	s_and_saveexec_b32 s0, vcc_lo
	s_cbranch_execnz .LBB283_2230
.LBB283_2157:
	s_or_b32 exec_lo, exec_lo, s0
	s_and_saveexec_b32 s0, vcc_lo
	s_cbranch_execnz .LBB283_2231
.LBB283_2158:
	s_or_b32 exec_lo, exec_lo, s0
	s_and_saveexec_b32 s0, vcc_lo
	s_cbranch_execnz .LBB283_2232
.LBB283_2159:
	s_or_b32 exec_lo, exec_lo, s0
	s_and_saveexec_b32 s0, vcc_lo
	s_cbranch_execnz .LBB283_2233
.LBB283_2160:
	s_or_b32 exec_lo, exec_lo, s0
	s_and_saveexec_b32 s0, vcc_lo
	s_cbranch_execnz .LBB283_2234
.LBB283_2161:
	s_or_b32 exec_lo, exec_lo, s0
	s_and_saveexec_b32 s0, vcc_lo
	s_cbranch_execnz .LBB283_2235
.LBB283_2162:
	s_or_b32 exec_lo, exec_lo, s0
	s_and_saveexec_b32 s0, vcc_lo
	s_cbranch_execnz .LBB283_2236
.LBB283_2163:
	s_or_b32 exec_lo, exec_lo, s0
	s_and_saveexec_b32 s0, vcc_lo
	s_cbranch_execnz .LBB283_2237
.LBB283_2164:
	s_or_b32 exec_lo, exec_lo, s0
	s_and_saveexec_b32 s0, vcc_lo
	s_cbranch_execnz .LBB283_2238
.LBB283_2165:
	s_or_b32 exec_lo, exec_lo, s0
	s_and_saveexec_b32 s0, vcc_lo
	s_cbranch_execnz .LBB283_2239
.LBB283_2166:
	s_or_b32 exec_lo, exec_lo, s0
	s_and_saveexec_b32 s0, vcc_lo
	s_cbranch_execnz .LBB283_2240
.LBB283_2167:
	s_or_b32 exec_lo, exec_lo, s0
	s_and_saveexec_b32 s0, vcc_lo
	s_cbranch_execnz .LBB283_2241
.LBB283_2168:
	s_or_b32 exec_lo, exec_lo, s0
	s_and_saveexec_b32 s0, vcc_lo
	s_cbranch_execnz .LBB283_2242
.LBB283_2169:
	s_or_b32 exec_lo, exec_lo, s0
	s_and_saveexec_b32 s0, vcc_lo
	s_cbranch_execnz .LBB283_2243
.LBB283_2170:
	s_or_b32 exec_lo, exec_lo, s0
	s_and_saveexec_b32 s0, vcc_lo
	s_cbranch_execnz .LBB283_2244
.LBB283_2171:
	s_or_b32 exec_lo, exec_lo, s0
	s_and_saveexec_b32 s0, vcc_lo
	s_cbranch_execnz .LBB283_2245
.LBB283_2172:
	s_or_b32 exec_lo, exec_lo, s0
	s_and_saveexec_b32 s0, vcc_lo
	s_cbranch_execnz .LBB283_2246
.LBB283_2173:
	s_or_b32 exec_lo, exec_lo, s0
	s_and_saveexec_b32 s0, vcc_lo
	s_cbranch_execnz .LBB283_2247
.LBB283_2174:
	s_or_b32 exec_lo, exec_lo, s0
	s_and_saveexec_b32 s0, vcc_lo
	s_cbranch_execnz .LBB283_2248
.LBB283_2175:
	s_or_b32 exec_lo, exec_lo, s0
	s_and_saveexec_b32 s0, vcc_lo
	s_cbranch_execnz .LBB283_2249
.LBB283_2176:
	s_or_b32 exec_lo, exec_lo, s0
	s_and_saveexec_b32 s0, vcc_lo
	s_cbranch_execnz .LBB283_2250
.LBB283_2177:
	s_or_b32 exec_lo, exec_lo, s0
	s_and_saveexec_b32 s0, vcc_lo
	s_cbranch_execnz .LBB283_2251
.LBB283_2178:
	s_or_b32 exec_lo, exec_lo, s0
	s_and_saveexec_b32 s0, vcc_lo
	s_cbranch_execz .LBB283_2180
.LBB283_2179:
	v_lshl_add_u32 v25, v82, 2, v33
	ds_load_b32 v25, v25 offset:496
	s_waitcnt lgkmcnt(0)
	v_add_f32_e32 v32, v25, v32
.LBB283_2180:
	s_or_b32 exec_lo, exec_lo, s0
.LBB283_2181:
	s_delay_alu instid0(SALU_CYCLE_1)
	s_or_b32 exec_lo, exec_lo, s3
	scratch_load_b32 v25, off, s32 offset:1176 ; 4-byte Folded Reload
	s_mov_b32 s3, exec_lo
	s_waitcnt vmcnt(0)
	s_barrier
	buffer_gl0_inv
	v_and_b32_e32 v25, 0x3e7, v25
	s_delay_alu instid0(VALU_DEP_1)
	v_cmpx_eq_u32_e32 32, v25
	s_cbranch_execz .LBB283_2183
; %bb.2182:
	v_lshl_add_u32 v34, v82, 2, v83
	ds_store_2addr_b32 v34, v0, v1 offset1:4
	ds_store_2addr_b32 v34, v2, v3 offset0:8 offset1:12
	ds_store_2addr_b32 v34, v4, v5 offset0:16 offset1:20
	;; [unrolled: 1-line block ×15, first 2 shown]
.LBB283_2183:
	s_or_b32 exec_lo, exec_lo, s3
	scratch_load_b32 v34, off, s32 offset:1176 ; 4-byte Folded Reload
	s_mov_b32 s3, exec_lo
	s_waitcnt vmcnt(0) lgkmcnt(0)
	s_barrier
	buffer_gl0_inv
	v_cmpx_gt_u32_e32 32, v34
	s_cbranch_execz .LBB283_2218
; %bb.2184:
	v_lshl_add_u32 v33, v82, 2, v33
	s_and_saveexec_b32 s0, vcc_lo
	s_cbranch_execnz .LBB283_2252
; %bb.2185:
	s_or_b32 exec_lo, exec_lo, s0
	s_and_saveexec_b32 s0, vcc_lo
	s_cbranch_execnz .LBB283_2253
.LBB283_2186:
	s_or_b32 exec_lo, exec_lo, s0
	s_and_saveexec_b32 s0, vcc_lo
	s_cbranch_execnz .LBB283_2254
.LBB283_2187:
	s_or_b32 exec_lo, exec_lo, s0
	s_and_saveexec_b32 s0, vcc_lo
	s_cbranch_execnz .LBB283_2255
.LBB283_2188:
	s_or_b32 exec_lo, exec_lo, s0
	s_and_saveexec_b32 s0, vcc_lo
	s_cbranch_execnz .LBB283_2256
.LBB283_2189:
	s_or_b32 exec_lo, exec_lo, s0
	s_and_saveexec_b32 s0, vcc_lo
	s_cbranch_execnz .LBB283_2257
.LBB283_2190:
	s_or_b32 exec_lo, exec_lo, s0
	s_and_saveexec_b32 s0, vcc_lo
	s_cbranch_execnz .LBB283_2258
.LBB283_2191:
	s_or_b32 exec_lo, exec_lo, s0
	s_and_saveexec_b32 s0, vcc_lo
	s_cbranch_execnz .LBB283_2259
.LBB283_2192:
	s_or_b32 exec_lo, exec_lo, s0
	s_and_saveexec_b32 s0, vcc_lo
	s_cbranch_execnz .LBB283_2260
.LBB283_2193:
	s_or_b32 exec_lo, exec_lo, s0
	s_and_saveexec_b32 s0, vcc_lo
	s_cbranch_execnz .LBB283_2261
.LBB283_2194:
	s_or_b32 exec_lo, exec_lo, s0
	s_and_saveexec_b32 s0, vcc_lo
	s_cbranch_execnz .LBB283_2262
.LBB283_2195:
	s_or_b32 exec_lo, exec_lo, s0
	s_and_saveexec_b32 s0, vcc_lo
	s_cbranch_execnz .LBB283_2263
.LBB283_2196:
	s_or_b32 exec_lo, exec_lo, s0
	s_and_saveexec_b32 s0, vcc_lo
	s_cbranch_execnz .LBB283_2264
.LBB283_2197:
	s_or_b32 exec_lo, exec_lo, s0
	s_and_saveexec_b32 s0, vcc_lo
	s_cbranch_execnz .LBB283_2265
.LBB283_2198:
	s_or_b32 exec_lo, exec_lo, s0
	s_and_saveexec_b32 s0, vcc_lo
	s_cbranch_execnz .LBB283_2266
.LBB283_2199:
	s_or_b32 exec_lo, exec_lo, s0
	s_and_saveexec_b32 s0, vcc_lo
	s_cbranch_execnz .LBB283_2267
.LBB283_2200:
	s_or_b32 exec_lo, exec_lo, s0
	s_and_saveexec_b32 s0, vcc_lo
	s_cbranch_execnz .LBB283_2268
.LBB283_2201:
	s_or_b32 exec_lo, exec_lo, s0
	s_and_saveexec_b32 s0, vcc_lo
	s_cbranch_execnz .LBB283_2269
.LBB283_2202:
	s_or_b32 exec_lo, exec_lo, s0
	s_and_saveexec_b32 s0, vcc_lo
	s_cbranch_execnz .LBB283_2270
.LBB283_2203:
	s_or_b32 exec_lo, exec_lo, s0
	s_and_saveexec_b32 s0, vcc_lo
	s_cbranch_execnz .LBB283_2271
.LBB283_2204:
	s_or_b32 exec_lo, exec_lo, s0
	s_and_saveexec_b32 s0, vcc_lo
	s_cbranch_execnz .LBB283_2272
.LBB283_2205:
	s_or_b32 exec_lo, exec_lo, s0
	s_and_saveexec_b32 s0, vcc_lo
	s_cbranch_execnz .LBB283_2273
.LBB283_2206:
	s_or_b32 exec_lo, exec_lo, s0
	s_and_saveexec_b32 s0, vcc_lo
	s_cbranch_execnz .LBB283_2274
.LBB283_2207:
	s_or_b32 exec_lo, exec_lo, s0
	s_and_saveexec_b32 s0, vcc_lo
	s_cbranch_execnz .LBB283_2275
.LBB283_2208:
	s_or_b32 exec_lo, exec_lo, s0
	s_and_saveexec_b32 s0, vcc_lo
	s_cbranch_execnz .LBB283_2276
.LBB283_2209:
	s_or_b32 exec_lo, exec_lo, s0
	s_and_saveexec_b32 s0, vcc_lo
	s_cbranch_execnz .LBB283_2277
.LBB283_2210:
	s_or_b32 exec_lo, exec_lo, s0
	s_and_saveexec_b32 s0, vcc_lo
	s_cbranch_execnz .LBB283_2278
.LBB283_2211:
	s_or_b32 exec_lo, exec_lo, s0
	s_and_saveexec_b32 s0, vcc_lo
	s_cbranch_execnz .LBB283_2279
.LBB283_2212:
	s_or_b32 exec_lo, exec_lo, s0
	s_and_saveexec_b32 s0, vcc_lo
	s_cbranch_execnz .LBB283_2280
.LBB283_2213:
	s_or_b32 exec_lo, exec_lo, s0
	s_and_saveexec_b32 s0, vcc_lo
	s_cbranch_execnz .LBB283_2281
.LBB283_2214:
	s_or_b32 exec_lo, exec_lo, s0
	s_and_saveexec_b32 s0, vcc_lo
	s_cbranch_execnz .LBB283_2282
.LBB283_2215:
	s_or_b32 exec_lo, exec_lo, s0
	s_and_saveexec_b32 s0, vcc_lo
	s_cbranch_execz .LBB283_2217
.LBB283_2216:
	ds_load_b32 v33, v33 offset:496
	s_waitcnt lgkmcnt(0)
	v_add_f32_e32 v32, v33, v32
.LBB283_2217:
	s_or_b32 exec_lo, exec_lo, s0
.LBB283_2218:
	s_delay_alu instid0(SALU_CYCLE_1)
	s_or_b32 exec_lo, exec_lo, s3
	v_cmp_eq_u32_e32 vcc_lo, 0, v25
	s_barrier
	buffer_gl0_inv
	s_and_b32 exec_lo, exec_lo, vcc_lo
	s_cbranch_execz .LBB283_2220
; %bb.2219:
	s_clause 0x2
	scratch_load_b32 v25, off, s32 offset:1176
	scratch_load_b32 v34, off, s32 offset:1188
	scratch_load_b32 v33, off, s32 offset:1192
	s_lshl_b32 s0, s2, 7
	s_mul_i32 s2, s4, s1
	s_lshl_b32 s4, s14, 7
	s_ashr_i32 s3, s2, 31
	s_ashr_i32 s5, s4, 31
	;; [unrolled: 1-line block ×3, first 2 shown]
	s_lshl_b64 s[2:3], s[2:3], 2
	s_lshl_b64 s[4:5], s[4:5], 2
	;; [unrolled: 1-line block ×3, first 2 shown]
	s_add_u32 s2, s4, s2
	s_addc_u32 s3, s5, s3
	s_add_u32 s0, s2, s0
	s_addc_u32 s1, s3, s1
	s_waitcnt vmcnt(2)
	v_lshrrev_b32_e32 v25, 1, v25
	s_waitcnt vmcnt(0)
	v_add_co_u32 v33, vcc_lo, s0, v33
	v_add_co_ci_u32_e32 v34, vcc_lo, s1, v34, vcc_lo
	s_delay_alu instid0(VALU_DEP_2) | instskip(NEXT) | instid1(VALU_DEP_2)
	v_add_co_u32 v33, vcc_lo, v33, v25
	v_add_co_ci_u32_e32 v34, vcc_lo, 0, v34, vcc_lo
	s_clause 0x1f
	flat_store_b32 v[33:34], v0
	flat_store_b32 v[33:34], v1 offset:16
	flat_store_b32 v[33:34], v2 offset:32
	;; [unrolled: 1-line block ×31, first 2 shown]
.LBB283_2220:
	s_or_b32 exec_lo, exec_lo, s16
	s_clause 0x1f
	scratch_load_b32 v191, off, s32
	scratch_load_b32 v190, off, s32 offset:4
	scratch_load_b32 v189, off, s32 offset:8
	;; [unrolled: 1-line block ×31, first 2 shown]
	s_clause 0x1f
	scratch_load_b32 v127, off, s32 offset:128
	scratch_load_b32 v126, off, s32 offset:132
	;; [unrolled: 1-line block ×32, first 2 shown]
	s_clause 0xf
	scratch_load_b32 v63, off, s32 offset:256
	scratch_load_b32 v62, off, s32 offset:260
	;; [unrolled: 1-line block ×16, first 2 shown]
	s_waitcnt vmcnt(0) lgkmcnt(0)
	s_setpc_b64 s[30:31]
.LBB283_2221:
	v_lshl_add_u32 v25, v82, 2, v33
	ds_load_b32 v25, v25
	s_waitcnt lgkmcnt(0)
	v_add_f32_e32 v0, v25, v0
	s_or_b32 exec_lo, exec_lo, s0
	s_and_saveexec_b32 s0, vcc_lo
	s_cbranch_execz .LBB283_2149
.LBB283_2222:
	v_lshl_add_u32 v25, v82, 2, v33
	ds_load_b32 v25, v25 offset:16
	s_waitcnt lgkmcnt(0)
	v_add_f32_e32 v1, v25, v1
	s_or_b32 exec_lo, exec_lo, s0
	s_and_saveexec_b32 s0, vcc_lo
	s_cbranch_execz .LBB283_2150
.LBB283_2223:
	v_lshl_add_u32 v25, v82, 2, v33
	ds_load_b32 v25, v25 offset:32
	s_waitcnt lgkmcnt(0)
	v_add_f32_e32 v2, v25, v2
	s_or_b32 exec_lo, exec_lo, s0
	s_and_saveexec_b32 s0, vcc_lo
	s_cbranch_execz .LBB283_2151
.LBB283_2224:
	v_lshl_add_u32 v25, v82, 2, v33
	ds_load_b32 v25, v25 offset:48
	s_waitcnt lgkmcnt(0)
	v_add_f32_e32 v3, v25, v3
	s_or_b32 exec_lo, exec_lo, s0
	s_and_saveexec_b32 s0, vcc_lo
	s_cbranch_execz .LBB283_2152
.LBB283_2225:
	v_lshl_add_u32 v25, v82, 2, v33
	ds_load_b32 v25, v25 offset:64
	s_waitcnt lgkmcnt(0)
	v_add_f32_e32 v4, v25, v4
	s_or_b32 exec_lo, exec_lo, s0
	s_and_saveexec_b32 s0, vcc_lo
	s_cbranch_execz .LBB283_2153
.LBB283_2226:
	v_lshl_add_u32 v25, v82, 2, v33
	ds_load_b32 v25, v25 offset:80
	s_waitcnt lgkmcnt(0)
	v_add_f32_e32 v5, v25, v5
	s_or_b32 exec_lo, exec_lo, s0
	s_and_saveexec_b32 s0, vcc_lo
	s_cbranch_execz .LBB283_2154
.LBB283_2227:
	v_lshl_add_u32 v25, v82, 2, v33
	ds_load_b32 v25, v25 offset:96
	s_waitcnt lgkmcnt(0)
	v_add_f32_e32 v6, v25, v6
	s_or_b32 exec_lo, exec_lo, s0
	s_and_saveexec_b32 s0, vcc_lo
	s_cbranch_execz .LBB283_2155
.LBB283_2228:
	v_lshl_add_u32 v25, v82, 2, v33
	ds_load_b32 v25, v25 offset:112
	s_waitcnt lgkmcnt(0)
	v_add_f32_e32 v7, v25, v7
	s_or_b32 exec_lo, exec_lo, s0
	s_and_saveexec_b32 s0, vcc_lo
	s_cbranch_execz .LBB283_2156
.LBB283_2229:
	v_lshl_add_u32 v25, v82, 2, v33
	ds_load_b32 v25, v25 offset:128
	s_waitcnt lgkmcnt(0)
	v_add_f32_e32 v8, v25, v8
	s_or_b32 exec_lo, exec_lo, s0
	s_and_saveexec_b32 s0, vcc_lo
	s_cbranch_execz .LBB283_2157
.LBB283_2230:
	v_lshl_add_u32 v25, v82, 2, v33
	ds_load_b32 v25, v25 offset:144
	s_waitcnt lgkmcnt(0)
	v_add_f32_e32 v9, v25, v9
	s_or_b32 exec_lo, exec_lo, s0
	s_and_saveexec_b32 s0, vcc_lo
	s_cbranch_execz .LBB283_2158
.LBB283_2231:
	v_lshl_add_u32 v25, v82, 2, v33
	ds_load_b32 v25, v25 offset:160
	s_waitcnt lgkmcnt(0)
	v_add_f32_e32 v10, v25, v10
	s_or_b32 exec_lo, exec_lo, s0
	s_and_saveexec_b32 s0, vcc_lo
	s_cbranch_execz .LBB283_2159
.LBB283_2232:
	v_lshl_add_u32 v25, v82, 2, v33
	ds_load_b32 v25, v25 offset:176
	s_waitcnt lgkmcnt(0)
	v_add_f32_e32 v11, v25, v11
	s_or_b32 exec_lo, exec_lo, s0
	s_and_saveexec_b32 s0, vcc_lo
	s_cbranch_execz .LBB283_2160
.LBB283_2233:
	v_lshl_add_u32 v25, v82, 2, v33
	ds_load_b32 v25, v25 offset:192
	s_waitcnt lgkmcnt(0)
	v_add_f32_e32 v12, v25, v12
	s_or_b32 exec_lo, exec_lo, s0
	s_and_saveexec_b32 s0, vcc_lo
	s_cbranch_execz .LBB283_2161
.LBB283_2234:
	v_lshl_add_u32 v25, v82, 2, v33
	ds_load_b32 v25, v25 offset:208
	s_waitcnt lgkmcnt(0)
	v_add_f32_e32 v13, v25, v13
	s_or_b32 exec_lo, exec_lo, s0
	s_and_saveexec_b32 s0, vcc_lo
	s_cbranch_execz .LBB283_2162
.LBB283_2235:
	v_lshl_add_u32 v25, v82, 2, v33
	ds_load_b32 v25, v25 offset:224
	s_waitcnt lgkmcnt(0)
	v_add_f32_e32 v14, v25, v14
	s_or_b32 exec_lo, exec_lo, s0
	s_and_saveexec_b32 s0, vcc_lo
	s_cbranch_execz .LBB283_2163
.LBB283_2236:
	v_lshl_add_u32 v25, v82, 2, v33
	ds_load_b32 v25, v25 offset:240
	s_waitcnt lgkmcnt(0)
	v_add_f32_e32 v15, v25, v15
	s_or_b32 exec_lo, exec_lo, s0
	s_and_saveexec_b32 s0, vcc_lo
	s_cbranch_execz .LBB283_2164
.LBB283_2237:
	v_lshl_add_u32 v25, v82, 2, v33
	ds_load_b32 v25, v25 offset:256
	s_waitcnt lgkmcnt(0)
	v_add_f32_e32 v16, v25, v16
	s_or_b32 exec_lo, exec_lo, s0
	s_and_saveexec_b32 s0, vcc_lo
	s_cbranch_execz .LBB283_2165
.LBB283_2238:
	v_lshl_add_u32 v25, v82, 2, v33
	ds_load_b32 v25, v25 offset:272
	s_waitcnt lgkmcnt(0)
	v_add_f32_e32 v17, v25, v17
	s_or_b32 exec_lo, exec_lo, s0
	s_and_saveexec_b32 s0, vcc_lo
	s_cbranch_execz .LBB283_2166
.LBB283_2239:
	v_lshl_add_u32 v25, v82, 2, v33
	ds_load_b32 v25, v25 offset:288
	s_waitcnt lgkmcnt(0)
	v_add_f32_e32 v18, v25, v18
	s_or_b32 exec_lo, exec_lo, s0
	s_and_saveexec_b32 s0, vcc_lo
	s_cbranch_execz .LBB283_2167
.LBB283_2240:
	v_lshl_add_u32 v25, v82, 2, v33
	ds_load_b32 v25, v25 offset:304
	s_waitcnt lgkmcnt(0)
	v_add_f32_e32 v19, v25, v19
	s_or_b32 exec_lo, exec_lo, s0
	s_and_saveexec_b32 s0, vcc_lo
	s_cbranch_execz .LBB283_2168
.LBB283_2241:
	v_lshl_add_u32 v25, v82, 2, v33
	ds_load_b32 v25, v25 offset:320
	s_waitcnt lgkmcnt(0)
	v_add_f32_e32 v20, v25, v20
	s_or_b32 exec_lo, exec_lo, s0
	s_and_saveexec_b32 s0, vcc_lo
	s_cbranch_execz .LBB283_2169
.LBB283_2242:
	v_lshl_add_u32 v25, v82, 2, v33
	ds_load_b32 v25, v25 offset:336
	s_waitcnt lgkmcnt(0)
	v_add_f32_e32 v21, v25, v21
	s_or_b32 exec_lo, exec_lo, s0
	s_and_saveexec_b32 s0, vcc_lo
	s_cbranch_execz .LBB283_2170
.LBB283_2243:
	v_lshl_add_u32 v25, v82, 2, v33
	ds_load_b32 v25, v25 offset:352
	s_waitcnt lgkmcnt(0)
	v_add_f32_e32 v22, v25, v22
	s_or_b32 exec_lo, exec_lo, s0
	s_and_saveexec_b32 s0, vcc_lo
	s_cbranch_execz .LBB283_2171
.LBB283_2244:
	v_lshl_add_u32 v25, v82, 2, v33
	ds_load_b32 v25, v25 offset:368
	s_waitcnt lgkmcnt(0)
	v_add_f32_e32 v23, v25, v23
	s_or_b32 exec_lo, exec_lo, s0
	s_and_saveexec_b32 s0, vcc_lo
	s_cbranch_execz .LBB283_2172
.LBB283_2245:
	v_lshl_add_u32 v25, v82, 2, v33
	ds_load_b32 v25, v25 offset:384
	s_waitcnt lgkmcnt(0)
	v_add_f32_e32 v24, v25, v24
	s_or_b32 exec_lo, exec_lo, s0
	s_and_saveexec_b32 s0, vcc_lo
	s_cbranch_execz .LBB283_2173
.LBB283_2246:
	v_lshl_add_u32 v25, v82, 2, v33
	ds_load_b32 v25, v25 offset:400
	s_waitcnt lgkmcnt(0)
	v_add_f32_e32 v26, v25, v26
	s_or_b32 exec_lo, exec_lo, s0
	s_and_saveexec_b32 s0, vcc_lo
	s_cbranch_execz .LBB283_2174
.LBB283_2247:
	v_lshl_add_u32 v25, v82, 2, v33
	ds_load_b32 v25, v25 offset:416
	s_waitcnt lgkmcnt(0)
	v_add_f32_e32 v27, v25, v27
	s_or_b32 exec_lo, exec_lo, s0
	s_and_saveexec_b32 s0, vcc_lo
	s_cbranch_execz .LBB283_2175
.LBB283_2248:
	v_lshl_add_u32 v25, v82, 2, v33
	ds_load_b32 v25, v25 offset:432
	s_waitcnt lgkmcnt(0)
	v_add_f32_e32 v28, v25, v28
	s_or_b32 exec_lo, exec_lo, s0
	s_and_saveexec_b32 s0, vcc_lo
	s_cbranch_execz .LBB283_2176
.LBB283_2249:
	v_lshl_add_u32 v25, v82, 2, v33
	ds_load_b32 v25, v25 offset:448
	s_waitcnt lgkmcnt(0)
	v_add_f32_e32 v29, v25, v29
	s_or_b32 exec_lo, exec_lo, s0
	s_and_saveexec_b32 s0, vcc_lo
	s_cbranch_execz .LBB283_2177
.LBB283_2250:
	v_lshl_add_u32 v25, v82, 2, v33
	ds_load_b32 v25, v25 offset:464
	s_waitcnt lgkmcnt(0)
	v_add_f32_e32 v30, v25, v30
	s_or_b32 exec_lo, exec_lo, s0
	s_and_saveexec_b32 s0, vcc_lo
	s_cbranch_execz .LBB283_2178
.LBB283_2251:
	v_lshl_add_u32 v25, v82, 2, v33
	ds_load_b32 v25, v25 offset:480
	s_waitcnt lgkmcnt(0)
	v_add_f32_e32 v31, v25, v31
	s_or_b32 exec_lo, exec_lo, s0
	s_and_saveexec_b32 s0, vcc_lo
	s_cbranch_execnz .LBB283_2179
	s_branch .LBB283_2180
.LBB283_2252:
	ds_load_b32 v34, v33
	s_waitcnt lgkmcnt(0)
	v_add_f32_e32 v0, v34, v0
	s_or_b32 exec_lo, exec_lo, s0
	s_and_saveexec_b32 s0, vcc_lo
	s_cbranch_execz .LBB283_2186
.LBB283_2253:
	ds_load_b32 v34, v33 offset:16
	s_waitcnt lgkmcnt(0)
	v_add_f32_e32 v1, v34, v1
	s_or_b32 exec_lo, exec_lo, s0
	s_and_saveexec_b32 s0, vcc_lo
	s_cbranch_execz .LBB283_2187
.LBB283_2254:
	ds_load_b32 v34, v33 offset:32
	s_waitcnt lgkmcnt(0)
	v_add_f32_e32 v2, v34, v2
	s_or_b32 exec_lo, exec_lo, s0
	s_and_saveexec_b32 s0, vcc_lo
	s_cbranch_execz .LBB283_2188
.LBB283_2255:
	ds_load_b32 v34, v33 offset:48
	s_waitcnt lgkmcnt(0)
	v_add_f32_e32 v3, v34, v3
	s_or_b32 exec_lo, exec_lo, s0
	s_and_saveexec_b32 s0, vcc_lo
	s_cbranch_execz .LBB283_2189
.LBB283_2256:
	ds_load_b32 v34, v33 offset:64
	s_waitcnt lgkmcnt(0)
	v_add_f32_e32 v4, v34, v4
	s_or_b32 exec_lo, exec_lo, s0
	s_and_saveexec_b32 s0, vcc_lo
	s_cbranch_execz .LBB283_2190
.LBB283_2257:
	ds_load_b32 v34, v33 offset:80
	s_waitcnt lgkmcnt(0)
	v_add_f32_e32 v5, v34, v5
	s_or_b32 exec_lo, exec_lo, s0
	s_and_saveexec_b32 s0, vcc_lo
	s_cbranch_execz .LBB283_2191
.LBB283_2258:
	ds_load_b32 v34, v33 offset:96
	s_waitcnt lgkmcnt(0)
	v_add_f32_e32 v6, v34, v6
	s_or_b32 exec_lo, exec_lo, s0
	s_and_saveexec_b32 s0, vcc_lo
	s_cbranch_execz .LBB283_2192
.LBB283_2259:
	ds_load_b32 v34, v33 offset:112
	s_waitcnt lgkmcnt(0)
	v_add_f32_e32 v7, v34, v7
	s_or_b32 exec_lo, exec_lo, s0
	s_and_saveexec_b32 s0, vcc_lo
	s_cbranch_execz .LBB283_2193
.LBB283_2260:
	ds_load_b32 v34, v33 offset:128
	s_waitcnt lgkmcnt(0)
	v_add_f32_e32 v8, v34, v8
	s_or_b32 exec_lo, exec_lo, s0
	s_and_saveexec_b32 s0, vcc_lo
	s_cbranch_execz .LBB283_2194
.LBB283_2261:
	ds_load_b32 v34, v33 offset:144
	s_waitcnt lgkmcnt(0)
	v_add_f32_e32 v9, v34, v9
	s_or_b32 exec_lo, exec_lo, s0
	s_and_saveexec_b32 s0, vcc_lo
	s_cbranch_execz .LBB283_2195
.LBB283_2262:
	ds_load_b32 v34, v33 offset:160
	s_waitcnt lgkmcnt(0)
	v_add_f32_e32 v10, v34, v10
	s_or_b32 exec_lo, exec_lo, s0
	s_and_saveexec_b32 s0, vcc_lo
	s_cbranch_execz .LBB283_2196
.LBB283_2263:
	ds_load_b32 v34, v33 offset:176
	s_waitcnt lgkmcnt(0)
	v_add_f32_e32 v11, v34, v11
	s_or_b32 exec_lo, exec_lo, s0
	s_and_saveexec_b32 s0, vcc_lo
	s_cbranch_execz .LBB283_2197
.LBB283_2264:
	ds_load_b32 v34, v33 offset:192
	s_waitcnt lgkmcnt(0)
	v_add_f32_e32 v12, v34, v12
	s_or_b32 exec_lo, exec_lo, s0
	s_and_saveexec_b32 s0, vcc_lo
	s_cbranch_execz .LBB283_2198
.LBB283_2265:
	ds_load_b32 v34, v33 offset:208
	s_waitcnt lgkmcnt(0)
	v_add_f32_e32 v13, v34, v13
	s_or_b32 exec_lo, exec_lo, s0
	s_and_saveexec_b32 s0, vcc_lo
	s_cbranch_execz .LBB283_2199
.LBB283_2266:
	ds_load_b32 v34, v33 offset:224
	s_waitcnt lgkmcnt(0)
	v_add_f32_e32 v14, v34, v14
	s_or_b32 exec_lo, exec_lo, s0
	s_and_saveexec_b32 s0, vcc_lo
	s_cbranch_execz .LBB283_2200
.LBB283_2267:
	ds_load_b32 v34, v33 offset:240
	s_waitcnt lgkmcnt(0)
	v_add_f32_e32 v15, v34, v15
	s_or_b32 exec_lo, exec_lo, s0
	s_and_saveexec_b32 s0, vcc_lo
	s_cbranch_execz .LBB283_2201
.LBB283_2268:
	ds_load_b32 v34, v33 offset:256
	s_waitcnt lgkmcnt(0)
	v_add_f32_e32 v16, v34, v16
	s_or_b32 exec_lo, exec_lo, s0
	s_and_saveexec_b32 s0, vcc_lo
	s_cbranch_execz .LBB283_2202
.LBB283_2269:
	ds_load_b32 v34, v33 offset:272
	s_waitcnt lgkmcnt(0)
	v_add_f32_e32 v17, v34, v17
	s_or_b32 exec_lo, exec_lo, s0
	s_and_saveexec_b32 s0, vcc_lo
	s_cbranch_execz .LBB283_2203
.LBB283_2270:
	ds_load_b32 v34, v33 offset:288
	s_waitcnt lgkmcnt(0)
	v_add_f32_e32 v18, v34, v18
	s_or_b32 exec_lo, exec_lo, s0
	s_and_saveexec_b32 s0, vcc_lo
	s_cbranch_execz .LBB283_2204
.LBB283_2271:
	ds_load_b32 v34, v33 offset:304
	s_waitcnt lgkmcnt(0)
	v_add_f32_e32 v19, v34, v19
	s_or_b32 exec_lo, exec_lo, s0
	s_and_saveexec_b32 s0, vcc_lo
	s_cbranch_execz .LBB283_2205
.LBB283_2272:
	ds_load_b32 v34, v33 offset:320
	s_waitcnt lgkmcnt(0)
	v_add_f32_e32 v20, v34, v20
	s_or_b32 exec_lo, exec_lo, s0
	s_and_saveexec_b32 s0, vcc_lo
	s_cbranch_execz .LBB283_2206
.LBB283_2273:
	ds_load_b32 v34, v33 offset:336
	s_waitcnt lgkmcnt(0)
	v_add_f32_e32 v21, v34, v21
	s_or_b32 exec_lo, exec_lo, s0
	s_and_saveexec_b32 s0, vcc_lo
	s_cbranch_execz .LBB283_2207
.LBB283_2274:
	ds_load_b32 v34, v33 offset:352
	s_waitcnt lgkmcnt(0)
	v_add_f32_e32 v22, v34, v22
	s_or_b32 exec_lo, exec_lo, s0
	s_and_saveexec_b32 s0, vcc_lo
	s_cbranch_execz .LBB283_2208
.LBB283_2275:
	ds_load_b32 v34, v33 offset:368
	s_waitcnt lgkmcnt(0)
	v_add_f32_e32 v23, v34, v23
	s_or_b32 exec_lo, exec_lo, s0
	s_and_saveexec_b32 s0, vcc_lo
	s_cbranch_execz .LBB283_2209
.LBB283_2276:
	ds_load_b32 v34, v33 offset:384
	s_waitcnt lgkmcnt(0)
	v_add_f32_e32 v24, v34, v24
	s_or_b32 exec_lo, exec_lo, s0
	s_and_saveexec_b32 s0, vcc_lo
	s_cbranch_execz .LBB283_2210
.LBB283_2277:
	ds_load_b32 v34, v33 offset:400
	s_waitcnt lgkmcnt(0)
	v_add_f32_e32 v26, v34, v26
	s_or_b32 exec_lo, exec_lo, s0
	s_and_saveexec_b32 s0, vcc_lo
	s_cbranch_execz .LBB283_2211
.LBB283_2278:
	ds_load_b32 v34, v33 offset:416
	s_waitcnt lgkmcnt(0)
	v_add_f32_e32 v27, v34, v27
	s_or_b32 exec_lo, exec_lo, s0
	s_and_saveexec_b32 s0, vcc_lo
	s_cbranch_execz .LBB283_2212
.LBB283_2279:
	ds_load_b32 v34, v33 offset:432
	s_waitcnt lgkmcnt(0)
	v_add_f32_e32 v28, v34, v28
	s_or_b32 exec_lo, exec_lo, s0
	s_and_saveexec_b32 s0, vcc_lo
	s_cbranch_execz .LBB283_2213
.LBB283_2280:
	ds_load_b32 v34, v33 offset:448
	s_waitcnt lgkmcnt(0)
	v_add_f32_e32 v29, v34, v29
	s_or_b32 exec_lo, exec_lo, s0
	s_and_saveexec_b32 s0, vcc_lo
	s_cbranch_execz .LBB283_2214
.LBB283_2281:
	ds_load_b32 v34, v33 offset:464
	s_waitcnt lgkmcnt(0)
	v_add_f32_e32 v30, v34, v30
	s_or_b32 exec_lo, exec_lo, s0
	s_and_saveexec_b32 s0, vcc_lo
	s_cbranch_execz .LBB283_2215
.LBB283_2282:
	ds_load_b32 v34, v33 offset:480
	s_waitcnt lgkmcnt(0)
	v_add_f32_e32 v31, v34, v31
	s_or_b32 exec_lo, exec_lo, s0
	s_and_saveexec_b32 s0, vcc_lo
	s_cbranch_execnz .LBB283_2216
	s_branch .LBB283_2217
.Lfunc_end283:
	.size	_ZN4vllm22paged_attention_kernelIfhLi128ELi32ELi128ELNS_18Fp8KVCacheDataTypeE1ELb0ELi512EEEvPfS2_PT_PKS3_PKT0_S9_ifPKiSB_iPKfiiiSD_SD_iiiii, .Lfunc_end283-_ZN4vllm22paged_attention_kernelIfhLi128ELi32ELi128ELNS_18Fp8KVCacheDataTypeE1ELb0ELi512EEEvPfS2_PT_PKS3_PKT0_S9_ifPKiSB_iPKfiiiSD_SD_iiiii
                                        ; -- End function
	.section	.AMDGPU.csdata,"",@progbits
; Function info:
; codeLenInByte = 77604
; NumSgprs: 35
; NumVgprs: 192
; ScratchSize: 1272
; MemoryBound: 0
	.section	.text._ZN4vllm25paged_attention_v2_kernelIfhLi128ELi32ELi128ELNS_18Fp8KVCacheDataTypeE1ELb0ELi512EEEvPfS2_PT_PKS3_PKT0_S9_ifPKiSB_iPKfiiiSD_SD_iiiii,"axG",@progbits,_ZN4vllm25paged_attention_v2_kernelIfhLi128ELi32ELi128ELNS_18Fp8KVCacheDataTypeE1ELb0ELi512EEEvPfS2_PT_PKS3_PKT0_S9_ifPKiSB_iPKfiiiSD_SD_iiiii,comdat
	.protected	_ZN4vllm25paged_attention_v2_kernelIfhLi128ELi32ELi128ELNS_18Fp8KVCacheDataTypeE1ELb0ELi512EEEvPfS2_PT_PKS3_PKT0_S9_ifPKiSB_iPKfiiiSD_SD_iiiii ; -- Begin function _ZN4vllm25paged_attention_v2_kernelIfhLi128ELi32ELi128ELNS_18Fp8KVCacheDataTypeE1ELb0ELi512EEEvPfS2_PT_PKS3_PKT0_S9_ifPKiSB_iPKfiiiSD_SD_iiiii
	.globl	_ZN4vllm25paged_attention_v2_kernelIfhLi128ELi32ELi128ELNS_18Fp8KVCacheDataTypeE1ELb0ELi512EEEvPfS2_PT_PKS3_PKT0_S9_ifPKiSB_iPKfiiiSD_SD_iiiii
	.p2align	8
	.type	_ZN4vllm25paged_attention_v2_kernelIfhLi128ELi32ELi128ELNS_18Fp8KVCacheDataTypeE1ELb0ELi512EEEvPfS2_PT_PKS3_PKT0_S9_ifPKiSB_iPKfiiiSD_SD_iiiii,@function
_ZN4vllm25paged_attention_v2_kernelIfhLi128ELi32ELi128ELNS_18Fp8KVCacheDataTypeE1ELb0ELi512EEEvPfS2_PT_PKS3_PKT0_S9_ifPKiSB_iPKfiiiSD_SD_iiiii: ; @_ZN4vllm25paged_attention_v2_kernelIfhLi128ELi32ELi128ELNS_18Fp8KVCacheDataTypeE1ELb0ELi512EEEvPfS2_PT_PKS3_PKT0_S9_ifPKiSB_iPKfiiiSD_SD_iiiii
; %bb.0:
	s_clause 0x5
	s_load_b256 s[24:31], s[0:1], 0x0
	s_load_b256 s[16:23], s[0:1], 0x20
	s_load_b64 s[2:3], s[0:1], 0x40
	s_load_b64 s[4:5], s[0:1], 0x50
	s_load_b32 s6, s[0:1], 0x48
	s_load_b256 s[36:43], s[0:1], 0x58
	v_mov_b32_e32 v31, v0
	s_add_u32 s8, s0, 0x90
	s_mov_b32 s12, s13
	s_addc_u32 s9, s1, 0
	s_mov_b32 s13, s14
	s_mov_b32 s14, s15
	s_movk_i32 s15, 0x41
	s_mov_b32 s32, 0
	s_getpc_b64 s[0:1]
	s_add_u32 s0, s0, _ZN4vllm22paged_attention_kernelIfhLi128ELi32ELi128ELNS_18Fp8KVCacheDataTypeE1ELb0ELi512EEEvPfS2_PT_PKS3_PKT0_S9_ifPKiSB_iPKfiiiSD_SD_iiiii@rel32@lo+4
	s_addc_u32 s1, s1, _ZN4vllm22paged_attention_kernelIfhLi128ELi32ELi128ELNS_18Fp8KVCacheDataTypeE1ELb0ELi512EEEvPfS2_PT_PKS3_PKT0_S9_ifPKiSB_iPKfiiiSD_SD_iiiii@rel32@hi+12
	s_waitcnt lgkmcnt(0)
	v_dual_mov_b32 v0, s24 :: v_dual_mov_b32 v1, s25
	v_dual_mov_b32 v2, s26 :: v_dual_mov_b32 v3, s27
	;; [unrolled: 1-line block ×14, first 2 shown]
	s_swappc_b64 s[30:31], s[0:1]
	s_endpgm
	.section	.rodata,"a",@progbits
	.p2align	6, 0x0
	.amdhsa_kernel _ZN4vllm25paged_attention_v2_kernelIfhLi128ELi32ELi128ELNS_18Fp8KVCacheDataTypeE1ELb0ELi512EEEvPfS2_PT_PKS3_PKT0_S9_ifPKiSB_iPKfiiiSD_SD_iiiii
		.amdhsa_group_segment_fixed_size 544
		.amdhsa_private_segment_fixed_size 1272
		.amdhsa_kernarg_size 400
		.amdhsa_user_sgpr_count 13
		.amdhsa_user_sgpr_dispatch_ptr 0
		.amdhsa_user_sgpr_queue_ptr 0
		.amdhsa_user_sgpr_kernarg_segment_ptr 1
		.amdhsa_user_sgpr_dispatch_id 0
		.amdhsa_user_sgpr_private_segment_size 0
		.amdhsa_wavefront_size32 1
		.amdhsa_uses_dynamic_stack 0
		.amdhsa_enable_private_segment 1
		.amdhsa_system_sgpr_workgroup_id_x 1
		.amdhsa_system_sgpr_workgroup_id_y 1
		.amdhsa_system_sgpr_workgroup_id_z 1
		.amdhsa_system_sgpr_workgroup_info 0
		.amdhsa_system_vgpr_workitem_id 0
		.amdhsa_next_free_vgpr 192
		.amdhsa_next_free_sgpr 44
		.amdhsa_reserve_vcc 1
		.amdhsa_float_round_mode_32 0
		.amdhsa_float_round_mode_16_64 0
		.amdhsa_float_denorm_mode_32 3
		.amdhsa_float_denorm_mode_16_64 3
		.amdhsa_dx10_clamp 1
		.amdhsa_ieee_mode 1
		.amdhsa_fp16_overflow 0
		.amdhsa_workgroup_processor_mode 1
		.amdhsa_memory_ordered 1
		.amdhsa_forward_progress 0
		.amdhsa_shared_vgpr_count 0
		.amdhsa_exception_fp_ieee_invalid_op 0
		.amdhsa_exception_fp_denorm_src 0
		.amdhsa_exception_fp_ieee_div_zero 0
		.amdhsa_exception_fp_ieee_overflow 0
		.amdhsa_exception_fp_ieee_underflow 0
		.amdhsa_exception_fp_ieee_inexact 0
		.amdhsa_exception_int_div_zero 0
	.end_amdhsa_kernel
	.section	.text._ZN4vllm25paged_attention_v2_kernelIfhLi128ELi32ELi128ELNS_18Fp8KVCacheDataTypeE1ELb0ELi512EEEvPfS2_PT_PKS3_PKT0_S9_ifPKiSB_iPKfiiiSD_SD_iiiii,"axG",@progbits,_ZN4vllm25paged_attention_v2_kernelIfhLi128ELi32ELi128ELNS_18Fp8KVCacheDataTypeE1ELb0ELi512EEEvPfS2_PT_PKS3_PKT0_S9_ifPKiSB_iPKfiiiSD_SD_iiiii,comdat
.Lfunc_end284:
	.size	_ZN4vllm25paged_attention_v2_kernelIfhLi128ELi32ELi128ELNS_18Fp8KVCacheDataTypeE1ELb0ELi512EEEvPfS2_PT_PKS3_PKT0_S9_ifPKiSB_iPKfiiiSD_SD_iiiii, .Lfunc_end284-_ZN4vllm25paged_attention_v2_kernelIfhLi128ELi32ELi128ELNS_18Fp8KVCacheDataTypeE1ELb0ELi512EEEvPfS2_PT_PKS3_PKT0_S9_ifPKiSB_iPKfiiiSD_SD_iiiii
                                        ; -- End function
	.section	.AMDGPU.csdata,"",@progbits
; Kernel info:
; codeLenInByte = 232
; NumSgprs: 46
; NumVgprs: 192
; ScratchSize: 1272
; MemoryBound: 0
; FloatMode: 240
; IeeeMode: 1
; LDSByteSize: 544 bytes/workgroup (compile time only)
; SGPRBlocks: 5
; VGPRBlocks: 23
; NumSGPRsForWavesPerEU: 46
; NumVGPRsForWavesPerEU: 192
; Occupancy: 8
; WaveLimiterHint : 1
; COMPUTE_PGM_RSRC2:SCRATCH_EN: 1
; COMPUTE_PGM_RSRC2:USER_SGPR: 13
; COMPUTE_PGM_RSRC2:TRAP_HANDLER: 0
; COMPUTE_PGM_RSRC2:TGID_X_EN: 1
; COMPUTE_PGM_RSRC2:TGID_Y_EN: 1
; COMPUTE_PGM_RSRC2:TGID_Z_EN: 1
; COMPUTE_PGM_RSRC2:TIDIG_COMP_CNT: 0
	.text
	.p2align	2                               ; -- Begin function _ZN4vllm22paged_attention_kernelIfhLi192ELi32ELi128ELNS_18Fp8KVCacheDataTypeE1ELb0ELi512EEEvPfS2_PT_PKS3_PKT0_S9_ifPKiSB_iPKfiiiSD_SD_iiiii
	.type	_ZN4vllm22paged_attention_kernelIfhLi192ELi32ELi128ELNS_18Fp8KVCacheDataTypeE1ELb0ELi512EEEvPfS2_PT_PKS3_PKT0_S9_ifPKiSB_iPKfiiiSD_SD_iiiii,@function
_ZN4vllm22paged_attention_kernelIfhLi192ELi32ELi128ELNS_18Fp8KVCacheDataTypeE1ELb0ELi512EEEvPfS2_PT_PKS3_PKT0_S9_ifPKiSB_iPKfiiiSD_SD_iiiii: ; @_ZN4vllm22paged_attention_kernelIfhLi192ELi32ELi128ELNS_18Fp8KVCacheDataTypeE1ELb0ELi512EEEvPfS2_PT_PKS3_PKT0_S9_ifPKiSB_iPKfiiiSD_SD_iiiii
; %bb.0:
	s_waitcnt vmcnt(0) expcnt(0) lgkmcnt(0)
	s_clause 0x1f
	scratch_store_b32 off, v40, s32 offset:316
	; meta instruction
	scratch_store_b32 off, v41, s32 offset:312
	; meta instruction
	;; [unrolled: 2-line block ×31, first 2 shown]
	scratch_store_b32 off, v95, s32 offset:192
	s_clause 0x1f
	scratch_store_b32 off, v104, s32 offset:188
	; meta instruction
	scratch_store_b32 off, v105, s32 offset:184
	; meta instruction
	;; [unrolled: 2-line block ×31, first 2 shown]
	scratch_store_b32 off, v159, s32 offset:64
	s_clause 0xf
	scratch_store_b32 off, v168, s32 offset:60
	; meta instruction
	scratch_store_b32 off, v169, s32 offset:56
	; meta instruction
	;; [unrolled: 2-line block ×15, first 2 shown]
	scratch_store_b32 off, v191, s32
	s_mov_b32 s4, s13
	s_ashr_i32 s5, s13, 31
	s_clause 0x9
	scratch_store_b64 off, v[26:27], s32 offset:2212
	scratch_store_b64 off, v[24:25], s32 offset:1400
	scratch_store_b32 off, v22, s32 offset:1160
	scratch_store_b32 off, v15, s32 offset:2204
	;; [unrolled: 1-line block ×8, first 2 shown]
	s_lshl_b64 s[0:1], s[4:5], 2
	s_lshl_b32 s17, s14, 9
	v_add_co_u32 v4, vcc_lo, v16, s0
	v_add_co_ci_u32_e32 v5, vcc_lo, s1, v17, vcc_lo
	s_mov_b32 s5, exec_lo
	flat_load_b32 v55, v[4:5]
	s_waitcnt vmcnt(0) lgkmcnt(0)
	v_cmpx_lt_i32_e64 s17, v55
	s_cbranch_execz .LBB285_3311
; %bb.1:
	s_clause 0x3
	scratch_store_b32 off, v2, s32 offset:2256
	scratch_store_b32 off, v3, s32 offset:2244
	;; [unrolled: 1-line block ×4, first 2 shown]
	v_sub_nc_u32_e32 v0, 0, v12
	s_clause 0x1
	s_load_b32 s0, s[8:9], 0x10
	s_load_b32 s1, s[8:9], 0x0
	s_mov_b32 s10, s15
	v_max_i32_e32 v0, v12, v0
	s_delay_alu instid0(VALU_DEP_1) | instskip(SKIP_1) | instid1(VALU_DEP_2)
	v_cvt_f32_u32_e32 v1, v0
	v_sub_nc_u32_e32 v2, 0, v0
	v_rcp_iflag_f32_e32 v1, v1
	s_waitcnt lgkmcnt(0)
	s_lshr_b32 s0, s0, 16
	s_delay_alu instid0(SALU_CYCLE_1) | instskip(SKIP_3) | instid1(SALU_CYCLE_1)
	s_cmp_lg_u32 s0, 0
	s_waitcnt_depctr 0xfff
	v_mul_f32_e32 v1, 0x4f7ffffe, v1
	s_cselect_b32 s0, -1, 0
	s_cmp_lg_u32 s0, 0
	s_delay_alu instid0(VALU_DEP_1) | instskip(SKIP_3) | instid1(VALU_DEP_1)
	v_cvt_u32_f32_e32 v1, v1
	s_addc_u32 s16, s1, 0
	s_mov_b32 s1, exec_lo
	s_abs_i32 s0, s16
	v_mul_lo_u32 v2, v2, v1
	s_delay_alu instid0(VALU_DEP_1) | instskip(NEXT) | instid1(VALU_DEP_1)
	v_mul_hi_u32 v2, v1, v2
	v_add_nc_u32_e32 v1, v1, v2
	s_delay_alu instid0(VALU_DEP_1) | instskip(NEXT) | instid1(VALU_DEP_1)
	v_mul_hi_u32 v1, s0, v1
	v_mul_lo_u32 v2, v1, v0
	v_add_nc_u32_e32 v3, 1, v1
	s_delay_alu instid0(VALU_DEP_2) | instskip(SKIP_1) | instid1(VALU_DEP_1)
	v_sub_nc_u32_e32 v2, s0, v2
	s_abs_i32 s0, s12
	v_sub_nc_u32_e32 v4, v2, v0
	v_cmp_ge_u32_e32 vcc_lo, v2, v0
	s_delay_alu instid0(VALU_DEP_2) | instskip(SKIP_1) | instid1(VALU_DEP_2)
	v_dual_cndmask_b32 v1, v1, v3 :: v_dual_cndmask_b32 v2, v2, v4
	v_xor_b32_e32 v3, s16, v12
	v_add_nc_u32_e32 v4, 1, v1
	s_delay_alu instid0(VALU_DEP_3) | instskip(NEXT) | instid1(VALU_DEP_3)
	v_cmp_ge_u32_e32 vcc_lo, v2, v0
	v_ashrrev_i32_e32 v3, 31, v3
	s_delay_alu instid0(VALU_DEP_3) | instskip(NEXT) | instid1(VALU_DEP_1)
	v_cndmask_b32_e32 v0, v1, v4, vcc_lo
	v_xor_b32_e32 v0, v0, v3
	s_delay_alu instid0(VALU_DEP_1) | instskip(NEXT) | instid1(VALU_DEP_1)
	v_sub_nc_u32_e32 v3, v0, v3
	v_sub_nc_u32_e32 v0, 0, v3
	s_delay_alu instid0(VALU_DEP_1) | instskip(NEXT) | instid1(VALU_DEP_1)
	v_max_i32_e32 v2, v3, v0
	v_cvt_f32_u32_e32 v0, v2
	v_sub_nc_u32_e32 v1, 0, v2
	s_delay_alu instid0(VALU_DEP_2) | instskip(SKIP_2) | instid1(VALU_DEP_1)
	v_rcp_iflag_f32_e32 v0, v0
	s_waitcnt_depctr 0xfff
	v_mul_f32_e32 v0, 0x4f7ffffe, v0
	v_cvt_u32_f32_e32 v0, v0
	s_delay_alu instid0(VALU_DEP_1) | instskip(NEXT) | instid1(VALU_DEP_1)
	v_mul_lo_u32 v1, v1, v0
	v_mul_hi_u32 v1, v0, v1
	s_delay_alu instid0(VALU_DEP_1) | instskip(NEXT) | instid1(VALU_DEP_1)
	v_add_nc_u32_e32 v4, v0, v1
	v_mad_u64_u32 v[0:1], null, s0, v4, 0
	v_mov_b32_e32 v0, 0
	scratch_store_b32 off, v0, s32 offset:1412 ; 4-byte Folded Spill
	v_cmpx_ne_u64_e32 0, v[19:20]
	s_cbranch_execz .LBB285_3
; %bb.2:
	s_ashr_i32 s13, s12, 31
	s_delay_alu instid0(SALU_CYCLE_1) | instskip(NEXT) | instid1(SALU_CYCLE_1)
	s_lshl_b64 s[2:3], s[12:13], 2
	v_add_co_u32 v4, vcc_lo, v19, s2
	v_add_co_ci_u32_e32 v5, vcc_lo, s3, v20, vcc_lo
	flat_load_b32 v0, v[4:5]
	s_waitcnt vmcnt(0) lgkmcnt(0)
	scratch_store_b32 off, v0, s32 offset:1412 ; 4-byte Folded Spill
.LBB285_3:
	s_or_b32 exec_lo, exec_lo, s1
	v_and_b32_e32 v11, 0x3ff, v31
	v_ashrrev_i32_e32 v0, 31, v3
	s_ashr_i32 s1, s12, 31
	s_mul_i32 s6, s12, 0xc0
	s_mov_b32 s2, exec_lo
	v_cmpx_gt_u32_e32 48, v11
	s_cbranch_execz .LBB285_5
; %bb.4:
	v_mul_lo_u32 v3, s4, v21
	s_ashr_i32 s7, s6, 31
	v_lshlrev_b32_e32 v10, 4, v11
	s_lshl_b64 s[18:19], s[6:7], 2
	s_delay_alu instid0(VALU_DEP_2) | instskip(NEXT) | instid1(VALU_DEP_1)
	v_ashrrev_i32_e32 v4, 31, v3
	v_lshlrev_b64 v[3:4], 2, v[3:4]
	s_delay_alu instid0(VALU_DEP_1) | instskip(NEXT) | instid1(VALU_DEP_2)
	v_add_co_u32 v3, vcc_lo, v6, v3
	v_add_co_ci_u32_e32 v4, vcc_lo, v7, v4, vcc_lo
	s_delay_alu instid0(VALU_DEP_2) | instskip(NEXT) | instid1(VALU_DEP_2)
	v_add_co_u32 v3, vcc_lo, v3, s18
	v_add_co_ci_u32_e32 v4, vcc_lo, s19, v4, vcc_lo
	s_delay_alu instid0(VALU_DEP_2) | instskip(NEXT) | instid1(VALU_DEP_2)
	v_add_co_u32 v3, vcc_lo, v3, v10
	v_add_co_ci_u32_e32 v4, vcc_lo, 0, v4, vcc_lo
	flat_load_b128 v[3:6], v[3:4]
	s_waitcnt vmcnt(0) lgkmcnt(0)
	ds_store_b128 v10, v[3:6]
.LBB285_5:
	s_or_b32 exec_lo, exec_lo, s2
	v_mul_lo_u32 v3, v1, v2
	v_add_nc_u32_e32 v5, 31, v55
	v_xor_b32_e32 v7, s1, v0
	s_lshl_b32 s13, s14, 4
	v_mul_lo_u32 v0, s4, v18
	s_clause 0x1
	s_load_b32 s15, s[8:9], 0x14
	s_load_b32 s7, s[8:9], 0x8
	s_mov_b32 s18, exec_lo
	v_mov_b32_e32 v29, 0xff7fffff
	v_sub_nc_u32_e32 v3, s0, v3
	s_add_i32 s0, s13, 16
	scratch_store_b32 off, v11, s32 offset:2192 ; 4-byte Folded Spill
	v_sub_nc_u32_e32 v6, v3, v2
	v_cmp_ge_u32_e32 vcc_lo, v3, v2
	s_delay_alu instid0(VALU_DEP_2) | instskip(NEXT) | instid1(VALU_DEP_1)
	v_dual_cndmask_b32 v3, v3, v6 :: v_dual_add_nc_u32 v4, 1, v1
	v_cndmask_b32_e32 v1, v1, v4, vcc_lo
	v_ashrrev_i32_e32 v4, 31, v5
	s_delay_alu instid0(VALU_DEP_3) | instskip(NEXT) | instid1(VALU_DEP_2)
	v_cmp_ge_u32_e32 vcc_lo, v3, v2
	v_lshrrev_b32_e32 v4, 27, v4
	s_delay_alu instid0(VALU_DEP_1) | instskip(SKIP_1) | instid1(VALU_DEP_2)
	v_add_nc_u32_e32 v2, v5, v4
	v_lshrrev_b32_e32 v4, 5, v11
	v_ashrrev_i32_e32 v12, 5, v2
	v_and_b32_e32 v2, 31, v11
	v_add_nc_u32_e32 v6, 1, v1
	s_delay_alu instid0(VALU_DEP_2) | instskip(NEXT) | instid1(VALU_DEP_2)
	v_lshlrev_b32_e32 v15, 2, v2
	v_cndmask_b32_e32 v1, v1, v6, vcc_lo
	s_delay_alu instid0(VALU_DEP_1) | instskip(NEXT) | instid1(VALU_DEP_1)
	v_xor_b32_e32 v1, v1, v7
	v_sub_nc_u32_e32 v3, v1, v7
	v_ashrrev_i32_e32 v1, 31, v0
	s_delay_alu instid0(VALU_DEP_2) | instskip(SKIP_1) | instid1(VALU_DEP_3)
	v_mul_lo_u32 v13, v3, v23
	v_min_i32_e32 v3, s0, v12
	v_lshlrev_b64 v[0:1], 2, v[0:1]
	scratch_store_b32 off, v4, s32 offset:2200 ; 4-byte Folded Spill
	v_add_nc_u32_e32 v4, s13, v4
	scratch_store_b64 off, v[0:1], s32 offset:2236 ; 8-byte Folded Spill
	v_ashrrev_i32_e32 v5, 31, v4
	v_cmp_ge_i32_e64 s0, v4, v3
	v_ashrrev_i32_e32 v14, 31, v13
	s_clause 0x2
	scratch_store_b64 off, v[4:5], s32 offset:320
	scratch_store_b32 off, v3, s32 offset:1164
	scratch_store_b32 off, v2, s32 offset:2196
	s_waitcnt lgkmcnt(0)
	s_waitcnt_vscnt null, 0x0
	s_barrier
	buffer_gl0_inv
	v_cmpx_lt_i32_e64 v4, v3
	s_cbranch_execz .LBB285_1545
; %bb.6:
	scratch_load_b32 v4, off, s32 offset:2196 ; 4-byte Folded Reload
	v_add_co_u32 v1, vcc_lo, v8, v13
	v_add_co_ci_u32_e32 v2, vcc_lo, v9, v14, vcc_lo
	scratch_load_b64 v[5:6], off, s32 offset:320 ; 8-byte Folded Reload
	v_mov_b32_e32 v16, 0
	s_ashr_i32 s11, s10, 31
	s_getpc_b64 s[2:3]
	s_add_u32 s2, s2, llvm.amdgcn.dynlds.offset.table@rel32@lo+4
	s_addc_u32 s3, s3, llvm.amdgcn.dynlds.offset.table@rel32@hi+12
	s_lshl_b64 s[8:9], s[10:11], 2
	v_mov_b32_e32 v29, 0xff7fffff
	s_add_u32 s2, s8, s2
	s_addc_u32 s3, s9, s3
	s_mov_b32 s9, 0x7f800001
	s_load_b32 s8, s[2:3], 0x0
	s_mov_b32 s2, 0
	s_brev_b32 s3, 1
	s_mov_b32 s11, s2
	scratch_store_b32 off, v15, s32 offset:2272 ; 4-byte Folded Spill
	s_waitcnt vmcnt(1)
	v_lshlrev_b32_e32 v0, 4, v4
	s_delay_alu instid0(VALU_DEP_1)
	v_add_co_u32 v0, vcc_lo, v1, v0
	v_add_co_ci_u32_e32 v1, vcc_lo, 0, v2, vcc_lo
	s_clause 0x1
	scratch_store_b32 off, v12, s32 offset:2260
	scratch_store_b64 off, v[0:1], s32 offset:1416
	ds_load_b128 v[0:3], v16
	scratch_store_b32 off, v13, s32 offset:2264 ; 4-byte Folded Spill
	s_waitcnt lgkmcnt(0)
	scratch_store_b128 off, v[0:3], s32 offset:1424 ; 16-byte Folded Spill
	ds_load_b128 v[0:3], v16 offset:16
	scratch_store_b32 off, v14, s32 offset:2268 ; 4-byte Folded Spill
	s_waitcnt lgkmcnt(0)
	scratch_store_b128 off, v[0:3], s32 offset:1440 ; 16-byte Folded Spill
	ds_load_b128 v[0:3], v16 offset:32
	s_waitcnt lgkmcnt(0)
	scratch_store_b128 off, v[0:3], s32 offset:1456 ; 16-byte Folded Spill
	ds_load_b128 v[0:3], v16 offset:48
	;; [unrolled: 3-line block ×12, first 2 shown]
	s_waitcnt lgkmcnt(0)
	scratch_store_b128 off, v[0:3], s32 offset:1632 ; 16-byte Folded Spill
	scratch_load_b32 v2, off, s32 offset:1412 ; 4-byte Folded Reload
	s_waitcnt vmcnt(1)
	v_lshlrev_b64 v[0:1], 2, v[5:6]
	v_mov_b32_e32 v49, v5
	ds_load_b128 v[6:9], v16 offset:224
	s_waitcnt lgkmcnt(0)
	scratch_store_b128 off, v[6:9], s32 offset:1648 ; 16-byte Folded Spill
	ds_load_b128 v[6:9], v16 offset:240
	s_waitcnt lgkmcnt(0)
	scratch_store_b128 off, v[6:9], s32 offset:1664 ; 16-byte Folded Spill
	scratch_load_b32 v6, off, s32 offset:2208 ; 4-byte Folded Reload
	s_waitcnt vmcnt(1)
	v_cmp_neq_f32_e32 vcc_lo, 0, v2
	scratch_load_b64 v[2:3], off, s32 offset:2236 ; 8-byte Folded Reload
	s_waitcnt vmcnt(0)
	v_add_co_u32 v0, s1, v2, v0
	s_delay_alu instid0(VALU_DEP_1)
	v_add_co_ci_u32_e64 v1, s1, v3, v1, s1
	scratch_load_b32 v3, off, s32 offset:2200 ; 4-byte Folded Reload
	v_add_co_u32 v6, s1, v6, v0
	scratch_load_b32 v0, off, s32 offset:2204 ; 4-byte Folded Reload
	s_waitcnt vmcnt(1)
	v_lshlrev_b32_e32 v2, 5, v3
	v_lshl_or_b32 v3, v3, 7, v15
	s_waitcnt vmcnt(0)
	v_add_co_ci_u32_e64 v7, s1, v0, v1, s1
	s_delay_alu instid0(VALU_DEP_3) | instskip(NEXT) | instid1(VALU_DEP_3)
	v_add3_u32 v83, s17, v2, v4
	v_add_nc_u32_e32 v48, s8, v3
	ds_load_b128 v[0:3], v16 offset:256
	s_waitcnt lgkmcnt(0)
	scratch_store_b128 off, v[0:3], s32 offset:1680 ; 16-byte Folded Spill
	ds_load_b128 v[0:3], v16 offset:272
	s_waitcnt lgkmcnt(0)
	scratch_store_b128 off, v[0:3], s32 offset:1696 ; 16-byte Folded Spill
	;; [unrolled: 3-line block ×32, first 2 shown]
	s_branch .LBB285_11
.LBB285_7:                              ;   in Loop: Header=BB285_11 Depth=1
	s_or_b32 exec_lo, exec_lo, s21
	v_lshlrev_b32_e32 v15, 24, v24
	s_delay_alu instid0(VALU_DEP_2) | instskip(SKIP_2) | instid1(VALU_DEP_4)
	v_lshlrev_b32_e32 v24, 20, v168
	v_mov_b32_e32 v168, v16
	v_lshl_add_u32 v23, v23, 23, 0x3c000000
	v_and_b32_e32 v15, 0x80000000, v15
	s_delay_alu instid0(VALU_DEP_1)
	v_or3_b32 v169, v24, v15, v23
.LBB285_8:                              ;   in Loop: Header=BB285_11 Depth=1
	s_or_b32 exec_lo, exec_lo, s8
.LBB285_9:                              ;   in Loop: Header=BB285_11 Depth=1
	s_delay_alu instid0(SALU_CYCLE_1)
	s_or_b32 exec_lo, exec_lo, s20
	v_mov_b32_e32 v83, v54
	v_mov_b32_e32 v48, v82
	;; [unrolled: 1-line block ×3, first 2 shown]
.LBB285_10:                             ;   in Loop: Header=BB285_11 Depth=1
	s_or_b32 exec_lo, exec_lo, s19
	v_or_b32_e32 v7, v161, v7
	v_or_b32_e32 v15, v160, v6
	;; [unrolled: 1-line block ×5, first 2 shown]
	v_mul_f32_e32 v6, v14, v7
	v_or_b32_e32 v7, v177, v20
	v_or_b32_e32 v20, v173, v185
	;; [unrolled: 1-line block ×4, first 2 shown]
	scratch_store_b32 off, v6, s32 offset:1180 ; 4-byte Folded Spill
	v_mul_f32_e32 v6, v14, v15
	v_or_b32_e32 v9, v47, v9
	v_or_b32_e32 v21, v58, v21
	;; [unrolled: 1-line block ×3, first 2 shown]
	v_cmp_lt_i32_e64 s1, v83, v55
	scratch_store_b32 off, v6, s32 offset:1188 ; 4-byte Folded Spill
	v_dual_mul_f32 v6, v14, v7 :: v_dual_add_nc_u32 v49, 4, v49
	scratch_store_b32 off, v6, s32 offset:1184 ; 4-byte Folded Spill
	v_mul_f32_e32 v6, v14, v19
	scratch_store_b32 off, v6, s32 offset:1192 ; 4-byte Folded Spill
	v_mul_f32_e32 v6, v14, v20
	;; [unrolled: 2-line block ×3, first 2 shown]
	v_or_b32_e32 v23, v145, v189
	scratch_store_b32 off, v6, s32 offset:1204 ; 4-byte Folded Spill
	v_mul_f32_e32 v6, v14, v23
	v_or_b32_e32 v23, v139, v143
	scratch_store_b32 off, v6, s32 offset:1200 ; 4-byte Folded Spill
	v_mul_f32_e32 v6, v14, v24
	;; [unrolled: 3-line block ×15, first 2 shown]
	scratch_store_b32 off, v6, s32 offset:1260 ; 4-byte Folded Spill
	v_mul_f32_e32 v6, v14, v23
	v_or_b32_e32 v23, v2, v94
	v_mul_f32_e32 v2, v14, v3
	scratch_store_b32 off, v2, s32 offset:1264 ; 4-byte Folded Spill
	v_mul_f32_e32 v2, v14, v23
	v_or_b32_e32 v23, v63, v26
	scratch_store_b32 off, v2, s32 offset:1272 ; 4-byte Folded Spill
	v_mul_f32_e32 v2, v14, v23
	v_or_b32_e32 v23, v75, v79
	;; [unrolled: 3-line block ×6, first 2 shown]
	v_or_b32_e32 v22, v187, v11
	scratch_store_b32 off, v2, s32 offset:1292 ; 4-byte Folded Spill
	v_mul_f32_e32 v2, v14, v23
	v_or_b32_e32 v23, v186, v10
	scratch_store_b32 off, v2, s32 offset:1300 ; 4-byte Folded Spill
	v_mul_f32_e32 v2, v14, v9
	scratch_store_b32 off, v2, s32 offset:1296 ; 4-byte Folded Spill
	v_mul_f32_e32 v2, v14, v21
	;; [unrolled: 2-line block ×4, first 2 shown]
	v_or_b32_e32 v23, v43, v191
	scratch_store_b32 off, v2, s32 offset:1316 ; 4-byte Folded Spill
	v_mul_f32_e32 v2, v14, v23
	v_or_b32_e32 v23, v163, v1
	scratch_store_b32 off, v2, s32 offset:1312 ; 4-byte Folded Spill
	v_mul_f32_e32 v2, v14, v24
	v_or_b32_e32 v24, v162, v0
	v_mul_f32_e32 v0, v14, v23
	v_or_b32_e32 v23, v175, v5
	scratch_store_b32 off, v0, s32 offset:1324 ; 4-byte Folded Spill
	v_mul_f32_e32 v0, v14, v24
	v_or_b32_e32 v24, v174, v4
	scratch_store_b32 off, v0, s32 offset:1332 ; 4-byte Folded Spill
	;; [unrolled: 3-line block ×10, first 2 shown]
	v_mul_f32_e32 v0, v14, v23
	scratch_store_b32 off, v0, s32 offset:1360 ; 4-byte Folded Spill
	v_mul_f32_e32 v0, v14, v24
	scratch_store_b32 off, v0, s32 offset:1368 ; 4-byte Folded Spill
	scratch_load_b64 v[0:1], off, s32 offset:1152 ; 8-byte Folded Reload
	s_waitcnt vmcnt(0)
	v_or_b32_e32 v23, v125, v1
	v_or_b32_e32 v24, v124, v0
	s_delay_alu instid0(VALU_DEP_2)
	v_mul_f32_e32 v0, v14, v23
	v_or_b32_e32 v23, v137, v61
	scratch_store_b32 off, v0, s32 offset:1152 ; 4-byte Folded Spill
	v_mul_f32_e32 v0, v14, v24
	v_or_b32_e32 v24, v136, v60
	scratch_store_b32 off, v0, s32 offset:1376 ; 4-byte Folded Spill
	v_mul_f32_e32 v0, v14, v23
	scratch_store_b32 off, v0, s32 offset:1372 ; 4-byte Folded Spill
	v_mul_f32_e32 v0, v14, v24
	scratch_store_b32 off, v0, s32 offset:1380 ; 4-byte Folded Spill
	scratch_load_b64 v[0:1], off, s32 offset:1136 ; 8-byte Folded Reload
	s_waitcnt vmcnt(0)
	v_or_b32_e32 v23, v109, v1
	v_or_b32_e32 v24, v108, v0
	s_delay_alu instid0(VALU_DEP_2)
	v_mul_f32_e32 v0, v14, v23
	scratch_store_b32 off, v0, s32 offset:1136 ; 4-byte Folded Spill
	v_mul_f32_e32 v0, v14, v24
	scratch_store_b32 off, v0, s32 offset:1384 ; 4-byte Folded Spill
	scratch_load_b64 v[0:1], off, s32 offset:1144 ; 8-byte Folded Reload
	s_waitcnt vmcnt(0)
	v_or_b32_e32 v23, v121, v1
	v_or_b32_e32 v24, v120, v0
	s_delay_alu instid0(VALU_DEP_2)
	;; [unrolled: 9-line block ×3, first 2 shown]
	v_mul_f32_e32 v0, v14, v23
	s_clause 0x1
	scratch_store_b32 off, v2, s32 offset:1320
	scratch_store_b32 off, v0, s32 offset:1120
	v_mul_f32_e32 v0, v14, v24
	scratch_store_b32 off, v0, s32 offset:1392 ; 4-byte Folded Spill
	scratch_load_b64 v[0:1], off, s32 offset:1128 ; 8-byte Folded Reload
	s_waitcnt vmcnt(0)
	v_or_b32_e32 v23, v105, v1
	v_or_b32_e32 v24, v104, v0
	s_delay_alu instid0(VALU_DEP_2)
	v_mul_f32_e32 v0, v14, v23
	scratch_store_b32 off, v0, s32 offset:1128 ; 4-byte Folded Spill
	v_mul_f32_e32 v0, v14, v24
	scratch_store_b32 off, v0, s32 offset:1396 ; 4-byte Folded Spill
	scratch_load_b64 v[0:1], off, s32 offset:1104 ; 8-byte Folded Reload
	s_waitcnt vmcnt(0)
	v_or_b32_e32 v23, v89, v1
	v_or_b32_e32 v24, v88, v0
	s_delay_alu instid0(VALU_DEP_2)
	v_mul_f32_e32 v0, v14, v23
	scratch_store_b32 off, v6, s32 offset:1268 ; 4-byte Folded Spill
	v_mul_f32_e32 v42, v14, v24
	scratch_store_b32 off, v0, s32 offset:1104 ; 4-byte Folded Spill
	scratch_load_b64 v[0:1], off, s32 offset:1112 ; 8-byte Folded Reload
	s_waitcnt vmcnt(0)
	v_or_b32_e32 v23, v93, v1
	v_or_b32_e32 v24, v92, v0
	scratch_load_b64 v[0:1], off, s32 offset:1032 ; 8-byte Folded Reload
	v_mul_f32_e32 v62, v14, v23
	v_mul_f32_e32 v46, v14, v24
	s_waitcnt vmcnt(0)
	v_or_b32_e32 v23, v73, v1
	v_or_b32_e32 v24, v72, v0
	scratch_load_b64 v[0:1], off, s32 offset:1040 ; 8-byte Folded Reload
	v_mul_f32_e32 v176, v14, v23
	v_mul_f32_e32 v162, v14, v24
	s_waitcnt vmcnt(0)
	v_or_b32_e32 v5, v77, v1
	v_or_b32_e32 v23, v76, v0
	s_clause 0x1
	scratch_load_b64 v[0:1], off, s32 offset:1008
	scratch_load_b64 v[2:3], off, s32 offset:1016
	v_mul_f32_e32 v163, v14, v23
	s_waitcnt vmcnt(0)
	v_or_b32_e32 v23, v1, v3
	v_or_b32_e32 v24, v0, v2
	s_clause 0x1
	scratch_load_b64 v[0:1], off, s32 offset:1096
	scratch_load_b64 v[2:3], off, s32 offset:1024
	v_mul_f32_e32 v161, v14, v23
	v_mul_f32_e32 v151, v14, v24
	s_waitcnt vmcnt(0)
	v_or_b32_e32 v23, v1, v3
	v_or_b32_e32 v24, v0, v2
	s_clause 0x1
	scratch_load_b64 v[0:1], off, s32 offset:984
	scratch_load_b64 v[2:3], off, s32 offset:992
	v_mul_f32_e32 v160, v14, v23
	;; [unrolled: 8-line block ×13, first 2 shown]
	v_mul_f32_e32 v12, v14, v24
	s_waitcnt vmcnt(0)
	v_or_b32_e32 v23, v1, v3
	v_or_b32_e32 v24, v0, v2
	s_clause 0x1
	scratch_load_b64 v[0:1], off, s32 offset:832
	scratch_load_b64 v[2:3], off, s32 offset:840
	s_waitcnt vmcnt(0)
	v_or_b32_e32 v11, v1, v3
	v_or_b32_e32 v10, v0, v2
	s_clause 0x1
	scratch_load_b64 v[0:1], off, s32 offset:848
	scratch_load_b64 v[2:3], off, s32 offset:856
	s_waitcnt vmcnt(0)
	v_or_b32_e32 v1, v1, v3
	v_or_b32_e32 v0, v0, v2
	s_delay_alu instid0(VALU_DEP_2)
	v_mul_f32_e32 v40, v14, v1
	s_clause 0x1
	scratch_load_b64 v[1:2], off, s32 offset:800
	scratch_load_b64 v[3:4], off, s32 offset:808
	v_mul_f32_e32 v43, v14, v0
	s_waitcnt vmcnt(0)
	v_or_b32_e32 v1, v1, v3
	v_or_b32_e32 v0, v2, v4
	s_delay_alu instid0(VALU_DEP_2)
	v_mul_f32_e32 v47, v14, v1
	s_clause 0x1
	scratch_load_b64 v[1:2], off, s32 offset:816
	scratch_load_b64 v[3:4], off, s32 offset:824
	v_mul_f32_e32 v8, v14, v0
	;; [unrolled: 9-line block ×30, first 2 shown]
	s_waitcnt vmcnt(0)
	v_or_b32_e32 v1, v1, v3
	v_or_b32_e32 v0, v2, v4
	s_delay_alu instid0(VALU_DEP_2)
	v_mul_f32_e32 v171, v14, v1
	scratch_load_b64 v[1:2], off, s32 offset:328 ; 8-byte Folded Reload
	v_mul_f32_e32 v170, v14, v0
	s_waitcnt vmcnt(0)
	v_or_b32_e32 v1, v17, v1
	v_or_b32_e32 v0, v18, v2
	s_delay_alu instid0(VALU_DEP_2)
	v_mul_f32_e32 v173, v14, v1
	s_clause 0x1
	scratch_load_b64 v[1:2], off, s32 offset:336
	scratch_load_b64 v[3:4], off, s32 offset:344
	v_mul_f32_e32 v172, v14, v0
	s_waitcnt vmcnt(0)
	v_or_b32_e32 v0, v2, v4
	v_or_b32_e32 v1, v1, v3
	s_delay_alu instid0(VALU_DEP_2) | instskip(SKIP_1) | instid1(VALU_DEP_3)
	v_mul_f32_e32 v174, v14, v0
	v_or_b32_e32 v0, v179, v181
	v_mul_f32_e32 v175, v14, v1
	v_or_b32_e32 v1, v178, v180
	s_delay_alu instid0(VALU_DEP_3) | instskip(SKIP_1) | instid1(VALU_DEP_3)
	v_mul_f32_e32 v184, v14, v0
	v_or_b32_e32 v0, v183, v131
	v_mul_f32_e32 v185, v14, v1
	v_or_b32_e32 v1, v182, v130
	v_mul_f32_e32 v41, v14, v10
	s_delay_alu instid0(VALU_DEP_4) | instskip(SKIP_1) | instid1(VALU_DEP_4)
	v_mul_f32_e32 v186, v14, v0
	v_or_b32_e32 v0, v167, v31
	v_mul_f32_e32 v187, v14, v1
	v_or_b32_e32 v1, v166, v30
	s_delay_alu instid0(VALU_DEP_3)
	v_mul_f32_e32 v188, v14, v0
	v_or_b32_e32 v0, v39, v69
	v_mul_f32_e32 v9, v14, v11
	v_or_b32_e32 v11, v164, v70
	v_mul_f32_e32 v189, v14, v1
	v_mul_f32_e32 v15, v14, v23
	;; [unrolled: 1-line block ×3, first 2 shown]
	v_or_b32_e32 v0, v99, v133
	v_mul_f32_e32 v29, v14, v11
	v_or_b32_e32 v11, v86, v44
	v_mul_f32_e32 v117, v14, v24
	;; [unrolled: 2-line block ×3, first 2 shown]
	v_or_b32_e32 v0, v53, v101
	s_delay_alu instid0(VALU_DEP_3) | instskip(SKIP_1) | instid1(VALU_DEP_3)
	v_mul_f32_e32 v191, v14, v1
	v_or_b32_e32 v1, v98, v132
	v_mul_f32_e32 v10, v14, v0
	v_or_b32_e32 v0, v165, v71
	s_delay_alu instid0(VALU_DEP_3) | instskip(SKIP_1) | instid1(VALU_DEP_3)
	v_mul_f32_e32 v18, v14, v1
	v_or_b32_e32 v1, v52, v100
	v_mul_f32_e32 v23, v14, v0
	v_or_b32_e32 v0, v87, v45
	;; [unrolled: 2-line block ×3, first 2 shown]
	v_mul_f32_e32 v54, v14, v1
	s_delay_alu instid0(VALU_DEP_4) | instskip(SKIP_1) | instid1(VALU_DEP_4)
	v_mul_f32_e32 v86, v14, v0
	v_or_b32_e32 v0, v37, v67
	v_mul_f32_e32 v39, v14, v11
	v_or_b32_e32 v11, v148, v115
	s_delay_alu instid0(VALU_DEP_3) | instskip(SKIP_1) | instid1(VALU_DEP_3)
	v_mul_f32_e32 v24, v14, v0
	v_or_b32_e32 v0, v149, v116
	v_mul_f32_e32 v70, v14, v11
	v_or_b32_e32 v11, v118, v27
	s_delay_alu instid0(VALU_DEP_3) | instskip(SKIP_1) | instid1(VALU_DEP_3)
	;; [unrolled: 5-line block ×3, first 2 shown]
	v_mul_f32_e32 v71, v14, v0
	v_or_b32_e32 v0, v33, v85
	v_mul_f32_e32 v114, v14, v11
	scratch_load_b32 v11, off, s32 offset:1412 ; 4-byte Folded Reload
	v_mul_f32_e32 v99, v14, v0
	v_sub_nc_u32_e32 v0, 1, v55
	v_mul_f32_e32 v177, v14, v5
	scratch_load_b128 v[4:7], off, s32 offset:1440 ; 16-byte Folded Reload
	v_add_nc_u32_e32 v0, v0, v83
	v_add_nc_u32_e32 v83, 0x80, v83
	s_delay_alu instid0(VALU_DEP_2) | instskip(SKIP_1) | instid1(VALU_DEP_1)
	v_cvt_f32_i32_e32 v0, v0
	s_waitcnt vmcnt(1)
	v_mul_f32_e32 v0, v11, v0
	v_or_b32_e32 v11, v103, v97
	v_mul_f32_e32 v103, v14, v96
	v_or_b32_e32 v96, v169, v129
	v_or_b32_e32 v97, v168, v128
	v_cndmask_b32_e32 v21, 0, v0, vcc_lo
	scratch_load_b128 v[0:3], off, s32 offset:1424 ; 16-byte Folded Reload
	v_mul_f32_e32 v11, v14, v11
	v_mul_f32_e32 v102, v14, v96
	s_waitcnt vmcnt(1)
	v_dual_mul_f32 v97, v14, v97 :: v_dual_mul_f32 v14, v4, v39
	v_dual_mul_f32 v24, v5, v24 :: v_dual_mul_f32 v39, v6, v70
	v_mul_f32_e32 v96, v7, v98
	s_waitcnt vmcnt(0)
	s_delay_alu instid0(VALU_DEP_3) | instskip(NEXT) | instid1(VALU_DEP_3)
	v_fmac_f32_e32 v14, v0, v82
	v_dual_fmac_f32 v24, v1, v71 :: v_dual_fmac_f32 v39, v2, v114
	s_delay_alu instid0(VALU_DEP_3)
	v_fmac_f32_e32 v96, v3, v99
	scratch_load_b128 v[0:3], off, s32 offset:1456 ; 16-byte Folded Reload
	s_waitcnt vmcnt(0)
	v_fmac_f32_e32 v14, v0, v29
	v_fmac_f32_e32 v24, v1, v23
	v_dual_fmac_f32 v39, v2, v87 :: v_dual_fmac_f32 v96, v3, v86
	scratch_load_b128 v[0:3], off, s32 offset:1472 ; 16-byte Folded Reload
	s_waitcnt vmcnt(0)
	v_fmac_f32_e32 v14, v0, v18
	v_dual_fmac_f32 v24, v1, v17 :: v_dual_fmac_f32 v39, v2, v54
	v_fmac_f32_e32 v96, v3, v10
	scratch_load_b128 v[0:3], off, s32 offset:1488 ; 16-byte Folded Reload
	s_waitcnt vmcnt(0)
	v_fmac_f32_e32 v14, v0, v189
	v_dual_fmac_f32 v24, v1, v188 :: v_dual_fmac_f32 v39, v2, v191
	v_fmac_f32_e32 v96, v3, v190
	;; [unrolled: 5-line block ×16, first 2 shown]
	scratch_load_b128 v[0:3], off, s32 offset:1728 ; 16-byte Folded Reload
	s_waitcnt vmcnt(0)
	v_fmac_f32_e32 v14, v0, v72
	v_fmac_f32_e32 v24, v1, v61
	v_dual_fmac_f32 v39, v2, v73 :: v_dual_fmac_f32 v96, v3, v63
	scratch_load_b128 v[0:3], off, s32 offset:1744 ; 16-byte Folded Reload
	s_waitcnt vmcnt(0)
	v_fmac_f32_e32 v14, v0, v59
	v_dual_fmac_f32 v24, v1, v57 :: v_dual_fmac_f32 v39, v2, v60
	v_fmac_f32_e32 v96, v3, v58
	scratch_load_b128 v[0:3], off, s32 offset:1760 ; 16-byte Folded Reload
	s_waitcnt vmcnt(0)
	v_fmac_f32_e32 v14, v0, v47
	v_fmac_f32_e32 v24, v1, v8
	v_dual_fmac_f32 v39, v2, v56 :: v_dual_fmac_f32 v96, v3, v13
	scratch_load_b128 v[0:3], off, s32 offset:1776 ; 16-byte Folded Reload
	s_waitcnt vmcnt(0)
	v_fmac_f32_e32 v14, v0, v41
	v_dual_fmac_f32 v24, v1, v9 :: v_dual_fmac_f32 v39, v2, v43
	v_fmac_f32_e32 v96, v3, v40
	scratch_load_b128 v[0:3], off, s32 offset:1792 ; 16-byte Folded Reload
	s_waitcnt vmcnt(0)
	v_fmac_f32_e32 v14, v0, v12
	v_dual_fmac_f32 v24, v1, v19 :: v_dual_fmac_f32 v39, v2, v117
	v_fmac_f32_e32 v96, v3, v15
	scratch_load_b128 v[0:3], off, s32 offset:1808 ; 16-byte Folded Reload
	s_waitcnt vmcnt(0)
	v_fmac_f32_e32 v14, v0, v20
	v_fmac_f32_e32 v24, v1, v26
	v_dual_fmac_f32 v39, v2, v22 :: v_dual_fmac_f32 v96, v3, v25
	scratch_load_b128 v[0:3], off, s32 offset:1824 ; 16-byte Folded Reload
	s_waitcnt vmcnt(0)
	v_fmac_f32_e32 v14, v0, v34
	v_dual_fmac_f32 v24, v1, v50 :: v_dual_fmac_f32 v39, v2, v35
	v_fmac_f32_e32 v96, v3, v51
	scratch_load_b128 v[0:3], off, s32 offset:1840 ; 16-byte Folded Reload
	s_waitcnt vmcnt(0)
	v_fmac_f32_e32 v14, v0, v65
	v_fmac_f32_e32 v24, v1, v80
	v_dual_fmac_f32 v39, v2, v64 :: v_dual_fmac_f32 v96, v3, v81
	scratch_load_b128 v[0:3], off, s32 offset:1856 ; 16-byte Folded Reload
	s_waitcnt vmcnt(0)
	v_fmac_f32_e32 v14, v0, v113
	v_dual_fmac_f32 v24, v1, v135 :: v_dual_fmac_f32 v39, v2, v112
	v_fmac_f32_e32 v96, v3, v134
	scratch_load_b128 v[0:3], off, s32 offset:1872 ; 16-byte Folded Reload
	s_waitcnt vmcnt(0)
	v_fmac_f32_e32 v14, v0, v144
	v_dual_fmac_f32 v24, v1, v147 :: v_dual_fmac_f32 v39, v2, v145
	v_fmac_f32_e32 v96, v3, v146
	;; [unrolled: 5-line block ×4, first 2 shown]
	scratch_load_b128 v[0:3], off, s32 offset:1920 ; 16-byte Folded Reload
	s_waitcnt vmcnt(0)
	v_fmac_f32_e32 v14, v0, v42
	scratch_load_b32 v0, off, s32 offset:1104 ; 4-byte Folded Reload
	v_fmac_f32_e32 v39, v2, v46
	v_fmac_f32_e32 v96, v3, v62
	s_waitcnt vmcnt(0)
	v_fmac_f32_e32 v24, v1, v0
	s_clause 0x1
	scratch_load_b128 v[0:3], off, s32 offset:1936
	scratch_load_b32 v4, off, s32 offset:1392
	s_waitcnt vmcnt(0)
	v_fmac_f32_e32 v14, v0, v4
	scratch_load_b32 v0, off, s32 offset:1120 ; 4-byte Folded Reload
	s_waitcnt vmcnt(0)
	v_fmac_f32_e32 v24, v1, v0
	scratch_load_b32 v0, off, s32 offset:1396 ; 4-byte Folded Reload
	s_waitcnt vmcnt(0)
	v_fmac_f32_e32 v39, v2, v0
	scratch_load_b32 v0, off, s32 offset:1128 ; 4-byte Folded Reload
	s_waitcnt vmcnt(0)
	v_fmac_f32_e32 v96, v3, v0
	s_clause 0x1
	scratch_load_b128 v[0:3], off, s32 offset:1952
	scratch_load_b32 v4, off, s32 offset:1384
	s_waitcnt vmcnt(0)
	v_fmac_f32_e32 v14, v0, v4
	scratch_load_b32 v0, off, s32 offset:1136 ; 4-byte Folded Reload
	s_waitcnt vmcnt(0)
	v_fmac_f32_e32 v24, v1, v0
	scratch_load_b32 v0, off, s32 offset:1388 ; 4-byte Folded Reload
	s_waitcnt vmcnt(0)
	v_fmac_f32_e32 v39, v2, v0
	scratch_load_b32 v0, off, s32 offset:1144 ; 4-byte Folded Reload
	;; [unrolled: 14-line block ×14, first 2 shown]
	s_waitcnt vmcnt(0)
	v_fmac_f32_e32 v96, v3, v0
	s_clause 0x3
	scratch_load_b128 v[0:3], off, s32 offset:2160
	scratch_load_b32 v4, off, s32 offset:1188
	scratch_load_b32 v29, off, s32 offset:1176
	scratch_load_b64 v[6:7], off, s32 offset:1168
	s_waitcnt vmcnt(2)
	v_fmac_f32_e32 v14, v0, v4
	scratch_load_b32 v0, off, s32 offset:1180 ; 4-byte Folded Reload
	s_waitcnt vmcnt(0)
	v_fmac_f32_e32 v24, v1, v0
	scratch_load_b32 v0, off, s32 offset:1192 ; 4-byte Folded Reload
	;; [unrolled: 3-line block ×3, first 2 shown]
	s_waitcnt vmcnt(0)
	v_fmac_f32_e32 v96, v3, v0
	scratch_load_b128 v[0:3], off, s32 offset:2176 ; 16-byte Folded Reload
	s_waitcnt vmcnt(0)
	v_fmac_f32_e32 v39, v2, v97
	scratch_load_b32 v2, off, s32 offset:1408 ; 4-byte Folded Reload
	v_fmac_f32_e32 v14, v0, v103
	v_fmac_f32_e32 v24, v1, v11
	s_delay_alu instid0(VALU_DEP_1) | instskip(NEXT) | instid1(VALU_DEP_1)
	v_dual_fmac_f32 v96, v3, v102 :: v_dual_add_f32 v1, v14, v24
	v_add_f32_e32 v1, v39, v1
	s_delay_alu instid0(VALU_DEP_1) | instskip(SKIP_1) | instid1(VALU_DEP_1)
	v_add_f32_e32 v1, v96, v1
	s_waitcnt vmcnt(0)
	v_fmac_f32_e32 v21, v1, v2
	s_delay_alu instid0(VALU_DEP_1) | instskip(SKIP_2) | instid1(VALU_DEP_1)
	v_cndmask_b32_e64 v1, 0, v21, s1
	ds_store_b32 v48, v1
	v_dual_max_f32 v1, v29, v29 :: v_dual_add_nc_u32 v48, 0x200, v48
	v_max_f32_e32 v0, v1, v21
	s_delay_alu instid0(VALU_DEP_1) | instskip(SKIP_2) | instid1(VALU_DEP_1)
	v_cndmask_b32_e64 v29, v29, v0, s1
	scratch_load_b32 v0, off, s32 offset:1164 ; 4-byte Folded Reload
	v_add_co_u32 v6, s1, v6, 16
	v_add_co_ci_u32_e64 v7, s1, 0, v7, s1
	s_waitcnt vmcnt(0)
	v_cmp_ge_i32_e64 s1, v49, v0
	s_delay_alu instid0(VALU_DEP_1) | instskip(NEXT) | instid1(SALU_CYCLE_1)
	s_or_b32 s11, s1, s11
	s_and_not1_b32 exec_lo, exec_lo, s11
	s_cbranch_execz .LBB285_1544
.LBB285_11:                             ; =>This Inner Loop Header: Depth=1
	scratch_store_b64 off, v[6:7], s32 offset:1168 ; 8-byte Folded Spill
	flat_load_b32 v0, v[6:7]
	s_clause 0x1
	scratch_load_b32 v1, off, s32 offset:1160
	scratch_load_b64 v[2:3], off, s32 offset:1416
	v_mov_b32_e32 v114, v49
	s_mov_b32 s8, exec_lo
	s_waitcnt vmcnt(0) lgkmcnt(0)
	v_mad_i64_i32 v[154:155], null, v0, v1, v[2:3]
	flat_load_b32 v0, v[154:155]
	scratch_load_b64 v[1:2], off, s32 offset:1400 ; 8-byte Folded Reload
	v_mov_b32_e32 v82, v48
	v_mov_b32_e32 v48, 0
	v_dual_mov_b32 v49, 0 :: v_dual_mov_b32 v54, v83
	s_delay_alu instid0(VALU_DEP_1) | instskip(SKIP_4) | instid1(VALU_DEP_1)
	v_dual_mov_b32 v119, v49 :: v_dual_mov_b32 v118, v48
	s_waitcnt vmcnt(0)
	flat_load_b32 v14, v[1:2]
	s_waitcnt lgkmcnt(1)
	v_and_b32_e32 v1, 0xff, v0
	v_cmpx_ne_u16_e32 0, v1
	s_cbranch_execz .LBB285_19
; %bb.12:                               ;   in Loop: Header=BB285_11 Depth=1
	v_bfrev_b32_e32 v118, 1
	v_mov_b32_e32 v119, 0
	s_mov_b32 s19, exec_lo
	v_cmpx_ne_u16_e32 0x80, v1
	s_cbranch_execz .LBB285_18
; %bb.13:                               ;   in Loop: Header=BB285_11 Depth=1
	v_mov_b32_e32 v118, 0x7f800001
	v_dual_mov_b32 v119, 0 :: v_dual_and_b32 v2, 0x7f, v0
	s_mov_b32 s20, exec_lo
	s_delay_alu instid0(VALU_DEP_1)
	v_cmpx_ne_u32_e32 0x7f, v2
	s_cbranch_execz .LBB285_17
; %bb.14:                               ;   in Loop: Header=BB285_11 Depth=1
	v_and_b32_e32 v15, 7, v0
	v_lshrrev_b32_e32 v1, 3, v2
	s_mov_b32 s21, exec_lo
	v_cmpx_gt_u32_e32 8, v2
; %bb.15:                               ;   in Loop: Header=BB285_11 Depth=1
	s_delay_alu instid0(VALU_DEP_3) | instskip(NEXT) | instid1(VALU_DEP_1)
	v_clz_i32_u32_e32 v1, v15
	v_min_u32_e32 v1, 32, v1
	s_delay_alu instid0(VALU_DEP_1) | instskip(SKIP_1) | instid1(VALU_DEP_2)
	v_subrev_nc_u32_e32 v2, 28, v1
	v_sub_nc_u32_e32 v1, 29, v1
	v_lshlrev_b64 v[2:3], v2, v[15:16]
	s_delay_alu instid0(VALU_DEP_1)
	v_and_b32_e32 v15, 7, v2
; %bb.16:                               ;   in Loop: Header=BB285_11 Depth=1
	s_or_b32 exec_lo, exec_lo, s21
	v_lshlrev_b32_e32 v2, 24, v0
	s_delay_alu instid0(VALU_DEP_2) | instskip(SKIP_1) | instid1(VALU_DEP_3)
	v_lshlrev_b32_e32 v3, 20, v15
	v_lshl_add_u32 v1, v1, 23, 0x3c000000
	v_and_b32_e32 v2, 0x80000000, v2
	s_delay_alu instid0(VALU_DEP_1) | instskip(NEXT) | instid1(VALU_DEP_1)
	v_or3_b32 v15, v3, v2, v1
	v_dual_mov_b32 v119, v16 :: v_dual_mov_b32 v118, v15
.LBB285_17:                             ;   in Loop: Header=BB285_11 Depth=1
	s_or_b32 exec_lo, exec_lo, s20
.LBB285_18:                             ;   in Loop: Header=BB285_11 Depth=1
	s_delay_alu instid0(SALU_CYCLE_1)
	s_or_b32 exec_lo, exec_lo, s19
.LBB285_19:                             ;   in Loop: Header=BB285_11 Depth=1
	s_delay_alu instid0(SALU_CYCLE_1) | instskip(SKIP_2) | instid1(VALU_DEP_1)
	s_or_b32 exec_lo, exec_lo, s8
	v_lshrrev_b16 v1, 8, v0
	s_mov_b32 s19, exec_lo
	v_cmpx_ne_u16_e32 0, v1
	s_cbranch_execz .LBB285_27
; %bb.20:                               ;   in Loop: Header=BB285_11 Depth=1
	v_dual_mov_b32 v49, s3 :: v_dual_mov_b32 v48, s2
	s_mov_b32 s20, exec_lo
	v_cmpx_ne_u16_e32 0x80, v1
	s_cbranch_execz .LBB285_26
; %bb.21:                               ;   in Loop: Header=BB285_11 Depth=1
	s_mov_b32 s8, s2
	v_and_b32_e32 v1, 0xffff, v1
	v_dual_mov_b32 v49, s9 :: v_dual_mov_b32 v48, s8
	s_mov_b32 s8, exec_lo
	s_delay_alu instid0(VALU_DEP_2) | instskip(NEXT) | instid1(VALU_DEP_1)
	v_and_b32_e32 v2, 0x7f, v1
	v_cmpx_ne_u32_e32 0x7f, v2
	s_cbranch_execz .LBB285_25
; %bb.22:                               ;   in Loop: Header=BB285_11 Depth=1
	v_and_b32_e32 v15, 7, v1
	v_lshrrev_b32_e32 v1, 3, v2
	s_mov_b32 s21, exec_lo
	v_cmpx_gt_u32_e32 8, v2
; %bb.23:                               ;   in Loop: Header=BB285_11 Depth=1
	s_delay_alu instid0(VALU_DEP_3) | instskip(NEXT) | instid1(VALU_DEP_1)
	v_clz_i32_u32_e32 v1, v15
	v_min_u32_e32 v1, 32, v1
	s_delay_alu instid0(VALU_DEP_1) | instskip(SKIP_1) | instid1(VALU_DEP_2)
	v_subrev_nc_u32_e32 v2, 28, v1
	v_sub_nc_u32_e32 v1, 29, v1
	v_lshlrev_b64 v[2:3], v2, v[15:16]
	s_delay_alu instid0(VALU_DEP_1)
	v_and_b32_e32 v15, 7, v2
; %bb.24:                               ;   in Loop: Header=BB285_11 Depth=1
	s_or_b32 exec_lo, exec_lo, s21
	v_lshlrev_b32_e32 v2, 16, v0
	s_delay_alu instid0(VALU_DEP_2) | instskip(SKIP_1) | instid1(VALU_DEP_3)
	v_dual_mov_b32 v48, v16 :: v_dual_lshlrev_b32 v3, 20, v15
	v_lshl_add_u32 v1, v1, 23, 0x3c000000
	v_and_b32_e32 v2, 0x80000000, v2
	s_delay_alu instid0(VALU_DEP_1)
	v_or3_b32 v49, v3, v2, v1
.LBB285_25:                             ;   in Loop: Header=BB285_11 Depth=1
	s_or_b32 exec_lo, exec_lo, s8
.LBB285_26:                             ;   in Loop: Header=BB285_11 Depth=1
	s_delay_alu instid0(SALU_CYCLE_1)
	s_or_b32 exec_lo, exec_lo, s20
.LBB285_27:                             ;   in Loop: Header=BB285_11 Depth=1
	s_delay_alu instid0(SALU_CYCLE_1) | instskip(SKIP_4) | instid1(VALU_DEP_1)
	s_or_b32 exec_lo, exec_lo, s19
	v_lshrrev_b32_e32 v1, 16, v0
	v_mov_b32_e32 v27, 0
	v_mov_b32_e32 v28, 0
	s_mov_b32 s8, exec_lo
	v_dual_mov_b32 v33, v28 :: v_dual_and_b32 v2, 0xff, v1
	s_delay_alu instid0(VALU_DEP_3) | instskip(NEXT) | instid1(VALU_DEP_2)
	v_mov_b32_e32 v32, v27
	v_cmpx_ne_u16_e32 0, v2
	s_cbranch_execz .LBB285_35
; %bb.28:                               ;   in Loop: Header=BB285_11 Depth=1
	v_bfrev_b32_e32 v32, 1
	v_mov_b32_e32 v33, 0
	s_mov_b32 s19, exec_lo
	v_cmpx_ne_u16_e32 0x80, v2
	s_cbranch_execz .LBB285_34
; %bb.29:                               ;   in Loop: Header=BB285_11 Depth=1
	v_mov_b32_e32 v32, 0x7f800001
	v_bfe_u32 v3, v0, 16, 7
	v_mov_b32_e32 v33, 0
	s_mov_b32 s20, exec_lo
	s_delay_alu instid0(VALU_DEP_2)
	v_cmpx_ne_u32_e32 0x7f, v3
	s_cbranch_execz .LBB285_33
; %bb.30:                               ;   in Loop: Header=BB285_11 Depth=1
	v_and_b32_e32 v15, 7, v1
	v_lshrrev_b32_e32 v2, 3, v3
	s_mov_b32 s21, exec_lo
	v_cmpx_gt_u32_e32 8, v3
; %bb.31:                               ;   in Loop: Header=BB285_11 Depth=1
	s_delay_alu instid0(VALU_DEP_3) | instskip(NEXT) | instid1(VALU_DEP_1)
	v_clz_i32_u32_e32 v2, v15
	v_min_u32_e32 v2, 32, v2
	s_delay_alu instid0(VALU_DEP_1) | instskip(SKIP_1) | instid1(VALU_DEP_2)
	v_subrev_nc_u32_e32 v3, 28, v2
	v_sub_nc_u32_e32 v2, 29, v2
	v_lshlrev_b64 v[3:4], v3, v[15:16]
	s_delay_alu instid0(VALU_DEP_1)
	v_and_b32_e32 v15, 7, v3
; %bb.32:                               ;   in Loop: Header=BB285_11 Depth=1
	s_or_b32 exec_lo, exec_lo, s21
	v_lshlrev_b32_e32 v1, 24, v1
	s_delay_alu instid0(VALU_DEP_2) | instskip(SKIP_1) | instid1(VALU_DEP_3)
	v_lshlrev_b32_e32 v3, 20, v15
	v_lshl_add_u32 v2, v2, 23, 0x3c000000
	v_and_b32_e32 v1, 0x80000000, v1
	s_delay_alu instid0(VALU_DEP_1) | instskip(NEXT) | instid1(VALU_DEP_1)
	v_or3_b32 v15, v3, v1, v2
	v_dual_mov_b32 v33, v16 :: v_dual_mov_b32 v32, v15
.LBB285_33:                             ;   in Loop: Header=BB285_11 Depth=1
	s_or_b32 exec_lo, exec_lo, s20
.LBB285_34:                             ;   in Loop: Header=BB285_11 Depth=1
	s_delay_alu instid0(SALU_CYCLE_1)
	s_or_b32 exec_lo, exec_lo, s19
.LBB285_35:                             ;   in Loop: Header=BB285_11 Depth=1
	s_delay_alu instid0(SALU_CYCLE_1) | instskip(NEXT) | instid1(SALU_CYCLE_1)
	s_or_b32 exec_lo, exec_lo, s8
	s_mov_b32 s19, exec_lo
	v_cmpx_lt_u32_e32 0xffffff, v0
	s_cbranch_execz .LBB285_43
; %bb.36:                               ;   in Loop: Header=BB285_11 Depth=1
	v_lshrrev_b32_e32 v1, 24, v0
	v_dual_mov_b32 v28, s3 :: v_dual_mov_b32 v27, s2
	s_mov_b32 s20, exec_lo
	s_delay_alu instid0(VALU_DEP_2)
	v_cmpx_ne_u32_e32 0x80, v1
	s_cbranch_execz .LBB285_42
; %bb.37:                               ;   in Loop: Header=BB285_11 Depth=1
	s_mov_b32 s8, s2
	v_bfe_u32 v2, v0, 24, 7
	v_dual_mov_b32 v28, s9 :: v_dual_mov_b32 v27, s8
	s_mov_b32 s8, exec_lo
	s_delay_alu instid0(VALU_DEP_2)
	v_cmpx_ne_u32_e32 0x7f, v2
	s_cbranch_execz .LBB285_41
; %bb.38:                               ;   in Loop: Header=BB285_11 Depth=1
	v_and_b32_e32 v15, 7, v1
	v_lshrrev_b32_e32 v0, 3, v2
	s_mov_b32 s21, exec_lo
	v_cmpx_gt_u32_e32 8, v2
; %bb.39:                               ;   in Loop: Header=BB285_11 Depth=1
	s_delay_alu instid0(VALU_DEP_3) | instskip(NEXT) | instid1(VALU_DEP_1)
	v_clz_i32_u32_e32 v0, v15
	v_min_u32_e32 v0, 32, v0
	s_delay_alu instid0(VALU_DEP_1) | instskip(SKIP_1) | instid1(VALU_DEP_2)
	v_subrev_nc_u32_e32 v2, 28, v0
	v_sub_nc_u32_e32 v0, 29, v0
	v_lshlrev_b64 v[2:3], v2, v[15:16]
	s_delay_alu instid0(VALU_DEP_1)
	v_and_b32_e32 v15, 7, v2
; %bb.40:                               ;   in Loop: Header=BB285_11 Depth=1
	s_or_b32 exec_lo, exec_lo, s21
	v_lshlrev_b32_e32 v1, 24, v1
	s_delay_alu instid0(VALU_DEP_2) | instskip(SKIP_1) | instid1(VALU_DEP_3)
	v_dual_mov_b32 v27, v16 :: v_dual_lshlrev_b32 v2, 20, v15
	v_lshl_add_u32 v0, v0, 23, 0x3c000000
	v_and_b32_e32 v1, 0x80000000, v1
	s_delay_alu instid0(VALU_DEP_1)
	v_or3_b32 v28, v2, v1, v0
.LBB285_41:                             ;   in Loop: Header=BB285_11 Depth=1
	s_or_b32 exec_lo, exec_lo, s8
.LBB285_42:                             ;   in Loop: Header=BB285_11 Depth=1
	s_delay_alu instid0(SALU_CYCLE_1)
	s_or_b32 exec_lo, exec_lo, s20
.LBB285_43:                             ;   in Loop: Header=BB285_11 Depth=1
	s_delay_alu instid0(SALU_CYCLE_1) | instskip(SKIP_4) | instid1(VALU_DEP_1)
	s_or_b32 exec_lo, exec_lo, s19
	flat_load_b32 v0, v[154:155] offset:4
	v_mov_b32_e32 v36, 0
	v_mov_b32_e32 v37, 0
	s_mov_b32 s8, exec_lo
	v_dual_mov_b32 v67, v37 :: v_dual_mov_b32 v66, v36
	s_waitcnt vmcnt(0) lgkmcnt(0)
	v_and_b32_e32 v1, 0xff, v0
	s_delay_alu instid0(VALU_DEP_1)
	v_cmpx_ne_u16_e32 0, v1
	s_cbranch_execz .LBB285_51
; %bb.44:                               ;   in Loop: Header=BB285_11 Depth=1
	v_bfrev_b32_e32 v66, 1
	v_mov_b32_e32 v67, 0
	s_mov_b32 s19, exec_lo
	v_cmpx_ne_u16_e32 0x80, v1
	s_cbranch_execz .LBB285_50
; %bb.45:                               ;   in Loop: Header=BB285_11 Depth=1
	v_mov_b32_e32 v66, 0x7f800001
	v_dual_mov_b32 v67, 0 :: v_dual_and_b32 v2, 0x7f, v0
	s_mov_b32 s20, exec_lo
	s_delay_alu instid0(VALU_DEP_1)
	v_cmpx_ne_u32_e32 0x7f, v2
	s_cbranch_execz .LBB285_49
; %bb.46:                               ;   in Loop: Header=BB285_11 Depth=1
	v_and_b32_e32 v15, 7, v0
	v_lshrrev_b32_e32 v1, 3, v2
	s_mov_b32 s21, exec_lo
	v_cmpx_gt_u32_e32 8, v2
; %bb.47:                               ;   in Loop: Header=BB285_11 Depth=1
	s_delay_alu instid0(VALU_DEP_3) | instskip(NEXT) | instid1(VALU_DEP_1)
	v_clz_i32_u32_e32 v1, v15
	v_min_u32_e32 v1, 32, v1
	s_delay_alu instid0(VALU_DEP_1) | instskip(SKIP_1) | instid1(VALU_DEP_2)
	v_subrev_nc_u32_e32 v2, 28, v1
	v_sub_nc_u32_e32 v1, 29, v1
	v_lshlrev_b64 v[2:3], v2, v[15:16]
	s_delay_alu instid0(VALU_DEP_1)
	v_and_b32_e32 v15, 7, v2
; %bb.48:                               ;   in Loop: Header=BB285_11 Depth=1
	s_or_b32 exec_lo, exec_lo, s21
	v_lshlrev_b32_e32 v2, 24, v0
	s_delay_alu instid0(VALU_DEP_2) | instskip(SKIP_1) | instid1(VALU_DEP_3)
	v_lshlrev_b32_e32 v3, 20, v15
	v_lshl_add_u32 v1, v1, 23, 0x3c000000
	v_and_b32_e32 v2, 0x80000000, v2
	s_delay_alu instid0(VALU_DEP_1) | instskip(NEXT) | instid1(VALU_DEP_1)
	v_or3_b32 v15, v3, v2, v1
	v_dual_mov_b32 v67, v16 :: v_dual_mov_b32 v66, v15
.LBB285_49:                             ;   in Loop: Header=BB285_11 Depth=1
	s_or_b32 exec_lo, exec_lo, s20
.LBB285_50:                             ;   in Loop: Header=BB285_11 Depth=1
	s_delay_alu instid0(SALU_CYCLE_1)
	s_or_b32 exec_lo, exec_lo, s19
.LBB285_51:                             ;   in Loop: Header=BB285_11 Depth=1
	s_delay_alu instid0(SALU_CYCLE_1) | instskip(SKIP_2) | instid1(VALU_DEP_1)
	s_or_b32 exec_lo, exec_lo, s8
	v_lshrrev_b16 v1, 8, v0
	s_mov_b32 s19, exec_lo
	v_cmpx_ne_u16_e32 0, v1
	s_cbranch_execz .LBB285_59
; %bb.52:                               ;   in Loop: Header=BB285_11 Depth=1
	v_dual_mov_b32 v37, s3 :: v_dual_mov_b32 v36, s2
	s_mov_b32 s20, exec_lo
	v_cmpx_ne_u16_e32 0x80, v1
	s_cbranch_execz .LBB285_58
; %bb.53:                               ;   in Loop: Header=BB285_11 Depth=1
	s_mov_b32 s8, s2
	v_and_b32_e32 v1, 0xffff, v1
	v_dual_mov_b32 v37, s9 :: v_dual_mov_b32 v36, s8
	s_mov_b32 s8, exec_lo
	s_delay_alu instid0(VALU_DEP_2) | instskip(NEXT) | instid1(VALU_DEP_1)
	v_and_b32_e32 v2, 0x7f, v1
	v_cmpx_ne_u32_e32 0x7f, v2
	s_cbranch_execz .LBB285_57
; %bb.54:                               ;   in Loop: Header=BB285_11 Depth=1
	v_and_b32_e32 v15, 7, v1
	v_lshrrev_b32_e32 v1, 3, v2
	s_mov_b32 s21, exec_lo
	v_cmpx_gt_u32_e32 8, v2
; %bb.55:                               ;   in Loop: Header=BB285_11 Depth=1
	s_delay_alu instid0(VALU_DEP_3) | instskip(NEXT) | instid1(VALU_DEP_1)
	v_clz_i32_u32_e32 v1, v15
	v_min_u32_e32 v1, 32, v1
	s_delay_alu instid0(VALU_DEP_1) | instskip(SKIP_1) | instid1(VALU_DEP_2)
	v_subrev_nc_u32_e32 v2, 28, v1
	v_sub_nc_u32_e32 v1, 29, v1
	v_lshlrev_b64 v[2:3], v2, v[15:16]
	s_delay_alu instid0(VALU_DEP_1)
	v_and_b32_e32 v15, 7, v2
; %bb.56:                               ;   in Loop: Header=BB285_11 Depth=1
	s_or_b32 exec_lo, exec_lo, s21
	v_lshlrev_b32_e32 v2, 16, v0
	s_delay_alu instid0(VALU_DEP_2) | instskip(SKIP_1) | instid1(VALU_DEP_3)
	v_dual_mov_b32 v36, v16 :: v_dual_lshlrev_b32 v3, 20, v15
	v_lshl_add_u32 v1, v1, 23, 0x3c000000
	v_and_b32_e32 v2, 0x80000000, v2
	s_delay_alu instid0(VALU_DEP_1)
	v_or3_b32 v37, v3, v2, v1
.LBB285_57:                             ;   in Loop: Header=BB285_11 Depth=1
	s_or_b32 exec_lo, exec_lo, s8
.LBB285_58:                             ;   in Loop: Header=BB285_11 Depth=1
	s_delay_alu instid0(SALU_CYCLE_1)
	s_or_b32 exec_lo, exec_lo, s20
.LBB285_59:                             ;   in Loop: Header=BB285_11 Depth=1
	s_delay_alu instid0(SALU_CYCLE_1) | instskip(SKIP_4) | instid1(VALU_DEP_2)
	s_or_b32 exec_lo, exec_lo, s19
	v_mov_b32_e32 v148, 0
	v_lshrrev_b32_e32 v1, 16, v0
	v_mov_b32_e32 v149, 0
	s_mov_b32 s8, exec_lo
	v_dual_mov_b32 v115, v148 :: v_dual_and_b32 v2, 0xff, v1
	s_delay_alu instid0(VALU_DEP_2) | instskip(NEXT) | instid1(VALU_DEP_2)
	v_mov_b32_e32 v116, v149
	v_cmpx_ne_u16_e32 0, v2
	s_cbranch_execz .LBB285_67
; %bb.60:                               ;   in Loop: Header=BB285_11 Depth=1
	v_bfrev_b32_e32 v115, 1
	v_mov_b32_e32 v116, 0
	s_mov_b32 s19, exec_lo
	v_cmpx_ne_u16_e32 0x80, v2
	s_cbranch_execz .LBB285_66
; %bb.61:                               ;   in Loop: Header=BB285_11 Depth=1
	v_mov_b32_e32 v115, 0x7f800001
	v_bfe_u32 v3, v0, 16, 7
	v_mov_b32_e32 v116, 0
	s_mov_b32 s20, exec_lo
	s_delay_alu instid0(VALU_DEP_2)
	v_cmpx_ne_u32_e32 0x7f, v3
	s_cbranch_execz .LBB285_65
; %bb.62:                               ;   in Loop: Header=BB285_11 Depth=1
	v_and_b32_e32 v15, 7, v1
	v_lshrrev_b32_e32 v2, 3, v3
	s_mov_b32 s21, exec_lo
	v_cmpx_gt_u32_e32 8, v3
; %bb.63:                               ;   in Loop: Header=BB285_11 Depth=1
	s_delay_alu instid0(VALU_DEP_3) | instskip(NEXT) | instid1(VALU_DEP_1)
	v_clz_i32_u32_e32 v2, v15
	v_min_u32_e32 v2, 32, v2
	s_delay_alu instid0(VALU_DEP_1) | instskip(SKIP_1) | instid1(VALU_DEP_2)
	v_subrev_nc_u32_e32 v3, 28, v2
	v_sub_nc_u32_e32 v2, 29, v2
	v_lshlrev_b64 v[3:4], v3, v[15:16]
	s_delay_alu instid0(VALU_DEP_1)
	v_and_b32_e32 v15, 7, v3
; %bb.64:                               ;   in Loop: Header=BB285_11 Depth=1
	s_or_b32 exec_lo, exec_lo, s21
	v_lshlrev_b32_e32 v1, 24, v1
	s_delay_alu instid0(VALU_DEP_2) | instskip(SKIP_1) | instid1(VALU_DEP_3)
	v_lshlrev_b32_e32 v3, 20, v15
	v_lshl_add_u32 v2, v2, 23, 0x3c000000
	v_and_b32_e32 v1, 0x80000000, v1
	s_delay_alu instid0(VALU_DEP_1) | instskip(NEXT) | instid1(VALU_DEP_1)
	v_or3_b32 v15, v3, v1, v2
	v_dual_mov_b32 v116, v16 :: v_dual_mov_b32 v115, v15
.LBB285_65:                             ;   in Loop: Header=BB285_11 Depth=1
	s_or_b32 exec_lo, exec_lo, s20
.LBB285_66:                             ;   in Loop: Header=BB285_11 Depth=1
	s_delay_alu instid0(SALU_CYCLE_1)
	s_or_b32 exec_lo, exec_lo, s19
.LBB285_67:                             ;   in Loop: Header=BB285_11 Depth=1
	s_delay_alu instid0(SALU_CYCLE_1) | instskip(NEXT) | instid1(SALU_CYCLE_1)
	s_or_b32 exec_lo, exec_lo, s8
	s_mov_b32 s19, exec_lo
	v_cmpx_lt_u32_e32 0xffffff, v0
	s_cbranch_execz .LBB285_75
; %bb.68:                               ;   in Loop: Header=BB285_11 Depth=1
	v_lshrrev_b32_e32 v1, 24, v0
	v_dual_mov_b32 v149, s3 :: v_dual_mov_b32 v148, s2
	s_mov_b32 s20, exec_lo
	s_delay_alu instid0(VALU_DEP_2)
	v_cmpx_ne_u32_e32 0x80, v1
	s_cbranch_execz .LBB285_74
; %bb.69:                               ;   in Loop: Header=BB285_11 Depth=1
	s_mov_b32 s8, s2
	v_bfe_u32 v2, v0, 24, 7
	v_dual_mov_b32 v149, s9 :: v_dual_mov_b32 v148, s8
	s_mov_b32 s8, exec_lo
	s_delay_alu instid0(VALU_DEP_2)
	v_cmpx_ne_u32_e32 0x7f, v2
	s_cbranch_execz .LBB285_73
; %bb.70:                               ;   in Loop: Header=BB285_11 Depth=1
	v_and_b32_e32 v15, 7, v1
	v_lshrrev_b32_e32 v0, 3, v2
	s_mov_b32 s21, exec_lo
	v_cmpx_gt_u32_e32 8, v2
; %bb.71:                               ;   in Loop: Header=BB285_11 Depth=1
	s_delay_alu instid0(VALU_DEP_3) | instskip(NEXT) | instid1(VALU_DEP_1)
	v_clz_i32_u32_e32 v0, v15
	v_min_u32_e32 v0, 32, v0
	s_delay_alu instid0(VALU_DEP_1) | instskip(SKIP_1) | instid1(VALU_DEP_2)
	v_subrev_nc_u32_e32 v2, 28, v0
	v_sub_nc_u32_e32 v0, 29, v0
	v_lshlrev_b64 v[2:3], v2, v[15:16]
	s_delay_alu instid0(VALU_DEP_1)
	v_and_b32_e32 v15, 7, v2
; %bb.72:                               ;   in Loop: Header=BB285_11 Depth=1
	s_or_b32 exec_lo, exec_lo, s21
	v_dual_mov_b32 v148, v16 :: v_dual_lshlrev_b32 v1, 24, v1
	s_delay_alu instid0(VALU_DEP_2) | instskip(SKIP_1) | instid1(VALU_DEP_3)
	v_lshlrev_b32_e32 v2, 20, v15
	v_lshl_add_u32 v0, v0, 23, 0x3c000000
	v_and_b32_e32 v1, 0x80000000, v1
	s_delay_alu instid0(VALU_DEP_1)
	v_or3_b32 v149, v2, v1, v0
.LBB285_73:                             ;   in Loop: Header=BB285_11 Depth=1
	s_or_b32 exec_lo, exec_lo, s8
.LBB285_74:                             ;   in Loop: Header=BB285_11 Depth=1
	s_delay_alu instid0(SALU_CYCLE_1)
	s_or_b32 exec_lo, exec_lo, s20
.LBB285_75:                             ;   in Loop: Header=BB285_11 Depth=1
	s_delay_alu instid0(SALU_CYCLE_1) | instskip(SKIP_3) | instid1(VALU_DEP_2)
	s_or_b32 exec_lo, exec_lo, s19
	flat_load_b32 v0, v[154:155] offset:8
	v_mov_b32_e32 v164, 0
	v_mov_b32_e32 v165, 0
	v_mov_b32_e32 v83, v164
	s_mov_b32 s8, exec_lo
	s_waitcnt vmcnt(0) lgkmcnt(0)
	s_delay_alu instid0(VALU_DEP_2) | instskip(NEXT) | instid1(VALU_DEP_1)
	v_dual_mov_b32 v84, v165 :: v_dual_and_b32 v1, 0xff, v0
	v_cmpx_ne_u16_e32 0, v1
	s_cbranch_execz .LBB285_83
; %bb.76:                               ;   in Loop: Header=BB285_11 Depth=1
	v_bfrev_b32_e32 v83, 1
	v_mov_b32_e32 v84, 0
	s_mov_b32 s19, exec_lo
	v_cmpx_ne_u16_e32 0x80, v1
	s_cbranch_execz .LBB285_82
; %bb.77:                               ;   in Loop: Header=BB285_11 Depth=1
	v_mov_b32_e32 v83, 0x7f800001
	v_and_b32_e32 v2, 0x7f, v0
	v_mov_b32_e32 v84, 0
	s_mov_b32 s20, exec_lo
	s_delay_alu instid0(VALU_DEP_2)
	v_cmpx_ne_u32_e32 0x7f, v2
	s_cbranch_execz .LBB285_81
; %bb.78:                               ;   in Loop: Header=BB285_11 Depth=1
	v_and_b32_e32 v15, 7, v0
	v_lshrrev_b32_e32 v1, 3, v2
	s_mov_b32 s21, exec_lo
	v_cmpx_gt_u32_e32 8, v2
; %bb.79:                               ;   in Loop: Header=BB285_11 Depth=1
	s_delay_alu instid0(VALU_DEP_3) | instskip(NEXT) | instid1(VALU_DEP_1)
	v_clz_i32_u32_e32 v1, v15
	v_min_u32_e32 v1, 32, v1
	s_delay_alu instid0(VALU_DEP_1) | instskip(SKIP_1) | instid1(VALU_DEP_2)
	v_subrev_nc_u32_e32 v2, 28, v1
	v_sub_nc_u32_e32 v1, 29, v1
	v_lshlrev_b64 v[2:3], v2, v[15:16]
	s_delay_alu instid0(VALU_DEP_1)
	v_and_b32_e32 v15, 7, v2
; %bb.80:                               ;   in Loop: Header=BB285_11 Depth=1
	s_or_b32 exec_lo, exec_lo, s21
	v_lshlrev_b32_e32 v2, 24, v0
	s_delay_alu instid0(VALU_DEP_2) | instskip(SKIP_1) | instid1(VALU_DEP_3)
	v_lshlrev_b32_e32 v3, 20, v15
	v_lshl_add_u32 v1, v1, 23, 0x3c000000
	v_and_b32_e32 v2, 0x80000000, v2
	s_delay_alu instid0(VALU_DEP_1) | instskip(NEXT) | instid1(VALU_DEP_1)
	v_or3_b32 v15, v3, v2, v1
	v_dual_mov_b32 v84, v16 :: v_dual_mov_b32 v83, v15
.LBB285_81:                             ;   in Loop: Header=BB285_11 Depth=1
	s_or_b32 exec_lo, exec_lo, s20
.LBB285_82:                             ;   in Loop: Header=BB285_11 Depth=1
	s_delay_alu instid0(SALU_CYCLE_1)
	s_or_b32 exec_lo, exec_lo, s19
.LBB285_83:                             ;   in Loop: Header=BB285_11 Depth=1
	s_delay_alu instid0(SALU_CYCLE_1) | instskip(SKIP_2) | instid1(VALU_DEP_1)
	s_or_b32 exec_lo, exec_lo, s8
	v_lshrrev_b16 v1, 8, v0
	s_mov_b32 s19, exec_lo
	v_cmpx_ne_u16_e32 0, v1
	s_cbranch_execz .LBB285_91
; %bb.84:                               ;   in Loop: Header=BB285_11 Depth=1
	v_dual_mov_b32 v165, s3 :: v_dual_mov_b32 v164, s2
	s_mov_b32 s20, exec_lo
	v_cmpx_ne_u16_e32 0x80, v1
	s_cbranch_execz .LBB285_90
; %bb.85:                               ;   in Loop: Header=BB285_11 Depth=1
	s_mov_b32 s8, s2
	v_and_b32_e32 v1, 0xffff, v1
	v_dual_mov_b32 v165, s9 :: v_dual_mov_b32 v164, s8
	s_mov_b32 s8, exec_lo
	s_delay_alu instid0(VALU_DEP_2) | instskip(NEXT) | instid1(VALU_DEP_1)
	v_and_b32_e32 v2, 0x7f, v1
	v_cmpx_ne_u32_e32 0x7f, v2
	s_cbranch_execz .LBB285_89
; %bb.86:                               ;   in Loop: Header=BB285_11 Depth=1
	v_and_b32_e32 v15, 7, v1
	v_lshrrev_b32_e32 v1, 3, v2
	s_mov_b32 s21, exec_lo
	v_cmpx_gt_u32_e32 8, v2
; %bb.87:                               ;   in Loop: Header=BB285_11 Depth=1
	s_delay_alu instid0(VALU_DEP_3) | instskip(NEXT) | instid1(VALU_DEP_1)
	v_clz_i32_u32_e32 v1, v15
	v_min_u32_e32 v1, 32, v1
	s_delay_alu instid0(VALU_DEP_1) | instskip(SKIP_1) | instid1(VALU_DEP_2)
	v_subrev_nc_u32_e32 v2, 28, v1
	v_sub_nc_u32_e32 v1, 29, v1
	v_lshlrev_b64 v[2:3], v2, v[15:16]
	s_delay_alu instid0(VALU_DEP_1)
	v_and_b32_e32 v15, 7, v2
; %bb.88:                               ;   in Loop: Header=BB285_11 Depth=1
	s_or_b32 exec_lo, exec_lo, s21
	v_lshlrev_b32_e32 v2, 16, v0
	s_delay_alu instid0(VALU_DEP_2) | instskip(SKIP_1) | instid1(VALU_DEP_3)
	v_dual_mov_b32 v164, v16 :: v_dual_lshlrev_b32 v3, 20, v15
	v_lshl_add_u32 v1, v1, 23, 0x3c000000
	v_and_b32_e32 v2, 0x80000000, v2
	s_delay_alu instid0(VALU_DEP_1)
	v_or3_b32 v165, v3, v2, v1
.LBB285_89:                             ;   in Loop: Header=BB285_11 Depth=1
	s_or_b32 exec_lo, exec_lo, s8
.LBB285_90:                             ;   in Loop: Header=BB285_11 Depth=1
	s_delay_alu instid0(SALU_CYCLE_1)
	s_or_b32 exec_lo, exec_lo, s20
.LBB285_91:                             ;   in Loop: Header=BB285_11 Depth=1
	s_delay_alu instid0(SALU_CYCLE_1) | instskip(SKIP_4) | instid1(VALU_DEP_2)
	s_or_b32 exec_lo, exec_lo, s19
	v_mov_b32_e32 v70, 0
	v_lshrrev_b32_e32 v1, 16, v0
	v_mov_b32_e32 v71, 0
	s_mov_b32 s8, exec_lo
	v_and_b32_e32 v2, 0xff, v1
	s_delay_alu instid0(VALU_DEP_2) | instskip(NEXT) | instid1(VALU_DEP_2)
	v_dual_mov_b32 v44, v70 :: v_dual_mov_b32 v45, v71
	v_cmpx_ne_u16_e32 0, v2
	s_cbranch_execz .LBB285_99
; %bb.92:                               ;   in Loop: Header=BB285_11 Depth=1
	v_bfrev_b32_e32 v44, 1
	v_mov_b32_e32 v45, 0
	s_mov_b32 s19, exec_lo
	v_cmpx_ne_u16_e32 0x80, v2
	s_cbranch_execz .LBB285_98
; %bb.93:                               ;   in Loop: Header=BB285_11 Depth=1
	v_mov_b32_e32 v44, 0x7f800001
	v_bfe_u32 v3, v0, 16, 7
	v_mov_b32_e32 v45, 0
	s_mov_b32 s20, exec_lo
	s_delay_alu instid0(VALU_DEP_2)
	v_cmpx_ne_u32_e32 0x7f, v3
	s_cbranch_execz .LBB285_97
; %bb.94:                               ;   in Loop: Header=BB285_11 Depth=1
	v_and_b32_e32 v15, 7, v1
	v_lshrrev_b32_e32 v2, 3, v3
	s_mov_b32 s21, exec_lo
	v_cmpx_gt_u32_e32 8, v3
; %bb.95:                               ;   in Loop: Header=BB285_11 Depth=1
	s_delay_alu instid0(VALU_DEP_3) | instskip(NEXT) | instid1(VALU_DEP_1)
	v_clz_i32_u32_e32 v2, v15
	v_min_u32_e32 v2, 32, v2
	s_delay_alu instid0(VALU_DEP_1) | instskip(SKIP_1) | instid1(VALU_DEP_2)
	v_subrev_nc_u32_e32 v3, 28, v2
	v_sub_nc_u32_e32 v2, 29, v2
	v_lshlrev_b64 v[3:4], v3, v[15:16]
	s_delay_alu instid0(VALU_DEP_1)
	v_and_b32_e32 v15, 7, v3
; %bb.96:                               ;   in Loop: Header=BB285_11 Depth=1
	s_or_b32 exec_lo, exec_lo, s21
	v_lshlrev_b32_e32 v1, 24, v1
	s_delay_alu instid0(VALU_DEP_2) | instskip(SKIP_1) | instid1(VALU_DEP_3)
	v_lshlrev_b32_e32 v3, 20, v15
	v_lshl_add_u32 v2, v2, 23, 0x3c000000
	v_and_b32_e32 v1, 0x80000000, v1
	s_delay_alu instid0(VALU_DEP_1) | instskip(NEXT) | instid1(VALU_DEP_1)
	v_or3_b32 v15, v3, v1, v2
	v_dual_mov_b32 v45, v16 :: v_dual_mov_b32 v44, v15
.LBB285_97:                             ;   in Loop: Header=BB285_11 Depth=1
	s_or_b32 exec_lo, exec_lo, s20
.LBB285_98:                             ;   in Loop: Header=BB285_11 Depth=1
	s_delay_alu instid0(SALU_CYCLE_1)
	s_or_b32 exec_lo, exec_lo, s19
.LBB285_99:                             ;   in Loop: Header=BB285_11 Depth=1
	s_delay_alu instid0(SALU_CYCLE_1) | instskip(NEXT) | instid1(SALU_CYCLE_1)
	s_or_b32 exec_lo, exec_lo, s8
	s_mov_b32 s19, exec_lo
	v_cmpx_lt_u32_e32 0xffffff, v0
	s_cbranch_execz .LBB285_107
; %bb.100:                              ;   in Loop: Header=BB285_11 Depth=1
	v_lshrrev_b32_e32 v1, 24, v0
	v_dual_mov_b32 v71, s3 :: v_dual_mov_b32 v70, s2
	s_mov_b32 s20, exec_lo
	s_delay_alu instid0(VALU_DEP_2)
	v_cmpx_ne_u32_e32 0x80, v1
	s_cbranch_execz .LBB285_106
; %bb.101:                              ;   in Loop: Header=BB285_11 Depth=1
	s_mov_b32 s8, s2
	v_bfe_u32 v2, v0, 24, 7
	v_dual_mov_b32 v71, s9 :: v_dual_mov_b32 v70, s8
	s_mov_b32 s8, exec_lo
	s_delay_alu instid0(VALU_DEP_2)
	v_cmpx_ne_u32_e32 0x7f, v2
	s_cbranch_execz .LBB285_105
; %bb.102:                              ;   in Loop: Header=BB285_11 Depth=1
	v_and_b32_e32 v15, 7, v1
	v_lshrrev_b32_e32 v0, 3, v2
	s_mov_b32 s21, exec_lo
	v_cmpx_gt_u32_e32 8, v2
; %bb.103:                              ;   in Loop: Header=BB285_11 Depth=1
	s_delay_alu instid0(VALU_DEP_3) | instskip(NEXT) | instid1(VALU_DEP_1)
	v_clz_i32_u32_e32 v0, v15
	v_min_u32_e32 v0, 32, v0
	s_delay_alu instid0(VALU_DEP_1) | instskip(SKIP_1) | instid1(VALU_DEP_2)
	v_subrev_nc_u32_e32 v2, 28, v0
	v_sub_nc_u32_e32 v0, 29, v0
	v_lshlrev_b64 v[2:3], v2, v[15:16]
	s_delay_alu instid0(VALU_DEP_1)
	v_and_b32_e32 v15, 7, v2
; %bb.104:                              ;   in Loop: Header=BB285_11 Depth=1
	s_or_b32 exec_lo, exec_lo, s21
	v_dual_mov_b32 v70, v16 :: v_dual_lshlrev_b32 v1, 24, v1
	s_delay_alu instid0(VALU_DEP_2) | instskip(SKIP_1) | instid1(VALU_DEP_3)
	v_lshlrev_b32_e32 v2, 20, v15
	v_lshl_add_u32 v0, v0, 23, 0x3c000000
	v_and_b32_e32 v1, 0x80000000, v1
	s_delay_alu instid0(VALU_DEP_1)
	v_or3_b32 v71, v2, v1, v0
.LBB285_105:                            ;   in Loop: Header=BB285_11 Depth=1
	s_or_b32 exec_lo, exec_lo, s8
.LBB285_106:                            ;   in Loop: Header=BB285_11 Depth=1
	s_delay_alu instid0(SALU_CYCLE_1)
	s_or_b32 exec_lo, exec_lo, s20
.LBB285_107:                            ;   in Loop: Header=BB285_11 Depth=1
	s_delay_alu instid0(SALU_CYCLE_1) | instskip(SKIP_4) | instid1(VALU_DEP_1)
	s_or_b32 exec_lo, exec_lo, s19
	flat_load_b32 v0, v[154:155] offset:12
	v_mov_b32_e32 v98, 0
	v_mov_b32_e32 v99, 0
	s_mov_b32 s8, exec_lo
	v_dual_mov_b32 v133, v99 :: v_dual_mov_b32 v132, v98
	s_waitcnt vmcnt(0) lgkmcnt(0)
	v_and_b32_e32 v1, 0xff, v0
	s_delay_alu instid0(VALU_DEP_1)
	v_cmpx_ne_u16_e32 0, v1
	s_cbranch_execz .LBB285_115
; %bb.108:                              ;   in Loop: Header=BB285_11 Depth=1
	v_bfrev_b32_e32 v132, 1
	v_mov_b32_e32 v133, 0
	s_mov_b32 s19, exec_lo
	v_cmpx_ne_u16_e32 0x80, v1
	s_cbranch_execz .LBB285_114
; %bb.109:                              ;   in Loop: Header=BB285_11 Depth=1
	v_mov_b32_e32 v132, 0x7f800001
	v_dual_mov_b32 v133, 0 :: v_dual_and_b32 v2, 0x7f, v0
	s_mov_b32 s20, exec_lo
	s_delay_alu instid0(VALU_DEP_1)
	v_cmpx_ne_u32_e32 0x7f, v2
	s_cbranch_execz .LBB285_113
; %bb.110:                              ;   in Loop: Header=BB285_11 Depth=1
	v_and_b32_e32 v15, 7, v0
	v_lshrrev_b32_e32 v1, 3, v2
	s_mov_b32 s21, exec_lo
	v_cmpx_gt_u32_e32 8, v2
; %bb.111:                              ;   in Loop: Header=BB285_11 Depth=1
	s_delay_alu instid0(VALU_DEP_3) | instskip(NEXT) | instid1(VALU_DEP_1)
	v_clz_i32_u32_e32 v1, v15
	v_min_u32_e32 v1, 32, v1
	s_delay_alu instid0(VALU_DEP_1) | instskip(SKIP_1) | instid1(VALU_DEP_2)
	v_subrev_nc_u32_e32 v2, 28, v1
	v_sub_nc_u32_e32 v1, 29, v1
	v_lshlrev_b64 v[2:3], v2, v[15:16]
	s_delay_alu instid0(VALU_DEP_1)
	v_and_b32_e32 v15, 7, v2
; %bb.112:                              ;   in Loop: Header=BB285_11 Depth=1
	s_or_b32 exec_lo, exec_lo, s21
	v_lshlrev_b32_e32 v2, 24, v0
	s_delay_alu instid0(VALU_DEP_2) | instskip(SKIP_1) | instid1(VALU_DEP_3)
	v_lshlrev_b32_e32 v3, 20, v15
	v_lshl_add_u32 v1, v1, 23, 0x3c000000
	v_and_b32_e32 v2, 0x80000000, v2
	s_delay_alu instid0(VALU_DEP_1) | instskip(NEXT) | instid1(VALU_DEP_1)
	v_or3_b32 v15, v3, v2, v1
	v_dual_mov_b32 v133, v16 :: v_dual_mov_b32 v132, v15
.LBB285_113:                            ;   in Loop: Header=BB285_11 Depth=1
	s_or_b32 exec_lo, exec_lo, s20
.LBB285_114:                            ;   in Loop: Header=BB285_11 Depth=1
	s_delay_alu instid0(SALU_CYCLE_1)
	s_or_b32 exec_lo, exec_lo, s19
.LBB285_115:                            ;   in Loop: Header=BB285_11 Depth=1
	s_delay_alu instid0(SALU_CYCLE_1) | instskip(SKIP_2) | instid1(VALU_DEP_1)
	s_or_b32 exec_lo, exec_lo, s8
	v_lshrrev_b16 v1, 8, v0
	s_mov_b32 s19, exec_lo
	v_cmpx_ne_u16_e32 0, v1
	s_cbranch_execz .LBB285_123
; %bb.116:                              ;   in Loop: Header=BB285_11 Depth=1
	v_dual_mov_b32 v99, s3 :: v_dual_mov_b32 v98, s2
	s_mov_b32 s20, exec_lo
	v_cmpx_ne_u16_e32 0x80, v1
	s_cbranch_execz .LBB285_122
; %bb.117:                              ;   in Loop: Header=BB285_11 Depth=1
	s_mov_b32 s8, s2
	v_and_b32_e32 v1, 0xffff, v1
	v_dual_mov_b32 v99, s9 :: v_dual_mov_b32 v98, s8
	s_mov_b32 s8, exec_lo
	s_delay_alu instid0(VALU_DEP_2) | instskip(NEXT) | instid1(VALU_DEP_1)
	v_and_b32_e32 v2, 0x7f, v1
	v_cmpx_ne_u32_e32 0x7f, v2
	s_cbranch_execz .LBB285_121
; %bb.118:                              ;   in Loop: Header=BB285_11 Depth=1
	v_and_b32_e32 v15, 7, v1
	v_lshrrev_b32_e32 v1, 3, v2
	s_mov_b32 s21, exec_lo
	v_cmpx_gt_u32_e32 8, v2
; %bb.119:                              ;   in Loop: Header=BB285_11 Depth=1
	s_delay_alu instid0(VALU_DEP_3) | instskip(NEXT) | instid1(VALU_DEP_1)
	v_clz_i32_u32_e32 v1, v15
	v_min_u32_e32 v1, 32, v1
	s_delay_alu instid0(VALU_DEP_1) | instskip(SKIP_1) | instid1(VALU_DEP_2)
	v_subrev_nc_u32_e32 v2, 28, v1
	v_sub_nc_u32_e32 v1, 29, v1
	v_lshlrev_b64 v[2:3], v2, v[15:16]
	s_delay_alu instid0(VALU_DEP_1)
	v_and_b32_e32 v15, 7, v2
; %bb.120:                              ;   in Loop: Header=BB285_11 Depth=1
	s_or_b32 exec_lo, exec_lo, s21
	v_lshlrev_b32_e32 v2, 16, v0
	s_delay_alu instid0(VALU_DEP_2) | instskip(SKIP_1) | instid1(VALU_DEP_3)
	v_dual_mov_b32 v98, v16 :: v_dual_lshlrev_b32 v3, 20, v15
	v_lshl_add_u32 v1, v1, 23, 0x3c000000
	v_and_b32_e32 v2, 0x80000000, v2
	s_delay_alu instid0(VALU_DEP_1)
	v_or3_b32 v99, v3, v2, v1
.LBB285_121:                            ;   in Loop: Header=BB285_11 Depth=1
	s_or_b32 exec_lo, exec_lo, s8
.LBB285_122:                            ;   in Loop: Header=BB285_11 Depth=1
	s_delay_alu instid0(SALU_CYCLE_1)
	s_or_b32 exec_lo, exec_lo, s20
.LBB285_123:                            ;   in Loop: Header=BB285_11 Depth=1
	s_delay_alu instid0(SALU_CYCLE_1) | instskip(SKIP_4) | instid1(VALU_DEP_1)
	s_or_b32 exec_lo, exec_lo, s19
	v_mov_b32_e32 v52, 0
	v_lshrrev_b32_e32 v1, 16, v0
	v_mov_b32_e32 v53, 0
	s_mov_b32 s8, exec_lo
	v_dual_mov_b32 v101, v53 :: v_dual_and_b32 v2, 0xff, v1
	v_mov_b32_e32 v100, v52
	s_delay_alu instid0(VALU_DEP_2)
	v_cmpx_ne_u16_e32 0, v2
	s_cbranch_execz .LBB285_131
; %bb.124:                              ;   in Loop: Header=BB285_11 Depth=1
	v_bfrev_b32_e32 v100, 1
	v_mov_b32_e32 v101, 0
	s_mov_b32 s19, exec_lo
	v_cmpx_ne_u16_e32 0x80, v2
	s_cbranch_execz .LBB285_130
; %bb.125:                              ;   in Loop: Header=BB285_11 Depth=1
	v_mov_b32_e32 v100, 0x7f800001
	v_bfe_u32 v3, v0, 16, 7
	v_mov_b32_e32 v101, 0
	s_mov_b32 s20, exec_lo
	s_delay_alu instid0(VALU_DEP_2)
	v_cmpx_ne_u32_e32 0x7f, v3
	s_cbranch_execz .LBB285_129
; %bb.126:                              ;   in Loop: Header=BB285_11 Depth=1
	v_and_b32_e32 v15, 7, v1
	v_lshrrev_b32_e32 v2, 3, v3
	s_mov_b32 s21, exec_lo
	v_cmpx_gt_u32_e32 8, v3
; %bb.127:                              ;   in Loop: Header=BB285_11 Depth=1
	s_delay_alu instid0(VALU_DEP_3) | instskip(NEXT) | instid1(VALU_DEP_1)
	v_clz_i32_u32_e32 v2, v15
	v_min_u32_e32 v2, 32, v2
	s_delay_alu instid0(VALU_DEP_1) | instskip(SKIP_1) | instid1(VALU_DEP_2)
	v_subrev_nc_u32_e32 v3, 28, v2
	v_sub_nc_u32_e32 v2, 29, v2
	v_lshlrev_b64 v[3:4], v3, v[15:16]
	s_delay_alu instid0(VALU_DEP_1)
	v_and_b32_e32 v15, 7, v3
; %bb.128:                              ;   in Loop: Header=BB285_11 Depth=1
	s_or_b32 exec_lo, exec_lo, s21
	v_lshlrev_b32_e32 v1, 24, v1
	s_delay_alu instid0(VALU_DEP_2) | instskip(SKIP_1) | instid1(VALU_DEP_3)
	v_lshlrev_b32_e32 v3, 20, v15
	v_lshl_add_u32 v2, v2, 23, 0x3c000000
	v_and_b32_e32 v1, 0x80000000, v1
	s_delay_alu instid0(VALU_DEP_1) | instskip(NEXT) | instid1(VALU_DEP_1)
	v_or3_b32 v15, v3, v1, v2
	v_dual_mov_b32 v101, v16 :: v_dual_mov_b32 v100, v15
.LBB285_129:                            ;   in Loop: Header=BB285_11 Depth=1
	s_or_b32 exec_lo, exec_lo, s20
.LBB285_130:                            ;   in Loop: Header=BB285_11 Depth=1
	s_delay_alu instid0(SALU_CYCLE_1)
	s_or_b32 exec_lo, exec_lo, s19
.LBB285_131:                            ;   in Loop: Header=BB285_11 Depth=1
	s_delay_alu instid0(SALU_CYCLE_1) | instskip(NEXT) | instid1(SALU_CYCLE_1)
	s_or_b32 exec_lo, exec_lo, s8
	s_mov_b32 s19, exec_lo
	v_cmpx_lt_u32_e32 0xffffff, v0
	s_cbranch_execz .LBB285_139
; %bb.132:                              ;   in Loop: Header=BB285_11 Depth=1
	v_lshrrev_b32_e32 v1, 24, v0
	v_dual_mov_b32 v53, s3 :: v_dual_mov_b32 v52, s2
	s_mov_b32 s20, exec_lo
	s_delay_alu instid0(VALU_DEP_2)
	v_cmpx_ne_u32_e32 0x80, v1
	s_cbranch_execz .LBB285_138
; %bb.133:                              ;   in Loop: Header=BB285_11 Depth=1
	s_mov_b32 s8, s2
	v_bfe_u32 v2, v0, 24, 7
	v_dual_mov_b32 v53, s9 :: v_dual_mov_b32 v52, s8
	s_mov_b32 s8, exec_lo
	s_delay_alu instid0(VALU_DEP_2)
	v_cmpx_ne_u32_e32 0x7f, v2
	s_cbranch_execz .LBB285_137
; %bb.134:                              ;   in Loop: Header=BB285_11 Depth=1
	v_and_b32_e32 v15, 7, v1
	v_lshrrev_b32_e32 v0, 3, v2
	s_mov_b32 s21, exec_lo
	v_cmpx_gt_u32_e32 8, v2
; %bb.135:                              ;   in Loop: Header=BB285_11 Depth=1
	s_delay_alu instid0(VALU_DEP_3) | instskip(NEXT) | instid1(VALU_DEP_1)
	v_clz_i32_u32_e32 v0, v15
	v_min_u32_e32 v0, 32, v0
	s_delay_alu instid0(VALU_DEP_1) | instskip(SKIP_1) | instid1(VALU_DEP_2)
	v_subrev_nc_u32_e32 v2, 28, v0
	v_sub_nc_u32_e32 v0, 29, v0
	v_lshlrev_b64 v[2:3], v2, v[15:16]
	s_delay_alu instid0(VALU_DEP_1)
	v_and_b32_e32 v15, 7, v2
; %bb.136:                              ;   in Loop: Header=BB285_11 Depth=1
	s_or_b32 exec_lo, exec_lo, s21
	v_dual_mov_b32 v52, v16 :: v_dual_lshlrev_b32 v1, 24, v1
	s_delay_alu instid0(VALU_DEP_2) | instskip(SKIP_1) | instid1(VALU_DEP_3)
	v_lshlrev_b32_e32 v2, 20, v15
	v_lshl_add_u32 v0, v0, 23, 0x3c000000
	v_and_b32_e32 v1, 0x80000000, v1
	s_delay_alu instid0(VALU_DEP_1)
	v_or3_b32 v53, v2, v1, v0
.LBB285_137:                            ;   in Loop: Header=BB285_11 Depth=1
	s_or_b32 exec_lo, exec_lo, s8
.LBB285_138:                            ;   in Loop: Header=BB285_11 Depth=1
	s_delay_alu instid0(SALU_CYCLE_1)
	s_or_b32 exec_lo, exec_lo, s20
.LBB285_139:                            ;   in Loop: Header=BB285_11 Depth=1
	s_delay_alu instid0(SALU_CYCLE_1) | instskip(SKIP_3) | instid1(VALU_DEP_2)
	s_or_b32 exec_lo, exec_lo, s19
	flat_load_b32 v0, v[154:155] offset:512
	v_mov_b32_e32 v166, 0
	v_mov_b32_e32 v167, 0
	;; [unrolled: 1-line block ×3, first 2 shown]
	s_mov_b32 s8, exec_lo
	s_delay_alu instid0(VALU_DEP_2) | instskip(SKIP_2) | instid1(VALU_DEP_1)
	v_mov_b32_e32 v31, v167
	s_waitcnt vmcnt(0) lgkmcnt(0)
	v_and_b32_e32 v1, 0xff, v0
	v_cmpx_ne_u16_e32 0, v1
	s_cbranch_execz .LBB285_147
; %bb.140:                              ;   in Loop: Header=BB285_11 Depth=1
	v_bfrev_b32_e32 v30, 1
	v_mov_b32_e32 v31, 0
	s_mov_b32 s19, exec_lo
	v_cmpx_ne_u16_e32 0x80, v1
	s_cbranch_execz .LBB285_146
; %bb.141:                              ;   in Loop: Header=BB285_11 Depth=1
	v_mov_b32_e32 v30, 0x7f800001
	v_dual_mov_b32 v31, 0 :: v_dual_and_b32 v2, 0x7f, v0
	s_mov_b32 s20, exec_lo
	s_delay_alu instid0(VALU_DEP_1)
	v_cmpx_ne_u32_e32 0x7f, v2
	s_cbranch_execz .LBB285_145
; %bb.142:                              ;   in Loop: Header=BB285_11 Depth=1
	v_and_b32_e32 v15, 7, v0
	v_lshrrev_b32_e32 v1, 3, v2
	s_mov_b32 s21, exec_lo
	v_cmpx_gt_u32_e32 8, v2
; %bb.143:                              ;   in Loop: Header=BB285_11 Depth=1
	s_delay_alu instid0(VALU_DEP_3) | instskip(NEXT) | instid1(VALU_DEP_1)
	v_clz_i32_u32_e32 v1, v15
	v_min_u32_e32 v1, 32, v1
	s_delay_alu instid0(VALU_DEP_1) | instskip(SKIP_1) | instid1(VALU_DEP_2)
	v_subrev_nc_u32_e32 v2, 28, v1
	v_sub_nc_u32_e32 v1, 29, v1
	v_lshlrev_b64 v[2:3], v2, v[15:16]
	s_delay_alu instid0(VALU_DEP_1)
	v_and_b32_e32 v15, 7, v2
; %bb.144:                              ;   in Loop: Header=BB285_11 Depth=1
	s_or_b32 exec_lo, exec_lo, s21
	v_lshlrev_b32_e32 v2, 24, v0
	s_delay_alu instid0(VALU_DEP_2) | instskip(SKIP_1) | instid1(VALU_DEP_3)
	v_lshlrev_b32_e32 v3, 20, v15
	v_lshl_add_u32 v1, v1, 23, 0x3c000000
	v_and_b32_e32 v2, 0x80000000, v2
	s_delay_alu instid0(VALU_DEP_1) | instskip(NEXT) | instid1(VALU_DEP_1)
	v_or3_b32 v15, v3, v2, v1
	v_dual_mov_b32 v31, v16 :: v_dual_mov_b32 v30, v15
.LBB285_145:                            ;   in Loop: Header=BB285_11 Depth=1
	s_or_b32 exec_lo, exec_lo, s20
.LBB285_146:                            ;   in Loop: Header=BB285_11 Depth=1
	s_delay_alu instid0(SALU_CYCLE_1)
	s_or_b32 exec_lo, exec_lo, s19
.LBB285_147:                            ;   in Loop: Header=BB285_11 Depth=1
	s_delay_alu instid0(SALU_CYCLE_1) | instskip(SKIP_2) | instid1(VALU_DEP_1)
	s_or_b32 exec_lo, exec_lo, s8
	v_lshrrev_b16 v1, 8, v0
	s_mov_b32 s19, exec_lo
	v_cmpx_ne_u16_e32 0, v1
	s_cbranch_execz .LBB285_155
; %bb.148:                              ;   in Loop: Header=BB285_11 Depth=1
	v_dual_mov_b32 v167, s3 :: v_dual_mov_b32 v166, s2
	s_mov_b32 s20, exec_lo
	v_cmpx_ne_u16_e32 0x80, v1
	s_cbranch_execz .LBB285_154
; %bb.149:                              ;   in Loop: Header=BB285_11 Depth=1
	s_mov_b32 s8, s2
	v_and_b32_e32 v1, 0xffff, v1
	v_dual_mov_b32 v167, s9 :: v_dual_mov_b32 v166, s8
	s_mov_b32 s8, exec_lo
	s_delay_alu instid0(VALU_DEP_2) | instskip(NEXT) | instid1(VALU_DEP_1)
	v_and_b32_e32 v2, 0x7f, v1
	v_cmpx_ne_u32_e32 0x7f, v2
	s_cbranch_execz .LBB285_153
; %bb.150:                              ;   in Loop: Header=BB285_11 Depth=1
	v_and_b32_e32 v15, 7, v1
	v_lshrrev_b32_e32 v1, 3, v2
	s_mov_b32 s21, exec_lo
	v_cmpx_gt_u32_e32 8, v2
; %bb.151:                              ;   in Loop: Header=BB285_11 Depth=1
	s_delay_alu instid0(VALU_DEP_3) | instskip(NEXT) | instid1(VALU_DEP_1)
	v_clz_i32_u32_e32 v1, v15
	v_min_u32_e32 v1, 32, v1
	s_delay_alu instid0(VALU_DEP_1) | instskip(SKIP_1) | instid1(VALU_DEP_2)
	v_subrev_nc_u32_e32 v2, 28, v1
	v_sub_nc_u32_e32 v1, 29, v1
	v_lshlrev_b64 v[2:3], v2, v[15:16]
	s_delay_alu instid0(VALU_DEP_1)
	v_and_b32_e32 v15, 7, v2
; %bb.152:                              ;   in Loop: Header=BB285_11 Depth=1
	s_or_b32 exec_lo, exec_lo, s21
	v_lshlrev_b32_e32 v2, 16, v0
	s_delay_alu instid0(VALU_DEP_2) | instskip(SKIP_1) | instid1(VALU_DEP_3)
	v_dual_mov_b32 v166, v16 :: v_dual_lshlrev_b32 v3, 20, v15
	v_lshl_add_u32 v1, v1, 23, 0x3c000000
	v_and_b32_e32 v2, 0x80000000, v2
	s_delay_alu instid0(VALU_DEP_1)
	v_or3_b32 v167, v3, v2, v1
.LBB285_153:                            ;   in Loop: Header=BB285_11 Depth=1
	s_or_b32 exec_lo, exec_lo, s8
.LBB285_154:                            ;   in Loop: Header=BB285_11 Depth=1
	s_delay_alu instid0(SALU_CYCLE_1)
	s_or_b32 exec_lo, exec_lo, s20
.LBB285_155:                            ;   in Loop: Header=BB285_11 Depth=1
	s_delay_alu instid0(SALU_CYCLE_1) | instskip(SKIP_4) | instid1(VALU_DEP_1)
	s_or_b32 exec_lo, exec_lo, s19
	v_mov_b32_e32 v38, 0
	v_lshrrev_b32_e32 v1, 16, v0
	v_mov_b32_e32 v39, 0
	s_mov_b32 s8, exec_lo
	v_dual_mov_b32 v69, v39 :: v_dual_and_b32 v2, 0xff, v1
	v_mov_b32_e32 v68, v38
	s_delay_alu instid0(VALU_DEP_2)
	v_cmpx_ne_u16_e32 0, v2
	s_cbranch_execz .LBB285_163
; %bb.156:                              ;   in Loop: Header=BB285_11 Depth=1
	v_bfrev_b32_e32 v68, 1
	v_mov_b32_e32 v69, 0
	s_mov_b32 s19, exec_lo
	v_cmpx_ne_u16_e32 0x80, v2
	s_cbranch_execz .LBB285_162
; %bb.157:                              ;   in Loop: Header=BB285_11 Depth=1
	v_mov_b32_e32 v68, 0x7f800001
	v_bfe_u32 v3, v0, 16, 7
	v_mov_b32_e32 v69, 0
	s_mov_b32 s20, exec_lo
	s_delay_alu instid0(VALU_DEP_2)
	v_cmpx_ne_u32_e32 0x7f, v3
	s_cbranch_execz .LBB285_161
; %bb.158:                              ;   in Loop: Header=BB285_11 Depth=1
	v_and_b32_e32 v15, 7, v1
	v_lshrrev_b32_e32 v2, 3, v3
	s_mov_b32 s21, exec_lo
	v_cmpx_gt_u32_e32 8, v3
; %bb.159:                              ;   in Loop: Header=BB285_11 Depth=1
	s_delay_alu instid0(VALU_DEP_3) | instskip(NEXT) | instid1(VALU_DEP_1)
	v_clz_i32_u32_e32 v2, v15
	v_min_u32_e32 v2, 32, v2
	s_delay_alu instid0(VALU_DEP_1) | instskip(SKIP_1) | instid1(VALU_DEP_2)
	v_subrev_nc_u32_e32 v3, 28, v2
	v_sub_nc_u32_e32 v2, 29, v2
	v_lshlrev_b64 v[3:4], v3, v[15:16]
	s_delay_alu instid0(VALU_DEP_1)
	v_and_b32_e32 v15, 7, v3
; %bb.160:                              ;   in Loop: Header=BB285_11 Depth=1
	s_or_b32 exec_lo, exec_lo, s21
	v_lshlrev_b32_e32 v1, 24, v1
	s_delay_alu instid0(VALU_DEP_2) | instskip(SKIP_1) | instid1(VALU_DEP_3)
	v_lshlrev_b32_e32 v3, 20, v15
	v_lshl_add_u32 v2, v2, 23, 0x3c000000
	v_and_b32_e32 v1, 0x80000000, v1
	s_delay_alu instid0(VALU_DEP_1) | instskip(NEXT) | instid1(VALU_DEP_1)
	v_or3_b32 v15, v3, v1, v2
	v_dual_mov_b32 v69, v16 :: v_dual_mov_b32 v68, v15
.LBB285_161:                            ;   in Loop: Header=BB285_11 Depth=1
	s_or_b32 exec_lo, exec_lo, s20
.LBB285_162:                            ;   in Loop: Header=BB285_11 Depth=1
	s_delay_alu instid0(SALU_CYCLE_1)
	s_or_b32 exec_lo, exec_lo, s19
.LBB285_163:                            ;   in Loop: Header=BB285_11 Depth=1
	s_delay_alu instid0(SALU_CYCLE_1) | instskip(NEXT) | instid1(SALU_CYCLE_1)
	s_or_b32 exec_lo, exec_lo, s8
	s_mov_b32 s19, exec_lo
	v_cmpx_lt_u32_e32 0xffffff, v0
	s_cbranch_execz .LBB285_171
; %bb.164:                              ;   in Loop: Header=BB285_11 Depth=1
	v_lshrrev_b32_e32 v1, 24, v0
	v_dual_mov_b32 v39, s3 :: v_dual_mov_b32 v38, s2
	s_mov_b32 s20, exec_lo
	s_delay_alu instid0(VALU_DEP_2)
	v_cmpx_ne_u32_e32 0x80, v1
	s_cbranch_execz .LBB285_170
; %bb.165:                              ;   in Loop: Header=BB285_11 Depth=1
	s_mov_b32 s8, s2
	v_bfe_u32 v2, v0, 24, 7
	v_dual_mov_b32 v39, s9 :: v_dual_mov_b32 v38, s8
	s_mov_b32 s8, exec_lo
	s_delay_alu instid0(VALU_DEP_2)
	v_cmpx_ne_u32_e32 0x7f, v2
	s_cbranch_execz .LBB285_169
; %bb.166:                              ;   in Loop: Header=BB285_11 Depth=1
	v_and_b32_e32 v15, 7, v1
	v_lshrrev_b32_e32 v0, 3, v2
	s_mov_b32 s21, exec_lo
	v_cmpx_gt_u32_e32 8, v2
; %bb.167:                              ;   in Loop: Header=BB285_11 Depth=1
	s_delay_alu instid0(VALU_DEP_3) | instskip(NEXT) | instid1(VALU_DEP_1)
	v_clz_i32_u32_e32 v0, v15
	v_min_u32_e32 v0, 32, v0
	s_delay_alu instid0(VALU_DEP_1) | instskip(SKIP_1) | instid1(VALU_DEP_2)
	v_subrev_nc_u32_e32 v2, 28, v0
	v_sub_nc_u32_e32 v0, 29, v0
	v_lshlrev_b64 v[2:3], v2, v[15:16]
	s_delay_alu instid0(VALU_DEP_1)
	v_and_b32_e32 v15, 7, v2
; %bb.168:                              ;   in Loop: Header=BB285_11 Depth=1
	s_or_b32 exec_lo, exec_lo, s21
	v_dual_mov_b32 v38, v16 :: v_dual_lshlrev_b32 v1, 24, v1
	s_delay_alu instid0(VALU_DEP_2) | instskip(SKIP_1) | instid1(VALU_DEP_3)
	v_lshlrev_b32_e32 v2, 20, v15
	v_lshl_add_u32 v0, v0, 23, 0x3c000000
	v_and_b32_e32 v1, 0x80000000, v1
	s_delay_alu instid0(VALU_DEP_1)
	v_or3_b32 v39, v2, v1, v0
.LBB285_169:                            ;   in Loop: Header=BB285_11 Depth=1
	s_or_b32 exec_lo, exec_lo, s8
.LBB285_170:                            ;   in Loop: Header=BB285_11 Depth=1
	s_delay_alu instid0(SALU_CYCLE_1)
	s_or_b32 exec_lo, exec_lo, s20
.LBB285_171:                            ;   in Loop: Header=BB285_11 Depth=1
	s_delay_alu instid0(SALU_CYCLE_1) | instskip(SKIP_4) | instid1(VALU_DEP_1)
	s_or_b32 exec_lo, exec_lo, s19
	flat_load_b32 v0, v[154:155] offset:516
	v_mov_b32_e32 v178, 0
	v_mov_b32_e32 v179, 0
	s_mov_b32 s8, exec_lo
	v_dual_mov_b32 v181, v179 :: v_dual_mov_b32 v180, v178
	s_waitcnt vmcnt(0) lgkmcnt(0)
	v_and_b32_e32 v1, 0xff, v0
	s_delay_alu instid0(VALU_DEP_1)
	v_cmpx_ne_u16_e32 0, v1
	s_cbranch_execz .LBB285_179
; %bb.172:                              ;   in Loop: Header=BB285_11 Depth=1
	v_bfrev_b32_e32 v180, 1
	v_mov_b32_e32 v181, 0
	s_mov_b32 s19, exec_lo
	v_cmpx_ne_u16_e32 0x80, v1
	s_cbranch_execz .LBB285_178
; %bb.173:                              ;   in Loop: Header=BB285_11 Depth=1
	v_mov_b32_e32 v180, 0x7f800001
	v_dual_mov_b32 v181, 0 :: v_dual_and_b32 v2, 0x7f, v0
	s_mov_b32 s20, exec_lo
	s_delay_alu instid0(VALU_DEP_1)
	v_cmpx_ne_u32_e32 0x7f, v2
	s_cbranch_execz .LBB285_177
; %bb.174:                              ;   in Loop: Header=BB285_11 Depth=1
	v_and_b32_e32 v15, 7, v0
	v_lshrrev_b32_e32 v1, 3, v2
	s_mov_b32 s21, exec_lo
	v_cmpx_gt_u32_e32 8, v2
; %bb.175:                              ;   in Loop: Header=BB285_11 Depth=1
	s_delay_alu instid0(VALU_DEP_3) | instskip(NEXT) | instid1(VALU_DEP_1)
	v_clz_i32_u32_e32 v1, v15
	v_min_u32_e32 v1, 32, v1
	s_delay_alu instid0(VALU_DEP_1) | instskip(SKIP_1) | instid1(VALU_DEP_2)
	v_subrev_nc_u32_e32 v2, 28, v1
	v_sub_nc_u32_e32 v1, 29, v1
	v_lshlrev_b64 v[2:3], v2, v[15:16]
	s_delay_alu instid0(VALU_DEP_1)
	v_and_b32_e32 v15, 7, v2
; %bb.176:                              ;   in Loop: Header=BB285_11 Depth=1
	s_or_b32 exec_lo, exec_lo, s21
	v_lshlrev_b32_e32 v2, 24, v0
	s_delay_alu instid0(VALU_DEP_2) | instskip(SKIP_1) | instid1(VALU_DEP_3)
	v_lshlrev_b32_e32 v3, 20, v15
	v_lshl_add_u32 v1, v1, 23, 0x3c000000
	v_and_b32_e32 v2, 0x80000000, v2
	s_delay_alu instid0(VALU_DEP_1) | instskip(NEXT) | instid1(VALU_DEP_1)
	v_or3_b32 v15, v3, v2, v1
	v_dual_mov_b32 v181, v16 :: v_dual_mov_b32 v180, v15
.LBB285_177:                            ;   in Loop: Header=BB285_11 Depth=1
	s_or_b32 exec_lo, exec_lo, s20
.LBB285_178:                            ;   in Loop: Header=BB285_11 Depth=1
	s_delay_alu instid0(SALU_CYCLE_1)
	s_or_b32 exec_lo, exec_lo, s19
.LBB285_179:                            ;   in Loop: Header=BB285_11 Depth=1
	s_delay_alu instid0(SALU_CYCLE_1) | instskip(SKIP_2) | instid1(VALU_DEP_1)
	s_or_b32 exec_lo, exec_lo, s8
	v_lshrrev_b16 v1, 8, v0
	s_mov_b32 s19, exec_lo
	v_cmpx_ne_u16_e32 0, v1
	s_cbranch_execz .LBB285_187
; %bb.180:                              ;   in Loop: Header=BB285_11 Depth=1
	v_dual_mov_b32 v179, s3 :: v_dual_mov_b32 v178, s2
	s_mov_b32 s20, exec_lo
	v_cmpx_ne_u16_e32 0x80, v1
	s_cbranch_execz .LBB285_186
; %bb.181:                              ;   in Loop: Header=BB285_11 Depth=1
	s_mov_b32 s8, s2
	v_and_b32_e32 v1, 0xffff, v1
	v_dual_mov_b32 v179, s9 :: v_dual_mov_b32 v178, s8
	s_mov_b32 s8, exec_lo
	s_delay_alu instid0(VALU_DEP_2) | instskip(NEXT) | instid1(VALU_DEP_1)
	v_and_b32_e32 v2, 0x7f, v1
	v_cmpx_ne_u32_e32 0x7f, v2
	s_cbranch_execz .LBB285_185
; %bb.182:                              ;   in Loop: Header=BB285_11 Depth=1
	v_and_b32_e32 v15, 7, v1
	v_lshrrev_b32_e32 v1, 3, v2
	s_mov_b32 s21, exec_lo
	v_cmpx_gt_u32_e32 8, v2
; %bb.183:                              ;   in Loop: Header=BB285_11 Depth=1
	s_delay_alu instid0(VALU_DEP_3) | instskip(NEXT) | instid1(VALU_DEP_1)
	v_clz_i32_u32_e32 v1, v15
	v_min_u32_e32 v1, 32, v1
	s_delay_alu instid0(VALU_DEP_1) | instskip(SKIP_1) | instid1(VALU_DEP_2)
	v_subrev_nc_u32_e32 v2, 28, v1
	v_sub_nc_u32_e32 v1, 29, v1
	v_lshlrev_b64 v[2:3], v2, v[15:16]
	s_delay_alu instid0(VALU_DEP_1)
	v_and_b32_e32 v15, 7, v2
; %bb.184:                              ;   in Loop: Header=BB285_11 Depth=1
	s_or_b32 exec_lo, exec_lo, s21
	v_lshlrev_b32_e32 v2, 16, v0
	s_delay_alu instid0(VALU_DEP_2) | instskip(SKIP_1) | instid1(VALU_DEP_3)
	v_dual_mov_b32 v178, v16 :: v_dual_lshlrev_b32 v3, 20, v15
	v_lshl_add_u32 v1, v1, 23, 0x3c000000
	v_and_b32_e32 v2, 0x80000000, v2
	s_delay_alu instid0(VALU_DEP_1)
	v_or3_b32 v179, v3, v2, v1
.LBB285_185:                            ;   in Loop: Header=BB285_11 Depth=1
	s_or_b32 exec_lo, exec_lo, s8
.LBB285_186:                            ;   in Loop: Header=BB285_11 Depth=1
	s_delay_alu instid0(SALU_CYCLE_1)
	s_or_b32 exec_lo, exec_lo, s20
.LBB285_187:                            ;   in Loop: Header=BB285_11 Depth=1
	s_delay_alu instid0(SALU_CYCLE_1) | instskip(SKIP_4) | instid1(VALU_DEP_2)
	s_or_b32 exec_lo, exec_lo, s19
	v_mov_b32_e32 v182, 0
	v_lshrrev_b32_e32 v1, 16, v0
	v_mov_b32_e32 v183, 0
	s_mov_b32 s8, exec_lo
	v_and_b32_e32 v2, 0xff, v1
	s_delay_alu instid0(VALU_DEP_2) | instskip(NEXT) | instid1(VALU_DEP_2)
	v_dual_mov_b32 v130, v182 :: v_dual_mov_b32 v131, v183
	v_cmpx_ne_u16_e32 0, v2
	s_cbranch_execz .LBB285_195
; %bb.188:                              ;   in Loop: Header=BB285_11 Depth=1
	v_bfrev_b32_e32 v130, 1
	v_mov_b32_e32 v131, 0
	s_mov_b32 s19, exec_lo
	v_cmpx_ne_u16_e32 0x80, v2
	s_cbranch_execz .LBB285_194
; %bb.189:                              ;   in Loop: Header=BB285_11 Depth=1
	v_mov_b32_e32 v130, 0x7f800001
	v_bfe_u32 v3, v0, 16, 7
	v_mov_b32_e32 v131, 0
	s_mov_b32 s20, exec_lo
	s_delay_alu instid0(VALU_DEP_2)
	v_cmpx_ne_u32_e32 0x7f, v3
	s_cbranch_execz .LBB285_193
; %bb.190:                              ;   in Loop: Header=BB285_11 Depth=1
	v_and_b32_e32 v15, 7, v1
	v_lshrrev_b32_e32 v2, 3, v3
	s_mov_b32 s21, exec_lo
	v_cmpx_gt_u32_e32 8, v3
; %bb.191:                              ;   in Loop: Header=BB285_11 Depth=1
	s_delay_alu instid0(VALU_DEP_3) | instskip(NEXT) | instid1(VALU_DEP_1)
	v_clz_i32_u32_e32 v2, v15
	v_min_u32_e32 v2, 32, v2
	s_delay_alu instid0(VALU_DEP_1) | instskip(SKIP_1) | instid1(VALU_DEP_2)
	v_subrev_nc_u32_e32 v3, 28, v2
	v_sub_nc_u32_e32 v2, 29, v2
	v_lshlrev_b64 v[3:4], v3, v[15:16]
	s_delay_alu instid0(VALU_DEP_1)
	v_and_b32_e32 v15, 7, v3
; %bb.192:                              ;   in Loop: Header=BB285_11 Depth=1
	s_or_b32 exec_lo, exec_lo, s21
	v_lshlrev_b32_e32 v1, 24, v1
	s_delay_alu instid0(VALU_DEP_2) | instskip(SKIP_1) | instid1(VALU_DEP_3)
	v_lshlrev_b32_e32 v3, 20, v15
	v_lshl_add_u32 v2, v2, 23, 0x3c000000
	v_and_b32_e32 v1, 0x80000000, v1
	s_delay_alu instid0(VALU_DEP_1) | instskip(NEXT) | instid1(VALU_DEP_1)
	v_or3_b32 v15, v3, v1, v2
	v_dual_mov_b32 v131, v16 :: v_dual_mov_b32 v130, v15
.LBB285_193:                            ;   in Loop: Header=BB285_11 Depth=1
	s_or_b32 exec_lo, exec_lo, s20
.LBB285_194:                            ;   in Loop: Header=BB285_11 Depth=1
	s_delay_alu instid0(SALU_CYCLE_1)
	s_or_b32 exec_lo, exec_lo, s19
.LBB285_195:                            ;   in Loop: Header=BB285_11 Depth=1
	s_delay_alu instid0(SALU_CYCLE_1) | instskip(NEXT) | instid1(SALU_CYCLE_1)
	s_or_b32 exec_lo, exec_lo, s8
	s_mov_b32 s19, exec_lo
	v_cmpx_lt_u32_e32 0xffffff, v0
	s_cbranch_execz .LBB285_203
; %bb.196:                              ;   in Loop: Header=BB285_11 Depth=1
	v_lshrrev_b32_e32 v1, 24, v0
	v_dual_mov_b32 v183, s3 :: v_dual_mov_b32 v182, s2
	s_mov_b32 s20, exec_lo
	s_delay_alu instid0(VALU_DEP_2)
	v_cmpx_ne_u32_e32 0x80, v1
	s_cbranch_execz .LBB285_202
; %bb.197:                              ;   in Loop: Header=BB285_11 Depth=1
	s_mov_b32 s8, s2
	v_bfe_u32 v2, v0, 24, 7
	v_dual_mov_b32 v183, s9 :: v_dual_mov_b32 v182, s8
	s_mov_b32 s8, exec_lo
	s_delay_alu instid0(VALU_DEP_2)
	v_cmpx_ne_u32_e32 0x7f, v2
	s_cbranch_execz .LBB285_201
; %bb.198:                              ;   in Loop: Header=BB285_11 Depth=1
	v_and_b32_e32 v15, 7, v1
	v_lshrrev_b32_e32 v0, 3, v2
	s_mov_b32 s21, exec_lo
	v_cmpx_gt_u32_e32 8, v2
; %bb.199:                              ;   in Loop: Header=BB285_11 Depth=1
	s_delay_alu instid0(VALU_DEP_3) | instskip(NEXT) | instid1(VALU_DEP_1)
	v_clz_i32_u32_e32 v0, v15
	v_min_u32_e32 v0, 32, v0
	s_delay_alu instid0(VALU_DEP_1) | instskip(SKIP_1) | instid1(VALU_DEP_2)
	v_subrev_nc_u32_e32 v2, 28, v0
	v_sub_nc_u32_e32 v0, 29, v0
	v_lshlrev_b64 v[2:3], v2, v[15:16]
	s_delay_alu instid0(VALU_DEP_1)
	v_and_b32_e32 v15, 7, v2
; %bb.200:                              ;   in Loop: Header=BB285_11 Depth=1
	s_or_b32 exec_lo, exec_lo, s21
	v_dual_mov_b32 v182, v16 :: v_dual_lshlrev_b32 v1, 24, v1
	s_delay_alu instid0(VALU_DEP_2) | instskip(SKIP_1) | instid1(VALU_DEP_3)
	v_lshlrev_b32_e32 v2, 20, v15
	v_lshl_add_u32 v0, v0, 23, 0x3c000000
	v_and_b32_e32 v1, 0x80000000, v1
	s_delay_alu instid0(VALU_DEP_1)
	v_or3_b32 v183, v2, v1, v0
.LBB285_201:                            ;   in Loop: Header=BB285_11 Depth=1
	s_or_b32 exec_lo, exec_lo, s8
.LBB285_202:                            ;   in Loop: Header=BB285_11 Depth=1
	s_delay_alu instid0(SALU_CYCLE_1)
	s_or_b32 exec_lo, exec_lo, s20
.LBB285_203:                            ;   in Loop: Header=BB285_11 Depth=1
	s_delay_alu instid0(SALU_CYCLE_1)
	s_or_b32 exec_lo, exec_lo, s19
	flat_load_b32 v0, v[154:155] offset:520
	v_mov_b32_e32 v17, 0
	v_mov_b32_e32 v18, 0
	s_mov_b32 s8, exec_lo
	s_waitcnt vmcnt(0) lgkmcnt(0)
	v_and_b32_e32 v1, 0xff, v0
	scratch_store_b64 off, v[17:18], s32 offset:328 ; 8-byte Folded Spill
	v_cmpx_ne_u16_e32 0, v1
	s_cbranch_execz .LBB285_211
; %bb.204:                              ;   in Loop: Header=BB285_11 Depth=1
	v_cmp_ne_u16_e64 s1, 0x80, v1
	v_bfrev_b32_e32 v1, 1
	v_mov_b32_e32 v2, 0
	scratch_store_b64 off, v[1:2], s32 offset:328 ; 8-byte Folded Spill
	s_and_saveexec_b32 s19, s1
	s_cbranch_execz .LBB285_210
; %bb.205:                              ;   in Loop: Header=BB285_11 Depth=1
	v_mov_b32_e32 v3, 0x7f800001
	v_and_b32_e32 v2, 0x7f, v0
	v_mov_b32_e32 v4, 0
	s_mov_b32 s20, exec_lo
	scratch_store_b64 off, v[3:4], s32 offset:328 ; 8-byte Folded Spill
	v_cmpx_ne_u32_e32 0x7f, v2
	s_cbranch_execz .LBB285_209
; %bb.206:                              ;   in Loop: Header=BB285_11 Depth=1
	v_and_b32_e32 v15, 7, v0
	v_lshrrev_b32_e32 v1, 3, v2
	s_mov_b32 s21, exec_lo
	v_cmpx_gt_u32_e32 8, v2
; %bb.207:                              ;   in Loop: Header=BB285_11 Depth=1
	s_delay_alu instid0(VALU_DEP_3) | instskip(NEXT) | instid1(VALU_DEP_1)
	v_clz_i32_u32_e32 v1, v15
	v_min_u32_e32 v1, 32, v1
	s_delay_alu instid0(VALU_DEP_1) | instskip(SKIP_1) | instid1(VALU_DEP_2)
	v_subrev_nc_u32_e32 v2, 28, v1
	v_sub_nc_u32_e32 v1, 29, v1
	v_lshlrev_b64 v[2:3], v2, v[15:16]
	s_delay_alu instid0(VALU_DEP_1)
	v_and_b32_e32 v15, 7, v2
; %bb.208:                              ;   in Loop: Header=BB285_11 Depth=1
	s_or_b32 exec_lo, exec_lo, s21
	v_lshlrev_b32_e32 v2, 24, v0
	s_delay_alu instid0(VALU_DEP_2) | instskip(SKIP_1) | instid1(VALU_DEP_3)
	v_lshlrev_b32_e32 v3, 20, v15
	v_lshl_add_u32 v1, v1, 23, 0x3c000000
	v_and_b32_e32 v2, 0x80000000, v2
	s_delay_alu instid0(VALU_DEP_1)
	v_or3_b32 v15, v3, v2, v1
	scratch_store_b64 off, v[15:16], s32 offset:328 ; 8-byte Folded Spill
.LBB285_209:                            ;   in Loop: Header=BB285_11 Depth=1
	s_or_b32 exec_lo, exec_lo, s20
.LBB285_210:                            ;   in Loop: Header=BB285_11 Depth=1
	s_delay_alu instid0(SALU_CYCLE_1)
	s_or_b32 exec_lo, exec_lo, s19
.LBB285_211:                            ;   in Loop: Header=BB285_11 Depth=1
	s_delay_alu instid0(SALU_CYCLE_1) | instskip(SKIP_2) | instid1(VALU_DEP_1)
	s_or_b32 exec_lo, exec_lo, s8
	v_lshrrev_b16 v1, 8, v0
	s_mov_b32 s19, exec_lo
	v_cmpx_ne_u16_e32 0, v1
	s_cbranch_execz .LBB285_219
; %bb.212:                              ;   in Loop: Header=BB285_11 Depth=1
	v_dual_mov_b32 v18, s3 :: v_dual_mov_b32 v17, s2
	s_mov_b32 s20, exec_lo
	v_cmpx_ne_u16_e32 0x80, v1
	s_cbranch_execz .LBB285_218
; %bb.213:                              ;   in Loop: Header=BB285_11 Depth=1
	s_mov_b32 s8, s2
	v_dual_mov_b32 v18, s9 :: v_dual_and_b32 v1, 0xffff, v1
	v_mov_b32_e32 v17, s8
	s_mov_b32 s8, exec_lo
	s_delay_alu instid0(VALU_DEP_2) | instskip(NEXT) | instid1(VALU_DEP_1)
	v_and_b32_e32 v2, 0x7f, v1
	v_cmpx_ne_u32_e32 0x7f, v2
	s_cbranch_execz .LBB285_217
; %bb.214:                              ;   in Loop: Header=BB285_11 Depth=1
	v_and_b32_e32 v15, 7, v1
	v_lshrrev_b32_e32 v1, 3, v2
	s_mov_b32 s21, exec_lo
	v_cmpx_gt_u32_e32 8, v2
; %bb.215:                              ;   in Loop: Header=BB285_11 Depth=1
	s_delay_alu instid0(VALU_DEP_3) | instskip(NEXT) | instid1(VALU_DEP_1)
	v_clz_i32_u32_e32 v1, v15
	v_min_u32_e32 v1, 32, v1
	s_delay_alu instid0(VALU_DEP_1) | instskip(SKIP_1) | instid1(VALU_DEP_2)
	v_subrev_nc_u32_e32 v2, 28, v1
	v_sub_nc_u32_e32 v1, 29, v1
	v_lshlrev_b64 v[2:3], v2, v[15:16]
	s_delay_alu instid0(VALU_DEP_1)
	v_and_b32_e32 v15, 7, v2
; %bb.216:                              ;   in Loop: Header=BB285_11 Depth=1
	s_or_b32 exec_lo, exec_lo, s21
	v_dual_mov_b32 v17, v16 :: v_dual_lshlrev_b32 v2, 16, v0
	s_delay_alu instid0(VALU_DEP_2) | instskip(SKIP_1) | instid1(VALU_DEP_3)
	v_lshlrev_b32_e32 v3, 20, v15
	v_lshl_add_u32 v1, v1, 23, 0x3c000000
	v_and_b32_e32 v2, 0x80000000, v2
	s_delay_alu instid0(VALU_DEP_1)
	v_or3_b32 v18, v3, v2, v1
.LBB285_217:                            ;   in Loop: Header=BB285_11 Depth=1
	s_or_b32 exec_lo, exec_lo, s8
.LBB285_218:                            ;   in Loop: Header=BB285_11 Depth=1
	s_delay_alu instid0(SALU_CYCLE_1)
	s_or_b32 exec_lo, exec_lo, s20
.LBB285_219:                            ;   in Loop: Header=BB285_11 Depth=1
	s_delay_alu instid0(SALU_CYCLE_1)
	s_or_b32 exec_lo, exec_lo, s19
	v_lshrrev_b32_e32 v1, 16, v0
	v_mov_b32_e32 v3, 0
	v_mov_b32_e32 v4, 0
	s_mov_b32 s8, exec_lo
	s_clause 0x1
	scratch_store_b64 off, v[3:4], s32 offset:336
	scratch_store_b64 off, v[3:4], s32 offset:344
	v_and_b32_e32 v2, 0xff, v1
	s_delay_alu instid0(VALU_DEP_1)
	v_cmpx_ne_u16_e32 0, v2
	s_cbranch_execz .LBB285_227
; %bb.220:                              ;   in Loop: Header=BB285_11 Depth=1
	v_cmp_ne_u16_e64 s1, 0x80, v2
	v_bfrev_b32_e32 v2, 1
	v_mov_b32_e32 v3, 0
	scratch_store_b64 off, v[2:3], s32 offset:344 ; 8-byte Folded Spill
	s_and_saveexec_b32 s19, s1
	s_cbranch_execz .LBB285_226
; %bb.221:                              ;   in Loop: Header=BB285_11 Depth=1
	v_mov_b32_e32 v4, 0x7f800001
	v_bfe_u32 v3, v0, 16, 7
	v_mov_b32_e32 v5, 0
	s_mov_b32 s20, exec_lo
	scratch_store_b64 off, v[4:5], s32 offset:344 ; 8-byte Folded Spill
	v_cmpx_ne_u32_e32 0x7f, v3
	s_cbranch_execz .LBB285_225
; %bb.222:                              ;   in Loop: Header=BB285_11 Depth=1
	v_and_b32_e32 v15, 7, v1
	v_lshrrev_b32_e32 v2, 3, v3
	s_mov_b32 s21, exec_lo
	v_cmpx_gt_u32_e32 8, v3
; %bb.223:                              ;   in Loop: Header=BB285_11 Depth=1
	s_delay_alu instid0(VALU_DEP_3) | instskip(NEXT) | instid1(VALU_DEP_1)
	v_clz_i32_u32_e32 v2, v15
	v_min_u32_e32 v2, 32, v2
	s_delay_alu instid0(VALU_DEP_1) | instskip(SKIP_1) | instid1(VALU_DEP_2)
	v_subrev_nc_u32_e32 v3, 28, v2
	v_sub_nc_u32_e32 v2, 29, v2
	v_lshlrev_b64 v[3:4], v3, v[15:16]
	s_delay_alu instid0(VALU_DEP_1)
	v_and_b32_e32 v15, 7, v3
; %bb.224:                              ;   in Loop: Header=BB285_11 Depth=1
	s_or_b32 exec_lo, exec_lo, s21
	v_lshlrev_b32_e32 v1, 24, v1
	s_delay_alu instid0(VALU_DEP_2) | instskip(SKIP_1) | instid1(VALU_DEP_3)
	v_lshlrev_b32_e32 v3, 20, v15
	v_lshl_add_u32 v2, v2, 23, 0x3c000000
	v_and_b32_e32 v1, 0x80000000, v1
	s_delay_alu instid0(VALU_DEP_1)
	v_or3_b32 v15, v3, v1, v2
	scratch_store_b64 off, v[15:16], s32 offset:344 ; 8-byte Folded Spill
.LBB285_225:                            ;   in Loop: Header=BB285_11 Depth=1
	s_or_b32 exec_lo, exec_lo, s20
.LBB285_226:                            ;   in Loop: Header=BB285_11 Depth=1
	s_delay_alu instid0(SALU_CYCLE_1)
	s_or_b32 exec_lo, exec_lo, s19
.LBB285_227:                            ;   in Loop: Header=BB285_11 Depth=1
	s_delay_alu instid0(SALU_CYCLE_1) | instskip(NEXT) | instid1(SALU_CYCLE_1)
	s_or_b32 exec_lo, exec_lo, s8
	s_mov_b32 s19, exec_lo
	v_cmpx_lt_u32_e32 0xffffff, v0
	s_cbranch_execz .LBB285_235
; %bb.228:                              ;   in Loop: Header=BB285_11 Depth=1
	v_lshrrev_b32_e32 v1, 24, v0
	v_dual_mov_b32 v2, s2 :: v_dual_mov_b32 v3, s3
	s_mov_b32 s20, exec_lo
	scratch_store_b64 off, v[2:3], s32 offset:336 ; 8-byte Folded Spill
	v_cmpx_ne_u32_e32 0x80, v1
	s_cbranch_execz .LBB285_234
; %bb.229:                              ;   in Loop: Header=BB285_11 Depth=1
	s_mov_b32 s8, s2
	v_bfe_u32 v2, v0, 24, 7
	v_dual_mov_b32 v3, s8 :: v_dual_mov_b32 v4, s9
	s_mov_b32 s8, exec_lo
	scratch_store_b64 off, v[3:4], s32 offset:336 ; 8-byte Folded Spill
	v_cmpx_ne_u32_e32 0x7f, v2
	s_cbranch_execz .LBB285_233
; %bb.230:                              ;   in Loop: Header=BB285_11 Depth=1
	v_and_b32_e32 v15, 7, v1
	v_lshrrev_b32_e32 v0, 3, v2
	s_mov_b32 s21, exec_lo
	v_cmpx_gt_u32_e32 8, v2
; %bb.231:                              ;   in Loop: Header=BB285_11 Depth=1
	s_delay_alu instid0(VALU_DEP_3) | instskip(NEXT) | instid1(VALU_DEP_1)
	v_clz_i32_u32_e32 v0, v15
	v_min_u32_e32 v0, 32, v0
	s_delay_alu instid0(VALU_DEP_1) | instskip(SKIP_1) | instid1(VALU_DEP_2)
	v_subrev_nc_u32_e32 v2, 28, v0
	v_sub_nc_u32_e32 v0, 29, v0
	v_lshlrev_b64 v[2:3], v2, v[15:16]
	s_delay_alu instid0(VALU_DEP_1)
	v_and_b32_e32 v15, 7, v2
; %bb.232:                              ;   in Loop: Header=BB285_11 Depth=1
	s_or_b32 exec_lo, exec_lo, s21
	v_lshlrev_b32_e32 v1, 24, v1
	s_delay_alu instid0(VALU_DEP_2) | instskip(SKIP_1) | instid1(VALU_DEP_3)
	v_lshlrev_b32_e32 v2, 20, v15
	v_lshl_add_u32 v0, v0, 23, 0x3c000000
	v_and_b32_e32 v1, 0x80000000, v1
	s_delay_alu instid0(VALU_DEP_1)
	v_or3_b32 v1, v2, v1, v0
	v_mov_b32_e32 v0, v16
	scratch_store_b64 off, v[0:1], s32 offset:336 ; 8-byte Folded Spill
.LBB285_233:                            ;   in Loop: Header=BB285_11 Depth=1
	s_or_b32 exec_lo, exec_lo, s8
.LBB285_234:                            ;   in Loop: Header=BB285_11 Depth=1
	s_delay_alu instid0(SALU_CYCLE_1)
	s_or_b32 exec_lo, exec_lo, s20
.LBB285_235:                            ;   in Loop: Header=BB285_11 Depth=1
	s_delay_alu instid0(SALU_CYCLE_1)
	s_or_b32 exec_lo, exec_lo, s19
	flat_load_b32 v0, v[154:155] offset:524
	v_mov_b32_e32 v2, 0
	v_mov_b32_e32 v3, 0
	s_mov_b32 s8, exec_lo
	s_clause 0x1
	scratch_store_b64 off, v[2:3], s32 offset:352
	scratch_store_b64 off, v[2:3], s32 offset:360
	s_waitcnt vmcnt(0) lgkmcnt(0)
	v_and_b32_e32 v1, 0xff, v0
	s_delay_alu instid0(VALU_DEP_1)
	v_cmpx_ne_u16_e32 0, v1
	s_cbranch_execz .LBB285_243
; %bb.236:                              ;   in Loop: Header=BB285_11 Depth=1
	v_cmp_ne_u16_e64 s1, 0x80, v1
	v_bfrev_b32_e32 v1, 1
	v_mov_b32_e32 v2, 0
	scratch_store_b64 off, v[1:2], s32 offset:360 ; 8-byte Folded Spill
	s_and_saveexec_b32 s19, s1
	s_cbranch_execz .LBB285_242
; %bb.237:                              ;   in Loop: Header=BB285_11 Depth=1
	v_mov_b32_e32 v3, 0x7f800001
	v_and_b32_e32 v2, 0x7f, v0
	v_mov_b32_e32 v4, 0
	s_mov_b32 s20, exec_lo
	scratch_store_b64 off, v[3:4], s32 offset:360 ; 8-byte Folded Spill
	v_cmpx_ne_u32_e32 0x7f, v2
	s_cbranch_execz .LBB285_241
; %bb.238:                              ;   in Loop: Header=BB285_11 Depth=1
	v_and_b32_e32 v15, 7, v0
	v_lshrrev_b32_e32 v1, 3, v2
	s_mov_b32 s21, exec_lo
	v_cmpx_gt_u32_e32 8, v2
; %bb.239:                              ;   in Loop: Header=BB285_11 Depth=1
	s_delay_alu instid0(VALU_DEP_3) | instskip(NEXT) | instid1(VALU_DEP_1)
	v_clz_i32_u32_e32 v1, v15
	v_min_u32_e32 v1, 32, v1
	s_delay_alu instid0(VALU_DEP_1) | instskip(SKIP_1) | instid1(VALU_DEP_2)
	v_subrev_nc_u32_e32 v2, 28, v1
	v_sub_nc_u32_e32 v1, 29, v1
	v_lshlrev_b64 v[2:3], v2, v[15:16]
	s_delay_alu instid0(VALU_DEP_1)
	v_and_b32_e32 v15, 7, v2
; %bb.240:                              ;   in Loop: Header=BB285_11 Depth=1
	s_or_b32 exec_lo, exec_lo, s21
	v_lshlrev_b32_e32 v2, 24, v0
	s_delay_alu instid0(VALU_DEP_2) | instskip(SKIP_1) | instid1(VALU_DEP_3)
	v_lshlrev_b32_e32 v3, 20, v15
	v_lshl_add_u32 v1, v1, 23, 0x3c000000
	v_and_b32_e32 v2, 0x80000000, v2
	s_delay_alu instid0(VALU_DEP_1)
	v_or3_b32 v15, v3, v2, v1
	scratch_store_b64 off, v[15:16], s32 offset:360 ; 8-byte Folded Spill
.LBB285_241:                            ;   in Loop: Header=BB285_11 Depth=1
	s_or_b32 exec_lo, exec_lo, s20
.LBB285_242:                            ;   in Loop: Header=BB285_11 Depth=1
	s_delay_alu instid0(SALU_CYCLE_1)
	s_or_b32 exec_lo, exec_lo, s19
.LBB285_243:                            ;   in Loop: Header=BB285_11 Depth=1
	s_delay_alu instid0(SALU_CYCLE_1) | instskip(SKIP_2) | instid1(VALU_DEP_1)
	s_or_b32 exec_lo, exec_lo, s8
	v_lshrrev_b16 v1, 8, v0
	s_mov_b32 s19, exec_lo
	v_cmpx_ne_u16_e32 0, v1
	s_cbranch_execz .LBB285_251
; %bb.244:                              ;   in Loop: Header=BB285_11 Depth=1
	v_dual_mov_b32 v2, s2 :: v_dual_mov_b32 v3, s3
	s_mov_b32 s20, exec_lo
	scratch_store_b64 off, v[2:3], s32 offset:352 ; 8-byte Folded Spill
	v_cmpx_ne_u16_e32 0x80, v1
	s_cbranch_execz .LBB285_250
; %bb.245:                              ;   in Loop: Header=BB285_11 Depth=1
	s_mov_b32 s8, s2
	v_and_b32_e32 v1, 0xffff, v1
	v_dual_mov_b32 v3, s8 :: v_dual_mov_b32 v4, s9
	s_mov_b32 s8, exec_lo
	s_delay_alu instid0(VALU_DEP_2)
	v_and_b32_e32 v2, 0x7f, v1
	scratch_store_b64 off, v[3:4], s32 offset:352 ; 8-byte Folded Spill
	v_cmpx_ne_u32_e32 0x7f, v2
	s_cbranch_execz .LBB285_249
; %bb.246:                              ;   in Loop: Header=BB285_11 Depth=1
	v_and_b32_e32 v15, 7, v1
	v_lshrrev_b32_e32 v1, 3, v2
	s_mov_b32 s21, exec_lo
	v_cmpx_gt_u32_e32 8, v2
; %bb.247:                              ;   in Loop: Header=BB285_11 Depth=1
	s_delay_alu instid0(VALU_DEP_3) | instskip(NEXT) | instid1(VALU_DEP_1)
	v_clz_i32_u32_e32 v1, v15
	v_min_u32_e32 v1, 32, v1
	s_delay_alu instid0(VALU_DEP_1) | instskip(SKIP_1) | instid1(VALU_DEP_2)
	v_subrev_nc_u32_e32 v2, 28, v1
	v_sub_nc_u32_e32 v1, 29, v1
	v_lshlrev_b64 v[2:3], v2, v[15:16]
	s_delay_alu instid0(VALU_DEP_1)
	v_and_b32_e32 v15, 7, v2
; %bb.248:                              ;   in Loop: Header=BB285_11 Depth=1
	s_or_b32 exec_lo, exec_lo, s21
	v_lshlrev_b32_e32 v2, 16, v0
	s_delay_alu instid0(VALU_DEP_2) | instskip(SKIP_1) | instid1(VALU_DEP_3)
	v_lshlrev_b32_e32 v3, 20, v15
	v_lshl_add_u32 v1, v1, 23, 0x3c000000
	v_and_b32_e32 v2, 0x80000000, v2
	s_delay_alu instid0(VALU_DEP_1)
	v_or3_b32 v2, v3, v2, v1
	v_mov_b32_e32 v1, v16
	scratch_store_b64 off, v[1:2], s32 offset:352 ; 8-byte Folded Spill
.LBB285_249:                            ;   in Loop: Header=BB285_11 Depth=1
	s_or_b32 exec_lo, exec_lo, s8
.LBB285_250:                            ;   in Loop: Header=BB285_11 Depth=1
	s_delay_alu instid0(SALU_CYCLE_1)
	s_or_b32 exec_lo, exec_lo, s20
.LBB285_251:                            ;   in Loop: Header=BB285_11 Depth=1
	s_delay_alu instid0(SALU_CYCLE_1)
	s_or_b32 exec_lo, exec_lo, s19
	v_lshrrev_b32_e32 v1, 16, v0
	v_mov_b32_e32 v3, 0
	v_mov_b32_e32 v4, 0
	s_mov_b32 s8, exec_lo
	s_clause 0x1
	scratch_store_b64 off, v[3:4], s32 offset:368
	scratch_store_b64 off, v[3:4], s32 offset:376
	v_and_b32_e32 v2, 0xff, v1
	s_delay_alu instid0(VALU_DEP_1)
	v_cmpx_ne_u16_e32 0, v2
	s_cbranch_execz .LBB285_259
; %bb.252:                              ;   in Loop: Header=BB285_11 Depth=1
	v_cmp_ne_u16_e64 s1, 0x80, v2
	v_bfrev_b32_e32 v2, 1
	v_mov_b32_e32 v3, 0
	scratch_store_b64 off, v[2:3], s32 offset:376 ; 8-byte Folded Spill
	s_and_saveexec_b32 s19, s1
	s_cbranch_execz .LBB285_258
; %bb.253:                              ;   in Loop: Header=BB285_11 Depth=1
	v_mov_b32_e32 v4, 0x7f800001
	v_bfe_u32 v3, v0, 16, 7
	v_mov_b32_e32 v5, 0
	s_mov_b32 s20, exec_lo
	scratch_store_b64 off, v[4:5], s32 offset:376 ; 8-byte Folded Spill
	v_cmpx_ne_u32_e32 0x7f, v3
	s_cbranch_execz .LBB285_257
; %bb.254:                              ;   in Loop: Header=BB285_11 Depth=1
	v_and_b32_e32 v15, 7, v1
	v_lshrrev_b32_e32 v2, 3, v3
	s_mov_b32 s21, exec_lo
	v_cmpx_gt_u32_e32 8, v3
; %bb.255:                              ;   in Loop: Header=BB285_11 Depth=1
	s_delay_alu instid0(VALU_DEP_3) | instskip(NEXT) | instid1(VALU_DEP_1)
	v_clz_i32_u32_e32 v2, v15
	v_min_u32_e32 v2, 32, v2
	s_delay_alu instid0(VALU_DEP_1) | instskip(SKIP_1) | instid1(VALU_DEP_2)
	v_subrev_nc_u32_e32 v3, 28, v2
	v_sub_nc_u32_e32 v2, 29, v2
	v_lshlrev_b64 v[3:4], v3, v[15:16]
	s_delay_alu instid0(VALU_DEP_1)
	v_and_b32_e32 v15, 7, v3
; %bb.256:                              ;   in Loop: Header=BB285_11 Depth=1
	s_or_b32 exec_lo, exec_lo, s21
	v_lshlrev_b32_e32 v1, 24, v1
	s_delay_alu instid0(VALU_DEP_2) | instskip(SKIP_1) | instid1(VALU_DEP_3)
	v_lshlrev_b32_e32 v3, 20, v15
	v_lshl_add_u32 v2, v2, 23, 0x3c000000
	v_and_b32_e32 v1, 0x80000000, v1
	s_delay_alu instid0(VALU_DEP_1)
	v_or3_b32 v15, v3, v1, v2
	scratch_store_b64 off, v[15:16], s32 offset:376 ; 8-byte Folded Spill
.LBB285_257:                            ;   in Loop: Header=BB285_11 Depth=1
	s_or_b32 exec_lo, exec_lo, s20
.LBB285_258:                            ;   in Loop: Header=BB285_11 Depth=1
	s_delay_alu instid0(SALU_CYCLE_1)
	s_or_b32 exec_lo, exec_lo, s19
.LBB285_259:                            ;   in Loop: Header=BB285_11 Depth=1
	s_delay_alu instid0(SALU_CYCLE_1) | instskip(NEXT) | instid1(SALU_CYCLE_1)
	s_or_b32 exec_lo, exec_lo, s8
	s_mov_b32 s19, exec_lo
	v_cmpx_lt_u32_e32 0xffffff, v0
	s_cbranch_execz .LBB285_267
; %bb.260:                              ;   in Loop: Header=BB285_11 Depth=1
	v_lshrrev_b32_e32 v1, 24, v0
	v_dual_mov_b32 v2, s2 :: v_dual_mov_b32 v3, s3
	s_mov_b32 s20, exec_lo
	scratch_store_b64 off, v[2:3], s32 offset:368 ; 8-byte Folded Spill
	v_cmpx_ne_u32_e32 0x80, v1
	s_cbranch_execz .LBB285_266
; %bb.261:                              ;   in Loop: Header=BB285_11 Depth=1
	s_mov_b32 s8, s2
	v_bfe_u32 v2, v0, 24, 7
	v_dual_mov_b32 v3, s8 :: v_dual_mov_b32 v4, s9
	s_mov_b32 s8, exec_lo
	scratch_store_b64 off, v[3:4], s32 offset:368 ; 8-byte Folded Spill
	v_cmpx_ne_u32_e32 0x7f, v2
	s_cbranch_execz .LBB285_265
; %bb.262:                              ;   in Loop: Header=BB285_11 Depth=1
	v_and_b32_e32 v15, 7, v1
	v_lshrrev_b32_e32 v0, 3, v2
	s_mov_b32 s21, exec_lo
	v_cmpx_gt_u32_e32 8, v2
; %bb.263:                              ;   in Loop: Header=BB285_11 Depth=1
	s_delay_alu instid0(VALU_DEP_3) | instskip(NEXT) | instid1(VALU_DEP_1)
	v_clz_i32_u32_e32 v0, v15
	v_min_u32_e32 v0, 32, v0
	s_delay_alu instid0(VALU_DEP_1) | instskip(SKIP_1) | instid1(VALU_DEP_2)
	v_subrev_nc_u32_e32 v2, 28, v0
	v_sub_nc_u32_e32 v0, 29, v0
	v_lshlrev_b64 v[2:3], v2, v[15:16]
	s_delay_alu instid0(VALU_DEP_1)
	v_and_b32_e32 v15, 7, v2
; %bb.264:                              ;   in Loop: Header=BB285_11 Depth=1
	s_or_b32 exec_lo, exec_lo, s21
	v_lshlrev_b32_e32 v1, 24, v1
	s_delay_alu instid0(VALU_DEP_2) | instskip(SKIP_1) | instid1(VALU_DEP_3)
	v_lshlrev_b32_e32 v2, 20, v15
	v_lshl_add_u32 v0, v0, 23, 0x3c000000
	v_and_b32_e32 v1, 0x80000000, v1
	s_delay_alu instid0(VALU_DEP_1)
	v_or3_b32 v1, v2, v1, v0
	v_mov_b32_e32 v0, v16
	scratch_store_b64 off, v[0:1], s32 offset:368 ; 8-byte Folded Spill
.LBB285_265:                            ;   in Loop: Header=BB285_11 Depth=1
	s_or_b32 exec_lo, exec_lo, s8
.LBB285_266:                            ;   in Loop: Header=BB285_11 Depth=1
	s_delay_alu instid0(SALU_CYCLE_1)
	s_or_b32 exec_lo, exec_lo, s20
.LBB285_267:                            ;   in Loop: Header=BB285_11 Depth=1
	s_delay_alu instid0(SALU_CYCLE_1)
	s_or_b32 exec_lo, exec_lo, s19
	flat_load_b32 v0, v[154:155] offset:1024
	v_mov_b32_e32 v2, 0
	v_mov_b32_e32 v3, 0
	s_mov_b32 s8, exec_lo
	s_clause 0x1
	scratch_store_b64 off, v[2:3], s32 offset:384
	scratch_store_b64 off, v[2:3], s32 offset:392
	s_waitcnt vmcnt(0) lgkmcnt(0)
	v_and_b32_e32 v1, 0xff, v0
	s_delay_alu instid0(VALU_DEP_1)
	v_cmpx_ne_u16_e32 0, v1
	s_cbranch_execz .LBB285_275
; %bb.268:                              ;   in Loop: Header=BB285_11 Depth=1
	v_cmp_ne_u16_e64 s1, 0x80, v1
	v_bfrev_b32_e32 v1, 1
	v_mov_b32_e32 v2, 0
	scratch_store_b64 off, v[1:2], s32 offset:392 ; 8-byte Folded Spill
	s_and_saveexec_b32 s19, s1
	s_cbranch_execz .LBB285_274
; %bb.269:                              ;   in Loop: Header=BB285_11 Depth=1
	v_mov_b32_e32 v3, 0x7f800001
	v_and_b32_e32 v2, 0x7f, v0
	v_mov_b32_e32 v4, 0
	s_mov_b32 s20, exec_lo
	scratch_store_b64 off, v[3:4], s32 offset:392 ; 8-byte Folded Spill
	v_cmpx_ne_u32_e32 0x7f, v2
	s_cbranch_execz .LBB285_273
; %bb.270:                              ;   in Loop: Header=BB285_11 Depth=1
	v_and_b32_e32 v15, 7, v0
	v_lshrrev_b32_e32 v1, 3, v2
	s_mov_b32 s21, exec_lo
	v_cmpx_gt_u32_e32 8, v2
; %bb.271:                              ;   in Loop: Header=BB285_11 Depth=1
	s_delay_alu instid0(VALU_DEP_3) | instskip(NEXT) | instid1(VALU_DEP_1)
	v_clz_i32_u32_e32 v1, v15
	v_min_u32_e32 v1, 32, v1
	s_delay_alu instid0(VALU_DEP_1) | instskip(SKIP_1) | instid1(VALU_DEP_2)
	v_subrev_nc_u32_e32 v2, 28, v1
	v_sub_nc_u32_e32 v1, 29, v1
	v_lshlrev_b64 v[2:3], v2, v[15:16]
	s_delay_alu instid0(VALU_DEP_1)
	v_and_b32_e32 v15, 7, v2
; %bb.272:                              ;   in Loop: Header=BB285_11 Depth=1
	s_or_b32 exec_lo, exec_lo, s21
	v_lshlrev_b32_e32 v2, 24, v0
	s_delay_alu instid0(VALU_DEP_2) | instskip(SKIP_1) | instid1(VALU_DEP_3)
	v_lshlrev_b32_e32 v3, 20, v15
	v_lshl_add_u32 v1, v1, 23, 0x3c000000
	v_and_b32_e32 v2, 0x80000000, v2
	s_delay_alu instid0(VALU_DEP_1)
	v_or3_b32 v15, v3, v2, v1
	scratch_store_b64 off, v[15:16], s32 offset:392 ; 8-byte Folded Spill
.LBB285_273:                            ;   in Loop: Header=BB285_11 Depth=1
	s_or_b32 exec_lo, exec_lo, s20
.LBB285_274:                            ;   in Loop: Header=BB285_11 Depth=1
	s_delay_alu instid0(SALU_CYCLE_1)
	s_or_b32 exec_lo, exec_lo, s19
.LBB285_275:                            ;   in Loop: Header=BB285_11 Depth=1
	s_delay_alu instid0(SALU_CYCLE_1) | instskip(SKIP_2) | instid1(VALU_DEP_1)
	s_or_b32 exec_lo, exec_lo, s8
	v_lshrrev_b16 v1, 8, v0
	s_mov_b32 s19, exec_lo
	v_cmpx_ne_u16_e32 0, v1
	s_cbranch_execz .LBB285_283
; %bb.276:                              ;   in Loop: Header=BB285_11 Depth=1
	v_dual_mov_b32 v2, s2 :: v_dual_mov_b32 v3, s3
	s_mov_b32 s20, exec_lo
	scratch_store_b64 off, v[2:3], s32 offset:384 ; 8-byte Folded Spill
	v_cmpx_ne_u16_e32 0x80, v1
	s_cbranch_execz .LBB285_282
; %bb.277:                              ;   in Loop: Header=BB285_11 Depth=1
	s_mov_b32 s8, s2
	v_and_b32_e32 v1, 0xffff, v1
	v_dual_mov_b32 v3, s8 :: v_dual_mov_b32 v4, s9
	s_mov_b32 s8, exec_lo
	s_delay_alu instid0(VALU_DEP_2)
	v_and_b32_e32 v2, 0x7f, v1
	scratch_store_b64 off, v[3:4], s32 offset:384 ; 8-byte Folded Spill
	v_cmpx_ne_u32_e32 0x7f, v2
	s_cbranch_execz .LBB285_281
; %bb.278:                              ;   in Loop: Header=BB285_11 Depth=1
	v_and_b32_e32 v15, 7, v1
	v_lshrrev_b32_e32 v1, 3, v2
	s_mov_b32 s21, exec_lo
	v_cmpx_gt_u32_e32 8, v2
; %bb.279:                              ;   in Loop: Header=BB285_11 Depth=1
	s_delay_alu instid0(VALU_DEP_3) | instskip(NEXT) | instid1(VALU_DEP_1)
	v_clz_i32_u32_e32 v1, v15
	v_min_u32_e32 v1, 32, v1
	s_delay_alu instid0(VALU_DEP_1) | instskip(SKIP_1) | instid1(VALU_DEP_2)
	v_subrev_nc_u32_e32 v2, 28, v1
	v_sub_nc_u32_e32 v1, 29, v1
	v_lshlrev_b64 v[2:3], v2, v[15:16]
	s_delay_alu instid0(VALU_DEP_1)
	v_and_b32_e32 v15, 7, v2
; %bb.280:                              ;   in Loop: Header=BB285_11 Depth=1
	s_or_b32 exec_lo, exec_lo, s21
	v_lshlrev_b32_e32 v2, 16, v0
	s_delay_alu instid0(VALU_DEP_2) | instskip(SKIP_1) | instid1(VALU_DEP_3)
	v_lshlrev_b32_e32 v3, 20, v15
	v_lshl_add_u32 v1, v1, 23, 0x3c000000
	v_and_b32_e32 v2, 0x80000000, v2
	s_delay_alu instid0(VALU_DEP_1)
	v_or3_b32 v2, v3, v2, v1
	v_mov_b32_e32 v1, v16
	scratch_store_b64 off, v[1:2], s32 offset:384 ; 8-byte Folded Spill
.LBB285_281:                            ;   in Loop: Header=BB285_11 Depth=1
	s_or_b32 exec_lo, exec_lo, s8
.LBB285_282:                            ;   in Loop: Header=BB285_11 Depth=1
	s_delay_alu instid0(SALU_CYCLE_1)
	s_or_b32 exec_lo, exec_lo, s20
.LBB285_283:                            ;   in Loop: Header=BB285_11 Depth=1
	s_delay_alu instid0(SALU_CYCLE_1)
	s_or_b32 exec_lo, exec_lo, s19
	v_lshrrev_b32_e32 v1, 16, v0
	v_mov_b32_e32 v3, 0
	v_mov_b32_e32 v4, 0
	s_mov_b32 s8, exec_lo
	s_clause 0x1
	scratch_store_b64 off, v[3:4], s32 offset:400
	scratch_store_b64 off, v[3:4], s32 offset:408
	v_and_b32_e32 v2, 0xff, v1
	s_delay_alu instid0(VALU_DEP_1)
	v_cmpx_ne_u16_e32 0, v2
	s_cbranch_execz .LBB285_291
; %bb.284:                              ;   in Loop: Header=BB285_11 Depth=1
	v_cmp_ne_u16_e64 s1, 0x80, v2
	v_bfrev_b32_e32 v2, 1
	v_mov_b32_e32 v3, 0
	scratch_store_b64 off, v[2:3], s32 offset:408 ; 8-byte Folded Spill
	s_and_saveexec_b32 s19, s1
	s_cbranch_execz .LBB285_290
; %bb.285:                              ;   in Loop: Header=BB285_11 Depth=1
	v_mov_b32_e32 v4, 0x7f800001
	v_bfe_u32 v3, v0, 16, 7
	v_mov_b32_e32 v5, 0
	s_mov_b32 s20, exec_lo
	scratch_store_b64 off, v[4:5], s32 offset:408 ; 8-byte Folded Spill
	v_cmpx_ne_u32_e32 0x7f, v3
	s_cbranch_execz .LBB285_289
; %bb.286:                              ;   in Loop: Header=BB285_11 Depth=1
	v_and_b32_e32 v15, 7, v1
	v_lshrrev_b32_e32 v2, 3, v3
	s_mov_b32 s21, exec_lo
	v_cmpx_gt_u32_e32 8, v3
; %bb.287:                              ;   in Loop: Header=BB285_11 Depth=1
	s_delay_alu instid0(VALU_DEP_3) | instskip(NEXT) | instid1(VALU_DEP_1)
	v_clz_i32_u32_e32 v2, v15
	v_min_u32_e32 v2, 32, v2
	s_delay_alu instid0(VALU_DEP_1) | instskip(SKIP_1) | instid1(VALU_DEP_2)
	v_subrev_nc_u32_e32 v3, 28, v2
	v_sub_nc_u32_e32 v2, 29, v2
	v_lshlrev_b64 v[3:4], v3, v[15:16]
	s_delay_alu instid0(VALU_DEP_1)
	v_and_b32_e32 v15, 7, v3
; %bb.288:                              ;   in Loop: Header=BB285_11 Depth=1
	s_or_b32 exec_lo, exec_lo, s21
	v_lshlrev_b32_e32 v1, 24, v1
	s_delay_alu instid0(VALU_DEP_2) | instskip(SKIP_1) | instid1(VALU_DEP_3)
	v_lshlrev_b32_e32 v3, 20, v15
	v_lshl_add_u32 v2, v2, 23, 0x3c000000
	v_and_b32_e32 v1, 0x80000000, v1
	s_delay_alu instid0(VALU_DEP_1)
	v_or3_b32 v15, v3, v1, v2
	scratch_store_b64 off, v[15:16], s32 offset:408 ; 8-byte Folded Spill
.LBB285_289:                            ;   in Loop: Header=BB285_11 Depth=1
	s_or_b32 exec_lo, exec_lo, s20
.LBB285_290:                            ;   in Loop: Header=BB285_11 Depth=1
	s_delay_alu instid0(SALU_CYCLE_1)
	s_or_b32 exec_lo, exec_lo, s19
.LBB285_291:                            ;   in Loop: Header=BB285_11 Depth=1
	s_delay_alu instid0(SALU_CYCLE_1) | instskip(NEXT) | instid1(SALU_CYCLE_1)
	s_or_b32 exec_lo, exec_lo, s8
	s_mov_b32 s19, exec_lo
	v_cmpx_lt_u32_e32 0xffffff, v0
	s_cbranch_execz .LBB285_299
; %bb.292:                              ;   in Loop: Header=BB285_11 Depth=1
	v_lshrrev_b32_e32 v1, 24, v0
	v_dual_mov_b32 v2, s2 :: v_dual_mov_b32 v3, s3
	s_mov_b32 s20, exec_lo
	scratch_store_b64 off, v[2:3], s32 offset:400 ; 8-byte Folded Spill
	v_cmpx_ne_u32_e32 0x80, v1
	s_cbranch_execz .LBB285_298
; %bb.293:                              ;   in Loop: Header=BB285_11 Depth=1
	s_mov_b32 s8, s2
	v_bfe_u32 v2, v0, 24, 7
	v_dual_mov_b32 v3, s8 :: v_dual_mov_b32 v4, s9
	s_mov_b32 s8, exec_lo
	scratch_store_b64 off, v[3:4], s32 offset:400 ; 8-byte Folded Spill
	v_cmpx_ne_u32_e32 0x7f, v2
	s_cbranch_execz .LBB285_297
; %bb.294:                              ;   in Loop: Header=BB285_11 Depth=1
	v_and_b32_e32 v15, 7, v1
	v_lshrrev_b32_e32 v0, 3, v2
	s_mov_b32 s21, exec_lo
	v_cmpx_gt_u32_e32 8, v2
; %bb.295:                              ;   in Loop: Header=BB285_11 Depth=1
	s_delay_alu instid0(VALU_DEP_3) | instskip(NEXT) | instid1(VALU_DEP_1)
	v_clz_i32_u32_e32 v0, v15
	v_min_u32_e32 v0, 32, v0
	s_delay_alu instid0(VALU_DEP_1) | instskip(SKIP_1) | instid1(VALU_DEP_2)
	v_subrev_nc_u32_e32 v2, 28, v0
	v_sub_nc_u32_e32 v0, 29, v0
	v_lshlrev_b64 v[2:3], v2, v[15:16]
	s_delay_alu instid0(VALU_DEP_1)
	v_and_b32_e32 v15, 7, v2
; %bb.296:                              ;   in Loop: Header=BB285_11 Depth=1
	s_or_b32 exec_lo, exec_lo, s21
	v_lshlrev_b32_e32 v1, 24, v1
	s_delay_alu instid0(VALU_DEP_2) | instskip(SKIP_1) | instid1(VALU_DEP_3)
	v_lshlrev_b32_e32 v2, 20, v15
	v_lshl_add_u32 v0, v0, 23, 0x3c000000
	v_and_b32_e32 v1, 0x80000000, v1
	s_delay_alu instid0(VALU_DEP_1)
	v_or3_b32 v1, v2, v1, v0
	v_mov_b32_e32 v0, v16
	scratch_store_b64 off, v[0:1], s32 offset:400 ; 8-byte Folded Spill
.LBB285_297:                            ;   in Loop: Header=BB285_11 Depth=1
	s_or_b32 exec_lo, exec_lo, s8
.LBB285_298:                            ;   in Loop: Header=BB285_11 Depth=1
	s_delay_alu instid0(SALU_CYCLE_1)
	s_or_b32 exec_lo, exec_lo, s20
.LBB285_299:                            ;   in Loop: Header=BB285_11 Depth=1
	s_delay_alu instid0(SALU_CYCLE_1)
	s_or_b32 exec_lo, exec_lo, s19
	flat_load_b32 v0, v[154:155] offset:1028
	v_mov_b32_e32 v2, 0
	v_mov_b32_e32 v3, 0
	s_mov_b32 s8, exec_lo
	s_clause 0x1
	scratch_store_b64 off, v[2:3], s32 offset:416
	scratch_store_b64 off, v[2:3], s32 offset:424
	s_waitcnt vmcnt(0) lgkmcnt(0)
	v_and_b32_e32 v1, 0xff, v0
	s_delay_alu instid0(VALU_DEP_1)
	v_cmpx_ne_u16_e32 0, v1
	s_cbranch_execz .LBB285_307
; %bb.300:                              ;   in Loop: Header=BB285_11 Depth=1
	v_cmp_ne_u16_e64 s1, 0x80, v1
	v_bfrev_b32_e32 v1, 1
	v_mov_b32_e32 v2, 0
	scratch_store_b64 off, v[1:2], s32 offset:424 ; 8-byte Folded Spill
	s_and_saveexec_b32 s19, s1
	s_cbranch_execz .LBB285_306
; %bb.301:                              ;   in Loop: Header=BB285_11 Depth=1
	v_mov_b32_e32 v3, 0x7f800001
	v_and_b32_e32 v2, 0x7f, v0
	v_mov_b32_e32 v4, 0
	s_mov_b32 s20, exec_lo
	scratch_store_b64 off, v[3:4], s32 offset:424 ; 8-byte Folded Spill
	v_cmpx_ne_u32_e32 0x7f, v2
	s_cbranch_execz .LBB285_305
; %bb.302:                              ;   in Loop: Header=BB285_11 Depth=1
	v_and_b32_e32 v15, 7, v0
	v_lshrrev_b32_e32 v1, 3, v2
	s_mov_b32 s21, exec_lo
	v_cmpx_gt_u32_e32 8, v2
; %bb.303:                              ;   in Loop: Header=BB285_11 Depth=1
	s_delay_alu instid0(VALU_DEP_3) | instskip(NEXT) | instid1(VALU_DEP_1)
	v_clz_i32_u32_e32 v1, v15
	v_min_u32_e32 v1, 32, v1
	s_delay_alu instid0(VALU_DEP_1) | instskip(SKIP_1) | instid1(VALU_DEP_2)
	v_subrev_nc_u32_e32 v2, 28, v1
	v_sub_nc_u32_e32 v1, 29, v1
	v_lshlrev_b64 v[2:3], v2, v[15:16]
	s_delay_alu instid0(VALU_DEP_1)
	v_and_b32_e32 v15, 7, v2
; %bb.304:                              ;   in Loop: Header=BB285_11 Depth=1
	s_or_b32 exec_lo, exec_lo, s21
	v_lshlrev_b32_e32 v2, 24, v0
	s_delay_alu instid0(VALU_DEP_2) | instskip(SKIP_1) | instid1(VALU_DEP_3)
	v_lshlrev_b32_e32 v3, 20, v15
	v_lshl_add_u32 v1, v1, 23, 0x3c000000
	v_and_b32_e32 v2, 0x80000000, v2
	s_delay_alu instid0(VALU_DEP_1)
	v_or3_b32 v15, v3, v2, v1
	scratch_store_b64 off, v[15:16], s32 offset:424 ; 8-byte Folded Spill
.LBB285_305:                            ;   in Loop: Header=BB285_11 Depth=1
	s_or_b32 exec_lo, exec_lo, s20
.LBB285_306:                            ;   in Loop: Header=BB285_11 Depth=1
	s_delay_alu instid0(SALU_CYCLE_1)
	s_or_b32 exec_lo, exec_lo, s19
.LBB285_307:                            ;   in Loop: Header=BB285_11 Depth=1
	s_delay_alu instid0(SALU_CYCLE_1) | instskip(SKIP_2) | instid1(VALU_DEP_1)
	s_or_b32 exec_lo, exec_lo, s8
	v_lshrrev_b16 v1, 8, v0
	s_mov_b32 s19, exec_lo
	v_cmpx_ne_u16_e32 0, v1
	s_cbranch_execz .LBB285_315
; %bb.308:                              ;   in Loop: Header=BB285_11 Depth=1
	v_dual_mov_b32 v2, s2 :: v_dual_mov_b32 v3, s3
	s_mov_b32 s20, exec_lo
	scratch_store_b64 off, v[2:3], s32 offset:416 ; 8-byte Folded Spill
	v_cmpx_ne_u16_e32 0x80, v1
	s_cbranch_execz .LBB285_314
; %bb.309:                              ;   in Loop: Header=BB285_11 Depth=1
	s_mov_b32 s8, s2
	v_and_b32_e32 v1, 0xffff, v1
	v_dual_mov_b32 v3, s8 :: v_dual_mov_b32 v4, s9
	s_mov_b32 s8, exec_lo
	s_delay_alu instid0(VALU_DEP_2)
	v_and_b32_e32 v2, 0x7f, v1
	scratch_store_b64 off, v[3:4], s32 offset:416 ; 8-byte Folded Spill
	v_cmpx_ne_u32_e32 0x7f, v2
	s_cbranch_execz .LBB285_313
; %bb.310:                              ;   in Loop: Header=BB285_11 Depth=1
	v_and_b32_e32 v15, 7, v1
	v_lshrrev_b32_e32 v1, 3, v2
	s_mov_b32 s21, exec_lo
	v_cmpx_gt_u32_e32 8, v2
; %bb.311:                              ;   in Loop: Header=BB285_11 Depth=1
	s_delay_alu instid0(VALU_DEP_3) | instskip(NEXT) | instid1(VALU_DEP_1)
	v_clz_i32_u32_e32 v1, v15
	v_min_u32_e32 v1, 32, v1
	s_delay_alu instid0(VALU_DEP_1) | instskip(SKIP_1) | instid1(VALU_DEP_2)
	v_subrev_nc_u32_e32 v2, 28, v1
	v_sub_nc_u32_e32 v1, 29, v1
	v_lshlrev_b64 v[2:3], v2, v[15:16]
	s_delay_alu instid0(VALU_DEP_1)
	v_and_b32_e32 v15, 7, v2
; %bb.312:                              ;   in Loop: Header=BB285_11 Depth=1
	s_or_b32 exec_lo, exec_lo, s21
	v_lshlrev_b32_e32 v2, 16, v0
	s_delay_alu instid0(VALU_DEP_2) | instskip(SKIP_1) | instid1(VALU_DEP_3)
	v_lshlrev_b32_e32 v3, 20, v15
	v_lshl_add_u32 v1, v1, 23, 0x3c000000
	v_and_b32_e32 v2, 0x80000000, v2
	s_delay_alu instid0(VALU_DEP_1)
	v_or3_b32 v2, v3, v2, v1
	v_mov_b32_e32 v1, v16
	scratch_store_b64 off, v[1:2], s32 offset:416 ; 8-byte Folded Spill
.LBB285_313:                            ;   in Loop: Header=BB285_11 Depth=1
	s_or_b32 exec_lo, exec_lo, s8
.LBB285_314:                            ;   in Loop: Header=BB285_11 Depth=1
	s_delay_alu instid0(SALU_CYCLE_1)
	s_or_b32 exec_lo, exec_lo, s20
.LBB285_315:                            ;   in Loop: Header=BB285_11 Depth=1
	s_delay_alu instid0(SALU_CYCLE_1)
	s_or_b32 exec_lo, exec_lo, s19
	v_lshrrev_b32_e32 v1, 16, v0
	v_mov_b32_e32 v3, 0
	v_mov_b32_e32 v4, 0
	s_mov_b32 s8, exec_lo
	s_clause 0x1
	scratch_store_b64 off, v[3:4], s32 offset:432
	scratch_store_b64 off, v[3:4], s32 offset:440
	v_and_b32_e32 v2, 0xff, v1
	s_delay_alu instid0(VALU_DEP_1)
	v_cmpx_ne_u16_e32 0, v2
	s_cbranch_execz .LBB285_323
; %bb.316:                              ;   in Loop: Header=BB285_11 Depth=1
	v_cmp_ne_u16_e64 s1, 0x80, v2
	v_bfrev_b32_e32 v2, 1
	v_mov_b32_e32 v3, 0
	scratch_store_b64 off, v[2:3], s32 offset:440 ; 8-byte Folded Spill
	s_and_saveexec_b32 s19, s1
	s_cbranch_execz .LBB285_322
; %bb.317:                              ;   in Loop: Header=BB285_11 Depth=1
	v_mov_b32_e32 v4, 0x7f800001
	v_bfe_u32 v3, v0, 16, 7
	v_mov_b32_e32 v5, 0
	s_mov_b32 s20, exec_lo
	scratch_store_b64 off, v[4:5], s32 offset:440 ; 8-byte Folded Spill
	v_cmpx_ne_u32_e32 0x7f, v3
	s_cbranch_execz .LBB285_321
; %bb.318:                              ;   in Loop: Header=BB285_11 Depth=1
	v_and_b32_e32 v15, 7, v1
	v_lshrrev_b32_e32 v2, 3, v3
	s_mov_b32 s21, exec_lo
	v_cmpx_gt_u32_e32 8, v3
; %bb.319:                              ;   in Loop: Header=BB285_11 Depth=1
	s_delay_alu instid0(VALU_DEP_3) | instskip(NEXT) | instid1(VALU_DEP_1)
	v_clz_i32_u32_e32 v2, v15
	v_min_u32_e32 v2, 32, v2
	s_delay_alu instid0(VALU_DEP_1) | instskip(SKIP_1) | instid1(VALU_DEP_2)
	v_subrev_nc_u32_e32 v3, 28, v2
	v_sub_nc_u32_e32 v2, 29, v2
	v_lshlrev_b64 v[3:4], v3, v[15:16]
	s_delay_alu instid0(VALU_DEP_1)
	v_and_b32_e32 v15, 7, v3
; %bb.320:                              ;   in Loop: Header=BB285_11 Depth=1
	s_or_b32 exec_lo, exec_lo, s21
	v_lshlrev_b32_e32 v1, 24, v1
	s_delay_alu instid0(VALU_DEP_2) | instskip(SKIP_1) | instid1(VALU_DEP_3)
	v_lshlrev_b32_e32 v3, 20, v15
	v_lshl_add_u32 v2, v2, 23, 0x3c000000
	v_and_b32_e32 v1, 0x80000000, v1
	s_delay_alu instid0(VALU_DEP_1)
	v_or3_b32 v15, v3, v1, v2
	scratch_store_b64 off, v[15:16], s32 offset:440 ; 8-byte Folded Spill
.LBB285_321:                            ;   in Loop: Header=BB285_11 Depth=1
	s_or_b32 exec_lo, exec_lo, s20
.LBB285_322:                            ;   in Loop: Header=BB285_11 Depth=1
	s_delay_alu instid0(SALU_CYCLE_1)
	s_or_b32 exec_lo, exec_lo, s19
.LBB285_323:                            ;   in Loop: Header=BB285_11 Depth=1
	s_delay_alu instid0(SALU_CYCLE_1) | instskip(NEXT) | instid1(SALU_CYCLE_1)
	s_or_b32 exec_lo, exec_lo, s8
	s_mov_b32 s19, exec_lo
	v_cmpx_lt_u32_e32 0xffffff, v0
	s_cbranch_execz .LBB285_331
; %bb.324:                              ;   in Loop: Header=BB285_11 Depth=1
	v_lshrrev_b32_e32 v1, 24, v0
	v_dual_mov_b32 v2, s2 :: v_dual_mov_b32 v3, s3
	s_mov_b32 s20, exec_lo
	scratch_store_b64 off, v[2:3], s32 offset:432 ; 8-byte Folded Spill
	v_cmpx_ne_u32_e32 0x80, v1
	s_cbranch_execz .LBB285_330
; %bb.325:                              ;   in Loop: Header=BB285_11 Depth=1
	s_mov_b32 s8, s2
	v_bfe_u32 v2, v0, 24, 7
	v_dual_mov_b32 v3, s8 :: v_dual_mov_b32 v4, s9
	s_mov_b32 s8, exec_lo
	scratch_store_b64 off, v[3:4], s32 offset:432 ; 8-byte Folded Spill
	v_cmpx_ne_u32_e32 0x7f, v2
	s_cbranch_execz .LBB285_329
; %bb.326:                              ;   in Loop: Header=BB285_11 Depth=1
	v_and_b32_e32 v15, 7, v1
	v_lshrrev_b32_e32 v0, 3, v2
	s_mov_b32 s21, exec_lo
	v_cmpx_gt_u32_e32 8, v2
; %bb.327:                              ;   in Loop: Header=BB285_11 Depth=1
	s_delay_alu instid0(VALU_DEP_3) | instskip(NEXT) | instid1(VALU_DEP_1)
	v_clz_i32_u32_e32 v0, v15
	v_min_u32_e32 v0, 32, v0
	s_delay_alu instid0(VALU_DEP_1) | instskip(SKIP_1) | instid1(VALU_DEP_2)
	v_subrev_nc_u32_e32 v2, 28, v0
	v_sub_nc_u32_e32 v0, 29, v0
	v_lshlrev_b64 v[2:3], v2, v[15:16]
	s_delay_alu instid0(VALU_DEP_1)
	v_and_b32_e32 v15, 7, v2
; %bb.328:                              ;   in Loop: Header=BB285_11 Depth=1
	s_or_b32 exec_lo, exec_lo, s21
	v_lshlrev_b32_e32 v1, 24, v1
	s_delay_alu instid0(VALU_DEP_2) | instskip(SKIP_1) | instid1(VALU_DEP_3)
	v_lshlrev_b32_e32 v2, 20, v15
	v_lshl_add_u32 v0, v0, 23, 0x3c000000
	v_and_b32_e32 v1, 0x80000000, v1
	s_delay_alu instid0(VALU_DEP_1)
	v_or3_b32 v1, v2, v1, v0
	v_mov_b32_e32 v0, v16
	scratch_store_b64 off, v[0:1], s32 offset:432 ; 8-byte Folded Spill
.LBB285_329:                            ;   in Loop: Header=BB285_11 Depth=1
	s_or_b32 exec_lo, exec_lo, s8
.LBB285_330:                            ;   in Loop: Header=BB285_11 Depth=1
	s_delay_alu instid0(SALU_CYCLE_1)
	s_or_b32 exec_lo, exec_lo, s20
.LBB285_331:                            ;   in Loop: Header=BB285_11 Depth=1
	s_delay_alu instid0(SALU_CYCLE_1)
	s_or_b32 exec_lo, exec_lo, s19
	flat_load_b32 v0, v[154:155] offset:1032
	v_mov_b32_e32 v2, 0
	v_mov_b32_e32 v3, 0
	s_mov_b32 s8, exec_lo
	s_clause 0x1
	scratch_store_b64 off, v[2:3], s32 offset:448
	scratch_store_b64 off, v[2:3], s32 offset:456
	s_waitcnt vmcnt(0) lgkmcnt(0)
	v_and_b32_e32 v1, 0xff, v0
	s_delay_alu instid0(VALU_DEP_1)
	v_cmpx_ne_u16_e32 0, v1
	s_cbranch_execz .LBB285_339
; %bb.332:                              ;   in Loop: Header=BB285_11 Depth=1
	v_cmp_ne_u16_e64 s1, 0x80, v1
	v_bfrev_b32_e32 v1, 1
	v_mov_b32_e32 v2, 0
	scratch_store_b64 off, v[1:2], s32 offset:456 ; 8-byte Folded Spill
	s_and_saveexec_b32 s19, s1
	s_cbranch_execz .LBB285_338
; %bb.333:                              ;   in Loop: Header=BB285_11 Depth=1
	v_mov_b32_e32 v3, 0x7f800001
	v_and_b32_e32 v2, 0x7f, v0
	v_mov_b32_e32 v4, 0
	s_mov_b32 s20, exec_lo
	scratch_store_b64 off, v[3:4], s32 offset:456 ; 8-byte Folded Spill
	v_cmpx_ne_u32_e32 0x7f, v2
	s_cbranch_execz .LBB285_337
; %bb.334:                              ;   in Loop: Header=BB285_11 Depth=1
	v_and_b32_e32 v15, 7, v0
	v_lshrrev_b32_e32 v1, 3, v2
	s_mov_b32 s21, exec_lo
	v_cmpx_gt_u32_e32 8, v2
; %bb.335:                              ;   in Loop: Header=BB285_11 Depth=1
	s_delay_alu instid0(VALU_DEP_3) | instskip(NEXT) | instid1(VALU_DEP_1)
	v_clz_i32_u32_e32 v1, v15
	v_min_u32_e32 v1, 32, v1
	s_delay_alu instid0(VALU_DEP_1) | instskip(SKIP_1) | instid1(VALU_DEP_2)
	v_subrev_nc_u32_e32 v2, 28, v1
	v_sub_nc_u32_e32 v1, 29, v1
	v_lshlrev_b64 v[2:3], v2, v[15:16]
	s_delay_alu instid0(VALU_DEP_1)
	v_and_b32_e32 v15, 7, v2
; %bb.336:                              ;   in Loop: Header=BB285_11 Depth=1
	s_or_b32 exec_lo, exec_lo, s21
	v_lshlrev_b32_e32 v2, 24, v0
	s_delay_alu instid0(VALU_DEP_2) | instskip(SKIP_1) | instid1(VALU_DEP_3)
	v_lshlrev_b32_e32 v3, 20, v15
	v_lshl_add_u32 v1, v1, 23, 0x3c000000
	v_and_b32_e32 v2, 0x80000000, v2
	s_delay_alu instid0(VALU_DEP_1)
	v_or3_b32 v15, v3, v2, v1
	scratch_store_b64 off, v[15:16], s32 offset:456 ; 8-byte Folded Spill
.LBB285_337:                            ;   in Loop: Header=BB285_11 Depth=1
	s_or_b32 exec_lo, exec_lo, s20
.LBB285_338:                            ;   in Loop: Header=BB285_11 Depth=1
	s_delay_alu instid0(SALU_CYCLE_1)
	s_or_b32 exec_lo, exec_lo, s19
.LBB285_339:                            ;   in Loop: Header=BB285_11 Depth=1
	s_delay_alu instid0(SALU_CYCLE_1) | instskip(SKIP_2) | instid1(VALU_DEP_1)
	s_or_b32 exec_lo, exec_lo, s8
	v_lshrrev_b16 v1, 8, v0
	s_mov_b32 s19, exec_lo
	v_cmpx_ne_u16_e32 0, v1
	s_cbranch_execz .LBB285_347
; %bb.340:                              ;   in Loop: Header=BB285_11 Depth=1
	v_dual_mov_b32 v2, s2 :: v_dual_mov_b32 v3, s3
	s_mov_b32 s20, exec_lo
	scratch_store_b64 off, v[2:3], s32 offset:448 ; 8-byte Folded Spill
	v_cmpx_ne_u16_e32 0x80, v1
	s_cbranch_execz .LBB285_346
; %bb.341:                              ;   in Loop: Header=BB285_11 Depth=1
	s_mov_b32 s8, s2
	v_and_b32_e32 v1, 0xffff, v1
	v_dual_mov_b32 v3, s8 :: v_dual_mov_b32 v4, s9
	s_mov_b32 s8, exec_lo
	s_delay_alu instid0(VALU_DEP_2)
	v_and_b32_e32 v2, 0x7f, v1
	scratch_store_b64 off, v[3:4], s32 offset:448 ; 8-byte Folded Spill
	v_cmpx_ne_u32_e32 0x7f, v2
	s_cbranch_execz .LBB285_345
; %bb.342:                              ;   in Loop: Header=BB285_11 Depth=1
	v_and_b32_e32 v15, 7, v1
	v_lshrrev_b32_e32 v1, 3, v2
	s_mov_b32 s21, exec_lo
	v_cmpx_gt_u32_e32 8, v2
; %bb.343:                              ;   in Loop: Header=BB285_11 Depth=1
	s_delay_alu instid0(VALU_DEP_3) | instskip(NEXT) | instid1(VALU_DEP_1)
	v_clz_i32_u32_e32 v1, v15
	v_min_u32_e32 v1, 32, v1
	s_delay_alu instid0(VALU_DEP_1) | instskip(SKIP_1) | instid1(VALU_DEP_2)
	v_subrev_nc_u32_e32 v2, 28, v1
	v_sub_nc_u32_e32 v1, 29, v1
	v_lshlrev_b64 v[2:3], v2, v[15:16]
	s_delay_alu instid0(VALU_DEP_1)
	v_and_b32_e32 v15, 7, v2
; %bb.344:                              ;   in Loop: Header=BB285_11 Depth=1
	s_or_b32 exec_lo, exec_lo, s21
	v_lshlrev_b32_e32 v2, 16, v0
	s_delay_alu instid0(VALU_DEP_2) | instskip(SKIP_1) | instid1(VALU_DEP_3)
	v_lshlrev_b32_e32 v3, 20, v15
	v_lshl_add_u32 v1, v1, 23, 0x3c000000
	v_and_b32_e32 v2, 0x80000000, v2
	s_delay_alu instid0(VALU_DEP_1)
	v_or3_b32 v2, v3, v2, v1
	v_mov_b32_e32 v1, v16
	scratch_store_b64 off, v[1:2], s32 offset:448 ; 8-byte Folded Spill
.LBB285_345:                            ;   in Loop: Header=BB285_11 Depth=1
	s_or_b32 exec_lo, exec_lo, s8
.LBB285_346:                            ;   in Loop: Header=BB285_11 Depth=1
	s_delay_alu instid0(SALU_CYCLE_1)
	s_or_b32 exec_lo, exec_lo, s20
.LBB285_347:                            ;   in Loop: Header=BB285_11 Depth=1
	s_delay_alu instid0(SALU_CYCLE_1)
	s_or_b32 exec_lo, exec_lo, s19
	v_lshrrev_b32_e32 v1, 16, v0
	v_mov_b32_e32 v3, 0
	v_mov_b32_e32 v4, 0
	s_mov_b32 s8, exec_lo
	s_clause 0x1
	scratch_store_b64 off, v[3:4], s32 offset:464
	scratch_store_b64 off, v[3:4], s32 offset:472
	v_and_b32_e32 v2, 0xff, v1
	s_delay_alu instid0(VALU_DEP_1)
	v_cmpx_ne_u16_e32 0, v2
	s_cbranch_execz .LBB285_355
; %bb.348:                              ;   in Loop: Header=BB285_11 Depth=1
	v_cmp_ne_u16_e64 s1, 0x80, v2
	v_bfrev_b32_e32 v2, 1
	v_mov_b32_e32 v3, 0
	scratch_store_b64 off, v[2:3], s32 offset:472 ; 8-byte Folded Spill
	s_and_saveexec_b32 s19, s1
	s_cbranch_execz .LBB285_354
; %bb.349:                              ;   in Loop: Header=BB285_11 Depth=1
	v_mov_b32_e32 v4, 0x7f800001
	v_bfe_u32 v3, v0, 16, 7
	v_mov_b32_e32 v5, 0
	s_mov_b32 s20, exec_lo
	scratch_store_b64 off, v[4:5], s32 offset:472 ; 8-byte Folded Spill
	v_cmpx_ne_u32_e32 0x7f, v3
	s_cbranch_execz .LBB285_353
; %bb.350:                              ;   in Loop: Header=BB285_11 Depth=1
	v_and_b32_e32 v15, 7, v1
	v_lshrrev_b32_e32 v2, 3, v3
	s_mov_b32 s21, exec_lo
	v_cmpx_gt_u32_e32 8, v3
; %bb.351:                              ;   in Loop: Header=BB285_11 Depth=1
	s_delay_alu instid0(VALU_DEP_3) | instskip(NEXT) | instid1(VALU_DEP_1)
	v_clz_i32_u32_e32 v2, v15
	v_min_u32_e32 v2, 32, v2
	s_delay_alu instid0(VALU_DEP_1) | instskip(SKIP_1) | instid1(VALU_DEP_2)
	v_subrev_nc_u32_e32 v3, 28, v2
	v_sub_nc_u32_e32 v2, 29, v2
	v_lshlrev_b64 v[3:4], v3, v[15:16]
	s_delay_alu instid0(VALU_DEP_1)
	v_and_b32_e32 v15, 7, v3
; %bb.352:                              ;   in Loop: Header=BB285_11 Depth=1
	s_or_b32 exec_lo, exec_lo, s21
	v_lshlrev_b32_e32 v1, 24, v1
	s_delay_alu instid0(VALU_DEP_2) | instskip(SKIP_1) | instid1(VALU_DEP_3)
	v_lshlrev_b32_e32 v3, 20, v15
	v_lshl_add_u32 v2, v2, 23, 0x3c000000
	v_and_b32_e32 v1, 0x80000000, v1
	s_delay_alu instid0(VALU_DEP_1)
	v_or3_b32 v15, v3, v1, v2
	scratch_store_b64 off, v[15:16], s32 offset:472 ; 8-byte Folded Spill
.LBB285_353:                            ;   in Loop: Header=BB285_11 Depth=1
	s_or_b32 exec_lo, exec_lo, s20
.LBB285_354:                            ;   in Loop: Header=BB285_11 Depth=1
	s_delay_alu instid0(SALU_CYCLE_1)
	s_or_b32 exec_lo, exec_lo, s19
.LBB285_355:                            ;   in Loop: Header=BB285_11 Depth=1
	s_delay_alu instid0(SALU_CYCLE_1) | instskip(NEXT) | instid1(SALU_CYCLE_1)
	s_or_b32 exec_lo, exec_lo, s8
	s_mov_b32 s19, exec_lo
	v_cmpx_lt_u32_e32 0xffffff, v0
	s_cbranch_execz .LBB285_363
; %bb.356:                              ;   in Loop: Header=BB285_11 Depth=1
	v_lshrrev_b32_e32 v1, 24, v0
	v_dual_mov_b32 v2, s2 :: v_dual_mov_b32 v3, s3
	s_mov_b32 s20, exec_lo
	scratch_store_b64 off, v[2:3], s32 offset:464 ; 8-byte Folded Spill
	v_cmpx_ne_u32_e32 0x80, v1
	s_cbranch_execz .LBB285_362
; %bb.357:                              ;   in Loop: Header=BB285_11 Depth=1
	s_mov_b32 s8, s2
	v_bfe_u32 v2, v0, 24, 7
	v_dual_mov_b32 v3, s8 :: v_dual_mov_b32 v4, s9
	s_mov_b32 s8, exec_lo
	scratch_store_b64 off, v[3:4], s32 offset:464 ; 8-byte Folded Spill
	v_cmpx_ne_u32_e32 0x7f, v2
	s_cbranch_execz .LBB285_361
; %bb.358:                              ;   in Loop: Header=BB285_11 Depth=1
	v_and_b32_e32 v15, 7, v1
	v_lshrrev_b32_e32 v0, 3, v2
	s_mov_b32 s21, exec_lo
	v_cmpx_gt_u32_e32 8, v2
; %bb.359:                              ;   in Loop: Header=BB285_11 Depth=1
	s_delay_alu instid0(VALU_DEP_3) | instskip(NEXT) | instid1(VALU_DEP_1)
	v_clz_i32_u32_e32 v0, v15
	v_min_u32_e32 v0, 32, v0
	s_delay_alu instid0(VALU_DEP_1) | instskip(SKIP_1) | instid1(VALU_DEP_2)
	v_subrev_nc_u32_e32 v2, 28, v0
	v_sub_nc_u32_e32 v0, 29, v0
	v_lshlrev_b64 v[2:3], v2, v[15:16]
	s_delay_alu instid0(VALU_DEP_1)
	v_and_b32_e32 v15, 7, v2
; %bb.360:                              ;   in Loop: Header=BB285_11 Depth=1
	s_or_b32 exec_lo, exec_lo, s21
	v_lshlrev_b32_e32 v1, 24, v1
	s_delay_alu instid0(VALU_DEP_2) | instskip(SKIP_1) | instid1(VALU_DEP_3)
	v_lshlrev_b32_e32 v2, 20, v15
	v_lshl_add_u32 v0, v0, 23, 0x3c000000
	v_and_b32_e32 v1, 0x80000000, v1
	s_delay_alu instid0(VALU_DEP_1)
	v_or3_b32 v1, v2, v1, v0
	v_mov_b32_e32 v0, v16
	scratch_store_b64 off, v[0:1], s32 offset:464 ; 8-byte Folded Spill
.LBB285_361:                            ;   in Loop: Header=BB285_11 Depth=1
	s_or_b32 exec_lo, exec_lo, s8
.LBB285_362:                            ;   in Loop: Header=BB285_11 Depth=1
	s_delay_alu instid0(SALU_CYCLE_1)
	s_or_b32 exec_lo, exec_lo, s20
.LBB285_363:                            ;   in Loop: Header=BB285_11 Depth=1
	s_delay_alu instid0(SALU_CYCLE_1)
	s_or_b32 exec_lo, exec_lo, s19
	flat_load_b32 v0, v[154:155] offset:1036
	v_mov_b32_e32 v2, 0
	v_mov_b32_e32 v3, 0
	s_mov_b32 s8, exec_lo
	s_clause 0x1
	scratch_store_b64 off, v[2:3], s32 offset:480
	scratch_store_b64 off, v[2:3], s32 offset:488
	s_waitcnt vmcnt(0) lgkmcnt(0)
	v_and_b32_e32 v1, 0xff, v0
	s_delay_alu instid0(VALU_DEP_1)
	v_cmpx_ne_u16_e32 0, v1
	s_cbranch_execz .LBB285_371
; %bb.364:                              ;   in Loop: Header=BB285_11 Depth=1
	v_cmp_ne_u16_e64 s1, 0x80, v1
	v_bfrev_b32_e32 v1, 1
	v_mov_b32_e32 v2, 0
	scratch_store_b64 off, v[1:2], s32 offset:488 ; 8-byte Folded Spill
	s_and_saveexec_b32 s19, s1
	s_cbranch_execz .LBB285_370
; %bb.365:                              ;   in Loop: Header=BB285_11 Depth=1
	v_mov_b32_e32 v3, 0x7f800001
	v_and_b32_e32 v2, 0x7f, v0
	v_mov_b32_e32 v4, 0
	s_mov_b32 s20, exec_lo
	scratch_store_b64 off, v[3:4], s32 offset:488 ; 8-byte Folded Spill
	v_cmpx_ne_u32_e32 0x7f, v2
	s_cbranch_execz .LBB285_369
; %bb.366:                              ;   in Loop: Header=BB285_11 Depth=1
	v_and_b32_e32 v15, 7, v0
	v_lshrrev_b32_e32 v1, 3, v2
	s_mov_b32 s21, exec_lo
	v_cmpx_gt_u32_e32 8, v2
; %bb.367:                              ;   in Loop: Header=BB285_11 Depth=1
	s_delay_alu instid0(VALU_DEP_3) | instskip(NEXT) | instid1(VALU_DEP_1)
	v_clz_i32_u32_e32 v1, v15
	v_min_u32_e32 v1, 32, v1
	s_delay_alu instid0(VALU_DEP_1) | instskip(SKIP_1) | instid1(VALU_DEP_2)
	v_subrev_nc_u32_e32 v2, 28, v1
	v_sub_nc_u32_e32 v1, 29, v1
	v_lshlrev_b64 v[2:3], v2, v[15:16]
	s_delay_alu instid0(VALU_DEP_1)
	v_and_b32_e32 v15, 7, v2
; %bb.368:                              ;   in Loop: Header=BB285_11 Depth=1
	s_or_b32 exec_lo, exec_lo, s21
	v_lshlrev_b32_e32 v2, 24, v0
	s_delay_alu instid0(VALU_DEP_2) | instskip(SKIP_1) | instid1(VALU_DEP_3)
	v_lshlrev_b32_e32 v3, 20, v15
	v_lshl_add_u32 v1, v1, 23, 0x3c000000
	v_and_b32_e32 v2, 0x80000000, v2
	s_delay_alu instid0(VALU_DEP_1)
	v_or3_b32 v15, v3, v2, v1
	scratch_store_b64 off, v[15:16], s32 offset:488 ; 8-byte Folded Spill
.LBB285_369:                            ;   in Loop: Header=BB285_11 Depth=1
	s_or_b32 exec_lo, exec_lo, s20
.LBB285_370:                            ;   in Loop: Header=BB285_11 Depth=1
	s_delay_alu instid0(SALU_CYCLE_1)
	s_or_b32 exec_lo, exec_lo, s19
.LBB285_371:                            ;   in Loop: Header=BB285_11 Depth=1
	s_delay_alu instid0(SALU_CYCLE_1) | instskip(SKIP_2) | instid1(VALU_DEP_1)
	s_or_b32 exec_lo, exec_lo, s8
	v_lshrrev_b16 v1, 8, v0
	s_mov_b32 s19, exec_lo
	v_cmpx_ne_u16_e32 0, v1
	s_cbranch_execz .LBB285_379
; %bb.372:                              ;   in Loop: Header=BB285_11 Depth=1
	v_dual_mov_b32 v2, s2 :: v_dual_mov_b32 v3, s3
	s_mov_b32 s20, exec_lo
	scratch_store_b64 off, v[2:3], s32 offset:480 ; 8-byte Folded Spill
	v_cmpx_ne_u16_e32 0x80, v1
	s_cbranch_execz .LBB285_378
; %bb.373:                              ;   in Loop: Header=BB285_11 Depth=1
	s_mov_b32 s8, s2
	v_and_b32_e32 v1, 0xffff, v1
	v_dual_mov_b32 v3, s8 :: v_dual_mov_b32 v4, s9
	s_mov_b32 s8, exec_lo
	s_delay_alu instid0(VALU_DEP_2)
	v_and_b32_e32 v2, 0x7f, v1
	scratch_store_b64 off, v[3:4], s32 offset:480 ; 8-byte Folded Spill
	v_cmpx_ne_u32_e32 0x7f, v2
	s_cbranch_execz .LBB285_377
; %bb.374:                              ;   in Loop: Header=BB285_11 Depth=1
	v_and_b32_e32 v15, 7, v1
	v_lshrrev_b32_e32 v1, 3, v2
	s_mov_b32 s21, exec_lo
	v_cmpx_gt_u32_e32 8, v2
; %bb.375:                              ;   in Loop: Header=BB285_11 Depth=1
	s_delay_alu instid0(VALU_DEP_3) | instskip(NEXT) | instid1(VALU_DEP_1)
	v_clz_i32_u32_e32 v1, v15
	v_min_u32_e32 v1, 32, v1
	s_delay_alu instid0(VALU_DEP_1) | instskip(SKIP_1) | instid1(VALU_DEP_2)
	v_subrev_nc_u32_e32 v2, 28, v1
	v_sub_nc_u32_e32 v1, 29, v1
	v_lshlrev_b64 v[2:3], v2, v[15:16]
	s_delay_alu instid0(VALU_DEP_1)
	v_and_b32_e32 v15, 7, v2
; %bb.376:                              ;   in Loop: Header=BB285_11 Depth=1
	s_or_b32 exec_lo, exec_lo, s21
	v_lshlrev_b32_e32 v2, 16, v0
	s_delay_alu instid0(VALU_DEP_2) | instskip(SKIP_1) | instid1(VALU_DEP_3)
	v_lshlrev_b32_e32 v3, 20, v15
	v_lshl_add_u32 v1, v1, 23, 0x3c000000
	v_and_b32_e32 v2, 0x80000000, v2
	s_delay_alu instid0(VALU_DEP_1)
	v_or3_b32 v2, v3, v2, v1
	v_mov_b32_e32 v1, v16
	scratch_store_b64 off, v[1:2], s32 offset:480 ; 8-byte Folded Spill
.LBB285_377:                            ;   in Loop: Header=BB285_11 Depth=1
	s_or_b32 exec_lo, exec_lo, s8
.LBB285_378:                            ;   in Loop: Header=BB285_11 Depth=1
	s_delay_alu instid0(SALU_CYCLE_1)
	s_or_b32 exec_lo, exec_lo, s20
.LBB285_379:                            ;   in Loop: Header=BB285_11 Depth=1
	s_delay_alu instid0(SALU_CYCLE_1)
	s_or_b32 exec_lo, exec_lo, s19
	v_lshrrev_b32_e32 v1, 16, v0
	v_mov_b32_e32 v3, 0
	v_mov_b32_e32 v4, 0
	s_mov_b32 s8, exec_lo
	s_clause 0x1
	scratch_store_b64 off, v[3:4], s32 offset:496
	scratch_store_b64 off, v[3:4], s32 offset:504
	v_and_b32_e32 v2, 0xff, v1
	s_delay_alu instid0(VALU_DEP_1)
	v_cmpx_ne_u16_e32 0, v2
	s_cbranch_execz .LBB285_387
; %bb.380:                              ;   in Loop: Header=BB285_11 Depth=1
	v_cmp_ne_u16_e64 s1, 0x80, v2
	v_bfrev_b32_e32 v2, 1
	v_mov_b32_e32 v3, 0
	scratch_store_b64 off, v[2:3], s32 offset:504 ; 8-byte Folded Spill
	s_and_saveexec_b32 s19, s1
	s_cbranch_execz .LBB285_386
; %bb.381:                              ;   in Loop: Header=BB285_11 Depth=1
	v_mov_b32_e32 v4, 0x7f800001
	v_bfe_u32 v3, v0, 16, 7
	v_mov_b32_e32 v5, 0
	s_mov_b32 s20, exec_lo
	scratch_store_b64 off, v[4:5], s32 offset:504 ; 8-byte Folded Spill
	v_cmpx_ne_u32_e32 0x7f, v3
	s_cbranch_execz .LBB285_385
; %bb.382:                              ;   in Loop: Header=BB285_11 Depth=1
	v_and_b32_e32 v15, 7, v1
	v_lshrrev_b32_e32 v2, 3, v3
	s_mov_b32 s21, exec_lo
	v_cmpx_gt_u32_e32 8, v3
; %bb.383:                              ;   in Loop: Header=BB285_11 Depth=1
	s_delay_alu instid0(VALU_DEP_3) | instskip(NEXT) | instid1(VALU_DEP_1)
	v_clz_i32_u32_e32 v2, v15
	v_min_u32_e32 v2, 32, v2
	s_delay_alu instid0(VALU_DEP_1) | instskip(SKIP_1) | instid1(VALU_DEP_2)
	v_subrev_nc_u32_e32 v3, 28, v2
	v_sub_nc_u32_e32 v2, 29, v2
	v_lshlrev_b64 v[3:4], v3, v[15:16]
	s_delay_alu instid0(VALU_DEP_1)
	v_and_b32_e32 v15, 7, v3
; %bb.384:                              ;   in Loop: Header=BB285_11 Depth=1
	s_or_b32 exec_lo, exec_lo, s21
	v_lshlrev_b32_e32 v1, 24, v1
	s_delay_alu instid0(VALU_DEP_2) | instskip(SKIP_1) | instid1(VALU_DEP_3)
	v_lshlrev_b32_e32 v3, 20, v15
	v_lshl_add_u32 v2, v2, 23, 0x3c000000
	v_and_b32_e32 v1, 0x80000000, v1
	s_delay_alu instid0(VALU_DEP_1)
	v_or3_b32 v15, v3, v1, v2
	scratch_store_b64 off, v[15:16], s32 offset:504 ; 8-byte Folded Spill
.LBB285_385:                            ;   in Loop: Header=BB285_11 Depth=1
	s_or_b32 exec_lo, exec_lo, s20
.LBB285_386:                            ;   in Loop: Header=BB285_11 Depth=1
	s_delay_alu instid0(SALU_CYCLE_1)
	s_or_b32 exec_lo, exec_lo, s19
.LBB285_387:                            ;   in Loop: Header=BB285_11 Depth=1
	s_delay_alu instid0(SALU_CYCLE_1) | instskip(NEXT) | instid1(SALU_CYCLE_1)
	s_or_b32 exec_lo, exec_lo, s8
	s_mov_b32 s19, exec_lo
	v_cmpx_lt_u32_e32 0xffffff, v0
	s_cbranch_execz .LBB285_395
; %bb.388:                              ;   in Loop: Header=BB285_11 Depth=1
	v_lshrrev_b32_e32 v1, 24, v0
	v_dual_mov_b32 v2, s2 :: v_dual_mov_b32 v3, s3
	s_mov_b32 s20, exec_lo
	scratch_store_b64 off, v[2:3], s32 offset:496 ; 8-byte Folded Spill
	v_cmpx_ne_u32_e32 0x80, v1
	s_cbranch_execz .LBB285_394
; %bb.389:                              ;   in Loop: Header=BB285_11 Depth=1
	s_mov_b32 s8, s2
	v_bfe_u32 v2, v0, 24, 7
	v_dual_mov_b32 v3, s8 :: v_dual_mov_b32 v4, s9
	s_mov_b32 s8, exec_lo
	scratch_store_b64 off, v[3:4], s32 offset:496 ; 8-byte Folded Spill
	v_cmpx_ne_u32_e32 0x7f, v2
	s_cbranch_execz .LBB285_393
; %bb.390:                              ;   in Loop: Header=BB285_11 Depth=1
	v_and_b32_e32 v15, 7, v1
	v_lshrrev_b32_e32 v0, 3, v2
	s_mov_b32 s21, exec_lo
	v_cmpx_gt_u32_e32 8, v2
; %bb.391:                              ;   in Loop: Header=BB285_11 Depth=1
	s_delay_alu instid0(VALU_DEP_3) | instskip(NEXT) | instid1(VALU_DEP_1)
	v_clz_i32_u32_e32 v0, v15
	v_min_u32_e32 v0, 32, v0
	s_delay_alu instid0(VALU_DEP_1) | instskip(SKIP_1) | instid1(VALU_DEP_2)
	v_subrev_nc_u32_e32 v2, 28, v0
	v_sub_nc_u32_e32 v0, 29, v0
	v_lshlrev_b64 v[2:3], v2, v[15:16]
	s_delay_alu instid0(VALU_DEP_1)
	v_and_b32_e32 v15, 7, v2
; %bb.392:                              ;   in Loop: Header=BB285_11 Depth=1
	s_or_b32 exec_lo, exec_lo, s21
	v_lshlrev_b32_e32 v1, 24, v1
	s_delay_alu instid0(VALU_DEP_2) | instskip(SKIP_1) | instid1(VALU_DEP_3)
	v_lshlrev_b32_e32 v2, 20, v15
	v_lshl_add_u32 v0, v0, 23, 0x3c000000
	v_and_b32_e32 v1, 0x80000000, v1
	s_delay_alu instid0(VALU_DEP_1)
	v_or3_b32 v1, v2, v1, v0
	v_mov_b32_e32 v0, v16
	scratch_store_b64 off, v[0:1], s32 offset:496 ; 8-byte Folded Spill
.LBB285_393:                            ;   in Loop: Header=BB285_11 Depth=1
	s_or_b32 exec_lo, exec_lo, s8
.LBB285_394:                            ;   in Loop: Header=BB285_11 Depth=1
	s_delay_alu instid0(SALU_CYCLE_1)
	s_or_b32 exec_lo, exec_lo, s20
.LBB285_395:                            ;   in Loop: Header=BB285_11 Depth=1
	s_delay_alu instid0(SALU_CYCLE_1)
	s_or_b32 exec_lo, exec_lo, s19
	flat_load_b32 v0, v[154:155] offset:1536
	v_mov_b32_e32 v2, 0
	v_mov_b32_e32 v3, 0
	s_mov_b32 s8, exec_lo
	s_clause 0x1
	scratch_store_b64 off, v[2:3], s32 offset:512
	scratch_store_b64 off, v[2:3], s32 offset:520
	s_waitcnt vmcnt(0) lgkmcnt(0)
	v_and_b32_e32 v1, 0xff, v0
	s_delay_alu instid0(VALU_DEP_1)
	v_cmpx_ne_u16_e32 0, v1
	s_cbranch_execz .LBB285_403
; %bb.396:                              ;   in Loop: Header=BB285_11 Depth=1
	v_cmp_ne_u16_e64 s1, 0x80, v1
	v_bfrev_b32_e32 v1, 1
	v_mov_b32_e32 v2, 0
	scratch_store_b64 off, v[1:2], s32 offset:520 ; 8-byte Folded Spill
	s_and_saveexec_b32 s19, s1
	s_cbranch_execz .LBB285_402
; %bb.397:                              ;   in Loop: Header=BB285_11 Depth=1
	v_mov_b32_e32 v3, 0x7f800001
	v_and_b32_e32 v2, 0x7f, v0
	v_mov_b32_e32 v4, 0
	s_mov_b32 s20, exec_lo
	scratch_store_b64 off, v[3:4], s32 offset:520 ; 8-byte Folded Spill
	v_cmpx_ne_u32_e32 0x7f, v2
	s_cbranch_execz .LBB285_401
; %bb.398:                              ;   in Loop: Header=BB285_11 Depth=1
	v_and_b32_e32 v15, 7, v0
	v_lshrrev_b32_e32 v1, 3, v2
	s_mov_b32 s21, exec_lo
	v_cmpx_gt_u32_e32 8, v2
; %bb.399:                              ;   in Loop: Header=BB285_11 Depth=1
	s_delay_alu instid0(VALU_DEP_3) | instskip(NEXT) | instid1(VALU_DEP_1)
	v_clz_i32_u32_e32 v1, v15
	v_min_u32_e32 v1, 32, v1
	s_delay_alu instid0(VALU_DEP_1) | instskip(SKIP_1) | instid1(VALU_DEP_2)
	v_subrev_nc_u32_e32 v2, 28, v1
	v_sub_nc_u32_e32 v1, 29, v1
	v_lshlrev_b64 v[2:3], v2, v[15:16]
	s_delay_alu instid0(VALU_DEP_1)
	v_and_b32_e32 v15, 7, v2
; %bb.400:                              ;   in Loop: Header=BB285_11 Depth=1
	s_or_b32 exec_lo, exec_lo, s21
	v_lshlrev_b32_e32 v2, 24, v0
	s_delay_alu instid0(VALU_DEP_2) | instskip(SKIP_1) | instid1(VALU_DEP_3)
	v_lshlrev_b32_e32 v3, 20, v15
	v_lshl_add_u32 v1, v1, 23, 0x3c000000
	v_and_b32_e32 v2, 0x80000000, v2
	s_delay_alu instid0(VALU_DEP_1)
	v_or3_b32 v15, v3, v2, v1
	scratch_store_b64 off, v[15:16], s32 offset:520 ; 8-byte Folded Spill
.LBB285_401:                            ;   in Loop: Header=BB285_11 Depth=1
	s_or_b32 exec_lo, exec_lo, s20
.LBB285_402:                            ;   in Loop: Header=BB285_11 Depth=1
	s_delay_alu instid0(SALU_CYCLE_1)
	s_or_b32 exec_lo, exec_lo, s19
.LBB285_403:                            ;   in Loop: Header=BB285_11 Depth=1
	s_delay_alu instid0(SALU_CYCLE_1) | instskip(SKIP_2) | instid1(VALU_DEP_1)
	s_or_b32 exec_lo, exec_lo, s8
	v_lshrrev_b16 v1, 8, v0
	s_mov_b32 s19, exec_lo
	v_cmpx_ne_u16_e32 0, v1
	s_cbranch_execz .LBB285_411
; %bb.404:                              ;   in Loop: Header=BB285_11 Depth=1
	v_dual_mov_b32 v2, s2 :: v_dual_mov_b32 v3, s3
	s_mov_b32 s20, exec_lo
	scratch_store_b64 off, v[2:3], s32 offset:512 ; 8-byte Folded Spill
	v_cmpx_ne_u16_e32 0x80, v1
	s_cbranch_execz .LBB285_410
; %bb.405:                              ;   in Loop: Header=BB285_11 Depth=1
	s_mov_b32 s8, s2
	v_and_b32_e32 v1, 0xffff, v1
	v_dual_mov_b32 v3, s8 :: v_dual_mov_b32 v4, s9
	s_mov_b32 s8, exec_lo
	s_delay_alu instid0(VALU_DEP_2)
	v_and_b32_e32 v2, 0x7f, v1
	scratch_store_b64 off, v[3:4], s32 offset:512 ; 8-byte Folded Spill
	v_cmpx_ne_u32_e32 0x7f, v2
	s_cbranch_execz .LBB285_409
; %bb.406:                              ;   in Loop: Header=BB285_11 Depth=1
	v_and_b32_e32 v15, 7, v1
	v_lshrrev_b32_e32 v1, 3, v2
	s_mov_b32 s21, exec_lo
	v_cmpx_gt_u32_e32 8, v2
; %bb.407:                              ;   in Loop: Header=BB285_11 Depth=1
	s_delay_alu instid0(VALU_DEP_3) | instskip(NEXT) | instid1(VALU_DEP_1)
	v_clz_i32_u32_e32 v1, v15
	v_min_u32_e32 v1, 32, v1
	s_delay_alu instid0(VALU_DEP_1) | instskip(SKIP_1) | instid1(VALU_DEP_2)
	v_subrev_nc_u32_e32 v2, 28, v1
	v_sub_nc_u32_e32 v1, 29, v1
	v_lshlrev_b64 v[2:3], v2, v[15:16]
	s_delay_alu instid0(VALU_DEP_1)
	v_and_b32_e32 v15, 7, v2
; %bb.408:                              ;   in Loop: Header=BB285_11 Depth=1
	s_or_b32 exec_lo, exec_lo, s21
	v_lshlrev_b32_e32 v2, 16, v0
	s_delay_alu instid0(VALU_DEP_2) | instskip(SKIP_1) | instid1(VALU_DEP_3)
	v_lshlrev_b32_e32 v3, 20, v15
	v_lshl_add_u32 v1, v1, 23, 0x3c000000
	v_and_b32_e32 v2, 0x80000000, v2
	s_delay_alu instid0(VALU_DEP_1)
	v_or3_b32 v2, v3, v2, v1
	v_mov_b32_e32 v1, v16
	scratch_store_b64 off, v[1:2], s32 offset:512 ; 8-byte Folded Spill
.LBB285_409:                            ;   in Loop: Header=BB285_11 Depth=1
	s_or_b32 exec_lo, exec_lo, s8
.LBB285_410:                            ;   in Loop: Header=BB285_11 Depth=1
	s_delay_alu instid0(SALU_CYCLE_1)
	s_or_b32 exec_lo, exec_lo, s20
.LBB285_411:                            ;   in Loop: Header=BB285_11 Depth=1
	s_delay_alu instid0(SALU_CYCLE_1)
	s_or_b32 exec_lo, exec_lo, s19
	v_lshrrev_b32_e32 v1, 16, v0
	v_mov_b32_e32 v3, 0
	v_mov_b32_e32 v4, 0
	s_mov_b32 s8, exec_lo
	s_clause 0x1
	scratch_store_b64 off, v[3:4], s32 offset:528
	scratch_store_b64 off, v[3:4], s32 offset:536
	v_and_b32_e32 v2, 0xff, v1
	s_delay_alu instid0(VALU_DEP_1)
	v_cmpx_ne_u16_e32 0, v2
	s_cbranch_execz .LBB285_419
; %bb.412:                              ;   in Loop: Header=BB285_11 Depth=1
	v_cmp_ne_u16_e64 s1, 0x80, v2
	v_bfrev_b32_e32 v2, 1
	v_mov_b32_e32 v3, 0
	scratch_store_b64 off, v[2:3], s32 offset:536 ; 8-byte Folded Spill
	s_and_saveexec_b32 s19, s1
	s_cbranch_execz .LBB285_418
; %bb.413:                              ;   in Loop: Header=BB285_11 Depth=1
	v_mov_b32_e32 v4, 0x7f800001
	v_bfe_u32 v3, v0, 16, 7
	v_mov_b32_e32 v5, 0
	s_mov_b32 s20, exec_lo
	scratch_store_b64 off, v[4:5], s32 offset:536 ; 8-byte Folded Spill
	v_cmpx_ne_u32_e32 0x7f, v3
	s_cbranch_execz .LBB285_417
; %bb.414:                              ;   in Loop: Header=BB285_11 Depth=1
	v_and_b32_e32 v15, 7, v1
	v_lshrrev_b32_e32 v2, 3, v3
	s_mov_b32 s21, exec_lo
	v_cmpx_gt_u32_e32 8, v3
; %bb.415:                              ;   in Loop: Header=BB285_11 Depth=1
	s_delay_alu instid0(VALU_DEP_3) | instskip(NEXT) | instid1(VALU_DEP_1)
	v_clz_i32_u32_e32 v2, v15
	v_min_u32_e32 v2, 32, v2
	s_delay_alu instid0(VALU_DEP_1) | instskip(SKIP_1) | instid1(VALU_DEP_2)
	v_subrev_nc_u32_e32 v3, 28, v2
	v_sub_nc_u32_e32 v2, 29, v2
	v_lshlrev_b64 v[3:4], v3, v[15:16]
	s_delay_alu instid0(VALU_DEP_1)
	v_and_b32_e32 v15, 7, v3
; %bb.416:                              ;   in Loop: Header=BB285_11 Depth=1
	s_or_b32 exec_lo, exec_lo, s21
	v_lshlrev_b32_e32 v1, 24, v1
	s_delay_alu instid0(VALU_DEP_2) | instskip(SKIP_1) | instid1(VALU_DEP_3)
	v_lshlrev_b32_e32 v3, 20, v15
	v_lshl_add_u32 v2, v2, 23, 0x3c000000
	v_and_b32_e32 v1, 0x80000000, v1
	s_delay_alu instid0(VALU_DEP_1)
	v_or3_b32 v15, v3, v1, v2
	scratch_store_b64 off, v[15:16], s32 offset:536 ; 8-byte Folded Spill
.LBB285_417:                            ;   in Loop: Header=BB285_11 Depth=1
	s_or_b32 exec_lo, exec_lo, s20
.LBB285_418:                            ;   in Loop: Header=BB285_11 Depth=1
	s_delay_alu instid0(SALU_CYCLE_1)
	s_or_b32 exec_lo, exec_lo, s19
.LBB285_419:                            ;   in Loop: Header=BB285_11 Depth=1
	s_delay_alu instid0(SALU_CYCLE_1) | instskip(NEXT) | instid1(SALU_CYCLE_1)
	s_or_b32 exec_lo, exec_lo, s8
	s_mov_b32 s19, exec_lo
	v_cmpx_lt_u32_e32 0xffffff, v0
	s_cbranch_execz .LBB285_427
; %bb.420:                              ;   in Loop: Header=BB285_11 Depth=1
	v_lshrrev_b32_e32 v1, 24, v0
	v_dual_mov_b32 v2, s2 :: v_dual_mov_b32 v3, s3
	s_mov_b32 s20, exec_lo
	scratch_store_b64 off, v[2:3], s32 offset:528 ; 8-byte Folded Spill
	v_cmpx_ne_u32_e32 0x80, v1
	s_cbranch_execz .LBB285_426
; %bb.421:                              ;   in Loop: Header=BB285_11 Depth=1
	s_mov_b32 s8, s2
	v_bfe_u32 v2, v0, 24, 7
	v_dual_mov_b32 v3, s8 :: v_dual_mov_b32 v4, s9
	s_mov_b32 s8, exec_lo
	scratch_store_b64 off, v[3:4], s32 offset:528 ; 8-byte Folded Spill
	v_cmpx_ne_u32_e32 0x7f, v2
	s_cbranch_execz .LBB285_425
; %bb.422:                              ;   in Loop: Header=BB285_11 Depth=1
	v_and_b32_e32 v15, 7, v1
	v_lshrrev_b32_e32 v0, 3, v2
	s_mov_b32 s21, exec_lo
	v_cmpx_gt_u32_e32 8, v2
; %bb.423:                              ;   in Loop: Header=BB285_11 Depth=1
	s_delay_alu instid0(VALU_DEP_3) | instskip(NEXT) | instid1(VALU_DEP_1)
	v_clz_i32_u32_e32 v0, v15
	v_min_u32_e32 v0, 32, v0
	s_delay_alu instid0(VALU_DEP_1) | instskip(SKIP_1) | instid1(VALU_DEP_2)
	v_subrev_nc_u32_e32 v2, 28, v0
	v_sub_nc_u32_e32 v0, 29, v0
	v_lshlrev_b64 v[2:3], v2, v[15:16]
	s_delay_alu instid0(VALU_DEP_1)
	v_and_b32_e32 v15, 7, v2
; %bb.424:                              ;   in Loop: Header=BB285_11 Depth=1
	s_or_b32 exec_lo, exec_lo, s21
	v_lshlrev_b32_e32 v1, 24, v1
	s_delay_alu instid0(VALU_DEP_2) | instskip(SKIP_1) | instid1(VALU_DEP_3)
	v_lshlrev_b32_e32 v2, 20, v15
	v_lshl_add_u32 v0, v0, 23, 0x3c000000
	v_and_b32_e32 v1, 0x80000000, v1
	s_delay_alu instid0(VALU_DEP_1)
	v_or3_b32 v1, v2, v1, v0
	v_mov_b32_e32 v0, v16
	scratch_store_b64 off, v[0:1], s32 offset:528 ; 8-byte Folded Spill
.LBB285_425:                            ;   in Loop: Header=BB285_11 Depth=1
	s_or_b32 exec_lo, exec_lo, s8
.LBB285_426:                            ;   in Loop: Header=BB285_11 Depth=1
	s_delay_alu instid0(SALU_CYCLE_1)
	s_or_b32 exec_lo, exec_lo, s20
.LBB285_427:                            ;   in Loop: Header=BB285_11 Depth=1
	s_delay_alu instid0(SALU_CYCLE_1)
	s_or_b32 exec_lo, exec_lo, s19
	flat_load_b32 v0, v[154:155] offset:1540
	v_mov_b32_e32 v2, 0
	v_mov_b32_e32 v3, 0
	s_mov_b32 s8, exec_lo
	s_clause 0x1
	scratch_store_b64 off, v[2:3], s32 offset:544
	scratch_store_b64 off, v[2:3], s32 offset:552
	s_waitcnt vmcnt(0) lgkmcnt(0)
	v_and_b32_e32 v1, 0xff, v0
	s_delay_alu instid0(VALU_DEP_1)
	v_cmpx_ne_u16_e32 0, v1
	s_cbranch_execz .LBB285_435
; %bb.428:                              ;   in Loop: Header=BB285_11 Depth=1
	v_cmp_ne_u16_e64 s1, 0x80, v1
	v_bfrev_b32_e32 v1, 1
	v_mov_b32_e32 v2, 0
	scratch_store_b64 off, v[1:2], s32 offset:552 ; 8-byte Folded Spill
	s_and_saveexec_b32 s19, s1
	s_cbranch_execz .LBB285_434
; %bb.429:                              ;   in Loop: Header=BB285_11 Depth=1
	v_mov_b32_e32 v3, 0x7f800001
	v_and_b32_e32 v2, 0x7f, v0
	v_mov_b32_e32 v4, 0
	s_mov_b32 s20, exec_lo
	scratch_store_b64 off, v[3:4], s32 offset:552 ; 8-byte Folded Spill
	v_cmpx_ne_u32_e32 0x7f, v2
	s_cbranch_execz .LBB285_433
; %bb.430:                              ;   in Loop: Header=BB285_11 Depth=1
	v_and_b32_e32 v15, 7, v0
	v_lshrrev_b32_e32 v1, 3, v2
	s_mov_b32 s21, exec_lo
	v_cmpx_gt_u32_e32 8, v2
; %bb.431:                              ;   in Loop: Header=BB285_11 Depth=1
	s_delay_alu instid0(VALU_DEP_3) | instskip(NEXT) | instid1(VALU_DEP_1)
	v_clz_i32_u32_e32 v1, v15
	v_min_u32_e32 v1, 32, v1
	s_delay_alu instid0(VALU_DEP_1) | instskip(SKIP_1) | instid1(VALU_DEP_2)
	v_subrev_nc_u32_e32 v2, 28, v1
	v_sub_nc_u32_e32 v1, 29, v1
	v_lshlrev_b64 v[2:3], v2, v[15:16]
	s_delay_alu instid0(VALU_DEP_1)
	v_and_b32_e32 v15, 7, v2
; %bb.432:                              ;   in Loop: Header=BB285_11 Depth=1
	s_or_b32 exec_lo, exec_lo, s21
	v_lshlrev_b32_e32 v2, 24, v0
	s_delay_alu instid0(VALU_DEP_2) | instskip(SKIP_1) | instid1(VALU_DEP_3)
	v_lshlrev_b32_e32 v3, 20, v15
	v_lshl_add_u32 v1, v1, 23, 0x3c000000
	v_and_b32_e32 v2, 0x80000000, v2
	s_delay_alu instid0(VALU_DEP_1)
	v_or3_b32 v15, v3, v2, v1
	scratch_store_b64 off, v[15:16], s32 offset:552 ; 8-byte Folded Spill
.LBB285_433:                            ;   in Loop: Header=BB285_11 Depth=1
	s_or_b32 exec_lo, exec_lo, s20
.LBB285_434:                            ;   in Loop: Header=BB285_11 Depth=1
	s_delay_alu instid0(SALU_CYCLE_1)
	s_or_b32 exec_lo, exec_lo, s19
.LBB285_435:                            ;   in Loop: Header=BB285_11 Depth=1
	s_delay_alu instid0(SALU_CYCLE_1) | instskip(SKIP_2) | instid1(VALU_DEP_1)
	s_or_b32 exec_lo, exec_lo, s8
	v_lshrrev_b16 v1, 8, v0
	s_mov_b32 s19, exec_lo
	v_cmpx_ne_u16_e32 0, v1
	s_cbranch_execz .LBB285_443
; %bb.436:                              ;   in Loop: Header=BB285_11 Depth=1
	v_dual_mov_b32 v2, s2 :: v_dual_mov_b32 v3, s3
	s_mov_b32 s20, exec_lo
	scratch_store_b64 off, v[2:3], s32 offset:544 ; 8-byte Folded Spill
	v_cmpx_ne_u16_e32 0x80, v1
	s_cbranch_execz .LBB285_442
; %bb.437:                              ;   in Loop: Header=BB285_11 Depth=1
	s_mov_b32 s8, s2
	v_and_b32_e32 v1, 0xffff, v1
	v_dual_mov_b32 v3, s8 :: v_dual_mov_b32 v4, s9
	s_mov_b32 s8, exec_lo
	s_delay_alu instid0(VALU_DEP_2)
	v_and_b32_e32 v2, 0x7f, v1
	scratch_store_b64 off, v[3:4], s32 offset:544 ; 8-byte Folded Spill
	v_cmpx_ne_u32_e32 0x7f, v2
	s_cbranch_execz .LBB285_441
; %bb.438:                              ;   in Loop: Header=BB285_11 Depth=1
	v_and_b32_e32 v15, 7, v1
	v_lshrrev_b32_e32 v1, 3, v2
	s_mov_b32 s21, exec_lo
	v_cmpx_gt_u32_e32 8, v2
; %bb.439:                              ;   in Loop: Header=BB285_11 Depth=1
	s_delay_alu instid0(VALU_DEP_3) | instskip(NEXT) | instid1(VALU_DEP_1)
	v_clz_i32_u32_e32 v1, v15
	v_min_u32_e32 v1, 32, v1
	s_delay_alu instid0(VALU_DEP_1) | instskip(SKIP_1) | instid1(VALU_DEP_2)
	v_subrev_nc_u32_e32 v2, 28, v1
	v_sub_nc_u32_e32 v1, 29, v1
	v_lshlrev_b64 v[2:3], v2, v[15:16]
	s_delay_alu instid0(VALU_DEP_1)
	v_and_b32_e32 v15, 7, v2
; %bb.440:                              ;   in Loop: Header=BB285_11 Depth=1
	s_or_b32 exec_lo, exec_lo, s21
	v_lshlrev_b32_e32 v2, 16, v0
	s_delay_alu instid0(VALU_DEP_2) | instskip(SKIP_1) | instid1(VALU_DEP_3)
	v_lshlrev_b32_e32 v3, 20, v15
	v_lshl_add_u32 v1, v1, 23, 0x3c000000
	v_and_b32_e32 v2, 0x80000000, v2
	s_delay_alu instid0(VALU_DEP_1)
	v_or3_b32 v2, v3, v2, v1
	v_mov_b32_e32 v1, v16
	scratch_store_b64 off, v[1:2], s32 offset:544 ; 8-byte Folded Spill
.LBB285_441:                            ;   in Loop: Header=BB285_11 Depth=1
	s_or_b32 exec_lo, exec_lo, s8
.LBB285_442:                            ;   in Loop: Header=BB285_11 Depth=1
	s_delay_alu instid0(SALU_CYCLE_1)
	s_or_b32 exec_lo, exec_lo, s20
.LBB285_443:                            ;   in Loop: Header=BB285_11 Depth=1
	s_delay_alu instid0(SALU_CYCLE_1)
	s_or_b32 exec_lo, exec_lo, s19
	v_lshrrev_b32_e32 v1, 16, v0
	v_mov_b32_e32 v3, 0
	v_mov_b32_e32 v4, 0
	s_mov_b32 s8, exec_lo
	s_clause 0x1
	scratch_store_b64 off, v[3:4], s32 offset:560
	scratch_store_b64 off, v[3:4], s32 offset:568
	v_and_b32_e32 v2, 0xff, v1
	s_delay_alu instid0(VALU_DEP_1)
	v_cmpx_ne_u16_e32 0, v2
	s_cbranch_execz .LBB285_451
; %bb.444:                              ;   in Loop: Header=BB285_11 Depth=1
	v_cmp_ne_u16_e64 s1, 0x80, v2
	v_bfrev_b32_e32 v2, 1
	v_mov_b32_e32 v3, 0
	scratch_store_b64 off, v[2:3], s32 offset:568 ; 8-byte Folded Spill
	s_and_saveexec_b32 s19, s1
	s_cbranch_execz .LBB285_450
; %bb.445:                              ;   in Loop: Header=BB285_11 Depth=1
	v_mov_b32_e32 v4, 0x7f800001
	v_bfe_u32 v3, v0, 16, 7
	v_mov_b32_e32 v5, 0
	s_mov_b32 s20, exec_lo
	scratch_store_b64 off, v[4:5], s32 offset:568 ; 8-byte Folded Spill
	v_cmpx_ne_u32_e32 0x7f, v3
	s_cbranch_execz .LBB285_449
; %bb.446:                              ;   in Loop: Header=BB285_11 Depth=1
	v_and_b32_e32 v15, 7, v1
	v_lshrrev_b32_e32 v2, 3, v3
	s_mov_b32 s21, exec_lo
	v_cmpx_gt_u32_e32 8, v3
; %bb.447:                              ;   in Loop: Header=BB285_11 Depth=1
	s_delay_alu instid0(VALU_DEP_3) | instskip(NEXT) | instid1(VALU_DEP_1)
	v_clz_i32_u32_e32 v2, v15
	v_min_u32_e32 v2, 32, v2
	s_delay_alu instid0(VALU_DEP_1) | instskip(SKIP_1) | instid1(VALU_DEP_2)
	v_subrev_nc_u32_e32 v3, 28, v2
	v_sub_nc_u32_e32 v2, 29, v2
	v_lshlrev_b64 v[3:4], v3, v[15:16]
	s_delay_alu instid0(VALU_DEP_1)
	v_and_b32_e32 v15, 7, v3
; %bb.448:                              ;   in Loop: Header=BB285_11 Depth=1
	s_or_b32 exec_lo, exec_lo, s21
	v_lshlrev_b32_e32 v1, 24, v1
	s_delay_alu instid0(VALU_DEP_2) | instskip(SKIP_1) | instid1(VALU_DEP_3)
	v_lshlrev_b32_e32 v3, 20, v15
	v_lshl_add_u32 v2, v2, 23, 0x3c000000
	v_and_b32_e32 v1, 0x80000000, v1
	s_delay_alu instid0(VALU_DEP_1)
	v_or3_b32 v15, v3, v1, v2
	scratch_store_b64 off, v[15:16], s32 offset:568 ; 8-byte Folded Spill
.LBB285_449:                            ;   in Loop: Header=BB285_11 Depth=1
	s_or_b32 exec_lo, exec_lo, s20
.LBB285_450:                            ;   in Loop: Header=BB285_11 Depth=1
	s_delay_alu instid0(SALU_CYCLE_1)
	s_or_b32 exec_lo, exec_lo, s19
.LBB285_451:                            ;   in Loop: Header=BB285_11 Depth=1
	s_delay_alu instid0(SALU_CYCLE_1) | instskip(NEXT) | instid1(SALU_CYCLE_1)
	s_or_b32 exec_lo, exec_lo, s8
	s_mov_b32 s19, exec_lo
	v_cmpx_lt_u32_e32 0xffffff, v0
	s_cbranch_execz .LBB285_459
; %bb.452:                              ;   in Loop: Header=BB285_11 Depth=1
	v_lshrrev_b32_e32 v1, 24, v0
	v_dual_mov_b32 v2, s2 :: v_dual_mov_b32 v3, s3
	s_mov_b32 s20, exec_lo
	scratch_store_b64 off, v[2:3], s32 offset:560 ; 8-byte Folded Spill
	v_cmpx_ne_u32_e32 0x80, v1
	s_cbranch_execz .LBB285_458
; %bb.453:                              ;   in Loop: Header=BB285_11 Depth=1
	s_mov_b32 s8, s2
	v_bfe_u32 v2, v0, 24, 7
	v_dual_mov_b32 v3, s8 :: v_dual_mov_b32 v4, s9
	s_mov_b32 s8, exec_lo
	scratch_store_b64 off, v[3:4], s32 offset:560 ; 8-byte Folded Spill
	v_cmpx_ne_u32_e32 0x7f, v2
	s_cbranch_execz .LBB285_457
; %bb.454:                              ;   in Loop: Header=BB285_11 Depth=1
	v_and_b32_e32 v15, 7, v1
	v_lshrrev_b32_e32 v0, 3, v2
	s_mov_b32 s21, exec_lo
	v_cmpx_gt_u32_e32 8, v2
; %bb.455:                              ;   in Loop: Header=BB285_11 Depth=1
	s_delay_alu instid0(VALU_DEP_3) | instskip(NEXT) | instid1(VALU_DEP_1)
	v_clz_i32_u32_e32 v0, v15
	v_min_u32_e32 v0, 32, v0
	s_delay_alu instid0(VALU_DEP_1) | instskip(SKIP_1) | instid1(VALU_DEP_2)
	v_subrev_nc_u32_e32 v2, 28, v0
	v_sub_nc_u32_e32 v0, 29, v0
	v_lshlrev_b64 v[2:3], v2, v[15:16]
	s_delay_alu instid0(VALU_DEP_1)
	v_and_b32_e32 v15, 7, v2
; %bb.456:                              ;   in Loop: Header=BB285_11 Depth=1
	s_or_b32 exec_lo, exec_lo, s21
	v_lshlrev_b32_e32 v1, 24, v1
	s_delay_alu instid0(VALU_DEP_2) | instskip(SKIP_1) | instid1(VALU_DEP_3)
	v_lshlrev_b32_e32 v2, 20, v15
	v_lshl_add_u32 v0, v0, 23, 0x3c000000
	v_and_b32_e32 v1, 0x80000000, v1
	s_delay_alu instid0(VALU_DEP_1)
	v_or3_b32 v1, v2, v1, v0
	v_mov_b32_e32 v0, v16
	scratch_store_b64 off, v[0:1], s32 offset:560 ; 8-byte Folded Spill
.LBB285_457:                            ;   in Loop: Header=BB285_11 Depth=1
	s_or_b32 exec_lo, exec_lo, s8
.LBB285_458:                            ;   in Loop: Header=BB285_11 Depth=1
	s_delay_alu instid0(SALU_CYCLE_1)
	s_or_b32 exec_lo, exec_lo, s20
.LBB285_459:                            ;   in Loop: Header=BB285_11 Depth=1
	s_delay_alu instid0(SALU_CYCLE_1)
	s_or_b32 exec_lo, exec_lo, s19
	flat_load_b32 v0, v[154:155] offset:1544
	v_mov_b32_e32 v2, 0
	v_mov_b32_e32 v3, 0
	s_mov_b32 s8, exec_lo
	s_clause 0x1
	scratch_store_b64 off, v[2:3], s32 offset:576
	scratch_store_b64 off, v[2:3], s32 offset:584
	s_waitcnt vmcnt(0) lgkmcnt(0)
	v_and_b32_e32 v1, 0xff, v0
	s_delay_alu instid0(VALU_DEP_1)
	v_cmpx_ne_u16_e32 0, v1
	s_cbranch_execz .LBB285_467
; %bb.460:                              ;   in Loop: Header=BB285_11 Depth=1
	v_cmp_ne_u16_e64 s1, 0x80, v1
	v_bfrev_b32_e32 v1, 1
	v_mov_b32_e32 v2, 0
	scratch_store_b64 off, v[1:2], s32 offset:584 ; 8-byte Folded Spill
	s_and_saveexec_b32 s19, s1
	s_cbranch_execz .LBB285_466
; %bb.461:                              ;   in Loop: Header=BB285_11 Depth=1
	v_mov_b32_e32 v3, 0x7f800001
	v_and_b32_e32 v2, 0x7f, v0
	v_mov_b32_e32 v4, 0
	s_mov_b32 s20, exec_lo
	scratch_store_b64 off, v[3:4], s32 offset:584 ; 8-byte Folded Spill
	v_cmpx_ne_u32_e32 0x7f, v2
	s_cbranch_execz .LBB285_465
; %bb.462:                              ;   in Loop: Header=BB285_11 Depth=1
	v_and_b32_e32 v15, 7, v0
	v_lshrrev_b32_e32 v1, 3, v2
	s_mov_b32 s21, exec_lo
	v_cmpx_gt_u32_e32 8, v2
; %bb.463:                              ;   in Loop: Header=BB285_11 Depth=1
	s_delay_alu instid0(VALU_DEP_3) | instskip(NEXT) | instid1(VALU_DEP_1)
	v_clz_i32_u32_e32 v1, v15
	v_min_u32_e32 v1, 32, v1
	s_delay_alu instid0(VALU_DEP_1) | instskip(SKIP_1) | instid1(VALU_DEP_2)
	v_subrev_nc_u32_e32 v2, 28, v1
	v_sub_nc_u32_e32 v1, 29, v1
	v_lshlrev_b64 v[2:3], v2, v[15:16]
	s_delay_alu instid0(VALU_DEP_1)
	v_and_b32_e32 v15, 7, v2
; %bb.464:                              ;   in Loop: Header=BB285_11 Depth=1
	s_or_b32 exec_lo, exec_lo, s21
	v_lshlrev_b32_e32 v2, 24, v0
	s_delay_alu instid0(VALU_DEP_2) | instskip(SKIP_1) | instid1(VALU_DEP_3)
	v_lshlrev_b32_e32 v3, 20, v15
	v_lshl_add_u32 v1, v1, 23, 0x3c000000
	v_and_b32_e32 v2, 0x80000000, v2
	s_delay_alu instid0(VALU_DEP_1)
	v_or3_b32 v15, v3, v2, v1
	scratch_store_b64 off, v[15:16], s32 offset:584 ; 8-byte Folded Spill
.LBB285_465:                            ;   in Loop: Header=BB285_11 Depth=1
	s_or_b32 exec_lo, exec_lo, s20
.LBB285_466:                            ;   in Loop: Header=BB285_11 Depth=1
	s_delay_alu instid0(SALU_CYCLE_1)
	s_or_b32 exec_lo, exec_lo, s19
.LBB285_467:                            ;   in Loop: Header=BB285_11 Depth=1
	s_delay_alu instid0(SALU_CYCLE_1) | instskip(SKIP_2) | instid1(VALU_DEP_1)
	s_or_b32 exec_lo, exec_lo, s8
	v_lshrrev_b16 v1, 8, v0
	s_mov_b32 s19, exec_lo
	v_cmpx_ne_u16_e32 0, v1
	s_cbranch_execz .LBB285_475
; %bb.468:                              ;   in Loop: Header=BB285_11 Depth=1
	v_dual_mov_b32 v2, s2 :: v_dual_mov_b32 v3, s3
	s_mov_b32 s20, exec_lo
	scratch_store_b64 off, v[2:3], s32 offset:576 ; 8-byte Folded Spill
	v_cmpx_ne_u16_e32 0x80, v1
	s_cbranch_execz .LBB285_474
; %bb.469:                              ;   in Loop: Header=BB285_11 Depth=1
	s_mov_b32 s8, s2
	v_and_b32_e32 v1, 0xffff, v1
	v_dual_mov_b32 v3, s8 :: v_dual_mov_b32 v4, s9
	s_mov_b32 s8, exec_lo
	s_delay_alu instid0(VALU_DEP_2)
	v_and_b32_e32 v2, 0x7f, v1
	scratch_store_b64 off, v[3:4], s32 offset:576 ; 8-byte Folded Spill
	v_cmpx_ne_u32_e32 0x7f, v2
	s_cbranch_execz .LBB285_473
; %bb.470:                              ;   in Loop: Header=BB285_11 Depth=1
	v_and_b32_e32 v15, 7, v1
	v_lshrrev_b32_e32 v1, 3, v2
	s_mov_b32 s21, exec_lo
	v_cmpx_gt_u32_e32 8, v2
; %bb.471:                              ;   in Loop: Header=BB285_11 Depth=1
	s_delay_alu instid0(VALU_DEP_3) | instskip(NEXT) | instid1(VALU_DEP_1)
	v_clz_i32_u32_e32 v1, v15
	v_min_u32_e32 v1, 32, v1
	s_delay_alu instid0(VALU_DEP_1) | instskip(SKIP_1) | instid1(VALU_DEP_2)
	v_subrev_nc_u32_e32 v2, 28, v1
	v_sub_nc_u32_e32 v1, 29, v1
	v_lshlrev_b64 v[2:3], v2, v[15:16]
	s_delay_alu instid0(VALU_DEP_1)
	v_and_b32_e32 v15, 7, v2
; %bb.472:                              ;   in Loop: Header=BB285_11 Depth=1
	s_or_b32 exec_lo, exec_lo, s21
	v_lshlrev_b32_e32 v2, 16, v0
	s_delay_alu instid0(VALU_DEP_2) | instskip(SKIP_1) | instid1(VALU_DEP_3)
	v_lshlrev_b32_e32 v3, 20, v15
	v_lshl_add_u32 v1, v1, 23, 0x3c000000
	v_and_b32_e32 v2, 0x80000000, v2
	s_delay_alu instid0(VALU_DEP_1)
	v_or3_b32 v2, v3, v2, v1
	v_mov_b32_e32 v1, v16
	scratch_store_b64 off, v[1:2], s32 offset:576 ; 8-byte Folded Spill
.LBB285_473:                            ;   in Loop: Header=BB285_11 Depth=1
	s_or_b32 exec_lo, exec_lo, s8
.LBB285_474:                            ;   in Loop: Header=BB285_11 Depth=1
	s_delay_alu instid0(SALU_CYCLE_1)
	s_or_b32 exec_lo, exec_lo, s20
.LBB285_475:                            ;   in Loop: Header=BB285_11 Depth=1
	s_delay_alu instid0(SALU_CYCLE_1)
	s_or_b32 exec_lo, exec_lo, s19
	v_lshrrev_b32_e32 v1, 16, v0
	v_mov_b32_e32 v3, 0
	v_mov_b32_e32 v4, 0
	s_mov_b32 s8, exec_lo
	s_clause 0x1
	scratch_store_b64 off, v[3:4], s32 offset:592
	scratch_store_b64 off, v[3:4], s32 offset:600
	v_and_b32_e32 v2, 0xff, v1
	s_delay_alu instid0(VALU_DEP_1)
	v_cmpx_ne_u16_e32 0, v2
	s_cbranch_execz .LBB285_483
; %bb.476:                              ;   in Loop: Header=BB285_11 Depth=1
	v_cmp_ne_u16_e64 s1, 0x80, v2
	v_bfrev_b32_e32 v2, 1
	v_mov_b32_e32 v3, 0
	scratch_store_b64 off, v[2:3], s32 offset:600 ; 8-byte Folded Spill
	s_and_saveexec_b32 s19, s1
	s_cbranch_execz .LBB285_482
; %bb.477:                              ;   in Loop: Header=BB285_11 Depth=1
	v_mov_b32_e32 v4, 0x7f800001
	v_bfe_u32 v3, v0, 16, 7
	v_mov_b32_e32 v5, 0
	s_mov_b32 s20, exec_lo
	scratch_store_b64 off, v[4:5], s32 offset:600 ; 8-byte Folded Spill
	v_cmpx_ne_u32_e32 0x7f, v3
	s_cbranch_execz .LBB285_481
; %bb.478:                              ;   in Loop: Header=BB285_11 Depth=1
	v_and_b32_e32 v15, 7, v1
	v_lshrrev_b32_e32 v2, 3, v3
	s_mov_b32 s21, exec_lo
	v_cmpx_gt_u32_e32 8, v3
; %bb.479:                              ;   in Loop: Header=BB285_11 Depth=1
	s_delay_alu instid0(VALU_DEP_3) | instskip(NEXT) | instid1(VALU_DEP_1)
	v_clz_i32_u32_e32 v2, v15
	v_min_u32_e32 v2, 32, v2
	s_delay_alu instid0(VALU_DEP_1) | instskip(SKIP_1) | instid1(VALU_DEP_2)
	v_subrev_nc_u32_e32 v3, 28, v2
	v_sub_nc_u32_e32 v2, 29, v2
	v_lshlrev_b64 v[3:4], v3, v[15:16]
	s_delay_alu instid0(VALU_DEP_1)
	v_and_b32_e32 v15, 7, v3
; %bb.480:                              ;   in Loop: Header=BB285_11 Depth=1
	s_or_b32 exec_lo, exec_lo, s21
	v_lshlrev_b32_e32 v1, 24, v1
	s_delay_alu instid0(VALU_DEP_2) | instskip(SKIP_1) | instid1(VALU_DEP_3)
	v_lshlrev_b32_e32 v3, 20, v15
	v_lshl_add_u32 v2, v2, 23, 0x3c000000
	v_and_b32_e32 v1, 0x80000000, v1
	s_delay_alu instid0(VALU_DEP_1)
	v_or3_b32 v15, v3, v1, v2
	scratch_store_b64 off, v[15:16], s32 offset:600 ; 8-byte Folded Spill
.LBB285_481:                            ;   in Loop: Header=BB285_11 Depth=1
	s_or_b32 exec_lo, exec_lo, s20
.LBB285_482:                            ;   in Loop: Header=BB285_11 Depth=1
	s_delay_alu instid0(SALU_CYCLE_1)
	s_or_b32 exec_lo, exec_lo, s19
.LBB285_483:                            ;   in Loop: Header=BB285_11 Depth=1
	s_delay_alu instid0(SALU_CYCLE_1) | instskip(NEXT) | instid1(SALU_CYCLE_1)
	s_or_b32 exec_lo, exec_lo, s8
	s_mov_b32 s19, exec_lo
	v_cmpx_lt_u32_e32 0xffffff, v0
	s_cbranch_execz .LBB285_491
; %bb.484:                              ;   in Loop: Header=BB285_11 Depth=1
	v_lshrrev_b32_e32 v1, 24, v0
	v_dual_mov_b32 v2, s2 :: v_dual_mov_b32 v3, s3
	s_mov_b32 s20, exec_lo
	scratch_store_b64 off, v[2:3], s32 offset:592 ; 8-byte Folded Spill
	v_cmpx_ne_u32_e32 0x80, v1
	s_cbranch_execz .LBB285_490
; %bb.485:                              ;   in Loop: Header=BB285_11 Depth=1
	s_mov_b32 s8, s2
	v_bfe_u32 v2, v0, 24, 7
	v_dual_mov_b32 v3, s8 :: v_dual_mov_b32 v4, s9
	s_mov_b32 s8, exec_lo
	scratch_store_b64 off, v[3:4], s32 offset:592 ; 8-byte Folded Spill
	v_cmpx_ne_u32_e32 0x7f, v2
	s_cbranch_execz .LBB285_489
; %bb.486:                              ;   in Loop: Header=BB285_11 Depth=1
	v_and_b32_e32 v15, 7, v1
	v_lshrrev_b32_e32 v0, 3, v2
	s_mov_b32 s21, exec_lo
	v_cmpx_gt_u32_e32 8, v2
; %bb.487:                              ;   in Loop: Header=BB285_11 Depth=1
	s_delay_alu instid0(VALU_DEP_3) | instskip(NEXT) | instid1(VALU_DEP_1)
	v_clz_i32_u32_e32 v0, v15
	v_min_u32_e32 v0, 32, v0
	s_delay_alu instid0(VALU_DEP_1) | instskip(SKIP_1) | instid1(VALU_DEP_2)
	v_subrev_nc_u32_e32 v2, 28, v0
	v_sub_nc_u32_e32 v0, 29, v0
	v_lshlrev_b64 v[2:3], v2, v[15:16]
	s_delay_alu instid0(VALU_DEP_1)
	v_and_b32_e32 v15, 7, v2
; %bb.488:                              ;   in Loop: Header=BB285_11 Depth=1
	s_or_b32 exec_lo, exec_lo, s21
	v_lshlrev_b32_e32 v1, 24, v1
	s_delay_alu instid0(VALU_DEP_2) | instskip(SKIP_1) | instid1(VALU_DEP_3)
	v_lshlrev_b32_e32 v2, 20, v15
	v_lshl_add_u32 v0, v0, 23, 0x3c000000
	v_and_b32_e32 v1, 0x80000000, v1
	s_delay_alu instid0(VALU_DEP_1)
	v_or3_b32 v1, v2, v1, v0
	v_mov_b32_e32 v0, v16
	scratch_store_b64 off, v[0:1], s32 offset:592 ; 8-byte Folded Spill
.LBB285_489:                            ;   in Loop: Header=BB285_11 Depth=1
	s_or_b32 exec_lo, exec_lo, s8
.LBB285_490:                            ;   in Loop: Header=BB285_11 Depth=1
	s_delay_alu instid0(SALU_CYCLE_1)
	s_or_b32 exec_lo, exec_lo, s20
.LBB285_491:                            ;   in Loop: Header=BB285_11 Depth=1
	s_delay_alu instid0(SALU_CYCLE_1)
	s_or_b32 exec_lo, exec_lo, s19
	flat_load_b32 v0, v[154:155] offset:1548
	v_mov_b32_e32 v2, 0
	v_mov_b32_e32 v3, 0
	s_mov_b32 s8, exec_lo
	s_clause 0x1
	scratch_store_b64 off, v[2:3], s32 offset:608
	scratch_store_b64 off, v[2:3], s32 offset:616
	s_waitcnt vmcnt(0) lgkmcnt(0)
	v_and_b32_e32 v1, 0xff, v0
	s_delay_alu instid0(VALU_DEP_1)
	v_cmpx_ne_u16_e32 0, v1
	s_cbranch_execz .LBB285_499
; %bb.492:                              ;   in Loop: Header=BB285_11 Depth=1
	v_cmp_ne_u16_e64 s1, 0x80, v1
	v_bfrev_b32_e32 v1, 1
	v_mov_b32_e32 v2, 0
	scratch_store_b64 off, v[1:2], s32 offset:616 ; 8-byte Folded Spill
	s_and_saveexec_b32 s19, s1
	s_cbranch_execz .LBB285_498
; %bb.493:                              ;   in Loop: Header=BB285_11 Depth=1
	v_mov_b32_e32 v3, 0x7f800001
	v_and_b32_e32 v2, 0x7f, v0
	v_mov_b32_e32 v4, 0
	s_mov_b32 s20, exec_lo
	scratch_store_b64 off, v[3:4], s32 offset:616 ; 8-byte Folded Spill
	v_cmpx_ne_u32_e32 0x7f, v2
	s_cbranch_execz .LBB285_497
; %bb.494:                              ;   in Loop: Header=BB285_11 Depth=1
	v_and_b32_e32 v15, 7, v0
	v_lshrrev_b32_e32 v1, 3, v2
	s_mov_b32 s21, exec_lo
	v_cmpx_gt_u32_e32 8, v2
; %bb.495:                              ;   in Loop: Header=BB285_11 Depth=1
	s_delay_alu instid0(VALU_DEP_3) | instskip(NEXT) | instid1(VALU_DEP_1)
	v_clz_i32_u32_e32 v1, v15
	v_min_u32_e32 v1, 32, v1
	s_delay_alu instid0(VALU_DEP_1) | instskip(SKIP_1) | instid1(VALU_DEP_2)
	v_subrev_nc_u32_e32 v2, 28, v1
	v_sub_nc_u32_e32 v1, 29, v1
	v_lshlrev_b64 v[2:3], v2, v[15:16]
	s_delay_alu instid0(VALU_DEP_1)
	v_and_b32_e32 v15, 7, v2
; %bb.496:                              ;   in Loop: Header=BB285_11 Depth=1
	s_or_b32 exec_lo, exec_lo, s21
	v_lshlrev_b32_e32 v2, 24, v0
	s_delay_alu instid0(VALU_DEP_2) | instskip(SKIP_1) | instid1(VALU_DEP_3)
	v_lshlrev_b32_e32 v3, 20, v15
	v_lshl_add_u32 v1, v1, 23, 0x3c000000
	v_and_b32_e32 v2, 0x80000000, v2
	s_delay_alu instid0(VALU_DEP_1)
	v_or3_b32 v15, v3, v2, v1
	scratch_store_b64 off, v[15:16], s32 offset:616 ; 8-byte Folded Spill
.LBB285_497:                            ;   in Loop: Header=BB285_11 Depth=1
	s_or_b32 exec_lo, exec_lo, s20
.LBB285_498:                            ;   in Loop: Header=BB285_11 Depth=1
	s_delay_alu instid0(SALU_CYCLE_1)
	s_or_b32 exec_lo, exec_lo, s19
.LBB285_499:                            ;   in Loop: Header=BB285_11 Depth=1
	s_delay_alu instid0(SALU_CYCLE_1) | instskip(SKIP_2) | instid1(VALU_DEP_1)
	s_or_b32 exec_lo, exec_lo, s8
	v_lshrrev_b16 v1, 8, v0
	s_mov_b32 s19, exec_lo
	v_cmpx_ne_u16_e32 0, v1
	s_cbranch_execz .LBB285_507
; %bb.500:                              ;   in Loop: Header=BB285_11 Depth=1
	v_dual_mov_b32 v2, s2 :: v_dual_mov_b32 v3, s3
	s_mov_b32 s20, exec_lo
	scratch_store_b64 off, v[2:3], s32 offset:608 ; 8-byte Folded Spill
	v_cmpx_ne_u16_e32 0x80, v1
	s_cbranch_execz .LBB285_506
; %bb.501:                              ;   in Loop: Header=BB285_11 Depth=1
	s_mov_b32 s8, s2
	v_and_b32_e32 v1, 0xffff, v1
	v_dual_mov_b32 v3, s8 :: v_dual_mov_b32 v4, s9
	s_mov_b32 s8, exec_lo
	s_delay_alu instid0(VALU_DEP_2)
	v_and_b32_e32 v2, 0x7f, v1
	scratch_store_b64 off, v[3:4], s32 offset:608 ; 8-byte Folded Spill
	v_cmpx_ne_u32_e32 0x7f, v2
	s_cbranch_execz .LBB285_505
; %bb.502:                              ;   in Loop: Header=BB285_11 Depth=1
	v_and_b32_e32 v15, 7, v1
	v_lshrrev_b32_e32 v1, 3, v2
	s_mov_b32 s21, exec_lo
	v_cmpx_gt_u32_e32 8, v2
; %bb.503:                              ;   in Loop: Header=BB285_11 Depth=1
	s_delay_alu instid0(VALU_DEP_3) | instskip(NEXT) | instid1(VALU_DEP_1)
	v_clz_i32_u32_e32 v1, v15
	v_min_u32_e32 v1, 32, v1
	s_delay_alu instid0(VALU_DEP_1) | instskip(SKIP_1) | instid1(VALU_DEP_2)
	v_subrev_nc_u32_e32 v2, 28, v1
	v_sub_nc_u32_e32 v1, 29, v1
	v_lshlrev_b64 v[2:3], v2, v[15:16]
	s_delay_alu instid0(VALU_DEP_1)
	v_and_b32_e32 v15, 7, v2
; %bb.504:                              ;   in Loop: Header=BB285_11 Depth=1
	s_or_b32 exec_lo, exec_lo, s21
	v_lshlrev_b32_e32 v2, 16, v0
	s_delay_alu instid0(VALU_DEP_2) | instskip(SKIP_1) | instid1(VALU_DEP_3)
	v_lshlrev_b32_e32 v3, 20, v15
	v_lshl_add_u32 v1, v1, 23, 0x3c000000
	v_and_b32_e32 v2, 0x80000000, v2
	s_delay_alu instid0(VALU_DEP_1)
	v_or3_b32 v2, v3, v2, v1
	v_mov_b32_e32 v1, v16
	scratch_store_b64 off, v[1:2], s32 offset:608 ; 8-byte Folded Spill
.LBB285_505:                            ;   in Loop: Header=BB285_11 Depth=1
	s_or_b32 exec_lo, exec_lo, s8
.LBB285_506:                            ;   in Loop: Header=BB285_11 Depth=1
	s_delay_alu instid0(SALU_CYCLE_1)
	s_or_b32 exec_lo, exec_lo, s20
.LBB285_507:                            ;   in Loop: Header=BB285_11 Depth=1
	s_delay_alu instid0(SALU_CYCLE_1)
	s_or_b32 exec_lo, exec_lo, s19
	v_lshrrev_b32_e32 v1, 16, v0
	v_mov_b32_e32 v3, 0
	v_mov_b32_e32 v4, 0
	s_mov_b32 s8, exec_lo
	s_clause 0x1
	scratch_store_b64 off, v[3:4], s32 offset:624
	scratch_store_b64 off, v[3:4], s32 offset:632
	v_and_b32_e32 v2, 0xff, v1
	s_delay_alu instid0(VALU_DEP_1)
	v_cmpx_ne_u16_e32 0, v2
	s_cbranch_execz .LBB285_515
; %bb.508:                              ;   in Loop: Header=BB285_11 Depth=1
	v_cmp_ne_u16_e64 s1, 0x80, v2
	v_bfrev_b32_e32 v2, 1
	v_mov_b32_e32 v3, 0
	scratch_store_b64 off, v[2:3], s32 offset:632 ; 8-byte Folded Spill
	s_and_saveexec_b32 s19, s1
	s_cbranch_execz .LBB285_514
; %bb.509:                              ;   in Loop: Header=BB285_11 Depth=1
	v_mov_b32_e32 v4, 0x7f800001
	v_bfe_u32 v3, v0, 16, 7
	v_mov_b32_e32 v5, 0
	s_mov_b32 s20, exec_lo
	scratch_store_b64 off, v[4:5], s32 offset:632 ; 8-byte Folded Spill
	v_cmpx_ne_u32_e32 0x7f, v3
	s_cbranch_execz .LBB285_513
; %bb.510:                              ;   in Loop: Header=BB285_11 Depth=1
	v_and_b32_e32 v15, 7, v1
	v_lshrrev_b32_e32 v2, 3, v3
	s_mov_b32 s21, exec_lo
	v_cmpx_gt_u32_e32 8, v3
; %bb.511:                              ;   in Loop: Header=BB285_11 Depth=1
	s_delay_alu instid0(VALU_DEP_3) | instskip(NEXT) | instid1(VALU_DEP_1)
	v_clz_i32_u32_e32 v2, v15
	v_min_u32_e32 v2, 32, v2
	s_delay_alu instid0(VALU_DEP_1) | instskip(SKIP_1) | instid1(VALU_DEP_2)
	v_subrev_nc_u32_e32 v3, 28, v2
	v_sub_nc_u32_e32 v2, 29, v2
	v_lshlrev_b64 v[3:4], v3, v[15:16]
	s_delay_alu instid0(VALU_DEP_1)
	v_and_b32_e32 v15, 7, v3
; %bb.512:                              ;   in Loop: Header=BB285_11 Depth=1
	s_or_b32 exec_lo, exec_lo, s21
	v_lshlrev_b32_e32 v1, 24, v1
	s_delay_alu instid0(VALU_DEP_2) | instskip(SKIP_1) | instid1(VALU_DEP_3)
	v_lshlrev_b32_e32 v3, 20, v15
	v_lshl_add_u32 v2, v2, 23, 0x3c000000
	v_and_b32_e32 v1, 0x80000000, v1
	s_delay_alu instid0(VALU_DEP_1)
	v_or3_b32 v15, v3, v1, v2
	scratch_store_b64 off, v[15:16], s32 offset:632 ; 8-byte Folded Spill
.LBB285_513:                            ;   in Loop: Header=BB285_11 Depth=1
	s_or_b32 exec_lo, exec_lo, s20
.LBB285_514:                            ;   in Loop: Header=BB285_11 Depth=1
	s_delay_alu instid0(SALU_CYCLE_1)
	s_or_b32 exec_lo, exec_lo, s19
.LBB285_515:                            ;   in Loop: Header=BB285_11 Depth=1
	s_delay_alu instid0(SALU_CYCLE_1) | instskip(NEXT) | instid1(SALU_CYCLE_1)
	s_or_b32 exec_lo, exec_lo, s8
	s_mov_b32 s19, exec_lo
	v_cmpx_lt_u32_e32 0xffffff, v0
	s_cbranch_execz .LBB285_523
; %bb.516:                              ;   in Loop: Header=BB285_11 Depth=1
	v_lshrrev_b32_e32 v1, 24, v0
	v_dual_mov_b32 v2, s2 :: v_dual_mov_b32 v3, s3
	s_mov_b32 s20, exec_lo
	scratch_store_b64 off, v[2:3], s32 offset:624 ; 8-byte Folded Spill
	v_cmpx_ne_u32_e32 0x80, v1
	s_cbranch_execz .LBB285_522
; %bb.517:                              ;   in Loop: Header=BB285_11 Depth=1
	s_mov_b32 s8, s2
	v_bfe_u32 v2, v0, 24, 7
	v_dual_mov_b32 v3, s8 :: v_dual_mov_b32 v4, s9
	s_mov_b32 s8, exec_lo
	scratch_store_b64 off, v[3:4], s32 offset:624 ; 8-byte Folded Spill
	v_cmpx_ne_u32_e32 0x7f, v2
	s_cbranch_execz .LBB285_521
; %bb.518:                              ;   in Loop: Header=BB285_11 Depth=1
	v_and_b32_e32 v15, 7, v1
	v_lshrrev_b32_e32 v0, 3, v2
	s_mov_b32 s21, exec_lo
	v_cmpx_gt_u32_e32 8, v2
; %bb.519:                              ;   in Loop: Header=BB285_11 Depth=1
	s_delay_alu instid0(VALU_DEP_3) | instskip(NEXT) | instid1(VALU_DEP_1)
	v_clz_i32_u32_e32 v0, v15
	v_min_u32_e32 v0, 32, v0
	s_delay_alu instid0(VALU_DEP_1) | instskip(SKIP_1) | instid1(VALU_DEP_2)
	v_subrev_nc_u32_e32 v2, 28, v0
	v_sub_nc_u32_e32 v0, 29, v0
	v_lshlrev_b64 v[2:3], v2, v[15:16]
	s_delay_alu instid0(VALU_DEP_1)
	v_and_b32_e32 v15, 7, v2
; %bb.520:                              ;   in Loop: Header=BB285_11 Depth=1
	s_or_b32 exec_lo, exec_lo, s21
	v_lshlrev_b32_e32 v1, 24, v1
	s_delay_alu instid0(VALU_DEP_2) | instskip(SKIP_1) | instid1(VALU_DEP_3)
	v_lshlrev_b32_e32 v2, 20, v15
	v_lshl_add_u32 v0, v0, 23, 0x3c000000
	v_and_b32_e32 v1, 0x80000000, v1
	s_delay_alu instid0(VALU_DEP_1)
	v_or3_b32 v1, v2, v1, v0
	v_mov_b32_e32 v0, v16
	scratch_store_b64 off, v[0:1], s32 offset:624 ; 8-byte Folded Spill
.LBB285_521:                            ;   in Loop: Header=BB285_11 Depth=1
	s_or_b32 exec_lo, exec_lo, s8
.LBB285_522:                            ;   in Loop: Header=BB285_11 Depth=1
	s_delay_alu instid0(SALU_CYCLE_1)
	s_or_b32 exec_lo, exec_lo, s20
.LBB285_523:                            ;   in Loop: Header=BB285_11 Depth=1
	s_delay_alu instid0(SALU_CYCLE_1)
	s_or_b32 exec_lo, exec_lo, s19
	flat_load_b32 v0, v[154:155] offset:2048
	v_mov_b32_e32 v2, 0
	v_mov_b32_e32 v3, 0
	s_mov_b32 s8, exec_lo
	s_clause 0x1
	scratch_store_b64 off, v[2:3], s32 offset:640
	scratch_store_b64 off, v[2:3], s32 offset:648
	s_waitcnt vmcnt(0) lgkmcnt(0)
	v_and_b32_e32 v1, 0xff, v0
	s_delay_alu instid0(VALU_DEP_1)
	v_cmpx_ne_u16_e32 0, v1
	s_cbranch_execz .LBB285_531
; %bb.524:                              ;   in Loop: Header=BB285_11 Depth=1
	v_cmp_ne_u16_e64 s1, 0x80, v1
	v_bfrev_b32_e32 v1, 1
	v_mov_b32_e32 v2, 0
	scratch_store_b64 off, v[1:2], s32 offset:648 ; 8-byte Folded Spill
	s_and_saveexec_b32 s19, s1
	s_cbranch_execz .LBB285_530
; %bb.525:                              ;   in Loop: Header=BB285_11 Depth=1
	v_mov_b32_e32 v3, 0x7f800001
	v_and_b32_e32 v2, 0x7f, v0
	v_mov_b32_e32 v4, 0
	s_mov_b32 s20, exec_lo
	scratch_store_b64 off, v[3:4], s32 offset:648 ; 8-byte Folded Spill
	v_cmpx_ne_u32_e32 0x7f, v2
	s_cbranch_execz .LBB285_529
; %bb.526:                              ;   in Loop: Header=BB285_11 Depth=1
	v_and_b32_e32 v15, 7, v0
	v_lshrrev_b32_e32 v1, 3, v2
	s_mov_b32 s21, exec_lo
	v_cmpx_gt_u32_e32 8, v2
; %bb.527:                              ;   in Loop: Header=BB285_11 Depth=1
	s_delay_alu instid0(VALU_DEP_3) | instskip(NEXT) | instid1(VALU_DEP_1)
	v_clz_i32_u32_e32 v1, v15
	v_min_u32_e32 v1, 32, v1
	s_delay_alu instid0(VALU_DEP_1) | instskip(SKIP_1) | instid1(VALU_DEP_2)
	v_subrev_nc_u32_e32 v2, 28, v1
	v_sub_nc_u32_e32 v1, 29, v1
	v_lshlrev_b64 v[2:3], v2, v[15:16]
	s_delay_alu instid0(VALU_DEP_1)
	v_and_b32_e32 v15, 7, v2
; %bb.528:                              ;   in Loop: Header=BB285_11 Depth=1
	s_or_b32 exec_lo, exec_lo, s21
	v_lshlrev_b32_e32 v2, 24, v0
	s_delay_alu instid0(VALU_DEP_2) | instskip(SKIP_1) | instid1(VALU_DEP_3)
	v_lshlrev_b32_e32 v3, 20, v15
	v_lshl_add_u32 v1, v1, 23, 0x3c000000
	v_and_b32_e32 v2, 0x80000000, v2
	s_delay_alu instid0(VALU_DEP_1)
	v_or3_b32 v15, v3, v2, v1
	scratch_store_b64 off, v[15:16], s32 offset:648 ; 8-byte Folded Spill
.LBB285_529:                            ;   in Loop: Header=BB285_11 Depth=1
	s_or_b32 exec_lo, exec_lo, s20
.LBB285_530:                            ;   in Loop: Header=BB285_11 Depth=1
	s_delay_alu instid0(SALU_CYCLE_1)
	s_or_b32 exec_lo, exec_lo, s19
.LBB285_531:                            ;   in Loop: Header=BB285_11 Depth=1
	s_delay_alu instid0(SALU_CYCLE_1) | instskip(SKIP_2) | instid1(VALU_DEP_1)
	s_or_b32 exec_lo, exec_lo, s8
	v_lshrrev_b16 v1, 8, v0
	s_mov_b32 s19, exec_lo
	v_cmpx_ne_u16_e32 0, v1
	s_cbranch_execz .LBB285_539
; %bb.532:                              ;   in Loop: Header=BB285_11 Depth=1
	v_dual_mov_b32 v2, s2 :: v_dual_mov_b32 v3, s3
	s_mov_b32 s20, exec_lo
	scratch_store_b64 off, v[2:3], s32 offset:640 ; 8-byte Folded Spill
	v_cmpx_ne_u16_e32 0x80, v1
	s_cbranch_execz .LBB285_538
; %bb.533:                              ;   in Loop: Header=BB285_11 Depth=1
	s_mov_b32 s8, s2
	v_and_b32_e32 v1, 0xffff, v1
	v_dual_mov_b32 v3, s8 :: v_dual_mov_b32 v4, s9
	s_mov_b32 s8, exec_lo
	s_delay_alu instid0(VALU_DEP_2)
	v_and_b32_e32 v2, 0x7f, v1
	scratch_store_b64 off, v[3:4], s32 offset:640 ; 8-byte Folded Spill
	v_cmpx_ne_u32_e32 0x7f, v2
	s_cbranch_execz .LBB285_537
; %bb.534:                              ;   in Loop: Header=BB285_11 Depth=1
	v_and_b32_e32 v15, 7, v1
	v_lshrrev_b32_e32 v1, 3, v2
	s_mov_b32 s21, exec_lo
	v_cmpx_gt_u32_e32 8, v2
; %bb.535:                              ;   in Loop: Header=BB285_11 Depth=1
	s_delay_alu instid0(VALU_DEP_3) | instskip(NEXT) | instid1(VALU_DEP_1)
	v_clz_i32_u32_e32 v1, v15
	v_min_u32_e32 v1, 32, v1
	s_delay_alu instid0(VALU_DEP_1) | instskip(SKIP_1) | instid1(VALU_DEP_2)
	v_subrev_nc_u32_e32 v2, 28, v1
	v_sub_nc_u32_e32 v1, 29, v1
	v_lshlrev_b64 v[2:3], v2, v[15:16]
	s_delay_alu instid0(VALU_DEP_1)
	v_and_b32_e32 v15, 7, v2
; %bb.536:                              ;   in Loop: Header=BB285_11 Depth=1
	s_or_b32 exec_lo, exec_lo, s21
	v_lshlrev_b32_e32 v2, 16, v0
	s_delay_alu instid0(VALU_DEP_2) | instskip(SKIP_1) | instid1(VALU_DEP_3)
	v_lshlrev_b32_e32 v3, 20, v15
	v_lshl_add_u32 v1, v1, 23, 0x3c000000
	v_and_b32_e32 v2, 0x80000000, v2
	s_delay_alu instid0(VALU_DEP_1)
	v_or3_b32 v2, v3, v2, v1
	v_mov_b32_e32 v1, v16
	scratch_store_b64 off, v[1:2], s32 offset:640 ; 8-byte Folded Spill
.LBB285_537:                            ;   in Loop: Header=BB285_11 Depth=1
	s_or_b32 exec_lo, exec_lo, s8
.LBB285_538:                            ;   in Loop: Header=BB285_11 Depth=1
	s_delay_alu instid0(SALU_CYCLE_1)
	s_or_b32 exec_lo, exec_lo, s20
.LBB285_539:                            ;   in Loop: Header=BB285_11 Depth=1
	s_delay_alu instid0(SALU_CYCLE_1)
	s_or_b32 exec_lo, exec_lo, s19
	v_lshrrev_b32_e32 v1, 16, v0
	v_mov_b32_e32 v3, 0
	v_mov_b32_e32 v4, 0
	s_mov_b32 s8, exec_lo
	s_clause 0x1
	scratch_store_b64 off, v[3:4], s32 offset:656
	scratch_store_b64 off, v[3:4], s32 offset:664
	v_and_b32_e32 v2, 0xff, v1
	s_delay_alu instid0(VALU_DEP_1)
	v_cmpx_ne_u16_e32 0, v2
	s_cbranch_execz .LBB285_547
; %bb.540:                              ;   in Loop: Header=BB285_11 Depth=1
	v_cmp_ne_u16_e64 s1, 0x80, v2
	v_bfrev_b32_e32 v2, 1
	v_mov_b32_e32 v3, 0
	scratch_store_b64 off, v[2:3], s32 offset:664 ; 8-byte Folded Spill
	s_and_saveexec_b32 s19, s1
	s_cbranch_execz .LBB285_546
; %bb.541:                              ;   in Loop: Header=BB285_11 Depth=1
	v_mov_b32_e32 v4, 0x7f800001
	v_bfe_u32 v3, v0, 16, 7
	v_mov_b32_e32 v5, 0
	s_mov_b32 s20, exec_lo
	scratch_store_b64 off, v[4:5], s32 offset:664 ; 8-byte Folded Spill
	v_cmpx_ne_u32_e32 0x7f, v3
	s_cbranch_execz .LBB285_545
; %bb.542:                              ;   in Loop: Header=BB285_11 Depth=1
	v_and_b32_e32 v15, 7, v1
	v_lshrrev_b32_e32 v2, 3, v3
	s_mov_b32 s21, exec_lo
	v_cmpx_gt_u32_e32 8, v3
; %bb.543:                              ;   in Loop: Header=BB285_11 Depth=1
	s_delay_alu instid0(VALU_DEP_3) | instskip(NEXT) | instid1(VALU_DEP_1)
	v_clz_i32_u32_e32 v2, v15
	v_min_u32_e32 v2, 32, v2
	s_delay_alu instid0(VALU_DEP_1) | instskip(SKIP_1) | instid1(VALU_DEP_2)
	v_subrev_nc_u32_e32 v3, 28, v2
	v_sub_nc_u32_e32 v2, 29, v2
	v_lshlrev_b64 v[3:4], v3, v[15:16]
	s_delay_alu instid0(VALU_DEP_1)
	v_and_b32_e32 v15, 7, v3
; %bb.544:                              ;   in Loop: Header=BB285_11 Depth=1
	s_or_b32 exec_lo, exec_lo, s21
	v_lshlrev_b32_e32 v1, 24, v1
	s_delay_alu instid0(VALU_DEP_2) | instskip(SKIP_1) | instid1(VALU_DEP_3)
	v_lshlrev_b32_e32 v3, 20, v15
	v_lshl_add_u32 v2, v2, 23, 0x3c000000
	v_and_b32_e32 v1, 0x80000000, v1
	s_delay_alu instid0(VALU_DEP_1)
	v_or3_b32 v15, v3, v1, v2
	scratch_store_b64 off, v[15:16], s32 offset:664 ; 8-byte Folded Spill
.LBB285_545:                            ;   in Loop: Header=BB285_11 Depth=1
	s_or_b32 exec_lo, exec_lo, s20
.LBB285_546:                            ;   in Loop: Header=BB285_11 Depth=1
	s_delay_alu instid0(SALU_CYCLE_1)
	s_or_b32 exec_lo, exec_lo, s19
.LBB285_547:                            ;   in Loop: Header=BB285_11 Depth=1
	s_delay_alu instid0(SALU_CYCLE_1) | instskip(NEXT) | instid1(SALU_CYCLE_1)
	s_or_b32 exec_lo, exec_lo, s8
	s_mov_b32 s19, exec_lo
	v_cmpx_lt_u32_e32 0xffffff, v0
	s_cbranch_execz .LBB285_555
; %bb.548:                              ;   in Loop: Header=BB285_11 Depth=1
	v_lshrrev_b32_e32 v1, 24, v0
	v_dual_mov_b32 v2, s2 :: v_dual_mov_b32 v3, s3
	s_mov_b32 s20, exec_lo
	scratch_store_b64 off, v[2:3], s32 offset:656 ; 8-byte Folded Spill
	v_cmpx_ne_u32_e32 0x80, v1
	s_cbranch_execz .LBB285_554
; %bb.549:                              ;   in Loop: Header=BB285_11 Depth=1
	s_mov_b32 s8, s2
	v_bfe_u32 v2, v0, 24, 7
	v_dual_mov_b32 v3, s8 :: v_dual_mov_b32 v4, s9
	s_mov_b32 s8, exec_lo
	scratch_store_b64 off, v[3:4], s32 offset:656 ; 8-byte Folded Spill
	v_cmpx_ne_u32_e32 0x7f, v2
	s_cbranch_execz .LBB285_553
; %bb.550:                              ;   in Loop: Header=BB285_11 Depth=1
	v_and_b32_e32 v15, 7, v1
	v_lshrrev_b32_e32 v0, 3, v2
	s_mov_b32 s21, exec_lo
	v_cmpx_gt_u32_e32 8, v2
; %bb.551:                              ;   in Loop: Header=BB285_11 Depth=1
	s_delay_alu instid0(VALU_DEP_3) | instskip(NEXT) | instid1(VALU_DEP_1)
	v_clz_i32_u32_e32 v0, v15
	v_min_u32_e32 v0, 32, v0
	s_delay_alu instid0(VALU_DEP_1) | instskip(SKIP_1) | instid1(VALU_DEP_2)
	v_subrev_nc_u32_e32 v2, 28, v0
	v_sub_nc_u32_e32 v0, 29, v0
	v_lshlrev_b64 v[2:3], v2, v[15:16]
	s_delay_alu instid0(VALU_DEP_1)
	v_and_b32_e32 v15, 7, v2
; %bb.552:                              ;   in Loop: Header=BB285_11 Depth=1
	s_or_b32 exec_lo, exec_lo, s21
	v_lshlrev_b32_e32 v1, 24, v1
	s_delay_alu instid0(VALU_DEP_2) | instskip(SKIP_1) | instid1(VALU_DEP_3)
	v_lshlrev_b32_e32 v2, 20, v15
	v_lshl_add_u32 v0, v0, 23, 0x3c000000
	v_and_b32_e32 v1, 0x80000000, v1
	s_delay_alu instid0(VALU_DEP_1)
	v_or3_b32 v1, v2, v1, v0
	v_mov_b32_e32 v0, v16
	scratch_store_b64 off, v[0:1], s32 offset:656 ; 8-byte Folded Spill
.LBB285_553:                            ;   in Loop: Header=BB285_11 Depth=1
	s_or_b32 exec_lo, exec_lo, s8
.LBB285_554:                            ;   in Loop: Header=BB285_11 Depth=1
	s_delay_alu instid0(SALU_CYCLE_1)
	s_or_b32 exec_lo, exec_lo, s20
.LBB285_555:                            ;   in Loop: Header=BB285_11 Depth=1
	s_delay_alu instid0(SALU_CYCLE_1)
	s_or_b32 exec_lo, exec_lo, s19
	flat_load_b32 v0, v[154:155] offset:2052
	v_mov_b32_e32 v2, 0
	v_mov_b32_e32 v3, 0
	s_mov_b32 s8, exec_lo
	s_clause 0x1
	scratch_store_b64 off, v[2:3], s32 offset:672
	scratch_store_b64 off, v[2:3], s32 offset:680
	s_waitcnt vmcnt(0) lgkmcnt(0)
	v_and_b32_e32 v1, 0xff, v0
	s_delay_alu instid0(VALU_DEP_1)
	v_cmpx_ne_u16_e32 0, v1
	s_cbranch_execz .LBB285_563
; %bb.556:                              ;   in Loop: Header=BB285_11 Depth=1
	v_cmp_ne_u16_e64 s1, 0x80, v1
	v_bfrev_b32_e32 v1, 1
	v_mov_b32_e32 v2, 0
	scratch_store_b64 off, v[1:2], s32 offset:680 ; 8-byte Folded Spill
	s_and_saveexec_b32 s19, s1
	s_cbranch_execz .LBB285_562
; %bb.557:                              ;   in Loop: Header=BB285_11 Depth=1
	v_mov_b32_e32 v3, 0x7f800001
	v_and_b32_e32 v2, 0x7f, v0
	v_mov_b32_e32 v4, 0
	s_mov_b32 s20, exec_lo
	scratch_store_b64 off, v[3:4], s32 offset:680 ; 8-byte Folded Spill
	v_cmpx_ne_u32_e32 0x7f, v2
	s_cbranch_execz .LBB285_561
; %bb.558:                              ;   in Loop: Header=BB285_11 Depth=1
	v_and_b32_e32 v15, 7, v0
	v_lshrrev_b32_e32 v1, 3, v2
	s_mov_b32 s21, exec_lo
	v_cmpx_gt_u32_e32 8, v2
; %bb.559:                              ;   in Loop: Header=BB285_11 Depth=1
	s_delay_alu instid0(VALU_DEP_3) | instskip(NEXT) | instid1(VALU_DEP_1)
	v_clz_i32_u32_e32 v1, v15
	v_min_u32_e32 v1, 32, v1
	s_delay_alu instid0(VALU_DEP_1) | instskip(SKIP_1) | instid1(VALU_DEP_2)
	v_subrev_nc_u32_e32 v2, 28, v1
	v_sub_nc_u32_e32 v1, 29, v1
	v_lshlrev_b64 v[2:3], v2, v[15:16]
	s_delay_alu instid0(VALU_DEP_1)
	v_and_b32_e32 v15, 7, v2
; %bb.560:                              ;   in Loop: Header=BB285_11 Depth=1
	s_or_b32 exec_lo, exec_lo, s21
	v_lshlrev_b32_e32 v2, 24, v0
	s_delay_alu instid0(VALU_DEP_2) | instskip(SKIP_1) | instid1(VALU_DEP_3)
	v_lshlrev_b32_e32 v3, 20, v15
	v_lshl_add_u32 v1, v1, 23, 0x3c000000
	v_and_b32_e32 v2, 0x80000000, v2
	s_delay_alu instid0(VALU_DEP_1)
	v_or3_b32 v15, v3, v2, v1
	scratch_store_b64 off, v[15:16], s32 offset:680 ; 8-byte Folded Spill
.LBB285_561:                            ;   in Loop: Header=BB285_11 Depth=1
	s_or_b32 exec_lo, exec_lo, s20
.LBB285_562:                            ;   in Loop: Header=BB285_11 Depth=1
	s_delay_alu instid0(SALU_CYCLE_1)
	s_or_b32 exec_lo, exec_lo, s19
.LBB285_563:                            ;   in Loop: Header=BB285_11 Depth=1
	s_delay_alu instid0(SALU_CYCLE_1) | instskip(SKIP_2) | instid1(VALU_DEP_1)
	s_or_b32 exec_lo, exec_lo, s8
	v_lshrrev_b16 v1, 8, v0
	s_mov_b32 s19, exec_lo
	v_cmpx_ne_u16_e32 0, v1
	s_cbranch_execz .LBB285_571
; %bb.564:                              ;   in Loop: Header=BB285_11 Depth=1
	v_dual_mov_b32 v2, s2 :: v_dual_mov_b32 v3, s3
	s_mov_b32 s20, exec_lo
	scratch_store_b64 off, v[2:3], s32 offset:672 ; 8-byte Folded Spill
	v_cmpx_ne_u16_e32 0x80, v1
	s_cbranch_execz .LBB285_570
; %bb.565:                              ;   in Loop: Header=BB285_11 Depth=1
	s_mov_b32 s8, s2
	v_and_b32_e32 v1, 0xffff, v1
	v_dual_mov_b32 v3, s8 :: v_dual_mov_b32 v4, s9
	s_mov_b32 s8, exec_lo
	s_delay_alu instid0(VALU_DEP_2)
	v_and_b32_e32 v2, 0x7f, v1
	scratch_store_b64 off, v[3:4], s32 offset:672 ; 8-byte Folded Spill
	v_cmpx_ne_u32_e32 0x7f, v2
	s_cbranch_execz .LBB285_569
; %bb.566:                              ;   in Loop: Header=BB285_11 Depth=1
	v_and_b32_e32 v15, 7, v1
	v_lshrrev_b32_e32 v1, 3, v2
	s_mov_b32 s21, exec_lo
	v_cmpx_gt_u32_e32 8, v2
; %bb.567:                              ;   in Loop: Header=BB285_11 Depth=1
	s_delay_alu instid0(VALU_DEP_3) | instskip(NEXT) | instid1(VALU_DEP_1)
	v_clz_i32_u32_e32 v1, v15
	v_min_u32_e32 v1, 32, v1
	s_delay_alu instid0(VALU_DEP_1) | instskip(SKIP_1) | instid1(VALU_DEP_2)
	v_subrev_nc_u32_e32 v2, 28, v1
	v_sub_nc_u32_e32 v1, 29, v1
	v_lshlrev_b64 v[2:3], v2, v[15:16]
	s_delay_alu instid0(VALU_DEP_1)
	v_and_b32_e32 v15, 7, v2
; %bb.568:                              ;   in Loop: Header=BB285_11 Depth=1
	s_or_b32 exec_lo, exec_lo, s21
	v_lshlrev_b32_e32 v2, 16, v0
	s_delay_alu instid0(VALU_DEP_2) | instskip(SKIP_1) | instid1(VALU_DEP_3)
	v_lshlrev_b32_e32 v3, 20, v15
	v_lshl_add_u32 v1, v1, 23, 0x3c000000
	v_and_b32_e32 v2, 0x80000000, v2
	s_delay_alu instid0(VALU_DEP_1)
	v_or3_b32 v2, v3, v2, v1
	v_mov_b32_e32 v1, v16
	scratch_store_b64 off, v[1:2], s32 offset:672 ; 8-byte Folded Spill
.LBB285_569:                            ;   in Loop: Header=BB285_11 Depth=1
	s_or_b32 exec_lo, exec_lo, s8
.LBB285_570:                            ;   in Loop: Header=BB285_11 Depth=1
	s_delay_alu instid0(SALU_CYCLE_1)
	s_or_b32 exec_lo, exec_lo, s20
.LBB285_571:                            ;   in Loop: Header=BB285_11 Depth=1
	s_delay_alu instid0(SALU_CYCLE_1)
	s_or_b32 exec_lo, exec_lo, s19
	v_lshrrev_b32_e32 v1, 16, v0
	v_mov_b32_e32 v3, 0
	v_mov_b32_e32 v4, 0
	s_mov_b32 s8, exec_lo
	s_clause 0x1
	scratch_store_b64 off, v[3:4], s32 offset:688
	scratch_store_b64 off, v[3:4], s32 offset:696
	v_and_b32_e32 v2, 0xff, v1
	s_delay_alu instid0(VALU_DEP_1)
	v_cmpx_ne_u16_e32 0, v2
	s_cbranch_execz .LBB285_579
; %bb.572:                              ;   in Loop: Header=BB285_11 Depth=1
	v_cmp_ne_u16_e64 s1, 0x80, v2
	v_bfrev_b32_e32 v2, 1
	v_mov_b32_e32 v3, 0
	scratch_store_b64 off, v[2:3], s32 offset:696 ; 8-byte Folded Spill
	s_and_saveexec_b32 s19, s1
	s_cbranch_execz .LBB285_578
; %bb.573:                              ;   in Loop: Header=BB285_11 Depth=1
	v_mov_b32_e32 v4, 0x7f800001
	v_bfe_u32 v3, v0, 16, 7
	v_mov_b32_e32 v5, 0
	s_mov_b32 s20, exec_lo
	scratch_store_b64 off, v[4:5], s32 offset:696 ; 8-byte Folded Spill
	v_cmpx_ne_u32_e32 0x7f, v3
	s_cbranch_execz .LBB285_577
; %bb.574:                              ;   in Loop: Header=BB285_11 Depth=1
	v_and_b32_e32 v15, 7, v1
	v_lshrrev_b32_e32 v2, 3, v3
	s_mov_b32 s21, exec_lo
	v_cmpx_gt_u32_e32 8, v3
; %bb.575:                              ;   in Loop: Header=BB285_11 Depth=1
	s_delay_alu instid0(VALU_DEP_3) | instskip(NEXT) | instid1(VALU_DEP_1)
	v_clz_i32_u32_e32 v2, v15
	v_min_u32_e32 v2, 32, v2
	s_delay_alu instid0(VALU_DEP_1) | instskip(SKIP_1) | instid1(VALU_DEP_2)
	v_subrev_nc_u32_e32 v3, 28, v2
	v_sub_nc_u32_e32 v2, 29, v2
	v_lshlrev_b64 v[3:4], v3, v[15:16]
	s_delay_alu instid0(VALU_DEP_1)
	v_and_b32_e32 v15, 7, v3
; %bb.576:                              ;   in Loop: Header=BB285_11 Depth=1
	s_or_b32 exec_lo, exec_lo, s21
	v_lshlrev_b32_e32 v1, 24, v1
	s_delay_alu instid0(VALU_DEP_2) | instskip(SKIP_1) | instid1(VALU_DEP_3)
	v_lshlrev_b32_e32 v3, 20, v15
	v_lshl_add_u32 v2, v2, 23, 0x3c000000
	v_and_b32_e32 v1, 0x80000000, v1
	s_delay_alu instid0(VALU_DEP_1)
	v_or3_b32 v15, v3, v1, v2
	scratch_store_b64 off, v[15:16], s32 offset:696 ; 8-byte Folded Spill
.LBB285_577:                            ;   in Loop: Header=BB285_11 Depth=1
	s_or_b32 exec_lo, exec_lo, s20
.LBB285_578:                            ;   in Loop: Header=BB285_11 Depth=1
	s_delay_alu instid0(SALU_CYCLE_1)
	s_or_b32 exec_lo, exec_lo, s19
.LBB285_579:                            ;   in Loop: Header=BB285_11 Depth=1
	s_delay_alu instid0(SALU_CYCLE_1) | instskip(NEXT) | instid1(SALU_CYCLE_1)
	s_or_b32 exec_lo, exec_lo, s8
	s_mov_b32 s19, exec_lo
	v_cmpx_lt_u32_e32 0xffffff, v0
	s_cbranch_execz .LBB285_587
; %bb.580:                              ;   in Loop: Header=BB285_11 Depth=1
	v_lshrrev_b32_e32 v1, 24, v0
	v_dual_mov_b32 v2, s2 :: v_dual_mov_b32 v3, s3
	s_mov_b32 s20, exec_lo
	scratch_store_b64 off, v[2:3], s32 offset:688 ; 8-byte Folded Spill
	v_cmpx_ne_u32_e32 0x80, v1
	s_cbranch_execz .LBB285_586
; %bb.581:                              ;   in Loop: Header=BB285_11 Depth=1
	s_mov_b32 s8, s2
	v_bfe_u32 v2, v0, 24, 7
	v_dual_mov_b32 v3, s8 :: v_dual_mov_b32 v4, s9
	s_mov_b32 s8, exec_lo
	scratch_store_b64 off, v[3:4], s32 offset:688 ; 8-byte Folded Spill
	v_cmpx_ne_u32_e32 0x7f, v2
	s_cbranch_execz .LBB285_585
; %bb.582:                              ;   in Loop: Header=BB285_11 Depth=1
	v_and_b32_e32 v15, 7, v1
	v_lshrrev_b32_e32 v0, 3, v2
	s_mov_b32 s21, exec_lo
	v_cmpx_gt_u32_e32 8, v2
; %bb.583:                              ;   in Loop: Header=BB285_11 Depth=1
	s_delay_alu instid0(VALU_DEP_3) | instskip(NEXT) | instid1(VALU_DEP_1)
	v_clz_i32_u32_e32 v0, v15
	v_min_u32_e32 v0, 32, v0
	s_delay_alu instid0(VALU_DEP_1) | instskip(SKIP_1) | instid1(VALU_DEP_2)
	v_subrev_nc_u32_e32 v2, 28, v0
	v_sub_nc_u32_e32 v0, 29, v0
	v_lshlrev_b64 v[2:3], v2, v[15:16]
	s_delay_alu instid0(VALU_DEP_1)
	v_and_b32_e32 v15, 7, v2
; %bb.584:                              ;   in Loop: Header=BB285_11 Depth=1
	s_or_b32 exec_lo, exec_lo, s21
	v_lshlrev_b32_e32 v1, 24, v1
	s_delay_alu instid0(VALU_DEP_2) | instskip(SKIP_1) | instid1(VALU_DEP_3)
	v_lshlrev_b32_e32 v2, 20, v15
	v_lshl_add_u32 v0, v0, 23, 0x3c000000
	v_and_b32_e32 v1, 0x80000000, v1
	s_delay_alu instid0(VALU_DEP_1)
	v_or3_b32 v1, v2, v1, v0
	v_mov_b32_e32 v0, v16
	scratch_store_b64 off, v[0:1], s32 offset:688 ; 8-byte Folded Spill
.LBB285_585:                            ;   in Loop: Header=BB285_11 Depth=1
	s_or_b32 exec_lo, exec_lo, s8
.LBB285_586:                            ;   in Loop: Header=BB285_11 Depth=1
	s_delay_alu instid0(SALU_CYCLE_1)
	s_or_b32 exec_lo, exec_lo, s20
.LBB285_587:                            ;   in Loop: Header=BB285_11 Depth=1
	s_delay_alu instid0(SALU_CYCLE_1)
	s_or_b32 exec_lo, exec_lo, s19
	flat_load_b32 v0, v[154:155] offset:2056
	v_mov_b32_e32 v2, 0
	v_mov_b32_e32 v3, 0
	s_mov_b32 s8, exec_lo
	s_clause 0x1
	scratch_store_b64 off, v[2:3], s32 offset:704
	scratch_store_b64 off, v[2:3], s32 offset:712
	s_waitcnt vmcnt(0) lgkmcnt(0)
	v_and_b32_e32 v1, 0xff, v0
	s_delay_alu instid0(VALU_DEP_1)
	v_cmpx_ne_u16_e32 0, v1
	s_cbranch_execz .LBB285_595
; %bb.588:                              ;   in Loop: Header=BB285_11 Depth=1
	v_cmp_ne_u16_e64 s1, 0x80, v1
	v_bfrev_b32_e32 v1, 1
	v_mov_b32_e32 v2, 0
	scratch_store_b64 off, v[1:2], s32 offset:712 ; 8-byte Folded Spill
	s_and_saveexec_b32 s19, s1
	s_cbranch_execz .LBB285_594
; %bb.589:                              ;   in Loop: Header=BB285_11 Depth=1
	v_mov_b32_e32 v3, 0x7f800001
	v_and_b32_e32 v2, 0x7f, v0
	v_mov_b32_e32 v4, 0
	s_mov_b32 s20, exec_lo
	scratch_store_b64 off, v[3:4], s32 offset:712 ; 8-byte Folded Spill
	v_cmpx_ne_u32_e32 0x7f, v2
	s_cbranch_execz .LBB285_593
; %bb.590:                              ;   in Loop: Header=BB285_11 Depth=1
	v_and_b32_e32 v15, 7, v0
	v_lshrrev_b32_e32 v1, 3, v2
	s_mov_b32 s21, exec_lo
	v_cmpx_gt_u32_e32 8, v2
; %bb.591:                              ;   in Loop: Header=BB285_11 Depth=1
	s_delay_alu instid0(VALU_DEP_3) | instskip(NEXT) | instid1(VALU_DEP_1)
	v_clz_i32_u32_e32 v1, v15
	v_min_u32_e32 v1, 32, v1
	s_delay_alu instid0(VALU_DEP_1) | instskip(SKIP_1) | instid1(VALU_DEP_2)
	v_subrev_nc_u32_e32 v2, 28, v1
	v_sub_nc_u32_e32 v1, 29, v1
	v_lshlrev_b64 v[2:3], v2, v[15:16]
	s_delay_alu instid0(VALU_DEP_1)
	v_and_b32_e32 v15, 7, v2
; %bb.592:                              ;   in Loop: Header=BB285_11 Depth=1
	s_or_b32 exec_lo, exec_lo, s21
	v_lshlrev_b32_e32 v2, 24, v0
	s_delay_alu instid0(VALU_DEP_2) | instskip(SKIP_1) | instid1(VALU_DEP_3)
	v_lshlrev_b32_e32 v3, 20, v15
	v_lshl_add_u32 v1, v1, 23, 0x3c000000
	v_and_b32_e32 v2, 0x80000000, v2
	s_delay_alu instid0(VALU_DEP_1)
	v_or3_b32 v15, v3, v2, v1
	scratch_store_b64 off, v[15:16], s32 offset:712 ; 8-byte Folded Spill
.LBB285_593:                            ;   in Loop: Header=BB285_11 Depth=1
	s_or_b32 exec_lo, exec_lo, s20
.LBB285_594:                            ;   in Loop: Header=BB285_11 Depth=1
	s_delay_alu instid0(SALU_CYCLE_1)
	s_or_b32 exec_lo, exec_lo, s19
.LBB285_595:                            ;   in Loop: Header=BB285_11 Depth=1
	s_delay_alu instid0(SALU_CYCLE_1) | instskip(SKIP_2) | instid1(VALU_DEP_1)
	s_or_b32 exec_lo, exec_lo, s8
	v_lshrrev_b16 v1, 8, v0
	s_mov_b32 s19, exec_lo
	v_cmpx_ne_u16_e32 0, v1
	s_cbranch_execz .LBB285_603
; %bb.596:                              ;   in Loop: Header=BB285_11 Depth=1
	v_dual_mov_b32 v2, s2 :: v_dual_mov_b32 v3, s3
	s_mov_b32 s20, exec_lo
	scratch_store_b64 off, v[2:3], s32 offset:704 ; 8-byte Folded Spill
	v_cmpx_ne_u16_e32 0x80, v1
	s_cbranch_execz .LBB285_602
; %bb.597:                              ;   in Loop: Header=BB285_11 Depth=1
	s_mov_b32 s8, s2
	v_and_b32_e32 v1, 0xffff, v1
	v_dual_mov_b32 v3, s8 :: v_dual_mov_b32 v4, s9
	s_mov_b32 s8, exec_lo
	s_delay_alu instid0(VALU_DEP_2)
	v_and_b32_e32 v2, 0x7f, v1
	scratch_store_b64 off, v[3:4], s32 offset:704 ; 8-byte Folded Spill
	v_cmpx_ne_u32_e32 0x7f, v2
	s_cbranch_execz .LBB285_601
; %bb.598:                              ;   in Loop: Header=BB285_11 Depth=1
	v_and_b32_e32 v15, 7, v1
	v_lshrrev_b32_e32 v1, 3, v2
	s_mov_b32 s21, exec_lo
	v_cmpx_gt_u32_e32 8, v2
; %bb.599:                              ;   in Loop: Header=BB285_11 Depth=1
	s_delay_alu instid0(VALU_DEP_3) | instskip(NEXT) | instid1(VALU_DEP_1)
	v_clz_i32_u32_e32 v1, v15
	v_min_u32_e32 v1, 32, v1
	s_delay_alu instid0(VALU_DEP_1) | instskip(SKIP_1) | instid1(VALU_DEP_2)
	v_subrev_nc_u32_e32 v2, 28, v1
	v_sub_nc_u32_e32 v1, 29, v1
	v_lshlrev_b64 v[2:3], v2, v[15:16]
	s_delay_alu instid0(VALU_DEP_1)
	v_and_b32_e32 v15, 7, v2
; %bb.600:                              ;   in Loop: Header=BB285_11 Depth=1
	s_or_b32 exec_lo, exec_lo, s21
	v_lshlrev_b32_e32 v2, 16, v0
	s_delay_alu instid0(VALU_DEP_2) | instskip(SKIP_1) | instid1(VALU_DEP_3)
	v_lshlrev_b32_e32 v3, 20, v15
	v_lshl_add_u32 v1, v1, 23, 0x3c000000
	v_and_b32_e32 v2, 0x80000000, v2
	s_delay_alu instid0(VALU_DEP_1)
	v_or3_b32 v2, v3, v2, v1
	v_mov_b32_e32 v1, v16
	scratch_store_b64 off, v[1:2], s32 offset:704 ; 8-byte Folded Spill
.LBB285_601:                            ;   in Loop: Header=BB285_11 Depth=1
	s_or_b32 exec_lo, exec_lo, s8
.LBB285_602:                            ;   in Loop: Header=BB285_11 Depth=1
	s_delay_alu instid0(SALU_CYCLE_1)
	s_or_b32 exec_lo, exec_lo, s20
.LBB285_603:                            ;   in Loop: Header=BB285_11 Depth=1
	s_delay_alu instid0(SALU_CYCLE_1)
	s_or_b32 exec_lo, exec_lo, s19
	v_lshrrev_b32_e32 v1, 16, v0
	v_mov_b32_e32 v3, 0
	v_mov_b32_e32 v4, 0
	s_mov_b32 s8, exec_lo
	s_clause 0x1
	scratch_store_b64 off, v[3:4], s32 offset:720
	scratch_store_b64 off, v[3:4], s32 offset:728
	v_and_b32_e32 v2, 0xff, v1
	s_delay_alu instid0(VALU_DEP_1)
	v_cmpx_ne_u16_e32 0, v2
	s_cbranch_execz .LBB285_611
; %bb.604:                              ;   in Loop: Header=BB285_11 Depth=1
	v_cmp_ne_u16_e64 s1, 0x80, v2
	v_bfrev_b32_e32 v2, 1
	v_mov_b32_e32 v3, 0
	scratch_store_b64 off, v[2:3], s32 offset:728 ; 8-byte Folded Spill
	s_and_saveexec_b32 s19, s1
	s_cbranch_execz .LBB285_610
; %bb.605:                              ;   in Loop: Header=BB285_11 Depth=1
	v_mov_b32_e32 v4, 0x7f800001
	v_bfe_u32 v3, v0, 16, 7
	v_mov_b32_e32 v5, 0
	s_mov_b32 s20, exec_lo
	scratch_store_b64 off, v[4:5], s32 offset:728 ; 8-byte Folded Spill
	v_cmpx_ne_u32_e32 0x7f, v3
	s_cbranch_execz .LBB285_609
; %bb.606:                              ;   in Loop: Header=BB285_11 Depth=1
	v_and_b32_e32 v15, 7, v1
	v_lshrrev_b32_e32 v2, 3, v3
	s_mov_b32 s21, exec_lo
	v_cmpx_gt_u32_e32 8, v3
; %bb.607:                              ;   in Loop: Header=BB285_11 Depth=1
	s_delay_alu instid0(VALU_DEP_3) | instskip(NEXT) | instid1(VALU_DEP_1)
	v_clz_i32_u32_e32 v2, v15
	v_min_u32_e32 v2, 32, v2
	s_delay_alu instid0(VALU_DEP_1) | instskip(SKIP_1) | instid1(VALU_DEP_2)
	v_subrev_nc_u32_e32 v3, 28, v2
	v_sub_nc_u32_e32 v2, 29, v2
	v_lshlrev_b64 v[3:4], v3, v[15:16]
	s_delay_alu instid0(VALU_DEP_1)
	v_and_b32_e32 v15, 7, v3
; %bb.608:                              ;   in Loop: Header=BB285_11 Depth=1
	s_or_b32 exec_lo, exec_lo, s21
	v_lshlrev_b32_e32 v1, 24, v1
	s_delay_alu instid0(VALU_DEP_2) | instskip(SKIP_1) | instid1(VALU_DEP_3)
	v_lshlrev_b32_e32 v3, 20, v15
	v_lshl_add_u32 v2, v2, 23, 0x3c000000
	v_and_b32_e32 v1, 0x80000000, v1
	s_delay_alu instid0(VALU_DEP_1)
	v_or3_b32 v15, v3, v1, v2
	scratch_store_b64 off, v[15:16], s32 offset:728 ; 8-byte Folded Spill
.LBB285_609:                            ;   in Loop: Header=BB285_11 Depth=1
	s_or_b32 exec_lo, exec_lo, s20
.LBB285_610:                            ;   in Loop: Header=BB285_11 Depth=1
	s_delay_alu instid0(SALU_CYCLE_1)
	s_or_b32 exec_lo, exec_lo, s19
.LBB285_611:                            ;   in Loop: Header=BB285_11 Depth=1
	s_delay_alu instid0(SALU_CYCLE_1) | instskip(NEXT) | instid1(SALU_CYCLE_1)
	s_or_b32 exec_lo, exec_lo, s8
	s_mov_b32 s19, exec_lo
	v_cmpx_lt_u32_e32 0xffffff, v0
	s_cbranch_execz .LBB285_619
; %bb.612:                              ;   in Loop: Header=BB285_11 Depth=1
	v_lshrrev_b32_e32 v1, 24, v0
	v_dual_mov_b32 v2, s2 :: v_dual_mov_b32 v3, s3
	s_mov_b32 s20, exec_lo
	scratch_store_b64 off, v[2:3], s32 offset:720 ; 8-byte Folded Spill
	v_cmpx_ne_u32_e32 0x80, v1
	s_cbranch_execz .LBB285_618
; %bb.613:                              ;   in Loop: Header=BB285_11 Depth=1
	s_mov_b32 s8, s2
	v_bfe_u32 v2, v0, 24, 7
	v_dual_mov_b32 v3, s8 :: v_dual_mov_b32 v4, s9
	s_mov_b32 s8, exec_lo
	scratch_store_b64 off, v[3:4], s32 offset:720 ; 8-byte Folded Spill
	v_cmpx_ne_u32_e32 0x7f, v2
	s_cbranch_execz .LBB285_617
; %bb.614:                              ;   in Loop: Header=BB285_11 Depth=1
	v_and_b32_e32 v15, 7, v1
	v_lshrrev_b32_e32 v0, 3, v2
	s_mov_b32 s21, exec_lo
	v_cmpx_gt_u32_e32 8, v2
; %bb.615:                              ;   in Loop: Header=BB285_11 Depth=1
	s_delay_alu instid0(VALU_DEP_3) | instskip(NEXT) | instid1(VALU_DEP_1)
	v_clz_i32_u32_e32 v0, v15
	v_min_u32_e32 v0, 32, v0
	s_delay_alu instid0(VALU_DEP_1) | instskip(SKIP_1) | instid1(VALU_DEP_2)
	v_subrev_nc_u32_e32 v2, 28, v0
	v_sub_nc_u32_e32 v0, 29, v0
	v_lshlrev_b64 v[2:3], v2, v[15:16]
	s_delay_alu instid0(VALU_DEP_1)
	v_and_b32_e32 v15, 7, v2
; %bb.616:                              ;   in Loop: Header=BB285_11 Depth=1
	s_or_b32 exec_lo, exec_lo, s21
	v_lshlrev_b32_e32 v1, 24, v1
	s_delay_alu instid0(VALU_DEP_2) | instskip(SKIP_1) | instid1(VALU_DEP_3)
	v_lshlrev_b32_e32 v2, 20, v15
	v_lshl_add_u32 v0, v0, 23, 0x3c000000
	v_and_b32_e32 v1, 0x80000000, v1
	s_delay_alu instid0(VALU_DEP_1)
	v_or3_b32 v1, v2, v1, v0
	v_mov_b32_e32 v0, v16
	scratch_store_b64 off, v[0:1], s32 offset:720 ; 8-byte Folded Spill
.LBB285_617:                            ;   in Loop: Header=BB285_11 Depth=1
	s_or_b32 exec_lo, exec_lo, s8
.LBB285_618:                            ;   in Loop: Header=BB285_11 Depth=1
	s_delay_alu instid0(SALU_CYCLE_1)
	s_or_b32 exec_lo, exec_lo, s20
.LBB285_619:                            ;   in Loop: Header=BB285_11 Depth=1
	s_delay_alu instid0(SALU_CYCLE_1)
	s_or_b32 exec_lo, exec_lo, s19
	flat_load_b32 v0, v[154:155] offset:2060
	v_mov_b32_e32 v2, 0
	v_mov_b32_e32 v3, 0
	s_mov_b32 s8, exec_lo
	s_clause 0x1
	scratch_store_b64 off, v[2:3], s32 offset:736
	scratch_store_b64 off, v[2:3], s32 offset:744
	s_waitcnt vmcnt(0) lgkmcnt(0)
	v_and_b32_e32 v1, 0xff, v0
	s_delay_alu instid0(VALU_DEP_1)
	v_cmpx_ne_u16_e32 0, v1
	s_cbranch_execz .LBB285_627
; %bb.620:                              ;   in Loop: Header=BB285_11 Depth=1
	v_cmp_ne_u16_e64 s1, 0x80, v1
	v_bfrev_b32_e32 v1, 1
	v_mov_b32_e32 v2, 0
	scratch_store_b64 off, v[1:2], s32 offset:744 ; 8-byte Folded Spill
	s_and_saveexec_b32 s19, s1
	s_cbranch_execz .LBB285_626
; %bb.621:                              ;   in Loop: Header=BB285_11 Depth=1
	v_mov_b32_e32 v3, 0x7f800001
	v_and_b32_e32 v2, 0x7f, v0
	v_mov_b32_e32 v4, 0
	s_mov_b32 s20, exec_lo
	scratch_store_b64 off, v[3:4], s32 offset:744 ; 8-byte Folded Spill
	v_cmpx_ne_u32_e32 0x7f, v2
	s_cbranch_execz .LBB285_625
; %bb.622:                              ;   in Loop: Header=BB285_11 Depth=1
	v_and_b32_e32 v15, 7, v0
	v_lshrrev_b32_e32 v1, 3, v2
	s_mov_b32 s21, exec_lo
	v_cmpx_gt_u32_e32 8, v2
; %bb.623:                              ;   in Loop: Header=BB285_11 Depth=1
	s_delay_alu instid0(VALU_DEP_3) | instskip(NEXT) | instid1(VALU_DEP_1)
	v_clz_i32_u32_e32 v1, v15
	v_min_u32_e32 v1, 32, v1
	s_delay_alu instid0(VALU_DEP_1) | instskip(SKIP_1) | instid1(VALU_DEP_2)
	v_subrev_nc_u32_e32 v2, 28, v1
	v_sub_nc_u32_e32 v1, 29, v1
	v_lshlrev_b64 v[2:3], v2, v[15:16]
	s_delay_alu instid0(VALU_DEP_1)
	v_and_b32_e32 v15, 7, v2
; %bb.624:                              ;   in Loop: Header=BB285_11 Depth=1
	s_or_b32 exec_lo, exec_lo, s21
	v_lshlrev_b32_e32 v2, 24, v0
	s_delay_alu instid0(VALU_DEP_2) | instskip(SKIP_1) | instid1(VALU_DEP_3)
	v_lshlrev_b32_e32 v3, 20, v15
	v_lshl_add_u32 v1, v1, 23, 0x3c000000
	v_and_b32_e32 v2, 0x80000000, v2
	s_delay_alu instid0(VALU_DEP_1)
	v_or3_b32 v15, v3, v2, v1
	scratch_store_b64 off, v[15:16], s32 offset:744 ; 8-byte Folded Spill
.LBB285_625:                            ;   in Loop: Header=BB285_11 Depth=1
	s_or_b32 exec_lo, exec_lo, s20
.LBB285_626:                            ;   in Loop: Header=BB285_11 Depth=1
	s_delay_alu instid0(SALU_CYCLE_1)
	s_or_b32 exec_lo, exec_lo, s19
.LBB285_627:                            ;   in Loop: Header=BB285_11 Depth=1
	s_delay_alu instid0(SALU_CYCLE_1) | instskip(SKIP_2) | instid1(VALU_DEP_1)
	s_or_b32 exec_lo, exec_lo, s8
	v_lshrrev_b16 v1, 8, v0
	s_mov_b32 s19, exec_lo
	v_cmpx_ne_u16_e32 0, v1
	s_cbranch_execz .LBB285_635
; %bb.628:                              ;   in Loop: Header=BB285_11 Depth=1
	v_dual_mov_b32 v2, s2 :: v_dual_mov_b32 v3, s3
	s_mov_b32 s20, exec_lo
	scratch_store_b64 off, v[2:3], s32 offset:736 ; 8-byte Folded Spill
	v_cmpx_ne_u16_e32 0x80, v1
	s_cbranch_execz .LBB285_634
; %bb.629:                              ;   in Loop: Header=BB285_11 Depth=1
	s_mov_b32 s8, s2
	v_and_b32_e32 v1, 0xffff, v1
	v_dual_mov_b32 v3, s8 :: v_dual_mov_b32 v4, s9
	s_mov_b32 s8, exec_lo
	s_delay_alu instid0(VALU_DEP_2)
	v_and_b32_e32 v2, 0x7f, v1
	scratch_store_b64 off, v[3:4], s32 offset:736 ; 8-byte Folded Spill
	v_cmpx_ne_u32_e32 0x7f, v2
	s_cbranch_execz .LBB285_633
; %bb.630:                              ;   in Loop: Header=BB285_11 Depth=1
	v_and_b32_e32 v15, 7, v1
	v_lshrrev_b32_e32 v1, 3, v2
	s_mov_b32 s21, exec_lo
	v_cmpx_gt_u32_e32 8, v2
; %bb.631:                              ;   in Loop: Header=BB285_11 Depth=1
	s_delay_alu instid0(VALU_DEP_3) | instskip(NEXT) | instid1(VALU_DEP_1)
	v_clz_i32_u32_e32 v1, v15
	v_min_u32_e32 v1, 32, v1
	s_delay_alu instid0(VALU_DEP_1) | instskip(SKIP_1) | instid1(VALU_DEP_2)
	v_subrev_nc_u32_e32 v2, 28, v1
	v_sub_nc_u32_e32 v1, 29, v1
	v_lshlrev_b64 v[2:3], v2, v[15:16]
	s_delay_alu instid0(VALU_DEP_1)
	v_and_b32_e32 v15, 7, v2
; %bb.632:                              ;   in Loop: Header=BB285_11 Depth=1
	s_or_b32 exec_lo, exec_lo, s21
	v_lshlrev_b32_e32 v2, 16, v0
	s_delay_alu instid0(VALU_DEP_2) | instskip(SKIP_1) | instid1(VALU_DEP_3)
	v_lshlrev_b32_e32 v3, 20, v15
	v_lshl_add_u32 v1, v1, 23, 0x3c000000
	v_and_b32_e32 v2, 0x80000000, v2
	s_delay_alu instid0(VALU_DEP_1)
	v_or3_b32 v2, v3, v2, v1
	v_mov_b32_e32 v1, v16
	scratch_store_b64 off, v[1:2], s32 offset:736 ; 8-byte Folded Spill
.LBB285_633:                            ;   in Loop: Header=BB285_11 Depth=1
	s_or_b32 exec_lo, exec_lo, s8
.LBB285_634:                            ;   in Loop: Header=BB285_11 Depth=1
	s_delay_alu instid0(SALU_CYCLE_1)
	s_or_b32 exec_lo, exec_lo, s20
.LBB285_635:                            ;   in Loop: Header=BB285_11 Depth=1
	s_delay_alu instid0(SALU_CYCLE_1)
	s_or_b32 exec_lo, exec_lo, s19
	v_lshrrev_b32_e32 v1, 16, v0
	v_mov_b32_e32 v3, 0
	v_mov_b32_e32 v4, 0
	s_mov_b32 s8, exec_lo
	s_clause 0x1
	scratch_store_b64 off, v[3:4], s32 offset:752
	scratch_store_b64 off, v[3:4], s32 offset:760
	v_and_b32_e32 v2, 0xff, v1
	s_delay_alu instid0(VALU_DEP_1)
	v_cmpx_ne_u16_e32 0, v2
	s_cbranch_execz .LBB285_643
; %bb.636:                              ;   in Loop: Header=BB285_11 Depth=1
	v_cmp_ne_u16_e64 s1, 0x80, v2
	v_bfrev_b32_e32 v2, 1
	v_mov_b32_e32 v3, 0
	scratch_store_b64 off, v[2:3], s32 offset:760 ; 8-byte Folded Spill
	s_and_saveexec_b32 s19, s1
	s_cbranch_execz .LBB285_642
; %bb.637:                              ;   in Loop: Header=BB285_11 Depth=1
	v_mov_b32_e32 v4, 0x7f800001
	v_bfe_u32 v3, v0, 16, 7
	v_mov_b32_e32 v5, 0
	s_mov_b32 s20, exec_lo
	scratch_store_b64 off, v[4:5], s32 offset:760 ; 8-byte Folded Spill
	v_cmpx_ne_u32_e32 0x7f, v3
	s_cbranch_execz .LBB285_641
; %bb.638:                              ;   in Loop: Header=BB285_11 Depth=1
	v_and_b32_e32 v15, 7, v1
	v_lshrrev_b32_e32 v2, 3, v3
	s_mov_b32 s21, exec_lo
	v_cmpx_gt_u32_e32 8, v3
; %bb.639:                              ;   in Loop: Header=BB285_11 Depth=1
	s_delay_alu instid0(VALU_DEP_3) | instskip(NEXT) | instid1(VALU_DEP_1)
	v_clz_i32_u32_e32 v2, v15
	v_min_u32_e32 v2, 32, v2
	s_delay_alu instid0(VALU_DEP_1) | instskip(SKIP_1) | instid1(VALU_DEP_2)
	v_subrev_nc_u32_e32 v3, 28, v2
	v_sub_nc_u32_e32 v2, 29, v2
	v_lshlrev_b64 v[3:4], v3, v[15:16]
	s_delay_alu instid0(VALU_DEP_1)
	v_and_b32_e32 v15, 7, v3
; %bb.640:                              ;   in Loop: Header=BB285_11 Depth=1
	s_or_b32 exec_lo, exec_lo, s21
	v_lshlrev_b32_e32 v1, 24, v1
	s_delay_alu instid0(VALU_DEP_2) | instskip(SKIP_1) | instid1(VALU_DEP_3)
	v_lshlrev_b32_e32 v3, 20, v15
	v_lshl_add_u32 v2, v2, 23, 0x3c000000
	v_and_b32_e32 v1, 0x80000000, v1
	s_delay_alu instid0(VALU_DEP_1)
	v_or3_b32 v15, v3, v1, v2
	scratch_store_b64 off, v[15:16], s32 offset:760 ; 8-byte Folded Spill
.LBB285_641:                            ;   in Loop: Header=BB285_11 Depth=1
	s_or_b32 exec_lo, exec_lo, s20
.LBB285_642:                            ;   in Loop: Header=BB285_11 Depth=1
	s_delay_alu instid0(SALU_CYCLE_1)
	s_or_b32 exec_lo, exec_lo, s19
.LBB285_643:                            ;   in Loop: Header=BB285_11 Depth=1
	s_delay_alu instid0(SALU_CYCLE_1) | instskip(NEXT) | instid1(SALU_CYCLE_1)
	s_or_b32 exec_lo, exec_lo, s8
	s_mov_b32 s19, exec_lo
	v_cmpx_lt_u32_e32 0xffffff, v0
	s_cbranch_execz .LBB285_651
; %bb.644:                              ;   in Loop: Header=BB285_11 Depth=1
	v_lshrrev_b32_e32 v1, 24, v0
	v_dual_mov_b32 v2, s2 :: v_dual_mov_b32 v3, s3
	s_mov_b32 s20, exec_lo
	scratch_store_b64 off, v[2:3], s32 offset:752 ; 8-byte Folded Spill
	v_cmpx_ne_u32_e32 0x80, v1
	s_cbranch_execz .LBB285_650
; %bb.645:                              ;   in Loop: Header=BB285_11 Depth=1
	s_mov_b32 s8, s2
	v_bfe_u32 v2, v0, 24, 7
	v_dual_mov_b32 v3, s8 :: v_dual_mov_b32 v4, s9
	s_mov_b32 s8, exec_lo
	scratch_store_b64 off, v[3:4], s32 offset:752 ; 8-byte Folded Spill
	v_cmpx_ne_u32_e32 0x7f, v2
	s_cbranch_execz .LBB285_649
; %bb.646:                              ;   in Loop: Header=BB285_11 Depth=1
	v_and_b32_e32 v15, 7, v1
	v_lshrrev_b32_e32 v0, 3, v2
	s_mov_b32 s21, exec_lo
	v_cmpx_gt_u32_e32 8, v2
; %bb.647:                              ;   in Loop: Header=BB285_11 Depth=1
	s_delay_alu instid0(VALU_DEP_3) | instskip(NEXT) | instid1(VALU_DEP_1)
	v_clz_i32_u32_e32 v0, v15
	v_min_u32_e32 v0, 32, v0
	s_delay_alu instid0(VALU_DEP_1) | instskip(SKIP_1) | instid1(VALU_DEP_2)
	v_subrev_nc_u32_e32 v2, 28, v0
	v_sub_nc_u32_e32 v0, 29, v0
	v_lshlrev_b64 v[2:3], v2, v[15:16]
	s_delay_alu instid0(VALU_DEP_1)
	v_and_b32_e32 v15, 7, v2
; %bb.648:                              ;   in Loop: Header=BB285_11 Depth=1
	s_or_b32 exec_lo, exec_lo, s21
	v_lshlrev_b32_e32 v1, 24, v1
	s_delay_alu instid0(VALU_DEP_2) | instskip(SKIP_1) | instid1(VALU_DEP_3)
	v_lshlrev_b32_e32 v2, 20, v15
	v_lshl_add_u32 v0, v0, 23, 0x3c000000
	v_and_b32_e32 v1, 0x80000000, v1
	s_delay_alu instid0(VALU_DEP_1)
	v_or3_b32 v1, v2, v1, v0
	v_mov_b32_e32 v0, v16
	scratch_store_b64 off, v[0:1], s32 offset:752 ; 8-byte Folded Spill
.LBB285_649:                            ;   in Loop: Header=BB285_11 Depth=1
	s_or_b32 exec_lo, exec_lo, s8
.LBB285_650:                            ;   in Loop: Header=BB285_11 Depth=1
	s_delay_alu instid0(SALU_CYCLE_1)
	s_or_b32 exec_lo, exec_lo, s20
.LBB285_651:                            ;   in Loop: Header=BB285_11 Depth=1
	s_delay_alu instid0(SALU_CYCLE_1)
	s_or_b32 exec_lo, exec_lo, s19
	flat_load_b32 v0, v[154:155] offset:2560
	v_mov_b32_e32 v2, 0
	v_mov_b32_e32 v3, 0
	s_mov_b32 s8, exec_lo
	s_clause 0x1
	scratch_store_b64 off, v[2:3], s32 offset:768
	scratch_store_b64 off, v[2:3], s32 offset:776
	s_waitcnt vmcnt(0) lgkmcnt(0)
	v_and_b32_e32 v1, 0xff, v0
	s_delay_alu instid0(VALU_DEP_1)
	v_cmpx_ne_u16_e32 0, v1
	s_cbranch_execz .LBB285_659
; %bb.652:                              ;   in Loop: Header=BB285_11 Depth=1
	v_cmp_ne_u16_e64 s1, 0x80, v1
	v_bfrev_b32_e32 v1, 1
	v_mov_b32_e32 v2, 0
	scratch_store_b64 off, v[1:2], s32 offset:776 ; 8-byte Folded Spill
	s_and_saveexec_b32 s19, s1
	s_cbranch_execz .LBB285_658
; %bb.653:                              ;   in Loop: Header=BB285_11 Depth=1
	v_mov_b32_e32 v3, 0x7f800001
	v_and_b32_e32 v2, 0x7f, v0
	v_mov_b32_e32 v4, 0
	s_mov_b32 s20, exec_lo
	scratch_store_b64 off, v[3:4], s32 offset:776 ; 8-byte Folded Spill
	v_cmpx_ne_u32_e32 0x7f, v2
	s_cbranch_execz .LBB285_657
; %bb.654:                              ;   in Loop: Header=BB285_11 Depth=1
	v_and_b32_e32 v15, 7, v0
	v_lshrrev_b32_e32 v1, 3, v2
	s_mov_b32 s21, exec_lo
	v_cmpx_gt_u32_e32 8, v2
; %bb.655:                              ;   in Loop: Header=BB285_11 Depth=1
	s_delay_alu instid0(VALU_DEP_3) | instskip(NEXT) | instid1(VALU_DEP_1)
	v_clz_i32_u32_e32 v1, v15
	v_min_u32_e32 v1, 32, v1
	s_delay_alu instid0(VALU_DEP_1) | instskip(SKIP_1) | instid1(VALU_DEP_2)
	v_subrev_nc_u32_e32 v2, 28, v1
	v_sub_nc_u32_e32 v1, 29, v1
	v_lshlrev_b64 v[2:3], v2, v[15:16]
	s_delay_alu instid0(VALU_DEP_1)
	v_and_b32_e32 v15, 7, v2
; %bb.656:                              ;   in Loop: Header=BB285_11 Depth=1
	s_or_b32 exec_lo, exec_lo, s21
	v_lshlrev_b32_e32 v2, 24, v0
	s_delay_alu instid0(VALU_DEP_2) | instskip(SKIP_1) | instid1(VALU_DEP_3)
	v_lshlrev_b32_e32 v3, 20, v15
	v_lshl_add_u32 v1, v1, 23, 0x3c000000
	v_and_b32_e32 v2, 0x80000000, v2
	s_delay_alu instid0(VALU_DEP_1)
	v_or3_b32 v15, v3, v2, v1
	scratch_store_b64 off, v[15:16], s32 offset:776 ; 8-byte Folded Spill
.LBB285_657:                            ;   in Loop: Header=BB285_11 Depth=1
	s_or_b32 exec_lo, exec_lo, s20
.LBB285_658:                            ;   in Loop: Header=BB285_11 Depth=1
	s_delay_alu instid0(SALU_CYCLE_1)
	s_or_b32 exec_lo, exec_lo, s19
.LBB285_659:                            ;   in Loop: Header=BB285_11 Depth=1
	s_delay_alu instid0(SALU_CYCLE_1) | instskip(SKIP_2) | instid1(VALU_DEP_1)
	s_or_b32 exec_lo, exec_lo, s8
	v_lshrrev_b16 v1, 8, v0
	s_mov_b32 s19, exec_lo
	v_cmpx_ne_u16_e32 0, v1
	s_cbranch_execz .LBB285_667
; %bb.660:                              ;   in Loop: Header=BB285_11 Depth=1
	v_dual_mov_b32 v2, s2 :: v_dual_mov_b32 v3, s3
	s_mov_b32 s20, exec_lo
	scratch_store_b64 off, v[2:3], s32 offset:768 ; 8-byte Folded Spill
	v_cmpx_ne_u16_e32 0x80, v1
	s_cbranch_execz .LBB285_666
; %bb.661:                              ;   in Loop: Header=BB285_11 Depth=1
	s_mov_b32 s8, s2
	v_and_b32_e32 v1, 0xffff, v1
	v_dual_mov_b32 v3, s8 :: v_dual_mov_b32 v4, s9
	s_mov_b32 s8, exec_lo
	s_delay_alu instid0(VALU_DEP_2)
	v_and_b32_e32 v2, 0x7f, v1
	scratch_store_b64 off, v[3:4], s32 offset:768 ; 8-byte Folded Spill
	v_cmpx_ne_u32_e32 0x7f, v2
	s_cbranch_execz .LBB285_665
; %bb.662:                              ;   in Loop: Header=BB285_11 Depth=1
	v_and_b32_e32 v15, 7, v1
	v_lshrrev_b32_e32 v1, 3, v2
	s_mov_b32 s21, exec_lo
	v_cmpx_gt_u32_e32 8, v2
; %bb.663:                              ;   in Loop: Header=BB285_11 Depth=1
	s_delay_alu instid0(VALU_DEP_3) | instskip(NEXT) | instid1(VALU_DEP_1)
	v_clz_i32_u32_e32 v1, v15
	v_min_u32_e32 v1, 32, v1
	s_delay_alu instid0(VALU_DEP_1) | instskip(SKIP_1) | instid1(VALU_DEP_2)
	v_subrev_nc_u32_e32 v2, 28, v1
	v_sub_nc_u32_e32 v1, 29, v1
	v_lshlrev_b64 v[2:3], v2, v[15:16]
	s_delay_alu instid0(VALU_DEP_1)
	v_and_b32_e32 v15, 7, v2
; %bb.664:                              ;   in Loop: Header=BB285_11 Depth=1
	s_or_b32 exec_lo, exec_lo, s21
	v_lshlrev_b32_e32 v2, 16, v0
	s_delay_alu instid0(VALU_DEP_2) | instskip(SKIP_1) | instid1(VALU_DEP_3)
	v_lshlrev_b32_e32 v3, 20, v15
	v_lshl_add_u32 v1, v1, 23, 0x3c000000
	v_and_b32_e32 v2, 0x80000000, v2
	s_delay_alu instid0(VALU_DEP_1)
	v_or3_b32 v2, v3, v2, v1
	v_mov_b32_e32 v1, v16
	scratch_store_b64 off, v[1:2], s32 offset:768 ; 8-byte Folded Spill
.LBB285_665:                            ;   in Loop: Header=BB285_11 Depth=1
	s_or_b32 exec_lo, exec_lo, s8
.LBB285_666:                            ;   in Loop: Header=BB285_11 Depth=1
	s_delay_alu instid0(SALU_CYCLE_1)
	s_or_b32 exec_lo, exec_lo, s20
.LBB285_667:                            ;   in Loop: Header=BB285_11 Depth=1
	s_delay_alu instid0(SALU_CYCLE_1)
	s_or_b32 exec_lo, exec_lo, s19
	v_lshrrev_b32_e32 v1, 16, v0
	v_mov_b32_e32 v3, 0
	v_mov_b32_e32 v4, 0
	s_mov_b32 s8, exec_lo
	s_clause 0x1
	scratch_store_b64 off, v[3:4], s32 offset:784
	scratch_store_b64 off, v[3:4], s32 offset:792
	v_and_b32_e32 v2, 0xff, v1
	s_delay_alu instid0(VALU_DEP_1)
	v_cmpx_ne_u16_e32 0, v2
	s_cbranch_execz .LBB285_675
; %bb.668:                              ;   in Loop: Header=BB285_11 Depth=1
	v_cmp_ne_u16_e64 s1, 0x80, v2
	v_bfrev_b32_e32 v2, 1
	v_mov_b32_e32 v3, 0
	scratch_store_b64 off, v[2:3], s32 offset:792 ; 8-byte Folded Spill
	s_and_saveexec_b32 s19, s1
	s_cbranch_execz .LBB285_674
; %bb.669:                              ;   in Loop: Header=BB285_11 Depth=1
	v_mov_b32_e32 v4, 0x7f800001
	v_bfe_u32 v3, v0, 16, 7
	v_mov_b32_e32 v5, 0
	s_mov_b32 s20, exec_lo
	scratch_store_b64 off, v[4:5], s32 offset:792 ; 8-byte Folded Spill
	v_cmpx_ne_u32_e32 0x7f, v3
	s_cbranch_execz .LBB285_673
; %bb.670:                              ;   in Loop: Header=BB285_11 Depth=1
	v_and_b32_e32 v15, 7, v1
	v_lshrrev_b32_e32 v2, 3, v3
	s_mov_b32 s21, exec_lo
	v_cmpx_gt_u32_e32 8, v3
; %bb.671:                              ;   in Loop: Header=BB285_11 Depth=1
	s_delay_alu instid0(VALU_DEP_3) | instskip(NEXT) | instid1(VALU_DEP_1)
	v_clz_i32_u32_e32 v2, v15
	v_min_u32_e32 v2, 32, v2
	s_delay_alu instid0(VALU_DEP_1) | instskip(SKIP_1) | instid1(VALU_DEP_2)
	v_subrev_nc_u32_e32 v3, 28, v2
	v_sub_nc_u32_e32 v2, 29, v2
	v_lshlrev_b64 v[3:4], v3, v[15:16]
	s_delay_alu instid0(VALU_DEP_1)
	v_and_b32_e32 v15, 7, v3
; %bb.672:                              ;   in Loop: Header=BB285_11 Depth=1
	s_or_b32 exec_lo, exec_lo, s21
	v_lshlrev_b32_e32 v1, 24, v1
	s_delay_alu instid0(VALU_DEP_2) | instskip(SKIP_1) | instid1(VALU_DEP_3)
	v_lshlrev_b32_e32 v3, 20, v15
	v_lshl_add_u32 v2, v2, 23, 0x3c000000
	v_and_b32_e32 v1, 0x80000000, v1
	s_delay_alu instid0(VALU_DEP_1)
	v_or3_b32 v15, v3, v1, v2
	scratch_store_b64 off, v[15:16], s32 offset:792 ; 8-byte Folded Spill
.LBB285_673:                            ;   in Loop: Header=BB285_11 Depth=1
	s_or_b32 exec_lo, exec_lo, s20
.LBB285_674:                            ;   in Loop: Header=BB285_11 Depth=1
	s_delay_alu instid0(SALU_CYCLE_1)
	s_or_b32 exec_lo, exec_lo, s19
.LBB285_675:                            ;   in Loop: Header=BB285_11 Depth=1
	s_delay_alu instid0(SALU_CYCLE_1) | instskip(NEXT) | instid1(SALU_CYCLE_1)
	s_or_b32 exec_lo, exec_lo, s8
	s_mov_b32 s19, exec_lo
	v_cmpx_lt_u32_e32 0xffffff, v0
	s_cbranch_execz .LBB285_683
; %bb.676:                              ;   in Loop: Header=BB285_11 Depth=1
	v_lshrrev_b32_e32 v1, 24, v0
	v_dual_mov_b32 v2, s2 :: v_dual_mov_b32 v3, s3
	s_mov_b32 s20, exec_lo
	scratch_store_b64 off, v[2:3], s32 offset:784 ; 8-byte Folded Spill
	v_cmpx_ne_u32_e32 0x80, v1
	s_cbranch_execz .LBB285_682
; %bb.677:                              ;   in Loop: Header=BB285_11 Depth=1
	s_mov_b32 s8, s2
	v_bfe_u32 v2, v0, 24, 7
	v_dual_mov_b32 v3, s8 :: v_dual_mov_b32 v4, s9
	s_mov_b32 s8, exec_lo
	scratch_store_b64 off, v[3:4], s32 offset:784 ; 8-byte Folded Spill
	v_cmpx_ne_u32_e32 0x7f, v2
	s_cbranch_execz .LBB285_681
; %bb.678:                              ;   in Loop: Header=BB285_11 Depth=1
	v_and_b32_e32 v15, 7, v1
	v_lshrrev_b32_e32 v0, 3, v2
	s_mov_b32 s21, exec_lo
	v_cmpx_gt_u32_e32 8, v2
; %bb.679:                              ;   in Loop: Header=BB285_11 Depth=1
	s_delay_alu instid0(VALU_DEP_3) | instskip(NEXT) | instid1(VALU_DEP_1)
	v_clz_i32_u32_e32 v0, v15
	v_min_u32_e32 v0, 32, v0
	s_delay_alu instid0(VALU_DEP_1) | instskip(SKIP_1) | instid1(VALU_DEP_2)
	v_subrev_nc_u32_e32 v2, 28, v0
	v_sub_nc_u32_e32 v0, 29, v0
	v_lshlrev_b64 v[2:3], v2, v[15:16]
	s_delay_alu instid0(VALU_DEP_1)
	v_and_b32_e32 v15, 7, v2
; %bb.680:                              ;   in Loop: Header=BB285_11 Depth=1
	s_or_b32 exec_lo, exec_lo, s21
	v_lshlrev_b32_e32 v1, 24, v1
	s_delay_alu instid0(VALU_DEP_2) | instskip(SKIP_1) | instid1(VALU_DEP_3)
	v_lshlrev_b32_e32 v2, 20, v15
	v_lshl_add_u32 v0, v0, 23, 0x3c000000
	v_and_b32_e32 v1, 0x80000000, v1
	s_delay_alu instid0(VALU_DEP_1)
	v_or3_b32 v1, v2, v1, v0
	v_mov_b32_e32 v0, v16
	scratch_store_b64 off, v[0:1], s32 offset:784 ; 8-byte Folded Spill
.LBB285_681:                            ;   in Loop: Header=BB285_11 Depth=1
	s_or_b32 exec_lo, exec_lo, s8
.LBB285_682:                            ;   in Loop: Header=BB285_11 Depth=1
	s_delay_alu instid0(SALU_CYCLE_1)
	s_or_b32 exec_lo, exec_lo, s20
.LBB285_683:                            ;   in Loop: Header=BB285_11 Depth=1
	s_delay_alu instid0(SALU_CYCLE_1)
	s_or_b32 exec_lo, exec_lo, s19
	flat_load_b32 v0, v[154:155] offset:2564
	v_mov_b32_e32 v2, 0
	v_mov_b32_e32 v3, 0
	s_mov_b32 s8, exec_lo
	s_clause 0x1
	scratch_store_b64 off, v[2:3], s32 offset:800
	scratch_store_b64 off, v[2:3], s32 offset:808
	s_waitcnt vmcnt(0) lgkmcnt(0)
	v_and_b32_e32 v1, 0xff, v0
	s_delay_alu instid0(VALU_DEP_1)
	v_cmpx_ne_u16_e32 0, v1
	s_cbranch_execz .LBB285_691
; %bb.684:                              ;   in Loop: Header=BB285_11 Depth=1
	v_cmp_ne_u16_e64 s1, 0x80, v1
	v_bfrev_b32_e32 v1, 1
	v_mov_b32_e32 v2, 0
	scratch_store_b64 off, v[1:2], s32 offset:808 ; 8-byte Folded Spill
	s_and_saveexec_b32 s19, s1
	s_cbranch_execz .LBB285_690
; %bb.685:                              ;   in Loop: Header=BB285_11 Depth=1
	v_mov_b32_e32 v3, 0x7f800001
	v_and_b32_e32 v2, 0x7f, v0
	v_mov_b32_e32 v4, 0
	s_mov_b32 s20, exec_lo
	scratch_store_b64 off, v[3:4], s32 offset:808 ; 8-byte Folded Spill
	v_cmpx_ne_u32_e32 0x7f, v2
	s_cbranch_execz .LBB285_689
; %bb.686:                              ;   in Loop: Header=BB285_11 Depth=1
	v_and_b32_e32 v15, 7, v0
	v_lshrrev_b32_e32 v1, 3, v2
	s_mov_b32 s21, exec_lo
	v_cmpx_gt_u32_e32 8, v2
; %bb.687:                              ;   in Loop: Header=BB285_11 Depth=1
	s_delay_alu instid0(VALU_DEP_3) | instskip(NEXT) | instid1(VALU_DEP_1)
	v_clz_i32_u32_e32 v1, v15
	v_min_u32_e32 v1, 32, v1
	s_delay_alu instid0(VALU_DEP_1) | instskip(SKIP_1) | instid1(VALU_DEP_2)
	v_subrev_nc_u32_e32 v2, 28, v1
	v_sub_nc_u32_e32 v1, 29, v1
	v_lshlrev_b64 v[2:3], v2, v[15:16]
	s_delay_alu instid0(VALU_DEP_1)
	v_and_b32_e32 v15, 7, v2
; %bb.688:                              ;   in Loop: Header=BB285_11 Depth=1
	s_or_b32 exec_lo, exec_lo, s21
	v_lshlrev_b32_e32 v2, 24, v0
	s_delay_alu instid0(VALU_DEP_2) | instskip(SKIP_1) | instid1(VALU_DEP_3)
	v_lshlrev_b32_e32 v3, 20, v15
	v_lshl_add_u32 v1, v1, 23, 0x3c000000
	v_and_b32_e32 v2, 0x80000000, v2
	s_delay_alu instid0(VALU_DEP_1)
	v_or3_b32 v15, v3, v2, v1
	scratch_store_b64 off, v[15:16], s32 offset:808 ; 8-byte Folded Spill
.LBB285_689:                            ;   in Loop: Header=BB285_11 Depth=1
	s_or_b32 exec_lo, exec_lo, s20
.LBB285_690:                            ;   in Loop: Header=BB285_11 Depth=1
	s_delay_alu instid0(SALU_CYCLE_1)
	s_or_b32 exec_lo, exec_lo, s19
.LBB285_691:                            ;   in Loop: Header=BB285_11 Depth=1
	s_delay_alu instid0(SALU_CYCLE_1) | instskip(SKIP_2) | instid1(VALU_DEP_1)
	s_or_b32 exec_lo, exec_lo, s8
	v_lshrrev_b16 v1, 8, v0
	s_mov_b32 s19, exec_lo
	v_cmpx_ne_u16_e32 0, v1
	s_cbranch_execz .LBB285_699
; %bb.692:                              ;   in Loop: Header=BB285_11 Depth=1
	v_dual_mov_b32 v2, s2 :: v_dual_mov_b32 v3, s3
	s_mov_b32 s20, exec_lo
	scratch_store_b64 off, v[2:3], s32 offset:800 ; 8-byte Folded Spill
	v_cmpx_ne_u16_e32 0x80, v1
	s_cbranch_execz .LBB285_698
; %bb.693:                              ;   in Loop: Header=BB285_11 Depth=1
	s_mov_b32 s8, s2
	v_and_b32_e32 v1, 0xffff, v1
	v_dual_mov_b32 v3, s8 :: v_dual_mov_b32 v4, s9
	s_mov_b32 s8, exec_lo
	s_delay_alu instid0(VALU_DEP_2)
	v_and_b32_e32 v2, 0x7f, v1
	scratch_store_b64 off, v[3:4], s32 offset:800 ; 8-byte Folded Spill
	v_cmpx_ne_u32_e32 0x7f, v2
	s_cbranch_execz .LBB285_697
; %bb.694:                              ;   in Loop: Header=BB285_11 Depth=1
	v_and_b32_e32 v15, 7, v1
	v_lshrrev_b32_e32 v1, 3, v2
	s_mov_b32 s21, exec_lo
	v_cmpx_gt_u32_e32 8, v2
; %bb.695:                              ;   in Loop: Header=BB285_11 Depth=1
	s_delay_alu instid0(VALU_DEP_3) | instskip(NEXT) | instid1(VALU_DEP_1)
	v_clz_i32_u32_e32 v1, v15
	v_min_u32_e32 v1, 32, v1
	s_delay_alu instid0(VALU_DEP_1) | instskip(SKIP_1) | instid1(VALU_DEP_2)
	v_subrev_nc_u32_e32 v2, 28, v1
	v_sub_nc_u32_e32 v1, 29, v1
	v_lshlrev_b64 v[2:3], v2, v[15:16]
	s_delay_alu instid0(VALU_DEP_1)
	v_and_b32_e32 v15, 7, v2
; %bb.696:                              ;   in Loop: Header=BB285_11 Depth=1
	s_or_b32 exec_lo, exec_lo, s21
	v_lshlrev_b32_e32 v2, 16, v0
	s_delay_alu instid0(VALU_DEP_2) | instskip(SKIP_1) | instid1(VALU_DEP_3)
	v_lshlrev_b32_e32 v3, 20, v15
	v_lshl_add_u32 v1, v1, 23, 0x3c000000
	v_and_b32_e32 v2, 0x80000000, v2
	s_delay_alu instid0(VALU_DEP_1)
	v_or3_b32 v2, v3, v2, v1
	v_mov_b32_e32 v1, v16
	scratch_store_b64 off, v[1:2], s32 offset:800 ; 8-byte Folded Spill
.LBB285_697:                            ;   in Loop: Header=BB285_11 Depth=1
	s_or_b32 exec_lo, exec_lo, s8
.LBB285_698:                            ;   in Loop: Header=BB285_11 Depth=1
	s_delay_alu instid0(SALU_CYCLE_1)
	s_or_b32 exec_lo, exec_lo, s20
.LBB285_699:                            ;   in Loop: Header=BB285_11 Depth=1
	s_delay_alu instid0(SALU_CYCLE_1)
	s_or_b32 exec_lo, exec_lo, s19
	v_lshrrev_b32_e32 v1, 16, v0
	v_mov_b32_e32 v3, 0
	v_mov_b32_e32 v4, 0
	s_mov_b32 s8, exec_lo
	s_clause 0x1
	scratch_store_b64 off, v[3:4], s32 offset:816
	scratch_store_b64 off, v[3:4], s32 offset:824
	v_and_b32_e32 v2, 0xff, v1
	s_delay_alu instid0(VALU_DEP_1)
	v_cmpx_ne_u16_e32 0, v2
	s_cbranch_execz .LBB285_707
; %bb.700:                              ;   in Loop: Header=BB285_11 Depth=1
	v_cmp_ne_u16_e64 s1, 0x80, v2
	v_bfrev_b32_e32 v2, 1
	v_mov_b32_e32 v3, 0
	scratch_store_b64 off, v[2:3], s32 offset:824 ; 8-byte Folded Spill
	s_and_saveexec_b32 s19, s1
	s_cbranch_execz .LBB285_706
; %bb.701:                              ;   in Loop: Header=BB285_11 Depth=1
	v_mov_b32_e32 v4, 0x7f800001
	v_bfe_u32 v3, v0, 16, 7
	v_mov_b32_e32 v5, 0
	s_mov_b32 s20, exec_lo
	scratch_store_b64 off, v[4:5], s32 offset:824 ; 8-byte Folded Spill
	v_cmpx_ne_u32_e32 0x7f, v3
	s_cbranch_execz .LBB285_705
; %bb.702:                              ;   in Loop: Header=BB285_11 Depth=1
	v_and_b32_e32 v15, 7, v1
	v_lshrrev_b32_e32 v2, 3, v3
	s_mov_b32 s21, exec_lo
	v_cmpx_gt_u32_e32 8, v3
; %bb.703:                              ;   in Loop: Header=BB285_11 Depth=1
	s_delay_alu instid0(VALU_DEP_3) | instskip(NEXT) | instid1(VALU_DEP_1)
	v_clz_i32_u32_e32 v2, v15
	v_min_u32_e32 v2, 32, v2
	s_delay_alu instid0(VALU_DEP_1) | instskip(SKIP_1) | instid1(VALU_DEP_2)
	v_subrev_nc_u32_e32 v3, 28, v2
	v_sub_nc_u32_e32 v2, 29, v2
	v_lshlrev_b64 v[3:4], v3, v[15:16]
	s_delay_alu instid0(VALU_DEP_1)
	v_and_b32_e32 v15, 7, v3
; %bb.704:                              ;   in Loop: Header=BB285_11 Depth=1
	s_or_b32 exec_lo, exec_lo, s21
	v_lshlrev_b32_e32 v1, 24, v1
	s_delay_alu instid0(VALU_DEP_2) | instskip(SKIP_1) | instid1(VALU_DEP_3)
	v_lshlrev_b32_e32 v3, 20, v15
	v_lshl_add_u32 v2, v2, 23, 0x3c000000
	v_and_b32_e32 v1, 0x80000000, v1
	s_delay_alu instid0(VALU_DEP_1)
	v_or3_b32 v15, v3, v1, v2
	scratch_store_b64 off, v[15:16], s32 offset:824 ; 8-byte Folded Spill
.LBB285_705:                            ;   in Loop: Header=BB285_11 Depth=1
	s_or_b32 exec_lo, exec_lo, s20
.LBB285_706:                            ;   in Loop: Header=BB285_11 Depth=1
	s_delay_alu instid0(SALU_CYCLE_1)
	s_or_b32 exec_lo, exec_lo, s19
.LBB285_707:                            ;   in Loop: Header=BB285_11 Depth=1
	s_delay_alu instid0(SALU_CYCLE_1) | instskip(NEXT) | instid1(SALU_CYCLE_1)
	s_or_b32 exec_lo, exec_lo, s8
	s_mov_b32 s19, exec_lo
	v_cmpx_lt_u32_e32 0xffffff, v0
	s_cbranch_execz .LBB285_715
; %bb.708:                              ;   in Loop: Header=BB285_11 Depth=1
	v_lshrrev_b32_e32 v1, 24, v0
	v_dual_mov_b32 v2, s2 :: v_dual_mov_b32 v3, s3
	s_mov_b32 s20, exec_lo
	scratch_store_b64 off, v[2:3], s32 offset:816 ; 8-byte Folded Spill
	v_cmpx_ne_u32_e32 0x80, v1
	s_cbranch_execz .LBB285_714
; %bb.709:                              ;   in Loop: Header=BB285_11 Depth=1
	s_mov_b32 s8, s2
	v_bfe_u32 v2, v0, 24, 7
	v_dual_mov_b32 v3, s8 :: v_dual_mov_b32 v4, s9
	s_mov_b32 s8, exec_lo
	scratch_store_b64 off, v[3:4], s32 offset:816 ; 8-byte Folded Spill
	v_cmpx_ne_u32_e32 0x7f, v2
	s_cbranch_execz .LBB285_713
; %bb.710:                              ;   in Loop: Header=BB285_11 Depth=1
	v_and_b32_e32 v15, 7, v1
	v_lshrrev_b32_e32 v0, 3, v2
	s_mov_b32 s21, exec_lo
	v_cmpx_gt_u32_e32 8, v2
; %bb.711:                              ;   in Loop: Header=BB285_11 Depth=1
	s_delay_alu instid0(VALU_DEP_3) | instskip(NEXT) | instid1(VALU_DEP_1)
	v_clz_i32_u32_e32 v0, v15
	v_min_u32_e32 v0, 32, v0
	s_delay_alu instid0(VALU_DEP_1) | instskip(SKIP_1) | instid1(VALU_DEP_2)
	v_subrev_nc_u32_e32 v2, 28, v0
	v_sub_nc_u32_e32 v0, 29, v0
	v_lshlrev_b64 v[2:3], v2, v[15:16]
	s_delay_alu instid0(VALU_DEP_1)
	v_and_b32_e32 v15, 7, v2
; %bb.712:                              ;   in Loop: Header=BB285_11 Depth=1
	s_or_b32 exec_lo, exec_lo, s21
	v_lshlrev_b32_e32 v1, 24, v1
	s_delay_alu instid0(VALU_DEP_2) | instskip(SKIP_1) | instid1(VALU_DEP_3)
	v_lshlrev_b32_e32 v2, 20, v15
	v_lshl_add_u32 v0, v0, 23, 0x3c000000
	v_and_b32_e32 v1, 0x80000000, v1
	s_delay_alu instid0(VALU_DEP_1)
	v_or3_b32 v1, v2, v1, v0
	v_mov_b32_e32 v0, v16
	scratch_store_b64 off, v[0:1], s32 offset:816 ; 8-byte Folded Spill
.LBB285_713:                            ;   in Loop: Header=BB285_11 Depth=1
	s_or_b32 exec_lo, exec_lo, s8
.LBB285_714:                            ;   in Loop: Header=BB285_11 Depth=1
	s_delay_alu instid0(SALU_CYCLE_1)
	s_or_b32 exec_lo, exec_lo, s20
.LBB285_715:                            ;   in Loop: Header=BB285_11 Depth=1
	s_delay_alu instid0(SALU_CYCLE_1)
	s_or_b32 exec_lo, exec_lo, s19
	flat_load_b32 v2, v[154:155] offset:2568
	v_mov_b32_e32 v3, 0
	v_mov_b32_e32 v4, 0
	s_mov_b32 s8, exec_lo
	s_clause 0x1
	scratch_store_b64 off, v[3:4], s32 offset:832
	scratch_store_b64 off, v[3:4], s32 offset:840
	s_waitcnt vmcnt(0) lgkmcnt(0)
	v_and_b32_e32 v0, 0xff, v2
	s_delay_alu instid0(VALU_DEP_1)
	v_cmpx_ne_u16_e32 0, v0
	s_cbranch_execz .LBB285_723
; %bb.716:                              ;   in Loop: Header=BB285_11 Depth=1
	v_cmp_ne_u16_e64 s1, 0x80, v0
	v_bfrev_b32_e32 v0, 1
	v_mov_b32_e32 v1, 0
	scratch_store_b64 off, v[0:1], s32 offset:840 ; 8-byte Folded Spill
	s_and_saveexec_b32 s19, s1
	s_cbranch_execz .LBB285_722
; %bb.717:                              ;   in Loop: Header=BB285_11 Depth=1
	v_mov_b32_e32 v3, 0x7f800001
	v_dual_mov_b32 v4, 0 :: v_dual_and_b32 v1, 0x7f, v2
	s_mov_b32 s20, exec_lo
	scratch_store_b64 off, v[3:4], s32 offset:840 ; 8-byte Folded Spill
	v_cmpx_ne_u32_e32 0x7f, v1
	s_cbranch_execz .LBB285_721
; %bb.718:                              ;   in Loop: Header=BB285_11 Depth=1
	v_and_b32_e32 v15, 7, v2
	v_lshrrev_b32_e32 v0, 3, v1
	s_mov_b32 s21, exec_lo
	v_cmpx_gt_u32_e32 8, v1
; %bb.719:                              ;   in Loop: Header=BB285_11 Depth=1
	s_delay_alu instid0(VALU_DEP_3) | instskip(NEXT) | instid1(VALU_DEP_1)
	v_clz_i32_u32_e32 v0, v15
	v_min_u32_e32 v0, 32, v0
	s_delay_alu instid0(VALU_DEP_1) | instskip(SKIP_1) | instid1(VALU_DEP_2)
	v_subrev_nc_u32_e32 v1, 28, v0
	v_sub_nc_u32_e32 v0, 29, v0
	v_lshlrev_b64 v[3:4], v1, v[15:16]
	s_delay_alu instid0(VALU_DEP_1)
	v_and_b32_e32 v15, 7, v3
; %bb.720:                              ;   in Loop: Header=BB285_11 Depth=1
	s_or_b32 exec_lo, exec_lo, s21
	v_lshlrev_b32_e32 v1, 24, v2
	s_delay_alu instid0(VALU_DEP_2) | instskip(SKIP_1) | instid1(VALU_DEP_3)
	v_lshlrev_b32_e32 v3, 20, v15
	v_lshl_add_u32 v0, v0, 23, 0x3c000000
	v_and_b32_e32 v1, 0x80000000, v1
	s_delay_alu instid0(VALU_DEP_1)
	v_or3_b32 v15, v3, v1, v0
	scratch_store_b64 off, v[15:16], s32 offset:840 ; 8-byte Folded Spill
.LBB285_721:                            ;   in Loop: Header=BB285_11 Depth=1
	s_or_b32 exec_lo, exec_lo, s20
.LBB285_722:                            ;   in Loop: Header=BB285_11 Depth=1
	s_delay_alu instid0(SALU_CYCLE_1)
	s_or_b32 exec_lo, exec_lo, s19
.LBB285_723:                            ;   in Loop: Header=BB285_11 Depth=1
	s_delay_alu instid0(SALU_CYCLE_1) | instskip(SKIP_2) | instid1(VALU_DEP_1)
	s_or_b32 exec_lo, exec_lo, s8
	v_lshrrev_b16 v0, 8, v2
	s_mov_b32 s19, exec_lo
	v_cmpx_ne_u16_e32 0, v0
	s_cbranch_execz .LBB285_731
; %bb.724:                              ;   in Loop: Header=BB285_11 Depth=1
	v_dual_mov_b32 v4, s3 :: v_dual_mov_b32 v3, s2
	s_mov_b32 s20, exec_lo
	scratch_store_b64 off, v[3:4], s32 offset:832 ; 8-byte Folded Spill
	v_cmpx_ne_u16_e32 0x80, v0
	s_cbranch_execz .LBB285_730
; %bb.725:                              ;   in Loop: Header=BB285_11 Depth=1
	s_mov_b32 s8, s2
	s_delay_alu instid0(SALU_CYCLE_1) | instskip(SKIP_2) | instid1(VALU_DEP_2)
	v_dual_mov_b32 v3, s8 :: v_dual_and_b32 v0, 0xffff, v0
	v_mov_b32_e32 v4, s9
	s_mov_b32 s8, exec_lo
	v_and_b32_e32 v1, 0x7f, v0
	scratch_store_b64 off, v[3:4], s32 offset:832 ; 8-byte Folded Spill
	v_cmpx_ne_u32_e32 0x7f, v1
	s_cbranch_execz .LBB285_729
; %bb.726:                              ;   in Loop: Header=BB285_11 Depth=1
	v_and_b32_e32 v15, 7, v0
	v_lshrrev_b32_e32 v0, 3, v1
	s_mov_b32 s21, exec_lo
	v_cmpx_gt_u32_e32 8, v1
; %bb.727:                              ;   in Loop: Header=BB285_11 Depth=1
	s_delay_alu instid0(VALU_DEP_3) | instskip(NEXT) | instid1(VALU_DEP_1)
	v_clz_i32_u32_e32 v0, v15
	v_min_u32_e32 v0, 32, v0
	s_delay_alu instid0(VALU_DEP_1) | instskip(SKIP_1) | instid1(VALU_DEP_2)
	v_subrev_nc_u32_e32 v1, 28, v0
	v_sub_nc_u32_e32 v0, 29, v0
	v_lshlrev_b64 v[3:4], v1, v[15:16]
	s_delay_alu instid0(VALU_DEP_1)
	v_and_b32_e32 v15, 7, v3
; %bb.728:                              ;   in Loop: Header=BB285_11 Depth=1
	s_or_b32 exec_lo, exec_lo, s21
	v_lshlrev_b32_e32 v1, 16, v2
	s_delay_alu instid0(VALU_DEP_2) | instskip(SKIP_1) | instid1(VALU_DEP_3)
	v_lshlrev_b32_e32 v3, 20, v15
	v_lshl_add_u32 v0, v0, 23, 0x3c000000
	v_and_b32_e32 v1, 0x80000000, v1
	s_delay_alu instid0(VALU_DEP_1)
	v_or3_b32 v1, v3, v1, v0
	v_mov_b32_e32 v0, v16
	scratch_store_b64 off, v[0:1], s32 offset:832 ; 8-byte Folded Spill
.LBB285_729:                            ;   in Loop: Header=BB285_11 Depth=1
	s_or_b32 exec_lo, exec_lo, s8
.LBB285_730:                            ;   in Loop: Header=BB285_11 Depth=1
	s_delay_alu instid0(SALU_CYCLE_1)
	s_or_b32 exec_lo, exec_lo, s20
.LBB285_731:                            ;   in Loop: Header=BB285_11 Depth=1
	s_delay_alu instid0(SALU_CYCLE_1) | instskip(SKIP_4) | instid1(VALU_DEP_3)
	s_or_b32 exec_lo, exec_lo, s19
	v_lshrrev_b32_e32 v3, 16, v2
	v_mov_b32_e32 v0, 0
	v_mov_b32_e32 v1, 0
	s_mov_b32 s8, exec_lo
	v_and_b32_e32 v4, 0xff, v3
	s_clause 0x1
	scratch_store_b64 off, v[0:1], s32 offset:848
	scratch_store_b64 off, v[0:1], s32 offset:856
	v_cmpx_ne_u16_e32 0, v4
	s_cbranch_execz .LBB285_739
; %bb.732:                              ;   in Loop: Header=BB285_11 Depth=1
	v_bfrev_b32_e32 v0, 1
	v_mov_b32_e32 v1, 0
	s_mov_b32 s19, exec_lo
	scratch_store_b64 off, v[0:1], s32 offset:856 ; 8-byte Folded Spill
	v_cmpx_ne_u16_e32 0x80, v4
	s_cbranch_execz .LBB285_738
; %bb.733:                              ;   in Loop: Header=BB285_11 Depth=1
	v_mov_b32_e32 v0, 0x7f800001
	v_bfe_u32 v5, v2, 16, 7
	v_mov_b32_e32 v1, 0
	s_mov_b32 s20, exec_lo
	scratch_store_b64 off, v[0:1], s32 offset:856 ; 8-byte Folded Spill
	v_cmpx_ne_u32_e32 0x7f, v5
	s_cbranch_execz .LBB285_737
; %bb.734:                              ;   in Loop: Header=BB285_11 Depth=1
	v_and_b32_e32 v15, 7, v3
	v_lshrrev_b32_e32 v4, 3, v5
	s_mov_b32 s21, exec_lo
	v_cmpx_gt_u32_e32 8, v5
; %bb.735:                              ;   in Loop: Header=BB285_11 Depth=1
	s_delay_alu instid0(VALU_DEP_3) | instskip(NEXT) | instid1(VALU_DEP_1)
	v_clz_i32_u32_e32 v4, v15
	v_min_u32_e32 v4, 32, v4
	s_delay_alu instid0(VALU_DEP_1) | instskip(SKIP_1) | instid1(VALU_DEP_2)
	v_subrev_nc_u32_e32 v5, 28, v4
	v_sub_nc_u32_e32 v4, 29, v4
	v_lshlrev_b64 v[5:6], v5, v[15:16]
	s_delay_alu instid0(VALU_DEP_1)
	v_and_b32_e32 v15, 7, v5
; %bb.736:                              ;   in Loop: Header=BB285_11 Depth=1
	s_or_b32 exec_lo, exec_lo, s21
	v_lshlrev_b32_e32 v3, 24, v3
	s_delay_alu instid0(VALU_DEP_2) | instskip(SKIP_1) | instid1(VALU_DEP_3)
	v_lshlrev_b32_e32 v5, 20, v15
	v_lshl_add_u32 v4, v4, 23, 0x3c000000
	v_and_b32_e32 v3, 0x80000000, v3
	s_delay_alu instid0(VALU_DEP_1)
	v_or3_b32 v15, v5, v3, v4
	scratch_store_b64 off, v[15:16], s32 offset:856 ; 8-byte Folded Spill
.LBB285_737:                            ;   in Loop: Header=BB285_11 Depth=1
	s_or_b32 exec_lo, exec_lo, s20
.LBB285_738:                            ;   in Loop: Header=BB285_11 Depth=1
	s_delay_alu instid0(SALU_CYCLE_1)
	s_or_b32 exec_lo, exec_lo, s19
.LBB285_739:                            ;   in Loop: Header=BB285_11 Depth=1
	s_delay_alu instid0(SALU_CYCLE_1) | instskip(NEXT) | instid1(SALU_CYCLE_1)
	s_or_b32 exec_lo, exec_lo, s8
	s_mov_b32 s19, exec_lo
	v_cmpx_lt_u32_e32 0xffffff, v2
	s_cbranch_execz .LBB285_747
; %bb.740:                              ;   in Loop: Header=BB285_11 Depth=1
	v_lshrrev_b32_e32 v3, 24, v2
	v_dual_mov_b32 v0, s2 :: v_dual_mov_b32 v1, s3
	s_mov_b32 s20, exec_lo
	scratch_store_b64 off, v[0:1], s32 offset:848 ; 8-byte Folded Spill
	v_cmpx_ne_u32_e32 0x80, v3
	s_cbranch_execz .LBB285_746
; %bb.741:                              ;   in Loop: Header=BB285_11 Depth=1
	s_mov_b32 s8, s2
	v_bfe_u32 v2, v2, 24, 7
	v_dual_mov_b32 v0, s8 :: v_dual_mov_b32 v1, s9
	s_mov_b32 s8, exec_lo
	scratch_store_b64 off, v[0:1], s32 offset:848 ; 8-byte Folded Spill
	v_cmpx_ne_u32_e32 0x7f, v2
	s_cbranch_execz .LBB285_745
; %bb.742:                              ;   in Loop: Header=BB285_11 Depth=1
	v_and_b32_e32 v15, 7, v3
	v_lshrrev_b32_e32 v0, 3, v2
	s_mov_b32 s21, exec_lo
	v_cmpx_gt_u32_e32 8, v2
; %bb.743:                              ;   in Loop: Header=BB285_11 Depth=1
	s_delay_alu instid0(VALU_DEP_3) | instskip(NEXT) | instid1(VALU_DEP_1)
	v_clz_i32_u32_e32 v0, v15
	v_min_u32_e32 v0, 32, v0
	s_delay_alu instid0(VALU_DEP_1) | instskip(SKIP_1) | instid1(VALU_DEP_2)
	v_subrev_nc_u32_e32 v1, 28, v0
	v_sub_nc_u32_e32 v0, 29, v0
	v_lshlrev_b64 v[1:2], v1, v[15:16]
	s_delay_alu instid0(VALU_DEP_1)
	v_and_b32_e32 v15, 7, v1
; %bb.744:                              ;   in Loop: Header=BB285_11 Depth=1
	s_or_b32 exec_lo, exec_lo, s21
	v_lshlrev_b32_e32 v1, 24, v3
	s_delay_alu instid0(VALU_DEP_2) | instskip(SKIP_1) | instid1(VALU_DEP_3)
	v_lshlrev_b32_e32 v2, 20, v15
	v_lshl_add_u32 v0, v0, 23, 0x3c000000
	v_and_b32_e32 v1, 0x80000000, v1
	s_delay_alu instid0(VALU_DEP_1)
	v_or3_b32 v1, v2, v1, v0
	v_mov_b32_e32 v0, v16
	scratch_store_b64 off, v[0:1], s32 offset:848 ; 8-byte Folded Spill
.LBB285_745:                            ;   in Loop: Header=BB285_11 Depth=1
	s_or_b32 exec_lo, exec_lo, s8
.LBB285_746:                            ;   in Loop: Header=BB285_11 Depth=1
	s_delay_alu instid0(SALU_CYCLE_1)
	s_or_b32 exec_lo, exec_lo, s20
.LBB285_747:                            ;   in Loop: Header=BB285_11 Depth=1
	s_delay_alu instid0(SALU_CYCLE_1)
	s_or_b32 exec_lo, exec_lo, s19
	flat_load_b32 v2, v[154:155] offset:2572
	v_mov_b32_e32 v0, 0
	v_mov_b32_e32 v1, 0
	s_mov_b32 s8, exec_lo
	s_clause 0x1
	scratch_store_b64 off, v[0:1], s32 offset:864
	scratch_store_b64 off, v[0:1], s32 offset:872
	s_waitcnt vmcnt(0) lgkmcnt(0)
	v_and_b32_e32 v3, 0xff, v2
	s_delay_alu instid0(VALU_DEP_1)
	v_cmpx_ne_u16_e32 0, v3
	s_cbranch_execz .LBB285_755
; %bb.748:                              ;   in Loop: Header=BB285_11 Depth=1
	v_bfrev_b32_e32 v0, 1
	v_mov_b32_e32 v1, 0
	s_mov_b32 s19, exec_lo
	scratch_store_b64 off, v[0:1], s32 offset:872 ; 8-byte Folded Spill
	v_cmpx_ne_u16_e32 0x80, v3
	s_cbranch_execz .LBB285_754
; %bb.749:                              ;   in Loop: Header=BB285_11 Depth=1
	v_mov_b32_e32 v0, 0x7f800001
	v_dual_mov_b32 v1, 0 :: v_dual_and_b32 v4, 0x7f, v2
	s_mov_b32 s20, exec_lo
	scratch_store_b64 off, v[0:1], s32 offset:872 ; 8-byte Folded Spill
	v_cmpx_ne_u32_e32 0x7f, v4
	s_cbranch_execz .LBB285_753
; %bb.750:                              ;   in Loop: Header=BB285_11 Depth=1
	v_and_b32_e32 v15, 7, v2
	v_lshrrev_b32_e32 v3, 3, v4
	s_mov_b32 s21, exec_lo
	v_cmpx_gt_u32_e32 8, v4
; %bb.751:                              ;   in Loop: Header=BB285_11 Depth=1
	s_delay_alu instid0(VALU_DEP_3) | instskip(NEXT) | instid1(VALU_DEP_1)
	v_clz_i32_u32_e32 v3, v15
	v_min_u32_e32 v3, 32, v3
	s_delay_alu instid0(VALU_DEP_1) | instskip(SKIP_1) | instid1(VALU_DEP_2)
	v_subrev_nc_u32_e32 v4, 28, v3
	v_sub_nc_u32_e32 v3, 29, v3
	v_lshlrev_b64 v[4:5], v4, v[15:16]
	s_delay_alu instid0(VALU_DEP_1)
	v_and_b32_e32 v15, 7, v4
; %bb.752:                              ;   in Loop: Header=BB285_11 Depth=1
	s_or_b32 exec_lo, exec_lo, s21
	v_lshlrev_b32_e32 v4, 24, v2
	s_delay_alu instid0(VALU_DEP_2) | instskip(SKIP_1) | instid1(VALU_DEP_3)
	v_lshlrev_b32_e32 v5, 20, v15
	v_lshl_add_u32 v3, v3, 23, 0x3c000000
	v_and_b32_e32 v4, 0x80000000, v4
	s_delay_alu instid0(VALU_DEP_1)
	v_or3_b32 v15, v5, v4, v3
	scratch_store_b64 off, v[15:16], s32 offset:872 ; 8-byte Folded Spill
.LBB285_753:                            ;   in Loop: Header=BB285_11 Depth=1
	s_or_b32 exec_lo, exec_lo, s20
.LBB285_754:                            ;   in Loop: Header=BB285_11 Depth=1
	s_delay_alu instid0(SALU_CYCLE_1)
	s_or_b32 exec_lo, exec_lo, s19
.LBB285_755:                            ;   in Loop: Header=BB285_11 Depth=1
	s_delay_alu instid0(SALU_CYCLE_1) | instskip(SKIP_2) | instid1(VALU_DEP_1)
	s_or_b32 exec_lo, exec_lo, s8
	v_lshrrev_b16 v3, 8, v2
	s_mov_b32 s19, exec_lo
	v_cmpx_ne_u16_e32 0, v3
	s_cbranch_execz .LBB285_763
; %bb.756:                              ;   in Loop: Header=BB285_11 Depth=1
	v_dual_mov_b32 v0, s2 :: v_dual_mov_b32 v1, s3
	s_mov_b32 s20, exec_lo
	scratch_store_b64 off, v[0:1], s32 offset:864 ; 8-byte Folded Spill
	v_cmpx_ne_u16_e32 0x80, v3
	s_cbranch_execz .LBB285_762
; %bb.757:                              ;   in Loop: Header=BB285_11 Depth=1
	s_mov_b32 s8, s2
	s_delay_alu instid0(SALU_CYCLE_1) | instskip(SKIP_2) | instid1(VALU_DEP_2)
	v_dual_mov_b32 v0, s8 :: v_dual_and_b32 v3, 0xffff, v3
	v_mov_b32_e32 v1, s9
	s_mov_b32 s8, exec_lo
	v_and_b32_e32 v4, 0x7f, v3
	scratch_store_b64 off, v[0:1], s32 offset:864 ; 8-byte Folded Spill
	v_cmpx_ne_u32_e32 0x7f, v4
	s_cbranch_execz .LBB285_761
; %bb.758:                              ;   in Loop: Header=BB285_11 Depth=1
	v_and_b32_e32 v15, 7, v3
	v_lshrrev_b32_e32 v3, 3, v4
	s_mov_b32 s21, exec_lo
	v_cmpx_gt_u32_e32 8, v4
; %bb.759:                              ;   in Loop: Header=BB285_11 Depth=1
	s_delay_alu instid0(VALU_DEP_3) | instskip(NEXT) | instid1(VALU_DEP_1)
	v_clz_i32_u32_e32 v3, v15
	v_min_u32_e32 v3, 32, v3
	s_delay_alu instid0(VALU_DEP_1) | instskip(SKIP_1) | instid1(VALU_DEP_2)
	v_subrev_nc_u32_e32 v4, 28, v3
	v_sub_nc_u32_e32 v3, 29, v3
	v_lshlrev_b64 v[4:5], v4, v[15:16]
	s_delay_alu instid0(VALU_DEP_1)
	v_and_b32_e32 v15, 7, v4
; %bb.760:                              ;   in Loop: Header=BB285_11 Depth=1
	s_or_b32 exec_lo, exec_lo, s21
	v_lshlrev_b32_e32 v4, 16, v2
	s_delay_alu instid0(VALU_DEP_2) | instskip(SKIP_1) | instid1(VALU_DEP_3)
	v_dual_mov_b32 v0, v16 :: v_dual_lshlrev_b32 v5, 20, v15
	v_lshl_add_u32 v3, v3, 23, 0x3c000000
	v_and_b32_e32 v4, 0x80000000, v4
	s_delay_alu instid0(VALU_DEP_1)
	v_or3_b32 v1, v5, v4, v3
	scratch_store_b64 off, v[0:1], s32 offset:864 ; 8-byte Folded Spill
.LBB285_761:                            ;   in Loop: Header=BB285_11 Depth=1
	s_or_b32 exec_lo, exec_lo, s8
.LBB285_762:                            ;   in Loop: Header=BB285_11 Depth=1
	s_delay_alu instid0(SALU_CYCLE_1)
	s_or_b32 exec_lo, exec_lo, s20
.LBB285_763:                            ;   in Loop: Header=BB285_11 Depth=1
	s_delay_alu instid0(SALU_CYCLE_1) | instskip(SKIP_4) | instid1(VALU_DEP_3)
	s_or_b32 exec_lo, exec_lo, s19
	v_lshrrev_b32_e32 v3, 16, v2
	v_mov_b32_e32 v0, 0
	v_mov_b32_e32 v1, 0
	s_mov_b32 s8, exec_lo
	v_and_b32_e32 v4, 0xff, v3
	s_clause 0x1
	scratch_store_b64 off, v[0:1], s32 offset:1048
	scratch_store_b64 off, v[0:1], s32 offset:880
	v_cmpx_ne_u16_e32 0, v4
	s_cbranch_execz .LBB285_771
; %bb.764:                              ;   in Loop: Header=BB285_11 Depth=1
	v_bfrev_b32_e32 v0, 1
	v_mov_b32_e32 v1, 0
	s_mov_b32 s19, exec_lo
	scratch_store_b64 off, v[0:1], s32 offset:880 ; 8-byte Folded Spill
	v_cmpx_ne_u16_e32 0x80, v4
	s_cbranch_execz .LBB285_770
; %bb.765:                              ;   in Loop: Header=BB285_11 Depth=1
	v_mov_b32_e32 v0, 0x7f800001
	v_bfe_u32 v5, v2, 16, 7
	v_mov_b32_e32 v1, 0
	s_mov_b32 s20, exec_lo
	scratch_store_b64 off, v[0:1], s32 offset:880 ; 8-byte Folded Spill
	v_cmpx_ne_u32_e32 0x7f, v5
	s_cbranch_execz .LBB285_769
; %bb.766:                              ;   in Loop: Header=BB285_11 Depth=1
	v_and_b32_e32 v15, 7, v3
	v_lshrrev_b32_e32 v4, 3, v5
	s_mov_b32 s21, exec_lo
	v_cmpx_gt_u32_e32 8, v5
; %bb.767:                              ;   in Loop: Header=BB285_11 Depth=1
	s_delay_alu instid0(VALU_DEP_3) | instskip(NEXT) | instid1(VALU_DEP_1)
	v_clz_i32_u32_e32 v4, v15
	v_min_u32_e32 v4, 32, v4
	s_delay_alu instid0(VALU_DEP_1) | instskip(SKIP_1) | instid1(VALU_DEP_2)
	v_subrev_nc_u32_e32 v5, 28, v4
	v_sub_nc_u32_e32 v4, 29, v4
	v_lshlrev_b64 v[5:6], v5, v[15:16]
	s_delay_alu instid0(VALU_DEP_1)
	v_and_b32_e32 v15, 7, v5
; %bb.768:                              ;   in Loop: Header=BB285_11 Depth=1
	s_or_b32 exec_lo, exec_lo, s21
	v_lshlrev_b32_e32 v3, 24, v3
	s_delay_alu instid0(VALU_DEP_2) | instskip(SKIP_1) | instid1(VALU_DEP_3)
	v_lshlrev_b32_e32 v5, 20, v15
	v_lshl_add_u32 v4, v4, 23, 0x3c000000
	v_and_b32_e32 v3, 0x80000000, v3
	s_delay_alu instid0(VALU_DEP_1)
	v_or3_b32 v15, v5, v3, v4
	scratch_store_b64 off, v[15:16], s32 offset:880 ; 8-byte Folded Spill
.LBB285_769:                            ;   in Loop: Header=BB285_11 Depth=1
	s_or_b32 exec_lo, exec_lo, s20
.LBB285_770:                            ;   in Loop: Header=BB285_11 Depth=1
	s_delay_alu instid0(SALU_CYCLE_1)
	s_or_b32 exec_lo, exec_lo, s19
.LBB285_771:                            ;   in Loop: Header=BB285_11 Depth=1
	s_delay_alu instid0(SALU_CYCLE_1) | instskip(NEXT) | instid1(SALU_CYCLE_1)
	s_or_b32 exec_lo, exec_lo, s8
	s_mov_b32 s19, exec_lo
	v_cmpx_lt_u32_e32 0xffffff, v2
	s_cbranch_execz .LBB285_779
; %bb.772:                              ;   in Loop: Header=BB285_11 Depth=1
	v_lshrrev_b32_e32 v3, 24, v2
	v_dual_mov_b32 v0, s2 :: v_dual_mov_b32 v1, s3
	s_mov_b32 s20, exec_lo
	scratch_store_b64 off, v[0:1], s32 offset:1048 ; 8-byte Folded Spill
	v_cmpx_ne_u32_e32 0x80, v3
	s_cbranch_execz .LBB285_778
; %bb.773:                              ;   in Loop: Header=BB285_11 Depth=1
	s_mov_b32 s8, s2
	v_bfe_u32 v4, v2, 24, 7
	v_dual_mov_b32 v0, s8 :: v_dual_mov_b32 v1, s9
	s_mov_b32 s8, exec_lo
	s_delay_alu instid0(VALU_DEP_2)
	v_cmpx_ne_u32_e32 0x7f, v4
	s_cbranch_execz .LBB285_777
; %bb.774:                              ;   in Loop: Header=BB285_11 Depth=1
	v_and_b32_e32 v15, 7, v3
	v_lshrrev_b32_e32 v2, 3, v4
	s_mov_b32 s21, exec_lo
	v_cmpx_gt_u32_e32 8, v4
; %bb.775:                              ;   in Loop: Header=BB285_11 Depth=1
	s_delay_alu instid0(VALU_DEP_3) | instskip(NEXT) | instid1(VALU_DEP_1)
	v_clz_i32_u32_e32 v2, v15
	v_min_u32_e32 v2, 32, v2
	s_delay_alu instid0(VALU_DEP_1) | instskip(SKIP_1) | instid1(VALU_DEP_2)
	v_subrev_nc_u32_e32 v4, 28, v2
	v_sub_nc_u32_e32 v2, 29, v2
	v_lshlrev_b64 v[4:5], v4, v[15:16]
	s_delay_alu instid0(VALU_DEP_1)
	v_and_b32_e32 v15, 7, v4
; %bb.776:                              ;   in Loop: Header=BB285_11 Depth=1
	s_or_b32 exec_lo, exec_lo, s21
	v_dual_mov_b32 v0, v16 :: v_dual_lshlrev_b32 v3, 24, v3
	s_delay_alu instid0(VALU_DEP_2) | instskip(SKIP_1) | instid1(VALU_DEP_3)
	v_lshlrev_b32_e32 v4, 20, v15
	v_lshl_add_u32 v2, v2, 23, 0x3c000000
	v_and_b32_e32 v3, 0x80000000, v3
	s_delay_alu instid0(VALU_DEP_1)
	v_or3_b32 v1, v4, v3, v2
.LBB285_777:                            ;   in Loop: Header=BB285_11 Depth=1
	s_or_b32 exec_lo, exec_lo, s8
	scratch_store_b64 off, v[0:1], s32 offset:1048 ; 8-byte Folded Spill
.LBB285_778:                            ;   in Loop: Header=BB285_11 Depth=1
	s_or_b32 exec_lo, exec_lo, s20
.LBB285_779:                            ;   in Loop: Header=BB285_11 Depth=1
	s_delay_alu instid0(SALU_CYCLE_1)
	s_or_b32 exec_lo, exec_lo, s19
	flat_load_b32 v2, v[154:155] offset:3072
	v_mov_b32_e32 v0, 0
	v_mov_b32_e32 v1, 0
	s_mov_b32 s8, exec_lo
	s_clause 0x1
	scratch_store_b64 off, v[0:1], s32 offset:888
	scratch_store_b64 off, v[0:1], s32 offset:896
	s_waitcnt vmcnt(0) lgkmcnt(0)
	v_and_b32_e32 v3, 0xff, v2
	s_delay_alu instid0(VALU_DEP_1)
	v_cmpx_ne_u16_e32 0, v3
	s_cbranch_execz .LBB285_787
; %bb.780:                              ;   in Loop: Header=BB285_11 Depth=1
	v_bfrev_b32_e32 v0, 1
	v_mov_b32_e32 v1, 0
	s_mov_b32 s19, exec_lo
	scratch_store_b64 off, v[0:1], s32 offset:896 ; 8-byte Folded Spill
	v_cmpx_ne_u16_e32 0x80, v3
	s_cbranch_execz .LBB285_786
; %bb.781:                              ;   in Loop: Header=BB285_11 Depth=1
	v_mov_b32_e32 v0, 0x7f800001
	v_dual_mov_b32 v1, 0 :: v_dual_and_b32 v4, 0x7f, v2
	s_mov_b32 s20, exec_lo
	scratch_store_b64 off, v[0:1], s32 offset:896 ; 8-byte Folded Spill
	v_cmpx_ne_u32_e32 0x7f, v4
	s_cbranch_execz .LBB285_785
; %bb.782:                              ;   in Loop: Header=BB285_11 Depth=1
	v_and_b32_e32 v15, 7, v2
	v_lshrrev_b32_e32 v3, 3, v4
	s_mov_b32 s21, exec_lo
	v_cmpx_gt_u32_e32 8, v4
; %bb.783:                              ;   in Loop: Header=BB285_11 Depth=1
	s_delay_alu instid0(VALU_DEP_3) | instskip(NEXT) | instid1(VALU_DEP_1)
	v_clz_i32_u32_e32 v3, v15
	v_min_u32_e32 v3, 32, v3
	s_delay_alu instid0(VALU_DEP_1) | instskip(SKIP_1) | instid1(VALU_DEP_2)
	v_subrev_nc_u32_e32 v4, 28, v3
	v_sub_nc_u32_e32 v3, 29, v3
	v_lshlrev_b64 v[4:5], v4, v[15:16]
	s_delay_alu instid0(VALU_DEP_1)
	v_and_b32_e32 v15, 7, v4
; %bb.784:                              ;   in Loop: Header=BB285_11 Depth=1
	s_or_b32 exec_lo, exec_lo, s21
	v_lshlrev_b32_e32 v4, 24, v2
	s_delay_alu instid0(VALU_DEP_2) | instskip(SKIP_1) | instid1(VALU_DEP_3)
	v_lshlrev_b32_e32 v5, 20, v15
	v_lshl_add_u32 v3, v3, 23, 0x3c000000
	v_and_b32_e32 v4, 0x80000000, v4
	s_delay_alu instid0(VALU_DEP_1)
	v_or3_b32 v15, v5, v4, v3
	scratch_store_b64 off, v[15:16], s32 offset:896 ; 8-byte Folded Spill
.LBB285_785:                            ;   in Loop: Header=BB285_11 Depth=1
	s_or_b32 exec_lo, exec_lo, s20
.LBB285_786:                            ;   in Loop: Header=BB285_11 Depth=1
	s_delay_alu instid0(SALU_CYCLE_1)
	s_or_b32 exec_lo, exec_lo, s19
.LBB285_787:                            ;   in Loop: Header=BB285_11 Depth=1
	s_delay_alu instid0(SALU_CYCLE_1) | instskip(SKIP_2) | instid1(VALU_DEP_1)
	s_or_b32 exec_lo, exec_lo, s8
	v_lshrrev_b16 v3, 8, v2
	s_mov_b32 s19, exec_lo
	v_cmpx_ne_u16_e32 0, v3
	s_cbranch_execz .LBB285_795
; %bb.788:                              ;   in Loop: Header=BB285_11 Depth=1
	v_dual_mov_b32 v0, s2 :: v_dual_mov_b32 v1, s3
	s_mov_b32 s20, exec_lo
	scratch_store_b64 off, v[0:1], s32 offset:888 ; 8-byte Folded Spill
	v_cmpx_ne_u16_e32 0x80, v3
	s_cbranch_execz .LBB285_794
; %bb.789:                              ;   in Loop: Header=BB285_11 Depth=1
	s_mov_b32 s8, s2
	s_delay_alu instid0(SALU_CYCLE_1) | instskip(SKIP_2) | instid1(VALU_DEP_2)
	v_dual_mov_b32 v0, s8 :: v_dual_and_b32 v3, 0xffff, v3
	v_mov_b32_e32 v1, s9
	s_mov_b32 s8, exec_lo
	v_and_b32_e32 v4, 0x7f, v3
	scratch_store_b64 off, v[0:1], s32 offset:888 ; 8-byte Folded Spill
	v_cmpx_ne_u32_e32 0x7f, v4
	s_cbranch_execz .LBB285_793
; %bb.790:                              ;   in Loop: Header=BB285_11 Depth=1
	v_and_b32_e32 v15, 7, v3
	v_lshrrev_b32_e32 v3, 3, v4
	s_mov_b32 s21, exec_lo
	v_cmpx_gt_u32_e32 8, v4
; %bb.791:                              ;   in Loop: Header=BB285_11 Depth=1
	s_delay_alu instid0(VALU_DEP_3) | instskip(NEXT) | instid1(VALU_DEP_1)
	v_clz_i32_u32_e32 v3, v15
	v_min_u32_e32 v3, 32, v3
	s_delay_alu instid0(VALU_DEP_1) | instskip(SKIP_1) | instid1(VALU_DEP_2)
	v_subrev_nc_u32_e32 v4, 28, v3
	v_sub_nc_u32_e32 v3, 29, v3
	v_lshlrev_b64 v[4:5], v4, v[15:16]
	s_delay_alu instid0(VALU_DEP_1)
	v_and_b32_e32 v15, 7, v4
; %bb.792:                              ;   in Loop: Header=BB285_11 Depth=1
	s_or_b32 exec_lo, exec_lo, s21
	v_lshlrev_b32_e32 v4, 16, v2
	s_delay_alu instid0(VALU_DEP_2) | instskip(SKIP_1) | instid1(VALU_DEP_3)
	v_dual_mov_b32 v0, v16 :: v_dual_lshlrev_b32 v5, 20, v15
	v_lshl_add_u32 v3, v3, 23, 0x3c000000
	v_and_b32_e32 v4, 0x80000000, v4
	s_delay_alu instid0(VALU_DEP_1)
	v_or3_b32 v1, v5, v4, v3
	scratch_store_b64 off, v[0:1], s32 offset:888 ; 8-byte Folded Spill
.LBB285_793:                            ;   in Loop: Header=BB285_11 Depth=1
	s_or_b32 exec_lo, exec_lo, s8
.LBB285_794:                            ;   in Loop: Header=BB285_11 Depth=1
	s_delay_alu instid0(SALU_CYCLE_1)
	s_or_b32 exec_lo, exec_lo, s20
.LBB285_795:                            ;   in Loop: Header=BB285_11 Depth=1
	s_delay_alu instid0(SALU_CYCLE_1) | instskip(SKIP_4) | instid1(VALU_DEP_3)
	s_or_b32 exec_lo, exec_lo, s19
	v_lshrrev_b32_e32 v3, 16, v2
	v_mov_b32_e32 v0, 0
	v_mov_b32_e32 v1, 0
	s_mov_b32 s8, exec_lo
	v_and_b32_e32 v4, 0xff, v3
	s_clause 0x1
	scratch_store_b64 off, v[0:1], s32 offset:1056
	scratch_store_b64 off, v[0:1], s32 offset:904
	v_cmpx_ne_u16_e32 0, v4
	s_cbranch_execz .LBB285_803
; %bb.796:                              ;   in Loop: Header=BB285_11 Depth=1
	v_bfrev_b32_e32 v0, 1
	v_mov_b32_e32 v1, 0
	s_mov_b32 s19, exec_lo
	scratch_store_b64 off, v[0:1], s32 offset:904 ; 8-byte Folded Spill
	v_cmpx_ne_u16_e32 0x80, v4
	s_cbranch_execz .LBB285_802
; %bb.797:                              ;   in Loop: Header=BB285_11 Depth=1
	v_mov_b32_e32 v0, 0x7f800001
	v_bfe_u32 v5, v2, 16, 7
	v_mov_b32_e32 v1, 0
	s_mov_b32 s20, exec_lo
	scratch_store_b64 off, v[0:1], s32 offset:904 ; 8-byte Folded Spill
	v_cmpx_ne_u32_e32 0x7f, v5
	s_cbranch_execz .LBB285_801
; %bb.798:                              ;   in Loop: Header=BB285_11 Depth=1
	v_and_b32_e32 v15, 7, v3
	v_lshrrev_b32_e32 v4, 3, v5
	s_mov_b32 s21, exec_lo
	v_cmpx_gt_u32_e32 8, v5
; %bb.799:                              ;   in Loop: Header=BB285_11 Depth=1
	s_delay_alu instid0(VALU_DEP_3) | instskip(NEXT) | instid1(VALU_DEP_1)
	v_clz_i32_u32_e32 v4, v15
	v_min_u32_e32 v4, 32, v4
	s_delay_alu instid0(VALU_DEP_1) | instskip(SKIP_1) | instid1(VALU_DEP_2)
	v_subrev_nc_u32_e32 v5, 28, v4
	v_sub_nc_u32_e32 v4, 29, v4
	v_lshlrev_b64 v[5:6], v5, v[15:16]
	s_delay_alu instid0(VALU_DEP_1)
	v_and_b32_e32 v15, 7, v5
; %bb.800:                              ;   in Loop: Header=BB285_11 Depth=1
	s_or_b32 exec_lo, exec_lo, s21
	v_lshlrev_b32_e32 v3, 24, v3
	s_delay_alu instid0(VALU_DEP_2) | instskip(SKIP_1) | instid1(VALU_DEP_3)
	v_lshlrev_b32_e32 v5, 20, v15
	v_lshl_add_u32 v4, v4, 23, 0x3c000000
	v_and_b32_e32 v3, 0x80000000, v3
	s_delay_alu instid0(VALU_DEP_1)
	v_or3_b32 v15, v5, v3, v4
	scratch_store_b64 off, v[15:16], s32 offset:904 ; 8-byte Folded Spill
.LBB285_801:                            ;   in Loop: Header=BB285_11 Depth=1
	s_or_b32 exec_lo, exec_lo, s20
.LBB285_802:                            ;   in Loop: Header=BB285_11 Depth=1
	s_delay_alu instid0(SALU_CYCLE_1)
	s_or_b32 exec_lo, exec_lo, s19
.LBB285_803:                            ;   in Loop: Header=BB285_11 Depth=1
	s_delay_alu instid0(SALU_CYCLE_1) | instskip(NEXT) | instid1(SALU_CYCLE_1)
	s_or_b32 exec_lo, exec_lo, s8
	s_mov_b32 s19, exec_lo
	v_cmpx_lt_u32_e32 0xffffff, v2
	s_cbranch_execz .LBB285_811
; %bb.804:                              ;   in Loop: Header=BB285_11 Depth=1
	v_lshrrev_b32_e32 v3, 24, v2
	v_dual_mov_b32 v0, s2 :: v_dual_mov_b32 v1, s3
	s_mov_b32 s20, exec_lo
	scratch_store_b64 off, v[0:1], s32 offset:1056 ; 8-byte Folded Spill
	v_cmpx_ne_u32_e32 0x80, v3
	s_cbranch_execz .LBB285_810
; %bb.805:                              ;   in Loop: Header=BB285_11 Depth=1
	s_mov_b32 s8, s2
	v_bfe_u32 v4, v2, 24, 7
	v_dual_mov_b32 v0, s8 :: v_dual_mov_b32 v1, s9
	s_mov_b32 s8, exec_lo
	s_delay_alu instid0(VALU_DEP_2)
	v_cmpx_ne_u32_e32 0x7f, v4
	s_cbranch_execz .LBB285_809
; %bb.806:                              ;   in Loop: Header=BB285_11 Depth=1
	v_and_b32_e32 v15, 7, v3
	v_lshrrev_b32_e32 v2, 3, v4
	s_mov_b32 s21, exec_lo
	v_cmpx_gt_u32_e32 8, v4
; %bb.807:                              ;   in Loop: Header=BB285_11 Depth=1
	s_delay_alu instid0(VALU_DEP_3) | instskip(NEXT) | instid1(VALU_DEP_1)
	v_clz_i32_u32_e32 v2, v15
	v_min_u32_e32 v2, 32, v2
	s_delay_alu instid0(VALU_DEP_1) | instskip(SKIP_1) | instid1(VALU_DEP_2)
	v_subrev_nc_u32_e32 v4, 28, v2
	v_sub_nc_u32_e32 v2, 29, v2
	v_lshlrev_b64 v[4:5], v4, v[15:16]
	s_delay_alu instid0(VALU_DEP_1)
	v_and_b32_e32 v15, 7, v4
; %bb.808:                              ;   in Loop: Header=BB285_11 Depth=1
	s_or_b32 exec_lo, exec_lo, s21
	v_dual_mov_b32 v0, v16 :: v_dual_lshlrev_b32 v3, 24, v3
	s_delay_alu instid0(VALU_DEP_2) | instskip(SKIP_1) | instid1(VALU_DEP_3)
	v_lshlrev_b32_e32 v4, 20, v15
	v_lshl_add_u32 v2, v2, 23, 0x3c000000
	v_and_b32_e32 v3, 0x80000000, v3
	s_delay_alu instid0(VALU_DEP_1)
	v_or3_b32 v1, v4, v3, v2
.LBB285_809:                            ;   in Loop: Header=BB285_11 Depth=1
	s_or_b32 exec_lo, exec_lo, s8
	scratch_store_b64 off, v[0:1], s32 offset:1056 ; 8-byte Folded Spill
.LBB285_810:                            ;   in Loop: Header=BB285_11 Depth=1
	s_or_b32 exec_lo, exec_lo, s20
.LBB285_811:                            ;   in Loop: Header=BB285_11 Depth=1
	s_delay_alu instid0(SALU_CYCLE_1)
	s_or_b32 exec_lo, exec_lo, s19
	flat_load_b32 v2, v[154:155] offset:3076
	v_mov_b32_e32 v0, 0
	v_mov_b32_e32 v1, 0
	s_mov_b32 s8, exec_lo
	s_clause 0x1
	scratch_store_b64 off, v[0:1], s32 offset:912
	scratch_store_b64 off, v[0:1], s32 offset:920
	s_waitcnt vmcnt(0) lgkmcnt(0)
	v_and_b32_e32 v3, 0xff, v2
	s_delay_alu instid0(VALU_DEP_1)
	v_cmpx_ne_u16_e32 0, v3
	s_cbranch_execz .LBB285_819
; %bb.812:                              ;   in Loop: Header=BB285_11 Depth=1
	v_bfrev_b32_e32 v0, 1
	v_mov_b32_e32 v1, 0
	s_mov_b32 s19, exec_lo
	scratch_store_b64 off, v[0:1], s32 offset:920 ; 8-byte Folded Spill
	v_cmpx_ne_u16_e32 0x80, v3
	s_cbranch_execz .LBB285_818
; %bb.813:                              ;   in Loop: Header=BB285_11 Depth=1
	v_mov_b32_e32 v0, 0x7f800001
	v_dual_mov_b32 v1, 0 :: v_dual_and_b32 v4, 0x7f, v2
	s_mov_b32 s20, exec_lo
	scratch_store_b64 off, v[0:1], s32 offset:920 ; 8-byte Folded Spill
	v_cmpx_ne_u32_e32 0x7f, v4
	s_cbranch_execz .LBB285_817
; %bb.814:                              ;   in Loop: Header=BB285_11 Depth=1
	v_and_b32_e32 v15, 7, v2
	v_lshrrev_b32_e32 v3, 3, v4
	s_mov_b32 s21, exec_lo
	v_cmpx_gt_u32_e32 8, v4
; %bb.815:                              ;   in Loop: Header=BB285_11 Depth=1
	s_delay_alu instid0(VALU_DEP_3) | instskip(NEXT) | instid1(VALU_DEP_1)
	v_clz_i32_u32_e32 v3, v15
	v_min_u32_e32 v3, 32, v3
	s_delay_alu instid0(VALU_DEP_1) | instskip(SKIP_1) | instid1(VALU_DEP_2)
	v_subrev_nc_u32_e32 v4, 28, v3
	v_sub_nc_u32_e32 v3, 29, v3
	v_lshlrev_b64 v[4:5], v4, v[15:16]
	s_delay_alu instid0(VALU_DEP_1)
	v_and_b32_e32 v15, 7, v4
; %bb.816:                              ;   in Loop: Header=BB285_11 Depth=1
	s_or_b32 exec_lo, exec_lo, s21
	v_lshlrev_b32_e32 v4, 24, v2
	s_delay_alu instid0(VALU_DEP_2) | instskip(SKIP_1) | instid1(VALU_DEP_3)
	v_lshlrev_b32_e32 v5, 20, v15
	v_lshl_add_u32 v3, v3, 23, 0x3c000000
	v_and_b32_e32 v4, 0x80000000, v4
	s_delay_alu instid0(VALU_DEP_1)
	v_or3_b32 v15, v5, v4, v3
	scratch_store_b64 off, v[15:16], s32 offset:920 ; 8-byte Folded Spill
.LBB285_817:                            ;   in Loop: Header=BB285_11 Depth=1
	s_or_b32 exec_lo, exec_lo, s20
.LBB285_818:                            ;   in Loop: Header=BB285_11 Depth=1
	s_delay_alu instid0(SALU_CYCLE_1)
	s_or_b32 exec_lo, exec_lo, s19
.LBB285_819:                            ;   in Loop: Header=BB285_11 Depth=1
	s_delay_alu instid0(SALU_CYCLE_1) | instskip(SKIP_2) | instid1(VALU_DEP_1)
	s_or_b32 exec_lo, exec_lo, s8
	v_lshrrev_b16 v3, 8, v2
	s_mov_b32 s19, exec_lo
	v_cmpx_ne_u16_e32 0, v3
	s_cbranch_execz .LBB285_827
; %bb.820:                              ;   in Loop: Header=BB285_11 Depth=1
	v_dual_mov_b32 v0, s2 :: v_dual_mov_b32 v1, s3
	s_mov_b32 s20, exec_lo
	scratch_store_b64 off, v[0:1], s32 offset:912 ; 8-byte Folded Spill
	v_cmpx_ne_u16_e32 0x80, v3
	s_cbranch_execz .LBB285_826
; %bb.821:                              ;   in Loop: Header=BB285_11 Depth=1
	s_mov_b32 s8, s2
	s_delay_alu instid0(SALU_CYCLE_1) | instskip(SKIP_2) | instid1(VALU_DEP_2)
	v_dual_mov_b32 v0, s8 :: v_dual_and_b32 v3, 0xffff, v3
	v_mov_b32_e32 v1, s9
	s_mov_b32 s8, exec_lo
	v_and_b32_e32 v4, 0x7f, v3
	scratch_store_b64 off, v[0:1], s32 offset:912 ; 8-byte Folded Spill
	v_cmpx_ne_u32_e32 0x7f, v4
	s_cbranch_execz .LBB285_825
; %bb.822:                              ;   in Loop: Header=BB285_11 Depth=1
	v_and_b32_e32 v15, 7, v3
	v_lshrrev_b32_e32 v3, 3, v4
	s_mov_b32 s21, exec_lo
	v_cmpx_gt_u32_e32 8, v4
; %bb.823:                              ;   in Loop: Header=BB285_11 Depth=1
	s_delay_alu instid0(VALU_DEP_3) | instskip(NEXT) | instid1(VALU_DEP_1)
	v_clz_i32_u32_e32 v3, v15
	v_min_u32_e32 v3, 32, v3
	s_delay_alu instid0(VALU_DEP_1) | instskip(SKIP_1) | instid1(VALU_DEP_2)
	v_subrev_nc_u32_e32 v4, 28, v3
	v_sub_nc_u32_e32 v3, 29, v3
	v_lshlrev_b64 v[4:5], v4, v[15:16]
	s_delay_alu instid0(VALU_DEP_1)
	v_and_b32_e32 v15, 7, v4
; %bb.824:                              ;   in Loop: Header=BB285_11 Depth=1
	s_or_b32 exec_lo, exec_lo, s21
	v_lshlrev_b32_e32 v4, 16, v2
	s_delay_alu instid0(VALU_DEP_2) | instskip(SKIP_1) | instid1(VALU_DEP_3)
	v_dual_mov_b32 v0, v16 :: v_dual_lshlrev_b32 v5, 20, v15
	v_lshl_add_u32 v3, v3, 23, 0x3c000000
	v_and_b32_e32 v4, 0x80000000, v4
	s_delay_alu instid0(VALU_DEP_1)
	v_or3_b32 v1, v5, v4, v3
	scratch_store_b64 off, v[0:1], s32 offset:912 ; 8-byte Folded Spill
.LBB285_825:                            ;   in Loop: Header=BB285_11 Depth=1
	s_or_b32 exec_lo, exec_lo, s8
.LBB285_826:                            ;   in Loop: Header=BB285_11 Depth=1
	s_delay_alu instid0(SALU_CYCLE_1)
	s_or_b32 exec_lo, exec_lo, s20
.LBB285_827:                            ;   in Loop: Header=BB285_11 Depth=1
	s_delay_alu instid0(SALU_CYCLE_1) | instskip(SKIP_4) | instid1(VALU_DEP_3)
	s_or_b32 exec_lo, exec_lo, s19
	v_lshrrev_b32_e32 v3, 16, v2
	v_mov_b32_e32 v0, 0
	v_mov_b32_e32 v1, 0
	s_mov_b32 s8, exec_lo
	v_and_b32_e32 v4, 0xff, v3
	s_clause 0x1
	scratch_store_b64 off, v[0:1], s32 offset:1064
	scratch_store_b64 off, v[0:1], s32 offset:928
	v_cmpx_ne_u16_e32 0, v4
	s_cbranch_execz .LBB285_835
; %bb.828:                              ;   in Loop: Header=BB285_11 Depth=1
	v_bfrev_b32_e32 v0, 1
	v_mov_b32_e32 v1, 0
	s_mov_b32 s19, exec_lo
	scratch_store_b64 off, v[0:1], s32 offset:928 ; 8-byte Folded Spill
	v_cmpx_ne_u16_e32 0x80, v4
	s_cbranch_execz .LBB285_834
; %bb.829:                              ;   in Loop: Header=BB285_11 Depth=1
	v_mov_b32_e32 v0, 0x7f800001
	v_bfe_u32 v5, v2, 16, 7
	v_mov_b32_e32 v1, 0
	s_mov_b32 s20, exec_lo
	scratch_store_b64 off, v[0:1], s32 offset:928 ; 8-byte Folded Spill
	v_cmpx_ne_u32_e32 0x7f, v5
	s_cbranch_execz .LBB285_833
; %bb.830:                              ;   in Loop: Header=BB285_11 Depth=1
	v_and_b32_e32 v15, 7, v3
	v_lshrrev_b32_e32 v4, 3, v5
	s_mov_b32 s21, exec_lo
	v_cmpx_gt_u32_e32 8, v5
; %bb.831:                              ;   in Loop: Header=BB285_11 Depth=1
	s_delay_alu instid0(VALU_DEP_3) | instskip(NEXT) | instid1(VALU_DEP_1)
	v_clz_i32_u32_e32 v4, v15
	v_min_u32_e32 v4, 32, v4
	s_delay_alu instid0(VALU_DEP_1) | instskip(SKIP_1) | instid1(VALU_DEP_2)
	v_subrev_nc_u32_e32 v5, 28, v4
	v_sub_nc_u32_e32 v4, 29, v4
	v_lshlrev_b64 v[5:6], v5, v[15:16]
	s_delay_alu instid0(VALU_DEP_1)
	v_and_b32_e32 v15, 7, v5
; %bb.832:                              ;   in Loop: Header=BB285_11 Depth=1
	s_or_b32 exec_lo, exec_lo, s21
	v_lshlrev_b32_e32 v3, 24, v3
	s_delay_alu instid0(VALU_DEP_2) | instskip(SKIP_1) | instid1(VALU_DEP_3)
	v_lshlrev_b32_e32 v5, 20, v15
	v_lshl_add_u32 v4, v4, 23, 0x3c000000
	v_and_b32_e32 v3, 0x80000000, v3
	s_delay_alu instid0(VALU_DEP_1)
	v_or3_b32 v15, v5, v3, v4
	scratch_store_b64 off, v[15:16], s32 offset:928 ; 8-byte Folded Spill
.LBB285_833:                            ;   in Loop: Header=BB285_11 Depth=1
	s_or_b32 exec_lo, exec_lo, s20
.LBB285_834:                            ;   in Loop: Header=BB285_11 Depth=1
	s_delay_alu instid0(SALU_CYCLE_1)
	s_or_b32 exec_lo, exec_lo, s19
.LBB285_835:                            ;   in Loop: Header=BB285_11 Depth=1
	s_delay_alu instid0(SALU_CYCLE_1) | instskip(NEXT) | instid1(SALU_CYCLE_1)
	s_or_b32 exec_lo, exec_lo, s8
	s_mov_b32 s19, exec_lo
	v_cmpx_lt_u32_e32 0xffffff, v2
	s_cbranch_execz .LBB285_843
; %bb.836:                              ;   in Loop: Header=BB285_11 Depth=1
	v_lshrrev_b32_e32 v3, 24, v2
	v_dual_mov_b32 v0, s2 :: v_dual_mov_b32 v1, s3
	s_mov_b32 s20, exec_lo
	scratch_store_b64 off, v[0:1], s32 offset:1064 ; 8-byte Folded Spill
	v_cmpx_ne_u32_e32 0x80, v3
	s_cbranch_execz .LBB285_842
; %bb.837:                              ;   in Loop: Header=BB285_11 Depth=1
	s_mov_b32 s8, s2
	v_bfe_u32 v4, v2, 24, 7
	v_dual_mov_b32 v0, s8 :: v_dual_mov_b32 v1, s9
	s_mov_b32 s8, exec_lo
	s_delay_alu instid0(VALU_DEP_2)
	v_cmpx_ne_u32_e32 0x7f, v4
	s_cbranch_execz .LBB285_841
; %bb.838:                              ;   in Loop: Header=BB285_11 Depth=1
	v_and_b32_e32 v15, 7, v3
	v_lshrrev_b32_e32 v2, 3, v4
	s_mov_b32 s21, exec_lo
	v_cmpx_gt_u32_e32 8, v4
; %bb.839:                              ;   in Loop: Header=BB285_11 Depth=1
	s_delay_alu instid0(VALU_DEP_3) | instskip(NEXT) | instid1(VALU_DEP_1)
	v_clz_i32_u32_e32 v2, v15
	v_min_u32_e32 v2, 32, v2
	s_delay_alu instid0(VALU_DEP_1) | instskip(SKIP_1) | instid1(VALU_DEP_2)
	v_subrev_nc_u32_e32 v4, 28, v2
	v_sub_nc_u32_e32 v2, 29, v2
	v_lshlrev_b64 v[4:5], v4, v[15:16]
	s_delay_alu instid0(VALU_DEP_1)
	v_and_b32_e32 v15, 7, v4
; %bb.840:                              ;   in Loop: Header=BB285_11 Depth=1
	s_or_b32 exec_lo, exec_lo, s21
	v_dual_mov_b32 v0, v16 :: v_dual_lshlrev_b32 v3, 24, v3
	s_delay_alu instid0(VALU_DEP_2) | instskip(SKIP_1) | instid1(VALU_DEP_3)
	v_lshlrev_b32_e32 v4, 20, v15
	v_lshl_add_u32 v2, v2, 23, 0x3c000000
	v_and_b32_e32 v3, 0x80000000, v3
	s_delay_alu instid0(VALU_DEP_1)
	v_or3_b32 v1, v4, v3, v2
.LBB285_841:                            ;   in Loop: Header=BB285_11 Depth=1
	s_or_b32 exec_lo, exec_lo, s8
	scratch_store_b64 off, v[0:1], s32 offset:1064 ; 8-byte Folded Spill
.LBB285_842:                            ;   in Loop: Header=BB285_11 Depth=1
	s_or_b32 exec_lo, exec_lo, s20
.LBB285_843:                            ;   in Loop: Header=BB285_11 Depth=1
	s_delay_alu instid0(SALU_CYCLE_1)
	s_or_b32 exec_lo, exec_lo, s19
	flat_load_b32 v2, v[154:155] offset:3080
	v_mov_b32_e32 v0, 0
	v_mov_b32_e32 v1, 0
	s_mov_b32 s8, exec_lo
	s_clause 0x1
	scratch_store_b64 off, v[0:1], s32 offset:936
	scratch_store_b64 off, v[0:1], s32 offset:944
	s_waitcnt vmcnt(0) lgkmcnt(0)
	v_and_b32_e32 v3, 0xff, v2
	s_delay_alu instid0(VALU_DEP_1)
	v_cmpx_ne_u16_e32 0, v3
	s_cbranch_execz .LBB285_851
; %bb.844:                              ;   in Loop: Header=BB285_11 Depth=1
	v_bfrev_b32_e32 v0, 1
	v_mov_b32_e32 v1, 0
	s_mov_b32 s19, exec_lo
	scratch_store_b64 off, v[0:1], s32 offset:944 ; 8-byte Folded Spill
	v_cmpx_ne_u16_e32 0x80, v3
	s_cbranch_execz .LBB285_850
; %bb.845:                              ;   in Loop: Header=BB285_11 Depth=1
	v_mov_b32_e32 v0, 0x7f800001
	v_dual_mov_b32 v1, 0 :: v_dual_and_b32 v4, 0x7f, v2
	s_mov_b32 s20, exec_lo
	scratch_store_b64 off, v[0:1], s32 offset:944 ; 8-byte Folded Spill
	v_cmpx_ne_u32_e32 0x7f, v4
	s_cbranch_execz .LBB285_849
; %bb.846:                              ;   in Loop: Header=BB285_11 Depth=1
	v_and_b32_e32 v15, 7, v2
	v_lshrrev_b32_e32 v3, 3, v4
	s_mov_b32 s21, exec_lo
	v_cmpx_gt_u32_e32 8, v4
; %bb.847:                              ;   in Loop: Header=BB285_11 Depth=1
	s_delay_alu instid0(VALU_DEP_3) | instskip(NEXT) | instid1(VALU_DEP_1)
	v_clz_i32_u32_e32 v3, v15
	v_min_u32_e32 v3, 32, v3
	s_delay_alu instid0(VALU_DEP_1) | instskip(SKIP_1) | instid1(VALU_DEP_2)
	v_subrev_nc_u32_e32 v4, 28, v3
	v_sub_nc_u32_e32 v3, 29, v3
	v_lshlrev_b64 v[4:5], v4, v[15:16]
	s_delay_alu instid0(VALU_DEP_1)
	v_and_b32_e32 v15, 7, v4
; %bb.848:                              ;   in Loop: Header=BB285_11 Depth=1
	s_or_b32 exec_lo, exec_lo, s21
	v_lshlrev_b32_e32 v4, 24, v2
	s_delay_alu instid0(VALU_DEP_2) | instskip(SKIP_1) | instid1(VALU_DEP_3)
	v_lshlrev_b32_e32 v5, 20, v15
	v_lshl_add_u32 v3, v3, 23, 0x3c000000
	v_and_b32_e32 v4, 0x80000000, v4
	s_delay_alu instid0(VALU_DEP_1)
	v_or3_b32 v15, v5, v4, v3
	scratch_store_b64 off, v[15:16], s32 offset:944 ; 8-byte Folded Spill
.LBB285_849:                            ;   in Loop: Header=BB285_11 Depth=1
	s_or_b32 exec_lo, exec_lo, s20
.LBB285_850:                            ;   in Loop: Header=BB285_11 Depth=1
	s_delay_alu instid0(SALU_CYCLE_1)
	s_or_b32 exec_lo, exec_lo, s19
.LBB285_851:                            ;   in Loop: Header=BB285_11 Depth=1
	s_delay_alu instid0(SALU_CYCLE_1) | instskip(SKIP_2) | instid1(VALU_DEP_1)
	s_or_b32 exec_lo, exec_lo, s8
	v_lshrrev_b16 v3, 8, v2
	s_mov_b32 s19, exec_lo
	v_cmpx_ne_u16_e32 0, v3
	s_cbranch_execz .LBB285_859
; %bb.852:                              ;   in Loop: Header=BB285_11 Depth=1
	v_dual_mov_b32 v0, s2 :: v_dual_mov_b32 v1, s3
	s_mov_b32 s20, exec_lo
	scratch_store_b64 off, v[0:1], s32 offset:936 ; 8-byte Folded Spill
	v_cmpx_ne_u16_e32 0x80, v3
	s_cbranch_execz .LBB285_858
; %bb.853:                              ;   in Loop: Header=BB285_11 Depth=1
	s_mov_b32 s8, s2
	s_delay_alu instid0(SALU_CYCLE_1) | instskip(SKIP_2) | instid1(VALU_DEP_2)
	v_dual_mov_b32 v0, s8 :: v_dual_and_b32 v3, 0xffff, v3
	v_mov_b32_e32 v1, s9
	s_mov_b32 s8, exec_lo
	v_and_b32_e32 v4, 0x7f, v3
	scratch_store_b64 off, v[0:1], s32 offset:936 ; 8-byte Folded Spill
	v_cmpx_ne_u32_e32 0x7f, v4
	s_cbranch_execz .LBB285_857
; %bb.854:                              ;   in Loop: Header=BB285_11 Depth=1
	v_and_b32_e32 v15, 7, v3
	v_lshrrev_b32_e32 v3, 3, v4
	s_mov_b32 s21, exec_lo
	v_cmpx_gt_u32_e32 8, v4
; %bb.855:                              ;   in Loop: Header=BB285_11 Depth=1
	s_delay_alu instid0(VALU_DEP_3) | instskip(NEXT) | instid1(VALU_DEP_1)
	v_clz_i32_u32_e32 v3, v15
	v_min_u32_e32 v3, 32, v3
	s_delay_alu instid0(VALU_DEP_1) | instskip(SKIP_1) | instid1(VALU_DEP_2)
	v_subrev_nc_u32_e32 v4, 28, v3
	v_sub_nc_u32_e32 v3, 29, v3
	v_lshlrev_b64 v[4:5], v4, v[15:16]
	s_delay_alu instid0(VALU_DEP_1)
	v_and_b32_e32 v15, 7, v4
; %bb.856:                              ;   in Loop: Header=BB285_11 Depth=1
	s_or_b32 exec_lo, exec_lo, s21
	v_lshlrev_b32_e32 v4, 16, v2
	s_delay_alu instid0(VALU_DEP_2) | instskip(SKIP_1) | instid1(VALU_DEP_3)
	v_dual_mov_b32 v0, v16 :: v_dual_lshlrev_b32 v5, 20, v15
	v_lshl_add_u32 v3, v3, 23, 0x3c000000
	v_and_b32_e32 v4, 0x80000000, v4
	s_delay_alu instid0(VALU_DEP_1)
	v_or3_b32 v1, v5, v4, v3
	scratch_store_b64 off, v[0:1], s32 offset:936 ; 8-byte Folded Spill
.LBB285_857:                            ;   in Loop: Header=BB285_11 Depth=1
	s_or_b32 exec_lo, exec_lo, s8
.LBB285_858:                            ;   in Loop: Header=BB285_11 Depth=1
	s_delay_alu instid0(SALU_CYCLE_1)
	s_or_b32 exec_lo, exec_lo, s20
.LBB285_859:                            ;   in Loop: Header=BB285_11 Depth=1
	s_delay_alu instid0(SALU_CYCLE_1) | instskip(SKIP_4) | instid1(VALU_DEP_3)
	s_or_b32 exec_lo, exec_lo, s19
	v_lshrrev_b32_e32 v3, 16, v2
	v_mov_b32_e32 v0, 0
	v_mov_b32_e32 v1, 0
	s_mov_b32 s8, exec_lo
	v_and_b32_e32 v4, 0xff, v3
	s_clause 0x1
	scratch_store_b64 off, v[0:1], s32 offset:1072
	scratch_store_b64 off, v[0:1], s32 offset:952
	v_cmpx_ne_u16_e32 0, v4
	s_cbranch_execz .LBB285_867
; %bb.860:                              ;   in Loop: Header=BB285_11 Depth=1
	v_bfrev_b32_e32 v0, 1
	v_mov_b32_e32 v1, 0
	s_mov_b32 s19, exec_lo
	scratch_store_b64 off, v[0:1], s32 offset:952 ; 8-byte Folded Spill
	v_cmpx_ne_u16_e32 0x80, v4
	s_cbranch_execz .LBB285_866
; %bb.861:                              ;   in Loop: Header=BB285_11 Depth=1
	v_mov_b32_e32 v0, 0x7f800001
	v_bfe_u32 v5, v2, 16, 7
	v_mov_b32_e32 v1, 0
	s_mov_b32 s20, exec_lo
	scratch_store_b64 off, v[0:1], s32 offset:952 ; 8-byte Folded Spill
	v_cmpx_ne_u32_e32 0x7f, v5
	s_cbranch_execz .LBB285_865
; %bb.862:                              ;   in Loop: Header=BB285_11 Depth=1
	v_and_b32_e32 v15, 7, v3
	v_lshrrev_b32_e32 v4, 3, v5
	s_mov_b32 s21, exec_lo
	v_cmpx_gt_u32_e32 8, v5
; %bb.863:                              ;   in Loop: Header=BB285_11 Depth=1
	s_delay_alu instid0(VALU_DEP_3) | instskip(NEXT) | instid1(VALU_DEP_1)
	v_clz_i32_u32_e32 v4, v15
	v_min_u32_e32 v4, 32, v4
	s_delay_alu instid0(VALU_DEP_1) | instskip(SKIP_1) | instid1(VALU_DEP_2)
	v_subrev_nc_u32_e32 v5, 28, v4
	v_sub_nc_u32_e32 v4, 29, v4
	v_lshlrev_b64 v[5:6], v5, v[15:16]
	s_delay_alu instid0(VALU_DEP_1)
	v_and_b32_e32 v15, 7, v5
; %bb.864:                              ;   in Loop: Header=BB285_11 Depth=1
	s_or_b32 exec_lo, exec_lo, s21
	v_lshlrev_b32_e32 v3, 24, v3
	s_delay_alu instid0(VALU_DEP_2) | instskip(SKIP_1) | instid1(VALU_DEP_3)
	v_lshlrev_b32_e32 v5, 20, v15
	v_lshl_add_u32 v4, v4, 23, 0x3c000000
	v_and_b32_e32 v3, 0x80000000, v3
	s_delay_alu instid0(VALU_DEP_1)
	v_or3_b32 v15, v5, v3, v4
	scratch_store_b64 off, v[15:16], s32 offset:952 ; 8-byte Folded Spill
.LBB285_865:                            ;   in Loop: Header=BB285_11 Depth=1
	s_or_b32 exec_lo, exec_lo, s20
.LBB285_866:                            ;   in Loop: Header=BB285_11 Depth=1
	s_delay_alu instid0(SALU_CYCLE_1)
	s_or_b32 exec_lo, exec_lo, s19
.LBB285_867:                            ;   in Loop: Header=BB285_11 Depth=1
	s_delay_alu instid0(SALU_CYCLE_1) | instskip(NEXT) | instid1(SALU_CYCLE_1)
	s_or_b32 exec_lo, exec_lo, s8
	s_mov_b32 s19, exec_lo
	v_cmpx_lt_u32_e32 0xffffff, v2
	s_cbranch_execz .LBB285_875
; %bb.868:                              ;   in Loop: Header=BB285_11 Depth=1
	v_lshrrev_b32_e32 v3, 24, v2
	v_dual_mov_b32 v0, s2 :: v_dual_mov_b32 v1, s3
	s_mov_b32 s20, exec_lo
	scratch_store_b64 off, v[0:1], s32 offset:1072 ; 8-byte Folded Spill
	v_cmpx_ne_u32_e32 0x80, v3
	s_cbranch_execz .LBB285_874
; %bb.869:                              ;   in Loop: Header=BB285_11 Depth=1
	s_mov_b32 s8, s2
	v_bfe_u32 v4, v2, 24, 7
	v_dual_mov_b32 v0, s8 :: v_dual_mov_b32 v1, s9
	s_mov_b32 s8, exec_lo
	s_delay_alu instid0(VALU_DEP_2)
	v_cmpx_ne_u32_e32 0x7f, v4
	s_cbranch_execz .LBB285_873
; %bb.870:                              ;   in Loop: Header=BB285_11 Depth=1
	v_and_b32_e32 v15, 7, v3
	v_lshrrev_b32_e32 v2, 3, v4
	s_mov_b32 s21, exec_lo
	v_cmpx_gt_u32_e32 8, v4
; %bb.871:                              ;   in Loop: Header=BB285_11 Depth=1
	s_delay_alu instid0(VALU_DEP_3) | instskip(NEXT) | instid1(VALU_DEP_1)
	v_clz_i32_u32_e32 v2, v15
	v_min_u32_e32 v2, 32, v2
	s_delay_alu instid0(VALU_DEP_1) | instskip(SKIP_1) | instid1(VALU_DEP_2)
	v_subrev_nc_u32_e32 v4, 28, v2
	v_sub_nc_u32_e32 v2, 29, v2
	v_lshlrev_b64 v[4:5], v4, v[15:16]
	s_delay_alu instid0(VALU_DEP_1)
	v_and_b32_e32 v15, 7, v4
; %bb.872:                              ;   in Loop: Header=BB285_11 Depth=1
	s_or_b32 exec_lo, exec_lo, s21
	v_dual_mov_b32 v0, v16 :: v_dual_lshlrev_b32 v3, 24, v3
	s_delay_alu instid0(VALU_DEP_2) | instskip(SKIP_1) | instid1(VALU_DEP_3)
	v_lshlrev_b32_e32 v4, 20, v15
	v_lshl_add_u32 v2, v2, 23, 0x3c000000
	v_and_b32_e32 v3, 0x80000000, v3
	s_delay_alu instid0(VALU_DEP_1)
	v_or3_b32 v1, v4, v3, v2
.LBB285_873:                            ;   in Loop: Header=BB285_11 Depth=1
	s_or_b32 exec_lo, exec_lo, s8
	scratch_store_b64 off, v[0:1], s32 offset:1072 ; 8-byte Folded Spill
.LBB285_874:                            ;   in Loop: Header=BB285_11 Depth=1
	s_or_b32 exec_lo, exec_lo, s20
.LBB285_875:                            ;   in Loop: Header=BB285_11 Depth=1
	s_delay_alu instid0(SALU_CYCLE_1)
	s_or_b32 exec_lo, exec_lo, s19
	flat_load_b32 v2, v[154:155] offset:3084
	v_mov_b32_e32 v0, 0
	v_mov_b32_e32 v1, 0
	s_mov_b32 s8, exec_lo
	s_clause 0x1
	scratch_store_b64 off, v[0:1], s32 offset:960
	scratch_store_b64 off, v[0:1], s32 offset:968
	s_waitcnt vmcnt(0) lgkmcnt(0)
	v_and_b32_e32 v3, 0xff, v2
	s_delay_alu instid0(VALU_DEP_1)
	v_cmpx_ne_u16_e32 0, v3
	s_cbranch_execz .LBB285_883
; %bb.876:                              ;   in Loop: Header=BB285_11 Depth=1
	v_bfrev_b32_e32 v0, 1
	v_mov_b32_e32 v1, 0
	s_mov_b32 s19, exec_lo
	scratch_store_b64 off, v[0:1], s32 offset:968 ; 8-byte Folded Spill
	v_cmpx_ne_u16_e32 0x80, v3
	s_cbranch_execz .LBB285_882
; %bb.877:                              ;   in Loop: Header=BB285_11 Depth=1
	v_mov_b32_e32 v0, 0x7f800001
	v_dual_mov_b32 v1, 0 :: v_dual_and_b32 v4, 0x7f, v2
	s_mov_b32 s20, exec_lo
	scratch_store_b64 off, v[0:1], s32 offset:968 ; 8-byte Folded Spill
	v_cmpx_ne_u32_e32 0x7f, v4
	s_cbranch_execz .LBB285_881
; %bb.878:                              ;   in Loop: Header=BB285_11 Depth=1
	v_and_b32_e32 v15, 7, v2
	v_lshrrev_b32_e32 v3, 3, v4
	s_mov_b32 s21, exec_lo
	v_cmpx_gt_u32_e32 8, v4
; %bb.879:                              ;   in Loop: Header=BB285_11 Depth=1
	s_delay_alu instid0(VALU_DEP_3) | instskip(NEXT) | instid1(VALU_DEP_1)
	v_clz_i32_u32_e32 v3, v15
	v_min_u32_e32 v3, 32, v3
	s_delay_alu instid0(VALU_DEP_1) | instskip(SKIP_1) | instid1(VALU_DEP_2)
	v_subrev_nc_u32_e32 v4, 28, v3
	v_sub_nc_u32_e32 v3, 29, v3
	v_lshlrev_b64 v[4:5], v4, v[15:16]
	s_delay_alu instid0(VALU_DEP_1)
	v_and_b32_e32 v15, 7, v4
; %bb.880:                              ;   in Loop: Header=BB285_11 Depth=1
	s_or_b32 exec_lo, exec_lo, s21
	v_lshlrev_b32_e32 v4, 24, v2
	s_delay_alu instid0(VALU_DEP_2) | instskip(SKIP_1) | instid1(VALU_DEP_3)
	v_lshlrev_b32_e32 v5, 20, v15
	v_lshl_add_u32 v3, v3, 23, 0x3c000000
	v_and_b32_e32 v4, 0x80000000, v4
	s_delay_alu instid0(VALU_DEP_1)
	v_or3_b32 v15, v5, v4, v3
	scratch_store_b64 off, v[15:16], s32 offset:968 ; 8-byte Folded Spill
.LBB285_881:                            ;   in Loop: Header=BB285_11 Depth=1
	s_or_b32 exec_lo, exec_lo, s20
.LBB285_882:                            ;   in Loop: Header=BB285_11 Depth=1
	s_delay_alu instid0(SALU_CYCLE_1)
	s_or_b32 exec_lo, exec_lo, s19
.LBB285_883:                            ;   in Loop: Header=BB285_11 Depth=1
	s_delay_alu instid0(SALU_CYCLE_1) | instskip(SKIP_2) | instid1(VALU_DEP_1)
	s_or_b32 exec_lo, exec_lo, s8
	v_lshrrev_b16 v3, 8, v2
	s_mov_b32 s19, exec_lo
	v_cmpx_ne_u16_e32 0, v3
	s_cbranch_execz .LBB285_891
; %bb.884:                              ;   in Loop: Header=BB285_11 Depth=1
	v_dual_mov_b32 v0, s2 :: v_dual_mov_b32 v1, s3
	s_mov_b32 s20, exec_lo
	scratch_store_b64 off, v[0:1], s32 offset:960 ; 8-byte Folded Spill
	v_cmpx_ne_u16_e32 0x80, v3
	s_cbranch_execz .LBB285_890
; %bb.885:                              ;   in Loop: Header=BB285_11 Depth=1
	s_mov_b32 s8, s2
	s_delay_alu instid0(SALU_CYCLE_1) | instskip(SKIP_2) | instid1(VALU_DEP_2)
	v_dual_mov_b32 v0, s8 :: v_dual_and_b32 v3, 0xffff, v3
	v_mov_b32_e32 v1, s9
	s_mov_b32 s8, exec_lo
	v_and_b32_e32 v4, 0x7f, v3
	scratch_store_b64 off, v[0:1], s32 offset:960 ; 8-byte Folded Spill
	v_cmpx_ne_u32_e32 0x7f, v4
	s_cbranch_execz .LBB285_889
; %bb.886:                              ;   in Loop: Header=BB285_11 Depth=1
	v_and_b32_e32 v15, 7, v3
	v_lshrrev_b32_e32 v3, 3, v4
	s_mov_b32 s21, exec_lo
	v_cmpx_gt_u32_e32 8, v4
; %bb.887:                              ;   in Loop: Header=BB285_11 Depth=1
	s_delay_alu instid0(VALU_DEP_3) | instskip(NEXT) | instid1(VALU_DEP_1)
	v_clz_i32_u32_e32 v3, v15
	v_min_u32_e32 v3, 32, v3
	s_delay_alu instid0(VALU_DEP_1) | instskip(SKIP_1) | instid1(VALU_DEP_2)
	v_subrev_nc_u32_e32 v4, 28, v3
	v_sub_nc_u32_e32 v3, 29, v3
	v_lshlrev_b64 v[4:5], v4, v[15:16]
	s_delay_alu instid0(VALU_DEP_1)
	v_and_b32_e32 v15, 7, v4
; %bb.888:                              ;   in Loop: Header=BB285_11 Depth=1
	s_or_b32 exec_lo, exec_lo, s21
	v_lshlrev_b32_e32 v4, 16, v2
	s_delay_alu instid0(VALU_DEP_2) | instskip(SKIP_1) | instid1(VALU_DEP_3)
	v_dual_mov_b32 v0, v16 :: v_dual_lshlrev_b32 v5, 20, v15
	v_lshl_add_u32 v3, v3, 23, 0x3c000000
	v_and_b32_e32 v4, 0x80000000, v4
	s_delay_alu instid0(VALU_DEP_1)
	v_or3_b32 v1, v5, v4, v3
	scratch_store_b64 off, v[0:1], s32 offset:960 ; 8-byte Folded Spill
.LBB285_889:                            ;   in Loop: Header=BB285_11 Depth=1
	s_or_b32 exec_lo, exec_lo, s8
.LBB285_890:                            ;   in Loop: Header=BB285_11 Depth=1
	s_delay_alu instid0(SALU_CYCLE_1)
	s_or_b32 exec_lo, exec_lo, s20
.LBB285_891:                            ;   in Loop: Header=BB285_11 Depth=1
	s_delay_alu instid0(SALU_CYCLE_1) | instskip(SKIP_4) | instid1(VALU_DEP_3)
	s_or_b32 exec_lo, exec_lo, s19
	v_lshrrev_b32_e32 v3, 16, v2
	v_mov_b32_e32 v0, 0
	v_mov_b32_e32 v1, 0
	s_mov_b32 s8, exec_lo
	v_and_b32_e32 v4, 0xff, v3
	s_clause 0x1
	scratch_store_b64 off, v[0:1], s32 offset:1080
	scratch_store_b64 off, v[0:1], s32 offset:976
	v_cmpx_ne_u16_e32 0, v4
	s_cbranch_execz .LBB285_899
; %bb.892:                              ;   in Loop: Header=BB285_11 Depth=1
	v_bfrev_b32_e32 v0, 1
	v_mov_b32_e32 v1, 0
	s_mov_b32 s19, exec_lo
	scratch_store_b64 off, v[0:1], s32 offset:976 ; 8-byte Folded Spill
	v_cmpx_ne_u16_e32 0x80, v4
	s_cbranch_execz .LBB285_898
; %bb.893:                              ;   in Loop: Header=BB285_11 Depth=1
	v_mov_b32_e32 v0, 0x7f800001
	v_bfe_u32 v5, v2, 16, 7
	v_mov_b32_e32 v1, 0
	s_mov_b32 s20, exec_lo
	scratch_store_b64 off, v[0:1], s32 offset:976 ; 8-byte Folded Spill
	v_cmpx_ne_u32_e32 0x7f, v5
	s_cbranch_execz .LBB285_897
; %bb.894:                              ;   in Loop: Header=BB285_11 Depth=1
	v_and_b32_e32 v15, 7, v3
	v_lshrrev_b32_e32 v4, 3, v5
	s_mov_b32 s21, exec_lo
	v_cmpx_gt_u32_e32 8, v5
; %bb.895:                              ;   in Loop: Header=BB285_11 Depth=1
	s_delay_alu instid0(VALU_DEP_3) | instskip(NEXT) | instid1(VALU_DEP_1)
	v_clz_i32_u32_e32 v4, v15
	v_min_u32_e32 v4, 32, v4
	s_delay_alu instid0(VALU_DEP_1) | instskip(SKIP_1) | instid1(VALU_DEP_2)
	v_subrev_nc_u32_e32 v5, 28, v4
	v_sub_nc_u32_e32 v4, 29, v4
	v_lshlrev_b64 v[5:6], v5, v[15:16]
	s_delay_alu instid0(VALU_DEP_1)
	v_and_b32_e32 v15, 7, v5
; %bb.896:                              ;   in Loop: Header=BB285_11 Depth=1
	s_or_b32 exec_lo, exec_lo, s21
	v_lshlrev_b32_e32 v3, 24, v3
	s_delay_alu instid0(VALU_DEP_2) | instskip(SKIP_1) | instid1(VALU_DEP_3)
	v_lshlrev_b32_e32 v5, 20, v15
	v_lshl_add_u32 v4, v4, 23, 0x3c000000
	v_and_b32_e32 v3, 0x80000000, v3
	s_delay_alu instid0(VALU_DEP_1)
	v_or3_b32 v15, v5, v3, v4
	scratch_store_b64 off, v[15:16], s32 offset:976 ; 8-byte Folded Spill
.LBB285_897:                            ;   in Loop: Header=BB285_11 Depth=1
	s_or_b32 exec_lo, exec_lo, s20
.LBB285_898:                            ;   in Loop: Header=BB285_11 Depth=1
	s_delay_alu instid0(SALU_CYCLE_1)
	s_or_b32 exec_lo, exec_lo, s19
.LBB285_899:                            ;   in Loop: Header=BB285_11 Depth=1
	s_delay_alu instid0(SALU_CYCLE_1) | instskip(NEXT) | instid1(SALU_CYCLE_1)
	s_or_b32 exec_lo, exec_lo, s8
	s_mov_b32 s19, exec_lo
	v_cmpx_lt_u32_e32 0xffffff, v2
	s_cbranch_execz .LBB285_907
; %bb.900:                              ;   in Loop: Header=BB285_11 Depth=1
	v_lshrrev_b32_e32 v3, 24, v2
	v_dual_mov_b32 v0, s2 :: v_dual_mov_b32 v1, s3
	s_mov_b32 s20, exec_lo
	scratch_store_b64 off, v[0:1], s32 offset:1080 ; 8-byte Folded Spill
	v_cmpx_ne_u32_e32 0x80, v3
	s_cbranch_execz .LBB285_906
; %bb.901:                              ;   in Loop: Header=BB285_11 Depth=1
	s_mov_b32 s8, s2
	v_bfe_u32 v4, v2, 24, 7
	v_dual_mov_b32 v0, s8 :: v_dual_mov_b32 v1, s9
	s_mov_b32 s8, exec_lo
	s_delay_alu instid0(VALU_DEP_2)
	v_cmpx_ne_u32_e32 0x7f, v4
	s_cbranch_execz .LBB285_905
; %bb.902:                              ;   in Loop: Header=BB285_11 Depth=1
	v_and_b32_e32 v15, 7, v3
	v_lshrrev_b32_e32 v2, 3, v4
	s_mov_b32 s21, exec_lo
	v_cmpx_gt_u32_e32 8, v4
; %bb.903:                              ;   in Loop: Header=BB285_11 Depth=1
	s_delay_alu instid0(VALU_DEP_3) | instskip(NEXT) | instid1(VALU_DEP_1)
	v_clz_i32_u32_e32 v2, v15
	v_min_u32_e32 v2, 32, v2
	s_delay_alu instid0(VALU_DEP_1) | instskip(SKIP_1) | instid1(VALU_DEP_2)
	v_subrev_nc_u32_e32 v4, 28, v2
	v_sub_nc_u32_e32 v2, 29, v2
	v_lshlrev_b64 v[4:5], v4, v[15:16]
	s_delay_alu instid0(VALU_DEP_1)
	v_and_b32_e32 v15, 7, v4
; %bb.904:                              ;   in Loop: Header=BB285_11 Depth=1
	s_or_b32 exec_lo, exec_lo, s21
	v_dual_mov_b32 v0, v16 :: v_dual_lshlrev_b32 v3, 24, v3
	s_delay_alu instid0(VALU_DEP_2) | instskip(SKIP_1) | instid1(VALU_DEP_3)
	v_lshlrev_b32_e32 v4, 20, v15
	v_lshl_add_u32 v2, v2, 23, 0x3c000000
	v_and_b32_e32 v3, 0x80000000, v3
	s_delay_alu instid0(VALU_DEP_1)
	v_or3_b32 v1, v4, v3, v2
.LBB285_905:                            ;   in Loop: Header=BB285_11 Depth=1
	s_or_b32 exec_lo, exec_lo, s8
	scratch_store_b64 off, v[0:1], s32 offset:1080 ; 8-byte Folded Spill
.LBB285_906:                            ;   in Loop: Header=BB285_11 Depth=1
	s_or_b32 exec_lo, exec_lo, s20
.LBB285_907:                            ;   in Loop: Header=BB285_11 Depth=1
	s_delay_alu instid0(SALU_CYCLE_1)
	s_or_b32 exec_lo, exec_lo, s19
	flat_load_b32 v2, v[154:155] offset:3584
	v_mov_b32_e32 v0, 0
	v_mov_b32_e32 v1, 0
	s_mov_b32 s8, exec_lo
	s_clause 0x1
	scratch_store_b64 off, v[0:1], s32 offset:984
	scratch_store_b64 off, v[0:1], s32 offset:992
	s_waitcnt vmcnt(0) lgkmcnt(0)
	v_and_b32_e32 v3, 0xff, v2
	s_delay_alu instid0(VALU_DEP_1)
	v_cmpx_ne_u16_e32 0, v3
	s_cbranch_execz .LBB285_915
; %bb.908:                              ;   in Loop: Header=BB285_11 Depth=1
	v_bfrev_b32_e32 v0, 1
	v_mov_b32_e32 v1, 0
	s_mov_b32 s19, exec_lo
	scratch_store_b64 off, v[0:1], s32 offset:992 ; 8-byte Folded Spill
	v_cmpx_ne_u16_e32 0x80, v3
	s_cbranch_execz .LBB285_914
; %bb.909:                              ;   in Loop: Header=BB285_11 Depth=1
	v_mov_b32_e32 v0, 0x7f800001
	v_dual_mov_b32 v1, 0 :: v_dual_and_b32 v4, 0x7f, v2
	s_mov_b32 s20, exec_lo
	scratch_store_b64 off, v[0:1], s32 offset:992 ; 8-byte Folded Spill
	v_cmpx_ne_u32_e32 0x7f, v4
	s_cbranch_execz .LBB285_913
; %bb.910:                              ;   in Loop: Header=BB285_11 Depth=1
	v_and_b32_e32 v15, 7, v2
	v_lshrrev_b32_e32 v3, 3, v4
	s_mov_b32 s21, exec_lo
	v_cmpx_gt_u32_e32 8, v4
; %bb.911:                              ;   in Loop: Header=BB285_11 Depth=1
	s_delay_alu instid0(VALU_DEP_3) | instskip(NEXT) | instid1(VALU_DEP_1)
	v_clz_i32_u32_e32 v3, v15
	v_min_u32_e32 v3, 32, v3
	s_delay_alu instid0(VALU_DEP_1) | instskip(SKIP_1) | instid1(VALU_DEP_2)
	v_subrev_nc_u32_e32 v4, 28, v3
	v_sub_nc_u32_e32 v3, 29, v3
	v_lshlrev_b64 v[4:5], v4, v[15:16]
	s_delay_alu instid0(VALU_DEP_1)
	v_and_b32_e32 v15, 7, v4
; %bb.912:                              ;   in Loop: Header=BB285_11 Depth=1
	s_or_b32 exec_lo, exec_lo, s21
	v_lshlrev_b32_e32 v4, 24, v2
	s_delay_alu instid0(VALU_DEP_2) | instskip(SKIP_1) | instid1(VALU_DEP_3)
	v_lshlrev_b32_e32 v5, 20, v15
	v_lshl_add_u32 v3, v3, 23, 0x3c000000
	v_and_b32_e32 v4, 0x80000000, v4
	s_delay_alu instid0(VALU_DEP_1)
	v_or3_b32 v15, v5, v4, v3
	scratch_store_b64 off, v[15:16], s32 offset:992 ; 8-byte Folded Spill
.LBB285_913:                            ;   in Loop: Header=BB285_11 Depth=1
	s_or_b32 exec_lo, exec_lo, s20
.LBB285_914:                            ;   in Loop: Header=BB285_11 Depth=1
	s_delay_alu instid0(SALU_CYCLE_1)
	s_or_b32 exec_lo, exec_lo, s19
.LBB285_915:                            ;   in Loop: Header=BB285_11 Depth=1
	s_delay_alu instid0(SALU_CYCLE_1) | instskip(SKIP_2) | instid1(VALU_DEP_1)
	s_or_b32 exec_lo, exec_lo, s8
	v_lshrrev_b16 v3, 8, v2
	s_mov_b32 s19, exec_lo
	v_cmpx_ne_u16_e32 0, v3
	s_cbranch_execz .LBB285_923
; %bb.916:                              ;   in Loop: Header=BB285_11 Depth=1
	v_dual_mov_b32 v0, s2 :: v_dual_mov_b32 v1, s3
	s_mov_b32 s20, exec_lo
	scratch_store_b64 off, v[0:1], s32 offset:984 ; 8-byte Folded Spill
	v_cmpx_ne_u16_e32 0x80, v3
	s_cbranch_execz .LBB285_922
; %bb.917:                              ;   in Loop: Header=BB285_11 Depth=1
	s_mov_b32 s8, s2
	s_delay_alu instid0(SALU_CYCLE_1) | instskip(SKIP_2) | instid1(VALU_DEP_2)
	v_dual_mov_b32 v0, s8 :: v_dual_and_b32 v3, 0xffff, v3
	v_mov_b32_e32 v1, s9
	s_mov_b32 s8, exec_lo
	v_and_b32_e32 v4, 0x7f, v3
	scratch_store_b64 off, v[0:1], s32 offset:984 ; 8-byte Folded Spill
	v_cmpx_ne_u32_e32 0x7f, v4
	s_cbranch_execz .LBB285_921
; %bb.918:                              ;   in Loop: Header=BB285_11 Depth=1
	v_and_b32_e32 v15, 7, v3
	v_lshrrev_b32_e32 v3, 3, v4
	s_mov_b32 s21, exec_lo
	v_cmpx_gt_u32_e32 8, v4
; %bb.919:                              ;   in Loop: Header=BB285_11 Depth=1
	s_delay_alu instid0(VALU_DEP_3) | instskip(NEXT) | instid1(VALU_DEP_1)
	v_clz_i32_u32_e32 v3, v15
	v_min_u32_e32 v3, 32, v3
	s_delay_alu instid0(VALU_DEP_1) | instskip(SKIP_1) | instid1(VALU_DEP_2)
	v_subrev_nc_u32_e32 v4, 28, v3
	v_sub_nc_u32_e32 v3, 29, v3
	v_lshlrev_b64 v[4:5], v4, v[15:16]
	s_delay_alu instid0(VALU_DEP_1)
	v_and_b32_e32 v15, 7, v4
; %bb.920:                              ;   in Loop: Header=BB285_11 Depth=1
	s_or_b32 exec_lo, exec_lo, s21
	v_lshlrev_b32_e32 v4, 16, v2
	s_delay_alu instid0(VALU_DEP_2) | instskip(SKIP_1) | instid1(VALU_DEP_3)
	v_dual_mov_b32 v0, v16 :: v_dual_lshlrev_b32 v5, 20, v15
	v_lshl_add_u32 v3, v3, 23, 0x3c000000
	v_and_b32_e32 v4, 0x80000000, v4
	s_delay_alu instid0(VALU_DEP_1)
	v_or3_b32 v1, v5, v4, v3
	scratch_store_b64 off, v[0:1], s32 offset:984 ; 8-byte Folded Spill
.LBB285_921:                            ;   in Loop: Header=BB285_11 Depth=1
	s_or_b32 exec_lo, exec_lo, s8
.LBB285_922:                            ;   in Loop: Header=BB285_11 Depth=1
	s_delay_alu instid0(SALU_CYCLE_1)
	s_or_b32 exec_lo, exec_lo, s20
.LBB285_923:                            ;   in Loop: Header=BB285_11 Depth=1
	s_delay_alu instid0(SALU_CYCLE_1) | instskip(SKIP_4) | instid1(VALU_DEP_3)
	s_or_b32 exec_lo, exec_lo, s19
	v_lshrrev_b32_e32 v3, 16, v2
	v_mov_b32_e32 v0, 0
	v_mov_b32_e32 v1, 0
	s_mov_b32 s8, exec_lo
	v_and_b32_e32 v4, 0xff, v3
	s_clause 0x1
	scratch_store_b64 off, v[0:1], s32 offset:1088
	scratch_store_b64 off, v[0:1], s32 offset:1000
	v_cmpx_ne_u16_e32 0, v4
	s_cbranch_execz .LBB285_931
; %bb.924:                              ;   in Loop: Header=BB285_11 Depth=1
	v_bfrev_b32_e32 v0, 1
	v_mov_b32_e32 v1, 0
	s_mov_b32 s19, exec_lo
	scratch_store_b64 off, v[0:1], s32 offset:1000 ; 8-byte Folded Spill
	v_cmpx_ne_u16_e32 0x80, v4
	s_cbranch_execz .LBB285_930
; %bb.925:                              ;   in Loop: Header=BB285_11 Depth=1
	v_mov_b32_e32 v0, 0x7f800001
	v_bfe_u32 v5, v2, 16, 7
	v_mov_b32_e32 v1, 0
	s_mov_b32 s20, exec_lo
	scratch_store_b64 off, v[0:1], s32 offset:1000 ; 8-byte Folded Spill
	v_cmpx_ne_u32_e32 0x7f, v5
	s_cbranch_execz .LBB285_929
; %bb.926:                              ;   in Loop: Header=BB285_11 Depth=1
	v_and_b32_e32 v15, 7, v3
	v_lshrrev_b32_e32 v4, 3, v5
	s_mov_b32 s21, exec_lo
	v_cmpx_gt_u32_e32 8, v5
; %bb.927:                              ;   in Loop: Header=BB285_11 Depth=1
	s_delay_alu instid0(VALU_DEP_3) | instskip(NEXT) | instid1(VALU_DEP_1)
	v_clz_i32_u32_e32 v4, v15
	v_min_u32_e32 v4, 32, v4
	s_delay_alu instid0(VALU_DEP_1) | instskip(SKIP_1) | instid1(VALU_DEP_2)
	v_subrev_nc_u32_e32 v5, 28, v4
	v_sub_nc_u32_e32 v4, 29, v4
	v_lshlrev_b64 v[5:6], v5, v[15:16]
	s_delay_alu instid0(VALU_DEP_1)
	v_and_b32_e32 v15, 7, v5
; %bb.928:                              ;   in Loop: Header=BB285_11 Depth=1
	s_or_b32 exec_lo, exec_lo, s21
	v_lshlrev_b32_e32 v3, 24, v3
	s_delay_alu instid0(VALU_DEP_2) | instskip(SKIP_1) | instid1(VALU_DEP_3)
	v_lshlrev_b32_e32 v5, 20, v15
	v_lshl_add_u32 v4, v4, 23, 0x3c000000
	v_and_b32_e32 v3, 0x80000000, v3
	s_delay_alu instid0(VALU_DEP_1)
	v_or3_b32 v15, v5, v3, v4
	scratch_store_b64 off, v[15:16], s32 offset:1000 ; 8-byte Folded Spill
.LBB285_929:                            ;   in Loop: Header=BB285_11 Depth=1
	s_or_b32 exec_lo, exec_lo, s20
.LBB285_930:                            ;   in Loop: Header=BB285_11 Depth=1
	s_delay_alu instid0(SALU_CYCLE_1)
	s_or_b32 exec_lo, exec_lo, s19
.LBB285_931:                            ;   in Loop: Header=BB285_11 Depth=1
	s_delay_alu instid0(SALU_CYCLE_1) | instskip(NEXT) | instid1(SALU_CYCLE_1)
	s_or_b32 exec_lo, exec_lo, s8
	s_mov_b32 s19, exec_lo
	v_cmpx_lt_u32_e32 0xffffff, v2
	s_cbranch_execz .LBB285_939
; %bb.932:                              ;   in Loop: Header=BB285_11 Depth=1
	v_lshrrev_b32_e32 v3, 24, v2
	v_dual_mov_b32 v0, s2 :: v_dual_mov_b32 v1, s3
	s_mov_b32 s20, exec_lo
	scratch_store_b64 off, v[0:1], s32 offset:1088 ; 8-byte Folded Spill
	v_cmpx_ne_u32_e32 0x80, v3
	s_cbranch_execz .LBB285_938
; %bb.933:                              ;   in Loop: Header=BB285_11 Depth=1
	s_mov_b32 s8, s2
	v_bfe_u32 v4, v2, 24, 7
	v_dual_mov_b32 v0, s8 :: v_dual_mov_b32 v1, s9
	s_mov_b32 s8, exec_lo
	s_delay_alu instid0(VALU_DEP_2)
	v_cmpx_ne_u32_e32 0x7f, v4
	s_cbranch_execz .LBB285_937
; %bb.934:                              ;   in Loop: Header=BB285_11 Depth=1
	v_and_b32_e32 v15, 7, v3
	v_lshrrev_b32_e32 v2, 3, v4
	s_mov_b32 s21, exec_lo
	v_cmpx_gt_u32_e32 8, v4
; %bb.935:                              ;   in Loop: Header=BB285_11 Depth=1
	s_delay_alu instid0(VALU_DEP_3) | instskip(NEXT) | instid1(VALU_DEP_1)
	v_clz_i32_u32_e32 v2, v15
	v_min_u32_e32 v2, 32, v2
	s_delay_alu instid0(VALU_DEP_1) | instskip(SKIP_1) | instid1(VALU_DEP_2)
	v_subrev_nc_u32_e32 v4, 28, v2
	v_sub_nc_u32_e32 v2, 29, v2
	v_lshlrev_b64 v[4:5], v4, v[15:16]
	s_delay_alu instid0(VALU_DEP_1)
	v_and_b32_e32 v15, 7, v4
; %bb.936:                              ;   in Loop: Header=BB285_11 Depth=1
	s_or_b32 exec_lo, exec_lo, s21
	v_dual_mov_b32 v0, v16 :: v_dual_lshlrev_b32 v3, 24, v3
	s_delay_alu instid0(VALU_DEP_2) | instskip(SKIP_1) | instid1(VALU_DEP_3)
	v_lshlrev_b32_e32 v4, 20, v15
	v_lshl_add_u32 v2, v2, 23, 0x3c000000
	v_and_b32_e32 v3, 0x80000000, v3
	s_delay_alu instid0(VALU_DEP_1)
	v_or3_b32 v1, v4, v3, v2
.LBB285_937:                            ;   in Loop: Header=BB285_11 Depth=1
	s_or_b32 exec_lo, exec_lo, s8
	scratch_store_b64 off, v[0:1], s32 offset:1088 ; 8-byte Folded Spill
.LBB285_938:                            ;   in Loop: Header=BB285_11 Depth=1
	s_or_b32 exec_lo, exec_lo, s20
.LBB285_939:                            ;   in Loop: Header=BB285_11 Depth=1
	s_delay_alu instid0(SALU_CYCLE_1)
	s_or_b32 exec_lo, exec_lo, s19
	flat_load_b32 v2, v[154:155] offset:3588
	v_mov_b32_e32 v0, 0
	v_mov_b32_e32 v1, 0
	s_mov_b32 s8, exec_lo
	s_clause 0x1
	scratch_store_b64 off, v[0:1], s32 offset:1008
	scratch_store_b64 off, v[0:1], s32 offset:1016
	s_waitcnt vmcnt(0) lgkmcnt(0)
	v_and_b32_e32 v3, 0xff, v2
	s_delay_alu instid0(VALU_DEP_1)
	v_cmpx_ne_u16_e32 0, v3
	s_cbranch_execz .LBB285_947
; %bb.940:                              ;   in Loop: Header=BB285_11 Depth=1
	v_bfrev_b32_e32 v0, 1
	v_mov_b32_e32 v1, 0
	s_mov_b32 s19, exec_lo
	scratch_store_b64 off, v[0:1], s32 offset:1016 ; 8-byte Folded Spill
	v_cmpx_ne_u16_e32 0x80, v3
	s_cbranch_execz .LBB285_946
; %bb.941:                              ;   in Loop: Header=BB285_11 Depth=1
	v_mov_b32_e32 v0, 0x7f800001
	v_dual_mov_b32 v1, 0 :: v_dual_and_b32 v4, 0x7f, v2
	s_mov_b32 s20, exec_lo
	scratch_store_b64 off, v[0:1], s32 offset:1016 ; 8-byte Folded Spill
	v_cmpx_ne_u32_e32 0x7f, v4
	s_cbranch_execz .LBB285_945
; %bb.942:                              ;   in Loop: Header=BB285_11 Depth=1
	v_and_b32_e32 v15, 7, v2
	v_lshrrev_b32_e32 v3, 3, v4
	s_mov_b32 s21, exec_lo
	v_cmpx_gt_u32_e32 8, v4
; %bb.943:                              ;   in Loop: Header=BB285_11 Depth=1
	s_delay_alu instid0(VALU_DEP_3) | instskip(NEXT) | instid1(VALU_DEP_1)
	v_clz_i32_u32_e32 v3, v15
	v_min_u32_e32 v3, 32, v3
	s_delay_alu instid0(VALU_DEP_1) | instskip(SKIP_1) | instid1(VALU_DEP_2)
	v_subrev_nc_u32_e32 v4, 28, v3
	v_sub_nc_u32_e32 v3, 29, v3
	v_lshlrev_b64 v[4:5], v4, v[15:16]
	s_delay_alu instid0(VALU_DEP_1)
	v_and_b32_e32 v15, 7, v4
; %bb.944:                              ;   in Loop: Header=BB285_11 Depth=1
	s_or_b32 exec_lo, exec_lo, s21
	v_lshlrev_b32_e32 v4, 24, v2
	s_delay_alu instid0(VALU_DEP_2) | instskip(SKIP_1) | instid1(VALU_DEP_3)
	v_lshlrev_b32_e32 v5, 20, v15
	v_lshl_add_u32 v3, v3, 23, 0x3c000000
	v_and_b32_e32 v4, 0x80000000, v4
	s_delay_alu instid0(VALU_DEP_1)
	v_or3_b32 v15, v5, v4, v3
	scratch_store_b64 off, v[15:16], s32 offset:1016 ; 8-byte Folded Spill
.LBB285_945:                            ;   in Loop: Header=BB285_11 Depth=1
	s_or_b32 exec_lo, exec_lo, s20
.LBB285_946:                            ;   in Loop: Header=BB285_11 Depth=1
	s_delay_alu instid0(SALU_CYCLE_1)
	s_or_b32 exec_lo, exec_lo, s19
.LBB285_947:                            ;   in Loop: Header=BB285_11 Depth=1
	s_delay_alu instid0(SALU_CYCLE_1) | instskip(SKIP_2) | instid1(VALU_DEP_1)
	s_or_b32 exec_lo, exec_lo, s8
	v_lshrrev_b16 v3, 8, v2
	s_mov_b32 s19, exec_lo
	v_cmpx_ne_u16_e32 0, v3
	s_cbranch_execz .LBB285_955
; %bb.948:                              ;   in Loop: Header=BB285_11 Depth=1
	v_dual_mov_b32 v0, s2 :: v_dual_mov_b32 v1, s3
	s_mov_b32 s20, exec_lo
	scratch_store_b64 off, v[0:1], s32 offset:1008 ; 8-byte Folded Spill
	v_cmpx_ne_u16_e32 0x80, v3
	s_cbranch_execz .LBB285_954
; %bb.949:                              ;   in Loop: Header=BB285_11 Depth=1
	s_mov_b32 s8, s2
	s_delay_alu instid0(SALU_CYCLE_1) | instskip(SKIP_2) | instid1(VALU_DEP_2)
	v_dual_mov_b32 v0, s8 :: v_dual_and_b32 v3, 0xffff, v3
	v_mov_b32_e32 v1, s9
	s_mov_b32 s8, exec_lo
	v_and_b32_e32 v4, 0x7f, v3
	scratch_store_b64 off, v[0:1], s32 offset:1008 ; 8-byte Folded Spill
	v_cmpx_ne_u32_e32 0x7f, v4
	s_cbranch_execz .LBB285_953
; %bb.950:                              ;   in Loop: Header=BB285_11 Depth=1
	v_and_b32_e32 v15, 7, v3
	v_lshrrev_b32_e32 v3, 3, v4
	s_mov_b32 s21, exec_lo
	v_cmpx_gt_u32_e32 8, v4
; %bb.951:                              ;   in Loop: Header=BB285_11 Depth=1
	s_delay_alu instid0(VALU_DEP_3) | instskip(NEXT) | instid1(VALU_DEP_1)
	v_clz_i32_u32_e32 v3, v15
	v_min_u32_e32 v3, 32, v3
	s_delay_alu instid0(VALU_DEP_1) | instskip(SKIP_1) | instid1(VALU_DEP_2)
	v_subrev_nc_u32_e32 v4, 28, v3
	v_sub_nc_u32_e32 v3, 29, v3
	v_lshlrev_b64 v[4:5], v4, v[15:16]
	s_delay_alu instid0(VALU_DEP_1)
	v_and_b32_e32 v15, 7, v4
; %bb.952:                              ;   in Loop: Header=BB285_11 Depth=1
	s_or_b32 exec_lo, exec_lo, s21
	v_lshlrev_b32_e32 v4, 16, v2
	s_delay_alu instid0(VALU_DEP_2) | instskip(SKIP_1) | instid1(VALU_DEP_3)
	v_dual_mov_b32 v0, v16 :: v_dual_lshlrev_b32 v5, 20, v15
	v_lshl_add_u32 v3, v3, 23, 0x3c000000
	v_and_b32_e32 v4, 0x80000000, v4
	s_delay_alu instid0(VALU_DEP_1)
	v_or3_b32 v1, v5, v4, v3
	scratch_store_b64 off, v[0:1], s32 offset:1008 ; 8-byte Folded Spill
.LBB285_953:                            ;   in Loop: Header=BB285_11 Depth=1
	s_or_b32 exec_lo, exec_lo, s8
.LBB285_954:                            ;   in Loop: Header=BB285_11 Depth=1
	s_delay_alu instid0(SALU_CYCLE_1)
	s_or_b32 exec_lo, exec_lo, s20
.LBB285_955:                            ;   in Loop: Header=BB285_11 Depth=1
	s_delay_alu instid0(SALU_CYCLE_1) | instskip(SKIP_4) | instid1(VALU_DEP_3)
	s_or_b32 exec_lo, exec_lo, s19
	v_lshrrev_b32_e32 v3, 16, v2
	v_mov_b32_e32 v0, 0
	v_mov_b32_e32 v1, 0
	s_mov_b32 s8, exec_lo
	v_and_b32_e32 v4, 0xff, v3
	s_clause 0x1
	scratch_store_b64 off, v[0:1], s32 offset:1096
	scratch_store_b64 off, v[0:1], s32 offset:1024
	v_cmpx_ne_u16_e32 0, v4
	s_cbranch_execz .LBB285_963
; %bb.956:                              ;   in Loop: Header=BB285_11 Depth=1
	v_bfrev_b32_e32 v0, 1
	v_mov_b32_e32 v1, 0
	s_mov_b32 s19, exec_lo
	scratch_store_b64 off, v[0:1], s32 offset:1024 ; 8-byte Folded Spill
	v_cmpx_ne_u16_e32 0x80, v4
	s_cbranch_execz .LBB285_962
; %bb.957:                              ;   in Loop: Header=BB285_11 Depth=1
	v_mov_b32_e32 v0, 0x7f800001
	v_bfe_u32 v5, v2, 16, 7
	v_mov_b32_e32 v1, 0
	s_mov_b32 s20, exec_lo
	scratch_store_b64 off, v[0:1], s32 offset:1024 ; 8-byte Folded Spill
	v_cmpx_ne_u32_e32 0x7f, v5
	s_cbranch_execz .LBB285_961
; %bb.958:                              ;   in Loop: Header=BB285_11 Depth=1
	v_and_b32_e32 v15, 7, v3
	v_lshrrev_b32_e32 v4, 3, v5
	s_mov_b32 s21, exec_lo
	v_cmpx_gt_u32_e32 8, v5
; %bb.959:                              ;   in Loop: Header=BB285_11 Depth=1
	s_delay_alu instid0(VALU_DEP_3) | instskip(NEXT) | instid1(VALU_DEP_1)
	v_clz_i32_u32_e32 v4, v15
	v_min_u32_e32 v4, 32, v4
	s_delay_alu instid0(VALU_DEP_1) | instskip(SKIP_1) | instid1(VALU_DEP_2)
	v_subrev_nc_u32_e32 v5, 28, v4
	v_sub_nc_u32_e32 v4, 29, v4
	v_lshlrev_b64 v[5:6], v5, v[15:16]
	s_delay_alu instid0(VALU_DEP_1)
	v_and_b32_e32 v15, 7, v5
; %bb.960:                              ;   in Loop: Header=BB285_11 Depth=1
	s_or_b32 exec_lo, exec_lo, s21
	v_lshlrev_b32_e32 v3, 24, v3
	s_delay_alu instid0(VALU_DEP_2) | instskip(SKIP_1) | instid1(VALU_DEP_3)
	v_lshlrev_b32_e32 v5, 20, v15
	v_lshl_add_u32 v4, v4, 23, 0x3c000000
	v_and_b32_e32 v3, 0x80000000, v3
	s_delay_alu instid0(VALU_DEP_1)
	v_or3_b32 v15, v5, v3, v4
	scratch_store_b64 off, v[15:16], s32 offset:1024 ; 8-byte Folded Spill
.LBB285_961:                            ;   in Loop: Header=BB285_11 Depth=1
	s_or_b32 exec_lo, exec_lo, s20
.LBB285_962:                            ;   in Loop: Header=BB285_11 Depth=1
	s_delay_alu instid0(SALU_CYCLE_1)
	s_or_b32 exec_lo, exec_lo, s19
.LBB285_963:                            ;   in Loop: Header=BB285_11 Depth=1
	s_delay_alu instid0(SALU_CYCLE_1) | instskip(NEXT) | instid1(SALU_CYCLE_1)
	s_or_b32 exec_lo, exec_lo, s8
	s_mov_b32 s19, exec_lo
	v_cmpx_lt_u32_e32 0xffffff, v2
	s_cbranch_execz .LBB285_971
; %bb.964:                              ;   in Loop: Header=BB285_11 Depth=1
	v_lshrrev_b32_e32 v3, 24, v2
	v_dual_mov_b32 v0, s2 :: v_dual_mov_b32 v1, s3
	s_mov_b32 s20, exec_lo
	scratch_store_b64 off, v[0:1], s32 offset:1096 ; 8-byte Folded Spill
	v_cmpx_ne_u32_e32 0x80, v3
	s_cbranch_execz .LBB285_970
; %bb.965:                              ;   in Loop: Header=BB285_11 Depth=1
	s_mov_b32 s8, s2
	v_bfe_u32 v4, v2, 24, 7
	v_dual_mov_b32 v0, s8 :: v_dual_mov_b32 v1, s9
	s_mov_b32 s8, exec_lo
	s_delay_alu instid0(VALU_DEP_2)
	v_cmpx_ne_u32_e32 0x7f, v4
	s_cbranch_execz .LBB285_969
; %bb.966:                              ;   in Loop: Header=BB285_11 Depth=1
	v_and_b32_e32 v15, 7, v3
	v_lshrrev_b32_e32 v2, 3, v4
	s_mov_b32 s21, exec_lo
	v_cmpx_gt_u32_e32 8, v4
; %bb.967:                              ;   in Loop: Header=BB285_11 Depth=1
	s_delay_alu instid0(VALU_DEP_3) | instskip(NEXT) | instid1(VALU_DEP_1)
	v_clz_i32_u32_e32 v2, v15
	v_min_u32_e32 v2, 32, v2
	s_delay_alu instid0(VALU_DEP_1) | instskip(SKIP_1) | instid1(VALU_DEP_2)
	v_subrev_nc_u32_e32 v4, 28, v2
	v_sub_nc_u32_e32 v2, 29, v2
	v_lshlrev_b64 v[4:5], v4, v[15:16]
	s_delay_alu instid0(VALU_DEP_1)
	v_and_b32_e32 v15, 7, v4
; %bb.968:                              ;   in Loop: Header=BB285_11 Depth=1
	s_or_b32 exec_lo, exec_lo, s21
	v_dual_mov_b32 v0, v16 :: v_dual_lshlrev_b32 v3, 24, v3
	s_delay_alu instid0(VALU_DEP_2) | instskip(SKIP_1) | instid1(VALU_DEP_3)
	v_lshlrev_b32_e32 v4, 20, v15
	v_lshl_add_u32 v2, v2, 23, 0x3c000000
	v_and_b32_e32 v3, 0x80000000, v3
	s_delay_alu instid0(VALU_DEP_1)
	v_or3_b32 v1, v4, v3, v2
.LBB285_969:                            ;   in Loop: Header=BB285_11 Depth=1
	s_or_b32 exec_lo, exec_lo, s8
	scratch_store_b64 off, v[0:1], s32 offset:1096 ; 8-byte Folded Spill
.LBB285_970:                            ;   in Loop: Header=BB285_11 Depth=1
	s_or_b32 exec_lo, exec_lo, s20
.LBB285_971:                            ;   in Loop: Header=BB285_11 Depth=1
	s_delay_alu instid0(SALU_CYCLE_1)
	s_or_b32 exec_lo, exec_lo, s19
	flat_load_b32 v2, v[154:155] offset:3592
	v_mov_b32_e32 v72, 0
	v_mov_b32_e32 v73, 0
	s_mov_b32 s8, exec_lo
	scratch_store_b64 off, v[72:73], s32 offset:1032 ; 8-byte Folded Spill
	s_waitcnt vmcnt(0) lgkmcnt(0)
	v_and_b32_e32 v3, 0xff, v2
	s_delay_alu instid0(VALU_DEP_1)
	v_cmpx_ne_u16_e32 0, v3
	s_cbranch_execz .LBB285_979
; %bb.972:                              ;   in Loop: Header=BB285_11 Depth=1
	v_bfrev_b32_e32 v0, 1
	v_mov_b32_e32 v1, 0
	s_mov_b32 s19, exec_lo
	scratch_store_b64 off, v[0:1], s32 offset:1032 ; 8-byte Folded Spill
	v_cmpx_ne_u16_e32 0x80, v3
	s_cbranch_execz .LBB285_978
; %bb.973:                              ;   in Loop: Header=BB285_11 Depth=1
	v_mov_b32_e32 v0, 0x7f800001
	v_dual_mov_b32 v1, 0 :: v_dual_and_b32 v4, 0x7f, v2
	s_mov_b32 s20, exec_lo
	scratch_store_b64 off, v[0:1], s32 offset:1032 ; 8-byte Folded Spill
	v_cmpx_ne_u32_e32 0x7f, v4
	s_cbranch_execz .LBB285_977
; %bb.974:                              ;   in Loop: Header=BB285_11 Depth=1
	v_and_b32_e32 v15, 7, v2
	v_lshrrev_b32_e32 v3, 3, v4
	s_mov_b32 s21, exec_lo
	v_cmpx_gt_u32_e32 8, v4
; %bb.975:                              ;   in Loop: Header=BB285_11 Depth=1
	s_delay_alu instid0(VALU_DEP_3) | instskip(NEXT) | instid1(VALU_DEP_1)
	v_clz_i32_u32_e32 v3, v15
	v_min_u32_e32 v3, 32, v3
	s_delay_alu instid0(VALU_DEP_1) | instskip(SKIP_1) | instid1(VALU_DEP_2)
	v_subrev_nc_u32_e32 v4, 28, v3
	v_sub_nc_u32_e32 v3, 29, v3
	v_lshlrev_b64 v[4:5], v4, v[15:16]
	s_delay_alu instid0(VALU_DEP_1)
	v_and_b32_e32 v15, 7, v4
; %bb.976:                              ;   in Loop: Header=BB285_11 Depth=1
	s_or_b32 exec_lo, exec_lo, s21
	v_lshlrev_b32_e32 v4, 24, v2
	s_delay_alu instid0(VALU_DEP_2) | instskip(SKIP_1) | instid1(VALU_DEP_3)
	v_lshlrev_b32_e32 v5, 20, v15
	v_lshl_add_u32 v3, v3, 23, 0x3c000000
	v_and_b32_e32 v4, 0x80000000, v4
	s_delay_alu instid0(VALU_DEP_1)
	v_or3_b32 v15, v5, v4, v3
	scratch_store_b64 off, v[15:16], s32 offset:1032 ; 8-byte Folded Spill
.LBB285_977:                            ;   in Loop: Header=BB285_11 Depth=1
	s_or_b32 exec_lo, exec_lo, s20
.LBB285_978:                            ;   in Loop: Header=BB285_11 Depth=1
	s_delay_alu instid0(SALU_CYCLE_1)
	s_or_b32 exec_lo, exec_lo, s19
.LBB285_979:                            ;   in Loop: Header=BB285_11 Depth=1
	s_delay_alu instid0(SALU_CYCLE_1) | instskip(SKIP_2) | instid1(VALU_DEP_1)
	s_or_b32 exec_lo, exec_lo, s8
	v_lshrrev_b16 v3, 8, v2
	s_mov_b32 s19, exec_lo
	v_cmpx_ne_u16_e32 0, v3
	s_cbranch_execz .LBB285_987
; %bb.980:                              ;   in Loop: Header=BB285_11 Depth=1
	v_dual_mov_b32 v73, s3 :: v_dual_mov_b32 v72, s2
	s_mov_b32 s20, exec_lo
	v_cmpx_ne_u16_e32 0x80, v3
	s_cbranch_execz .LBB285_986
; %bb.981:                              ;   in Loop: Header=BB285_11 Depth=1
	s_mov_b32 s8, s2
	v_and_b32_e32 v3, 0xffff, v3
	v_dual_mov_b32 v73, s9 :: v_dual_mov_b32 v72, s8
	s_mov_b32 s8, exec_lo
	s_delay_alu instid0(VALU_DEP_2) | instskip(NEXT) | instid1(VALU_DEP_1)
	v_and_b32_e32 v4, 0x7f, v3
	v_cmpx_ne_u32_e32 0x7f, v4
	s_cbranch_execz .LBB285_985
; %bb.982:                              ;   in Loop: Header=BB285_11 Depth=1
	v_and_b32_e32 v15, 7, v3
	v_lshrrev_b32_e32 v3, 3, v4
	s_mov_b32 s21, exec_lo
	v_cmpx_gt_u32_e32 8, v4
; %bb.983:                              ;   in Loop: Header=BB285_11 Depth=1
	s_delay_alu instid0(VALU_DEP_3) | instskip(NEXT) | instid1(VALU_DEP_1)
	v_clz_i32_u32_e32 v3, v15
	v_min_u32_e32 v3, 32, v3
	s_delay_alu instid0(VALU_DEP_1) | instskip(SKIP_1) | instid1(VALU_DEP_2)
	v_subrev_nc_u32_e32 v4, 28, v3
	v_sub_nc_u32_e32 v3, 29, v3
	v_lshlrev_b64 v[4:5], v4, v[15:16]
	s_delay_alu instid0(VALU_DEP_1)
	v_and_b32_e32 v15, 7, v4
; %bb.984:                              ;   in Loop: Header=BB285_11 Depth=1
	s_or_b32 exec_lo, exec_lo, s21
	v_lshlrev_b32_e32 v4, 16, v2
	s_delay_alu instid0(VALU_DEP_2) | instskip(SKIP_1) | instid1(VALU_DEP_3)
	v_dual_mov_b32 v72, v16 :: v_dual_lshlrev_b32 v5, 20, v15
	v_lshl_add_u32 v3, v3, 23, 0x3c000000
	v_and_b32_e32 v4, 0x80000000, v4
	s_delay_alu instid0(VALU_DEP_1)
	v_or3_b32 v73, v5, v4, v3
.LBB285_985:                            ;   in Loop: Header=BB285_11 Depth=1
	s_or_b32 exec_lo, exec_lo, s8
.LBB285_986:                            ;   in Loop: Header=BB285_11 Depth=1
	s_delay_alu instid0(SALU_CYCLE_1)
	s_or_b32 exec_lo, exec_lo, s20
.LBB285_987:                            ;   in Loop: Header=BB285_11 Depth=1
	s_delay_alu instid0(SALU_CYCLE_1) | instskip(SKIP_4) | instid1(VALU_DEP_3)
	s_or_b32 exec_lo, exec_lo, s19
	v_lshrrev_b32_e32 v3, 16, v2
	v_mov_b32_e32 v76, 0
	v_mov_b32_e32 v77, 0
	s_mov_b32 s8, exec_lo
	v_and_b32_e32 v6, 0xff, v3
	scratch_store_b64 off, v[76:77], s32 offset:1040 ; 8-byte Folded Spill
	v_cmpx_ne_u16_e32 0, v6
	s_cbranch_execz .LBB285_995
; %bb.988:                              ;   in Loop: Header=BB285_11 Depth=1
	v_bfrev_b32_e32 v0, 1
	v_mov_b32_e32 v1, 0
	s_mov_b32 s19, exec_lo
	scratch_store_b64 off, v[0:1], s32 offset:1040 ; 8-byte Folded Spill
	v_cmpx_ne_u16_e32 0x80, v6
	s_cbranch_execz .LBB285_994
; %bb.989:                              ;   in Loop: Header=BB285_11 Depth=1
	v_mov_b32_e32 v0, 0x7f800001
	v_bfe_u32 v6, v2, 16, 7
	v_mov_b32_e32 v1, 0
	s_mov_b32 s20, exec_lo
	scratch_store_b64 off, v[0:1], s32 offset:1040 ; 8-byte Folded Spill
	v_cmpx_ne_u32_e32 0x7f, v6
	s_cbranch_execz .LBB285_993
; %bb.990:                              ;   in Loop: Header=BB285_11 Depth=1
	v_and_b32_e32 v15, 7, v3
	v_lshrrev_b32_e32 v4, 3, v6
	s_mov_b32 s21, exec_lo
	v_cmpx_gt_u32_e32 8, v6
; %bb.991:                              ;   in Loop: Header=BB285_11 Depth=1
	s_delay_alu instid0(VALU_DEP_3) | instskip(NEXT) | instid1(VALU_DEP_1)
	v_clz_i32_u32_e32 v4, v15
	v_min_u32_e32 v4, 32, v4
	s_delay_alu instid0(VALU_DEP_1) | instskip(SKIP_1) | instid1(VALU_DEP_2)
	v_subrev_nc_u32_e32 v5, 28, v4
	v_sub_nc_u32_e32 v4, 29, v4
	v_lshlrev_b64 v[5:6], v5, v[15:16]
	s_delay_alu instid0(VALU_DEP_1)
	v_and_b32_e32 v15, 7, v5
; %bb.992:                              ;   in Loop: Header=BB285_11 Depth=1
	s_or_b32 exec_lo, exec_lo, s21
	v_lshlrev_b32_e32 v3, 24, v3
	s_delay_alu instid0(VALU_DEP_2) | instskip(SKIP_1) | instid1(VALU_DEP_3)
	v_lshlrev_b32_e32 v5, 20, v15
	v_lshl_add_u32 v4, v4, 23, 0x3c000000
	v_and_b32_e32 v3, 0x80000000, v3
	s_delay_alu instid0(VALU_DEP_1)
	v_or3_b32 v15, v5, v3, v4
	scratch_store_b64 off, v[15:16], s32 offset:1040 ; 8-byte Folded Spill
.LBB285_993:                            ;   in Loop: Header=BB285_11 Depth=1
	s_or_b32 exec_lo, exec_lo, s20
.LBB285_994:                            ;   in Loop: Header=BB285_11 Depth=1
	s_delay_alu instid0(SALU_CYCLE_1)
	s_or_b32 exec_lo, exec_lo, s19
.LBB285_995:                            ;   in Loop: Header=BB285_11 Depth=1
	s_delay_alu instid0(SALU_CYCLE_1) | instskip(NEXT) | instid1(SALU_CYCLE_1)
	s_or_b32 exec_lo, exec_lo, s8
	s_mov_b32 s19, exec_lo
	v_cmpx_lt_u32_e32 0xffffff, v2
	s_cbranch_execz .LBB285_1003
; %bb.996:                              ;   in Loop: Header=BB285_11 Depth=1
	v_lshrrev_b32_e32 v3, 24, v2
	v_dual_mov_b32 v77, s3 :: v_dual_mov_b32 v76, s2
	s_mov_b32 s20, exec_lo
	s_delay_alu instid0(VALU_DEP_2)
	v_cmpx_ne_u32_e32 0x80, v3
	s_cbranch_execz .LBB285_1002
; %bb.997:                              ;   in Loop: Header=BB285_11 Depth=1
	s_mov_b32 s8, s2
	v_bfe_u32 v6, v2, 24, 7
	v_dual_mov_b32 v77, s9 :: v_dual_mov_b32 v76, s8
	s_mov_b32 s8, exec_lo
	s_delay_alu instid0(VALU_DEP_2)
	v_cmpx_ne_u32_e32 0x7f, v6
	s_cbranch_execz .LBB285_1001
; %bb.998:                              ;   in Loop: Header=BB285_11 Depth=1
	v_and_b32_e32 v15, 7, v3
	v_lshrrev_b32_e32 v2, 3, v6
	s_mov_b32 s21, exec_lo
	v_cmpx_gt_u32_e32 8, v6
; %bb.999:                              ;   in Loop: Header=BB285_11 Depth=1
	s_delay_alu instid0(VALU_DEP_3) | instskip(NEXT) | instid1(VALU_DEP_1)
	v_clz_i32_u32_e32 v2, v15
	v_min_u32_e32 v2, 32, v2
	s_delay_alu instid0(VALU_DEP_1) | instskip(SKIP_1) | instid1(VALU_DEP_2)
	v_subrev_nc_u32_e32 v6, 28, v2
	v_sub_nc_u32_e32 v2, 29, v2
	v_lshlrev_b64 v[6:7], v6, v[15:16]
	s_delay_alu instid0(VALU_DEP_1)
	v_and_b32_e32 v15, 7, v6
; %bb.1000:                             ;   in Loop: Header=BB285_11 Depth=1
	s_or_b32 exec_lo, exec_lo, s21
	v_dual_mov_b32 v76, v16 :: v_dual_lshlrev_b32 v3, 24, v3
	s_delay_alu instid0(VALU_DEP_2) | instskip(SKIP_1) | instid1(VALU_DEP_3)
	v_lshlrev_b32_e32 v6, 20, v15
	v_lshl_add_u32 v2, v2, 23, 0x3c000000
	v_and_b32_e32 v3, 0x80000000, v3
	s_delay_alu instid0(VALU_DEP_1)
	v_or3_b32 v77, v6, v3, v2
.LBB285_1001:                           ;   in Loop: Header=BB285_11 Depth=1
	s_or_b32 exec_lo, exec_lo, s8
.LBB285_1002:                           ;   in Loop: Header=BB285_11 Depth=1
	s_delay_alu instid0(SALU_CYCLE_1)
	s_or_b32 exec_lo, exec_lo, s20
.LBB285_1003:                           ;   in Loop: Header=BB285_11 Depth=1
	s_delay_alu instid0(SALU_CYCLE_1)
	s_or_b32 exec_lo, exec_lo, s19
	flat_load_b32 v2, v[154:155] offset:3596
	v_mov_b32_e32 v88, 0
	v_mov_b32_e32 v89, 0
	s_mov_b32 s8, exec_lo
	scratch_store_b64 off, v[88:89], s32 offset:1104 ; 8-byte Folded Spill
	s_waitcnt vmcnt(0) lgkmcnt(0)
	v_and_b32_e32 v3, 0xff, v2
	s_delay_alu instid0(VALU_DEP_1)
	v_cmpx_ne_u16_e32 0, v3
	s_cbranch_execz .LBB285_1011
; %bb.1004:                             ;   in Loop: Header=BB285_11 Depth=1
	v_bfrev_b32_e32 v0, 1
	v_mov_b32_e32 v1, 0
	s_mov_b32 s19, exec_lo
	v_cmpx_ne_u16_e32 0x80, v3
	s_cbranch_execz .LBB285_1010
; %bb.1005:                             ;   in Loop: Header=BB285_11 Depth=1
	v_mov_b32_e32 v0, 0x7f800001
	v_dual_mov_b32 v1, 0 :: v_dual_and_b32 v6, 0x7f, v2
	s_mov_b32 s20, exec_lo
	s_delay_alu instid0(VALU_DEP_1)
	v_cmpx_ne_u32_e32 0x7f, v6
	s_cbranch_execz .LBB285_1009
; %bb.1006:                             ;   in Loop: Header=BB285_11 Depth=1
	v_and_b32_e32 v15, 7, v2
	v_lshrrev_b32_e32 v3, 3, v6
	s_mov_b32 s21, exec_lo
	v_cmpx_gt_u32_e32 8, v6
; %bb.1007:                             ;   in Loop: Header=BB285_11 Depth=1
	s_delay_alu instid0(VALU_DEP_3) | instskip(NEXT) | instid1(VALU_DEP_1)
	v_clz_i32_u32_e32 v3, v15
	v_min_u32_e32 v3, 32, v3
	s_delay_alu instid0(VALU_DEP_1) | instskip(SKIP_1) | instid1(VALU_DEP_2)
	v_subrev_nc_u32_e32 v6, 28, v3
	v_sub_nc_u32_e32 v3, 29, v3
	v_lshlrev_b64 v[6:7], v6, v[15:16]
	s_delay_alu instid0(VALU_DEP_1)
	v_and_b32_e32 v15, 7, v6
; %bb.1008:                             ;   in Loop: Header=BB285_11 Depth=1
	s_or_b32 exec_lo, exec_lo, s21
	v_lshlrev_b32_e32 v6, 24, v2
	s_delay_alu instid0(VALU_DEP_2) | instskip(SKIP_1) | instid1(VALU_DEP_3)
	v_lshlrev_b32_e32 v7, 20, v15
	v_lshl_add_u32 v3, v3, 23, 0x3c000000
	v_and_b32_e32 v6, 0x80000000, v6
	s_delay_alu instid0(VALU_DEP_1) | instskip(NEXT) | instid1(VALU_DEP_1)
	v_or3_b32 v15, v7, v6, v3
	v_dual_mov_b32 v0, v15 :: v_dual_mov_b32 v1, v16
.LBB285_1009:                           ;   in Loop: Header=BB285_11 Depth=1
	s_or_b32 exec_lo, exec_lo, s20
.LBB285_1010:                           ;   in Loop: Header=BB285_11 Depth=1
	s_delay_alu instid0(SALU_CYCLE_1)
	s_or_b32 exec_lo, exec_lo, s19
	scratch_store_b64 off, v[0:1], s32 offset:1104 ; 8-byte Folded Spill
.LBB285_1011:                           ;   in Loop: Header=BB285_11 Depth=1
	s_or_b32 exec_lo, exec_lo, s8
	v_lshrrev_b16 v3, 8, v2
	s_mov_b32 s19, exec_lo
	s_delay_alu instid0(VALU_DEP_1)
	v_cmpx_ne_u16_e32 0, v3
	s_cbranch_execz .LBB285_1019
; %bb.1012:                             ;   in Loop: Header=BB285_11 Depth=1
	v_dual_mov_b32 v89, s3 :: v_dual_mov_b32 v88, s2
	s_mov_b32 s20, exec_lo
	v_cmpx_ne_u16_e32 0x80, v3
	s_cbranch_execz .LBB285_1018
; %bb.1013:                             ;   in Loop: Header=BB285_11 Depth=1
	s_mov_b32 s8, s2
	v_and_b32_e32 v3, 0xffff, v3
	v_dual_mov_b32 v89, s9 :: v_dual_mov_b32 v88, s8
	s_mov_b32 s8, exec_lo
	s_delay_alu instid0(VALU_DEP_2) | instskip(NEXT) | instid1(VALU_DEP_1)
	v_and_b32_e32 v6, 0x7f, v3
	v_cmpx_ne_u32_e32 0x7f, v6
	s_cbranch_execz .LBB285_1017
; %bb.1014:                             ;   in Loop: Header=BB285_11 Depth=1
	v_and_b32_e32 v15, 7, v3
	v_lshrrev_b32_e32 v3, 3, v6
	s_mov_b32 s21, exec_lo
	v_cmpx_gt_u32_e32 8, v6
; %bb.1015:                             ;   in Loop: Header=BB285_11 Depth=1
	s_delay_alu instid0(VALU_DEP_3) | instskip(NEXT) | instid1(VALU_DEP_1)
	v_clz_i32_u32_e32 v3, v15
	v_min_u32_e32 v3, 32, v3
	s_delay_alu instid0(VALU_DEP_1) | instskip(SKIP_1) | instid1(VALU_DEP_2)
	v_subrev_nc_u32_e32 v6, 28, v3
	v_sub_nc_u32_e32 v3, 29, v3
	v_lshlrev_b64 v[6:7], v6, v[15:16]
	s_delay_alu instid0(VALU_DEP_1)
	v_and_b32_e32 v15, 7, v6
; %bb.1016:                             ;   in Loop: Header=BB285_11 Depth=1
	s_or_b32 exec_lo, exec_lo, s21
	v_lshlrev_b32_e32 v6, 16, v2
	s_delay_alu instid0(VALU_DEP_2) | instskip(SKIP_1) | instid1(VALU_DEP_3)
	v_dual_mov_b32 v88, v16 :: v_dual_lshlrev_b32 v7, 20, v15
	v_lshl_add_u32 v3, v3, 23, 0x3c000000
	v_and_b32_e32 v6, 0x80000000, v6
	s_delay_alu instid0(VALU_DEP_1)
	v_or3_b32 v89, v7, v6, v3
.LBB285_1017:                           ;   in Loop: Header=BB285_11 Depth=1
	s_or_b32 exec_lo, exec_lo, s8
.LBB285_1018:                           ;   in Loop: Header=BB285_11 Depth=1
	s_delay_alu instid0(SALU_CYCLE_1)
	s_or_b32 exec_lo, exec_lo, s20
.LBB285_1019:                           ;   in Loop: Header=BB285_11 Depth=1
	s_delay_alu instid0(SALU_CYCLE_1) | instskip(SKIP_4) | instid1(VALU_DEP_3)
	s_or_b32 exec_lo, exec_lo, s19
	v_lshrrev_b32_e32 v3, 16, v2
	v_mov_b32_e32 v92, 0
	v_mov_b32_e32 v93, 0
	s_mov_b32 s8, exec_lo
	v_and_b32_e32 v6, 0xff, v3
	scratch_store_b64 off, v[92:93], s32 offset:1112 ; 8-byte Folded Spill
	v_cmpx_ne_u16_e32 0, v6
	s_cbranch_execz .LBB285_1027
; %bb.1020:                             ;   in Loop: Header=BB285_11 Depth=1
	v_bfrev_b32_e32 v0, 1
	v_mov_b32_e32 v1, 0
	s_mov_b32 s19, exec_lo
	v_cmpx_ne_u16_e32 0x80, v6
	s_cbranch_execz .LBB285_1026
; %bb.1021:                             ;   in Loop: Header=BB285_11 Depth=1
	v_mov_b32_e32 v0, 0x7f800001
	v_bfe_u32 v7, v2, 16, 7
	v_mov_b32_e32 v1, 0
	s_mov_b32 s20, exec_lo
	s_delay_alu instid0(VALU_DEP_2)
	v_cmpx_ne_u32_e32 0x7f, v7
	s_cbranch_execz .LBB285_1025
; %bb.1022:                             ;   in Loop: Header=BB285_11 Depth=1
	v_and_b32_e32 v15, 7, v3
	v_lshrrev_b32_e32 v6, 3, v7
	s_mov_b32 s21, exec_lo
	v_cmpx_gt_u32_e32 8, v7
; %bb.1023:                             ;   in Loop: Header=BB285_11 Depth=1
	s_delay_alu instid0(VALU_DEP_3) | instskip(NEXT) | instid1(VALU_DEP_1)
	v_clz_i32_u32_e32 v6, v15
	v_min_u32_e32 v6, 32, v6
	s_delay_alu instid0(VALU_DEP_1) | instskip(SKIP_1) | instid1(VALU_DEP_2)
	v_subrev_nc_u32_e32 v7, 28, v6
	v_sub_nc_u32_e32 v6, 29, v6
	v_lshlrev_b64 v[7:8], v7, v[15:16]
	s_delay_alu instid0(VALU_DEP_1)
	v_and_b32_e32 v15, 7, v7
; %bb.1024:                             ;   in Loop: Header=BB285_11 Depth=1
	s_or_b32 exec_lo, exec_lo, s21
	v_lshlrev_b32_e32 v3, 24, v3
	s_delay_alu instid0(VALU_DEP_2) | instskip(SKIP_1) | instid1(VALU_DEP_3)
	v_lshlrev_b32_e32 v7, 20, v15
	v_lshl_add_u32 v6, v6, 23, 0x3c000000
	v_and_b32_e32 v3, 0x80000000, v3
	s_delay_alu instid0(VALU_DEP_1) | instskip(NEXT) | instid1(VALU_DEP_1)
	v_or3_b32 v15, v7, v3, v6
	v_dual_mov_b32 v0, v15 :: v_dual_mov_b32 v1, v16
.LBB285_1025:                           ;   in Loop: Header=BB285_11 Depth=1
	s_or_b32 exec_lo, exec_lo, s20
.LBB285_1026:                           ;   in Loop: Header=BB285_11 Depth=1
	s_delay_alu instid0(SALU_CYCLE_1)
	s_or_b32 exec_lo, exec_lo, s19
	scratch_store_b64 off, v[0:1], s32 offset:1112 ; 8-byte Folded Spill
.LBB285_1027:                           ;   in Loop: Header=BB285_11 Depth=1
	s_or_b32 exec_lo, exec_lo, s8
	s_delay_alu instid0(SALU_CYCLE_1)
	s_mov_b32 s19, exec_lo
	v_cmpx_lt_u32_e32 0xffffff, v2
	s_cbranch_execz .LBB285_1035
; %bb.1028:                             ;   in Loop: Header=BB285_11 Depth=1
	v_lshrrev_b32_e32 v3, 24, v2
	v_dual_mov_b32 v93, s3 :: v_dual_mov_b32 v92, s2
	s_mov_b32 s20, exec_lo
	s_delay_alu instid0(VALU_DEP_2)
	v_cmpx_ne_u32_e32 0x80, v3
	s_cbranch_execz .LBB285_1034
; %bb.1029:                             ;   in Loop: Header=BB285_11 Depth=1
	s_mov_b32 s8, s2
	v_bfe_u32 v6, v2, 24, 7
	v_dual_mov_b32 v93, s9 :: v_dual_mov_b32 v92, s8
	s_mov_b32 s8, exec_lo
	s_delay_alu instid0(VALU_DEP_2)
	v_cmpx_ne_u32_e32 0x7f, v6
	s_cbranch_execz .LBB285_1033
; %bb.1030:                             ;   in Loop: Header=BB285_11 Depth=1
	v_and_b32_e32 v15, 7, v3
	v_lshrrev_b32_e32 v2, 3, v6
	s_mov_b32 s21, exec_lo
	v_cmpx_gt_u32_e32 8, v6
; %bb.1031:                             ;   in Loop: Header=BB285_11 Depth=1
	s_delay_alu instid0(VALU_DEP_3) | instskip(NEXT) | instid1(VALU_DEP_1)
	v_clz_i32_u32_e32 v2, v15
	v_min_u32_e32 v2, 32, v2
	s_delay_alu instid0(VALU_DEP_1) | instskip(SKIP_1) | instid1(VALU_DEP_2)
	v_subrev_nc_u32_e32 v6, 28, v2
	v_sub_nc_u32_e32 v2, 29, v2
	v_lshlrev_b64 v[6:7], v6, v[15:16]
	s_delay_alu instid0(VALU_DEP_1)
	v_and_b32_e32 v15, 7, v6
; %bb.1032:                             ;   in Loop: Header=BB285_11 Depth=1
	s_or_b32 exec_lo, exec_lo, s21
	v_dual_mov_b32 v92, v16 :: v_dual_lshlrev_b32 v3, 24, v3
	s_delay_alu instid0(VALU_DEP_2) | instskip(SKIP_1) | instid1(VALU_DEP_3)
	v_lshlrev_b32_e32 v6, 20, v15
	v_lshl_add_u32 v2, v2, 23, 0x3c000000
	v_and_b32_e32 v3, 0x80000000, v3
	s_delay_alu instid0(VALU_DEP_1)
	v_or3_b32 v93, v6, v3, v2
.LBB285_1033:                           ;   in Loop: Header=BB285_11 Depth=1
	s_or_b32 exec_lo, exec_lo, s8
.LBB285_1034:                           ;   in Loop: Header=BB285_11 Depth=1
	s_delay_alu instid0(SALU_CYCLE_1)
	s_or_b32 exec_lo, exec_lo, s20
.LBB285_1035:                           ;   in Loop: Header=BB285_11 Depth=1
	s_delay_alu instid0(SALU_CYCLE_1) | instskip(SKIP_1) | instid1(VALU_DEP_1)
	s_or_b32 exec_lo, exec_lo, s19
	v_add_co_u32 v102, s1, 0x1000, v154
	v_add_co_ci_u32_e64 v103, s1, 0, v155, s1
	s_mov_b32 s8, exec_lo
	flat_load_b32 v2, v[102:103]
	v_mov_b32_e32 v154, 0
	v_mov_b32_e32 v155, 0
	scratch_store_b64 off, v[154:155], s32 offset:1120 ; 8-byte Folded Spill
	s_waitcnt vmcnt(0) lgkmcnt(0)
	v_and_b32_e32 v3, 0xff, v2
	s_delay_alu instid0(VALU_DEP_1)
	v_cmpx_ne_u16_e32 0, v3
	s_cbranch_execz .LBB285_1043
; %bb.1036:                             ;   in Loop: Header=BB285_11 Depth=1
	v_bfrev_b32_e32 v0, 1
	v_mov_b32_e32 v1, 0
	s_mov_b32 s19, exec_lo
	v_cmpx_ne_u16_e32 0x80, v3
	s_cbranch_execz .LBB285_1042
; %bb.1037:                             ;   in Loop: Header=BB285_11 Depth=1
	v_mov_b32_e32 v0, 0x7f800001
	v_dual_mov_b32 v1, 0 :: v_dual_and_b32 v6, 0x7f, v2
	s_mov_b32 s20, exec_lo
	s_delay_alu instid0(VALU_DEP_1)
	v_cmpx_ne_u32_e32 0x7f, v6
	s_cbranch_execz .LBB285_1041
; %bb.1038:                             ;   in Loop: Header=BB285_11 Depth=1
	v_and_b32_e32 v15, 7, v2
	v_lshrrev_b32_e32 v3, 3, v6
	s_mov_b32 s21, exec_lo
	v_cmpx_gt_u32_e32 8, v6
; %bb.1039:                             ;   in Loop: Header=BB285_11 Depth=1
	s_delay_alu instid0(VALU_DEP_3) | instskip(NEXT) | instid1(VALU_DEP_1)
	v_clz_i32_u32_e32 v3, v15
	v_min_u32_e32 v3, 32, v3
	s_delay_alu instid0(VALU_DEP_1) | instskip(SKIP_1) | instid1(VALU_DEP_2)
	v_subrev_nc_u32_e32 v6, 28, v3
	v_sub_nc_u32_e32 v3, 29, v3
	v_lshlrev_b64 v[6:7], v6, v[15:16]
	s_delay_alu instid0(VALU_DEP_1)
	v_and_b32_e32 v15, 7, v6
; %bb.1040:                             ;   in Loop: Header=BB285_11 Depth=1
	s_or_b32 exec_lo, exec_lo, s21
	v_lshlrev_b32_e32 v6, 24, v2
	s_delay_alu instid0(VALU_DEP_2) | instskip(SKIP_1) | instid1(VALU_DEP_3)
	v_lshlrev_b32_e32 v7, 20, v15
	v_lshl_add_u32 v3, v3, 23, 0x3c000000
	v_and_b32_e32 v6, 0x80000000, v6
	s_delay_alu instid0(VALU_DEP_1) | instskip(NEXT) | instid1(VALU_DEP_1)
	v_or3_b32 v15, v7, v6, v3
	v_dual_mov_b32 v0, v15 :: v_dual_mov_b32 v1, v16
.LBB285_1041:                           ;   in Loop: Header=BB285_11 Depth=1
	s_or_b32 exec_lo, exec_lo, s20
.LBB285_1042:                           ;   in Loop: Header=BB285_11 Depth=1
	s_delay_alu instid0(SALU_CYCLE_1)
	s_or_b32 exec_lo, exec_lo, s19
	scratch_store_b64 off, v[0:1], s32 offset:1120 ; 8-byte Folded Spill
.LBB285_1043:                           ;   in Loop: Header=BB285_11 Depth=1
	s_or_b32 exec_lo, exec_lo, s8
	v_lshrrev_b16 v3, 8, v2
	s_mov_b32 s19, exec_lo
	s_delay_alu instid0(VALU_DEP_1)
	v_cmpx_ne_u16_e32 0, v3
	s_cbranch_execz .LBB285_1051
; %bb.1044:                             ;   in Loop: Header=BB285_11 Depth=1
	v_dual_mov_b32 v155, s3 :: v_dual_mov_b32 v154, s2
	s_mov_b32 s20, exec_lo
	v_cmpx_ne_u16_e32 0x80, v3
	s_cbranch_execz .LBB285_1050
; %bb.1045:                             ;   in Loop: Header=BB285_11 Depth=1
	s_mov_b32 s8, s2
	v_and_b32_e32 v3, 0xffff, v3
	v_dual_mov_b32 v155, s9 :: v_dual_mov_b32 v154, s8
	s_mov_b32 s8, exec_lo
	s_delay_alu instid0(VALU_DEP_2) | instskip(NEXT) | instid1(VALU_DEP_1)
	v_and_b32_e32 v6, 0x7f, v3
	v_cmpx_ne_u32_e32 0x7f, v6
	s_cbranch_execz .LBB285_1049
; %bb.1046:                             ;   in Loop: Header=BB285_11 Depth=1
	v_and_b32_e32 v15, 7, v3
	v_lshrrev_b32_e32 v3, 3, v6
	s_mov_b32 s21, exec_lo
	v_cmpx_gt_u32_e32 8, v6
; %bb.1047:                             ;   in Loop: Header=BB285_11 Depth=1
	s_delay_alu instid0(VALU_DEP_3) | instskip(NEXT) | instid1(VALU_DEP_1)
	v_clz_i32_u32_e32 v3, v15
	v_min_u32_e32 v3, 32, v3
	s_delay_alu instid0(VALU_DEP_1) | instskip(SKIP_1) | instid1(VALU_DEP_2)
	v_subrev_nc_u32_e32 v6, 28, v3
	v_sub_nc_u32_e32 v3, 29, v3
	v_lshlrev_b64 v[6:7], v6, v[15:16]
	s_delay_alu instid0(VALU_DEP_1)
	v_and_b32_e32 v15, 7, v6
; %bb.1048:                             ;   in Loop: Header=BB285_11 Depth=1
	s_or_b32 exec_lo, exec_lo, s21
	v_lshlrev_b32_e32 v6, 16, v2
	s_delay_alu instid0(VALU_DEP_2) | instskip(SKIP_1) | instid1(VALU_DEP_3)
	v_dual_mov_b32 v154, v16 :: v_dual_lshlrev_b32 v7, 20, v15
	v_lshl_add_u32 v3, v3, 23, 0x3c000000
	v_and_b32_e32 v6, 0x80000000, v6
	s_delay_alu instid0(VALU_DEP_1)
	v_or3_b32 v155, v7, v6, v3
.LBB285_1049:                           ;   in Loop: Header=BB285_11 Depth=1
	s_or_b32 exec_lo, exec_lo, s8
.LBB285_1050:                           ;   in Loop: Header=BB285_11 Depth=1
	s_delay_alu instid0(SALU_CYCLE_1)
	s_or_b32 exec_lo, exec_lo, s20
.LBB285_1051:                           ;   in Loop: Header=BB285_11 Depth=1
	s_delay_alu instid0(SALU_CYCLE_1) | instskip(SKIP_4) | instid1(VALU_DEP_3)
	s_or_b32 exec_lo, exec_lo, s19
	v_lshrrev_b32_e32 v3, 16, v2
	v_mov_b32_e32 v104, 0
	v_mov_b32_e32 v105, 0
	s_mov_b32 s8, exec_lo
	v_and_b32_e32 v6, 0xff, v3
	scratch_store_b64 off, v[104:105], s32 offset:1128 ; 8-byte Folded Spill
	v_cmpx_ne_u16_e32 0, v6
	s_cbranch_execz .LBB285_1059
; %bb.1052:                             ;   in Loop: Header=BB285_11 Depth=1
	v_bfrev_b32_e32 v0, 1
	v_mov_b32_e32 v1, 0
	s_mov_b32 s19, exec_lo
	v_cmpx_ne_u16_e32 0x80, v6
	s_cbranch_execz .LBB285_1058
; %bb.1053:                             ;   in Loop: Header=BB285_11 Depth=1
	v_mov_b32_e32 v0, 0x7f800001
	v_bfe_u32 v7, v2, 16, 7
	v_mov_b32_e32 v1, 0
	s_mov_b32 s20, exec_lo
	s_delay_alu instid0(VALU_DEP_2)
	v_cmpx_ne_u32_e32 0x7f, v7
	s_cbranch_execz .LBB285_1057
; %bb.1054:                             ;   in Loop: Header=BB285_11 Depth=1
	v_and_b32_e32 v15, 7, v3
	v_lshrrev_b32_e32 v6, 3, v7
	s_mov_b32 s21, exec_lo
	v_cmpx_gt_u32_e32 8, v7
; %bb.1055:                             ;   in Loop: Header=BB285_11 Depth=1
	s_delay_alu instid0(VALU_DEP_3) | instskip(NEXT) | instid1(VALU_DEP_1)
	v_clz_i32_u32_e32 v6, v15
	v_min_u32_e32 v6, 32, v6
	s_delay_alu instid0(VALU_DEP_1) | instskip(SKIP_1) | instid1(VALU_DEP_2)
	v_subrev_nc_u32_e32 v7, 28, v6
	v_sub_nc_u32_e32 v6, 29, v6
	v_lshlrev_b64 v[7:8], v7, v[15:16]
	s_delay_alu instid0(VALU_DEP_1)
	v_and_b32_e32 v15, 7, v7
; %bb.1056:                             ;   in Loop: Header=BB285_11 Depth=1
	s_or_b32 exec_lo, exec_lo, s21
	v_lshlrev_b32_e32 v3, 24, v3
	s_delay_alu instid0(VALU_DEP_2) | instskip(SKIP_1) | instid1(VALU_DEP_3)
	v_lshlrev_b32_e32 v7, 20, v15
	v_lshl_add_u32 v6, v6, 23, 0x3c000000
	v_and_b32_e32 v3, 0x80000000, v3
	s_delay_alu instid0(VALU_DEP_1) | instskip(NEXT) | instid1(VALU_DEP_1)
	v_or3_b32 v15, v7, v3, v6
	v_dual_mov_b32 v0, v15 :: v_dual_mov_b32 v1, v16
.LBB285_1057:                           ;   in Loop: Header=BB285_11 Depth=1
	s_or_b32 exec_lo, exec_lo, s20
.LBB285_1058:                           ;   in Loop: Header=BB285_11 Depth=1
	s_delay_alu instid0(SALU_CYCLE_1)
	s_or_b32 exec_lo, exec_lo, s19
	scratch_store_b64 off, v[0:1], s32 offset:1128 ; 8-byte Folded Spill
.LBB285_1059:                           ;   in Loop: Header=BB285_11 Depth=1
	s_or_b32 exec_lo, exec_lo, s8
	s_delay_alu instid0(SALU_CYCLE_1)
	s_mov_b32 s19, exec_lo
	v_cmpx_lt_u32_e32 0xffffff, v2
	s_cbranch_execz .LBB285_1067
; %bb.1060:                             ;   in Loop: Header=BB285_11 Depth=1
	v_lshrrev_b32_e32 v3, 24, v2
	v_dual_mov_b32 v105, s3 :: v_dual_mov_b32 v104, s2
	s_mov_b32 s20, exec_lo
	s_delay_alu instid0(VALU_DEP_2)
	v_cmpx_ne_u32_e32 0x80, v3
	s_cbranch_execz .LBB285_1066
; %bb.1061:                             ;   in Loop: Header=BB285_11 Depth=1
	s_mov_b32 s8, s2
	v_bfe_u32 v6, v2, 24, 7
	v_dual_mov_b32 v105, s9 :: v_dual_mov_b32 v104, s8
	s_mov_b32 s8, exec_lo
	s_delay_alu instid0(VALU_DEP_2)
	v_cmpx_ne_u32_e32 0x7f, v6
	s_cbranch_execz .LBB285_1065
; %bb.1062:                             ;   in Loop: Header=BB285_11 Depth=1
	v_and_b32_e32 v15, 7, v3
	v_lshrrev_b32_e32 v2, 3, v6
	s_mov_b32 s21, exec_lo
	v_cmpx_gt_u32_e32 8, v6
; %bb.1063:                             ;   in Loop: Header=BB285_11 Depth=1
	s_delay_alu instid0(VALU_DEP_3) | instskip(NEXT) | instid1(VALU_DEP_1)
	v_clz_i32_u32_e32 v2, v15
	v_min_u32_e32 v2, 32, v2
	s_delay_alu instid0(VALU_DEP_1) | instskip(SKIP_1) | instid1(VALU_DEP_2)
	v_subrev_nc_u32_e32 v6, 28, v2
	v_sub_nc_u32_e32 v2, 29, v2
	v_lshlrev_b64 v[6:7], v6, v[15:16]
	s_delay_alu instid0(VALU_DEP_1)
	v_and_b32_e32 v15, 7, v6
; %bb.1064:                             ;   in Loop: Header=BB285_11 Depth=1
	s_or_b32 exec_lo, exec_lo, s21
	v_dual_mov_b32 v104, v16 :: v_dual_lshlrev_b32 v3, 24, v3
	s_delay_alu instid0(VALU_DEP_2) | instskip(SKIP_1) | instid1(VALU_DEP_3)
	v_lshlrev_b32_e32 v6, 20, v15
	v_lshl_add_u32 v2, v2, 23, 0x3c000000
	v_and_b32_e32 v3, 0x80000000, v3
	s_delay_alu instid0(VALU_DEP_1)
	v_or3_b32 v105, v6, v3, v2
.LBB285_1065:                           ;   in Loop: Header=BB285_11 Depth=1
	s_or_b32 exec_lo, exec_lo, s8
.LBB285_1066:                           ;   in Loop: Header=BB285_11 Depth=1
	s_delay_alu instid0(SALU_CYCLE_1)
	s_or_b32 exec_lo, exec_lo, s20
.LBB285_1067:                           ;   in Loop: Header=BB285_11 Depth=1
	s_delay_alu instid0(SALU_CYCLE_1)
	s_or_b32 exec_lo, exec_lo, s19
	flat_load_b32 v2, v[102:103] offset:4
	v_mov_b32_e32 v108, 0
	v_mov_b32_e32 v109, 0
	s_mov_b32 s8, exec_lo
	scratch_store_b64 off, v[108:109], s32 offset:1136 ; 8-byte Folded Spill
	s_waitcnt vmcnt(0) lgkmcnt(0)
	v_and_b32_e32 v3, 0xff, v2
	s_delay_alu instid0(VALU_DEP_1)
	v_cmpx_ne_u16_e32 0, v3
	s_cbranch_execz .LBB285_1075
; %bb.1068:                             ;   in Loop: Header=BB285_11 Depth=1
	v_bfrev_b32_e32 v0, 1
	v_mov_b32_e32 v1, 0
	s_mov_b32 s19, exec_lo
	v_cmpx_ne_u16_e32 0x80, v3
	s_cbranch_execz .LBB285_1074
; %bb.1069:                             ;   in Loop: Header=BB285_11 Depth=1
	v_mov_b32_e32 v0, 0x7f800001
	v_dual_mov_b32 v1, 0 :: v_dual_and_b32 v6, 0x7f, v2
	s_mov_b32 s20, exec_lo
	s_delay_alu instid0(VALU_DEP_1)
	v_cmpx_ne_u32_e32 0x7f, v6
	s_cbranch_execz .LBB285_1073
; %bb.1070:                             ;   in Loop: Header=BB285_11 Depth=1
	v_and_b32_e32 v15, 7, v2
	v_lshrrev_b32_e32 v3, 3, v6
	s_mov_b32 s21, exec_lo
	v_cmpx_gt_u32_e32 8, v6
; %bb.1071:                             ;   in Loop: Header=BB285_11 Depth=1
	s_delay_alu instid0(VALU_DEP_3) | instskip(NEXT) | instid1(VALU_DEP_1)
	v_clz_i32_u32_e32 v3, v15
	v_min_u32_e32 v3, 32, v3
	s_delay_alu instid0(VALU_DEP_1) | instskip(SKIP_1) | instid1(VALU_DEP_2)
	v_subrev_nc_u32_e32 v6, 28, v3
	v_sub_nc_u32_e32 v3, 29, v3
	v_lshlrev_b64 v[6:7], v6, v[15:16]
	s_delay_alu instid0(VALU_DEP_1)
	v_and_b32_e32 v15, 7, v6
; %bb.1072:                             ;   in Loop: Header=BB285_11 Depth=1
	s_or_b32 exec_lo, exec_lo, s21
	v_lshlrev_b32_e32 v6, 24, v2
	s_delay_alu instid0(VALU_DEP_2) | instskip(SKIP_1) | instid1(VALU_DEP_3)
	v_lshlrev_b32_e32 v7, 20, v15
	v_lshl_add_u32 v3, v3, 23, 0x3c000000
	v_and_b32_e32 v6, 0x80000000, v6
	s_delay_alu instid0(VALU_DEP_1) | instskip(NEXT) | instid1(VALU_DEP_1)
	v_or3_b32 v15, v7, v6, v3
	v_dual_mov_b32 v0, v15 :: v_dual_mov_b32 v1, v16
.LBB285_1073:                           ;   in Loop: Header=BB285_11 Depth=1
	s_or_b32 exec_lo, exec_lo, s20
.LBB285_1074:                           ;   in Loop: Header=BB285_11 Depth=1
	s_delay_alu instid0(SALU_CYCLE_1)
	s_or_b32 exec_lo, exec_lo, s19
	scratch_store_b64 off, v[0:1], s32 offset:1136 ; 8-byte Folded Spill
.LBB285_1075:                           ;   in Loop: Header=BB285_11 Depth=1
	s_or_b32 exec_lo, exec_lo, s8
	v_lshrrev_b16 v3, 8, v2
	s_mov_b32 s19, exec_lo
	s_delay_alu instid0(VALU_DEP_1)
	v_cmpx_ne_u16_e32 0, v3
	s_cbranch_execz .LBB285_1083
; %bb.1076:                             ;   in Loop: Header=BB285_11 Depth=1
	v_dual_mov_b32 v109, s3 :: v_dual_mov_b32 v108, s2
	s_mov_b32 s20, exec_lo
	v_cmpx_ne_u16_e32 0x80, v3
	s_cbranch_execz .LBB285_1082
; %bb.1077:                             ;   in Loop: Header=BB285_11 Depth=1
	s_mov_b32 s8, s2
	v_and_b32_e32 v3, 0xffff, v3
	v_dual_mov_b32 v109, s9 :: v_dual_mov_b32 v108, s8
	s_mov_b32 s8, exec_lo
	s_delay_alu instid0(VALU_DEP_2) | instskip(NEXT) | instid1(VALU_DEP_1)
	v_and_b32_e32 v6, 0x7f, v3
	v_cmpx_ne_u32_e32 0x7f, v6
	s_cbranch_execz .LBB285_1081
; %bb.1078:                             ;   in Loop: Header=BB285_11 Depth=1
	v_and_b32_e32 v15, 7, v3
	v_lshrrev_b32_e32 v3, 3, v6
	s_mov_b32 s21, exec_lo
	v_cmpx_gt_u32_e32 8, v6
; %bb.1079:                             ;   in Loop: Header=BB285_11 Depth=1
	s_delay_alu instid0(VALU_DEP_3) | instskip(NEXT) | instid1(VALU_DEP_1)
	v_clz_i32_u32_e32 v3, v15
	v_min_u32_e32 v3, 32, v3
	s_delay_alu instid0(VALU_DEP_1) | instskip(SKIP_1) | instid1(VALU_DEP_2)
	v_subrev_nc_u32_e32 v6, 28, v3
	v_sub_nc_u32_e32 v3, 29, v3
	v_lshlrev_b64 v[6:7], v6, v[15:16]
	s_delay_alu instid0(VALU_DEP_1)
	v_and_b32_e32 v15, 7, v6
; %bb.1080:                             ;   in Loop: Header=BB285_11 Depth=1
	s_or_b32 exec_lo, exec_lo, s21
	v_lshlrev_b32_e32 v6, 16, v2
	s_delay_alu instid0(VALU_DEP_2) | instskip(SKIP_1) | instid1(VALU_DEP_3)
	v_dual_mov_b32 v108, v16 :: v_dual_lshlrev_b32 v7, 20, v15
	v_lshl_add_u32 v3, v3, 23, 0x3c000000
	v_and_b32_e32 v6, 0x80000000, v6
	s_delay_alu instid0(VALU_DEP_1)
	v_or3_b32 v109, v7, v6, v3
.LBB285_1081:                           ;   in Loop: Header=BB285_11 Depth=1
	s_or_b32 exec_lo, exec_lo, s8
.LBB285_1082:                           ;   in Loop: Header=BB285_11 Depth=1
	s_delay_alu instid0(SALU_CYCLE_1)
	s_or_b32 exec_lo, exec_lo, s20
.LBB285_1083:                           ;   in Loop: Header=BB285_11 Depth=1
	s_delay_alu instid0(SALU_CYCLE_1) | instskip(SKIP_4) | instid1(VALU_DEP_3)
	s_or_b32 exec_lo, exec_lo, s19
	v_lshrrev_b32_e32 v3, 16, v2
	v_mov_b32_e32 v120, 0
	v_mov_b32_e32 v121, 0
	s_mov_b32 s8, exec_lo
	v_and_b32_e32 v6, 0xff, v3
	scratch_store_b64 off, v[120:121], s32 offset:1144 ; 8-byte Folded Spill
	v_cmpx_ne_u16_e32 0, v6
	s_cbranch_execz .LBB285_1091
; %bb.1084:                             ;   in Loop: Header=BB285_11 Depth=1
	v_bfrev_b32_e32 v0, 1
	v_mov_b32_e32 v1, 0
	s_mov_b32 s19, exec_lo
	v_cmpx_ne_u16_e32 0x80, v6
	s_cbranch_execz .LBB285_1090
; %bb.1085:                             ;   in Loop: Header=BB285_11 Depth=1
	v_mov_b32_e32 v0, 0x7f800001
	v_bfe_u32 v7, v2, 16, 7
	v_mov_b32_e32 v1, 0
	s_mov_b32 s20, exec_lo
	s_delay_alu instid0(VALU_DEP_2)
	v_cmpx_ne_u32_e32 0x7f, v7
	s_cbranch_execz .LBB285_1089
; %bb.1086:                             ;   in Loop: Header=BB285_11 Depth=1
	v_and_b32_e32 v15, 7, v3
	v_lshrrev_b32_e32 v6, 3, v7
	s_mov_b32 s21, exec_lo
	v_cmpx_gt_u32_e32 8, v7
; %bb.1087:                             ;   in Loop: Header=BB285_11 Depth=1
	s_delay_alu instid0(VALU_DEP_3) | instskip(NEXT) | instid1(VALU_DEP_1)
	v_clz_i32_u32_e32 v6, v15
	v_min_u32_e32 v6, 32, v6
	s_delay_alu instid0(VALU_DEP_1) | instskip(SKIP_1) | instid1(VALU_DEP_2)
	v_subrev_nc_u32_e32 v7, 28, v6
	v_sub_nc_u32_e32 v6, 29, v6
	v_lshlrev_b64 v[7:8], v7, v[15:16]
	s_delay_alu instid0(VALU_DEP_1)
	v_and_b32_e32 v15, 7, v7
; %bb.1088:                             ;   in Loop: Header=BB285_11 Depth=1
	s_or_b32 exec_lo, exec_lo, s21
	v_lshlrev_b32_e32 v3, 24, v3
	s_delay_alu instid0(VALU_DEP_2) | instskip(SKIP_1) | instid1(VALU_DEP_3)
	v_lshlrev_b32_e32 v7, 20, v15
	v_lshl_add_u32 v6, v6, 23, 0x3c000000
	v_and_b32_e32 v3, 0x80000000, v3
	s_delay_alu instid0(VALU_DEP_1) | instskip(NEXT) | instid1(VALU_DEP_1)
	v_or3_b32 v15, v7, v3, v6
	v_dual_mov_b32 v0, v15 :: v_dual_mov_b32 v1, v16
.LBB285_1089:                           ;   in Loop: Header=BB285_11 Depth=1
	s_or_b32 exec_lo, exec_lo, s20
.LBB285_1090:                           ;   in Loop: Header=BB285_11 Depth=1
	s_delay_alu instid0(SALU_CYCLE_1)
	s_or_b32 exec_lo, exec_lo, s19
	scratch_store_b64 off, v[0:1], s32 offset:1144 ; 8-byte Folded Spill
.LBB285_1091:                           ;   in Loop: Header=BB285_11 Depth=1
	s_or_b32 exec_lo, exec_lo, s8
	s_delay_alu instid0(SALU_CYCLE_1)
	s_mov_b32 s19, exec_lo
	v_cmpx_lt_u32_e32 0xffffff, v2
	s_cbranch_execz .LBB285_1099
; %bb.1092:                             ;   in Loop: Header=BB285_11 Depth=1
	v_lshrrev_b32_e32 v3, 24, v2
	v_dual_mov_b32 v121, s3 :: v_dual_mov_b32 v120, s2
	s_mov_b32 s20, exec_lo
	s_delay_alu instid0(VALU_DEP_2)
	v_cmpx_ne_u32_e32 0x80, v3
	s_cbranch_execz .LBB285_1098
; %bb.1093:                             ;   in Loop: Header=BB285_11 Depth=1
	s_mov_b32 s8, s2
	v_bfe_u32 v6, v2, 24, 7
	v_dual_mov_b32 v121, s9 :: v_dual_mov_b32 v120, s8
	s_mov_b32 s8, exec_lo
	s_delay_alu instid0(VALU_DEP_2)
	v_cmpx_ne_u32_e32 0x7f, v6
	s_cbranch_execz .LBB285_1097
; %bb.1094:                             ;   in Loop: Header=BB285_11 Depth=1
	v_and_b32_e32 v15, 7, v3
	v_lshrrev_b32_e32 v2, 3, v6
	s_mov_b32 s21, exec_lo
	v_cmpx_gt_u32_e32 8, v6
; %bb.1095:                             ;   in Loop: Header=BB285_11 Depth=1
	s_delay_alu instid0(VALU_DEP_3) | instskip(NEXT) | instid1(VALU_DEP_1)
	v_clz_i32_u32_e32 v2, v15
	v_min_u32_e32 v2, 32, v2
	s_delay_alu instid0(VALU_DEP_1) | instskip(SKIP_1) | instid1(VALU_DEP_2)
	v_subrev_nc_u32_e32 v6, 28, v2
	v_sub_nc_u32_e32 v2, 29, v2
	v_lshlrev_b64 v[6:7], v6, v[15:16]
	s_delay_alu instid0(VALU_DEP_1)
	v_and_b32_e32 v15, 7, v6
; %bb.1096:                             ;   in Loop: Header=BB285_11 Depth=1
	s_or_b32 exec_lo, exec_lo, s21
	v_dual_mov_b32 v120, v16 :: v_dual_lshlrev_b32 v3, 24, v3
	s_delay_alu instid0(VALU_DEP_2) | instskip(SKIP_1) | instid1(VALU_DEP_3)
	v_lshlrev_b32_e32 v6, 20, v15
	v_lshl_add_u32 v2, v2, 23, 0x3c000000
	v_and_b32_e32 v3, 0x80000000, v3
	s_delay_alu instid0(VALU_DEP_1)
	v_or3_b32 v121, v6, v3, v2
.LBB285_1097:                           ;   in Loop: Header=BB285_11 Depth=1
	s_or_b32 exec_lo, exec_lo, s8
.LBB285_1098:                           ;   in Loop: Header=BB285_11 Depth=1
	s_delay_alu instid0(SALU_CYCLE_1)
	s_or_b32 exec_lo, exec_lo, s20
.LBB285_1099:                           ;   in Loop: Header=BB285_11 Depth=1
	s_delay_alu instid0(SALU_CYCLE_1)
	s_or_b32 exec_lo, exec_lo, s19
	flat_load_b32 v2, v[102:103] offset:8
	v_mov_b32_e32 v124, 0
	v_mov_b32_e32 v125, 0
	s_mov_b32 s8, exec_lo
	scratch_store_b64 off, v[124:125], s32 offset:1152 ; 8-byte Folded Spill
	s_waitcnt vmcnt(0) lgkmcnt(0)
	v_and_b32_e32 v3, 0xff, v2
	s_delay_alu instid0(VALU_DEP_1)
	v_cmpx_ne_u16_e32 0, v3
	s_cbranch_execz .LBB285_1107
; %bb.1100:                             ;   in Loop: Header=BB285_11 Depth=1
	v_bfrev_b32_e32 v0, 1
	v_mov_b32_e32 v1, 0
	s_mov_b32 s19, exec_lo
	v_cmpx_ne_u16_e32 0x80, v3
	s_cbranch_execz .LBB285_1106
; %bb.1101:                             ;   in Loop: Header=BB285_11 Depth=1
	v_mov_b32_e32 v0, 0x7f800001
	v_dual_mov_b32 v1, 0 :: v_dual_and_b32 v6, 0x7f, v2
	s_mov_b32 s20, exec_lo
	s_delay_alu instid0(VALU_DEP_1)
	v_cmpx_ne_u32_e32 0x7f, v6
	s_cbranch_execz .LBB285_1105
; %bb.1102:                             ;   in Loop: Header=BB285_11 Depth=1
	v_and_b32_e32 v15, 7, v2
	v_lshrrev_b32_e32 v3, 3, v6
	s_mov_b32 s21, exec_lo
	v_cmpx_gt_u32_e32 8, v6
; %bb.1103:                             ;   in Loop: Header=BB285_11 Depth=1
	s_delay_alu instid0(VALU_DEP_3) | instskip(NEXT) | instid1(VALU_DEP_1)
	v_clz_i32_u32_e32 v3, v15
	v_min_u32_e32 v3, 32, v3
	s_delay_alu instid0(VALU_DEP_1) | instskip(SKIP_1) | instid1(VALU_DEP_2)
	v_subrev_nc_u32_e32 v6, 28, v3
	v_sub_nc_u32_e32 v3, 29, v3
	v_lshlrev_b64 v[6:7], v6, v[15:16]
	s_delay_alu instid0(VALU_DEP_1)
	v_and_b32_e32 v15, 7, v6
; %bb.1104:                             ;   in Loop: Header=BB285_11 Depth=1
	s_or_b32 exec_lo, exec_lo, s21
	v_lshlrev_b32_e32 v6, 24, v2
	s_delay_alu instid0(VALU_DEP_2) | instskip(SKIP_1) | instid1(VALU_DEP_3)
	v_lshlrev_b32_e32 v7, 20, v15
	v_lshl_add_u32 v3, v3, 23, 0x3c000000
	v_and_b32_e32 v6, 0x80000000, v6
	s_delay_alu instid0(VALU_DEP_1) | instskip(NEXT) | instid1(VALU_DEP_1)
	v_or3_b32 v15, v7, v6, v3
	v_dual_mov_b32 v0, v15 :: v_dual_mov_b32 v1, v16
.LBB285_1105:                           ;   in Loop: Header=BB285_11 Depth=1
	s_or_b32 exec_lo, exec_lo, s20
.LBB285_1106:                           ;   in Loop: Header=BB285_11 Depth=1
	s_delay_alu instid0(SALU_CYCLE_1)
	s_or_b32 exec_lo, exec_lo, s19
	scratch_store_b64 off, v[0:1], s32 offset:1152 ; 8-byte Folded Spill
.LBB285_1107:                           ;   in Loop: Header=BB285_11 Depth=1
	s_or_b32 exec_lo, exec_lo, s8
	v_lshrrev_b16 v3, 8, v2
	s_mov_b32 s19, exec_lo
	s_delay_alu instid0(VALU_DEP_1)
	v_cmpx_ne_u16_e32 0, v3
	s_cbranch_execz .LBB285_1115
; %bb.1108:                             ;   in Loop: Header=BB285_11 Depth=1
	v_dual_mov_b32 v125, s3 :: v_dual_mov_b32 v124, s2
	s_mov_b32 s20, exec_lo
	v_cmpx_ne_u16_e32 0x80, v3
	s_cbranch_execz .LBB285_1114
; %bb.1109:                             ;   in Loop: Header=BB285_11 Depth=1
	s_mov_b32 s8, s2
	v_and_b32_e32 v3, 0xffff, v3
	v_dual_mov_b32 v125, s9 :: v_dual_mov_b32 v124, s8
	s_mov_b32 s8, exec_lo
	s_delay_alu instid0(VALU_DEP_2) | instskip(NEXT) | instid1(VALU_DEP_1)
	v_and_b32_e32 v6, 0x7f, v3
	v_cmpx_ne_u32_e32 0x7f, v6
	s_cbranch_execz .LBB285_1113
; %bb.1110:                             ;   in Loop: Header=BB285_11 Depth=1
	v_and_b32_e32 v15, 7, v3
	v_lshrrev_b32_e32 v3, 3, v6
	s_mov_b32 s21, exec_lo
	v_cmpx_gt_u32_e32 8, v6
; %bb.1111:                             ;   in Loop: Header=BB285_11 Depth=1
	s_delay_alu instid0(VALU_DEP_3) | instskip(NEXT) | instid1(VALU_DEP_1)
	v_clz_i32_u32_e32 v3, v15
	v_min_u32_e32 v3, 32, v3
	s_delay_alu instid0(VALU_DEP_1) | instskip(SKIP_1) | instid1(VALU_DEP_2)
	v_subrev_nc_u32_e32 v6, 28, v3
	v_sub_nc_u32_e32 v3, 29, v3
	v_lshlrev_b64 v[6:7], v6, v[15:16]
	s_delay_alu instid0(VALU_DEP_1)
	v_and_b32_e32 v15, 7, v6
; %bb.1112:                             ;   in Loop: Header=BB285_11 Depth=1
	s_or_b32 exec_lo, exec_lo, s21
	v_lshlrev_b32_e32 v6, 16, v2
	s_delay_alu instid0(VALU_DEP_2) | instskip(SKIP_1) | instid1(VALU_DEP_3)
	v_dual_mov_b32 v124, v16 :: v_dual_lshlrev_b32 v7, 20, v15
	v_lshl_add_u32 v3, v3, 23, 0x3c000000
	v_and_b32_e32 v6, 0x80000000, v6
	s_delay_alu instid0(VALU_DEP_1)
	v_or3_b32 v125, v7, v6, v3
.LBB285_1113:                           ;   in Loop: Header=BB285_11 Depth=1
	s_or_b32 exec_lo, exec_lo, s8
.LBB285_1114:                           ;   in Loop: Header=BB285_11 Depth=1
	s_delay_alu instid0(SALU_CYCLE_1)
	s_or_b32 exec_lo, exec_lo, s20
.LBB285_1115:                           ;   in Loop: Header=BB285_11 Depth=1
	s_delay_alu instid0(SALU_CYCLE_1) | instskip(SKIP_4) | instid1(VALU_DEP_2)
	s_or_b32 exec_lo, exec_lo, s19
	v_mov_b32_e32 v136, 0
	v_lshrrev_b32_e32 v3, 16, v2
	v_mov_b32_e32 v137, 0
	s_mov_b32 s8, exec_lo
	v_and_b32_e32 v6, 0xff, v3
	s_delay_alu instid0(VALU_DEP_2) | instskip(NEXT) | instid1(VALU_DEP_2)
	v_dual_mov_b32 v60, v136 :: v_dual_mov_b32 v61, v137
	v_cmpx_ne_u16_e32 0, v6
	s_cbranch_execz .LBB285_1123
; %bb.1116:                             ;   in Loop: Header=BB285_11 Depth=1
	v_bfrev_b32_e32 v60, 1
	v_mov_b32_e32 v61, 0
	s_mov_b32 s19, exec_lo
	v_cmpx_ne_u16_e32 0x80, v6
	s_cbranch_execz .LBB285_1122
; %bb.1117:                             ;   in Loop: Header=BB285_11 Depth=1
	v_mov_b32_e32 v60, 0x7f800001
	v_bfe_u32 v7, v2, 16, 7
	v_mov_b32_e32 v61, 0
	s_mov_b32 s20, exec_lo
	s_delay_alu instid0(VALU_DEP_2)
	v_cmpx_ne_u32_e32 0x7f, v7
	s_cbranch_execz .LBB285_1121
; %bb.1118:                             ;   in Loop: Header=BB285_11 Depth=1
	v_and_b32_e32 v15, 7, v3
	v_lshrrev_b32_e32 v6, 3, v7
	s_mov_b32 s21, exec_lo
	v_cmpx_gt_u32_e32 8, v7
; %bb.1119:                             ;   in Loop: Header=BB285_11 Depth=1
	s_delay_alu instid0(VALU_DEP_3) | instskip(NEXT) | instid1(VALU_DEP_1)
	v_clz_i32_u32_e32 v6, v15
	v_min_u32_e32 v6, 32, v6
	s_delay_alu instid0(VALU_DEP_1) | instskip(SKIP_1) | instid1(VALU_DEP_2)
	v_subrev_nc_u32_e32 v7, 28, v6
	v_sub_nc_u32_e32 v6, 29, v6
	v_lshlrev_b64 v[7:8], v7, v[15:16]
	s_delay_alu instid0(VALU_DEP_1)
	v_and_b32_e32 v15, 7, v7
; %bb.1120:                             ;   in Loop: Header=BB285_11 Depth=1
	s_or_b32 exec_lo, exec_lo, s21
	v_lshlrev_b32_e32 v3, 24, v3
	s_delay_alu instid0(VALU_DEP_2) | instskip(SKIP_1) | instid1(VALU_DEP_3)
	v_lshlrev_b32_e32 v7, 20, v15
	v_lshl_add_u32 v6, v6, 23, 0x3c000000
	v_and_b32_e32 v3, 0x80000000, v3
	s_delay_alu instid0(VALU_DEP_1) | instskip(NEXT) | instid1(VALU_DEP_1)
	v_or3_b32 v15, v7, v3, v6
	v_dual_mov_b32 v61, v16 :: v_dual_mov_b32 v60, v15
.LBB285_1121:                           ;   in Loop: Header=BB285_11 Depth=1
	s_or_b32 exec_lo, exec_lo, s20
.LBB285_1122:                           ;   in Loop: Header=BB285_11 Depth=1
	s_delay_alu instid0(SALU_CYCLE_1)
	s_or_b32 exec_lo, exec_lo, s19
.LBB285_1123:                           ;   in Loop: Header=BB285_11 Depth=1
	s_delay_alu instid0(SALU_CYCLE_1) | instskip(NEXT) | instid1(SALU_CYCLE_1)
	s_or_b32 exec_lo, exec_lo, s8
	s_mov_b32 s19, exec_lo
	v_cmpx_lt_u32_e32 0xffffff, v2
	s_cbranch_execz .LBB285_1131
; %bb.1124:                             ;   in Loop: Header=BB285_11 Depth=1
	v_lshrrev_b32_e32 v3, 24, v2
	v_dual_mov_b32 v137, s3 :: v_dual_mov_b32 v136, s2
	s_mov_b32 s20, exec_lo
	s_delay_alu instid0(VALU_DEP_2)
	v_cmpx_ne_u32_e32 0x80, v3
	s_cbranch_execz .LBB285_1130
; %bb.1125:                             ;   in Loop: Header=BB285_11 Depth=1
	s_mov_b32 s8, s2
	v_bfe_u32 v6, v2, 24, 7
	v_dual_mov_b32 v137, s9 :: v_dual_mov_b32 v136, s8
	s_mov_b32 s8, exec_lo
	s_delay_alu instid0(VALU_DEP_2)
	v_cmpx_ne_u32_e32 0x7f, v6
	s_cbranch_execz .LBB285_1129
; %bb.1126:                             ;   in Loop: Header=BB285_11 Depth=1
	v_and_b32_e32 v15, 7, v3
	v_lshrrev_b32_e32 v2, 3, v6
	s_mov_b32 s21, exec_lo
	v_cmpx_gt_u32_e32 8, v6
; %bb.1127:                             ;   in Loop: Header=BB285_11 Depth=1
	s_delay_alu instid0(VALU_DEP_3) | instskip(NEXT) | instid1(VALU_DEP_1)
	v_clz_i32_u32_e32 v2, v15
	v_min_u32_e32 v2, 32, v2
	s_delay_alu instid0(VALU_DEP_1) | instskip(SKIP_1) | instid1(VALU_DEP_2)
	v_subrev_nc_u32_e32 v6, 28, v2
	v_sub_nc_u32_e32 v2, 29, v2
	v_lshlrev_b64 v[6:7], v6, v[15:16]
	s_delay_alu instid0(VALU_DEP_1)
	v_and_b32_e32 v15, 7, v6
; %bb.1128:                             ;   in Loop: Header=BB285_11 Depth=1
	s_or_b32 exec_lo, exec_lo, s21
	v_dual_mov_b32 v136, v16 :: v_dual_lshlrev_b32 v3, 24, v3
	s_delay_alu instid0(VALU_DEP_2) | instskip(SKIP_1) | instid1(VALU_DEP_3)
	v_lshlrev_b32_e32 v6, 20, v15
	v_lshl_add_u32 v2, v2, 23, 0x3c000000
	v_and_b32_e32 v3, 0x80000000, v3
	s_delay_alu instid0(VALU_DEP_1)
	v_or3_b32 v137, v6, v3, v2
.LBB285_1129:                           ;   in Loop: Header=BB285_11 Depth=1
	s_or_b32 exec_lo, exec_lo, s8
.LBB285_1130:                           ;   in Loop: Header=BB285_11 Depth=1
	s_delay_alu instid0(SALU_CYCLE_1)
	s_or_b32 exec_lo, exec_lo, s20
.LBB285_1131:                           ;   in Loop: Header=BB285_11 Depth=1
	s_delay_alu instid0(SALU_CYCLE_1) | instskip(SKIP_3) | instid1(VALU_DEP_2)
	s_or_b32 exec_lo, exec_lo, s19
	flat_load_b32 v2, v[102:103] offset:12
	v_mov_b32_e32 v140, 0
	v_mov_b32_e32 v141, 0
	;; [unrolled: 1-line block ×3, first 2 shown]
	s_mov_b32 s8, exec_lo
	s_delay_alu instid0(VALU_DEP_2) | instskip(SKIP_2) | instid1(VALU_DEP_1)
	v_mov_b32_e32 v57, v141
	s_waitcnt vmcnt(0) lgkmcnt(0)
	v_and_b32_e32 v3, 0xff, v2
	v_cmpx_ne_u16_e32 0, v3
	s_cbranch_execz .LBB285_1139
; %bb.1132:                             ;   in Loop: Header=BB285_11 Depth=1
	v_bfrev_b32_e32 v56, 1
	v_mov_b32_e32 v57, 0
	s_mov_b32 s19, exec_lo
	v_cmpx_ne_u16_e32 0x80, v3
	s_cbranch_execz .LBB285_1138
; %bb.1133:                             ;   in Loop: Header=BB285_11 Depth=1
	v_mov_b32_e32 v56, 0x7f800001
	v_dual_mov_b32 v57, 0 :: v_dual_and_b32 v6, 0x7f, v2
	s_mov_b32 s20, exec_lo
	s_delay_alu instid0(VALU_DEP_1)
	v_cmpx_ne_u32_e32 0x7f, v6
	s_cbranch_execz .LBB285_1137
; %bb.1134:                             ;   in Loop: Header=BB285_11 Depth=1
	v_and_b32_e32 v15, 7, v2
	v_lshrrev_b32_e32 v3, 3, v6
	s_mov_b32 s21, exec_lo
	v_cmpx_gt_u32_e32 8, v6
; %bb.1135:                             ;   in Loop: Header=BB285_11 Depth=1
	s_delay_alu instid0(VALU_DEP_3) | instskip(NEXT) | instid1(VALU_DEP_1)
	v_clz_i32_u32_e32 v3, v15
	v_min_u32_e32 v3, 32, v3
	s_delay_alu instid0(VALU_DEP_1) | instskip(SKIP_1) | instid1(VALU_DEP_2)
	v_subrev_nc_u32_e32 v6, 28, v3
	v_sub_nc_u32_e32 v3, 29, v3
	v_lshlrev_b64 v[6:7], v6, v[15:16]
	s_delay_alu instid0(VALU_DEP_1)
	v_and_b32_e32 v15, 7, v6
; %bb.1136:                             ;   in Loop: Header=BB285_11 Depth=1
	s_or_b32 exec_lo, exec_lo, s21
	v_lshlrev_b32_e32 v6, 24, v2
	s_delay_alu instid0(VALU_DEP_2) | instskip(SKIP_1) | instid1(VALU_DEP_3)
	v_lshlrev_b32_e32 v7, 20, v15
	v_lshl_add_u32 v3, v3, 23, 0x3c000000
	v_and_b32_e32 v6, 0x80000000, v6
	s_delay_alu instid0(VALU_DEP_1) | instskip(NEXT) | instid1(VALU_DEP_1)
	v_or3_b32 v15, v7, v6, v3
	v_dual_mov_b32 v57, v16 :: v_dual_mov_b32 v56, v15
.LBB285_1137:                           ;   in Loop: Header=BB285_11 Depth=1
	s_or_b32 exec_lo, exec_lo, s20
.LBB285_1138:                           ;   in Loop: Header=BB285_11 Depth=1
	s_delay_alu instid0(SALU_CYCLE_1)
	s_or_b32 exec_lo, exec_lo, s19
.LBB285_1139:                           ;   in Loop: Header=BB285_11 Depth=1
	s_delay_alu instid0(SALU_CYCLE_1) | instskip(SKIP_2) | instid1(VALU_DEP_1)
	s_or_b32 exec_lo, exec_lo, s8
	v_lshrrev_b16 v3, 8, v2
	s_mov_b32 s19, exec_lo
	v_cmpx_ne_u16_e32 0, v3
	s_cbranch_execz .LBB285_1147
; %bb.1140:                             ;   in Loop: Header=BB285_11 Depth=1
	v_dual_mov_b32 v141, s3 :: v_dual_mov_b32 v140, s2
	s_mov_b32 s20, exec_lo
	v_cmpx_ne_u16_e32 0x80, v3
	s_cbranch_execz .LBB285_1146
; %bb.1141:                             ;   in Loop: Header=BB285_11 Depth=1
	s_mov_b32 s8, s2
	v_and_b32_e32 v3, 0xffff, v3
	v_dual_mov_b32 v141, s9 :: v_dual_mov_b32 v140, s8
	s_mov_b32 s8, exec_lo
	s_delay_alu instid0(VALU_DEP_2) | instskip(NEXT) | instid1(VALU_DEP_1)
	v_and_b32_e32 v6, 0x7f, v3
	v_cmpx_ne_u32_e32 0x7f, v6
	s_cbranch_execz .LBB285_1145
; %bb.1142:                             ;   in Loop: Header=BB285_11 Depth=1
	v_and_b32_e32 v15, 7, v3
	v_lshrrev_b32_e32 v3, 3, v6
	s_mov_b32 s21, exec_lo
	v_cmpx_gt_u32_e32 8, v6
; %bb.1143:                             ;   in Loop: Header=BB285_11 Depth=1
	s_delay_alu instid0(VALU_DEP_3) | instskip(NEXT) | instid1(VALU_DEP_1)
	v_clz_i32_u32_e32 v3, v15
	v_min_u32_e32 v3, 32, v3
	s_delay_alu instid0(VALU_DEP_1) | instskip(SKIP_1) | instid1(VALU_DEP_2)
	v_subrev_nc_u32_e32 v6, 28, v3
	v_sub_nc_u32_e32 v3, 29, v3
	v_lshlrev_b64 v[6:7], v6, v[15:16]
	s_delay_alu instid0(VALU_DEP_1)
	v_and_b32_e32 v15, 7, v6
; %bb.1144:                             ;   in Loop: Header=BB285_11 Depth=1
	s_or_b32 exec_lo, exec_lo, s21
	v_lshlrev_b32_e32 v6, 16, v2
	s_delay_alu instid0(VALU_DEP_2) | instskip(SKIP_1) | instid1(VALU_DEP_3)
	v_dual_mov_b32 v140, v16 :: v_dual_lshlrev_b32 v7, 20, v15
	v_lshl_add_u32 v3, v3, 23, 0x3c000000
	v_and_b32_e32 v6, 0x80000000, v6
	s_delay_alu instid0(VALU_DEP_1)
	v_or3_b32 v141, v7, v6, v3
.LBB285_1145:                           ;   in Loop: Header=BB285_11 Depth=1
	s_or_b32 exec_lo, exec_lo, s8
.LBB285_1146:                           ;   in Loop: Header=BB285_11 Depth=1
	s_delay_alu instid0(SALU_CYCLE_1)
	s_or_b32 exec_lo, exec_lo, s20
.LBB285_1147:                           ;   in Loop: Header=BB285_11 Depth=1
	s_delay_alu instid0(SALU_CYCLE_1) | instskip(SKIP_4) | instid1(VALU_DEP_1)
	s_or_b32 exec_lo, exec_lo, s19
	v_mov_b32_e32 v134, 0
	v_lshrrev_b32_e32 v3, 16, v2
	v_mov_b32_e32 v135, 0
	s_mov_b32 s8, exec_lo
	v_dual_mov_b32 v153, v135 :: v_dual_and_b32 v6, 0xff, v3
	v_mov_b32_e32 v152, v134
	s_delay_alu instid0(VALU_DEP_2)
	v_cmpx_ne_u16_e32 0, v6
	s_cbranch_execz .LBB285_1155
; %bb.1148:                             ;   in Loop: Header=BB285_11 Depth=1
	v_bfrev_b32_e32 v152, 1
	v_mov_b32_e32 v153, 0
	s_mov_b32 s19, exec_lo
	v_cmpx_ne_u16_e32 0x80, v6
	s_cbranch_execz .LBB285_1154
; %bb.1149:                             ;   in Loop: Header=BB285_11 Depth=1
	v_mov_b32_e32 v152, 0x7f800001
	v_bfe_u32 v7, v2, 16, 7
	v_mov_b32_e32 v153, 0
	s_mov_b32 s20, exec_lo
	s_delay_alu instid0(VALU_DEP_2)
	v_cmpx_ne_u32_e32 0x7f, v7
	s_cbranch_execz .LBB285_1153
; %bb.1150:                             ;   in Loop: Header=BB285_11 Depth=1
	v_and_b32_e32 v15, 7, v3
	v_lshrrev_b32_e32 v6, 3, v7
	s_mov_b32 s21, exec_lo
	v_cmpx_gt_u32_e32 8, v7
; %bb.1151:                             ;   in Loop: Header=BB285_11 Depth=1
	s_delay_alu instid0(VALU_DEP_3) | instskip(NEXT) | instid1(VALU_DEP_1)
	v_clz_i32_u32_e32 v6, v15
	v_min_u32_e32 v6, 32, v6
	s_delay_alu instid0(VALU_DEP_1) | instskip(SKIP_1) | instid1(VALU_DEP_2)
	v_subrev_nc_u32_e32 v7, 28, v6
	v_sub_nc_u32_e32 v6, 29, v6
	v_lshlrev_b64 v[7:8], v7, v[15:16]
	s_delay_alu instid0(VALU_DEP_1)
	v_and_b32_e32 v15, 7, v7
; %bb.1152:                             ;   in Loop: Header=BB285_11 Depth=1
	s_or_b32 exec_lo, exec_lo, s21
	v_lshlrev_b32_e32 v3, 24, v3
	s_delay_alu instid0(VALU_DEP_2) | instskip(SKIP_1) | instid1(VALU_DEP_3)
	v_lshlrev_b32_e32 v7, 20, v15
	v_lshl_add_u32 v6, v6, 23, 0x3c000000
	v_and_b32_e32 v3, 0x80000000, v3
	s_delay_alu instid0(VALU_DEP_1) | instskip(NEXT) | instid1(VALU_DEP_1)
	v_or3_b32 v15, v7, v3, v6
	v_dual_mov_b32 v153, v16 :: v_dual_mov_b32 v152, v15
.LBB285_1153:                           ;   in Loop: Header=BB285_11 Depth=1
	s_or_b32 exec_lo, exec_lo, s20
.LBB285_1154:                           ;   in Loop: Header=BB285_11 Depth=1
	s_delay_alu instid0(SALU_CYCLE_1)
	s_or_b32 exec_lo, exec_lo, s19
.LBB285_1155:                           ;   in Loop: Header=BB285_11 Depth=1
	s_delay_alu instid0(SALU_CYCLE_1) | instskip(NEXT) | instid1(SALU_CYCLE_1)
	s_or_b32 exec_lo, exec_lo, s8
	s_mov_b32 s19, exec_lo
	v_cmpx_lt_u32_e32 0xffffff, v2
	s_cbranch_execz .LBB285_1163
; %bb.1156:                             ;   in Loop: Header=BB285_11 Depth=1
	v_lshrrev_b32_e32 v3, 24, v2
	v_dual_mov_b32 v135, s3 :: v_dual_mov_b32 v134, s2
	s_mov_b32 s20, exec_lo
	s_delay_alu instid0(VALU_DEP_2)
	v_cmpx_ne_u32_e32 0x80, v3
	s_cbranch_execz .LBB285_1162
; %bb.1157:                             ;   in Loop: Header=BB285_11 Depth=1
	s_mov_b32 s8, s2
	v_bfe_u32 v6, v2, 24, 7
	v_dual_mov_b32 v135, s9 :: v_dual_mov_b32 v134, s8
	s_mov_b32 s8, exec_lo
	s_delay_alu instid0(VALU_DEP_2)
	v_cmpx_ne_u32_e32 0x7f, v6
	s_cbranch_execz .LBB285_1161
; %bb.1158:                             ;   in Loop: Header=BB285_11 Depth=1
	v_and_b32_e32 v15, 7, v3
	v_lshrrev_b32_e32 v2, 3, v6
	s_mov_b32 s21, exec_lo
	v_cmpx_gt_u32_e32 8, v6
; %bb.1159:                             ;   in Loop: Header=BB285_11 Depth=1
	s_delay_alu instid0(VALU_DEP_3) | instskip(NEXT) | instid1(VALU_DEP_1)
	v_clz_i32_u32_e32 v2, v15
	v_min_u32_e32 v2, 32, v2
	s_delay_alu instid0(VALU_DEP_1) | instskip(SKIP_1) | instid1(VALU_DEP_2)
	v_subrev_nc_u32_e32 v6, 28, v2
	v_sub_nc_u32_e32 v2, 29, v2
	v_lshlrev_b64 v[6:7], v6, v[15:16]
	s_delay_alu instid0(VALU_DEP_1)
	v_and_b32_e32 v15, 7, v6
; %bb.1160:                             ;   in Loop: Header=BB285_11 Depth=1
	s_or_b32 exec_lo, exec_lo, s21
	v_dual_mov_b32 v134, v16 :: v_dual_lshlrev_b32 v3, 24, v3
	s_delay_alu instid0(VALU_DEP_2) | instskip(SKIP_1) | instid1(VALU_DEP_3)
	v_lshlrev_b32_e32 v6, 20, v15
	v_lshl_add_u32 v2, v2, 23, 0x3c000000
	v_and_b32_e32 v3, 0x80000000, v3
	s_delay_alu instid0(VALU_DEP_1)
	v_or3_b32 v135, v6, v3, v2
.LBB285_1161:                           ;   in Loop: Header=BB285_11 Depth=1
	s_or_b32 exec_lo, exec_lo, s8
.LBB285_1162:                           ;   in Loop: Header=BB285_11 Depth=1
	s_delay_alu instid0(SALU_CYCLE_1)
	s_or_b32 exec_lo, exec_lo, s20
.LBB285_1163:                           ;   in Loop: Header=BB285_11 Depth=1
	s_delay_alu instid0(SALU_CYCLE_1) | instskip(SKIP_4) | instid1(VALU_DEP_1)
	s_or_b32 exec_lo, exec_lo, s19
	flat_load_b32 v2, v[102:103] offset:512
	v_mov_b32_e32 v146, 0
	v_mov_b32_e32 v147, 0
	s_mov_b32 s8, exec_lo
	v_dual_mov_b32 v159, v147 :: v_dual_mov_b32 v158, v146
	s_waitcnt vmcnt(0) lgkmcnt(0)
	v_and_b32_e32 v3, 0xff, v2
	s_delay_alu instid0(VALU_DEP_1)
	v_cmpx_ne_u16_e32 0, v3
	s_cbranch_execz .LBB285_1171
; %bb.1164:                             ;   in Loop: Header=BB285_11 Depth=1
	v_bfrev_b32_e32 v158, 1
	v_mov_b32_e32 v159, 0
	s_mov_b32 s19, exec_lo
	v_cmpx_ne_u16_e32 0x80, v3
	s_cbranch_execz .LBB285_1170
; %bb.1165:                             ;   in Loop: Header=BB285_11 Depth=1
	v_mov_b32_e32 v158, 0x7f800001
	v_dual_mov_b32 v159, 0 :: v_dual_and_b32 v6, 0x7f, v2
	s_mov_b32 s20, exec_lo
	s_delay_alu instid0(VALU_DEP_1)
	v_cmpx_ne_u32_e32 0x7f, v6
	s_cbranch_execz .LBB285_1169
; %bb.1166:                             ;   in Loop: Header=BB285_11 Depth=1
	v_and_b32_e32 v15, 7, v2
	v_lshrrev_b32_e32 v3, 3, v6
	s_mov_b32 s21, exec_lo
	v_cmpx_gt_u32_e32 8, v6
; %bb.1167:                             ;   in Loop: Header=BB285_11 Depth=1
	s_delay_alu instid0(VALU_DEP_3) | instskip(NEXT) | instid1(VALU_DEP_1)
	v_clz_i32_u32_e32 v3, v15
	v_min_u32_e32 v3, 32, v3
	s_delay_alu instid0(VALU_DEP_1) | instskip(SKIP_1) | instid1(VALU_DEP_2)
	v_subrev_nc_u32_e32 v6, 28, v3
	v_sub_nc_u32_e32 v3, 29, v3
	v_lshlrev_b64 v[6:7], v6, v[15:16]
	s_delay_alu instid0(VALU_DEP_1)
	v_and_b32_e32 v15, 7, v6
; %bb.1168:                             ;   in Loop: Header=BB285_11 Depth=1
	s_or_b32 exec_lo, exec_lo, s21
	v_lshlrev_b32_e32 v6, 24, v2
	s_delay_alu instid0(VALU_DEP_2) | instskip(SKIP_1) | instid1(VALU_DEP_3)
	v_lshlrev_b32_e32 v7, 20, v15
	v_lshl_add_u32 v3, v3, 23, 0x3c000000
	v_and_b32_e32 v6, 0x80000000, v6
	s_delay_alu instid0(VALU_DEP_1) | instskip(NEXT) | instid1(VALU_DEP_1)
	v_or3_b32 v15, v7, v6, v3
	v_dual_mov_b32 v159, v16 :: v_dual_mov_b32 v158, v15
.LBB285_1169:                           ;   in Loop: Header=BB285_11 Depth=1
	s_or_b32 exec_lo, exec_lo, s20
.LBB285_1170:                           ;   in Loop: Header=BB285_11 Depth=1
	s_delay_alu instid0(SALU_CYCLE_1)
	s_or_b32 exec_lo, exec_lo, s19
.LBB285_1171:                           ;   in Loop: Header=BB285_11 Depth=1
	s_delay_alu instid0(SALU_CYCLE_1) | instskip(SKIP_2) | instid1(VALU_DEP_1)
	s_or_b32 exec_lo, exec_lo, s8
	v_lshrrev_b16 v3, 8, v2
	s_mov_b32 s19, exec_lo
	v_cmpx_ne_u16_e32 0, v3
	s_cbranch_execz .LBB285_1179
; %bb.1172:                             ;   in Loop: Header=BB285_11 Depth=1
	v_dual_mov_b32 v147, s3 :: v_dual_mov_b32 v146, s2
	s_mov_b32 s20, exec_lo
	v_cmpx_ne_u16_e32 0x80, v3
	s_cbranch_execz .LBB285_1178
; %bb.1173:                             ;   in Loop: Header=BB285_11 Depth=1
	s_mov_b32 s8, s2
	v_and_b32_e32 v3, 0xffff, v3
	v_dual_mov_b32 v147, s9 :: v_dual_mov_b32 v146, s8
	s_mov_b32 s8, exec_lo
	s_delay_alu instid0(VALU_DEP_2) | instskip(NEXT) | instid1(VALU_DEP_1)
	v_and_b32_e32 v6, 0x7f, v3
	v_cmpx_ne_u32_e32 0x7f, v6
	s_cbranch_execz .LBB285_1177
; %bb.1174:                             ;   in Loop: Header=BB285_11 Depth=1
	v_and_b32_e32 v15, 7, v3
	v_lshrrev_b32_e32 v3, 3, v6
	s_mov_b32 s21, exec_lo
	v_cmpx_gt_u32_e32 8, v6
; %bb.1175:                             ;   in Loop: Header=BB285_11 Depth=1
	s_delay_alu instid0(VALU_DEP_3) | instskip(NEXT) | instid1(VALU_DEP_1)
	v_clz_i32_u32_e32 v3, v15
	v_min_u32_e32 v3, 32, v3
	s_delay_alu instid0(VALU_DEP_1) | instskip(SKIP_1) | instid1(VALU_DEP_2)
	v_subrev_nc_u32_e32 v6, 28, v3
	v_sub_nc_u32_e32 v3, 29, v3
	v_lshlrev_b64 v[6:7], v6, v[15:16]
	s_delay_alu instid0(VALU_DEP_1)
	v_and_b32_e32 v15, 7, v6
; %bb.1176:                             ;   in Loop: Header=BB285_11 Depth=1
	s_or_b32 exec_lo, exec_lo, s21
	v_lshlrev_b32_e32 v6, 16, v2
	s_delay_alu instid0(VALU_DEP_2) | instskip(SKIP_1) | instid1(VALU_DEP_3)
	v_dual_mov_b32 v146, v16 :: v_dual_lshlrev_b32 v7, 20, v15
	v_lshl_add_u32 v3, v3, 23, 0x3c000000
	v_and_b32_e32 v6, 0x80000000, v6
	s_delay_alu instid0(VALU_DEP_1)
	v_or3_b32 v147, v7, v6, v3
.LBB285_1177:                           ;   in Loop: Header=BB285_11 Depth=1
	s_or_b32 exec_lo, exec_lo, s8
.LBB285_1178:                           ;   in Loop: Header=BB285_11 Depth=1
	s_delay_alu instid0(SALU_CYCLE_1)
	s_or_b32 exec_lo, exec_lo, s20
.LBB285_1179:                           ;   in Loop: Header=BB285_11 Depth=1
	s_delay_alu instid0(SALU_CYCLE_1) | instskip(SKIP_4) | instid1(VALU_DEP_1)
	s_or_b32 exec_lo, exec_lo, s19
	v_mov_b32_e32 v150, 0
	v_lshrrev_b32_e32 v3, 16, v2
	v_mov_b32_e32 v151, 0
	s_mov_b32 s8, exec_lo
	v_dual_mov_b32 v171, v151 :: v_dual_and_b32 v6, 0xff, v3
	v_mov_b32_e32 v170, v150
	s_delay_alu instid0(VALU_DEP_2)
	v_cmpx_ne_u16_e32 0, v6
	s_cbranch_execz .LBB285_1187
; %bb.1180:                             ;   in Loop: Header=BB285_11 Depth=1
	v_bfrev_b32_e32 v170, 1
	v_mov_b32_e32 v171, 0
	s_mov_b32 s19, exec_lo
	v_cmpx_ne_u16_e32 0x80, v6
	s_cbranch_execz .LBB285_1186
; %bb.1181:                             ;   in Loop: Header=BB285_11 Depth=1
	v_mov_b32_e32 v170, 0x7f800001
	v_bfe_u32 v7, v2, 16, 7
	v_mov_b32_e32 v171, 0
	s_mov_b32 s20, exec_lo
	s_delay_alu instid0(VALU_DEP_2)
	v_cmpx_ne_u32_e32 0x7f, v7
	s_cbranch_execz .LBB285_1185
; %bb.1182:                             ;   in Loop: Header=BB285_11 Depth=1
	v_and_b32_e32 v15, 7, v3
	v_lshrrev_b32_e32 v6, 3, v7
	s_mov_b32 s21, exec_lo
	v_cmpx_gt_u32_e32 8, v7
; %bb.1183:                             ;   in Loop: Header=BB285_11 Depth=1
	s_delay_alu instid0(VALU_DEP_3) | instskip(NEXT) | instid1(VALU_DEP_1)
	v_clz_i32_u32_e32 v6, v15
	v_min_u32_e32 v6, 32, v6
	s_delay_alu instid0(VALU_DEP_1) | instskip(SKIP_1) | instid1(VALU_DEP_2)
	v_subrev_nc_u32_e32 v7, 28, v6
	v_sub_nc_u32_e32 v6, 29, v6
	v_lshlrev_b64 v[7:8], v7, v[15:16]
	s_delay_alu instid0(VALU_DEP_1)
	v_and_b32_e32 v15, 7, v7
; %bb.1184:                             ;   in Loop: Header=BB285_11 Depth=1
	s_or_b32 exec_lo, exec_lo, s21
	v_lshlrev_b32_e32 v3, 24, v3
	s_delay_alu instid0(VALU_DEP_2) | instskip(SKIP_1) | instid1(VALU_DEP_3)
	v_lshlrev_b32_e32 v7, 20, v15
	v_lshl_add_u32 v6, v6, 23, 0x3c000000
	v_and_b32_e32 v3, 0x80000000, v3
	s_delay_alu instid0(VALU_DEP_1) | instskip(NEXT) | instid1(VALU_DEP_1)
	v_or3_b32 v15, v7, v3, v6
	v_dual_mov_b32 v171, v16 :: v_dual_mov_b32 v170, v15
.LBB285_1185:                           ;   in Loop: Header=BB285_11 Depth=1
	s_or_b32 exec_lo, exec_lo, s20
.LBB285_1186:                           ;   in Loop: Header=BB285_11 Depth=1
	s_delay_alu instid0(SALU_CYCLE_1)
	s_or_b32 exec_lo, exec_lo, s19
.LBB285_1187:                           ;   in Loop: Header=BB285_11 Depth=1
	s_delay_alu instid0(SALU_CYCLE_1) | instskip(NEXT) | instid1(SALU_CYCLE_1)
	s_or_b32 exec_lo, exec_lo, s8
	s_mov_b32 s19, exec_lo
	v_cmpx_lt_u32_e32 0xffffff, v2
	s_cbranch_execz .LBB285_1195
; %bb.1188:                             ;   in Loop: Header=BB285_11 Depth=1
	v_lshrrev_b32_e32 v3, 24, v2
	v_dual_mov_b32 v151, s3 :: v_dual_mov_b32 v150, s2
	s_mov_b32 s20, exec_lo
	s_delay_alu instid0(VALU_DEP_2)
	v_cmpx_ne_u32_e32 0x80, v3
	s_cbranch_execz .LBB285_1194
; %bb.1189:                             ;   in Loop: Header=BB285_11 Depth=1
	s_mov_b32 s8, s2
	v_bfe_u32 v6, v2, 24, 7
	v_dual_mov_b32 v151, s9 :: v_dual_mov_b32 v150, s8
	s_mov_b32 s8, exec_lo
	s_delay_alu instid0(VALU_DEP_2)
	v_cmpx_ne_u32_e32 0x7f, v6
	s_cbranch_execz .LBB285_1193
; %bb.1190:                             ;   in Loop: Header=BB285_11 Depth=1
	v_and_b32_e32 v15, 7, v3
	v_lshrrev_b32_e32 v2, 3, v6
	s_mov_b32 s21, exec_lo
	v_cmpx_gt_u32_e32 8, v6
; %bb.1191:                             ;   in Loop: Header=BB285_11 Depth=1
	s_delay_alu instid0(VALU_DEP_3) | instskip(NEXT) | instid1(VALU_DEP_1)
	v_clz_i32_u32_e32 v2, v15
	v_min_u32_e32 v2, 32, v2
	s_delay_alu instid0(VALU_DEP_1) | instskip(SKIP_1) | instid1(VALU_DEP_2)
	v_subrev_nc_u32_e32 v6, 28, v2
	v_sub_nc_u32_e32 v2, 29, v2
	v_lshlrev_b64 v[6:7], v6, v[15:16]
	s_delay_alu instid0(VALU_DEP_1)
	v_and_b32_e32 v15, 7, v6
; %bb.1192:                             ;   in Loop: Header=BB285_11 Depth=1
	s_or_b32 exec_lo, exec_lo, s21
	v_dual_mov_b32 v150, v16 :: v_dual_lshlrev_b32 v3, 24, v3
	s_delay_alu instid0(VALU_DEP_2) | instskip(SKIP_1) | instid1(VALU_DEP_3)
	v_lshlrev_b32_e32 v6, 20, v15
	v_lshl_add_u32 v2, v2, 23, 0x3c000000
	v_and_b32_e32 v3, 0x80000000, v3
	s_delay_alu instid0(VALU_DEP_1)
	v_or3_b32 v151, v6, v3, v2
.LBB285_1193:                           ;   in Loop: Header=BB285_11 Depth=1
	s_or_b32 exec_lo, exec_lo, s8
.LBB285_1194:                           ;   in Loop: Header=BB285_11 Depth=1
	s_delay_alu instid0(SALU_CYCLE_1)
	s_or_b32 exec_lo, exec_lo, s20
.LBB285_1195:                           ;   in Loop: Header=BB285_11 Depth=1
	s_delay_alu instid0(SALU_CYCLE_1) | instskip(SKIP_3) | instid1(VALU_DEP_2)
	s_or_b32 exec_lo, exec_lo, s19
	flat_load_b32 v2, v[102:103] offset:516
	v_mov_b32_e32 v162, 0
	v_mov_b32_e32 v163, 0
	;; [unrolled: 1-line block ×3, first 2 shown]
	s_mov_b32 s8, exec_lo
	s_delay_alu instid0(VALU_DEP_2) | instskip(SKIP_2) | instid1(VALU_DEP_1)
	v_mov_b32_e32 v1, v163
	s_waitcnt vmcnt(0) lgkmcnt(0)
	v_and_b32_e32 v3, 0xff, v2
	v_cmpx_ne_u16_e32 0, v3
	s_cbranch_execz .LBB285_1203
; %bb.1196:                             ;   in Loop: Header=BB285_11 Depth=1
	v_bfrev_b32_e32 v0, 1
	v_mov_b32_e32 v1, 0
	s_mov_b32 s19, exec_lo
	v_cmpx_ne_u16_e32 0x80, v3
	s_cbranch_execz .LBB285_1202
; %bb.1197:                             ;   in Loop: Header=BB285_11 Depth=1
	v_mov_b32_e32 v0, 0x7f800001
	v_dual_mov_b32 v1, 0 :: v_dual_and_b32 v6, 0x7f, v2
	s_mov_b32 s20, exec_lo
	s_delay_alu instid0(VALU_DEP_1)
	v_cmpx_ne_u32_e32 0x7f, v6
	s_cbranch_execz .LBB285_1201
; %bb.1198:                             ;   in Loop: Header=BB285_11 Depth=1
	v_and_b32_e32 v15, 7, v2
	v_lshrrev_b32_e32 v3, 3, v6
	s_mov_b32 s21, exec_lo
	v_cmpx_gt_u32_e32 8, v6
; %bb.1199:                             ;   in Loop: Header=BB285_11 Depth=1
	s_delay_alu instid0(VALU_DEP_3) | instskip(NEXT) | instid1(VALU_DEP_1)
	v_clz_i32_u32_e32 v3, v15
	v_min_u32_e32 v3, 32, v3
	s_delay_alu instid0(VALU_DEP_1) | instskip(SKIP_1) | instid1(VALU_DEP_2)
	v_subrev_nc_u32_e32 v6, 28, v3
	v_sub_nc_u32_e32 v3, 29, v3
	v_lshlrev_b64 v[6:7], v6, v[15:16]
	s_delay_alu instid0(VALU_DEP_1)
	v_and_b32_e32 v15, 7, v6
; %bb.1200:                             ;   in Loop: Header=BB285_11 Depth=1
	s_or_b32 exec_lo, exec_lo, s21
	v_lshlrev_b32_e32 v6, 24, v2
	s_delay_alu instid0(VALU_DEP_2) | instskip(SKIP_1) | instid1(VALU_DEP_3)
	v_lshlrev_b32_e32 v7, 20, v15
	v_lshl_add_u32 v3, v3, 23, 0x3c000000
	v_and_b32_e32 v6, 0x80000000, v6
	s_delay_alu instid0(VALU_DEP_1) | instskip(NEXT) | instid1(VALU_DEP_1)
	v_or3_b32 v15, v7, v6, v3
	v_dual_mov_b32 v0, v15 :: v_dual_mov_b32 v1, v16
.LBB285_1201:                           ;   in Loop: Header=BB285_11 Depth=1
	s_or_b32 exec_lo, exec_lo, s20
.LBB285_1202:                           ;   in Loop: Header=BB285_11 Depth=1
	s_delay_alu instid0(SALU_CYCLE_1)
	s_or_b32 exec_lo, exec_lo, s19
.LBB285_1203:                           ;   in Loop: Header=BB285_11 Depth=1
	s_delay_alu instid0(SALU_CYCLE_1) | instskip(SKIP_2) | instid1(VALU_DEP_1)
	s_or_b32 exec_lo, exec_lo, s8
	v_lshrrev_b16 v3, 8, v2
	s_mov_b32 s19, exec_lo
	v_cmpx_ne_u16_e32 0, v3
	s_cbranch_execz .LBB285_1211
; %bb.1204:                             ;   in Loop: Header=BB285_11 Depth=1
	v_dual_mov_b32 v163, s3 :: v_dual_mov_b32 v162, s2
	s_mov_b32 s20, exec_lo
	v_cmpx_ne_u16_e32 0x80, v3
	s_cbranch_execz .LBB285_1210
; %bb.1205:                             ;   in Loop: Header=BB285_11 Depth=1
	s_mov_b32 s8, s2
	v_and_b32_e32 v3, 0xffff, v3
	v_dual_mov_b32 v163, s9 :: v_dual_mov_b32 v162, s8
	s_mov_b32 s8, exec_lo
	s_delay_alu instid0(VALU_DEP_2) | instskip(NEXT) | instid1(VALU_DEP_1)
	v_and_b32_e32 v6, 0x7f, v3
	v_cmpx_ne_u32_e32 0x7f, v6
	s_cbranch_execz .LBB285_1209
; %bb.1206:                             ;   in Loop: Header=BB285_11 Depth=1
	v_and_b32_e32 v15, 7, v3
	v_lshrrev_b32_e32 v3, 3, v6
	s_mov_b32 s21, exec_lo
	v_cmpx_gt_u32_e32 8, v6
; %bb.1207:                             ;   in Loop: Header=BB285_11 Depth=1
	s_delay_alu instid0(VALU_DEP_3) | instskip(NEXT) | instid1(VALU_DEP_1)
	v_clz_i32_u32_e32 v3, v15
	v_min_u32_e32 v3, 32, v3
	s_delay_alu instid0(VALU_DEP_1) | instskip(SKIP_1) | instid1(VALU_DEP_2)
	v_subrev_nc_u32_e32 v6, 28, v3
	v_sub_nc_u32_e32 v3, 29, v3
	v_lshlrev_b64 v[6:7], v6, v[15:16]
	s_delay_alu instid0(VALU_DEP_1)
	v_and_b32_e32 v15, 7, v6
; %bb.1208:                             ;   in Loop: Header=BB285_11 Depth=1
	s_or_b32 exec_lo, exec_lo, s21
	v_lshlrev_b32_e32 v6, 16, v2
	s_delay_alu instid0(VALU_DEP_2) | instskip(SKIP_1) | instid1(VALU_DEP_3)
	v_dual_mov_b32 v162, v16 :: v_dual_lshlrev_b32 v7, 20, v15
	v_lshl_add_u32 v3, v3, 23, 0x3c000000
	v_and_b32_e32 v6, 0x80000000, v6
	s_delay_alu instid0(VALU_DEP_1)
	v_or3_b32 v163, v7, v6, v3
.LBB285_1209:                           ;   in Loop: Header=BB285_11 Depth=1
	s_or_b32 exec_lo, exec_lo, s8
.LBB285_1210:                           ;   in Loop: Header=BB285_11 Depth=1
	s_delay_alu instid0(SALU_CYCLE_1)
	s_or_b32 exec_lo, exec_lo, s20
.LBB285_1211:                           ;   in Loop: Header=BB285_11 Depth=1
	s_delay_alu instid0(SALU_CYCLE_1) | instskip(SKIP_4) | instid1(VALU_DEP_2)
	s_or_b32 exec_lo, exec_lo, s19
	v_mov_b32_e32 v174, 0
	v_lshrrev_b32_e32 v3, 16, v2
	v_mov_b32_e32 v175, 0
	s_mov_b32 s8, exec_lo
	v_and_b32_e32 v6, 0xff, v3
	s_delay_alu instid0(VALU_DEP_2) | instskip(NEXT) | instid1(VALU_DEP_2)
	v_dual_mov_b32 v4, v174 :: v_dual_mov_b32 v5, v175
	v_cmpx_ne_u16_e32 0, v6
	s_cbranch_execz .LBB285_1219
; %bb.1212:                             ;   in Loop: Header=BB285_11 Depth=1
	v_bfrev_b32_e32 v4, 1
	v_mov_b32_e32 v5, 0
	s_mov_b32 s19, exec_lo
	v_cmpx_ne_u16_e32 0x80, v6
	s_cbranch_execz .LBB285_1218
; %bb.1213:                             ;   in Loop: Header=BB285_11 Depth=1
	v_mov_b32_e32 v4, 0x7f800001
	v_bfe_u32 v7, v2, 16, 7
	v_mov_b32_e32 v5, 0
	s_mov_b32 s20, exec_lo
	s_delay_alu instid0(VALU_DEP_2)
	v_cmpx_ne_u32_e32 0x7f, v7
	s_cbranch_execz .LBB285_1217
; %bb.1214:                             ;   in Loop: Header=BB285_11 Depth=1
	v_and_b32_e32 v15, 7, v3
	v_lshrrev_b32_e32 v6, 3, v7
	s_mov_b32 s21, exec_lo
	v_cmpx_gt_u32_e32 8, v7
; %bb.1215:                             ;   in Loop: Header=BB285_11 Depth=1
	s_delay_alu instid0(VALU_DEP_3) | instskip(NEXT) | instid1(VALU_DEP_1)
	v_clz_i32_u32_e32 v6, v15
	v_min_u32_e32 v6, 32, v6
	s_delay_alu instid0(VALU_DEP_1) | instskip(SKIP_1) | instid1(VALU_DEP_2)
	v_subrev_nc_u32_e32 v7, 28, v6
	v_sub_nc_u32_e32 v6, 29, v6
	v_lshlrev_b64 v[7:8], v7, v[15:16]
	s_delay_alu instid0(VALU_DEP_1)
	v_and_b32_e32 v15, 7, v7
; %bb.1216:                             ;   in Loop: Header=BB285_11 Depth=1
	s_or_b32 exec_lo, exec_lo, s21
	v_lshlrev_b32_e32 v3, 24, v3
	s_delay_alu instid0(VALU_DEP_2) | instskip(SKIP_1) | instid1(VALU_DEP_3)
	v_lshlrev_b32_e32 v7, 20, v15
	v_lshl_add_u32 v6, v6, 23, 0x3c000000
	v_and_b32_e32 v3, 0x80000000, v3
	s_delay_alu instid0(VALU_DEP_1) | instskip(NEXT) | instid1(VALU_DEP_1)
	v_or3_b32 v15, v7, v3, v6
	v_dual_mov_b32 v4, v15 :: v_dual_mov_b32 v5, v16
.LBB285_1217:                           ;   in Loop: Header=BB285_11 Depth=1
	s_or_b32 exec_lo, exec_lo, s20
.LBB285_1218:                           ;   in Loop: Header=BB285_11 Depth=1
	s_delay_alu instid0(SALU_CYCLE_1)
	s_or_b32 exec_lo, exec_lo, s19
.LBB285_1219:                           ;   in Loop: Header=BB285_11 Depth=1
	s_delay_alu instid0(SALU_CYCLE_1) | instskip(NEXT) | instid1(SALU_CYCLE_1)
	s_or_b32 exec_lo, exec_lo, s8
	s_mov_b32 s19, exec_lo
	v_cmpx_lt_u32_e32 0xffffff, v2
	s_cbranch_execz .LBB285_1227
; %bb.1220:                             ;   in Loop: Header=BB285_11 Depth=1
	v_lshrrev_b32_e32 v3, 24, v2
	v_dual_mov_b32 v175, s3 :: v_dual_mov_b32 v174, s2
	s_mov_b32 s20, exec_lo
	s_delay_alu instid0(VALU_DEP_2)
	v_cmpx_ne_u32_e32 0x80, v3
	s_cbranch_execz .LBB285_1226
; %bb.1221:                             ;   in Loop: Header=BB285_11 Depth=1
	s_mov_b32 s8, s2
	v_bfe_u32 v6, v2, 24, 7
	v_dual_mov_b32 v175, s9 :: v_dual_mov_b32 v174, s8
	s_mov_b32 s8, exec_lo
	s_delay_alu instid0(VALU_DEP_2)
	v_cmpx_ne_u32_e32 0x7f, v6
	s_cbranch_execz .LBB285_1225
; %bb.1222:                             ;   in Loop: Header=BB285_11 Depth=1
	v_and_b32_e32 v15, 7, v3
	v_lshrrev_b32_e32 v2, 3, v6
	s_mov_b32 s21, exec_lo
	v_cmpx_gt_u32_e32 8, v6
; %bb.1223:                             ;   in Loop: Header=BB285_11 Depth=1
	s_delay_alu instid0(VALU_DEP_3) | instskip(NEXT) | instid1(VALU_DEP_1)
	v_clz_i32_u32_e32 v2, v15
	v_min_u32_e32 v2, 32, v2
	s_delay_alu instid0(VALU_DEP_1) | instskip(SKIP_1) | instid1(VALU_DEP_2)
	v_subrev_nc_u32_e32 v6, 28, v2
	v_sub_nc_u32_e32 v2, 29, v2
	v_lshlrev_b64 v[6:7], v6, v[15:16]
	s_delay_alu instid0(VALU_DEP_1)
	v_and_b32_e32 v15, 7, v6
; %bb.1224:                             ;   in Loop: Header=BB285_11 Depth=1
	s_or_b32 exec_lo, exec_lo, s21
	v_dual_mov_b32 v174, v16 :: v_dual_lshlrev_b32 v3, 24, v3
	s_delay_alu instid0(VALU_DEP_2) | instskip(SKIP_1) | instid1(VALU_DEP_3)
	v_lshlrev_b32_e32 v6, 20, v15
	v_lshl_add_u32 v2, v2, 23, 0x3c000000
	v_and_b32_e32 v3, 0x80000000, v3
	s_delay_alu instid0(VALU_DEP_1)
	v_or3_b32 v175, v6, v3, v2
.LBB285_1225:                           ;   in Loop: Header=BB285_11 Depth=1
	s_or_b32 exec_lo, exec_lo, s8
.LBB285_1226:                           ;   in Loop: Header=BB285_11 Depth=1
	s_delay_alu instid0(SALU_CYCLE_1)
	s_or_b32 exec_lo, exec_lo, s20
.LBB285_1227:                           ;   in Loop: Header=BB285_11 Depth=1
	s_delay_alu instid0(SALU_CYCLE_1) | instskip(SKIP_3) | instid1(VALU_DEP_2)
	s_or_b32 exec_lo, exec_lo, s19
	flat_load_b32 v2, v[102:103] offset:520
	v_mov_b32_e32 v186, 0
	v_mov_b32_e32 v187, 0
	;; [unrolled: 1-line block ×3, first 2 shown]
	s_mov_b32 s8, exec_lo
	s_delay_alu instid0(VALU_DEP_2) | instskip(SKIP_2) | instid1(VALU_DEP_1)
	v_mov_b32_e32 v11, v187
	s_waitcnt vmcnt(0) lgkmcnt(0)
	v_and_b32_e32 v3, 0xff, v2
	v_cmpx_ne_u16_e32 0, v3
	s_cbranch_execz .LBB285_1235
; %bb.1228:                             ;   in Loop: Header=BB285_11 Depth=1
	v_bfrev_b32_e32 v10, 1
	v_mov_b32_e32 v11, 0
	s_mov_b32 s19, exec_lo
	v_cmpx_ne_u16_e32 0x80, v3
	s_cbranch_execz .LBB285_1234
; %bb.1229:                             ;   in Loop: Header=BB285_11 Depth=1
	v_mov_b32_e32 v10, 0x7f800001
	v_dual_mov_b32 v11, 0 :: v_dual_and_b32 v6, 0x7f, v2
	s_mov_b32 s20, exec_lo
	s_delay_alu instid0(VALU_DEP_1)
	v_cmpx_ne_u32_e32 0x7f, v6
	s_cbranch_execz .LBB285_1233
; %bb.1230:                             ;   in Loop: Header=BB285_11 Depth=1
	v_and_b32_e32 v15, 7, v2
	v_lshrrev_b32_e32 v3, 3, v6
	s_mov_b32 s21, exec_lo
	v_cmpx_gt_u32_e32 8, v6
; %bb.1231:                             ;   in Loop: Header=BB285_11 Depth=1
	s_delay_alu instid0(VALU_DEP_3) | instskip(NEXT) | instid1(VALU_DEP_1)
	v_clz_i32_u32_e32 v3, v15
	v_min_u32_e32 v3, 32, v3
	s_delay_alu instid0(VALU_DEP_1) | instskip(SKIP_1) | instid1(VALU_DEP_2)
	v_subrev_nc_u32_e32 v6, 28, v3
	v_sub_nc_u32_e32 v3, 29, v3
	v_lshlrev_b64 v[6:7], v6, v[15:16]
	s_delay_alu instid0(VALU_DEP_1)
	v_and_b32_e32 v15, 7, v6
; %bb.1232:                             ;   in Loop: Header=BB285_11 Depth=1
	s_or_b32 exec_lo, exec_lo, s21
	v_lshlrev_b32_e32 v6, 24, v2
	s_delay_alu instid0(VALU_DEP_2) | instskip(SKIP_1) | instid1(VALU_DEP_3)
	v_lshlrev_b32_e32 v7, 20, v15
	v_lshl_add_u32 v3, v3, 23, 0x3c000000
	v_and_b32_e32 v6, 0x80000000, v6
	s_delay_alu instid0(VALU_DEP_1) | instskip(NEXT) | instid1(VALU_DEP_1)
	v_or3_b32 v15, v7, v6, v3
	v_dual_mov_b32 v10, v15 :: v_dual_mov_b32 v11, v16
.LBB285_1233:                           ;   in Loop: Header=BB285_11 Depth=1
	s_or_b32 exec_lo, exec_lo, s20
.LBB285_1234:                           ;   in Loop: Header=BB285_11 Depth=1
	s_delay_alu instid0(SALU_CYCLE_1)
	s_or_b32 exec_lo, exec_lo, s19
.LBB285_1235:                           ;   in Loop: Header=BB285_11 Depth=1
	s_delay_alu instid0(SALU_CYCLE_1) | instskip(SKIP_2) | instid1(VALU_DEP_1)
	s_or_b32 exec_lo, exec_lo, s8
	v_lshrrev_b16 v3, 8, v2
	s_mov_b32 s19, exec_lo
	v_cmpx_ne_u16_e32 0, v3
	s_cbranch_execz .LBB285_1243
; %bb.1236:                             ;   in Loop: Header=BB285_11 Depth=1
	v_dual_mov_b32 v187, s3 :: v_dual_mov_b32 v186, s2
	s_mov_b32 s20, exec_lo
	v_cmpx_ne_u16_e32 0x80, v3
	s_cbranch_execz .LBB285_1242
; %bb.1237:                             ;   in Loop: Header=BB285_11 Depth=1
	s_mov_b32 s8, s2
	v_and_b32_e32 v3, 0xffff, v3
	v_dual_mov_b32 v187, s9 :: v_dual_mov_b32 v186, s8
	s_mov_b32 s8, exec_lo
	s_delay_alu instid0(VALU_DEP_2) | instskip(NEXT) | instid1(VALU_DEP_1)
	v_and_b32_e32 v6, 0x7f, v3
	v_cmpx_ne_u32_e32 0x7f, v6
	s_cbranch_execz .LBB285_1241
; %bb.1238:                             ;   in Loop: Header=BB285_11 Depth=1
	v_and_b32_e32 v15, 7, v3
	v_lshrrev_b32_e32 v3, 3, v6
	s_mov_b32 s21, exec_lo
	v_cmpx_gt_u32_e32 8, v6
; %bb.1239:                             ;   in Loop: Header=BB285_11 Depth=1
	s_delay_alu instid0(VALU_DEP_3) | instskip(NEXT) | instid1(VALU_DEP_1)
	v_clz_i32_u32_e32 v3, v15
	v_min_u32_e32 v3, 32, v3
	s_delay_alu instid0(VALU_DEP_1) | instskip(SKIP_1) | instid1(VALU_DEP_2)
	v_subrev_nc_u32_e32 v6, 28, v3
	v_sub_nc_u32_e32 v3, 29, v3
	v_lshlrev_b64 v[6:7], v6, v[15:16]
	s_delay_alu instid0(VALU_DEP_1)
	v_and_b32_e32 v15, 7, v6
; %bb.1240:                             ;   in Loop: Header=BB285_11 Depth=1
	s_or_b32 exec_lo, exec_lo, s21
	v_lshlrev_b32_e32 v6, 16, v2
	s_delay_alu instid0(VALU_DEP_2) | instskip(SKIP_1) | instid1(VALU_DEP_3)
	v_dual_mov_b32 v186, v16 :: v_dual_lshlrev_b32 v7, 20, v15
	v_lshl_add_u32 v3, v3, 23, 0x3c000000
	v_and_b32_e32 v6, 0x80000000, v6
	s_delay_alu instid0(VALU_DEP_1)
	v_or3_b32 v187, v7, v6, v3
.LBB285_1241:                           ;   in Loop: Header=BB285_11 Depth=1
	s_or_b32 exec_lo, exec_lo, s8
.LBB285_1242:                           ;   in Loop: Header=BB285_11 Depth=1
	s_delay_alu instid0(SALU_CYCLE_1)
	s_or_b32 exec_lo, exec_lo, s20
.LBB285_1243:                           ;   in Loop: Header=BB285_11 Depth=1
	s_delay_alu instid0(SALU_CYCLE_1) | instskip(SKIP_4) | instid1(VALU_DEP_1)
	s_or_b32 exec_lo, exec_lo, s19
	v_mov_b32_e32 v42, 0
	v_lshrrev_b32_e32 v3, 16, v2
	v_mov_b32_e32 v43, 0
	s_mov_b32 s8, exec_lo
	v_dual_mov_b32 v191, v43 :: v_dual_and_b32 v6, 0xff, v3
	v_mov_b32_e32 v190, v42
	s_delay_alu instid0(VALU_DEP_2)
	v_cmpx_ne_u16_e32 0, v6
	s_cbranch_execz .LBB285_1251
; %bb.1244:                             ;   in Loop: Header=BB285_11 Depth=1
	v_bfrev_b32_e32 v190, 1
	v_mov_b32_e32 v191, 0
	s_mov_b32 s19, exec_lo
	v_cmpx_ne_u16_e32 0x80, v6
	s_cbranch_execz .LBB285_1250
; %bb.1245:                             ;   in Loop: Header=BB285_11 Depth=1
	v_mov_b32_e32 v190, 0x7f800001
	v_bfe_u32 v7, v2, 16, 7
	v_mov_b32_e32 v191, 0
	s_mov_b32 s20, exec_lo
	s_delay_alu instid0(VALU_DEP_2)
	v_cmpx_ne_u32_e32 0x7f, v7
	s_cbranch_execz .LBB285_1249
; %bb.1246:                             ;   in Loop: Header=BB285_11 Depth=1
	v_and_b32_e32 v15, 7, v3
	v_lshrrev_b32_e32 v6, 3, v7
	s_mov_b32 s21, exec_lo
	v_cmpx_gt_u32_e32 8, v7
; %bb.1247:                             ;   in Loop: Header=BB285_11 Depth=1
	s_delay_alu instid0(VALU_DEP_3) | instskip(NEXT) | instid1(VALU_DEP_1)
	v_clz_i32_u32_e32 v6, v15
	v_min_u32_e32 v6, 32, v6
	s_delay_alu instid0(VALU_DEP_1) | instskip(SKIP_1) | instid1(VALU_DEP_2)
	v_subrev_nc_u32_e32 v7, 28, v6
	v_sub_nc_u32_e32 v6, 29, v6
	v_lshlrev_b64 v[7:8], v7, v[15:16]
	s_delay_alu instid0(VALU_DEP_1)
	v_and_b32_e32 v15, 7, v7
; %bb.1248:                             ;   in Loop: Header=BB285_11 Depth=1
	s_or_b32 exec_lo, exec_lo, s21
	v_lshlrev_b32_e32 v3, 24, v3
	s_delay_alu instid0(VALU_DEP_2) | instskip(SKIP_1) | instid1(VALU_DEP_3)
	v_lshlrev_b32_e32 v7, 20, v15
	v_lshl_add_u32 v6, v6, 23, 0x3c000000
	v_and_b32_e32 v3, 0x80000000, v3
	s_delay_alu instid0(VALU_DEP_1) | instskip(NEXT) | instid1(VALU_DEP_1)
	v_or3_b32 v15, v7, v3, v6
	v_dual_mov_b32 v191, v16 :: v_dual_mov_b32 v190, v15
.LBB285_1249:                           ;   in Loop: Header=BB285_11 Depth=1
	s_or_b32 exec_lo, exec_lo, s20
.LBB285_1250:                           ;   in Loop: Header=BB285_11 Depth=1
	s_delay_alu instid0(SALU_CYCLE_1)
	s_or_b32 exec_lo, exec_lo, s19
.LBB285_1251:                           ;   in Loop: Header=BB285_11 Depth=1
	s_delay_alu instid0(SALU_CYCLE_1) | instskip(NEXT) | instid1(SALU_CYCLE_1)
	s_or_b32 exec_lo, exec_lo, s8
	s_mov_b32 s19, exec_lo
	v_cmpx_lt_u32_e32 0xffffff, v2
	s_cbranch_execz .LBB285_1259
; %bb.1252:                             ;   in Loop: Header=BB285_11 Depth=1
	v_lshrrev_b32_e32 v3, 24, v2
	v_dual_mov_b32 v43, s3 :: v_dual_mov_b32 v42, s2
	s_mov_b32 s20, exec_lo
	s_delay_alu instid0(VALU_DEP_2)
	v_cmpx_ne_u32_e32 0x80, v3
	s_cbranch_execz .LBB285_1258
; %bb.1253:                             ;   in Loop: Header=BB285_11 Depth=1
	s_mov_b32 s8, s2
	v_bfe_u32 v6, v2, 24, 7
	v_dual_mov_b32 v43, s9 :: v_dual_mov_b32 v42, s8
	s_mov_b32 s8, exec_lo
	s_delay_alu instid0(VALU_DEP_2)
	v_cmpx_ne_u32_e32 0x7f, v6
	s_cbranch_execz .LBB285_1257
; %bb.1254:                             ;   in Loop: Header=BB285_11 Depth=1
	v_and_b32_e32 v15, 7, v3
	v_lshrrev_b32_e32 v2, 3, v6
	s_mov_b32 s21, exec_lo
	v_cmpx_gt_u32_e32 8, v6
; %bb.1255:                             ;   in Loop: Header=BB285_11 Depth=1
	s_delay_alu instid0(VALU_DEP_3) | instskip(NEXT) | instid1(VALU_DEP_1)
	v_clz_i32_u32_e32 v2, v15
	v_min_u32_e32 v2, 32, v2
	s_delay_alu instid0(VALU_DEP_1) | instskip(SKIP_1) | instid1(VALU_DEP_2)
	v_subrev_nc_u32_e32 v6, 28, v2
	v_sub_nc_u32_e32 v2, 29, v2
	v_lshlrev_b64 v[6:7], v6, v[15:16]
	s_delay_alu instid0(VALU_DEP_1)
	v_and_b32_e32 v15, 7, v6
; %bb.1256:                             ;   in Loop: Header=BB285_11 Depth=1
	s_or_b32 exec_lo, exec_lo, s21
	v_dual_mov_b32 v42, v16 :: v_dual_lshlrev_b32 v3, 24, v3
	s_delay_alu instid0(VALU_DEP_2) | instskip(SKIP_1) | instid1(VALU_DEP_3)
	v_lshlrev_b32_e32 v6, 20, v15
	v_lshl_add_u32 v2, v2, 23, 0x3c000000
	v_and_b32_e32 v3, 0x80000000, v3
	s_delay_alu instid0(VALU_DEP_1)
	v_or3_b32 v43, v6, v3, v2
.LBB285_1257:                           ;   in Loop: Header=BB285_11 Depth=1
	s_or_b32 exec_lo, exec_lo, s8
.LBB285_1258:                           ;   in Loop: Header=BB285_11 Depth=1
	s_delay_alu instid0(SALU_CYCLE_1)
	s_or_b32 exec_lo, exec_lo, s20
.LBB285_1259:                           ;   in Loop: Header=BB285_11 Depth=1
	s_delay_alu instid0(SALU_CYCLE_1) | instskip(SKIP_3) | instid1(VALU_DEP_2)
	s_or_b32 exec_lo, exec_lo, s19
	flat_load_b32 v2, v[102:103] offset:524
	v_mov_b32_e32 v46, 0
	v_mov_b32_e32 v47, 0
	v_mov_b32_e32 v8, v46
	s_mov_b32 s8, exec_lo
	s_delay_alu instid0(VALU_DEP_2) | instskip(SKIP_2) | instid1(VALU_DEP_1)
	v_mov_b32_e32 v9, v47
	s_waitcnt vmcnt(0) lgkmcnt(0)
	v_and_b32_e32 v3, 0xff, v2
	v_cmpx_ne_u16_e32 0, v3
	s_cbranch_execz .LBB285_1267
; %bb.1260:                             ;   in Loop: Header=BB285_11 Depth=1
	v_bfrev_b32_e32 v8, 1
	v_mov_b32_e32 v9, 0
	s_mov_b32 s19, exec_lo
	v_cmpx_ne_u16_e32 0x80, v3
	s_cbranch_execz .LBB285_1266
; %bb.1261:                             ;   in Loop: Header=BB285_11 Depth=1
	v_mov_b32_e32 v8, 0x7f800001
	v_dual_mov_b32 v9, 0 :: v_dual_and_b32 v6, 0x7f, v2
	s_mov_b32 s20, exec_lo
	s_delay_alu instid0(VALU_DEP_1)
	v_cmpx_ne_u32_e32 0x7f, v6
	s_cbranch_execz .LBB285_1265
; %bb.1262:                             ;   in Loop: Header=BB285_11 Depth=1
	v_and_b32_e32 v15, 7, v2
	v_lshrrev_b32_e32 v3, 3, v6
	s_mov_b32 s21, exec_lo
	v_cmpx_gt_u32_e32 8, v6
; %bb.1263:                             ;   in Loop: Header=BB285_11 Depth=1
	s_delay_alu instid0(VALU_DEP_3) | instskip(NEXT) | instid1(VALU_DEP_1)
	v_clz_i32_u32_e32 v3, v15
	v_min_u32_e32 v3, 32, v3
	s_delay_alu instid0(VALU_DEP_1) | instskip(SKIP_1) | instid1(VALU_DEP_2)
	v_subrev_nc_u32_e32 v6, 28, v3
	v_sub_nc_u32_e32 v3, 29, v3
	v_lshlrev_b64 v[6:7], v6, v[15:16]
	s_delay_alu instid0(VALU_DEP_1)
	v_and_b32_e32 v15, 7, v6
; %bb.1264:                             ;   in Loop: Header=BB285_11 Depth=1
	s_or_b32 exec_lo, exec_lo, s21
	v_lshlrev_b32_e32 v6, 24, v2
	s_delay_alu instid0(VALU_DEP_2) | instskip(SKIP_1) | instid1(VALU_DEP_3)
	v_lshlrev_b32_e32 v7, 20, v15
	v_lshl_add_u32 v3, v3, 23, 0x3c000000
	v_and_b32_e32 v6, 0x80000000, v6
	s_delay_alu instid0(VALU_DEP_1) | instskip(NEXT) | instid1(VALU_DEP_1)
	v_or3_b32 v15, v7, v6, v3
	v_dual_mov_b32 v8, v15 :: v_dual_mov_b32 v9, v16
.LBB285_1265:                           ;   in Loop: Header=BB285_11 Depth=1
	s_or_b32 exec_lo, exec_lo, s20
.LBB285_1266:                           ;   in Loop: Header=BB285_11 Depth=1
	s_delay_alu instid0(SALU_CYCLE_1)
	s_or_b32 exec_lo, exec_lo, s19
.LBB285_1267:                           ;   in Loop: Header=BB285_11 Depth=1
	s_delay_alu instid0(SALU_CYCLE_1) | instskip(SKIP_2) | instid1(VALU_DEP_1)
	s_or_b32 exec_lo, exec_lo, s8
	v_lshrrev_b16 v3, 8, v2
	s_mov_b32 s19, exec_lo
	v_cmpx_ne_u16_e32 0, v3
	s_cbranch_execz .LBB285_1275
; %bb.1268:                             ;   in Loop: Header=BB285_11 Depth=1
	v_dual_mov_b32 v47, s3 :: v_dual_mov_b32 v46, s2
	s_mov_b32 s20, exec_lo
	v_cmpx_ne_u16_e32 0x80, v3
	s_cbranch_execz .LBB285_1274
; %bb.1269:                             ;   in Loop: Header=BB285_11 Depth=1
	s_mov_b32 s8, s2
	v_and_b32_e32 v3, 0xffff, v3
	v_dual_mov_b32 v47, s9 :: v_dual_mov_b32 v46, s8
	s_mov_b32 s8, exec_lo
	s_delay_alu instid0(VALU_DEP_2) | instskip(NEXT) | instid1(VALU_DEP_1)
	v_and_b32_e32 v6, 0x7f, v3
	v_cmpx_ne_u32_e32 0x7f, v6
	s_cbranch_execz .LBB285_1273
; %bb.1270:                             ;   in Loop: Header=BB285_11 Depth=1
	v_and_b32_e32 v15, 7, v3
	v_lshrrev_b32_e32 v3, 3, v6
	s_mov_b32 s21, exec_lo
	v_cmpx_gt_u32_e32 8, v6
; %bb.1271:                             ;   in Loop: Header=BB285_11 Depth=1
	s_delay_alu instid0(VALU_DEP_3) | instskip(NEXT) | instid1(VALU_DEP_1)
	v_clz_i32_u32_e32 v3, v15
	v_min_u32_e32 v3, 32, v3
	s_delay_alu instid0(VALU_DEP_1) | instskip(SKIP_1) | instid1(VALU_DEP_2)
	v_subrev_nc_u32_e32 v6, 28, v3
	v_sub_nc_u32_e32 v3, 29, v3
	v_lshlrev_b64 v[6:7], v6, v[15:16]
	s_delay_alu instid0(VALU_DEP_1)
	v_and_b32_e32 v15, 7, v6
; %bb.1272:                             ;   in Loop: Header=BB285_11 Depth=1
	s_or_b32 exec_lo, exec_lo, s21
	v_lshlrev_b32_e32 v6, 16, v2
	s_delay_alu instid0(VALU_DEP_2) | instskip(SKIP_1) | instid1(VALU_DEP_3)
	v_dual_mov_b32 v46, v16 :: v_dual_lshlrev_b32 v7, 20, v15
	v_lshl_add_u32 v3, v3, 23, 0x3c000000
	v_and_b32_e32 v6, 0x80000000, v6
	s_delay_alu instid0(VALU_DEP_1)
	v_or3_b32 v47, v7, v6, v3
.LBB285_1273:                           ;   in Loop: Header=BB285_11 Depth=1
	s_or_b32 exec_lo, exec_lo, s8
.LBB285_1274:                           ;   in Loop: Header=BB285_11 Depth=1
	s_delay_alu instid0(SALU_CYCLE_1)
	s_or_b32 exec_lo, exec_lo, s20
.LBB285_1275:                           ;   in Loop: Header=BB285_11 Depth=1
	s_delay_alu instid0(SALU_CYCLE_1) | instskip(SKIP_4) | instid1(VALU_DEP_2)
	s_or_b32 exec_lo, exec_lo, s19
	v_mov_b32_e32 v58, 0
	v_lshrrev_b32_e32 v3, 16, v2
	v_mov_b32_e32 v59, 0
	s_mov_b32 s8, exec_lo
	v_dual_mov_b32 v21, v58 :: v_dual_and_b32 v6, 0xff, v3
	s_delay_alu instid0(VALU_DEP_2) | instskip(NEXT) | instid1(VALU_DEP_2)
	v_mov_b32_e32 v22, v59
	v_cmpx_ne_u16_e32 0, v6
	s_cbranch_execz .LBB285_1283
; %bb.1276:                             ;   in Loop: Header=BB285_11 Depth=1
	v_bfrev_b32_e32 v21, 1
	v_mov_b32_e32 v22, 0
	s_mov_b32 s19, exec_lo
	v_cmpx_ne_u16_e32 0x80, v6
	s_cbranch_execz .LBB285_1282
; %bb.1277:                             ;   in Loop: Header=BB285_11 Depth=1
	v_mov_b32_e32 v21, 0x7f800001
	v_bfe_u32 v7, v2, 16, 7
	v_mov_b32_e32 v22, 0
	s_mov_b32 s20, exec_lo
	s_delay_alu instid0(VALU_DEP_2)
	v_cmpx_ne_u32_e32 0x7f, v7
	s_cbranch_execz .LBB285_1281
; %bb.1278:                             ;   in Loop: Header=BB285_11 Depth=1
	v_and_b32_e32 v15, 7, v3
	v_lshrrev_b32_e32 v6, 3, v7
	s_mov_b32 s21, exec_lo
	v_cmpx_gt_u32_e32 8, v7
; %bb.1279:                             ;   in Loop: Header=BB285_11 Depth=1
	s_delay_alu instid0(VALU_DEP_3) | instskip(NEXT) | instid1(VALU_DEP_1)
	v_clz_i32_u32_e32 v6, v15
	v_min_u32_e32 v6, 32, v6
	s_delay_alu instid0(VALU_DEP_1) | instskip(SKIP_1) | instid1(VALU_DEP_2)
	v_subrev_nc_u32_e32 v7, 28, v6
	v_sub_nc_u32_e32 v6, 29, v6
	v_lshlrev_b64 v[12:13], v7, v[15:16]
	s_delay_alu instid0(VALU_DEP_1)
	v_and_b32_e32 v15, 7, v12
; %bb.1280:                             ;   in Loop: Header=BB285_11 Depth=1
	s_or_b32 exec_lo, exec_lo, s21
	v_lshlrev_b32_e32 v3, 24, v3
	s_delay_alu instid0(VALU_DEP_2) | instskip(SKIP_1) | instid1(VALU_DEP_3)
	v_lshlrev_b32_e32 v7, 20, v15
	v_lshl_add_u32 v6, v6, 23, 0x3c000000
	v_and_b32_e32 v3, 0x80000000, v3
	s_delay_alu instid0(VALU_DEP_1) | instskip(NEXT) | instid1(VALU_DEP_1)
	v_or3_b32 v15, v7, v3, v6
	v_dual_mov_b32 v22, v16 :: v_dual_mov_b32 v21, v15
.LBB285_1281:                           ;   in Loop: Header=BB285_11 Depth=1
	s_or_b32 exec_lo, exec_lo, s20
.LBB285_1282:                           ;   in Loop: Header=BB285_11 Depth=1
	s_delay_alu instid0(SALU_CYCLE_1)
	s_or_b32 exec_lo, exec_lo, s19
.LBB285_1283:                           ;   in Loop: Header=BB285_11 Depth=1
	s_delay_alu instid0(SALU_CYCLE_1) | instskip(NEXT) | instid1(SALU_CYCLE_1)
	s_or_b32 exec_lo, exec_lo, s8
	s_mov_b32 s19, exec_lo
	v_cmpx_lt_u32_e32 0xffffff, v2
	s_cbranch_execz .LBB285_1291
; %bb.1284:                             ;   in Loop: Header=BB285_11 Depth=1
	v_lshrrev_b32_e32 v3, 24, v2
	v_dual_mov_b32 v59, s3 :: v_dual_mov_b32 v58, s2
	s_mov_b32 s20, exec_lo
	s_delay_alu instid0(VALU_DEP_2)
	v_cmpx_ne_u32_e32 0x80, v3
	s_cbranch_execz .LBB285_1290
; %bb.1285:                             ;   in Loop: Header=BB285_11 Depth=1
	s_mov_b32 s8, s2
	v_bfe_u32 v6, v2, 24, 7
	v_dual_mov_b32 v59, s9 :: v_dual_mov_b32 v58, s8
	s_mov_b32 s8, exec_lo
	s_delay_alu instid0(VALU_DEP_2)
	v_cmpx_ne_u32_e32 0x7f, v6
	s_cbranch_execz .LBB285_1289
; %bb.1286:                             ;   in Loop: Header=BB285_11 Depth=1
	v_and_b32_e32 v15, 7, v3
	v_lshrrev_b32_e32 v2, 3, v6
	s_mov_b32 s21, exec_lo
	v_cmpx_gt_u32_e32 8, v6
; %bb.1287:                             ;   in Loop: Header=BB285_11 Depth=1
	s_delay_alu instid0(VALU_DEP_3) | instskip(NEXT) | instid1(VALU_DEP_1)
	v_clz_i32_u32_e32 v2, v15
	v_min_u32_e32 v2, 32, v2
	s_delay_alu instid0(VALU_DEP_1) | instskip(SKIP_1) | instid1(VALU_DEP_2)
	v_subrev_nc_u32_e32 v6, 28, v2
	v_sub_nc_u32_e32 v2, 29, v2
	v_lshlrev_b64 v[6:7], v6, v[15:16]
	s_delay_alu instid0(VALU_DEP_1)
	v_and_b32_e32 v15, 7, v6
; %bb.1288:                             ;   in Loop: Header=BB285_11 Depth=1
	s_or_b32 exec_lo, exec_lo, s21
	v_dual_mov_b32 v58, v16 :: v_dual_lshlrev_b32 v3, 24, v3
	s_delay_alu instid0(VALU_DEP_2) | instskip(SKIP_1) | instid1(VALU_DEP_3)
	v_lshlrev_b32_e32 v6, 20, v15
	v_lshl_add_u32 v2, v2, 23, 0x3c000000
	v_and_b32_e32 v3, 0x80000000, v3
	s_delay_alu instid0(VALU_DEP_1)
	v_or3_b32 v59, v6, v3, v2
.LBB285_1289:                           ;   in Loop: Header=BB285_11 Depth=1
	s_or_b32 exec_lo, exec_lo, s8
.LBB285_1290:                           ;   in Loop: Header=BB285_11 Depth=1
	s_delay_alu instid0(SALU_CYCLE_1)
	s_or_b32 exec_lo, exec_lo, s20
.LBB285_1291:                           ;   in Loop: Header=BB285_11 Depth=1
	s_delay_alu instid0(SALU_CYCLE_1) | instskip(SKIP_3) | instid1(VALU_DEP_2)
	s_or_b32 exec_lo, exec_lo, s19
	flat_load_b32 v2, v[102:103] offset:1024
	v_mov_b32_e32 v62, 0
	v_mov_b32_e32 v63, 0
	;; [unrolled: 1-line block ×3, first 2 shown]
	s_mov_b32 s8, exec_lo
	s_waitcnt vmcnt(0) lgkmcnt(0)
	s_delay_alu instid0(VALU_DEP_2) | instskip(NEXT) | instid1(VALU_DEP_1)
	v_dual_mov_b32 v26, v63 :: v_dual_and_b32 v3, 0xff, v2
	v_cmpx_ne_u16_e32 0, v3
	s_cbranch_execz .LBB285_1299
; %bb.1292:                             ;   in Loop: Header=BB285_11 Depth=1
	v_bfrev_b32_e32 v25, 1
	v_mov_b32_e32 v26, 0
	s_mov_b32 s19, exec_lo
	v_cmpx_ne_u16_e32 0x80, v3
	s_cbranch_execz .LBB285_1298
; %bb.1293:                             ;   in Loop: Header=BB285_11 Depth=1
	v_mov_b32_e32 v25, 0x7f800001
	v_and_b32_e32 v6, 0x7f, v2
	v_mov_b32_e32 v26, 0
	s_mov_b32 s20, exec_lo
	s_delay_alu instid0(VALU_DEP_2)
	v_cmpx_ne_u32_e32 0x7f, v6
	s_cbranch_execz .LBB285_1297
; %bb.1294:                             ;   in Loop: Header=BB285_11 Depth=1
	v_and_b32_e32 v15, 7, v2
	v_lshrrev_b32_e32 v3, 3, v6
	s_mov_b32 s21, exec_lo
	v_cmpx_gt_u32_e32 8, v6
; %bb.1295:                             ;   in Loop: Header=BB285_11 Depth=1
	s_delay_alu instid0(VALU_DEP_3) | instskip(NEXT) | instid1(VALU_DEP_1)
	v_clz_i32_u32_e32 v3, v15
	v_min_u32_e32 v3, 32, v3
	s_delay_alu instid0(VALU_DEP_1) | instskip(SKIP_1) | instid1(VALU_DEP_2)
	v_subrev_nc_u32_e32 v6, 28, v3
	v_sub_nc_u32_e32 v3, 29, v3
	v_lshlrev_b64 v[6:7], v6, v[15:16]
	s_delay_alu instid0(VALU_DEP_1)
	v_and_b32_e32 v15, 7, v6
; %bb.1296:                             ;   in Loop: Header=BB285_11 Depth=1
	s_or_b32 exec_lo, exec_lo, s21
	v_lshlrev_b32_e32 v6, 24, v2
	s_delay_alu instid0(VALU_DEP_2) | instskip(SKIP_1) | instid1(VALU_DEP_3)
	v_lshlrev_b32_e32 v7, 20, v15
	v_lshl_add_u32 v3, v3, 23, 0x3c000000
	v_and_b32_e32 v6, 0x80000000, v6
	s_delay_alu instid0(VALU_DEP_1) | instskip(NEXT) | instid1(VALU_DEP_1)
	v_or3_b32 v15, v7, v6, v3
	v_dual_mov_b32 v26, v16 :: v_dual_mov_b32 v25, v15
.LBB285_1297:                           ;   in Loop: Header=BB285_11 Depth=1
	s_or_b32 exec_lo, exec_lo, s20
.LBB285_1298:                           ;   in Loop: Header=BB285_11 Depth=1
	s_delay_alu instid0(SALU_CYCLE_1)
	s_or_b32 exec_lo, exec_lo, s19
.LBB285_1299:                           ;   in Loop: Header=BB285_11 Depth=1
	s_delay_alu instid0(SALU_CYCLE_1) | instskip(SKIP_2) | instid1(VALU_DEP_1)
	s_or_b32 exec_lo, exec_lo, s8
	v_lshrrev_b16 v3, 8, v2
	s_mov_b32 s19, exec_lo
	v_cmpx_ne_u16_e32 0, v3
	s_cbranch_execz .LBB285_1307
; %bb.1300:                             ;   in Loop: Header=BB285_11 Depth=1
	v_dual_mov_b32 v63, s3 :: v_dual_mov_b32 v62, s2
	s_mov_b32 s20, exec_lo
	v_cmpx_ne_u16_e32 0x80, v3
	s_cbranch_execz .LBB285_1306
; %bb.1301:                             ;   in Loop: Header=BB285_11 Depth=1
	s_mov_b32 s8, s2
	v_and_b32_e32 v3, 0xffff, v3
	v_dual_mov_b32 v63, s9 :: v_dual_mov_b32 v62, s8
	s_mov_b32 s8, exec_lo
	s_delay_alu instid0(VALU_DEP_2) | instskip(NEXT) | instid1(VALU_DEP_1)
	v_and_b32_e32 v6, 0x7f, v3
	v_cmpx_ne_u32_e32 0x7f, v6
	s_cbranch_execz .LBB285_1305
; %bb.1302:                             ;   in Loop: Header=BB285_11 Depth=1
	v_and_b32_e32 v15, 7, v3
	v_lshrrev_b32_e32 v3, 3, v6
	s_mov_b32 s21, exec_lo
	v_cmpx_gt_u32_e32 8, v6
; %bb.1303:                             ;   in Loop: Header=BB285_11 Depth=1
	s_delay_alu instid0(VALU_DEP_3) | instskip(NEXT) | instid1(VALU_DEP_1)
	v_clz_i32_u32_e32 v3, v15
	v_min_u32_e32 v3, 32, v3
	s_delay_alu instid0(VALU_DEP_1) | instskip(SKIP_1) | instid1(VALU_DEP_2)
	v_subrev_nc_u32_e32 v6, 28, v3
	v_sub_nc_u32_e32 v3, 29, v3
	v_lshlrev_b64 v[6:7], v6, v[15:16]
	s_delay_alu instid0(VALU_DEP_1)
	v_and_b32_e32 v15, 7, v6
; %bb.1304:                             ;   in Loop: Header=BB285_11 Depth=1
	s_or_b32 exec_lo, exec_lo, s21
	v_lshlrev_b32_e32 v6, 16, v2
	s_delay_alu instid0(VALU_DEP_2) | instskip(SKIP_1) | instid1(VALU_DEP_3)
	v_dual_mov_b32 v62, v16 :: v_dual_lshlrev_b32 v7, 20, v15
	v_lshl_add_u32 v3, v3, 23, 0x3c000000
	v_and_b32_e32 v6, 0x80000000, v6
	s_delay_alu instid0(VALU_DEP_1)
	v_or3_b32 v63, v7, v6, v3
.LBB285_1305:                           ;   in Loop: Header=BB285_11 Depth=1
	s_or_b32 exec_lo, exec_lo, s8
.LBB285_1306:                           ;   in Loop: Header=BB285_11 Depth=1
	s_delay_alu instid0(SALU_CYCLE_1)
	s_or_b32 exec_lo, exec_lo, s20
.LBB285_1307:                           ;   in Loop: Header=BB285_11 Depth=1
	s_delay_alu instid0(SALU_CYCLE_1) | instskip(SKIP_4) | instid1(VALU_DEP_1)
	s_or_b32 exec_lo, exec_lo, s19
	v_mov_b32_e32 v74, 0
	v_lshrrev_b32_e32 v3, 16, v2
	v_mov_b32_e32 v75, 0
	s_mov_b32 s8, exec_lo
	v_dual_mov_b32 v79, v75 :: v_dual_and_b32 v6, 0xff, v3
	v_mov_b32_e32 v78, v74
	s_delay_alu instid0(VALU_DEP_2)
	v_cmpx_ne_u16_e32 0, v6
	s_cbranch_execz .LBB285_1315
; %bb.1308:                             ;   in Loop: Header=BB285_11 Depth=1
	v_bfrev_b32_e32 v78, 1
	v_mov_b32_e32 v79, 0
	s_mov_b32 s19, exec_lo
	v_cmpx_ne_u16_e32 0x80, v6
	s_cbranch_execz .LBB285_1314
; %bb.1309:                             ;   in Loop: Header=BB285_11 Depth=1
	v_mov_b32_e32 v78, 0x7f800001
	v_bfe_u32 v7, v2, 16, 7
	v_mov_b32_e32 v79, 0
	s_mov_b32 s20, exec_lo
	s_delay_alu instid0(VALU_DEP_2)
	v_cmpx_ne_u32_e32 0x7f, v7
	s_cbranch_execz .LBB285_1313
; %bb.1310:                             ;   in Loop: Header=BB285_11 Depth=1
	v_and_b32_e32 v15, 7, v3
	v_lshrrev_b32_e32 v6, 3, v7
	s_mov_b32 s21, exec_lo
	v_cmpx_gt_u32_e32 8, v7
; %bb.1311:                             ;   in Loop: Header=BB285_11 Depth=1
	s_delay_alu instid0(VALU_DEP_3) | instskip(NEXT) | instid1(VALU_DEP_1)
	v_clz_i32_u32_e32 v6, v15
	v_min_u32_e32 v6, 32, v6
	s_delay_alu instid0(VALU_DEP_1) | instskip(SKIP_1) | instid1(VALU_DEP_2)
	v_subrev_nc_u32_e32 v7, 28, v6
	v_sub_nc_u32_e32 v6, 29, v6
	v_lshlrev_b64 v[12:13], v7, v[15:16]
	s_delay_alu instid0(VALU_DEP_1)
	v_and_b32_e32 v15, 7, v12
; %bb.1312:                             ;   in Loop: Header=BB285_11 Depth=1
	s_or_b32 exec_lo, exec_lo, s21
	v_lshlrev_b32_e32 v3, 24, v3
	s_delay_alu instid0(VALU_DEP_2) | instskip(SKIP_1) | instid1(VALU_DEP_3)
	v_lshlrev_b32_e32 v7, 20, v15
	v_lshl_add_u32 v6, v6, 23, 0x3c000000
	v_and_b32_e32 v3, 0x80000000, v3
	s_delay_alu instid0(VALU_DEP_1) | instskip(NEXT) | instid1(VALU_DEP_1)
	v_or3_b32 v15, v7, v3, v6
	v_dual_mov_b32 v79, v16 :: v_dual_mov_b32 v78, v15
.LBB285_1313:                           ;   in Loop: Header=BB285_11 Depth=1
	s_or_b32 exec_lo, exec_lo, s20
.LBB285_1314:                           ;   in Loop: Header=BB285_11 Depth=1
	s_delay_alu instid0(SALU_CYCLE_1)
	s_or_b32 exec_lo, exec_lo, s19
.LBB285_1315:                           ;   in Loop: Header=BB285_11 Depth=1
	s_delay_alu instid0(SALU_CYCLE_1) | instskip(NEXT) | instid1(SALU_CYCLE_1)
	s_or_b32 exec_lo, exec_lo, s8
	s_mov_b32 s19, exec_lo
	v_cmpx_lt_u32_e32 0xffffff, v2
	s_cbranch_execz .LBB285_1323
; %bb.1316:                             ;   in Loop: Header=BB285_11 Depth=1
	v_lshrrev_b32_e32 v3, 24, v2
	v_dual_mov_b32 v75, s3 :: v_dual_mov_b32 v74, s2
	s_mov_b32 s20, exec_lo
	s_delay_alu instid0(VALU_DEP_2)
	v_cmpx_ne_u32_e32 0x80, v3
	s_cbranch_execz .LBB285_1322
; %bb.1317:                             ;   in Loop: Header=BB285_11 Depth=1
	s_mov_b32 s8, s2
	v_bfe_u32 v6, v2, 24, 7
	v_dual_mov_b32 v75, s9 :: v_dual_mov_b32 v74, s8
	s_mov_b32 s8, exec_lo
	s_delay_alu instid0(VALU_DEP_2)
	v_cmpx_ne_u32_e32 0x7f, v6
	s_cbranch_execz .LBB285_1321
; %bb.1318:                             ;   in Loop: Header=BB285_11 Depth=1
	v_and_b32_e32 v15, 7, v3
	v_lshrrev_b32_e32 v2, 3, v6
	s_mov_b32 s21, exec_lo
	v_cmpx_gt_u32_e32 8, v6
; %bb.1319:                             ;   in Loop: Header=BB285_11 Depth=1
	s_delay_alu instid0(VALU_DEP_3) | instskip(NEXT) | instid1(VALU_DEP_1)
	v_clz_i32_u32_e32 v2, v15
	v_min_u32_e32 v2, 32, v2
	s_delay_alu instid0(VALU_DEP_1) | instskip(SKIP_1) | instid1(VALU_DEP_2)
	v_subrev_nc_u32_e32 v6, 28, v2
	v_sub_nc_u32_e32 v2, 29, v2
	v_lshlrev_b64 v[6:7], v6, v[15:16]
	s_delay_alu instid0(VALU_DEP_1)
	v_and_b32_e32 v15, 7, v6
; %bb.1320:                             ;   in Loop: Header=BB285_11 Depth=1
	s_or_b32 exec_lo, exec_lo, s21
	v_dual_mov_b32 v74, v16 :: v_dual_lshlrev_b32 v3, 24, v3
	s_delay_alu instid0(VALU_DEP_2) | instskip(SKIP_1) | instid1(VALU_DEP_3)
	v_lshlrev_b32_e32 v6, 20, v15
	v_lshl_add_u32 v2, v2, 23, 0x3c000000
	v_and_b32_e32 v3, 0x80000000, v3
	s_delay_alu instid0(VALU_DEP_1)
	v_or3_b32 v75, v6, v3, v2
.LBB285_1321:                           ;   in Loop: Header=BB285_11 Depth=1
	s_or_b32 exec_lo, exec_lo, s8
.LBB285_1322:                           ;   in Loop: Header=BB285_11 Depth=1
	s_delay_alu instid0(SALU_CYCLE_1)
	s_or_b32 exec_lo, exec_lo, s20
.LBB285_1323:                           ;   in Loop: Header=BB285_11 Depth=1
	s_delay_alu instid0(SALU_CYCLE_1)
	s_or_b32 exec_lo, exec_lo, s19
	flat_load_b32 v6, v[102:103] offset:1028
	v_mov_b32_e32 v12, 0
	v_mov_b32_e32 v13, 0
	s_mov_b32 s8, exec_lo
	s_waitcnt vmcnt(0) lgkmcnt(0)
	s_delay_alu instid0(VALU_DEP_1) | instskip(SKIP_1) | instid1(VALU_DEP_2)
	v_dual_mov_b32 v91, v13 :: v_dual_and_b32 v2, 0xff, v6
	v_mov_b32_e32 v90, v12
	v_cmpx_ne_u16_e32 0, v2
	s_cbranch_execz .LBB285_1331
; %bb.1324:                             ;   in Loop: Header=BB285_11 Depth=1
	v_bfrev_b32_e32 v90, 1
	v_mov_b32_e32 v91, 0
	s_mov_b32 s19, exec_lo
	v_cmpx_ne_u16_e32 0x80, v2
	s_cbranch_execz .LBB285_1330
; %bb.1325:                             ;   in Loop: Header=BB285_11 Depth=1
	v_mov_b32_e32 v90, 0x7f800001
	v_and_b32_e32 v3, 0x7f, v6
	v_mov_b32_e32 v91, 0
	s_mov_b32 s20, exec_lo
	s_delay_alu instid0(VALU_DEP_2)
	v_cmpx_ne_u32_e32 0x7f, v3
	s_cbranch_execz .LBB285_1329
; %bb.1326:                             ;   in Loop: Header=BB285_11 Depth=1
	v_and_b32_e32 v15, 7, v6
	v_lshrrev_b32_e32 v2, 3, v3
	s_mov_b32 s21, exec_lo
	v_cmpx_gt_u32_e32 8, v3
; %bb.1327:                             ;   in Loop: Header=BB285_11 Depth=1
	s_delay_alu instid0(VALU_DEP_3) | instskip(NEXT) | instid1(VALU_DEP_1)
	v_clz_i32_u32_e32 v2, v15
	v_min_u32_e32 v2, 32, v2
	s_delay_alu instid0(VALU_DEP_1) | instskip(SKIP_1) | instid1(VALU_DEP_2)
	v_subrev_nc_u32_e32 v3, 28, v2
	v_sub_nc_u32_e32 v2, 29, v2
	v_lshlrev_b64 v[19:20], v3, v[15:16]
	s_delay_alu instid0(VALU_DEP_1)
	v_and_b32_e32 v15, 7, v19
; %bb.1328:                             ;   in Loop: Header=BB285_11 Depth=1
	s_or_b32 exec_lo, exec_lo, s21
	v_lshlrev_b32_e32 v3, 24, v6
	s_delay_alu instid0(VALU_DEP_2) | instskip(SKIP_1) | instid1(VALU_DEP_3)
	v_lshlrev_b32_e32 v7, 20, v15
	v_lshl_add_u32 v2, v2, 23, 0x3c000000
	v_and_b32_e32 v3, 0x80000000, v3
	s_delay_alu instid0(VALU_DEP_1) | instskip(NEXT) | instid1(VALU_DEP_1)
	v_or3_b32 v15, v7, v3, v2
	v_dual_mov_b32 v91, v16 :: v_dual_mov_b32 v90, v15
.LBB285_1329:                           ;   in Loop: Header=BB285_11 Depth=1
	s_or_b32 exec_lo, exec_lo, s20
.LBB285_1330:                           ;   in Loop: Header=BB285_11 Depth=1
	s_delay_alu instid0(SALU_CYCLE_1)
	s_or_b32 exec_lo, exec_lo, s19
.LBB285_1331:                           ;   in Loop: Header=BB285_11 Depth=1
	s_delay_alu instid0(SALU_CYCLE_1) | instskip(SKIP_2) | instid1(VALU_DEP_1)
	s_or_b32 exec_lo, exec_lo, s8
	v_lshrrev_b16 v2, 8, v6
	s_mov_b32 s19, exec_lo
	v_cmpx_ne_u16_e32 0, v2
	s_cbranch_execz .LBB285_1339
; %bb.1332:                             ;   in Loop: Header=BB285_11 Depth=1
	v_dual_mov_b32 v13, s3 :: v_dual_mov_b32 v12, s2
	s_mov_b32 s20, exec_lo
	v_cmpx_ne_u16_e32 0x80, v2
	s_cbranch_execz .LBB285_1338
; %bb.1333:                             ;   in Loop: Header=BB285_11 Depth=1
	s_mov_b32 s8, s2
	v_dual_mov_b32 v13, s9 :: v_dual_and_b32 v2, 0xffff, v2
	v_mov_b32_e32 v12, s8
	s_mov_b32 s8, exec_lo
	s_delay_alu instid0(VALU_DEP_2) | instskip(NEXT) | instid1(VALU_DEP_1)
	v_and_b32_e32 v3, 0x7f, v2
	v_cmpx_ne_u32_e32 0x7f, v3
	s_cbranch_execz .LBB285_1337
; %bb.1334:                             ;   in Loop: Header=BB285_11 Depth=1
	v_and_b32_e32 v15, 7, v2
	v_lshrrev_b32_e32 v2, 3, v3
	s_mov_b32 s21, exec_lo
	v_cmpx_gt_u32_e32 8, v3
; %bb.1335:                             ;   in Loop: Header=BB285_11 Depth=1
	s_delay_alu instid0(VALU_DEP_3) | instskip(NEXT) | instid1(VALU_DEP_1)
	v_clz_i32_u32_e32 v2, v15
	v_min_u32_e32 v2, 32, v2
	s_delay_alu instid0(VALU_DEP_1) | instskip(SKIP_1) | instid1(VALU_DEP_2)
	v_subrev_nc_u32_e32 v3, 28, v2
	v_sub_nc_u32_e32 v2, 29, v2
	v_lshlrev_b64 v[12:13], v3, v[15:16]
	s_delay_alu instid0(VALU_DEP_1)
	v_and_b32_e32 v15, 7, v12
; %bb.1336:                             ;   in Loop: Header=BB285_11 Depth=1
	s_or_b32 exec_lo, exec_lo, s21
	v_dual_mov_b32 v12, v16 :: v_dual_lshlrev_b32 v3, 16, v6
	s_delay_alu instid0(VALU_DEP_2) | instskip(SKIP_1) | instid1(VALU_DEP_3)
	v_lshlrev_b32_e32 v7, 20, v15
	v_lshl_add_u32 v2, v2, 23, 0x3c000000
	v_and_b32_e32 v3, 0x80000000, v3
	s_delay_alu instid0(VALU_DEP_1)
	v_or3_b32 v13, v7, v3, v2
.LBB285_1337:                           ;   in Loop: Header=BB285_11 Depth=1
	s_or_b32 exec_lo, exec_lo, s8
.LBB285_1338:                           ;   in Loop: Header=BB285_11 Depth=1
	s_delay_alu instid0(SALU_CYCLE_1)
	s_or_b32 exec_lo, exec_lo, s20
.LBB285_1339:                           ;   in Loop: Header=BB285_11 Depth=1
	s_delay_alu instid0(SALU_CYCLE_1) | instskip(SKIP_4) | instid1(VALU_DEP_3)
	s_or_b32 exec_lo, exec_lo, s19
	v_lshrrev_b32_e32 v7, 16, v6
	v_mov_b32_e32 v2, 0
	v_mov_b32_e32 v3, 0
	s_mov_b32 s8, exec_lo
	v_and_b32_e32 v15, 0xff, v7
	s_delay_alu instid0(VALU_DEP_2) | instskip(NEXT) | instid1(VALU_DEP_2)
	v_dual_mov_b32 v95, v3 :: v_dual_mov_b32 v94, v2
	v_cmpx_ne_u16_e32 0, v15
	s_cbranch_execz .LBB285_1347
; %bb.1340:                             ;   in Loop: Header=BB285_11 Depth=1
	v_bfrev_b32_e32 v94, 1
	v_mov_b32_e32 v95, 0
	s_mov_b32 s19, exec_lo
	v_cmpx_ne_u16_e32 0x80, v15
	s_cbranch_execz .LBB285_1346
; %bb.1341:                             ;   in Loop: Header=BB285_11 Depth=1
	v_mov_b32_e32 v94, 0x7f800001
	v_bfe_u32 v20, v6, 16, 7
	v_mov_b32_e32 v95, 0
	s_mov_b32 s20, exec_lo
	s_delay_alu instid0(VALU_DEP_2)
	v_cmpx_ne_u32_e32 0x7f, v20
	s_cbranch_execz .LBB285_1345
; %bb.1342:                             ;   in Loop: Header=BB285_11 Depth=1
	v_and_b32_e32 v15, 7, v7
	v_lshrrev_b32_e32 v19, 3, v20
	s_mov_b32 s21, exec_lo
	v_cmpx_gt_u32_e32 8, v20
; %bb.1343:                             ;   in Loop: Header=BB285_11 Depth=1
	s_delay_alu instid0(VALU_DEP_3) | instskip(NEXT) | instid1(VALU_DEP_1)
	v_clz_i32_u32_e32 v19, v15
	v_min_u32_e32 v19, 32, v19
	s_delay_alu instid0(VALU_DEP_1) | instskip(SKIP_1) | instid1(VALU_DEP_2)
	v_subrev_nc_u32_e32 v20, 28, v19
	v_sub_nc_u32_e32 v19, 29, v19
	v_lshlrev_b64 v[23:24], v20, v[15:16]
	s_delay_alu instid0(VALU_DEP_1)
	v_and_b32_e32 v15, 7, v23
; %bb.1344:                             ;   in Loop: Header=BB285_11 Depth=1
	s_or_b32 exec_lo, exec_lo, s21
	v_lshlrev_b32_e32 v7, 24, v7
	s_delay_alu instid0(VALU_DEP_2) | instskip(SKIP_1) | instid1(VALU_DEP_3)
	v_lshlrev_b32_e32 v15, 20, v15
	v_lshl_add_u32 v19, v19, 23, 0x3c000000
	v_and_b32_e32 v7, 0x80000000, v7
	s_delay_alu instid0(VALU_DEP_1) | instskip(NEXT) | instid1(VALU_DEP_1)
	v_or3_b32 v15, v15, v7, v19
	v_dual_mov_b32 v95, v16 :: v_dual_mov_b32 v94, v15
.LBB285_1345:                           ;   in Loop: Header=BB285_11 Depth=1
	s_or_b32 exec_lo, exec_lo, s20
.LBB285_1346:                           ;   in Loop: Header=BB285_11 Depth=1
	s_delay_alu instid0(SALU_CYCLE_1)
	s_or_b32 exec_lo, exec_lo, s19
.LBB285_1347:                           ;   in Loop: Header=BB285_11 Depth=1
	s_delay_alu instid0(SALU_CYCLE_1) | instskip(NEXT) | instid1(SALU_CYCLE_1)
	s_or_b32 exec_lo, exec_lo, s8
	s_mov_b32 s19, exec_lo
	v_cmpx_lt_u32_e32 0xffffff, v6
	s_cbranch_execz .LBB285_1355
; %bb.1348:                             ;   in Loop: Header=BB285_11 Depth=1
	v_lshrrev_b32_e32 v7, 24, v6
	v_dual_mov_b32 v2, s2 :: v_dual_mov_b32 v3, s3
	s_mov_b32 s20, exec_lo
	s_delay_alu instid0(VALU_DEP_2)
	v_cmpx_ne_u32_e32 0x80, v7
	s_cbranch_execz .LBB285_1354
; %bb.1349:                             ;   in Loop: Header=BB285_11 Depth=1
	s_mov_b32 s8, s2
	v_bfe_u32 v19, v6, 24, 7
	v_dual_mov_b32 v2, s8 :: v_dual_mov_b32 v3, s9
	s_mov_b32 s8, exec_lo
	s_delay_alu instid0(VALU_DEP_2)
	v_cmpx_ne_u32_e32 0x7f, v19
	s_cbranch_execz .LBB285_1353
; %bb.1350:                             ;   in Loop: Header=BB285_11 Depth=1
	v_and_b32_e32 v15, 7, v7
	v_lshrrev_b32_e32 v6, 3, v19
	s_mov_b32 s21, exec_lo
	s_delay_alu instid0(VALU_DEP_2)
	v_dual_mov_b32 v2, v15 :: v_dual_mov_b32 v3, v16
	v_cmpx_gt_u32_e32 8, v19
; %bb.1351:                             ;   in Loop: Header=BB285_11 Depth=1
	v_clz_i32_u32_e32 v2, v15
	s_delay_alu instid0(VALU_DEP_1) | instskip(NEXT) | instid1(VALU_DEP_1)
	v_min_u32_e32 v6, 32, v2
	v_subrev_nc_u32_e32 v2, 28, v6
	v_sub_nc_u32_e32 v6, 29, v6
	s_delay_alu instid0(VALU_DEP_2) | instskip(NEXT) | instid1(VALU_DEP_1)
	v_lshlrev_b64 v[2:3], v2, v[15:16]
	v_and_b32_e32 v2, 7, v2
; %bb.1352:                             ;   in Loop: Header=BB285_11 Depth=1
	s_or_b32 exec_lo, exec_lo, s21
	v_lshlrev_b32_e32 v3, 24, v7
	s_delay_alu instid0(VALU_DEP_2) | instskip(SKIP_1) | instid1(VALU_DEP_3)
	v_lshlrev_b32_e32 v2, 20, v2
	v_lshl_add_u32 v6, v6, 23, 0x3c000000
	v_and_b32_e32 v3, 0x80000000, v3
	s_delay_alu instid0(VALU_DEP_1)
	v_or3_b32 v3, v2, v3, v6
	v_mov_b32_e32 v2, v16
.LBB285_1353:                           ;   in Loop: Header=BB285_11 Depth=1
	s_or_b32 exec_lo, exec_lo, s8
.LBB285_1354:                           ;   in Loop: Header=BB285_11 Depth=1
	s_delay_alu instid0(SALU_CYCLE_1)
	s_or_b32 exec_lo, exec_lo, s20
.LBB285_1355:                           ;   in Loop: Header=BB285_11 Depth=1
	s_delay_alu instid0(SALU_CYCLE_1)
	s_or_b32 exec_lo, exec_lo, s19
	flat_load_b32 v19, v[102:103] offset:1032
	v_mov_b32_e32 v34, 0
	v_mov_b32_e32 v35, 0
	s_mov_b32 s8, exec_lo
	s_waitcnt vmcnt(0) lgkmcnt(0)
	s_delay_alu instid0(VALU_DEP_1) | instskip(SKIP_1) | instid1(VALU_DEP_2)
	v_dual_mov_b32 v107, v35 :: v_dual_and_b32 v6, 0xff, v19
	v_mov_b32_e32 v106, v34
	v_cmpx_ne_u16_e32 0, v6
	s_cbranch_execz .LBB285_1363
; %bb.1356:                             ;   in Loop: Header=BB285_11 Depth=1
	v_bfrev_b32_e32 v106, 1
	v_mov_b32_e32 v107, 0
	s_mov_b32 s19, exec_lo
	v_cmpx_ne_u16_e32 0x80, v6
	s_cbranch_execz .LBB285_1362
; %bb.1357:                             ;   in Loop: Header=BB285_11 Depth=1
	v_mov_b32_e32 v106, 0x7f800001
	v_dual_mov_b32 v107, 0 :: v_dual_and_b32 v6, 0x7f, v19
	s_mov_b32 s20, exec_lo
	s_delay_alu instid0(VALU_DEP_1)
	v_cmpx_ne_u32_e32 0x7f, v6
	s_cbranch_execz .LBB285_1361
; %bb.1358:                             ;   in Loop: Header=BB285_11 Depth=1
	v_and_b32_e32 v15, 7, v19
	v_lshrrev_b32_e32 v20, 3, v6
	v_cmp_gt_u32_e64 s1, 8, v6
	s_delay_alu instid0(VALU_DEP_3) | instskip(NEXT) | instid1(VALU_DEP_2)
	v_dual_mov_b32 v6, v15 :: v_dual_mov_b32 v7, v16
	s_and_saveexec_b32 s21, s1
; %bb.1359:                             ;   in Loop: Header=BB285_11 Depth=1
	v_clz_i32_u32_e32 v6, v15
	s_delay_alu instid0(VALU_DEP_1) | instskip(NEXT) | instid1(VALU_DEP_1)
	v_min_u32_e32 v20, 32, v6
	v_subrev_nc_u32_e32 v6, 28, v20
	v_sub_nc_u32_e32 v20, 29, v20
	s_delay_alu instid0(VALU_DEP_2) | instskip(NEXT) | instid1(VALU_DEP_1)
	v_lshlrev_b64 v[6:7], v6, v[15:16]
	v_and_b32_e32 v6, 7, v6
; %bb.1360:                             ;   in Loop: Header=BB285_11 Depth=1
	s_or_b32 exec_lo, exec_lo, s21
	v_lshlrev_b32_e32 v7, 24, v19
	s_delay_alu instid0(VALU_DEP_2) | instskip(SKIP_1) | instid1(VALU_DEP_3)
	v_lshlrev_b32_e32 v6, 20, v6
	v_lshl_add_u32 v15, v20, 23, 0x3c000000
	v_and_b32_e32 v7, 0x80000000, v7
	s_delay_alu instid0(VALU_DEP_1) | instskip(NEXT) | instid1(VALU_DEP_1)
	v_or3_b32 v15, v6, v7, v15
	v_dual_mov_b32 v107, v16 :: v_dual_mov_b32 v106, v15
.LBB285_1361:                           ;   in Loop: Header=BB285_11 Depth=1
	s_or_b32 exec_lo, exec_lo, s20
.LBB285_1362:                           ;   in Loop: Header=BB285_11 Depth=1
	s_delay_alu instid0(SALU_CYCLE_1)
	s_or_b32 exec_lo, exec_lo, s19
.LBB285_1363:                           ;   in Loop: Header=BB285_11 Depth=1
	s_delay_alu instid0(SALU_CYCLE_1) | instskip(SKIP_2) | instid1(VALU_DEP_1)
	s_or_b32 exec_lo, exec_lo, s8
	v_lshrrev_b16 v6, 8, v19
	s_mov_b32 s19, exec_lo
	v_cmpx_ne_u16_e32 0, v6
	s_cbranch_execz .LBB285_1371
; %bb.1364:                             ;   in Loop: Header=BB285_11 Depth=1
	v_dual_mov_b32 v35, s3 :: v_dual_mov_b32 v34, s2
	s_mov_b32 s20, exec_lo
	v_cmpx_ne_u16_e32 0x80, v6
	s_cbranch_execz .LBB285_1370
; %bb.1365:                             ;   in Loop: Header=BB285_11 Depth=1
	s_mov_b32 s8, s2
	v_and_b32_e32 v7, 0xffff, v6
	v_dual_mov_b32 v35, s9 :: v_dual_mov_b32 v34, s8
	s_mov_b32 s8, exec_lo
	s_delay_alu instid0(VALU_DEP_2) | instskip(NEXT) | instid1(VALU_DEP_1)
	v_and_b32_e32 v6, 0x7f, v7
	v_cmpx_ne_u32_e32 0x7f, v6
	s_cbranch_execz .LBB285_1369
; %bb.1366:                             ;   in Loop: Header=BB285_11 Depth=1
	v_and_b32_e32 v15, 7, v7
	v_lshrrev_b32_e32 v20, 3, v6
	v_cmp_gt_u32_e64 s1, 8, v6
	s_delay_alu instid0(VALU_DEP_3) | instskip(NEXT) | instid1(VALU_DEP_2)
	v_dual_mov_b32 v6, v15 :: v_dual_mov_b32 v7, v16
	s_and_saveexec_b32 s21, s1
; %bb.1367:                             ;   in Loop: Header=BB285_11 Depth=1
	v_clz_i32_u32_e32 v6, v15
	s_delay_alu instid0(VALU_DEP_1) | instskip(NEXT) | instid1(VALU_DEP_1)
	v_min_u32_e32 v20, 32, v6
	v_subrev_nc_u32_e32 v6, 28, v20
	v_sub_nc_u32_e32 v20, 29, v20
	s_delay_alu instid0(VALU_DEP_2) | instskip(NEXT) | instid1(VALU_DEP_1)
	v_lshlrev_b64 v[6:7], v6, v[15:16]
	v_and_b32_e32 v6, 7, v6
; %bb.1368:                             ;   in Loop: Header=BB285_11 Depth=1
	s_or_b32 exec_lo, exec_lo, s21
	v_dual_mov_b32 v34, v16 :: v_dual_lshlrev_b32 v7, 16, v19
	s_delay_alu instid0(VALU_DEP_2) | instskip(SKIP_1) | instid1(VALU_DEP_3)
	v_lshlrev_b32_e32 v6, 20, v6
	v_lshl_add_u32 v15, v20, 23, 0x3c000000
	v_and_b32_e32 v7, 0x80000000, v7
	s_delay_alu instid0(VALU_DEP_1)
	v_or3_b32 v35, v6, v7, v15
.LBB285_1369:                           ;   in Loop: Header=BB285_11 Depth=1
	s_or_b32 exec_lo, exec_lo, s8
.LBB285_1370:                           ;   in Loop: Header=BB285_11 Depth=1
	s_delay_alu instid0(SALU_CYCLE_1)
	s_or_b32 exec_lo, exec_lo, s20
.LBB285_1371:                           ;   in Loop: Header=BB285_11 Depth=1
	s_delay_alu instid0(SALU_CYCLE_1) | instskip(SKIP_4) | instid1(VALU_DEP_2)
	s_or_b32 exec_lo, exec_lo, s19
	v_mov_b32_e32 v110, 0
	v_lshrrev_b32_e32 v20, 16, v19
	v_mov_b32_e32 v111, 0
	s_mov_b32 s8, exec_lo
	v_and_b32_e32 v6, 0xff, v20
	s_delay_alu instid0(VALU_DEP_2) | instskip(NEXT) | instid1(VALU_DEP_2)
	v_dual_mov_b32 v50, v110 :: v_dual_mov_b32 v51, v111
	v_cmpx_ne_u16_e32 0, v6
	s_cbranch_execz .LBB285_1379
; %bb.1372:                             ;   in Loop: Header=BB285_11 Depth=1
	v_bfrev_b32_e32 v50, 1
	v_mov_b32_e32 v51, 0
	s_mov_b32 s19, exec_lo
	v_cmpx_ne_u16_e32 0x80, v6
	s_cbranch_execz .LBB285_1378
; %bb.1373:                             ;   in Loop: Header=BB285_11 Depth=1
	v_mov_b32_e32 v50, 0x7f800001
	v_bfe_u32 v6, v19, 16, 7
	v_mov_b32_e32 v51, 0
	s_mov_b32 s20, exec_lo
	s_delay_alu instid0(VALU_DEP_2)
	v_cmpx_ne_u32_e32 0x7f, v6
	s_cbranch_execz .LBB285_1377
; %bb.1374:                             ;   in Loop: Header=BB285_11 Depth=1
	v_and_b32_e32 v15, 7, v20
	v_lshrrev_b32_e32 v23, 3, v6
	v_cmp_gt_u32_e64 s1, 8, v6
	s_delay_alu instid0(VALU_DEP_3) | instskip(NEXT) | instid1(VALU_DEP_2)
	v_dual_mov_b32 v6, v15 :: v_dual_mov_b32 v7, v16
	s_and_saveexec_b32 s21, s1
; %bb.1375:                             ;   in Loop: Header=BB285_11 Depth=1
	v_clz_i32_u32_e32 v6, v15
	s_delay_alu instid0(VALU_DEP_1) | instskip(NEXT) | instid1(VALU_DEP_1)
	v_min_u32_e32 v23, 32, v6
	v_subrev_nc_u32_e32 v6, 28, v23
	v_sub_nc_u32_e32 v23, 29, v23
	s_delay_alu instid0(VALU_DEP_2) | instskip(NEXT) | instid1(VALU_DEP_1)
	v_lshlrev_b64 v[6:7], v6, v[15:16]
	v_and_b32_e32 v6, 7, v6
; %bb.1376:                             ;   in Loop: Header=BB285_11 Depth=1
	s_or_b32 exec_lo, exec_lo, s21
	v_lshlrev_b32_e32 v7, 24, v20
	s_delay_alu instid0(VALU_DEP_2) | instskip(SKIP_1) | instid1(VALU_DEP_3)
	v_lshlrev_b32_e32 v6, 20, v6
	v_lshl_add_u32 v15, v23, 23, 0x3c000000
	v_and_b32_e32 v7, 0x80000000, v7
	s_delay_alu instid0(VALU_DEP_1) | instskip(NEXT) | instid1(VALU_DEP_1)
	v_or3_b32 v15, v6, v7, v15
	v_dual_mov_b32 v51, v16 :: v_dual_mov_b32 v50, v15
.LBB285_1377:                           ;   in Loop: Header=BB285_11 Depth=1
	s_or_b32 exec_lo, exec_lo, s20
.LBB285_1378:                           ;   in Loop: Header=BB285_11 Depth=1
	s_delay_alu instid0(SALU_CYCLE_1)
	s_or_b32 exec_lo, exec_lo, s19
.LBB285_1379:                           ;   in Loop: Header=BB285_11 Depth=1
	s_delay_alu instid0(SALU_CYCLE_1) | instskip(NEXT) | instid1(SALU_CYCLE_1)
	s_or_b32 exec_lo, exec_lo, s8
	s_mov_b32 s19, exec_lo
	v_cmpx_lt_u32_e32 0xffffff, v19
	s_cbranch_execz .LBB285_1387
; %bb.1380:                             ;   in Loop: Header=BB285_11 Depth=1
	v_lshrrev_b32_e32 v20, 24, v19
	v_dual_mov_b32 v111, s3 :: v_dual_mov_b32 v110, s2
	s_mov_b32 s20, exec_lo
	s_delay_alu instid0(VALU_DEP_2)
	v_cmpx_ne_u32_e32 0x80, v20
	s_cbranch_execz .LBB285_1386
; %bb.1381:                             ;   in Loop: Header=BB285_11 Depth=1
	s_mov_b32 s8, s2
	v_bfe_u32 v6, v19, 24, 7
	v_dual_mov_b32 v111, s9 :: v_dual_mov_b32 v110, s8
	s_mov_b32 s8, exec_lo
	s_delay_alu instid0(VALU_DEP_2)
	v_cmpx_ne_u32_e32 0x7f, v6
	s_cbranch_execz .LBB285_1385
; %bb.1382:                             ;   in Loop: Header=BB285_11 Depth=1
	v_and_b32_e32 v15, 7, v20
	v_lshrrev_b32_e32 v19, 3, v6
	v_cmp_gt_u32_e64 s1, 8, v6
	s_delay_alu instid0(VALU_DEP_3) | instskip(NEXT) | instid1(VALU_DEP_2)
	v_dual_mov_b32 v6, v15 :: v_dual_mov_b32 v7, v16
	s_and_saveexec_b32 s21, s1
; %bb.1383:                             ;   in Loop: Header=BB285_11 Depth=1
	v_clz_i32_u32_e32 v6, v15
	s_delay_alu instid0(VALU_DEP_1) | instskip(NEXT) | instid1(VALU_DEP_1)
	v_min_u32_e32 v19, 32, v6
	v_subrev_nc_u32_e32 v6, 28, v19
	v_sub_nc_u32_e32 v19, 29, v19
	s_delay_alu instid0(VALU_DEP_2) | instskip(NEXT) | instid1(VALU_DEP_1)
	v_lshlrev_b64 v[6:7], v6, v[15:16]
	v_and_b32_e32 v6, 7, v6
; %bb.1384:                             ;   in Loop: Header=BB285_11 Depth=1
	s_or_b32 exec_lo, exec_lo, s21
	v_dual_mov_b32 v110, v16 :: v_dual_lshlrev_b32 v7, 24, v20
	s_delay_alu instid0(VALU_DEP_2) | instskip(SKIP_1) | instid1(VALU_DEP_3)
	v_lshlrev_b32_e32 v6, 20, v6
	v_lshl_add_u32 v15, v19, 23, 0x3c000000
	v_and_b32_e32 v7, 0x80000000, v7
	s_delay_alu instid0(VALU_DEP_1)
	v_or3_b32 v111, v6, v7, v15
.LBB285_1385:                           ;   in Loop: Header=BB285_11 Depth=1
	s_or_b32 exec_lo, exec_lo, s8
.LBB285_1386:                           ;   in Loop: Header=BB285_11 Depth=1
	s_delay_alu instid0(SALU_CYCLE_1)
	s_or_b32 exec_lo, exec_lo, s20
.LBB285_1387:                           ;   in Loop: Header=BB285_11 Depth=1
	s_delay_alu instid0(SALU_CYCLE_1)
	s_or_b32 exec_lo, exec_lo, s19
	flat_load_b32 v19, v[102:103] offset:1036
	v_mov_b32_e32 v122, 0
	v_mov_b32_e32 v123, 0
	s_mov_b32 s8, exec_lo
	s_waitcnt vmcnt(0) lgkmcnt(0)
	v_and_b32_e32 v6, 0xff, v19
	s_delay_alu instid0(VALU_DEP_2) | instskip(NEXT) | instid1(VALU_DEP_2)
	v_dual_mov_b32 v64, v122 :: v_dual_mov_b32 v65, v123
	v_cmpx_ne_u16_e32 0, v6
	s_cbranch_execz .LBB285_1395
; %bb.1388:                             ;   in Loop: Header=BB285_11 Depth=1
	v_bfrev_b32_e32 v64, 1
	v_mov_b32_e32 v65, 0
	s_mov_b32 s19, exec_lo
	v_cmpx_ne_u16_e32 0x80, v6
	s_cbranch_execz .LBB285_1394
; %bb.1389:                             ;   in Loop: Header=BB285_11 Depth=1
	v_mov_b32_e32 v64, 0x7f800001
	v_dual_mov_b32 v65, 0 :: v_dual_and_b32 v6, 0x7f, v19
	s_mov_b32 s20, exec_lo
	s_delay_alu instid0(VALU_DEP_1)
	v_cmpx_ne_u32_e32 0x7f, v6
	s_cbranch_execz .LBB285_1393
; %bb.1390:                             ;   in Loop: Header=BB285_11 Depth=1
	v_and_b32_e32 v15, 7, v19
	v_lshrrev_b32_e32 v20, 3, v6
	v_cmp_gt_u32_e64 s1, 8, v6
	s_delay_alu instid0(VALU_DEP_3) | instskip(NEXT) | instid1(VALU_DEP_2)
	v_dual_mov_b32 v6, v15 :: v_dual_mov_b32 v7, v16
	s_and_saveexec_b32 s21, s1
; %bb.1391:                             ;   in Loop: Header=BB285_11 Depth=1
	v_clz_i32_u32_e32 v6, v15
	s_delay_alu instid0(VALU_DEP_1) | instskip(NEXT) | instid1(VALU_DEP_1)
	v_min_u32_e32 v20, 32, v6
	v_subrev_nc_u32_e32 v6, 28, v20
	v_sub_nc_u32_e32 v20, 29, v20
	s_delay_alu instid0(VALU_DEP_2) | instskip(NEXT) | instid1(VALU_DEP_1)
	v_lshlrev_b64 v[6:7], v6, v[15:16]
	v_and_b32_e32 v6, 7, v6
; %bb.1392:                             ;   in Loop: Header=BB285_11 Depth=1
	s_or_b32 exec_lo, exec_lo, s21
	v_lshlrev_b32_e32 v7, 24, v19
	s_delay_alu instid0(VALU_DEP_2) | instskip(SKIP_1) | instid1(VALU_DEP_3)
	v_lshlrev_b32_e32 v6, 20, v6
	v_lshl_add_u32 v15, v20, 23, 0x3c000000
	v_and_b32_e32 v7, 0x80000000, v7
	s_delay_alu instid0(VALU_DEP_1) | instskip(NEXT) | instid1(VALU_DEP_1)
	v_or3_b32 v15, v6, v7, v15
	v_dual_mov_b32 v65, v16 :: v_dual_mov_b32 v64, v15
.LBB285_1393:                           ;   in Loop: Header=BB285_11 Depth=1
	s_or_b32 exec_lo, exec_lo, s20
.LBB285_1394:                           ;   in Loop: Header=BB285_11 Depth=1
	s_delay_alu instid0(SALU_CYCLE_1)
	s_or_b32 exec_lo, exec_lo, s19
.LBB285_1395:                           ;   in Loop: Header=BB285_11 Depth=1
	s_delay_alu instid0(SALU_CYCLE_1) | instskip(SKIP_2) | instid1(VALU_DEP_1)
	s_or_b32 exec_lo, exec_lo, s8
	v_lshrrev_b16 v6, 8, v19
	s_mov_b32 s19, exec_lo
	v_cmpx_ne_u16_e32 0, v6
	s_cbranch_execz .LBB285_1403
; %bb.1396:                             ;   in Loop: Header=BB285_11 Depth=1
	v_dual_mov_b32 v123, s3 :: v_dual_mov_b32 v122, s2
	s_mov_b32 s20, exec_lo
	v_cmpx_ne_u16_e32 0x80, v6
	s_cbranch_execz .LBB285_1402
; %bb.1397:                             ;   in Loop: Header=BB285_11 Depth=1
	s_mov_b32 s8, s2
	v_and_b32_e32 v7, 0xffff, v6
	v_dual_mov_b32 v123, s9 :: v_dual_mov_b32 v122, s8
	s_mov_b32 s8, exec_lo
	s_delay_alu instid0(VALU_DEP_2) | instskip(NEXT) | instid1(VALU_DEP_1)
	v_and_b32_e32 v6, 0x7f, v7
	v_cmpx_ne_u32_e32 0x7f, v6
	s_cbranch_execz .LBB285_1401
; %bb.1398:                             ;   in Loop: Header=BB285_11 Depth=1
	v_and_b32_e32 v15, 7, v7
	v_lshrrev_b32_e32 v20, 3, v6
	v_cmp_gt_u32_e64 s1, 8, v6
	s_delay_alu instid0(VALU_DEP_3) | instskip(NEXT) | instid1(VALU_DEP_2)
	v_dual_mov_b32 v6, v15 :: v_dual_mov_b32 v7, v16
	s_and_saveexec_b32 s21, s1
; %bb.1399:                             ;   in Loop: Header=BB285_11 Depth=1
	v_clz_i32_u32_e32 v6, v15
	s_delay_alu instid0(VALU_DEP_1) | instskip(NEXT) | instid1(VALU_DEP_1)
	v_min_u32_e32 v20, 32, v6
	v_subrev_nc_u32_e32 v6, 28, v20
	v_sub_nc_u32_e32 v20, 29, v20
	s_delay_alu instid0(VALU_DEP_2) | instskip(NEXT) | instid1(VALU_DEP_1)
	v_lshlrev_b64 v[6:7], v6, v[15:16]
	v_and_b32_e32 v6, 7, v6
; %bb.1400:                             ;   in Loop: Header=BB285_11 Depth=1
	s_or_b32 exec_lo, exec_lo, s21
	v_dual_mov_b32 v122, v16 :: v_dual_lshlrev_b32 v7, 16, v19
	s_delay_alu instid0(VALU_DEP_2) | instskip(SKIP_1) | instid1(VALU_DEP_3)
	v_lshlrev_b32_e32 v6, 20, v6
	v_lshl_add_u32 v15, v20, 23, 0x3c000000
	v_and_b32_e32 v7, 0x80000000, v7
	s_delay_alu instid0(VALU_DEP_1)
	v_or3_b32 v123, v6, v7, v15
.LBB285_1401:                           ;   in Loop: Header=BB285_11 Depth=1
	s_or_b32 exec_lo, exec_lo, s8
.LBB285_1402:                           ;   in Loop: Header=BB285_11 Depth=1
	s_delay_alu instid0(SALU_CYCLE_1)
	s_or_b32 exec_lo, exec_lo, s20
.LBB285_1403:                           ;   in Loop: Header=BB285_11 Depth=1
	s_delay_alu instid0(SALU_CYCLE_1) | instskip(SKIP_4) | instid1(VALU_DEP_2)
	s_or_b32 exec_lo, exec_lo, s19
	v_mov_b32_e32 v126, 0
	v_lshrrev_b32_e32 v20, 16, v19
	v_mov_b32_e32 v127, 0
	s_mov_b32 s8, exec_lo
	v_and_b32_e32 v6, 0xff, v20
	s_delay_alu instid0(VALU_DEP_2) | instskip(NEXT) | instid1(VALU_DEP_2)
	v_dual_mov_b32 v80, v126 :: v_dual_mov_b32 v81, v127
	v_cmpx_ne_u16_e32 0, v6
	s_cbranch_execz .LBB285_1411
; %bb.1404:                             ;   in Loop: Header=BB285_11 Depth=1
	v_bfrev_b32_e32 v80, 1
	v_mov_b32_e32 v81, 0
	s_mov_b32 s19, exec_lo
	v_cmpx_ne_u16_e32 0x80, v6
	s_cbranch_execz .LBB285_1410
; %bb.1405:                             ;   in Loop: Header=BB285_11 Depth=1
	v_mov_b32_e32 v80, 0x7f800001
	v_bfe_u32 v6, v19, 16, 7
	v_mov_b32_e32 v81, 0
	s_mov_b32 s20, exec_lo
	s_delay_alu instid0(VALU_DEP_2)
	v_cmpx_ne_u32_e32 0x7f, v6
	s_cbranch_execz .LBB285_1409
; %bb.1406:                             ;   in Loop: Header=BB285_11 Depth=1
	v_and_b32_e32 v15, 7, v20
	v_lshrrev_b32_e32 v23, 3, v6
	v_cmp_gt_u32_e64 s1, 8, v6
	s_delay_alu instid0(VALU_DEP_3) | instskip(NEXT) | instid1(VALU_DEP_2)
	v_dual_mov_b32 v6, v15 :: v_dual_mov_b32 v7, v16
	s_and_saveexec_b32 s21, s1
; %bb.1407:                             ;   in Loop: Header=BB285_11 Depth=1
	v_clz_i32_u32_e32 v6, v15
	s_delay_alu instid0(VALU_DEP_1) | instskip(NEXT) | instid1(VALU_DEP_1)
	v_min_u32_e32 v23, 32, v6
	v_subrev_nc_u32_e32 v6, 28, v23
	v_sub_nc_u32_e32 v23, 29, v23
	s_delay_alu instid0(VALU_DEP_2) | instskip(NEXT) | instid1(VALU_DEP_1)
	v_lshlrev_b64 v[6:7], v6, v[15:16]
	v_and_b32_e32 v6, 7, v6
; %bb.1408:                             ;   in Loop: Header=BB285_11 Depth=1
	s_or_b32 exec_lo, exec_lo, s21
	v_lshlrev_b32_e32 v7, 24, v20
	s_delay_alu instid0(VALU_DEP_2) | instskip(SKIP_1) | instid1(VALU_DEP_3)
	v_lshlrev_b32_e32 v6, 20, v6
	v_lshl_add_u32 v15, v23, 23, 0x3c000000
	v_and_b32_e32 v7, 0x80000000, v7
	s_delay_alu instid0(VALU_DEP_1) | instskip(NEXT) | instid1(VALU_DEP_1)
	v_or3_b32 v15, v6, v7, v15
	v_dual_mov_b32 v81, v16 :: v_dual_mov_b32 v80, v15
.LBB285_1409:                           ;   in Loop: Header=BB285_11 Depth=1
	s_or_b32 exec_lo, exec_lo, s20
.LBB285_1410:                           ;   in Loop: Header=BB285_11 Depth=1
	s_delay_alu instid0(SALU_CYCLE_1)
	s_or_b32 exec_lo, exec_lo, s19
.LBB285_1411:                           ;   in Loop: Header=BB285_11 Depth=1
	s_delay_alu instid0(SALU_CYCLE_1) | instskip(NEXT) | instid1(SALU_CYCLE_1)
	s_or_b32 exec_lo, exec_lo, s8
	s_mov_b32 s19, exec_lo
	v_cmpx_lt_u32_e32 0xffffff, v19
	s_cbranch_execz .LBB285_1419
; %bb.1412:                             ;   in Loop: Header=BB285_11 Depth=1
	v_lshrrev_b32_e32 v20, 24, v19
	v_dual_mov_b32 v127, s3 :: v_dual_mov_b32 v126, s2
	s_mov_b32 s20, exec_lo
	s_delay_alu instid0(VALU_DEP_2)
	v_cmpx_ne_u32_e32 0x80, v20
	s_cbranch_execz .LBB285_1418
; %bb.1413:                             ;   in Loop: Header=BB285_11 Depth=1
	s_mov_b32 s8, s2
	v_bfe_u32 v6, v19, 24, 7
	v_dual_mov_b32 v127, s9 :: v_dual_mov_b32 v126, s8
	s_mov_b32 s8, exec_lo
	s_delay_alu instid0(VALU_DEP_2)
	v_cmpx_ne_u32_e32 0x7f, v6
	s_cbranch_execz .LBB285_1417
; %bb.1414:                             ;   in Loop: Header=BB285_11 Depth=1
	v_and_b32_e32 v15, 7, v20
	v_lshrrev_b32_e32 v19, 3, v6
	v_cmp_gt_u32_e64 s1, 8, v6
	s_delay_alu instid0(VALU_DEP_3) | instskip(NEXT) | instid1(VALU_DEP_2)
	v_dual_mov_b32 v6, v15 :: v_dual_mov_b32 v7, v16
	s_and_saveexec_b32 s21, s1
; %bb.1415:                             ;   in Loop: Header=BB285_11 Depth=1
	v_clz_i32_u32_e32 v6, v15
	s_delay_alu instid0(VALU_DEP_1) | instskip(NEXT) | instid1(VALU_DEP_1)
	v_min_u32_e32 v19, 32, v6
	v_subrev_nc_u32_e32 v6, 28, v19
	v_sub_nc_u32_e32 v19, 29, v19
	s_delay_alu instid0(VALU_DEP_2) | instskip(NEXT) | instid1(VALU_DEP_1)
	v_lshlrev_b64 v[6:7], v6, v[15:16]
	v_and_b32_e32 v6, 7, v6
; %bb.1416:                             ;   in Loop: Header=BB285_11 Depth=1
	s_or_b32 exec_lo, exec_lo, s21
	v_dual_mov_b32 v126, v16 :: v_dual_lshlrev_b32 v7, 24, v20
	s_delay_alu instid0(VALU_DEP_2) | instskip(SKIP_1) | instid1(VALU_DEP_3)
	v_lshlrev_b32_e32 v6, 20, v6
	v_lshl_add_u32 v15, v19, 23, 0x3c000000
	v_and_b32_e32 v7, 0x80000000, v7
	s_delay_alu instid0(VALU_DEP_1)
	v_or3_b32 v127, v6, v7, v15
.LBB285_1417:                           ;   in Loop: Header=BB285_11 Depth=1
	s_or_b32 exec_lo, exec_lo, s8
.LBB285_1418:                           ;   in Loop: Header=BB285_11 Depth=1
	s_delay_alu instid0(SALU_CYCLE_1)
	s_or_b32 exec_lo, exec_lo, s20
.LBB285_1419:                           ;   in Loop: Header=BB285_11 Depth=1
	s_delay_alu instid0(SALU_CYCLE_1)
	s_or_b32 exec_lo, exec_lo, s19
	flat_load_b32 v19, v[102:103] offset:1536
	v_mov_b32_e32 v138, 0
	v_mov_b32_e32 v139, 0
	s_mov_b32 s8, exec_lo
	s_waitcnt vmcnt(0) lgkmcnt(0)
	s_delay_alu instid0(VALU_DEP_1) | instskip(SKIP_1) | instid1(VALU_DEP_2)
	v_dual_mov_b32 v143, v139 :: v_dual_and_b32 v6, 0xff, v19
	v_mov_b32_e32 v142, v138
	v_cmpx_ne_u16_e32 0, v6
	s_cbranch_execz .LBB285_1427
; %bb.1420:                             ;   in Loop: Header=BB285_11 Depth=1
	v_bfrev_b32_e32 v142, 1
	v_mov_b32_e32 v143, 0
	s_mov_b32 s19, exec_lo
	v_cmpx_ne_u16_e32 0x80, v6
	s_cbranch_execz .LBB285_1426
; %bb.1421:                             ;   in Loop: Header=BB285_11 Depth=1
	v_mov_b32_e32 v142, 0x7f800001
	v_dual_mov_b32 v143, 0 :: v_dual_and_b32 v6, 0x7f, v19
	s_mov_b32 s20, exec_lo
	s_delay_alu instid0(VALU_DEP_1)
	v_cmpx_ne_u32_e32 0x7f, v6
	s_cbranch_execz .LBB285_1425
; %bb.1422:                             ;   in Loop: Header=BB285_11 Depth=1
	v_and_b32_e32 v15, 7, v19
	v_lshrrev_b32_e32 v20, 3, v6
	v_cmp_gt_u32_e64 s1, 8, v6
	s_delay_alu instid0(VALU_DEP_3) | instskip(NEXT) | instid1(VALU_DEP_2)
	v_dual_mov_b32 v6, v15 :: v_dual_mov_b32 v7, v16
	s_and_saveexec_b32 s21, s1
; %bb.1423:                             ;   in Loop: Header=BB285_11 Depth=1
	v_clz_i32_u32_e32 v6, v15
	s_delay_alu instid0(VALU_DEP_1) | instskip(NEXT) | instid1(VALU_DEP_1)
	v_min_u32_e32 v20, 32, v6
	v_subrev_nc_u32_e32 v6, 28, v20
	v_sub_nc_u32_e32 v20, 29, v20
	s_delay_alu instid0(VALU_DEP_2) | instskip(NEXT) | instid1(VALU_DEP_1)
	v_lshlrev_b64 v[6:7], v6, v[15:16]
	v_and_b32_e32 v6, 7, v6
; %bb.1424:                             ;   in Loop: Header=BB285_11 Depth=1
	s_or_b32 exec_lo, exec_lo, s21
	v_lshlrev_b32_e32 v7, 24, v19
	s_delay_alu instid0(VALU_DEP_2) | instskip(SKIP_1) | instid1(VALU_DEP_3)
	v_lshlrev_b32_e32 v6, 20, v6
	v_lshl_add_u32 v15, v20, 23, 0x3c000000
	v_and_b32_e32 v7, 0x80000000, v7
	s_delay_alu instid0(VALU_DEP_1) | instskip(NEXT) | instid1(VALU_DEP_1)
	v_or3_b32 v15, v6, v7, v15
	v_dual_mov_b32 v143, v16 :: v_dual_mov_b32 v142, v15
.LBB285_1425:                           ;   in Loop: Header=BB285_11 Depth=1
	s_or_b32 exec_lo, exec_lo, s20
.LBB285_1426:                           ;   in Loop: Header=BB285_11 Depth=1
	s_delay_alu instid0(SALU_CYCLE_1)
	s_or_b32 exec_lo, exec_lo, s19
.LBB285_1427:                           ;   in Loop: Header=BB285_11 Depth=1
	s_delay_alu instid0(SALU_CYCLE_1) | instskip(SKIP_2) | instid1(VALU_DEP_1)
	s_or_b32 exec_lo, exec_lo, s8
	v_lshrrev_b16 v6, 8, v19
	s_mov_b32 s19, exec_lo
	v_cmpx_ne_u16_e32 0, v6
	s_cbranch_execz .LBB285_1435
; %bb.1428:                             ;   in Loop: Header=BB285_11 Depth=1
	v_dual_mov_b32 v139, s3 :: v_dual_mov_b32 v138, s2
	s_mov_b32 s20, exec_lo
	v_cmpx_ne_u16_e32 0x80, v6
	s_cbranch_execz .LBB285_1434
; %bb.1429:                             ;   in Loop: Header=BB285_11 Depth=1
	s_mov_b32 s8, s2
	v_and_b32_e32 v7, 0xffff, v6
	v_dual_mov_b32 v139, s9 :: v_dual_mov_b32 v138, s8
	s_mov_b32 s8, exec_lo
	s_delay_alu instid0(VALU_DEP_2) | instskip(NEXT) | instid1(VALU_DEP_1)
	v_and_b32_e32 v6, 0x7f, v7
	v_cmpx_ne_u32_e32 0x7f, v6
	s_cbranch_execz .LBB285_1433
; %bb.1430:                             ;   in Loop: Header=BB285_11 Depth=1
	v_and_b32_e32 v15, 7, v7
	v_lshrrev_b32_e32 v20, 3, v6
	v_cmp_gt_u32_e64 s1, 8, v6
	s_delay_alu instid0(VALU_DEP_3) | instskip(NEXT) | instid1(VALU_DEP_2)
	v_dual_mov_b32 v6, v15 :: v_dual_mov_b32 v7, v16
	s_and_saveexec_b32 s21, s1
; %bb.1431:                             ;   in Loop: Header=BB285_11 Depth=1
	v_clz_i32_u32_e32 v6, v15
	s_delay_alu instid0(VALU_DEP_1) | instskip(NEXT) | instid1(VALU_DEP_1)
	v_min_u32_e32 v20, 32, v6
	v_subrev_nc_u32_e32 v6, 28, v20
	v_sub_nc_u32_e32 v20, 29, v20
	s_delay_alu instid0(VALU_DEP_2) | instskip(NEXT) | instid1(VALU_DEP_1)
	v_lshlrev_b64 v[6:7], v6, v[15:16]
	v_and_b32_e32 v6, 7, v6
; %bb.1432:                             ;   in Loop: Header=BB285_11 Depth=1
	s_or_b32 exec_lo, exec_lo, s21
	v_dual_mov_b32 v138, v16 :: v_dual_lshlrev_b32 v7, 16, v19
	s_delay_alu instid0(VALU_DEP_2) | instskip(SKIP_1) | instid1(VALU_DEP_3)
	v_lshlrev_b32_e32 v6, 20, v6
	v_lshl_add_u32 v15, v20, 23, 0x3c000000
	v_and_b32_e32 v7, 0x80000000, v7
	s_delay_alu instid0(VALU_DEP_1)
	v_or3_b32 v139, v6, v7, v15
.LBB285_1433:                           ;   in Loop: Header=BB285_11 Depth=1
	s_or_b32 exec_lo, exec_lo, s8
.LBB285_1434:                           ;   in Loop: Header=BB285_11 Depth=1
	s_delay_alu instid0(SALU_CYCLE_1)
	s_or_b32 exec_lo, exec_lo, s20
.LBB285_1435:                           ;   in Loop: Header=BB285_11 Depth=1
	s_delay_alu instid0(SALU_CYCLE_1) | instskip(SKIP_4) | instid1(VALU_DEP_2)
	s_or_b32 exec_lo, exec_lo, s19
	v_mov_b32_e32 v156, 0
	v_lshrrev_b32_e32 v20, 16, v19
	v_mov_b32_e32 v157, 0
	s_mov_b32 s8, exec_lo
	v_and_b32_e32 v6, 0xff, v20
	s_delay_alu instid0(VALU_DEP_2) | instskip(NEXT) | instid1(VALU_DEP_2)
	v_dual_mov_b32 v112, v156 :: v_dual_mov_b32 v113, v157
	v_cmpx_ne_u16_e32 0, v6
	s_cbranch_execz .LBB285_1443
; %bb.1436:                             ;   in Loop: Header=BB285_11 Depth=1
	v_bfrev_b32_e32 v112, 1
	v_mov_b32_e32 v113, 0
	s_mov_b32 s19, exec_lo
	v_cmpx_ne_u16_e32 0x80, v6
	s_cbranch_execz .LBB285_1442
; %bb.1437:                             ;   in Loop: Header=BB285_11 Depth=1
	v_mov_b32_e32 v112, 0x7f800001
	v_bfe_u32 v6, v19, 16, 7
	v_mov_b32_e32 v113, 0
	s_mov_b32 s20, exec_lo
	s_delay_alu instid0(VALU_DEP_2)
	v_cmpx_ne_u32_e32 0x7f, v6
	s_cbranch_execz .LBB285_1441
; %bb.1438:                             ;   in Loop: Header=BB285_11 Depth=1
	v_and_b32_e32 v15, 7, v20
	v_lshrrev_b32_e32 v23, 3, v6
	v_cmp_gt_u32_e64 s1, 8, v6
	s_delay_alu instid0(VALU_DEP_3) | instskip(NEXT) | instid1(VALU_DEP_2)
	v_dual_mov_b32 v6, v15 :: v_dual_mov_b32 v7, v16
	s_and_saveexec_b32 s21, s1
; %bb.1439:                             ;   in Loop: Header=BB285_11 Depth=1
	v_clz_i32_u32_e32 v6, v15
	s_delay_alu instid0(VALU_DEP_1) | instskip(NEXT) | instid1(VALU_DEP_1)
	v_min_u32_e32 v23, 32, v6
	v_subrev_nc_u32_e32 v6, 28, v23
	v_sub_nc_u32_e32 v23, 29, v23
	s_delay_alu instid0(VALU_DEP_2) | instskip(NEXT) | instid1(VALU_DEP_1)
	v_lshlrev_b64 v[6:7], v6, v[15:16]
	v_and_b32_e32 v6, 7, v6
; %bb.1440:                             ;   in Loop: Header=BB285_11 Depth=1
	s_or_b32 exec_lo, exec_lo, s21
	v_lshlrev_b32_e32 v7, 24, v20
	s_delay_alu instid0(VALU_DEP_2) | instskip(SKIP_1) | instid1(VALU_DEP_3)
	v_lshlrev_b32_e32 v6, 20, v6
	v_lshl_add_u32 v15, v23, 23, 0x3c000000
	v_and_b32_e32 v7, 0x80000000, v7
	s_delay_alu instid0(VALU_DEP_1) | instskip(NEXT) | instid1(VALU_DEP_1)
	v_or3_b32 v15, v6, v7, v15
	v_dual_mov_b32 v113, v16 :: v_dual_mov_b32 v112, v15
.LBB285_1441:                           ;   in Loop: Header=BB285_11 Depth=1
	s_or_b32 exec_lo, exec_lo, s20
.LBB285_1442:                           ;   in Loop: Header=BB285_11 Depth=1
	s_delay_alu instid0(SALU_CYCLE_1)
	s_or_b32 exec_lo, exec_lo, s19
.LBB285_1443:                           ;   in Loop: Header=BB285_11 Depth=1
	s_delay_alu instid0(SALU_CYCLE_1) | instskip(NEXT) | instid1(SALU_CYCLE_1)
	s_or_b32 exec_lo, exec_lo, s8
	s_mov_b32 s19, exec_lo
	v_cmpx_lt_u32_e32 0xffffff, v19
	s_cbranch_execz .LBB285_1451
; %bb.1444:                             ;   in Loop: Header=BB285_11 Depth=1
	v_lshrrev_b32_e32 v20, 24, v19
	v_dual_mov_b32 v157, s3 :: v_dual_mov_b32 v156, s2
	s_mov_b32 s20, exec_lo
	s_delay_alu instid0(VALU_DEP_2)
	v_cmpx_ne_u32_e32 0x80, v20
	s_cbranch_execz .LBB285_1450
; %bb.1445:                             ;   in Loop: Header=BB285_11 Depth=1
	s_mov_b32 s8, s2
	v_bfe_u32 v6, v19, 24, 7
	v_dual_mov_b32 v157, s9 :: v_dual_mov_b32 v156, s8
	s_mov_b32 s8, exec_lo
	s_delay_alu instid0(VALU_DEP_2)
	v_cmpx_ne_u32_e32 0x7f, v6
	s_cbranch_execz .LBB285_1449
; %bb.1446:                             ;   in Loop: Header=BB285_11 Depth=1
	v_and_b32_e32 v15, 7, v20
	v_lshrrev_b32_e32 v19, 3, v6
	v_cmp_gt_u32_e64 s1, 8, v6
	s_delay_alu instid0(VALU_DEP_3) | instskip(NEXT) | instid1(VALU_DEP_2)
	v_dual_mov_b32 v6, v15 :: v_dual_mov_b32 v7, v16
	s_and_saveexec_b32 s21, s1
; %bb.1447:                             ;   in Loop: Header=BB285_11 Depth=1
	v_clz_i32_u32_e32 v6, v15
	s_delay_alu instid0(VALU_DEP_1) | instskip(NEXT) | instid1(VALU_DEP_1)
	v_min_u32_e32 v19, 32, v6
	v_subrev_nc_u32_e32 v6, 28, v19
	v_sub_nc_u32_e32 v19, 29, v19
	s_delay_alu instid0(VALU_DEP_2) | instskip(NEXT) | instid1(VALU_DEP_1)
	v_lshlrev_b64 v[6:7], v6, v[15:16]
	v_and_b32_e32 v6, 7, v6
; %bb.1448:                             ;   in Loop: Header=BB285_11 Depth=1
	s_or_b32 exec_lo, exec_lo, s21
	v_dual_mov_b32 v156, v16 :: v_dual_lshlrev_b32 v7, 24, v20
	s_delay_alu instid0(VALU_DEP_2) | instskip(SKIP_1) | instid1(VALU_DEP_3)
	v_lshlrev_b32_e32 v6, 20, v6
	v_lshl_add_u32 v15, v19, 23, 0x3c000000
	v_and_b32_e32 v7, 0x80000000, v7
	s_delay_alu instid0(VALU_DEP_1)
	v_or3_b32 v157, v6, v7, v15
.LBB285_1449:                           ;   in Loop: Header=BB285_11 Depth=1
	s_or_b32 exec_lo, exec_lo, s8
.LBB285_1450:                           ;   in Loop: Header=BB285_11 Depth=1
	s_delay_alu instid0(SALU_CYCLE_1)
	s_or_b32 exec_lo, exec_lo, s20
.LBB285_1451:                           ;   in Loop: Header=BB285_11 Depth=1
	s_delay_alu instid0(SALU_CYCLE_1)
	s_or_b32 exec_lo, exec_lo, s19
	flat_load_b32 v19, v[102:103] offset:1540
	v_mov_b32_e32 v172, 0
	v_mov_b32_e32 v173, 0
	s_mov_b32 s8, exec_lo
	s_waitcnt vmcnt(0) lgkmcnt(0)
	s_delay_alu instid0(VALU_DEP_1) | instskip(SKIP_1) | instid1(VALU_DEP_2)
	v_dual_mov_b32 v185, v173 :: v_dual_and_b32 v6, 0xff, v19
	v_mov_b32_e32 v184, v172
	v_cmpx_ne_u16_e32 0, v6
	s_cbranch_execz .LBB285_1459
; %bb.1452:                             ;   in Loop: Header=BB285_11 Depth=1
	v_bfrev_b32_e32 v184, 1
	v_mov_b32_e32 v185, 0
	s_mov_b32 s19, exec_lo
	v_cmpx_ne_u16_e32 0x80, v6
	s_cbranch_execz .LBB285_1458
; %bb.1453:                             ;   in Loop: Header=BB285_11 Depth=1
	v_mov_b32_e32 v184, 0x7f800001
	v_dual_mov_b32 v185, 0 :: v_dual_and_b32 v6, 0x7f, v19
	s_mov_b32 s20, exec_lo
	s_delay_alu instid0(VALU_DEP_1)
	v_cmpx_ne_u32_e32 0x7f, v6
	s_cbranch_execz .LBB285_1457
; %bb.1454:                             ;   in Loop: Header=BB285_11 Depth=1
	v_and_b32_e32 v15, 7, v19
	v_lshrrev_b32_e32 v20, 3, v6
	v_cmp_gt_u32_e64 s1, 8, v6
	s_delay_alu instid0(VALU_DEP_3) | instskip(NEXT) | instid1(VALU_DEP_2)
	v_dual_mov_b32 v6, v15 :: v_dual_mov_b32 v7, v16
	s_and_saveexec_b32 s21, s1
; %bb.1455:                             ;   in Loop: Header=BB285_11 Depth=1
	v_clz_i32_u32_e32 v6, v15
	s_delay_alu instid0(VALU_DEP_1) | instskip(NEXT) | instid1(VALU_DEP_1)
	v_min_u32_e32 v20, 32, v6
	v_subrev_nc_u32_e32 v6, 28, v20
	v_sub_nc_u32_e32 v20, 29, v20
	s_delay_alu instid0(VALU_DEP_2) | instskip(NEXT) | instid1(VALU_DEP_1)
	v_lshlrev_b64 v[6:7], v6, v[15:16]
	v_and_b32_e32 v6, 7, v6
; %bb.1456:                             ;   in Loop: Header=BB285_11 Depth=1
	s_or_b32 exec_lo, exec_lo, s21
	v_lshlrev_b32_e32 v7, 24, v19
	s_delay_alu instid0(VALU_DEP_2) | instskip(SKIP_1) | instid1(VALU_DEP_3)
	v_lshlrev_b32_e32 v6, 20, v6
	v_lshl_add_u32 v15, v20, 23, 0x3c000000
	v_and_b32_e32 v7, 0x80000000, v7
	s_delay_alu instid0(VALU_DEP_1) | instskip(NEXT) | instid1(VALU_DEP_1)
	v_or3_b32 v15, v6, v7, v15
	v_dual_mov_b32 v185, v16 :: v_dual_mov_b32 v184, v15
.LBB285_1457:                           ;   in Loop: Header=BB285_11 Depth=1
	s_or_b32 exec_lo, exec_lo, s20
.LBB285_1458:                           ;   in Loop: Header=BB285_11 Depth=1
	s_delay_alu instid0(SALU_CYCLE_1)
	s_or_b32 exec_lo, exec_lo, s19
.LBB285_1459:                           ;   in Loop: Header=BB285_11 Depth=1
	s_delay_alu instid0(SALU_CYCLE_1) | instskip(SKIP_2) | instid1(VALU_DEP_1)
	s_or_b32 exec_lo, exec_lo, s8
	v_lshrrev_b16 v6, 8, v19
	s_mov_b32 s19, exec_lo
	v_cmpx_ne_u16_e32 0, v6
	s_cbranch_execz .LBB285_1467
; %bb.1460:                             ;   in Loop: Header=BB285_11 Depth=1
	v_dual_mov_b32 v173, s3 :: v_dual_mov_b32 v172, s2
	s_mov_b32 s20, exec_lo
	v_cmpx_ne_u16_e32 0x80, v6
	s_cbranch_execz .LBB285_1466
; %bb.1461:                             ;   in Loop: Header=BB285_11 Depth=1
	s_mov_b32 s8, s2
	v_and_b32_e32 v7, 0xffff, v6
	v_dual_mov_b32 v173, s9 :: v_dual_mov_b32 v172, s8
	s_mov_b32 s8, exec_lo
	s_delay_alu instid0(VALU_DEP_2) | instskip(NEXT) | instid1(VALU_DEP_1)
	v_and_b32_e32 v6, 0x7f, v7
	v_cmpx_ne_u32_e32 0x7f, v6
	s_cbranch_execz .LBB285_1465
; %bb.1462:                             ;   in Loop: Header=BB285_11 Depth=1
	v_and_b32_e32 v15, 7, v7
	v_lshrrev_b32_e32 v20, 3, v6
	v_cmp_gt_u32_e64 s1, 8, v6
	s_delay_alu instid0(VALU_DEP_3) | instskip(NEXT) | instid1(VALU_DEP_2)
	v_dual_mov_b32 v6, v15 :: v_dual_mov_b32 v7, v16
	s_and_saveexec_b32 s21, s1
; %bb.1463:                             ;   in Loop: Header=BB285_11 Depth=1
	v_clz_i32_u32_e32 v6, v15
	s_delay_alu instid0(VALU_DEP_1) | instskip(NEXT) | instid1(VALU_DEP_1)
	v_min_u32_e32 v20, 32, v6
	v_subrev_nc_u32_e32 v6, 28, v20
	v_sub_nc_u32_e32 v20, 29, v20
	s_delay_alu instid0(VALU_DEP_2) | instskip(NEXT) | instid1(VALU_DEP_1)
	v_lshlrev_b64 v[6:7], v6, v[15:16]
	v_and_b32_e32 v6, 7, v6
; %bb.1464:                             ;   in Loop: Header=BB285_11 Depth=1
	s_or_b32 exec_lo, exec_lo, s21
	v_dual_mov_b32 v172, v16 :: v_dual_lshlrev_b32 v7, 16, v19
	s_delay_alu instid0(VALU_DEP_2) | instskip(SKIP_1) | instid1(VALU_DEP_3)
	v_lshlrev_b32_e32 v6, 20, v6
	v_lshl_add_u32 v15, v20, 23, 0x3c000000
	v_and_b32_e32 v7, 0x80000000, v7
	s_delay_alu instid0(VALU_DEP_1)
	v_or3_b32 v173, v6, v7, v15
.LBB285_1465:                           ;   in Loop: Header=BB285_11 Depth=1
	s_or_b32 exec_lo, exec_lo, s8
.LBB285_1466:                           ;   in Loop: Header=BB285_11 Depth=1
	s_delay_alu instid0(SALU_CYCLE_1)
	s_or_b32 exec_lo, exec_lo, s20
.LBB285_1467:                           ;   in Loop: Header=BB285_11 Depth=1
	s_delay_alu instid0(SALU_CYCLE_1) | instskip(SKIP_4) | instid1(VALU_DEP_1)
	s_or_b32 exec_lo, exec_lo, s19
	v_mov_b32_e32 v144, 0
	v_lshrrev_b32_e32 v20, 16, v19
	v_mov_b32_e32 v145, 0
	s_mov_b32 s8, exec_lo
	v_dual_mov_b32 v189, v145 :: v_dual_and_b32 v6, 0xff, v20
	v_mov_b32_e32 v188, v144
	s_delay_alu instid0(VALU_DEP_2)
	v_cmpx_ne_u16_e32 0, v6
	s_cbranch_execz .LBB285_1475
; %bb.1468:                             ;   in Loop: Header=BB285_11 Depth=1
	v_bfrev_b32_e32 v188, 1
	v_mov_b32_e32 v189, 0
	s_mov_b32 s19, exec_lo
	v_cmpx_ne_u16_e32 0x80, v6
	s_cbranch_execz .LBB285_1474
; %bb.1469:                             ;   in Loop: Header=BB285_11 Depth=1
	v_mov_b32_e32 v188, 0x7f800001
	v_bfe_u32 v6, v19, 16, 7
	v_mov_b32_e32 v189, 0
	s_mov_b32 s20, exec_lo
	s_delay_alu instid0(VALU_DEP_2)
	v_cmpx_ne_u32_e32 0x7f, v6
	s_cbranch_execz .LBB285_1473
; %bb.1470:                             ;   in Loop: Header=BB285_11 Depth=1
	v_and_b32_e32 v15, 7, v20
	v_lshrrev_b32_e32 v23, 3, v6
	v_cmp_gt_u32_e64 s1, 8, v6
	s_delay_alu instid0(VALU_DEP_3) | instskip(NEXT) | instid1(VALU_DEP_2)
	v_dual_mov_b32 v6, v15 :: v_dual_mov_b32 v7, v16
	s_and_saveexec_b32 s21, s1
; %bb.1471:                             ;   in Loop: Header=BB285_11 Depth=1
	v_clz_i32_u32_e32 v6, v15
	s_delay_alu instid0(VALU_DEP_1) | instskip(NEXT) | instid1(VALU_DEP_1)
	v_min_u32_e32 v23, 32, v6
	v_subrev_nc_u32_e32 v6, 28, v23
	v_sub_nc_u32_e32 v23, 29, v23
	s_delay_alu instid0(VALU_DEP_2) | instskip(NEXT) | instid1(VALU_DEP_1)
	v_lshlrev_b64 v[6:7], v6, v[15:16]
	v_and_b32_e32 v6, 7, v6
; %bb.1472:                             ;   in Loop: Header=BB285_11 Depth=1
	s_or_b32 exec_lo, exec_lo, s21
	v_lshlrev_b32_e32 v7, 24, v20
	s_delay_alu instid0(VALU_DEP_2) | instskip(SKIP_1) | instid1(VALU_DEP_3)
	v_lshlrev_b32_e32 v6, 20, v6
	v_lshl_add_u32 v15, v23, 23, 0x3c000000
	v_and_b32_e32 v7, 0x80000000, v7
	s_delay_alu instid0(VALU_DEP_1) | instskip(NEXT) | instid1(VALU_DEP_1)
	v_or3_b32 v15, v6, v7, v15
	v_dual_mov_b32 v189, v16 :: v_dual_mov_b32 v188, v15
.LBB285_1473:                           ;   in Loop: Header=BB285_11 Depth=1
	s_or_b32 exec_lo, exec_lo, s20
.LBB285_1474:                           ;   in Loop: Header=BB285_11 Depth=1
	s_delay_alu instid0(SALU_CYCLE_1)
	s_or_b32 exec_lo, exec_lo, s19
.LBB285_1475:                           ;   in Loop: Header=BB285_11 Depth=1
	s_delay_alu instid0(SALU_CYCLE_1) | instskip(NEXT) | instid1(SALU_CYCLE_1)
	s_or_b32 exec_lo, exec_lo, s8
	s_mov_b32 s19, exec_lo
	v_cmpx_lt_u32_e32 0xffffff, v19
	s_cbranch_execz .LBB285_1483
; %bb.1476:                             ;   in Loop: Header=BB285_11 Depth=1
	v_lshrrev_b32_e32 v20, 24, v19
	v_dual_mov_b32 v145, s3 :: v_dual_mov_b32 v144, s2
	s_mov_b32 s20, exec_lo
	s_delay_alu instid0(VALU_DEP_2)
	v_cmpx_ne_u32_e32 0x80, v20
	s_cbranch_execz .LBB285_1482
; %bb.1477:                             ;   in Loop: Header=BB285_11 Depth=1
	s_mov_b32 s8, s2
	v_bfe_u32 v6, v19, 24, 7
	v_dual_mov_b32 v145, s9 :: v_dual_mov_b32 v144, s8
	s_mov_b32 s8, exec_lo
	s_delay_alu instid0(VALU_DEP_2)
	v_cmpx_ne_u32_e32 0x7f, v6
	s_cbranch_execz .LBB285_1481
; %bb.1478:                             ;   in Loop: Header=BB285_11 Depth=1
	v_and_b32_e32 v15, 7, v20
	v_lshrrev_b32_e32 v19, 3, v6
	v_cmp_gt_u32_e64 s1, 8, v6
	s_delay_alu instid0(VALU_DEP_3) | instskip(NEXT) | instid1(VALU_DEP_2)
	v_dual_mov_b32 v6, v15 :: v_dual_mov_b32 v7, v16
	s_and_saveexec_b32 s21, s1
; %bb.1479:                             ;   in Loop: Header=BB285_11 Depth=1
	v_clz_i32_u32_e32 v6, v15
	s_delay_alu instid0(VALU_DEP_1) | instskip(NEXT) | instid1(VALU_DEP_1)
	v_min_u32_e32 v19, 32, v6
	v_subrev_nc_u32_e32 v6, 28, v19
	v_sub_nc_u32_e32 v19, 29, v19
	s_delay_alu instid0(VALU_DEP_2) | instskip(NEXT) | instid1(VALU_DEP_1)
	v_lshlrev_b64 v[6:7], v6, v[15:16]
	v_and_b32_e32 v6, 7, v6
; %bb.1480:                             ;   in Loop: Header=BB285_11 Depth=1
	s_or_b32 exec_lo, exec_lo, s21
	v_dual_mov_b32 v144, v16 :: v_dual_lshlrev_b32 v7, 24, v20
	s_delay_alu instid0(VALU_DEP_2) | instskip(SKIP_1) | instid1(VALU_DEP_3)
	v_lshlrev_b32_e32 v6, 20, v6
	v_lshl_add_u32 v15, v19, 23, 0x3c000000
	v_and_b32_e32 v7, 0x80000000, v7
	s_delay_alu instid0(VALU_DEP_1)
	v_or3_b32 v145, v6, v7, v15
.LBB285_1481:                           ;   in Loop: Header=BB285_11 Depth=1
	s_or_b32 exec_lo, exec_lo, s8
.LBB285_1482:                           ;   in Loop: Header=BB285_11 Depth=1
	s_delay_alu instid0(SALU_CYCLE_1)
	s_or_b32 exec_lo, exec_lo, s20
.LBB285_1483:                           ;   in Loop: Header=BB285_11 Depth=1
	s_delay_alu instid0(SALU_CYCLE_1) | instskip(SKIP_3) | instid1(VALU_DEP_2)
	s_or_b32 exec_lo, exec_lo, s19
	flat_load_b32 v96, v[102:103] offset:1544
	v_mov_b32_e32 v160, 0
	v_mov_b32_e32 v161, 0
	v_mov_b32_e32 v6, v160
	s_mov_b32 s8, exec_lo
	s_delay_alu instid0(VALU_DEP_2) | instskip(SKIP_2) | instid1(VALU_DEP_1)
	v_mov_b32_e32 v7, v161
	s_waitcnt vmcnt(0) lgkmcnt(0)
	v_and_b32_e32 v15, 0xff, v96
	v_cmpx_ne_u16_e32 0, v15
	s_cbranch_execz .LBB285_1491
; %bb.1484:                             ;   in Loop: Header=BB285_11 Depth=1
	v_bfrev_b32_e32 v6, 1
	v_mov_b32_e32 v7, 0
	s_mov_b32 s19, exec_lo
	v_cmpx_ne_u16_e32 0x80, v15
	s_cbranch_execz .LBB285_1490
; %bb.1485:                             ;   in Loop: Header=BB285_11 Depth=1
	v_mov_b32_e32 v6, 0x7f800001
	v_dual_mov_b32 v7, 0 :: v_dual_and_b32 v20, 0x7f, v96
	s_mov_b32 s20, exec_lo
	s_delay_alu instid0(VALU_DEP_1)
	v_cmpx_ne_u32_e32 0x7f, v20
	s_cbranch_execz .LBB285_1489
; %bb.1486:                             ;   in Loop: Header=BB285_11 Depth=1
	v_and_b32_e32 v15, 7, v96
	v_lshrrev_b32_e32 v19, 3, v20
	s_mov_b32 s21, exec_lo
	s_delay_alu instid0(VALU_DEP_2)
	v_dual_mov_b32 v6, v15 :: v_dual_mov_b32 v7, v16
	v_cmpx_gt_u32_e32 8, v20
; %bb.1487:                             ;   in Loop: Header=BB285_11 Depth=1
	v_clz_i32_u32_e32 v6, v15
	s_delay_alu instid0(VALU_DEP_1) | instskip(NEXT) | instid1(VALU_DEP_1)
	v_min_u32_e32 v19, 32, v6
	v_subrev_nc_u32_e32 v6, 28, v19
	v_sub_nc_u32_e32 v19, 29, v19
	s_delay_alu instid0(VALU_DEP_2) | instskip(NEXT) | instid1(VALU_DEP_1)
	v_lshlrev_b64 v[6:7], v6, v[15:16]
	v_and_b32_e32 v6, 7, v6
; %bb.1488:                             ;   in Loop: Header=BB285_11 Depth=1
	s_or_b32 exec_lo, exec_lo, s21
	v_lshlrev_b32_e32 v7, 24, v96
	s_delay_alu instid0(VALU_DEP_2) | instskip(SKIP_1) | instid1(VALU_DEP_3)
	v_lshlrev_b32_e32 v6, 20, v6
	v_lshl_add_u32 v15, v19, 23, 0x3c000000
	v_and_b32_e32 v7, 0x80000000, v7
	s_delay_alu instid0(VALU_DEP_1) | instskip(NEXT) | instid1(VALU_DEP_1)
	v_or3_b32 v15, v6, v7, v15
	v_dual_mov_b32 v6, v15 :: v_dual_mov_b32 v7, v16
.LBB285_1489:                           ;   in Loop: Header=BB285_11 Depth=1
	s_or_b32 exec_lo, exec_lo, s20
.LBB285_1490:                           ;   in Loop: Header=BB285_11 Depth=1
	s_delay_alu instid0(SALU_CYCLE_1)
	s_or_b32 exec_lo, exec_lo, s19
.LBB285_1491:                           ;   in Loop: Header=BB285_11 Depth=1
	s_delay_alu instid0(SALU_CYCLE_1) | instskip(SKIP_2) | instid1(VALU_DEP_1)
	s_or_b32 exec_lo, exec_lo, s8
	v_lshrrev_b16 v15, 8, v96
	s_mov_b32 s19, exec_lo
	v_cmpx_ne_u16_e32 0, v15
	s_cbranch_execz .LBB285_1499
; %bb.1492:                             ;   in Loop: Header=BB285_11 Depth=1
	v_dual_mov_b32 v161, s3 :: v_dual_mov_b32 v160, s2
	s_mov_b32 s20, exec_lo
	v_cmpx_ne_u16_e32 0x80, v15
	s_cbranch_execz .LBB285_1498
; %bb.1493:                             ;   in Loop: Header=BB285_11 Depth=1
	s_mov_b32 s8, s2
	v_and_b32_e32 v15, 0xffff, v15
	v_dual_mov_b32 v161, s9 :: v_dual_mov_b32 v160, s8
	s_mov_b32 s8, exec_lo
	s_delay_alu instid0(VALU_DEP_2) | instskip(NEXT) | instid1(VALU_DEP_1)
	v_and_b32_e32 v19, 0x7f, v15
	v_cmpx_ne_u32_e32 0x7f, v19
	s_cbranch_execz .LBB285_1497
; %bb.1494:                             ;   in Loop: Header=BB285_11 Depth=1
	v_and_b32_e32 v15, 7, v15
	v_lshrrev_b32_e32 v23, 3, v19
	v_cmp_gt_u32_e64 s1, 8, v19
	s_delay_alu instid0(VALU_DEP_3) | instskip(NEXT) | instid1(VALU_DEP_2)
	v_dual_mov_b32 v20, v16 :: v_dual_mov_b32 v19, v15
	s_and_saveexec_b32 s21, s1
; %bb.1495:                             ;   in Loop: Header=BB285_11 Depth=1
	v_clz_i32_u32_e32 v19, v15
	s_delay_alu instid0(VALU_DEP_1) | instskip(NEXT) | instid1(VALU_DEP_1)
	v_min_u32_e32 v23, 32, v19
	v_subrev_nc_u32_e32 v19, 28, v23
	v_sub_nc_u32_e32 v23, 29, v23
	s_delay_alu instid0(VALU_DEP_2) | instskip(NEXT) | instid1(VALU_DEP_1)
	v_lshlrev_b64 v[19:20], v19, v[15:16]
	v_and_b32_e32 v19, 7, v19
; %bb.1496:                             ;   in Loop: Header=BB285_11 Depth=1
	s_or_b32 exec_lo, exec_lo, s21
	v_dual_mov_b32 v160, v16 :: v_dual_lshlrev_b32 v15, 16, v96
	s_delay_alu instid0(VALU_DEP_2) | instskip(SKIP_1) | instid1(VALU_DEP_3)
	v_lshlrev_b32_e32 v19, 20, v19
	v_lshl_add_u32 v20, v23, 23, 0x3c000000
	v_and_b32_e32 v15, 0x80000000, v15
	s_delay_alu instid0(VALU_DEP_1)
	v_or3_b32 v161, v19, v15, v20
.LBB285_1497:                           ;   in Loop: Header=BB285_11 Depth=1
	s_or_b32 exec_lo, exec_lo, s8
.LBB285_1498:                           ;   in Loop: Header=BB285_11 Depth=1
	s_delay_alu instid0(SALU_CYCLE_1)
	s_or_b32 exec_lo, exec_lo, s20
.LBB285_1499:                           ;   in Loop: Header=BB285_11 Depth=1
	s_delay_alu instid0(SALU_CYCLE_1) | instskip(SKIP_3) | instid1(VALU_DEP_2)
	s_or_b32 exec_lo, exec_lo, s19
	v_lshrrev_b32_e32 v23, 16, v96
	v_mov_b32_e32 v176, 0
	v_mov_b32_e32 v177, 0
	;; [unrolled: 1-line block ×3, first 2 shown]
	s_mov_b32 s8, exec_lo
	s_delay_alu instid0(VALU_DEP_2) | instskip(NEXT) | instid1(VALU_DEP_1)
	v_dual_mov_b32 v20, v177 :: v_dual_and_b32 v15, 0xff, v23
	v_cmpx_ne_u16_e32 0, v15
	s_cbranch_execz .LBB285_1507
; %bb.1500:                             ;   in Loop: Header=BB285_11 Depth=1
	v_bfrev_b32_e32 v19, 1
	v_mov_b32_e32 v20, 0
	s_mov_b32 s19, exec_lo
	v_cmpx_ne_u16_e32 0x80, v15
	s_cbranch_execz .LBB285_1506
; %bb.1501:                             ;   in Loop: Header=BB285_11 Depth=1
	v_mov_b32_e32 v19, 0x7f800001
	v_bfe_u32 v97, v96, 16, 7
	v_mov_b32_e32 v20, 0
	s_mov_b32 s20, exec_lo
	s_delay_alu instid0(VALU_DEP_2)
	v_cmpx_ne_u32_e32 0x7f, v97
	s_cbranch_execz .LBB285_1505
; %bb.1502:                             ;   in Loop: Header=BB285_11 Depth=1
	v_and_b32_e32 v15, 7, v23
	v_lshrrev_b32_e32 v24, 3, v97
	v_mov_b32_e32 v20, v16
	s_mov_b32 s21, exec_lo
	s_delay_alu instid0(VALU_DEP_3)
	v_mov_b32_e32 v19, v15
	v_cmpx_gt_u32_e32 8, v97
; %bb.1503:                             ;   in Loop: Header=BB285_11 Depth=1
	v_clz_i32_u32_e32 v19, v15
	s_delay_alu instid0(VALU_DEP_1) | instskip(NEXT) | instid1(VALU_DEP_1)
	v_min_u32_e32 v24, 32, v19
	v_subrev_nc_u32_e32 v19, 28, v24
	v_sub_nc_u32_e32 v24, 29, v24
	s_delay_alu instid0(VALU_DEP_2) | instskip(NEXT) | instid1(VALU_DEP_1)
	v_lshlrev_b64 v[19:20], v19, v[15:16]
	v_and_b32_e32 v19, 7, v19
; %bb.1504:                             ;   in Loop: Header=BB285_11 Depth=1
	s_or_b32 exec_lo, exec_lo, s21
	v_lshlrev_b32_e32 v15, 24, v23
	s_delay_alu instid0(VALU_DEP_2) | instskip(SKIP_1) | instid1(VALU_DEP_3)
	v_lshlrev_b32_e32 v19, 20, v19
	v_lshl_add_u32 v20, v24, 23, 0x3c000000
	v_and_b32_e32 v15, 0x80000000, v15
	s_delay_alu instid0(VALU_DEP_1) | instskip(NEXT) | instid1(VALU_DEP_1)
	v_or3_b32 v15, v19, v15, v20
	v_dual_mov_b32 v20, v16 :: v_dual_mov_b32 v19, v15
.LBB285_1505:                           ;   in Loop: Header=BB285_11 Depth=1
	s_or_b32 exec_lo, exec_lo, s20
.LBB285_1506:                           ;   in Loop: Header=BB285_11 Depth=1
	s_delay_alu instid0(SALU_CYCLE_1)
	s_or_b32 exec_lo, exec_lo, s19
.LBB285_1507:                           ;   in Loop: Header=BB285_11 Depth=1
	s_delay_alu instid0(SALU_CYCLE_1) | instskip(NEXT) | instid1(SALU_CYCLE_1)
	s_or_b32 exec_lo, exec_lo, s8
	s_mov_b32 s19, exec_lo
	v_cmpx_lt_u32_e32 0xffffff, v96
	s_cbranch_execz .LBB285_1515
; %bb.1508:                             ;   in Loop: Header=BB285_11 Depth=1
	v_lshrrev_b32_e32 v23, 24, v96
	v_dual_mov_b32 v177, s3 :: v_dual_mov_b32 v176, s2
	s_mov_b32 s20, exec_lo
	s_delay_alu instid0(VALU_DEP_2)
	v_cmpx_ne_u32_e32 0x80, v23
	s_cbranch_execz .LBB285_1514
; %bb.1509:                             ;   in Loop: Header=BB285_11 Depth=1
	s_mov_b32 s8, s2
	v_bfe_u32 v96, v96, 24, 7
	v_dual_mov_b32 v177, s9 :: v_dual_mov_b32 v176, s8
	s_mov_b32 s8, exec_lo
	s_delay_alu instid0(VALU_DEP_2)
	v_cmpx_ne_u32_e32 0x7f, v96
	s_cbranch_execz .LBB285_1513
; %bb.1510:                             ;   in Loop: Header=BB285_11 Depth=1
	v_and_b32_e32 v15, 7, v23
	v_lshrrev_b32_e32 v24, 3, v96
	v_cmp_gt_u32_e64 s1, 8, v96
	s_delay_alu instid0(VALU_DEP_3) | instskip(NEXT) | instid1(VALU_DEP_2)
	v_dual_mov_b32 v97, v16 :: v_dual_mov_b32 v96, v15
	s_and_saveexec_b32 s21, s1
; %bb.1511:                             ;   in Loop: Header=BB285_11 Depth=1
	v_clz_i32_u32_e32 v24, v15
	s_delay_alu instid0(VALU_DEP_1) | instskip(NEXT) | instid1(VALU_DEP_1)
	v_min_u32_e32 v24, 32, v24
	v_subrev_nc_u32_e32 v96, 28, v24
	v_sub_nc_u32_e32 v24, 29, v24
	s_delay_alu instid0(VALU_DEP_2) | instskip(NEXT) | instid1(VALU_DEP_1)
	v_lshlrev_b64 v[96:97], v96, v[15:16]
	v_and_b32_e32 v96, 7, v96
; %bb.1512:                             ;   in Loop: Header=BB285_11 Depth=1
	s_or_b32 exec_lo, exec_lo, s21
	v_dual_mov_b32 v176, v16 :: v_dual_lshlrev_b32 v15, 24, v23
	s_delay_alu instid0(VALU_DEP_2) | instskip(SKIP_1) | instid1(VALU_DEP_3)
	v_lshlrev_b32_e32 v23, 20, v96
	v_lshl_add_u32 v24, v24, 23, 0x3c000000
	v_and_b32_e32 v15, 0x80000000, v15
	s_delay_alu instid0(VALU_DEP_1)
	v_or3_b32 v177, v23, v15, v24
.LBB285_1513:                           ;   in Loop: Header=BB285_11 Depth=1
	s_or_b32 exec_lo, exec_lo, s8
.LBB285_1514:                           ;   in Loop: Header=BB285_11 Depth=1
	s_delay_alu instid0(SALU_CYCLE_1)
	s_or_b32 exec_lo, exec_lo, s20
.LBB285_1515:                           ;   in Loop: Header=BB285_11 Depth=1
	s_delay_alu instid0(SALU_CYCLE_1) | instskip(SKIP_3) | instid1(VALU_DEP_2)
	s_or_b32 exec_lo, exec_lo, s19
	flat_load_b32 v23, v[102:103] offset:1548
	v_mov_b32_e32 v102, 0
	v_mov_b32_e32 v103, 0
	;; [unrolled: 1-line block ×3, first 2 shown]
	s_mov_b32 s8, exec_lo
	s_delay_alu instid0(VALU_DEP_2) | instskip(SKIP_2) | instid1(VALU_DEP_1)
	v_mov_b32_e32 v97, v103
	s_waitcnt vmcnt(0) lgkmcnt(0)
	v_and_b32_e32 v15, 0xff, v23
	v_cmpx_ne_u16_e32 0, v15
	s_cbranch_execz .LBB285_1523
; %bb.1516:                             ;   in Loop: Header=BB285_11 Depth=1
	v_bfrev_b32_e32 v96, 1
	v_mov_b32_e32 v97, 0
	s_mov_b32 s19, exec_lo
	v_cmpx_ne_u16_e32 0x80, v15
	s_cbranch_execz .LBB285_1522
; %bb.1517:                             ;   in Loop: Header=BB285_11 Depth=1
	v_mov_b32_e32 v96, 0x7f800001
	v_dual_mov_b32 v97, 0 :: v_dual_and_b32 v128, 0x7f, v23
	s_mov_b32 s20, exec_lo
	s_delay_alu instid0(VALU_DEP_1)
	v_cmpx_ne_u32_e32 0x7f, v128
	s_cbranch_execz .LBB285_1521
; %bb.1518:                             ;   in Loop: Header=BB285_11 Depth=1
	v_and_b32_e32 v15, 7, v23
	v_lshrrev_b32_e32 v24, 3, v128
	v_mov_b32_e32 v97, v16
	s_mov_b32 s21, exec_lo
	s_delay_alu instid0(VALU_DEP_3)
	v_mov_b32_e32 v96, v15
	v_cmpx_gt_u32_e32 8, v128
; %bb.1519:                             ;   in Loop: Header=BB285_11 Depth=1
	v_clz_i32_u32_e32 v24, v15
	s_delay_alu instid0(VALU_DEP_1) | instskip(NEXT) | instid1(VALU_DEP_1)
	v_min_u32_e32 v24, 32, v24
	v_subrev_nc_u32_e32 v96, 28, v24
	v_sub_nc_u32_e32 v24, 29, v24
	s_delay_alu instid0(VALU_DEP_2) | instskip(NEXT) | instid1(VALU_DEP_1)
	v_lshlrev_b64 v[96:97], v96, v[15:16]
	v_and_b32_e32 v96, 7, v96
; %bb.1520:                             ;   in Loop: Header=BB285_11 Depth=1
	s_or_b32 exec_lo, exec_lo, s21
	v_lshlrev_b32_e32 v15, 24, v23
	s_delay_alu instid0(VALU_DEP_2) | instskip(SKIP_1) | instid1(VALU_DEP_3)
	v_lshlrev_b32_e32 v96, 20, v96
	v_lshl_add_u32 v24, v24, 23, 0x3c000000
	v_and_b32_e32 v15, 0x80000000, v15
	s_delay_alu instid0(VALU_DEP_1) | instskip(NEXT) | instid1(VALU_DEP_1)
	v_or3_b32 v15, v96, v15, v24
	v_dual_mov_b32 v97, v16 :: v_dual_mov_b32 v96, v15
.LBB285_1521:                           ;   in Loop: Header=BB285_11 Depth=1
	s_or_b32 exec_lo, exec_lo, s20
.LBB285_1522:                           ;   in Loop: Header=BB285_11 Depth=1
	s_delay_alu instid0(SALU_CYCLE_1)
	s_or_b32 exec_lo, exec_lo, s19
.LBB285_1523:                           ;   in Loop: Header=BB285_11 Depth=1
	s_delay_alu instid0(SALU_CYCLE_1) | instskip(SKIP_2) | instid1(VALU_DEP_1)
	s_or_b32 exec_lo, exec_lo, s8
	v_lshrrev_b16 v15, 8, v23
	s_mov_b32 s19, exec_lo
	v_cmpx_ne_u16_e32 0, v15
	s_cbranch_execz .LBB285_1531
; %bb.1524:                             ;   in Loop: Header=BB285_11 Depth=1
	v_dual_mov_b32 v103, s3 :: v_dual_mov_b32 v102, s2
	s_mov_b32 s20, exec_lo
	v_cmpx_ne_u16_e32 0x80, v15
	s_cbranch_execz .LBB285_1530
; %bb.1525:                             ;   in Loop: Header=BB285_11 Depth=1
	s_mov_b32 s8, s2
	v_and_b32_e32 v15, 0xffff, v15
	v_dual_mov_b32 v103, s9 :: v_dual_mov_b32 v102, s8
	s_mov_b32 s8, exec_lo
	s_delay_alu instid0(VALU_DEP_2) | instskip(NEXT) | instid1(VALU_DEP_1)
	v_and_b32_e32 v128, 0x7f, v15
	v_cmpx_ne_u32_e32 0x7f, v128
	s_cbranch_execz .LBB285_1529
; %bb.1526:                             ;   in Loop: Header=BB285_11 Depth=1
	v_and_b32_e32 v15, 7, v15
	v_lshrrev_b32_e32 v24, 3, v128
	v_mov_b32_e32 v103, v16
	s_mov_b32 s21, exec_lo
	s_delay_alu instid0(VALU_DEP_3)
	v_mov_b32_e32 v102, v15
	v_cmpx_gt_u32_e32 8, v128
; %bb.1527:                             ;   in Loop: Header=BB285_11 Depth=1
	v_clz_i32_u32_e32 v24, v15
	s_delay_alu instid0(VALU_DEP_1) | instskip(NEXT) | instid1(VALU_DEP_1)
	v_min_u32_e32 v24, 32, v24
	v_subrev_nc_u32_e32 v102, 28, v24
	v_sub_nc_u32_e32 v24, 29, v24
	s_delay_alu instid0(VALU_DEP_2) | instskip(NEXT) | instid1(VALU_DEP_1)
	v_lshlrev_b64 v[102:103], v102, v[15:16]
	v_and_b32_e32 v102, 7, v102
; %bb.1528:                             ;   in Loop: Header=BB285_11 Depth=1
	s_or_b32 exec_lo, exec_lo, s21
	v_lshlrev_b32_e32 v15, 16, v23
	s_delay_alu instid0(VALU_DEP_2) | instskip(SKIP_1) | instid1(VALU_DEP_3)
	v_lshlrev_b32_e32 v102, 20, v102
	v_lshl_add_u32 v24, v24, 23, 0x3c000000
	v_and_b32_e32 v15, 0x80000000, v15
	s_delay_alu instid0(VALU_DEP_1)
	v_or3_b32 v103, v102, v15, v24
	v_mov_b32_e32 v102, v16
.LBB285_1529:                           ;   in Loop: Header=BB285_11 Depth=1
	s_or_b32 exec_lo, exec_lo, s8
.LBB285_1530:                           ;   in Loop: Header=BB285_11 Depth=1
	s_delay_alu instid0(SALU_CYCLE_1)
	s_or_b32 exec_lo, exec_lo, s20
.LBB285_1531:                           ;   in Loop: Header=BB285_11 Depth=1
	s_delay_alu instid0(SALU_CYCLE_1) | instskip(SKIP_3) | instid1(VALU_DEP_2)
	s_or_b32 exec_lo, exec_lo, s19
	v_lshrrev_b32_e32 v24, 16, v23
	v_mov_b32_e32 v168, 0
	v_mov_b32_e32 v169, 0
	;; [unrolled: 1-line block ×3, first 2 shown]
	s_mov_b32 s8, exec_lo
	v_and_b32_e32 v15, 0xff, v24
	s_delay_alu instid0(VALU_DEP_3) | instskip(NEXT) | instid1(VALU_DEP_2)
	v_mov_b32_e32 v129, v169
	v_cmpx_ne_u16_e32 0, v15
	s_cbranch_execz .LBB285_1539
; %bb.1532:                             ;   in Loop: Header=BB285_11 Depth=1
	v_bfrev_b32_e32 v128, 1
	v_mov_b32_e32 v129, 0
	s_mov_b32 s19, exec_lo
	v_cmpx_ne_u16_e32 0x80, v15
	s_cbranch_execz .LBB285_1538
; %bb.1533:                             ;   in Loop: Header=BB285_11 Depth=1
	v_mov_b32_e32 v128, 0x7f800001
	v_bfe_u32 v41, v23, 16, 7
	v_mov_b32_e32 v129, 0
	s_mov_b32 s20, exec_lo
	s_delay_alu instid0(VALU_DEP_2)
	v_cmpx_ne_u32_e32 0x7f, v41
	s_cbranch_execz .LBB285_1537
; %bb.1534:                             ;   in Loop: Header=BB285_11 Depth=1
	v_and_b32_e32 v15, 7, v24
	v_lshrrev_b32_e32 v40, 3, v41
	v_mov_b32_e32 v129, v16
	s_mov_b32 s21, exec_lo
	s_delay_alu instid0(VALU_DEP_3)
	v_mov_b32_e32 v128, v15
	v_cmpx_gt_u32_e32 8, v41
; %bb.1535:                             ;   in Loop: Header=BB285_11 Depth=1
	v_clz_i32_u32_e32 v128, v15
	s_delay_alu instid0(VALU_DEP_1) | instskip(NEXT) | instid1(VALU_DEP_1)
	v_min_u32_e32 v40, 32, v128
	v_subrev_nc_u32_e32 v128, 28, v40
	v_sub_nc_u32_e32 v40, 29, v40
	s_delay_alu instid0(VALU_DEP_2) | instskip(NEXT) | instid1(VALU_DEP_1)
	v_lshlrev_b64 v[128:129], v128, v[15:16]
	v_and_b32_e32 v128, 7, v128
; %bb.1536:                             ;   in Loop: Header=BB285_11 Depth=1
	s_or_b32 exec_lo, exec_lo, s21
	v_lshlrev_b32_e32 v15, 24, v24
	s_delay_alu instid0(VALU_DEP_2) | instskip(SKIP_1) | instid1(VALU_DEP_3)
	v_lshlrev_b32_e32 v24, 20, v128
	v_lshl_add_u32 v128, v40, 23, 0x3c000000
	v_and_b32_e32 v15, 0x80000000, v15
	s_delay_alu instid0(VALU_DEP_1) | instskip(NEXT) | instid1(VALU_DEP_1)
	v_or3_b32 v15, v24, v15, v128
	v_dual_mov_b32 v129, v16 :: v_dual_mov_b32 v128, v15
.LBB285_1537:                           ;   in Loop: Header=BB285_11 Depth=1
	s_or_b32 exec_lo, exec_lo, s20
.LBB285_1538:                           ;   in Loop: Header=BB285_11 Depth=1
	s_delay_alu instid0(SALU_CYCLE_1)
	s_or_b32 exec_lo, exec_lo, s19
.LBB285_1539:                           ;   in Loop: Header=BB285_11 Depth=1
	s_delay_alu instid0(SALU_CYCLE_1)
	s_or_b32 exec_lo, exec_lo, s8
	v_dual_mov_b32 v87, v71 :: v_dual_mov_b32 v86, v70
	v_dual_mov_b32 v70, v83 :: v_dual_mov_b32 v71, v84
	;; [unrolled: 1-line block ×6, first 2 shown]
	scratch_store_b32 off, v29, s32 offset:1176 ; 4-byte Folded Spill
	v_cmp_lt_u32_e64 s1, 0xffffff, v23
	s_mov_b32 s19, exec_lo
	v_mov_b32_e32 v83, v54
	v_mov_b32_e32 v48, v82
	;; [unrolled: 1-line block ×3, first 2 shown]
	s_and_b32 s1, s19, s1
	s_delay_alu instid0(SALU_CYCLE_1)
	s_mov_b32 exec_lo, s1
	s_cbranch_execz .LBB285_10
; %bb.1540:                             ;   in Loop: Header=BB285_11 Depth=1
	v_lshrrev_b32_e32 v24, 24, v23
	v_dual_mov_b32 v169, s3 :: v_dual_mov_b32 v168, s2
	s_mov_b32 s20, exec_lo
	s_delay_alu instid0(VALU_DEP_2)
	v_cmpx_ne_u32_e32 0x80, v24
	s_cbranch_execz .LBB285_9
; %bb.1541:                             ;   in Loop: Header=BB285_11 Depth=1
	s_mov_b32 s8, s2
	v_bfe_u32 v40, v23, 24, 7
	v_dual_mov_b32 v169, s9 :: v_dual_mov_b32 v168, s8
	s_mov_b32 s8, exec_lo
	s_delay_alu instid0(VALU_DEP_2)
	v_cmpx_ne_u32_e32 0x7f, v40
	s_cbranch_execz .LBB285_8
; %bb.1542:                             ;   in Loop: Header=BB285_11 Depth=1
	v_and_b32_e32 v15, 7, v24
	v_lshrrev_b32_e32 v23, 3, v40
	v_mov_b32_e32 v169, v16
	s_mov_b32 s21, exec_lo
	s_delay_alu instid0(VALU_DEP_3)
	v_mov_b32_e32 v168, v15
	v_cmpx_gt_u32_e32 8, v40
	s_cbranch_execz .LBB285_7
; %bb.1543:                             ;   in Loop: Header=BB285_11 Depth=1
	v_clz_i32_u32_e32 v23, v15
	s_delay_alu instid0(VALU_DEP_1) | instskip(NEXT) | instid1(VALU_DEP_1)
	v_min_u32_e32 v23, 32, v23
	v_subrev_nc_u32_e32 v40, 28, v23
	v_sub_nc_u32_e32 v23, 29, v23
	s_delay_alu instid0(VALU_DEP_2) | instskip(NEXT) | instid1(VALU_DEP_1)
	v_lshlrev_b64 v[40:41], v40, v[15:16]
	v_and_b32_e32 v168, 7, v40
	s_branch .LBB285_7
.LBB285_1544:
	s_or_b32 exec_lo, exec_lo, s11
	s_clause 0x3
	scratch_load_b32 v12, off, s32 offset:2260
	scratch_load_b32 v13, off, s32 offset:2264
	;; [unrolled: 1-line block ×4, first 2 shown]
.LBB285_1545:
	s_or_b32 exec_lo, exec_lo, s18
	v_mbcnt_lo_u32_b32 v0, -1, 0
	s_lshr_b32 s8, s15, 16
	s_delay_alu instid0(VALU_DEP_1) | instskip(SKIP_2) | instid1(VALU_DEP_3)
	v_xor_b32_e32 v1, 16, v0
	v_xor_b32_e32 v3, 8, v0
	;; [unrolled: 1-line block ×3, first 2 shown]
	v_cmp_gt_i32_e32 vcc_lo, 32, v1
	v_cndmask_b32_e32 v1, v0, v1, vcc_lo
	s_delay_alu instid0(VALU_DEP_4) | instskip(NEXT) | instid1(VALU_DEP_2)
	v_cmp_gt_i32_e32 vcc_lo, 32, v3
	v_dual_cndmask_b32 v3, v0, v3 :: v_dual_lshlrev_b32 v2, 2, v1
	v_max_f32_e32 v4, v29, v29
	v_cmp_gt_i32_e32 vcc_lo, 32, v5
	ds_bpermute_b32 v1, v2, v29
	v_lshlrev_b32_e32 v3, 2, v3
	v_cndmask_b32_e32 v5, v0, v5, vcc_lo
	s_delay_alu instid0(VALU_DEP_1) | instskip(SKIP_1) | instid1(VALU_DEP_1)
	v_lshlrev_b32_e32 v115, 2, v5
	v_xor_b32_e32 v5, 2, v0
	v_cmp_gt_i32_e32 vcc_lo, 32, v5
	v_cndmask_b32_e32 v5, v0, v5, vcc_lo
	s_waitcnt lgkmcnt(0)
	v_max_f32_e32 v1, v1, v1
	s_delay_alu instid0(VALU_DEP_2) | instskip(NEXT) | instid1(VALU_DEP_2)
	v_lshlrev_b32_e32 v11, 2, v5
	v_max_f32_e32 v1, v4, v1
	v_xor_b32_e32 v5, 1, v0
	ds_bpermute_b32 v4, v3, v1
	v_cmp_gt_i32_e32 vcc_lo, 32, v5
	v_cndmask_b32_e32 v5, v0, v5, vcc_lo
	s_delay_alu instid0(VALU_DEP_1) | instskip(SKIP_2) | instid1(VALU_DEP_1)
	v_lshlrev_b32_e32 v10, 2, v5
	s_waitcnt lgkmcnt(0)
	v_max_f32_e32 v4, v4, v4
	v_max_f32_e32 v1, v1, v4
	ds_bpermute_b32 v4, v115, v1
	s_waitcnt lgkmcnt(0)
	v_max_f32_e32 v4, v4, v4
	s_delay_alu instid0(VALU_DEP_1) | instskip(SKIP_3) | instid1(VALU_DEP_1)
	v_max_f32_e32 v1, v1, v4
	ds_bpermute_b32 v4, v11, v1
	s_waitcnt lgkmcnt(0)
	v_max_f32_e32 v4, v4, v4
	v_max_f32_e32 v0, v1, v4
	scratch_load_b32 v4, off, s32 offset:2196 ; 4-byte Folded Reload
	ds_bpermute_b32 v1, v10, v0
	s_waitcnt vmcnt(0)
	v_cmp_eq_u32_e32 vcc_lo, 0, v4
	scratch_load_b32 v4, off, s32 offset:2200 ; 4-byte Folded Reload
	s_waitcnt vmcnt(0)
	v_lshlrev_b32_e32 v4, 2, v4
	s_mov_b32 s1, exec_lo
	scratch_load_b32 v9, off, s32 offset:2192 ; 4-byte Folded Reload
	s_and_b32 s2, s1, vcc_lo
	s_delay_alu instid0(SALU_CYCLE_1)
	s_mov_b32 exec_lo, s2
	s_cbranch_execz .LBB285_1547
; %bb.1546:
	s_waitcnt lgkmcnt(0)
	v_dual_max_f32 v1, v1, v1 :: v_dual_max_f32 v0, v0, v0
	s_delay_alu instid0(VALU_DEP_1)
	v_max_f32_e32 v0, v0, v1
	ds_store_b32 v4, v0 offset:768
.LBB285_1547:
	s_or_b32 exec_lo, exec_lo, s1
	scratch_load_b32 v0, off, s32 offset:2196 ; 4-byte Folded Reload
	s_waitcnt vmcnt(0) lgkmcnt(0)
	s_waitcnt_vscnt null, 0x0
	s_barrier
	buffer_gl0_inv
	v_cmp_gt_u32_e64 s1, 4, v0
	v_mov_b32_e32 v0, 0xff7fffff
	s_delay_alu instid0(VALU_DEP_2)
	s_and_saveexec_b32 s2, s1
	s_cbranch_execz .LBB285_1549
; %bb.1548:
	ds_load_b32 v0, v15 offset:768
.LBB285_1549:
	s_or_b32 exec_lo, exec_lo, s2
	scratch_load_b32 v5, off, s32 offset:1164 ; 4-byte Folded Reload
	s_waitcnt lgkmcnt(0)
	ds_bpermute_b32 v1, v11, v0
	s_waitcnt lgkmcnt(0)
	v_dual_max_f32 v0, v0, v0 :: v_dual_max_f32 v1, v1, v1
	s_delay_alu instid0(VALU_DEP_1)
	v_max_f32_e32 v0, v0, v1
	s_waitcnt vmcnt(0)
	v_subrev_nc_u32_e32 v6, s13, v5
	v_mov_b32_e32 v5, 0
	ds_bpermute_b32 v1, v10, v0
	s_waitcnt lgkmcnt(0)
	v_max_f32_e32 v1, v1, v1
	s_delay_alu instid0(VALU_DEP_1) | instskip(SKIP_3) | instid1(VALU_DEP_1)
	v_max_f32_e32 v0, v0, v1
	v_lshl_add_u32 v1, v6, 5, s17
	ds_bpermute_b32 v0, v5, v0
	v_min_i32_e32 v1, v1, v55
	v_subrev_nc_u32_e32 v1, s17, v1
	s_delay_alu instid0(VALU_DEP_1) | instskip(NEXT) | instid1(VALU_DEP_1)
	v_cmp_lt_i32_e64 s2, v9, v1
	s_and_saveexec_b32 s9, s2
	s_cbranch_execz .LBB285_1553
; %bb.1550:
	s_getpc_b64 s[18:19]
	s_add_u32 s18, s18, llvm.amdgcn.dynlds.offset.table@rel32@lo+4
	s_addc_u32 s19, s19, llvm.amdgcn.dynlds.offset.table@rel32@hi+12
	s_ashr_i32 s11, s10, 31
	v_mov_b32_e32 v5, 0
	s_lshl_b64 s[20:21], s[10:11], 2
	v_mov_b32_e32 v7, v9
	s_add_u32 s18, s20, s18
	s_addc_u32 s19, s21, s19
	s_mov_b32 s11, 0
	s_load_b32 s3, s[18:19], 0x0
	s_waitcnt lgkmcnt(0)
	v_lshl_add_u32 v6, v9, 2, s3
	.p2align	6
.LBB285_1551:                           ; =>This Inner Loop Header: Depth=1
	ds_load_b32 v8, v6
	v_add_nc_u32_e32 v7, 0x80, v7
	s_delay_alu instid0(VALU_DEP_1) | instskip(NEXT) | instid1(VALU_DEP_1)
	v_cmp_ge_i32_e64 s3, v7, v1
	s_or_b32 s11, s3, s11
	s_waitcnt lgkmcnt(0)
	v_sub_f32_e32 v8, v8, v0
	s_delay_alu instid0(VALU_DEP_1) | instskip(NEXT) | instid1(VALU_DEP_1)
	v_mul_f32_e32 v8, 0x3fb8aa3b, v8
	v_exp_f32_e32 v8, v8
	ds_store_b32 v6, v8
	v_dual_add_f32 v5, v5, v8 :: v_dual_add_nc_u32 v6, 0x200, v6
	s_and_not1_b32 exec_lo, exec_lo, s11
	s_cbranch_execnz .LBB285_1551
; %bb.1552:
	s_or_b32 exec_lo, exec_lo, s11
.LBB285_1553:
	s_delay_alu instid0(SALU_CYCLE_1)
	s_or_b32 exec_lo, exec_lo, s9
	ds_bpermute_b32 v2, v2, v5
	s_waitcnt lgkmcnt(0)
	v_add_f32_e32 v2, v5, v2
	ds_bpermute_b32 v3, v3, v2
	s_waitcnt lgkmcnt(0)
	v_add_f32_e32 v2, v2, v3
	;; [unrolled: 3-line block ×5, first 2 shown]
	s_and_saveexec_b32 s3, vcc_lo
	s_cbranch_execz .LBB285_1555
; %bb.1554:
	ds_store_b32 v4, v2 offset:784
.LBB285_1555:
	s_or_b32 exec_lo, exec_lo, s3
	s_waitcnt lgkmcnt(0)
	s_barrier
	buffer_gl0_inv
	s_and_saveexec_b32 s3, s1
	s_cbranch_execz .LBB285_1557
; %bb.1556:
	ds_load_b32 v2, v15 offset:784
.LBB285_1557:
	s_or_b32 exec_lo, exec_lo, s3
	s_waitcnt lgkmcnt(0)
	ds_bpermute_b32 v3, v11, v2
	s_waitcnt lgkmcnt(0)
	v_add_f32_e32 v2, v2, v3
	ds_bpermute_b32 v3, v10, v2
	s_waitcnt lgkmcnt(0)
	v_dual_add_f32 v2, v2, v3 :: v_dual_mov_b32 v3, 0
	ds_bpermute_b32 v2, v3, v2
	s_and_saveexec_b32 s1, s2
	s_cbranch_execz .LBB285_1560
; %bb.1558:
	s_waitcnt lgkmcnt(0)
	v_add_f32_e32 v4, 0x358637bd, v2
	s_getpc_b64 s[2:3]
	s_add_u32 s2, s2, llvm.amdgcn.dynlds.offset.table@rel32@lo+4
	s_addc_u32 s3, s3, llvm.amdgcn.dynlds.offset.table@rel32@hi+12
	s_ashr_i32 s11, s10, 31
	s_delay_alu instid0(SALU_CYCLE_1) | instskip(SKIP_4) | instid1(VALU_DEP_1)
	s_lshl_b64 s[18:19], s[10:11], 2
	v_div_scale_f32 v3, null, v4, v4, 1.0
	s_add_u32 s2, s18, s2
	s_addc_u32 s3, s19, s3
	s_load_b32 s2, s[2:3], 0x0
	v_rcp_f32_e32 v5, v3
	s_waitcnt_depctr 0xfff
	v_fma_f32 v6, -v3, v5, 1.0
	s_delay_alu instid0(VALU_DEP_1) | instskip(SKIP_1) | instid1(VALU_DEP_1)
	v_fmac_f32_e32 v5, v6, v5
	v_div_scale_f32 v7, vcc_lo, 1.0, v4, 1.0
	v_mul_f32_e32 v6, v7, v5
	s_delay_alu instid0(VALU_DEP_1) | instskip(NEXT) | instid1(VALU_DEP_1)
	v_fma_f32 v8, -v3, v6, v7
	v_fmac_f32_e32 v6, v8, v5
	s_delay_alu instid0(VALU_DEP_1) | instskip(NEXT) | instid1(VALU_DEP_1)
	v_fma_f32 v3, -v3, v6, v7
	v_div_fmas_f32 v5, v3, v5, v6
	s_waitcnt lgkmcnt(0)
	v_lshl_add_u32 v3, v9, 2, s2
	s_mov_b32 s2, 0
	s_delay_alu instid0(VALU_DEP_2)
	v_div_fixup_f32 v4, v5, v4, 1.0
	v_mov_b32_e32 v5, v9
.LBB285_1559:                           ; =>This Inner Loop Header: Depth=1
	ds_load_b32 v6, v3
	s_waitcnt lgkmcnt(0)
	v_dual_mul_f32 v6, v4, v6 :: v_dual_add_nc_u32 v5, 0x80, v5
	s_delay_alu instid0(VALU_DEP_1) | instskip(SKIP_3) | instid1(SALU_CYCLE_1)
	v_cmp_ge_i32_e32 vcc_lo, v5, v1
	ds_store_b32 v3, v6
	v_add_nc_u32_e32 v3, 0x200, v3
	s_or_b32 s2, vcc_lo, s2
	s_and_not1_b32 exec_lo, exec_lo, s2
	s_cbranch_execnz .LBB285_1559
.LBB285_1560:
	s_or_b32 exec_lo, exec_lo, s1
	v_cmp_ne_u16_e64 s1, s8, 0
	v_cmp_eq_u32_e32 vcc_lo, 0, v9
	s_waitcnt lgkmcnt(0)
	s_barrier
	buffer_gl0_inv
	s_cmp_lg_u32 s1, 0
	s_addc_u32 s7, s7, 0
	s_mov_b32 s1, exec_lo
	scratch_load_b32 v1, off, s32 offset:2244 ; 4-byte Folded Reload
	s_and_b32 s2, s1, vcc_lo
	s_delay_alu instid0(SALU_CYCLE_1)
	s_mov_b32 exec_lo, s2
	s_cbranch_execz .LBB285_1562
; %bb.1561:
	scratch_load_b32 v3, off, s32 offset:2256 ; 4-byte Folded Reload
	s_mul_i32 s3, s7, s4
	s_mul_i32 s2, s7, s12
	;; [unrolled: 1-line block ×3, first 2 shown]
	s_ashr_i32 s3, s2, 31
	s_ashr_i32 s15, s14, 31
	;; [unrolled: 1-line block ×3, first 2 shown]
	s_lshl_b64 s[2:3], s[2:3], 2
	s_lshl_b64 s[12:13], s[14:15], 2
	;; [unrolled: 1-line block ×3, first 2 shown]
	s_add_u32 s2, s12, s2
	s_addc_u32 s3, s13, s3
	s_add_u32 s2, s2, s8
	s_addc_u32 s3, s3, s9
	s_waitcnt vmcnt(0)
	v_add_co_u32 v3, vcc_lo, s2, v3
	v_add_co_ci_u32_e32 v4, vcc_lo, s3, v1, vcc_lo
	scratch_load_b32 v1, off, s32 offset:2252 ; 4-byte Folded Reload
	s_waitcnt vmcnt(0)
	v_add_co_u32 v5, vcc_lo, s2, v1
	scratch_load_b32 v1, off, s32 offset:2248 ; 4-byte Folded Reload
	s_waitcnt vmcnt(0)
	v_add_co_ci_u32_e32 v6, vcc_lo, s3, v1, vcc_lo
	flat_store_b32 v[3:4], v0
	flat_store_b32 v[5:6], v2
.LBB285_1562:
	s_or_b32 exec_lo, exec_lo, s1
                                        ; implicit-def: $sgpr1
	s_and_saveexec_b32 s2, s0
	s_delay_alu instid0(SALU_CYCLE_1)
	s_xor_b32 s0, exec_lo, s2
	s_cbranch_execz .LBB285_1564
; %bb.1563:
                                        ; implicit-def: $vgpr0
                                        ; kill: killed $vgpr0
	s_ashr_i32 s11, s10, 31
                                        ; implicit-def: $vgpr0
	s_waitcnt vmcnt(0)
	scratch_store_b64 off, v[0:1], s32 offset:320 ; 8-byte Folded Spill
                                        ; implicit-def: $vgpr0
                                        ; kill: killed $vgpr0
	s_mov_b32 s1, 0
                                        ; implicit-def: $vgpr0
                                        ; kill: killed $vgpr0
                                        ; implicit-def: $vgpr55
                                        ; implicit-def: $vgpr12
                                        ; implicit-def: $vgpr13
                                        ; implicit-def: $vgpr14
                                        ; implicit-def: $vgpr0
                                        ; kill: killed $vgpr0
                                        ; implicit-def: $vgpr0
                                        ; kill: killed $vgpr0
	;; [unrolled: 2-line block ×3, first 2 shown]
                                        ; implicit-def: $vgpr0_vgpr1
                                        ; kill: killed $vgpr0_vgpr1
                                        ; implicit-def: $vgpr0_vgpr1
                                        ; kill: killed $vgpr0_vgpr1
.LBB285_1564:
	s_or_saveexec_b32 s12, s0
	s_waitcnt vmcnt(0)
	v_dual_mov_b32 v103, s1 :: v_dual_mov_b32 v0, s10
	v_dual_mov_b32 v1, s11 :: v_dual_and_b32 v2, 7, v9
	v_dual_mov_b32 v99, s1 :: v_dual_mov_b32 v112, s1
	v_dual_mov_b32 v113, s1 :: v_dual_mov_b32 v102, s1
	v_dual_mov_b32 v101, s1 :: v_dual_mov_b32 v100, s1
	v_dual_mov_b32 v82, s1 :: v_dual_mov_b32 v87, s1
	v_dual_mov_b32 v97, s1 :: v_dual_mov_b32 v96, s1
	v_dual_mov_b32 v86, s1 :: v_dual_mov_b32 v29, s1
	v_dual_mov_b32 v85, s1 :: v_dual_mov_b32 v84, s1
	v_dual_mov_b32 v83, s1 :: v_dual_mov_b32 v80, s1
	v_dual_mov_b32 v71, s1 :: v_dual_mov_b32 v70, s1
	v_dual_mov_b32 v81, s1 :: v_dual_mov_b32 v98, s1
	v_dual_mov_b32 v69, s1 :: v_dual_mov_b32 v68, s1
	v_dual_mov_b32 v67, s1 :: v_dual_mov_b32 v66, s1
	v_dual_mov_b32 v65, s1 :: v_dual_mov_b32 v64, s1
	v_dual_mov_b32 v157, s1 :: v_dual_mov_b32 v114, s1
	v_dual_mov_b32 v53, s1 :: v_dual_mov_b32 v52, s1
	v_dual_mov_b32 v51, s1 :: v_dual_mov_b32 v50, s1
	v_dual_mov_b32 v49, s1 :: v_dual_mov_b32 v48, s1
	v_dual_mov_b32 v39, s1 :: v_dual_mov_b32 v38, s1
	v_dual_mov_b32 v37, s1 :: v_dual_mov_b32 v36, s1
	v_dual_mov_b32 v35, s1 :: v_dual_mov_b32 v34, s1
	v_dual_mov_b32 v33, s1 :: v_dual_mov_b32 v32, s1
	v_dual_mov_b32 v31, s1 :: v_dual_mov_b32 v30, s1
	v_dual_mov_b32 v28, s1 :: v_dual_mov_b32 v27, s1
	v_mov_b32_e32 v26, s1
	s_clause 0x2
	scratch_store_b32 off, v11, s32 offset:1080
	scratch_store_b32 off, v10, s32 offset:1072
	;; [unrolled: 1-line block ×3, first 2 shown]
	s_xor_b32 exec_lo, exec_lo, s12
	s_cbranch_execz .LBB285_3200
; %bb.1565:
	s_clause 0x2
	scratch_load_b64 v[0:1], off, s32 offset:2212
	scratch_load_b32 v6, off, s32 offset:2200
	scratch_load_b32 v4, off, s32 offset:1064
	scratch_store_b32 off, v115, s32 offset:1088 ; 4-byte Folded Spill
	v_dual_mov_b32 v9, 0 :: v_dual_lshlrev_b32 v2, 2, v9
	scratch_load_b64 v[10:11], off, s32 offset:2236 ; 8-byte Folded Reload
	v_dual_mov_b32 v27, 0 :: v_dual_mov_b32 v102, 0
	v_dual_mov_b32 v112, 0 :: v_dual_and_b32 v5, 28, v2
	v_and_b32_e32 v7, 0x7c, v2
	v_or_b32_e32 v2, 0xf80, v2
	s_ashr_i32 s11, s10, 31
	s_getpc_b64 s[0:1]
	s_add_u32 s0, s0, llvm.amdgcn.dynlds.offset.table@rel32@lo+4
	s_addc_u32 s1, s1, llvm.amdgcn.dynlds.offset.table@rel32@hi+12
	s_lshl_b64 s[2:3], s[10:11], 2
	v_dual_mov_b32 v26, 0 :: v_dual_mov_b32 v33, 0
	scratch_store_b32 off, v2, s32 offset:920 ; 4-byte Folded Spill
	s_add_u32 s0, s2, s0
	s_addc_u32 s1, s3, s1
	v_dual_mov_b32 v28, 0 :: v_dual_mov_b32 v35, 0
	s_load_b32 s0, s[0:1], 0x0
	v_dual_mov_b32 v30, 0 :: v_dual_mov_b32 v37, 0
	v_dual_mov_b32 v32, 0 :: v_dual_mov_b32 v39, 0
	;; [unrolled: 1-line block ×20, first 2 shown]
	s_mov_b32 s2, 0
	s_brev_b32 s3, 1
	s_mov_b32 s9, 0x7f800001
	s_mov_b32 s1, s2
	v_mov_b32_e32 v31, 0
	s_waitcnt vmcnt(3)
	flat_load_b32 v115, v[0:1]
	scratch_load_b32 v0, off, s32 offset:2224 ; 4-byte Folded Reload
	s_waitcnt vmcnt(3)
	v_lshlrev_b32_e32 v4, 4, v4
	v_lshl_add_u32 v3, v6, 5, s17
	s_delay_alu instid0(VALU_DEP_2) | instskip(SKIP_1) | instid1(VALU_DEP_3)
	v_lshl_or_b32 v2, v6, 7, v4
	v_or_b32_e32 v4, 0x1000, v7
	v_add3_u32 v151, v3, v5, 3
	s_waitcnt lgkmcnt(0)
	s_delay_alu instid0(VALU_DEP_3)
	v_add_nc_u32_e32 v160, s0, v2
	scratch_store_b32 off, v4, s32 offset:928 ; 4-byte Folded Spill
	v_or_b32_e32 v4, 0x1080, v7
	scratch_store_b32 off, v4, s32 offset:936 ; 4-byte Folded Spill
	v_or_b32_e32 v4, 0x1100, v7
	;; [unrolled: 2-line block ×14, first 2 shown]
	s_waitcnt vmcnt(1)
	v_mov_b32_e32 v161, v115
	s_waitcnt vmcnt(0)
	v_add_co_u32 v155, vcc_lo, v0, v13
	scratch_load_b32 v0, off, s32 offset:2220 ; 4-byte Folded Reload
	s_waitcnt vmcnt(0)
	v_add_co_ci_u32_e32 v156, vcc_lo, v0, v14, vcc_lo
	v_add_nc_u32_e32 v0, -1, v12
	scratch_store_b32 off, v0, s32 offset:904 ; 4-byte Folded Spill
	scratch_load_b64 v[0:1], off, s32 offset:320 ; 8-byte Folded Reload
	s_clause 0x1
	scratch_store_b32 off, v4, s32 offset:1040
	scratch_store_b32 off, v7, s32 offset:912
	v_or_b32_e32 v4, 0x1780, v7
	scratch_load_b32 v3, off, s32 offset:2208 ; 4-byte Folded Reload
	s_clause 0x1
	scratch_store_b64 off, v[155:156], s32 offset:1056
	scratch_store_b32 off, v4, s32 offset:1048
	s_waitcnt vmcnt(1)
	v_lshlrev_b64 v[0:1], 2, v[0:1]
	s_delay_alu instid0(VALU_DEP_1) | instskip(NEXT) | instid1(VALU_DEP_2)
	v_add_co_u32 v0, vcc_lo, v10, v0
	v_add_co_ci_u32_e32 v1, vcc_lo, v11, v1, vcc_lo
	s_waitcnt vmcnt(0)
	s_delay_alu instid0(VALU_DEP_2)
	v_add_co_u32 v10, vcc_lo, v3, v0
	scratch_load_b32 v0, off, s32 offset:2204 ; 4-byte Folded Reload
	s_waitcnt vmcnt(0)
	v_add_co_ci_u32_e32 v11, vcc_lo, v0, v1, vcc_lo
	s_branch .LBB285_1567
.LBB285_1566:                           ;   in Loop: Header=BB285_1567 Depth=1
	s_or_b32 exec_lo, exec_lo, s0
	v_mul_f32_e32 v13, v1, v143
	v_add_co_u32 v10, vcc_lo, v10, 16
	v_add_co_ci_u32_e32 v11, vcc_lo, 0, v11, vcc_lo
	s_delay_alu instid0(VALU_DEP_3) | instskip(SKIP_1) | instid1(VALU_DEP_2)
	v_dual_fmac_f32 v13, v0, v19 :: v_dual_add_nc_u32 v160, 0x200, v160
	v_add_nc_u32_e32 v151, 0x80, v151
	v_fmac_f32_e32 v13, v2, v152
	s_delay_alu instid0(VALU_DEP_1) | instskip(NEXT) | instid1(VALU_DEP_1)
	v_fmac_f32_e32 v13, v3, v18
	v_add_f32_e32 v27, v27, v13
	v_mul_f32_e32 v13, v1, v141
	s_delay_alu instid0(VALU_DEP_1) | instskip(NEXT) | instid1(VALU_DEP_1)
	v_fmac_f32_e32 v13, v0, v140
	v_fmac_f32_e32 v13, v2, v142
	s_delay_alu instid0(VALU_DEP_1) | instskip(NEXT) | instid1(VALU_DEP_1)
	v_fmac_f32_e32 v13, v3, v139
	v_dual_add_f32 v28, v28, v13 :: v_dual_mul_f32 v13, v1, v138
	s_delay_alu instid0(VALU_DEP_1) | instskip(NEXT) | instid1(VALU_DEP_1)
	v_fmac_f32_e32 v13, v0, v137
	v_fmac_f32_e32 v13, v2, v136
	s_delay_alu instid0(VALU_DEP_1) | instskip(NEXT) | instid1(VALU_DEP_1)
	v_fmac_f32_e32 v13, v3, v127
	v_add_f32_e32 v30, v30, v13
	v_mul_f32_e32 v13, v1, v125
	s_delay_alu instid0(VALU_DEP_1) | instskip(NEXT) | instid1(VALU_DEP_1)
	v_fmac_f32_e32 v13, v0, v124
	v_fmac_f32_e32 v13, v2, v126
	s_delay_alu instid0(VALU_DEP_1) | instskip(NEXT) | instid1(VALU_DEP_1)
	v_fmac_f32_e32 v13, v3, v123
	v_add_f32_e32 v31, v31, v13
	v_mul_f32_e32 v13, v1, v121
	;; [unrolled: 7-line block ×4, first 2 shown]
	s_delay_alu instid0(VALU_DEP_1) | instskip(NEXT) | instid1(VALU_DEP_1)
	v_fmac_f32_e32 v13, v0, v104
	v_fmac_f32_e32 v13, v2, v106
	s_delay_alu instid0(VALU_DEP_1) | instskip(NEXT) | instid1(VALU_DEP_1)
	v_fmac_f32_e32 v13, v3, v95
	v_dual_add_f32 v34, v34, v13 :: v_dual_mul_f32 v13, v1, v94
	s_delay_alu instid0(VALU_DEP_1) | instskip(NEXT) | instid1(VALU_DEP_1)
	v_fmac_f32_e32 v13, v0, v93
	v_fmac_f32_e32 v13, v2, v92
	s_delay_alu instid0(VALU_DEP_1) | instskip(NEXT) | instid1(VALU_DEP_1)
	v_fmac_f32_e32 v13, v3, v91
	v_add_f32_e32 v35, v35, v13
	v_mul_f32_e32 v13, v1, v90
	s_delay_alu instid0(VALU_DEP_1) | instskip(NEXT) | instid1(VALU_DEP_1)
	v_fmac_f32_e32 v13, v0, v89
	v_fmac_f32_e32 v13, v2, v88
	s_delay_alu instid0(VALU_DEP_1) | instskip(NEXT) | instid1(VALU_DEP_1)
	v_fmac_f32_e32 v13, v3, v79
	v_add_f32_e32 v36, v36, v13
	v_mul_f32_e32 v13, v1, v77
	;; [unrolled: 7-line block ×5, first 2 shown]
	s_delay_alu instid0(VALU_DEP_1) | instskip(NEXT) | instid1(VALU_DEP_1)
	v_fmac_f32_e32 v13, v0, v57
	v_fmac_f32_e32 v13, v2, v56
	s_delay_alu instid0(VALU_DEP_1) | instskip(NEXT) | instid1(VALU_DEP_1)
	v_fmac_f32_e32 v13, v3, v47
	v_dual_add_f32 v48, v48, v13 :: v_dual_mul_f32 v13, v1, v46
	s_delay_alu instid0(VALU_DEP_1) | instskip(NEXT) | instid1(VALU_DEP_1)
	v_fmac_f32_e32 v13, v0, v45
	v_fmac_f32_e32 v13, v2, v44
	s_delay_alu instid0(VALU_DEP_1) | instskip(NEXT) | instid1(VALU_DEP_1)
	v_fmac_f32_e32 v13, v3, v43
	v_add_f32_e32 v49, v49, v13
	v_mul_f32_e32 v13, v1, v41
	s_delay_alu instid0(VALU_DEP_1) | instskip(NEXT) | instid1(VALU_DEP_1)
	v_fmac_f32_e32 v13, v0, v181
	v_fmac_f32_e32 v13, v2, v42
	s_delay_alu instid0(VALU_DEP_1) | instskip(NEXT) | instid1(VALU_DEP_1)
	v_fmac_f32_e32 v13, v3, v180
	v_dual_add_f32 v50, v50, v13 :: v_dual_mul_f32 v13, v1, v178
	s_delay_alu instid0(VALU_DEP_1) | instskip(NEXT) | instid1(VALU_DEP_1)
	v_fmac_f32_e32 v13, v0, v177
	v_fmac_f32_e32 v13, v2, v179
	s_delay_alu instid0(VALU_DEP_1) | instskip(NEXT) | instid1(VALU_DEP_1)
	v_fmac_f32_e32 v13, v3, v176
	v_add_f32_e32 v51, v51, v13
	v_mul_f32_e32 v13, v1, v166
	;; [unrolled: 13-line block ×3, first 2 shown]
	s_delay_alu instid0(VALU_DEP_1) | instskip(NEXT) | instid1(VALU_DEP_1)
	v_fmac_f32_e32 v13, v0, v22
	v_fmac_f32_e32 v13, v2, v24
	s_delay_alu instid0(VALU_DEP_1) | instskip(SKIP_1) | instid1(VALU_DEP_1)
	v_fmac_f32_e32 v13, v3, v7
	v_mul_f32_e32 v7, v1, v117
	v_fmac_f32_e32 v7, v0, v150
	s_delay_alu instid0(VALU_DEP_1) | instskip(NEXT) | instid1(VALU_DEP_1)
	v_dual_fmac_f32 v7, v2, v6 :: v_dual_mul_f32 v6, v1, v147
	v_dual_fmac_f32 v7, v3, v149 :: v_dual_fmac_f32 v6, v0, v146
	s_delay_alu instid0(VALU_DEP_1) | instskip(SKIP_2) | instid1(VALU_DEP_1)
	v_dual_add_f32 v157, v157, v7 :: v_dual_fmac_f32 v6, v2, v148
	scratch_load_b32 v7, off, s32 offset:880 ; 4-byte Folded Reload
	v_fmac_f32_e32 v6, v3, v145
	v_add_f32_e32 v64, v64, v6
	v_mul_f32_e32 v6, v1, v135
	s_delay_alu instid0(VALU_DEP_1) | instskip(NEXT) | instid1(VALU_DEP_1)
	v_fmac_f32_e32 v6, v0, v134
	v_fmac_f32_e32 v6, v2, v144
	s_delay_alu instid0(VALU_DEP_1) | instskip(NEXT) | instid1(VALU_DEP_1)
	v_fmac_f32_e32 v6, v3, v133
	v_add_f32_e32 v65, v65, v6
	v_mul_f32_e32 v6, v1, v132
	s_delay_alu instid0(VALU_DEP_1) | instskip(NEXT) | instid1(VALU_DEP_1)
	v_fmac_f32_e32 v6, v0, v131
	v_fmac_f32_e32 v6, v2, v130
	s_delay_alu instid0(VALU_DEP_1) | instskip(NEXT) | instid1(VALU_DEP_1)
	;; [unrolled: 7-line block ×3, first 2 shown]
	v_fmac_f32_e32 v6, v3, v116
	v_dual_add_f32 v67, v67, v6 :: v_dual_mul_f32 v6, v1, v191
	s_delay_alu instid0(VALU_DEP_1) | instskip(NEXT) | instid1(VALU_DEP_1)
	v_fmac_f32_e32 v6, v0, v190
	v_fmac_f32_e32 v6, v2, v25
	s_delay_alu instid0(VALU_DEP_1) | instskip(NEXT) | instid1(VALU_DEP_1)
	v_fmac_f32_e32 v6, v3, v189
	v_add_f32_e32 v68, v68, v6
	v_mul_f32_e32 v6, v1, v187
	s_delay_alu instid0(VALU_DEP_1) | instskip(NEXT) | instid1(VALU_DEP_1)
	v_fmac_f32_e32 v6, v0, v186
	v_fmac_f32_e32 v6, v2, v188
	s_delay_alu instid0(VALU_DEP_1) | instskip(NEXT) | instid1(VALU_DEP_1)
	v_fmac_f32_e32 v6, v3, v185
	v_add_f32_e32 v69, v69, v6
	v_mul_f32_e32 v6, v1, v175
	;; [unrolled: 7-line block ×4, first 2 shown]
	s_delay_alu instid0(VALU_DEP_1) | instskip(NEXT) | instid1(VALU_DEP_1)
	v_fmac_f32_e32 v6, v0, v159
	v_fmac_f32_e32 v6, v2, v158
	s_delay_alu instid0(VALU_DEP_1) | instskip(NEXT) | instid1(VALU_DEP_1)
	v_fmac_f32_e32 v6, v3, v54
	v_add_f32_e32 v80, v80, v6
	scratch_load_b32 v6, off, s32 offset:888 ; 4-byte Folded Reload
	s_waitcnt vmcnt(0)
	v_mul_f32_e32 v6, v1, v6
	s_delay_alu instid0(VALU_DEP_1)
	v_fmac_f32_e32 v6, v0, v7
	scratch_load_b32 v7, off, s32 offset:896 ; 4-byte Folded Reload
	s_waitcnt vmcnt(0)
	v_fmac_f32_e32 v6, v2, v7
	scratch_load_b32 v7, off, s32 offset:872 ; 4-byte Folded Reload
	s_waitcnt vmcnt(0)
	v_fmac_f32_e32 v6, v3, v7
	scratch_load_b32 v7, off, s32 offset:848 ; 4-byte Folded Reload
	v_add_f32_e32 v81, v81, v6
	scratch_load_b32 v6, off, s32 offset:856 ; 4-byte Folded Reload
	s_waitcnt vmcnt(0)
	v_mul_f32_e32 v6, v1, v6
	s_delay_alu instid0(VALU_DEP_1)
	v_fmac_f32_e32 v6, v0, v7
	scratch_load_b32 v7, off, s32 offset:864 ; 4-byte Folded Reload
	s_waitcnt vmcnt(0)
	v_fmac_f32_e32 v6, v2, v7
	scratch_load_b32 v7, off, s32 offset:840 ; 4-byte Folded Reload
	s_waitcnt vmcnt(0)
	v_fmac_f32_e32 v6, v3, v7
	scratch_load_b32 v7, off, s32 offset:816 ; 4-byte Folded Reload
	;; [unrolled: 13-line block ×8, first 2 shown]
	v_add_f32_e32 v96, v96, v6
	scratch_load_b32 v6, off, s32 offset:640 ; 4-byte Folded Reload
	s_waitcnt vmcnt(0)
	v_mul_f32_e32 v6, v1, v6
	s_delay_alu instid0(VALU_DEP_1)
	v_fmac_f32_e32 v6, v0, v7
	scratch_load_b32 v7, off, s32 offset:624 ; 4-byte Folded Reload
	s_waitcnt vmcnt(0)
	v_fmac_f32_e32 v6, v2, v7
	scratch_load_b32 v7, off, s32 offset:616 ; 4-byte Folded Reload
	s_waitcnt vmcnt(0)
	v_fmac_f32_e32 v6, v3, v7
	v_add_f32_e32 v114, v114, v13
	scratch_load_b32 v7, off, s32 offset:592 ; 4-byte Folded Reload
	v_add_f32_e32 v97, v97, v6
	scratch_load_b32 v6, off, s32 offset:608 ; 4-byte Folded Reload
	s_waitcnt vmcnt(0)
	v_mul_f32_e32 v6, v1, v6
	s_delay_alu instid0(VALU_DEP_1)
	v_fmac_f32_e32 v6, v0, v7
	scratch_load_b32 v7, off, s32 offset:600 ; 4-byte Folded Reload
	s_waitcnt vmcnt(0)
	v_fmac_f32_e32 v6, v2, v7
	scratch_load_b32 v7, off, s32 offset:584 ; 4-byte Folded Reload
	s_waitcnt vmcnt(0)
	v_fmac_f32_e32 v6, v3, v7
	scratch_load_b32 v7, off, s32 offset:560 ; 4-byte Folded Reload
	v_add_f32_e32 v87, v87, v6
	scratch_load_b32 v6, off, s32 offset:568 ; 4-byte Folded Reload
	s_waitcnt vmcnt(0)
	v_mul_f32_e32 v6, v1, v6
	s_delay_alu instid0(VALU_DEP_1)
	v_fmac_f32_e32 v6, v0, v7
	scratch_load_b32 v7, off, s32 offset:576 ; 4-byte Folded Reload
	s_waitcnt vmcnt(0)
	v_fmac_f32_e32 v6, v2, v7
	scratch_load_b32 v7, off, s32 offset:552 ; 4-byte Folded Reload
	s_waitcnt vmcnt(0)
	v_fmac_f32_e32 v6, v3, v7
	;; [unrolled: 13-line block ×8, first 2 shown]
	scratch_load_b32 v7, off, s32 offset:336 ; 4-byte Folded Reload
	v_add_f32_e32 v99, v99, v6
	scratch_load_b32 v6, off, s32 offset:344 ; 4-byte Folded Reload
	s_waitcnt vmcnt(0)
	v_mul_f32_e32 v6, v1, v6
	s_delay_alu instid0(VALU_DEP_1) | instskip(SKIP_2) | instid1(VALU_DEP_1)
	v_dual_mul_f32 v1, v1, v12 :: v_dual_fmac_f32 v6, v0, v7
	scratch_load_b32 v7, off, s32 offset:352 ; 4-byte Folded Reload
	v_fmac_f32_e32 v1, v0, v8
	v_fmac_f32_e32 v1, v2, v5
	s_delay_alu instid0(VALU_DEP_1) | instskip(NEXT) | instid1(VALU_DEP_1)
	v_fmac_f32_e32 v1, v3, v4
	v_add_f32_e32 v26, v26, v1
	scratch_load_b64 v[0:1], off, s32 offset:320 ; 8-byte Folded Reload
	s_waitcnt vmcnt(1)
	v_fmac_f32_e32 v6, v2, v7
	scratch_load_b32 v7, off, s32 offset:328 ; 4-byte Folded Reload
	s_waitcnt vmcnt(1)
	v_mov_b32_e32 v1, v0
	s_delay_alu instid0(VALU_DEP_1) | instskip(NEXT) | instid1(VALU_DEP_1)
	v_add_nc_u32_e32 v1, 4, v1
	v_mov_b32_e32 v0, v1
	scratch_store_b64 off, v[0:1], s32 offset:320 ; 8-byte Folded Spill
	scratch_load_b32 v0, off, s32 offset:1164 ; 4-byte Folded Reload
	s_waitcnt vmcnt(1)
	v_fmac_f32_e32 v6, v3, v7
	s_delay_alu instid0(VALU_DEP_1) | instskip(SKIP_3) | instid1(SALU_CYCLE_1)
	v_add_f32_e32 v103, v103, v6
	s_waitcnt vmcnt(0)
	v_cmp_ge_i32_e32 vcc_lo, v1, v0
	s_or_b32 s1, vcc_lo, s1
	s_and_not1_b32 exec_lo, exec_lo, s1
	s_cbranch_execz .LBB285_3199
.LBB285_1567:                           ; =>This Inner Loop Header: Depth=1
	flat_load_b32 v0, v[10:11]
	scratch_load_b32 v1, off, s32 offset:1160 ; 4-byte Folded Reload
	s_mov_b32 s0, exec_lo
	s_waitcnt vmcnt(0) lgkmcnt(0)
	v_mad_i64_i32 v[12:13], null, v0, v1, v[155:156]
	scratch_load_b32 v0, off, s32 offset:912 ; 4-byte Folded Reload
	s_waitcnt vmcnt(0)
	v_add_co_u32 v4, vcc_lo, v12, v0
	v_add_co_ci_u32_e32 v5, vcc_lo, 0, v13, vcc_lo
	ds_load_b128 v[0:3], v160
	flat_load_b32 v6, v[4:5]
	v_mov_b32_e32 v16, 0
	v_mov_b32_e32 v17, 0
	s_delay_alu instid0(VALU_DEP_1) | instskip(SKIP_2) | instid1(VALU_DEP_1)
	v_dual_mov_b32 v14, v16 :: v_dual_mov_b32 v15, v17
	s_waitcnt vmcnt(0) lgkmcnt(0)
	v_and_b32_e32 v7, 0xff, v6
	v_cmpx_ne_u16_e32 0, v7
	s_cbranch_execz .LBB285_1575
; %bb.1568:                             ;   in Loop: Header=BB285_1567 Depth=1
	v_bfrev_b32_e32 v14, 1
	v_mov_b32_e32 v15, 0
	s_mov_b32 s8, exec_lo
	v_cmpx_ne_u16_e32 0x80, v7
	s_cbranch_execz .LBB285_1574
; %bb.1569:                             ;   in Loop: Header=BB285_1567 Depth=1
	v_mov_b32_e32 v14, 0x7f800001
	v_dual_mov_b32 v15, 0 :: v_dual_and_b32 v18, 0x7f, v6
	s_mov_b32 s13, exec_lo
	s_delay_alu instid0(VALU_DEP_1)
	v_cmpx_ne_u32_e32 0x7f, v18
	s_cbranch_execz .LBB285_1573
; %bb.1570:                             ;   in Loop: Header=BB285_1567 Depth=1
	v_and_b32_e32 v8, 7, v6
	v_lshrrev_b32_e32 v7, 3, v18
	s_mov_b32 s15, exec_lo
	v_cmpx_gt_u32_e32 8, v18
; %bb.1571:                             ;   in Loop: Header=BB285_1567 Depth=1
	s_delay_alu instid0(VALU_DEP_3) | instskip(NEXT) | instid1(VALU_DEP_1)
	v_clz_i32_u32_e32 v7, v8
	v_min_u32_e32 v7, 32, v7
	s_delay_alu instid0(VALU_DEP_1) | instskip(SKIP_1) | instid1(VALU_DEP_2)
	v_subrev_nc_u32_e32 v14, 28, v7
	v_sub_nc_u32_e32 v7, 29, v7
	v_lshlrev_b64 v[14:15], v14, v[8:9]
	s_delay_alu instid0(VALU_DEP_1)
	v_and_b32_e32 v8, 7, v14
; %bb.1572:                             ;   in Loop: Header=BB285_1567 Depth=1
	s_or_b32 exec_lo, exec_lo, s15
	v_lshlrev_b32_e32 v14, 24, v6
	s_delay_alu instid0(VALU_DEP_2) | instskip(SKIP_1) | instid1(VALU_DEP_3)
	v_lshlrev_b32_e32 v8, 20, v8
	v_lshl_add_u32 v7, v7, 23, 0x3c000000
	v_and_b32_e32 v14, 0x80000000, v14
	s_delay_alu instid0(VALU_DEP_1) | instskip(NEXT) | instid1(VALU_DEP_1)
	v_or3_b32 v8, v8, v14, v7
	v_dual_mov_b32 v15, v9 :: v_dual_mov_b32 v14, v8
.LBB285_1573:                           ;   in Loop: Header=BB285_1567 Depth=1
	s_or_b32 exec_lo, exec_lo, s13
.LBB285_1574:                           ;   in Loop: Header=BB285_1567 Depth=1
	s_delay_alu instid0(SALU_CYCLE_1)
	s_or_b32 exec_lo, exec_lo, s8
.LBB285_1575:                           ;   in Loop: Header=BB285_1567 Depth=1
	s_delay_alu instid0(SALU_CYCLE_1) | instskip(SKIP_2) | instid1(VALU_DEP_1)
	s_or_b32 exec_lo, exec_lo, s0
	v_lshrrev_b16 v7, 8, v6
	s_mov_b32 s0, exec_lo
	v_cmpx_ne_u16_e32 0, v7
	s_cbranch_execz .LBB285_1583
; %bb.1576:                             ;   in Loop: Header=BB285_1567 Depth=1
	v_dual_mov_b32 v17, s3 :: v_dual_mov_b32 v16, s2
	s_mov_b32 s13, exec_lo
	v_cmpx_ne_u16_e32 0x80, v7
	s_cbranch_execz .LBB285_1582
; %bb.1577:                             ;   in Loop: Header=BB285_1567 Depth=1
	s_mov_b32 s8, s2
	v_and_b32_e32 v7, 0xffff, v7
	v_dual_mov_b32 v17, s9 :: v_dual_mov_b32 v16, s8
	s_mov_b32 s8, exec_lo
	s_delay_alu instid0(VALU_DEP_2) | instskip(NEXT) | instid1(VALU_DEP_1)
	v_and_b32_e32 v18, 0x7f, v7
	v_cmpx_ne_u32_e32 0x7f, v18
	s_cbranch_execz .LBB285_1581
; %bb.1578:                             ;   in Loop: Header=BB285_1567 Depth=1
	v_and_b32_e32 v8, 7, v7
	v_lshrrev_b32_e32 v7, 3, v18
	s_mov_b32 s15, exec_lo
	v_cmpx_gt_u32_e32 8, v18
; %bb.1579:                             ;   in Loop: Header=BB285_1567 Depth=1
	s_delay_alu instid0(VALU_DEP_3) | instskip(NEXT) | instid1(VALU_DEP_1)
	v_clz_i32_u32_e32 v7, v8
	v_min_u32_e32 v7, 32, v7
	s_delay_alu instid0(VALU_DEP_1) | instskip(SKIP_1) | instid1(VALU_DEP_2)
	v_subrev_nc_u32_e32 v16, 28, v7
	v_sub_nc_u32_e32 v7, 29, v7
	v_lshlrev_b64 v[16:17], v16, v[8:9]
	s_delay_alu instid0(VALU_DEP_1)
	v_and_b32_e32 v8, 7, v16
; %bb.1580:                             ;   in Loop: Header=BB285_1567 Depth=1
	s_or_b32 exec_lo, exec_lo, s15
	v_lshlrev_b32_e32 v16, 16, v6
	s_delay_alu instid0(VALU_DEP_2) | instskip(SKIP_1) | instid1(VALU_DEP_3)
	v_lshlrev_b32_e32 v8, 20, v8
	v_lshl_add_u32 v7, v7, 23, 0x3c000000
	v_and_b32_e32 v16, 0x80000000, v16
	s_delay_alu instid0(VALU_DEP_1)
	v_or3_b32 v17, v8, v16, v7
	v_mov_b32_e32 v16, v9
.LBB285_1581:                           ;   in Loop: Header=BB285_1567 Depth=1
	s_or_b32 exec_lo, exec_lo, s8
.LBB285_1582:                           ;   in Loop: Header=BB285_1567 Depth=1
	s_delay_alu instid0(SALU_CYCLE_1)
	s_or_b32 exec_lo, exec_lo, s13
.LBB285_1583:                           ;   in Loop: Header=BB285_1567 Depth=1
	s_delay_alu instid0(SALU_CYCLE_1) | instskip(SKIP_4) | instid1(VALU_DEP_2)
	s_or_b32 exec_lo, exec_lo, s0
	v_mov_b32_e32 v20, 0
	v_lshrrev_b32_e32 v7, 16, v6
	v_mov_b32_e32 v21, 0
	s_mov_b32 s0, exec_lo
	v_and_b32_e32 v8, 0xff, v7
	s_delay_alu instid0(VALU_DEP_2) | instskip(NEXT) | instid1(VALU_DEP_2)
	v_dual_mov_b32 v18, v20 :: v_dual_mov_b32 v19, v21
	v_cmpx_ne_u16_e32 0, v8
	s_cbranch_execz .LBB285_1591
; %bb.1584:                             ;   in Loop: Header=BB285_1567 Depth=1
	v_bfrev_b32_e32 v18, 1
	v_mov_b32_e32 v19, 0
	s_mov_b32 s8, exec_lo
	v_cmpx_ne_u16_e32 0x80, v8
	s_cbranch_execz .LBB285_1590
; %bb.1585:                             ;   in Loop: Header=BB285_1567 Depth=1
	v_mov_b32_e32 v18, 0x7f800001
	v_bfe_u32 v22, v6, 16, 7
	v_mov_b32_e32 v19, 0
	s_mov_b32 s13, exec_lo
	s_delay_alu instid0(VALU_DEP_2)
	v_cmpx_ne_u32_e32 0x7f, v22
	s_cbranch_execz .LBB285_1589
; %bb.1586:                             ;   in Loop: Header=BB285_1567 Depth=1
	v_and_b32_e32 v8, 7, v7
	v_lshrrev_b32_e32 v18, 3, v22
	s_mov_b32 s15, exec_lo
	v_cmpx_gt_u32_e32 8, v22
; %bb.1587:                             ;   in Loop: Header=BB285_1567 Depth=1
	s_delay_alu instid0(VALU_DEP_3) | instskip(NEXT) | instid1(VALU_DEP_1)
	v_clz_i32_u32_e32 v18, v8
	v_min_u32_e32 v18, 32, v18
	s_delay_alu instid0(VALU_DEP_1) | instskip(SKIP_1) | instid1(VALU_DEP_2)
	v_subrev_nc_u32_e32 v19, 28, v18
	v_sub_nc_u32_e32 v18, 29, v18
	v_lshlrev_b64 v[22:23], v19, v[8:9]
	s_delay_alu instid0(VALU_DEP_1)
	v_and_b32_e32 v8, 7, v22
; %bb.1588:                             ;   in Loop: Header=BB285_1567 Depth=1
	s_or_b32 exec_lo, exec_lo, s15
	v_lshlrev_b32_e32 v7, 24, v7
	s_delay_alu instid0(VALU_DEP_2) | instskip(SKIP_1) | instid1(VALU_DEP_3)
	v_lshlrev_b32_e32 v8, 20, v8
	v_lshl_add_u32 v18, v18, 23, 0x3c000000
	v_and_b32_e32 v7, 0x80000000, v7
	s_delay_alu instid0(VALU_DEP_1) | instskip(NEXT) | instid1(VALU_DEP_1)
	v_or3_b32 v8, v8, v7, v18
	v_dual_mov_b32 v19, v9 :: v_dual_mov_b32 v18, v8
.LBB285_1589:                           ;   in Loop: Header=BB285_1567 Depth=1
	s_or_b32 exec_lo, exec_lo, s13
.LBB285_1590:                           ;   in Loop: Header=BB285_1567 Depth=1
	s_delay_alu instid0(SALU_CYCLE_1)
	s_or_b32 exec_lo, exec_lo, s8
.LBB285_1591:                           ;   in Loop: Header=BB285_1567 Depth=1
	s_delay_alu instid0(SALU_CYCLE_1) | instskip(NEXT) | instid1(SALU_CYCLE_1)
	s_or_b32 exec_lo, exec_lo, s0
	s_mov_b32 s0, exec_lo
	v_cmpx_lt_u32_e32 0xffffff, v6
	s_cbranch_execz .LBB285_1599
; %bb.1592:                             ;   in Loop: Header=BB285_1567 Depth=1
	v_lshrrev_b32_e32 v7, 24, v6
	v_dual_mov_b32 v21, s3 :: v_dual_mov_b32 v20, s2
	s_mov_b32 s13, exec_lo
	s_delay_alu instid0(VALU_DEP_2)
	v_cmpx_ne_u32_e32 0x80, v7
	s_cbranch_execz .LBB285_1598
; %bb.1593:                             ;   in Loop: Header=BB285_1567 Depth=1
	s_mov_b32 s8, s2
	v_bfe_u32 v22, v6, 24, 7
	v_dual_mov_b32 v21, s9 :: v_dual_mov_b32 v20, s8
	s_mov_b32 s8, exec_lo
	s_delay_alu instid0(VALU_DEP_2)
	v_cmpx_ne_u32_e32 0x7f, v22
	s_cbranch_execz .LBB285_1597
; %bb.1594:                             ;   in Loop: Header=BB285_1567 Depth=1
	v_and_b32_e32 v8, 7, v7
	v_lshrrev_b32_e32 v6, 3, v22
	s_mov_b32 s15, exec_lo
	v_cmpx_gt_u32_e32 8, v22
; %bb.1595:                             ;   in Loop: Header=BB285_1567 Depth=1
	s_delay_alu instid0(VALU_DEP_3) | instskip(NEXT) | instid1(VALU_DEP_1)
	v_clz_i32_u32_e32 v6, v8
	v_min_u32_e32 v6, 32, v6
	s_delay_alu instid0(VALU_DEP_1) | instskip(SKIP_1) | instid1(VALU_DEP_2)
	v_subrev_nc_u32_e32 v20, 28, v6
	v_sub_nc_u32_e32 v6, 29, v6
	v_lshlrev_b64 v[20:21], v20, v[8:9]
	s_delay_alu instid0(VALU_DEP_1)
	v_and_b32_e32 v8, 7, v20
; %bb.1596:                             ;   in Loop: Header=BB285_1567 Depth=1
	s_or_b32 exec_lo, exec_lo, s15
	v_dual_mov_b32 v20, v9 :: v_dual_lshlrev_b32 v7, 24, v7
	s_delay_alu instid0(VALU_DEP_2) | instskip(SKIP_1) | instid1(VALU_DEP_3)
	v_lshlrev_b32_e32 v8, 20, v8
	v_lshl_add_u32 v6, v6, 23, 0x3c000000
	v_and_b32_e32 v7, 0x80000000, v7
	s_delay_alu instid0(VALU_DEP_1)
	v_or3_b32 v21, v8, v7, v6
.LBB285_1597:                           ;   in Loop: Header=BB285_1567 Depth=1
	s_or_b32 exec_lo, exec_lo, s8
.LBB285_1598:                           ;   in Loop: Header=BB285_1567 Depth=1
	s_delay_alu instid0(SALU_CYCLE_1)
	s_or_b32 exec_lo, exec_lo, s13
.LBB285_1599:                           ;   in Loop: Header=BB285_1567 Depth=1
	s_delay_alu instid0(SALU_CYCLE_1)
	s_or_b32 exec_lo, exec_lo, s0
	v_or_b32_e32 v6, v17, v15
	v_or_b32_e32 v7, v16, v14
	s_clause 0x1
	scratch_load_b64 v[15:16], off, s32 offset:320
	scratch_load_b32 v16, off, s32 offset:904
	v_or_b32_e32 v8, v21, v19
	v_dual_mul_f32 v6, v161, v6 :: v_dual_add_nc_u32 v183, -1, v151
	v_or_b32_e32 v14, v20, v18
	v_add_nc_u32_e32 v182, -3, v151
	v_add_nc_u32_e32 v40, -2, v151
	scratch_store_b32 off, v6, s32 offset:344 ; 4-byte Folded Spill
	v_mul_f32_e32 v6, v115, v7
	scratch_store_b32 off, v6, s32 offset:336 ; 4-byte Folded Spill
	v_mul_f32_e32 v6, v161, v8
	;; [unrolled: 2-line block ×3, first 2 shown]
	scratch_store_b32 off, v6, s32 offset:352 ; 4-byte Folded Spill
	s_waitcnt vmcnt(0)
	v_cmp_eq_u32_e32 vcc_lo, v16, v15
	s_and_saveexec_b32 s8, vcc_lo
	s_cbranch_execz .LBB285_1601
; %bb.1600:                             ;   in Loop: Header=BB285_1567 Depth=1
	scratch_load_b32 v6, off, s32 offset:336 ; 4-byte Folded Reload
	v_cmp_lt_i32_e64 s0, v182, v55
	s_waitcnt vmcnt(0)
	s_delay_alu instid0(VALU_DEP_1)
	v_cndmask_b32_e64 v6, 0, v6, s0
	v_cmp_lt_i32_e64 s0, v40, v55
	scratch_store_b32 off, v6, s32 offset:336 ; 4-byte Folded Spill
	scratch_load_b32 v6, off, s32 offset:344 ; 4-byte Folded Reload
	s_waitcnt vmcnt(0)
	v_cndmask_b32_e64 v6, 0, v6, s0
	v_cmp_lt_i32_e64 s0, v183, v55
	scratch_store_b32 off, v6, s32 offset:344 ; 4-byte Folded Spill
	scratch_load_b32 v6, off, s32 offset:352 ; 4-byte Folded Reload
	s_waitcnt vmcnt(0)
	;; [unrolled: 5-line block ×3, first 2 shown]
	v_cndmask_b32_e64 v6, 0, v6, s0
	scratch_store_b32 off, v6, s32 offset:328 ; 4-byte Folded Spill
.LBB285_1601:                           ;   in Loop: Header=BB285_1567 Depth=1
	s_or_b32 exec_lo, exec_lo, s8
	flat_load_b32 v6, v[4:5] offset:128
	v_mov_b32_e32 v16, 0
	v_mov_b32_e32 v17, 0
	s_delay_alu instid0(VALU_DEP_2) | instskip(SKIP_1) | instid1(VALU_DEP_2)
	v_mov_b32_e32 v14, v16
	s_mov_b32 s8, exec_lo
	v_mov_b32_e32 v15, v17
	s_waitcnt vmcnt(0) lgkmcnt(0)
	v_and_b32_e32 v7, 0xff, v6
	s_delay_alu instid0(VALU_DEP_1)
	v_cmpx_ne_u16_e32 0, v7
	s_cbranch_execz .LBB285_1609
; %bb.1602:                             ;   in Loop: Header=BB285_1567 Depth=1
	v_bfrev_b32_e32 v14, 1
	v_mov_b32_e32 v15, 0
	s_mov_b32 s13, exec_lo
	v_cmpx_ne_u16_e32 0x80, v7
	s_cbranch_execz .LBB285_1608
; %bb.1603:                             ;   in Loop: Header=BB285_1567 Depth=1
	v_mov_b32_e32 v14, 0x7f800001
	v_dual_mov_b32 v15, 0 :: v_dual_and_b32 v18, 0x7f, v6
	s_mov_b32 s15, exec_lo
	s_delay_alu instid0(VALU_DEP_1)
	v_cmpx_ne_u32_e32 0x7f, v18
	s_cbranch_execz .LBB285_1607
; %bb.1604:                             ;   in Loop: Header=BB285_1567 Depth=1
	v_and_b32_e32 v8, 7, v6
	v_lshrrev_b32_e32 v7, 3, v18
	s_mov_b32 s17, exec_lo
	v_cmpx_gt_u32_e32 8, v18
; %bb.1605:                             ;   in Loop: Header=BB285_1567 Depth=1
	s_delay_alu instid0(VALU_DEP_3) | instskip(NEXT) | instid1(VALU_DEP_1)
	v_clz_i32_u32_e32 v7, v8
	v_min_u32_e32 v7, 32, v7
	s_delay_alu instid0(VALU_DEP_1) | instskip(SKIP_1) | instid1(VALU_DEP_2)
	v_subrev_nc_u32_e32 v14, 28, v7
	v_sub_nc_u32_e32 v7, 29, v7
	v_lshlrev_b64 v[14:15], v14, v[8:9]
	s_delay_alu instid0(VALU_DEP_1)
	v_and_b32_e32 v8, 7, v14
; %bb.1606:                             ;   in Loop: Header=BB285_1567 Depth=1
	s_or_b32 exec_lo, exec_lo, s17
	v_lshlrev_b32_e32 v14, 24, v6
	s_delay_alu instid0(VALU_DEP_2) | instskip(SKIP_1) | instid1(VALU_DEP_3)
	v_lshlrev_b32_e32 v8, 20, v8
	v_lshl_add_u32 v7, v7, 23, 0x3c000000
	v_and_b32_e32 v14, 0x80000000, v14
	s_delay_alu instid0(VALU_DEP_1) | instskip(NEXT) | instid1(VALU_DEP_1)
	v_or3_b32 v8, v8, v14, v7
	v_dual_mov_b32 v15, v9 :: v_dual_mov_b32 v14, v8
.LBB285_1607:                           ;   in Loop: Header=BB285_1567 Depth=1
	s_or_b32 exec_lo, exec_lo, s15
.LBB285_1608:                           ;   in Loop: Header=BB285_1567 Depth=1
	s_delay_alu instid0(SALU_CYCLE_1)
	s_or_b32 exec_lo, exec_lo, s13
.LBB285_1609:                           ;   in Loop: Header=BB285_1567 Depth=1
	s_delay_alu instid0(SALU_CYCLE_1) | instskip(SKIP_2) | instid1(VALU_DEP_1)
	s_or_b32 exec_lo, exec_lo, s8
	v_lshrrev_b16 v7, 8, v6
	s_mov_b32 s13, exec_lo
	v_cmpx_ne_u16_e32 0, v7
	s_cbranch_execz .LBB285_1617
; %bb.1610:                             ;   in Loop: Header=BB285_1567 Depth=1
	v_dual_mov_b32 v17, s3 :: v_dual_mov_b32 v16, s2
	s_mov_b32 s15, exec_lo
	v_cmpx_ne_u16_e32 0x80, v7
	s_cbranch_execz .LBB285_1616
; %bb.1611:                             ;   in Loop: Header=BB285_1567 Depth=1
	s_mov_b32 s8, s2
	v_and_b32_e32 v7, 0xffff, v7
	v_dual_mov_b32 v17, s9 :: v_dual_mov_b32 v16, s8
	s_mov_b32 s8, exec_lo
	s_delay_alu instid0(VALU_DEP_2) | instskip(NEXT) | instid1(VALU_DEP_1)
	v_and_b32_e32 v18, 0x7f, v7
	v_cmpx_ne_u32_e32 0x7f, v18
	s_cbranch_execz .LBB285_1615
; %bb.1612:                             ;   in Loop: Header=BB285_1567 Depth=1
	v_and_b32_e32 v8, 7, v7
	v_lshrrev_b32_e32 v7, 3, v18
	s_mov_b32 s17, exec_lo
	v_cmpx_gt_u32_e32 8, v18
; %bb.1613:                             ;   in Loop: Header=BB285_1567 Depth=1
	s_delay_alu instid0(VALU_DEP_3) | instskip(NEXT) | instid1(VALU_DEP_1)
	v_clz_i32_u32_e32 v7, v8
	v_min_u32_e32 v7, 32, v7
	s_delay_alu instid0(VALU_DEP_1) | instskip(SKIP_1) | instid1(VALU_DEP_2)
	v_subrev_nc_u32_e32 v16, 28, v7
	v_sub_nc_u32_e32 v7, 29, v7
	v_lshlrev_b64 v[16:17], v16, v[8:9]
	s_delay_alu instid0(VALU_DEP_1)
	v_and_b32_e32 v8, 7, v16
; %bb.1614:                             ;   in Loop: Header=BB285_1567 Depth=1
	s_or_b32 exec_lo, exec_lo, s17
	v_lshlrev_b32_e32 v16, 16, v6
	s_delay_alu instid0(VALU_DEP_2) | instskip(SKIP_1) | instid1(VALU_DEP_3)
	v_lshlrev_b32_e32 v8, 20, v8
	v_lshl_add_u32 v7, v7, 23, 0x3c000000
	v_and_b32_e32 v16, 0x80000000, v16
	s_delay_alu instid0(VALU_DEP_1)
	v_or3_b32 v17, v8, v16, v7
	v_mov_b32_e32 v16, v9
.LBB285_1615:                           ;   in Loop: Header=BB285_1567 Depth=1
	s_or_b32 exec_lo, exec_lo, s8
.LBB285_1616:                           ;   in Loop: Header=BB285_1567 Depth=1
	s_delay_alu instid0(SALU_CYCLE_1)
	s_or_b32 exec_lo, exec_lo, s15
.LBB285_1617:                           ;   in Loop: Header=BB285_1567 Depth=1
	s_delay_alu instid0(SALU_CYCLE_1) | instskip(SKIP_4) | instid1(VALU_DEP_2)
	s_or_b32 exec_lo, exec_lo, s13
	v_mov_b32_e32 v20, 0
	v_lshrrev_b32_e32 v7, 16, v6
	v_mov_b32_e32 v21, 0
	s_mov_b32 s8, exec_lo
	v_and_b32_e32 v8, 0xff, v7
	s_delay_alu instid0(VALU_DEP_2) | instskip(NEXT) | instid1(VALU_DEP_2)
	v_dual_mov_b32 v18, v20 :: v_dual_mov_b32 v19, v21
	v_cmpx_ne_u16_e32 0, v8
	s_cbranch_execz .LBB285_1625
; %bb.1618:                             ;   in Loop: Header=BB285_1567 Depth=1
	v_bfrev_b32_e32 v18, 1
	v_mov_b32_e32 v19, 0
	s_mov_b32 s13, exec_lo
	v_cmpx_ne_u16_e32 0x80, v8
	s_cbranch_execz .LBB285_1624
; %bb.1619:                             ;   in Loop: Header=BB285_1567 Depth=1
	v_mov_b32_e32 v18, 0x7f800001
	v_bfe_u32 v22, v6, 16, 7
	v_mov_b32_e32 v19, 0
	s_mov_b32 s15, exec_lo
	s_delay_alu instid0(VALU_DEP_2)
	v_cmpx_ne_u32_e32 0x7f, v22
	s_cbranch_execz .LBB285_1623
; %bb.1620:                             ;   in Loop: Header=BB285_1567 Depth=1
	v_and_b32_e32 v8, 7, v7
	v_lshrrev_b32_e32 v18, 3, v22
	s_mov_b32 s17, exec_lo
	v_cmpx_gt_u32_e32 8, v22
; %bb.1621:                             ;   in Loop: Header=BB285_1567 Depth=1
	s_delay_alu instid0(VALU_DEP_3) | instskip(NEXT) | instid1(VALU_DEP_1)
	v_clz_i32_u32_e32 v18, v8
	v_min_u32_e32 v18, 32, v18
	s_delay_alu instid0(VALU_DEP_1) | instskip(SKIP_1) | instid1(VALU_DEP_2)
	v_subrev_nc_u32_e32 v19, 28, v18
	v_sub_nc_u32_e32 v18, 29, v18
	v_lshlrev_b64 v[22:23], v19, v[8:9]
	s_delay_alu instid0(VALU_DEP_1)
	v_and_b32_e32 v8, 7, v22
; %bb.1622:                             ;   in Loop: Header=BB285_1567 Depth=1
	s_or_b32 exec_lo, exec_lo, s17
	v_lshlrev_b32_e32 v7, 24, v7
	s_delay_alu instid0(VALU_DEP_2) | instskip(SKIP_1) | instid1(VALU_DEP_3)
	v_lshlrev_b32_e32 v8, 20, v8
	v_lshl_add_u32 v18, v18, 23, 0x3c000000
	v_and_b32_e32 v7, 0x80000000, v7
	s_delay_alu instid0(VALU_DEP_1) | instskip(NEXT) | instid1(VALU_DEP_1)
	v_or3_b32 v8, v8, v7, v18
	v_dual_mov_b32 v19, v9 :: v_dual_mov_b32 v18, v8
.LBB285_1623:                           ;   in Loop: Header=BB285_1567 Depth=1
	s_or_b32 exec_lo, exec_lo, s15
.LBB285_1624:                           ;   in Loop: Header=BB285_1567 Depth=1
	s_delay_alu instid0(SALU_CYCLE_1)
	s_or_b32 exec_lo, exec_lo, s13
.LBB285_1625:                           ;   in Loop: Header=BB285_1567 Depth=1
	s_delay_alu instid0(SALU_CYCLE_1) | instskip(NEXT) | instid1(SALU_CYCLE_1)
	s_or_b32 exec_lo, exec_lo, s8
	s_mov_b32 s13, exec_lo
	v_cmpx_lt_u32_e32 0xffffff, v6
	s_cbranch_execz .LBB285_1633
; %bb.1626:                             ;   in Loop: Header=BB285_1567 Depth=1
	v_lshrrev_b32_e32 v7, 24, v6
	v_dual_mov_b32 v21, s3 :: v_dual_mov_b32 v20, s2
	s_mov_b32 s15, exec_lo
	s_delay_alu instid0(VALU_DEP_2)
	v_cmpx_ne_u32_e32 0x80, v7
	s_cbranch_execz .LBB285_1632
; %bb.1627:                             ;   in Loop: Header=BB285_1567 Depth=1
	s_mov_b32 s8, s2
	v_bfe_u32 v22, v6, 24, 7
	v_dual_mov_b32 v21, s9 :: v_dual_mov_b32 v20, s8
	s_mov_b32 s8, exec_lo
	s_delay_alu instid0(VALU_DEP_2)
	v_cmpx_ne_u32_e32 0x7f, v22
	s_cbranch_execz .LBB285_1631
; %bb.1628:                             ;   in Loop: Header=BB285_1567 Depth=1
	v_and_b32_e32 v8, 7, v7
	v_lshrrev_b32_e32 v6, 3, v22
	s_mov_b32 s17, exec_lo
	v_cmpx_gt_u32_e32 8, v22
; %bb.1629:                             ;   in Loop: Header=BB285_1567 Depth=1
	s_delay_alu instid0(VALU_DEP_3) | instskip(NEXT) | instid1(VALU_DEP_1)
	v_clz_i32_u32_e32 v6, v8
	v_min_u32_e32 v6, 32, v6
	s_delay_alu instid0(VALU_DEP_1) | instskip(SKIP_1) | instid1(VALU_DEP_2)
	v_subrev_nc_u32_e32 v20, 28, v6
	v_sub_nc_u32_e32 v6, 29, v6
	v_lshlrev_b64 v[20:21], v20, v[8:9]
	s_delay_alu instid0(VALU_DEP_1)
	v_and_b32_e32 v8, 7, v20
; %bb.1630:                             ;   in Loop: Header=BB285_1567 Depth=1
	s_or_b32 exec_lo, exec_lo, s17
	v_dual_mov_b32 v20, v9 :: v_dual_lshlrev_b32 v7, 24, v7
	s_delay_alu instid0(VALU_DEP_2) | instskip(SKIP_1) | instid1(VALU_DEP_3)
	v_lshlrev_b32_e32 v8, 20, v8
	v_lshl_add_u32 v6, v6, 23, 0x3c000000
	v_and_b32_e32 v7, 0x80000000, v7
	s_delay_alu instid0(VALU_DEP_1)
	v_or3_b32 v21, v8, v7, v6
.LBB285_1631:                           ;   in Loop: Header=BB285_1567 Depth=1
	s_or_b32 exec_lo, exec_lo, s8
.LBB285_1632:                           ;   in Loop: Header=BB285_1567 Depth=1
	s_delay_alu instid0(SALU_CYCLE_1)
	s_or_b32 exec_lo, exec_lo, s15
.LBB285_1633:                           ;   in Loop: Header=BB285_1567 Depth=1
	s_delay_alu instid0(SALU_CYCLE_1) | instskip(SKIP_4) | instid1(VALU_DEP_4)
	s_or_b32 exec_lo, exec_lo, s13
	v_or_b32_e32 v6, v17, v15
	v_or_b32_e32 v7, v16, v14
	;; [unrolled: 1-line block ×4, first 2 shown]
	v_mul_f32_e32 v6, v161, v6
	scratch_store_b32 off, v6, s32 offset:376 ; 4-byte Folded Spill
	v_mul_f32_e32 v6, v115, v7
	scratch_store_b32 off, v6, s32 offset:368 ; 4-byte Folded Spill
	;; [unrolled: 2-line block ×4, first 2 shown]
	s_and_saveexec_b32 s8, vcc_lo
	s_cbranch_execz .LBB285_1635
; %bb.1634:                             ;   in Loop: Header=BB285_1567 Depth=1
	scratch_load_b32 v6, off, s32 offset:368 ; 4-byte Folded Reload
	v_cmp_lt_i32_e64 s0, v182, v55
	s_waitcnt vmcnt(0)
	s_delay_alu instid0(VALU_DEP_1)
	v_cndmask_b32_e64 v6, 0, v6, s0
	v_cmp_lt_i32_e64 s0, v40, v55
	scratch_store_b32 off, v6, s32 offset:368 ; 4-byte Folded Spill
	scratch_load_b32 v6, off, s32 offset:376 ; 4-byte Folded Reload
	s_waitcnt vmcnt(0)
	v_cndmask_b32_e64 v6, 0, v6, s0
	v_cmp_lt_i32_e64 s0, v183, v55
	scratch_store_b32 off, v6, s32 offset:376 ; 4-byte Folded Spill
	scratch_load_b32 v6, off, s32 offset:384 ; 4-byte Folded Reload
	s_waitcnt vmcnt(0)
	;; [unrolled: 5-line block ×3, first 2 shown]
	v_cndmask_b32_e64 v6, 0, v6, s0
	scratch_store_b32 off, v6, s32 offset:360 ; 4-byte Folded Spill
.LBB285_1635:                           ;   in Loop: Header=BB285_1567 Depth=1
	s_or_b32 exec_lo, exec_lo, s8
	flat_load_b32 v6, v[4:5] offset:256
	v_mov_b32_e32 v16, 0
	v_mov_b32_e32 v17, 0
	s_delay_alu instid0(VALU_DEP_2) | instskip(SKIP_1) | instid1(VALU_DEP_2)
	v_mov_b32_e32 v14, v16
	s_mov_b32 s8, exec_lo
	v_mov_b32_e32 v15, v17
	s_waitcnt vmcnt(0) lgkmcnt(0)
	v_and_b32_e32 v7, 0xff, v6
	s_delay_alu instid0(VALU_DEP_1)
	v_cmpx_ne_u16_e32 0, v7
	s_cbranch_execz .LBB285_1643
; %bb.1636:                             ;   in Loop: Header=BB285_1567 Depth=1
	v_bfrev_b32_e32 v14, 1
	v_mov_b32_e32 v15, 0
	s_mov_b32 s13, exec_lo
	v_cmpx_ne_u16_e32 0x80, v7
	s_cbranch_execz .LBB285_1642
; %bb.1637:                             ;   in Loop: Header=BB285_1567 Depth=1
	v_mov_b32_e32 v14, 0x7f800001
	v_dual_mov_b32 v15, 0 :: v_dual_and_b32 v18, 0x7f, v6
	s_mov_b32 s15, exec_lo
	s_delay_alu instid0(VALU_DEP_1)
	v_cmpx_ne_u32_e32 0x7f, v18
	s_cbranch_execz .LBB285_1641
; %bb.1638:                             ;   in Loop: Header=BB285_1567 Depth=1
	v_and_b32_e32 v8, 7, v6
	v_lshrrev_b32_e32 v7, 3, v18
	s_mov_b32 s17, exec_lo
	v_cmpx_gt_u32_e32 8, v18
; %bb.1639:                             ;   in Loop: Header=BB285_1567 Depth=1
	s_delay_alu instid0(VALU_DEP_3) | instskip(NEXT) | instid1(VALU_DEP_1)
	v_clz_i32_u32_e32 v7, v8
	v_min_u32_e32 v7, 32, v7
	s_delay_alu instid0(VALU_DEP_1) | instskip(SKIP_1) | instid1(VALU_DEP_2)
	v_subrev_nc_u32_e32 v14, 28, v7
	v_sub_nc_u32_e32 v7, 29, v7
	v_lshlrev_b64 v[14:15], v14, v[8:9]
	s_delay_alu instid0(VALU_DEP_1)
	v_and_b32_e32 v8, 7, v14
; %bb.1640:                             ;   in Loop: Header=BB285_1567 Depth=1
	s_or_b32 exec_lo, exec_lo, s17
	v_lshlrev_b32_e32 v14, 24, v6
	s_delay_alu instid0(VALU_DEP_2) | instskip(SKIP_1) | instid1(VALU_DEP_3)
	v_lshlrev_b32_e32 v8, 20, v8
	v_lshl_add_u32 v7, v7, 23, 0x3c000000
	v_and_b32_e32 v14, 0x80000000, v14
	s_delay_alu instid0(VALU_DEP_1) | instskip(NEXT) | instid1(VALU_DEP_1)
	v_or3_b32 v8, v8, v14, v7
	v_dual_mov_b32 v15, v9 :: v_dual_mov_b32 v14, v8
.LBB285_1641:                           ;   in Loop: Header=BB285_1567 Depth=1
	s_or_b32 exec_lo, exec_lo, s15
.LBB285_1642:                           ;   in Loop: Header=BB285_1567 Depth=1
	s_delay_alu instid0(SALU_CYCLE_1)
	s_or_b32 exec_lo, exec_lo, s13
.LBB285_1643:                           ;   in Loop: Header=BB285_1567 Depth=1
	s_delay_alu instid0(SALU_CYCLE_1) | instskip(SKIP_2) | instid1(VALU_DEP_1)
	s_or_b32 exec_lo, exec_lo, s8
	v_lshrrev_b16 v7, 8, v6
	s_mov_b32 s13, exec_lo
	v_cmpx_ne_u16_e32 0, v7
	s_cbranch_execz .LBB285_1651
; %bb.1644:                             ;   in Loop: Header=BB285_1567 Depth=1
	v_dual_mov_b32 v17, s3 :: v_dual_mov_b32 v16, s2
	s_mov_b32 s15, exec_lo
	v_cmpx_ne_u16_e32 0x80, v7
	s_cbranch_execz .LBB285_1650
; %bb.1645:                             ;   in Loop: Header=BB285_1567 Depth=1
	s_mov_b32 s8, s2
	v_and_b32_e32 v7, 0xffff, v7
	v_dual_mov_b32 v17, s9 :: v_dual_mov_b32 v16, s8
	s_mov_b32 s8, exec_lo
	s_delay_alu instid0(VALU_DEP_2) | instskip(NEXT) | instid1(VALU_DEP_1)
	v_and_b32_e32 v18, 0x7f, v7
	v_cmpx_ne_u32_e32 0x7f, v18
	s_cbranch_execz .LBB285_1649
; %bb.1646:                             ;   in Loop: Header=BB285_1567 Depth=1
	v_and_b32_e32 v8, 7, v7
	v_lshrrev_b32_e32 v7, 3, v18
	s_mov_b32 s17, exec_lo
	v_cmpx_gt_u32_e32 8, v18
; %bb.1647:                             ;   in Loop: Header=BB285_1567 Depth=1
	s_delay_alu instid0(VALU_DEP_3) | instskip(NEXT) | instid1(VALU_DEP_1)
	v_clz_i32_u32_e32 v7, v8
	v_min_u32_e32 v7, 32, v7
	s_delay_alu instid0(VALU_DEP_1) | instskip(SKIP_1) | instid1(VALU_DEP_2)
	v_subrev_nc_u32_e32 v16, 28, v7
	v_sub_nc_u32_e32 v7, 29, v7
	v_lshlrev_b64 v[16:17], v16, v[8:9]
	s_delay_alu instid0(VALU_DEP_1)
	v_and_b32_e32 v8, 7, v16
; %bb.1648:                             ;   in Loop: Header=BB285_1567 Depth=1
	s_or_b32 exec_lo, exec_lo, s17
	v_lshlrev_b32_e32 v16, 16, v6
	s_delay_alu instid0(VALU_DEP_2) | instskip(SKIP_1) | instid1(VALU_DEP_3)
	v_lshlrev_b32_e32 v8, 20, v8
	v_lshl_add_u32 v7, v7, 23, 0x3c000000
	v_and_b32_e32 v16, 0x80000000, v16
	s_delay_alu instid0(VALU_DEP_1)
	v_or3_b32 v17, v8, v16, v7
	v_mov_b32_e32 v16, v9
.LBB285_1649:                           ;   in Loop: Header=BB285_1567 Depth=1
	s_or_b32 exec_lo, exec_lo, s8
.LBB285_1650:                           ;   in Loop: Header=BB285_1567 Depth=1
	s_delay_alu instid0(SALU_CYCLE_1)
	s_or_b32 exec_lo, exec_lo, s15
.LBB285_1651:                           ;   in Loop: Header=BB285_1567 Depth=1
	s_delay_alu instid0(SALU_CYCLE_1) | instskip(SKIP_4) | instid1(VALU_DEP_2)
	s_or_b32 exec_lo, exec_lo, s13
	v_mov_b32_e32 v20, 0
	v_lshrrev_b32_e32 v7, 16, v6
	v_mov_b32_e32 v21, 0
	s_mov_b32 s8, exec_lo
	v_and_b32_e32 v8, 0xff, v7
	s_delay_alu instid0(VALU_DEP_2) | instskip(NEXT) | instid1(VALU_DEP_2)
	v_dual_mov_b32 v18, v20 :: v_dual_mov_b32 v19, v21
	v_cmpx_ne_u16_e32 0, v8
	s_cbranch_execz .LBB285_1659
; %bb.1652:                             ;   in Loop: Header=BB285_1567 Depth=1
	v_bfrev_b32_e32 v18, 1
	v_mov_b32_e32 v19, 0
	s_mov_b32 s13, exec_lo
	v_cmpx_ne_u16_e32 0x80, v8
	s_cbranch_execz .LBB285_1658
; %bb.1653:                             ;   in Loop: Header=BB285_1567 Depth=1
	v_mov_b32_e32 v18, 0x7f800001
	v_bfe_u32 v22, v6, 16, 7
	v_mov_b32_e32 v19, 0
	s_mov_b32 s15, exec_lo
	s_delay_alu instid0(VALU_DEP_2)
	v_cmpx_ne_u32_e32 0x7f, v22
	s_cbranch_execz .LBB285_1657
; %bb.1654:                             ;   in Loop: Header=BB285_1567 Depth=1
	v_and_b32_e32 v8, 7, v7
	v_lshrrev_b32_e32 v18, 3, v22
	s_mov_b32 s17, exec_lo
	v_cmpx_gt_u32_e32 8, v22
; %bb.1655:                             ;   in Loop: Header=BB285_1567 Depth=1
	s_delay_alu instid0(VALU_DEP_3) | instskip(NEXT) | instid1(VALU_DEP_1)
	v_clz_i32_u32_e32 v18, v8
	v_min_u32_e32 v18, 32, v18
	s_delay_alu instid0(VALU_DEP_1) | instskip(SKIP_1) | instid1(VALU_DEP_2)
	v_subrev_nc_u32_e32 v19, 28, v18
	v_sub_nc_u32_e32 v18, 29, v18
	v_lshlrev_b64 v[22:23], v19, v[8:9]
	s_delay_alu instid0(VALU_DEP_1)
	v_and_b32_e32 v8, 7, v22
; %bb.1656:                             ;   in Loop: Header=BB285_1567 Depth=1
	s_or_b32 exec_lo, exec_lo, s17
	v_lshlrev_b32_e32 v7, 24, v7
	s_delay_alu instid0(VALU_DEP_2) | instskip(SKIP_1) | instid1(VALU_DEP_3)
	v_lshlrev_b32_e32 v8, 20, v8
	v_lshl_add_u32 v18, v18, 23, 0x3c000000
	v_and_b32_e32 v7, 0x80000000, v7
	s_delay_alu instid0(VALU_DEP_1) | instskip(NEXT) | instid1(VALU_DEP_1)
	v_or3_b32 v8, v8, v7, v18
	v_dual_mov_b32 v19, v9 :: v_dual_mov_b32 v18, v8
.LBB285_1657:                           ;   in Loop: Header=BB285_1567 Depth=1
	s_or_b32 exec_lo, exec_lo, s15
.LBB285_1658:                           ;   in Loop: Header=BB285_1567 Depth=1
	s_delay_alu instid0(SALU_CYCLE_1)
	s_or_b32 exec_lo, exec_lo, s13
.LBB285_1659:                           ;   in Loop: Header=BB285_1567 Depth=1
	s_delay_alu instid0(SALU_CYCLE_1) | instskip(NEXT) | instid1(SALU_CYCLE_1)
	s_or_b32 exec_lo, exec_lo, s8
	s_mov_b32 s13, exec_lo
	v_cmpx_lt_u32_e32 0xffffff, v6
	s_cbranch_execz .LBB285_1667
; %bb.1660:                             ;   in Loop: Header=BB285_1567 Depth=1
	v_lshrrev_b32_e32 v7, 24, v6
	v_dual_mov_b32 v21, s3 :: v_dual_mov_b32 v20, s2
	s_mov_b32 s15, exec_lo
	s_delay_alu instid0(VALU_DEP_2)
	v_cmpx_ne_u32_e32 0x80, v7
	s_cbranch_execz .LBB285_1666
; %bb.1661:                             ;   in Loop: Header=BB285_1567 Depth=1
	s_mov_b32 s8, s2
	v_bfe_u32 v22, v6, 24, 7
	v_dual_mov_b32 v21, s9 :: v_dual_mov_b32 v20, s8
	s_mov_b32 s8, exec_lo
	s_delay_alu instid0(VALU_DEP_2)
	v_cmpx_ne_u32_e32 0x7f, v22
	s_cbranch_execz .LBB285_1665
; %bb.1662:                             ;   in Loop: Header=BB285_1567 Depth=1
	v_and_b32_e32 v8, 7, v7
	v_lshrrev_b32_e32 v6, 3, v22
	s_mov_b32 s17, exec_lo
	v_cmpx_gt_u32_e32 8, v22
; %bb.1663:                             ;   in Loop: Header=BB285_1567 Depth=1
	s_delay_alu instid0(VALU_DEP_3) | instskip(NEXT) | instid1(VALU_DEP_1)
	v_clz_i32_u32_e32 v6, v8
	v_min_u32_e32 v6, 32, v6
	s_delay_alu instid0(VALU_DEP_1) | instskip(SKIP_1) | instid1(VALU_DEP_2)
	v_subrev_nc_u32_e32 v20, 28, v6
	v_sub_nc_u32_e32 v6, 29, v6
	v_lshlrev_b64 v[20:21], v20, v[8:9]
	s_delay_alu instid0(VALU_DEP_1)
	v_and_b32_e32 v8, 7, v20
; %bb.1664:                             ;   in Loop: Header=BB285_1567 Depth=1
	s_or_b32 exec_lo, exec_lo, s17
	v_dual_mov_b32 v20, v9 :: v_dual_lshlrev_b32 v7, 24, v7
	s_delay_alu instid0(VALU_DEP_2) | instskip(SKIP_1) | instid1(VALU_DEP_3)
	v_lshlrev_b32_e32 v8, 20, v8
	v_lshl_add_u32 v6, v6, 23, 0x3c000000
	v_and_b32_e32 v7, 0x80000000, v7
	s_delay_alu instid0(VALU_DEP_1)
	v_or3_b32 v21, v8, v7, v6
.LBB285_1665:                           ;   in Loop: Header=BB285_1567 Depth=1
	s_or_b32 exec_lo, exec_lo, s8
.LBB285_1666:                           ;   in Loop: Header=BB285_1567 Depth=1
	s_delay_alu instid0(SALU_CYCLE_1)
	s_or_b32 exec_lo, exec_lo, s15
.LBB285_1667:                           ;   in Loop: Header=BB285_1567 Depth=1
	s_delay_alu instid0(SALU_CYCLE_1) | instskip(SKIP_4) | instid1(VALU_DEP_4)
	s_or_b32 exec_lo, exec_lo, s13
	v_or_b32_e32 v6, v17, v15
	v_or_b32_e32 v7, v16, v14
	;; [unrolled: 1-line block ×4, first 2 shown]
	v_mul_f32_e32 v6, v161, v6
	scratch_store_b32 off, v6, s32 offset:408 ; 4-byte Folded Spill
	v_mul_f32_e32 v6, v115, v7
	scratch_store_b32 off, v6, s32 offset:400 ; 4-byte Folded Spill
	;; [unrolled: 2-line block ×4, first 2 shown]
	s_and_saveexec_b32 s8, vcc_lo
	s_cbranch_execz .LBB285_1669
; %bb.1668:                             ;   in Loop: Header=BB285_1567 Depth=1
	scratch_load_b32 v6, off, s32 offset:400 ; 4-byte Folded Reload
	v_cmp_lt_i32_e64 s0, v182, v55
	s_waitcnt vmcnt(0)
	s_delay_alu instid0(VALU_DEP_1)
	v_cndmask_b32_e64 v6, 0, v6, s0
	v_cmp_lt_i32_e64 s0, v40, v55
	scratch_store_b32 off, v6, s32 offset:400 ; 4-byte Folded Spill
	scratch_load_b32 v6, off, s32 offset:408 ; 4-byte Folded Reload
	s_waitcnt vmcnt(0)
	v_cndmask_b32_e64 v6, 0, v6, s0
	v_cmp_lt_i32_e64 s0, v183, v55
	scratch_store_b32 off, v6, s32 offset:408 ; 4-byte Folded Spill
	scratch_load_b32 v6, off, s32 offset:416 ; 4-byte Folded Reload
	s_waitcnt vmcnt(0)
	;; [unrolled: 5-line block ×3, first 2 shown]
	v_cndmask_b32_e64 v6, 0, v6, s0
	scratch_store_b32 off, v6, s32 offset:392 ; 4-byte Folded Spill
.LBB285_1669:                           ;   in Loop: Header=BB285_1567 Depth=1
	s_or_b32 exec_lo, exec_lo, s8
	flat_load_b32 v6, v[4:5] offset:384
	v_mov_b32_e32 v16, 0
	v_mov_b32_e32 v17, 0
	s_delay_alu instid0(VALU_DEP_2) | instskip(SKIP_1) | instid1(VALU_DEP_2)
	v_mov_b32_e32 v14, v16
	s_mov_b32 s8, exec_lo
	v_mov_b32_e32 v15, v17
	s_waitcnt vmcnt(0) lgkmcnt(0)
	v_and_b32_e32 v7, 0xff, v6
	s_delay_alu instid0(VALU_DEP_1)
	v_cmpx_ne_u16_e32 0, v7
	s_cbranch_execz .LBB285_1677
; %bb.1670:                             ;   in Loop: Header=BB285_1567 Depth=1
	v_bfrev_b32_e32 v14, 1
	v_mov_b32_e32 v15, 0
	s_mov_b32 s13, exec_lo
	v_cmpx_ne_u16_e32 0x80, v7
	s_cbranch_execz .LBB285_1676
; %bb.1671:                             ;   in Loop: Header=BB285_1567 Depth=1
	v_mov_b32_e32 v14, 0x7f800001
	v_dual_mov_b32 v15, 0 :: v_dual_and_b32 v18, 0x7f, v6
	s_mov_b32 s15, exec_lo
	s_delay_alu instid0(VALU_DEP_1)
	v_cmpx_ne_u32_e32 0x7f, v18
	s_cbranch_execz .LBB285_1675
; %bb.1672:                             ;   in Loop: Header=BB285_1567 Depth=1
	v_and_b32_e32 v8, 7, v6
	v_lshrrev_b32_e32 v7, 3, v18
	s_mov_b32 s17, exec_lo
	v_cmpx_gt_u32_e32 8, v18
; %bb.1673:                             ;   in Loop: Header=BB285_1567 Depth=1
	s_delay_alu instid0(VALU_DEP_3) | instskip(NEXT) | instid1(VALU_DEP_1)
	v_clz_i32_u32_e32 v7, v8
	v_min_u32_e32 v7, 32, v7
	s_delay_alu instid0(VALU_DEP_1) | instskip(SKIP_1) | instid1(VALU_DEP_2)
	v_subrev_nc_u32_e32 v14, 28, v7
	v_sub_nc_u32_e32 v7, 29, v7
	v_lshlrev_b64 v[14:15], v14, v[8:9]
	s_delay_alu instid0(VALU_DEP_1)
	v_and_b32_e32 v8, 7, v14
; %bb.1674:                             ;   in Loop: Header=BB285_1567 Depth=1
	s_or_b32 exec_lo, exec_lo, s17
	v_lshlrev_b32_e32 v14, 24, v6
	s_delay_alu instid0(VALU_DEP_2) | instskip(SKIP_1) | instid1(VALU_DEP_3)
	v_lshlrev_b32_e32 v8, 20, v8
	v_lshl_add_u32 v7, v7, 23, 0x3c000000
	v_and_b32_e32 v14, 0x80000000, v14
	s_delay_alu instid0(VALU_DEP_1) | instskip(NEXT) | instid1(VALU_DEP_1)
	v_or3_b32 v8, v8, v14, v7
	v_dual_mov_b32 v15, v9 :: v_dual_mov_b32 v14, v8
.LBB285_1675:                           ;   in Loop: Header=BB285_1567 Depth=1
	s_or_b32 exec_lo, exec_lo, s15
.LBB285_1676:                           ;   in Loop: Header=BB285_1567 Depth=1
	s_delay_alu instid0(SALU_CYCLE_1)
	s_or_b32 exec_lo, exec_lo, s13
.LBB285_1677:                           ;   in Loop: Header=BB285_1567 Depth=1
	s_delay_alu instid0(SALU_CYCLE_1) | instskip(SKIP_2) | instid1(VALU_DEP_1)
	s_or_b32 exec_lo, exec_lo, s8
	v_lshrrev_b16 v7, 8, v6
	s_mov_b32 s13, exec_lo
	v_cmpx_ne_u16_e32 0, v7
	s_cbranch_execz .LBB285_1685
; %bb.1678:                             ;   in Loop: Header=BB285_1567 Depth=1
	v_dual_mov_b32 v17, s3 :: v_dual_mov_b32 v16, s2
	s_mov_b32 s15, exec_lo
	v_cmpx_ne_u16_e32 0x80, v7
	s_cbranch_execz .LBB285_1684
; %bb.1679:                             ;   in Loop: Header=BB285_1567 Depth=1
	s_mov_b32 s8, s2
	v_and_b32_e32 v7, 0xffff, v7
	v_dual_mov_b32 v17, s9 :: v_dual_mov_b32 v16, s8
	s_mov_b32 s8, exec_lo
	s_delay_alu instid0(VALU_DEP_2) | instskip(NEXT) | instid1(VALU_DEP_1)
	v_and_b32_e32 v18, 0x7f, v7
	v_cmpx_ne_u32_e32 0x7f, v18
	s_cbranch_execz .LBB285_1683
; %bb.1680:                             ;   in Loop: Header=BB285_1567 Depth=1
	v_and_b32_e32 v8, 7, v7
	v_lshrrev_b32_e32 v7, 3, v18
	s_mov_b32 s17, exec_lo
	v_cmpx_gt_u32_e32 8, v18
; %bb.1681:                             ;   in Loop: Header=BB285_1567 Depth=1
	s_delay_alu instid0(VALU_DEP_3) | instskip(NEXT) | instid1(VALU_DEP_1)
	v_clz_i32_u32_e32 v7, v8
	v_min_u32_e32 v7, 32, v7
	s_delay_alu instid0(VALU_DEP_1) | instskip(SKIP_1) | instid1(VALU_DEP_2)
	v_subrev_nc_u32_e32 v16, 28, v7
	v_sub_nc_u32_e32 v7, 29, v7
	v_lshlrev_b64 v[16:17], v16, v[8:9]
	s_delay_alu instid0(VALU_DEP_1)
	v_and_b32_e32 v8, 7, v16
; %bb.1682:                             ;   in Loop: Header=BB285_1567 Depth=1
	s_or_b32 exec_lo, exec_lo, s17
	v_lshlrev_b32_e32 v16, 16, v6
	s_delay_alu instid0(VALU_DEP_2) | instskip(SKIP_1) | instid1(VALU_DEP_3)
	v_lshlrev_b32_e32 v8, 20, v8
	v_lshl_add_u32 v7, v7, 23, 0x3c000000
	v_and_b32_e32 v16, 0x80000000, v16
	s_delay_alu instid0(VALU_DEP_1)
	v_or3_b32 v17, v8, v16, v7
	v_mov_b32_e32 v16, v9
.LBB285_1683:                           ;   in Loop: Header=BB285_1567 Depth=1
	s_or_b32 exec_lo, exec_lo, s8
.LBB285_1684:                           ;   in Loop: Header=BB285_1567 Depth=1
	s_delay_alu instid0(SALU_CYCLE_1)
	s_or_b32 exec_lo, exec_lo, s15
.LBB285_1685:                           ;   in Loop: Header=BB285_1567 Depth=1
	s_delay_alu instid0(SALU_CYCLE_1) | instskip(SKIP_4) | instid1(VALU_DEP_2)
	s_or_b32 exec_lo, exec_lo, s13
	v_mov_b32_e32 v20, 0
	v_lshrrev_b32_e32 v7, 16, v6
	v_mov_b32_e32 v21, 0
	s_mov_b32 s8, exec_lo
	v_and_b32_e32 v8, 0xff, v7
	s_delay_alu instid0(VALU_DEP_2) | instskip(NEXT) | instid1(VALU_DEP_2)
	v_dual_mov_b32 v18, v20 :: v_dual_mov_b32 v19, v21
	v_cmpx_ne_u16_e32 0, v8
	s_cbranch_execz .LBB285_1693
; %bb.1686:                             ;   in Loop: Header=BB285_1567 Depth=1
	v_bfrev_b32_e32 v18, 1
	v_mov_b32_e32 v19, 0
	s_mov_b32 s13, exec_lo
	v_cmpx_ne_u16_e32 0x80, v8
	s_cbranch_execz .LBB285_1692
; %bb.1687:                             ;   in Loop: Header=BB285_1567 Depth=1
	v_mov_b32_e32 v18, 0x7f800001
	v_bfe_u32 v22, v6, 16, 7
	v_mov_b32_e32 v19, 0
	s_mov_b32 s15, exec_lo
	s_delay_alu instid0(VALU_DEP_2)
	v_cmpx_ne_u32_e32 0x7f, v22
	s_cbranch_execz .LBB285_1691
; %bb.1688:                             ;   in Loop: Header=BB285_1567 Depth=1
	v_and_b32_e32 v8, 7, v7
	v_lshrrev_b32_e32 v18, 3, v22
	s_mov_b32 s17, exec_lo
	v_cmpx_gt_u32_e32 8, v22
; %bb.1689:                             ;   in Loop: Header=BB285_1567 Depth=1
	s_delay_alu instid0(VALU_DEP_3) | instskip(NEXT) | instid1(VALU_DEP_1)
	v_clz_i32_u32_e32 v18, v8
	v_min_u32_e32 v18, 32, v18
	s_delay_alu instid0(VALU_DEP_1) | instskip(SKIP_1) | instid1(VALU_DEP_2)
	v_subrev_nc_u32_e32 v19, 28, v18
	v_sub_nc_u32_e32 v18, 29, v18
	v_lshlrev_b64 v[22:23], v19, v[8:9]
	s_delay_alu instid0(VALU_DEP_1)
	v_and_b32_e32 v8, 7, v22
; %bb.1690:                             ;   in Loop: Header=BB285_1567 Depth=1
	s_or_b32 exec_lo, exec_lo, s17
	v_lshlrev_b32_e32 v7, 24, v7
	s_delay_alu instid0(VALU_DEP_2) | instskip(SKIP_1) | instid1(VALU_DEP_3)
	v_lshlrev_b32_e32 v8, 20, v8
	v_lshl_add_u32 v18, v18, 23, 0x3c000000
	v_and_b32_e32 v7, 0x80000000, v7
	s_delay_alu instid0(VALU_DEP_1) | instskip(NEXT) | instid1(VALU_DEP_1)
	v_or3_b32 v8, v8, v7, v18
	v_dual_mov_b32 v19, v9 :: v_dual_mov_b32 v18, v8
.LBB285_1691:                           ;   in Loop: Header=BB285_1567 Depth=1
	s_or_b32 exec_lo, exec_lo, s15
.LBB285_1692:                           ;   in Loop: Header=BB285_1567 Depth=1
	s_delay_alu instid0(SALU_CYCLE_1)
	s_or_b32 exec_lo, exec_lo, s13
.LBB285_1693:                           ;   in Loop: Header=BB285_1567 Depth=1
	s_delay_alu instid0(SALU_CYCLE_1) | instskip(NEXT) | instid1(SALU_CYCLE_1)
	s_or_b32 exec_lo, exec_lo, s8
	s_mov_b32 s13, exec_lo
	v_cmpx_lt_u32_e32 0xffffff, v6
	s_cbranch_execz .LBB285_1701
; %bb.1694:                             ;   in Loop: Header=BB285_1567 Depth=1
	v_lshrrev_b32_e32 v7, 24, v6
	v_dual_mov_b32 v21, s3 :: v_dual_mov_b32 v20, s2
	s_mov_b32 s15, exec_lo
	s_delay_alu instid0(VALU_DEP_2)
	v_cmpx_ne_u32_e32 0x80, v7
	s_cbranch_execz .LBB285_1700
; %bb.1695:                             ;   in Loop: Header=BB285_1567 Depth=1
	s_mov_b32 s8, s2
	v_bfe_u32 v22, v6, 24, 7
	v_dual_mov_b32 v21, s9 :: v_dual_mov_b32 v20, s8
	s_mov_b32 s8, exec_lo
	s_delay_alu instid0(VALU_DEP_2)
	v_cmpx_ne_u32_e32 0x7f, v22
	s_cbranch_execz .LBB285_1699
; %bb.1696:                             ;   in Loop: Header=BB285_1567 Depth=1
	v_and_b32_e32 v8, 7, v7
	v_lshrrev_b32_e32 v6, 3, v22
	s_mov_b32 s17, exec_lo
	v_cmpx_gt_u32_e32 8, v22
; %bb.1697:                             ;   in Loop: Header=BB285_1567 Depth=1
	s_delay_alu instid0(VALU_DEP_3) | instskip(NEXT) | instid1(VALU_DEP_1)
	v_clz_i32_u32_e32 v6, v8
	v_min_u32_e32 v6, 32, v6
	s_delay_alu instid0(VALU_DEP_1) | instskip(SKIP_1) | instid1(VALU_DEP_2)
	v_subrev_nc_u32_e32 v20, 28, v6
	v_sub_nc_u32_e32 v6, 29, v6
	v_lshlrev_b64 v[20:21], v20, v[8:9]
	s_delay_alu instid0(VALU_DEP_1)
	v_and_b32_e32 v8, 7, v20
; %bb.1698:                             ;   in Loop: Header=BB285_1567 Depth=1
	s_or_b32 exec_lo, exec_lo, s17
	v_dual_mov_b32 v20, v9 :: v_dual_lshlrev_b32 v7, 24, v7
	s_delay_alu instid0(VALU_DEP_2) | instskip(SKIP_1) | instid1(VALU_DEP_3)
	v_lshlrev_b32_e32 v8, 20, v8
	v_lshl_add_u32 v6, v6, 23, 0x3c000000
	v_and_b32_e32 v7, 0x80000000, v7
	s_delay_alu instid0(VALU_DEP_1)
	v_or3_b32 v21, v8, v7, v6
.LBB285_1699:                           ;   in Loop: Header=BB285_1567 Depth=1
	s_or_b32 exec_lo, exec_lo, s8
.LBB285_1700:                           ;   in Loop: Header=BB285_1567 Depth=1
	s_delay_alu instid0(SALU_CYCLE_1)
	s_or_b32 exec_lo, exec_lo, s15
.LBB285_1701:                           ;   in Loop: Header=BB285_1567 Depth=1
	s_delay_alu instid0(SALU_CYCLE_1) | instskip(SKIP_4) | instid1(VALU_DEP_4)
	s_or_b32 exec_lo, exec_lo, s13
	v_or_b32_e32 v6, v17, v15
	v_or_b32_e32 v7, v16, v14
	;; [unrolled: 1-line block ×4, first 2 shown]
	v_mul_f32_e32 v6, v161, v6
	scratch_store_b32 off, v6, s32 offset:448 ; 4-byte Folded Spill
	v_mul_f32_e32 v6, v115, v7
	scratch_store_b32 off, v6, s32 offset:432 ; 4-byte Folded Spill
	;; [unrolled: 2-line block ×4, first 2 shown]
	s_and_saveexec_b32 s8, vcc_lo
	s_cbranch_execz .LBB285_1703
; %bb.1702:                             ;   in Loop: Header=BB285_1567 Depth=1
	scratch_load_b32 v6, off, s32 offset:432 ; 4-byte Folded Reload
	v_cmp_lt_i32_e64 s0, v182, v55
	s_waitcnt vmcnt(0)
	s_delay_alu instid0(VALU_DEP_1)
	v_cndmask_b32_e64 v6, 0, v6, s0
	v_cmp_lt_i32_e64 s0, v40, v55
	scratch_store_b32 off, v6, s32 offset:432 ; 4-byte Folded Spill
	scratch_load_b32 v6, off, s32 offset:448 ; 4-byte Folded Reload
	s_waitcnt vmcnt(0)
	v_cndmask_b32_e64 v6, 0, v6, s0
	v_cmp_lt_i32_e64 s0, v183, v55
	scratch_store_b32 off, v6, s32 offset:448 ; 4-byte Folded Spill
	scratch_load_b32 v6, off, s32 offset:440 ; 4-byte Folded Reload
	s_waitcnt vmcnt(0)
	;; [unrolled: 5-line block ×3, first 2 shown]
	v_cndmask_b32_e64 v6, 0, v6, s0
	scratch_store_b32 off, v6, s32 offset:424 ; 4-byte Folded Spill
.LBB285_1703:                           ;   in Loop: Header=BB285_1567 Depth=1
	s_or_b32 exec_lo, exec_lo, s8
	flat_load_b32 v6, v[4:5] offset:512
	v_mov_b32_e32 v16, 0
	v_mov_b32_e32 v17, 0
	s_delay_alu instid0(VALU_DEP_2) | instskip(SKIP_1) | instid1(VALU_DEP_2)
	v_mov_b32_e32 v14, v16
	s_mov_b32 s8, exec_lo
	v_mov_b32_e32 v15, v17
	s_waitcnt vmcnt(0) lgkmcnt(0)
	v_and_b32_e32 v7, 0xff, v6
	s_delay_alu instid0(VALU_DEP_1)
	v_cmpx_ne_u16_e32 0, v7
	s_cbranch_execz .LBB285_1711
; %bb.1704:                             ;   in Loop: Header=BB285_1567 Depth=1
	v_bfrev_b32_e32 v14, 1
	v_mov_b32_e32 v15, 0
	s_mov_b32 s13, exec_lo
	v_cmpx_ne_u16_e32 0x80, v7
	s_cbranch_execz .LBB285_1710
; %bb.1705:                             ;   in Loop: Header=BB285_1567 Depth=1
	v_mov_b32_e32 v14, 0x7f800001
	v_dual_mov_b32 v15, 0 :: v_dual_and_b32 v18, 0x7f, v6
	s_mov_b32 s15, exec_lo
	s_delay_alu instid0(VALU_DEP_1)
	v_cmpx_ne_u32_e32 0x7f, v18
	s_cbranch_execz .LBB285_1709
; %bb.1706:                             ;   in Loop: Header=BB285_1567 Depth=1
	v_and_b32_e32 v8, 7, v6
	v_lshrrev_b32_e32 v7, 3, v18
	s_mov_b32 s17, exec_lo
	v_cmpx_gt_u32_e32 8, v18
; %bb.1707:                             ;   in Loop: Header=BB285_1567 Depth=1
	s_delay_alu instid0(VALU_DEP_3) | instskip(NEXT) | instid1(VALU_DEP_1)
	v_clz_i32_u32_e32 v7, v8
	v_min_u32_e32 v7, 32, v7
	s_delay_alu instid0(VALU_DEP_1) | instskip(SKIP_1) | instid1(VALU_DEP_2)
	v_subrev_nc_u32_e32 v14, 28, v7
	v_sub_nc_u32_e32 v7, 29, v7
	v_lshlrev_b64 v[14:15], v14, v[8:9]
	s_delay_alu instid0(VALU_DEP_1)
	v_and_b32_e32 v8, 7, v14
; %bb.1708:                             ;   in Loop: Header=BB285_1567 Depth=1
	s_or_b32 exec_lo, exec_lo, s17
	v_lshlrev_b32_e32 v14, 24, v6
	s_delay_alu instid0(VALU_DEP_2) | instskip(SKIP_1) | instid1(VALU_DEP_3)
	v_lshlrev_b32_e32 v8, 20, v8
	v_lshl_add_u32 v7, v7, 23, 0x3c000000
	v_and_b32_e32 v14, 0x80000000, v14
	s_delay_alu instid0(VALU_DEP_1) | instskip(NEXT) | instid1(VALU_DEP_1)
	v_or3_b32 v8, v8, v14, v7
	v_dual_mov_b32 v15, v9 :: v_dual_mov_b32 v14, v8
.LBB285_1709:                           ;   in Loop: Header=BB285_1567 Depth=1
	s_or_b32 exec_lo, exec_lo, s15
.LBB285_1710:                           ;   in Loop: Header=BB285_1567 Depth=1
	s_delay_alu instid0(SALU_CYCLE_1)
	s_or_b32 exec_lo, exec_lo, s13
.LBB285_1711:                           ;   in Loop: Header=BB285_1567 Depth=1
	s_delay_alu instid0(SALU_CYCLE_1) | instskip(SKIP_2) | instid1(VALU_DEP_1)
	s_or_b32 exec_lo, exec_lo, s8
	v_lshrrev_b16 v7, 8, v6
	s_mov_b32 s13, exec_lo
	v_cmpx_ne_u16_e32 0, v7
	s_cbranch_execz .LBB285_1719
; %bb.1712:                             ;   in Loop: Header=BB285_1567 Depth=1
	v_dual_mov_b32 v17, s3 :: v_dual_mov_b32 v16, s2
	s_mov_b32 s15, exec_lo
	v_cmpx_ne_u16_e32 0x80, v7
	s_cbranch_execz .LBB285_1718
; %bb.1713:                             ;   in Loop: Header=BB285_1567 Depth=1
	s_mov_b32 s8, s2
	v_and_b32_e32 v7, 0xffff, v7
	v_dual_mov_b32 v17, s9 :: v_dual_mov_b32 v16, s8
	s_mov_b32 s8, exec_lo
	s_delay_alu instid0(VALU_DEP_2) | instskip(NEXT) | instid1(VALU_DEP_1)
	v_and_b32_e32 v18, 0x7f, v7
	v_cmpx_ne_u32_e32 0x7f, v18
	s_cbranch_execz .LBB285_1717
; %bb.1714:                             ;   in Loop: Header=BB285_1567 Depth=1
	v_and_b32_e32 v8, 7, v7
	v_lshrrev_b32_e32 v7, 3, v18
	s_mov_b32 s17, exec_lo
	v_cmpx_gt_u32_e32 8, v18
; %bb.1715:                             ;   in Loop: Header=BB285_1567 Depth=1
	s_delay_alu instid0(VALU_DEP_3) | instskip(NEXT) | instid1(VALU_DEP_1)
	v_clz_i32_u32_e32 v7, v8
	v_min_u32_e32 v7, 32, v7
	s_delay_alu instid0(VALU_DEP_1) | instskip(SKIP_1) | instid1(VALU_DEP_2)
	v_subrev_nc_u32_e32 v16, 28, v7
	v_sub_nc_u32_e32 v7, 29, v7
	v_lshlrev_b64 v[16:17], v16, v[8:9]
	s_delay_alu instid0(VALU_DEP_1)
	v_and_b32_e32 v8, 7, v16
; %bb.1716:                             ;   in Loop: Header=BB285_1567 Depth=1
	s_or_b32 exec_lo, exec_lo, s17
	v_lshlrev_b32_e32 v16, 16, v6
	s_delay_alu instid0(VALU_DEP_2) | instskip(SKIP_1) | instid1(VALU_DEP_3)
	v_lshlrev_b32_e32 v8, 20, v8
	v_lshl_add_u32 v7, v7, 23, 0x3c000000
	v_and_b32_e32 v16, 0x80000000, v16
	s_delay_alu instid0(VALU_DEP_1)
	v_or3_b32 v17, v8, v16, v7
	v_mov_b32_e32 v16, v9
.LBB285_1717:                           ;   in Loop: Header=BB285_1567 Depth=1
	s_or_b32 exec_lo, exec_lo, s8
.LBB285_1718:                           ;   in Loop: Header=BB285_1567 Depth=1
	s_delay_alu instid0(SALU_CYCLE_1)
	s_or_b32 exec_lo, exec_lo, s15
.LBB285_1719:                           ;   in Loop: Header=BB285_1567 Depth=1
	s_delay_alu instid0(SALU_CYCLE_1) | instskip(SKIP_4) | instid1(VALU_DEP_2)
	s_or_b32 exec_lo, exec_lo, s13
	v_mov_b32_e32 v20, 0
	v_lshrrev_b32_e32 v7, 16, v6
	v_mov_b32_e32 v21, 0
	s_mov_b32 s8, exec_lo
	v_and_b32_e32 v8, 0xff, v7
	s_delay_alu instid0(VALU_DEP_2) | instskip(NEXT) | instid1(VALU_DEP_2)
	v_dual_mov_b32 v18, v20 :: v_dual_mov_b32 v19, v21
	v_cmpx_ne_u16_e32 0, v8
	s_cbranch_execz .LBB285_1727
; %bb.1720:                             ;   in Loop: Header=BB285_1567 Depth=1
	v_bfrev_b32_e32 v18, 1
	v_mov_b32_e32 v19, 0
	s_mov_b32 s13, exec_lo
	v_cmpx_ne_u16_e32 0x80, v8
	s_cbranch_execz .LBB285_1726
; %bb.1721:                             ;   in Loop: Header=BB285_1567 Depth=1
	v_mov_b32_e32 v18, 0x7f800001
	v_bfe_u32 v22, v6, 16, 7
	v_mov_b32_e32 v19, 0
	s_mov_b32 s15, exec_lo
	s_delay_alu instid0(VALU_DEP_2)
	v_cmpx_ne_u32_e32 0x7f, v22
	s_cbranch_execz .LBB285_1725
; %bb.1722:                             ;   in Loop: Header=BB285_1567 Depth=1
	v_and_b32_e32 v8, 7, v7
	v_lshrrev_b32_e32 v18, 3, v22
	s_mov_b32 s17, exec_lo
	v_cmpx_gt_u32_e32 8, v22
; %bb.1723:                             ;   in Loop: Header=BB285_1567 Depth=1
	s_delay_alu instid0(VALU_DEP_3) | instskip(NEXT) | instid1(VALU_DEP_1)
	v_clz_i32_u32_e32 v18, v8
	v_min_u32_e32 v18, 32, v18
	s_delay_alu instid0(VALU_DEP_1) | instskip(SKIP_1) | instid1(VALU_DEP_2)
	v_subrev_nc_u32_e32 v19, 28, v18
	v_sub_nc_u32_e32 v18, 29, v18
	v_lshlrev_b64 v[22:23], v19, v[8:9]
	s_delay_alu instid0(VALU_DEP_1)
	v_and_b32_e32 v8, 7, v22
; %bb.1724:                             ;   in Loop: Header=BB285_1567 Depth=1
	s_or_b32 exec_lo, exec_lo, s17
	v_lshlrev_b32_e32 v7, 24, v7
	s_delay_alu instid0(VALU_DEP_2) | instskip(SKIP_1) | instid1(VALU_DEP_3)
	v_lshlrev_b32_e32 v8, 20, v8
	v_lshl_add_u32 v18, v18, 23, 0x3c000000
	v_and_b32_e32 v7, 0x80000000, v7
	s_delay_alu instid0(VALU_DEP_1) | instskip(NEXT) | instid1(VALU_DEP_1)
	v_or3_b32 v8, v8, v7, v18
	v_dual_mov_b32 v19, v9 :: v_dual_mov_b32 v18, v8
.LBB285_1725:                           ;   in Loop: Header=BB285_1567 Depth=1
	s_or_b32 exec_lo, exec_lo, s15
.LBB285_1726:                           ;   in Loop: Header=BB285_1567 Depth=1
	s_delay_alu instid0(SALU_CYCLE_1)
	s_or_b32 exec_lo, exec_lo, s13
.LBB285_1727:                           ;   in Loop: Header=BB285_1567 Depth=1
	s_delay_alu instid0(SALU_CYCLE_1) | instskip(NEXT) | instid1(SALU_CYCLE_1)
	s_or_b32 exec_lo, exec_lo, s8
	s_mov_b32 s13, exec_lo
	v_cmpx_lt_u32_e32 0xffffff, v6
	s_cbranch_execz .LBB285_1735
; %bb.1728:                             ;   in Loop: Header=BB285_1567 Depth=1
	v_lshrrev_b32_e32 v7, 24, v6
	v_dual_mov_b32 v21, s3 :: v_dual_mov_b32 v20, s2
	s_mov_b32 s15, exec_lo
	s_delay_alu instid0(VALU_DEP_2)
	v_cmpx_ne_u32_e32 0x80, v7
	s_cbranch_execz .LBB285_1734
; %bb.1729:                             ;   in Loop: Header=BB285_1567 Depth=1
	s_mov_b32 s8, s2
	v_bfe_u32 v22, v6, 24, 7
	v_dual_mov_b32 v21, s9 :: v_dual_mov_b32 v20, s8
	s_mov_b32 s8, exec_lo
	s_delay_alu instid0(VALU_DEP_2)
	v_cmpx_ne_u32_e32 0x7f, v22
	s_cbranch_execz .LBB285_1733
; %bb.1730:                             ;   in Loop: Header=BB285_1567 Depth=1
	v_and_b32_e32 v8, 7, v7
	v_lshrrev_b32_e32 v6, 3, v22
	s_mov_b32 s17, exec_lo
	v_cmpx_gt_u32_e32 8, v22
; %bb.1731:                             ;   in Loop: Header=BB285_1567 Depth=1
	s_delay_alu instid0(VALU_DEP_3) | instskip(NEXT) | instid1(VALU_DEP_1)
	v_clz_i32_u32_e32 v6, v8
	v_min_u32_e32 v6, 32, v6
	s_delay_alu instid0(VALU_DEP_1) | instskip(SKIP_1) | instid1(VALU_DEP_2)
	v_subrev_nc_u32_e32 v20, 28, v6
	v_sub_nc_u32_e32 v6, 29, v6
	v_lshlrev_b64 v[20:21], v20, v[8:9]
	s_delay_alu instid0(VALU_DEP_1)
	v_and_b32_e32 v8, 7, v20
; %bb.1732:                             ;   in Loop: Header=BB285_1567 Depth=1
	s_or_b32 exec_lo, exec_lo, s17
	v_dual_mov_b32 v20, v9 :: v_dual_lshlrev_b32 v7, 24, v7
	s_delay_alu instid0(VALU_DEP_2) | instskip(SKIP_1) | instid1(VALU_DEP_3)
	v_lshlrev_b32_e32 v8, 20, v8
	v_lshl_add_u32 v6, v6, 23, 0x3c000000
	v_and_b32_e32 v7, 0x80000000, v7
	s_delay_alu instid0(VALU_DEP_1)
	v_or3_b32 v21, v8, v7, v6
.LBB285_1733:                           ;   in Loop: Header=BB285_1567 Depth=1
	s_or_b32 exec_lo, exec_lo, s8
.LBB285_1734:                           ;   in Loop: Header=BB285_1567 Depth=1
	s_delay_alu instid0(SALU_CYCLE_1)
	s_or_b32 exec_lo, exec_lo, s15
.LBB285_1735:                           ;   in Loop: Header=BB285_1567 Depth=1
	s_delay_alu instid0(SALU_CYCLE_1) | instskip(SKIP_4) | instid1(VALU_DEP_4)
	s_or_b32 exec_lo, exec_lo, s13
	v_or_b32_e32 v6, v17, v15
	v_or_b32_e32 v7, v16, v14
	;; [unrolled: 1-line block ×4, first 2 shown]
	v_mul_f32_e32 v6, v161, v6
	scratch_store_b32 off, v6, s32 offset:480 ; 4-byte Folded Spill
	v_mul_f32_e32 v6, v115, v7
	scratch_store_b32 off, v6, s32 offset:472 ; 4-byte Folded Spill
	;; [unrolled: 2-line block ×4, first 2 shown]
	s_and_saveexec_b32 s8, vcc_lo
	s_cbranch_execz .LBB285_1737
; %bb.1736:                             ;   in Loop: Header=BB285_1567 Depth=1
	scratch_load_b32 v6, off, s32 offset:472 ; 4-byte Folded Reload
	v_cmp_lt_i32_e64 s0, v182, v55
	s_waitcnt vmcnt(0)
	s_delay_alu instid0(VALU_DEP_1)
	v_cndmask_b32_e64 v6, 0, v6, s0
	v_cmp_lt_i32_e64 s0, v40, v55
	scratch_store_b32 off, v6, s32 offset:472 ; 4-byte Folded Spill
	scratch_load_b32 v6, off, s32 offset:480 ; 4-byte Folded Reload
	s_waitcnt vmcnt(0)
	v_cndmask_b32_e64 v6, 0, v6, s0
	v_cmp_lt_i32_e64 s0, v183, v55
	scratch_store_b32 off, v6, s32 offset:480 ; 4-byte Folded Spill
	scratch_load_b32 v6, off, s32 offset:464 ; 4-byte Folded Reload
	s_waitcnt vmcnt(0)
	;; [unrolled: 5-line block ×3, first 2 shown]
	v_cndmask_b32_e64 v6, 0, v6, s0
	scratch_store_b32 off, v6, s32 offset:456 ; 4-byte Folded Spill
.LBB285_1737:                           ;   in Loop: Header=BB285_1567 Depth=1
	s_or_b32 exec_lo, exec_lo, s8
	flat_load_b32 v6, v[4:5] offset:640
	v_mov_b32_e32 v16, 0
	v_mov_b32_e32 v17, 0
	s_delay_alu instid0(VALU_DEP_2) | instskip(SKIP_1) | instid1(VALU_DEP_2)
	v_mov_b32_e32 v14, v16
	s_mov_b32 s8, exec_lo
	v_mov_b32_e32 v15, v17
	s_waitcnt vmcnt(0) lgkmcnt(0)
	v_and_b32_e32 v7, 0xff, v6
	s_delay_alu instid0(VALU_DEP_1)
	v_cmpx_ne_u16_e32 0, v7
	s_cbranch_execz .LBB285_1745
; %bb.1738:                             ;   in Loop: Header=BB285_1567 Depth=1
	v_bfrev_b32_e32 v14, 1
	v_mov_b32_e32 v15, 0
	s_mov_b32 s13, exec_lo
	v_cmpx_ne_u16_e32 0x80, v7
	s_cbranch_execz .LBB285_1744
; %bb.1739:                             ;   in Loop: Header=BB285_1567 Depth=1
	v_mov_b32_e32 v14, 0x7f800001
	v_dual_mov_b32 v15, 0 :: v_dual_and_b32 v18, 0x7f, v6
	s_mov_b32 s15, exec_lo
	s_delay_alu instid0(VALU_DEP_1)
	v_cmpx_ne_u32_e32 0x7f, v18
	s_cbranch_execz .LBB285_1743
; %bb.1740:                             ;   in Loop: Header=BB285_1567 Depth=1
	v_and_b32_e32 v8, 7, v6
	v_lshrrev_b32_e32 v7, 3, v18
	s_mov_b32 s17, exec_lo
	v_cmpx_gt_u32_e32 8, v18
; %bb.1741:                             ;   in Loop: Header=BB285_1567 Depth=1
	s_delay_alu instid0(VALU_DEP_3) | instskip(NEXT) | instid1(VALU_DEP_1)
	v_clz_i32_u32_e32 v7, v8
	v_min_u32_e32 v7, 32, v7
	s_delay_alu instid0(VALU_DEP_1) | instskip(SKIP_1) | instid1(VALU_DEP_2)
	v_subrev_nc_u32_e32 v14, 28, v7
	v_sub_nc_u32_e32 v7, 29, v7
	v_lshlrev_b64 v[14:15], v14, v[8:9]
	s_delay_alu instid0(VALU_DEP_1)
	v_and_b32_e32 v8, 7, v14
; %bb.1742:                             ;   in Loop: Header=BB285_1567 Depth=1
	s_or_b32 exec_lo, exec_lo, s17
	v_lshlrev_b32_e32 v14, 24, v6
	s_delay_alu instid0(VALU_DEP_2) | instskip(SKIP_1) | instid1(VALU_DEP_3)
	v_lshlrev_b32_e32 v8, 20, v8
	v_lshl_add_u32 v7, v7, 23, 0x3c000000
	v_and_b32_e32 v14, 0x80000000, v14
	s_delay_alu instid0(VALU_DEP_1) | instskip(NEXT) | instid1(VALU_DEP_1)
	v_or3_b32 v8, v8, v14, v7
	v_dual_mov_b32 v15, v9 :: v_dual_mov_b32 v14, v8
.LBB285_1743:                           ;   in Loop: Header=BB285_1567 Depth=1
	s_or_b32 exec_lo, exec_lo, s15
.LBB285_1744:                           ;   in Loop: Header=BB285_1567 Depth=1
	s_delay_alu instid0(SALU_CYCLE_1)
	s_or_b32 exec_lo, exec_lo, s13
.LBB285_1745:                           ;   in Loop: Header=BB285_1567 Depth=1
	s_delay_alu instid0(SALU_CYCLE_1) | instskip(SKIP_2) | instid1(VALU_DEP_1)
	s_or_b32 exec_lo, exec_lo, s8
	v_lshrrev_b16 v7, 8, v6
	s_mov_b32 s13, exec_lo
	v_cmpx_ne_u16_e32 0, v7
	s_cbranch_execz .LBB285_1753
; %bb.1746:                             ;   in Loop: Header=BB285_1567 Depth=1
	v_dual_mov_b32 v17, s3 :: v_dual_mov_b32 v16, s2
	s_mov_b32 s15, exec_lo
	v_cmpx_ne_u16_e32 0x80, v7
	s_cbranch_execz .LBB285_1752
; %bb.1747:                             ;   in Loop: Header=BB285_1567 Depth=1
	s_mov_b32 s8, s2
	v_and_b32_e32 v7, 0xffff, v7
	v_dual_mov_b32 v17, s9 :: v_dual_mov_b32 v16, s8
	s_mov_b32 s8, exec_lo
	s_delay_alu instid0(VALU_DEP_2) | instskip(NEXT) | instid1(VALU_DEP_1)
	v_and_b32_e32 v18, 0x7f, v7
	v_cmpx_ne_u32_e32 0x7f, v18
	s_cbranch_execz .LBB285_1751
; %bb.1748:                             ;   in Loop: Header=BB285_1567 Depth=1
	v_and_b32_e32 v8, 7, v7
	v_lshrrev_b32_e32 v7, 3, v18
	s_mov_b32 s17, exec_lo
	v_cmpx_gt_u32_e32 8, v18
; %bb.1749:                             ;   in Loop: Header=BB285_1567 Depth=1
	s_delay_alu instid0(VALU_DEP_3) | instskip(NEXT) | instid1(VALU_DEP_1)
	v_clz_i32_u32_e32 v7, v8
	v_min_u32_e32 v7, 32, v7
	s_delay_alu instid0(VALU_DEP_1) | instskip(SKIP_1) | instid1(VALU_DEP_2)
	v_subrev_nc_u32_e32 v16, 28, v7
	v_sub_nc_u32_e32 v7, 29, v7
	v_lshlrev_b64 v[16:17], v16, v[8:9]
	s_delay_alu instid0(VALU_DEP_1)
	v_and_b32_e32 v8, 7, v16
; %bb.1750:                             ;   in Loop: Header=BB285_1567 Depth=1
	s_or_b32 exec_lo, exec_lo, s17
	v_lshlrev_b32_e32 v16, 16, v6
	s_delay_alu instid0(VALU_DEP_2) | instskip(SKIP_1) | instid1(VALU_DEP_3)
	v_lshlrev_b32_e32 v8, 20, v8
	v_lshl_add_u32 v7, v7, 23, 0x3c000000
	v_and_b32_e32 v16, 0x80000000, v16
	s_delay_alu instid0(VALU_DEP_1)
	v_or3_b32 v17, v8, v16, v7
	v_mov_b32_e32 v16, v9
.LBB285_1751:                           ;   in Loop: Header=BB285_1567 Depth=1
	s_or_b32 exec_lo, exec_lo, s8
.LBB285_1752:                           ;   in Loop: Header=BB285_1567 Depth=1
	s_delay_alu instid0(SALU_CYCLE_1)
	s_or_b32 exec_lo, exec_lo, s15
.LBB285_1753:                           ;   in Loop: Header=BB285_1567 Depth=1
	s_delay_alu instid0(SALU_CYCLE_1) | instskip(SKIP_4) | instid1(VALU_DEP_2)
	s_or_b32 exec_lo, exec_lo, s13
	v_mov_b32_e32 v20, 0
	v_lshrrev_b32_e32 v7, 16, v6
	v_mov_b32_e32 v21, 0
	s_mov_b32 s8, exec_lo
	v_and_b32_e32 v8, 0xff, v7
	s_delay_alu instid0(VALU_DEP_2) | instskip(NEXT) | instid1(VALU_DEP_2)
	v_dual_mov_b32 v18, v20 :: v_dual_mov_b32 v19, v21
	v_cmpx_ne_u16_e32 0, v8
	s_cbranch_execz .LBB285_1761
; %bb.1754:                             ;   in Loop: Header=BB285_1567 Depth=1
	v_bfrev_b32_e32 v18, 1
	v_mov_b32_e32 v19, 0
	s_mov_b32 s13, exec_lo
	v_cmpx_ne_u16_e32 0x80, v8
	s_cbranch_execz .LBB285_1760
; %bb.1755:                             ;   in Loop: Header=BB285_1567 Depth=1
	v_mov_b32_e32 v18, 0x7f800001
	v_bfe_u32 v22, v6, 16, 7
	v_mov_b32_e32 v19, 0
	s_mov_b32 s15, exec_lo
	s_delay_alu instid0(VALU_DEP_2)
	v_cmpx_ne_u32_e32 0x7f, v22
	s_cbranch_execz .LBB285_1759
; %bb.1756:                             ;   in Loop: Header=BB285_1567 Depth=1
	v_and_b32_e32 v8, 7, v7
	v_lshrrev_b32_e32 v18, 3, v22
	s_mov_b32 s17, exec_lo
	v_cmpx_gt_u32_e32 8, v22
; %bb.1757:                             ;   in Loop: Header=BB285_1567 Depth=1
	s_delay_alu instid0(VALU_DEP_3) | instskip(NEXT) | instid1(VALU_DEP_1)
	v_clz_i32_u32_e32 v18, v8
	v_min_u32_e32 v18, 32, v18
	s_delay_alu instid0(VALU_DEP_1) | instskip(SKIP_1) | instid1(VALU_DEP_2)
	v_subrev_nc_u32_e32 v19, 28, v18
	v_sub_nc_u32_e32 v18, 29, v18
	v_lshlrev_b64 v[22:23], v19, v[8:9]
	s_delay_alu instid0(VALU_DEP_1)
	v_and_b32_e32 v8, 7, v22
; %bb.1758:                             ;   in Loop: Header=BB285_1567 Depth=1
	s_or_b32 exec_lo, exec_lo, s17
	v_lshlrev_b32_e32 v7, 24, v7
	s_delay_alu instid0(VALU_DEP_2) | instskip(SKIP_1) | instid1(VALU_DEP_3)
	v_lshlrev_b32_e32 v8, 20, v8
	v_lshl_add_u32 v18, v18, 23, 0x3c000000
	v_and_b32_e32 v7, 0x80000000, v7
	s_delay_alu instid0(VALU_DEP_1) | instskip(NEXT) | instid1(VALU_DEP_1)
	v_or3_b32 v8, v8, v7, v18
	v_dual_mov_b32 v19, v9 :: v_dual_mov_b32 v18, v8
.LBB285_1759:                           ;   in Loop: Header=BB285_1567 Depth=1
	s_or_b32 exec_lo, exec_lo, s15
.LBB285_1760:                           ;   in Loop: Header=BB285_1567 Depth=1
	s_delay_alu instid0(SALU_CYCLE_1)
	s_or_b32 exec_lo, exec_lo, s13
.LBB285_1761:                           ;   in Loop: Header=BB285_1567 Depth=1
	s_delay_alu instid0(SALU_CYCLE_1) | instskip(NEXT) | instid1(SALU_CYCLE_1)
	s_or_b32 exec_lo, exec_lo, s8
	s_mov_b32 s13, exec_lo
	v_cmpx_lt_u32_e32 0xffffff, v6
	s_cbranch_execz .LBB285_1769
; %bb.1762:                             ;   in Loop: Header=BB285_1567 Depth=1
	v_lshrrev_b32_e32 v7, 24, v6
	v_dual_mov_b32 v21, s3 :: v_dual_mov_b32 v20, s2
	s_mov_b32 s15, exec_lo
	s_delay_alu instid0(VALU_DEP_2)
	v_cmpx_ne_u32_e32 0x80, v7
	s_cbranch_execz .LBB285_1768
; %bb.1763:                             ;   in Loop: Header=BB285_1567 Depth=1
	s_mov_b32 s8, s2
	v_bfe_u32 v22, v6, 24, 7
	v_dual_mov_b32 v21, s9 :: v_dual_mov_b32 v20, s8
	s_mov_b32 s8, exec_lo
	s_delay_alu instid0(VALU_DEP_2)
	v_cmpx_ne_u32_e32 0x7f, v22
	s_cbranch_execz .LBB285_1767
; %bb.1764:                             ;   in Loop: Header=BB285_1567 Depth=1
	v_and_b32_e32 v8, 7, v7
	v_lshrrev_b32_e32 v6, 3, v22
	s_mov_b32 s17, exec_lo
	v_cmpx_gt_u32_e32 8, v22
; %bb.1765:                             ;   in Loop: Header=BB285_1567 Depth=1
	s_delay_alu instid0(VALU_DEP_3) | instskip(NEXT) | instid1(VALU_DEP_1)
	v_clz_i32_u32_e32 v6, v8
	v_min_u32_e32 v6, 32, v6
	s_delay_alu instid0(VALU_DEP_1) | instskip(SKIP_1) | instid1(VALU_DEP_2)
	v_subrev_nc_u32_e32 v20, 28, v6
	v_sub_nc_u32_e32 v6, 29, v6
	v_lshlrev_b64 v[20:21], v20, v[8:9]
	s_delay_alu instid0(VALU_DEP_1)
	v_and_b32_e32 v8, 7, v20
; %bb.1766:                             ;   in Loop: Header=BB285_1567 Depth=1
	s_or_b32 exec_lo, exec_lo, s17
	v_dual_mov_b32 v20, v9 :: v_dual_lshlrev_b32 v7, 24, v7
	s_delay_alu instid0(VALU_DEP_2) | instskip(SKIP_1) | instid1(VALU_DEP_3)
	v_lshlrev_b32_e32 v8, 20, v8
	v_lshl_add_u32 v6, v6, 23, 0x3c000000
	v_and_b32_e32 v7, 0x80000000, v7
	s_delay_alu instid0(VALU_DEP_1)
	v_or3_b32 v21, v8, v7, v6
.LBB285_1767:                           ;   in Loop: Header=BB285_1567 Depth=1
	s_or_b32 exec_lo, exec_lo, s8
.LBB285_1768:                           ;   in Loop: Header=BB285_1567 Depth=1
	s_delay_alu instid0(SALU_CYCLE_1)
	s_or_b32 exec_lo, exec_lo, s15
.LBB285_1769:                           ;   in Loop: Header=BB285_1567 Depth=1
	s_delay_alu instid0(SALU_CYCLE_1) | instskip(SKIP_4) | instid1(VALU_DEP_4)
	s_or_b32 exec_lo, exec_lo, s13
	v_or_b32_e32 v6, v17, v15
	v_or_b32_e32 v7, v16, v14
	;; [unrolled: 1-line block ×4, first 2 shown]
	v_mul_f32_e32 v6, v161, v6
	scratch_store_b32 off, v6, s32 offset:504 ; 4-byte Folded Spill
	v_mul_f32_e32 v6, v115, v7
	scratch_store_b32 off, v6, s32 offset:496 ; 4-byte Folded Spill
	v_mul_f32_e32 v6, v161, v8
	scratch_store_b32 off, v6, s32 offset:488 ; 4-byte Folded Spill
	v_mul_f32_e32 v6, v115, v14
	scratch_store_b32 off, v6, s32 offset:512 ; 4-byte Folded Spill
	s_and_saveexec_b32 s8, vcc_lo
	s_cbranch_execz .LBB285_1771
; %bb.1770:                             ;   in Loop: Header=BB285_1567 Depth=1
	scratch_load_b32 v6, off, s32 offset:496 ; 4-byte Folded Reload
	v_cmp_lt_i32_e64 s0, v182, v55
	s_waitcnt vmcnt(0)
	s_delay_alu instid0(VALU_DEP_1)
	v_cndmask_b32_e64 v6, 0, v6, s0
	v_cmp_lt_i32_e64 s0, v40, v55
	scratch_store_b32 off, v6, s32 offset:496 ; 4-byte Folded Spill
	scratch_load_b32 v6, off, s32 offset:504 ; 4-byte Folded Reload
	s_waitcnt vmcnt(0)
	v_cndmask_b32_e64 v6, 0, v6, s0
	v_cmp_lt_i32_e64 s0, v183, v55
	scratch_store_b32 off, v6, s32 offset:504 ; 4-byte Folded Spill
	scratch_load_b32 v6, off, s32 offset:512 ; 4-byte Folded Reload
	s_waitcnt vmcnt(0)
	;; [unrolled: 5-line block ×3, first 2 shown]
	v_cndmask_b32_e64 v6, 0, v6, s0
	scratch_store_b32 off, v6, s32 offset:488 ; 4-byte Folded Spill
.LBB285_1771:                           ;   in Loop: Header=BB285_1567 Depth=1
	s_or_b32 exec_lo, exec_lo, s8
	flat_load_b32 v6, v[4:5] offset:768
	v_mov_b32_e32 v16, 0
	v_mov_b32_e32 v17, 0
	s_delay_alu instid0(VALU_DEP_2) | instskip(SKIP_1) | instid1(VALU_DEP_2)
	v_mov_b32_e32 v14, v16
	s_mov_b32 s8, exec_lo
	v_mov_b32_e32 v15, v17
	s_waitcnt vmcnt(0) lgkmcnt(0)
	v_and_b32_e32 v7, 0xff, v6
	s_delay_alu instid0(VALU_DEP_1)
	v_cmpx_ne_u16_e32 0, v7
	s_cbranch_execz .LBB285_1779
; %bb.1772:                             ;   in Loop: Header=BB285_1567 Depth=1
	v_bfrev_b32_e32 v14, 1
	v_mov_b32_e32 v15, 0
	s_mov_b32 s13, exec_lo
	v_cmpx_ne_u16_e32 0x80, v7
	s_cbranch_execz .LBB285_1778
; %bb.1773:                             ;   in Loop: Header=BB285_1567 Depth=1
	v_mov_b32_e32 v14, 0x7f800001
	v_dual_mov_b32 v15, 0 :: v_dual_and_b32 v18, 0x7f, v6
	s_mov_b32 s15, exec_lo
	s_delay_alu instid0(VALU_DEP_1)
	v_cmpx_ne_u32_e32 0x7f, v18
	s_cbranch_execz .LBB285_1777
; %bb.1774:                             ;   in Loop: Header=BB285_1567 Depth=1
	v_and_b32_e32 v8, 7, v6
	v_lshrrev_b32_e32 v7, 3, v18
	s_mov_b32 s17, exec_lo
	v_cmpx_gt_u32_e32 8, v18
; %bb.1775:                             ;   in Loop: Header=BB285_1567 Depth=1
	s_delay_alu instid0(VALU_DEP_3) | instskip(NEXT) | instid1(VALU_DEP_1)
	v_clz_i32_u32_e32 v7, v8
	v_min_u32_e32 v7, 32, v7
	s_delay_alu instid0(VALU_DEP_1) | instskip(SKIP_1) | instid1(VALU_DEP_2)
	v_subrev_nc_u32_e32 v14, 28, v7
	v_sub_nc_u32_e32 v7, 29, v7
	v_lshlrev_b64 v[14:15], v14, v[8:9]
	s_delay_alu instid0(VALU_DEP_1)
	v_and_b32_e32 v8, 7, v14
; %bb.1776:                             ;   in Loop: Header=BB285_1567 Depth=1
	s_or_b32 exec_lo, exec_lo, s17
	v_lshlrev_b32_e32 v14, 24, v6
	s_delay_alu instid0(VALU_DEP_2) | instskip(SKIP_1) | instid1(VALU_DEP_3)
	v_lshlrev_b32_e32 v8, 20, v8
	v_lshl_add_u32 v7, v7, 23, 0x3c000000
	v_and_b32_e32 v14, 0x80000000, v14
	s_delay_alu instid0(VALU_DEP_1) | instskip(NEXT) | instid1(VALU_DEP_1)
	v_or3_b32 v8, v8, v14, v7
	v_dual_mov_b32 v15, v9 :: v_dual_mov_b32 v14, v8
.LBB285_1777:                           ;   in Loop: Header=BB285_1567 Depth=1
	s_or_b32 exec_lo, exec_lo, s15
.LBB285_1778:                           ;   in Loop: Header=BB285_1567 Depth=1
	s_delay_alu instid0(SALU_CYCLE_1)
	s_or_b32 exec_lo, exec_lo, s13
.LBB285_1779:                           ;   in Loop: Header=BB285_1567 Depth=1
	s_delay_alu instid0(SALU_CYCLE_1) | instskip(SKIP_2) | instid1(VALU_DEP_1)
	s_or_b32 exec_lo, exec_lo, s8
	v_lshrrev_b16 v7, 8, v6
	s_mov_b32 s13, exec_lo
	v_cmpx_ne_u16_e32 0, v7
	s_cbranch_execz .LBB285_1787
; %bb.1780:                             ;   in Loop: Header=BB285_1567 Depth=1
	v_dual_mov_b32 v17, s3 :: v_dual_mov_b32 v16, s2
	s_mov_b32 s15, exec_lo
	v_cmpx_ne_u16_e32 0x80, v7
	s_cbranch_execz .LBB285_1786
; %bb.1781:                             ;   in Loop: Header=BB285_1567 Depth=1
	s_mov_b32 s8, s2
	v_and_b32_e32 v7, 0xffff, v7
	v_dual_mov_b32 v17, s9 :: v_dual_mov_b32 v16, s8
	s_mov_b32 s8, exec_lo
	s_delay_alu instid0(VALU_DEP_2) | instskip(NEXT) | instid1(VALU_DEP_1)
	v_and_b32_e32 v18, 0x7f, v7
	v_cmpx_ne_u32_e32 0x7f, v18
	s_cbranch_execz .LBB285_1785
; %bb.1782:                             ;   in Loop: Header=BB285_1567 Depth=1
	v_and_b32_e32 v8, 7, v7
	v_lshrrev_b32_e32 v7, 3, v18
	s_mov_b32 s17, exec_lo
	v_cmpx_gt_u32_e32 8, v18
; %bb.1783:                             ;   in Loop: Header=BB285_1567 Depth=1
	s_delay_alu instid0(VALU_DEP_3) | instskip(NEXT) | instid1(VALU_DEP_1)
	v_clz_i32_u32_e32 v7, v8
	v_min_u32_e32 v7, 32, v7
	s_delay_alu instid0(VALU_DEP_1) | instskip(SKIP_1) | instid1(VALU_DEP_2)
	v_subrev_nc_u32_e32 v16, 28, v7
	v_sub_nc_u32_e32 v7, 29, v7
	v_lshlrev_b64 v[16:17], v16, v[8:9]
	s_delay_alu instid0(VALU_DEP_1)
	v_and_b32_e32 v8, 7, v16
; %bb.1784:                             ;   in Loop: Header=BB285_1567 Depth=1
	s_or_b32 exec_lo, exec_lo, s17
	v_lshlrev_b32_e32 v16, 16, v6
	s_delay_alu instid0(VALU_DEP_2) | instskip(SKIP_1) | instid1(VALU_DEP_3)
	v_lshlrev_b32_e32 v8, 20, v8
	v_lshl_add_u32 v7, v7, 23, 0x3c000000
	v_and_b32_e32 v16, 0x80000000, v16
	s_delay_alu instid0(VALU_DEP_1)
	v_or3_b32 v17, v8, v16, v7
	v_mov_b32_e32 v16, v9
.LBB285_1785:                           ;   in Loop: Header=BB285_1567 Depth=1
	s_or_b32 exec_lo, exec_lo, s8
.LBB285_1786:                           ;   in Loop: Header=BB285_1567 Depth=1
	s_delay_alu instid0(SALU_CYCLE_1)
	s_or_b32 exec_lo, exec_lo, s15
.LBB285_1787:                           ;   in Loop: Header=BB285_1567 Depth=1
	s_delay_alu instid0(SALU_CYCLE_1) | instskip(SKIP_4) | instid1(VALU_DEP_2)
	s_or_b32 exec_lo, exec_lo, s13
	v_mov_b32_e32 v20, 0
	v_lshrrev_b32_e32 v7, 16, v6
	v_mov_b32_e32 v21, 0
	s_mov_b32 s8, exec_lo
	v_and_b32_e32 v8, 0xff, v7
	s_delay_alu instid0(VALU_DEP_2) | instskip(NEXT) | instid1(VALU_DEP_2)
	v_dual_mov_b32 v18, v20 :: v_dual_mov_b32 v19, v21
	v_cmpx_ne_u16_e32 0, v8
	s_cbranch_execz .LBB285_1795
; %bb.1788:                             ;   in Loop: Header=BB285_1567 Depth=1
	v_bfrev_b32_e32 v18, 1
	v_mov_b32_e32 v19, 0
	s_mov_b32 s13, exec_lo
	v_cmpx_ne_u16_e32 0x80, v8
	s_cbranch_execz .LBB285_1794
; %bb.1789:                             ;   in Loop: Header=BB285_1567 Depth=1
	v_mov_b32_e32 v18, 0x7f800001
	v_bfe_u32 v22, v6, 16, 7
	v_mov_b32_e32 v19, 0
	s_mov_b32 s15, exec_lo
	s_delay_alu instid0(VALU_DEP_2)
	v_cmpx_ne_u32_e32 0x7f, v22
	s_cbranch_execz .LBB285_1793
; %bb.1790:                             ;   in Loop: Header=BB285_1567 Depth=1
	v_and_b32_e32 v8, 7, v7
	v_lshrrev_b32_e32 v18, 3, v22
	s_mov_b32 s17, exec_lo
	v_cmpx_gt_u32_e32 8, v22
; %bb.1791:                             ;   in Loop: Header=BB285_1567 Depth=1
	s_delay_alu instid0(VALU_DEP_3) | instskip(NEXT) | instid1(VALU_DEP_1)
	v_clz_i32_u32_e32 v18, v8
	v_min_u32_e32 v18, 32, v18
	s_delay_alu instid0(VALU_DEP_1) | instskip(SKIP_1) | instid1(VALU_DEP_2)
	v_subrev_nc_u32_e32 v19, 28, v18
	v_sub_nc_u32_e32 v18, 29, v18
	v_lshlrev_b64 v[22:23], v19, v[8:9]
	s_delay_alu instid0(VALU_DEP_1)
	v_and_b32_e32 v8, 7, v22
; %bb.1792:                             ;   in Loop: Header=BB285_1567 Depth=1
	s_or_b32 exec_lo, exec_lo, s17
	v_lshlrev_b32_e32 v7, 24, v7
	s_delay_alu instid0(VALU_DEP_2) | instskip(SKIP_1) | instid1(VALU_DEP_3)
	v_lshlrev_b32_e32 v8, 20, v8
	v_lshl_add_u32 v18, v18, 23, 0x3c000000
	v_and_b32_e32 v7, 0x80000000, v7
	s_delay_alu instid0(VALU_DEP_1) | instskip(NEXT) | instid1(VALU_DEP_1)
	v_or3_b32 v8, v8, v7, v18
	v_dual_mov_b32 v19, v9 :: v_dual_mov_b32 v18, v8
.LBB285_1793:                           ;   in Loop: Header=BB285_1567 Depth=1
	s_or_b32 exec_lo, exec_lo, s15
.LBB285_1794:                           ;   in Loop: Header=BB285_1567 Depth=1
	s_delay_alu instid0(SALU_CYCLE_1)
	s_or_b32 exec_lo, exec_lo, s13
.LBB285_1795:                           ;   in Loop: Header=BB285_1567 Depth=1
	s_delay_alu instid0(SALU_CYCLE_1) | instskip(NEXT) | instid1(SALU_CYCLE_1)
	s_or_b32 exec_lo, exec_lo, s8
	s_mov_b32 s13, exec_lo
	v_cmpx_lt_u32_e32 0xffffff, v6
	s_cbranch_execz .LBB285_1803
; %bb.1796:                             ;   in Loop: Header=BB285_1567 Depth=1
	v_lshrrev_b32_e32 v7, 24, v6
	v_dual_mov_b32 v21, s3 :: v_dual_mov_b32 v20, s2
	s_mov_b32 s15, exec_lo
	s_delay_alu instid0(VALU_DEP_2)
	v_cmpx_ne_u32_e32 0x80, v7
	s_cbranch_execz .LBB285_1802
; %bb.1797:                             ;   in Loop: Header=BB285_1567 Depth=1
	s_mov_b32 s8, s2
	v_bfe_u32 v22, v6, 24, 7
	v_dual_mov_b32 v21, s9 :: v_dual_mov_b32 v20, s8
	s_mov_b32 s8, exec_lo
	s_delay_alu instid0(VALU_DEP_2)
	v_cmpx_ne_u32_e32 0x7f, v22
	s_cbranch_execz .LBB285_1801
; %bb.1798:                             ;   in Loop: Header=BB285_1567 Depth=1
	v_and_b32_e32 v8, 7, v7
	v_lshrrev_b32_e32 v6, 3, v22
	s_mov_b32 s17, exec_lo
	v_cmpx_gt_u32_e32 8, v22
; %bb.1799:                             ;   in Loop: Header=BB285_1567 Depth=1
	s_delay_alu instid0(VALU_DEP_3) | instskip(NEXT) | instid1(VALU_DEP_1)
	v_clz_i32_u32_e32 v6, v8
	v_min_u32_e32 v6, 32, v6
	s_delay_alu instid0(VALU_DEP_1) | instskip(SKIP_1) | instid1(VALU_DEP_2)
	v_subrev_nc_u32_e32 v20, 28, v6
	v_sub_nc_u32_e32 v6, 29, v6
	v_lshlrev_b64 v[20:21], v20, v[8:9]
	s_delay_alu instid0(VALU_DEP_1)
	v_and_b32_e32 v8, 7, v20
; %bb.1800:                             ;   in Loop: Header=BB285_1567 Depth=1
	s_or_b32 exec_lo, exec_lo, s17
	v_dual_mov_b32 v20, v9 :: v_dual_lshlrev_b32 v7, 24, v7
	s_delay_alu instid0(VALU_DEP_2) | instskip(SKIP_1) | instid1(VALU_DEP_3)
	v_lshlrev_b32_e32 v8, 20, v8
	v_lshl_add_u32 v6, v6, 23, 0x3c000000
	v_and_b32_e32 v7, 0x80000000, v7
	s_delay_alu instid0(VALU_DEP_1)
	v_or3_b32 v21, v8, v7, v6
.LBB285_1801:                           ;   in Loop: Header=BB285_1567 Depth=1
	s_or_b32 exec_lo, exec_lo, s8
.LBB285_1802:                           ;   in Loop: Header=BB285_1567 Depth=1
	s_delay_alu instid0(SALU_CYCLE_1)
	s_or_b32 exec_lo, exec_lo, s15
.LBB285_1803:                           ;   in Loop: Header=BB285_1567 Depth=1
	s_delay_alu instid0(SALU_CYCLE_1) | instskip(SKIP_4) | instid1(VALU_DEP_4)
	s_or_b32 exec_lo, exec_lo, s13
	v_or_b32_e32 v6, v17, v15
	v_or_b32_e32 v7, v16, v14
	;; [unrolled: 1-line block ×4, first 2 shown]
	v_mul_f32_e32 v6, v161, v6
	scratch_store_b32 off, v6, s32 offset:536 ; 4-byte Folded Spill
	v_mul_f32_e32 v6, v115, v7
	scratch_store_b32 off, v6, s32 offset:528 ; 4-byte Folded Spill
	;; [unrolled: 2-line block ×4, first 2 shown]
	s_and_saveexec_b32 s8, vcc_lo
	s_cbranch_execz .LBB285_1805
; %bb.1804:                             ;   in Loop: Header=BB285_1567 Depth=1
	scratch_load_b32 v6, off, s32 offset:528 ; 4-byte Folded Reload
	v_cmp_lt_i32_e64 s0, v182, v55
	s_waitcnt vmcnt(0)
	s_delay_alu instid0(VALU_DEP_1)
	v_cndmask_b32_e64 v6, 0, v6, s0
	v_cmp_lt_i32_e64 s0, v40, v55
	scratch_store_b32 off, v6, s32 offset:528 ; 4-byte Folded Spill
	scratch_load_b32 v6, off, s32 offset:536 ; 4-byte Folded Reload
	s_waitcnt vmcnt(0)
	v_cndmask_b32_e64 v6, 0, v6, s0
	v_cmp_lt_i32_e64 s0, v183, v55
	scratch_store_b32 off, v6, s32 offset:536 ; 4-byte Folded Spill
	scratch_load_b32 v6, off, s32 offset:544 ; 4-byte Folded Reload
	s_waitcnt vmcnt(0)
	;; [unrolled: 5-line block ×3, first 2 shown]
	v_cndmask_b32_e64 v6, 0, v6, s0
	scratch_store_b32 off, v6, s32 offset:520 ; 4-byte Folded Spill
.LBB285_1805:                           ;   in Loop: Header=BB285_1567 Depth=1
	s_or_b32 exec_lo, exec_lo, s8
	flat_load_b32 v6, v[4:5] offset:896
	v_mov_b32_e32 v16, 0
	v_mov_b32_e32 v17, 0
	s_delay_alu instid0(VALU_DEP_2) | instskip(SKIP_1) | instid1(VALU_DEP_2)
	v_mov_b32_e32 v14, v16
	s_mov_b32 s8, exec_lo
	v_mov_b32_e32 v15, v17
	s_waitcnt vmcnt(0) lgkmcnt(0)
	v_and_b32_e32 v7, 0xff, v6
	s_delay_alu instid0(VALU_DEP_1)
	v_cmpx_ne_u16_e32 0, v7
	s_cbranch_execz .LBB285_1813
; %bb.1806:                             ;   in Loop: Header=BB285_1567 Depth=1
	v_bfrev_b32_e32 v14, 1
	v_mov_b32_e32 v15, 0
	s_mov_b32 s13, exec_lo
	v_cmpx_ne_u16_e32 0x80, v7
	s_cbranch_execz .LBB285_1812
; %bb.1807:                             ;   in Loop: Header=BB285_1567 Depth=1
	v_mov_b32_e32 v14, 0x7f800001
	v_dual_mov_b32 v15, 0 :: v_dual_and_b32 v18, 0x7f, v6
	s_mov_b32 s15, exec_lo
	s_delay_alu instid0(VALU_DEP_1)
	v_cmpx_ne_u32_e32 0x7f, v18
	s_cbranch_execz .LBB285_1811
; %bb.1808:                             ;   in Loop: Header=BB285_1567 Depth=1
	v_and_b32_e32 v8, 7, v6
	v_lshrrev_b32_e32 v7, 3, v18
	s_mov_b32 s17, exec_lo
	v_cmpx_gt_u32_e32 8, v18
; %bb.1809:                             ;   in Loop: Header=BB285_1567 Depth=1
	s_delay_alu instid0(VALU_DEP_3) | instskip(NEXT) | instid1(VALU_DEP_1)
	v_clz_i32_u32_e32 v7, v8
	v_min_u32_e32 v7, 32, v7
	s_delay_alu instid0(VALU_DEP_1) | instskip(SKIP_1) | instid1(VALU_DEP_2)
	v_subrev_nc_u32_e32 v14, 28, v7
	v_sub_nc_u32_e32 v7, 29, v7
	v_lshlrev_b64 v[14:15], v14, v[8:9]
	s_delay_alu instid0(VALU_DEP_1)
	v_and_b32_e32 v8, 7, v14
; %bb.1810:                             ;   in Loop: Header=BB285_1567 Depth=1
	s_or_b32 exec_lo, exec_lo, s17
	v_lshlrev_b32_e32 v14, 24, v6
	s_delay_alu instid0(VALU_DEP_2) | instskip(SKIP_1) | instid1(VALU_DEP_3)
	v_lshlrev_b32_e32 v8, 20, v8
	v_lshl_add_u32 v7, v7, 23, 0x3c000000
	v_and_b32_e32 v14, 0x80000000, v14
	s_delay_alu instid0(VALU_DEP_1) | instskip(NEXT) | instid1(VALU_DEP_1)
	v_or3_b32 v8, v8, v14, v7
	v_dual_mov_b32 v15, v9 :: v_dual_mov_b32 v14, v8
.LBB285_1811:                           ;   in Loop: Header=BB285_1567 Depth=1
	s_or_b32 exec_lo, exec_lo, s15
.LBB285_1812:                           ;   in Loop: Header=BB285_1567 Depth=1
	s_delay_alu instid0(SALU_CYCLE_1)
	s_or_b32 exec_lo, exec_lo, s13
.LBB285_1813:                           ;   in Loop: Header=BB285_1567 Depth=1
	s_delay_alu instid0(SALU_CYCLE_1) | instskip(SKIP_2) | instid1(VALU_DEP_1)
	s_or_b32 exec_lo, exec_lo, s8
	v_lshrrev_b16 v7, 8, v6
	s_mov_b32 s13, exec_lo
	v_cmpx_ne_u16_e32 0, v7
	s_cbranch_execz .LBB285_1821
; %bb.1814:                             ;   in Loop: Header=BB285_1567 Depth=1
	v_dual_mov_b32 v17, s3 :: v_dual_mov_b32 v16, s2
	s_mov_b32 s15, exec_lo
	v_cmpx_ne_u16_e32 0x80, v7
	s_cbranch_execz .LBB285_1820
; %bb.1815:                             ;   in Loop: Header=BB285_1567 Depth=1
	s_mov_b32 s8, s2
	v_and_b32_e32 v7, 0xffff, v7
	v_dual_mov_b32 v17, s9 :: v_dual_mov_b32 v16, s8
	s_mov_b32 s8, exec_lo
	s_delay_alu instid0(VALU_DEP_2) | instskip(NEXT) | instid1(VALU_DEP_1)
	v_and_b32_e32 v18, 0x7f, v7
	v_cmpx_ne_u32_e32 0x7f, v18
	s_cbranch_execz .LBB285_1819
; %bb.1816:                             ;   in Loop: Header=BB285_1567 Depth=1
	v_and_b32_e32 v8, 7, v7
	v_lshrrev_b32_e32 v7, 3, v18
	s_mov_b32 s17, exec_lo
	v_cmpx_gt_u32_e32 8, v18
; %bb.1817:                             ;   in Loop: Header=BB285_1567 Depth=1
	s_delay_alu instid0(VALU_DEP_3) | instskip(NEXT) | instid1(VALU_DEP_1)
	v_clz_i32_u32_e32 v7, v8
	v_min_u32_e32 v7, 32, v7
	s_delay_alu instid0(VALU_DEP_1) | instskip(SKIP_1) | instid1(VALU_DEP_2)
	v_subrev_nc_u32_e32 v16, 28, v7
	v_sub_nc_u32_e32 v7, 29, v7
	v_lshlrev_b64 v[16:17], v16, v[8:9]
	s_delay_alu instid0(VALU_DEP_1)
	v_and_b32_e32 v8, 7, v16
; %bb.1818:                             ;   in Loop: Header=BB285_1567 Depth=1
	s_or_b32 exec_lo, exec_lo, s17
	v_lshlrev_b32_e32 v16, 16, v6
	s_delay_alu instid0(VALU_DEP_2) | instskip(SKIP_1) | instid1(VALU_DEP_3)
	v_lshlrev_b32_e32 v8, 20, v8
	v_lshl_add_u32 v7, v7, 23, 0x3c000000
	v_and_b32_e32 v16, 0x80000000, v16
	s_delay_alu instid0(VALU_DEP_1)
	v_or3_b32 v17, v8, v16, v7
	v_mov_b32_e32 v16, v9
.LBB285_1819:                           ;   in Loop: Header=BB285_1567 Depth=1
	s_or_b32 exec_lo, exec_lo, s8
.LBB285_1820:                           ;   in Loop: Header=BB285_1567 Depth=1
	s_delay_alu instid0(SALU_CYCLE_1)
	s_or_b32 exec_lo, exec_lo, s15
.LBB285_1821:                           ;   in Loop: Header=BB285_1567 Depth=1
	s_delay_alu instid0(SALU_CYCLE_1) | instskip(SKIP_4) | instid1(VALU_DEP_2)
	s_or_b32 exec_lo, exec_lo, s13
	v_mov_b32_e32 v20, 0
	v_lshrrev_b32_e32 v7, 16, v6
	v_mov_b32_e32 v21, 0
	s_mov_b32 s8, exec_lo
	v_and_b32_e32 v8, 0xff, v7
	s_delay_alu instid0(VALU_DEP_2) | instskip(NEXT) | instid1(VALU_DEP_2)
	v_dual_mov_b32 v18, v20 :: v_dual_mov_b32 v19, v21
	v_cmpx_ne_u16_e32 0, v8
	s_cbranch_execz .LBB285_1829
; %bb.1822:                             ;   in Loop: Header=BB285_1567 Depth=1
	v_bfrev_b32_e32 v18, 1
	v_mov_b32_e32 v19, 0
	s_mov_b32 s13, exec_lo
	v_cmpx_ne_u16_e32 0x80, v8
	s_cbranch_execz .LBB285_1828
; %bb.1823:                             ;   in Loop: Header=BB285_1567 Depth=1
	v_mov_b32_e32 v18, 0x7f800001
	v_bfe_u32 v22, v6, 16, 7
	v_mov_b32_e32 v19, 0
	s_mov_b32 s15, exec_lo
	s_delay_alu instid0(VALU_DEP_2)
	v_cmpx_ne_u32_e32 0x7f, v22
	s_cbranch_execz .LBB285_1827
; %bb.1824:                             ;   in Loop: Header=BB285_1567 Depth=1
	v_and_b32_e32 v8, 7, v7
	v_lshrrev_b32_e32 v18, 3, v22
	s_mov_b32 s17, exec_lo
	v_cmpx_gt_u32_e32 8, v22
; %bb.1825:                             ;   in Loop: Header=BB285_1567 Depth=1
	s_delay_alu instid0(VALU_DEP_3) | instskip(NEXT) | instid1(VALU_DEP_1)
	v_clz_i32_u32_e32 v18, v8
	v_min_u32_e32 v18, 32, v18
	s_delay_alu instid0(VALU_DEP_1) | instskip(SKIP_1) | instid1(VALU_DEP_2)
	v_subrev_nc_u32_e32 v19, 28, v18
	v_sub_nc_u32_e32 v18, 29, v18
	v_lshlrev_b64 v[22:23], v19, v[8:9]
	s_delay_alu instid0(VALU_DEP_1)
	v_and_b32_e32 v8, 7, v22
; %bb.1826:                             ;   in Loop: Header=BB285_1567 Depth=1
	s_or_b32 exec_lo, exec_lo, s17
	v_lshlrev_b32_e32 v7, 24, v7
	s_delay_alu instid0(VALU_DEP_2) | instskip(SKIP_1) | instid1(VALU_DEP_3)
	v_lshlrev_b32_e32 v8, 20, v8
	v_lshl_add_u32 v18, v18, 23, 0x3c000000
	v_and_b32_e32 v7, 0x80000000, v7
	s_delay_alu instid0(VALU_DEP_1) | instskip(NEXT) | instid1(VALU_DEP_1)
	v_or3_b32 v8, v8, v7, v18
	v_dual_mov_b32 v19, v9 :: v_dual_mov_b32 v18, v8
.LBB285_1827:                           ;   in Loop: Header=BB285_1567 Depth=1
	s_or_b32 exec_lo, exec_lo, s15
.LBB285_1828:                           ;   in Loop: Header=BB285_1567 Depth=1
	s_delay_alu instid0(SALU_CYCLE_1)
	s_or_b32 exec_lo, exec_lo, s13
.LBB285_1829:                           ;   in Loop: Header=BB285_1567 Depth=1
	s_delay_alu instid0(SALU_CYCLE_1) | instskip(NEXT) | instid1(SALU_CYCLE_1)
	s_or_b32 exec_lo, exec_lo, s8
	s_mov_b32 s13, exec_lo
	v_cmpx_lt_u32_e32 0xffffff, v6
	s_cbranch_execz .LBB285_1837
; %bb.1830:                             ;   in Loop: Header=BB285_1567 Depth=1
	v_lshrrev_b32_e32 v7, 24, v6
	v_dual_mov_b32 v21, s3 :: v_dual_mov_b32 v20, s2
	s_mov_b32 s15, exec_lo
	s_delay_alu instid0(VALU_DEP_2)
	v_cmpx_ne_u32_e32 0x80, v7
	s_cbranch_execz .LBB285_1836
; %bb.1831:                             ;   in Loop: Header=BB285_1567 Depth=1
	s_mov_b32 s8, s2
	v_bfe_u32 v22, v6, 24, 7
	v_dual_mov_b32 v21, s9 :: v_dual_mov_b32 v20, s8
	s_mov_b32 s8, exec_lo
	s_delay_alu instid0(VALU_DEP_2)
	v_cmpx_ne_u32_e32 0x7f, v22
	s_cbranch_execz .LBB285_1835
; %bb.1832:                             ;   in Loop: Header=BB285_1567 Depth=1
	v_and_b32_e32 v8, 7, v7
	v_lshrrev_b32_e32 v6, 3, v22
	s_mov_b32 s17, exec_lo
	v_cmpx_gt_u32_e32 8, v22
; %bb.1833:                             ;   in Loop: Header=BB285_1567 Depth=1
	s_delay_alu instid0(VALU_DEP_3) | instskip(NEXT) | instid1(VALU_DEP_1)
	v_clz_i32_u32_e32 v6, v8
	v_min_u32_e32 v6, 32, v6
	s_delay_alu instid0(VALU_DEP_1) | instskip(SKIP_1) | instid1(VALU_DEP_2)
	v_subrev_nc_u32_e32 v20, 28, v6
	v_sub_nc_u32_e32 v6, 29, v6
	v_lshlrev_b64 v[20:21], v20, v[8:9]
	s_delay_alu instid0(VALU_DEP_1)
	v_and_b32_e32 v8, 7, v20
; %bb.1834:                             ;   in Loop: Header=BB285_1567 Depth=1
	s_or_b32 exec_lo, exec_lo, s17
	v_dual_mov_b32 v20, v9 :: v_dual_lshlrev_b32 v7, 24, v7
	s_delay_alu instid0(VALU_DEP_2) | instskip(SKIP_1) | instid1(VALU_DEP_3)
	v_lshlrev_b32_e32 v8, 20, v8
	v_lshl_add_u32 v6, v6, 23, 0x3c000000
	v_and_b32_e32 v7, 0x80000000, v7
	s_delay_alu instid0(VALU_DEP_1)
	v_or3_b32 v21, v8, v7, v6
.LBB285_1835:                           ;   in Loop: Header=BB285_1567 Depth=1
	s_or_b32 exec_lo, exec_lo, s8
.LBB285_1836:                           ;   in Loop: Header=BB285_1567 Depth=1
	s_delay_alu instid0(SALU_CYCLE_1)
	s_or_b32 exec_lo, exec_lo, s15
.LBB285_1837:                           ;   in Loop: Header=BB285_1567 Depth=1
	s_delay_alu instid0(SALU_CYCLE_1) | instskip(SKIP_4) | instid1(VALU_DEP_4)
	s_or_b32 exec_lo, exec_lo, s13
	v_or_b32_e32 v6, v17, v15
	v_or_b32_e32 v7, v16, v14
	;; [unrolled: 1-line block ×4, first 2 shown]
	v_mul_f32_e32 v6, v161, v6
	scratch_store_b32 off, v6, s32 offset:568 ; 4-byte Folded Spill
	v_mul_f32_e32 v6, v115, v7
	scratch_store_b32 off, v6, s32 offset:560 ; 4-byte Folded Spill
	;; [unrolled: 2-line block ×4, first 2 shown]
	s_and_saveexec_b32 s8, vcc_lo
	s_cbranch_execz .LBB285_1839
; %bb.1838:                             ;   in Loop: Header=BB285_1567 Depth=1
	scratch_load_b32 v6, off, s32 offset:560 ; 4-byte Folded Reload
	v_cmp_lt_i32_e64 s0, v182, v55
	s_waitcnt vmcnt(0)
	s_delay_alu instid0(VALU_DEP_1)
	v_cndmask_b32_e64 v6, 0, v6, s0
	v_cmp_lt_i32_e64 s0, v40, v55
	scratch_store_b32 off, v6, s32 offset:560 ; 4-byte Folded Spill
	scratch_load_b32 v6, off, s32 offset:568 ; 4-byte Folded Reload
	s_waitcnt vmcnt(0)
	v_cndmask_b32_e64 v6, 0, v6, s0
	v_cmp_lt_i32_e64 s0, v183, v55
	scratch_store_b32 off, v6, s32 offset:568 ; 4-byte Folded Spill
	scratch_load_b32 v6, off, s32 offset:576 ; 4-byte Folded Reload
	s_waitcnt vmcnt(0)
	;; [unrolled: 5-line block ×3, first 2 shown]
	v_cndmask_b32_e64 v6, 0, v6, s0
	scratch_store_b32 off, v6, s32 offset:552 ; 4-byte Folded Spill
.LBB285_1839:                           ;   in Loop: Header=BB285_1567 Depth=1
	s_or_b32 exec_lo, exec_lo, s8
	flat_load_b32 v6, v[4:5] offset:1024
	v_mov_b32_e32 v16, 0
	v_mov_b32_e32 v17, 0
	s_delay_alu instid0(VALU_DEP_2) | instskip(SKIP_1) | instid1(VALU_DEP_2)
	v_mov_b32_e32 v14, v16
	s_mov_b32 s8, exec_lo
	v_mov_b32_e32 v15, v17
	s_waitcnt vmcnt(0) lgkmcnt(0)
	v_and_b32_e32 v7, 0xff, v6
	s_delay_alu instid0(VALU_DEP_1)
	v_cmpx_ne_u16_e32 0, v7
	s_cbranch_execz .LBB285_1847
; %bb.1840:                             ;   in Loop: Header=BB285_1567 Depth=1
	v_bfrev_b32_e32 v14, 1
	v_mov_b32_e32 v15, 0
	s_mov_b32 s13, exec_lo
	v_cmpx_ne_u16_e32 0x80, v7
	s_cbranch_execz .LBB285_1846
; %bb.1841:                             ;   in Loop: Header=BB285_1567 Depth=1
	v_mov_b32_e32 v14, 0x7f800001
	v_dual_mov_b32 v15, 0 :: v_dual_and_b32 v18, 0x7f, v6
	s_mov_b32 s15, exec_lo
	s_delay_alu instid0(VALU_DEP_1)
	v_cmpx_ne_u32_e32 0x7f, v18
	s_cbranch_execz .LBB285_1845
; %bb.1842:                             ;   in Loop: Header=BB285_1567 Depth=1
	v_and_b32_e32 v8, 7, v6
	v_lshrrev_b32_e32 v7, 3, v18
	s_mov_b32 s17, exec_lo
	v_cmpx_gt_u32_e32 8, v18
; %bb.1843:                             ;   in Loop: Header=BB285_1567 Depth=1
	s_delay_alu instid0(VALU_DEP_3) | instskip(NEXT) | instid1(VALU_DEP_1)
	v_clz_i32_u32_e32 v7, v8
	v_min_u32_e32 v7, 32, v7
	s_delay_alu instid0(VALU_DEP_1) | instskip(SKIP_1) | instid1(VALU_DEP_2)
	v_subrev_nc_u32_e32 v14, 28, v7
	v_sub_nc_u32_e32 v7, 29, v7
	v_lshlrev_b64 v[14:15], v14, v[8:9]
	s_delay_alu instid0(VALU_DEP_1)
	v_and_b32_e32 v8, 7, v14
; %bb.1844:                             ;   in Loop: Header=BB285_1567 Depth=1
	s_or_b32 exec_lo, exec_lo, s17
	v_lshlrev_b32_e32 v14, 24, v6
	s_delay_alu instid0(VALU_DEP_2) | instskip(SKIP_1) | instid1(VALU_DEP_3)
	v_lshlrev_b32_e32 v8, 20, v8
	v_lshl_add_u32 v7, v7, 23, 0x3c000000
	v_and_b32_e32 v14, 0x80000000, v14
	s_delay_alu instid0(VALU_DEP_1) | instskip(NEXT) | instid1(VALU_DEP_1)
	v_or3_b32 v8, v8, v14, v7
	v_dual_mov_b32 v15, v9 :: v_dual_mov_b32 v14, v8
.LBB285_1845:                           ;   in Loop: Header=BB285_1567 Depth=1
	s_or_b32 exec_lo, exec_lo, s15
.LBB285_1846:                           ;   in Loop: Header=BB285_1567 Depth=1
	s_delay_alu instid0(SALU_CYCLE_1)
	s_or_b32 exec_lo, exec_lo, s13
.LBB285_1847:                           ;   in Loop: Header=BB285_1567 Depth=1
	s_delay_alu instid0(SALU_CYCLE_1) | instskip(SKIP_2) | instid1(VALU_DEP_1)
	s_or_b32 exec_lo, exec_lo, s8
	v_lshrrev_b16 v7, 8, v6
	s_mov_b32 s13, exec_lo
	v_cmpx_ne_u16_e32 0, v7
	s_cbranch_execz .LBB285_1855
; %bb.1848:                             ;   in Loop: Header=BB285_1567 Depth=1
	v_dual_mov_b32 v17, s3 :: v_dual_mov_b32 v16, s2
	s_mov_b32 s15, exec_lo
	v_cmpx_ne_u16_e32 0x80, v7
	s_cbranch_execz .LBB285_1854
; %bb.1849:                             ;   in Loop: Header=BB285_1567 Depth=1
	s_mov_b32 s8, s2
	v_and_b32_e32 v7, 0xffff, v7
	v_dual_mov_b32 v17, s9 :: v_dual_mov_b32 v16, s8
	s_mov_b32 s8, exec_lo
	s_delay_alu instid0(VALU_DEP_2) | instskip(NEXT) | instid1(VALU_DEP_1)
	v_and_b32_e32 v18, 0x7f, v7
	v_cmpx_ne_u32_e32 0x7f, v18
	s_cbranch_execz .LBB285_1853
; %bb.1850:                             ;   in Loop: Header=BB285_1567 Depth=1
	v_and_b32_e32 v8, 7, v7
	v_lshrrev_b32_e32 v7, 3, v18
	s_mov_b32 s17, exec_lo
	v_cmpx_gt_u32_e32 8, v18
; %bb.1851:                             ;   in Loop: Header=BB285_1567 Depth=1
	s_delay_alu instid0(VALU_DEP_3) | instskip(NEXT) | instid1(VALU_DEP_1)
	v_clz_i32_u32_e32 v7, v8
	v_min_u32_e32 v7, 32, v7
	s_delay_alu instid0(VALU_DEP_1) | instskip(SKIP_1) | instid1(VALU_DEP_2)
	v_subrev_nc_u32_e32 v16, 28, v7
	v_sub_nc_u32_e32 v7, 29, v7
	v_lshlrev_b64 v[16:17], v16, v[8:9]
	s_delay_alu instid0(VALU_DEP_1)
	v_and_b32_e32 v8, 7, v16
; %bb.1852:                             ;   in Loop: Header=BB285_1567 Depth=1
	s_or_b32 exec_lo, exec_lo, s17
	v_lshlrev_b32_e32 v16, 16, v6
	s_delay_alu instid0(VALU_DEP_2) | instskip(SKIP_1) | instid1(VALU_DEP_3)
	v_lshlrev_b32_e32 v8, 20, v8
	v_lshl_add_u32 v7, v7, 23, 0x3c000000
	v_and_b32_e32 v16, 0x80000000, v16
	s_delay_alu instid0(VALU_DEP_1)
	v_or3_b32 v17, v8, v16, v7
	v_mov_b32_e32 v16, v9
.LBB285_1853:                           ;   in Loop: Header=BB285_1567 Depth=1
	s_or_b32 exec_lo, exec_lo, s8
.LBB285_1854:                           ;   in Loop: Header=BB285_1567 Depth=1
	s_delay_alu instid0(SALU_CYCLE_1)
	s_or_b32 exec_lo, exec_lo, s15
.LBB285_1855:                           ;   in Loop: Header=BB285_1567 Depth=1
	s_delay_alu instid0(SALU_CYCLE_1) | instskip(SKIP_4) | instid1(VALU_DEP_2)
	s_or_b32 exec_lo, exec_lo, s13
	v_mov_b32_e32 v20, 0
	v_lshrrev_b32_e32 v7, 16, v6
	v_mov_b32_e32 v21, 0
	s_mov_b32 s8, exec_lo
	v_and_b32_e32 v8, 0xff, v7
	s_delay_alu instid0(VALU_DEP_2) | instskip(NEXT) | instid1(VALU_DEP_2)
	v_dual_mov_b32 v18, v20 :: v_dual_mov_b32 v19, v21
	v_cmpx_ne_u16_e32 0, v8
	s_cbranch_execz .LBB285_1863
; %bb.1856:                             ;   in Loop: Header=BB285_1567 Depth=1
	v_bfrev_b32_e32 v18, 1
	v_mov_b32_e32 v19, 0
	s_mov_b32 s13, exec_lo
	v_cmpx_ne_u16_e32 0x80, v8
	s_cbranch_execz .LBB285_1862
; %bb.1857:                             ;   in Loop: Header=BB285_1567 Depth=1
	v_mov_b32_e32 v18, 0x7f800001
	v_bfe_u32 v22, v6, 16, 7
	v_mov_b32_e32 v19, 0
	s_mov_b32 s15, exec_lo
	s_delay_alu instid0(VALU_DEP_2)
	v_cmpx_ne_u32_e32 0x7f, v22
	s_cbranch_execz .LBB285_1861
; %bb.1858:                             ;   in Loop: Header=BB285_1567 Depth=1
	v_and_b32_e32 v8, 7, v7
	v_lshrrev_b32_e32 v18, 3, v22
	s_mov_b32 s17, exec_lo
	v_cmpx_gt_u32_e32 8, v22
; %bb.1859:                             ;   in Loop: Header=BB285_1567 Depth=1
	s_delay_alu instid0(VALU_DEP_3) | instskip(NEXT) | instid1(VALU_DEP_1)
	v_clz_i32_u32_e32 v18, v8
	v_min_u32_e32 v18, 32, v18
	s_delay_alu instid0(VALU_DEP_1) | instskip(SKIP_1) | instid1(VALU_DEP_2)
	v_subrev_nc_u32_e32 v19, 28, v18
	v_sub_nc_u32_e32 v18, 29, v18
	v_lshlrev_b64 v[22:23], v19, v[8:9]
	s_delay_alu instid0(VALU_DEP_1)
	v_and_b32_e32 v8, 7, v22
; %bb.1860:                             ;   in Loop: Header=BB285_1567 Depth=1
	s_or_b32 exec_lo, exec_lo, s17
	v_lshlrev_b32_e32 v7, 24, v7
	s_delay_alu instid0(VALU_DEP_2) | instskip(SKIP_1) | instid1(VALU_DEP_3)
	v_lshlrev_b32_e32 v8, 20, v8
	v_lshl_add_u32 v18, v18, 23, 0x3c000000
	v_and_b32_e32 v7, 0x80000000, v7
	s_delay_alu instid0(VALU_DEP_1) | instskip(NEXT) | instid1(VALU_DEP_1)
	v_or3_b32 v8, v8, v7, v18
	v_dual_mov_b32 v19, v9 :: v_dual_mov_b32 v18, v8
.LBB285_1861:                           ;   in Loop: Header=BB285_1567 Depth=1
	s_or_b32 exec_lo, exec_lo, s15
.LBB285_1862:                           ;   in Loop: Header=BB285_1567 Depth=1
	s_delay_alu instid0(SALU_CYCLE_1)
	s_or_b32 exec_lo, exec_lo, s13
.LBB285_1863:                           ;   in Loop: Header=BB285_1567 Depth=1
	s_delay_alu instid0(SALU_CYCLE_1) | instskip(NEXT) | instid1(SALU_CYCLE_1)
	s_or_b32 exec_lo, exec_lo, s8
	s_mov_b32 s13, exec_lo
	v_cmpx_lt_u32_e32 0xffffff, v6
	s_cbranch_execz .LBB285_1871
; %bb.1864:                             ;   in Loop: Header=BB285_1567 Depth=1
	v_lshrrev_b32_e32 v7, 24, v6
	v_dual_mov_b32 v21, s3 :: v_dual_mov_b32 v20, s2
	s_mov_b32 s15, exec_lo
	s_delay_alu instid0(VALU_DEP_2)
	v_cmpx_ne_u32_e32 0x80, v7
	s_cbranch_execz .LBB285_1870
; %bb.1865:                             ;   in Loop: Header=BB285_1567 Depth=1
	s_mov_b32 s8, s2
	v_bfe_u32 v22, v6, 24, 7
	v_dual_mov_b32 v21, s9 :: v_dual_mov_b32 v20, s8
	s_mov_b32 s8, exec_lo
	s_delay_alu instid0(VALU_DEP_2)
	v_cmpx_ne_u32_e32 0x7f, v22
	s_cbranch_execz .LBB285_1869
; %bb.1866:                             ;   in Loop: Header=BB285_1567 Depth=1
	v_and_b32_e32 v8, 7, v7
	v_lshrrev_b32_e32 v6, 3, v22
	s_mov_b32 s17, exec_lo
	v_cmpx_gt_u32_e32 8, v22
; %bb.1867:                             ;   in Loop: Header=BB285_1567 Depth=1
	s_delay_alu instid0(VALU_DEP_3) | instskip(NEXT) | instid1(VALU_DEP_1)
	v_clz_i32_u32_e32 v6, v8
	v_min_u32_e32 v6, 32, v6
	s_delay_alu instid0(VALU_DEP_1) | instskip(SKIP_1) | instid1(VALU_DEP_2)
	v_subrev_nc_u32_e32 v20, 28, v6
	v_sub_nc_u32_e32 v6, 29, v6
	v_lshlrev_b64 v[20:21], v20, v[8:9]
	s_delay_alu instid0(VALU_DEP_1)
	v_and_b32_e32 v8, 7, v20
; %bb.1868:                             ;   in Loop: Header=BB285_1567 Depth=1
	s_or_b32 exec_lo, exec_lo, s17
	v_dual_mov_b32 v20, v9 :: v_dual_lshlrev_b32 v7, 24, v7
	s_delay_alu instid0(VALU_DEP_2) | instskip(SKIP_1) | instid1(VALU_DEP_3)
	v_lshlrev_b32_e32 v8, 20, v8
	v_lshl_add_u32 v6, v6, 23, 0x3c000000
	v_and_b32_e32 v7, 0x80000000, v7
	s_delay_alu instid0(VALU_DEP_1)
	v_or3_b32 v21, v8, v7, v6
.LBB285_1869:                           ;   in Loop: Header=BB285_1567 Depth=1
	s_or_b32 exec_lo, exec_lo, s8
.LBB285_1870:                           ;   in Loop: Header=BB285_1567 Depth=1
	s_delay_alu instid0(SALU_CYCLE_1)
	s_or_b32 exec_lo, exec_lo, s15
.LBB285_1871:                           ;   in Loop: Header=BB285_1567 Depth=1
	s_delay_alu instid0(SALU_CYCLE_1) | instskip(SKIP_4) | instid1(VALU_DEP_4)
	s_or_b32 exec_lo, exec_lo, s13
	v_or_b32_e32 v6, v17, v15
	v_or_b32_e32 v7, v16, v14
	;; [unrolled: 1-line block ×4, first 2 shown]
	v_mul_f32_e32 v6, v161, v6
	scratch_store_b32 off, v6, s32 offset:608 ; 4-byte Folded Spill
	v_mul_f32_e32 v6, v115, v7
	scratch_store_b32 off, v6, s32 offset:592 ; 4-byte Folded Spill
	;; [unrolled: 2-line block ×4, first 2 shown]
	s_and_saveexec_b32 s8, vcc_lo
	s_cbranch_execz .LBB285_1873
; %bb.1872:                             ;   in Loop: Header=BB285_1567 Depth=1
	scratch_load_b32 v6, off, s32 offset:592 ; 4-byte Folded Reload
	v_cmp_lt_i32_e64 s0, v182, v55
	s_waitcnt vmcnt(0)
	s_delay_alu instid0(VALU_DEP_1)
	v_cndmask_b32_e64 v6, 0, v6, s0
	v_cmp_lt_i32_e64 s0, v40, v55
	scratch_store_b32 off, v6, s32 offset:592 ; 4-byte Folded Spill
	scratch_load_b32 v6, off, s32 offset:608 ; 4-byte Folded Reload
	s_waitcnt vmcnt(0)
	v_cndmask_b32_e64 v6, 0, v6, s0
	v_cmp_lt_i32_e64 s0, v183, v55
	scratch_store_b32 off, v6, s32 offset:608 ; 4-byte Folded Spill
	scratch_load_b32 v6, off, s32 offset:600 ; 4-byte Folded Reload
	s_waitcnt vmcnt(0)
	;; [unrolled: 5-line block ×3, first 2 shown]
	v_cndmask_b32_e64 v6, 0, v6, s0
	scratch_store_b32 off, v6, s32 offset:584 ; 4-byte Folded Spill
.LBB285_1873:                           ;   in Loop: Header=BB285_1567 Depth=1
	s_or_b32 exec_lo, exec_lo, s8
	flat_load_b32 v6, v[4:5] offset:1152
	v_mov_b32_e32 v16, 0
	v_mov_b32_e32 v17, 0
	s_delay_alu instid0(VALU_DEP_2) | instskip(SKIP_1) | instid1(VALU_DEP_2)
	v_mov_b32_e32 v14, v16
	s_mov_b32 s8, exec_lo
	v_mov_b32_e32 v15, v17
	s_waitcnt vmcnt(0) lgkmcnt(0)
	v_and_b32_e32 v7, 0xff, v6
	s_delay_alu instid0(VALU_DEP_1)
	v_cmpx_ne_u16_e32 0, v7
	s_cbranch_execz .LBB285_1881
; %bb.1874:                             ;   in Loop: Header=BB285_1567 Depth=1
	v_bfrev_b32_e32 v14, 1
	v_mov_b32_e32 v15, 0
	s_mov_b32 s13, exec_lo
	v_cmpx_ne_u16_e32 0x80, v7
	s_cbranch_execz .LBB285_1880
; %bb.1875:                             ;   in Loop: Header=BB285_1567 Depth=1
	v_mov_b32_e32 v14, 0x7f800001
	v_dual_mov_b32 v15, 0 :: v_dual_and_b32 v18, 0x7f, v6
	s_mov_b32 s15, exec_lo
	s_delay_alu instid0(VALU_DEP_1)
	v_cmpx_ne_u32_e32 0x7f, v18
	s_cbranch_execz .LBB285_1879
; %bb.1876:                             ;   in Loop: Header=BB285_1567 Depth=1
	v_and_b32_e32 v8, 7, v6
	v_lshrrev_b32_e32 v7, 3, v18
	s_mov_b32 s17, exec_lo
	v_cmpx_gt_u32_e32 8, v18
; %bb.1877:                             ;   in Loop: Header=BB285_1567 Depth=1
	s_delay_alu instid0(VALU_DEP_3) | instskip(NEXT) | instid1(VALU_DEP_1)
	v_clz_i32_u32_e32 v7, v8
	v_min_u32_e32 v7, 32, v7
	s_delay_alu instid0(VALU_DEP_1) | instskip(SKIP_1) | instid1(VALU_DEP_2)
	v_subrev_nc_u32_e32 v14, 28, v7
	v_sub_nc_u32_e32 v7, 29, v7
	v_lshlrev_b64 v[14:15], v14, v[8:9]
	s_delay_alu instid0(VALU_DEP_1)
	v_and_b32_e32 v8, 7, v14
; %bb.1878:                             ;   in Loop: Header=BB285_1567 Depth=1
	s_or_b32 exec_lo, exec_lo, s17
	v_lshlrev_b32_e32 v14, 24, v6
	s_delay_alu instid0(VALU_DEP_2) | instskip(SKIP_1) | instid1(VALU_DEP_3)
	v_lshlrev_b32_e32 v8, 20, v8
	v_lshl_add_u32 v7, v7, 23, 0x3c000000
	v_and_b32_e32 v14, 0x80000000, v14
	s_delay_alu instid0(VALU_DEP_1) | instskip(NEXT) | instid1(VALU_DEP_1)
	v_or3_b32 v8, v8, v14, v7
	v_dual_mov_b32 v15, v9 :: v_dual_mov_b32 v14, v8
.LBB285_1879:                           ;   in Loop: Header=BB285_1567 Depth=1
	s_or_b32 exec_lo, exec_lo, s15
.LBB285_1880:                           ;   in Loop: Header=BB285_1567 Depth=1
	s_delay_alu instid0(SALU_CYCLE_1)
	s_or_b32 exec_lo, exec_lo, s13
.LBB285_1881:                           ;   in Loop: Header=BB285_1567 Depth=1
	s_delay_alu instid0(SALU_CYCLE_1) | instskip(SKIP_2) | instid1(VALU_DEP_1)
	s_or_b32 exec_lo, exec_lo, s8
	v_lshrrev_b16 v7, 8, v6
	s_mov_b32 s13, exec_lo
	v_cmpx_ne_u16_e32 0, v7
	s_cbranch_execz .LBB285_1889
; %bb.1882:                             ;   in Loop: Header=BB285_1567 Depth=1
	v_dual_mov_b32 v17, s3 :: v_dual_mov_b32 v16, s2
	s_mov_b32 s15, exec_lo
	v_cmpx_ne_u16_e32 0x80, v7
	s_cbranch_execz .LBB285_1888
; %bb.1883:                             ;   in Loop: Header=BB285_1567 Depth=1
	s_mov_b32 s8, s2
	v_and_b32_e32 v7, 0xffff, v7
	v_dual_mov_b32 v17, s9 :: v_dual_mov_b32 v16, s8
	s_mov_b32 s8, exec_lo
	s_delay_alu instid0(VALU_DEP_2) | instskip(NEXT) | instid1(VALU_DEP_1)
	v_and_b32_e32 v18, 0x7f, v7
	v_cmpx_ne_u32_e32 0x7f, v18
	s_cbranch_execz .LBB285_1887
; %bb.1884:                             ;   in Loop: Header=BB285_1567 Depth=1
	v_and_b32_e32 v8, 7, v7
	v_lshrrev_b32_e32 v7, 3, v18
	s_mov_b32 s17, exec_lo
	v_cmpx_gt_u32_e32 8, v18
; %bb.1885:                             ;   in Loop: Header=BB285_1567 Depth=1
	s_delay_alu instid0(VALU_DEP_3) | instskip(NEXT) | instid1(VALU_DEP_1)
	v_clz_i32_u32_e32 v7, v8
	v_min_u32_e32 v7, 32, v7
	s_delay_alu instid0(VALU_DEP_1) | instskip(SKIP_1) | instid1(VALU_DEP_2)
	v_subrev_nc_u32_e32 v16, 28, v7
	v_sub_nc_u32_e32 v7, 29, v7
	v_lshlrev_b64 v[16:17], v16, v[8:9]
	s_delay_alu instid0(VALU_DEP_1)
	v_and_b32_e32 v8, 7, v16
; %bb.1886:                             ;   in Loop: Header=BB285_1567 Depth=1
	s_or_b32 exec_lo, exec_lo, s17
	v_lshlrev_b32_e32 v16, 16, v6
	s_delay_alu instid0(VALU_DEP_2) | instskip(SKIP_1) | instid1(VALU_DEP_3)
	v_lshlrev_b32_e32 v8, 20, v8
	v_lshl_add_u32 v7, v7, 23, 0x3c000000
	v_and_b32_e32 v16, 0x80000000, v16
	s_delay_alu instid0(VALU_DEP_1)
	v_or3_b32 v17, v8, v16, v7
	v_mov_b32_e32 v16, v9
.LBB285_1887:                           ;   in Loop: Header=BB285_1567 Depth=1
	s_or_b32 exec_lo, exec_lo, s8
.LBB285_1888:                           ;   in Loop: Header=BB285_1567 Depth=1
	s_delay_alu instid0(SALU_CYCLE_1)
	s_or_b32 exec_lo, exec_lo, s15
.LBB285_1889:                           ;   in Loop: Header=BB285_1567 Depth=1
	s_delay_alu instid0(SALU_CYCLE_1) | instskip(SKIP_4) | instid1(VALU_DEP_2)
	s_or_b32 exec_lo, exec_lo, s13
	v_mov_b32_e32 v20, 0
	v_lshrrev_b32_e32 v7, 16, v6
	v_mov_b32_e32 v21, 0
	s_mov_b32 s8, exec_lo
	v_and_b32_e32 v8, 0xff, v7
	s_delay_alu instid0(VALU_DEP_2) | instskip(NEXT) | instid1(VALU_DEP_2)
	v_dual_mov_b32 v18, v20 :: v_dual_mov_b32 v19, v21
	v_cmpx_ne_u16_e32 0, v8
	s_cbranch_execz .LBB285_1897
; %bb.1890:                             ;   in Loop: Header=BB285_1567 Depth=1
	v_bfrev_b32_e32 v18, 1
	v_mov_b32_e32 v19, 0
	s_mov_b32 s13, exec_lo
	v_cmpx_ne_u16_e32 0x80, v8
	s_cbranch_execz .LBB285_1896
; %bb.1891:                             ;   in Loop: Header=BB285_1567 Depth=1
	v_mov_b32_e32 v18, 0x7f800001
	v_bfe_u32 v22, v6, 16, 7
	v_mov_b32_e32 v19, 0
	s_mov_b32 s15, exec_lo
	s_delay_alu instid0(VALU_DEP_2)
	v_cmpx_ne_u32_e32 0x7f, v22
	s_cbranch_execz .LBB285_1895
; %bb.1892:                             ;   in Loop: Header=BB285_1567 Depth=1
	v_and_b32_e32 v8, 7, v7
	v_lshrrev_b32_e32 v18, 3, v22
	s_mov_b32 s17, exec_lo
	v_cmpx_gt_u32_e32 8, v22
; %bb.1893:                             ;   in Loop: Header=BB285_1567 Depth=1
	s_delay_alu instid0(VALU_DEP_3) | instskip(NEXT) | instid1(VALU_DEP_1)
	v_clz_i32_u32_e32 v18, v8
	v_min_u32_e32 v18, 32, v18
	s_delay_alu instid0(VALU_DEP_1) | instskip(SKIP_1) | instid1(VALU_DEP_2)
	v_subrev_nc_u32_e32 v19, 28, v18
	v_sub_nc_u32_e32 v18, 29, v18
	v_lshlrev_b64 v[22:23], v19, v[8:9]
	s_delay_alu instid0(VALU_DEP_1)
	v_and_b32_e32 v8, 7, v22
; %bb.1894:                             ;   in Loop: Header=BB285_1567 Depth=1
	s_or_b32 exec_lo, exec_lo, s17
	v_lshlrev_b32_e32 v7, 24, v7
	s_delay_alu instid0(VALU_DEP_2) | instskip(SKIP_1) | instid1(VALU_DEP_3)
	v_lshlrev_b32_e32 v8, 20, v8
	v_lshl_add_u32 v18, v18, 23, 0x3c000000
	v_and_b32_e32 v7, 0x80000000, v7
	s_delay_alu instid0(VALU_DEP_1) | instskip(NEXT) | instid1(VALU_DEP_1)
	v_or3_b32 v8, v8, v7, v18
	v_dual_mov_b32 v19, v9 :: v_dual_mov_b32 v18, v8
.LBB285_1895:                           ;   in Loop: Header=BB285_1567 Depth=1
	s_or_b32 exec_lo, exec_lo, s15
.LBB285_1896:                           ;   in Loop: Header=BB285_1567 Depth=1
	s_delay_alu instid0(SALU_CYCLE_1)
	s_or_b32 exec_lo, exec_lo, s13
.LBB285_1897:                           ;   in Loop: Header=BB285_1567 Depth=1
	s_delay_alu instid0(SALU_CYCLE_1) | instskip(NEXT) | instid1(SALU_CYCLE_1)
	s_or_b32 exec_lo, exec_lo, s8
	s_mov_b32 s13, exec_lo
	v_cmpx_lt_u32_e32 0xffffff, v6
	s_cbranch_execz .LBB285_1905
; %bb.1898:                             ;   in Loop: Header=BB285_1567 Depth=1
	v_lshrrev_b32_e32 v7, 24, v6
	v_dual_mov_b32 v21, s3 :: v_dual_mov_b32 v20, s2
	s_mov_b32 s15, exec_lo
	s_delay_alu instid0(VALU_DEP_2)
	v_cmpx_ne_u32_e32 0x80, v7
	s_cbranch_execz .LBB285_1904
; %bb.1899:                             ;   in Loop: Header=BB285_1567 Depth=1
	s_mov_b32 s8, s2
	v_bfe_u32 v22, v6, 24, 7
	v_dual_mov_b32 v21, s9 :: v_dual_mov_b32 v20, s8
	s_mov_b32 s8, exec_lo
	s_delay_alu instid0(VALU_DEP_2)
	v_cmpx_ne_u32_e32 0x7f, v22
	s_cbranch_execz .LBB285_1903
; %bb.1900:                             ;   in Loop: Header=BB285_1567 Depth=1
	v_and_b32_e32 v8, 7, v7
	v_lshrrev_b32_e32 v6, 3, v22
	s_mov_b32 s17, exec_lo
	v_cmpx_gt_u32_e32 8, v22
; %bb.1901:                             ;   in Loop: Header=BB285_1567 Depth=1
	s_delay_alu instid0(VALU_DEP_3) | instskip(NEXT) | instid1(VALU_DEP_1)
	v_clz_i32_u32_e32 v6, v8
	v_min_u32_e32 v6, 32, v6
	s_delay_alu instid0(VALU_DEP_1) | instskip(SKIP_1) | instid1(VALU_DEP_2)
	v_subrev_nc_u32_e32 v20, 28, v6
	v_sub_nc_u32_e32 v6, 29, v6
	v_lshlrev_b64 v[20:21], v20, v[8:9]
	s_delay_alu instid0(VALU_DEP_1)
	v_and_b32_e32 v8, 7, v20
; %bb.1902:                             ;   in Loop: Header=BB285_1567 Depth=1
	s_or_b32 exec_lo, exec_lo, s17
	v_dual_mov_b32 v20, v9 :: v_dual_lshlrev_b32 v7, 24, v7
	s_delay_alu instid0(VALU_DEP_2) | instskip(SKIP_1) | instid1(VALU_DEP_3)
	v_lshlrev_b32_e32 v8, 20, v8
	v_lshl_add_u32 v6, v6, 23, 0x3c000000
	v_and_b32_e32 v7, 0x80000000, v7
	s_delay_alu instid0(VALU_DEP_1)
	v_or3_b32 v21, v8, v7, v6
.LBB285_1903:                           ;   in Loop: Header=BB285_1567 Depth=1
	s_or_b32 exec_lo, exec_lo, s8
.LBB285_1904:                           ;   in Loop: Header=BB285_1567 Depth=1
	s_delay_alu instid0(SALU_CYCLE_1)
	s_or_b32 exec_lo, exec_lo, s15
.LBB285_1905:                           ;   in Loop: Header=BB285_1567 Depth=1
	s_delay_alu instid0(SALU_CYCLE_1) | instskip(SKIP_4) | instid1(VALU_DEP_4)
	s_or_b32 exec_lo, exec_lo, s13
	v_or_b32_e32 v6, v17, v15
	v_or_b32_e32 v7, v16, v14
	;; [unrolled: 1-line block ×4, first 2 shown]
	v_mul_f32_e32 v6, v161, v6
	scratch_store_b32 off, v6, s32 offset:640 ; 4-byte Folded Spill
	v_mul_f32_e32 v6, v115, v7
	scratch_store_b32 off, v6, s32 offset:632 ; 4-byte Folded Spill
	;; [unrolled: 2-line block ×4, first 2 shown]
	s_and_saveexec_b32 s8, vcc_lo
	s_cbranch_execz .LBB285_1907
; %bb.1906:                             ;   in Loop: Header=BB285_1567 Depth=1
	scratch_load_b32 v6, off, s32 offset:632 ; 4-byte Folded Reload
	v_cmp_lt_i32_e64 s0, v182, v55
	s_waitcnt vmcnt(0)
	s_delay_alu instid0(VALU_DEP_1)
	v_cndmask_b32_e64 v6, 0, v6, s0
	v_cmp_lt_i32_e64 s0, v40, v55
	scratch_store_b32 off, v6, s32 offset:632 ; 4-byte Folded Spill
	scratch_load_b32 v6, off, s32 offset:640 ; 4-byte Folded Reload
	s_waitcnt vmcnt(0)
	v_cndmask_b32_e64 v6, 0, v6, s0
	v_cmp_lt_i32_e64 s0, v183, v55
	scratch_store_b32 off, v6, s32 offset:640 ; 4-byte Folded Spill
	scratch_load_b32 v6, off, s32 offset:624 ; 4-byte Folded Reload
	s_waitcnt vmcnt(0)
	;; [unrolled: 5-line block ×3, first 2 shown]
	v_cndmask_b32_e64 v6, 0, v6, s0
	scratch_store_b32 off, v6, s32 offset:616 ; 4-byte Folded Spill
.LBB285_1907:                           ;   in Loop: Header=BB285_1567 Depth=1
	s_or_b32 exec_lo, exec_lo, s8
	flat_load_b32 v6, v[4:5] offset:1280
	v_mov_b32_e32 v16, 0
	v_mov_b32_e32 v17, 0
	s_delay_alu instid0(VALU_DEP_2) | instskip(SKIP_1) | instid1(VALU_DEP_2)
	v_mov_b32_e32 v14, v16
	s_mov_b32 s8, exec_lo
	v_mov_b32_e32 v15, v17
	s_waitcnt vmcnt(0) lgkmcnt(0)
	v_and_b32_e32 v7, 0xff, v6
	s_delay_alu instid0(VALU_DEP_1)
	v_cmpx_ne_u16_e32 0, v7
	s_cbranch_execz .LBB285_1915
; %bb.1908:                             ;   in Loop: Header=BB285_1567 Depth=1
	v_bfrev_b32_e32 v14, 1
	v_mov_b32_e32 v15, 0
	s_mov_b32 s13, exec_lo
	v_cmpx_ne_u16_e32 0x80, v7
	s_cbranch_execz .LBB285_1914
; %bb.1909:                             ;   in Loop: Header=BB285_1567 Depth=1
	v_mov_b32_e32 v14, 0x7f800001
	v_dual_mov_b32 v15, 0 :: v_dual_and_b32 v18, 0x7f, v6
	s_mov_b32 s15, exec_lo
	s_delay_alu instid0(VALU_DEP_1)
	v_cmpx_ne_u32_e32 0x7f, v18
	s_cbranch_execz .LBB285_1913
; %bb.1910:                             ;   in Loop: Header=BB285_1567 Depth=1
	v_and_b32_e32 v8, 7, v6
	v_lshrrev_b32_e32 v7, 3, v18
	s_mov_b32 s17, exec_lo
	v_cmpx_gt_u32_e32 8, v18
; %bb.1911:                             ;   in Loop: Header=BB285_1567 Depth=1
	s_delay_alu instid0(VALU_DEP_3) | instskip(NEXT) | instid1(VALU_DEP_1)
	v_clz_i32_u32_e32 v7, v8
	v_min_u32_e32 v7, 32, v7
	s_delay_alu instid0(VALU_DEP_1) | instskip(SKIP_1) | instid1(VALU_DEP_2)
	v_subrev_nc_u32_e32 v14, 28, v7
	v_sub_nc_u32_e32 v7, 29, v7
	v_lshlrev_b64 v[14:15], v14, v[8:9]
	s_delay_alu instid0(VALU_DEP_1)
	v_and_b32_e32 v8, 7, v14
; %bb.1912:                             ;   in Loop: Header=BB285_1567 Depth=1
	s_or_b32 exec_lo, exec_lo, s17
	v_lshlrev_b32_e32 v14, 24, v6
	s_delay_alu instid0(VALU_DEP_2) | instskip(SKIP_1) | instid1(VALU_DEP_3)
	v_lshlrev_b32_e32 v8, 20, v8
	v_lshl_add_u32 v7, v7, 23, 0x3c000000
	v_and_b32_e32 v14, 0x80000000, v14
	s_delay_alu instid0(VALU_DEP_1) | instskip(NEXT) | instid1(VALU_DEP_1)
	v_or3_b32 v8, v8, v14, v7
	v_dual_mov_b32 v15, v9 :: v_dual_mov_b32 v14, v8
.LBB285_1913:                           ;   in Loop: Header=BB285_1567 Depth=1
	s_or_b32 exec_lo, exec_lo, s15
.LBB285_1914:                           ;   in Loop: Header=BB285_1567 Depth=1
	s_delay_alu instid0(SALU_CYCLE_1)
	s_or_b32 exec_lo, exec_lo, s13
.LBB285_1915:                           ;   in Loop: Header=BB285_1567 Depth=1
	s_delay_alu instid0(SALU_CYCLE_1) | instskip(SKIP_2) | instid1(VALU_DEP_1)
	s_or_b32 exec_lo, exec_lo, s8
	v_lshrrev_b16 v7, 8, v6
	s_mov_b32 s13, exec_lo
	v_cmpx_ne_u16_e32 0, v7
	s_cbranch_execz .LBB285_1923
; %bb.1916:                             ;   in Loop: Header=BB285_1567 Depth=1
	v_dual_mov_b32 v17, s3 :: v_dual_mov_b32 v16, s2
	s_mov_b32 s15, exec_lo
	v_cmpx_ne_u16_e32 0x80, v7
	s_cbranch_execz .LBB285_1922
; %bb.1917:                             ;   in Loop: Header=BB285_1567 Depth=1
	s_mov_b32 s8, s2
	v_and_b32_e32 v7, 0xffff, v7
	v_dual_mov_b32 v17, s9 :: v_dual_mov_b32 v16, s8
	s_mov_b32 s8, exec_lo
	s_delay_alu instid0(VALU_DEP_2) | instskip(NEXT) | instid1(VALU_DEP_1)
	v_and_b32_e32 v18, 0x7f, v7
	v_cmpx_ne_u32_e32 0x7f, v18
	s_cbranch_execz .LBB285_1921
; %bb.1918:                             ;   in Loop: Header=BB285_1567 Depth=1
	v_and_b32_e32 v8, 7, v7
	v_lshrrev_b32_e32 v7, 3, v18
	s_mov_b32 s17, exec_lo
	v_cmpx_gt_u32_e32 8, v18
; %bb.1919:                             ;   in Loop: Header=BB285_1567 Depth=1
	s_delay_alu instid0(VALU_DEP_3) | instskip(NEXT) | instid1(VALU_DEP_1)
	v_clz_i32_u32_e32 v7, v8
	v_min_u32_e32 v7, 32, v7
	s_delay_alu instid0(VALU_DEP_1) | instskip(SKIP_1) | instid1(VALU_DEP_2)
	v_subrev_nc_u32_e32 v16, 28, v7
	v_sub_nc_u32_e32 v7, 29, v7
	v_lshlrev_b64 v[16:17], v16, v[8:9]
	s_delay_alu instid0(VALU_DEP_1)
	v_and_b32_e32 v8, 7, v16
; %bb.1920:                             ;   in Loop: Header=BB285_1567 Depth=1
	s_or_b32 exec_lo, exec_lo, s17
	v_lshlrev_b32_e32 v16, 16, v6
	s_delay_alu instid0(VALU_DEP_2) | instskip(SKIP_1) | instid1(VALU_DEP_3)
	v_lshlrev_b32_e32 v8, 20, v8
	v_lshl_add_u32 v7, v7, 23, 0x3c000000
	v_and_b32_e32 v16, 0x80000000, v16
	s_delay_alu instid0(VALU_DEP_1)
	v_or3_b32 v17, v8, v16, v7
	v_mov_b32_e32 v16, v9
.LBB285_1921:                           ;   in Loop: Header=BB285_1567 Depth=1
	s_or_b32 exec_lo, exec_lo, s8
.LBB285_1922:                           ;   in Loop: Header=BB285_1567 Depth=1
	s_delay_alu instid0(SALU_CYCLE_1)
	s_or_b32 exec_lo, exec_lo, s15
.LBB285_1923:                           ;   in Loop: Header=BB285_1567 Depth=1
	s_delay_alu instid0(SALU_CYCLE_1) | instskip(SKIP_4) | instid1(VALU_DEP_2)
	s_or_b32 exec_lo, exec_lo, s13
	v_mov_b32_e32 v20, 0
	v_lshrrev_b32_e32 v7, 16, v6
	v_mov_b32_e32 v21, 0
	s_mov_b32 s8, exec_lo
	v_and_b32_e32 v8, 0xff, v7
	s_delay_alu instid0(VALU_DEP_2) | instskip(NEXT) | instid1(VALU_DEP_2)
	v_dual_mov_b32 v18, v20 :: v_dual_mov_b32 v19, v21
	v_cmpx_ne_u16_e32 0, v8
	s_cbranch_execz .LBB285_1931
; %bb.1924:                             ;   in Loop: Header=BB285_1567 Depth=1
	v_bfrev_b32_e32 v18, 1
	v_mov_b32_e32 v19, 0
	s_mov_b32 s13, exec_lo
	v_cmpx_ne_u16_e32 0x80, v8
	s_cbranch_execz .LBB285_1930
; %bb.1925:                             ;   in Loop: Header=BB285_1567 Depth=1
	v_mov_b32_e32 v18, 0x7f800001
	v_bfe_u32 v22, v6, 16, 7
	v_mov_b32_e32 v19, 0
	s_mov_b32 s15, exec_lo
	s_delay_alu instid0(VALU_DEP_2)
	v_cmpx_ne_u32_e32 0x7f, v22
	s_cbranch_execz .LBB285_1929
; %bb.1926:                             ;   in Loop: Header=BB285_1567 Depth=1
	v_and_b32_e32 v8, 7, v7
	v_lshrrev_b32_e32 v18, 3, v22
	s_mov_b32 s17, exec_lo
	v_cmpx_gt_u32_e32 8, v22
; %bb.1927:                             ;   in Loop: Header=BB285_1567 Depth=1
	s_delay_alu instid0(VALU_DEP_3) | instskip(NEXT) | instid1(VALU_DEP_1)
	v_clz_i32_u32_e32 v18, v8
	v_min_u32_e32 v18, 32, v18
	s_delay_alu instid0(VALU_DEP_1) | instskip(SKIP_1) | instid1(VALU_DEP_2)
	v_subrev_nc_u32_e32 v19, 28, v18
	v_sub_nc_u32_e32 v18, 29, v18
	v_lshlrev_b64 v[22:23], v19, v[8:9]
	s_delay_alu instid0(VALU_DEP_1)
	v_and_b32_e32 v8, 7, v22
; %bb.1928:                             ;   in Loop: Header=BB285_1567 Depth=1
	s_or_b32 exec_lo, exec_lo, s17
	v_lshlrev_b32_e32 v7, 24, v7
	s_delay_alu instid0(VALU_DEP_2) | instskip(SKIP_1) | instid1(VALU_DEP_3)
	v_lshlrev_b32_e32 v8, 20, v8
	v_lshl_add_u32 v18, v18, 23, 0x3c000000
	v_and_b32_e32 v7, 0x80000000, v7
	s_delay_alu instid0(VALU_DEP_1) | instskip(NEXT) | instid1(VALU_DEP_1)
	v_or3_b32 v8, v8, v7, v18
	v_dual_mov_b32 v19, v9 :: v_dual_mov_b32 v18, v8
.LBB285_1929:                           ;   in Loop: Header=BB285_1567 Depth=1
	s_or_b32 exec_lo, exec_lo, s15
.LBB285_1930:                           ;   in Loop: Header=BB285_1567 Depth=1
	s_delay_alu instid0(SALU_CYCLE_1)
	s_or_b32 exec_lo, exec_lo, s13
.LBB285_1931:                           ;   in Loop: Header=BB285_1567 Depth=1
	s_delay_alu instid0(SALU_CYCLE_1) | instskip(NEXT) | instid1(SALU_CYCLE_1)
	s_or_b32 exec_lo, exec_lo, s8
	s_mov_b32 s13, exec_lo
	v_cmpx_lt_u32_e32 0xffffff, v6
	s_cbranch_execz .LBB285_1939
; %bb.1932:                             ;   in Loop: Header=BB285_1567 Depth=1
	v_lshrrev_b32_e32 v7, 24, v6
	v_dual_mov_b32 v21, s3 :: v_dual_mov_b32 v20, s2
	s_mov_b32 s15, exec_lo
	s_delay_alu instid0(VALU_DEP_2)
	v_cmpx_ne_u32_e32 0x80, v7
	s_cbranch_execz .LBB285_1938
; %bb.1933:                             ;   in Loop: Header=BB285_1567 Depth=1
	s_mov_b32 s8, s2
	v_bfe_u32 v22, v6, 24, 7
	v_dual_mov_b32 v21, s9 :: v_dual_mov_b32 v20, s8
	s_mov_b32 s8, exec_lo
	s_delay_alu instid0(VALU_DEP_2)
	v_cmpx_ne_u32_e32 0x7f, v22
	s_cbranch_execz .LBB285_1937
; %bb.1934:                             ;   in Loop: Header=BB285_1567 Depth=1
	v_and_b32_e32 v8, 7, v7
	v_lshrrev_b32_e32 v6, 3, v22
	s_mov_b32 s17, exec_lo
	v_cmpx_gt_u32_e32 8, v22
; %bb.1935:                             ;   in Loop: Header=BB285_1567 Depth=1
	s_delay_alu instid0(VALU_DEP_3) | instskip(NEXT) | instid1(VALU_DEP_1)
	v_clz_i32_u32_e32 v6, v8
	v_min_u32_e32 v6, 32, v6
	s_delay_alu instid0(VALU_DEP_1) | instskip(SKIP_1) | instid1(VALU_DEP_2)
	v_subrev_nc_u32_e32 v20, 28, v6
	v_sub_nc_u32_e32 v6, 29, v6
	v_lshlrev_b64 v[20:21], v20, v[8:9]
	s_delay_alu instid0(VALU_DEP_1)
	v_and_b32_e32 v8, 7, v20
; %bb.1936:                             ;   in Loop: Header=BB285_1567 Depth=1
	s_or_b32 exec_lo, exec_lo, s17
	v_dual_mov_b32 v20, v9 :: v_dual_lshlrev_b32 v7, 24, v7
	s_delay_alu instid0(VALU_DEP_2) | instskip(SKIP_1) | instid1(VALU_DEP_3)
	v_lshlrev_b32_e32 v8, 20, v8
	v_lshl_add_u32 v6, v6, 23, 0x3c000000
	v_and_b32_e32 v7, 0x80000000, v7
	s_delay_alu instid0(VALU_DEP_1)
	v_or3_b32 v21, v8, v7, v6
.LBB285_1937:                           ;   in Loop: Header=BB285_1567 Depth=1
	s_or_b32 exec_lo, exec_lo, s8
.LBB285_1938:                           ;   in Loop: Header=BB285_1567 Depth=1
	s_delay_alu instid0(SALU_CYCLE_1)
	s_or_b32 exec_lo, exec_lo, s15
.LBB285_1939:                           ;   in Loop: Header=BB285_1567 Depth=1
	s_delay_alu instid0(SALU_CYCLE_1) | instskip(SKIP_4) | instid1(VALU_DEP_4)
	s_or_b32 exec_lo, exec_lo, s13
	v_or_b32_e32 v6, v17, v15
	v_or_b32_e32 v7, v16, v14
	;; [unrolled: 1-line block ×4, first 2 shown]
	v_mul_f32_e32 v6, v161, v6
	scratch_store_b32 off, v6, s32 offset:664 ; 4-byte Folded Spill
	v_mul_f32_e32 v6, v115, v7
	scratch_store_b32 off, v6, s32 offset:656 ; 4-byte Folded Spill
	v_mul_f32_e32 v6, v161, v8
	scratch_store_b32 off, v6, s32 offset:648 ; 4-byte Folded Spill
	v_mul_f32_e32 v6, v115, v14
	scratch_store_b32 off, v6, s32 offset:672 ; 4-byte Folded Spill
	s_and_saveexec_b32 s8, vcc_lo
	s_cbranch_execz .LBB285_1941
; %bb.1940:                             ;   in Loop: Header=BB285_1567 Depth=1
	scratch_load_b32 v6, off, s32 offset:656 ; 4-byte Folded Reload
	v_cmp_lt_i32_e64 s0, v182, v55
	s_waitcnt vmcnt(0)
	s_delay_alu instid0(VALU_DEP_1)
	v_cndmask_b32_e64 v6, 0, v6, s0
	v_cmp_lt_i32_e64 s0, v40, v55
	scratch_store_b32 off, v6, s32 offset:656 ; 4-byte Folded Spill
	scratch_load_b32 v6, off, s32 offset:664 ; 4-byte Folded Reload
	s_waitcnt vmcnt(0)
	v_cndmask_b32_e64 v6, 0, v6, s0
	v_cmp_lt_i32_e64 s0, v183, v55
	scratch_store_b32 off, v6, s32 offset:664 ; 4-byte Folded Spill
	scratch_load_b32 v6, off, s32 offset:672 ; 4-byte Folded Reload
	s_waitcnt vmcnt(0)
	;; [unrolled: 5-line block ×3, first 2 shown]
	v_cndmask_b32_e64 v6, 0, v6, s0
	scratch_store_b32 off, v6, s32 offset:648 ; 4-byte Folded Spill
.LBB285_1941:                           ;   in Loop: Header=BB285_1567 Depth=1
	s_or_b32 exec_lo, exec_lo, s8
	flat_load_b32 v6, v[4:5] offset:1408
	v_mov_b32_e32 v16, 0
	v_mov_b32_e32 v17, 0
	s_delay_alu instid0(VALU_DEP_2) | instskip(SKIP_1) | instid1(VALU_DEP_2)
	v_mov_b32_e32 v14, v16
	s_mov_b32 s8, exec_lo
	v_mov_b32_e32 v15, v17
	s_waitcnt vmcnt(0) lgkmcnt(0)
	v_and_b32_e32 v7, 0xff, v6
	s_delay_alu instid0(VALU_DEP_1)
	v_cmpx_ne_u16_e32 0, v7
	s_cbranch_execz .LBB285_1949
; %bb.1942:                             ;   in Loop: Header=BB285_1567 Depth=1
	v_bfrev_b32_e32 v14, 1
	v_mov_b32_e32 v15, 0
	s_mov_b32 s13, exec_lo
	v_cmpx_ne_u16_e32 0x80, v7
	s_cbranch_execz .LBB285_1948
; %bb.1943:                             ;   in Loop: Header=BB285_1567 Depth=1
	v_mov_b32_e32 v14, 0x7f800001
	v_dual_mov_b32 v15, 0 :: v_dual_and_b32 v18, 0x7f, v6
	s_mov_b32 s15, exec_lo
	s_delay_alu instid0(VALU_DEP_1)
	v_cmpx_ne_u32_e32 0x7f, v18
	s_cbranch_execz .LBB285_1947
; %bb.1944:                             ;   in Loop: Header=BB285_1567 Depth=1
	v_and_b32_e32 v8, 7, v6
	v_lshrrev_b32_e32 v7, 3, v18
	s_mov_b32 s17, exec_lo
	v_cmpx_gt_u32_e32 8, v18
; %bb.1945:                             ;   in Loop: Header=BB285_1567 Depth=1
	s_delay_alu instid0(VALU_DEP_3) | instskip(NEXT) | instid1(VALU_DEP_1)
	v_clz_i32_u32_e32 v7, v8
	v_min_u32_e32 v7, 32, v7
	s_delay_alu instid0(VALU_DEP_1) | instskip(SKIP_1) | instid1(VALU_DEP_2)
	v_subrev_nc_u32_e32 v14, 28, v7
	v_sub_nc_u32_e32 v7, 29, v7
	v_lshlrev_b64 v[14:15], v14, v[8:9]
	s_delay_alu instid0(VALU_DEP_1)
	v_and_b32_e32 v8, 7, v14
; %bb.1946:                             ;   in Loop: Header=BB285_1567 Depth=1
	s_or_b32 exec_lo, exec_lo, s17
	v_lshlrev_b32_e32 v14, 24, v6
	s_delay_alu instid0(VALU_DEP_2) | instskip(SKIP_1) | instid1(VALU_DEP_3)
	v_lshlrev_b32_e32 v8, 20, v8
	v_lshl_add_u32 v7, v7, 23, 0x3c000000
	v_and_b32_e32 v14, 0x80000000, v14
	s_delay_alu instid0(VALU_DEP_1) | instskip(NEXT) | instid1(VALU_DEP_1)
	v_or3_b32 v8, v8, v14, v7
	v_dual_mov_b32 v15, v9 :: v_dual_mov_b32 v14, v8
.LBB285_1947:                           ;   in Loop: Header=BB285_1567 Depth=1
	s_or_b32 exec_lo, exec_lo, s15
.LBB285_1948:                           ;   in Loop: Header=BB285_1567 Depth=1
	s_delay_alu instid0(SALU_CYCLE_1)
	s_or_b32 exec_lo, exec_lo, s13
.LBB285_1949:                           ;   in Loop: Header=BB285_1567 Depth=1
	s_delay_alu instid0(SALU_CYCLE_1) | instskip(SKIP_2) | instid1(VALU_DEP_1)
	s_or_b32 exec_lo, exec_lo, s8
	v_lshrrev_b16 v7, 8, v6
	s_mov_b32 s13, exec_lo
	v_cmpx_ne_u16_e32 0, v7
	s_cbranch_execz .LBB285_1957
; %bb.1950:                             ;   in Loop: Header=BB285_1567 Depth=1
	v_dual_mov_b32 v17, s3 :: v_dual_mov_b32 v16, s2
	s_mov_b32 s15, exec_lo
	v_cmpx_ne_u16_e32 0x80, v7
	s_cbranch_execz .LBB285_1956
; %bb.1951:                             ;   in Loop: Header=BB285_1567 Depth=1
	s_mov_b32 s8, s2
	v_and_b32_e32 v7, 0xffff, v7
	v_dual_mov_b32 v17, s9 :: v_dual_mov_b32 v16, s8
	s_mov_b32 s8, exec_lo
	s_delay_alu instid0(VALU_DEP_2) | instskip(NEXT) | instid1(VALU_DEP_1)
	v_and_b32_e32 v18, 0x7f, v7
	v_cmpx_ne_u32_e32 0x7f, v18
	s_cbranch_execz .LBB285_1955
; %bb.1952:                             ;   in Loop: Header=BB285_1567 Depth=1
	v_and_b32_e32 v8, 7, v7
	v_lshrrev_b32_e32 v7, 3, v18
	s_mov_b32 s17, exec_lo
	v_cmpx_gt_u32_e32 8, v18
; %bb.1953:                             ;   in Loop: Header=BB285_1567 Depth=1
	s_delay_alu instid0(VALU_DEP_3) | instskip(NEXT) | instid1(VALU_DEP_1)
	v_clz_i32_u32_e32 v7, v8
	v_min_u32_e32 v7, 32, v7
	s_delay_alu instid0(VALU_DEP_1) | instskip(SKIP_1) | instid1(VALU_DEP_2)
	v_subrev_nc_u32_e32 v16, 28, v7
	v_sub_nc_u32_e32 v7, 29, v7
	v_lshlrev_b64 v[16:17], v16, v[8:9]
	s_delay_alu instid0(VALU_DEP_1)
	v_and_b32_e32 v8, 7, v16
; %bb.1954:                             ;   in Loop: Header=BB285_1567 Depth=1
	s_or_b32 exec_lo, exec_lo, s17
	v_lshlrev_b32_e32 v16, 16, v6
	s_delay_alu instid0(VALU_DEP_2) | instskip(SKIP_1) | instid1(VALU_DEP_3)
	v_lshlrev_b32_e32 v8, 20, v8
	v_lshl_add_u32 v7, v7, 23, 0x3c000000
	v_and_b32_e32 v16, 0x80000000, v16
	s_delay_alu instid0(VALU_DEP_1)
	v_or3_b32 v17, v8, v16, v7
	v_mov_b32_e32 v16, v9
.LBB285_1955:                           ;   in Loop: Header=BB285_1567 Depth=1
	s_or_b32 exec_lo, exec_lo, s8
.LBB285_1956:                           ;   in Loop: Header=BB285_1567 Depth=1
	s_delay_alu instid0(SALU_CYCLE_1)
	s_or_b32 exec_lo, exec_lo, s15
.LBB285_1957:                           ;   in Loop: Header=BB285_1567 Depth=1
	s_delay_alu instid0(SALU_CYCLE_1) | instskip(SKIP_4) | instid1(VALU_DEP_2)
	s_or_b32 exec_lo, exec_lo, s13
	v_mov_b32_e32 v20, 0
	v_lshrrev_b32_e32 v7, 16, v6
	v_mov_b32_e32 v21, 0
	s_mov_b32 s8, exec_lo
	v_and_b32_e32 v8, 0xff, v7
	s_delay_alu instid0(VALU_DEP_2) | instskip(NEXT) | instid1(VALU_DEP_2)
	v_dual_mov_b32 v18, v20 :: v_dual_mov_b32 v19, v21
	v_cmpx_ne_u16_e32 0, v8
	s_cbranch_execz .LBB285_1965
; %bb.1958:                             ;   in Loop: Header=BB285_1567 Depth=1
	v_bfrev_b32_e32 v18, 1
	v_mov_b32_e32 v19, 0
	s_mov_b32 s13, exec_lo
	v_cmpx_ne_u16_e32 0x80, v8
	s_cbranch_execz .LBB285_1964
; %bb.1959:                             ;   in Loop: Header=BB285_1567 Depth=1
	v_mov_b32_e32 v18, 0x7f800001
	v_bfe_u32 v22, v6, 16, 7
	v_mov_b32_e32 v19, 0
	s_mov_b32 s15, exec_lo
	s_delay_alu instid0(VALU_DEP_2)
	v_cmpx_ne_u32_e32 0x7f, v22
	s_cbranch_execz .LBB285_1963
; %bb.1960:                             ;   in Loop: Header=BB285_1567 Depth=1
	v_and_b32_e32 v8, 7, v7
	v_lshrrev_b32_e32 v18, 3, v22
	s_mov_b32 s17, exec_lo
	v_cmpx_gt_u32_e32 8, v22
; %bb.1961:                             ;   in Loop: Header=BB285_1567 Depth=1
	s_delay_alu instid0(VALU_DEP_3) | instskip(NEXT) | instid1(VALU_DEP_1)
	v_clz_i32_u32_e32 v18, v8
	v_min_u32_e32 v18, 32, v18
	s_delay_alu instid0(VALU_DEP_1) | instskip(SKIP_1) | instid1(VALU_DEP_2)
	v_subrev_nc_u32_e32 v19, 28, v18
	v_sub_nc_u32_e32 v18, 29, v18
	v_lshlrev_b64 v[22:23], v19, v[8:9]
	s_delay_alu instid0(VALU_DEP_1)
	v_and_b32_e32 v8, 7, v22
; %bb.1962:                             ;   in Loop: Header=BB285_1567 Depth=1
	s_or_b32 exec_lo, exec_lo, s17
	v_lshlrev_b32_e32 v7, 24, v7
	s_delay_alu instid0(VALU_DEP_2) | instskip(SKIP_1) | instid1(VALU_DEP_3)
	v_lshlrev_b32_e32 v8, 20, v8
	v_lshl_add_u32 v18, v18, 23, 0x3c000000
	v_and_b32_e32 v7, 0x80000000, v7
	s_delay_alu instid0(VALU_DEP_1) | instskip(NEXT) | instid1(VALU_DEP_1)
	v_or3_b32 v8, v8, v7, v18
	v_dual_mov_b32 v19, v9 :: v_dual_mov_b32 v18, v8
.LBB285_1963:                           ;   in Loop: Header=BB285_1567 Depth=1
	s_or_b32 exec_lo, exec_lo, s15
.LBB285_1964:                           ;   in Loop: Header=BB285_1567 Depth=1
	s_delay_alu instid0(SALU_CYCLE_1)
	s_or_b32 exec_lo, exec_lo, s13
.LBB285_1965:                           ;   in Loop: Header=BB285_1567 Depth=1
	s_delay_alu instid0(SALU_CYCLE_1) | instskip(NEXT) | instid1(SALU_CYCLE_1)
	s_or_b32 exec_lo, exec_lo, s8
	s_mov_b32 s13, exec_lo
	v_cmpx_lt_u32_e32 0xffffff, v6
	s_cbranch_execz .LBB285_1973
; %bb.1966:                             ;   in Loop: Header=BB285_1567 Depth=1
	v_lshrrev_b32_e32 v7, 24, v6
	v_dual_mov_b32 v21, s3 :: v_dual_mov_b32 v20, s2
	s_mov_b32 s15, exec_lo
	s_delay_alu instid0(VALU_DEP_2)
	v_cmpx_ne_u32_e32 0x80, v7
	s_cbranch_execz .LBB285_1972
; %bb.1967:                             ;   in Loop: Header=BB285_1567 Depth=1
	s_mov_b32 s8, s2
	v_bfe_u32 v22, v6, 24, 7
	v_dual_mov_b32 v21, s9 :: v_dual_mov_b32 v20, s8
	s_mov_b32 s8, exec_lo
	s_delay_alu instid0(VALU_DEP_2)
	v_cmpx_ne_u32_e32 0x7f, v22
	s_cbranch_execz .LBB285_1971
; %bb.1968:                             ;   in Loop: Header=BB285_1567 Depth=1
	v_and_b32_e32 v8, 7, v7
	v_lshrrev_b32_e32 v6, 3, v22
	s_mov_b32 s17, exec_lo
	v_cmpx_gt_u32_e32 8, v22
; %bb.1969:                             ;   in Loop: Header=BB285_1567 Depth=1
	s_delay_alu instid0(VALU_DEP_3) | instskip(NEXT) | instid1(VALU_DEP_1)
	v_clz_i32_u32_e32 v6, v8
	v_min_u32_e32 v6, 32, v6
	s_delay_alu instid0(VALU_DEP_1) | instskip(SKIP_1) | instid1(VALU_DEP_2)
	v_subrev_nc_u32_e32 v20, 28, v6
	v_sub_nc_u32_e32 v6, 29, v6
	v_lshlrev_b64 v[20:21], v20, v[8:9]
	s_delay_alu instid0(VALU_DEP_1)
	v_and_b32_e32 v8, 7, v20
; %bb.1970:                             ;   in Loop: Header=BB285_1567 Depth=1
	s_or_b32 exec_lo, exec_lo, s17
	v_dual_mov_b32 v20, v9 :: v_dual_lshlrev_b32 v7, 24, v7
	s_delay_alu instid0(VALU_DEP_2) | instskip(SKIP_1) | instid1(VALU_DEP_3)
	v_lshlrev_b32_e32 v8, 20, v8
	v_lshl_add_u32 v6, v6, 23, 0x3c000000
	v_and_b32_e32 v7, 0x80000000, v7
	s_delay_alu instid0(VALU_DEP_1)
	v_or3_b32 v21, v8, v7, v6
.LBB285_1971:                           ;   in Loop: Header=BB285_1567 Depth=1
	s_or_b32 exec_lo, exec_lo, s8
.LBB285_1972:                           ;   in Loop: Header=BB285_1567 Depth=1
	s_delay_alu instid0(SALU_CYCLE_1)
	s_or_b32 exec_lo, exec_lo, s15
.LBB285_1973:                           ;   in Loop: Header=BB285_1567 Depth=1
	s_delay_alu instid0(SALU_CYCLE_1) | instskip(SKIP_4) | instid1(VALU_DEP_4)
	s_or_b32 exec_lo, exec_lo, s13
	v_or_b32_e32 v6, v17, v15
	v_or_b32_e32 v7, v16, v14
	;; [unrolled: 1-line block ×4, first 2 shown]
	v_mul_f32_e32 v6, v161, v6
	scratch_store_b32 off, v6, s32 offset:696 ; 4-byte Folded Spill
	v_mul_f32_e32 v6, v115, v7
	scratch_store_b32 off, v6, s32 offset:688 ; 4-byte Folded Spill
	;; [unrolled: 2-line block ×4, first 2 shown]
	s_and_saveexec_b32 s8, vcc_lo
	s_cbranch_execz .LBB285_1975
; %bb.1974:                             ;   in Loop: Header=BB285_1567 Depth=1
	scratch_load_b32 v6, off, s32 offset:688 ; 4-byte Folded Reload
	v_cmp_lt_i32_e64 s0, v182, v55
	s_waitcnt vmcnt(0)
	s_delay_alu instid0(VALU_DEP_1)
	v_cndmask_b32_e64 v6, 0, v6, s0
	v_cmp_lt_i32_e64 s0, v40, v55
	scratch_store_b32 off, v6, s32 offset:688 ; 4-byte Folded Spill
	scratch_load_b32 v6, off, s32 offset:696 ; 4-byte Folded Reload
	s_waitcnt vmcnt(0)
	v_cndmask_b32_e64 v6, 0, v6, s0
	v_cmp_lt_i32_e64 s0, v183, v55
	scratch_store_b32 off, v6, s32 offset:696 ; 4-byte Folded Spill
	scratch_load_b32 v6, off, s32 offset:704 ; 4-byte Folded Reload
	s_waitcnt vmcnt(0)
	;; [unrolled: 5-line block ×3, first 2 shown]
	v_cndmask_b32_e64 v6, 0, v6, s0
	scratch_store_b32 off, v6, s32 offset:680 ; 4-byte Folded Spill
.LBB285_1975:                           ;   in Loop: Header=BB285_1567 Depth=1
	s_or_b32 exec_lo, exec_lo, s8
	flat_load_b32 v6, v[4:5] offset:1536
	v_mov_b32_e32 v16, 0
	v_mov_b32_e32 v17, 0
	s_delay_alu instid0(VALU_DEP_2) | instskip(SKIP_1) | instid1(VALU_DEP_2)
	v_mov_b32_e32 v14, v16
	s_mov_b32 s8, exec_lo
	v_mov_b32_e32 v15, v17
	s_waitcnt vmcnt(0) lgkmcnt(0)
	v_and_b32_e32 v7, 0xff, v6
	s_delay_alu instid0(VALU_DEP_1)
	v_cmpx_ne_u16_e32 0, v7
	s_cbranch_execz .LBB285_1983
; %bb.1976:                             ;   in Loop: Header=BB285_1567 Depth=1
	v_bfrev_b32_e32 v14, 1
	v_mov_b32_e32 v15, 0
	s_mov_b32 s13, exec_lo
	v_cmpx_ne_u16_e32 0x80, v7
	s_cbranch_execz .LBB285_1982
; %bb.1977:                             ;   in Loop: Header=BB285_1567 Depth=1
	v_mov_b32_e32 v14, 0x7f800001
	v_dual_mov_b32 v15, 0 :: v_dual_and_b32 v18, 0x7f, v6
	s_mov_b32 s15, exec_lo
	s_delay_alu instid0(VALU_DEP_1)
	v_cmpx_ne_u32_e32 0x7f, v18
	s_cbranch_execz .LBB285_1981
; %bb.1978:                             ;   in Loop: Header=BB285_1567 Depth=1
	v_and_b32_e32 v8, 7, v6
	v_lshrrev_b32_e32 v7, 3, v18
	s_mov_b32 s17, exec_lo
	v_cmpx_gt_u32_e32 8, v18
; %bb.1979:                             ;   in Loop: Header=BB285_1567 Depth=1
	s_delay_alu instid0(VALU_DEP_3) | instskip(NEXT) | instid1(VALU_DEP_1)
	v_clz_i32_u32_e32 v7, v8
	v_min_u32_e32 v7, 32, v7
	s_delay_alu instid0(VALU_DEP_1) | instskip(SKIP_1) | instid1(VALU_DEP_2)
	v_subrev_nc_u32_e32 v14, 28, v7
	v_sub_nc_u32_e32 v7, 29, v7
	v_lshlrev_b64 v[14:15], v14, v[8:9]
	s_delay_alu instid0(VALU_DEP_1)
	v_and_b32_e32 v8, 7, v14
; %bb.1980:                             ;   in Loop: Header=BB285_1567 Depth=1
	s_or_b32 exec_lo, exec_lo, s17
	v_lshlrev_b32_e32 v14, 24, v6
	s_delay_alu instid0(VALU_DEP_2) | instskip(SKIP_1) | instid1(VALU_DEP_3)
	v_lshlrev_b32_e32 v8, 20, v8
	v_lshl_add_u32 v7, v7, 23, 0x3c000000
	v_and_b32_e32 v14, 0x80000000, v14
	s_delay_alu instid0(VALU_DEP_1) | instskip(NEXT) | instid1(VALU_DEP_1)
	v_or3_b32 v8, v8, v14, v7
	v_dual_mov_b32 v15, v9 :: v_dual_mov_b32 v14, v8
.LBB285_1981:                           ;   in Loop: Header=BB285_1567 Depth=1
	s_or_b32 exec_lo, exec_lo, s15
.LBB285_1982:                           ;   in Loop: Header=BB285_1567 Depth=1
	s_delay_alu instid0(SALU_CYCLE_1)
	s_or_b32 exec_lo, exec_lo, s13
.LBB285_1983:                           ;   in Loop: Header=BB285_1567 Depth=1
	s_delay_alu instid0(SALU_CYCLE_1) | instskip(SKIP_2) | instid1(VALU_DEP_1)
	s_or_b32 exec_lo, exec_lo, s8
	v_lshrrev_b16 v7, 8, v6
	s_mov_b32 s13, exec_lo
	v_cmpx_ne_u16_e32 0, v7
	s_cbranch_execz .LBB285_1991
; %bb.1984:                             ;   in Loop: Header=BB285_1567 Depth=1
	v_dual_mov_b32 v17, s3 :: v_dual_mov_b32 v16, s2
	s_mov_b32 s15, exec_lo
	v_cmpx_ne_u16_e32 0x80, v7
	s_cbranch_execz .LBB285_1990
; %bb.1985:                             ;   in Loop: Header=BB285_1567 Depth=1
	s_mov_b32 s8, s2
	v_and_b32_e32 v7, 0xffff, v7
	v_dual_mov_b32 v17, s9 :: v_dual_mov_b32 v16, s8
	s_mov_b32 s8, exec_lo
	s_delay_alu instid0(VALU_DEP_2) | instskip(NEXT) | instid1(VALU_DEP_1)
	v_and_b32_e32 v18, 0x7f, v7
	v_cmpx_ne_u32_e32 0x7f, v18
	s_cbranch_execz .LBB285_1989
; %bb.1986:                             ;   in Loop: Header=BB285_1567 Depth=1
	v_and_b32_e32 v8, 7, v7
	v_lshrrev_b32_e32 v7, 3, v18
	s_mov_b32 s17, exec_lo
	v_cmpx_gt_u32_e32 8, v18
; %bb.1987:                             ;   in Loop: Header=BB285_1567 Depth=1
	s_delay_alu instid0(VALU_DEP_3) | instskip(NEXT) | instid1(VALU_DEP_1)
	v_clz_i32_u32_e32 v7, v8
	v_min_u32_e32 v7, 32, v7
	s_delay_alu instid0(VALU_DEP_1) | instskip(SKIP_1) | instid1(VALU_DEP_2)
	v_subrev_nc_u32_e32 v16, 28, v7
	v_sub_nc_u32_e32 v7, 29, v7
	v_lshlrev_b64 v[16:17], v16, v[8:9]
	s_delay_alu instid0(VALU_DEP_1)
	v_and_b32_e32 v8, 7, v16
; %bb.1988:                             ;   in Loop: Header=BB285_1567 Depth=1
	s_or_b32 exec_lo, exec_lo, s17
	v_lshlrev_b32_e32 v16, 16, v6
	s_delay_alu instid0(VALU_DEP_2) | instskip(SKIP_1) | instid1(VALU_DEP_3)
	v_lshlrev_b32_e32 v8, 20, v8
	v_lshl_add_u32 v7, v7, 23, 0x3c000000
	v_and_b32_e32 v16, 0x80000000, v16
	s_delay_alu instid0(VALU_DEP_1)
	v_or3_b32 v17, v8, v16, v7
	v_mov_b32_e32 v16, v9
.LBB285_1989:                           ;   in Loop: Header=BB285_1567 Depth=1
	s_or_b32 exec_lo, exec_lo, s8
.LBB285_1990:                           ;   in Loop: Header=BB285_1567 Depth=1
	s_delay_alu instid0(SALU_CYCLE_1)
	s_or_b32 exec_lo, exec_lo, s15
.LBB285_1991:                           ;   in Loop: Header=BB285_1567 Depth=1
	s_delay_alu instid0(SALU_CYCLE_1) | instskip(SKIP_4) | instid1(VALU_DEP_2)
	s_or_b32 exec_lo, exec_lo, s13
	v_mov_b32_e32 v20, 0
	v_lshrrev_b32_e32 v7, 16, v6
	v_mov_b32_e32 v21, 0
	s_mov_b32 s8, exec_lo
	v_and_b32_e32 v8, 0xff, v7
	s_delay_alu instid0(VALU_DEP_2) | instskip(NEXT) | instid1(VALU_DEP_2)
	v_dual_mov_b32 v18, v20 :: v_dual_mov_b32 v19, v21
	v_cmpx_ne_u16_e32 0, v8
	s_cbranch_execz .LBB285_1999
; %bb.1992:                             ;   in Loop: Header=BB285_1567 Depth=1
	v_bfrev_b32_e32 v18, 1
	v_mov_b32_e32 v19, 0
	s_mov_b32 s13, exec_lo
	v_cmpx_ne_u16_e32 0x80, v8
	s_cbranch_execz .LBB285_1998
; %bb.1993:                             ;   in Loop: Header=BB285_1567 Depth=1
	v_mov_b32_e32 v18, 0x7f800001
	v_bfe_u32 v22, v6, 16, 7
	v_mov_b32_e32 v19, 0
	s_mov_b32 s15, exec_lo
	s_delay_alu instid0(VALU_DEP_2)
	v_cmpx_ne_u32_e32 0x7f, v22
	s_cbranch_execz .LBB285_1997
; %bb.1994:                             ;   in Loop: Header=BB285_1567 Depth=1
	v_and_b32_e32 v8, 7, v7
	v_lshrrev_b32_e32 v18, 3, v22
	s_mov_b32 s17, exec_lo
	v_cmpx_gt_u32_e32 8, v22
; %bb.1995:                             ;   in Loop: Header=BB285_1567 Depth=1
	s_delay_alu instid0(VALU_DEP_3) | instskip(NEXT) | instid1(VALU_DEP_1)
	v_clz_i32_u32_e32 v18, v8
	v_min_u32_e32 v18, 32, v18
	s_delay_alu instid0(VALU_DEP_1) | instskip(SKIP_1) | instid1(VALU_DEP_2)
	v_subrev_nc_u32_e32 v19, 28, v18
	v_sub_nc_u32_e32 v18, 29, v18
	v_lshlrev_b64 v[22:23], v19, v[8:9]
	s_delay_alu instid0(VALU_DEP_1)
	v_and_b32_e32 v8, 7, v22
; %bb.1996:                             ;   in Loop: Header=BB285_1567 Depth=1
	s_or_b32 exec_lo, exec_lo, s17
	v_lshlrev_b32_e32 v7, 24, v7
	s_delay_alu instid0(VALU_DEP_2) | instskip(SKIP_1) | instid1(VALU_DEP_3)
	v_lshlrev_b32_e32 v8, 20, v8
	v_lshl_add_u32 v18, v18, 23, 0x3c000000
	v_and_b32_e32 v7, 0x80000000, v7
	s_delay_alu instid0(VALU_DEP_1) | instskip(NEXT) | instid1(VALU_DEP_1)
	v_or3_b32 v8, v8, v7, v18
	v_dual_mov_b32 v19, v9 :: v_dual_mov_b32 v18, v8
.LBB285_1997:                           ;   in Loop: Header=BB285_1567 Depth=1
	s_or_b32 exec_lo, exec_lo, s15
.LBB285_1998:                           ;   in Loop: Header=BB285_1567 Depth=1
	s_delay_alu instid0(SALU_CYCLE_1)
	s_or_b32 exec_lo, exec_lo, s13
.LBB285_1999:                           ;   in Loop: Header=BB285_1567 Depth=1
	s_delay_alu instid0(SALU_CYCLE_1) | instskip(NEXT) | instid1(SALU_CYCLE_1)
	s_or_b32 exec_lo, exec_lo, s8
	s_mov_b32 s13, exec_lo
	v_cmpx_lt_u32_e32 0xffffff, v6
	s_cbranch_execz .LBB285_2007
; %bb.2000:                             ;   in Loop: Header=BB285_1567 Depth=1
	v_lshrrev_b32_e32 v7, 24, v6
	v_dual_mov_b32 v21, s3 :: v_dual_mov_b32 v20, s2
	s_mov_b32 s15, exec_lo
	s_delay_alu instid0(VALU_DEP_2)
	v_cmpx_ne_u32_e32 0x80, v7
	s_cbranch_execz .LBB285_2006
; %bb.2001:                             ;   in Loop: Header=BB285_1567 Depth=1
	s_mov_b32 s8, s2
	v_bfe_u32 v22, v6, 24, 7
	v_dual_mov_b32 v21, s9 :: v_dual_mov_b32 v20, s8
	s_mov_b32 s8, exec_lo
	s_delay_alu instid0(VALU_DEP_2)
	v_cmpx_ne_u32_e32 0x7f, v22
	s_cbranch_execz .LBB285_2005
; %bb.2002:                             ;   in Loop: Header=BB285_1567 Depth=1
	v_and_b32_e32 v8, 7, v7
	v_lshrrev_b32_e32 v6, 3, v22
	s_mov_b32 s17, exec_lo
	v_cmpx_gt_u32_e32 8, v22
; %bb.2003:                             ;   in Loop: Header=BB285_1567 Depth=1
	s_delay_alu instid0(VALU_DEP_3) | instskip(NEXT) | instid1(VALU_DEP_1)
	v_clz_i32_u32_e32 v6, v8
	v_min_u32_e32 v6, 32, v6
	s_delay_alu instid0(VALU_DEP_1) | instskip(SKIP_1) | instid1(VALU_DEP_2)
	v_subrev_nc_u32_e32 v20, 28, v6
	v_sub_nc_u32_e32 v6, 29, v6
	v_lshlrev_b64 v[20:21], v20, v[8:9]
	s_delay_alu instid0(VALU_DEP_1)
	v_and_b32_e32 v8, 7, v20
; %bb.2004:                             ;   in Loop: Header=BB285_1567 Depth=1
	s_or_b32 exec_lo, exec_lo, s17
	v_dual_mov_b32 v20, v9 :: v_dual_lshlrev_b32 v7, 24, v7
	s_delay_alu instid0(VALU_DEP_2) | instskip(SKIP_1) | instid1(VALU_DEP_3)
	v_lshlrev_b32_e32 v8, 20, v8
	v_lshl_add_u32 v6, v6, 23, 0x3c000000
	v_and_b32_e32 v7, 0x80000000, v7
	s_delay_alu instid0(VALU_DEP_1)
	v_or3_b32 v21, v8, v7, v6
.LBB285_2005:                           ;   in Loop: Header=BB285_1567 Depth=1
	s_or_b32 exec_lo, exec_lo, s8
.LBB285_2006:                           ;   in Loop: Header=BB285_1567 Depth=1
	s_delay_alu instid0(SALU_CYCLE_1)
	s_or_b32 exec_lo, exec_lo, s15
.LBB285_2007:                           ;   in Loop: Header=BB285_1567 Depth=1
	s_delay_alu instid0(SALU_CYCLE_1) | instskip(SKIP_4) | instid1(VALU_DEP_4)
	s_or_b32 exec_lo, exec_lo, s13
	v_or_b32_e32 v6, v17, v15
	v_or_b32_e32 v7, v16, v14
	;; [unrolled: 1-line block ×4, first 2 shown]
	v_mul_f32_e32 v6, v161, v6
	scratch_store_b32 off, v6, s32 offset:728 ; 4-byte Folded Spill
	v_mul_f32_e32 v6, v115, v7
	scratch_store_b32 off, v6, s32 offset:720 ; 4-byte Folded Spill
	;; [unrolled: 2-line block ×4, first 2 shown]
	s_and_saveexec_b32 s8, vcc_lo
	s_cbranch_execz .LBB285_2009
; %bb.2008:                             ;   in Loop: Header=BB285_1567 Depth=1
	scratch_load_b32 v6, off, s32 offset:720 ; 4-byte Folded Reload
	v_cmp_lt_i32_e64 s0, v182, v55
	s_waitcnt vmcnt(0)
	s_delay_alu instid0(VALU_DEP_1)
	v_cndmask_b32_e64 v6, 0, v6, s0
	v_cmp_lt_i32_e64 s0, v40, v55
	scratch_store_b32 off, v6, s32 offset:720 ; 4-byte Folded Spill
	scratch_load_b32 v6, off, s32 offset:728 ; 4-byte Folded Reload
	s_waitcnt vmcnt(0)
	v_cndmask_b32_e64 v6, 0, v6, s0
	v_cmp_lt_i32_e64 s0, v183, v55
	scratch_store_b32 off, v6, s32 offset:728 ; 4-byte Folded Spill
	scratch_load_b32 v6, off, s32 offset:736 ; 4-byte Folded Reload
	s_waitcnt vmcnt(0)
	;; [unrolled: 5-line block ×3, first 2 shown]
	v_cndmask_b32_e64 v6, 0, v6, s0
	scratch_store_b32 off, v6, s32 offset:712 ; 4-byte Folded Spill
.LBB285_2009:                           ;   in Loop: Header=BB285_1567 Depth=1
	s_or_b32 exec_lo, exec_lo, s8
	flat_load_b32 v6, v[4:5] offset:1664
	v_mov_b32_e32 v16, 0
	v_mov_b32_e32 v17, 0
	s_delay_alu instid0(VALU_DEP_2) | instskip(SKIP_1) | instid1(VALU_DEP_2)
	v_mov_b32_e32 v14, v16
	s_mov_b32 s8, exec_lo
	v_mov_b32_e32 v15, v17
	s_waitcnt vmcnt(0) lgkmcnt(0)
	v_and_b32_e32 v7, 0xff, v6
	s_delay_alu instid0(VALU_DEP_1)
	v_cmpx_ne_u16_e32 0, v7
	s_cbranch_execz .LBB285_2017
; %bb.2010:                             ;   in Loop: Header=BB285_1567 Depth=1
	v_bfrev_b32_e32 v14, 1
	v_mov_b32_e32 v15, 0
	s_mov_b32 s13, exec_lo
	v_cmpx_ne_u16_e32 0x80, v7
	s_cbranch_execz .LBB285_2016
; %bb.2011:                             ;   in Loop: Header=BB285_1567 Depth=1
	v_mov_b32_e32 v14, 0x7f800001
	v_dual_mov_b32 v15, 0 :: v_dual_and_b32 v18, 0x7f, v6
	s_mov_b32 s15, exec_lo
	s_delay_alu instid0(VALU_DEP_1)
	v_cmpx_ne_u32_e32 0x7f, v18
	s_cbranch_execz .LBB285_2015
; %bb.2012:                             ;   in Loop: Header=BB285_1567 Depth=1
	v_and_b32_e32 v8, 7, v6
	v_lshrrev_b32_e32 v7, 3, v18
	s_mov_b32 s17, exec_lo
	v_cmpx_gt_u32_e32 8, v18
; %bb.2013:                             ;   in Loop: Header=BB285_1567 Depth=1
	s_delay_alu instid0(VALU_DEP_3) | instskip(NEXT) | instid1(VALU_DEP_1)
	v_clz_i32_u32_e32 v7, v8
	v_min_u32_e32 v7, 32, v7
	s_delay_alu instid0(VALU_DEP_1) | instskip(SKIP_1) | instid1(VALU_DEP_2)
	v_subrev_nc_u32_e32 v14, 28, v7
	v_sub_nc_u32_e32 v7, 29, v7
	v_lshlrev_b64 v[14:15], v14, v[8:9]
	s_delay_alu instid0(VALU_DEP_1)
	v_and_b32_e32 v8, 7, v14
; %bb.2014:                             ;   in Loop: Header=BB285_1567 Depth=1
	s_or_b32 exec_lo, exec_lo, s17
	v_lshlrev_b32_e32 v14, 24, v6
	s_delay_alu instid0(VALU_DEP_2) | instskip(SKIP_1) | instid1(VALU_DEP_3)
	v_lshlrev_b32_e32 v8, 20, v8
	v_lshl_add_u32 v7, v7, 23, 0x3c000000
	v_and_b32_e32 v14, 0x80000000, v14
	s_delay_alu instid0(VALU_DEP_1) | instskip(NEXT) | instid1(VALU_DEP_1)
	v_or3_b32 v8, v8, v14, v7
	v_dual_mov_b32 v15, v9 :: v_dual_mov_b32 v14, v8
.LBB285_2015:                           ;   in Loop: Header=BB285_1567 Depth=1
	s_or_b32 exec_lo, exec_lo, s15
.LBB285_2016:                           ;   in Loop: Header=BB285_1567 Depth=1
	s_delay_alu instid0(SALU_CYCLE_1)
	s_or_b32 exec_lo, exec_lo, s13
.LBB285_2017:                           ;   in Loop: Header=BB285_1567 Depth=1
	s_delay_alu instid0(SALU_CYCLE_1) | instskip(SKIP_2) | instid1(VALU_DEP_1)
	s_or_b32 exec_lo, exec_lo, s8
	v_lshrrev_b16 v7, 8, v6
	s_mov_b32 s13, exec_lo
	v_cmpx_ne_u16_e32 0, v7
	s_cbranch_execz .LBB285_2025
; %bb.2018:                             ;   in Loop: Header=BB285_1567 Depth=1
	v_dual_mov_b32 v17, s3 :: v_dual_mov_b32 v16, s2
	s_mov_b32 s15, exec_lo
	v_cmpx_ne_u16_e32 0x80, v7
	s_cbranch_execz .LBB285_2024
; %bb.2019:                             ;   in Loop: Header=BB285_1567 Depth=1
	s_mov_b32 s8, s2
	v_and_b32_e32 v7, 0xffff, v7
	v_dual_mov_b32 v17, s9 :: v_dual_mov_b32 v16, s8
	s_mov_b32 s8, exec_lo
	s_delay_alu instid0(VALU_DEP_2) | instskip(NEXT) | instid1(VALU_DEP_1)
	v_and_b32_e32 v18, 0x7f, v7
	v_cmpx_ne_u32_e32 0x7f, v18
	s_cbranch_execz .LBB285_2023
; %bb.2020:                             ;   in Loop: Header=BB285_1567 Depth=1
	v_and_b32_e32 v8, 7, v7
	v_lshrrev_b32_e32 v7, 3, v18
	s_mov_b32 s17, exec_lo
	v_cmpx_gt_u32_e32 8, v18
; %bb.2021:                             ;   in Loop: Header=BB285_1567 Depth=1
	s_delay_alu instid0(VALU_DEP_3) | instskip(NEXT) | instid1(VALU_DEP_1)
	v_clz_i32_u32_e32 v7, v8
	v_min_u32_e32 v7, 32, v7
	s_delay_alu instid0(VALU_DEP_1) | instskip(SKIP_1) | instid1(VALU_DEP_2)
	v_subrev_nc_u32_e32 v16, 28, v7
	v_sub_nc_u32_e32 v7, 29, v7
	v_lshlrev_b64 v[16:17], v16, v[8:9]
	s_delay_alu instid0(VALU_DEP_1)
	v_and_b32_e32 v8, 7, v16
; %bb.2022:                             ;   in Loop: Header=BB285_1567 Depth=1
	s_or_b32 exec_lo, exec_lo, s17
	v_lshlrev_b32_e32 v16, 16, v6
	s_delay_alu instid0(VALU_DEP_2) | instskip(SKIP_1) | instid1(VALU_DEP_3)
	v_lshlrev_b32_e32 v8, 20, v8
	v_lshl_add_u32 v7, v7, 23, 0x3c000000
	v_and_b32_e32 v16, 0x80000000, v16
	s_delay_alu instid0(VALU_DEP_1)
	v_or3_b32 v17, v8, v16, v7
	v_mov_b32_e32 v16, v9
.LBB285_2023:                           ;   in Loop: Header=BB285_1567 Depth=1
	s_or_b32 exec_lo, exec_lo, s8
.LBB285_2024:                           ;   in Loop: Header=BB285_1567 Depth=1
	s_delay_alu instid0(SALU_CYCLE_1)
	s_or_b32 exec_lo, exec_lo, s15
.LBB285_2025:                           ;   in Loop: Header=BB285_1567 Depth=1
	s_delay_alu instid0(SALU_CYCLE_1) | instskip(SKIP_4) | instid1(VALU_DEP_2)
	s_or_b32 exec_lo, exec_lo, s13
	v_mov_b32_e32 v20, 0
	v_lshrrev_b32_e32 v7, 16, v6
	v_mov_b32_e32 v21, 0
	s_mov_b32 s8, exec_lo
	v_and_b32_e32 v8, 0xff, v7
	s_delay_alu instid0(VALU_DEP_2) | instskip(NEXT) | instid1(VALU_DEP_2)
	v_dual_mov_b32 v18, v20 :: v_dual_mov_b32 v19, v21
	v_cmpx_ne_u16_e32 0, v8
	s_cbranch_execz .LBB285_2033
; %bb.2026:                             ;   in Loop: Header=BB285_1567 Depth=1
	v_bfrev_b32_e32 v18, 1
	v_mov_b32_e32 v19, 0
	s_mov_b32 s13, exec_lo
	v_cmpx_ne_u16_e32 0x80, v8
	s_cbranch_execz .LBB285_2032
; %bb.2027:                             ;   in Loop: Header=BB285_1567 Depth=1
	v_mov_b32_e32 v18, 0x7f800001
	v_bfe_u32 v22, v6, 16, 7
	v_mov_b32_e32 v19, 0
	s_mov_b32 s15, exec_lo
	s_delay_alu instid0(VALU_DEP_2)
	v_cmpx_ne_u32_e32 0x7f, v22
	s_cbranch_execz .LBB285_2031
; %bb.2028:                             ;   in Loop: Header=BB285_1567 Depth=1
	v_and_b32_e32 v8, 7, v7
	v_lshrrev_b32_e32 v18, 3, v22
	s_mov_b32 s17, exec_lo
	v_cmpx_gt_u32_e32 8, v22
; %bb.2029:                             ;   in Loop: Header=BB285_1567 Depth=1
	s_delay_alu instid0(VALU_DEP_3) | instskip(NEXT) | instid1(VALU_DEP_1)
	v_clz_i32_u32_e32 v18, v8
	v_min_u32_e32 v18, 32, v18
	s_delay_alu instid0(VALU_DEP_1) | instskip(SKIP_1) | instid1(VALU_DEP_2)
	v_subrev_nc_u32_e32 v19, 28, v18
	v_sub_nc_u32_e32 v18, 29, v18
	v_lshlrev_b64 v[22:23], v19, v[8:9]
	s_delay_alu instid0(VALU_DEP_1)
	v_and_b32_e32 v8, 7, v22
; %bb.2030:                             ;   in Loop: Header=BB285_1567 Depth=1
	s_or_b32 exec_lo, exec_lo, s17
	v_lshlrev_b32_e32 v7, 24, v7
	s_delay_alu instid0(VALU_DEP_2) | instskip(SKIP_1) | instid1(VALU_DEP_3)
	v_lshlrev_b32_e32 v8, 20, v8
	v_lshl_add_u32 v18, v18, 23, 0x3c000000
	v_and_b32_e32 v7, 0x80000000, v7
	s_delay_alu instid0(VALU_DEP_1) | instskip(NEXT) | instid1(VALU_DEP_1)
	v_or3_b32 v8, v8, v7, v18
	v_dual_mov_b32 v19, v9 :: v_dual_mov_b32 v18, v8
.LBB285_2031:                           ;   in Loop: Header=BB285_1567 Depth=1
	s_or_b32 exec_lo, exec_lo, s15
.LBB285_2032:                           ;   in Loop: Header=BB285_1567 Depth=1
	s_delay_alu instid0(SALU_CYCLE_1)
	s_or_b32 exec_lo, exec_lo, s13
.LBB285_2033:                           ;   in Loop: Header=BB285_1567 Depth=1
	s_delay_alu instid0(SALU_CYCLE_1) | instskip(NEXT) | instid1(SALU_CYCLE_1)
	s_or_b32 exec_lo, exec_lo, s8
	s_mov_b32 s13, exec_lo
	v_cmpx_lt_u32_e32 0xffffff, v6
	s_cbranch_execz .LBB285_2041
; %bb.2034:                             ;   in Loop: Header=BB285_1567 Depth=1
	v_lshrrev_b32_e32 v7, 24, v6
	v_dual_mov_b32 v21, s3 :: v_dual_mov_b32 v20, s2
	s_mov_b32 s15, exec_lo
	s_delay_alu instid0(VALU_DEP_2)
	v_cmpx_ne_u32_e32 0x80, v7
	s_cbranch_execz .LBB285_2040
; %bb.2035:                             ;   in Loop: Header=BB285_1567 Depth=1
	s_mov_b32 s8, s2
	v_bfe_u32 v22, v6, 24, 7
	v_dual_mov_b32 v21, s9 :: v_dual_mov_b32 v20, s8
	s_mov_b32 s8, exec_lo
	s_delay_alu instid0(VALU_DEP_2)
	v_cmpx_ne_u32_e32 0x7f, v22
	s_cbranch_execz .LBB285_2039
; %bb.2036:                             ;   in Loop: Header=BB285_1567 Depth=1
	v_and_b32_e32 v8, 7, v7
	v_lshrrev_b32_e32 v6, 3, v22
	s_mov_b32 s17, exec_lo
	v_cmpx_gt_u32_e32 8, v22
; %bb.2037:                             ;   in Loop: Header=BB285_1567 Depth=1
	s_delay_alu instid0(VALU_DEP_3) | instskip(NEXT) | instid1(VALU_DEP_1)
	v_clz_i32_u32_e32 v6, v8
	v_min_u32_e32 v6, 32, v6
	s_delay_alu instid0(VALU_DEP_1) | instskip(SKIP_1) | instid1(VALU_DEP_2)
	v_subrev_nc_u32_e32 v20, 28, v6
	v_sub_nc_u32_e32 v6, 29, v6
	v_lshlrev_b64 v[20:21], v20, v[8:9]
	s_delay_alu instid0(VALU_DEP_1)
	v_and_b32_e32 v8, 7, v20
; %bb.2038:                             ;   in Loop: Header=BB285_1567 Depth=1
	s_or_b32 exec_lo, exec_lo, s17
	v_dual_mov_b32 v20, v9 :: v_dual_lshlrev_b32 v7, 24, v7
	s_delay_alu instid0(VALU_DEP_2) | instskip(SKIP_1) | instid1(VALU_DEP_3)
	v_lshlrev_b32_e32 v8, 20, v8
	v_lshl_add_u32 v6, v6, 23, 0x3c000000
	v_and_b32_e32 v7, 0x80000000, v7
	s_delay_alu instid0(VALU_DEP_1)
	v_or3_b32 v21, v8, v7, v6
.LBB285_2039:                           ;   in Loop: Header=BB285_1567 Depth=1
	s_or_b32 exec_lo, exec_lo, s8
.LBB285_2040:                           ;   in Loop: Header=BB285_1567 Depth=1
	s_delay_alu instid0(SALU_CYCLE_1)
	s_or_b32 exec_lo, exec_lo, s15
.LBB285_2041:                           ;   in Loop: Header=BB285_1567 Depth=1
	s_delay_alu instid0(SALU_CYCLE_1) | instskip(SKIP_4) | instid1(VALU_DEP_4)
	s_or_b32 exec_lo, exec_lo, s13
	v_or_b32_e32 v6, v17, v15
	v_or_b32_e32 v7, v16, v14
	;; [unrolled: 1-line block ×4, first 2 shown]
	v_mul_f32_e32 v6, v161, v6
	scratch_store_b32 off, v6, s32 offset:768 ; 4-byte Folded Spill
	v_mul_f32_e32 v6, v115, v7
	scratch_store_b32 off, v6, s32 offset:760 ; 4-byte Folded Spill
	;; [unrolled: 2-line block ×4, first 2 shown]
	s_and_saveexec_b32 s8, vcc_lo
	s_cbranch_execz .LBB285_2043
; %bb.2042:                             ;   in Loop: Header=BB285_1567 Depth=1
	scratch_load_b32 v6, off, s32 offset:760 ; 4-byte Folded Reload
	v_cmp_lt_i32_e64 s0, v182, v55
	s_waitcnt vmcnt(0)
	s_delay_alu instid0(VALU_DEP_1)
	v_cndmask_b32_e64 v6, 0, v6, s0
	v_cmp_lt_i32_e64 s0, v40, v55
	scratch_store_b32 off, v6, s32 offset:760 ; 4-byte Folded Spill
	scratch_load_b32 v6, off, s32 offset:768 ; 4-byte Folded Reload
	s_waitcnt vmcnt(0)
	v_cndmask_b32_e64 v6, 0, v6, s0
	v_cmp_lt_i32_e64 s0, v183, v55
	scratch_store_b32 off, v6, s32 offset:768 ; 4-byte Folded Spill
	scratch_load_b32 v6, off, s32 offset:752 ; 4-byte Folded Reload
	s_waitcnt vmcnt(0)
	;; [unrolled: 5-line block ×3, first 2 shown]
	v_cndmask_b32_e64 v6, 0, v6, s0
	scratch_store_b32 off, v6, s32 offset:744 ; 4-byte Folded Spill
.LBB285_2043:                           ;   in Loop: Header=BB285_1567 Depth=1
	s_or_b32 exec_lo, exec_lo, s8
	flat_load_b32 v6, v[4:5] offset:1792
	v_mov_b32_e32 v16, 0
	v_mov_b32_e32 v17, 0
	s_delay_alu instid0(VALU_DEP_2) | instskip(SKIP_1) | instid1(VALU_DEP_2)
	v_mov_b32_e32 v14, v16
	s_mov_b32 s8, exec_lo
	v_mov_b32_e32 v15, v17
	s_waitcnt vmcnt(0) lgkmcnt(0)
	v_and_b32_e32 v7, 0xff, v6
	s_delay_alu instid0(VALU_DEP_1)
	v_cmpx_ne_u16_e32 0, v7
	s_cbranch_execz .LBB285_2051
; %bb.2044:                             ;   in Loop: Header=BB285_1567 Depth=1
	v_bfrev_b32_e32 v14, 1
	v_mov_b32_e32 v15, 0
	s_mov_b32 s13, exec_lo
	v_cmpx_ne_u16_e32 0x80, v7
	s_cbranch_execz .LBB285_2050
; %bb.2045:                             ;   in Loop: Header=BB285_1567 Depth=1
	v_mov_b32_e32 v14, 0x7f800001
	v_dual_mov_b32 v15, 0 :: v_dual_and_b32 v18, 0x7f, v6
	s_mov_b32 s15, exec_lo
	s_delay_alu instid0(VALU_DEP_1)
	v_cmpx_ne_u32_e32 0x7f, v18
	s_cbranch_execz .LBB285_2049
; %bb.2046:                             ;   in Loop: Header=BB285_1567 Depth=1
	v_and_b32_e32 v8, 7, v6
	v_lshrrev_b32_e32 v7, 3, v18
	s_mov_b32 s17, exec_lo
	v_cmpx_gt_u32_e32 8, v18
; %bb.2047:                             ;   in Loop: Header=BB285_1567 Depth=1
	s_delay_alu instid0(VALU_DEP_3) | instskip(NEXT) | instid1(VALU_DEP_1)
	v_clz_i32_u32_e32 v7, v8
	v_min_u32_e32 v7, 32, v7
	s_delay_alu instid0(VALU_DEP_1) | instskip(SKIP_1) | instid1(VALU_DEP_2)
	v_subrev_nc_u32_e32 v14, 28, v7
	v_sub_nc_u32_e32 v7, 29, v7
	v_lshlrev_b64 v[14:15], v14, v[8:9]
	s_delay_alu instid0(VALU_DEP_1)
	v_and_b32_e32 v8, 7, v14
; %bb.2048:                             ;   in Loop: Header=BB285_1567 Depth=1
	s_or_b32 exec_lo, exec_lo, s17
	v_lshlrev_b32_e32 v14, 24, v6
	s_delay_alu instid0(VALU_DEP_2) | instskip(SKIP_1) | instid1(VALU_DEP_3)
	v_lshlrev_b32_e32 v8, 20, v8
	v_lshl_add_u32 v7, v7, 23, 0x3c000000
	v_and_b32_e32 v14, 0x80000000, v14
	s_delay_alu instid0(VALU_DEP_1) | instskip(NEXT) | instid1(VALU_DEP_1)
	v_or3_b32 v8, v8, v14, v7
	v_dual_mov_b32 v15, v9 :: v_dual_mov_b32 v14, v8
.LBB285_2049:                           ;   in Loop: Header=BB285_1567 Depth=1
	s_or_b32 exec_lo, exec_lo, s15
.LBB285_2050:                           ;   in Loop: Header=BB285_1567 Depth=1
	s_delay_alu instid0(SALU_CYCLE_1)
	s_or_b32 exec_lo, exec_lo, s13
.LBB285_2051:                           ;   in Loop: Header=BB285_1567 Depth=1
	s_delay_alu instid0(SALU_CYCLE_1) | instskip(SKIP_2) | instid1(VALU_DEP_1)
	s_or_b32 exec_lo, exec_lo, s8
	v_lshrrev_b16 v7, 8, v6
	s_mov_b32 s13, exec_lo
	v_cmpx_ne_u16_e32 0, v7
	s_cbranch_execz .LBB285_2059
; %bb.2052:                             ;   in Loop: Header=BB285_1567 Depth=1
	v_dual_mov_b32 v17, s3 :: v_dual_mov_b32 v16, s2
	s_mov_b32 s15, exec_lo
	v_cmpx_ne_u16_e32 0x80, v7
	s_cbranch_execz .LBB285_2058
; %bb.2053:                             ;   in Loop: Header=BB285_1567 Depth=1
	s_mov_b32 s8, s2
	v_and_b32_e32 v7, 0xffff, v7
	v_dual_mov_b32 v17, s9 :: v_dual_mov_b32 v16, s8
	s_mov_b32 s8, exec_lo
	s_delay_alu instid0(VALU_DEP_2) | instskip(NEXT) | instid1(VALU_DEP_1)
	v_and_b32_e32 v18, 0x7f, v7
	v_cmpx_ne_u32_e32 0x7f, v18
	s_cbranch_execz .LBB285_2057
; %bb.2054:                             ;   in Loop: Header=BB285_1567 Depth=1
	v_and_b32_e32 v8, 7, v7
	v_lshrrev_b32_e32 v7, 3, v18
	s_mov_b32 s17, exec_lo
	v_cmpx_gt_u32_e32 8, v18
; %bb.2055:                             ;   in Loop: Header=BB285_1567 Depth=1
	s_delay_alu instid0(VALU_DEP_3) | instskip(NEXT) | instid1(VALU_DEP_1)
	v_clz_i32_u32_e32 v7, v8
	v_min_u32_e32 v7, 32, v7
	s_delay_alu instid0(VALU_DEP_1) | instskip(SKIP_1) | instid1(VALU_DEP_2)
	v_subrev_nc_u32_e32 v16, 28, v7
	v_sub_nc_u32_e32 v7, 29, v7
	v_lshlrev_b64 v[16:17], v16, v[8:9]
	s_delay_alu instid0(VALU_DEP_1)
	v_and_b32_e32 v8, 7, v16
; %bb.2056:                             ;   in Loop: Header=BB285_1567 Depth=1
	s_or_b32 exec_lo, exec_lo, s17
	v_lshlrev_b32_e32 v16, 16, v6
	s_delay_alu instid0(VALU_DEP_2) | instskip(SKIP_1) | instid1(VALU_DEP_3)
	v_lshlrev_b32_e32 v8, 20, v8
	v_lshl_add_u32 v7, v7, 23, 0x3c000000
	v_and_b32_e32 v16, 0x80000000, v16
	s_delay_alu instid0(VALU_DEP_1)
	v_or3_b32 v17, v8, v16, v7
	v_mov_b32_e32 v16, v9
.LBB285_2057:                           ;   in Loop: Header=BB285_1567 Depth=1
	s_or_b32 exec_lo, exec_lo, s8
.LBB285_2058:                           ;   in Loop: Header=BB285_1567 Depth=1
	s_delay_alu instid0(SALU_CYCLE_1)
	s_or_b32 exec_lo, exec_lo, s15
.LBB285_2059:                           ;   in Loop: Header=BB285_1567 Depth=1
	s_delay_alu instid0(SALU_CYCLE_1) | instskip(SKIP_4) | instid1(VALU_DEP_2)
	s_or_b32 exec_lo, exec_lo, s13
	v_mov_b32_e32 v20, 0
	v_lshrrev_b32_e32 v7, 16, v6
	v_mov_b32_e32 v21, 0
	s_mov_b32 s8, exec_lo
	v_and_b32_e32 v8, 0xff, v7
	s_delay_alu instid0(VALU_DEP_2) | instskip(NEXT) | instid1(VALU_DEP_2)
	v_dual_mov_b32 v18, v20 :: v_dual_mov_b32 v19, v21
	v_cmpx_ne_u16_e32 0, v8
	s_cbranch_execz .LBB285_2067
; %bb.2060:                             ;   in Loop: Header=BB285_1567 Depth=1
	v_bfrev_b32_e32 v18, 1
	v_mov_b32_e32 v19, 0
	s_mov_b32 s13, exec_lo
	v_cmpx_ne_u16_e32 0x80, v8
	s_cbranch_execz .LBB285_2066
; %bb.2061:                             ;   in Loop: Header=BB285_1567 Depth=1
	v_mov_b32_e32 v18, 0x7f800001
	v_bfe_u32 v22, v6, 16, 7
	v_mov_b32_e32 v19, 0
	s_mov_b32 s15, exec_lo
	s_delay_alu instid0(VALU_DEP_2)
	v_cmpx_ne_u32_e32 0x7f, v22
	s_cbranch_execz .LBB285_2065
; %bb.2062:                             ;   in Loop: Header=BB285_1567 Depth=1
	v_and_b32_e32 v8, 7, v7
	v_lshrrev_b32_e32 v18, 3, v22
	s_mov_b32 s17, exec_lo
	v_cmpx_gt_u32_e32 8, v22
; %bb.2063:                             ;   in Loop: Header=BB285_1567 Depth=1
	s_delay_alu instid0(VALU_DEP_3) | instskip(NEXT) | instid1(VALU_DEP_1)
	v_clz_i32_u32_e32 v18, v8
	v_min_u32_e32 v18, 32, v18
	s_delay_alu instid0(VALU_DEP_1) | instskip(SKIP_1) | instid1(VALU_DEP_2)
	v_subrev_nc_u32_e32 v19, 28, v18
	v_sub_nc_u32_e32 v18, 29, v18
	v_lshlrev_b64 v[22:23], v19, v[8:9]
	s_delay_alu instid0(VALU_DEP_1)
	v_and_b32_e32 v8, 7, v22
; %bb.2064:                             ;   in Loop: Header=BB285_1567 Depth=1
	s_or_b32 exec_lo, exec_lo, s17
	v_lshlrev_b32_e32 v7, 24, v7
	s_delay_alu instid0(VALU_DEP_2) | instskip(SKIP_1) | instid1(VALU_DEP_3)
	v_lshlrev_b32_e32 v8, 20, v8
	v_lshl_add_u32 v18, v18, 23, 0x3c000000
	v_and_b32_e32 v7, 0x80000000, v7
	s_delay_alu instid0(VALU_DEP_1) | instskip(NEXT) | instid1(VALU_DEP_1)
	v_or3_b32 v8, v8, v7, v18
	v_dual_mov_b32 v19, v9 :: v_dual_mov_b32 v18, v8
.LBB285_2065:                           ;   in Loop: Header=BB285_1567 Depth=1
	s_or_b32 exec_lo, exec_lo, s15
.LBB285_2066:                           ;   in Loop: Header=BB285_1567 Depth=1
	s_delay_alu instid0(SALU_CYCLE_1)
	s_or_b32 exec_lo, exec_lo, s13
.LBB285_2067:                           ;   in Loop: Header=BB285_1567 Depth=1
	s_delay_alu instid0(SALU_CYCLE_1) | instskip(NEXT) | instid1(SALU_CYCLE_1)
	s_or_b32 exec_lo, exec_lo, s8
	s_mov_b32 s13, exec_lo
	v_cmpx_lt_u32_e32 0xffffff, v6
	s_cbranch_execz .LBB285_2075
; %bb.2068:                             ;   in Loop: Header=BB285_1567 Depth=1
	v_lshrrev_b32_e32 v7, 24, v6
	v_dual_mov_b32 v21, s3 :: v_dual_mov_b32 v20, s2
	s_mov_b32 s15, exec_lo
	s_delay_alu instid0(VALU_DEP_2)
	v_cmpx_ne_u32_e32 0x80, v7
	s_cbranch_execz .LBB285_2074
; %bb.2069:                             ;   in Loop: Header=BB285_1567 Depth=1
	s_mov_b32 s8, s2
	v_bfe_u32 v22, v6, 24, 7
	v_dual_mov_b32 v21, s9 :: v_dual_mov_b32 v20, s8
	s_mov_b32 s8, exec_lo
	s_delay_alu instid0(VALU_DEP_2)
	v_cmpx_ne_u32_e32 0x7f, v22
	s_cbranch_execz .LBB285_2073
; %bb.2070:                             ;   in Loop: Header=BB285_1567 Depth=1
	v_and_b32_e32 v8, 7, v7
	v_lshrrev_b32_e32 v6, 3, v22
	s_mov_b32 s17, exec_lo
	v_cmpx_gt_u32_e32 8, v22
; %bb.2071:                             ;   in Loop: Header=BB285_1567 Depth=1
	s_delay_alu instid0(VALU_DEP_3) | instskip(NEXT) | instid1(VALU_DEP_1)
	v_clz_i32_u32_e32 v6, v8
	v_min_u32_e32 v6, 32, v6
	s_delay_alu instid0(VALU_DEP_1) | instskip(SKIP_1) | instid1(VALU_DEP_2)
	v_subrev_nc_u32_e32 v20, 28, v6
	v_sub_nc_u32_e32 v6, 29, v6
	v_lshlrev_b64 v[20:21], v20, v[8:9]
	s_delay_alu instid0(VALU_DEP_1)
	v_and_b32_e32 v8, 7, v20
; %bb.2072:                             ;   in Loop: Header=BB285_1567 Depth=1
	s_or_b32 exec_lo, exec_lo, s17
	v_dual_mov_b32 v20, v9 :: v_dual_lshlrev_b32 v7, 24, v7
	s_delay_alu instid0(VALU_DEP_2) | instskip(SKIP_1) | instid1(VALU_DEP_3)
	v_lshlrev_b32_e32 v8, 20, v8
	v_lshl_add_u32 v6, v6, 23, 0x3c000000
	v_and_b32_e32 v7, 0x80000000, v7
	s_delay_alu instid0(VALU_DEP_1)
	v_or3_b32 v21, v8, v7, v6
.LBB285_2073:                           ;   in Loop: Header=BB285_1567 Depth=1
	s_or_b32 exec_lo, exec_lo, s8
.LBB285_2074:                           ;   in Loop: Header=BB285_1567 Depth=1
	s_delay_alu instid0(SALU_CYCLE_1)
	s_or_b32 exec_lo, exec_lo, s15
.LBB285_2075:                           ;   in Loop: Header=BB285_1567 Depth=1
	s_delay_alu instid0(SALU_CYCLE_1) | instskip(SKIP_4) | instid1(VALU_DEP_4)
	s_or_b32 exec_lo, exec_lo, s13
	v_or_b32_e32 v6, v17, v15
	v_or_b32_e32 v7, v16, v14
	;; [unrolled: 1-line block ×4, first 2 shown]
	v_mul_f32_e32 v6, v161, v6
	scratch_store_b32 off, v6, s32 offset:800 ; 4-byte Folded Spill
	v_mul_f32_e32 v6, v115, v7
	scratch_store_b32 off, v6, s32 offset:792 ; 4-byte Folded Spill
	;; [unrolled: 2-line block ×4, first 2 shown]
	s_and_saveexec_b32 s8, vcc_lo
	s_cbranch_execz .LBB285_2077
; %bb.2076:                             ;   in Loop: Header=BB285_1567 Depth=1
	scratch_load_b32 v6, off, s32 offset:792 ; 4-byte Folded Reload
	v_cmp_lt_i32_e64 s0, v182, v55
	s_waitcnt vmcnt(0)
	s_delay_alu instid0(VALU_DEP_1)
	v_cndmask_b32_e64 v6, 0, v6, s0
	v_cmp_lt_i32_e64 s0, v40, v55
	scratch_store_b32 off, v6, s32 offset:792 ; 4-byte Folded Spill
	scratch_load_b32 v6, off, s32 offset:800 ; 4-byte Folded Reload
	s_waitcnt vmcnt(0)
	v_cndmask_b32_e64 v6, 0, v6, s0
	v_cmp_lt_i32_e64 s0, v183, v55
	scratch_store_b32 off, v6, s32 offset:800 ; 4-byte Folded Spill
	scratch_load_b32 v6, off, s32 offset:784 ; 4-byte Folded Reload
	s_waitcnt vmcnt(0)
	;; [unrolled: 5-line block ×3, first 2 shown]
	v_cndmask_b32_e64 v6, 0, v6, s0
	scratch_store_b32 off, v6, s32 offset:776 ; 4-byte Folded Spill
.LBB285_2077:                           ;   in Loop: Header=BB285_1567 Depth=1
	s_or_b32 exec_lo, exec_lo, s8
	flat_load_b32 v6, v[4:5] offset:1920
	v_mov_b32_e32 v16, 0
	v_mov_b32_e32 v17, 0
	s_delay_alu instid0(VALU_DEP_2) | instskip(SKIP_1) | instid1(VALU_DEP_2)
	v_mov_b32_e32 v14, v16
	s_mov_b32 s8, exec_lo
	v_mov_b32_e32 v15, v17
	s_waitcnt vmcnt(0) lgkmcnt(0)
	v_and_b32_e32 v7, 0xff, v6
	s_delay_alu instid0(VALU_DEP_1)
	v_cmpx_ne_u16_e32 0, v7
	s_cbranch_execz .LBB285_2085
; %bb.2078:                             ;   in Loop: Header=BB285_1567 Depth=1
	v_bfrev_b32_e32 v14, 1
	v_mov_b32_e32 v15, 0
	s_mov_b32 s13, exec_lo
	v_cmpx_ne_u16_e32 0x80, v7
	s_cbranch_execz .LBB285_2084
; %bb.2079:                             ;   in Loop: Header=BB285_1567 Depth=1
	v_mov_b32_e32 v14, 0x7f800001
	v_dual_mov_b32 v15, 0 :: v_dual_and_b32 v18, 0x7f, v6
	s_mov_b32 s15, exec_lo
	s_delay_alu instid0(VALU_DEP_1)
	v_cmpx_ne_u32_e32 0x7f, v18
	s_cbranch_execz .LBB285_2083
; %bb.2080:                             ;   in Loop: Header=BB285_1567 Depth=1
	v_and_b32_e32 v8, 7, v6
	v_lshrrev_b32_e32 v7, 3, v18
	s_mov_b32 s17, exec_lo
	v_cmpx_gt_u32_e32 8, v18
; %bb.2081:                             ;   in Loop: Header=BB285_1567 Depth=1
	s_delay_alu instid0(VALU_DEP_3) | instskip(NEXT) | instid1(VALU_DEP_1)
	v_clz_i32_u32_e32 v7, v8
	v_min_u32_e32 v7, 32, v7
	s_delay_alu instid0(VALU_DEP_1) | instskip(SKIP_1) | instid1(VALU_DEP_2)
	v_subrev_nc_u32_e32 v14, 28, v7
	v_sub_nc_u32_e32 v7, 29, v7
	v_lshlrev_b64 v[14:15], v14, v[8:9]
	s_delay_alu instid0(VALU_DEP_1)
	v_and_b32_e32 v8, 7, v14
; %bb.2082:                             ;   in Loop: Header=BB285_1567 Depth=1
	s_or_b32 exec_lo, exec_lo, s17
	v_lshlrev_b32_e32 v14, 24, v6
	s_delay_alu instid0(VALU_DEP_2) | instskip(SKIP_1) | instid1(VALU_DEP_3)
	v_lshlrev_b32_e32 v8, 20, v8
	v_lshl_add_u32 v7, v7, 23, 0x3c000000
	v_and_b32_e32 v14, 0x80000000, v14
	s_delay_alu instid0(VALU_DEP_1) | instskip(NEXT) | instid1(VALU_DEP_1)
	v_or3_b32 v8, v8, v14, v7
	v_dual_mov_b32 v15, v9 :: v_dual_mov_b32 v14, v8
.LBB285_2083:                           ;   in Loop: Header=BB285_1567 Depth=1
	s_or_b32 exec_lo, exec_lo, s15
.LBB285_2084:                           ;   in Loop: Header=BB285_1567 Depth=1
	s_delay_alu instid0(SALU_CYCLE_1)
	s_or_b32 exec_lo, exec_lo, s13
.LBB285_2085:                           ;   in Loop: Header=BB285_1567 Depth=1
	s_delay_alu instid0(SALU_CYCLE_1) | instskip(SKIP_2) | instid1(VALU_DEP_1)
	s_or_b32 exec_lo, exec_lo, s8
	v_lshrrev_b16 v7, 8, v6
	s_mov_b32 s13, exec_lo
	v_cmpx_ne_u16_e32 0, v7
	s_cbranch_execz .LBB285_2093
; %bb.2086:                             ;   in Loop: Header=BB285_1567 Depth=1
	v_dual_mov_b32 v17, s3 :: v_dual_mov_b32 v16, s2
	s_mov_b32 s15, exec_lo
	v_cmpx_ne_u16_e32 0x80, v7
	s_cbranch_execz .LBB285_2092
; %bb.2087:                             ;   in Loop: Header=BB285_1567 Depth=1
	s_mov_b32 s8, s2
	v_and_b32_e32 v7, 0xffff, v7
	v_dual_mov_b32 v17, s9 :: v_dual_mov_b32 v16, s8
	s_mov_b32 s8, exec_lo
	s_delay_alu instid0(VALU_DEP_2) | instskip(NEXT) | instid1(VALU_DEP_1)
	v_and_b32_e32 v18, 0x7f, v7
	v_cmpx_ne_u32_e32 0x7f, v18
	s_cbranch_execz .LBB285_2091
; %bb.2088:                             ;   in Loop: Header=BB285_1567 Depth=1
	v_and_b32_e32 v8, 7, v7
	v_lshrrev_b32_e32 v7, 3, v18
	s_mov_b32 s17, exec_lo
	v_cmpx_gt_u32_e32 8, v18
; %bb.2089:                             ;   in Loop: Header=BB285_1567 Depth=1
	s_delay_alu instid0(VALU_DEP_3) | instskip(NEXT) | instid1(VALU_DEP_1)
	v_clz_i32_u32_e32 v7, v8
	v_min_u32_e32 v7, 32, v7
	s_delay_alu instid0(VALU_DEP_1) | instskip(SKIP_1) | instid1(VALU_DEP_2)
	v_subrev_nc_u32_e32 v16, 28, v7
	v_sub_nc_u32_e32 v7, 29, v7
	v_lshlrev_b64 v[16:17], v16, v[8:9]
	s_delay_alu instid0(VALU_DEP_1)
	v_and_b32_e32 v8, 7, v16
; %bb.2090:                             ;   in Loop: Header=BB285_1567 Depth=1
	s_or_b32 exec_lo, exec_lo, s17
	v_lshlrev_b32_e32 v16, 16, v6
	s_delay_alu instid0(VALU_DEP_2) | instskip(SKIP_1) | instid1(VALU_DEP_3)
	v_lshlrev_b32_e32 v8, 20, v8
	v_lshl_add_u32 v7, v7, 23, 0x3c000000
	v_and_b32_e32 v16, 0x80000000, v16
	s_delay_alu instid0(VALU_DEP_1)
	v_or3_b32 v17, v8, v16, v7
	v_mov_b32_e32 v16, v9
.LBB285_2091:                           ;   in Loop: Header=BB285_1567 Depth=1
	s_or_b32 exec_lo, exec_lo, s8
.LBB285_2092:                           ;   in Loop: Header=BB285_1567 Depth=1
	s_delay_alu instid0(SALU_CYCLE_1)
	s_or_b32 exec_lo, exec_lo, s15
.LBB285_2093:                           ;   in Loop: Header=BB285_1567 Depth=1
	s_delay_alu instid0(SALU_CYCLE_1) | instskip(SKIP_4) | instid1(VALU_DEP_2)
	s_or_b32 exec_lo, exec_lo, s13
	v_mov_b32_e32 v20, 0
	v_lshrrev_b32_e32 v7, 16, v6
	v_mov_b32_e32 v21, 0
	s_mov_b32 s8, exec_lo
	v_and_b32_e32 v8, 0xff, v7
	s_delay_alu instid0(VALU_DEP_2) | instskip(NEXT) | instid1(VALU_DEP_2)
	v_dual_mov_b32 v18, v20 :: v_dual_mov_b32 v19, v21
	v_cmpx_ne_u16_e32 0, v8
	s_cbranch_execz .LBB285_2101
; %bb.2094:                             ;   in Loop: Header=BB285_1567 Depth=1
	v_bfrev_b32_e32 v18, 1
	v_mov_b32_e32 v19, 0
	s_mov_b32 s13, exec_lo
	v_cmpx_ne_u16_e32 0x80, v8
	s_cbranch_execz .LBB285_2100
; %bb.2095:                             ;   in Loop: Header=BB285_1567 Depth=1
	v_mov_b32_e32 v18, 0x7f800001
	v_bfe_u32 v22, v6, 16, 7
	v_mov_b32_e32 v19, 0
	s_mov_b32 s15, exec_lo
	s_delay_alu instid0(VALU_DEP_2)
	v_cmpx_ne_u32_e32 0x7f, v22
	s_cbranch_execz .LBB285_2099
; %bb.2096:                             ;   in Loop: Header=BB285_1567 Depth=1
	v_and_b32_e32 v8, 7, v7
	v_lshrrev_b32_e32 v18, 3, v22
	s_mov_b32 s17, exec_lo
	v_cmpx_gt_u32_e32 8, v22
; %bb.2097:                             ;   in Loop: Header=BB285_1567 Depth=1
	s_delay_alu instid0(VALU_DEP_3) | instskip(NEXT) | instid1(VALU_DEP_1)
	v_clz_i32_u32_e32 v18, v8
	v_min_u32_e32 v18, 32, v18
	s_delay_alu instid0(VALU_DEP_1) | instskip(SKIP_1) | instid1(VALU_DEP_2)
	v_subrev_nc_u32_e32 v19, 28, v18
	v_sub_nc_u32_e32 v18, 29, v18
	v_lshlrev_b64 v[22:23], v19, v[8:9]
	s_delay_alu instid0(VALU_DEP_1)
	v_and_b32_e32 v8, 7, v22
; %bb.2098:                             ;   in Loop: Header=BB285_1567 Depth=1
	s_or_b32 exec_lo, exec_lo, s17
	v_lshlrev_b32_e32 v7, 24, v7
	s_delay_alu instid0(VALU_DEP_2) | instskip(SKIP_1) | instid1(VALU_DEP_3)
	v_lshlrev_b32_e32 v8, 20, v8
	v_lshl_add_u32 v18, v18, 23, 0x3c000000
	v_and_b32_e32 v7, 0x80000000, v7
	s_delay_alu instid0(VALU_DEP_1) | instskip(NEXT) | instid1(VALU_DEP_1)
	v_or3_b32 v8, v8, v7, v18
	v_dual_mov_b32 v19, v9 :: v_dual_mov_b32 v18, v8
.LBB285_2099:                           ;   in Loop: Header=BB285_1567 Depth=1
	s_or_b32 exec_lo, exec_lo, s15
.LBB285_2100:                           ;   in Loop: Header=BB285_1567 Depth=1
	s_delay_alu instid0(SALU_CYCLE_1)
	s_or_b32 exec_lo, exec_lo, s13
.LBB285_2101:                           ;   in Loop: Header=BB285_1567 Depth=1
	s_delay_alu instid0(SALU_CYCLE_1) | instskip(NEXT) | instid1(SALU_CYCLE_1)
	s_or_b32 exec_lo, exec_lo, s8
	s_mov_b32 s13, exec_lo
	v_cmpx_lt_u32_e32 0xffffff, v6
	s_cbranch_execz .LBB285_2109
; %bb.2102:                             ;   in Loop: Header=BB285_1567 Depth=1
	v_lshrrev_b32_e32 v7, 24, v6
	v_dual_mov_b32 v21, s3 :: v_dual_mov_b32 v20, s2
	s_mov_b32 s15, exec_lo
	s_delay_alu instid0(VALU_DEP_2)
	v_cmpx_ne_u32_e32 0x80, v7
	s_cbranch_execz .LBB285_2108
; %bb.2103:                             ;   in Loop: Header=BB285_1567 Depth=1
	s_mov_b32 s8, s2
	v_bfe_u32 v22, v6, 24, 7
	v_dual_mov_b32 v21, s9 :: v_dual_mov_b32 v20, s8
	s_mov_b32 s8, exec_lo
	s_delay_alu instid0(VALU_DEP_2)
	v_cmpx_ne_u32_e32 0x7f, v22
	s_cbranch_execz .LBB285_2107
; %bb.2104:                             ;   in Loop: Header=BB285_1567 Depth=1
	v_and_b32_e32 v8, 7, v7
	v_lshrrev_b32_e32 v6, 3, v22
	s_mov_b32 s17, exec_lo
	v_cmpx_gt_u32_e32 8, v22
; %bb.2105:                             ;   in Loop: Header=BB285_1567 Depth=1
	s_delay_alu instid0(VALU_DEP_3) | instskip(NEXT) | instid1(VALU_DEP_1)
	v_clz_i32_u32_e32 v6, v8
	v_min_u32_e32 v6, 32, v6
	s_delay_alu instid0(VALU_DEP_1) | instskip(SKIP_1) | instid1(VALU_DEP_2)
	v_subrev_nc_u32_e32 v20, 28, v6
	v_sub_nc_u32_e32 v6, 29, v6
	v_lshlrev_b64 v[20:21], v20, v[8:9]
	s_delay_alu instid0(VALU_DEP_1)
	v_and_b32_e32 v8, 7, v20
; %bb.2106:                             ;   in Loop: Header=BB285_1567 Depth=1
	s_or_b32 exec_lo, exec_lo, s17
	v_dual_mov_b32 v20, v9 :: v_dual_lshlrev_b32 v7, 24, v7
	s_delay_alu instid0(VALU_DEP_2) | instskip(SKIP_1) | instid1(VALU_DEP_3)
	v_lshlrev_b32_e32 v8, 20, v8
	v_lshl_add_u32 v6, v6, 23, 0x3c000000
	v_and_b32_e32 v7, 0x80000000, v7
	s_delay_alu instid0(VALU_DEP_1)
	v_or3_b32 v21, v8, v7, v6
.LBB285_2107:                           ;   in Loop: Header=BB285_1567 Depth=1
	s_or_b32 exec_lo, exec_lo, s8
.LBB285_2108:                           ;   in Loop: Header=BB285_1567 Depth=1
	s_delay_alu instid0(SALU_CYCLE_1)
	s_or_b32 exec_lo, exec_lo, s15
.LBB285_2109:                           ;   in Loop: Header=BB285_1567 Depth=1
	s_delay_alu instid0(SALU_CYCLE_1) | instskip(SKIP_4) | instid1(VALU_DEP_4)
	s_or_b32 exec_lo, exec_lo, s13
	v_or_b32_e32 v6, v17, v15
	v_or_b32_e32 v7, v16, v14
	;; [unrolled: 1-line block ×4, first 2 shown]
	v_mul_f32_e32 v6, v161, v6
	scratch_store_b32 off, v6, s32 offset:824 ; 4-byte Folded Spill
	v_mul_f32_e32 v6, v115, v7
	scratch_store_b32 off, v6, s32 offset:816 ; 4-byte Folded Spill
	;; [unrolled: 2-line block ×4, first 2 shown]
	s_and_saveexec_b32 s8, vcc_lo
	s_cbranch_execz .LBB285_2111
; %bb.2110:                             ;   in Loop: Header=BB285_1567 Depth=1
	scratch_load_b32 v6, off, s32 offset:816 ; 4-byte Folded Reload
	v_cmp_lt_i32_e64 s0, v182, v55
	s_waitcnt vmcnt(0)
	s_delay_alu instid0(VALU_DEP_1)
	v_cndmask_b32_e64 v6, 0, v6, s0
	v_cmp_lt_i32_e64 s0, v40, v55
	scratch_store_b32 off, v6, s32 offset:816 ; 4-byte Folded Spill
	scratch_load_b32 v6, off, s32 offset:824 ; 4-byte Folded Reload
	s_waitcnt vmcnt(0)
	v_cndmask_b32_e64 v6, 0, v6, s0
	v_cmp_lt_i32_e64 s0, v183, v55
	scratch_store_b32 off, v6, s32 offset:824 ; 4-byte Folded Spill
	scratch_load_b32 v6, off, s32 offset:832 ; 4-byte Folded Reload
	s_waitcnt vmcnt(0)
	;; [unrolled: 5-line block ×3, first 2 shown]
	v_cndmask_b32_e64 v6, 0, v6, s0
	scratch_store_b32 off, v6, s32 offset:808 ; 4-byte Folded Spill
.LBB285_2111:                           ;   in Loop: Header=BB285_1567 Depth=1
	s_or_b32 exec_lo, exec_lo, s8
	flat_load_b32 v6, v[4:5] offset:2048
	v_mov_b32_e32 v16, 0
	v_mov_b32_e32 v17, 0
	s_delay_alu instid0(VALU_DEP_2) | instskip(SKIP_1) | instid1(VALU_DEP_2)
	v_mov_b32_e32 v14, v16
	s_mov_b32 s8, exec_lo
	v_mov_b32_e32 v15, v17
	s_waitcnt vmcnt(0) lgkmcnt(0)
	v_and_b32_e32 v7, 0xff, v6
	s_delay_alu instid0(VALU_DEP_1)
	v_cmpx_ne_u16_e32 0, v7
	s_cbranch_execz .LBB285_2119
; %bb.2112:                             ;   in Loop: Header=BB285_1567 Depth=1
	v_bfrev_b32_e32 v14, 1
	v_mov_b32_e32 v15, 0
	s_mov_b32 s13, exec_lo
	v_cmpx_ne_u16_e32 0x80, v7
	s_cbranch_execz .LBB285_2118
; %bb.2113:                             ;   in Loop: Header=BB285_1567 Depth=1
	v_mov_b32_e32 v14, 0x7f800001
	v_dual_mov_b32 v15, 0 :: v_dual_and_b32 v18, 0x7f, v6
	s_mov_b32 s15, exec_lo
	s_delay_alu instid0(VALU_DEP_1)
	v_cmpx_ne_u32_e32 0x7f, v18
	s_cbranch_execz .LBB285_2117
; %bb.2114:                             ;   in Loop: Header=BB285_1567 Depth=1
	v_and_b32_e32 v8, 7, v6
	v_lshrrev_b32_e32 v7, 3, v18
	s_mov_b32 s17, exec_lo
	v_cmpx_gt_u32_e32 8, v18
; %bb.2115:                             ;   in Loop: Header=BB285_1567 Depth=1
	s_delay_alu instid0(VALU_DEP_3) | instskip(NEXT) | instid1(VALU_DEP_1)
	v_clz_i32_u32_e32 v7, v8
	v_min_u32_e32 v7, 32, v7
	s_delay_alu instid0(VALU_DEP_1) | instskip(SKIP_1) | instid1(VALU_DEP_2)
	v_subrev_nc_u32_e32 v14, 28, v7
	v_sub_nc_u32_e32 v7, 29, v7
	v_lshlrev_b64 v[14:15], v14, v[8:9]
	s_delay_alu instid0(VALU_DEP_1)
	v_and_b32_e32 v8, 7, v14
; %bb.2116:                             ;   in Loop: Header=BB285_1567 Depth=1
	s_or_b32 exec_lo, exec_lo, s17
	v_lshlrev_b32_e32 v14, 24, v6
	s_delay_alu instid0(VALU_DEP_2) | instskip(SKIP_1) | instid1(VALU_DEP_3)
	v_lshlrev_b32_e32 v8, 20, v8
	v_lshl_add_u32 v7, v7, 23, 0x3c000000
	v_and_b32_e32 v14, 0x80000000, v14
	s_delay_alu instid0(VALU_DEP_1) | instskip(NEXT) | instid1(VALU_DEP_1)
	v_or3_b32 v8, v8, v14, v7
	v_dual_mov_b32 v15, v9 :: v_dual_mov_b32 v14, v8
.LBB285_2117:                           ;   in Loop: Header=BB285_1567 Depth=1
	s_or_b32 exec_lo, exec_lo, s15
.LBB285_2118:                           ;   in Loop: Header=BB285_1567 Depth=1
	s_delay_alu instid0(SALU_CYCLE_1)
	s_or_b32 exec_lo, exec_lo, s13
.LBB285_2119:                           ;   in Loop: Header=BB285_1567 Depth=1
	s_delay_alu instid0(SALU_CYCLE_1) | instskip(SKIP_2) | instid1(VALU_DEP_1)
	s_or_b32 exec_lo, exec_lo, s8
	v_lshrrev_b16 v7, 8, v6
	s_mov_b32 s13, exec_lo
	v_cmpx_ne_u16_e32 0, v7
	s_cbranch_execz .LBB285_2127
; %bb.2120:                             ;   in Loop: Header=BB285_1567 Depth=1
	v_dual_mov_b32 v17, s3 :: v_dual_mov_b32 v16, s2
	s_mov_b32 s15, exec_lo
	v_cmpx_ne_u16_e32 0x80, v7
	s_cbranch_execz .LBB285_2126
; %bb.2121:                             ;   in Loop: Header=BB285_1567 Depth=1
	s_mov_b32 s8, s2
	v_and_b32_e32 v7, 0xffff, v7
	v_dual_mov_b32 v17, s9 :: v_dual_mov_b32 v16, s8
	s_mov_b32 s8, exec_lo
	s_delay_alu instid0(VALU_DEP_2) | instskip(NEXT) | instid1(VALU_DEP_1)
	v_and_b32_e32 v18, 0x7f, v7
	v_cmpx_ne_u32_e32 0x7f, v18
	s_cbranch_execz .LBB285_2125
; %bb.2122:                             ;   in Loop: Header=BB285_1567 Depth=1
	v_and_b32_e32 v8, 7, v7
	v_lshrrev_b32_e32 v7, 3, v18
	s_mov_b32 s17, exec_lo
	v_cmpx_gt_u32_e32 8, v18
; %bb.2123:                             ;   in Loop: Header=BB285_1567 Depth=1
	s_delay_alu instid0(VALU_DEP_3) | instskip(NEXT) | instid1(VALU_DEP_1)
	v_clz_i32_u32_e32 v7, v8
	v_min_u32_e32 v7, 32, v7
	s_delay_alu instid0(VALU_DEP_1) | instskip(SKIP_1) | instid1(VALU_DEP_2)
	v_subrev_nc_u32_e32 v16, 28, v7
	v_sub_nc_u32_e32 v7, 29, v7
	v_lshlrev_b64 v[16:17], v16, v[8:9]
	s_delay_alu instid0(VALU_DEP_1)
	v_and_b32_e32 v8, 7, v16
; %bb.2124:                             ;   in Loop: Header=BB285_1567 Depth=1
	s_or_b32 exec_lo, exec_lo, s17
	v_lshlrev_b32_e32 v16, 16, v6
	s_delay_alu instid0(VALU_DEP_2) | instskip(SKIP_1) | instid1(VALU_DEP_3)
	v_lshlrev_b32_e32 v8, 20, v8
	v_lshl_add_u32 v7, v7, 23, 0x3c000000
	v_and_b32_e32 v16, 0x80000000, v16
	s_delay_alu instid0(VALU_DEP_1)
	v_or3_b32 v17, v8, v16, v7
	v_mov_b32_e32 v16, v9
.LBB285_2125:                           ;   in Loop: Header=BB285_1567 Depth=1
	s_or_b32 exec_lo, exec_lo, s8
.LBB285_2126:                           ;   in Loop: Header=BB285_1567 Depth=1
	s_delay_alu instid0(SALU_CYCLE_1)
	s_or_b32 exec_lo, exec_lo, s15
.LBB285_2127:                           ;   in Loop: Header=BB285_1567 Depth=1
	s_delay_alu instid0(SALU_CYCLE_1) | instskip(SKIP_4) | instid1(VALU_DEP_2)
	s_or_b32 exec_lo, exec_lo, s13
	v_mov_b32_e32 v20, 0
	v_lshrrev_b32_e32 v7, 16, v6
	v_mov_b32_e32 v21, 0
	s_mov_b32 s8, exec_lo
	v_and_b32_e32 v8, 0xff, v7
	s_delay_alu instid0(VALU_DEP_2) | instskip(NEXT) | instid1(VALU_DEP_2)
	v_dual_mov_b32 v18, v20 :: v_dual_mov_b32 v19, v21
	v_cmpx_ne_u16_e32 0, v8
	s_cbranch_execz .LBB285_2135
; %bb.2128:                             ;   in Loop: Header=BB285_1567 Depth=1
	v_bfrev_b32_e32 v18, 1
	v_mov_b32_e32 v19, 0
	s_mov_b32 s13, exec_lo
	v_cmpx_ne_u16_e32 0x80, v8
	s_cbranch_execz .LBB285_2134
; %bb.2129:                             ;   in Loop: Header=BB285_1567 Depth=1
	v_mov_b32_e32 v18, 0x7f800001
	v_bfe_u32 v22, v6, 16, 7
	v_mov_b32_e32 v19, 0
	s_mov_b32 s15, exec_lo
	s_delay_alu instid0(VALU_DEP_2)
	v_cmpx_ne_u32_e32 0x7f, v22
	s_cbranch_execz .LBB285_2133
; %bb.2130:                             ;   in Loop: Header=BB285_1567 Depth=1
	v_and_b32_e32 v8, 7, v7
	v_lshrrev_b32_e32 v18, 3, v22
	s_mov_b32 s17, exec_lo
	v_cmpx_gt_u32_e32 8, v22
; %bb.2131:                             ;   in Loop: Header=BB285_1567 Depth=1
	s_delay_alu instid0(VALU_DEP_3) | instskip(NEXT) | instid1(VALU_DEP_1)
	v_clz_i32_u32_e32 v18, v8
	v_min_u32_e32 v18, 32, v18
	s_delay_alu instid0(VALU_DEP_1) | instskip(SKIP_1) | instid1(VALU_DEP_2)
	v_subrev_nc_u32_e32 v19, 28, v18
	v_sub_nc_u32_e32 v18, 29, v18
	v_lshlrev_b64 v[22:23], v19, v[8:9]
	s_delay_alu instid0(VALU_DEP_1)
	v_and_b32_e32 v8, 7, v22
; %bb.2132:                             ;   in Loop: Header=BB285_1567 Depth=1
	s_or_b32 exec_lo, exec_lo, s17
	v_lshlrev_b32_e32 v7, 24, v7
	s_delay_alu instid0(VALU_DEP_2) | instskip(SKIP_1) | instid1(VALU_DEP_3)
	v_lshlrev_b32_e32 v8, 20, v8
	v_lshl_add_u32 v18, v18, 23, 0x3c000000
	v_and_b32_e32 v7, 0x80000000, v7
	s_delay_alu instid0(VALU_DEP_1) | instskip(NEXT) | instid1(VALU_DEP_1)
	v_or3_b32 v8, v8, v7, v18
	v_dual_mov_b32 v19, v9 :: v_dual_mov_b32 v18, v8
.LBB285_2133:                           ;   in Loop: Header=BB285_1567 Depth=1
	s_or_b32 exec_lo, exec_lo, s15
.LBB285_2134:                           ;   in Loop: Header=BB285_1567 Depth=1
	s_delay_alu instid0(SALU_CYCLE_1)
	s_or_b32 exec_lo, exec_lo, s13
.LBB285_2135:                           ;   in Loop: Header=BB285_1567 Depth=1
	s_delay_alu instid0(SALU_CYCLE_1) | instskip(NEXT) | instid1(SALU_CYCLE_1)
	s_or_b32 exec_lo, exec_lo, s8
	s_mov_b32 s13, exec_lo
	v_cmpx_lt_u32_e32 0xffffff, v6
	s_cbranch_execz .LBB285_2143
; %bb.2136:                             ;   in Loop: Header=BB285_1567 Depth=1
	v_lshrrev_b32_e32 v7, 24, v6
	v_dual_mov_b32 v21, s3 :: v_dual_mov_b32 v20, s2
	s_mov_b32 s15, exec_lo
	s_delay_alu instid0(VALU_DEP_2)
	v_cmpx_ne_u32_e32 0x80, v7
	s_cbranch_execz .LBB285_2142
; %bb.2137:                             ;   in Loop: Header=BB285_1567 Depth=1
	s_mov_b32 s8, s2
	v_bfe_u32 v22, v6, 24, 7
	v_dual_mov_b32 v21, s9 :: v_dual_mov_b32 v20, s8
	s_mov_b32 s8, exec_lo
	s_delay_alu instid0(VALU_DEP_2)
	v_cmpx_ne_u32_e32 0x7f, v22
	s_cbranch_execz .LBB285_2141
; %bb.2138:                             ;   in Loop: Header=BB285_1567 Depth=1
	v_and_b32_e32 v8, 7, v7
	v_lshrrev_b32_e32 v6, 3, v22
	s_mov_b32 s17, exec_lo
	v_cmpx_gt_u32_e32 8, v22
; %bb.2139:                             ;   in Loop: Header=BB285_1567 Depth=1
	s_delay_alu instid0(VALU_DEP_3) | instskip(NEXT) | instid1(VALU_DEP_1)
	v_clz_i32_u32_e32 v6, v8
	v_min_u32_e32 v6, 32, v6
	s_delay_alu instid0(VALU_DEP_1) | instskip(SKIP_1) | instid1(VALU_DEP_2)
	v_subrev_nc_u32_e32 v20, 28, v6
	v_sub_nc_u32_e32 v6, 29, v6
	v_lshlrev_b64 v[20:21], v20, v[8:9]
	s_delay_alu instid0(VALU_DEP_1)
	v_and_b32_e32 v8, 7, v20
; %bb.2140:                             ;   in Loop: Header=BB285_1567 Depth=1
	s_or_b32 exec_lo, exec_lo, s17
	v_dual_mov_b32 v20, v9 :: v_dual_lshlrev_b32 v7, 24, v7
	s_delay_alu instid0(VALU_DEP_2) | instskip(SKIP_1) | instid1(VALU_DEP_3)
	v_lshlrev_b32_e32 v8, 20, v8
	v_lshl_add_u32 v6, v6, 23, 0x3c000000
	v_and_b32_e32 v7, 0x80000000, v7
	s_delay_alu instid0(VALU_DEP_1)
	v_or3_b32 v21, v8, v7, v6
.LBB285_2141:                           ;   in Loop: Header=BB285_1567 Depth=1
	s_or_b32 exec_lo, exec_lo, s8
.LBB285_2142:                           ;   in Loop: Header=BB285_1567 Depth=1
	s_delay_alu instid0(SALU_CYCLE_1)
	s_or_b32 exec_lo, exec_lo, s15
.LBB285_2143:                           ;   in Loop: Header=BB285_1567 Depth=1
	s_delay_alu instid0(SALU_CYCLE_1) | instskip(SKIP_4) | instid1(VALU_DEP_4)
	s_or_b32 exec_lo, exec_lo, s13
	v_or_b32_e32 v6, v17, v15
	v_or_b32_e32 v7, v16, v14
	;; [unrolled: 1-line block ×4, first 2 shown]
	v_mul_f32_e32 v6, v161, v6
	scratch_store_b32 off, v6, s32 offset:856 ; 4-byte Folded Spill
	v_mul_f32_e32 v6, v115, v7
	scratch_store_b32 off, v6, s32 offset:848 ; 4-byte Folded Spill
	;; [unrolled: 2-line block ×4, first 2 shown]
	s_and_saveexec_b32 s8, vcc_lo
	s_cbranch_execz .LBB285_2145
; %bb.2144:                             ;   in Loop: Header=BB285_1567 Depth=1
	scratch_load_b32 v6, off, s32 offset:848 ; 4-byte Folded Reload
	v_cmp_lt_i32_e64 s0, v182, v55
	s_waitcnt vmcnt(0)
	s_delay_alu instid0(VALU_DEP_1)
	v_cndmask_b32_e64 v6, 0, v6, s0
	v_cmp_lt_i32_e64 s0, v40, v55
	scratch_store_b32 off, v6, s32 offset:848 ; 4-byte Folded Spill
	scratch_load_b32 v6, off, s32 offset:856 ; 4-byte Folded Reload
	s_waitcnt vmcnt(0)
	v_cndmask_b32_e64 v6, 0, v6, s0
	v_cmp_lt_i32_e64 s0, v183, v55
	scratch_store_b32 off, v6, s32 offset:856 ; 4-byte Folded Spill
	scratch_load_b32 v6, off, s32 offset:864 ; 4-byte Folded Reload
	s_waitcnt vmcnt(0)
	;; [unrolled: 5-line block ×3, first 2 shown]
	v_cndmask_b32_e64 v6, 0, v6, s0
	scratch_store_b32 off, v6, s32 offset:840 ; 4-byte Folded Spill
.LBB285_2145:                           ;   in Loop: Header=BB285_1567 Depth=1
	s_or_b32 exec_lo, exec_lo, s8
	flat_load_b32 v6, v[4:5] offset:2176
	v_mov_b32_e32 v16, 0
	v_mov_b32_e32 v17, 0
	s_delay_alu instid0(VALU_DEP_2) | instskip(SKIP_1) | instid1(VALU_DEP_2)
	v_mov_b32_e32 v14, v16
	s_mov_b32 s8, exec_lo
	v_mov_b32_e32 v15, v17
	s_waitcnt vmcnt(0) lgkmcnt(0)
	v_and_b32_e32 v7, 0xff, v6
	s_delay_alu instid0(VALU_DEP_1)
	v_cmpx_ne_u16_e32 0, v7
	s_cbranch_execz .LBB285_2153
; %bb.2146:                             ;   in Loop: Header=BB285_1567 Depth=1
	v_bfrev_b32_e32 v14, 1
	v_mov_b32_e32 v15, 0
	s_mov_b32 s13, exec_lo
	v_cmpx_ne_u16_e32 0x80, v7
	s_cbranch_execz .LBB285_2152
; %bb.2147:                             ;   in Loop: Header=BB285_1567 Depth=1
	v_mov_b32_e32 v14, 0x7f800001
	v_dual_mov_b32 v15, 0 :: v_dual_and_b32 v18, 0x7f, v6
	s_mov_b32 s15, exec_lo
	s_delay_alu instid0(VALU_DEP_1)
	v_cmpx_ne_u32_e32 0x7f, v18
	s_cbranch_execz .LBB285_2151
; %bb.2148:                             ;   in Loop: Header=BB285_1567 Depth=1
	v_and_b32_e32 v8, 7, v6
	v_lshrrev_b32_e32 v7, 3, v18
	s_mov_b32 s17, exec_lo
	v_cmpx_gt_u32_e32 8, v18
; %bb.2149:                             ;   in Loop: Header=BB285_1567 Depth=1
	s_delay_alu instid0(VALU_DEP_3) | instskip(NEXT) | instid1(VALU_DEP_1)
	v_clz_i32_u32_e32 v7, v8
	v_min_u32_e32 v7, 32, v7
	s_delay_alu instid0(VALU_DEP_1) | instskip(SKIP_1) | instid1(VALU_DEP_2)
	v_subrev_nc_u32_e32 v14, 28, v7
	v_sub_nc_u32_e32 v7, 29, v7
	v_lshlrev_b64 v[14:15], v14, v[8:9]
	s_delay_alu instid0(VALU_DEP_1)
	v_and_b32_e32 v8, 7, v14
; %bb.2150:                             ;   in Loop: Header=BB285_1567 Depth=1
	s_or_b32 exec_lo, exec_lo, s17
	v_lshlrev_b32_e32 v14, 24, v6
	s_delay_alu instid0(VALU_DEP_2) | instskip(SKIP_1) | instid1(VALU_DEP_3)
	v_lshlrev_b32_e32 v8, 20, v8
	v_lshl_add_u32 v7, v7, 23, 0x3c000000
	v_and_b32_e32 v14, 0x80000000, v14
	s_delay_alu instid0(VALU_DEP_1) | instskip(NEXT) | instid1(VALU_DEP_1)
	v_or3_b32 v8, v8, v14, v7
	v_dual_mov_b32 v15, v9 :: v_dual_mov_b32 v14, v8
.LBB285_2151:                           ;   in Loop: Header=BB285_1567 Depth=1
	s_or_b32 exec_lo, exec_lo, s15
.LBB285_2152:                           ;   in Loop: Header=BB285_1567 Depth=1
	s_delay_alu instid0(SALU_CYCLE_1)
	s_or_b32 exec_lo, exec_lo, s13
.LBB285_2153:                           ;   in Loop: Header=BB285_1567 Depth=1
	s_delay_alu instid0(SALU_CYCLE_1) | instskip(SKIP_2) | instid1(VALU_DEP_1)
	s_or_b32 exec_lo, exec_lo, s8
	v_lshrrev_b16 v7, 8, v6
	s_mov_b32 s13, exec_lo
	v_cmpx_ne_u16_e32 0, v7
	s_cbranch_execz .LBB285_2161
; %bb.2154:                             ;   in Loop: Header=BB285_1567 Depth=1
	v_dual_mov_b32 v17, s3 :: v_dual_mov_b32 v16, s2
	s_mov_b32 s15, exec_lo
	v_cmpx_ne_u16_e32 0x80, v7
	s_cbranch_execz .LBB285_2160
; %bb.2155:                             ;   in Loop: Header=BB285_1567 Depth=1
	s_mov_b32 s8, s2
	v_and_b32_e32 v7, 0xffff, v7
	v_dual_mov_b32 v17, s9 :: v_dual_mov_b32 v16, s8
	s_mov_b32 s8, exec_lo
	s_delay_alu instid0(VALU_DEP_2) | instskip(NEXT) | instid1(VALU_DEP_1)
	v_and_b32_e32 v18, 0x7f, v7
	v_cmpx_ne_u32_e32 0x7f, v18
	s_cbranch_execz .LBB285_2159
; %bb.2156:                             ;   in Loop: Header=BB285_1567 Depth=1
	v_and_b32_e32 v8, 7, v7
	v_lshrrev_b32_e32 v7, 3, v18
	s_mov_b32 s17, exec_lo
	v_cmpx_gt_u32_e32 8, v18
; %bb.2157:                             ;   in Loop: Header=BB285_1567 Depth=1
	s_delay_alu instid0(VALU_DEP_3) | instskip(NEXT) | instid1(VALU_DEP_1)
	v_clz_i32_u32_e32 v7, v8
	v_min_u32_e32 v7, 32, v7
	s_delay_alu instid0(VALU_DEP_1) | instskip(SKIP_1) | instid1(VALU_DEP_2)
	v_subrev_nc_u32_e32 v16, 28, v7
	v_sub_nc_u32_e32 v7, 29, v7
	v_lshlrev_b64 v[16:17], v16, v[8:9]
	s_delay_alu instid0(VALU_DEP_1)
	v_and_b32_e32 v8, 7, v16
; %bb.2158:                             ;   in Loop: Header=BB285_1567 Depth=1
	s_or_b32 exec_lo, exec_lo, s17
	v_lshlrev_b32_e32 v16, 16, v6
	s_delay_alu instid0(VALU_DEP_2) | instskip(SKIP_1) | instid1(VALU_DEP_3)
	v_lshlrev_b32_e32 v8, 20, v8
	v_lshl_add_u32 v7, v7, 23, 0x3c000000
	v_and_b32_e32 v16, 0x80000000, v16
	s_delay_alu instid0(VALU_DEP_1)
	v_or3_b32 v17, v8, v16, v7
	v_mov_b32_e32 v16, v9
.LBB285_2159:                           ;   in Loop: Header=BB285_1567 Depth=1
	s_or_b32 exec_lo, exec_lo, s8
.LBB285_2160:                           ;   in Loop: Header=BB285_1567 Depth=1
	s_delay_alu instid0(SALU_CYCLE_1)
	s_or_b32 exec_lo, exec_lo, s15
.LBB285_2161:                           ;   in Loop: Header=BB285_1567 Depth=1
	s_delay_alu instid0(SALU_CYCLE_1) | instskip(SKIP_4) | instid1(VALU_DEP_2)
	s_or_b32 exec_lo, exec_lo, s13
	v_mov_b32_e32 v20, 0
	v_lshrrev_b32_e32 v7, 16, v6
	v_mov_b32_e32 v21, 0
	s_mov_b32 s8, exec_lo
	v_and_b32_e32 v8, 0xff, v7
	s_delay_alu instid0(VALU_DEP_2) | instskip(NEXT) | instid1(VALU_DEP_2)
	v_dual_mov_b32 v18, v20 :: v_dual_mov_b32 v19, v21
	v_cmpx_ne_u16_e32 0, v8
	s_cbranch_execz .LBB285_2169
; %bb.2162:                             ;   in Loop: Header=BB285_1567 Depth=1
	v_bfrev_b32_e32 v18, 1
	v_mov_b32_e32 v19, 0
	s_mov_b32 s13, exec_lo
	v_cmpx_ne_u16_e32 0x80, v8
	s_cbranch_execz .LBB285_2168
; %bb.2163:                             ;   in Loop: Header=BB285_1567 Depth=1
	v_mov_b32_e32 v18, 0x7f800001
	v_bfe_u32 v22, v6, 16, 7
	v_mov_b32_e32 v19, 0
	s_mov_b32 s15, exec_lo
	s_delay_alu instid0(VALU_DEP_2)
	v_cmpx_ne_u32_e32 0x7f, v22
	s_cbranch_execz .LBB285_2167
; %bb.2164:                             ;   in Loop: Header=BB285_1567 Depth=1
	v_and_b32_e32 v8, 7, v7
	v_lshrrev_b32_e32 v18, 3, v22
	s_mov_b32 s17, exec_lo
	v_cmpx_gt_u32_e32 8, v22
; %bb.2165:                             ;   in Loop: Header=BB285_1567 Depth=1
	s_delay_alu instid0(VALU_DEP_3) | instskip(NEXT) | instid1(VALU_DEP_1)
	v_clz_i32_u32_e32 v18, v8
	v_min_u32_e32 v18, 32, v18
	s_delay_alu instid0(VALU_DEP_1) | instskip(SKIP_1) | instid1(VALU_DEP_2)
	v_subrev_nc_u32_e32 v19, 28, v18
	v_sub_nc_u32_e32 v18, 29, v18
	v_lshlrev_b64 v[22:23], v19, v[8:9]
	s_delay_alu instid0(VALU_DEP_1)
	v_and_b32_e32 v8, 7, v22
; %bb.2166:                             ;   in Loop: Header=BB285_1567 Depth=1
	s_or_b32 exec_lo, exec_lo, s17
	v_lshlrev_b32_e32 v7, 24, v7
	s_delay_alu instid0(VALU_DEP_2) | instskip(SKIP_1) | instid1(VALU_DEP_3)
	v_lshlrev_b32_e32 v8, 20, v8
	v_lshl_add_u32 v18, v18, 23, 0x3c000000
	v_and_b32_e32 v7, 0x80000000, v7
	s_delay_alu instid0(VALU_DEP_1) | instskip(NEXT) | instid1(VALU_DEP_1)
	v_or3_b32 v8, v8, v7, v18
	v_dual_mov_b32 v19, v9 :: v_dual_mov_b32 v18, v8
.LBB285_2167:                           ;   in Loop: Header=BB285_1567 Depth=1
	s_or_b32 exec_lo, exec_lo, s15
.LBB285_2168:                           ;   in Loop: Header=BB285_1567 Depth=1
	s_delay_alu instid0(SALU_CYCLE_1)
	s_or_b32 exec_lo, exec_lo, s13
.LBB285_2169:                           ;   in Loop: Header=BB285_1567 Depth=1
	s_delay_alu instid0(SALU_CYCLE_1) | instskip(NEXT) | instid1(SALU_CYCLE_1)
	s_or_b32 exec_lo, exec_lo, s8
	s_mov_b32 s13, exec_lo
	v_cmpx_lt_u32_e32 0xffffff, v6
	s_cbranch_execz .LBB285_2177
; %bb.2170:                             ;   in Loop: Header=BB285_1567 Depth=1
	v_lshrrev_b32_e32 v7, 24, v6
	v_dual_mov_b32 v21, s3 :: v_dual_mov_b32 v20, s2
	s_mov_b32 s15, exec_lo
	s_delay_alu instid0(VALU_DEP_2)
	v_cmpx_ne_u32_e32 0x80, v7
	s_cbranch_execz .LBB285_2176
; %bb.2171:                             ;   in Loop: Header=BB285_1567 Depth=1
	s_mov_b32 s8, s2
	v_bfe_u32 v22, v6, 24, 7
	v_dual_mov_b32 v21, s9 :: v_dual_mov_b32 v20, s8
	s_mov_b32 s8, exec_lo
	s_delay_alu instid0(VALU_DEP_2)
	v_cmpx_ne_u32_e32 0x7f, v22
	s_cbranch_execz .LBB285_2175
; %bb.2172:                             ;   in Loop: Header=BB285_1567 Depth=1
	v_and_b32_e32 v8, 7, v7
	v_lshrrev_b32_e32 v6, 3, v22
	s_mov_b32 s17, exec_lo
	v_cmpx_gt_u32_e32 8, v22
; %bb.2173:                             ;   in Loop: Header=BB285_1567 Depth=1
	s_delay_alu instid0(VALU_DEP_3) | instskip(NEXT) | instid1(VALU_DEP_1)
	v_clz_i32_u32_e32 v6, v8
	v_min_u32_e32 v6, 32, v6
	s_delay_alu instid0(VALU_DEP_1) | instskip(SKIP_1) | instid1(VALU_DEP_2)
	v_subrev_nc_u32_e32 v20, 28, v6
	v_sub_nc_u32_e32 v6, 29, v6
	v_lshlrev_b64 v[20:21], v20, v[8:9]
	s_delay_alu instid0(VALU_DEP_1)
	v_and_b32_e32 v8, 7, v20
; %bb.2174:                             ;   in Loop: Header=BB285_1567 Depth=1
	s_or_b32 exec_lo, exec_lo, s17
	v_dual_mov_b32 v20, v9 :: v_dual_lshlrev_b32 v7, 24, v7
	s_delay_alu instid0(VALU_DEP_2) | instskip(SKIP_1) | instid1(VALU_DEP_3)
	v_lshlrev_b32_e32 v8, 20, v8
	v_lshl_add_u32 v6, v6, 23, 0x3c000000
	v_and_b32_e32 v7, 0x80000000, v7
	s_delay_alu instid0(VALU_DEP_1)
	v_or3_b32 v21, v8, v7, v6
.LBB285_2175:                           ;   in Loop: Header=BB285_1567 Depth=1
	s_or_b32 exec_lo, exec_lo, s8
.LBB285_2176:                           ;   in Loop: Header=BB285_1567 Depth=1
	s_delay_alu instid0(SALU_CYCLE_1)
	s_or_b32 exec_lo, exec_lo, s15
.LBB285_2177:                           ;   in Loop: Header=BB285_1567 Depth=1
	s_delay_alu instid0(SALU_CYCLE_1) | instskip(SKIP_4) | instid1(VALU_DEP_4)
	s_or_b32 exec_lo, exec_lo, s13
	v_or_b32_e32 v6, v17, v15
	v_or_b32_e32 v7, v16, v14
	;; [unrolled: 1-line block ×4, first 2 shown]
	v_mul_f32_e32 v6, v161, v6
	scratch_store_b32 off, v6, s32 offset:888 ; 4-byte Folded Spill
	v_mul_f32_e32 v6, v115, v7
	scratch_store_b32 off, v6, s32 offset:880 ; 4-byte Folded Spill
	;; [unrolled: 2-line block ×4, first 2 shown]
	s_and_saveexec_b32 s8, vcc_lo
	s_cbranch_execz .LBB285_2179
; %bb.2178:                             ;   in Loop: Header=BB285_1567 Depth=1
	scratch_load_b32 v6, off, s32 offset:880 ; 4-byte Folded Reload
	v_cmp_lt_i32_e64 s0, v182, v55
	s_waitcnt vmcnt(0)
	s_delay_alu instid0(VALU_DEP_1)
	v_cndmask_b32_e64 v6, 0, v6, s0
	v_cmp_lt_i32_e64 s0, v40, v55
	scratch_store_b32 off, v6, s32 offset:880 ; 4-byte Folded Spill
	scratch_load_b32 v6, off, s32 offset:888 ; 4-byte Folded Reload
	s_waitcnt vmcnt(0)
	v_cndmask_b32_e64 v6, 0, v6, s0
	v_cmp_lt_i32_e64 s0, v183, v55
	scratch_store_b32 off, v6, s32 offset:888 ; 4-byte Folded Spill
	scratch_load_b32 v6, off, s32 offset:896 ; 4-byte Folded Reload
	s_waitcnt vmcnt(0)
	;; [unrolled: 5-line block ×3, first 2 shown]
	v_cndmask_b32_e64 v6, 0, v6, s0
	scratch_store_b32 off, v6, s32 offset:872 ; 4-byte Folded Spill
.LBB285_2179:                           ;   in Loop: Header=BB285_1567 Depth=1
	s_or_b32 exec_lo, exec_lo, s8
	flat_load_b32 v6, v[4:5] offset:2304
	v_mov_b32_e32 v16, 0
	v_mov_b32_e32 v17, 0
	s_delay_alu instid0(VALU_DEP_2) | instskip(SKIP_1) | instid1(VALU_DEP_2)
	v_mov_b32_e32 v14, v16
	s_mov_b32 s8, exec_lo
	v_mov_b32_e32 v15, v17
	s_waitcnt vmcnt(0) lgkmcnt(0)
	v_and_b32_e32 v7, 0xff, v6
	s_delay_alu instid0(VALU_DEP_1)
	v_cmpx_ne_u16_e32 0, v7
	s_cbranch_execz .LBB285_2187
; %bb.2180:                             ;   in Loop: Header=BB285_1567 Depth=1
	v_bfrev_b32_e32 v14, 1
	v_mov_b32_e32 v15, 0
	s_mov_b32 s13, exec_lo
	v_cmpx_ne_u16_e32 0x80, v7
	s_cbranch_execz .LBB285_2186
; %bb.2181:                             ;   in Loop: Header=BB285_1567 Depth=1
	v_mov_b32_e32 v14, 0x7f800001
	v_dual_mov_b32 v15, 0 :: v_dual_and_b32 v18, 0x7f, v6
	s_mov_b32 s15, exec_lo
	s_delay_alu instid0(VALU_DEP_1)
	v_cmpx_ne_u32_e32 0x7f, v18
	s_cbranch_execz .LBB285_2185
; %bb.2182:                             ;   in Loop: Header=BB285_1567 Depth=1
	v_and_b32_e32 v8, 7, v6
	v_lshrrev_b32_e32 v7, 3, v18
	s_mov_b32 s17, exec_lo
	v_cmpx_gt_u32_e32 8, v18
; %bb.2183:                             ;   in Loop: Header=BB285_1567 Depth=1
	s_delay_alu instid0(VALU_DEP_3) | instskip(NEXT) | instid1(VALU_DEP_1)
	v_clz_i32_u32_e32 v7, v8
	v_min_u32_e32 v7, 32, v7
	s_delay_alu instid0(VALU_DEP_1) | instskip(SKIP_1) | instid1(VALU_DEP_2)
	v_subrev_nc_u32_e32 v14, 28, v7
	v_sub_nc_u32_e32 v7, 29, v7
	v_lshlrev_b64 v[14:15], v14, v[8:9]
	s_delay_alu instid0(VALU_DEP_1)
	v_and_b32_e32 v8, 7, v14
; %bb.2184:                             ;   in Loop: Header=BB285_1567 Depth=1
	s_or_b32 exec_lo, exec_lo, s17
	v_lshlrev_b32_e32 v14, 24, v6
	s_delay_alu instid0(VALU_DEP_2) | instskip(SKIP_1) | instid1(VALU_DEP_3)
	v_lshlrev_b32_e32 v8, 20, v8
	v_lshl_add_u32 v7, v7, 23, 0x3c000000
	v_and_b32_e32 v14, 0x80000000, v14
	s_delay_alu instid0(VALU_DEP_1) | instskip(NEXT) | instid1(VALU_DEP_1)
	v_or3_b32 v8, v8, v14, v7
	v_dual_mov_b32 v15, v9 :: v_dual_mov_b32 v14, v8
.LBB285_2185:                           ;   in Loop: Header=BB285_1567 Depth=1
	s_or_b32 exec_lo, exec_lo, s15
.LBB285_2186:                           ;   in Loop: Header=BB285_1567 Depth=1
	s_delay_alu instid0(SALU_CYCLE_1)
	s_or_b32 exec_lo, exec_lo, s13
.LBB285_2187:                           ;   in Loop: Header=BB285_1567 Depth=1
	s_delay_alu instid0(SALU_CYCLE_1) | instskip(SKIP_2) | instid1(VALU_DEP_1)
	s_or_b32 exec_lo, exec_lo, s8
	v_lshrrev_b16 v7, 8, v6
	s_mov_b32 s13, exec_lo
	v_cmpx_ne_u16_e32 0, v7
	s_cbranch_execz .LBB285_2195
; %bb.2188:                             ;   in Loop: Header=BB285_1567 Depth=1
	v_dual_mov_b32 v17, s3 :: v_dual_mov_b32 v16, s2
	s_mov_b32 s15, exec_lo
	v_cmpx_ne_u16_e32 0x80, v7
	s_cbranch_execz .LBB285_2194
; %bb.2189:                             ;   in Loop: Header=BB285_1567 Depth=1
	s_mov_b32 s8, s2
	v_and_b32_e32 v7, 0xffff, v7
	v_dual_mov_b32 v17, s9 :: v_dual_mov_b32 v16, s8
	s_mov_b32 s8, exec_lo
	s_delay_alu instid0(VALU_DEP_2) | instskip(NEXT) | instid1(VALU_DEP_1)
	v_and_b32_e32 v18, 0x7f, v7
	v_cmpx_ne_u32_e32 0x7f, v18
	s_cbranch_execz .LBB285_2193
; %bb.2190:                             ;   in Loop: Header=BB285_1567 Depth=1
	v_and_b32_e32 v8, 7, v7
	v_lshrrev_b32_e32 v7, 3, v18
	s_mov_b32 s17, exec_lo
	v_cmpx_gt_u32_e32 8, v18
; %bb.2191:                             ;   in Loop: Header=BB285_1567 Depth=1
	s_delay_alu instid0(VALU_DEP_3) | instskip(NEXT) | instid1(VALU_DEP_1)
	v_clz_i32_u32_e32 v7, v8
	v_min_u32_e32 v7, 32, v7
	s_delay_alu instid0(VALU_DEP_1) | instskip(SKIP_1) | instid1(VALU_DEP_2)
	v_subrev_nc_u32_e32 v16, 28, v7
	v_sub_nc_u32_e32 v7, 29, v7
	v_lshlrev_b64 v[16:17], v16, v[8:9]
	s_delay_alu instid0(VALU_DEP_1)
	v_and_b32_e32 v8, 7, v16
; %bb.2192:                             ;   in Loop: Header=BB285_1567 Depth=1
	s_or_b32 exec_lo, exec_lo, s17
	v_lshlrev_b32_e32 v16, 16, v6
	s_delay_alu instid0(VALU_DEP_2) | instskip(SKIP_1) | instid1(VALU_DEP_3)
	v_lshlrev_b32_e32 v8, 20, v8
	v_lshl_add_u32 v7, v7, 23, 0x3c000000
	v_and_b32_e32 v16, 0x80000000, v16
	s_delay_alu instid0(VALU_DEP_1)
	v_or3_b32 v17, v8, v16, v7
	v_mov_b32_e32 v16, v9
.LBB285_2193:                           ;   in Loop: Header=BB285_1567 Depth=1
	s_or_b32 exec_lo, exec_lo, s8
.LBB285_2194:                           ;   in Loop: Header=BB285_1567 Depth=1
	s_delay_alu instid0(SALU_CYCLE_1)
	s_or_b32 exec_lo, exec_lo, s15
.LBB285_2195:                           ;   in Loop: Header=BB285_1567 Depth=1
	s_delay_alu instid0(SALU_CYCLE_1) | instskip(SKIP_4) | instid1(VALU_DEP_2)
	s_or_b32 exec_lo, exec_lo, s13
	v_mov_b32_e32 v20, 0
	v_lshrrev_b32_e32 v7, 16, v6
	v_mov_b32_e32 v21, 0
	s_mov_b32 s8, exec_lo
	v_and_b32_e32 v8, 0xff, v7
	s_delay_alu instid0(VALU_DEP_2) | instskip(NEXT) | instid1(VALU_DEP_2)
	v_dual_mov_b32 v18, v20 :: v_dual_mov_b32 v19, v21
	v_cmpx_ne_u16_e32 0, v8
	s_cbranch_execz .LBB285_2203
; %bb.2196:                             ;   in Loop: Header=BB285_1567 Depth=1
	v_bfrev_b32_e32 v18, 1
	v_mov_b32_e32 v19, 0
	s_mov_b32 s13, exec_lo
	v_cmpx_ne_u16_e32 0x80, v8
	s_cbranch_execz .LBB285_2202
; %bb.2197:                             ;   in Loop: Header=BB285_1567 Depth=1
	v_mov_b32_e32 v18, 0x7f800001
	v_bfe_u32 v22, v6, 16, 7
	v_mov_b32_e32 v19, 0
	s_mov_b32 s15, exec_lo
	s_delay_alu instid0(VALU_DEP_2)
	v_cmpx_ne_u32_e32 0x7f, v22
	s_cbranch_execz .LBB285_2201
; %bb.2198:                             ;   in Loop: Header=BB285_1567 Depth=1
	v_and_b32_e32 v8, 7, v7
	v_lshrrev_b32_e32 v18, 3, v22
	s_mov_b32 s17, exec_lo
	v_cmpx_gt_u32_e32 8, v22
; %bb.2199:                             ;   in Loop: Header=BB285_1567 Depth=1
	s_delay_alu instid0(VALU_DEP_3) | instskip(NEXT) | instid1(VALU_DEP_1)
	v_clz_i32_u32_e32 v18, v8
	v_min_u32_e32 v18, 32, v18
	s_delay_alu instid0(VALU_DEP_1) | instskip(SKIP_1) | instid1(VALU_DEP_2)
	v_subrev_nc_u32_e32 v19, 28, v18
	v_sub_nc_u32_e32 v18, 29, v18
	v_lshlrev_b64 v[22:23], v19, v[8:9]
	s_delay_alu instid0(VALU_DEP_1)
	v_and_b32_e32 v8, 7, v22
; %bb.2200:                             ;   in Loop: Header=BB285_1567 Depth=1
	s_or_b32 exec_lo, exec_lo, s17
	v_lshlrev_b32_e32 v7, 24, v7
	s_delay_alu instid0(VALU_DEP_2) | instskip(SKIP_1) | instid1(VALU_DEP_3)
	v_lshlrev_b32_e32 v8, 20, v8
	v_lshl_add_u32 v18, v18, 23, 0x3c000000
	v_and_b32_e32 v7, 0x80000000, v7
	s_delay_alu instid0(VALU_DEP_1) | instskip(NEXT) | instid1(VALU_DEP_1)
	v_or3_b32 v8, v8, v7, v18
	v_dual_mov_b32 v19, v9 :: v_dual_mov_b32 v18, v8
.LBB285_2201:                           ;   in Loop: Header=BB285_1567 Depth=1
	s_or_b32 exec_lo, exec_lo, s15
.LBB285_2202:                           ;   in Loop: Header=BB285_1567 Depth=1
	s_delay_alu instid0(SALU_CYCLE_1)
	s_or_b32 exec_lo, exec_lo, s13
.LBB285_2203:                           ;   in Loop: Header=BB285_1567 Depth=1
	s_delay_alu instid0(SALU_CYCLE_1) | instskip(NEXT) | instid1(SALU_CYCLE_1)
	s_or_b32 exec_lo, exec_lo, s8
	s_mov_b32 s13, exec_lo
	v_cmpx_lt_u32_e32 0xffffff, v6
	s_cbranch_execz .LBB285_2211
; %bb.2204:                             ;   in Loop: Header=BB285_1567 Depth=1
	v_lshrrev_b32_e32 v7, 24, v6
	v_dual_mov_b32 v21, s3 :: v_dual_mov_b32 v20, s2
	s_mov_b32 s15, exec_lo
	s_delay_alu instid0(VALU_DEP_2)
	v_cmpx_ne_u32_e32 0x80, v7
	s_cbranch_execz .LBB285_2210
; %bb.2205:                             ;   in Loop: Header=BB285_1567 Depth=1
	s_mov_b32 s8, s2
	v_bfe_u32 v22, v6, 24, 7
	v_dual_mov_b32 v21, s9 :: v_dual_mov_b32 v20, s8
	s_mov_b32 s8, exec_lo
	s_delay_alu instid0(VALU_DEP_2)
	v_cmpx_ne_u32_e32 0x7f, v22
	s_cbranch_execz .LBB285_2209
; %bb.2206:                             ;   in Loop: Header=BB285_1567 Depth=1
	v_and_b32_e32 v8, 7, v7
	v_lshrrev_b32_e32 v6, 3, v22
	s_mov_b32 s17, exec_lo
	v_cmpx_gt_u32_e32 8, v22
; %bb.2207:                             ;   in Loop: Header=BB285_1567 Depth=1
	s_delay_alu instid0(VALU_DEP_3) | instskip(NEXT) | instid1(VALU_DEP_1)
	v_clz_i32_u32_e32 v6, v8
	v_min_u32_e32 v6, 32, v6
	s_delay_alu instid0(VALU_DEP_1) | instskip(SKIP_1) | instid1(VALU_DEP_2)
	v_subrev_nc_u32_e32 v20, 28, v6
	v_sub_nc_u32_e32 v6, 29, v6
	v_lshlrev_b64 v[20:21], v20, v[8:9]
	s_delay_alu instid0(VALU_DEP_1)
	v_and_b32_e32 v8, 7, v20
; %bb.2208:                             ;   in Loop: Header=BB285_1567 Depth=1
	s_or_b32 exec_lo, exec_lo, s17
	v_dual_mov_b32 v20, v9 :: v_dual_lshlrev_b32 v7, 24, v7
	s_delay_alu instid0(VALU_DEP_2) | instskip(SKIP_1) | instid1(VALU_DEP_3)
	v_lshlrev_b32_e32 v8, 20, v8
	v_lshl_add_u32 v6, v6, 23, 0x3c000000
	v_and_b32_e32 v7, 0x80000000, v7
	s_delay_alu instid0(VALU_DEP_1)
	v_or3_b32 v21, v8, v7, v6
.LBB285_2209:                           ;   in Loop: Header=BB285_1567 Depth=1
	s_or_b32 exec_lo, exec_lo, s8
.LBB285_2210:                           ;   in Loop: Header=BB285_1567 Depth=1
	s_delay_alu instid0(SALU_CYCLE_1)
	s_or_b32 exec_lo, exec_lo, s15
.LBB285_2211:                           ;   in Loop: Header=BB285_1567 Depth=1
	s_delay_alu instid0(SALU_CYCLE_1) | instskip(SKIP_4) | instid1(VALU_DEP_3)
	s_or_b32 exec_lo, exec_lo, s13
	v_or_b32_e32 v6, v17, v15
	v_or_b32_e32 v7, v16, v14
	;; [unrolled: 1-line block ×4, first 2 shown]
	v_dual_mul_f32 v168, v161, v6 :: v_dual_mul_f32 v159, v115, v7
	s_delay_alu instid0(VALU_DEP_3) | instskip(NEXT) | instid1(VALU_DEP_3)
	v_mul_f32_e32 v54, v161, v8
	v_mul_f32_e32 v158, v115, v14
	s_and_saveexec_b32 s8, vcc_lo
; %bb.2212:                             ;   in Loop: Header=BB285_1567 Depth=1
	v_cmp_lt_i32_e64 s0, v182, v55
	s_delay_alu instid0(VALU_DEP_1) | instskip(SKIP_1) | instid1(VALU_DEP_1)
	v_cndmask_b32_e64 v159, 0, v159, s0
	v_cmp_lt_i32_e64 s0, v40, v55
	v_cndmask_b32_e64 v168, 0, v168, s0
	v_cmp_lt_i32_e64 s0, v183, v55
	s_delay_alu instid0(VALU_DEP_1) | instskip(SKIP_1) | instid1(VALU_DEP_1)
	v_cndmask_b32_e64 v158, 0, v158, s0
	v_cmp_lt_i32_e64 s0, v151, v55
	v_cndmask_b32_e64 v54, 0, v54, s0
; %bb.2213:                             ;   in Loop: Header=BB285_1567 Depth=1
	s_or_b32 exec_lo, exec_lo, s8
	flat_load_b32 v6, v[4:5] offset:2432
	v_mov_b32_e32 v16, 0
	v_mov_b32_e32 v17, 0
	s_delay_alu instid0(VALU_DEP_2) | instskip(SKIP_1) | instid1(VALU_DEP_2)
	v_mov_b32_e32 v14, v16
	s_mov_b32 s8, exec_lo
	v_mov_b32_e32 v15, v17
	s_waitcnt vmcnt(0) lgkmcnt(0)
	v_and_b32_e32 v7, 0xff, v6
	s_delay_alu instid0(VALU_DEP_1)
	v_cmpx_ne_u16_e32 0, v7
	s_cbranch_execz .LBB285_2221
; %bb.2214:                             ;   in Loop: Header=BB285_1567 Depth=1
	v_bfrev_b32_e32 v14, 1
	v_mov_b32_e32 v15, 0
	s_mov_b32 s13, exec_lo
	v_cmpx_ne_u16_e32 0x80, v7
	s_cbranch_execz .LBB285_2220
; %bb.2215:                             ;   in Loop: Header=BB285_1567 Depth=1
	v_mov_b32_e32 v14, 0x7f800001
	v_dual_mov_b32 v15, 0 :: v_dual_and_b32 v18, 0x7f, v6
	s_mov_b32 s15, exec_lo
	s_delay_alu instid0(VALU_DEP_1)
	v_cmpx_ne_u32_e32 0x7f, v18
	s_cbranch_execz .LBB285_2219
; %bb.2216:                             ;   in Loop: Header=BB285_1567 Depth=1
	v_and_b32_e32 v8, 7, v6
	v_lshrrev_b32_e32 v7, 3, v18
	s_mov_b32 s17, exec_lo
	v_cmpx_gt_u32_e32 8, v18
; %bb.2217:                             ;   in Loop: Header=BB285_1567 Depth=1
	s_delay_alu instid0(VALU_DEP_3) | instskip(NEXT) | instid1(VALU_DEP_1)
	v_clz_i32_u32_e32 v7, v8
	v_min_u32_e32 v7, 32, v7
	s_delay_alu instid0(VALU_DEP_1) | instskip(SKIP_1) | instid1(VALU_DEP_2)
	v_subrev_nc_u32_e32 v14, 28, v7
	v_sub_nc_u32_e32 v7, 29, v7
	v_lshlrev_b64 v[14:15], v14, v[8:9]
	s_delay_alu instid0(VALU_DEP_1)
	v_and_b32_e32 v8, 7, v14
; %bb.2218:                             ;   in Loop: Header=BB285_1567 Depth=1
	s_or_b32 exec_lo, exec_lo, s17
	v_lshlrev_b32_e32 v14, 24, v6
	s_delay_alu instid0(VALU_DEP_2) | instskip(SKIP_1) | instid1(VALU_DEP_3)
	v_lshlrev_b32_e32 v8, 20, v8
	v_lshl_add_u32 v7, v7, 23, 0x3c000000
	v_and_b32_e32 v14, 0x80000000, v14
	s_delay_alu instid0(VALU_DEP_1) | instskip(NEXT) | instid1(VALU_DEP_1)
	v_or3_b32 v8, v8, v14, v7
	v_dual_mov_b32 v15, v9 :: v_dual_mov_b32 v14, v8
.LBB285_2219:                           ;   in Loop: Header=BB285_1567 Depth=1
	s_or_b32 exec_lo, exec_lo, s15
.LBB285_2220:                           ;   in Loop: Header=BB285_1567 Depth=1
	s_delay_alu instid0(SALU_CYCLE_1)
	s_or_b32 exec_lo, exec_lo, s13
.LBB285_2221:                           ;   in Loop: Header=BB285_1567 Depth=1
	s_delay_alu instid0(SALU_CYCLE_1) | instskip(SKIP_2) | instid1(VALU_DEP_1)
	s_or_b32 exec_lo, exec_lo, s8
	v_lshrrev_b16 v7, 8, v6
	s_mov_b32 s13, exec_lo
	v_cmpx_ne_u16_e32 0, v7
	s_cbranch_execz .LBB285_2229
; %bb.2222:                             ;   in Loop: Header=BB285_1567 Depth=1
	v_dual_mov_b32 v17, s3 :: v_dual_mov_b32 v16, s2
	s_mov_b32 s15, exec_lo
	v_cmpx_ne_u16_e32 0x80, v7
	s_cbranch_execz .LBB285_2228
; %bb.2223:                             ;   in Loop: Header=BB285_1567 Depth=1
	s_mov_b32 s8, s2
	v_and_b32_e32 v7, 0xffff, v7
	v_dual_mov_b32 v17, s9 :: v_dual_mov_b32 v16, s8
	s_mov_b32 s8, exec_lo
	s_delay_alu instid0(VALU_DEP_2) | instskip(NEXT) | instid1(VALU_DEP_1)
	v_and_b32_e32 v18, 0x7f, v7
	v_cmpx_ne_u32_e32 0x7f, v18
	s_cbranch_execz .LBB285_2227
; %bb.2224:                             ;   in Loop: Header=BB285_1567 Depth=1
	v_and_b32_e32 v8, 7, v7
	v_lshrrev_b32_e32 v7, 3, v18
	s_mov_b32 s17, exec_lo
	v_cmpx_gt_u32_e32 8, v18
; %bb.2225:                             ;   in Loop: Header=BB285_1567 Depth=1
	s_delay_alu instid0(VALU_DEP_3) | instskip(NEXT) | instid1(VALU_DEP_1)
	v_clz_i32_u32_e32 v7, v8
	v_min_u32_e32 v7, 32, v7
	s_delay_alu instid0(VALU_DEP_1) | instskip(SKIP_1) | instid1(VALU_DEP_2)
	v_subrev_nc_u32_e32 v16, 28, v7
	v_sub_nc_u32_e32 v7, 29, v7
	v_lshlrev_b64 v[16:17], v16, v[8:9]
	s_delay_alu instid0(VALU_DEP_1)
	v_and_b32_e32 v8, 7, v16
; %bb.2226:                             ;   in Loop: Header=BB285_1567 Depth=1
	s_or_b32 exec_lo, exec_lo, s17
	v_lshlrev_b32_e32 v16, 16, v6
	s_delay_alu instid0(VALU_DEP_2) | instskip(SKIP_1) | instid1(VALU_DEP_3)
	v_lshlrev_b32_e32 v8, 20, v8
	v_lshl_add_u32 v7, v7, 23, 0x3c000000
	v_and_b32_e32 v16, 0x80000000, v16
	s_delay_alu instid0(VALU_DEP_1)
	v_or3_b32 v17, v8, v16, v7
	v_mov_b32_e32 v16, v9
.LBB285_2227:                           ;   in Loop: Header=BB285_1567 Depth=1
	s_or_b32 exec_lo, exec_lo, s8
.LBB285_2228:                           ;   in Loop: Header=BB285_1567 Depth=1
	s_delay_alu instid0(SALU_CYCLE_1)
	s_or_b32 exec_lo, exec_lo, s15
.LBB285_2229:                           ;   in Loop: Header=BB285_1567 Depth=1
	s_delay_alu instid0(SALU_CYCLE_1) | instskip(SKIP_4) | instid1(VALU_DEP_2)
	s_or_b32 exec_lo, exec_lo, s13
	v_mov_b32_e32 v20, 0
	v_lshrrev_b32_e32 v7, 16, v6
	v_mov_b32_e32 v21, 0
	s_mov_b32 s8, exec_lo
	v_and_b32_e32 v8, 0xff, v7
	s_delay_alu instid0(VALU_DEP_2) | instskip(NEXT) | instid1(VALU_DEP_2)
	v_dual_mov_b32 v18, v20 :: v_dual_mov_b32 v19, v21
	v_cmpx_ne_u16_e32 0, v8
	s_cbranch_execz .LBB285_2237
; %bb.2230:                             ;   in Loop: Header=BB285_1567 Depth=1
	v_bfrev_b32_e32 v18, 1
	v_mov_b32_e32 v19, 0
	s_mov_b32 s13, exec_lo
	v_cmpx_ne_u16_e32 0x80, v8
	s_cbranch_execz .LBB285_2236
; %bb.2231:                             ;   in Loop: Header=BB285_1567 Depth=1
	v_mov_b32_e32 v18, 0x7f800001
	v_bfe_u32 v22, v6, 16, 7
	v_mov_b32_e32 v19, 0
	s_mov_b32 s15, exec_lo
	s_delay_alu instid0(VALU_DEP_2)
	v_cmpx_ne_u32_e32 0x7f, v22
	s_cbranch_execz .LBB285_2235
; %bb.2232:                             ;   in Loop: Header=BB285_1567 Depth=1
	v_and_b32_e32 v8, 7, v7
	v_lshrrev_b32_e32 v18, 3, v22
	s_mov_b32 s17, exec_lo
	v_cmpx_gt_u32_e32 8, v22
; %bb.2233:                             ;   in Loop: Header=BB285_1567 Depth=1
	s_delay_alu instid0(VALU_DEP_3) | instskip(NEXT) | instid1(VALU_DEP_1)
	v_clz_i32_u32_e32 v18, v8
	v_min_u32_e32 v18, 32, v18
	s_delay_alu instid0(VALU_DEP_1) | instskip(SKIP_1) | instid1(VALU_DEP_2)
	v_subrev_nc_u32_e32 v19, 28, v18
	v_sub_nc_u32_e32 v18, 29, v18
	v_lshlrev_b64 v[22:23], v19, v[8:9]
	s_delay_alu instid0(VALU_DEP_1)
	v_and_b32_e32 v8, 7, v22
; %bb.2234:                             ;   in Loop: Header=BB285_1567 Depth=1
	s_or_b32 exec_lo, exec_lo, s17
	v_lshlrev_b32_e32 v7, 24, v7
	s_delay_alu instid0(VALU_DEP_2) | instskip(SKIP_1) | instid1(VALU_DEP_3)
	v_lshlrev_b32_e32 v8, 20, v8
	v_lshl_add_u32 v18, v18, 23, 0x3c000000
	v_and_b32_e32 v7, 0x80000000, v7
	s_delay_alu instid0(VALU_DEP_1) | instskip(NEXT) | instid1(VALU_DEP_1)
	v_or3_b32 v8, v8, v7, v18
	v_dual_mov_b32 v19, v9 :: v_dual_mov_b32 v18, v8
.LBB285_2235:                           ;   in Loop: Header=BB285_1567 Depth=1
	s_or_b32 exec_lo, exec_lo, s15
.LBB285_2236:                           ;   in Loop: Header=BB285_1567 Depth=1
	s_delay_alu instid0(SALU_CYCLE_1)
	s_or_b32 exec_lo, exec_lo, s13
.LBB285_2237:                           ;   in Loop: Header=BB285_1567 Depth=1
	s_delay_alu instid0(SALU_CYCLE_1) | instskip(NEXT) | instid1(SALU_CYCLE_1)
	s_or_b32 exec_lo, exec_lo, s8
	s_mov_b32 s13, exec_lo
	v_cmpx_lt_u32_e32 0xffffff, v6
	s_cbranch_execz .LBB285_2245
; %bb.2238:                             ;   in Loop: Header=BB285_1567 Depth=1
	v_lshrrev_b32_e32 v7, 24, v6
	v_dual_mov_b32 v21, s3 :: v_dual_mov_b32 v20, s2
	s_mov_b32 s15, exec_lo
	s_delay_alu instid0(VALU_DEP_2)
	v_cmpx_ne_u32_e32 0x80, v7
	s_cbranch_execz .LBB285_2244
; %bb.2239:                             ;   in Loop: Header=BB285_1567 Depth=1
	s_mov_b32 s8, s2
	v_bfe_u32 v22, v6, 24, 7
	v_dual_mov_b32 v21, s9 :: v_dual_mov_b32 v20, s8
	s_mov_b32 s8, exec_lo
	s_delay_alu instid0(VALU_DEP_2)
	v_cmpx_ne_u32_e32 0x7f, v22
	s_cbranch_execz .LBB285_2243
; %bb.2240:                             ;   in Loop: Header=BB285_1567 Depth=1
	v_and_b32_e32 v8, 7, v7
	v_lshrrev_b32_e32 v6, 3, v22
	s_mov_b32 s17, exec_lo
	v_cmpx_gt_u32_e32 8, v22
; %bb.2241:                             ;   in Loop: Header=BB285_1567 Depth=1
	s_delay_alu instid0(VALU_DEP_3) | instskip(NEXT) | instid1(VALU_DEP_1)
	v_clz_i32_u32_e32 v6, v8
	v_min_u32_e32 v6, 32, v6
	s_delay_alu instid0(VALU_DEP_1) | instskip(SKIP_1) | instid1(VALU_DEP_2)
	v_subrev_nc_u32_e32 v20, 28, v6
	v_sub_nc_u32_e32 v6, 29, v6
	v_lshlrev_b64 v[20:21], v20, v[8:9]
	s_delay_alu instid0(VALU_DEP_1)
	v_and_b32_e32 v8, 7, v20
; %bb.2242:                             ;   in Loop: Header=BB285_1567 Depth=1
	s_or_b32 exec_lo, exec_lo, s17
	v_dual_mov_b32 v20, v9 :: v_dual_lshlrev_b32 v7, 24, v7
	s_delay_alu instid0(VALU_DEP_2) | instskip(SKIP_1) | instid1(VALU_DEP_3)
	v_lshlrev_b32_e32 v8, 20, v8
	v_lshl_add_u32 v6, v6, 23, 0x3c000000
	v_and_b32_e32 v7, 0x80000000, v7
	s_delay_alu instid0(VALU_DEP_1)
	v_or3_b32 v21, v8, v7, v6
.LBB285_2243:                           ;   in Loop: Header=BB285_1567 Depth=1
	s_or_b32 exec_lo, exec_lo, s8
.LBB285_2244:                           ;   in Loop: Header=BB285_1567 Depth=1
	s_delay_alu instid0(SALU_CYCLE_1)
	s_or_b32 exec_lo, exec_lo, s15
.LBB285_2245:                           ;   in Loop: Header=BB285_1567 Depth=1
	s_delay_alu instid0(SALU_CYCLE_1) | instskip(SKIP_4) | instid1(VALU_DEP_3)
	s_or_b32 exec_lo, exec_lo, s13
	v_or_b32_e32 v6, v17, v15
	v_or_b32_e32 v7, v16, v14
	;; [unrolled: 1-line block ×4, first 2 shown]
	v_dual_mul_f32 v172, v161, v6 :: v_dual_mul_f32 v171, v115, v7
	s_delay_alu instid0(VALU_DEP_2)
	v_dual_mul_f32 v169, v161, v8 :: v_dual_mul_f32 v170, v115, v14
	s_and_saveexec_b32 s8, vcc_lo
; %bb.2246:                             ;   in Loop: Header=BB285_1567 Depth=1
	v_cmp_lt_i32_e64 s0, v182, v55
	s_delay_alu instid0(VALU_DEP_1) | instskip(SKIP_1) | instid1(VALU_DEP_1)
	v_cndmask_b32_e64 v171, 0, v171, s0
	v_cmp_lt_i32_e64 s0, v40, v55
	v_cndmask_b32_e64 v172, 0, v172, s0
	v_cmp_lt_i32_e64 s0, v183, v55
	s_delay_alu instid0(VALU_DEP_1) | instskip(SKIP_1) | instid1(VALU_DEP_1)
	v_cndmask_b32_e64 v170, 0, v170, s0
	v_cmp_lt_i32_e64 s0, v151, v55
	v_cndmask_b32_e64 v169, 0, v169, s0
; %bb.2247:                             ;   in Loop: Header=BB285_1567 Depth=1
	s_or_b32 exec_lo, exec_lo, s8
	flat_load_b32 v6, v[4:5] offset:2560
	v_mov_b32_e32 v16, 0
	v_mov_b32_e32 v17, 0
	s_delay_alu instid0(VALU_DEP_2) | instskip(SKIP_1) | instid1(VALU_DEP_2)
	v_mov_b32_e32 v14, v16
	s_mov_b32 s8, exec_lo
	v_mov_b32_e32 v15, v17
	s_waitcnt vmcnt(0) lgkmcnt(0)
	v_and_b32_e32 v7, 0xff, v6
	s_delay_alu instid0(VALU_DEP_1)
	v_cmpx_ne_u16_e32 0, v7
	s_cbranch_execz .LBB285_2255
; %bb.2248:                             ;   in Loop: Header=BB285_1567 Depth=1
	v_bfrev_b32_e32 v14, 1
	v_mov_b32_e32 v15, 0
	s_mov_b32 s13, exec_lo
	v_cmpx_ne_u16_e32 0x80, v7
	s_cbranch_execz .LBB285_2254
; %bb.2249:                             ;   in Loop: Header=BB285_1567 Depth=1
	v_mov_b32_e32 v14, 0x7f800001
	v_dual_mov_b32 v15, 0 :: v_dual_and_b32 v18, 0x7f, v6
	s_mov_b32 s15, exec_lo
	s_delay_alu instid0(VALU_DEP_1)
	v_cmpx_ne_u32_e32 0x7f, v18
	s_cbranch_execz .LBB285_2253
; %bb.2250:                             ;   in Loop: Header=BB285_1567 Depth=1
	v_and_b32_e32 v8, 7, v6
	v_lshrrev_b32_e32 v7, 3, v18
	s_mov_b32 s17, exec_lo
	v_cmpx_gt_u32_e32 8, v18
; %bb.2251:                             ;   in Loop: Header=BB285_1567 Depth=1
	s_delay_alu instid0(VALU_DEP_3) | instskip(NEXT) | instid1(VALU_DEP_1)
	v_clz_i32_u32_e32 v7, v8
	v_min_u32_e32 v7, 32, v7
	s_delay_alu instid0(VALU_DEP_1) | instskip(SKIP_1) | instid1(VALU_DEP_2)
	v_subrev_nc_u32_e32 v14, 28, v7
	v_sub_nc_u32_e32 v7, 29, v7
	v_lshlrev_b64 v[14:15], v14, v[8:9]
	s_delay_alu instid0(VALU_DEP_1)
	v_and_b32_e32 v8, 7, v14
; %bb.2252:                             ;   in Loop: Header=BB285_1567 Depth=1
	s_or_b32 exec_lo, exec_lo, s17
	v_lshlrev_b32_e32 v14, 24, v6
	s_delay_alu instid0(VALU_DEP_2) | instskip(SKIP_1) | instid1(VALU_DEP_3)
	v_lshlrev_b32_e32 v8, 20, v8
	v_lshl_add_u32 v7, v7, 23, 0x3c000000
	v_and_b32_e32 v14, 0x80000000, v14
	s_delay_alu instid0(VALU_DEP_1) | instskip(NEXT) | instid1(VALU_DEP_1)
	v_or3_b32 v8, v8, v14, v7
	v_dual_mov_b32 v15, v9 :: v_dual_mov_b32 v14, v8
.LBB285_2253:                           ;   in Loop: Header=BB285_1567 Depth=1
	s_or_b32 exec_lo, exec_lo, s15
.LBB285_2254:                           ;   in Loop: Header=BB285_1567 Depth=1
	s_delay_alu instid0(SALU_CYCLE_1)
	s_or_b32 exec_lo, exec_lo, s13
.LBB285_2255:                           ;   in Loop: Header=BB285_1567 Depth=1
	s_delay_alu instid0(SALU_CYCLE_1) | instskip(SKIP_2) | instid1(VALU_DEP_1)
	s_or_b32 exec_lo, exec_lo, s8
	v_lshrrev_b16 v7, 8, v6
	s_mov_b32 s13, exec_lo
	v_cmpx_ne_u16_e32 0, v7
	s_cbranch_execz .LBB285_2263
; %bb.2256:                             ;   in Loop: Header=BB285_1567 Depth=1
	v_dual_mov_b32 v17, s3 :: v_dual_mov_b32 v16, s2
	s_mov_b32 s15, exec_lo
	v_cmpx_ne_u16_e32 0x80, v7
	s_cbranch_execz .LBB285_2262
; %bb.2257:                             ;   in Loop: Header=BB285_1567 Depth=1
	s_mov_b32 s8, s2
	v_and_b32_e32 v7, 0xffff, v7
	v_dual_mov_b32 v17, s9 :: v_dual_mov_b32 v16, s8
	s_mov_b32 s8, exec_lo
	s_delay_alu instid0(VALU_DEP_2) | instskip(NEXT) | instid1(VALU_DEP_1)
	v_and_b32_e32 v18, 0x7f, v7
	v_cmpx_ne_u32_e32 0x7f, v18
	s_cbranch_execz .LBB285_2261
; %bb.2258:                             ;   in Loop: Header=BB285_1567 Depth=1
	v_and_b32_e32 v8, 7, v7
	v_lshrrev_b32_e32 v7, 3, v18
	s_mov_b32 s17, exec_lo
	v_cmpx_gt_u32_e32 8, v18
; %bb.2259:                             ;   in Loop: Header=BB285_1567 Depth=1
	s_delay_alu instid0(VALU_DEP_3) | instskip(NEXT) | instid1(VALU_DEP_1)
	v_clz_i32_u32_e32 v7, v8
	v_min_u32_e32 v7, 32, v7
	s_delay_alu instid0(VALU_DEP_1) | instskip(SKIP_1) | instid1(VALU_DEP_2)
	v_subrev_nc_u32_e32 v16, 28, v7
	v_sub_nc_u32_e32 v7, 29, v7
	v_lshlrev_b64 v[16:17], v16, v[8:9]
	s_delay_alu instid0(VALU_DEP_1)
	v_and_b32_e32 v8, 7, v16
; %bb.2260:                             ;   in Loop: Header=BB285_1567 Depth=1
	s_or_b32 exec_lo, exec_lo, s17
	v_lshlrev_b32_e32 v16, 16, v6
	s_delay_alu instid0(VALU_DEP_2) | instskip(SKIP_1) | instid1(VALU_DEP_3)
	v_lshlrev_b32_e32 v8, 20, v8
	v_lshl_add_u32 v7, v7, 23, 0x3c000000
	v_and_b32_e32 v16, 0x80000000, v16
	s_delay_alu instid0(VALU_DEP_1)
	v_or3_b32 v17, v8, v16, v7
	v_mov_b32_e32 v16, v9
.LBB285_2261:                           ;   in Loop: Header=BB285_1567 Depth=1
	s_or_b32 exec_lo, exec_lo, s8
.LBB285_2262:                           ;   in Loop: Header=BB285_1567 Depth=1
	s_delay_alu instid0(SALU_CYCLE_1)
	s_or_b32 exec_lo, exec_lo, s15
.LBB285_2263:                           ;   in Loop: Header=BB285_1567 Depth=1
	s_delay_alu instid0(SALU_CYCLE_1) | instskip(SKIP_4) | instid1(VALU_DEP_2)
	s_or_b32 exec_lo, exec_lo, s13
	v_mov_b32_e32 v20, 0
	v_lshrrev_b32_e32 v7, 16, v6
	v_mov_b32_e32 v21, 0
	s_mov_b32 s8, exec_lo
	v_and_b32_e32 v8, 0xff, v7
	s_delay_alu instid0(VALU_DEP_2) | instskip(NEXT) | instid1(VALU_DEP_2)
	v_dual_mov_b32 v18, v20 :: v_dual_mov_b32 v19, v21
	v_cmpx_ne_u16_e32 0, v8
	s_cbranch_execz .LBB285_2271
; %bb.2264:                             ;   in Loop: Header=BB285_1567 Depth=1
	v_bfrev_b32_e32 v18, 1
	v_mov_b32_e32 v19, 0
	s_mov_b32 s13, exec_lo
	v_cmpx_ne_u16_e32 0x80, v8
	s_cbranch_execz .LBB285_2270
; %bb.2265:                             ;   in Loop: Header=BB285_1567 Depth=1
	v_mov_b32_e32 v18, 0x7f800001
	v_bfe_u32 v22, v6, 16, 7
	v_mov_b32_e32 v19, 0
	s_mov_b32 s15, exec_lo
	s_delay_alu instid0(VALU_DEP_2)
	v_cmpx_ne_u32_e32 0x7f, v22
	s_cbranch_execz .LBB285_2269
; %bb.2266:                             ;   in Loop: Header=BB285_1567 Depth=1
	v_and_b32_e32 v8, 7, v7
	v_lshrrev_b32_e32 v18, 3, v22
	s_mov_b32 s17, exec_lo
	v_cmpx_gt_u32_e32 8, v22
; %bb.2267:                             ;   in Loop: Header=BB285_1567 Depth=1
	s_delay_alu instid0(VALU_DEP_3) | instskip(NEXT) | instid1(VALU_DEP_1)
	v_clz_i32_u32_e32 v18, v8
	v_min_u32_e32 v18, 32, v18
	s_delay_alu instid0(VALU_DEP_1) | instskip(SKIP_1) | instid1(VALU_DEP_2)
	v_subrev_nc_u32_e32 v19, 28, v18
	v_sub_nc_u32_e32 v18, 29, v18
	v_lshlrev_b64 v[22:23], v19, v[8:9]
	s_delay_alu instid0(VALU_DEP_1)
	v_and_b32_e32 v8, 7, v22
; %bb.2268:                             ;   in Loop: Header=BB285_1567 Depth=1
	s_or_b32 exec_lo, exec_lo, s17
	v_lshlrev_b32_e32 v7, 24, v7
	s_delay_alu instid0(VALU_DEP_2) | instskip(SKIP_1) | instid1(VALU_DEP_3)
	v_lshlrev_b32_e32 v8, 20, v8
	v_lshl_add_u32 v18, v18, 23, 0x3c000000
	v_and_b32_e32 v7, 0x80000000, v7
	s_delay_alu instid0(VALU_DEP_1) | instskip(NEXT) | instid1(VALU_DEP_1)
	v_or3_b32 v8, v8, v7, v18
	v_dual_mov_b32 v19, v9 :: v_dual_mov_b32 v18, v8
.LBB285_2269:                           ;   in Loop: Header=BB285_1567 Depth=1
	s_or_b32 exec_lo, exec_lo, s15
.LBB285_2270:                           ;   in Loop: Header=BB285_1567 Depth=1
	s_delay_alu instid0(SALU_CYCLE_1)
	s_or_b32 exec_lo, exec_lo, s13
.LBB285_2271:                           ;   in Loop: Header=BB285_1567 Depth=1
	s_delay_alu instid0(SALU_CYCLE_1) | instskip(NEXT) | instid1(SALU_CYCLE_1)
	s_or_b32 exec_lo, exec_lo, s8
	s_mov_b32 s13, exec_lo
	v_cmpx_lt_u32_e32 0xffffff, v6
	s_cbranch_execz .LBB285_2279
; %bb.2272:                             ;   in Loop: Header=BB285_1567 Depth=1
	v_lshrrev_b32_e32 v7, 24, v6
	v_dual_mov_b32 v21, s3 :: v_dual_mov_b32 v20, s2
	s_mov_b32 s15, exec_lo
	s_delay_alu instid0(VALU_DEP_2)
	v_cmpx_ne_u32_e32 0x80, v7
	s_cbranch_execz .LBB285_2278
; %bb.2273:                             ;   in Loop: Header=BB285_1567 Depth=1
	s_mov_b32 s8, s2
	v_bfe_u32 v22, v6, 24, 7
	v_dual_mov_b32 v21, s9 :: v_dual_mov_b32 v20, s8
	s_mov_b32 s8, exec_lo
	s_delay_alu instid0(VALU_DEP_2)
	v_cmpx_ne_u32_e32 0x7f, v22
	s_cbranch_execz .LBB285_2277
; %bb.2274:                             ;   in Loop: Header=BB285_1567 Depth=1
	v_and_b32_e32 v8, 7, v7
	v_lshrrev_b32_e32 v6, 3, v22
	s_mov_b32 s17, exec_lo
	v_cmpx_gt_u32_e32 8, v22
; %bb.2275:                             ;   in Loop: Header=BB285_1567 Depth=1
	s_delay_alu instid0(VALU_DEP_3) | instskip(NEXT) | instid1(VALU_DEP_1)
	v_clz_i32_u32_e32 v6, v8
	v_min_u32_e32 v6, 32, v6
	s_delay_alu instid0(VALU_DEP_1) | instskip(SKIP_1) | instid1(VALU_DEP_2)
	v_subrev_nc_u32_e32 v20, 28, v6
	v_sub_nc_u32_e32 v6, 29, v6
	v_lshlrev_b64 v[20:21], v20, v[8:9]
	s_delay_alu instid0(VALU_DEP_1)
	v_and_b32_e32 v8, 7, v20
; %bb.2276:                             ;   in Loop: Header=BB285_1567 Depth=1
	s_or_b32 exec_lo, exec_lo, s17
	v_dual_mov_b32 v20, v9 :: v_dual_lshlrev_b32 v7, 24, v7
	s_delay_alu instid0(VALU_DEP_2) | instskip(SKIP_1) | instid1(VALU_DEP_3)
	v_lshlrev_b32_e32 v8, 20, v8
	v_lshl_add_u32 v6, v6, 23, 0x3c000000
	v_and_b32_e32 v7, 0x80000000, v7
	s_delay_alu instid0(VALU_DEP_1)
	v_or3_b32 v21, v8, v7, v6
.LBB285_2277:                           ;   in Loop: Header=BB285_1567 Depth=1
	s_or_b32 exec_lo, exec_lo, s8
.LBB285_2278:                           ;   in Loop: Header=BB285_1567 Depth=1
	s_delay_alu instid0(SALU_CYCLE_1)
	s_or_b32 exec_lo, exec_lo, s15
.LBB285_2279:                           ;   in Loop: Header=BB285_1567 Depth=1
	s_delay_alu instid0(SALU_CYCLE_1) | instskip(SKIP_4) | instid1(VALU_DEP_3)
	s_or_b32 exec_lo, exec_lo, s13
	v_or_b32_e32 v6, v17, v15
	v_or_b32_e32 v7, v16, v14
	v_or_b32_e32 v8, v21, v19
	v_or_b32_e32 v14, v20, v18
	v_dual_mul_f32 v175, v161, v6 :: v_dual_mul_f32 v174, v115, v7
	s_delay_alu instid0(VALU_DEP_2)
	v_dual_mul_f32 v173, v161, v8 :: v_dual_mul_f32 v184, v115, v14
	s_and_saveexec_b32 s8, vcc_lo
; %bb.2280:                             ;   in Loop: Header=BB285_1567 Depth=1
	v_cmp_lt_i32_e64 s0, v182, v55
	s_delay_alu instid0(VALU_DEP_1) | instskip(SKIP_1) | instid1(VALU_DEP_1)
	v_cndmask_b32_e64 v174, 0, v174, s0
	v_cmp_lt_i32_e64 s0, v40, v55
	v_cndmask_b32_e64 v175, 0, v175, s0
	v_cmp_lt_i32_e64 s0, v183, v55
	s_delay_alu instid0(VALU_DEP_1) | instskip(SKIP_1) | instid1(VALU_DEP_1)
	v_cndmask_b32_e64 v184, 0, v184, s0
	v_cmp_lt_i32_e64 s0, v151, v55
	v_cndmask_b32_e64 v173, 0, v173, s0
; %bb.2281:                             ;   in Loop: Header=BB285_1567 Depth=1
	s_or_b32 exec_lo, exec_lo, s8
	flat_load_b32 v6, v[4:5] offset:2688
	v_mov_b32_e32 v16, 0
	v_mov_b32_e32 v17, 0
	s_delay_alu instid0(VALU_DEP_2) | instskip(SKIP_1) | instid1(VALU_DEP_2)
	v_mov_b32_e32 v14, v16
	s_mov_b32 s8, exec_lo
	v_mov_b32_e32 v15, v17
	s_waitcnt vmcnt(0) lgkmcnt(0)
	v_and_b32_e32 v7, 0xff, v6
	s_delay_alu instid0(VALU_DEP_1)
	v_cmpx_ne_u16_e32 0, v7
	s_cbranch_execz .LBB285_2289
; %bb.2282:                             ;   in Loop: Header=BB285_1567 Depth=1
	v_bfrev_b32_e32 v14, 1
	v_mov_b32_e32 v15, 0
	s_mov_b32 s13, exec_lo
	v_cmpx_ne_u16_e32 0x80, v7
	s_cbranch_execz .LBB285_2288
; %bb.2283:                             ;   in Loop: Header=BB285_1567 Depth=1
	v_mov_b32_e32 v14, 0x7f800001
	v_dual_mov_b32 v15, 0 :: v_dual_and_b32 v18, 0x7f, v6
	s_mov_b32 s15, exec_lo
	s_delay_alu instid0(VALU_DEP_1)
	v_cmpx_ne_u32_e32 0x7f, v18
	s_cbranch_execz .LBB285_2287
; %bb.2284:                             ;   in Loop: Header=BB285_1567 Depth=1
	v_and_b32_e32 v8, 7, v6
	v_lshrrev_b32_e32 v7, 3, v18
	s_mov_b32 s17, exec_lo
	v_cmpx_gt_u32_e32 8, v18
; %bb.2285:                             ;   in Loop: Header=BB285_1567 Depth=1
	s_delay_alu instid0(VALU_DEP_3) | instskip(NEXT) | instid1(VALU_DEP_1)
	v_clz_i32_u32_e32 v7, v8
	v_min_u32_e32 v7, 32, v7
	s_delay_alu instid0(VALU_DEP_1) | instskip(SKIP_1) | instid1(VALU_DEP_2)
	v_subrev_nc_u32_e32 v14, 28, v7
	v_sub_nc_u32_e32 v7, 29, v7
	v_lshlrev_b64 v[14:15], v14, v[8:9]
	s_delay_alu instid0(VALU_DEP_1)
	v_and_b32_e32 v8, 7, v14
; %bb.2286:                             ;   in Loop: Header=BB285_1567 Depth=1
	s_or_b32 exec_lo, exec_lo, s17
	v_lshlrev_b32_e32 v14, 24, v6
	s_delay_alu instid0(VALU_DEP_2) | instskip(SKIP_1) | instid1(VALU_DEP_3)
	v_lshlrev_b32_e32 v8, 20, v8
	v_lshl_add_u32 v7, v7, 23, 0x3c000000
	v_and_b32_e32 v14, 0x80000000, v14
	s_delay_alu instid0(VALU_DEP_1) | instskip(NEXT) | instid1(VALU_DEP_1)
	v_or3_b32 v8, v8, v14, v7
	v_dual_mov_b32 v15, v9 :: v_dual_mov_b32 v14, v8
.LBB285_2287:                           ;   in Loop: Header=BB285_1567 Depth=1
	s_or_b32 exec_lo, exec_lo, s15
.LBB285_2288:                           ;   in Loop: Header=BB285_1567 Depth=1
	s_delay_alu instid0(SALU_CYCLE_1)
	s_or_b32 exec_lo, exec_lo, s13
.LBB285_2289:                           ;   in Loop: Header=BB285_1567 Depth=1
	s_delay_alu instid0(SALU_CYCLE_1) | instskip(SKIP_2) | instid1(VALU_DEP_1)
	s_or_b32 exec_lo, exec_lo, s8
	v_lshrrev_b16 v7, 8, v6
	s_mov_b32 s13, exec_lo
	v_cmpx_ne_u16_e32 0, v7
	s_cbranch_execz .LBB285_2297
; %bb.2290:                             ;   in Loop: Header=BB285_1567 Depth=1
	v_dual_mov_b32 v17, s3 :: v_dual_mov_b32 v16, s2
	s_mov_b32 s15, exec_lo
	v_cmpx_ne_u16_e32 0x80, v7
	s_cbranch_execz .LBB285_2296
; %bb.2291:                             ;   in Loop: Header=BB285_1567 Depth=1
	s_mov_b32 s8, s2
	v_and_b32_e32 v7, 0xffff, v7
	v_dual_mov_b32 v17, s9 :: v_dual_mov_b32 v16, s8
	s_mov_b32 s8, exec_lo
	s_delay_alu instid0(VALU_DEP_2) | instskip(NEXT) | instid1(VALU_DEP_1)
	v_and_b32_e32 v18, 0x7f, v7
	v_cmpx_ne_u32_e32 0x7f, v18
	s_cbranch_execz .LBB285_2295
; %bb.2292:                             ;   in Loop: Header=BB285_1567 Depth=1
	v_and_b32_e32 v8, 7, v7
	v_lshrrev_b32_e32 v7, 3, v18
	s_mov_b32 s17, exec_lo
	v_cmpx_gt_u32_e32 8, v18
; %bb.2293:                             ;   in Loop: Header=BB285_1567 Depth=1
	s_delay_alu instid0(VALU_DEP_3) | instskip(NEXT) | instid1(VALU_DEP_1)
	v_clz_i32_u32_e32 v7, v8
	v_min_u32_e32 v7, 32, v7
	s_delay_alu instid0(VALU_DEP_1) | instskip(SKIP_1) | instid1(VALU_DEP_2)
	v_subrev_nc_u32_e32 v16, 28, v7
	v_sub_nc_u32_e32 v7, 29, v7
	v_lshlrev_b64 v[16:17], v16, v[8:9]
	s_delay_alu instid0(VALU_DEP_1)
	v_and_b32_e32 v8, 7, v16
; %bb.2294:                             ;   in Loop: Header=BB285_1567 Depth=1
	s_or_b32 exec_lo, exec_lo, s17
	v_lshlrev_b32_e32 v16, 16, v6
	s_delay_alu instid0(VALU_DEP_2) | instskip(SKIP_1) | instid1(VALU_DEP_3)
	v_lshlrev_b32_e32 v8, 20, v8
	v_lshl_add_u32 v7, v7, 23, 0x3c000000
	v_and_b32_e32 v16, 0x80000000, v16
	s_delay_alu instid0(VALU_DEP_1)
	v_or3_b32 v17, v8, v16, v7
	v_mov_b32_e32 v16, v9
.LBB285_2295:                           ;   in Loop: Header=BB285_1567 Depth=1
	s_or_b32 exec_lo, exec_lo, s8
.LBB285_2296:                           ;   in Loop: Header=BB285_1567 Depth=1
	s_delay_alu instid0(SALU_CYCLE_1)
	s_or_b32 exec_lo, exec_lo, s15
.LBB285_2297:                           ;   in Loop: Header=BB285_1567 Depth=1
	s_delay_alu instid0(SALU_CYCLE_1) | instskip(SKIP_4) | instid1(VALU_DEP_1)
	s_or_b32 exec_lo, exec_lo, s13
	v_mov_b32_e32 v18, 0
	v_lshrrev_b32_e32 v7, 16, v6
	v_mov_b32_e32 v19, 0
	s_mov_b32 s8, exec_lo
	v_dual_mov_b32 v21, v19 :: v_dual_and_b32 v8, 0xff, v7
	v_mov_b32_e32 v20, v18
	s_delay_alu instid0(VALU_DEP_2)
	v_cmpx_ne_u16_e32 0, v8
	s_cbranch_execz .LBB285_2305
; %bb.2298:                             ;   in Loop: Header=BB285_1567 Depth=1
	v_bfrev_b32_e32 v20, 1
	v_mov_b32_e32 v21, 0
	s_mov_b32 s13, exec_lo
	v_cmpx_ne_u16_e32 0x80, v8
	s_cbranch_execz .LBB285_2304
; %bb.2299:                             ;   in Loop: Header=BB285_1567 Depth=1
	v_mov_b32_e32 v20, 0x7f800001
	v_bfe_u32 v22, v6, 16, 7
	v_mov_b32_e32 v21, 0
	s_mov_b32 s15, exec_lo
	s_delay_alu instid0(VALU_DEP_2)
	v_cmpx_ne_u32_e32 0x7f, v22
	s_cbranch_execz .LBB285_2303
; %bb.2300:                             ;   in Loop: Header=BB285_1567 Depth=1
	v_and_b32_e32 v8, 7, v7
	v_lshrrev_b32_e32 v20, 3, v22
	s_mov_b32 s17, exec_lo
	v_cmpx_gt_u32_e32 8, v22
; %bb.2301:                             ;   in Loop: Header=BB285_1567 Depth=1
	s_delay_alu instid0(VALU_DEP_3) | instskip(NEXT) | instid1(VALU_DEP_1)
	v_clz_i32_u32_e32 v20, v8
	v_min_u32_e32 v20, 32, v20
	s_delay_alu instid0(VALU_DEP_1) | instskip(SKIP_1) | instid1(VALU_DEP_2)
	v_subrev_nc_u32_e32 v21, 28, v20
	v_sub_nc_u32_e32 v20, 29, v20
	v_lshlrev_b64 v[21:22], v21, v[8:9]
	s_delay_alu instid0(VALU_DEP_1)
	v_and_b32_e32 v8, 7, v21
; %bb.2302:                             ;   in Loop: Header=BB285_1567 Depth=1
	s_or_b32 exec_lo, exec_lo, s17
	v_lshlrev_b32_e32 v7, 24, v7
	s_delay_alu instid0(VALU_DEP_2) | instskip(SKIP_1) | instid1(VALU_DEP_3)
	v_lshlrev_b32_e32 v8, 20, v8
	v_lshl_add_u32 v20, v20, 23, 0x3c000000
	v_and_b32_e32 v7, 0x80000000, v7
	s_delay_alu instid0(VALU_DEP_1) | instskip(NEXT) | instid1(VALU_DEP_1)
	v_or3_b32 v8, v8, v7, v20
	v_dual_mov_b32 v21, v9 :: v_dual_mov_b32 v20, v8
.LBB285_2303:                           ;   in Loop: Header=BB285_1567 Depth=1
	s_or_b32 exec_lo, exec_lo, s15
.LBB285_2304:                           ;   in Loop: Header=BB285_1567 Depth=1
	s_delay_alu instid0(SALU_CYCLE_1)
	s_or_b32 exec_lo, exec_lo, s13
.LBB285_2305:                           ;   in Loop: Header=BB285_1567 Depth=1
	s_delay_alu instid0(SALU_CYCLE_1) | instskip(NEXT) | instid1(SALU_CYCLE_1)
	s_or_b32 exec_lo, exec_lo, s8
	s_mov_b32 s13, exec_lo
	v_cmpx_lt_u32_e32 0xffffff, v6
	s_cbranch_execz .LBB285_2313
; %bb.2306:                             ;   in Loop: Header=BB285_1567 Depth=1
	v_lshrrev_b32_e32 v7, 24, v6
	v_dual_mov_b32 v19, s3 :: v_dual_mov_b32 v18, s2
	s_mov_b32 s15, exec_lo
	s_delay_alu instid0(VALU_DEP_2)
	v_cmpx_ne_u32_e32 0x80, v7
	s_cbranch_execz .LBB285_2312
; %bb.2307:                             ;   in Loop: Header=BB285_1567 Depth=1
	s_mov_b32 s8, s2
	v_bfe_u32 v22, v6, 24, 7
	v_dual_mov_b32 v19, s9 :: v_dual_mov_b32 v18, s8
	s_mov_b32 s8, exec_lo
	s_delay_alu instid0(VALU_DEP_2)
	v_cmpx_ne_u32_e32 0x7f, v22
	s_cbranch_execz .LBB285_2311
; %bb.2308:                             ;   in Loop: Header=BB285_1567 Depth=1
	v_and_b32_e32 v8, 7, v7
	v_lshrrev_b32_e32 v6, 3, v22
	s_mov_b32 s17, exec_lo
	v_cmpx_gt_u32_e32 8, v22
; %bb.2309:                             ;   in Loop: Header=BB285_1567 Depth=1
	s_delay_alu instid0(VALU_DEP_3) | instskip(NEXT) | instid1(VALU_DEP_1)
	v_clz_i32_u32_e32 v6, v8
	v_min_u32_e32 v6, 32, v6
	s_delay_alu instid0(VALU_DEP_1) | instskip(SKIP_1) | instid1(VALU_DEP_2)
	v_subrev_nc_u32_e32 v18, 28, v6
	v_sub_nc_u32_e32 v6, 29, v6
	v_lshlrev_b64 v[18:19], v18, v[8:9]
	s_delay_alu instid0(VALU_DEP_1)
	v_and_b32_e32 v8, 7, v18
; %bb.2310:                             ;   in Loop: Header=BB285_1567 Depth=1
	s_or_b32 exec_lo, exec_lo, s17
	v_dual_mov_b32 v18, v9 :: v_dual_lshlrev_b32 v7, 24, v7
	s_delay_alu instid0(VALU_DEP_2) | instskip(SKIP_1) | instid1(VALU_DEP_3)
	v_lshlrev_b32_e32 v8, 20, v8
	v_lshl_add_u32 v6, v6, 23, 0x3c000000
	v_and_b32_e32 v7, 0x80000000, v7
	s_delay_alu instid0(VALU_DEP_1)
	v_or3_b32 v19, v8, v7, v6
.LBB285_2311:                           ;   in Loop: Header=BB285_1567 Depth=1
	s_or_b32 exec_lo, exec_lo, s8
.LBB285_2312:                           ;   in Loop: Header=BB285_1567 Depth=1
	s_delay_alu instid0(SALU_CYCLE_1)
	s_or_b32 exec_lo, exec_lo, s15
.LBB285_2313:                           ;   in Loop: Header=BB285_1567 Depth=1
	s_delay_alu instid0(SALU_CYCLE_1) | instskip(SKIP_4) | instid1(VALU_DEP_3)
	s_or_b32 exec_lo, exec_lo, s13
	v_or_b32_e32 v6, v17, v15
	v_or_b32_e32 v7, v16, v14
	;; [unrolled: 1-line block ×4, first 2 shown]
	v_dual_mul_f32 v187, v161, v6 :: v_dual_mul_f32 v186, v115, v7
	s_delay_alu instid0(VALU_DEP_2)
	v_dual_mul_f32 v185, v161, v8 :: v_dual_mul_f32 v188, v115, v14
	s_and_saveexec_b32 s8, vcc_lo
; %bb.2314:                             ;   in Loop: Header=BB285_1567 Depth=1
	v_cmp_lt_i32_e64 s0, v182, v55
	s_delay_alu instid0(VALU_DEP_1) | instskip(SKIP_1) | instid1(VALU_DEP_1)
	v_cndmask_b32_e64 v186, 0, v186, s0
	v_cmp_lt_i32_e64 s0, v40, v55
	v_cndmask_b32_e64 v187, 0, v187, s0
	v_cmp_lt_i32_e64 s0, v183, v55
	s_delay_alu instid0(VALU_DEP_1) | instskip(SKIP_1) | instid1(VALU_DEP_1)
	v_cndmask_b32_e64 v188, 0, v188, s0
	v_cmp_lt_i32_e64 s0, v151, v55
	v_cndmask_b32_e64 v185, 0, v185, s0
; %bb.2315:                             ;   in Loop: Header=BB285_1567 Depth=1
	s_or_b32 exec_lo, exec_lo, s8
	flat_load_b32 v6, v[4:5] offset:2816
	v_mov_b32_e32 v14, 0
	v_mov_b32_e32 v15, 0
	s_mov_b32 s8, exec_lo
	s_delay_alu instid0(VALU_DEP_1) | instskip(SKIP_2) | instid1(VALU_DEP_1)
	v_dual_mov_b32 v17, v15 :: v_dual_mov_b32 v16, v14
	s_waitcnt vmcnt(0) lgkmcnt(0)
	v_and_b32_e32 v7, 0xff, v6
	v_cmpx_ne_u16_e32 0, v7
	s_cbranch_execz .LBB285_2323
; %bb.2316:                             ;   in Loop: Header=BB285_1567 Depth=1
	v_bfrev_b32_e32 v16, 1
	v_mov_b32_e32 v17, 0
	s_mov_b32 s13, exec_lo
	v_cmpx_ne_u16_e32 0x80, v7
	s_cbranch_execz .LBB285_2322
; %bb.2317:                             ;   in Loop: Header=BB285_1567 Depth=1
	v_mov_b32_e32 v16, 0x7f800001
	v_dual_mov_b32 v17, 0 :: v_dual_and_b32 v18, 0x7f, v6
	s_mov_b32 s15, exec_lo
	s_delay_alu instid0(VALU_DEP_1)
	v_cmpx_ne_u32_e32 0x7f, v18
	s_cbranch_execz .LBB285_2321
; %bb.2318:                             ;   in Loop: Header=BB285_1567 Depth=1
	v_and_b32_e32 v8, 7, v6
	v_lshrrev_b32_e32 v7, 3, v18
	s_mov_b32 s17, exec_lo
	v_cmpx_gt_u32_e32 8, v18
; %bb.2319:                             ;   in Loop: Header=BB285_1567 Depth=1
	s_delay_alu instid0(VALU_DEP_3) | instskip(NEXT) | instid1(VALU_DEP_1)
	v_clz_i32_u32_e32 v7, v8
	v_min_u32_e32 v7, 32, v7
	s_delay_alu instid0(VALU_DEP_1) | instskip(SKIP_1) | instid1(VALU_DEP_2)
	v_subrev_nc_u32_e32 v16, 28, v7
	v_sub_nc_u32_e32 v7, 29, v7
	v_lshlrev_b64 v[16:17], v16, v[8:9]
	s_delay_alu instid0(VALU_DEP_1)
	v_and_b32_e32 v8, 7, v16
; %bb.2320:                             ;   in Loop: Header=BB285_1567 Depth=1
	s_or_b32 exec_lo, exec_lo, s17
	v_lshlrev_b32_e32 v16, 24, v6
	s_delay_alu instid0(VALU_DEP_2) | instskip(SKIP_1) | instid1(VALU_DEP_3)
	v_lshlrev_b32_e32 v8, 20, v8
	v_lshl_add_u32 v7, v7, 23, 0x3c000000
	v_and_b32_e32 v16, 0x80000000, v16
	s_delay_alu instid0(VALU_DEP_1) | instskip(NEXT) | instid1(VALU_DEP_1)
	v_or3_b32 v8, v8, v16, v7
	v_dual_mov_b32 v17, v9 :: v_dual_mov_b32 v16, v8
.LBB285_2321:                           ;   in Loop: Header=BB285_1567 Depth=1
	s_or_b32 exec_lo, exec_lo, s15
.LBB285_2322:                           ;   in Loop: Header=BB285_1567 Depth=1
	s_delay_alu instid0(SALU_CYCLE_1)
	s_or_b32 exec_lo, exec_lo, s13
.LBB285_2323:                           ;   in Loop: Header=BB285_1567 Depth=1
	s_delay_alu instid0(SALU_CYCLE_1) | instskip(SKIP_2) | instid1(VALU_DEP_1)
	s_or_b32 exec_lo, exec_lo, s8
	v_lshrrev_b16 v7, 8, v6
	s_mov_b32 s13, exec_lo
	v_cmpx_ne_u16_e32 0, v7
	s_cbranch_execz .LBB285_2331
; %bb.2324:                             ;   in Loop: Header=BB285_1567 Depth=1
	v_dual_mov_b32 v15, s3 :: v_dual_mov_b32 v14, s2
	s_mov_b32 s15, exec_lo
	v_cmpx_ne_u16_e32 0x80, v7
	s_cbranch_execz .LBB285_2330
; %bb.2325:                             ;   in Loop: Header=BB285_1567 Depth=1
	s_mov_b32 s8, s2
	v_and_b32_e32 v7, 0xffff, v7
	v_dual_mov_b32 v15, s9 :: v_dual_mov_b32 v14, s8
	s_mov_b32 s8, exec_lo
	s_delay_alu instid0(VALU_DEP_2) | instskip(NEXT) | instid1(VALU_DEP_1)
	v_and_b32_e32 v18, 0x7f, v7
	v_cmpx_ne_u32_e32 0x7f, v18
	s_cbranch_execz .LBB285_2329
; %bb.2326:                             ;   in Loop: Header=BB285_1567 Depth=1
	v_and_b32_e32 v8, 7, v7
	v_lshrrev_b32_e32 v7, 3, v18
	s_mov_b32 s17, exec_lo
	v_cmpx_gt_u32_e32 8, v18
; %bb.2327:                             ;   in Loop: Header=BB285_1567 Depth=1
	s_delay_alu instid0(VALU_DEP_3) | instskip(NEXT) | instid1(VALU_DEP_1)
	v_clz_i32_u32_e32 v7, v8
	v_min_u32_e32 v7, 32, v7
	s_delay_alu instid0(VALU_DEP_1) | instskip(SKIP_1) | instid1(VALU_DEP_2)
	v_subrev_nc_u32_e32 v14, 28, v7
	v_sub_nc_u32_e32 v7, 29, v7
	v_lshlrev_b64 v[14:15], v14, v[8:9]
	s_delay_alu instid0(VALU_DEP_1)
	v_and_b32_e32 v8, 7, v14
; %bb.2328:                             ;   in Loop: Header=BB285_1567 Depth=1
	s_or_b32 exec_lo, exec_lo, s17
	v_lshlrev_b32_e32 v14, 16, v6
	s_delay_alu instid0(VALU_DEP_2) | instskip(SKIP_1) | instid1(VALU_DEP_3)
	v_lshlrev_b32_e32 v8, 20, v8
	v_lshl_add_u32 v7, v7, 23, 0x3c000000
	v_and_b32_e32 v14, 0x80000000, v14
	s_delay_alu instid0(VALU_DEP_1)
	v_or3_b32 v15, v8, v14, v7
	v_mov_b32_e32 v14, v9
.LBB285_2329:                           ;   in Loop: Header=BB285_1567 Depth=1
	s_or_b32 exec_lo, exec_lo, s8
.LBB285_2330:                           ;   in Loop: Header=BB285_1567 Depth=1
	s_delay_alu instid0(SALU_CYCLE_1)
	s_or_b32 exec_lo, exec_lo, s15
.LBB285_2331:                           ;   in Loop: Header=BB285_1567 Depth=1
	s_delay_alu instid0(SALU_CYCLE_1) | instskip(SKIP_4) | instid1(VALU_DEP_1)
	s_or_b32 exec_lo, exec_lo, s13
	v_mov_b32_e32 v18, 0
	v_lshrrev_b32_e32 v7, 16, v6
	v_mov_b32_e32 v19, 0
	s_mov_b32 s8, exec_lo
	v_dual_mov_b32 v21, v19 :: v_dual_and_b32 v8, 0xff, v7
	v_mov_b32_e32 v20, v18
	s_delay_alu instid0(VALU_DEP_2)
	v_cmpx_ne_u16_e32 0, v8
	s_cbranch_execz .LBB285_2339
; %bb.2332:                             ;   in Loop: Header=BB285_1567 Depth=1
	v_bfrev_b32_e32 v20, 1
	v_mov_b32_e32 v21, 0
	s_mov_b32 s13, exec_lo
	v_cmpx_ne_u16_e32 0x80, v8
	s_cbranch_execz .LBB285_2338
; %bb.2333:                             ;   in Loop: Header=BB285_1567 Depth=1
	v_mov_b32_e32 v20, 0x7f800001
	v_bfe_u32 v22, v6, 16, 7
	v_mov_b32_e32 v21, 0
	s_mov_b32 s15, exec_lo
	s_delay_alu instid0(VALU_DEP_2)
	v_cmpx_ne_u32_e32 0x7f, v22
	s_cbranch_execz .LBB285_2337
; %bb.2334:                             ;   in Loop: Header=BB285_1567 Depth=1
	v_and_b32_e32 v8, 7, v7
	v_lshrrev_b32_e32 v20, 3, v22
	s_mov_b32 s17, exec_lo
	v_cmpx_gt_u32_e32 8, v22
; %bb.2335:                             ;   in Loop: Header=BB285_1567 Depth=1
	s_delay_alu instid0(VALU_DEP_3) | instskip(NEXT) | instid1(VALU_DEP_1)
	v_clz_i32_u32_e32 v20, v8
	v_min_u32_e32 v20, 32, v20
	s_delay_alu instid0(VALU_DEP_1) | instskip(SKIP_1) | instid1(VALU_DEP_2)
	v_subrev_nc_u32_e32 v21, 28, v20
	v_sub_nc_u32_e32 v20, 29, v20
	v_lshlrev_b64 v[21:22], v21, v[8:9]
	s_delay_alu instid0(VALU_DEP_1)
	v_and_b32_e32 v8, 7, v21
; %bb.2336:                             ;   in Loop: Header=BB285_1567 Depth=1
	s_or_b32 exec_lo, exec_lo, s17
	v_lshlrev_b32_e32 v7, 24, v7
	s_delay_alu instid0(VALU_DEP_2) | instskip(SKIP_1) | instid1(VALU_DEP_3)
	v_lshlrev_b32_e32 v8, 20, v8
	v_lshl_add_u32 v20, v20, 23, 0x3c000000
	v_and_b32_e32 v7, 0x80000000, v7
	s_delay_alu instid0(VALU_DEP_1) | instskip(NEXT) | instid1(VALU_DEP_1)
	v_or3_b32 v8, v8, v7, v20
	v_dual_mov_b32 v21, v9 :: v_dual_mov_b32 v20, v8
.LBB285_2337:                           ;   in Loop: Header=BB285_1567 Depth=1
	s_or_b32 exec_lo, exec_lo, s15
.LBB285_2338:                           ;   in Loop: Header=BB285_1567 Depth=1
	s_delay_alu instid0(SALU_CYCLE_1)
	s_or_b32 exec_lo, exec_lo, s13
.LBB285_2339:                           ;   in Loop: Header=BB285_1567 Depth=1
	s_delay_alu instid0(SALU_CYCLE_1) | instskip(NEXT) | instid1(SALU_CYCLE_1)
	s_or_b32 exec_lo, exec_lo, s8
	s_mov_b32 s13, exec_lo
	v_cmpx_lt_u32_e32 0xffffff, v6
	s_cbranch_execz .LBB285_2347
; %bb.2340:                             ;   in Loop: Header=BB285_1567 Depth=1
	v_lshrrev_b32_e32 v7, 24, v6
	v_dual_mov_b32 v19, s3 :: v_dual_mov_b32 v18, s2
	s_mov_b32 s15, exec_lo
	s_delay_alu instid0(VALU_DEP_2)
	v_cmpx_ne_u32_e32 0x80, v7
	s_cbranch_execz .LBB285_2346
; %bb.2341:                             ;   in Loop: Header=BB285_1567 Depth=1
	s_mov_b32 s8, s2
	v_bfe_u32 v22, v6, 24, 7
	v_dual_mov_b32 v19, s9 :: v_dual_mov_b32 v18, s8
	s_mov_b32 s8, exec_lo
	s_delay_alu instid0(VALU_DEP_2)
	v_cmpx_ne_u32_e32 0x7f, v22
	s_cbranch_execz .LBB285_2345
; %bb.2342:                             ;   in Loop: Header=BB285_1567 Depth=1
	v_and_b32_e32 v8, 7, v7
	v_lshrrev_b32_e32 v6, 3, v22
	s_mov_b32 s17, exec_lo
	v_cmpx_gt_u32_e32 8, v22
; %bb.2343:                             ;   in Loop: Header=BB285_1567 Depth=1
	s_delay_alu instid0(VALU_DEP_3) | instskip(NEXT) | instid1(VALU_DEP_1)
	v_clz_i32_u32_e32 v6, v8
	v_min_u32_e32 v6, 32, v6
	s_delay_alu instid0(VALU_DEP_1) | instskip(SKIP_1) | instid1(VALU_DEP_2)
	v_subrev_nc_u32_e32 v18, 28, v6
	v_sub_nc_u32_e32 v6, 29, v6
	v_lshlrev_b64 v[18:19], v18, v[8:9]
	s_delay_alu instid0(VALU_DEP_1)
	v_and_b32_e32 v8, 7, v18
; %bb.2344:                             ;   in Loop: Header=BB285_1567 Depth=1
	s_or_b32 exec_lo, exec_lo, s17
	v_dual_mov_b32 v18, v9 :: v_dual_lshlrev_b32 v7, 24, v7
	s_delay_alu instid0(VALU_DEP_2) | instskip(SKIP_1) | instid1(VALU_DEP_3)
	v_lshlrev_b32_e32 v8, 20, v8
	v_lshl_add_u32 v6, v6, 23, 0x3c000000
	v_and_b32_e32 v7, 0x80000000, v7
	s_delay_alu instid0(VALU_DEP_1)
	v_or3_b32 v19, v8, v7, v6
.LBB285_2345:                           ;   in Loop: Header=BB285_1567 Depth=1
	s_or_b32 exec_lo, exec_lo, s8
.LBB285_2346:                           ;   in Loop: Header=BB285_1567 Depth=1
	s_delay_alu instid0(SALU_CYCLE_1)
	s_or_b32 exec_lo, exec_lo, s15
.LBB285_2347:                           ;   in Loop: Header=BB285_1567 Depth=1
	s_delay_alu instid0(SALU_CYCLE_1) | instskip(SKIP_4) | instid1(VALU_DEP_3)
	s_or_b32 exec_lo, exec_lo, s13
	v_or_b32_e32 v6, v15, v17
	v_or_b32_e32 v7, v14, v16
	;; [unrolled: 1-line block ×4, first 2 shown]
	v_dual_mul_f32 v191, v161, v6 :: v_dual_mul_f32 v190, v115, v7
	s_delay_alu instid0(VALU_DEP_3) | instskip(NEXT) | instid1(VALU_DEP_3)
	v_mul_f32_e32 v189, v161, v8
	v_mul_f32_e32 v25, v115, v14
	s_and_saveexec_b32 s8, vcc_lo
; %bb.2348:                             ;   in Loop: Header=BB285_1567 Depth=1
	v_cmp_lt_i32_e64 s0, v182, v55
	s_delay_alu instid0(VALU_DEP_1) | instskip(SKIP_1) | instid1(VALU_DEP_1)
	v_cndmask_b32_e64 v190, 0, v190, s0
	v_cmp_lt_i32_e64 s0, v40, v55
	v_cndmask_b32_e64 v191, 0, v191, s0
	v_cmp_lt_i32_e64 s0, v183, v55
	s_delay_alu instid0(VALU_DEP_1) | instskip(SKIP_1) | instid1(VALU_DEP_1)
	v_cndmask_b32_e64 v25, 0, v25, s0
	v_cmp_lt_i32_e64 s0, v151, v55
	v_cndmask_b32_e64 v189, 0, v189, s0
; %bb.2349:                             ;   in Loop: Header=BB285_1567 Depth=1
	s_or_b32 exec_lo, exec_lo, s8
	flat_load_b32 v6, v[4:5] offset:2944
	v_mov_b32_e32 v14, 0
	v_mov_b32_e32 v15, 0
	s_mov_b32 s8, exec_lo
	s_delay_alu instid0(VALU_DEP_1) | instskip(SKIP_2) | instid1(VALU_DEP_1)
	v_dual_mov_b32 v17, v15 :: v_dual_mov_b32 v16, v14
	s_waitcnt vmcnt(0) lgkmcnt(0)
	v_and_b32_e32 v7, 0xff, v6
	v_cmpx_ne_u16_e32 0, v7
	s_cbranch_execz .LBB285_2357
; %bb.2350:                             ;   in Loop: Header=BB285_1567 Depth=1
	v_bfrev_b32_e32 v16, 1
	v_mov_b32_e32 v17, 0
	s_mov_b32 s13, exec_lo
	v_cmpx_ne_u16_e32 0x80, v7
	s_cbranch_execz .LBB285_2356
; %bb.2351:                             ;   in Loop: Header=BB285_1567 Depth=1
	v_mov_b32_e32 v16, 0x7f800001
	v_dual_mov_b32 v17, 0 :: v_dual_and_b32 v18, 0x7f, v6
	s_mov_b32 s15, exec_lo
	s_delay_alu instid0(VALU_DEP_1)
	v_cmpx_ne_u32_e32 0x7f, v18
	s_cbranch_execz .LBB285_2355
; %bb.2352:                             ;   in Loop: Header=BB285_1567 Depth=1
	v_and_b32_e32 v8, 7, v6
	v_lshrrev_b32_e32 v7, 3, v18
	s_mov_b32 s17, exec_lo
	v_cmpx_gt_u32_e32 8, v18
; %bb.2353:                             ;   in Loop: Header=BB285_1567 Depth=1
	s_delay_alu instid0(VALU_DEP_3) | instskip(NEXT) | instid1(VALU_DEP_1)
	v_clz_i32_u32_e32 v7, v8
	v_min_u32_e32 v7, 32, v7
	s_delay_alu instid0(VALU_DEP_1) | instskip(SKIP_1) | instid1(VALU_DEP_2)
	v_subrev_nc_u32_e32 v16, 28, v7
	v_sub_nc_u32_e32 v7, 29, v7
	v_lshlrev_b64 v[16:17], v16, v[8:9]
	s_delay_alu instid0(VALU_DEP_1)
	v_and_b32_e32 v8, 7, v16
; %bb.2354:                             ;   in Loop: Header=BB285_1567 Depth=1
	s_or_b32 exec_lo, exec_lo, s17
	v_lshlrev_b32_e32 v16, 24, v6
	s_delay_alu instid0(VALU_DEP_2) | instskip(SKIP_1) | instid1(VALU_DEP_3)
	v_lshlrev_b32_e32 v8, 20, v8
	v_lshl_add_u32 v7, v7, 23, 0x3c000000
	v_and_b32_e32 v16, 0x80000000, v16
	s_delay_alu instid0(VALU_DEP_1) | instskip(NEXT) | instid1(VALU_DEP_1)
	v_or3_b32 v8, v8, v16, v7
	v_dual_mov_b32 v17, v9 :: v_dual_mov_b32 v16, v8
.LBB285_2355:                           ;   in Loop: Header=BB285_1567 Depth=1
	s_or_b32 exec_lo, exec_lo, s15
.LBB285_2356:                           ;   in Loop: Header=BB285_1567 Depth=1
	s_delay_alu instid0(SALU_CYCLE_1)
	s_or_b32 exec_lo, exec_lo, s13
.LBB285_2357:                           ;   in Loop: Header=BB285_1567 Depth=1
	s_delay_alu instid0(SALU_CYCLE_1) | instskip(SKIP_2) | instid1(VALU_DEP_1)
	s_or_b32 exec_lo, exec_lo, s8
	v_lshrrev_b16 v7, 8, v6
	s_mov_b32 s13, exec_lo
	v_cmpx_ne_u16_e32 0, v7
	s_cbranch_execz .LBB285_2365
; %bb.2358:                             ;   in Loop: Header=BB285_1567 Depth=1
	v_dual_mov_b32 v15, s3 :: v_dual_mov_b32 v14, s2
	s_mov_b32 s15, exec_lo
	v_cmpx_ne_u16_e32 0x80, v7
	s_cbranch_execz .LBB285_2364
; %bb.2359:                             ;   in Loop: Header=BB285_1567 Depth=1
	s_mov_b32 s8, s2
	v_and_b32_e32 v7, 0xffff, v7
	v_dual_mov_b32 v15, s9 :: v_dual_mov_b32 v14, s8
	s_mov_b32 s8, exec_lo
	s_delay_alu instid0(VALU_DEP_2) | instskip(NEXT) | instid1(VALU_DEP_1)
	v_and_b32_e32 v18, 0x7f, v7
	v_cmpx_ne_u32_e32 0x7f, v18
	s_cbranch_execz .LBB285_2363
; %bb.2360:                             ;   in Loop: Header=BB285_1567 Depth=1
	v_and_b32_e32 v8, 7, v7
	v_lshrrev_b32_e32 v7, 3, v18
	s_mov_b32 s17, exec_lo
	v_cmpx_gt_u32_e32 8, v18
; %bb.2361:                             ;   in Loop: Header=BB285_1567 Depth=1
	s_delay_alu instid0(VALU_DEP_3) | instskip(NEXT) | instid1(VALU_DEP_1)
	v_clz_i32_u32_e32 v7, v8
	v_min_u32_e32 v7, 32, v7
	s_delay_alu instid0(VALU_DEP_1) | instskip(SKIP_1) | instid1(VALU_DEP_2)
	v_subrev_nc_u32_e32 v14, 28, v7
	v_sub_nc_u32_e32 v7, 29, v7
	v_lshlrev_b64 v[14:15], v14, v[8:9]
	s_delay_alu instid0(VALU_DEP_1)
	v_and_b32_e32 v8, 7, v14
; %bb.2362:                             ;   in Loop: Header=BB285_1567 Depth=1
	s_or_b32 exec_lo, exec_lo, s17
	v_lshlrev_b32_e32 v14, 16, v6
	s_delay_alu instid0(VALU_DEP_2) | instskip(SKIP_1) | instid1(VALU_DEP_3)
	v_lshlrev_b32_e32 v8, 20, v8
	v_lshl_add_u32 v7, v7, 23, 0x3c000000
	v_and_b32_e32 v14, 0x80000000, v14
	s_delay_alu instid0(VALU_DEP_1)
	v_or3_b32 v15, v8, v14, v7
	v_mov_b32_e32 v14, v9
.LBB285_2363:                           ;   in Loop: Header=BB285_1567 Depth=1
	s_or_b32 exec_lo, exec_lo, s8
.LBB285_2364:                           ;   in Loop: Header=BB285_1567 Depth=1
	s_delay_alu instid0(SALU_CYCLE_1)
	s_or_b32 exec_lo, exec_lo, s15
.LBB285_2365:                           ;   in Loop: Header=BB285_1567 Depth=1
	s_delay_alu instid0(SALU_CYCLE_1) | instskip(SKIP_4) | instid1(VALU_DEP_1)
	s_or_b32 exec_lo, exec_lo, s13
	v_mov_b32_e32 v18, 0
	v_lshrrev_b32_e32 v7, 16, v6
	v_mov_b32_e32 v19, 0
	s_mov_b32 s8, exec_lo
	v_dual_mov_b32 v21, v19 :: v_dual_and_b32 v8, 0xff, v7
	v_mov_b32_e32 v20, v18
	s_delay_alu instid0(VALU_DEP_2)
	v_cmpx_ne_u16_e32 0, v8
	s_cbranch_execz .LBB285_2373
; %bb.2366:                             ;   in Loop: Header=BB285_1567 Depth=1
	v_bfrev_b32_e32 v20, 1
	v_mov_b32_e32 v21, 0
	s_mov_b32 s13, exec_lo
	v_cmpx_ne_u16_e32 0x80, v8
	s_cbranch_execz .LBB285_2372
; %bb.2367:                             ;   in Loop: Header=BB285_1567 Depth=1
	v_mov_b32_e32 v20, 0x7f800001
	v_bfe_u32 v22, v6, 16, 7
	v_mov_b32_e32 v21, 0
	s_mov_b32 s15, exec_lo
	s_delay_alu instid0(VALU_DEP_2)
	v_cmpx_ne_u32_e32 0x7f, v22
	s_cbranch_execz .LBB285_2371
; %bb.2368:                             ;   in Loop: Header=BB285_1567 Depth=1
	v_and_b32_e32 v8, 7, v7
	v_lshrrev_b32_e32 v20, 3, v22
	s_mov_b32 s17, exec_lo
	v_cmpx_gt_u32_e32 8, v22
; %bb.2369:                             ;   in Loop: Header=BB285_1567 Depth=1
	s_delay_alu instid0(VALU_DEP_3) | instskip(NEXT) | instid1(VALU_DEP_1)
	v_clz_i32_u32_e32 v20, v8
	v_min_u32_e32 v20, 32, v20
	s_delay_alu instid0(VALU_DEP_1) | instskip(SKIP_1) | instid1(VALU_DEP_2)
	v_subrev_nc_u32_e32 v21, 28, v20
	v_sub_nc_u32_e32 v20, 29, v20
	v_lshlrev_b64 v[21:22], v21, v[8:9]
	s_delay_alu instid0(VALU_DEP_1)
	v_and_b32_e32 v8, 7, v21
; %bb.2370:                             ;   in Loop: Header=BB285_1567 Depth=1
	s_or_b32 exec_lo, exec_lo, s17
	v_lshlrev_b32_e32 v7, 24, v7
	s_delay_alu instid0(VALU_DEP_2) | instskip(SKIP_1) | instid1(VALU_DEP_3)
	v_lshlrev_b32_e32 v8, 20, v8
	v_lshl_add_u32 v20, v20, 23, 0x3c000000
	v_and_b32_e32 v7, 0x80000000, v7
	s_delay_alu instid0(VALU_DEP_1) | instskip(NEXT) | instid1(VALU_DEP_1)
	v_or3_b32 v8, v8, v7, v20
	v_dual_mov_b32 v21, v9 :: v_dual_mov_b32 v20, v8
.LBB285_2371:                           ;   in Loop: Header=BB285_1567 Depth=1
	s_or_b32 exec_lo, exec_lo, s15
.LBB285_2372:                           ;   in Loop: Header=BB285_1567 Depth=1
	s_delay_alu instid0(SALU_CYCLE_1)
	s_or_b32 exec_lo, exec_lo, s13
.LBB285_2373:                           ;   in Loop: Header=BB285_1567 Depth=1
	s_delay_alu instid0(SALU_CYCLE_1) | instskip(NEXT) | instid1(SALU_CYCLE_1)
	s_or_b32 exec_lo, exec_lo, s8
	s_mov_b32 s13, exec_lo
	v_cmpx_lt_u32_e32 0xffffff, v6
	s_cbranch_execz .LBB285_2381
; %bb.2374:                             ;   in Loop: Header=BB285_1567 Depth=1
	v_lshrrev_b32_e32 v7, 24, v6
	v_dual_mov_b32 v19, s3 :: v_dual_mov_b32 v18, s2
	s_mov_b32 s15, exec_lo
	s_delay_alu instid0(VALU_DEP_2)
	v_cmpx_ne_u32_e32 0x80, v7
	s_cbranch_execz .LBB285_2380
; %bb.2375:                             ;   in Loop: Header=BB285_1567 Depth=1
	s_mov_b32 s8, s2
	v_bfe_u32 v22, v6, 24, 7
	v_dual_mov_b32 v19, s9 :: v_dual_mov_b32 v18, s8
	s_mov_b32 s8, exec_lo
	s_delay_alu instid0(VALU_DEP_2)
	v_cmpx_ne_u32_e32 0x7f, v22
	s_cbranch_execz .LBB285_2379
; %bb.2376:                             ;   in Loop: Header=BB285_1567 Depth=1
	v_and_b32_e32 v8, 7, v7
	v_lshrrev_b32_e32 v6, 3, v22
	s_mov_b32 s17, exec_lo
	v_cmpx_gt_u32_e32 8, v22
; %bb.2377:                             ;   in Loop: Header=BB285_1567 Depth=1
	s_delay_alu instid0(VALU_DEP_3) | instskip(NEXT) | instid1(VALU_DEP_1)
	v_clz_i32_u32_e32 v6, v8
	v_min_u32_e32 v6, 32, v6
	s_delay_alu instid0(VALU_DEP_1) | instskip(SKIP_1) | instid1(VALU_DEP_2)
	v_subrev_nc_u32_e32 v18, 28, v6
	v_sub_nc_u32_e32 v6, 29, v6
	v_lshlrev_b64 v[18:19], v18, v[8:9]
	s_delay_alu instid0(VALU_DEP_1)
	v_and_b32_e32 v8, 7, v18
; %bb.2378:                             ;   in Loop: Header=BB285_1567 Depth=1
	s_or_b32 exec_lo, exec_lo, s17
	v_dual_mov_b32 v18, v9 :: v_dual_lshlrev_b32 v7, 24, v7
	s_delay_alu instid0(VALU_DEP_2) | instskip(SKIP_1) | instid1(VALU_DEP_3)
	v_lshlrev_b32_e32 v8, 20, v8
	v_lshl_add_u32 v6, v6, 23, 0x3c000000
	v_and_b32_e32 v7, 0x80000000, v7
	s_delay_alu instid0(VALU_DEP_1)
	v_or3_b32 v19, v8, v7, v6
.LBB285_2379:                           ;   in Loop: Header=BB285_1567 Depth=1
	s_or_b32 exec_lo, exec_lo, s8
.LBB285_2380:                           ;   in Loop: Header=BB285_1567 Depth=1
	s_delay_alu instid0(SALU_CYCLE_1)
	s_or_b32 exec_lo, exec_lo, s15
.LBB285_2381:                           ;   in Loop: Header=BB285_1567 Depth=1
	s_delay_alu instid0(SALU_CYCLE_1) | instskip(SKIP_4) | instid1(VALU_DEP_3)
	s_or_b32 exec_lo, exec_lo, s13
	v_or_b32_e32 v6, v15, v17
	v_or_b32_e32 v7, v14, v16
	;; [unrolled: 1-line block ×4, first 2 shown]
	v_dual_mul_f32 v128, v161, v6 :: v_dual_mul_f32 v119, v115, v7
	s_delay_alu instid0(VALU_DEP_3) | instskip(NEXT) | instid1(VALU_DEP_3)
	v_mul_f32_e32 v116, v161, v8
	v_mul_f32_e32 v118, v115, v14
	s_and_saveexec_b32 s8, vcc_lo
; %bb.2382:                             ;   in Loop: Header=BB285_1567 Depth=1
	v_cmp_lt_i32_e64 s0, v182, v55
	s_delay_alu instid0(VALU_DEP_1) | instskip(SKIP_1) | instid1(VALU_DEP_1)
	v_cndmask_b32_e64 v119, 0, v119, s0
	v_cmp_lt_i32_e64 s0, v40, v55
	v_cndmask_b32_e64 v128, 0, v128, s0
	v_cmp_lt_i32_e64 s0, v183, v55
	s_delay_alu instid0(VALU_DEP_1) | instskip(SKIP_1) | instid1(VALU_DEP_1)
	v_cndmask_b32_e64 v118, 0, v118, s0
	v_cmp_lt_i32_e64 s0, v151, v55
	v_cndmask_b32_e64 v116, 0, v116, s0
; %bb.2383:                             ;   in Loop: Header=BB285_1567 Depth=1
	s_or_b32 exec_lo, exec_lo, s8
	flat_load_b32 v6, v[4:5] offset:3072
	v_mov_b32_e32 v14, 0
	v_mov_b32_e32 v15, 0
	s_mov_b32 s8, exec_lo
	s_delay_alu instid0(VALU_DEP_1) | instskip(SKIP_2) | instid1(VALU_DEP_1)
	v_dual_mov_b32 v17, v15 :: v_dual_mov_b32 v16, v14
	s_waitcnt vmcnt(0) lgkmcnt(0)
	v_and_b32_e32 v7, 0xff, v6
	v_cmpx_ne_u16_e32 0, v7
	s_cbranch_execz .LBB285_2391
; %bb.2384:                             ;   in Loop: Header=BB285_1567 Depth=1
	v_bfrev_b32_e32 v16, 1
	v_mov_b32_e32 v17, 0
	s_mov_b32 s13, exec_lo
	v_cmpx_ne_u16_e32 0x80, v7
	s_cbranch_execz .LBB285_2390
; %bb.2385:                             ;   in Loop: Header=BB285_1567 Depth=1
	v_mov_b32_e32 v16, 0x7f800001
	v_dual_mov_b32 v17, 0 :: v_dual_and_b32 v18, 0x7f, v6
	s_mov_b32 s15, exec_lo
	s_delay_alu instid0(VALU_DEP_1)
	v_cmpx_ne_u32_e32 0x7f, v18
	s_cbranch_execz .LBB285_2389
; %bb.2386:                             ;   in Loop: Header=BB285_1567 Depth=1
	v_and_b32_e32 v8, 7, v6
	v_lshrrev_b32_e32 v7, 3, v18
	s_mov_b32 s17, exec_lo
	v_cmpx_gt_u32_e32 8, v18
; %bb.2387:                             ;   in Loop: Header=BB285_1567 Depth=1
	s_delay_alu instid0(VALU_DEP_3) | instskip(NEXT) | instid1(VALU_DEP_1)
	v_clz_i32_u32_e32 v7, v8
	v_min_u32_e32 v7, 32, v7
	s_delay_alu instid0(VALU_DEP_1) | instskip(SKIP_1) | instid1(VALU_DEP_2)
	v_subrev_nc_u32_e32 v16, 28, v7
	v_sub_nc_u32_e32 v7, 29, v7
	v_lshlrev_b64 v[16:17], v16, v[8:9]
	s_delay_alu instid0(VALU_DEP_1)
	v_and_b32_e32 v8, 7, v16
; %bb.2388:                             ;   in Loop: Header=BB285_1567 Depth=1
	s_or_b32 exec_lo, exec_lo, s17
	v_lshlrev_b32_e32 v16, 24, v6
	s_delay_alu instid0(VALU_DEP_2) | instskip(SKIP_1) | instid1(VALU_DEP_3)
	v_lshlrev_b32_e32 v8, 20, v8
	v_lshl_add_u32 v7, v7, 23, 0x3c000000
	v_and_b32_e32 v16, 0x80000000, v16
	s_delay_alu instid0(VALU_DEP_1) | instskip(NEXT) | instid1(VALU_DEP_1)
	v_or3_b32 v8, v8, v16, v7
	v_dual_mov_b32 v17, v9 :: v_dual_mov_b32 v16, v8
.LBB285_2389:                           ;   in Loop: Header=BB285_1567 Depth=1
	s_or_b32 exec_lo, exec_lo, s15
.LBB285_2390:                           ;   in Loop: Header=BB285_1567 Depth=1
	s_delay_alu instid0(SALU_CYCLE_1)
	s_or_b32 exec_lo, exec_lo, s13
.LBB285_2391:                           ;   in Loop: Header=BB285_1567 Depth=1
	s_delay_alu instid0(SALU_CYCLE_1) | instskip(SKIP_2) | instid1(VALU_DEP_1)
	s_or_b32 exec_lo, exec_lo, s8
	v_lshrrev_b16 v7, 8, v6
	s_mov_b32 s13, exec_lo
	v_cmpx_ne_u16_e32 0, v7
	s_cbranch_execz .LBB285_2399
; %bb.2392:                             ;   in Loop: Header=BB285_1567 Depth=1
	v_dual_mov_b32 v15, s3 :: v_dual_mov_b32 v14, s2
	s_mov_b32 s15, exec_lo
	v_cmpx_ne_u16_e32 0x80, v7
	s_cbranch_execz .LBB285_2398
; %bb.2393:                             ;   in Loop: Header=BB285_1567 Depth=1
	s_mov_b32 s8, s2
	v_and_b32_e32 v7, 0xffff, v7
	v_dual_mov_b32 v15, s9 :: v_dual_mov_b32 v14, s8
	s_mov_b32 s8, exec_lo
	s_delay_alu instid0(VALU_DEP_2) | instskip(NEXT) | instid1(VALU_DEP_1)
	v_and_b32_e32 v18, 0x7f, v7
	v_cmpx_ne_u32_e32 0x7f, v18
	s_cbranch_execz .LBB285_2397
; %bb.2394:                             ;   in Loop: Header=BB285_1567 Depth=1
	v_and_b32_e32 v8, 7, v7
	v_lshrrev_b32_e32 v7, 3, v18
	s_mov_b32 s17, exec_lo
	v_cmpx_gt_u32_e32 8, v18
; %bb.2395:                             ;   in Loop: Header=BB285_1567 Depth=1
	s_delay_alu instid0(VALU_DEP_3) | instskip(NEXT) | instid1(VALU_DEP_1)
	v_clz_i32_u32_e32 v7, v8
	v_min_u32_e32 v7, 32, v7
	s_delay_alu instid0(VALU_DEP_1) | instskip(SKIP_1) | instid1(VALU_DEP_2)
	v_subrev_nc_u32_e32 v14, 28, v7
	v_sub_nc_u32_e32 v7, 29, v7
	v_lshlrev_b64 v[14:15], v14, v[8:9]
	s_delay_alu instid0(VALU_DEP_1)
	v_and_b32_e32 v8, 7, v14
; %bb.2396:                             ;   in Loop: Header=BB285_1567 Depth=1
	s_or_b32 exec_lo, exec_lo, s17
	v_lshlrev_b32_e32 v14, 16, v6
	s_delay_alu instid0(VALU_DEP_2) | instskip(SKIP_1) | instid1(VALU_DEP_3)
	v_lshlrev_b32_e32 v8, 20, v8
	v_lshl_add_u32 v7, v7, 23, 0x3c000000
	v_and_b32_e32 v14, 0x80000000, v14
	s_delay_alu instid0(VALU_DEP_1)
	v_or3_b32 v15, v8, v14, v7
	v_mov_b32_e32 v14, v9
.LBB285_2397:                           ;   in Loop: Header=BB285_1567 Depth=1
	s_or_b32 exec_lo, exec_lo, s8
.LBB285_2398:                           ;   in Loop: Header=BB285_1567 Depth=1
	s_delay_alu instid0(SALU_CYCLE_1)
	s_or_b32 exec_lo, exec_lo, s15
.LBB285_2399:                           ;   in Loop: Header=BB285_1567 Depth=1
	s_delay_alu instid0(SALU_CYCLE_1) | instskip(SKIP_4) | instid1(VALU_DEP_1)
	s_or_b32 exec_lo, exec_lo, s13
	v_mov_b32_e32 v18, 0
	v_lshrrev_b32_e32 v7, 16, v6
	v_mov_b32_e32 v19, 0
	s_mov_b32 s8, exec_lo
	v_dual_mov_b32 v21, v19 :: v_dual_and_b32 v8, 0xff, v7
	v_mov_b32_e32 v20, v18
	s_delay_alu instid0(VALU_DEP_2)
	v_cmpx_ne_u16_e32 0, v8
	s_cbranch_execz .LBB285_2407
; %bb.2400:                             ;   in Loop: Header=BB285_1567 Depth=1
	v_bfrev_b32_e32 v20, 1
	v_mov_b32_e32 v21, 0
	s_mov_b32 s13, exec_lo
	v_cmpx_ne_u16_e32 0x80, v8
	s_cbranch_execz .LBB285_2406
; %bb.2401:                             ;   in Loop: Header=BB285_1567 Depth=1
	v_mov_b32_e32 v20, 0x7f800001
	v_bfe_u32 v22, v6, 16, 7
	v_mov_b32_e32 v21, 0
	s_mov_b32 s15, exec_lo
	s_delay_alu instid0(VALU_DEP_2)
	v_cmpx_ne_u32_e32 0x7f, v22
	s_cbranch_execz .LBB285_2405
; %bb.2402:                             ;   in Loop: Header=BB285_1567 Depth=1
	v_and_b32_e32 v8, 7, v7
	v_lshrrev_b32_e32 v20, 3, v22
	s_mov_b32 s17, exec_lo
	v_cmpx_gt_u32_e32 8, v22
; %bb.2403:                             ;   in Loop: Header=BB285_1567 Depth=1
	s_delay_alu instid0(VALU_DEP_3) | instskip(NEXT) | instid1(VALU_DEP_1)
	v_clz_i32_u32_e32 v20, v8
	v_min_u32_e32 v20, 32, v20
	s_delay_alu instid0(VALU_DEP_1) | instskip(SKIP_1) | instid1(VALU_DEP_2)
	v_subrev_nc_u32_e32 v21, 28, v20
	v_sub_nc_u32_e32 v20, 29, v20
	v_lshlrev_b64 v[21:22], v21, v[8:9]
	s_delay_alu instid0(VALU_DEP_1)
	v_and_b32_e32 v8, 7, v21
; %bb.2404:                             ;   in Loop: Header=BB285_1567 Depth=1
	s_or_b32 exec_lo, exec_lo, s17
	v_lshlrev_b32_e32 v7, 24, v7
	s_delay_alu instid0(VALU_DEP_2) | instskip(SKIP_1) | instid1(VALU_DEP_3)
	v_lshlrev_b32_e32 v8, 20, v8
	v_lshl_add_u32 v20, v20, 23, 0x3c000000
	v_and_b32_e32 v7, 0x80000000, v7
	s_delay_alu instid0(VALU_DEP_1) | instskip(NEXT) | instid1(VALU_DEP_1)
	v_or3_b32 v8, v8, v7, v20
	v_dual_mov_b32 v21, v9 :: v_dual_mov_b32 v20, v8
.LBB285_2405:                           ;   in Loop: Header=BB285_1567 Depth=1
	s_or_b32 exec_lo, exec_lo, s15
.LBB285_2406:                           ;   in Loop: Header=BB285_1567 Depth=1
	s_delay_alu instid0(SALU_CYCLE_1)
	s_or_b32 exec_lo, exec_lo, s13
.LBB285_2407:                           ;   in Loop: Header=BB285_1567 Depth=1
	s_delay_alu instid0(SALU_CYCLE_1) | instskip(NEXT) | instid1(SALU_CYCLE_1)
	s_or_b32 exec_lo, exec_lo, s8
	s_mov_b32 s13, exec_lo
	v_cmpx_lt_u32_e32 0xffffff, v6
	s_cbranch_execz .LBB285_2415
; %bb.2408:                             ;   in Loop: Header=BB285_1567 Depth=1
	v_lshrrev_b32_e32 v7, 24, v6
	v_dual_mov_b32 v19, s3 :: v_dual_mov_b32 v18, s2
	s_mov_b32 s15, exec_lo
	s_delay_alu instid0(VALU_DEP_2)
	v_cmpx_ne_u32_e32 0x80, v7
	s_cbranch_execz .LBB285_2414
; %bb.2409:                             ;   in Loop: Header=BB285_1567 Depth=1
	s_mov_b32 s8, s2
	v_bfe_u32 v22, v6, 24, 7
	v_dual_mov_b32 v19, s9 :: v_dual_mov_b32 v18, s8
	s_mov_b32 s8, exec_lo
	s_delay_alu instid0(VALU_DEP_2)
	v_cmpx_ne_u32_e32 0x7f, v22
	s_cbranch_execz .LBB285_2413
; %bb.2410:                             ;   in Loop: Header=BB285_1567 Depth=1
	v_and_b32_e32 v8, 7, v7
	v_lshrrev_b32_e32 v6, 3, v22
	s_mov_b32 s17, exec_lo
	v_cmpx_gt_u32_e32 8, v22
; %bb.2411:                             ;   in Loop: Header=BB285_1567 Depth=1
	s_delay_alu instid0(VALU_DEP_3) | instskip(NEXT) | instid1(VALU_DEP_1)
	v_clz_i32_u32_e32 v6, v8
	v_min_u32_e32 v6, 32, v6
	s_delay_alu instid0(VALU_DEP_1) | instskip(SKIP_1) | instid1(VALU_DEP_2)
	v_subrev_nc_u32_e32 v18, 28, v6
	v_sub_nc_u32_e32 v6, 29, v6
	v_lshlrev_b64 v[18:19], v18, v[8:9]
	s_delay_alu instid0(VALU_DEP_1)
	v_and_b32_e32 v8, 7, v18
; %bb.2412:                             ;   in Loop: Header=BB285_1567 Depth=1
	s_or_b32 exec_lo, exec_lo, s17
	v_dual_mov_b32 v18, v9 :: v_dual_lshlrev_b32 v7, 24, v7
	s_delay_alu instid0(VALU_DEP_2) | instskip(SKIP_1) | instid1(VALU_DEP_3)
	v_lshlrev_b32_e32 v8, 20, v8
	v_lshl_add_u32 v6, v6, 23, 0x3c000000
	v_and_b32_e32 v7, 0x80000000, v7
	s_delay_alu instid0(VALU_DEP_1)
	v_or3_b32 v19, v8, v7, v6
.LBB285_2413:                           ;   in Loop: Header=BB285_1567 Depth=1
	s_or_b32 exec_lo, exec_lo, s8
.LBB285_2414:                           ;   in Loop: Header=BB285_1567 Depth=1
	s_delay_alu instid0(SALU_CYCLE_1)
	s_or_b32 exec_lo, exec_lo, s15
.LBB285_2415:                           ;   in Loop: Header=BB285_1567 Depth=1
	s_delay_alu instid0(SALU_CYCLE_1) | instskip(SKIP_4) | instid1(VALU_DEP_3)
	s_or_b32 exec_lo, exec_lo, s13
	v_or_b32_e32 v6, v15, v17
	v_or_b32_e32 v7, v14, v16
	;; [unrolled: 1-line block ×4, first 2 shown]
	v_dual_mul_f32 v132, v161, v6 :: v_dual_mul_f32 v131, v115, v7
	s_delay_alu instid0(VALU_DEP_2)
	v_dual_mul_f32 v129, v161, v8 :: v_dual_mul_f32 v130, v115, v14
	s_and_saveexec_b32 s8, vcc_lo
; %bb.2416:                             ;   in Loop: Header=BB285_1567 Depth=1
	v_cmp_lt_i32_e64 s0, v182, v55
	s_delay_alu instid0(VALU_DEP_1) | instskip(SKIP_1) | instid1(VALU_DEP_1)
	v_cndmask_b32_e64 v131, 0, v131, s0
	v_cmp_lt_i32_e64 s0, v40, v55
	v_cndmask_b32_e64 v132, 0, v132, s0
	v_cmp_lt_i32_e64 s0, v183, v55
	s_delay_alu instid0(VALU_DEP_1) | instskip(SKIP_1) | instid1(VALU_DEP_1)
	v_cndmask_b32_e64 v130, 0, v130, s0
	v_cmp_lt_i32_e64 s0, v151, v55
	v_cndmask_b32_e64 v129, 0, v129, s0
; %bb.2417:                             ;   in Loop: Header=BB285_1567 Depth=1
	s_or_b32 exec_lo, exec_lo, s8
	flat_load_b32 v6, v[4:5] offset:3200
	v_mov_b32_e32 v14, 0
	v_mov_b32_e32 v15, 0
	s_mov_b32 s8, exec_lo
	s_delay_alu instid0(VALU_DEP_1) | instskip(SKIP_2) | instid1(VALU_DEP_1)
	v_dual_mov_b32 v17, v15 :: v_dual_mov_b32 v16, v14
	s_waitcnt vmcnt(0) lgkmcnt(0)
	v_and_b32_e32 v7, 0xff, v6
	v_cmpx_ne_u16_e32 0, v7
	s_cbranch_execz .LBB285_2425
; %bb.2418:                             ;   in Loop: Header=BB285_1567 Depth=1
	v_bfrev_b32_e32 v16, 1
	v_mov_b32_e32 v17, 0
	s_mov_b32 s13, exec_lo
	v_cmpx_ne_u16_e32 0x80, v7
	s_cbranch_execz .LBB285_2424
; %bb.2419:                             ;   in Loop: Header=BB285_1567 Depth=1
	v_mov_b32_e32 v16, 0x7f800001
	v_dual_mov_b32 v17, 0 :: v_dual_and_b32 v18, 0x7f, v6
	s_mov_b32 s15, exec_lo
	s_delay_alu instid0(VALU_DEP_1)
	v_cmpx_ne_u32_e32 0x7f, v18
	s_cbranch_execz .LBB285_2423
; %bb.2420:                             ;   in Loop: Header=BB285_1567 Depth=1
	v_and_b32_e32 v8, 7, v6
	v_lshrrev_b32_e32 v7, 3, v18
	s_mov_b32 s17, exec_lo
	v_cmpx_gt_u32_e32 8, v18
; %bb.2421:                             ;   in Loop: Header=BB285_1567 Depth=1
	s_delay_alu instid0(VALU_DEP_3) | instskip(NEXT) | instid1(VALU_DEP_1)
	v_clz_i32_u32_e32 v7, v8
	v_min_u32_e32 v7, 32, v7
	s_delay_alu instid0(VALU_DEP_1) | instskip(SKIP_1) | instid1(VALU_DEP_2)
	v_subrev_nc_u32_e32 v16, 28, v7
	v_sub_nc_u32_e32 v7, 29, v7
	v_lshlrev_b64 v[16:17], v16, v[8:9]
	s_delay_alu instid0(VALU_DEP_1)
	v_and_b32_e32 v8, 7, v16
; %bb.2422:                             ;   in Loop: Header=BB285_1567 Depth=1
	s_or_b32 exec_lo, exec_lo, s17
	v_lshlrev_b32_e32 v16, 24, v6
	s_delay_alu instid0(VALU_DEP_2) | instskip(SKIP_1) | instid1(VALU_DEP_3)
	v_lshlrev_b32_e32 v8, 20, v8
	v_lshl_add_u32 v7, v7, 23, 0x3c000000
	v_and_b32_e32 v16, 0x80000000, v16
	s_delay_alu instid0(VALU_DEP_1) | instskip(NEXT) | instid1(VALU_DEP_1)
	v_or3_b32 v8, v8, v16, v7
	v_dual_mov_b32 v17, v9 :: v_dual_mov_b32 v16, v8
.LBB285_2423:                           ;   in Loop: Header=BB285_1567 Depth=1
	s_or_b32 exec_lo, exec_lo, s15
.LBB285_2424:                           ;   in Loop: Header=BB285_1567 Depth=1
	s_delay_alu instid0(SALU_CYCLE_1)
	s_or_b32 exec_lo, exec_lo, s13
.LBB285_2425:                           ;   in Loop: Header=BB285_1567 Depth=1
	s_delay_alu instid0(SALU_CYCLE_1) | instskip(SKIP_2) | instid1(VALU_DEP_1)
	s_or_b32 exec_lo, exec_lo, s8
	v_lshrrev_b16 v7, 8, v6
	s_mov_b32 s13, exec_lo
	v_cmpx_ne_u16_e32 0, v7
	s_cbranch_execz .LBB285_2433
; %bb.2426:                             ;   in Loop: Header=BB285_1567 Depth=1
	v_dual_mov_b32 v15, s3 :: v_dual_mov_b32 v14, s2
	s_mov_b32 s15, exec_lo
	v_cmpx_ne_u16_e32 0x80, v7
	s_cbranch_execz .LBB285_2432
; %bb.2427:                             ;   in Loop: Header=BB285_1567 Depth=1
	s_mov_b32 s8, s2
	v_and_b32_e32 v7, 0xffff, v7
	v_dual_mov_b32 v15, s9 :: v_dual_mov_b32 v14, s8
	s_mov_b32 s8, exec_lo
	s_delay_alu instid0(VALU_DEP_2) | instskip(NEXT) | instid1(VALU_DEP_1)
	v_and_b32_e32 v18, 0x7f, v7
	v_cmpx_ne_u32_e32 0x7f, v18
	s_cbranch_execz .LBB285_2431
; %bb.2428:                             ;   in Loop: Header=BB285_1567 Depth=1
	v_and_b32_e32 v8, 7, v7
	v_lshrrev_b32_e32 v7, 3, v18
	s_mov_b32 s17, exec_lo
	v_cmpx_gt_u32_e32 8, v18
; %bb.2429:                             ;   in Loop: Header=BB285_1567 Depth=1
	s_delay_alu instid0(VALU_DEP_3) | instskip(NEXT) | instid1(VALU_DEP_1)
	v_clz_i32_u32_e32 v7, v8
	v_min_u32_e32 v7, 32, v7
	s_delay_alu instid0(VALU_DEP_1) | instskip(SKIP_1) | instid1(VALU_DEP_2)
	v_subrev_nc_u32_e32 v14, 28, v7
	v_sub_nc_u32_e32 v7, 29, v7
	v_lshlrev_b64 v[14:15], v14, v[8:9]
	s_delay_alu instid0(VALU_DEP_1)
	v_and_b32_e32 v8, 7, v14
; %bb.2430:                             ;   in Loop: Header=BB285_1567 Depth=1
	s_or_b32 exec_lo, exec_lo, s17
	v_lshlrev_b32_e32 v14, 16, v6
	s_delay_alu instid0(VALU_DEP_2) | instskip(SKIP_1) | instid1(VALU_DEP_3)
	v_lshlrev_b32_e32 v8, 20, v8
	v_lshl_add_u32 v7, v7, 23, 0x3c000000
	v_and_b32_e32 v14, 0x80000000, v14
	s_delay_alu instid0(VALU_DEP_1)
	v_or3_b32 v15, v8, v14, v7
	v_mov_b32_e32 v14, v9
.LBB285_2431:                           ;   in Loop: Header=BB285_1567 Depth=1
	s_or_b32 exec_lo, exec_lo, s8
.LBB285_2432:                           ;   in Loop: Header=BB285_1567 Depth=1
	s_delay_alu instid0(SALU_CYCLE_1)
	s_or_b32 exec_lo, exec_lo, s15
.LBB285_2433:                           ;   in Loop: Header=BB285_1567 Depth=1
	s_delay_alu instid0(SALU_CYCLE_1) | instskip(SKIP_4) | instid1(VALU_DEP_1)
	s_or_b32 exec_lo, exec_lo, s13
	v_mov_b32_e32 v18, 0
	v_lshrrev_b32_e32 v7, 16, v6
	v_mov_b32_e32 v19, 0
	s_mov_b32 s8, exec_lo
	v_dual_mov_b32 v21, v19 :: v_dual_and_b32 v8, 0xff, v7
	v_mov_b32_e32 v20, v18
	s_delay_alu instid0(VALU_DEP_2)
	v_cmpx_ne_u16_e32 0, v8
	s_cbranch_execz .LBB285_2441
; %bb.2434:                             ;   in Loop: Header=BB285_1567 Depth=1
	v_bfrev_b32_e32 v20, 1
	v_mov_b32_e32 v21, 0
	s_mov_b32 s13, exec_lo
	v_cmpx_ne_u16_e32 0x80, v8
	s_cbranch_execz .LBB285_2440
; %bb.2435:                             ;   in Loop: Header=BB285_1567 Depth=1
	v_mov_b32_e32 v20, 0x7f800001
	v_bfe_u32 v22, v6, 16, 7
	v_mov_b32_e32 v21, 0
	s_mov_b32 s15, exec_lo
	s_delay_alu instid0(VALU_DEP_2)
	v_cmpx_ne_u32_e32 0x7f, v22
	s_cbranch_execz .LBB285_2439
; %bb.2436:                             ;   in Loop: Header=BB285_1567 Depth=1
	v_and_b32_e32 v8, 7, v7
	v_lshrrev_b32_e32 v20, 3, v22
	s_mov_b32 s17, exec_lo
	v_cmpx_gt_u32_e32 8, v22
; %bb.2437:                             ;   in Loop: Header=BB285_1567 Depth=1
	s_delay_alu instid0(VALU_DEP_3) | instskip(NEXT) | instid1(VALU_DEP_1)
	v_clz_i32_u32_e32 v20, v8
	v_min_u32_e32 v20, 32, v20
	s_delay_alu instid0(VALU_DEP_1) | instskip(SKIP_1) | instid1(VALU_DEP_2)
	v_subrev_nc_u32_e32 v21, 28, v20
	v_sub_nc_u32_e32 v20, 29, v20
	v_lshlrev_b64 v[21:22], v21, v[8:9]
	s_delay_alu instid0(VALU_DEP_1)
	v_and_b32_e32 v8, 7, v21
; %bb.2438:                             ;   in Loop: Header=BB285_1567 Depth=1
	s_or_b32 exec_lo, exec_lo, s17
	v_lshlrev_b32_e32 v7, 24, v7
	s_delay_alu instid0(VALU_DEP_2) | instskip(SKIP_1) | instid1(VALU_DEP_3)
	v_lshlrev_b32_e32 v8, 20, v8
	v_lshl_add_u32 v20, v20, 23, 0x3c000000
	v_and_b32_e32 v7, 0x80000000, v7
	s_delay_alu instid0(VALU_DEP_1) | instskip(NEXT) | instid1(VALU_DEP_1)
	v_or3_b32 v8, v8, v7, v20
	v_dual_mov_b32 v21, v9 :: v_dual_mov_b32 v20, v8
.LBB285_2439:                           ;   in Loop: Header=BB285_1567 Depth=1
	s_or_b32 exec_lo, exec_lo, s15
.LBB285_2440:                           ;   in Loop: Header=BB285_1567 Depth=1
	s_delay_alu instid0(SALU_CYCLE_1)
	s_or_b32 exec_lo, exec_lo, s13
.LBB285_2441:                           ;   in Loop: Header=BB285_1567 Depth=1
	s_delay_alu instid0(SALU_CYCLE_1) | instskip(NEXT) | instid1(SALU_CYCLE_1)
	s_or_b32 exec_lo, exec_lo, s8
	s_mov_b32 s13, exec_lo
	v_cmpx_lt_u32_e32 0xffffff, v6
	s_cbranch_execz .LBB285_2449
; %bb.2442:                             ;   in Loop: Header=BB285_1567 Depth=1
	v_lshrrev_b32_e32 v7, 24, v6
	v_dual_mov_b32 v19, s3 :: v_dual_mov_b32 v18, s2
	s_mov_b32 s15, exec_lo
	s_delay_alu instid0(VALU_DEP_2)
	v_cmpx_ne_u32_e32 0x80, v7
	s_cbranch_execz .LBB285_2448
; %bb.2443:                             ;   in Loop: Header=BB285_1567 Depth=1
	s_mov_b32 s8, s2
	v_bfe_u32 v22, v6, 24, 7
	v_dual_mov_b32 v19, s9 :: v_dual_mov_b32 v18, s8
	s_mov_b32 s8, exec_lo
	s_delay_alu instid0(VALU_DEP_2)
	v_cmpx_ne_u32_e32 0x7f, v22
	s_cbranch_execz .LBB285_2447
; %bb.2444:                             ;   in Loop: Header=BB285_1567 Depth=1
	v_and_b32_e32 v8, 7, v7
	v_lshrrev_b32_e32 v6, 3, v22
	s_mov_b32 s17, exec_lo
	v_cmpx_gt_u32_e32 8, v22
; %bb.2445:                             ;   in Loop: Header=BB285_1567 Depth=1
	s_delay_alu instid0(VALU_DEP_3) | instskip(NEXT) | instid1(VALU_DEP_1)
	v_clz_i32_u32_e32 v6, v8
	v_min_u32_e32 v6, 32, v6
	s_delay_alu instid0(VALU_DEP_1) | instskip(SKIP_1) | instid1(VALU_DEP_2)
	v_subrev_nc_u32_e32 v18, 28, v6
	v_sub_nc_u32_e32 v6, 29, v6
	v_lshlrev_b64 v[18:19], v18, v[8:9]
	s_delay_alu instid0(VALU_DEP_1)
	v_and_b32_e32 v8, 7, v18
; %bb.2446:                             ;   in Loop: Header=BB285_1567 Depth=1
	s_or_b32 exec_lo, exec_lo, s17
	v_dual_mov_b32 v18, v9 :: v_dual_lshlrev_b32 v7, 24, v7
	s_delay_alu instid0(VALU_DEP_2) | instskip(SKIP_1) | instid1(VALU_DEP_3)
	v_lshlrev_b32_e32 v8, 20, v8
	v_lshl_add_u32 v6, v6, 23, 0x3c000000
	v_and_b32_e32 v7, 0x80000000, v7
	s_delay_alu instid0(VALU_DEP_1)
	v_or3_b32 v19, v8, v7, v6
.LBB285_2447:                           ;   in Loop: Header=BB285_1567 Depth=1
	s_or_b32 exec_lo, exec_lo, s8
.LBB285_2448:                           ;   in Loop: Header=BB285_1567 Depth=1
	s_delay_alu instid0(SALU_CYCLE_1)
	s_or_b32 exec_lo, exec_lo, s15
.LBB285_2449:                           ;   in Loop: Header=BB285_1567 Depth=1
	s_delay_alu instid0(SALU_CYCLE_1) | instskip(SKIP_4) | instid1(VALU_DEP_3)
	s_or_b32 exec_lo, exec_lo, s13
	v_or_b32_e32 v6, v15, v17
	v_or_b32_e32 v7, v14, v16
	;; [unrolled: 1-line block ×4, first 2 shown]
	v_dual_mul_f32 v135, v161, v6 :: v_dual_mul_f32 v134, v115, v7
	s_delay_alu instid0(VALU_DEP_2)
	v_dual_mul_f32 v133, v161, v8 :: v_dual_mul_f32 v144, v115, v14
	s_and_saveexec_b32 s8, vcc_lo
; %bb.2450:                             ;   in Loop: Header=BB285_1567 Depth=1
	v_cmp_lt_i32_e64 s0, v182, v55
	s_delay_alu instid0(VALU_DEP_1) | instskip(SKIP_1) | instid1(VALU_DEP_1)
	v_cndmask_b32_e64 v134, 0, v134, s0
	v_cmp_lt_i32_e64 s0, v40, v55
	v_cndmask_b32_e64 v135, 0, v135, s0
	v_cmp_lt_i32_e64 s0, v183, v55
	s_delay_alu instid0(VALU_DEP_1) | instskip(SKIP_1) | instid1(VALU_DEP_1)
	v_cndmask_b32_e64 v144, 0, v144, s0
	v_cmp_lt_i32_e64 s0, v151, v55
	v_cndmask_b32_e64 v133, 0, v133, s0
; %bb.2451:                             ;   in Loop: Header=BB285_1567 Depth=1
	s_or_b32 exec_lo, exec_lo, s8
	flat_load_b32 v6, v[4:5] offset:3328
	v_mov_b32_e32 v14, 0
	v_mov_b32_e32 v15, 0
	s_mov_b32 s8, exec_lo
	s_delay_alu instid0(VALU_DEP_1) | instskip(SKIP_2) | instid1(VALU_DEP_1)
	v_dual_mov_b32 v17, v15 :: v_dual_mov_b32 v16, v14
	s_waitcnt vmcnt(0) lgkmcnt(0)
	v_and_b32_e32 v7, 0xff, v6
	v_cmpx_ne_u16_e32 0, v7
	s_cbranch_execz .LBB285_2459
; %bb.2452:                             ;   in Loop: Header=BB285_1567 Depth=1
	v_bfrev_b32_e32 v16, 1
	v_mov_b32_e32 v17, 0
	s_mov_b32 s13, exec_lo
	v_cmpx_ne_u16_e32 0x80, v7
	s_cbranch_execz .LBB285_2458
; %bb.2453:                             ;   in Loop: Header=BB285_1567 Depth=1
	v_mov_b32_e32 v16, 0x7f800001
	v_dual_mov_b32 v17, 0 :: v_dual_and_b32 v18, 0x7f, v6
	s_mov_b32 s15, exec_lo
	s_delay_alu instid0(VALU_DEP_1)
	v_cmpx_ne_u32_e32 0x7f, v18
	s_cbranch_execz .LBB285_2457
; %bb.2454:                             ;   in Loop: Header=BB285_1567 Depth=1
	v_and_b32_e32 v8, 7, v6
	v_lshrrev_b32_e32 v7, 3, v18
	s_mov_b32 s17, exec_lo
	v_cmpx_gt_u32_e32 8, v18
; %bb.2455:                             ;   in Loop: Header=BB285_1567 Depth=1
	s_delay_alu instid0(VALU_DEP_3) | instskip(NEXT) | instid1(VALU_DEP_1)
	v_clz_i32_u32_e32 v7, v8
	v_min_u32_e32 v7, 32, v7
	s_delay_alu instid0(VALU_DEP_1) | instskip(SKIP_1) | instid1(VALU_DEP_2)
	v_subrev_nc_u32_e32 v16, 28, v7
	v_sub_nc_u32_e32 v7, 29, v7
	v_lshlrev_b64 v[16:17], v16, v[8:9]
	s_delay_alu instid0(VALU_DEP_1)
	v_and_b32_e32 v8, 7, v16
; %bb.2456:                             ;   in Loop: Header=BB285_1567 Depth=1
	s_or_b32 exec_lo, exec_lo, s17
	v_lshlrev_b32_e32 v16, 24, v6
	s_delay_alu instid0(VALU_DEP_2) | instskip(SKIP_1) | instid1(VALU_DEP_3)
	v_lshlrev_b32_e32 v8, 20, v8
	v_lshl_add_u32 v7, v7, 23, 0x3c000000
	v_and_b32_e32 v16, 0x80000000, v16
	s_delay_alu instid0(VALU_DEP_1) | instskip(NEXT) | instid1(VALU_DEP_1)
	v_or3_b32 v8, v8, v16, v7
	v_dual_mov_b32 v17, v9 :: v_dual_mov_b32 v16, v8
.LBB285_2457:                           ;   in Loop: Header=BB285_1567 Depth=1
	s_or_b32 exec_lo, exec_lo, s15
.LBB285_2458:                           ;   in Loop: Header=BB285_1567 Depth=1
	s_delay_alu instid0(SALU_CYCLE_1)
	s_or_b32 exec_lo, exec_lo, s13
.LBB285_2459:                           ;   in Loop: Header=BB285_1567 Depth=1
	s_delay_alu instid0(SALU_CYCLE_1) | instskip(SKIP_2) | instid1(VALU_DEP_1)
	s_or_b32 exec_lo, exec_lo, s8
	v_lshrrev_b16 v7, 8, v6
	s_mov_b32 s13, exec_lo
	v_cmpx_ne_u16_e32 0, v7
	s_cbranch_execz .LBB285_2467
; %bb.2460:                             ;   in Loop: Header=BB285_1567 Depth=1
	v_dual_mov_b32 v15, s3 :: v_dual_mov_b32 v14, s2
	s_mov_b32 s15, exec_lo
	v_cmpx_ne_u16_e32 0x80, v7
	s_cbranch_execz .LBB285_2466
; %bb.2461:                             ;   in Loop: Header=BB285_1567 Depth=1
	s_mov_b32 s8, s2
	v_and_b32_e32 v7, 0xffff, v7
	v_dual_mov_b32 v15, s9 :: v_dual_mov_b32 v14, s8
	s_mov_b32 s8, exec_lo
	s_delay_alu instid0(VALU_DEP_2) | instskip(NEXT) | instid1(VALU_DEP_1)
	v_and_b32_e32 v18, 0x7f, v7
	v_cmpx_ne_u32_e32 0x7f, v18
	s_cbranch_execz .LBB285_2465
; %bb.2462:                             ;   in Loop: Header=BB285_1567 Depth=1
	v_and_b32_e32 v8, 7, v7
	v_lshrrev_b32_e32 v7, 3, v18
	s_mov_b32 s17, exec_lo
	v_cmpx_gt_u32_e32 8, v18
; %bb.2463:                             ;   in Loop: Header=BB285_1567 Depth=1
	s_delay_alu instid0(VALU_DEP_3) | instskip(NEXT) | instid1(VALU_DEP_1)
	v_clz_i32_u32_e32 v7, v8
	v_min_u32_e32 v7, 32, v7
	s_delay_alu instid0(VALU_DEP_1) | instskip(SKIP_1) | instid1(VALU_DEP_2)
	v_subrev_nc_u32_e32 v14, 28, v7
	v_sub_nc_u32_e32 v7, 29, v7
	v_lshlrev_b64 v[14:15], v14, v[8:9]
	s_delay_alu instid0(VALU_DEP_1)
	v_and_b32_e32 v8, 7, v14
; %bb.2464:                             ;   in Loop: Header=BB285_1567 Depth=1
	s_or_b32 exec_lo, exec_lo, s17
	v_lshlrev_b32_e32 v14, 16, v6
	s_delay_alu instid0(VALU_DEP_2) | instskip(SKIP_1) | instid1(VALU_DEP_3)
	v_lshlrev_b32_e32 v8, 20, v8
	v_lshl_add_u32 v7, v7, 23, 0x3c000000
	v_and_b32_e32 v14, 0x80000000, v14
	s_delay_alu instid0(VALU_DEP_1)
	v_or3_b32 v15, v8, v14, v7
	v_mov_b32_e32 v14, v9
.LBB285_2465:                           ;   in Loop: Header=BB285_1567 Depth=1
	s_or_b32 exec_lo, exec_lo, s8
.LBB285_2466:                           ;   in Loop: Header=BB285_1567 Depth=1
	s_delay_alu instid0(SALU_CYCLE_1)
	s_or_b32 exec_lo, exec_lo, s15
.LBB285_2467:                           ;   in Loop: Header=BB285_1567 Depth=1
	s_delay_alu instid0(SALU_CYCLE_1) | instskip(SKIP_4) | instid1(VALU_DEP_1)
	s_or_b32 exec_lo, exec_lo, s13
	v_mov_b32_e32 v18, 0
	v_lshrrev_b32_e32 v7, 16, v6
	v_mov_b32_e32 v19, 0
	s_mov_b32 s8, exec_lo
	v_dual_mov_b32 v21, v19 :: v_dual_and_b32 v8, 0xff, v7
	v_mov_b32_e32 v20, v18
	s_delay_alu instid0(VALU_DEP_2)
	v_cmpx_ne_u16_e32 0, v8
	s_cbranch_execz .LBB285_2475
; %bb.2468:                             ;   in Loop: Header=BB285_1567 Depth=1
	v_bfrev_b32_e32 v20, 1
	v_mov_b32_e32 v21, 0
	s_mov_b32 s13, exec_lo
	v_cmpx_ne_u16_e32 0x80, v8
	s_cbranch_execz .LBB285_2474
; %bb.2469:                             ;   in Loop: Header=BB285_1567 Depth=1
	v_mov_b32_e32 v20, 0x7f800001
	v_bfe_u32 v22, v6, 16, 7
	v_mov_b32_e32 v21, 0
	s_mov_b32 s15, exec_lo
	s_delay_alu instid0(VALU_DEP_2)
	v_cmpx_ne_u32_e32 0x7f, v22
	s_cbranch_execz .LBB285_2473
; %bb.2470:                             ;   in Loop: Header=BB285_1567 Depth=1
	v_and_b32_e32 v8, 7, v7
	v_lshrrev_b32_e32 v20, 3, v22
	s_mov_b32 s17, exec_lo
	v_cmpx_gt_u32_e32 8, v22
; %bb.2471:                             ;   in Loop: Header=BB285_1567 Depth=1
	s_delay_alu instid0(VALU_DEP_3) | instskip(NEXT) | instid1(VALU_DEP_1)
	v_clz_i32_u32_e32 v20, v8
	v_min_u32_e32 v20, 32, v20
	s_delay_alu instid0(VALU_DEP_1) | instskip(SKIP_1) | instid1(VALU_DEP_2)
	v_subrev_nc_u32_e32 v21, 28, v20
	v_sub_nc_u32_e32 v20, 29, v20
	v_lshlrev_b64 v[21:22], v21, v[8:9]
	s_delay_alu instid0(VALU_DEP_1)
	v_and_b32_e32 v8, 7, v21
; %bb.2472:                             ;   in Loop: Header=BB285_1567 Depth=1
	s_or_b32 exec_lo, exec_lo, s17
	v_lshlrev_b32_e32 v7, 24, v7
	s_delay_alu instid0(VALU_DEP_2) | instskip(SKIP_1) | instid1(VALU_DEP_3)
	v_lshlrev_b32_e32 v8, 20, v8
	v_lshl_add_u32 v20, v20, 23, 0x3c000000
	v_and_b32_e32 v7, 0x80000000, v7
	s_delay_alu instid0(VALU_DEP_1) | instskip(NEXT) | instid1(VALU_DEP_1)
	v_or3_b32 v8, v8, v7, v20
	v_dual_mov_b32 v21, v9 :: v_dual_mov_b32 v20, v8
.LBB285_2473:                           ;   in Loop: Header=BB285_1567 Depth=1
	s_or_b32 exec_lo, exec_lo, s15
.LBB285_2474:                           ;   in Loop: Header=BB285_1567 Depth=1
	s_delay_alu instid0(SALU_CYCLE_1)
	s_or_b32 exec_lo, exec_lo, s13
.LBB285_2475:                           ;   in Loop: Header=BB285_1567 Depth=1
	s_delay_alu instid0(SALU_CYCLE_1) | instskip(NEXT) | instid1(SALU_CYCLE_1)
	s_or_b32 exec_lo, exec_lo, s8
	s_mov_b32 s13, exec_lo
	v_cmpx_lt_u32_e32 0xffffff, v6
	s_cbranch_execz .LBB285_2483
; %bb.2476:                             ;   in Loop: Header=BB285_1567 Depth=1
	v_lshrrev_b32_e32 v7, 24, v6
	v_dual_mov_b32 v19, s3 :: v_dual_mov_b32 v18, s2
	s_mov_b32 s15, exec_lo
	s_delay_alu instid0(VALU_DEP_2)
	v_cmpx_ne_u32_e32 0x80, v7
	s_cbranch_execz .LBB285_2482
; %bb.2477:                             ;   in Loop: Header=BB285_1567 Depth=1
	s_mov_b32 s8, s2
	v_bfe_u32 v22, v6, 24, 7
	v_dual_mov_b32 v19, s9 :: v_dual_mov_b32 v18, s8
	s_mov_b32 s8, exec_lo
	s_delay_alu instid0(VALU_DEP_2)
	v_cmpx_ne_u32_e32 0x7f, v22
	s_cbranch_execz .LBB285_2481
; %bb.2478:                             ;   in Loop: Header=BB285_1567 Depth=1
	v_and_b32_e32 v8, 7, v7
	v_lshrrev_b32_e32 v6, 3, v22
	s_mov_b32 s17, exec_lo
	v_cmpx_gt_u32_e32 8, v22
; %bb.2479:                             ;   in Loop: Header=BB285_1567 Depth=1
	s_delay_alu instid0(VALU_DEP_3) | instskip(NEXT) | instid1(VALU_DEP_1)
	v_clz_i32_u32_e32 v6, v8
	v_min_u32_e32 v6, 32, v6
	s_delay_alu instid0(VALU_DEP_1) | instskip(SKIP_1) | instid1(VALU_DEP_2)
	v_subrev_nc_u32_e32 v18, 28, v6
	v_sub_nc_u32_e32 v6, 29, v6
	v_lshlrev_b64 v[18:19], v18, v[8:9]
	s_delay_alu instid0(VALU_DEP_1)
	v_and_b32_e32 v8, 7, v18
; %bb.2480:                             ;   in Loop: Header=BB285_1567 Depth=1
	s_or_b32 exec_lo, exec_lo, s17
	v_dual_mov_b32 v18, v9 :: v_dual_lshlrev_b32 v7, 24, v7
	s_delay_alu instid0(VALU_DEP_2) | instskip(SKIP_1) | instid1(VALU_DEP_3)
	v_lshlrev_b32_e32 v8, 20, v8
	v_lshl_add_u32 v6, v6, 23, 0x3c000000
	v_and_b32_e32 v7, 0x80000000, v7
	s_delay_alu instid0(VALU_DEP_1)
	v_or3_b32 v19, v8, v7, v6
.LBB285_2481:                           ;   in Loop: Header=BB285_1567 Depth=1
	s_or_b32 exec_lo, exec_lo, s8
.LBB285_2482:                           ;   in Loop: Header=BB285_1567 Depth=1
	s_delay_alu instid0(SALU_CYCLE_1)
	s_or_b32 exec_lo, exec_lo, s15
.LBB285_2483:                           ;   in Loop: Header=BB285_1567 Depth=1
	s_delay_alu instid0(SALU_CYCLE_1) | instskip(SKIP_4) | instid1(VALU_DEP_3)
	s_or_b32 exec_lo, exec_lo, s13
	v_or_b32_e32 v6, v15, v17
	v_or_b32_e32 v7, v14, v16
	;; [unrolled: 1-line block ×4, first 2 shown]
	v_dual_mul_f32 v147, v161, v6 :: v_dual_mul_f32 v146, v115, v7
	s_delay_alu instid0(VALU_DEP_2)
	v_dual_mul_f32 v145, v161, v8 :: v_dual_mul_f32 v148, v115, v14
	s_and_saveexec_b32 s8, vcc_lo
; %bb.2484:                             ;   in Loop: Header=BB285_1567 Depth=1
	v_cmp_lt_i32_e64 s0, v182, v55
	s_delay_alu instid0(VALU_DEP_1) | instskip(SKIP_1) | instid1(VALU_DEP_1)
	v_cndmask_b32_e64 v146, 0, v146, s0
	v_cmp_lt_i32_e64 s0, v40, v55
	v_cndmask_b32_e64 v147, 0, v147, s0
	v_cmp_lt_i32_e64 s0, v183, v55
	s_delay_alu instid0(VALU_DEP_1) | instskip(SKIP_1) | instid1(VALU_DEP_1)
	v_cndmask_b32_e64 v148, 0, v148, s0
	v_cmp_lt_i32_e64 s0, v151, v55
	v_cndmask_b32_e64 v145, 0, v145, s0
; %bb.2485:                             ;   in Loop: Header=BB285_1567 Depth=1
	s_or_b32 exec_lo, exec_lo, s8
	flat_load_b32 v6, v[4:5] offset:3456
	v_mov_b32_e32 v14, 0
	v_mov_b32_e32 v15, 0
	s_mov_b32 s8, exec_lo
	s_delay_alu instid0(VALU_DEP_1) | instskip(SKIP_2) | instid1(VALU_DEP_1)
	v_dual_mov_b32 v17, v15 :: v_dual_mov_b32 v16, v14
	s_waitcnt vmcnt(0) lgkmcnt(0)
	v_and_b32_e32 v7, 0xff, v6
	v_cmpx_ne_u16_e32 0, v7
	s_cbranch_execz .LBB285_2493
; %bb.2486:                             ;   in Loop: Header=BB285_1567 Depth=1
	v_bfrev_b32_e32 v16, 1
	v_mov_b32_e32 v17, 0
	s_mov_b32 s13, exec_lo
	v_cmpx_ne_u16_e32 0x80, v7
	s_cbranch_execz .LBB285_2492
; %bb.2487:                             ;   in Loop: Header=BB285_1567 Depth=1
	v_mov_b32_e32 v16, 0x7f800001
	v_dual_mov_b32 v17, 0 :: v_dual_and_b32 v18, 0x7f, v6
	s_mov_b32 s15, exec_lo
	s_delay_alu instid0(VALU_DEP_1)
	v_cmpx_ne_u32_e32 0x7f, v18
	s_cbranch_execz .LBB285_2491
; %bb.2488:                             ;   in Loop: Header=BB285_1567 Depth=1
	v_and_b32_e32 v8, 7, v6
	v_lshrrev_b32_e32 v7, 3, v18
	s_mov_b32 s17, exec_lo
	v_cmpx_gt_u32_e32 8, v18
; %bb.2489:                             ;   in Loop: Header=BB285_1567 Depth=1
	s_delay_alu instid0(VALU_DEP_3) | instskip(NEXT) | instid1(VALU_DEP_1)
	v_clz_i32_u32_e32 v7, v8
	v_min_u32_e32 v7, 32, v7
	s_delay_alu instid0(VALU_DEP_1) | instskip(SKIP_1) | instid1(VALU_DEP_2)
	v_subrev_nc_u32_e32 v16, 28, v7
	v_sub_nc_u32_e32 v7, 29, v7
	v_lshlrev_b64 v[16:17], v16, v[8:9]
	s_delay_alu instid0(VALU_DEP_1)
	v_and_b32_e32 v8, 7, v16
; %bb.2490:                             ;   in Loop: Header=BB285_1567 Depth=1
	s_or_b32 exec_lo, exec_lo, s17
	v_lshlrev_b32_e32 v16, 24, v6
	s_delay_alu instid0(VALU_DEP_2) | instskip(SKIP_1) | instid1(VALU_DEP_3)
	v_lshlrev_b32_e32 v8, 20, v8
	v_lshl_add_u32 v7, v7, 23, 0x3c000000
	v_and_b32_e32 v16, 0x80000000, v16
	s_delay_alu instid0(VALU_DEP_1) | instskip(NEXT) | instid1(VALU_DEP_1)
	v_or3_b32 v8, v8, v16, v7
	v_dual_mov_b32 v17, v9 :: v_dual_mov_b32 v16, v8
.LBB285_2491:                           ;   in Loop: Header=BB285_1567 Depth=1
	s_or_b32 exec_lo, exec_lo, s15
.LBB285_2492:                           ;   in Loop: Header=BB285_1567 Depth=1
	s_delay_alu instid0(SALU_CYCLE_1)
	s_or_b32 exec_lo, exec_lo, s13
.LBB285_2493:                           ;   in Loop: Header=BB285_1567 Depth=1
	s_delay_alu instid0(SALU_CYCLE_1) | instskip(SKIP_2) | instid1(VALU_DEP_1)
	s_or_b32 exec_lo, exec_lo, s8
	v_lshrrev_b16 v7, 8, v6
	s_mov_b32 s13, exec_lo
	v_cmpx_ne_u16_e32 0, v7
	s_cbranch_execz .LBB285_2501
; %bb.2494:                             ;   in Loop: Header=BB285_1567 Depth=1
	v_dual_mov_b32 v15, s3 :: v_dual_mov_b32 v14, s2
	s_mov_b32 s15, exec_lo
	v_cmpx_ne_u16_e32 0x80, v7
	s_cbranch_execz .LBB285_2500
; %bb.2495:                             ;   in Loop: Header=BB285_1567 Depth=1
	s_mov_b32 s8, s2
	v_and_b32_e32 v7, 0xffff, v7
	v_dual_mov_b32 v15, s9 :: v_dual_mov_b32 v14, s8
	s_mov_b32 s8, exec_lo
	s_delay_alu instid0(VALU_DEP_2) | instskip(NEXT) | instid1(VALU_DEP_1)
	v_and_b32_e32 v18, 0x7f, v7
	v_cmpx_ne_u32_e32 0x7f, v18
	s_cbranch_execz .LBB285_2499
; %bb.2496:                             ;   in Loop: Header=BB285_1567 Depth=1
	v_and_b32_e32 v8, 7, v7
	v_lshrrev_b32_e32 v7, 3, v18
	s_mov_b32 s17, exec_lo
	v_cmpx_gt_u32_e32 8, v18
; %bb.2497:                             ;   in Loop: Header=BB285_1567 Depth=1
	s_delay_alu instid0(VALU_DEP_3) | instskip(NEXT) | instid1(VALU_DEP_1)
	v_clz_i32_u32_e32 v7, v8
	v_min_u32_e32 v7, 32, v7
	s_delay_alu instid0(VALU_DEP_1) | instskip(SKIP_1) | instid1(VALU_DEP_2)
	v_subrev_nc_u32_e32 v14, 28, v7
	v_sub_nc_u32_e32 v7, 29, v7
	v_lshlrev_b64 v[14:15], v14, v[8:9]
	s_delay_alu instid0(VALU_DEP_1)
	v_and_b32_e32 v8, 7, v14
; %bb.2498:                             ;   in Loop: Header=BB285_1567 Depth=1
	s_or_b32 exec_lo, exec_lo, s17
	v_lshlrev_b32_e32 v14, 16, v6
	s_delay_alu instid0(VALU_DEP_2) | instskip(SKIP_1) | instid1(VALU_DEP_3)
	v_lshlrev_b32_e32 v8, 20, v8
	v_lshl_add_u32 v7, v7, 23, 0x3c000000
	v_and_b32_e32 v14, 0x80000000, v14
	s_delay_alu instid0(VALU_DEP_1)
	v_or3_b32 v15, v8, v14, v7
	v_mov_b32_e32 v14, v9
.LBB285_2499:                           ;   in Loop: Header=BB285_1567 Depth=1
	s_or_b32 exec_lo, exec_lo, s8
.LBB285_2500:                           ;   in Loop: Header=BB285_1567 Depth=1
	s_delay_alu instid0(SALU_CYCLE_1)
	s_or_b32 exec_lo, exec_lo, s15
.LBB285_2501:                           ;   in Loop: Header=BB285_1567 Depth=1
	s_delay_alu instid0(SALU_CYCLE_1) | instskip(SKIP_4) | instid1(VALU_DEP_1)
	s_or_b32 exec_lo, exec_lo, s13
	v_mov_b32_e32 v18, 0
	v_lshrrev_b32_e32 v7, 16, v6
	v_mov_b32_e32 v19, 0
	s_mov_b32 s8, exec_lo
	v_dual_mov_b32 v21, v19 :: v_dual_and_b32 v8, 0xff, v7
	v_mov_b32_e32 v20, v18
	s_delay_alu instid0(VALU_DEP_2)
	v_cmpx_ne_u16_e32 0, v8
	s_cbranch_execz .LBB285_2509
; %bb.2502:                             ;   in Loop: Header=BB285_1567 Depth=1
	v_bfrev_b32_e32 v20, 1
	v_mov_b32_e32 v21, 0
	s_mov_b32 s13, exec_lo
	v_cmpx_ne_u16_e32 0x80, v8
	s_cbranch_execz .LBB285_2508
; %bb.2503:                             ;   in Loop: Header=BB285_1567 Depth=1
	v_mov_b32_e32 v20, 0x7f800001
	v_bfe_u32 v22, v6, 16, 7
	v_mov_b32_e32 v21, 0
	s_mov_b32 s15, exec_lo
	s_delay_alu instid0(VALU_DEP_2)
	v_cmpx_ne_u32_e32 0x7f, v22
	s_cbranch_execz .LBB285_2507
; %bb.2504:                             ;   in Loop: Header=BB285_1567 Depth=1
	v_and_b32_e32 v8, 7, v7
	v_lshrrev_b32_e32 v20, 3, v22
	s_mov_b32 s17, exec_lo
	v_cmpx_gt_u32_e32 8, v22
; %bb.2505:                             ;   in Loop: Header=BB285_1567 Depth=1
	s_delay_alu instid0(VALU_DEP_3) | instskip(NEXT) | instid1(VALU_DEP_1)
	v_clz_i32_u32_e32 v20, v8
	v_min_u32_e32 v20, 32, v20
	s_delay_alu instid0(VALU_DEP_1) | instskip(SKIP_1) | instid1(VALU_DEP_2)
	v_subrev_nc_u32_e32 v21, 28, v20
	v_sub_nc_u32_e32 v20, 29, v20
	v_lshlrev_b64 v[21:22], v21, v[8:9]
	s_delay_alu instid0(VALU_DEP_1)
	v_and_b32_e32 v8, 7, v21
; %bb.2506:                             ;   in Loop: Header=BB285_1567 Depth=1
	s_or_b32 exec_lo, exec_lo, s17
	v_lshlrev_b32_e32 v7, 24, v7
	s_delay_alu instid0(VALU_DEP_2) | instskip(SKIP_1) | instid1(VALU_DEP_3)
	v_lshlrev_b32_e32 v8, 20, v8
	v_lshl_add_u32 v20, v20, 23, 0x3c000000
	v_and_b32_e32 v7, 0x80000000, v7
	s_delay_alu instid0(VALU_DEP_1) | instskip(NEXT) | instid1(VALU_DEP_1)
	v_or3_b32 v8, v8, v7, v20
	v_dual_mov_b32 v21, v9 :: v_dual_mov_b32 v20, v8
.LBB285_2507:                           ;   in Loop: Header=BB285_1567 Depth=1
	s_or_b32 exec_lo, exec_lo, s15
.LBB285_2508:                           ;   in Loop: Header=BB285_1567 Depth=1
	s_delay_alu instid0(SALU_CYCLE_1)
	s_or_b32 exec_lo, exec_lo, s13
.LBB285_2509:                           ;   in Loop: Header=BB285_1567 Depth=1
	s_delay_alu instid0(SALU_CYCLE_1) | instskip(NEXT) | instid1(SALU_CYCLE_1)
	s_or_b32 exec_lo, exec_lo, s8
	s_mov_b32 s13, exec_lo
	v_cmpx_lt_u32_e32 0xffffff, v6
	s_cbranch_execz .LBB285_2517
; %bb.2510:                             ;   in Loop: Header=BB285_1567 Depth=1
	v_lshrrev_b32_e32 v7, 24, v6
	v_dual_mov_b32 v19, s3 :: v_dual_mov_b32 v18, s2
	s_mov_b32 s15, exec_lo
	s_delay_alu instid0(VALU_DEP_2)
	v_cmpx_ne_u32_e32 0x80, v7
	s_cbranch_execz .LBB285_2516
; %bb.2511:                             ;   in Loop: Header=BB285_1567 Depth=1
	s_mov_b32 s8, s2
	v_bfe_u32 v22, v6, 24, 7
	v_dual_mov_b32 v19, s9 :: v_dual_mov_b32 v18, s8
	s_mov_b32 s8, exec_lo
	s_delay_alu instid0(VALU_DEP_2)
	v_cmpx_ne_u32_e32 0x7f, v22
	s_cbranch_execz .LBB285_2515
; %bb.2512:                             ;   in Loop: Header=BB285_1567 Depth=1
	v_and_b32_e32 v8, 7, v7
	v_lshrrev_b32_e32 v6, 3, v22
	s_mov_b32 s17, exec_lo
	v_cmpx_gt_u32_e32 8, v22
; %bb.2513:                             ;   in Loop: Header=BB285_1567 Depth=1
	s_delay_alu instid0(VALU_DEP_3) | instskip(NEXT) | instid1(VALU_DEP_1)
	v_clz_i32_u32_e32 v6, v8
	v_min_u32_e32 v6, 32, v6
	s_delay_alu instid0(VALU_DEP_1) | instskip(SKIP_1) | instid1(VALU_DEP_2)
	v_subrev_nc_u32_e32 v18, 28, v6
	v_sub_nc_u32_e32 v6, 29, v6
	v_lshlrev_b64 v[18:19], v18, v[8:9]
	s_delay_alu instid0(VALU_DEP_1)
	v_and_b32_e32 v8, 7, v18
; %bb.2514:                             ;   in Loop: Header=BB285_1567 Depth=1
	s_or_b32 exec_lo, exec_lo, s17
	v_dual_mov_b32 v18, v9 :: v_dual_lshlrev_b32 v7, 24, v7
	s_delay_alu instid0(VALU_DEP_2) | instskip(SKIP_1) | instid1(VALU_DEP_3)
	v_lshlrev_b32_e32 v8, 20, v8
	v_lshl_add_u32 v6, v6, 23, 0x3c000000
	v_and_b32_e32 v7, 0x80000000, v7
	s_delay_alu instid0(VALU_DEP_1)
	v_or3_b32 v19, v8, v7, v6
.LBB285_2515:                           ;   in Loop: Header=BB285_1567 Depth=1
	s_or_b32 exec_lo, exec_lo, s8
.LBB285_2516:                           ;   in Loop: Header=BB285_1567 Depth=1
	s_delay_alu instid0(SALU_CYCLE_1)
	s_or_b32 exec_lo, exec_lo, s15
.LBB285_2517:                           ;   in Loop: Header=BB285_1567 Depth=1
	s_delay_alu instid0(SALU_CYCLE_1) | instskip(SKIP_4) | instid1(VALU_DEP_3)
	s_or_b32 exec_lo, exec_lo, s13
	v_or_b32_e32 v6, v15, v17
	v_or_b32_e32 v7, v14, v16
	;; [unrolled: 1-line block ×4, first 2 shown]
	v_dual_mul_f32 v117, v161, v6 :: v_dual_mul_f32 v150, v115, v7
	s_delay_alu instid0(VALU_DEP_2)
	v_dual_mul_f32 v149, v161, v8 :: v_dual_mul_f32 v6, v115, v14
	s_and_saveexec_b32 s8, vcc_lo
; %bb.2518:                             ;   in Loop: Header=BB285_1567 Depth=1
	v_cmp_lt_i32_e64 s0, v182, v55
	s_delay_alu instid0(VALU_DEP_1) | instskip(SKIP_1) | instid1(VALU_DEP_1)
	v_cndmask_b32_e64 v150, 0, v150, s0
	v_cmp_lt_i32_e64 s0, v40, v55
	v_cndmask_b32_e64 v117, 0, v117, s0
	v_cmp_lt_i32_e64 s0, v183, v55
	s_delay_alu instid0(VALU_DEP_1) | instskip(SKIP_1) | instid1(VALU_DEP_1)
	v_cndmask_b32_e64 v6, 0, v6, s0
	v_cmp_lt_i32_e64 s0, v151, v55
	v_cndmask_b32_e64 v149, 0, v149, s0
; %bb.2519:                             ;   in Loop: Header=BB285_1567 Depth=1
	s_or_b32 exec_lo, exec_lo, s8
	flat_load_b32 v7, v[4:5] offset:3584
	v_mov_b32_e32 v14, 0
	v_mov_b32_e32 v15, 0
	s_mov_b32 s8, exec_lo
	s_waitcnt vmcnt(0) lgkmcnt(0)
	s_delay_alu instid0(VALU_DEP_1) | instskip(SKIP_1) | instid1(VALU_DEP_2)
	v_dual_mov_b32 v17, v15 :: v_dual_and_b32 v8, 0xff, v7
	v_mov_b32_e32 v16, v14
	v_cmpx_ne_u16_e32 0, v8
	s_cbranch_execz .LBB285_2527
; %bb.2520:                             ;   in Loop: Header=BB285_1567 Depth=1
	v_bfrev_b32_e32 v16, 1
	v_mov_b32_e32 v17, 0
	s_mov_b32 s13, exec_lo
	v_cmpx_ne_u16_e32 0x80, v8
	s_cbranch_execz .LBB285_2526
; %bb.2521:                             ;   in Loop: Header=BB285_1567 Depth=1
	v_mov_b32_e32 v16, 0x7f800001
	v_dual_mov_b32 v17, 0 :: v_dual_and_b32 v18, 0x7f, v7
	s_mov_b32 s15, exec_lo
	s_delay_alu instid0(VALU_DEP_1)
	v_cmpx_ne_u32_e32 0x7f, v18
	s_cbranch_execz .LBB285_2525
; %bb.2522:                             ;   in Loop: Header=BB285_1567 Depth=1
	v_and_b32_e32 v8, 7, v7
	v_lshrrev_b32_e32 v16, 3, v18
	s_mov_b32 s17, exec_lo
	v_cmpx_gt_u32_e32 8, v18
; %bb.2523:                             ;   in Loop: Header=BB285_1567 Depth=1
	s_delay_alu instid0(VALU_DEP_3) | instskip(NEXT) | instid1(VALU_DEP_1)
	v_clz_i32_u32_e32 v16, v8
	v_min_u32_e32 v16, 32, v16
	s_delay_alu instid0(VALU_DEP_1) | instskip(SKIP_1) | instid1(VALU_DEP_2)
	v_subrev_nc_u32_e32 v17, 28, v16
	v_sub_nc_u32_e32 v16, 29, v16
	v_lshlrev_b64 v[17:18], v17, v[8:9]
	s_delay_alu instid0(VALU_DEP_1)
	v_and_b32_e32 v8, 7, v17
; %bb.2524:                             ;   in Loop: Header=BB285_1567 Depth=1
	s_or_b32 exec_lo, exec_lo, s17
	v_lshlrev_b32_e32 v17, 24, v7
	s_delay_alu instid0(VALU_DEP_2) | instskip(SKIP_1) | instid1(VALU_DEP_3)
	v_lshlrev_b32_e32 v8, 20, v8
	v_lshl_add_u32 v16, v16, 23, 0x3c000000
	v_and_b32_e32 v17, 0x80000000, v17
	s_delay_alu instid0(VALU_DEP_1) | instskip(NEXT) | instid1(VALU_DEP_1)
	v_or3_b32 v8, v8, v17, v16
	v_dual_mov_b32 v17, v9 :: v_dual_mov_b32 v16, v8
.LBB285_2525:                           ;   in Loop: Header=BB285_1567 Depth=1
	s_or_b32 exec_lo, exec_lo, s15
.LBB285_2526:                           ;   in Loop: Header=BB285_1567 Depth=1
	s_delay_alu instid0(SALU_CYCLE_1)
	s_or_b32 exec_lo, exec_lo, s13
.LBB285_2527:                           ;   in Loop: Header=BB285_1567 Depth=1
	s_delay_alu instid0(SALU_CYCLE_1) | instskip(SKIP_2) | instid1(VALU_DEP_1)
	s_or_b32 exec_lo, exec_lo, s8
	v_lshrrev_b16 v8, 8, v7
	s_mov_b32 s13, exec_lo
	v_cmpx_ne_u16_e32 0, v8
	s_cbranch_execz .LBB285_2535
; %bb.2528:                             ;   in Loop: Header=BB285_1567 Depth=1
	v_dual_mov_b32 v15, s3 :: v_dual_mov_b32 v14, s2
	s_mov_b32 s15, exec_lo
	v_cmpx_ne_u16_e32 0x80, v8
	s_cbranch_execz .LBB285_2534
; %bb.2529:                             ;   in Loop: Header=BB285_1567 Depth=1
	s_mov_b32 s8, s2
	v_dual_mov_b32 v15, s9 :: v_dual_and_b32 v8, 0xffff, v8
	v_mov_b32_e32 v14, s8
	s_mov_b32 s8, exec_lo
	s_delay_alu instid0(VALU_DEP_2) | instskip(NEXT) | instid1(VALU_DEP_1)
	v_and_b32_e32 v18, 0x7f, v8
	v_cmpx_ne_u32_e32 0x7f, v18
	s_cbranch_execz .LBB285_2533
; %bb.2530:                             ;   in Loop: Header=BB285_1567 Depth=1
	v_and_b32_e32 v8, 7, v8
	v_lshrrev_b32_e32 v14, 3, v18
	s_mov_b32 s17, exec_lo
	v_cmpx_gt_u32_e32 8, v18
; %bb.2531:                             ;   in Loop: Header=BB285_1567 Depth=1
	s_delay_alu instid0(VALU_DEP_3) | instskip(NEXT) | instid1(VALU_DEP_1)
	v_clz_i32_u32_e32 v14, v8
	v_min_u32_e32 v14, 32, v14
	s_delay_alu instid0(VALU_DEP_1) | instskip(SKIP_1) | instid1(VALU_DEP_2)
	v_subrev_nc_u32_e32 v15, 28, v14
	v_sub_nc_u32_e32 v14, 29, v14
	v_lshlrev_b64 v[18:19], v15, v[8:9]
	s_delay_alu instid0(VALU_DEP_1)
	v_and_b32_e32 v8, 7, v18
; %bb.2532:                             ;   in Loop: Header=BB285_1567 Depth=1
	s_or_b32 exec_lo, exec_lo, s17
	v_lshlrev_b32_e32 v15, 16, v7
	s_delay_alu instid0(VALU_DEP_2) | instskip(SKIP_1) | instid1(VALU_DEP_3)
	v_lshlrev_b32_e32 v8, 20, v8
	v_lshl_add_u32 v14, v14, 23, 0x3c000000
	v_and_b32_e32 v15, 0x80000000, v15
	s_delay_alu instid0(VALU_DEP_1)
	v_or3_b32 v15, v8, v15, v14
	v_mov_b32_e32 v14, v9
.LBB285_2533:                           ;   in Loop: Header=BB285_1567 Depth=1
	s_or_b32 exec_lo, exec_lo, s8
.LBB285_2534:                           ;   in Loop: Header=BB285_1567 Depth=1
	s_delay_alu instid0(SALU_CYCLE_1)
	s_or_b32 exec_lo, exec_lo, s15
.LBB285_2535:                           ;   in Loop: Header=BB285_1567 Depth=1
	s_delay_alu instid0(SALU_CYCLE_1) | instskip(SKIP_4) | instid1(VALU_DEP_1)
	s_or_b32 exec_lo, exec_lo, s13
	v_mov_b32_e32 v18, 0
	v_lshrrev_b32_e32 v22, 16, v7
	v_mov_b32_e32 v19, 0
	s_mov_b32 s8, exec_lo
	v_dual_mov_b32 v21, v19 :: v_dual_and_b32 v8, 0xff, v22
	v_mov_b32_e32 v20, v18
	s_delay_alu instid0(VALU_DEP_2)
	v_cmpx_ne_u16_e32 0, v8
	s_cbranch_execz .LBB285_2543
; %bb.2536:                             ;   in Loop: Header=BB285_1567 Depth=1
	v_bfrev_b32_e32 v20, 1
	v_mov_b32_e32 v21, 0
	s_mov_b32 s13, exec_lo
	v_cmpx_ne_u16_e32 0x80, v8
	s_cbranch_execz .LBB285_2542
; %bb.2537:                             ;   in Loop: Header=BB285_1567 Depth=1
	v_mov_b32_e32 v20, 0x7f800001
	v_bfe_u32 v23, v7, 16, 7
	v_mov_b32_e32 v21, 0
	s_mov_b32 s15, exec_lo
	s_delay_alu instid0(VALU_DEP_2)
	v_cmpx_ne_u32_e32 0x7f, v23
	s_cbranch_execz .LBB285_2541
; %bb.2538:                             ;   in Loop: Header=BB285_1567 Depth=1
	v_and_b32_e32 v8, 7, v22
	v_lshrrev_b32_e32 v20, 3, v23
	s_mov_b32 s17, exec_lo
	v_cmpx_gt_u32_e32 8, v23
; %bb.2539:                             ;   in Loop: Header=BB285_1567 Depth=1
	s_delay_alu instid0(VALU_DEP_3) | instskip(NEXT) | instid1(VALU_DEP_1)
	v_clz_i32_u32_e32 v20, v8
	v_min_u32_e32 v20, 32, v20
	s_delay_alu instid0(VALU_DEP_1) | instskip(SKIP_1) | instid1(VALU_DEP_2)
	v_subrev_nc_u32_e32 v21, 28, v20
	v_sub_nc_u32_e32 v20, 29, v20
	v_lshlrev_b64 v[23:24], v21, v[8:9]
	s_delay_alu instid0(VALU_DEP_1)
	v_and_b32_e32 v8, 7, v23
; %bb.2540:                             ;   in Loop: Header=BB285_1567 Depth=1
	s_or_b32 exec_lo, exec_lo, s17
	v_lshlrev_b32_e32 v21, 24, v22
	s_delay_alu instid0(VALU_DEP_2) | instskip(SKIP_1) | instid1(VALU_DEP_3)
	v_lshlrev_b32_e32 v8, 20, v8
	v_lshl_add_u32 v20, v20, 23, 0x3c000000
	v_and_b32_e32 v21, 0x80000000, v21
	s_delay_alu instid0(VALU_DEP_1) | instskip(NEXT) | instid1(VALU_DEP_1)
	v_or3_b32 v8, v8, v21, v20
	v_dual_mov_b32 v21, v9 :: v_dual_mov_b32 v20, v8
.LBB285_2541:                           ;   in Loop: Header=BB285_1567 Depth=1
	s_or_b32 exec_lo, exec_lo, s15
.LBB285_2542:                           ;   in Loop: Header=BB285_1567 Depth=1
	s_delay_alu instid0(SALU_CYCLE_1)
	s_or_b32 exec_lo, exec_lo, s13
.LBB285_2543:                           ;   in Loop: Header=BB285_1567 Depth=1
	s_delay_alu instid0(SALU_CYCLE_1) | instskip(NEXT) | instid1(SALU_CYCLE_1)
	s_or_b32 exec_lo, exec_lo, s8
	s_mov_b32 s13, exec_lo
	v_cmpx_lt_u32_e32 0xffffff, v7
	s_cbranch_execz .LBB285_2551
; %bb.2544:                             ;   in Loop: Header=BB285_1567 Depth=1
	v_lshrrev_b32_e32 v22, 24, v7
	v_dual_mov_b32 v19, s3 :: v_dual_mov_b32 v18, s2
	s_mov_b32 s15, exec_lo
	s_delay_alu instid0(VALU_DEP_2)
	v_cmpx_ne_u32_e32 0x80, v22
	s_cbranch_execz .LBB285_2550
; %bb.2545:                             ;   in Loop: Header=BB285_1567 Depth=1
	s_mov_b32 s8, s2
	v_bfe_u32 v23, v7, 24, 7
	v_dual_mov_b32 v19, s9 :: v_dual_mov_b32 v18, s8
	s_mov_b32 s8, exec_lo
	s_delay_alu instid0(VALU_DEP_2)
	v_cmpx_ne_u32_e32 0x7f, v23
	s_cbranch_execz .LBB285_2549
; %bb.2546:                             ;   in Loop: Header=BB285_1567 Depth=1
	v_and_b32_e32 v8, 7, v22
	v_lshrrev_b32_e32 v7, 3, v23
	s_mov_b32 s17, exec_lo
	v_cmpx_gt_u32_e32 8, v23
; %bb.2547:                             ;   in Loop: Header=BB285_1567 Depth=1
	s_delay_alu instid0(VALU_DEP_3) | instskip(NEXT) | instid1(VALU_DEP_1)
	v_clz_i32_u32_e32 v7, v8
	v_min_u32_e32 v7, 32, v7
	s_delay_alu instid0(VALU_DEP_1) | instskip(SKIP_1) | instid1(VALU_DEP_2)
	v_subrev_nc_u32_e32 v18, 28, v7
	v_sub_nc_u32_e32 v7, 29, v7
	v_lshlrev_b64 v[18:19], v18, v[8:9]
	s_delay_alu instid0(VALU_DEP_1)
	v_and_b32_e32 v8, 7, v18
; %bb.2548:                             ;   in Loop: Header=BB285_1567 Depth=1
	s_or_b32 exec_lo, exec_lo, s17
	v_lshlrev_b32_e32 v18, 24, v22
	s_delay_alu instid0(VALU_DEP_2) | instskip(SKIP_1) | instid1(VALU_DEP_3)
	v_lshlrev_b32_e32 v8, 20, v8
	v_lshl_add_u32 v7, v7, 23, 0x3c000000
	v_and_b32_e32 v18, 0x80000000, v18
	s_delay_alu instid0(VALU_DEP_1)
	v_or3_b32 v19, v8, v18, v7
	v_mov_b32_e32 v18, v9
.LBB285_2549:                           ;   in Loop: Header=BB285_1567 Depth=1
	s_or_b32 exec_lo, exec_lo, s8
.LBB285_2550:                           ;   in Loop: Header=BB285_1567 Depth=1
	s_delay_alu instid0(SALU_CYCLE_1)
	s_or_b32 exec_lo, exec_lo, s15
.LBB285_2551:                           ;   in Loop: Header=BB285_1567 Depth=1
	s_delay_alu instid0(SALU_CYCLE_1) | instskip(SKIP_4) | instid1(VALU_DEP_3)
	s_or_b32 exec_lo, exec_lo, s13
	v_or_b32_e32 v7, v15, v17
	v_or_b32_e32 v8, v14, v16
	v_or_b32_e32 v14, v19, v21
	v_or_b32_e32 v15, v18, v20
	v_dual_mul_f32 v23, v161, v7 :: v_dual_mul_f32 v22, v115, v8
	s_delay_alu instid0(VALU_DEP_2)
	v_dual_mul_f32 v7, v161, v14 :: v_dual_mul_f32 v24, v115, v15
	s_and_saveexec_b32 s8, vcc_lo
; %bb.2552:                             ;   in Loop: Header=BB285_1567 Depth=1
	v_cmp_lt_i32_e64 s0, v182, v55
	s_delay_alu instid0(VALU_DEP_1) | instskip(SKIP_1) | instid1(VALU_DEP_1)
	v_cndmask_b32_e64 v22, 0, v22, s0
	v_cmp_lt_i32_e64 s0, v40, v55
	v_cndmask_b32_e64 v23, 0, v23, s0
	v_cmp_lt_i32_e64 s0, v183, v55
	s_delay_alu instid0(VALU_DEP_1) | instskip(SKIP_1) | instid1(VALU_DEP_1)
	v_cndmask_b32_e64 v24, 0, v24, s0
	v_cmp_lt_i32_e64 s0, v151, v55
	v_cndmask_b32_e64 v7, 0, v7, s0
; %bb.2553:                             ;   in Loop: Header=BB285_1567 Depth=1
	s_or_b32 exec_lo, exec_lo, s8
	flat_load_b32 v162, v[4:5] offset:3712
	v_mov_b32_e32 v14, 0
	v_mov_b32_e32 v15, 0
	s_mov_b32 s8, exec_lo
	s_waitcnt vmcnt(0) lgkmcnt(0)
	s_delay_alu instid0(VALU_DEP_1) | instskip(SKIP_1) | instid1(VALU_DEP_2)
	v_dual_mov_b32 v17, v15 :: v_dual_and_b32 v8, 0xff, v162
	v_mov_b32_e32 v16, v14
	v_cmpx_ne_u16_e32 0, v8
	s_cbranch_execz .LBB285_2561
; %bb.2554:                             ;   in Loop: Header=BB285_1567 Depth=1
	v_bfrev_b32_e32 v16, 1
	v_mov_b32_e32 v17, 0
	s_mov_b32 s13, exec_lo
	v_cmpx_ne_u16_e32 0x80, v8
	s_cbranch_execz .LBB285_2560
; %bb.2555:                             ;   in Loop: Header=BB285_1567 Depth=1
	v_mov_b32_e32 v16, 0x7f800001
	v_dual_mov_b32 v17, 0 :: v_dual_and_b32 v18, 0x7f, v162
	s_mov_b32 s15, exec_lo
	s_delay_alu instid0(VALU_DEP_1)
	v_cmpx_ne_u32_e32 0x7f, v18
	s_cbranch_execz .LBB285_2559
; %bb.2556:                             ;   in Loop: Header=BB285_1567 Depth=1
	v_and_b32_e32 v8, 7, v162
	v_lshrrev_b32_e32 v16, 3, v18
	s_mov_b32 s17, exec_lo
	v_cmpx_gt_u32_e32 8, v18
; %bb.2557:                             ;   in Loop: Header=BB285_1567 Depth=1
	s_delay_alu instid0(VALU_DEP_3) | instskip(NEXT) | instid1(VALU_DEP_1)
	v_clz_i32_u32_e32 v16, v8
	v_min_u32_e32 v16, 32, v16
	s_delay_alu instid0(VALU_DEP_1) | instskip(SKIP_1) | instid1(VALU_DEP_2)
	v_subrev_nc_u32_e32 v17, 28, v16
	v_sub_nc_u32_e32 v16, 29, v16
	v_lshlrev_b64 v[17:18], v17, v[8:9]
	s_delay_alu instid0(VALU_DEP_1)
	v_and_b32_e32 v8, 7, v17
; %bb.2558:                             ;   in Loop: Header=BB285_1567 Depth=1
	s_or_b32 exec_lo, exec_lo, s17
	v_lshlrev_b32_e32 v17, 24, v162
	s_delay_alu instid0(VALU_DEP_2) | instskip(SKIP_1) | instid1(VALU_DEP_3)
	v_lshlrev_b32_e32 v8, 20, v8
	v_lshl_add_u32 v16, v16, 23, 0x3c000000
	v_and_b32_e32 v17, 0x80000000, v17
	s_delay_alu instid0(VALU_DEP_1) | instskip(NEXT) | instid1(VALU_DEP_1)
	v_or3_b32 v8, v8, v17, v16
	v_dual_mov_b32 v17, v9 :: v_dual_mov_b32 v16, v8
.LBB285_2559:                           ;   in Loop: Header=BB285_1567 Depth=1
	s_or_b32 exec_lo, exec_lo, s15
.LBB285_2560:                           ;   in Loop: Header=BB285_1567 Depth=1
	s_delay_alu instid0(SALU_CYCLE_1)
	s_or_b32 exec_lo, exec_lo, s13
.LBB285_2561:                           ;   in Loop: Header=BB285_1567 Depth=1
	s_delay_alu instid0(SALU_CYCLE_1) | instskip(SKIP_2) | instid1(VALU_DEP_1)
	s_or_b32 exec_lo, exec_lo, s8
	v_lshrrev_b16 v8, 8, v162
	s_mov_b32 s13, exec_lo
	v_cmpx_ne_u16_e32 0, v8
	s_cbranch_execz .LBB285_2569
; %bb.2562:                             ;   in Loop: Header=BB285_1567 Depth=1
	v_dual_mov_b32 v15, s3 :: v_dual_mov_b32 v14, s2
	s_mov_b32 s15, exec_lo
	v_cmpx_ne_u16_e32 0x80, v8
	s_cbranch_execz .LBB285_2568
; %bb.2563:                             ;   in Loop: Header=BB285_1567 Depth=1
	s_mov_b32 s8, s2
	v_dual_mov_b32 v15, s9 :: v_dual_and_b32 v8, 0xffff, v8
	v_mov_b32_e32 v14, s8
	s_mov_b32 s8, exec_lo
	s_delay_alu instid0(VALU_DEP_2) | instskip(NEXT) | instid1(VALU_DEP_1)
	v_and_b32_e32 v18, 0x7f, v8
	v_cmpx_ne_u32_e32 0x7f, v18
	s_cbranch_execz .LBB285_2567
; %bb.2564:                             ;   in Loop: Header=BB285_1567 Depth=1
	v_and_b32_e32 v8, 7, v8
	v_lshrrev_b32_e32 v14, 3, v18
	s_mov_b32 s17, exec_lo
	v_cmpx_gt_u32_e32 8, v18
; %bb.2565:                             ;   in Loop: Header=BB285_1567 Depth=1
	s_delay_alu instid0(VALU_DEP_3) | instskip(NEXT) | instid1(VALU_DEP_1)
	v_clz_i32_u32_e32 v14, v8
	v_min_u32_e32 v14, 32, v14
	s_delay_alu instid0(VALU_DEP_1) | instskip(SKIP_1) | instid1(VALU_DEP_2)
	v_subrev_nc_u32_e32 v15, 28, v14
	v_sub_nc_u32_e32 v14, 29, v14
	v_lshlrev_b64 v[18:19], v15, v[8:9]
	s_delay_alu instid0(VALU_DEP_1)
	v_and_b32_e32 v8, 7, v18
; %bb.2566:                             ;   in Loop: Header=BB285_1567 Depth=1
	s_or_b32 exec_lo, exec_lo, s17
	v_lshlrev_b32_e32 v15, 16, v162
	s_delay_alu instid0(VALU_DEP_2) | instskip(SKIP_1) | instid1(VALU_DEP_3)
	v_lshlrev_b32_e32 v8, 20, v8
	v_lshl_add_u32 v14, v14, 23, 0x3c000000
	v_and_b32_e32 v15, 0x80000000, v15
	s_delay_alu instid0(VALU_DEP_1)
	v_or3_b32 v15, v8, v15, v14
	v_mov_b32_e32 v14, v9
.LBB285_2567:                           ;   in Loop: Header=BB285_1567 Depth=1
	s_or_b32 exec_lo, exec_lo, s8
.LBB285_2568:                           ;   in Loop: Header=BB285_1567 Depth=1
	s_delay_alu instid0(SALU_CYCLE_1)
	s_or_b32 exec_lo, exec_lo, s15
.LBB285_2569:                           ;   in Loop: Header=BB285_1567 Depth=1
	s_delay_alu instid0(SALU_CYCLE_1) | instskip(SKIP_4) | instid1(VALU_DEP_1)
	s_or_b32 exec_lo, exec_lo, s13
	v_mov_b32_e32 v18, 0
	v_lshrrev_b32_e32 v163, 16, v162
	v_mov_b32_e32 v19, 0
	s_mov_b32 s8, exec_lo
	v_dual_mov_b32 v21, v19 :: v_dual_and_b32 v8, 0xff, v163
	v_mov_b32_e32 v20, v18
	s_delay_alu instid0(VALU_DEP_2)
	v_cmpx_ne_u16_e32 0, v8
	s_cbranch_execz .LBB285_2577
; %bb.2570:                             ;   in Loop: Header=BB285_1567 Depth=1
	v_bfrev_b32_e32 v20, 1
	v_mov_b32_e32 v21, 0
	s_mov_b32 s13, exec_lo
	v_cmpx_ne_u16_e32 0x80, v8
	s_cbranch_execz .LBB285_2576
; %bb.2571:                             ;   in Loop: Header=BB285_1567 Depth=1
	v_mov_b32_e32 v20, 0x7f800001
	v_bfe_u32 v164, v162, 16, 7
	v_mov_b32_e32 v21, 0
	s_mov_b32 s15, exec_lo
	s_delay_alu instid0(VALU_DEP_2)
	v_cmpx_ne_u32_e32 0x7f, v164
	s_cbranch_execz .LBB285_2575
; %bb.2572:                             ;   in Loop: Header=BB285_1567 Depth=1
	v_and_b32_e32 v8, 7, v163
	v_lshrrev_b32_e32 v20, 3, v164
	s_mov_b32 s17, exec_lo
	v_cmpx_gt_u32_e32 8, v164
; %bb.2573:                             ;   in Loop: Header=BB285_1567 Depth=1
	s_delay_alu instid0(VALU_DEP_3) | instskip(NEXT) | instid1(VALU_DEP_1)
	v_clz_i32_u32_e32 v20, v8
	v_min_u32_e32 v20, 32, v20
	s_delay_alu instid0(VALU_DEP_1) | instskip(SKIP_1) | instid1(VALU_DEP_2)
	v_subrev_nc_u32_e32 v21, 28, v20
	v_sub_nc_u32_e32 v20, 29, v20
	v_lshlrev_b64 v[164:165], v21, v[8:9]
	s_delay_alu instid0(VALU_DEP_1)
	v_and_b32_e32 v8, 7, v164
; %bb.2574:                             ;   in Loop: Header=BB285_1567 Depth=1
	s_or_b32 exec_lo, exec_lo, s17
	v_lshlrev_b32_e32 v21, 24, v163
	s_delay_alu instid0(VALU_DEP_2) | instskip(SKIP_1) | instid1(VALU_DEP_3)
	v_lshlrev_b32_e32 v8, 20, v8
	v_lshl_add_u32 v20, v20, 23, 0x3c000000
	v_and_b32_e32 v21, 0x80000000, v21
	s_delay_alu instid0(VALU_DEP_1) | instskip(NEXT) | instid1(VALU_DEP_1)
	v_or3_b32 v8, v8, v21, v20
	v_dual_mov_b32 v21, v9 :: v_dual_mov_b32 v20, v8
.LBB285_2575:                           ;   in Loop: Header=BB285_1567 Depth=1
	s_or_b32 exec_lo, exec_lo, s15
.LBB285_2576:                           ;   in Loop: Header=BB285_1567 Depth=1
	s_delay_alu instid0(SALU_CYCLE_1)
	s_or_b32 exec_lo, exec_lo, s13
.LBB285_2577:                           ;   in Loop: Header=BB285_1567 Depth=1
	s_delay_alu instid0(SALU_CYCLE_1) | instskip(NEXT) | instid1(SALU_CYCLE_1)
	s_or_b32 exec_lo, exec_lo, s8
	s_mov_b32 s13, exec_lo
	v_cmpx_lt_u32_e32 0xffffff, v162
	s_cbranch_execz .LBB285_2585
; %bb.2578:                             ;   in Loop: Header=BB285_1567 Depth=1
	v_lshrrev_b32_e32 v163, 24, v162
	v_dual_mov_b32 v19, s3 :: v_dual_mov_b32 v18, s2
	s_mov_b32 s15, exec_lo
	s_delay_alu instid0(VALU_DEP_2)
	v_cmpx_ne_u32_e32 0x80, v163
	s_cbranch_execz .LBB285_2584
; %bb.2579:                             ;   in Loop: Header=BB285_1567 Depth=1
	s_mov_b32 s8, s2
	v_bfe_u32 v162, v162, 24, 7
	v_dual_mov_b32 v19, s9 :: v_dual_mov_b32 v18, s8
	s_mov_b32 s8, exec_lo
	s_delay_alu instid0(VALU_DEP_2)
	v_cmpx_ne_u32_e32 0x7f, v162
	s_cbranch_execz .LBB285_2583
; %bb.2580:                             ;   in Loop: Header=BB285_1567 Depth=1
	v_and_b32_e32 v8, 7, v163
	v_lshrrev_b32_e32 v18, 3, v162
	s_mov_b32 s17, exec_lo
	v_cmpx_gt_u32_e32 8, v162
; %bb.2581:                             ;   in Loop: Header=BB285_1567 Depth=1
	s_delay_alu instid0(VALU_DEP_3) | instskip(NEXT) | instid1(VALU_DEP_1)
	v_clz_i32_u32_e32 v18, v8
	v_min_u32_e32 v18, 32, v18
	s_delay_alu instid0(VALU_DEP_1) | instskip(SKIP_1) | instid1(VALU_DEP_2)
	v_subrev_nc_u32_e32 v19, 28, v18
	v_sub_nc_u32_e32 v18, 29, v18
	v_lshlrev_b64 v[164:165], v19, v[8:9]
	s_delay_alu instid0(VALU_DEP_1)
	v_and_b32_e32 v8, 7, v164
; %bb.2582:                             ;   in Loop: Header=BB285_1567 Depth=1
	s_or_b32 exec_lo, exec_lo, s17
	v_lshlrev_b32_e32 v19, 24, v163
	s_delay_alu instid0(VALU_DEP_2) | instskip(SKIP_1) | instid1(VALU_DEP_3)
	v_lshlrev_b32_e32 v8, 20, v8
	v_lshl_add_u32 v18, v18, 23, 0x3c000000
	v_and_b32_e32 v19, 0x80000000, v19
	s_delay_alu instid0(VALU_DEP_1)
	v_or3_b32 v19, v8, v19, v18
	v_mov_b32_e32 v18, v9
.LBB285_2583:                           ;   in Loop: Header=BB285_1567 Depth=1
	s_or_b32 exec_lo, exec_lo, s8
.LBB285_2584:                           ;   in Loop: Header=BB285_1567 Depth=1
	s_delay_alu instid0(SALU_CYCLE_1)
	s_or_b32 exec_lo, exec_lo, s15
.LBB285_2585:                           ;   in Loop: Header=BB285_1567 Depth=1
	s_delay_alu instid0(SALU_CYCLE_1) | instskip(SKIP_4) | instid1(VALU_DEP_3)
	s_or_b32 exec_lo, exec_lo, s13
	v_or_b32_e32 v8, v15, v17
	v_or_b32_e32 v14, v14, v16
	;; [unrolled: 1-line block ×4, first 2 shown]
	v_dual_mul_f32 v163, v161, v8 :: v_dual_mul_f32 v162, v115, v14
	s_delay_alu instid0(VALU_DEP_2)
	v_dual_mul_f32 v20, v161, v15 :: v_dual_mul_f32 v21, v115, v16
	s_and_saveexec_b32 s8, vcc_lo
; %bb.2586:                             ;   in Loop: Header=BB285_1567 Depth=1
	v_cmp_lt_i32_e64 s0, v182, v55
	s_delay_alu instid0(VALU_DEP_1) | instskip(SKIP_1) | instid1(VALU_DEP_1)
	v_cndmask_b32_e64 v162, 0, v162, s0
	v_cmp_lt_i32_e64 s0, v40, v55
	v_cndmask_b32_e64 v163, 0, v163, s0
	v_cmp_lt_i32_e64 s0, v183, v55
	s_delay_alu instid0(VALU_DEP_1) | instskip(SKIP_1) | instid1(VALU_DEP_1)
	v_cndmask_b32_e64 v21, 0, v21, s0
	v_cmp_lt_i32_e64 s0, v151, v55
	v_cndmask_b32_e64 v20, 0, v20, s0
; %bb.2587:                             ;   in Loop: Header=BB285_1567 Depth=1
	s_or_b32 exec_lo, exec_lo, s8
	flat_load_b32 v164, v[4:5] offset:3840
	v_mov_b32_e32 v4, 0
	v_mov_b32_e32 v5, 0
	s_mov_b32 s8, exec_lo
	s_waitcnt vmcnt(0) lgkmcnt(0)
	s_delay_alu instid0(VALU_DEP_1) | instskip(SKIP_1) | instid1(VALU_DEP_2)
	v_dual_mov_b32 v15, v5 :: v_dual_and_b32 v8, 0xff, v164
	v_mov_b32_e32 v14, v4
	v_cmpx_ne_u16_e32 0, v8
	s_cbranch_execz .LBB285_2595
; %bb.2588:                             ;   in Loop: Header=BB285_1567 Depth=1
	v_bfrev_b32_e32 v14, 1
	v_mov_b32_e32 v15, 0
	s_mov_b32 s13, exec_lo
	v_cmpx_ne_u16_e32 0x80, v8
	s_cbranch_execz .LBB285_2594
; %bb.2589:                             ;   in Loop: Header=BB285_1567 Depth=1
	v_mov_b32_e32 v14, 0x7f800001
	v_dual_mov_b32 v15, 0 :: v_dual_and_b32 v16, 0x7f, v164
	s_mov_b32 s15, exec_lo
	s_delay_alu instid0(VALU_DEP_1)
	v_cmpx_ne_u32_e32 0x7f, v16
	s_cbranch_execz .LBB285_2593
; %bb.2590:                             ;   in Loop: Header=BB285_1567 Depth=1
	v_and_b32_e32 v8, 7, v164
	v_lshrrev_b32_e32 v14, 3, v16
	s_mov_b32 s17, exec_lo
	v_cmpx_gt_u32_e32 8, v16
; %bb.2591:                             ;   in Loop: Header=BB285_1567 Depth=1
	s_delay_alu instid0(VALU_DEP_3) | instskip(NEXT) | instid1(VALU_DEP_1)
	v_clz_i32_u32_e32 v14, v8
	v_min_u32_e32 v14, 32, v14
	s_delay_alu instid0(VALU_DEP_1) | instskip(SKIP_1) | instid1(VALU_DEP_2)
	v_subrev_nc_u32_e32 v15, 28, v14
	v_sub_nc_u32_e32 v14, 29, v14
	v_lshlrev_b64 v[15:16], v15, v[8:9]
	s_delay_alu instid0(VALU_DEP_1)
	v_and_b32_e32 v8, 7, v15
; %bb.2592:                             ;   in Loop: Header=BB285_1567 Depth=1
	s_or_b32 exec_lo, exec_lo, s17
	v_lshlrev_b32_e32 v15, 24, v164
	s_delay_alu instid0(VALU_DEP_2) | instskip(SKIP_1) | instid1(VALU_DEP_3)
	v_lshlrev_b32_e32 v8, 20, v8
	v_lshl_add_u32 v14, v14, 23, 0x3c000000
	v_and_b32_e32 v15, 0x80000000, v15
	s_delay_alu instid0(VALU_DEP_1) | instskip(NEXT) | instid1(VALU_DEP_1)
	v_or3_b32 v8, v8, v15, v14
	v_dual_mov_b32 v15, v9 :: v_dual_mov_b32 v14, v8
.LBB285_2593:                           ;   in Loop: Header=BB285_1567 Depth=1
	s_or_b32 exec_lo, exec_lo, s15
.LBB285_2594:                           ;   in Loop: Header=BB285_1567 Depth=1
	s_delay_alu instid0(SALU_CYCLE_1)
	s_or_b32 exec_lo, exec_lo, s13
.LBB285_2595:                           ;   in Loop: Header=BB285_1567 Depth=1
	s_delay_alu instid0(SALU_CYCLE_1) | instskip(SKIP_2) | instid1(VALU_DEP_1)
	s_or_b32 exec_lo, exec_lo, s8
	v_lshrrev_b16 v8, 8, v164
	s_mov_b32 s13, exec_lo
	v_cmpx_ne_u16_e32 0, v8
	s_cbranch_execz .LBB285_2603
; %bb.2596:                             ;   in Loop: Header=BB285_1567 Depth=1
	v_dual_mov_b32 v5, s3 :: v_dual_mov_b32 v4, s2
	s_mov_b32 s15, exec_lo
	v_cmpx_ne_u16_e32 0x80, v8
	s_cbranch_execz .LBB285_2602
; %bb.2597:                             ;   in Loop: Header=BB285_1567 Depth=1
	s_mov_b32 s8, s2
	v_and_b32_e32 v8, 0xffff, v8
	v_dual_mov_b32 v4, s8 :: v_dual_mov_b32 v5, s9
	s_mov_b32 s8, exec_lo
	s_delay_alu instid0(VALU_DEP_2) | instskip(NEXT) | instid1(VALU_DEP_1)
	v_and_b32_e32 v16, 0x7f, v8
	v_cmpx_ne_u32_e32 0x7f, v16
	s_cbranch_execz .LBB285_2601
; %bb.2598:                             ;   in Loop: Header=BB285_1567 Depth=1
	v_and_b32_e32 v8, 7, v8
	v_lshrrev_b32_e32 v4, 3, v16
	s_mov_b32 s17, exec_lo
	v_cmpx_gt_u32_e32 8, v16
; %bb.2599:                             ;   in Loop: Header=BB285_1567 Depth=1
	s_delay_alu instid0(VALU_DEP_3) | instskip(NEXT) | instid1(VALU_DEP_1)
	v_clz_i32_u32_e32 v4, v8
	v_min_u32_e32 v4, 32, v4
	s_delay_alu instid0(VALU_DEP_1) | instskip(SKIP_1) | instid1(VALU_DEP_2)
	v_subrev_nc_u32_e32 v5, 28, v4
	v_sub_nc_u32_e32 v4, 29, v4
	v_lshlrev_b64 v[16:17], v5, v[8:9]
	s_delay_alu instid0(VALU_DEP_1)
	v_and_b32_e32 v8, 7, v16
; %bb.2600:                             ;   in Loop: Header=BB285_1567 Depth=1
	s_or_b32 exec_lo, exec_lo, s17
	v_lshlrev_b32_e32 v5, 16, v164
	s_delay_alu instid0(VALU_DEP_2) | instskip(SKIP_1) | instid1(VALU_DEP_3)
	v_lshlrev_b32_e32 v8, 20, v8
	v_lshl_add_u32 v4, v4, 23, 0x3c000000
	v_and_b32_e32 v5, 0x80000000, v5
	s_delay_alu instid0(VALU_DEP_1)
	v_or3_b32 v5, v8, v5, v4
	v_mov_b32_e32 v4, v9
.LBB285_2601:                           ;   in Loop: Header=BB285_1567 Depth=1
	s_or_b32 exec_lo, exec_lo, s8
.LBB285_2602:                           ;   in Loop: Header=BB285_1567 Depth=1
	s_delay_alu instid0(SALU_CYCLE_1)
	s_or_b32 exec_lo, exec_lo, s15
.LBB285_2603:                           ;   in Loop: Header=BB285_1567 Depth=1
	s_delay_alu instid0(SALU_CYCLE_1) | instskip(SKIP_4) | instid1(VALU_DEP_1)
	s_or_b32 exec_lo, exec_lo, s13
	v_mov_b32_e32 v16, 0
	v_lshrrev_b32_e32 v165, 16, v164
	v_mov_b32_e32 v17, 0
	s_mov_b32 s8, exec_lo
	v_dual_mov_b32 v19, v17 :: v_dual_and_b32 v8, 0xff, v165
	v_mov_b32_e32 v18, v16
	s_delay_alu instid0(VALU_DEP_2)
	v_cmpx_ne_u16_e32 0, v8
	s_cbranch_execz .LBB285_2611
; %bb.2604:                             ;   in Loop: Header=BB285_1567 Depth=1
	v_bfrev_b32_e32 v18, 1
	v_mov_b32_e32 v19, 0
	s_mov_b32 s13, exec_lo
	v_cmpx_ne_u16_e32 0x80, v8
	s_cbranch_execz .LBB285_2610
; %bb.2605:                             ;   in Loop: Header=BB285_1567 Depth=1
	v_mov_b32_e32 v18, 0x7f800001
	v_bfe_u32 v166, v164, 16, 7
	v_mov_b32_e32 v19, 0
	s_mov_b32 s15, exec_lo
	s_delay_alu instid0(VALU_DEP_2)
	v_cmpx_ne_u32_e32 0x7f, v166
	s_cbranch_execz .LBB285_2609
; %bb.2606:                             ;   in Loop: Header=BB285_1567 Depth=1
	v_and_b32_e32 v8, 7, v165
	v_lshrrev_b32_e32 v18, 3, v166
	s_mov_b32 s17, exec_lo
	v_cmpx_gt_u32_e32 8, v166
; %bb.2607:                             ;   in Loop: Header=BB285_1567 Depth=1
	s_delay_alu instid0(VALU_DEP_3) | instskip(NEXT) | instid1(VALU_DEP_1)
	v_clz_i32_u32_e32 v18, v8
	v_min_u32_e32 v18, 32, v18
	s_delay_alu instid0(VALU_DEP_1) | instskip(SKIP_1) | instid1(VALU_DEP_2)
	v_subrev_nc_u32_e32 v19, 28, v18
	v_sub_nc_u32_e32 v18, 29, v18
	v_lshlrev_b64 v[166:167], v19, v[8:9]
	s_delay_alu instid0(VALU_DEP_1)
	v_and_b32_e32 v8, 7, v166
; %bb.2608:                             ;   in Loop: Header=BB285_1567 Depth=1
	s_or_b32 exec_lo, exec_lo, s17
	v_lshlrev_b32_e32 v19, 24, v165
	s_delay_alu instid0(VALU_DEP_2) | instskip(SKIP_1) | instid1(VALU_DEP_3)
	v_lshlrev_b32_e32 v8, 20, v8
	v_lshl_add_u32 v18, v18, 23, 0x3c000000
	v_and_b32_e32 v19, 0x80000000, v19
	s_delay_alu instid0(VALU_DEP_1) | instskip(NEXT) | instid1(VALU_DEP_1)
	v_or3_b32 v8, v8, v19, v18
	v_dual_mov_b32 v19, v9 :: v_dual_mov_b32 v18, v8
.LBB285_2609:                           ;   in Loop: Header=BB285_1567 Depth=1
	s_or_b32 exec_lo, exec_lo, s15
.LBB285_2610:                           ;   in Loop: Header=BB285_1567 Depth=1
	s_delay_alu instid0(SALU_CYCLE_1)
	s_or_b32 exec_lo, exec_lo, s13
.LBB285_2611:                           ;   in Loop: Header=BB285_1567 Depth=1
	s_delay_alu instid0(SALU_CYCLE_1) | instskip(NEXT) | instid1(SALU_CYCLE_1)
	s_or_b32 exec_lo, exec_lo, s8
	s_mov_b32 s13, exec_lo
	v_cmpx_lt_u32_e32 0xffffff, v164
	s_cbranch_execz .LBB285_2619
; %bb.2612:                             ;   in Loop: Header=BB285_1567 Depth=1
	v_lshrrev_b32_e32 v165, 24, v164
	v_dual_mov_b32 v17, s3 :: v_dual_mov_b32 v16, s2
	s_mov_b32 s15, exec_lo
	s_delay_alu instid0(VALU_DEP_2)
	v_cmpx_ne_u32_e32 0x80, v165
	s_cbranch_execz .LBB285_2618
; %bb.2613:                             ;   in Loop: Header=BB285_1567 Depth=1
	s_mov_b32 s8, s2
	v_bfe_u32 v164, v164, 24, 7
	v_dual_mov_b32 v17, s9 :: v_dual_mov_b32 v16, s8
	s_mov_b32 s8, exec_lo
	s_delay_alu instid0(VALU_DEP_2)
	v_cmpx_ne_u32_e32 0x7f, v164
	s_cbranch_execz .LBB285_2617
; %bb.2614:                             ;   in Loop: Header=BB285_1567 Depth=1
	v_and_b32_e32 v8, 7, v165
	v_lshrrev_b32_e32 v16, 3, v164
	s_mov_b32 s17, exec_lo
	v_cmpx_gt_u32_e32 8, v164
; %bb.2615:                             ;   in Loop: Header=BB285_1567 Depth=1
	s_delay_alu instid0(VALU_DEP_3) | instskip(NEXT) | instid1(VALU_DEP_1)
	v_clz_i32_u32_e32 v16, v8
	v_min_u32_e32 v16, 32, v16
	s_delay_alu instid0(VALU_DEP_1) | instskip(SKIP_1) | instid1(VALU_DEP_2)
	v_subrev_nc_u32_e32 v17, 28, v16
	v_sub_nc_u32_e32 v16, 29, v16
	v_lshlrev_b64 v[166:167], v17, v[8:9]
	s_delay_alu instid0(VALU_DEP_1)
	v_and_b32_e32 v8, 7, v166
; %bb.2616:                             ;   in Loop: Header=BB285_1567 Depth=1
	s_or_b32 exec_lo, exec_lo, s17
	v_lshlrev_b32_e32 v17, 24, v165
	s_delay_alu instid0(VALU_DEP_2) | instskip(SKIP_1) | instid1(VALU_DEP_3)
	v_lshlrev_b32_e32 v8, 20, v8
	v_lshl_add_u32 v16, v16, 23, 0x3c000000
	v_and_b32_e32 v17, 0x80000000, v17
	s_delay_alu instid0(VALU_DEP_1)
	v_or3_b32 v17, v8, v17, v16
	v_mov_b32_e32 v16, v9
.LBB285_2617:                           ;   in Loop: Header=BB285_1567 Depth=1
	s_or_b32 exec_lo, exec_lo, s8
.LBB285_2618:                           ;   in Loop: Header=BB285_1567 Depth=1
	s_delay_alu instid0(SALU_CYCLE_1)
	s_or_b32 exec_lo, exec_lo, s15
.LBB285_2619:                           ;   in Loop: Header=BB285_1567 Depth=1
	s_delay_alu instid0(SALU_CYCLE_1) | instskip(SKIP_4) | instid1(VALU_DEP_3)
	s_or_b32 exec_lo, exec_lo, s13
	v_or_b32_e32 v5, v5, v15
	v_or_b32_e32 v4, v4, v14
	;; [unrolled: 1-line block ×4, first 2 shown]
	v_dual_mul_f32 v166, v161, v5 :: v_dual_mul_f32 v165, v115, v4
	s_delay_alu instid0(VALU_DEP_2)
	v_dual_mul_f32 v164, v161, v8 :: v_dual_mul_f32 v167, v115, v14
	s_and_saveexec_b32 s8, vcc_lo
; %bb.2620:                             ;   in Loop: Header=BB285_1567 Depth=1
	v_cmp_lt_i32_e64 s0, v182, v55
	s_delay_alu instid0(VALU_DEP_1) | instskip(SKIP_1) | instid1(VALU_DEP_1)
	v_cndmask_b32_e64 v165, 0, v165, s0
	v_cmp_lt_i32_e64 s0, v40, v55
	v_cndmask_b32_e64 v166, 0, v166, s0
	v_cmp_lt_i32_e64 s0, v183, v55
	s_delay_alu instid0(VALU_DEP_1) | instskip(SKIP_1) | instid1(VALU_DEP_1)
	v_cndmask_b32_e64 v167, 0, v167, s0
	v_cmp_lt_i32_e64 s0, v151, v55
	v_cndmask_b32_e64 v164, 0, v164, s0
; %bb.2621:                             ;   in Loop: Header=BB285_1567 Depth=1
	s_or_b32 exec_lo, exec_lo, s8
	scratch_load_b32 v4, off, s32 offset:920 ; 4-byte Folded Reload
	s_mov_b32 s8, exec_lo
	s_waitcnt vmcnt(0)
	v_add_co_u32 v4, s0, v12, v4
	s_delay_alu instid0(VALU_DEP_1) | instskip(SKIP_4) | instid1(VALU_DEP_1)
	v_add_co_ci_u32_e64 v5, s0, 0, v13, s0
	flat_load_b32 v176, v[4:5]
	v_mov_b32_e32 v4, 0
	s_waitcnt vmcnt(0) lgkmcnt(0)
	v_dual_mov_b32 v5, 0 :: v_dual_and_b32 v8, 0xff, v176
	v_dual_mov_b32 v15, v5 :: v_dual_mov_b32 v14, v4
	s_delay_alu instid0(VALU_DEP_2)
	v_cmpx_ne_u16_e32 0, v8
	s_cbranch_execz .LBB285_2629
; %bb.2622:                             ;   in Loop: Header=BB285_1567 Depth=1
	v_bfrev_b32_e32 v14, 1
	v_mov_b32_e32 v15, 0
	s_mov_b32 s13, exec_lo
	v_cmpx_ne_u16_e32 0x80, v8
	s_cbranch_execz .LBB285_2628
; %bb.2623:                             ;   in Loop: Header=BB285_1567 Depth=1
	v_mov_b32_e32 v14, 0x7f800001
	v_dual_mov_b32 v15, 0 :: v_dual_and_b32 v16, 0x7f, v176
	s_mov_b32 s15, exec_lo
	s_delay_alu instid0(VALU_DEP_1)
	v_cmpx_ne_u32_e32 0x7f, v16
	s_cbranch_execz .LBB285_2627
; %bb.2624:                             ;   in Loop: Header=BB285_1567 Depth=1
	v_and_b32_e32 v8, 7, v176
	v_lshrrev_b32_e32 v14, 3, v16
	s_mov_b32 s17, exec_lo
	v_cmpx_gt_u32_e32 8, v16
; %bb.2625:                             ;   in Loop: Header=BB285_1567 Depth=1
	s_delay_alu instid0(VALU_DEP_3) | instskip(NEXT) | instid1(VALU_DEP_1)
	v_clz_i32_u32_e32 v14, v8
	v_min_u32_e32 v14, 32, v14
	s_delay_alu instid0(VALU_DEP_1) | instskip(SKIP_1) | instid1(VALU_DEP_2)
	v_subrev_nc_u32_e32 v15, 28, v14
	v_sub_nc_u32_e32 v14, 29, v14
	v_lshlrev_b64 v[15:16], v15, v[8:9]
	s_delay_alu instid0(VALU_DEP_1)
	v_and_b32_e32 v8, 7, v15
; %bb.2626:                             ;   in Loop: Header=BB285_1567 Depth=1
	s_or_b32 exec_lo, exec_lo, s17
	v_lshlrev_b32_e32 v15, 24, v176
	s_delay_alu instid0(VALU_DEP_2) | instskip(SKIP_1) | instid1(VALU_DEP_3)
	v_lshlrev_b32_e32 v8, 20, v8
	v_lshl_add_u32 v14, v14, 23, 0x3c000000
	v_and_b32_e32 v15, 0x80000000, v15
	s_delay_alu instid0(VALU_DEP_1) | instskip(NEXT) | instid1(VALU_DEP_1)
	v_or3_b32 v8, v8, v15, v14
	v_dual_mov_b32 v15, v9 :: v_dual_mov_b32 v14, v8
.LBB285_2627:                           ;   in Loop: Header=BB285_1567 Depth=1
	s_or_b32 exec_lo, exec_lo, s15
.LBB285_2628:                           ;   in Loop: Header=BB285_1567 Depth=1
	s_delay_alu instid0(SALU_CYCLE_1)
	s_or_b32 exec_lo, exec_lo, s13
.LBB285_2629:                           ;   in Loop: Header=BB285_1567 Depth=1
	s_delay_alu instid0(SALU_CYCLE_1) | instskip(SKIP_2) | instid1(VALU_DEP_1)
	s_or_b32 exec_lo, exec_lo, s8
	v_lshrrev_b16 v8, 8, v176
	s_mov_b32 s13, exec_lo
	v_cmpx_ne_u16_e32 0, v8
	s_cbranch_execz .LBB285_2637
; %bb.2630:                             ;   in Loop: Header=BB285_1567 Depth=1
	v_dual_mov_b32 v5, s3 :: v_dual_mov_b32 v4, s2
	s_mov_b32 s15, exec_lo
	v_cmpx_ne_u16_e32 0x80, v8
	s_cbranch_execz .LBB285_2636
; %bb.2631:                             ;   in Loop: Header=BB285_1567 Depth=1
	s_mov_b32 s8, s2
	v_and_b32_e32 v8, 0xffff, v8
	v_dual_mov_b32 v4, s8 :: v_dual_mov_b32 v5, s9
	s_mov_b32 s8, exec_lo
	s_delay_alu instid0(VALU_DEP_2) | instskip(NEXT) | instid1(VALU_DEP_1)
	v_and_b32_e32 v16, 0x7f, v8
	v_cmpx_ne_u32_e32 0x7f, v16
	s_cbranch_execz .LBB285_2635
; %bb.2632:                             ;   in Loop: Header=BB285_1567 Depth=1
	v_and_b32_e32 v8, 7, v8
	v_lshrrev_b32_e32 v4, 3, v16
	s_mov_b32 s17, exec_lo
	v_cmpx_gt_u32_e32 8, v16
; %bb.2633:                             ;   in Loop: Header=BB285_1567 Depth=1
	s_delay_alu instid0(VALU_DEP_3) | instskip(NEXT) | instid1(VALU_DEP_1)
	v_clz_i32_u32_e32 v4, v8
	v_min_u32_e32 v4, 32, v4
	s_delay_alu instid0(VALU_DEP_1) | instskip(SKIP_1) | instid1(VALU_DEP_2)
	v_subrev_nc_u32_e32 v5, 28, v4
	v_sub_nc_u32_e32 v4, 29, v4
	v_lshlrev_b64 v[16:17], v5, v[8:9]
	s_delay_alu instid0(VALU_DEP_1)
	v_and_b32_e32 v8, 7, v16
; %bb.2634:                             ;   in Loop: Header=BB285_1567 Depth=1
	s_or_b32 exec_lo, exec_lo, s17
	v_lshlrev_b32_e32 v5, 16, v176
	s_delay_alu instid0(VALU_DEP_2) | instskip(SKIP_1) | instid1(VALU_DEP_3)
	v_lshlrev_b32_e32 v8, 20, v8
	v_lshl_add_u32 v4, v4, 23, 0x3c000000
	v_and_b32_e32 v5, 0x80000000, v5
	s_delay_alu instid0(VALU_DEP_1)
	v_or3_b32 v5, v8, v5, v4
	v_mov_b32_e32 v4, v9
.LBB285_2635:                           ;   in Loop: Header=BB285_1567 Depth=1
	s_or_b32 exec_lo, exec_lo, s8
.LBB285_2636:                           ;   in Loop: Header=BB285_1567 Depth=1
	s_delay_alu instid0(SALU_CYCLE_1)
	s_or_b32 exec_lo, exec_lo, s15
.LBB285_2637:                           ;   in Loop: Header=BB285_1567 Depth=1
	s_delay_alu instid0(SALU_CYCLE_1) | instskip(SKIP_4) | instid1(VALU_DEP_1)
	s_or_b32 exec_lo, exec_lo, s13
	v_mov_b32_e32 v16, 0
	v_lshrrev_b32_e32 v177, 16, v176
	v_mov_b32_e32 v17, 0
	s_mov_b32 s8, exec_lo
	v_dual_mov_b32 v19, v17 :: v_dual_and_b32 v8, 0xff, v177
	v_mov_b32_e32 v18, v16
	s_delay_alu instid0(VALU_DEP_2)
	v_cmpx_ne_u16_e32 0, v8
	s_cbranch_execz .LBB285_2645
; %bb.2638:                             ;   in Loop: Header=BB285_1567 Depth=1
	v_bfrev_b32_e32 v18, 1
	v_mov_b32_e32 v19, 0
	s_mov_b32 s13, exec_lo
	v_cmpx_ne_u16_e32 0x80, v8
	s_cbranch_execz .LBB285_2644
; %bb.2639:                             ;   in Loop: Header=BB285_1567 Depth=1
	v_mov_b32_e32 v18, 0x7f800001
	v_bfe_u32 v178, v176, 16, 7
	v_mov_b32_e32 v19, 0
	s_mov_b32 s15, exec_lo
	s_delay_alu instid0(VALU_DEP_2)
	v_cmpx_ne_u32_e32 0x7f, v178
	s_cbranch_execz .LBB285_2643
; %bb.2640:                             ;   in Loop: Header=BB285_1567 Depth=1
	v_and_b32_e32 v8, 7, v177
	v_lshrrev_b32_e32 v18, 3, v178
	s_mov_b32 s17, exec_lo
	v_cmpx_gt_u32_e32 8, v178
; %bb.2641:                             ;   in Loop: Header=BB285_1567 Depth=1
	s_delay_alu instid0(VALU_DEP_3) | instskip(NEXT) | instid1(VALU_DEP_1)
	v_clz_i32_u32_e32 v18, v8
	v_min_u32_e32 v18, 32, v18
	s_delay_alu instid0(VALU_DEP_1) | instskip(SKIP_1) | instid1(VALU_DEP_2)
	v_subrev_nc_u32_e32 v19, 28, v18
	v_sub_nc_u32_e32 v18, 29, v18
	v_lshlrev_b64 v[178:179], v19, v[8:9]
	s_delay_alu instid0(VALU_DEP_1)
	v_and_b32_e32 v8, 7, v178
; %bb.2642:                             ;   in Loop: Header=BB285_1567 Depth=1
	s_or_b32 exec_lo, exec_lo, s17
	v_lshlrev_b32_e32 v19, 24, v177
	s_delay_alu instid0(VALU_DEP_2) | instskip(SKIP_1) | instid1(VALU_DEP_3)
	v_lshlrev_b32_e32 v8, 20, v8
	v_lshl_add_u32 v18, v18, 23, 0x3c000000
	v_and_b32_e32 v19, 0x80000000, v19
	s_delay_alu instid0(VALU_DEP_1) | instskip(NEXT) | instid1(VALU_DEP_1)
	v_or3_b32 v8, v8, v19, v18
	v_dual_mov_b32 v19, v9 :: v_dual_mov_b32 v18, v8
.LBB285_2643:                           ;   in Loop: Header=BB285_1567 Depth=1
	s_or_b32 exec_lo, exec_lo, s15
.LBB285_2644:                           ;   in Loop: Header=BB285_1567 Depth=1
	s_delay_alu instid0(SALU_CYCLE_1)
	s_or_b32 exec_lo, exec_lo, s13
.LBB285_2645:                           ;   in Loop: Header=BB285_1567 Depth=1
	s_delay_alu instid0(SALU_CYCLE_1) | instskip(NEXT) | instid1(SALU_CYCLE_1)
	s_or_b32 exec_lo, exec_lo, s8
	s_mov_b32 s13, exec_lo
	v_cmpx_lt_u32_e32 0xffffff, v176
	s_cbranch_execz .LBB285_2653
; %bb.2646:                             ;   in Loop: Header=BB285_1567 Depth=1
	v_lshrrev_b32_e32 v177, 24, v176
	v_dual_mov_b32 v17, s3 :: v_dual_mov_b32 v16, s2
	s_mov_b32 s15, exec_lo
	s_delay_alu instid0(VALU_DEP_2)
	v_cmpx_ne_u32_e32 0x80, v177
	s_cbranch_execz .LBB285_2652
; %bb.2647:                             ;   in Loop: Header=BB285_1567 Depth=1
	s_mov_b32 s8, s2
	v_bfe_u32 v176, v176, 24, 7
	v_dual_mov_b32 v17, s9 :: v_dual_mov_b32 v16, s8
	s_mov_b32 s8, exec_lo
	s_delay_alu instid0(VALU_DEP_2)
	v_cmpx_ne_u32_e32 0x7f, v176
	s_cbranch_execz .LBB285_2651
; %bb.2648:                             ;   in Loop: Header=BB285_1567 Depth=1
	v_and_b32_e32 v8, 7, v177
	v_lshrrev_b32_e32 v16, 3, v176
	s_mov_b32 s17, exec_lo
	v_cmpx_gt_u32_e32 8, v176
; %bb.2649:                             ;   in Loop: Header=BB285_1567 Depth=1
	s_delay_alu instid0(VALU_DEP_3) | instskip(NEXT) | instid1(VALU_DEP_1)
	v_clz_i32_u32_e32 v16, v8
	v_min_u32_e32 v16, 32, v16
	s_delay_alu instid0(VALU_DEP_1) | instskip(SKIP_1) | instid1(VALU_DEP_2)
	v_subrev_nc_u32_e32 v17, 28, v16
	v_sub_nc_u32_e32 v16, 29, v16
	v_lshlrev_b64 v[178:179], v17, v[8:9]
	s_delay_alu instid0(VALU_DEP_1)
	v_and_b32_e32 v8, 7, v178
; %bb.2650:                             ;   in Loop: Header=BB285_1567 Depth=1
	s_or_b32 exec_lo, exec_lo, s17
	v_lshlrev_b32_e32 v17, 24, v177
	s_delay_alu instid0(VALU_DEP_2) | instskip(SKIP_1) | instid1(VALU_DEP_3)
	v_lshlrev_b32_e32 v8, 20, v8
	v_lshl_add_u32 v16, v16, 23, 0x3c000000
	v_and_b32_e32 v17, 0x80000000, v17
	s_delay_alu instid0(VALU_DEP_1)
	v_or3_b32 v17, v8, v17, v16
	v_mov_b32_e32 v16, v9
.LBB285_2651:                           ;   in Loop: Header=BB285_1567 Depth=1
	s_or_b32 exec_lo, exec_lo, s8
.LBB285_2652:                           ;   in Loop: Header=BB285_1567 Depth=1
	s_delay_alu instid0(SALU_CYCLE_1)
	s_or_b32 exec_lo, exec_lo, s15
.LBB285_2653:                           ;   in Loop: Header=BB285_1567 Depth=1
	s_delay_alu instid0(SALU_CYCLE_1) | instskip(SKIP_4) | instid1(VALU_DEP_3)
	s_or_b32 exec_lo, exec_lo, s13
	v_or_b32_e32 v5, v5, v15
	v_or_b32_e32 v4, v4, v14
	;; [unrolled: 1-line block ×4, first 2 shown]
	v_dual_mul_f32 v178, v161, v5 :: v_dual_mul_f32 v177, v115, v4
	s_delay_alu instid0(VALU_DEP_2)
	v_dual_mul_f32 v176, v161, v8 :: v_dual_mul_f32 v179, v115, v14
	s_and_saveexec_b32 s8, vcc_lo
; %bb.2654:                             ;   in Loop: Header=BB285_1567 Depth=1
	v_cmp_lt_i32_e64 s0, v182, v55
	s_delay_alu instid0(VALU_DEP_1) | instskip(SKIP_1) | instid1(VALU_DEP_1)
	v_cndmask_b32_e64 v177, 0, v177, s0
	v_cmp_lt_i32_e64 s0, v40, v55
	v_cndmask_b32_e64 v178, 0, v178, s0
	v_cmp_lt_i32_e64 s0, v183, v55
	s_delay_alu instid0(VALU_DEP_1) | instskip(SKIP_1) | instid1(VALU_DEP_1)
	v_cndmask_b32_e64 v179, 0, v179, s0
	v_cmp_lt_i32_e64 s0, v151, v55
	v_cndmask_b32_e64 v176, 0, v176, s0
; %bb.2655:                             ;   in Loop: Header=BB285_1567 Depth=1
	s_or_b32 exec_lo, exec_lo, s8
	scratch_load_b32 v4, off, s32 offset:928 ; 4-byte Folded Reload
	s_mov_b32 s8, exec_lo
	s_waitcnt vmcnt(0)
	v_add_co_u32 v4, s0, v12, v4
	s_delay_alu instid0(VALU_DEP_1) | instskip(SKIP_4) | instid1(VALU_DEP_1)
	v_add_co_ci_u32_e64 v5, s0, 0, v13, s0
	flat_load_b32 v180, v[4:5]
	v_mov_b32_e32 v4, 0
	s_waitcnt vmcnt(0) lgkmcnt(0)
	v_dual_mov_b32 v5, 0 :: v_dual_and_b32 v8, 0xff, v180
	v_dual_mov_b32 v15, v5 :: v_dual_mov_b32 v14, v4
	s_delay_alu instid0(VALU_DEP_2)
	v_cmpx_ne_u16_e32 0, v8
	s_cbranch_execz .LBB285_2663
; %bb.2656:                             ;   in Loop: Header=BB285_1567 Depth=1
	v_bfrev_b32_e32 v14, 1
	v_mov_b32_e32 v15, 0
	s_mov_b32 s13, exec_lo
	v_cmpx_ne_u16_e32 0x80, v8
	s_cbranch_execz .LBB285_2662
; %bb.2657:                             ;   in Loop: Header=BB285_1567 Depth=1
	v_mov_b32_e32 v14, 0x7f800001
	v_dual_mov_b32 v15, 0 :: v_dual_and_b32 v16, 0x7f, v180
	s_mov_b32 s15, exec_lo
	s_delay_alu instid0(VALU_DEP_1)
	v_cmpx_ne_u32_e32 0x7f, v16
	s_cbranch_execz .LBB285_2661
; %bb.2658:                             ;   in Loop: Header=BB285_1567 Depth=1
	v_and_b32_e32 v8, 7, v180
	v_lshrrev_b32_e32 v14, 3, v16
	s_mov_b32 s17, exec_lo
	v_cmpx_gt_u32_e32 8, v16
; %bb.2659:                             ;   in Loop: Header=BB285_1567 Depth=1
	s_delay_alu instid0(VALU_DEP_3) | instskip(NEXT) | instid1(VALU_DEP_1)
	v_clz_i32_u32_e32 v14, v8
	v_min_u32_e32 v14, 32, v14
	s_delay_alu instid0(VALU_DEP_1) | instskip(SKIP_1) | instid1(VALU_DEP_2)
	v_subrev_nc_u32_e32 v15, 28, v14
	v_sub_nc_u32_e32 v14, 29, v14
	v_lshlrev_b64 v[15:16], v15, v[8:9]
	s_delay_alu instid0(VALU_DEP_1)
	v_and_b32_e32 v8, 7, v15
; %bb.2660:                             ;   in Loop: Header=BB285_1567 Depth=1
	s_or_b32 exec_lo, exec_lo, s17
	v_lshlrev_b32_e32 v15, 24, v180
	s_delay_alu instid0(VALU_DEP_2) | instskip(SKIP_1) | instid1(VALU_DEP_3)
	v_lshlrev_b32_e32 v8, 20, v8
	v_lshl_add_u32 v14, v14, 23, 0x3c000000
	v_and_b32_e32 v15, 0x80000000, v15
	s_delay_alu instid0(VALU_DEP_1) | instskip(NEXT) | instid1(VALU_DEP_1)
	v_or3_b32 v8, v8, v15, v14
	v_dual_mov_b32 v15, v9 :: v_dual_mov_b32 v14, v8
.LBB285_2661:                           ;   in Loop: Header=BB285_1567 Depth=1
	s_or_b32 exec_lo, exec_lo, s15
.LBB285_2662:                           ;   in Loop: Header=BB285_1567 Depth=1
	s_delay_alu instid0(SALU_CYCLE_1)
	s_or_b32 exec_lo, exec_lo, s13
.LBB285_2663:                           ;   in Loop: Header=BB285_1567 Depth=1
	s_delay_alu instid0(SALU_CYCLE_1) | instskip(SKIP_2) | instid1(VALU_DEP_1)
	s_or_b32 exec_lo, exec_lo, s8
	v_lshrrev_b16 v8, 8, v180
	s_mov_b32 s13, exec_lo
	v_cmpx_ne_u16_e32 0, v8
	s_cbranch_execz .LBB285_2671
; %bb.2664:                             ;   in Loop: Header=BB285_1567 Depth=1
	v_dual_mov_b32 v5, s3 :: v_dual_mov_b32 v4, s2
	s_mov_b32 s15, exec_lo
	v_cmpx_ne_u16_e32 0x80, v8
	s_cbranch_execz .LBB285_2670
; %bb.2665:                             ;   in Loop: Header=BB285_1567 Depth=1
	s_mov_b32 s8, s2
	v_and_b32_e32 v8, 0xffff, v8
	v_dual_mov_b32 v4, s8 :: v_dual_mov_b32 v5, s9
	s_mov_b32 s8, exec_lo
	s_delay_alu instid0(VALU_DEP_2) | instskip(NEXT) | instid1(VALU_DEP_1)
	v_and_b32_e32 v16, 0x7f, v8
	v_cmpx_ne_u32_e32 0x7f, v16
	s_cbranch_execz .LBB285_2669
; %bb.2666:                             ;   in Loop: Header=BB285_1567 Depth=1
	v_and_b32_e32 v8, 7, v8
	v_lshrrev_b32_e32 v4, 3, v16
	s_mov_b32 s17, exec_lo
	v_cmpx_gt_u32_e32 8, v16
; %bb.2667:                             ;   in Loop: Header=BB285_1567 Depth=1
	s_delay_alu instid0(VALU_DEP_3) | instskip(NEXT) | instid1(VALU_DEP_1)
	v_clz_i32_u32_e32 v4, v8
	v_min_u32_e32 v4, 32, v4
	s_delay_alu instid0(VALU_DEP_1) | instskip(SKIP_1) | instid1(VALU_DEP_2)
	v_subrev_nc_u32_e32 v5, 28, v4
	v_sub_nc_u32_e32 v4, 29, v4
	v_lshlrev_b64 v[16:17], v5, v[8:9]
	s_delay_alu instid0(VALU_DEP_1)
	v_and_b32_e32 v8, 7, v16
; %bb.2668:                             ;   in Loop: Header=BB285_1567 Depth=1
	s_or_b32 exec_lo, exec_lo, s17
	v_lshlrev_b32_e32 v5, 16, v180
	s_delay_alu instid0(VALU_DEP_2) | instskip(SKIP_1) | instid1(VALU_DEP_3)
	v_lshlrev_b32_e32 v8, 20, v8
	v_lshl_add_u32 v4, v4, 23, 0x3c000000
	v_and_b32_e32 v5, 0x80000000, v5
	s_delay_alu instid0(VALU_DEP_1)
	v_or3_b32 v5, v8, v5, v4
	v_mov_b32_e32 v4, v9
.LBB285_2669:                           ;   in Loop: Header=BB285_1567 Depth=1
	s_or_b32 exec_lo, exec_lo, s8
.LBB285_2670:                           ;   in Loop: Header=BB285_1567 Depth=1
	s_delay_alu instid0(SALU_CYCLE_1)
	s_or_b32 exec_lo, exec_lo, s15
.LBB285_2671:                           ;   in Loop: Header=BB285_1567 Depth=1
	s_delay_alu instid0(SALU_CYCLE_1) | instskip(SKIP_4) | instid1(VALU_DEP_1)
	s_or_b32 exec_lo, exec_lo, s13
	v_mov_b32_e32 v16, 0
	v_lshrrev_b32_e32 v181, 16, v180
	v_mov_b32_e32 v17, 0
	s_mov_b32 s8, exec_lo
	v_dual_mov_b32 v19, v17 :: v_dual_and_b32 v8, 0xff, v181
	v_mov_b32_e32 v18, v16
	s_delay_alu instid0(VALU_DEP_2)
	v_cmpx_ne_u16_e32 0, v8
	s_cbranch_execz .LBB285_2679
; %bb.2672:                             ;   in Loop: Header=BB285_1567 Depth=1
	v_bfrev_b32_e32 v18, 1
	v_mov_b32_e32 v19, 0
	s_mov_b32 s13, exec_lo
	v_cmpx_ne_u16_e32 0x80, v8
	s_cbranch_execz .LBB285_2678
; %bb.2673:                             ;   in Loop: Header=BB285_1567 Depth=1
	v_mov_b32_e32 v18, 0x7f800001
	v_bfe_u32 v41, v180, 16, 7
	v_mov_b32_e32 v19, 0
	s_mov_b32 s15, exec_lo
	s_delay_alu instid0(VALU_DEP_2)
	v_cmpx_ne_u32_e32 0x7f, v41
	s_cbranch_execz .LBB285_2677
; %bb.2674:                             ;   in Loop: Header=BB285_1567 Depth=1
	v_and_b32_e32 v8, 7, v181
	v_lshrrev_b32_e32 v18, 3, v41
	s_mov_b32 s17, exec_lo
	v_cmpx_gt_u32_e32 8, v41
; %bb.2675:                             ;   in Loop: Header=BB285_1567 Depth=1
	s_delay_alu instid0(VALU_DEP_3) | instskip(NEXT) | instid1(VALU_DEP_1)
	v_clz_i32_u32_e32 v18, v8
	v_min_u32_e32 v18, 32, v18
	s_delay_alu instid0(VALU_DEP_1) | instskip(SKIP_1) | instid1(VALU_DEP_2)
	v_subrev_nc_u32_e32 v19, 28, v18
	v_sub_nc_u32_e32 v18, 29, v18
	v_lshlrev_b64 v[41:42], v19, v[8:9]
	s_delay_alu instid0(VALU_DEP_1)
	v_and_b32_e32 v8, 7, v41
; %bb.2676:                             ;   in Loop: Header=BB285_1567 Depth=1
	s_or_b32 exec_lo, exec_lo, s17
	v_lshlrev_b32_e32 v19, 24, v181
	s_delay_alu instid0(VALU_DEP_2) | instskip(SKIP_1) | instid1(VALU_DEP_3)
	v_lshlrev_b32_e32 v8, 20, v8
	v_lshl_add_u32 v18, v18, 23, 0x3c000000
	v_and_b32_e32 v19, 0x80000000, v19
	s_delay_alu instid0(VALU_DEP_1) | instskip(NEXT) | instid1(VALU_DEP_1)
	v_or3_b32 v8, v8, v19, v18
	v_dual_mov_b32 v19, v9 :: v_dual_mov_b32 v18, v8
.LBB285_2677:                           ;   in Loop: Header=BB285_1567 Depth=1
	s_or_b32 exec_lo, exec_lo, s15
.LBB285_2678:                           ;   in Loop: Header=BB285_1567 Depth=1
	s_delay_alu instid0(SALU_CYCLE_1)
	s_or_b32 exec_lo, exec_lo, s13
.LBB285_2679:                           ;   in Loop: Header=BB285_1567 Depth=1
	s_delay_alu instid0(SALU_CYCLE_1) | instskip(NEXT) | instid1(SALU_CYCLE_1)
	s_or_b32 exec_lo, exec_lo, s8
	s_mov_b32 s13, exec_lo
	v_cmpx_lt_u32_e32 0xffffff, v180
	s_cbranch_execz .LBB285_2687
; %bb.2680:                             ;   in Loop: Header=BB285_1567 Depth=1
	v_lshrrev_b32_e32 v181, 24, v180
	v_dual_mov_b32 v17, s3 :: v_dual_mov_b32 v16, s2
	s_mov_b32 s15, exec_lo
	s_delay_alu instid0(VALU_DEP_2)
	v_cmpx_ne_u32_e32 0x80, v181
	s_cbranch_execz .LBB285_2686
; %bb.2681:                             ;   in Loop: Header=BB285_1567 Depth=1
	s_mov_b32 s8, s2
	v_bfe_u32 v180, v180, 24, 7
	v_dual_mov_b32 v17, s9 :: v_dual_mov_b32 v16, s8
	s_mov_b32 s8, exec_lo
	s_delay_alu instid0(VALU_DEP_2)
	v_cmpx_ne_u32_e32 0x7f, v180
	s_cbranch_execz .LBB285_2685
; %bb.2682:                             ;   in Loop: Header=BB285_1567 Depth=1
	v_and_b32_e32 v8, 7, v181
	v_lshrrev_b32_e32 v16, 3, v180
	s_mov_b32 s17, exec_lo
	v_cmpx_gt_u32_e32 8, v180
; %bb.2683:                             ;   in Loop: Header=BB285_1567 Depth=1
	s_delay_alu instid0(VALU_DEP_3) | instskip(NEXT) | instid1(VALU_DEP_1)
	v_clz_i32_u32_e32 v16, v8
	v_min_u32_e32 v16, 32, v16
	s_delay_alu instid0(VALU_DEP_1) | instskip(SKIP_1) | instid1(VALU_DEP_2)
	v_subrev_nc_u32_e32 v17, 28, v16
	v_sub_nc_u32_e32 v16, 29, v16
	v_lshlrev_b64 v[41:42], v17, v[8:9]
	s_delay_alu instid0(VALU_DEP_1)
	v_and_b32_e32 v8, 7, v41
; %bb.2684:                             ;   in Loop: Header=BB285_1567 Depth=1
	s_or_b32 exec_lo, exec_lo, s17
	v_lshlrev_b32_e32 v17, 24, v181
	s_delay_alu instid0(VALU_DEP_2) | instskip(SKIP_1) | instid1(VALU_DEP_3)
	v_lshlrev_b32_e32 v8, 20, v8
	v_lshl_add_u32 v16, v16, 23, 0x3c000000
	v_and_b32_e32 v17, 0x80000000, v17
	s_delay_alu instid0(VALU_DEP_1)
	v_or3_b32 v17, v8, v17, v16
	v_mov_b32_e32 v16, v9
.LBB285_2685:                           ;   in Loop: Header=BB285_1567 Depth=1
	s_or_b32 exec_lo, exec_lo, s8
.LBB285_2686:                           ;   in Loop: Header=BB285_1567 Depth=1
	s_delay_alu instid0(SALU_CYCLE_1)
	s_or_b32 exec_lo, exec_lo, s15
.LBB285_2687:                           ;   in Loop: Header=BB285_1567 Depth=1
	s_delay_alu instid0(SALU_CYCLE_1) | instskip(SKIP_4) | instid1(VALU_DEP_4)
	s_or_b32 exec_lo, exec_lo, s13
	v_or_b32_e32 v5, v5, v15
	v_or_b32_e32 v4, v4, v14
	;; [unrolled: 1-line block ×4, first 2 shown]
	v_mul_f32_e32 v41, v161, v5
	s_delay_alu instid0(VALU_DEP_4) | instskip(NEXT) | instid1(VALU_DEP_4)
	v_mul_f32_e32 v181, v115, v4
	v_mul_f32_e32 v180, v161, v8
	s_delay_alu instid0(VALU_DEP_4)
	v_mul_f32_e32 v42, v115, v14
	s_and_saveexec_b32 s8, vcc_lo
; %bb.2688:                             ;   in Loop: Header=BB285_1567 Depth=1
	v_cmp_lt_i32_e64 s0, v182, v55
	s_delay_alu instid0(VALU_DEP_1) | instskip(SKIP_1) | instid1(VALU_DEP_1)
	v_cndmask_b32_e64 v181, 0, v181, s0
	v_cmp_lt_i32_e64 s0, v40, v55
	v_cndmask_b32_e64 v41, 0, v41, s0
	v_cmp_lt_i32_e64 s0, v183, v55
	s_delay_alu instid0(VALU_DEP_1) | instskip(SKIP_1) | instid1(VALU_DEP_1)
	v_cndmask_b32_e64 v42, 0, v42, s0
	v_cmp_lt_i32_e64 s0, v151, v55
	v_cndmask_b32_e64 v180, 0, v180, s0
; %bb.2689:                             ;   in Loop: Header=BB285_1567 Depth=1
	s_or_b32 exec_lo, exec_lo, s8
	scratch_load_b32 v4, off, s32 offset:936 ; 4-byte Folded Reload
	s_mov_b32 s8, exec_lo
	s_waitcnt vmcnt(0)
	v_add_co_u32 v4, s0, v12, v4
	s_delay_alu instid0(VALU_DEP_1) | instskip(SKIP_4) | instid1(VALU_DEP_1)
	v_add_co_ci_u32_e64 v5, s0, 0, v13, s0
	flat_load_b32 v43, v[4:5]
	v_mov_b32_e32 v4, 0
	s_waitcnt vmcnt(0) lgkmcnt(0)
	v_dual_mov_b32 v5, 0 :: v_dual_and_b32 v8, 0xff, v43
	v_dual_mov_b32 v15, v5 :: v_dual_mov_b32 v14, v4
	s_delay_alu instid0(VALU_DEP_2)
	v_cmpx_ne_u16_e32 0, v8
	s_cbranch_execz .LBB285_2697
; %bb.2690:                             ;   in Loop: Header=BB285_1567 Depth=1
	v_bfrev_b32_e32 v14, 1
	v_mov_b32_e32 v15, 0
	s_mov_b32 s13, exec_lo
	v_cmpx_ne_u16_e32 0x80, v8
	s_cbranch_execz .LBB285_2696
; %bb.2691:                             ;   in Loop: Header=BB285_1567 Depth=1
	v_mov_b32_e32 v14, 0x7f800001
	v_dual_mov_b32 v15, 0 :: v_dual_and_b32 v16, 0x7f, v43
	s_mov_b32 s15, exec_lo
	s_delay_alu instid0(VALU_DEP_1)
	v_cmpx_ne_u32_e32 0x7f, v16
	s_cbranch_execz .LBB285_2695
; %bb.2692:                             ;   in Loop: Header=BB285_1567 Depth=1
	v_and_b32_e32 v8, 7, v43
	v_lshrrev_b32_e32 v14, 3, v16
	s_mov_b32 s17, exec_lo
	v_cmpx_gt_u32_e32 8, v16
; %bb.2693:                             ;   in Loop: Header=BB285_1567 Depth=1
	s_delay_alu instid0(VALU_DEP_3) | instskip(NEXT) | instid1(VALU_DEP_1)
	v_clz_i32_u32_e32 v14, v8
	v_min_u32_e32 v14, 32, v14
	s_delay_alu instid0(VALU_DEP_1) | instskip(SKIP_1) | instid1(VALU_DEP_2)
	v_subrev_nc_u32_e32 v15, 28, v14
	v_sub_nc_u32_e32 v14, 29, v14
	v_lshlrev_b64 v[15:16], v15, v[8:9]
	s_delay_alu instid0(VALU_DEP_1)
	v_and_b32_e32 v8, 7, v15
; %bb.2694:                             ;   in Loop: Header=BB285_1567 Depth=1
	s_or_b32 exec_lo, exec_lo, s17
	v_lshlrev_b32_e32 v15, 24, v43
	s_delay_alu instid0(VALU_DEP_2) | instskip(SKIP_1) | instid1(VALU_DEP_3)
	v_lshlrev_b32_e32 v8, 20, v8
	v_lshl_add_u32 v14, v14, 23, 0x3c000000
	v_and_b32_e32 v15, 0x80000000, v15
	s_delay_alu instid0(VALU_DEP_1) | instskip(NEXT) | instid1(VALU_DEP_1)
	v_or3_b32 v8, v8, v15, v14
	v_dual_mov_b32 v15, v9 :: v_dual_mov_b32 v14, v8
.LBB285_2695:                           ;   in Loop: Header=BB285_1567 Depth=1
	s_or_b32 exec_lo, exec_lo, s15
.LBB285_2696:                           ;   in Loop: Header=BB285_1567 Depth=1
	s_delay_alu instid0(SALU_CYCLE_1)
	s_or_b32 exec_lo, exec_lo, s13
.LBB285_2697:                           ;   in Loop: Header=BB285_1567 Depth=1
	s_delay_alu instid0(SALU_CYCLE_1) | instskip(SKIP_2) | instid1(VALU_DEP_1)
	s_or_b32 exec_lo, exec_lo, s8
	v_lshrrev_b16 v8, 8, v43
	s_mov_b32 s13, exec_lo
	v_cmpx_ne_u16_e32 0, v8
	s_cbranch_execz .LBB285_2705
; %bb.2698:                             ;   in Loop: Header=BB285_1567 Depth=1
	v_dual_mov_b32 v5, s3 :: v_dual_mov_b32 v4, s2
	s_mov_b32 s15, exec_lo
	v_cmpx_ne_u16_e32 0x80, v8
	s_cbranch_execz .LBB285_2704
; %bb.2699:                             ;   in Loop: Header=BB285_1567 Depth=1
	s_mov_b32 s8, s2
	v_and_b32_e32 v8, 0xffff, v8
	v_dual_mov_b32 v4, s8 :: v_dual_mov_b32 v5, s9
	s_mov_b32 s8, exec_lo
	s_delay_alu instid0(VALU_DEP_2) | instskip(NEXT) | instid1(VALU_DEP_1)
	v_and_b32_e32 v16, 0x7f, v8
	v_cmpx_ne_u32_e32 0x7f, v16
	s_cbranch_execz .LBB285_2703
; %bb.2700:                             ;   in Loop: Header=BB285_1567 Depth=1
	v_and_b32_e32 v8, 7, v8
	v_lshrrev_b32_e32 v4, 3, v16
	s_mov_b32 s17, exec_lo
	v_cmpx_gt_u32_e32 8, v16
; %bb.2701:                             ;   in Loop: Header=BB285_1567 Depth=1
	s_delay_alu instid0(VALU_DEP_3) | instskip(NEXT) | instid1(VALU_DEP_1)
	v_clz_i32_u32_e32 v4, v8
	v_min_u32_e32 v4, 32, v4
	s_delay_alu instid0(VALU_DEP_1) | instskip(SKIP_1) | instid1(VALU_DEP_2)
	v_subrev_nc_u32_e32 v5, 28, v4
	v_sub_nc_u32_e32 v4, 29, v4
	v_lshlrev_b64 v[16:17], v5, v[8:9]
	s_delay_alu instid0(VALU_DEP_1)
	v_and_b32_e32 v8, 7, v16
; %bb.2702:                             ;   in Loop: Header=BB285_1567 Depth=1
	s_or_b32 exec_lo, exec_lo, s17
	v_lshlrev_b32_e32 v5, 16, v43
	s_delay_alu instid0(VALU_DEP_2) | instskip(SKIP_1) | instid1(VALU_DEP_3)
	v_lshlrev_b32_e32 v8, 20, v8
	v_lshl_add_u32 v4, v4, 23, 0x3c000000
	v_and_b32_e32 v5, 0x80000000, v5
	s_delay_alu instid0(VALU_DEP_1)
	v_or3_b32 v5, v8, v5, v4
	v_mov_b32_e32 v4, v9
.LBB285_2703:                           ;   in Loop: Header=BB285_1567 Depth=1
	s_or_b32 exec_lo, exec_lo, s8
.LBB285_2704:                           ;   in Loop: Header=BB285_1567 Depth=1
	s_delay_alu instid0(SALU_CYCLE_1)
	s_or_b32 exec_lo, exec_lo, s15
.LBB285_2705:                           ;   in Loop: Header=BB285_1567 Depth=1
	s_delay_alu instid0(SALU_CYCLE_1) | instskip(SKIP_4) | instid1(VALU_DEP_1)
	s_or_b32 exec_lo, exec_lo, s13
	v_mov_b32_e32 v16, 0
	v_lshrrev_b32_e32 v44, 16, v43
	v_mov_b32_e32 v17, 0
	s_mov_b32 s8, exec_lo
	v_dual_mov_b32 v19, v17 :: v_dual_and_b32 v8, 0xff, v44
	v_mov_b32_e32 v18, v16
	s_delay_alu instid0(VALU_DEP_2)
	v_cmpx_ne_u16_e32 0, v8
	s_cbranch_execz .LBB285_2713
; %bb.2706:                             ;   in Loop: Header=BB285_1567 Depth=1
	v_bfrev_b32_e32 v18, 1
	v_mov_b32_e32 v19, 0
	s_mov_b32 s13, exec_lo
	v_cmpx_ne_u16_e32 0x80, v8
	s_cbranch_execz .LBB285_2712
; %bb.2707:                             ;   in Loop: Header=BB285_1567 Depth=1
	v_mov_b32_e32 v18, 0x7f800001
	v_bfe_u32 v45, v43, 16, 7
	v_mov_b32_e32 v19, 0
	s_mov_b32 s15, exec_lo
	s_delay_alu instid0(VALU_DEP_2)
	v_cmpx_ne_u32_e32 0x7f, v45
	s_cbranch_execz .LBB285_2711
; %bb.2708:                             ;   in Loop: Header=BB285_1567 Depth=1
	v_and_b32_e32 v8, 7, v44
	v_lshrrev_b32_e32 v18, 3, v45
	s_mov_b32 s17, exec_lo
	v_cmpx_gt_u32_e32 8, v45
; %bb.2709:                             ;   in Loop: Header=BB285_1567 Depth=1
	s_delay_alu instid0(VALU_DEP_3) | instskip(NEXT) | instid1(VALU_DEP_1)
	v_clz_i32_u32_e32 v18, v8
	v_min_u32_e32 v18, 32, v18
	s_delay_alu instid0(VALU_DEP_1) | instskip(SKIP_1) | instid1(VALU_DEP_2)
	v_subrev_nc_u32_e32 v19, 28, v18
	v_sub_nc_u32_e32 v18, 29, v18
	v_lshlrev_b64 v[45:46], v19, v[8:9]
	s_delay_alu instid0(VALU_DEP_1)
	v_and_b32_e32 v8, 7, v45
; %bb.2710:                             ;   in Loop: Header=BB285_1567 Depth=1
	s_or_b32 exec_lo, exec_lo, s17
	v_lshlrev_b32_e32 v19, 24, v44
	s_delay_alu instid0(VALU_DEP_2) | instskip(SKIP_1) | instid1(VALU_DEP_3)
	v_lshlrev_b32_e32 v8, 20, v8
	v_lshl_add_u32 v18, v18, 23, 0x3c000000
	v_and_b32_e32 v19, 0x80000000, v19
	s_delay_alu instid0(VALU_DEP_1) | instskip(NEXT) | instid1(VALU_DEP_1)
	v_or3_b32 v8, v8, v19, v18
	v_dual_mov_b32 v19, v9 :: v_dual_mov_b32 v18, v8
.LBB285_2711:                           ;   in Loop: Header=BB285_1567 Depth=1
	s_or_b32 exec_lo, exec_lo, s15
.LBB285_2712:                           ;   in Loop: Header=BB285_1567 Depth=1
	s_delay_alu instid0(SALU_CYCLE_1)
	s_or_b32 exec_lo, exec_lo, s13
.LBB285_2713:                           ;   in Loop: Header=BB285_1567 Depth=1
	s_delay_alu instid0(SALU_CYCLE_1) | instskip(NEXT) | instid1(SALU_CYCLE_1)
	s_or_b32 exec_lo, exec_lo, s8
	s_mov_b32 s13, exec_lo
	v_cmpx_lt_u32_e32 0xffffff, v43
	s_cbranch_execz .LBB285_2721
; %bb.2714:                             ;   in Loop: Header=BB285_1567 Depth=1
	v_lshrrev_b32_e32 v44, 24, v43
	v_dual_mov_b32 v17, s3 :: v_dual_mov_b32 v16, s2
	s_mov_b32 s15, exec_lo
	s_delay_alu instid0(VALU_DEP_2)
	v_cmpx_ne_u32_e32 0x80, v44
	s_cbranch_execz .LBB285_2720
; %bb.2715:                             ;   in Loop: Header=BB285_1567 Depth=1
	s_mov_b32 s8, s2
	v_bfe_u32 v45, v43, 24, 7
	v_dual_mov_b32 v17, s9 :: v_dual_mov_b32 v16, s8
	s_mov_b32 s8, exec_lo
	s_delay_alu instid0(VALU_DEP_2)
	v_cmpx_ne_u32_e32 0x7f, v45
	s_cbranch_execz .LBB285_2719
; %bb.2716:                             ;   in Loop: Header=BB285_1567 Depth=1
	v_and_b32_e32 v8, 7, v44
	v_lshrrev_b32_e32 v43, 3, v45
	v_mov_b32_e32 v17, v9
	s_mov_b32 s17, exec_lo
	s_delay_alu instid0(VALU_DEP_3)
	v_mov_b32_e32 v16, v8
	v_cmpx_gt_u32_e32 8, v45
; %bb.2717:                             ;   in Loop: Header=BB285_1567 Depth=1
	v_clz_i32_u32_e32 v16, v8
	s_delay_alu instid0(VALU_DEP_1) | instskip(NEXT) | instid1(VALU_DEP_1)
	v_min_u32_e32 v43, 32, v16
	v_subrev_nc_u32_e32 v16, 28, v43
	v_sub_nc_u32_e32 v43, 29, v43
	s_delay_alu instid0(VALU_DEP_2) | instskip(NEXT) | instid1(VALU_DEP_1)
	v_lshlrev_b64 v[16:17], v16, v[8:9]
	v_and_b32_e32 v16, 7, v16
; %bb.2718:                             ;   in Loop: Header=BB285_1567 Depth=1
	s_or_b32 exec_lo, exec_lo, s17
	v_lshlrev_b32_e32 v8, 24, v44
	s_delay_alu instid0(VALU_DEP_2) | instskip(SKIP_1) | instid1(VALU_DEP_3)
	v_lshlrev_b32_e32 v16, 20, v16
	v_lshl_add_u32 v17, v43, 23, 0x3c000000
	v_and_b32_e32 v8, 0x80000000, v8
	s_delay_alu instid0(VALU_DEP_1)
	v_or3_b32 v17, v16, v8, v17
	v_mov_b32_e32 v16, v9
.LBB285_2719:                           ;   in Loop: Header=BB285_1567 Depth=1
	s_or_b32 exec_lo, exec_lo, s8
.LBB285_2720:                           ;   in Loop: Header=BB285_1567 Depth=1
	s_delay_alu instid0(SALU_CYCLE_1)
	s_or_b32 exec_lo, exec_lo, s15
.LBB285_2721:                           ;   in Loop: Header=BB285_1567 Depth=1
	s_delay_alu instid0(SALU_CYCLE_1) | instskip(SKIP_4) | instid1(VALU_DEP_3)
	s_or_b32 exec_lo, exec_lo, s13
	v_or_b32_e32 v5, v5, v15
	v_or_b32_e32 v4, v4, v14
	;; [unrolled: 1-line block ×4, first 2 shown]
	v_dual_mul_f32 v46, v161, v5 :: v_dual_mul_f32 v45, v115, v4
	s_delay_alu instid0(VALU_DEP_2)
	v_dual_mul_f32 v43, v161, v8 :: v_dual_mul_f32 v44, v115, v14
	s_and_saveexec_b32 s8, vcc_lo
; %bb.2722:                             ;   in Loop: Header=BB285_1567 Depth=1
	v_cmp_lt_i32_e64 s0, v182, v55
	s_delay_alu instid0(VALU_DEP_1) | instskip(SKIP_1) | instid1(VALU_DEP_1)
	v_cndmask_b32_e64 v45, 0, v45, s0
	v_cmp_lt_i32_e64 s0, v40, v55
	v_cndmask_b32_e64 v46, 0, v46, s0
	v_cmp_lt_i32_e64 s0, v183, v55
	s_delay_alu instid0(VALU_DEP_1) | instskip(SKIP_1) | instid1(VALU_DEP_1)
	v_cndmask_b32_e64 v44, 0, v44, s0
	v_cmp_lt_i32_e64 s0, v151, v55
	v_cndmask_b32_e64 v43, 0, v43, s0
; %bb.2723:                             ;   in Loop: Header=BB285_1567 Depth=1
	s_or_b32 exec_lo, exec_lo, s8
	scratch_load_b32 v4, off, s32 offset:944 ; 4-byte Folded Reload
	s_mov_b32 s8, exec_lo
	s_waitcnt vmcnt(0)
	v_add_co_u32 v4, s0, v12, v4
	s_delay_alu instid0(VALU_DEP_1) | instskip(SKIP_4) | instid1(VALU_DEP_1)
	v_add_co_ci_u32_e64 v5, s0, 0, v13, s0
	flat_load_b32 v47, v[4:5]
	v_mov_b32_e32 v4, 0
	s_waitcnt vmcnt(0) lgkmcnt(0)
	v_dual_mov_b32 v5, 0 :: v_dual_and_b32 v8, 0xff, v47
	v_dual_mov_b32 v15, v5 :: v_dual_mov_b32 v14, v4
	s_delay_alu instid0(VALU_DEP_2)
	v_cmpx_ne_u16_e32 0, v8
	s_cbranch_execz .LBB285_2731
; %bb.2724:                             ;   in Loop: Header=BB285_1567 Depth=1
	v_bfrev_b32_e32 v14, 1
	v_mov_b32_e32 v15, 0
	s_mov_b32 s13, exec_lo
	v_cmpx_ne_u16_e32 0x80, v8
	s_cbranch_execz .LBB285_2730
; %bb.2725:                             ;   in Loop: Header=BB285_1567 Depth=1
	v_mov_b32_e32 v14, 0x7f800001
	v_and_b32_e32 v17, 0x7f, v47
	v_mov_b32_e32 v15, 0
	s_mov_b32 s15, exec_lo
	s_delay_alu instid0(VALU_DEP_2)
	v_cmpx_ne_u32_e32 0x7f, v17
	s_cbranch_execz .LBB285_2729
; %bb.2726:                             ;   in Loop: Header=BB285_1567 Depth=1
	v_and_b32_e32 v8, 7, v47
	v_lshrrev_b32_e32 v16, 3, v17
	v_mov_b32_e32 v15, v9
	s_mov_b32 s17, exec_lo
	s_delay_alu instid0(VALU_DEP_3)
	v_mov_b32_e32 v14, v8
	v_cmpx_gt_u32_e32 8, v17
; %bb.2727:                             ;   in Loop: Header=BB285_1567 Depth=1
	v_clz_i32_u32_e32 v14, v8
	s_delay_alu instid0(VALU_DEP_1) | instskip(NEXT) | instid1(VALU_DEP_1)
	v_min_u32_e32 v16, 32, v14
	v_subrev_nc_u32_e32 v14, 28, v16
	v_sub_nc_u32_e32 v16, 29, v16
	s_delay_alu instid0(VALU_DEP_2) | instskip(NEXT) | instid1(VALU_DEP_1)
	v_lshlrev_b64 v[14:15], v14, v[8:9]
	v_and_b32_e32 v14, 7, v14
; %bb.2728:                             ;   in Loop: Header=BB285_1567 Depth=1
	s_or_b32 exec_lo, exec_lo, s17
	v_lshlrev_b32_e32 v8, 24, v47
	s_delay_alu instid0(VALU_DEP_2) | instskip(SKIP_1) | instid1(VALU_DEP_3)
	v_lshlrev_b32_e32 v14, 20, v14
	v_lshl_add_u32 v15, v16, 23, 0x3c000000
	v_and_b32_e32 v8, 0x80000000, v8
	s_delay_alu instid0(VALU_DEP_1) | instskip(NEXT) | instid1(VALU_DEP_1)
	v_or3_b32 v8, v14, v8, v15
	v_dual_mov_b32 v15, v9 :: v_dual_mov_b32 v14, v8
.LBB285_2729:                           ;   in Loop: Header=BB285_1567 Depth=1
	s_or_b32 exec_lo, exec_lo, s15
.LBB285_2730:                           ;   in Loop: Header=BB285_1567 Depth=1
	s_delay_alu instid0(SALU_CYCLE_1)
	s_or_b32 exec_lo, exec_lo, s13
.LBB285_2731:                           ;   in Loop: Header=BB285_1567 Depth=1
	s_delay_alu instid0(SALU_CYCLE_1) | instskip(SKIP_2) | instid1(VALU_DEP_1)
	s_or_b32 exec_lo, exec_lo, s8
	v_lshrrev_b16 v8, 8, v47
	s_mov_b32 s13, exec_lo
	v_cmpx_ne_u16_e32 0, v8
	s_cbranch_execz .LBB285_2739
; %bb.2732:                             ;   in Loop: Header=BB285_1567 Depth=1
	v_dual_mov_b32 v5, s3 :: v_dual_mov_b32 v4, s2
	s_mov_b32 s15, exec_lo
	v_cmpx_ne_u16_e32 0x80, v8
	s_cbranch_execz .LBB285_2738
; %bb.2733:                             ;   in Loop: Header=BB285_1567 Depth=1
	s_mov_b32 s8, s2
	v_and_b32_e32 v8, 0xffff, v8
	v_dual_mov_b32 v4, s8 :: v_dual_mov_b32 v5, s9
	s_mov_b32 s8, exec_lo
	s_delay_alu instid0(VALU_DEP_2) | instskip(NEXT) | instid1(VALU_DEP_1)
	v_and_b32_e32 v17, 0x7f, v8
	v_cmpx_ne_u32_e32 0x7f, v17
	s_cbranch_execz .LBB285_2737
; %bb.2734:                             ;   in Loop: Header=BB285_1567 Depth=1
	v_and_b32_e32 v8, 7, v8
	v_lshrrev_b32_e32 v16, 3, v17
	s_mov_b32 s17, exec_lo
	s_delay_alu instid0(VALU_DEP_2)
	v_dual_mov_b32 v4, v8 :: v_dual_mov_b32 v5, v9
	v_cmpx_gt_u32_e32 8, v17
; %bb.2735:                             ;   in Loop: Header=BB285_1567 Depth=1
	v_clz_i32_u32_e32 v4, v8
	s_delay_alu instid0(VALU_DEP_1) | instskip(NEXT) | instid1(VALU_DEP_1)
	v_min_u32_e32 v16, 32, v4
	v_subrev_nc_u32_e32 v4, 28, v16
	v_sub_nc_u32_e32 v16, 29, v16
	s_delay_alu instid0(VALU_DEP_2) | instskip(NEXT) | instid1(VALU_DEP_1)
	v_lshlrev_b64 v[4:5], v4, v[8:9]
	v_and_b32_e32 v4, 7, v4
; %bb.2736:                             ;   in Loop: Header=BB285_1567 Depth=1
	s_or_b32 exec_lo, exec_lo, s17
	v_lshlrev_b32_e32 v5, 16, v47
	s_delay_alu instid0(VALU_DEP_2) | instskip(SKIP_1) | instid1(VALU_DEP_3)
	v_lshlrev_b32_e32 v4, 20, v4
	v_lshl_add_u32 v8, v16, 23, 0x3c000000
	v_and_b32_e32 v5, 0x80000000, v5
	s_delay_alu instid0(VALU_DEP_1)
	v_or3_b32 v5, v4, v5, v8
	v_mov_b32_e32 v4, v9
.LBB285_2737:                           ;   in Loop: Header=BB285_1567 Depth=1
	s_or_b32 exec_lo, exec_lo, s8
.LBB285_2738:                           ;   in Loop: Header=BB285_1567 Depth=1
	s_delay_alu instid0(SALU_CYCLE_1)
	s_or_b32 exec_lo, exec_lo, s15
.LBB285_2739:                           ;   in Loop: Header=BB285_1567 Depth=1
	s_delay_alu instid0(SALU_CYCLE_1) | instskip(SKIP_4) | instid1(VALU_DEP_1)
	s_or_b32 exec_lo, exec_lo, s13
	v_mov_b32_e32 v16, 0
	v_lshrrev_b32_e32 v56, 16, v47
	v_mov_b32_e32 v17, 0
	s_mov_b32 s8, exec_lo
	v_dual_mov_b32 v19, v17 :: v_dual_and_b32 v8, 0xff, v56
	v_mov_b32_e32 v18, v16
	s_delay_alu instid0(VALU_DEP_2)
	v_cmpx_ne_u16_e32 0, v8
	s_cbranch_execz .LBB285_2747
; %bb.2740:                             ;   in Loop: Header=BB285_1567 Depth=1
	v_bfrev_b32_e32 v18, 1
	v_mov_b32_e32 v19, 0
	s_mov_b32 s13, exec_lo
	v_cmpx_ne_u16_e32 0x80, v8
	s_cbranch_execz .LBB285_2746
; %bb.2741:                             ;   in Loop: Header=BB285_1567 Depth=1
	v_mov_b32_e32 v18, 0x7f800001
	v_bfe_u32 v58, v47, 16, 7
	v_mov_b32_e32 v19, 0
	s_mov_b32 s15, exec_lo
	s_delay_alu instid0(VALU_DEP_2)
	v_cmpx_ne_u32_e32 0x7f, v58
	s_cbranch_execz .LBB285_2745
; %bb.2742:                             ;   in Loop: Header=BB285_1567 Depth=1
	v_and_b32_e32 v8, 7, v56
	v_lshrrev_b32_e32 v57, 3, v58
	v_mov_b32_e32 v19, v9
	s_mov_b32 s17, exec_lo
	s_delay_alu instid0(VALU_DEP_3)
	v_mov_b32_e32 v18, v8
	v_cmpx_gt_u32_e32 8, v58
; %bb.2743:                             ;   in Loop: Header=BB285_1567 Depth=1
	v_clz_i32_u32_e32 v18, v8
	s_delay_alu instid0(VALU_DEP_1) | instskip(NEXT) | instid1(VALU_DEP_1)
	v_min_u32_e32 v57, 32, v18
	v_subrev_nc_u32_e32 v18, 28, v57
	v_sub_nc_u32_e32 v57, 29, v57
	s_delay_alu instid0(VALU_DEP_2) | instskip(NEXT) | instid1(VALU_DEP_1)
	v_lshlrev_b64 v[18:19], v18, v[8:9]
	v_and_b32_e32 v18, 7, v18
; %bb.2744:                             ;   in Loop: Header=BB285_1567 Depth=1
	s_or_b32 exec_lo, exec_lo, s17
	v_lshlrev_b32_e32 v8, 24, v56
	s_delay_alu instid0(VALU_DEP_2) | instskip(SKIP_1) | instid1(VALU_DEP_3)
	v_lshlrev_b32_e32 v18, 20, v18
	v_lshl_add_u32 v19, v57, 23, 0x3c000000
	v_and_b32_e32 v8, 0x80000000, v8
	s_delay_alu instid0(VALU_DEP_1) | instskip(NEXT) | instid1(VALU_DEP_1)
	v_or3_b32 v8, v18, v8, v19
	v_dual_mov_b32 v19, v9 :: v_dual_mov_b32 v18, v8
.LBB285_2745:                           ;   in Loop: Header=BB285_1567 Depth=1
	s_or_b32 exec_lo, exec_lo, s15
.LBB285_2746:                           ;   in Loop: Header=BB285_1567 Depth=1
	s_delay_alu instid0(SALU_CYCLE_1)
	s_or_b32 exec_lo, exec_lo, s13
.LBB285_2747:                           ;   in Loop: Header=BB285_1567 Depth=1
	s_delay_alu instid0(SALU_CYCLE_1) | instskip(NEXT) | instid1(SALU_CYCLE_1)
	s_or_b32 exec_lo, exec_lo, s8
	s_mov_b32 s13, exec_lo
	v_cmpx_lt_u32_e32 0xffffff, v47
	s_cbranch_execz .LBB285_2755
; %bb.2748:                             ;   in Loop: Header=BB285_1567 Depth=1
	v_lshrrev_b32_e32 v56, 24, v47
	v_dual_mov_b32 v17, s3 :: v_dual_mov_b32 v16, s2
	s_mov_b32 s15, exec_lo
	s_delay_alu instid0(VALU_DEP_2)
	v_cmpx_ne_u32_e32 0x80, v56
	s_cbranch_execz .LBB285_2754
; %bb.2749:                             ;   in Loop: Header=BB285_1567 Depth=1
	s_mov_b32 s8, s2
	v_bfe_u32 v57, v47, 24, 7
	v_dual_mov_b32 v17, s9 :: v_dual_mov_b32 v16, s8
	s_mov_b32 s8, exec_lo
	s_delay_alu instid0(VALU_DEP_2)
	v_cmpx_ne_u32_e32 0x7f, v57
	s_cbranch_execz .LBB285_2753
; %bb.2750:                             ;   in Loop: Header=BB285_1567 Depth=1
	v_and_b32_e32 v8, 7, v56
	v_lshrrev_b32_e32 v47, 3, v57
	v_mov_b32_e32 v17, v9
	s_mov_b32 s17, exec_lo
	s_delay_alu instid0(VALU_DEP_3)
	v_mov_b32_e32 v16, v8
	v_cmpx_gt_u32_e32 8, v57
; %bb.2751:                             ;   in Loop: Header=BB285_1567 Depth=1
	v_clz_i32_u32_e32 v16, v8
	s_delay_alu instid0(VALU_DEP_1) | instskip(NEXT) | instid1(VALU_DEP_1)
	v_min_u32_e32 v47, 32, v16
	v_subrev_nc_u32_e32 v16, 28, v47
	v_sub_nc_u32_e32 v47, 29, v47
	s_delay_alu instid0(VALU_DEP_2) | instskip(NEXT) | instid1(VALU_DEP_1)
	v_lshlrev_b64 v[16:17], v16, v[8:9]
	v_and_b32_e32 v16, 7, v16
; %bb.2752:                             ;   in Loop: Header=BB285_1567 Depth=1
	s_or_b32 exec_lo, exec_lo, s17
	v_lshlrev_b32_e32 v8, 24, v56
	s_delay_alu instid0(VALU_DEP_2) | instskip(SKIP_1) | instid1(VALU_DEP_3)
	v_lshlrev_b32_e32 v16, 20, v16
	v_lshl_add_u32 v17, v47, 23, 0x3c000000
	v_and_b32_e32 v8, 0x80000000, v8
	s_delay_alu instid0(VALU_DEP_1)
	v_or3_b32 v17, v16, v8, v17
	v_mov_b32_e32 v16, v9
.LBB285_2753:                           ;   in Loop: Header=BB285_1567 Depth=1
	s_or_b32 exec_lo, exec_lo, s8
.LBB285_2754:                           ;   in Loop: Header=BB285_1567 Depth=1
	s_delay_alu instid0(SALU_CYCLE_1)
	s_or_b32 exec_lo, exec_lo, s15
.LBB285_2755:                           ;   in Loop: Header=BB285_1567 Depth=1
	s_delay_alu instid0(SALU_CYCLE_1) | instskip(SKIP_4) | instid1(VALU_DEP_3)
	s_or_b32 exec_lo, exec_lo, s13
	v_or_b32_e32 v5, v5, v15
	v_or_b32_e32 v4, v4, v14
	;; [unrolled: 1-line block ×4, first 2 shown]
	v_dual_mul_f32 v58, v161, v5 :: v_dual_mul_f32 v57, v115, v4
	s_delay_alu instid0(VALU_DEP_2)
	v_dual_mul_f32 v47, v161, v8 :: v_dual_mul_f32 v56, v115, v14
	s_and_saveexec_b32 s8, vcc_lo
; %bb.2756:                             ;   in Loop: Header=BB285_1567 Depth=1
	v_cmp_lt_i32_e64 s0, v182, v55
	s_delay_alu instid0(VALU_DEP_1) | instskip(SKIP_1) | instid1(VALU_DEP_1)
	v_cndmask_b32_e64 v57, 0, v57, s0
	v_cmp_lt_i32_e64 s0, v40, v55
	v_cndmask_b32_e64 v58, 0, v58, s0
	v_cmp_lt_i32_e64 s0, v183, v55
	s_delay_alu instid0(VALU_DEP_1) | instskip(SKIP_1) | instid1(VALU_DEP_1)
	v_cndmask_b32_e64 v56, 0, v56, s0
	v_cmp_lt_i32_e64 s0, v151, v55
	v_cndmask_b32_e64 v47, 0, v47, s0
; %bb.2757:                             ;   in Loop: Header=BB285_1567 Depth=1
	s_or_b32 exec_lo, exec_lo, s8
	scratch_load_b32 v4, off, s32 offset:952 ; 4-byte Folded Reload
	s_mov_b32 s8, exec_lo
	s_waitcnt vmcnt(0)
	v_add_co_u32 v4, s0, v12, v4
	s_delay_alu instid0(VALU_DEP_1) | instskip(SKIP_4) | instid1(VALU_DEP_1)
	v_add_co_ci_u32_e64 v5, s0, 0, v13, s0
	flat_load_b32 v59, v[4:5]
	v_mov_b32_e32 v4, 0
	s_waitcnt vmcnt(0) lgkmcnt(0)
	v_dual_mov_b32 v5, 0 :: v_dual_and_b32 v8, 0xff, v59
	v_dual_mov_b32 v15, v5 :: v_dual_mov_b32 v14, v4
	s_delay_alu instid0(VALU_DEP_2)
	v_cmpx_ne_u16_e32 0, v8
	s_cbranch_execz .LBB285_2765
; %bb.2758:                             ;   in Loop: Header=BB285_1567 Depth=1
	v_bfrev_b32_e32 v14, 1
	v_mov_b32_e32 v15, 0
	s_mov_b32 s13, exec_lo
	v_cmpx_ne_u16_e32 0x80, v8
	s_cbranch_execz .LBB285_2764
; %bb.2759:                             ;   in Loop: Header=BB285_1567 Depth=1
	v_mov_b32_e32 v14, 0x7f800001
	v_and_b32_e32 v17, 0x7f, v59
	v_mov_b32_e32 v15, 0
	s_mov_b32 s15, exec_lo
	s_delay_alu instid0(VALU_DEP_2)
	v_cmpx_ne_u32_e32 0x7f, v17
	s_cbranch_execz .LBB285_2763
; %bb.2760:                             ;   in Loop: Header=BB285_1567 Depth=1
	v_and_b32_e32 v8, 7, v59
	v_lshrrev_b32_e32 v16, 3, v17
	v_mov_b32_e32 v15, v9
	s_mov_b32 s17, exec_lo
	s_delay_alu instid0(VALU_DEP_3)
	v_mov_b32_e32 v14, v8
	v_cmpx_gt_u32_e32 8, v17
; %bb.2761:                             ;   in Loop: Header=BB285_1567 Depth=1
	v_clz_i32_u32_e32 v14, v8
	s_delay_alu instid0(VALU_DEP_1) | instskip(NEXT) | instid1(VALU_DEP_1)
	v_min_u32_e32 v16, 32, v14
	v_subrev_nc_u32_e32 v14, 28, v16
	v_sub_nc_u32_e32 v16, 29, v16
	s_delay_alu instid0(VALU_DEP_2) | instskip(NEXT) | instid1(VALU_DEP_1)
	v_lshlrev_b64 v[14:15], v14, v[8:9]
	v_and_b32_e32 v14, 7, v14
; %bb.2762:                             ;   in Loop: Header=BB285_1567 Depth=1
	s_or_b32 exec_lo, exec_lo, s17
	v_lshlrev_b32_e32 v8, 24, v59
	s_delay_alu instid0(VALU_DEP_2) | instskip(SKIP_1) | instid1(VALU_DEP_3)
	v_lshlrev_b32_e32 v14, 20, v14
	v_lshl_add_u32 v15, v16, 23, 0x3c000000
	v_and_b32_e32 v8, 0x80000000, v8
	s_delay_alu instid0(VALU_DEP_1) | instskip(NEXT) | instid1(VALU_DEP_1)
	v_or3_b32 v8, v14, v8, v15
	v_dual_mov_b32 v15, v9 :: v_dual_mov_b32 v14, v8
.LBB285_2763:                           ;   in Loop: Header=BB285_1567 Depth=1
	s_or_b32 exec_lo, exec_lo, s15
.LBB285_2764:                           ;   in Loop: Header=BB285_1567 Depth=1
	s_delay_alu instid0(SALU_CYCLE_1)
	s_or_b32 exec_lo, exec_lo, s13
.LBB285_2765:                           ;   in Loop: Header=BB285_1567 Depth=1
	s_delay_alu instid0(SALU_CYCLE_1) | instskip(SKIP_2) | instid1(VALU_DEP_1)
	s_or_b32 exec_lo, exec_lo, s8
	v_lshrrev_b16 v8, 8, v59
	s_mov_b32 s13, exec_lo
	v_cmpx_ne_u16_e32 0, v8
	s_cbranch_execz .LBB285_2773
; %bb.2766:                             ;   in Loop: Header=BB285_1567 Depth=1
	v_dual_mov_b32 v5, s3 :: v_dual_mov_b32 v4, s2
	s_mov_b32 s15, exec_lo
	v_cmpx_ne_u16_e32 0x80, v8
	s_cbranch_execz .LBB285_2772
; %bb.2767:                             ;   in Loop: Header=BB285_1567 Depth=1
	s_mov_b32 s8, s2
	v_and_b32_e32 v8, 0xffff, v8
	v_dual_mov_b32 v4, s8 :: v_dual_mov_b32 v5, s9
	s_mov_b32 s8, exec_lo
	s_delay_alu instid0(VALU_DEP_2) | instskip(NEXT) | instid1(VALU_DEP_1)
	v_and_b32_e32 v17, 0x7f, v8
	v_cmpx_ne_u32_e32 0x7f, v17
	s_cbranch_execz .LBB285_2771
; %bb.2768:                             ;   in Loop: Header=BB285_1567 Depth=1
	v_and_b32_e32 v8, 7, v8
	v_lshrrev_b32_e32 v16, 3, v17
	s_mov_b32 s17, exec_lo
	s_delay_alu instid0(VALU_DEP_2)
	v_dual_mov_b32 v4, v8 :: v_dual_mov_b32 v5, v9
	v_cmpx_gt_u32_e32 8, v17
; %bb.2769:                             ;   in Loop: Header=BB285_1567 Depth=1
	v_clz_i32_u32_e32 v4, v8
	s_delay_alu instid0(VALU_DEP_1) | instskip(NEXT) | instid1(VALU_DEP_1)
	v_min_u32_e32 v16, 32, v4
	v_subrev_nc_u32_e32 v4, 28, v16
	v_sub_nc_u32_e32 v16, 29, v16
	s_delay_alu instid0(VALU_DEP_2) | instskip(NEXT) | instid1(VALU_DEP_1)
	v_lshlrev_b64 v[4:5], v4, v[8:9]
	v_and_b32_e32 v4, 7, v4
; %bb.2770:                             ;   in Loop: Header=BB285_1567 Depth=1
	s_or_b32 exec_lo, exec_lo, s17
	v_lshlrev_b32_e32 v5, 16, v59
	s_delay_alu instid0(VALU_DEP_2) | instskip(SKIP_1) | instid1(VALU_DEP_3)
	v_lshlrev_b32_e32 v4, 20, v4
	v_lshl_add_u32 v8, v16, 23, 0x3c000000
	v_and_b32_e32 v5, 0x80000000, v5
	s_delay_alu instid0(VALU_DEP_1)
	v_or3_b32 v5, v4, v5, v8
	v_mov_b32_e32 v4, v9
.LBB285_2771:                           ;   in Loop: Header=BB285_1567 Depth=1
	s_or_b32 exec_lo, exec_lo, s8
.LBB285_2772:                           ;   in Loop: Header=BB285_1567 Depth=1
	s_delay_alu instid0(SALU_CYCLE_1)
	s_or_b32 exec_lo, exec_lo, s15
.LBB285_2773:                           ;   in Loop: Header=BB285_1567 Depth=1
	s_delay_alu instid0(SALU_CYCLE_1) | instskip(SKIP_4) | instid1(VALU_DEP_1)
	s_or_b32 exec_lo, exec_lo, s13
	v_mov_b32_e32 v16, 0
	v_lshrrev_b32_e32 v60, 16, v59
	v_mov_b32_e32 v17, 0
	s_mov_b32 s8, exec_lo
	v_dual_mov_b32 v19, v17 :: v_dual_and_b32 v8, 0xff, v60
	v_mov_b32_e32 v18, v16
	s_delay_alu instid0(VALU_DEP_2)
	v_cmpx_ne_u16_e32 0, v8
	s_cbranch_execz .LBB285_2781
; %bb.2774:                             ;   in Loop: Header=BB285_1567 Depth=1
	v_bfrev_b32_e32 v18, 1
	v_mov_b32_e32 v19, 0
	s_mov_b32 s13, exec_lo
	v_cmpx_ne_u16_e32 0x80, v8
	s_cbranch_execz .LBB285_2780
; %bb.2775:                             ;   in Loop: Header=BB285_1567 Depth=1
	v_mov_b32_e32 v18, 0x7f800001
	v_bfe_u32 v62, v59, 16, 7
	v_mov_b32_e32 v19, 0
	s_mov_b32 s15, exec_lo
	s_delay_alu instid0(VALU_DEP_2)
	v_cmpx_ne_u32_e32 0x7f, v62
	s_cbranch_execz .LBB285_2779
; %bb.2776:                             ;   in Loop: Header=BB285_1567 Depth=1
	v_and_b32_e32 v8, 7, v60
	v_lshrrev_b32_e32 v61, 3, v62
	v_mov_b32_e32 v19, v9
	s_mov_b32 s17, exec_lo
	s_delay_alu instid0(VALU_DEP_3)
	v_mov_b32_e32 v18, v8
	v_cmpx_gt_u32_e32 8, v62
; %bb.2777:                             ;   in Loop: Header=BB285_1567 Depth=1
	v_clz_i32_u32_e32 v18, v8
	s_delay_alu instid0(VALU_DEP_1) | instskip(NEXT) | instid1(VALU_DEP_1)
	v_min_u32_e32 v61, 32, v18
	v_subrev_nc_u32_e32 v18, 28, v61
	v_sub_nc_u32_e32 v61, 29, v61
	s_delay_alu instid0(VALU_DEP_2) | instskip(NEXT) | instid1(VALU_DEP_1)
	v_lshlrev_b64 v[18:19], v18, v[8:9]
	v_and_b32_e32 v18, 7, v18
; %bb.2778:                             ;   in Loop: Header=BB285_1567 Depth=1
	s_or_b32 exec_lo, exec_lo, s17
	v_lshlrev_b32_e32 v8, 24, v60
	s_delay_alu instid0(VALU_DEP_2) | instskip(SKIP_1) | instid1(VALU_DEP_3)
	v_lshlrev_b32_e32 v18, 20, v18
	v_lshl_add_u32 v19, v61, 23, 0x3c000000
	v_and_b32_e32 v8, 0x80000000, v8
	s_delay_alu instid0(VALU_DEP_1) | instskip(NEXT) | instid1(VALU_DEP_1)
	v_or3_b32 v8, v18, v8, v19
	v_dual_mov_b32 v19, v9 :: v_dual_mov_b32 v18, v8
.LBB285_2779:                           ;   in Loop: Header=BB285_1567 Depth=1
	s_or_b32 exec_lo, exec_lo, s15
.LBB285_2780:                           ;   in Loop: Header=BB285_1567 Depth=1
	s_delay_alu instid0(SALU_CYCLE_1)
	s_or_b32 exec_lo, exec_lo, s13
.LBB285_2781:                           ;   in Loop: Header=BB285_1567 Depth=1
	s_delay_alu instid0(SALU_CYCLE_1) | instskip(NEXT) | instid1(SALU_CYCLE_1)
	s_or_b32 exec_lo, exec_lo, s8
	s_mov_b32 s13, exec_lo
	v_cmpx_lt_u32_e32 0xffffff, v59
	s_cbranch_execz .LBB285_2789
; %bb.2782:                             ;   in Loop: Header=BB285_1567 Depth=1
	v_lshrrev_b32_e32 v60, 24, v59
	v_dual_mov_b32 v17, s3 :: v_dual_mov_b32 v16, s2
	s_mov_b32 s15, exec_lo
	s_delay_alu instid0(VALU_DEP_2)
	v_cmpx_ne_u32_e32 0x80, v60
	s_cbranch_execz .LBB285_2788
; %bb.2783:                             ;   in Loop: Header=BB285_1567 Depth=1
	s_mov_b32 s8, s2
	v_bfe_u32 v61, v59, 24, 7
	v_dual_mov_b32 v17, s9 :: v_dual_mov_b32 v16, s8
	s_mov_b32 s8, exec_lo
	s_delay_alu instid0(VALU_DEP_2)
	v_cmpx_ne_u32_e32 0x7f, v61
	s_cbranch_execz .LBB285_2787
; %bb.2784:                             ;   in Loop: Header=BB285_1567 Depth=1
	v_and_b32_e32 v8, 7, v60
	v_lshrrev_b32_e32 v59, 3, v61
	v_mov_b32_e32 v17, v9
	s_mov_b32 s17, exec_lo
	s_delay_alu instid0(VALU_DEP_3)
	v_mov_b32_e32 v16, v8
	v_cmpx_gt_u32_e32 8, v61
; %bb.2785:                             ;   in Loop: Header=BB285_1567 Depth=1
	v_clz_i32_u32_e32 v16, v8
	s_delay_alu instid0(VALU_DEP_1) | instskip(NEXT) | instid1(VALU_DEP_1)
	v_min_u32_e32 v59, 32, v16
	v_subrev_nc_u32_e32 v16, 28, v59
	v_sub_nc_u32_e32 v59, 29, v59
	s_delay_alu instid0(VALU_DEP_2) | instskip(NEXT) | instid1(VALU_DEP_1)
	v_lshlrev_b64 v[16:17], v16, v[8:9]
	v_and_b32_e32 v16, 7, v16
; %bb.2786:                             ;   in Loop: Header=BB285_1567 Depth=1
	s_or_b32 exec_lo, exec_lo, s17
	v_lshlrev_b32_e32 v8, 24, v60
	s_delay_alu instid0(VALU_DEP_2) | instskip(SKIP_1) | instid1(VALU_DEP_3)
	v_lshlrev_b32_e32 v16, 20, v16
	v_lshl_add_u32 v17, v59, 23, 0x3c000000
	v_and_b32_e32 v8, 0x80000000, v8
	s_delay_alu instid0(VALU_DEP_1)
	v_or3_b32 v17, v16, v8, v17
	v_mov_b32_e32 v16, v9
.LBB285_2787:                           ;   in Loop: Header=BB285_1567 Depth=1
	s_or_b32 exec_lo, exec_lo, s8
.LBB285_2788:                           ;   in Loop: Header=BB285_1567 Depth=1
	s_delay_alu instid0(SALU_CYCLE_1)
	s_or_b32 exec_lo, exec_lo, s15
.LBB285_2789:                           ;   in Loop: Header=BB285_1567 Depth=1
	s_delay_alu instid0(SALU_CYCLE_1) | instskip(SKIP_4) | instid1(VALU_DEP_3)
	s_or_b32 exec_lo, exec_lo, s13
	v_or_b32_e32 v5, v5, v15
	v_or_b32_e32 v4, v4, v14
	;; [unrolled: 1-line block ×4, first 2 shown]
	v_dual_mul_f32 v61, v161, v5 :: v_dual_mul_f32 v60, v115, v4
	s_delay_alu instid0(VALU_DEP_2)
	v_dual_mul_f32 v59, v161, v8 :: v_dual_mul_f32 v62, v115, v14
	s_and_saveexec_b32 s8, vcc_lo
; %bb.2790:                             ;   in Loop: Header=BB285_1567 Depth=1
	v_cmp_lt_i32_e64 s0, v182, v55
	s_delay_alu instid0(VALU_DEP_1) | instskip(SKIP_1) | instid1(VALU_DEP_1)
	v_cndmask_b32_e64 v60, 0, v60, s0
	v_cmp_lt_i32_e64 s0, v40, v55
	v_cndmask_b32_e64 v61, 0, v61, s0
	v_cmp_lt_i32_e64 s0, v183, v55
	s_delay_alu instid0(VALU_DEP_1) | instskip(SKIP_1) | instid1(VALU_DEP_1)
	v_cndmask_b32_e64 v62, 0, v62, s0
	v_cmp_lt_i32_e64 s0, v151, v55
	v_cndmask_b32_e64 v59, 0, v59, s0
; %bb.2791:                             ;   in Loop: Header=BB285_1567 Depth=1
	s_or_b32 exec_lo, exec_lo, s8
	scratch_load_b32 v4, off, s32 offset:960 ; 4-byte Folded Reload
	s_mov_b32 s8, exec_lo
	s_waitcnt vmcnt(0)
	v_add_co_u32 v4, s0, v12, v4
	s_delay_alu instid0(VALU_DEP_1) | instskip(SKIP_4) | instid1(VALU_DEP_1)
	v_add_co_ci_u32_e64 v5, s0, 0, v13, s0
	flat_load_b32 v63, v[4:5]
	v_mov_b32_e32 v4, 0
	s_waitcnt vmcnt(0) lgkmcnt(0)
	v_dual_mov_b32 v5, 0 :: v_dual_and_b32 v8, 0xff, v63
	v_dual_mov_b32 v15, v5 :: v_dual_mov_b32 v14, v4
	s_delay_alu instid0(VALU_DEP_2)
	v_cmpx_ne_u16_e32 0, v8
	s_cbranch_execz .LBB285_2799
; %bb.2792:                             ;   in Loop: Header=BB285_1567 Depth=1
	v_bfrev_b32_e32 v14, 1
	v_mov_b32_e32 v15, 0
	s_mov_b32 s13, exec_lo
	v_cmpx_ne_u16_e32 0x80, v8
	s_cbranch_execz .LBB285_2798
; %bb.2793:                             ;   in Loop: Header=BB285_1567 Depth=1
	v_mov_b32_e32 v14, 0x7f800001
	v_and_b32_e32 v17, 0x7f, v63
	v_mov_b32_e32 v15, 0
	s_mov_b32 s15, exec_lo
	s_delay_alu instid0(VALU_DEP_2)
	v_cmpx_ne_u32_e32 0x7f, v17
	s_cbranch_execz .LBB285_2797
; %bb.2794:                             ;   in Loop: Header=BB285_1567 Depth=1
	v_and_b32_e32 v8, 7, v63
	v_lshrrev_b32_e32 v16, 3, v17
	v_mov_b32_e32 v15, v9
	s_mov_b32 s17, exec_lo
	s_delay_alu instid0(VALU_DEP_3)
	v_mov_b32_e32 v14, v8
	v_cmpx_gt_u32_e32 8, v17
; %bb.2795:                             ;   in Loop: Header=BB285_1567 Depth=1
	v_clz_i32_u32_e32 v14, v8
	s_delay_alu instid0(VALU_DEP_1) | instskip(NEXT) | instid1(VALU_DEP_1)
	v_min_u32_e32 v16, 32, v14
	v_subrev_nc_u32_e32 v14, 28, v16
	v_sub_nc_u32_e32 v16, 29, v16
	s_delay_alu instid0(VALU_DEP_2) | instskip(NEXT) | instid1(VALU_DEP_1)
	v_lshlrev_b64 v[14:15], v14, v[8:9]
	v_and_b32_e32 v14, 7, v14
; %bb.2796:                             ;   in Loop: Header=BB285_1567 Depth=1
	s_or_b32 exec_lo, exec_lo, s17
	v_lshlrev_b32_e32 v8, 24, v63
	s_delay_alu instid0(VALU_DEP_2) | instskip(SKIP_1) | instid1(VALU_DEP_3)
	v_lshlrev_b32_e32 v14, 20, v14
	v_lshl_add_u32 v15, v16, 23, 0x3c000000
	v_and_b32_e32 v8, 0x80000000, v8
	s_delay_alu instid0(VALU_DEP_1) | instskip(NEXT) | instid1(VALU_DEP_1)
	v_or3_b32 v8, v14, v8, v15
	v_dual_mov_b32 v15, v9 :: v_dual_mov_b32 v14, v8
.LBB285_2797:                           ;   in Loop: Header=BB285_1567 Depth=1
	s_or_b32 exec_lo, exec_lo, s15
.LBB285_2798:                           ;   in Loop: Header=BB285_1567 Depth=1
	s_delay_alu instid0(SALU_CYCLE_1)
	s_or_b32 exec_lo, exec_lo, s13
.LBB285_2799:                           ;   in Loop: Header=BB285_1567 Depth=1
	s_delay_alu instid0(SALU_CYCLE_1) | instskip(SKIP_2) | instid1(VALU_DEP_1)
	s_or_b32 exec_lo, exec_lo, s8
	v_lshrrev_b16 v8, 8, v63
	s_mov_b32 s13, exec_lo
	v_cmpx_ne_u16_e32 0, v8
	s_cbranch_execz .LBB285_2807
; %bb.2800:                             ;   in Loop: Header=BB285_1567 Depth=1
	v_dual_mov_b32 v5, s3 :: v_dual_mov_b32 v4, s2
	s_mov_b32 s15, exec_lo
	v_cmpx_ne_u16_e32 0x80, v8
	s_cbranch_execz .LBB285_2806
; %bb.2801:                             ;   in Loop: Header=BB285_1567 Depth=1
	s_mov_b32 s8, s2
	v_and_b32_e32 v8, 0xffff, v8
	v_dual_mov_b32 v4, s8 :: v_dual_mov_b32 v5, s9
	s_mov_b32 s8, exec_lo
	s_delay_alu instid0(VALU_DEP_2) | instskip(NEXT) | instid1(VALU_DEP_1)
	v_and_b32_e32 v17, 0x7f, v8
	v_cmpx_ne_u32_e32 0x7f, v17
	s_cbranch_execz .LBB285_2805
; %bb.2802:                             ;   in Loop: Header=BB285_1567 Depth=1
	v_and_b32_e32 v8, 7, v8
	v_lshrrev_b32_e32 v16, 3, v17
	s_mov_b32 s17, exec_lo
	s_delay_alu instid0(VALU_DEP_2)
	v_dual_mov_b32 v4, v8 :: v_dual_mov_b32 v5, v9
	v_cmpx_gt_u32_e32 8, v17
; %bb.2803:                             ;   in Loop: Header=BB285_1567 Depth=1
	v_clz_i32_u32_e32 v4, v8
	s_delay_alu instid0(VALU_DEP_1) | instskip(NEXT) | instid1(VALU_DEP_1)
	v_min_u32_e32 v16, 32, v4
	v_subrev_nc_u32_e32 v4, 28, v16
	v_sub_nc_u32_e32 v16, 29, v16
	s_delay_alu instid0(VALU_DEP_2) | instskip(NEXT) | instid1(VALU_DEP_1)
	v_lshlrev_b64 v[4:5], v4, v[8:9]
	v_and_b32_e32 v4, 7, v4
; %bb.2804:                             ;   in Loop: Header=BB285_1567 Depth=1
	s_or_b32 exec_lo, exec_lo, s17
	v_lshlrev_b32_e32 v5, 16, v63
	s_delay_alu instid0(VALU_DEP_2) | instskip(SKIP_1) | instid1(VALU_DEP_3)
	v_lshlrev_b32_e32 v4, 20, v4
	v_lshl_add_u32 v8, v16, 23, 0x3c000000
	v_and_b32_e32 v5, 0x80000000, v5
	s_delay_alu instid0(VALU_DEP_1)
	v_or3_b32 v5, v4, v5, v8
	v_mov_b32_e32 v4, v9
.LBB285_2805:                           ;   in Loop: Header=BB285_1567 Depth=1
	s_or_b32 exec_lo, exec_lo, s8
.LBB285_2806:                           ;   in Loop: Header=BB285_1567 Depth=1
	s_delay_alu instid0(SALU_CYCLE_1)
	s_or_b32 exec_lo, exec_lo, s15
.LBB285_2807:                           ;   in Loop: Header=BB285_1567 Depth=1
	s_delay_alu instid0(SALU_CYCLE_1) | instskip(SKIP_4) | instid1(VALU_DEP_1)
	s_or_b32 exec_lo, exec_lo, s13
	v_mov_b32_e32 v16, 0
	v_lshrrev_b32_e32 v72, 16, v63
	v_mov_b32_e32 v17, 0
	s_mov_b32 s8, exec_lo
	v_dual_mov_b32 v19, v17 :: v_dual_and_b32 v8, 0xff, v72
	v_mov_b32_e32 v18, v16
	s_delay_alu instid0(VALU_DEP_2)
	v_cmpx_ne_u16_e32 0, v8
	s_cbranch_execz .LBB285_2815
; %bb.2808:                             ;   in Loop: Header=BB285_1567 Depth=1
	v_bfrev_b32_e32 v18, 1
	v_mov_b32_e32 v19, 0
	s_mov_b32 s13, exec_lo
	v_cmpx_ne_u16_e32 0x80, v8
	s_cbranch_execz .LBB285_2814
; %bb.2809:                             ;   in Loop: Header=BB285_1567 Depth=1
	v_mov_b32_e32 v18, 0x7f800001
	v_bfe_u32 v74, v63, 16, 7
	v_mov_b32_e32 v19, 0
	s_mov_b32 s15, exec_lo
	s_delay_alu instid0(VALU_DEP_2)
	v_cmpx_ne_u32_e32 0x7f, v74
	s_cbranch_execz .LBB285_2813
; %bb.2810:                             ;   in Loop: Header=BB285_1567 Depth=1
	v_and_b32_e32 v8, 7, v72
	v_lshrrev_b32_e32 v73, 3, v74
	v_mov_b32_e32 v19, v9
	s_mov_b32 s17, exec_lo
	s_delay_alu instid0(VALU_DEP_3)
	v_mov_b32_e32 v18, v8
	v_cmpx_gt_u32_e32 8, v74
; %bb.2811:                             ;   in Loop: Header=BB285_1567 Depth=1
	v_clz_i32_u32_e32 v18, v8
	s_delay_alu instid0(VALU_DEP_1) | instskip(NEXT) | instid1(VALU_DEP_1)
	v_min_u32_e32 v73, 32, v18
	v_subrev_nc_u32_e32 v18, 28, v73
	v_sub_nc_u32_e32 v73, 29, v73
	s_delay_alu instid0(VALU_DEP_2) | instskip(NEXT) | instid1(VALU_DEP_1)
	v_lshlrev_b64 v[18:19], v18, v[8:9]
	v_and_b32_e32 v18, 7, v18
; %bb.2812:                             ;   in Loop: Header=BB285_1567 Depth=1
	s_or_b32 exec_lo, exec_lo, s17
	v_lshlrev_b32_e32 v8, 24, v72
	s_delay_alu instid0(VALU_DEP_2) | instskip(SKIP_1) | instid1(VALU_DEP_3)
	v_lshlrev_b32_e32 v18, 20, v18
	v_lshl_add_u32 v19, v73, 23, 0x3c000000
	v_and_b32_e32 v8, 0x80000000, v8
	s_delay_alu instid0(VALU_DEP_1) | instskip(NEXT) | instid1(VALU_DEP_1)
	v_or3_b32 v8, v18, v8, v19
	v_dual_mov_b32 v19, v9 :: v_dual_mov_b32 v18, v8
.LBB285_2813:                           ;   in Loop: Header=BB285_1567 Depth=1
	s_or_b32 exec_lo, exec_lo, s15
.LBB285_2814:                           ;   in Loop: Header=BB285_1567 Depth=1
	s_delay_alu instid0(SALU_CYCLE_1)
	s_or_b32 exec_lo, exec_lo, s13
.LBB285_2815:                           ;   in Loop: Header=BB285_1567 Depth=1
	s_delay_alu instid0(SALU_CYCLE_1) | instskip(NEXT) | instid1(SALU_CYCLE_1)
	s_or_b32 exec_lo, exec_lo, s8
	s_mov_b32 s13, exec_lo
	v_cmpx_lt_u32_e32 0xffffff, v63
	s_cbranch_execz .LBB285_2823
; %bb.2816:                             ;   in Loop: Header=BB285_1567 Depth=1
	v_lshrrev_b32_e32 v72, 24, v63
	v_dual_mov_b32 v17, s3 :: v_dual_mov_b32 v16, s2
	s_mov_b32 s15, exec_lo
	s_delay_alu instid0(VALU_DEP_2)
	v_cmpx_ne_u32_e32 0x80, v72
	s_cbranch_execz .LBB285_2822
; %bb.2817:                             ;   in Loop: Header=BB285_1567 Depth=1
	s_mov_b32 s8, s2
	v_bfe_u32 v73, v63, 24, 7
	v_dual_mov_b32 v17, s9 :: v_dual_mov_b32 v16, s8
	s_mov_b32 s8, exec_lo
	s_delay_alu instid0(VALU_DEP_2)
	v_cmpx_ne_u32_e32 0x7f, v73
	s_cbranch_execz .LBB285_2821
; %bb.2818:                             ;   in Loop: Header=BB285_1567 Depth=1
	v_and_b32_e32 v8, 7, v72
	v_lshrrev_b32_e32 v63, 3, v73
	v_mov_b32_e32 v17, v9
	s_mov_b32 s17, exec_lo
	s_delay_alu instid0(VALU_DEP_3)
	v_mov_b32_e32 v16, v8
	v_cmpx_gt_u32_e32 8, v73
; %bb.2819:                             ;   in Loop: Header=BB285_1567 Depth=1
	v_clz_i32_u32_e32 v16, v8
	s_delay_alu instid0(VALU_DEP_1) | instskip(NEXT) | instid1(VALU_DEP_1)
	v_min_u32_e32 v63, 32, v16
	v_subrev_nc_u32_e32 v16, 28, v63
	v_sub_nc_u32_e32 v63, 29, v63
	s_delay_alu instid0(VALU_DEP_2) | instskip(NEXT) | instid1(VALU_DEP_1)
	v_lshlrev_b64 v[16:17], v16, v[8:9]
	v_and_b32_e32 v16, 7, v16
; %bb.2820:                             ;   in Loop: Header=BB285_1567 Depth=1
	s_or_b32 exec_lo, exec_lo, s17
	v_lshlrev_b32_e32 v8, 24, v72
	s_delay_alu instid0(VALU_DEP_2) | instskip(SKIP_1) | instid1(VALU_DEP_3)
	v_lshlrev_b32_e32 v16, 20, v16
	v_lshl_add_u32 v17, v63, 23, 0x3c000000
	v_and_b32_e32 v8, 0x80000000, v8
	s_delay_alu instid0(VALU_DEP_1)
	v_or3_b32 v17, v16, v8, v17
	v_mov_b32_e32 v16, v9
.LBB285_2821:                           ;   in Loop: Header=BB285_1567 Depth=1
	s_or_b32 exec_lo, exec_lo, s8
.LBB285_2822:                           ;   in Loop: Header=BB285_1567 Depth=1
	s_delay_alu instid0(SALU_CYCLE_1)
	s_or_b32 exec_lo, exec_lo, s15
.LBB285_2823:                           ;   in Loop: Header=BB285_1567 Depth=1
	s_delay_alu instid0(SALU_CYCLE_1) | instskip(SKIP_4) | instid1(VALU_DEP_3)
	s_or_b32 exec_lo, exec_lo, s13
	v_or_b32_e32 v5, v5, v15
	v_or_b32_e32 v4, v4, v14
	v_or_b32_e32 v8, v17, v19
	v_or_b32_e32 v14, v16, v18
	v_dual_mul_f32 v73, v161, v5 :: v_dual_mul_f32 v72, v115, v4
	s_delay_alu instid0(VALU_DEP_2)
	v_dual_mul_f32 v63, v161, v8 :: v_dual_mul_f32 v74, v115, v14
	s_and_saveexec_b32 s8, vcc_lo
; %bb.2824:                             ;   in Loop: Header=BB285_1567 Depth=1
	v_cmp_lt_i32_e64 s0, v182, v55
	s_delay_alu instid0(VALU_DEP_1) | instskip(SKIP_1) | instid1(VALU_DEP_1)
	v_cndmask_b32_e64 v72, 0, v72, s0
	v_cmp_lt_i32_e64 s0, v40, v55
	v_cndmask_b32_e64 v73, 0, v73, s0
	v_cmp_lt_i32_e64 s0, v183, v55
	s_delay_alu instid0(VALU_DEP_1) | instskip(SKIP_1) | instid1(VALU_DEP_1)
	v_cndmask_b32_e64 v74, 0, v74, s0
	v_cmp_lt_i32_e64 s0, v151, v55
	v_cndmask_b32_e64 v63, 0, v63, s0
; %bb.2825:                             ;   in Loop: Header=BB285_1567 Depth=1
	s_or_b32 exec_lo, exec_lo, s8
	scratch_load_b32 v4, off, s32 offset:968 ; 4-byte Folded Reload
	s_mov_b32 s8, exec_lo
	s_waitcnt vmcnt(0)
	v_add_co_u32 v4, s0, v12, v4
	s_delay_alu instid0(VALU_DEP_1) | instskip(SKIP_4) | instid1(VALU_DEP_1)
	v_add_co_ci_u32_e64 v5, s0, 0, v13, s0
	flat_load_b32 v75, v[4:5]
	v_mov_b32_e32 v4, 0
	s_waitcnt vmcnt(0) lgkmcnt(0)
	v_dual_mov_b32 v5, 0 :: v_dual_and_b32 v8, 0xff, v75
	v_dual_mov_b32 v15, v5 :: v_dual_mov_b32 v14, v4
	s_delay_alu instid0(VALU_DEP_2)
	v_cmpx_ne_u16_e32 0, v8
	s_cbranch_execz .LBB285_2833
; %bb.2826:                             ;   in Loop: Header=BB285_1567 Depth=1
	v_bfrev_b32_e32 v14, 1
	v_mov_b32_e32 v15, 0
	s_mov_b32 s13, exec_lo
	v_cmpx_ne_u16_e32 0x80, v8
	s_cbranch_execz .LBB285_2832
; %bb.2827:                             ;   in Loop: Header=BB285_1567 Depth=1
	v_mov_b32_e32 v14, 0x7f800001
	v_and_b32_e32 v17, 0x7f, v75
	v_mov_b32_e32 v15, 0
	s_mov_b32 s15, exec_lo
	s_delay_alu instid0(VALU_DEP_2)
	v_cmpx_ne_u32_e32 0x7f, v17
	s_cbranch_execz .LBB285_2831
; %bb.2828:                             ;   in Loop: Header=BB285_1567 Depth=1
	v_and_b32_e32 v8, 7, v75
	v_lshrrev_b32_e32 v16, 3, v17
	v_mov_b32_e32 v15, v9
	s_mov_b32 s17, exec_lo
	s_delay_alu instid0(VALU_DEP_3)
	v_mov_b32_e32 v14, v8
	v_cmpx_gt_u32_e32 8, v17
; %bb.2829:                             ;   in Loop: Header=BB285_1567 Depth=1
	v_clz_i32_u32_e32 v14, v8
	s_delay_alu instid0(VALU_DEP_1) | instskip(NEXT) | instid1(VALU_DEP_1)
	v_min_u32_e32 v16, 32, v14
	v_subrev_nc_u32_e32 v14, 28, v16
	v_sub_nc_u32_e32 v16, 29, v16
	s_delay_alu instid0(VALU_DEP_2) | instskip(NEXT) | instid1(VALU_DEP_1)
	v_lshlrev_b64 v[14:15], v14, v[8:9]
	v_and_b32_e32 v14, 7, v14
; %bb.2830:                             ;   in Loop: Header=BB285_1567 Depth=1
	s_or_b32 exec_lo, exec_lo, s17
	v_lshlrev_b32_e32 v8, 24, v75
	s_delay_alu instid0(VALU_DEP_2) | instskip(SKIP_1) | instid1(VALU_DEP_3)
	v_lshlrev_b32_e32 v14, 20, v14
	v_lshl_add_u32 v15, v16, 23, 0x3c000000
	v_and_b32_e32 v8, 0x80000000, v8
	s_delay_alu instid0(VALU_DEP_1) | instskip(NEXT) | instid1(VALU_DEP_1)
	v_or3_b32 v8, v14, v8, v15
	v_dual_mov_b32 v15, v9 :: v_dual_mov_b32 v14, v8
.LBB285_2831:                           ;   in Loop: Header=BB285_1567 Depth=1
	s_or_b32 exec_lo, exec_lo, s15
.LBB285_2832:                           ;   in Loop: Header=BB285_1567 Depth=1
	s_delay_alu instid0(SALU_CYCLE_1)
	s_or_b32 exec_lo, exec_lo, s13
.LBB285_2833:                           ;   in Loop: Header=BB285_1567 Depth=1
	s_delay_alu instid0(SALU_CYCLE_1) | instskip(SKIP_2) | instid1(VALU_DEP_1)
	s_or_b32 exec_lo, exec_lo, s8
	v_lshrrev_b16 v8, 8, v75
	s_mov_b32 s13, exec_lo
	v_cmpx_ne_u16_e32 0, v8
	s_cbranch_execz .LBB285_2841
; %bb.2834:                             ;   in Loop: Header=BB285_1567 Depth=1
	v_dual_mov_b32 v5, s3 :: v_dual_mov_b32 v4, s2
	s_mov_b32 s15, exec_lo
	v_cmpx_ne_u16_e32 0x80, v8
	s_cbranch_execz .LBB285_2840
; %bb.2835:                             ;   in Loop: Header=BB285_1567 Depth=1
	s_mov_b32 s8, s2
	v_and_b32_e32 v8, 0xffff, v8
	v_dual_mov_b32 v4, s8 :: v_dual_mov_b32 v5, s9
	s_mov_b32 s8, exec_lo
	s_delay_alu instid0(VALU_DEP_2) | instskip(NEXT) | instid1(VALU_DEP_1)
	v_and_b32_e32 v17, 0x7f, v8
	v_cmpx_ne_u32_e32 0x7f, v17
	s_cbranch_execz .LBB285_2839
; %bb.2836:                             ;   in Loop: Header=BB285_1567 Depth=1
	v_and_b32_e32 v8, 7, v8
	v_lshrrev_b32_e32 v16, 3, v17
	s_mov_b32 s17, exec_lo
	s_delay_alu instid0(VALU_DEP_2)
	v_dual_mov_b32 v4, v8 :: v_dual_mov_b32 v5, v9
	v_cmpx_gt_u32_e32 8, v17
; %bb.2837:                             ;   in Loop: Header=BB285_1567 Depth=1
	v_clz_i32_u32_e32 v4, v8
	s_delay_alu instid0(VALU_DEP_1) | instskip(NEXT) | instid1(VALU_DEP_1)
	v_min_u32_e32 v16, 32, v4
	v_subrev_nc_u32_e32 v4, 28, v16
	v_sub_nc_u32_e32 v16, 29, v16
	s_delay_alu instid0(VALU_DEP_2) | instskip(NEXT) | instid1(VALU_DEP_1)
	v_lshlrev_b64 v[4:5], v4, v[8:9]
	v_and_b32_e32 v4, 7, v4
; %bb.2838:                             ;   in Loop: Header=BB285_1567 Depth=1
	s_or_b32 exec_lo, exec_lo, s17
	v_lshlrev_b32_e32 v5, 16, v75
	s_delay_alu instid0(VALU_DEP_2) | instskip(SKIP_1) | instid1(VALU_DEP_3)
	v_lshlrev_b32_e32 v4, 20, v4
	v_lshl_add_u32 v8, v16, 23, 0x3c000000
	v_and_b32_e32 v5, 0x80000000, v5
	s_delay_alu instid0(VALU_DEP_1)
	v_or3_b32 v5, v4, v5, v8
	v_mov_b32_e32 v4, v9
.LBB285_2839:                           ;   in Loop: Header=BB285_1567 Depth=1
	s_or_b32 exec_lo, exec_lo, s8
.LBB285_2840:                           ;   in Loop: Header=BB285_1567 Depth=1
	s_delay_alu instid0(SALU_CYCLE_1)
	s_or_b32 exec_lo, exec_lo, s15
.LBB285_2841:                           ;   in Loop: Header=BB285_1567 Depth=1
	s_delay_alu instid0(SALU_CYCLE_1) | instskip(SKIP_4) | instid1(VALU_DEP_1)
	s_or_b32 exec_lo, exec_lo, s13
	v_mov_b32_e32 v16, 0
	v_lshrrev_b32_e32 v76, 16, v75
	v_mov_b32_e32 v17, 0
	s_mov_b32 s8, exec_lo
	v_dual_mov_b32 v19, v17 :: v_dual_and_b32 v8, 0xff, v76
	v_mov_b32_e32 v18, v16
	s_delay_alu instid0(VALU_DEP_2)
	v_cmpx_ne_u16_e32 0, v8
	s_cbranch_execz .LBB285_2849
; %bb.2842:                             ;   in Loop: Header=BB285_1567 Depth=1
	v_bfrev_b32_e32 v18, 1
	v_mov_b32_e32 v19, 0
	s_mov_b32 s13, exec_lo
	v_cmpx_ne_u16_e32 0x80, v8
	s_cbranch_execz .LBB285_2848
; %bb.2843:                             ;   in Loop: Header=BB285_1567 Depth=1
	v_mov_b32_e32 v18, 0x7f800001
	v_bfe_u32 v78, v75, 16, 7
	v_mov_b32_e32 v19, 0
	s_mov_b32 s15, exec_lo
	s_delay_alu instid0(VALU_DEP_2)
	v_cmpx_ne_u32_e32 0x7f, v78
	s_cbranch_execz .LBB285_2847
; %bb.2844:                             ;   in Loop: Header=BB285_1567 Depth=1
	v_and_b32_e32 v8, 7, v76
	v_lshrrev_b32_e32 v77, 3, v78
	v_mov_b32_e32 v19, v9
	s_mov_b32 s17, exec_lo
	s_delay_alu instid0(VALU_DEP_3)
	v_mov_b32_e32 v18, v8
	v_cmpx_gt_u32_e32 8, v78
; %bb.2845:                             ;   in Loop: Header=BB285_1567 Depth=1
	v_clz_i32_u32_e32 v18, v8
	s_delay_alu instid0(VALU_DEP_1) | instskip(NEXT) | instid1(VALU_DEP_1)
	v_min_u32_e32 v77, 32, v18
	v_subrev_nc_u32_e32 v18, 28, v77
	v_sub_nc_u32_e32 v77, 29, v77
	s_delay_alu instid0(VALU_DEP_2) | instskip(NEXT) | instid1(VALU_DEP_1)
	v_lshlrev_b64 v[18:19], v18, v[8:9]
	v_and_b32_e32 v18, 7, v18
; %bb.2846:                             ;   in Loop: Header=BB285_1567 Depth=1
	s_or_b32 exec_lo, exec_lo, s17
	v_lshlrev_b32_e32 v8, 24, v76
	s_delay_alu instid0(VALU_DEP_2) | instskip(SKIP_1) | instid1(VALU_DEP_3)
	v_lshlrev_b32_e32 v18, 20, v18
	v_lshl_add_u32 v19, v77, 23, 0x3c000000
	v_and_b32_e32 v8, 0x80000000, v8
	s_delay_alu instid0(VALU_DEP_1) | instskip(NEXT) | instid1(VALU_DEP_1)
	v_or3_b32 v8, v18, v8, v19
	v_dual_mov_b32 v19, v9 :: v_dual_mov_b32 v18, v8
.LBB285_2847:                           ;   in Loop: Header=BB285_1567 Depth=1
	s_or_b32 exec_lo, exec_lo, s15
.LBB285_2848:                           ;   in Loop: Header=BB285_1567 Depth=1
	s_delay_alu instid0(SALU_CYCLE_1)
	s_or_b32 exec_lo, exec_lo, s13
.LBB285_2849:                           ;   in Loop: Header=BB285_1567 Depth=1
	s_delay_alu instid0(SALU_CYCLE_1) | instskip(NEXT) | instid1(SALU_CYCLE_1)
	s_or_b32 exec_lo, exec_lo, s8
	s_mov_b32 s13, exec_lo
	v_cmpx_lt_u32_e32 0xffffff, v75
	s_cbranch_execz .LBB285_2857
; %bb.2850:                             ;   in Loop: Header=BB285_1567 Depth=1
	v_lshrrev_b32_e32 v76, 24, v75
	v_dual_mov_b32 v17, s3 :: v_dual_mov_b32 v16, s2
	s_mov_b32 s15, exec_lo
	s_delay_alu instid0(VALU_DEP_2)
	v_cmpx_ne_u32_e32 0x80, v76
	s_cbranch_execz .LBB285_2856
; %bb.2851:                             ;   in Loop: Header=BB285_1567 Depth=1
	s_mov_b32 s8, s2
	v_bfe_u32 v77, v75, 24, 7
	v_dual_mov_b32 v17, s9 :: v_dual_mov_b32 v16, s8
	s_mov_b32 s8, exec_lo
	s_delay_alu instid0(VALU_DEP_2)
	v_cmpx_ne_u32_e32 0x7f, v77
	s_cbranch_execz .LBB285_2855
; %bb.2852:                             ;   in Loop: Header=BB285_1567 Depth=1
	v_and_b32_e32 v8, 7, v76
	v_lshrrev_b32_e32 v75, 3, v77
	v_mov_b32_e32 v17, v9
	s_mov_b32 s17, exec_lo
	s_delay_alu instid0(VALU_DEP_3)
	v_mov_b32_e32 v16, v8
	v_cmpx_gt_u32_e32 8, v77
; %bb.2853:                             ;   in Loop: Header=BB285_1567 Depth=1
	v_clz_i32_u32_e32 v16, v8
	s_delay_alu instid0(VALU_DEP_1) | instskip(NEXT) | instid1(VALU_DEP_1)
	v_min_u32_e32 v75, 32, v16
	v_subrev_nc_u32_e32 v16, 28, v75
	v_sub_nc_u32_e32 v75, 29, v75
	s_delay_alu instid0(VALU_DEP_2) | instskip(NEXT) | instid1(VALU_DEP_1)
	v_lshlrev_b64 v[16:17], v16, v[8:9]
	v_and_b32_e32 v16, 7, v16
; %bb.2854:                             ;   in Loop: Header=BB285_1567 Depth=1
	s_or_b32 exec_lo, exec_lo, s17
	v_lshlrev_b32_e32 v8, 24, v76
	s_delay_alu instid0(VALU_DEP_2) | instskip(SKIP_1) | instid1(VALU_DEP_3)
	v_lshlrev_b32_e32 v16, 20, v16
	v_lshl_add_u32 v17, v75, 23, 0x3c000000
	v_and_b32_e32 v8, 0x80000000, v8
	s_delay_alu instid0(VALU_DEP_1)
	v_or3_b32 v17, v16, v8, v17
	v_mov_b32_e32 v16, v9
.LBB285_2855:                           ;   in Loop: Header=BB285_1567 Depth=1
	s_or_b32 exec_lo, exec_lo, s8
.LBB285_2856:                           ;   in Loop: Header=BB285_1567 Depth=1
	s_delay_alu instid0(SALU_CYCLE_1)
	s_or_b32 exec_lo, exec_lo, s15
.LBB285_2857:                           ;   in Loop: Header=BB285_1567 Depth=1
	s_delay_alu instid0(SALU_CYCLE_1) | instskip(SKIP_4) | instid1(VALU_DEP_3)
	s_or_b32 exec_lo, exec_lo, s13
	v_or_b32_e32 v5, v5, v15
	v_or_b32_e32 v4, v4, v14
	;; [unrolled: 1-line block ×4, first 2 shown]
	v_dual_mul_f32 v77, v161, v5 :: v_dual_mul_f32 v76, v115, v4
	s_delay_alu instid0(VALU_DEP_2)
	v_dual_mul_f32 v75, v161, v8 :: v_dual_mul_f32 v78, v115, v14
	s_and_saveexec_b32 s8, vcc_lo
; %bb.2858:                             ;   in Loop: Header=BB285_1567 Depth=1
	v_cmp_lt_i32_e64 s0, v182, v55
	s_delay_alu instid0(VALU_DEP_1) | instskip(SKIP_1) | instid1(VALU_DEP_1)
	v_cndmask_b32_e64 v76, 0, v76, s0
	v_cmp_lt_i32_e64 s0, v40, v55
	v_cndmask_b32_e64 v77, 0, v77, s0
	v_cmp_lt_i32_e64 s0, v183, v55
	s_delay_alu instid0(VALU_DEP_1) | instskip(SKIP_1) | instid1(VALU_DEP_1)
	v_cndmask_b32_e64 v78, 0, v78, s0
	v_cmp_lt_i32_e64 s0, v151, v55
	v_cndmask_b32_e64 v75, 0, v75, s0
; %bb.2859:                             ;   in Loop: Header=BB285_1567 Depth=1
	s_or_b32 exec_lo, exec_lo, s8
	scratch_load_b32 v4, off, s32 offset:976 ; 4-byte Folded Reload
	s_mov_b32 s8, exec_lo
	s_waitcnt vmcnt(0)
	v_add_co_u32 v4, s0, v12, v4
	s_delay_alu instid0(VALU_DEP_1) | instskip(SKIP_4) | instid1(VALU_DEP_1)
	v_add_co_ci_u32_e64 v5, s0, 0, v13, s0
	flat_load_b32 v79, v[4:5]
	v_mov_b32_e32 v4, 0
	s_waitcnt vmcnt(0) lgkmcnt(0)
	v_dual_mov_b32 v5, 0 :: v_dual_and_b32 v8, 0xff, v79
	v_dual_mov_b32 v15, v5 :: v_dual_mov_b32 v14, v4
	s_delay_alu instid0(VALU_DEP_2)
	v_cmpx_ne_u16_e32 0, v8
	s_cbranch_execz .LBB285_2867
; %bb.2860:                             ;   in Loop: Header=BB285_1567 Depth=1
	v_bfrev_b32_e32 v14, 1
	v_mov_b32_e32 v15, 0
	s_mov_b32 s13, exec_lo
	v_cmpx_ne_u16_e32 0x80, v8
	s_cbranch_execz .LBB285_2866
; %bb.2861:                             ;   in Loop: Header=BB285_1567 Depth=1
	v_mov_b32_e32 v14, 0x7f800001
	v_and_b32_e32 v17, 0x7f, v79
	v_mov_b32_e32 v15, 0
	s_mov_b32 s15, exec_lo
	s_delay_alu instid0(VALU_DEP_2)
	v_cmpx_ne_u32_e32 0x7f, v17
	s_cbranch_execz .LBB285_2865
; %bb.2862:                             ;   in Loop: Header=BB285_1567 Depth=1
	v_and_b32_e32 v8, 7, v79
	v_lshrrev_b32_e32 v16, 3, v17
	v_mov_b32_e32 v15, v9
	s_mov_b32 s17, exec_lo
	s_delay_alu instid0(VALU_DEP_3)
	v_mov_b32_e32 v14, v8
	v_cmpx_gt_u32_e32 8, v17
; %bb.2863:                             ;   in Loop: Header=BB285_1567 Depth=1
	v_clz_i32_u32_e32 v14, v8
	s_delay_alu instid0(VALU_DEP_1) | instskip(NEXT) | instid1(VALU_DEP_1)
	v_min_u32_e32 v16, 32, v14
	v_subrev_nc_u32_e32 v14, 28, v16
	v_sub_nc_u32_e32 v16, 29, v16
	s_delay_alu instid0(VALU_DEP_2) | instskip(NEXT) | instid1(VALU_DEP_1)
	v_lshlrev_b64 v[14:15], v14, v[8:9]
	v_and_b32_e32 v14, 7, v14
; %bb.2864:                             ;   in Loop: Header=BB285_1567 Depth=1
	s_or_b32 exec_lo, exec_lo, s17
	v_lshlrev_b32_e32 v8, 24, v79
	s_delay_alu instid0(VALU_DEP_2) | instskip(SKIP_1) | instid1(VALU_DEP_3)
	v_lshlrev_b32_e32 v14, 20, v14
	v_lshl_add_u32 v15, v16, 23, 0x3c000000
	v_and_b32_e32 v8, 0x80000000, v8
	s_delay_alu instid0(VALU_DEP_1) | instskip(NEXT) | instid1(VALU_DEP_1)
	v_or3_b32 v8, v14, v8, v15
	v_dual_mov_b32 v15, v9 :: v_dual_mov_b32 v14, v8
.LBB285_2865:                           ;   in Loop: Header=BB285_1567 Depth=1
	s_or_b32 exec_lo, exec_lo, s15
.LBB285_2866:                           ;   in Loop: Header=BB285_1567 Depth=1
	s_delay_alu instid0(SALU_CYCLE_1)
	s_or_b32 exec_lo, exec_lo, s13
.LBB285_2867:                           ;   in Loop: Header=BB285_1567 Depth=1
	s_delay_alu instid0(SALU_CYCLE_1) | instskip(SKIP_2) | instid1(VALU_DEP_1)
	s_or_b32 exec_lo, exec_lo, s8
	v_lshrrev_b16 v8, 8, v79
	s_mov_b32 s13, exec_lo
	v_cmpx_ne_u16_e32 0, v8
	s_cbranch_execz .LBB285_2875
; %bb.2868:                             ;   in Loop: Header=BB285_1567 Depth=1
	v_dual_mov_b32 v5, s3 :: v_dual_mov_b32 v4, s2
	s_mov_b32 s15, exec_lo
	v_cmpx_ne_u16_e32 0x80, v8
	s_cbranch_execz .LBB285_2874
; %bb.2869:                             ;   in Loop: Header=BB285_1567 Depth=1
	s_mov_b32 s8, s2
	v_and_b32_e32 v8, 0xffff, v8
	v_dual_mov_b32 v4, s8 :: v_dual_mov_b32 v5, s9
	s_mov_b32 s8, exec_lo
	s_delay_alu instid0(VALU_DEP_2) | instskip(NEXT) | instid1(VALU_DEP_1)
	v_and_b32_e32 v17, 0x7f, v8
	v_cmpx_ne_u32_e32 0x7f, v17
	s_cbranch_execz .LBB285_2873
; %bb.2870:                             ;   in Loop: Header=BB285_1567 Depth=1
	v_and_b32_e32 v8, 7, v8
	v_lshrrev_b32_e32 v16, 3, v17
	s_mov_b32 s17, exec_lo
	s_delay_alu instid0(VALU_DEP_2)
	v_dual_mov_b32 v4, v8 :: v_dual_mov_b32 v5, v9
	v_cmpx_gt_u32_e32 8, v17
; %bb.2871:                             ;   in Loop: Header=BB285_1567 Depth=1
	v_clz_i32_u32_e32 v4, v8
	s_delay_alu instid0(VALU_DEP_1) | instskip(NEXT) | instid1(VALU_DEP_1)
	v_min_u32_e32 v16, 32, v4
	v_subrev_nc_u32_e32 v4, 28, v16
	v_sub_nc_u32_e32 v16, 29, v16
	s_delay_alu instid0(VALU_DEP_2) | instskip(NEXT) | instid1(VALU_DEP_1)
	v_lshlrev_b64 v[4:5], v4, v[8:9]
	v_and_b32_e32 v4, 7, v4
; %bb.2872:                             ;   in Loop: Header=BB285_1567 Depth=1
	s_or_b32 exec_lo, exec_lo, s17
	v_lshlrev_b32_e32 v5, 16, v79
	s_delay_alu instid0(VALU_DEP_2) | instskip(SKIP_1) | instid1(VALU_DEP_3)
	v_lshlrev_b32_e32 v4, 20, v4
	v_lshl_add_u32 v8, v16, 23, 0x3c000000
	v_and_b32_e32 v5, 0x80000000, v5
	s_delay_alu instid0(VALU_DEP_1)
	v_or3_b32 v5, v4, v5, v8
	v_mov_b32_e32 v4, v9
.LBB285_2873:                           ;   in Loop: Header=BB285_1567 Depth=1
	s_or_b32 exec_lo, exec_lo, s8
.LBB285_2874:                           ;   in Loop: Header=BB285_1567 Depth=1
	s_delay_alu instid0(SALU_CYCLE_1)
	s_or_b32 exec_lo, exec_lo, s15
.LBB285_2875:                           ;   in Loop: Header=BB285_1567 Depth=1
	s_delay_alu instid0(SALU_CYCLE_1) | instskip(SKIP_4) | instid1(VALU_DEP_1)
	s_or_b32 exec_lo, exec_lo, s13
	v_mov_b32_e32 v16, 0
	v_lshrrev_b32_e32 v88, 16, v79
	v_mov_b32_e32 v17, 0
	s_mov_b32 s8, exec_lo
	v_dual_mov_b32 v19, v17 :: v_dual_and_b32 v8, 0xff, v88
	v_mov_b32_e32 v18, v16
	s_delay_alu instid0(VALU_DEP_2)
	v_cmpx_ne_u16_e32 0, v8
	s_cbranch_execz .LBB285_2883
; %bb.2876:                             ;   in Loop: Header=BB285_1567 Depth=1
	v_bfrev_b32_e32 v18, 1
	v_mov_b32_e32 v19, 0
	s_mov_b32 s13, exec_lo
	v_cmpx_ne_u16_e32 0x80, v8
	s_cbranch_execz .LBB285_2882
; %bb.2877:                             ;   in Loop: Header=BB285_1567 Depth=1
	v_mov_b32_e32 v18, 0x7f800001
	v_bfe_u32 v90, v79, 16, 7
	v_mov_b32_e32 v19, 0
	s_mov_b32 s15, exec_lo
	s_delay_alu instid0(VALU_DEP_2)
	v_cmpx_ne_u32_e32 0x7f, v90
	s_cbranch_execz .LBB285_2881
; %bb.2878:                             ;   in Loop: Header=BB285_1567 Depth=1
	v_and_b32_e32 v8, 7, v88
	v_lshrrev_b32_e32 v89, 3, v90
	v_mov_b32_e32 v19, v9
	s_mov_b32 s17, exec_lo
	s_delay_alu instid0(VALU_DEP_3)
	v_mov_b32_e32 v18, v8
	v_cmpx_gt_u32_e32 8, v90
; %bb.2879:                             ;   in Loop: Header=BB285_1567 Depth=1
	v_clz_i32_u32_e32 v18, v8
	s_delay_alu instid0(VALU_DEP_1) | instskip(NEXT) | instid1(VALU_DEP_1)
	v_min_u32_e32 v89, 32, v18
	v_subrev_nc_u32_e32 v18, 28, v89
	v_sub_nc_u32_e32 v89, 29, v89
	s_delay_alu instid0(VALU_DEP_2) | instskip(NEXT) | instid1(VALU_DEP_1)
	v_lshlrev_b64 v[18:19], v18, v[8:9]
	v_and_b32_e32 v18, 7, v18
; %bb.2880:                             ;   in Loop: Header=BB285_1567 Depth=1
	s_or_b32 exec_lo, exec_lo, s17
	v_lshlrev_b32_e32 v8, 24, v88
	s_delay_alu instid0(VALU_DEP_2) | instskip(SKIP_1) | instid1(VALU_DEP_3)
	v_lshlrev_b32_e32 v18, 20, v18
	v_lshl_add_u32 v19, v89, 23, 0x3c000000
	v_and_b32_e32 v8, 0x80000000, v8
	s_delay_alu instid0(VALU_DEP_1) | instskip(NEXT) | instid1(VALU_DEP_1)
	v_or3_b32 v8, v18, v8, v19
	v_dual_mov_b32 v19, v9 :: v_dual_mov_b32 v18, v8
.LBB285_2881:                           ;   in Loop: Header=BB285_1567 Depth=1
	s_or_b32 exec_lo, exec_lo, s15
.LBB285_2882:                           ;   in Loop: Header=BB285_1567 Depth=1
	s_delay_alu instid0(SALU_CYCLE_1)
	s_or_b32 exec_lo, exec_lo, s13
.LBB285_2883:                           ;   in Loop: Header=BB285_1567 Depth=1
	s_delay_alu instid0(SALU_CYCLE_1) | instskip(NEXT) | instid1(SALU_CYCLE_1)
	s_or_b32 exec_lo, exec_lo, s8
	s_mov_b32 s13, exec_lo
	v_cmpx_lt_u32_e32 0xffffff, v79
	s_cbranch_execz .LBB285_2891
; %bb.2884:                             ;   in Loop: Header=BB285_1567 Depth=1
	v_lshrrev_b32_e32 v88, 24, v79
	v_dual_mov_b32 v17, s3 :: v_dual_mov_b32 v16, s2
	s_mov_b32 s15, exec_lo
	s_delay_alu instid0(VALU_DEP_2)
	v_cmpx_ne_u32_e32 0x80, v88
	s_cbranch_execz .LBB285_2890
; %bb.2885:                             ;   in Loop: Header=BB285_1567 Depth=1
	s_mov_b32 s8, s2
	v_bfe_u32 v89, v79, 24, 7
	v_dual_mov_b32 v17, s9 :: v_dual_mov_b32 v16, s8
	s_mov_b32 s8, exec_lo
	s_delay_alu instid0(VALU_DEP_2)
	v_cmpx_ne_u32_e32 0x7f, v89
	s_cbranch_execz .LBB285_2889
; %bb.2886:                             ;   in Loop: Header=BB285_1567 Depth=1
	v_and_b32_e32 v8, 7, v88
	v_lshrrev_b32_e32 v79, 3, v89
	v_mov_b32_e32 v17, v9
	s_mov_b32 s17, exec_lo
	s_delay_alu instid0(VALU_DEP_3)
	v_mov_b32_e32 v16, v8
	v_cmpx_gt_u32_e32 8, v89
; %bb.2887:                             ;   in Loop: Header=BB285_1567 Depth=1
	v_clz_i32_u32_e32 v16, v8
	s_delay_alu instid0(VALU_DEP_1) | instskip(NEXT) | instid1(VALU_DEP_1)
	v_min_u32_e32 v79, 32, v16
	v_subrev_nc_u32_e32 v16, 28, v79
	v_sub_nc_u32_e32 v79, 29, v79
	s_delay_alu instid0(VALU_DEP_2) | instskip(NEXT) | instid1(VALU_DEP_1)
	v_lshlrev_b64 v[16:17], v16, v[8:9]
	v_and_b32_e32 v16, 7, v16
; %bb.2888:                             ;   in Loop: Header=BB285_1567 Depth=1
	s_or_b32 exec_lo, exec_lo, s17
	v_lshlrev_b32_e32 v8, 24, v88
	s_delay_alu instid0(VALU_DEP_2) | instskip(SKIP_1) | instid1(VALU_DEP_3)
	v_lshlrev_b32_e32 v16, 20, v16
	v_lshl_add_u32 v17, v79, 23, 0x3c000000
	v_and_b32_e32 v8, 0x80000000, v8
	s_delay_alu instid0(VALU_DEP_1)
	v_or3_b32 v17, v16, v8, v17
	v_mov_b32_e32 v16, v9
.LBB285_2889:                           ;   in Loop: Header=BB285_1567 Depth=1
	s_or_b32 exec_lo, exec_lo, s8
.LBB285_2890:                           ;   in Loop: Header=BB285_1567 Depth=1
	s_delay_alu instid0(SALU_CYCLE_1)
	s_or_b32 exec_lo, exec_lo, s15
.LBB285_2891:                           ;   in Loop: Header=BB285_1567 Depth=1
	s_delay_alu instid0(SALU_CYCLE_1) | instskip(SKIP_4) | instid1(VALU_DEP_3)
	s_or_b32 exec_lo, exec_lo, s13
	v_or_b32_e32 v5, v5, v15
	v_or_b32_e32 v4, v4, v14
	;; [unrolled: 1-line block ×4, first 2 shown]
	v_dual_mul_f32 v90, v161, v5 :: v_dual_mul_f32 v89, v115, v4
	s_delay_alu instid0(VALU_DEP_2)
	v_dual_mul_f32 v79, v161, v8 :: v_dual_mul_f32 v88, v115, v14
	s_and_saveexec_b32 s8, vcc_lo
; %bb.2892:                             ;   in Loop: Header=BB285_1567 Depth=1
	v_cmp_lt_i32_e64 s0, v182, v55
	s_delay_alu instid0(VALU_DEP_1) | instskip(SKIP_1) | instid1(VALU_DEP_1)
	v_cndmask_b32_e64 v89, 0, v89, s0
	v_cmp_lt_i32_e64 s0, v40, v55
	v_cndmask_b32_e64 v90, 0, v90, s0
	v_cmp_lt_i32_e64 s0, v183, v55
	s_delay_alu instid0(VALU_DEP_1) | instskip(SKIP_1) | instid1(VALU_DEP_1)
	v_cndmask_b32_e64 v88, 0, v88, s0
	v_cmp_lt_i32_e64 s0, v151, v55
	v_cndmask_b32_e64 v79, 0, v79, s0
; %bb.2893:                             ;   in Loop: Header=BB285_1567 Depth=1
	s_or_b32 exec_lo, exec_lo, s8
	scratch_load_b32 v4, off, s32 offset:984 ; 4-byte Folded Reload
	s_mov_b32 s8, exec_lo
	s_waitcnt vmcnt(0)
	v_add_co_u32 v4, s0, v12, v4
	s_delay_alu instid0(VALU_DEP_1) | instskip(SKIP_4) | instid1(VALU_DEP_1)
	v_add_co_ci_u32_e64 v5, s0, 0, v13, s0
	flat_load_b32 v91, v[4:5]
	v_mov_b32_e32 v4, 0
	s_waitcnt vmcnt(0) lgkmcnt(0)
	v_dual_mov_b32 v5, 0 :: v_dual_and_b32 v8, 0xff, v91
	v_dual_mov_b32 v15, v5 :: v_dual_mov_b32 v14, v4
	s_delay_alu instid0(VALU_DEP_2)
	v_cmpx_ne_u16_e32 0, v8
	s_cbranch_execz .LBB285_2901
; %bb.2894:                             ;   in Loop: Header=BB285_1567 Depth=1
	v_bfrev_b32_e32 v14, 1
	v_mov_b32_e32 v15, 0
	s_mov_b32 s13, exec_lo
	v_cmpx_ne_u16_e32 0x80, v8
	s_cbranch_execz .LBB285_2900
; %bb.2895:                             ;   in Loop: Header=BB285_1567 Depth=1
	v_mov_b32_e32 v14, 0x7f800001
	v_and_b32_e32 v17, 0x7f, v91
	v_mov_b32_e32 v15, 0
	s_mov_b32 s15, exec_lo
	s_delay_alu instid0(VALU_DEP_2)
	v_cmpx_ne_u32_e32 0x7f, v17
	s_cbranch_execz .LBB285_2899
; %bb.2896:                             ;   in Loop: Header=BB285_1567 Depth=1
	v_and_b32_e32 v8, 7, v91
	v_lshrrev_b32_e32 v16, 3, v17
	v_mov_b32_e32 v15, v9
	s_mov_b32 s17, exec_lo
	s_delay_alu instid0(VALU_DEP_3)
	v_mov_b32_e32 v14, v8
	v_cmpx_gt_u32_e32 8, v17
; %bb.2897:                             ;   in Loop: Header=BB285_1567 Depth=1
	v_clz_i32_u32_e32 v14, v8
	s_delay_alu instid0(VALU_DEP_1) | instskip(NEXT) | instid1(VALU_DEP_1)
	v_min_u32_e32 v16, 32, v14
	v_subrev_nc_u32_e32 v14, 28, v16
	v_sub_nc_u32_e32 v16, 29, v16
	s_delay_alu instid0(VALU_DEP_2) | instskip(NEXT) | instid1(VALU_DEP_1)
	v_lshlrev_b64 v[14:15], v14, v[8:9]
	v_and_b32_e32 v14, 7, v14
; %bb.2898:                             ;   in Loop: Header=BB285_1567 Depth=1
	s_or_b32 exec_lo, exec_lo, s17
	v_lshlrev_b32_e32 v8, 24, v91
	s_delay_alu instid0(VALU_DEP_2) | instskip(SKIP_1) | instid1(VALU_DEP_3)
	v_lshlrev_b32_e32 v14, 20, v14
	v_lshl_add_u32 v15, v16, 23, 0x3c000000
	v_and_b32_e32 v8, 0x80000000, v8
	s_delay_alu instid0(VALU_DEP_1) | instskip(NEXT) | instid1(VALU_DEP_1)
	v_or3_b32 v8, v14, v8, v15
	v_dual_mov_b32 v15, v9 :: v_dual_mov_b32 v14, v8
.LBB285_2899:                           ;   in Loop: Header=BB285_1567 Depth=1
	s_or_b32 exec_lo, exec_lo, s15
.LBB285_2900:                           ;   in Loop: Header=BB285_1567 Depth=1
	s_delay_alu instid0(SALU_CYCLE_1)
	s_or_b32 exec_lo, exec_lo, s13
.LBB285_2901:                           ;   in Loop: Header=BB285_1567 Depth=1
	s_delay_alu instid0(SALU_CYCLE_1) | instskip(SKIP_2) | instid1(VALU_DEP_1)
	s_or_b32 exec_lo, exec_lo, s8
	v_lshrrev_b16 v8, 8, v91
	s_mov_b32 s13, exec_lo
	v_cmpx_ne_u16_e32 0, v8
	s_cbranch_execz .LBB285_2909
; %bb.2902:                             ;   in Loop: Header=BB285_1567 Depth=1
	v_dual_mov_b32 v5, s3 :: v_dual_mov_b32 v4, s2
	s_mov_b32 s15, exec_lo
	v_cmpx_ne_u16_e32 0x80, v8
	s_cbranch_execz .LBB285_2908
; %bb.2903:                             ;   in Loop: Header=BB285_1567 Depth=1
	s_mov_b32 s8, s2
	v_and_b32_e32 v8, 0xffff, v8
	v_dual_mov_b32 v4, s8 :: v_dual_mov_b32 v5, s9
	s_mov_b32 s8, exec_lo
	s_delay_alu instid0(VALU_DEP_2) | instskip(NEXT) | instid1(VALU_DEP_1)
	v_and_b32_e32 v17, 0x7f, v8
	v_cmpx_ne_u32_e32 0x7f, v17
	s_cbranch_execz .LBB285_2907
; %bb.2904:                             ;   in Loop: Header=BB285_1567 Depth=1
	v_and_b32_e32 v8, 7, v8
	v_lshrrev_b32_e32 v16, 3, v17
	s_mov_b32 s17, exec_lo
	s_delay_alu instid0(VALU_DEP_2)
	v_dual_mov_b32 v4, v8 :: v_dual_mov_b32 v5, v9
	v_cmpx_gt_u32_e32 8, v17
; %bb.2905:                             ;   in Loop: Header=BB285_1567 Depth=1
	v_clz_i32_u32_e32 v4, v8
	s_delay_alu instid0(VALU_DEP_1) | instskip(NEXT) | instid1(VALU_DEP_1)
	v_min_u32_e32 v16, 32, v4
	v_subrev_nc_u32_e32 v4, 28, v16
	v_sub_nc_u32_e32 v16, 29, v16
	s_delay_alu instid0(VALU_DEP_2) | instskip(NEXT) | instid1(VALU_DEP_1)
	v_lshlrev_b64 v[4:5], v4, v[8:9]
	v_and_b32_e32 v4, 7, v4
; %bb.2906:                             ;   in Loop: Header=BB285_1567 Depth=1
	s_or_b32 exec_lo, exec_lo, s17
	v_lshlrev_b32_e32 v5, 16, v91
	s_delay_alu instid0(VALU_DEP_2) | instskip(SKIP_1) | instid1(VALU_DEP_3)
	v_lshlrev_b32_e32 v4, 20, v4
	v_lshl_add_u32 v8, v16, 23, 0x3c000000
	v_and_b32_e32 v5, 0x80000000, v5
	s_delay_alu instid0(VALU_DEP_1)
	v_or3_b32 v5, v4, v5, v8
	v_mov_b32_e32 v4, v9
.LBB285_2907:                           ;   in Loop: Header=BB285_1567 Depth=1
	s_or_b32 exec_lo, exec_lo, s8
.LBB285_2908:                           ;   in Loop: Header=BB285_1567 Depth=1
	s_delay_alu instid0(SALU_CYCLE_1)
	s_or_b32 exec_lo, exec_lo, s15
.LBB285_2909:                           ;   in Loop: Header=BB285_1567 Depth=1
	s_delay_alu instid0(SALU_CYCLE_1) | instskip(SKIP_4) | instid1(VALU_DEP_1)
	s_or_b32 exec_lo, exec_lo, s13
	v_mov_b32_e32 v16, 0
	v_lshrrev_b32_e32 v92, 16, v91
	v_mov_b32_e32 v17, 0
	s_mov_b32 s8, exec_lo
	v_dual_mov_b32 v19, v17 :: v_dual_and_b32 v8, 0xff, v92
	v_mov_b32_e32 v18, v16
	s_delay_alu instid0(VALU_DEP_2)
	v_cmpx_ne_u16_e32 0, v8
	s_cbranch_execz .LBB285_2917
; %bb.2910:                             ;   in Loop: Header=BB285_1567 Depth=1
	v_bfrev_b32_e32 v18, 1
	v_mov_b32_e32 v19, 0
	s_mov_b32 s13, exec_lo
	v_cmpx_ne_u16_e32 0x80, v8
	s_cbranch_execz .LBB285_2916
; %bb.2911:                             ;   in Loop: Header=BB285_1567 Depth=1
	v_mov_b32_e32 v18, 0x7f800001
	v_bfe_u32 v94, v91, 16, 7
	v_mov_b32_e32 v19, 0
	s_mov_b32 s15, exec_lo
	s_delay_alu instid0(VALU_DEP_2)
	v_cmpx_ne_u32_e32 0x7f, v94
	s_cbranch_execz .LBB285_2915
; %bb.2912:                             ;   in Loop: Header=BB285_1567 Depth=1
	v_and_b32_e32 v8, 7, v92
	v_lshrrev_b32_e32 v93, 3, v94
	v_mov_b32_e32 v19, v9
	s_mov_b32 s17, exec_lo
	s_delay_alu instid0(VALU_DEP_3)
	v_mov_b32_e32 v18, v8
	v_cmpx_gt_u32_e32 8, v94
; %bb.2913:                             ;   in Loop: Header=BB285_1567 Depth=1
	v_clz_i32_u32_e32 v18, v8
	s_delay_alu instid0(VALU_DEP_1) | instskip(NEXT) | instid1(VALU_DEP_1)
	v_min_u32_e32 v93, 32, v18
	v_subrev_nc_u32_e32 v18, 28, v93
	v_sub_nc_u32_e32 v93, 29, v93
	s_delay_alu instid0(VALU_DEP_2) | instskip(NEXT) | instid1(VALU_DEP_1)
	v_lshlrev_b64 v[18:19], v18, v[8:9]
	v_and_b32_e32 v18, 7, v18
; %bb.2914:                             ;   in Loop: Header=BB285_1567 Depth=1
	s_or_b32 exec_lo, exec_lo, s17
	v_lshlrev_b32_e32 v8, 24, v92
	s_delay_alu instid0(VALU_DEP_2) | instskip(SKIP_1) | instid1(VALU_DEP_3)
	v_lshlrev_b32_e32 v18, 20, v18
	v_lshl_add_u32 v19, v93, 23, 0x3c000000
	v_and_b32_e32 v8, 0x80000000, v8
	s_delay_alu instid0(VALU_DEP_1) | instskip(NEXT) | instid1(VALU_DEP_1)
	v_or3_b32 v8, v18, v8, v19
	v_dual_mov_b32 v19, v9 :: v_dual_mov_b32 v18, v8
.LBB285_2915:                           ;   in Loop: Header=BB285_1567 Depth=1
	s_or_b32 exec_lo, exec_lo, s15
.LBB285_2916:                           ;   in Loop: Header=BB285_1567 Depth=1
	s_delay_alu instid0(SALU_CYCLE_1)
	s_or_b32 exec_lo, exec_lo, s13
.LBB285_2917:                           ;   in Loop: Header=BB285_1567 Depth=1
	s_delay_alu instid0(SALU_CYCLE_1) | instskip(NEXT) | instid1(SALU_CYCLE_1)
	s_or_b32 exec_lo, exec_lo, s8
	s_mov_b32 s13, exec_lo
	v_cmpx_lt_u32_e32 0xffffff, v91
	s_cbranch_execz .LBB285_2925
; %bb.2918:                             ;   in Loop: Header=BB285_1567 Depth=1
	v_lshrrev_b32_e32 v92, 24, v91
	v_dual_mov_b32 v17, s3 :: v_dual_mov_b32 v16, s2
	s_mov_b32 s15, exec_lo
	s_delay_alu instid0(VALU_DEP_2)
	v_cmpx_ne_u32_e32 0x80, v92
	s_cbranch_execz .LBB285_2924
; %bb.2919:                             ;   in Loop: Header=BB285_1567 Depth=1
	s_mov_b32 s8, s2
	v_bfe_u32 v93, v91, 24, 7
	v_dual_mov_b32 v17, s9 :: v_dual_mov_b32 v16, s8
	s_mov_b32 s8, exec_lo
	s_delay_alu instid0(VALU_DEP_2)
	v_cmpx_ne_u32_e32 0x7f, v93
	s_cbranch_execz .LBB285_2923
; %bb.2920:                             ;   in Loop: Header=BB285_1567 Depth=1
	v_and_b32_e32 v8, 7, v92
	v_lshrrev_b32_e32 v91, 3, v93
	v_mov_b32_e32 v17, v9
	s_mov_b32 s17, exec_lo
	s_delay_alu instid0(VALU_DEP_3)
	v_mov_b32_e32 v16, v8
	v_cmpx_gt_u32_e32 8, v93
; %bb.2921:                             ;   in Loop: Header=BB285_1567 Depth=1
	v_clz_i32_u32_e32 v16, v8
	s_delay_alu instid0(VALU_DEP_1) | instskip(NEXT) | instid1(VALU_DEP_1)
	v_min_u32_e32 v91, 32, v16
	v_subrev_nc_u32_e32 v16, 28, v91
	v_sub_nc_u32_e32 v91, 29, v91
	s_delay_alu instid0(VALU_DEP_2) | instskip(NEXT) | instid1(VALU_DEP_1)
	v_lshlrev_b64 v[16:17], v16, v[8:9]
	v_and_b32_e32 v16, 7, v16
; %bb.2922:                             ;   in Loop: Header=BB285_1567 Depth=1
	s_or_b32 exec_lo, exec_lo, s17
	v_lshlrev_b32_e32 v8, 24, v92
	s_delay_alu instid0(VALU_DEP_2) | instskip(SKIP_1) | instid1(VALU_DEP_3)
	v_lshlrev_b32_e32 v16, 20, v16
	v_lshl_add_u32 v17, v91, 23, 0x3c000000
	v_and_b32_e32 v8, 0x80000000, v8
	s_delay_alu instid0(VALU_DEP_1)
	v_or3_b32 v17, v16, v8, v17
	v_mov_b32_e32 v16, v9
.LBB285_2923:                           ;   in Loop: Header=BB285_1567 Depth=1
	s_or_b32 exec_lo, exec_lo, s8
.LBB285_2924:                           ;   in Loop: Header=BB285_1567 Depth=1
	s_delay_alu instid0(SALU_CYCLE_1)
	s_or_b32 exec_lo, exec_lo, s15
.LBB285_2925:                           ;   in Loop: Header=BB285_1567 Depth=1
	s_delay_alu instid0(SALU_CYCLE_1) | instskip(SKIP_4) | instid1(VALU_DEP_3)
	s_or_b32 exec_lo, exec_lo, s13
	v_or_b32_e32 v5, v5, v15
	v_or_b32_e32 v4, v4, v14
	;; [unrolled: 1-line block ×4, first 2 shown]
	v_dual_mul_f32 v94, v161, v5 :: v_dual_mul_f32 v93, v115, v4
	s_delay_alu instid0(VALU_DEP_2)
	v_dual_mul_f32 v91, v161, v8 :: v_dual_mul_f32 v92, v115, v14
	s_and_saveexec_b32 s8, vcc_lo
; %bb.2926:                             ;   in Loop: Header=BB285_1567 Depth=1
	v_cmp_lt_i32_e64 s0, v182, v55
	s_delay_alu instid0(VALU_DEP_1) | instskip(SKIP_1) | instid1(VALU_DEP_1)
	v_cndmask_b32_e64 v93, 0, v93, s0
	v_cmp_lt_i32_e64 s0, v40, v55
	v_cndmask_b32_e64 v94, 0, v94, s0
	v_cmp_lt_i32_e64 s0, v183, v55
	s_delay_alu instid0(VALU_DEP_1) | instskip(SKIP_1) | instid1(VALU_DEP_1)
	v_cndmask_b32_e64 v92, 0, v92, s0
	v_cmp_lt_i32_e64 s0, v151, v55
	v_cndmask_b32_e64 v91, 0, v91, s0
; %bb.2927:                             ;   in Loop: Header=BB285_1567 Depth=1
	s_or_b32 exec_lo, exec_lo, s8
	scratch_load_b32 v4, off, s32 offset:992 ; 4-byte Folded Reload
	s_mov_b32 s8, exec_lo
	s_waitcnt vmcnt(0)
	v_add_co_u32 v4, s0, v12, v4
	s_delay_alu instid0(VALU_DEP_1) | instskip(SKIP_4) | instid1(VALU_DEP_1)
	v_add_co_ci_u32_e64 v5, s0, 0, v13, s0
	flat_load_b32 v95, v[4:5]
	v_mov_b32_e32 v4, 0
	s_waitcnt vmcnt(0) lgkmcnt(0)
	v_dual_mov_b32 v5, 0 :: v_dual_and_b32 v8, 0xff, v95
	v_dual_mov_b32 v15, v5 :: v_dual_mov_b32 v14, v4
	s_delay_alu instid0(VALU_DEP_2)
	v_cmpx_ne_u16_e32 0, v8
	s_cbranch_execz .LBB285_2935
; %bb.2928:                             ;   in Loop: Header=BB285_1567 Depth=1
	v_bfrev_b32_e32 v14, 1
	v_mov_b32_e32 v15, 0
	s_mov_b32 s13, exec_lo
	v_cmpx_ne_u16_e32 0x80, v8
	s_cbranch_execz .LBB285_2934
; %bb.2929:                             ;   in Loop: Header=BB285_1567 Depth=1
	v_mov_b32_e32 v14, 0x7f800001
	v_and_b32_e32 v17, 0x7f, v95
	v_mov_b32_e32 v15, 0
	s_mov_b32 s15, exec_lo
	s_delay_alu instid0(VALU_DEP_2)
	v_cmpx_ne_u32_e32 0x7f, v17
	s_cbranch_execz .LBB285_2933
; %bb.2930:                             ;   in Loop: Header=BB285_1567 Depth=1
	v_and_b32_e32 v8, 7, v95
	v_lshrrev_b32_e32 v16, 3, v17
	v_mov_b32_e32 v15, v9
	s_mov_b32 s17, exec_lo
	s_delay_alu instid0(VALU_DEP_3)
	v_mov_b32_e32 v14, v8
	v_cmpx_gt_u32_e32 8, v17
; %bb.2931:                             ;   in Loop: Header=BB285_1567 Depth=1
	v_clz_i32_u32_e32 v14, v8
	s_delay_alu instid0(VALU_DEP_1) | instskip(NEXT) | instid1(VALU_DEP_1)
	v_min_u32_e32 v16, 32, v14
	v_subrev_nc_u32_e32 v14, 28, v16
	v_sub_nc_u32_e32 v16, 29, v16
	s_delay_alu instid0(VALU_DEP_2) | instskip(NEXT) | instid1(VALU_DEP_1)
	v_lshlrev_b64 v[14:15], v14, v[8:9]
	v_and_b32_e32 v14, 7, v14
; %bb.2932:                             ;   in Loop: Header=BB285_1567 Depth=1
	s_or_b32 exec_lo, exec_lo, s17
	v_lshlrev_b32_e32 v8, 24, v95
	s_delay_alu instid0(VALU_DEP_2) | instskip(SKIP_1) | instid1(VALU_DEP_3)
	v_lshlrev_b32_e32 v14, 20, v14
	v_lshl_add_u32 v15, v16, 23, 0x3c000000
	v_and_b32_e32 v8, 0x80000000, v8
	s_delay_alu instid0(VALU_DEP_1) | instskip(NEXT) | instid1(VALU_DEP_1)
	v_or3_b32 v8, v14, v8, v15
	v_dual_mov_b32 v15, v9 :: v_dual_mov_b32 v14, v8
.LBB285_2933:                           ;   in Loop: Header=BB285_1567 Depth=1
	s_or_b32 exec_lo, exec_lo, s15
.LBB285_2934:                           ;   in Loop: Header=BB285_1567 Depth=1
	s_delay_alu instid0(SALU_CYCLE_1)
	s_or_b32 exec_lo, exec_lo, s13
.LBB285_2935:                           ;   in Loop: Header=BB285_1567 Depth=1
	s_delay_alu instid0(SALU_CYCLE_1) | instskip(SKIP_2) | instid1(VALU_DEP_1)
	s_or_b32 exec_lo, exec_lo, s8
	v_lshrrev_b16 v8, 8, v95
	s_mov_b32 s13, exec_lo
	v_cmpx_ne_u16_e32 0, v8
	s_cbranch_execz .LBB285_2943
; %bb.2936:                             ;   in Loop: Header=BB285_1567 Depth=1
	v_dual_mov_b32 v5, s3 :: v_dual_mov_b32 v4, s2
	s_mov_b32 s15, exec_lo
	v_cmpx_ne_u16_e32 0x80, v8
	s_cbranch_execz .LBB285_2942
; %bb.2937:                             ;   in Loop: Header=BB285_1567 Depth=1
	s_mov_b32 s8, s2
	v_and_b32_e32 v8, 0xffff, v8
	v_dual_mov_b32 v4, s8 :: v_dual_mov_b32 v5, s9
	s_mov_b32 s8, exec_lo
	s_delay_alu instid0(VALU_DEP_2) | instskip(NEXT) | instid1(VALU_DEP_1)
	v_and_b32_e32 v17, 0x7f, v8
	v_cmpx_ne_u32_e32 0x7f, v17
	s_cbranch_execz .LBB285_2941
; %bb.2938:                             ;   in Loop: Header=BB285_1567 Depth=1
	v_and_b32_e32 v8, 7, v8
	v_lshrrev_b32_e32 v16, 3, v17
	s_mov_b32 s17, exec_lo
	s_delay_alu instid0(VALU_DEP_2)
	v_dual_mov_b32 v4, v8 :: v_dual_mov_b32 v5, v9
	v_cmpx_gt_u32_e32 8, v17
; %bb.2939:                             ;   in Loop: Header=BB285_1567 Depth=1
	v_clz_i32_u32_e32 v4, v8
	s_delay_alu instid0(VALU_DEP_1) | instskip(NEXT) | instid1(VALU_DEP_1)
	v_min_u32_e32 v16, 32, v4
	v_subrev_nc_u32_e32 v4, 28, v16
	v_sub_nc_u32_e32 v16, 29, v16
	s_delay_alu instid0(VALU_DEP_2) | instskip(NEXT) | instid1(VALU_DEP_1)
	v_lshlrev_b64 v[4:5], v4, v[8:9]
	v_and_b32_e32 v4, 7, v4
; %bb.2940:                             ;   in Loop: Header=BB285_1567 Depth=1
	s_or_b32 exec_lo, exec_lo, s17
	v_lshlrev_b32_e32 v5, 16, v95
	s_delay_alu instid0(VALU_DEP_2) | instskip(SKIP_1) | instid1(VALU_DEP_3)
	v_lshlrev_b32_e32 v4, 20, v4
	v_lshl_add_u32 v8, v16, 23, 0x3c000000
	v_and_b32_e32 v5, 0x80000000, v5
	s_delay_alu instid0(VALU_DEP_1)
	v_or3_b32 v5, v4, v5, v8
	v_mov_b32_e32 v4, v9
.LBB285_2941:                           ;   in Loop: Header=BB285_1567 Depth=1
	s_or_b32 exec_lo, exec_lo, s8
.LBB285_2942:                           ;   in Loop: Header=BB285_1567 Depth=1
	s_delay_alu instid0(SALU_CYCLE_1)
	s_or_b32 exec_lo, exec_lo, s15
.LBB285_2943:                           ;   in Loop: Header=BB285_1567 Depth=1
	s_delay_alu instid0(SALU_CYCLE_1) | instskip(SKIP_4) | instid1(VALU_DEP_1)
	s_or_b32 exec_lo, exec_lo, s13
	v_mov_b32_e32 v16, 0
	v_lshrrev_b32_e32 v104, 16, v95
	v_mov_b32_e32 v17, 0
	s_mov_b32 s8, exec_lo
	v_dual_mov_b32 v19, v17 :: v_dual_and_b32 v8, 0xff, v104
	v_mov_b32_e32 v18, v16
	s_delay_alu instid0(VALU_DEP_2)
	v_cmpx_ne_u16_e32 0, v8
	s_cbranch_execz .LBB285_2951
; %bb.2944:                             ;   in Loop: Header=BB285_1567 Depth=1
	v_bfrev_b32_e32 v18, 1
	v_mov_b32_e32 v19, 0
	s_mov_b32 s13, exec_lo
	v_cmpx_ne_u16_e32 0x80, v8
	s_cbranch_execz .LBB285_2950
; %bb.2945:                             ;   in Loop: Header=BB285_1567 Depth=1
	v_mov_b32_e32 v18, 0x7f800001
	v_bfe_u32 v106, v95, 16, 7
	v_mov_b32_e32 v19, 0
	s_mov_b32 s15, exec_lo
	s_delay_alu instid0(VALU_DEP_2)
	v_cmpx_ne_u32_e32 0x7f, v106
	s_cbranch_execz .LBB285_2949
; %bb.2946:                             ;   in Loop: Header=BB285_1567 Depth=1
	v_and_b32_e32 v8, 7, v104
	v_lshrrev_b32_e32 v105, 3, v106
	v_mov_b32_e32 v19, v9
	s_mov_b32 s17, exec_lo
	s_delay_alu instid0(VALU_DEP_3)
	v_mov_b32_e32 v18, v8
	v_cmpx_gt_u32_e32 8, v106
; %bb.2947:                             ;   in Loop: Header=BB285_1567 Depth=1
	v_clz_i32_u32_e32 v18, v8
	s_delay_alu instid0(VALU_DEP_1) | instskip(NEXT) | instid1(VALU_DEP_1)
	v_min_u32_e32 v105, 32, v18
	v_subrev_nc_u32_e32 v18, 28, v105
	v_sub_nc_u32_e32 v105, 29, v105
	s_delay_alu instid0(VALU_DEP_2) | instskip(NEXT) | instid1(VALU_DEP_1)
	v_lshlrev_b64 v[18:19], v18, v[8:9]
	v_and_b32_e32 v18, 7, v18
; %bb.2948:                             ;   in Loop: Header=BB285_1567 Depth=1
	s_or_b32 exec_lo, exec_lo, s17
	v_lshlrev_b32_e32 v8, 24, v104
	s_delay_alu instid0(VALU_DEP_2) | instskip(SKIP_1) | instid1(VALU_DEP_3)
	v_lshlrev_b32_e32 v18, 20, v18
	v_lshl_add_u32 v19, v105, 23, 0x3c000000
	v_and_b32_e32 v8, 0x80000000, v8
	s_delay_alu instid0(VALU_DEP_1) | instskip(NEXT) | instid1(VALU_DEP_1)
	v_or3_b32 v8, v18, v8, v19
	v_dual_mov_b32 v19, v9 :: v_dual_mov_b32 v18, v8
.LBB285_2949:                           ;   in Loop: Header=BB285_1567 Depth=1
	s_or_b32 exec_lo, exec_lo, s15
.LBB285_2950:                           ;   in Loop: Header=BB285_1567 Depth=1
	s_delay_alu instid0(SALU_CYCLE_1)
	s_or_b32 exec_lo, exec_lo, s13
.LBB285_2951:                           ;   in Loop: Header=BB285_1567 Depth=1
	s_delay_alu instid0(SALU_CYCLE_1) | instskip(NEXT) | instid1(SALU_CYCLE_1)
	s_or_b32 exec_lo, exec_lo, s8
	s_mov_b32 s13, exec_lo
	v_cmpx_lt_u32_e32 0xffffff, v95
	s_cbranch_execz .LBB285_2959
; %bb.2952:                             ;   in Loop: Header=BB285_1567 Depth=1
	v_lshrrev_b32_e32 v104, 24, v95
	v_dual_mov_b32 v17, s3 :: v_dual_mov_b32 v16, s2
	s_mov_b32 s15, exec_lo
	s_delay_alu instid0(VALU_DEP_2)
	v_cmpx_ne_u32_e32 0x80, v104
	s_cbranch_execz .LBB285_2958
; %bb.2953:                             ;   in Loop: Header=BB285_1567 Depth=1
	s_mov_b32 s8, s2
	v_bfe_u32 v105, v95, 24, 7
	v_dual_mov_b32 v17, s9 :: v_dual_mov_b32 v16, s8
	s_mov_b32 s8, exec_lo
	s_delay_alu instid0(VALU_DEP_2)
	v_cmpx_ne_u32_e32 0x7f, v105
	s_cbranch_execz .LBB285_2957
; %bb.2954:                             ;   in Loop: Header=BB285_1567 Depth=1
	v_and_b32_e32 v8, 7, v104
	v_lshrrev_b32_e32 v95, 3, v105
	v_mov_b32_e32 v17, v9
	s_mov_b32 s17, exec_lo
	s_delay_alu instid0(VALU_DEP_3)
	v_mov_b32_e32 v16, v8
	v_cmpx_gt_u32_e32 8, v105
; %bb.2955:                             ;   in Loop: Header=BB285_1567 Depth=1
	v_clz_i32_u32_e32 v16, v8
	s_delay_alu instid0(VALU_DEP_1) | instskip(NEXT) | instid1(VALU_DEP_1)
	v_min_u32_e32 v95, 32, v16
	v_subrev_nc_u32_e32 v16, 28, v95
	v_sub_nc_u32_e32 v95, 29, v95
	s_delay_alu instid0(VALU_DEP_2) | instskip(NEXT) | instid1(VALU_DEP_1)
	v_lshlrev_b64 v[16:17], v16, v[8:9]
	v_and_b32_e32 v16, 7, v16
; %bb.2956:                             ;   in Loop: Header=BB285_1567 Depth=1
	s_or_b32 exec_lo, exec_lo, s17
	v_lshlrev_b32_e32 v8, 24, v104
	s_delay_alu instid0(VALU_DEP_2) | instskip(SKIP_1) | instid1(VALU_DEP_3)
	v_lshlrev_b32_e32 v16, 20, v16
	v_lshl_add_u32 v17, v95, 23, 0x3c000000
	v_and_b32_e32 v8, 0x80000000, v8
	s_delay_alu instid0(VALU_DEP_1)
	v_or3_b32 v17, v16, v8, v17
	v_mov_b32_e32 v16, v9
.LBB285_2957:                           ;   in Loop: Header=BB285_1567 Depth=1
	s_or_b32 exec_lo, exec_lo, s8
.LBB285_2958:                           ;   in Loop: Header=BB285_1567 Depth=1
	s_delay_alu instid0(SALU_CYCLE_1)
	s_or_b32 exec_lo, exec_lo, s15
.LBB285_2959:                           ;   in Loop: Header=BB285_1567 Depth=1
	s_delay_alu instid0(SALU_CYCLE_1) | instskip(SKIP_4) | instid1(VALU_DEP_3)
	s_or_b32 exec_lo, exec_lo, s13
	v_or_b32_e32 v5, v5, v15
	v_or_b32_e32 v4, v4, v14
	;; [unrolled: 1-line block ×4, first 2 shown]
	v_dual_mul_f32 v105, v161, v5 :: v_dual_mul_f32 v104, v115, v4
	s_delay_alu instid0(VALU_DEP_2)
	v_dual_mul_f32 v95, v161, v8 :: v_dual_mul_f32 v106, v115, v14
	s_and_saveexec_b32 s8, vcc_lo
; %bb.2960:                             ;   in Loop: Header=BB285_1567 Depth=1
	v_cmp_lt_i32_e64 s0, v182, v55
	s_delay_alu instid0(VALU_DEP_1) | instskip(SKIP_1) | instid1(VALU_DEP_1)
	v_cndmask_b32_e64 v104, 0, v104, s0
	v_cmp_lt_i32_e64 s0, v40, v55
	v_cndmask_b32_e64 v105, 0, v105, s0
	v_cmp_lt_i32_e64 s0, v183, v55
	s_delay_alu instid0(VALU_DEP_1) | instskip(SKIP_1) | instid1(VALU_DEP_1)
	v_cndmask_b32_e64 v106, 0, v106, s0
	v_cmp_lt_i32_e64 s0, v151, v55
	v_cndmask_b32_e64 v95, 0, v95, s0
; %bb.2961:                             ;   in Loop: Header=BB285_1567 Depth=1
	s_or_b32 exec_lo, exec_lo, s8
	scratch_load_b32 v4, off, s32 offset:1000 ; 4-byte Folded Reload
	s_mov_b32 s8, exec_lo
	s_waitcnt vmcnt(0)
	v_add_co_u32 v4, s0, v12, v4
	s_delay_alu instid0(VALU_DEP_1) | instskip(SKIP_4) | instid1(VALU_DEP_1)
	v_add_co_ci_u32_e64 v5, s0, 0, v13, s0
	flat_load_b32 v107, v[4:5]
	v_mov_b32_e32 v4, 0
	s_waitcnt vmcnt(0) lgkmcnt(0)
	v_dual_mov_b32 v5, 0 :: v_dual_and_b32 v8, 0xff, v107
	v_dual_mov_b32 v15, v5 :: v_dual_mov_b32 v14, v4
	s_delay_alu instid0(VALU_DEP_2)
	v_cmpx_ne_u16_e32 0, v8
	s_cbranch_execz .LBB285_2969
; %bb.2962:                             ;   in Loop: Header=BB285_1567 Depth=1
	v_bfrev_b32_e32 v14, 1
	v_mov_b32_e32 v15, 0
	s_mov_b32 s13, exec_lo
	v_cmpx_ne_u16_e32 0x80, v8
	s_cbranch_execz .LBB285_2968
; %bb.2963:                             ;   in Loop: Header=BB285_1567 Depth=1
	v_mov_b32_e32 v14, 0x7f800001
	v_and_b32_e32 v17, 0x7f, v107
	v_mov_b32_e32 v15, 0
	s_mov_b32 s15, exec_lo
	s_delay_alu instid0(VALU_DEP_2)
	v_cmpx_ne_u32_e32 0x7f, v17
	s_cbranch_execz .LBB285_2967
; %bb.2964:                             ;   in Loop: Header=BB285_1567 Depth=1
	v_and_b32_e32 v8, 7, v107
	v_lshrrev_b32_e32 v16, 3, v17
	v_mov_b32_e32 v15, v9
	s_mov_b32 s17, exec_lo
	s_delay_alu instid0(VALU_DEP_3)
	v_mov_b32_e32 v14, v8
	v_cmpx_gt_u32_e32 8, v17
; %bb.2965:                             ;   in Loop: Header=BB285_1567 Depth=1
	v_clz_i32_u32_e32 v14, v8
	s_delay_alu instid0(VALU_DEP_1) | instskip(NEXT) | instid1(VALU_DEP_1)
	v_min_u32_e32 v16, 32, v14
	v_subrev_nc_u32_e32 v14, 28, v16
	v_sub_nc_u32_e32 v16, 29, v16
	s_delay_alu instid0(VALU_DEP_2) | instskip(NEXT) | instid1(VALU_DEP_1)
	v_lshlrev_b64 v[14:15], v14, v[8:9]
	v_and_b32_e32 v14, 7, v14
; %bb.2966:                             ;   in Loop: Header=BB285_1567 Depth=1
	s_or_b32 exec_lo, exec_lo, s17
	v_lshlrev_b32_e32 v8, 24, v107
	s_delay_alu instid0(VALU_DEP_2) | instskip(SKIP_1) | instid1(VALU_DEP_3)
	v_lshlrev_b32_e32 v14, 20, v14
	v_lshl_add_u32 v15, v16, 23, 0x3c000000
	v_and_b32_e32 v8, 0x80000000, v8
	s_delay_alu instid0(VALU_DEP_1) | instskip(NEXT) | instid1(VALU_DEP_1)
	v_or3_b32 v8, v14, v8, v15
	v_dual_mov_b32 v15, v9 :: v_dual_mov_b32 v14, v8
.LBB285_2967:                           ;   in Loop: Header=BB285_1567 Depth=1
	s_or_b32 exec_lo, exec_lo, s15
.LBB285_2968:                           ;   in Loop: Header=BB285_1567 Depth=1
	s_delay_alu instid0(SALU_CYCLE_1)
	s_or_b32 exec_lo, exec_lo, s13
.LBB285_2969:                           ;   in Loop: Header=BB285_1567 Depth=1
	s_delay_alu instid0(SALU_CYCLE_1) | instskip(SKIP_2) | instid1(VALU_DEP_1)
	s_or_b32 exec_lo, exec_lo, s8
	v_lshrrev_b16 v8, 8, v107
	s_mov_b32 s13, exec_lo
	v_cmpx_ne_u16_e32 0, v8
	s_cbranch_execz .LBB285_2977
; %bb.2970:                             ;   in Loop: Header=BB285_1567 Depth=1
	v_dual_mov_b32 v5, s3 :: v_dual_mov_b32 v4, s2
	s_mov_b32 s15, exec_lo
	v_cmpx_ne_u16_e32 0x80, v8
	s_cbranch_execz .LBB285_2976
; %bb.2971:                             ;   in Loop: Header=BB285_1567 Depth=1
	s_mov_b32 s8, s2
	v_and_b32_e32 v8, 0xffff, v8
	v_dual_mov_b32 v4, s8 :: v_dual_mov_b32 v5, s9
	s_mov_b32 s8, exec_lo
	s_delay_alu instid0(VALU_DEP_2) | instskip(NEXT) | instid1(VALU_DEP_1)
	v_and_b32_e32 v17, 0x7f, v8
	v_cmpx_ne_u32_e32 0x7f, v17
	s_cbranch_execz .LBB285_2975
; %bb.2972:                             ;   in Loop: Header=BB285_1567 Depth=1
	v_and_b32_e32 v8, 7, v8
	v_lshrrev_b32_e32 v16, 3, v17
	s_mov_b32 s17, exec_lo
	s_delay_alu instid0(VALU_DEP_2)
	v_dual_mov_b32 v4, v8 :: v_dual_mov_b32 v5, v9
	v_cmpx_gt_u32_e32 8, v17
; %bb.2973:                             ;   in Loop: Header=BB285_1567 Depth=1
	v_clz_i32_u32_e32 v4, v8
	s_delay_alu instid0(VALU_DEP_1) | instskip(NEXT) | instid1(VALU_DEP_1)
	v_min_u32_e32 v16, 32, v4
	v_subrev_nc_u32_e32 v4, 28, v16
	v_sub_nc_u32_e32 v16, 29, v16
	s_delay_alu instid0(VALU_DEP_2) | instskip(NEXT) | instid1(VALU_DEP_1)
	v_lshlrev_b64 v[4:5], v4, v[8:9]
	v_and_b32_e32 v4, 7, v4
; %bb.2974:                             ;   in Loop: Header=BB285_1567 Depth=1
	s_or_b32 exec_lo, exec_lo, s17
	v_lshlrev_b32_e32 v5, 16, v107
	s_delay_alu instid0(VALU_DEP_2) | instskip(SKIP_1) | instid1(VALU_DEP_3)
	v_lshlrev_b32_e32 v4, 20, v4
	v_lshl_add_u32 v8, v16, 23, 0x3c000000
	v_and_b32_e32 v5, 0x80000000, v5
	s_delay_alu instid0(VALU_DEP_1)
	v_or3_b32 v5, v4, v5, v8
	v_mov_b32_e32 v4, v9
.LBB285_2975:                           ;   in Loop: Header=BB285_1567 Depth=1
	s_or_b32 exec_lo, exec_lo, s8
.LBB285_2976:                           ;   in Loop: Header=BB285_1567 Depth=1
	s_delay_alu instid0(SALU_CYCLE_1)
	s_or_b32 exec_lo, exec_lo, s15
.LBB285_2977:                           ;   in Loop: Header=BB285_1567 Depth=1
	s_delay_alu instid0(SALU_CYCLE_1) | instskip(SKIP_4) | instid1(VALU_DEP_1)
	s_or_b32 exec_lo, exec_lo, s13
	v_mov_b32_e32 v16, 0
	v_lshrrev_b32_e32 v108, 16, v107
	v_mov_b32_e32 v17, 0
	s_mov_b32 s8, exec_lo
	v_dual_mov_b32 v19, v17 :: v_dual_and_b32 v8, 0xff, v108
	v_mov_b32_e32 v18, v16
	s_delay_alu instid0(VALU_DEP_2)
	v_cmpx_ne_u16_e32 0, v8
	s_cbranch_execz .LBB285_2985
; %bb.2978:                             ;   in Loop: Header=BB285_1567 Depth=1
	v_bfrev_b32_e32 v18, 1
	v_mov_b32_e32 v19, 0
	s_mov_b32 s13, exec_lo
	v_cmpx_ne_u16_e32 0x80, v8
	s_cbranch_execz .LBB285_2984
; %bb.2979:                             ;   in Loop: Header=BB285_1567 Depth=1
	v_mov_b32_e32 v18, 0x7f800001
	v_bfe_u32 v110, v107, 16, 7
	v_mov_b32_e32 v19, 0
	s_mov_b32 s15, exec_lo
	s_delay_alu instid0(VALU_DEP_2)
	v_cmpx_ne_u32_e32 0x7f, v110
	s_cbranch_execz .LBB285_2983
; %bb.2980:                             ;   in Loop: Header=BB285_1567 Depth=1
	v_and_b32_e32 v8, 7, v108
	v_lshrrev_b32_e32 v109, 3, v110
	v_mov_b32_e32 v19, v9
	s_mov_b32 s17, exec_lo
	s_delay_alu instid0(VALU_DEP_3)
	v_mov_b32_e32 v18, v8
	v_cmpx_gt_u32_e32 8, v110
; %bb.2981:                             ;   in Loop: Header=BB285_1567 Depth=1
	v_clz_i32_u32_e32 v18, v8
	s_delay_alu instid0(VALU_DEP_1) | instskip(NEXT) | instid1(VALU_DEP_1)
	v_min_u32_e32 v109, 32, v18
	v_subrev_nc_u32_e32 v18, 28, v109
	v_sub_nc_u32_e32 v109, 29, v109
	s_delay_alu instid0(VALU_DEP_2) | instskip(NEXT) | instid1(VALU_DEP_1)
	v_lshlrev_b64 v[18:19], v18, v[8:9]
	v_and_b32_e32 v18, 7, v18
; %bb.2982:                             ;   in Loop: Header=BB285_1567 Depth=1
	s_or_b32 exec_lo, exec_lo, s17
	v_lshlrev_b32_e32 v8, 24, v108
	s_delay_alu instid0(VALU_DEP_2) | instskip(SKIP_1) | instid1(VALU_DEP_3)
	v_lshlrev_b32_e32 v18, 20, v18
	v_lshl_add_u32 v19, v109, 23, 0x3c000000
	v_and_b32_e32 v8, 0x80000000, v8
	s_delay_alu instid0(VALU_DEP_1) | instskip(NEXT) | instid1(VALU_DEP_1)
	v_or3_b32 v8, v18, v8, v19
	v_dual_mov_b32 v19, v9 :: v_dual_mov_b32 v18, v8
.LBB285_2983:                           ;   in Loop: Header=BB285_1567 Depth=1
	s_or_b32 exec_lo, exec_lo, s15
.LBB285_2984:                           ;   in Loop: Header=BB285_1567 Depth=1
	s_delay_alu instid0(SALU_CYCLE_1)
	s_or_b32 exec_lo, exec_lo, s13
.LBB285_2985:                           ;   in Loop: Header=BB285_1567 Depth=1
	s_delay_alu instid0(SALU_CYCLE_1) | instskip(NEXT) | instid1(SALU_CYCLE_1)
	s_or_b32 exec_lo, exec_lo, s8
	s_mov_b32 s13, exec_lo
	v_cmpx_lt_u32_e32 0xffffff, v107
	s_cbranch_execz .LBB285_2993
; %bb.2986:                             ;   in Loop: Header=BB285_1567 Depth=1
	v_lshrrev_b32_e32 v108, 24, v107
	v_dual_mov_b32 v17, s3 :: v_dual_mov_b32 v16, s2
	s_mov_b32 s15, exec_lo
	s_delay_alu instid0(VALU_DEP_2)
	v_cmpx_ne_u32_e32 0x80, v108
	s_cbranch_execz .LBB285_2992
; %bb.2987:                             ;   in Loop: Header=BB285_1567 Depth=1
	s_mov_b32 s8, s2
	v_bfe_u32 v109, v107, 24, 7
	v_dual_mov_b32 v17, s9 :: v_dual_mov_b32 v16, s8
	s_mov_b32 s8, exec_lo
	s_delay_alu instid0(VALU_DEP_2)
	v_cmpx_ne_u32_e32 0x7f, v109
	s_cbranch_execz .LBB285_2991
; %bb.2988:                             ;   in Loop: Header=BB285_1567 Depth=1
	v_and_b32_e32 v8, 7, v108
	v_lshrrev_b32_e32 v107, 3, v109
	v_mov_b32_e32 v17, v9
	s_mov_b32 s17, exec_lo
	s_delay_alu instid0(VALU_DEP_3)
	v_mov_b32_e32 v16, v8
	v_cmpx_gt_u32_e32 8, v109
; %bb.2989:                             ;   in Loop: Header=BB285_1567 Depth=1
	v_clz_i32_u32_e32 v16, v8
	s_delay_alu instid0(VALU_DEP_1) | instskip(NEXT) | instid1(VALU_DEP_1)
	v_min_u32_e32 v107, 32, v16
	v_subrev_nc_u32_e32 v16, 28, v107
	v_sub_nc_u32_e32 v107, 29, v107
	s_delay_alu instid0(VALU_DEP_2) | instskip(NEXT) | instid1(VALU_DEP_1)
	v_lshlrev_b64 v[16:17], v16, v[8:9]
	v_and_b32_e32 v16, 7, v16
; %bb.2990:                             ;   in Loop: Header=BB285_1567 Depth=1
	s_or_b32 exec_lo, exec_lo, s17
	v_lshlrev_b32_e32 v8, 24, v108
	s_delay_alu instid0(VALU_DEP_2) | instskip(SKIP_1) | instid1(VALU_DEP_3)
	v_lshlrev_b32_e32 v16, 20, v16
	v_lshl_add_u32 v17, v107, 23, 0x3c000000
	v_and_b32_e32 v8, 0x80000000, v8
	s_delay_alu instid0(VALU_DEP_1)
	v_or3_b32 v17, v16, v8, v17
	v_mov_b32_e32 v16, v9
.LBB285_2991:                           ;   in Loop: Header=BB285_1567 Depth=1
	s_or_b32 exec_lo, exec_lo, s8
.LBB285_2992:                           ;   in Loop: Header=BB285_1567 Depth=1
	s_delay_alu instid0(SALU_CYCLE_1)
	s_or_b32 exec_lo, exec_lo, s15
.LBB285_2993:                           ;   in Loop: Header=BB285_1567 Depth=1
	s_delay_alu instid0(SALU_CYCLE_1) | instskip(SKIP_4) | instid1(VALU_DEP_3)
	s_or_b32 exec_lo, exec_lo, s13
	v_or_b32_e32 v5, v5, v15
	v_or_b32_e32 v4, v4, v14
	;; [unrolled: 1-line block ×4, first 2 shown]
	v_dual_mul_f32 v109, v161, v5 :: v_dual_mul_f32 v108, v115, v4
	s_delay_alu instid0(VALU_DEP_2)
	v_dual_mul_f32 v107, v161, v8 :: v_dual_mul_f32 v110, v115, v14
	s_and_saveexec_b32 s8, vcc_lo
; %bb.2994:                             ;   in Loop: Header=BB285_1567 Depth=1
	v_cmp_lt_i32_e64 s0, v182, v55
	s_delay_alu instid0(VALU_DEP_1) | instskip(SKIP_1) | instid1(VALU_DEP_1)
	v_cndmask_b32_e64 v108, 0, v108, s0
	v_cmp_lt_i32_e64 s0, v40, v55
	v_cndmask_b32_e64 v109, 0, v109, s0
	v_cmp_lt_i32_e64 s0, v183, v55
	s_delay_alu instid0(VALU_DEP_1) | instskip(SKIP_1) | instid1(VALU_DEP_1)
	v_cndmask_b32_e64 v110, 0, v110, s0
	v_cmp_lt_i32_e64 s0, v151, v55
	v_cndmask_b32_e64 v107, 0, v107, s0
; %bb.2995:                             ;   in Loop: Header=BB285_1567 Depth=1
	s_or_b32 exec_lo, exec_lo, s8
	scratch_load_b32 v4, off, s32 offset:1008 ; 4-byte Folded Reload
	s_mov_b32 s8, exec_lo
	s_waitcnt vmcnt(0)
	v_add_co_u32 v4, s0, v12, v4
	s_delay_alu instid0(VALU_DEP_1) | instskip(SKIP_4) | instid1(VALU_DEP_1)
	v_add_co_ci_u32_e64 v5, s0, 0, v13, s0
	flat_load_b32 v111, v[4:5]
	v_mov_b32_e32 v4, 0
	s_waitcnt vmcnt(0) lgkmcnt(0)
	v_dual_mov_b32 v5, 0 :: v_dual_and_b32 v8, 0xff, v111
	v_dual_mov_b32 v15, v5 :: v_dual_mov_b32 v14, v4
	s_delay_alu instid0(VALU_DEP_2)
	v_cmpx_ne_u16_e32 0, v8
	s_cbranch_execz .LBB285_3003
; %bb.2996:                             ;   in Loop: Header=BB285_1567 Depth=1
	v_bfrev_b32_e32 v14, 1
	v_mov_b32_e32 v15, 0
	s_mov_b32 s13, exec_lo
	v_cmpx_ne_u16_e32 0x80, v8
	s_cbranch_execz .LBB285_3002
; %bb.2997:                             ;   in Loop: Header=BB285_1567 Depth=1
	v_mov_b32_e32 v14, 0x7f800001
	v_and_b32_e32 v17, 0x7f, v111
	v_mov_b32_e32 v15, 0
	s_mov_b32 s15, exec_lo
	s_delay_alu instid0(VALU_DEP_2)
	v_cmpx_ne_u32_e32 0x7f, v17
	s_cbranch_execz .LBB285_3001
; %bb.2998:                             ;   in Loop: Header=BB285_1567 Depth=1
	v_and_b32_e32 v8, 7, v111
	v_lshrrev_b32_e32 v16, 3, v17
	v_mov_b32_e32 v15, v9
	s_mov_b32 s17, exec_lo
	s_delay_alu instid0(VALU_DEP_3)
	v_mov_b32_e32 v14, v8
	v_cmpx_gt_u32_e32 8, v17
; %bb.2999:                             ;   in Loop: Header=BB285_1567 Depth=1
	v_clz_i32_u32_e32 v14, v8
	s_delay_alu instid0(VALU_DEP_1) | instskip(NEXT) | instid1(VALU_DEP_1)
	v_min_u32_e32 v16, 32, v14
	v_subrev_nc_u32_e32 v14, 28, v16
	v_sub_nc_u32_e32 v16, 29, v16
	s_delay_alu instid0(VALU_DEP_2) | instskip(NEXT) | instid1(VALU_DEP_1)
	v_lshlrev_b64 v[14:15], v14, v[8:9]
	v_and_b32_e32 v14, 7, v14
; %bb.3000:                             ;   in Loop: Header=BB285_1567 Depth=1
	s_or_b32 exec_lo, exec_lo, s17
	v_lshlrev_b32_e32 v8, 24, v111
	s_delay_alu instid0(VALU_DEP_2) | instskip(SKIP_1) | instid1(VALU_DEP_3)
	v_lshlrev_b32_e32 v14, 20, v14
	v_lshl_add_u32 v15, v16, 23, 0x3c000000
	v_and_b32_e32 v8, 0x80000000, v8
	s_delay_alu instid0(VALU_DEP_1) | instskip(NEXT) | instid1(VALU_DEP_1)
	v_or3_b32 v8, v14, v8, v15
	v_dual_mov_b32 v15, v9 :: v_dual_mov_b32 v14, v8
.LBB285_3001:                           ;   in Loop: Header=BB285_1567 Depth=1
	s_or_b32 exec_lo, exec_lo, s15
.LBB285_3002:                           ;   in Loop: Header=BB285_1567 Depth=1
	s_delay_alu instid0(SALU_CYCLE_1)
	s_or_b32 exec_lo, exec_lo, s13
.LBB285_3003:                           ;   in Loop: Header=BB285_1567 Depth=1
	s_delay_alu instid0(SALU_CYCLE_1) | instskip(SKIP_2) | instid1(VALU_DEP_1)
	s_or_b32 exec_lo, exec_lo, s8
	v_lshrrev_b16 v8, 8, v111
	s_mov_b32 s13, exec_lo
	v_cmpx_ne_u16_e32 0, v8
	s_cbranch_execz .LBB285_3011
; %bb.3004:                             ;   in Loop: Header=BB285_1567 Depth=1
	v_dual_mov_b32 v5, s3 :: v_dual_mov_b32 v4, s2
	s_mov_b32 s15, exec_lo
	v_cmpx_ne_u16_e32 0x80, v8
	s_cbranch_execz .LBB285_3010
; %bb.3005:                             ;   in Loop: Header=BB285_1567 Depth=1
	s_mov_b32 s8, s2
	v_and_b32_e32 v8, 0xffff, v8
	v_dual_mov_b32 v4, s8 :: v_dual_mov_b32 v5, s9
	s_mov_b32 s8, exec_lo
	s_delay_alu instid0(VALU_DEP_2) | instskip(NEXT) | instid1(VALU_DEP_1)
	v_and_b32_e32 v17, 0x7f, v8
	v_cmpx_ne_u32_e32 0x7f, v17
	s_cbranch_execz .LBB285_3009
; %bb.3006:                             ;   in Loop: Header=BB285_1567 Depth=1
	v_and_b32_e32 v8, 7, v8
	v_lshrrev_b32_e32 v16, 3, v17
	s_mov_b32 s17, exec_lo
	s_delay_alu instid0(VALU_DEP_2)
	v_dual_mov_b32 v4, v8 :: v_dual_mov_b32 v5, v9
	v_cmpx_gt_u32_e32 8, v17
; %bb.3007:                             ;   in Loop: Header=BB285_1567 Depth=1
	v_clz_i32_u32_e32 v4, v8
	s_delay_alu instid0(VALU_DEP_1) | instskip(NEXT) | instid1(VALU_DEP_1)
	v_min_u32_e32 v16, 32, v4
	v_subrev_nc_u32_e32 v4, 28, v16
	v_sub_nc_u32_e32 v16, 29, v16
	s_delay_alu instid0(VALU_DEP_2) | instskip(NEXT) | instid1(VALU_DEP_1)
	v_lshlrev_b64 v[4:5], v4, v[8:9]
	v_and_b32_e32 v4, 7, v4
; %bb.3008:                             ;   in Loop: Header=BB285_1567 Depth=1
	s_or_b32 exec_lo, exec_lo, s17
	v_lshlrev_b32_e32 v5, 16, v111
	s_delay_alu instid0(VALU_DEP_2) | instskip(SKIP_1) | instid1(VALU_DEP_3)
	v_lshlrev_b32_e32 v4, 20, v4
	v_lshl_add_u32 v8, v16, 23, 0x3c000000
	v_and_b32_e32 v5, 0x80000000, v5
	s_delay_alu instid0(VALU_DEP_1)
	v_or3_b32 v5, v4, v5, v8
	v_mov_b32_e32 v4, v9
.LBB285_3009:                           ;   in Loop: Header=BB285_1567 Depth=1
	s_or_b32 exec_lo, exec_lo, s8
.LBB285_3010:                           ;   in Loop: Header=BB285_1567 Depth=1
	s_delay_alu instid0(SALU_CYCLE_1)
	s_or_b32 exec_lo, exec_lo, s15
.LBB285_3011:                           ;   in Loop: Header=BB285_1567 Depth=1
	s_delay_alu instid0(SALU_CYCLE_1) | instskip(SKIP_4) | instid1(VALU_DEP_1)
	s_or_b32 exec_lo, exec_lo, s13
	v_mov_b32_e32 v16, 0
	v_lshrrev_b32_e32 v120, 16, v111
	v_mov_b32_e32 v17, 0
	s_mov_b32 s8, exec_lo
	v_dual_mov_b32 v19, v17 :: v_dual_and_b32 v8, 0xff, v120
	v_mov_b32_e32 v18, v16
	s_delay_alu instid0(VALU_DEP_2)
	v_cmpx_ne_u16_e32 0, v8
	s_cbranch_execz .LBB285_3019
; %bb.3012:                             ;   in Loop: Header=BB285_1567 Depth=1
	v_bfrev_b32_e32 v18, 1
	v_mov_b32_e32 v19, 0
	s_mov_b32 s13, exec_lo
	v_cmpx_ne_u16_e32 0x80, v8
	s_cbranch_execz .LBB285_3018
; %bb.3013:                             ;   in Loop: Header=BB285_1567 Depth=1
	v_mov_b32_e32 v18, 0x7f800001
	v_bfe_u32 v122, v111, 16, 7
	v_mov_b32_e32 v19, 0
	s_mov_b32 s15, exec_lo
	s_delay_alu instid0(VALU_DEP_2)
	v_cmpx_ne_u32_e32 0x7f, v122
	s_cbranch_execz .LBB285_3017
; %bb.3014:                             ;   in Loop: Header=BB285_1567 Depth=1
	v_and_b32_e32 v8, 7, v120
	v_lshrrev_b32_e32 v121, 3, v122
	v_mov_b32_e32 v19, v9
	s_mov_b32 s17, exec_lo
	s_delay_alu instid0(VALU_DEP_3)
	v_mov_b32_e32 v18, v8
	v_cmpx_gt_u32_e32 8, v122
; %bb.3015:                             ;   in Loop: Header=BB285_1567 Depth=1
	v_clz_i32_u32_e32 v18, v8
	s_delay_alu instid0(VALU_DEP_1) | instskip(NEXT) | instid1(VALU_DEP_1)
	v_min_u32_e32 v121, 32, v18
	v_subrev_nc_u32_e32 v18, 28, v121
	v_sub_nc_u32_e32 v121, 29, v121
	s_delay_alu instid0(VALU_DEP_2) | instskip(NEXT) | instid1(VALU_DEP_1)
	v_lshlrev_b64 v[18:19], v18, v[8:9]
	v_and_b32_e32 v18, 7, v18
; %bb.3016:                             ;   in Loop: Header=BB285_1567 Depth=1
	s_or_b32 exec_lo, exec_lo, s17
	v_lshlrev_b32_e32 v8, 24, v120
	s_delay_alu instid0(VALU_DEP_2) | instskip(SKIP_1) | instid1(VALU_DEP_3)
	v_lshlrev_b32_e32 v18, 20, v18
	v_lshl_add_u32 v19, v121, 23, 0x3c000000
	v_and_b32_e32 v8, 0x80000000, v8
	s_delay_alu instid0(VALU_DEP_1) | instskip(NEXT) | instid1(VALU_DEP_1)
	v_or3_b32 v8, v18, v8, v19
	v_dual_mov_b32 v19, v9 :: v_dual_mov_b32 v18, v8
.LBB285_3017:                           ;   in Loop: Header=BB285_1567 Depth=1
	s_or_b32 exec_lo, exec_lo, s15
.LBB285_3018:                           ;   in Loop: Header=BB285_1567 Depth=1
	s_delay_alu instid0(SALU_CYCLE_1)
	s_or_b32 exec_lo, exec_lo, s13
.LBB285_3019:                           ;   in Loop: Header=BB285_1567 Depth=1
	s_delay_alu instid0(SALU_CYCLE_1) | instskip(NEXT) | instid1(SALU_CYCLE_1)
	s_or_b32 exec_lo, exec_lo, s8
	s_mov_b32 s13, exec_lo
	v_cmpx_lt_u32_e32 0xffffff, v111
	s_cbranch_execz .LBB285_3027
; %bb.3020:                             ;   in Loop: Header=BB285_1567 Depth=1
	v_lshrrev_b32_e32 v120, 24, v111
	v_dual_mov_b32 v17, s3 :: v_dual_mov_b32 v16, s2
	s_mov_b32 s15, exec_lo
	s_delay_alu instid0(VALU_DEP_2)
	v_cmpx_ne_u32_e32 0x80, v120
	s_cbranch_execz .LBB285_3026
; %bb.3021:                             ;   in Loop: Header=BB285_1567 Depth=1
	s_mov_b32 s8, s2
	v_bfe_u32 v121, v111, 24, 7
	v_dual_mov_b32 v17, s9 :: v_dual_mov_b32 v16, s8
	s_mov_b32 s8, exec_lo
	s_delay_alu instid0(VALU_DEP_2)
	v_cmpx_ne_u32_e32 0x7f, v121
	s_cbranch_execz .LBB285_3025
; %bb.3022:                             ;   in Loop: Header=BB285_1567 Depth=1
	v_and_b32_e32 v8, 7, v120
	v_lshrrev_b32_e32 v111, 3, v121
	v_mov_b32_e32 v17, v9
	s_mov_b32 s17, exec_lo
	s_delay_alu instid0(VALU_DEP_3)
	v_mov_b32_e32 v16, v8
	v_cmpx_gt_u32_e32 8, v121
; %bb.3023:                             ;   in Loop: Header=BB285_1567 Depth=1
	v_clz_i32_u32_e32 v16, v8
	s_delay_alu instid0(VALU_DEP_1) | instskip(NEXT) | instid1(VALU_DEP_1)
	v_min_u32_e32 v111, 32, v16
	v_subrev_nc_u32_e32 v16, 28, v111
	v_sub_nc_u32_e32 v111, 29, v111
	s_delay_alu instid0(VALU_DEP_2) | instskip(NEXT) | instid1(VALU_DEP_1)
	v_lshlrev_b64 v[16:17], v16, v[8:9]
	v_and_b32_e32 v16, 7, v16
; %bb.3024:                             ;   in Loop: Header=BB285_1567 Depth=1
	s_or_b32 exec_lo, exec_lo, s17
	v_lshlrev_b32_e32 v8, 24, v120
	s_delay_alu instid0(VALU_DEP_2) | instskip(SKIP_1) | instid1(VALU_DEP_3)
	v_lshlrev_b32_e32 v16, 20, v16
	v_lshl_add_u32 v17, v111, 23, 0x3c000000
	v_and_b32_e32 v8, 0x80000000, v8
	s_delay_alu instid0(VALU_DEP_1)
	v_or3_b32 v17, v16, v8, v17
	v_mov_b32_e32 v16, v9
.LBB285_3025:                           ;   in Loop: Header=BB285_1567 Depth=1
	s_or_b32 exec_lo, exec_lo, s8
.LBB285_3026:                           ;   in Loop: Header=BB285_1567 Depth=1
	s_delay_alu instid0(SALU_CYCLE_1)
	s_or_b32 exec_lo, exec_lo, s15
.LBB285_3027:                           ;   in Loop: Header=BB285_1567 Depth=1
	s_delay_alu instid0(SALU_CYCLE_1) | instskip(SKIP_4) | instid1(VALU_DEP_3)
	s_or_b32 exec_lo, exec_lo, s13
	v_or_b32_e32 v5, v5, v15
	v_or_b32_e32 v4, v4, v14
	;; [unrolled: 1-line block ×4, first 2 shown]
	v_dual_mul_f32 v121, v161, v5 :: v_dual_mul_f32 v120, v115, v4
	s_delay_alu instid0(VALU_DEP_2)
	v_dual_mul_f32 v111, v161, v8 :: v_dual_mul_f32 v122, v115, v14
	s_and_saveexec_b32 s8, vcc_lo
; %bb.3028:                             ;   in Loop: Header=BB285_1567 Depth=1
	v_cmp_lt_i32_e64 s0, v182, v55
	s_delay_alu instid0(VALU_DEP_1) | instskip(SKIP_1) | instid1(VALU_DEP_1)
	v_cndmask_b32_e64 v120, 0, v120, s0
	v_cmp_lt_i32_e64 s0, v40, v55
	v_cndmask_b32_e64 v121, 0, v121, s0
	v_cmp_lt_i32_e64 s0, v183, v55
	s_delay_alu instid0(VALU_DEP_1) | instskip(SKIP_1) | instid1(VALU_DEP_1)
	v_cndmask_b32_e64 v122, 0, v122, s0
	v_cmp_lt_i32_e64 s0, v151, v55
	v_cndmask_b32_e64 v111, 0, v111, s0
; %bb.3029:                             ;   in Loop: Header=BB285_1567 Depth=1
	s_or_b32 exec_lo, exec_lo, s8
	scratch_load_b32 v4, off, s32 offset:1016 ; 4-byte Folded Reload
	s_mov_b32 s8, exec_lo
	s_waitcnt vmcnt(0)
	v_add_co_u32 v4, s0, v12, v4
	s_delay_alu instid0(VALU_DEP_1) | instskip(SKIP_4) | instid1(VALU_DEP_1)
	v_add_co_ci_u32_e64 v5, s0, 0, v13, s0
	flat_load_b32 v123, v[4:5]
	v_mov_b32_e32 v4, 0
	s_waitcnt vmcnt(0) lgkmcnt(0)
	v_dual_mov_b32 v5, 0 :: v_dual_and_b32 v8, 0xff, v123
	v_dual_mov_b32 v15, v5 :: v_dual_mov_b32 v14, v4
	s_delay_alu instid0(VALU_DEP_2)
	v_cmpx_ne_u16_e32 0, v8
	s_cbranch_execz .LBB285_3037
; %bb.3030:                             ;   in Loop: Header=BB285_1567 Depth=1
	v_bfrev_b32_e32 v14, 1
	v_mov_b32_e32 v15, 0
	s_mov_b32 s13, exec_lo
	v_cmpx_ne_u16_e32 0x80, v8
	s_cbranch_execz .LBB285_3036
; %bb.3031:                             ;   in Loop: Header=BB285_1567 Depth=1
	v_mov_b32_e32 v14, 0x7f800001
	v_and_b32_e32 v17, 0x7f, v123
	v_mov_b32_e32 v15, 0
	s_mov_b32 s15, exec_lo
	s_delay_alu instid0(VALU_DEP_2)
	v_cmpx_ne_u32_e32 0x7f, v17
	s_cbranch_execz .LBB285_3035
; %bb.3032:                             ;   in Loop: Header=BB285_1567 Depth=1
	v_and_b32_e32 v8, 7, v123
	v_lshrrev_b32_e32 v16, 3, v17
	v_mov_b32_e32 v15, v9
	s_mov_b32 s17, exec_lo
	s_delay_alu instid0(VALU_DEP_3)
	v_mov_b32_e32 v14, v8
	v_cmpx_gt_u32_e32 8, v17
; %bb.3033:                             ;   in Loop: Header=BB285_1567 Depth=1
	v_clz_i32_u32_e32 v14, v8
	s_delay_alu instid0(VALU_DEP_1) | instskip(NEXT) | instid1(VALU_DEP_1)
	v_min_u32_e32 v16, 32, v14
	v_subrev_nc_u32_e32 v14, 28, v16
	v_sub_nc_u32_e32 v16, 29, v16
	s_delay_alu instid0(VALU_DEP_2) | instskip(NEXT) | instid1(VALU_DEP_1)
	v_lshlrev_b64 v[14:15], v14, v[8:9]
	v_and_b32_e32 v14, 7, v14
; %bb.3034:                             ;   in Loop: Header=BB285_1567 Depth=1
	s_or_b32 exec_lo, exec_lo, s17
	v_lshlrev_b32_e32 v8, 24, v123
	s_delay_alu instid0(VALU_DEP_2) | instskip(SKIP_1) | instid1(VALU_DEP_3)
	v_lshlrev_b32_e32 v14, 20, v14
	v_lshl_add_u32 v15, v16, 23, 0x3c000000
	v_and_b32_e32 v8, 0x80000000, v8
	s_delay_alu instid0(VALU_DEP_1) | instskip(NEXT) | instid1(VALU_DEP_1)
	v_or3_b32 v8, v14, v8, v15
	v_dual_mov_b32 v15, v9 :: v_dual_mov_b32 v14, v8
.LBB285_3035:                           ;   in Loop: Header=BB285_1567 Depth=1
	s_or_b32 exec_lo, exec_lo, s15
.LBB285_3036:                           ;   in Loop: Header=BB285_1567 Depth=1
	s_delay_alu instid0(SALU_CYCLE_1)
	s_or_b32 exec_lo, exec_lo, s13
.LBB285_3037:                           ;   in Loop: Header=BB285_1567 Depth=1
	s_delay_alu instid0(SALU_CYCLE_1) | instskip(SKIP_2) | instid1(VALU_DEP_1)
	s_or_b32 exec_lo, exec_lo, s8
	v_lshrrev_b16 v8, 8, v123
	s_mov_b32 s13, exec_lo
	v_cmpx_ne_u16_e32 0, v8
	s_cbranch_execz .LBB285_3045
; %bb.3038:                             ;   in Loop: Header=BB285_1567 Depth=1
	v_dual_mov_b32 v5, s3 :: v_dual_mov_b32 v4, s2
	s_mov_b32 s15, exec_lo
	v_cmpx_ne_u16_e32 0x80, v8
	s_cbranch_execz .LBB285_3044
; %bb.3039:                             ;   in Loop: Header=BB285_1567 Depth=1
	s_mov_b32 s8, s2
	v_and_b32_e32 v8, 0xffff, v8
	v_dual_mov_b32 v4, s8 :: v_dual_mov_b32 v5, s9
	s_mov_b32 s8, exec_lo
	s_delay_alu instid0(VALU_DEP_2) | instskip(NEXT) | instid1(VALU_DEP_1)
	v_and_b32_e32 v17, 0x7f, v8
	v_cmpx_ne_u32_e32 0x7f, v17
	s_cbranch_execz .LBB285_3043
; %bb.3040:                             ;   in Loop: Header=BB285_1567 Depth=1
	v_and_b32_e32 v8, 7, v8
	v_lshrrev_b32_e32 v16, 3, v17
	s_mov_b32 s17, exec_lo
	s_delay_alu instid0(VALU_DEP_2)
	v_dual_mov_b32 v4, v8 :: v_dual_mov_b32 v5, v9
	v_cmpx_gt_u32_e32 8, v17
; %bb.3041:                             ;   in Loop: Header=BB285_1567 Depth=1
	v_clz_i32_u32_e32 v4, v8
	s_delay_alu instid0(VALU_DEP_1) | instskip(NEXT) | instid1(VALU_DEP_1)
	v_min_u32_e32 v16, 32, v4
	v_subrev_nc_u32_e32 v4, 28, v16
	v_sub_nc_u32_e32 v16, 29, v16
	s_delay_alu instid0(VALU_DEP_2) | instskip(NEXT) | instid1(VALU_DEP_1)
	v_lshlrev_b64 v[4:5], v4, v[8:9]
	v_and_b32_e32 v4, 7, v4
; %bb.3042:                             ;   in Loop: Header=BB285_1567 Depth=1
	s_or_b32 exec_lo, exec_lo, s17
	v_lshlrev_b32_e32 v5, 16, v123
	s_delay_alu instid0(VALU_DEP_2) | instskip(SKIP_1) | instid1(VALU_DEP_3)
	v_lshlrev_b32_e32 v4, 20, v4
	v_lshl_add_u32 v8, v16, 23, 0x3c000000
	v_and_b32_e32 v5, 0x80000000, v5
	s_delay_alu instid0(VALU_DEP_1)
	v_or3_b32 v5, v4, v5, v8
	v_mov_b32_e32 v4, v9
.LBB285_3043:                           ;   in Loop: Header=BB285_1567 Depth=1
	s_or_b32 exec_lo, exec_lo, s8
.LBB285_3044:                           ;   in Loop: Header=BB285_1567 Depth=1
	s_delay_alu instid0(SALU_CYCLE_1)
	s_or_b32 exec_lo, exec_lo, s15
.LBB285_3045:                           ;   in Loop: Header=BB285_1567 Depth=1
	s_delay_alu instid0(SALU_CYCLE_1) | instskip(SKIP_4) | instid1(VALU_DEP_1)
	s_or_b32 exec_lo, exec_lo, s13
	v_mov_b32_e32 v16, 0
	v_lshrrev_b32_e32 v124, 16, v123
	v_mov_b32_e32 v17, 0
	s_mov_b32 s8, exec_lo
	v_dual_mov_b32 v19, v17 :: v_dual_and_b32 v8, 0xff, v124
	v_mov_b32_e32 v18, v16
	s_delay_alu instid0(VALU_DEP_2)
	v_cmpx_ne_u16_e32 0, v8
	s_cbranch_execz .LBB285_3053
; %bb.3046:                             ;   in Loop: Header=BB285_1567 Depth=1
	v_bfrev_b32_e32 v18, 1
	v_mov_b32_e32 v19, 0
	s_mov_b32 s13, exec_lo
	v_cmpx_ne_u16_e32 0x80, v8
	s_cbranch_execz .LBB285_3052
; %bb.3047:                             ;   in Loop: Header=BB285_1567 Depth=1
	v_mov_b32_e32 v18, 0x7f800001
	v_bfe_u32 v126, v123, 16, 7
	v_mov_b32_e32 v19, 0
	s_mov_b32 s15, exec_lo
	s_delay_alu instid0(VALU_DEP_2)
	v_cmpx_ne_u32_e32 0x7f, v126
	s_cbranch_execz .LBB285_3051
; %bb.3048:                             ;   in Loop: Header=BB285_1567 Depth=1
	v_and_b32_e32 v8, 7, v124
	v_lshrrev_b32_e32 v125, 3, v126
	v_mov_b32_e32 v19, v9
	s_mov_b32 s17, exec_lo
	s_delay_alu instid0(VALU_DEP_3)
	v_mov_b32_e32 v18, v8
	v_cmpx_gt_u32_e32 8, v126
; %bb.3049:                             ;   in Loop: Header=BB285_1567 Depth=1
	v_clz_i32_u32_e32 v18, v8
	s_delay_alu instid0(VALU_DEP_1) | instskip(NEXT) | instid1(VALU_DEP_1)
	v_min_u32_e32 v125, 32, v18
	v_subrev_nc_u32_e32 v18, 28, v125
	v_sub_nc_u32_e32 v125, 29, v125
	s_delay_alu instid0(VALU_DEP_2) | instskip(NEXT) | instid1(VALU_DEP_1)
	v_lshlrev_b64 v[18:19], v18, v[8:9]
	v_and_b32_e32 v18, 7, v18
; %bb.3050:                             ;   in Loop: Header=BB285_1567 Depth=1
	s_or_b32 exec_lo, exec_lo, s17
	v_lshlrev_b32_e32 v8, 24, v124
	s_delay_alu instid0(VALU_DEP_2) | instskip(SKIP_1) | instid1(VALU_DEP_3)
	v_lshlrev_b32_e32 v18, 20, v18
	v_lshl_add_u32 v19, v125, 23, 0x3c000000
	v_and_b32_e32 v8, 0x80000000, v8
	s_delay_alu instid0(VALU_DEP_1) | instskip(NEXT) | instid1(VALU_DEP_1)
	v_or3_b32 v8, v18, v8, v19
	v_dual_mov_b32 v19, v9 :: v_dual_mov_b32 v18, v8
.LBB285_3051:                           ;   in Loop: Header=BB285_1567 Depth=1
	s_or_b32 exec_lo, exec_lo, s15
.LBB285_3052:                           ;   in Loop: Header=BB285_1567 Depth=1
	s_delay_alu instid0(SALU_CYCLE_1)
	s_or_b32 exec_lo, exec_lo, s13
.LBB285_3053:                           ;   in Loop: Header=BB285_1567 Depth=1
	s_delay_alu instid0(SALU_CYCLE_1) | instskip(NEXT) | instid1(SALU_CYCLE_1)
	s_or_b32 exec_lo, exec_lo, s8
	s_mov_b32 s13, exec_lo
	v_cmpx_lt_u32_e32 0xffffff, v123
	s_cbranch_execz .LBB285_3061
; %bb.3054:                             ;   in Loop: Header=BB285_1567 Depth=1
	v_lshrrev_b32_e32 v124, 24, v123
	v_dual_mov_b32 v17, s3 :: v_dual_mov_b32 v16, s2
	s_mov_b32 s15, exec_lo
	s_delay_alu instid0(VALU_DEP_2)
	v_cmpx_ne_u32_e32 0x80, v124
	s_cbranch_execz .LBB285_3060
; %bb.3055:                             ;   in Loop: Header=BB285_1567 Depth=1
	s_mov_b32 s8, s2
	v_bfe_u32 v125, v123, 24, 7
	v_dual_mov_b32 v17, s9 :: v_dual_mov_b32 v16, s8
	s_mov_b32 s8, exec_lo
	s_delay_alu instid0(VALU_DEP_2)
	v_cmpx_ne_u32_e32 0x7f, v125
	s_cbranch_execz .LBB285_3059
; %bb.3056:                             ;   in Loop: Header=BB285_1567 Depth=1
	v_and_b32_e32 v8, 7, v124
	v_lshrrev_b32_e32 v123, 3, v125
	v_mov_b32_e32 v17, v9
	s_mov_b32 s17, exec_lo
	s_delay_alu instid0(VALU_DEP_3)
	v_mov_b32_e32 v16, v8
	v_cmpx_gt_u32_e32 8, v125
; %bb.3057:                             ;   in Loop: Header=BB285_1567 Depth=1
	v_clz_i32_u32_e32 v16, v8
	s_delay_alu instid0(VALU_DEP_1) | instskip(NEXT) | instid1(VALU_DEP_1)
	v_min_u32_e32 v123, 32, v16
	v_subrev_nc_u32_e32 v16, 28, v123
	v_sub_nc_u32_e32 v123, 29, v123
	s_delay_alu instid0(VALU_DEP_2) | instskip(NEXT) | instid1(VALU_DEP_1)
	v_lshlrev_b64 v[16:17], v16, v[8:9]
	v_and_b32_e32 v16, 7, v16
; %bb.3058:                             ;   in Loop: Header=BB285_1567 Depth=1
	s_or_b32 exec_lo, exec_lo, s17
	v_lshlrev_b32_e32 v8, 24, v124
	s_delay_alu instid0(VALU_DEP_2) | instskip(SKIP_1) | instid1(VALU_DEP_3)
	v_lshlrev_b32_e32 v16, 20, v16
	v_lshl_add_u32 v17, v123, 23, 0x3c000000
	v_and_b32_e32 v8, 0x80000000, v8
	s_delay_alu instid0(VALU_DEP_1)
	v_or3_b32 v17, v16, v8, v17
	v_mov_b32_e32 v16, v9
.LBB285_3059:                           ;   in Loop: Header=BB285_1567 Depth=1
	s_or_b32 exec_lo, exec_lo, s8
.LBB285_3060:                           ;   in Loop: Header=BB285_1567 Depth=1
	s_delay_alu instid0(SALU_CYCLE_1)
	s_or_b32 exec_lo, exec_lo, s15
.LBB285_3061:                           ;   in Loop: Header=BB285_1567 Depth=1
	s_delay_alu instid0(SALU_CYCLE_1) | instskip(SKIP_4) | instid1(VALU_DEP_3)
	s_or_b32 exec_lo, exec_lo, s13
	v_or_b32_e32 v5, v5, v15
	v_or_b32_e32 v4, v4, v14
	;; [unrolled: 1-line block ×4, first 2 shown]
	v_dual_mul_f32 v125, v161, v5 :: v_dual_mul_f32 v124, v115, v4
	s_delay_alu instid0(VALU_DEP_2)
	v_dual_mul_f32 v123, v161, v8 :: v_dual_mul_f32 v126, v115, v14
	s_and_saveexec_b32 s8, vcc_lo
; %bb.3062:                             ;   in Loop: Header=BB285_1567 Depth=1
	v_cmp_lt_i32_e64 s0, v182, v55
	s_delay_alu instid0(VALU_DEP_1) | instskip(SKIP_1) | instid1(VALU_DEP_1)
	v_cndmask_b32_e64 v124, 0, v124, s0
	v_cmp_lt_i32_e64 s0, v40, v55
	v_cndmask_b32_e64 v125, 0, v125, s0
	v_cmp_lt_i32_e64 s0, v183, v55
	s_delay_alu instid0(VALU_DEP_1) | instskip(SKIP_1) | instid1(VALU_DEP_1)
	v_cndmask_b32_e64 v126, 0, v126, s0
	v_cmp_lt_i32_e64 s0, v151, v55
	v_cndmask_b32_e64 v123, 0, v123, s0
; %bb.3063:                             ;   in Loop: Header=BB285_1567 Depth=1
	s_or_b32 exec_lo, exec_lo, s8
	scratch_load_b32 v4, off, s32 offset:1024 ; 4-byte Folded Reload
	s_mov_b32 s8, exec_lo
	s_waitcnt vmcnt(0)
	v_add_co_u32 v4, s0, v12, v4
	s_delay_alu instid0(VALU_DEP_1) | instskip(SKIP_4) | instid1(VALU_DEP_1)
	v_add_co_ci_u32_e64 v5, s0, 0, v13, s0
	flat_load_b32 v127, v[4:5]
	v_mov_b32_e32 v4, 0
	s_waitcnt vmcnt(0) lgkmcnt(0)
	v_dual_mov_b32 v5, 0 :: v_dual_and_b32 v8, 0xff, v127
	v_dual_mov_b32 v15, v5 :: v_dual_mov_b32 v14, v4
	s_delay_alu instid0(VALU_DEP_2)
	v_cmpx_ne_u16_e32 0, v8
	s_cbranch_execz .LBB285_3071
; %bb.3064:                             ;   in Loop: Header=BB285_1567 Depth=1
	v_bfrev_b32_e32 v14, 1
	v_mov_b32_e32 v15, 0
	s_mov_b32 s13, exec_lo
	v_cmpx_ne_u16_e32 0x80, v8
	s_cbranch_execz .LBB285_3070
; %bb.3065:                             ;   in Loop: Header=BB285_1567 Depth=1
	v_mov_b32_e32 v14, 0x7f800001
	v_and_b32_e32 v17, 0x7f, v127
	v_mov_b32_e32 v15, 0
	s_mov_b32 s15, exec_lo
	s_delay_alu instid0(VALU_DEP_2)
	v_cmpx_ne_u32_e32 0x7f, v17
	s_cbranch_execz .LBB285_3069
; %bb.3066:                             ;   in Loop: Header=BB285_1567 Depth=1
	v_and_b32_e32 v8, 7, v127
	v_lshrrev_b32_e32 v16, 3, v17
	v_mov_b32_e32 v15, v9
	s_mov_b32 s17, exec_lo
	s_delay_alu instid0(VALU_DEP_3)
	v_mov_b32_e32 v14, v8
	v_cmpx_gt_u32_e32 8, v17
; %bb.3067:                             ;   in Loop: Header=BB285_1567 Depth=1
	v_clz_i32_u32_e32 v14, v8
	s_delay_alu instid0(VALU_DEP_1) | instskip(NEXT) | instid1(VALU_DEP_1)
	v_min_u32_e32 v16, 32, v14
	v_subrev_nc_u32_e32 v14, 28, v16
	v_sub_nc_u32_e32 v16, 29, v16
	s_delay_alu instid0(VALU_DEP_2) | instskip(NEXT) | instid1(VALU_DEP_1)
	v_lshlrev_b64 v[14:15], v14, v[8:9]
	v_and_b32_e32 v14, 7, v14
; %bb.3068:                             ;   in Loop: Header=BB285_1567 Depth=1
	s_or_b32 exec_lo, exec_lo, s17
	v_lshlrev_b32_e32 v8, 24, v127
	s_delay_alu instid0(VALU_DEP_2) | instskip(SKIP_1) | instid1(VALU_DEP_3)
	v_lshlrev_b32_e32 v14, 20, v14
	v_lshl_add_u32 v15, v16, 23, 0x3c000000
	v_and_b32_e32 v8, 0x80000000, v8
	s_delay_alu instid0(VALU_DEP_1) | instskip(NEXT) | instid1(VALU_DEP_1)
	v_or3_b32 v8, v14, v8, v15
	v_dual_mov_b32 v15, v9 :: v_dual_mov_b32 v14, v8
.LBB285_3069:                           ;   in Loop: Header=BB285_1567 Depth=1
	s_or_b32 exec_lo, exec_lo, s15
.LBB285_3070:                           ;   in Loop: Header=BB285_1567 Depth=1
	s_delay_alu instid0(SALU_CYCLE_1)
	s_or_b32 exec_lo, exec_lo, s13
.LBB285_3071:                           ;   in Loop: Header=BB285_1567 Depth=1
	s_delay_alu instid0(SALU_CYCLE_1) | instskip(SKIP_2) | instid1(VALU_DEP_1)
	s_or_b32 exec_lo, exec_lo, s8
	v_lshrrev_b16 v8, 8, v127
	s_mov_b32 s13, exec_lo
	v_cmpx_ne_u16_e32 0, v8
	s_cbranch_execz .LBB285_3079
; %bb.3072:                             ;   in Loop: Header=BB285_1567 Depth=1
	v_dual_mov_b32 v5, s3 :: v_dual_mov_b32 v4, s2
	s_mov_b32 s15, exec_lo
	v_cmpx_ne_u16_e32 0x80, v8
	s_cbranch_execz .LBB285_3078
; %bb.3073:                             ;   in Loop: Header=BB285_1567 Depth=1
	s_mov_b32 s8, s2
	v_and_b32_e32 v8, 0xffff, v8
	v_dual_mov_b32 v4, s8 :: v_dual_mov_b32 v5, s9
	s_mov_b32 s8, exec_lo
	s_delay_alu instid0(VALU_DEP_2) | instskip(NEXT) | instid1(VALU_DEP_1)
	v_and_b32_e32 v17, 0x7f, v8
	v_cmpx_ne_u32_e32 0x7f, v17
	s_cbranch_execz .LBB285_3077
; %bb.3074:                             ;   in Loop: Header=BB285_1567 Depth=1
	v_and_b32_e32 v8, 7, v8
	v_lshrrev_b32_e32 v16, 3, v17
	s_mov_b32 s17, exec_lo
	s_delay_alu instid0(VALU_DEP_2)
	v_dual_mov_b32 v4, v8 :: v_dual_mov_b32 v5, v9
	v_cmpx_gt_u32_e32 8, v17
; %bb.3075:                             ;   in Loop: Header=BB285_1567 Depth=1
	v_clz_i32_u32_e32 v4, v8
	s_delay_alu instid0(VALU_DEP_1) | instskip(NEXT) | instid1(VALU_DEP_1)
	v_min_u32_e32 v16, 32, v4
	v_subrev_nc_u32_e32 v4, 28, v16
	v_sub_nc_u32_e32 v16, 29, v16
	s_delay_alu instid0(VALU_DEP_2) | instskip(NEXT) | instid1(VALU_DEP_1)
	v_lshlrev_b64 v[4:5], v4, v[8:9]
	v_and_b32_e32 v4, 7, v4
; %bb.3076:                             ;   in Loop: Header=BB285_1567 Depth=1
	s_or_b32 exec_lo, exec_lo, s17
	v_lshlrev_b32_e32 v5, 16, v127
	s_delay_alu instid0(VALU_DEP_2) | instskip(SKIP_1) | instid1(VALU_DEP_3)
	v_lshlrev_b32_e32 v4, 20, v4
	v_lshl_add_u32 v8, v16, 23, 0x3c000000
	v_and_b32_e32 v5, 0x80000000, v5
	s_delay_alu instid0(VALU_DEP_1)
	v_or3_b32 v5, v4, v5, v8
	v_mov_b32_e32 v4, v9
.LBB285_3077:                           ;   in Loop: Header=BB285_1567 Depth=1
	s_or_b32 exec_lo, exec_lo, s8
.LBB285_3078:                           ;   in Loop: Header=BB285_1567 Depth=1
	s_delay_alu instid0(SALU_CYCLE_1)
	s_or_b32 exec_lo, exec_lo, s15
.LBB285_3079:                           ;   in Loop: Header=BB285_1567 Depth=1
	s_delay_alu instid0(SALU_CYCLE_1) | instskip(SKIP_4) | instid1(VALU_DEP_1)
	s_or_b32 exec_lo, exec_lo, s13
	v_mov_b32_e32 v16, 0
	v_lshrrev_b32_e32 v136, 16, v127
	v_mov_b32_e32 v17, 0
	s_mov_b32 s8, exec_lo
	v_dual_mov_b32 v19, v17 :: v_dual_and_b32 v8, 0xff, v136
	v_mov_b32_e32 v18, v16
	s_delay_alu instid0(VALU_DEP_2)
	v_cmpx_ne_u16_e32 0, v8
	s_cbranch_execz .LBB285_3087
; %bb.3080:                             ;   in Loop: Header=BB285_1567 Depth=1
	v_bfrev_b32_e32 v18, 1
	v_mov_b32_e32 v19, 0
	s_mov_b32 s13, exec_lo
	v_cmpx_ne_u16_e32 0x80, v8
	s_cbranch_execz .LBB285_3086
; %bb.3081:                             ;   in Loop: Header=BB285_1567 Depth=1
	v_mov_b32_e32 v18, 0x7f800001
	v_bfe_u32 v138, v127, 16, 7
	v_mov_b32_e32 v19, 0
	s_mov_b32 s15, exec_lo
	s_delay_alu instid0(VALU_DEP_2)
	v_cmpx_ne_u32_e32 0x7f, v138
	s_cbranch_execz .LBB285_3085
; %bb.3082:                             ;   in Loop: Header=BB285_1567 Depth=1
	v_and_b32_e32 v8, 7, v136
	v_lshrrev_b32_e32 v137, 3, v138
	v_mov_b32_e32 v19, v9
	s_mov_b32 s17, exec_lo
	s_delay_alu instid0(VALU_DEP_3)
	v_mov_b32_e32 v18, v8
	v_cmpx_gt_u32_e32 8, v138
; %bb.3083:                             ;   in Loop: Header=BB285_1567 Depth=1
	v_clz_i32_u32_e32 v18, v8
	s_delay_alu instid0(VALU_DEP_1) | instskip(NEXT) | instid1(VALU_DEP_1)
	v_min_u32_e32 v137, 32, v18
	v_subrev_nc_u32_e32 v18, 28, v137
	v_sub_nc_u32_e32 v137, 29, v137
	s_delay_alu instid0(VALU_DEP_2) | instskip(NEXT) | instid1(VALU_DEP_1)
	v_lshlrev_b64 v[18:19], v18, v[8:9]
	v_and_b32_e32 v18, 7, v18
; %bb.3084:                             ;   in Loop: Header=BB285_1567 Depth=1
	s_or_b32 exec_lo, exec_lo, s17
	v_lshlrev_b32_e32 v8, 24, v136
	s_delay_alu instid0(VALU_DEP_2) | instskip(SKIP_1) | instid1(VALU_DEP_3)
	v_lshlrev_b32_e32 v18, 20, v18
	v_lshl_add_u32 v19, v137, 23, 0x3c000000
	v_and_b32_e32 v8, 0x80000000, v8
	s_delay_alu instid0(VALU_DEP_1) | instskip(NEXT) | instid1(VALU_DEP_1)
	v_or3_b32 v8, v18, v8, v19
	v_dual_mov_b32 v19, v9 :: v_dual_mov_b32 v18, v8
.LBB285_3085:                           ;   in Loop: Header=BB285_1567 Depth=1
	s_or_b32 exec_lo, exec_lo, s15
.LBB285_3086:                           ;   in Loop: Header=BB285_1567 Depth=1
	s_delay_alu instid0(SALU_CYCLE_1)
	s_or_b32 exec_lo, exec_lo, s13
.LBB285_3087:                           ;   in Loop: Header=BB285_1567 Depth=1
	s_delay_alu instid0(SALU_CYCLE_1) | instskip(NEXT) | instid1(SALU_CYCLE_1)
	s_or_b32 exec_lo, exec_lo, s8
	s_mov_b32 s13, exec_lo
	v_cmpx_lt_u32_e32 0xffffff, v127
	s_cbranch_execz .LBB285_3095
; %bb.3088:                             ;   in Loop: Header=BB285_1567 Depth=1
	v_lshrrev_b32_e32 v136, 24, v127
	v_dual_mov_b32 v17, s3 :: v_dual_mov_b32 v16, s2
	s_mov_b32 s15, exec_lo
	s_delay_alu instid0(VALU_DEP_2)
	v_cmpx_ne_u32_e32 0x80, v136
	s_cbranch_execz .LBB285_3094
; %bb.3089:                             ;   in Loop: Header=BB285_1567 Depth=1
	s_mov_b32 s8, s2
	v_bfe_u32 v137, v127, 24, 7
	v_dual_mov_b32 v17, s9 :: v_dual_mov_b32 v16, s8
	s_mov_b32 s8, exec_lo
	s_delay_alu instid0(VALU_DEP_2)
	v_cmpx_ne_u32_e32 0x7f, v137
	s_cbranch_execz .LBB285_3093
; %bb.3090:                             ;   in Loop: Header=BB285_1567 Depth=1
	v_and_b32_e32 v8, 7, v136
	v_lshrrev_b32_e32 v127, 3, v137
	v_mov_b32_e32 v17, v9
	s_mov_b32 s17, exec_lo
	s_delay_alu instid0(VALU_DEP_3)
	v_mov_b32_e32 v16, v8
	v_cmpx_gt_u32_e32 8, v137
; %bb.3091:                             ;   in Loop: Header=BB285_1567 Depth=1
	v_clz_i32_u32_e32 v16, v8
	s_delay_alu instid0(VALU_DEP_1) | instskip(NEXT) | instid1(VALU_DEP_1)
	v_min_u32_e32 v127, 32, v16
	v_subrev_nc_u32_e32 v16, 28, v127
	v_sub_nc_u32_e32 v127, 29, v127
	s_delay_alu instid0(VALU_DEP_2) | instskip(NEXT) | instid1(VALU_DEP_1)
	v_lshlrev_b64 v[16:17], v16, v[8:9]
	v_and_b32_e32 v16, 7, v16
; %bb.3092:                             ;   in Loop: Header=BB285_1567 Depth=1
	s_or_b32 exec_lo, exec_lo, s17
	v_lshlrev_b32_e32 v8, 24, v136
	s_delay_alu instid0(VALU_DEP_2) | instskip(SKIP_1) | instid1(VALU_DEP_3)
	v_lshlrev_b32_e32 v16, 20, v16
	v_lshl_add_u32 v17, v127, 23, 0x3c000000
	v_and_b32_e32 v8, 0x80000000, v8
	s_delay_alu instid0(VALU_DEP_1)
	v_or3_b32 v17, v16, v8, v17
	v_mov_b32_e32 v16, v9
.LBB285_3093:                           ;   in Loop: Header=BB285_1567 Depth=1
	s_or_b32 exec_lo, exec_lo, s8
.LBB285_3094:                           ;   in Loop: Header=BB285_1567 Depth=1
	s_delay_alu instid0(SALU_CYCLE_1)
	s_or_b32 exec_lo, exec_lo, s15
.LBB285_3095:                           ;   in Loop: Header=BB285_1567 Depth=1
	s_delay_alu instid0(SALU_CYCLE_1) | instskip(SKIP_4) | instid1(VALU_DEP_3)
	s_or_b32 exec_lo, exec_lo, s13
	v_or_b32_e32 v5, v5, v15
	v_or_b32_e32 v4, v4, v14
	;; [unrolled: 1-line block ×4, first 2 shown]
	v_dual_mul_f32 v138, v161, v5 :: v_dual_mul_f32 v137, v115, v4
	s_delay_alu instid0(VALU_DEP_2)
	v_dual_mul_f32 v127, v161, v8 :: v_dual_mul_f32 v136, v115, v14
	s_and_saveexec_b32 s8, vcc_lo
; %bb.3096:                             ;   in Loop: Header=BB285_1567 Depth=1
	v_cmp_lt_i32_e64 s0, v182, v55
	s_delay_alu instid0(VALU_DEP_1) | instskip(SKIP_1) | instid1(VALU_DEP_1)
	v_cndmask_b32_e64 v137, 0, v137, s0
	v_cmp_lt_i32_e64 s0, v40, v55
	v_cndmask_b32_e64 v138, 0, v138, s0
	v_cmp_lt_i32_e64 s0, v183, v55
	s_delay_alu instid0(VALU_DEP_1) | instskip(SKIP_1) | instid1(VALU_DEP_1)
	v_cndmask_b32_e64 v136, 0, v136, s0
	v_cmp_lt_i32_e64 s0, v151, v55
	v_cndmask_b32_e64 v127, 0, v127, s0
; %bb.3097:                             ;   in Loop: Header=BB285_1567 Depth=1
	s_or_b32 exec_lo, exec_lo, s8
	scratch_load_b32 v4, off, s32 offset:1032 ; 4-byte Folded Reload
	s_mov_b32 s8, exec_lo
	s_waitcnt vmcnt(0)
	v_add_co_u32 v4, s0, v12, v4
	s_delay_alu instid0(VALU_DEP_1) | instskip(SKIP_4) | instid1(VALU_DEP_1)
	v_add_co_ci_u32_e64 v5, s0, 0, v13, s0
	flat_load_b32 v139, v[4:5]
	v_mov_b32_e32 v4, 0
	s_waitcnt vmcnt(0) lgkmcnt(0)
	v_dual_mov_b32 v5, 0 :: v_dual_and_b32 v8, 0xff, v139
	v_dual_mov_b32 v15, v5 :: v_dual_mov_b32 v14, v4
	s_delay_alu instid0(VALU_DEP_2)
	v_cmpx_ne_u16_e32 0, v8
	s_cbranch_execz .LBB285_3105
; %bb.3098:                             ;   in Loop: Header=BB285_1567 Depth=1
	v_bfrev_b32_e32 v14, 1
	v_mov_b32_e32 v15, 0
	s_mov_b32 s13, exec_lo
	v_cmpx_ne_u16_e32 0x80, v8
	s_cbranch_execz .LBB285_3104
; %bb.3099:                             ;   in Loop: Header=BB285_1567 Depth=1
	v_mov_b32_e32 v14, 0x7f800001
	v_and_b32_e32 v17, 0x7f, v139
	v_mov_b32_e32 v15, 0
	s_mov_b32 s15, exec_lo
	s_delay_alu instid0(VALU_DEP_2)
	v_cmpx_ne_u32_e32 0x7f, v17
	s_cbranch_execz .LBB285_3103
; %bb.3100:                             ;   in Loop: Header=BB285_1567 Depth=1
	v_and_b32_e32 v8, 7, v139
	v_lshrrev_b32_e32 v16, 3, v17
	v_mov_b32_e32 v15, v9
	s_mov_b32 s17, exec_lo
	s_delay_alu instid0(VALU_DEP_3)
	v_mov_b32_e32 v14, v8
	v_cmpx_gt_u32_e32 8, v17
; %bb.3101:                             ;   in Loop: Header=BB285_1567 Depth=1
	v_clz_i32_u32_e32 v14, v8
	s_delay_alu instid0(VALU_DEP_1) | instskip(NEXT) | instid1(VALU_DEP_1)
	v_min_u32_e32 v16, 32, v14
	v_subrev_nc_u32_e32 v14, 28, v16
	v_sub_nc_u32_e32 v16, 29, v16
	s_delay_alu instid0(VALU_DEP_2) | instskip(NEXT) | instid1(VALU_DEP_1)
	v_lshlrev_b64 v[14:15], v14, v[8:9]
	v_and_b32_e32 v14, 7, v14
; %bb.3102:                             ;   in Loop: Header=BB285_1567 Depth=1
	s_or_b32 exec_lo, exec_lo, s17
	v_lshlrev_b32_e32 v8, 24, v139
	s_delay_alu instid0(VALU_DEP_2) | instskip(SKIP_1) | instid1(VALU_DEP_3)
	v_lshlrev_b32_e32 v14, 20, v14
	v_lshl_add_u32 v15, v16, 23, 0x3c000000
	v_and_b32_e32 v8, 0x80000000, v8
	s_delay_alu instid0(VALU_DEP_1) | instskip(NEXT) | instid1(VALU_DEP_1)
	v_or3_b32 v8, v14, v8, v15
	v_dual_mov_b32 v15, v9 :: v_dual_mov_b32 v14, v8
.LBB285_3103:                           ;   in Loop: Header=BB285_1567 Depth=1
	s_or_b32 exec_lo, exec_lo, s15
.LBB285_3104:                           ;   in Loop: Header=BB285_1567 Depth=1
	s_delay_alu instid0(SALU_CYCLE_1)
	s_or_b32 exec_lo, exec_lo, s13
.LBB285_3105:                           ;   in Loop: Header=BB285_1567 Depth=1
	s_delay_alu instid0(SALU_CYCLE_1) | instskip(SKIP_2) | instid1(VALU_DEP_1)
	s_or_b32 exec_lo, exec_lo, s8
	v_lshrrev_b16 v8, 8, v139
	s_mov_b32 s13, exec_lo
	v_cmpx_ne_u16_e32 0, v8
	s_cbranch_execz .LBB285_3113
; %bb.3106:                             ;   in Loop: Header=BB285_1567 Depth=1
	v_dual_mov_b32 v5, s3 :: v_dual_mov_b32 v4, s2
	s_mov_b32 s15, exec_lo
	v_cmpx_ne_u16_e32 0x80, v8
	s_cbranch_execz .LBB285_3112
; %bb.3107:                             ;   in Loop: Header=BB285_1567 Depth=1
	s_mov_b32 s8, s2
	v_and_b32_e32 v8, 0xffff, v8
	v_dual_mov_b32 v4, s8 :: v_dual_mov_b32 v5, s9
	s_mov_b32 s8, exec_lo
	s_delay_alu instid0(VALU_DEP_2) | instskip(NEXT) | instid1(VALU_DEP_1)
	v_and_b32_e32 v17, 0x7f, v8
	v_cmpx_ne_u32_e32 0x7f, v17
	s_cbranch_execz .LBB285_3111
; %bb.3108:                             ;   in Loop: Header=BB285_1567 Depth=1
	v_and_b32_e32 v8, 7, v8
	v_lshrrev_b32_e32 v16, 3, v17
	s_mov_b32 s17, exec_lo
	s_delay_alu instid0(VALU_DEP_2)
	v_dual_mov_b32 v4, v8 :: v_dual_mov_b32 v5, v9
	v_cmpx_gt_u32_e32 8, v17
; %bb.3109:                             ;   in Loop: Header=BB285_1567 Depth=1
	v_clz_i32_u32_e32 v4, v8
	s_delay_alu instid0(VALU_DEP_1) | instskip(NEXT) | instid1(VALU_DEP_1)
	v_min_u32_e32 v16, 32, v4
	v_subrev_nc_u32_e32 v4, 28, v16
	v_sub_nc_u32_e32 v16, 29, v16
	s_delay_alu instid0(VALU_DEP_2) | instskip(NEXT) | instid1(VALU_DEP_1)
	v_lshlrev_b64 v[4:5], v4, v[8:9]
	v_and_b32_e32 v4, 7, v4
; %bb.3110:                             ;   in Loop: Header=BB285_1567 Depth=1
	s_or_b32 exec_lo, exec_lo, s17
	v_lshlrev_b32_e32 v5, 16, v139
	s_delay_alu instid0(VALU_DEP_2) | instskip(SKIP_1) | instid1(VALU_DEP_3)
	v_lshlrev_b32_e32 v4, 20, v4
	v_lshl_add_u32 v8, v16, 23, 0x3c000000
	v_and_b32_e32 v5, 0x80000000, v5
	s_delay_alu instid0(VALU_DEP_1)
	v_or3_b32 v5, v4, v5, v8
	v_mov_b32_e32 v4, v9
.LBB285_3111:                           ;   in Loop: Header=BB285_1567 Depth=1
	s_or_b32 exec_lo, exec_lo, s8
.LBB285_3112:                           ;   in Loop: Header=BB285_1567 Depth=1
	s_delay_alu instid0(SALU_CYCLE_1)
	s_or_b32 exec_lo, exec_lo, s15
.LBB285_3113:                           ;   in Loop: Header=BB285_1567 Depth=1
	s_delay_alu instid0(SALU_CYCLE_1) | instskip(SKIP_4) | instid1(VALU_DEP_1)
	s_or_b32 exec_lo, exec_lo, s13
	v_mov_b32_e32 v16, 0
	v_lshrrev_b32_e32 v140, 16, v139
	v_mov_b32_e32 v17, 0
	s_mov_b32 s8, exec_lo
	v_dual_mov_b32 v19, v17 :: v_dual_and_b32 v8, 0xff, v140
	v_mov_b32_e32 v18, v16
	s_delay_alu instid0(VALU_DEP_2)
	v_cmpx_ne_u16_e32 0, v8
	s_cbranch_execz .LBB285_3121
; %bb.3114:                             ;   in Loop: Header=BB285_1567 Depth=1
	v_bfrev_b32_e32 v18, 1
	v_mov_b32_e32 v19, 0
	s_mov_b32 s13, exec_lo
	v_cmpx_ne_u16_e32 0x80, v8
	s_cbranch_execz .LBB285_3120
; %bb.3115:                             ;   in Loop: Header=BB285_1567 Depth=1
	v_mov_b32_e32 v18, 0x7f800001
	v_bfe_u32 v142, v139, 16, 7
	v_mov_b32_e32 v19, 0
	s_mov_b32 s15, exec_lo
	s_delay_alu instid0(VALU_DEP_2)
	v_cmpx_ne_u32_e32 0x7f, v142
	s_cbranch_execz .LBB285_3119
; %bb.3116:                             ;   in Loop: Header=BB285_1567 Depth=1
	v_and_b32_e32 v8, 7, v140
	v_lshrrev_b32_e32 v141, 3, v142
	v_mov_b32_e32 v19, v9
	s_mov_b32 s17, exec_lo
	s_delay_alu instid0(VALU_DEP_3)
	v_mov_b32_e32 v18, v8
	v_cmpx_gt_u32_e32 8, v142
; %bb.3117:                             ;   in Loop: Header=BB285_1567 Depth=1
	v_clz_i32_u32_e32 v18, v8
	s_delay_alu instid0(VALU_DEP_1) | instskip(NEXT) | instid1(VALU_DEP_1)
	v_min_u32_e32 v141, 32, v18
	v_subrev_nc_u32_e32 v18, 28, v141
	v_sub_nc_u32_e32 v141, 29, v141
	s_delay_alu instid0(VALU_DEP_2) | instskip(NEXT) | instid1(VALU_DEP_1)
	v_lshlrev_b64 v[18:19], v18, v[8:9]
	v_and_b32_e32 v18, 7, v18
; %bb.3118:                             ;   in Loop: Header=BB285_1567 Depth=1
	s_or_b32 exec_lo, exec_lo, s17
	v_lshlrev_b32_e32 v8, 24, v140
	s_delay_alu instid0(VALU_DEP_2) | instskip(SKIP_1) | instid1(VALU_DEP_3)
	v_lshlrev_b32_e32 v18, 20, v18
	v_lshl_add_u32 v19, v141, 23, 0x3c000000
	v_and_b32_e32 v8, 0x80000000, v8
	s_delay_alu instid0(VALU_DEP_1) | instskip(NEXT) | instid1(VALU_DEP_1)
	v_or3_b32 v8, v18, v8, v19
	v_dual_mov_b32 v19, v9 :: v_dual_mov_b32 v18, v8
.LBB285_3119:                           ;   in Loop: Header=BB285_1567 Depth=1
	s_or_b32 exec_lo, exec_lo, s15
.LBB285_3120:                           ;   in Loop: Header=BB285_1567 Depth=1
	s_delay_alu instid0(SALU_CYCLE_1)
	s_or_b32 exec_lo, exec_lo, s13
.LBB285_3121:                           ;   in Loop: Header=BB285_1567 Depth=1
	s_delay_alu instid0(SALU_CYCLE_1) | instskip(NEXT) | instid1(SALU_CYCLE_1)
	s_or_b32 exec_lo, exec_lo, s8
	s_mov_b32 s13, exec_lo
	v_cmpx_lt_u32_e32 0xffffff, v139
	s_cbranch_execz .LBB285_3129
; %bb.3122:                             ;   in Loop: Header=BB285_1567 Depth=1
	v_lshrrev_b32_e32 v140, 24, v139
	v_dual_mov_b32 v17, s3 :: v_dual_mov_b32 v16, s2
	s_mov_b32 s15, exec_lo
	s_delay_alu instid0(VALU_DEP_2)
	v_cmpx_ne_u32_e32 0x80, v140
	s_cbranch_execz .LBB285_3128
; %bb.3123:                             ;   in Loop: Header=BB285_1567 Depth=1
	s_mov_b32 s8, s2
	v_bfe_u32 v141, v139, 24, 7
	v_dual_mov_b32 v17, s9 :: v_dual_mov_b32 v16, s8
	s_mov_b32 s8, exec_lo
	s_delay_alu instid0(VALU_DEP_2)
	v_cmpx_ne_u32_e32 0x7f, v141
	s_cbranch_execz .LBB285_3127
; %bb.3124:                             ;   in Loop: Header=BB285_1567 Depth=1
	v_and_b32_e32 v8, 7, v140
	v_lshrrev_b32_e32 v139, 3, v141
	v_mov_b32_e32 v17, v9
	s_mov_b32 s17, exec_lo
	s_delay_alu instid0(VALU_DEP_3)
	v_mov_b32_e32 v16, v8
	v_cmpx_gt_u32_e32 8, v141
; %bb.3125:                             ;   in Loop: Header=BB285_1567 Depth=1
	v_clz_i32_u32_e32 v16, v8
	s_delay_alu instid0(VALU_DEP_1) | instskip(NEXT) | instid1(VALU_DEP_1)
	v_min_u32_e32 v139, 32, v16
	v_subrev_nc_u32_e32 v16, 28, v139
	v_sub_nc_u32_e32 v139, 29, v139
	s_delay_alu instid0(VALU_DEP_2) | instskip(NEXT) | instid1(VALU_DEP_1)
	v_lshlrev_b64 v[16:17], v16, v[8:9]
	v_and_b32_e32 v16, 7, v16
; %bb.3126:                             ;   in Loop: Header=BB285_1567 Depth=1
	s_or_b32 exec_lo, exec_lo, s17
	v_lshlrev_b32_e32 v8, 24, v140
	s_delay_alu instid0(VALU_DEP_2) | instskip(SKIP_1) | instid1(VALU_DEP_3)
	v_lshlrev_b32_e32 v16, 20, v16
	v_lshl_add_u32 v17, v139, 23, 0x3c000000
	v_and_b32_e32 v8, 0x80000000, v8
	s_delay_alu instid0(VALU_DEP_1)
	v_or3_b32 v17, v16, v8, v17
	v_mov_b32_e32 v16, v9
.LBB285_3127:                           ;   in Loop: Header=BB285_1567 Depth=1
	s_or_b32 exec_lo, exec_lo, s8
.LBB285_3128:                           ;   in Loop: Header=BB285_1567 Depth=1
	s_delay_alu instid0(SALU_CYCLE_1)
	s_or_b32 exec_lo, exec_lo, s15
.LBB285_3129:                           ;   in Loop: Header=BB285_1567 Depth=1
	s_delay_alu instid0(SALU_CYCLE_1) | instskip(SKIP_4) | instid1(VALU_DEP_3)
	s_or_b32 exec_lo, exec_lo, s13
	v_or_b32_e32 v5, v5, v15
	v_or_b32_e32 v4, v4, v14
	v_or_b32_e32 v8, v17, v19
	v_or_b32_e32 v14, v16, v18
	v_dual_mul_f32 v141, v161, v5 :: v_dual_mul_f32 v140, v115, v4
	s_delay_alu instid0(VALU_DEP_2)
	v_dual_mul_f32 v139, v161, v8 :: v_dual_mul_f32 v142, v115, v14
	s_and_saveexec_b32 s8, vcc_lo
; %bb.3130:                             ;   in Loop: Header=BB285_1567 Depth=1
	v_cmp_lt_i32_e64 s0, v182, v55
	s_delay_alu instid0(VALU_DEP_1) | instskip(SKIP_1) | instid1(VALU_DEP_1)
	v_cndmask_b32_e64 v140, 0, v140, s0
	v_cmp_lt_i32_e64 s0, v40, v55
	v_cndmask_b32_e64 v141, 0, v141, s0
	v_cmp_lt_i32_e64 s0, v183, v55
	s_delay_alu instid0(VALU_DEP_1) | instskip(SKIP_1) | instid1(VALU_DEP_1)
	v_cndmask_b32_e64 v142, 0, v142, s0
	v_cmp_lt_i32_e64 s0, v151, v55
	v_cndmask_b32_e64 v139, 0, v139, s0
; %bb.3131:                             ;   in Loop: Header=BB285_1567 Depth=1
	s_or_b32 exec_lo, exec_lo, s8
	scratch_load_b32 v4, off, s32 offset:1040 ; 4-byte Folded Reload
	s_mov_b32 s8, exec_lo
	s_waitcnt vmcnt(0)
	v_add_co_u32 v4, s0, v12, v4
	s_delay_alu instid0(VALU_DEP_1) | instskip(SKIP_4) | instid1(VALU_DEP_1)
	v_add_co_ci_u32_e64 v5, s0, 0, v13, s0
	flat_load_b32 v143, v[4:5]
	v_mov_b32_e32 v4, 0
	s_waitcnt vmcnt(0) lgkmcnt(0)
	v_dual_mov_b32 v5, 0 :: v_dual_and_b32 v8, 0xff, v143
	v_dual_mov_b32 v15, v5 :: v_dual_mov_b32 v14, v4
	s_delay_alu instid0(VALU_DEP_2)
	v_cmpx_ne_u16_e32 0, v8
	s_cbranch_execz .LBB285_3139
; %bb.3132:                             ;   in Loop: Header=BB285_1567 Depth=1
	v_bfrev_b32_e32 v14, 1
	v_mov_b32_e32 v15, 0
	s_mov_b32 s13, exec_lo
	v_cmpx_ne_u16_e32 0x80, v8
	s_cbranch_execz .LBB285_3138
; %bb.3133:                             ;   in Loop: Header=BB285_1567 Depth=1
	v_mov_b32_e32 v14, 0x7f800001
	v_and_b32_e32 v17, 0x7f, v143
	v_mov_b32_e32 v15, 0
	s_mov_b32 s15, exec_lo
	s_delay_alu instid0(VALU_DEP_2)
	v_cmpx_ne_u32_e32 0x7f, v17
	s_cbranch_execz .LBB285_3137
; %bb.3134:                             ;   in Loop: Header=BB285_1567 Depth=1
	v_and_b32_e32 v8, 7, v143
	v_lshrrev_b32_e32 v16, 3, v17
	v_mov_b32_e32 v15, v9
	s_mov_b32 s17, exec_lo
	s_delay_alu instid0(VALU_DEP_3)
	v_mov_b32_e32 v14, v8
	v_cmpx_gt_u32_e32 8, v17
; %bb.3135:                             ;   in Loop: Header=BB285_1567 Depth=1
	v_clz_i32_u32_e32 v14, v8
	s_delay_alu instid0(VALU_DEP_1) | instskip(NEXT) | instid1(VALU_DEP_1)
	v_min_u32_e32 v16, 32, v14
	v_subrev_nc_u32_e32 v14, 28, v16
	v_sub_nc_u32_e32 v16, 29, v16
	s_delay_alu instid0(VALU_DEP_2) | instskip(NEXT) | instid1(VALU_DEP_1)
	v_lshlrev_b64 v[14:15], v14, v[8:9]
	v_and_b32_e32 v14, 7, v14
; %bb.3136:                             ;   in Loop: Header=BB285_1567 Depth=1
	s_or_b32 exec_lo, exec_lo, s17
	v_lshlrev_b32_e32 v8, 24, v143
	s_delay_alu instid0(VALU_DEP_2) | instskip(SKIP_1) | instid1(VALU_DEP_3)
	v_lshlrev_b32_e32 v14, 20, v14
	v_lshl_add_u32 v15, v16, 23, 0x3c000000
	v_and_b32_e32 v8, 0x80000000, v8
	s_delay_alu instid0(VALU_DEP_1) | instskip(NEXT) | instid1(VALU_DEP_1)
	v_or3_b32 v8, v14, v8, v15
	v_dual_mov_b32 v15, v9 :: v_dual_mov_b32 v14, v8
.LBB285_3137:                           ;   in Loop: Header=BB285_1567 Depth=1
	s_or_b32 exec_lo, exec_lo, s15
.LBB285_3138:                           ;   in Loop: Header=BB285_1567 Depth=1
	s_delay_alu instid0(SALU_CYCLE_1)
	s_or_b32 exec_lo, exec_lo, s13
.LBB285_3139:                           ;   in Loop: Header=BB285_1567 Depth=1
	s_delay_alu instid0(SALU_CYCLE_1) | instskip(SKIP_2) | instid1(VALU_DEP_1)
	s_or_b32 exec_lo, exec_lo, s8
	v_lshrrev_b16 v8, 8, v143
	s_mov_b32 s13, exec_lo
	v_cmpx_ne_u16_e32 0, v8
	s_cbranch_execz .LBB285_3147
; %bb.3140:                             ;   in Loop: Header=BB285_1567 Depth=1
	v_dual_mov_b32 v5, s3 :: v_dual_mov_b32 v4, s2
	s_mov_b32 s15, exec_lo
	v_cmpx_ne_u16_e32 0x80, v8
	s_cbranch_execz .LBB285_3146
; %bb.3141:                             ;   in Loop: Header=BB285_1567 Depth=1
	s_mov_b32 s8, s2
	v_and_b32_e32 v8, 0xffff, v8
	v_dual_mov_b32 v4, s8 :: v_dual_mov_b32 v5, s9
	s_mov_b32 s8, exec_lo
	s_delay_alu instid0(VALU_DEP_2) | instskip(NEXT) | instid1(VALU_DEP_1)
	v_and_b32_e32 v17, 0x7f, v8
	v_cmpx_ne_u32_e32 0x7f, v17
	s_cbranch_execz .LBB285_3145
; %bb.3142:                             ;   in Loop: Header=BB285_1567 Depth=1
	v_and_b32_e32 v8, 7, v8
	v_lshrrev_b32_e32 v16, 3, v17
	s_mov_b32 s17, exec_lo
	s_delay_alu instid0(VALU_DEP_2)
	v_dual_mov_b32 v4, v8 :: v_dual_mov_b32 v5, v9
	v_cmpx_gt_u32_e32 8, v17
; %bb.3143:                             ;   in Loop: Header=BB285_1567 Depth=1
	v_clz_i32_u32_e32 v4, v8
	s_delay_alu instid0(VALU_DEP_1) | instskip(NEXT) | instid1(VALU_DEP_1)
	v_min_u32_e32 v16, 32, v4
	v_subrev_nc_u32_e32 v4, 28, v16
	v_sub_nc_u32_e32 v16, 29, v16
	s_delay_alu instid0(VALU_DEP_2) | instskip(NEXT) | instid1(VALU_DEP_1)
	v_lshlrev_b64 v[4:5], v4, v[8:9]
	v_and_b32_e32 v4, 7, v4
; %bb.3144:                             ;   in Loop: Header=BB285_1567 Depth=1
	s_or_b32 exec_lo, exec_lo, s17
	v_lshlrev_b32_e32 v5, 16, v143
	s_delay_alu instid0(VALU_DEP_2) | instskip(SKIP_1) | instid1(VALU_DEP_3)
	v_lshlrev_b32_e32 v4, 20, v4
	v_lshl_add_u32 v8, v16, 23, 0x3c000000
	v_and_b32_e32 v5, 0x80000000, v5
	s_delay_alu instid0(VALU_DEP_1)
	v_or3_b32 v5, v4, v5, v8
	v_mov_b32_e32 v4, v9
.LBB285_3145:                           ;   in Loop: Header=BB285_1567 Depth=1
	s_or_b32 exec_lo, exec_lo, s8
.LBB285_3146:                           ;   in Loop: Header=BB285_1567 Depth=1
	s_delay_alu instid0(SALU_CYCLE_1)
	s_or_b32 exec_lo, exec_lo, s15
.LBB285_3147:                           ;   in Loop: Header=BB285_1567 Depth=1
	s_delay_alu instid0(SALU_CYCLE_1) | instskip(SKIP_4) | instid1(VALU_DEP_1)
	s_or_b32 exec_lo, exec_lo, s13
	v_mov_b32_e32 v16, 0
	v_lshrrev_b32_e32 v152, 16, v143
	v_mov_b32_e32 v17, 0
	s_mov_b32 s8, exec_lo
	v_dual_mov_b32 v19, v17 :: v_dual_and_b32 v8, 0xff, v152
	v_mov_b32_e32 v18, v16
	s_delay_alu instid0(VALU_DEP_2)
	v_cmpx_ne_u16_e32 0, v8
	s_cbranch_execz .LBB285_3155
; %bb.3148:                             ;   in Loop: Header=BB285_1567 Depth=1
	v_bfrev_b32_e32 v18, 1
	v_mov_b32_e32 v19, 0
	s_mov_b32 s13, exec_lo
	v_cmpx_ne_u16_e32 0x80, v8
	s_cbranch_execz .LBB285_3154
; %bb.3149:                             ;   in Loop: Header=BB285_1567 Depth=1
	v_mov_b32_e32 v18, 0x7f800001
	v_bfe_u32 v154, v143, 16, 7
	v_mov_b32_e32 v19, 0
	s_mov_b32 s15, exec_lo
	s_delay_alu instid0(VALU_DEP_2)
	v_cmpx_ne_u32_e32 0x7f, v154
	s_cbranch_execz .LBB285_3153
; %bb.3150:                             ;   in Loop: Header=BB285_1567 Depth=1
	v_and_b32_e32 v8, 7, v152
	v_lshrrev_b32_e32 v153, 3, v154
	v_mov_b32_e32 v19, v9
	s_mov_b32 s17, exec_lo
	s_delay_alu instid0(VALU_DEP_3)
	v_mov_b32_e32 v18, v8
	v_cmpx_gt_u32_e32 8, v154
; %bb.3151:                             ;   in Loop: Header=BB285_1567 Depth=1
	v_clz_i32_u32_e32 v18, v8
	s_delay_alu instid0(VALU_DEP_1) | instskip(NEXT) | instid1(VALU_DEP_1)
	v_min_u32_e32 v153, 32, v18
	v_subrev_nc_u32_e32 v18, 28, v153
	v_sub_nc_u32_e32 v153, 29, v153
	s_delay_alu instid0(VALU_DEP_2) | instskip(NEXT) | instid1(VALU_DEP_1)
	v_lshlrev_b64 v[18:19], v18, v[8:9]
	v_and_b32_e32 v18, 7, v18
; %bb.3152:                             ;   in Loop: Header=BB285_1567 Depth=1
	s_or_b32 exec_lo, exec_lo, s17
	v_lshlrev_b32_e32 v8, 24, v152
	s_delay_alu instid0(VALU_DEP_2) | instskip(SKIP_1) | instid1(VALU_DEP_3)
	v_lshlrev_b32_e32 v18, 20, v18
	v_lshl_add_u32 v19, v153, 23, 0x3c000000
	v_and_b32_e32 v8, 0x80000000, v8
	s_delay_alu instid0(VALU_DEP_1) | instskip(NEXT) | instid1(VALU_DEP_1)
	v_or3_b32 v8, v18, v8, v19
	v_dual_mov_b32 v19, v9 :: v_dual_mov_b32 v18, v8
.LBB285_3153:                           ;   in Loop: Header=BB285_1567 Depth=1
	s_or_b32 exec_lo, exec_lo, s15
.LBB285_3154:                           ;   in Loop: Header=BB285_1567 Depth=1
	s_delay_alu instid0(SALU_CYCLE_1)
	s_or_b32 exec_lo, exec_lo, s13
.LBB285_3155:                           ;   in Loop: Header=BB285_1567 Depth=1
	s_delay_alu instid0(SALU_CYCLE_1) | instskip(NEXT) | instid1(SALU_CYCLE_1)
	s_or_b32 exec_lo, exec_lo, s8
	s_mov_b32 s13, exec_lo
	v_cmpx_lt_u32_e32 0xffffff, v143
	s_cbranch_execz .LBB285_3163
; %bb.3156:                             ;   in Loop: Header=BB285_1567 Depth=1
	v_lshrrev_b32_e32 v152, 24, v143
	v_dual_mov_b32 v17, s3 :: v_dual_mov_b32 v16, s2
	s_mov_b32 s15, exec_lo
	s_delay_alu instid0(VALU_DEP_2)
	v_cmpx_ne_u32_e32 0x80, v152
	s_cbranch_execz .LBB285_3162
; %bb.3157:                             ;   in Loop: Header=BB285_1567 Depth=1
	s_mov_b32 s8, s2
	v_bfe_u32 v153, v143, 24, 7
	v_dual_mov_b32 v17, s9 :: v_dual_mov_b32 v16, s8
	s_mov_b32 s8, exec_lo
	s_delay_alu instid0(VALU_DEP_2)
	v_cmpx_ne_u32_e32 0x7f, v153
	s_cbranch_execz .LBB285_3161
; %bb.3158:                             ;   in Loop: Header=BB285_1567 Depth=1
	v_and_b32_e32 v8, 7, v152
	v_lshrrev_b32_e32 v143, 3, v153
	v_mov_b32_e32 v17, v9
	s_mov_b32 s17, exec_lo
	s_delay_alu instid0(VALU_DEP_3)
	v_mov_b32_e32 v16, v8
	v_cmpx_gt_u32_e32 8, v153
; %bb.3159:                             ;   in Loop: Header=BB285_1567 Depth=1
	v_clz_i32_u32_e32 v16, v8
	s_delay_alu instid0(VALU_DEP_1) | instskip(NEXT) | instid1(VALU_DEP_1)
	v_min_u32_e32 v143, 32, v16
	v_subrev_nc_u32_e32 v16, 28, v143
	v_sub_nc_u32_e32 v143, 29, v143
	s_delay_alu instid0(VALU_DEP_2) | instskip(NEXT) | instid1(VALU_DEP_1)
	v_lshlrev_b64 v[16:17], v16, v[8:9]
	v_and_b32_e32 v16, 7, v16
; %bb.3160:                             ;   in Loop: Header=BB285_1567 Depth=1
	s_or_b32 exec_lo, exec_lo, s17
	v_lshlrev_b32_e32 v8, 24, v152
	s_delay_alu instid0(VALU_DEP_2) | instskip(SKIP_1) | instid1(VALU_DEP_3)
	v_lshlrev_b32_e32 v16, 20, v16
	v_lshl_add_u32 v17, v143, 23, 0x3c000000
	v_and_b32_e32 v8, 0x80000000, v8
	s_delay_alu instid0(VALU_DEP_1)
	v_or3_b32 v17, v16, v8, v17
	v_mov_b32_e32 v16, v9
.LBB285_3161:                           ;   in Loop: Header=BB285_1567 Depth=1
	s_or_b32 exec_lo, exec_lo, s8
.LBB285_3162:                           ;   in Loop: Header=BB285_1567 Depth=1
	s_delay_alu instid0(SALU_CYCLE_1)
	s_or_b32 exec_lo, exec_lo, s15
.LBB285_3163:                           ;   in Loop: Header=BB285_1567 Depth=1
	s_delay_alu instid0(SALU_CYCLE_1) | instskip(SKIP_4) | instid1(VALU_DEP_4)
	s_or_b32 exec_lo, exec_lo, s13
	v_or_b32_e32 v5, v5, v15
	v_or_b32_e32 v4, v4, v14
	;; [unrolled: 1-line block ×4, first 2 shown]
	v_mul_f32_e32 v143, v161, v5
	s_delay_alu instid0(VALU_DEP_4) | instskip(NEXT) | instid1(VALU_DEP_4)
	v_mul_f32_e32 v19, v115, v4
	v_mul_f32_e32 v18, v161, v8
	s_delay_alu instid0(VALU_DEP_4)
	v_mul_f32_e32 v152, v115, v14
	s_and_saveexec_b32 s8, vcc_lo
; %bb.3164:                             ;   in Loop: Header=BB285_1567 Depth=1
	v_cmp_lt_i32_e64 s0, v182, v55
	s_delay_alu instid0(VALU_DEP_1) | instskip(SKIP_1) | instid1(VALU_DEP_1)
	v_cndmask_b32_e64 v19, 0, v19, s0
	v_cmp_lt_i32_e64 s0, v40, v55
	v_cndmask_b32_e64 v143, 0, v143, s0
	v_cmp_lt_i32_e64 s0, v183, v55
	s_delay_alu instid0(VALU_DEP_1) | instskip(SKIP_1) | instid1(VALU_DEP_1)
	v_cndmask_b32_e64 v152, 0, v152, s0
	v_cmp_lt_i32_e64 s0, v151, v55
	v_cndmask_b32_e64 v18, 0, v18, s0
; %bb.3165:                             ;   in Loop: Header=BB285_1567 Depth=1
	s_or_b32 exec_lo, exec_lo, s8
	scratch_load_b32 v4, off, s32 offset:1048 ; 4-byte Folded Reload
	s_mov_b32 s8, exec_lo
	s_waitcnt vmcnt(0)
	v_add_co_u32 v4, s0, v12, v4
	s_delay_alu instid0(VALU_DEP_1) | instskip(SKIP_4) | instid1(VALU_DEP_1)
	v_add_co_ci_u32_e64 v5, s0, 0, v13, s0
	flat_load_b32 v153, v[4:5]
	v_mov_b32_e32 v4, 0
	s_waitcnt vmcnt(0) lgkmcnt(0)
	v_dual_mov_b32 v5, 0 :: v_dual_and_b32 v8, 0xff, v153
	v_dual_mov_b32 v13, v5 :: v_dual_mov_b32 v12, v4
	s_delay_alu instid0(VALU_DEP_2)
	v_cmpx_ne_u16_e32 0, v8
	s_cbranch_execz .LBB285_3173
; %bb.3166:                             ;   in Loop: Header=BB285_1567 Depth=1
	v_bfrev_b32_e32 v12, 1
	v_mov_b32_e32 v13, 0
	s_mov_b32 s13, exec_lo
	v_cmpx_ne_u16_e32 0x80, v8
	s_cbranch_execz .LBB285_3172
; %bb.3167:                             ;   in Loop: Header=BB285_1567 Depth=1
	v_mov_b32_e32 v12, 0x7f800001
	v_and_b32_e32 v15, 0x7f, v153
	v_mov_b32_e32 v13, 0
	s_mov_b32 s15, exec_lo
	s_delay_alu instid0(VALU_DEP_2)
	v_cmpx_ne_u32_e32 0x7f, v15
	s_cbranch_execz .LBB285_3171
; %bb.3168:                             ;   in Loop: Header=BB285_1567 Depth=1
	v_and_b32_e32 v8, 7, v153
	v_lshrrev_b32_e32 v14, 3, v15
	v_mov_b32_e32 v13, v9
	s_mov_b32 s17, exec_lo
	s_delay_alu instid0(VALU_DEP_3)
	v_mov_b32_e32 v12, v8
	v_cmpx_gt_u32_e32 8, v15
; %bb.3169:                             ;   in Loop: Header=BB285_1567 Depth=1
	v_clz_i32_u32_e32 v12, v8
	s_delay_alu instid0(VALU_DEP_1) | instskip(NEXT) | instid1(VALU_DEP_1)
	v_min_u32_e32 v14, 32, v12
	v_subrev_nc_u32_e32 v12, 28, v14
	v_sub_nc_u32_e32 v14, 29, v14
	s_delay_alu instid0(VALU_DEP_2) | instskip(NEXT) | instid1(VALU_DEP_1)
	v_lshlrev_b64 v[12:13], v12, v[8:9]
	v_and_b32_e32 v12, 7, v12
; %bb.3170:                             ;   in Loop: Header=BB285_1567 Depth=1
	s_or_b32 exec_lo, exec_lo, s17
	v_lshlrev_b32_e32 v8, 24, v153
	s_delay_alu instid0(VALU_DEP_2) | instskip(SKIP_1) | instid1(VALU_DEP_3)
	v_lshlrev_b32_e32 v12, 20, v12
	v_lshl_add_u32 v13, v14, 23, 0x3c000000
	v_and_b32_e32 v8, 0x80000000, v8
	s_delay_alu instid0(VALU_DEP_1) | instskip(NEXT) | instid1(VALU_DEP_1)
	v_or3_b32 v8, v12, v8, v13
	v_dual_mov_b32 v13, v9 :: v_dual_mov_b32 v12, v8
.LBB285_3171:                           ;   in Loop: Header=BB285_1567 Depth=1
	s_or_b32 exec_lo, exec_lo, s15
.LBB285_3172:                           ;   in Loop: Header=BB285_1567 Depth=1
	s_delay_alu instid0(SALU_CYCLE_1)
	s_or_b32 exec_lo, exec_lo, s13
.LBB285_3173:                           ;   in Loop: Header=BB285_1567 Depth=1
	s_delay_alu instid0(SALU_CYCLE_1) | instskip(SKIP_2) | instid1(VALU_DEP_1)
	s_or_b32 exec_lo, exec_lo, s8
	v_lshrrev_b16 v8, 8, v153
	s_mov_b32 s13, exec_lo
	v_cmpx_ne_u16_e32 0, v8
	s_cbranch_execz .LBB285_3181
; %bb.3174:                             ;   in Loop: Header=BB285_1567 Depth=1
	v_dual_mov_b32 v5, s3 :: v_dual_mov_b32 v4, s2
	s_mov_b32 s15, exec_lo
	v_cmpx_ne_u16_e32 0x80, v8
	s_cbranch_execz .LBB285_3180
; %bb.3175:                             ;   in Loop: Header=BB285_1567 Depth=1
	s_mov_b32 s8, s2
	v_and_b32_e32 v8, 0xffff, v8
	v_dual_mov_b32 v4, s8 :: v_dual_mov_b32 v5, s9
	s_mov_b32 s8, exec_lo
	s_delay_alu instid0(VALU_DEP_2) | instskip(NEXT) | instid1(VALU_DEP_1)
	v_and_b32_e32 v15, 0x7f, v8
	v_cmpx_ne_u32_e32 0x7f, v15
	s_cbranch_execz .LBB285_3179
; %bb.3176:                             ;   in Loop: Header=BB285_1567 Depth=1
	v_and_b32_e32 v8, 7, v8
	v_lshrrev_b32_e32 v14, 3, v15
	s_mov_b32 s17, exec_lo
	s_delay_alu instid0(VALU_DEP_2)
	v_dual_mov_b32 v4, v8 :: v_dual_mov_b32 v5, v9
	v_cmpx_gt_u32_e32 8, v15
; %bb.3177:                             ;   in Loop: Header=BB285_1567 Depth=1
	v_clz_i32_u32_e32 v4, v8
	s_delay_alu instid0(VALU_DEP_1) | instskip(NEXT) | instid1(VALU_DEP_1)
	v_min_u32_e32 v14, 32, v4
	v_subrev_nc_u32_e32 v4, 28, v14
	v_sub_nc_u32_e32 v14, 29, v14
	s_delay_alu instid0(VALU_DEP_2) | instskip(NEXT) | instid1(VALU_DEP_1)
	v_lshlrev_b64 v[4:5], v4, v[8:9]
	v_and_b32_e32 v4, 7, v4
; %bb.3178:                             ;   in Loop: Header=BB285_1567 Depth=1
	s_or_b32 exec_lo, exec_lo, s17
	v_lshlrev_b32_e32 v5, 16, v153
	s_delay_alu instid0(VALU_DEP_2) | instskip(SKIP_1) | instid1(VALU_DEP_3)
	v_lshlrev_b32_e32 v4, 20, v4
	v_lshl_add_u32 v8, v14, 23, 0x3c000000
	v_and_b32_e32 v5, 0x80000000, v5
	s_delay_alu instid0(VALU_DEP_1)
	v_or3_b32 v5, v4, v5, v8
	v_mov_b32_e32 v4, v9
.LBB285_3179:                           ;   in Loop: Header=BB285_1567 Depth=1
	s_or_b32 exec_lo, exec_lo, s8
.LBB285_3180:                           ;   in Loop: Header=BB285_1567 Depth=1
	s_delay_alu instid0(SALU_CYCLE_1)
	s_or_b32 exec_lo, exec_lo, s15
.LBB285_3181:                           ;   in Loop: Header=BB285_1567 Depth=1
	s_delay_alu instid0(SALU_CYCLE_1) | instskip(SKIP_4) | instid1(VALU_DEP_1)
	s_or_b32 exec_lo, exec_lo, s13
	v_mov_b32_e32 v14, 0
	v_lshrrev_b32_e32 v154, 16, v153
	v_mov_b32_e32 v15, 0
	s_mov_b32 s8, exec_lo
	v_dual_mov_b32 v17, v15 :: v_dual_and_b32 v8, 0xff, v154
	v_mov_b32_e32 v16, v14
	s_delay_alu instid0(VALU_DEP_2)
	v_cmpx_ne_u16_e32 0, v8
	s_cbranch_execz .LBB285_3189
; %bb.3182:                             ;   in Loop: Header=BB285_1567 Depth=1
	v_bfrev_b32_e32 v16, 1
	v_mov_b32_e32 v17, 0
	s_mov_b32 s13, exec_lo
	v_cmpx_ne_u16_e32 0x80, v8
	s_cbranch_execz .LBB285_3188
; %bb.3183:                             ;   in Loop: Header=BB285_1567 Depth=1
	v_mov_b32_e32 v16, 0x7f800001
	v_bfe_u32 v156, v153, 16, 7
	v_mov_b32_e32 v17, 0
	s_mov_b32 s15, exec_lo
	s_delay_alu instid0(VALU_DEP_2)
	v_cmpx_ne_u32_e32 0x7f, v156
	s_cbranch_execz .LBB285_3187
; %bb.3184:                             ;   in Loop: Header=BB285_1567 Depth=1
	v_and_b32_e32 v8, 7, v154
	v_lshrrev_b32_e32 v155, 3, v156
	v_mov_b32_e32 v17, v9
	s_mov_b32 s17, exec_lo
	s_delay_alu instid0(VALU_DEP_3)
	v_mov_b32_e32 v16, v8
	v_cmpx_gt_u32_e32 8, v156
; %bb.3185:                             ;   in Loop: Header=BB285_1567 Depth=1
	v_clz_i32_u32_e32 v16, v8
	s_delay_alu instid0(VALU_DEP_1) | instskip(NEXT) | instid1(VALU_DEP_1)
	v_min_u32_e32 v155, 32, v16
	v_subrev_nc_u32_e32 v16, 28, v155
	v_sub_nc_u32_e32 v155, 29, v155
	s_delay_alu instid0(VALU_DEP_2) | instskip(NEXT) | instid1(VALU_DEP_1)
	v_lshlrev_b64 v[16:17], v16, v[8:9]
	v_and_b32_e32 v16, 7, v16
; %bb.3186:                             ;   in Loop: Header=BB285_1567 Depth=1
	s_or_b32 exec_lo, exec_lo, s17
	v_lshlrev_b32_e32 v8, 24, v154
	s_delay_alu instid0(VALU_DEP_2) | instskip(SKIP_1) | instid1(VALU_DEP_3)
	v_lshlrev_b32_e32 v16, 20, v16
	v_lshl_add_u32 v17, v155, 23, 0x3c000000
	v_and_b32_e32 v8, 0x80000000, v8
	s_delay_alu instid0(VALU_DEP_1) | instskip(NEXT) | instid1(VALU_DEP_1)
	v_or3_b32 v8, v16, v8, v17
	v_dual_mov_b32 v17, v9 :: v_dual_mov_b32 v16, v8
.LBB285_3187:                           ;   in Loop: Header=BB285_1567 Depth=1
	s_or_b32 exec_lo, exec_lo, s15
	scratch_load_b64 v[155:156], off, s32 offset:1056 ; 8-byte Folded Reload
.LBB285_3188:                           ;   in Loop: Header=BB285_1567 Depth=1
	s_or_b32 exec_lo, exec_lo, s13
.LBB285_3189:                           ;   in Loop: Header=BB285_1567 Depth=1
	s_delay_alu instid0(SALU_CYCLE_1) | instskip(NEXT) | instid1(SALU_CYCLE_1)
	s_or_b32 exec_lo, exec_lo, s8
	s_mov_b32 s13, exec_lo
	v_cmpx_lt_u32_e32 0xffffff, v153
	s_cbranch_execz .LBB285_3197
; %bb.3190:                             ;   in Loop: Header=BB285_1567 Depth=1
	v_lshrrev_b32_e32 v154, 24, v153
	v_dual_mov_b32 v15, s3 :: v_dual_mov_b32 v14, s2
	s_mov_b32 s15, exec_lo
	s_delay_alu instid0(VALU_DEP_2)
	v_cmpx_ne_u32_e32 0x80, v154
	s_cbranch_execz .LBB285_3196
; %bb.3191:                             ;   in Loop: Header=BB285_1567 Depth=1
	s_mov_b32 s8, s2
	s_waitcnt vmcnt(0)
	v_bfe_u32 v155, v153, 24, 7
	v_dual_mov_b32 v15, s9 :: v_dual_mov_b32 v14, s8
	s_mov_b32 s8, exec_lo
	s_delay_alu instid0(VALU_DEP_2)
	v_cmpx_ne_u32_e32 0x7f, v155
	s_cbranch_execz .LBB285_3195
; %bb.3192:                             ;   in Loop: Header=BB285_1567 Depth=1
	v_and_b32_e32 v8, 7, v154
	v_lshrrev_b32_e32 v153, 3, v155
	v_mov_b32_e32 v15, v9
	s_mov_b32 s17, exec_lo
	s_delay_alu instid0(VALU_DEP_3)
	v_mov_b32_e32 v14, v8
	v_cmpx_gt_u32_e32 8, v155
; %bb.3193:                             ;   in Loop: Header=BB285_1567 Depth=1
	v_clz_i32_u32_e32 v14, v8
	s_delay_alu instid0(VALU_DEP_1) | instskip(NEXT) | instid1(VALU_DEP_1)
	v_min_u32_e32 v153, 32, v14
	v_subrev_nc_u32_e32 v14, 28, v153
	v_sub_nc_u32_e32 v153, 29, v153
	s_delay_alu instid0(VALU_DEP_2) | instskip(NEXT) | instid1(VALU_DEP_1)
	v_lshlrev_b64 v[14:15], v14, v[8:9]
	v_and_b32_e32 v14, 7, v14
; %bb.3194:                             ;   in Loop: Header=BB285_1567 Depth=1
	s_or_b32 exec_lo, exec_lo, s17
	v_lshlrev_b32_e32 v8, 24, v154
	s_delay_alu instid0(VALU_DEP_2) | instskip(SKIP_1) | instid1(VALU_DEP_3)
	v_lshlrev_b32_e32 v14, 20, v14
	v_lshl_add_u32 v15, v153, 23, 0x3c000000
	v_and_b32_e32 v8, 0x80000000, v8
	s_delay_alu instid0(VALU_DEP_1)
	v_or3_b32 v15, v14, v8, v15
	v_mov_b32_e32 v14, v9
.LBB285_3195:                           ;   in Loop: Header=BB285_1567 Depth=1
	s_or_b32 exec_lo, exec_lo, s8
	scratch_load_b64 v[155:156], off, s32 offset:1056 ; 8-byte Folded Reload
.LBB285_3196:                           ;   in Loop: Header=BB285_1567 Depth=1
	s_or_b32 exec_lo, exec_lo, s15
.LBB285_3197:                           ;   in Loop: Header=BB285_1567 Depth=1
	s_delay_alu instid0(SALU_CYCLE_1) | instskip(SKIP_4) | instid1(VALU_DEP_4)
	s_or_b32 exec_lo, exec_lo, s13
	v_or_b32_e32 v5, v5, v13
	v_or_b32_e32 v4, v4, v12
	;; [unrolled: 1-line block ×4, first 2 shown]
	v_mul_f32_e32 v12, v161, v5
	s_delay_alu instid0(VALU_DEP_4) | instskip(NEXT) | instid1(VALU_DEP_3)
	v_mul_f32_e32 v8, v115, v4
	v_dual_mul_f32 v4, v161, v13 :: v_dual_mul_f32 v5, v115, v14
	s_and_saveexec_b32 s0, vcc_lo
	s_cbranch_execz .LBB285_1566
; %bb.3198:                             ;   in Loop: Header=BB285_1567 Depth=1
	v_cmp_lt_i32_e32 vcc_lo, v182, v55
	v_cndmask_b32_e32 v8, 0, v8, vcc_lo
	v_cmp_lt_i32_e32 vcc_lo, v40, v55
	v_cndmask_b32_e32 v12, 0, v12, vcc_lo
	;; [unrolled: 2-line block ×4, first 2 shown]
	s_branch .LBB285_1566
.LBB285_3199:
	s_or_b32 exec_lo, exec_lo, s1
	scratch_load_b32 v115, off, s32 offset:1088 ; 4-byte Folded Reload
	v_dual_mov_b32 v0, s10 :: v_dual_mov_b32 v1, s11
.LBB285_3200:
	s_or_b32 exec_lo, exec_lo, s12
	s_waitcnt vmcnt(0)
	ds_bpermute_b32 v160, v115, v27
	ds_bpermute_b32 v161, v115, v26
	s_waitcnt lgkmcnt(0)
	s_waitcnt_vscnt null, 0x0
	s_barrier
	buffer_gl0_inv
	v_lshlrev_b64 v[0:1], 2, v[0:1]
	s_getpc_b64 s[0:1]
	s_add_u32 s0, s0, llvm.amdgcn.dynlds.offset.table@rel32@lo+4
	s_addc_u32 s1, s1, llvm.amdgcn.dynlds.offset.table@rel32@hi+12
	ds_bpermute_b32 v2, v115, v113
	ds_bpermute_b32 v3, v115, v112
	;; [unrolled: 1-line block ×4, first 2 shown]
	v_add_co_u32 v0, vcc_lo, v0, s0
	v_add_co_ci_u32_e32 v1, vcc_lo, s1, v1, vcc_lo
	ds_bpermute_b32 v6, v115, v100
	ds_bpermute_b32 v7, v115, v82
	;; [unrolled: 1-line block ×3, first 2 shown]
	global_load_b32 v116, v[0:1], off
	ds_bpermute_b32 v0, v115, v103
	v_dual_add_f32 v27, v27, v160 :: v_dual_add_f32 v26, v26, v161
	scratch_load_b32 v161, off, s32 offset:1080 ; 4-byte Folded Reload
	ds_bpermute_b32 v1, v115, v99
	ds_bpermute_b32 v9, v115, v97
	;; [unrolled: 1-line block ×38, first 2 shown]
	s_waitcnt lgkmcnt(38)
	v_dual_add_f32 v0, v103, v0 :: v_dual_add_f32 v3, v112, v3
	s_waitcnt lgkmcnt(37)
	v_dual_add_f32 v1, v99, v1 :: v_dual_add_f32 v2, v113, v2
	v_dual_add_f32 v4, v102, v4 :: v_dual_add_f32 v5, v101, v5
	;; [unrolled: 1-line block ×3, first 2 shown]
	s_waitcnt lgkmcnt(36)
	v_dual_add_f32 v8, v87, v8 :: v_dual_add_f32 v9, v97, v9
	s_waitcnt lgkmcnt(34)
	v_dual_add_f32 v10, v96, v10 :: v_dual_add_f32 v11, v86, v11
	;; [unrolled: 2-line block ×3, first 2 shown]
	v_dual_add_f32 v13, v85, v13 :: v_dual_add_f32 v14, v84, v14
	s_waitcnt lgkmcnt(28)
	v_dual_add_f32 v16, v71, v16 :: v_dual_add_f32 v17, v81, v17
	s_waitcnt lgkmcnt(26)
	;; [unrolled: 2-line block ×15, first 2 shown]
	v_dual_add_f32 v31, v31, v149 :: v_dual_add_f32 v28, v28, v151
	s_clause 0x1
	scratch_load_b32 v115, off, s32 offset:1064
	scratch_load_b32 v162, off, s32 offset:2192
	s_mov_b32 s1, exec_lo
	s_waitcnt vmcnt(2)
	ds_bpermute_b32 v64, v161, v0
	ds_bpermute_b32 v65, v161, v1
	;; [unrolled: 1-line block ×48, first 2 shown]
	s_waitcnt lgkmcnt(44)
	v_dual_add_f32 v0, v0, v64 :: v_dual_add_f32 v3, v3, v67
	s_waitcnt lgkmcnt(38)
	v_dual_add_f32 v6, v6, v70 :: v_dual_add_f32 v9, v9, v81
	v_dual_add_f32 v4, v4, v68 :: v_dual_add_f32 v7, v7, v71
	s_waitcnt lgkmcnt(36)
	v_dual_add_f32 v8, v8, v80 :: v_dual_add_f32 v11, v11, v83
	s_waitcnt lgkmcnt(11)
	;; [unrolled: 2-line block ×3, first 2 shown]
	v_dual_add_f32 v37, v37, v135 :: v_dual_add_f32 v64, v36, v144
	v_dual_add_f32 v1, v1, v65 :: v_dual_add_f32 v2, v2, v66
	v_add_f32_e32 v5, v5, v69
	s_waitcnt lgkmcnt(7)
	v_dual_add_f32 v65, v35, v145 :: v_dual_add_f32 v66, v34, v146
	v_dual_add_f32 v10, v10, v82 :: v_dual_add_f32 v13, v13, v85
	s_waitcnt lgkmcnt(0)
	v_add_f32_e32 v81, v26, v161
	scratch_load_b32 v161, off, s32 offset:1072 ; 4-byte Folded Reload
	v_dual_add_f32 v12, v12, v84 :: v_dual_add_f32 v15, v15, v87
	v_dual_add_f32 v14, v14, v86 :: v_dual_add_f32 v17, v17, v97
	;; [unrolled: 1-line block ×8, first 2 shown]
	s_waitcnt vmcnt(2)
	v_cmp_eq_u32_e32 vcc_lo, 0, v115
	s_waitcnt vmcnt(1)
	v_and_b32_e32 v162, 0x3c0, v162
	scratch_load_b32 v115, off, s32 offset:2196 ; 4-byte Folded Reload
	v_dual_add_f32 v53, v53, v119 :: v_dual_add_f32 v52, v52, v128
	v_dual_add_f32 v51, v51, v129 :: v_dual_add_f32 v50, v50, v130
	;; [unrolled: 1-line block ×6, first 2 shown]
	s_waitcnt vmcnt(1)
	ds_bpermute_b32 v34, v161, v7
	ds_bpermute_b32 v35, v161, v8
	;; [unrolled: 1-line block ×20, first 2 shown]
	s_waitcnt lgkmcnt(18)
	v_dual_add_f32 v7, v7, v34 :: v_dual_add_f32 v8, v8, v35
	s_waitcnt lgkmcnt(17)
	v_add_f32_e32 v9, v9, v36
	s_waitcnt lgkmcnt(15)
	v_dual_add_f32 v35, v39, v133 :: v_dual_add_f32 v36, v38, v134
	s_waitcnt lgkmcnt(13)
	v_dual_add_f32 v37, v37, v135 :: v_dual_add_f32 v38, v64, v144
	scratch_load_b32 v64, off, s32 offset:2200 ; 4-byte Folded Reload
	ds_bpermute_b32 v96, v161, v16
	ds_bpermute_b32 v97, v161, v17
	;; [unrolled: 1-line block ×27, first 2 shown]
	s_waitcnt lgkmcnt(38)
	v_add_f32_e32 v0, v0, v26
	ds_bpermute_b32 v161, v161, v81
	s_waitcnt vmcnt(1)
	v_lshrrev_b32_e32 v115, 3, v115
	s_waitcnt lgkmcnt(37)
	v_dual_add_f32 v1, v1, v27 :: v_dual_add_f32 v2, v2, v28
	s_waitcnt lgkmcnt(35)
	v_dual_add_f32 v3, v3, v30 :: v_dual_add_f32 v4, v4, v31
	;; [unrolled: 2-line block ×11, first 2 shown]
	s_waitcnt lgkmcnt(15)
	v_add_f32_e32 v28, v55, v118
	v_dual_add_f32 v26, v29, v114 :: v_dual_add_f32 v27, v54, v117
	s_waitcnt lgkmcnt(13)
	v_dual_add_f32 v29, v53, v119 :: v_dual_add_f32 v30, v52, v128
	s_waitcnt lgkmcnt(11)
	;; [unrolled: 2-line block ×8, first 2 shown]
	v_add_f32_e32 v55, v81, v161
	s_waitcnt vmcnt(0)
	v_mad_u32_u24 v64, 0x300, v64, v116
	v_cmpx_eq_u32_e32 64, v162
	s_cbranch_execz .LBB285_3203
; %bb.3201:
	s_and_b32 exec_lo, exec_lo, vcc_lo
	s_cbranch_execz .LBB285_3203
; %bb.3202:
	v_lshlrev_b32_e32 v65, 2, v115
	s_delay_alu instid0(VALU_DEP_1)
	v_add3_u32 v65, v64, v65, 0xfffffa00
	ds_store_2addr_b32 v65, v0, v1 offset1:4
	ds_store_2addr_b32 v65, v2, v3 offset0:8 offset1:12
	ds_store_2addr_b32 v65, v4, v5 offset0:16 offset1:20
	;; [unrolled: 1-line block ×23, first 2 shown]
.LBB285_3203:
	s_or_b32 exec_lo, exec_lo, s1
	scratch_load_b32 v65, off, s32 offset:2192 ; 4-byte Folded Reload
	s_mov_b32 s1, exec_lo
	s_waitcnt vmcnt(0) lgkmcnt(0)
	s_barrier
	buffer_gl0_inv
	v_cmpx_gt_u32_e32 64, v65
	s_cbranch_execz .LBB285_3254
; %bb.3204:
	s_and_saveexec_b32 s0, vcc_lo
	s_cbranch_execnz .LBB285_3312
; %bb.3205:
	s_or_b32 exec_lo, exec_lo, s0
	s_and_saveexec_b32 s0, vcc_lo
	s_cbranch_execnz .LBB285_3313
.LBB285_3206:
	s_or_b32 exec_lo, exec_lo, s0
	s_and_saveexec_b32 s0, vcc_lo
	s_cbranch_execnz .LBB285_3314
.LBB285_3207:
	s_or_b32 exec_lo, exec_lo, s0
	s_and_saveexec_b32 s0, vcc_lo
	s_cbranch_execnz .LBB285_3315
.LBB285_3208:
	s_or_b32 exec_lo, exec_lo, s0
	s_and_saveexec_b32 s0, vcc_lo
	s_cbranch_execnz .LBB285_3316
.LBB285_3209:
	s_or_b32 exec_lo, exec_lo, s0
	s_and_saveexec_b32 s0, vcc_lo
	s_cbranch_execnz .LBB285_3317
.LBB285_3210:
	s_or_b32 exec_lo, exec_lo, s0
	s_and_saveexec_b32 s0, vcc_lo
	s_cbranch_execnz .LBB285_3318
.LBB285_3211:
	s_or_b32 exec_lo, exec_lo, s0
	s_and_saveexec_b32 s0, vcc_lo
	s_cbranch_execnz .LBB285_3319
.LBB285_3212:
	s_or_b32 exec_lo, exec_lo, s0
	s_and_saveexec_b32 s0, vcc_lo
	s_cbranch_execnz .LBB285_3320
.LBB285_3213:
	s_or_b32 exec_lo, exec_lo, s0
	s_and_saveexec_b32 s0, vcc_lo
	s_cbranch_execnz .LBB285_3321
.LBB285_3214:
	s_or_b32 exec_lo, exec_lo, s0
	s_and_saveexec_b32 s0, vcc_lo
	s_cbranch_execnz .LBB285_3322
.LBB285_3215:
	s_or_b32 exec_lo, exec_lo, s0
	s_and_saveexec_b32 s0, vcc_lo
	s_cbranch_execnz .LBB285_3323
.LBB285_3216:
	s_or_b32 exec_lo, exec_lo, s0
	s_and_saveexec_b32 s0, vcc_lo
	s_cbranch_execnz .LBB285_3324
.LBB285_3217:
	s_or_b32 exec_lo, exec_lo, s0
	s_and_saveexec_b32 s0, vcc_lo
	s_cbranch_execnz .LBB285_3325
.LBB285_3218:
	s_or_b32 exec_lo, exec_lo, s0
	s_and_saveexec_b32 s0, vcc_lo
	s_cbranch_execnz .LBB285_3326
.LBB285_3219:
	s_or_b32 exec_lo, exec_lo, s0
	s_and_saveexec_b32 s0, vcc_lo
	s_cbranch_execnz .LBB285_3327
.LBB285_3220:
	s_or_b32 exec_lo, exec_lo, s0
	s_and_saveexec_b32 s0, vcc_lo
	s_cbranch_execnz .LBB285_3328
.LBB285_3221:
	s_or_b32 exec_lo, exec_lo, s0
	s_and_saveexec_b32 s0, vcc_lo
	s_cbranch_execnz .LBB285_3329
.LBB285_3222:
	s_or_b32 exec_lo, exec_lo, s0
	s_and_saveexec_b32 s0, vcc_lo
	s_cbranch_execnz .LBB285_3330
.LBB285_3223:
	s_or_b32 exec_lo, exec_lo, s0
	s_and_saveexec_b32 s0, vcc_lo
	s_cbranch_execnz .LBB285_3331
.LBB285_3224:
	s_or_b32 exec_lo, exec_lo, s0
	s_and_saveexec_b32 s0, vcc_lo
	s_cbranch_execnz .LBB285_3332
.LBB285_3225:
	s_or_b32 exec_lo, exec_lo, s0
	s_and_saveexec_b32 s0, vcc_lo
	s_cbranch_execnz .LBB285_3333
.LBB285_3226:
	s_or_b32 exec_lo, exec_lo, s0
	s_and_saveexec_b32 s0, vcc_lo
	s_cbranch_execnz .LBB285_3334
.LBB285_3227:
	s_or_b32 exec_lo, exec_lo, s0
	s_and_saveexec_b32 s0, vcc_lo
	s_cbranch_execnz .LBB285_3335
.LBB285_3228:
	s_or_b32 exec_lo, exec_lo, s0
	s_and_saveexec_b32 s0, vcc_lo
	s_cbranch_execnz .LBB285_3336
.LBB285_3229:
	s_or_b32 exec_lo, exec_lo, s0
	s_and_saveexec_b32 s0, vcc_lo
	s_cbranch_execnz .LBB285_3337
.LBB285_3230:
	s_or_b32 exec_lo, exec_lo, s0
	s_and_saveexec_b32 s0, vcc_lo
	s_cbranch_execnz .LBB285_3338
.LBB285_3231:
	s_or_b32 exec_lo, exec_lo, s0
	s_and_saveexec_b32 s0, vcc_lo
	s_cbranch_execnz .LBB285_3339
.LBB285_3232:
	s_or_b32 exec_lo, exec_lo, s0
	s_and_saveexec_b32 s0, vcc_lo
	s_cbranch_execnz .LBB285_3340
.LBB285_3233:
	s_or_b32 exec_lo, exec_lo, s0
	s_and_saveexec_b32 s0, vcc_lo
	s_cbranch_execnz .LBB285_3341
.LBB285_3234:
	s_or_b32 exec_lo, exec_lo, s0
	s_and_saveexec_b32 s0, vcc_lo
	s_cbranch_execnz .LBB285_3342
.LBB285_3235:
	s_or_b32 exec_lo, exec_lo, s0
	s_and_saveexec_b32 s0, vcc_lo
	s_cbranch_execnz .LBB285_3343
.LBB285_3236:
	s_or_b32 exec_lo, exec_lo, s0
	s_and_saveexec_b32 s0, vcc_lo
	s_cbranch_execnz .LBB285_3344
.LBB285_3237:
	s_or_b32 exec_lo, exec_lo, s0
	s_and_saveexec_b32 s0, vcc_lo
	s_cbranch_execnz .LBB285_3345
.LBB285_3238:
	s_or_b32 exec_lo, exec_lo, s0
	s_and_saveexec_b32 s0, vcc_lo
	s_cbranch_execnz .LBB285_3346
.LBB285_3239:
	s_or_b32 exec_lo, exec_lo, s0
	s_and_saveexec_b32 s0, vcc_lo
	s_cbranch_execnz .LBB285_3347
.LBB285_3240:
	s_or_b32 exec_lo, exec_lo, s0
	s_and_saveexec_b32 s0, vcc_lo
	s_cbranch_execnz .LBB285_3348
.LBB285_3241:
	s_or_b32 exec_lo, exec_lo, s0
	s_and_saveexec_b32 s0, vcc_lo
	s_cbranch_execnz .LBB285_3349
.LBB285_3242:
	s_or_b32 exec_lo, exec_lo, s0
	s_and_saveexec_b32 s0, vcc_lo
	s_cbranch_execnz .LBB285_3350
.LBB285_3243:
	s_or_b32 exec_lo, exec_lo, s0
	s_and_saveexec_b32 s0, vcc_lo
	s_cbranch_execnz .LBB285_3351
.LBB285_3244:
	s_or_b32 exec_lo, exec_lo, s0
	s_and_saveexec_b32 s0, vcc_lo
	s_cbranch_execnz .LBB285_3352
.LBB285_3245:
	s_or_b32 exec_lo, exec_lo, s0
	s_and_saveexec_b32 s0, vcc_lo
	s_cbranch_execnz .LBB285_3353
.LBB285_3246:
	s_or_b32 exec_lo, exec_lo, s0
	s_and_saveexec_b32 s0, vcc_lo
	s_cbranch_execnz .LBB285_3354
.LBB285_3247:
	s_or_b32 exec_lo, exec_lo, s0
	s_and_saveexec_b32 s0, vcc_lo
	s_cbranch_execnz .LBB285_3355
.LBB285_3248:
	s_or_b32 exec_lo, exec_lo, s0
	s_and_saveexec_b32 s0, vcc_lo
	s_cbranch_execnz .LBB285_3356
.LBB285_3249:
	s_or_b32 exec_lo, exec_lo, s0
	s_and_saveexec_b32 s0, vcc_lo
	s_cbranch_execnz .LBB285_3357
.LBB285_3250:
	s_or_b32 exec_lo, exec_lo, s0
	s_and_saveexec_b32 s0, vcc_lo
	s_cbranch_execnz .LBB285_3358
.LBB285_3251:
	s_or_b32 exec_lo, exec_lo, s0
	s_and_saveexec_b32 s0, vcc_lo
	s_cbranch_execz .LBB285_3253
.LBB285_3252:
	v_lshl_add_u32 v65, v115, 2, v64
	ds_load_b32 v65, v65 offset:752
	s_waitcnt lgkmcnt(0)
	v_add_f32_e32 v55, v65, v55
.LBB285_3253:
	s_or_b32 exec_lo, exec_lo, s0
.LBB285_3254:
	s_delay_alu instid0(SALU_CYCLE_1)
	s_or_b32 exec_lo, exec_lo, s1
	scratch_load_b32 v65, off, s32 offset:2192 ; 4-byte Folded Reload
	s_mov_b32 s1, exec_lo
	s_waitcnt vmcnt(0)
	s_barrier
	buffer_gl0_inv
	v_and_b32_e32 v65, 0x3e0, v65
	s_delay_alu instid0(VALU_DEP_1)
	v_cmpx_eq_u32_e32 32, v65
	s_cbranch_execz .LBB285_3257
; %bb.3255:
	s_and_b32 exec_lo, exec_lo, vcc_lo
	s_cbranch_execz .LBB285_3257
; %bb.3256:
	v_lshlrev_b32_e32 v65, 2, v115
	s_delay_alu instid0(VALU_DEP_1)
	v_add3_u32 v65, v64, v65, 0xfffffd00
	ds_store_2addr_b32 v65, v0, v1 offset1:4
	ds_store_2addr_b32 v65, v2, v3 offset0:8 offset1:12
	ds_store_2addr_b32 v65, v4, v5 offset0:16 offset1:20
	ds_store_2addr_b32 v65, v6, v7 offset0:24 offset1:28
	ds_store_2addr_b32 v65, v8, v9 offset0:32 offset1:36
	ds_store_2addr_b32 v65, v10, v11 offset0:40 offset1:44
	ds_store_2addr_b32 v65, v12, v13 offset0:48 offset1:52
	ds_store_2addr_b32 v65, v14, v15 offset0:56 offset1:60
	ds_store_2addr_b32 v65, v16, v17 offset0:64 offset1:68
	ds_store_2addr_b32 v65, v18, v19 offset0:72 offset1:76
	ds_store_2addr_b32 v65, v20, v21 offset0:80 offset1:84
	ds_store_2addr_b32 v65, v22, v23 offset0:88 offset1:92
	ds_store_2addr_b32 v65, v24, v25 offset0:96 offset1:100
	ds_store_2addr_b32 v65, v26, v27 offset0:104 offset1:108
	ds_store_2addr_b32 v65, v28, v29 offset0:112 offset1:116
	ds_store_2addr_b32 v65, v30, v31 offset0:120 offset1:124
	ds_store_2addr_b32 v65, v32, v33 offset0:128 offset1:132
	ds_store_2addr_b32 v65, v34, v35 offset0:136 offset1:140
	ds_store_2addr_b32 v65, v36, v37 offset0:144 offset1:148
	ds_store_2addr_b32 v65, v38, v39 offset0:152 offset1:156
	ds_store_2addr_b32 v65, v48, v49 offset0:160 offset1:164
	ds_store_2addr_b32 v65, v50, v51 offset0:168 offset1:172
	ds_store_2addr_b32 v65, v52, v53 offset0:176 offset1:180
	ds_store_2addr_b32 v65, v54, v55 offset0:184 offset1:188
.LBB285_3257:
	s_or_b32 exec_lo, exec_lo, s1
	scratch_load_b32 v65, off, s32 offset:2192 ; 4-byte Folded Reload
	s_waitcnt vmcnt(0) lgkmcnt(0)
	s_barrier
	buffer_gl0_inv
	v_cmp_gt_u32_e64 s0, 32, v65
	s_delay_alu instid0(VALU_DEP_1)
	s_and_saveexec_b32 s1, s0
	s_cbranch_execz .LBB285_3308
; %bb.3258:
	v_lshl_add_u32 v64, v115, 2, v64
	s_and_saveexec_b32 s2, vcc_lo
	s_cbranch_execnz .LBB285_3359
; %bb.3259:
	s_or_b32 exec_lo, exec_lo, s2
	s_and_saveexec_b32 s2, vcc_lo
	s_cbranch_execnz .LBB285_3360
.LBB285_3260:
	s_or_b32 exec_lo, exec_lo, s2
	s_and_saveexec_b32 s2, vcc_lo
	s_cbranch_execnz .LBB285_3361
.LBB285_3261:
	s_or_b32 exec_lo, exec_lo, s2
	s_and_saveexec_b32 s2, vcc_lo
	s_cbranch_execnz .LBB285_3362
.LBB285_3262:
	s_or_b32 exec_lo, exec_lo, s2
	s_and_saveexec_b32 s2, vcc_lo
	s_cbranch_execnz .LBB285_3363
.LBB285_3263:
	s_or_b32 exec_lo, exec_lo, s2
	s_and_saveexec_b32 s2, vcc_lo
	s_cbranch_execnz .LBB285_3364
.LBB285_3264:
	s_or_b32 exec_lo, exec_lo, s2
	s_and_saveexec_b32 s2, vcc_lo
	s_cbranch_execnz .LBB285_3365
.LBB285_3265:
	s_or_b32 exec_lo, exec_lo, s2
	s_and_saveexec_b32 s2, vcc_lo
	s_cbranch_execnz .LBB285_3366
.LBB285_3266:
	s_or_b32 exec_lo, exec_lo, s2
	s_and_saveexec_b32 s2, vcc_lo
	s_cbranch_execnz .LBB285_3367
.LBB285_3267:
	s_or_b32 exec_lo, exec_lo, s2
	s_and_saveexec_b32 s2, vcc_lo
	s_cbranch_execnz .LBB285_3368
.LBB285_3268:
	s_or_b32 exec_lo, exec_lo, s2
	s_and_saveexec_b32 s2, vcc_lo
	s_cbranch_execnz .LBB285_3369
.LBB285_3269:
	s_or_b32 exec_lo, exec_lo, s2
	s_and_saveexec_b32 s2, vcc_lo
	s_cbranch_execnz .LBB285_3370
.LBB285_3270:
	s_or_b32 exec_lo, exec_lo, s2
	s_and_saveexec_b32 s2, vcc_lo
	s_cbranch_execnz .LBB285_3371
.LBB285_3271:
	s_or_b32 exec_lo, exec_lo, s2
	s_and_saveexec_b32 s2, vcc_lo
	s_cbranch_execnz .LBB285_3372
.LBB285_3272:
	s_or_b32 exec_lo, exec_lo, s2
	s_and_saveexec_b32 s2, vcc_lo
	s_cbranch_execnz .LBB285_3373
.LBB285_3273:
	s_or_b32 exec_lo, exec_lo, s2
	s_and_saveexec_b32 s2, vcc_lo
	s_cbranch_execnz .LBB285_3374
.LBB285_3274:
	s_or_b32 exec_lo, exec_lo, s2
	s_and_saveexec_b32 s2, vcc_lo
	s_cbranch_execnz .LBB285_3375
.LBB285_3275:
	s_or_b32 exec_lo, exec_lo, s2
	s_and_saveexec_b32 s2, vcc_lo
	s_cbranch_execnz .LBB285_3376
.LBB285_3276:
	s_or_b32 exec_lo, exec_lo, s2
	s_and_saveexec_b32 s2, vcc_lo
	s_cbranch_execnz .LBB285_3377
.LBB285_3277:
	s_or_b32 exec_lo, exec_lo, s2
	s_and_saveexec_b32 s2, vcc_lo
	s_cbranch_execnz .LBB285_3378
.LBB285_3278:
	s_or_b32 exec_lo, exec_lo, s2
	s_and_saveexec_b32 s2, vcc_lo
	s_cbranch_execnz .LBB285_3379
.LBB285_3279:
	s_or_b32 exec_lo, exec_lo, s2
	s_and_saveexec_b32 s2, vcc_lo
	s_cbranch_execnz .LBB285_3380
.LBB285_3280:
	s_or_b32 exec_lo, exec_lo, s2
	s_and_saveexec_b32 s2, vcc_lo
	s_cbranch_execnz .LBB285_3381
.LBB285_3281:
	s_or_b32 exec_lo, exec_lo, s2
	s_and_saveexec_b32 s2, vcc_lo
	s_cbranch_execnz .LBB285_3382
.LBB285_3282:
	s_or_b32 exec_lo, exec_lo, s2
	s_and_saveexec_b32 s2, vcc_lo
	s_cbranch_execnz .LBB285_3383
.LBB285_3283:
	s_or_b32 exec_lo, exec_lo, s2
	s_and_saveexec_b32 s2, vcc_lo
	s_cbranch_execnz .LBB285_3384
.LBB285_3284:
	s_or_b32 exec_lo, exec_lo, s2
	s_and_saveexec_b32 s2, vcc_lo
	s_cbranch_execnz .LBB285_3385
.LBB285_3285:
	s_or_b32 exec_lo, exec_lo, s2
	s_and_saveexec_b32 s2, vcc_lo
	s_cbranch_execnz .LBB285_3386
.LBB285_3286:
	s_or_b32 exec_lo, exec_lo, s2
	s_and_saveexec_b32 s2, vcc_lo
	s_cbranch_execnz .LBB285_3387
.LBB285_3287:
	s_or_b32 exec_lo, exec_lo, s2
	s_and_saveexec_b32 s2, vcc_lo
	s_cbranch_execnz .LBB285_3388
.LBB285_3288:
	s_or_b32 exec_lo, exec_lo, s2
	s_and_saveexec_b32 s2, vcc_lo
	s_cbranch_execnz .LBB285_3389
.LBB285_3289:
	s_or_b32 exec_lo, exec_lo, s2
	s_and_saveexec_b32 s2, vcc_lo
	s_cbranch_execnz .LBB285_3390
.LBB285_3290:
	s_or_b32 exec_lo, exec_lo, s2
	s_and_saveexec_b32 s2, vcc_lo
	s_cbranch_execnz .LBB285_3391
.LBB285_3291:
	s_or_b32 exec_lo, exec_lo, s2
	s_and_saveexec_b32 s2, vcc_lo
	s_cbranch_execnz .LBB285_3392
.LBB285_3292:
	s_or_b32 exec_lo, exec_lo, s2
	s_and_saveexec_b32 s2, vcc_lo
	s_cbranch_execnz .LBB285_3393
.LBB285_3293:
	s_or_b32 exec_lo, exec_lo, s2
	s_and_saveexec_b32 s2, vcc_lo
	s_cbranch_execnz .LBB285_3394
.LBB285_3294:
	s_or_b32 exec_lo, exec_lo, s2
	s_and_saveexec_b32 s2, vcc_lo
	s_cbranch_execnz .LBB285_3395
.LBB285_3295:
	s_or_b32 exec_lo, exec_lo, s2
	s_and_saveexec_b32 s2, vcc_lo
	s_cbranch_execnz .LBB285_3396
.LBB285_3296:
	s_or_b32 exec_lo, exec_lo, s2
	s_and_saveexec_b32 s2, vcc_lo
	s_cbranch_execnz .LBB285_3397
.LBB285_3297:
	s_or_b32 exec_lo, exec_lo, s2
	s_and_saveexec_b32 s2, vcc_lo
	s_cbranch_execnz .LBB285_3398
.LBB285_3298:
	s_or_b32 exec_lo, exec_lo, s2
	s_and_saveexec_b32 s2, vcc_lo
	s_cbranch_execnz .LBB285_3399
.LBB285_3299:
	s_or_b32 exec_lo, exec_lo, s2
	s_and_saveexec_b32 s2, vcc_lo
	s_cbranch_execnz .LBB285_3400
.LBB285_3300:
	s_or_b32 exec_lo, exec_lo, s2
	s_and_saveexec_b32 s2, vcc_lo
	s_cbranch_execnz .LBB285_3401
.LBB285_3301:
	s_or_b32 exec_lo, exec_lo, s2
	s_and_saveexec_b32 s2, vcc_lo
	s_cbranch_execnz .LBB285_3402
.LBB285_3302:
	s_or_b32 exec_lo, exec_lo, s2
	s_and_saveexec_b32 s2, vcc_lo
	s_cbranch_execnz .LBB285_3403
.LBB285_3303:
	s_or_b32 exec_lo, exec_lo, s2
	s_and_saveexec_b32 s2, vcc_lo
	s_cbranch_execnz .LBB285_3404
.LBB285_3304:
	s_or_b32 exec_lo, exec_lo, s2
	s_and_saveexec_b32 s2, vcc_lo
	s_cbranch_execnz .LBB285_3405
.LBB285_3305:
	s_or_b32 exec_lo, exec_lo, s2
	s_and_saveexec_b32 s2, vcc_lo
	s_cbranch_execz .LBB285_3307
.LBB285_3306:
	ds_load_b32 v64, v64 offset:752
	s_waitcnt lgkmcnt(0)
	v_add_f32_e32 v55, v64, v55
.LBB285_3307:
	s_or_b32 exec_lo, exec_lo, s2
.LBB285_3308:
	s_delay_alu instid0(SALU_CYCLE_1)
	s_or_b32 exec_lo, exec_lo, s1
	s_barrier
	buffer_gl0_inv
	s_and_b32 exec_lo, exec_lo, s0
	s_cbranch_execz .LBB285_3311
; %bb.3309:
	s_and_b32 exec_lo, exec_lo, vcc_lo
	s_cbranch_execz .LBB285_3311
; %bb.3310:
	s_clause 0x2
	scratch_load_b32 v64, off, s32 offset:2192
	scratch_load_b32 v66, off, s32 offset:2228
	;; [unrolled: 1-line block ×3, first 2 shown]
	s_mul_i32 s1, s7, s4
	s_mul_i32 s0, s6, s7
	;; [unrolled: 1-line block ×5, first 2 shown]
	s_ashr_i32 s1, s0, 31
	s_ashr_i32 s3, s2, 31
	;; [unrolled: 1-line block ×3, first 2 shown]
	s_lshl_b64 s[0:1], s[0:1], 2
	s_lshl_b64 s[2:3], s[2:3], 2
	;; [unrolled: 1-line block ×3, first 2 shown]
	s_add_u32 s0, s2, s0
	s_addc_u32 s1, s3, s1
	s_add_u32 s0, s0, s6
	s_addc_u32 s1, s1, s7
	s_waitcnt vmcnt(2)
	v_lshrrev_b32_e32 v64, 1, v64
	s_waitcnt vmcnt(0)
	v_add_co_u32 v65, vcc_lo, s0, v65
	v_add_co_ci_u32_e32 v66, vcc_lo, s1, v66, vcc_lo
	s_delay_alu instid0(VALU_DEP_3) | instskip(NEXT) | instid1(VALU_DEP_1)
	v_and_b32_e32 v64, 0x1fc, v64
	v_add_co_u32 v64, vcc_lo, v65, v64
	s_delay_alu instid0(VALU_DEP_3)
	v_add_co_ci_u32_e32 v65, vcc_lo, 0, v66, vcc_lo
	s_clause 0x1f
	flat_store_b32 v[64:65], v0
	flat_store_b32 v[64:65], v1 offset:16
	flat_store_b32 v[64:65], v2 offset:32
	;; [unrolled: 1-line block ×31, first 2 shown]
	s_clause 0xf
	flat_store_b32 v[64:65], v32 offset:512
	flat_store_b32 v[64:65], v33 offset:528
	;; [unrolled: 1-line block ×16, first 2 shown]
.LBB285_3311:
	s_or_b32 exec_lo, exec_lo, s5
	s_clause 0x1f
	scratch_load_b32 v191, off, s32
	scratch_load_b32 v190, off, s32 offset:4
	scratch_load_b32 v189, off, s32 offset:8
	;; [unrolled: 1-line block ×31, first 2 shown]
	s_clause 0x1f
	scratch_load_b32 v127, off, s32 offset:128
	scratch_load_b32 v126, off, s32 offset:132
	scratch_load_b32 v125, off, s32 offset:136
	scratch_load_b32 v124, off, s32 offset:140
	scratch_load_b32 v123, off, s32 offset:144
	scratch_load_b32 v122, off, s32 offset:148
	scratch_load_b32 v121, off, s32 offset:152
	scratch_load_b32 v120, off, s32 offset:156
	scratch_load_b32 v111, off, s32 offset:160
	scratch_load_b32 v110, off, s32 offset:164
	scratch_load_b32 v109, off, s32 offset:168
	scratch_load_b32 v108, off, s32 offset:172
	scratch_load_b32 v107, off, s32 offset:176
	scratch_load_b32 v106, off, s32 offset:180
	scratch_load_b32 v105, off, s32 offset:184
	scratch_load_b32 v104, off, s32 offset:188
	scratch_load_b32 v95, off, s32 offset:192
	scratch_load_b32 v94, off, s32 offset:196
	scratch_load_b32 v93, off, s32 offset:200
	scratch_load_b32 v92, off, s32 offset:204
	scratch_load_b32 v91, off, s32 offset:208
	scratch_load_b32 v90, off, s32 offset:212
	scratch_load_b32 v89, off, s32 offset:216
	scratch_load_b32 v88, off, s32 offset:220
	scratch_load_b32 v79, off, s32 offset:224
	scratch_load_b32 v78, off, s32 offset:228
	scratch_load_b32 v77, off, s32 offset:232
	scratch_load_b32 v76, off, s32 offset:236
	scratch_load_b32 v75, off, s32 offset:240
	scratch_load_b32 v74, off, s32 offset:244
	scratch_load_b32 v73, off, s32 offset:248
	scratch_load_b32 v72, off, s32 offset:252
	s_clause 0xf
	scratch_load_b32 v63, off, s32 offset:256
	scratch_load_b32 v62, off, s32 offset:260
	;; [unrolled: 1-line block ×16, first 2 shown]
	s_waitcnt vmcnt(0) lgkmcnt(0)
	s_setpc_b64 s[30:31]
.LBB285_3312:
	v_lshl_add_u32 v65, v115, 2, v64
	ds_load_b32 v65, v65
	s_waitcnt lgkmcnt(0)
	v_add_f32_e32 v0, v65, v0
	s_or_b32 exec_lo, exec_lo, s0
	s_and_saveexec_b32 s0, vcc_lo
	s_cbranch_execz .LBB285_3206
.LBB285_3313:
	v_lshl_add_u32 v65, v115, 2, v64
	ds_load_b32 v65, v65 offset:16
	s_waitcnt lgkmcnt(0)
	v_add_f32_e32 v1, v65, v1
	s_or_b32 exec_lo, exec_lo, s0
	s_and_saveexec_b32 s0, vcc_lo
	s_cbranch_execz .LBB285_3207
.LBB285_3314:
	v_lshl_add_u32 v65, v115, 2, v64
	ds_load_b32 v65, v65 offset:32
	s_waitcnt lgkmcnt(0)
	v_add_f32_e32 v2, v65, v2
	s_or_b32 exec_lo, exec_lo, s0
	s_and_saveexec_b32 s0, vcc_lo
	s_cbranch_execz .LBB285_3208
.LBB285_3315:
	v_lshl_add_u32 v65, v115, 2, v64
	ds_load_b32 v65, v65 offset:48
	s_waitcnt lgkmcnt(0)
	v_add_f32_e32 v3, v65, v3
	s_or_b32 exec_lo, exec_lo, s0
	s_and_saveexec_b32 s0, vcc_lo
	s_cbranch_execz .LBB285_3209
.LBB285_3316:
	v_lshl_add_u32 v65, v115, 2, v64
	ds_load_b32 v65, v65 offset:64
	s_waitcnt lgkmcnt(0)
	v_add_f32_e32 v4, v65, v4
	s_or_b32 exec_lo, exec_lo, s0
	s_and_saveexec_b32 s0, vcc_lo
	s_cbranch_execz .LBB285_3210
.LBB285_3317:
	v_lshl_add_u32 v65, v115, 2, v64
	ds_load_b32 v65, v65 offset:80
	s_waitcnt lgkmcnt(0)
	v_add_f32_e32 v5, v65, v5
	s_or_b32 exec_lo, exec_lo, s0
	s_and_saveexec_b32 s0, vcc_lo
	s_cbranch_execz .LBB285_3211
.LBB285_3318:
	v_lshl_add_u32 v65, v115, 2, v64
	ds_load_b32 v65, v65 offset:96
	s_waitcnt lgkmcnt(0)
	v_add_f32_e32 v6, v65, v6
	s_or_b32 exec_lo, exec_lo, s0
	s_and_saveexec_b32 s0, vcc_lo
	s_cbranch_execz .LBB285_3212
.LBB285_3319:
	v_lshl_add_u32 v65, v115, 2, v64
	ds_load_b32 v65, v65 offset:112
	s_waitcnt lgkmcnt(0)
	v_add_f32_e32 v7, v65, v7
	s_or_b32 exec_lo, exec_lo, s0
	s_and_saveexec_b32 s0, vcc_lo
	s_cbranch_execz .LBB285_3213
.LBB285_3320:
	v_lshl_add_u32 v65, v115, 2, v64
	ds_load_b32 v65, v65 offset:128
	s_waitcnt lgkmcnt(0)
	v_add_f32_e32 v8, v65, v8
	s_or_b32 exec_lo, exec_lo, s0
	s_and_saveexec_b32 s0, vcc_lo
	s_cbranch_execz .LBB285_3214
.LBB285_3321:
	v_lshl_add_u32 v65, v115, 2, v64
	ds_load_b32 v65, v65 offset:144
	s_waitcnt lgkmcnt(0)
	v_add_f32_e32 v9, v65, v9
	s_or_b32 exec_lo, exec_lo, s0
	s_and_saveexec_b32 s0, vcc_lo
	s_cbranch_execz .LBB285_3215
.LBB285_3322:
	v_lshl_add_u32 v65, v115, 2, v64
	ds_load_b32 v65, v65 offset:160
	s_waitcnt lgkmcnt(0)
	v_add_f32_e32 v10, v65, v10
	s_or_b32 exec_lo, exec_lo, s0
	s_and_saveexec_b32 s0, vcc_lo
	s_cbranch_execz .LBB285_3216
.LBB285_3323:
	v_lshl_add_u32 v65, v115, 2, v64
	ds_load_b32 v65, v65 offset:176
	s_waitcnt lgkmcnt(0)
	v_add_f32_e32 v11, v65, v11
	s_or_b32 exec_lo, exec_lo, s0
	s_and_saveexec_b32 s0, vcc_lo
	s_cbranch_execz .LBB285_3217
.LBB285_3324:
	v_lshl_add_u32 v65, v115, 2, v64
	ds_load_b32 v65, v65 offset:192
	s_waitcnt lgkmcnt(0)
	v_add_f32_e32 v12, v65, v12
	s_or_b32 exec_lo, exec_lo, s0
	s_and_saveexec_b32 s0, vcc_lo
	s_cbranch_execz .LBB285_3218
.LBB285_3325:
	v_lshl_add_u32 v65, v115, 2, v64
	ds_load_b32 v65, v65 offset:208
	s_waitcnt lgkmcnt(0)
	v_add_f32_e32 v13, v65, v13
	s_or_b32 exec_lo, exec_lo, s0
	s_and_saveexec_b32 s0, vcc_lo
	s_cbranch_execz .LBB285_3219
.LBB285_3326:
	v_lshl_add_u32 v65, v115, 2, v64
	ds_load_b32 v65, v65 offset:224
	s_waitcnt lgkmcnt(0)
	v_add_f32_e32 v14, v65, v14
	s_or_b32 exec_lo, exec_lo, s0
	s_and_saveexec_b32 s0, vcc_lo
	s_cbranch_execz .LBB285_3220
.LBB285_3327:
	v_lshl_add_u32 v65, v115, 2, v64
	ds_load_b32 v65, v65 offset:240
	s_waitcnt lgkmcnt(0)
	v_add_f32_e32 v15, v65, v15
	s_or_b32 exec_lo, exec_lo, s0
	s_and_saveexec_b32 s0, vcc_lo
	s_cbranch_execz .LBB285_3221
.LBB285_3328:
	v_lshl_add_u32 v65, v115, 2, v64
	ds_load_b32 v65, v65 offset:256
	s_waitcnt lgkmcnt(0)
	v_add_f32_e32 v16, v65, v16
	s_or_b32 exec_lo, exec_lo, s0
	s_and_saveexec_b32 s0, vcc_lo
	s_cbranch_execz .LBB285_3222
.LBB285_3329:
	v_lshl_add_u32 v65, v115, 2, v64
	ds_load_b32 v65, v65 offset:272
	s_waitcnt lgkmcnt(0)
	v_add_f32_e32 v17, v65, v17
	s_or_b32 exec_lo, exec_lo, s0
	s_and_saveexec_b32 s0, vcc_lo
	s_cbranch_execz .LBB285_3223
.LBB285_3330:
	v_lshl_add_u32 v65, v115, 2, v64
	ds_load_b32 v65, v65 offset:288
	s_waitcnt lgkmcnt(0)
	v_add_f32_e32 v18, v65, v18
	s_or_b32 exec_lo, exec_lo, s0
	s_and_saveexec_b32 s0, vcc_lo
	s_cbranch_execz .LBB285_3224
.LBB285_3331:
	v_lshl_add_u32 v65, v115, 2, v64
	ds_load_b32 v65, v65 offset:304
	s_waitcnt lgkmcnt(0)
	v_add_f32_e32 v19, v65, v19
	s_or_b32 exec_lo, exec_lo, s0
	s_and_saveexec_b32 s0, vcc_lo
	s_cbranch_execz .LBB285_3225
.LBB285_3332:
	v_lshl_add_u32 v65, v115, 2, v64
	ds_load_b32 v65, v65 offset:320
	s_waitcnt lgkmcnt(0)
	v_add_f32_e32 v20, v65, v20
	s_or_b32 exec_lo, exec_lo, s0
	s_and_saveexec_b32 s0, vcc_lo
	s_cbranch_execz .LBB285_3226
.LBB285_3333:
	v_lshl_add_u32 v65, v115, 2, v64
	ds_load_b32 v65, v65 offset:336
	s_waitcnt lgkmcnt(0)
	v_add_f32_e32 v21, v65, v21
	s_or_b32 exec_lo, exec_lo, s0
	s_and_saveexec_b32 s0, vcc_lo
	s_cbranch_execz .LBB285_3227
.LBB285_3334:
	v_lshl_add_u32 v65, v115, 2, v64
	ds_load_b32 v65, v65 offset:352
	s_waitcnt lgkmcnt(0)
	v_add_f32_e32 v22, v65, v22
	s_or_b32 exec_lo, exec_lo, s0
	s_and_saveexec_b32 s0, vcc_lo
	s_cbranch_execz .LBB285_3228
.LBB285_3335:
	v_lshl_add_u32 v65, v115, 2, v64
	ds_load_b32 v65, v65 offset:368
	s_waitcnt lgkmcnt(0)
	v_add_f32_e32 v23, v65, v23
	s_or_b32 exec_lo, exec_lo, s0
	s_and_saveexec_b32 s0, vcc_lo
	s_cbranch_execz .LBB285_3229
.LBB285_3336:
	v_lshl_add_u32 v65, v115, 2, v64
	ds_load_b32 v65, v65 offset:384
	s_waitcnt lgkmcnt(0)
	v_add_f32_e32 v24, v65, v24
	s_or_b32 exec_lo, exec_lo, s0
	s_and_saveexec_b32 s0, vcc_lo
	s_cbranch_execz .LBB285_3230
.LBB285_3337:
	v_lshl_add_u32 v65, v115, 2, v64
	ds_load_b32 v65, v65 offset:400
	s_waitcnt lgkmcnt(0)
	v_add_f32_e32 v25, v65, v25
	s_or_b32 exec_lo, exec_lo, s0
	s_and_saveexec_b32 s0, vcc_lo
	s_cbranch_execz .LBB285_3231
.LBB285_3338:
	v_lshl_add_u32 v65, v115, 2, v64
	ds_load_b32 v65, v65 offset:416
	s_waitcnt lgkmcnt(0)
	v_add_f32_e32 v26, v65, v26
	s_or_b32 exec_lo, exec_lo, s0
	s_and_saveexec_b32 s0, vcc_lo
	s_cbranch_execz .LBB285_3232
.LBB285_3339:
	v_lshl_add_u32 v65, v115, 2, v64
	ds_load_b32 v65, v65 offset:432
	s_waitcnt lgkmcnt(0)
	v_add_f32_e32 v27, v65, v27
	s_or_b32 exec_lo, exec_lo, s0
	s_and_saveexec_b32 s0, vcc_lo
	s_cbranch_execz .LBB285_3233
.LBB285_3340:
	v_lshl_add_u32 v65, v115, 2, v64
	ds_load_b32 v65, v65 offset:448
	s_waitcnt lgkmcnt(0)
	v_add_f32_e32 v28, v65, v28
	s_or_b32 exec_lo, exec_lo, s0
	s_and_saveexec_b32 s0, vcc_lo
	s_cbranch_execz .LBB285_3234
.LBB285_3341:
	v_lshl_add_u32 v65, v115, 2, v64
	ds_load_b32 v65, v65 offset:464
	s_waitcnt lgkmcnt(0)
	v_add_f32_e32 v29, v65, v29
	s_or_b32 exec_lo, exec_lo, s0
	s_and_saveexec_b32 s0, vcc_lo
	s_cbranch_execz .LBB285_3235
.LBB285_3342:
	v_lshl_add_u32 v65, v115, 2, v64
	ds_load_b32 v65, v65 offset:480
	s_waitcnt lgkmcnt(0)
	v_add_f32_e32 v30, v65, v30
	s_or_b32 exec_lo, exec_lo, s0
	s_and_saveexec_b32 s0, vcc_lo
	s_cbranch_execz .LBB285_3236
.LBB285_3343:
	v_lshl_add_u32 v65, v115, 2, v64
	ds_load_b32 v65, v65 offset:496
	s_waitcnt lgkmcnt(0)
	v_add_f32_e32 v31, v65, v31
	s_or_b32 exec_lo, exec_lo, s0
	s_and_saveexec_b32 s0, vcc_lo
	s_cbranch_execz .LBB285_3237
.LBB285_3344:
	v_lshl_add_u32 v65, v115, 2, v64
	ds_load_b32 v65, v65 offset:512
	s_waitcnt lgkmcnt(0)
	v_add_f32_e32 v32, v65, v32
	s_or_b32 exec_lo, exec_lo, s0
	s_and_saveexec_b32 s0, vcc_lo
	s_cbranch_execz .LBB285_3238
.LBB285_3345:
	v_lshl_add_u32 v65, v115, 2, v64
	ds_load_b32 v65, v65 offset:528
	s_waitcnt lgkmcnt(0)
	v_add_f32_e32 v33, v65, v33
	s_or_b32 exec_lo, exec_lo, s0
	s_and_saveexec_b32 s0, vcc_lo
	s_cbranch_execz .LBB285_3239
.LBB285_3346:
	v_lshl_add_u32 v65, v115, 2, v64
	ds_load_b32 v65, v65 offset:544
	s_waitcnt lgkmcnt(0)
	v_add_f32_e32 v34, v65, v34
	s_or_b32 exec_lo, exec_lo, s0
	s_and_saveexec_b32 s0, vcc_lo
	s_cbranch_execz .LBB285_3240
.LBB285_3347:
	v_lshl_add_u32 v65, v115, 2, v64
	ds_load_b32 v65, v65 offset:560
	s_waitcnt lgkmcnt(0)
	v_add_f32_e32 v35, v65, v35
	s_or_b32 exec_lo, exec_lo, s0
	s_and_saveexec_b32 s0, vcc_lo
	s_cbranch_execz .LBB285_3241
.LBB285_3348:
	v_lshl_add_u32 v65, v115, 2, v64
	ds_load_b32 v65, v65 offset:576
	s_waitcnt lgkmcnt(0)
	v_add_f32_e32 v36, v65, v36
	s_or_b32 exec_lo, exec_lo, s0
	s_and_saveexec_b32 s0, vcc_lo
	s_cbranch_execz .LBB285_3242
.LBB285_3349:
	v_lshl_add_u32 v65, v115, 2, v64
	ds_load_b32 v65, v65 offset:592
	s_waitcnt lgkmcnt(0)
	v_add_f32_e32 v37, v65, v37
	s_or_b32 exec_lo, exec_lo, s0
	s_and_saveexec_b32 s0, vcc_lo
	s_cbranch_execz .LBB285_3243
.LBB285_3350:
	v_lshl_add_u32 v65, v115, 2, v64
	ds_load_b32 v65, v65 offset:608
	s_waitcnt lgkmcnt(0)
	v_add_f32_e32 v38, v65, v38
	s_or_b32 exec_lo, exec_lo, s0
	s_and_saveexec_b32 s0, vcc_lo
	s_cbranch_execz .LBB285_3244
.LBB285_3351:
	v_lshl_add_u32 v65, v115, 2, v64
	ds_load_b32 v65, v65 offset:624
	s_waitcnt lgkmcnt(0)
	v_add_f32_e32 v39, v65, v39
	s_or_b32 exec_lo, exec_lo, s0
	s_and_saveexec_b32 s0, vcc_lo
	s_cbranch_execz .LBB285_3245
.LBB285_3352:
	v_lshl_add_u32 v65, v115, 2, v64
	ds_load_b32 v65, v65 offset:640
	s_waitcnt lgkmcnt(0)
	v_add_f32_e32 v48, v65, v48
	s_or_b32 exec_lo, exec_lo, s0
	s_and_saveexec_b32 s0, vcc_lo
	s_cbranch_execz .LBB285_3246
.LBB285_3353:
	v_lshl_add_u32 v65, v115, 2, v64
	ds_load_b32 v65, v65 offset:656
	s_waitcnt lgkmcnt(0)
	v_add_f32_e32 v49, v65, v49
	s_or_b32 exec_lo, exec_lo, s0
	s_and_saveexec_b32 s0, vcc_lo
	s_cbranch_execz .LBB285_3247
.LBB285_3354:
	v_lshl_add_u32 v65, v115, 2, v64
	ds_load_b32 v65, v65 offset:672
	s_waitcnt lgkmcnt(0)
	v_add_f32_e32 v50, v65, v50
	s_or_b32 exec_lo, exec_lo, s0
	s_and_saveexec_b32 s0, vcc_lo
	s_cbranch_execz .LBB285_3248
.LBB285_3355:
	v_lshl_add_u32 v65, v115, 2, v64
	ds_load_b32 v65, v65 offset:688
	s_waitcnt lgkmcnt(0)
	v_add_f32_e32 v51, v65, v51
	s_or_b32 exec_lo, exec_lo, s0
	s_and_saveexec_b32 s0, vcc_lo
	s_cbranch_execz .LBB285_3249
.LBB285_3356:
	v_lshl_add_u32 v65, v115, 2, v64
	ds_load_b32 v65, v65 offset:704
	s_waitcnt lgkmcnt(0)
	v_add_f32_e32 v52, v65, v52
	s_or_b32 exec_lo, exec_lo, s0
	s_and_saveexec_b32 s0, vcc_lo
	s_cbranch_execz .LBB285_3250
.LBB285_3357:
	v_lshl_add_u32 v65, v115, 2, v64
	ds_load_b32 v65, v65 offset:720
	s_waitcnt lgkmcnt(0)
	v_add_f32_e32 v53, v65, v53
	s_or_b32 exec_lo, exec_lo, s0
	s_and_saveexec_b32 s0, vcc_lo
	s_cbranch_execz .LBB285_3251
.LBB285_3358:
	v_lshl_add_u32 v65, v115, 2, v64
	ds_load_b32 v65, v65 offset:736
	s_waitcnt lgkmcnt(0)
	v_add_f32_e32 v54, v65, v54
	s_or_b32 exec_lo, exec_lo, s0
	s_and_saveexec_b32 s0, vcc_lo
	s_cbranch_execnz .LBB285_3252
	s_branch .LBB285_3253
.LBB285_3359:
	ds_load_b32 v65, v64
	s_waitcnt lgkmcnt(0)
	v_add_f32_e32 v0, v65, v0
	s_or_b32 exec_lo, exec_lo, s2
	s_and_saveexec_b32 s2, vcc_lo
	s_cbranch_execz .LBB285_3260
.LBB285_3360:
	ds_load_b32 v65, v64 offset:16
	s_waitcnt lgkmcnt(0)
	v_add_f32_e32 v1, v65, v1
	s_or_b32 exec_lo, exec_lo, s2
	s_and_saveexec_b32 s2, vcc_lo
	s_cbranch_execz .LBB285_3261
.LBB285_3361:
	ds_load_b32 v65, v64 offset:32
	s_waitcnt lgkmcnt(0)
	v_add_f32_e32 v2, v65, v2
	s_or_b32 exec_lo, exec_lo, s2
	s_and_saveexec_b32 s2, vcc_lo
	s_cbranch_execz .LBB285_3262
.LBB285_3362:
	ds_load_b32 v65, v64 offset:48
	s_waitcnt lgkmcnt(0)
	v_add_f32_e32 v3, v65, v3
	s_or_b32 exec_lo, exec_lo, s2
	s_and_saveexec_b32 s2, vcc_lo
	s_cbranch_execz .LBB285_3263
.LBB285_3363:
	ds_load_b32 v65, v64 offset:64
	s_waitcnt lgkmcnt(0)
	v_add_f32_e32 v4, v65, v4
	s_or_b32 exec_lo, exec_lo, s2
	s_and_saveexec_b32 s2, vcc_lo
	s_cbranch_execz .LBB285_3264
.LBB285_3364:
	ds_load_b32 v65, v64 offset:80
	s_waitcnt lgkmcnt(0)
	v_add_f32_e32 v5, v65, v5
	s_or_b32 exec_lo, exec_lo, s2
	s_and_saveexec_b32 s2, vcc_lo
	s_cbranch_execz .LBB285_3265
.LBB285_3365:
	ds_load_b32 v65, v64 offset:96
	s_waitcnt lgkmcnt(0)
	v_add_f32_e32 v6, v65, v6
	s_or_b32 exec_lo, exec_lo, s2
	s_and_saveexec_b32 s2, vcc_lo
	s_cbranch_execz .LBB285_3266
.LBB285_3366:
	ds_load_b32 v65, v64 offset:112
	s_waitcnt lgkmcnt(0)
	v_add_f32_e32 v7, v65, v7
	s_or_b32 exec_lo, exec_lo, s2
	s_and_saveexec_b32 s2, vcc_lo
	s_cbranch_execz .LBB285_3267
.LBB285_3367:
	ds_load_b32 v65, v64 offset:128
	s_waitcnt lgkmcnt(0)
	v_add_f32_e32 v8, v65, v8
	s_or_b32 exec_lo, exec_lo, s2
	s_and_saveexec_b32 s2, vcc_lo
	s_cbranch_execz .LBB285_3268
.LBB285_3368:
	ds_load_b32 v65, v64 offset:144
	s_waitcnt lgkmcnt(0)
	v_add_f32_e32 v9, v65, v9
	s_or_b32 exec_lo, exec_lo, s2
	s_and_saveexec_b32 s2, vcc_lo
	s_cbranch_execz .LBB285_3269
.LBB285_3369:
	ds_load_b32 v65, v64 offset:160
	s_waitcnt lgkmcnt(0)
	v_add_f32_e32 v10, v65, v10
	s_or_b32 exec_lo, exec_lo, s2
	s_and_saveexec_b32 s2, vcc_lo
	s_cbranch_execz .LBB285_3270
.LBB285_3370:
	ds_load_b32 v65, v64 offset:176
	s_waitcnt lgkmcnt(0)
	v_add_f32_e32 v11, v65, v11
	s_or_b32 exec_lo, exec_lo, s2
	s_and_saveexec_b32 s2, vcc_lo
	s_cbranch_execz .LBB285_3271
.LBB285_3371:
	ds_load_b32 v65, v64 offset:192
	s_waitcnt lgkmcnt(0)
	v_add_f32_e32 v12, v65, v12
	s_or_b32 exec_lo, exec_lo, s2
	s_and_saveexec_b32 s2, vcc_lo
	s_cbranch_execz .LBB285_3272
.LBB285_3372:
	ds_load_b32 v65, v64 offset:208
	s_waitcnt lgkmcnt(0)
	v_add_f32_e32 v13, v65, v13
	s_or_b32 exec_lo, exec_lo, s2
	s_and_saveexec_b32 s2, vcc_lo
	s_cbranch_execz .LBB285_3273
.LBB285_3373:
	ds_load_b32 v65, v64 offset:224
	s_waitcnt lgkmcnt(0)
	v_add_f32_e32 v14, v65, v14
	s_or_b32 exec_lo, exec_lo, s2
	s_and_saveexec_b32 s2, vcc_lo
	s_cbranch_execz .LBB285_3274
.LBB285_3374:
	ds_load_b32 v65, v64 offset:240
	s_waitcnt lgkmcnt(0)
	v_add_f32_e32 v15, v65, v15
	s_or_b32 exec_lo, exec_lo, s2
	s_and_saveexec_b32 s2, vcc_lo
	s_cbranch_execz .LBB285_3275
.LBB285_3375:
	ds_load_b32 v65, v64 offset:256
	s_waitcnt lgkmcnt(0)
	v_add_f32_e32 v16, v65, v16
	s_or_b32 exec_lo, exec_lo, s2
	s_and_saveexec_b32 s2, vcc_lo
	s_cbranch_execz .LBB285_3276
.LBB285_3376:
	ds_load_b32 v65, v64 offset:272
	s_waitcnt lgkmcnt(0)
	v_add_f32_e32 v17, v65, v17
	s_or_b32 exec_lo, exec_lo, s2
	s_and_saveexec_b32 s2, vcc_lo
	s_cbranch_execz .LBB285_3277
.LBB285_3377:
	ds_load_b32 v65, v64 offset:288
	s_waitcnt lgkmcnt(0)
	v_add_f32_e32 v18, v65, v18
	s_or_b32 exec_lo, exec_lo, s2
	s_and_saveexec_b32 s2, vcc_lo
	s_cbranch_execz .LBB285_3278
.LBB285_3378:
	ds_load_b32 v65, v64 offset:304
	s_waitcnt lgkmcnt(0)
	v_add_f32_e32 v19, v65, v19
	s_or_b32 exec_lo, exec_lo, s2
	s_and_saveexec_b32 s2, vcc_lo
	s_cbranch_execz .LBB285_3279
.LBB285_3379:
	ds_load_b32 v65, v64 offset:320
	s_waitcnt lgkmcnt(0)
	v_add_f32_e32 v20, v65, v20
	s_or_b32 exec_lo, exec_lo, s2
	s_and_saveexec_b32 s2, vcc_lo
	s_cbranch_execz .LBB285_3280
.LBB285_3380:
	ds_load_b32 v65, v64 offset:336
	s_waitcnt lgkmcnt(0)
	v_add_f32_e32 v21, v65, v21
	s_or_b32 exec_lo, exec_lo, s2
	s_and_saveexec_b32 s2, vcc_lo
	s_cbranch_execz .LBB285_3281
.LBB285_3381:
	ds_load_b32 v65, v64 offset:352
	s_waitcnt lgkmcnt(0)
	v_add_f32_e32 v22, v65, v22
	s_or_b32 exec_lo, exec_lo, s2
	s_and_saveexec_b32 s2, vcc_lo
	s_cbranch_execz .LBB285_3282
.LBB285_3382:
	ds_load_b32 v65, v64 offset:368
	s_waitcnt lgkmcnt(0)
	v_add_f32_e32 v23, v65, v23
	s_or_b32 exec_lo, exec_lo, s2
	s_and_saveexec_b32 s2, vcc_lo
	s_cbranch_execz .LBB285_3283
.LBB285_3383:
	ds_load_b32 v65, v64 offset:384
	s_waitcnt lgkmcnt(0)
	v_add_f32_e32 v24, v65, v24
	s_or_b32 exec_lo, exec_lo, s2
	s_and_saveexec_b32 s2, vcc_lo
	s_cbranch_execz .LBB285_3284
.LBB285_3384:
	ds_load_b32 v65, v64 offset:400
	s_waitcnt lgkmcnt(0)
	v_add_f32_e32 v25, v65, v25
	s_or_b32 exec_lo, exec_lo, s2
	s_and_saveexec_b32 s2, vcc_lo
	s_cbranch_execz .LBB285_3285
.LBB285_3385:
	ds_load_b32 v65, v64 offset:416
	s_waitcnt lgkmcnt(0)
	v_add_f32_e32 v26, v65, v26
	s_or_b32 exec_lo, exec_lo, s2
	s_and_saveexec_b32 s2, vcc_lo
	s_cbranch_execz .LBB285_3286
.LBB285_3386:
	ds_load_b32 v65, v64 offset:432
	s_waitcnt lgkmcnt(0)
	v_add_f32_e32 v27, v65, v27
	s_or_b32 exec_lo, exec_lo, s2
	s_and_saveexec_b32 s2, vcc_lo
	s_cbranch_execz .LBB285_3287
.LBB285_3387:
	ds_load_b32 v65, v64 offset:448
	s_waitcnt lgkmcnt(0)
	v_add_f32_e32 v28, v65, v28
	s_or_b32 exec_lo, exec_lo, s2
	s_and_saveexec_b32 s2, vcc_lo
	s_cbranch_execz .LBB285_3288
.LBB285_3388:
	ds_load_b32 v65, v64 offset:464
	s_waitcnt lgkmcnt(0)
	v_add_f32_e32 v29, v65, v29
	s_or_b32 exec_lo, exec_lo, s2
	s_and_saveexec_b32 s2, vcc_lo
	s_cbranch_execz .LBB285_3289
.LBB285_3389:
	ds_load_b32 v65, v64 offset:480
	s_waitcnt lgkmcnt(0)
	v_add_f32_e32 v30, v65, v30
	s_or_b32 exec_lo, exec_lo, s2
	s_and_saveexec_b32 s2, vcc_lo
	s_cbranch_execz .LBB285_3290
.LBB285_3390:
	ds_load_b32 v65, v64 offset:496
	s_waitcnt lgkmcnt(0)
	v_add_f32_e32 v31, v65, v31
	s_or_b32 exec_lo, exec_lo, s2
	s_and_saveexec_b32 s2, vcc_lo
	s_cbranch_execz .LBB285_3291
.LBB285_3391:
	ds_load_b32 v65, v64 offset:512
	s_waitcnt lgkmcnt(0)
	v_add_f32_e32 v32, v65, v32
	s_or_b32 exec_lo, exec_lo, s2
	s_and_saveexec_b32 s2, vcc_lo
	s_cbranch_execz .LBB285_3292
.LBB285_3392:
	ds_load_b32 v65, v64 offset:528
	s_waitcnt lgkmcnt(0)
	v_add_f32_e32 v33, v65, v33
	s_or_b32 exec_lo, exec_lo, s2
	s_and_saveexec_b32 s2, vcc_lo
	s_cbranch_execz .LBB285_3293
.LBB285_3393:
	ds_load_b32 v65, v64 offset:544
	s_waitcnt lgkmcnt(0)
	v_add_f32_e32 v34, v65, v34
	s_or_b32 exec_lo, exec_lo, s2
	s_and_saveexec_b32 s2, vcc_lo
	s_cbranch_execz .LBB285_3294
.LBB285_3394:
	ds_load_b32 v65, v64 offset:560
	s_waitcnt lgkmcnt(0)
	v_add_f32_e32 v35, v65, v35
	s_or_b32 exec_lo, exec_lo, s2
	s_and_saveexec_b32 s2, vcc_lo
	s_cbranch_execz .LBB285_3295
.LBB285_3395:
	ds_load_b32 v65, v64 offset:576
	s_waitcnt lgkmcnt(0)
	v_add_f32_e32 v36, v65, v36
	s_or_b32 exec_lo, exec_lo, s2
	s_and_saveexec_b32 s2, vcc_lo
	s_cbranch_execz .LBB285_3296
.LBB285_3396:
	ds_load_b32 v65, v64 offset:592
	s_waitcnt lgkmcnt(0)
	v_add_f32_e32 v37, v65, v37
	s_or_b32 exec_lo, exec_lo, s2
	s_and_saveexec_b32 s2, vcc_lo
	s_cbranch_execz .LBB285_3297
.LBB285_3397:
	ds_load_b32 v65, v64 offset:608
	s_waitcnt lgkmcnt(0)
	v_add_f32_e32 v38, v65, v38
	s_or_b32 exec_lo, exec_lo, s2
	s_and_saveexec_b32 s2, vcc_lo
	s_cbranch_execz .LBB285_3298
.LBB285_3398:
	ds_load_b32 v65, v64 offset:624
	s_waitcnt lgkmcnt(0)
	v_add_f32_e32 v39, v65, v39
	s_or_b32 exec_lo, exec_lo, s2
	s_and_saveexec_b32 s2, vcc_lo
	s_cbranch_execz .LBB285_3299
.LBB285_3399:
	ds_load_b32 v65, v64 offset:640
	s_waitcnt lgkmcnt(0)
	v_add_f32_e32 v48, v65, v48
	s_or_b32 exec_lo, exec_lo, s2
	s_and_saveexec_b32 s2, vcc_lo
	s_cbranch_execz .LBB285_3300
.LBB285_3400:
	ds_load_b32 v65, v64 offset:656
	s_waitcnt lgkmcnt(0)
	v_add_f32_e32 v49, v65, v49
	s_or_b32 exec_lo, exec_lo, s2
	s_and_saveexec_b32 s2, vcc_lo
	s_cbranch_execz .LBB285_3301
.LBB285_3401:
	ds_load_b32 v65, v64 offset:672
	s_waitcnt lgkmcnt(0)
	v_add_f32_e32 v50, v65, v50
	s_or_b32 exec_lo, exec_lo, s2
	s_and_saveexec_b32 s2, vcc_lo
	s_cbranch_execz .LBB285_3302
.LBB285_3402:
	ds_load_b32 v65, v64 offset:688
	s_waitcnt lgkmcnt(0)
	v_add_f32_e32 v51, v65, v51
	s_or_b32 exec_lo, exec_lo, s2
	s_and_saveexec_b32 s2, vcc_lo
	s_cbranch_execz .LBB285_3303
.LBB285_3403:
	ds_load_b32 v65, v64 offset:704
	s_waitcnt lgkmcnt(0)
	v_add_f32_e32 v52, v65, v52
	s_or_b32 exec_lo, exec_lo, s2
	s_and_saveexec_b32 s2, vcc_lo
	s_cbranch_execz .LBB285_3304
.LBB285_3404:
	ds_load_b32 v65, v64 offset:720
	s_waitcnt lgkmcnt(0)
	v_add_f32_e32 v53, v65, v53
	s_or_b32 exec_lo, exec_lo, s2
	s_and_saveexec_b32 s2, vcc_lo
	s_cbranch_execz .LBB285_3305
.LBB285_3405:
	ds_load_b32 v65, v64 offset:736
	s_waitcnt lgkmcnt(0)
	v_add_f32_e32 v54, v65, v54
	s_or_b32 exec_lo, exec_lo, s2
	s_and_saveexec_b32 s2, vcc_lo
	s_cbranch_execnz .LBB285_3306
	s_branch .LBB285_3307
.Lfunc_end285:
	.size	_ZN4vllm22paged_attention_kernelIfhLi192ELi32ELi128ELNS_18Fp8KVCacheDataTypeE1ELb0ELi512EEEvPfS2_PT_PKS3_PKT0_S9_ifPKiSB_iPKfiiiSD_SD_iiiii, .Lfunc_end285-_ZN4vllm22paged_attention_kernelIfhLi192ELi32ELi128ELNS_18Fp8KVCacheDataTypeE1ELb0ELi512EEEvPfS2_PT_PKS3_PKT0_S9_ifPKiSB_iPKfiiiSD_SD_iiiii
                                        ; -- End function
	.section	.AMDGPU.csdata,"",@progbits
; Function info:
; codeLenInByte = 121464
; NumSgprs: 35
; NumVgprs: 192
; ScratchSize: 2280
; MemoryBound: 0
	.section	.text._ZN4vllm25paged_attention_v2_kernelIfhLi192ELi32ELi128ELNS_18Fp8KVCacheDataTypeE1ELb0ELi512EEEvPfS2_PT_PKS3_PKT0_S9_ifPKiSB_iPKfiiiSD_SD_iiiii,"axG",@progbits,_ZN4vllm25paged_attention_v2_kernelIfhLi192ELi32ELi128ELNS_18Fp8KVCacheDataTypeE1ELb0ELi512EEEvPfS2_PT_PKS3_PKT0_S9_ifPKiSB_iPKfiiiSD_SD_iiiii,comdat
	.protected	_ZN4vllm25paged_attention_v2_kernelIfhLi192ELi32ELi128ELNS_18Fp8KVCacheDataTypeE1ELb0ELi512EEEvPfS2_PT_PKS3_PKT0_S9_ifPKiSB_iPKfiiiSD_SD_iiiii ; -- Begin function _ZN4vllm25paged_attention_v2_kernelIfhLi192ELi32ELi128ELNS_18Fp8KVCacheDataTypeE1ELb0ELi512EEEvPfS2_PT_PKS3_PKT0_S9_ifPKiSB_iPKfiiiSD_SD_iiiii
	.globl	_ZN4vllm25paged_attention_v2_kernelIfhLi192ELi32ELi128ELNS_18Fp8KVCacheDataTypeE1ELb0ELi512EEEvPfS2_PT_PKS3_PKT0_S9_ifPKiSB_iPKfiiiSD_SD_iiiii
	.p2align	8
	.type	_ZN4vllm25paged_attention_v2_kernelIfhLi192ELi32ELi128ELNS_18Fp8KVCacheDataTypeE1ELb0ELi512EEEvPfS2_PT_PKS3_PKT0_S9_ifPKiSB_iPKfiiiSD_SD_iiiii,@function
_ZN4vllm25paged_attention_v2_kernelIfhLi192ELi32ELi128ELNS_18Fp8KVCacheDataTypeE1ELb0ELi512EEEvPfS2_PT_PKS3_PKT0_S9_ifPKiSB_iPKfiiiSD_SD_iiiii: ; @_ZN4vllm25paged_attention_v2_kernelIfhLi192ELi32ELi128ELNS_18Fp8KVCacheDataTypeE1ELb0ELi512EEEvPfS2_PT_PKS3_PKT0_S9_ifPKiSB_iPKfiiiSD_SD_iiiii
; %bb.0:
	s_clause 0x5
	s_load_b256 s[24:31], s[0:1], 0x0
	s_load_b256 s[16:23], s[0:1], 0x20
	s_load_b64 s[2:3], s[0:1], 0x40
	s_load_b64 s[4:5], s[0:1], 0x50
	s_load_b32 s6, s[0:1], 0x48
	s_load_b256 s[36:43], s[0:1], 0x58
	v_mov_b32_e32 v31, v0
	s_add_u32 s8, s0, 0x90
	s_mov_b32 s12, s13
	s_addc_u32 s9, s1, 0
	s_mov_b32 s13, s14
	s_mov_b32 s14, s15
	s_movk_i32 s15, 0x45
	s_mov_b32 s32, 0
	s_getpc_b64 s[0:1]
	s_add_u32 s0, s0, _ZN4vllm22paged_attention_kernelIfhLi192ELi32ELi128ELNS_18Fp8KVCacheDataTypeE1ELb0ELi512EEEvPfS2_PT_PKS3_PKT0_S9_ifPKiSB_iPKfiiiSD_SD_iiiii@rel32@lo+4
	s_addc_u32 s1, s1, _ZN4vllm22paged_attention_kernelIfhLi192ELi32ELi128ELNS_18Fp8KVCacheDataTypeE1ELb0ELi512EEEvPfS2_PT_PKS3_PKT0_S9_ifPKiSB_iPKfiiiSD_SD_iiiii@rel32@hi+12
	s_waitcnt lgkmcnt(0)
	v_dual_mov_b32 v0, s24 :: v_dual_mov_b32 v1, s25
	v_dual_mov_b32 v2, s26 :: v_dual_mov_b32 v3, s27
	;; [unrolled: 1-line block ×14, first 2 shown]
	s_swappc_b64 s[30:31], s[0:1]
	s_endpgm
	.section	.rodata,"a",@progbits
	.p2align	6, 0x0
	.amdhsa_kernel _ZN4vllm25paged_attention_v2_kernelIfhLi192ELi32ELi128ELNS_18Fp8KVCacheDataTypeE1ELb0ELi512EEEvPfS2_PT_PKS3_PKT0_S9_ifPKiSB_iPKfiiiSD_SD_iiiii
		.amdhsa_group_segment_fixed_size 800
		.amdhsa_private_segment_fixed_size 2280
		.amdhsa_kernarg_size 400
		.amdhsa_user_sgpr_count 13
		.amdhsa_user_sgpr_dispatch_ptr 0
		.amdhsa_user_sgpr_queue_ptr 0
		.amdhsa_user_sgpr_kernarg_segment_ptr 1
		.amdhsa_user_sgpr_dispatch_id 0
		.amdhsa_user_sgpr_private_segment_size 0
		.amdhsa_wavefront_size32 1
		.amdhsa_uses_dynamic_stack 0
		.amdhsa_enable_private_segment 1
		.amdhsa_system_sgpr_workgroup_id_x 1
		.amdhsa_system_sgpr_workgroup_id_y 1
		.amdhsa_system_sgpr_workgroup_id_z 1
		.amdhsa_system_sgpr_workgroup_info 0
		.amdhsa_system_vgpr_workitem_id 0
		.amdhsa_next_free_vgpr 192
		.amdhsa_next_free_sgpr 44
		.amdhsa_reserve_vcc 1
		.amdhsa_float_round_mode_32 0
		.amdhsa_float_round_mode_16_64 0
		.amdhsa_float_denorm_mode_32 3
		.amdhsa_float_denorm_mode_16_64 3
		.amdhsa_dx10_clamp 1
		.amdhsa_ieee_mode 1
		.amdhsa_fp16_overflow 0
		.amdhsa_workgroup_processor_mode 1
		.amdhsa_memory_ordered 1
		.amdhsa_forward_progress 0
		.amdhsa_shared_vgpr_count 0
		.amdhsa_exception_fp_ieee_invalid_op 0
		.amdhsa_exception_fp_denorm_src 0
		.amdhsa_exception_fp_ieee_div_zero 0
		.amdhsa_exception_fp_ieee_overflow 0
		.amdhsa_exception_fp_ieee_underflow 0
		.amdhsa_exception_fp_ieee_inexact 0
		.amdhsa_exception_int_div_zero 0
	.end_amdhsa_kernel
	.section	.text._ZN4vllm25paged_attention_v2_kernelIfhLi192ELi32ELi128ELNS_18Fp8KVCacheDataTypeE1ELb0ELi512EEEvPfS2_PT_PKS3_PKT0_S9_ifPKiSB_iPKfiiiSD_SD_iiiii,"axG",@progbits,_ZN4vllm25paged_attention_v2_kernelIfhLi192ELi32ELi128ELNS_18Fp8KVCacheDataTypeE1ELb0ELi512EEEvPfS2_PT_PKS3_PKT0_S9_ifPKiSB_iPKfiiiSD_SD_iiiii,comdat
.Lfunc_end286:
	.size	_ZN4vllm25paged_attention_v2_kernelIfhLi192ELi32ELi128ELNS_18Fp8KVCacheDataTypeE1ELb0ELi512EEEvPfS2_PT_PKS3_PKT0_S9_ifPKiSB_iPKfiiiSD_SD_iiiii, .Lfunc_end286-_ZN4vllm25paged_attention_v2_kernelIfhLi192ELi32ELi128ELNS_18Fp8KVCacheDataTypeE1ELb0ELi512EEEvPfS2_PT_PKS3_PKT0_S9_ifPKiSB_iPKfiiiSD_SD_iiiii
                                        ; -- End function
	.section	.AMDGPU.csdata,"",@progbits
; Kernel info:
; codeLenInByte = 232
; NumSgprs: 46
; NumVgprs: 192
; ScratchSize: 2280
; MemoryBound: 0
; FloatMode: 240
; IeeeMode: 1
; LDSByteSize: 800 bytes/workgroup (compile time only)
; SGPRBlocks: 5
; VGPRBlocks: 23
; NumSGPRsForWavesPerEU: 46
; NumVGPRsForWavesPerEU: 192
; Occupancy: 8
; WaveLimiterHint : 1
; COMPUTE_PGM_RSRC2:SCRATCH_EN: 1
; COMPUTE_PGM_RSRC2:USER_SGPR: 13
; COMPUTE_PGM_RSRC2:TRAP_HANDLER: 0
; COMPUTE_PGM_RSRC2:TGID_X_EN: 1
; COMPUTE_PGM_RSRC2:TGID_Y_EN: 1
; COMPUTE_PGM_RSRC2:TGID_Z_EN: 1
; COMPUTE_PGM_RSRC2:TIDIG_COMP_CNT: 0
	.text
	.p2align	2                               ; -- Begin function _ZN4vllm22paged_attention_kernelIfhLi256ELi32ELi128ELNS_18Fp8KVCacheDataTypeE1ELb0ELi512EEEvPfS2_PT_PKS3_PKT0_S9_ifPKiSB_iPKfiiiSD_SD_iiiii
	.type	_ZN4vllm22paged_attention_kernelIfhLi256ELi32ELi128ELNS_18Fp8KVCacheDataTypeE1ELb0ELi512EEEvPfS2_PT_PKS3_PKT0_S9_ifPKiSB_iPKfiiiSD_SD_iiiii,@function
_ZN4vllm22paged_attention_kernelIfhLi256ELi32ELi128ELNS_18Fp8KVCacheDataTypeE1ELb0ELi512EEEvPfS2_PT_PKS3_PKT0_S9_ifPKiSB_iPKfiiiSD_SD_iiiii: ; @_ZN4vllm22paged_attention_kernelIfhLi256ELi32ELi128ELNS_18Fp8KVCacheDataTypeE1ELb0ELi512EEEvPfS2_PT_PKS3_PKT0_S9_ifPKiSB_iPKfiiiSD_SD_iiiii
; %bb.0:
	s_waitcnt vmcnt(0) expcnt(0) lgkmcnt(0)
	s_clause 0x1f
	scratch_store_b32 off, v40, s32 offset:316
	; meta instruction
	scratch_store_b32 off, v41, s32 offset:312
	; meta instruction
	scratch_store_b32 off, v42, s32 offset:308
	; meta instruction
	scratch_store_b32 off, v43, s32 offset:304
	; meta instruction
	scratch_store_b32 off, v44, s32 offset:300
	; meta instruction
	scratch_store_b32 off, v45, s32 offset:296
	; meta instruction
	scratch_store_b32 off, v46, s32 offset:292
	; meta instruction
	scratch_store_b32 off, v47, s32 offset:288
	; meta instruction
	scratch_store_b32 off, v56, s32 offset:284
	; meta instruction
	scratch_store_b32 off, v57, s32 offset:280
	; meta instruction
	scratch_store_b32 off, v58, s32 offset:276
	; meta instruction
	scratch_store_b32 off, v59, s32 offset:272
	; meta instruction
	scratch_store_b32 off, v60, s32 offset:268
	; meta instruction
	scratch_store_b32 off, v61, s32 offset:264
	; meta instruction
	scratch_store_b32 off, v62, s32 offset:260
	; meta instruction
	scratch_store_b32 off, v63, s32 offset:256
	; meta instruction
	scratch_store_b32 off, v72, s32 offset:252
	; meta instruction
	scratch_store_b32 off, v73, s32 offset:248
	; meta instruction
	scratch_store_b32 off, v74, s32 offset:244
	; meta instruction
	scratch_store_b32 off, v75, s32 offset:240
	; meta instruction
	scratch_store_b32 off, v76, s32 offset:236
	; meta instruction
	scratch_store_b32 off, v77, s32 offset:232
	; meta instruction
	scratch_store_b32 off, v78, s32 offset:228
	; meta instruction
	scratch_store_b32 off, v79, s32 offset:224
	; meta instruction
	scratch_store_b32 off, v88, s32 offset:220
	; meta instruction
	scratch_store_b32 off, v89, s32 offset:216
	; meta instruction
	scratch_store_b32 off, v90, s32 offset:212
	; meta instruction
	scratch_store_b32 off, v91, s32 offset:208
	; meta instruction
	scratch_store_b32 off, v92, s32 offset:204
	; meta instruction
	scratch_store_b32 off, v93, s32 offset:200
	; meta instruction
	scratch_store_b32 off, v94, s32 offset:196
	; meta instruction
	scratch_store_b32 off, v95, s32 offset:192
	s_clause 0x1f
	scratch_store_b32 off, v104, s32 offset:188
	; meta instruction
	scratch_store_b32 off, v105, s32 offset:184
	; meta instruction
	;; [unrolled: 2-line block ×31, first 2 shown]
	scratch_store_b32 off, v159, s32 offset:64
	s_clause 0xf
	scratch_store_b32 off, v168, s32 offset:60
	; meta instruction
	scratch_store_b32 off, v169, s32 offset:56
	; meta instruction
	;; [unrolled: 2-line block ×15, first 2 shown]
	scratch_store_b32 off, v191, s32
	s_mov_b32 s4, s13
	s_ashr_i32 s5, s13, 31
	s_clause 0xa
	scratch_store_b64 off, v[26:27], s32 offset:3080
	scratch_store_b64 off, v[24:25], s32 offset:2008
	scratch_store_b32 off, v22, s32 offset:1676
	scratch_store_b32 off, v15, s32 offset:3072
	;; [unrolled: 1-line block ×9, first 2 shown]
	s_lshl_b64 s[0:1], s[4:5], 2
	s_lshl_b32 s17, s14, 9
	v_add_co_u32 v4, vcc_lo, v16, s0
	v_add_co_ci_u32_e32 v5, vcc_lo, s1, v17, vcc_lo
	s_mov_b32 s5, exec_lo
	flat_load_b32 v2, v[4:5]
	s_waitcnt vmcnt(0) lgkmcnt(0)
	scratch_store_b32 off, v2, s32 offset:1664 ; 4-byte Folded Spill
	v_cmpx_lt_i32_e64 s17, v2
	s_cbranch_execnz .LBB287_1
; %bb.4141:
	s_getpc_b64 s[22:23]
.Lpost_getpc1:
	s_add_u32 s22, s22, (.LBB287_4140-.Lpost_getpc1)&4294967295
	s_addc_u32 s23, s23, (.LBB287_4140-.Lpost_getpc1)>>32
	s_setpc_b64 s[22:23]
.LBB287_1:
	s_clause 0x2
	scratch_store_b32 off, v3, s32 offset:3124
	scratch_store_b32 off, v0, s32 offset:3140
	scratch_store_b32 off, v1, s32 offset:3136
	v_sub_nc_u32_e32 v0, 0, v12
	s_clause 0x1
	s_load_b32 s0, s[8:9], 0x10
	s_load_b32 s1, s[8:9], 0x0
	s_mov_b32 s10, s15
	v_max_i32_e32 v0, v12, v0
	s_delay_alu instid0(VALU_DEP_1) | instskip(SKIP_1) | instid1(VALU_DEP_2)
	v_cvt_f32_u32_e32 v1, v0
	v_sub_nc_u32_e32 v2, 0, v0
	v_rcp_iflag_f32_e32 v1, v1
	s_waitcnt lgkmcnt(0)
	s_lshr_b32 s0, s0, 16
	s_delay_alu instid0(SALU_CYCLE_1) | instskip(SKIP_3) | instid1(SALU_CYCLE_1)
	s_cmp_lg_u32 s0, 0
	s_waitcnt_depctr 0xfff
	v_mul_f32_e32 v1, 0x4f7ffffe, v1
	s_cselect_b32 s0, -1, 0
	s_cmp_lg_u32 s0, 0
	s_delay_alu instid0(VALU_DEP_1) | instskip(SKIP_3) | instid1(VALU_DEP_1)
	v_cvt_u32_f32_e32 v1, v1
	s_addc_u32 s16, s1, 0
	s_mov_b32 s1, exec_lo
	s_abs_i32 s0, s16
	v_mul_lo_u32 v2, v2, v1
	s_delay_alu instid0(VALU_DEP_1) | instskip(NEXT) | instid1(VALU_DEP_1)
	v_mul_hi_u32 v2, v1, v2
	v_add_nc_u32_e32 v1, v1, v2
	s_delay_alu instid0(VALU_DEP_1) | instskip(NEXT) | instid1(VALU_DEP_1)
	v_mul_hi_u32 v1, s0, v1
	v_mul_lo_u32 v2, v1, v0
	v_add_nc_u32_e32 v3, 1, v1
	s_delay_alu instid0(VALU_DEP_2) | instskip(SKIP_1) | instid1(VALU_DEP_1)
	v_sub_nc_u32_e32 v2, s0, v2
	s_abs_i32 s0, s12
	v_sub_nc_u32_e32 v4, v2, v0
	v_cmp_ge_u32_e32 vcc_lo, v2, v0
	s_delay_alu instid0(VALU_DEP_2) | instskip(SKIP_1) | instid1(VALU_DEP_2)
	v_dual_cndmask_b32 v1, v1, v3 :: v_dual_cndmask_b32 v2, v2, v4
	v_xor_b32_e32 v3, s16, v12
	v_add_nc_u32_e32 v4, 1, v1
	s_delay_alu instid0(VALU_DEP_3) | instskip(NEXT) | instid1(VALU_DEP_3)
	v_cmp_ge_u32_e32 vcc_lo, v2, v0
	v_ashrrev_i32_e32 v3, 31, v3
	s_delay_alu instid0(VALU_DEP_3) | instskip(NEXT) | instid1(VALU_DEP_1)
	v_cndmask_b32_e32 v0, v1, v4, vcc_lo
	v_xor_b32_e32 v0, v0, v3
	s_delay_alu instid0(VALU_DEP_1) | instskip(NEXT) | instid1(VALU_DEP_1)
	v_sub_nc_u32_e32 v3, v0, v3
	v_sub_nc_u32_e32 v0, 0, v3
	s_delay_alu instid0(VALU_DEP_1) | instskip(NEXT) | instid1(VALU_DEP_1)
	v_max_i32_e32 v2, v3, v0
	v_cvt_f32_u32_e32 v0, v2
	v_sub_nc_u32_e32 v1, 0, v2
	s_delay_alu instid0(VALU_DEP_2) | instskip(SKIP_2) | instid1(VALU_DEP_1)
	v_rcp_iflag_f32_e32 v0, v0
	s_waitcnt_depctr 0xfff
	v_mul_f32_e32 v0, 0x4f7ffffe, v0
	v_cvt_u32_f32_e32 v0, v0
	s_delay_alu instid0(VALU_DEP_1) | instskip(NEXT) | instid1(VALU_DEP_1)
	v_mul_lo_u32 v1, v1, v0
	v_mul_hi_u32 v1, v0, v1
	s_delay_alu instid0(VALU_DEP_1) | instskip(NEXT) | instid1(VALU_DEP_1)
	v_add_nc_u32_e32 v4, v0, v1
	v_mad_u64_u32 v[0:1], null, s0, v4, 0
	v_mov_b32_e32 v0, 0
	scratch_store_b32 off, v0, s32 offset:2020 ; 4-byte Folded Spill
	v_cmpx_ne_u64_e32 0, v[19:20]
	s_cbranch_execz .LBB287_3
; %bb.2:
	s_ashr_i32 s13, s12, 31
	s_delay_alu instid0(SALU_CYCLE_1) | instskip(NEXT) | instid1(SALU_CYCLE_1)
	s_lshl_b64 s[2:3], s[12:13], 2
	v_add_co_u32 v4, vcc_lo, v19, s2
	v_add_co_ci_u32_e32 v5, vcc_lo, s3, v20, vcc_lo
	flat_load_b32 v0, v[4:5]
	s_waitcnt vmcnt(0) lgkmcnt(0)
	scratch_store_b32 off, v0, s32 offset:2020 ; 4-byte Folded Spill
.LBB287_3:
	s_or_b32 exec_lo, exec_lo, s1
	v_and_b32_e32 v11, 0x3ff, v31
	v_ashrrev_i32_e32 v0, 31, v3
	s_ashr_i32 s1, s12, 31
	s_lshl_b32 s6, s12, 8
	s_mov_b32 s2, exec_lo
	v_cmpx_gt_u32_e32 64, v11
	s_cbranch_execz .LBB287_5
; %bb.4:
	v_mul_lo_u32 v3, s4, v21
	s_ashr_i32 s7, s6, 31
	v_lshlrev_b32_e32 v10, 4, v11
	s_lshl_b64 s[18:19], s[6:7], 2
	s_delay_alu instid0(VALU_DEP_2) | instskip(NEXT) | instid1(VALU_DEP_1)
	v_ashrrev_i32_e32 v4, 31, v3
	v_lshlrev_b64 v[3:4], 2, v[3:4]
	s_delay_alu instid0(VALU_DEP_1) | instskip(NEXT) | instid1(VALU_DEP_2)
	v_add_co_u32 v3, vcc_lo, v6, v3
	v_add_co_ci_u32_e32 v4, vcc_lo, v7, v4, vcc_lo
	s_delay_alu instid0(VALU_DEP_2) | instskip(NEXT) | instid1(VALU_DEP_2)
	v_add_co_u32 v3, vcc_lo, v3, s18
	v_add_co_ci_u32_e32 v4, vcc_lo, s19, v4, vcc_lo
	s_delay_alu instid0(VALU_DEP_2) | instskip(NEXT) | instid1(VALU_DEP_2)
	v_add_co_u32 v3, vcc_lo, v3, v10
	v_add_co_ci_u32_e32 v4, vcc_lo, 0, v4, vcc_lo
	flat_load_b128 v[3:6], v[3:4]
	s_waitcnt vmcnt(0) lgkmcnt(0)
	ds_store_b128 v10, v[3:6]
.LBB287_5:
	s_or_b32 exec_lo, exec_lo, s2
	v_mul_lo_u32 v3, v1, v2
	v_add_nc_u32_e32 v4, 1, v1
	v_xor_b32_e32 v7, s1, v0
	s_lshl_b32 s13, s14, 4
	v_mul_lo_u32 v0, s4, v18
	s_mov_b32 s18, exec_lo
	v_mov_b32_e32 v10, 0xff7fffff
	v_sub_nc_u32_e32 v3, s0, v3
	s_add_i32 s0, s13, 16
	s_delay_alu instid0(VALU_DEP_1)
	v_cmp_ge_u32_e32 vcc_lo, v3, v2
	v_sub_nc_u32_e32 v5, v3, v2
	v_cndmask_b32_e32 v1, v1, v4, vcc_lo
	scratch_load_b32 v4, off, s32 offset:1664 ; 4-byte Folded Reload
	v_cndmask_b32_e32 v3, v3, v5, vcc_lo
	s_clause 0x1
	s_load_b32 s15, s[8:9], 0x14
	s_load_b32 s7, s[8:9], 0x8
	s_delay_alu instid0(VALU_DEP_1) | instskip(SKIP_2) | instid1(VALU_DEP_1)
	v_cmp_ge_u32_e32 vcc_lo, v3, v2
	s_waitcnt vmcnt(0)
	v_add_nc_u32_e32 v4, 31, v4
	v_ashrrev_i32_e32 v6, 31, v4
	s_delay_alu instid0(VALU_DEP_1) | instskip(NEXT) | instid1(VALU_DEP_1)
	v_lshrrev_b32_e32 v2, 27, v6
	v_add_nc_u32_e32 v2, v4, v2
	v_add_nc_u32_e32 v5, 1, v1
	v_lshrrev_b32_e32 v4, 5, v11
	scratch_store_b32 off, v11, s32 offset:3060 ; 4-byte Folded Spill
	v_ashrrev_i32_e32 v6, 5, v2
	v_dual_cndmask_b32 v1, v1, v5 :: v_dual_add_nc_u32 v2, s13, v4
	v_and_b32_e32 v5, 31, v11
	s_delay_alu instid0(VALU_DEP_2) | instskip(NEXT) | instid1(VALU_DEP_1)
	v_xor_b32_e32 v1, v1, v7
	v_sub_nc_u32_e32 v3, v1, v7
	v_ashrrev_i32_e32 v1, 31, v0
	s_delay_alu instid0(VALU_DEP_2) | instskip(NEXT) | instid1(VALU_DEP_2)
	v_mul_lo_u32 v7, v3, v23
	v_lshlrev_b64 v[0:1], 2, v[0:1]
	v_lshlrev_b32_e32 v3, 5, v4
	s_clause 0x3
	scratch_store_b32 off, v4, s32 offset:3068
	scratch_store_b32 off, v3, s32 offset:3112
	scratch_store_b64 off, v[0:1], s32 offset:3116
	scratch_store_b32 off, v6, s32 offset:3144
	v_min_i32_e32 v6, s0, v6
	v_ashrrev_i32_e32 v3, 31, v2
	v_ashrrev_i32_e32 v0, 31, v7
	s_clause 0x2
	scratch_store_b64 off, v[2:3], s32 offset:1668
	scratch_store_b32 off, v6, s32 offset:1680
	scratch_store_b32 off, v7, s32 offset:3128
	v_cmp_ge_i32_e64 s0, v2, v6
	s_clause 0x1
	scratch_store_b32 off, v0, s32 offset:3132
	scratch_store_b32 off, v5, s32 offset:3064
	v_lshlrev_b32_e32 v0, 2, v5
	scratch_store_b32 off, v0, s32 offset:3100 ; 4-byte Folded Spill
	s_waitcnt lgkmcnt(0)
	s_waitcnt_vscnt null, 0x0
	s_barrier
	buffer_gl0_inv
	v_cmpx_lt_i32_e64 v2, v6
	s_cbranch_execz .LBB287_2057
; %bb.6:
	s_clause 0x2
	scratch_load_b32 v3, off, s32 offset:3064
	scratch_load_b32 v1, off, s32 offset:3128
	;; [unrolled: 1-line block ×3, first 2 shown]
	s_ashr_i32 s11, s10, 31
	s_getpc_b64 s[2:3]
	s_add_u32 s2, s2, llvm.amdgcn.dynlds.offset.table@rel32@lo+4
	s_addc_u32 s3, s3, llvm.amdgcn.dynlds.offset.table@rel32@hi+12
	s_lshl_b64 s[8:9], s[10:11], 2
	v_mov_b32_e32 v141, 0
	s_add_u32 s2, s8, s2
	s_addc_u32 s3, s9, s3
	s_mov_b32 s9, 0x7f800001
	s_load_b32 s8, s[2:3], 0x0
	s_mov_b32 s2, 0
	s_brev_b32 s3, 1
	s_mov_b32 s11, s2
	s_waitcnt vmcnt(2)
	v_lshlrev_b32_e32 v0, 4, v3
	s_waitcnt vmcnt(1)
	v_add_co_u32 v1, vcc_lo, v8, v1
	s_waitcnt vmcnt(0)
	v_add_co_ci_u32_e32 v2, vcc_lo, v9, v2, vcc_lo
	ds_load_b128 v[6:9], v141
	v_add_co_u32 v0, vcc_lo, v1, v0
	v_add_co_ci_u32_e32 v1, vcc_lo, 0, v2, vcc_lo
	scratch_load_b32 v2, off, s32 offset:2020 ; 4-byte Folded Reload
	scratch_store_b64 off, v[0:1], s32 offset:2024 ; 8-byte Folded Spill
	s_waitcnt lgkmcnt(0)
	scratch_store_b128 off, v[6:9], s32 offset:2032 ; 16-byte Folded Spill
	ds_load_b128 v[6:9], v141 offset:16
	s_waitcnt lgkmcnt(0)
	scratch_store_b128 off, v[6:9], s32 offset:2048 ; 16-byte Folded Spill
	ds_load_b128 v[4:7], v141 offset:32
	;; [unrolled: 3-line block ×13, first 2 shown]
	s_waitcnt lgkmcnt(0)
	scratch_store_b128 off, v[4:7], s32 offset:2240 ; 16-byte Folded Spill
	scratch_load_b64 v[6:7], off, s32 offset:1668 ; 8-byte Folded Reload
	s_waitcnt vmcnt(1)
	v_cmp_neq_f32_e32 vcc_lo, 0, v2
	s_waitcnt vmcnt(0)
	v_lshlrev_b64 v[0:1], 2, v[6:7]
	ds_load_b128 v[7:10], v141 offset:224
	v_mov_b32_e32 v110, v6
	s_waitcnt lgkmcnt(0)
	scratch_store_b128 off, v[7:10], s32 offset:2256 ; 16-byte Folded Spill
	ds_load_b128 v[7:10], v141 offset:240
	s_waitcnt lgkmcnt(0)
	scratch_store_b128 off, v[7:10], s32 offset:2272 ; 16-byte Folded Spill
	s_clause 0x2
	scratch_load_b64 v[7:8], off, s32 offset:3116
	scratch_load_b32 v2, off, s32 offset:3068
	scratch_load_b32 v4, off, s32 offset:3100
	v_mov_b32_e32 v10, 0xff7fffff
	s_waitcnt vmcnt(2)
	v_add_co_u32 v0, s1, v7, v0
	s_waitcnt vmcnt(0)
	v_lshl_or_b32 v2, v2, 7, v4
	scratch_load_b32 v4, off, s32 offset:3076 ; 4-byte Folded Reload
	v_add_co_ci_u32_e64 v1, s1, v8, v1, s1
	v_add_nc_u32_e32 v76, s8, v2
	s_waitcnt vmcnt(0)
	v_add_co_u32 v4, s1, v4, v0
	scratch_load_b32 v0, off, s32 offset:3072 ; 4-byte Folded Reload
	s_waitcnt vmcnt(0)
	v_add_co_ci_u32_e64 v5, s1, v0, v1, s1
	scratch_load_b32 v0, off, s32 offset:1664 ; 4-byte Folded Reload
	s_waitcnt vmcnt(0)
	v_sub_nc_u32_e32 v0, 1, v0
	scratch_store_b32 off, v0, s32 offset:2288 ; 4-byte Folded Spill
	scratch_load_b32 v0, off, s32 offset:3112 ; 4-byte Folded Reload
	s_waitcnt vmcnt(0)
	v_add3_u32 v111, s17, v0, v3
	ds_load_b128 v[0:3], v141 offset:256
	s_waitcnt lgkmcnt(0)
	scratch_store_b128 off, v[0:3], s32 offset:2292 ; 16-byte Folded Spill
	ds_load_b128 v[0:3], v141 offset:272
	s_waitcnt lgkmcnt(0)
	scratch_store_b128 off, v[0:3], s32 offset:2308 ; 16-byte Folded Spill
	;; [unrolled: 3-line block ×48, first 2 shown]
	s_branch .LBB287_11
.LBB287_7:                              ;   in Loop: Header=BB287_11 Depth=1
	s_or_b32 exec_lo, exec_lo, s21
	v_lshlrev_b32_e32 v4, 24, v144
	s_delay_alu instid0(VALU_DEP_2) | instskip(SKIP_1) | instid1(VALU_DEP_3)
	v_dual_mov_b32 v45, v141 :: v_dual_lshlrev_b32 v144, 20, v45
	v_lshl_add_u32 v26, v26, 23, 0x3c000000
	v_and_b32_e32 v4, 0x80000000, v4
	s_delay_alu instid0(VALU_DEP_1)
	v_or3_b32 v46, v144, v4, v26
.LBB287_8:                              ;   in Loop: Header=BB287_11 Depth=1
	s_or_b32 exec_lo, exec_lo, s8
.LBB287_9:                              ;   in Loop: Header=BB287_11 Depth=1
	s_delay_alu instid0(SALU_CYCLE_1)
	s_or_b32 exec_lo, exec_lo, s20
	s_clause 0x1
	scratch_load_b32 v111, off, s32 offset:1656
	scratch_load_b32 v76, off, s32 offset:1660
	v_mov_b32_e32 v110, v77
.LBB287_10:                             ;   in Loop: Header=BB287_11 Depth=1
	s_or_b32 exec_lo, exec_lo, s19
	v_or_b32_e32 v4, v25, v17
	v_or_b32_e32 v16, v24, v16
	v_or_b32_e32 v1, v139, v1
	v_or_b32_e32 v0, v138, v0
	v_or_b32_e32 v12, v12, v106
	v_mul_f32_e32 v4, v47, v4
	v_or_b32_e32 v8, v8, v102
	v_mul_f32_e32 v1, v47, v1
	v_mul_f32_e32 v0, v47, v0
	v_or_b32_e32 v71, v71, v42
	scratch_store_b32 off, v4, s32 offset:1696 ; 4-byte Folded Spill
	v_mul_f32_e32 v4, v47, v16
	scratch_store_b32 off, v1, s32 offset:1780 ; 4-byte Folded Spill
	v_or_b32_e32 v1, v168, v118
	v_mul_f32_e32 v42, v47, v71
	v_or_b32_e32 v71, v45, v58
	scratch_store_b32 off, v4, s32 offset:1704 ; 4-byte Folded Spill
	v_or_b32_e32 v4, v13, v107
	v_or_b32_e32 v70, v70, v41
	scratch_store_b32 off, v0, s32 offset:1788 ; 4-byte Folded Spill
	v_or_b32_e32 v0, v169, v119
	v_mul_f32_e32 v71, v47, v71
	v_mul_f32_e32 v4, v47, v4
	;; [unrolled: 1-line block ×3, first 2 shown]
	v_or_b32_e32 v70, v46, v59
	v_mul_f32_e32 v0, v47, v0
	v_add_nc_u32_e32 v110, 4, v110
	scratch_store_b32 off, v4, s32 offset:1700 ; 4-byte Folded Spill
	v_mul_f32_e32 v4, v47, v12
	v_or_b32_e32 v12, v82, v86
	scratch_store_b32 off, v0, s32 offset:1792 ; 4-byte Folded Spill
	v_mul_f32_e32 v0, v47, v1
	v_or_b32_e32 v1, v184, v6
	scratch_store_b32 off, v4, s32 offset:1708 ; 4-byte Folded Spill
	v_or_b32_e32 v4, v83, v87
	v_mul_f32_e32 v70, v47, v70
	scratch_store_b32 off, v0, s32 offset:1800 ; 4-byte Folded Spill
	v_or_b32_e32 v0, v185, v7
	v_mul_f32_e32 v4, v47, v4
	s_delay_alu instid0(VALU_DEP_2)
	v_mul_f32_e32 v0, v47, v0
	scratch_store_b32 off, v4, s32 offset:1712 ; 4-byte Folded Spill
	v_mul_f32_e32 v4, v47, v12
	v_or_b32_e32 v12, v20, v98
	scratch_store_b32 off, v0, s32 offset:1796 ; 4-byte Folded Spill
	v_mul_f32_e32 v0, v47, v1
	v_or_b32_e32 v1, v136, v94
	scratch_store_b32 off, v4, s32 offset:1720 ; 4-byte Folded Spill
	v_or_b32_e32 v4, v21, v99
	scratch_store_b32 off, v0, s32 offset:1804 ; 4-byte Folded Spill
	v_or_b32_e32 v0, v137, v95
	v_mul_f32_e32 v4, v47, v4
	s_delay_alu instid0(VALU_DEP_2)
	v_mul_f32_e32 v0, v47, v0
	scratch_store_b32 off, v4, s32 offset:1716 ; 4-byte Folded Spill
	v_mul_f32_e32 v4, v47, v12
	v_or_b32_e32 v12, v182, v56
	scratch_store_b32 off, v0, s32 offset:1808 ; 4-byte Folded Spill
	v_mul_f32_e32 v0, v47, v1
	v_or_b32_e32 v1, v152, v114
	scratch_store_b32 off, v4, s32 offset:1724 ; 4-byte Folded Spill
	v_or_b32_e32 v4, v183, v57
	scratch_store_b32 off, v0, s32 offset:1816 ; 4-byte Folded Spill
	v_or_b32_e32 v0, v153, v115
	v_mul_f32_e32 v4, v47, v4
	s_delay_alu instid0(VALU_DEP_2)
	v_mul_f32_e32 v0, v47, v0
	scratch_store_b32 off, v4, s32 offset:1728 ; 4-byte Folded Spill
	v_mul_f32_e32 v4, v47, v12
	scratch_store_b32 off, v0, s32 offset:1812 ; 4-byte Folded Spill
	v_mul_f32_e32 v0, v47, v1
	v_or_b32_e32 v1, v78, v104
	scratch_store_b32 off, v4, s32 offset:1736 ; 4-byte Folded Spill
	v_or_b32_e32 v4, v9, v103
	scratch_store_b32 off, v0, s32 offset:1820 ; 4-byte Folded Spill
	v_or_b32_e32 v0, v79, v105
	v_mul_f32_e32 v4, v47, v4
	s_delay_alu instid0(VALU_DEP_2)
	v_mul_f32_e32 v0, v47, v0
	scratch_store_b32 off, v4, s32 offset:1732 ; 4-byte Folded Spill
	v_mul_f32_e32 v4, v47, v8
	v_or_b32_e32 v8, v162, v158
	scratch_store_b32 off, v0, s32 offset:1824 ; 4-byte Folded Spill
	v_mul_f32_e32 v0, v47, v1
	v_or_b32_e32 v1, v120, v90
	scratch_store_b32 off, v4, s32 offset:1740 ; 4-byte Folded Spill
	v_or_b32_e32 v4, v163, v159
	scratch_store_b32 off, v0, s32 offset:1832 ; 4-byte Folded Spill
	v_or_b32_e32 v0, v121, v91
	v_mul_f32_e32 v4, v47, v4
	s_delay_alu instid0(VALU_DEP_2)
	v_mul_f32_e32 v0, v47, v0
	scratch_store_b32 off, v4, s32 offset:1744 ; 4-byte Folded Spill
	v_mul_f32_e32 v4, v47, v8
	v_or_b32_e32 v8, v166, v180
	;; [unrolled: 13-line block ×5, first 2 shown]
	scratch_store_b32 off, v0, s32 offset:1856 ; 4-byte Folded Spill
	v_mul_f32_e32 v0, v47, v1
	v_or_b32_e32 v1, v39, v62
	scratch_store_b32 off, v4, s32 offset:1772 ; 4-byte Folded Spill
	v_or_b32_e32 v4, v127, v23
	scratch_store_b32 off, v0, s32 offset:1864 ; 4-byte Folded Spill
	v_or_b32_e32 v0, v40, v63
	v_mul_f32_e32 v4, v47, v4
	s_delay_alu instid0(VALU_DEP_2)
	v_mul_f32_e32 v0, v47, v0
	scratch_store_b32 off, v4, s32 offset:1776 ; 4-byte Folded Spill
	v_mul_f32_e32 v4, v47, v8
	scratch_store_b32 off, v0, s32 offset:1860 ; 4-byte Folded Spill
	v_mul_f32_e32 v0, v47, v1
	v_or_b32_e32 v1, v148, v108
	scratch_store_b32 off, v4, s32 offset:1784 ; 4-byte Folded Spill
	scratch_load_b64 v[4:5], off, s32 offset:1640 ; 8-byte Folded Reload
	scratch_store_b32 off, v0, s32 offset:1868 ; 4-byte Folded Spill
	v_or_b32_e32 v0, v149, v109
	s_delay_alu instid0(VALU_DEP_1)
	v_mul_f32_e32 v0, v47, v0
	scratch_store_b32 off, v0, s32 offset:1872 ; 4-byte Folded Spill
	v_mul_f32_e32 v0, v47, v1
	v_or_b32_e32 v1, v160, v80
	scratch_store_b32 off, v0, s32 offset:1880 ; 4-byte Folded Spill
	v_or_b32_e32 v0, v161, v81
	s_delay_alu instid0(VALU_DEP_1)
	v_mul_f32_e32 v0, v47, v0
	scratch_store_b32 off, v0, s32 offset:1876 ; 4-byte Folded Spill
	v_mul_f32_e32 v0, v47, v1
	v_or_b32_e32 v1, v37, v116
	;; [unrolled: 7-line block ×13, first 2 shown]
	scratch_store_b32 off, v0, s32 offset:1988 ; 4-byte Folded Spill
	v_or_b32_e32 v0, v36, v173
	s_delay_alu instid0(VALU_DEP_1)
	v_mul_f32_e32 v0, v47, v0
	scratch_store_b32 off, v0, s32 offset:1984 ; 4-byte Folded Spill
	v_mul_f32_e32 v0, v47, v1
	scratch_store_b32 off, v0, s32 offset:1992 ; 4-byte Folded Spill
	s_waitcnt vmcnt(0)
	v_or_b32_e32 v0, v3, v5
	v_or_b32_e32 v1, v2, v4
	s_delay_alu instid0(VALU_DEP_2)
	v_mul_f32_e32 v0, v47, v0
	scratch_store_b32 off, v0, s32 offset:1640 ; 4-byte Folded Spill
	v_mul_f32_e32 v0, v47, v1
	scratch_load_b64 v[1:2], off, s32 offset:1648 ; 8-byte Folded Reload
	scratch_store_b32 off, v0, s32 offset:1996 ; 4-byte Folded Spill
	s_waitcnt vmcnt(0)
	v_or_b32_e32 v0, v28, v2
	v_or_b32_e32 v1, v27, v1
	s_delay_alu instid0(VALU_DEP_2)
	v_mul_f32_e32 v0, v47, v0
	scratch_store_b32 off, v0, s32 offset:1648 ; 4-byte Folded Spill
	v_mul_f32_e32 v0, v47, v1
	scratch_load_b64 v[1:2], off, s32 offset:1624 ; 8-byte Folded Reload
	scratch_store_b32 off, v0, s32 offset:2000 ; 4-byte Folded Spill
	s_waitcnt vmcnt(0)
	v_or_b32_e32 v1, v128, v1
	v_or_b32_e32 v0, v129, v2
	s_delay_alu instid0(VALU_DEP_2)
	v_mul_f32_e32 v181, v47, v1
	scratch_load_b64 v[1:2], off, s32 offset:1632 ; 8-byte Folded Reload
	v_mul_f32_e32 v0, v47, v0
	scratch_store_b32 off, v0, s32 offset:1624 ; 4-byte Folded Spill
	s_waitcnt vmcnt(0)
	v_or_b32_e32 v0, v133, v2
	v_or_b32_e32 v1, v132, v1
	s_delay_alu instid0(VALU_DEP_2)
	v_mul_f32_e32 v0, v47, v0
	scratch_store_b32 off, v0, s32 offset:1632 ; 4-byte Folded Spill
	v_mul_f32_e32 v0, v47, v1
	scratch_load_b64 v[1:2], off, s32 offset:1608 ; 8-byte Folded Reload
	scratch_store_b32 off, v0, s32 offset:2004 ; 4-byte Folded Spill
	s_waitcnt vmcnt(0)
	v_or_b32_e32 v1, v190, v1
	v_or_b32_e32 v0, v191, v2
	s_delay_alu instid0(VALU_DEP_2)
	v_mul_f32_e32 v167, v47, v1
	scratch_load_b64 v[1:2], off, s32 offset:1616 ; 8-byte Folded Reload
	v_mul_f32_e32 v176, v47, v0
	s_waitcnt vmcnt(0)
	v_or_b32_e32 v1, v122, v1
	v_or_b32_e32 v0, v123, v2
	s_delay_alu instid0(VALU_DEP_2)
	v_mul_f32_e32 v166, v47, v1
	scratch_load_b64 v[1:2], off, s32 offset:1592 ; 8-byte Folded Reload
	v_mul_f32_e32 v177, v47, v0
	;; [unrolled: 7-line block ×7, first 2 shown]
	s_waitcnt vmcnt(0)
	v_or_b32_e32 v1, v130, v1
	v_or_b32_e32 v0, v131, v2
	s_delay_alu instid0(VALU_DEP_2)
	v_mul_f32_e32 v115, v47, v1
	s_clause 0x1
	scratch_load_b64 v[1:2], off, s32 offset:1536
	scratch_load_b64 v[3:4], off, s32 offset:1544
	v_mul_f32_e32 v118, v47, v0
	s_waitcnt vmcnt(0)
	v_or_b32_e32 v1, v1, v3
	v_or_b32_e32 v0, v2, v4
	s_delay_alu instid0(VALU_DEP_2)
	v_mul_f32_e32 v102, v47, v1
	scratch_load_b64 v[1:2], off, s32 offset:1552 ; 8-byte Folded Reload
	v_mul_f32_e32 v113, v47, v0
	s_waitcnt vmcnt(0)
	v_or_b32_e32 v1, v68, v1
	v_or_b32_e32 v0, v69, v2
	s_delay_alu instid0(VALU_DEP_2)
	v_mul_f32_e32 v103, v47, v1
	s_clause 0x1
	scratch_load_b64 v[1:2], off, s32 offset:1504
	scratch_load_b64 v[3:4], off, s32 offset:1512
	v_mul_f32_e32 v112, v47, v0
	s_waitcnt vmcnt(0)
	v_or_b32_e32 v0, v2, v4
	v_or_b32_e32 v1, v1, v3
	s_delay_alu instid0(VALU_DEP_2)
	v_mul_f32_e32 v0, v47, v0
	scratch_store_b32 off, v0, s32 offset:1504 ; 4-byte Folded Spill
	v_mul_f32_e32 v0, v47, v1
	scratch_store_b32 off, v0, s32 offset:1536 ; 4-byte Folded Spill
	s_clause 0x1
	scratch_load_b64 v[1:2], off, s32 offset:1520
	scratch_load_b64 v[3:4], off, s32 offset:1528
	s_waitcnt vmcnt(0)
	v_or_b32_e32 v0, v2, v4
	v_or_b32_e32 v1, v1, v3
	s_delay_alu instid0(VALU_DEP_2)
	v_mul_f32_e32 v0, v47, v0
	scratch_store_b32 off, v0, s32 offset:1512 ; 4-byte Folded Spill
	v_mul_f32_e32 v0, v47, v1
	scratch_store_b32 off, v0, s32 offset:1520 ; 4-byte Folded Spill
	s_clause 0x1
	scratch_load_b64 v[1:2], off, s32 offset:1472
	scratch_load_b64 v[3:4], off, s32 offset:1480
	s_waitcnt vmcnt(0)
	v_or_b32_e32 v1, v1, v3
	v_or_b32_e32 v0, v2, v4
	s_delay_alu instid0(VALU_DEP_2)
	v_mul_f32_e32 v99, v47, v1
	s_clause 0x1
	scratch_load_b64 v[1:2], off, s32 offset:1488
	scratch_load_b64 v[3:4], off, s32 offset:1496
	v_mul_f32_e32 v40, v47, v0
	s_waitcnt vmcnt(0)
	v_or_b32_e32 v1, v1, v3
	v_or_b32_e32 v0, v2, v4
	s_delay_alu instid0(VALU_DEP_2)
	v_mul_f32_e32 v100, v47, v1
	s_clause 0x1
	scratch_load_b64 v[1:2], off, s32 offset:1440
	scratch_load_b64 v[3:4], off, s32 offset:1448
	v_mul_f32_e32 v101, v47, v0
	;; [unrolled: 9-line block ×54, first 2 shown]
	s_waitcnt vmcnt(0)
	v_or_b32_e32 v0, v2, v4
	v_or_b32_e32 v1, v1, v3
	s_delay_alu instid0(VALU_DEP_2) | instskip(NEXT) | instid1(VALU_DEP_2)
	v_mul_f32_e32 v9, v47, v0
	v_mul_f32_e32 v8, v47, v1
	s_clause 0x1
	scratch_load_b64 v[0:1], off, s32 offset:624
	scratch_load_b64 v[2:3], off, s32 offset:632
	s_waitcnt vmcnt(0)
	v_or_b32_e32 v1, v1, v3
	v_or_b32_e32 v77, v0, v2
	s_delay_alu instid0(VALU_DEP_2)
	v_mul_f32_e32 v10, v47, v1
	s_clause 0x1
	scratch_load_b64 v[0:1], off, s32 offset:576
	scratch_load_b64 v[2:3], off, s32 offset:584
	v_mul_f32_e32 v160, v47, v77
	s_waitcnt vmcnt(0)
	v_or_b32_e32 v0, v0, v2
	v_or_b32_e32 v77, v1, v3
	s_delay_alu instid0(VALU_DEP_2)
	v_mul_f32_e32 v145, v47, v0
	s_clause 0x1
	scratch_load_b64 v[0:1], off, s32 offset:592
	scratch_load_b64 v[2:3], off, s32 offset:600
	v_mul_f32_e32 v144, v47, v77
	s_waitcnt vmcnt(0)
	v_or_b32_e32 v77, v1, v3
	v_or_b32_e32 v178, v0, v2
	s_clause 0x1
	scratch_load_b64 v[0:1], off, s32 offset:544
	scratch_load_b64 v[2:3], off, s32 offset:552
	v_mul_f32_e32 v179, v47, v77
	v_mul_f32_e32 v178, v47, v178
	s_waitcnt vmcnt(0)
	v_or_b32_e32 v77, v1, v3
	v_or_b32_e32 v52, v0, v2
	s_clause 0x1
	scratch_load_b64 v[0:1], off, s32 offset:560
	scratch_load_b64 v[2:3], off, s32 offset:568
	v_mul_f32_e32 v53, v47, v77
	;; [unrolled: 8-line block ×15, first 2 shown]
	v_mul_f32_e32 v108, v47, v108
	s_waitcnt vmcnt(0)
	v_or_b32_e32 v77, v1, v3
	v_or_b32_e32 v54, v0, v2
	s_clause 0x3
	scratch_load_b64 v[0:1], off, s32 offset:336
	scratch_load_b64 v[2:3], off, s32 offset:344
	scratch_load_b32 v180, off, s32 offset:2020
	scratch_load_b128 v[4:7], off, s32 offset:2048
	v_mul_f32_e32 v55, v47, v77
	v_mul_f32_e32 v54, v47, v54
	s_waitcnt vmcnt(2)
	v_or_b32_e32 v80, v0, v2
	scratch_load_b32 v0, off, s32 offset:2288 ; 4-byte Folded Reload
	v_or_b32_e32 v77, v1, v3
	s_waitcnt vmcnt(1)
	v_mul_f32_e32 v46, v5, v133
	v_mul_f32_e32 v58, v7, v109
	;; [unrolled: 1-line block ×5, first 2 shown]
	s_waitcnt vmcnt(0)
	v_add_nc_u32_e32 v77, v0, v111
	s_clause 0x1
	scratch_load_b128 v[0:3], off, s32 offset:2032
	scratch_load_b32 v45, off, s32 offset:1664
	v_cvt_f32_i32_e32 v77, v77
	s_delay_alu instid0(VALU_DEP_1) | instskip(SKIP_1) | instid1(VALU_DEP_1)
	v_mul_f32_e32 v77, v180, v77
	s_waitcnt vmcnt(1)
	v_dual_cndmask_b32 v77, 0, v77 :: v_dual_fmac_f32 v46, v1, v55
	s_waitcnt vmcnt(0)
	v_cmp_lt_i32_e64 s1, v111, v45
	v_mul_f32_e32 v45, v4, v132
	v_dual_fmac_f32 v47, v2, v80 :: v_dual_fmac_f32 v58, v3, v81
	v_add_nc_u32_e32 v111, 0x80, v111
	s_delay_alu instid0(VALU_DEP_3)
	v_fmac_f32_e32 v45, v0, v54
	scratch_load_b128 v[0:3], off, s32 offset:2064 ; 16-byte Folded Reload
	s_waitcnt vmcnt(0)
	v_dual_fmac_f32 v45, v0, v92 :: v_dual_fmac_f32 v46, v1, v93
	v_dual_fmac_f32 v47, v2, v48 :: v_dual_fmac_f32 v58, v3, v49
	scratch_load_b128 v[0:3], off, s32 offset:2080 ; 16-byte Folded Reload
	s_waitcnt vmcnt(0)
	v_dual_fmac_f32 v45, v0, v116 :: v_dual_fmac_f32 v46, v1, v117
	v_dual_fmac_f32 v47, v2, v128 :: v_dual_fmac_f32 v58, v3, v129
	;; [unrolled: 4-line block ×15, first 2 shown]
	scratch_load_b128 v[0:3], off, s32 offset:2308 ; 16-byte Folded Reload
	s_waitcnt vmcnt(0)
	v_fmac_f32_e32 v45, v0, v39
	v_dual_fmac_f32 v46, v1, v183 :: v_dual_fmac_f32 v47, v2, v50
	v_fmac_f32_e32 v58, v3, v161
	scratch_load_b128 v[0:3], off, s32 offset:2324 ; 16-byte Folded Reload
	s_waitcnt vmcnt(0)
	v_fmac_f32_e32 v45, v0, v182
	v_fmac_f32_e32 v46, v1, v190
	v_dual_fmac_f32 v47, v2, v82 :: v_dual_fmac_f32 v58, v3, v191
	scratch_load_b128 v[0:3], off, s32 offset:2340 ; 16-byte Folded Reload
	s_waitcnt vmcnt(0)
	v_dual_fmac_f32 v45, v0, v188 :: v_dual_fmac_f32 v46, v1, v186
	v_dual_fmac_f32 v47, v2, v189 :: v_dual_fmac_f32 v58, v3, v187
	scratch_load_b128 v[0:3], off, s32 offset:2356 ; 16-byte Folded Reload
	s_waitcnt vmcnt(0)
	v_dual_fmac_f32 v45, v0, v184 :: v_dual_fmac_f32 v46, v1, v174
	;; [unrolled: 4-line block ×7, first 2 shown]
	v_fmac_f32_e32 v47, v2, v51
	v_fmac_f32_e32 v58, v3, v139
	scratch_load_b128 v[0:3], off, s32 offset:2452 ; 16-byte Folded Reload
	s_waitcnt vmcnt(0)
	v_dual_fmac_f32 v45, v0, v136 :: v_dual_fmac_f32 v46, v1, v126
	v_dual_fmac_f32 v47, v2, v137 :: v_dual_fmac_f32 v58, v3, v127
	scratch_load_b128 v[0:3], off, s32 offset:2468 ; 16-byte Folded Reload
	s_waitcnt vmcnt(0)
	v_dual_fmac_f32 v45, v0, v124 :: v_dual_fmac_f32 v46, v1, v122
	v_dual_fmac_f32 v47, v2, v125 :: v_dual_fmac_f32 v58, v3, v123
	scratch_load_b128 v[0:3], off, s32 offset:2484 ; 16-byte Folded Reload
	s_waitcnt vmcnt(0)
	v_fmac_f32_e32 v45, v0, v120
	v_dual_fmac_f32 v46, v1, v84 :: v_dual_fmac_f32 v47, v2, v121
	v_fmac_f32_e32 v58, v3, v83
	scratch_load_b128 v[0:3], off, s32 offset:2500 ; 16-byte Folded Reload
	s_waitcnt vmcnt(0)
	v_dual_fmac_f32 v45, v0, v85 :: v_dual_fmac_f32 v46, v1, v106
	v_dual_fmac_f32 v47, v2, v86 :: v_dual_fmac_f32 v58, v3, v107
	scratch_load_b128 v[0:3], off, s32 offset:2516 ; 16-byte Folded Reload
	s_waitcnt vmcnt(0)
	v_dual_fmac_f32 v45, v0, v104 :: v_dual_fmac_f32 v46, v1, v94
	v_dual_fmac_f32 v47, v2, v105 :: v_dual_fmac_f32 v58, v3, v95
	scratch_load_b128 v[0:3], off, s32 offset:2532 ; 16-byte Folded Reload
	s_waitcnt vmcnt(0)
	v_dual_fmac_f32 v45, v0, v96 :: v_dual_fmac_f32 v46, v1, v90
	v_fmac_f32_e32 v47, v2, v87
	v_fmac_f32_e32 v58, v3, v91
	scratch_load_b128 v[0:3], off, s32 offset:2548 ; 16-byte Folded Reload
	s_waitcnt vmcnt(0)
	v_dual_fmac_f32 v45, v0, v88 :: v_dual_fmac_f32 v46, v1, v78
	v_dual_fmac_f32 v47, v2, v89 :: v_dual_fmac_f32 v58, v3, v79
	scratch_load_b128 v[0:3], off, s32 offset:2564 ; 16-byte Folded Reload
	s_waitcnt vmcnt(0)
	v_dual_fmac_f32 v45, v0, v75 :: v_dual_fmac_f32 v46, v1, v73
	v_dual_fmac_f32 v47, v2, v97 :: v_dual_fmac_f32 v58, v3, v74
	;; [unrolled: 4-line block ×3, first 2 shown]
	scratch_load_b128 v[0:3], off, s32 offset:2596 ; 16-byte Folded Reload
	s_waitcnt vmcnt(0)
	v_dual_fmac_f32 v45, v0, v57 :: v_dual_fmac_f32 v46, v1, v98
	v_fmac_f32_e32 v47, v2, v60
	v_fmac_f32_e32 v58, v3, v56
	scratch_load_b128 v[0:3], off, s32 offset:2612 ; 16-byte Folded Reload
	s_waitcnt vmcnt(0)
	v_dual_fmac_f32 v45, v0, v99 :: v_dual_fmac_f32 v46, v1, v40
	v_dual_fmac_f32 v47, v2, v100 :: v_dual_fmac_f32 v58, v3, v101
	s_clause 0x1
	scratch_load_b128 v[0:3], off, s32 offset:2628
	scratch_load_b32 v4, off, s32 offset:1536
	s_waitcnt vmcnt(0)
	v_fmac_f32_e32 v45, v0, v4
	scratch_load_b32 v0, off, s32 offset:1504 ; 4-byte Folded Reload
	s_waitcnt vmcnt(0)
	v_fmac_f32_e32 v46, v1, v0
	scratch_load_b32 v0, off, s32 offset:1520 ; 4-byte Folded Reload
	;; [unrolled: 3-line block ×3, first 2 shown]
	s_waitcnt vmcnt(0)
	v_fmac_f32_e32 v58, v3, v0
	scratch_load_b128 v[0:3], off, s32 offset:2644 ; 16-byte Folded Reload
	s_waitcnt vmcnt(0)
	v_dual_fmac_f32 v45, v0, v102 :: v_dual_fmac_f32 v46, v1, v113
	v_dual_fmac_f32 v47, v2, v103 :: v_dual_fmac_f32 v58, v3, v112
	scratch_load_b128 v[0:3], off, s32 offset:2660 ; 16-byte Folded Reload
	s_waitcnt vmcnt(0)
	v_dual_fmac_f32 v45, v0, v114 :: v_dual_fmac_f32 v46, v1, v119
	v_dual_fmac_f32 v47, v2, v115 :: v_dual_fmac_f32 v58, v3, v118
	;; [unrolled: 4-line block ×5, first 2 shown]
	scratch_load_b128 v[0:3], off, s32 offset:2724 ; 16-byte Folded Reload
	s_waitcnt vmcnt(0)
	v_fmac_f32_e32 v45, v0, v181
	scratch_load_b32 v0, off, s32 offset:1624 ; 4-byte Folded Reload
	s_waitcnt vmcnt(0)
	v_fmac_f32_e32 v46, v1, v0
	scratch_load_b32 v0, off, s32 offset:2004 ; 4-byte Folded Reload
	s_waitcnt vmcnt(0)
	v_fmac_f32_e32 v47, v2, v0
	scratch_load_b32 v0, off, s32 offset:1632 ; 4-byte Folded Reload
	s_waitcnt vmcnt(0)
	v_fmac_f32_e32 v58, v3, v0
	s_clause 0x1
	scratch_load_b128 v[0:3], off, s32 offset:2740
	scratch_load_b32 v4, off, s32 offset:1996
	s_waitcnt vmcnt(0)
	v_fmac_f32_e32 v45, v0, v4
	scratch_load_b32 v0, off, s32 offset:1640 ; 4-byte Folded Reload
	s_waitcnt vmcnt(0)
	v_fmac_f32_e32 v46, v1, v0
	scratch_load_b32 v0, off, s32 offset:2000 ; 4-byte Folded Reload
	s_waitcnt vmcnt(0)
	v_fmac_f32_e32 v47, v2, v0
	scratch_load_b32 v0, off, s32 offset:1648 ; 4-byte Folded Reload
	s_waitcnt vmcnt(0)
	v_fmac_f32_e32 v58, v3, v0
	s_clause 0x1
	scratch_load_b128 v[0:3], off, s32 offset:2756
	scratch_load_b32 v4, off, s32 offset:1988
	s_waitcnt vmcnt(0)
	v_fmac_f32_e32 v45, v0, v4
	scratch_load_b32 v0, off, s32 offset:1980 ; 4-byte Folded Reload
	s_waitcnt vmcnt(0)
	v_fmac_f32_e32 v46, v1, v0
	scratch_load_b32 v0, off, s32 offset:1992 ; 4-byte Folded Reload
	s_waitcnt vmcnt(0)
	v_fmac_f32_e32 v47, v2, v0
	scratch_load_b32 v0, off, s32 offset:1984 ; 4-byte Folded Reload
	s_waitcnt vmcnt(0)
	v_fmac_f32_e32 v58, v3, v0
	s_clause 0x1
	scratch_load_b128 v[0:3], off, s32 offset:2772
	scratch_load_b32 v4, off, s32 offset:1972
	s_waitcnt vmcnt(0)
	v_fmac_f32_e32 v45, v0, v4
	scratch_load_b32 v0, off, s32 offset:1964 ; 4-byte Folded Reload
	s_waitcnt vmcnt(0)
	v_fmac_f32_e32 v46, v1, v0
	scratch_load_b32 v0, off, s32 offset:1976 ; 4-byte Folded Reload
	s_waitcnt vmcnt(0)
	v_fmac_f32_e32 v47, v2, v0
	scratch_load_b32 v0, off, s32 offset:1968 ; 4-byte Folded Reload
	s_waitcnt vmcnt(0)
	v_fmac_f32_e32 v58, v3, v0
	s_clause 0x1
	scratch_load_b128 v[0:3], off, s32 offset:2788
	scratch_load_b32 v4, off, s32 offset:1948
	s_waitcnt vmcnt(0)
	v_fmac_f32_e32 v45, v0, v4
	scratch_load_b32 v0, off, s32 offset:1936 ; 4-byte Folded Reload
	s_waitcnt vmcnt(0)
	v_fmac_f32_e32 v46, v1, v0
	scratch_load_b32 v0, off, s32 offset:1956 ; 4-byte Folded Reload
	s_waitcnt vmcnt(0)
	v_fmac_f32_e32 v47, v2, v0
	scratch_load_b32 v0, off, s32 offset:1944 ; 4-byte Folded Reload
	s_waitcnt vmcnt(0)
	v_fmac_f32_e32 v58, v3, v0
	s_clause 0x1
	scratch_load_b128 v[0:3], off, s32 offset:2804
	scratch_load_b32 v4, off, s32 offset:1928
	s_waitcnt vmcnt(0)
	v_fmac_f32_e32 v45, v0, v4
	scratch_load_b32 v0, off, s32 offset:1920 ; 4-byte Folded Reload
	s_waitcnt vmcnt(0)
	v_fmac_f32_e32 v46, v1, v0
	scratch_load_b32 v0, off, s32 offset:1932 ; 4-byte Folded Reload
	s_waitcnt vmcnt(0)
	v_fmac_f32_e32 v47, v2, v0
	scratch_load_b32 v0, off, s32 offset:1924 ; 4-byte Folded Reload
	s_waitcnt vmcnt(0)
	v_fmac_f32_e32 v58, v3, v0
	s_clause 0x1
	scratch_load_b128 v[0:3], off, s32 offset:2820
	scratch_load_b32 v4, off, s32 offset:1912
	s_waitcnt vmcnt(0)
	v_fmac_f32_e32 v45, v0, v4
	scratch_load_b32 v0, off, s32 offset:1904 ; 4-byte Folded Reload
	s_waitcnt vmcnt(0)
	v_fmac_f32_e32 v46, v1, v0
	scratch_load_b32 v0, off, s32 offset:1916 ; 4-byte Folded Reload
	s_waitcnt vmcnt(0)
	v_fmac_f32_e32 v47, v2, v0
	scratch_load_b32 v0, off, s32 offset:1908 ; 4-byte Folded Reload
	s_waitcnt vmcnt(0)
	v_fmac_f32_e32 v58, v3, v0
	s_clause 0x1
	scratch_load_b128 v[0:3], off, s32 offset:2836
	scratch_load_b32 v4, off, s32 offset:1896
	s_waitcnt vmcnt(0)
	v_fmac_f32_e32 v45, v0, v4
	scratch_load_b32 v0, off, s32 offset:1888 ; 4-byte Folded Reload
	s_waitcnt vmcnt(0)
	v_fmac_f32_e32 v46, v1, v0
	scratch_load_b32 v0, off, s32 offset:1900 ; 4-byte Folded Reload
	s_waitcnt vmcnt(0)
	v_fmac_f32_e32 v47, v2, v0
	scratch_load_b32 v0, off, s32 offset:1892 ; 4-byte Folded Reload
	s_waitcnt vmcnt(0)
	v_fmac_f32_e32 v58, v3, v0
	s_clause 0x1
	scratch_load_b128 v[0:3], off, s32 offset:2852
	scratch_load_b32 v4, off, s32 offset:1880
	s_waitcnt vmcnt(0)
	v_fmac_f32_e32 v45, v0, v4
	scratch_load_b32 v0, off, s32 offset:1872 ; 4-byte Folded Reload
	s_waitcnt vmcnt(0)
	v_fmac_f32_e32 v46, v1, v0
	scratch_load_b32 v0, off, s32 offset:1884 ; 4-byte Folded Reload
	s_waitcnt vmcnt(0)
	v_fmac_f32_e32 v47, v2, v0
	scratch_load_b32 v0, off, s32 offset:1876 ; 4-byte Folded Reload
	s_waitcnt vmcnt(0)
	v_fmac_f32_e32 v58, v3, v0
	s_clause 0x1
	scratch_load_b128 v[0:3], off, s32 offset:2868
	scratch_load_b32 v4, off, s32 offset:1864
	s_waitcnt vmcnt(0)
	v_fmac_f32_e32 v45, v0, v4
	scratch_load_b32 v0, off, s32 offset:1856 ; 4-byte Folded Reload
	s_waitcnt vmcnt(0)
	v_fmac_f32_e32 v46, v1, v0
	scratch_load_b32 v0, off, s32 offset:1868 ; 4-byte Folded Reload
	s_waitcnt vmcnt(0)
	v_fmac_f32_e32 v47, v2, v0
	scratch_load_b32 v0, off, s32 offset:1860 ; 4-byte Folded Reload
	s_waitcnt vmcnt(0)
	v_fmac_f32_e32 v58, v3, v0
	s_clause 0x1
	scratch_load_b128 v[0:3], off, s32 offset:2884
	scratch_load_b32 v4, off, s32 offset:1848
	s_waitcnt vmcnt(0)
	v_fmac_f32_e32 v45, v0, v4
	scratch_load_b32 v0, off, s32 offset:1840 ; 4-byte Folded Reload
	s_waitcnt vmcnt(0)
	v_fmac_f32_e32 v46, v1, v0
	scratch_load_b32 v0, off, s32 offset:1852 ; 4-byte Folded Reload
	s_waitcnt vmcnt(0)
	v_fmac_f32_e32 v47, v2, v0
	scratch_load_b32 v0, off, s32 offset:1844 ; 4-byte Folded Reload
	s_waitcnt vmcnt(0)
	v_fmac_f32_e32 v58, v3, v0
	s_clause 0x1
	scratch_load_b128 v[0:3], off, s32 offset:2900
	scratch_load_b32 v4, off, s32 offset:1832
	s_waitcnt vmcnt(0)
	v_fmac_f32_e32 v45, v0, v4
	scratch_load_b32 v0, off, s32 offset:1824 ; 4-byte Folded Reload
	s_waitcnt vmcnt(0)
	v_fmac_f32_e32 v46, v1, v0
	scratch_load_b32 v0, off, s32 offset:1836 ; 4-byte Folded Reload
	s_waitcnt vmcnt(0)
	v_fmac_f32_e32 v47, v2, v0
	scratch_load_b32 v0, off, s32 offset:1828 ; 4-byte Folded Reload
	s_waitcnt vmcnt(0)
	v_fmac_f32_e32 v58, v3, v0
	s_clause 0x1
	scratch_load_b128 v[0:3], off, s32 offset:2916
	scratch_load_b32 v4, off, s32 offset:1816
	s_waitcnt vmcnt(0)
	v_fmac_f32_e32 v45, v0, v4
	scratch_load_b32 v0, off, s32 offset:1808 ; 4-byte Folded Reload
	s_waitcnt vmcnt(0)
	v_fmac_f32_e32 v46, v1, v0
	scratch_load_b32 v0, off, s32 offset:1820 ; 4-byte Folded Reload
	s_waitcnt vmcnt(0)
	v_fmac_f32_e32 v47, v2, v0
	scratch_load_b32 v0, off, s32 offset:1812 ; 4-byte Folded Reload
	s_waitcnt vmcnt(0)
	v_fmac_f32_e32 v58, v3, v0
	s_clause 0x1
	scratch_load_b128 v[0:3], off, s32 offset:2932
	scratch_load_b32 v4, off, s32 offset:1800
	s_waitcnt vmcnt(0)
	v_fmac_f32_e32 v45, v0, v4
	scratch_load_b32 v0, off, s32 offset:1792 ; 4-byte Folded Reload
	s_waitcnt vmcnt(0)
	v_fmac_f32_e32 v46, v1, v0
	scratch_load_b32 v0, off, s32 offset:1804 ; 4-byte Folded Reload
	s_waitcnt vmcnt(0)
	v_fmac_f32_e32 v47, v2, v0
	scratch_load_b32 v0, off, s32 offset:1796 ; 4-byte Folded Reload
	s_waitcnt vmcnt(0)
	v_fmac_f32_e32 v58, v3, v0
	s_clause 0x1
	scratch_load_b128 v[0:3], off, s32 offset:2948
	scratch_load_b32 v4, off, s32 offset:1784
	s_waitcnt vmcnt(0)
	v_fmac_f32_e32 v45, v0, v4
	scratch_load_b32 v0, off, s32 offset:1776 ; 4-byte Folded Reload
	s_waitcnt vmcnt(0)
	v_fmac_f32_e32 v46, v1, v0
	scratch_load_b32 v0, off, s32 offset:1788 ; 4-byte Folded Reload
	s_waitcnt vmcnt(0)
	v_fmac_f32_e32 v47, v2, v0
	scratch_load_b32 v0, off, s32 offset:1780 ; 4-byte Folded Reload
	s_waitcnt vmcnt(0)
	v_fmac_f32_e32 v58, v3, v0
	s_clause 0x1
	scratch_load_b128 v[0:3], off, s32 offset:2964
	scratch_load_b32 v4, off, s32 offset:1768
	s_waitcnt vmcnt(0)
	v_fmac_f32_e32 v45, v0, v4
	scratch_load_b32 v0, off, s32 offset:1760 ; 4-byte Folded Reload
	s_waitcnt vmcnt(0)
	v_fmac_f32_e32 v46, v1, v0
	scratch_load_b32 v0, off, s32 offset:1772 ; 4-byte Folded Reload
	s_waitcnt vmcnt(0)
	v_fmac_f32_e32 v47, v2, v0
	scratch_load_b32 v0, off, s32 offset:1764 ; 4-byte Folded Reload
	s_waitcnt vmcnt(0)
	v_fmac_f32_e32 v58, v3, v0
	s_clause 0x1
	scratch_load_b128 v[0:3], off, s32 offset:2980
	scratch_load_b32 v4, off, s32 offset:1752
	s_waitcnt vmcnt(0)
	v_fmac_f32_e32 v45, v0, v4
	scratch_load_b32 v0, off, s32 offset:1744 ; 4-byte Folded Reload
	s_waitcnt vmcnt(0)
	v_fmac_f32_e32 v46, v1, v0
	scratch_load_b32 v0, off, s32 offset:1756 ; 4-byte Folded Reload
	s_waitcnt vmcnt(0)
	v_fmac_f32_e32 v47, v2, v0
	scratch_load_b32 v0, off, s32 offset:1748 ; 4-byte Folded Reload
	s_waitcnt vmcnt(0)
	v_fmac_f32_e32 v58, v3, v0
	s_clause 0x1
	scratch_load_b128 v[0:3], off, s32 offset:2996
	scratch_load_b32 v4, off, s32 offset:1736
	s_waitcnt vmcnt(0)
	v_fmac_f32_e32 v45, v0, v4
	scratch_load_b32 v0, off, s32 offset:1728 ; 4-byte Folded Reload
	s_waitcnt vmcnt(0)
	v_fmac_f32_e32 v46, v1, v0
	scratch_load_b32 v0, off, s32 offset:1740 ; 4-byte Folded Reload
	s_waitcnt vmcnt(0)
	v_fmac_f32_e32 v47, v2, v0
	scratch_load_b32 v0, off, s32 offset:1732 ; 4-byte Folded Reload
	s_waitcnt vmcnt(0)
	v_fmac_f32_e32 v58, v3, v0
	s_clause 0x1
	scratch_load_b128 v[0:3], off, s32 offset:3012
	scratch_load_b32 v4, off, s32 offset:1720
	s_waitcnt vmcnt(0)
	v_fmac_f32_e32 v45, v0, v4
	scratch_load_b32 v0, off, s32 offset:1712 ; 4-byte Folded Reload
	s_waitcnt vmcnt(0)
	v_fmac_f32_e32 v46, v1, v0
	scratch_load_b32 v0, off, s32 offset:1724 ; 4-byte Folded Reload
	s_waitcnt vmcnt(0)
	v_fmac_f32_e32 v47, v2, v0
	scratch_load_b32 v0, off, s32 offset:1716 ; 4-byte Folded Reload
	s_waitcnt vmcnt(0)
	v_fmac_f32_e32 v58, v3, v0
	s_clause 0x2
	scratch_load_b128 v[0:3], off, s32 offset:3028
	scratch_load_b32 v4, off, s32 offset:1704
	scratch_load_b32 v10, off, s32 offset:1684
	s_waitcnt vmcnt(1)
	v_fmac_f32_e32 v45, v0, v4
	s_clause 0x1
	scratch_load_b32 v0, off, s32 offset:1696
	scratch_load_b64 v[4:5], off, s32 offset:1688
	s_waitcnt vmcnt(1)
	v_fmac_f32_e32 v46, v1, v0
	scratch_load_b32 v0, off, s32 offset:1708 ; 4-byte Folded Reload
	s_waitcnt vmcnt(0)
	v_fmac_f32_e32 v47, v2, v0
	scratch_load_b32 v0, off, s32 offset:1700 ; 4-byte Folded Reload
	s_waitcnt vmcnt(0)
	v_fmac_f32_e32 v58, v3, v0
	scratch_load_b128 v[0:3], off, s32 offset:3044 ; 16-byte Folded Reload
	s_waitcnt vmcnt(0)
	v_fmac_f32_e32 v46, v1, v42
	scratch_load_b32 v1, off, s32 offset:2016 ; 4-byte Folded Reload
	v_fmac_f32_e32 v45, v0, v41
	v_dual_fmac_f32 v47, v2, v71 :: v_dual_fmac_f32 v58, v3, v70
	s_delay_alu instid0(VALU_DEP_2) | instskip(NEXT) | instid1(VALU_DEP_1)
	v_add_f32_e32 v0, v45, v46
	v_add_f32_e32 v0, v47, v0
	s_delay_alu instid0(VALU_DEP_1) | instskip(SKIP_1) | instid1(VALU_DEP_1)
	v_add_f32_e32 v0, v58, v0
	s_waitcnt vmcnt(0)
	v_fmac_f32_e32 v77, v0, v1
	s_delay_alu instid0(VALU_DEP_1) | instskip(SKIP_3) | instid1(VALU_DEP_2)
	v_cndmask_b32_e64 v0, 0, v77, s1
	ds_store_b32 v76, v0
	v_max_f32_e32 v0, v10, v10
	v_add_nc_u32_e32 v76, 0x200, v76
	v_max_f32_e32 v0, v0, v77
	s_delay_alu instid0(VALU_DEP_1) | instskip(SKIP_2) | instid1(VALU_DEP_1)
	v_cndmask_b32_e64 v10, v10, v0, s1
	scratch_load_b32 v0, off, s32 offset:1680 ; 4-byte Folded Reload
	v_add_co_u32 v4, s1, v4, 16
	v_add_co_ci_u32_e64 v5, s1, 0, v5, s1
	s_waitcnt vmcnt(0)
	v_cmp_ge_i32_e64 s1, v110, v0
	s_delay_alu instid0(VALU_DEP_1) | instskip(NEXT) | instid1(SALU_CYCLE_1)
	s_or_b32 s11, s1, s11
	s_and_not1_b32 exec_lo, exec_lo, s11
	s_cbranch_execz .LBB287_2056
.LBB287_11:                             ; =>This Inner Loop Header: Depth=1
	s_clause 0x3
	scratch_store_b32 off, v76, s32 offset:1660
	scratch_store_b32 off, v111, s32 offset:1656
	;; [unrolled: 1-line block ×3, first 2 shown]
	scratch_store_b64 off, v[4:5], s32 offset:1688
	flat_load_b32 v0, v[4:5]
	s_clause 0x1
	scratch_load_b32 v1, off, s32 offset:1676
	scratch_load_b64 v[2:3], off, s32 offset:2024
	v_mov_b32_e32 v77, v110
	s_mov_b32 s8, exec_lo
	s_waitcnt vmcnt(0) lgkmcnt(0)
	v_mad_i64_i32 v[37:38], null, v0, v1, v[2:3]
	flat_load_b32 v0, v[37:38]
	scratch_load_b64 v[1:2], off, s32 offset:2008 ; 8-byte Folded Reload
	s_waitcnt vmcnt(0)
	flat_load_b32 v47, v[1:2]
	v_mov_b32_e32 v2, 0
	v_mov_b32_e32 v3, 0
	s_waitcnt lgkmcnt(1)
	v_and_b32_e32 v1, 0xff, v0
	s_clause 0x1
	scratch_store_b64 off, v[2:3], s32 offset:320
	scratch_store_b64 off, v[2:3], s32 offset:328
	v_cmpx_ne_u16_e32 0, v1
	s_cbranch_execz .LBB287_19
; %bb.12:                               ;   in Loop: Header=BB287_11 Depth=1
	v_cmp_ne_u16_e64 s1, 0x80, v1
	v_bfrev_b32_e32 v1, 1
	v_mov_b32_e32 v2, 0
	scratch_store_b64 off, v[1:2], s32 offset:328 ; 8-byte Folded Spill
	s_and_saveexec_b32 s19, s1
	s_cbranch_execz .LBB287_18
; %bb.13:                               ;   in Loop: Header=BB287_11 Depth=1
	v_mov_b32_e32 v3, 0x7f800001
	v_and_b32_e32 v2, 0x7f, v0
	v_mov_b32_e32 v4, 0
	s_mov_b32 s20, exec_lo
	scratch_store_b64 off, v[3:4], s32 offset:328 ; 8-byte Folded Spill
	v_cmpx_ne_u32_e32 0x7f, v2
	s_cbranch_execz .LBB287_17
; %bb.14:                               ;   in Loop: Header=BB287_11 Depth=1
	v_and_b32_e32 v140, 7, v0
	v_lshrrev_b32_e32 v1, 3, v2
	s_mov_b32 s21, exec_lo
	v_cmpx_gt_u32_e32 8, v2
; %bb.15:                               ;   in Loop: Header=BB287_11 Depth=1
	s_delay_alu instid0(VALU_DEP_3) | instskip(NEXT) | instid1(VALU_DEP_1)
	v_clz_i32_u32_e32 v1, v140
	v_min_u32_e32 v1, 32, v1
	s_delay_alu instid0(VALU_DEP_1) | instskip(SKIP_1) | instid1(VALU_DEP_2)
	v_subrev_nc_u32_e32 v2, 28, v1
	v_sub_nc_u32_e32 v1, 29, v1
	v_lshlrev_b64 v[2:3], v2, v[140:141]
	s_delay_alu instid0(VALU_DEP_1)
	v_and_b32_e32 v140, 7, v2
; %bb.16:                               ;   in Loop: Header=BB287_11 Depth=1
	s_or_b32 exec_lo, exec_lo, s21
	v_lshlrev_b32_e32 v2, 24, v0
	s_delay_alu instid0(VALU_DEP_2) | instskip(SKIP_1) | instid1(VALU_DEP_3)
	v_lshlrev_b32_e32 v3, 20, v140
	v_lshl_add_u32 v1, v1, 23, 0x3c000000
	v_and_b32_e32 v2, 0x80000000, v2
	s_delay_alu instid0(VALU_DEP_1)
	v_or3_b32 v140, v3, v2, v1
	scratch_store_b64 off, v[140:141], s32 offset:328 ; 8-byte Folded Spill
.LBB287_17:                             ;   in Loop: Header=BB287_11 Depth=1
	s_or_b32 exec_lo, exec_lo, s20
.LBB287_18:                             ;   in Loop: Header=BB287_11 Depth=1
	s_delay_alu instid0(SALU_CYCLE_1)
	s_or_b32 exec_lo, exec_lo, s19
.LBB287_19:                             ;   in Loop: Header=BB287_11 Depth=1
	s_delay_alu instid0(SALU_CYCLE_1) | instskip(SKIP_2) | instid1(VALU_DEP_1)
	s_or_b32 exec_lo, exec_lo, s8
	v_lshrrev_b16 v1, 8, v0
	s_mov_b32 s19, exec_lo
	v_cmpx_ne_u16_e32 0, v1
	s_cbranch_execz .LBB287_27
; %bb.20:                               ;   in Loop: Header=BB287_11 Depth=1
	v_dual_mov_b32 v2, s2 :: v_dual_mov_b32 v3, s3
	s_mov_b32 s20, exec_lo
	scratch_store_b64 off, v[2:3], s32 offset:320 ; 8-byte Folded Spill
	v_cmpx_ne_u16_e32 0x80, v1
	s_cbranch_execz .LBB287_26
; %bb.21:                               ;   in Loop: Header=BB287_11 Depth=1
	s_mov_b32 s8, s2
	v_and_b32_e32 v1, 0xffff, v1
	v_dual_mov_b32 v3, s8 :: v_dual_mov_b32 v4, s9
	s_mov_b32 s8, exec_lo
	s_delay_alu instid0(VALU_DEP_2)
	v_and_b32_e32 v2, 0x7f, v1
	scratch_store_b64 off, v[3:4], s32 offset:320 ; 8-byte Folded Spill
	v_cmpx_ne_u32_e32 0x7f, v2
	s_cbranch_execz .LBB287_25
; %bb.22:                               ;   in Loop: Header=BB287_11 Depth=1
	v_and_b32_e32 v140, 7, v1
	v_lshrrev_b32_e32 v1, 3, v2
	s_mov_b32 s21, exec_lo
	v_cmpx_gt_u32_e32 8, v2
; %bb.23:                               ;   in Loop: Header=BB287_11 Depth=1
	s_delay_alu instid0(VALU_DEP_3) | instskip(NEXT) | instid1(VALU_DEP_1)
	v_clz_i32_u32_e32 v1, v140
	v_min_u32_e32 v1, 32, v1
	s_delay_alu instid0(VALU_DEP_1) | instskip(SKIP_1) | instid1(VALU_DEP_2)
	v_subrev_nc_u32_e32 v2, 28, v1
	v_sub_nc_u32_e32 v1, 29, v1
	v_lshlrev_b64 v[2:3], v2, v[140:141]
	s_delay_alu instid0(VALU_DEP_1)
	v_and_b32_e32 v140, 7, v2
; %bb.24:                               ;   in Loop: Header=BB287_11 Depth=1
	s_or_b32 exec_lo, exec_lo, s21
	v_lshlrev_b32_e32 v2, 16, v0
	s_delay_alu instid0(VALU_DEP_2) | instskip(SKIP_1) | instid1(VALU_DEP_3)
	v_lshlrev_b32_e32 v3, 20, v140
	v_lshl_add_u32 v1, v1, 23, 0x3c000000
	v_and_b32_e32 v2, 0x80000000, v2
	s_delay_alu instid0(VALU_DEP_1)
	v_or3_b32 v2, v3, v2, v1
	v_mov_b32_e32 v1, v141
	scratch_store_b64 off, v[1:2], s32 offset:320 ; 8-byte Folded Spill
.LBB287_25:                             ;   in Loop: Header=BB287_11 Depth=1
	s_or_b32 exec_lo, exec_lo, s8
.LBB287_26:                             ;   in Loop: Header=BB287_11 Depth=1
	s_delay_alu instid0(SALU_CYCLE_1)
	s_or_b32 exec_lo, exec_lo, s20
.LBB287_27:                             ;   in Loop: Header=BB287_11 Depth=1
	s_delay_alu instid0(SALU_CYCLE_1)
	s_or_b32 exec_lo, exec_lo, s19
	v_lshrrev_b32_e32 v1, 16, v0
	v_mov_b32_e32 v3, 0
	v_mov_b32_e32 v4, 0
	s_mov_b32 s8, exec_lo
	s_clause 0x1
	scratch_store_b64 off, v[3:4], s32 offset:336
	scratch_store_b64 off, v[3:4], s32 offset:344
	v_and_b32_e32 v2, 0xff, v1
	s_delay_alu instid0(VALU_DEP_1)
	v_cmpx_ne_u16_e32 0, v2
	s_cbranch_execz .LBB287_35
; %bb.28:                               ;   in Loop: Header=BB287_11 Depth=1
	v_cmp_ne_u16_e64 s1, 0x80, v2
	v_bfrev_b32_e32 v2, 1
	v_mov_b32_e32 v3, 0
	scratch_store_b64 off, v[2:3], s32 offset:344 ; 8-byte Folded Spill
	s_and_saveexec_b32 s19, s1
	s_cbranch_execz .LBB287_34
; %bb.29:                               ;   in Loop: Header=BB287_11 Depth=1
	v_mov_b32_e32 v4, 0x7f800001
	v_bfe_u32 v3, v0, 16, 7
	v_mov_b32_e32 v5, 0
	s_mov_b32 s20, exec_lo
	scratch_store_b64 off, v[4:5], s32 offset:344 ; 8-byte Folded Spill
	v_cmpx_ne_u32_e32 0x7f, v3
	s_cbranch_execz .LBB287_33
; %bb.30:                               ;   in Loop: Header=BB287_11 Depth=1
	v_and_b32_e32 v140, 7, v1
	v_lshrrev_b32_e32 v2, 3, v3
	s_mov_b32 s21, exec_lo
	v_cmpx_gt_u32_e32 8, v3
; %bb.31:                               ;   in Loop: Header=BB287_11 Depth=1
	s_delay_alu instid0(VALU_DEP_3) | instskip(NEXT) | instid1(VALU_DEP_1)
	v_clz_i32_u32_e32 v2, v140
	v_min_u32_e32 v2, 32, v2
	s_delay_alu instid0(VALU_DEP_1) | instskip(SKIP_1) | instid1(VALU_DEP_2)
	v_subrev_nc_u32_e32 v3, 28, v2
	v_sub_nc_u32_e32 v2, 29, v2
	v_lshlrev_b64 v[3:4], v3, v[140:141]
	s_delay_alu instid0(VALU_DEP_1)
	v_and_b32_e32 v140, 7, v3
; %bb.32:                               ;   in Loop: Header=BB287_11 Depth=1
	s_or_b32 exec_lo, exec_lo, s21
	v_lshlrev_b32_e32 v1, 24, v1
	s_delay_alu instid0(VALU_DEP_2) | instskip(SKIP_1) | instid1(VALU_DEP_3)
	v_lshlrev_b32_e32 v3, 20, v140
	v_lshl_add_u32 v2, v2, 23, 0x3c000000
	v_and_b32_e32 v1, 0x80000000, v1
	s_delay_alu instid0(VALU_DEP_1)
	v_or3_b32 v140, v3, v1, v2
	scratch_store_b64 off, v[140:141], s32 offset:344 ; 8-byte Folded Spill
.LBB287_33:                             ;   in Loop: Header=BB287_11 Depth=1
	s_or_b32 exec_lo, exec_lo, s20
.LBB287_34:                             ;   in Loop: Header=BB287_11 Depth=1
	s_delay_alu instid0(SALU_CYCLE_1)
	s_or_b32 exec_lo, exec_lo, s19
.LBB287_35:                             ;   in Loop: Header=BB287_11 Depth=1
	s_delay_alu instid0(SALU_CYCLE_1) | instskip(NEXT) | instid1(SALU_CYCLE_1)
	s_or_b32 exec_lo, exec_lo, s8
	s_mov_b32 s19, exec_lo
	v_cmpx_lt_u32_e32 0xffffff, v0
	s_cbranch_execz .LBB287_43
; %bb.36:                               ;   in Loop: Header=BB287_11 Depth=1
	v_lshrrev_b32_e32 v1, 24, v0
	v_dual_mov_b32 v2, s2 :: v_dual_mov_b32 v3, s3
	s_mov_b32 s20, exec_lo
	scratch_store_b64 off, v[2:3], s32 offset:336 ; 8-byte Folded Spill
	v_cmpx_ne_u32_e32 0x80, v1
	s_cbranch_execz .LBB287_42
; %bb.37:                               ;   in Loop: Header=BB287_11 Depth=1
	s_mov_b32 s8, s2
	v_bfe_u32 v2, v0, 24, 7
	v_dual_mov_b32 v3, s8 :: v_dual_mov_b32 v4, s9
	s_mov_b32 s8, exec_lo
	scratch_store_b64 off, v[3:4], s32 offset:336 ; 8-byte Folded Spill
	v_cmpx_ne_u32_e32 0x7f, v2
	s_cbranch_execz .LBB287_41
; %bb.38:                               ;   in Loop: Header=BB287_11 Depth=1
	v_and_b32_e32 v140, 7, v1
	v_lshrrev_b32_e32 v0, 3, v2
	s_mov_b32 s21, exec_lo
	v_cmpx_gt_u32_e32 8, v2
; %bb.39:                               ;   in Loop: Header=BB287_11 Depth=1
	s_delay_alu instid0(VALU_DEP_3) | instskip(NEXT) | instid1(VALU_DEP_1)
	v_clz_i32_u32_e32 v0, v140
	v_min_u32_e32 v0, 32, v0
	s_delay_alu instid0(VALU_DEP_1) | instskip(SKIP_1) | instid1(VALU_DEP_2)
	v_subrev_nc_u32_e32 v2, 28, v0
	v_sub_nc_u32_e32 v0, 29, v0
	v_lshlrev_b64 v[2:3], v2, v[140:141]
	s_delay_alu instid0(VALU_DEP_1)
	v_and_b32_e32 v140, 7, v2
; %bb.40:                               ;   in Loop: Header=BB287_11 Depth=1
	s_or_b32 exec_lo, exec_lo, s21
	v_lshlrev_b32_e32 v1, 24, v1
	s_delay_alu instid0(VALU_DEP_2) | instskip(SKIP_1) | instid1(VALU_DEP_3)
	v_lshlrev_b32_e32 v2, 20, v140
	v_lshl_add_u32 v0, v0, 23, 0x3c000000
	v_and_b32_e32 v1, 0x80000000, v1
	s_delay_alu instid0(VALU_DEP_1)
	v_or3_b32 v1, v2, v1, v0
	v_mov_b32_e32 v0, v141
	scratch_store_b64 off, v[0:1], s32 offset:336 ; 8-byte Folded Spill
.LBB287_41:                             ;   in Loop: Header=BB287_11 Depth=1
	s_or_b32 exec_lo, exec_lo, s8
.LBB287_42:                             ;   in Loop: Header=BB287_11 Depth=1
	s_delay_alu instid0(SALU_CYCLE_1)
	s_or_b32 exec_lo, exec_lo, s20
.LBB287_43:                             ;   in Loop: Header=BB287_11 Depth=1
	s_delay_alu instid0(SALU_CYCLE_1)
	s_or_b32 exec_lo, exec_lo, s19
	flat_load_b32 v0, v[37:38] offset:4
	v_mov_b32_e32 v2, 0
	v_mov_b32_e32 v3, 0
	s_mov_b32 s8, exec_lo
	s_clause 0x1
	scratch_store_b64 off, v[2:3], s32 offset:352
	scratch_store_b64 off, v[2:3], s32 offset:360
	s_waitcnt vmcnt(0) lgkmcnt(0)
	v_and_b32_e32 v1, 0xff, v0
	s_delay_alu instid0(VALU_DEP_1)
	v_cmpx_ne_u16_e32 0, v1
	s_cbranch_execz .LBB287_51
; %bb.44:                               ;   in Loop: Header=BB287_11 Depth=1
	v_cmp_ne_u16_e64 s1, 0x80, v1
	v_bfrev_b32_e32 v1, 1
	v_mov_b32_e32 v2, 0
	scratch_store_b64 off, v[1:2], s32 offset:360 ; 8-byte Folded Spill
	s_and_saveexec_b32 s19, s1
	s_cbranch_execz .LBB287_50
; %bb.45:                               ;   in Loop: Header=BB287_11 Depth=1
	v_mov_b32_e32 v3, 0x7f800001
	v_and_b32_e32 v2, 0x7f, v0
	v_mov_b32_e32 v4, 0
	s_mov_b32 s20, exec_lo
	scratch_store_b64 off, v[3:4], s32 offset:360 ; 8-byte Folded Spill
	v_cmpx_ne_u32_e32 0x7f, v2
	s_cbranch_execz .LBB287_49
; %bb.46:                               ;   in Loop: Header=BB287_11 Depth=1
	v_and_b32_e32 v140, 7, v0
	v_lshrrev_b32_e32 v1, 3, v2
	s_mov_b32 s21, exec_lo
	v_cmpx_gt_u32_e32 8, v2
; %bb.47:                               ;   in Loop: Header=BB287_11 Depth=1
	s_delay_alu instid0(VALU_DEP_3) | instskip(NEXT) | instid1(VALU_DEP_1)
	v_clz_i32_u32_e32 v1, v140
	v_min_u32_e32 v1, 32, v1
	s_delay_alu instid0(VALU_DEP_1) | instskip(SKIP_1) | instid1(VALU_DEP_2)
	v_subrev_nc_u32_e32 v2, 28, v1
	v_sub_nc_u32_e32 v1, 29, v1
	v_lshlrev_b64 v[2:3], v2, v[140:141]
	s_delay_alu instid0(VALU_DEP_1)
	v_and_b32_e32 v140, 7, v2
; %bb.48:                               ;   in Loop: Header=BB287_11 Depth=1
	s_or_b32 exec_lo, exec_lo, s21
	v_lshlrev_b32_e32 v2, 24, v0
	s_delay_alu instid0(VALU_DEP_2) | instskip(SKIP_1) | instid1(VALU_DEP_3)
	v_lshlrev_b32_e32 v3, 20, v140
	v_lshl_add_u32 v1, v1, 23, 0x3c000000
	v_and_b32_e32 v2, 0x80000000, v2
	s_delay_alu instid0(VALU_DEP_1)
	v_or3_b32 v140, v3, v2, v1
	scratch_store_b64 off, v[140:141], s32 offset:360 ; 8-byte Folded Spill
.LBB287_49:                             ;   in Loop: Header=BB287_11 Depth=1
	s_or_b32 exec_lo, exec_lo, s20
.LBB287_50:                             ;   in Loop: Header=BB287_11 Depth=1
	s_delay_alu instid0(SALU_CYCLE_1)
	s_or_b32 exec_lo, exec_lo, s19
.LBB287_51:                             ;   in Loop: Header=BB287_11 Depth=1
	s_delay_alu instid0(SALU_CYCLE_1) | instskip(SKIP_2) | instid1(VALU_DEP_1)
	s_or_b32 exec_lo, exec_lo, s8
	v_lshrrev_b16 v1, 8, v0
	s_mov_b32 s19, exec_lo
	v_cmpx_ne_u16_e32 0, v1
	s_cbranch_execz .LBB287_59
; %bb.52:                               ;   in Loop: Header=BB287_11 Depth=1
	v_dual_mov_b32 v2, s2 :: v_dual_mov_b32 v3, s3
	s_mov_b32 s20, exec_lo
	scratch_store_b64 off, v[2:3], s32 offset:352 ; 8-byte Folded Spill
	v_cmpx_ne_u16_e32 0x80, v1
	s_cbranch_execz .LBB287_58
; %bb.53:                               ;   in Loop: Header=BB287_11 Depth=1
	s_mov_b32 s8, s2
	v_and_b32_e32 v1, 0xffff, v1
	v_dual_mov_b32 v3, s8 :: v_dual_mov_b32 v4, s9
	s_mov_b32 s8, exec_lo
	s_delay_alu instid0(VALU_DEP_2)
	v_and_b32_e32 v2, 0x7f, v1
	scratch_store_b64 off, v[3:4], s32 offset:352 ; 8-byte Folded Spill
	v_cmpx_ne_u32_e32 0x7f, v2
	s_cbranch_execz .LBB287_57
; %bb.54:                               ;   in Loop: Header=BB287_11 Depth=1
	v_and_b32_e32 v140, 7, v1
	v_lshrrev_b32_e32 v1, 3, v2
	s_mov_b32 s21, exec_lo
	v_cmpx_gt_u32_e32 8, v2
; %bb.55:                               ;   in Loop: Header=BB287_11 Depth=1
	s_delay_alu instid0(VALU_DEP_3) | instskip(NEXT) | instid1(VALU_DEP_1)
	v_clz_i32_u32_e32 v1, v140
	v_min_u32_e32 v1, 32, v1
	s_delay_alu instid0(VALU_DEP_1) | instskip(SKIP_1) | instid1(VALU_DEP_2)
	v_subrev_nc_u32_e32 v2, 28, v1
	v_sub_nc_u32_e32 v1, 29, v1
	v_lshlrev_b64 v[2:3], v2, v[140:141]
	s_delay_alu instid0(VALU_DEP_1)
	v_and_b32_e32 v140, 7, v2
; %bb.56:                               ;   in Loop: Header=BB287_11 Depth=1
	s_or_b32 exec_lo, exec_lo, s21
	v_lshlrev_b32_e32 v2, 16, v0
	s_delay_alu instid0(VALU_DEP_2) | instskip(SKIP_1) | instid1(VALU_DEP_3)
	v_lshlrev_b32_e32 v3, 20, v140
	v_lshl_add_u32 v1, v1, 23, 0x3c000000
	v_and_b32_e32 v2, 0x80000000, v2
	s_delay_alu instid0(VALU_DEP_1)
	v_or3_b32 v2, v3, v2, v1
	v_mov_b32_e32 v1, v141
	scratch_store_b64 off, v[1:2], s32 offset:352 ; 8-byte Folded Spill
.LBB287_57:                             ;   in Loop: Header=BB287_11 Depth=1
	s_or_b32 exec_lo, exec_lo, s8
.LBB287_58:                             ;   in Loop: Header=BB287_11 Depth=1
	s_delay_alu instid0(SALU_CYCLE_1)
	s_or_b32 exec_lo, exec_lo, s20
.LBB287_59:                             ;   in Loop: Header=BB287_11 Depth=1
	s_delay_alu instid0(SALU_CYCLE_1)
	s_or_b32 exec_lo, exec_lo, s19
	v_lshrrev_b32_e32 v1, 16, v0
	v_mov_b32_e32 v3, 0
	v_mov_b32_e32 v4, 0
	s_mov_b32 s8, exec_lo
	s_clause 0x1
	scratch_store_b64 off, v[3:4], s32 offset:368
	scratch_store_b64 off, v[3:4], s32 offset:376
	v_and_b32_e32 v2, 0xff, v1
	s_delay_alu instid0(VALU_DEP_1)
	v_cmpx_ne_u16_e32 0, v2
	s_cbranch_execz .LBB287_67
; %bb.60:                               ;   in Loop: Header=BB287_11 Depth=1
	v_cmp_ne_u16_e64 s1, 0x80, v2
	v_bfrev_b32_e32 v2, 1
	v_mov_b32_e32 v3, 0
	scratch_store_b64 off, v[2:3], s32 offset:376 ; 8-byte Folded Spill
	s_and_saveexec_b32 s19, s1
	s_cbranch_execz .LBB287_66
; %bb.61:                               ;   in Loop: Header=BB287_11 Depth=1
	v_mov_b32_e32 v4, 0x7f800001
	v_bfe_u32 v3, v0, 16, 7
	v_mov_b32_e32 v5, 0
	s_mov_b32 s20, exec_lo
	scratch_store_b64 off, v[4:5], s32 offset:376 ; 8-byte Folded Spill
	v_cmpx_ne_u32_e32 0x7f, v3
	s_cbranch_execz .LBB287_65
; %bb.62:                               ;   in Loop: Header=BB287_11 Depth=1
	v_and_b32_e32 v140, 7, v1
	v_lshrrev_b32_e32 v2, 3, v3
	s_mov_b32 s21, exec_lo
	v_cmpx_gt_u32_e32 8, v3
; %bb.63:                               ;   in Loop: Header=BB287_11 Depth=1
	s_delay_alu instid0(VALU_DEP_3) | instskip(NEXT) | instid1(VALU_DEP_1)
	v_clz_i32_u32_e32 v2, v140
	v_min_u32_e32 v2, 32, v2
	s_delay_alu instid0(VALU_DEP_1) | instskip(SKIP_1) | instid1(VALU_DEP_2)
	v_subrev_nc_u32_e32 v3, 28, v2
	v_sub_nc_u32_e32 v2, 29, v2
	v_lshlrev_b64 v[3:4], v3, v[140:141]
	s_delay_alu instid0(VALU_DEP_1)
	v_and_b32_e32 v140, 7, v3
; %bb.64:                               ;   in Loop: Header=BB287_11 Depth=1
	s_or_b32 exec_lo, exec_lo, s21
	v_lshlrev_b32_e32 v1, 24, v1
	s_delay_alu instid0(VALU_DEP_2) | instskip(SKIP_1) | instid1(VALU_DEP_3)
	v_lshlrev_b32_e32 v3, 20, v140
	v_lshl_add_u32 v2, v2, 23, 0x3c000000
	v_and_b32_e32 v1, 0x80000000, v1
	s_delay_alu instid0(VALU_DEP_1)
	v_or3_b32 v140, v3, v1, v2
	scratch_store_b64 off, v[140:141], s32 offset:376 ; 8-byte Folded Spill
.LBB287_65:                             ;   in Loop: Header=BB287_11 Depth=1
	s_or_b32 exec_lo, exec_lo, s20
.LBB287_66:                             ;   in Loop: Header=BB287_11 Depth=1
	s_delay_alu instid0(SALU_CYCLE_1)
	s_or_b32 exec_lo, exec_lo, s19
.LBB287_67:                             ;   in Loop: Header=BB287_11 Depth=1
	s_delay_alu instid0(SALU_CYCLE_1) | instskip(NEXT) | instid1(SALU_CYCLE_1)
	s_or_b32 exec_lo, exec_lo, s8
	s_mov_b32 s19, exec_lo
	v_cmpx_lt_u32_e32 0xffffff, v0
	s_cbranch_execz .LBB287_75
; %bb.68:                               ;   in Loop: Header=BB287_11 Depth=1
	v_lshrrev_b32_e32 v1, 24, v0
	v_dual_mov_b32 v2, s2 :: v_dual_mov_b32 v3, s3
	s_mov_b32 s20, exec_lo
	scratch_store_b64 off, v[2:3], s32 offset:368 ; 8-byte Folded Spill
	v_cmpx_ne_u32_e32 0x80, v1
	s_cbranch_execz .LBB287_74
; %bb.69:                               ;   in Loop: Header=BB287_11 Depth=1
	s_mov_b32 s8, s2
	v_bfe_u32 v2, v0, 24, 7
	v_dual_mov_b32 v3, s8 :: v_dual_mov_b32 v4, s9
	s_mov_b32 s8, exec_lo
	scratch_store_b64 off, v[3:4], s32 offset:368 ; 8-byte Folded Spill
	v_cmpx_ne_u32_e32 0x7f, v2
	s_cbranch_execz .LBB287_73
; %bb.70:                               ;   in Loop: Header=BB287_11 Depth=1
	v_and_b32_e32 v140, 7, v1
	v_lshrrev_b32_e32 v0, 3, v2
	s_mov_b32 s21, exec_lo
	v_cmpx_gt_u32_e32 8, v2
; %bb.71:                               ;   in Loop: Header=BB287_11 Depth=1
	s_delay_alu instid0(VALU_DEP_3) | instskip(NEXT) | instid1(VALU_DEP_1)
	v_clz_i32_u32_e32 v0, v140
	v_min_u32_e32 v0, 32, v0
	s_delay_alu instid0(VALU_DEP_1) | instskip(SKIP_1) | instid1(VALU_DEP_2)
	v_subrev_nc_u32_e32 v2, 28, v0
	v_sub_nc_u32_e32 v0, 29, v0
	v_lshlrev_b64 v[2:3], v2, v[140:141]
	s_delay_alu instid0(VALU_DEP_1)
	v_and_b32_e32 v140, 7, v2
; %bb.72:                               ;   in Loop: Header=BB287_11 Depth=1
	s_or_b32 exec_lo, exec_lo, s21
	v_lshlrev_b32_e32 v1, 24, v1
	s_delay_alu instid0(VALU_DEP_2) | instskip(SKIP_1) | instid1(VALU_DEP_3)
	v_lshlrev_b32_e32 v2, 20, v140
	v_lshl_add_u32 v0, v0, 23, 0x3c000000
	v_and_b32_e32 v1, 0x80000000, v1
	s_delay_alu instid0(VALU_DEP_1)
	v_or3_b32 v1, v2, v1, v0
	v_mov_b32_e32 v0, v141
	scratch_store_b64 off, v[0:1], s32 offset:368 ; 8-byte Folded Spill
.LBB287_73:                             ;   in Loop: Header=BB287_11 Depth=1
	s_or_b32 exec_lo, exec_lo, s8
.LBB287_74:                             ;   in Loop: Header=BB287_11 Depth=1
	s_delay_alu instid0(SALU_CYCLE_1)
	s_or_b32 exec_lo, exec_lo, s20
.LBB287_75:                             ;   in Loop: Header=BB287_11 Depth=1
	s_delay_alu instid0(SALU_CYCLE_1)
	s_or_b32 exec_lo, exec_lo, s19
	flat_load_b32 v0, v[37:38] offset:8
	v_mov_b32_e32 v2, 0
	v_mov_b32_e32 v3, 0
	s_mov_b32 s8, exec_lo
	s_clause 0x1
	scratch_store_b64 off, v[2:3], s32 offset:384
	scratch_store_b64 off, v[2:3], s32 offset:392
	s_waitcnt vmcnt(0) lgkmcnt(0)
	v_and_b32_e32 v1, 0xff, v0
	s_delay_alu instid0(VALU_DEP_1)
	v_cmpx_ne_u16_e32 0, v1
	s_cbranch_execz .LBB287_83
; %bb.76:                               ;   in Loop: Header=BB287_11 Depth=1
	v_cmp_ne_u16_e64 s1, 0x80, v1
	v_bfrev_b32_e32 v1, 1
	v_mov_b32_e32 v2, 0
	scratch_store_b64 off, v[1:2], s32 offset:392 ; 8-byte Folded Spill
	s_and_saveexec_b32 s19, s1
	s_cbranch_execz .LBB287_82
; %bb.77:                               ;   in Loop: Header=BB287_11 Depth=1
	v_mov_b32_e32 v3, 0x7f800001
	v_and_b32_e32 v2, 0x7f, v0
	v_mov_b32_e32 v4, 0
	s_mov_b32 s20, exec_lo
	scratch_store_b64 off, v[3:4], s32 offset:392 ; 8-byte Folded Spill
	v_cmpx_ne_u32_e32 0x7f, v2
	s_cbranch_execz .LBB287_81
; %bb.78:                               ;   in Loop: Header=BB287_11 Depth=1
	v_and_b32_e32 v140, 7, v0
	v_lshrrev_b32_e32 v1, 3, v2
	s_mov_b32 s21, exec_lo
	v_cmpx_gt_u32_e32 8, v2
; %bb.79:                               ;   in Loop: Header=BB287_11 Depth=1
	s_delay_alu instid0(VALU_DEP_3) | instskip(NEXT) | instid1(VALU_DEP_1)
	v_clz_i32_u32_e32 v1, v140
	v_min_u32_e32 v1, 32, v1
	s_delay_alu instid0(VALU_DEP_1) | instskip(SKIP_1) | instid1(VALU_DEP_2)
	v_subrev_nc_u32_e32 v2, 28, v1
	v_sub_nc_u32_e32 v1, 29, v1
	v_lshlrev_b64 v[2:3], v2, v[140:141]
	s_delay_alu instid0(VALU_DEP_1)
	v_and_b32_e32 v140, 7, v2
; %bb.80:                               ;   in Loop: Header=BB287_11 Depth=1
	s_or_b32 exec_lo, exec_lo, s21
	v_lshlrev_b32_e32 v2, 24, v0
	s_delay_alu instid0(VALU_DEP_2) | instskip(SKIP_1) | instid1(VALU_DEP_3)
	v_lshlrev_b32_e32 v3, 20, v140
	v_lshl_add_u32 v1, v1, 23, 0x3c000000
	v_and_b32_e32 v2, 0x80000000, v2
	s_delay_alu instid0(VALU_DEP_1)
	v_or3_b32 v140, v3, v2, v1
	scratch_store_b64 off, v[140:141], s32 offset:392 ; 8-byte Folded Spill
.LBB287_81:                             ;   in Loop: Header=BB287_11 Depth=1
	s_or_b32 exec_lo, exec_lo, s20
.LBB287_82:                             ;   in Loop: Header=BB287_11 Depth=1
	s_delay_alu instid0(SALU_CYCLE_1)
	s_or_b32 exec_lo, exec_lo, s19
.LBB287_83:                             ;   in Loop: Header=BB287_11 Depth=1
	s_delay_alu instid0(SALU_CYCLE_1) | instskip(SKIP_2) | instid1(VALU_DEP_1)
	s_or_b32 exec_lo, exec_lo, s8
	v_lshrrev_b16 v1, 8, v0
	s_mov_b32 s19, exec_lo
	v_cmpx_ne_u16_e32 0, v1
	s_cbranch_execz .LBB287_91
; %bb.84:                               ;   in Loop: Header=BB287_11 Depth=1
	v_dual_mov_b32 v2, s2 :: v_dual_mov_b32 v3, s3
	s_mov_b32 s20, exec_lo
	scratch_store_b64 off, v[2:3], s32 offset:384 ; 8-byte Folded Spill
	v_cmpx_ne_u16_e32 0x80, v1
	s_cbranch_execz .LBB287_90
; %bb.85:                               ;   in Loop: Header=BB287_11 Depth=1
	s_mov_b32 s8, s2
	v_and_b32_e32 v1, 0xffff, v1
	v_dual_mov_b32 v3, s8 :: v_dual_mov_b32 v4, s9
	s_mov_b32 s8, exec_lo
	s_delay_alu instid0(VALU_DEP_2)
	v_and_b32_e32 v2, 0x7f, v1
	scratch_store_b64 off, v[3:4], s32 offset:384 ; 8-byte Folded Spill
	v_cmpx_ne_u32_e32 0x7f, v2
	s_cbranch_execz .LBB287_89
; %bb.86:                               ;   in Loop: Header=BB287_11 Depth=1
	v_and_b32_e32 v140, 7, v1
	v_lshrrev_b32_e32 v1, 3, v2
	s_mov_b32 s21, exec_lo
	v_cmpx_gt_u32_e32 8, v2
; %bb.87:                               ;   in Loop: Header=BB287_11 Depth=1
	s_delay_alu instid0(VALU_DEP_3) | instskip(NEXT) | instid1(VALU_DEP_1)
	v_clz_i32_u32_e32 v1, v140
	v_min_u32_e32 v1, 32, v1
	s_delay_alu instid0(VALU_DEP_1) | instskip(SKIP_1) | instid1(VALU_DEP_2)
	v_subrev_nc_u32_e32 v2, 28, v1
	v_sub_nc_u32_e32 v1, 29, v1
	v_lshlrev_b64 v[2:3], v2, v[140:141]
	s_delay_alu instid0(VALU_DEP_1)
	v_and_b32_e32 v140, 7, v2
; %bb.88:                               ;   in Loop: Header=BB287_11 Depth=1
	s_or_b32 exec_lo, exec_lo, s21
	v_lshlrev_b32_e32 v2, 16, v0
	s_delay_alu instid0(VALU_DEP_2) | instskip(SKIP_1) | instid1(VALU_DEP_3)
	v_lshlrev_b32_e32 v3, 20, v140
	v_lshl_add_u32 v1, v1, 23, 0x3c000000
	v_and_b32_e32 v2, 0x80000000, v2
	s_delay_alu instid0(VALU_DEP_1)
	v_or3_b32 v2, v3, v2, v1
	v_mov_b32_e32 v1, v141
	scratch_store_b64 off, v[1:2], s32 offset:384 ; 8-byte Folded Spill
.LBB287_89:                             ;   in Loop: Header=BB287_11 Depth=1
	s_or_b32 exec_lo, exec_lo, s8
.LBB287_90:                             ;   in Loop: Header=BB287_11 Depth=1
	s_delay_alu instid0(SALU_CYCLE_1)
	s_or_b32 exec_lo, exec_lo, s20
.LBB287_91:                             ;   in Loop: Header=BB287_11 Depth=1
	s_delay_alu instid0(SALU_CYCLE_1)
	s_or_b32 exec_lo, exec_lo, s19
	v_lshrrev_b32_e32 v1, 16, v0
	v_mov_b32_e32 v3, 0
	v_mov_b32_e32 v4, 0
	s_mov_b32 s8, exec_lo
	s_clause 0x1
	scratch_store_b64 off, v[3:4], s32 offset:400
	scratch_store_b64 off, v[3:4], s32 offset:408
	v_and_b32_e32 v2, 0xff, v1
	s_delay_alu instid0(VALU_DEP_1)
	v_cmpx_ne_u16_e32 0, v2
	s_cbranch_execz .LBB287_99
; %bb.92:                               ;   in Loop: Header=BB287_11 Depth=1
	v_cmp_ne_u16_e64 s1, 0x80, v2
	v_bfrev_b32_e32 v2, 1
	v_mov_b32_e32 v3, 0
	scratch_store_b64 off, v[2:3], s32 offset:408 ; 8-byte Folded Spill
	s_and_saveexec_b32 s19, s1
	s_cbranch_execz .LBB287_98
; %bb.93:                               ;   in Loop: Header=BB287_11 Depth=1
	v_mov_b32_e32 v4, 0x7f800001
	v_bfe_u32 v3, v0, 16, 7
	v_mov_b32_e32 v5, 0
	s_mov_b32 s20, exec_lo
	scratch_store_b64 off, v[4:5], s32 offset:408 ; 8-byte Folded Spill
	v_cmpx_ne_u32_e32 0x7f, v3
	s_cbranch_execz .LBB287_97
; %bb.94:                               ;   in Loop: Header=BB287_11 Depth=1
	v_and_b32_e32 v140, 7, v1
	v_lshrrev_b32_e32 v2, 3, v3
	s_mov_b32 s21, exec_lo
	v_cmpx_gt_u32_e32 8, v3
; %bb.95:                               ;   in Loop: Header=BB287_11 Depth=1
	s_delay_alu instid0(VALU_DEP_3) | instskip(NEXT) | instid1(VALU_DEP_1)
	v_clz_i32_u32_e32 v2, v140
	v_min_u32_e32 v2, 32, v2
	s_delay_alu instid0(VALU_DEP_1) | instskip(SKIP_1) | instid1(VALU_DEP_2)
	v_subrev_nc_u32_e32 v3, 28, v2
	v_sub_nc_u32_e32 v2, 29, v2
	v_lshlrev_b64 v[3:4], v3, v[140:141]
	s_delay_alu instid0(VALU_DEP_1)
	v_and_b32_e32 v140, 7, v3
; %bb.96:                               ;   in Loop: Header=BB287_11 Depth=1
	s_or_b32 exec_lo, exec_lo, s21
	v_lshlrev_b32_e32 v1, 24, v1
	s_delay_alu instid0(VALU_DEP_2) | instskip(SKIP_1) | instid1(VALU_DEP_3)
	v_lshlrev_b32_e32 v3, 20, v140
	v_lshl_add_u32 v2, v2, 23, 0x3c000000
	v_and_b32_e32 v1, 0x80000000, v1
	s_delay_alu instid0(VALU_DEP_1)
	v_or3_b32 v140, v3, v1, v2
	scratch_store_b64 off, v[140:141], s32 offset:408 ; 8-byte Folded Spill
.LBB287_97:                             ;   in Loop: Header=BB287_11 Depth=1
	s_or_b32 exec_lo, exec_lo, s20
.LBB287_98:                             ;   in Loop: Header=BB287_11 Depth=1
	s_delay_alu instid0(SALU_CYCLE_1)
	s_or_b32 exec_lo, exec_lo, s19
.LBB287_99:                             ;   in Loop: Header=BB287_11 Depth=1
	s_delay_alu instid0(SALU_CYCLE_1) | instskip(NEXT) | instid1(SALU_CYCLE_1)
	s_or_b32 exec_lo, exec_lo, s8
	s_mov_b32 s19, exec_lo
	v_cmpx_lt_u32_e32 0xffffff, v0
	s_cbranch_execz .LBB287_107
; %bb.100:                              ;   in Loop: Header=BB287_11 Depth=1
	v_lshrrev_b32_e32 v1, 24, v0
	v_dual_mov_b32 v2, s2 :: v_dual_mov_b32 v3, s3
	s_mov_b32 s20, exec_lo
	scratch_store_b64 off, v[2:3], s32 offset:400 ; 8-byte Folded Spill
	v_cmpx_ne_u32_e32 0x80, v1
	s_cbranch_execz .LBB287_106
; %bb.101:                              ;   in Loop: Header=BB287_11 Depth=1
	s_mov_b32 s8, s2
	v_bfe_u32 v2, v0, 24, 7
	v_dual_mov_b32 v3, s8 :: v_dual_mov_b32 v4, s9
	s_mov_b32 s8, exec_lo
	scratch_store_b64 off, v[3:4], s32 offset:400 ; 8-byte Folded Spill
	v_cmpx_ne_u32_e32 0x7f, v2
	s_cbranch_execz .LBB287_105
; %bb.102:                              ;   in Loop: Header=BB287_11 Depth=1
	v_and_b32_e32 v140, 7, v1
	v_lshrrev_b32_e32 v0, 3, v2
	s_mov_b32 s21, exec_lo
	v_cmpx_gt_u32_e32 8, v2
; %bb.103:                              ;   in Loop: Header=BB287_11 Depth=1
	s_delay_alu instid0(VALU_DEP_3) | instskip(NEXT) | instid1(VALU_DEP_1)
	v_clz_i32_u32_e32 v0, v140
	v_min_u32_e32 v0, 32, v0
	s_delay_alu instid0(VALU_DEP_1) | instskip(SKIP_1) | instid1(VALU_DEP_2)
	v_subrev_nc_u32_e32 v2, 28, v0
	v_sub_nc_u32_e32 v0, 29, v0
	v_lshlrev_b64 v[2:3], v2, v[140:141]
	s_delay_alu instid0(VALU_DEP_1)
	v_and_b32_e32 v140, 7, v2
; %bb.104:                              ;   in Loop: Header=BB287_11 Depth=1
	s_or_b32 exec_lo, exec_lo, s21
	v_lshlrev_b32_e32 v1, 24, v1
	s_delay_alu instid0(VALU_DEP_2) | instskip(SKIP_1) | instid1(VALU_DEP_3)
	v_lshlrev_b32_e32 v2, 20, v140
	v_lshl_add_u32 v0, v0, 23, 0x3c000000
	v_and_b32_e32 v1, 0x80000000, v1
	s_delay_alu instid0(VALU_DEP_1)
	v_or3_b32 v1, v2, v1, v0
	v_mov_b32_e32 v0, v141
	scratch_store_b64 off, v[0:1], s32 offset:400 ; 8-byte Folded Spill
.LBB287_105:                            ;   in Loop: Header=BB287_11 Depth=1
	s_or_b32 exec_lo, exec_lo, s8
.LBB287_106:                            ;   in Loop: Header=BB287_11 Depth=1
	s_delay_alu instid0(SALU_CYCLE_1)
	s_or_b32 exec_lo, exec_lo, s20
.LBB287_107:                            ;   in Loop: Header=BB287_11 Depth=1
	s_delay_alu instid0(SALU_CYCLE_1)
	s_or_b32 exec_lo, exec_lo, s19
	flat_load_b32 v0, v[37:38] offset:12
	v_mov_b32_e32 v2, 0
	v_mov_b32_e32 v3, 0
	s_mov_b32 s8, exec_lo
	s_clause 0x1
	scratch_store_b64 off, v[2:3], s32 offset:416
	scratch_store_b64 off, v[2:3], s32 offset:424
	s_waitcnt vmcnt(0) lgkmcnt(0)
	v_and_b32_e32 v1, 0xff, v0
	s_delay_alu instid0(VALU_DEP_1)
	v_cmpx_ne_u16_e32 0, v1
	s_cbranch_execz .LBB287_115
; %bb.108:                              ;   in Loop: Header=BB287_11 Depth=1
	v_cmp_ne_u16_e64 s1, 0x80, v1
	v_bfrev_b32_e32 v1, 1
	v_mov_b32_e32 v2, 0
	scratch_store_b64 off, v[1:2], s32 offset:424 ; 8-byte Folded Spill
	s_and_saveexec_b32 s19, s1
	s_cbranch_execz .LBB287_114
; %bb.109:                              ;   in Loop: Header=BB287_11 Depth=1
	v_mov_b32_e32 v3, 0x7f800001
	v_and_b32_e32 v2, 0x7f, v0
	v_mov_b32_e32 v4, 0
	s_mov_b32 s20, exec_lo
	scratch_store_b64 off, v[3:4], s32 offset:424 ; 8-byte Folded Spill
	v_cmpx_ne_u32_e32 0x7f, v2
	s_cbranch_execz .LBB287_113
; %bb.110:                              ;   in Loop: Header=BB287_11 Depth=1
	v_and_b32_e32 v140, 7, v0
	v_lshrrev_b32_e32 v1, 3, v2
	s_mov_b32 s21, exec_lo
	v_cmpx_gt_u32_e32 8, v2
; %bb.111:                              ;   in Loop: Header=BB287_11 Depth=1
	s_delay_alu instid0(VALU_DEP_3) | instskip(NEXT) | instid1(VALU_DEP_1)
	v_clz_i32_u32_e32 v1, v140
	v_min_u32_e32 v1, 32, v1
	s_delay_alu instid0(VALU_DEP_1) | instskip(SKIP_1) | instid1(VALU_DEP_2)
	v_subrev_nc_u32_e32 v2, 28, v1
	v_sub_nc_u32_e32 v1, 29, v1
	v_lshlrev_b64 v[2:3], v2, v[140:141]
	s_delay_alu instid0(VALU_DEP_1)
	v_and_b32_e32 v140, 7, v2
; %bb.112:                              ;   in Loop: Header=BB287_11 Depth=1
	s_or_b32 exec_lo, exec_lo, s21
	v_lshlrev_b32_e32 v2, 24, v0
	s_delay_alu instid0(VALU_DEP_2) | instskip(SKIP_1) | instid1(VALU_DEP_3)
	v_lshlrev_b32_e32 v3, 20, v140
	v_lshl_add_u32 v1, v1, 23, 0x3c000000
	v_and_b32_e32 v2, 0x80000000, v2
	s_delay_alu instid0(VALU_DEP_1)
	v_or3_b32 v140, v3, v2, v1
	scratch_store_b64 off, v[140:141], s32 offset:424 ; 8-byte Folded Spill
.LBB287_113:                            ;   in Loop: Header=BB287_11 Depth=1
	s_or_b32 exec_lo, exec_lo, s20
.LBB287_114:                            ;   in Loop: Header=BB287_11 Depth=1
	s_delay_alu instid0(SALU_CYCLE_1)
	s_or_b32 exec_lo, exec_lo, s19
.LBB287_115:                            ;   in Loop: Header=BB287_11 Depth=1
	s_delay_alu instid0(SALU_CYCLE_1) | instskip(SKIP_2) | instid1(VALU_DEP_1)
	s_or_b32 exec_lo, exec_lo, s8
	v_lshrrev_b16 v1, 8, v0
	s_mov_b32 s19, exec_lo
	v_cmpx_ne_u16_e32 0, v1
	s_cbranch_execz .LBB287_123
; %bb.116:                              ;   in Loop: Header=BB287_11 Depth=1
	v_dual_mov_b32 v2, s2 :: v_dual_mov_b32 v3, s3
	s_mov_b32 s20, exec_lo
	scratch_store_b64 off, v[2:3], s32 offset:416 ; 8-byte Folded Spill
	v_cmpx_ne_u16_e32 0x80, v1
	s_cbranch_execz .LBB287_122
; %bb.117:                              ;   in Loop: Header=BB287_11 Depth=1
	s_mov_b32 s8, s2
	v_and_b32_e32 v1, 0xffff, v1
	v_dual_mov_b32 v3, s8 :: v_dual_mov_b32 v4, s9
	s_mov_b32 s8, exec_lo
	s_delay_alu instid0(VALU_DEP_2)
	v_and_b32_e32 v2, 0x7f, v1
	scratch_store_b64 off, v[3:4], s32 offset:416 ; 8-byte Folded Spill
	v_cmpx_ne_u32_e32 0x7f, v2
	s_cbranch_execz .LBB287_121
; %bb.118:                              ;   in Loop: Header=BB287_11 Depth=1
	v_and_b32_e32 v140, 7, v1
	v_lshrrev_b32_e32 v1, 3, v2
	s_mov_b32 s21, exec_lo
	v_cmpx_gt_u32_e32 8, v2
; %bb.119:                              ;   in Loop: Header=BB287_11 Depth=1
	s_delay_alu instid0(VALU_DEP_3) | instskip(NEXT) | instid1(VALU_DEP_1)
	v_clz_i32_u32_e32 v1, v140
	v_min_u32_e32 v1, 32, v1
	s_delay_alu instid0(VALU_DEP_1) | instskip(SKIP_1) | instid1(VALU_DEP_2)
	v_subrev_nc_u32_e32 v2, 28, v1
	v_sub_nc_u32_e32 v1, 29, v1
	v_lshlrev_b64 v[2:3], v2, v[140:141]
	s_delay_alu instid0(VALU_DEP_1)
	v_and_b32_e32 v140, 7, v2
; %bb.120:                              ;   in Loop: Header=BB287_11 Depth=1
	s_or_b32 exec_lo, exec_lo, s21
	v_lshlrev_b32_e32 v2, 16, v0
	s_delay_alu instid0(VALU_DEP_2) | instskip(SKIP_1) | instid1(VALU_DEP_3)
	v_lshlrev_b32_e32 v3, 20, v140
	v_lshl_add_u32 v1, v1, 23, 0x3c000000
	v_and_b32_e32 v2, 0x80000000, v2
	s_delay_alu instid0(VALU_DEP_1)
	v_or3_b32 v2, v3, v2, v1
	v_mov_b32_e32 v1, v141
	scratch_store_b64 off, v[1:2], s32 offset:416 ; 8-byte Folded Spill
.LBB287_121:                            ;   in Loop: Header=BB287_11 Depth=1
	s_or_b32 exec_lo, exec_lo, s8
.LBB287_122:                            ;   in Loop: Header=BB287_11 Depth=1
	s_delay_alu instid0(SALU_CYCLE_1)
	s_or_b32 exec_lo, exec_lo, s20
.LBB287_123:                            ;   in Loop: Header=BB287_11 Depth=1
	s_delay_alu instid0(SALU_CYCLE_1)
	s_or_b32 exec_lo, exec_lo, s19
	v_lshrrev_b32_e32 v1, 16, v0
	v_mov_b32_e32 v3, 0
	v_mov_b32_e32 v4, 0
	s_mov_b32 s8, exec_lo
	s_clause 0x1
	scratch_store_b64 off, v[3:4], s32 offset:432
	scratch_store_b64 off, v[3:4], s32 offset:440
	v_and_b32_e32 v2, 0xff, v1
	s_delay_alu instid0(VALU_DEP_1)
	v_cmpx_ne_u16_e32 0, v2
	s_cbranch_execz .LBB287_131
; %bb.124:                              ;   in Loop: Header=BB287_11 Depth=1
	v_cmp_ne_u16_e64 s1, 0x80, v2
	v_bfrev_b32_e32 v2, 1
	v_mov_b32_e32 v3, 0
	scratch_store_b64 off, v[2:3], s32 offset:440 ; 8-byte Folded Spill
	s_and_saveexec_b32 s19, s1
	s_cbranch_execz .LBB287_130
; %bb.125:                              ;   in Loop: Header=BB287_11 Depth=1
	v_mov_b32_e32 v4, 0x7f800001
	v_bfe_u32 v3, v0, 16, 7
	v_mov_b32_e32 v5, 0
	s_mov_b32 s20, exec_lo
	scratch_store_b64 off, v[4:5], s32 offset:440 ; 8-byte Folded Spill
	v_cmpx_ne_u32_e32 0x7f, v3
	s_cbranch_execz .LBB287_129
; %bb.126:                              ;   in Loop: Header=BB287_11 Depth=1
	v_and_b32_e32 v140, 7, v1
	v_lshrrev_b32_e32 v2, 3, v3
	s_mov_b32 s21, exec_lo
	v_cmpx_gt_u32_e32 8, v3
; %bb.127:                              ;   in Loop: Header=BB287_11 Depth=1
	s_delay_alu instid0(VALU_DEP_3) | instskip(NEXT) | instid1(VALU_DEP_1)
	v_clz_i32_u32_e32 v2, v140
	v_min_u32_e32 v2, 32, v2
	s_delay_alu instid0(VALU_DEP_1) | instskip(SKIP_1) | instid1(VALU_DEP_2)
	v_subrev_nc_u32_e32 v3, 28, v2
	v_sub_nc_u32_e32 v2, 29, v2
	v_lshlrev_b64 v[3:4], v3, v[140:141]
	s_delay_alu instid0(VALU_DEP_1)
	v_and_b32_e32 v140, 7, v3
; %bb.128:                              ;   in Loop: Header=BB287_11 Depth=1
	s_or_b32 exec_lo, exec_lo, s21
	v_lshlrev_b32_e32 v1, 24, v1
	s_delay_alu instid0(VALU_DEP_2) | instskip(SKIP_1) | instid1(VALU_DEP_3)
	v_lshlrev_b32_e32 v3, 20, v140
	v_lshl_add_u32 v2, v2, 23, 0x3c000000
	v_and_b32_e32 v1, 0x80000000, v1
	s_delay_alu instid0(VALU_DEP_1)
	v_or3_b32 v140, v3, v1, v2
	scratch_store_b64 off, v[140:141], s32 offset:440 ; 8-byte Folded Spill
.LBB287_129:                            ;   in Loop: Header=BB287_11 Depth=1
	s_or_b32 exec_lo, exec_lo, s20
.LBB287_130:                            ;   in Loop: Header=BB287_11 Depth=1
	s_delay_alu instid0(SALU_CYCLE_1)
	s_or_b32 exec_lo, exec_lo, s19
.LBB287_131:                            ;   in Loop: Header=BB287_11 Depth=1
	s_delay_alu instid0(SALU_CYCLE_1) | instskip(NEXT) | instid1(SALU_CYCLE_1)
	s_or_b32 exec_lo, exec_lo, s8
	s_mov_b32 s19, exec_lo
	v_cmpx_lt_u32_e32 0xffffff, v0
	s_cbranch_execz .LBB287_139
; %bb.132:                              ;   in Loop: Header=BB287_11 Depth=1
	v_lshrrev_b32_e32 v1, 24, v0
	v_dual_mov_b32 v2, s2 :: v_dual_mov_b32 v3, s3
	s_mov_b32 s20, exec_lo
	scratch_store_b64 off, v[2:3], s32 offset:432 ; 8-byte Folded Spill
	v_cmpx_ne_u32_e32 0x80, v1
	s_cbranch_execz .LBB287_138
; %bb.133:                              ;   in Loop: Header=BB287_11 Depth=1
	s_mov_b32 s8, s2
	v_bfe_u32 v2, v0, 24, 7
	v_dual_mov_b32 v3, s8 :: v_dual_mov_b32 v4, s9
	s_mov_b32 s8, exec_lo
	scratch_store_b64 off, v[3:4], s32 offset:432 ; 8-byte Folded Spill
	v_cmpx_ne_u32_e32 0x7f, v2
	s_cbranch_execz .LBB287_137
; %bb.134:                              ;   in Loop: Header=BB287_11 Depth=1
	v_and_b32_e32 v140, 7, v1
	v_lshrrev_b32_e32 v0, 3, v2
	s_mov_b32 s21, exec_lo
	v_cmpx_gt_u32_e32 8, v2
; %bb.135:                              ;   in Loop: Header=BB287_11 Depth=1
	s_delay_alu instid0(VALU_DEP_3) | instskip(NEXT) | instid1(VALU_DEP_1)
	v_clz_i32_u32_e32 v0, v140
	v_min_u32_e32 v0, 32, v0
	s_delay_alu instid0(VALU_DEP_1) | instskip(SKIP_1) | instid1(VALU_DEP_2)
	v_subrev_nc_u32_e32 v2, 28, v0
	v_sub_nc_u32_e32 v0, 29, v0
	v_lshlrev_b64 v[2:3], v2, v[140:141]
	s_delay_alu instid0(VALU_DEP_1)
	v_and_b32_e32 v140, 7, v2
; %bb.136:                              ;   in Loop: Header=BB287_11 Depth=1
	s_or_b32 exec_lo, exec_lo, s21
	v_lshlrev_b32_e32 v1, 24, v1
	s_delay_alu instid0(VALU_DEP_2) | instskip(SKIP_1) | instid1(VALU_DEP_3)
	v_lshlrev_b32_e32 v2, 20, v140
	v_lshl_add_u32 v0, v0, 23, 0x3c000000
	v_and_b32_e32 v1, 0x80000000, v1
	s_delay_alu instid0(VALU_DEP_1)
	v_or3_b32 v1, v2, v1, v0
	v_mov_b32_e32 v0, v141
	scratch_store_b64 off, v[0:1], s32 offset:432 ; 8-byte Folded Spill
.LBB287_137:                            ;   in Loop: Header=BB287_11 Depth=1
	s_or_b32 exec_lo, exec_lo, s8
.LBB287_138:                            ;   in Loop: Header=BB287_11 Depth=1
	s_delay_alu instid0(SALU_CYCLE_1)
	s_or_b32 exec_lo, exec_lo, s20
.LBB287_139:                            ;   in Loop: Header=BB287_11 Depth=1
	s_delay_alu instid0(SALU_CYCLE_1)
	s_or_b32 exec_lo, exec_lo, s19
	flat_load_b32 v0, v[37:38] offset:512
	v_mov_b32_e32 v2, 0
	v_mov_b32_e32 v3, 0
	s_mov_b32 s8, exec_lo
	s_clause 0x1
	scratch_store_b64 off, v[2:3], s32 offset:448
	scratch_store_b64 off, v[2:3], s32 offset:456
	s_waitcnt vmcnt(0) lgkmcnt(0)
	v_and_b32_e32 v1, 0xff, v0
	s_delay_alu instid0(VALU_DEP_1)
	v_cmpx_ne_u16_e32 0, v1
	s_cbranch_execz .LBB287_147
; %bb.140:                              ;   in Loop: Header=BB287_11 Depth=1
	v_cmp_ne_u16_e64 s1, 0x80, v1
	v_bfrev_b32_e32 v1, 1
	v_mov_b32_e32 v2, 0
	scratch_store_b64 off, v[1:2], s32 offset:456 ; 8-byte Folded Spill
	s_and_saveexec_b32 s19, s1
	s_cbranch_execz .LBB287_146
; %bb.141:                              ;   in Loop: Header=BB287_11 Depth=1
	v_mov_b32_e32 v3, 0x7f800001
	v_and_b32_e32 v2, 0x7f, v0
	v_mov_b32_e32 v4, 0
	s_mov_b32 s20, exec_lo
	scratch_store_b64 off, v[3:4], s32 offset:456 ; 8-byte Folded Spill
	v_cmpx_ne_u32_e32 0x7f, v2
	s_cbranch_execz .LBB287_145
; %bb.142:                              ;   in Loop: Header=BB287_11 Depth=1
	v_and_b32_e32 v140, 7, v0
	v_lshrrev_b32_e32 v1, 3, v2
	s_mov_b32 s21, exec_lo
	v_cmpx_gt_u32_e32 8, v2
; %bb.143:                              ;   in Loop: Header=BB287_11 Depth=1
	s_delay_alu instid0(VALU_DEP_3) | instskip(NEXT) | instid1(VALU_DEP_1)
	v_clz_i32_u32_e32 v1, v140
	v_min_u32_e32 v1, 32, v1
	s_delay_alu instid0(VALU_DEP_1) | instskip(SKIP_1) | instid1(VALU_DEP_2)
	v_subrev_nc_u32_e32 v2, 28, v1
	v_sub_nc_u32_e32 v1, 29, v1
	v_lshlrev_b64 v[2:3], v2, v[140:141]
	s_delay_alu instid0(VALU_DEP_1)
	v_and_b32_e32 v140, 7, v2
; %bb.144:                              ;   in Loop: Header=BB287_11 Depth=1
	s_or_b32 exec_lo, exec_lo, s21
	v_lshlrev_b32_e32 v2, 24, v0
	s_delay_alu instid0(VALU_DEP_2) | instskip(SKIP_1) | instid1(VALU_DEP_3)
	v_lshlrev_b32_e32 v3, 20, v140
	v_lshl_add_u32 v1, v1, 23, 0x3c000000
	v_and_b32_e32 v2, 0x80000000, v2
	s_delay_alu instid0(VALU_DEP_1)
	v_or3_b32 v140, v3, v2, v1
	scratch_store_b64 off, v[140:141], s32 offset:456 ; 8-byte Folded Spill
.LBB287_145:                            ;   in Loop: Header=BB287_11 Depth=1
	s_or_b32 exec_lo, exec_lo, s20
.LBB287_146:                            ;   in Loop: Header=BB287_11 Depth=1
	s_delay_alu instid0(SALU_CYCLE_1)
	s_or_b32 exec_lo, exec_lo, s19
.LBB287_147:                            ;   in Loop: Header=BB287_11 Depth=1
	s_delay_alu instid0(SALU_CYCLE_1) | instskip(SKIP_2) | instid1(VALU_DEP_1)
	s_or_b32 exec_lo, exec_lo, s8
	v_lshrrev_b16 v1, 8, v0
	s_mov_b32 s19, exec_lo
	v_cmpx_ne_u16_e32 0, v1
	s_cbranch_execz .LBB287_155
; %bb.148:                              ;   in Loop: Header=BB287_11 Depth=1
	v_dual_mov_b32 v2, s2 :: v_dual_mov_b32 v3, s3
	s_mov_b32 s20, exec_lo
	scratch_store_b64 off, v[2:3], s32 offset:448 ; 8-byte Folded Spill
	v_cmpx_ne_u16_e32 0x80, v1
	s_cbranch_execz .LBB287_154
; %bb.149:                              ;   in Loop: Header=BB287_11 Depth=1
	s_mov_b32 s8, s2
	v_and_b32_e32 v1, 0xffff, v1
	v_dual_mov_b32 v3, s8 :: v_dual_mov_b32 v4, s9
	s_mov_b32 s8, exec_lo
	s_delay_alu instid0(VALU_DEP_2)
	v_and_b32_e32 v2, 0x7f, v1
	scratch_store_b64 off, v[3:4], s32 offset:448 ; 8-byte Folded Spill
	v_cmpx_ne_u32_e32 0x7f, v2
	s_cbranch_execz .LBB287_153
; %bb.150:                              ;   in Loop: Header=BB287_11 Depth=1
	v_and_b32_e32 v140, 7, v1
	v_lshrrev_b32_e32 v1, 3, v2
	s_mov_b32 s21, exec_lo
	v_cmpx_gt_u32_e32 8, v2
; %bb.151:                              ;   in Loop: Header=BB287_11 Depth=1
	s_delay_alu instid0(VALU_DEP_3) | instskip(NEXT) | instid1(VALU_DEP_1)
	v_clz_i32_u32_e32 v1, v140
	v_min_u32_e32 v1, 32, v1
	s_delay_alu instid0(VALU_DEP_1) | instskip(SKIP_1) | instid1(VALU_DEP_2)
	v_subrev_nc_u32_e32 v2, 28, v1
	v_sub_nc_u32_e32 v1, 29, v1
	v_lshlrev_b64 v[2:3], v2, v[140:141]
	s_delay_alu instid0(VALU_DEP_1)
	v_and_b32_e32 v140, 7, v2
; %bb.152:                              ;   in Loop: Header=BB287_11 Depth=1
	s_or_b32 exec_lo, exec_lo, s21
	v_lshlrev_b32_e32 v2, 16, v0
	s_delay_alu instid0(VALU_DEP_2) | instskip(SKIP_1) | instid1(VALU_DEP_3)
	v_lshlrev_b32_e32 v3, 20, v140
	v_lshl_add_u32 v1, v1, 23, 0x3c000000
	v_and_b32_e32 v2, 0x80000000, v2
	s_delay_alu instid0(VALU_DEP_1)
	v_or3_b32 v2, v3, v2, v1
	v_mov_b32_e32 v1, v141
	scratch_store_b64 off, v[1:2], s32 offset:448 ; 8-byte Folded Spill
.LBB287_153:                            ;   in Loop: Header=BB287_11 Depth=1
	s_or_b32 exec_lo, exec_lo, s8
.LBB287_154:                            ;   in Loop: Header=BB287_11 Depth=1
	s_delay_alu instid0(SALU_CYCLE_1)
	s_or_b32 exec_lo, exec_lo, s20
.LBB287_155:                            ;   in Loop: Header=BB287_11 Depth=1
	s_delay_alu instid0(SALU_CYCLE_1)
	s_or_b32 exec_lo, exec_lo, s19
	v_lshrrev_b32_e32 v1, 16, v0
	v_mov_b32_e32 v3, 0
	v_mov_b32_e32 v4, 0
	s_mov_b32 s8, exec_lo
	s_clause 0x1
	scratch_store_b64 off, v[3:4], s32 offset:464
	scratch_store_b64 off, v[3:4], s32 offset:472
	v_and_b32_e32 v2, 0xff, v1
	s_delay_alu instid0(VALU_DEP_1)
	v_cmpx_ne_u16_e32 0, v2
	s_cbranch_execz .LBB287_163
; %bb.156:                              ;   in Loop: Header=BB287_11 Depth=1
	v_cmp_ne_u16_e64 s1, 0x80, v2
	v_bfrev_b32_e32 v2, 1
	v_mov_b32_e32 v3, 0
	scratch_store_b64 off, v[2:3], s32 offset:472 ; 8-byte Folded Spill
	s_and_saveexec_b32 s19, s1
	s_cbranch_execz .LBB287_162
; %bb.157:                              ;   in Loop: Header=BB287_11 Depth=1
	v_mov_b32_e32 v4, 0x7f800001
	v_bfe_u32 v3, v0, 16, 7
	v_mov_b32_e32 v5, 0
	s_mov_b32 s20, exec_lo
	scratch_store_b64 off, v[4:5], s32 offset:472 ; 8-byte Folded Spill
	v_cmpx_ne_u32_e32 0x7f, v3
	s_cbranch_execz .LBB287_161
; %bb.158:                              ;   in Loop: Header=BB287_11 Depth=1
	v_and_b32_e32 v140, 7, v1
	v_lshrrev_b32_e32 v2, 3, v3
	s_mov_b32 s21, exec_lo
	v_cmpx_gt_u32_e32 8, v3
; %bb.159:                              ;   in Loop: Header=BB287_11 Depth=1
	s_delay_alu instid0(VALU_DEP_3) | instskip(NEXT) | instid1(VALU_DEP_1)
	v_clz_i32_u32_e32 v2, v140
	v_min_u32_e32 v2, 32, v2
	s_delay_alu instid0(VALU_DEP_1) | instskip(SKIP_1) | instid1(VALU_DEP_2)
	v_subrev_nc_u32_e32 v3, 28, v2
	v_sub_nc_u32_e32 v2, 29, v2
	v_lshlrev_b64 v[3:4], v3, v[140:141]
	s_delay_alu instid0(VALU_DEP_1)
	v_and_b32_e32 v140, 7, v3
; %bb.160:                              ;   in Loop: Header=BB287_11 Depth=1
	s_or_b32 exec_lo, exec_lo, s21
	v_lshlrev_b32_e32 v1, 24, v1
	s_delay_alu instid0(VALU_DEP_2) | instskip(SKIP_1) | instid1(VALU_DEP_3)
	v_lshlrev_b32_e32 v3, 20, v140
	v_lshl_add_u32 v2, v2, 23, 0x3c000000
	v_and_b32_e32 v1, 0x80000000, v1
	s_delay_alu instid0(VALU_DEP_1)
	v_or3_b32 v140, v3, v1, v2
	scratch_store_b64 off, v[140:141], s32 offset:472 ; 8-byte Folded Spill
.LBB287_161:                            ;   in Loop: Header=BB287_11 Depth=1
	s_or_b32 exec_lo, exec_lo, s20
.LBB287_162:                            ;   in Loop: Header=BB287_11 Depth=1
	s_delay_alu instid0(SALU_CYCLE_1)
	s_or_b32 exec_lo, exec_lo, s19
.LBB287_163:                            ;   in Loop: Header=BB287_11 Depth=1
	s_delay_alu instid0(SALU_CYCLE_1) | instskip(NEXT) | instid1(SALU_CYCLE_1)
	s_or_b32 exec_lo, exec_lo, s8
	s_mov_b32 s19, exec_lo
	v_cmpx_lt_u32_e32 0xffffff, v0
	s_cbranch_execz .LBB287_171
; %bb.164:                              ;   in Loop: Header=BB287_11 Depth=1
	v_lshrrev_b32_e32 v1, 24, v0
	v_dual_mov_b32 v2, s2 :: v_dual_mov_b32 v3, s3
	s_mov_b32 s20, exec_lo
	scratch_store_b64 off, v[2:3], s32 offset:464 ; 8-byte Folded Spill
	v_cmpx_ne_u32_e32 0x80, v1
	s_cbranch_execz .LBB287_170
; %bb.165:                              ;   in Loop: Header=BB287_11 Depth=1
	s_mov_b32 s8, s2
	v_bfe_u32 v2, v0, 24, 7
	v_dual_mov_b32 v3, s8 :: v_dual_mov_b32 v4, s9
	s_mov_b32 s8, exec_lo
	scratch_store_b64 off, v[3:4], s32 offset:464 ; 8-byte Folded Spill
	v_cmpx_ne_u32_e32 0x7f, v2
	s_cbranch_execz .LBB287_169
; %bb.166:                              ;   in Loop: Header=BB287_11 Depth=1
	v_and_b32_e32 v140, 7, v1
	v_lshrrev_b32_e32 v0, 3, v2
	s_mov_b32 s21, exec_lo
	v_cmpx_gt_u32_e32 8, v2
; %bb.167:                              ;   in Loop: Header=BB287_11 Depth=1
	s_delay_alu instid0(VALU_DEP_3) | instskip(NEXT) | instid1(VALU_DEP_1)
	v_clz_i32_u32_e32 v0, v140
	v_min_u32_e32 v0, 32, v0
	s_delay_alu instid0(VALU_DEP_1) | instskip(SKIP_1) | instid1(VALU_DEP_2)
	v_subrev_nc_u32_e32 v2, 28, v0
	v_sub_nc_u32_e32 v0, 29, v0
	v_lshlrev_b64 v[2:3], v2, v[140:141]
	s_delay_alu instid0(VALU_DEP_1)
	v_and_b32_e32 v140, 7, v2
; %bb.168:                              ;   in Loop: Header=BB287_11 Depth=1
	s_or_b32 exec_lo, exec_lo, s21
	v_lshlrev_b32_e32 v1, 24, v1
	s_delay_alu instid0(VALU_DEP_2) | instskip(SKIP_1) | instid1(VALU_DEP_3)
	v_lshlrev_b32_e32 v2, 20, v140
	v_lshl_add_u32 v0, v0, 23, 0x3c000000
	v_and_b32_e32 v1, 0x80000000, v1
	s_delay_alu instid0(VALU_DEP_1)
	v_or3_b32 v1, v2, v1, v0
	v_mov_b32_e32 v0, v141
	scratch_store_b64 off, v[0:1], s32 offset:464 ; 8-byte Folded Spill
.LBB287_169:                            ;   in Loop: Header=BB287_11 Depth=1
	s_or_b32 exec_lo, exec_lo, s8
.LBB287_170:                            ;   in Loop: Header=BB287_11 Depth=1
	s_delay_alu instid0(SALU_CYCLE_1)
	s_or_b32 exec_lo, exec_lo, s20
.LBB287_171:                            ;   in Loop: Header=BB287_11 Depth=1
	s_delay_alu instid0(SALU_CYCLE_1)
	s_or_b32 exec_lo, exec_lo, s19
	flat_load_b32 v0, v[37:38] offset:516
	v_mov_b32_e32 v2, 0
	v_mov_b32_e32 v3, 0
	s_mov_b32 s8, exec_lo
	s_clause 0x1
	scratch_store_b64 off, v[2:3], s32 offset:480
	scratch_store_b64 off, v[2:3], s32 offset:488
	s_waitcnt vmcnt(0) lgkmcnt(0)
	v_and_b32_e32 v1, 0xff, v0
	s_delay_alu instid0(VALU_DEP_1)
	v_cmpx_ne_u16_e32 0, v1
	s_cbranch_execz .LBB287_179
; %bb.172:                              ;   in Loop: Header=BB287_11 Depth=1
	v_cmp_ne_u16_e64 s1, 0x80, v1
	v_bfrev_b32_e32 v1, 1
	v_mov_b32_e32 v2, 0
	scratch_store_b64 off, v[1:2], s32 offset:488 ; 8-byte Folded Spill
	s_and_saveexec_b32 s19, s1
	s_cbranch_execz .LBB287_178
; %bb.173:                              ;   in Loop: Header=BB287_11 Depth=1
	v_mov_b32_e32 v3, 0x7f800001
	v_and_b32_e32 v2, 0x7f, v0
	v_mov_b32_e32 v4, 0
	s_mov_b32 s20, exec_lo
	scratch_store_b64 off, v[3:4], s32 offset:488 ; 8-byte Folded Spill
	v_cmpx_ne_u32_e32 0x7f, v2
	s_cbranch_execz .LBB287_177
; %bb.174:                              ;   in Loop: Header=BB287_11 Depth=1
	v_and_b32_e32 v140, 7, v0
	v_lshrrev_b32_e32 v1, 3, v2
	s_mov_b32 s21, exec_lo
	v_cmpx_gt_u32_e32 8, v2
; %bb.175:                              ;   in Loop: Header=BB287_11 Depth=1
	s_delay_alu instid0(VALU_DEP_3) | instskip(NEXT) | instid1(VALU_DEP_1)
	v_clz_i32_u32_e32 v1, v140
	v_min_u32_e32 v1, 32, v1
	s_delay_alu instid0(VALU_DEP_1) | instskip(SKIP_1) | instid1(VALU_DEP_2)
	v_subrev_nc_u32_e32 v2, 28, v1
	v_sub_nc_u32_e32 v1, 29, v1
	v_lshlrev_b64 v[2:3], v2, v[140:141]
	s_delay_alu instid0(VALU_DEP_1)
	v_and_b32_e32 v140, 7, v2
; %bb.176:                              ;   in Loop: Header=BB287_11 Depth=1
	s_or_b32 exec_lo, exec_lo, s21
	v_lshlrev_b32_e32 v2, 24, v0
	s_delay_alu instid0(VALU_DEP_2) | instskip(SKIP_1) | instid1(VALU_DEP_3)
	v_lshlrev_b32_e32 v3, 20, v140
	v_lshl_add_u32 v1, v1, 23, 0x3c000000
	v_and_b32_e32 v2, 0x80000000, v2
	s_delay_alu instid0(VALU_DEP_1)
	v_or3_b32 v140, v3, v2, v1
	scratch_store_b64 off, v[140:141], s32 offset:488 ; 8-byte Folded Spill
.LBB287_177:                            ;   in Loop: Header=BB287_11 Depth=1
	s_or_b32 exec_lo, exec_lo, s20
.LBB287_178:                            ;   in Loop: Header=BB287_11 Depth=1
	s_delay_alu instid0(SALU_CYCLE_1)
	s_or_b32 exec_lo, exec_lo, s19
.LBB287_179:                            ;   in Loop: Header=BB287_11 Depth=1
	s_delay_alu instid0(SALU_CYCLE_1) | instskip(SKIP_2) | instid1(VALU_DEP_1)
	s_or_b32 exec_lo, exec_lo, s8
	v_lshrrev_b16 v1, 8, v0
	s_mov_b32 s19, exec_lo
	v_cmpx_ne_u16_e32 0, v1
	s_cbranch_execz .LBB287_187
; %bb.180:                              ;   in Loop: Header=BB287_11 Depth=1
	v_dual_mov_b32 v2, s2 :: v_dual_mov_b32 v3, s3
	s_mov_b32 s20, exec_lo
	scratch_store_b64 off, v[2:3], s32 offset:480 ; 8-byte Folded Spill
	v_cmpx_ne_u16_e32 0x80, v1
	s_cbranch_execz .LBB287_186
; %bb.181:                              ;   in Loop: Header=BB287_11 Depth=1
	s_mov_b32 s8, s2
	v_and_b32_e32 v1, 0xffff, v1
	v_dual_mov_b32 v3, s8 :: v_dual_mov_b32 v4, s9
	s_mov_b32 s8, exec_lo
	s_delay_alu instid0(VALU_DEP_2)
	v_and_b32_e32 v2, 0x7f, v1
	scratch_store_b64 off, v[3:4], s32 offset:480 ; 8-byte Folded Spill
	v_cmpx_ne_u32_e32 0x7f, v2
	s_cbranch_execz .LBB287_185
; %bb.182:                              ;   in Loop: Header=BB287_11 Depth=1
	v_and_b32_e32 v140, 7, v1
	v_lshrrev_b32_e32 v1, 3, v2
	s_mov_b32 s21, exec_lo
	v_cmpx_gt_u32_e32 8, v2
; %bb.183:                              ;   in Loop: Header=BB287_11 Depth=1
	s_delay_alu instid0(VALU_DEP_3) | instskip(NEXT) | instid1(VALU_DEP_1)
	v_clz_i32_u32_e32 v1, v140
	v_min_u32_e32 v1, 32, v1
	s_delay_alu instid0(VALU_DEP_1) | instskip(SKIP_1) | instid1(VALU_DEP_2)
	v_subrev_nc_u32_e32 v2, 28, v1
	v_sub_nc_u32_e32 v1, 29, v1
	v_lshlrev_b64 v[2:3], v2, v[140:141]
	s_delay_alu instid0(VALU_DEP_1)
	v_and_b32_e32 v140, 7, v2
; %bb.184:                              ;   in Loop: Header=BB287_11 Depth=1
	s_or_b32 exec_lo, exec_lo, s21
	v_lshlrev_b32_e32 v2, 16, v0
	s_delay_alu instid0(VALU_DEP_2) | instskip(SKIP_1) | instid1(VALU_DEP_3)
	v_lshlrev_b32_e32 v3, 20, v140
	v_lshl_add_u32 v1, v1, 23, 0x3c000000
	v_and_b32_e32 v2, 0x80000000, v2
	s_delay_alu instid0(VALU_DEP_1)
	v_or3_b32 v2, v3, v2, v1
	v_mov_b32_e32 v1, v141
	scratch_store_b64 off, v[1:2], s32 offset:480 ; 8-byte Folded Spill
.LBB287_185:                            ;   in Loop: Header=BB287_11 Depth=1
	s_or_b32 exec_lo, exec_lo, s8
.LBB287_186:                            ;   in Loop: Header=BB287_11 Depth=1
	s_delay_alu instid0(SALU_CYCLE_1)
	s_or_b32 exec_lo, exec_lo, s20
.LBB287_187:                            ;   in Loop: Header=BB287_11 Depth=1
	s_delay_alu instid0(SALU_CYCLE_1)
	s_or_b32 exec_lo, exec_lo, s19
	v_lshrrev_b32_e32 v1, 16, v0
	v_mov_b32_e32 v3, 0
	v_mov_b32_e32 v4, 0
	s_mov_b32 s8, exec_lo
	s_clause 0x1
	scratch_store_b64 off, v[3:4], s32 offset:496
	scratch_store_b64 off, v[3:4], s32 offset:504
	v_and_b32_e32 v2, 0xff, v1
	s_delay_alu instid0(VALU_DEP_1)
	v_cmpx_ne_u16_e32 0, v2
	s_cbranch_execz .LBB287_195
; %bb.188:                              ;   in Loop: Header=BB287_11 Depth=1
	v_cmp_ne_u16_e64 s1, 0x80, v2
	v_bfrev_b32_e32 v2, 1
	v_mov_b32_e32 v3, 0
	scratch_store_b64 off, v[2:3], s32 offset:504 ; 8-byte Folded Spill
	s_and_saveexec_b32 s19, s1
	s_cbranch_execz .LBB287_194
; %bb.189:                              ;   in Loop: Header=BB287_11 Depth=1
	v_mov_b32_e32 v4, 0x7f800001
	v_bfe_u32 v3, v0, 16, 7
	v_mov_b32_e32 v5, 0
	s_mov_b32 s20, exec_lo
	scratch_store_b64 off, v[4:5], s32 offset:504 ; 8-byte Folded Spill
	v_cmpx_ne_u32_e32 0x7f, v3
	s_cbranch_execz .LBB287_193
; %bb.190:                              ;   in Loop: Header=BB287_11 Depth=1
	v_and_b32_e32 v140, 7, v1
	v_lshrrev_b32_e32 v2, 3, v3
	s_mov_b32 s21, exec_lo
	v_cmpx_gt_u32_e32 8, v3
; %bb.191:                              ;   in Loop: Header=BB287_11 Depth=1
	s_delay_alu instid0(VALU_DEP_3) | instskip(NEXT) | instid1(VALU_DEP_1)
	v_clz_i32_u32_e32 v2, v140
	v_min_u32_e32 v2, 32, v2
	s_delay_alu instid0(VALU_DEP_1) | instskip(SKIP_1) | instid1(VALU_DEP_2)
	v_subrev_nc_u32_e32 v3, 28, v2
	v_sub_nc_u32_e32 v2, 29, v2
	v_lshlrev_b64 v[3:4], v3, v[140:141]
	s_delay_alu instid0(VALU_DEP_1)
	v_and_b32_e32 v140, 7, v3
; %bb.192:                              ;   in Loop: Header=BB287_11 Depth=1
	s_or_b32 exec_lo, exec_lo, s21
	v_lshlrev_b32_e32 v1, 24, v1
	s_delay_alu instid0(VALU_DEP_2) | instskip(SKIP_1) | instid1(VALU_DEP_3)
	v_lshlrev_b32_e32 v3, 20, v140
	v_lshl_add_u32 v2, v2, 23, 0x3c000000
	v_and_b32_e32 v1, 0x80000000, v1
	s_delay_alu instid0(VALU_DEP_1)
	v_or3_b32 v140, v3, v1, v2
	scratch_store_b64 off, v[140:141], s32 offset:504 ; 8-byte Folded Spill
.LBB287_193:                            ;   in Loop: Header=BB287_11 Depth=1
	s_or_b32 exec_lo, exec_lo, s20
.LBB287_194:                            ;   in Loop: Header=BB287_11 Depth=1
	s_delay_alu instid0(SALU_CYCLE_1)
	s_or_b32 exec_lo, exec_lo, s19
.LBB287_195:                            ;   in Loop: Header=BB287_11 Depth=1
	s_delay_alu instid0(SALU_CYCLE_1) | instskip(NEXT) | instid1(SALU_CYCLE_1)
	s_or_b32 exec_lo, exec_lo, s8
	s_mov_b32 s19, exec_lo
	v_cmpx_lt_u32_e32 0xffffff, v0
	s_cbranch_execz .LBB287_203
; %bb.196:                              ;   in Loop: Header=BB287_11 Depth=1
	v_lshrrev_b32_e32 v1, 24, v0
	v_dual_mov_b32 v2, s2 :: v_dual_mov_b32 v3, s3
	s_mov_b32 s20, exec_lo
	scratch_store_b64 off, v[2:3], s32 offset:496 ; 8-byte Folded Spill
	v_cmpx_ne_u32_e32 0x80, v1
	s_cbranch_execz .LBB287_202
; %bb.197:                              ;   in Loop: Header=BB287_11 Depth=1
	s_mov_b32 s8, s2
	v_bfe_u32 v2, v0, 24, 7
	v_dual_mov_b32 v3, s8 :: v_dual_mov_b32 v4, s9
	s_mov_b32 s8, exec_lo
	scratch_store_b64 off, v[3:4], s32 offset:496 ; 8-byte Folded Spill
	v_cmpx_ne_u32_e32 0x7f, v2
	s_cbranch_execz .LBB287_201
; %bb.198:                              ;   in Loop: Header=BB287_11 Depth=1
	v_and_b32_e32 v140, 7, v1
	v_lshrrev_b32_e32 v0, 3, v2
	s_mov_b32 s21, exec_lo
	v_cmpx_gt_u32_e32 8, v2
; %bb.199:                              ;   in Loop: Header=BB287_11 Depth=1
	s_delay_alu instid0(VALU_DEP_3) | instskip(NEXT) | instid1(VALU_DEP_1)
	v_clz_i32_u32_e32 v0, v140
	v_min_u32_e32 v0, 32, v0
	s_delay_alu instid0(VALU_DEP_1) | instskip(SKIP_1) | instid1(VALU_DEP_2)
	v_subrev_nc_u32_e32 v2, 28, v0
	v_sub_nc_u32_e32 v0, 29, v0
	v_lshlrev_b64 v[2:3], v2, v[140:141]
	s_delay_alu instid0(VALU_DEP_1)
	v_and_b32_e32 v140, 7, v2
; %bb.200:                              ;   in Loop: Header=BB287_11 Depth=1
	s_or_b32 exec_lo, exec_lo, s21
	v_lshlrev_b32_e32 v1, 24, v1
	s_delay_alu instid0(VALU_DEP_2) | instskip(SKIP_1) | instid1(VALU_DEP_3)
	v_lshlrev_b32_e32 v2, 20, v140
	v_lshl_add_u32 v0, v0, 23, 0x3c000000
	v_and_b32_e32 v1, 0x80000000, v1
	s_delay_alu instid0(VALU_DEP_1)
	v_or3_b32 v1, v2, v1, v0
	v_mov_b32_e32 v0, v141
	scratch_store_b64 off, v[0:1], s32 offset:496 ; 8-byte Folded Spill
.LBB287_201:                            ;   in Loop: Header=BB287_11 Depth=1
	s_or_b32 exec_lo, exec_lo, s8
.LBB287_202:                            ;   in Loop: Header=BB287_11 Depth=1
	s_delay_alu instid0(SALU_CYCLE_1)
	s_or_b32 exec_lo, exec_lo, s20
.LBB287_203:                            ;   in Loop: Header=BB287_11 Depth=1
	s_delay_alu instid0(SALU_CYCLE_1)
	s_or_b32 exec_lo, exec_lo, s19
	flat_load_b32 v0, v[37:38] offset:520
	v_mov_b32_e32 v2, 0
	v_mov_b32_e32 v3, 0
	s_mov_b32 s8, exec_lo
	s_clause 0x1
	scratch_store_b64 off, v[2:3], s32 offset:512
	scratch_store_b64 off, v[2:3], s32 offset:520
	s_waitcnt vmcnt(0) lgkmcnt(0)
	v_and_b32_e32 v1, 0xff, v0
	s_delay_alu instid0(VALU_DEP_1)
	v_cmpx_ne_u16_e32 0, v1
	s_cbranch_execz .LBB287_211
; %bb.204:                              ;   in Loop: Header=BB287_11 Depth=1
	v_cmp_ne_u16_e64 s1, 0x80, v1
	v_bfrev_b32_e32 v1, 1
	v_mov_b32_e32 v2, 0
	scratch_store_b64 off, v[1:2], s32 offset:520 ; 8-byte Folded Spill
	s_and_saveexec_b32 s19, s1
	s_cbranch_execz .LBB287_210
; %bb.205:                              ;   in Loop: Header=BB287_11 Depth=1
	v_mov_b32_e32 v3, 0x7f800001
	v_and_b32_e32 v2, 0x7f, v0
	v_mov_b32_e32 v4, 0
	s_mov_b32 s20, exec_lo
	scratch_store_b64 off, v[3:4], s32 offset:520 ; 8-byte Folded Spill
	v_cmpx_ne_u32_e32 0x7f, v2
	s_cbranch_execz .LBB287_209
; %bb.206:                              ;   in Loop: Header=BB287_11 Depth=1
	v_and_b32_e32 v140, 7, v0
	v_lshrrev_b32_e32 v1, 3, v2
	s_mov_b32 s21, exec_lo
	v_cmpx_gt_u32_e32 8, v2
; %bb.207:                              ;   in Loop: Header=BB287_11 Depth=1
	s_delay_alu instid0(VALU_DEP_3) | instskip(NEXT) | instid1(VALU_DEP_1)
	v_clz_i32_u32_e32 v1, v140
	v_min_u32_e32 v1, 32, v1
	s_delay_alu instid0(VALU_DEP_1) | instskip(SKIP_1) | instid1(VALU_DEP_2)
	v_subrev_nc_u32_e32 v2, 28, v1
	v_sub_nc_u32_e32 v1, 29, v1
	v_lshlrev_b64 v[2:3], v2, v[140:141]
	s_delay_alu instid0(VALU_DEP_1)
	v_and_b32_e32 v140, 7, v2
; %bb.208:                              ;   in Loop: Header=BB287_11 Depth=1
	s_or_b32 exec_lo, exec_lo, s21
	v_lshlrev_b32_e32 v2, 24, v0
	s_delay_alu instid0(VALU_DEP_2) | instskip(SKIP_1) | instid1(VALU_DEP_3)
	v_lshlrev_b32_e32 v3, 20, v140
	v_lshl_add_u32 v1, v1, 23, 0x3c000000
	v_and_b32_e32 v2, 0x80000000, v2
	s_delay_alu instid0(VALU_DEP_1)
	v_or3_b32 v140, v3, v2, v1
	scratch_store_b64 off, v[140:141], s32 offset:520 ; 8-byte Folded Spill
.LBB287_209:                            ;   in Loop: Header=BB287_11 Depth=1
	s_or_b32 exec_lo, exec_lo, s20
.LBB287_210:                            ;   in Loop: Header=BB287_11 Depth=1
	s_delay_alu instid0(SALU_CYCLE_1)
	s_or_b32 exec_lo, exec_lo, s19
.LBB287_211:                            ;   in Loop: Header=BB287_11 Depth=1
	s_delay_alu instid0(SALU_CYCLE_1) | instskip(SKIP_2) | instid1(VALU_DEP_1)
	s_or_b32 exec_lo, exec_lo, s8
	v_lshrrev_b16 v1, 8, v0
	s_mov_b32 s19, exec_lo
	v_cmpx_ne_u16_e32 0, v1
	s_cbranch_execz .LBB287_219
; %bb.212:                              ;   in Loop: Header=BB287_11 Depth=1
	v_dual_mov_b32 v2, s2 :: v_dual_mov_b32 v3, s3
	s_mov_b32 s20, exec_lo
	scratch_store_b64 off, v[2:3], s32 offset:512 ; 8-byte Folded Spill
	v_cmpx_ne_u16_e32 0x80, v1
	s_cbranch_execz .LBB287_218
; %bb.213:                              ;   in Loop: Header=BB287_11 Depth=1
	s_mov_b32 s8, s2
	v_and_b32_e32 v1, 0xffff, v1
	v_dual_mov_b32 v3, s8 :: v_dual_mov_b32 v4, s9
	s_mov_b32 s8, exec_lo
	s_delay_alu instid0(VALU_DEP_2)
	v_and_b32_e32 v2, 0x7f, v1
	scratch_store_b64 off, v[3:4], s32 offset:512 ; 8-byte Folded Spill
	v_cmpx_ne_u32_e32 0x7f, v2
	s_cbranch_execz .LBB287_217
; %bb.214:                              ;   in Loop: Header=BB287_11 Depth=1
	v_and_b32_e32 v140, 7, v1
	v_lshrrev_b32_e32 v1, 3, v2
	s_mov_b32 s21, exec_lo
	v_cmpx_gt_u32_e32 8, v2
; %bb.215:                              ;   in Loop: Header=BB287_11 Depth=1
	s_delay_alu instid0(VALU_DEP_3) | instskip(NEXT) | instid1(VALU_DEP_1)
	v_clz_i32_u32_e32 v1, v140
	v_min_u32_e32 v1, 32, v1
	s_delay_alu instid0(VALU_DEP_1) | instskip(SKIP_1) | instid1(VALU_DEP_2)
	v_subrev_nc_u32_e32 v2, 28, v1
	v_sub_nc_u32_e32 v1, 29, v1
	v_lshlrev_b64 v[2:3], v2, v[140:141]
	s_delay_alu instid0(VALU_DEP_1)
	v_and_b32_e32 v140, 7, v2
; %bb.216:                              ;   in Loop: Header=BB287_11 Depth=1
	s_or_b32 exec_lo, exec_lo, s21
	v_lshlrev_b32_e32 v2, 16, v0
	s_delay_alu instid0(VALU_DEP_2) | instskip(SKIP_1) | instid1(VALU_DEP_3)
	v_lshlrev_b32_e32 v3, 20, v140
	v_lshl_add_u32 v1, v1, 23, 0x3c000000
	v_and_b32_e32 v2, 0x80000000, v2
	s_delay_alu instid0(VALU_DEP_1)
	v_or3_b32 v2, v3, v2, v1
	v_mov_b32_e32 v1, v141
	scratch_store_b64 off, v[1:2], s32 offset:512 ; 8-byte Folded Spill
.LBB287_217:                            ;   in Loop: Header=BB287_11 Depth=1
	s_or_b32 exec_lo, exec_lo, s8
.LBB287_218:                            ;   in Loop: Header=BB287_11 Depth=1
	s_delay_alu instid0(SALU_CYCLE_1)
	s_or_b32 exec_lo, exec_lo, s20
.LBB287_219:                            ;   in Loop: Header=BB287_11 Depth=1
	s_delay_alu instid0(SALU_CYCLE_1)
	s_or_b32 exec_lo, exec_lo, s19
	v_lshrrev_b32_e32 v1, 16, v0
	v_mov_b32_e32 v3, 0
	v_mov_b32_e32 v4, 0
	s_mov_b32 s8, exec_lo
	s_clause 0x1
	scratch_store_b64 off, v[3:4], s32 offset:528
	scratch_store_b64 off, v[3:4], s32 offset:536
	v_and_b32_e32 v2, 0xff, v1
	s_delay_alu instid0(VALU_DEP_1)
	v_cmpx_ne_u16_e32 0, v2
	s_cbranch_execz .LBB287_227
; %bb.220:                              ;   in Loop: Header=BB287_11 Depth=1
	v_cmp_ne_u16_e64 s1, 0x80, v2
	v_bfrev_b32_e32 v2, 1
	v_mov_b32_e32 v3, 0
	scratch_store_b64 off, v[2:3], s32 offset:536 ; 8-byte Folded Spill
	s_and_saveexec_b32 s19, s1
	s_cbranch_execz .LBB287_226
; %bb.221:                              ;   in Loop: Header=BB287_11 Depth=1
	v_mov_b32_e32 v4, 0x7f800001
	v_bfe_u32 v3, v0, 16, 7
	v_mov_b32_e32 v5, 0
	s_mov_b32 s20, exec_lo
	scratch_store_b64 off, v[4:5], s32 offset:536 ; 8-byte Folded Spill
	v_cmpx_ne_u32_e32 0x7f, v3
	s_cbranch_execz .LBB287_225
; %bb.222:                              ;   in Loop: Header=BB287_11 Depth=1
	v_and_b32_e32 v140, 7, v1
	v_lshrrev_b32_e32 v2, 3, v3
	s_mov_b32 s21, exec_lo
	v_cmpx_gt_u32_e32 8, v3
; %bb.223:                              ;   in Loop: Header=BB287_11 Depth=1
	s_delay_alu instid0(VALU_DEP_3) | instskip(NEXT) | instid1(VALU_DEP_1)
	v_clz_i32_u32_e32 v2, v140
	v_min_u32_e32 v2, 32, v2
	s_delay_alu instid0(VALU_DEP_1) | instskip(SKIP_1) | instid1(VALU_DEP_2)
	v_subrev_nc_u32_e32 v3, 28, v2
	v_sub_nc_u32_e32 v2, 29, v2
	v_lshlrev_b64 v[3:4], v3, v[140:141]
	s_delay_alu instid0(VALU_DEP_1)
	v_and_b32_e32 v140, 7, v3
; %bb.224:                              ;   in Loop: Header=BB287_11 Depth=1
	s_or_b32 exec_lo, exec_lo, s21
	v_lshlrev_b32_e32 v1, 24, v1
	s_delay_alu instid0(VALU_DEP_2) | instskip(SKIP_1) | instid1(VALU_DEP_3)
	v_lshlrev_b32_e32 v3, 20, v140
	v_lshl_add_u32 v2, v2, 23, 0x3c000000
	v_and_b32_e32 v1, 0x80000000, v1
	s_delay_alu instid0(VALU_DEP_1)
	v_or3_b32 v140, v3, v1, v2
	scratch_store_b64 off, v[140:141], s32 offset:536 ; 8-byte Folded Spill
.LBB287_225:                            ;   in Loop: Header=BB287_11 Depth=1
	s_or_b32 exec_lo, exec_lo, s20
.LBB287_226:                            ;   in Loop: Header=BB287_11 Depth=1
	s_delay_alu instid0(SALU_CYCLE_1)
	s_or_b32 exec_lo, exec_lo, s19
.LBB287_227:                            ;   in Loop: Header=BB287_11 Depth=1
	s_delay_alu instid0(SALU_CYCLE_1) | instskip(NEXT) | instid1(SALU_CYCLE_1)
	s_or_b32 exec_lo, exec_lo, s8
	s_mov_b32 s19, exec_lo
	v_cmpx_lt_u32_e32 0xffffff, v0
	s_cbranch_execz .LBB287_235
; %bb.228:                              ;   in Loop: Header=BB287_11 Depth=1
	v_lshrrev_b32_e32 v1, 24, v0
	v_dual_mov_b32 v2, s2 :: v_dual_mov_b32 v3, s3
	s_mov_b32 s20, exec_lo
	scratch_store_b64 off, v[2:3], s32 offset:528 ; 8-byte Folded Spill
	v_cmpx_ne_u32_e32 0x80, v1
	s_cbranch_execz .LBB287_234
; %bb.229:                              ;   in Loop: Header=BB287_11 Depth=1
	s_mov_b32 s8, s2
	v_bfe_u32 v2, v0, 24, 7
	v_dual_mov_b32 v3, s8 :: v_dual_mov_b32 v4, s9
	s_mov_b32 s8, exec_lo
	scratch_store_b64 off, v[3:4], s32 offset:528 ; 8-byte Folded Spill
	v_cmpx_ne_u32_e32 0x7f, v2
	s_cbranch_execz .LBB287_233
; %bb.230:                              ;   in Loop: Header=BB287_11 Depth=1
	v_and_b32_e32 v140, 7, v1
	v_lshrrev_b32_e32 v0, 3, v2
	s_mov_b32 s21, exec_lo
	v_cmpx_gt_u32_e32 8, v2
; %bb.231:                              ;   in Loop: Header=BB287_11 Depth=1
	s_delay_alu instid0(VALU_DEP_3) | instskip(NEXT) | instid1(VALU_DEP_1)
	v_clz_i32_u32_e32 v0, v140
	v_min_u32_e32 v0, 32, v0
	s_delay_alu instid0(VALU_DEP_1) | instskip(SKIP_1) | instid1(VALU_DEP_2)
	v_subrev_nc_u32_e32 v2, 28, v0
	v_sub_nc_u32_e32 v0, 29, v0
	v_lshlrev_b64 v[2:3], v2, v[140:141]
	s_delay_alu instid0(VALU_DEP_1)
	v_and_b32_e32 v140, 7, v2
; %bb.232:                              ;   in Loop: Header=BB287_11 Depth=1
	s_or_b32 exec_lo, exec_lo, s21
	v_lshlrev_b32_e32 v1, 24, v1
	s_delay_alu instid0(VALU_DEP_2) | instskip(SKIP_1) | instid1(VALU_DEP_3)
	v_lshlrev_b32_e32 v2, 20, v140
	v_lshl_add_u32 v0, v0, 23, 0x3c000000
	v_and_b32_e32 v1, 0x80000000, v1
	s_delay_alu instid0(VALU_DEP_1)
	v_or3_b32 v1, v2, v1, v0
	v_mov_b32_e32 v0, v141
	scratch_store_b64 off, v[0:1], s32 offset:528 ; 8-byte Folded Spill
.LBB287_233:                            ;   in Loop: Header=BB287_11 Depth=1
	s_or_b32 exec_lo, exec_lo, s8
.LBB287_234:                            ;   in Loop: Header=BB287_11 Depth=1
	s_delay_alu instid0(SALU_CYCLE_1)
	s_or_b32 exec_lo, exec_lo, s20
.LBB287_235:                            ;   in Loop: Header=BB287_11 Depth=1
	s_delay_alu instid0(SALU_CYCLE_1)
	s_or_b32 exec_lo, exec_lo, s19
	flat_load_b32 v0, v[37:38] offset:524
	v_mov_b32_e32 v2, 0
	v_mov_b32_e32 v3, 0
	s_mov_b32 s8, exec_lo
	s_clause 0x1
	scratch_store_b64 off, v[2:3], s32 offset:544
	scratch_store_b64 off, v[2:3], s32 offset:552
	s_waitcnt vmcnt(0) lgkmcnt(0)
	v_and_b32_e32 v1, 0xff, v0
	s_delay_alu instid0(VALU_DEP_1)
	v_cmpx_ne_u16_e32 0, v1
	s_cbranch_execz .LBB287_243
; %bb.236:                              ;   in Loop: Header=BB287_11 Depth=1
	v_cmp_ne_u16_e64 s1, 0x80, v1
	v_bfrev_b32_e32 v1, 1
	v_mov_b32_e32 v2, 0
	scratch_store_b64 off, v[1:2], s32 offset:552 ; 8-byte Folded Spill
	s_and_saveexec_b32 s19, s1
	s_cbranch_execz .LBB287_242
; %bb.237:                              ;   in Loop: Header=BB287_11 Depth=1
	v_mov_b32_e32 v3, 0x7f800001
	v_and_b32_e32 v2, 0x7f, v0
	v_mov_b32_e32 v4, 0
	s_mov_b32 s20, exec_lo
	scratch_store_b64 off, v[3:4], s32 offset:552 ; 8-byte Folded Spill
	v_cmpx_ne_u32_e32 0x7f, v2
	s_cbranch_execz .LBB287_241
; %bb.238:                              ;   in Loop: Header=BB287_11 Depth=1
	v_and_b32_e32 v140, 7, v0
	v_lshrrev_b32_e32 v1, 3, v2
	s_mov_b32 s21, exec_lo
	v_cmpx_gt_u32_e32 8, v2
; %bb.239:                              ;   in Loop: Header=BB287_11 Depth=1
	s_delay_alu instid0(VALU_DEP_3) | instskip(NEXT) | instid1(VALU_DEP_1)
	v_clz_i32_u32_e32 v1, v140
	v_min_u32_e32 v1, 32, v1
	s_delay_alu instid0(VALU_DEP_1) | instskip(SKIP_1) | instid1(VALU_DEP_2)
	v_subrev_nc_u32_e32 v2, 28, v1
	v_sub_nc_u32_e32 v1, 29, v1
	v_lshlrev_b64 v[2:3], v2, v[140:141]
	s_delay_alu instid0(VALU_DEP_1)
	v_and_b32_e32 v140, 7, v2
; %bb.240:                              ;   in Loop: Header=BB287_11 Depth=1
	s_or_b32 exec_lo, exec_lo, s21
	v_lshlrev_b32_e32 v2, 24, v0
	s_delay_alu instid0(VALU_DEP_2) | instskip(SKIP_1) | instid1(VALU_DEP_3)
	v_lshlrev_b32_e32 v3, 20, v140
	v_lshl_add_u32 v1, v1, 23, 0x3c000000
	v_and_b32_e32 v2, 0x80000000, v2
	s_delay_alu instid0(VALU_DEP_1)
	v_or3_b32 v140, v3, v2, v1
	scratch_store_b64 off, v[140:141], s32 offset:552 ; 8-byte Folded Spill
.LBB287_241:                            ;   in Loop: Header=BB287_11 Depth=1
	s_or_b32 exec_lo, exec_lo, s20
.LBB287_242:                            ;   in Loop: Header=BB287_11 Depth=1
	s_delay_alu instid0(SALU_CYCLE_1)
	s_or_b32 exec_lo, exec_lo, s19
.LBB287_243:                            ;   in Loop: Header=BB287_11 Depth=1
	s_delay_alu instid0(SALU_CYCLE_1) | instskip(SKIP_2) | instid1(VALU_DEP_1)
	s_or_b32 exec_lo, exec_lo, s8
	v_lshrrev_b16 v1, 8, v0
	s_mov_b32 s19, exec_lo
	v_cmpx_ne_u16_e32 0, v1
	s_cbranch_execz .LBB287_251
; %bb.244:                              ;   in Loop: Header=BB287_11 Depth=1
	v_dual_mov_b32 v2, s2 :: v_dual_mov_b32 v3, s3
	s_mov_b32 s20, exec_lo
	scratch_store_b64 off, v[2:3], s32 offset:544 ; 8-byte Folded Spill
	v_cmpx_ne_u16_e32 0x80, v1
	s_cbranch_execz .LBB287_250
; %bb.245:                              ;   in Loop: Header=BB287_11 Depth=1
	s_mov_b32 s8, s2
	v_and_b32_e32 v1, 0xffff, v1
	v_dual_mov_b32 v3, s8 :: v_dual_mov_b32 v4, s9
	s_mov_b32 s8, exec_lo
	s_delay_alu instid0(VALU_DEP_2)
	v_and_b32_e32 v2, 0x7f, v1
	scratch_store_b64 off, v[3:4], s32 offset:544 ; 8-byte Folded Spill
	v_cmpx_ne_u32_e32 0x7f, v2
	s_cbranch_execz .LBB287_249
; %bb.246:                              ;   in Loop: Header=BB287_11 Depth=1
	v_and_b32_e32 v140, 7, v1
	v_lshrrev_b32_e32 v1, 3, v2
	s_mov_b32 s21, exec_lo
	v_cmpx_gt_u32_e32 8, v2
; %bb.247:                              ;   in Loop: Header=BB287_11 Depth=1
	s_delay_alu instid0(VALU_DEP_3) | instskip(NEXT) | instid1(VALU_DEP_1)
	v_clz_i32_u32_e32 v1, v140
	v_min_u32_e32 v1, 32, v1
	s_delay_alu instid0(VALU_DEP_1) | instskip(SKIP_1) | instid1(VALU_DEP_2)
	v_subrev_nc_u32_e32 v2, 28, v1
	v_sub_nc_u32_e32 v1, 29, v1
	v_lshlrev_b64 v[2:3], v2, v[140:141]
	s_delay_alu instid0(VALU_DEP_1)
	v_and_b32_e32 v140, 7, v2
; %bb.248:                              ;   in Loop: Header=BB287_11 Depth=1
	s_or_b32 exec_lo, exec_lo, s21
	v_lshlrev_b32_e32 v2, 16, v0
	s_delay_alu instid0(VALU_DEP_2) | instskip(SKIP_1) | instid1(VALU_DEP_3)
	v_lshlrev_b32_e32 v3, 20, v140
	v_lshl_add_u32 v1, v1, 23, 0x3c000000
	v_and_b32_e32 v2, 0x80000000, v2
	s_delay_alu instid0(VALU_DEP_1)
	v_or3_b32 v2, v3, v2, v1
	v_mov_b32_e32 v1, v141
	scratch_store_b64 off, v[1:2], s32 offset:544 ; 8-byte Folded Spill
.LBB287_249:                            ;   in Loop: Header=BB287_11 Depth=1
	s_or_b32 exec_lo, exec_lo, s8
.LBB287_250:                            ;   in Loop: Header=BB287_11 Depth=1
	s_delay_alu instid0(SALU_CYCLE_1)
	s_or_b32 exec_lo, exec_lo, s20
.LBB287_251:                            ;   in Loop: Header=BB287_11 Depth=1
	s_delay_alu instid0(SALU_CYCLE_1)
	s_or_b32 exec_lo, exec_lo, s19
	v_lshrrev_b32_e32 v1, 16, v0
	v_mov_b32_e32 v3, 0
	v_mov_b32_e32 v4, 0
	s_mov_b32 s8, exec_lo
	s_clause 0x1
	scratch_store_b64 off, v[3:4], s32 offset:560
	scratch_store_b64 off, v[3:4], s32 offset:568
	v_and_b32_e32 v2, 0xff, v1
	s_delay_alu instid0(VALU_DEP_1)
	v_cmpx_ne_u16_e32 0, v2
	s_cbranch_execz .LBB287_259
; %bb.252:                              ;   in Loop: Header=BB287_11 Depth=1
	v_cmp_ne_u16_e64 s1, 0x80, v2
	v_bfrev_b32_e32 v2, 1
	v_mov_b32_e32 v3, 0
	scratch_store_b64 off, v[2:3], s32 offset:568 ; 8-byte Folded Spill
	s_and_saveexec_b32 s19, s1
	s_cbranch_execz .LBB287_258
; %bb.253:                              ;   in Loop: Header=BB287_11 Depth=1
	v_mov_b32_e32 v4, 0x7f800001
	v_bfe_u32 v3, v0, 16, 7
	v_mov_b32_e32 v5, 0
	s_mov_b32 s20, exec_lo
	scratch_store_b64 off, v[4:5], s32 offset:568 ; 8-byte Folded Spill
	v_cmpx_ne_u32_e32 0x7f, v3
	s_cbranch_execz .LBB287_257
; %bb.254:                              ;   in Loop: Header=BB287_11 Depth=1
	v_and_b32_e32 v140, 7, v1
	v_lshrrev_b32_e32 v2, 3, v3
	s_mov_b32 s21, exec_lo
	v_cmpx_gt_u32_e32 8, v3
; %bb.255:                              ;   in Loop: Header=BB287_11 Depth=1
	s_delay_alu instid0(VALU_DEP_3) | instskip(NEXT) | instid1(VALU_DEP_1)
	v_clz_i32_u32_e32 v2, v140
	v_min_u32_e32 v2, 32, v2
	s_delay_alu instid0(VALU_DEP_1) | instskip(SKIP_1) | instid1(VALU_DEP_2)
	v_subrev_nc_u32_e32 v3, 28, v2
	v_sub_nc_u32_e32 v2, 29, v2
	v_lshlrev_b64 v[3:4], v3, v[140:141]
	s_delay_alu instid0(VALU_DEP_1)
	v_and_b32_e32 v140, 7, v3
; %bb.256:                              ;   in Loop: Header=BB287_11 Depth=1
	s_or_b32 exec_lo, exec_lo, s21
	v_lshlrev_b32_e32 v1, 24, v1
	s_delay_alu instid0(VALU_DEP_2) | instskip(SKIP_1) | instid1(VALU_DEP_3)
	v_lshlrev_b32_e32 v3, 20, v140
	v_lshl_add_u32 v2, v2, 23, 0x3c000000
	v_and_b32_e32 v1, 0x80000000, v1
	s_delay_alu instid0(VALU_DEP_1)
	v_or3_b32 v140, v3, v1, v2
	scratch_store_b64 off, v[140:141], s32 offset:568 ; 8-byte Folded Spill
.LBB287_257:                            ;   in Loop: Header=BB287_11 Depth=1
	s_or_b32 exec_lo, exec_lo, s20
.LBB287_258:                            ;   in Loop: Header=BB287_11 Depth=1
	s_delay_alu instid0(SALU_CYCLE_1)
	s_or_b32 exec_lo, exec_lo, s19
.LBB287_259:                            ;   in Loop: Header=BB287_11 Depth=1
	s_delay_alu instid0(SALU_CYCLE_1) | instskip(NEXT) | instid1(SALU_CYCLE_1)
	s_or_b32 exec_lo, exec_lo, s8
	s_mov_b32 s19, exec_lo
	v_cmpx_lt_u32_e32 0xffffff, v0
	s_cbranch_execz .LBB287_267
; %bb.260:                              ;   in Loop: Header=BB287_11 Depth=1
	v_lshrrev_b32_e32 v1, 24, v0
	v_dual_mov_b32 v2, s2 :: v_dual_mov_b32 v3, s3
	s_mov_b32 s20, exec_lo
	scratch_store_b64 off, v[2:3], s32 offset:560 ; 8-byte Folded Spill
	v_cmpx_ne_u32_e32 0x80, v1
	s_cbranch_execz .LBB287_266
; %bb.261:                              ;   in Loop: Header=BB287_11 Depth=1
	s_mov_b32 s8, s2
	v_bfe_u32 v2, v0, 24, 7
	v_dual_mov_b32 v3, s8 :: v_dual_mov_b32 v4, s9
	s_mov_b32 s8, exec_lo
	scratch_store_b64 off, v[3:4], s32 offset:560 ; 8-byte Folded Spill
	v_cmpx_ne_u32_e32 0x7f, v2
	s_cbranch_execz .LBB287_265
; %bb.262:                              ;   in Loop: Header=BB287_11 Depth=1
	v_and_b32_e32 v140, 7, v1
	v_lshrrev_b32_e32 v0, 3, v2
	s_mov_b32 s21, exec_lo
	v_cmpx_gt_u32_e32 8, v2
; %bb.263:                              ;   in Loop: Header=BB287_11 Depth=1
	s_delay_alu instid0(VALU_DEP_3) | instskip(NEXT) | instid1(VALU_DEP_1)
	v_clz_i32_u32_e32 v0, v140
	v_min_u32_e32 v0, 32, v0
	s_delay_alu instid0(VALU_DEP_1) | instskip(SKIP_1) | instid1(VALU_DEP_2)
	v_subrev_nc_u32_e32 v2, 28, v0
	v_sub_nc_u32_e32 v0, 29, v0
	v_lshlrev_b64 v[2:3], v2, v[140:141]
	s_delay_alu instid0(VALU_DEP_1)
	v_and_b32_e32 v140, 7, v2
; %bb.264:                              ;   in Loop: Header=BB287_11 Depth=1
	s_or_b32 exec_lo, exec_lo, s21
	v_lshlrev_b32_e32 v1, 24, v1
	s_delay_alu instid0(VALU_DEP_2) | instskip(SKIP_1) | instid1(VALU_DEP_3)
	v_lshlrev_b32_e32 v2, 20, v140
	v_lshl_add_u32 v0, v0, 23, 0x3c000000
	v_and_b32_e32 v1, 0x80000000, v1
	s_delay_alu instid0(VALU_DEP_1)
	v_or3_b32 v1, v2, v1, v0
	v_mov_b32_e32 v0, v141
	scratch_store_b64 off, v[0:1], s32 offset:560 ; 8-byte Folded Spill
.LBB287_265:                            ;   in Loop: Header=BB287_11 Depth=1
	s_or_b32 exec_lo, exec_lo, s8
.LBB287_266:                            ;   in Loop: Header=BB287_11 Depth=1
	s_delay_alu instid0(SALU_CYCLE_1)
	s_or_b32 exec_lo, exec_lo, s20
.LBB287_267:                            ;   in Loop: Header=BB287_11 Depth=1
	s_delay_alu instid0(SALU_CYCLE_1)
	s_or_b32 exec_lo, exec_lo, s19
	flat_load_b32 v0, v[37:38] offset:1024
	v_mov_b32_e32 v2, 0
	v_mov_b32_e32 v3, 0
	s_mov_b32 s8, exec_lo
	s_clause 0x1
	scratch_store_b64 off, v[2:3], s32 offset:576
	scratch_store_b64 off, v[2:3], s32 offset:584
	s_waitcnt vmcnt(0) lgkmcnt(0)
	v_and_b32_e32 v1, 0xff, v0
	s_delay_alu instid0(VALU_DEP_1)
	v_cmpx_ne_u16_e32 0, v1
	s_cbranch_execz .LBB287_275
; %bb.268:                              ;   in Loop: Header=BB287_11 Depth=1
	v_cmp_ne_u16_e64 s1, 0x80, v1
	v_bfrev_b32_e32 v1, 1
	v_mov_b32_e32 v2, 0
	scratch_store_b64 off, v[1:2], s32 offset:584 ; 8-byte Folded Spill
	s_and_saveexec_b32 s19, s1
	s_cbranch_execz .LBB287_274
; %bb.269:                              ;   in Loop: Header=BB287_11 Depth=1
	v_mov_b32_e32 v3, 0x7f800001
	v_and_b32_e32 v2, 0x7f, v0
	v_mov_b32_e32 v4, 0
	s_mov_b32 s20, exec_lo
	scratch_store_b64 off, v[3:4], s32 offset:584 ; 8-byte Folded Spill
	v_cmpx_ne_u32_e32 0x7f, v2
	s_cbranch_execz .LBB287_273
; %bb.270:                              ;   in Loop: Header=BB287_11 Depth=1
	v_and_b32_e32 v140, 7, v0
	v_lshrrev_b32_e32 v1, 3, v2
	s_mov_b32 s21, exec_lo
	v_cmpx_gt_u32_e32 8, v2
; %bb.271:                              ;   in Loop: Header=BB287_11 Depth=1
	s_delay_alu instid0(VALU_DEP_3) | instskip(NEXT) | instid1(VALU_DEP_1)
	v_clz_i32_u32_e32 v1, v140
	v_min_u32_e32 v1, 32, v1
	s_delay_alu instid0(VALU_DEP_1) | instskip(SKIP_1) | instid1(VALU_DEP_2)
	v_subrev_nc_u32_e32 v2, 28, v1
	v_sub_nc_u32_e32 v1, 29, v1
	v_lshlrev_b64 v[2:3], v2, v[140:141]
	s_delay_alu instid0(VALU_DEP_1)
	v_and_b32_e32 v140, 7, v2
; %bb.272:                              ;   in Loop: Header=BB287_11 Depth=1
	s_or_b32 exec_lo, exec_lo, s21
	v_lshlrev_b32_e32 v2, 24, v0
	s_delay_alu instid0(VALU_DEP_2) | instskip(SKIP_1) | instid1(VALU_DEP_3)
	v_lshlrev_b32_e32 v3, 20, v140
	v_lshl_add_u32 v1, v1, 23, 0x3c000000
	v_and_b32_e32 v2, 0x80000000, v2
	s_delay_alu instid0(VALU_DEP_1)
	v_or3_b32 v140, v3, v2, v1
	scratch_store_b64 off, v[140:141], s32 offset:584 ; 8-byte Folded Spill
.LBB287_273:                            ;   in Loop: Header=BB287_11 Depth=1
	s_or_b32 exec_lo, exec_lo, s20
.LBB287_274:                            ;   in Loop: Header=BB287_11 Depth=1
	s_delay_alu instid0(SALU_CYCLE_1)
	s_or_b32 exec_lo, exec_lo, s19
.LBB287_275:                            ;   in Loop: Header=BB287_11 Depth=1
	s_delay_alu instid0(SALU_CYCLE_1) | instskip(SKIP_2) | instid1(VALU_DEP_1)
	s_or_b32 exec_lo, exec_lo, s8
	v_lshrrev_b16 v1, 8, v0
	s_mov_b32 s19, exec_lo
	v_cmpx_ne_u16_e32 0, v1
	s_cbranch_execz .LBB287_283
; %bb.276:                              ;   in Loop: Header=BB287_11 Depth=1
	v_dual_mov_b32 v2, s2 :: v_dual_mov_b32 v3, s3
	s_mov_b32 s20, exec_lo
	scratch_store_b64 off, v[2:3], s32 offset:576 ; 8-byte Folded Spill
	v_cmpx_ne_u16_e32 0x80, v1
	s_cbranch_execz .LBB287_282
; %bb.277:                              ;   in Loop: Header=BB287_11 Depth=1
	s_mov_b32 s8, s2
	v_and_b32_e32 v1, 0xffff, v1
	v_dual_mov_b32 v3, s8 :: v_dual_mov_b32 v4, s9
	s_mov_b32 s8, exec_lo
	s_delay_alu instid0(VALU_DEP_2)
	v_and_b32_e32 v2, 0x7f, v1
	scratch_store_b64 off, v[3:4], s32 offset:576 ; 8-byte Folded Spill
	v_cmpx_ne_u32_e32 0x7f, v2
	s_cbranch_execz .LBB287_281
; %bb.278:                              ;   in Loop: Header=BB287_11 Depth=1
	v_and_b32_e32 v140, 7, v1
	v_lshrrev_b32_e32 v1, 3, v2
	s_mov_b32 s21, exec_lo
	v_cmpx_gt_u32_e32 8, v2
; %bb.279:                              ;   in Loop: Header=BB287_11 Depth=1
	s_delay_alu instid0(VALU_DEP_3) | instskip(NEXT) | instid1(VALU_DEP_1)
	v_clz_i32_u32_e32 v1, v140
	v_min_u32_e32 v1, 32, v1
	s_delay_alu instid0(VALU_DEP_1) | instskip(SKIP_1) | instid1(VALU_DEP_2)
	v_subrev_nc_u32_e32 v2, 28, v1
	v_sub_nc_u32_e32 v1, 29, v1
	v_lshlrev_b64 v[2:3], v2, v[140:141]
	s_delay_alu instid0(VALU_DEP_1)
	v_and_b32_e32 v140, 7, v2
; %bb.280:                              ;   in Loop: Header=BB287_11 Depth=1
	s_or_b32 exec_lo, exec_lo, s21
	v_lshlrev_b32_e32 v2, 16, v0
	s_delay_alu instid0(VALU_DEP_2) | instskip(SKIP_1) | instid1(VALU_DEP_3)
	v_lshlrev_b32_e32 v3, 20, v140
	v_lshl_add_u32 v1, v1, 23, 0x3c000000
	v_and_b32_e32 v2, 0x80000000, v2
	s_delay_alu instid0(VALU_DEP_1)
	v_or3_b32 v2, v3, v2, v1
	v_mov_b32_e32 v1, v141
	scratch_store_b64 off, v[1:2], s32 offset:576 ; 8-byte Folded Spill
.LBB287_281:                            ;   in Loop: Header=BB287_11 Depth=1
	s_or_b32 exec_lo, exec_lo, s8
.LBB287_282:                            ;   in Loop: Header=BB287_11 Depth=1
	s_delay_alu instid0(SALU_CYCLE_1)
	s_or_b32 exec_lo, exec_lo, s20
.LBB287_283:                            ;   in Loop: Header=BB287_11 Depth=1
	s_delay_alu instid0(SALU_CYCLE_1)
	s_or_b32 exec_lo, exec_lo, s19
	v_lshrrev_b32_e32 v1, 16, v0
	v_mov_b32_e32 v3, 0
	v_mov_b32_e32 v4, 0
	s_mov_b32 s8, exec_lo
	s_clause 0x1
	scratch_store_b64 off, v[3:4], s32 offset:592
	scratch_store_b64 off, v[3:4], s32 offset:600
	v_and_b32_e32 v2, 0xff, v1
	s_delay_alu instid0(VALU_DEP_1)
	v_cmpx_ne_u16_e32 0, v2
	s_cbranch_execz .LBB287_291
; %bb.284:                              ;   in Loop: Header=BB287_11 Depth=1
	v_cmp_ne_u16_e64 s1, 0x80, v2
	v_bfrev_b32_e32 v2, 1
	v_mov_b32_e32 v3, 0
	scratch_store_b64 off, v[2:3], s32 offset:600 ; 8-byte Folded Spill
	s_and_saveexec_b32 s19, s1
	s_cbranch_execz .LBB287_290
; %bb.285:                              ;   in Loop: Header=BB287_11 Depth=1
	v_mov_b32_e32 v4, 0x7f800001
	v_bfe_u32 v3, v0, 16, 7
	v_mov_b32_e32 v5, 0
	s_mov_b32 s20, exec_lo
	scratch_store_b64 off, v[4:5], s32 offset:600 ; 8-byte Folded Spill
	v_cmpx_ne_u32_e32 0x7f, v3
	s_cbranch_execz .LBB287_289
; %bb.286:                              ;   in Loop: Header=BB287_11 Depth=1
	v_and_b32_e32 v140, 7, v1
	v_lshrrev_b32_e32 v2, 3, v3
	s_mov_b32 s21, exec_lo
	v_cmpx_gt_u32_e32 8, v3
; %bb.287:                              ;   in Loop: Header=BB287_11 Depth=1
	s_delay_alu instid0(VALU_DEP_3) | instskip(NEXT) | instid1(VALU_DEP_1)
	v_clz_i32_u32_e32 v2, v140
	v_min_u32_e32 v2, 32, v2
	s_delay_alu instid0(VALU_DEP_1) | instskip(SKIP_1) | instid1(VALU_DEP_2)
	v_subrev_nc_u32_e32 v3, 28, v2
	v_sub_nc_u32_e32 v2, 29, v2
	v_lshlrev_b64 v[3:4], v3, v[140:141]
	s_delay_alu instid0(VALU_DEP_1)
	v_and_b32_e32 v140, 7, v3
; %bb.288:                              ;   in Loop: Header=BB287_11 Depth=1
	s_or_b32 exec_lo, exec_lo, s21
	v_lshlrev_b32_e32 v1, 24, v1
	s_delay_alu instid0(VALU_DEP_2) | instskip(SKIP_1) | instid1(VALU_DEP_3)
	v_lshlrev_b32_e32 v3, 20, v140
	v_lshl_add_u32 v2, v2, 23, 0x3c000000
	v_and_b32_e32 v1, 0x80000000, v1
	s_delay_alu instid0(VALU_DEP_1)
	v_or3_b32 v140, v3, v1, v2
	scratch_store_b64 off, v[140:141], s32 offset:600 ; 8-byte Folded Spill
.LBB287_289:                            ;   in Loop: Header=BB287_11 Depth=1
	s_or_b32 exec_lo, exec_lo, s20
.LBB287_290:                            ;   in Loop: Header=BB287_11 Depth=1
	s_delay_alu instid0(SALU_CYCLE_1)
	s_or_b32 exec_lo, exec_lo, s19
.LBB287_291:                            ;   in Loop: Header=BB287_11 Depth=1
	s_delay_alu instid0(SALU_CYCLE_1) | instskip(NEXT) | instid1(SALU_CYCLE_1)
	s_or_b32 exec_lo, exec_lo, s8
	s_mov_b32 s19, exec_lo
	v_cmpx_lt_u32_e32 0xffffff, v0
	s_cbranch_execz .LBB287_299
; %bb.292:                              ;   in Loop: Header=BB287_11 Depth=1
	v_lshrrev_b32_e32 v1, 24, v0
	v_dual_mov_b32 v2, s2 :: v_dual_mov_b32 v3, s3
	s_mov_b32 s20, exec_lo
	scratch_store_b64 off, v[2:3], s32 offset:592 ; 8-byte Folded Spill
	v_cmpx_ne_u32_e32 0x80, v1
	s_cbranch_execz .LBB287_298
; %bb.293:                              ;   in Loop: Header=BB287_11 Depth=1
	s_mov_b32 s8, s2
	v_bfe_u32 v2, v0, 24, 7
	v_dual_mov_b32 v3, s8 :: v_dual_mov_b32 v4, s9
	s_mov_b32 s8, exec_lo
	scratch_store_b64 off, v[3:4], s32 offset:592 ; 8-byte Folded Spill
	v_cmpx_ne_u32_e32 0x7f, v2
	s_cbranch_execz .LBB287_297
; %bb.294:                              ;   in Loop: Header=BB287_11 Depth=1
	v_and_b32_e32 v140, 7, v1
	v_lshrrev_b32_e32 v0, 3, v2
	s_mov_b32 s21, exec_lo
	v_cmpx_gt_u32_e32 8, v2
; %bb.295:                              ;   in Loop: Header=BB287_11 Depth=1
	s_delay_alu instid0(VALU_DEP_3) | instskip(NEXT) | instid1(VALU_DEP_1)
	v_clz_i32_u32_e32 v0, v140
	v_min_u32_e32 v0, 32, v0
	s_delay_alu instid0(VALU_DEP_1) | instskip(SKIP_1) | instid1(VALU_DEP_2)
	v_subrev_nc_u32_e32 v2, 28, v0
	v_sub_nc_u32_e32 v0, 29, v0
	v_lshlrev_b64 v[2:3], v2, v[140:141]
	s_delay_alu instid0(VALU_DEP_1)
	v_and_b32_e32 v140, 7, v2
; %bb.296:                              ;   in Loop: Header=BB287_11 Depth=1
	s_or_b32 exec_lo, exec_lo, s21
	v_lshlrev_b32_e32 v1, 24, v1
	s_delay_alu instid0(VALU_DEP_2) | instskip(SKIP_1) | instid1(VALU_DEP_3)
	v_lshlrev_b32_e32 v2, 20, v140
	v_lshl_add_u32 v0, v0, 23, 0x3c000000
	v_and_b32_e32 v1, 0x80000000, v1
	s_delay_alu instid0(VALU_DEP_1)
	v_or3_b32 v1, v2, v1, v0
	v_mov_b32_e32 v0, v141
	scratch_store_b64 off, v[0:1], s32 offset:592 ; 8-byte Folded Spill
.LBB287_297:                            ;   in Loop: Header=BB287_11 Depth=1
	s_or_b32 exec_lo, exec_lo, s8
.LBB287_298:                            ;   in Loop: Header=BB287_11 Depth=1
	s_delay_alu instid0(SALU_CYCLE_1)
	s_or_b32 exec_lo, exec_lo, s20
.LBB287_299:                            ;   in Loop: Header=BB287_11 Depth=1
	s_delay_alu instid0(SALU_CYCLE_1)
	s_or_b32 exec_lo, exec_lo, s19
	flat_load_b32 v0, v[37:38] offset:1028
	v_mov_b32_e32 v2, 0
	v_mov_b32_e32 v3, 0
	s_mov_b32 s8, exec_lo
	s_clause 0x1
	scratch_store_b64 off, v[2:3], s32 offset:608
	scratch_store_b64 off, v[2:3], s32 offset:616
	s_waitcnt vmcnt(0) lgkmcnt(0)
	v_and_b32_e32 v1, 0xff, v0
	s_delay_alu instid0(VALU_DEP_1)
	v_cmpx_ne_u16_e32 0, v1
	s_cbranch_execz .LBB287_307
; %bb.300:                              ;   in Loop: Header=BB287_11 Depth=1
	v_cmp_ne_u16_e64 s1, 0x80, v1
	v_bfrev_b32_e32 v1, 1
	v_mov_b32_e32 v2, 0
	scratch_store_b64 off, v[1:2], s32 offset:616 ; 8-byte Folded Spill
	s_and_saveexec_b32 s19, s1
	s_cbranch_execz .LBB287_306
; %bb.301:                              ;   in Loop: Header=BB287_11 Depth=1
	v_mov_b32_e32 v3, 0x7f800001
	v_and_b32_e32 v2, 0x7f, v0
	v_mov_b32_e32 v4, 0
	s_mov_b32 s20, exec_lo
	scratch_store_b64 off, v[3:4], s32 offset:616 ; 8-byte Folded Spill
	v_cmpx_ne_u32_e32 0x7f, v2
	s_cbranch_execz .LBB287_305
; %bb.302:                              ;   in Loop: Header=BB287_11 Depth=1
	v_and_b32_e32 v140, 7, v0
	v_lshrrev_b32_e32 v1, 3, v2
	s_mov_b32 s21, exec_lo
	v_cmpx_gt_u32_e32 8, v2
; %bb.303:                              ;   in Loop: Header=BB287_11 Depth=1
	s_delay_alu instid0(VALU_DEP_3) | instskip(NEXT) | instid1(VALU_DEP_1)
	v_clz_i32_u32_e32 v1, v140
	v_min_u32_e32 v1, 32, v1
	s_delay_alu instid0(VALU_DEP_1) | instskip(SKIP_1) | instid1(VALU_DEP_2)
	v_subrev_nc_u32_e32 v2, 28, v1
	v_sub_nc_u32_e32 v1, 29, v1
	v_lshlrev_b64 v[2:3], v2, v[140:141]
	s_delay_alu instid0(VALU_DEP_1)
	v_and_b32_e32 v140, 7, v2
; %bb.304:                              ;   in Loop: Header=BB287_11 Depth=1
	s_or_b32 exec_lo, exec_lo, s21
	v_lshlrev_b32_e32 v2, 24, v0
	s_delay_alu instid0(VALU_DEP_2) | instskip(SKIP_1) | instid1(VALU_DEP_3)
	v_lshlrev_b32_e32 v3, 20, v140
	v_lshl_add_u32 v1, v1, 23, 0x3c000000
	v_and_b32_e32 v2, 0x80000000, v2
	s_delay_alu instid0(VALU_DEP_1)
	v_or3_b32 v140, v3, v2, v1
	scratch_store_b64 off, v[140:141], s32 offset:616 ; 8-byte Folded Spill
.LBB287_305:                            ;   in Loop: Header=BB287_11 Depth=1
	s_or_b32 exec_lo, exec_lo, s20
.LBB287_306:                            ;   in Loop: Header=BB287_11 Depth=1
	s_delay_alu instid0(SALU_CYCLE_1)
	s_or_b32 exec_lo, exec_lo, s19
.LBB287_307:                            ;   in Loop: Header=BB287_11 Depth=1
	s_delay_alu instid0(SALU_CYCLE_1) | instskip(SKIP_2) | instid1(VALU_DEP_1)
	s_or_b32 exec_lo, exec_lo, s8
	v_lshrrev_b16 v1, 8, v0
	s_mov_b32 s19, exec_lo
	v_cmpx_ne_u16_e32 0, v1
	s_cbranch_execz .LBB287_315
; %bb.308:                              ;   in Loop: Header=BB287_11 Depth=1
	v_dual_mov_b32 v2, s2 :: v_dual_mov_b32 v3, s3
	s_mov_b32 s20, exec_lo
	scratch_store_b64 off, v[2:3], s32 offset:608 ; 8-byte Folded Spill
	v_cmpx_ne_u16_e32 0x80, v1
	s_cbranch_execz .LBB287_314
; %bb.309:                              ;   in Loop: Header=BB287_11 Depth=1
	s_mov_b32 s8, s2
	v_and_b32_e32 v1, 0xffff, v1
	v_dual_mov_b32 v3, s8 :: v_dual_mov_b32 v4, s9
	s_mov_b32 s8, exec_lo
	s_delay_alu instid0(VALU_DEP_2)
	v_and_b32_e32 v2, 0x7f, v1
	scratch_store_b64 off, v[3:4], s32 offset:608 ; 8-byte Folded Spill
	v_cmpx_ne_u32_e32 0x7f, v2
	s_cbranch_execz .LBB287_313
; %bb.310:                              ;   in Loop: Header=BB287_11 Depth=1
	v_and_b32_e32 v140, 7, v1
	v_lshrrev_b32_e32 v1, 3, v2
	s_mov_b32 s21, exec_lo
	v_cmpx_gt_u32_e32 8, v2
; %bb.311:                              ;   in Loop: Header=BB287_11 Depth=1
	s_delay_alu instid0(VALU_DEP_3) | instskip(NEXT) | instid1(VALU_DEP_1)
	v_clz_i32_u32_e32 v1, v140
	v_min_u32_e32 v1, 32, v1
	s_delay_alu instid0(VALU_DEP_1) | instskip(SKIP_1) | instid1(VALU_DEP_2)
	v_subrev_nc_u32_e32 v2, 28, v1
	v_sub_nc_u32_e32 v1, 29, v1
	v_lshlrev_b64 v[2:3], v2, v[140:141]
	s_delay_alu instid0(VALU_DEP_1)
	v_and_b32_e32 v140, 7, v2
; %bb.312:                              ;   in Loop: Header=BB287_11 Depth=1
	s_or_b32 exec_lo, exec_lo, s21
	v_lshlrev_b32_e32 v2, 16, v0
	s_delay_alu instid0(VALU_DEP_2) | instskip(SKIP_1) | instid1(VALU_DEP_3)
	v_lshlrev_b32_e32 v3, 20, v140
	v_lshl_add_u32 v1, v1, 23, 0x3c000000
	v_and_b32_e32 v2, 0x80000000, v2
	s_delay_alu instid0(VALU_DEP_1)
	v_or3_b32 v2, v3, v2, v1
	v_mov_b32_e32 v1, v141
	scratch_store_b64 off, v[1:2], s32 offset:608 ; 8-byte Folded Spill
.LBB287_313:                            ;   in Loop: Header=BB287_11 Depth=1
	s_or_b32 exec_lo, exec_lo, s8
.LBB287_314:                            ;   in Loop: Header=BB287_11 Depth=1
	s_delay_alu instid0(SALU_CYCLE_1)
	s_or_b32 exec_lo, exec_lo, s20
.LBB287_315:                            ;   in Loop: Header=BB287_11 Depth=1
	s_delay_alu instid0(SALU_CYCLE_1)
	s_or_b32 exec_lo, exec_lo, s19
	v_lshrrev_b32_e32 v1, 16, v0
	v_mov_b32_e32 v3, 0
	v_mov_b32_e32 v4, 0
	s_mov_b32 s8, exec_lo
	s_clause 0x1
	scratch_store_b64 off, v[3:4], s32 offset:624
	scratch_store_b64 off, v[3:4], s32 offset:632
	v_and_b32_e32 v2, 0xff, v1
	s_delay_alu instid0(VALU_DEP_1)
	v_cmpx_ne_u16_e32 0, v2
	s_cbranch_execz .LBB287_323
; %bb.316:                              ;   in Loop: Header=BB287_11 Depth=1
	v_cmp_ne_u16_e64 s1, 0x80, v2
	v_bfrev_b32_e32 v2, 1
	v_mov_b32_e32 v3, 0
	scratch_store_b64 off, v[2:3], s32 offset:632 ; 8-byte Folded Spill
	s_and_saveexec_b32 s19, s1
	s_cbranch_execz .LBB287_322
; %bb.317:                              ;   in Loop: Header=BB287_11 Depth=1
	v_mov_b32_e32 v4, 0x7f800001
	v_bfe_u32 v3, v0, 16, 7
	v_mov_b32_e32 v5, 0
	s_mov_b32 s20, exec_lo
	scratch_store_b64 off, v[4:5], s32 offset:632 ; 8-byte Folded Spill
	v_cmpx_ne_u32_e32 0x7f, v3
	s_cbranch_execz .LBB287_321
; %bb.318:                              ;   in Loop: Header=BB287_11 Depth=1
	v_and_b32_e32 v140, 7, v1
	v_lshrrev_b32_e32 v2, 3, v3
	s_mov_b32 s21, exec_lo
	v_cmpx_gt_u32_e32 8, v3
; %bb.319:                              ;   in Loop: Header=BB287_11 Depth=1
	s_delay_alu instid0(VALU_DEP_3) | instskip(NEXT) | instid1(VALU_DEP_1)
	v_clz_i32_u32_e32 v2, v140
	v_min_u32_e32 v2, 32, v2
	s_delay_alu instid0(VALU_DEP_1) | instskip(SKIP_1) | instid1(VALU_DEP_2)
	v_subrev_nc_u32_e32 v3, 28, v2
	v_sub_nc_u32_e32 v2, 29, v2
	v_lshlrev_b64 v[3:4], v3, v[140:141]
	s_delay_alu instid0(VALU_DEP_1)
	v_and_b32_e32 v140, 7, v3
; %bb.320:                              ;   in Loop: Header=BB287_11 Depth=1
	s_or_b32 exec_lo, exec_lo, s21
	v_lshlrev_b32_e32 v1, 24, v1
	s_delay_alu instid0(VALU_DEP_2) | instskip(SKIP_1) | instid1(VALU_DEP_3)
	v_lshlrev_b32_e32 v3, 20, v140
	v_lshl_add_u32 v2, v2, 23, 0x3c000000
	v_and_b32_e32 v1, 0x80000000, v1
	s_delay_alu instid0(VALU_DEP_1)
	v_or3_b32 v140, v3, v1, v2
	scratch_store_b64 off, v[140:141], s32 offset:632 ; 8-byte Folded Spill
.LBB287_321:                            ;   in Loop: Header=BB287_11 Depth=1
	s_or_b32 exec_lo, exec_lo, s20
.LBB287_322:                            ;   in Loop: Header=BB287_11 Depth=1
	s_delay_alu instid0(SALU_CYCLE_1)
	s_or_b32 exec_lo, exec_lo, s19
.LBB287_323:                            ;   in Loop: Header=BB287_11 Depth=1
	s_delay_alu instid0(SALU_CYCLE_1) | instskip(NEXT) | instid1(SALU_CYCLE_1)
	s_or_b32 exec_lo, exec_lo, s8
	s_mov_b32 s19, exec_lo
	v_cmpx_lt_u32_e32 0xffffff, v0
	s_cbranch_execz .LBB287_331
; %bb.324:                              ;   in Loop: Header=BB287_11 Depth=1
	v_lshrrev_b32_e32 v1, 24, v0
	v_dual_mov_b32 v2, s2 :: v_dual_mov_b32 v3, s3
	s_mov_b32 s20, exec_lo
	scratch_store_b64 off, v[2:3], s32 offset:624 ; 8-byte Folded Spill
	v_cmpx_ne_u32_e32 0x80, v1
	s_cbranch_execz .LBB287_330
; %bb.325:                              ;   in Loop: Header=BB287_11 Depth=1
	s_mov_b32 s8, s2
	v_bfe_u32 v2, v0, 24, 7
	v_dual_mov_b32 v3, s8 :: v_dual_mov_b32 v4, s9
	s_mov_b32 s8, exec_lo
	scratch_store_b64 off, v[3:4], s32 offset:624 ; 8-byte Folded Spill
	v_cmpx_ne_u32_e32 0x7f, v2
	s_cbranch_execz .LBB287_329
; %bb.326:                              ;   in Loop: Header=BB287_11 Depth=1
	v_and_b32_e32 v140, 7, v1
	v_lshrrev_b32_e32 v0, 3, v2
	s_mov_b32 s21, exec_lo
	v_cmpx_gt_u32_e32 8, v2
; %bb.327:                              ;   in Loop: Header=BB287_11 Depth=1
	s_delay_alu instid0(VALU_DEP_3) | instskip(NEXT) | instid1(VALU_DEP_1)
	v_clz_i32_u32_e32 v0, v140
	v_min_u32_e32 v0, 32, v0
	s_delay_alu instid0(VALU_DEP_1) | instskip(SKIP_1) | instid1(VALU_DEP_2)
	v_subrev_nc_u32_e32 v2, 28, v0
	v_sub_nc_u32_e32 v0, 29, v0
	v_lshlrev_b64 v[2:3], v2, v[140:141]
	s_delay_alu instid0(VALU_DEP_1)
	v_and_b32_e32 v140, 7, v2
; %bb.328:                              ;   in Loop: Header=BB287_11 Depth=1
	s_or_b32 exec_lo, exec_lo, s21
	v_lshlrev_b32_e32 v1, 24, v1
	s_delay_alu instid0(VALU_DEP_2) | instskip(SKIP_1) | instid1(VALU_DEP_3)
	v_lshlrev_b32_e32 v2, 20, v140
	v_lshl_add_u32 v0, v0, 23, 0x3c000000
	v_and_b32_e32 v1, 0x80000000, v1
	s_delay_alu instid0(VALU_DEP_1)
	v_or3_b32 v1, v2, v1, v0
	v_mov_b32_e32 v0, v141
	scratch_store_b64 off, v[0:1], s32 offset:624 ; 8-byte Folded Spill
.LBB287_329:                            ;   in Loop: Header=BB287_11 Depth=1
	s_or_b32 exec_lo, exec_lo, s8
.LBB287_330:                            ;   in Loop: Header=BB287_11 Depth=1
	s_delay_alu instid0(SALU_CYCLE_1)
	s_or_b32 exec_lo, exec_lo, s20
.LBB287_331:                            ;   in Loop: Header=BB287_11 Depth=1
	s_delay_alu instid0(SALU_CYCLE_1)
	s_or_b32 exec_lo, exec_lo, s19
	flat_load_b32 v0, v[37:38] offset:1032
	v_mov_b32_e32 v2, 0
	v_mov_b32_e32 v3, 0
	s_mov_b32 s8, exec_lo
	s_clause 0x1
	scratch_store_b64 off, v[2:3], s32 offset:640
	scratch_store_b64 off, v[2:3], s32 offset:648
	s_waitcnt vmcnt(0) lgkmcnt(0)
	v_and_b32_e32 v1, 0xff, v0
	s_delay_alu instid0(VALU_DEP_1)
	v_cmpx_ne_u16_e32 0, v1
	s_cbranch_execz .LBB287_339
; %bb.332:                              ;   in Loop: Header=BB287_11 Depth=1
	v_cmp_ne_u16_e64 s1, 0x80, v1
	v_bfrev_b32_e32 v1, 1
	v_mov_b32_e32 v2, 0
	scratch_store_b64 off, v[1:2], s32 offset:648 ; 8-byte Folded Spill
	s_and_saveexec_b32 s19, s1
	s_cbranch_execz .LBB287_338
; %bb.333:                              ;   in Loop: Header=BB287_11 Depth=1
	v_mov_b32_e32 v3, 0x7f800001
	v_and_b32_e32 v2, 0x7f, v0
	v_mov_b32_e32 v4, 0
	s_mov_b32 s20, exec_lo
	scratch_store_b64 off, v[3:4], s32 offset:648 ; 8-byte Folded Spill
	v_cmpx_ne_u32_e32 0x7f, v2
	s_cbranch_execz .LBB287_337
; %bb.334:                              ;   in Loop: Header=BB287_11 Depth=1
	v_and_b32_e32 v140, 7, v0
	v_lshrrev_b32_e32 v1, 3, v2
	s_mov_b32 s21, exec_lo
	v_cmpx_gt_u32_e32 8, v2
; %bb.335:                              ;   in Loop: Header=BB287_11 Depth=1
	s_delay_alu instid0(VALU_DEP_3) | instskip(NEXT) | instid1(VALU_DEP_1)
	v_clz_i32_u32_e32 v1, v140
	v_min_u32_e32 v1, 32, v1
	s_delay_alu instid0(VALU_DEP_1) | instskip(SKIP_1) | instid1(VALU_DEP_2)
	v_subrev_nc_u32_e32 v2, 28, v1
	v_sub_nc_u32_e32 v1, 29, v1
	v_lshlrev_b64 v[2:3], v2, v[140:141]
	s_delay_alu instid0(VALU_DEP_1)
	v_and_b32_e32 v140, 7, v2
; %bb.336:                              ;   in Loop: Header=BB287_11 Depth=1
	s_or_b32 exec_lo, exec_lo, s21
	v_lshlrev_b32_e32 v2, 24, v0
	s_delay_alu instid0(VALU_DEP_2) | instskip(SKIP_1) | instid1(VALU_DEP_3)
	v_lshlrev_b32_e32 v3, 20, v140
	v_lshl_add_u32 v1, v1, 23, 0x3c000000
	v_and_b32_e32 v2, 0x80000000, v2
	s_delay_alu instid0(VALU_DEP_1)
	v_or3_b32 v140, v3, v2, v1
	scratch_store_b64 off, v[140:141], s32 offset:648 ; 8-byte Folded Spill
.LBB287_337:                            ;   in Loop: Header=BB287_11 Depth=1
	s_or_b32 exec_lo, exec_lo, s20
.LBB287_338:                            ;   in Loop: Header=BB287_11 Depth=1
	s_delay_alu instid0(SALU_CYCLE_1)
	s_or_b32 exec_lo, exec_lo, s19
.LBB287_339:                            ;   in Loop: Header=BB287_11 Depth=1
	s_delay_alu instid0(SALU_CYCLE_1) | instskip(SKIP_2) | instid1(VALU_DEP_1)
	s_or_b32 exec_lo, exec_lo, s8
	v_lshrrev_b16 v1, 8, v0
	s_mov_b32 s19, exec_lo
	v_cmpx_ne_u16_e32 0, v1
	s_cbranch_execz .LBB287_347
; %bb.340:                              ;   in Loop: Header=BB287_11 Depth=1
	v_dual_mov_b32 v2, s2 :: v_dual_mov_b32 v3, s3
	s_mov_b32 s20, exec_lo
	scratch_store_b64 off, v[2:3], s32 offset:640 ; 8-byte Folded Spill
	v_cmpx_ne_u16_e32 0x80, v1
	s_cbranch_execz .LBB287_346
; %bb.341:                              ;   in Loop: Header=BB287_11 Depth=1
	s_mov_b32 s8, s2
	v_and_b32_e32 v1, 0xffff, v1
	v_dual_mov_b32 v3, s8 :: v_dual_mov_b32 v4, s9
	s_mov_b32 s8, exec_lo
	s_delay_alu instid0(VALU_DEP_2)
	v_and_b32_e32 v2, 0x7f, v1
	scratch_store_b64 off, v[3:4], s32 offset:640 ; 8-byte Folded Spill
	v_cmpx_ne_u32_e32 0x7f, v2
	s_cbranch_execz .LBB287_345
; %bb.342:                              ;   in Loop: Header=BB287_11 Depth=1
	v_and_b32_e32 v140, 7, v1
	v_lshrrev_b32_e32 v1, 3, v2
	s_mov_b32 s21, exec_lo
	v_cmpx_gt_u32_e32 8, v2
; %bb.343:                              ;   in Loop: Header=BB287_11 Depth=1
	s_delay_alu instid0(VALU_DEP_3) | instskip(NEXT) | instid1(VALU_DEP_1)
	v_clz_i32_u32_e32 v1, v140
	v_min_u32_e32 v1, 32, v1
	s_delay_alu instid0(VALU_DEP_1) | instskip(SKIP_1) | instid1(VALU_DEP_2)
	v_subrev_nc_u32_e32 v2, 28, v1
	v_sub_nc_u32_e32 v1, 29, v1
	v_lshlrev_b64 v[2:3], v2, v[140:141]
	s_delay_alu instid0(VALU_DEP_1)
	v_and_b32_e32 v140, 7, v2
; %bb.344:                              ;   in Loop: Header=BB287_11 Depth=1
	s_or_b32 exec_lo, exec_lo, s21
	v_lshlrev_b32_e32 v2, 16, v0
	s_delay_alu instid0(VALU_DEP_2) | instskip(SKIP_1) | instid1(VALU_DEP_3)
	v_lshlrev_b32_e32 v3, 20, v140
	v_lshl_add_u32 v1, v1, 23, 0x3c000000
	v_and_b32_e32 v2, 0x80000000, v2
	s_delay_alu instid0(VALU_DEP_1)
	v_or3_b32 v2, v3, v2, v1
	v_mov_b32_e32 v1, v141
	scratch_store_b64 off, v[1:2], s32 offset:640 ; 8-byte Folded Spill
.LBB287_345:                            ;   in Loop: Header=BB287_11 Depth=1
	s_or_b32 exec_lo, exec_lo, s8
.LBB287_346:                            ;   in Loop: Header=BB287_11 Depth=1
	s_delay_alu instid0(SALU_CYCLE_1)
	s_or_b32 exec_lo, exec_lo, s20
.LBB287_347:                            ;   in Loop: Header=BB287_11 Depth=1
	s_delay_alu instid0(SALU_CYCLE_1)
	s_or_b32 exec_lo, exec_lo, s19
	v_lshrrev_b32_e32 v1, 16, v0
	v_mov_b32_e32 v3, 0
	v_mov_b32_e32 v4, 0
	s_mov_b32 s8, exec_lo
	s_clause 0x1
	scratch_store_b64 off, v[3:4], s32 offset:656
	scratch_store_b64 off, v[3:4], s32 offset:664
	v_and_b32_e32 v2, 0xff, v1
	s_delay_alu instid0(VALU_DEP_1)
	v_cmpx_ne_u16_e32 0, v2
	s_cbranch_execz .LBB287_355
; %bb.348:                              ;   in Loop: Header=BB287_11 Depth=1
	v_cmp_ne_u16_e64 s1, 0x80, v2
	v_bfrev_b32_e32 v2, 1
	v_mov_b32_e32 v3, 0
	scratch_store_b64 off, v[2:3], s32 offset:664 ; 8-byte Folded Spill
	s_and_saveexec_b32 s19, s1
	s_cbranch_execz .LBB287_354
; %bb.349:                              ;   in Loop: Header=BB287_11 Depth=1
	v_mov_b32_e32 v4, 0x7f800001
	v_bfe_u32 v3, v0, 16, 7
	v_mov_b32_e32 v5, 0
	s_mov_b32 s20, exec_lo
	scratch_store_b64 off, v[4:5], s32 offset:664 ; 8-byte Folded Spill
	v_cmpx_ne_u32_e32 0x7f, v3
	s_cbranch_execz .LBB287_353
; %bb.350:                              ;   in Loop: Header=BB287_11 Depth=1
	v_and_b32_e32 v140, 7, v1
	v_lshrrev_b32_e32 v2, 3, v3
	s_mov_b32 s21, exec_lo
	v_cmpx_gt_u32_e32 8, v3
; %bb.351:                              ;   in Loop: Header=BB287_11 Depth=1
	s_delay_alu instid0(VALU_DEP_3) | instskip(NEXT) | instid1(VALU_DEP_1)
	v_clz_i32_u32_e32 v2, v140
	v_min_u32_e32 v2, 32, v2
	s_delay_alu instid0(VALU_DEP_1) | instskip(SKIP_1) | instid1(VALU_DEP_2)
	v_subrev_nc_u32_e32 v3, 28, v2
	v_sub_nc_u32_e32 v2, 29, v2
	v_lshlrev_b64 v[3:4], v3, v[140:141]
	s_delay_alu instid0(VALU_DEP_1)
	v_and_b32_e32 v140, 7, v3
; %bb.352:                              ;   in Loop: Header=BB287_11 Depth=1
	s_or_b32 exec_lo, exec_lo, s21
	v_lshlrev_b32_e32 v1, 24, v1
	s_delay_alu instid0(VALU_DEP_2) | instskip(SKIP_1) | instid1(VALU_DEP_3)
	v_lshlrev_b32_e32 v3, 20, v140
	v_lshl_add_u32 v2, v2, 23, 0x3c000000
	v_and_b32_e32 v1, 0x80000000, v1
	s_delay_alu instid0(VALU_DEP_1)
	v_or3_b32 v140, v3, v1, v2
	scratch_store_b64 off, v[140:141], s32 offset:664 ; 8-byte Folded Spill
.LBB287_353:                            ;   in Loop: Header=BB287_11 Depth=1
	s_or_b32 exec_lo, exec_lo, s20
.LBB287_354:                            ;   in Loop: Header=BB287_11 Depth=1
	s_delay_alu instid0(SALU_CYCLE_1)
	s_or_b32 exec_lo, exec_lo, s19
.LBB287_355:                            ;   in Loop: Header=BB287_11 Depth=1
	s_delay_alu instid0(SALU_CYCLE_1) | instskip(NEXT) | instid1(SALU_CYCLE_1)
	s_or_b32 exec_lo, exec_lo, s8
	s_mov_b32 s19, exec_lo
	v_cmpx_lt_u32_e32 0xffffff, v0
	s_cbranch_execz .LBB287_363
; %bb.356:                              ;   in Loop: Header=BB287_11 Depth=1
	v_lshrrev_b32_e32 v1, 24, v0
	v_dual_mov_b32 v2, s2 :: v_dual_mov_b32 v3, s3
	s_mov_b32 s20, exec_lo
	scratch_store_b64 off, v[2:3], s32 offset:656 ; 8-byte Folded Spill
	v_cmpx_ne_u32_e32 0x80, v1
	s_cbranch_execz .LBB287_362
; %bb.357:                              ;   in Loop: Header=BB287_11 Depth=1
	s_mov_b32 s8, s2
	v_bfe_u32 v2, v0, 24, 7
	v_dual_mov_b32 v3, s8 :: v_dual_mov_b32 v4, s9
	s_mov_b32 s8, exec_lo
	scratch_store_b64 off, v[3:4], s32 offset:656 ; 8-byte Folded Spill
	v_cmpx_ne_u32_e32 0x7f, v2
	s_cbranch_execz .LBB287_361
; %bb.358:                              ;   in Loop: Header=BB287_11 Depth=1
	v_and_b32_e32 v140, 7, v1
	v_lshrrev_b32_e32 v0, 3, v2
	s_mov_b32 s21, exec_lo
	v_cmpx_gt_u32_e32 8, v2
; %bb.359:                              ;   in Loop: Header=BB287_11 Depth=1
	s_delay_alu instid0(VALU_DEP_3) | instskip(NEXT) | instid1(VALU_DEP_1)
	v_clz_i32_u32_e32 v0, v140
	v_min_u32_e32 v0, 32, v0
	s_delay_alu instid0(VALU_DEP_1) | instskip(SKIP_1) | instid1(VALU_DEP_2)
	v_subrev_nc_u32_e32 v2, 28, v0
	v_sub_nc_u32_e32 v0, 29, v0
	v_lshlrev_b64 v[2:3], v2, v[140:141]
	s_delay_alu instid0(VALU_DEP_1)
	v_and_b32_e32 v140, 7, v2
; %bb.360:                              ;   in Loop: Header=BB287_11 Depth=1
	s_or_b32 exec_lo, exec_lo, s21
	v_lshlrev_b32_e32 v1, 24, v1
	s_delay_alu instid0(VALU_DEP_2) | instskip(SKIP_1) | instid1(VALU_DEP_3)
	v_lshlrev_b32_e32 v2, 20, v140
	v_lshl_add_u32 v0, v0, 23, 0x3c000000
	v_and_b32_e32 v1, 0x80000000, v1
	s_delay_alu instid0(VALU_DEP_1)
	v_or3_b32 v1, v2, v1, v0
	v_mov_b32_e32 v0, v141
	scratch_store_b64 off, v[0:1], s32 offset:656 ; 8-byte Folded Spill
.LBB287_361:                            ;   in Loop: Header=BB287_11 Depth=1
	s_or_b32 exec_lo, exec_lo, s8
.LBB287_362:                            ;   in Loop: Header=BB287_11 Depth=1
	s_delay_alu instid0(SALU_CYCLE_1)
	s_or_b32 exec_lo, exec_lo, s20
.LBB287_363:                            ;   in Loop: Header=BB287_11 Depth=1
	s_delay_alu instid0(SALU_CYCLE_1)
	s_or_b32 exec_lo, exec_lo, s19
	flat_load_b32 v0, v[37:38] offset:1036
	v_mov_b32_e32 v2, 0
	v_mov_b32_e32 v3, 0
	s_mov_b32 s8, exec_lo
	s_clause 0x1
	scratch_store_b64 off, v[2:3], s32 offset:672
	scratch_store_b64 off, v[2:3], s32 offset:680
	s_waitcnt vmcnt(0) lgkmcnt(0)
	v_and_b32_e32 v1, 0xff, v0
	s_delay_alu instid0(VALU_DEP_1)
	v_cmpx_ne_u16_e32 0, v1
	s_cbranch_execz .LBB287_371
; %bb.364:                              ;   in Loop: Header=BB287_11 Depth=1
	v_cmp_ne_u16_e64 s1, 0x80, v1
	v_bfrev_b32_e32 v1, 1
	v_mov_b32_e32 v2, 0
	scratch_store_b64 off, v[1:2], s32 offset:680 ; 8-byte Folded Spill
	s_and_saveexec_b32 s19, s1
	s_cbranch_execz .LBB287_370
; %bb.365:                              ;   in Loop: Header=BB287_11 Depth=1
	v_mov_b32_e32 v3, 0x7f800001
	v_and_b32_e32 v2, 0x7f, v0
	v_mov_b32_e32 v4, 0
	s_mov_b32 s20, exec_lo
	scratch_store_b64 off, v[3:4], s32 offset:680 ; 8-byte Folded Spill
	v_cmpx_ne_u32_e32 0x7f, v2
	s_cbranch_execz .LBB287_369
; %bb.366:                              ;   in Loop: Header=BB287_11 Depth=1
	v_and_b32_e32 v140, 7, v0
	v_lshrrev_b32_e32 v1, 3, v2
	s_mov_b32 s21, exec_lo
	v_cmpx_gt_u32_e32 8, v2
; %bb.367:                              ;   in Loop: Header=BB287_11 Depth=1
	s_delay_alu instid0(VALU_DEP_3) | instskip(NEXT) | instid1(VALU_DEP_1)
	v_clz_i32_u32_e32 v1, v140
	v_min_u32_e32 v1, 32, v1
	s_delay_alu instid0(VALU_DEP_1) | instskip(SKIP_1) | instid1(VALU_DEP_2)
	v_subrev_nc_u32_e32 v2, 28, v1
	v_sub_nc_u32_e32 v1, 29, v1
	v_lshlrev_b64 v[2:3], v2, v[140:141]
	s_delay_alu instid0(VALU_DEP_1)
	v_and_b32_e32 v140, 7, v2
; %bb.368:                              ;   in Loop: Header=BB287_11 Depth=1
	s_or_b32 exec_lo, exec_lo, s21
	v_lshlrev_b32_e32 v2, 24, v0
	s_delay_alu instid0(VALU_DEP_2) | instskip(SKIP_1) | instid1(VALU_DEP_3)
	v_lshlrev_b32_e32 v3, 20, v140
	v_lshl_add_u32 v1, v1, 23, 0x3c000000
	v_and_b32_e32 v2, 0x80000000, v2
	s_delay_alu instid0(VALU_DEP_1)
	v_or3_b32 v140, v3, v2, v1
	scratch_store_b64 off, v[140:141], s32 offset:680 ; 8-byte Folded Spill
.LBB287_369:                            ;   in Loop: Header=BB287_11 Depth=1
	s_or_b32 exec_lo, exec_lo, s20
.LBB287_370:                            ;   in Loop: Header=BB287_11 Depth=1
	s_delay_alu instid0(SALU_CYCLE_1)
	s_or_b32 exec_lo, exec_lo, s19
.LBB287_371:                            ;   in Loop: Header=BB287_11 Depth=1
	s_delay_alu instid0(SALU_CYCLE_1) | instskip(SKIP_2) | instid1(VALU_DEP_1)
	s_or_b32 exec_lo, exec_lo, s8
	v_lshrrev_b16 v1, 8, v0
	s_mov_b32 s19, exec_lo
	v_cmpx_ne_u16_e32 0, v1
	s_cbranch_execz .LBB287_379
; %bb.372:                              ;   in Loop: Header=BB287_11 Depth=1
	v_dual_mov_b32 v2, s2 :: v_dual_mov_b32 v3, s3
	s_mov_b32 s20, exec_lo
	scratch_store_b64 off, v[2:3], s32 offset:672 ; 8-byte Folded Spill
	v_cmpx_ne_u16_e32 0x80, v1
	s_cbranch_execz .LBB287_378
; %bb.373:                              ;   in Loop: Header=BB287_11 Depth=1
	s_mov_b32 s8, s2
	v_and_b32_e32 v1, 0xffff, v1
	v_dual_mov_b32 v3, s8 :: v_dual_mov_b32 v4, s9
	s_mov_b32 s8, exec_lo
	s_delay_alu instid0(VALU_DEP_2)
	v_and_b32_e32 v2, 0x7f, v1
	scratch_store_b64 off, v[3:4], s32 offset:672 ; 8-byte Folded Spill
	v_cmpx_ne_u32_e32 0x7f, v2
	s_cbranch_execz .LBB287_377
; %bb.374:                              ;   in Loop: Header=BB287_11 Depth=1
	v_and_b32_e32 v140, 7, v1
	v_lshrrev_b32_e32 v1, 3, v2
	s_mov_b32 s21, exec_lo
	v_cmpx_gt_u32_e32 8, v2
; %bb.375:                              ;   in Loop: Header=BB287_11 Depth=1
	s_delay_alu instid0(VALU_DEP_3) | instskip(NEXT) | instid1(VALU_DEP_1)
	v_clz_i32_u32_e32 v1, v140
	v_min_u32_e32 v1, 32, v1
	s_delay_alu instid0(VALU_DEP_1) | instskip(SKIP_1) | instid1(VALU_DEP_2)
	v_subrev_nc_u32_e32 v2, 28, v1
	v_sub_nc_u32_e32 v1, 29, v1
	v_lshlrev_b64 v[2:3], v2, v[140:141]
	s_delay_alu instid0(VALU_DEP_1)
	v_and_b32_e32 v140, 7, v2
; %bb.376:                              ;   in Loop: Header=BB287_11 Depth=1
	s_or_b32 exec_lo, exec_lo, s21
	v_lshlrev_b32_e32 v2, 16, v0
	s_delay_alu instid0(VALU_DEP_2) | instskip(SKIP_1) | instid1(VALU_DEP_3)
	v_lshlrev_b32_e32 v3, 20, v140
	v_lshl_add_u32 v1, v1, 23, 0x3c000000
	v_and_b32_e32 v2, 0x80000000, v2
	s_delay_alu instid0(VALU_DEP_1)
	v_or3_b32 v2, v3, v2, v1
	v_mov_b32_e32 v1, v141
	scratch_store_b64 off, v[1:2], s32 offset:672 ; 8-byte Folded Spill
.LBB287_377:                            ;   in Loop: Header=BB287_11 Depth=1
	s_or_b32 exec_lo, exec_lo, s8
.LBB287_378:                            ;   in Loop: Header=BB287_11 Depth=1
	s_delay_alu instid0(SALU_CYCLE_1)
	s_or_b32 exec_lo, exec_lo, s20
.LBB287_379:                            ;   in Loop: Header=BB287_11 Depth=1
	s_delay_alu instid0(SALU_CYCLE_1)
	s_or_b32 exec_lo, exec_lo, s19
	v_lshrrev_b32_e32 v1, 16, v0
	v_mov_b32_e32 v3, 0
	v_mov_b32_e32 v4, 0
	s_mov_b32 s8, exec_lo
	s_clause 0x1
	scratch_store_b64 off, v[3:4], s32 offset:688
	scratch_store_b64 off, v[3:4], s32 offset:696
	v_and_b32_e32 v2, 0xff, v1
	s_delay_alu instid0(VALU_DEP_1)
	v_cmpx_ne_u16_e32 0, v2
	s_cbranch_execz .LBB287_387
; %bb.380:                              ;   in Loop: Header=BB287_11 Depth=1
	v_cmp_ne_u16_e64 s1, 0x80, v2
	v_bfrev_b32_e32 v2, 1
	v_mov_b32_e32 v3, 0
	scratch_store_b64 off, v[2:3], s32 offset:696 ; 8-byte Folded Spill
	s_and_saveexec_b32 s19, s1
	s_cbranch_execz .LBB287_386
; %bb.381:                              ;   in Loop: Header=BB287_11 Depth=1
	v_mov_b32_e32 v4, 0x7f800001
	v_bfe_u32 v3, v0, 16, 7
	v_mov_b32_e32 v5, 0
	s_mov_b32 s20, exec_lo
	scratch_store_b64 off, v[4:5], s32 offset:696 ; 8-byte Folded Spill
	v_cmpx_ne_u32_e32 0x7f, v3
	s_cbranch_execz .LBB287_385
; %bb.382:                              ;   in Loop: Header=BB287_11 Depth=1
	v_and_b32_e32 v140, 7, v1
	v_lshrrev_b32_e32 v2, 3, v3
	s_mov_b32 s21, exec_lo
	v_cmpx_gt_u32_e32 8, v3
; %bb.383:                              ;   in Loop: Header=BB287_11 Depth=1
	s_delay_alu instid0(VALU_DEP_3) | instskip(NEXT) | instid1(VALU_DEP_1)
	v_clz_i32_u32_e32 v2, v140
	v_min_u32_e32 v2, 32, v2
	s_delay_alu instid0(VALU_DEP_1) | instskip(SKIP_1) | instid1(VALU_DEP_2)
	v_subrev_nc_u32_e32 v3, 28, v2
	v_sub_nc_u32_e32 v2, 29, v2
	v_lshlrev_b64 v[3:4], v3, v[140:141]
	s_delay_alu instid0(VALU_DEP_1)
	v_and_b32_e32 v140, 7, v3
; %bb.384:                              ;   in Loop: Header=BB287_11 Depth=1
	s_or_b32 exec_lo, exec_lo, s21
	v_lshlrev_b32_e32 v1, 24, v1
	s_delay_alu instid0(VALU_DEP_2) | instskip(SKIP_1) | instid1(VALU_DEP_3)
	v_lshlrev_b32_e32 v3, 20, v140
	v_lshl_add_u32 v2, v2, 23, 0x3c000000
	v_and_b32_e32 v1, 0x80000000, v1
	s_delay_alu instid0(VALU_DEP_1)
	v_or3_b32 v140, v3, v1, v2
	scratch_store_b64 off, v[140:141], s32 offset:696 ; 8-byte Folded Spill
.LBB287_385:                            ;   in Loop: Header=BB287_11 Depth=1
	s_or_b32 exec_lo, exec_lo, s20
.LBB287_386:                            ;   in Loop: Header=BB287_11 Depth=1
	s_delay_alu instid0(SALU_CYCLE_1)
	s_or_b32 exec_lo, exec_lo, s19
.LBB287_387:                            ;   in Loop: Header=BB287_11 Depth=1
	s_delay_alu instid0(SALU_CYCLE_1) | instskip(NEXT) | instid1(SALU_CYCLE_1)
	s_or_b32 exec_lo, exec_lo, s8
	s_mov_b32 s19, exec_lo
	v_cmpx_lt_u32_e32 0xffffff, v0
	s_cbranch_execz .LBB287_395
; %bb.388:                              ;   in Loop: Header=BB287_11 Depth=1
	v_lshrrev_b32_e32 v1, 24, v0
	v_dual_mov_b32 v2, s2 :: v_dual_mov_b32 v3, s3
	s_mov_b32 s20, exec_lo
	scratch_store_b64 off, v[2:3], s32 offset:688 ; 8-byte Folded Spill
	v_cmpx_ne_u32_e32 0x80, v1
	s_cbranch_execz .LBB287_394
; %bb.389:                              ;   in Loop: Header=BB287_11 Depth=1
	s_mov_b32 s8, s2
	v_bfe_u32 v2, v0, 24, 7
	v_dual_mov_b32 v3, s8 :: v_dual_mov_b32 v4, s9
	s_mov_b32 s8, exec_lo
	scratch_store_b64 off, v[3:4], s32 offset:688 ; 8-byte Folded Spill
	v_cmpx_ne_u32_e32 0x7f, v2
	s_cbranch_execz .LBB287_393
; %bb.390:                              ;   in Loop: Header=BB287_11 Depth=1
	v_and_b32_e32 v140, 7, v1
	v_lshrrev_b32_e32 v0, 3, v2
	s_mov_b32 s21, exec_lo
	v_cmpx_gt_u32_e32 8, v2
; %bb.391:                              ;   in Loop: Header=BB287_11 Depth=1
	s_delay_alu instid0(VALU_DEP_3) | instskip(NEXT) | instid1(VALU_DEP_1)
	v_clz_i32_u32_e32 v0, v140
	v_min_u32_e32 v0, 32, v0
	s_delay_alu instid0(VALU_DEP_1) | instskip(SKIP_1) | instid1(VALU_DEP_2)
	v_subrev_nc_u32_e32 v2, 28, v0
	v_sub_nc_u32_e32 v0, 29, v0
	v_lshlrev_b64 v[2:3], v2, v[140:141]
	s_delay_alu instid0(VALU_DEP_1)
	v_and_b32_e32 v140, 7, v2
; %bb.392:                              ;   in Loop: Header=BB287_11 Depth=1
	s_or_b32 exec_lo, exec_lo, s21
	v_lshlrev_b32_e32 v1, 24, v1
	s_delay_alu instid0(VALU_DEP_2) | instskip(SKIP_1) | instid1(VALU_DEP_3)
	v_lshlrev_b32_e32 v2, 20, v140
	v_lshl_add_u32 v0, v0, 23, 0x3c000000
	v_and_b32_e32 v1, 0x80000000, v1
	s_delay_alu instid0(VALU_DEP_1)
	v_or3_b32 v1, v2, v1, v0
	v_mov_b32_e32 v0, v141
	scratch_store_b64 off, v[0:1], s32 offset:688 ; 8-byte Folded Spill
.LBB287_393:                            ;   in Loop: Header=BB287_11 Depth=1
	s_or_b32 exec_lo, exec_lo, s8
.LBB287_394:                            ;   in Loop: Header=BB287_11 Depth=1
	s_delay_alu instid0(SALU_CYCLE_1)
	s_or_b32 exec_lo, exec_lo, s20
.LBB287_395:                            ;   in Loop: Header=BB287_11 Depth=1
	s_delay_alu instid0(SALU_CYCLE_1)
	s_or_b32 exec_lo, exec_lo, s19
	flat_load_b32 v0, v[37:38] offset:1536
	v_mov_b32_e32 v2, 0
	v_mov_b32_e32 v3, 0
	s_mov_b32 s8, exec_lo
	s_clause 0x1
	scratch_store_b64 off, v[2:3], s32 offset:704
	scratch_store_b64 off, v[2:3], s32 offset:712
	s_waitcnt vmcnt(0) lgkmcnt(0)
	v_and_b32_e32 v1, 0xff, v0
	s_delay_alu instid0(VALU_DEP_1)
	v_cmpx_ne_u16_e32 0, v1
	s_cbranch_execz .LBB287_403
; %bb.396:                              ;   in Loop: Header=BB287_11 Depth=1
	v_cmp_ne_u16_e64 s1, 0x80, v1
	v_bfrev_b32_e32 v1, 1
	v_mov_b32_e32 v2, 0
	scratch_store_b64 off, v[1:2], s32 offset:712 ; 8-byte Folded Spill
	s_and_saveexec_b32 s19, s1
	s_cbranch_execz .LBB287_402
; %bb.397:                              ;   in Loop: Header=BB287_11 Depth=1
	v_mov_b32_e32 v3, 0x7f800001
	v_and_b32_e32 v2, 0x7f, v0
	v_mov_b32_e32 v4, 0
	s_mov_b32 s20, exec_lo
	scratch_store_b64 off, v[3:4], s32 offset:712 ; 8-byte Folded Spill
	v_cmpx_ne_u32_e32 0x7f, v2
	s_cbranch_execz .LBB287_401
; %bb.398:                              ;   in Loop: Header=BB287_11 Depth=1
	v_and_b32_e32 v140, 7, v0
	v_lshrrev_b32_e32 v1, 3, v2
	s_mov_b32 s21, exec_lo
	v_cmpx_gt_u32_e32 8, v2
; %bb.399:                              ;   in Loop: Header=BB287_11 Depth=1
	s_delay_alu instid0(VALU_DEP_3) | instskip(NEXT) | instid1(VALU_DEP_1)
	v_clz_i32_u32_e32 v1, v140
	v_min_u32_e32 v1, 32, v1
	s_delay_alu instid0(VALU_DEP_1) | instskip(SKIP_1) | instid1(VALU_DEP_2)
	v_subrev_nc_u32_e32 v2, 28, v1
	v_sub_nc_u32_e32 v1, 29, v1
	v_lshlrev_b64 v[2:3], v2, v[140:141]
	s_delay_alu instid0(VALU_DEP_1)
	v_and_b32_e32 v140, 7, v2
; %bb.400:                              ;   in Loop: Header=BB287_11 Depth=1
	s_or_b32 exec_lo, exec_lo, s21
	v_lshlrev_b32_e32 v2, 24, v0
	s_delay_alu instid0(VALU_DEP_2) | instskip(SKIP_1) | instid1(VALU_DEP_3)
	v_lshlrev_b32_e32 v3, 20, v140
	v_lshl_add_u32 v1, v1, 23, 0x3c000000
	v_and_b32_e32 v2, 0x80000000, v2
	s_delay_alu instid0(VALU_DEP_1)
	v_or3_b32 v140, v3, v2, v1
	scratch_store_b64 off, v[140:141], s32 offset:712 ; 8-byte Folded Spill
.LBB287_401:                            ;   in Loop: Header=BB287_11 Depth=1
	s_or_b32 exec_lo, exec_lo, s20
.LBB287_402:                            ;   in Loop: Header=BB287_11 Depth=1
	s_delay_alu instid0(SALU_CYCLE_1)
	s_or_b32 exec_lo, exec_lo, s19
.LBB287_403:                            ;   in Loop: Header=BB287_11 Depth=1
	s_delay_alu instid0(SALU_CYCLE_1) | instskip(SKIP_2) | instid1(VALU_DEP_1)
	s_or_b32 exec_lo, exec_lo, s8
	v_lshrrev_b16 v1, 8, v0
	s_mov_b32 s19, exec_lo
	v_cmpx_ne_u16_e32 0, v1
	s_cbranch_execz .LBB287_411
; %bb.404:                              ;   in Loop: Header=BB287_11 Depth=1
	v_dual_mov_b32 v2, s2 :: v_dual_mov_b32 v3, s3
	s_mov_b32 s20, exec_lo
	scratch_store_b64 off, v[2:3], s32 offset:704 ; 8-byte Folded Spill
	v_cmpx_ne_u16_e32 0x80, v1
	s_cbranch_execz .LBB287_410
; %bb.405:                              ;   in Loop: Header=BB287_11 Depth=1
	s_mov_b32 s8, s2
	v_and_b32_e32 v1, 0xffff, v1
	v_dual_mov_b32 v3, s8 :: v_dual_mov_b32 v4, s9
	s_mov_b32 s8, exec_lo
	s_delay_alu instid0(VALU_DEP_2)
	v_and_b32_e32 v2, 0x7f, v1
	scratch_store_b64 off, v[3:4], s32 offset:704 ; 8-byte Folded Spill
	v_cmpx_ne_u32_e32 0x7f, v2
	s_cbranch_execz .LBB287_409
; %bb.406:                              ;   in Loop: Header=BB287_11 Depth=1
	v_and_b32_e32 v140, 7, v1
	v_lshrrev_b32_e32 v1, 3, v2
	s_mov_b32 s21, exec_lo
	v_cmpx_gt_u32_e32 8, v2
; %bb.407:                              ;   in Loop: Header=BB287_11 Depth=1
	s_delay_alu instid0(VALU_DEP_3) | instskip(NEXT) | instid1(VALU_DEP_1)
	v_clz_i32_u32_e32 v1, v140
	v_min_u32_e32 v1, 32, v1
	s_delay_alu instid0(VALU_DEP_1) | instskip(SKIP_1) | instid1(VALU_DEP_2)
	v_subrev_nc_u32_e32 v2, 28, v1
	v_sub_nc_u32_e32 v1, 29, v1
	v_lshlrev_b64 v[2:3], v2, v[140:141]
	s_delay_alu instid0(VALU_DEP_1)
	v_and_b32_e32 v140, 7, v2
; %bb.408:                              ;   in Loop: Header=BB287_11 Depth=1
	s_or_b32 exec_lo, exec_lo, s21
	v_lshlrev_b32_e32 v2, 16, v0
	s_delay_alu instid0(VALU_DEP_2) | instskip(SKIP_1) | instid1(VALU_DEP_3)
	v_lshlrev_b32_e32 v3, 20, v140
	v_lshl_add_u32 v1, v1, 23, 0x3c000000
	v_and_b32_e32 v2, 0x80000000, v2
	s_delay_alu instid0(VALU_DEP_1)
	v_or3_b32 v2, v3, v2, v1
	v_mov_b32_e32 v1, v141
	scratch_store_b64 off, v[1:2], s32 offset:704 ; 8-byte Folded Spill
.LBB287_409:                            ;   in Loop: Header=BB287_11 Depth=1
	s_or_b32 exec_lo, exec_lo, s8
.LBB287_410:                            ;   in Loop: Header=BB287_11 Depth=1
	s_delay_alu instid0(SALU_CYCLE_1)
	s_or_b32 exec_lo, exec_lo, s20
.LBB287_411:                            ;   in Loop: Header=BB287_11 Depth=1
	s_delay_alu instid0(SALU_CYCLE_1)
	s_or_b32 exec_lo, exec_lo, s19
	v_lshrrev_b32_e32 v1, 16, v0
	v_mov_b32_e32 v3, 0
	v_mov_b32_e32 v4, 0
	s_mov_b32 s8, exec_lo
	s_clause 0x1
	scratch_store_b64 off, v[3:4], s32 offset:720
	scratch_store_b64 off, v[3:4], s32 offset:728
	v_and_b32_e32 v2, 0xff, v1
	s_delay_alu instid0(VALU_DEP_1)
	v_cmpx_ne_u16_e32 0, v2
	s_cbranch_execz .LBB287_419
; %bb.412:                              ;   in Loop: Header=BB287_11 Depth=1
	v_cmp_ne_u16_e64 s1, 0x80, v2
	v_bfrev_b32_e32 v2, 1
	v_mov_b32_e32 v3, 0
	scratch_store_b64 off, v[2:3], s32 offset:728 ; 8-byte Folded Spill
	s_and_saveexec_b32 s19, s1
	s_cbranch_execz .LBB287_418
; %bb.413:                              ;   in Loop: Header=BB287_11 Depth=1
	v_mov_b32_e32 v4, 0x7f800001
	v_bfe_u32 v3, v0, 16, 7
	v_mov_b32_e32 v5, 0
	s_mov_b32 s20, exec_lo
	scratch_store_b64 off, v[4:5], s32 offset:728 ; 8-byte Folded Spill
	v_cmpx_ne_u32_e32 0x7f, v3
	s_cbranch_execz .LBB287_417
; %bb.414:                              ;   in Loop: Header=BB287_11 Depth=1
	v_and_b32_e32 v140, 7, v1
	v_lshrrev_b32_e32 v2, 3, v3
	s_mov_b32 s21, exec_lo
	v_cmpx_gt_u32_e32 8, v3
; %bb.415:                              ;   in Loop: Header=BB287_11 Depth=1
	s_delay_alu instid0(VALU_DEP_3) | instskip(NEXT) | instid1(VALU_DEP_1)
	v_clz_i32_u32_e32 v2, v140
	v_min_u32_e32 v2, 32, v2
	s_delay_alu instid0(VALU_DEP_1) | instskip(SKIP_1) | instid1(VALU_DEP_2)
	v_subrev_nc_u32_e32 v3, 28, v2
	v_sub_nc_u32_e32 v2, 29, v2
	v_lshlrev_b64 v[3:4], v3, v[140:141]
	s_delay_alu instid0(VALU_DEP_1)
	v_and_b32_e32 v140, 7, v3
; %bb.416:                              ;   in Loop: Header=BB287_11 Depth=1
	s_or_b32 exec_lo, exec_lo, s21
	v_lshlrev_b32_e32 v1, 24, v1
	s_delay_alu instid0(VALU_DEP_2) | instskip(SKIP_1) | instid1(VALU_DEP_3)
	v_lshlrev_b32_e32 v3, 20, v140
	v_lshl_add_u32 v2, v2, 23, 0x3c000000
	v_and_b32_e32 v1, 0x80000000, v1
	s_delay_alu instid0(VALU_DEP_1)
	v_or3_b32 v140, v3, v1, v2
	scratch_store_b64 off, v[140:141], s32 offset:728 ; 8-byte Folded Spill
.LBB287_417:                            ;   in Loop: Header=BB287_11 Depth=1
	s_or_b32 exec_lo, exec_lo, s20
.LBB287_418:                            ;   in Loop: Header=BB287_11 Depth=1
	s_delay_alu instid0(SALU_CYCLE_1)
	s_or_b32 exec_lo, exec_lo, s19
.LBB287_419:                            ;   in Loop: Header=BB287_11 Depth=1
	s_delay_alu instid0(SALU_CYCLE_1) | instskip(NEXT) | instid1(SALU_CYCLE_1)
	s_or_b32 exec_lo, exec_lo, s8
	s_mov_b32 s19, exec_lo
	v_cmpx_lt_u32_e32 0xffffff, v0
	s_cbranch_execz .LBB287_427
; %bb.420:                              ;   in Loop: Header=BB287_11 Depth=1
	v_lshrrev_b32_e32 v1, 24, v0
	v_dual_mov_b32 v2, s2 :: v_dual_mov_b32 v3, s3
	s_mov_b32 s20, exec_lo
	scratch_store_b64 off, v[2:3], s32 offset:720 ; 8-byte Folded Spill
	v_cmpx_ne_u32_e32 0x80, v1
	s_cbranch_execz .LBB287_426
; %bb.421:                              ;   in Loop: Header=BB287_11 Depth=1
	s_mov_b32 s8, s2
	v_bfe_u32 v2, v0, 24, 7
	v_dual_mov_b32 v3, s8 :: v_dual_mov_b32 v4, s9
	s_mov_b32 s8, exec_lo
	scratch_store_b64 off, v[3:4], s32 offset:720 ; 8-byte Folded Spill
	v_cmpx_ne_u32_e32 0x7f, v2
	s_cbranch_execz .LBB287_425
; %bb.422:                              ;   in Loop: Header=BB287_11 Depth=1
	v_and_b32_e32 v140, 7, v1
	v_lshrrev_b32_e32 v0, 3, v2
	s_mov_b32 s21, exec_lo
	v_cmpx_gt_u32_e32 8, v2
; %bb.423:                              ;   in Loop: Header=BB287_11 Depth=1
	s_delay_alu instid0(VALU_DEP_3) | instskip(NEXT) | instid1(VALU_DEP_1)
	v_clz_i32_u32_e32 v0, v140
	v_min_u32_e32 v0, 32, v0
	s_delay_alu instid0(VALU_DEP_1) | instskip(SKIP_1) | instid1(VALU_DEP_2)
	v_subrev_nc_u32_e32 v2, 28, v0
	v_sub_nc_u32_e32 v0, 29, v0
	v_lshlrev_b64 v[2:3], v2, v[140:141]
	s_delay_alu instid0(VALU_DEP_1)
	v_and_b32_e32 v140, 7, v2
; %bb.424:                              ;   in Loop: Header=BB287_11 Depth=1
	s_or_b32 exec_lo, exec_lo, s21
	v_lshlrev_b32_e32 v1, 24, v1
	s_delay_alu instid0(VALU_DEP_2) | instskip(SKIP_1) | instid1(VALU_DEP_3)
	v_lshlrev_b32_e32 v2, 20, v140
	v_lshl_add_u32 v0, v0, 23, 0x3c000000
	v_and_b32_e32 v1, 0x80000000, v1
	s_delay_alu instid0(VALU_DEP_1)
	v_or3_b32 v1, v2, v1, v0
	v_mov_b32_e32 v0, v141
	scratch_store_b64 off, v[0:1], s32 offset:720 ; 8-byte Folded Spill
.LBB287_425:                            ;   in Loop: Header=BB287_11 Depth=1
	s_or_b32 exec_lo, exec_lo, s8
.LBB287_426:                            ;   in Loop: Header=BB287_11 Depth=1
	s_delay_alu instid0(SALU_CYCLE_1)
	s_or_b32 exec_lo, exec_lo, s20
.LBB287_427:                            ;   in Loop: Header=BB287_11 Depth=1
	s_delay_alu instid0(SALU_CYCLE_1)
	s_or_b32 exec_lo, exec_lo, s19
	flat_load_b32 v0, v[37:38] offset:1540
	v_mov_b32_e32 v2, 0
	v_mov_b32_e32 v3, 0
	s_mov_b32 s8, exec_lo
	s_clause 0x1
	scratch_store_b64 off, v[2:3], s32 offset:736
	scratch_store_b64 off, v[2:3], s32 offset:744
	s_waitcnt vmcnt(0) lgkmcnt(0)
	v_and_b32_e32 v1, 0xff, v0
	s_delay_alu instid0(VALU_DEP_1)
	v_cmpx_ne_u16_e32 0, v1
	s_cbranch_execz .LBB287_435
; %bb.428:                              ;   in Loop: Header=BB287_11 Depth=1
	v_cmp_ne_u16_e64 s1, 0x80, v1
	v_bfrev_b32_e32 v1, 1
	v_mov_b32_e32 v2, 0
	scratch_store_b64 off, v[1:2], s32 offset:744 ; 8-byte Folded Spill
	s_and_saveexec_b32 s19, s1
	s_cbranch_execz .LBB287_434
; %bb.429:                              ;   in Loop: Header=BB287_11 Depth=1
	v_mov_b32_e32 v3, 0x7f800001
	v_and_b32_e32 v2, 0x7f, v0
	v_mov_b32_e32 v4, 0
	s_mov_b32 s20, exec_lo
	scratch_store_b64 off, v[3:4], s32 offset:744 ; 8-byte Folded Spill
	v_cmpx_ne_u32_e32 0x7f, v2
	s_cbranch_execz .LBB287_433
; %bb.430:                              ;   in Loop: Header=BB287_11 Depth=1
	v_and_b32_e32 v140, 7, v0
	v_lshrrev_b32_e32 v1, 3, v2
	s_mov_b32 s21, exec_lo
	v_cmpx_gt_u32_e32 8, v2
; %bb.431:                              ;   in Loop: Header=BB287_11 Depth=1
	s_delay_alu instid0(VALU_DEP_3) | instskip(NEXT) | instid1(VALU_DEP_1)
	v_clz_i32_u32_e32 v1, v140
	v_min_u32_e32 v1, 32, v1
	s_delay_alu instid0(VALU_DEP_1) | instskip(SKIP_1) | instid1(VALU_DEP_2)
	v_subrev_nc_u32_e32 v2, 28, v1
	v_sub_nc_u32_e32 v1, 29, v1
	v_lshlrev_b64 v[2:3], v2, v[140:141]
	s_delay_alu instid0(VALU_DEP_1)
	v_and_b32_e32 v140, 7, v2
; %bb.432:                              ;   in Loop: Header=BB287_11 Depth=1
	s_or_b32 exec_lo, exec_lo, s21
	v_lshlrev_b32_e32 v2, 24, v0
	s_delay_alu instid0(VALU_DEP_2) | instskip(SKIP_1) | instid1(VALU_DEP_3)
	v_lshlrev_b32_e32 v3, 20, v140
	v_lshl_add_u32 v1, v1, 23, 0x3c000000
	v_and_b32_e32 v2, 0x80000000, v2
	s_delay_alu instid0(VALU_DEP_1)
	v_or3_b32 v140, v3, v2, v1
	scratch_store_b64 off, v[140:141], s32 offset:744 ; 8-byte Folded Spill
.LBB287_433:                            ;   in Loop: Header=BB287_11 Depth=1
	s_or_b32 exec_lo, exec_lo, s20
.LBB287_434:                            ;   in Loop: Header=BB287_11 Depth=1
	s_delay_alu instid0(SALU_CYCLE_1)
	s_or_b32 exec_lo, exec_lo, s19
.LBB287_435:                            ;   in Loop: Header=BB287_11 Depth=1
	s_delay_alu instid0(SALU_CYCLE_1) | instskip(SKIP_2) | instid1(VALU_DEP_1)
	s_or_b32 exec_lo, exec_lo, s8
	v_lshrrev_b16 v1, 8, v0
	s_mov_b32 s19, exec_lo
	v_cmpx_ne_u16_e32 0, v1
	s_cbranch_execz .LBB287_443
; %bb.436:                              ;   in Loop: Header=BB287_11 Depth=1
	v_dual_mov_b32 v2, s2 :: v_dual_mov_b32 v3, s3
	s_mov_b32 s20, exec_lo
	scratch_store_b64 off, v[2:3], s32 offset:736 ; 8-byte Folded Spill
	v_cmpx_ne_u16_e32 0x80, v1
	s_cbranch_execz .LBB287_442
; %bb.437:                              ;   in Loop: Header=BB287_11 Depth=1
	s_mov_b32 s8, s2
	v_and_b32_e32 v1, 0xffff, v1
	v_dual_mov_b32 v3, s8 :: v_dual_mov_b32 v4, s9
	s_mov_b32 s8, exec_lo
	s_delay_alu instid0(VALU_DEP_2)
	v_and_b32_e32 v2, 0x7f, v1
	scratch_store_b64 off, v[3:4], s32 offset:736 ; 8-byte Folded Spill
	v_cmpx_ne_u32_e32 0x7f, v2
	s_cbranch_execz .LBB287_441
; %bb.438:                              ;   in Loop: Header=BB287_11 Depth=1
	v_and_b32_e32 v140, 7, v1
	v_lshrrev_b32_e32 v1, 3, v2
	s_mov_b32 s21, exec_lo
	v_cmpx_gt_u32_e32 8, v2
; %bb.439:                              ;   in Loop: Header=BB287_11 Depth=1
	s_delay_alu instid0(VALU_DEP_3) | instskip(NEXT) | instid1(VALU_DEP_1)
	v_clz_i32_u32_e32 v1, v140
	v_min_u32_e32 v1, 32, v1
	s_delay_alu instid0(VALU_DEP_1) | instskip(SKIP_1) | instid1(VALU_DEP_2)
	v_subrev_nc_u32_e32 v2, 28, v1
	v_sub_nc_u32_e32 v1, 29, v1
	v_lshlrev_b64 v[2:3], v2, v[140:141]
	s_delay_alu instid0(VALU_DEP_1)
	v_and_b32_e32 v140, 7, v2
; %bb.440:                              ;   in Loop: Header=BB287_11 Depth=1
	s_or_b32 exec_lo, exec_lo, s21
	v_lshlrev_b32_e32 v2, 16, v0
	s_delay_alu instid0(VALU_DEP_2) | instskip(SKIP_1) | instid1(VALU_DEP_3)
	v_lshlrev_b32_e32 v3, 20, v140
	v_lshl_add_u32 v1, v1, 23, 0x3c000000
	v_and_b32_e32 v2, 0x80000000, v2
	s_delay_alu instid0(VALU_DEP_1)
	v_or3_b32 v2, v3, v2, v1
	v_mov_b32_e32 v1, v141
	scratch_store_b64 off, v[1:2], s32 offset:736 ; 8-byte Folded Spill
.LBB287_441:                            ;   in Loop: Header=BB287_11 Depth=1
	s_or_b32 exec_lo, exec_lo, s8
.LBB287_442:                            ;   in Loop: Header=BB287_11 Depth=1
	s_delay_alu instid0(SALU_CYCLE_1)
	s_or_b32 exec_lo, exec_lo, s20
.LBB287_443:                            ;   in Loop: Header=BB287_11 Depth=1
	s_delay_alu instid0(SALU_CYCLE_1)
	s_or_b32 exec_lo, exec_lo, s19
	v_lshrrev_b32_e32 v1, 16, v0
	v_mov_b32_e32 v3, 0
	v_mov_b32_e32 v4, 0
	s_mov_b32 s8, exec_lo
	s_clause 0x1
	scratch_store_b64 off, v[3:4], s32 offset:752
	scratch_store_b64 off, v[3:4], s32 offset:760
	v_and_b32_e32 v2, 0xff, v1
	s_delay_alu instid0(VALU_DEP_1)
	v_cmpx_ne_u16_e32 0, v2
	s_cbranch_execz .LBB287_451
; %bb.444:                              ;   in Loop: Header=BB287_11 Depth=1
	v_cmp_ne_u16_e64 s1, 0x80, v2
	v_bfrev_b32_e32 v2, 1
	v_mov_b32_e32 v3, 0
	scratch_store_b64 off, v[2:3], s32 offset:760 ; 8-byte Folded Spill
	s_and_saveexec_b32 s19, s1
	s_cbranch_execz .LBB287_450
; %bb.445:                              ;   in Loop: Header=BB287_11 Depth=1
	v_mov_b32_e32 v4, 0x7f800001
	v_bfe_u32 v3, v0, 16, 7
	v_mov_b32_e32 v5, 0
	s_mov_b32 s20, exec_lo
	scratch_store_b64 off, v[4:5], s32 offset:760 ; 8-byte Folded Spill
	v_cmpx_ne_u32_e32 0x7f, v3
	s_cbranch_execz .LBB287_449
; %bb.446:                              ;   in Loop: Header=BB287_11 Depth=1
	v_and_b32_e32 v140, 7, v1
	v_lshrrev_b32_e32 v2, 3, v3
	s_mov_b32 s21, exec_lo
	v_cmpx_gt_u32_e32 8, v3
; %bb.447:                              ;   in Loop: Header=BB287_11 Depth=1
	s_delay_alu instid0(VALU_DEP_3) | instskip(NEXT) | instid1(VALU_DEP_1)
	v_clz_i32_u32_e32 v2, v140
	v_min_u32_e32 v2, 32, v2
	s_delay_alu instid0(VALU_DEP_1) | instskip(SKIP_1) | instid1(VALU_DEP_2)
	v_subrev_nc_u32_e32 v3, 28, v2
	v_sub_nc_u32_e32 v2, 29, v2
	v_lshlrev_b64 v[3:4], v3, v[140:141]
	s_delay_alu instid0(VALU_DEP_1)
	v_and_b32_e32 v140, 7, v3
; %bb.448:                              ;   in Loop: Header=BB287_11 Depth=1
	s_or_b32 exec_lo, exec_lo, s21
	v_lshlrev_b32_e32 v1, 24, v1
	s_delay_alu instid0(VALU_DEP_2) | instskip(SKIP_1) | instid1(VALU_DEP_3)
	v_lshlrev_b32_e32 v3, 20, v140
	v_lshl_add_u32 v2, v2, 23, 0x3c000000
	v_and_b32_e32 v1, 0x80000000, v1
	s_delay_alu instid0(VALU_DEP_1)
	v_or3_b32 v140, v3, v1, v2
	scratch_store_b64 off, v[140:141], s32 offset:760 ; 8-byte Folded Spill
.LBB287_449:                            ;   in Loop: Header=BB287_11 Depth=1
	s_or_b32 exec_lo, exec_lo, s20
.LBB287_450:                            ;   in Loop: Header=BB287_11 Depth=1
	s_delay_alu instid0(SALU_CYCLE_1)
	s_or_b32 exec_lo, exec_lo, s19
.LBB287_451:                            ;   in Loop: Header=BB287_11 Depth=1
	s_delay_alu instid0(SALU_CYCLE_1) | instskip(NEXT) | instid1(SALU_CYCLE_1)
	s_or_b32 exec_lo, exec_lo, s8
	s_mov_b32 s19, exec_lo
	v_cmpx_lt_u32_e32 0xffffff, v0
	s_cbranch_execz .LBB287_459
; %bb.452:                              ;   in Loop: Header=BB287_11 Depth=1
	v_lshrrev_b32_e32 v1, 24, v0
	v_dual_mov_b32 v2, s2 :: v_dual_mov_b32 v3, s3
	s_mov_b32 s20, exec_lo
	scratch_store_b64 off, v[2:3], s32 offset:752 ; 8-byte Folded Spill
	v_cmpx_ne_u32_e32 0x80, v1
	s_cbranch_execz .LBB287_458
; %bb.453:                              ;   in Loop: Header=BB287_11 Depth=1
	s_mov_b32 s8, s2
	v_bfe_u32 v2, v0, 24, 7
	v_dual_mov_b32 v3, s8 :: v_dual_mov_b32 v4, s9
	s_mov_b32 s8, exec_lo
	scratch_store_b64 off, v[3:4], s32 offset:752 ; 8-byte Folded Spill
	v_cmpx_ne_u32_e32 0x7f, v2
	s_cbranch_execz .LBB287_457
; %bb.454:                              ;   in Loop: Header=BB287_11 Depth=1
	v_and_b32_e32 v140, 7, v1
	v_lshrrev_b32_e32 v0, 3, v2
	s_mov_b32 s21, exec_lo
	v_cmpx_gt_u32_e32 8, v2
; %bb.455:                              ;   in Loop: Header=BB287_11 Depth=1
	s_delay_alu instid0(VALU_DEP_3) | instskip(NEXT) | instid1(VALU_DEP_1)
	v_clz_i32_u32_e32 v0, v140
	v_min_u32_e32 v0, 32, v0
	s_delay_alu instid0(VALU_DEP_1) | instskip(SKIP_1) | instid1(VALU_DEP_2)
	v_subrev_nc_u32_e32 v2, 28, v0
	v_sub_nc_u32_e32 v0, 29, v0
	v_lshlrev_b64 v[2:3], v2, v[140:141]
	s_delay_alu instid0(VALU_DEP_1)
	v_and_b32_e32 v140, 7, v2
; %bb.456:                              ;   in Loop: Header=BB287_11 Depth=1
	s_or_b32 exec_lo, exec_lo, s21
	v_lshlrev_b32_e32 v1, 24, v1
	s_delay_alu instid0(VALU_DEP_2) | instskip(SKIP_1) | instid1(VALU_DEP_3)
	v_lshlrev_b32_e32 v2, 20, v140
	v_lshl_add_u32 v0, v0, 23, 0x3c000000
	v_and_b32_e32 v1, 0x80000000, v1
	s_delay_alu instid0(VALU_DEP_1)
	v_or3_b32 v1, v2, v1, v0
	v_mov_b32_e32 v0, v141
	scratch_store_b64 off, v[0:1], s32 offset:752 ; 8-byte Folded Spill
.LBB287_457:                            ;   in Loop: Header=BB287_11 Depth=1
	s_or_b32 exec_lo, exec_lo, s8
.LBB287_458:                            ;   in Loop: Header=BB287_11 Depth=1
	s_delay_alu instid0(SALU_CYCLE_1)
	s_or_b32 exec_lo, exec_lo, s20
.LBB287_459:                            ;   in Loop: Header=BB287_11 Depth=1
	s_delay_alu instid0(SALU_CYCLE_1)
	s_or_b32 exec_lo, exec_lo, s19
	flat_load_b32 v0, v[37:38] offset:1544
	v_mov_b32_e32 v2, 0
	v_mov_b32_e32 v3, 0
	s_mov_b32 s8, exec_lo
	s_clause 0x1
	scratch_store_b64 off, v[2:3], s32 offset:768
	scratch_store_b64 off, v[2:3], s32 offset:776
	s_waitcnt vmcnt(0) lgkmcnt(0)
	v_and_b32_e32 v1, 0xff, v0
	s_delay_alu instid0(VALU_DEP_1)
	v_cmpx_ne_u16_e32 0, v1
	s_cbranch_execz .LBB287_467
; %bb.460:                              ;   in Loop: Header=BB287_11 Depth=1
	v_cmp_ne_u16_e64 s1, 0x80, v1
	v_bfrev_b32_e32 v1, 1
	v_mov_b32_e32 v2, 0
	scratch_store_b64 off, v[1:2], s32 offset:776 ; 8-byte Folded Spill
	s_and_saveexec_b32 s19, s1
	s_cbranch_execz .LBB287_466
; %bb.461:                              ;   in Loop: Header=BB287_11 Depth=1
	v_mov_b32_e32 v3, 0x7f800001
	v_and_b32_e32 v2, 0x7f, v0
	v_mov_b32_e32 v4, 0
	s_mov_b32 s20, exec_lo
	scratch_store_b64 off, v[3:4], s32 offset:776 ; 8-byte Folded Spill
	v_cmpx_ne_u32_e32 0x7f, v2
	s_cbranch_execz .LBB287_465
; %bb.462:                              ;   in Loop: Header=BB287_11 Depth=1
	v_and_b32_e32 v140, 7, v0
	v_lshrrev_b32_e32 v1, 3, v2
	s_mov_b32 s21, exec_lo
	v_cmpx_gt_u32_e32 8, v2
; %bb.463:                              ;   in Loop: Header=BB287_11 Depth=1
	s_delay_alu instid0(VALU_DEP_3) | instskip(NEXT) | instid1(VALU_DEP_1)
	v_clz_i32_u32_e32 v1, v140
	v_min_u32_e32 v1, 32, v1
	s_delay_alu instid0(VALU_DEP_1) | instskip(SKIP_1) | instid1(VALU_DEP_2)
	v_subrev_nc_u32_e32 v2, 28, v1
	v_sub_nc_u32_e32 v1, 29, v1
	v_lshlrev_b64 v[2:3], v2, v[140:141]
	s_delay_alu instid0(VALU_DEP_1)
	v_and_b32_e32 v140, 7, v2
; %bb.464:                              ;   in Loop: Header=BB287_11 Depth=1
	s_or_b32 exec_lo, exec_lo, s21
	v_lshlrev_b32_e32 v2, 24, v0
	s_delay_alu instid0(VALU_DEP_2) | instskip(SKIP_1) | instid1(VALU_DEP_3)
	v_lshlrev_b32_e32 v3, 20, v140
	v_lshl_add_u32 v1, v1, 23, 0x3c000000
	v_and_b32_e32 v2, 0x80000000, v2
	s_delay_alu instid0(VALU_DEP_1)
	v_or3_b32 v140, v3, v2, v1
	scratch_store_b64 off, v[140:141], s32 offset:776 ; 8-byte Folded Spill
.LBB287_465:                            ;   in Loop: Header=BB287_11 Depth=1
	s_or_b32 exec_lo, exec_lo, s20
.LBB287_466:                            ;   in Loop: Header=BB287_11 Depth=1
	s_delay_alu instid0(SALU_CYCLE_1)
	s_or_b32 exec_lo, exec_lo, s19
.LBB287_467:                            ;   in Loop: Header=BB287_11 Depth=1
	s_delay_alu instid0(SALU_CYCLE_1) | instskip(SKIP_2) | instid1(VALU_DEP_1)
	s_or_b32 exec_lo, exec_lo, s8
	v_lshrrev_b16 v1, 8, v0
	s_mov_b32 s19, exec_lo
	v_cmpx_ne_u16_e32 0, v1
	s_cbranch_execz .LBB287_475
; %bb.468:                              ;   in Loop: Header=BB287_11 Depth=1
	v_dual_mov_b32 v2, s2 :: v_dual_mov_b32 v3, s3
	s_mov_b32 s20, exec_lo
	scratch_store_b64 off, v[2:3], s32 offset:768 ; 8-byte Folded Spill
	v_cmpx_ne_u16_e32 0x80, v1
	s_cbranch_execz .LBB287_474
; %bb.469:                              ;   in Loop: Header=BB287_11 Depth=1
	s_mov_b32 s8, s2
	v_and_b32_e32 v1, 0xffff, v1
	v_dual_mov_b32 v3, s8 :: v_dual_mov_b32 v4, s9
	s_mov_b32 s8, exec_lo
	s_delay_alu instid0(VALU_DEP_2)
	v_and_b32_e32 v2, 0x7f, v1
	scratch_store_b64 off, v[3:4], s32 offset:768 ; 8-byte Folded Spill
	v_cmpx_ne_u32_e32 0x7f, v2
	s_cbranch_execz .LBB287_473
; %bb.470:                              ;   in Loop: Header=BB287_11 Depth=1
	v_and_b32_e32 v140, 7, v1
	v_lshrrev_b32_e32 v1, 3, v2
	s_mov_b32 s21, exec_lo
	v_cmpx_gt_u32_e32 8, v2
; %bb.471:                              ;   in Loop: Header=BB287_11 Depth=1
	s_delay_alu instid0(VALU_DEP_3) | instskip(NEXT) | instid1(VALU_DEP_1)
	v_clz_i32_u32_e32 v1, v140
	v_min_u32_e32 v1, 32, v1
	s_delay_alu instid0(VALU_DEP_1) | instskip(SKIP_1) | instid1(VALU_DEP_2)
	v_subrev_nc_u32_e32 v2, 28, v1
	v_sub_nc_u32_e32 v1, 29, v1
	v_lshlrev_b64 v[2:3], v2, v[140:141]
	s_delay_alu instid0(VALU_DEP_1)
	v_and_b32_e32 v140, 7, v2
; %bb.472:                              ;   in Loop: Header=BB287_11 Depth=1
	s_or_b32 exec_lo, exec_lo, s21
	v_lshlrev_b32_e32 v2, 16, v0
	s_delay_alu instid0(VALU_DEP_2) | instskip(SKIP_1) | instid1(VALU_DEP_3)
	v_lshlrev_b32_e32 v3, 20, v140
	v_lshl_add_u32 v1, v1, 23, 0x3c000000
	v_and_b32_e32 v2, 0x80000000, v2
	s_delay_alu instid0(VALU_DEP_1)
	v_or3_b32 v2, v3, v2, v1
	v_mov_b32_e32 v1, v141
	scratch_store_b64 off, v[1:2], s32 offset:768 ; 8-byte Folded Spill
.LBB287_473:                            ;   in Loop: Header=BB287_11 Depth=1
	s_or_b32 exec_lo, exec_lo, s8
.LBB287_474:                            ;   in Loop: Header=BB287_11 Depth=1
	s_delay_alu instid0(SALU_CYCLE_1)
	s_or_b32 exec_lo, exec_lo, s20
.LBB287_475:                            ;   in Loop: Header=BB287_11 Depth=1
	s_delay_alu instid0(SALU_CYCLE_1)
	s_or_b32 exec_lo, exec_lo, s19
	v_lshrrev_b32_e32 v1, 16, v0
	v_mov_b32_e32 v3, 0
	v_mov_b32_e32 v4, 0
	s_mov_b32 s8, exec_lo
	s_clause 0x1
	scratch_store_b64 off, v[3:4], s32 offset:784
	scratch_store_b64 off, v[3:4], s32 offset:792
	v_and_b32_e32 v2, 0xff, v1
	s_delay_alu instid0(VALU_DEP_1)
	v_cmpx_ne_u16_e32 0, v2
	s_cbranch_execz .LBB287_483
; %bb.476:                              ;   in Loop: Header=BB287_11 Depth=1
	v_cmp_ne_u16_e64 s1, 0x80, v2
	v_bfrev_b32_e32 v2, 1
	v_mov_b32_e32 v3, 0
	scratch_store_b64 off, v[2:3], s32 offset:792 ; 8-byte Folded Spill
	s_and_saveexec_b32 s19, s1
	s_cbranch_execz .LBB287_482
; %bb.477:                              ;   in Loop: Header=BB287_11 Depth=1
	v_mov_b32_e32 v4, 0x7f800001
	v_bfe_u32 v3, v0, 16, 7
	v_mov_b32_e32 v5, 0
	s_mov_b32 s20, exec_lo
	scratch_store_b64 off, v[4:5], s32 offset:792 ; 8-byte Folded Spill
	v_cmpx_ne_u32_e32 0x7f, v3
	s_cbranch_execz .LBB287_481
; %bb.478:                              ;   in Loop: Header=BB287_11 Depth=1
	v_and_b32_e32 v140, 7, v1
	v_lshrrev_b32_e32 v2, 3, v3
	s_mov_b32 s21, exec_lo
	v_cmpx_gt_u32_e32 8, v3
; %bb.479:                              ;   in Loop: Header=BB287_11 Depth=1
	s_delay_alu instid0(VALU_DEP_3) | instskip(NEXT) | instid1(VALU_DEP_1)
	v_clz_i32_u32_e32 v2, v140
	v_min_u32_e32 v2, 32, v2
	s_delay_alu instid0(VALU_DEP_1) | instskip(SKIP_1) | instid1(VALU_DEP_2)
	v_subrev_nc_u32_e32 v3, 28, v2
	v_sub_nc_u32_e32 v2, 29, v2
	v_lshlrev_b64 v[3:4], v3, v[140:141]
	s_delay_alu instid0(VALU_DEP_1)
	v_and_b32_e32 v140, 7, v3
; %bb.480:                              ;   in Loop: Header=BB287_11 Depth=1
	s_or_b32 exec_lo, exec_lo, s21
	v_lshlrev_b32_e32 v1, 24, v1
	s_delay_alu instid0(VALU_DEP_2) | instskip(SKIP_1) | instid1(VALU_DEP_3)
	v_lshlrev_b32_e32 v3, 20, v140
	v_lshl_add_u32 v2, v2, 23, 0x3c000000
	v_and_b32_e32 v1, 0x80000000, v1
	s_delay_alu instid0(VALU_DEP_1)
	v_or3_b32 v140, v3, v1, v2
	scratch_store_b64 off, v[140:141], s32 offset:792 ; 8-byte Folded Spill
.LBB287_481:                            ;   in Loop: Header=BB287_11 Depth=1
	s_or_b32 exec_lo, exec_lo, s20
.LBB287_482:                            ;   in Loop: Header=BB287_11 Depth=1
	s_delay_alu instid0(SALU_CYCLE_1)
	s_or_b32 exec_lo, exec_lo, s19
.LBB287_483:                            ;   in Loop: Header=BB287_11 Depth=1
	s_delay_alu instid0(SALU_CYCLE_1) | instskip(NEXT) | instid1(SALU_CYCLE_1)
	s_or_b32 exec_lo, exec_lo, s8
	s_mov_b32 s19, exec_lo
	v_cmpx_lt_u32_e32 0xffffff, v0
	s_cbranch_execz .LBB287_491
; %bb.484:                              ;   in Loop: Header=BB287_11 Depth=1
	v_lshrrev_b32_e32 v1, 24, v0
	v_dual_mov_b32 v2, s2 :: v_dual_mov_b32 v3, s3
	s_mov_b32 s20, exec_lo
	scratch_store_b64 off, v[2:3], s32 offset:784 ; 8-byte Folded Spill
	v_cmpx_ne_u32_e32 0x80, v1
	s_cbranch_execz .LBB287_490
; %bb.485:                              ;   in Loop: Header=BB287_11 Depth=1
	s_mov_b32 s8, s2
	v_bfe_u32 v2, v0, 24, 7
	v_dual_mov_b32 v3, s8 :: v_dual_mov_b32 v4, s9
	s_mov_b32 s8, exec_lo
	scratch_store_b64 off, v[3:4], s32 offset:784 ; 8-byte Folded Spill
	v_cmpx_ne_u32_e32 0x7f, v2
	s_cbranch_execz .LBB287_489
; %bb.486:                              ;   in Loop: Header=BB287_11 Depth=1
	v_and_b32_e32 v140, 7, v1
	v_lshrrev_b32_e32 v0, 3, v2
	s_mov_b32 s21, exec_lo
	v_cmpx_gt_u32_e32 8, v2
; %bb.487:                              ;   in Loop: Header=BB287_11 Depth=1
	s_delay_alu instid0(VALU_DEP_3) | instskip(NEXT) | instid1(VALU_DEP_1)
	v_clz_i32_u32_e32 v0, v140
	v_min_u32_e32 v0, 32, v0
	s_delay_alu instid0(VALU_DEP_1) | instskip(SKIP_1) | instid1(VALU_DEP_2)
	v_subrev_nc_u32_e32 v2, 28, v0
	v_sub_nc_u32_e32 v0, 29, v0
	v_lshlrev_b64 v[2:3], v2, v[140:141]
	s_delay_alu instid0(VALU_DEP_1)
	v_and_b32_e32 v140, 7, v2
; %bb.488:                              ;   in Loop: Header=BB287_11 Depth=1
	s_or_b32 exec_lo, exec_lo, s21
	v_lshlrev_b32_e32 v1, 24, v1
	s_delay_alu instid0(VALU_DEP_2) | instskip(SKIP_1) | instid1(VALU_DEP_3)
	v_lshlrev_b32_e32 v2, 20, v140
	v_lshl_add_u32 v0, v0, 23, 0x3c000000
	v_and_b32_e32 v1, 0x80000000, v1
	s_delay_alu instid0(VALU_DEP_1)
	v_or3_b32 v1, v2, v1, v0
	v_mov_b32_e32 v0, v141
	scratch_store_b64 off, v[0:1], s32 offset:784 ; 8-byte Folded Spill
.LBB287_489:                            ;   in Loop: Header=BB287_11 Depth=1
	s_or_b32 exec_lo, exec_lo, s8
.LBB287_490:                            ;   in Loop: Header=BB287_11 Depth=1
	s_delay_alu instid0(SALU_CYCLE_1)
	s_or_b32 exec_lo, exec_lo, s20
.LBB287_491:                            ;   in Loop: Header=BB287_11 Depth=1
	s_delay_alu instid0(SALU_CYCLE_1)
	s_or_b32 exec_lo, exec_lo, s19
	flat_load_b32 v0, v[37:38] offset:1548
	v_mov_b32_e32 v2, 0
	v_mov_b32_e32 v3, 0
	s_mov_b32 s8, exec_lo
	s_clause 0x1
	scratch_store_b64 off, v[2:3], s32 offset:800
	scratch_store_b64 off, v[2:3], s32 offset:808
	s_waitcnt vmcnt(0) lgkmcnt(0)
	v_and_b32_e32 v1, 0xff, v0
	s_delay_alu instid0(VALU_DEP_1)
	v_cmpx_ne_u16_e32 0, v1
	s_cbranch_execz .LBB287_499
; %bb.492:                              ;   in Loop: Header=BB287_11 Depth=1
	v_cmp_ne_u16_e64 s1, 0x80, v1
	v_bfrev_b32_e32 v1, 1
	v_mov_b32_e32 v2, 0
	scratch_store_b64 off, v[1:2], s32 offset:808 ; 8-byte Folded Spill
	s_and_saveexec_b32 s19, s1
	s_cbranch_execz .LBB287_498
; %bb.493:                              ;   in Loop: Header=BB287_11 Depth=1
	v_mov_b32_e32 v3, 0x7f800001
	v_and_b32_e32 v2, 0x7f, v0
	v_mov_b32_e32 v4, 0
	s_mov_b32 s20, exec_lo
	scratch_store_b64 off, v[3:4], s32 offset:808 ; 8-byte Folded Spill
	v_cmpx_ne_u32_e32 0x7f, v2
	s_cbranch_execz .LBB287_497
; %bb.494:                              ;   in Loop: Header=BB287_11 Depth=1
	v_and_b32_e32 v140, 7, v0
	v_lshrrev_b32_e32 v1, 3, v2
	s_mov_b32 s21, exec_lo
	v_cmpx_gt_u32_e32 8, v2
; %bb.495:                              ;   in Loop: Header=BB287_11 Depth=1
	s_delay_alu instid0(VALU_DEP_3) | instskip(NEXT) | instid1(VALU_DEP_1)
	v_clz_i32_u32_e32 v1, v140
	v_min_u32_e32 v1, 32, v1
	s_delay_alu instid0(VALU_DEP_1) | instskip(SKIP_1) | instid1(VALU_DEP_2)
	v_subrev_nc_u32_e32 v2, 28, v1
	v_sub_nc_u32_e32 v1, 29, v1
	v_lshlrev_b64 v[2:3], v2, v[140:141]
	s_delay_alu instid0(VALU_DEP_1)
	v_and_b32_e32 v140, 7, v2
; %bb.496:                              ;   in Loop: Header=BB287_11 Depth=1
	s_or_b32 exec_lo, exec_lo, s21
	v_lshlrev_b32_e32 v2, 24, v0
	s_delay_alu instid0(VALU_DEP_2) | instskip(SKIP_1) | instid1(VALU_DEP_3)
	v_lshlrev_b32_e32 v3, 20, v140
	v_lshl_add_u32 v1, v1, 23, 0x3c000000
	v_and_b32_e32 v2, 0x80000000, v2
	s_delay_alu instid0(VALU_DEP_1)
	v_or3_b32 v140, v3, v2, v1
	scratch_store_b64 off, v[140:141], s32 offset:808 ; 8-byte Folded Spill
.LBB287_497:                            ;   in Loop: Header=BB287_11 Depth=1
	s_or_b32 exec_lo, exec_lo, s20
.LBB287_498:                            ;   in Loop: Header=BB287_11 Depth=1
	s_delay_alu instid0(SALU_CYCLE_1)
	s_or_b32 exec_lo, exec_lo, s19
.LBB287_499:                            ;   in Loop: Header=BB287_11 Depth=1
	s_delay_alu instid0(SALU_CYCLE_1) | instskip(SKIP_2) | instid1(VALU_DEP_1)
	s_or_b32 exec_lo, exec_lo, s8
	v_lshrrev_b16 v1, 8, v0
	s_mov_b32 s19, exec_lo
	v_cmpx_ne_u16_e32 0, v1
	s_cbranch_execz .LBB287_507
; %bb.500:                              ;   in Loop: Header=BB287_11 Depth=1
	v_dual_mov_b32 v2, s2 :: v_dual_mov_b32 v3, s3
	s_mov_b32 s20, exec_lo
	scratch_store_b64 off, v[2:3], s32 offset:800 ; 8-byte Folded Spill
	v_cmpx_ne_u16_e32 0x80, v1
	s_cbranch_execz .LBB287_506
; %bb.501:                              ;   in Loop: Header=BB287_11 Depth=1
	s_mov_b32 s8, s2
	v_and_b32_e32 v1, 0xffff, v1
	v_dual_mov_b32 v3, s8 :: v_dual_mov_b32 v4, s9
	s_mov_b32 s8, exec_lo
	s_delay_alu instid0(VALU_DEP_2)
	v_and_b32_e32 v2, 0x7f, v1
	scratch_store_b64 off, v[3:4], s32 offset:800 ; 8-byte Folded Spill
	v_cmpx_ne_u32_e32 0x7f, v2
	s_cbranch_execz .LBB287_505
; %bb.502:                              ;   in Loop: Header=BB287_11 Depth=1
	v_and_b32_e32 v140, 7, v1
	v_lshrrev_b32_e32 v1, 3, v2
	s_mov_b32 s21, exec_lo
	v_cmpx_gt_u32_e32 8, v2
; %bb.503:                              ;   in Loop: Header=BB287_11 Depth=1
	s_delay_alu instid0(VALU_DEP_3) | instskip(NEXT) | instid1(VALU_DEP_1)
	v_clz_i32_u32_e32 v1, v140
	v_min_u32_e32 v1, 32, v1
	s_delay_alu instid0(VALU_DEP_1) | instskip(SKIP_1) | instid1(VALU_DEP_2)
	v_subrev_nc_u32_e32 v2, 28, v1
	v_sub_nc_u32_e32 v1, 29, v1
	v_lshlrev_b64 v[2:3], v2, v[140:141]
	s_delay_alu instid0(VALU_DEP_1)
	v_and_b32_e32 v140, 7, v2
; %bb.504:                              ;   in Loop: Header=BB287_11 Depth=1
	s_or_b32 exec_lo, exec_lo, s21
	v_lshlrev_b32_e32 v2, 16, v0
	s_delay_alu instid0(VALU_DEP_2) | instskip(SKIP_1) | instid1(VALU_DEP_3)
	v_lshlrev_b32_e32 v3, 20, v140
	v_lshl_add_u32 v1, v1, 23, 0x3c000000
	v_and_b32_e32 v2, 0x80000000, v2
	s_delay_alu instid0(VALU_DEP_1)
	v_or3_b32 v2, v3, v2, v1
	v_mov_b32_e32 v1, v141
	scratch_store_b64 off, v[1:2], s32 offset:800 ; 8-byte Folded Spill
.LBB287_505:                            ;   in Loop: Header=BB287_11 Depth=1
	s_or_b32 exec_lo, exec_lo, s8
.LBB287_506:                            ;   in Loop: Header=BB287_11 Depth=1
	s_delay_alu instid0(SALU_CYCLE_1)
	s_or_b32 exec_lo, exec_lo, s20
.LBB287_507:                            ;   in Loop: Header=BB287_11 Depth=1
	s_delay_alu instid0(SALU_CYCLE_1)
	s_or_b32 exec_lo, exec_lo, s19
	v_lshrrev_b32_e32 v1, 16, v0
	v_mov_b32_e32 v3, 0
	v_mov_b32_e32 v4, 0
	s_mov_b32 s8, exec_lo
	s_clause 0x1
	scratch_store_b64 off, v[3:4], s32 offset:816
	scratch_store_b64 off, v[3:4], s32 offset:824
	v_and_b32_e32 v2, 0xff, v1
	s_delay_alu instid0(VALU_DEP_1)
	v_cmpx_ne_u16_e32 0, v2
	s_cbranch_execz .LBB287_515
; %bb.508:                              ;   in Loop: Header=BB287_11 Depth=1
	v_cmp_ne_u16_e64 s1, 0x80, v2
	v_bfrev_b32_e32 v2, 1
	v_mov_b32_e32 v3, 0
	scratch_store_b64 off, v[2:3], s32 offset:824 ; 8-byte Folded Spill
	s_and_saveexec_b32 s19, s1
	s_cbranch_execz .LBB287_514
; %bb.509:                              ;   in Loop: Header=BB287_11 Depth=1
	v_mov_b32_e32 v4, 0x7f800001
	v_bfe_u32 v3, v0, 16, 7
	v_mov_b32_e32 v5, 0
	s_mov_b32 s20, exec_lo
	scratch_store_b64 off, v[4:5], s32 offset:824 ; 8-byte Folded Spill
	v_cmpx_ne_u32_e32 0x7f, v3
	s_cbranch_execz .LBB287_513
; %bb.510:                              ;   in Loop: Header=BB287_11 Depth=1
	v_and_b32_e32 v140, 7, v1
	v_lshrrev_b32_e32 v2, 3, v3
	s_mov_b32 s21, exec_lo
	v_cmpx_gt_u32_e32 8, v3
; %bb.511:                              ;   in Loop: Header=BB287_11 Depth=1
	s_delay_alu instid0(VALU_DEP_3) | instskip(NEXT) | instid1(VALU_DEP_1)
	v_clz_i32_u32_e32 v2, v140
	v_min_u32_e32 v2, 32, v2
	s_delay_alu instid0(VALU_DEP_1) | instskip(SKIP_1) | instid1(VALU_DEP_2)
	v_subrev_nc_u32_e32 v3, 28, v2
	v_sub_nc_u32_e32 v2, 29, v2
	v_lshlrev_b64 v[3:4], v3, v[140:141]
	s_delay_alu instid0(VALU_DEP_1)
	v_and_b32_e32 v140, 7, v3
; %bb.512:                              ;   in Loop: Header=BB287_11 Depth=1
	s_or_b32 exec_lo, exec_lo, s21
	v_lshlrev_b32_e32 v1, 24, v1
	s_delay_alu instid0(VALU_DEP_2) | instskip(SKIP_1) | instid1(VALU_DEP_3)
	v_lshlrev_b32_e32 v3, 20, v140
	v_lshl_add_u32 v2, v2, 23, 0x3c000000
	v_and_b32_e32 v1, 0x80000000, v1
	s_delay_alu instid0(VALU_DEP_1)
	v_or3_b32 v140, v3, v1, v2
	scratch_store_b64 off, v[140:141], s32 offset:824 ; 8-byte Folded Spill
.LBB287_513:                            ;   in Loop: Header=BB287_11 Depth=1
	s_or_b32 exec_lo, exec_lo, s20
.LBB287_514:                            ;   in Loop: Header=BB287_11 Depth=1
	s_delay_alu instid0(SALU_CYCLE_1)
	s_or_b32 exec_lo, exec_lo, s19
.LBB287_515:                            ;   in Loop: Header=BB287_11 Depth=1
	s_delay_alu instid0(SALU_CYCLE_1) | instskip(NEXT) | instid1(SALU_CYCLE_1)
	s_or_b32 exec_lo, exec_lo, s8
	s_mov_b32 s19, exec_lo
	v_cmpx_lt_u32_e32 0xffffff, v0
	s_cbranch_execz .LBB287_523
; %bb.516:                              ;   in Loop: Header=BB287_11 Depth=1
	v_lshrrev_b32_e32 v1, 24, v0
	v_dual_mov_b32 v2, s2 :: v_dual_mov_b32 v3, s3
	s_mov_b32 s20, exec_lo
	scratch_store_b64 off, v[2:3], s32 offset:816 ; 8-byte Folded Spill
	v_cmpx_ne_u32_e32 0x80, v1
	s_cbranch_execz .LBB287_522
; %bb.517:                              ;   in Loop: Header=BB287_11 Depth=1
	s_mov_b32 s8, s2
	v_bfe_u32 v2, v0, 24, 7
	v_dual_mov_b32 v3, s8 :: v_dual_mov_b32 v4, s9
	s_mov_b32 s8, exec_lo
	scratch_store_b64 off, v[3:4], s32 offset:816 ; 8-byte Folded Spill
	v_cmpx_ne_u32_e32 0x7f, v2
	s_cbranch_execz .LBB287_521
; %bb.518:                              ;   in Loop: Header=BB287_11 Depth=1
	v_and_b32_e32 v140, 7, v1
	v_lshrrev_b32_e32 v0, 3, v2
	s_mov_b32 s21, exec_lo
	v_cmpx_gt_u32_e32 8, v2
; %bb.519:                              ;   in Loop: Header=BB287_11 Depth=1
	s_delay_alu instid0(VALU_DEP_3) | instskip(NEXT) | instid1(VALU_DEP_1)
	v_clz_i32_u32_e32 v0, v140
	v_min_u32_e32 v0, 32, v0
	s_delay_alu instid0(VALU_DEP_1) | instskip(SKIP_1) | instid1(VALU_DEP_2)
	v_subrev_nc_u32_e32 v2, 28, v0
	v_sub_nc_u32_e32 v0, 29, v0
	v_lshlrev_b64 v[2:3], v2, v[140:141]
	s_delay_alu instid0(VALU_DEP_1)
	v_and_b32_e32 v140, 7, v2
; %bb.520:                              ;   in Loop: Header=BB287_11 Depth=1
	s_or_b32 exec_lo, exec_lo, s21
	v_lshlrev_b32_e32 v1, 24, v1
	s_delay_alu instid0(VALU_DEP_2) | instskip(SKIP_1) | instid1(VALU_DEP_3)
	v_lshlrev_b32_e32 v2, 20, v140
	v_lshl_add_u32 v0, v0, 23, 0x3c000000
	v_and_b32_e32 v1, 0x80000000, v1
	s_delay_alu instid0(VALU_DEP_1)
	v_or3_b32 v1, v2, v1, v0
	v_mov_b32_e32 v0, v141
	scratch_store_b64 off, v[0:1], s32 offset:816 ; 8-byte Folded Spill
.LBB287_521:                            ;   in Loop: Header=BB287_11 Depth=1
	s_or_b32 exec_lo, exec_lo, s8
.LBB287_522:                            ;   in Loop: Header=BB287_11 Depth=1
	s_delay_alu instid0(SALU_CYCLE_1)
	s_or_b32 exec_lo, exec_lo, s20
.LBB287_523:                            ;   in Loop: Header=BB287_11 Depth=1
	s_delay_alu instid0(SALU_CYCLE_1)
	s_or_b32 exec_lo, exec_lo, s19
	flat_load_b32 v0, v[37:38] offset:2048
	v_mov_b32_e32 v2, 0
	v_mov_b32_e32 v3, 0
	s_mov_b32 s8, exec_lo
	s_clause 0x1
	scratch_store_b64 off, v[2:3], s32 offset:832
	scratch_store_b64 off, v[2:3], s32 offset:840
	s_waitcnt vmcnt(0) lgkmcnt(0)
	v_and_b32_e32 v1, 0xff, v0
	s_delay_alu instid0(VALU_DEP_1)
	v_cmpx_ne_u16_e32 0, v1
	s_cbranch_execz .LBB287_531
; %bb.524:                              ;   in Loop: Header=BB287_11 Depth=1
	v_cmp_ne_u16_e64 s1, 0x80, v1
	v_bfrev_b32_e32 v1, 1
	v_mov_b32_e32 v2, 0
	scratch_store_b64 off, v[1:2], s32 offset:840 ; 8-byte Folded Spill
	s_and_saveexec_b32 s19, s1
	s_cbranch_execz .LBB287_530
; %bb.525:                              ;   in Loop: Header=BB287_11 Depth=1
	v_mov_b32_e32 v3, 0x7f800001
	v_and_b32_e32 v2, 0x7f, v0
	v_mov_b32_e32 v4, 0
	s_mov_b32 s20, exec_lo
	scratch_store_b64 off, v[3:4], s32 offset:840 ; 8-byte Folded Spill
	v_cmpx_ne_u32_e32 0x7f, v2
	s_cbranch_execz .LBB287_529
; %bb.526:                              ;   in Loop: Header=BB287_11 Depth=1
	v_and_b32_e32 v140, 7, v0
	v_lshrrev_b32_e32 v1, 3, v2
	s_mov_b32 s21, exec_lo
	v_cmpx_gt_u32_e32 8, v2
; %bb.527:                              ;   in Loop: Header=BB287_11 Depth=1
	s_delay_alu instid0(VALU_DEP_3) | instskip(NEXT) | instid1(VALU_DEP_1)
	v_clz_i32_u32_e32 v1, v140
	v_min_u32_e32 v1, 32, v1
	s_delay_alu instid0(VALU_DEP_1) | instskip(SKIP_1) | instid1(VALU_DEP_2)
	v_subrev_nc_u32_e32 v2, 28, v1
	v_sub_nc_u32_e32 v1, 29, v1
	v_lshlrev_b64 v[2:3], v2, v[140:141]
	s_delay_alu instid0(VALU_DEP_1)
	v_and_b32_e32 v140, 7, v2
; %bb.528:                              ;   in Loop: Header=BB287_11 Depth=1
	s_or_b32 exec_lo, exec_lo, s21
	v_lshlrev_b32_e32 v2, 24, v0
	s_delay_alu instid0(VALU_DEP_2) | instskip(SKIP_1) | instid1(VALU_DEP_3)
	v_lshlrev_b32_e32 v3, 20, v140
	v_lshl_add_u32 v1, v1, 23, 0x3c000000
	v_and_b32_e32 v2, 0x80000000, v2
	s_delay_alu instid0(VALU_DEP_1)
	v_or3_b32 v140, v3, v2, v1
	scratch_store_b64 off, v[140:141], s32 offset:840 ; 8-byte Folded Spill
.LBB287_529:                            ;   in Loop: Header=BB287_11 Depth=1
	s_or_b32 exec_lo, exec_lo, s20
.LBB287_530:                            ;   in Loop: Header=BB287_11 Depth=1
	s_delay_alu instid0(SALU_CYCLE_1)
	s_or_b32 exec_lo, exec_lo, s19
.LBB287_531:                            ;   in Loop: Header=BB287_11 Depth=1
	s_delay_alu instid0(SALU_CYCLE_1) | instskip(SKIP_2) | instid1(VALU_DEP_1)
	s_or_b32 exec_lo, exec_lo, s8
	v_lshrrev_b16 v1, 8, v0
	s_mov_b32 s19, exec_lo
	v_cmpx_ne_u16_e32 0, v1
	s_cbranch_execz .LBB287_539
; %bb.532:                              ;   in Loop: Header=BB287_11 Depth=1
	v_dual_mov_b32 v2, s2 :: v_dual_mov_b32 v3, s3
	s_mov_b32 s20, exec_lo
	scratch_store_b64 off, v[2:3], s32 offset:832 ; 8-byte Folded Spill
	v_cmpx_ne_u16_e32 0x80, v1
	s_cbranch_execz .LBB287_538
; %bb.533:                              ;   in Loop: Header=BB287_11 Depth=1
	s_mov_b32 s8, s2
	v_and_b32_e32 v1, 0xffff, v1
	v_dual_mov_b32 v3, s8 :: v_dual_mov_b32 v4, s9
	s_mov_b32 s8, exec_lo
	s_delay_alu instid0(VALU_DEP_2)
	v_and_b32_e32 v2, 0x7f, v1
	scratch_store_b64 off, v[3:4], s32 offset:832 ; 8-byte Folded Spill
	v_cmpx_ne_u32_e32 0x7f, v2
	s_cbranch_execz .LBB287_537
; %bb.534:                              ;   in Loop: Header=BB287_11 Depth=1
	v_and_b32_e32 v140, 7, v1
	v_lshrrev_b32_e32 v1, 3, v2
	s_mov_b32 s21, exec_lo
	v_cmpx_gt_u32_e32 8, v2
; %bb.535:                              ;   in Loop: Header=BB287_11 Depth=1
	s_delay_alu instid0(VALU_DEP_3) | instskip(NEXT) | instid1(VALU_DEP_1)
	v_clz_i32_u32_e32 v1, v140
	v_min_u32_e32 v1, 32, v1
	s_delay_alu instid0(VALU_DEP_1) | instskip(SKIP_1) | instid1(VALU_DEP_2)
	v_subrev_nc_u32_e32 v2, 28, v1
	v_sub_nc_u32_e32 v1, 29, v1
	v_lshlrev_b64 v[2:3], v2, v[140:141]
	s_delay_alu instid0(VALU_DEP_1)
	v_and_b32_e32 v140, 7, v2
; %bb.536:                              ;   in Loop: Header=BB287_11 Depth=1
	s_or_b32 exec_lo, exec_lo, s21
	v_lshlrev_b32_e32 v2, 16, v0
	s_delay_alu instid0(VALU_DEP_2) | instskip(SKIP_1) | instid1(VALU_DEP_3)
	v_lshlrev_b32_e32 v3, 20, v140
	v_lshl_add_u32 v1, v1, 23, 0x3c000000
	v_and_b32_e32 v2, 0x80000000, v2
	s_delay_alu instid0(VALU_DEP_1)
	v_or3_b32 v2, v3, v2, v1
	v_mov_b32_e32 v1, v141
	scratch_store_b64 off, v[1:2], s32 offset:832 ; 8-byte Folded Spill
.LBB287_537:                            ;   in Loop: Header=BB287_11 Depth=1
	s_or_b32 exec_lo, exec_lo, s8
.LBB287_538:                            ;   in Loop: Header=BB287_11 Depth=1
	s_delay_alu instid0(SALU_CYCLE_1)
	s_or_b32 exec_lo, exec_lo, s20
.LBB287_539:                            ;   in Loop: Header=BB287_11 Depth=1
	s_delay_alu instid0(SALU_CYCLE_1)
	s_or_b32 exec_lo, exec_lo, s19
	v_lshrrev_b32_e32 v1, 16, v0
	v_mov_b32_e32 v3, 0
	v_mov_b32_e32 v4, 0
	s_mov_b32 s8, exec_lo
	s_clause 0x1
	scratch_store_b64 off, v[3:4], s32 offset:848
	scratch_store_b64 off, v[3:4], s32 offset:856
	v_and_b32_e32 v2, 0xff, v1
	s_delay_alu instid0(VALU_DEP_1)
	v_cmpx_ne_u16_e32 0, v2
	s_cbranch_execz .LBB287_547
; %bb.540:                              ;   in Loop: Header=BB287_11 Depth=1
	v_cmp_ne_u16_e64 s1, 0x80, v2
	v_bfrev_b32_e32 v2, 1
	v_mov_b32_e32 v3, 0
	scratch_store_b64 off, v[2:3], s32 offset:856 ; 8-byte Folded Spill
	s_and_saveexec_b32 s19, s1
	s_cbranch_execz .LBB287_546
; %bb.541:                              ;   in Loop: Header=BB287_11 Depth=1
	v_mov_b32_e32 v4, 0x7f800001
	v_bfe_u32 v3, v0, 16, 7
	v_mov_b32_e32 v5, 0
	s_mov_b32 s20, exec_lo
	scratch_store_b64 off, v[4:5], s32 offset:856 ; 8-byte Folded Spill
	v_cmpx_ne_u32_e32 0x7f, v3
	s_cbranch_execz .LBB287_545
; %bb.542:                              ;   in Loop: Header=BB287_11 Depth=1
	v_and_b32_e32 v140, 7, v1
	v_lshrrev_b32_e32 v2, 3, v3
	s_mov_b32 s21, exec_lo
	v_cmpx_gt_u32_e32 8, v3
; %bb.543:                              ;   in Loop: Header=BB287_11 Depth=1
	s_delay_alu instid0(VALU_DEP_3) | instskip(NEXT) | instid1(VALU_DEP_1)
	v_clz_i32_u32_e32 v2, v140
	v_min_u32_e32 v2, 32, v2
	s_delay_alu instid0(VALU_DEP_1) | instskip(SKIP_1) | instid1(VALU_DEP_2)
	v_subrev_nc_u32_e32 v3, 28, v2
	v_sub_nc_u32_e32 v2, 29, v2
	v_lshlrev_b64 v[3:4], v3, v[140:141]
	s_delay_alu instid0(VALU_DEP_1)
	v_and_b32_e32 v140, 7, v3
; %bb.544:                              ;   in Loop: Header=BB287_11 Depth=1
	s_or_b32 exec_lo, exec_lo, s21
	v_lshlrev_b32_e32 v1, 24, v1
	s_delay_alu instid0(VALU_DEP_2) | instskip(SKIP_1) | instid1(VALU_DEP_3)
	v_lshlrev_b32_e32 v3, 20, v140
	v_lshl_add_u32 v2, v2, 23, 0x3c000000
	v_and_b32_e32 v1, 0x80000000, v1
	s_delay_alu instid0(VALU_DEP_1)
	v_or3_b32 v140, v3, v1, v2
	scratch_store_b64 off, v[140:141], s32 offset:856 ; 8-byte Folded Spill
.LBB287_545:                            ;   in Loop: Header=BB287_11 Depth=1
	s_or_b32 exec_lo, exec_lo, s20
.LBB287_546:                            ;   in Loop: Header=BB287_11 Depth=1
	s_delay_alu instid0(SALU_CYCLE_1)
	s_or_b32 exec_lo, exec_lo, s19
.LBB287_547:                            ;   in Loop: Header=BB287_11 Depth=1
	s_delay_alu instid0(SALU_CYCLE_1) | instskip(NEXT) | instid1(SALU_CYCLE_1)
	s_or_b32 exec_lo, exec_lo, s8
	s_mov_b32 s19, exec_lo
	v_cmpx_lt_u32_e32 0xffffff, v0
	s_cbranch_execz .LBB287_555
; %bb.548:                              ;   in Loop: Header=BB287_11 Depth=1
	v_lshrrev_b32_e32 v1, 24, v0
	v_dual_mov_b32 v2, s2 :: v_dual_mov_b32 v3, s3
	s_mov_b32 s20, exec_lo
	scratch_store_b64 off, v[2:3], s32 offset:848 ; 8-byte Folded Spill
	v_cmpx_ne_u32_e32 0x80, v1
	s_cbranch_execz .LBB287_554
; %bb.549:                              ;   in Loop: Header=BB287_11 Depth=1
	s_mov_b32 s8, s2
	v_bfe_u32 v2, v0, 24, 7
	v_dual_mov_b32 v3, s8 :: v_dual_mov_b32 v4, s9
	s_mov_b32 s8, exec_lo
	scratch_store_b64 off, v[3:4], s32 offset:848 ; 8-byte Folded Spill
	v_cmpx_ne_u32_e32 0x7f, v2
	s_cbranch_execz .LBB287_553
; %bb.550:                              ;   in Loop: Header=BB287_11 Depth=1
	v_and_b32_e32 v140, 7, v1
	v_lshrrev_b32_e32 v0, 3, v2
	s_mov_b32 s21, exec_lo
	v_cmpx_gt_u32_e32 8, v2
; %bb.551:                              ;   in Loop: Header=BB287_11 Depth=1
	s_delay_alu instid0(VALU_DEP_3) | instskip(NEXT) | instid1(VALU_DEP_1)
	v_clz_i32_u32_e32 v0, v140
	v_min_u32_e32 v0, 32, v0
	s_delay_alu instid0(VALU_DEP_1) | instskip(SKIP_1) | instid1(VALU_DEP_2)
	v_subrev_nc_u32_e32 v2, 28, v0
	v_sub_nc_u32_e32 v0, 29, v0
	v_lshlrev_b64 v[2:3], v2, v[140:141]
	s_delay_alu instid0(VALU_DEP_1)
	v_and_b32_e32 v140, 7, v2
; %bb.552:                              ;   in Loop: Header=BB287_11 Depth=1
	s_or_b32 exec_lo, exec_lo, s21
	v_lshlrev_b32_e32 v1, 24, v1
	s_delay_alu instid0(VALU_DEP_2) | instskip(SKIP_1) | instid1(VALU_DEP_3)
	v_lshlrev_b32_e32 v2, 20, v140
	v_lshl_add_u32 v0, v0, 23, 0x3c000000
	v_and_b32_e32 v1, 0x80000000, v1
	s_delay_alu instid0(VALU_DEP_1)
	v_or3_b32 v1, v2, v1, v0
	v_mov_b32_e32 v0, v141
	scratch_store_b64 off, v[0:1], s32 offset:848 ; 8-byte Folded Spill
.LBB287_553:                            ;   in Loop: Header=BB287_11 Depth=1
	s_or_b32 exec_lo, exec_lo, s8
.LBB287_554:                            ;   in Loop: Header=BB287_11 Depth=1
	s_delay_alu instid0(SALU_CYCLE_1)
	s_or_b32 exec_lo, exec_lo, s20
.LBB287_555:                            ;   in Loop: Header=BB287_11 Depth=1
	s_delay_alu instid0(SALU_CYCLE_1)
	s_or_b32 exec_lo, exec_lo, s19
	flat_load_b32 v0, v[37:38] offset:2052
	v_mov_b32_e32 v2, 0
	v_mov_b32_e32 v3, 0
	s_mov_b32 s8, exec_lo
	s_clause 0x1
	scratch_store_b64 off, v[2:3], s32 offset:864
	scratch_store_b64 off, v[2:3], s32 offset:872
	s_waitcnt vmcnt(0) lgkmcnt(0)
	v_and_b32_e32 v1, 0xff, v0
	s_delay_alu instid0(VALU_DEP_1)
	v_cmpx_ne_u16_e32 0, v1
	s_cbranch_execz .LBB287_563
; %bb.556:                              ;   in Loop: Header=BB287_11 Depth=1
	v_cmp_ne_u16_e64 s1, 0x80, v1
	v_bfrev_b32_e32 v1, 1
	v_mov_b32_e32 v2, 0
	scratch_store_b64 off, v[1:2], s32 offset:872 ; 8-byte Folded Spill
	s_and_saveexec_b32 s19, s1
	s_cbranch_execz .LBB287_562
; %bb.557:                              ;   in Loop: Header=BB287_11 Depth=1
	v_mov_b32_e32 v3, 0x7f800001
	v_and_b32_e32 v2, 0x7f, v0
	v_mov_b32_e32 v4, 0
	s_mov_b32 s20, exec_lo
	scratch_store_b64 off, v[3:4], s32 offset:872 ; 8-byte Folded Spill
	v_cmpx_ne_u32_e32 0x7f, v2
	s_cbranch_execz .LBB287_561
; %bb.558:                              ;   in Loop: Header=BB287_11 Depth=1
	v_and_b32_e32 v140, 7, v0
	v_lshrrev_b32_e32 v1, 3, v2
	s_mov_b32 s21, exec_lo
	v_cmpx_gt_u32_e32 8, v2
; %bb.559:                              ;   in Loop: Header=BB287_11 Depth=1
	s_delay_alu instid0(VALU_DEP_3) | instskip(NEXT) | instid1(VALU_DEP_1)
	v_clz_i32_u32_e32 v1, v140
	v_min_u32_e32 v1, 32, v1
	s_delay_alu instid0(VALU_DEP_1) | instskip(SKIP_1) | instid1(VALU_DEP_2)
	v_subrev_nc_u32_e32 v2, 28, v1
	v_sub_nc_u32_e32 v1, 29, v1
	v_lshlrev_b64 v[2:3], v2, v[140:141]
	s_delay_alu instid0(VALU_DEP_1)
	v_and_b32_e32 v140, 7, v2
; %bb.560:                              ;   in Loop: Header=BB287_11 Depth=1
	s_or_b32 exec_lo, exec_lo, s21
	v_lshlrev_b32_e32 v2, 24, v0
	s_delay_alu instid0(VALU_DEP_2) | instskip(SKIP_1) | instid1(VALU_DEP_3)
	v_lshlrev_b32_e32 v3, 20, v140
	v_lshl_add_u32 v1, v1, 23, 0x3c000000
	v_and_b32_e32 v2, 0x80000000, v2
	s_delay_alu instid0(VALU_DEP_1)
	v_or3_b32 v140, v3, v2, v1
	scratch_store_b64 off, v[140:141], s32 offset:872 ; 8-byte Folded Spill
.LBB287_561:                            ;   in Loop: Header=BB287_11 Depth=1
	s_or_b32 exec_lo, exec_lo, s20
.LBB287_562:                            ;   in Loop: Header=BB287_11 Depth=1
	s_delay_alu instid0(SALU_CYCLE_1)
	s_or_b32 exec_lo, exec_lo, s19
.LBB287_563:                            ;   in Loop: Header=BB287_11 Depth=1
	s_delay_alu instid0(SALU_CYCLE_1) | instskip(SKIP_2) | instid1(VALU_DEP_1)
	s_or_b32 exec_lo, exec_lo, s8
	v_lshrrev_b16 v1, 8, v0
	s_mov_b32 s19, exec_lo
	v_cmpx_ne_u16_e32 0, v1
	s_cbranch_execz .LBB287_571
; %bb.564:                              ;   in Loop: Header=BB287_11 Depth=1
	v_dual_mov_b32 v2, s2 :: v_dual_mov_b32 v3, s3
	s_mov_b32 s20, exec_lo
	scratch_store_b64 off, v[2:3], s32 offset:864 ; 8-byte Folded Spill
	v_cmpx_ne_u16_e32 0x80, v1
	s_cbranch_execz .LBB287_570
; %bb.565:                              ;   in Loop: Header=BB287_11 Depth=1
	s_mov_b32 s8, s2
	v_and_b32_e32 v1, 0xffff, v1
	v_dual_mov_b32 v3, s8 :: v_dual_mov_b32 v4, s9
	s_mov_b32 s8, exec_lo
	s_delay_alu instid0(VALU_DEP_2)
	v_and_b32_e32 v2, 0x7f, v1
	scratch_store_b64 off, v[3:4], s32 offset:864 ; 8-byte Folded Spill
	v_cmpx_ne_u32_e32 0x7f, v2
	s_cbranch_execz .LBB287_569
; %bb.566:                              ;   in Loop: Header=BB287_11 Depth=1
	v_and_b32_e32 v140, 7, v1
	v_lshrrev_b32_e32 v1, 3, v2
	s_mov_b32 s21, exec_lo
	v_cmpx_gt_u32_e32 8, v2
; %bb.567:                              ;   in Loop: Header=BB287_11 Depth=1
	s_delay_alu instid0(VALU_DEP_3) | instskip(NEXT) | instid1(VALU_DEP_1)
	v_clz_i32_u32_e32 v1, v140
	v_min_u32_e32 v1, 32, v1
	s_delay_alu instid0(VALU_DEP_1) | instskip(SKIP_1) | instid1(VALU_DEP_2)
	v_subrev_nc_u32_e32 v2, 28, v1
	v_sub_nc_u32_e32 v1, 29, v1
	v_lshlrev_b64 v[2:3], v2, v[140:141]
	s_delay_alu instid0(VALU_DEP_1)
	v_and_b32_e32 v140, 7, v2
; %bb.568:                              ;   in Loop: Header=BB287_11 Depth=1
	s_or_b32 exec_lo, exec_lo, s21
	v_lshlrev_b32_e32 v2, 16, v0
	s_delay_alu instid0(VALU_DEP_2) | instskip(SKIP_1) | instid1(VALU_DEP_3)
	v_lshlrev_b32_e32 v3, 20, v140
	v_lshl_add_u32 v1, v1, 23, 0x3c000000
	v_and_b32_e32 v2, 0x80000000, v2
	s_delay_alu instid0(VALU_DEP_1)
	v_or3_b32 v2, v3, v2, v1
	v_mov_b32_e32 v1, v141
	scratch_store_b64 off, v[1:2], s32 offset:864 ; 8-byte Folded Spill
.LBB287_569:                            ;   in Loop: Header=BB287_11 Depth=1
	s_or_b32 exec_lo, exec_lo, s8
.LBB287_570:                            ;   in Loop: Header=BB287_11 Depth=1
	s_delay_alu instid0(SALU_CYCLE_1)
	s_or_b32 exec_lo, exec_lo, s20
.LBB287_571:                            ;   in Loop: Header=BB287_11 Depth=1
	s_delay_alu instid0(SALU_CYCLE_1)
	s_or_b32 exec_lo, exec_lo, s19
	v_lshrrev_b32_e32 v1, 16, v0
	v_mov_b32_e32 v3, 0
	v_mov_b32_e32 v4, 0
	s_mov_b32 s8, exec_lo
	s_clause 0x1
	scratch_store_b64 off, v[3:4], s32 offset:880
	scratch_store_b64 off, v[3:4], s32 offset:888
	v_and_b32_e32 v2, 0xff, v1
	s_delay_alu instid0(VALU_DEP_1)
	v_cmpx_ne_u16_e32 0, v2
	s_cbranch_execz .LBB287_579
; %bb.572:                              ;   in Loop: Header=BB287_11 Depth=1
	v_cmp_ne_u16_e64 s1, 0x80, v2
	v_bfrev_b32_e32 v2, 1
	v_mov_b32_e32 v3, 0
	scratch_store_b64 off, v[2:3], s32 offset:888 ; 8-byte Folded Spill
	s_and_saveexec_b32 s19, s1
	s_cbranch_execz .LBB287_578
; %bb.573:                              ;   in Loop: Header=BB287_11 Depth=1
	v_mov_b32_e32 v4, 0x7f800001
	v_bfe_u32 v3, v0, 16, 7
	v_mov_b32_e32 v5, 0
	s_mov_b32 s20, exec_lo
	scratch_store_b64 off, v[4:5], s32 offset:888 ; 8-byte Folded Spill
	v_cmpx_ne_u32_e32 0x7f, v3
	s_cbranch_execz .LBB287_577
; %bb.574:                              ;   in Loop: Header=BB287_11 Depth=1
	v_and_b32_e32 v140, 7, v1
	v_lshrrev_b32_e32 v2, 3, v3
	s_mov_b32 s21, exec_lo
	v_cmpx_gt_u32_e32 8, v3
; %bb.575:                              ;   in Loop: Header=BB287_11 Depth=1
	s_delay_alu instid0(VALU_DEP_3) | instskip(NEXT) | instid1(VALU_DEP_1)
	v_clz_i32_u32_e32 v2, v140
	v_min_u32_e32 v2, 32, v2
	s_delay_alu instid0(VALU_DEP_1) | instskip(SKIP_1) | instid1(VALU_DEP_2)
	v_subrev_nc_u32_e32 v3, 28, v2
	v_sub_nc_u32_e32 v2, 29, v2
	v_lshlrev_b64 v[3:4], v3, v[140:141]
	s_delay_alu instid0(VALU_DEP_1)
	v_and_b32_e32 v140, 7, v3
; %bb.576:                              ;   in Loop: Header=BB287_11 Depth=1
	s_or_b32 exec_lo, exec_lo, s21
	v_lshlrev_b32_e32 v1, 24, v1
	s_delay_alu instid0(VALU_DEP_2) | instskip(SKIP_1) | instid1(VALU_DEP_3)
	v_lshlrev_b32_e32 v3, 20, v140
	v_lshl_add_u32 v2, v2, 23, 0x3c000000
	v_and_b32_e32 v1, 0x80000000, v1
	s_delay_alu instid0(VALU_DEP_1)
	v_or3_b32 v140, v3, v1, v2
	scratch_store_b64 off, v[140:141], s32 offset:888 ; 8-byte Folded Spill
.LBB287_577:                            ;   in Loop: Header=BB287_11 Depth=1
	s_or_b32 exec_lo, exec_lo, s20
.LBB287_578:                            ;   in Loop: Header=BB287_11 Depth=1
	s_delay_alu instid0(SALU_CYCLE_1)
	s_or_b32 exec_lo, exec_lo, s19
.LBB287_579:                            ;   in Loop: Header=BB287_11 Depth=1
	s_delay_alu instid0(SALU_CYCLE_1) | instskip(NEXT) | instid1(SALU_CYCLE_1)
	s_or_b32 exec_lo, exec_lo, s8
	s_mov_b32 s19, exec_lo
	v_cmpx_lt_u32_e32 0xffffff, v0
	s_cbranch_execz .LBB287_587
; %bb.580:                              ;   in Loop: Header=BB287_11 Depth=1
	v_lshrrev_b32_e32 v1, 24, v0
	v_dual_mov_b32 v2, s2 :: v_dual_mov_b32 v3, s3
	s_mov_b32 s20, exec_lo
	scratch_store_b64 off, v[2:3], s32 offset:880 ; 8-byte Folded Spill
	v_cmpx_ne_u32_e32 0x80, v1
	s_cbranch_execz .LBB287_586
; %bb.581:                              ;   in Loop: Header=BB287_11 Depth=1
	s_mov_b32 s8, s2
	v_bfe_u32 v2, v0, 24, 7
	v_dual_mov_b32 v3, s8 :: v_dual_mov_b32 v4, s9
	s_mov_b32 s8, exec_lo
	scratch_store_b64 off, v[3:4], s32 offset:880 ; 8-byte Folded Spill
	v_cmpx_ne_u32_e32 0x7f, v2
	s_cbranch_execz .LBB287_585
; %bb.582:                              ;   in Loop: Header=BB287_11 Depth=1
	v_and_b32_e32 v140, 7, v1
	v_lshrrev_b32_e32 v0, 3, v2
	s_mov_b32 s21, exec_lo
	v_cmpx_gt_u32_e32 8, v2
; %bb.583:                              ;   in Loop: Header=BB287_11 Depth=1
	s_delay_alu instid0(VALU_DEP_3) | instskip(NEXT) | instid1(VALU_DEP_1)
	v_clz_i32_u32_e32 v0, v140
	v_min_u32_e32 v0, 32, v0
	s_delay_alu instid0(VALU_DEP_1) | instskip(SKIP_1) | instid1(VALU_DEP_2)
	v_subrev_nc_u32_e32 v2, 28, v0
	v_sub_nc_u32_e32 v0, 29, v0
	v_lshlrev_b64 v[2:3], v2, v[140:141]
	s_delay_alu instid0(VALU_DEP_1)
	v_and_b32_e32 v140, 7, v2
; %bb.584:                              ;   in Loop: Header=BB287_11 Depth=1
	s_or_b32 exec_lo, exec_lo, s21
	v_lshlrev_b32_e32 v1, 24, v1
	s_delay_alu instid0(VALU_DEP_2) | instskip(SKIP_1) | instid1(VALU_DEP_3)
	v_lshlrev_b32_e32 v2, 20, v140
	v_lshl_add_u32 v0, v0, 23, 0x3c000000
	v_and_b32_e32 v1, 0x80000000, v1
	s_delay_alu instid0(VALU_DEP_1)
	v_or3_b32 v1, v2, v1, v0
	v_mov_b32_e32 v0, v141
	scratch_store_b64 off, v[0:1], s32 offset:880 ; 8-byte Folded Spill
.LBB287_585:                            ;   in Loop: Header=BB287_11 Depth=1
	s_or_b32 exec_lo, exec_lo, s8
.LBB287_586:                            ;   in Loop: Header=BB287_11 Depth=1
	s_delay_alu instid0(SALU_CYCLE_1)
	s_or_b32 exec_lo, exec_lo, s20
.LBB287_587:                            ;   in Loop: Header=BB287_11 Depth=1
	s_delay_alu instid0(SALU_CYCLE_1)
	s_or_b32 exec_lo, exec_lo, s19
	flat_load_b32 v0, v[37:38] offset:2056
	v_mov_b32_e32 v2, 0
	v_mov_b32_e32 v3, 0
	s_mov_b32 s8, exec_lo
	s_clause 0x1
	scratch_store_b64 off, v[2:3], s32 offset:896
	scratch_store_b64 off, v[2:3], s32 offset:904
	s_waitcnt vmcnt(0) lgkmcnt(0)
	v_and_b32_e32 v1, 0xff, v0
	s_delay_alu instid0(VALU_DEP_1)
	v_cmpx_ne_u16_e32 0, v1
	s_cbranch_execz .LBB287_595
; %bb.588:                              ;   in Loop: Header=BB287_11 Depth=1
	v_cmp_ne_u16_e64 s1, 0x80, v1
	v_bfrev_b32_e32 v1, 1
	v_mov_b32_e32 v2, 0
	scratch_store_b64 off, v[1:2], s32 offset:904 ; 8-byte Folded Spill
	s_and_saveexec_b32 s19, s1
	s_cbranch_execz .LBB287_594
; %bb.589:                              ;   in Loop: Header=BB287_11 Depth=1
	v_mov_b32_e32 v3, 0x7f800001
	v_and_b32_e32 v2, 0x7f, v0
	v_mov_b32_e32 v4, 0
	s_mov_b32 s20, exec_lo
	scratch_store_b64 off, v[3:4], s32 offset:904 ; 8-byte Folded Spill
	v_cmpx_ne_u32_e32 0x7f, v2
	s_cbranch_execz .LBB287_593
; %bb.590:                              ;   in Loop: Header=BB287_11 Depth=1
	v_and_b32_e32 v140, 7, v0
	v_lshrrev_b32_e32 v1, 3, v2
	s_mov_b32 s21, exec_lo
	v_cmpx_gt_u32_e32 8, v2
; %bb.591:                              ;   in Loop: Header=BB287_11 Depth=1
	s_delay_alu instid0(VALU_DEP_3) | instskip(NEXT) | instid1(VALU_DEP_1)
	v_clz_i32_u32_e32 v1, v140
	v_min_u32_e32 v1, 32, v1
	s_delay_alu instid0(VALU_DEP_1) | instskip(SKIP_1) | instid1(VALU_DEP_2)
	v_subrev_nc_u32_e32 v2, 28, v1
	v_sub_nc_u32_e32 v1, 29, v1
	v_lshlrev_b64 v[2:3], v2, v[140:141]
	s_delay_alu instid0(VALU_DEP_1)
	v_and_b32_e32 v140, 7, v2
; %bb.592:                              ;   in Loop: Header=BB287_11 Depth=1
	s_or_b32 exec_lo, exec_lo, s21
	v_lshlrev_b32_e32 v2, 24, v0
	s_delay_alu instid0(VALU_DEP_2) | instskip(SKIP_1) | instid1(VALU_DEP_3)
	v_lshlrev_b32_e32 v3, 20, v140
	v_lshl_add_u32 v1, v1, 23, 0x3c000000
	v_and_b32_e32 v2, 0x80000000, v2
	s_delay_alu instid0(VALU_DEP_1)
	v_or3_b32 v140, v3, v2, v1
	scratch_store_b64 off, v[140:141], s32 offset:904 ; 8-byte Folded Spill
.LBB287_593:                            ;   in Loop: Header=BB287_11 Depth=1
	s_or_b32 exec_lo, exec_lo, s20
.LBB287_594:                            ;   in Loop: Header=BB287_11 Depth=1
	s_delay_alu instid0(SALU_CYCLE_1)
	s_or_b32 exec_lo, exec_lo, s19
.LBB287_595:                            ;   in Loop: Header=BB287_11 Depth=1
	s_delay_alu instid0(SALU_CYCLE_1) | instskip(SKIP_2) | instid1(VALU_DEP_1)
	s_or_b32 exec_lo, exec_lo, s8
	v_lshrrev_b16 v1, 8, v0
	s_mov_b32 s19, exec_lo
	v_cmpx_ne_u16_e32 0, v1
	s_cbranch_execz .LBB287_603
; %bb.596:                              ;   in Loop: Header=BB287_11 Depth=1
	v_dual_mov_b32 v2, s2 :: v_dual_mov_b32 v3, s3
	s_mov_b32 s20, exec_lo
	scratch_store_b64 off, v[2:3], s32 offset:896 ; 8-byte Folded Spill
	v_cmpx_ne_u16_e32 0x80, v1
	s_cbranch_execz .LBB287_602
; %bb.597:                              ;   in Loop: Header=BB287_11 Depth=1
	s_mov_b32 s8, s2
	v_and_b32_e32 v1, 0xffff, v1
	v_dual_mov_b32 v3, s8 :: v_dual_mov_b32 v4, s9
	s_mov_b32 s8, exec_lo
	s_delay_alu instid0(VALU_DEP_2)
	v_and_b32_e32 v2, 0x7f, v1
	scratch_store_b64 off, v[3:4], s32 offset:896 ; 8-byte Folded Spill
	v_cmpx_ne_u32_e32 0x7f, v2
	s_cbranch_execz .LBB287_601
; %bb.598:                              ;   in Loop: Header=BB287_11 Depth=1
	v_and_b32_e32 v140, 7, v1
	v_lshrrev_b32_e32 v1, 3, v2
	s_mov_b32 s21, exec_lo
	v_cmpx_gt_u32_e32 8, v2
; %bb.599:                              ;   in Loop: Header=BB287_11 Depth=1
	s_delay_alu instid0(VALU_DEP_3) | instskip(NEXT) | instid1(VALU_DEP_1)
	v_clz_i32_u32_e32 v1, v140
	v_min_u32_e32 v1, 32, v1
	s_delay_alu instid0(VALU_DEP_1) | instskip(SKIP_1) | instid1(VALU_DEP_2)
	v_subrev_nc_u32_e32 v2, 28, v1
	v_sub_nc_u32_e32 v1, 29, v1
	v_lshlrev_b64 v[2:3], v2, v[140:141]
	s_delay_alu instid0(VALU_DEP_1)
	v_and_b32_e32 v140, 7, v2
; %bb.600:                              ;   in Loop: Header=BB287_11 Depth=1
	s_or_b32 exec_lo, exec_lo, s21
	v_lshlrev_b32_e32 v2, 16, v0
	s_delay_alu instid0(VALU_DEP_2) | instskip(SKIP_1) | instid1(VALU_DEP_3)
	v_lshlrev_b32_e32 v3, 20, v140
	v_lshl_add_u32 v1, v1, 23, 0x3c000000
	v_and_b32_e32 v2, 0x80000000, v2
	s_delay_alu instid0(VALU_DEP_1)
	v_or3_b32 v2, v3, v2, v1
	v_mov_b32_e32 v1, v141
	scratch_store_b64 off, v[1:2], s32 offset:896 ; 8-byte Folded Spill
.LBB287_601:                            ;   in Loop: Header=BB287_11 Depth=1
	s_or_b32 exec_lo, exec_lo, s8
.LBB287_602:                            ;   in Loop: Header=BB287_11 Depth=1
	s_delay_alu instid0(SALU_CYCLE_1)
	s_or_b32 exec_lo, exec_lo, s20
.LBB287_603:                            ;   in Loop: Header=BB287_11 Depth=1
	s_delay_alu instid0(SALU_CYCLE_1)
	s_or_b32 exec_lo, exec_lo, s19
	v_lshrrev_b32_e32 v1, 16, v0
	v_mov_b32_e32 v3, 0
	v_mov_b32_e32 v4, 0
	s_mov_b32 s8, exec_lo
	s_clause 0x1
	scratch_store_b64 off, v[3:4], s32 offset:912
	scratch_store_b64 off, v[3:4], s32 offset:920
	v_and_b32_e32 v2, 0xff, v1
	s_delay_alu instid0(VALU_DEP_1)
	v_cmpx_ne_u16_e32 0, v2
	s_cbranch_execz .LBB287_611
; %bb.604:                              ;   in Loop: Header=BB287_11 Depth=1
	v_cmp_ne_u16_e64 s1, 0x80, v2
	v_bfrev_b32_e32 v2, 1
	v_mov_b32_e32 v3, 0
	scratch_store_b64 off, v[2:3], s32 offset:920 ; 8-byte Folded Spill
	s_and_saveexec_b32 s19, s1
	s_cbranch_execz .LBB287_610
; %bb.605:                              ;   in Loop: Header=BB287_11 Depth=1
	v_mov_b32_e32 v4, 0x7f800001
	v_bfe_u32 v3, v0, 16, 7
	v_mov_b32_e32 v5, 0
	s_mov_b32 s20, exec_lo
	scratch_store_b64 off, v[4:5], s32 offset:920 ; 8-byte Folded Spill
	v_cmpx_ne_u32_e32 0x7f, v3
	s_cbranch_execz .LBB287_609
; %bb.606:                              ;   in Loop: Header=BB287_11 Depth=1
	v_and_b32_e32 v140, 7, v1
	v_lshrrev_b32_e32 v2, 3, v3
	s_mov_b32 s21, exec_lo
	v_cmpx_gt_u32_e32 8, v3
; %bb.607:                              ;   in Loop: Header=BB287_11 Depth=1
	s_delay_alu instid0(VALU_DEP_3) | instskip(NEXT) | instid1(VALU_DEP_1)
	v_clz_i32_u32_e32 v2, v140
	v_min_u32_e32 v2, 32, v2
	s_delay_alu instid0(VALU_DEP_1) | instskip(SKIP_1) | instid1(VALU_DEP_2)
	v_subrev_nc_u32_e32 v3, 28, v2
	v_sub_nc_u32_e32 v2, 29, v2
	v_lshlrev_b64 v[3:4], v3, v[140:141]
	s_delay_alu instid0(VALU_DEP_1)
	v_and_b32_e32 v140, 7, v3
; %bb.608:                              ;   in Loop: Header=BB287_11 Depth=1
	s_or_b32 exec_lo, exec_lo, s21
	v_lshlrev_b32_e32 v1, 24, v1
	s_delay_alu instid0(VALU_DEP_2) | instskip(SKIP_1) | instid1(VALU_DEP_3)
	v_lshlrev_b32_e32 v3, 20, v140
	v_lshl_add_u32 v2, v2, 23, 0x3c000000
	v_and_b32_e32 v1, 0x80000000, v1
	s_delay_alu instid0(VALU_DEP_1)
	v_or3_b32 v140, v3, v1, v2
	scratch_store_b64 off, v[140:141], s32 offset:920 ; 8-byte Folded Spill
.LBB287_609:                            ;   in Loop: Header=BB287_11 Depth=1
	s_or_b32 exec_lo, exec_lo, s20
.LBB287_610:                            ;   in Loop: Header=BB287_11 Depth=1
	s_delay_alu instid0(SALU_CYCLE_1)
	s_or_b32 exec_lo, exec_lo, s19
.LBB287_611:                            ;   in Loop: Header=BB287_11 Depth=1
	s_delay_alu instid0(SALU_CYCLE_1) | instskip(NEXT) | instid1(SALU_CYCLE_1)
	s_or_b32 exec_lo, exec_lo, s8
	s_mov_b32 s19, exec_lo
	v_cmpx_lt_u32_e32 0xffffff, v0
	s_cbranch_execz .LBB287_619
; %bb.612:                              ;   in Loop: Header=BB287_11 Depth=1
	v_lshrrev_b32_e32 v1, 24, v0
	v_dual_mov_b32 v2, s2 :: v_dual_mov_b32 v3, s3
	s_mov_b32 s20, exec_lo
	scratch_store_b64 off, v[2:3], s32 offset:912 ; 8-byte Folded Spill
	v_cmpx_ne_u32_e32 0x80, v1
	s_cbranch_execz .LBB287_618
; %bb.613:                              ;   in Loop: Header=BB287_11 Depth=1
	s_mov_b32 s8, s2
	v_bfe_u32 v2, v0, 24, 7
	v_dual_mov_b32 v3, s8 :: v_dual_mov_b32 v4, s9
	s_mov_b32 s8, exec_lo
	scratch_store_b64 off, v[3:4], s32 offset:912 ; 8-byte Folded Spill
	v_cmpx_ne_u32_e32 0x7f, v2
	s_cbranch_execz .LBB287_617
; %bb.614:                              ;   in Loop: Header=BB287_11 Depth=1
	v_and_b32_e32 v140, 7, v1
	v_lshrrev_b32_e32 v0, 3, v2
	s_mov_b32 s21, exec_lo
	v_cmpx_gt_u32_e32 8, v2
; %bb.615:                              ;   in Loop: Header=BB287_11 Depth=1
	s_delay_alu instid0(VALU_DEP_3) | instskip(NEXT) | instid1(VALU_DEP_1)
	v_clz_i32_u32_e32 v0, v140
	v_min_u32_e32 v0, 32, v0
	s_delay_alu instid0(VALU_DEP_1) | instskip(SKIP_1) | instid1(VALU_DEP_2)
	v_subrev_nc_u32_e32 v2, 28, v0
	v_sub_nc_u32_e32 v0, 29, v0
	v_lshlrev_b64 v[2:3], v2, v[140:141]
	s_delay_alu instid0(VALU_DEP_1)
	v_and_b32_e32 v140, 7, v2
; %bb.616:                              ;   in Loop: Header=BB287_11 Depth=1
	s_or_b32 exec_lo, exec_lo, s21
	v_lshlrev_b32_e32 v1, 24, v1
	s_delay_alu instid0(VALU_DEP_2) | instskip(SKIP_1) | instid1(VALU_DEP_3)
	v_lshlrev_b32_e32 v2, 20, v140
	v_lshl_add_u32 v0, v0, 23, 0x3c000000
	v_and_b32_e32 v1, 0x80000000, v1
	s_delay_alu instid0(VALU_DEP_1)
	v_or3_b32 v1, v2, v1, v0
	v_mov_b32_e32 v0, v141
	scratch_store_b64 off, v[0:1], s32 offset:912 ; 8-byte Folded Spill
.LBB287_617:                            ;   in Loop: Header=BB287_11 Depth=1
	s_or_b32 exec_lo, exec_lo, s8
.LBB287_618:                            ;   in Loop: Header=BB287_11 Depth=1
	s_delay_alu instid0(SALU_CYCLE_1)
	s_or_b32 exec_lo, exec_lo, s20
.LBB287_619:                            ;   in Loop: Header=BB287_11 Depth=1
	s_delay_alu instid0(SALU_CYCLE_1)
	s_or_b32 exec_lo, exec_lo, s19
	flat_load_b32 v0, v[37:38] offset:2060
	v_mov_b32_e32 v2, 0
	v_mov_b32_e32 v3, 0
	s_mov_b32 s8, exec_lo
	s_clause 0x1
	scratch_store_b64 off, v[2:3], s32 offset:928
	scratch_store_b64 off, v[2:3], s32 offset:936
	s_waitcnt vmcnt(0) lgkmcnt(0)
	v_and_b32_e32 v1, 0xff, v0
	s_delay_alu instid0(VALU_DEP_1)
	v_cmpx_ne_u16_e32 0, v1
	s_cbranch_execz .LBB287_627
; %bb.620:                              ;   in Loop: Header=BB287_11 Depth=1
	v_cmp_ne_u16_e64 s1, 0x80, v1
	v_bfrev_b32_e32 v1, 1
	v_mov_b32_e32 v2, 0
	scratch_store_b64 off, v[1:2], s32 offset:936 ; 8-byte Folded Spill
	s_and_saveexec_b32 s19, s1
	s_cbranch_execz .LBB287_626
; %bb.621:                              ;   in Loop: Header=BB287_11 Depth=1
	v_mov_b32_e32 v3, 0x7f800001
	v_and_b32_e32 v2, 0x7f, v0
	v_mov_b32_e32 v4, 0
	s_mov_b32 s20, exec_lo
	scratch_store_b64 off, v[3:4], s32 offset:936 ; 8-byte Folded Spill
	v_cmpx_ne_u32_e32 0x7f, v2
	s_cbranch_execz .LBB287_625
; %bb.622:                              ;   in Loop: Header=BB287_11 Depth=1
	v_and_b32_e32 v140, 7, v0
	v_lshrrev_b32_e32 v1, 3, v2
	s_mov_b32 s21, exec_lo
	v_cmpx_gt_u32_e32 8, v2
; %bb.623:                              ;   in Loop: Header=BB287_11 Depth=1
	s_delay_alu instid0(VALU_DEP_3) | instskip(NEXT) | instid1(VALU_DEP_1)
	v_clz_i32_u32_e32 v1, v140
	v_min_u32_e32 v1, 32, v1
	s_delay_alu instid0(VALU_DEP_1) | instskip(SKIP_1) | instid1(VALU_DEP_2)
	v_subrev_nc_u32_e32 v2, 28, v1
	v_sub_nc_u32_e32 v1, 29, v1
	v_lshlrev_b64 v[2:3], v2, v[140:141]
	s_delay_alu instid0(VALU_DEP_1)
	v_and_b32_e32 v140, 7, v2
; %bb.624:                              ;   in Loop: Header=BB287_11 Depth=1
	s_or_b32 exec_lo, exec_lo, s21
	v_lshlrev_b32_e32 v2, 24, v0
	s_delay_alu instid0(VALU_DEP_2) | instskip(SKIP_1) | instid1(VALU_DEP_3)
	v_lshlrev_b32_e32 v3, 20, v140
	v_lshl_add_u32 v1, v1, 23, 0x3c000000
	v_and_b32_e32 v2, 0x80000000, v2
	s_delay_alu instid0(VALU_DEP_1)
	v_or3_b32 v140, v3, v2, v1
	scratch_store_b64 off, v[140:141], s32 offset:936 ; 8-byte Folded Spill
.LBB287_625:                            ;   in Loop: Header=BB287_11 Depth=1
	s_or_b32 exec_lo, exec_lo, s20
.LBB287_626:                            ;   in Loop: Header=BB287_11 Depth=1
	s_delay_alu instid0(SALU_CYCLE_1)
	s_or_b32 exec_lo, exec_lo, s19
.LBB287_627:                            ;   in Loop: Header=BB287_11 Depth=1
	s_delay_alu instid0(SALU_CYCLE_1) | instskip(SKIP_2) | instid1(VALU_DEP_1)
	s_or_b32 exec_lo, exec_lo, s8
	v_lshrrev_b16 v1, 8, v0
	s_mov_b32 s19, exec_lo
	v_cmpx_ne_u16_e32 0, v1
	s_cbranch_execz .LBB287_635
; %bb.628:                              ;   in Loop: Header=BB287_11 Depth=1
	v_dual_mov_b32 v2, s2 :: v_dual_mov_b32 v3, s3
	s_mov_b32 s20, exec_lo
	scratch_store_b64 off, v[2:3], s32 offset:928 ; 8-byte Folded Spill
	v_cmpx_ne_u16_e32 0x80, v1
	s_cbranch_execz .LBB287_634
; %bb.629:                              ;   in Loop: Header=BB287_11 Depth=1
	s_mov_b32 s8, s2
	v_and_b32_e32 v1, 0xffff, v1
	v_dual_mov_b32 v3, s8 :: v_dual_mov_b32 v4, s9
	s_mov_b32 s8, exec_lo
	s_delay_alu instid0(VALU_DEP_2)
	v_and_b32_e32 v2, 0x7f, v1
	scratch_store_b64 off, v[3:4], s32 offset:928 ; 8-byte Folded Spill
	v_cmpx_ne_u32_e32 0x7f, v2
	s_cbranch_execz .LBB287_633
; %bb.630:                              ;   in Loop: Header=BB287_11 Depth=1
	v_and_b32_e32 v140, 7, v1
	v_lshrrev_b32_e32 v1, 3, v2
	s_mov_b32 s21, exec_lo
	v_cmpx_gt_u32_e32 8, v2
; %bb.631:                              ;   in Loop: Header=BB287_11 Depth=1
	s_delay_alu instid0(VALU_DEP_3) | instskip(NEXT) | instid1(VALU_DEP_1)
	v_clz_i32_u32_e32 v1, v140
	v_min_u32_e32 v1, 32, v1
	s_delay_alu instid0(VALU_DEP_1) | instskip(SKIP_1) | instid1(VALU_DEP_2)
	v_subrev_nc_u32_e32 v2, 28, v1
	v_sub_nc_u32_e32 v1, 29, v1
	v_lshlrev_b64 v[2:3], v2, v[140:141]
	s_delay_alu instid0(VALU_DEP_1)
	v_and_b32_e32 v140, 7, v2
; %bb.632:                              ;   in Loop: Header=BB287_11 Depth=1
	s_or_b32 exec_lo, exec_lo, s21
	v_lshlrev_b32_e32 v2, 16, v0
	s_delay_alu instid0(VALU_DEP_2) | instskip(SKIP_1) | instid1(VALU_DEP_3)
	v_lshlrev_b32_e32 v3, 20, v140
	v_lshl_add_u32 v1, v1, 23, 0x3c000000
	v_and_b32_e32 v2, 0x80000000, v2
	s_delay_alu instid0(VALU_DEP_1)
	v_or3_b32 v2, v3, v2, v1
	v_mov_b32_e32 v1, v141
	scratch_store_b64 off, v[1:2], s32 offset:928 ; 8-byte Folded Spill
.LBB287_633:                            ;   in Loop: Header=BB287_11 Depth=1
	s_or_b32 exec_lo, exec_lo, s8
.LBB287_634:                            ;   in Loop: Header=BB287_11 Depth=1
	s_delay_alu instid0(SALU_CYCLE_1)
	s_or_b32 exec_lo, exec_lo, s20
.LBB287_635:                            ;   in Loop: Header=BB287_11 Depth=1
	s_delay_alu instid0(SALU_CYCLE_1)
	s_or_b32 exec_lo, exec_lo, s19
	v_lshrrev_b32_e32 v1, 16, v0
	v_mov_b32_e32 v3, 0
	v_mov_b32_e32 v4, 0
	s_mov_b32 s8, exec_lo
	s_clause 0x1
	scratch_store_b64 off, v[3:4], s32 offset:944
	scratch_store_b64 off, v[3:4], s32 offset:952
	v_and_b32_e32 v2, 0xff, v1
	s_delay_alu instid0(VALU_DEP_1)
	v_cmpx_ne_u16_e32 0, v2
	s_cbranch_execz .LBB287_643
; %bb.636:                              ;   in Loop: Header=BB287_11 Depth=1
	v_cmp_ne_u16_e64 s1, 0x80, v2
	v_bfrev_b32_e32 v2, 1
	v_mov_b32_e32 v3, 0
	scratch_store_b64 off, v[2:3], s32 offset:952 ; 8-byte Folded Spill
	s_and_saveexec_b32 s19, s1
	s_cbranch_execz .LBB287_642
; %bb.637:                              ;   in Loop: Header=BB287_11 Depth=1
	v_mov_b32_e32 v4, 0x7f800001
	v_bfe_u32 v3, v0, 16, 7
	v_mov_b32_e32 v5, 0
	s_mov_b32 s20, exec_lo
	scratch_store_b64 off, v[4:5], s32 offset:952 ; 8-byte Folded Spill
	v_cmpx_ne_u32_e32 0x7f, v3
	s_cbranch_execz .LBB287_641
; %bb.638:                              ;   in Loop: Header=BB287_11 Depth=1
	v_and_b32_e32 v140, 7, v1
	v_lshrrev_b32_e32 v2, 3, v3
	s_mov_b32 s21, exec_lo
	v_cmpx_gt_u32_e32 8, v3
; %bb.639:                              ;   in Loop: Header=BB287_11 Depth=1
	s_delay_alu instid0(VALU_DEP_3) | instskip(NEXT) | instid1(VALU_DEP_1)
	v_clz_i32_u32_e32 v2, v140
	v_min_u32_e32 v2, 32, v2
	s_delay_alu instid0(VALU_DEP_1) | instskip(SKIP_1) | instid1(VALU_DEP_2)
	v_subrev_nc_u32_e32 v3, 28, v2
	v_sub_nc_u32_e32 v2, 29, v2
	v_lshlrev_b64 v[3:4], v3, v[140:141]
	s_delay_alu instid0(VALU_DEP_1)
	v_and_b32_e32 v140, 7, v3
; %bb.640:                              ;   in Loop: Header=BB287_11 Depth=1
	s_or_b32 exec_lo, exec_lo, s21
	v_lshlrev_b32_e32 v1, 24, v1
	s_delay_alu instid0(VALU_DEP_2) | instskip(SKIP_1) | instid1(VALU_DEP_3)
	v_lshlrev_b32_e32 v3, 20, v140
	v_lshl_add_u32 v2, v2, 23, 0x3c000000
	v_and_b32_e32 v1, 0x80000000, v1
	s_delay_alu instid0(VALU_DEP_1)
	v_or3_b32 v140, v3, v1, v2
	scratch_store_b64 off, v[140:141], s32 offset:952 ; 8-byte Folded Spill
.LBB287_641:                            ;   in Loop: Header=BB287_11 Depth=1
	s_or_b32 exec_lo, exec_lo, s20
.LBB287_642:                            ;   in Loop: Header=BB287_11 Depth=1
	s_delay_alu instid0(SALU_CYCLE_1)
	s_or_b32 exec_lo, exec_lo, s19
.LBB287_643:                            ;   in Loop: Header=BB287_11 Depth=1
	s_delay_alu instid0(SALU_CYCLE_1) | instskip(NEXT) | instid1(SALU_CYCLE_1)
	s_or_b32 exec_lo, exec_lo, s8
	s_mov_b32 s19, exec_lo
	v_cmpx_lt_u32_e32 0xffffff, v0
	s_cbranch_execz .LBB287_651
; %bb.644:                              ;   in Loop: Header=BB287_11 Depth=1
	v_lshrrev_b32_e32 v1, 24, v0
	v_dual_mov_b32 v2, s2 :: v_dual_mov_b32 v3, s3
	s_mov_b32 s20, exec_lo
	scratch_store_b64 off, v[2:3], s32 offset:944 ; 8-byte Folded Spill
	v_cmpx_ne_u32_e32 0x80, v1
	s_cbranch_execz .LBB287_650
; %bb.645:                              ;   in Loop: Header=BB287_11 Depth=1
	s_mov_b32 s8, s2
	v_bfe_u32 v2, v0, 24, 7
	v_dual_mov_b32 v3, s8 :: v_dual_mov_b32 v4, s9
	s_mov_b32 s8, exec_lo
	scratch_store_b64 off, v[3:4], s32 offset:944 ; 8-byte Folded Spill
	v_cmpx_ne_u32_e32 0x7f, v2
	s_cbranch_execz .LBB287_649
; %bb.646:                              ;   in Loop: Header=BB287_11 Depth=1
	v_and_b32_e32 v140, 7, v1
	v_lshrrev_b32_e32 v0, 3, v2
	s_mov_b32 s21, exec_lo
	v_cmpx_gt_u32_e32 8, v2
; %bb.647:                              ;   in Loop: Header=BB287_11 Depth=1
	s_delay_alu instid0(VALU_DEP_3) | instskip(NEXT) | instid1(VALU_DEP_1)
	v_clz_i32_u32_e32 v0, v140
	v_min_u32_e32 v0, 32, v0
	s_delay_alu instid0(VALU_DEP_1) | instskip(SKIP_1) | instid1(VALU_DEP_2)
	v_subrev_nc_u32_e32 v2, 28, v0
	v_sub_nc_u32_e32 v0, 29, v0
	v_lshlrev_b64 v[2:3], v2, v[140:141]
	s_delay_alu instid0(VALU_DEP_1)
	v_and_b32_e32 v140, 7, v2
; %bb.648:                              ;   in Loop: Header=BB287_11 Depth=1
	s_or_b32 exec_lo, exec_lo, s21
	v_lshlrev_b32_e32 v1, 24, v1
	s_delay_alu instid0(VALU_DEP_2) | instskip(SKIP_1) | instid1(VALU_DEP_3)
	v_lshlrev_b32_e32 v2, 20, v140
	v_lshl_add_u32 v0, v0, 23, 0x3c000000
	v_and_b32_e32 v1, 0x80000000, v1
	s_delay_alu instid0(VALU_DEP_1)
	v_or3_b32 v1, v2, v1, v0
	v_mov_b32_e32 v0, v141
	scratch_store_b64 off, v[0:1], s32 offset:944 ; 8-byte Folded Spill
.LBB287_649:                            ;   in Loop: Header=BB287_11 Depth=1
	s_or_b32 exec_lo, exec_lo, s8
.LBB287_650:                            ;   in Loop: Header=BB287_11 Depth=1
	s_delay_alu instid0(SALU_CYCLE_1)
	s_or_b32 exec_lo, exec_lo, s20
.LBB287_651:                            ;   in Loop: Header=BB287_11 Depth=1
	s_delay_alu instid0(SALU_CYCLE_1)
	s_or_b32 exec_lo, exec_lo, s19
	flat_load_b32 v0, v[37:38] offset:2560
	v_mov_b32_e32 v2, 0
	v_mov_b32_e32 v3, 0
	s_mov_b32 s8, exec_lo
	s_clause 0x1
	scratch_store_b64 off, v[2:3], s32 offset:960
	scratch_store_b64 off, v[2:3], s32 offset:968
	s_waitcnt vmcnt(0) lgkmcnt(0)
	v_and_b32_e32 v1, 0xff, v0
	s_delay_alu instid0(VALU_DEP_1)
	v_cmpx_ne_u16_e32 0, v1
	s_cbranch_execz .LBB287_659
; %bb.652:                              ;   in Loop: Header=BB287_11 Depth=1
	v_cmp_ne_u16_e64 s1, 0x80, v1
	v_bfrev_b32_e32 v1, 1
	v_mov_b32_e32 v2, 0
	scratch_store_b64 off, v[1:2], s32 offset:968 ; 8-byte Folded Spill
	s_and_saveexec_b32 s19, s1
	s_cbranch_execz .LBB287_658
; %bb.653:                              ;   in Loop: Header=BB287_11 Depth=1
	v_mov_b32_e32 v3, 0x7f800001
	v_and_b32_e32 v2, 0x7f, v0
	v_mov_b32_e32 v4, 0
	s_mov_b32 s20, exec_lo
	scratch_store_b64 off, v[3:4], s32 offset:968 ; 8-byte Folded Spill
	v_cmpx_ne_u32_e32 0x7f, v2
	s_cbranch_execz .LBB287_657
; %bb.654:                              ;   in Loop: Header=BB287_11 Depth=1
	v_and_b32_e32 v140, 7, v0
	v_lshrrev_b32_e32 v1, 3, v2
	s_mov_b32 s21, exec_lo
	v_cmpx_gt_u32_e32 8, v2
; %bb.655:                              ;   in Loop: Header=BB287_11 Depth=1
	s_delay_alu instid0(VALU_DEP_3) | instskip(NEXT) | instid1(VALU_DEP_1)
	v_clz_i32_u32_e32 v1, v140
	v_min_u32_e32 v1, 32, v1
	s_delay_alu instid0(VALU_DEP_1) | instskip(SKIP_1) | instid1(VALU_DEP_2)
	v_subrev_nc_u32_e32 v2, 28, v1
	v_sub_nc_u32_e32 v1, 29, v1
	v_lshlrev_b64 v[2:3], v2, v[140:141]
	s_delay_alu instid0(VALU_DEP_1)
	v_and_b32_e32 v140, 7, v2
; %bb.656:                              ;   in Loop: Header=BB287_11 Depth=1
	s_or_b32 exec_lo, exec_lo, s21
	v_lshlrev_b32_e32 v2, 24, v0
	s_delay_alu instid0(VALU_DEP_2) | instskip(SKIP_1) | instid1(VALU_DEP_3)
	v_lshlrev_b32_e32 v3, 20, v140
	v_lshl_add_u32 v1, v1, 23, 0x3c000000
	v_and_b32_e32 v2, 0x80000000, v2
	s_delay_alu instid0(VALU_DEP_1)
	v_or3_b32 v140, v3, v2, v1
	scratch_store_b64 off, v[140:141], s32 offset:968 ; 8-byte Folded Spill
.LBB287_657:                            ;   in Loop: Header=BB287_11 Depth=1
	s_or_b32 exec_lo, exec_lo, s20
.LBB287_658:                            ;   in Loop: Header=BB287_11 Depth=1
	s_delay_alu instid0(SALU_CYCLE_1)
	s_or_b32 exec_lo, exec_lo, s19
.LBB287_659:                            ;   in Loop: Header=BB287_11 Depth=1
	s_delay_alu instid0(SALU_CYCLE_1) | instskip(SKIP_2) | instid1(VALU_DEP_1)
	s_or_b32 exec_lo, exec_lo, s8
	v_lshrrev_b16 v1, 8, v0
	s_mov_b32 s19, exec_lo
	v_cmpx_ne_u16_e32 0, v1
	s_cbranch_execz .LBB287_667
; %bb.660:                              ;   in Loop: Header=BB287_11 Depth=1
	v_dual_mov_b32 v2, s2 :: v_dual_mov_b32 v3, s3
	s_mov_b32 s20, exec_lo
	scratch_store_b64 off, v[2:3], s32 offset:960 ; 8-byte Folded Spill
	v_cmpx_ne_u16_e32 0x80, v1
	s_cbranch_execz .LBB287_666
; %bb.661:                              ;   in Loop: Header=BB287_11 Depth=1
	s_mov_b32 s8, s2
	v_and_b32_e32 v1, 0xffff, v1
	v_dual_mov_b32 v3, s8 :: v_dual_mov_b32 v4, s9
	s_mov_b32 s8, exec_lo
	s_delay_alu instid0(VALU_DEP_2)
	v_and_b32_e32 v2, 0x7f, v1
	scratch_store_b64 off, v[3:4], s32 offset:960 ; 8-byte Folded Spill
	v_cmpx_ne_u32_e32 0x7f, v2
	s_cbranch_execz .LBB287_665
; %bb.662:                              ;   in Loop: Header=BB287_11 Depth=1
	v_and_b32_e32 v140, 7, v1
	v_lshrrev_b32_e32 v1, 3, v2
	s_mov_b32 s21, exec_lo
	v_cmpx_gt_u32_e32 8, v2
; %bb.663:                              ;   in Loop: Header=BB287_11 Depth=1
	s_delay_alu instid0(VALU_DEP_3) | instskip(NEXT) | instid1(VALU_DEP_1)
	v_clz_i32_u32_e32 v1, v140
	v_min_u32_e32 v1, 32, v1
	s_delay_alu instid0(VALU_DEP_1) | instskip(SKIP_1) | instid1(VALU_DEP_2)
	v_subrev_nc_u32_e32 v2, 28, v1
	v_sub_nc_u32_e32 v1, 29, v1
	v_lshlrev_b64 v[2:3], v2, v[140:141]
	s_delay_alu instid0(VALU_DEP_1)
	v_and_b32_e32 v140, 7, v2
; %bb.664:                              ;   in Loop: Header=BB287_11 Depth=1
	s_or_b32 exec_lo, exec_lo, s21
	v_lshlrev_b32_e32 v2, 16, v0
	s_delay_alu instid0(VALU_DEP_2) | instskip(SKIP_1) | instid1(VALU_DEP_3)
	v_lshlrev_b32_e32 v3, 20, v140
	v_lshl_add_u32 v1, v1, 23, 0x3c000000
	v_and_b32_e32 v2, 0x80000000, v2
	s_delay_alu instid0(VALU_DEP_1)
	v_or3_b32 v2, v3, v2, v1
	v_mov_b32_e32 v1, v141
	scratch_store_b64 off, v[1:2], s32 offset:960 ; 8-byte Folded Spill
.LBB287_665:                            ;   in Loop: Header=BB287_11 Depth=1
	s_or_b32 exec_lo, exec_lo, s8
.LBB287_666:                            ;   in Loop: Header=BB287_11 Depth=1
	s_delay_alu instid0(SALU_CYCLE_1)
	s_or_b32 exec_lo, exec_lo, s20
.LBB287_667:                            ;   in Loop: Header=BB287_11 Depth=1
	s_delay_alu instid0(SALU_CYCLE_1)
	s_or_b32 exec_lo, exec_lo, s19
	v_lshrrev_b32_e32 v1, 16, v0
	v_mov_b32_e32 v3, 0
	v_mov_b32_e32 v4, 0
	s_mov_b32 s8, exec_lo
	s_clause 0x1
	scratch_store_b64 off, v[3:4], s32 offset:976
	scratch_store_b64 off, v[3:4], s32 offset:984
	v_and_b32_e32 v2, 0xff, v1
	s_delay_alu instid0(VALU_DEP_1)
	v_cmpx_ne_u16_e32 0, v2
	s_cbranch_execz .LBB287_675
; %bb.668:                              ;   in Loop: Header=BB287_11 Depth=1
	v_cmp_ne_u16_e64 s1, 0x80, v2
	v_bfrev_b32_e32 v2, 1
	v_mov_b32_e32 v3, 0
	scratch_store_b64 off, v[2:3], s32 offset:984 ; 8-byte Folded Spill
	s_and_saveexec_b32 s19, s1
	s_cbranch_execz .LBB287_674
; %bb.669:                              ;   in Loop: Header=BB287_11 Depth=1
	v_mov_b32_e32 v4, 0x7f800001
	v_bfe_u32 v3, v0, 16, 7
	v_mov_b32_e32 v5, 0
	s_mov_b32 s20, exec_lo
	scratch_store_b64 off, v[4:5], s32 offset:984 ; 8-byte Folded Spill
	v_cmpx_ne_u32_e32 0x7f, v3
	s_cbranch_execz .LBB287_673
; %bb.670:                              ;   in Loop: Header=BB287_11 Depth=1
	v_and_b32_e32 v140, 7, v1
	v_lshrrev_b32_e32 v2, 3, v3
	s_mov_b32 s21, exec_lo
	v_cmpx_gt_u32_e32 8, v3
; %bb.671:                              ;   in Loop: Header=BB287_11 Depth=1
	s_delay_alu instid0(VALU_DEP_3) | instskip(NEXT) | instid1(VALU_DEP_1)
	v_clz_i32_u32_e32 v2, v140
	v_min_u32_e32 v2, 32, v2
	s_delay_alu instid0(VALU_DEP_1) | instskip(SKIP_1) | instid1(VALU_DEP_2)
	v_subrev_nc_u32_e32 v3, 28, v2
	v_sub_nc_u32_e32 v2, 29, v2
	v_lshlrev_b64 v[3:4], v3, v[140:141]
	s_delay_alu instid0(VALU_DEP_1)
	v_and_b32_e32 v140, 7, v3
; %bb.672:                              ;   in Loop: Header=BB287_11 Depth=1
	s_or_b32 exec_lo, exec_lo, s21
	v_lshlrev_b32_e32 v1, 24, v1
	s_delay_alu instid0(VALU_DEP_2) | instskip(SKIP_1) | instid1(VALU_DEP_3)
	v_lshlrev_b32_e32 v3, 20, v140
	v_lshl_add_u32 v2, v2, 23, 0x3c000000
	v_and_b32_e32 v1, 0x80000000, v1
	s_delay_alu instid0(VALU_DEP_1)
	v_or3_b32 v140, v3, v1, v2
	scratch_store_b64 off, v[140:141], s32 offset:984 ; 8-byte Folded Spill
.LBB287_673:                            ;   in Loop: Header=BB287_11 Depth=1
	s_or_b32 exec_lo, exec_lo, s20
.LBB287_674:                            ;   in Loop: Header=BB287_11 Depth=1
	s_delay_alu instid0(SALU_CYCLE_1)
	s_or_b32 exec_lo, exec_lo, s19
.LBB287_675:                            ;   in Loop: Header=BB287_11 Depth=1
	s_delay_alu instid0(SALU_CYCLE_1) | instskip(NEXT) | instid1(SALU_CYCLE_1)
	s_or_b32 exec_lo, exec_lo, s8
	s_mov_b32 s19, exec_lo
	v_cmpx_lt_u32_e32 0xffffff, v0
	s_cbranch_execz .LBB287_683
; %bb.676:                              ;   in Loop: Header=BB287_11 Depth=1
	v_lshrrev_b32_e32 v1, 24, v0
	v_dual_mov_b32 v2, s2 :: v_dual_mov_b32 v3, s3
	s_mov_b32 s20, exec_lo
	scratch_store_b64 off, v[2:3], s32 offset:976 ; 8-byte Folded Spill
	v_cmpx_ne_u32_e32 0x80, v1
	s_cbranch_execz .LBB287_682
; %bb.677:                              ;   in Loop: Header=BB287_11 Depth=1
	s_mov_b32 s8, s2
	v_bfe_u32 v2, v0, 24, 7
	v_dual_mov_b32 v3, s8 :: v_dual_mov_b32 v4, s9
	s_mov_b32 s8, exec_lo
	scratch_store_b64 off, v[3:4], s32 offset:976 ; 8-byte Folded Spill
	v_cmpx_ne_u32_e32 0x7f, v2
	s_cbranch_execz .LBB287_681
; %bb.678:                              ;   in Loop: Header=BB287_11 Depth=1
	v_and_b32_e32 v140, 7, v1
	v_lshrrev_b32_e32 v0, 3, v2
	s_mov_b32 s21, exec_lo
	v_cmpx_gt_u32_e32 8, v2
; %bb.679:                              ;   in Loop: Header=BB287_11 Depth=1
	s_delay_alu instid0(VALU_DEP_3) | instskip(NEXT) | instid1(VALU_DEP_1)
	v_clz_i32_u32_e32 v0, v140
	v_min_u32_e32 v0, 32, v0
	s_delay_alu instid0(VALU_DEP_1) | instskip(SKIP_1) | instid1(VALU_DEP_2)
	v_subrev_nc_u32_e32 v2, 28, v0
	v_sub_nc_u32_e32 v0, 29, v0
	v_lshlrev_b64 v[2:3], v2, v[140:141]
	s_delay_alu instid0(VALU_DEP_1)
	v_and_b32_e32 v140, 7, v2
; %bb.680:                              ;   in Loop: Header=BB287_11 Depth=1
	s_or_b32 exec_lo, exec_lo, s21
	v_lshlrev_b32_e32 v1, 24, v1
	s_delay_alu instid0(VALU_DEP_2) | instskip(SKIP_1) | instid1(VALU_DEP_3)
	v_lshlrev_b32_e32 v2, 20, v140
	v_lshl_add_u32 v0, v0, 23, 0x3c000000
	v_and_b32_e32 v1, 0x80000000, v1
	s_delay_alu instid0(VALU_DEP_1)
	v_or3_b32 v1, v2, v1, v0
	v_mov_b32_e32 v0, v141
	scratch_store_b64 off, v[0:1], s32 offset:976 ; 8-byte Folded Spill
.LBB287_681:                            ;   in Loop: Header=BB287_11 Depth=1
	s_or_b32 exec_lo, exec_lo, s8
.LBB287_682:                            ;   in Loop: Header=BB287_11 Depth=1
	s_delay_alu instid0(SALU_CYCLE_1)
	s_or_b32 exec_lo, exec_lo, s20
.LBB287_683:                            ;   in Loop: Header=BB287_11 Depth=1
	s_delay_alu instid0(SALU_CYCLE_1)
	s_or_b32 exec_lo, exec_lo, s19
	flat_load_b32 v0, v[37:38] offset:2564
	v_mov_b32_e32 v2, 0
	v_mov_b32_e32 v3, 0
	s_mov_b32 s8, exec_lo
	s_clause 0x1
	scratch_store_b64 off, v[2:3], s32 offset:992
	scratch_store_b64 off, v[2:3], s32 offset:1000
	s_waitcnt vmcnt(0) lgkmcnt(0)
	v_and_b32_e32 v1, 0xff, v0
	s_delay_alu instid0(VALU_DEP_1)
	v_cmpx_ne_u16_e32 0, v1
	s_cbranch_execz .LBB287_691
; %bb.684:                              ;   in Loop: Header=BB287_11 Depth=1
	v_cmp_ne_u16_e64 s1, 0x80, v1
	v_bfrev_b32_e32 v1, 1
	v_mov_b32_e32 v2, 0
	scratch_store_b64 off, v[1:2], s32 offset:1000 ; 8-byte Folded Spill
	s_and_saveexec_b32 s19, s1
	s_cbranch_execz .LBB287_690
; %bb.685:                              ;   in Loop: Header=BB287_11 Depth=1
	v_mov_b32_e32 v3, 0x7f800001
	v_and_b32_e32 v2, 0x7f, v0
	v_mov_b32_e32 v4, 0
	s_mov_b32 s20, exec_lo
	scratch_store_b64 off, v[3:4], s32 offset:1000 ; 8-byte Folded Spill
	v_cmpx_ne_u32_e32 0x7f, v2
	s_cbranch_execz .LBB287_689
; %bb.686:                              ;   in Loop: Header=BB287_11 Depth=1
	v_and_b32_e32 v140, 7, v0
	v_lshrrev_b32_e32 v1, 3, v2
	s_mov_b32 s21, exec_lo
	v_cmpx_gt_u32_e32 8, v2
; %bb.687:                              ;   in Loop: Header=BB287_11 Depth=1
	s_delay_alu instid0(VALU_DEP_3) | instskip(NEXT) | instid1(VALU_DEP_1)
	v_clz_i32_u32_e32 v1, v140
	v_min_u32_e32 v1, 32, v1
	s_delay_alu instid0(VALU_DEP_1) | instskip(SKIP_1) | instid1(VALU_DEP_2)
	v_subrev_nc_u32_e32 v2, 28, v1
	v_sub_nc_u32_e32 v1, 29, v1
	v_lshlrev_b64 v[2:3], v2, v[140:141]
	s_delay_alu instid0(VALU_DEP_1)
	v_and_b32_e32 v140, 7, v2
; %bb.688:                              ;   in Loop: Header=BB287_11 Depth=1
	s_or_b32 exec_lo, exec_lo, s21
	v_lshlrev_b32_e32 v2, 24, v0
	s_delay_alu instid0(VALU_DEP_2) | instskip(SKIP_1) | instid1(VALU_DEP_3)
	v_lshlrev_b32_e32 v3, 20, v140
	v_lshl_add_u32 v1, v1, 23, 0x3c000000
	v_and_b32_e32 v2, 0x80000000, v2
	s_delay_alu instid0(VALU_DEP_1)
	v_or3_b32 v140, v3, v2, v1
	scratch_store_b64 off, v[140:141], s32 offset:1000 ; 8-byte Folded Spill
.LBB287_689:                            ;   in Loop: Header=BB287_11 Depth=1
	s_or_b32 exec_lo, exec_lo, s20
.LBB287_690:                            ;   in Loop: Header=BB287_11 Depth=1
	s_delay_alu instid0(SALU_CYCLE_1)
	s_or_b32 exec_lo, exec_lo, s19
.LBB287_691:                            ;   in Loop: Header=BB287_11 Depth=1
	s_delay_alu instid0(SALU_CYCLE_1) | instskip(SKIP_2) | instid1(VALU_DEP_1)
	s_or_b32 exec_lo, exec_lo, s8
	v_lshrrev_b16 v1, 8, v0
	s_mov_b32 s19, exec_lo
	v_cmpx_ne_u16_e32 0, v1
	s_cbranch_execz .LBB287_699
; %bb.692:                              ;   in Loop: Header=BB287_11 Depth=1
	v_dual_mov_b32 v2, s2 :: v_dual_mov_b32 v3, s3
	s_mov_b32 s20, exec_lo
	scratch_store_b64 off, v[2:3], s32 offset:992 ; 8-byte Folded Spill
	v_cmpx_ne_u16_e32 0x80, v1
	s_cbranch_execz .LBB287_698
; %bb.693:                              ;   in Loop: Header=BB287_11 Depth=1
	s_mov_b32 s8, s2
	v_and_b32_e32 v1, 0xffff, v1
	v_dual_mov_b32 v3, s8 :: v_dual_mov_b32 v4, s9
	s_mov_b32 s8, exec_lo
	s_delay_alu instid0(VALU_DEP_2)
	v_and_b32_e32 v2, 0x7f, v1
	scratch_store_b64 off, v[3:4], s32 offset:992 ; 8-byte Folded Spill
	v_cmpx_ne_u32_e32 0x7f, v2
	s_cbranch_execz .LBB287_697
; %bb.694:                              ;   in Loop: Header=BB287_11 Depth=1
	v_and_b32_e32 v140, 7, v1
	v_lshrrev_b32_e32 v1, 3, v2
	s_mov_b32 s21, exec_lo
	v_cmpx_gt_u32_e32 8, v2
; %bb.695:                              ;   in Loop: Header=BB287_11 Depth=1
	s_delay_alu instid0(VALU_DEP_3) | instskip(NEXT) | instid1(VALU_DEP_1)
	v_clz_i32_u32_e32 v1, v140
	v_min_u32_e32 v1, 32, v1
	s_delay_alu instid0(VALU_DEP_1) | instskip(SKIP_1) | instid1(VALU_DEP_2)
	v_subrev_nc_u32_e32 v2, 28, v1
	v_sub_nc_u32_e32 v1, 29, v1
	v_lshlrev_b64 v[2:3], v2, v[140:141]
	s_delay_alu instid0(VALU_DEP_1)
	v_and_b32_e32 v140, 7, v2
; %bb.696:                              ;   in Loop: Header=BB287_11 Depth=1
	s_or_b32 exec_lo, exec_lo, s21
	v_lshlrev_b32_e32 v2, 16, v0
	s_delay_alu instid0(VALU_DEP_2) | instskip(SKIP_1) | instid1(VALU_DEP_3)
	v_lshlrev_b32_e32 v3, 20, v140
	v_lshl_add_u32 v1, v1, 23, 0x3c000000
	v_and_b32_e32 v2, 0x80000000, v2
	s_delay_alu instid0(VALU_DEP_1)
	v_or3_b32 v2, v3, v2, v1
	v_mov_b32_e32 v1, v141
	scratch_store_b64 off, v[1:2], s32 offset:992 ; 8-byte Folded Spill
.LBB287_697:                            ;   in Loop: Header=BB287_11 Depth=1
	s_or_b32 exec_lo, exec_lo, s8
.LBB287_698:                            ;   in Loop: Header=BB287_11 Depth=1
	s_delay_alu instid0(SALU_CYCLE_1)
	s_or_b32 exec_lo, exec_lo, s20
.LBB287_699:                            ;   in Loop: Header=BB287_11 Depth=1
	s_delay_alu instid0(SALU_CYCLE_1)
	s_or_b32 exec_lo, exec_lo, s19
	v_lshrrev_b32_e32 v1, 16, v0
	v_mov_b32_e32 v3, 0
	v_mov_b32_e32 v4, 0
	s_mov_b32 s8, exec_lo
	s_clause 0x1
	scratch_store_b64 off, v[3:4], s32 offset:1008
	scratch_store_b64 off, v[3:4], s32 offset:1016
	v_and_b32_e32 v2, 0xff, v1
	s_delay_alu instid0(VALU_DEP_1)
	v_cmpx_ne_u16_e32 0, v2
	s_cbranch_execz .LBB287_707
; %bb.700:                              ;   in Loop: Header=BB287_11 Depth=1
	v_cmp_ne_u16_e64 s1, 0x80, v2
	v_bfrev_b32_e32 v2, 1
	v_mov_b32_e32 v3, 0
	scratch_store_b64 off, v[2:3], s32 offset:1016 ; 8-byte Folded Spill
	s_and_saveexec_b32 s19, s1
	s_cbranch_execz .LBB287_706
; %bb.701:                              ;   in Loop: Header=BB287_11 Depth=1
	v_mov_b32_e32 v4, 0x7f800001
	v_bfe_u32 v3, v0, 16, 7
	v_mov_b32_e32 v5, 0
	s_mov_b32 s20, exec_lo
	scratch_store_b64 off, v[4:5], s32 offset:1016 ; 8-byte Folded Spill
	v_cmpx_ne_u32_e32 0x7f, v3
	s_cbranch_execz .LBB287_705
; %bb.702:                              ;   in Loop: Header=BB287_11 Depth=1
	v_and_b32_e32 v140, 7, v1
	v_lshrrev_b32_e32 v2, 3, v3
	s_mov_b32 s21, exec_lo
	v_cmpx_gt_u32_e32 8, v3
; %bb.703:                              ;   in Loop: Header=BB287_11 Depth=1
	s_delay_alu instid0(VALU_DEP_3) | instskip(NEXT) | instid1(VALU_DEP_1)
	v_clz_i32_u32_e32 v2, v140
	v_min_u32_e32 v2, 32, v2
	s_delay_alu instid0(VALU_DEP_1) | instskip(SKIP_1) | instid1(VALU_DEP_2)
	v_subrev_nc_u32_e32 v3, 28, v2
	v_sub_nc_u32_e32 v2, 29, v2
	v_lshlrev_b64 v[3:4], v3, v[140:141]
	s_delay_alu instid0(VALU_DEP_1)
	v_and_b32_e32 v140, 7, v3
; %bb.704:                              ;   in Loop: Header=BB287_11 Depth=1
	s_or_b32 exec_lo, exec_lo, s21
	v_lshlrev_b32_e32 v1, 24, v1
	s_delay_alu instid0(VALU_DEP_2) | instskip(SKIP_1) | instid1(VALU_DEP_3)
	v_lshlrev_b32_e32 v3, 20, v140
	v_lshl_add_u32 v2, v2, 23, 0x3c000000
	v_and_b32_e32 v1, 0x80000000, v1
	s_delay_alu instid0(VALU_DEP_1)
	v_or3_b32 v140, v3, v1, v2
	scratch_store_b64 off, v[140:141], s32 offset:1016 ; 8-byte Folded Spill
.LBB287_705:                            ;   in Loop: Header=BB287_11 Depth=1
	s_or_b32 exec_lo, exec_lo, s20
.LBB287_706:                            ;   in Loop: Header=BB287_11 Depth=1
	s_delay_alu instid0(SALU_CYCLE_1)
	s_or_b32 exec_lo, exec_lo, s19
.LBB287_707:                            ;   in Loop: Header=BB287_11 Depth=1
	s_delay_alu instid0(SALU_CYCLE_1) | instskip(NEXT) | instid1(SALU_CYCLE_1)
	s_or_b32 exec_lo, exec_lo, s8
	s_mov_b32 s19, exec_lo
	v_cmpx_lt_u32_e32 0xffffff, v0
	s_cbranch_execz .LBB287_715
; %bb.708:                              ;   in Loop: Header=BB287_11 Depth=1
	v_lshrrev_b32_e32 v1, 24, v0
	v_dual_mov_b32 v2, s2 :: v_dual_mov_b32 v3, s3
	s_mov_b32 s20, exec_lo
	scratch_store_b64 off, v[2:3], s32 offset:1008 ; 8-byte Folded Spill
	v_cmpx_ne_u32_e32 0x80, v1
	s_cbranch_execz .LBB287_714
; %bb.709:                              ;   in Loop: Header=BB287_11 Depth=1
	s_mov_b32 s8, s2
	v_bfe_u32 v2, v0, 24, 7
	v_dual_mov_b32 v3, s8 :: v_dual_mov_b32 v4, s9
	s_mov_b32 s8, exec_lo
	scratch_store_b64 off, v[3:4], s32 offset:1008 ; 8-byte Folded Spill
	v_cmpx_ne_u32_e32 0x7f, v2
	s_cbranch_execz .LBB287_713
; %bb.710:                              ;   in Loop: Header=BB287_11 Depth=1
	v_and_b32_e32 v140, 7, v1
	v_lshrrev_b32_e32 v0, 3, v2
	s_mov_b32 s21, exec_lo
	v_cmpx_gt_u32_e32 8, v2
; %bb.711:                              ;   in Loop: Header=BB287_11 Depth=1
	s_delay_alu instid0(VALU_DEP_3) | instskip(NEXT) | instid1(VALU_DEP_1)
	v_clz_i32_u32_e32 v0, v140
	v_min_u32_e32 v0, 32, v0
	s_delay_alu instid0(VALU_DEP_1) | instskip(SKIP_1) | instid1(VALU_DEP_2)
	v_subrev_nc_u32_e32 v2, 28, v0
	v_sub_nc_u32_e32 v0, 29, v0
	v_lshlrev_b64 v[2:3], v2, v[140:141]
	s_delay_alu instid0(VALU_DEP_1)
	v_and_b32_e32 v140, 7, v2
; %bb.712:                              ;   in Loop: Header=BB287_11 Depth=1
	s_or_b32 exec_lo, exec_lo, s21
	v_lshlrev_b32_e32 v1, 24, v1
	s_delay_alu instid0(VALU_DEP_2) | instskip(SKIP_1) | instid1(VALU_DEP_3)
	v_lshlrev_b32_e32 v2, 20, v140
	v_lshl_add_u32 v0, v0, 23, 0x3c000000
	v_and_b32_e32 v1, 0x80000000, v1
	s_delay_alu instid0(VALU_DEP_1)
	v_or3_b32 v1, v2, v1, v0
	v_mov_b32_e32 v0, v141
	scratch_store_b64 off, v[0:1], s32 offset:1008 ; 8-byte Folded Spill
.LBB287_713:                            ;   in Loop: Header=BB287_11 Depth=1
	s_or_b32 exec_lo, exec_lo, s8
.LBB287_714:                            ;   in Loop: Header=BB287_11 Depth=1
	s_delay_alu instid0(SALU_CYCLE_1)
	s_or_b32 exec_lo, exec_lo, s20
.LBB287_715:                            ;   in Loop: Header=BB287_11 Depth=1
	s_delay_alu instid0(SALU_CYCLE_1)
	s_or_b32 exec_lo, exec_lo, s19
	flat_load_b32 v0, v[37:38] offset:2568
	v_mov_b32_e32 v2, 0
	v_mov_b32_e32 v3, 0
	s_mov_b32 s8, exec_lo
	s_clause 0x1
	scratch_store_b64 off, v[2:3], s32 offset:1024
	scratch_store_b64 off, v[2:3], s32 offset:1032
	s_waitcnt vmcnt(0) lgkmcnt(0)
	v_and_b32_e32 v1, 0xff, v0
	s_delay_alu instid0(VALU_DEP_1)
	v_cmpx_ne_u16_e32 0, v1
	s_cbranch_execz .LBB287_723
; %bb.716:                              ;   in Loop: Header=BB287_11 Depth=1
	v_cmp_ne_u16_e64 s1, 0x80, v1
	v_bfrev_b32_e32 v1, 1
	v_mov_b32_e32 v2, 0
	scratch_store_b64 off, v[1:2], s32 offset:1032 ; 8-byte Folded Spill
	s_and_saveexec_b32 s19, s1
	s_cbranch_execz .LBB287_722
; %bb.717:                              ;   in Loop: Header=BB287_11 Depth=1
	v_mov_b32_e32 v3, 0x7f800001
	v_and_b32_e32 v2, 0x7f, v0
	v_mov_b32_e32 v4, 0
	s_mov_b32 s20, exec_lo
	scratch_store_b64 off, v[3:4], s32 offset:1032 ; 8-byte Folded Spill
	v_cmpx_ne_u32_e32 0x7f, v2
	s_cbranch_execz .LBB287_721
; %bb.718:                              ;   in Loop: Header=BB287_11 Depth=1
	v_and_b32_e32 v140, 7, v0
	v_lshrrev_b32_e32 v1, 3, v2
	s_mov_b32 s21, exec_lo
	v_cmpx_gt_u32_e32 8, v2
; %bb.719:                              ;   in Loop: Header=BB287_11 Depth=1
	s_delay_alu instid0(VALU_DEP_3) | instskip(NEXT) | instid1(VALU_DEP_1)
	v_clz_i32_u32_e32 v1, v140
	v_min_u32_e32 v1, 32, v1
	s_delay_alu instid0(VALU_DEP_1) | instskip(SKIP_1) | instid1(VALU_DEP_2)
	v_subrev_nc_u32_e32 v2, 28, v1
	v_sub_nc_u32_e32 v1, 29, v1
	v_lshlrev_b64 v[2:3], v2, v[140:141]
	s_delay_alu instid0(VALU_DEP_1)
	v_and_b32_e32 v140, 7, v2
; %bb.720:                              ;   in Loop: Header=BB287_11 Depth=1
	s_or_b32 exec_lo, exec_lo, s21
	v_lshlrev_b32_e32 v2, 24, v0
	s_delay_alu instid0(VALU_DEP_2) | instskip(SKIP_1) | instid1(VALU_DEP_3)
	v_lshlrev_b32_e32 v3, 20, v140
	v_lshl_add_u32 v1, v1, 23, 0x3c000000
	v_and_b32_e32 v2, 0x80000000, v2
	s_delay_alu instid0(VALU_DEP_1)
	v_or3_b32 v140, v3, v2, v1
	scratch_store_b64 off, v[140:141], s32 offset:1032 ; 8-byte Folded Spill
.LBB287_721:                            ;   in Loop: Header=BB287_11 Depth=1
	s_or_b32 exec_lo, exec_lo, s20
.LBB287_722:                            ;   in Loop: Header=BB287_11 Depth=1
	s_delay_alu instid0(SALU_CYCLE_1)
	s_or_b32 exec_lo, exec_lo, s19
.LBB287_723:                            ;   in Loop: Header=BB287_11 Depth=1
	s_delay_alu instid0(SALU_CYCLE_1) | instskip(SKIP_2) | instid1(VALU_DEP_1)
	s_or_b32 exec_lo, exec_lo, s8
	v_lshrrev_b16 v1, 8, v0
	s_mov_b32 s19, exec_lo
	v_cmpx_ne_u16_e32 0, v1
	s_cbranch_execz .LBB287_731
; %bb.724:                              ;   in Loop: Header=BB287_11 Depth=1
	v_dual_mov_b32 v2, s2 :: v_dual_mov_b32 v3, s3
	s_mov_b32 s20, exec_lo
	scratch_store_b64 off, v[2:3], s32 offset:1024 ; 8-byte Folded Spill
	v_cmpx_ne_u16_e32 0x80, v1
	s_cbranch_execz .LBB287_730
; %bb.725:                              ;   in Loop: Header=BB287_11 Depth=1
	s_mov_b32 s8, s2
	v_and_b32_e32 v1, 0xffff, v1
	v_dual_mov_b32 v3, s8 :: v_dual_mov_b32 v4, s9
	s_mov_b32 s8, exec_lo
	s_delay_alu instid0(VALU_DEP_2)
	v_and_b32_e32 v2, 0x7f, v1
	scratch_store_b64 off, v[3:4], s32 offset:1024 ; 8-byte Folded Spill
	v_cmpx_ne_u32_e32 0x7f, v2
	s_cbranch_execz .LBB287_729
; %bb.726:                              ;   in Loop: Header=BB287_11 Depth=1
	v_and_b32_e32 v140, 7, v1
	v_lshrrev_b32_e32 v1, 3, v2
	s_mov_b32 s21, exec_lo
	v_cmpx_gt_u32_e32 8, v2
; %bb.727:                              ;   in Loop: Header=BB287_11 Depth=1
	s_delay_alu instid0(VALU_DEP_3) | instskip(NEXT) | instid1(VALU_DEP_1)
	v_clz_i32_u32_e32 v1, v140
	v_min_u32_e32 v1, 32, v1
	s_delay_alu instid0(VALU_DEP_1) | instskip(SKIP_1) | instid1(VALU_DEP_2)
	v_subrev_nc_u32_e32 v2, 28, v1
	v_sub_nc_u32_e32 v1, 29, v1
	v_lshlrev_b64 v[2:3], v2, v[140:141]
	s_delay_alu instid0(VALU_DEP_1)
	v_and_b32_e32 v140, 7, v2
; %bb.728:                              ;   in Loop: Header=BB287_11 Depth=1
	s_or_b32 exec_lo, exec_lo, s21
	v_lshlrev_b32_e32 v2, 16, v0
	s_delay_alu instid0(VALU_DEP_2) | instskip(SKIP_1) | instid1(VALU_DEP_3)
	v_lshlrev_b32_e32 v3, 20, v140
	v_lshl_add_u32 v1, v1, 23, 0x3c000000
	v_and_b32_e32 v2, 0x80000000, v2
	s_delay_alu instid0(VALU_DEP_1)
	v_or3_b32 v2, v3, v2, v1
	v_mov_b32_e32 v1, v141
	scratch_store_b64 off, v[1:2], s32 offset:1024 ; 8-byte Folded Spill
.LBB287_729:                            ;   in Loop: Header=BB287_11 Depth=1
	s_or_b32 exec_lo, exec_lo, s8
.LBB287_730:                            ;   in Loop: Header=BB287_11 Depth=1
	s_delay_alu instid0(SALU_CYCLE_1)
	s_or_b32 exec_lo, exec_lo, s20
.LBB287_731:                            ;   in Loop: Header=BB287_11 Depth=1
	s_delay_alu instid0(SALU_CYCLE_1)
	s_or_b32 exec_lo, exec_lo, s19
	v_lshrrev_b32_e32 v1, 16, v0
	v_mov_b32_e32 v3, 0
	v_mov_b32_e32 v4, 0
	s_mov_b32 s8, exec_lo
	s_clause 0x1
	scratch_store_b64 off, v[3:4], s32 offset:1040
	scratch_store_b64 off, v[3:4], s32 offset:1048
	v_and_b32_e32 v2, 0xff, v1
	s_delay_alu instid0(VALU_DEP_1)
	v_cmpx_ne_u16_e32 0, v2
	s_cbranch_execz .LBB287_739
; %bb.732:                              ;   in Loop: Header=BB287_11 Depth=1
	v_cmp_ne_u16_e64 s1, 0x80, v2
	v_bfrev_b32_e32 v2, 1
	v_mov_b32_e32 v3, 0
	scratch_store_b64 off, v[2:3], s32 offset:1048 ; 8-byte Folded Spill
	s_and_saveexec_b32 s19, s1
	s_cbranch_execz .LBB287_738
; %bb.733:                              ;   in Loop: Header=BB287_11 Depth=1
	v_mov_b32_e32 v4, 0x7f800001
	v_bfe_u32 v3, v0, 16, 7
	v_mov_b32_e32 v5, 0
	s_mov_b32 s20, exec_lo
	scratch_store_b64 off, v[4:5], s32 offset:1048 ; 8-byte Folded Spill
	v_cmpx_ne_u32_e32 0x7f, v3
	s_cbranch_execz .LBB287_737
; %bb.734:                              ;   in Loop: Header=BB287_11 Depth=1
	v_and_b32_e32 v140, 7, v1
	v_lshrrev_b32_e32 v2, 3, v3
	s_mov_b32 s21, exec_lo
	v_cmpx_gt_u32_e32 8, v3
; %bb.735:                              ;   in Loop: Header=BB287_11 Depth=1
	s_delay_alu instid0(VALU_DEP_3) | instskip(NEXT) | instid1(VALU_DEP_1)
	v_clz_i32_u32_e32 v2, v140
	v_min_u32_e32 v2, 32, v2
	s_delay_alu instid0(VALU_DEP_1) | instskip(SKIP_1) | instid1(VALU_DEP_2)
	v_subrev_nc_u32_e32 v3, 28, v2
	v_sub_nc_u32_e32 v2, 29, v2
	v_lshlrev_b64 v[3:4], v3, v[140:141]
	s_delay_alu instid0(VALU_DEP_1)
	v_and_b32_e32 v140, 7, v3
; %bb.736:                              ;   in Loop: Header=BB287_11 Depth=1
	s_or_b32 exec_lo, exec_lo, s21
	v_lshlrev_b32_e32 v1, 24, v1
	s_delay_alu instid0(VALU_DEP_2) | instskip(SKIP_1) | instid1(VALU_DEP_3)
	v_lshlrev_b32_e32 v3, 20, v140
	v_lshl_add_u32 v2, v2, 23, 0x3c000000
	v_and_b32_e32 v1, 0x80000000, v1
	s_delay_alu instid0(VALU_DEP_1)
	v_or3_b32 v140, v3, v1, v2
	scratch_store_b64 off, v[140:141], s32 offset:1048 ; 8-byte Folded Spill
.LBB287_737:                            ;   in Loop: Header=BB287_11 Depth=1
	s_or_b32 exec_lo, exec_lo, s20
.LBB287_738:                            ;   in Loop: Header=BB287_11 Depth=1
	s_delay_alu instid0(SALU_CYCLE_1)
	s_or_b32 exec_lo, exec_lo, s19
.LBB287_739:                            ;   in Loop: Header=BB287_11 Depth=1
	s_delay_alu instid0(SALU_CYCLE_1) | instskip(NEXT) | instid1(SALU_CYCLE_1)
	s_or_b32 exec_lo, exec_lo, s8
	s_mov_b32 s19, exec_lo
	v_cmpx_lt_u32_e32 0xffffff, v0
	s_cbranch_execz .LBB287_747
; %bb.740:                              ;   in Loop: Header=BB287_11 Depth=1
	v_lshrrev_b32_e32 v1, 24, v0
	v_dual_mov_b32 v2, s2 :: v_dual_mov_b32 v3, s3
	s_mov_b32 s20, exec_lo
	scratch_store_b64 off, v[2:3], s32 offset:1040 ; 8-byte Folded Spill
	v_cmpx_ne_u32_e32 0x80, v1
	s_cbranch_execz .LBB287_746
; %bb.741:                              ;   in Loop: Header=BB287_11 Depth=1
	s_mov_b32 s8, s2
	v_bfe_u32 v2, v0, 24, 7
	v_dual_mov_b32 v3, s8 :: v_dual_mov_b32 v4, s9
	s_mov_b32 s8, exec_lo
	scratch_store_b64 off, v[3:4], s32 offset:1040 ; 8-byte Folded Spill
	v_cmpx_ne_u32_e32 0x7f, v2
	s_cbranch_execz .LBB287_745
; %bb.742:                              ;   in Loop: Header=BB287_11 Depth=1
	v_and_b32_e32 v140, 7, v1
	v_lshrrev_b32_e32 v0, 3, v2
	s_mov_b32 s21, exec_lo
	v_cmpx_gt_u32_e32 8, v2
; %bb.743:                              ;   in Loop: Header=BB287_11 Depth=1
	s_delay_alu instid0(VALU_DEP_3) | instskip(NEXT) | instid1(VALU_DEP_1)
	v_clz_i32_u32_e32 v0, v140
	v_min_u32_e32 v0, 32, v0
	s_delay_alu instid0(VALU_DEP_1) | instskip(SKIP_1) | instid1(VALU_DEP_2)
	v_subrev_nc_u32_e32 v2, 28, v0
	v_sub_nc_u32_e32 v0, 29, v0
	v_lshlrev_b64 v[2:3], v2, v[140:141]
	s_delay_alu instid0(VALU_DEP_1)
	v_and_b32_e32 v140, 7, v2
; %bb.744:                              ;   in Loop: Header=BB287_11 Depth=1
	s_or_b32 exec_lo, exec_lo, s21
	v_lshlrev_b32_e32 v1, 24, v1
	s_delay_alu instid0(VALU_DEP_2) | instskip(SKIP_1) | instid1(VALU_DEP_3)
	v_lshlrev_b32_e32 v2, 20, v140
	v_lshl_add_u32 v0, v0, 23, 0x3c000000
	v_and_b32_e32 v1, 0x80000000, v1
	s_delay_alu instid0(VALU_DEP_1)
	v_or3_b32 v1, v2, v1, v0
	v_mov_b32_e32 v0, v141
	scratch_store_b64 off, v[0:1], s32 offset:1040 ; 8-byte Folded Spill
.LBB287_745:                            ;   in Loop: Header=BB287_11 Depth=1
	s_or_b32 exec_lo, exec_lo, s8
.LBB287_746:                            ;   in Loop: Header=BB287_11 Depth=1
	s_delay_alu instid0(SALU_CYCLE_1)
	s_or_b32 exec_lo, exec_lo, s20
.LBB287_747:                            ;   in Loop: Header=BB287_11 Depth=1
	s_delay_alu instid0(SALU_CYCLE_1)
	s_or_b32 exec_lo, exec_lo, s19
	flat_load_b32 v0, v[37:38] offset:2572
	v_mov_b32_e32 v2, 0
	v_mov_b32_e32 v3, 0
	s_mov_b32 s8, exec_lo
	s_clause 0x1
	scratch_store_b64 off, v[2:3], s32 offset:1056
	scratch_store_b64 off, v[2:3], s32 offset:1064
	s_waitcnt vmcnt(0) lgkmcnt(0)
	v_and_b32_e32 v1, 0xff, v0
	s_delay_alu instid0(VALU_DEP_1)
	v_cmpx_ne_u16_e32 0, v1
	s_cbranch_execz .LBB287_755
; %bb.748:                              ;   in Loop: Header=BB287_11 Depth=1
	v_cmp_ne_u16_e64 s1, 0x80, v1
	v_bfrev_b32_e32 v1, 1
	v_mov_b32_e32 v2, 0
	scratch_store_b64 off, v[1:2], s32 offset:1064 ; 8-byte Folded Spill
	s_and_saveexec_b32 s19, s1
	s_cbranch_execz .LBB287_754
; %bb.749:                              ;   in Loop: Header=BB287_11 Depth=1
	v_mov_b32_e32 v3, 0x7f800001
	v_and_b32_e32 v2, 0x7f, v0
	v_mov_b32_e32 v4, 0
	s_mov_b32 s20, exec_lo
	scratch_store_b64 off, v[3:4], s32 offset:1064 ; 8-byte Folded Spill
	v_cmpx_ne_u32_e32 0x7f, v2
	s_cbranch_execz .LBB287_753
; %bb.750:                              ;   in Loop: Header=BB287_11 Depth=1
	v_and_b32_e32 v140, 7, v0
	v_lshrrev_b32_e32 v1, 3, v2
	s_mov_b32 s21, exec_lo
	v_cmpx_gt_u32_e32 8, v2
; %bb.751:                              ;   in Loop: Header=BB287_11 Depth=1
	s_delay_alu instid0(VALU_DEP_3) | instskip(NEXT) | instid1(VALU_DEP_1)
	v_clz_i32_u32_e32 v1, v140
	v_min_u32_e32 v1, 32, v1
	s_delay_alu instid0(VALU_DEP_1) | instskip(SKIP_1) | instid1(VALU_DEP_2)
	v_subrev_nc_u32_e32 v2, 28, v1
	v_sub_nc_u32_e32 v1, 29, v1
	v_lshlrev_b64 v[2:3], v2, v[140:141]
	s_delay_alu instid0(VALU_DEP_1)
	v_and_b32_e32 v140, 7, v2
; %bb.752:                              ;   in Loop: Header=BB287_11 Depth=1
	s_or_b32 exec_lo, exec_lo, s21
	v_lshlrev_b32_e32 v2, 24, v0
	s_delay_alu instid0(VALU_DEP_2) | instskip(SKIP_1) | instid1(VALU_DEP_3)
	v_lshlrev_b32_e32 v3, 20, v140
	v_lshl_add_u32 v1, v1, 23, 0x3c000000
	v_and_b32_e32 v2, 0x80000000, v2
	s_delay_alu instid0(VALU_DEP_1)
	v_or3_b32 v140, v3, v2, v1
	scratch_store_b64 off, v[140:141], s32 offset:1064 ; 8-byte Folded Spill
.LBB287_753:                            ;   in Loop: Header=BB287_11 Depth=1
	s_or_b32 exec_lo, exec_lo, s20
.LBB287_754:                            ;   in Loop: Header=BB287_11 Depth=1
	s_delay_alu instid0(SALU_CYCLE_1)
	s_or_b32 exec_lo, exec_lo, s19
.LBB287_755:                            ;   in Loop: Header=BB287_11 Depth=1
	s_delay_alu instid0(SALU_CYCLE_1) | instskip(SKIP_2) | instid1(VALU_DEP_1)
	s_or_b32 exec_lo, exec_lo, s8
	v_lshrrev_b16 v1, 8, v0
	s_mov_b32 s19, exec_lo
	v_cmpx_ne_u16_e32 0, v1
	s_cbranch_execz .LBB287_763
; %bb.756:                              ;   in Loop: Header=BB287_11 Depth=1
	v_dual_mov_b32 v2, s2 :: v_dual_mov_b32 v3, s3
	s_mov_b32 s20, exec_lo
	scratch_store_b64 off, v[2:3], s32 offset:1056 ; 8-byte Folded Spill
	v_cmpx_ne_u16_e32 0x80, v1
	s_cbranch_execz .LBB287_762
; %bb.757:                              ;   in Loop: Header=BB287_11 Depth=1
	s_mov_b32 s8, s2
	v_and_b32_e32 v1, 0xffff, v1
	v_dual_mov_b32 v3, s8 :: v_dual_mov_b32 v4, s9
	s_mov_b32 s8, exec_lo
	s_delay_alu instid0(VALU_DEP_2)
	v_and_b32_e32 v2, 0x7f, v1
	scratch_store_b64 off, v[3:4], s32 offset:1056 ; 8-byte Folded Spill
	v_cmpx_ne_u32_e32 0x7f, v2
	s_cbranch_execz .LBB287_761
; %bb.758:                              ;   in Loop: Header=BB287_11 Depth=1
	v_and_b32_e32 v140, 7, v1
	v_lshrrev_b32_e32 v1, 3, v2
	s_mov_b32 s21, exec_lo
	v_cmpx_gt_u32_e32 8, v2
; %bb.759:                              ;   in Loop: Header=BB287_11 Depth=1
	s_delay_alu instid0(VALU_DEP_3) | instskip(NEXT) | instid1(VALU_DEP_1)
	v_clz_i32_u32_e32 v1, v140
	v_min_u32_e32 v1, 32, v1
	s_delay_alu instid0(VALU_DEP_1) | instskip(SKIP_1) | instid1(VALU_DEP_2)
	v_subrev_nc_u32_e32 v2, 28, v1
	v_sub_nc_u32_e32 v1, 29, v1
	v_lshlrev_b64 v[2:3], v2, v[140:141]
	s_delay_alu instid0(VALU_DEP_1)
	v_and_b32_e32 v140, 7, v2
; %bb.760:                              ;   in Loop: Header=BB287_11 Depth=1
	s_or_b32 exec_lo, exec_lo, s21
	v_lshlrev_b32_e32 v2, 16, v0
	s_delay_alu instid0(VALU_DEP_2) | instskip(SKIP_1) | instid1(VALU_DEP_3)
	v_lshlrev_b32_e32 v3, 20, v140
	v_lshl_add_u32 v1, v1, 23, 0x3c000000
	v_and_b32_e32 v2, 0x80000000, v2
	s_delay_alu instid0(VALU_DEP_1)
	v_or3_b32 v2, v3, v2, v1
	v_mov_b32_e32 v1, v141
	scratch_store_b64 off, v[1:2], s32 offset:1056 ; 8-byte Folded Spill
.LBB287_761:                            ;   in Loop: Header=BB287_11 Depth=1
	s_or_b32 exec_lo, exec_lo, s8
.LBB287_762:                            ;   in Loop: Header=BB287_11 Depth=1
	s_delay_alu instid0(SALU_CYCLE_1)
	s_or_b32 exec_lo, exec_lo, s20
.LBB287_763:                            ;   in Loop: Header=BB287_11 Depth=1
	s_delay_alu instid0(SALU_CYCLE_1)
	s_or_b32 exec_lo, exec_lo, s19
	v_lshrrev_b32_e32 v1, 16, v0
	v_mov_b32_e32 v3, 0
	v_mov_b32_e32 v4, 0
	s_mov_b32 s8, exec_lo
	s_clause 0x1
	scratch_store_b64 off, v[3:4], s32 offset:1072
	scratch_store_b64 off, v[3:4], s32 offset:1080
	v_and_b32_e32 v2, 0xff, v1
	s_delay_alu instid0(VALU_DEP_1)
	v_cmpx_ne_u16_e32 0, v2
	s_cbranch_execz .LBB287_771
; %bb.764:                              ;   in Loop: Header=BB287_11 Depth=1
	v_cmp_ne_u16_e64 s1, 0x80, v2
	v_bfrev_b32_e32 v2, 1
	v_mov_b32_e32 v3, 0
	scratch_store_b64 off, v[2:3], s32 offset:1080 ; 8-byte Folded Spill
	s_and_saveexec_b32 s19, s1
	s_cbranch_execz .LBB287_770
; %bb.765:                              ;   in Loop: Header=BB287_11 Depth=1
	v_mov_b32_e32 v4, 0x7f800001
	v_bfe_u32 v3, v0, 16, 7
	v_mov_b32_e32 v5, 0
	s_mov_b32 s20, exec_lo
	scratch_store_b64 off, v[4:5], s32 offset:1080 ; 8-byte Folded Spill
	v_cmpx_ne_u32_e32 0x7f, v3
	s_cbranch_execz .LBB287_769
; %bb.766:                              ;   in Loop: Header=BB287_11 Depth=1
	v_and_b32_e32 v140, 7, v1
	v_lshrrev_b32_e32 v2, 3, v3
	s_mov_b32 s21, exec_lo
	v_cmpx_gt_u32_e32 8, v3
; %bb.767:                              ;   in Loop: Header=BB287_11 Depth=1
	s_delay_alu instid0(VALU_DEP_3) | instskip(NEXT) | instid1(VALU_DEP_1)
	v_clz_i32_u32_e32 v2, v140
	v_min_u32_e32 v2, 32, v2
	s_delay_alu instid0(VALU_DEP_1) | instskip(SKIP_1) | instid1(VALU_DEP_2)
	v_subrev_nc_u32_e32 v3, 28, v2
	v_sub_nc_u32_e32 v2, 29, v2
	v_lshlrev_b64 v[3:4], v3, v[140:141]
	s_delay_alu instid0(VALU_DEP_1)
	v_and_b32_e32 v140, 7, v3
; %bb.768:                              ;   in Loop: Header=BB287_11 Depth=1
	s_or_b32 exec_lo, exec_lo, s21
	v_lshlrev_b32_e32 v1, 24, v1
	s_delay_alu instid0(VALU_DEP_2) | instskip(SKIP_1) | instid1(VALU_DEP_3)
	v_lshlrev_b32_e32 v3, 20, v140
	v_lshl_add_u32 v2, v2, 23, 0x3c000000
	v_and_b32_e32 v1, 0x80000000, v1
	s_delay_alu instid0(VALU_DEP_1)
	v_or3_b32 v140, v3, v1, v2
	scratch_store_b64 off, v[140:141], s32 offset:1080 ; 8-byte Folded Spill
.LBB287_769:                            ;   in Loop: Header=BB287_11 Depth=1
	s_or_b32 exec_lo, exec_lo, s20
.LBB287_770:                            ;   in Loop: Header=BB287_11 Depth=1
	s_delay_alu instid0(SALU_CYCLE_1)
	s_or_b32 exec_lo, exec_lo, s19
.LBB287_771:                            ;   in Loop: Header=BB287_11 Depth=1
	s_delay_alu instid0(SALU_CYCLE_1) | instskip(NEXT) | instid1(SALU_CYCLE_1)
	s_or_b32 exec_lo, exec_lo, s8
	s_mov_b32 s19, exec_lo
	v_cmpx_lt_u32_e32 0xffffff, v0
	s_cbranch_execz .LBB287_779
; %bb.772:                              ;   in Loop: Header=BB287_11 Depth=1
	v_lshrrev_b32_e32 v1, 24, v0
	v_dual_mov_b32 v2, s2 :: v_dual_mov_b32 v3, s3
	s_mov_b32 s20, exec_lo
	scratch_store_b64 off, v[2:3], s32 offset:1072 ; 8-byte Folded Spill
	v_cmpx_ne_u32_e32 0x80, v1
	s_cbranch_execz .LBB287_778
; %bb.773:                              ;   in Loop: Header=BB287_11 Depth=1
	s_mov_b32 s8, s2
	v_bfe_u32 v2, v0, 24, 7
	v_dual_mov_b32 v3, s8 :: v_dual_mov_b32 v4, s9
	s_mov_b32 s8, exec_lo
	scratch_store_b64 off, v[3:4], s32 offset:1072 ; 8-byte Folded Spill
	v_cmpx_ne_u32_e32 0x7f, v2
	s_cbranch_execz .LBB287_777
; %bb.774:                              ;   in Loop: Header=BB287_11 Depth=1
	v_and_b32_e32 v140, 7, v1
	v_lshrrev_b32_e32 v0, 3, v2
	s_mov_b32 s21, exec_lo
	v_cmpx_gt_u32_e32 8, v2
; %bb.775:                              ;   in Loop: Header=BB287_11 Depth=1
	s_delay_alu instid0(VALU_DEP_3) | instskip(NEXT) | instid1(VALU_DEP_1)
	v_clz_i32_u32_e32 v0, v140
	v_min_u32_e32 v0, 32, v0
	s_delay_alu instid0(VALU_DEP_1) | instskip(SKIP_1) | instid1(VALU_DEP_2)
	v_subrev_nc_u32_e32 v2, 28, v0
	v_sub_nc_u32_e32 v0, 29, v0
	v_lshlrev_b64 v[2:3], v2, v[140:141]
	s_delay_alu instid0(VALU_DEP_1)
	v_and_b32_e32 v140, 7, v2
; %bb.776:                              ;   in Loop: Header=BB287_11 Depth=1
	s_or_b32 exec_lo, exec_lo, s21
	v_lshlrev_b32_e32 v1, 24, v1
	s_delay_alu instid0(VALU_DEP_2) | instskip(SKIP_1) | instid1(VALU_DEP_3)
	v_lshlrev_b32_e32 v2, 20, v140
	v_lshl_add_u32 v0, v0, 23, 0x3c000000
	v_and_b32_e32 v1, 0x80000000, v1
	s_delay_alu instid0(VALU_DEP_1)
	v_or3_b32 v1, v2, v1, v0
	v_mov_b32_e32 v0, v141
	scratch_store_b64 off, v[0:1], s32 offset:1072 ; 8-byte Folded Spill
.LBB287_777:                            ;   in Loop: Header=BB287_11 Depth=1
	s_or_b32 exec_lo, exec_lo, s8
.LBB287_778:                            ;   in Loop: Header=BB287_11 Depth=1
	s_delay_alu instid0(SALU_CYCLE_1)
	s_or_b32 exec_lo, exec_lo, s20
.LBB287_779:                            ;   in Loop: Header=BB287_11 Depth=1
	s_delay_alu instid0(SALU_CYCLE_1)
	s_or_b32 exec_lo, exec_lo, s19
	flat_load_b32 v0, v[37:38] offset:3072
	v_mov_b32_e32 v2, 0
	v_mov_b32_e32 v3, 0
	s_mov_b32 s8, exec_lo
	s_clause 0x1
	scratch_store_b64 off, v[2:3], s32 offset:1088
	scratch_store_b64 off, v[2:3], s32 offset:1096
	s_waitcnt vmcnt(0) lgkmcnt(0)
	v_and_b32_e32 v1, 0xff, v0
	s_delay_alu instid0(VALU_DEP_1)
	v_cmpx_ne_u16_e32 0, v1
	s_cbranch_execz .LBB287_787
; %bb.780:                              ;   in Loop: Header=BB287_11 Depth=1
	v_cmp_ne_u16_e64 s1, 0x80, v1
	v_bfrev_b32_e32 v1, 1
	v_mov_b32_e32 v2, 0
	scratch_store_b64 off, v[1:2], s32 offset:1096 ; 8-byte Folded Spill
	s_and_saveexec_b32 s19, s1
	s_cbranch_execz .LBB287_786
; %bb.781:                              ;   in Loop: Header=BB287_11 Depth=1
	v_mov_b32_e32 v3, 0x7f800001
	v_and_b32_e32 v2, 0x7f, v0
	v_mov_b32_e32 v4, 0
	s_mov_b32 s20, exec_lo
	scratch_store_b64 off, v[3:4], s32 offset:1096 ; 8-byte Folded Spill
	v_cmpx_ne_u32_e32 0x7f, v2
	s_cbranch_execz .LBB287_785
; %bb.782:                              ;   in Loop: Header=BB287_11 Depth=1
	v_and_b32_e32 v140, 7, v0
	v_lshrrev_b32_e32 v1, 3, v2
	s_mov_b32 s21, exec_lo
	v_cmpx_gt_u32_e32 8, v2
; %bb.783:                              ;   in Loop: Header=BB287_11 Depth=1
	s_delay_alu instid0(VALU_DEP_3) | instskip(NEXT) | instid1(VALU_DEP_1)
	v_clz_i32_u32_e32 v1, v140
	v_min_u32_e32 v1, 32, v1
	s_delay_alu instid0(VALU_DEP_1) | instskip(SKIP_1) | instid1(VALU_DEP_2)
	v_subrev_nc_u32_e32 v2, 28, v1
	v_sub_nc_u32_e32 v1, 29, v1
	v_lshlrev_b64 v[2:3], v2, v[140:141]
	s_delay_alu instid0(VALU_DEP_1)
	v_and_b32_e32 v140, 7, v2
; %bb.784:                              ;   in Loop: Header=BB287_11 Depth=1
	s_or_b32 exec_lo, exec_lo, s21
	v_lshlrev_b32_e32 v2, 24, v0
	s_delay_alu instid0(VALU_DEP_2) | instskip(SKIP_1) | instid1(VALU_DEP_3)
	v_lshlrev_b32_e32 v3, 20, v140
	v_lshl_add_u32 v1, v1, 23, 0x3c000000
	v_and_b32_e32 v2, 0x80000000, v2
	s_delay_alu instid0(VALU_DEP_1)
	v_or3_b32 v140, v3, v2, v1
	scratch_store_b64 off, v[140:141], s32 offset:1096 ; 8-byte Folded Spill
.LBB287_785:                            ;   in Loop: Header=BB287_11 Depth=1
	s_or_b32 exec_lo, exec_lo, s20
.LBB287_786:                            ;   in Loop: Header=BB287_11 Depth=1
	s_delay_alu instid0(SALU_CYCLE_1)
	s_or_b32 exec_lo, exec_lo, s19
.LBB287_787:                            ;   in Loop: Header=BB287_11 Depth=1
	s_delay_alu instid0(SALU_CYCLE_1) | instskip(SKIP_2) | instid1(VALU_DEP_1)
	s_or_b32 exec_lo, exec_lo, s8
	v_lshrrev_b16 v1, 8, v0
	s_mov_b32 s19, exec_lo
	v_cmpx_ne_u16_e32 0, v1
	s_cbranch_execz .LBB287_795
; %bb.788:                              ;   in Loop: Header=BB287_11 Depth=1
	v_dual_mov_b32 v2, s2 :: v_dual_mov_b32 v3, s3
	s_mov_b32 s20, exec_lo
	scratch_store_b64 off, v[2:3], s32 offset:1088 ; 8-byte Folded Spill
	v_cmpx_ne_u16_e32 0x80, v1
	s_cbranch_execz .LBB287_794
; %bb.789:                              ;   in Loop: Header=BB287_11 Depth=1
	s_mov_b32 s8, s2
	v_and_b32_e32 v1, 0xffff, v1
	v_dual_mov_b32 v3, s8 :: v_dual_mov_b32 v4, s9
	s_mov_b32 s8, exec_lo
	s_delay_alu instid0(VALU_DEP_2)
	v_and_b32_e32 v2, 0x7f, v1
	scratch_store_b64 off, v[3:4], s32 offset:1088 ; 8-byte Folded Spill
	v_cmpx_ne_u32_e32 0x7f, v2
	s_cbranch_execz .LBB287_793
; %bb.790:                              ;   in Loop: Header=BB287_11 Depth=1
	v_and_b32_e32 v140, 7, v1
	v_lshrrev_b32_e32 v1, 3, v2
	s_mov_b32 s21, exec_lo
	v_cmpx_gt_u32_e32 8, v2
; %bb.791:                              ;   in Loop: Header=BB287_11 Depth=1
	s_delay_alu instid0(VALU_DEP_3) | instskip(NEXT) | instid1(VALU_DEP_1)
	v_clz_i32_u32_e32 v1, v140
	v_min_u32_e32 v1, 32, v1
	s_delay_alu instid0(VALU_DEP_1) | instskip(SKIP_1) | instid1(VALU_DEP_2)
	v_subrev_nc_u32_e32 v2, 28, v1
	v_sub_nc_u32_e32 v1, 29, v1
	v_lshlrev_b64 v[2:3], v2, v[140:141]
	s_delay_alu instid0(VALU_DEP_1)
	v_and_b32_e32 v140, 7, v2
; %bb.792:                              ;   in Loop: Header=BB287_11 Depth=1
	s_or_b32 exec_lo, exec_lo, s21
	v_lshlrev_b32_e32 v2, 16, v0
	s_delay_alu instid0(VALU_DEP_2) | instskip(SKIP_1) | instid1(VALU_DEP_3)
	v_lshlrev_b32_e32 v3, 20, v140
	v_lshl_add_u32 v1, v1, 23, 0x3c000000
	v_and_b32_e32 v2, 0x80000000, v2
	s_delay_alu instid0(VALU_DEP_1)
	v_or3_b32 v2, v3, v2, v1
	v_mov_b32_e32 v1, v141
	scratch_store_b64 off, v[1:2], s32 offset:1088 ; 8-byte Folded Spill
.LBB287_793:                            ;   in Loop: Header=BB287_11 Depth=1
	s_or_b32 exec_lo, exec_lo, s8
.LBB287_794:                            ;   in Loop: Header=BB287_11 Depth=1
	s_delay_alu instid0(SALU_CYCLE_1)
	s_or_b32 exec_lo, exec_lo, s20
.LBB287_795:                            ;   in Loop: Header=BB287_11 Depth=1
	s_delay_alu instid0(SALU_CYCLE_1)
	s_or_b32 exec_lo, exec_lo, s19
	v_lshrrev_b32_e32 v1, 16, v0
	v_mov_b32_e32 v3, 0
	v_mov_b32_e32 v4, 0
	s_mov_b32 s8, exec_lo
	s_clause 0x1
	scratch_store_b64 off, v[3:4], s32 offset:1104
	scratch_store_b64 off, v[3:4], s32 offset:1112
	v_and_b32_e32 v2, 0xff, v1
	s_delay_alu instid0(VALU_DEP_1)
	v_cmpx_ne_u16_e32 0, v2
	s_cbranch_execz .LBB287_803
; %bb.796:                              ;   in Loop: Header=BB287_11 Depth=1
	v_cmp_ne_u16_e64 s1, 0x80, v2
	v_bfrev_b32_e32 v2, 1
	v_mov_b32_e32 v3, 0
	scratch_store_b64 off, v[2:3], s32 offset:1112 ; 8-byte Folded Spill
	s_and_saveexec_b32 s19, s1
	s_cbranch_execz .LBB287_802
; %bb.797:                              ;   in Loop: Header=BB287_11 Depth=1
	v_mov_b32_e32 v4, 0x7f800001
	v_bfe_u32 v3, v0, 16, 7
	v_mov_b32_e32 v5, 0
	s_mov_b32 s20, exec_lo
	scratch_store_b64 off, v[4:5], s32 offset:1112 ; 8-byte Folded Spill
	v_cmpx_ne_u32_e32 0x7f, v3
	s_cbranch_execz .LBB287_801
; %bb.798:                              ;   in Loop: Header=BB287_11 Depth=1
	v_and_b32_e32 v140, 7, v1
	v_lshrrev_b32_e32 v2, 3, v3
	s_mov_b32 s21, exec_lo
	v_cmpx_gt_u32_e32 8, v3
; %bb.799:                              ;   in Loop: Header=BB287_11 Depth=1
	s_delay_alu instid0(VALU_DEP_3) | instskip(NEXT) | instid1(VALU_DEP_1)
	v_clz_i32_u32_e32 v2, v140
	v_min_u32_e32 v2, 32, v2
	s_delay_alu instid0(VALU_DEP_1) | instskip(SKIP_1) | instid1(VALU_DEP_2)
	v_subrev_nc_u32_e32 v3, 28, v2
	v_sub_nc_u32_e32 v2, 29, v2
	v_lshlrev_b64 v[3:4], v3, v[140:141]
	s_delay_alu instid0(VALU_DEP_1)
	v_and_b32_e32 v140, 7, v3
; %bb.800:                              ;   in Loop: Header=BB287_11 Depth=1
	s_or_b32 exec_lo, exec_lo, s21
	v_lshlrev_b32_e32 v1, 24, v1
	s_delay_alu instid0(VALU_DEP_2) | instskip(SKIP_1) | instid1(VALU_DEP_3)
	v_lshlrev_b32_e32 v3, 20, v140
	v_lshl_add_u32 v2, v2, 23, 0x3c000000
	v_and_b32_e32 v1, 0x80000000, v1
	s_delay_alu instid0(VALU_DEP_1)
	v_or3_b32 v140, v3, v1, v2
	scratch_store_b64 off, v[140:141], s32 offset:1112 ; 8-byte Folded Spill
.LBB287_801:                            ;   in Loop: Header=BB287_11 Depth=1
	s_or_b32 exec_lo, exec_lo, s20
.LBB287_802:                            ;   in Loop: Header=BB287_11 Depth=1
	s_delay_alu instid0(SALU_CYCLE_1)
	s_or_b32 exec_lo, exec_lo, s19
.LBB287_803:                            ;   in Loop: Header=BB287_11 Depth=1
	s_delay_alu instid0(SALU_CYCLE_1) | instskip(NEXT) | instid1(SALU_CYCLE_1)
	s_or_b32 exec_lo, exec_lo, s8
	s_mov_b32 s19, exec_lo
	v_cmpx_lt_u32_e32 0xffffff, v0
	s_cbranch_execz .LBB287_811
; %bb.804:                              ;   in Loop: Header=BB287_11 Depth=1
	v_lshrrev_b32_e32 v1, 24, v0
	v_dual_mov_b32 v2, s2 :: v_dual_mov_b32 v3, s3
	s_mov_b32 s20, exec_lo
	scratch_store_b64 off, v[2:3], s32 offset:1104 ; 8-byte Folded Spill
	v_cmpx_ne_u32_e32 0x80, v1
	s_cbranch_execz .LBB287_810
; %bb.805:                              ;   in Loop: Header=BB287_11 Depth=1
	s_mov_b32 s8, s2
	v_bfe_u32 v2, v0, 24, 7
	v_dual_mov_b32 v3, s8 :: v_dual_mov_b32 v4, s9
	s_mov_b32 s8, exec_lo
	scratch_store_b64 off, v[3:4], s32 offset:1104 ; 8-byte Folded Spill
	v_cmpx_ne_u32_e32 0x7f, v2
	s_cbranch_execz .LBB287_809
; %bb.806:                              ;   in Loop: Header=BB287_11 Depth=1
	v_and_b32_e32 v140, 7, v1
	v_lshrrev_b32_e32 v0, 3, v2
	s_mov_b32 s21, exec_lo
	v_cmpx_gt_u32_e32 8, v2
; %bb.807:                              ;   in Loop: Header=BB287_11 Depth=1
	s_delay_alu instid0(VALU_DEP_3) | instskip(NEXT) | instid1(VALU_DEP_1)
	v_clz_i32_u32_e32 v0, v140
	v_min_u32_e32 v0, 32, v0
	s_delay_alu instid0(VALU_DEP_1) | instskip(SKIP_1) | instid1(VALU_DEP_2)
	v_subrev_nc_u32_e32 v2, 28, v0
	v_sub_nc_u32_e32 v0, 29, v0
	v_lshlrev_b64 v[2:3], v2, v[140:141]
	s_delay_alu instid0(VALU_DEP_1)
	v_and_b32_e32 v140, 7, v2
; %bb.808:                              ;   in Loop: Header=BB287_11 Depth=1
	s_or_b32 exec_lo, exec_lo, s21
	v_lshlrev_b32_e32 v1, 24, v1
	s_delay_alu instid0(VALU_DEP_2) | instskip(SKIP_1) | instid1(VALU_DEP_3)
	v_lshlrev_b32_e32 v2, 20, v140
	v_lshl_add_u32 v0, v0, 23, 0x3c000000
	v_and_b32_e32 v1, 0x80000000, v1
	s_delay_alu instid0(VALU_DEP_1)
	v_or3_b32 v1, v2, v1, v0
	v_mov_b32_e32 v0, v141
	scratch_store_b64 off, v[0:1], s32 offset:1104 ; 8-byte Folded Spill
.LBB287_809:                            ;   in Loop: Header=BB287_11 Depth=1
	s_or_b32 exec_lo, exec_lo, s8
.LBB287_810:                            ;   in Loop: Header=BB287_11 Depth=1
	s_delay_alu instid0(SALU_CYCLE_1)
	s_or_b32 exec_lo, exec_lo, s20
.LBB287_811:                            ;   in Loop: Header=BB287_11 Depth=1
	s_delay_alu instid0(SALU_CYCLE_1)
	s_or_b32 exec_lo, exec_lo, s19
	flat_load_b32 v0, v[37:38] offset:3076
	v_mov_b32_e32 v2, 0
	v_mov_b32_e32 v3, 0
	s_mov_b32 s8, exec_lo
	s_clause 0x1
	scratch_store_b64 off, v[2:3], s32 offset:1120
	scratch_store_b64 off, v[2:3], s32 offset:1128
	s_waitcnt vmcnt(0) lgkmcnt(0)
	v_and_b32_e32 v1, 0xff, v0
	s_delay_alu instid0(VALU_DEP_1)
	v_cmpx_ne_u16_e32 0, v1
	s_cbranch_execz .LBB287_819
; %bb.812:                              ;   in Loop: Header=BB287_11 Depth=1
	v_cmp_ne_u16_e64 s1, 0x80, v1
	v_bfrev_b32_e32 v1, 1
	v_mov_b32_e32 v2, 0
	scratch_store_b64 off, v[1:2], s32 offset:1128 ; 8-byte Folded Spill
	s_and_saveexec_b32 s19, s1
	s_cbranch_execz .LBB287_818
; %bb.813:                              ;   in Loop: Header=BB287_11 Depth=1
	v_mov_b32_e32 v3, 0x7f800001
	v_and_b32_e32 v2, 0x7f, v0
	v_mov_b32_e32 v4, 0
	s_mov_b32 s20, exec_lo
	scratch_store_b64 off, v[3:4], s32 offset:1128 ; 8-byte Folded Spill
	v_cmpx_ne_u32_e32 0x7f, v2
	s_cbranch_execz .LBB287_817
; %bb.814:                              ;   in Loop: Header=BB287_11 Depth=1
	v_and_b32_e32 v140, 7, v0
	v_lshrrev_b32_e32 v1, 3, v2
	s_mov_b32 s21, exec_lo
	v_cmpx_gt_u32_e32 8, v2
; %bb.815:                              ;   in Loop: Header=BB287_11 Depth=1
	s_delay_alu instid0(VALU_DEP_3) | instskip(NEXT) | instid1(VALU_DEP_1)
	v_clz_i32_u32_e32 v1, v140
	v_min_u32_e32 v1, 32, v1
	s_delay_alu instid0(VALU_DEP_1) | instskip(SKIP_1) | instid1(VALU_DEP_2)
	v_subrev_nc_u32_e32 v2, 28, v1
	v_sub_nc_u32_e32 v1, 29, v1
	v_lshlrev_b64 v[2:3], v2, v[140:141]
	s_delay_alu instid0(VALU_DEP_1)
	v_and_b32_e32 v140, 7, v2
; %bb.816:                              ;   in Loop: Header=BB287_11 Depth=1
	s_or_b32 exec_lo, exec_lo, s21
	v_lshlrev_b32_e32 v2, 24, v0
	s_delay_alu instid0(VALU_DEP_2) | instskip(SKIP_1) | instid1(VALU_DEP_3)
	v_lshlrev_b32_e32 v3, 20, v140
	v_lshl_add_u32 v1, v1, 23, 0x3c000000
	v_and_b32_e32 v2, 0x80000000, v2
	s_delay_alu instid0(VALU_DEP_1)
	v_or3_b32 v140, v3, v2, v1
	scratch_store_b64 off, v[140:141], s32 offset:1128 ; 8-byte Folded Spill
.LBB287_817:                            ;   in Loop: Header=BB287_11 Depth=1
	s_or_b32 exec_lo, exec_lo, s20
.LBB287_818:                            ;   in Loop: Header=BB287_11 Depth=1
	s_delay_alu instid0(SALU_CYCLE_1)
	s_or_b32 exec_lo, exec_lo, s19
.LBB287_819:                            ;   in Loop: Header=BB287_11 Depth=1
	s_delay_alu instid0(SALU_CYCLE_1) | instskip(SKIP_2) | instid1(VALU_DEP_1)
	s_or_b32 exec_lo, exec_lo, s8
	v_lshrrev_b16 v1, 8, v0
	s_mov_b32 s19, exec_lo
	v_cmpx_ne_u16_e32 0, v1
	s_cbranch_execz .LBB287_827
; %bb.820:                              ;   in Loop: Header=BB287_11 Depth=1
	v_dual_mov_b32 v2, s2 :: v_dual_mov_b32 v3, s3
	s_mov_b32 s20, exec_lo
	scratch_store_b64 off, v[2:3], s32 offset:1120 ; 8-byte Folded Spill
	v_cmpx_ne_u16_e32 0x80, v1
	s_cbranch_execz .LBB287_826
; %bb.821:                              ;   in Loop: Header=BB287_11 Depth=1
	s_mov_b32 s8, s2
	v_and_b32_e32 v1, 0xffff, v1
	v_dual_mov_b32 v3, s8 :: v_dual_mov_b32 v4, s9
	s_mov_b32 s8, exec_lo
	s_delay_alu instid0(VALU_DEP_2)
	v_and_b32_e32 v2, 0x7f, v1
	scratch_store_b64 off, v[3:4], s32 offset:1120 ; 8-byte Folded Spill
	v_cmpx_ne_u32_e32 0x7f, v2
	s_cbranch_execz .LBB287_825
; %bb.822:                              ;   in Loop: Header=BB287_11 Depth=1
	v_and_b32_e32 v140, 7, v1
	v_lshrrev_b32_e32 v1, 3, v2
	s_mov_b32 s21, exec_lo
	v_cmpx_gt_u32_e32 8, v2
; %bb.823:                              ;   in Loop: Header=BB287_11 Depth=1
	s_delay_alu instid0(VALU_DEP_3) | instskip(NEXT) | instid1(VALU_DEP_1)
	v_clz_i32_u32_e32 v1, v140
	v_min_u32_e32 v1, 32, v1
	s_delay_alu instid0(VALU_DEP_1) | instskip(SKIP_1) | instid1(VALU_DEP_2)
	v_subrev_nc_u32_e32 v2, 28, v1
	v_sub_nc_u32_e32 v1, 29, v1
	v_lshlrev_b64 v[2:3], v2, v[140:141]
	s_delay_alu instid0(VALU_DEP_1)
	v_and_b32_e32 v140, 7, v2
; %bb.824:                              ;   in Loop: Header=BB287_11 Depth=1
	s_or_b32 exec_lo, exec_lo, s21
	v_lshlrev_b32_e32 v2, 16, v0
	s_delay_alu instid0(VALU_DEP_2) | instskip(SKIP_1) | instid1(VALU_DEP_3)
	v_lshlrev_b32_e32 v3, 20, v140
	v_lshl_add_u32 v1, v1, 23, 0x3c000000
	v_and_b32_e32 v2, 0x80000000, v2
	s_delay_alu instid0(VALU_DEP_1)
	v_or3_b32 v2, v3, v2, v1
	v_mov_b32_e32 v1, v141
	scratch_store_b64 off, v[1:2], s32 offset:1120 ; 8-byte Folded Spill
.LBB287_825:                            ;   in Loop: Header=BB287_11 Depth=1
	s_or_b32 exec_lo, exec_lo, s8
.LBB287_826:                            ;   in Loop: Header=BB287_11 Depth=1
	s_delay_alu instid0(SALU_CYCLE_1)
	s_or_b32 exec_lo, exec_lo, s20
.LBB287_827:                            ;   in Loop: Header=BB287_11 Depth=1
	s_delay_alu instid0(SALU_CYCLE_1)
	s_or_b32 exec_lo, exec_lo, s19
	v_lshrrev_b32_e32 v1, 16, v0
	v_mov_b32_e32 v3, 0
	v_mov_b32_e32 v4, 0
	s_mov_b32 s8, exec_lo
	s_clause 0x1
	scratch_store_b64 off, v[3:4], s32 offset:1136
	scratch_store_b64 off, v[3:4], s32 offset:1144
	v_and_b32_e32 v2, 0xff, v1
	s_delay_alu instid0(VALU_DEP_1)
	v_cmpx_ne_u16_e32 0, v2
	s_cbranch_execz .LBB287_835
; %bb.828:                              ;   in Loop: Header=BB287_11 Depth=1
	v_cmp_ne_u16_e64 s1, 0x80, v2
	v_bfrev_b32_e32 v2, 1
	v_mov_b32_e32 v3, 0
	scratch_store_b64 off, v[2:3], s32 offset:1144 ; 8-byte Folded Spill
	s_and_saveexec_b32 s19, s1
	s_cbranch_execz .LBB287_834
; %bb.829:                              ;   in Loop: Header=BB287_11 Depth=1
	v_mov_b32_e32 v4, 0x7f800001
	v_bfe_u32 v3, v0, 16, 7
	v_mov_b32_e32 v5, 0
	s_mov_b32 s20, exec_lo
	scratch_store_b64 off, v[4:5], s32 offset:1144 ; 8-byte Folded Spill
	v_cmpx_ne_u32_e32 0x7f, v3
	s_cbranch_execz .LBB287_833
; %bb.830:                              ;   in Loop: Header=BB287_11 Depth=1
	v_and_b32_e32 v140, 7, v1
	v_lshrrev_b32_e32 v2, 3, v3
	s_mov_b32 s21, exec_lo
	v_cmpx_gt_u32_e32 8, v3
; %bb.831:                              ;   in Loop: Header=BB287_11 Depth=1
	s_delay_alu instid0(VALU_DEP_3) | instskip(NEXT) | instid1(VALU_DEP_1)
	v_clz_i32_u32_e32 v2, v140
	v_min_u32_e32 v2, 32, v2
	s_delay_alu instid0(VALU_DEP_1) | instskip(SKIP_1) | instid1(VALU_DEP_2)
	v_subrev_nc_u32_e32 v3, 28, v2
	v_sub_nc_u32_e32 v2, 29, v2
	v_lshlrev_b64 v[3:4], v3, v[140:141]
	s_delay_alu instid0(VALU_DEP_1)
	v_and_b32_e32 v140, 7, v3
; %bb.832:                              ;   in Loop: Header=BB287_11 Depth=1
	s_or_b32 exec_lo, exec_lo, s21
	v_lshlrev_b32_e32 v1, 24, v1
	s_delay_alu instid0(VALU_DEP_2) | instskip(SKIP_1) | instid1(VALU_DEP_3)
	v_lshlrev_b32_e32 v3, 20, v140
	v_lshl_add_u32 v2, v2, 23, 0x3c000000
	v_and_b32_e32 v1, 0x80000000, v1
	s_delay_alu instid0(VALU_DEP_1)
	v_or3_b32 v140, v3, v1, v2
	scratch_store_b64 off, v[140:141], s32 offset:1144 ; 8-byte Folded Spill
.LBB287_833:                            ;   in Loop: Header=BB287_11 Depth=1
	s_or_b32 exec_lo, exec_lo, s20
.LBB287_834:                            ;   in Loop: Header=BB287_11 Depth=1
	s_delay_alu instid0(SALU_CYCLE_1)
	s_or_b32 exec_lo, exec_lo, s19
.LBB287_835:                            ;   in Loop: Header=BB287_11 Depth=1
	s_delay_alu instid0(SALU_CYCLE_1) | instskip(NEXT) | instid1(SALU_CYCLE_1)
	s_or_b32 exec_lo, exec_lo, s8
	s_mov_b32 s19, exec_lo
	v_cmpx_lt_u32_e32 0xffffff, v0
	s_cbranch_execz .LBB287_843
; %bb.836:                              ;   in Loop: Header=BB287_11 Depth=1
	v_lshrrev_b32_e32 v1, 24, v0
	v_dual_mov_b32 v2, s2 :: v_dual_mov_b32 v3, s3
	s_mov_b32 s20, exec_lo
	scratch_store_b64 off, v[2:3], s32 offset:1136 ; 8-byte Folded Spill
	v_cmpx_ne_u32_e32 0x80, v1
	s_cbranch_execz .LBB287_842
; %bb.837:                              ;   in Loop: Header=BB287_11 Depth=1
	s_mov_b32 s8, s2
	v_bfe_u32 v2, v0, 24, 7
	v_dual_mov_b32 v3, s8 :: v_dual_mov_b32 v4, s9
	s_mov_b32 s8, exec_lo
	scratch_store_b64 off, v[3:4], s32 offset:1136 ; 8-byte Folded Spill
	v_cmpx_ne_u32_e32 0x7f, v2
	s_cbranch_execz .LBB287_841
; %bb.838:                              ;   in Loop: Header=BB287_11 Depth=1
	v_and_b32_e32 v140, 7, v1
	v_lshrrev_b32_e32 v0, 3, v2
	s_mov_b32 s21, exec_lo
	v_cmpx_gt_u32_e32 8, v2
; %bb.839:                              ;   in Loop: Header=BB287_11 Depth=1
	s_delay_alu instid0(VALU_DEP_3) | instskip(NEXT) | instid1(VALU_DEP_1)
	v_clz_i32_u32_e32 v0, v140
	v_min_u32_e32 v0, 32, v0
	s_delay_alu instid0(VALU_DEP_1) | instskip(SKIP_1) | instid1(VALU_DEP_2)
	v_subrev_nc_u32_e32 v2, 28, v0
	v_sub_nc_u32_e32 v0, 29, v0
	v_lshlrev_b64 v[2:3], v2, v[140:141]
	s_delay_alu instid0(VALU_DEP_1)
	v_and_b32_e32 v140, 7, v2
; %bb.840:                              ;   in Loop: Header=BB287_11 Depth=1
	s_or_b32 exec_lo, exec_lo, s21
	v_lshlrev_b32_e32 v1, 24, v1
	s_delay_alu instid0(VALU_DEP_2) | instskip(SKIP_1) | instid1(VALU_DEP_3)
	v_lshlrev_b32_e32 v2, 20, v140
	v_lshl_add_u32 v0, v0, 23, 0x3c000000
	v_and_b32_e32 v1, 0x80000000, v1
	s_delay_alu instid0(VALU_DEP_1)
	v_or3_b32 v1, v2, v1, v0
	v_mov_b32_e32 v0, v141
	scratch_store_b64 off, v[0:1], s32 offset:1136 ; 8-byte Folded Spill
.LBB287_841:                            ;   in Loop: Header=BB287_11 Depth=1
	s_or_b32 exec_lo, exec_lo, s8
.LBB287_842:                            ;   in Loop: Header=BB287_11 Depth=1
	s_delay_alu instid0(SALU_CYCLE_1)
	s_or_b32 exec_lo, exec_lo, s20
.LBB287_843:                            ;   in Loop: Header=BB287_11 Depth=1
	s_delay_alu instid0(SALU_CYCLE_1)
	s_or_b32 exec_lo, exec_lo, s19
	flat_load_b32 v0, v[37:38] offset:3080
	v_mov_b32_e32 v2, 0
	v_mov_b32_e32 v3, 0
	s_mov_b32 s8, exec_lo
	s_clause 0x1
	scratch_store_b64 off, v[2:3], s32 offset:1152
	scratch_store_b64 off, v[2:3], s32 offset:1160
	s_waitcnt vmcnt(0) lgkmcnt(0)
	v_and_b32_e32 v1, 0xff, v0
	s_delay_alu instid0(VALU_DEP_1)
	v_cmpx_ne_u16_e32 0, v1
	s_cbranch_execz .LBB287_851
; %bb.844:                              ;   in Loop: Header=BB287_11 Depth=1
	v_cmp_ne_u16_e64 s1, 0x80, v1
	v_bfrev_b32_e32 v1, 1
	v_mov_b32_e32 v2, 0
	scratch_store_b64 off, v[1:2], s32 offset:1160 ; 8-byte Folded Spill
	s_and_saveexec_b32 s19, s1
	s_cbranch_execz .LBB287_850
; %bb.845:                              ;   in Loop: Header=BB287_11 Depth=1
	v_mov_b32_e32 v3, 0x7f800001
	v_and_b32_e32 v2, 0x7f, v0
	v_mov_b32_e32 v4, 0
	s_mov_b32 s20, exec_lo
	scratch_store_b64 off, v[3:4], s32 offset:1160 ; 8-byte Folded Spill
	v_cmpx_ne_u32_e32 0x7f, v2
	s_cbranch_execz .LBB287_849
; %bb.846:                              ;   in Loop: Header=BB287_11 Depth=1
	v_and_b32_e32 v140, 7, v0
	v_lshrrev_b32_e32 v1, 3, v2
	s_mov_b32 s21, exec_lo
	v_cmpx_gt_u32_e32 8, v2
; %bb.847:                              ;   in Loop: Header=BB287_11 Depth=1
	s_delay_alu instid0(VALU_DEP_3) | instskip(NEXT) | instid1(VALU_DEP_1)
	v_clz_i32_u32_e32 v1, v140
	v_min_u32_e32 v1, 32, v1
	s_delay_alu instid0(VALU_DEP_1) | instskip(SKIP_1) | instid1(VALU_DEP_2)
	v_subrev_nc_u32_e32 v2, 28, v1
	v_sub_nc_u32_e32 v1, 29, v1
	v_lshlrev_b64 v[2:3], v2, v[140:141]
	s_delay_alu instid0(VALU_DEP_1)
	v_and_b32_e32 v140, 7, v2
; %bb.848:                              ;   in Loop: Header=BB287_11 Depth=1
	s_or_b32 exec_lo, exec_lo, s21
	v_lshlrev_b32_e32 v2, 24, v0
	s_delay_alu instid0(VALU_DEP_2) | instskip(SKIP_1) | instid1(VALU_DEP_3)
	v_lshlrev_b32_e32 v3, 20, v140
	v_lshl_add_u32 v1, v1, 23, 0x3c000000
	v_and_b32_e32 v2, 0x80000000, v2
	s_delay_alu instid0(VALU_DEP_1)
	v_or3_b32 v140, v3, v2, v1
	scratch_store_b64 off, v[140:141], s32 offset:1160 ; 8-byte Folded Spill
.LBB287_849:                            ;   in Loop: Header=BB287_11 Depth=1
	s_or_b32 exec_lo, exec_lo, s20
.LBB287_850:                            ;   in Loop: Header=BB287_11 Depth=1
	s_delay_alu instid0(SALU_CYCLE_1)
	s_or_b32 exec_lo, exec_lo, s19
.LBB287_851:                            ;   in Loop: Header=BB287_11 Depth=1
	s_delay_alu instid0(SALU_CYCLE_1) | instskip(SKIP_2) | instid1(VALU_DEP_1)
	s_or_b32 exec_lo, exec_lo, s8
	v_lshrrev_b16 v1, 8, v0
	s_mov_b32 s19, exec_lo
	v_cmpx_ne_u16_e32 0, v1
	s_cbranch_execz .LBB287_859
; %bb.852:                              ;   in Loop: Header=BB287_11 Depth=1
	v_dual_mov_b32 v2, s2 :: v_dual_mov_b32 v3, s3
	s_mov_b32 s20, exec_lo
	scratch_store_b64 off, v[2:3], s32 offset:1152 ; 8-byte Folded Spill
	v_cmpx_ne_u16_e32 0x80, v1
	s_cbranch_execz .LBB287_858
; %bb.853:                              ;   in Loop: Header=BB287_11 Depth=1
	s_mov_b32 s8, s2
	v_and_b32_e32 v1, 0xffff, v1
	v_dual_mov_b32 v3, s8 :: v_dual_mov_b32 v4, s9
	s_mov_b32 s8, exec_lo
	s_delay_alu instid0(VALU_DEP_2)
	v_and_b32_e32 v2, 0x7f, v1
	scratch_store_b64 off, v[3:4], s32 offset:1152 ; 8-byte Folded Spill
	v_cmpx_ne_u32_e32 0x7f, v2
	s_cbranch_execz .LBB287_857
; %bb.854:                              ;   in Loop: Header=BB287_11 Depth=1
	v_and_b32_e32 v140, 7, v1
	v_lshrrev_b32_e32 v1, 3, v2
	s_mov_b32 s21, exec_lo
	v_cmpx_gt_u32_e32 8, v2
; %bb.855:                              ;   in Loop: Header=BB287_11 Depth=1
	s_delay_alu instid0(VALU_DEP_3) | instskip(NEXT) | instid1(VALU_DEP_1)
	v_clz_i32_u32_e32 v1, v140
	v_min_u32_e32 v1, 32, v1
	s_delay_alu instid0(VALU_DEP_1) | instskip(SKIP_1) | instid1(VALU_DEP_2)
	v_subrev_nc_u32_e32 v2, 28, v1
	v_sub_nc_u32_e32 v1, 29, v1
	v_lshlrev_b64 v[2:3], v2, v[140:141]
	s_delay_alu instid0(VALU_DEP_1)
	v_and_b32_e32 v140, 7, v2
; %bb.856:                              ;   in Loop: Header=BB287_11 Depth=1
	s_or_b32 exec_lo, exec_lo, s21
	v_lshlrev_b32_e32 v2, 16, v0
	s_delay_alu instid0(VALU_DEP_2) | instskip(SKIP_1) | instid1(VALU_DEP_3)
	v_lshlrev_b32_e32 v3, 20, v140
	v_lshl_add_u32 v1, v1, 23, 0x3c000000
	v_and_b32_e32 v2, 0x80000000, v2
	s_delay_alu instid0(VALU_DEP_1)
	v_or3_b32 v2, v3, v2, v1
	v_mov_b32_e32 v1, v141
	scratch_store_b64 off, v[1:2], s32 offset:1152 ; 8-byte Folded Spill
.LBB287_857:                            ;   in Loop: Header=BB287_11 Depth=1
	s_or_b32 exec_lo, exec_lo, s8
.LBB287_858:                            ;   in Loop: Header=BB287_11 Depth=1
	s_delay_alu instid0(SALU_CYCLE_1)
	s_or_b32 exec_lo, exec_lo, s20
.LBB287_859:                            ;   in Loop: Header=BB287_11 Depth=1
	s_delay_alu instid0(SALU_CYCLE_1)
	s_or_b32 exec_lo, exec_lo, s19
	v_lshrrev_b32_e32 v1, 16, v0
	v_mov_b32_e32 v3, 0
	v_mov_b32_e32 v4, 0
	s_mov_b32 s8, exec_lo
	s_clause 0x1
	scratch_store_b64 off, v[3:4], s32 offset:1168
	scratch_store_b64 off, v[3:4], s32 offset:1176
	v_and_b32_e32 v2, 0xff, v1
	s_delay_alu instid0(VALU_DEP_1)
	v_cmpx_ne_u16_e32 0, v2
	s_cbranch_execz .LBB287_867
; %bb.860:                              ;   in Loop: Header=BB287_11 Depth=1
	v_cmp_ne_u16_e64 s1, 0x80, v2
	v_bfrev_b32_e32 v2, 1
	v_mov_b32_e32 v3, 0
	scratch_store_b64 off, v[2:3], s32 offset:1176 ; 8-byte Folded Spill
	s_and_saveexec_b32 s19, s1
	s_cbranch_execz .LBB287_866
; %bb.861:                              ;   in Loop: Header=BB287_11 Depth=1
	v_mov_b32_e32 v4, 0x7f800001
	v_bfe_u32 v3, v0, 16, 7
	v_mov_b32_e32 v5, 0
	s_mov_b32 s20, exec_lo
	scratch_store_b64 off, v[4:5], s32 offset:1176 ; 8-byte Folded Spill
	v_cmpx_ne_u32_e32 0x7f, v3
	s_cbranch_execz .LBB287_865
; %bb.862:                              ;   in Loop: Header=BB287_11 Depth=1
	v_and_b32_e32 v140, 7, v1
	v_lshrrev_b32_e32 v2, 3, v3
	s_mov_b32 s21, exec_lo
	v_cmpx_gt_u32_e32 8, v3
; %bb.863:                              ;   in Loop: Header=BB287_11 Depth=1
	s_delay_alu instid0(VALU_DEP_3) | instskip(NEXT) | instid1(VALU_DEP_1)
	v_clz_i32_u32_e32 v2, v140
	v_min_u32_e32 v2, 32, v2
	s_delay_alu instid0(VALU_DEP_1) | instskip(SKIP_1) | instid1(VALU_DEP_2)
	v_subrev_nc_u32_e32 v3, 28, v2
	v_sub_nc_u32_e32 v2, 29, v2
	v_lshlrev_b64 v[3:4], v3, v[140:141]
	s_delay_alu instid0(VALU_DEP_1)
	v_and_b32_e32 v140, 7, v3
; %bb.864:                              ;   in Loop: Header=BB287_11 Depth=1
	s_or_b32 exec_lo, exec_lo, s21
	v_lshlrev_b32_e32 v1, 24, v1
	s_delay_alu instid0(VALU_DEP_2) | instskip(SKIP_1) | instid1(VALU_DEP_3)
	v_lshlrev_b32_e32 v3, 20, v140
	v_lshl_add_u32 v2, v2, 23, 0x3c000000
	v_and_b32_e32 v1, 0x80000000, v1
	s_delay_alu instid0(VALU_DEP_1)
	v_or3_b32 v140, v3, v1, v2
	scratch_store_b64 off, v[140:141], s32 offset:1176 ; 8-byte Folded Spill
.LBB287_865:                            ;   in Loop: Header=BB287_11 Depth=1
	s_or_b32 exec_lo, exec_lo, s20
.LBB287_866:                            ;   in Loop: Header=BB287_11 Depth=1
	s_delay_alu instid0(SALU_CYCLE_1)
	s_or_b32 exec_lo, exec_lo, s19
.LBB287_867:                            ;   in Loop: Header=BB287_11 Depth=1
	s_delay_alu instid0(SALU_CYCLE_1) | instskip(NEXT) | instid1(SALU_CYCLE_1)
	s_or_b32 exec_lo, exec_lo, s8
	s_mov_b32 s19, exec_lo
	v_cmpx_lt_u32_e32 0xffffff, v0
	s_cbranch_execz .LBB287_875
; %bb.868:                              ;   in Loop: Header=BB287_11 Depth=1
	v_lshrrev_b32_e32 v1, 24, v0
	v_dual_mov_b32 v2, s2 :: v_dual_mov_b32 v3, s3
	s_mov_b32 s20, exec_lo
	scratch_store_b64 off, v[2:3], s32 offset:1168 ; 8-byte Folded Spill
	v_cmpx_ne_u32_e32 0x80, v1
	s_cbranch_execz .LBB287_874
; %bb.869:                              ;   in Loop: Header=BB287_11 Depth=1
	s_mov_b32 s8, s2
	v_bfe_u32 v2, v0, 24, 7
	v_dual_mov_b32 v3, s8 :: v_dual_mov_b32 v4, s9
	s_mov_b32 s8, exec_lo
	scratch_store_b64 off, v[3:4], s32 offset:1168 ; 8-byte Folded Spill
	v_cmpx_ne_u32_e32 0x7f, v2
	s_cbranch_execz .LBB287_873
; %bb.870:                              ;   in Loop: Header=BB287_11 Depth=1
	v_and_b32_e32 v140, 7, v1
	v_lshrrev_b32_e32 v0, 3, v2
	s_mov_b32 s21, exec_lo
	v_cmpx_gt_u32_e32 8, v2
; %bb.871:                              ;   in Loop: Header=BB287_11 Depth=1
	s_delay_alu instid0(VALU_DEP_3) | instskip(NEXT) | instid1(VALU_DEP_1)
	v_clz_i32_u32_e32 v0, v140
	v_min_u32_e32 v0, 32, v0
	s_delay_alu instid0(VALU_DEP_1) | instskip(SKIP_1) | instid1(VALU_DEP_2)
	v_subrev_nc_u32_e32 v2, 28, v0
	v_sub_nc_u32_e32 v0, 29, v0
	v_lshlrev_b64 v[2:3], v2, v[140:141]
	s_delay_alu instid0(VALU_DEP_1)
	v_and_b32_e32 v140, 7, v2
; %bb.872:                              ;   in Loop: Header=BB287_11 Depth=1
	s_or_b32 exec_lo, exec_lo, s21
	v_lshlrev_b32_e32 v1, 24, v1
	s_delay_alu instid0(VALU_DEP_2) | instskip(SKIP_1) | instid1(VALU_DEP_3)
	v_lshlrev_b32_e32 v2, 20, v140
	v_lshl_add_u32 v0, v0, 23, 0x3c000000
	v_and_b32_e32 v1, 0x80000000, v1
	s_delay_alu instid0(VALU_DEP_1)
	v_or3_b32 v1, v2, v1, v0
	v_mov_b32_e32 v0, v141
	scratch_store_b64 off, v[0:1], s32 offset:1168 ; 8-byte Folded Spill
.LBB287_873:                            ;   in Loop: Header=BB287_11 Depth=1
	s_or_b32 exec_lo, exec_lo, s8
.LBB287_874:                            ;   in Loop: Header=BB287_11 Depth=1
	s_delay_alu instid0(SALU_CYCLE_1)
	s_or_b32 exec_lo, exec_lo, s20
.LBB287_875:                            ;   in Loop: Header=BB287_11 Depth=1
	s_delay_alu instid0(SALU_CYCLE_1)
	s_or_b32 exec_lo, exec_lo, s19
	flat_load_b32 v0, v[37:38] offset:3084
	v_mov_b32_e32 v2, 0
	v_mov_b32_e32 v3, 0
	s_mov_b32 s8, exec_lo
	s_clause 0x1
	scratch_store_b64 off, v[2:3], s32 offset:1184
	scratch_store_b64 off, v[2:3], s32 offset:1192
	s_waitcnt vmcnt(0) lgkmcnt(0)
	v_and_b32_e32 v1, 0xff, v0
	s_delay_alu instid0(VALU_DEP_1)
	v_cmpx_ne_u16_e32 0, v1
	s_cbranch_execz .LBB287_883
; %bb.876:                              ;   in Loop: Header=BB287_11 Depth=1
	v_cmp_ne_u16_e64 s1, 0x80, v1
	v_bfrev_b32_e32 v1, 1
	v_mov_b32_e32 v2, 0
	scratch_store_b64 off, v[1:2], s32 offset:1192 ; 8-byte Folded Spill
	s_and_saveexec_b32 s19, s1
	s_cbranch_execz .LBB287_882
; %bb.877:                              ;   in Loop: Header=BB287_11 Depth=1
	v_mov_b32_e32 v3, 0x7f800001
	v_and_b32_e32 v2, 0x7f, v0
	v_mov_b32_e32 v4, 0
	s_mov_b32 s20, exec_lo
	scratch_store_b64 off, v[3:4], s32 offset:1192 ; 8-byte Folded Spill
	v_cmpx_ne_u32_e32 0x7f, v2
	s_cbranch_execz .LBB287_881
; %bb.878:                              ;   in Loop: Header=BB287_11 Depth=1
	v_and_b32_e32 v140, 7, v0
	v_lshrrev_b32_e32 v1, 3, v2
	s_mov_b32 s21, exec_lo
	v_cmpx_gt_u32_e32 8, v2
; %bb.879:                              ;   in Loop: Header=BB287_11 Depth=1
	s_delay_alu instid0(VALU_DEP_3) | instskip(NEXT) | instid1(VALU_DEP_1)
	v_clz_i32_u32_e32 v1, v140
	v_min_u32_e32 v1, 32, v1
	s_delay_alu instid0(VALU_DEP_1) | instskip(SKIP_1) | instid1(VALU_DEP_2)
	v_subrev_nc_u32_e32 v2, 28, v1
	v_sub_nc_u32_e32 v1, 29, v1
	v_lshlrev_b64 v[2:3], v2, v[140:141]
	s_delay_alu instid0(VALU_DEP_1)
	v_and_b32_e32 v140, 7, v2
; %bb.880:                              ;   in Loop: Header=BB287_11 Depth=1
	s_or_b32 exec_lo, exec_lo, s21
	v_lshlrev_b32_e32 v2, 24, v0
	s_delay_alu instid0(VALU_DEP_2) | instskip(SKIP_1) | instid1(VALU_DEP_3)
	v_lshlrev_b32_e32 v3, 20, v140
	v_lshl_add_u32 v1, v1, 23, 0x3c000000
	v_and_b32_e32 v2, 0x80000000, v2
	s_delay_alu instid0(VALU_DEP_1)
	v_or3_b32 v140, v3, v2, v1
	scratch_store_b64 off, v[140:141], s32 offset:1192 ; 8-byte Folded Spill
.LBB287_881:                            ;   in Loop: Header=BB287_11 Depth=1
	s_or_b32 exec_lo, exec_lo, s20
.LBB287_882:                            ;   in Loop: Header=BB287_11 Depth=1
	s_delay_alu instid0(SALU_CYCLE_1)
	s_or_b32 exec_lo, exec_lo, s19
.LBB287_883:                            ;   in Loop: Header=BB287_11 Depth=1
	s_delay_alu instid0(SALU_CYCLE_1) | instskip(SKIP_2) | instid1(VALU_DEP_1)
	s_or_b32 exec_lo, exec_lo, s8
	v_lshrrev_b16 v1, 8, v0
	s_mov_b32 s19, exec_lo
	v_cmpx_ne_u16_e32 0, v1
	s_cbranch_execz .LBB287_891
; %bb.884:                              ;   in Loop: Header=BB287_11 Depth=1
	v_dual_mov_b32 v2, s2 :: v_dual_mov_b32 v3, s3
	s_mov_b32 s20, exec_lo
	scratch_store_b64 off, v[2:3], s32 offset:1184 ; 8-byte Folded Spill
	v_cmpx_ne_u16_e32 0x80, v1
	s_cbranch_execz .LBB287_890
; %bb.885:                              ;   in Loop: Header=BB287_11 Depth=1
	s_mov_b32 s8, s2
	v_and_b32_e32 v1, 0xffff, v1
	v_dual_mov_b32 v3, s8 :: v_dual_mov_b32 v4, s9
	s_mov_b32 s8, exec_lo
	s_delay_alu instid0(VALU_DEP_2)
	v_and_b32_e32 v2, 0x7f, v1
	scratch_store_b64 off, v[3:4], s32 offset:1184 ; 8-byte Folded Spill
	v_cmpx_ne_u32_e32 0x7f, v2
	s_cbranch_execz .LBB287_889
; %bb.886:                              ;   in Loop: Header=BB287_11 Depth=1
	v_and_b32_e32 v140, 7, v1
	v_lshrrev_b32_e32 v1, 3, v2
	s_mov_b32 s21, exec_lo
	v_cmpx_gt_u32_e32 8, v2
; %bb.887:                              ;   in Loop: Header=BB287_11 Depth=1
	s_delay_alu instid0(VALU_DEP_3) | instskip(NEXT) | instid1(VALU_DEP_1)
	v_clz_i32_u32_e32 v1, v140
	v_min_u32_e32 v1, 32, v1
	s_delay_alu instid0(VALU_DEP_1) | instskip(SKIP_1) | instid1(VALU_DEP_2)
	v_subrev_nc_u32_e32 v2, 28, v1
	v_sub_nc_u32_e32 v1, 29, v1
	v_lshlrev_b64 v[2:3], v2, v[140:141]
	s_delay_alu instid0(VALU_DEP_1)
	v_and_b32_e32 v140, 7, v2
; %bb.888:                              ;   in Loop: Header=BB287_11 Depth=1
	s_or_b32 exec_lo, exec_lo, s21
	v_lshlrev_b32_e32 v2, 16, v0
	s_delay_alu instid0(VALU_DEP_2) | instskip(SKIP_1) | instid1(VALU_DEP_3)
	v_lshlrev_b32_e32 v3, 20, v140
	v_lshl_add_u32 v1, v1, 23, 0x3c000000
	v_and_b32_e32 v2, 0x80000000, v2
	s_delay_alu instid0(VALU_DEP_1)
	v_or3_b32 v2, v3, v2, v1
	v_mov_b32_e32 v1, v141
	scratch_store_b64 off, v[1:2], s32 offset:1184 ; 8-byte Folded Spill
.LBB287_889:                            ;   in Loop: Header=BB287_11 Depth=1
	s_or_b32 exec_lo, exec_lo, s8
.LBB287_890:                            ;   in Loop: Header=BB287_11 Depth=1
	s_delay_alu instid0(SALU_CYCLE_1)
	s_or_b32 exec_lo, exec_lo, s20
.LBB287_891:                            ;   in Loop: Header=BB287_11 Depth=1
	s_delay_alu instid0(SALU_CYCLE_1)
	s_or_b32 exec_lo, exec_lo, s19
	v_lshrrev_b32_e32 v1, 16, v0
	v_mov_b32_e32 v3, 0
	v_mov_b32_e32 v4, 0
	s_mov_b32 s8, exec_lo
	s_clause 0x1
	scratch_store_b64 off, v[3:4], s32 offset:1200
	scratch_store_b64 off, v[3:4], s32 offset:1208
	v_and_b32_e32 v2, 0xff, v1
	s_delay_alu instid0(VALU_DEP_1)
	v_cmpx_ne_u16_e32 0, v2
	s_cbranch_execz .LBB287_899
; %bb.892:                              ;   in Loop: Header=BB287_11 Depth=1
	v_cmp_ne_u16_e64 s1, 0x80, v2
	v_bfrev_b32_e32 v2, 1
	v_mov_b32_e32 v3, 0
	scratch_store_b64 off, v[2:3], s32 offset:1208 ; 8-byte Folded Spill
	s_and_saveexec_b32 s19, s1
	s_cbranch_execz .LBB287_898
; %bb.893:                              ;   in Loop: Header=BB287_11 Depth=1
	v_mov_b32_e32 v4, 0x7f800001
	v_bfe_u32 v3, v0, 16, 7
	v_mov_b32_e32 v5, 0
	s_mov_b32 s20, exec_lo
	scratch_store_b64 off, v[4:5], s32 offset:1208 ; 8-byte Folded Spill
	v_cmpx_ne_u32_e32 0x7f, v3
	s_cbranch_execz .LBB287_897
; %bb.894:                              ;   in Loop: Header=BB287_11 Depth=1
	v_and_b32_e32 v140, 7, v1
	v_lshrrev_b32_e32 v2, 3, v3
	s_mov_b32 s21, exec_lo
	v_cmpx_gt_u32_e32 8, v3
; %bb.895:                              ;   in Loop: Header=BB287_11 Depth=1
	s_delay_alu instid0(VALU_DEP_3) | instskip(NEXT) | instid1(VALU_DEP_1)
	v_clz_i32_u32_e32 v2, v140
	v_min_u32_e32 v2, 32, v2
	s_delay_alu instid0(VALU_DEP_1) | instskip(SKIP_1) | instid1(VALU_DEP_2)
	v_subrev_nc_u32_e32 v3, 28, v2
	v_sub_nc_u32_e32 v2, 29, v2
	v_lshlrev_b64 v[3:4], v3, v[140:141]
	s_delay_alu instid0(VALU_DEP_1)
	v_and_b32_e32 v140, 7, v3
; %bb.896:                              ;   in Loop: Header=BB287_11 Depth=1
	s_or_b32 exec_lo, exec_lo, s21
	v_lshlrev_b32_e32 v1, 24, v1
	s_delay_alu instid0(VALU_DEP_2) | instskip(SKIP_1) | instid1(VALU_DEP_3)
	v_lshlrev_b32_e32 v3, 20, v140
	v_lshl_add_u32 v2, v2, 23, 0x3c000000
	v_and_b32_e32 v1, 0x80000000, v1
	s_delay_alu instid0(VALU_DEP_1)
	v_or3_b32 v140, v3, v1, v2
	scratch_store_b64 off, v[140:141], s32 offset:1208 ; 8-byte Folded Spill
.LBB287_897:                            ;   in Loop: Header=BB287_11 Depth=1
	s_or_b32 exec_lo, exec_lo, s20
.LBB287_898:                            ;   in Loop: Header=BB287_11 Depth=1
	s_delay_alu instid0(SALU_CYCLE_1)
	s_or_b32 exec_lo, exec_lo, s19
.LBB287_899:                            ;   in Loop: Header=BB287_11 Depth=1
	s_delay_alu instid0(SALU_CYCLE_1) | instskip(NEXT) | instid1(SALU_CYCLE_1)
	s_or_b32 exec_lo, exec_lo, s8
	s_mov_b32 s19, exec_lo
	v_cmpx_lt_u32_e32 0xffffff, v0
	s_cbranch_execz .LBB287_907
; %bb.900:                              ;   in Loop: Header=BB287_11 Depth=1
	v_lshrrev_b32_e32 v1, 24, v0
	v_dual_mov_b32 v2, s2 :: v_dual_mov_b32 v3, s3
	s_mov_b32 s20, exec_lo
	scratch_store_b64 off, v[2:3], s32 offset:1200 ; 8-byte Folded Spill
	v_cmpx_ne_u32_e32 0x80, v1
	s_cbranch_execz .LBB287_906
; %bb.901:                              ;   in Loop: Header=BB287_11 Depth=1
	s_mov_b32 s8, s2
	v_bfe_u32 v2, v0, 24, 7
	v_dual_mov_b32 v3, s8 :: v_dual_mov_b32 v4, s9
	s_mov_b32 s8, exec_lo
	scratch_store_b64 off, v[3:4], s32 offset:1200 ; 8-byte Folded Spill
	v_cmpx_ne_u32_e32 0x7f, v2
	s_cbranch_execz .LBB287_905
; %bb.902:                              ;   in Loop: Header=BB287_11 Depth=1
	v_and_b32_e32 v140, 7, v1
	v_lshrrev_b32_e32 v0, 3, v2
	s_mov_b32 s21, exec_lo
	v_cmpx_gt_u32_e32 8, v2
; %bb.903:                              ;   in Loop: Header=BB287_11 Depth=1
	s_delay_alu instid0(VALU_DEP_3) | instskip(NEXT) | instid1(VALU_DEP_1)
	v_clz_i32_u32_e32 v0, v140
	v_min_u32_e32 v0, 32, v0
	s_delay_alu instid0(VALU_DEP_1) | instskip(SKIP_1) | instid1(VALU_DEP_2)
	v_subrev_nc_u32_e32 v2, 28, v0
	v_sub_nc_u32_e32 v0, 29, v0
	v_lshlrev_b64 v[2:3], v2, v[140:141]
	s_delay_alu instid0(VALU_DEP_1)
	v_and_b32_e32 v140, 7, v2
; %bb.904:                              ;   in Loop: Header=BB287_11 Depth=1
	s_or_b32 exec_lo, exec_lo, s21
	v_lshlrev_b32_e32 v1, 24, v1
	s_delay_alu instid0(VALU_DEP_2) | instskip(SKIP_1) | instid1(VALU_DEP_3)
	v_lshlrev_b32_e32 v2, 20, v140
	v_lshl_add_u32 v0, v0, 23, 0x3c000000
	v_and_b32_e32 v1, 0x80000000, v1
	s_delay_alu instid0(VALU_DEP_1)
	v_or3_b32 v1, v2, v1, v0
	v_mov_b32_e32 v0, v141
	scratch_store_b64 off, v[0:1], s32 offset:1200 ; 8-byte Folded Spill
.LBB287_905:                            ;   in Loop: Header=BB287_11 Depth=1
	s_or_b32 exec_lo, exec_lo, s8
.LBB287_906:                            ;   in Loop: Header=BB287_11 Depth=1
	s_delay_alu instid0(SALU_CYCLE_1)
	s_or_b32 exec_lo, exec_lo, s20
.LBB287_907:                            ;   in Loop: Header=BB287_11 Depth=1
	s_delay_alu instid0(SALU_CYCLE_1)
	s_or_b32 exec_lo, exec_lo, s19
	flat_load_b32 v0, v[37:38] offset:3584
	v_mov_b32_e32 v2, 0
	v_mov_b32_e32 v3, 0
	s_mov_b32 s8, exec_lo
	s_clause 0x1
	scratch_store_b64 off, v[2:3], s32 offset:1216
	scratch_store_b64 off, v[2:3], s32 offset:1224
	s_waitcnt vmcnt(0) lgkmcnt(0)
	v_and_b32_e32 v1, 0xff, v0
	s_delay_alu instid0(VALU_DEP_1)
	v_cmpx_ne_u16_e32 0, v1
	s_cbranch_execz .LBB287_915
; %bb.908:                              ;   in Loop: Header=BB287_11 Depth=1
	v_cmp_ne_u16_e64 s1, 0x80, v1
	v_bfrev_b32_e32 v1, 1
	v_mov_b32_e32 v2, 0
	scratch_store_b64 off, v[1:2], s32 offset:1224 ; 8-byte Folded Spill
	s_and_saveexec_b32 s19, s1
	s_cbranch_execz .LBB287_914
; %bb.909:                              ;   in Loop: Header=BB287_11 Depth=1
	v_mov_b32_e32 v3, 0x7f800001
	v_and_b32_e32 v2, 0x7f, v0
	v_mov_b32_e32 v4, 0
	s_mov_b32 s20, exec_lo
	scratch_store_b64 off, v[3:4], s32 offset:1224 ; 8-byte Folded Spill
	v_cmpx_ne_u32_e32 0x7f, v2
	s_cbranch_execz .LBB287_913
; %bb.910:                              ;   in Loop: Header=BB287_11 Depth=1
	v_and_b32_e32 v140, 7, v0
	v_lshrrev_b32_e32 v1, 3, v2
	s_mov_b32 s21, exec_lo
	v_cmpx_gt_u32_e32 8, v2
; %bb.911:                              ;   in Loop: Header=BB287_11 Depth=1
	s_delay_alu instid0(VALU_DEP_3) | instskip(NEXT) | instid1(VALU_DEP_1)
	v_clz_i32_u32_e32 v1, v140
	v_min_u32_e32 v1, 32, v1
	s_delay_alu instid0(VALU_DEP_1) | instskip(SKIP_1) | instid1(VALU_DEP_2)
	v_subrev_nc_u32_e32 v2, 28, v1
	v_sub_nc_u32_e32 v1, 29, v1
	v_lshlrev_b64 v[2:3], v2, v[140:141]
	s_delay_alu instid0(VALU_DEP_1)
	v_and_b32_e32 v140, 7, v2
; %bb.912:                              ;   in Loop: Header=BB287_11 Depth=1
	s_or_b32 exec_lo, exec_lo, s21
	v_lshlrev_b32_e32 v2, 24, v0
	s_delay_alu instid0(VALU_DEP_2) | instskip(SKIP_1) | instid1(VALU_DEP_3)
	v_lshlrev_b32_e32 v3, 20, v140
	v_lshl_add_u32 v1, v1, 23, 0x3c000000
	v_and_b32_e32 v2, 0x80000000, v2
	s_delay_alu instid0(VALU_DEP_1)
	v_or3_b32 v140, v3, v2, v1
	scratch_store_b64 off, v[140:141], s32 offset:1224 ; 8-byte Folded Spill
.LBB287_913:                            ;   in Loop: Header=BB287_11 Depth=1
	s_or_b32 exec_lo, exec_lo, s20
.LBB287_914:                            ;   in Loop: Header=BB287_11 Depth=1
	s_delay_alu instid0(SALU_CYCLE_1)
	s_or_b32 exec_lo, exec_lo, s19
.LBB287_915:                            ;   in Loop: Header=BB287_11 Depth=1
	s_delay_alu instid0(SALU_CYCLE_1) | instskip(SKIP_2) | instid1(VALU_DEP_1)
	s_or_b32 exec_lo, exec_lo, s8
	v_lshrrev_b16 v1, 8, v0
	s_mov_b32 s19, exec_lo
	v_cmpx_ne_u16_e32 0, v1
	s_cbranch_execz .LBB287_923
; %bb.916:                              ;   in Loop: Header=BB287_11 Depth=1
	v_dual_mov_b32 v2, s2 :: v_dual_mov_b32 v3, s3
	s_mov_b32 s20, exec_lo
	scratch_store_b64 off, v[2:3], s32 offset:1216 ; 8-byte Folded Spill
	v_cmpx_ne_u16_e32 0x80, v1
	s_cbranch_execz .LBB287_922
; %bb.917:                              ;   in Loop: Header=BB287_11 Depth=1
	s_mov_b32 s8, s2
	v_and_b32_e32 v1, 0xffff, v1
	v_dual_mov_b32 v3, s8 :: v_dual_mov_b32 v4, s9
	s_mov_b32 s8, exec_lo
	s_delay_alu instid0(VALU_DEP_2)
	v_and_b32_e32 v2, 0x7f, v1
	scratch_store_b64 off, v[3:4], s32 offset:1216 ; 8-byte Folded Spill
	v_cmpx_ne_u32_e32 0x7f, v2
	s_cbranch_execz .LBB287_921
; %bb.918:                              ;   in Loop: Header=BB287_11 Depth=1
	v_and_b32_e32 v140, 7, v1
	v_lshrrev_b32_e32 v1, 3, v2
	s_mov_b32 s21, exec_lo
	v_cmpx_gt_u32_e32 8, v2
; %bb.919:                              ;   in Loop: Header=BB287_11 Depth=1
	s_delay_alu instid0(VALU_DEP_3) | instskip(NEXT) | instid1(VALU_DEP_1)
	v_clz_i32_u32_e32 v1, v140
	v_min_u32_e32 v1, 32, v1
	s_delay_alu instid0(VALU_DEP_1) | instskip(SKIP_1) | instid1(VALU_DEP_2)
	v_subrev_nc_u32_e32 v2, 28, v1
	v_sub_nc_u32_e32 v1, 29, v1
	v_lshlrev_b64 v[2:3], v2, v[140:141]
	s_delay_alu instid0(VALU_DEP_1)
	v_and_b32_e32 v140, 7, v2
; %bb.920:                              ;   in Loop: Header=BB287_11 Depth=1
	s_or_b32 exec_lo, exec_lo, s21
	v_lshlrev_b32_e32 v2, 16, v0
	s_delay_alu instid0(VALU_DEP_2) | instskip(SKIP_1) | instid1(VALU_DEP_3)
	v_lshlrev_b32_e32 v3, 20, v140
	v_lshl_add_u32 v1, v1, 23, 0x3c000000
	v_and_b32_e32 v2, 0x80000000, v2
	s_delay_alu instid0(VALU_DEP_1)
	v_or3_b32 v2, v3, v2, v1
	v_mov_b32_e32 v1, v141
	scratch_store_b64 off, v[1:2], s32 offset:1216 ; 8-byte Folded Spill
.LBB287_921:                            ;   in Loop: Header=BB287_11 Depth=1
	s_or_b32 exec_lo, exec_lo, s8
.LBB287_922:                            ;   in Loop: Header=BB287_11 Depth=1
	s_delay_alu instid0(SALU_CYCLE_1)
	s_or_b32 exec_lo, exec_lo, s20
.LBB287_923:                            ;   in Loop: Header=BB287_11 Depth=1
	s_delay_alu instid0(SALU_CYCLE_1)
	s_or_b32 exec_lo, exec_lo, s19
	v_lshrrev_b32_e32 v1, 16, v0
	v_mov_b32_e32 v3, 0
	v_mov_b32_e32 v4, 0
	s_mov_b32 s8, exec_lo
	s_clause 0x1
	scratch_store_b64 off, v[3:4], s32 offset:1232
	scratch_store_b64 off, v[3:4], s32 offset:1240
	v_and_b32_e32 v2, 0xff, v1
	s_delay_alu instid0(VALU_DEP_1)
	v_cmpx_ne_u16_e32 0, v2
	s_cbranch_execz .LBB287_931
; %bb.924:                              ;   in Loop: Header=BB287_11 Depth=1
	v_cmp_ne_u16_e64 s1, 0x80, v2
	v_bfrev_b32_e32 v2, 1
	v_mov_b32_e32 v3, 0
	scratch_store_b64 off, v[2:3], s32 offset:1240 ; 8-byte Folded Spill
	s_and_saveexec_b32 s19, s1
	s_cbranch_execz .LBB287_930
; %bb.925:                              ;   in Loop: Header=BB287_11 Depth=1
	v_mov_b32_e32 v4, 0x7f800001
	v_bfe_u32 v3, v0, 16, 7
	v_mov_b32_e32 v5, 0
	s_mov_b32 s20, exec_lo
	scratch_store_b64 off, v[4:5], s32 offset:1240 ; 8-byte Folded Spill
	v_cmpx_ne_u32_e32 0x7f, v3
	s_cbranch_execz .LBB287_929
; %bb.926:                              ;   in Loop: Header=BB287_11 Depth=1
	v_and_b32_e32 v140, 7, v1
	v_lshrrev_b32_e32 v2, 3, v3
	s_mov_b32 s21, exec_lo
	v_cmpx_gt_u32_e32 8, v3
; %bb.927:                              ;   in Loop: Header=BB287_11 Depth=1
	s_delay_alu instid0(VALU_DEP_3) | instskip(NEXT) | instid1(VALU_DEP_1)
	v_clz_i32_u32_e32 v2, v140
	v_min_u32_e32 v2, 32, v2
	s_delay_alu instid0(VALU_DEP_1) | instskip(SKIP_1) | instid1(VALU_DEP_2)
	v_subrev_nc_u32_e32 v3, 28, v2
	v_sub_nc_u32_e32 v2, 29, v2
	v_lshlrev_b64 v[3:4], v3, v[140:141]
	s_delay_alu instid0(VALU_DEP_1)
	v_and_b32_e32 v140, 7, v3
; %bb.928:                              ;   in Loop: Header=BB287_11 Depth=1
	s_or_b32 exec_lo, exec_lo, s21
	v_lshlrev_b32_e32 v1, 24, v1
	s_delay_alu instid0(VALU_DEP_2) | instskip(SKIP_1) | instid1(VALU_DEP_3)
	v_lshlrev_b32_e32 v3, 20, v140
	v_lshl_add_u32 v2, v2, 23, 0x3c000000
	v_and_b32_e32 v1, 0x80000000, v1
	s_delay_alu instid0(VALU_DEP_1)
	v_or3_b32 v140, v3, v1, v2
	scratch_store_b64 off, v[140:141], s32 offset:1240 ; 8-byte Folded Spill
.LBB287_929:                            ;   in Loop: Header=BB287_11 Depth=1
	s_or_b32 exec_lo, exec_lo, s20
.LBB287_930:                            ;   in Loop: Header=BB287_11 Depth=1
	s_delay_alu instid0(SALU_CYCLE_1)
	s_or_b32 exec_lo, exec_lo, s19
.LBB287_931:                            ;   in Loop: Header=BB287_11 Depth=1
	s_delay_alu instid0(SALU_CYCLE_1) | instskip(NEXT) | instid1(SALU_CYCLE_1)
	s_or_b32 exec_lo, exec_lo, s8
	s_mov_b32 s19, exec_lo
	v_cmpx_lt_u32_e32 0xffffff, v0
	s_cbranch_execz .LBB287_939
; %bb.932:                              ;   in Loop: Header=BB287_11 Depth=1
	v_lshrrev_b32_e32 v1, 24, v0
	v_dual_mov_b32 v2, s2 :: v_dual_mov_b32 v3, s3
	s_mov_b32 s20, exec_lo
	scratch_store_b64 off, v[2:3], s32 offset:1232 ; 8-byte Folded Spill
	v_cmpx_ne_u32_e32 0x80, v1
	s_cbranch_execz .LBB287_938
; %bb.933:                              ;   in Loop: Header=BB287_11 Depth=1
	s_mov_b32 s8, s2
	v_bfe_u32 v2, v0, 24, 7
	v_dual_mov_b32 v3, s8 :: v_dual_mov_b32 v4, s9
	s_mov_b32 s8, exec_lo
	scratch_store_b64 off, v[3:4], s32 offset:1232 ; 8-byte Folded Spill
	v_cmpx_ne_u32_e32 0x7f, v2
	s_cbranch_execz .LBB287_937
; %bb.934:                              ;   in Loop: Header=BB287_11 Depth=1
	v_and_b32_e32 v140, 7, v1
	v_lshrrev_b32_e32 v0, 3, v2
	s_mov_b32 s21, exec_lo
	v_cmpx_gt_u32_e32 8, v2
; %bb.935:                              ;   in Loop: Header=BB287_11 Depth=1
	s_delay_alu instid0(VALU_DEP_3) | instskip(NEXT) | instid1(VALU_DEP_1)
	v_clz_i32_u32_e32 v0, v140
	v_min_u32_e32 v0, 32, v0
	s_delay_alu instid0(VALU_DEP_1) | instskip(SKIP_1) | instid1(VALU_DEP_2)
	v_subrev_nc_u32_e32 v2, 28, v0
	v_sub_nc_u32_e32 v0, 29, v0
	v_lshlrev_b64 v[2:3], v2, v[140:141]
	s_delay_alu instid0(VALU_DEP_1)
	v_and_b32_e32 v140, 7, v2
; %bb.936:                              ;   in Loop: Header=BB287_11 Depth=1
	s_or_b32 exec_lo, exec_lo, s21
	v_lshlrev_b32_e32 v1, 24, v1
	s_delay_alu instid0(VALU_DEP_2) | instskip(SKIP_1) | instid1(VALU_DEP_3)
	v_lshlrev_b32_e32 v2, 20, v140
	v_lshl_add_u32 v0, v0, 23, 0x3c000000
	v_and_b32_e32 v1, 0x80000000, v1
	s_delay_alu instid0(VALU_DEP_1)
	v_or3_b32 v1, v2, v1, v0
	v_mov_b32_e32 v0, v141
	scratch_store_b64 off, v[0:1], s32 offset:1232 ; 8-byte Folded Spill
.LBB287_937:                            ;   in Loop: Header=BB287_11 Depth=1
	s_or_b32 exec_lo, exec_lo, s8
.LBB287_938:                            ;   in Loop: Header=BB287_11 Depth=1
	s_delay_alu instid0(SALU_CYCLE_1)
	s_or_b32 exec_lo, exec_lo, s20
.LBB287_939:                            ;   in Loop: Header=BB287_11 Depth=1
	s_delay_alu instid0(SALU_CYCLE_1)
	s_or_b32 exec_lo, exec_lo, s19
	flat_load_b32 v0, v[37:38] offset:3588
	v_mov_b32_e32 v2, 0
	v_mov_b32_e32 v3, 0
	s_mov_b32 s8, exec_lo
	s_clause 0x1
	scratch_store_b64 off, v[2:3], s32 offset:1248
	scratch_store_b64 off, v[2:3], s32 offset:1256
	s_waitcnt vmcnt(0) lgkmcnt(0)
	v_and_b32_e32 v1, 0xff, v0
	s_delay_alu instid0(VALU_DEP_1)
	v_cmpx_ne_u16_e32 0, v1
	s_cbranch_execz .LBB287_947
; %bb.940:                              ;   in Loop: Header=BB287_11 Depth=1
	v_cmp_ne_u16_e64 s1, 0x80, v1
	v_bfrev_b32_e32 v1, 1
	v_mov_b32_e32 v2, 0
	scratch_store_b64 off, v[1:2], s32 offset:1256 ; 8-byte Folded Spill
	s_and_saveexec_b32 s19, s1
	s_cbranch_execz .LBB287_946
; %bb.941:                              ;   in Loop: Header=BB287_11 Depth=1
	v_mov_b32_e32 v3, 0x7f800001
	v_and_b32_e32 v2, 0x7f, v0
	v_mov_b32_e32 v4, 0
	s_mov_b32 s20, exec_lo
	scratch_store_b64 off, v[3:4], s32 offset:1256 ; 8-byte Folded Spill
	v_cmpx_ne_u32_e32 0x7f, v2
	s_cbranch_execz .LBB287_945
; %bb.942:                              ;   in Loop: Header=BB287_11 Depth=1
	v_and_b32_e32 v140, 7, v0
	v_lshrrev_b32_e32 v1, 3, v2
	s_mov_b32 s21, exec_lo
	v_cmpx_gt_u32_e32 8, v2
; %bb.943:                              ;   in Loop: Header=BB287_11 Depth=1
	s_delay_alu instid0(VALU_DEP_3) | instskip(NEXT) | instid1(VALU_DEP_1)
	v_clz_i32_u32_e32 v1, v140
	v_min_u32_e32 v1, 32, v1
	s_delay_alu instid0(VALU_DEP_1) | instskip(SKIP_1) | instid1(VALU_DEP_2)
	v_subrev_nc_u32_e32 v2, 28, v1
	v_sub_nc_u32_e32 v1, 29, v1
	v_lshlrev_b64 v[2:3], v2, v[140:141]
	s_delay_alu instid0(VALU_DEP_1)
	v_and_b32_e32 v140, 7, v2
; %bb.944:                              ;   in Loop: Header=BB287_11 Depth=1
	s_or_b32 exec_lo, exec_lo, s21
	v_lshlrev_b32_e32 v2, 24, v0
	s_delay_alu instid0(VALU_DEP_2) | instskip(SKIP_1) | instid1(VALU_DEP_3)
	v_lshlrev_b32_e32 v3, 20, v140
	v_lshl_add_u32 v1, v1, 23, 0x3c000000
	v_and_b32_e32 v2, 0x80000000, v2
	s_delay_alu instid0(VALU_DEP_1)
	v_or3_b32 v140, v3, v2, v1
	scratch_store_b64 off, v[140:141], s32 offset:1256 ; 8-byte Folded Spill
.LBB287_945:                            ;   in Loop: Header=BB287_11 Depth=1
	s_or_b32 exec_lo, exec_lo, s20
.LBB287_946:                            ;   in Loop: Header=BB287_11 Depth=1
	s_delay_alu instid0(SALU_CYCLE_1)
	s_or_b32 exec_lo, exec_lo, s19
.LBB287_947:                            ;   in Loop: Header=BB287_11 Depth=1
	s_delay_alu instid0(SALU_CYCLE_1) | instskip(SKIP_2) | instid1(VALU_DEP_1)
	s_or_b32 exec_lo, exec_lo, s8
	v_lshrrev_b16 v1, 8, v0
	s_mov_b32 s19, exec_lo
	v_cmpx_ne_u16_e32 0, v1
	s_cbranch_execz .LBB287_955
; %bb.948:                              ;   in Loop: Header=BB287_11 Depth=1
	v_dual_mov_b32 v2, s2 :: v_dual_mov_b32 v3, s3
	s_mov_b32 s20, exec_lo
	scratch_store_b64 off, v[2:3], s32 offset:1248 ; 8-byte Folded Spill
	v_cmpx_ne_u16_e32 0x80, v1
	s_cbranch_execz .LBB287_954
; %bb.949:                              ;   in Loop: Header=BB287_11 Depth=1
	s_mov_b32 s8, s2
	v_and_b32_e32 v1, 0xffff, v1
	v_dual_mov_b32 v3, s8 :: v_dual_mov_b32 v4, s9
	s_mov_b32 s8, exec_lo
	s_delay_alu instid0(VALU_DEP_2)
	v_and_b32_e32 v2, 0x7f, v1
	scratch_store_b64 off, v[3:4], s32 offset:1248 ; 8-byte Folded Spill
	v_cmpx_ne_u32_e32 0x7f, v2
	s_cbranch_execz .LBB287_953
; %bb.950:                              ;   in Loop: Header=BB287_11 Depth=1
	v_and_b32_e32 v140, 7, v1
	v_lshrrev_b32_e32 v1, 3, v2
	s_mov_b32 s21, exec_lo
	v_cmpx_gt_u32_e32 8, v2
; %bb.951:                              ;   in Loop: Header=BB287_11 Depth=1
	s_delay_alu instid0(VALU_DEP_3) | instskip(NEXT) | instid1(VALU_DEP_1)
	v_clz_i32_u32_e32 v1, v140
	v_min_u32_e32 v1, 32, v1
	s_delay_alu instid0(VALU_DEP_1) | instskip(SKIP_1) | instid1(VALU_DEP_2)
	v_subrev_nc_u32_e32 v2, 28, v1
	v_sub_nc_u32_e32 v1, 29, v1
	v_lshlrev_b64 v[2:3], v2, v[140:141]
	s_delay_alu instid0(VALU_DEP_1)
	v_and_b32_e32 v140, 7, v2
; %bb.952:                              ;   in Loop: Header=BB287_11 Depth=1
	s_or_b32 exec_lo, exec_lo, s21
	v_lshlrev_b32_e32 v2, 16, v0
	s_delay_alu instid0(VALU_DEP_2) | instskip(SKIP_1) | instid1(VALU_DEP_3)
	v_lshlrev_b32_e32 v3, 20, v140
	v_lshl_add_u32 v1, v1, 23, 0x3c000000
	v_and_b32_e32 v2, 0x80000000, v2
	s_delay_alu instid0(VALU_DEP_1)
	v_or3_b32 v2, v3, v2, v1
	v_mov_b32_e32 v1, v141
	scratch_store_b64 off, v[1:2], s32 offset:1248 ; 8-byte Folded Spill
.LBB287_953:                            ;   in Loop: Header=BB287_11 Depth=1
	s_or_b32 exec_lo, exec_lo, s8
.LBB287_954:                            ;   in Loop: Header=BB287_11 Depth=1
	s_delay_alu instid0(SALU_CYCLE_1)
	s_or_b32 exec_lo, exec_lo, s20
.LBB287_955:                            ;   in Loop: Header=BB287_11 Depth=1
	s_delay_alu instid0(SALU_CYCLE_1)
	s_or_b32 exec_lo, exec_lo, s19
	v_lshrrev_b32_e32 v1, 16, v0
	v_mov_b32_e32 v3, 0
	v_mov_b32_e32 v4, 0
	s_mov_b32 s8, exec_lo
	s_clause 0x1
	scratch_store_b64 off, v[3:4], s32 offset:1264
	scratch_store_b64 off, v[3:4], s32 offset:1272
	v_and_b32_e32 v2, 0xff, v1
	s_delay_alu instid0(VALU_DEP_1)
	v_cmpx_ne_u16_e32 0, v2
	s_cbranch_execz .LBB287_963
; %bb.956:                              ;   in Loop: Header=BB287_11 Depth=1
	v_cmp_ne_u16_e64 s1, 0x80, v2
	v_bfrev_b32_e32 v2, 1
	v_mov_b32_e32 v3, 0
	scratch_store_b64 off, v[2:3], s32 offset:1272 ; 8-byte Folded Spill
	s_and_saveexec_b32 s19, s1
	s_cbranch_execz .LBB287_962
; %bb.957:                              ;   in Loop: Header=BB287_11 Depth=1
	v_mov_b32_e32 v4, 0x7f800001
	v_bfe_u32 v3, v0, 16, 7
	v_mov_b32_e32 v5, 0
	s_mov_b32 s20, exec_lo
	scratch_store_b64 off, v[4:5], s32 offset:1272 ; 8-byte Folded Spill
	v_cmpx_ne_u32_e32 0x7f, v3
	s_cbranch_execz .LBB287_961
; %bb.958:                              ;   in Loop: Header=BB287_11 Depth=1
	v_and_b32_e32 v140, 7, v1
	v_lshrrev_b32_e32 v2, 3, v3
	s_mov_b32 s21, exec_lo
	v_cmpx_gt_u32_e32 8, v3
; %bb.959:                              ;   in Loop: Header=BB287_11 Depth=1
	s_delay_alu instid0(VALU_DEP_3) | instskip(NEXT) | instid1(VALU_DEP_1)
	v_clz_i32_u32_e32 v2, v140
	v_min_u32_e32 v2, 32, v2
	s_delay_alu instid0(VALU_DEP_1) | instskip(SKIP_1) | instid1(VALU_DEP_2)
	v_subrev_nc_u32_e32 v3, 28, v2
	v_sub_nc_u32_e32 v2, 29, v2
	v_lshlrev_b64 v[3:4], v3, v[140:141]
	s_delay_alu instid0(VALU_DEP_1)
	v_and_b32_e32 v140, 7, v3
; %bb.960:                              ;   in Loop: Header=BB287_11 Depth=1
	s_or_b32 exec_lo, exec_lo, s21
	v_lshlrev_b32_e32 v1, 24, v1
	s_delay_alu instid0(VALU_DEP_2) | instskip(SKIP_1) | instid1(VALU_DEP_3)
	v_lshlrev_b32_e32 v3, 20, v140
	v_lshl_add_u32 v2, v2, 23, 0x3c000000
	v_and_b32_e32 v1, 0x80000000, v1
	s_delay_alu instid0(VALU_DEP_1)
	v_or3_b32 v140, v3, v1, v2
	scratch_store_b64 off, v[140:141], s32 offset:1272 ; 8-byte Folded Spill
.LBB287_961:                            ;   in Loop: Header=BB287_11 Depth=1
	s_or_b32 exec_lo, exec_lo, s20
.LBB287_962:                            ;   in Loop: Header=BB287_11 Depth=1
	s_delay_alu instid0(SALU_CYCLE_1)
	s_or_b32 exec_lo, exec_lo, s19
.LBB287_963:                            ;   in Loop: Header=BB287_11 Depth=1
	s_delay_alu instid0(SALU_CYCLE_1) | instskip(NEXT) | instid1(SALU_CYCLE_1)
	s_or_b32 exec_lo, exec_lo, s8
	s_mov_b32 s19, exec_lo
	v_cmpx_lt_u32_e32 0xffffff, v0
	s_cbranch_execz .LBB287_971
; %bb.964:                              ;   in Loop: Header=BB287_11 Depth=1
	v_lshrrev_b32_e32 v1, 24, v0
	v_dual_mov_b32 v2, s2 :: v_dual_mov_b32 v3, s3
	s_mov_b32 s20, exec_lo
	scratch_store_b64 off, v[2:3], s32 offset:1264 ; 8-byte Folded Spill
	v_cmpx_ne_u32_e32 0x80, v1
	s_cbranch_execz .LBB287_970
; %bb.965:                              ;   in Loop: Header=BB287_11 Depth=1
	s_mov_b32 s8, s2
	v_bfe_u32 v2, v0, 24, 7
	v_dual_mov_b32 v3, s8 :: v_dual_mov_b32 v4, s9
	s_mov_b32 s8, exec_lo
	scratch_store_b64 off, v[3:4], s32 offset:1264 ; 8-byte Folded Spill
	v_cmpx_ne_u32_e32 0x7f, v2
	s_cbranch_execz .LBB287_969
; %bb.966:                              ;   in Loop: Header=BB287_11 Depth=1
	v_and_b32_e32 v140, 7, v1
	v_lshrrev_b32_e32 v0, 3, v2
	s_mov_b32 s21, exec_lo
	v_cmpx_gt_u32_e32 8, v2
; %bb.967:                              ;   in Loop: Header=BB287_11 Depth=1
	s_delay_alu instid0(VALU_DEP_3) | instskip(NEXT) | instid1(VALU_DEP_1)
	v_clz_i32_u32_e32 v0, v140
	v_min_u32_e32 v0, 32, v0
	s_delay_alu instid0(VALU_DEP_1) | instskip(SKIP_1) | instid1(VALU_DEP_2)
	v_subrev_nc_u32_e32 v2, 28, v0
	v_sub_nc_u32_e32 v0, 29, v0
	v_lshlrev_b64 v[2:3], v2, v[140:141]
	s_delay_alu instid0(VALU_DEP_1)
	v_and_b32_e32 v140, 7, v2
; %bb.968:                              ;   in Loop: Header=BB287_11 Depth=1
	s_or_b32 exec_lo, exec_lo, s21
	v_lshlrev_b32_e32 v1, 24, v1
	s_delay_alu instid0(VALU_DEP_2) | instskip(SKIP_1) | instid1(VALU_DEP_3)
	v_lshlrev_b32_e32 v2, 20, v140
	v_lshl_add_u32 v0, v0, 23, 0x3c000000
	v_and_b32_e32 v1, 0x80000000, v1
	s_delay_alu instid0(VALU_DEP_1)
	v_or3_b32 v1, v2, v1, v0
	v_mov_b32_e32 v0, v141
	scratch_store_b64 off, v[0:1], s32 offset:1264 ; 8-byte Folded Spill
.LBB287_969:                            ;   in Loop: Header=BB287_11 Depth=1
	s_or_b32 exec_lo, exec_lo, s8
.LBB287_970:                            ;   in Loop: Header=BB287_11 Depth=1
	s_delay_alu instid0(SALU_CYCLE_1)
	s_or_b32 exec_lo, exec_lo, s20
.LBB287_971:                            ;   in Loop: Header=BB287_11 Depth=1
	s_delay_alu instid0(SALU_CYCLE_1)
	s_or_b32 exec_lo, exec_lo, s19
	flat_load_b32 v0, v[37:38] offset:3592
	v_mov_b32_e32 v2, 0
	v_mov_b32_e32 v3, 0
	s_mov_b32 s8, exec_lo
	s_clause 0x1
	scratch_store_b64 off, v[2:3], s32 offset:1280
	scratch_store_b64 off, v[2:3], s32 offset:1288
	s_waitcnt vmcnt(0) lgkmcnt(0)
	v_and_b32_e32 v1, 0xff, v0
	s_delay_alu instid0(VALU_DEP_1)
	v_cmpx_ne_u16_e32 0, v1
	s_cbranch_execz .LBB287_979
; %bb.972:                              ;   in Loop: Header=BB287_11 Depth=1
	v_cmp_ne_u16_e64 s1, 0x80, v1
	v_bfrev_b32_e32 v1, 1
	v_mov_b32_e32 v2, 0
	scratch_store_b64 off, v[1:2], s32 offset:1288 ; 8-byte Folded Spill
	s_and_saveexec_b32 s19, s1
	s_cbranch_execz .LBB287_978
; %bb.973:                              ;   in Loop: Header=BB287_11 Depth=1
	v_mov_b32_e32 v3, 0x7f800001
	v_and_b32_e32 v2, 0x7f, v0
	v_mov_b32_e32 v4, 0
	s_mov_b32 s20, exec_lo
	scratch_store_b64 off, v[3:4], s32 offset:1288 ; 8-byte Folded Spill
	v_cmpx_ne_u32_e32 0x7f, v2
	s_cbranch_execz .LBB287_977
; %bb.974:                              ;   in Loop: Header=BB287_11 Depth=1
	v_and_b32_e32 v140, 7, v0
	v_lshrrev_b32_e32 v1, 3, v2
	s_mov_b32 s21, exec_lo
	v_cmpx_gt_u32_e32 8, v2
; %bb.975:                              ;   in Loop: Header=BB287_11 Depth=1
	s_delay_alu instid0(VALU_DEP_3) | instskip(NEXT) | instid1(VALU_DEP_1)
	v_clz_i32_u32_e32 v1, v140
	v_min_u32_e32 v1, 32, v1
	s_delay_alu instid0(VALU_DEP_1) | instskip(SKIP_1) | instid1(VALU_DEP_2)
	v_subrev_nc_u32_e32 v2, 28, v1
	v_sub_nc_u32_e32 v1, 29, v1
	v_lshlrev_b64 v[2:3], v2, v[140:141]
	s_delay_alu instid0(VALU_DEP_1)
	v_and_b32_e32 v140, 7, v2
; %bb.976:                              ;   in Loop: Header=BB287_11 Depth=1
	s_or_b32 exec_lo, exec_lo, s21
	v_lshlrev_b32_e32 v2, 24, v0
	s_delay_alu instid0(VALU_DEP_2) | instskip(SKIP_1) | instid1(VALU_DEP_3)
	v_lshlrev_b32_e32 v3, 20, v140
	v_lshl_add_u32 v1, v1, 23, 0x3c000000
	v_and_b32_e32 v2, 0x80000000, v2
	s_delay_alu instid0(VALU_DEP_1)
	v_or3_b32 v140, v3, v2, v1
	scratch_store_b64 off, v[140:141], s32 offset:1288 ; 8-byte Folded Spill
.LBB287_977:                            ;   in Loop: Header=BB287_11 Depth=1
	s_or_b32 exec_lo, exec_lo, s20
.LBB287_978:                            ;   in Loop: Header=BB287_11 Depth=1
	s_delay_alu instid0(SALU_CYCLE_1)
	s_or_b32 exec_lo, exec_lo, s19
.LBB287_979:                            ;   in Loop: Header=BB287_11 Depth=1
	s_delay_alu instid0(SALU_CYCLE_1) | instskip(SKIP_2) | instid1(VALU_DEP_1)
	s_or_b32 exec_lo, exec_lo, s8
	v_lshrrev_b16 v1, 8, v0
	s_mov_b32 s19, exec_lo
	v_cmpx_ne_u16_e32 0, v1
	s_cbranch_execz .LBB287_987
; %bb.980:                              ;   in Loop: Header=BB287_11 Depth=1
	v_dual_mov_b32 v2, s2 :: v_dual_mov_b32 v3, s3
	s_mov_b32 s20, exec_lo
	scratch_store_b64 off, v[2:3], s32 offset:1280 ; 8-byte Folded Spill
	v_cmpx_ne_u16_e32 0x80, v1
	s_cbranch_execz .LBB287_986
; %bb.981:                              ;   in Loop: Header=BB287_11 Depth=1
	s_mov_b32 s8, s2
	v_and_b32_e32 v1, 0xffff, v1
	v_dual_mov_b32 v3, s8 :: v_dual_mov_b32 v4, s9
	s_mov_b32 s8, exec_lo
	s_delay_alu instid0(VALU_DEP_2)
	v_and_b32_e32 v2, 0x7f, v1
	scratch_store_b64 off, v[3:4], s32 offset:1280 ; 8-byte Folded Spill
	v_cmpx_ne_u32_e32 0x7f, v2
	s_cbranch_execz .LBB287_985
; %bb.982:                              ;   in Loop: Header=BB287_11 Depth=1
	v_and_b32_e32 v140, 7, v1
	v_lshrrev_b32_e32 v1, 3, v2
	s_mov_b32 s21, exec_lo
	v_cmpx_gt_u32_e32 8, v2
; %bb.983:                              ;   in Loop: Header=BB287_11 Depth=1
	s_delay_alu instid0(VALU_DEP_3) | instskip(NEXT) | instid1(VALU_DEP_1)
	v_clz_i32_u32_e32 v1, v140
	v_min_u32_e32 v1, 32, v1
	s_delay_alu instid0(VALU_DEP_1) | instskip(SKIP_1) | instid1(VALU_DEP_2)
	v_subrev_nc_u32_e32 v2, 28, v1
	v_sub_nc_u32_e32 v1, 29, v1
	v_lshlrev_b64 v[2:3], v2, v[140:141]
	s_delay_alu instid0(VALU_DEP_1)
	v_and_b32_e32 v140, 7, v2
; %bb.984:                              ;   in Loop: Header=BB287_11 Depth=1
	s_or_b32 exec_lo, exec_lo, s21
	v_lshlrev_b32_e32 v2, 16, v0
	s_delay_alu instid0(VALU_DEP_2) | instskip(SKIP_1) | instid1(VALU_DEP_3)
	v_lshlrev_b32_e32 v3, 20, v140
	v_lshl_add_u32 v1, v1, 23, 0x3c000000
	v_and_b32_e32 v2, 0x80000000, v2
	s_delay_alu instid0(VALU_DEP_1)
	v_or3_b32 v2, v3, v2, v1
	v_mov_b32_e32 v1, v141
	scratch_store_b64 off, v[1:2], s32 offset:1280 ; 8-byte Folded Spill
.LBB287_985:                            ;   in Loop: Header=BB287_11 Depth=1
	s_or_b32 exec_lo, exec_lo, s8
.LBB287_986:                            ;   in Loop: Header=BB287_11 Depth=1
	s_delay_alu instid0(SALU_CYCLE_1)
	s_or_b32 exec_lo, exec_lo, s20
.LBB287_987:                            ;   in Loop: Header=BB287_11 Depth=1
	s_delay_alu instid0(SALU_CYCLE_1)
	s_or_b32 exec_lo, exec_lo, s19
	v_lshrrev_b32_e32 v1, 16, v0
	v_mov_b32_e32 v3, 0
	v_mov_b32_e32 v4, 0
	s_mov_b32 s8, exec_lo
	s_clause 0x1
	scratch_store_b64 off, v[3:4], s32 offset:1296
	scratch_store_b64 off, v[3:4], s32 offset:1304
	v_and_b32_e32 v2, 0xff, v1
	s_delay_alu instid0(VALU_DEP_1)
	v_cmpx_ne_u16_e32 0, v2
	s_cbranch_execz .LBB287_995
; %bb.988:                              ;   in Loop: Header=BB287_11 Depth=1
	v_cmp_ne_u16_e64 s1, 0x80, v2
	v_bfrev_b32_e32 v2, 1
	v_mov_b32_e32 v3, 0
	scratch_store_b64 off, v[2:3], s32 offset:1304 ; 8-byte Folded Spill
	s_and_saveexec_b32 s19, s1
	s_cbranch_execz .LBB287_994
; %bb.989:                              ;   in Loop: Header=BB287_11 Depth=1
	v_mov_b32_e32 v4, 0x7f800001
	v_bfe_u32 v3, v0, 16, 7
	v_mov_b32_e32 v5, 0
	s_mov_b32 s20, exec_lo
	scratch_store_b64 off, v[4:5], s32 offset:1304 ; 8-byte Folded Spill
	v_cmpx_ne_u32_e32 0x7f, v3
	s_cbranch_execz .LBB287_993
; %bb.990:                              ;   in Loop: Header=BB287_11 Depth=1
	v_and_b32_e32 v140, 7, v1
	v_lshrrev_b32_e32 v2, 3, v3
	s_mov_b32 s21, exec_lo
	v_cmpx_gt_u32_e32 8, v3
; %bb.991:                              ;   in Loop: Header=BB287_11 Depth=1
	s_delay_alu instid0(VALU_DEP_3) | instskip(NEXT) | instid1(VALU_DEP_1)
	v_clz_i32_u32_e32 v2, v140
	v_min_u32_e32 v2, 32, v2
	s_delay_alu instid0(VALU_DEP_1) | instskip(SKIP_1) | instid1(VALU_DEP_2)
	v_subrev_nc_u32_e32 v3, 28, v2
	v_sub_nc_u32_e32 v2, 29, v2
	v_lshlrev_b64 v[3:4], v3, v[140:141]
	s_delay_alu instid0(VALU_DEP_1)
	v_and_b32_e32 v140, 7, v3
; %bb.992:                              ;   in Loop: Header=BB287_11 Depth=1
	s_or_b32 exec_lo, exec_lo, s21
	v_lshlrev_b32_e32 v1, 24, v1
	s_delay_alu instid0(VALU_DEP_2) | instskip(SKIP_1) | instid1(VALU_DEP_3)
	v_lshlrev_b32_e32 v3, 20, v140
	v_lshl_add_u32 v2, v2, 23, 0x3c000000
	v_and_b32_e32 v1, 0x80000000, v1
	s_delay_alu instid0(VALU_DEP_1)
	v_or3_b32 v140, v3, v1, v2
	scratch_store_b64 off, v[140:141], s32 offset:1304 ; 8-byte Folded Spill
.LBB287_993:                            ;   in Loop: Header=BB287_11 Depth=1
	s_or_b32 exec_lo, exec_lo, s20
.LBB287_994:                            ;   in Loop: Header=BB287_11 Depth=1
	s_delay_alu instid0(SALU_CYCLE_1)
	s_or_b32 exec_lo, exec_lo, s19
.LBB287_995:                            ;   in Loop: Header=BB287_11 Depth=1
	s_delay_alu instid0(SALU_CYCLE_1) | instskip(NEXT) | instid1(SALU_CYCLE_1)
	s_or_b32 exec_lo, exec_lo, s8
	s_mov_b32 s19, exec_lo
	v_cmpx_lt_u32_e32 0xffffff, v0
	s_cbranch_execz .LBB287_1003
; %bb.996:                              ;   in Loop: Header=BB287_11 Depth=1
	v_lshrrev_b32_e32 v1, 24, v0
	v_dual_mov_b32 v2, s2 :: v_dual_mov_b32 v3, s3
	s_mov_b32 s20, exec_lo
	scratch_store_b64 off, v[2:3], s32 offset:1296 ; 8-byte Folded Spill
	v_cmpx_ne_u32_e32 0x80, v1
	s_cbranch_execz .LBB287_1002
; %bb.997:                              ;   in Loop: Header=BB287_11 Depth=1
	s_mov_b32 s8, s2
	v_bfe_u32 v2, v0, 24, 7
	v_dual_mov_b32 v3, s8 :: v_dual_mov_b32 v4, s9
	s_mov_b32 s8, exec_lo
	scratch_store_b64 off, v[3:4], s32 offset:1296 ; 8-byte Folded Spill
	v_cmpx_ne_u32_e32 0x7f, v2
	s_cbranch_execz .LBB287_1001
; %bb.998:                              ;   in Loop: Header=BB287_11 Depth=1
	v_and_b32_e32 v140, 7, v1
	v_lshrrev_b32_e32 v0, 3, v2
	s_mov_b32 s21, exec_lo
	v_cmpx_gt_u32_e32 8, v2
; %bb.999:                              ;   in Loop: Header=BB287_11 Depth=1
	s_delay_alu instid0(VALU_DEP_3) | instskip(NEXT) | instid1(VALU_DEP_1)
	v_clz_i32_u32_e32 v0, v140
	v_min_u32_e32 v0, 32, v0
	s_delay_alu instid0(VALU_DEP_1) | instskip(SKIP_1) | instid1(VALU_DEP_2)
	v_subrev_nc_u32_e32 v2, 28, v0
	v_sub_nc_u32_e32 v0, 29, v0
	v_lshlrev_b64 v[2:3], v2, v[140:141]
	s_delay_alu instid0(VALU_DEP_1)
	v_and_b32_e32 v140, 7, v2
; %bb.1000:                             ;   in Loop: Header=BB287_11 Depth=1
	s_or_b32 exec_lo, exec_lo, s21
	v_lshlrev_b32_e32 v1, 24, v1
	s_delay_alu instid0(VALU_DEP_2) | instskip(SKIP_1) | instid1(VALU_DEP_3)
	v_lshlrev_b32_e32 v2, 20, v140
	v_lshl_add_u32 v0, v0, 23, 0x3c000000
	v_and_b32_e32 v1, 0x80000000, v1
	s_delay_alu instid0(VALU_DEP_1)
	v_or3_b32 v1, v2, v1, v0
	v_mov_b32_e32 v0, v141
	scratch_store_b64 off, v[0:1], s32 offset:1296 ; 8-byte Folded Spill
.LBB287_1001:                           ;   in Loop: Header=BB287_11 Depth=1
	s_or_b32 exec_lo, exec_lo, s8
.LBB287_1002:                           ;   in Loop: Header=BB287_11 Depth=1
	s_delay_alu instid0(SALU_CYCLE_1)
	s_or_b32 exec_lo, exec_lo, s20
.LBB287_1003:                           ;   in Loop: Header=BB287_11 Depth=1
	s_delay_alu instid0(SALU_CYCLE_1)
	s_or_b32 exec_lo, exec_lo, s19
	flat_load_b32 v0, v[37:38] offset:3596
	v_mov_b32_e32 v2, 0
	v_mov_b32_e32 v3, 0
	s_mov_b32 s8, exec_lo
	s_clause 0x1
	scratch_store_b64 off, v[2:3], s32 offset:1312
	scratch_store_b64 off, v[2:3], s32 offset:1320
	s_waitcnt vmcnt(0) lgkmcnt(0)
	v_and_b32_e32 v1, 0xff, v0
	s_delay_alu instid0(VALU_DEP_1)
	v_cmpx_ne_u16_e32 0, v1
	s_cbranch_execz .LBB287_1011
; %bb.1004:                             ;   in Loop: Header=BB287_11 Depth=1
	v_cmp_ne_u16_e64 s1, 0x80, v1
	v_bfrev_b32_e32 v1, 1
	v_mov_b32_e32 v2, 0
	scratch_store_b64 off, v[1:2], s32 offset:1320 ; 8-byte Folded Spill
	s_and_saveexec_b32 s19, s1
	s_cbranch_execz .LBB287_1010
; %bb.1005:                             ;   in Loop: Header=BB287_11 Depth=1
	v_mov_b32_e32 v3, 0x7f800001
	v_and_b32_e32 v2, 0x7f, v0
	v_mov_b32_e32 v4, 0
	s_mov_b32 s20, exec_lo
	scratch_store_b64 off, v[3:4], s32 offset:1320 ; 8-byte Folded Spill
	v_cmpx_ne_u32_e32 0x7f, v2
	s_cbranch_execz .LBB287_1009
; %bb.1006:                             ;   in Loop: Header=BB287_11 Depth=1
	v_and_b32_e32 v140, 7, v0
	v_lshrrev_b32_e32 v1, 3, v2
	s_mov_b32 s21, exec_lo
	v_cmpx_gt_u32_e32 8, v2
; %bb.1007:                             ;   in Loop: Header=BB287_11 Depth=1
	s_delay_alu instid0(VALU_DEP_3) | instskip(NEXT) | instid1(VALU_DEP_1)
	v_clz_i32_u32_e32 v1, v140
	v_min_u32_e32 v1, 32, v1
	s_delay_alu instid0(VALU_DEP_1) | instskip(SKIP_1) | instid1(VALU_DEP_2)
	v_subrev_nc_u32_e32 v2, 28, v1
	v_sub_nc_u32_e32 v1, 29, v1
	v_lshlrev_b64 v[2:3], v2, v[140:141]
	s_delay_alu instid0(VALU_DEP_1)
	v_and_b32_e32 v140, 7, v2
; %bb.1008:                             ;   in Loop: Header=BB287_11 Depth=1
	s_or_b32 exec_lo, exec_lo, s21
	v_lshlrev_b32_e32 v2, 24, v0
	s_delay_alu instid0(VALU_DEP_2) | instskip(SKIP_1) | instid1(VALU_DEP_3)
	v_lshlrev_b32_e32 v3, 20, v140
	v_lshl_add_u32 v1, v1, 23, 0x3c000000
	v_and_b32_e32 v2, 0x80000000, v2
	s_delay_alu instid0(VALU_DEP_1)
	v_or3_b32 v140, v3, v2, v1
	scratch_store_b64 off, v[140:141], s32 offset:1320 ; 8-byte Folded Spill
.LBB287_1009:                           ;   in Loop: Header=BB287_11 Depth=1
	s_or_b32 exec_lo, exec_lo, s20
.LBB287_1010:                           ;   in Loop: Header=BB287_11 Depth=1
	s_delay_alu instid0(SALU_CYCLE_1)
	s_or_b32 exec_lo, exec_lo, s19
.LBB287_1011:                           ;   in Loop: Header=BB287_11 Depth=1
	s_delay_alu instid0(SALU_CYCLE_1) | instskip(SKIP_2) | instid1(VALU_DEP_1)
	s_or_b32 exec_lo, exec_lo, s8
	v_lshrrev_b16 v1, 8, v0
	s_mov_b32 s19, exec_lo
	v_cmpx_ne_u16_e32 0, v1
	s_cbranch_execz .LBB287_1019
; %bb.1012:                             ;   in Loop: Header=BB287_11 Depth=1
	v_dual_mov_b32 v2, s2 :: v_dual_mov_b32 v3, s3
	s_mov_b32 s20, exec_lo
	scratch_store_b64 off, v[2:3], s32 offset:1312 ; 8-byte Folded Spill
	v_cmpx_ne_u16_e32 0x80, v1
	s_cbranch_execz .LBB287_1018
; %bb.1013:                             ;   in Loop: Header=BB287_11 Depth=1
	s_mov_b32 s8, s2
	v_and_b32_e32 v1, 0xffff, v1
	v_dual_mov_b32 v3, s8 :: v_dual_mov_b32 v4, s9
	s_mov_b32 s8, exec_lo
	s_delay_alu instid0(VALU_DEP_2)
	v_and_b32_e32 v2, 0x7f, v1
	scratch_store_b64 off, v[3:4], s32 offset:1312 ; 8-byte Folded Spill
	v_cmpx_ne_u32_e32 0x7f, v2
	s_cbranch_execz .LBB287_1017
; %bb.1014:                             ;   in Loop: Header=BB287_11 Depth=1
	v_and_b32_e32 v140, 7, v1
	v_lshrrev_b32_e32 v1, 3, v2
	s_mov_b32 s21, exec_lo
	v_cmpx_gt_u32_e32 8, v2
; %bb.1015:                             ;   in Loop: Header=BB287_11 Depth=1
	s_delay_alu instid0(VALU_DEP_3) | instskip(NEXT) | instid1(VALU_DEP_1)
	v_clz_i32_u32_e32 v1, v140
	v_min_u32_e32 v1, 32, v1
	s_delay_alu instid0(VALU_DEP_1) | instskip(SKIP_1) | instid1(VALU_DEP_2)
	v_subrev_nc_u32_e32 v2, 28, v1
	v_sub_nc_u32_e32 v1, 29, v1
	v_lshlrev_b64 v[2:3], v2, v[140:141]
	s_delay_alu instid0(VALU_DEP_1)
	v_and_b32_e32 v140, 7, v2
; %bb.1016:                             ;   in Loop: Header=BB287_11 Depth=1
	s_or_b32 exec_lo, exec_lo, s21
	v_lshlrev_b32_e32 v2, 16, v0
	s_delay_alu instid0(VALU_DEP_2) | instskip(SKIP_1) | instid1(VALU_DEP_3)
	v_lshlrev_b32_e32 v3, 20, v140
	v_lshl_add_u32 v1, v1, 23, 0x3c000000
	v_and_b32_e32 v2, 0x80000000, v2
	s_delay_alu instid0(VALU_DEP_1)
	v_or3_b32 v2, v3, v2, v1
	v_mov_b32_e32 v1, v141
	scratch_store_b64 off, v[1:2], s32 offset:1312 ; 8-byte Folded Spill
.LBB287_1017:                           ;   in Loop: Header=BB287_11 Depth=1
	s_or_b32 exec_lo, exec_lo, s8
.LBB287_1018:                           ;   in Loop: Header=BB287_11 Depth=1
	s_delay_alu instid0(SALU_CYCLE_1)
	s_or_b32 exec_lo, exec_lo, s20
.LBB287_1019:                           ;   in Loop: Header=BB287_11 Depth=1
	s_delay_alu instid0(SALU_CYCLE_1)
	s_or_b32 exec_lo, exec_lo, s19
	v_lshrrev_b32_e32 v1, 16, v0
	v_mov_b32_e32 v3, 0
	v_mov_b32_e32 v4, 0
	s_mov_b32 s8, exec_lo
	s_clause 0x1
	scratch_store_b64 off, v[3:4], s32 offset:1328
	scratch_store_b64 off, v[3:4], s32 offset:1336
	v_and_b32_e32 v2, 0xff, v1
	s_delay_alu instid0(VALU_DEP_1)
	v_cmpx_ne_u16_e32 0, v2
	s_cbranch_execz .LBB287_1027
; %bb.1020:                             ;   in Loop: Header=BB287_11 Depth=1
	v_cmp_ne_u16_e64 s1, 0x80, v2
	v_bfrev_b32_e32 v2, 1
	v_mov_b32_e32 v3, 0
	scratch_store_b64 off, v[2:3], s32 offset:1336 ; 8-byte Folded Spill
	s_and_saveexec_b32 s19, s1
	s_cbranch_execz .LBB287_1026
; %bb.1021:                             ;   in Loop: Header=BB287_11 Depth=1
	v_mov_b32_e32 v4, 0x7f800001
	v_bfe_u32 v3, v0, 16, 7
	v_mov_b32_e32 v5, 0
	s_mov_b32 s20, exec_lo
	scratch_store_b64 off, v[4:5], s32 offset:1336 ; 8-byte Folded Spill
	v_cmpx_ne_u32_e32 0x7f, v3
	s_cbranch_execz .LBB287_1025
; %bb.1022:                             ;   in Loop: Header=BB287_11 Depth=1
	v_and_b32_e32 v140, 7, v1
	v_lshrrev_b32_e32 v2, 3, v3
	s_mov_b32 s21, exec_lo
	v_cmpx_gt_u32_e32 8, v3
; %bb.1023:                             ;   in Loop: Header=BB287_11 Depth=1
	s_delay_alu instid0(VALU_DEP_3) | instskip(NEXT) | instid1(VALU_DEP_1)
	v_clz_i32_u32_e32 v2, v140
	v_min_u32_e32 v2, 32, v2
	s_delay_alu instid0(VALU_DEP_1) | instskip(SKIP_1) | instid1(VALU_DEP_2)
	v_subrev_nc_u32_e32 v3, 28, v2
	v_sub_nc_u32_e32 v2, 29, v2
	v_lshlrev_b64 v[3:4], v3, v[140:141]
	s_delay_alu instid0(VALU_DEP_1)
	v_and_b32_e32 v140, 7, v3
; %bb.1024:                             ;   in Loop: Header=BB287_11 Depth=1
	s_or_b32 exec_lo, exec_lo, s21
	v_lshlrev_b32_e32 v1, 24, v1
	s_delay_alu instid0(VALU_DEP_2) | instskip(SKIP_1) | instid1(VALU_DEP_3)
	v_lshlrev_b32_e32 v3, 20, v140
	v_lshl_add_u32 v2, v2, 23, 0x3c000000
	v_and_b32_e32 v1, 0x80000000, v1
	s_delay_alu instid0(VALU_DEP_1)
	v_or3_b32 v140, v3, v1, v2
	scratch_store_b64 off, v[140:141], s32 offset:1336 ; 8-byte Folded Spill
.LBB287_1025:                           ;   in Loop: Header=BB287_11 Depth=1
	s_or_b32 exec_lo, exec_lo, s20
.LBB287_1026:                           ;   in Loop: Header=BB287_11 Depth=1
	s_delay_alu instid0(SALU_CYCLE_1)
	s_or_b32 exec_lo, exec_lo, s19
.LBB287_1027:                           ;   in Loop: Header=BB287_11 Depth=1
	s_delay_alu instid0(SALU_CYCLE_1) | instskip(NEXT) | instid1(SALU_CYCLE_1)
	s_or_b32 exec_lo, exec_lo, s8
	s_mov_b32 s19, exec_lo
	v_cmpx_lt_u32_e32 0xffffff, v0
	s_cbranch_execz .LBB287_1035
; %bb.1028:                             ;   in Loop: Header=BB287_11 Depth=1
	v_lshrrev_b32_e32 v1, 24, v0
	v_dual_mov_b32 v2, s2 :: v_dual_mov_b32 v3, s3
	s_mov_b32 s20, exec_lo
	scratch_store_b64 off, v[2:3], s32 offset:1328 ; 8-byte Folded Spill
	v_cmpx_ne_u32_e32 0x80, v1
	s_cbranch_execz .LBB287_1034
; %bb.1029:                             ;   in Loop: Header=BB287_11 Depth=1
	s_mov_b32 s8, s2
	v_bfe_u32 v2, v0, 24, 7
	v_dual_mov_b32 v3, s8 :: v_dual_mov_b32 v4, s9
	s_mov_b32 s8, exec_lo
	scratch_store_b64 off, v[3:4], s32 offset:1328 ; 8-byte Folded Spill
	v_cmpx_ne_u32_e32 0x7f, v2
	s_cbranch_execz .LBB287_1033
; %bb.1030:                             ;   in Loop: Header=BB287_11 Depth=1
	v_and_b32_e32 v140, 7, v1
	v_lshrrev_b32_e32 v0, 3, v2
	s_mov_b32 s21, exec_lo
	v_cmpx_gt_u32_e32 8, v2
; %bb.1031:                             ;   in Loop: Header=BB287_11 Depth=1
	s_delay_alu instid0(VALU_DEP_3) | instskip(NEXT) | instid1(VALU_DEP_1)
	v_clz_i32_u32_e32 v0, v140
	v_min_u32_e32 v0, 32, v0
	s_delay_alu instid0(VALU_DEP_1) | instskip(SKIP_1) | instid1(VALU_DEP_2)
	v_subrev_nc_u32_e32 v2, 28, v0
	v_sub_nc_u32_e32 v0, 29, v0
	v_lshlrev_b64 v[2:3], v2, v[140:141]
	s_delay_alu instid0(VALU_DEP_1)
	v_and_b32_e32 v140, 7, v2
; %bb.1032:                             ;   in Loop: Header=BB287_11 Depth=1
	s_or_b32 exec_lo, exec_lo, s21
	v_lshlrev_b32_e32 v1, 24, v1
	s_delay_alu instid0(VALU_DEP_2) | instskip(SKIP_1) | instid1(VALU_DEP_3)
	v_lshlrev_b32_e32 v2, 20, v140
	v_lshl_add_u32 v0, v0, 23, 0x3c000000
	v_and_b32_e32 v1, 0x80000000, v1
	s_delay_alu instid0(VALU_DEP_1)
	v_or3_b32 v1, v2, v1, v0
	v_mov_b32_e32 v0, v141
	scratch_store_b64 off, v[0:1], s32 offset:1328 ; 8-byte Folded Spill
.LBB287_1033:                           ;   in Loop: Header=BB287_11 Depth=1
	s_or_b32 exec_lo, exec_lo, s8
.LBB287_1034:                           ;   in Loop: Header=BB287_11 Depth=1
	s_delay_alu instid0(SALU_CYCLE_1)
	s_or_b32 exec_lo, exec_lo, s20
.LBB287_1035:                           ;   in Loop: Header=BB287_11 Depth=1
	s_delay_alu instid0(SALU_CYCLE_1) | instskip(SKIP_1) | instid1(VALU_DEP_1)
	s_or_b32 exec_lo, exec_lo, s19
	v_add_co_u32 v70, s1, 0x1000, v37
	v_add_co_ci_u32_e64 v71, s1, 0, v38, s1
	s_mov_b32 s8, exec_lo
	flat_load_b32 v0, v[70:71]
	v_mov_b32_e32 v2, 0
	v_mov_b32_e32 v3, 0
	s_clause 0x1
	scratch_store_b64 off, v[2:3], s32 offset:1344
	scratch_store_b64 off, v[2:3], s32 offset:1352
	s_waitcnt vmcnt(0) lgkmcnt(0)
	v_and_b32_e32 v1, 0xff, v0
	s_delay_alu instid0(VALU_DEP_1)
	v_cmpx_ne_u16_e32 0, v1
	s_cbranch_execz .LBB287_1043
; %bb.1036:                             ;   in Loop: Header=BB287_11 Depth=1
	v_cmp_ne_u16_e64 s1, 0x80, v1
	v_bfrev_b32_e32 v1, 1
	v_mov_b32_e32 v2, 0
	scratch_store_b64 off, v[1:2], s32 offset:1352 ; 8-byte Folded Spill
	s_and_saveexec_b32 s19, s1
	s_cbranch_execz .LBB287_1042
; %bb.1037:                             ;   in Loop: Header=BB287_11 Depth=1
	v_mov_b32_e32 v3, 0x7f800001
	v_and_b32_e32 v2, 0x7f, v0
	v_mov_b32_e32 v4, 0
	s_mov_b32 s20, exec_lo
	scratch_store_b64 off, v[3:4], s32 offset:1352 ; 8-byte Folded Spill
	v_cmpx_ne_u32_e32 0x7f, v2
	s_cbranch_execz .LBB287_1041
; %bb.1038:                             ;   in Loop: Header=BB287_11 Depth=1
	v_and_b32_e32 v140, 7, v0
	v_lshrrev_b32_e32 v1, 3, v2
	s_mov_b32 s21, exec_lo
	v_cmpx_gt_u32_e32 8, v2
; %bb.1039:                             ;   in Loop: Header=BB287_11 Depth=1
	s_delay_alu instid0(VALU_DEP_3) | instskip(NEXT) | instid1(VALU_DEP_1)
	v_clz_i32_u32_e32 v1, v140
	v_min_u32_e32 v1, 32, v1
	s_delay_alu instid0(VALU_DEP_1) | instskip(SKIP_1) | instid1(VALU_DEP_2)
	v_subrev_nc_u32_e32 v2, 28, v1
	v_sub_nc_u32_e32 v1, 29, v1
	v_lshlrev_b64 v[2:3], v2, v[140:141]
	s_delay_alu instid0(VALU_DEP_1)
	v_and_b32_e32 v140, 7, v2
; %bb.1040:                             ;   in Loop: Header=BB287_11 Depth=1
	s_or_b32 exec_lo, exec_lo, s21
	v_lshlrev_b32_e32 v2, 24, v0
	s_delay_alu instid0(VALU_DEP_2) | instskip(SKIP_1) | instid1(VALU_DEP_3)
	v_lshlrev_b32_e32 v3, 20, v140
	v_lshl_add_u32 v1, v1, 23, 0x3c000000
	v_and_b32_e32 v2, 0x80000000, v2
	s_delay_alu instid0(VALU_DEP_1)
	v_or3_b32 v140, v3, v2, v1
	scratch_store_b64 off, v[140:141], s32 offset:1352 ; 8-byte Folded Spill
.LBB287_1041:                           ;   in Loop: Header=BB287_11 Depth=1
	s_or_b32 exec_lo, exec_lo, s20
.LBB287_1042:                           ;   in Loop: Header=BB287_11 Depth=1
	s_delay_alu instid0(SALU_CYCLE_1)
	s_or_b32 exec_lo, exec_lo, s19
.LBB287_1043:                           ;   in Loop: Header=BB287_11 Depth=1
	s_delay_alu instid0(SALU_CYCLE_1) | instskip(SKIP_2) | instid1(VALU_DEP_1)
	s_or_b32 exec_lo, exec_lo, s8
	v_lshrrev_b16 v1, 8, v0
	s_mov_b32 s19, exec_lo
	v_cmpx_ne_u16_e32 0, v1
	s_cbranch_execz .LBB287_1051
; %bb.1044:                             ;   in Loop: Header=BB287_11 Depth=1
	v_dual_mov_b32 v2, s2 :: v_dual_mov_b32 v3, s3
	s_mov_b32 s20, exec_lo
	scratch_store_b64 off, v[2:3], s32 offset:1344 ; 8-byte Folded Spill
	v_cmpx_ne_u16_e32 0x80, v1
	s_cbranch_execz .LBB287_1050
; %bb.1045:                             ;   in Loop: Header=BB287_11 Depth=1
	s_mov_b32 s8, s2
	v_and_b32_e32 v1, 0xffff, v1
	v_dual_mov_b32 v3, s8 :: v_dual_mov_b32 v4, s9
	s_mov_b32 s8, exec_lo
	s_delay_alu instid0(VALU_DEP_2)
	v_and_b32_e32 v2, 0x7f, v1
	scratch_store_b64 off, v[3:4], s32 offset:1344 ; 8-byte Folded Spill
	v_cmpx_ne_u32_e32 0x7f, v2
	s_cbranch_execz .LBB287_1049
; %bb.1046:                             ;   in Loop: Header=BB287_11 Depth=1
	v_and_b32_e32 v140, 7, v1
	v_lshrrev_b32_e32 v1, 3, v2
	s_mov_b32 s21, exec_lo
	v_cmpx_gt_u32_e32 8, v2
; %bb.1047:                             ;   in Loop: Header=BB287_11 Depth=1
	s_delay_alu instid0(VALU_DEP_3) | instskip(NEXT) | instid1(VALU_DEP_1)
	v_clz_i32_u32_e32 v1, v140
	v_min_u32_e32 v1, 32, v1
	s_delay_alu instid0(VALU_DEP_1) | instskip(SKIP_1) | instid1(VALU_DEP_2)
	v_subrev_nc_u32_e32 v2, 28, v1
	v_sub_nc_u32_e32 v1, 29, v1
	v_lshlrev_b64 v[2:3], v2, v[140:141]
	s_delay_alu instid0(VALU_DEP_1)
	v_and_b32_e32 v140, 7, v2
; %bb.1048:                             ;   in Loop: Header=BB287_11 Depth=1
	s_or_b32 exec_lo, exec_lo, s21
	v_lshlrev_b32_e32 v2, 16, v0
	s_delay_alu instid0(VALU_DEP_2) | instskip(SKIP_1) | instid1(VALU_DEP_3)
	v_lshlrev_b32_e32 v3, 20, v140
	v_lshl_add_u32 v1, v1, 23, 0x3c000000
	v_and_b32_e32 v2, 0x80000000, v2
	s_delay_alu instid0(VALU_DEP_1)
	v_or3_b32 v2, v3, v2, v1
	v_mov_b32_e32 v1, v141
	scratch_store_b64 off, v[1:2], s32 offset:1344 ; 8-byte Folded Spill
.LBB287_1049:                           ;   in Loop: Header=BB287_11 Depth=1
	s_or_b32 exec_lo, exec_lo, s8
.LBB287_1050:                           ;   in Loop: Header=BB287_11 Depth=1
	s_delay_alu instid0(SALU_CYCLE_1)
	s_or_b32 exec_lo, exec_lo, s20
.LBB287_1051:                           ;   in Loop: Header=BB287_11 Depth=1
	s_delay_alu instid0(SALU_CYCLE_1)
	s_or_b32 exec_lo, exec_lo, s19
	v_lshrrev_b32_e32 v1, 16, v0
	v_mov_b32_e32 v3, 0
	v_mov_b32_e32 v4, 0
	s_mov_b32 s8, exec_lo
	s_clause 0x1
	scratch_store_b64 off, v[3:4], s32 offset:1360
	scratch_store_b64 off, v[3:4], s32 offset:1368
	v_and_b32_e32 v2, 0xff, v1
	s_delay_alu instid0(VALU_DEP_1)
	v_cmpx_ne_u16_e32 0, v2
	s_cbranch_execz .LBB287_1059
; %bb.1052:                             ;   in Loop: Header=BB287_11 Depth=1
	v_cmp_ne_u16_e64 s1, 0x80, v2
	v_bfrev_b32_e32 v2, 1
	v_mov_b32_e32 v3, 0
	scratch_store_b64 off, v[2:3], s32 offset:1368 ; 8-byte Folded Spill
	s_and_saveexec_b32 s19, s1
	s_cbranch_execz .LBB287_1058
; %bb.1053:                             ;   in Loop: Header=BB287_11 Depth=1
	v_mov_b32_e32 v4, 0x7f800001
	v_bfe_u32 v3, v0, 16, 7
	v_mov_b32_e32 v5, 0
	s_mov_b32 s20, exec_lo
	scratch_store_b64 off, v[4:5], s32 offset:1368 ; 8-byte Folded Spill
	v_cmpx_ne_u32_e32 0x7f, v3
	s_cbranch_execz .LBB287_1057
; %bb.1054:                             ;   in Loop: Header=BB287_11 Depth=1
	v_and_b32_e32 v140, 7, v1
	v_lshrrev_b32_e32 v2, 3, v3
	s_mov_b32 s21, exec_lo
	v_cmpx_gt_u32_e32 8, v3
; %bb.1055:                             ;   in Loop: Header=BB287_11 Depth=1
	s_delay_alu instid0(VALU_DEP_3) | instskip(NEXT) | instid1(VALU_DEP_1)
	v_clz_i32_u32_e32 v2, v140
	v_min_u32_e32 v2, 32, v2
	s_delay_alu instid0(VALU_DEP_1) | instskip(SKIP_1) | instid1(VALU_DEP_2)
	v_subrev_nc_u32_e32 v3, 28, v2
	v_sub_nc_u32_e32 v2, 29, v2
	v_lshlrev_b64 v[3:4], v3, v[140:141]
	s_delay_alu instid0(VALU_DEP_1)
	v_and_b32_e32 v140, 7, v3
; %bb.1056:                             ;   in Loop: Header=BB287_11 Depth=1
	s_or_b32 exec_lo, exec_lo, s21
	v_lshlrev_b32_e32 v1, 24, v1
	s_delay_alu instid0(VALU_DEP_2) | instskip(SKIP_1) | instid1(VALU_DEP_3)
	v_lshlrev_b32_e32 v3, 20, v140
	v_lshl_add_u32 v2, v2, 23, 0x3c000000
	v_and_b32_e32 v1, 0x80000000, v1
	s_delay_alu instid0(VALU_DEP_1)
	v_or3_b32 v140, v3, v1, v2
	scratch_store_b64 off, v[140:141], s32 offset:1368 ; 8-byte Folded Spill
.LBB287_1057:                           ;   in Loop: Header=BB287_11 Depth=1
	s_or_b32 exec_lo, exec_lo, s20
.LBB287_1058:                           ;   in Loop: Header=BB287_11 Depth=1
	s_delay_alu instid0(SALU_CYCLE_1)
	s_or_b32 exec_lo, exec_lo, s19
.LBB287_1059:                           ;   in Loop: Header=BB287_11 Depth=1
	s_delay_alu instid0(SALU_CYCLE_1) | instskip(NEXT) | instid1(SALU_CYCLE_1)
	s_or_b32 exec_lo, exec_lo, s8
	s_mov_b32 s19, exec_lo
	v_cmpx_lt_u32_e32 0xffffff, v0
	s_cbranch_execz .LBB287_1067
; %bb.1060:                             ;   in Loop: Header=BB287_11 Depth=1
	v_lshrrev_b32_e32 v1, 24, v0
	v_dual_mov_b32 v2, s2 :: v_dual_mov_b32 v3, s3
	s_mov_b32 s20, exec_lo
	scratch_store_b64 off, v[2:3], s32 offset:1360 ; 8-byte Folded Spill
	v_cmpx_ne_u32_e32 0x80, v1
	s_cbranch_execz .LBB287_1066
; %bb.1061:                             ;   in Loop: Header=BB287_11 Depth=1
	s_mov_b32 s8, s2
	v_bfe_u32 v2, v0, 24, 7
	v_dual_mov_b32 v3, s8 :: v_dual_mov_b32 v4, s9
	s_mov_b32 s8, exec_lo
	scratch_store_b64 off, v[3:4], s32 offset:1360 ; 8-byte Folded Spill
	v_cmpx_ne_u32_e32 0x7f, v2
	s_cbranch_execz .LBB287_1065
; %bb.1062:                             ;   in Loop: Header=BB287_11 Depth=1
	v_and_b32_e32 v140, 7, v1
	v_lshrrev_b32_e32 v0, 3, v2
	s_mov_b32 s21, exec_lo
	v_cmpx_gt_u32_e32 8, v2
; %bb.1063:                             ;   in Loop: Header=BB287_11 Depth=1
	s_delay_alu instid0(VALU_DEP_3) | instskip(NEXT) | instid1(VALU_DEP_1)
	v_clz_i32_u32_e32 v0, v140
	v_min_u32_e32 v0, 32, v0
	s_delay_alu instid0(VALU_DEP_1) | instskip(SKIP_1) | instid1(VALU_DEP_2)
	v_subrev_nc_u32_e32 v2, 28, v0
	v_sub_nc_u32_e32 v0, 29, v0
	v_lshlrev_b64 v[2:3], v2, v[140:141]
	s_delay_alu instid0(VALU_DEP_1)
	v_and_b32_e32 v140, 7, v2
; %bb.1064:                             ;   in Loop: Header=BB287_11 Depth=1
	s_or_b32 exec_lo, exec_lo, s21
	v_lshlrev_b32_e32 v1, 24, v1
	s_delay_alu instid0(VALU_DEP_2) | instskip(SKIP_1) | instid1(VALU_DEP_3)
	v_lshlrev_b32_e32 v2, 20, v140
	v_lshl_add_u32 v0, v0, 23, 0x3c000000
	v_and_b32_e32 v1, 0x80000000, v1
	s_delay_alu instid0(VALU_DEP_1)
	v_or3_b32 v1, v2, v1, v0
	v_mov_b32_e32 v0, v141
	scratch_store_b64 off, v[0:1], s32 offset:1360 ; 8-byte Folded Spill
.LBB287_1065:                           ;   in Loop: Header=BB287_11 Depth=1
	s_or_b32 exec_lo, exec_lo, s8
.LBB287_1066:                           ;   in Loop: Header=BB287_11 Depth=1
	s_delay_alu instid0(SALU_CYCLE_1)
	s_or_b32 exec_lo, exec_lo, s20
.LBB287_1067:                           ;   in Loop: Header=BB287_11 Depth=1
	s_delay_alu instid0(SALU_CYCLE_1)
	s_or_b32 exec_lo, exec_lo, s19
	flat_load_b32 v0, v[70:71] offset:4
	v_mov_b32_e32 v2, 0
	v_mov_b32_e32 v3, 0
	s_mov_b32 s8, exec_lo
	s_clause 0x1
	scratch_store_b64 off, v[2:3], s32 offset:1376
	scratch_store_b64 off, v[2:3], s32 offset:1384
	s_waitcnt vmcnt(0) lgkmcnt(0)
	v_and_b32_e32 v1, 0xff, v0
	s_delay_alu instid0(VALU_DEP_1)
	v_cmpx_ne_u16_e32 0, v1
	s_cbranch_execz .LBB287_1075
; %bb.1068:                             ;   in Loop: Header=BB287_11 Depth=1
	v_cmp_ne_u16_e64 s1, 0x80, v1
	v_bfrev_b32_e32 v1, 1
	v_mov_b32_e32 v2, 0
	scratch_store_b64 off, v[1:2], s32 offset:1384 ; 8-byte Folded Spill
	s_and_saveexec_b32 s19, s1
	s_cbranch_execz .LBB287_1074
; %bb.1069:                             ;   in Loop: Header=BB287_11 Depth=1
	v_mov_b32_e32 v3, 0x7f800001
	v_and_b32_e32 v2, 0x7f, v0
	v_mov_b32_e32 v4, 0
	s_mov_b32 s20, exec_lo
	scratch_store_b64 off, v[3:4], s32 offset:1384 ; 8-byte Folded Spill
	v_cmpx_ne_u32_e32 0x7f, v2
	s_cbranch_execz .LBB287_1073
; %bb.1070:                             ;   in Loop: Header=BB287_11 Depth=1
	v_and_b32_e32 v140, 7, v0
	v_lshrrev_b32_e32 v1, 3, v2
	s_mov_b32 s21, exec_lo
	v_cmpx_gt_u32_e32 8, v2
; %bb.1071:                             ;   in Loop: Header=BB287_11 Depth=1
	s_delay_alu instid0(VALU_DEP_3) | instskip(NEXT) | instid1(VALU_DEP_1)
	v_clz_i32_u32_e32 v1, v140
	v_min_u32_e32 v1, 32, v1
	s_delay_alu instid0(VALU_DEP_1) | instskip(SKIP_1) | instid1(VALU_DEP_2)
	v_subrev_nc_u32_e32 v2, 28, v1
	v_sub_nc_u32_e32 v1, 29, v1
	v_lshlrev_b64 v[2:3], v2, v[140:141]
	s_delay_alu instid0(VALU_DEP_1)
	v_and_b32_e32 v140, 7, v2
; %bb.1072:                             ;   in Loop: Header=BB287_11 Depth=1
	s_or_b32 exec_lo, exec_lo, s21
	v_lshlrev_b32_e32 v2, 24, v0
	s_delay_alu instid0(VALU_DEP_2) | instskip(SKIP_1) | instid1(VALU_DEP_3)
	v_lshlrev_b32_e32 v3, 20, v140
	v_lshl_add_u32 v1, v1, 23, 0x3c000000
	v_and_b32_e32 v2, 0x80000000, v2
	s_delay_alu instid0(VALU_DEP_1)
	v_or3_b32 v140, v3, v2, v1
	scratch_store_b64 off, v[140:141], s32 offset:1384 ; 8-byte Folded Spill
.LBB287_1073:                           ;   in Loop: Header=BB287_11 Depth=1
	s_or_b32 exec_lo, exec_lo, s20
.LBB287_1074:                           ;   in Loop: Header=BB287_11 Depth=1
	s_delay_alu instid0(SALU_CYCLE_1)
	s_or_b32 exec_lo, exec_lo, s19
.LBB287_1075:                           ;   in Loop: Header=BB287_11 Depth=1
	s_delay_alu instid0(SALU_CYCLE_1) | instskip(SKIP_2) | instid1(VALU_DEP_1)
	s_or_b32 exec_lo, exec_lo, s8
	v_lshrrev_b16 v1, 8, v0
	s_mov_b32 s19, exec_lo
	v_cmpx_ne_u16_e32 0, v1
	s_cbranch_execz .LBB287_1083
; %bb.1076:                             ;   in Loop: Header=BB287_11 Depth=1
	v_dual_mov_b32 v2, s2 :: v_dual_mov_b32 v3, s3
	s_mov_b32 s20, exec_lo
	scratch_store_b64 off, v[2:3], s32 offset:1376 ; 8-byte Folded Spill
	v_cmpx_ne_u16_e32 0x80, v1
	s_cbranch_execz .LBB287_1082
; %bb.1077:                             ;   in Loop: Header=BB287_11 Depth=1
	s_mov_b32 s8, s2
	v_and_b32_e32 v1, 0xffff, v1
	v_dual_mov_b32 v3, s8 :: v_dual_mov_b32 v4, s9
	s_mov_b32 s8, exec_lo
	s_delay_alu instid0(VALU_DEP_2)
	v_and_b32_e32 v2, 0x7f, v1
	scratch_store_b64 off, v[3:4], s32 offset:1376 ; 8-byte Folded Spill
	v_cmpx_ne_u32_e32 0x7f, v2
	s_cbranch_execz .LBB287_1081
; %bb.1078:                             ;   in Loop: Header=BB287_11 Depth=1
	v_and_b32_e32 v140, 7, v1
	v_lshrrev_b32_e32 v1, 3, v2
	s_mov_b32 s21, exec_lo
	v_cmpx_gt_u32_e32 8, v2
; %bb.1079:                             ;   in Loop: Header=BB287_11 Depth=1
	s_delay_alu instid0(VALU_DEP_3) | instskip(NEXT) | instid1(VALU_DEP_1)
	v_clz_i32_u32_e32 v1, v140
	v_min_u32_e32 v1, 32, v1
	s_delay_alu instid0(VALU_DEP_1) | instskip(SKIP_1) | instid1(VALU_DEP_2)
	v_subrev_nc_u32_e32 v2, 28, v1
	v_sub_nc_u32_e32 v1, 29, v1
	v_lshlrev_b64 v[2:3], v2, v[140:141]
	s_delay_alu instid0(VALU_DEP_1)
	v_and_b32_e32 v140, 7, v2
; %bb.1080:                             ;   in Loop: Header=BB287_11 Depth=1
	s_or_b32 exec_lo, exec_lo, s21
	v_lshlrev_b32_e32 v2, 16, v0
	s_delay_alu instid0(VALU_DEP_2) | instskip(SKIP_1) | instid1(VALU_DEP_3)
	v_lshlrev_b32_e32 v3, 20, v140
	v_lshl_add_u32 v1, v1, 23, 0x3c000000
	v_and_b32_e32 v2, 0x80000000, v2
	s_delay_alu instid0(VALU_DEP_1)
	v_or3_b32 v2, v3, v2, v1
	v_mov_b32_e32 v1, v141
	scratch_store_b64 off, v[1:2], s32 offset:1376 ; 8-byte Folded Spill
.LBB287_1081:                           ;   in Loop: Header=BB287_11 Depth=1
	s_or_b32 exec_lo, exec_lo, s8
.LBB287_1082:                           ;   in Loop: Header=BB287_11 Depth=1
	s_delay_alu instid0(SALU_CYCLE_1)
	s_or_b32 exec_lo, exec_lo, s20
.LBB287_1083:                           ;   in Loop: Header=BB287_11 Depth=1
	s_delay_alu instid0(SALU_CYCLE_1)
	s_or_b32 exec_lo, exec_lo, s19
	v_lshrrev_b32_e32 v1, 16, v0
	v_mov_b32_e32 v3, 0
	v_mov_b32_e32 v4, 0
	s_mov_b32 s8, exec_lo
	s_clause 0x1
	scratch_store_b64 off, v[3:4], s32 offset:1392
	scratch_store_b64 off, v[3:4], s32 offset:1400
	v_and_b32_e32 v2, 0xff, v1
	s_delay_alu instid0(VALU_DEP_1)
	v_cmpx_ne_u16_e32 0, v2
	s_cbranch_execz .LBB287_1091
; %bb.1084:                             ;   in Loop: Header=BB287_11 Depth=1
	v_cmp_ne_u16_e64 s1, 0x80, v2
	v_bfrev_b32_e32 v2, 1
	v_mov_b32_e32 v3, 0
	scratch_store_b64 off, v[2:3], s32 offset:1400 ; 8-byte Folded Spill
	s_and_saveexec_b32 s19, s1
	s_cbranch_execz .LBB287_1090
; %bb.1085:                             ;   in Loop: Header=BB287_11 Depth=1
	v_mov_b32_e32 v4, 0x7f800001
	v_bfe_u32 v3, v0, 16, 7
	v_mov_b32_e32 v5, 0
	s_mov_b32 s20, exec_lo
	scratch_store_b64 off, v[4:5], s32 offset:1400 ; 8-byte Folded Spill
	v_cmpx_ne_u32_e32 0x7f, v3
	s_cbranch_execz .LBB287_1089
; %bb.1086:                             ;   in Loop: Header=BB287_11 Depth=1
	v_and_b32_e32 v140, 7, v1
	v_lshrrev_b32_e32 v2, 3, v3
	s_mov_b32 s21, exec_lo
	v_cmpx_gt_u32_e32 8, v3
; %bb.1087:                             ;   in Loop: Header=BB287_11 Depth=1
	s_delay_alu instid0(VALU_DEP_3) | instskip(NEXT) | instid1(VALU_DEP_1)
	v_clz_i32_u32_e32 v2, v140
	v_min_u32_e32 v2, 32, v2
	s_delay_alu instid0(VALU_DEP_1) | instskip(SKIP_1) | instid1(VALU_DEP_2)
	v_subrev_nc_u32_e32 v3, 28, v2
	v_sub_nc_u32_e32 v2, 29, v2
	v_lshlrev_b64 v[3:4], v3, v[140:141]
	s_delay_alu instid0(VALU_DEP_1)
	v_and_b32_e32 v140, 7, v3
; %bb.1088:                             ;   in Loop: Header=BB287_11 Depth=1
	s_or_b32 exec_lo, exec_lo, s21
	v_lshlrev_b32_e32 v1, 24, v1
	s_delay_alu instid0(VALU_DEP_2) | instskip(SKIP_1) | instid1(VALU_DEP_3)
	v_lshlrev_b32_e32 v3, 20, v140
	v_lshl_add_u32 v2, v2, 23, 0x3c000000
	v_and_b32_e32 v1, 0x80000000, v1
	s_delay_alu instid0(VALU_DEP_1)
	v_or3_b32 v140, v3, v1, v2
	scratch_store_b64 off, v[140:141], s32 offset:1400 ; 8-byte Folded Spill
.LBB287_1089:                           ;   in Loop: Header=BB287_11 Depth=1
	s_or_b32 exec_lo, exec_lo, s20
.LBB287_1090:                           ;   in Loop: Header=BB287_11 Depth=1
	s_delay_alu instid0(SALU_CYCLE_1)
	s_or_b32 exec_lo, exec_lo, s19
.LBB287_1091:                           ;   in Loop: Header=BB287_11 Depth=1
	s_delay_alu instid0(SALU_CYCLE_1) | instskip(NEXT) | instid1(SALU_CYCLE_1)
	s_or_b32 exec_lo, exec_lo, s8
	s_mov_b32 s19, exec_lo
	v_cmpx_lt_u32_e32 0xffffff, v0
	s_cbranch_execz .LBB287_1099
; %bb.1092:                             ;   in Loop: Header=BB287_11 Depth=1
	v_lshrrev_b32_e32 v1, 24, v0
	v_dual_mov_b32 v2, s2 :: v_dual_mov_b32 v3, s3
	s_mov_b32 s20, exec_lo
	scratch_store_b64 off, v[2:3], s32 offset:1392 ; 8-byte Folded Spill
	v_cmpx_ne_u32_e32 0x80, v1
	s_cbranch_execz .LBB287_1098
; %bb.1093:                             ;   in Loop: Header=BB287_11 Depth=1
	s_mov_b32 s8, s2
	v_bfe_u32 v2, v0, 24, 7
	v_dual_mov_b32 v3, s8 :: v_dual_mov_b32 v4, s9
	s_mov_b32 s8, exec_lo
	scratch_store_b64 off, v[3:4], s32 offset:1392 ; 8-byte Folded Spill
	v_cmpx_ne_u32_e32 0x7f, v2
	s_cbranch_execz .LBB287_1097
; %bb.1094:                             ;   in Loop: Header=BB287_11 Depth=1
	v_and_b32_e32 v140, 7, v1
	v_lshrrev_b32_e32 v0, 3, v2
	s_mov_b32 s21, exec_lo
	v_cmpx_gt_u32_e32 8, v2
; %bb.1095:                             ;   in Loop: Header=BB287_11 Depth=1
	s_delay_alu instid0(VALU_DEP_3) | instskip(NEXT) | instid1(VALU_DEP_1)
	v_clz_i32_u32_e32 v0, v140
	v_min_u32_e32 v0, 32, v0
	s_delay_alu instid0(VALU_DEP_1) | instskip(SKIP_1) | instid1(VALU_DEP_2)
	v_subrev_nc_u32_e32 v2, 28, v0
	v_sub_nc_u32_e32 v0, 29, v0
	v_lshlrev_b64 v[2:3], v2, v[140:141]
	s_delay_alu instid0(VALU_DEP_1)
	v_and_b32_e32 v140, 7, v2
; %bb.1096:                             ;   in Loop: Header=BB287_11 Depth=1
	s_or_b32 exec_lo, exec_lo, s21
	v_lshlrev_b32_e32 v1, 24, v1
	s_delay_alu instid0(VALU_DEP_2) | instskip(SKIP_1) | instid1(VALU_DEP_3)
	v_lshlrev_b32_e32 v2, 20, v140
	v_lshl_add_u32 v0, v0, 23, 0x3c000000
	v_and_b32_e32 v1, 0x80000000, v1
	s_delay_alu instid0(VALU_DEP_1)
	v_or3_b32 v1, v2, v1, v0
	v_mov_b32_e32 v0, v141
	scratch_store_b64 off, v[0:1], s32 offset:1392 ; 8-byte Folded Spill
.LBB287_1097:                           ;   in Loop: Header=BB287_11 Depth=1
	s_or_b32 exec_lo, exec_lo, s8
.LBB287_1098:                           ;   in Loop: Header=BB287_11 Depth=1
	s_delay_alu instid0(SALU_CYCLE_1)
	s_or_b32 exec_lo, exec_lo, s20
.LBB287_1099:                           ;   in Loop: Header=BB287_11 Depth=1
	s_delay_alu instid0(SALU_CYCLE_1)
	s_or_b32 exec_lo, exec_lo, s19
	flat_load_b32 v0, v[70:71] offset:8
	v_mov_b32_e32 v2, 0
	v_mov_b32_e32 v3, 0
	s_mov_b32 s8, exec_lo
	s_clause 0x1
	scratch_store_b64 off, v[2:3], s32 offset:1408
	scratch_store_b64 off, v[2:3], s32 offset:1416
	s_waitcnt vmcnt(0) lgkmcnt(0)
	v_and_b32_e32 v1, 0xff, v0
	s_delay_alu instid0(VALU_DEP_1)
	v_cmpx_ne_u16_e32 0, v1
	s_cbranch_execz .LBB287_1107
; %bb.1100:                             ;   in Loop: Header=BB287_11 Depth=1
	v_cmp_ne_u16_e64 s1, 0x80, v1
	v_bfrev_b32_e32 v1, 1
	v_mov_b32_e32 v2, 0
	scratch_store_b64 off, v[1:2], s32 offset:1416 ; 8-byte Folded Spill
	s_and_saveexec_b32 s19, s1
	s_cbranch_execz .LBB287_1106
; %bb.1101:                             ;   in Loop: Header=BB287_11 Depth=1
	v_mov_b32_e32 v3, 0x7f800001
	v_and_b32_e32 v2, 0x7f, v0
	v_mov_b32_e32 v4, 0
	s_mov_b32 s20, exec_lo
	scratch_store_b64 off, v[3:4], s32 offset:1416 ; 8-byte Folded Spill
	v_cmpx_ne_u32_e32 0x7f, v2
	s_cbranch_execz .LBB287_1105
; %bb.1102:                             ;   in Loop: Header=BB287_11 Depth=1
	v_and_b32_e32 v140, 7, v0
	v_lshrrev_b32_e32 v1, 3, v2
	s_mov_b32 s21, exec_lo
	v_cmpx_gt_u32_e32 8, v2
; %bb.1103:                             ;   in Loop: Header=BB287_11 Depth=1
	s_delay_alu instid0(VALU_DEP_3) | instskip(NEXT) | instid1(VALU_DEP_1)
	v_clz_i32_u32_e32 v1, v140
	v_min_u32_e32 v1, 32, v1
	s_delay_alu instid0(VALU_DEP_1) | instskip(SKIP_1) | instid1(VALU_DEP_2)
	v_subrev_nc_u32_e32 v2, 28, v1
	v_sub_nc_u32_e32 v1, 29, v1
	v_lshlrev_b64 v[2:3], v2, v[140:141]
	s_delay_alu instid0(VALU_DEP_1)
	v_and_b32_e32 v140, 7, v2
; %bb.1104:                             ;   in Loop: Header=BB287_11 Depth=1
	s_or_b32 exec_lo, exec_lo, s21
	v_lshlrev_b32_e32 v2, 24, v0
	s_delay_alu instid0(VALU_DEP_2) | instskip(SKIP_1) | instid1(VALU_DEP_3)
	v_lshlrev_b32_e32 v3, 20, v140
	v_lshl_add_u32 v1, v1, 23, 0x3c000000
	v_and_b32_e32 v2, 0x80000000, v2
	s_delay_alu instid0(VALU_DEP_1)
	v_or3_b32 v140, v3, v2, v1
	scratch_store_b64 off, v[140:141], s32 offset:1416 ; 8-byte Folded Spill
.LBB287_1105:                           ;   in Loop: Header=BB287_11 Depth=1
	s_or_b32 exec_lo, exec_lo, s20
.LBB287_1106:                           ;   in Loop: Header=BB287_11 Depth=1
	s_delay_alu instid0(SALU_CYCLE_1)
	s_or_b32 exec_lo, exec_lo, s19
.LBB287_1107:                           ;   in Loop: Header=BB287_11 Depth=1
	s_delay_alu instid0(SALU_CYCLE_1) | instskip(SKIP_2) | instid1(VALU_DEP_1)
	s_or_b32 exec_lo, exec_lo, s8
	v_lshrrev_b16 v1, 8, v0
	s_mov_b32 s19, exec_lo
	v_cmpx_ne_u16_e32 0, v1
	s_cbranch_execz .LBB287_1115
; %bb.1108:                             ;   in Loop: Header=BB287_11 Depth=1
	v_dual_mov_b32 v2, s2 :: v_dual_mov_b32 v3, s3
	s_mov_b32 s20, exec_lo
	scratch_store_b64 off, v[2:3], s32 offset:1408 ; 8-byte Folded Spill
	v_cmpx_ne_u16_e32 0x80, v1
	s_cbranch_execz .LBB287_1114
; %bb.1109:                             ;   in Loop: Header=BB287_11 Depth=1
	s_mov_b32 s8, s2
	v_and_b32_e32 v1, 0xffff, v1
	v_dual_mov_b32 v3, s8 :: v_dual_mov_b32 v4, s9
	s_mov_b32 s8, exec_lo
	s_delay_alu instid0(VALU_DEP_2)
	v_and_b32_e32 v2, 0x7f, v1
	scratch_store_b64 off, v[3:4], s32 offset:1408 ; 8-byte Folded Spill
	v_cmpx_ne_u32_e32 0x7f, v2
	s_cbranch_execz .LBB287_1113
; %bb.1110:                             ;   in Loop: Header=BB287_11 Depth=1
	v_and_b32_e32 v140, 7, v1
	v_lshrrev_b32_e32 v1, 3, v2
	s_mov_b32 s21, exec_lo
	v_cmpx_gt_u32_e32 8, v2
; %bb.1111:                             ;   in Loop: Header=BB287_11 Depth=1
	s_delay_alu instid0(VALU_DEP_3) | instskip(NEXT) | instid1(VALU_DEP_1)
	v_clz_i32_u32_e32 v1, v140
	v_min_u32_e32 v1, 32, v1
	s_delay_alu instid0(VALU_DEP_1) | instskip(SKIP_1) | instid1(VALU_DEP_2)
	v_subrev_nc_u32_e32 v2, 28, v1
	v_sub_nc_u32_e32 v1, 29, v1
	v_lshlrev_b64 v[2:3], v2, v[140:141]
	s_delay_alu instid0(VALU_DEP_1)
	v_and_b32_e32 v140, 7, v2
; %bb.1112:                             ;   in Loop: Header=BB287_11 Depth=1
	s_or_b32 exec_lo, exec_lo, s21
	v_lshlrev_b32_e32 v2, 16, v0
	s_delay_alu instid0(VALU_DEP_2) | instskip(SKIP_1) | instid1(VALU_DEP_3)
	v_lshlrev_b32_e32 v3, 20, v140
	v_lshl_add_u32 v1, v1, 23, 0x3c000000
	v_and_b32_e32 v2, 0x80000000, v2
	s_delay_alu instid0(VALU_DEP_1)
	v_or3_b32 v2, v3, v2, v1
	v_mov_b32_e32 v1, v141
	scratch_store_b64 off, v[1:2], s32 offset:1408 ; 8-byte Folded Spill
.LBB287_1113:                           ;   in Loop: Header=BB287_11 Depth=1
	s_or_b32 exec_lo, exec_lo, s8
.LBB287_1114:                           ;   in Loop: Header=BB287_11 Depth=1
	s_delay_alu instid0(SALU_CYCLE_1)
	s_or_b32 exec_lo, exec_lo, s20
.LBB287_1115:                           ;   in Loop: Header=BB287_11 Depth=1
	s_delay_alu instid0(SALU_CYCLE_1)
	s_or_b32 exec_lo, exec_lo, s19
	v_lshrrev_b32_e32 v1, 16, v0
	v_mov_b32_e32 v3, 0
	v_mov_b32_e32 v4, 0
	s_mov_b32 s8, exec_lo
	s_clause 0x1
	scratch_store_b64 off, v[3:4], s32 offset:1424
	scratch_store_b64 off, v[3:4], s32 offset:1432
	v_and_b32_e32 v2, 0xff, v1
	s_delay_alu instid0(VALU_DEP_1)
	v_cmpx_ne_u16_e32 0, v2
	s_cbranch_execz .LBB287_1123
; %bb.1116:                             ;   in Loop: Header=BB287_11 Depth=1
	v_cmp_ne_u16_e64 s1, 0x80, v2
	v_bfrev_b32_e32 v2, 1
	v_mov_b32_e32 v3, 0
	scratch_store_b64 off, v[2:3], s32 offset:1432 ; 8-byte Folded Spill
	s_and_saveexec_b32 s19, s1
	s_cbranch_execz .LBB287_1122
; %bb.1117:                             ;   in Loop: Header=BB287_11 Depth=1
	v_mov_b32_e32 v4, 0x7f800001
	v_bfe_u32 v3, v0, 16, 7
	v_mov_b32_e32 v5, 0
	s_mov_b32 s20, exec_lo
	scratch_store_b64 off, v[4:5], s32 offset:1432 ; 8-byte Folded Spill
	v_cmpx_ne_u32_e32 0x7f, v3
	s_cbranch_execz .LBB287_1121
; %bb.1118:                             ;   in Loop: Header=BB287_11 Depth=1
	v_and_b32_e32 v140, 7, v1
	v_lshrrev_b32_e32 v2, 3, v3
	s_mov_b32 s21, exec_lo
	v_cmpx_gt_u32_e32 8, v3
; %bb.1119:                             ;   in Loop: Header=BB287_11 Depth=1
	s_delay_alu instid0(VALU_DEP_3) | instskip(NEXT) | instid1(VALU_DEP_1)
	v_clz_i32_u32_e32 v2, v140
	v_min_u32_e32 v2, 32, v2
	s_delay_alu instid0(VALU_DEP_1) | instskip(SKIP_1) | instid1(VALU_DEP_2)
	v_subrev_nc_u32_e32 v3, 28, v2
	v_sub_nc_u32_e32 v2, 29, v2
	v_lshlrev_b64 v[3:4], v3, v[140:141]
	s_delay_alu instid0(VALU_DEP_1)
	v_and_b32_e32 v140, 7, v3
; %bb.1120:                             ;   in Loop: Header=BB287_11 Depth=1
	s_or_b32 exec_lo, exec_lo, s21
	v_lshlrev_b32_e32 v1, 24, v1
	s_delay_alu instid0(VALU_DEP_2) | instskip(SKIP_1) | instid1(VALU_DEP_3)
	v_lshlrev_b32_e32 v3, 20, v140
	v_lshl_add_u32 v2, v2, 23, 0x3c000000
	v_and_b32_e32 v1, 0x80000000, v1
	s_delay_alu instid0(VALU_DEP_1)
	v_or3_b32 v140, v3, v1, v2
	scratch_store_b64 off, v[140:141], s32 offset:1432 ; 8-byte Folded Spill
.LBB287_1121:                           ;   in Loop: Header=BB287_11 Depth=1
	s_or_b32 exec_lo, exec_lo, s20
.LBB287_1122:                           ;   in Loop: Header=BB287_11 Depth=1
	s_delay_alu instid0(SALU_CYCLE_1)
	s_or_b32 exec_lo, exec_lo, s19
.LBB287_1123:                           ;   in Loop: Header=BB287_11 Depth=1
	s_delay_alu instid0(SALU_CYCLE_1) | instskip(NEXT) | instid1(SALU_CYCLE_1)
	s_or_b32 exec_lo, exec_lo, s8
	s_mov_b32 s19, exec_lo
	v_cmpx_lt_u32_e32 0xffffff, v0
	s_cbranch_execz .LBB287_1131
; %bb.1124:                             ;   in Loop: Header=BB287_11 Depth=1
	v_lshrrev_b32_e32 v1, 24, v0
	v_dual_mov_b32 v2, s2 :: v_dual_mov_b32 v3, s3
	s_mov_b32 s20, exec_lo
	scratch_store_b64 off, v[2:3], s32 offset:1424 ; 8-byte Folded Spill
	v_cmpx_ne_u32_e32 0x80, v1
	s_cbranch_execz .LBB287_1130
; %bb.1125:                             ;   in Loop: Header=BB287_11 Depth=1
	s_mov_b32 s8, s2
	v_bfe_u32 v2, v0, 24, 7
	v_dual_mov_b32 v3, s8 :: v_dual_mov_b32 v4, s9
	s_mov_b32 s8, exec_lo
	scratch_store_b64 off, v[3:4], s32 offset:1424 ; 8-byte Folded Spill
	v_cmpx_ne_u32_e32 0x7f, v2
	s_cbranch_execz .LBB287_1129
; %bb.1126:                             ;   in Loop: Header=BB287_11 Depth=1
	v_and_b32_e32 v140, 7, v1
	v_lshrrev_b32_e32 v0, 3, v2
	s_mov_b32 s21, exec_lo
	v_cmpx_gt_u32_e32 8, v2
; %bb.1127:                             ;   in Loop: Header=BB287_11 Depth=1
	s_delay_alu instid0(VALU_DEP_3) | instskip(NEXT) | instid1(VALU_DEP_1)
	v_clz_i32_u32_e32 v0, v140
	v_min_u32_e32 v0, 32, v0
	s_delay_alu instid0(VALU_DEP_1) | instskip(SKIP_1) | instid1(VALU_DEP_2)
	v_subrev_nc_u32_e32 v2, 28, v0
	v_sub_nc_u32_e32 v0, 29, v0
	v_lshlrev_b64 v[2:3], v2, v[140:141]
	s_delay_alu instid0(VALU_DEP_1)
	v_and_b32_e32 v140, 7, v2
; %bb.1128:                             ;   in Loop: Header=BB287_11 Depth=1
	s_or_b32 exec_lo, exec_lo, s21
	v_lshlrev_b32_e32 v1, 24, v1
	s_delay_alu instid0(VALU_DEP_2) | instskip(SKIP_1) | instid1(VALU_DEP_3)
	v_lshlrev_b32_e32 v2, 20, v140
	v_lshl_add_u32 v0, v0, 23, 0x3c000000
	v_and_b32_e32 v1, 0x80000000, v1
	s_delay_alu instid0(VALU_DEP_1)
	v_or3_b32 v1, v2, v1, v0
	v_mov_b32_e32 v0, v141
	scratch_store_b64 off, v[0:1], s32 offset:1424 ; 8-byte Folded Spill
.LBB287_1129:                           ;   in Loop: Header=BB287_11 Depth=1
	s_or_b32 exec_lo, exec_lo, s8
.LBB287_1130:                           ;   in Loop: Header=BB287_11 Depth=1
	s_delay_alu instid0(SALU_CYCLE_1)
	s_or_b32 exec_lo, exec_lo, s20
.LBB287_1131:                           ;   in Loop: Header=BB287_11 Depth=1
	s_delay_alu instid0(SALU_CYCLE_1)
	s_or_b32 exec_lo, exec_lo, s19
	flat_load_b32 v0, v[70:71] offset:12
	v_mov_b32_e32 v2, 0
	v_mov_b32_e32 v3, 0
	s_mov_b32 s8, exec_lo
	s_clause 0x1
	scratch_store_b64 off, v[2:3], s32 offset:1440
	scratch_store_b64 off, v[2:3], s32 offset:1448
	s_waitcnt vmcnt(0) lgkmcnt(0)
	v_and_b32_e32 v1, 0xff, v0
	s_delay_alu instid0(VALU_DEP_1)
	v_cmpx_ne_u16_e32 0, v1
	s_cbranch_execz .LBB287_1139
; %bb.1132:                             ;   in Loop: Header=BB287_11 Depth=1
	v_cmp_ne_u16_e64 s1, 0x80, v1
	v_bfrev_b32_e32 v1, 1
	v_mov_b32_e32 v2, 0
	scratch_store_b64 off, v[1:2], s32 offset:1448 ; 8-byte Folded Spill
	s_and_saveexec_b32 s19, s1
	s_cbranch_execz .LBB287_1138
; %bb.1133:                             ;   in Loop: Header=BB287_11 Depth=1
	v_mov_b32_e32 v3, 0x7f800001
	v_and_b32_e32 v2, 0x7f, v0
	v_mov_b32_e32 v4, 0
	s_mov_b32 s20, exec_lo
	scratch_store_b64 off, v[3:4], s32 offset:1448 ; 8-byte Folded Spill
	v_cmpx_ne_u32_e32 0x7f, v2
	s_cbranch_execz .LBB287_1137
; %bb.1134:                             ;   in Loop: Header=BB287_11 Depth=1
	v_and_b32_e32 v140, 7, v0
	v_lshrrev_b32_e32 v1, 3, v2
	s_mov_b32 s21, exec_lo
	v_cmpx_gt_u32_e32 8, v2
; %bb.1135:                             ;   in Loop: Header=BB287_11 Depth=1
	s_delay_alu instid0(VALU_DEP_3) | instskip(NEXT) | instid1(VALU_DEP_1)
	v_clz_i32_u32_e32 v1, v140
	v_min_u32_e32 v1, 32, v1
	s_delay_alu instid0(VALU_DEP_1) | instskip(SKIP_1) | instid1(VALU_DEP_2)
	v_subrev_nc_u32_e32 v2, 28, v1
	v_sub_nc_u32_e32 v1, 29, v1
	v_lshlrev_b64 v[2:3], v2, v[140:141]
	s_delay_alu instid0(VALU_DEP_1)
	v_and_b32_e32 v140, 7, v2
; %bb.1136:                             ;   in Loop: Header=BB287_11 Depth=1
	s_or_b32 exec_lo, exec_lo, s21
	v_lshlrev_b32_e32 v2, 24, v0
	s_delay_alu instid0(VALU_DEP_2) | instskip(SKIP_1) | instid1(VALU_DEP_3)
	v_lshlrev_b32_e32 v3, 20, v140
	v_lshl_add_u32 v1, v1, 23, 0x3c000000
	v_and_b32_e32 v2, 0x80000000, v2
	s_delay_alu instid0(VALU_DEP_1)
	v_or3_b32 v140, v3, v2, v1
	scratch_store_b64 off, v[140:141], s32 offset:1448 ; 8-byte Folded Spill
.LBB287_1137:                           ;   in Loop: Header=BB287_11 Depth=1
	s_or_b32 exec_lo, exec_lo, s20
.LBB287_1138:                           ;   in Loop: Header=BB287_11 Depth=1
	s_delay_alu instid0(SALU_CYCLE_1)
	s_or_b32 exec_lo, exec_lo, s19
.LBB287_1139:                           ;   in Loop: Header=BB287_11 Depth=1
	s_delay_alu instid0(SALU_CYCLE_1) | instskip(SKIP_2) | instid1(VALU_DEP_1)
	s_or_b32 exec_lo, exec_lo, s8
	v_lshrrev_b16 v1, 8, v0
	s_mov_b32 s19, exec_lo
	v_cmpx_ne_u16_e32 0, v1
	s_cbranch_execz .LBB287_1147
; %bb.1140:                             ;   in Loop: Header=BB287_11 Depth=1
	v_dual_mov_b32 v2, s2 :: v_dual_mov_b32 v3, s3
	s_mov_b32 s20, exec_lo
	scratch_store_b64 off, v[2:3], s32 offset:1440 ; 8-byte Folded Spill
	v_cmpx_ne_u16_e32 0x80, v1
	s_cbranch_execz .LBB287_1146
; %bb.1141:                             ;   in Loop: Header=BB287_11 Depth=1
	s_mov_b32 s8, s2
	v_and_b32_e32 v1, 0xffff, v1
	v_dual_mov_b32 v3, s8 :: v_dual_mov_b32 v4, s9
	s_mov_b32 s8, exec_lo
	s_delay_alu instid0(VALU_DEP_2)
	v_and_b32_e32 v2, 0x7f, v1
	scratch_store_b64 off, v[3:4], s32 offset:1440 ; 8-byte Folded Spill
	v_cmpx_ne_u32_e32 0x7f, v2
	s_cbranch_execz .LBB287_1145
; %bb.1142:                             ;   in Loop: Header=BB287_11 Depth=1
	v_and_b32_e32 v140, 7, v1
	v_lshrrev_b32_e32 v1, 3, v2
	s_mov_b32 s21, exec_lo
	v_cmpx_gt_u32_e32 8, v2
; %bb.1143:                             ;   in Loop: Header=BB287_11 Depth=1
	s_delay_alu instid0(VALU_DEP_3) | instskip(NEXT) | instid1(VALU_DEP_1)
	v_clz_i32_u32_e32 v1, v140
	v_min_u32_e32 v1, 32, v1
	s_delay_alu instid0(VALU_DEP_1) | instskip(SKIP_1) | instid1(VALU_DEP_2)
	v_subrev_nc_u32_e32 v2, 28, v1
	v_sub_nc_u32_e32 v1, 29, v1
	v_lshlrev_b64 v[2:3], v2, v[140:141]
	s_delay_alu instid0(VALU_DEP_1)
	v_and_b32_e32 v140, 7, v2
; %bb.1144:                             ;   in Loop: Header=BB287_11 Depth=1
	s_or_b32 exec_lo, exec_lo, s21
	v_lshlrev_b32_e32 v2, 16, v0
	s_delay_alu instid0(VALU_DEP_2) | instskip(SKIP_1) | instid1(VALU_DEP_3)
	v_lshlrev_b32_e32 v3, 20, v140
	v_lshl_add_u32 v1, v1, 23, 0x3c000000
	v_and_b32_e32 v2, 0x80000000, v2
	s_delay_alu instid0(VALU_DEP_1)
	v_or3_b32 v2, v3, v2, v1
	v_mov_b32_e32 v1, v141
	scratch_store_b64 off, v[1:2], s32 offset:1440 ; 8-byte Folded Spill
.LBB287_1145:                           ;   in Loop: Header=BB287_11 Depth=1
	s_or_b32 exec_lo, exec_lo, s8
.LBB287_1146:                           ;   in Loop: Header=BB287_11 Depth=1
	s_delay_alu instid0(SALU_CYCLE_1)
	s_or_b32 exec_lo, exec_lo, s20
.LBB287_1147:                           ;   in Loop: Header=BB287_11 Depth=1
	s_delay_alu instid0(SALU_CYCLE_1)
	s_or_b32 exec_lo, exec_lo, s19
	v_lshrrev_b32_e32 v1, 16, v0
	v_mov_b32_e32 v3, 0
	v_mov_b32_e32 v4, 0
	s_mov_b32 s8, exec_lo
	s_clause 0x1
	scratch_store_b64 off, v[3:4], s32 offset:1456
	scratch_store_b64 off, v[3:4], s32 offset:1464
	v_and_b32_e32 v2, 0xff, v1
	s_delay_alu instid0(VALU_DEP_1)
	v_cmpx_ne_u16_e32 0, v2
	s_cbranch_execz .LBB287_1155
; %bb.1148:                             ;   in Loop: Header=BB287_11 Depth=1
	v_cmp_ne_u16_e64 s1, 0x80, v2
	v_bfrev_b32_e32 v2, 1
	v_mov_b32_e32 v3, 0
	scratch_store_b64 off, v[2:3], s32 offset:1464 ; 8-byte Folded Spill
	s_and_saveexec_b32 s19, s1
	s_cbranch_execz .LBB287_1154
; %bb.1149:                             ;   in Loop: Header=BB287_11 Depth=1
	v_mov_b32_e32 v4, 0x7f800001
	v_bfe_u32 v3, v0, 16, 7
	v_mov_b32_e32 v5, 0
	s_mov_b32 s20, exec_lo
	scratch_store_b64 off, v[4:5], s32 offset:1464 ; 8-byte Folded Spill
	v_cmpx_ne_u32_e32 0x7f, v3
	s_cbranch_execz .LBB287_1153
; %bb.1150:                             ;   in Loop: Header=BB287_11 Depth=1
	v_and_b32_e32 v140, 7, v1
	v_lshrrev_b32_e32 v2, 3, v3
	s_mov_b32 s21, exec_lo
	v_cmpx_gt_u32_e32 8, v3
; %bb.1151:                             ;   in Loop: Header=BB287_11 Depth=1
	s_delay_alu instid0(VALU_DEP_3) | instskip(NEXT) | instid1(VALU_DEP_1)
	v_clz_i32_u32_e32 v2, v140
	v_min_u32_e32 v2, 32, v2
	s_delay_alu instid0(VALU_DEP_1) | instskip(SKIP_1) | instid1(VALU_DEP_2)
	v_subrev_nc_u32_e32 v3, 28, v2
	v_sub_nc_u32_e32 v2, 29, v2
	v_lshlrev_b64 v[3:4], v3, v[140:141]
	s_delay_alu instid0(VALU_DEP_1)
	v_and_b32_e32 v140, 7, v3
; %bb.1152:                             ;   in Loop: Header=BB287_11 Depth=1
	s_or_b32 exec_lo, exec_lo, s21
	v_lshlrev_b32_e32 v1, 24, v1
	s_delay_alu instid0(VALU_DEP_2) | instskip(SKIP_1) | instid1(VALU_DEP_3)
	v_lshlrev_b32_e32 v3, 20, v140
	v_lshl_add_u32 v2, v2, 23, 0x3c000000
	v_and_b32_e32 v1, 0x80000000, v1
	s_delay_alu instid0(VALU_DEP_1)
	v_or3_b32 v140, v3, v1, v2
	scratch_store_b64 off, v[140:141], s32 offset:1464 ; 8-byte Folded Spill
.LBB287_1153:                           ;   in Loop: Header=BB287_11 Depth=1
	s_or_b32 exec_lo, exec_lo, s20
.LBB287_1154:                           ;   in Loop: Header=BB287_11 Depth=1
	s_delay_alu instid0(SALU_CYCLE_1)
	s_or_b32 exec_lo, exec_lo, s19
.LBB287_1155:                           ;   in Loop: Header=BB287_11 Depth=1
	s_delay_alu instid0(SALU_CYCLE_1) | instskip(NEXT) | instid1(SALU_CYCLE_1)
	s_or_b32 exec_lo, exec_lo, s8
	s_mov_b32 s19, exec_lo
	v_cmpx_lt_u32_e32 0xffffff, v0
	s_cbranch_execz .LBB287_1163
; %bb.1156:                             ;   in Loop: Header=BB287_11 Depth=1
	v_lshrrev_b32_e32 v1, 24, v0
	v_dual_mov_b32 v2, s2 :: v_dual_mov_b32 v3, s3
	s_mov_b32 s20, exec_lo
	scratch_store_b64 off, v[2:3], s32 offset:1456 ; 8-byte Folded Spill
	v_cmpx_ne_u32_e32 0x80, v1
	s_cbranch_execz .LBB287_1162
; %bb.1157:                             ;   in Loop: Header=BB287_11 Depth=1
	s_mov_b32 s8, s2
	v_bfe_u32 v2, v0, 24, 7
	v_dual_mov_b32 v3, s8 :: v_dual_mov_b32 v4, s9
	s_mov_b32 s8, exec_lo
	scratch_store_b64 off, v[3:4], s32 offset:1456 ; 8-byte Folded Spill
	v_cmpx_ne_u32_e32 0x7f, v2
	s_cbranch_execz .LBB287_1161
; %bb.1158:                             ;   in Loop: Header=BB287_11 Depth=1
	v_and_b32_e32 v140, 7, v1
	v_lshrrev_b32_e32 v0, 3, v2
	s_mov_b32 s21, exec_lo
	v_cmpx_gt_u32_e32 8, v2
; %bb.1159:                             ;   in Loop: Header=BB287_11 Depth=1
	s_delay_alu instid0(VALU_DEP_3) | instskip(NEXT) | instid1(VALU_DEP_1)
	v_clz_i32_u32_e32 v0, v140
	v_min_u32_e32 v0, 32, v0
	s_delay_alu instid0(VALU_DEP_1) | instskip(SKIP_1) | instid1(VALU_DEP_2)
	v_subrev_nc_u32_e32 v2, 28, v0
	v_sub_nc_u32_e32 v0, 29, v0
	v_lshlrev_b64 v[2:3], v2, v[140:141]
	s_delay_alu instid0(VALU_DEP_1)
	v_and_b32_e32 v140, 7, v2
; %bb.1160:                             ;   in Loop: Header=BB287_11 Depth=1
	s_or_b32 exec_lo, exec_lo, s21
	v_lshlrev_b32_e32 v1, 24, v1
	s_delay_alu instid0(VALU_DEP_2) | instskip(SKIP_1) | instid1(VALU_DEP_3)
	v_lshlrev_b32_e32 v2, 20, v140
	v_lshl_add_u32 v0, v0, 23, 0x3c000000
	v_and_b32_e32 v1, 0x80000000, v1
	s_delay_alu instid0(VALU_DEP_1)
	v_or3_b32 v1, v2, v1, v0
	v_mov_b32_e32 v0, v141
	scratch_store_b64 off, v[0:1], s32 offset:1456 ; 8-byte Folded Spill
.LBB287_1161:                           ;   in Loop: Header=BB287_11 Depth=1
	s_or_b32 exec_lo, exec_lo, s8
.LBB287_1162:                           ;   in Loop: Header=BB287_11 Depth=1
	s_delay_alu instid0(SALU_CYCLE_1)
	s_or_b32 exec_lo, exec_lo, s20
.LBB287_1163:                           ;   in Loop: Header=BB287_11 Depth=1
	s_delay_alu instid0(SALU_CYCLE_1)
	s_or_b32 exec_lo, exec_lo, s19
	flat_load_b32 v0, v[70:71] offset:512
	v_mov_b32_e32 v2, 0
	v_mov_b32_e32 v3, 0
	s_mov_b32 s8, exec_lo
	s_clause 0x1
	scratch_store_b64 off, v[2:3], s32 offset:1472
	scratch_store_b64 off, v[2:3], s32 offset:1480
	s_waitcnt vmcnt(0) lgkmcnt(0)
	v_and_b32_e32 v1, 0xff, v0
	s_delay_alu instid0(VALU_DEP_1)
	v_cmpx_ne_u16_e32 0, v1
	s_cbranch_execz .LBB287_1171
; %bb.1164:                             ;   in Loop: Header=BB287_11 Depth=1
	v_cmp_ne_u16_e64 s1, 0x80, v1
	v_bfrev_b32_e32 v1, 1
	v_mov_b32_e32 v2, 0
	scratch_store_b64 off, v[1:2], s32 offset:1480 ; 8-byte Folded Spill
	s_and_saveexec_b32 s19, s1
	s_cbranch_execz .LBB287_1170
; %bb.1165:                             ;   in Loop: Header=BB287_11 Depth=1
	v_mov_b32_e32 v3, 0x7f800001
	v_and_b32_e32 v2, 0x7f, v0
	v_mov_b32_e32 v4, 0
	s_mov_b32 s20, exec_lo
	scratch_store_b64 off, v[3:4], s32 offset:1480 ; 8-byte Folded Spill
	v_cmpx_ne_u32_e32 0x7f, v2
	s_cbranch_execz .LBB287_1169
; %bb.1166:                             ;   in Loop: Header=BB287_11 Depth=1
	v_and_b32_e32 v140, 7, v0
	v_lshrrev_b32_e32 v1, 3, v2
	s_mov_b32 s21, exec_lo
	v_cmpx_gt_u32_e32 8, v2
; %bb.1167:                             ;   in Loop: Header=BB287_11 Depth=1
	s_delay_alu instid0(VALU_DEP_3) | instskip(NEXT) | instid1(VALU_DEP_1)
	v_clz_i32_u32_e32 v1, v140
	v_min_u32_e32 v1, 32, v1
	s_delay_alu instid0(VALU_DEP_1) | instskip(SKIP_1) | instid1(VALU_DEP_2)
	v_subrev_nc_u32_e32 v2, 28, v1
	v_sub_nc_u32_e32 v1, 29, v1
	v_lshlrev_b64 v[2:3], v2, v[140:141]
	s_delay_alu instid0(VALU_DEP_1)
	v_and_b32_e32 v140, 7, v2
; %bb.1168:                             ;   in Loop: Header=BB287_11 Depth=1
	s_or_b32 exec_lo, exec_lo, s21
	v_lshlrev_b32_e32 v2, 24, v0
	s_delay_alu instid0(VALU_DEP_2) | instskip(SKIP_1) | instid1(VALU_DEP_3)
	v_lshlrev_b32_e32 v3, 20, v140
	v_lshl_add_u32 v1, v1, 23, 0x3c000000
	v_and_b32_e32 v2, 0x80000000, v2
	s_delay_alu instid0(VALU_DEP_1)
	v_or3_b32 v140, v3, v2, v1
	scratch_store_b64 off, v[140:141], s32 offset:1480 ; 8-byte Folded Spill
.LBB287_1169:                           ;   in Loop: Header=BB287_11 Depth=1
	s_or_b32 exec_lo, exec_lo, s20
.LBB287_1170:                           ;   in Loop: Header=BB287_11 Depth=1
	s_delay_alu instid0(SALU_CYCLE_1)
	s_or_b32 exec_lo, exec_lo, s19
.LBB287_1171:                           ;   in Loop: Header=BB287_11 Depth=1
	s_delay_alu instid0(SALU_CYCLE_1) | instskip(SKIP_2) | instid1(VALU_DEP_1)
	s_or_b32 exec_lo, exec_lo, s8
	v_lshrrev_b16 v1, 8, v0
	s_mov_b32 s19, exec_lo
	v_cmpx_ne_u16_e32 0, v1
	s_cbranch_execz .LBB287_1179
; %bb.1172:                             ;   in Loop: Header=BB287_11 Depth=1
	v_dual_mov_b32 v2, s2 :: v_dual_mov_b32 v3, s3
	s_mov_b32 s20, exec_lo
	scratch_store_b64 off, v[2:3], s32 offset:1472 ; 8-byte Folded Spill
	v_cmpx_ne_u16_e32 0x80, v1
	s_cbranch_execz .LBB287_1178
; %bb.1173:                             ;   in Loop: Header=BB287_11 Depth=1
	s_mov_b32 s8, s2
	v_and_b32_e32 v1, 0xffff, v1
	v_dual_mov_b32 v3, s8 :: v_dual_mov_b32 v4, s9
	s_mov_b32 s8, exec_lo
	s_delay_alu instid0(VALU_DEP_2)
	v_and_b32_e32 v2, 0x7f, v1
	scratch_store_b64 off, v[3:4], s32 offset:1472 ; 8-byte Folded Spill
	v_cmpx_ne_u32_e32 0x7f, v2
	s_cbranch_execz .LBB287_1177
; %bb.1174:                             ;   in Loop: Header=BB287_11 Depth=1
	v_and_b32_e32 v140, 7, v1
	v_lshrrev_b32_e32 v1, 3, v2
	s_mov_b32 s21, exec_lo
	v_cmpx_gt_u32_e32 8, v2
; %bb.1175:                             ;   in Loop: Header=BB287_11 Depth=1
	s_delay_alu instid0(VALU_DEP_3) | instskip(NEXT) | instid1(VALU_DEP_1)
	v_clz_i32_u32_e32 v1, v140
	v_min_u32_e32 v1, 32, v1
	s_delay_alu instid0(VALU_DEP_1) | instskip(SKIP_1) | instid1(VALU_DEP_2)
	v_subrev_nc_u32_e32 v2, 28, v1
	v_sub_nc_u32_e32 v1, 29, v1
	v_lshlrev_b64 v[2:3], v2, v[140:141]
	s_delay_alu instid0(VALU_DEP_1)
	v_and_b32_e32 v140, 7, v2
; %bb.1176:                             ;   in Loop: Header=BB287_11 Depth=1
	s_or_b32 exec_lo, exec_lo, s21
	v_lshlrev_b32_e32 v2, 16, v0
	s_delay_alu instid0(VALU_DEP_2) | instskip(SKIP_1) | instid1(VALU_DEP_3)
	v_lshlrev_b32_e32 v3, 20, v140
	v_lshl_add_u32 v1, v1, 23, 0x3c000000
	v_and_b32_e32 v2, 0x80000000, v2
	s_delay_alu instid0(VALU_DEP_1)
	v_or3_b32 v2, v3, v2, v1
	v_mov_b32_e32 v1, v141
	scratch_store_b64 off, v[1:2], s32 offset:1472 ; 8-byte Folded Spill
.LBB287_1177:                           ;   in Loop: Header=BB287_11 Depth=1
	s_or_b32 exec_lo, exec_lo, s8
.LBB287_1178:                           ;   in Loop: Header=BB287_11 Depth=1
	s_delay_alu instid0(SALU_CYCLE_1)
	s_or_b32 exec_lo, exec_lo, s20
.LBB287_1179:                           ;   in Loop: Header=BB287_11 Depth=1
	s_delay_alu instid0(SALU_CYCLE_1)
	s_or_b32 exec_lo, exec_lo, s19
	v_lshrrev_b32_e32 v1, 16, v0
	v_mov_b32_e32 v3, 0
	v_mov_b32_e32 v4, 0
	s_mov_b32 s8, exec_lo
	s_clause 0x1
	scratch_store_b64 off, v[3:4], s32 offset:1488
	scratch_store_b64 off, v[3:4], s32 offset:1496
	v_and_b32_e32 v2, 0xff, v1
	s_delay_alu instid0(VALU_DEP_1)
	v_cmpx_ne_u16_e32 0, v2
	s_cbranch_execz .LBB287_1187
; %bb.1180:                             ;   in Loop: Header=BB287_11 Depth=1
	v_cmp_ne_u16_e64 s1, 0x80, v2
	v_bfrev_b32_e32 v2, 1
	v_mov_b32_e32 v3, 0
	scratch_store_b64 off, v[2:3], s32 offset:1496 ; 8-byte Folded Spill
	s_and_saveexec_b32 s19, s1
	s_cbranch_execz .LBB287_1186
; %bb.1181:                             ;   in Loop: Header=BB287_11 Depth=1
	v_mov_b32_e32 v4, 0x7f800001
	v_bfe_u32 v3, v0, 16, 7
	v_mov_b32_e32 v5, 0
	s_mov_b32 s20, exec_lo
	scratch_store_b64 off, v[4:5], s32 offset:1496 ; 8-byte Folded Spill
	v_cmpx_ne_u32_e32 0x7f, v3
	s_cbranch_execz .LBB287_1185
; %bb.1182:                             ;   in Loop: Header=BB287_11 Depth=1
	v_and_b32_e32 v140, 7, v1
	v_lshrrev_b32_e32 v2, 3, v3
	s_mov_b32 s21, exec_lo
	v_cmpx_gt_u32_e32 8, v3
; %bb.1183:                             ;   in Loop: Header=BB287_11 Depth=1
	s_delay_alu instid0(VALU_DEP_3) | instskip(NEXT) | instid1(VALU_DEP_1)
	v_clz_i32_u32_e32 v2, v140
	v_min_u32_e32 v2, 32, v2
	s_delay_alu instid0(VALU_DEP_1) | instskip(SKIP_1) | instid1(VALU_DEP_2)
	v_subrev_nc_u32_e32 v3, 28, v2
	v_sub_nc_u32_e32 v2, 29, v2
	v_lshlrev_b64 v[3:4], v3, v[140:141]
	s_delay_alu instid0(VALU_DEP_1)
	v_and_b32_e32 v140, 7, v3
; %bb.1184:                             ;   in Loop: Header=BB287_11 Depth=1
	s_or_b32 exec_lo, exec_lo, s21
	v_lshlrev_b32_e32 v1, 24, v1
	s_delay_alu instid0(VALU_DEP_2) | instskip(SKIP_1) | instid1(VALU_DEP_3)
	v_lshlrev_b32_e32 v3, 20, v140
	v_lshl_add_u32 v2, v2, 23, 0x3c000000
	v_and_b32_e32 v1, 0x80000000, v1
	s_delay_alu instid0(VALU_DEP_1)
	v_or3_b32 v140, v3, v1, v2
	scratch_store_b64 off, v[140:141], s32 offset:1496 ; 8-byte Folded Spill
.LBB287_1185:                           ;   in Loop: Header=BB287_11 Depth=1
	s_or_b32 exec_lo, exec_lo, s20
.LBB287_1186:                           ;   in Loop: Header=BB287_11 Depth=1
	s_delay_alu instid0(SALU_CYCLE_1)
	s_or_b32 exec_lo, exec_lo, s19
.LBB287_1187:                           ;   in Loop: Header=BB287_11 Depth=1
	s_delay_alu instid0(SALU_CYCLE_1) | instskip(NEXT) | instid1(SALU_CYCLE_1)
	s_or_b32 exec_lo, exec_lo, s8
	s_mov_b32 s19, exec_lo
	v_cmpx_lt_u32_e32 0xffffff, v0
	s_cbranch_execz .LBB287_1195
; %bb.1188:                             ;   in Loop: Header=BB287_11 Depth=1
	v_lshrrev_b32_e32 v1, 24, v0
	v_dual_mov_b32 v2, s2 :: v_dual_mov_b32 v3, s3
	s_mov_b32 s20, exec_lo
	scratch_store_b64 off, v[2:3], s32 offset:1488 ; 8-byte Folded Spill
	v_cmpx_ne_u32_e32 0x80, v1
	s_cbranch_execz .LBB287_1194
; %bb.1189:                             ;   in Loop: Header=BB287_11 Depth=1
	s_mov_b32 s8, s2
	v_bfe_u32 v2, v0, 24, 7
	v_dual_mov_b32 v3, s8 :: v_dual_mov_b32 v4, s9
	s_mov_b32 s8, exec_lo
	scratch_store_b64 off, v[3:4], s32 offset:1488 ; 8-byte Folded Spill
	v_cmpx_ne_u32_e32 0x7f, v2
	s_cbranch_execz .LBB287_1193
; %bb.1190:                             ;   in Loop: Header=BB287_11 Depth=1
	v_and_b32_e32 v140, 7, v1
	v_lshrrev_b32_e32 v0, 3, v2
	s_mov_b32 s21, exec_lo
	v_cmpx_gt_u32_e32 8, v2
; %bb.1191:                             ;   in Loop: Header=BB287_11 Depth=1
	s_delay_alu instid0(VALU_DEP_3) | instskip(NEXT) | instid1(VALU_DEP_1)
	v_clz_i32_u32_e32 v0, v140
	v_min_u32_e32 v0, 32, v0
	s_delay_alu instid0(VALU_DEP_1) | instskip(SKIP_1) | instid1(VALU_DEP_2)
	v_subrev_nc_u32_e32 v2, 28, v0
	v_sub_nc_u32_e32 v0, 29, v0
	v_lshlrev_b64 v[2:3], v2, v[140:141]
	s_delay_alu instid0(VALU_DEP_1)
	v_and_b32_e32 v140, 7, v2
; %bb.1192:                             ;   in Loop: Header=BB287_11 Depth=1
	s_or_b32 exec_lo, exec_lo, s21
	v_lshlrev_b32_e32 v1, 24, v1
	s_delay_alu instid0(VALU_DEP_2) | instskip(SKIP_1) | instid1(VALU_DEP_3)
	v_lshlrev_b32_e32 v2, 20, v140
	v_lshl_add_u32 v0, v0, 23, 0x3c000000
	v_and_b32_e32 v1, 0x80000000, v1
	s_delay_alu instid0(VALU_DEP_1)
	v_or3_b32 v1, v2, v1, v0
	v_mov_b32_e32 v0, v141
	scratch_store_b64 off, v[0:1], s32 offset:1488 ; 8-byte Folded Spill
.LBB287_1193:                           ;   in Loop: Header=BB287_11 Depth=1
	s_or_b32 exec_lo, exec_lo, s8
.LBB287_1194:                           ;   in Loop: Header=BB287_11 Depth=1
	s_delay_alu instid0(SALU_CYCLE_1)
	s_or_b32 exec_lo, exec_lo, s20
.LBB287_1195:                           ;   in Loop: Header=BB287_11 Depth=1
	s_delay_alu instid0(SALU_CYCLE_1)
	s_or_b32 exec_lo, exec_lo, s19
	flat_load_b32 v0, v[70:71] offset:516
	v_mov_b32_e32 v2, 0
	v_mov_b32_e32 v3, 0
	s_mov_b32 s8, exec_lo
	s_clause 0x1
	scratch_store_b64 off, v[2:3], s32 offset:1504
	scratch_store_b64 off, v[2:3], s32 offset:1512
	s_waitcnt vmcnt(0) lgkmcnt(0)
	v_and_b32_e32 v1, 0xff, v0
	s_delay_alu instid0(VALU_DEP_1)
	v_cmpx_ne_u16_e32 0, v1
	s_cbranch_execz .LBB287_1203
; %bb.1196:                             ;   in Loop: Header=BB287_11 Depth=1
	v_cmp_ne_u16_e64 s1, 0x80, v1
	v_bfrev_b32_e32 v1, 1
	v_mov_b32_e32 v2, 0
	scratch_store_b64 off, v[1:2], s32 offset:1512 ; 8-byte Folded Spill
	s_and_saveexec_b32 s19, s1
	s_cbranch_execz .LBB287_1202
; %bb.1197:                             ;   in Loop: Header=BB287_11 Depth=1
	v_mov_b32_e32 v3, 0x7f800001
	v_and_b32_e32 v2, 0x7f, v0
	v_mov_b32_e32 v4, 0
	s_mov_b32 s20, exec_lo
	scratch_store_b64 off, v[3:4], s32 offset:1512 ; 8-byte Folded Spill
	v_cmpx_ne_u32_e32 0x7f, v2
	s_cbranch_execz .LBB287_1201
; %bb.1198:                             ;   in Loop: Header=BB287_11 Depth=1
	v_and_b32_e32 v140, 7, v0
	v_lshrrev_b32_e32 v1, 3, v2
	s_mov_b32 s21, exec_lo
	v_cmpx_gt_u32_e32 8, v2
; %bb.1199:                             ;   in Loop: Header=BB287_11 Depth=1
	s_delay_alu instid0(VALU_DEP_3) | instskip(NEXT) | instid1(VALU_DEP_1)
	v_clz_i32_u32_e32 v1, v140
	v_min_u32_e32 v1, 32, v1
	s_delay_alu instid0(VALU_DEP_1) | instskip(SKIP_1) | instid1(VALU_DEP_2)
	v_subrev_nc_u32_e32 v2, 28, v1
	v_sub_nc_u32_e32 v1, 29, v1
	v_lshlrev_b64 v[2:3], v2, v[140:141]
	s_delay_alu instid0(VALU_DEP_1)
	v_and_b32_e32 v140, 7, v2
; %bb.1200:                             ;   in Loop: Header=BB287_11 Depth=1
	s_or_b32 exec_lo, exec_lo, s21
	v_lshlrev_b32_e32 v2, 24, v0
	s_delay_alu instid0(VALU_DEP_2) | instskip(SKIP_1) | instid1(VALU_DEP_3)
	v_lshlrev_b32_e32 v3, 20, v140
	v_lshl_add_u32 v1, v1, 23, 0x3c000000
	v_and_b32_e32 v2, 0x80000000, v2
	s_delay_alu instid0(VALU_DEP_1)
	v_or3_b32 v140, v3, v2, v1
	scratch_store_b64 off, v[140:141], s32 offset:1512 ; 8-byte Folded Spill
.LBB287_1201:                           ;   in Loop: Header=BB287_11 Depth=1
	s_or_b32 exec_lo, exec_lo, s20
.LBB287_1202:                           ;   in Loop: Header=BB287_11 Depth=1
	s_delay_alu instid0(SALU_CYCLE_1)
	s_or_b32 exec_lo, exec_lo, s19
.LBB287_1203:                           ;   in Loop: Header=BB287_11 Depth=1
	s_delay_alu instid0(SALU_CYCLE_1) | instskip(SKIP_2) | instid1(VALU_DEP_1)
	s_or_b32 exec_lo, exec_lo, s8
	v_lshrrev_b16 v1, 8, v0
	s_mov_b32 s19, exec_lo
	v_cmpx_ne_u16_e32 0, v1
	s_cbranch_execz .LBB287_1211
; %bb.1204:                             ;   in Loop: Header=BB287_11 Depth=1
	v_dual_mov_b32 v2, s2 :: v_dual_mov_b32 v3, s3
	s_mov_b32 s20, exec_lo
	scratch_store_b64 off, v[2:3], s32 offset:1504 ; 8-byte Folded Spill
	v_cmpx_ne_u16_e32 0x80, v1
	s_cbranch_execz .LBB287_1210
; %bb.1205:                             ;   in Loop: Header=BB287_11 Depth=1
	s_mov_b32 s8, s2
	v_and_b32_e32 v1, 0xffff, v1
	v_dual_mov_b32 v3, s8 :: v_dual_mov_b32 v4, s9
	s_mov_b32 s8, exec_lo
	s_delay_alu instid0(VALU_DEP_2)
	v_and_b32_e32 v2, 0x7f, v1
	scratch_store_b64 off, v[3:4], s32 offset:1504 ; 8-byte Folded Spill
	v_cmpx_ne_u32_e32 0x7f, v2
	s_cbranch_execz .LBB287_1209
; %bb.1206:                             ;   in Loop: Header=BB287_11 Depth=1
	v_and_b32_e32 v140, 7, v1
	v_lshrrev_b32_e32 v1, 3, v2
	s_mov_b32 s21, exec_lo
	v_cmpx_gt_u32_e32 8, v2
; %bb.1207:                             ;   in Loop: Header=BB287_11 Depth=1
	s_delay_alu instid0(VALU_DEP_3) | instskip(NEXT) | instid1(VALU_DEP_1)
	v_clz_i32_u32_e32 v1, v140
	v_min_u32_e32 v1, 32, v1
	s_delay_alu instid0(VALU_DEP_1) | instskip(SKIP_1) | instid1(VALU_DEP_2)
	v_subrev_nc_u32_e32 v2, 28, v1
	v_sub_nc_u32_e32 v1, 29, v1
	v_lshlrev_b64 v[2:3], v2, v[140:141]
	s_delay_alu instid0(VALU_DEP_1)
	v_and_b32_e32 v140, 7, v2
; %bb.1208:                             ;   in Loop: Header=BB287_11 Depth=1
	s_or_b32 exec_lo, exec_lo, s21
	v_lshlrev_b32_e32 v2, 16, v0
	s_delay_alu instid0(VALU_DEP_2) | instskip(SKIP_1) | instid1(VALU_DEP_3)
	v_lshlrev_b32_e32 v3, 20, v140
	v_lshl_add_u32 v1, v1, 23, 0x3c000000
	v_and_b32_e32 v2, 0x80000000, v2
	s_delay_alu instid0(VALU_DEP_1)
	v_or3_b32 v2, v3, v2, v1
	v_mov_b32_e32 v1, v141
	scratch_store_b64 off, v[1:2], s32 offset:1504 ; 8-byte Folded Spill
.LBB287_1209:                           ;   in Loop: Header=BB287_11 Depth=1
	s_or_b32 exec_lo, exec_lo, s8
.LBB287_1210:                           ;   in Loop: Header=BB287_11 Depth=1
	s_delay_alu instid0(SALU_CYCLE_1)
	s_or_b32 exec_lo, exec_lo, s20
.LBB287_1211:                           ;   in Loop: Header=BB287_11 Depth=1
	s_delay_alu instid0(SALU_CYCLE_1)
	s_or_b32 exec_lo, exec_lo, s19
	v_lshrrev_b32_e32 v1, 16, v0
	v_mov_b32_e32 v3, 0
	v_mov_b32_e32 v4, 0
	s_mov_b32 s8, exec_lo
	s_clause 0x1
	scratch_store_b64 off, v[3:4], s32 offset:1520
	scratch_store_b64 off, v[3:4], s32 offset:1528
	v_and_b32_e32 v2, 0xff, v1
	s_delay_alu instid0(VALU_DEP_1)
	v_cmpx_ne_u16_e32 0, v2
	s_cbranch_execz .LBB287_1219
; %bb.1212:                             ;   in Loop: Header=BB287_11 Depth=1
	v_cmp_ne_u16_e64 s1, 0x80, v2
	v_bfrev_b32_e32 v2, 1
	v_mov_b32_e32 v3, 0
	scratch_store_b64 off, v[2:3], s32 offset:1528 ; 8-byte Folded Spill
	s_and_saveexec_b32 s19, s1
	s_cbranch_execz .LBB287_1218
; %bb.1213:                             ;   in Loop: Header=BB287_11 Depth=1
	v_mov_b32_e32 v4, 0x7f800001
	v_bfe_u32 v3, v0, 16, 7
	v_mov_b32_e32 v5, 0
	s_mov_b32 s20, exec_lo
	scratch_store_b64 off, v[4:5], s32 offset:1528 ; 8-byte Folded Spill
	v_cmpx_ne_u32_e32 0x7f, v3
	s_cbranch_execz .LBB287_1217
; %bb.1214:                             ;   in Loop: Header=BB287_11 Depth=1
	v_and_b32_e32 v140, 7, v1
	v_lshrrev_b32_e32 v2, 3, v3
	s_mov_b32 s21, exec_lo
	v_cmpx_gt_u32_e32 8, v3
; %bb.1215:                             ;   in Loop: Header=BB287_11 Depth=1
	s_delay_alu instid0(VALU_DEP_3) | instskip(NEXT) | instid1(VALU_DEP_1)
	v_clz_i32_u32_e32 v2, v140
	v_min_u32_e32 v2, 32, v2
	s_delay_alu instid0(VALU_DEP_1) | instskip(SKIP_1) | instid1(VALU_DEP_2)
	v_subrev_nc_u32_e32 v3, 28, v2
	v_sub_nc_u32_e32 v2, 29, v2
	v_lshlrev_b64 v[3:4], v3, v[140:141]
	s_delay_alu instid0(VALU_DEP_1)
	v_and_b32_e32 v140, 7, v3
; %bb.1216:                             ;   in Loop: Header=BB287_11 Depth=1
	s_or_b32 exec_lo, exec_lo, s21
	v_lshlrev_b32_e32 v1, 24, v1
	s_delay_alu instid0(VALU_DEP_2) | instskip(SKIP_1) | instid1(VALU_DEP_3)
	v_lshlrev_b32_e32 v3, 20, v140
	v_lshl_add_u32 v2, v2, 23, 0x3c000000
	v_and_b32_e32 v1, 0x80000000, v1
	s_delay_alu instid0(VALU_DEP_1)
	v_or3_b32 v140, v3, v1, v2
	scratch_store_b64 off, v[140:141], s32 offset:1528 ; 8-byte Folded Spill
.LBB287_1217:                           ;   in Loop: Header=BB287_11 Depth=1
	s_or_b32 exec_lo, exec_lo, s20
.LBB287_1218:                           ;   in Loop: Header=BB287_11 Depth=1
	s_delay_alu instid0(SALU_CYCLE_1)
	s_or_b32 exec_lo, exec_lo, s19
.LBB287_1219:                           ;   in Loop: Header=BB287_11 Depth=1
	s_delay_alu instid0(SALU_CYCLE_1) | instskip(NEXT) | instid1(SALU_CYCLE_1)
	s_or_b32 exec_lo, exec_lo, s8
	s_mov_b32 s19, exec_lo
	v_cmpx_lt_u32_e32 0xffffff, v0
	s_cbranch_execz .LBB287_1227
; %bb.1220:                             ;   in Loop: Header=BB287_11 Depth=1
	v_lshrrev_b32_e32 v1, 24, v0
	v_dual_mov_b32 v2, s2 :: v_dual_mov_b32 v3, s3
	s_mov_b32 s20, exec_lo
	scratch_store_b64 off, v[2:3], s32 offset:1520 ; 8-byte Folded Spill
	v_cmpx_ne_u32_e32 0x80, v1
	s_cbranch_execz .LBB287_1226
; %bb.1221:                             ;   in Loop: Header=BB287_11 Depth=1
	s_mov_b32 s8, s2
	v_bfe_u32 v2, v0, 24, 7
	v_dual_mov_b32 v3, s8 :: v_dual_mov_b32 v4, s9
	s_mov_b32 s8, exec_lo
	scratch_store_b64 off, v[3:4], s32 offset:1520 ; 8-byte Folded Spill
	v_cmpx_ne_u32_e32 0x7f, v2
	s_cbranch_execz .LBB287_1225
; %bb.1222:                             ;   in Loop: Header=BB287_11 Depth=1
	v_and_b32_e32 v140, 7, v1
	v_lshrrev_b32_e32 v0, 3, v2
	s_mov_b32 s21, exec_lo
	v_cmpx_gt_u32_e32 8, v2
; %bb.1223:                             ;   in Loop: Header=BB287_11 Depth=1
	s_delay_alu instid0(VALU_DEP_3) | instskip(NEXT) | instid1(VALU_DEP_1)
	v_clz_i32_u32_e32 v0, v140
	v_min_u32_e32 v0, 32, v0
	s_delay_alu instid0(VALU_DEP_1) | instskip(SKIP_1) | instid1(VALU_DEP_2)
	v_subrev_nc_u32_e32 v2, 28, v0
	v_sub_nc_u32_e32 v0, 29, v0
	v_lshlrev_b64 v[2:3], v2, v[140:141]
	s_delay_alu instid0(VALU_DEP_1)
	v_and_b32_e32 v140, 7, v2
; %bb.1224:                             ;   in Loop: Header=BB287_11 Depth=1
	s_or_b32 exec_lo, exec_lo, s21
	v_lshlrev_b32_e32 v1, 24, v1
	s_delay_alu instid0(VALU_DEP_2) | instskip(SKIP_1) | instid1(VALU_DEP_3)
	v_lshlrev_b32_e32 v2, 20, v140
	v_lshl_add_u32 v0, v0, 23, 0x3c000000
	v_and_b32_e32 v1, 0x80000000, v1
	s_delay_alu instid0(VALU_DEP_1)
	v_or3_b32 v1, v2, v1, v0
	v_mov_b32_e32 v0, v141
	scratch_store_b64 off, v[0:1], s32 offset:1520 ; 8-byte Folded Spill
.LBB287_1225:                           ;   in Loop: Header=BB287_11 Depth=1
	s_or_b32 exec_lo, exec_lo, s8
.LBB287_1226:                           ;   in Loop: Header=BB287_11 Depth=1
	s_delay_alu instid0(SALU_CYCLE_1)
	s_or_b32 exec_lo, exec_lo, s20
.LBB287_1227:                           ;   in Loop: Header=BB287_11 Depth=1
	s_delay_alu instid0(SALU_CYCLE_1)
	s_or_b32 exec_lo, exec_lo, s19
	flat_load_b32 v0, v[70:71] offset:520
	v_mov_b32_e32 v2, 0
	v_mov_b32_e32 v3, 0
	s_mov_b32 s8, exec_lo
	s_clause 0x1
	scratch_store_b64 off, v[2:3], s32 offset:1536
	scratch_store_b64 off, v[2:3], s32 offset:1544
	s_waitcnt vmcnt(0) lgkmcnt(0)
	v_and_b32_e32 v1, 0xff, v0
	s_delay_alu instid0(VALU_DEP_1)
	v_cmpx_ne_u16_e32 0, v1
	s_cbranch_execz .LBB287_1235
; %bb.1228:                             ;   in Loop: Header=BB287_11 Depth=1
	v_cmp_ne_u16_e64 s1, 0x80, v1
	v_bfrev_b32_e32 v1, 1
	v_mov_b32_e32 v2, 0
	scratch_store_b64 off, v[1:2], s32 offset:1544 ; 8-byte Folded Spill
	s_and_saveexec_b32 s19, s1
	s_cbranch_execz .LBB287_1234
; %bb.1229:                             ;   in Loop: Header=BB287_11 Depth=1
	v_mov_b32_e32 v3, 0x7f800001
	v_and_b32_e32 v2, 0x7f, v0
	v_mov_b32_e32 v4, 0
	s_mov_b32 s20, exec_lo
	scratch_store_b64 off, v[3:4], s32 offset:1544 ; 8-byte Folded Spill
	v_cmpx_ne_u32_e32 0x7f, v2
	s_cbranch_execz .LBB287_1233
; %bb.1230:                             ;   in Loop: Header=BB287_11 Depth=1
	v_and_b32_e32 v140, 7, v0
	v_lshrrev_b32_e32 v1, 3, v2
	s_mov_b32 s21, exec_lo
	v_cmpx_gt_u32_e32 8, v2
; %bb.1231:                             ;   in Loop: Header=BB287_11 Depth=1
	s_delay_alu instid0(VALU_DEP_3) | instskip(NEXT) | instid1(VALU_DEP_1)
	v_clz_i32_u32_e32 v1, v140
	v_min_u32_e32 v1, 32, v1
	s_delay_alu instid0(VALU_DEP_1) | instskip(SKIP_1) | instid1(VALU_DEP_2)
	v_subrev_nc_u32_e32 v2, 28, v1
	v_sub_nc_u32_e32 v1, 29, v1
	v_lshlrev_b64 v[2:3], v2, v[140:141]
	s_delay_alu instid0(VALU_DEP_1)
	v_and_b32_e32 v140, 7, v2
; %bb.1232:                             ;   in Loop: Header=BB287_11 Depth=1
	s_or_b32 exec_lo, exec_lo, s21
	v_lshlrev_b32_e32 v2, 24, v0
	s_delay_alu instid0(VALU_DEP_2) | instskip(SKIP_1) | instid1(VALU_DEP_3)
	v_lshlrev_b32_e32 v3, 20, v140
	v_lshl_add_u32 v1, v1, 23, 0x3c000000
	v_and_b32_e32 v2, 0x80000000, v2
	s_delay_alu instid0(VALU_DEP_1)
	v_or3_b32 v140, v3, v2, v1
	scratch_store_b64 off, v[140:141], s32 offset:1544 ; 8-byte Folded Spill
.LBB287_1233:                           ;   in Loop: Header=BB287_11 Depth=1
	s_or_b32 exec_lo, exec_lo, s20
.LBB287_1234:                           ;   in Loop: Header=BB287_11 Depth=1
	s_delay_alu instid0(SALU_CYCLE_1)
	s_or_b32 exec_lo, exec_lo, s19
.LBB287_1235:                           ;   in Loop: Header=BB287_11 Depth=1
	s_delay_alu instid0(SALU_CYCLE_1) | instskip(SKIP_2) | instid1(VALU_DEP_1)
	s_or_b32 exec_lo, exec_lo, s8
	v_lshrrev_b16 v1, 8, v0
	s_mov_b32 s19, exec_lo
	v_cmpx_ne_u16_e32 0, v1
	s_cbranch_execz .LBB287_1243
; %bb.1236:                             ;   in Loop: Header=BB287_11 Depth=1
	v_dual_mov_b32 v2, s2 :: v_dual_mov_b32 v3, s3
	s_mov_b32 s20, exec_lo
	scratch_store_b64 off, v[2:3], s32 offset:1536 ; 8-byte Folded Spill
	v_cmpx_ne_u16_e32 0x80, v1
	s_cbranch_execz .LBB287_1242
; %bb.1237:                             ;   in Loop: Header=BB287_11 Depth=1
	s_mov_b32 s8, s2
	v_and_b32_e32 v1, 0xffff, v1
	v_dual_mov_b32 v3, s8 :: v_dual_mov_b32 v4, s9
	s_mov_b32 s8, exec_lo
	s_delay_alu instid0(VALU_DEP_2)
	v_and_b32_e32 v2, 0x7f, v1
	scratch_store_b64 off, v[3:4], s32 offset:1536 ; 8-byte Folded Spill
	v_cmpx_ne_u32_e32 0x7f, v2
	s_cbranch_execz .LBB287_1241
; %bb.1238:                             ;   in Loop: Header=BB287_11 Depth=1
	v_and_b32_e32 v140, 7, v1
	v_lshrrev_b32_e32 v1, 3, v2
	s_mov_b32 s21, exec_lo
	v_cmpx_gt_u32_e32 8, v2
; %bb.1239:                             ;   in Loop: Header=BB287_11 Depth=1
	s_delay_alu instid0(VALU_DEP_3) | instskip(NEXT) | instid1(VALU_DEP_1)
	v_clz_i32_u32_e32 v1, v140
	v_min_u32_e32 v1, 32, v1
	s_delay_alu instid0(VALU_DEP_1) | instskip(SKIP_1) | instid1(VALU_DEP_2)
	v_subrev_nc_u32_e32 v2, 28, v1
	v_sub_nc_u32_e32 v1, 29, v1
	v_lshlrev_b64 v[2:3], v2, v[140:141]
	s_delay_alu instid0(VALU_DEP_1)
	v_and_b32_e32 v140, 7, v2
; %bb.1240:                             ;   in Loop: Header=BB287_11 Depth=1
	s_or_b32 exec_lo, exec_lo, s21
	v_lshlrev_b32_e32 v2, 16, v0
	s_delay_alu instid0(VALU_DEP_2) | instskip(SKIP_1) | instid1(VALU_DEP_3)
	v_lshlrev_b32_e32 v3, 20, v140
	v_lshl_add_u32 v1, v1, 23, 0x3c000000
	v_and_b32_e32 v2, 0x80000000, v2
	s_delay_alu instid0(VALU_DEP_1)
	v_or3_b32 v2, v3, v2, v1
	v_mov_b32_e32 v1, v141
	scratch_store_b64 off, v[1:2], s32 offset:1536 ; 8-byte Folded Spill
.LBB287_1241:                           ;   in Loop: Header=BB287_11 Depth=1
	s_or_b32 exec_lo, exec_lo, s8
.LBB287_1242:                           ;   in Loop: Header=BB287_11 Depth=1
	s_delay_alu instid0(SALU_CYCLE_1)
	s_or_b32 exec_lo, exec_lo, s20
.LBB287_1243:                           ;   in Loop: Header=BB287_11 Depth=1
	s_delay_alu instid0(SALU_CYCLE_1) | instskip(SKIP_4) | instid1(VALU_DEP_3)
	s_or_b32 exec_lo, exec_lo, s19
	v_lshrrev_b32_e32 v1, 16, v0
	v_mov_b32_e32 v68, 0
	v_mov_b32_e32 v69, 0
	s_mov_b32 s8, exec_lo
	v_and_b32_e32 v2, 0xff, v1
	scratch_store_b64 off, v[68:69], s32 offset:1552 ; 8-byte Folded Spill
	v_cmpx_ne_u16_e32 0, v2
	s_cbranch_execz .LBB287_1251
; %bb.1244:                             ;   in Loop: Header=BB287_11 Depth=1
	v_cmp_ne_u16_e64 s1, 0x80, v2
	v_bfrev_b32_e32 v2, 1
	v_mov_b32_e32 v3, 0
	scratch_store_b64 off, v[2:3], s32 offset:1552 ; 8-byte Folded Spill
	s_and_saveexec_b32 s19, s1
	s_cbranch_execz .LBB287_1250
; %bb.1245:                             ;   in Loop: Header=BB287_11 Depth=1
	v_mov_b32_e32 v4, 0x7f800001
	v_bfe_u32 v3, v0, 16, 7
	v_mov_b32_e32 v5, 0
	s_mov_b32 s20, exec_lo
	scratch_store_b64 off, v[4:5], s32 offset:1552 ; 8-byte Folded Spill
	v_cmpx_ne_u32_e32 0x7f, v3
	s_cbranch_execz .LBB287_1249
; %bb.1246:                             ;   in Loop: Header=BB287_11 Depth=1
	v_and_b32_e32 v140, 7, v1
	v_lshrrev_b32_e32 v2, 3, v3
	s_mov_b32 s21, exec_lo
	v_cmpx_gt_u32_e32 8, v3
; %bb.1247:                             ;   in Loop: Header=BB287_11 Depth=1
	s_delay_alu instid0(VALU_DEP_3) | instskip(NEXT) | instid1(VALU_DEP_1)
	v_clz_i32_u32_e32 v2, v140
	v_min_u32_e32 v2, 32, v2
	s_delay_alu instid0(VALU_DEP_1) | instskip(SKIP_1) | instid1(VALU_DEP_2)
	v_subrev_nc_u32_e32 v3, 28, v2
	v_sub_nc_u32_e32 v2, 29, v2
	v_lshlrev_b64 v[3:4], v3, v[140:141]
	s_delay_alu instid0(VALU_DEP_1)
	v_and_b32_e32 v140, 7, v3
; %bb.1248:                             ;   in Loop: Header=BB287_11 Depth=1
	s_or_b32 exec_lo, exec_lo, s21
	v_lshlrev_b32_e32 v1, 24, v1
	s_delay_alu instid0(VALU_DEP_2) | instskip(SKIP_1) | instid1(VALU_DEP_3)
	v_lshlrev_b32_e32 v3, 20, v140
	v_lshl_add_u32 v2, v2, 23, 0x3c000000
	v_and_b32_e32 v1, 0x80000000, v1
	s_delay_alu instid0(VALU_DEP_1)
	v_or3_b32 v140, v3, v1, v2
	scratch_store_b64 off, v[140:141], s32 offset:1552 ; 8-byte Folded Spill
.LBB287_1249:                           ;   in Loop: Header=BB287_11 Depth=1
	s_or_b32 exec_lo, exec_lo, s20
.LBB287_1250:                           ;   in Loop: Header=BB287_11 Depth=1
	s_delay_alu instid0(SALU_CYCLE_1)
	s_or_b32 exec_lo, exec_lo, s19
.LBB287_1251:                           ;   in Loop: Header=BB287_11 Depth=1
	s_delay_alu instid0(SALU_CYCLE_1) | instskip(NEXT) | instid1(SALU_CYCLE_1)
	s_or_b32 exec_lo, exec_lo, s8
	s_mov_b32 s19, exec_lo
	v_cmpx_lt_u32_e32 0xffffff, v0
	s_cbranch_execz .LBB287_1259
; %bb.1252:                             ;   in Loop: Header=BB287_11 Depth=1
	v_lshrrev_b32_e32 v1, 24, v0
	v_dual_mov_b32 v69, s3 :: v_dual_mov_b32 v68, s2
	s_mov_b32 s20, exec_lo
	s_delay_alu instid0(VALU_DEP_2)
	v_cmpx_ne_u32_e32 0x80, v1
	s_cbranch_execz .LBB287_1258
; %bb.1253:                             ;   in Loop: Header=BB287_11 Depth=1
	s_mov_b32 s8, s2
	v_bfe_u32 v2, v0, 24, 7
	v_dual_mov_b32 v69, s9 :: v_dual_mov_b32 v68, s8
	s_mov_b32 s8, exec_lo
	s_delay_alu instid0(VALU_DEP_2)
	v_cmpx_ne_u32_e32 0x7f, v2
	s_cbranch_execz .LBB287_1257
; %bb.1254:                             ;   in Loop: Header=BB287_11 Depth=1
	v_and_b32_e32 v140, 7, v1
	v_lshrrev_b32_e32 v0, 3, v2
	s_mov_b32 s21, exec_lo
	v_cmpx_gt_u32_e32 8, v2
; %bb.1255:                             ;   in Loop: Header=BB287_11 Depth=1
	s_delay_alu instid0(VALU_DEP_3) | instskip(NEXT) | instid1(VALU_DEP_1)
	v_clz_i32_u32_e32 v0, v140
	v_min_u32_e32 v0, 32, v0
	s_delay_alu instid0(VALU_DEP_1) | instskip(SKIP_1) | instid1(VALU_DEP_2)
	v_subrev_nc_u32_e32 v2, 28, v0
	v_sub_nc_u32_e32 v0, 29, v0
	v_lshlrev_b64 v[2:3], v2, v[140:141]
	s_delay_alu instid0(VALU_DEP_1)
	v_and_b32_e32 v140, 7, v2
; %bb.1256:                             ;   in Loop: Header=BB287_11 Depth=1
	s_or_b32 exec_lo, exec_lo, s21
	v_dual_mov_b32 v68, v141 :: v_dual_lshlrev_b32 v1, 24, v1
	s_delay_alu instid0(VALU_DEP_2) | instskip(SKIP_1) | instid1(VALU_DEP_3)
	v_lshlrev_b32_e32 v2, 20, v140
	v_lshl_add_u32 v0, v0, 23, 0x3c000000
	v_and_b32_e32 v1, 0x80000000, v1
	s_delay_alu instid0(VALU_DEP_1)
	v_or3_b32 v69, v2, v1, v0
.LBB287_1257:                           ;   in Loop: Header=BB287_11 Depth=1
	s_or_b32 exec_lo, exec_lo, s8
.LBB287_1258:                           ;   in Loop: Header=BB287_11 Depth=1
	s_delay_alu instid0(SALU_CYCLE_1)
	s_or_b32 exec_lo, exec_lo, s20
.LBB287_1259:                           ;   in Loop: Header=BB287_11 Depth=1
	s_delay_alu instid0(SALU_CYCLE_1)
	s_or_b32 exec_lo, exec_lo, s19
	flat_load_b32 v0, v[70:71] offset:524
	v_mov_b32_e32 v64, 0
	v_mov_b32_e32 v65, 0
	s_mov_b32 s8, exec_lo
	scratch_store_b64 off, v[64:65], s32 offset:1560 ; 8-byte Folded Spill
	s_waitcnt vmcnt(0) lgkmcnt(0)
	v_and_b32_e32 v1, 0xff, v0
	s_delay_alu instid0(VALU_DEP_1)
	v_cmpx_ne_u16_e32 0, v1
	s_cbranch_execz .LBB287_1267
; %bb.1260:                             ;   in Loop: Header=BB287_11 Depth=1
	v_cmp_ne_u16_e64 s1, 0x80, v1
	v_bfrev_b32_e32 v1, 1
	v_mov_b32_e32 v2, 0
	scratch_store_b64 off, v[1:2], s32 offset:1560 ; 8-byte Folded Spill
	s_and_saveexec_b32 s19, s1
	s_cbranch_execz .LBB287_1266
; %bb.1261:                             ;   in Loop: Header=BB287_11 Depth=1
	v_mov_b32_e32 v3, 0x7f800001
	v_and_b32_e32 v2, 0x7f, v0
	v_mov_b32_e32 v4, 0
	s_mov_b32 s20, exec_lo
	scratch_store_b64 off, v[3:4], s32 offset:1560 ; 8-byte Folded Spill
	v_cmpx_ne_u32_e32 0x7f, v2
	s_cbranch_execz .LBB287_1265
; %bb.1262:                             ;   in Loop: Header=BB287_11 Depth=1
	v_and_b32_e32 v140, 7, v0
	v_lshrrev_b32_e32 v1, 3, v2
	s_mov_b32 s21, exec_lo
	v_cmpx_gt_u32_e32 8, v2
; %bb.1263:                             ;   in Loop: Header=BB287_11 Depth=1
	s_delay_alu instid0(VALU_DEP_3) | instskip(NEXT) | instid1(VALU_DEP_1)
	v_clz_i32_u32_e32 v1, v140
	v_min_u32_e32 v1, 32, v1
	s_delay_alu instid0(VALU_DEP_1) | instskip(SKIP_1) | instid1(VALU_DEP_2)
	v_subrev_nc_u32_e32 v2, 28, v1
	v_sub_nc_u32_e32 v1, 29, v1
	v_lshlrev_b64 v[2:3], v2, v[140:141]
	s_delay_alu instid0(VALU_DEP_1)
	v_and_b32_e32 v140, 7, v2
; %bb.1264:                             ;   in Loop: Header=BB287_11 Depth=1
	s_or_b32 exec_lo, exec_lo, s21
	v_lshlrev_b32_e32 v2, 24, v0
	s_delay_alu instid0(VALU_DEP_2) | instskip(SKIP_1) | instid1(VALU_DEP_3)
	v_lshlrev_b32_e32 v3, 20, v140
	v_lshl_add_u32 v1, v1, 23, 0x3c000000
	v_and_b32_e32 v2, 0x80000000, v2
	s_delay_alu instid0(VALU_DEP_1)
	v_or3_b32 v140, v3, v2, v1
	scratch_store_b64 off, v[140:141], s32 offset:1560 ; 8-byte Folded Spill
.LBB287_1265:                           ;   in Loop: Header=BB287_11 Depth=1
	s_or_b32 exec_lo, exec_lo, s20
.LBB287_1266:                           ;   in Loop: Header=BB287_11 Depth=1
	s_delay_alu instid0(SALU_CYCLE_1)
	s_or_b32 exec_lo, exec_lo, s19
.LBB287_1267:                           ;   in Loop: Header=BB287_11 Depth=1
	s_delay_alu instid0(SALU_CYCLE_1) | instskip(SKIP_2) | instid1(VALU_DEP_1)
	s_or_b32 exec_lo, exec_lo, s8
	v_lshrrev_b16 v1, 8, v0
	s_mov_b32 s19, exec_lo
	v_cmpx_ne_u16_e32 0, v1
	s_cbranch_execz .LBB287_1275
; %bb.1268:                             ;   in Loop: Header=BB287_11 Depth=1
	v_dual_mov_b32 v65, s3 :: v_dual_mov_b32 v64, s2
	s_mov_b32 s20, exec_lo
	v_cmpx_ne_u16_e32 0x80, v1
	s_cbranch_execz .LBB287_1274
; %bb.1269:                             ;   in Loop: Header=BB287_11 Depth=1
	s_mov_b32 s8, s2
	v_and_b32_e32 v1, 0xffff, v1
	v_dual_mov_b32 v65, s9 :: v_dual_mov_b32 v64, s8
	s_mov_b32 s8, exec_lo
	s_delay_alu instid0(VALU_DEP_2) | instskip(NEXT) | instid1(VALU_DEP_1)
	v_and_b32_e32 v2, 0x7f, v1
	v_cmpx_ne_u32_e32 0x7f, v2
	s_cbranch_execz .LBB287_1273
; %bb.1270:                             ;   in Loop: Header=BB287_11 Depth=1
	v_and_b32_e32 v140, 7, v1
	v_lshrrev_b32_e32 v1, 3, v2
	s_mov_b32 s21, exec_lo
	v_cmpx_gt_u32_e32 8, v2
; %bb.1271:                             ;   in Loop: Header=BB287_11 Depth=1
	s_delay_alu instid0(VALU_DEP_3) | instskip(NEXT) | instid1(VALU_DEP_1)
	v_clz_i32_u32_e32 v1, v140
	v_min_u32_e32 v1, 32, v1
	s_delay_alu instid0(VALU_DEP_1) | instskip(SKIP_1) | instid1(VALU_DEP_2)
	v_subrev_nc_u32_e32 v2, 28, v1
	v_sub_nc_u32_e32 v1, 29, v1
	v_lshlrev_b64 v[2:3], v2, v[140:141]
	s_delay_alu instid0(VALU_DEP_1)
	v_and_b32_e32 v140, 7, v2
; %bb.1272:                             ;   in Loop: Header=BB287_11 Depth=1
	s_or_b32 exec_lo, exec_lo, s21
	v_lshlrev_b32_e32 v2, 16, v0
	s_delay_alu instid0(VALU_DEP_2) | instskip(SKIP_1) | instid1(VALU_DEP_3)
	v_dual_mov_b32 v64, v141 :: v_dual_lshlrev_b32 v3, 20, v140
	v_lshl_add_u32 v1, v1, 23, 0x3c000000
	v_and_b32_e32 v2, 0x80000000, v2
	s_delay_alu instid0(VALU_DEP_1)
	v_or3_b32 v65, v3, v2, v1
.LBB287_1273:                           ;   in Loop: Header=BB287_11 Depth=1
	s_or_b32 exec_lo, exec_lo, s8
.LBB287_1274:                           ;   in Loop: Header=BB287_11 Depth=1
	s_delay_alu instid0(SALU_CYCLE_1)
	s_or_b32 exec_lo, exec_lo, s20
.LBB287_1275:                           ;   in Loop: Header=BB287_11 Depth=1
	s_delay_alu instid0(SALU_CYCLE_1) | instskip(SKIP_4) | instid1(VALU_DEP_3)
	s_or_b32 exec_lo, exec_lo, s19
	v_lshrrev_b32_e32 v1, 16, v0
	v_mov_b32_e32 v130, 0
	v_mov_b32_e32 v131, 0
	s_mov_b32 s8, exec_lo
	v_and_b32_e32 v2, 0xff, v1
	scratch_store_b64 off, v[130:131], s32 offset:1568 ; 8-byte Folded Spill
	v_cmpx_ne_u16_e32 0, v2
	s_cbranch_execz .LBB287_1283
; %bb.1276:                             ;   in Loop: Header=BB287_11 Depth=1
	v_cmp_ne_u16_e64 s1, 0x80, v2
	v_bfrev_b32_e32 v2, 1
	v_mov_b32_e32 v3, 0
	scratch_store_b64 off, v[2:3], s32 offset:1568 ; 8-byte Folded Spill
	s_and_saveexec_b32 s19, s1
	s_cbranch_execz .LBB287_1282
; %bb.1277:                             ;   in Loop: Header=BB287_11 Depth=1
	v_mov_b32_e32 v4, 0x7f800001
	v_bfe_u32 v3, v0, 16, 7
	v_mov_b32_e32 v5, 0
	s_mov_b32 s20, exec_lo
	scratch_store_b64 off, v[4:5], s32 offset:1568 ; 8-byte Folded Spill
	v_cmpx_ne_u32_e32 0x7f, v3
	s_cbranch_execz .LBB287_1281
; %bb.1278:                             ;   in Loop: Header=BB287_11 Depth=1
	v_and_b32_e32 v140, 7, v1
	v_lshrrev_b32_e32 v2, 3, v3
	s_mov_b32 s21, exec_lo
	v_cmpx_gt_u32_e32 8, v3
; %bb.1279:                             ;   in Loop: Header=BB287_11 Depth=1
	s_delay_alu instid0(VALU_DEP_3) | instskip(NEXT) | instid1(VALU_DEP_1)
	v_clz_i32_u32_e32 v2, v140
	v_min_u32_e32 v2, 32, v2
	s_delay_alu instid0(VALU_DEP_1) | instskip(SKIP_1) | instid1(VALU_DEP_2)
	v_subrev_nc_u32_e32 v3, 28, v2
	v_sub_nc_u32_e32 v2, 29, v2
	v_lshlrev_b64 v[3:4], v3, v[140:141]
	s_delay_alu instid0(VALU_DEP_1)
	v_and_b32_e32 v140, 7, v3
; %bb.1280:                             ;   in Loop: Header=BB287_11 Depth=1
	s_or_b32 exec_lo, exec_lo, s21
	v_lshlrev_b32_e32 v1, 24, v1
	s_delay_alu instid0(VALU_DEP_2) | instskip(SKIP_1) | instid1(VALU_DEP_3)
	v_lshlrev_b32_e32 v3, 20, v140
	v_lshl_add_u32 v2, v2, 23, 0x3c000000
	v_and_b32_e32 v1, 0x80000000, v1
	s_delay_alu instid0(VALU_DEP_1)
	v_or3_b32 v140, v3, v1, v2
	scratch_store_b64 off, v[140:141], s32 offset:1568 ; 8-byte Folded Spill
.LBB287_1281:                           ;   in Loop: Header=BB287_11 Depth=1
	s_or_b32 exec_lo, exec_lo, s20
.LBB287_1282:                           ;   in Loop: Header=BB287_11 Depth=1
	s_delay_alu instid0(SALU_CYCLE_1)
	s_or_b32 exec_lo, exec_lo, s19
.LBB287_1283:                           ;   in Loop: Header=BB287_11 Depth=1
	s_delay_alu instid0(SALU_CYCLE_1) | instskip(NEXT) | instid1(SALU_CYCLE_1)
	s_or_b32 exec_lo, exec_lo, s8
	s_mov_b32 s19, exec_lo
	v_cmpx_lt_u32_e32 0xffffff, v0
	s_cbranch_execz .LBB287_1291
; %bb.1284:                             ;   in Loop: Header=BB287_11 Depth=1
	v_lshrrev_b32_e32 v1, 24, v0
	v_dual_mov_b32 v131, s3 :: v_dual_mov_b32 v130, s2
	s_mov_b32 s20, exec_lo
	s_delay_alu instid0(VALU_DEP_2)
	v_cmpx_ne_u32_e32 0x80, v1
	s_cbranch_execz .LBB287_1290
; %bb.1285:                             ;   in Loop: Header=BB287_11 Depth=1
	s_mov_b32 s8, s2
	v_bfe_u32 v2, v0, 24, 7
	v_dual_mov_b32 v131, s9 :: v_dual_mov_b32 v130, s8
	s_mov_b32 s8, exec_lo
	s_delay_alu instid0(VALU_DEP_2)
	v_cmpx_ne_u32_e32 0x7f, v2
	s_cbranch_execz .LBB287_1289
; %bb.1286:                             ;   in Loop: Header=BB287_11 Depth=1
	v_and_b32_e32 v140, 7, v1
	v_lshrrev_b32_e32 v0, 3, v2
	s_mov_b32 s21, exec_lo
	v_cmpx_gt_u32_e32 8, v2
; %bb.1287:                             ;   in Loop: Header=BB287_11 Depth=1
	s_delay_alu instid0(VALU_DEP_3) | instskip(NEXT) | instid1(VALU_DEP_1)
	v_clz_i32_u32_e32 v0, v140
	v_min_u32_e32 v0, 32, v0
	s_delay_alu instid0(VALU_DEP_1) | instskip(SKIP_1) | instid1(VALU_DEP_2)
	v_subrev_nc_u32_e32 v2, 28, v0
	v_sub_nc_u32_e32 v0, 29, v0
	v_lshlrev_b64 v[2:3], v2, v[140:141]
	s_delay_alu instid0(VALU_DEP_1)
	v_and_b32_e32 v140, 7, v2
; %bb.1288:                             ;   in Loop: Header=BB287_11 Depth=1
	s_or_b32 exec_lo, exec_lo, s21
	v_dual_mov_b32 v130, v141 :: v_dual_lshlrev_b32 v1, 24, v1
	s_delay_alu instid0(VALU_DEP_2) | instskip(SKIP_1) | instid1(VALU_DEP_3)
	v_lshlrev_b32_e32 v2, 20, v140
	v_lshl_add_u32 v0, v0, 23, 0x3c000000
	v_and_b32_e32 v1, 0x80000000, v1
	s_delay_alu instid0(VALU_DEP_1)
	v_or3_b32 v131, v2, v1, v0
.LBB287_1289:                           ;   in Loop: Header=BB287_11 Depth=1
	s_or_b32 exec_lo, exec_lo, s8
.LBB287_1290:                           ;   in Loop: Header=BB287_11 Depth=1
	s_delay_alu instid0(SALU_CYCLE_1)
	s_or_b32 exec_lo, exec_lo, s20
.LBB287_1291:                           ;   in Loop: Header=BB287_11 Depth=1
	s_delay_alu instid0(SALU_CYCLE_1)
	s_or_b32 exec_lo, exec_lo, s19
	flat_load_b32 v0, v[70:71] offset:1024
	v_mov_b32_e32 v52, 0
	v_mov_b32_e32 v53, 0
	s_mov_b32 s8, exec_lo
	scratch_store_b64 off, v[52:53], s32 offset:1576 ; 8-byte Folded Spill
	s_waitcnt vmcnt(0) lgkmcnt(0)
	v_and_b32_e32 v1, 0xff, v0
	s_delay_alu instid0(VALU_DEP_1)
	v_cmpx_ne_u16_e32 0, v1
	s_cbranch_execz .LBB287_1299
; %bb.1292:                             ;   in Loop: Header=BB287_11 Depth=1
	v_cmp_ne_u16_e64 s1, 0x80, v1
	v_bfrev_b32_e32 v1, 1
	v_mov_b32_e32 v2, 0
	scratch_store_b64 off, v[1:2], s32 offset:1576 ; 8-byte Folded Spill
	s_and_saveexec_b32 s19, s1
	s_cbranch_execz .LBB287_1298
; %bb.1293:                             ;   in Loop: Header=BB287_11 Depth=1
	v_mov_b32_e32 v3, 0x7f800001
	v_and_b32_e32 v2, 0x7f, v0
	v_mov_b32_e32 v4, 0
	s_mov_b32 s20, exec_lo
	scratch_store_b64 off, v[3:4], s32 offset:1576 ; 8-byte Folded Spill
	v_cmpx_ne_u32_e32 0x7f, v2
	s_cbranch_execz .LBB287_1297
; %bb.1294:                             ;   in Loop: Header=BB287_11 Depth=1
	v_and_b32_e32 v140, 7, v0
	v_lshrrev_b32_e32 v1, 3, v2
	s_mov_b32 s21, exec_lo
	v_cmpx_gt_u32_e32 8, v2
; %bb.1295:                             ;   in Loop: Header=BB287_11 Depth=1
	s_delay_alu instid0(VALU_DEP_3) | instskip(NEXT) | instid1(VALU_DEP_1)
	v_clz_i32_u32_e32 v1, v140
	v_min_u32_e32 v1, 32, v1
	s_delay_alu instid0(VALU_DEP_1) | instskip(SKIP_1) | instid1(VALU_DEP_2)
	v_subrev_nc_u32_e32 v2, 28, v1
	v_sub_nc_u32_e32 v1, 29, v1
	v_lshlrev_b64 v[2:3], v2, v[140:141]
	s_delay_alu instid0(VALU_DEP_1)
	v_and_b32_e32 v140, 7, v2
; %bb.1296:                             ;   in Loop: Header=BB287_11 Depth=1
	s_or_b32 exec_lo, exec_lo, s21
	v_lshlrev_b32_e32 v2, 24, v0
	s_delay_alu instid0(VALU_DEP_2) | instskip(SKIP_1) | instid1(VALU_DEP_3)
	v_lshlrev_b32_e32 v3, 20, v140
	v_lshl_add_u32 v1, v1, 23, 0x3c000000
	v_and_b32_e32 v2, 0x80000000, v2
	s_delay_alu instid0(VALU_DEP_1)
	v_or3_b32 v140, v3, v2, v1
	scratch_store_b64 off, v[140:141], s32 offset:1576 ; 8-byte Folded Spill
.LBB287_1297:                           ;   in Loop: Header=BB287_11 Depth=1
	s_or_b32 exec_lo, exec_lo, s20
.LBB287_1298:                           ;   in Loop: Header=BB287_11 Depth=1
	s_delay_alu instid0(SALU_CYCLE_1)
	s_or_b32 exec_lo, exec_lo, s19
.LBB287_1299:                           ;   in Loop: Header=BB287_11 Depth=1
	s_delay_alu instid0(SALU_CYCLE_1) | instskip(SKIP_2) | instid1(VALU_DEP_1)
	s_or_b32 exec_lo, exec_lo, s8
	v_lshrrev_b16 v1, 8, v0
	s_mov_b32 s19, exec_lo
	v_cmpx_ne_u16_e32 0, v1
	s_cbranch_execz .LBB287_1307
; %bb.1300:                             ;   in Loop: Header=BB287_11 Depth=1
	v_dual_mov_b32 v53, s3 :: v_dual_mov_b32 v52, s2
	s_mov_b32 s20, exec_lo
	v_cmpx_ne_u16_e32 0x80, v1
	s_cbranch_execz .LBB287_1306
; %bb.1301:                             ;   in Loop: Header=BB287_11 Depth=1
	s_mov_b32 s8, s2
	v_and_b32_e32 v1, 0xffff, v1
	v_dual_mov_b32 v53, s9 :: v_dual_mov_b32 v52, s8
	s_mov_b32 s8, exec_lo
	s_delay_alu instid0(VALU_DEP_2) | instskip(NEXT) | instid1(VALU_DEP_1)
	v_and_b32_e32 v2, 0x7f, v1
	v_cmpx_ne_u32_e32 0x7f, v2
	s_cbranch_execz .LBB287_1305
; %bb.1302:                             ;   in Loop: Header=BB287_11 Depth=1
	v_and_b32_e32 v140, 7, v1
	v_lshrrev_b32_e32 v1, 3, v2
	s_mov_b32 s21, exec_lo
	v_cmpx_gt_u32_e32 8, v2
; %bb.1303:                             ;   in Loop: Header=BB287_11 Depth=1
	s_delay_alu instid0(VALU_DEP_3) | instskip(NEXT) | instid1(VALU_DEP_1)
	v_clz_i32_u32_e32 v1, v140
	v_min_u32_e32 v1, 32, v1
	s_delay_alu instid0(VALU_DEP_1) | instskip(SKIP_1) | instid1(VALU_DEP_2)
	v_subrev_nc_u32_e32 v2, 28, v1
	v_sub_nc_u32_e32 v1, 29, v1
	v_lshlrev_b64 v[2:3], v2, v[140:141]
	s_delay_alu instid0(VALU_DEP_1)
	v_and_b32_e32 v140, 7, v2
; %bb.1304:                             ;   in Loop: Header=BB287_11 Depth=1
	s_or_b32 exec_lo, exec_lo, s21
	v_lshlrev_b32_e32 v2, 16, v0
	s_delay_alu instid0(VALU_DEP_2) | instskip(SKIP_1) | instid1(VALU_DEP_3)
	v_dual_mov_b32 v52, v141 :: v_dual_lshlrev_b32 v3, 20, v140
	v_lshl_add_u32 v1, v1, 23, 0x3c000000
	v_and_b32_e32 v2, 0x80000000, v2
	s_delay_alu instid0(VALU_DEP_1)
	v_or3_b32 v53, v3, v2, v1
.LBB287_1305:                           ;   in Loop: Header=BB287_11 Depth=1
	s_or_b32 exec_lo, exec_lo, s8
.LBB287_1306:                           ;   in Loop: Header=BB287_11 Depth=1
	s_delay_alu instid0(SALU_CYCLE_1)
	s_or_b32 exec_lo, exec_lo, s20
.LBB287_1307:                           ;   in Loop: Header=BB287_11 Depth=1
	s_delay_alu instid0(SALU_CYCLE_1) | instskip(SKIP_4) | instid1(VALU_DEP_3)
	s_or_b32 exec_lo, exec_lo, s19
	v_lshrrev_b32_e32 v1, 16, v0
	v_mov_b32_e32 v170, 0
	v_mov_b32_e32 v171, 0
	s_mov_b32 s8, exec_lo
	v_and_b32_e32 v2, 0xff, v1
	scratch_store_b64 off, v[170:171], s32 offset:1584 ; 8-byte Folded Spill
	v_cmpx_ne_u16_e32 0, v2
	s_cbranch_execz .LBB287_1315
; %bb.1308:                             ;   in Loop: Header=BB287_11 Depth=1
	v_cmp_ne_u16_e64 s1, 0x80, v2
	v_bfrev_b32_e32 v2, 1
	v_mov_b32_e32 v3, 0
	scratch_store_b64 off, v[2:3], s32 offset:1584 ; 8-byte Folded Spill
	s_and_saveexec_b32 s19, s1
	s_cbranch_execz .LBB287_1314
; %bb.1309:                             ;   in Loop: Header=BB287_11 Depth=1
	v_mov_b32_e32 v4, 0x7f800001
	v_bfe_u32 v3, v0, 16, 7
	v_mov_b32_e32 v5, 0
	s_mov_b32 s20, exec_lo
	scratch_store_b64 off, v[4:5], s32 offset:1584 ; 8-byte Folded Spill
	v_cmpx_ne_u32_e32 0x7f, v3
	s_cbranch_execz .LBB287_1313
; %bb.1310:                             ;   in Loop: Header=BB287_11 Depth=1
	v_and_b32_e32 v140, 7, v1
	v_lshrrev_b32_e32 v2, 3, v3
	s_mov_b32 s21, exec_lo
	v_cmpx_gt_u32_e32 8, v3
; %bb.1311:                             ;   in Loop: Header=BB287_11 Depth=1
	s_delay_alu instid0(VALU_DEP_3) | instskip(NEXT) | instid1(VALU_DEP_1)
	v_clz_i32_u32_e32 v2, v140
	v_min_u32_e32 v2, 32, v2
	s_delay_alu instid0(VALU_DEP_1) | instskip(SKIP_1) | instid1(VALU_DEP_2)
	v_subrev_nc_u32_e32 v3, 28, v2
	v_sub_nc_u32_e32 v2, 29, v2
	v_lshlrev_b64 v[3:4], v3, v[140:141]
	s_delay_alu instid0(VALU_DEP_1)
	v_and_b32_e32 v140, 7, v3
; %bb.1312:                             ;   in Loop: Header=BB287_11 Depth=1
	s_or_b32 exec_lo, exec_lo, s21
	v_lshlrev_b32_e32 v1, 24, v1
	s_delay_alu instid0(VALU_DEP_2) | instskip(SKIP_1) | instid1(VALU_DEP_3)
	v_lshlrev_b32_e32 v3, 20, v140
	v_lshl_add_u32 v2, v2, 23, 0x3c000000
	v_and_b32_e32 v1, 0x80000000, v1
	s_delay_alu instid0(VALU_DEP_1)
	v_or3_b32 v140, v3, v1, v2
	scratch_store_b64 off, v[140:141], s32 offset:1584 ; 8-byte Folded Spill
.LBB287_1313:                           ;   in Loop: Header=BB287_11 Depth=1
	s_or_b32 exec_lo, exec_lo, s20
.LBB287_1314:                           ;   in Loop: Header=BB287_11 Depth=1
	s_delay_alu instid0(SALU_CYCLE_1)
	s_or_b32 exec_lo, exec_lo, s19
.LBB287_1315:                           ;   in Loop: Header=BB287_11 Depth=1
	s_delay_alu instid0(SALU_CYCLE_1) | instskip(NEXT) | instid1(SALU_CYCLE_1)
	s_or_b32 exec_lo, exec_lo, s8
	s_mov_b32 s19, exec_lo
	v_cmpx_lt_u32_e32 0xffffff, v0
	s_cbranch_execz .LBB287_1323
; %bb.1316:                             ;   in Loop: Header=BB287_11 Depth=1
	v_lshrrev_b32_e32 v1, 24, v0
	v_dual_mov_b32 v171, s3 :: v_dual_mov_b32 v170, s2
	s_mov_b32 s20, exec_lo
	s_delay_alu instid0(VALU_DEP_2)
	v_cmpx_ne_u32_e32 0x80, v1
	s_cbranch_execz .LBB287_1322
; %bb.1317:                             ;   in Loop: Header=BB287_11 Depth=1
	s_mov_b32 s8, s2
	v_bfe_u32 v2, v0, 24, 7
	v_dual_mov_b32 v171, s9 :: v_dual_mov_b32 v170, s8
	s_mov_b32 s8, exec_lo
	s_delay_alu instid0(VALU_DEP_2)
	v_cmpx_ne_u32_e32 0x7f, v2
	s_cbranch_execz .LBB287_1321
; %bb.1318:                             ;   in Loop: Header=BB287_11 Depth=1
	v_and_b32_e32 v140, 7, v1
	v_lshrrev_b32_e32 v0, 3, v2
	s_mov_b32 s21, exec_lo
	v_cmpx_gt_u32_e32 8, v2
; %bb.1319:                             ;   in Loop: Header=BB287_11 Depth=1
	s_delay_alu instid0(VALU_DEP_3) | instskip(NEXT) | instid1(VALU_DEP_1)
	v_clz_i32_u32_e32 v0, v140
	v_min_u32_e32 v0, 32, v0
	s_delay_alu instid0(VALU_DEP_1) | instskip(SKIP_1) | instid1(VALU_DEP_2)
	v_subrev_nc_u32_e32 v2, 28, v0
	v_sub_nc_u32_e32 v0, 29, v0
	v_lshlrev_b64 v[2:3], v2, v[140:141]
	s_delay_alu instid0(VALU_DEP_1)
	v_and_b32_e32 v140, 7, v2
; %bb.1320:                             ;   in Loop: Header=BB287_11 Depth=1
	s_or_b32 exec_lo, exec_lo, s21
	v_dual_mov_b32 v170, v141 :: v_dual_lshlrev_b32 v1, 24, v1
	s_delay_alu instid0(VALU_DEP_2) | instskip(SKIP_1) | instid1(VALU_DEP_3)
	v_lshlrev_b32_e32 v2, 20, v140
	v_lshl_add_u32 v0, v0, 23, 0x3c000000
	v_and_b32_e32 v1, 0x80000000, v1
	s_delay_alu instid0(VALU_DEP_1)
	v_or3_b32 v171, v2, v1, v0
.LBB287_1321:                           ;   in Loop: Header=BB287_11 Depth=1
	s_or_b32 exec_lo, exec_lo, s8
.LBB287_1322:                           ;   in Loop: Header=BB287_11 Depth=1
	s_delay_alu instid0(SALU_CYCLE_1)
	s_or_b32 exec_lo, exec_lo, s20
.LBB287_1323:                           ;   in Loop: Header=BB287_11 Depth=1
	s_delay_alu instid0(SALU_CYCLE_1)
	s_or_b32 exec_lo, exec_lo, s19
	flat_load_b32 v0, v[70:71] offset:1028
	v_mov_b32_e32 v174, 0
	v_mov_b32_e32 v175, 0
	s_mov_b32 s8, exec_lo
	scratch_store_b64 off, v[174:175], s32 offset:1592 ; 8-byte Folded Spill
	s_waitcnt vmcnt(0) lgkmcnt(0)
	v_and_b32_e32 v1, 0xff, v0
	s_delay_alu instid0(VALU_DEP_1)
	v_cmpx_ne_u16_e32 0, v1
	s_cbranch_execz .LBB287_1331
; %bb.1324:                             ;   in Loop: Header=BB287_11 Depth=1
	v_cmp_ne_u16_e64 s1, 0x80, v1
	v_bfrev_b32_e32 v1, 1
	v_mov_b32_e32 v2, 0
	scratch_store_b64 off, v[1:2], s32 offset:1592 ; 8-byte Folded Spill
	s_and_saveexec_b32 s19, s1
	s_cbranch_execz .LBB287_1330
; %bb.1325:                             ;   in Loop: Header=BB287_11 Depth=1
	v_mov_b32_e32 v3, 0x7f800001
	v_and_b32_e32 v2, 0x7f, v0
	v_mov_b32_e32 v4, 0
	s_mov_b32 s20, exec_lo
	scratch_store_b64 off, v[3:4], s32 offset:1592 ; 8-byte Folded Spill
	v_cmpx_ne_u32_e32 0x7f, v2
	s_cbranch_execz .LBB287_1329
; %bb.1326:                             ;   in Loop: Header=BB287_11 Depth=1
	v_and_b32_e32 v140, 7, v0
	v_lshrrev_b32_e32 v1, 3, v2
	s_mov_b32 s21, exec_lo
	v_cmpx_gt_u32_e32 8, v2
; %bb.1327:                             ;   in Loop: Header=BB287_11 Depth=1
	s_delay_alu instid0(VALU_DEP_3) | instskip(NEXT) | instid1(VALU_DEP_1)
	v_clz_i32_u32_e32 v1, v140
	v_min_u32_e32 v1, 32, v1
	s_delay_alu instid0(VALU_DEP_1) | instskip(SKIP_1) | instid1(VALU_DEP_2)
	v_subrev_nc_u32_e32 v2, 28, v1
	v_sub_nc_u32_e32 v1, 29, v1
	v_lshlrev_b64 v[2:3], v2, v[140:141]
	s_delay_alu instid0(VALU_DEP_1)
	v_and_b32_e32 v140, 7, v2
; %bb.1328:                             ;   in Loop: Header=BB287_11 Depth=1
	s_or_b32 exec_lo, exec_lo, s21
	v_lshlrev_b32_e32 v2, 24, v0
	s_delay_alu instid0(VALU_DEP_2) | instskip(SKIP_1) | instid1(VALU_DEP_3)
	v_lshlrev_b32_e32 v3, 20, v140
	v_lshl_add_u32 v1, v1, 23, 0x3c000000
	v_and_b32_e32 v2, 0x80000000, v2
	s_delay_alu instid0(VALU_DEP_1)
	v_or3_b32 v140, v3, v2, v1
	scratch_store_b64 off, v[140:141], s32 offset:1592 ; 8-byte Folded Spill
.LBB287_1329:                           ;   in Loop: Header=BB287_11 Depth=1
	s_or_b32 exec_lo, exec_lo, s20
.LBB287_1330:                           ;   in Loop: Header=BB287_11 Depth=1
	s_delay_alu instid0(SALU_CYCLE_1)
	s_or_b32 exec_lo, exec_lo, s19
.LBB287_1331:                           ;   in Loop: Header=BB287_11 Depth=1
	s_delay_alu instid0(SALU_CYCLE_1) | instskip(SKIP_2) | instid1(VALU_DEP_1)
	s_or_b32 exec_lo, exec_lo, s8
	v_lshrrev_b16 v1, 8, v0
	s_mov_b32 s19, exec_lo
	v_cmpx_ne_u16_e32 0, v1
	s_cbranch_execz .LBB287_1339
; %bb.1332:                             ;   in Loop: Header=BB287_11 Depth=1
	v_dual_mov_b32 v175, s3 :: v_dual_mov_b32 v174, s2
	s_mov_b32 s20, exec_lo
	v_cmpx_ne_u16_e32 0x80, v1
	s_cbranch_execz .LBB287_1338
; %bb.1333:                             ;   in Loop: Header=BB287_11 Depth=1
	s_mov_b32 s8, s2
	v_and_b32_e32 v1, 0xffff, v1
	v_dual_mov_b32 v175, s9 :: v_dual_mov_b32 v174, s8
	s_mov_b32 s8, exec_lo
	s_delay_alu instid0(VALU_DEP_2) | instskip(NEXT) | instid1(VALU_DEP_1)
	v_and_b32_e32 v2, 0x7f, v1
	v_cmpx_ne_u32_e32 0x7f, v2
	s_cbranch_execz .LBB287_1337
; %bb.1334:                             ;   in Loop: Header=BB287_11 Depth=1
	v_and_b32_e32 v140, 7, v1
	v_lshrrev_b32_e32 v1, 3, v2
	s_mov_b32 s21, exec_lo
	v_cmpx_gt_u32_e32 8, v2
; %bb.1335:                             ;   in Loop: Header=BB287_11 Depth=1
	s_delay_alu instid0(VALU_DEP_3) | instskip(NEXT) | instid1(VALU_DEP_1)
	v_clz_i32_u32_e32 v1, v140
	v_min_u32_e32 v1, 32, v1
	s_delay_alu instid0(VALU_DEP_1) | instskip(SKIP_1) | instid1(VALU_DEP_2)
	v_subrev_nc_u32_e32 v2, 28, v1
	v_sub_nc_u32_e32 v1, 29, v1
	v_lshlrev_b64 v[2:3], v2, v[140:141]
	s_delay_alu instid0(VALU_DEP_1)
	v_and_b32_e32 v140, 7, v2
; %bb.1336:                             ;   in Loop: Header=BB287_11 Depth=1
	s_or_b32 exec_lo, exec_lo, s21
	v_lshlrev_b32_e32 v2, 16, v0
	s_delay_alu instid0(VALU_DEP_2) | instskip(SKIP_1) | instid1(VALU_DEP_3)
	v_dual_mov_b32 v174, v141 :: v_dual_lshlrev_b32 v3, 20, v140
	v_lshl_add_u32 v1, v1, 23, 0x3c000000
	v_and_b32_e32 v2, 0x80000000, v2
	s_delay_alu instid0(VALU_DEP_1)
	v_or3_b32 v175, v3, v2, v1
.LBB287_1337:                           ;   in Loop: Header=BB287_11 Depth=1
	s_or_b32 exec_lo, exec_lo, s8
.LBB287_1338:                           ;   in Loop: Header=BB287_11 Depth=1
	s_delay_alu instid0(SALU_CYCLE_1)
	s_or_b32 exec_lo, exec_lo, s20
.LBB287_1339:                           ;   in Loop: Header=BB287_11 Depth=1
	s_delay_alu instid0(SALU_CYCLE_1) | instskip(SKIP_4) | instid1(VALU_DEP_3)
	s_or_b32 exec_lo, exec_lo, s19
	v_lshrrev_b32_e32 v1, 16, v0
	v_mov_b32_e32 v186, 0
	v_mov_b32_e32 v187, 0
	s_mov_b32 s8, exec_lo
	v_and_b32_e32 v2, 0xff, v1
	scratch_store_b64 off, v[186:187], s32 offset:1600 ; 8-byte Folded Spill
	v_cmpx_ne_u16_e32 0, v2
	s_cbranch_execz .LBB287_1347
; %bb.1340:                             ;   in Loop: Header=BB287_11 Depth=1
	v_cmp_ne_u16_e64 s1, 0x80, v2
	v_bfrev_b32_e32 v2, 1
	v_mov_b32_e32 v3, 0
	scratch_store_b64 off, v[2:3], s32 offset:1600 ; 8-byte Folded Spill
	s_and_saveexec_b32 s19, s1
	s_cbranch_execz .LBB287_1346
; %bb.1341:                             ;   in Loop: Header=BB287_11 Depth=1
	v_mov_b32_e32 v4, 0x7f800001
	v_bfe_u32 v3, v0, 16, 7
	v_mov_b32_e32 v5, 0
	s_mov_b32 s20, exec_lo
	scratch_store_b64 off, v[4:5], s32 offset:1600 ; 8-byte Folded Spill
	v_cmpx_ne_u32_e32 0x7f, v3
	s_cbranch_execz .LBB287_1345
; %bb.1342:                             ;   in Loop: Header=BB287_11 Depth=1
	v_and_b32_e32 v140, 7, v1
	v_lshrrev_b32_e32 v2, 3, v3
	s_mov_b32 s21, exec_lo
	v_cmpx_gt_u32_e32 8, v3
; %bb.1343:                             ;   in Loop: Header=BB287_11 Depth=1
	s_delay_alu instid0(VALU_DEP_3) | instskip(NEXT) | instid1(VALU_DEP_1)
	v_clz_i32_u32_e32 v2, v140
	v_min_u32_e32 v2, 32, v2
	s_delay_alu instid0(VALU_DEP_1) | instskip(SKIP_1) | instid1(VALU_DEP_2)
	v_subrev_nc_u32_e32 v3, 28, v2
	v_sub_nc_u32_e32 v2, 29, v2
	v_lshlrev_b64 v[3:4], v3, v[140:141]
	s_delay_alu instid0(VALU_DEP_1)
	v_and_b32_e32 v140, 7, v3
; %bb.1344:                             ;   in Loop: Header=BB287_11 Depth=1
	s_or_b32 exec_lo, exec_lo, s21
	v_lshlrev_b32_e32 v1, 24, v1
	s_delay_alu instid0(VALU_DEP_2) | instskip(SKIP_1) | instid1(VALU_DEP_3)
	v_lshlrev_b32_e32 v3, 20, v140
	v_lshl_add_u32 v2, v2, 23, 0x3c000000
	v_and_b32_e32 v1, 0x80000000, v1
	s_delay_alu instid0(VALU_DEP_1)
	v_or3_b32 v140, v3, v1, v2
	scratch_store_b64 off, v[140:141], s32 offset:1600 ; 8-byte Folded Spill
.LBB287_1345:                           ;   in Loop: Header=BB287_11 Depth=1
	s_or_b32 exec_lo, exec_lo, s20
.LBB287_1346:                           ;   in Loop: Header=BB287_11 Depth=1
	s_delay_alu instid0(SALU_CYCLE_1)
	s_or_b32 exec_lo, exec_lo, s19
.LBB287_1347:                           ;   in Loop: Header=BB287_11 Depth=1
	s_delay_alu instid0(SALU_CYCLE_1) | instskip(NEXT) | instid1(SALU_CYCLE_1)
	s_or_b32 exec_lo, exec_lo, s8
	s_mov_b32 s19, exec_lo
	v_cmpx_lt_u32_e32 0xffffff, v0
	s_cbranch_execz .LBB287_1355
; %bb.1348:                             ;   in Loop: Header=BB287_11 Depth=1
	v_lshrrev_b32_e32 v2, 24, v0
	v_dual_mov_b32 v187, s3 :: v_dual_mov_b32 v186, s2
	s_mov_b32 s20, exec_lo
	s_delay_alu instid0(VALU_DEP_2)
	v_cmpx_ne_u32_e32 0x80, v2
	s_cbranch_execz .LBB287_1354
; %bb.1349:                             ;   in Loop: Header=BB287_11 Depth=1
	s_mov_b32 s8, s2
	v_bfe_u32 v0, v0, 24, 7
	v_dual_mov_b32 v187, s9 :: v_dual_mov_b32 v186, s8
	s_mov_b32 s8, exec_lo
	s_delay_alu instid0(VALU_DEP_2)
	v_cmpx_ne_u32_e32 0x7f, v0
	s_cbranch_execz .LBB287_1353
; %bb.1350:                             ;   in Loop: Header=BB287_11 Depth=1
	v_and_b32_e32 v140, 7, v2
	v_lshrrev_b32_e32 v3, 3, v0
	v_cmp_gt_u32_e64 s1, 8, v0
	s_delay_alu instid0(VALU_DEP_3) | instskip(NEXT) | instid1(VALU_DEP_2)
	v_dual_mov_b32 v0, v140 :: v_dual_mov_b32 v1, v141
	s_and_saveexec_b32 s21, s1
; %bb.1351:                             ;   in Loop: Header=BB287_11 Depth=1
	v_clz_i32_u32_e32 v0, v140
	s_delay_alu instid0(VALU_DEP_1) | instskip(NEXT) | instid1(VALU_DEP_1)
	v_min_u32_e32 v3, 32, v0
	v_subrev_nc_u32_e32 v0, 28, v3
	v_sub_nc_u32_e32 v3, 29, v3
	s_delay_alu instid0(VALU_DEP_2) | instskip(NEXT) | instid1(VALU_DEP_1)
	v_lshlrev_b64 v[0:1], v0, v[140:141]
	v_and_b32_e32 v0, 7, v0
; %bb.1352:                             ;   in Loop: Header=BB287_11 Depth=1
	s_or_b32 exec_lo, exec_lo, s21
	v_dual_mov_b32 v186, v141 :: v_dual_lshlrev_b32 v1, 24, v2
	s_delay_alu instid0(VALU_DEP_2) | instskip(SKIP_1) | instid1(VALU_DEP_3)
	v_lshlrev_b32_e32 v0, 20, v0
	v_lshl_add_u32 v2, v3, 23, 0x3c000000
	v_and_b32_e32 v1, 0x80000000, v1
	s_delay_alu instid0(VALU_DEP_1)
	v_or3_b32 v187, v0, v1, v2
.LBB287_1353:                           ;   in Loop: Header=BB287_11 Depth=1
	s_or_b32 exec_lo, exec_lo, s8
.LBB287_1354:                           ;   in Loop: Header=BB287_11 Depth=1
	s_delay_alu instid0(SALU_CYCLE_1)
	s_or_b32 exec_lo, exec_lo, s20
.LBB287_1355:                           ;   in Loop: Header=BB287_11 Depth=1
	s_delay_alu instid0(SALU_CYCLE_1)
	s_or_b32 exec_lo, exec_lo, s19
	flat_load_b32 v2, v[70:71] offset:1032
	v_mov_b32_e32 v190, 0
	v_mov_b32_e32 v191, 0
	s_mov_b32 s8, exec_lo
	s_waitcnt vmcnt(0) lgkmcnt(0)
	v_and_b32_e32 v0, 0xff, v2
	scratch_store_b64 off, v[190:191], s32 offset:1608 ; 8-byte Folded Spill
	v_cmpx_ne_u16_e32 0, v0
	s_cbranch_execz .LBB287_1363
; %bb.1356:                             ;   in Loop: Header=BB287_11 Depth=1
	v_cmp_ne_u16_e64 s1, 0x80, v0
	v_bfrev_b32_e32 v0, 1
	v_mov_b32_e32 v1, 0
	scratch_store_b64 off, v[0:1], s32 offset:1608 ; 8-byte Folded Spill
	s_and_saveexec_b32 s19, s1
	s_cbranch_execz .LBB287_1362
; %bb.1357:                             ;   in Loop: Header=BB287_11 Depth=1
	v_mov_b32_e32 v3, 0x7f800001
	v_and_b32_e32 v0, 0x7f, v2
	v_mov_b32_e32 v4, 0
	s_mov_b32 s20, exec_lo
	scratch_store_b64 off, v[3:4], s32 offset:1608 ; 8-byte Folded Spill
	v_cmpx_ne_u32_e32 0x7f, v0
	s_cbranch_execz .LBB287_1361
; %bb.1358:                             ;   in Loop: Header=BB287_11 Depth=1
	v_and_b32_e32 v140, 7, v2
	v_lshrrev_b32_e32 v3, 3, v0
	v_cmp_gt_u32_e64 s1, 8, v0
	s_delay_alu instid0(VALU_DEP_3) | instskip(NEXT) | instid1(VALU_DEP_2)
	v_dual_mov_b32 v0, v140 :: v_dual_mov_b32 v1, v141
	s_and_saveexec_b32 s21, s1
; %bb.1359:                             ;   in Loop: Header=BB287_11 Depth=1
	v_clz_i32_u32_e32 v0, v140
	s_delay_alu instid0(VALU_DEP_1) | instskip(NEXT) | instid1(VALU_DEP_1)
	v_min_u32_e32 v3, 32, v0
	v_subrev_nc_u32_e32 v0, 28, v3
	v_sub_nc_u32_e32 v3, 29, v3
	s_delay_alu instid0(VALU_DEP_2) | instskip(NEXT) | instid1(VALU_DEP_1)
	v_lshlrev_b64 v[0:1], v0, v[140:141]
	v_and_b32_e32 v0, 7, v0
; %bb.1360:                             ;   in Loop: Header=BB287_11 Depth=1
	s_or_b32 exec_lo, exec_lo, s21
	v_lshlrev_b32_e32 v1, 24, v2
	s_delay_alu instid0(VALU_DEP_2) | instskip(SKIP_1) | instid1(VALU_DEP_3)
	v_lshlrev_b32_e32 v0, 20, v0
	v_lshl_add_u32 v3, v3, 23, 0x3c000000
	v_and_b32_e32 v1, 0x80000000, v1
	s_delay_alu instid0(VALU_DEP_1)
	v_or3_b32 v140, v0, v1, v3
	scratch_store_b64 off, v[140:141], s32 offset:1608 ; 8-byte Folded Spill
.LBB287_1361:                           ;   in Loop: Header=BB287_11 Depth=1
	s_or_b32 exec_lo, exec_lo, s20
.LBB287_1362:                           ;   in Loop: Header=BB287_11 Depth=1
	s_delay_alu instid0(SALU_CYCLE_1)
	s_or_b32 exec_lo, exec_lo, s19
.LBB287_1363:                           ;   in Loop: Header=BB287_11 Depth=1
	s_delay_alu instid0(SALU_CYCLE_1) | instskip(SKIP_2) | instid1(VALU_DEP_1)
	s_or_b32 exec_lo, exec_lo, s8
	v_lshrrev_b16 v0, 8, v2
	s_mov_b32 s19, exec_lo
	v_cmpx_ne_u16_e32 0, v0
	s_cbranch_execz .LBB287_1371
; %bb.1364:                             ;   in Loop: Header=BB287_11 Depth=1
	v_dual_mov_b32 v191, s3 :: v_dual_mov_b32 v190, s2
	s_mov_b32 s20, exec_lo
	v_cmpx_ne_u16_e32 0x80, v0
	s_cbranch_execz .LBB287_1370
; %bb.1365:                             ;   in Loop: Header=BB287_11 Depth=1
	s_mov_b32 s8, s2
	v_and_b32_e32 v1, 0xffff, v0
	v_dual_mov_b32 v191, s9 :: v_dual_mov_b32 v190, s8
	s_mov_b32 s8, exec_lo
	s_delay_alu instid0(VALU_DEP_2) | instskip(NEXT) | instid1(VALU_DEP_1)
	v_and_b32_e32 v0, 0x7f, v1
	v_cmpx_ne_u32_e32 0x7f, v0
	s_cbranch_execz .LBB287_1369
; %bb.1366:                             ;   in Loop: Header=BB287_11 Depth=1
	v_and_b32_e32 v140, 7, v1
	v_lshrrev_b32_e32 v3, 3, v0
	v_cmp_gt_u32_e64 s1, 8, v0
	s_delay_alu instid0(VALU_DEP_3) | instskip(NEXT) | instid1(VALU_DEP_2)
	v_dual_mov_b32 v0, v140 :: v_dual_mov_b32 v1, v141
	s_and_saveexec_b32 s21, s1
; %bb.1367:                             ;   in Loop: Header=BB287_11 Depth=1
	v_clz_i32_u32_e32 v0, v140
	s_delay_alu instid0(VALU_DEP_1) | instskip(NEXT) | instid1(VALU_DEP_1)
	v_min_u32_e32 v3, 32, v0
	v_subrev_nc_u32_e32 v0, 28, v3
	v_sub_nc_u32_e32 v3, 29, v3
	s_delay_alu instid0(VALU_DEP_2) | instskip(NEXT) | instid1(VALU_DEP_1)
	v_lshlrev_b64 v[0:1], v0, v[140:141]
	v_and_b32_e32 v0, 7, v0
; %bb.1368:                             ;   in Loop: Header=BB287_11 Depth=1
	s_or_b32 exec_lo, exec_lo, s21
	v_dual_mov_b32 v190, v141 :: v_dual_lshlrev_b32 v1, 16, v2
	s_delay_alu instid0(VALU_DEP_2) | instskip(SKIP_1) | instid1(VALU_DEP_3)
	v_lshlrev_b32_e32 v0, 20, v0
	v_lshl_add_u32 v3, v3, 23, 0x3c000000
	v_and_b32_e32 v1, 0x80000000, v1
	s_delay_alu instid0(VALU_DEP_1)
	v_or3_b32 v191, v0, v1, v3
.LBB287_1369:                           ;   in Loop: Header=BB287_11 Depth=1
	s_or_b32 exec_lo, exec_lo, s8
.LBB287_1370:                           ;   in Loop: Header=BB287_11 Depth=1
	s_delay_alu instid0(SALU_CYCLE_1)
	s_or_b32 exec_lo, exec_lo, s20
.LBB287_1371:                           ;   in Loop: Header=BB287_11 Depth=1
	s_delay_alu instid0(SALU_CYCLE_1) | instskip(SKIP_4) | instid1(VALU_DEP_3)
	s_or_b32 exec_lo, exec_lo, s19
	v_lshrrev_b32_e32 v3, 16, v2
	v_mov_b32_e32 v122, 0
	v_mov_b32_e32 v123, 0
	s_mov_b32 s8, exec_lo
	v_and_b32_e32 v0, 0xff, v3
	scratch_store_b64 off, v[122:123], s32 offset:1616 ; 8-byte Folded Spill
	v_cmpx_ne_u16_e32 0, v0
	s_cbranch_execz .LBB287_1379
; %bb.1372:                             ;   in Loop: Header=BB287_11 Depth=1
	v_cmp_ne_u16_e64 s1, 0x80, v0
	v_bfrev_b32_e32 v0, 1
	v_mov_b32_e32 v1, 0
	scratch_store_b64 off, v[0:1], s32 offset:1616 ; 8-byte Folded Spill
	s_and_saveexec_b32 s19, s1
	s_cbranch_execz .LBB287_1378
; %bb.1373:                             ;   in Loop: Header=BB287_11 Depth=1
	v_mov_b32_e32 v4, 0x7f800001
	v_bfe_u32 v0, v2, 16, 7
	v_mov_b32_e32 v5, 0
	s_mov_b32 s20, exec_lo
	scratch_store_b64 off, v[4:5], s32 offset:1616 ; 8-byte Folded Spill
	v_cmpx_ne_u32_e32 0x7f, v0
	s_cbranch_execz .LBB287_1377
; %bb.1374:                             ;   in Loop: Header=BB287_11 Depth=1
	v_and_b32_e32 v140, 7, v3
	v_lshrrev_b32_e32 v6, 3, v0
	v_cmp_gt_u32_e64 s1, 8, v0
	s_delay_alu instid0(VALU_DEP_3) | instskip(NEXT) | instid1(VALU_DEP_2)
	v_dual_mov_b32 v0, v140 :: v_dual_mov_b32 v1, v141
	s_and_saveexec_b32 s21, s1
; %bb.1375:                             ;   in Loop: Header=BB287_11 Depth=1
	v_clz_i32_u32_e32 v0, v140
	s_delay_alu instid0(VALU_DEP_1) | instskip(NEXT) | instid1(VALU_DEP_1)
	v_min_u32_e32 v6, 32, v0
	v_subrev_nc_u32_e32 v0, 28, v6
	v_sub_nc_u32_e32 v6, 29, v6
	s_delay_alu instid0(VALU_DEP_2) | instskip(NEXT) | instid1(VALU_DEP_1)
	v_lshlrev_b64 v[0:1], v0, v[140:141]
	v_and_b32_e32 v0, 7, v0
; %bb.1376:                             ;   in Loop: Header=BB287_11 Depth=1
	s_or_b32 exec_lo, exec_lo, s21
	v_lshlrev_b32_e32 v1, 24, v3
	s_delay_alu instid0(VALU_DEP_2) | instskip(SKIP_1) | instid1(VALU_DEP_3)
	v_lshlrev_b32_e32 v0, 20, v0
	v_lshl_add_u32 v3, v6, 23, 0x3c000000
	v_and_b32_e32 v1, 0x80000000, v1
	s_delay_alu instid0(VALU_DEP_1)
	v_or3_b32 v140, v0, v1, v3
	scratch_store_b64 off, v[140:141], s32 offset:1616 ; 8-byte Folded Spill
.LBB287_1377:                           ;   in Loop: Header=BB287_11 Depth=1
	s_or_b32 exec_lo, exec_lo, s20
.LBB287_1378:                           ;   in Loop: Header=BB287_11 Depth=1
	s_delay_alu instid0(SALU_CYCLE_1)
	s_or_b32 exec_lo, exec_lo, s19
.LBB287_1379:                           ;   in Loop: Header=BB287_11 Depth=1
	s_delay_alu instid0(SALU_CYCLE_1) | instskip(NEXT) | instid1(SALU_CYCLE_1)
	s_or_b32 exec_lo, exec_lo, s8
	s_mov_b32 s19, exec_lo
	v_cmpx_lt_u32_e32 0xffffff, v2
	s_cbranch_execz .LBB287_1387
; %bb.1380:                             ;   in Loop: Header=BB287_11 Depth=1
	v_lshrrev_b32_e32 v3, 24, v2
	v_dual_mov_b32 v123, s3 :: v_dual_mov_b32 v122, s2
	s_mov_b32 s20, exec_lo
	s_delay_alu instid0(VALU_DEP_2)
	v_cmpx_ne_u32_e32 0x80, v3
	s_cbranch_execz .LBB287_1386
; %bb.1381:                             ;   in Loop: Header=BB287_11 Depth=1
	s_mov_b32 s8, s2
	v_bfe_u32 v0, v2, 24, 7
	v_dual_mov_b32 v123, s9 :: v_dual_mov_b32 v122, s8
	s_mov_b32 s8, exec_lo
	s_delay_alu instid0(VALU_DEP_2)
	v_cmpx_ne_u32_e32 0x7f, v0
	s_cbranch_execz .LBB287_1385
; %bb.1382:                             ;   in Loop: Header=BB287_11 Depth=1
	v_and_b32_e32 v140, 7, v3
	v_lshrrev_b32_e32 v2, 3, v0
	v_cmp_gt_u32_e64 s1, 8, v0
	s_delay_alu instid0(VALU_DEP_3) | instskip(NEXT) | instid1(VALU_DEP_2)
	v_dual_mov_b32 v0, v140 :: v_dual_mov_b32 v1, v141
	s_and_saveexec_b32 s21, s1
; %bb.1383:                             ;   in Loop: Header=BB287_11 Depth=1
	v_clz_i32_u32_e32 v0, v140
	s_delay_alu instid0(VALU_DEP_1) | instskip(NEXT) | instid1(VALU_DEP_1)
	v_min_u32_e32 v2, 32, v0
	v_subrev_nc_u32_e32 v0, 28, v2
	v_sub_nc_u32_e32 v2, 29, v2
	s_delay_alu instid0(VALU_DEP_2) | instskip(NEXT) | instid1(VALU_DEP_1)
	v_lshlrev_b64 v[0:1], v0, v[140:141]
	v_and_b32_e32 v0, 7, v0
; %bb.1384:                             ;   in Loop: Header=BB287_11 Depth=1
	s_or_b32 exec_lo, exec_lo, s21
	v_dual_mov_b32 v122, v141 :: v_dual_lshlrev_b32 v1, 24, v3
	s_delay_alu instid0(VALU_DEP_2) | instskip(SKIP_1) | instid1(VALU_DEP_3)
	v_lshlrev_b32_e32 v0, 20, v0
	v_lshl_add_u32 v2, v2, 23, 0x3c000000
	v_and_b32_e32 v1, 0x80000000, v1
	s_delay_alu instid0(VALU_DEP_1)
	v_or3_b32 v123, v0, v1, v2
.LBB287_1385:                           ;   in Loop: Header=BB287_11 Depth=1
	s_or_b32 exec_lo, exec_lo, s8
.LBB287_1386:                           ;   in Loop: Header=BB287_11 Depth=1
	s_delay_alu instid0(SALU_CYCLE_1)
	s_or_b32 exec_lo, exec_lo, s20
.LBB287_1387:                           ;   in Loop: Header=BB287_11 Depth=1
	s_delay_alu instid0(SALU_CYCLE_1)
	s_or_b32 exec_lo, exec_lo, s19
	flat_load_b32 v2, v[70:71] offset:1036
	v_mov_b32_e32 v128, 0
	v_mov_b32_e32 v129, 0
	s_mov_b32 s8, exec_lo
	s_waitcnt vmcnt(0) lgkmcnt(0)
	v_and_b32_e32 v0, 0xff, v2
	scratch_store_b64 off, v[128:129], s32 offset:1624 ; 8-byte Folded Spill
	v_cmpx_ne_u16_e32 0, v0
	s_cbranch_execz .LBB287_1395
; %bb.1388:                             ;   in Loop: Header=BB287_11 Depth=1
	v_cmp_ne_u16_e64 s1, 0x80, v0
	v_bfrev_b32_e32 v0, 1
	v_mov_b32_e32 v1, 0
	scratch_store_b64 off, v[0:1], s32 offset:1624 ; 8-byte Folded Spill
	s_and_saveexec_b32 s19, s1
	s_cbranch_execz .LBB287_1394
; %bb.1389:                             ;   in Loop: Header=BB287_11 Depth=1
	v_mov_b32_e32 v3, 0x7f800001
	v_and_b32_e32 v0, 0x7f, v2
	v_mov_b32_e32 v4, 0
	s_mov_b32 s20, exec_lo
	scratch_store_b64 off, v[3:4], s32 offset:1624 ; 8-byte Folded Spill
	v_cmpx_ne_u32_e32 0x7f, v0
	s_cbranch_execz .LBB287_1393
; %bb.1390:                             ;   in Loop: Header=BB287_11 Depth=1
	v_and_b32_e32 v140, 7, v2
	v_lshrrev_b32_e32 v3, 3, v0
	v_cmp_gt_u32_e64 s1, 8, v0
	s_delay_alu instid0(VALU_DEP_3) | instskip(NEXT) | instid1(VALU_DEP_2)
	v_dual_mov_b32 v0, v140 :: v_dual_mov_b32 v1, v141
	s_and_saveexec_b32 s21, s1
; %bb.1391:                             ;   in Loop: Header=BB287_11 Depth=1
	v_clz_i32_u32_e32 v0, v140
	s_delay_alu instid0(VALU_DEP_1) | instskip(NEXT) | instid1(VALU_DEP_1)
	v_min_u32_e32 v3, 32, v0
	v_subrev_nc_u32_e32 v0, 28, v3
	v_sub_nc_u32_e32 v3, 29, v3
	s_delay_alu instid0(VALU_DEP_2) | instskip(NEXT) | instid1(VALU_DEP_1)
	v_lshlrev_b64 v[0:1], v0, v[140:141]
	v_and_b32_e32 v0, 7, v0
; %bb.1392:                             ;   in Loop: Header=BB287_11 Depth=1
	s_or_b32 exec_lo, exec_lo, s21
	v_lshlrev_b32_e32 v1, 24, v2
	s_delay_alu instid0(VALU_DEP_2) | instskip(SKIP_1) | instid1(VALU_DEP_3)
	v_lshlrev_b32_e32 v0, 20, v0
	v_lshl_add_u32 v3, v3, 23, 0x3c000000
	v_and_b32_e32 v1, 0x80000000, v1
	s_delay_alu instid0(VALU_DEP_1)
	v_or3_b32 v140, v0, v1, v3
	scratch_store_b64 off, v[140:141], s32 offset:1624 ; 8-byte Folded Spill
.LBB287_1393:                           ;   in Loop: Header=BB287_11 Depth=1
	s_or_b32 exec_lo, exec_lo, s20
.LBB287_1394:                           ;   in Loop: Header=BB287_11 Depth=1
	s_delay_alu instid0(SALU_CYCLE_1)
	s_or_b32 exec_lo, exec_lo, s19
.LBB287_1395:                           ;   in Loop: Header=BB287_11 Depth=1
	s_delay_alu instid0(SALU_CYCLE_1) | instskip(SKIP_2) | instid1(VALU_DEP_1)
	s_or_b32 exec_lo, exec_lo, s8
	v_lshrrev_b16 v0, 8, v2
	s_mov_b32 s19, exec_lo
	v_cmpx_ne_u16_e32 0, v0
	s_cbranch_execz .LBB287_1403
; %bb.1396:                             ;   in Loop: Header=BB287_11 Depth=1
	v_dual_mov_b32 v129, s3 :: v_dual_mov_b32 v128, s2
	s_mov_b32 s20, exec_lo
	v_cmpx_ne_u16_e32 0x80, v0
	s_cbranch_execz .LBB287_1402
; %bb.1397:                             ;   in Loop: Header=BB287_11 Depth=1
	s_mov_b32 s8, s2
	v_and_b32_e32 v1, 0xffff, v0
	v_dual_mov_b32 v129, s9 :: v_dual_mov_b32 v128, s8
	s_mov_b32 s8, exec_lo
	s_delay_alu instid0(VALU_DEP_2) | instskip(NEXT) | instid1(VALU_DEP_1)
	v_and_b32_e32 v0, 0x7f, v1
	v_cmpx_ne_u32_e32 0x7f, v0
	s_cbranch_execz .LBB287_1401
; %bb.1398:                             ;   in Loop: Header=BB287_11 Depth=1
	v_and_b32_e32 v140, 7, v1
	v_lshrrev_b32_e32 v3, 3, v0
	v_cmp_gt_u32_e64 s1, 8, v0
	s_delay_alu instid0(VALU_DEP_3) | instskip(NEXT) | instid1(VALU_DEP_2)
	v_dual_mov_b32 v0, v140 :: v_dual_mov_b32 v1, v141
	s_and_saveexec_b32 s21, s1
; %bb.1399:                             ;   in Loop: Header=BB287_11 Depth=1
	v_clz_i32_u32_e32 v0, v140
	s_delay_alu instid0(VALU_DEP_1) | instskip(NEXT) | instid1(VALU_DEP_1)
	v_min_u32_e32 v3, 32, v0
	v_subrev_nc_u32_e32 v0, 28, v3
	v_sub_nc_u32_e32 v3, 29, v3
	s_delay_alu instid0(VALU_DEP_2) | instskip(NEXT) | instid1(VALU_DEP_1)
	v_lshlrev_b64 v[0:1], v0, v[140:141]
	v_and_b32_e32 v0, 7, v0
; %bb.1400:                             ;   in Loop: Header=BB287_11 Depth=1
	s_or_b32 exec_lo, exec_lo, s21
	v_dual_mov_b32 v128, v141 :: v_dual_lshlrev_b32 v1, 16, v2
	s_delay_alu instid0(VALU_DEP_2) | instskip(SKIP_1) | instid1(VALU_DEP_3)
	v_lshlrev_b32_e32 v0, 20, v0
	v_lshl_add_u32 v3, v3, 23, 0x3c000000
	v_and_b32_e32 v1, 0x80000000, v1
	s_delay_alu instid0(VALU_DEP_1)
	v_or3_b32 v129, v0, v1, v3
.LBB287_1401:                           ;   in Loop: Header=BB287_11 Depth=1
	s_or_b32 exec_lo, exec_lo, s8
.LBB287_1402:                           ;   in Loop: Header=BB287_11 Depth=1
	s_delay_alu instid0(SALU_CYCLE_1)
	s_or_b32 exec_lo, exec_lo, s20
.LBB287_1403:                           ;   in Loop: Header=BB287_11 Depth=1
	s_delay_alu instid0(SALU_CYCLE_1) | instskip(SKIP_4) | instid1(VALU_DEP_3)
	s_or_b32 exec_lo, exec_lo, s19
	v_lshrrev_b32_e32 v3, 16, v2
	v_mov_b32_e32 v132, 0
	v_mov_b32_e32 v133, 0
	s_mov_b32 s8, exec_lo
	v_and_b32_e32 v0, 0xff, v3
	scratch_store_b64 off, v[132:133], s32 offset:1632 ; 8-byte Folded Spill
	v_cmpx_ne_u16_e32 0, v0
	s_cbranch_execz .LBB287_1411
; %bb.1404:                             ;   in Loop: Header=BB287_11 Depth=1
	v_cmp_ne_u16_e64 s1, 0x80, v0
	v_bfrev_b32_e32 v0, 1
	v_mov_b32_e32 v1, 0
	scratch_store_b64 off, v[0:1], s32 offset:1632 ; 8-byte Folded Spill
	s_and_saveexec_b32 s19, s1
	s_cbranch_execz .LBB287_1410
; %bb.1405:                             ;   in Loop: Header=BB287_11 Depth=1
	v_mov_b32_e32 v4, 0x7f800001
	v_bfe_u32 v0, v2, 16, 7
	v_mov_b32_e32 v5, 0
	s_mov_b32 s20, exec_lo
	scratch_store_b64 off, v[4:5], s32 offset:1632 ; 8-byte Folded Spill
	v_cmpx_ne_u32_e32 0x7f, v0
	s_cbranch_execz .LBB287_1409
; %bb.1406:                             ;   in Loop: Header=BB287_11 Depth=1
	v_and_b32_e32 v140, 7, v3
	v_lshrrev_b32_e32 v6, 3, v0
	v_cmp_gt_u32_e64 s1, 8, v0
	s_delay_alu instid0(VALU_DEP_3) | instskip(NEXT) | instid1(VALU_DEP_2)
	v_dual_mov_b32 v0, v140 :: v_dual_mov_b32 v1, v141
	s_and_saveexec_b32 s21, s1
; %bb.1407:                             ;   in Loop: Header=BB287_11 Depth=1
	v_clz_i32_u32_e32 v0, v140
	s_delay_alu instid0(VALU_DEP_1) | instskip(NEXT) | instid1(VALU_DEP_1)
	v_min_u32_e32 v6, 32, v0
	v_subrev_nc_u32_e32 v0, 28, v6
	v_sub_nc_u32_e32 v6, 29, v6
	s_delay_alu instid0(VALU_DEP_2) | instskip(NEXT) | instid1(VALU_DEP_1)
	v_lshlrev_b64 v[0:1], v0, v[140:141]
	v_and_b32_e32 v0, 7, v0
; %bb.1408:                             ;   in Loop: Header=BB287_11 Depth=1
	s_or_b32 exec_lo, exec_lo, s21
	v_lshlrev_b32_e32 v1, 24, v3
	s_delay_alu instid0(VALU_DEP_2) | instskip(SKIP_1) | instid1(VALU_DEP_3)
	v_lshlrev_b32_e32 v0, 20, v0
	v_lshl_add_u32 v3, v6, 23, 0x3c000000
	v_and_b32_e32 v1, 0x80000000, v1
	s_delay_alu instid0(VALU_DEP_1)
	v_or3_b32 v140, v0, v1, v3
	scratch_store_b64 off, v[140:141], s32 offset:1632 ; 8-byte Folded Spill
.LBB287_1409:                           ;   in Loop: Header=BB287_11 Depth=1
	s_or_b32 exec_lo, exec_lo, s20
.LBB287_1410:                           ;   in Loop: Header=BB287_11 Depth=1
	s_delay_alu instid0(SALU_CYCLE_1)
	s_or_b32 exec_lo, exec_lo, s19
.LBB287_1411:                           ;   in Loop: Header=BB287_11 Depth=1
	s_delay_alu instid0(SALU_CYCLE_1) | instskip(NEXT) | instid1(SALU_CYCLE_1)
	s_or_b32 exec_lo, exec_lo, s8
	s_mov_b32 s19, exec_lo
	v_cmpx_lt_u32_e32 0xffffff, v2
	s_cbranch_execz .LBB287_1419
; %bb.1412:                             ;   in Loop: Header=BB287_11 Depth=1
	v_lshrrev_b32_e32 v3, 24, v2
	v_dual_mov_b32 v133, s3 :: v_dual_mov_b32 v132, s2
	s_mov_b32 s20, exec_lo
	s_delay_alu instid0(VALU_DEP_2)
	v_cmpx_ne_u32_e32 0x80, v3
	s_cbranch_execz .LBB287_1418
; %bb.1413:                             ;   in Loop: Header=BB287_11 Depth=1
	s_mov_b32 s8, s2
	v_bfe_u32 v0, v2, 24, 7
	v_dual_mov_b32 v133, s9 :: v_dual_mov_b32 v132, s8
	s_mov_b32 s8, exec_lo
	s_delay_alu instid0(VALU_DEP_2)
	v_cmpx_ne_u32_e32 0x7f, v0
	s_cbranch_execz .LBB287_1417
; %bb.1414:                             ;   in Loop: Header=BB287_11 Depth=1
	v_and_b32_e32 v140, 7, v3
	v_lshrrev_b32_e32 v2, 3, v0
	v_cmp_gt_u32_e64 s1, 8, v0
	s_delay_alu instid0(VALU_DEP_3) | instskip(NEXT) | instid1(VALU_DEP_2)
	v_dual_mov_b32 v0, v140 :: v_dual_mov_b32 v1, v141
	s_and_saveexec_b32 s21, s1
; %bb.1415:                             ;   in Loop: Header=BB287_11 Depth=1
	v_clz_i32_u32_e32 v0, v140
	s_delay_alu instid0(VALU_DEP_1) | instskip(NEXT) | instid1(VALU_DEP_1)
	v_min_u32_e32 v2, 32, v0
	v_subrev_nc_u32_e32 v0, 28, v2
	v_sub_nc_u32_e32 v2, 29, v2
	s_delay_alu instid0(VALU_DEP_2) | instskip(NEXT) | instid1(VALU_DEP_1)
	v_lshlrev_b64 v[0:1], v0, v[140:141]
	v_and_b32_e32 v0, 7, v0
; %bb.1416:                             ;   in Loop: Header=BB287_11 Depth=1
	s_or_b32 exec_lo, exec_lo, s21
	v_dual_mov_b32 v132, v141 :: v_dual_lshlrev_b32 v1, 24, v3
	s_delay_alu instid0(VALU_DEP_2) | instskip(SKIP_1) | instid1(VALU_DEP_3)
	v_lshlrev_b32_e32 v0, 20, v0
	v_lshl_add_u32 v2, v2, 23, 0x3c000000
	v_and_b32_e32 v1, 0x80000000, v1
	s_delay_alu instid0(VALU_DEP_1)
	v_or3_b32 v133, v0, v1, v2
.LBB287_1417:                           ;   in Loop: Header=BB287_11 Depth=1
	s_or_b32 exec_lo, exec_lo, s8
.LBB287_1418:                           ;   in Loop: Header=BB287_11 Depth=1
	s_delay_alu instid0(SALU_CYCLE_1)
	s_or_b32 exec_lo, exec_lo, s20
.LBB287_1419:                           ;   in Loop: Header=BB287_11 Depth=1
	s_delay_alu instid0(SALU_CYCLE_1)
	s_or_b32 exec_lo, exec_lo, s19
	flat_load_b32 v6, v[70:71] offset:1536
	v_mov_b32_e32 v2, 0
	v_mov_b32_e32 v3, 0
	s_mov_b32 s8, exec_lo
	s_waitcnt vmcnt(0) lgkmcnt(0)
	v_and_b32_e32 v0, 0xff, v6
	scratch_store_b64 off, v[2:3], s32 offset:1640 ; 8-byte Folded Spill
	v_cmpx_ne_u16_e32 0, v0
	s_cbranch_execz .LBB287_1427
; %bb.1420:                             ;   in Loop: Header=BB287_11 Depth=1
	v_cmp_ne_u16_e64 s1, 0x80, v0
	v_bfrev_b32_e32 v0, 1
	v_mov_b32_e32 v1, 0
	scratch_store_b64 off, v[0:1], s32 offset:1640 ; 8-byte Folded Spill
	s_and_saveexec_b32 s19, s1
	s_cbranch_execz .LBB287_1426
; %bb.1421:                             ;   in Loop: Header=BB287_11 Depth=1
	v_mov_b32_e32 v4, 0x7f800001
	v_dual_mov_b32 v5, 0 :: v_dual_and_b32 v0, 0x7f, v6
	s_mov_b32 s20, exec_lo
	scratch_store_b64 off, v[4:5], s32 offset:1640 ; 8-byte Folded Spill
	v_cmpx_ne_u32_e32 0x7f, v0
	s_cbranch_execz .LBB287_1425
; %bb.1422:                             ;   in Loop: Header=BB287_11 Depth=1
	v_and_b32_e32 v140, 7, v6
	v_lshrrev_b32_e32 v7, 3, v0
	v_cmp_gt_u32_e64 s1, 8, v0
	s_delay_alu instid0(VALU_DEP_3) | instskip(NEXT) | instid1(VALU_DEP_2)
	v_dual_mov_b32 v0, v140 :: v_dual_mov_b32 v1, v141
	s_and_saveexec_b32 s21, s1
; %bb.1423:                             ;   in Loop: Header=BB287_11 Depth=1
	v_clz_i32_u32_e32 v0, v140
	s_delay_alu instid0(VALU_DEP_1) | instskip(NEXT) | instid1(VALU_DEP_1)
	v_min_u32_e32 v7, 32, v0
	v_subrev_nc_u32_e32 v0, 28, v7
	v_sub_nc_u32_e32 v7, 29, v7
	s_delay_alu instid0(VALU_DEP_2) | instskip(NEXT) | instid1(VALU_DEP_1)
	v_lshlrev_b64 v[0:1], v0, v[140:141]
	v_and_b32_e32 v0, 7, v0
; %bb.1424:                             ;   in Loop: Header=BB287_11 Depth=1
	s_or_b32 exec_lo, exec_lo, s21
	v_lshlrev_b32_e32 v1, 24, v6
	s_delay_alu instid0(VALU_DEP_2) | instskip(SKIP_1) | instid1(VALU_DEP_3)
	v_lshlrev_b32_e32 v0, 20, v0
	v_lshl_add_u32 v4, v7, 23, 0x3c000000
	v_and_b32_e32 v1, 0x80000000, v1
	s_delay_alu instid0(VALU_DEP_1)
	v_or3_b32 v140, v0, v1, v4
	scratch_store_b64 off, v[140:141], s32 offset:1640 ; 8-byte Folded Spill
.LBB287_1425:                           ;   in Loop: Header=BB287_11 Depth=1
	s_or_b32 exec_lo, exec_lo, s20
.LBB287_1426:                           ;   in Loop: Header=BB287_11 Depth=1
	s_delay_alu instid0(SALU_CYCLE_1)
	s_or_b32 exec_lo, exec_lo, s19
.LBB287_1427:                           ;   in Loop: Header=BB287_11 Depth=1
	s_delay_alu instid0(SALU_CYCLE_1) | instskip(SKIP_2) | instid1(VALU_DEP_1)
	s_or_b32 exec_lo, exec_lo, s8
	v_lshrrev_b16 v0, 8, v6
	s_mov_b32 s19, exec_lo
	v_cmpx_ne_u16_e32 0, v0
	s_cbranch_execz .LBB287_1435
; %bb.1428:                             ;   in Loop: Header=BB287_11 Depth=1
	v_dual_mov_b32 v2, s2 :: v_dual_mov_b32 v3, s3
	s_mov_b32 s20, exec_lo
	v_cmpx_ne_u16_e32 0x80, v0
	s_cbranch_execz .LBB287_1434
; %bb.1429:                             ;   in Loop: Header=BB287_11 Depth=1
	s_mov_b32 s8, s2
	s_delay_alu instid0(SALU_CYCLE_1) | instskip(SKIP_2) | instid1(VALU_DEP_2)
	v_dual_mov_b32 v2, s8 :: v_dual_and_b32 v1, 0xffff, v0
	v_mov_b32_e32 v3, s9
	s_mov_b32 s8, exec_lo
	v_and_b32_e32 v0, 0x7f, v1
	s_delay_alu instid0(VALU_DEP_1)
	v_cmpx_ne_u32_e32 0x7f, v0
	s_cbranch_execz .LBB287_1433
; %bb.1430:                             ;   in Loop: Header=BB287_11 Depth=1
	v_and_b32_e32 v140, 7, v1
	v_lshrrev_b32_e32 v2, 3, v0
	v_cmp_gt_u32_e64 s1, 8, v0
	s_delay_alu instid0(VALU_DEP_3) | instskip(NEXT) | instid1(VALU_DEP_2)
	v_dual_mov_b32 v0, v140 :: v_dual_mov_b32 v1, v141
	s_and_saveexec_b32 s21, s1
; %bb.1431:                             ;   in Loop: Header=BB287_11 Depth=1
	v_clz_i32_u32_e32 v0, v140
	s_delay_alu instid0(VALU_DEP_1) | instskip(NEXT) | instid1(VALU_DEP_1)
	v_min_u32_e32 v2, 32, v0
	v_subrev_nc_u32_e32 v0, 28, v2
	v_sub_nc_u32_e32 v2, 29, v2
	s_delay_alu instid0(VALU_DEP_2) | instskip(NEXT) | instid1(VALU_DEP_1)
	v_lshlrev_b64 v[0:1], v0, v[140:141]
	v_and_b32_e32 v0, 7, v0
; %bb.1432:                             ;   in Loop: Header=BB287_11 Depth=1
	s_or_b32 exec_lo, exec_lo, s21
	v_lshlrev_b32_e32 v1, 16, v6
	s_delay_alu instid0(VALU_DEP_2) | instskip(SKIP_1) | instid1(VALU_DEP_3)
	v_lshlrev_b32_e32 v0, 20, v0
	v_lshl_add_u32 v2, v2, 23, 0x3c000000
	v_and_b32_e32 v1, 0x80000000, v1
	s_delay_alu instid0(VALU_DEP_1)
	v_or3_b32 v3, v0, v1, v2
	v_mov_b32_e32 v2, v141
.LBB287_1433:                           ;   in Loop: Header=BB287_11 Depth=1
	s_or_b32 exec_lo, exec_lo, s8
.LBB287_1434:                           ;   in Loop: Header=BB287_11 Depth=1
	s_delay_alu instid0(SALU_CYCLE_1)
	s_or_b32 exec_lo, exec_lo, s20
.LBB287_1435:                           ;   in Loop: Header=BB287_11 Depth=1
	s_delay_alu instid0(SALU_CYCLE_1) | instskip(SKIP_4) | instid1(VALU_DEP_3)
	s_or_b32 exec_lo, exec_lo, s19
	v_lshrrev_b32_e32 v7, 16, v6
	v_mov_b32_e32 v27, 0
	v_mov_b32_e32 v28, 0
	s_mov_b32 s8, exec_lo
	v_and_b32_e32 v0, 0xff, v7
	scratch_store_b64 off, v[27:28], s32 offset:1648 ; 8-byte Folded Spill
	v_cmpx_ne_u16_e32 0, v0
	s_cbranch_execz .LBB287_1443
; %bb.1436:                             ;   in Loop: Header=BB287_11 Depth=1
	v_cmp_ne_u16_e64 s1, 0x80, v0
	v_bfrev_b32_e32 v0, 1
	v_mov_b32_e32 v1, 0
	scratch_store_b64 off, v[0:1], s32 offset:1648 ; 8-byte Folded Spill
	s_and_saveexec_b32 s19, s1
	s_cbranch_execz .LBB287_1442
; %bb.1437:                             ;   in Loop: Header=BB287_11 Depth=1
	v_mov_b32_e32 v4, 0x7f800001
	v_bfe_u32 v0, v6, 16, 7
	v_mov_b32_e32 v5, 0
	s_mov_b32 s20, exec_lo
	scratch_store_b64 off, v[4:5], s32 offset:1648 ; 8-byte Folded Spill
	v_cmpx_ne_u32_e32 0x7f, v0
	s_cbranch_execz .LBB287_1441
; %bb.1438:                             ;   in Loop: Header=BB287_11 Depth=1
	v_and_b32_e32 v140, 7, v7
	v_lshrrev_b32_e32 v8, 3, v0
	v_cmp_gt_u32_e64 s1, 8, v0
	s_delay_alu instid0(VALU_DEP_3) | instskip(NEXT) | instid1(VALU_DEP_2)
	v_dual_mov_b32 v0, v140 :: v_dual_mov_b32 v1, v141
	s_and_saveexec_b32 s21, s1
; %bb.1439:                             ;   in Loop: Header=BB287_11 Depth=1
	v_clz_i32_u32_e32 v0, v140
	s_delay_alu instid0(VALU_DEP_1) | instskip(NEXT) | instid1(VALU_DEP_1)
	v_min_u32_e32 v8, 32, v0
	v_subrev_nc_u32_e32 v0, 28, v8
	v_sub_nc_u32_e32 v8, 29, v8
	s_delay_alu instid0(VALU_DEP_2) | instskip(NEXT) | instid1(VALU_DEP_1)
	v_lshlrev_b64 v[0:1], v0, v[140:141]
	v_and_b32_e32 v0, 7, v0
; %bb.1440:                             ;   in Loop: Header=BB287_11 Depth=1
	s_or_b32 exec_lo, exec_lo, s21
	v_lshlrev_b32_e32 v1, 24, v7
	s_delay_alu instid0(VALU_DEP_2) | instskip(SKIP_1) | instid1(VALU_DEP_3)
	v_lshlrev_b32_e32 v0, 20, v0
	v_lshl_add_u32 v4, v8, 23, 0x3c000000
	v_and_b32_e32 v1, 0x80000000, v1
	s_delay_alu instid0(VALU_DEP_1)
	v_or3_b32 v140, v0, v1, v4
	scratch_store_b64 off, v[140:141], s32 offset:1648 ; 8-byte Folded Spill
.LBB287_1441:                           ;   in Loop: Header=BB287_11 Depth=1
	s_or_b32 exec_lo, exec_lo, s20
.LBB287_1442:                           ;   in Loop: Header=BB287_11 Depth=1
	s_delay_alu instid0(SALU_CYCLE_1)
	s_or_b32 exec_lo, exec_lo, s19
.LBB287_1443:                           ;   in Loop: Header=BB287_11 Depth=1
	s_delay_alu instid0(SALU_CYCLE_1) | instskip(NEXT) | instid1(SALU_CYCLE_1)
	s_or_b32 exec_lo, exec_lo, s8
	s_mov_b32 s19, exec_lo
	v_cmpx_lt_u32_e32 0xffffff, v6
	s_cbranch_execz .LBB287_1451
; %bb.1444:                             ;   in Loop: Header=BB287_11 Depth=1
	v_lshrrev_b32_e32 v7, 24, v6
	v_dual_mov_b32 v28, s3 :: v_dual_mov_b32 v27, s2
	s_mov_b32 s20, exec_lo
	s_delay_alu instid0(VALU_DEP_2)
	v_cmpx_ne_u32_e32 0x80, v7
	s_cbranch_execz .LBB287_1450
; %bb.1445:                             ;   in Loop: Header=BB287_11 Depth=1
	s_mov_b32 s8, s2
	v_bfe_u32 v0, v6, 24, 7
	v_dual_mov_b32 v28, s9 :: v_dual_mov_b32 v27, s8
	s_mov_b32 s8, exec_lo
	s_delay_alu instid0(VALU_DEP_2)
	v_cmpx_ne_u32_e32 0x7f, v0
	s_cbranch_execz .LBB287_1449
; %bb.1446:                             ;   in Loop: Header=BB287_11 Depth=1
	v_and_b32_e32 v140, 7, v7
	v_lshrrev_b32_e32 v6, 3, v0
	v_cmp_gt_u32_e64 s1, 8, v0
	s_delay_alu instid0(VALU_DEP_3) | instskip(NEXT) | instid1(VALU_DEP_2)
	v_dual_mov_b32 v0, v140 :: v_dual_mov_b32 v1, v141
	s_and_saveexec_b32 s21, s1
; %bb.1447:                             ;   in Loop: Header=BB287_11 Depth=1
	v_clz_i32_u32_e32 v0, v140
	s_delay_alu instid0(VALU_DEP_1) | instskip(NEXT) | instid1(VALU_DEP_1)
	v_min_u32_e32 v6, 32, v0
	v_subrev_nc_u32_e32 v0, 28, v6
	v_sub_nc_u32_e32 v6, 29, v6
	s_delay_alu instid0(VALU_DEP_2) | instskip(NEXT) | instid1(VALU_DEP_1)
	v_lshlrev_b64 v[0:1], v0, v[140:141]
	v_and_b32_e32 v0, 7, v0
; %bb.1448:                             ;   in Loop: Header=BB287_11 Depth=1
	s_or_b32 exec_lo, exec_lo, s21
	v_lshlrev_b32_e32 v1, 24, v7
	s_delay_alu instid0(VALU_DEP_2) | instskip(SKIP_1) | instid1(VALU_DEP_3)
	v_dual_mov_b32 v27, v141 :: v_dual_lshlrev_b32 v0, 20, v0
	v_lshl_add_u32 v4, v6, 23, 0x3c000000
	v_and_b32_e32 v1, 0x80000000, v1
	s_delay_alu instid0(VALU_DEP_1)
	v_or3_b32 v28, v0, v1, v4
.LBB287_1449:                           ;   in Loop: Header=BB287_11 Depth=1
	s_or_b32 exec_lo, exec_lo, s8
.LBB287_1450:                           ;   in Loop: Header=BB287_11 Depth=1
	s_delay_alu instid0(SALU_CYCLE_1)
	s_or_b32 exec_lo, exec_lo, s20
.LBB287_1451:                           ;   in Loop: Header=BB287_11 Depth=1
	s_delay_alu instid0(SALU_CYCLE_1) | instskip(SKIP_4) | instid1(VALU_DEP_1)
	s_or_b32 exec_lo, exec_lo, s19
	flat_load_b32 v6, v[70:71] offset:1540
	v_mov_b32_e32 v31, 0
	v_mov_b32_e32 v32, 0
	s_mov_b32 s8, exec_lo
	v_dual_mov_b32 v157, v32 :: v_dual_mov_b32 v156, v31
	s_waitcnt vmcnt(0) lgkmcnt(0)
	v_and_b32_e32 v0, 0xff, v6
	s_delay_alu instid0(VALU_DEP_1)
	v_cmpx_ne_u16_e32 0, v0
	s_cbranch_execz .LBB287_1459
; %bb.1452:                             ;   in Loop: Header=BB287_11 Depth=1
	v_bfrev_b32_e32 v156, 1
	v_mov_b32_e32 v157, 0
	s_mov_b32 s19, exec_lo
	v_cmpx_ne_u16_e32 0x80, v0
	s_cbranch_execz .LBB287_1458
; %bb.1453:                             ;   in Loop: Header=BB287_11 Depth=1
	v_mov_b32_e32 v156, 0x7f800001
	v_dual_mov_b32 v157, 0 :: v_dual_and_b32 v0, 0x7f, v6
	s_mov_b32 s20, exec_lo
	s_delay_alu instid0(VALU_DEP_1)
	v_cmpx_ne_u32_e32 0x7f, v0
	s_cbranch_execz .LBB287_1457
; %bb.1454:                             ;   in Loop: Header=BB287_11 Depth=1
	v_and_b32_e32 v140, 7, v6
	v_lshrrev_b32_e32 v7, 3, v0
	v_cmp_gt_u32_e64 s1, 8, v0
	s_delay_alu instid0(VALU_DEP_3) | instskip(NEXT) | instid1(VALU_DEP_2)
	v_dual_mov_b32 v0, v140 :: v_dual_mov_b32 v1, v141
	s_and_saveexec_b32 s21, s1
; %bb.1455:                             ;   in Loop: Header=BB287_11 Depth=1
	v_clz_i32_u32_e32 v0, v140
	s_delay_alu instid0(VALU_DEP_1) | instskip(NEXT) | instid1(VALU_DEP_1)
	v_min_u32_e32 v7, 32, v0
	v_subrev_nc_u32_e32 v0, 28, v7
	v_sub_nc_u32_e32 v7, 29, v7
	s_delay_alu instid0(VALU_DEP_2) | instskip(NEXT) | instid1(VALU_DEP_1)
	v_lshlrev_b64 v[0:1], v0, v[140:141]
	v_and_b32_e32 v0, 7, v0
; %bb.1456:                             ;   in Loop: Header=BB287_11 Depth=1
	s_or_b32 exec_lo, exec_lo, s21
	v_lshlrev_b32_e32 v1, 24, v6
	s_delay_alu instid0(VALU_DEP_2) | instskip(SKIP_1) | instid1(VALU_DEP_3)
	v_lshlrev_b32_e32 v0, 20, v0
	v_lshl_add_u32 v4, v7, 23, 0x3c000000
	v_and_b32_e32 v1, 0x80000000, v1
	s_delay_alu instid0(VALU_DEP_1) | instskip(NEXT) | instid1(VALU_DEP_1)
	v_or3_b32 v140, v0, v1, v4
	v_dual_mov_b32 v157, v141 :: v_dual_mov_b32 v156, v140
.LBB287_1457:                           ;   in Loop: Header=BB287_11 Depth=1
	s_or_b32 exec_lo, exec_lo, s20
.LBB287_1458:                           ;   in Loop: Header=BB287_11 Depth=1
	s_delay_alu instid0(SALU_CYCLE_1)
	s_or_b32 exec_lo, exec_lo, s19
.LBB287_1459:                           ;   in Loop: Header=BB287_11 Depth=1
	s_delay_alu instid0(SALU_CYCLE_1) | instskip(SKIP_2) | instid1(VALU_DEP_1)
	s_or_b32 exec_lo, exec_lo, s8
	v_lshrrev_b16 v0, 8, v6
	s_mov_b32 s19, exec_lo
	v_cmpx_ne_u16_e32 0, v0
	s_cbranch_execz .LBB287_1467
; %bb.1460:                             ;   in Loop: Header=BB287_11 Depth=1
	v_dual_mov_b32 v32, s3 :: v_dual_mov_b32 v31, s2
	s_mov_b32 s20, exec_lo
	v_cmpx_ne_u16_e32 0x80, v0
	s_cbranch_execz .LBB287_1466
; %bb.1461:                             ;   in Loop: Header=BB287_11 Depth=1
	s_mov_b32 s8, s2
	v_dual_mov_b32 v32, s9 :: v_dual_and_b32 v1, 0xffff, v0
	v_mov_b32_e32 v31, s8
	s_mov_b32 s8, exec_lo
	s_delay_alu instid0(VALU_DEP_2) | instskip(NEXT) | instid1(VALU_DEP_1)
	v_and_b32_e32 v0, 0x7f, v1
	v_cmpx_ne_u32_e32 0x7f, v0
	s_cbranch_execz .LBB287_1465
; %bb.1462:                             ;   in Loop: Header=BB287_11 Depth=1
	v_and_b32_e32 v140, 7, v1
	v_lshrrev_b32_e32 v7, 3, v0
	v_cmp_gt_u32_e64 s1, 8, v0
	s_delay_alu instid0(VALU_DEP_3) | instskip(NEXT) | instid1(VALU_DEP_2)
	v_dual_mov_b32 v0, v140 :: v_dual_mov_b32 v1, v141
	s_and_saveexec_b32 s21, s1
; %bb.1463:                             ;   in Loop: Header=BB287_11 Depth=1
	v_clz_i32_u32_e32 v0, v140
	s_delay_alu instid0(VALU_DEP_1) | instskip(NEXT) | instid1(VALU_DEP_1)
	v_min_u32_e32 v7, 32, v0
	v_subrev_nc_u32_e32 v0, 28, v7
	v_sub_nc_u32_e32 v7, 29, v7
	s_delay_alu instid0(VALU_DEP_2) | instskip(NEXT) | instid1(VALU_DEP_1)
	v_lshlrev_b64 v[0:1], v0, v[140:141]
	v_and_b32_e32 v0, 7, v0
; %bb.1464:                             ;   in Loop: Header=BB287_11 Depth=1
	s_or_b32 exec_lo, exec_lo, s21
	v_lshlrev_b32_e32 v1, 16, v6
	s_delay_alu instid0(VALU_DEP_2) | instskip(SKIP_1) | instid1(VALU_DEP_3)
	v_dual_mov_b32 v31, v141 :: v_dual_lshlrev_b32 v0, 20, v0
	v_lshl_add_u32 v4, v7, 23, 0x3c000000
	v_and_b32_e32 v1, 0x80000000, v1
	s_delay_alu instid0(VALU_DEP_1)
	v_or3_b32 v32, v0, v1, v4
.LBB287_1465:                           ;   in Loop: Header=BB287_11 Depth=1
	s_or_b32 exec_lo, exec_lo, s8
.LBB287_1466:                           ;   in Loop: Header=BB287_11 Depth=1
	s_delay_alu instid0(SALU_CYCLE_1)
	s_or_b32 exec_lo, exec_lo, s20
.LBB287_1467:                           ;   in Loop: Header=BB287_11 Depth=1
	s_delay_alu instid0(SALU_CYCLE_1) | instskip(SKIP_4) | instid1(VALU_DEP_1)
	s_or_b32 exec_lo, exec_lo, s19
	v_lshrrev_b32_e32 v7, 16, v6
	v_mov_b32_e32 v35, 0
	v_mov_b32_e32 v36, 0
	s_mov_b32 s8, exec_lo
	v_dual_mov_b32 v173, v36 :: v_dual_and_b32 v0, 0xff, v7
	s_delay_alu instid0(VALU_DEP_3) | instskip(NEXT) | instid1(VALU_DEP_2)
	v_mov_b32_e32 v172, v35
	v_cmpx_ne_u16_e32 0, v0
	s_cbranch_execz .LBB287_1475
; %bb.1468:                             ;   in Loop: Header=BB287_11 Depth=1
	v_bfrev_b32_e32 v172, 1
	v_mov_b32_e32 v173, 0
	s_mov_b32 s19, exec_lo
	v_cmpx_ne_u16_e32 0x80, v0
	s_cbranch_execz .LBB287_1474
; %bb.1469:                             ;   in Loop: Header=BB287_11 Depth=1
	v_mov_b32_e32 v172, 0x7f800001
	v_bfe_u32 v0, v6, 16, 7
	v_mov_b32_e32 v173, 0
	s_mov_b32 s20, exec_lo
	s_delay_alu instid0(VALU_DEP_2)
	v_cmpx_ne_u32_e32 0x7f, v0
	s_cbranch_execz .LBB287_1473
; %bb.1470:                             ;   in Loop: Header=BB287_11 Depth=1
	v_and_b32_e32 v140, 7, v7
	v_lshrrev_b32_e32 v8, 3, v0
	v_cmp_gt_u32_e64 s1, 8, v0
	s_delay_alu instid0(VALU_DEP_3) | instskip(NEXT) | instid1(VALU_DEP_2)
	v_dual_mov_b32 v0, v140 :: v_dual_mov_b32 v1, v141
	s_and_saveexec_b32 s21, s1
; %bb.1471:                             ;   in Loop: Header=BB287_11 Depth=1
	v_clz_i32_u32_e32 v0, v140
	s_delay_alu instid0(VALU_DEP_1) | instskip(NEXT) | instid1(VALU_DEP_1)
	v_min_u32_e32 v8, 32, v0
	v_subrev_nc_u32_e32 v0, 28, v8
	v_sub_nc_u32_e32 v8, 29, v8
	s_delay_alu instid0(VALU_DEP_2) | instskip(NEXT) | instid1(VALU_DEP_1)
	v_lshlrev_b64 v[0:1], v0, v[140:141]
	v_and_b32_e32 v0, 7, v0
; %bb.1472:                             ;   in Loop: Header=BB287_11 Depth=1
	s_or_b32 exec_lo, exec_lo, s21
	v_lshlrev_b32_e32 v1, 24, v7
	s_delay_alu instid0(VALU_DEP_2) | instskip(SKIP_1) | instid1(VALU_DEP_3)
	v_lshlrev_b32_e32 v0, 20, v0
	v_lshl_add_u32 v4, v8, 23, 0x3c000000
	v_and_b32_e32 v1, 0x80000000, v1
	s_delay_alu instid0(VALU_DEP_1) | instskip(NEXT) | instid1(VALU_DEP_1)
	v_or3_b32 v140, v0, v1, v4
	v_dual_mov_b32 v173, v141 :: v_dual_mov_b32 v172, v140
.LBB287_1473:                           ;   in Loop: Header=BB287_11 Depth=1
	s_or_b32 exec_lo, exec_lo, s20
.LBB287_1474:                           ;   in Loop: Header=BB287_11 Depth=1
	s_delay_alu instid0(SALU_CYCLE_1)
	s_or_b32 exec_lo, exec_lo, s19
.LBB287_1475:                           ;   in Loop: Header=BB287_11 Depth=1
	s_delay_alu instid0(SALU_CYCLE_1) | instskip(NEXT) | instid1(SALU_CYCLE_1)
	s_or_b32 exec_lo, exec_lo, s8
	s_mov_b32 s19, exec_lo
	v_cmpx_lt_u32_e32 0xffffff, v6
	s_cbranch_execz .LBB287_1483
; %bb.1476:                             ;   in Loop: Header=BB287_11 Depth=1
	v_lshrrev_b32_e32 v7, 24, v6
	v_dual_mov_b32 v36, s3 :: v_dual_mov_b32 v35, s2
	s_mov_b32 s20, exec_lo
	s_delay_alu instid0(VALU_DEP_2)
	v_cmpx_ne_u32_e32 0x80, v7
	s_cbranch_execz .LBB287_1482
; %bb.1477:                             ;   in Loop: Header=BB287_11 Depth=1
	s_mov_b32 s8, s2
	v_bfe_u32 v0, v6, 24, 7
	v_dual_mov_b32 v36, s9 :: v_dual_mov_b32 v35, s8
	s_mov_b32 s8, exec_lo
	s_delay_alu instid0(VALU_DEP_2)
	v_cmpx_ne_u32_e32 0x7f, v0
	s_cbranch_execz .LBB287_1481
; %bb.1478:                             ;   in Loop: Header=BB287_11 Depth=1
	v_and_b32_e32 v140, 7, v7
	v_lshrrev_b32_e32 v6, 3, v0
	v_cmp_gt_u32_e64 s1, 8, v0
	s_delay_alu instid0(VALU_DEP_3) | instskip(NEXT) | instid1(VALU_DEP_2)
	v_dual_mov_b32 v0, v140 :: v_dual_mov_b32 v1, v141
	s_and_saveexec_b32 s21, s1
; %bb.1479:                             ;   in Loop: Header=BB287_11 Depth=1
	v_clz_i32_u32_e32 v0, v140
	s_delay_alu instid0(VALU_DEP_1) | instskip(NEXT) | instid1(VALU_DEP_1)
	v_min_u32_e32 v6, 32, v0
	v_subrev_nc_u32_e32 v0, 28, v6
	v_sub_nc_u32_e32 v6, 29, v6
	s_delay_alu instid0(VALU_DEP_2) | instskip(NEXT) | instid1(VALU_DEP_1)
	v_lshlrev_b64 v[0:1], v0, v[140:141]
	v_and_b32_e32 v0, 7, v0
; %bb.1480:                             ;   in Loop: Header=BB287_11 Depth=1
	s_or_b32 exec_lo, exec_lo, s21
	v_lshlrev_b32_e32 v1, 24, v7
	s_delay_alu instid0(VALU_DEP_2) | instskip(SKIP_1) | instid1(VALU_DEP_3)
	v_dual_mov_b32 v35, v141 :: v_dual_lshlrev_b32 v0, 20, v0
	v_lshl_add_u32 v4, v6, 23, 0x3c000000
	v_and_b32_e32 v1, 0x80000000, v1
	s_delay_alu instid0(VALU_DEP_1)
	v_or3_b32 v36, v0, v1, v4
.LBB287_1481:                           ;   in Loop: Header=BB287_11 Depth=1
	s_or_b32 exec_lo, exec_lo, s8
.LBB287_1482:                           ;   in Loop: Header=BB287_11 Depth=1
	s_delay_alu instid0(SALU_CYCLE_1)
	s_or_b32 exec_lo, exec_lo, s20
.LBB287_1483:                           ;   in Loop: Header=BB287_11 Depth=1
	s_delay_alu instid0(SALU_CYCLE_1)
	s_or_b32 exec_lo, exec_lo, s19
	flat_load_b32 v6, v[70:71] offset:1544
	v_mov_b32_e32 v92, 0
	v_mov_b32_e32 v93, 0
	s_mov_b32 s8, exec_lo
	s_waitcnt vmcnt(0) lgkmcnt(0)
	s_delay_alu instid0(VALU_DEP_1) | instskip(SKIP_1) | instid1(VALU_DEP_2)
	v_dual_mov_b32 v125, v93 :: v_dual_and_b32 v0, 0xff, v6
	v_mov_b32_e32 v124, v92
	v_cmpx_ne_u16_e32 0, v0
	s_cbranch_execz .LBB287_1491
; %bb.1484:                             ;   in Loop: Header=BB287_11 Depth=1
	v_bfrev_b32_e32 v124, 1
	v_mov_b32_e32 v125, 0
	s_mov_b32 s19, exec_lo
	v_cmpx_ne_u16_e32 0x80, v0
	s_cbranch_execz .LBB287_1490
; %bb.1485:                             ;   in Loop: Header=BB287_11 Depth=1
	v_mov_b32_e32 v124, 0x7f800001
	v_dual_mov_b32 v125, 0 :: v_dual_and_b32 v0, 0x7f, v6
	s_mov_b32 s20, exec_lo
	s_delay_alu instid0(VALU_DEP_1)
	v_cmpx_ne_u32_e32 0x7f, v0
	s_cbranch_execz .LBB287_1489
; %bb.1486:                             ;   in Loop: Header=BB287_11 Depth=1
	v_and_b32_e32 v140, 7, v6
	v_lshrrev_b32_e32 v7, 3, v0
	v_cmp_gt_u32_e64 s1, 8, v0
	s_delay_alu instid0(VALU_DEP_3) | instskip(NEXT) | instid1(VALU_DEP_2)
	v_dual_mov_b32 v0, v140 :: v_dual_mov_b32 v1, v141
	s_and_saveexec_b32 s21, s1
; %bb.1487:                             ;   in Loop: Header=BB287_11 Depth=1
	v_clz_i32_u32_e32 v0, v140
	s_delay_alu instid0(VALU_DEP_1) | instskip(NEXT) | instid1(VALU_DEP_1)
	v_min_u32_e32 v7, 32, v0
	v_subrev_nc_u32_e32 v0, 28, v7
	v_sub_nc_u32_e32 v7, 29, v7
	s_delay_alu instid0(VALU_DEP_2) | instskip(NEXT) | instid1(VALU_DEP_1)
	v_lshlrev_b64 v[0:1], v0, v[140:141]
	v_and_b32_e32 v0, 7, v0
; %bb.1488:                             ;   in Loop: Header=BB287_11 Depth=1
	s_or_b32 exec_lo, exec_lo, s21
	v_lshlrev_b32_e32 v1, 24, v6
	s_delay_alu instid0(VALU_DEP_2) | instskip(SKIP_1) | instid1(VALU_DEP_3)
	v_lshlrev_b32_e32 v0, 20, v0
	v_lshl_add_u32 v4, v7, 23, 0x3c000000
	v_and_b32_e32 v1, 0x80000000, v1
	s_delay_alu instid0(VALU_DEP_1) | instskip(NEXT) | instid1(VALU_DEP_1)
	v_or3_b32 v140, v0, v1, v4
	v_dual_mov_b32 v124, v140 :: v_dual_mov_b32 v125, v141
.LBB287_1489:                           ;   in Loop: Header=BB287_11 Depth=1
	s_or_b32 exec_lo, exec_lo, s20
.LBB287_1490:                           ;   in Loop: Header=BB287_11 Depth=1
	s_delay_alu instid0(SALU_CYCLE_1)
	s_or_b32 exec_lo, exec_lo, s19
.LBB287_1491:                           ;   in Loop: Header=BB287_11 Depth=1
	s_delay_alu instid0(SALU_CYCLE_1) | instskip(SKIP_2) | instid1(VALU_DEP_1)
	s_or_b32 exec_lo, exec_lo, s8
	v_lshrrev_b16 v0, 8, v6
	s_mov_b32 s19, exec_lo
	v_cmpx_ne_u16_e32 0, v0
	s_cbranch_execz .LBB287_1499
; %bb.1492:                             ;   in Loop: Header=BB287_11 Depth=1
	v_dual_mov_b32 v93, s3 :: v_dual_mov_b32 v92, s2
	s_mov_b32 s20, exec_lo
	v_cmpx_ne_u16_e32 0x80, v0
	s_cbranch_execz .LBB287_1498
; %bb.1493:                             ;   in Loop: Header=BB287_11 Depth=1
	s_mov_b32 s8, s2
	v_and_b32_e32 v1, 0xffff, v0
	v_dual_mov_b32 v93, s9 :: v_dual_mov_b32 v92, s8
	s_mov_b32 s8, exec_lo
	s_delay_alu instid0(VALU_DEP_2) | instskip(NEXT) | instid1(VALU_DEP_1)
	v_and_b32_e32 v0, 0x7f, v1
	v_cmpx_ne_u32_e32 0x7f, v0
	s_cbranch_execz .LBB287_1497
; %bb.1494:                             ;   in Loop: Header=BB287_11 Depth=1
	v_and_b32_e32 v140, 7, v1
	v_lshrrev_b32_e32 v7, 3, v0
	v_cmp_gt_u32_e64 s1, 8, v0
	s_delay_alu instid0(VALU_DEP_3) | instskip(NEXT) | instid1(VALU_DEP_2)
	v_dual_mov_b32 v0, v140 :: v_dual_mov_b32 v1, v141
	s_and_saveexec_b32 s21, s1
; %bb.1495:                             ;   in Loop: Header=BB287_11 Depth=1
	v_clz_i32_u32_e32 v0, v140
	s_delay_alu instid0(VALU_DEP_1) | instskip(NEXT) | instid1(VALU_DEP_1)
	v_min_u32_e32 v7, 32, v0
	v_subrev_nc_u32_e32 v0, 28, v7
	v_sub_nc_u32_e32 v7, 29, v7
	s_delay_alu instid0(VALU_DEP_2) | instskip(NEXT) | instid1(VALU_DEP_1)
	v_lshlrev_b64 v[0:1], v0, v[140:141]
	v_and_b32_e32 v0, 7, v0
; %bb.1496:                             ;   in Loop: Header=BB287_11 Depth=1
	s_or_b32 exec_lo, exec_lo, s21
	v_dual_mov_b32 v92, v141 :: v_dual_lshlrev_b32 v1, 16, v6
	s_delay_alu instid0(VALU_DEP_2) | instskip(SKIP_1) | instid1(VALU_DEP_3)
	v_lshlrev_b32_e32 v0, 20, v0
	v_lshl_add_u32 v4, v7, 23, 0x3c000000
	v_and_b32_e32 v1, 0x80000000, v1
	s_delay_alu instid0(VALU_DEP_1)
	v_or3_b32 v93, v0, v1, v4
.LBB287_1497:                           ;   in Loop: Header=BB287_11 Depth=1
	s_or_b32 exec_lo, exec_lo, s8
.LBB287_1498:                           ;   in Loop: Header=BB287_11 Depth=1
	s_delay_alu instid0(SALU_CYCLE_1)
	s_or_b32 exec_lo, exec_lo, s20
.LBB287_1499:                           ;   in Loop: Header=BB287_11 Depth=1
	s_delay_alu instid0(SALU_CYCLE_1) | instskip(SKIP_4) | instid1(VALU_DEP_2)
	s_or_b32 exec_lo, exec_lo, s19
	v_mov_b32_e32 v188, 0
	v_lshrrev_b32_e32 v7, 16, v6
	v_mov_b32_e32 v189, 0
	s_mov_b32 s8, exec_lo
	v_and_b32_e32 v0, 0xff, v7
	s_delay_alu instid0(VALU_DEP_2) | instskip(NEXT) | instid1(VALU_DEP_2)
	v_dual_mov_b32 v66, v188 :: v_dual_mov_b32 v67, v189
	v_cmpx_ne_u16_e32 0, v0
	s_cbranch_execz .LBB287_1507
; %bb.1500:                             ;   in Loop: Header=BB287_11 Depth=1
	v_bfrev_b32_e32 v66, 1
	v_mov_b32_e32 v67, 0
	s_mov_b32 s19, exec_lo
	v_cmpx_ne_u16_e32 0x80, v0
	s_cbranch_execz .LBB287_1506
; %bb.1501:                             ;   in Loop: Header=BB287_11 Depth=1
	v_mov_b32_e32 v66, 0x7f800001
	v_bfe_u32 v0, v6, 16, 7
	v_mov_b32_e32 v67, 0
	s_mov_b32 s20, exec_lo
	s_delay_alu instid0(VALU_DEP_2)
	v_cmpx_ne_u32_e32 0x7f, v0
	s_cbranch_execz .LBB287_1505
; %bb.1502:                             ;   in Loop: Header=BB287_11 Depth=1
	v_and_b32_e32 v140, 7, v7
	v_lshrrev_b32_e32 v8, 3, v0
	v_cmp_gt_u32_e64 s1, 8, v0
	s_delay_alu instid0(VALU_DEP_3) | instskip(NEXT) | instid1(VALU_DEP_2)
	v_dual_mov_b32 v0, v140 :: v_dual_mov_b32 v1, v141
	s_and_saveexec_b32 s21, s1
; %bb.1503:                             ;   in Loop: Header=BB287_11 Depth=1
	v_clz_i32_u32_e32 v0, v140
	s_delay_alu instid0(VALU_DEP_1) | instskip(NEXT) | instid1(VALU_DEP_1)
	v_min_u32_e32 v8, 32, v0
	v_subrev_nc_u32_e32 v0, 28, v8
	v_sub_nc_u32_e32 v8, 29, v8
	s_delay_alu instid0(VALU_DEP_2) | instskip(NEXT) | instid1(VALU_DEP_1)
	v_lshlrev_b64 v[0:1], v0, v[140:141]
	v_and_b32_e32 v0, 7, v0
; %bb.1504:                             ;   in Loop: Header=BB287_11 Depth=1
	s_or_b32 exec_lo, exec_lo, s21
	v_lshlrev_b32_e32 v1, 24, v7
	s_delay_alu instid0(VALU_DEP_2) | instskip(SKIP_1) | instid1(VALU_DEP_3)
	v_lshlrev_b32_e32 v0, 20, v0
	v_lshl_add_u32 v4, v8, 23, 0x3c000000
	v_and_b32_e32 v1, 0x80000000, v1
	s_delay_alu instid0(VALU_DEP_1) | instskip(NEXT) | instid1(VALU_DEP_1)
	v_or3_b32 v140, v0, v1, v4
	v_dual_mov_b32 v66, v140 :: v_dual_mov_b32 v67, v141
.LBB287_1505:                           ;   in Loop: Header=BB287_11 Depth=1
	s_or_b32 exec_lo, exec_lo, s20
.LBB287_1506:                           ;   in Loop: Header=BB287_11 Depth=1
	s_delay_alu instid0(SALU_CYCLE_1)
	s_or_b32 exec_lo, exec_lo, s19
.LBB287_1507:                           ;   in Loop: Header=BB287_11 Depth=1
	s_delay_alu instid0(SALU_CYCLE_1) | instskip(NEXT) | instid1(SALU_CYCLE_1)
	s_or_b32 exec_lo, exec_lo, s8
	s_mov_b32 s19, exec_lo
	v_cmpx_lt_u32_e32 0xffffff, v6
	s_cbranch_execz .LBB287_1515
; %bb.1508:                             ;   in Loop: Header=BB287_11 Depth=1
	v_lshrrev_b32_e32 v7, 24, v6
	v_dual_mov_b32 v189, s3 :: v_dual_mov_b32 v188, s2
	s_mov_b32 s20, exec_lo
	s_delay_alu instid0(VALU_DEP_2)
	v_cmpx_ne_u32_e32 0x80, v7
	s_cbranch_execz .LBB287_1514
; %bb.1509:                             ;   in Loop: Header=BB287_11 Depth=1
	s_mov_b32 s8, s2
	v_bfe_u32 v0, v6, 24, 7
	v_dual_mov_b32 v189, s9 :: v_dual_mov_b32 v188, s8
	s_mov_b32 s8, exec_lo
	s_delay_alu instid0(VALU_DEP_2)
	v_cmpx_ne_u32_e32 0x7f, v0
	s_cbranch_execz .LBB287_1513
; %bb.1510:                             ;   in Loop: Header=BB287_11 Depth=1
	v_and_b32_e32 v140, 7, v7
	v_lshrrev_b32_e32 v6, 3, v0
	v_cmp_gt_u32_e64 s1, 8, v0
	s_delay_alu instid0(VALU_DEP_3) | instskip(NEXT) | instid1(VALU_DEP_2)
	v_dual_mov_b32 v0, v140 :: v_dual_mov_b32 v1, v141
	s_and_saveexec_b32 s21, s1
; %bb.1511:                             ;   in Loop: Header=BB287_11 Depth=1
	v_clz_i32_u32_e32 v0, v140
	s_delay_alu instid0(VALU_DEP_1) | instskip(NEXT) | instid1(VALU_DEP_1)
	v_min_u32_e32 v6, 32, v0
	v_subrev_nc_u32_e32 v0, 28, v6
	v_sub_nc_u32_e32 v6, 29, v6
	s_delay_alu instid0(VALU_DEP_2) | instskip(NEXT) | instid1(VALU_DEP_1)
	v_lshlrev_b64 v[0:1], v0, v[140:141]
	v_and_b32_e32 v0, 7, v0
; %bb.1512:                             ;   in Loop: Header=BB287_11 Depth=1
	s_or_b32 exec_lo, exec_lo, s21
	v_dual_mov_b32 v188, v141 :: v_dual_lshlrev_b32 v1, 24, v7
	s_delay_alu instid0(VALU_DEP_2) | instskip(SKIP_1) | instid1(VALU_DEP_3)
	v_lshlrev_b32_e32 v0, 20, v0
	v_lshl_add_u32 v4, v6, 23, 0x3c000000
	v_and_b32_e32 v1, 0x80000000, v1
	s_delay_alu instid0(VALU_DEP_1)
	v_or3_b32 v189, v0, v1, v4
.LBB287_1513:                           ;   in Loop: Header=BB287_11 Depth=1
	s_or_b32 exec_lo, exec_lo, s8
.LBB287_1514:                           ;   in Loop: Header=BB287_11 Depth=1
	s_delay_alu instid0(SALU_CYCLE_1)
	s_or_b32 exec_lo, exec_lo, s20
.LBB287_1515:                           ;   in Loop: Header=BB287_11 Depth=1
	s_delay_alu instid0(SALU_CYCLE_1)
	s_or_b32 exec_lo, exec_lo, s19
	flat_load_b32 v6, v[70:71] offset:1548
	v_mov_b32_e32 v18, 0
	v_mov_b32_e32 v19, 0
	s_mov_b32 s8, exec_lo
	s_waitcnt vmcnt(0) lgkmcnt(0)
	s_delay_alu instid0(VALU_DEP_1) | instskip(SKIP_1) | instid1(VALU_DEP_2)
	v_dual_mov_b32 v135, v19 :: v_dual_and_b32 v0, 0xff, v6
	v_mov_b32_e32 v134, v18
	v_cmpx_ne_u16_e32 0, v0
	s_cbranch_execz .LBB287_1523
; %bb.1516:                             ;   in Loop: Header=BB287_11 Depth=1
	v_bfrev_b32_e32 v134, 1
	v_mov_b32_e32 v135, 0
	s_mov_b32 s19, exec_lo
	v_cmpx_ne_u16_e32 0x80, v0
	s_cbranch_execz .LBB287_1522
; %bb.1517:                             ;   in Loop: Header=BB287_11 Depth=1
	v_mov_b32_e32 v134, 0x7f800001
	v_dual_mov_b32 v135, 0 :: v_dual_and_b32 v0, 0x7f, v6
	s_mov_b32 s20, exec_lo
	s_delay_alu instid0(VALU_DEP_1)
	v_cmpx_ne_u32_e32 0x7f, v0
	s_cbranch_execz .LBB287_1521
; %bb.1518:                             ;   in Loop: Header=BB287_11 Depth=1
	v_and_b32_e32 v140, 7, v6
	v_lshrrev_b32_e32 v7, 3, v0
	v_cmp_gt_u32_e64 s1, 8, v0
	s_delay_alu instid0(VALU_DEP_3) | instskip(NEXT) | instid1(VALU_DEP_2)
	v_dual_mov_b32 v0, v140 :: v_dual_mov_b32 v1, v141
	s_and_saveexec_b32 s21, s1
; %bb.1519:                             ;   in Loop: Header=BB287_11 Depth=1
	v_clz_i32_u32_e32 v0, v140
	s_delay_alu instid0(VALU_DEP_1) | instskip(NEXT) | instid1(VALU_DEP_1)
	v_min_u32_e32 v7, 32, v0
	v_subrev_nc_u32_e32 v0, 28, v7
	v_sub_nc_u32_e32 v7, 29, v7
	s_delay_alu instid0(VALU_DEP_2) | instskip(NEXT) | instid1(VALU_DEP_1)
	v_lshlrev_b64 v[0:1], v0, v[140:141]
	v_and_b32_e32 v0, 7, v0
; %bb.1520:                             ;   in Loop: Header=BB287_11 Depth=1
	s_or_b32 exec_lo, exec_lo, s21
	v_lshlrev_b32_e32 v1, 24, v6
	s_delay_alu instid0(VALU_DEP_2) | instskip(SKIP_1) | instid1(VALU_DEP_3)
	v_lshlrev_b32_e32 v0, 20, v0
	v_lshl_add_u32 v4, v7, 23, 0x3c000000
	v_and_b32_e32 v1, 0x80000000, v1
	s_delay_alu instid0(VALU_DEP_1) | instskip(NEXT) | instid1(VALU_DEP_1)
	v_or3_b32 v140, v0, v1, v4
	v_dual_mov_b32 v134, v140 :: v_dual_mov_b32 v135, v141
.LBB287_1521:                           ;   in Loop: Header=BB287_11 Depth=1
	s_or_b32 exec_lo, exec_lo, s20
.LBB287_1522:                           ;   in Loop: Header=BB287_11 Depth=1
	s_delay_alu instid0(SALU_CYCLE_1)
	s_or_b32 exec_lo, exec_lo, s19
.LBB287_1523:                           ;   in Loop: Header=BB287_11 Depth=1
	s_delay_alu instid0(SALU_CYCLE_1) | instskip(SKIP_2) | instid1(VALU_DEP_1)
	s_or_b32 exec_lo, exec_lo, s8
	v_lshrrev_b16 v0, 8, v6
	s_mov_b32 s19, exec_lo
	v_cmpx_ne_u16_e32 0, v0
	s_cbranch_execz .LBB287_1531
; %bb.1524:                             ;   in Loop: Header=BB287_11 Depth=1
	v_dual_mov_b32 v19, s3 :: v_dual_mov_b32 v18, s2
	s_mov_b32 s20, exec_lo
	v_cmpx_ne_u16_e32 0x80, v0
	s_cbranch_execz .LBB287_1530
; %bb.1525:                             ;   in Loop: Header=BB287_11 Depth=1
	s_mov_b32 s8, s2
	v_and_b32_e32 v1, 0xffff, v0
	v_dual_mov_b32 v19, s9 :: v_dual_mov_b32 v18, s8
	s_mov_b32 s8, exec_lo
	s_delay_alu instid0(VALU_DEP_2) | instskip(NEXT) | instid1(VALU_DEP_1)
	v_and_b32_e32 v0, 0x7f, v1
	v_cmpx_ne_u32_e32 0x7f, v0
	s_cbranch_execz .LBB287_1529
; %bb.1526:                             ;   in Loop: Header=BB287_11 Depth=1
	v_and_b32_e32 v140, 7, v1
	v_lshrrev_b32_e32 v7, 3, v0
	v_cmp_gt_u32_e64 s1, 8, v0
	s_delay_alu instid0(VALU_DEP_3) | instskip(NEXT) | instid1(VALU_DEP_2)
	v_dual_mov_b32 v0, v140 :: v_dual_mov_b32 v1, v141
	s_and_saveexec_b32 s21, s1
; %bb.1527:                             ;   in Loop: Header=BB287_11 Depth=1
	v_clz_i32_u32_e32 v0, v140
	s_delay_alu instid0(VALU_DEP_1) | instskip(NEXT) | instid1(VALU_DEP_1)
	v_min_u32_e32 v7, 32, v0
	v_subrev_nc_u32_e32 v0, 28, v7
	v_sub_nc_u32_e32 v7, 29, v7
	s_delay_alu instid0(VALU_DEP_2) | instskip(NEXT) | instid1(VALU_DEP_1)
	v_lshlrev_b64 v[0:1], v0, v[140:141]
	v_and_b32_e32 v0, 7, v0
; %bb.1528:                             ;   in Loop: Header=BB287_11 Depth=1
	s_or_b32 exec_lo, exec_lo, s21
	v_dual_mov_b32 v18, v141 :: v_dual_lshlrev_b32 v1, 16, v6
	s_delay_alu instid0(VALU_DEP_2) | instskip(SKIP_1) | instid1(VALU_DEP_3)
	v_lshlrev_b32_e32 v0, 20, v0
	v_lshl_add_u32 v4, v7, 23, 0x3c000000
	v_and_b32_e32 v1, 0x80000000, v1
	s_delay_alu instid0(VALU_DEP_1)
	v_or3_b32 v19, v0, v1, v4
.LBB287_1529:                           ;   in Loop: Header=BB287_11 Depth=1
	s_or_b32 exec_lo, exec_lo, s8
.LBB287_1530:                           ;   in Loop: Header=BB287_11 Depth=1
	s_delay_alu instid0(SALU_CYCLE_1)
	s_or_b32 exec_lo, exec_lo, s20
.LBB287_1531:                           ;   in Loop: Header=BB287_11 Depth=1
	s_delay_alu instid0(SALU_CYCLE_1) | instskip(SKIP_4) | instid1(VALU_DEP_2)
	s_or_b32 exec_lo, exec_lo, s19
	v_mov_b32_e32 v54, 0
	v_lshrrev_b32_e32 v7, 16, v6
	v_mov_b32_e32 v55, 0
	s_mov_b32 s8, exec_lo
	v_and_b32_e32 v0, 0xff, v7
	s_delay_alu instid0(VALU_DEP_2) | instskip(NEXT) | instid1(VALU_DEP_2)
	v_dual_mov_b32 v10, v54 :: v_dual_mov_b32 v11, v55
	v_cmpx_ne_u16_e32 0, v0
	s_cbranch_execz .LBB287_1539
; %bb.1532:                             ;   in Loop: Header=BB287_11 Depth=1
	v_bfrev_b32_e32 v10, 1
	v_mov_b32_e32 v11, 0
	s_mov_b32 s19, exec_lo
	v_cmpx_ne_u16_e32 0x80, v0
	s_cbranch_execz .LBB287_1538
; %bb.1533:                             ;   in Loop: Header=BB287_11 Depth=1
	v_mov_b32_e32 v10, 0x7f800001
	v_bfe_u32 v0, v6, 16, 7
	v_mov_b32_e32 v11, 0
	s_mov_b32 s20, exec_lo
	s_delay_alu instid0(VALU_DEP_2)
	v_cmpx_ne_u32_e32 0x7f, v0
	s_cbranch_execz .LBB287_1537
; %bb.1534:                             ;   in Loop: Header=BB287_11 Depth=1
	v_and_b32_e32 v140, 7, v7
	v_lshrrev_b32_e32 v8, 3, v0
	v_cmp_gt_u32_e64 s1, 8, v0
	s_delay_alu instid0(VALU_DEP_3) | instskip(NEXT) | instid1(VALU_DEP_2)
	v_dual_mov_b32 v0, v140 :: v_dual_mov_b32 v1, v141
	s_and_saveexec_b32 s21, s1
; %bb.1535:                             ;   in Loop: Header=BB287_11 Depth=1
	v_clz_i32_u32_e32 v0, v140
	s_delay_alu instid0(VALU_DEP_1) | instskip(NEXT) | instid1(VALU_DEP_1)
	v_min_u32_e32 v8, 32, v0
	v_subrev_nc_u32_e32 v0, 28, v8
	v_sub_nc_u32_e32 v8, 29, v8
	s_delay_alu instid0(VALU_DEP_2) | instskip(NEXT) | instid1(VALU_DEP_1)
	v_lshlrev_b64 v[0:1], v0, v[140:141]
	v_and_b32_e32 v0, 7, v0
; %bb.1536:                             ;   in Loop: Header=BB287_11 Depth=1
	s_or_b32 exec_lo, exec_lo, s21
	v_lshlrev_b32_e32 v1, 24, v7
	s_delay_alu instid0(VALU_DEP_2) | instskip(SKIP_1) | instid1(VALU_DEP_3)
	v_lshlrev_b32_e32 v0, 20, v0
	v_lshl_add_u32 v4, v8, 23, 0x3c000000
	v_and_b32_e32 v1, 0x80000000, v1
	s_delay_alu instid0(VALU_DEP_1) | instskip(NEXT) | instid1(VALU_DEP_1)
	v_or3_b32 v140, v0, v1, v4
	v_dual_mov_b32 v10, v140 :: v_dual_mov_b32 v11, v141
.LBB287_1537:                           ;   in Loop: Header=BB287_11 Depth=1
	s_or_b32 exec_lo, exec_lo, s20
.LBB287_1538:                           ;   in Loop: Header=BB287_11 Depth=1
	s_delay_alu instid0(SALU_CYCLE_1)
	s_or_b32 exec_lo, exec_lo, s19
.LBB287_1539:                           ;   in Loop: Header=BB287_11 Depth=1
	s_delay_alu instid0(SALU_CYCLE_1) | instskip(NEXT) | instid1(SALU_CYCLE_1)
	s_or_b32 exec_lo, exec_lo, s8
	s_mov_b32 s19, exec_lo
	v_cmpx_lt_u32_e32 0xffffff, v6
	s_cbranch_execz .LBB287_1547
; %bb.1540:                             ;   in Loop: Header=BB287_11 Depth=1
	v_lshrrev_b32_e32 v7, 24, v6
	v_dual_mov_b32 v55, s3 :: v_dual_mov_b32 v54, s2
	s_mov_b32 s20, exec_lo
	s_delay_alu instid0(VALU_DEP_2)
	v_cmpx_ne_u32_e32 0x80, v7
	s_cbranch_execz .LBB287_1546
; %bb.1541:                             ;   in Loop: Header=BB287_11 Depth=1
	s_mov_b32 s8, s2
	v_bfe_u32 v0, v6, 24, 7
	v_dual_mov_b32 v55, s9 :: v_dual_mov_b32 v54, s8
	s_mov_b32 s8, exec_lo
	s_delay_alu instid0(VALU_DEP_2)
	v_cmpx_ne_u32_e32 0x7f, v0
	s_cbranch_execz .LBB287_1545
; %bb.1542:                             ;   in Loop: Header=BB287_11 Depth=1
	v_and_b32_e32 v140, 7, v7
	v_lshrrev_b32_e32 v6, 3, v0
	v_cmp_gt_u32_e64 s1, 8, v0
	s_delay_alu instid0(VALU_DEP_3) | instskip(NEXT) | instid1(VALU_DEP_2)
	v_dual_mov_b32 v0, v140 :: v_dual_mov_b32 v1, v141
	s_and_saveexec_b32 s21, s1
; %bb.1543:                             ;   in Loop: Header=BB287_11 Depth=1
	v_clz_i32_u32_e32 v0, v140
	s_delay_alu instid0(VALU_DEP_1) | instskip(NEXT) | instid1(VALU_DEP_1)
	v_min_u32_e32 v6, 32, v0
	v_subrev_nc_u32_e32 v0, 28, v6
	v_sub_nc_u32_e32 v6, 29, v6
	s_delay_alu instid0(VALU_DEP_2) | instskip(NEXT) | instid1(VALU_DEP_1)
	v_lshlrev_b64 v[0:1], v0, v[140:141]
	v_and_b32_e32 v0, 7, v0
; %bb.1544:                             ;   in Loop: Header=BB287_11 Depth=1
	s_or_b32 exec_lo, exec_lo, s21
	v_dual_mov_b32 v54, v141 :: v_dual_lshlrev_b32 v1, 24, v7
	s_delay_alu instid0(VALU_DEP_2) | instskip(SKIP_1) | instid1(VALU_DEP_3)
	v_lshlrev_b32_e32 v0, 20, v0
	v_lshl_add_u32 v4, v6, 23, 0x3c000000
	v_and_b32_e32 v1, 0x80000000, v1
	s_delay_alu instid0(VALU_DEP_1)
	v_or3_b32 v55, v0, v1, v4
.LBB287_1545:                           ;   in Loop: Header=BB287_11 Depth=1
	s_or_b32 exec_lo, exec_lo, s8
.LBB287_1546:                           ;   in Loop: Header=BB287_11 Depth=1
	s_delay_alu instid0(SALU_CYCLE_1)
	s_or_b32 exec_lo, exec_lo, s20
.LBB287_1547:                           ;   in Loop: Header=BB287_11 Depth=1
	s_delay_alu instid0(SALU_CYCLE_1)
	s_or_b32 exec_lo, exec_lo, s19
	flat_load_b32 v6, v[70:71] offset:2048
	v_mov_b32_e32 v84, 0
	v_mov_b32_e32 v85, 0
	s_mov_b32 s8, exec_lo
	s_waitcnt vmcnt(0) lgkmcnt(0)
	v_and_b32_e32 v0, 0xff, v6
	s_delay_alu instid0(VALU_DEP_2) | instskip(NEXT) | instid1(VALU_DEP_2)
	v_dual_mov_b32 v14, v84 :: v_dual_mov_b32 v15, v85
	v_cmpx_ne_u16_e32 0, v0
	s_cbranch_execz .LBB287_1555
; %bb.1548:                             ;   in Loop: Header=BB287_11 Depth=1
	v_bfrev_b32_e32 v14, 1
	v_mov_b32_e32 v15, 0
	s_mov_b32 s19, exec_lo
	v_cmpx_ne_u16_e32 0x80, v0
	s_cbranch_execz .LBB287_1554
; %bb.1549:                             ;   in Loop: Header=BB287_11 Depth=1
	v_mov_b32_e32 v14, 0x7f800001
	v_dual_mov_b32 v15, 0 :: v_dual_and_b32 v0, 0x7f, v6
	s_mov_b32 s20, exec_lo
	s_delay_alu instid0(VALU_DEP_1)
	v_cmpx_ne_u32_e32 0x7f, v0
	s_cbranch_execz .LBB287_1553
; %bb.1550:                             ;   in Loop: Header=BB287_11 Depth=1
	v_and_b32_e32 v140, 7, v6
	v_lshrrev_b32_e32 v7, 3, v0
	v_cmp_gt_u32_e64 s1, 8, v0
	s_delay_alu instid0(VALU_DEP_3) | instskip(NEXT) | instid1(VALU_DEP_2)
	v_dual_mov_b32 v0, v140 :: v_dual_mov_b32 v1, v141
	s_and_saveexec_b32 s21, s1
; %bb.1551:                             ;   in Loop: Header=BB287_11 Depth=1
	v_clz_i32_u32_e32 v0, v140
	s_delay_alu instid0(VALU_DEP_1) | instskip(NEXT) | instid1(VALU_DEP_1)
	v_min_u32_e32 v7, 32, v0
	v_subrev_nc_u32_e32 v0, 28, v7
	v_sub_nc_u32_e32 v7, 29, v7
	s_delay_alu instid0(VALU_DEP_2) | instskip(NEXT) | instid1(VALU_DEP_1)
	v_lshlrev_b64 v[0:1], v0, v[140:141]
	v_and_b32_e32 v0, 7, v0
; %bb.1552:                             ;   in Loop: Header=BB287_11 Depth=1
	s_or_b32 exec_lo, exec_lo, s21
	v_lshlrev_b32_e32 v1, 24, v6
	s_delay_alu instid0(VALU_DEP_2) | instskip(SKIP_1) | instid1(VALU_DEP_3)
	v_lshlrev_b32_e32 v0, 20, v0
	v_lshl_add_u32 v4, v7, 23, 0x3c000000
	v_and_b32_e32 v1, 0x80000000, v1
	s_delay_alu instid0(VALU_DEP_1) | instskip(NEXT) | instid1(VALU_DEP_1)
	v_or3_b32 v140, v0, v1, v4
	v_dual_mov_b32 v14, v140 :: v_dual_mov_b32 v15, v141
.LBB287_1553:                           ;   in Loop: Header=BB287_11 Depth=1
	s_or_b32 exec_lo, exec_lo, s20
.LBB287_1554:                           ;   in Loop: Header=BB287_11 Depth=1
	s_delay_alu instid0(SALU_CYCLE_1)
	s_or_b32 exec_lo, exec_lo, s19
.LBB287_1555:                           ;   in Loop: Header=BB287_11 Depth=1
	s_delay_alu instid0(SALU_CYCLE_1) | instskip(SKIP_2) | instid1(VALU_DEP_1)
	s_or_b32 exec_lo, exec_lo, s8
	v_lshrrev_b16 v0, 8, v6
	s_mov_b32 s19, exec_lo
	v_cmpx_ne_u16_e32 0, v0
	s_cbranch_execz .LBB287_1563
; %bb.1556:                             ;   in Loop: Header=BB287_11 Depth=1
	v_dual_mov_b32 v85, s3 :: v_dual_mov_b32 v84, s2
	s_mov_b32 s20, exec_lo
	v_cmpx_ne_u16_e32 0x80, v0
	s_cbranch_execz .LBB287_1562
; %bb.1557:                             ;   in Loop: Header=BB287_11 Depth=1
	s_mov_b32 s8, s2
	v_and_b32_e32 v1, 0xffff, v0
	v_dual_mov_b32 v85, s9 :: v_dual_mov_b32 v84, s8
	s_mov_b32 s8, exec_lo
	s_delay_alu instid0(VALU_DEP_2) | instskip(NEXT) | instid1(VALU_DEP_1)
	v_and_b32_e32 v0, 0x7f, v1
	v_cmpx_ne_u32_e32 0x7f, v0
	s_cbranch_execz .LBB287_1561
; %bb.1558:                             ;   in Loop: Header=BB287_11 Depth=1
	v_and_b32_e32 v140, 7, v1
	v_lshrrev_b32_e32 v7, 3, v0
	v_cmp_gt_u32_e64 s1, 8, v0
	s_delay_alu instid0(VALU_DEP_3) | instskip(NEXT) | instid1(VALU_DEP_2)
	v_dual_mov_b32 v0, v140 :: v_dual_mov_b32 v1, v141
	s_and_saveexec_b32 s21, s1
; %bb.1559:                             ;   in Loop: Header=BB287_11 Depth=1
	v_clz_i32_u32_e32 v0, v140
	s_delay_alu instid0(VALU_DEP_1) | instskip(NEXT) | instid1(VALU_DEP_1)
	v_min_u32_e32 v7, 32, v0
	v_subrev_nc_u32_e32 v0, 28, v7
	v_sub_nc_u32_e32 v7, 29, v7
	s_delay_alu instid0(VALU_DEP_2) | instskip(NEXT) | instid1(VALU_DEP_1)
	v_lshlrev_b64 v[0:1], v0, v[140:141]
	v_and_b32_e32 v0, 7, v0
; %bb.1560:                             ;   in Loop: Header=BB287_11 Depth=1
	s_or_b32 exec_lo, exec_lo, s21
	v_dual_mov_b32 v84, v141 :: v_dual_lshlrev_b32 v1, 16, v6
	s_delay_alu instid0(VALU_DEP_2) | instskip(SKIP_1) | instid1(VALU_DEP_3)
	v_lshlrev_b32_e32 v0, 20, v0
	v_lshl_add_u32 v4, v7, 23, 0x3c000000
	v_and_b32_e32 v1, 0x80000000, v1
	s_delay_alu instid0(VALU_DEP_1)
	v_or3_b32 v85, v0, v1, v4
.LBB287_1561:                           ;   in Loop: Header=BB287_11 Depth=1
	s_or_b32 exec_lo, exec_lo, s8
.LBB287_1562:                           ;   in Loop: Header=BB287_11 Depth=1
	s_delay_alu instid0(SALU_CYCLE_1)
	s_or_b32 exec_lo, exec_lo, s20
.LBB287_1563:                           ;   in Loop: Header=BB287_11 Depth=1
	s_delay_alu instid0(SALU_CYCLE_1) | instskip(SKIP_4) | instid1(VALU_DEP_2)
	s_or_b32 exec_lo, exec_lo, s19
	v_mov_b32_e32 v96, 0
	v_lshrrev_b32_e32 v7, 16, v6
	v_mov_b32_e32 v97, 0
	s_mov_b32 s8, exec_lo
	v_dual_mov_b32 v43, v96 :: v_dual_and_b32 v0, 0xff, v7
	s_delay_alu instid0(VALU_DEP_2) | instskip(NEXT) | instid1(VALU_DEP_2)
	v_mov_b32_e32 v44, v97
	v_cmpx_ne_u16_e32 0, v0
	s_cbranch_execz .LBB287_1571
; %bb.1564:                             ;   in Loop: Header=BB287_11 Depth=1
	v_bfrev_b32_e32 v43, 1
	v_mov_b32_e32 v44, 0
	s_mov_b32 s19, exec_lo
	v_cmpx_ne_u16_e32 0x80, v0
	s_cbranch_execz .LBB287_1570
; %bb.1565:                             ;   in Loop: Header=BB287_11 Depth=1
	v_mov_b32_e32 v43, 0x7f800001
	v_bfe_u32 v0, v6, 16, 7
	v_mov_b32_e32 v44, 0
	s_mov_b32 s20, exec_lo
	s_delay_alu instid0(VALU_DEP_2)
	v_cmpx_ne_u32_e32 0x7f, v0
	s_cbranch_execz .LBB287_1569
; %bb.1566:                             ;   in Loop: Header=BB287_11 Depth=1
	v_and_b32_e32 v140, 7, v7
	v_lshrrev_b32_e32 v8, 3, v0
	v_cmp_gt_u32_e64 s1, 8, v0
	s_delay_alu instid0(VALU_DEP_3) | instskip(NEXT) | instid1(VALU_DEP_2)
	v_dual_mov_b32 v0, v140 :: v_dual_mov_b32 v1, v141
	s_and_saveexec_b32 s21, s1
; %bb.1567:                             ;   in Loop: Header=BB287_11 Depth=1
	v_clz_i32_u32_e32 v0, v140
	s_delay_alu instid0(VALU_DEP_1) | instskip(NEXT) | instid1(VALU_DEP_1)
	v_min_u32_e32 v8, 32, v0
	v_subrev_nc_u32_e32 v0, 28, v8
	v_sub_nc_u32_e32 v8, 29, v8
	s_delay_alu instid0(VALU_DEP_2) | instskip(NEXT) | instid1(VALU_DEP_1)
	v_lshlrev_b64 v[0:1], v0, v[140:141]
	v_and_b32_e32 v0, 7, v0
; %bb.1568:                             ;   in Loop: Header=BB287_11 Depth=1
	s_or_b32 exec_lo, exec_lo, s21
	v_lshlrev_b32_e32 v1, 24, v7
	s_delay_alu instid0(VALU_DEP_2) | instskip(SKIP_1) | instid1(VALU_DEP_3)
	v_lshlrev_b32_e32 v0, 20, v0
	v_lshl_add_u32 v4, v8, 23, 0x3c000000
	v_and_b32_e32 v1, 0x80000000, v1
	s_delay_alu instid0(VALU_DEP_1) | instskip(NEXT) | instid1(VALU_DEP_1)
	v_or3_b32 v140, v0, v1, v4
	v_dual_mov_b32 v43, v140 :: v_dual_mov_b32 v44, v141
.LBB287_1569:                           ;   in Loop: Header=BB287_11 Depth=1
	s_or_b32 exec_lo, exec_lo, s20
.LBB287_1570:                           ;   in Loop: Header=BB287_11 Depth=1
	s_delay_alu instid0(SALU_CYCLE_1)
	s_or_b32 exec_lo, exec_lo, s19
.LBB287_1571:                           ;   in Loop: Header=BB287_11 Depth=1
	s_delay_alu instid0(SALU_CYCLE_1) | instskip(NEXT) | instid1(SALU_CYCLE_1)
	s_or_b32 exec_lo, exec_lo, s8
	s_mov_b32 s19, exec_lo
	v_cmpx_lt_u32_e32 0xffffff, v6
	s_cbranch_execz .LBB287_1579
; %bb.1572:                             ;   in Loop: Header=BB287_11 Depth=1
	v_lshrrev_b32_e32 v7, 24, v6
	v_dual_mov_b32 v97, s3 :: v_dual_mov_b32 v96, s2
	s_mov_b32 s20, exec_lo
	s_delay_alu instid0(VALU_DEP_2)
	v_cmpx_ne_u32_e32 0x80, v7
	s_cbranch_execz .LBB287_1578
; %bb.1573:                             ;   in Loop: Header=BB287_11 Depth=1
	s_mov_b32 s8, s2
	v_bfe_u32 v0, v6, 24, 7
	v_dual_mov_b32 v97, s9 :: v_dual_mov_b32 v96, s8
	s_mov_b32 s8, exec_lo
	s_delay_alu instid0(VALU_DEP_2)
	v_cmpx_ne_u32_e32 0x7f, v0
	s_cbranch_execz .LBB287_1577
; %bb.1574:                             ;   in Loop: Header=BB287_11 Depth=1
	v_and_b32_e32 v140, 7, v7
	v_lshrrev_b32_e32 v6, 3, v0
	v_cmp_gt_u32_e64 s1, 8, v0
	s_delay_alu instid0(VALU_DEP_3) | instskip(NEXT) | instid1(VALU_DEP_2)
	v_dual_mov_b32 v0, v140 :: v_dual_mov_b32 v1, v141
	s_and_saveexec_b32 s21, s1
; %bb.1575:                             ;   in Loop: Header=BB287_11 Depth=1
	v_clz_i32_u32_e32 v0, v140
	s_delay_alu instid0(VALU_DEP_1) | instskip(NEXT) | instid1(VALU_DEP_1)
	v_min_u32_e32 v6, 32, v0
	v_subrev_nc_u32_e32 v0, 28, v6
	v_sub_nc_u32_e32 v6, 29, v6
	s_delay_alu instid0(VALU_DEP_2) | instskip(NEXT) | instid1(VALU_DEP_1)
	v_lshlrev_b64 v[0:1], v0, v[140:141]
	v_and_b32_e32 v0, 7, v0
; %bb.1576:                             ;   in Loop: Header=BB287_11 Depth=1
	s_or_b32 exec_lo, exec_lo, s21
	v_dual_mov_b32 v96, v141 :: v_dual_lshlrev_b32 v1, 24, v7
	s_delay_alu instid0(VALU_DEP_2) | instskip(SKIP_1) | instid1(VALU_DEP_3)
	v_lshlrev_b32_e32 v0, 20, v0
	v_lshl_add_u32 v4, v6, 23, 0x3c000000
	v_and_b32_e32 v1, 0x80000000, v1
	s_delay_alu instid0(VALU_DEP_1)
	v_or3_b32 v97, v0, v1, v4
.LBB287_1577:                           ;   in Loop: Header=BB287_11 Depth=1
	s_or_b32 exec_lo, exec_lo, s8
.LBB287_1578:                           ;   in Loop: Header=BB287_11 Depth=1
	s_delay_alu instid0(SALU_CYCLE_1)
	s_or_b32 exec_lo, exec_lo, s20
.LBB287_1579:                           ;   in Loop: Header=BB287_11 Depth=1
	s_delay_alu instid0(SALU_CYCLE_1)
	s_or_b32 exec_lo, exec_lo, s19
	flat_load_b32 v6, v[70:71] offset:2052
	v_mov_b32_e32 v100, 0
	v_mov_b32_e32 v101, 0
	s_mov_b32 s8, exec_lo
	s_waitcnt vmcnt(0) lgkmcnt(0)
	s_delay_alu instid0(VALU_DEP_2) | instskip(NEXT) | instid1(VALU_DEP_2)
	v_dual_mov_b32 v33, v100 :: v_dual_and_b32 v0, 0xff, v6
	v_mov_b32_e32 v34, v101
	s_delay_alu instid0(VALU_DEP_2)
	v_cmpx_ne_u16_e32 0, v0
	s_cbranch_execz .LBB287_1587
; %bb.1580:                             ;   in Loop: Header=BB287_11 Depth=1
	v_bfrev_b32_e32 v33, 1
	v_mov_b32_e32 v34, 0
	s_mov_b32 s19, exec_lo
	v_cmpx_ne_u16_e32 0x80, v0
	s_cbranch_execz .LBB287_1586
; %bb.1581:                             ;   in Loop: Header=BB287_11 Depth=1
	v_mov_b32_e32 v33, 0x7f800001
	v_and_b32_e32 v0, 0x7f, v6
	v_mov_b32_e32 v34, 0
	s_mov_b32 s20, exec_lo
	s_delay_alu instid0(VALU_DEP_2)
	v_cmpx_ne_u32_e32 0x7f, v0
	s_cbranch_execz .LBB287_1585
; %bb.1582:                             ;   in Loop: Header=BB287_11 Depth=1
	v_and_b32_e32 v140, 7, v6
	v_lshrrev_b32_e32 v7, 3, v0
	v_cmp_gt_u32_e64 s1, 8, v0
	s_delay_alu instid0(VALU_DEP_3) | instskip(NEXT) | instid1(VALU_DEP_2)
	v_dual_mov_b32 v0, v140 :: v_dual_mov_b32 v1, v141
	s_and_saveexec_b32 s21, s1
; %bb.1583:                             ;   in Loop: Header=BB287_11 Depth=1
	v_clz_i32_u32_e32 v0, v140
	s_delay_alu instid0(VALU_DEP_1) | instskip(NEXT) | instid1(VALU_DEP_1)
	v_min_u32_e32 v7, 32, v0
	v_subrev_nc_u32_e32 v0, 28, v7
	v_sub_nc_u32_e32 v7, 29, v7
	s_delay_alu instid0(VALU_DEP_2) | instskip(NEXT) | instid1(VALU_DEP_1)
	v_lshlrev_b64 v[0:1], v0, v[140:141]
	v_and_b32_e32 v0, 7, v0
; %bb.1584:                             ;   in Loop: Header=BB287_11 Depth=1
	s_or_b32 exec_lo, exec_lo, s21
	v_lshlrev_b32_e32 v1, 24, v6
	s_delay_alu instid0(VALU_DEP_2) | instskip(SKIP_1) | instid1(VALU_DEP_3)
	v_lshlrev_b32_e32 v0, 20, v0
	v_lshl_add_u32 v4, v7, 23, 0x3c000000
	v_and_b32_e32 v1, 0x80000000, v1
	s_delay_alu instid0(VALU_DEP_1) | instskip(NEXT) | instid1(VALU_DEP_1)
	v_or3_b32 v140, v0, v1, v4
	v_dual_mov_b32 v33, v140 :: v_dual_mov_b32 v34, v141
.LBB287_1585:                           ;   in Loop: Header=BB287_11 Depth=1
	s_or_b32 exec_lo, exec_lo, s20
.LBB287_1586:                           ;   in Loop: Header=BB287_11 Depth=1
	s_delay_alu instid0(SALU_CYCLE_1)
	s_or_b32 exec_lo, exec_lo, s19
.LBB287_1587:                           ;   in Loop: Header=BB287_11 Depth=1
	s_delay_alu instid0(SALU_CYCLE_1) | instskip(SKIP_2) | instid1(VALU_DEP_1)
	s_or_b32 exec_lo, exec_lo, s8
	v_lshrrev_b16 v0, 8, v6
	s_mov_b32 s19, exec_lo
	v_cmpx_ne_u16_e32 0, v0
	s_cbranch_execz .LBB287_1595
; %bb.1588:                             ;   in Loop: Header=BB287_11 Depth=1
	v_dual_mov_b32 v101, s3 :: v_dual_mov_b32 v100, s2
	s_mov_b32 s20, exec_lo
	v_cmpx_ne_u16_e32 0x80, v0
	s_cbranch_execz .LBB287_1594
; %bb.1589:                             ;   in Loop: Header=BB287_11 Depth=1
	s_mov_b32 s8, s2
	v_and_b32_e32 v1, 0xffff, v0
	v_dual_mov_b32 v101, s9 :: v_dual_mov_b32 v100, s8
	s_mov_b32 s8, exec_lo
	s_delay_alu instid0(VALU_DEP_2) | instskip(NEXT) | instid1(VALU_DEP_1)
	v_and_b32_e32 v0, 0x7f, v1
	v_cmpx_ne_u32_e32 0x7f, v0
	s_cbranch_execz .LBB287_1593
; %bb.1590:                             ;   in Loop: Header=BB287_11 Depth=1
	v_and_b32_e32 v140, 7, v1
	v_lshrrev_b32_e32 v7, 3, v0
	v_cmp_gt_u32_e64 s1, 8, v0
	s_delay_alu instid0(VALU_DEP_3) | instskip(NEXT) | instid1(VALU_DEP_2)
	v_dual_mov_b32 v0, v140 :: v_dual_mov_b32 v1, v141
	s_and_saveexec_b32 s21, s1
; %bb.1591:                             ;   in Loop: Header=BB287_11 Depth=1
	v_clz_i32_u32_e32 v0, v140
	s_delay_alu instid0(VALU_DEP_1) | instskip(NEXT) | instid1(VALU_DEP_1)
	v_min_u32_e32 v7, 32, v0
	v_subrev_nc_u32_e32 v0, 28, v7
	v_sub_nc_u32_e32 v7, 29, v7
	s_delay_alu instid0(VALU_DEP_2) | instskip(NEXT) | instid1(VALU_DEP_1)
	v_lshlrev_b64 v[0:1], v0, v[140:141]
	v_and_b32_e32 v0, 7, v0
; %bb.1592:                             ;   in Loop: Header=BB287_11 Depth=1
	s_or_b32 exec_lo, exec_lo, s21
	v_dual_mov_b32 v100, v141 :: v_dual_lshlrev_b32 v1, 16, v6
	s_delay_alu instid0(VALU_DEP_2) | instskip(SKIP_1) | instid1(VALU_DEP_3)
	v_lshlrev_b32_e32 v0, 20, v0
	v_lshl_add_u32 v4, v7, 23, 0x3c000000
	v_and_b32_e32 v1, 0x80000000, v1
	s_delay_alu instid0(VALU_DEP_1)
	v_or3_b32 v101, v0, v1, v4
.LBB287_1593:                           ;   in Loop: Header=BB287_11 Depth=1
	s_or_b32 exec_lo, exec_lo, s8
.LBB287_1594:                           ;   in Loop: Header=BB287_11 Depth=1
	s_delay_alu instid0(SALU_CYCLE_1)
	s_or_b32 exec_lo, exec_lo, s20
.LBB287_1595:                           ;   in Loop: Header=BB287_11 Depth=1
	s_delay_alu instid0(SALU_CYCLE_1) | instskip(SKIP_4) | instid1(VALU_DEP_1)
	s_or_b32 exec_lo, exec_lo, s19
	v_mov_b32_e32 v112, 0
	v_lshrrev_b32_e32 v7, 16, v6
	v_mov_b32_e32 v113, 0
	s_mov_b32 s8, exec_lo
	v_dual_mov_b32 v147, v113 :: v_dual_and_b32 v0, 0xff, v7
	v_mov_b32_e32 v146, v112
	s_delay_alu instid0(VALU_DEP_2)
	v_cmpx_ne_u16_e32 0, v0
	s_cbranch_execz .LBB287_1603
; %bb.1596:                             ;   in Loop: Header=BB287_11 Depth=1
	v_bfrev_b32_e32 v146, 1
	v_mov_b32_e32 v147, 0
	s_mov_b32 s19, exec_lo
	v_cmpx_ne_u16_e32 0x80, v0
	s_cbranch_execz .LBB287_1602
; %bb.1597:                             ;   in Loop: Header=BB287_11 Depth=1
	v_mov_b32_e32 v146, 0x7f800001
	v_bfe_u32 v0, v6, 16, 7
	v_mov_b32_e32 v147, 0
	s_mov_b32 s20, exec_lo
	s_delay_alu instid0(VALU_DEP_2)
	v_cmpx_ne_u32_e32 0x7f, v0
	s_cbranch_execz .LBB287_1601
; %bb.1598:                             ;   in Loop: Header=BB287_11 Depth=1
	v_and_b32_e32 v140, 7, v7
	v_lshrrev_b32_e32 v8, 3, v0
	v_cmp_gt_u32_e64 s1, 8, v0
	s_delay_alu instid0(VALU_DEP_3) | instskip(NEXT) | instid1(VALU_DEP_2)
	v_dual_mov_b32 v0, v140 :: v_dual_mov_b32 v1, v141
	s_and_saveexec_b32 s21, s1
; %bb.1599:                             ;   in Loop: Header=BB287_11 Depth=1
	v_clz_i32_u32_e32 v0, v140
	s_delay_alu instid0(VALU_DEP_1) | instskip(NEXT) | instid1(VALU_DEP_1)
	v_min_u32_e32 v8, 32, v0
	v_subrev_nc_u32_e32 v0, 28, v8
	v_sub_nc_u32_e32 v8, 29, v8
	s_delay_alu instid0(VALU_DEP_2) | instskip(NEXT) | instid1(VALU_DEP_1)
	v_lshlrev_b64 v[0:1], v0, v[140:141]
	v_and_b32_e32 v0, 7, v0
; %bb.1600:                             ;   in Loop: Header=BB287_11 Depth=1
	s_or_b32 exec_lo, exec_lo, s21
	v_lshlrev_b32_e32 v1, 24, v7
	s_delay_alu instid0(VALU_DEP_2) | instskip(SKIP_1) | instid1(VALU_DEP_3)
	v_lshlrev_b32_e32 v0, 20, v0
	v_lshl_add_u32 v4, v8, 23, 0x3c000000
	v_and_b32_e32 v1, 0x80000000, v1
	s_delay_alu instid0(VALU_DEP_1) | instskip(NEXT) | instid1(VALU_DEP_1)
	v_or3_b32 v140, v0, v1, v4
	v_dual_mov_b32 v147, v141 :: v_dual_mov_b32 v146, v140
.LBB287_1601:                           ;   in Loop: Header=BB287_11 Depth=1
	s_or_b32 exec_lo, exec_lo, s20
.LBB287_1602:                           ;   in Loop: Header=BB287_11 Depth=1
	s_delay_alu instid0(SALU_CYCLE_1)
	s_or_b32 exec_lo, exec_lo, s19
.LBB287_1603:                           ;   in Loop: Header=BB287_11 Depth=1
	s_delay_alu instid0(SALU_CYCLE_1) | instskip(NEXT) | instid1(SALU_CYCLE_1)
	s_or_b32 exec_lo, exec_lo, s8
	s_mov_b32 s19, exec_lo
	v_cmpx_lt_u32_e32 0xffffff, v6
	s_cbranch_execz .LBB287_1611
; %bb.1604:                             ;   in Loop: Header=BB287_11 Depth=1
	v_lshrrev_b32_e32 v7, 24, v6
	v_dual_mov_b32 v113, s3 :: v_dual_mov_b32 v112, s2
	s_mov_b32 s20, exec_lo
	s_delay_alu instid0(VALU_DEP_2)
	v_cmpx_ne_u32_e32 0x80, v7
	s_cbranch_execz .LBB287_1610
; %bb.1605:                             ;   in Loop: Header=BB287_11 Depth=1
	s_mov_b32 s8, s2
	v_bfe_u32 v0, v6, 24, 7
	v_dual_mov_b32 v113, s9 :: v_dual_mov_b32 v112, s8
	s_mov_b32 s8, exec_lo
	s_delay_alu instid0(VALU_DEP_2)
	v_cmpx_ne_u32_e32 0x7f, v0
	s_cbranch_execz .LBB287_1609
; %bb.1606:                             ;   in Loop: Header=BB287_11 Depth=1
	v_and_b32_e32 v140, 7, v7
	v_lshrrev_b32_e32 v6, 3, v0
	v_cmp_gt_u32_e64 s1, 8, v0
	s_delay_alu instid0(VALU_DEP_3) | instskip(NEXT) | instid1(VALU_DEP_2)
	v_dual_mov_b32 v0, v140 :: v_dual_mov_b32 v1, v141
	s_and_saveexec_b32 s21, s1
; %bb.1607:                             ;   in Loop: Header=BB287_11 Depth=1
	v_clz_i32_u32_e32 v0, v140
	s_delay_alu instid0(VALU_DEP_1) | instskip(NEXT) | instid1(VALU_DEP_1)
	v_min_u32_e32 v6, 32, v0
	v_subrev_nc_u32_e32 v0, 28, v6
	v_sub_nc_u32_e32 v6, 29, v6
	s_delay_alu instid0(VALU_DEP_2) | instskip(NEXT) | instid1(VALU_DEP_1)
	v_lshlrev_b64 v[0:1], v0, v[140:141]
	v_and_b32_e32 v0, 7, v0
; %bb.1608:                             ;   in Loop: Header=BB287_11 Depth=1
	s_or_b32 exec_lo, exec_lo, s21
	v_dual_mov_b32 v112, v141 :: v_dual_lshlrev_b32 v1, 24, v7
	s_delay_alu instid0(VALU_DEP_2) | instskip(SKIP_1) | instid1(VALU_DEP_3)
	v_lshlrev_b32_e32 v0, 20, v0
	v_lshl_add_u32 v4, v6, 23, 0x3c000000
	v_and_b32_e32 v1, 0x80000000, v1
	s_delay_alu instid0(VALU_DEP_1)
	v_or3_b32 v113, v0, v1, v4
.LBB287_1609:                           ;   in Loop: Header=BB287_11 Depth=1
	s_or_b32 exec_lo, exec_lo, s8
.LBB287_1610:                           ;   in Loop: Header=BB287_11 Depth=1
	s_delay_alu instid0(SALU_CYCLE_1)
	s_or_b32 exec_lo, exec_lo, s20
.LBB287_1611:                           ;   in Loop: Header=BB287_11 Depth=1
	s_delay_alu instid0(SALU_CYCLE_1) | instskip(SKIP_4) | instid1(VALU_DEP_1)
	s_or_b32 exec_lo, exec_lo, s19
	flat_load_b32 v6, v[70:71] offset:2056
	v_mov_b32_e32 v37, 0
	v_mov_b32_e32 v38, 0
	s_mov_b32 s8, exec_lo
	v_dual_mov_b32 v117, v38 :: v_dual_mov_b32 v116, v37
	s_waitcnt vmcnt(0) lgkmcnt(0)
	v_and_b32_e32 v0, 0xff, v6
	s_delay_alu instid0(VALU_DEP_1)
	v_cmpx_ne_u16_e32 0, v0
	s_cbranch_execz .LBB287_1619
; %bb.1612:                             ;   in Loop: Header=BB287_11 Depth=1
	v_bfrev_b32_e32 v116, 1
	v_mov_b32_e32 v117, 0
	s_mov_b32 s19, exec_lo
	v_cmpx_ne_u16_e32 0x80, v0
	s_cbranch_execz .LBB287_1618
; %bb.1613:                             ;   in Loop: Header=BB287_11 Depth=1
	v_mov_b32_e32 v116, 0x7f800001
	v_dual_mov_b32 v117, 0 :: v_dual_and_b32 v0, 0x7f, v6
	s_mov_b32 s20, exec_lo
	s_delay_alu instid0(VALU_DEP_1)
	v_cmpx_ne_u32_e32 0x7f, v0
	s_cbranch_execz .LBB287_1617
; %bb.1614:                             ;   in Loop: Header=BB287_11 Depth=1
	v_and_b32_e32 v140, 7, v6
	v_lshrrev_b32_e32 v7, 3, v0
	v_cmp_gt_u32_e64 s1, 8, v0
	s_delay_alu instid0(VALU_DEP_3) | instskip(NEXT) | instid1(VALU_DEP_2)
	v_dual_mov_b32 v0, v140 :: v_dual_mov_b32 v1, v141
	s_and_saveexec_b32 s21, s1
; %bb.1615:                             ;   in Loop: Header=BB287_11 Depth=1
	v_clz_i32_u32_e32 v0, v140
	s_delay_alu instid0(VALU_DEP_1) | instskip(NEXT) | instid1(VALU_DEP_1)
	v_min_u32_e32 v7, 32, v0
	v_subrev_nc_u32_e32 v0, 28, v7
	v_sub_nc_u32_e32 v7, 29, v7
	s_delay_alu instid0(VALU_DEP_2) | instskip(NEXT) | instid1(VALU_DEP_1)
	v_lshlrev_b64 v[0:1], v0, v[140:141]
	v_and_b32_e32 v0, 7, v0
; %bb.1616:                             ;   in Loop: Header=BB287_11 Depth=1
	s_or_b32 exec_lo, exec_lo, s21
	v_lshlrev_b32_e32 v1, 24, v6
	s_delay_alu instid0(VALU_DEP_2) | instskip(SKIP_1) | instid1(VALU_DEP_3)
	v_lshlrev_b32_e32 v0, 20, v0
	v_lshl_add_u32 v4, v7, 23, 0x3c000000
	v_and_b32_e32 v1, 0x80000000, v1
	s_delay_alu instid0(VALU_DEP_1) | instskip(NEXT) | instid1(VALU_DEP_1)
	v_or3_b32 v140, v0, v1, v4
	v_dual_mov_b32 v116, v140 :: v_dual_mov_b32 v117, v141
.LBB287_1617:                           ;   in Loop: Header=BB287_11 Depth=1
	s_or_b32 exec_lo, exec_lo, s20
.LBB287_1618:                           ;   in Loop: Header=BB287_11 Depth=1
	s_delay_alu instid0(SALU_CYCLE_1)
	s_or_b32 exec_lo, exec_lo, s19
.LBB287_1619:                           ;   in Loop: Header=BB287_11 Depth=1
	s_delay_alu instid0(SALU_CYCLE_1) | instskip(SKIP_2) | instid1(VALU_DEP_1)
	s_or_b32 exec_lo, exec_lo, s8
	v_lshrrev_b16 v0, 8, v6
	s_mov_b32 s19, exec_lo
	v_cmpx_ne_u16_e32 0, v0
	s_cbranch_execz .LBB287_1627
; %bb.1620:                             ;   in Loop: Header=BB287_11 Depth=1
	v_dual_mov_b32 v38, s3 :: v_dual_mov_b32 v37, s2
	s_mov_b32 s20, exec_lo
	v_cmpx_ne_u16_e32 0x80, v0
	s_cbranch_execz .LBB287_1626
; %bb.1621:                             ;   in Loop: Header=BB287_11 Depth=1
	s_mov_b32 s8, s2
	v_dual_mov_b32 v38, s9 :: v_dual_and_b32 v1, 0xffff, v0
	v_mov_b32_e32 v37, s8
	s_mov_b32 s8, exec_lo
	s_delay_alu instid0(VALU_DEP_2) | instskip(NEXT) | instid1(VALU_DEP_1)
	v_and_b32_e32 v0, 0x7f, v1
	v_cmpx_ne_u32_e32 0x7f, v0
	s_cbranch_execz .LBB287_1625
; %bb.1622:                             ;   in Loop: Header=BB287_11 Depth=1
	v_and_b32_e32 v140, 7, v1
	v_lshrrev_b32_e32 v7, 3, v0
	v_cmp_gt_u32_e64 s1, 8, v0
	s_delay_alu instid0(VALU_DEP_3) | instskip(NEXT) | instid1(VALU_DEP_2)
	v_dual_mov_b32 v0, v140 :: v_dual_mov_b32 v1, v141
	s_and_saveexec_b32 s21, s1
; %bb.1623:                             ;   in Loop: Header=BB287_11 Depth=1
	v_clz_i32_u32_e32 v0, v140
	s_delay_alu instid0(VALU_DEP_1) | instskip(NEXT) | instid1(VALU_DEP_1)
	v_min_u32_e32 v7, 32, v0
	v_subrev_nc_u32_e32 v0, 28, v7
	v_sub_nc_u32_e32 v7, 29, v7
	s_delay_alu instid0(VALU_DEP_2) | instskip(NEXT) | instid1(VALU_DEP_1)
	v_lshlrev_b64 v[0:1], v0, v[140:141]
	v_and_b32_e32 v0, 7, v0
; %bb.1624:                             ;   in Loop: Header=BB287_11 Depth=1
	s_or_b32 exec_lo, exec_lo, s21
	v_lshlrev_b32_e32 v1, 16, v6
	s_delay_alu instid0(VALU_DEP_2) | instskip(SKIP_1) | instid1(VALU_DEP_3)
	v_dual_mov_b32 v37, v141 :: v_dual_lshlrev_b32 v0, 20, v0
	v_lshl_add_u32 v4, v7, 23, 0x3c000000
	v_and_b32_e32 v1, 0x80000000, v1
	s_delay_alu instid0(VALU_DEP_1)
	v_or3_b32 v38, v0, v1, v4
.LBB287_1625:                           ;   in Loop: Header=BB287_11 Depth=1
	s_or_b32 exec_lo, exec_lo, s8
.LBB287_1626:                           ;   in Loop: Header=BB287_11 Depth=1
	s_delay_alu instid0(SALU_CYCLE_1)
	s_or_b32 exec_lo, exec_lo, s20
.LBB287_1627:                           ;   in Loop: Header=BB287_11 Depth=1
	s_delay_alu instid0(SALU_CYCLE_1) | instskip(SKIP_4) | instid1(VALU_DEP_2)
	s_or_b32 exec_lo, exec_lo, s19
	v_mov_b32_e32 v50, 0
	v_lshrrev_b32_e32 v7, 16, v6
	v_mov_b32_e32 v51, 0
	s_mov_b32 s8, exec_lo
	v_and_b32_e32 v0, 0xff, v7
	s_delay_alu instid0(VALU_DEP_2) | instskip(NEXT) | instid1(VALU_DEP_2)
	v_dual_mov_b32 v48, v50 :: v_dual_mov_b32 v49, v51
	v_cmpx_ne_u16_e32 0, v0
	s_cbranch_execz .LBB287_1635
; %bb.1628:                             ;   in Loop: Header=BB287_11 Depth=1
	v_bfrev_b32_e32 v48, 1
	v_mov_b32_e32 v49, 0
	s_mov_b32 s19, exec_lo
	v_cmpx_ne_u16_e32 0x80, v0
	s_cbranch_execz .LBB287_1634
; %bb.1629:                             ;   in Loop: Header=BB287_11 Depth=1
	v_mov_b32_e32 v48, 0x7f800001
	v_bfe_u32 v0, v6, 16, 7
	v_mov_b32_e32 v49, 0
	s_mov_b32 s20, exec_lo
	s_delay_alu instid0(VALU_DEP_2)
	v_cmpx_ne_u32_e32 0x7f, v0
	s_cbranch_execz .LBB287_1633
; %bb.1630:                             ;   in Loop: Header=BB287_11 Depth=1
	v_and_b32_e32 v140, 7, v7
	v_lshrrev_b32_e32 v8, 3, v0
	v_cmp_gt_u32_e64 s1, 8, v0
	s_delay_alu instid0(VALU_DEP_3) | instskip(NEXT) | instid1(VALU_DEP_2)
	v_dual_mov_b32 v0, v140 :: v_dual_mov_b32 v1, v141
	s_and_saveexec_b32 s21, s1
; %bb.1631:                             ;   in Loop: Header=BB287_11 Depth=1
	v_clz_i32_u32_e32 v0, v140
	s_delay_alu instid0(VALU_DEP_1) | instskip(NEXT) | instid1(VALU_DEP_1)
	v_min_u32_e32 v8, 32, v0
	v_subrev_nc_u32_e32 v0, 28, v8
	v_sub_nc_u32_e32 v8, 29, v8
	s_delay_alu instid0(VALU_DEP_2) | instskip(NEXT) | instid1(VALU_DEP_1)
	v_lshlrev_b64 v[0:1], v0, v[140:141]
	v_and_b32_e32 v0, 7, v0
; %bb.1632:                             ;   in Loop: Header=BB287_11 Depth=1
	s_or_b32 exec_lo, exec_lo, s21
	v_lshlrev_b32_e32 v1, 24, v7
	s_delay_alu instid0(VALU_DEP_2) | instskip(SKIP_1) | instid1(VALU_DEP_3)
	v_lshlrev_b32_e32 v0, 20, v0
	v_lshl_add_u32 v4, v8, 23, 0x3c000000
	v_and_b32_e32 v1, 0x80000000, v1
	s_delay_alu instid0(VALU_DEP_1) | instskip(NEXT) | instid1(VALU_DEP_1)
	v_or3_b32 v140, v0, v1, v4
	v_dual_mov_b32 v48, v140 :: v_dual_mov_b32 v49, v141
.LBB287_1633:                           ;   in Loop: Header=BB287_11 Depth=1
	s_or_b32 exec_lo, exec_lo, s20
.LBB287_1634:                           ;   in Loop: Header=BB287_11 Depth=1
	s_delay_alu instid0(SALU_CYCLE_1)
	s_or_b32 exec_lo, exec_lo, s19
.LBB287_1635:                           ;   in Loop: Header=BB287_11 Depth=1
	s_delay_alu instid0(SALU_CYCLE_1) | instskip(NEXT) | instid1(SALU_CYCLE_1)
	s_or_b32 exec_lo, exec_lo, s8
	s_mov_b32 s19, exec_lo
	v_cmpx_lt_u32_e32 0xffffff, v6
	s_cbranch_execz .LBB287_1643
; %bb.1636:                             ;   in Loop: Header=BB287_11 Depth=1
	v_lshrrev_b32_e32 v7, 24, v6
	v_dual_mov_b32 v51, s3 :: v_dual_mov_b32 v50, s2
	s_mov_b32 s20, exec_lo
	s_delay_alu instid0(VALU_DEP_2)
	v_cmpx_ne_u32_e32 0x80, v7
	s_cbranch_execz .LBB287_1642
; %bb.1637:                             ;   in Loop: Header=BB287_11 Depth=1
	s_mov_b32 s8, s2
	v_bfe_u32 v0, v6, 24, 7
	v_dual_mov_b32 v51, s9 :: v_dual_mov_b32 v50, s8
	s_mov_b32 s8, exec_lo
	s_delay_alu instid0(VALU_DEP_2)
	v_cmpx_ne_u32_e32 0x7f, v0
	s_cbranch_execz .LBB287_1641
; %bb.1638:                             ;   in Loop: Header=BB287_11 Depth=1
	v_and_b32_e32 v140, 7, v7
	v_lshrrev_b32_e32 v6, 3, v0
	v_cmp_gt_u32_e64 s1, 8, v0
	s_delay_alu instid0(VALU_DEP_3) | instskip(NEXT) | instid1(VALU_DEP_2)
	v_dual_mov_b32 v0, v140 :: v_dual_mov_b32 v1, v141
	s_and_saveexec_b32 s21, s1
; %bb.1639:                             ;   in Loop: Header=BB287_11 Depth=1
	v_clz_i32_u32_e32 v0, v140
	s_delay_alu instid0(VALU_DEP_1) | instskip(NEXT) | instid1(VALU_DEP_1)
	v_min_u32_e32 v6, 32, v0
	v_subrev_nc_u32_e32 v0, 28, v6
	v_sub_nc_u32_e32 v6, 29, v6
	s_delay_alu instid0(VALU_DEP_2) | instskip(NEXT) | instid1(VALU_DEP_1)
	v_lshlrev_b64 v[0:1], v0, v[140:141]
	v_and_b32_e32 v0, 7, v0
; %bb.1640:                             ;   in Loop: Header=BB287_11 Depth=1
	s_or_b32 exec_lo, exec_lo, s21
	v_dual_mov_b32 v50, v141 :: v_dual_lshlrev_b32 v1, 24, v7
	s_delay_alu instid0(VALU_DEP_2) | instskip(SKIP_1) | instid1(VALU_DEP_3)
	v_lshlrev_b32_e32 v0, 20, v0
	v_lshl_add_u32 v4, v6, 23, 0x3c000000
	v_and_b32_e32 v1, 0x80000000, v1
	s_delay_alu instid0(VALU_DEP_1)
	v_or3_b32 v51, v0, v1, v4
.LBB287_1641:                           ;   in Loop: Header=BB287_11 Depth=1
	s_or_b32 exec_lo, exec_lo, s8
.LBB287_1642:                           ;   in Loop: Header=BB287_11 Depth=1
	s_delay_alu instid0(SALU_CYCLE_1)
	s_or_b32 exec_lo, exec_lo, s20
.LBB287_1643:                           ;   in Loop: Header=BB287_11 Depth=1
	s_delay_alu instid0(SALU_CYCLE_1)
	s_or_b32 exec_lo, exec_lo, s19
	flat_load_b32 v6, v[70:71] offset:2060
	v_mov_b32_e32 v148, 0
	v_mov_b32_e32 v149, 0
	s_mov_b32 s8, exec_lo
	s_waitcnt vmcnt(0) lgkmcnt(0)
	v_and_b32_e32 v0, 0xff, v6
	s_delay_alu instid0(VALU_DEP_2) | instskip(NEXT) | instid1(VALU_DEP_2)
	v_dual_mov_b32 v108, v148 :: v_dual_mov_b32 v109, v149
	v_cmpx_ne_u16_e32 0, v0
	s_cbranch_execz .LBB287_1651
; %bb.1644:                             ;   in Loop: Header=BB287_11 Depth=1
	v_bfrev_b32_e32 v108, 1
	v_mov_b32_e32 v109, 0
	s_mov_b32 s19, exec_lo
	v_cmpx_ne_u16_e32 0x80, v0
	s_cbranch_execz .LBB287_1650
; %bb.1645:                             ;   in Loop: Header=BB287_11 Depth=1
	v_mov_b32_e32 v108, 0x7f800001
	v_dual_mov_b32 v109, 0 :: v_dual_and_b32 v0, 0x7f, v6
	s_mov_b32 s20, exec_lo
	s_delay_alu instid0(VALU_DEP_1)
	v_cmpx_ne_u32_e32 0x7f, v0
	s_cbranch_execz .LBB287_1649
; %bb.1646:                             ;   in Loop: Header=BB287_11 Depth=1
	v_and_b32_e32 v140, 7, v6
	v_lshrrev_b32_e32 v7, 3, v0
	v_cmp_gt_u32_e64 s1, 8, v0
	s_delay_alu instid0(VALU_DEP_3) | instskip(NEXT) | instid1(VALU_DEP_2)
	v_dual_mov_b32 v0, v140 :: v_dual_mov_b32 v1, v141
	s_and_saveexec_b32 s21, s1
; %bb.1647:                             ;   in Loop: Header=BB287_11 Depth=1
	v_clz_i32_u32_e32 v0, v140
	s_delay_alu instid0(VALU_DEP_1) | instskip(NEXT) | instid1(VALU_DEP_1)
	v_min_u32_e32 v7, 32, v0
	v_subrev_nc_u32_e32 v0, 28, v7
	v_sub_nc_u32_e32 v7, 29, v7
	s_delay_alu instid0(VALU_DEP_2) | instskip(NEXT) | instid1(VALU_DEP_1)
	v_lshlrev_b64 v[0:1], v0, v[140:141]
	v_and_b32_e32 v0, 7, v0
; %bb.1648:                             ;   in Loop: Header=BB287_11 Depth=1
	s_or_b32 exec_lo, exec_lo, s21
	v_lshlrev_b32_e32 v1, 24, v6
	s_delay_alu instid0(VALU_DEP_2) | instskip(SKIP_1) | instid1(VALU_DEP_3)
	v_lshlrev_b32_e32 v0, 20, v0
	v_lshl_add_u32 v4, v7, 23, 0x3c000000
	v_and_b32_e32 v1, 0x80000000, v1
	s_delay_alu instid0(VALU_DEP_1) | instskip(NEXT) | instid1(VALU_DEP_1)
	v_or3_b32 v140, v0, v1, v4
	v_dual_mov_b32 v108, v140 :: v_dual_mov_b32 v109, v141
.LBB287_1649:                           ;   in Loop: Header=BB287_11 Depth=1
	s_or_b32 exec_lo, exec_lo, s20
.LBB287_1650:                           ;   in Loop: Header=BB287_11 Depth=1
	s_delay_alu instid0(SALU_CYCLE_1)
	s_or_b32 exec_lo, exec_lo, s19
.LBB287_1651:                           ;   in Loop: Header=BB287_11 Depth=1
	s_delay_alu instid0(SALU_CYCLE_1) | instskip(SKIP_2) | instid1(VALU_DEP_1)
	s_or_b32 exec_lo, exec_lo, s8
	v_lshrrev_b16 v0, 8, v6
	s_mov_b32 s19, exec_lo
	v_cmpx_ne_u16_e32 0, v0
	s_cbranch_execz .LBB287_1659
; %bb.1652:                             ;   in Loop: Header=BB287_11 Depth=1
	v_dual_mov_b32 v149, s3 :: v_dual_mov_b32 v148, s2
	s_mov_b32 s20, exec_lo
	v_cmpx_ne_u16_e32 0x80, v0
	s_cbranch_execz .LBB287_1658
; %bb.1653:                             ;   in Loop: Header=BB287_11 Depth=1
	s_mov_b32 s8, s2
	v_and_b32_e32 v1, 0xffff, v0
	v_dual_mov_b32 v149, s9 :: v_dual_mov_b32 v148, s8
	s_mov_b32 s8, exec_lo
	s_delay_alu instid0(VALU_DEP_2) | instskip(NEXT) | instid1(VALU_DEP_1)
	v_and_b32_e32 v0, 0x7f, v1
	v_cmpx_ne_u32_e32 0x7f, v0
	s_cbranch_execz .LBB287_1657
; %bb.1654:                             ;   in Loop: Header=BB287_11 Depth=1
	v_and_b32_e32 v140, 7, v1
	v_lshrrev_b32_e32 v7, 3, v0
	v_cmp_gt_u32_e64 s1, 8, v0
	s_delay_alu instid0(VALU_DEP_3) | instskip(NEXT) | instid1(VALU_DEP_2)
	v_dual_mov_b32 v0, v140 :: v_dual_mov_b32 v1, v141
	s_and_saveexec_b32 s21, s1
; %bb.1655:                             ;   in Loop: Header=BB287_11 Depth=1
	v_clz_i32_u32_e32 v0, v140
	s_delay_alu instid0(VALU_DEP_1) | instskip(NEXT) | instid1(VALU_DEP_1)
	v_min_u32_e32 v7, 32, v0
	v_subrev_nc_u32_e32 v0, 28, v7
	v_sub_nc_u32_e32 v7, 29, v7
	s_delay_alu instid0(VALU_DEP_2) | instskip(NEXT) | instid1(VALU_DEP_1)
	v_lshlrev_b64 v[0:1], v0, v[140:141]
	v_and_b32_e32 v0, 7, v0
; %bb.1656:                             ;   in Loop: Header=BB287_11 Depth=1
	s_or_b32 exec_lo, exec_lo, s21
	v_dual_mov_b32 v148, v141 :: v_dual_lshlrev_b32 v1, 16, v6
	s_delay_alu instid0(VALU_DEP_2) | instskip(SKIP_1) | instid1(VALU_DEP_3)
	v_lshlrev_b32_e32 v0, 20, v0
	v_lshl_add_u32 v4, v7, 23, 0x3c000000
	v_and_b32_e32 v1, 0x80000000, v1
	s_delay_alu instid0(VALU_DEP_1)
	v_or3_b32 v149, v0, v1, v4
.LBB287_1657:                           ;   in Loop: Header=BB287_11 Depth=1
	s_or_b32 exec_lo, exec_lo, s8
.LBB287_1658:                           ;   in Loop: Header=BB287_11 Depth=1
	s_delay_alu instid0(SALU_CYCLE_1)
	s_or_b32 exec_lo, exec_lo, s20
.LBB287_1659:                           ;   in Loop: Header=BB287_11 Depth=1
	s_delay_alu instid0(SALU_CYCLE_1) | instskip(SKIP_4) | instid1(VALU_DEP_2)
	s_or_b32 exec_lo, exec_lo, s19
	v_mov_b32_e32 v160, 0
	v_lshrrev_b32_e32 v7, 16, v6
	v_mov_b32_e32 v161, 0
	s_mov_b32 s8, exec_lo
	v_and_b32_e32 v0, 0xff, v7
	s_delay_alu instid0(VALU_DEP_2) | instskip(NEXT) | instid1(VALU_DEP_2)
	v_dual_mov_b32 v80, v160 :: v_dual_mov_b32 v81, v161
	v_cmpx_ne_u16_e32 0, v0
	s_cbranch_execz .LBB287_1667
; %bb.1660:                             ;   in Loop: Header=BB287_11 Depth=1
	v_bfrev_b32_e32 v80, 1
	v_mov_b32_e32 v81, 0
	s_mov_b32 s19, exec_lo
	v_cmpx_ne_u16_e32 0x80, v0
	s_cbranch_execz .LBB287_1666
; %bb.1661:                             ;   in Loop: Header=BB287_11 Depth=1
	v_mov_b32_e32 v80, 0x7f800001
	v_bfe_u32 v0, v6, 16, 7
	v_mov_b32_e32 v81, 0
	s_mov_b32 s20, exec_lo
	s_delay_alu instid0(VALU_DEP_2)
	v_cmpx_ne_u32_e32 0x7f, v0
	s_cbranch_execz .LBB287_1665
; %bb.1662:                             ;   in Loop: Header=BB287_11 Depth=1
	v_and_b32_e32 v140, 7, v7
	v_lshrrev_b32_e32 v8, 3, v0
	v_cmp_gt_u32_e64 s1, 8, v0
	s_delay_alu instid0(VALU_DEP_3) | instskip(NEXT) | instid1(VALU_DEP_2)
	v_dual_mov_b32 v0, v140 :: v_dual_mov_b32 v1, v141
	s_and_saveexec_b32 s21, s1
; %bb.1663:                             ;   in Loop: Header=BB287_11 Depth=1
	v_clz_i32_u32_e32 v0, v140
	s_delay_alu instid0(VALU_DEP_1) | instskip(NEXT) | instid1(VALU_DEP_1)
	v_min_u32_e32 v8, 32, v0
	v_subrev_nc_u32_e32 v0, 28, v8
	v_sub_nc_u32_e32 v8, 29, v8
	s_delay_alu instid0(VALU_DEP_2) | instskip(NEXT) | instid1(VALU_DEP_1)
	v_lshlrev_b64 v[0:1], v0, v[140:141]
	v_and_b32_e32 v0, 7, v0
; %bb.1664:                             ;   in Loop: Header=BB287_11 Depth=1
	s_or_b32 exec_lo, exec_lo, s21
	v_lshlrev_b32_e32 v1, 24, v7
	s_delay_alu instid0(VALU_DEP_2) | instskip(SKIP_1) | instid1(VALU_DEP_3)
	v_lshlrev_b32_e32 v0, 20, v0
	v_lshl_add_u32 v4, v8, 23, 0x3c000000
	v_and_b32_e32 v1, 0x80000000, v1
	s_delay_alu instid0(VALU_DEP_1) | instskip(NEXT) | instid1(VALU_DEP_1)
	v_or3_b32 v140, v0, v1, v4
	v_dual_mov_b32 v80, v140 :: v_dual_mov_b32 v81, v141
.LBB287_1665:                           ;   in Loop: Header=BB287_11 Depth=1
	s_or_b32 exec_lo, exec_lo, s20
.LBB287_1666:                           ;   in Loop: Header=BB287_11 Depth=1
	s_delay_alu instid0(SALU_CYCLE_1)
	s_or_b32 exec_lo, exec_lo, s19
.LBB287_1667:                           ;   in Loop: Header=BB287_11 Depth=1
	s_delay_alu instid0(SALU_CYCLE_1) | instskip(NEXT) | instid1(SALU_CYCLE_1)
	s_or_b32 exec_lo, exec_lo, s8
	s_mov_b32 s19, exec_lo
	v_cmpx_lt_u32_e32 0xffffff, v6
	s_cbranch_execz .LBB287_1675
; %bb.1668:                             ;   in Loop: Header=BB287_11 Depth=1
	v_lshrrev_b32_e32 v7, 24, v6
	v_dual_mov_b32 v161, s3 :: v_dual_mov_b32 v160, s2
	s_mov_b32 s20, exec_lo
	s_delay_alu instid0(VALU_DEP_2)
	v_cmpx_ne_u32_e32 0x80, v7
	s_cbranch_execz .LBB287_1674
; %bb.1669:                             ;   in Loop: Header=BB287_11 Depth=1
	s_mov_b32 s8, s2
	v_bfe_u32 v0, v6, 24, 7
	v_dual_mov_b32 v161, s9 :: v_dual_mov_b32 v160, s8
	s_mov_b32 s8, exec_lo
	s_delay_alu instid0(VALU_DEP_2)
	v_cmpx_ne_u32_e32 0x7f, v0
	s_cbranch_execz .LBB287_1673
; %bb.1670:                             ;   in Loop: Header=BB287_11 Depth=1
	v_and_b32_e32 v140, 7, v7
	v_lshrrev_b32_e32 v6, 3, v0
	v_cmp_gt_u32_e64 s1, 8, v0
	s_delay_alu instid0(VALU_DEP_3) | instskip(NEXT) | instid1(VALU_DEP_2)
	v_dual_mov_b32 v0, v140 :: v_dual_mov_b32 v1, v141
	s_and_saveexec_b32 s21, s1
; %bb.1671:                             ;   in Loop: Header=BB287_11 Depth=1
	v_clz_i32_u32_e32 v0, v140
	s_delay_alu instid0(VALU_DEP_1) | instskip(NEXT) | instid1(VALU_DEP_1)
	v_min_u32_e32 v6, 32, v0
	v_subrev_nc_u32_e32 v0, 28, v6
	v_sub_nc_u32_e32 v6, 29, v6
	s_delay_alu instid0(VALU_DEP_2) | instskip(NEXT) | instid1(VALU_DEP_1)
	v_lshlrev_b64 v[0:1], v0, v[140:141]
	v_and_b32_e32 v0, 7, v0
; %bb.1672:                             ;   in Loop: Header=BB287_11 Depth=1
	s_or_b32 exec_lo, exec_lo, s21
	v_dual_mov_b32 v160, v141 :: v_dual_lshlrev_b32 v1, 24, v7
	s_delay_alu instid0(VALU_DEP_2) | instskip(SKIP_1) | instid1(VALU_DEP_3)
	v_lshlrev_b32_e32 v0, 20, v0
	v_lshl_add_u32 v4, v6, 23, 0x3c000000
	v_and_b32_e32 v1, 0x80000000, v1
	s_delay_alu instid0(VALU_DEP_1)
	v_or3_b32 v161, v0, v1, v4
.LBB287_1673:                           ;   in Loop: Header=BB287_11 Depth=1
	s_or_b32 exec_lo, exec_lo, s8
.LBB287_1674:                           ;   in Loop: Header=BB287_11 Depth=1
	s_delay_alu instid0(SALU_CYCLE_1)
	s_or_b32 exec_lo, exec_lo, s20
.LBB287_1675:                           ;   in Loop: Header=BB287_11 Depth=1
	s_delay_alu instid0(SALU_CYCLE_1)
	s_or_b32 exec_lo, exec_lo, s19
	flat_load_b32 v6, v[70:71] offset:2560
	v_mov_b32_e32 v176, 0
	v_mov_b32_e32 v177, 0
	s_mov_b32 s8, exec_lo
	s_waitcnt vmcnt(0) lgkmcnt(0)
	v_and_b32_e32 v0, 0xff, v6
	s_delay_alu instid0(VALU_DEP_2) | instskip(NEXT) | instid1(VALU_DEP_2)
	v_dual_mov_b32 v154, v176 :: v_dual_mov_b32 v155, v177
	v_cmpx_ne_u16_e32 0, v0
	s_cbranch_execz .LBB287_1683
; %bb.1676:                             ;   in Loop: Header=BB287_11 Depth=1
	v_bfrev_b32_e32 v154, 1
	v_mov_b32_e32 v155, 0
	s_mov_b32 s19, exec_lo
	v_cmpx_ne_u16_e32 0x80, v0
	s_cbranch_execz .LBB287_1682
; %bb.1677:                             ;   in Loop: Header=BB287_11 Depth=1
	v_mov_b32_e32 v154, 0x7f800001
	v_dual_mov_b32 v155, 0 :: v_dual_and_b32 v0, 0x7f, v6
	s_mov_b32 s20, exec_lo
	s_delay_alu instid0(VALU_DEP_1)
	v_cmpx_ne_u32_e32 0x7f, v0
	s_cbranch_execz .LBB287_1681
; %bb.1678:                             ;   in Loop: Header=BB287_11 Depth=1
	v_and_b32_e32 v140, 7, v6
	v_lshrrev_b32_e32 v7, 3, v0
	v_cmp_gt_u32_e64 s1, 8, v0
	s_delay_alu instid0(VALU_DEP_3) | instskip(NEXT) | instid1(VALU_DEP_2)
	v_dual_mov_b32 v0, v140 :: v_dual_mov_b32 v1, v141
	s_and_saveexec_b32 s21, s1
; %bb.1679:                             ;   in Loop: Header=BB287_11 Depth=1
	v_clz_i32_u32_e32 v0, v140
	s_delay_alu instid0(VALU_DEP_1) | instskip(NEXT) | instid1(VALU_DEP_1)
	v_min_u32_e32 v7, 32, v0
	v_subrev_nc_u32_e32 v0, 28, v7
	v_sub_nc_u32_e32 v7, 29, v7
	s_delay_alu instid0(VALU_DEP_2) | instskip(NEXT) | instid1(VALU_DEP_1)
	v_lshlrev_b64 v[0:1], v0, v[140:141]
	v_and_b32_e32 v0, 7, v0
; %bb.1680:                             ;   in Loop: Header=BB287_11 Depth=1
	s_or_b32 exec_lo, exec_lo, s21
	v_lshlrev_b32_e32 v1, 24, v6
	s_delay_alu instid0(VALU_DEP_2) | instskip(SKIP_1) | instid1(VALU_DEP_3)
	v_lshlrev_b32_e32 v0, 20, v0
	v_lshl_add_u32 v4, v7, 23, 0x3c000000
	v_and_b32_e32 v1, 0x80000000, v1
	s_delay_alu instid0(VALU_DEP_1) | instskip(NEXT) | instid1(VALU_DEP_1)
	v_or3_b32 v140, v0, v1, v4
	v_dual_mov_b32 v155, v141 :: v_dual_mov_b32 v154, v140
.LBB287_1681:                           ;   in Loop: Header=BB287_11 Depth=1
	s_or_b32 exec_lo, exec_lo, s20
.LBB287_1682:                           ;   in Loop: Header=BB287_11 Depth=1
	s_delay_alu instid0(SALU_CYCLE_1)
	s_or_b32 exec_lo, exec_lo, s19
.LBB287_1683:                           ;   in Loop: Header=BB287_11 Depth=1
	s_delay_alu instid0(SALU_CYCLE_1) | instskip(SKIP_2) | instid1(VALU_DEP_1)
	s_or_b32 exec_lo, exec_lo, s8
	v_lshrrev_b16 v0, 8, v6
	s_mov_b32 s19, exec_lo
	v_cmpx_ne_u16_e32 0, v0
	s_cbranch_execz .LBB287_1691
; %bb.1684:                             ;   in Loop: Header=BB287_11 Depth=1
	v_dual_mov_b32 v177, s3 :: v_dual_mov_b32 v176, s2
	s_mov_b32 s20, exec_lo
	v_cmpx_ne_u16_e32 0x80, v0
	s_cbranch_execz .LBB287_1690
; %bb.1685:                             ;   in Loop: Header=BB287_11 Depth=1
	s_mov_b32 s8, s2
	v_and_b32_e32 v1, 0xffff, v0
	v_dual_mov_b32 v177, s9 :: v_dual_mov_b32 v176, s8
	s_mov_b32 s8, exec_lo
	s_delay_alu instid0(VALU_DEP_2) | instskip(NEXT) | instid1(VALU_DEP_1)
	v_and_b32_e32 v0, 0x7f, v1
	v_cmpx_ne_u32_e32 0x7f, v0
	s_cbranch_execz .LBB287_1689
; %bb.1686:                             ;   in Loop: Header=BB287_11 Depth=1
	v_and_b32_e32 v140, 7, v1
	v_lshrrev_b32_e32 v7, 3, v0
	v_cmp_gt_u32_e64 s1, 8, v0
	s_delay_alu instid0(VALU_DEP_3) | instskip(NEXT) | instid1(VALU_DEP_2)
	v_dual_mov_b32 v0, v140 :: v_dual_mov_b32 v1, v141
	s_and_saveexec_b32 s21, s1
; %bb.1687:                             ;   in Loop: Header=BB287_11 Depth=1
	v_clz_i32_u32_e32 v0, v140
	s_delay_alu instid0(VALU_DEP_1) | instskip(NEXT) | instid1(VALU_DEP_1)
	v_min_u32_e32 v7, 32, v0
	v_subrev_nc_u32_e32 v0, 28, v7
	v_sub_nc_u32_e32 v7, 29, v7
	s_delay_alu instid0(VALU_DEP_2) | instskip(NEXT) | instid1(VALU_DEP_1)
	v_lshlrev_b64 v[0:1], v0, v[140:141]
	v_and_b32_e32 v0, 7, v0
; %bb.1688:                             ;   in Loop: Header=BB287_11 Depth=1
	s_or_b32 exec_lo, exec_lo, s21
	v_dual_mov_b32 v176, v141 :: v_dual_lshlrev_b32 v1, 16, v6
	s_delay_alu instid0(VALU_DEP_2) | instskip(SKIP_1) | instid1(VALU_DEP_3)
	v_lshlrev_b32_e32 v0, 20, v0
	v_lshl_add_u32 v4, v7, 23, 0x3c000000
	v_and_b32_e32 v1, 0x80000000, v1
	s_delay_alu instid0(VALU_DEP_1)
	v_or3_b32 v177, v0, v1, v4
.LBB287_1689:                           ;   in Loop: Header=BB287_11 Depth=1
	s_or_b32 exec_lo, exec_lo, s8
.LBB287_1690:                           ;   in Loop: Header=BB287_11 Depth=1
	s_delay_alu instid0(SALU_CYCLE_1)
	s_or_b32 exec_lo, exec_lo, s20
.LBB287_1691:                           ;   in Loop: Header=BB287_11 Depth=1
	s_delay_alu instid0(SALU_CYCLE_1) | instskip(SKIP_4) | instid1(VALU_DEP_1)
	s_or_b32 exec_lo, exec_lo, s19
	v_lshrrev_b32_e32 v7, 16, v6
	v_mov_b32_e32 v39, 0
	v_mov_b32_e32 v40, 0
	s_mov_b32 s8, exec_lo
	v_dual_mov_b32 v63, v40 :: v_dual_and_b32 v0, 0xff, v7
	s_delay_alu instid0(VALU_DEP_3) | instskip(NEXT) | instid1(VALU_DEP_2)
	v_mov_b32_e32 v62, v39
	v_cmpx_ne_u16_e32 0, v0
	s_cbranch_execz .LBB287_1699
; %bb.1692:                             ;   in Loop: Header=BB287_11 Depth=1
	v_bfrev_b32_e32 v62, 1
	v_mov_b32_e32 v63, 0
	s_mov_b32 s19, exec_lo
	v_cmpx_ne_u16_e32 0x80, v0
	s_cbranch_execz .LBB287_1698
; %bb.1693:                             ;   in Loop: Header=BB287_11 Depth=1
	v_mov_b32_e32 v62, 0x7f800001
	v_bfe_u32 v0, v6, 16, 7
	v_mov_b32_e32 v63, 0
	s_mov_b32 s20, exec_lo
	s_delay_alu instid0(VALU_DEP_2)
	v_cmpx_ne_u32_e32 0x7f, v0
	s_cbranch_execz .LBB287_1697
; %bb.1694:                             ;   in Loop: Header=BB287_11 Depth=1
	v_and_b32_e32 v140, 7, v7
	v_lshrrev_b32_e32 v8, 3, v0
	v_cmp_gt_u32_e64 s1, 8, v0
	s_delay_alu instid0(VALU_DEP_3) | instskip(NEXT) | instid1(VALU_DEP_2)
	v_dual_mov_b32 v0, v140 :: v_dual_mov_b32 v1, v141
	s_and_saveexec_b32 s21, s1
; %bb.1695:                             ;   in Loop: Header=BB287_11 Depth=1
	v_clz_i32_u32_e32 v0, v140
	s_delay_alu instid0(VALU_DEP_1) | instskip(NEXT) | instid1(VALU_DEP_1)
	v_min_u32_e32 v8, 32, v0
	v_subrev_nc_u32_e32 v0, 28, v8
	v_sub_nc_u32_e32 v8, 29, v8
	s_delay_alu instid0(VALU_DEP_2) | instskip(NEXT) | instid1(VALU_DEP_1)
	v_lshlrev_b64 v[0:1], v0, v[140:141]
	v_and_b32_e32 v0, 7, v0
; %bb.1696:                             ;   in Loop: Header=BB287_11 Depth=1
	s_or_b32 exec_lo, exec_lo, s21
	v_lshlrev_b32_e32 v1, 24, v7
	s_delay_alu instid0(VALU_DEP_2) | instskip(SKIP_1) | instid1(VALU_DEP_3)
	v_lshlrev_b32_e32 v0, 20, v0
	v_lshl_add_u32 v4, v8, 23, 0x3c000000
	v_and_b32_e32 v1, 0x80000000, v1
	s_delay_alu instid0(VALU_DEP_1) | instskip(NEXT) | instid1(VALU_DEP_1)
	v_or3_b32 v140, v0, v1, v4
	v_dual_mov_b32 v62, v140 :: v_dual_mov_b32 v63, v141
.LBB287_1697:                           ;   in Loop: Header=BB287_11 Depth=1
	s_or_b32 exec_lo, exec_lo, s20
.LBB287_1698:                           ;   in Loop: Header=BB287_11 Depth=1
	s_delay_alu instid0(SALU_CYCLE_1)
	s_or_b32 exec_lo, exec_lo, s19
.LBB287_1699:                           ;   in Loop: Header=BB287_11 Depth=1
	s_delay_alu instid0(SALU_CYCLE_1) | instskip(NEXT) | instid1(SALU_CYCLE_1)
	s_or_b32 exec_lo, exec_lo, s8
	s_mov_b32 s19, exec_lo
	v_cmpx_lt_u32_e32 0xffffff, v6
	s_cbranch_execz .LBB287_1707
; %bb.1700:                             ;   in Loop: Header=BB287_11 Depth=1
	v_lshrrev_b32_e32 v7, 24, v6
	v_dual_mov_b32 v40, s3 :: v_dual_mov_b32 v39, s2
	s_mov_b32 s20, exec_lo
	s_delay_alu instid0(VALU_DEP_2)
	v_cmpx_ne_u32_e32 0x80, v7
	s_cbranch_execz .LBB287_1706
; %bb.1701:                             ;   in Loop: Header=BB287_11 Depth=1
	s_mov_b32 s8, s2
	v_bfe_u32 v0, v6, 24, 7
	v_dual_mov_b32 v40, s9 :: v_dual_mov_b32 v39, s8
	s_mov_b32 s8, exec_lo
	s_delay_alu instid0(VALU_DEP_2)
	v_cmpx_ne_u32_e32 0x7f, v0
	s_cbranch_execz .LBB287_1705
; %bb.1702:                             ;   in Loop: Header=BB287_11 Depth=1
	v_and_b32_e32 v140, 7, v7
	v_lshrrev_b32_e32 v6, 3, v0
	v_cmp_gt_u32_e64 s1, 8, v0
	s_delay_alu instid0(VALU_DEP_3) | instskip(NEXT) | instid1(VALU_DEP_2)
	v_dual_mov_b32 v0, v140 :: v_dual_mov_b32 v1, v141
	s_and_saveexec_b32 s21, s1
; %bb.1703:                             ;   in Loop: Header=BB287_11 Depth=1
	v_clz_i32_u32_e32 v0, v140
	s_delay_alu instid0(VALU_DEP_1) | instskip(NEXT) | instid1(VALU_DEP_1)
	v_min_u32_e32 v6, 32, v0
	v_subrev_nc_u32_e32 v0, 28, v6
	v_sub_nc_u32_e32 v6, 29, v6
	s_delay_alu instid0(VALU_DEP_2) | instskip(NEXT) | instid1(VALU_DEP_1)
	v_lshlrev_b64 v[0:1], v0, v[140:141]
	v_and_b32_e32 v0, 7, v0
; %bb.1704:                             ;   in Loop: Header=BB287_11 Depth=1
	s_or_b32 exec_lo, exec_lo, s21
	v_lshlrev_b32_e32 v1, 24, v7
	s_delay_alu instid0(VALU_DEP_2) | instskip(SKIP_1) | instid1(VALU_DEP_3)
	v_dual_mov_b32 v39, v141 :: v_dual_lshlrev_b32 v0, 20, v0
	v_lshl_add_u32 v4, v6, 23, 0x3c000000
	v_and_b32_e32 v1, 0x80000000, v1
	s_delay_alu instid0(VALU_DEP_1)
	v_or3_b32 v40, v0, v1, v4
.LBB287_1705:                           ;   in Loop: Header=BB287_11 Depth=1
	s_or_b32 exec_lo, exec_lo, s8
.LBB287_1706:                           ;   in Loop: Header=BB287_11 Depth=1
	s_delay_alu instid0(SALU_CYCLE_1)
	s_or_b32 exec_lo, exec_lo, s20
.LBB287_1707:                           ;   in Loop: Header=BB287_11 Depth=1
	s_delay_alu instid0(SALU_CYCLE_1)
	s_or_b32 exec_lo, exec_lo, s19
	flat_load_b32 v6, v[70:71] offset:2564
	v_mov_b32_e32 v60, 0
	v_mov_b32_e32 v61, 0
	s_mov_b32 s8, exec_lo
	s_waitcnt vmcnt(0) lgkmcnt(0)
	s_delay_alu instid0(VALU_DEP_1) | instskip(SKIP_1) | instid1(VALU_DEP_2)
	v_dual_mov_b32 v73, v61 :: v_dual_and_b32 v0, 0xff, v6
	v_mov_b32_e32 v72, v60
	v_cmpx_ne_u16_e32 0, v0
	s_cbranch_execz .LBB287_1715
; %bb.1708:                             ;   in Loop: Header=BB287_11 Depth=1
	v_bfrev_b32_e32 v72, 1
	v_mov_b32_e32 v73, 0
	s_mov_b32 s19, exec_lo
	v_cmpx_ne_u16_e32 0x80, v0
	s_cbranch_execz .LBB287_1714
; %bb.1709:                             ;   in Loop: Header=BB287_11 Depth=1
	v_mov_b32_e32 v72, 0x7f800001
	v_dual_mov_b32 v73, 0 :: v_dual_and_b32 v0, 0x7f, v6
	s_mov_b32 s20, exec_lo
	s_delay_alu instid0(VALU_DEP_1)
	v_cmpx_ne_u32_e32 0x7f, v0
	s_cbranch_execz .LBB287_1713
; %bb.1710:                             ;   in Loop: Header=BB287_11 Depth=1
	v_and_b32_e32 v140, 7, v6
	v_lshrrev_b32_e32 v7, 3, v0
	v_cmp_gt_u32_e64 s1, 8, v0
	s_delay_alu instid0(VALU_DEP_3) | instskip(NEXT) | instid1(VALU_DEP_2)
	v_dual_mov_b32 v0, v140 :: v_dual_mov_b32 v1, v141
	s_and_saveexec_b32 s21, s1
; %bb.1711:                             ;   in Loop: Header=BB287_11 Depth=1
	v_clz_i32_u32_e32 v0, v140
	s_delay_alu instid0(VALU_DEP_1) | instskip(NEXT) | instid1(VALU_DEP_1)
	v_min_u32_e32 v7, 32, v0
	v_subrev_nc_u32_e32 v0, 28, v7
	v_sub_nc_u32_e32 v7, 29, v7
	s_delay_alu instid0(VALU_DEP_2) | instskip(NEXT) | instid1(VALU_DEP_1)
	v_lshlrev_b64 v[0:1], v0, v[140:141]
	v_and_b32_e32 v0, 7, v0
; %bb.1712:                             ;   in Loop: Header=BB287_11 Depth=1
	s_or_b32 exec_lo, exec_lo, s21
	v_lshlrev_b32_e32 v1, 24, v6
	s_delay_alu instid0(VALU_DEP_2) | instskip(SKIP_1) | instid1(VALU_DEP_3)
	v_lshlrev_b32_e32 v0, 20, v0
	v_lshl_add_u32 v4, v7, 23, 0x3c000000
	v_and_b32_e32 v1, 0x80000000, v1
	s_delay_alu instid0(VALU_DEP_1) | instskip(NEXT) | instid1(VALU_DEP_1)
	v_or3_b32 v140, v0, v1, v4
	v_dual_mov_b32 v72, v140 :: v_dual_mov_b32 v73, v141
.LBB287_1713:                           ;   in Loop: Header=BB287_11 Depth=1
	s_or_b32 exec_lo, exec_lo, s20
.LBB287_1714:                           ;   in Loop: Header=BB287_11 Depth=1
	s_delay_alu instid0(SALU_CYCLE_1)
	s_or_b32 exec_lo, exec_lo, s19
.LBB287_1715:                           ;   in Loop: Header=BB287_11 Depth=1
	s_delay_alu instid0(SALU_CYCLE_1) | instskip(SKIP_2) | instid1(VALU_DEP_1)
	s_or_b32 exec_lo, exec_lo, s8
	v_lshrrev_b16 v0, 8, v6
	s_mov_b32 s19, exec_lo
	v_cmpx_ne_u16_e32 0, v0
	s_cbranch_execz .LBB287_1723
; %bb.1716:                             ;   in Loop: Header=BB287_11 Depth=1
	v_dual_mov_b32 v61, s3 :: v_dual_mov_b32 v60, s2
	s_mov_b32 s20, exec_lo
	v_cmpx_ne_u16_e32 0x80, v0
	s_cbranch_execz .LBB287_1722
; %bb.1717:                             ;   in Loop: Header=BB287_11 Depth=1
	s_mov_b32 s8, s2
	v_and_b32_e32 v1, 0xffff, v0
	v_dual_mov_b32 v61, s9 :: v_dual_mov_b32 v60, s8
	s_mov_b32 s8, exec_lo
	s_delay_alu instid0(VALU_DEP_2) | instskip(NEXT) | instid1(VALU_DEP_1)
	v_and_b32_e32 v0, 0x7f, v1
	v_cmpx_ne_u32_e32 0x7f, v0
	s_cbranch_execz .LBB287_1721
; %bb.1718:                             ;   in Loop: Header=BB287_11 Depth=1
	v_and_b32_e32 v140, 7, v1
	v_lshrrev_b32_e32 v7, 3, v0
	v_cmp_gt_u32_e64 s1, 8, v0
	s_delay_alu instid0(VALU_DEP_3) | instskip(NEXT) | instid1(VALU_DEP_2)
	v_dual_mov_b32 v0, v140 :: v_dual_mov_b32 v1, v141
	s_and_saveexec_b32 s21, s1
; %bb.1719:                             ;   in Loop: Header=BB287_11 Depth=1
	v_clz_i32_u32_e32 v0, v140
	s_delay_alu instid0(VALU_DEP_1) | instskip(NEXT) | instid1(VALU_DEP_1)
	v_min_u32_e32 v7, 32, v0
	v_subrev_nc_u32_e32 v0, 28, v7
	v_sub_nc_u32_e32 v7, 29, v7
	s_delay_alu instid0(VALU_DEP_2) | instskip(NEXT) | instid1(VALU_DEP_1)
	v_lshlrev_b64 v[0:1], v0, v[140:141]
	v_and_b32_e32 v0, 7, v0
; %bb.1720:                             ;   in Loop: Header=BB287_11 Depth=1
	s_or_b32 exec_lo, exec_lo, s21
	v_dual_mov_b32 v60, v141 :: v_dual_lshlrev_b32 v1, 16, v6
	s_delay_alu instid0(VALU_DEP_2) | instskip(SKIP_1) | instid1(VALU_DEP_3)
	v_lshlrev_b32_e32 v0, 20, v0
	v_lshl_add_u32 v4, v7, 23, 0x3c000000
	v_and_b32_e32 v1, 0x80000000, v1
	s_delay_alu instid0(VALU_DEP_1)
	v_or3_b32 v61, v0, v1, v4
.LBB287_1721:                           ;   in Loop: Header=BB287_11 Depth=1
	s_or_b32 exec_lo, exec_lo, s8
.LBB287_1722:                           ;   in Loop: Header=BB287_11 Depth=1
	s_delay_alu instid0(SALU_CYCLE_1)
	s_or_b32 exec_lo, exec_lo, s20
.LBB287_1723:                           ;   in Loop: Header=BB287_11 Depth=1
	s_delay_alu instid0(SALU_CYCLE_1) | instskip(SKIP_4) | instid1(VALU_DEP_1)
	s_or_b32 exec_lo, exec_lo, s19
	v_mov_b32_e32 v74, 0
	v_lshrrev_b32_e32 v7, 16, v6
	v_mov_b32_e32 v75, 0
	s_mov_b32 s8, exec_lo
	v_dual_mov_b32 v89, v75 :: v_dual_and_b32 v0, 0xff, v7
	v_mov_b32_e32 v88, v74
	s_delay_alu instid0(VALU_DEP_2)
	v_cmpx_ne_u16_e32 0, v0
	s_cbranch_execz .LBB287_1731
; %bb.1724:                             ;   in Loop: Header=BB287_11 Depth=1
	v_bfrev_b32_e32 v88, 1
	v_mov_b32_e32 v89, 0
	s_mov_b32 s19, exec_lo
	v_cmpx_ne_u16_e32 0x80, v0
	s_cbranch_execz .LBB287_1730
; %bb.1725:                             ;   in Loop: Header=BB287_11 Depth=1
	v_mov_b32_e32 v88, 0x7f800001
	v_bfe_u32 v0, v6, 16, 7
	v_mov_b32_e32 v89, 0
	s_mov_b32 s20, exec_lo
	s_delay_alu instid0(VALU_DEP_2)
	v_cmpx_ne_u32_e32 0x7f, v0
	s_cbranch_execz .LBB287_1729
; %bb.1726:                             ;   in Loop: Header=BB287_11 Depth=1
	v_and_b32_e32 v140, 7, v7
	v_lshrrev_b32_e32 v8, 3, v0
	v_cmp_gt_u32_e64 s1, 8, v0
	s_delay_alu instid0(VALU_DEP_3) | instskip(NEXT) | instid1(VALU_DEP_2)
	v_dual_mov_b32 v0, v140 :: v_dual_mov_b32 v1, v141
	s_and_saveexec_b32 s21, s1
; %bb.1727:                             ;   in Loop: Header=BB287_11 Depth=1
	v_clz_i32_u32_e32 v0, v140
	s_delay_alu instid0(VALU_DEP_1) | instskip(NEXT) | instid1(VALU_DEP_1)
	v_min_u32_e32 v8, 32, v0
	v_subrev_nc_u32_e32 v0, 28, v8
	v_sub_nc_u32_e32 v8, 29, v8
	s_delay_alu instid0(VALU_DEP_2) | instskip(NEXT) | instid1(VALU_DEP_1)
	v_lshlrev_b64 v[0:1], v0, v[140:141]
	v_and_b32_e32 v0, 7, v0
; %bb.1728:                             ;   in Loop: Header=BB287_11 Depth=1
	s_or_b32 exec_lo, exec_lo, s21
	v_lshlrev_b32_e32 v1, 24, v7
	s_delay_alu instid0(VALU_DEP_2) | instskip(SKIP_1) | instid1(VALU_DEP_3)
	v_lshlrev_b32_e32 v0, 20, v0
	v_lshl_add_u32 v4, v8, 23, 0x3c000000
	v_and_b32_e32 v1, 0x80000000, v1
	s_delay_alu instid0(VALU_DEP_1) | instskip(NEXT) | instid1(VALU_DEP_1)
	v_or3_b32 v140, v0, v1, v4
	v_dual_mov_b32 v88, v140 :: v_dual_mov_b32 v89, v141
.LBB287_1729:                           ;   in Loop: Header=BB287_11 Depth=1
	s_or_b32 exec_lo, exec_lo, s20
.LBB287_1730:                           ;   in Loop: Header=BB287_11 Depth=1
	s_delay_alu instid0(SALU_CYCLE_1)
	s_or_b32 exec_lo, exec_lo, s19
.LBB287_1731:                           ;   in Loop: Header=BB287_11 Depth=1
	s_delay_alu instid0(SALU_CYCLE_1) | instskip(NEXT) | instid1(SALU_CYCLE_1)
	s_or_b32 exec_lo, exec_lo, s8
	s_mov_b32 s19, exec_lo
	v_cmpx_lt_u32_e32 0xffffff, v6
	s_cbranch_execz .LBB287_1739
; %bb.1732:                             ;   in Loop: Header=BB287_11 Depth=1
	v_lshrrev_b32_e32 v7, 24, v6
	v_dual_mov_b32 v75, s3 :: v_dual_mov_b32 v74, s2
	s_mov_b32 s20, exec_lo
	s_delay_alu instid0(VALU_DEP_2)
	v_cmpx_ne_u32_e32 0x80, v7
	s_cbranch_execz .LBB287_1738
; %bb.1733:                             ;   in Loop: Header=BB287_11 Depth=1
	s_mov_b32 s8, s2
	v_bfe_u32 v0, v6, 24, 7
	v_dual_mov_b32 v75, s9 :: v_dual_mov_b32 v74, s8
	s_mov_b32 s8, exec_lo
	s_delay_alu instid0(VALU_DEP_2)
	v_cmpx_ne_u32_e32 0x7f, v0
	s_cbranch_execz .LBB287_1737
; %bb.1734:                             ;   in Loop: Header=BB287_11 Depth=1
	v_and_b32_e32 v140, 7, v7
	v_lshrrev_b32_e32 v6, 3, v0
	v_cmp_gt_u32_e64 s1, 8, v0
	s_delay_alu instid0(VALU_DEP_3) | instskip(NEXT) | instid1(VALU_DEP_2)
	v_dual_mov_b32 v0, v140 :: v_dual_mov_b32 v1, v141
	s_and_saveexec_b32 s21, s1
; %bb.1735:                             ;   in Loop: Header=BB287_11 Depth=1
	v_clz_i32_u32_e32 v0, v140
	s_delay_alu instid0(VALU_DEP_1) | instskip(NEXT) | instid1(VALU_DEP_1)
	v_min_u32_e32 v6, 32, v0
	v_subrev_nc_u32_e32 v0, 28, v6
	v_sub_nc_u32_e32 v6, 29, v6
	s_delay_alu instid0(VALU_DEP_2) | instskip(NEXT) | instid1(VALU_DEP_1)
	v_lshlrev_b64 v[0:1], v0, v[140:141]
	v_and_b32_e32 v0, 7, v0
; %bb.1736:                             ;   in Loop: Header=BB287_11 Depth=1
	s_or_b32 exec_lo, exec_lo, s21
	v_dual_mov_b32 v74, v141 :: v_dual_lshlrev_b32 v1, 24, v7
	s_delay_alu instid0(VALU_DEP_2) | instskip(SKIP_1) | instid1(VALU_DEP_3)
	v_lshlrev_b32_e32 v0, 20, v0
	v_lshl_add_u32 v4, v6, 23, 0x3c000000
	v_and_b32_e32 v1, 0x80000000, v1
	s_delay_alu instid0(VALU_DEP_1)
	v_or3_b32 v75, v0, v1, v4
.LBB287_1737:                           ;   in Loop: Header=BB287_11 Depth=1
	s_or_b32 exec_lo, exec_lo, s8
.LBB287_1738:                           ;   in Loop: Header=BB287_11 Depth=1
	s_delay_alu instid0(SALU_CYCLE_1)
	s_or_b32 exec_lo, exec_lo, s20
.LBB287_1739:                           ;   in Loop: Header=BB287_11 Depth=1
	s_delay_alu instid0(SALU_CYCLE_1)
	s_or_b32 exec_lo, exec_lo, s19
	flat_load_b32 v6, v[70:71] offset:2568
	v_mov_b32_e32 v78, 0
	v_mov_b32_e32 v79, 0
	s_mov_b32 s8, exec_lo
	s_waitcnt vmcnt(0) lgkmcnt(0)
	s_delay_alu instid0(VALU_DEP_1) | instskip(SKIP_1) | instid1(VALU_DEP_2)
	v_dual_mov_b32 v105, v79 :: v_dual_and_b32 v0, 0xff, v6
	v_mov_b32_e32 v104, v78
	v_cmpx_ne_u16_e32 0, v0
	s_cbranch_execz .LBB287_1747
; %bb.1740:                             ;   in Loop: Header=BB287_11 Depth=1
	v_bfrev_b32_e32 v104, 1
	v_mov_b32_e32 v105, 0
	s_mov_b32 s19, exec_lo
	v_cmpx_ne_u16_e32 0x80, v0
	s_cbranch_execz .LBB287_1746
; %bb.1741:                             ;   in Loop: Header=BB287_11 Depth=1
	v_mov_b32_e32 v104, 0x7f800001
	v_dual_mov_b32 v105, 0 :: v_dual_and_b32 v0, 0x7f, v6
	s_mov_b32 s20, exec_lo
	s_delay_alu instid0(VALU_DEP_1)
	v_cmpx_ne_u32_e32 0x7f, v0
	s_cbranch_execz .LBB287_1745
; %bb.1742:                             ;   in Loop: Header=BB287_11 Depth=1
	v_and_b32_e32 v140, 7, v6
	v_lshrrev_b32_e32 v7, 3, v0
	v_cmp_gt_u32_e64 s1, 8, v0
	s_delay_alu instid0(VALU_DEP_3) | instskip(NEXT) | instid1(VALU_DEP_2)
	v_dual_mov_b32 v0, v140 :: v_dual_mov_b32 v1, v141
	s_and_saveexec_b32 s21, s1
; %bb.1743:                             ;   in Loop: Header=BB287_11 Depth=1
	v_clz_i32_u32_e32 v0, v140
	s_delay_alu instid0(VALU_DEP_1) | instskip(NEXT) | instid1(VALU_DEP_1)
	v_min_u32_e32 v7, 32, v0
	v_subrev_nc_u32_e32 v0, 28, v7
	v_sub_nc_u32_e32 v7, 29, v7
	s_delay_alu instid0(VALU_DEP_2) | instskip(NEXT) | instid1(VALU_DEP_1)
	v_lshlrev_b64 v[0:1], v0, v[140:141]
	v_and_b32_e32 v0, 7, v0
; %bb.1744:                             ;   in Loop: Header=BB287_11 Depth=1
	s_or_b32 exec_lo, exec_lo, s21
	v_lshlrev_b32_e32 v1, 24, v6
	s_delay_alu instid0(VALU_DEP_2) | instskip(SKIP_1) | instid1(VALU_DEP_3)
	v_lshlrev_b32_e32 v0, 20, v0
	v_lshl_add_u32 v4, v7, 23, 0x3c000000
	v_and_b32_e32 v1, 0x80000000, v1
	s_delay_alu instid0(VALU_DEP_1) | instskip(NEXT) | instid1(VALU_DEP_1)
	v_or3_b32 v140, v0, v1, v4
	v_dual_mov_b32 v104, v140 :: v_dual_mov_b32 v105, v141
.LBB287_1745:                           ;   in Loop: Header=BB287_11 Depth=1
	s_or_b32 exec_lo, exec_lo, s20
.LBB287_1746:                           ;   in Loop: Header=BB287_11 Depth=1
	s_delay_alu instid0(SALU_CYCLE_1)
	s_or_b32 exec_lo, exec_lo, s19
.LBB287_1747:                           ;   in Loop: Header=BB287_11 Depth=1
	s_delay_alu instid0(SALU_CYCLE_1) | instskip(SKIP_2) | instid1(VALU_DEP_1)
	s_or_b32 exec_lo, exec_lo, s8
	v_lshrrev_b16 v0, 8, v6
	s_mov_b32 s19, exec_lo
	v_cmpx_ne_u16_e32 0, v0
	s_cbranch_execz .LBB287_1755
; %bb.1748:                             ;   in Loop: Header=BB287_11 Depth=1
	v_dual_mov_b32 v79, s3 :: v_dual_mov_b32 v78, s2
	s_mov_b32 s20, exec_lo
	v_cmpx_ne_u16_e32 0x80, v0
	s_cbranch_execz .LBB287_1754
; %bb.1749:                             ;   in Loop: Header=BB287_11 Depth=1
	s_mov_b32 s8, s2
	v_and_b32_e32 v1, 0xffff, v0
	v_dual_mov_b32 v79, s9 :: v_dual_mov_b32 v78, s8
	s_mov_b32 s8, exec_lo
	s_delay_alu instid0(VALU_DEP_2) | instskip(NEXT) | instid1(VALU_DEP_1)
	v_and_b32_e32 v0, 0x7f, v1
	v_cmpx_ne_u32_e32 0x7f, v0
	s_cbranch_execz .LBB287_1753
; %bb.1750:                             ;   in Loop: Header=BB287_11 Depth=1
	v_and_b32_e32 v140, 7, v1
	v_lshrrev_b32_e32 v7, 3, v0
	v_cmp_gt_u32_e64 s1, 8, v0
	s_delay_alu instid0(VALU_DEP_3) | instskip(NEXT) | instid1(VALU_DEP_2)
	v_dual_mov_b32 v0, v140 :: v_dual_mov_b32 v1, v141
	s_and_saveexec_b32 s21, s1
; %bb.1751:                             ;   in Loop: Header=BB287_11 Depth=1
	v_clz_i32_u32_e32 v0, v140
	s_delay_alu instid0(VALU_DEP_1) | instskip(NEXT) | instid1(VALU_DEP_1)
	v_min_u32_e32 v7, 32, v0
	v_subrev_nc_u32_e32 v0, 28, v7
	v_sub_nc_u32_e32 v7, 29, v7
	s_delay_alu instid0(VALU_DEP_2) | instskip(NEXT) | instid1(VALU_DEP_1)
	v_lshlrev_b64 v[0:1], v0, v[140:141]
	v_and_b32_e32 v0, 7, v0
; %bb.1752:                             ;   in Loop: Header=BB287_11 Depth=1
	s_or_b32 exec_lo, exec_lo, s21
	v_dual_mov_b32 v78, v141 :: v_dual_lshlrev_b32 v1, 16, v6
	s_delay_alu instid0(VALU_DEP_2) | instskip(SKIP_1) | instid1(VALU_DEP_3)
	v_lshlrev_b32_e32 v0, 20, v0
	v_lshl_add_u32 v4, v7, 23, 0x3c000000
	v_and_b32_e32 v1, 0x80000000, v1
	s_delay_alu instid0(VALU_DEP_1)
	v_or3_b32 v79, v0, v1, v4
.LBB287_1753:                           ;   in Loop: Header=BB287_11 Depth=1
	s_or_b32 exec_lo, exec_lo, s8
.LBB287_1754:                           ;   in Loop: Header=BB287_11 Depth=1
	s_delay_alu instid0(SALU_CYCLE_1)
	s_or_b32 exec_lo, exec_lo, s20
.LBB287_1755:                           ;   in Loop: Header=BB287_11 Depth=1
	s_delay_alu instid0(SALU_CYCLE_1) | instskip(SKIP_4) | instid1(VALU_DEP_2)
	s_or_b32 exec_lo, exec_lo, s19
	v_mov_b32_e32 v120, 0
	v_lshrrev_b32_e32 v7, 16, v6
	v_mov_b32_e32 v121, 0
	s_mov_b32 s8, exec_lo
	v_and_b32_e32 v0, 0xff, v7
	s_delay_alu instid0(VALU_DEP_2) | instskip(NEXT) | instid1(VALU_DEP_2)
	v_dual_mov_b32 v90, v120 :: v_dual_mov_b32 v91, v121
	v_cmpx_ne_u16_e32 0, v0
	s_cbranch_execz .LBB287_1763
; %bb.1756:                             ;   in Loop: Header=BB287_11 Depth=1
	v_bfrev_b32_e32 v90, 1
	v_mov_b32_e32 v91, 0
	s_mov_b32 s19, exec_lo
	v_cmpx_ne_u16_e32 0x80, v0
	s_cbranch_execz .LBB287_1762
; %bb.1757:                             ;   in Loop: Header=BB287_11 Depth=1
	v_mov_b32_e32 v90, 0x7f800001
	v_bfe_u32 v0, v6, 16, 7
	v_mov_b32_e32 v91, 0
	s_mov_b32 s20, exec_lo
	s_delay_alu instid0(VALU_DEP_2)
	v_cmpx_ne_u32_e32 0x7f, v0
	s_cbranch_execz .LBB287_1761
; %bb.1758:                             ;   in Loop: Header=BB287_11 Depth=1
	v_and_b32_e32 v140, 7, v7
	v_lshrrev_b32_e32 v8, 3, v0
	v_cmp_gt_u32_e64 s1, 8, v0
	s_delay_alu instid0(VALU_DEP_3) | instskip(NEXT) | instid1(VALU_DEP_2)
	v_dual_mov_b32 v0, v140 :: v_dual_mov_b32 v1, v141
	s_and_saveexec_b32 s21, s1
; %bb.1759:                             ;   in Loop: Header=BB287_11 Depth=1
	v_clz_i32_u32_e32 v0, v140
	s_delay_alu instid0(VALU_DEP_1) | instskip(NEXT) | instid1(VALU_DEP_1)
	v_min_u32_e32 v8, 32, v0
	v_subrev_nc_u32_e32 v0, 28, v8
	v_sub_nc_u32_e32 v8, 29, v8
	s_delay_alu instid0(VALU_DEP_2) | instskip(NEXT) | instid1(VALU_DEP_1)
	v_lshlrev_b64 v[0:1], v0, v[140:141]
	v_and_b32_e32 v0, 7, v0
; %bb.1760:                             ;   in Loop: Header=BB287_11 Depth=1
	s_or_b32 exec_lo, exec_lo, s21
	v_lshlrev_b32_e32 v1, 24, v7
	s_delay_alu instid0(VALU_DEP_2) | instskip(SKIP_1) | instid1(VALU_DEP_3)
	v_lshlrev_b32_e32 v0, 20, v0
	v_lshl_add_u32 v4, v8, 23, 0x3c000000
	v_and_b32_e32 v1, 0x80000000, v1
	s_delay_alu instid0(VALU_DEP_1) | instskip(NEXT) | instid1(VALU_DEP_1)
	v_or3_b32 v140, v0, v1, v4
	v_dual_mov_b32 v90, v140 :: v_dual_mov_b32 v91, v141
.LBB287_1761:                           ;   in Loop: Header=BB287_11 Depth=1
	s_or_b32 exec_lo, exec_lo, s20
.LBB287_1762:                           ;   in Loop: Header=BB287_11 Depth=1
	s_delay_alu instid0(SALU_CYCLE_1)
	s_or_b32 exec_lo, exec_lo, s19
.LBB287_1763:                           ;   in Loop: Header=BB287_11 Depth=1
	s_delay_alu instid0(SALU_CYCLE_1) | instskip(NEXT) | instid1(SALU_CYCLE_1)
	s_or_b32 exec_lo, exec_lo, s8
	s_mov_b32 s19, exec_lo
	v_cmpx_lt_u32_e32 0xffffff, v6
	s_cbranch_execz .LBB287_1771
; %bb.1764:                             ;   in Loop: Header=BB287_11 Depth=1
	v_lshrrev_b32_e32 v7, 24, v6
	v_dual_mov_b32 v121, s3 :: v_dual_mov_b32 v120, s2
	s_mov_b32 s20, exec_lo
	s_delay_alu instid0(VALU_DEP_2)
	v_cmpx_ne_u32_e32 0x80, v7
	s_cbranch_execz .LBB287_1770
; %bb.1765:                             ;   in Loop: Header=BB287_11 Depth=1
	s_mov_b32 s8, s2
	v_bfe_u32 v0, v6, 24, 7
	v_dual_mov_b32 v121, s9 :: v_dual_mov_b32 v120, s8
	s_mov_b32 s8, exec_lo
	s_delay_alu instid0(VALU_DEP_2)
	v_cmpx_ne_u32_e32 0x7f, v0
	s_cbranch_execz .LBB287_1769
; %bb.1766:                             ;   in Loop: Header=BB287_11 Depth=1
	v_and_b32_e32 v140, 7, v7
	v_lshrrev_b32_e32 v6, 3, v0
	v_cmp_gt_u32_e64 s1, 8, v0
	s_delay_alu instid0(VALU_DEP_3) | instskip(NEXT) | instid1(VALU_DEP_2)
	v_dual_mov_b32 v0, v140 :: v_dual_mov_b32 v1, v141
	s_and_saveexec_b32 s21, s1
; %bb.1767:                             ;   in Loop: Header=BB287_11 Depth=1
	v_clz_i32_u32_e32 v0, v140
	s_delay_alu instid0(VALU_DEP_1) | instskip(NEXT) | instid1(VALU_DEP_1)
	v_min_u32_e32 v6, 32, v0
	v_subrev_nc_u32_e32 v0, 28, v6
	v_sub_nc_u32_e32 v6, 29, v6
	s_delay_alu instid0(VALU_DEP_2) | instskip(NEXT) | instid1(VALU_DEP_1)
	v_lshlrev_b64 v[0:1], v0, v[140:141]
	v_and_b32_e32 v0, 7, v0
; %bb.1768:                             ;   in Loop: Header=BB287_11 Depth=1
	s_or_b32 exec_lo, exec_lo, s21
	v_dual_mov_b32 v120, v141 :: v_dual_lshlrev_b32 v1, 24, v7
	s_delay_alu instid0(VALU_DEP_2) | instskip(SKIP_1) | instid1(VALU_DEP_3)
	v_lshlrev_b32_e32 v0, 20, v0
	v_lshl_add_u32 v4, v6, 23, 0x3c000000
	v_and_b32_e32 v1, 0x80000000, v1
	s_delay_alu instid0(VALU_DEP_1)
	v_or3_b32 v121, v0, v1, v4
.LBB287_1769:                           ;   in Loop: Header=BB287_11 Depth=1
	s_or_b32 exec_lo, exec_lo, s8
.LBB287_1770:                           ;   in Loop: Header=BB287_11 Depth=1
	s_delay_alu instid0(SALU_CYCLE_1)
	s_or_b32 exec_lo, exec_lo, s20
.LBB287_1771:                           ;   in Loop: Header=BB287_11 Depth=1
	s_delay_alu instid0(SALU_CYCLE_1)
	s_or_b32 exec_lo, exec_lo, s19
	flat_load_b32 v6, v[70:71] offset:2572
	v_mov_b32_e32 v136, 0
	v_mov_b32_e32 v137, 0
	s_mov_b32 s8, exec_lo
	s_waitcnt vmcnt(0) lgkmcnt(0)
	v_and_b32_e32 v0, 0xff, v6
	s_delay_alu instid0(VALU_DEP_2) | instskip(NEXT) | instid1(VALU_DEP_2)
	v_dual_mov_b32 v94, v136 :: v_dual_mov_b32 v95, v137
	v_cmpx_ne_u16_e32 0, v0
	s_cbranch_execz .LBB287_1779
; %bb.1772:                             ;   in Loop: Header=BB287_11 Depth=1
	v_bfrev_b32_e32 v94, 1
	v_mov_b32_e32 v95, 0
	s_mov_b32 s19, exec_lo
	v_cmpx_ne_u16_e32 0x80, v0
	s_cbranch_execz .LBB287_1778
; %bb.1773:                             ;   in Loop: Header=BB287_11 Depth=1
	v_mov_b32_e32 v94, 0x7f800001
	v_dual_mov_b32 v95, 0 :: v_dual_and_b32 v0, 0x7f, v6
	s_mov_b32 s20, exec_lo
	s_delay_alu instid0(VALU_DEP_1)
	v_cmpx_ne_u32_e32 0x7f, v0
	s_cbranch_execz .LBB287_1777
; %bb.1774:                             ;   in Loop: Header=BB287_11 Depth=1
	v_and_b32_e32 v140, 7, v6
	v_lshrrev_b32_e32 v7, 3, v0
	v_cmp_gt_u32_e64 s1, 8, v0
	s_delay_alu instid0(VALU_DEP_3) | instskip(NEXT) | instid1(VALU_DEP_2)
	v_dual_mov_b32 v0, v140 :: v_dual_mov_b32 v1, v141
	s_and_saveexec_b32 s21, s1
; %bb.1775:                             ;   in Loop: Header=BB287_11 Depth=1
	v_clz_i32_u32_e32 v0, v140
	s_delay_alu instid0(VALU_DEP_1) | instskip(NEXT) | instid1(VALU_DEP_1)
	v_min_u32_e32 v7, 32, v0
	v_subrev_nc_u32_e32 v0, 28, v7
	v_sub_nc_u32_e32 v7, 29, v7
	s_delay_alu instid0(VALU_DEP_2) | instskip(NEXT) | instid1(VALU_DEP_1)
	v_lshlrev_b64 v[0:1], v0, v[140:141]
	v_and_b32_e32 v0, 7, v0
; %bb.1776:                             ;   in Loop: Header=BB287_11 Depth=1
	s_or_b32 exec_lo, exec_lo, s21
	v_lshlrev_b32_e32 v1, 24, v6
	s_delay_alu instid0(VALU_DEP_2) | instskip(SKIP_1) | instid1(VALU_DEP_3)
	v_lshlrev_b32_e32 v0, 20, v0
	v_lshl_add_u32 v4, v7, 23, 0x3c000000
	v_and_b32_e32 v1, 0x80000000, v1
	s_delay_alu instid0(VALU_DEP_1) | instskip(NEXT) | instid1(VALU_DEP_1)
	v_or3_b32 v140, v0, v1, v4
	v_dual_mov_b32 v94, v140 :: v_dual_mov_b32 v95, v141
.LBB287_1777:                           ;   in Loop: Header=BB287_11 Depth=1
	s_or_b32 exec_lo, exec_lo, s20
.LBB287_1778:                           ;   in Loop: Header=BB287_11 Depth=1
	s_delay_alu instid0(SALU_CYCLE_1)
	s_or_b32 exec_lo, exec_lo, s19
.LBB287_1779:                           ;   in Loop: Header=BB287_11 Depth=1
	s_delay_alu instid0(SALU_CYCLE_1) | instskip(SKIP_2) | instid1(VALU_DEP_1)
	s_or_b32 exec_lo, exec_lo, s8
	v_lshrrev_b16 v0, 8, v6
	s_mov_b32 s19, exec_lo
	v_cmpx_ne_u16_e32 0, v0
	s_cbranch_execz .LBB287_1787
; %bb.1780:                             ;   in Loop: Header=BB287_11 Depth=1
	v_dual_mov_b32 v137, s3 :: v_dual_mov_b32 v136, s2
	s_mov_b32 s20, exec_lo
	v_cmpx_ne_u16_e32 0x80, v0
	s_cbranch_execz .LBB287_1786
; %bb.1781:                             ;   in Loop: Header=BB287_11 Depth=1
	s_mov_b32 s8, s2
	v_and_b32_e32 v1, 0xffff, v0
	v_dual_mov_b32 v137, s9 :: v_dual_mov_b32 v136, s8
	s_mov_b32 s8, exec_lo
	s_delay_alu instid0(VALU_DEP_2) | instskip(NEXT) | instid1(VALU_DEP_1)
	v_and_b32_e32 v0, 0x7f, v1
	v_cmpx_ne_u32_e32 0x7f, v0
	s_cbranch_execz .LBB287_1785
; %bb.1782:                             ;   in Loop: Header=BB287_11 Depth=1
	v_and_b32_e32 v140, 7, v1
	v_lshrrev_b32_e32 v7, 3, v0
	v_cmp_gt_u32_e64 s1, 8, v0
	s_delay_alu instid0(VALU_DEP_3) | instskip(NEXT) | instid1(VALU_DEP_2)
	v_dual_mov_b32 v0, v140 :: v_dual_mov_b32 v1, v141
	s_and_saveexec_b32 s21, s1
; %bb.1783:                             ;   in Loop: Header=BB287_11 Depth=1
	v_clz_i32_u32_e32 v0, v140
	s_delay_alu instid0(VALU_DEP_1) | instskip(NEXT) | instid1(VALU_DEP_1)
	v_min_u32_e32 v7, 32, v0
	v_subrev_nc_u32_e32 v0, 28, v7
	v_sub_nc_u32_e32 v7, 29, v7
	s_delay_alu instid0(VALU_DEP_2) | instskip(NEXT) | instid1(VALU_DEP_1)
	v_lshlrev_b64 v[0:1], v0, v[140:141]
	v_and_b32_e32 v0, 7, v0
; %bb.1784:                             ;   in Loop: Header=BB287_11 Depth=1
	s_or_b32 exec_lo, exec_lo, s21
	v_dual_mov_b32 v136, v141 :: v_dual_lshlrev_b32 v1, 16, v6
	s_delay_alu instid0(VALU_DEP_2) | instskip(SKIP_1) | instid1(VALU_DEP_3)
	v_lshlrev_b32_e32 v0, 20, v0
	v_lshl_add_u32 v4, v7, 23, 0x3c000000
	v_and_b32_e32 v1, 0x80000000, v1
	s_delay_alu instid0(VALU_DEP_1)
	v_or3_b32 v137, v0, v1, v4
.LBB287_1785:                           ;   in Loop: Header=BB287_11 Depth=1
	s_or_b32 exec_lo, exec_lo, s8
.LBB287_1786:                           ;   in Loop: Header=BB287_11 Depth=1
	s_delay_alu instid0(SALU_CYCLE_1)
	s_or_b32 exec_lo, exec_lo, s20
.LBB287_1787:                           ;   in Loop: Header=BB287_11 Depth=1
	s_delay_alu instid0(SALU_CYCLE_1) | instskip(SKIP_4) | instid1(VALU_DEP_2)
	s_or_b32 exec_lo, exec_lo, s19
	v_mov_b32_e32 v152, 0
	v_lshrrev_b32_e32 v7, 16, v6
	v_mov_b32_e32 v153, 0
	s_mov_b32 s8, exec_lo
	v_and_b32_e32 v0, 0xff, v7
	s_delay_alu instid0(VALU_DEP_2) | instskip(NEXT) | instid1(VALU_DEP_2)
	v_dual_mov_b32 v114, v152 :: v_dual_mov_b32 v115, v153
	v_cmpx_ne_u16_e32 0, v0
	s_cbranch_execz .LBB287_1795
; %bb.1788:                             ;   in Loop: Header=BB287_11 Depth=1
	v_bfrev_b32_e32 v114, 1
	v_mov_b32_e32 v115, 0
	s_mov_b32 s19, exec_lo
	v_cmpx_ne_u16_e32 0x80, v0
	s_cbranch_execz .LBB287_1794
; %bb.1789:                             ;   in Loop: Header=BB287_11 Depth=1
	v_mov_b32_e32 v114, 0x7f800001
	v_bfe_u32 v0, v6, 16, 7
	v_mov_b32_e32 v115, 0
	s_mov_b32 s20, exec_lo
	s_delay_alu instid0(VALU_DEP_2)
	v_cmpx_ne_u32_e32 0x7f, v0
	s_cbranch_execz .LBB287_1793
; %bb.1790:                             ;   in Loop: Header=BB287_11 Depth=1
	v_and_b32_e32 v140, 7, v7
	v_lshrrev_b32_e32 v8, 3, v0
	v_cmp_gt_u32_e64 s1, 8, v0
	s_delay_alu instid0(VALU_DEP_3) | instskip(NEXT) | instid1(VALU_DEP_2)
	v_dual_mov_b32 v0, v140 :: v_dual_mov_b32 v1, v141
	s_and_saveexec_b32 s21, s1
; %bb.1791:                             ;   in Loop: Header=BB287_11 Depth=1
	v_clz_i32_u32_e32 v0, v140
	s_delay_alu instid0(VALU_DEP_1) | instskip(NEXT) | instid1(VALU_DEP_1)
	v_min_u32_e32 v8, 32, v0
	v_subrev_nc_u32_e32 v0, 28, v8
	v_sub_nc_u32_e32 v8, 29, v8
	s_delay_alu instid0(VALU_DEP_2) | instskip(NEXT) | instid1(VALU_DEP_1)
	v_lshlrev_b64 v[0:1], v0, v[140:141]
	v_and_b32_e32 v0, 7, v0
; %bb.1792:                             ;   in Loop: Header=BB287_11 Depth=1
	s_or_b32 exec_lo, exec_lo, s21
	v_lshlrev_b32_e32 v1, 24, v7
	s_delay_alu instid0(VALU_DEP_2) | instskip(SKIP_1) | instid1(VALU_DEP_3)
	v_lshlrev_b32_e32 v0, 20, v0
	v_lshl_add_u32 v4, v8, 23, 0x3c000000
	v_and_b32_e32 v1, 0x80000000, v1
	s_delay_alu instid0(VALU_DEP_1) | instskip(NEXT) | instid1(VALU_DEP_1)
	v_or3_b32 v140, v0, v1, v4
	v_dual_mov_b32 v114, v140 :: v_dual_mov_b32 v115, v141
.LBB287_1793:                           ;   in Loop: Header=BB287_11 Depth=1
	s_or_b32 exec_lo, exec_lo, s20
.LBB287_1794:                           ;   in Loop: Header=BB287_11 Depth=1
	s_delay_alu instid0(SALU_CYCLE_1)
	s_or_b32 exec_lo, exec_lo, s19
.LBB287_1795:                           ;   in Loop: Header=BB287_11 Depth=1
	s_delay_alu instid0(SALU_CYCLE_1) | instskip(NEXT) | instid1(SALU_CYCLE_1)
	s_or_b32 exec_lo, exec_lo, s8
	s_mov_b32 s19, exec_lo
	v_cmpx_lt_u32_e32 0xffffff, v6
	s_cbranch_execz .LBB287_1803
; %bb.1796:                             ;   in Loop: Header=BB287_11 Depth=1
	v_lshrrev_b32_e32 v7, 24, v6
	v_dual_mov_b32 v153, s3 :: v_dual_mov_b32 v152, s2
	s_mov_b32 s20, exec_lo
	s_delay_alu instid0(VALU_DEP_2)
	v_cmpx_ne_u32_e32 0x80, v7
	s_cbranch_execz .LBB287_1802
; %bb.1797:                             ;   in Loop: Header=BB287_11 Depth=1
	s_mov_b32 s8, s2
	v_bfe_u32 v0, v6, 24, 7
	v_dual_mov_b32 v153, s9 :: v_dual_mov_b32 v152, s8
	s_mov_b32 s8, exec_lo
	s_delay_alu instid0(VALU_DEP_2)
	v_cmpx_ne_u32_e32 0x7f, v0
	s_cbranch_execz .LBB287_1801
; %bb.1798:                             ;   in Loop: Header=BB287_11 Depth=1
	v_and_b32_e32 v140, 7, v7
	v_lshrrev_b32_e32 v6, 3, v0
	v_cmp_gt_u32_e64 s1, 8, v0
	s_delay_alu instid0(VALU_DEP_3) | instskip(NEXT) | instid1(VALU_DEP_2)
	v_dual_mov_b32 v0, v140 :: v_dual_mov_b32 v1, v141
	s_and_saveexec_b32 s21, s1
; %bb.1799:                             ;   in Loop: Header=BB287_11 Depth=1
	v_clz_i32_u32_e32 v0, v140
	s_delay_alu instid0(VALU_DEP_1) | instskip(NEXT) | instid1(VALU_DEP_1)
	v_min_u32_e32 v6, 32, v0
	v_subrev_nc_u32_e32 v0, 28, v6
	v_sub_nc_u32_e32 v6, 29, v6
	s_delay_alu instid0(VALU_DEP_2) | instskip(NEXT) | instid1(VALU_DEP_1)
	v_lshlrev_b64 v[0:1], v0, v[140:141]
	v_and_b32_e32 v0, 7, v0
; %bb.1800:                             ;   in Loop: Header=BB287_11 Depth=1
	s_or_b32 exec_lo, exec_lo, s21
	v_dual_mov_b32 v152, v141 :: v_dual_lshlrev_b32 v1, 24, v7
	s_delay_alu instid0(VALU_DEP_2) | instskip(SKIP_1) | instid1(VALU_DEP_3)
	v_lshlrev_b32_e32 v0, 20, v0
	v_lshl_add_u32 v4, v6, 23, 0x3c000000
	v_and_b32_e32 v1, 0x80000000, v1
	s_delay_alu instid0(VALU_DEP_1)
	v_or3_b32 v153, v0, v1, v4
.LBB287_1801:                           ;   in Loop: Header=BB287_11 Depth=1
	s_or_b32 exec_lo, exec_lo, s8
.LBB287_1802:                           ;   in Loop: Header=BB287_11 Depth=1
	s_delay_alu instid0(SALU_CYCLE_1)
	s_or_b32 exec_lo, exec_lo, s20
.LBB287_1803:                           ;   in Loop: Header=BB287_11 Depth=1
	s_delay_alu instid0(SALU_CYCLE_1)
	s_or_b32 exec_lo, exec_lo, s19
	flat_load_b32 v8, v[70:71] offset:3072
	v_mov_b32_e32 v168, 0
	v_mov_b32_e32 v169, 0
	s_mov_b32 s8, exec_lo
	s_waitcnt vmcnt(0) lgkmcnt(0)
	v_and_b32_e32 v0, 0xff, v8
	s_delay_alu instid0(VALU_DEP_2) | instskip(NEXT) | instid1(VALU_DEP_2)
	v_dual_mov_b32 v118, v168 :: v_dual_mov_b32 v119, v169
	v_cmpx_ne_u16_e32 0, v0
	s_cbranch_execz .LBB287_1811
; %bb.1804:                             ;   in Loop: Header=BB287_11 Depth=1
	v_bfrev_b32_e32 v118, 1
	v_mov_b32_e32 v119, 0
	s_mov_b32 s19, exec_lo
	v_cmpx_ne_u16_e32 0x80, v0
	s_cbranch_execz .LBB287_1810
; %bb.1805:                             ;   in Loop: Header=BB287_11 Depth=1
	v_mov_b32_e32 v118, 0x7f800001
	v_dual_mov_b32 v119, 0 :: v_dual_and_b32 v0, 0x7f, v8
	s_mov_b32 s20, exec_lo
	s_delay_alu instid0(VALU_DEP_1)
	v_cmpx_ne_u32_e32 0x7f, v0
	s_cbranch_execz .LBB287_1809
; %bb.1806:                             ;   in Loop: Header=BB287_11 Depth=1
	v_and_b32_e32 v140, 7, v8
	v_lshrrev_b32_e32 v6, 3, v0
	v_cmp_gt_u32_e64 s1, 8, v0
	s_delay_alu instid0(VALU_DEP_3) | instskip(NEXT) | instid1(VALU_DEP_2)
	v_dual_mov_b32 v0, v140 :: v_dual_mov_b32 v1, v141
	s_and_saveexec_b32 s21, s1
; %bb.1807:                             ;   in Loop: Header=BB287_11 Depth=1
	v_clz_i32_u32_e32 v0, v140
	s_delay_alu instid0(VALU_DEP_1) | instskip(NEXT) | instid1(VALU_DEP_1)
	v_min_u32_e32 v6, 32, v0
	v_subrev_nc_u32_e32 v0, 28, v6
	v_sub_nc_u32_e32 v6, 29, v6
	s_delay_alu instid0(VALU_DEP_2) | instskip(NEXT) | instid1(VALU_DEP_1)
	v_lshlrev_b64 v[0:1], v0, v[140:141]
	v_and_b32_e32 v0, 7, v0
; %bb.1808:                             ;   in Loop: Header=BB287_11 Depth=1
	s_or_b32 exec_lo, exec_lo, s21
	v_lshlrev_b32_e32 v1, 24, v8
	s_delay_alu instid0(VALU_DEP_2) | instskip(SKIP_1) | instid1(VALU_DEP_3)
	v_lshlrev_b32_e32 v0, 20, v0
	v_lshl_add_u32 v4, v6, 23, 0x3c000000
	v_and_b32_e32 v1, 0x80000000, v1
	s_delay_alu instid0(VALU_DEP_1) | instskip(NEXT) | instid1(VALU_DEP_1)
	v_or3_b32 v140, v0, v1, v4
	v_dual_mov_b32 v118, v140 :: v_dual_mov_b32 v119, v141
.LBB287_1809:                           ;   in Loop: Header=BB287_11 Depth=1
	s_or_b32 exec_lo, exec_lo, s20
.LBB287_1810:                           ;   in Loop: Header=BB287_11 Depth=1
	s_delay_alu instid0(SALU_CYCLE_1)
	s_or_b32 exec_lo, exec_lo, s19
.LBB287_1811:                           ;   in Loop: Header=BB287_11 Depth=1
	s_delay_alu instid0(SALU_CYCLE_1) | instskip(SKIP_2) | instid1(VALU_DEP_1)
	s_or_b32 exec_lo, exec_lo, s8
	v_lshrrev_b16 v0, 8, v8
	s_mov_b32 s19, exec_lo
	v_cmpx_ne_u16_e32 0, v0
	s_cbranch_execz .LBB287_1819
; %bb.1812:                             ;   in Loop: Header=BB287_11 Depth=1
	v_dual_mov_b32 v169, s3 :: v_dual_mov_b32 v168, s2
	s_mov_b32 s20, exec_lo
	v_cmpx_ne_u16_e32 0x80, v0
	s_cbranch_execz .LBB287_1818
; %bb.1813:                             ;   in Loop: Header=BB287_11 Depth=1
	s_mov_b32 s8, s2
	v_and_b32_e32 v1, 0xffff, v0
	v_dual_mov_b32 v169, s9 :: v_dual_mov_b32 v168, s8
	s_mov_b32 s8, exec_lo
	s_delay_alu instid0(VALU_DEP_2) | instskip(NEXT) | instid1(VALU_DEP_1)
	v_and_b32_e32 v0, 0x7f, v1
	v_cmpx_ne_u32_e32 0x7f, v0
	s_cbranch_execz .LBB287_1817
; %bb.1814:                             ;   in Loop: Header=BB287_11 Depth=1
	v_and_b32_e32 v140, 7, v1
	v_lshrrev_b32_e32 v6, 3, v0
	v_cmp_gt_u32_e64 s1, 8, v0
	s_delay_alu instid0(VALU_DEP_3) | instskip(NEXT) | instid1(VALU_DEP_2)
	v_dual_mov_b32 v0, v140 :: v_dual_mov_b32 v1, v141
	s_and_saveexec_b32 s21, s1
; %bb.1815:                             ;   in Loop: Header=BB287_11 Depth=1
	v_clz_i32_u32_e32 v0, v140
	s_delay_alu instid0(VALU_DEP_1) | instskip(NEXT) | instid1(VALU_DEP_1)
	v_min_u32_e32 v6, 32, v0
	v_subrev_nc_u32_e32 v0, 28, v6
	v_sub_nc_u32_e32 v6, 29, v6
	s_delay_alu instid0(VALU_DEP_2) | instskip(NEXT) | instid1(VALU_DEP_1)
	v_lshlrev_b64 v[0:1], v0, v[140:141]
	v_and_b32_e32 v0, 7, v0
; %bb.1816:                             ;   in Loop: Header=BB287_11 Depth=1
	s_or_b32 exec_lo, exec_lo, s21
	v_dual_mov_b32 v168, v141 :: v_dual_lshlrev_b32 v1, 16, v8
	s_delay_alu instid0(VALU_DEP_2) | instskip(SKIP_1) | instid1(VALU_DEP_3)
	v_lshlrev_b32_e32 v0, 20, v0
	v_lshl_add_u32 v4, v6, 23, 0x3c000000
	v_and_b32_e32 v1, 0x80000000, v1
	s_delay_alu instid0(VALU_DEP_1)
	v_or3_b32 v169, v0, v1, v4
.LBB287_1817:                           ;   in Loop: Header=BB287_11 Depth=1
	s_or_b32 exec_lo, exec_lo, s8
.LBB287_1818:                           ;   in Loop: Header=BB287_11 Depth=1
	s_delay_alu instid0(SALU_CYCLE_1)
	s_or_b32 exec_lo, exec_lo, s20
.LBB287_1819:                           ;   in Loop: Header=BB287_11 Depth=1
	s_delay_alu instid0(SALU_CYCLE_1) | instskip(SKIP_4) | instid1(VALU_DEP_2)
	s_or_b32 exec_lo, exec_lo, s19
	v_mov_b32_e32 v184, 0
	v_lshrrev_b32_e32 v9, 16, v8
	v_mov_b32_e32 v185, 0
	s_mov_b32 s8, exec_lo
	v_and_b32_e32 v0, 0xff, v9
	s_delay_alu instid0(VALU_DEP_2) | instskip(NEXT) | instid1(VALU_DEP_2)
	v_dual_mov_b32 v6, v184 :: v_dual_mov_b32 v7, v185
	v_cmpx_ne_u16_e32 0, v0
	s_cbranch_execz .LBB287_1827
; %bb.1820:                             ;   in Loop: Header=BB287_11 Depth=1
	v_bfrev_b32_e32 v6, 1
	v_mov_b32_e32 v7, 0
	s_mov_b32 s19, exec_lo
	v_cmpx_ne_u16_e32 0x80, v0
	s_cbranch_execz .LBB287_1826
; %bb.1821:                             ;   in Loop: Header=BB287_11 Depth=1
	v_mov_b32_e32 v6, 0x7f800001
	v_bfe_u32 v0, v8, 16, 7
	v_mov_b32_e32 v7, 0
	s_mov_b32 s20, exec_lo
	s_delay_alu instid0(VALU_DEP_2)
	v_cmpx_ne_u32_e32 0x7f, v0
	s_cbranch_execz .LBB287_1825
; %bb.1822:                             ;   in Loop: Header=BB287_11 Depth=1
	v_and_b32_e32 v140, 7, v9
	v_lshrrev_b32_e32 v6, 3, v0
	v_cmp_gt_u32_e64 s1, 8, v0
	s_delay_alu instid0(VALU_DEP_3) | instskip(NEXT) | instid1(VALU_DEP_2)
	v_dual_mov_b32 v0, v140 :: v_dual_mov_b32 v1, v141
	s_and_saveexec_b32 s21, s1
; %bb.1823:                             ;   in Loop: Header=BB287_11 Depth=1
	v_clz_i32_u32_e32 v0, v140
	s_delay_alu instid0(VALU_DEP_1) | instskip(NEXT) | instid1(VALU_DEP_1)
	v_min_u32_e32 v6, 32, v0
	v_subrev_nc_u32_e32 v0, 28, v6
	v_sub_nc_u32_e32 v6, 29, v6
	s_delay_alu instid0(VALU_DEP_2) | instskip(NEXT) | instid1(VALU_DEP_1)
	v_lshlrev_b64 v[0:1], v0, v[140:141]
	v_and_b32_e32 v0, 7, v0
; %bb.1824:                             ;   in Loop: Header=BB287_11 Depth=1
	s_or_b32 exec_lo, exec_lo, s21
	v_lshlrev_b32_e32 v1, 24, v9
	s_delay_alu instid0(VALU_DEP_2) | instskip(SKIP_1) | instid1(VALU_DEP_3)
	v_lshlrev_b32_e32 v0, 20, v0
	v_lshl_add_u32 v4, v6, 23, 0x3c000000
	v_and_b32_e32 v1, 0x80000000, v1
	s_delay_alu instid0(VALU_DEP_1) | instskip(NEXT) | instid1(VALU_DEP_1)
	v_or3_b32 v140, v0, v1, v4
	v_dual_mov_b32 v6, v140 :: v_dual_mov_b32 v7, v141
.LBB287_1825:                           ;   in Loop: Header=BB287_11 Depth=1
	s_or_b32 exec_lo, exec_lo, s20
.LBB287_1826:                           ;   in Loop: Header=BB287_11 Depth=1
	s_delay_alu instid0(SALU_CYCLE_1)
	s_or_b32 exec_lo, exec_lo, s19
.LBB287_1827:                           ;   in Loop: Header=BB287_11 Depth=1
	s_delay_alu instid0(SALU_CYCLE_1) | instskip(NEXT) | instid1(SALU_CYCLE_1)
	s_or_b32 exec_lo, exec_lo, s8
	s_mov_b32 s19, exec_lo
	v_cmpx_lt_u32_e32 0xffffff, v8
	s_cbranch_execz .LBB287_1835
; %bb.1828:                             ;   in Loop: Header=BB287_11 Depth=1
	v_lshrrev_b32_e32 v9, 24, v8
	v_dual_mov_b32 v185, s3 :: v_dual_mov_b32 v184, s2
	s_mov_b32 s20, exec_lo
	s_delay_alu instid0(VALU_DEP_2)
	v_cmpx_ne_u32_e32 0x80, v9
	s_cbranch_execz .LBB287_1834
; %bb.1829:                             ;   in Loop: Header=BB287_11 Depth=1
	s_mov_b32 s8, s2
	v_bfe_u32 v0, v8, 24, 7
	v_dual_mov_b32 v185, s9 :: v_dual_mov_b32 v184, s8
	s_mov_b32 s8, exec_lo
	s_delay_alu instid0(VALU_DEP_2)
	v_cmpx_ne_u32_e32 0x7f, v0
	s_cbranch_execz .LBB287_1833
; %bb.1830:                             ;   in Loop: Header=BB287_11 Depth=1
	v_and_b32_e32 v140, 7, v9
	v_lshrrev_b32_e32 v8, 3, v0
	v_cmp_gt_u32_e64 s1, 8, v0
	s_delay_alu instid0(VALU_DEP_3) | instskip(NEXT) | instid1(VALU_DEP_2)
	v_dual_mov_b32 v0, v140 :: v_dual_mov_b32 v1, v141
	s_and_saveexec_b32 s21, s1
; %bb.1831:                             ;   in Loop: Header=BB287_11 Depth=1
	v_clz_i32_u32_e32 v0, v140
	s_delay_alu instid0(VALU_DEP_1) | instskip(NEXT) | instid1(VALU_DEP_1)
	v_min_u32_e32 v8, 32, v0
	v_subrev_nc_u32_e32 v0, 28, v8
	v_sub_nc_u32_e32 v8, 29, v8
	s_delay_alu instid0(VALU_DEP_2) | instskip(NEXT) | instid1(VALU_DEP_1)
	v_lshlrev_b64 v[0:1], v0, v[140:141]
	v_and_b32_e32 v0, 7, v0
; %bb.1832:                             ;   in Loop: Header=BB287_11 Depth=1
	s_or_b32 exec_lo, exec_lo, s21
	v_dual_mov_b32 v184, v141 :: v_dual_lshlrev_b32 v1, 24, v9
	s_delay_alu instid0(VALU_DEP_2) | instskip(SKIP_1) | instid1(VALU_DEP_3)
	v_lshlrev_b32_e32 v0, 20, v0
	v_lshl_add_u32 v4, v8, 23, 0x3c000000
	v_and_b32_e32 v1, 0x80000000, v1
	s_delay_alu instid0(VALU_DEP_1)
	v_or3_b32 v185, v0, v1, v4
.LBB287_1833:                           ;   in Loop: Header=BB287_11 Depth=1
	s_or_b32 exec_lo, exec_lo, s8
.LBB287_1834:                           ;   in Loop: Header=BB287_11 Depth=1
	s_delay_alu instid0(SALU_CYCLE_1)
	s_or_b32 exec_lo, exec_lo, s20
.LBB287_1835:                           ;   in Loop: Header=BB287_11 Depth=1
	s_delay_alu instid0(SALU_CYCLE_1)
	s_or_b32 exec_lo, exec_lo, s19
	flat_load_b32 v8, v[70:71] offset:3076
	v_mov_b32_e32 v126, 0
	v_mov_b32_e32 v127, 0
	s_mov_b32 s8, exec_lo
	s_waitcnt vmcnt(0) lgkmcnt(0)
	v_and_b32_e32 v0, 0xff, v8
	s_delay_alu instid0(VALU_DEP_2) | instskip(NEXT) | instid1(VALU_DEP_2)
	v_dual_mov_b32 v22, v126 :: v_dual_mov_b32 v23, v127
	v_cmpx_ne_u16_e32 0, v0
	s_cbranch_execz .LBB287_1843
; %bb.1836:                             ;   in Loop: Header=BB287_11 Depth=1
	v_bfrev_b32_e32 v22, 1
	v_mov_b32_e32 v23, 0
	s_mov_b32 s19, exec_lo
	v_cmpx_ne_u16_e32 0x80, v0
	s_cbranch_execz .LBB287_1842
; %bb.1837:                             ;   in Loop: Header=BB287_11 Depth=1
	v_mov_b32_e32 v22, 0x7f800001
	v_dual_mov_b32 v23, 0 :: v_dual_and_b32 v0, 0x7f, v8
	s_mov_b32 s20, exec_lo
	s_delay_alu instid0(VALU_DEP_1)
	v_cmpx_ne_u32_e32 0x7f, v0
	s_cbranch_execz .LBB287_1841
; %bb.1838:                             ;   in Loop: Header=BB287_11 Depth=1
	v_and_b32_e32 v140, 7, v8
	v_lshrrev_b32_e32 v9, 3, v0
	v_cmp_gt_u32_e64 s1, 8, v0
	s_delay_alu instid0(VALU_DEP_3) | instskip(NEXT) | instid1(VALU_DEP_2)
	v_dual_mov_b32 v0, v140 :: v_dual_mov_b32 v1, v141
	s_and_saveexec_b32 s21, s1
; %bb.1839:                             ;   in Loop: Header=BB287_11 Depth=1
	v_clz_i32_u32_e32 v0, v140
	s_delay_alu instid0(VALU_DEP_1) | instskip(NEXT) | instid1(VALU_DEP_1)
	v_min_u32_e32 v9, 32, v0
	v_subrev_nc_u32_e32 v0, 28, v9
	v_sub_nc_u32_e32 v9, 29, v9
	s_delay_alu instid0(VALU_DEP_2) | instskip(NEXT) | instid1(VALU_DEP_1)
	v_lshlrev_b64 v[0:1], v0, v[140:141]
	v_and_b32_e32 v0, 7, v0
; %bb.1840:                             ;   in Loop: Header=BB287_11 Depth=1
	s_or_b32 exec_lo, exec_lo, s21
	v_lshlrev_b32_e32 v1, 24, v8
	s_delay_alu instid0(VALU_DEP_2) | instskip(SKIP_1) | instid1(VALU_DEP_3)
	v_lshlrev_b32_e32 v0, 20, v0
	v_lshl_add_u32 v4, v9, 23, 0x3c000000
	v_and_b32_e32 v1, 0x80000000, v1
	s_delay_alu instid0(VALU_DEP_1) | instskip(NEXT) | instid1(VALU_DEP_1)
	v_or3_b32 v140, v0, v1, v4
	v_dual_mov_b32 v22, v140 :: v_dual_mov_b32 v23, v141
.LBB287_1841:                           ;   in Loop: Header=BB287_11 Depth=1
	s_or_b32 exec_lo, exec_lo, s20
.LBB287_1842:                           ;   in Loop: Header=BB287_11 Depth=1
	s_delay_alu instid0(SALU_CYCLE_1)
	s_or_b32 exec_lo, exec_lo, s19
.LBB287_1843:                           ;   in Loop: Header=BB287_11 Depth=1
	s_delay_alu instid0(SALU_CYCLE_1) | instskip(SKIP_2) | instid1(VALU_DEP_1)
	s_or_b32 exec_lo, exec_lo, s8
	v_lshrrev_b16 v0, 8, v8
	s_mov_b32 s19, exec_lo
	v_cmpx_ne_u16_e32 0, v0
	s_cbranch_execz .LBB287_1851
; %bb.1844:                             ;   in Loop: Header=BB287_11 Depth=1
	v_dual_mov_b32 v127, s3 :: v_dual_mov_b32 v126, s2
	s_mov_b32 s20, exec_lo
	v_cmpx_ne_u16_e32 0x80, v0
	s_cbranch_execz .LBB287_1850
; %bb.1845:                             ;   in Loop: Header=BB287_11 Depth=1
	s_mov_b32 s8, s2
	v_and_b32_e32 v1, 0xffff, v0
	v_dual_mov_b32 v127, s9 :: v_dual_mov_b32 v126, s8
	s_mov_b32 s8, exec_lo
	s_delay_alu instid0(VALU_DEP_2) | instskip(NEXT) | instid1(VALU_DEP_1)
	v_and_b32_e32 v0, 0x7f, v1
	v_cmpx_ne_u32_e32 0x7f, v0
	s_cbranch_execz .LBB287_1849
; %bb.1846:                             ;   in Loop: Header=BB287_11 Depth=1
	v_and_b32_e32 v140, 7, v1
	v_lshrrev_b32_e32 v9, 3, v0
	v_cmp_gt_u32_e64 s1, 8, v0
	s_delay_alu instid0(VALU_DEP_3) | instskip(NEXT) | instid1(VALU_DEP_2)
	v_dual_mov_b32 v0, v140 :: v_dual_mov_b32 v1, v141
	s_and_saveexec_b32 s21, s1
; %bb.1847:                             ;   in Loop: Header=BB287_11 Depth=1
	v_clz_i32_u32_e32 v0, v140
	s_delay_alu instid0(VALU_DEP_1) | instskip(NEXT) | instid1(VALU_DEP_1)
	v_min_u32_e32 v9, 32, v0
	v_subrev_nc_u32_e32 v0, 28, v9
	v_sub_nc_u32_e32 v9, 29, v9
	s_delay_alu instid0(VALU_DEP_2) | instskip(NEXT) | instid1(VALU_DEP_1)
	v_lshlrev_b64 v[0:1], v0, v[140:141]
	v_and_b32_e32 v0, 7, v0
; %bb.1848:                             ;   in Loop: Header=BB287_11 Depth=1
	s_or_b32 exec_lo, exec_lo, s21
	v_dual_mov_b32 v126, v141 :: v_dual_lshlrev_b32 v1, 16, v8
	s_delay_alu instid0(VALU_DEP_2) | instskip(SKIP_1) | instid1(VALU_DEP_3)
	v_lshlrev_b32_e32 v0, 20, v0
	v_lshl_add_u32 v4, v9, 23, 0x3c000000
	v_and_b32_e32 v1, 0x80000000, v1
	s_delay_alu instid0(VALU_DEP_1)
	v_or3_b32 v127, v0, v1, v4
.LBB287_1849:                           ;   in Loop: Header=BB287_11 Depth=1
	s_or_b32 exec_lo, exec_lo, s8
.LBB287_1850:                           ;   in Loop: Header=BB287_11 Depth=1
	s_delay_alu instid0(SALU_CYCLE_1)
	s_or_b32 exec_lo, exec_lo, s20
.LBB287_1851:                           ;   in Loop: Header=BB287_11 Depth=1
	s_delay_alu instid0(SALU_CYCLE_1) | instskip(SKIP_4) | instid1(VALU_DEP_2)
	s_or_b32 exec_lo, exec_lo, s19
	v_mov_b32_e32 v138, 0
	v_lshrrev_b32_e32 v9, 16, v8
	v_mov_b32_e32 v139, 0
	s_mov_b32 s8, exec_lo
	v_and_b32_e32 v4, 0xff, v9
	s_delay_alu instid0(VALU_DEP_2) | instskip(NEXT) | instid1(VALU_DEP_2)
	v_dual_mov_b32 v0, v138 :: v_dual_mov_b32 v1, v139
	v_cmpx_ne_u16_e32 0, v4
	s_cbranch_execz .LBB287_1859
; %bb.1852:                             ;   in Loop: Header=BB287_11 Depth=1
	v_bfrev_b32_e32 v0, 1
	v_mov_b32_e32 v1, 0
	s_mov_b32 s19, exec_lo
	v_cmpx_ne_u16_e32 0x80, v4
	s_cbranch_execz .LBB287_1858
; %bb.1853:                             ;   in Loop: Header=BB287_11 Depth=1
	v_mov_b32_e32 v0, 0x7f800001
	v_bfe_u32 v13, v8, 16, 7
	v_mov_b32_e32 v1, 0
	s_mov_b32 s20, exec_lo
	s_delay_alu instid0(VALU_DEP_2)
	v_cmpx_ne_u32_e32 0x7f, v13
	s_cbranch_execz .LBB287_1857
; %bb.1854:                             ;   in Loop: Header=BB287_11 Depth=1
	v_and_b32_e32 v140, 7, v9
	v_lshrrev_b32_e32 v12, 3, v13
	s_mov_b32 s21, exec_lo
	s_delay_alu instid0(VALU_DEP_2)
	v_dual_mov_b32 v0, v140 :: v_dual_mov_b32 v1, v141
	v_cmpx_gt_u32_e32 8, v13
; %bb.1855:                             ;   in Loop: Header=BB287_11 Depth=1
	v_clz_i32_u32_e32 v0, v140
	s_delay_alu instid0(VALU_DEP_1) | instskip(NEXT) | instid1(VALU_DEP_1)
	v_min_u32_e32 v12, 32, v0
	v_subrev_nc_u32_e32 v0, 28, v12
	v_sub_nc_u32_e32 v12, 29, v12
	s_delay_alu instid0(VALU_DEP_2) | instskip(NEXT) | instid1(VALU_DEP_1)
	v_lshlrev_b64 v[0:1], v0, v[140:141]
	v_and_b32_e32 v0, 7, v0
; %bb.1856:                             ;   in Loop: Header=BB287_11 Depth=1
	s_or_b32 exec_lo, exec_lo, s21
	v_lshlrev_b32_e32 v1, 24, v9
	s_delay_alu instid0(VALU_DEP_2) | instskip(SKIP_1) | instid1(VALU_DEP_3)
	v_lshlrev_b32_e32 v0, 20, v0
	v_lshl_add_u32 v4, v12, 23, 0x3c000000
	v_and_b32_e32 v1, 0x80000000, v1
	s_delay_alu instid0(VALU_DEP_1) | instskip(NEXT) | instid1(VALU_DEP_1)
	v_or3_b32 v140, v0, v1, v4
	v_dual_mov_b32 v0, v140 :: v_dual_mov_b32 v1, v141
.LBB287_1857:                           ;   in Loop: Header=BB287_11 Depth=1
	s_or_b32 exec_lo, exec_lo, s20
.LBB287_1858:                           ;   in Loop: Header=BB287_11 Depth=1
	s_delay_alu instid0(SALU_CYCLE_1)
	s_or_b32 exec_lo, exec_lo, s19
.LBB287_1859:                           ;   in Loop: Header=BB287_11 Depth=1
	s_delay_alu instid0(SALU_CYCLE_1) | instskip(NEXT) | instid1(SALU_CYCLE_1)
	s_or_b32 exec_lo, exec_lo, s8
	s_mov_b32 s19, exec_lo
	v_cmpx_lt_u32_e32 0xffffff, v8
	s_cbranch_execz .LBB287_1867
; %bb.1860:                             ;   in Loop: Header=BB287_11 Depth=1
	v_lshrrev_b32_e32 v12, 24, v8
	v_dual_mov_b32 v139, s3 :: v_dual_mov_b32 v138, s2
	s_mov_b32 s20, exec_lo
	s_delay_alu instid0(VALU_DEP_2)
	v_cmpx_ne_u32_e32 0x80, v12
	s_cbranch_execz .LBB287_1866
; %bb.1861:                             ;   in Loop: Header=BB287_11 Depth=1
	s_mov_b32 s8, s2
	v_bfe_u32 v8, v8, 24, 7
	v_dual_mov_b32 v139, s9 :: v_dual_mov_b32 v138, s8
	s_mov_b32 s8, exec_lo
	s_delay_alu instid0(VALU_DEP_2)
	v_cmpx_ne_u32_e32 0x7f, v8
	s_cbranch_execz .LBB287_1865
; %bb.1862:                             ;   in Loop: Header=BB287_11 Depth=1
	v_and_b32_e32 v140, 7, v12
	v_lshrrev_b32_e32 v13, 3, v8
	v_cmp_gt_u32_e64 s1, 8, v8
	s_delay_alu instid0(VALU_DEP_3) | instskip(NEXT) | instid1(VALU_DEP_2)
	v_dual_mov_b32 v8, v140 :: v_dual_mov_b32 v9, v141
	s_and_saveexec_b32 s21, s1
; %bb.1863:                             ;   in Loop: Header=BB287_11 Depth=1
	v_clz_i32_u32_e32 v8, v140
	s_delay_alu instid0(VALU_DEP_1) | instskip(NEXT) | instid1(VALU_DEP_1)
	v_min_u32_e32 v13, 32, v8
	v_subrev_nc_u32_e32 v8, 28, v13
	v_sub_nc_u32_e32 v13, 29, v13
	s_delay_alu instid0(VALU_DEP_2) | instskip(NEXT) | instid1(VALU_DEP_1)
	v_lshlrev_b64 v[8:9], v8, v[140:141]
	v_and_b32_e32 v8, 7, v8
; %bb.1864:                             ;   in Loop: Header=BB287_11 Depth=1
	s_or_b32 exec_lo, exec_lo, s21
	v_lshlrev_b32_e32 v4, 24, v12
	s_delay_alu instid0(VALU_DEP_2) | instskip(SKIP_2) | instid1(VALU_DEP_4)
	v_lshlrev_b32_e32 v8, 20, v8
	v_lshl_add_u32 v9, v13, 23, 0x3c000000
	v_mov_b32_e32 v138, v141
	v_and_b32_e32 v4, 0x80000000, v4
	s_delay_alu instid0(VALU_DEP_1)
	v_or3_b32 v139, v8, v4, v9
.LBB287_1865:                           ;   in Loop: Header=BB287_11 Depth=1
	s_or_b32 exec_lo, exec_lo, s8
.LBB287_1866:                           ;   in Loop: Header=BB287_11 Depth=1
	s_delay_alu instid0(SALU_CYCLE_1)
	s_or_b32 exec_lo, exec_lo, s20
.LBB287_1867:                           ;   in Loop: Header=BB287_11 Depth=1
	s_delay_alu instid0(SALU_CYCLE_1) | instskip(SKIP_4) | instid1(VALU_DEP_1)
	s_or_b32 exec_lo, exec_lo, s19
	flat_load_b32 v12, v[70:71] offset:3080
	v_mov_b32_e32 v29, 0
	v_mov_b32_e32 v30, 0
	s_mov_b32 s8, exec_lo
	v_dual_mov_b32 v143, v30 :: v_dual_mov_b32 v142, v29
	s_waitcnt vmcnt(0) lgkmcnt(0)
	v_and_b32_e32 v4, 0xff, v12
	s_delay_alu instid0(VALU_DEP_1)
	v_cmpx_ne_u16_e32 0, v4
	s_cbranch_execz .LBB287_1875
; %bb.1868:                             ;   in Loop: Header=BB287_11 Depth=1
	v_bfrev_b32_e32 v142, 1
	v_mov_b32_e32 v143, 0
	s_mov_b32 s19, exec_lo
	v_cmpx_ne_u16_e32 0x80, v4
	s_cbranch_execz .LBB287_1874
; %bb.1869:                             ;   in Loop: Header=BB287_11 Depth=1
	v_mov_b32_e32 v142, 0x7f800001
	v_dual_mov_b32 v143, 0 :: v_dual_and_b32 v8, 0x7f, v12
	s_mov_b32 s20, exec_lo
	s_delay_alu instid0(VALU_DEP_1)
	v_cmpx_ne_u32_e32 0x7f, v8
	s_cbranch_execz .LBB287_1873
; %bb.1870:                             ;   in Loop: Header=BB287_11 Depth=1
	v_and_b32_e32 v140, 7, v12
	v_lshrrev_b32_e32 v13, 3, v8
	v_cmp_gt_u32_e64 s1, 8, v8
	s_delay_alu instid0(VALU_DEP_3) | instskip(NEXT) | instid1(VALU_DEP_2)
	v_dual_mov_b32 v8, v140 :: v_dual_mov_b32 v9, v141
	s_and_saveexec_b32 s21, s1
; %bb.1871:                             ;   in Loop: Header=BB287_11 Depth=1
	v_clz_i32_u32_e32 v8, v140
	s_delay_alu instid0(VALU_DEP_1) | instskip(NEXT) | instid1(VALU_DEP_1)
	v_min_u32_e32 v13, 32, v8
	v_subrev_nc_u32_e32 v8, 28, v13
	v_sub_nc_u32_e32 v13, 29, v13
	s_delay_alu instid0(VALU_DEP_2) | instskip(NEXT) | instid1(VALU_DEP_1)
	v_lshlrev_b64 v[8:9], v8, v[140:141]
	v_and_b32_e32 v8, 7, v8
; %bb.1872:                             ;   in Loop: Header=BB287_11 Depth=1
	s_or_b32 exec_lo, exec_lo, s21
	v_lshlrev_b32_e32 v4, 24, v12
	s_delay_alu instid0(VALU_DEP_2) | instskip(SKIP_1) | instid1(VALU_DEP_3)
	v_lshlrev_b32_e32 v8, 20, v8
	v_lshl_add_u32 v9, v13, 23, 0x3c000000
	v_and_b32_e32 v4, 0x80000000, v4
	s_delay_alu instid0(VALU_DEP_1) | instskip(NEXT) | instid1(VALU_DEP_1)
	v_or3_b32 v140, v8, v4, v9
	v_dual_mov_b32 v143, v141 :: v_dual_mov_b32 v142, v140
.LBB287_1873:                           ;   in Loop: Header=BB287_11 Depth=1
	s_or_b32 exec_lo, exec_lo, s20
.LBB287_1874:                           ;   in Loop: Header=BB287_11 Depth=1
	s_delay_alu instid0(SALU_CYCLE_1)
	s_or_b32 exec_lo, exec_lo, s19
.LBB287_1875:                           ;   in Loop: Header=BB287_11 Depth=1
	s_delay_alu instid0(SALU_CYCLE_1) | instskip(SKIP_2) | instid1(VALU_DEP_1)
	s_or_b32 exec_lo, exec_lo, s8
	v_lshrrev_b16 v4, 8, v12
	s_mov_b32 s19, exec_lo
	v_cmpx_ne_u16_e32 0, v4
	s_cbranch_execz .LBB287_1883
; %bb.1876:                             ;   in Loop: Header=BB287_11 Depth=1
	v_dual_mov_b32 v30, s3 :: v_dual_mov_b32 v29, s2
	s_mov_b32 s20, exec_lo
	v_cmpx_ne_u16_e32 0x80, v4
	s_cbranch_execz .LBB287_1882
; %bb.1877:                             ;   in Loop: Header=BB287_11 Depth=1
	s_mov_b32 s8, s2
	v_and_b32_e32 v4, 0xffff, v4
	v_dual_mov_b32 v30, s9 :: v_dual_mov_b32 v29, s8
	s_mov_b32 s8, exec_lo
	s_delay_alu instid0(VALU_DEP_2) | instskip(NEXT) | instid1(VALU_DEP_1)
	v_and_b32_e32 v8, 0x7f, v4
	v_cmpx_ne_u32_e32 0x7f, v8
	s_cbranch_execz .LBB287_1881
; %bb.1878:                             ;   in Loop: Header=BB287_11 Depth=1
	v_and_b32_e32 v140, 7, v4
	v_lshrrev_b32_e32 v13, 3, v8
	v_cmp_gt_u32_e64 s1, 8, v8
	s_delay_alu instid0(VALU_DEP_3) | instskip(NEXT) | instid1(VALU_DEP_2)
	v_dual_mov_b32 v8, v140 :: v_dual_mov_b32 v9, v141
	s_and_saveexec_b32 s21, s1
; %bb.1879:                             ;   in Loop: Header=BB287_11 Depth=1
	v_clz_i32_u32_e32 v8, v140
	s_delay_alu instid0(VALU_DEP_1) | instskip(NEXT) | instid1(VALU_DEP_1)
	v_min_u32_e32 v13, 32, v8
	v_subrev_nc_u32_e32 v8, 28, v13
	v_sub_nc_u32_e32 v13, 29, v13
	s_delay_alu instid0(VALU_DEP_2) | instskip(NEXT) | instid1(VALU_DEP_1)
	v_lshlrev_b64 v[8:9], v8, v[140:141]
	v_and_b32_e32 v8, 7, v8
; %bb.1880:                             ;   in Loop: Header=BB287_11 Depth=1
	s_or_b32 exec_lo, exec_lo, s21
	v_dual_mov_b32 v29, v141 :: v_dual_lshlrev_b32 v4, 16, v12
	s_delay_alu instid0(VALU_DEP_2) | instskip(SKIP_1) | instid1(VALU_DEP_3)
	v_lshlrev_b32_e32 v8, 20, v8
	v_lshl_add_u32 v9, v13, 23, 0x3c000000
	v_and_b32_e32 v4, 0x80000000, v4
	s_delay_alu instid0(VALU_DEP_1)
	v_or3_b32 v30, v8, v4, v9
.LBB287_1881:                           ;   in Loop: Header=BB287_11 Depth=1
	s_or_b32 exec_lo, exec_lo, s8
.LBB287_1882:                           ;   in Loop: Header=BB287_11 Depth=1
	s_delay_alu instid0(SALU_CYCLE_1)
	s_or_b32 exec_lo, exec_lo, s20
.LBB287_1883:                           ;   in Loop: Header=BB287_11 Depth=1
	s_delay_alu instid0(SALU_CYCLE_1) | instskip(SKIP_4) | instid1(VALU_DEP_1)
	s_or_b32 exec_lo, exec_lo, s19
	v_mov_b32_e32 v150, 0
	v_lshrrev_b32_e32 v13, 16, v12
	v_mov_b32_e32 v151, 0
	s_mov_b32 s8, exec_lo
	v_dual_mov_b32 v165, v151 :: v_dual_and_b32 v4, 0xff, v13
	v_mov_b32_e32 v164, v150
	s_delay_alu instid0(VALU_DEP_2)
	v_cmpx_ne_u16_e32 0, v4
	s_cbranch_execz .LBB287_1891
; %bb.1884:                             ;   in Loop: Header=BB287_11 Depth=1
	v_bfrev_b32_e32 v164, 1
	v_mov_b32_e32 v165, 0
	s_mov_b32 s19, exec_lo
	v_cmpx_ne_u16_e32 0x80, v4
	s_cbranch_execz .LBB287_1890
; %bb.1885:                             ;   in Loop: Header=BB287_11 Depth=1
	v_mov_b32_e32 v164, 0x7f800001
	v_bfe_u32 v8, v12, 16, 7
	v_mov_b32_e32 v165, 0
	s_mov_b32 s20, exec_lo
	s_delay_alu instid0(VALU_DEP_2)
	v_cmpx_ne_u32_e32 0x7f, v8
	s_cbranch_execz .LBB287_1889
; %bb.1886:                             ;   in Loop: Header=BB287_11 Depth=1
	v_and_b32_e32 v140, 7, v13
	v_lshrrev_b32_e32 v16, 3, v8
	v_cmp_gt_u32_e64 s1, 8, v8
	s_delay_alu instid0(VALU_DEP_3) | instskip(NEXT) | instid1(VALU_DEP_2)
	v_dual_mov_b32 v8, v140 :: v_dual_mov_b32 v9, v141
	s_and_saveexec_b32 s21, s1
; %bb.1887:                             ;   in Loop: Header=BB287_11 Depth=1
	v_clz_i32_u32_e32 v8, v140
	s_delay_alu instid0(VALU_DEP_1) | instskip(NEXT) | instid1(VALU_DEP_1)
	v_min_u32_e32 v16, 32, v8
	v_subrev_nc_u32_e32 v8, 28, v16
	v_sub_nc_u32_e32 v16, 29, v16
	s_delay_alu instid0(VALU_DEP_2) | instskip(NEXT) | instid1(VALU_DEP_1)
	v_lshlrev_b64 v[8:9], v8, v[140:141]
	v_and_b32_e32 v8, 7, v8
; %bb.1888:                             ;   in Loop: Header=BB287_11 Depth=1
	s_or_b32 exec_lo, exec_lo, s21
	v_lshlrev_b32_e32 v4, 24, v13
	s_delay_alu instid0(VALU_DEP_2) | instskip(SKIP_1) | instid1(VALU_DEP_3)
	v_lshlrev_b32_e32 v8, 20, v8
	v_lshl_add_u32 v9, v16, 23, 0x3c000000
	v_and_b32_e32 v4, 0x80000000, v4
	s_delay_alu instid0(VALU_DEP_1) | instskip(NEXT) | instid1(VALU_DEP_1)
	v_or3_b32 v140, v8, v4, v9
	v_dual_mov_b32 v165, v141 :: v_dual_mov_b32 v164, v140
.LBB287_1889:                           ;   in Loop: Header=BB287_11 Depth=1
	s_or_b32 exec_lo, exec_lo, s20
.LBB287_1890:                           ;   in Loop: Header=BB287_11 Depth=1
	s_delay_alu instid0(SALU_CYCLE_1)
	s_or_b32 exec_lo, exec_lo, s19
.LBB287_1891:                           ;   in Loop: Header=BB287_11 Depth=1
	s_delay_alu instid0(SALU_CYCLE_1) | instskip(NEXT) | instid1(SALU_CYCLE_1)
	s_or_b32 exec_lo, exec_lo, s8
	s_mov_b32 s19, exec_lo
	v_cmpx_lt_u32_e32 0xffffff, v12
	s_cbranch_execz .LBB287_1899
; %bb.1892:                             ;   in Loop: Header=BB287_11 Depth=1
	v_lshrrev_b32_e32 v13, 24, v12
	v_dual_mov_b32 v151, s3 :: v_dual_mov_b32 v150, s2
	s_mov_b32 s20, exec_lo
	s_delay_alu instid0(VALU_DEP_2)
	v_cmpx_ne_u32_e32 0x80, v13
	s_cbranch_execz .LBB287_1898
; %bb.1893:                             ;   in Loop: Header=BB287_11 Depth=1
	s_mov_b32 s8, s2
	v_bfe_u32 v8, v12, 24, 7
	v_dual_mov_b32 v151, s9 :: v_dual_mov_b32 v150, s8
	s_mov_b32 s8, exec_lo
	s_delay_alu instid0(VALU_DEP_2)
	v_cmpx_ne_u32_e32 0x7f, v8
	s_cbranch_execz .LBB287_1897
; %bb.1894:                             ;   in Loop: Header=BB287_11 Depth=1
	v_and_b32_e32 v140, 7, v13
	v_lshrrev_b32_e32 v12, 3, v8
	v_cmp_gt_u32_e64 s1, 8, v8
	s_delay_alu instid0(VALU_DEP_3) | instskip(NEXT) | instid1(VALU_DEP_2)
	v_dual_mov_b32 v8, v140 :: v_dual_mov_b32 v9, v141
	s_and_saveexec_b32 s21, s1
; %bb.1895:                             ;   in Loop: Header=BB287_11 Depth=1
	v_clz_i32_u32_e32 v8, v140
	s_delay_alu instid0(VALU_DEP_1) | instskip(NEXT) | instid1(VALU_DEP_1)
	v_min_u32_e32 v12, 32, v8
	v_subrev_nc_u32_e32 v8, 28, v12
	v_sub_nc_u32_e32 v12, 29, v12
	s_delay_alu instid0(VALU_DEP_2) | instskip(NEXT) | instid1(VALU_DEP_1)
	v_lshlrev_b64 v[8:9], v8, v[140:141]
	v_and_b32_e32 v8, 7, v8
; %bb.1896:                             ;   in Loop: Header=BB287_11 Depth=1
	s_or_b32 exec_lo, exec_lo, s21
	v_lshlrev_b32_e32 v4, 24, v13
	s_delay_alu instid0(VALU_DEP_2) | instskip(SKIP_2) | instid1(VALU_DEP_4)
	v_lshlrev_b32_e32 v8, 20, v8
	v_lshl_add_u32 v9, v12, 23, 0x3c000000
	v_mov_b32_e32 v150, v141
	v_and_b32_e32 v4, 0x80000000, v4
	s_delay_alu instid0(VALU_DEP_1)
	v_or3_b32 v151, v8, v4, v9
.LBB287_1897:                           ;   in Loop: Header=BB287_11 Depth=1
	s_or_b32 exec_lo, exec_lo, s8
.LBB287_1898:                           ;   in Loop: Header=BB287_11 Depth=1
	s_delay_alu instid0(SALU_CYCLE_1)
	s_or_b32 exec_lo, exec_lo, s20
.LBB287_1899:                           ;   in Loop: Header=BB287_11 Depth=1
	s_delay_alu instid0(SALU_CYCLE_1)
	s_or_b32 exec_lo, exec_lo, s19
	flat_load_b32 v12, v[70:71] offset:3084
	v_mov_b32_e32 v162, 0
	v_mov_b32_e32 v163, 0
	s_mov_b32 s8, exec_lo
	s_waitcnt vmcnt(0) lgkmcnt(0)
	v_and_b32_e32 v4, 0xff, v12
	s_delay_alu instid0(VALU_DEP_2) | instskip(NEXT) | instid1(VALU_DEP_2)
	v_dual_mov_b32 v158, v162 :: v_dual_mov_b32 v159, v163
	v_cmpx_ne_u16_e32 0, v4
	s_cbranch_execz .LBB287_1907
; %bb.1900:                             ;   in Loop: Header=BB287_11 Depth=1
	v_bfrev_b32_e32 v158, 1
	v_mov_b32_e32 v159, 0
	s_mov_b32 s19, exec_lo
	v_cmpx_ne_u16_e32 0x80, v4
	s_cbranch_execz .LBB287_1906
; %bb.1901:                             ;   in Loop: Header=BB287_11 Depth=1
	v_mov_b32_e32 v158, 0x7f800001
	v_dual_mov_b32 v159, 0 :: v_dual_and_b32 v8, 0x7f, v12
	s_mov_b32 s20, exec_lo
	s_delay_alu instid0(VALU_DEP_1)
	v_cmpx_ne_u32_e32 0x7f, v8
	s_cbranch_execz .LBB287_1905
; %bb.1902:                             ;   in Loop: Header=BB287_11 Depth=1
	v_and_b32_e32 v140, 7, v12
	v_lshrrev_b32_e32 v13, 3, v8
	v_cmp_gt_u32_e64 s1, 8, v8
	s_delay_alu instid0(VALU_DEP_3) | instskip(NEXT) | instid1(VALU_DEP_2)
	v_dual_mov_b32 v8, v140 :: v_dual_mov_b32 v9, v141
	s_and_saveexec_b32 s21, s1
; %bb.1903:                             ;   in Loop: Header=BB287_11 Depth=1
	v_clz_i32_u32_e32 v8, v140
	s_delay_alu instid0(VALU_DEP_1) | instskip(NEXT) | instid1(VALU_DEP_1)
	v_min_u32_e32 v13, 32, v8
	v_subrev_nc_u32_e32 v8, 28, v13
	v_sub_nc_u32_e32 v13, 29, v13
	s_delay_alu instid0(VALU_DEP_2) | instskip(NEXT) | instid1(VALU_DEP_1)
	v_lshlrev_b64 v[8:9], v8, v[140:141]
	v_and_b32_e32 v8, 7, v8
; %bb.1904:                             ;   in Loop: Header=BB287_11 Depth=1
	s_or_b32 exec_lo, exec_lo, s21
	v_lshlrev_b32_e32 v4, 24, v12
	s_delay_alu instid0(VALU_DEP_2) | instskip(SKIP_1) | instid1(VALU_DEP_3)
	v_lshlrev_b32_e32 v8, 20, v8
	v_lshl_add_u32 v9, v13, 23, 0x3c000000
	v_and_b32_e32 v4, 0x80000000, v4
	s_delay_alu instid0(VALU_DEP_1) | instskip(NEXT) | instid1(VALU_DEP_1)
	v_or3_b32 v140, v8, v4, v9
	v_dual_mov_b32 v159, v141 :: v_dual_mov_b32 v158, v140
.LBB287_1905:                           ;   in Loop: Header=BB287_11 Depth=1
	s_or_b32 exec_lo, exec_lo, s20
.LBB287_1906:                           ;   in Loop: Header=BB287_11 Depth=1
	s_delay_alu instid0(SALU_CYCLE_1)
	s_or_b32 exec_lo, exec_lo, s19
.LBB287_1907:                           ;   in Loop: Header=BB287_11 Depth=1
	s_delay_alu instid0(SALU_CYCLE_1) | instskip(SKIP_2) | instid1(VALU_DEP_1)
	s_or_b32 exec_lo, exec_lo, s8
	v_lshrrev_b16 v4, 8, v12
	s_mov_b32 s19, exec_lo
	v_cmpx_ne_u16_e32 0, v4
	s_cbranch_execz .LBB287_1915
; %bb.1908:                             ;   in Loop: Header=BB287_11 Depth=1
	v_dual_mov_b32 v163, s3 :: v_dual_mov_b32 v162, s2
	s_mov_b32 s20, exec_lo
	v_cmpx_ne_u16_e32 0x80, v4
	s_cbranch_execz .LBB287_1914
; %bb.1909:                             ;   in Loop: Header=BB287_11 Depth=1
	s_mov_b32 s8, s2
	v_dual_mov_b32 v163, s9 :: v_dual_and_b32 v4, 0xffff, v4
	v_mov_b32_e32 v162, s8
	s_mov_b32 s8, exec_lo
	s_delay_alu instid0(VALU_DEP_2) | instskip(NEXT) | instid1(VALU_DEP_1)
	v_and_b32_e32 v8, 0x7f, v4
	v_cmpx_ne_u32_e32 0x7f, v8
	s_cbranch_execz .LBB287_1913
; %bb.1910:                             ;   in Loop: Header=BB287_11 Depth=1
	v_and_b32_e32 v140, 7, v4
	v_lshrrev_b32_e32 v13, 3, v8
	v_cmp_gt_u32_e64 s1, 8, v8
	s_delay_alu instid0(VALU_DEP_3) | instskip(NEXT) | instid1(VALU_DEP_2)
	v_dual_mov_b32 v8, v140 :: v_dual_mov_b32 v9, v141
	s_and_saveexec_b32 s21, s1
; %bb.1911:                             ;   in Loop: Header=BB287_11 Depth=1
	v_clz_i32_u32_e32 v8, v140
	s_delay_alu instid0(VALU_DEP_1) | instskip(NEXT) | instid1(VALU_DEP_1)
	v_min_u32_e32 v13, 32, v8
	v_subrev_nc_u32_e32 v8, 28, v13
	v_sub_nc_u32_e32 v13, 29, v13
	s_delay_alu instid0(VALU_DEP_2) | instskip(NEXT) | instid1(VALU_DEP_1)
	v_lshlrev_b64 v[8:9], v8, v[140:141]
	v_and_b32_e32 v8, 7, v8
; %bb.1912:                             ;   in Loop: Header=BB287_11 Depth=1
	s_or_b32 exec_lo, exec_lo, s21
	v_lshlrev_b32_e32 v4, 16, v12
	s_delay_alu instid0(VALU_DEP_2) | instskip(SKIP_2) | instid1(VALU_DEP_4)
	v_lshlrev_b32_e32 v8, 20, v8
	v_lshl_add_u32 v9, v13, 23, 0x3c000000
	v_mov_b32_e32 v162, v141
	v_and_b32_e32 v4, 0x80000000, v4
	s_delay_alu instid0(VALU_DEP_1)
	v_or3_b32 v163, v8, v4, v9
.LBB287_1913:                           ;   in Loop: Header=BB287_11 Depth=1
	s_or_b32 exec_lo, exec_lo, s8
.LBB287_1914:                           ;   in Loop: Header=BB287_11 Depth=1
	s_delay_alu instid0(SALU_CYCLE_1)
	s_or_b32 exec_lo, exec_lo, s20
.LBB287_1915:                           ;   in Loop: Header=BB287_11 Depth=1
	s_delay_alu instid0(SALU_CYCLE_1) | instskip(SKIP_4) | instid1(VALU_DEP_1)
	s_or_b32 exec_lo, exec_lo, s19
	v_mov_b32_e32 v166, 0
	v_lshrrev_b32_e32 v13, 16, v12
	v_mov_b32_e32 v167, 0
	s_mov_b32 s8, exec_lo
	v_dual_mov_b32 v181, v167 :: v_dual_and_b32 v4, 0xff, v13
	v_mov_b32_e32 v180, v166
	s_delay_alu instid0(VALU_DEP_2)
	v_cmpx_ne_u16_e32 0, v4
	s_cbranch_execz .LBB287_1923
; %bb.1916:                             ;   in Loop: Header=BB287_11 Depth=1
	v_bfrev_b32_e32 v180, 1
	v_mov_b32_e32 v181, 0
	s_mov_b32 s19, exec_lo
	v_cmpx_ne_u16_e32 0x80, v4
	s_cbranch_execz .LBB287_1922
; %bb.1917:                             ;   in Loop: Header=BB287_11 Depth=1
	v_mov_b32_e32 v180, 0x7f800001
	v_bfe_u32 v8, v12, 16, 7
	v_mov_b32_e32 v181, 0
	s_mov_b32 s20, exec_lo
	s_delay_alu instid0(VALU_DEP_2)
	v_cmpx_ne_u32_e32 0x7f, v8
	s_cbranch_execz .LBB287_1921
; %bb.1918:                             ;   in Loop: Header=BB287_11 Depth=1
	v_and_b32_e32 v140, 7, v13
	v_lshrrev_b32_e32 v16, 3, v8
	v_cmp_gt_u32_e64 s1, 8, v8
	s_delay_alu instid0(VALU_DEP_3) | instskip(NEXT) | instid1(VALU_DEP_2)
	v_dual_mov_b32 v8, v140 :: v_dual_mov_b32 v9, v141
	s_and_saveexec_b32 s21, s1
; %bb.1919:                             ;   in Loop: Header=BB287_11 Depth=1
	v_clz_i32_u32_e32 v8, v140
	s_delay_alu instid0(VALU_DEP_1) | instskip(NEXT) | instid1(VALU_DEP_1)
	v_min_u32_e32 v16, 32, v8
	v_subrev_nc_u32_e32 v8, 28, v16
	v_sub_nc_u32_e32 v16, 29, v16
	s_delay_alu instid0(VALU_DEP_2) | instskip(NEXT) | instid1(VALU_DEP_1)
	v_lshlrev_b64 v[8:9], v8, v[140:141]
	v_and_b32_e32 v8, 7, v8
; %bb.1920:                             ;   in Loop: Header=BB287_11 Depth=1
	s_or_b32 exec_lo, exec_lo, s21
	v_lshlrev_b32_e32 v4, 24, v13
	s_delay_alu instid0(VALU_DEP_2) | instskip(SKIP_1) | instid1(VALU_DEP_3)
	v_lshlrev_b32_e32 v8, 20, v8
	v_lshl_add_u32 v9, v16, 23, 0x3c000000
	v_and_b32_e32 v4, 0x80000000, v4
	s_delay_alu instid0(VALU_DEP_1) | instskip(NEXT) | instid1(VALU_DEP_1)
	v_or3_b32 v140, v8, v4, v9
	v_dual_mov_b32 v181, v141 :: v_dual_mov_b32 v180, v140
.LBB287_1921:                           ;   in Loop: Header=BB287_11 Depth=1
	s_or_b32 exec_lo, exec_lo, s20
.LBB287_1922:                           ;   in Loop: Header=BB287_11 Depth=1
	s_delay_alu instid0(SALU_CYCLE_1)
	s_or_b32 exec_lo, exec_lo, s19
.LBB287_1923:                           ;   in Loop: Header=BB287_11 Depth=1
	s_delay_alu instid0(SALU_CYCLE_1) | instskip(NEXT) | instid1(SALU_CYCLE_1)
	s_or_b32 exec_lo, exec_lo, s8
	s_mov_b32 s19, exec_lo
	v_cmpx_lt_u32_e32 0xffffff, v12
	s_cbranch_execz .LBB287_1931
; %bb.1924:                             ;   in Loop: Header=BB287_11 Depth=1
	v_lshrrev_b32_e32 v13, 24, v12
	v_dual_mov_b32 v167, s3 :: v_dual_mov_b32 v166, s2
	s_mov_b32 s20, exec_lo
	s_delay_alu instid0(VALU_DEP_2)
	v_cmpx_ne_u32_e32 0x80, v13
	s_cbranch_execz .LBB287_1930
; %bb.1925:                             ;   in Loop: Header=BB287_11 Depth=1
	s_mov_b32 s8, s2
	v_bfe_u32 v8, v12, 24, 7
	v_dual_mov_b32 v167, s9 :: v_dual_mov_b32 v166, s8
	s_mov_b32 s8, exec_lo
	s_delay_alu instid0(VALU_DEP_2)
	v_cmpx_ne_u32_e32 0x7f, v8
	s_cbranch_execz .LBB287_1929
; %bb.1926:                             ;   in Loop: Header=BB287_11 Depth=1
	v_and_b32_e32 v140, 7, v13
	v_lshrrev_b32_e32 v12, 3, v8
	v_cmp_gt_u32_e64 s1, 8, v8
	s_delay_alu instid0(VALU_DEP_3) | instskip(NEXT) | instid1(VALU_DEP_2)
	v_dual_mov_b32 v8, v140 :: v_dual_mov_b32 v9, v141
	s_and_saveexec_b32 s21, s1
; %bb.1927:                             ;   in Loop: Header=BB287_11 Depth=1
	v_clz_i32_u32_e32 v8, v140
	s_delay_alu instid0(VALU_DEP_1) | instskip(NEXT) | instid1(VALU_DEP_1)
	v_min_u32_e32 v12, 32, v8
	v_subrev_nc_u32_e32 v8, 28, v12
	v_sub_nc_u32_e32 v12, 29, v12
	s_delay_alu instid0(VALU_DEP_2) | instskip(NEXT) | instid1(VALU_DEP_1)
	v_lshlrev_b64 v[8:9], v8, v[140:141]
	v_and_b32_e32 v8, 7, v8
; %bb.1928:                             ;   in Loop: Header=BB287_11 Depth=1
	s_or_b32 exec_lo, exec_lo, s21
	v_lshlrev_b32_e32 v4, 24, v13
	s_delay_alu instid0(VALU_DEP_2) | instskip(SKIP_2) | instid1(VALU_DEP_4)
	v_lshlrev_b32_e32 v8, 20, v8
	v_lshl_add_u32 v9, v12, 23, 0x3c000000
	v_mov_b32_e32 v166, v141
	v_and_b32_e32 v4, 0x80000000, v4
	s_delay_alu instid0(VALU_DEP_1)
	v_or3_b32 v167, v8, v4, v9
.LBB287_1929:                           ;   in Loop: Header=BB287_11 Depth=1
	s_or_b32 exec_lo, exec_lo, s8
.LBB287_1930:                           ;   in Loop: Header=BB287_11 Depth=1
	s_delay_alu instid0(SALU_CYCLE_1)
	s_or_b32 exec_lo, exec_lo, s20
.LBB287_1931:                           ;   in Loop: Header=BB287_11 Depth=1
	s_delay_alu instid0(SALU_CYCLE_1)
	s_or_b32 exec_lo, exec_lo, s19
	flat_load_b32 v16, v[70:71] offset:3584
	v_mov_b32_e32 v182, 0
	v_mov_b32_e32 v183, 0
	s_mov_b32 s8, exec_lo
	s_waitcnt vmcnt(0) lgkmcnt(0)
	v_and_b32_e32 v4, 0xff, v16
	s_delay_alu instid0(VALU_DEP_2) | instskip(NEXT) | instid1(VALU_DEP_2)
	v_dual_mov_b32 v56, v182 :: v_dual_mov_b32 v57, v183
	v_cmpx_ne_u16_e32 0, v4
	s_cbranch_execz .LBB287_1939
; %bb.1932:                             ;   in Loop: Header=BB287_11 Depth=1
	v_bfrev_b32_e32 v56, 1
	v_mov_b32_e32 v57, 0
	s_mov_b32 s19, exec_lo
	v_cmpx_ne_u16_e32 0x80, v4
	s_cbranch_execz .LBB287_1938
; %bb.1933:                             ;   in Loop: Header=BB287_11 Depth=1
	v_mov_b32_e32 v56, 0x7f800001
	v_dual_mov_b32 v57, 0 :: v_dual_and_b32 v8, 0x7f, v16
	s_mov_b32 s20, exec_lo
	s_delay_alu instid0(VALU_DEP_1)
	v_cmpx_ne_u32_e32 0x7f, v8
	s_cbranch_execz .LBB287_1937
; %bb.1934:                             ;   in Loop: Header=BB287_11 Depth=1
	v_and_b32_e32 v140, 7, v16
	v_lshrrev_b32_e32 v12, 3, v8
	v_cmp_gt_u32_e64 s1, 8, v8
	s_delay_alu instid0(VALU_DEP_3) | instskip(NEXT) | instid1(VALU_DEP_2)
	v_dual_mov_b32 v8, v140 :: v_dual_mov_b32 v9, v141
	s_and_saveexec_b32 s21, s1
; %bb.1935:                             ;   in Loop: Header=BB287_11 Depth=1
	v_clz_i32_u32_e32 v8, v140
	s_delay_alu instid0(VALU_DEP_1) | instskip(NEXT) | instid1(VALU_DEP_1)
	v_min_u32_e32 v12, 32, v8
	v_subrev_nc_u32_e32 v8, 28, v12
	v_sub_nc_u32_e32 v12, 29, v12
	s_delay_alu instid0(VALU_DEP_2) | instskip(NEXT) | instid1(VALU_DEP_1)
	v_lshlrev_b64 v[8:9], v8, v[140:141]
	v_and_b32_e32 v8, 7, v8
; %bb.1936:                             ;   in Loop: Header=BB287_11 Depth=1
	s_or_b32 exec_lo, exec_lo, s21
	v_lshlrev_b32_e32 v4, 24, v16
	s_delay_alu instid0(VALU_DEP_2) | instskip(SKIP_1) | instid1(VALU_DEP_3)
	v_lshlrev_b32_e32 v8, 20, v8
	v_lshl_add_u32 v9, v12, 23, 0x3c000000
	v_and_b32_e32 v4, 0x80000000, v4
	s_delay_alu instid0(VALU_DEP_1) | instskip(NEXT) | instid1(VALU_DEP_1)
	v_or3_b32 v140, v8, v4, v9
	v_dual_mov_b32 v56, v140 :: v_dual_mov_b32 v57, v141
.LBB287_1937:                           ;   in Loop: Header=BB287_11 Depth=1
	s_or_b32 exec_lo, exec_lo, s20
.LBB287_1938:                           ;   in Loop: Header=BB287_11 Depth=1
	s_delay_alu instid0(SALU_CYCLE_1)
	s_or_b32 exec_lo, exec_lo, s19
.LBB287_1939:                           ;   in Loop: Header=BB287_11 Depth=1
	s_delay_alu instid0(SALU_CYCLE_1) | instskip(SKIP_2) | instid1(VALU_DEP_1)
	s_or_b32 exec_lo, exec_lo, s8
	v_lshrrev_b16 v4, 8, v16
	s_mov_b32 s19, exec_lo
	v_cmpx_ne_u16_e32 0, v4
	s_cbranch_execz .LBB287_1947
; %bb.1940:                             ;   in Loop: Header=BB287_11 Depth=1
	v_dual_mov_b32 v183, s3 :: v_dual_mov_b32 v182, s2
	s_mov_b32 s20, exec_lo
	v_cmpx_ne_u16_e32 0x80, v4
	s_cbranch_execz .LBB287_1946
; %bb.1941:                             ;   in Loop: Header=BB287_11 Depth=1
	s_mov_b32 s8, s2
	v_dual_mov_b32 v183, s9 :: v_dual_and_b32 v4, 0xffff, v4
	v_mov_b32_e32 v182, s8
	s_mov_b32 s8, exec_lo
	s_delay_alu instid0(VALU_DEP_2) | instskip(NEXT) | instid1(VALU_DEP_1)
	v_and_b32_e32 v8, 0x7f, v4
	v_cmpx_ne_u32_e32 0x7f, v8
	s_cbranch_execz .LBB287_1945
; %bb.1942:                             ;   in Loop: Header=BB287_11 Depth=1
	v_and_b32_e32 v140, 7, v4
	v_lshrrev_b32_e32 v12, 3, v8
	v_cmp_gt_u32_e64 s1, 8, v8
	s_delay_alu instid0(VALU_DEP_3) | instskip(NEXT) | instid1(VALU_DEP_2)
	v_dual_mov_b32 v8, v140 :: v_dual_mov_b32 v9, v141
	s_and_saveexec_b32 s21, s1
; %bb.1943:                             ;   in Loop: Header=BB287_11 Depth=1
	v_clz_i32_u32_e32 v8, v140
	s_delay_alu instid0(VALU_DEP_1) | instskip(NEXT) | instid1(VALU_DEP_1)
	v_min_u32_e32 v12, 32, v8
	v_subrev_nc_u32_e32 v8, 28, v12
	v_sub_nc_u32_e32 v12, 29, v12
	s_delay_alu instid0(VALU_DEP_2) | instskip(NEXT) | instid1(VALU_DEP_1)
	v_lshlrev_b64 v[8:9], v8, v[140:141]
	v_and_b32_e32 v8, 7, v8
; %bb.1944:                             ;   in Loop: Header=BB287_11 Depth=1
	s_or_b32 exec_lo, exec_lo, s21
	v_lshlrev_b32_e32 v4, 16, v16
	s_delay_alu instid0(VALU_DEP_2) | instskip(SKIP_2) | instid1(VALU_DEP_4)
	v_lshlrev_b32_e32 v8, 20, v8
	v_lshl_add_u32 v9, v12, 23, 0x3c000000
	v_mov_b32_e32 v182, v141
	v_and_b32_e32 v4, 0x80000000, v4
	s_delay_alu instid0(VALU_DEP_1)
	v_or3_b32 v183, v8, v4, v9
.LBB287_1945:                           ;   in Loop: Header=BB287_11 Depth=1
	s_or_b32 exec_lo, exec_lo, s8
.LBB287_1946:                           ;   in Loop: Header=BB287_11 Depth=1
	s_delay_alu instid0(SALU_CYCLE_1)
	s_or_b32 exec_lo, exec_lo, s20
.LBB287_1947:                           ;   in Loop: Header=BB287_11 Depth=1
	s_delay_alu instid0(SALU_CYCLE_1) | instskip(SKIP_4) | instid1(VALU_DEP_1)
	s_or_b32 exec_lo, exec_lo, s19
	v_mov_b32_e32 v8, 0
	v_lshrrev_b32_e32 v17, 16, v16
	v_mov_b32_e32 v9, 0
	s_mov_b32 s8, exec_lo
	v_dual_mov_b32 v103, v9 :: v_dual_and_b32 v4, 0xff, v17
	v_mov_b32_e32 v102, v8
	s_delay_alu instid0(VALU_DEP_2)
	v_cmpx_ne_u16_e32 0, v4
	s_cbranch_execz .LBB287_1955
; %bb.1948:                             ;   in Loop: Header=BB287_11 Depth=1
	v_bfrev_b32_e32 v102, 1
	v_mov_b32_e32 v103, 0
	s_mov_b32 s19, exec_lo
	v_cmpx_ne_u16_e32 0x80, v4
	s_cbranch_execz .LBB287_1954
; %bb.1949:                             ;   in Loop: Header=BB287_11 Depth=1
	v_mov_b32_e32 v102, 0x7f800001
	v_bfe_u32 v12, v16, 16, 7
	v_mov_b32_e32 v103, 0
	s_mov_b32 s20, exec_lo
	s_delay_alu instid0(VALU_DEP_2)
	v_cmpx_ne_u32_e32 0x7f, v12
	s_cbranch_execz .LBB287_1953
; %bb.1950:                             ;   in Loop: Header=BB287_11 Depth=1
	v_and_b32_e32 v140, 7, v17
	v_lshrrev_b32_e32 v20, 3, v12
	v_cmp_gt_u32_e64 s1, 8, v12
	s_delay_alu instid0(VALU_DEP_3) | instskip(NEXT) | instid1(VALU_DEP_2)
	v_dual_mov_b32 v12, v140 :: v_dual_mov_b32 v13, v141
	s_and_saveexec_b32 s21, s1
; %bb.1951:                             ;   in Loop: Header=BB287_11 Depth=1
	v_clz_i32_u32_e32 v12, v140
	s_delay_alu instid0(VALU_DEP_1) | instskip(NEXT) | instid1(VALU_DEP_1)
	v_min_u32_e32 v20, 32, v12
	v_subrev_nc_u32_e32 v12, 28, v20
	v_sub_nc_u32_e32 v20, 29, v20
	s_delay_alu instid0(VALU_DEP_2) | instskip(NEXT) | instid1(VALU_DEP_1)
	v_lshlrev_b64 v[12:13], v12, v[140:141]
	v_and_b32_e32 v12, 7, v12
; %bb.1952:                             ;   in Loop: Header=BB287_11 Depth=1
	s_or_b32 exec_lo, exec_lo, s21
	v_lshlrev_b32_e32 v4, 24, v17
	s_delay_alu instid0(VALU_DEP_2) | instskip(SKIP_1) | instid1(VALU_DEP_3)
	v_lshlrev_b32_e32 v12, 20, v12
	v_lshl_add_u32 v13, v20, 23, 0x3c000000
	v_and_b32_e32 v4, 0x80000000, v4
	s_delay_alu instid0(VALU_DEP_1) | instskip(NEXT) | instid1(VALU_DEP_1)
	v_or3_b32 v140, v12, v4, v13
	v_dual_mov_b32 v102, v140 :: v_dual_mov_b32 v103, v141
.LBB287_1953:                           ;   in Loop: Header=BB287_11 Depth=1
	s_or_b32 exec_lo, exec_lo, s20
.LBB287_1954:                           ;   in Loop: Header=BB287_11 Depth=1
	s_delay_alu instid0(SALU_CYCLE_1)
	s_or_b32 exec_lo, exec_lo, s19
.LBB287_1955:                           ;   in Loop: Header=BB287_11 Depth=1
	s_delay_alu instid0(SALU_CYCLE_1) | instskip(NEXT) | instid1(SALU_CYCLE_1)
	s_or_b32 exec_lo, exec_lo, s8
	s_mov_b32 s19, exec_lo
	v_cmpx_lt_u32_e32 0xffffff, v16
	s_cbranch_execz .LBB287_1963
; %bb.1956:                             ;   in Loop: Header=BB287_11 Depth=1
	v_lshrrev_b32_e32 v12, 24, v16
	v_dual_mov_b32 v9, s3 :: v_dual_mov_b32 v8, s2
	s_mov_b32 s20, exec_lo
	s_delay_alu instid0(VALU_DEP_2)
	v_cmpx_ne_u32_e32 0x80, v12
	s_cbranch_execz .LBB287_1962
; %bb.1957:                             ;   in Loop: Header=BB287_11 Depth=1
	s_mov_b32 s8, s2
	v_bfe_u32 v16, v16, 24, 7
	v_dual_mov_b32 v8, s8 :: v_dual_mov_b32 v9, s9
	s_mov_b32 s8, exec_lo
	s_delay_alu instid0(VALU_DEP_2)
	v_cmpx_ne_u32_e32 0x7f, v16
	s_cbranch_execz .LBB287_1961
; %bb.1958:                             ;   in Loop: Header=BB287_11 Depth=1
	v_and_b32_e32 v140, 7, v12
	v_lshrrev_b32_e32 v13, 3, v16
	s_mov_b32 s21, exec_lo
	s_delay_alu instid0(VALU_DEP_2)
	v_dual_mov_b32 v8, v140 :: v_dual_mov_b32 v9, v141
	v_cmpx_gt_u32_e32 8, v16
; %bb.1959:                             ;   in Loop: Header=BB287_11 Depth=1
	v_clz_i32_u32_e32 v8, v140
	s_delay_alu instid0(VALU_DEP_1) | instskip(NEXT) | instid1(VALU_DEP_1)
	v_min_u32_e32 v13, 32, v8
	v_subrev_nc_u32_e32 v8, 28, v13
	v_sub_nc_u32_e32 v13, 29, v13
	s_delay_alu instid0(VALU_DEP_2) | instskip(NEXT) | instid1(VALU_DEP_1)
	v_lshlrev_b64 v[8:9], v8, v[140:141]
	v_and_b32_e32 v8, 7, v8
; %bb.1960:                             ;   in Loop: Header=BB287_11 Depth=1
	s_or_b32 exec_lo, exec_lo, s21
	v_lshlrev_b32_e32 v4, 24, v12
	s_delay_alu instid0(VALU_DEP_2) | instskip(SKIP_1) | instid1(VALU_DEP_3)
	v_lshlrev_b32_e32 v8, 20, v8
	v_lshl_add_u32 v9, v13, 23, 0x3c000000
	v_and_b32_e32 v4, 0x80000000, v4
	s_delay_alu instid0(VALU_DEP_1)
	v_or3_b32 v9, v8, v4, v9
	v_mov_b32_e32 v8, v141
.LBB287_1961:                           ;   in Loop: Header=BB287_11 Depth=1
	s_or_b32 exec_lo, exec_lo, s8
.LBB287_1962:                           ;   in Loop: Header=BB287_11 Depth=1
	s_delay_alu instid0(SALU_CYCLE_1)
	s_or_b32 exec_lo, exec_lo, s20
.LBB287_1963:                           ;   in Loop: Header=BB287_11 Depth=1
	s_delay_alu instid0(SALU_CYCLE_1)
	s_or_b32 exec_lo, exec_lo, s19
	flat_load_b32 v16, v[70:71] offset:3588
	v_mov_b32_e32 v82, 0
	v_mov_b32_e32 v83, 0
	s_mov_b32 s8, exec_lo
	s_waitcnt vmcnt(0) lgkmcnt(0)
	s_delay_alu instid0(VALU_DEP_1) | instskip(SKIP_1) | instid1(VALU_DEP_2)
	v_dual_mov_b32 v87, v83 :: v_dual_and_b32 v4, 0xff, v16
	v_mov_b32_e32 v86, v82
	v_cmpx_ne_u16_e32 0, v4
	s_cbranch_execz .LBB287_1971
; %bb.1964:                             ;   in Loop: Header=BB287_11 Depth=1
	v_bfrev_b32_e32 v86, 1
	v_mov_b32_e32 v87, 0
	s_mov_b32 s19, exec_lo
	v_cmpx_ne_u16_e32 0x80, v4
	s_cbranch_execz .LBB287_1970
; %bb.1965:                             ;   in Loop: Header=BB287_11 Depth=1
	v_mov_b32_e32 v86, 0x7f800001
	v_dual_mov_b32 v87, 0 :: v_dual_and_b32 v12, 0x7f, v16
	s_mov_b32 s20, exec_lo
	s_delay_alu instid0(VALU_DEP_1)
	v_cmpx_ne_u32_e32 0x7f, v12
	s_cbranch_execz .LBB287_1969
; %bb.1966:                             ;   in Loop: Header=BB287_11 Depth=1
	v_and_b32_e32 v140, 7, v16
	v_lshrrev_b32_e32 v17, 3, v12
	v_cmp_gt_u32_e64 s1, 8, v12
	s_delay_alu instid0(VALU_DEP_3) | instskip(NEXT) | instid1(VALU_DEP_2)
	v_dual_mov_b32 v12, v140 :: v_dual_mov_b32 v13, v141
	s_and_saveexec_b32 s21, s1
; %bb.1967:                             ;   in Loop: Header=BB287_11 Depth=1
	v_clz_i32_u32_e32 v12, v140
	s_delay_alu instid0(VALU_DEP_1) | instskip(NEXT) | instid1(VALU_DEP_1)
	v_min_u32_e32 v17, 32, v12
	v_subrev_nc_u32_e32 v12, 28, v17
	v_sub_nc_u32_e32 v17, 29, v17
	s_delay_alu instid0(VALU_DEP_2) | instskip(NEXT) | instid1(VALU_DEP_1)
	v_lshlrev_b64 v[12:13], v12, v[140:141]
	v_and_b32_e32 v12, 7, v12
; %bb.1968:                             ;   in Loop: Header=BB287_11 Depth=1
	s_or_b32 exec_lo, exec_lo, s21
	v_lshlrev_b32_e32 v4, 24, v16
	s_delay_alu instid0(VALU_DEP_2) | instskip(SKIP_1) | instid1(VALU_DEP_3)
	v_lshlrev_b32_e32 v12, 20, v12
	v_lshl_add_u32 v13, v17, 23, 0x3c000000
	v_and_b32_e32 v4, 0x80000000, v4
	s_delay_alu instid0(VALU_DEP_1) | instskip(NEXT) | instid1(VALU_DEP_1)
	v_or3_b32 v140, v12, v4, v13
	v_dual_mov_b32 v86, v140 :: v_dual_mov_b32 v87, v141
.LBB287_1969:                           ;   in Loop: Header=BB287_11 Depth=1
	s_or_b32 exec_lo, exec_lo, s20
.LBB287_1970:                           ;   in Loop: Header=BB287_11 Depth=1
	s_delay_alu instid0(SALU_CYCLE_1)
	s_or_b32 exec_lo, exec_lo, s19
.LBB287_1971:                           ;   in Loop: Header=BB287_11 Depth=1
	s_delay_alu instid0(SALU_CYCLE_1) | instskip(SKIP_2) | instid1(VALU_DEP_1)
	s_or_b32 exec_lo, exec_lo, s8
	v_lshrrev_b16 v4, 8, v16
	s_mov_b32 s19, exec_lo
	v_cmpx_ne_u16_e32 0, v4
	s_cbranch_execz .LBB287_1979
; %bb.1972:                             ;   in Loop: Header=BB287_11 Depth=1
	v_dual_mov_b32 v83, s3 :: v_dual_mov_b32 v82, s2
	s_mov_b32 s20, exec_lo
	v_cmpx_ne_u16_e32 0x80, v4
	s_cbranch_execz .LBB287_1978
; %bb.1973:                             ;   in Loop: Header=BB287_11 Depth=1
	s_mov_b32 s8, s2
	v_dual_mov_b32 v83, s9 :: v_dual_and_b32 v4, 0xffff, v4
	v_mov_b32_e32 v82, s8
	s_mov_b32 s8, exec_lo
	s_delay_alu instid0(VALU_DEP_2) | instskip(NEXT) | instid1(VALU_DEP_1)
	v_and_b32_e32 v12, 0x7f, v4
	v_cmpx_ne_u32_e32 0x7f, v12
	s_cbranch_execz .LBB287_1977
; %bb.1974:                             ;   in Loop: Header=BB287_11 Depth=1
	v_and_b32_e32 v140, 7, v4
	v_lshrrev_b32_e32 v17, 3, v12
	v_cmp_gt_u32_e64 s1, 8, v12
	s_delay_alu instid0(VALU_DEP_3) | instskip(NEXT) | instid1(VALU_DEP_2)
	v_dual_mov_b32 v12, v140 :: v_dual_mov_b32 v13, v141
	s_and_saveexec_b32 s21, s1
; %bb.1975:                             ;   in Loop: Header=BB287_11 Depth=1
	v_clz_i32_u32_e32 v12, v140
	s_delay_alu instid0(VALU_DEP_1) | instskip(NEXT) | instid1(VALU_DEP_1)
	v_min_u32_e32 v17, 32, v12
	v_subrev_nc_u32_e32 v12, 28, v17
	v_sub_nc_u32_e32 v17, 29, v17
	s_delay_alu instid0(VALU_DEP_2) | instskip(NEXT) | instid1(VALU_DEP_1)
	v_lshlrev_b64 v[12:13], v12, v[140:141]
	v_and_b32_e32 v12, 7, v12
; %bb.1976:                             ;   in Loop: Header=BB287_11 Depth=1
	s_or_b32 exec_lo, exec_lo, s21
	v_lshlrev_b32_e32 v4, 16, v16
	s_delay_alu instid0(VALU_DEP_2) | instskip(SKIP_2) | instid1(VALU_DEP_4)
	v_lshlrev_b32_e32 v12, 20, v12
	v_lshl_add_u32 v13, v17, 23, 0x3c000000
	v_mov_b32_e32 v82, v141
	v_and_b32_e32 v4, 0x80000000, v4
	s_delay_alu instid0(VALU_DEP_1)
	v_or3_b32 v83, v12, v4, v13
.LBB287_1977:                           ;   in Loop: Header=BB287_11 Depth=1
	s_or_b32 exec_lo, exec_lo, s8
.LBB287_1978:                           ;   in Loop: Header=BB287_11 Depth=1
	s_delay_alu instid0(SALU_CYCLE_1)
	s_or_b32 exec_lo, exec_lo, s20
.LBB287_1979:                           ;   in Loop: Header=BB287_11 Depth=1
	s_delay_alu instid0(SALU_CYCLE_1) | instskip(SKIP_4) | instid1(VALU_DEP_1)
	s_or_b32 exec_lo, exec_lo, s19
	v_mov_b32_e32 v20, 0
	v_lshrrev_b32_e32 v17, 16, v16
	v_mov_b32_e32 v21, 0
	s_mov_b32 s8, exec_lo
	v_dual_mov_b32 v99, v21 :: v_dual_and_b32 v4, 0xff, v17
	v_mov_b32_e32 v98, v20
	s_delay_alu instid0(VALU_DEP_2)
	v_cmpx_ne_u16_e32 0, v4
	s_cbranch_execz .LBB287_1987
; %bb.1980:                             ;   in Loop: Header=BB287_11 Depth=1
	v_bfrev_b32_e32 v98, 1
	v_mov_b32_e32 v99, 0
	s_mov_b32 s19, exec_lo
	v_cmpx_ne_u16_e32 0x80, v4
	s_cbranch_execz .LBB287_1986
; %bb.1981:                             ;   in Loop: Header=BB287_11 Depth=1
	v_mov_b32_e32 v98, 0x7f800001
	v_bfe_u32 v12, v16, 16, 7
	v_mov_b32_e32 v99, 0
	s_mov_b32 s20, exec_lo
	s_delay_alu instid0(VALU_DEP_2)
	v_cmpx_ne_u32_e32 0x7f, v12
	s_cbranch_execz .LBB287_1985
; %bb.1982:                             ;   in Loop: Header=BB287_11 Depth=1
	v_and_b32_e32 v140, 7, v17
	v_lshrrev_b32_e32 v24, 3, v12
	v_cmp_gt_u32_e64 s1, 8, v12
	s_delay_alu instid0(VALU_DEP_3) | instskip(NEXT) | instid1(VALU_DEP_2)
	v_dual_mov_b32 v12, v140 :: v_dual_mov_b32 v13, v141
	s_and_saveexec_b32 s21, s1
; %bb.1983:                             ;   in Loop: Header=BB287_11 Depth=1
	v_clz_i32_u32_e32 v12, v140
	s_delay_alu instid0(VALU_DEP_1) | instskip(NEXT) | instid1(VALU_DEP_1)
	v_min_u32_e32 v24, 32, v12
	v_subrev_nc_u32_e32 v12, 28, v24
	v_sub_nc_u32_e32 v24, 29, v24
	s_delay_alu instid0(VALU_DEP_2) | instskip(NEXT) | instid1(VALU_DEP_1)
	v_lshlrev_b64 v[12:13], v12, v[140:141]
	v_and_b32_e32 v12, 7, v12
; %bb.1984:                             ;   in Loop: Header=BB287_11 Depth=1
	s_or_b32 exec_lo, exec_lo, s21
	v_lshlrev_b32_e32 v4, 24, v17
	s_delay_alu instid0(VALU_DEP_2) | instskip(SKIP_1) | instid1(VALU_DEP_3)
	v_lshlrev_b32_e32 v12, 20, v12
	v_lshl_add_u32 v13, v24, 23, 0x3c000000
	v_and_b32_e32 v4, 0x80000000, v4
	s_delay_alu instid0(VALU_DEP_1) | instskip(NEXT) | instid1(VALU_DEP_1)
	v_or3_b32 v140, v12, v4, v13
	v_dual_mov_b32 v98, v140 :: v_dual_mov_b32 v99, v141
.LBB287_1985:                           ;   in Loop: Header=BB287_11 Depth=1
	s_or_b32 exec_lo, exec_lo, s20
.LBB287_1986:                           ;   in Loop: Header=BB287_11 Depth=1
	s_delay_alu instid0(SALU_CYCLE_1)
	s_or_b32 exec_lo, exec_lo, s19
.LBB287_1987:                           ;   in Loop: Header=BB287_11 Depth=1
	s_delay_alu instid0(SALU_CYCLE_1) | instskip(NEXT) | instid1(SALU_CYCLE_1)
	s_or_b32 exec_lo, exec_lo, s8
	s_mov_b32 s19, exec_lo
	v_cmpx_lt_u32_e32 0xffffff, v16
	s_cbranch_execz .LBB287_1995
; %bb.1988:                             ;   in Loop: Header=BB287_11 Depth=1
	v_lshrrev_b32_e32 v17, 24, v16
	v_dual_mov_b32 v21, s3 :: v_dual_mov_b32 v20, s2
	s_mov_b32 s20, exec_lo
	s_delay_alu instid0(VALU_DEP_2)
	v_cmpx_ne_u32_e32 0x80, v17
	s_cbranch_execz .LBB287_1994
; %bb.1989:                             ;   in Loop: Header=BB287_11 Depth=1
	s_mov_b32 s8, s2
	v_bfe_u32 v12, v16, 24, 7
	v_dual_mov_b32 v21, s9 :: v_dual_mov_b32 v20, s8
	s_mov_b32 s8, exec_lo
	s_delay_alu instid0(VALU_DEP_2)
	v_cmpx_ne_u32_e32 0x7f, v12
	s_cbranch_execz .LBB287_1993
; %bb.1990:                             ;   in Loop: Header=BB287_11 Depth=1
	v_and_b32_e32 v140, 7, v17
	v_lshrrev_b32_e32 v16, 3, v12
	v_cmp_gt_u32_e64 s1, 8, v12
	s_delay_alu instid0(VALU_DEP_3) | instskip(NEXT) | instid1(VALU_DEP_2)
	v_dual_mov_b32 v12, v140 :: v_dual_mov_b32 v13, v141
	s_and_saveexec_b32 s21, s1
; %bb.1991:                             ;   in Loop: Header=BB287_11 Depth=1
	v_clz_i32_u32_e32 v12, v140
	s_delay_alu instid0(VALU_DEP_1) | instskip(NEXT) | instid1(VALU_DEP_1)
	v_min_u32_e32 v16, 32, v12
	v_subrev_nc_u32_e32 v12, 28, v16
	v_sub_nc_u32_e32 v16, 29, v16
	s_delay_alu instid0(VALU_DEP_2) | instskip(NEXT) | instid1(VALU_DEP_1)
	v_lshlrev_b64 v[12:13], v12, v[140:141]
	v_and_b32_e32 v12, 7, v12
; %bb.1992:                             ;   in Loop: Header=BB287_11 Depth=1
	s_or_b32 exec_lo, exec_lo, s21
	v_lshlrev_b32_e32 v4, 24, v17
	s_delay_alu instid0(VALU_DEP_2) | instskip(SKIP_2) | instid1(VALU_DEP_4)
	v_lshlrev_b32_e32 v12, 20, v12
	v_lshl_add_u32 v13, v16, 23, 0x3c000000
	v_mov_b32_e32 v20, v141
	v_and_b32_e32 v4, 0x80000000, v4
	s_delay_alu instid0(VALU_DEP_1)
	v_or3_b32 v21, v12, v4, v13
.LBB287_1993:                           ;   in Loop: Header=BB287_11 Depth=1
	s_or_b32 exec_lo, exec_lo, s8
.LBB287_1994:                           ;   in Loop: Header=BB287_11 Depth=1
	s_delay_alu instid0(SALU_CYCLE_1)
	s_or_b32 exec_lo, exec_lo, s20
.LBB287_1995:                           ;   in Loop: Header=BB287_11 Depth=1
	s_delay_alu instid0(SALU_CYCLE_1)
	s_or_b32 exec_lo, exec_lo, s19
	flat_load_b32 v26, v[70:71] offset:3592
	v_mov_b32_e32 v24, 0
	v_mov_b32_e32 v25, 0
	s_mov_b32 s8, exec_lo
	s_waitcnt vmcnt(0) lgkmcnt(0)
	v_and_b32_e32 v4, 0xff, v26
	s_delay_alu instid0(VALU_DEP_2) | instskip(NEXT) | instid1(VALU_DEP_2)
	v_dual_mov_b32 v16, v24 :: v_dual_mov_b32 v17, v25
	v_cmpx_ne_u16_e32 0, v4
	s_cbranch_execz .LBB287_2003
; %bb.1996:                             ;   in Loop: Header=BB287_11 Depth=1
	v_bfrev_b32_e32 v16, 1
	v_mov_b32_e32 v17, 0
	s_mov_b32 s19, exec_lo
	v_cmpx_ne_u16_e32 0x80, v4
	s_cbranch_execz .LBB287_2002
; %bb.1997:                             ;   in Loop: Header=BB287_11 Depth=1
	v_mov_b32_e32 v16, 0x7f800001
	v_dual_mov_b32 v17, 0 :: v_dual_and_b32 v12, 0x7f, v26
	s_mov_b32 s20, exec_lo
	s_delay_alu instid0(VALU_DEP_1)
	v_cmpx_ne_u32_e32 0x7f, v12
	s_cbranch_execz .LBB287_2001
; %bb.1998:                             ;   in Loop: Header=BB287_11 Depth=1
	v_and_b32_e32 v140, 7, v26
	v_lshrrev_b32_e32 v16, 3, v12
	v_cmp_gt_u32_e64 s1, 8, v12
	s_delay_alu instid0(VALU_DEP_3) | instskip(NEXT) | instid1(VALU_DEP_2)
	v_dual_mov_b32 v12, v140 :: v_dual_mov_b32 v13, v141
	s_and_saveexec_b32 s21, s1
; %bb.1999:                             ;   in Loop: Header=BB287_11 Depth=1
	v_clz_i32_u32_e32 v12, v140
	s_delay_alu instid0(VALU_DEP_1) | instskip(NEXT) | instid1(VALU_DEP_1)
	v_min_u32_e32 v16, 32, v12
	v_subrev_nc_u32_e32 v12, 28, v16
	v_sub_nc_u32_e32 v16, 29, v16
	s_delay_alu instid0(VALU_DEP_2) | instskip(NEXT) | instid1(VALU_DEP_1)
	v_lshlrev_b64 v[12:13], v12, v[140:141]
	v_and_b32_e32 v12, 7, v12
; %bb.2000:                             ;   in Loop: Header=BB287_11 Depth=1
	s_or_b32 exec_lo, exec_lo, s21
	v_lshlrev_b32_e32 v4, 24, v26
	s_delay_alu instid0(VALU_DEP_2) | instskip(SKIP_1) | instid1(VALU_DEP_3)
	v_lshlrev_b32_e32 v12, 20, v12
	v_lshl_add_u32 v13, v16, 23, 0x3c000000
	v_and_b32_e32 v4, 0x80000000, v4
	s_delay_alu instid0(VALU_DEP_1) | instskip(NEXT) | instid1(VALU_DEP_1)
	v_or3_b32 v140, v12, v4, v13
	v_dual_mov_b32 v16, v140 :: v_dual_mov_b32 v17, v141
.LBB287_2001:                           ;   in Loop: Header=BB287_11 Depth=1
	s_or_b32 exec_lo, exec_lo, s20
.LBB287_2002:                           ;   in Loop: Header=BB287_11 Depth=1
	s_delay_alu instid0(SALU_CYCLE_1)
	s_or_b32 exec_lo, exec_lo, s19
.LBB287_2003:                           ;   in Loop: Header=BB287_11 Depth=1
	s_delay_alu instid0(SALU_CYCLE_1) | instskip(SKIP_2) | instid1(VALU_DEP_1)
	s_or_b32 exec_lo, exec_lo, s8
	v_lshrrev_b16 v4, 8, v26
	s_mov_b32 s19, exec_lo
	v_cmpx_ne_u16_e32 0, v4
	s_cbranch_execz .LBB287_2011
; %bb.2004:                             ;   in Loop: Header=BB287_11 Depth=1
	v_dual_mov_b32 v25, s3 :: v_dual_mov_b32 v24, s2
	s_mov_b32 s20, exec_lo
	v_cmpx_ne_u16_e32 0x80, v4
	s_cbranch_execz .LBB287_2010
; %bb.2005:                             ;   in Loop: Header=BB287_11 Depth=1
	s_mov_b32 s8, s2
	v_dual_mov_b32 v25, s9 :: v_dual_and_b32 v4, 0xffff, v4
	v_mov_b32_e32 v24, s8
	s_mov_b32 s8, exec_lo
	s_delay_alu instid0(VALU_DEP_2) | instskip(NEXT) | instid1(VALU_DEP_1)
	v_and_b32_e32 v12, 0x7f, v4
	v_cmpx_ne_u32_e32 0x7f, v12
	s_cbranch_execz .LBB287_2009
; %bb.2006:                             ;   in Loop: Header=BB287_11 Depth=1
	v_and_b32_e32 v140, 7, v4
	v_lshrrev_b32_e32 v24, 3, v12
	v_cmp_gt_u32_e64 s1, 8, v12
	s_delay_alu instid0(VALU_DEP_3) | instskip(NEXT) | instid1(VALU_DEP_2)
	v_dual_mov_b32 v12, v140 :: v_dual_mov_b32 v13, v141
	s_and_saveexec_b32 s21, s1
; %bb.2007:                             ;   in Loop: Header=BB287_11 Depth=1
	v_clz_i32_u32_e32 v12, v140
	s_delay_alu instid0(VALU_DEP_1) | instskip(NEXT) | instid1(VALU_DEP_1)
	v_min_u32_e32 v24, 32, v12
	v_subrev_nc_u32_e32 v12, 28, v24
	v_sub_nc_u32_e32 v24, 29, v24
	s_delay_alu instid0(VALU_DEP_2) | instskip(NEXT) | instid1(VALU_DEP_1)
	v_lshlrev_b64 v[12:13], v12, v[140:141]
	v_and_b32_e32 v12, 7, v12
; %bb.2008:                             ;   in Loop: Header=BB287_11 Depth=1
	s_or_b32 exec_lo, exec_lo, s21
	v_lshlrev_b32_e32 v4, 16, v26
	s_delay_alu instid0(VALU_DEP_2) | instskip(SKIP_2) | instid1(VALU_DEP_4)
	v_lshlrev_b32_e32 v12, 20, v12
	v_lshl_add_u32 v13, v24, 23, 0x3c000000
	v_mov_b32_e32 v24, v141
	v_and_b32_e32 v4, 0x80000000, v4
	s_delay_alu instid0(VALU_DEP_1)
	v_or3_b32 v25, v12, v4, v13
.LBB287_2009:                           ;   in Loop: Header=BB287_11 Depth=1
	s_or_b32 exec_lo, exec_lo, s8
.LBB287_2010:                           ;   in Loop: Header=BB287_11 Depth=1
	s_delay_alu instid0(SALU_CYCLE_1)
	s_or_b32 exec_lo, exec_lo, s20
.LBB287_2011:                           ;   in Loop: Header=BB287_11 Depth=1
	s_delay_alu instid0(SALU_CYCLE_1) | instskip(SKIP_4) | instid1(VALU_DEP_1)
	s_or_b32 exec_lo, exec_lo, s19
	v_mov_b32_e32 v12, 0
	v_lshrrev_b32_e32 v144, 16, v26
	v_mov_b32_e32 v13, 0
	s_mov_b32 s8, exec_lo
	v_dual_mov_b32 v107, v13 :: v_dual_and_b32 v4, 0xff, v144
	v_mov_b32_e32 v106, v12
	s_delay_alu instid0(VALU_DEP_2)
	v_cmpx_ne_u16_e32 0, v4
	s_cbranch_execz .LBB287_2019
; %bb.2012:                             ;   in Loop: Header=BB287_11 Depth=1
	v_bfrev_b32_e32 v106, 1
	v_mov_b32_e32 v107, 0
	s_mov_b32 s19, exec_lo
	v_cmpx_ne_u16_e32 0x80, v4
	s_cbranch_execz .LBB287_2018
; %bb.2013:                             ;   in Loop: Header=BB287_11 Depth=1
	v_mov_b32_e32 v106, 0x7f800001
	v_bfe_u32 v178, v26, 16, 7
	v_mov_b32_e32 v107, 0
	s_mov_b32 s20, exec_lo
	s_delay_alu instid0(VALU_DEP_2)
	v_cmpx_ne_u32_e32 0x7f, v178
	s_cbranch_execz .LBB287_2017
; %bb.2014:                             ;   in Loop: Header=BB287_11 Depth=1
	v_and_b32_e32 v140, 7, v144
	v_lshrrev_b32_e32 v145, 3, v178
	v_cmp_gt_u32_e64 s1, 8, v178
	s_delay_alu instid0(VALU_DEP_3) | instskip(NEXT) | instid1(VALU_DEP_2)
	v_dual_mov_b32 v179, v141 :: v_dual_mov_b32 v178, v140
	s_and_saveexec_b32 s21, s1
; %bb.2015:                             ;   in Loop: Header=BB287_11 Depth=1
	v_clz_i32_u32_e32 v145, v140
	s_delay_alu instid0(VALU_DEP_1) | instskip(NEXT) | instid1(VALU_DEP_1)
	v_min_u32_e32 v145, 32, v145
	v_subrev_nc_u32_e32 v178, 28, v145
	v_sub_nc_u32_e32 v145, 29, v145
	s_delay_alu instid0(VALU_DEP_2) | instskip(NEXT) | instid1(VALU_DEP_1)
	v_lshlrev_b64 v[178:179], v178, v[140:141]
	v_and_b32_e32 v178, 7, v178
; %bb.2016:                             ;   in Loop: Header=BB287_11 Depth=1
	s_or_b32 exec_lo, exec_lo, s21
	v_lshlrev_b32_e32 v4, 24, v144
	s_delay_alu instid0(VALU_DEP_2) | instskip(SKIP_1) | instid1(VALU_DEP_3)
	v_lshlrev_b32_e32 v144, 20, v178
	v_lshl_add_u32 v145, v145, 23, 0x3c000000
	v_and_b32_e32 v4, 0x80000000, v4
	s_delay_alu instid0(VALU_DEP_1) | instskip(NEXT) | instid1(VALU_DEP_1)
	v_or3_b32 v140, v144, v4, v145
	v_dual_mov_b32 v106, v140 :: v_dual_mov_b32 v107, v141
.LBB287_2017:                           ;   in Loop: Header=BB287_11 Depth=1
	s_or_b32 exec_lo, exec_lo, s20
.LBB287_2018:                           ;   in Loop: Header=BB287_11 Depth=1
	s_delay_alu instid0(SALU_CYCLE_1)
	s_or_b32 exec_lo, exec_lo, s19
.LBB287_2019:                           ;   in Loop: Header=BB287_11 Depth=1
	s_delay_alu instid0(SALU_CYCLE_1) | instskip(NEXT) | instid1(SALU_CYCLE_1)
	s_or_b32 exec_lo, exec_lo, s8
	s_mov_b32 s19, exec_lo
	v_cmpx_lt_u32_e32 0xffffff, v26
	s_cbranch_execz .LBB287_2027
; %bb.2020:                             ;   in Loop: Header=BB287_11 Depth=1
	v_lshrrev_b32_e32 v144, 24, v26
	v_dual_mov_b32 v13, s3 :: v_dual_mov_b32 v12, s2
	s_mov_b32 s20, exec_lo
	s_delay_alu instid0(VALU_DEP_2)
	v_cmpx_ne_u32_e32 0x80, v144
	s_cbranch_execz .LBB287_2026
; %bb.2021:                             ;   in Loop: Header=BB287_11 Depth=1
	s_mov_b32 s8, s2
	v_bfe_u32 v145, v26, 24, 7
	v_dual_mov_b32 v13, s9 :: v_dual_mov_b32 v12, s8
	s_mov_b32 s8, exec_lo
	s_delay_alu instid0(VALU_DEP_2)
	v_cmpx_ne_u32_e32 0x7f, v145
	s_cbranch_execz .LBB287_2025
; %bb.2022:                             ;   in Loop: Header=BB287_11 Depth=1
	v_and_b32_e32 v140, 7, v144
	v_lshrrev_b32_e32 v26, 3, v145
	s_mov_b32 s21, exec_lo
	s_delay_alu instid0(VALU_DEP_2)
	v_dual_mov_b32 v12, v140 :: v_dual_mov_b32 v13, v141
	v_cmpx_gt_u32_e32 8, v145
; %bb.2023:                             ;   in Loop: Header=BB287_11 Depth=1
	v_clz_i32_u32_e32 v12, v140
	s_delay_alu instid0(VALU_DEP_1) | instskip(NEXT) | instid1(VALU_DEP_1)
	v_min_u32_e32 v26, 32, v12
	v_subrev_nc_u32_e32 v12, 28, v26
	v_sub_nc_u32_e32 v26, 29, v26
	s_delay_alu instid0(VALU_DEP_2) | instskip(NEXT) | instid1(VALU_DEP_1)
	v_lshlrev_b64 v[12:13], v12, v[140:141]
	v_and_b32_e32 v12, 7, v12
; %bb.2024:                             ;   in Loop: Header=BB287_11 Depth=1
	s_or_b32 exec_lo, exec_lo, s21
	v_lshlrev_b32_e32 v4, 24, v144
	s_delay_alu instid0(VALU_DEP_2) | instskip(SKIP_1) | instid1(VALU_DEP_3)
	v_lshlrev_b32_e32 v12, 20, v12
	v_lshl_add_u32 v13, v26, 23, 0x3c000000
	v_and_b32_e32 v4, 0x80000000, v4
	s_delay_alu instid0(VALU_DEP_1)
	v_or3_b32 v13, v12, v4, v13
	v_mov_b32_e32 v12, v141
.LBB287_2025:                           ;   in Loop: Header=BB287_11 Depth=1
	s_or_b32 exec_lo, exec_lo, s8
.LBB287_2026:                           ;   in Loop: Header=BB287_11 Depth=1
	s_delay_alu instid0(SALU_CYCLE_1)
	s_or_b32 exec_lo, exec_lo, s20
.LBB287_2027:                           ;   in Loop: Header=BB287_11 Depth=1
	s_delay_alu instid0(SALU_CYCLE_1)
	s_or_b32 exec_lo, exec_lo, s19
	flat_load_b32 v26, v[70:71] offset:3596
	v_mov_b32_e32 v70, 0
	v_mov_b32_e32 v71, 0
	s_mov_b32 s8, exec_lo
	s_waitcnt vmcnt(0) lgkmcnt(0)
	s_delay_alu instid0(VALU_DEP_2) | instskip(NEXT) | instid1(VALU_DEP_2)
	v_dual_mov_b32 v41, v70 :: v_dual_and_b32 v4, 0xff, v26
	v_mov_b32_e32 v42, v71
	s_delay_alu instid0(VALU_DEP_2)
	v_cmpx_ne_u16_e32 0, v4
	s_cbranch_execz .LBB287_2035
; %bb.2028:                             ;   in Loop: Header=BB287_11 Depth=1
	v_bfrev_b32_e32 v41, 1
	v_mov_b32_e32 v42, 0
	s_mov_b32 s19, exec_lo
	v_cmpx_ne_u16_e32 0x80, v4
	s_cbranch_execz .LBB287_2034
; %bb.2029:                             ;   in Loop: Header=BB287_11 Depth=1
	v_mov_b32_e32 v41, 0x7f800001
	v_dual_mov_b32 v42, 0 :: v_dual_and_b32 v145, 0x7f, v26
	s_mov_b32 s20, exec_lo
	s_delay_alu instid0(VALU_DEP_1)
	v_cmpx_ne_u32_e32 0x7f, v145
	s_cbranch_execz .LBB287_2033
; %bb.2030:                             ;   in Loop: Header=BB287_11 Depth=1
	v_and_b32_e32 v140, 7, v26
	v_lshrrev_b32_e32 v144, 3, v145
	v_mov_b32_e32 v179, v141
	s_mov_b32 s21, exec_lo
	s_delay_alu instid0(VALU_DEP_3)
	v_mov_b32_e32 v178, v140
	v_cmpx_gt_u32_e32 8, v145
; %bb.2031:                             ;   in Loop: Header=BB287_11 Depth=1
	v_clz_i32_u32_e32 v144, v140
	s_delay_alu instid0(VALU_DEP_1) | instskip(NEXT) | instid1(VALU_DEP_1)
	v_min_u32_e32 v144, 32, v144
	v_subrev_nc_u32_e32 v145, 28, v144
	v_sub_nc_u32_e32 v144, 29, v144
	s_delay_alu instid0(VALU_DEP_2) | instskip(NEXT) | instid1(VALU_DEP_1)
	v_lshlrev_b64 v[178:179], v145, v[140:141]
	v_and_b32_e32 v178, 7, v178
; %bb.2032:                             ;   in Loop: Header=BB287_11 Depth=1
	s_or_b32 exec_lo, exec_lo, s21
	v_lshlrev_b32_e32 v4, 24, v26
	s_delay_alu instid0(VALU_DEP_2) | instskip(SKIP_1) | instid1(VALU_DEP_3)
	v_lshlrev_b32_e32 v145, 20, v178
	v_lshl_add_u32 v144, v144, 23, 0x3c000000
	v_and_b32_e32 v4, 0x80000000, v4
	s_delay_alu instid0(VALU_DEP_1) | instskip(NEXT) | instid1(VALU_DEP_1)
	v_or3_b32 v140, v145, v4, v144
	v_dual_mov_b32 v41, v140 :: v_dual_mov_b32 v42, v141
.LBB287_2033:                           ;   in Loop: Header=BB287_11 Depth=1
	s_or_b32 exec_lo, exec_lo, s20
.LBB287_2034:                           ;   in Loop: Header=BB287_11 Depth=1
	s_delay_alu instid0(SALU_CYCLE_1)
	s_or_b32 exec_lo, exec_lo, s19
.LBB287_2035:                           ;   in Loop: Header=BB287_11 Depth=1
	s_delay_alu instid0(SALU_CYCLE_1) | instskip(SKIP_2) | instid1(VALU_DEP_1)
	s_or_b32 exec_lo, exec_lo, s8
	v_lshrrev_b16 v4, 8, v26
	s_mov_b32 s19, exec_lo
	v_cmpx_ne_u16_e32 0, v4
	s_cbranch_execz .LBB287_2043
; %bb.2036:                             ;   in Loop: Header=BB287_11 Depth=1
	v_dual_mov_b32 v71, s3 :: v_dual_mov_b32 v70, s2
	s_mov_b32 s20, exec_lo
	v_cmpx_ne_u16_e32 0x80, v4
	s_cbranch_execz .LBB287_2042
; %bb.2037:                             ;   in Loop: Header=BB287_11 Depth=1
	s_mov_b32 s8, s2
	v_dual_mov_b32 v71, s9 :: v_dual_and_b32 v4, 0xffff, v4
	v_mov_b32_e32 v70, s8
	s_mov_b32 s8, exec_lo
	s_delay_alu instid0(VALU_DEP_2) | instskip(NEXT) | instid1(VALU_DEP_1)
	v_and_b32_e32 v145, 0x7f, v4
	v_cmpx_ne_u32_e32 0x7f, v145
	s_cbranch_execz .LBB287_2041
; %bb.2038:                             ;   in Loop: Header=BB287_11 Depth=1
	v_and_b32_e32 v140, 7, v4
	v_lshrrev_b32_e32 v144, 3, v145
	s_mov_b32 s21, exec_lo
	s_delay_alu instid0(VALU_DEP_2)
	v_dual_mov_b32 v70, v140 :: v_dual_mov_b32 v71, v141
	v_cmpx_gt_u32_e32 8, v145
; %bb.2039:                             ;   in Loop: Header=BB287_11 Depth=1
	v_clz_i32_u32_e32 v70, v140
	s_delay_alu instid0(VALU_DEP_1) | instskip(NEXT) | instid1(VALU_DEP_1)
	v_min_u32_e32 v144, 32, v70
	v_subrev_nc_u32_e32 v70, 28, v144
	v_sub_nc_u32_e32 v144, 29, v144
	s_delay_alu instid0(VALU_DEP_2) | instskip(NEXT) | instid1(VALU_DEP_1)
	v_lshlrev_b64 v[70:71], v70, v[140:141]
	v_and_b32_e32 v70, 7, v70
; %bb.2040:                             ;   in Loop: Header=BB287_11 Depth=1
	s_or_b32 exec_lo, exec_lo, s21
	v_lshlrev_b32_e32 v4, 16, v26
	s_delay_alu instid0(VALU_DEP_2) | instskip(SKIP_1) | instid1(VALU_DEP_3)
	v_lshlrev_b32_e32 v70, 20, v70
	v_lshl_add_u32 v71, v144, 23, 0x3c000000
	v_and_b32_e32 v4, 0x80000000, v4
	s_delay_alu instid0(VALU_DEP_1)
	v_or3_b32 v71, v70, v4, v71
	v_mov_b32_e32 v70, v141
.LBB287_2041:                           ;   in Loop: Header=BB287_11 Depth=1
	s_or_b32 exec_lo, exec_lo, s8
.LBB287_2042:                           ;   in Loop: Header=BB287_11 Depth=1
	s_delay_alu instid0(SALU_CYCLE_1)
	s_or_b32 exec_lo, exec_lo, s20
.LBB287_2043:                           ;   in Loop: Header=BB287_11 Depth=1
	s_delay_alu instid0(SALU_CYCLE_1) | instskip(SKIP_4) | instid1(VALU_DEP_1)
	s_or_b32 exec_lo, exec_lo, s19
	v_lshrrev_b32_e32 v144, 16, v26
	v_mov_b32_e32 v45, 0
	v_mov_b32_e32 v46, 0
	s_mov_b32 s8, exec_lo
	v_dual_mov_b32 v59, v46 :: v_dual_and_b32 v4, 0xff, v144
	s_delay_alu instid0(VALU_DEP_3) | instskip(NEXT) | instid1(VALU_DEP_2)
	v_mov_b32_e32 v58, v45
	v_cmpx_ne_u16_e32 0, v4
	s_cbranch_execz .LBB287_2051
; %bb.2044:                             ;   in Loop: Header=BB287_11 Depth=1
	v_bfrev_b32_e32 v58, 1
	v_mov_b32_e32 v59, 0
	s_mov_b32 s19, exec_lo
	v_cmpx_ne_u16_e32 0x80, v4
	s_cbranch_execz .LBB287_2050
; %bb.2045:                             ;   in Loop: Header=BB287_11 Depth=1
	v_mov_b32_e32 v58, 0x7f800001
	v_bfe_u32 v110, v26, 16, 7
	v_mov_b32_e32 v59, 0
	s_mov_b32 s20, exec_lo
	s_delay_alu instid0(VALU_DEP_2)
	v_cmpx_ne_u32_e32 0x7f, v110
	s_cbranch_execz .LBB287_2049
; %bb.2046:                             ;   in Loop: Header=BB287_11 Depth=1
	v_and_b32_e32 v140, 7, v144
	v_lshrrev_b32_e32 v145, 3, v110
	s_mov_b32 s21, exec_lo
	s_delay_alu instid0(VALU_DEP_2)
	v_dual_mov_b32 v58, v140 :: v_dual_mov_b32 v59, v141
	v_cmpx_gt_u32_e32 8, v110
; %bb.2047:                             ;   in Loop: Header=BB287_11 Depth=1
	v_clz_i32_u32_e32 v145, v140
	s_delay_alu instid0(VALU_DEP_1) | instskip(NEXT) | instid1(VALU_DEP_1)
	v_min_u32_e32 v145, 32, v145
	v_subrev_nc_u32_e32 v58, 28, v145
	v_sub_nc_u32_e32 v145, 29, v145
	s_delay_alu instid0(VALU_DEP_2) | instskip(NEXT) | instid1(VALU_DEP_1)
	v_lshlrev_b64 v[58:59], v58, v[140:141]
	v_and_b32_e32 v58, 7, v58
; %bb.2048:                             ;   in Loop: Header=BB287_11 Depth=1
	s_or_b32 exec_lo, exec_lo, s21
	v_lshlrev_b32_e32 v4, 24, v144
	s_delay_alu instid0(VALU_DEP_2) | instskip(SKIP_1) | instid1(VALU_DEP_3)
	v_lshlrev_b32_e32 v144, 20, v58
	v_lshl_add_u32 v145, v145, 23, 0x3c000000
	v_and_b32_e32 v4, 0x80000000, v4
	s_delay_alu instid0(VALU_DEP_1) | instskip(NEXT) | instid1(VALU_DEP_1)
	v_or3_b32 v140, v144, v4, v145
	v_dual_mov_b32 v58, v140 :: v_dual_mov_b32 v59, v141
.LBB287_2049:                           ;   in Loop: Header=BB287_11 Depth=1
	s_or_b32 exec_lo, exec_lo, s20
.LBB287_2050:                           ;   in Loop: Header=BB287_11 Depth=1
	s_delay_alu instid0(SALU_CYCLE_1)
	s_or_b32 exec_lo, exec_lo, s19
.LBB287_2051:                           ;   in Loop: Header=BB287_11 Depth=1
	s_delay_alu instid0(SALU_CYCLE_1)
	s_or_b32 exec_lo, exec_lo, s8
	v_cmp_lt_u32_e64 s1, 0xffffff, v26
	s_mov_b32 s19, exec_lo
	s_clause 0x1
	scratch_load_b32 v111, off, s32 offset:1656
	scratch_load_b32 v76, off, s32 offset:1660
	v_mov_b32_e32 v110, v77
	s_and_b32 s1, s19, s1
	s_delay_alu instid0(SALU_CYCLE_1)
	s_mov_b32 exec_lo, s1
	s_cbranch_execz .LBB287_10
; %bb.2052:                             ;   in Loop: Header=BB287_11 Depth=1
	v_lshrrev_b32_e32 v144, 24, v26
	v_dual_mov_b32 v46, s3 :: v_dual_mov_b32 v45, s2
	s_mov_b32 s20, exec_lo
	s_delay_alu instid0(VALU_DEP_2)
	v_cmpx_ne_u32_e32 0x80, v144
	s_cbranch_execz .LBB287_9
; %bb.2053:                             ;   in Loop: Header=BB287_11 Depth=1
	s_mov_b32 s8, s2
	v_bfe_u32 v145, v26, 24, 7
	v_dual_mov_b32 v46, s9 :: v_dual_mov_b32 v45, s8
	s_mov_b32 s8, exec_lo
	s_delay_alu instid0(VALU_DEP_2)
	v_cmpx_ne_u32_e32 0x7f, v145
	s_cbranch_execz .LBB287_8
; %bb.2054:                             ;   in Loop: Header=BB287_11 Depth=1
	v_and_b32_e32 v140, 7, v144
	v_lshrrev_b32_e32 v26, 3, v145
	s_mov_b32 s21, exec_lo
	s_delay_alu instid0(VALU_DEP_2)
	v_dual_mov_b32 v45, v140 :: v_dual_mov_b32 v46, v141
	v_cmpx_gt_u32_e32 8, v145
	s_cbranch_execz .LBB287_7
; %bb.2055:                             ;   in Loop: Header=BB287_11 Depth=1
	v_clz_i32_u32_e32 v26, v140
	s_delay_alu instid0(VALU_DEP_1) | instskip(NEXT) | instid1(VALU_DEP_1)
	v_min_u32_e32 v26, 32, v26
	v_subrev_nc_u32_e32 v145, 28, v26
	v_sub_nc_u32_e32 v26, 29, v26
	s_delay_alu instid0(VALU_DEP_2) | instskip(NEXT) | instid1(VALU_DEP_1)
	v_lshlrev_b64 v[45:46], v145, v[140:141]
	v_and_b32_e32 v45, 7, v45
	s_branch .LBB287_7
.LBB287_2056:
	s_or_b32 exec_lo, exec_lo, s11
.LBB287_2057:
	s_delay_alu instid0(SALU_CYCLE_1) | instskip(SKIP_3) | instid1(VALU_DEP_2)
	s_or_b32 exec_lo, exec_lo, s18
	v_mbcnt_lo_u32_b32 v0, -1, 0
	s_lshr_b32 s8, s15, 16
	v_max_f32_e32 v4, v10, v10
	v_xor_b32_e32 v1, 16, v0
	v_xor_b32_e32 v3, 8, v0
	;; [unrolled: 1-line block ×3, first 2 shown]
	s_delay_alu instid0(VALU_DEP_3) | instskip(SKIP_1) | instid1(VALU_DEP_4)
	v_cmp_gt_i32_e32 vcc_lo, 32, v1
	v_cndmask_b32_e32 v1, v0, v1, vcc_lo
	v_cmp_gt_i32_e32 vcc_lo, 32, v3
	s_delay_alu instid0(VALU_DEP_2) | instskip(SKIP_4) | instid1(VALU_DEP_1)
	v_dual_cndmask_b32 v3, v0, v3 :: v_dual_lshlrev_b32 v2, 2, v1
	v_cmp_gt_i32_e32 vcc_lo, 32, v5
	ds_bpermute_b32 v1, v2, v10
	v_lshlrev_b32_e32 v3, 2, v3
	v_cndmask_b32_e32 v5, v0, v5, vcc_lo
	v_lshlrev_b32_e32 v115, 2, v5
	v_xor_b32_e32 v5, 2, v0
	s_delay_alu instid0(VALU_DEP_1) | instskip(SKIP_3) | instid1(VALU_DEP_2)
	v_cmp_gt_i32_e32 vcc_lo, 32, v5
	v_cndmask_b32_e32 v5, v0, v5, vcc_lo
	s_waitcnt lgkmcnt(0)
	v_max_f32_e32 v1, v1, v1
	v_lshlrev_b32_e32 v131, 2, v5
	v_xor_b32_e32 v5, 1, v0
	s_delay_alu instid0(VALU_DEP_3) | instskip(NEXT) | instid1(VALU_DEP_2)
	v_max_f32_e32 v1, v4, v1
	v_cmp_gt_i32_e32 vcc_lo, 32, v5
	ds_bpermute_b32 v4, v3, v1
	v_cndmask_b32_e32 v5, v0, v5, vcc_lo
	s_delay_alu instid0(VALU_DEP_1) | instskip(SKIP_2) | instid1(VALU_DEP_1)
	v_lshlrev_b32_e32 v148, 2, v5
	s_waitcnt lgkmcnt(0)
	v_max_f32_e32 v4, v4, v4
	v_max_f32_e32 v1, v1, v4
	ds_bpermute_b32 v4, v115, v1
	s_waitcnt lgkmcnt(0)
	v_max_f32_e32 v4, v4, v4
	s_delay_alu instid0(VALU_DEP_1) | instskip(SKIP_3) | instid1(VALU_DEP_1)
	v_max_f32_e32 v1, v1, v4
	ds_bpermute_b32 v4, v131, v1
	s_waitcnt lgkmcnt(0)
	v_max_f32_e32 v4, v4, v4
	v_max_f32_e32 v0, v1, v4
	scratch_load_b32 v4, off, s32 offset:3064 ; 4-byte Folded Reload
	ds_bpermute_b32 v1, v148, v0
	s_waitcnt vmcnt(0)
	v_cmp_eq_u32_e32 vcc_lo, 0, v4
	scratch_load_b32 v4, off, s32 offset:3068 ; 4-byte Folded Reload
	s_waitcnt vmcnt(0)
	v_lshlrev_b32_e32 v4, 2, v4
	s_mov_b32 s1, exec_lo
	scratch_load_b32 v9, off, s32 offset:3060 ; 4-byte Folded Reload
	s_and_b32 s2, s1, vcc_lo
	s_delay_alu instid0(SALU_CYCLE_1)
	s_mov_b32 exec_lo, s2
	s_cbranch_execz .LBB287_2059
; %bb.2058:
	s_waitcnt lgkmcnt(0)
	v_dual_max_f32 v1, v1, v1 :: v_dual_max_f32 v0, v0, v0
	s_delay_alu instid0(VALU_DEP_1)
	v_max_f32_e32 v0, v0, v1
	ds_store_b32 v4, v0 offset:1024
.LBB287_2059:
	s_or_b32 exec_lo, exec_lo, s1
	scratch_load_b32 v0, off, s32 offset:3064 ; 4-byte Folded Reload
	s_waitcnt vmcnt(0) lgkmcnt(0)
	s_waitcnt_vscnt null, 0x0
	s_barrier
	buffer_gl0_inv
	v_cmp_gt_u32_e64 s1, 4, v0
	v_mov_b32_e32 v0, 0xff7fffff
	s_delay_alu instid0(VALU_DEP_2)
	s_and_saveexec_b32 s2, s1
	s_cbranch_execz .LBB287_2061
; %bb.2060:
	scratch_load_b32 v0, off, s32 offset:3100 ; 4-byte Folded Reload
	s_waitcnt vmcnt(0)
	ds_load_b32 v0, v0 offset:1024
.LBB287_2061:
	s_or_b32 exec_lo, exec_lo, s2
	scratch_load_b32 v5, off, s32 offset:1680 ; 4-byte Folded Reload
	s_waitcnt lgkmcnt(0)
	ds_bpermute_b32 v1, v131, v0
	s_waitcnt lgkmcnt(0)
	v_dual_max_f32 v0, v0, v0 :: v_dual_max_f32 v1, v1, v1
	s_delay_alu instid0(VALU_DEP_1)
	v_max_f32_e32 v0, v0, v1
	s_waitcnt vmcnt(0)
	v_subrev_nc_u32_e32 v6, s13, v5
	v_mov_b32_e32 v5, 0
	ds_bpermute_b32 v1, v148, v0
	s_waitcnt lgkmcnt(0)
	v_max_f32_e32 v1, v1, v1
	s_delay_alu instid0(VALU_DEP_1)
	v_max_f32_e32 v0, v0, v1
	v_lshl_add_u32 v1, v6, 5, s17
	scratch_load_b32 v6, off, s32 offset:1664 ; 4-byte Folded Reload
	ds_bpermute_b32 v0, v5, v0
	s_waitcnt vmcnt(0)
	v_min_i32_e32 v1, v1, v6
	s_delay_alu instid0(VALU_DEP_1) | instskip(NEXT) | instid1(VALU_DEP_1)
	v_subrev_nc_u32_e32 v1, s17, v1
	v_cmp_lt_i32_e64 s2, v9, v1
	s_delay_alu instid0(VALU_DEP_1)
	s_and_saveexec_b32 s9, s2
	s_cbranch_execz .LBB287_2065
; %bb.2062:
	s_getpc_b64 s[18:19]
	s_add_u32 s18, s18, llvm.amdgcn.dynlds.offset.table@rel32@lo+4
	s_addc_u32 s19, s19, llvm.amdgcn.dynlds.offset.table@rel32@hi+12
	s_ashr_i32 s11, s10, 31
	v_mov_b32_e32 v5, 0
	s_lshl_b64 s[20:21], s[10:11], 2
	v_mov_b32_e32 v7, v9
	s_add_u32 s18, s20, s18
	s_addc_u32 s19, s21, s19
	s_mov_b32 s11, 0
	s_load_b32 s3, s[18:19], 0x0
	s_waitcnt lgkmcnt(0)
	v_lshl_add_u32 v6, v9, 2, s3
	.p2align	6
.LBB287_2063:                           ; =>This Inner Loop Header: Depth=1
	ds_load_b32 v8, v6
	v_add_nc_u32_e32 v7, 0x80, v7
	s_delay_alu instid0(VALU_DEP_1) | instskip(NEXT) | instid1(VALU_DEP_1)
	v_cmp_ge_i32_e64 s3, v7, v1
	s_or_b32 s11, s3, s11
	s_waitcnt lgkmcnt(0)
	v_sub_f32_e32 v8, v8, v0
	s_delay_alu instid0(VALU_DEP_1) | instskip(NEXT) | instid1(VALU_DEP_1)
	v_mul_f32_e32 v8, 0x3fb8aa3b, v8
	v_exp_f32_e32 v8, v8
	ds_store_b32 v6, v8
	v_dual_add_f32 v5, v5, v8 :: v_dual_add_nc_u32 v6, 0x200, v6
	s_and_not1_b32 exec_lo, exec_lo, s11
	s_cbranch_execnz .LBB287_2063
; %bb.2064:
	s_or_b32 exec_lo, exec_lo, s11
.LBB287_2065:
	s_delay_alu instid0(SALU_CYCLE_1)
	s_or_b32 exec_lo, exec_lo, s9
	ds_bpermute_b32 v2, v2, v5
	s_waitcnt lgkmcnt(0)
	v_add_f32_e32 v2, v5, v2
	ds_bpermute_b32 v3, v3, v2
	s_waitcnt lgkmcnt(0)
	v_add_f32_e32 v2, v2, v3
	;; [unrolled: 3-line block ×5, first 2 shown]
	s_and_saveexec_b32 s3, vcc_lo
	s_cbranch_execz .LBB287_2067
; %bb.2066:
	ds_store_b32 v4, v2 offset:1040
.LBB287_2067:
	s_or_b32 exec_lo, exec_lo, s3
	s_waitcnt lgkmcnt(0)
	s_barrier
	buffer_gl0_inv
	s_and_saveexec_b32 s3, s1
	s_cbranch_execz .LBB287_2069
; %bb.2068:
	scratch_load_b32 v2, off, s32 offset:3100 ; 4-byte Folded Reload
	s_waitcnt vmcnt(0)
	ds_load_b32 v2, v2 offset:1040
.LBB287_2069:
	s_or_b32 exec_lo, exec_lo, s3
	s_waitcnt lgkmcnt(0)
	ds_bpermute_b32 v3, v131, v2
	s_waitcnt lgkmcnt(0)
	v_add_f32_e32 v2, v2, v3
	ds_bpermute_b32 v3, v148, v2
	s_waitcnt lgkmcnt(0)
	v_dual_add_f32 v2, v2, v3 :: v_dual_mov_b32 v3, 0
	ds_bpermute_b32 v2, v3, v2
	s_and_saveexec_b32 s1, s2
	s_cbranch_execz .LBB287_2072
; %bb.2070:
	s_waitcnt lgkmcnt(0)
	v_add_f32_e32 v4, 0x358637bd, v2
	s_getpc_b64 s[2:3]
	s_add_u32 s2, s2, llvm.amdgcn.dynlds.offset.table@rel32@lo+4
	s_addc_u32 s3, s3, llvm.amdgcn.dynlds.offset.table@rel32@hi+12
	s_ashr_i32 s11, s10, 31
	s_delay_alu instid0(SALU_CYCLE_1) | instskip(SKIP_4) | instid1(VALU_DEP_1)
	s_lshl_b64 s[18:19], s[10:11], 2
	v_div_scale_f32 v3, null, v4, v4, 1.0
	s_add_u32 s2, s18, s2
	s_addc_u32 s3, s19, s3
	s_load_b32 s2, s[2:3], 0x0
	v_rcp_f32_e32 v5, v3
	s_waitcnt_depctr 0xfff
	v_fma_f32 v6, -v3, v5, 1.0
	s_delay_alu instid0(VALU_DEP_1) | instskip(SKIP_1) | instid1(VALU_DEP_1)
	v_fmac_f32_e32 v5, v6, v5
	v_div_scale_f32 v7, vcc_lo, 1.0, v4, 1.0
	v_mul_f32_e32 v6, v7, v5
	s_delay_alu instid0(VALU_DEP_1) | instskip(NEXT) | instid1(VALU_DEP_1)
	v_fma_f32 v8, -v3, v6, v7
	v_fmac_f32_e32 v6, v8, v5
	s_delay_alu instid0(VALU_DEP_1) | instskip(NEXT) | instid1(VALU_DEP_1)
	v_fma_f32 v3, -v3, v6, v7
	v_div_fmas_f32 v5, v3, v5, v6
	s_waitcnt lgkmcnt(0)
	v_lshl_add_u32 v3, v9, 2, s2
	s_mov_b32 s2, 0
	s_delay_alu instid0(VALU_DEP_2)
	v_div_fixup_f32 v4, v5, v4, 1.0
	v_mov_b32_e32 v5, v9
.LBB287_2071:                           ; =>This Inner Loop Header: Depth=1
	ds_load_b32 v6, v3
	s_waitcnt lgkmcnt(0)
	v_dual_mul_f32 v6, v4, v6 :: v_dual_add_nc_u32 v5, 0x80, v5
	s_delay_alu instid0(VALU_DEP_1) | instskip(SKIP_3) | instid1(SALU_CYCLE_1)
	v_cmp_ge_i32_e32 vcc_lo, v5, v1
	ds_store_b32 v3, v6
	v_add_nc_u32_e32 v3, 0x200, v3
	s_or_b32 s2, vcc_lo, s2
	s_and_not1_b32 exec_lo, exec_lo, s2
	s_cbranch_execnz .LBB287_2071
.LBB287_2072:
	s_or_b32 exec_lo, exec_lo, s1
	v_cmp_ne_u16_e64 s1, s8, 0
	v_cmp_eq_u32_e32 vcc_lo, 0, v9
	s_waitcnt lgkmcnt(0)
	s_barrier
	buffer_gl0_inv
	s_cmp_lg_u32 s1, 0
	s_addc_u32 s7, s7, 0
	s_mov_b32 s1, exec_lo
	scratch_load_b32 v1, off, s32 offset:3124 ; 4-byte Folded Reload
	s_and_b32 s2, s1, vcc_lo
	s_delay_alu instid0(SALU_CYCLE_1)
	s_mov_b32 exec_lo, s2
	s_cbranch_execz .LBB287_2074
; %bb.2073:
	scratch_load_b32 v3, off, s32 offset:3096 ; 4-byte Folded Reload
	s_mul_i32 s3, s7, s4
	s_mul_i32 s2, s7, s12
	;; [unrolled: 1-line block ×3, first 2 shown]
	s_ashr_i32 s3, s2, 31
	s_ashr_i32 s15, s14, 31
	;; [unrolled: 1-line block ×3, first 2 shown]
	s_lshl_b64 s[2:3], s[2:3], 2
	s_lshl_b64 s[12:13], s[14:15], 2
	;; [unrolled: 1-line block ×3, first 2 shown]
	s_add_u32 s2, s12, s2
	s_addc_u32 s3, s13, s3
	s_add_u32 s2, s2, s8
	s_addc_u32 s3, s3, s9
	s_waitcnt vmcnt(0)
	v_add_co_u32 v3, vcc_lo, s2, v3
	v_add_co_ci_u32_e32 v4, vcc_lo, s3, v1, vcc_lo
	scratch_load_b32 v1, off, s32 offset:3140 ; 4-byte Folded Reload
	s_waitcnt vmcnt(0)
	v_add_co_u32 v5, vcc_lo, s2, v1
	scratch_load_b32 v1, off, s32 offset:3136 ; 4-byte Folded Reload
	s_waitcnt vmcnt(0)
	v_add_co_ci_u32_e32 v6, vcc_lo, s3, v1, vcc_lo
	flat_store_b32 v[3:4], v0
	flat_store_b32 v[5:6], v2
.LBB287_2074:
	s_or_b32 exec_lo, exec_lo, s1
                                        ; implicit-def: $sgpr1
	s_and_saveexec_b32 s2, s0
	s_delay_alu instid0(SALU_CYCLE_1)
	s_xor_b32 s0, exec_lo, s2
	s_cbranch_execz .LBB287_2076
; %bb.2075:
                                        ; implicit-def: $vgpr0
                                        ; kill: killed $vgpr0
	s_ashr_i32 s11, s10, 31
                                        ; implicit-def: $vgpr0
                                        ; kill: killed $vgpr0
	s_mov_b32 s1, 0
                                        ; implicit-def: $vgpr0
                                        ; kill: killed $vgpr0
                                        ; implicit-def: $vgpr0
	s_waitcnt vmcnt(0)
	scratch_store_b64 off, v[0:1], s32 offset:1668 ; 8-byte Folded Spill
                                        ; implicit-def: $vgpr0
                                        ; kill: killed $vgpr0
                                        ; implicit-def: $vgpr0
                                        ; kill: killed $vgpr0
	;; [unrolled: 2-line block ×5, first 2 shown]
                                        ; implicit-def: $vgpr0_vgpr1
                                        ; kill: killed $vgpr0_vgpr1
                                        ; implicit-def: $vgpr0
                                        ; kill: killed $vgpr0
                                        ; implicit-def: $vgpr0
                                        ; kill: killed $vgpr0
                                        ; implicit-def: $vgpr0_vgpr1
                                        ; kill: killed $vgpr0_vgpr1
                                        ; implicit-def: $vgpr0
                                        ; kill: killed $vgpr0
.LBB287_2076:
	s_or_saveexec_b32 s15, s0
	s_waitcnt vmcnt(0)
	v_dual_mov_b32 v0, s10 :: v_dual_and_b32 v149, 7, v9
	v_dual_mov_b32 v16, s1 :: v_dual_mov_b32 v1, s11
	v_dual_mov_b32 v19, s1 :: v_dual_mov_b32 v18, s1
	;; [unrolled: 1-line block ×31, first 2 shown]
	v_mov_b32_e32 v117, s1
	v_mov_b32_e32 v129, s1
	;; [unrolled: 1-line block ×3, first 2 shown]
	s_xor_b32 exec_lo, exec_lo, s15
	s_cbranch_execz .LBB287_4128
; %bb.2077:
	s_clause 0x2
	scratch_store_b32 off, v115, s32 offset:2916
	scratch_store_b32 off, v131, s32 offset:2900
	;; [unrolled: 1-line block ×3, first 2 shown]
	scratch_load_b64 v[0:1], off, s32 offset:3080 ; 8-byte Folded Reload
	v_dual_mov_b32 v4, 0 :: v_dual_mov_b32 v135, 0
	v_dual_mov_b32 v9, 0 :: v_dual_lshlrev_b32 v2, 2, v9
	s_ashr_i32 s11, s10, 31
	s_getpc_b64 s[0:1]
	s_add_u32 s0, s0, llvm.amdgcn.dynlds.offset.table@rel32@lo+4
	s_addc_u32 s1, s1, llvm.amdgcn.dynlds.offset.table@rel32@hi+12
	s_lshl_b64 s[2:3], s[10:11], 2
	v_or_b32_e32 v6, 0xf80, v2
	s_add_u32 s0, s2, s0
	s_addc_u32 s1, s3, s1
	v_dual_mov_b32 v114, 0 :: v_dual_mov_b32 v151, 0
	v_dual_mov_b32 v144, 0 :: v_dual_mov_b32 v65, 0
	;; [unrolled: 1-line block ×11, first 2 shown]
	v_mov_b32_e32 v48, 0
	v_mov_b32_e32 v52, 0
	;; [unrolled: 1-line block ×10, first 2 shown]
	s_mov_b32 s8, 0
	s_brev_b32 s9, 1
	s_mov_b32 s13, 0x7f800001
	v_dual_mov_b32 v128, 0 :: v_dual_mov_b32 v99, 0
	v_mov_b32_e32 v113, 0
	v_mov_b32_e32 v97, 0
	;; [unrolled: 1-line block ×12, first 2 shown]
	v_and_b32_e32 v5, 0x7c, v2
	s_waitcnt vmcnt(0)
	flat_load_b32 v139, v[0:1]
	s_clause 0x1
	scratch_load_b32 v0, off, s32 offset:3092
	scratch_load_b32 v1, off, s32 offset:3128
	s_waitcnt vmcnt(2) lgkmcnt(0)
	v_mov_b32_e32 v138, v139
	s_waitcnt vmcnt(0)
	v_add_co_u32 v0, vcc_lo, v0, v1
	s_clause 0x1
	scratch_load_b32 v1, off, s32 offset:3088
	scratch_load_b32 v3, off, s32 offset:3132
	scratch_store_b32 off, v4, s32 offset:1656 ; 4-byte Folded Spill
	v_mov_b32_e32 v4, 0
	s_load_b32 s0, s[0:1], 0x0
	scratch_store_b32 off, v4, s32 offset:1660 ; 4-byte Folded Spill
	v_mov_b32_e32 v4, 0
	scratch_store_b32 off, v4, s32 offset:1684 ; 4-byte Folded Spill
	v_mov_b32_e32 v4, 0
	s_clause 0x1
	scratch_store_b32 off, v149, s32 offset:2932
	scratch_store_b32 off, v4, s32 offset:1688
	v_mov_b32_e32 v4, 0
	scratch_store_b32 off, v4, s32 offset:1696 ; 4-byte Folded Spill
	v_mov_b32_e32 v4, 0
	scratch_store_b32 off, v4, s32 offset:1700 ; 4-byte Folded Spill
	;; [unrolled: 2-line block ×13, first 2 shown]
	v_and_b32_e32 v4, 28, v2
	v_or_b32_e32 v2, 0x1f80, v2
	scratch_store_b32 off, v6, s32 offset:2356 ; 4-byte Folded Spill
	scratch_load_b64 v[6:7], off, s32 offset:3116 ; 8-byte Folded Reload
	scratch_store_b32 off, v2, s32 offset:2372 ; 4-byte Folded Spill
	scratch_load_b32 v2, off, s32 offset:3068 ; 4-byte Folded Reload
	s_waitcnt vmcnt(2)
	v_add_co_ci_u32_e32 v1, vcc_lo, v1, v3, vcc_lo
	v_lshlrev_b32_e32 v3, 4, v149
	scratch_store_b64 off, v[0:1], s32 offset:2308 ; 8-byte Folded Spill
	scratch_load_b32 v0, off, s32 offset:3144 ; 4-byte Folded Reload
	s_waitcnt vmcnt(1)
	v_lshl_or_b32 v2, v2, 7, v3
	v_or_b32_e32 v3, 0x1000, v5
	scratch_store_b32 off, v3, s32 offset:2388 ; 4-byte Folded Spill
	v_or_b32_e32 v3, 0x1080, v5
	scratch_store_b32 off, v3, s32 offset:2404 ; 4-byte Folded Spill
	;; [unrolled: 2-line block ×29, first 2 shown]
	v_or_b32_e32 v3, 0x1e80, v5
	s_waitcnt vmcnt(0)
	v_add_nc_u32_e32 v0, -1, v0
	scratch_store_b32 off, v0, s32 offset:2324 ; 4-byte Folded Spill
	scratch_load_b64 v[0:1], off, s32 offset:1668 ; 8-byte Folded Reload
	s_clause 0x1
	scratch_store_b32 off, v3, s32 offset:2852
	scratch_store_b32 off, v5, s32 offset:2340
	v_or_b32_e32 v3, 0x1f00, v5
	s_waitcnt lgkmcnt(0)
	v_add_nc_u32_e32 v5, s0, v2
	scratch_store_b32 off, v3, s32 offset:2868 ; 4-byte Folded Spill
	scratch_load_b32 v3, off, s32 offset:3112 ; 4-byte Folded Reload
	s_waitcnt vmcnt(1)
	v_lshlrev_b64 v[0:1], 2, v[0:1]
	s_delay_alu instid0(VALU_DEP_1) | instskip(NEXT) | instid1(VALU_DEP_2)
	v_add_co_u32 v0, vcc_lo, v6, v0
	v_add_co_ci_u32_e32 v1, vcc_lo, v7, v1, vcc_lo
	s_waitcnt vmcnt(0)
	v_add3_u32 v85, s17, v3, v4
	scratch_load_b32 v3, off, s32 offset:3076 ; 4-byte Folded Reload
	s_mov_b32 s17, s8
	s_waitcnt vmcnt(0)
	v_add_co_u32 v0, vcc_lo, v3, v0
	scratch_load_b32 v3, off, s32 offset:3072 ; 4-byte Folded Reload
	s_waitcnt vmcnt(0)
	v_add_co_ci_u32_e32 v1, vcc_lo, v3, v1, vcc_lo
	s_branch .LBB287_2082
.LBB287_2078:                           ;   in Loop: Header=BB287_2082 Depth=1
	s_or_b32 exec_lo, exec_lo, s3
	v_lshlrev_b32_e32 v8, 24, v39
	s_delay_alu instid0(VALU_DEP_2) | instskip(SKIP_1) | instid1(VALU_DEP_3)
	v_dual_mov_b32 v54, v9 :: v_dual_lshlrev_b32 v39, 20, v54
	v_lshl_add_u32 v38, v38, 23, 0x3c000000
	v_and_b32_e32 v8, 0x80000000, v8
	s_delay_alu instid0(VALU_DEP_1)
	v_or3_b32 v55, v39, v8, v38
.LBB287_2079:                           ;   in Loop: Header=BB287_2082 Depth=1
	s_or_b32 exec_lo, exec_lo, s2
.LBB287_2080:                           ;   in Loop: Header=BB287_2082 Depth=1
	s_delay_alu instid0(SALU_CYCLE_1)
	s_or_b32 exec_lo, exec_lo, s1
.LBB287_2081:                           ;   in Loop: Header=BB287_2082 Depth=1
	s_delay_alu instid0(SALU_CYCLE_1)
	s_or_b32 exec_lo, exec_lo, s0
	v_or_b32_e32 v8, v117, v135
	v_or_b32_e32 v163, v58, v172
	;; [unrolled: 1-line block ×5, first 2 shown]
	scratch_store_b32 off, v8, s32 offset:1964 ; 4-byte Folded Spill
	v_or_b32_e32 v8, v76, v126
	v_or_b32_e32 v71, v17, v101
	;; [unrolled: 1-line block ×5, first 2 shown]
	scratch_store_b32 off, v8, s32 offset:1976 ; 4-byte Folded Spill
	v_or_b32_e32 v8, v119, v99
	v_or_b32_e32 v99, v141, v153
	v_dual_mul_f32 v39, v139, v39 :: v_dual_add_nc_u32 v134, 3, v85
	scratch_store_b32 off, v8, s32 offset:1972 ; 4-byte Folded Spill
	v_or_b32_e32 v8, v11, v131
	scratch_store_b32 off, v8, s32 offset:1968 ; 4-byte Folded Spill
	v_or_b32_e32 v8, v10, v130
	;; [unrolled: 2-line block ×3, first 2 shown]
	v_or_b32_e32 v103, v160, v150
	v_or_b32_e32 v160, v14, v108
	;; [unrolled: 1-line block ×3, first 2 shown]
	scratch_store_b32 off, v8, s32 offset:1992 ; 4-byte Folded Spill
	v_or_b32_e32 v8, v40, v102
	v_or_b32_e32 v102, v49, v95
	;; [unrolled: 1-line block ×3, first 2 shown]
	scratch_store_b32 off, v8, s32 offset:1984 ; 4-byte Folded Spill
	v_or_b32_e32 v8, v45, v115
	scratch_store_b32 off, v8, s32 offset:1980 ; 4-byte Folded Spill
	v_or_b32_e32 v8, v44, v114
	;; [unrolled: 2-line block ×7, first 2 shown]
	v_or_b32_e32 v65, v96, v24
	v_or_b32_e32 v96, v33, v157
	scratch_store_b32 off, v8, s32 offset:2080 ; 4-byte Folded Spill
	v_or_b32_e32 v8, v64, v20
	v_or_b32_e32 v64, v189, v89
	scratch_store_b32 off, v8, s32 offset:2032 ; 4-byte Folded Spill
	v_or_b32_e32 v8, v69, v37
	v_or_b32_e32 v37, v184, v62
	v_or_b32_e32 v69, v136, v80
	scratch_store_b32 off, v8, s32 offset:2020 ; 4-byte Folded Spill
	v_or_b32_e32 v8, v68, v36
	v_or_b32_e32 v36, v125, v23
	;; [unrolled: 1-line block ×4, first 2 shown]
	scratch_store_b32 off, v8, s32 offset:2144 ; 4-byte Folded Spill
	v_or_b32_e32 v8, v51, v175
	v_or_b32_e32 v51, v59, v173
	v_mul_f32_e32 v23, v139, v23
	scratch_store_b32 off, v8, s32 offset:2064 ; 4-byte Folded Spill
	v_or_b32_e32 v8, v50, v174
	scratch_store_b32 off, v8, s32 offset:2024 ; 4-byte Folded Spill
	v_or_b32_e32 v8, v53, v191
	v_or_b32_e32 v53, v185, v63
	scratch_store_b32 off, v8, s32 offset:2016 ; 4-byte Folded Spill
	v_or_b32_e32 v8, v52, v190
	;; [unrolled: 3-line block ×3, first 2 shown]
	scratch_store_b32 off, v8, s32 offset:2160 ; 4-byte Folded Spill
	v_or_b32_e32 v8, v158, v182
	scratch_store_b32 off, v8, s32 offset:2112 ; 4-byte Folded Spill
	v_or_b32_e32 v8, v165, v43
	;; [unrolled: 2-line block ×6, first 2 shown]
	v_or_b32_e32 v27, v15, v109
	scratch_store_b32 off, v8, s32 offset:2176 ; 4-byte Folded Spill
	v_or_b32_e32 v8, v18, v26
	v_or_b32_e32 v26, v124, v22
	scratch_store_b32 off, v8, s32 offset:2272 ; 4-byte Folded Spill
	v_or_b32_e32 v8, v145, v147
	v_or_b32_e32 v147, v46, v168
	;; [unrolled: 1-line block ×4, first 2 shown]
	scratch_store_b32 off, v8, s32 offset:2288 ; 4-byte Folded Spill
	v_or_b32_e32 v8, v144, v146
	v_or_b32_e32 v146, v111, v113
	;; [unrolled: 1-line block ×6, first 2 shown]
	scratch_load_b64 v[6:7], off, s32 offset:1576 ; 8-byte Folded Reload
	scratch_store_b32 off, v8, s32 offset:2256 ; 4-byte Folded Spill
	v_or_b32_e32 v8, v161, v151
	v_or_b32_e32 v144, v97, v25
	;; [unrolled: 1-line block ×5, first 2 shown]
	scratch_store_b32 off, v8, s32 offset:2240 ; 4-byte Folded Spill
	v_or_b32_e32 v8, v107, v93
	v_mul_f32_e32 v113, v139, v113
	v_mul_f32_e32 v35, v139, v35
	scratch_store_b32 off, v8, s32 offset:2292 ; 4-byte Folded Spill
	s_waitcnt vmcnt(0)
	v_or_b32_e32 v133, v133, v7
	v_or_b32_e32 v132, v132, v6
	scratch_load_b64 v[6:7], off, s32 offset:1584 ; 8-byte Folded Reload
	v_mul_f32_e32 v26, v139, v26
	s_waitcnt vmcnt(0)
	v_or_b32_e32 v25, v149, v7
	v_or_b32_e32 v161, v148, v6
	scratch_load_b64 v[6:7], off, s32 offset:1560 ; 8-byte Folded Reload
	v_mul_f32_e32 v25, v138, v25
	s_waitcnt vmcnt(0)
	v_or_b32_e32 v166, v61, v7
	v_or_b32_e32 v149, v60, v6
	scratch_load_b64 v[6:7], off, s32 offset:1568 ; 8-byte Folded Reload
	s_waitcnt vmcnt(0)
	v_or_b32_e32 v148, v73, v7
	v_or_b32_e32 v179, v72, v6
	scratch_load_b64 v[6:7], off, s32 offset:1544 ; 8-byte Folded Reload
	;; [unrolled: 4-line block ×9, first 2 shown]
	v_mul_f32_e32 v29, v139, v29
	s_waitcnt vmcnt(0)
	v_or_b32_e32 v28, v187, v5
	v_or_b32_e32 v41, v186, v4
	s_clause 0x1
	scratch_load_b64 v[4:5], off, s32 offset:1472
	scratch_load_b64 v[6:7], off, s32 offset:1480
	v_dual_mul_f32 v19, v139, v19 :: v_dual_mul_f32 v28, v138, v28
	s_waitcnt vmcnt(0)
	v_or_b32_e32 v43, v5, v7
	v_or_b32_e32 v40, v4, v6
	scratch_load_b64 v[4:5], off, s32 offset:1488 ; 8-byte Folded Reload
	s_waitcnt vmcnt(0)
	v_or_b32_e32 v182, v171, v5
	v_or_b32_e32 v47, v170, v4
	s_clause 0x1
	scratch_load_b64 v[4:5], off, s32 offset:1448
	scratch_load_b64 v[6:7], off, s32 offset:1456
	s_waitcnt vmcnt(0)
	v_or_b32_e32 v42, v5, v7
	v_or_b32_e32 v183, v4, v6
	s_clause 0x1
	scratch_load_b64 v[4:5], off, s32 offset:1648
	scratch_load_b64 v[6:7], off, s32 offset:1464
	s_waitcnt vmcnt(0)
	v_or_b32_e32 v176, v5, v7
	v_or_b32_e32 v46, v4, v6
	s_clause 0x1
	scratch_load_b64 v[4:5], off, s32 offset:1424
	scratch_load_b64 v[6:7], off, s32 offset:1432
	s_waitcnt vmcnt(0)
	v_or_b32_e32 v56, v5, v7
	v_or_b32_e32 v45, v4, v6
	s_clause 0x1
	scratch_load_b64 v[4:5], off, s32 offset:1640
	scratch_load_b64 v[6:7], off, s32 offset:1440
	s_waitcnt vmcnt(0)
	v_or_b32_e32 v44, v5, v7
	v_or_b32_e32 v59, v4, v6
	s_clause 0x1
	scratch_load_b64 v[4:5], off, s32 offset:1400
	scratch_load_b64 v[6:7], off, s32 offset:1408
	s_waitcnt vmcnt(0)
	v_or_b32_e32 v60, v5, v7
	v_or_b32_e32 v58, v4, v6
	s_clause 0x1
	scratch_load_b64 v[4:5], off, s32 offset:1632
	scratch_load_b64 v[6:7], off, s32 offset:1416
	s_waitcnt vmcnt(0)
	v_or_b32_e32 v57, v5, v7
	v_or_b32_e32 v63, v4, v6
	s_clause 0x1
	scratch_load_b64 v[4:5], off, s32 offset:1376
	scratch_load_b64 v[6:7], off, s32 offset:1384
	s_waitcnt vmcnt(0)
	v_or_b32_e32 v72, v5, v7
	v_or_b32_e32 v62, v4, v6
	s_clause 0x1
	scratch_load_b64 v[4:5], off, s32 offset:1624
	scratch_load_b64 v[6:7], off, s32 offset:1392
	s_waitcnt vmcnt(0)
	v_or_b32_e32 v61, v5, v7
	v_or_b32_e32 v77, v4, v6
	s_clause 0x1
	scratch_load_b64 v[4:5], off, s32 offset:1352
	scratch_load_b64 v[6:7], off, s32 offset:1360
	s_waitcnt vmcnt(0)
	v_or_b32_e32 v79, v5, v7
	v_or_b32_e32 v76, v4, v6
	s_clause 0x1
	scratch_load_b64 v[4:5], off, s32 offset:1616
	scratch_load_b64 v[6:7], off, s32 offset:1368
	s_waitcnt vmcnt(0)
	v_or_b32_e32 v74, v5, v7
	v_or_b32_e32 v91, v4, v6
	s_clause 0x1
	scratch_load_b64 v[4:5], off, s32 offset:1328
	scratch_load_b64 v[6:7], off, s32 offset:1336
	s_waitcnt vmcnt(0)
	v_or_b32_e32 v78, v5, v7
	v_or_b32_e32 v75, v4, v6
	s_clause 0x1
	scratch_load_b64 v[4:5], off, s32 offset:1608
	scratch_load_b64 v[6:7], off, s32 offset:1344
	s_waitcnt vmcnt(0)
	v_or_b32_e32 v73, v5, v7
	v_or_b32_e32 v90, v4, v6
	s_clause 0x1
	scratch_load_b64 v[4:5], off, s32 offset:1304
	scratch_load_b64 v[6:7], off, s32 offset:1312
	s_waitcnt vmcnt(0)
	v_or_b32_e32 v92, v5, v7
	v_or_b32_e32 v89, v4, v6
	s_clause 0x1
	scratch_load_b64 v[4:5], off, s32 offset:1600
	scratch_load_b64 v[6:7], off, s32 offset:1320
	s_waitcnt vmcnt(0)
	v_or_b32_e32 v88, v5, v7
	v_or_b32_e32 v95, v4, v6
	s_clause 0x1
	scratch_load_b64 v[4:5], off, s32 offset:1272
	scratch_load_b64 v[6:7], off, s32 offset:1280
	s_waitcnt vmcnt(0)
	v_or_b32_e32 v104, v5, v7
	v_or_b32_e32 v94, v4, v6
	s_clause 0x1
	scratch_load_b64 v[4:5], off, s32 offset:1288
	scratch_load_b64 v[6:7], off, s32 offset:1296
	s_waitcnt vmcnt(0)
	v_or_b32_e32 v93, v5, v7
	v_or_b32_e32 v107, v4, v6
	s_clause 0x1
	scratch_load_b64 v[4:5], off, s32 offset:1240
	scratch_load_b64 v[6:7], off, s32 offset:1248
	s_waitcnt vmcnt(0)
	v_or_b32_e32 v108, v5, v7
	v_or_b32_e32 v106, v4, v6
	s_clause 0x1
	scratch_load_b64 v[4:5], off, s32 offset:1256
	scratch_load_b64 v[6:7], off, s32 offset:1264
	s_waitcnt vmcnt(0)
	v_or_b32_e32 v105, v5, v7
	v_or_b32_e32 v121, v4, v6
	s_clause 0x1
	scratch_load_b64 v[4:5], off, s32 offset:1208
	scratch_load_b64 v[6:7], off, s32 offset:1216
	s_waitcnt vmcnt(0)
	v_or_b32_e32 v123, v5, v7
	v_or_b32_e32 v120, v4, v6
	s_clause 0x1
	scratch_load_b64 v[4:5], off, s32 offset:1224
	scratch_load_b64 v[6:7], off, s32 offset:1232
	s_waitcnt vmcnt(0)
	v_or_b32_e32 v110, v5, v7
	v_or_b32_e32 v127, v4, v6
	s_clause 0x1
	scratch_load_b64 v[4:5], off, s32 offset:1176
	scratch_load_b64 v[6:7], off, s32 offset:1184
	s_waitcnt vmcnt(0)
	v_or_b32_e32 v122, v5, v7
	v_or_b32_e32 v111, v4, v6
	s_clause 0x1
	scratch_load_b64 v[4:5], off, s32 offset:1192
	scratch_load_b64 v[6:7], off, s32 offset:1200
	s_waitcnt vmcnt(0)
	v_or_b32_e32 v109, v5, v7
	v_or_b32_e32 v126, v4, v6
	s_clause 0x1
	scratch_load_b64 v[4:5], off, s32 offset:1144
	scratch_load_b64 v[6:7], off, s32 offset:1152
	s_waitcnt vmcnt(0)
	v_or_b32_e32 v136, v5, v7
	v_or_b32_e32 v125, v4, v6
	s_clause 0x1
	scratch_load_b64 v[4:5], off, s32 offset:1160
	scratch_load_b64 v[6:7], off, s32 offset:1168
	s_waitcnt vmcnt(0)
	v_or_b32_e32 v124, v5, v7
	v_or_b32_e32 v141, v4, v6
	s_clause 0x1
	scratch_load_b64 v[4:5], off, s32 offset:1112
	scratch_load_b64 v[6:7], off, s32 offset:1120
	s_waitcnt vmcnt(0)
	v_or_b32_e32 v142, v5, v7
	v_or_b32_e32 v140, v4, v6
	s_clause 0x1
	scratch_load_b64 v[4:5], off, s32 offset:1128
	scratch_load_b64 v[6:7], off, s32 offset:1136
	s_waitcnt vmcnt(0)
	v_or_b32_e32 v137, v5, v7
	v_or_b32_e32 v153, v4, v6
	s_clause 0x1
	scratch_load_b64 v[4:5], off, s32 offset:1080
	scratch_load_b64 v[6:7], off, s32 offset:1088
	s_waitcnt vmcnt(0)
	v_or_b32_e32 v154, v5, v7
	v_or_b32_e32 v152, v4, v6
	s_clause 0x1
	scratch_load_b64 v[4:5], off, s32 offset:1096
	scratch_load_b64 v[6:7], off, s32 offset:1104
	s_waitcnt vmcnt(0)
	v_or_b32_e32 v143, v5, v7
	v_or_b32_e32 v159, v4, v6
	s_clause 0x1
	scratch_load_b64 v[4:5], off, s32 offset:1048
	scratch_load_b64 v[6:7], off, s32 offset:1056
	s_waitcnt vmcnt(0)
	v_or_b32_e32 v169, v5, v7
	v_or_b32_e32 v158, v4, v6
	s_clause 0x1
	scratch_load_b64 v[4:5], off, s32 offset:1064
	scratch_load_b64 v[6:7], off, s32 offset:1072
	s_waitcnt vmcnt(0)
	v_or_b32_e32 v156, v5, v7
	v_or_b32_e32 v173, v4, v6
	s_clause 0x1
	scratch_load_b64 v[4:5], off, s32 offset:1016
	scratch_load_b64 v[6:7], off, s32 offset:1024
	s_waitcnt vmcnt(0)
	v_or_b32_e32 v168, v5, v7
	v_or_b32_e32 v157, v4, v6
	s_clause 0x1
	scratch_load_b64 v[4:5], off, s32 offset:1032
	scratch_load_b64 v[6:7], off, s32 offset:1040
	s_waitcnt vmcnt(0)
	v_or_b32_e32 v155, v5, v7
	v_or_b32_e32 v172, v4, v6
	s_clause 0x1
	scratch_load_b64 v[4:5], off, s32 offset:984
	scratch_load_b64 v[6:7], off, s32 offset:992
	s_waitcnt vmcnt(0)
	v_or_b32_e32 v174, v5, v7
	v_or_b32_e32 v171, v4, v6
	s_clause 0x1
	scratch_load_b64 v[4:5], off, s32 offset:1000
	scratch_load_b64 v[6:7], off, s32 offset:1008
	s_waitcnt vmcnt(0)
	v_or_b32_e32 v170, v5, v7
	v_or_b32_e32 v185, v4, v6
	s_clause 0x1
	scratch_load_b64 v[4:5], off, s32 offset:952
	scratch_load_b64 v[6:7], off, s32 offset:960
	s_waitcnt vmcnt(0)
	v_or_b32_e32 v186, v5, v7
	v_or_b32_e32 v184, v4, v6
	s_clause 0x1
	scratch_load_b64 v[4:5], off, s32 offset:968
	scratch_load_b64 v[6:7], off, s32 offset:976
	s_waitcnt vmcnt(0)
	v_or_b32_e32 v175, v5, v7
	v_or_b32_e32 v189, v4, v6
	s_clause 0x1
	scratch_load_b64 v[4:5], off, s32 offset:920
	scratch_load_b64 v[6:7], off, s32 offset:928
	s_waitcnt vmcnt(0)
	v_or_b32_e32 v190, v5, v7
	v_or_b32_e32 v188, v4, v6
	s_clause 0x1
	scratch_load_b64 v[4:5], off, s32 offset:936
	scratch_load_b64 v[6:7], off, s32 offset:944
	s_waitcnt vmcnt(0)
	v_or_b32_e32 v187, v5, v7
	v_or_b32_e32 v70, v4, v6
	s_clause 0x1
	scratch_load_b64 v[4:5], off, s32 offset:888
	scratch_load_b64 v[6:7], off, s32 offset:896
	s_waitcnt vmcnt(0)
	v_or_b32_e32 v32, v5, v7
	v_or_b32_e32 v101, v4, v6
	s_clause 0x1
	scratch_load_b64 v[4:5], off, s32 offset:904
	scratch_load_b64 v[6:7], off, s32 offset:912
	s_waitcnt vmcnt(0)
	v_or_b32_e32 v18, v5, v7
	v_or_b32_e32 v15, v4, v6
	s_clause 0x1
	scratch_load_b64 v[4:5], off, s32 offset:856
	scratch_load_b64 v[6:7], off, s32 offset:864
	v_dual_mul_f32 v18, v138, v18 :: v_dual_mul_f32 v15, v139, v15
	s_waitcnt vmcnt(0)
	v_or_b32_e32 v50, v5, v7
	v_or_b32_e32 v100, v4, v6
	s_clause 0x1
	scratch_load_b64 v[4:5], off, s32 offset:872
	scratch_load_b64 v[6:7], off, s32 offset:880
	s_waitcnt vmcnt(0)
	v_or_b32_e32 v191, v5, v7
	v_or_b32_e32 v17, v4, v6
	s_clause 0x1
	scratch_load_b64 v[4:5], off, s32 offset:824
	scratch_load_b64 v[6:7], off, s32 offset:832
	;; [unrolled: 6-line block ×4, first 2 shown]
	v_mul_f32_e32 v12, v139, v12
	s_waitcnt vmcnt(0)
	v_or_b32_e32 v11, v5, v7
	v_or_b32_e32 v13, v4, v6
	s_clause 0x1
	scratch_load_b64 v[4:5], off, s32 offset:808
	scratch_load_b64 v[6:7], off, s32 offset:816
	v_mul_f32_e32 v11, v138, v11
	s_waitcnt vmcnt(0)
	v_or_b32_e32 v14, v5, v7
	v_or_b32_e32 v7, v4, v6
	s_clause 0x1
	scratch_load_b64 v[4:5], off, s32 offset:760
	scratch_load_b64 v[33:34], off, s32 offset:768
	s_waitcnt vmcnt(0)
	v_or_b32_e32 v5, v5, v34
	v_or_b32_e32 v8, v4, v33
	s_clause 0x1
	scratch_load_b64 v[33:34], off, s32 offset:776
	scratch_load_b64 v[114:115], off, s32 offset:784
	v_mul_f32_e32 v8, v139, v8
	s_waitcnt vmcnt(0)
	v_or_b32_e32 v10, v34, v115
	v_or_b32_e32 v33, v33, v114
	s_clause 0x1
	scratch_load_b64 v[114:115], off, s32 offset:728
	scratch_load_b64 v[116:117], off, s32 offset:736
	s_waitcnt vmcnt(0)
	v_or_b32_e32 v34, v115, v117
	v_or_b32_e32 v162, v114, v116
	s_clause 0x1
	scratch_load_b64 v[114:115], off, s32 offset:744
	scratch_load_b64 v[116:117], off, s32 offset:752
	;; [unrolled: 6-line block ×3, first 2 shown]
	v_mul_f32_e32 v4, v138, v4
	s_waitcnt vmcnt(0)
	v_or_b32_e32 v38, v115, v117
	v_or_b32_e32 v84, v114, v116
	s_clause 0x1
	scratch_load_b64 v[114:115], off, s32 offset:712
	scratch_load_b64 v[116:117], off, s32 offset:720
	s_waitcnt vmcnt(0)
	v_or_b32_e32 v6, v115, v117
	v_or_b32_e32 v24, v114, v116
	s_clause 0x1
	scratch_load_b32 v114, off, s32 offset:1664
	scratch_load_b64 v[115:116], off, s32 offset:1668
	v_mul_f32_e32 v30, v138, v30
	v_mul_f32_e32 v6, v138, v6
	scratch_store_b32 off, v24, s32 offset:696 ; 4-byte Folded Spill
	v_mov_b32_e32 v24, v85
	s_delay_alu instid0(VALU_DEP_1)
	v_add_nc_u32_e32 v131, 2, v24
	s_waitcnt vmcnt(1)
	v_cmp_lt_i32_e64 s0, v134, v114
	s_waitcnt vmcnt(0)
	v_mov_b32_e32 v85, v115
	scratch_load_b32 v115, off, s32 offset:2324 ; 4-byte Folded Reload
	v_cmp_lt_i32_e64 s1, v131, v114
	v_cndmask_b32_e64 v134, 0, v30, s0
	s_waitcnt vmcnt(0)
	v_cmp_eq_u32_e32 vcc_lo, v115, v85
	scratch_load_b32 v115, off, s32 offset:1976 ; 4-byte Folded Reload
	v_mul_f32_e32 v112, v138, v112
	v_mul_f32_e32 v21, v138, v21
	v_dual_mul_f32 v7, v139, v7 :: v_dual_cndmask_b32 v30, v30, v134
	v_mul_f32_e32 v5, v138, v5
	s_waitcnt vmcnt(0)
	v_dual_mul_f32 v134, v139, v115 :: v_dual_add_nc_u32 v85, 4, v85
	scratch_load_b32 v115, off, s32 offset:1964 ; 4-byte Folded Reload
	v_cndmask_b32_e64 v131, 0, v134, s1
	s_delay_alu instid0(VALU_DEP_1) | instskip(SKIP_2) | instid1(VALU_DEP_2)
	v_cndmask_b32_e32 v131, v134, v131, vcc_lo
	v_add_nc_u32_e32 v119, 1, v24
	v_cmp_lt_i32_e64 s2, v24, v114
	v_cmp_lt_i32_e64 s3, v119, v114
	scratch_load_b32 v114, off, s32 offset:1988 ; 4-byte Folded Reload
	s_waitcnt vmcnt(1)
	v_mul_f32_e32 v134, v138, v115
	s_delay_alu instid0(VALU_DEP_1) | instskip(NEXT) | instid1(VALU_DEP_1)
	v_cndmask_b32_e64 v119, 0, v134, s3
	v_cndmask_b32_e32 v119, v134, v119, vcc_lo
	v_mul_f32_e32 v134, v139, v135
	s_delay_alu instid0(VALU_DEP_2) | instskip(NEXT) | instid1(VALU_DEP_2)
	v_mul_f32_e32 v119, v1, v119
	v_cndmask_b32_e64 v130, 0, v134, s2
	s_delay_alu instid0(VALU_DEP_1) | instskip(NEXT) | instid1(VALU_DEP_1)
	v_cndmask_b32_e32 v130, v134, v130, vcc_lo
	v_fmac_f32_e32 v119, v0, v130
	s_waitcnt vmcnt(0)
	v_mul_f32_e32 v130, v139, v114
	scratch_load_b32 v114, off, s32 offset:1972 ; 4-byte Folded Reload
	v_fmac_f32_e32 v119, v2, v131
	v_cndmask_b32_e64 v131, 0, v130, s1
	s_delay_alu instid0(VALU_DEP_1) | instskip(SKIP_4) | instid1(VALU_DEP_1)
	v_cndmask_b32_e32 v130, v130, v131, vcc_lo
	s_waitcnt vmcnt(0)
	v_mul_f32_e32 v131, v138, v114
	scratch_load_b32 v114, off, s32 offset:1968 ; 4-byte Folded Reload
	v_cndmask_b32_e64 v134, 0, v131, s3
	v_cndmask_b32_e32 v131, v131, v134, vcc_lo
	v_mul_f32_e32 v134, v139, v118
	v_fmac_f32_e32 v119, v3, v30
	scratch_load_b32 v30, off, s32 offset:1656 ; 4-byte Folded Reload
	v_mul_f32_e32 v131, v1, v131
	v_cndmask_b32_e64 v118, 0, v134, s2
	s_delay_alu instid0(VALU_DEP_1) | instskip(NEXT) | instid1(VALU_DEP_1)
	v_cndmask_b32_e32 v118, v134, v118, vcc_lo
	v_fmac_f32_e32 v131, v0, v118
	s_delay_alu instid0(VALU_DEP_1) | instskip(SKIP_4) | instid1(VALU_DEP_1)
	v_fmac_f32_e32 v131, v2, v130
	s_waitcnt vmcnt(1)
	v_mul_f32_e32 v118, v138, v114
	scratch_load_b32 v114, off, s32 offset:2004 ; 4-byte Folded Reload
	v_cndmask_b32_e64 v134, 0, v118, s0
	v_cndmask_b32_e32 v118, v118, v134, vcc_lo
	s_waitcnt vmcnt(1)
	v_add_f32_e32 v30, v30, v119
	scratch_store_b32 off, v30, s32 offset:1656 ; 4-byte Folded Spill
	scratch_load_b32 v30, off, s32 offset:1660 ; 4-byte Folded Reload
	s_waitcnt vmcnt(1)
	v_mul_f32_e32 v130, v139, v114
	scratch_load_b32 v114, off, s32 offset:1992 ; 4-byte Folded Reload
	v_cndmask_b32_e64 v134, 0, v130, s1
	s_delay_alu instid0(VALU_DEP_1) | instskip(SKIP_4) | instid1(VALU_DEP_1)
	v_cndmask_b32_e32 v130, v130, v134, vcc_lo
	s_waitcnt vmcnt(0)
	v_mul_f32_e32 v134, v138, v114
	scratch_load_b32 v114, off, s32 offset:1984 ; 4-byte Folded Reload
	v_cndmask_b32_e64 v117, 0, v134, s3
	v_cndmask_b32_e32 v117, v134, v117, vcc_lo
	s_waitcnt vmcnt(0)
	s_delay_alu instid0(VALU_DEP_1) | instskip(SKIP_2) | instid1(VALU_DEP_1)
	v_dual_mul_f32 v117, v1, v117 :: v_dual_mul_f32 v134, v139, v114
	scratch_load_b32 v114, off, s32 offset:1980 ; 4-byte Folded Reload
	v_cndmask_b32_e64 v135, 0, v134, s2
	v_cndmask_b32_e32 v134, v134, v135, vcc_lo
	s_delay_alu instid0(VALU_DEP_1) | instskip(SKIP_4) | instid1(VALU_DEP_1)
	v_fmac_f32_e32 v117, v0, v134
	s_waitcnt vmcnt(0)
	v_mul_f32_e32 v134, v138, v114
	scratch_load_b32 v114, off, s32 offset:2048 ; 4-byte Folded Reload
	v_cndmask_b32_e64 v135, 0, v134, s0
	v_cndmask_b32_e32 v134, v134, v135, vcc_lo
	v_fmac_f32_e32 v117, v2, v130
	s_waitcnt vmcnt(0)
	v_mul_f32_e32 v130, v139, v114
	scratch_load_b32 v114, off, s32 offset:2008 ; 4-byte Folded Reload
	v_cndmask_b32_e64 v135, 0, v130, s1
	s_delay_alu instid0(VALU_DEP_1) | instskip(SKIP_4) | instid1(VALU_DEP_1)
	v_cndmask_b32_e32 v130, v130, v135, vcc_lo
	s_waitcnt vmcnt(0)
	v_mul_f32_e32 v135, v138, v114
	scratch_load_b32 v114, off, s32 offset:2000 ; 4-byte Folded Reload
	v_cndmask_b32_e64 v164, 0, v135, s3
	v_cndmask_b32_e32 v135, v135, v164, vcc_lo
	s_waitcnt vmcnt(0)
	s_delay_alu instid0(VALU_DEP_1) | instskip(SKIP_2) | instid1(VALU_DEP_1)
	v_dual_mul_f32 v135, v1, v135 :: v_dual_mul_f32 v164, v139, v114
	scratch_load_b32 v114, off, s32 offset:1996 ; 4-byte Folded Reload
	v_cndmask_b32_e64 v116, 0, v164, s2
	v_dual_cndmask_b32 v116, v164, v116 :: v_dual_fmac_f32 v131, v3, v118
	s_delay_alu instid0(VALU_DEP_1) | instskip(NEXT) | instid1(VALU_DEP_1)
	v_dual_fmac_f32 v135, v0, v116 :: v_dual_add_f32 v30, v30, v131
	v_fmac_f32_e32 v135, v2, v130
	scratch_store_b32 off, v30, s32 offset:1660 ; 4-byte Folded Spill
	scratch_load_b32 v30, off, s32 offset:1684 ; 4-byte Folded Reload
	s_waitcnt vmcnt(1)
	v_mul_f32_e32 v116, v138, v114
	scratch_load_b32 v114, off, s32 offset:2144 ; 4-byte Folded Reload
	v_cndmask_b32_e64 v164, 0, v116, s0
	s_delay_alu instid0(VALU_DEP_1) | instskip(SKIP_1) | instid1(VALU_DEP_1)
	v_dual_cndmask_b32 v116, v116, v164 :: v_dual_fmac_f32 v117, v3, v134
	s_waitcnt vmcnt(1)
	v_dual_fmac_f32 v135, v3, v116 :: v_dual_add_f32 v30, v30, v117
	scratch_store_b32 off, v30, s32 offset:1684 ; 4-byte Folded Spill
	scratch_load_b32 v30, off, s32 offset:1688 ; 4-byte Folded Reload
	s_waitcnt vmcnt(1)
	v_mul_f32_e32 v130, v139, v114
	scratch_load_b32 v114, off, s32 offset:2080 ; 4-byte Folded Reload
	v_cndmask_b32_e64 v164, 0, v130, s1
	s_delay_alu instid0(VALU_DEP_1)
	v_cndmask_b32_e32 v130, v130, v164, vcc_lo
	s_waitcnt vmcnt(1)
	v_add_f32_e32 v30, v30, v135
	scratch_load_b32 v135, off, s32 offset:1760 ; 4-byte Folded Reload
	scratch_store_b32 off, v30, s32 offset:1688 ; 4-byte Folded Spill
	scratch_load_b32 v30, off, s32 offset:1696 ; 4-byte Folded Reload
	s_waitcnt vmcnt(2)
	v_mul_f32_e32 v164, v138, v114
	scratch_load_b32 v114, off, s32 offset:2032 ; 4-byte Folded Reload
	v_cndmask_b32_e64 v115, 0, v164, s3
	s_delay_alu instid0(VALU_DEP_1) | instskip(SKIP_1) | instid1(VALU_DEP_1)
	v_cndmask_b32_e32 v115, v164, v115, vcc_lo
	s_waitcnt vmcnt(0)
	v_dual_mul_f32 v115, v1, v115 :: v_dual_mul_f32 v164, v139, v114
	s_delay_alu instid0(VALU_DEP_1) | instskip(NEXT) | instid1(VALU_DEP_1)
	v_cndmask_b32_e64 v114, 0, v164, s2
	v_cndmask_b32_e32 v114, v164, v114, vcc_lo
	s_delay_alu instid0(VALU_DEP_1) | instskip(SKIP_4) | instid1(VALU_DEP_1)
	v_fmac_f32_e32 v115, v0, v114
	scratch_load_b32 v114, off, s32 offset:2020 ; 4-byte Folded Reload
	v_fmac_f32_e32 v115, v2, v130
	s_waitcnt vmcnt(0)
	v_mul_f32_e32 v114, v138, v114
	v_cndmask_b32_e64 v164, 0, v114, s0
	s_delay_alu instid0(VALU_DEP_1) | instskip(NEXT) | instid1(VALU_DEP_1)
	v_cndmask_b32_e32 v114, v114, v164, vcc_lo
	v_fmac_f32_e32 v115, v3, v114
	s_delay_alu instid0(VALU_DEP_1) | instskip(SKIP_4) | instid1(VALU_DEP_1)
	v_add_f32_e32 v30, v30, v115
	scratch_store_b32 off, v30, s32 offset:1696 ; 4-byte Folded Spill
	scratch_load_b32 v30, off, s32 offset:2128 ; 4-byte Folded Reload
	s_waitcnt vmcnt(0)
	v_mul_f32_e32 v30, v139, v30
	v_cndmask_b32_e64 v114, 0, v30, s1
	s_delay_alu instid0(VALU_DEP_1) | instskip(SKIP_3) | instid1(VALU_DEP_1)
	v_cndmask_b32_e32 v30, v30, v114, vcc_lo
	scratch_load_b32 v114, off, s32 offset:2064 ; 4-byte Folded Reload
	s_waitcnt vmcnt(0)
	v_mul_f32_e32 v114, v138, v114
	v_cndmask_b32_e64 v115, 0, v114, s3
	s_delay_alu instid0(VALU_DEP_1) | instskip(SKIP_3) | instid1(VALU_DEP_1)
	v_cndmask_b32_e32 v114, v114, v115, vcc_lo
	scratch_load_b32 v115, off, s32 offset:2024 ; 4-byte Folded Reload
	s_waitcnt vmcnt(0)
	v_dual_mul_f32 v114, v1, v114 :: v_dual_mul_f32 v115, v139, v115
	v_cndmask_b32_e64 v116, 0, v115, s2
	s_delay_alu instid0(VALU_DEP_1) | instskip(NEXT) | instid1(VALU_DEP_1)
	v_cndmask_b32_e32 v115, v115, v116, vcc_lo
	v_fmac_f32_e32 v114, v0, v115
	scratch_load_b32 v115, off, s32 offset:2016 ; 4-byte Folded Reload
	v_fmac_f32_e32 v114, v2, v30
	scratch_load_b32 v30, off, s32 offset:2208 ; 4-byte Folded Reload
	s_waitcnt vmcnt(1)
	v_mul_f32_e32 v115, v138, v115
	s_delay_alu instid0(VALU_DEP_1) | instskip(SKIP_2) | instid1(VALU_DEP_2)
	v_cndmask_b32_e64 v116, 0, v115, s0
	s_waitcnt vmcnt(0)
	v_mul_f32_e32 v30, v139, v30
	v_cndmask_b32_e32 v115, v115, v116, vcc_lo
	s_delay_alu instid0(VALU_DEP_2) | instskip(NEXT) | instid1(VALU_DEP_1)
	v_cndmask_b32_e64 v116, 0, v30, s1
	v_cndmask_b32_e32 v30, v30, v116, vcc_lo
	scratch_load_b32 v116, off, s32 offset:2160 ; 4-byte Folded Reload
	s_waitcnt vmcnt(0)
	v_mul_f32_e32 v116, v138, v116
	s_delay_alu instid0(VALU_DEP_1) | instskip(NEXT) | instid1(VALU_DEP_1)
	v_cndmask_b32_e64 v117, 0, v116, s3
	v_cndmask_b32_e32 v116, v116, v117, vcc_lo
	scratch_load_b32 v117, off, s32 offset:2112 ; 4-byte Folded Reload
	s_waitcnt vmcnt(0)
	v_dual_mul_f32 v116, v1, v116 :: v_dual_mul_f32 v117, v139, v117
	s_delay_alu instid0(VALU_DEP_1) | instskip(NEXT) | instid1(VALU_DEP_1)
	v_cndmask_b32_e64 v118, 0, v117, s2
	v_cndmask_b32_e32 v117, v117, v118, vcc_lo
	s_delay_alu instid0(VALU_DEP_1)
	v_fmac_f32_e32 v116, v0, v117
	scratch_load_b32 v117, off, s32 offset:2096 ; 4-byte Folded Reload
	v_fmac_f32_e32 v116, v2, v30
	scratch_load_b32 v30, off, s32 offset:2272 ; 4-byte Folded Reload
	s_waitcnt vmcnt(1)
	v_mul_f32_e32 v117, v138, v117
	s_delay_alu instid0(VALU_DEP_1) | instskip(SKIP_2) | instid1(VALU_DEP_2)
	v_cndmask_b32_e64 v118, 0, v117, s0
	s_waitcnt vmcnt(0)
	v_mul_f32_e32 v30, v139, v30
	v_cndmask_b32_e32 v117, v117, v118, vcc_lo
	s_delay_alu instid0(VALU_DEP_2) | instskip(NEXT) | instid1(VALU_DEP_1)
	v_cndmask_b32_e64 v118, 0, v30, s1
	v_cndmask_b32_e32 v30, v30, v118, vcc_lo
	scratch_load_b32 v118, off, s32 offset:2224 ; 4-byte Folded Reload
	s_waitcnt vmcnt(0)
	v_mul_f32_e32 v118, v138, v118
	s_delay_alu instid0(VALU_DEP_1) | instskip(NEXT) | instid1(VALU_DEP_1)
	v_cndmask_b32_e64 v119, 0, v118, s3
	v_cndmask_b32_e32 v118, v118, v119, vcc_lo
	scratch_load_b32 v119, off, s32 offset:2192 ; 4-byte Folded Reload
	s_waitcnt vmcnt(0)
	v_dual_mul_f32 v118, v1, v118 :: v_dual_mul_f32 v119, v139, v119
	s_delay_alu instid0(VALU_DEP_1) | instskip(NEXT) | instid1(VALU_DEP_1)
	v_cndmask_b32_e64 v130, 0, v119, s2
	v_cndmask_b32_e32 v119, v119, v130, vcc_lo
	s_delay_alu instid0(VALU_DEP_1)
	v_fmac_f32_e32 v118, v0, v119
	scratch_load_b32 v119, off, s32 offset:2176 ; 4-byte Folded Reload
	v_fmac_f32_e32 v118, v2, v30
	v_mul_f32_e32 v30, v139, v103
	scratch_load_b32 v103, off, s32 offset:2288 ; 4-byte Folded Reload
	s_waitcnt vmcnt(1)
	v_mul_f32_e32 v119, v138, v119
	s_delay_alu instid0(VALU_DEP_1) | instskip(NEXT) | instid1(VALU_DEP_1)
	v_cndmask_b32_e64 v130, 0, v119, s0
	v_cndmask_b32_e32 v119, v119, v130, vcc_lo
	v_cndmask_b32_e64 v130, 0, v30, s1
	s_delay_alu instid0(VALU_DEP_2) | instskip(NEXT) | instid1(VALU_DEP_2)
	v_fmac_f32_e32 v118, v3, v119
	v_cndmask_b32_e32 v30, v30, v130, vcc_lo
	s_waitcnt vmcnt(0)
	v_mul_f32_e32 v130, v138, v103
	scratch_load_b32 v103, off, s32 offset:2256 ; 4-byte Folded Reload
	v_cndmask_b32_e64 v131, 0, v130, s3
	s_delay_alu instid0(VALU_DEP_1) | instskip(SKIP_1) | instid1(VALU_DEP_1)
	v_cndmask_b32_e32 v130, v130, v131, vcc_lo
	s_waitcnt vmcnt(0)
	v_dual_mul_f32 v130, v1, v130 :: v_dual_mul_f32 v131, v139, v103
	scratch_load_b32 v103, off, s32 offset:2240 ; 4-byte Folded Reload
	v_cndmask_b32_e64 v134, 0, v131, s2
	s_delay_alu instid0(VALU_DEP_1) | instskip(NEXT) | instid1(VALU_DEP_1)
	v_cndmask_b32_e32 v131, v131, v134, vcc_lo
	v_fmac_f32_e32 v130, v0, v131
	s_delay_alu instid0(VALU_DEP_1) | instskip(SKIP_1) | instid1(VALU_DEP_1)
	v_fmac_f32_e32 v130, v2, v30
	v_mul_f32_e32 v30, v139, v129
	v_cndmask_b32_e64 v129, 0, v30, s1
	s_delay_alu instid0(VALU_DEP_1) | instskip(SKIP_4) | instid1(VALU_DEP_1)
	v_cndmask_b32_e32 v30, v30, v129, vcc_lo
	v_mul_f32_e32 v129, v138, v146
	scratch_load_b32 v146, off, s32 offset:1800 ; 4-byte Folded Reload
	s_waitcnt vmcnt(1)
	v_mul_f32_e32 v131, v138, v103
	v_cndmask_b32_e64 v134, 0, v131, s0
	s_delay_alu instid0(VALU_DEP_1) | instskip(SKIP_1) | instid1(VALU_DEP_1)
	v_cndmask_b32_e32 v131, v131, v134, vcc_lo
	v_cndmask_b32_e64 v134, 0, v129, s3
	v_dual_fmac_f32 v130, v3, v131 :: v_dual_cndmask_b32 v129, v129, v134
	v_cndmask_b32_e64 v134, 0, v113, s2
	s_delay_alu instid0(VALU_DEP_2) | instskip(NEXT) | instid1(VALU_DEP_2)
	v_mul_f32_e32 v129, v1, v129
	v_cndmask_b32_e32 v113, v113, v134, vcc_lo
	s_delay_alu instid0(VALU_DEP_1) | instskip(SKIP_1) | instid1(VALU_DEP_2)
	v_fmac_f32_e32 v129, v0, v113
	v_cndmask_b32_e64 v113, 0, v112, s0
	v_dual_fmac_f32 v114, v3, v115 :: v_dual_fmac_f32 v129, v2, v30
	scratch_load_b32 v30, off, s32 offset:1700 ; 4-byte Folded Reload
	v_cndmask_b32_e32 v112, v112, v113, vcc_lo
	scratch_load_b32 v113, off, s32 offset:1752 ; 4-byte Folded Reload
	v_fmac_f32_e32 v129, v3, v112
	v_fmac_f32_e32 v116, v3, v117
	s_waitcnt vmcnt(1)
	v_add_f32_e32 v30, v30, v114
	scratch_load_b32 v114, off, s32 offset:1756 ; 4-byte Folded Reload
	scratch_store_b32 off, v30, s32 offset:1700 ; 4-byte Folded Spill
	scratch_load_b32 v30, off, s32 offset:1704 ; 4-byte Folded Reload
	s_waitcnt vmcnt(0)
	v_add_f32_e32 v30, v30, v116
	scratch_store_b32 off, v30, s32 offset:1704 ; 4-byte Folded Spill
	scratch_load_b32 v30, off, s32 offset:1708 ; 4-byte Folded Reload
	s_waitcnt vmcnt(0)
	v_add_f32_e32 v30, v30, v118
	;; [unrolled: 4-line block ×4, first 2 shown]
	scratch_store_b32 off, v30, s32 offset:1716 ; 4-byte Folded Spill
	v_mul_f32_e32 v30, v139, v31
	s_delay_alu instid0(VALU_DEP_1) | instskip(NEXT) | instid1(VALU_DEP_1)
	v_cndmask_b32_e64 v31, 0, v30, s1
	v_cndmask_b32_e32 v30, v30, v31, vcc_lo
	v_dual_mul_f32 v31, v138, v102 :: v_dual_mul_f32 v102, v139, v145
	scratch_load_b32 v145, off, s32 offset:1788 ; 4-byte Folded Reload
	v_cndmask_b32_e64 v112, 0, v31, s3
	s_delay_alu instid0(VALU_DEP_1) | instskip(SKIP_1) | instid1(VALU_DEP_1)
	v_cndmask_b32_e32 v31, v31, v112, vcc_lo
	v_cndmask_b32_e64 v112, 0, v102, s2
	v_dual_mul_f32 v31, v1, v31 :: v_dual_cndmask_b32 v102, v102, v112
	s_delay_alu instid0(VALU_DEP_1) | instskip(SKIP_2) | instid1(VALU_DEP_1)
	v_fmac_f32_e32 v31, v0, v102
	scratch_load_b32 v102, off, s32 offset:2292 ; 4-byte Folded Reload
	v_dual_fmac_f32 v31, v2, v30 :: v_dual_mul_f32 v30, v139, v65
	v_cndmask_b32_e64 v65, 0, v30, s1
	s_delay_alu instid0(VALU_DEP_1) | instskip(SKIP_1) | instid1(VALU_DEP_1)
	v_cndmask_b32_e32 v30, v30, v65, vcc_lo
	v_mul_f32_e32 v65, v138, v71
	v_cndmask_b32_e64 v71, 0, v65, s3
	s_delay_alu instid0(VALU_DEP_1) | instskip(SKIP_1) | instid1(VALU_DEP_2)
	v_cndmask_b32_e32 v65, v65, v71, vcc_lo
	v_mul_f32_e32 v71, v139, v98
	v_mul_f32_e32 v65, v1, v65
	s_delay_alu instid0(VALU_DEP_2) | instskip(NEXT) | instid1(VALU_DEP_1)
	v_cndmask_b32_e64 v98, 0, v71, s2
	v_cndmask_b32_e32 v71, v71, v98, vcc_lo
	s_delay_alu instid0(VALU_DEP_1) | instskip(SKIP_4) | instid1(VALU_DEP_2)
	v_fmac_f32_e32 v65, v0, v71
	v_mul_f32_e32 v71, v138, v144
	scratch_load_b32 v144, off, s32 offset:1764 ; 4-byte Folded Reload
	v_dual_fmac_f32 v65, v2, v30 :: v_dual_mul_f32 v30, v139, v52
	v_cndmask_b32_e64 v98, 0, v71, s0
	v_cndmask_b32_e64 v52, 0, v30, s1
	s_delay_alu instid0(VALU_DEP_1) | instskip(NEXT) | instid1(VALU_DEP_1)
	v_dual_cndmask_b32 v71, v71, v98 :: v_dual_cndmask_b32 v30, v30, v52
	v_dual_fmac_f32 v65, v3, v71 :: v_dual_mul_f32 v52, v138, v64
	scratch_load_b32 v71, off, s32 offset:1808 ; 4-byte Folded Reload
	v_add_f32_e32 v114, v114, v65
	v_cndmask_b32_e64 v64, 0, v52, s3
	scratch_load_b32 v65, off, s32 offset:1840 ; 4-byte Folded Reload
	v_cndmask_b32_e32 v52, v52, v64, vcc_lo
	v_mul_f32_e32 v64, v139, v68
	s_delay_alu instid0(VALU_DEP_2) | instskip(NEXT) | instid1(VALU_DEP_2)
	v_mul_f32_e32 v52, v1, v52
	v_cndmask_b32_e64 v68, 0, v64, s2
	s_delay_alu instid0(VALU_DEP_1) | instskip(NEXT) | instid1(VALU_DEP_1)
	v_cndmask_b32_e32 v64, v64, v68, vcc_lo
	v_fmac_f32_e32 v52, v0, v64
	v_mul_f32_e32 v64, v138, v128
	s_delay_alu instid0(VALU_DEP_2) | instskip(SKIP_1) | instid1(VALU_DEP_3)
	v_fmac_f32_e32 v52, v2, v30
	v_mul_f32_e32 v30, v139, v37
	v_cndmask_b32_e64 v68, 0, v64, s0
	s_delay_alu instid0(VALU_DEP_2) | instskip(NEXT) | instid1(VALU_DEP_2)
	v_cndmask_b32_e64 v37, 0, v30, s1
	v_cndmask_b32_e32 v64, v64, v68, vcc_lo
	s_delay_alu instid0(VALU_DEP_2) | instskip(NEXT) | instid1(VALU_DEP_2)
	v_cndmask_b32_e32 v30, v30, v37, vcc_lo
	v_dual_mul_f32 v37, v138, v51 :: v_dual_fmac_f32 v52, v3, v64
	scratch_load_b32 v64, off, s32 offset:1848 ; 4-byte Folded Reload
	v_cndmask_b32_e64 v51, 0, v37, s3
	v_add_f32_e32 v135, v135, v52
	scratch_load_b32 v52, off, s32 offset:1872 ; 4-byte Folded Reload
	v_cndmask_b32_e32 v37, v37, v51, vcc_lo
	v_mul_f32_e32 v51, v139, v163
	scratch_load_b32 v163, off, s32 offset:1856 ; 4-byte Folded Reload
	v_mul_f32_e32 v37, v1, v37
	v_cndmask_b32_e64 v68, 0, v51, s2
	s_delay_alu instid0(VALU_DEP_1) | instskip(NEXT) | instid1(VALU_DEP_1)
	v_cndmask_b32_e32 v51, v51, v68, vcc_lo
	v_fmac_f32_e32 v37, v0, v51
	v_mul_f32_e32 v51, v138, v53
	s_delay_alu instid0(VALU_DEP_2) | instskip(NEXT) | instid1(VALU_DEP_2)
	v_fmac_f32_e32 v37, v2, v30
	v_cndmask_b32_e64 v53, 0, v51, s0
	v_mul_f32_e32 v30, v139, v147
	scratch_load_b32 v147, off, s32 offset:1804 ; 4-byte Folded Reload
	v_cndmask_b32_e32 v51, v51, v53, vcc_lo
	v_cndmask_b32_e64 v53, 0, v30, s1
	s_delay_alu instid0(VALU_DEP_1)
	v_dual_fmac_f32 v37, v3, v51 :: v_dual_cndmask_b32 v30, v30, v53
	v_mul_f32_e32 v53, v138, v96
	s_clause 0x1
	scratch_load_b32 v96, off, s32 offset:1780
	scratch_load_b32 v51, off, s32 offset:1868
	v_cndmask_b32_e64 v68, 0, v53, s3
	s_delay_alu instid0(VALU_DEP_1) | instskip(SKIP_1) | instid1(VALU_DEP_2)
	v_cndmask_b32_e32 v53, v53, v68, vcc_lo
	v_cndmask_b32_e64 v68, 0, v39, s2
	v_mul_f32_e32 v53, v1, v53
	s_delay_alu instid0(VALU_DEP_2) | instskip(SKIP_3) | instid1(VALU_DEP_2)
	v_cndmask_b32_e32 v39, v39, v68, vcc_lo
	scratch_load_b32 v68, off, s32 offset:1816 ; 4-byte Folded Reload
	v_fmac_f32_e32 v53, v0, v39
	v_mul_f32_e32 v39, v138, v49
	v_fmac_f32_e32 v53, v2, v30
	s_delay_alu instid0(VALU_DEP_2) | instskip(SKIP_4) | instid1(VALU_DEP_1)
	v_cndmask_b32_e64 v49, 0, v39, s0
	v_mul_f32_e32 v30, v139, v97
	scratch_load_b32 v97, off, s32 offset:1776 ; 4-byte Folded Reload
	v_cndmask_b32_e32 v39, v39, v49, vcc_lo
	s_waitcnt vmcnt(11)
	v_dual_fmac_f32 v53, v3, v39 :: v_dual_mul_f32 v102, v138, v102
	s_delay_alu instid0(VALU_DEP_1) | instskip(NEXT) | instid1(VALU_DEP_1)
	v_cndmask_b32_e64 v103, 0, v102, s0
	v_cndmask_b32_e32 v102, v102, v103, vcc_lo
	scratch_load_b32 v103, off, s32 offset:1784 ; 4-byte Folded Reload
	v_fmac_f32_e32 v31, v3, v102
	scratch_load_b32 v102, off, s32 offset:1768 ; 4-byte Folded Reload
	v_add_f32_e32 v113, v113, v31
	v_cndmask_b32_e64 v31, 0, v30, s1
	s_delay_alu instid0(VALU_DEP_1) | instskip(SKIP_2) | instid1(VALU_DEP_1)
	v_cndmask_b32_e32 v30, v30, v31, vcc_lo
	s_waitcnt vmcnt(12)
	v_dual_mul_f32 v31, v138, v48 :: v_dual_add_f32 v144, v144, v37
	v_cndmask_b32_e64 v37, 0, v31, s3
	s_delay_alu instid0(VALU_DEP_1) | instskip(SKIP_4) | instid1(VALU_DEP_1)
	v_cndmask_b32_e32 v31, v31, v37, vcc_lo
	v_mul_f32_e32 v37, v139, v69
	scratch_load_b32 v69, off, s32 offset:1812 ; 4-byte Folded Reload
	v_mul_f32_e32 v31, v1, v31
	v_cndmask_b32_e64 v39, 0, v37, s2
	v_cndmask_b32_e32 v37, v37, v39, vcc_lo
	s_delay_alu instid0(VALU_DEP_1)
	v_fmac_f32_e32 v31, v0, v37
	v_mul_f32_e32 v37, v138, v99
	scratch_load_b32 v99, off, s32 offset:1772 ; 4-byte Folded Reload
	v_fmac_f32_e32 v31, v2, v30
	v_cndmask_b32_e64 v30, 0, v26, s1
	v_cndmask_b32_e64 v39, 0, v37, s0
	s_delay_alu instid0(VALU_DEP_2) | instskip(NEXT) | instid1(VALU_DEP_2)
	v_cndmask_b32_e32 v26, v26, v30, vcc_lo
	v_dual_mul_f32 v30, v138, v150 :: v_dual_cndmask_b32 v37, v37, v39
	scratch_load_b32 v150, off, s32 offset:1824 ; 4-byte Folded Reload
	v_cndmask_b32_e64 v39, 0, v30, s3
	s_delay_alu instid0(VALU_DEP_1) | instskip(SKIP_1) | instid1(VALU_DEP_1)
	v_dual_fmac_f32 v31, v3, v37 :: v_dual_cndmask_b32 v30, v30, v39
	v_cndmask_b32_e64 v39, 0, v35, s2
	v_dual_mul_f32 v30, v1, v30 :: v_dual_cndmask_b32 v35, v35, v39
	s_delay_alu instid0(VALU_DEP_1) | instskip(NEXT) | instid1(VALU_DEP_1)
	v_dual_fmac_f32 v30, v0, v35 :: v_dual_mul_f32 v35, v138, v36
	v_fmac_f32_e32 v30, v2, v26
	s_delay_alu instid0(VALU_DEP_2) | instskip(SKIP_4) | instid1(VALU_DEP_1)
	v_cndmask_b32_e64 v36, 0, v35, s0
	v_mul_f32_e32 v26, v139, v160
	scratch_load_b32 v160, off, s32 offset:1832 ; 4-byte Folded Reload
	v_cndmask_b32_e32 v35, v35, v36, vcc_lo
	v_cndmask_b32_e64 v36, 0, v26, s1
	v_cndmask_b32_e32 v26, v26, v36, vcc_lo
	v_mul_f32_e32 v36, v138, v151
	scratch_load_b32 v151, off, s32 offset:1828 ; 4-byte Folded Reload
	v_cndmask_b32_e64 v39, 0, v36, s3
	s_delay_alu instid0(VALU_DEP_1) | instskip(SKIP_1) | instid1(VALU_DEP_1)
	v_cndmask_b32_e32 v36, v36, v39, vcc_lo
	v_cndmask_b32_e64 v39, 0, v23, s2
	v_dual_mul_f32 v36, v1, v36 :: v_dual_cndmask_b32 v23, v23, v39
	s_delay_alu instid0(VALU_DEP_1) | instskip(SKIP_1) | instid1(VALU_DEP_2)
	v_fmac_f32_e32 v36, v0, v23
	v_mul_f32_e32 v23, v138, v27
	v_fmac_f32_e32 v36, v2, v26
	s_delay_alu instid0(VALU_DEP_2) | instskip(SKIP_4) | instid1(VALU_DEP_1)
	v_cndmask_b32_e64 v27, 0, v23, s0
	v_mul_f32_e32 v26, v139, v161
	scratch_load_b32 v161, off, s32 offset:1852 ; 4-byte Folded Reload
	v_cndmask_b32_e32 v23, v23, v27, vcc_lo
	v_cndmask_b32_e64 v27, 0, v26, s1
	v_cndmask_b32_e32 v26, v26, v27, vcc_lo
	v_mul_f32_e32 v27, v138, v133
	s_delay_alu instid0(VALU_DEP_1) | instskip(NEXT) | instid1(VALU_DEP_1)
	v_cndmask_b32_e64 v39, 0, v27, s3
	v_cndmask_b32_e32 v27, v27, v39, vcc_lo
	v_mul_f32_e32 v39, v139, v132
	s_delay_alu instid0(VALU_DEP_2) | instskip(NEXT) | instid1(VALU_DEP_2)
	v_mul_f32_e32 v27, v1, v27
	v_cndmask_b32_e64 v48, 0, v39, s2
	v_fmac_f32_e32 v30, v3, v35
	s_delay_alu instid0(VALU_DEP_2) | instskip(SKIP_1) | instid1(VALU_DEP_2)
	v_cndmask_b32_e32 v39, v39, v48, vcc_lo
	s_waitcnt vmcnt(8)
	v_add_f32_e32 v97, v97, v30
	s_delay_alu instid0(VALU_DEP_2) | instskip(SKIP_1) | instid1(VALU_DEP_2)
	v_fmac_f32_e32 v27, v0, v39
	v_cndmask_b32_e64 v39, 0, v25, s0
	v_dual_fmac_f32 v27, v2, v26 :: v_dual_mul_f32 v26, v139, v179
	s_delay_alu instid0(VALU_DEP_2) | instskip(NEXT) | instid1(VALU_DEP_2)
	v_cndmask_b32_e32 v25, v25, v39, vcc_lo
	v_cndmask_b32_e64 v39, 0, v26, s1
	s_delay_alu instid0(VALU_DEP_1) | instskip(SKIP_1) | instid1(VALU_DEP_1)
	v_dual_fmac_f32 v27, v3, v25 :: v_dual_cndmask_b32 v26, v26, v39
	v_mul_f32_e32 v39, v138, v166
	v_cndmask_b32_e64 v48, 0, v39, s3
	s_delay_alu instid0(VALU_DEP_1) | instskip(NEXT) | instid1(VALU_DEP_1)
	v_cndmask_b32_e32 v39, v39, v48, vcc_lo
	v_dual_mul_f32 v48, v139, v149 :: v_dual_mul_f32 v39, v1, v39
	s_delay_alu instid0(VALU_DEP_1) | instskip(SKIP_1) | instid1(VALU_DEP_2)
	v_cndmask_b32_e64 v49, 0, v48, s2
	v_fmac_f32_e32 v36, v3, v23
	v_dual_mul_f32 v23, v139, v178 :: v_dual_cndmask_b32 v48, v48, v49
	s_delay_alu instid0(VALU_DEP_1) | instskip(NEXT) | instid1(VALU_DEP_2)
	v_cndmask_b32_e64 v25, 0, v23, s1
	v_fmac_f32_e32 v39, v0, v48
	s_delay_alu instid0(VALU_DEP_2) | instskip(SKIP_1) | instid1(VALU_DEP_3)
	v_cndmask_b32_e32 v23, v23, v25, vcc_lo
	v_mul_f32_e32 v25, v138, v165
	v_fmac_f32_e32 v39, v2, v26
	s_delay_alu instid0(VALU_DEP_2) | instskip(NEXT) | instid1(VALU_DEP_1)
	v_cndmask_b32_e64 v26, 0, v25, s3
	v_dual_cndmask_b32 v25, v25, v26 :: v_dual_mul_f32 v26, v139, v83
	scratch_load_b32 v83, off, s32 offset:1796 ; 4-byte Folded Reload
	v_mul_f32_e32 v25, v1, v25
	s_waitcnt vmcnt(7)
	v_add_f32_e32 v102, v102, v53
	scratch_load_b32 v53, off, s32 offset:1844 ; 4-byte Folded Reload
	v_dual_mul_f32 v48, v138, v148 :: v_dual_add_f32 v103, v103, v27
	v_cndmask_b32_e64 v27, 0, v26, s2
	s_delay_alu instid0(VALU_DEP_2) | instskip(NEXT) | instid1(VALU_DEP_2)
	v_cndmask_b32_e64 v49, 0, v48, s0
	v_cndmask_b32_e32 v26, v26, v27, vcc_lo
	s_delay_alu instid0(VALU_DEP_1) | instskip(NEXT) | instid1(VALU_DEP_3)
	v_fmac_f32_e32 v25, v0, v26
	v_cndmask_b32_e32 v48, v48, v49, vcc_lo
	v_mul_f32_e32 v26, v138, v82
	scratch_load_b32 v82, off, s32 offset:1792 ; 4-byte Folded Reload
	v_fmac_f32_e32 v25, v2, v23
	v_fmac_f32_e32 v39, v3, v48
	v_cndmask_b32_e64 v27, 0, v26, s0
	v_mul_f32_e32 v23, v139, v66
	s_clause 0x1
	scratch_load_b32 v66, off, s32 offset:1836
	scratch_load_b32 v48, off, s32 offset:1864
	v_cndmask_b32_e32 v26, v26, v27, vcc_lo
	v_cndmask_b32_e64 v27, 0, v23, s1
	s_delay_alu instid0(VALU_DEP_2) | instskip(NEXT) | instid1(VALU_DEP_2)
	v_fmac_f32_e32 v25, v3, v26
	v_cndmask_b32_e32 v23, v23, v27, vcc_lo
	v_mul_f32_e32 v27, v138, v180
	s_delay_alu instid0(VALU_DEP_1) | instskip(NEXT) | instid1(VALU_DEP_1)
	v_cndmask_b32_e64 v30, 0, v27, s3
	v_cndmask_b32_e32 v27, v27, v30, vcc_lo
	v_mul_f32_e32 v30, v139, v167
	s_delay_alu instid0(VALU_DEP_2) | instskip(SKIP_2) | instid1(VALU_DEP_3)
	v_mul_f32_e32 v27, v1, v27
	s_waitcnt vmcnt(9)
	v_add_f32_e32 v99, v99, v31
	v_cndmask_b32_e64 v31, 0, v30, s2
	s_delay_alu instid0(VALU_DEP_1) | instskip(NEXT) | instid1(VALU_DEP_1)
	v_cndmask_b32_e32 v30, v30, v31, vcc_lo
	v_fmac_f32_e32 v27, v0, v30
	v_cndmask_b32_e64 v30, 0, v21, s0
	s_delay_alu instid0(VALU_DEP_2) | instskip(SKIP_1) | instid1(VALU_DEP_3)
	v_fmac_f32_e32 v27, v2, v23
	v_mul_f32_e32 v23, v139, v181
	v_cndmask_b32_e32 v21, v21, v30, vcc_lo
	s_delay_alu instid0(VALU_DEP_2) | instskip(NEXT) | instid1(VALU_DEP_1)
	v_cndmask_b32_e64 v30, 0, v23, s1
	v_dual_cndmask_b32 v23, v23, v30 :: v_dual_mul_f32 v30, v138, v67
	scratch_load_b32 v67, off, s32 offset:1820 ; 4-byte Folded Reload
	v_cndmask_b32_e64 v31, 0, v30, s3
	s_delay_alu instid0(VALU_DEP_1) | instskip(SKIP_1) | instid1(VALU_DEP_1)
	v_cndmask_b32_e32 v30, v30, v31, vcc_lo
	v_cndmask_b32_e64 v31, 0, v19, s2
	v_dual_mul_f32 v30, v1, v30 :: v_dual_cndmask_b32 v19, v19, v31
	s_waitcnt vmcnt(3)
	v_add_f32_e32 v82, v82, v25
	s_delay_alu instid0(VALU_DEP_2) | instskip(NEXT) | instid1(VALU_DEP_1)
	v_dual_fmac_f32 v30, v0, v19 :: v_dual_mul_f32 v19, v138, v20
	v_fmac_f32_e32 v30, v2, v23
	s_delay_alu instid0(VALU_DEP_2) | instskip(NEXT) | instid1(VALU_DEP_1)
	v_cndmask_b32_e64 v20, 0, v19, s0
	v_cndmask_b32_e32 v19, v19, v20, vcc_lo
	v_mul_f32_e32 v20, v139, v41
	s_delay_alu instid0(VALU_DEP_2) | instskip(NEXT) | instid1(VALU_DEP_2)
	v_fmac_f32_e32 v30, v3, v19
	v_cndmask_b32_e64 v23, 0, v20, s1
	v_mul_f32_e32 v19, v139, v46
	s_delay_alu instid0(VALU_DEP_3) | instskip(NEXT) | instid1(VALU_DEP_3)
	v_add_f32_e32 v146, v146, v30
	v_dual_cndmask_b32 v20, v20, v23 :: v_dual_mul_f32 v23, v138, v177
	s_delay_alu instid0(VALU_DEP_1) | instskip(NEXT) | instid1(VALU_DEP_1)
	v_cndmask_b32_e64 v31, 0, v23, s3
	v_cndmask_b32_e32 v23, v23, v31, vcc_lo
	v_cndmask_b32_e64 v31, 0, v29, s2
	s_delay_alu instid0(VALU_DEP_2) | instskip(NEXT) | instid1(VALU_DEP_2)
	v_mul_f32_e32 v23, v1, v23
	v_cndmask_b32_e32 v29, v29, v31, vcc_lo
	s_delay_alu instid0(VALU_DEP_1) | instskip(SKIP_1) | instid1(VALU_DEP_2)
	v_fmac_f32_e32 v23, v0, v29
	v_cndmask_b32_e64 v29, 0, v28, s0
	v_dual_fmac_f32 v23, v2, v20 :: v_dual_mul_f32 v20, v139, v47
	s_delay_alu instid0(VALU_DEP_2) | instskip(SKIP_1) | instid1(VALU_DEP_3)
	v_cndmask_b32_e32 v28, v28, v29, vcc_lo
	v_fmac_f32_e32 v27, v3, v21
	v_cndmask_b32_e64 v29, 0, v20, s1
	s_delay_alu instid0(VALU_DEP_3) | instskip(NEXT) | instid1(VALU_DEP_2)
	v_fmac_f32_e32 v23, v3, v28
	v_dual_add_f32 v83, v83, v27 :: v_dual_cndmask_b32 v20, v20, v29
	v_mul_f32_e32 v29, v138, v43
	s_delay_alu instid0(VALU_DEP_3) | instskip(NEXT) | instid1(VALU_DEP_2)
	v_add_f32_e32 v147, v147, v23
	v_cndmask_b32_e64 v31, 0, v29, s3
	s_delay_alu instid0(VALU_DEP_1) | instskip(SKIP_1) | instid1(VALU_DEP_2)
	v_cndmask_b32_e32 v29, v29, v31, vcc_lo
	v_mul_f32_e32 v31, v139, v40
	v_mul_f32_e32 v29, v1, v29
	s_delay_alu instid0(VALU_DEP_2) | instskip(NEXT) | instid1(VALU_DEP_1)
	v_cndmask_b32_e64 v35, 0, v31, s2
	v_cndmask_b32_e32 v31, v31, v35, vcc_lo
	s_delay_alu instid0(VALU_DEP_1) | instskip(SKIP_1) | instid1(VALU_DEP_2)
	v_fmac_f32_e32 v29, v0, v31
	v_mul_f32_e32 v31, v138, v182
	v_fmac_f32_e32 v29, v2, v20
	v_cndmask_b32_e64 v20, 0, v19, s1
	s_delay_alu instid0(VALU_DEP_3) | instskip(NEXT) | instid1(VALU_DEP_2)
	v_cndmask_b32_e64 v35, 0, v31, s0
	v_dual_cndmask_b32 v19, v19, v20 :: v_dual_mul_f32 v20, v138, v42
	s_delay_alu instid0(VALU_DEP_2) | instskip(NEXT) | instid1(VALU_DEP_2)
	v_cndmask_b32_e32 v31, v31, v35, vcc_lo
	v_cndmask_b32_e64 v21, 0, v20, s3
	s_delay_alu instid0(VALU_DEP_1) | instskip(SKIP_1) | instid1(VALU_DEP_2)
	v_dual_fmac_f32 v29, v3, v31 :: v_dual_cndmask_b32 v20, v20, v21
	v_mul_f32_e32 v21, v139, v183
	v_dual_add_f32 v71, v71, v29 :: v_dual_mul_f32 v20, v1, v20
	s_delay_alu instid0(VALU_DEP_2) | instskip(NEXT) | instid1(VALU_DEP_1)
	v_cndmask_b32_e64 v23, 0, v21, s2
	v_cndmask_b32_e32 v21, v21, v23, vcc_lo
	s_delay_alu instid0(VALU_DEP_1) | instskip(NEXT) | instid1(VALU_DEP_1)
	v_dual_fmac_f32 v20, v0, v21 :: v_dual_mul_f32 v21, v138, v176
	v_fmac_f32_e32 v20, v2, v19
	s_delay_alu instid0(VALU_DEP_2) | instskip(SKIP_1) | instid1(VALU_DEP_2)
	v_cndmask_b32_e64 v23, 0, v21, s0
	v_mul_f32_e32 v19, v139, v59
	v_cndmask_b32_e32 v21, v21, v23, vcc_lo
	s_delay_alu instid0(VALU_DEP_2) | instskip(NEXT) | instid1(VALU_DEP_2)
	v_cndmask_b32_e64 v23, 0, v19, s1
	v_fmac_f32_e32 v20, v3, v21
	s_delay_alu instid0(VALU_DEP_2) | instskip(SKIP_1) | instid1(VALU_DEP_3)
	v_cndmask_b32_e32 v19, v19, v23, vcc_lo
	v_mul_f32_e32 v23, v138, v56
	v_add_f32_e32 v69, v69, v20
	s_delay_alu instid0(VALU_DEP_2) | instskip(NEXT) | instid1(VALU_DEP_1)
	v_cndmask_b32_e64 v25, 0, v23, s3
	v_cndmask_b32_e32 v23, v23, v25, vcc_lo
	v_mul_f32_e32 v25, v139, v45
	s_delay_alu instid0(VALU_DEP_2) | instskip(NEXT) | instid1(VALU_DEP_2)
	v_mul_f32_e32 v23, v1, v23
	v_cndmask_b32_e64 v26, 0, v25, s2
	s_delay_alu instid0(VALU_DEP_1) | instskip(NEXT) | instid1(VALU_DEP_1)
	v_cndmask_b32_e32 v25, v25, v26, vcc_lo
	v_fmac_f32_e32 v23, v0, v25
	v_mul_f32_e32 v25, v138, v44
	s_delay_alu instid0(VALU_DEP_2) | instskip(NEXT) | instid1(VALU_DEP_2)
	v_fmac_f32_e32 v23, v2, v19
	v_cndmask_b32_e64 v26, 0, v25, s0
	v_mul_f32_e32 v19, v139, v63
	s_delay_alu instid0(VALU_DEP_2) | instskip(NEXT) | instid1(VALU_DEP_2)
	v_cndmask_b32_e32 v25, v25, v26, vcc_lo
	v_cndmask_b32_e64 v26, 0, v19, s1
	s_delay_alu instid0(VALU_DEP_2) | instskip(NEXT) | instid1(VALU_DEP_2)
	v_fmac_f32_e32 v23, v3, v25
	v_dual_cndmask_b32 v19, v19, v26 :: v_dual_mul_f32 v26, v138, v60
	s_delay_alu instid0(VALU_DEP_2) | instskip(NEXT) | instid1(VALU_DEP_2)
	v_add_f32_e32 v68, v68, v23
	v_cndmask_b32_e64 v27, 0, v26, s3
	s_delay_alu instid0(VALU_DEP_1) | instskip(NEXT) | instid1(VALU_DEP_1)
	v_dual_cndmask_b32 v26, v26, v27 :: v_dual_mul_f32 v27, v139, v58
	v_mul_f32_e32 v26, v1, v26
	s_delay_alu instid0(VALU_DEP_2) | instskip(NEXT) | instid1(VALU_DEP_1)
	v_cndmask_b32_e64 v28, 0, v27, s2
	v_cndmask_b32_e32 v27, v27, v28, vcc_lo
	s_delay_alu instid0(VALU_DEP_1) | instskip(NEXT) | instid1(VALU_DEP_1)
	v_dual_fmac_f32 v26, v0, v27 :: v_dual_mul_f32 v27, v138, v57
	v_fmac_f32_e32 v26, v2, v19
	s_delay_alu instid0(VALU_DEP_2) | instskip(SKIP_1) | instid1(VALU_DEP_2)
	v_cndmask_b32_e64 v28, 0, v27, s0
	v_mul_f32_e32 v19, v139, v77
	v_cndmask_b32_e32 v27, v27, v28, vcc_lo
	s_delay_alu instid0(VALU_DEP_2) | instskip(NEXT) | instid1(VALU_DEP_2)
	v_cndmask_b32_e64 v28, 0, v19, s1
	v_fmac_f32_e32 v26, v3, v27
	s_delay_alu instid0(VALU_DEP_2) | instskip(SKIP_1) | instid1(VALU_DEP_2)
	v_cndmask_b32_e32 v19, v19, v28, vcc_lo
	s_waitcnt vmcnt(0)
	v_dual_mul_f32 v28, v138, v72 :: v_dual_add_f32 v67, v67, v26
	s_delay_alu instid0(VALU_DEP_1) | instskip(NEXT) | instid1(VALU_DEP_1)
	v_cndmask_b32_e64 v29, 0, v28, s3
	v_dual_cndmask_b32 v28, v28, v29 :: v_dual_mul_f32 v29, v139, v62
	s_delay_alu instid0(VALU_DEP_1) | instskip(NEXT) | instid1(VALU_DEP_2)
	v_mul_f32_e32 v28, v1, v28
	v_cndmask_b32_e64 v30, 0, v29, s2
	s_delay_alu instid0(VALU_DEP_1) | instskip(NEXT) | instid1(VALU_DEP_1)
	v_cndmask_b32_e32 v29, v29, v30, vcc_lo
	v_fmac_f32_e32 v28, v0, v29
	v_mul_f32_e32 v29, v138, v61
	s_delay_alu instid0(VALU_DEP_2) | instskip(NEXT) | instid1(VALU_DEP_2)
	v_fmac_f32_e32 v28, v2, v19
	v_cndmask_b32_e64 v30, 0, v29, s0
	v_mul_f32_e32 v19, v139, v91
	s_delay_alu instid0(VALU_DEP_2) | instskip(NEXT) | instid1(VALU_DEP_2)
	v_cndmask_b32_e32 v29, v29, v30, vcc_lo
	v_cndmask_b32_e64 v30, 0, v19, s1
	s_delay_alu instid0(VALU_DEP_2) | instskip(NEXT) | instid1(VALU_DEP_2)
	v_fmac_f32_e32 v28, v3, v29
	v_dual_cndmask_b32 v19, v19, v30 :: v_dual_mul_f32 v30, v138, v79
	s_delay_alu instid0(VALU_DEP_2) | instskip(NEXT) | instid1(VALU_DEP_2)
	v_add_f32_e32 v150, v150, v28
	v_cndmask_b32_e64 v31, 0, v30, s3
	s_delay_alu instid0(VALU_DEP_1) | instskip(NEXT) | instid1(VALU_DEP_1)
	v_dual_cndmask_b32 v30, v30, v31 :: v_dual_mul_f32 v31, v139, v76
	v_mul_f32_e32 v30, v1, v30
	s_delay_alu instid0(VALU_DEP_2) | instskip(NEXT) | instid1(VALU_DEP_1)
	v_cndmask_b32_e64 v35, 0, v31, s2
	v_cndmask_b32_e32 v31, v31, v35, vcc_lo
	s_delay_alu instid0(VALU_DEP_1) | instskip(NEXT) | instid1(VALU_DEP_1)
	v_dual_fmac_f32 v30, v0, v31 :: v_dual_mul_f32 v31, v138, v74
	v_dual_fmac_f32 v30, v2, v19 :: v_dual_mul_f32 v19, v139, v90
	s_delay_alu instid0(VALU_DEP_2) | instskip(NEXT) | instid1(VALU_DEP_2)
	v_cndmask_b32_e64 v35, 0, v31, s0
	v_cndmask_b32_e64 v20, 0, v19, s1
	s_delay_alu instid0(VALU_DEP_2) | instskip(NEXT) | instid1(VALU_DEP_2)
	v_cndmask_b32_e32 v31, v31, v35, vcc_lo
	v_dual_cndmask_b32 v19, v19, v20 :: v_dual_mul_f32 v20, v138, v78
	s_delay_alu instid0(VALU_DEP_2) | instskip(NEXT) | instid1(VALU_DEP_2)
	v_fmac_f32_e32 v30, v3, v31
	v_cndmask_b32_e64 v21, 0, v20, s3
	s_delay_alu instid0(VALU_DEP_1) | instskip(NEXT) | instid1(VALU_DEP_1)
	v_dual_add_f32 v151, v151, v30 :: v_dual_cndmask_b32 v20, v20, v21
	v_dual_mul_f32 v21, v139, v75 :: v_dual_mul_f32 v20, v1, v20
	s_delay_alu instid0(VALU_DEP_1) | instskip(NEXT) | instid1(VALU_DEP_1)
	v_cndmask_b32_e64 v23, 0, v21, s2
	v_cndmask_b32_e32 v21, v21, v23, vcc_lo
	s_delay_alu instid0(VALU_DEP_1) | instskip(SKIP_1) | instid1(VALU_DEP_2)
	v_fmac_f32_e32 v20, v0, v21
	v_mul_f32_e32 v21, v138, v73
	v_fmac_f32_e32 v20, v2, v19
	s_delay_alu instid0(VALU_DEP_2) | instskip(SKIP_1) | instid1(VALU_DEP_2)
	v_cndmask_b32_e64 v23, 0, v21, s0
	v_mul_f32_e32 v19, v139, v95
	v_cndmask_b32_e32 v21, v21, v23, vcc_lo
	s_delay_alu instid0(VALU_DEP_2) | instskip(NEXT) | instid1(VALU_DEP_2)
	v_cndmask_b32_e64 v23, 0, v19, s1
	v_fmac_f32_e32 v20, v3, v21
	s_delay_alu instid0(VALU_DEP_2) | instskip(SKIP_1) | instid1(VALU_DEP_3)
	v_cndmask_b32_e32 v19, v19, v23, vcc_lo
	v_mul_f32_e32 v23, v138, v92
	v_add_f32_e32 v160, v160, v20
	s_delay_alu instid0(VALU_DEP_2) | instskip(NEXT) | instid1(VALU_DEP_1)
	v_cndmask_b32_e64 v25, 0, v23, s3
	v_cndmask_b32_e32 v23, v23, v25, vcc_lo
	v_mul_f32_e32 v25, v139, v89
	s_delay_alu instid0(VALU_DEP_2) | instskip(NEXT) | instid1(VALU_DEP_2)
	v_mul_f32_e32 v23, v1, v23
	v_cndmask_b32_e64 v26, 0, v25, s2
	s_delay_alu instid0(VALU_DEP_1) | instskip(NEXT) | instid1(VALU_DEP_1)
	v_cndmask_b32_e32 v25, v25, v26, vcc_lo
	v_fmac_f32_e32 v23, v0, v25
	v_mul_f32_e32 v25, v138, v88
	s_delay_alu instid0(VALU_DEP_2) | instskip(NEXT) | instid1(VALU_DEP_2)
	v_fmac_f32_e32 v23, v2, v19
	v_cndmask_b32_e64 v26, 0, v25, s0
	v_mul_f32_e32 v19, v139, v107
	s_delay_alu instid0(VALU_DEP_2) | instskip(NEXT) | instid1(VALU_DEP_2)
	v_cndmask_b32_e32 v25, v25, v26, vcc_lo
	v_cndmask_b32_e64 v26, 0, v19, s1
	s_delay_alu instid0(VALU_DEP_2) | instskip(NEXT) | instid1(VALU_DEP_2)
	v_fmac_f32_e32 v23, v3, v25
	v_dual_cndmask_b32 v19, v19, v26 :: v_dual_mul_f32 v26, v138, v104
	s_delay_alu instid0(VALU_DEP_2) | instskip(NEXT) | instid1(VALU_DEP_2)
	v_add_f32_e32 v66, v66, v23
	v_cndmask_b32_e64 v27, 0, v26, s3
	s_delay_alu instid0(VALU_DEP_1) | instskip(NEXT) | instid1(VALU_DEP_1)
	v_dual_cndmask_b32 v26, v26, v27 :: v_dual_mul_f32 v27, v139, v94
	v_mul_f32_e32 v26, v1, v26
	s_delay_alu instid0(VALU_DEP_2) | instskip(NEXT) | instid1(VALU_DEP_1)
	v_cndmask_b32_e64 v28, 0, v27, s2
	v_cndmask_b32_e32 v27, v27, v28, vcc_lo
	s_delay_alu instid0(VALU_DEP_1) | instskip(NEXT) | instid1(VALU_DEP_1)
	v_dual_fmac_f32 v26, v0, v27 :: v_dual_mul_f32 v27, v138, v93
	v_fmac_f32_e32 v26, v2, v19
	s_delay_alu instid0(VALU_DEP_2) | instskip(SKIP_1) | instid1(VALU_DEP_2)
	v_cndmask_b32_e64 v28, 0, v27, s0
	v_mul_f32_e32 v19, v139, v121
	v_cndmask_b32_e32 v27, v27, v28, vcc_lo
	s_delay_alu instid0(VALU_DEP_2) | instskip(NEXT) | instid1(VALU_DEP_2)
	v_cndmask_b32_e64 v28, 0, v19, s1
	v_fmac_f32_e32 v26, v3, v27
	s_delay_alu instid0(VALU_DEP_2) | instskip(NEXT) | instid1(VALU_DEP_2)
	v_cndmask_b32_e32 v19, v19, v28, vcc_lo
	v_dual_mul_f32 v28, v138, v108 :: v_dual_add_f32 v65, v65, v26
	s_delay_alu instid0(VALU_DEP_1) | instskip(NEXT) | instid1(VALU_DEP_1)
	v_cndmask_b32_e64 v29, 0, v28, s3
	v_dual_cndmask_b32 v28, v28, v29 :: v_dual_mul_f32 v29, v139, v106
	s_delay_alu instid0(VALU_DEP_1) | instskip(NEXT) | instid1(VALU_DEP_2)
	v_mul_f32_e32 v28, v1, v28
	v_cndmask_b32_e64 v30, 0, v29, s2
	s_delay_alu instid0(VALU_DEP_1) | instskip(NEXT) | instid1(VALU_DEP_1)
	v_cndmask_b32_e32 v29, v29, v30, vcc_lo
	v_fmac_f32_e32 v28, v0, v29
	v_mul_f32_e32 v29, v138, v105
	s_delay_alu instid0(VALU_DEP_2) | instskip(NEXT) | instid1(VALU_DEP_2)
	v_fmac_f32_e32 v28, v2, v19
	v_cndmask_b32_e64 v30, 0, v29, s0
	v_mul_f32_e32 v19, v139, v127
	s_delay_alu instid0(VALU_DEP_2) | instskip(NEXT) | instid1(VALU_DEP_2)
	v_cndmask_b32_e32 v29, v29, v30, vcc_lo
	v_cndmask_b32_e64 v30, 0, v19, s1
	s_delay_alu instid0(VALU_DEP_2) | instskip(NEXT) | instid1(VALU_DEP_2)
	v_fmac_f32_e32 v28, v3, v29
	v_dual_cndmask_b32 v19, v19, v30 :: v_dual_mul_f32 v30, v138, v123
	s_delay_alu instid0(VALU_DEP_2) | instskip(NEXT) | instid1(VALU_DEP_2)
	v_add_f32_e32 v53, v53, v28
	v_cndmask_b32_e64 v31, 0, v30, s3
	s_delay_alu instid0(VALU_DEP_1) | instskip(NEXT) | instid1(VALU_DEP_1)
	v_dual_cndmask_b32 v30, v30, v31 :: v_dual_mul_f32 v31, v139, v120
	v_mul_f32_e32 v30, v1, v30
	s_delay_alu instid0(VALU_DEP_2) | instskip(NEXT) | instid1(VALU_DEP_1)
	v_cndmask_b32_e64 v35, 0, v31, s2
	v_cndmask_b32_e32 v31, v31, v35, vcc_lo
	s_delay_alu instid0(VALU_DEP_1) | instskip(NEXT) | instid1(VALU_DEP_1)
	v_dual_fmac_f32 v30, v0, v31 :: v_dual_mul_f32 v31, v138, v110
	v_dual_fmac_f32 v30, v2, v19 :: v_dual_mul_f32 v19, v139, v126
	s_delay_alu instid0(VALU_DEP_2) | instskip(NEXT) | instid1(VALU_DEP_2)
	v_cndmask_b32_e64 v35, 0, v31, s0
	v_cndmask_b32_e64 v20, 0, v19, s1
	s_delay_alu instid0(VALU_DEP_2) | instskip(NEXT) | instid1(VALU_DEP_2)
	v_cndmask_b32_e32 v31, v31, v35, vcc_lo
	v_dual_cndmask_b32 v19, v19, v20 :: v_dual_mul_f32 v20, v138, v122
	s_delay_alu instid0(VALU_DEP_2) | instskip(NEXT) | instid1(VALU_DEP_2)
	v_fmac_f32_e32 v30, v3, v31
	v_cndmask_b32_e64 v21, 0, v20, s3
	s_delay_alu instid0(VALU_DEP_2) | instskip(NEXT) | instid1(VALU_DEP_2)
	v_add_f32_e32 v64, v64, v30
	v_dual_cndmask_b32 v20, v20, v21 :: v_dual_mul_f32 v21, v139, v111
	s_delay_alu instid0(VALU_DEP_1) | instskip(NEXT) | instid1(VALU_DEP_2)
	v_mul_f32_e32 v20, v1, v20
	v_cndmask_b32_e64 v23, 0, v21, s2
	s_delay_alu instid0(VALU_DEP_1) | instskip(NEXT) | instid1(VALU_DEP_1)
	v_cndmask_b32_e32 v21, v21, v23, vcc_lo
	v_fmac_f32_e32 v20, v0, v21
	v_mul_f32_e32 v21, v138, v109
	s_delay_alu instid0(VALU_DEP_2) | instskip(NEXT) | instid1(VALU_DEP_2)
	v_fmac_f32_e32 v20, v2, v19
	v_cndmask_b32_e64 v23, 0, v21, s0
	v_mul_f32_e32 v19, v139, v141
	s_delay_alu instid0(VALU_DEP_2) | instskip(NEXT) | instid1(VALU_DEP_2)
	v_cndmask_b32_e32 v21, v21, v23, vcc_lo
	v_cndmask_b32_e64 v23, 0, v19, s1
	s_delay_alu instid0(VALU_DEP_2) | instskip(NEXT) | instid1(VALU_DEP_2)
	v_fmac_f32_e32 v20, v3, v21
	v_cndmask_b32_e32 v19, v19, v23, vcc_lo
	v_mul_f32_e32 v23, v138, v136
	s_delay_alu instid0(VALU_DEP_1) | instskip(NEXT) | instid1(VALU_DEP_1)
	v_cndmask_b32_e64 v25, 0, v23, s3
	v_cndmask_b32_e32 v23, v23, v25, vcc_lo
	v_mul_f32_e32 v25, v139, v125
	s_delay_alu instid0(VALU_DEP_2) | instskip(NEXT) | instid1(VALU_DEP_2)
	v_mul_f32_e32 v23, v1, v23
	v_cndmask_b32_e64 v26, 0, v25, s2
	s_delay_alu instid0(VALU_DEP_1) | instskip(NEXT) | instid1(VALU_DEP_1)
	v_cndmask_b32_e32 v25, v25, v26, vcc_lo
	v_fmac_f32_e32 v23, v0, v25
	v_mul_f32_e32 v25, v138, v124
	s_delay_alu instid0(VALU_DEP_2) | instskip(NEXT) | instid1(VALU_DEP_2)
	v_fmac_f32_e32 v23, v2, v19
	v_cndmask_b32_e64 v26, 0, v25, s0
	v_mul_f32_e32 v19, v139, v153
	s_delay_alu instid0(VALU_DEP_2) | instskip(NEXT) | instid1(VALU_DEP_2)
	v_cndmask_b32_e32 v25, v25, v26, vcc_lo
	v_cndmask_b32_e64 v26, 0, v19, s1
	s_delay_alu instid0(VALU_DEP_2) | instskip(NEXT) | instid1(VALU_DEP_2)
	v_fmac_f32_e32 v23, v3, v25
	v_cndmask_b32_e32 v19, v19, v26, vcc_lo
	s_delay_alu instid0(VALU_DEP_2) | instskip(NEXT) | instid1(VALU_DEP_1)
	v_dual_mul_f32 v26, v138, v142 :: v_dual_add_f32 v163, v163, v23
	v_cndmask_b32_e64 v27, 0, v26, s3
	s_delay_alu instid0(VALU_DEP_1) | instskip(NEXT) | instid1(VALU_DEP_1)
	v_dual_cndmask_b32 v26, v26, v27 :: v_dual_mul_f32 v27, v139, v140
	v_mul_f32_e32 v26, v1, v26
	s_delay_alu instid0(VALU_DEP_2) | instskip(NEXT) | instid1(VALU_DEP_1)
	v_cndmask_b32_e64 v28, 0, v27, s2
	v_cndmask_b32_e32 v27, v27, v28, vcc_lo
	s_delay_alu instid0(VALU_DEP_1) | instskip(NEXT) | instid1(VALU_DEP_1)
	v_dual_fmac_f32 v26, v0, v27 :: v_dual_mul_f32 v27, v138, v137
	v_fmac_f32_e32 v26, v2, v19
	s_delay_alu instid0(VALU_DEP_2) | instskip(SKIP_1) | instid1(VALU_DEP_2)
	v_cndmask_b32_e64 v28, 0, v27, s0
	v_mul_f32_e32 v19, v139, v159
	v_cndmask_b32_e32 v27, v27, v28, vcc_lo
	s_delay_alu instid0(VALU_DEP_2) | instskip(NEXT) | instid1(VALU_DEP_2)
	v_cndmask_b32_e64 v28, 0, v19, s1
	v_fmac_f32_e32 v26, v3, v27
	s_delay_alu instid0(VALU_DEP_2) | instskip(NEXT) | instid1(VALU_DEP_1)
	v_dual_cndmask_b32 v19, v19, v28 :: v_dual_mul_f32 v28, v138, v154
	v_cndmask_b32_e64 v29, 0, v28, s3
	s_delay_alu instid0(VALU_DEP_1) | instskip(NEXT) | instid1(VALU_DEP_1)
	v_dual_cndmask_b32 v28, v28, v29 :: v_dual_mul_f32 v29, v139, v152
	v_mul_f32_e32 v28, v1, v28
	s_delay_alu instid0(VALU_DEP_2) | instskip(NEXT) | instid1(VALU_DEP_1)
	v_cndmask_b32_e64 v30, 0, v29, s2
	v_cndmask_b32_e32 v29, v29, v30, vcc_lo
	s_delay_alu instid0(VALU_DEP_1) | instskip(NEXT) | instid1(VALU_DEP_1)
	v_dual_fmac_f32 v28, v0, v29 :: v_dual_mul_f32 v29, v138, v143
	v_fmac_f32_e32 v28, v2, v19
	s_delay_alu instid0(VALU_DEP_2) | instskip(SKIP_1) | instid1(VALU_DEP_2)
	v_cndmask_b32_e64 v30, 0, v29, s0
	v_mul_f32_e32 v19, v139, v173
	v_cndmask_b32_e32 v29, v29, v30, vcc_lo
	s_delay_alu instid0(VALU_DEP_2) | instskip(NEXT) | instid1(VALU_DEP_2)
	v_cndmask_b32_e64 v30, 0, v19, s1
	v_fmac_f32_e32 v28, v3, v29
	s_delay_alu instid0(VALU_DEP_2) | instskip(NEXT) | instid1(VALU_DEP_1)
	v_dual_cndmask_b32 v19, v19, v30 :: v_dual_mul_f32 v30, v138, v169
	v_cndmask_b32_e64 v31, 0, v30, s3
	s_delay_alu instid0(VALU_DEP_1) | instskip(NEXT) | instid1(VALU_DEP_1)
	v_dual_cndmask_b32 v30, v30, v31 :: v_dual_mul_f32 v31, v139, v158
	v_mul_f32_e32 v30, v1, v30
	s_delay_alu instid0(VALU_DEP_2) | instskip(NEXT) | instid1(VALU_DEP_1)
	v_cndmask_b32_e64 v35, 0, v31, s2
	v_cndmask_b32_e32 v31, v31, v35, vcc_lo
	s_delay_alu instid0(VALU_DEP_1) | instskip(NEXT) | instid1(VALU_DEP_1)
	v_dual_fmac_f32 v30, v0, v31 :: v_dual_mul_f32 v31, v138, v156
	v_fmac_f32_e32 v30, v2, v19
	scratch_load_b32 v19, off, s32 offset:1720 ; 4-byte Folded Reload
	v_cndmask_b32_e64 v35, 0, v31, s0
	s_delay_alu instid0(VALU_DEP_1)
	v_dual_add_f32 v96, v96, v36 :: v_dual_cndmask_b32 v31, v31, v35
	scratch_load_b32 v35, off, s32 offset:1860 ; 4-byte Folded Reload
	v_fmac_f32_e32 v30, v3, v31
	s_waitcnt vmcnt(1)
	v_add_f32_e32 v19, v19, v26
	scratch_store_b32 off, v19, s32 offset:1720 ; 4-byte Folded Spill
	scratch_load_b32 v19, off, s32 offset:1724 ; 4-byte Folded Reload
	v_add_f32_e32 v145, v145, v39
	s_waitcnt vmcnt(0)
	v_add_f32_e32 v19, v19, v28
	scratch_store_b32 off, v19, s32 offset:1724 ; 4-byte Folded Spill
	scratch_load_b32 v19, off, s32 offset:1728 ; 4-byte Folded Reload
	v_add_f32_e32 v161, v161, v20
	s_waitcnt vmcnt(0)
	v_add_f32_e32 v19, v19, v30
	scratch_store_b32 off, v19, s32 offset:1728 ; 4-byte Folded Spill
	v_mul_f32_e32 v19, v139, v172
	s_delay_alu instid0(VALU_DEP_1) | instskip(NEXT) | instid1(VALU_DEP_1)
	v_cndmask_b32_e64 v20, 0, v19, s1
	v_cndmask_b32_e32 v19, v19, v20, vcc_lo
	v_mul_f32_e32 v20, v138, v168
	s_delay_alu instid0(VALU_DEP_1) | instskip(NEXT) | instid1(VALU_DEP_1)
	v_cndmask_b32_e64 v21, 0, v20, s3
	v_cndmask_b32_e32 v20, v20, v21, vcc_lo
	s_delay_alu instid0(VALU_DEP_1) | instskip(NEXT) | instid1(VALU_DEP_1)
	v_dual_mul_f32 v21, v139, v157 :: v_dual_mul_f32 v20, v1, v20
	v_cndmask_b32_e64 v23, 0, v21, s2
	s_delay_alu instid0(VALU_DEP_1) | instskip(NEXT) | instid1(VALU_DEP_1)
	v_cndmask_b32_e32 v21, v21, v23, vcc_lo
	v_dual_fmac_f32 v20, v0, v21 :: v_dual_mul_f32 v21, v138, v155
	s_delay_alu instid0(VALU_DEP_1) | instskip(NEXT) | instid1(VALU_DEP_2)
	v_fmac_f32_e32 v20, v2, v19
	v_cndmask_b32_e64 v23, 0, v21, s0
	v_mul_f32_e32 v19, v139, v185
	s_delay_alu instid0(VALU_DEP_2) | instskip(NEXT) | instid1(VALU_DEP_2)
	v_cndmask_b32_e32 v21, v21, v23, vcc_lo
	v_cndmask_b32_e64 v23, 0, v19, s1
	s_delay_alu instid0(VALU_DEP_2) | instskip(NEXT) | instid1(VALU_DEP_2)
	v_fmac_f32_e32 v20, v3, v21
	v_cndmask_b32_e32 v19, v19, v23, vcc_lo
	v_mul_f32_e32 v23, v138, v174
	s_delay_alu instid0(VALU_DEP_1) | instskip(NEXT) | instid1(VALU_DEP_1)
	v_cndmask_b32_e64 v25, 0, v23, s3
	v_cndmask_b32_e32 v23, v23, v25, vcc_lo
	v_mul_f32_e32 v25, v139, v171
	s_delay_alu instid0(VALU_DEP_2) | instskip(NEXT) | instid1(VALU_DEP_2)
	v_mul_f32_e32 v23, v1, v23
	v_cndmask_b32_e64 v26, 0, v25, s2
	s_delay_alu instid0(VALU_DEP_1) | instskip(NEXT) | instid1(VALU_DEP_1)
	v_cndmask_b32_e32 v25, v25, v26, vcc_lo
	v_fmac_f32_e32 v23, v0, v25
	v_mul_f32_e32 v25, v138, v170
	s_delay_alu instid0(VALU_DEP_2) | instskip(NEXT) | instid1(VALU_DEP_2)
	v_fmac_f32_e32 v23, v2, v19
	v_cndmask_b32_e64 v26, 0, v25, s0
	v_mul_f32_e32 v19, v139, v189
	s_delay_alu instid0(VALU_DEP_2) | instskip(NEXT) | instid1(VALU_DEP_2)
	v_cndmask_b32_e32 v25, v25, v26, vcc_lo
	v_cndmask_b32_e64 v26, 0, v19, s1
	s_delay_alu instid0(VALU_DEP_2) | instskip(NEXT) | instid1(VALU_DEP_2)
	v_fmac_f32_e32 v23, v3, v25
	v_cndmask_b32_e32 v19, v19, v26, vcc_lo
	v_mul_f32_e32 v26, v138, v186
	s_delay_alu instid0(VALU_DEP_1) | instskip(NEXT) | instid1(VALU_DEP_1)
	v_cndmask_b32_e64 v27, 0, v26, s3
	v_dual_cndmask_b32 v26, v26, v27 :: v_dual_mul_f32 v27, v139, v184
	s_delay_alu instid0(VALU_DEP_1) | instskip(NEXT) | instid1(VALU_DEP_2)
	v_mul_f32_e32 v26, v1, v26
	v_cndmask_b32_e64 v28, 0, v27, s2
	s_delay_alu instid0(VALU_DEP_1) | instskip(NEXT) | instid1(VALU_DEP_1)
	v_cndmask_b32_e32 v27, v27, v28, vcc_lo
	v_fmac_f32_e32 v26, v0, v27
	v_mul_f32_e32 v27, v138, v175
	s_delay_alu instid0(VALU_DEP_2) | instskip(NEXT) | instid1(VALU_DEP_2)
	v_fmac_f32_e32 v26, v2, v19
	v_cndmask_b32_e64 v28, 0, v27, s0
	v_mul_f32_e32 v19, v139, v70
	scratch_load_b32 v70, off, s32 offset:1876 ; 4-byte Folded Reload
	v_cndmask_b32_e32 v27, v27, v28, vcc_lo
	v_cndmask_b32_e64 v28, 0, v19, s1
	s_delay_alu instid0(VALU_DEP_2) | instskip(NEXT) | instid1(VALU_DEP_2)
	v_fmac_f32_e32 v26, v3, v27
	v_dual_cndmask_b32 v19, v19, v28 :: v_dual_mul_f32 v28, v138, v190
	s_delay_alu instid0(VALU_DEP_1) | instskip(NEXT) | instid1(VALU_DEP_1)
	v_cndmask_b32_e64 v29, 0, v28, s3
	v_dual_cndmask_b32 v28, v28, v29 :: v_dual_mul_f32 v29, v139, v188
	s_delay_alu instid0(VALU_DEP_1) | instskip(NEXT) | instid1(VALU_DEP_2)
	v_mul_f32_e32 v28, v1, v28
	v_cndmask_b32_e64 v30, 0, v29, s2
	s_delay_alu instid0(VALU_DEP_1) | instskip(NEXT) | instid1(VALU_DEP_1)
	v_cndmask_b32_e32 v29, v29, v30, vcc_lo
	v_dual_fmac_f32 v28, v0, v29 :: v_dual_mul_f32 v29, v138, v187
	s_delay_alu instid0(VALU_DEP_1) | instskip(SKIP_1) | instid1(VALU_DEP_3)
	v_fmac_f32_e32 v28, v2, v19
	v_cndmask_b32_e64 v19, 0, v15, s1
	v_cndmask_b32_e64 v30, 0, v29, s0
	s_delay_alu instid0(VALU_DEP_2) | instskip(SKIP_1) | instid1(VALU_DEP_3)
	v_cndmask_b32_e32 v15, v15, v19, vcc_lo
	v_mul_f32_e32 v19, v138, v32
	v_cndmask_b32_e32 v29, v29, v30, vcc_lo
	s_delay_alu instid0(VALU_DEP_2) | instskip(NEXT) | instid1(VALU_DEP_1)
	v_cndmask_b32_e64 v30, 0, v19, s3
	v_cndmask_b32_e32 v19, v19, v30, vcc_lo
	s_delay_alu instid0(VALU_DEP_1) | instskip(NEXT) | instid1(VALU_DEP_1)
	v_dual_mul_f32 v30, v139, v101 :: v_dual_mul_f32 v19, v1, v19
	v_cndmask_b32_e64 v31, 0, v30, s2
	s_delay_alu instid0(VALU_DEP_1) | instskip(SKIP_3) | instid1(VALU_DEP_2)
	v_cndmask_b32_e32 v30, v30, v31, vcc_lo
	scratch_load_b32 v31, off, s32 offset:1880 ; 4-byte Folded Reload
	v_fmac_f32_e32 v19, v0, v30
	v_cndmask_b32_e64 v30, 0, v18, s0
	v_fmac_f32_e32 v19, v2, v15
	scratch_load_b32 v15, off, s32 offset:1732 ; 4-byte Folded Reload
	v_cndmask_b32_e32 v18, v18, v30, vcc_lo
	s_delay_alu instid0(VALU_DEP_1)
	v_fmac_f32_e32 v19, v3, v18
	s_waitcnt vmcnt(0)
	v_add_f32_e32 v15, v15, v20
	scratch_store_b32 off, v15, s32 offset:1732 ; 4-byte Folded Spill
	scratch_load_b32 v15, off, s32 offset:1736 ; 4-byte Folded Reload
	s_waitcnt vmcnt(0)
	v_add_f32_e32 v15, v15, v23
	scratch_store_b32 off, v15, s32 offset:1736 ; 4-byte Folded Spill
	scratch_load_b32 v15, off, s32 offset:1740 ; 4-byte Folded Reload
	;; [unrolled: 4-line block ×3, first 2 shown]
	s_waitcnt vmcnt(0)
	v_add_f32_e32 v15, v15, v19
	scratch_store_b32 off, v15, s32 offset:1744 ; 4-byte Folded Spill
	v_mul_f32_e32 v15, v139, v17
	s_delay_alu instid0(VALU_DEP_1) | instskip(NEXT) | instid1(VALU_DEP_1)
	v_cndmask_b32_e64 v17, 0, v15, s1
	v_cndmask_b32_e32 v15, v15, v17, vcc_lo
	v_mul_f32_e32 v17, v138, v50
	s_delay_alu instid0(VALU_DEP_1) | instskip(NEXT) | instid1(VALU_DEP_1)
	v_cndmask_b32_e64 v18, 0, v17, s3
	v_dual_cndmask_b32 v17, v17, v18 :: v_dual_mul_f32 v18, v139, v100
	s_delay_alu instid0(VALU_DEP_1) | instskip(NEXT) | instid1(VALU_DEP_2)
	v_mul_f32_e32 v17, v1, v17
	v_cndmask_b32_e64 v19, 0, v18, s2
	s_delay_alu instid0(VALU_DEP_1) | instskip(NEXT) | instid1(VALU_DEP_1)
	v_cndmask_b32_e32 v18, v18, v19, vcc_lo
	v_dual_fmac_f32 v17, v0, v18 :: v_dual_mul_f32 v18, v138, v191
	s_delay_alu instid0(VALU_DEP_1) | instskip(SKIP_1) | instid1(VALU_DEP_3)
	v_fmac_f32_e32 v17, v2, v15
	v_cndmask_b32_e64 v15, 0, v12, s1
	v_cndmask_b32_e64 v19, 0, v18, s0
	s_delay_alu instid0(VALU_DEP_2) | instskip(NEXT) | instid1(VALU_DEP_2)
	v_dual_cndmask_b32 v12, v12, v15 :: v_dual_mul_f32 v15, v138, v16
	v_cndmask_b32_e32 v18, v18, v19, vcc_lo
	s_delay_alu instid0(VALU_DEP_2) | instskip(NEXT) | instid1(VALU_DEP_2)
	v_cndmask_b32_e64 v16, 0, v15, s3
	v_fmac_f32_e32 v17, v3, v18
	s_delay_alu instid0(VALU_DEP_2) | instskip(SKIP_1) | instid1(VALU_DEP_2)
	v_cndmask_b32_e32 v15, v15, v16, vcc_lo
	v_mul_f32_e32 v16, v139, v81
	v_dual_add_f32 v48, v48, v17 :: v_dual_mul_f32 v15, v1, v15
	s_delay_alu instid0(VALU_DEP_2) | instskip(NEXT) | instid1(VALU_DEP_1)
	v_cndmask_b32_e64 v19, 0, v16, s2
	v_cndmask_b32_e32 v16, v16, v19, vcc_lo
	s_delay_alu instid0(VALU_DEP_1) | instskip(SKIP_1) | instid1(VALU_DEP_2)
	v_fmac_f32_e32 v15, v0, v16
	v_mul_f32_e32 v16, v138, v80
	v_fmac_f32_e32 v15, v2, v12
	v_cndmask_b32_e64 v12, 0, v7, s1
	s_delay_alu instid0(VALU_DEP_3) | instskip(NEXT) | instid1(VALU_DEP_2)
	v_cndmask_b32_e64 v19, 0, v16, s0
	v_cndmask_b32_e32 v7, v7, v12, vcc_lo
	v_cndmask_b32_e64 v12, 0, v11, s3
	s_delay_alu instid0(VALU_DEP_1) | instskip(SKIP_1) | instid1(VALU_DEP_2)
	v_dual_cndmask_b32 v16, v16, v19 :: v_dual_cndmask_b32 v11, v11, v12
	v_mul_f32_e32 v12, v139, v13
	v_fmac_f32_e32 v15, v3, v16
	s_delay_alu instid0(VALU_DEP_3) | instskip(NEXT) | instid1(VALU_DEP_3)
	v_mul_f32_e32 v11, v1, v11
	v_cndmask_b32_e64 v13, 0, v12, s2
	s_delay_alu instid0(VALU_DEP_1) | instskip(NEXT) | instid1(VALU_DEP_1)
	v_dual_add_f32 v51, v51, v15 :: v_dual_cndmask_b32 v12, v12, v13
	v_dual_fmac_f32 v11, v0, v12 :: v_dual_mul_f32 v12, v138, v14
	s_delay_alu instid0(VALU_DEP_1) | instskip(NEXT) | instid1(VALU_DEP_2)
	v_fmac_f32_e32 v11, v2, v7
	v_cndmask_b32_e64 v13, 0, v12, s0
	v_mul_f32_e32 v7, v139, v33
	s_delay_alu instid0(VALU_DEP_2) | instskip(NEXT) | instid1(VALU_DEP_2)
	v_cndmask_b32_e32 v12, v12, v13, vcc_lo
	v_cndmask_b32_e64 v13, 0, v7, s1
	s_delay_alu instid0(VALU_DEP_2) | instskip(NEXT) | instid1(VALU_DEP_2)
	v_fmac_f32_e32 v11, v3, v12
	v_cndmask_b32_e32 v7, v7, v13, vcc_lo
	v_cndmask_b32_e64 v13, 0, v5, s3
	s_delay_alu instid0(VALU_DEP_1) | instskip(SKIP_1) | instid1(VALU_DEP_2)
	v_dual_add_f32 v52, v52, v11 :: v_dual_cndmask_b32 v5, v5, v13
	v_cndmask_b32_e64 v13, 0, v8, s2
	v_mul_f32_e32 v5, v1, v5
	s_delay_alu instid0(VALU_DEP_2) | instskip(NEXT) | instid1(VALU_DEP_1)
	v_cndmask_b32_e32 v8, v8, v13, vcc_lo
	v_dual_fmac_f32 v5, v0, v8 :: v_dual_mul_f32 v8, v138, v10
	s_delay_alu instid0(VALU_DEP_1) | instskip(NEXT) | instid1(VALU_DEP_2)
	v_fmac_f32_e32 v5, v2, v7
	v_cndmask_b32_e64 v10, 0, v8, s0
	v_mul_f32_e32 v7, v139, v22
	s_delay_alu instid0(VALU_DEP_2) | instskip(NEXT) | instid1(VALU_DEP_2)
	v_cndmask_b32_e32 v8, v8, v10, vcc_lo
	v_cndmask_b32_e64 v10, 0, v7, s1
	s_delay_alu instid0(VALU_DEP_2) | instskip(NEXT) | instid1(VALU_DEP_2)
	v_fmac_f32_e32 v5, v3, v8
	v_cndmask_b32_e32 v7, v7, v10, vcc_lo
	v_mul_f32_e32 v10, v138, v34
	s_delay_alu instid0(VALU_DEP_3) | instskip(SKIP_1) | instid1(VALU_DEP_3)
	v_add_f32_e32 v70, v70, v5
	v_mul_f32_e32 v5, v138, v38
	v_cndmask_b32_e64 v13, 0, v10, s3
	s_delay_alu instid0(VALU_DEP_1) | instskip(NEXT) | instid1(VALU_DEP_1)
	v_dual_cndmask_b32 v10, v10, v13 :: v_dual_mul_f32 v13, v139, v162
	v_mul_f32_e32 v10, v1, v10
	s_delay_alu instid0(VALU_DEP_2) | instskip(NEXT) | instid1(VALU_DEP_1)
	v_cndmask_b32_e64 v14, 0, v13, s2
	v_cndmask_b32_e32 v13, v13, v14, vcc_lo
	s_delay_alu instid0(VALU_DEP_1) | instskip(SKIP_1) | instid1(VALU_DEP_2)
	v_fmac_f32_e32 v10, v0, v13
	v_cndmask_b32_e64 v13, 0, v4, s0
	v_fmac_f32_e32 v10, v2, v7
	s_delay_alu instid0(VALU_DEP_2) | instskip(NEXT) | instid1(VALU_DEP_1)
	v_cndmask_b32_e32 v4, v4, v13, vcc_lo
	v_fmac_f32_e32 v10, v3, v4
	v_mul_f32_e32 v4, v139, v84
	s_delay_alu instid0(VALU_DEP_2)
	v_add_f32_e32 v31, v31, v10
	s_clause 0x1
	scratch_load_b64 v[10:11], off, s32 offset:664
	scratch_load_b64 v[12:13], off, s32 offset:672
	s_waitcnt vmcnt(0)
	v_or_b32_e32 v7, v11, v13
	scratch_load_b32 v11, off, s32 offset:696 ; 4-byte Folded Reload
	v_or_b32_e32 v8, v10, v12
	v_cndmask_b32_e64 v10, 0, v5, s3
	v_cndmask_b32_e64 v12, 0, v6, s0
	;; [unrolled: 1-line block ×3, first 2 shown]
	s_delay_alu instid0(VALU_DEP_4) | instskip(NEXT) | instid1(VALU_DEP_3)
	v_mul_f32_e32 v8, v139, v8
	v_dual_cndmask_b32 v10, v5, v10 :: v_dual_cndmask_b32 v5, v6, v12
	s_delay_alu instid0(VALU_DEP_3) | instskip(SKIP_1) | instid1(VALU_DEP_3)
	v_cndmask_b32_e32 v12, v4, v13, vcc_lo
	v_mul_f32_e32 v6, v138, v7
	v_mul_f32_e32 v4, v1, v10
	s_delay_alu instid0(VALU_DEP_1) | instskip(SKIP_2) | instid1(VALU_DEP_1)
	v_fmac_f32_e32 v4, v0, v12
	v_cndmask_b32_e64 v12, 0, v8, s2
	s_waitcnt vmcnt(0)
	v_dual_cndmask_b32 v8, v8, v12 :: v_dual_mul_f32 v11, v139, v11
	s_delay_alu instid0(VALU_DEP_1) | instskip(NEXT) | instid1(VALU_DEP_1)
	v_cndmask_b32_e64 v14, 0, v11, s1
	v_cndmask_b32_e32 v7, v11, v14, vcc_lo
	s_clause 0x1
	scratch_load_b64 v[13:14], off, s32 offset:680
	scratch_load_b64 v[15:16], off, s32 offset:688
	v_cndmask_b32_e64 v11, 0, v6, s3
	v_fmac_f32_e32 v4, v2, v7
	s_delay_alu instid0(VALU_DEP_2) | instskip(NEXT) | instid1(VALU_DEP_2)
	v_cndmask_b32_e32 v6, v6, v11, vcc_lo
	v_fmac_f32_e32 v4, v3, v5
	s_delay_alu instid0(VALU_DEP_2) | instskip(NEXT) | instid1(VALU_DEP_1)
	v_mul_f32_e32 v6, v1, v6
	v_fmac_f32_e32 v6, v0, v8
	s_waitcnt vmcnt(0)
	v_or_b32_e32 v10, v13, v15
	v_or_b32_e32 v13, v14, v16
	s_delay_alu instid0(VALU_DEP_1)
	v_dual_mul_f32 v10, v139, v10 :: v_dual_mul_f32 v7, v138, v13
	s_clause 0x2
	scratch_load_b64 v[12:13], off, s32 offset:632
	scratch_load_b64 v[14:15], off, s32 offset:640
	scratch_load_b32 v32, off, s32 offset:1884
	v_cndmask_b32_e64 v11, 0, v10, s1
	v_cndmask_b32_e64 v5, 0, v7, s0
	s_delay_alu instid0(VALU_DEP_2) | instskip(NEXT) | instid1(VALU_DEP_1)
	v_cndmask_b32_e32 v10, v10, v11, vcc_lo
	v_fmac_f32_e32 v6, v2, v10
	s_waitcnt vmcnt(1)
	v_or_b32_e32 v11, v13, v15
	s_waitcnt vmcnt(0)
	v_add_f32_e32 v32, v32, v4
	v_cndmask_b32_e32 v4, v7, v5, vcc_lo
	v_or_b32_e32 v5, v12, v14
	v_mul_f32_e32 v7, v138, v11
	s_clause 0x2
	scratch_load_b64 v[10:11], off, s32 offset:648
	scratch_load_b64 v[12:13], off, s32 offset:656
	scratch_load_b32 v33, off, s32 offset:1888
	v_mul_f32_e32 v5, v139, v5
	v_fmac_f32_e32 v6, v3, v4
	s_waitcnt vmcnt(1)
	v_or_b32_e32 v8, v11, v13
	v_or_b32_e32 v10, v10, v12
	s_clause 0x1
	scratch_load_b64 v[12:13], off, s32 offset:600
	scratch_load_b64 v[14:15], off, s32 offset:608
	v_cndmask_b32_e64 v11, 0, v7, s3
	s_waitcnt vmcnt(2)
	v_dual_add_f32 v33, v33, v6 :: v_dual_mul_f32 v4, v138, v8
	v_mul_f32_e32 v8, v139, v10
	v_cndmask_b32_e64 v10, 0, v5, s2
	v_cndmask_b32_e32 v7, v7, v11, vcc_lo
	s_delay_alu instid0(VALU_DEP_4) | instskip(NEXT) | instid1(VALU_DEP_4)
	v_cndmask_b32_e64 v6, 0, v4, s0
	v_cndmask_b32_e64 v11, 0, v8, s1
	s_delay_alu instid0(VALU_DEP_4) | instskip(NEXT) | instid1(VALU_DEP_3)
	v_cndmask_b32_e32 v5, v5, v10, vcc_lo
	v_dual_mul_f32 v7, v1, v7 :: v_dual_cndmask_b32 v4, v4, v6
	s_delay_alu instid0(VALU_DEP_3) | instskip(NEXT) | instid1(VALU_DEP_2)
	v_cndmask_b32_e32 v6, v8, v11, vcc_lo
	v_fmac_f32_e32 v7, v0, v5
	s_delay_alu instid0(VALU_DEP_1) | instskip(NEXT) | instid1(VALU_DEP_1)
	v_fmac_f32_e32 v7, v2, v6
	v_fmac_f32_e32 v7, v3, v4
	s_waitcnt vmcnt(0)
	v_or_b32_e32 v10, v13, v15
	v_or_b32_e32 v8, v12, v14
	s_clause 0x1
	scratch_load_b64 v[11:12], off, s32 offset:616
	scratch_load_b64 v[13:14], off, s32 offset:624
	v_dual_mul_f32 v5, v138, v10 :: v_dual_mul_f32 v8, v139, v8
	s_delay_alu instid0(VALU_DEP_1) | instskip(NEXT) | instid1(VALU_DEP_1)
	v_cndmask_b32_e64 v6, 0, v5, s3
	v_cndmask_b32_e32 v4, v5, v6, vcc_lo
	s_delay_alu instid0(VALU_DEP_1)
	v_mul_f32_e32 v4, v1, v4
	s_waitcnt vmcnt(0)
	v_or_b32_e32 v10, v12, v14
	v_or_b32_e32 v11, v11, v13
	s_clause 0x1
	scratch_load_b64 v[13:14], off, s32 offset:568
	scratch_load_b64 v[15:16], off, s32 offset:576
	v_cndmask_b32_e64 v12, 0, v8, s2
	v_dual_mul_f32 v10, v138, v10 :: v_dual_mul_f32 v11, v139, v11
	s_delay_alu instid0(VALU_DEP_2) | instskip(NEXT) | instid1(VALU_DEP_2)
	v_cndmask_b32_e32 v8, v8, v12, vcc_lo
	v_cndmask_b32_e64 v5, 0, v10, s0
	s_delay_alu instid0(VALU_DEP_3) | instskip(NEXT) | instid1(VALU_DEP_2)
	v_cndmask_b32_e64 v6, 0, v11, s1
	v_dual_fmac_f32 v4, v0, v8 :: v_dual_cndmask_b32 v5, v10, v5
	s_delay_alu instid0(VALU_DEP_2) | instskip(NEXT) | instid1(VALU_DEP_1)
	v_cndmask_b32_e32 v6, v11, v6, vcc_lo
	v_fmac_f32_e32 v4, v2, v6
	s_delay_alu instid0(VALU_DEP_1) | instskip(SKIP_4) | instid1(VALU_DEP_2)
	v_fmac_f32_e32 v4, v3, v5
	v_fmac_f32_e32 v28, v3, v29
	s_waitcnt vmcnt(0)
	v_or_b32_e32 v12, v14, v16
	v_or_b32_e32 v10, v13, v15
	v_mul_f32_e32 v11, v138, v12
	s_clause 0x3
	scratch_load_b64 v[12:13], off, s32 offset:584
	scratch_load_b64 v[14:15], off, s32 offset:592
	scratch_load_b32 v34, off, s32 offset:1892
	scratch_load_b32 v84, off, s32 offset:1896
	v_mul_f32_e32 v10, v139, v10
	s_waitcnt vmcnt(2)
	v_or_b32_e32 v8, v12, v14
	v_or_b32_e32 v12, v13, v15
	v_cndmask_b32_e64 v13, 0, v11, s3
	s_waitcnt vmcnt(0)
	v_add_f32_e32 v84, v84, v4
	v_add_f32_e32 v34, v34, v7
	v_mul_f32_e32 v6, v139, v8
	v_mul_f32_e32 v8, v138, v12
	v_cndmask_b32_e64 v12, 0, v10, s2
	v_cndmask_b32_e32 v11, v11, v13, vcc_lo
	s_delay_alu instid0(VALU_DEP_4) | instskip(NEXT) | instid1(VALU_DEP_4)
	v_cndmask_b32_e64 v5, 0, v6, s1
	v_cndmask_b32_e64 v13, 0, v8, s0
	s_delay_alu instid0(VALU_DEP_3) | instskip(NEXT) | instid1(VALU_DEP_3)
	v_dual_cndmask_b32 v10, v10, v12 :: v_dual_mul_f32 v11, v1, v11
	v_cndmask_b32_e32 v5, v6, v5, vcc_lo
	s_delay_alu instid0(VALU_DEP_3) | instskip(SKIP_4) | instid1(VALU_DEP_1)
	v_cndmask_b32_e32 v4, v8, v13, vcc_lo
	s_clause 0x1
	scratch_load_b64 v[12:13], off, s32 offset:536
	scratch_load_b64 v[14:15], off, s32 offset:544
	v_fmac_f32_e32 v11, v0, v10
	v_fmac_f32_e32 v11, v2, v5
	s_delay_alu instid0(VALU_DEP_1)
	v_fmac_f32_e32 v11, v3, v4
	s_waitcnt vmcnt(0)
	v_or_b32_e32 v6, v15, v13
	s_clause 0x1
	scratch_load_b64 v[15:16], off, s32 offset:552
	scratch_load_b64 v[17:18], off, s32 offset:560
	v_or_b32_e32 v8, v14, v12
	v_mul_f32_e32 v5, v138, v6
	s_delay_alu instid0(VALU_DEP_1) | instskip(NEXT) | instid1(VALU_DEP_1)
	v_cndmask_b32_e64 v4, 0, v5, s3
	v_cndmask_b32_e32 v4, v5, v4, vcc_lo
	s_delay_alu instid0(VALU_DEP_1)
	v_mul_f32_e32 v4, v1, v4
	s_waitcnt vmcnt(0)
	v_or_b32_e32 v7, v16, v18
	v_or_b32_e32 v10, v15, v17
	s_clause 0x1
	scratch_load_b64 v[15:16], off, s32 offset:504
	scratch_load_b64 v[17:18], off, s32 offset:512
	v_dual_mul_f32 v6, v138, v7 :: v_dual_mul_f32 v7, v139, v8
	v_mul_f32_e32 v8, v139, v10
	s_delay_alu instid0(VALU_DEP_2) | instskip(NEXT) | instid1(VALU_DEP_3)
	v_cndmask_b32_e64 v10, 0, v6, s0
	v_cndmask_b32_e64 v12, 0, v7, s2
	s_delay_alu instid0(VALU_DEP_3) | instskip(NEXT) | instid1(VALU_DEP_2)
	v_cndmask_b32_e64 v13, 0, v8, s1
	v_dual_cndmask_b32 v5, v6, v10 :: v_dual_cndmask_b32 v6, v7, v12
	s_delay_alu instid0(VALU_DEP_2) | instskip(NEXT) | instid1(VALU_DEP_2)
	v_cndmask_b32_e32 v8, v8, v13, vcc_lo
	v_fmac_f32_e32 v4, v0, v6
	s_delay_alu instid0(VALU_DEP_1) | instskip(NEXT) | instid1(VALU_DEP_1)
	v_fmac_f32_e32 v4, v2, v8
	v_fmac_f32_e32 v4, v3, v5
	s_waitcnt vmcnt(0)
	v_or_b32_e32 v14, v18, v16
	v_or_b32_e32 v7, v17, v15
	s_delay_alu instid0(VALU_DEP_2)
	v_mul_f32_e32 v10, v138, v14
	s_clause 0x2
	scratch_load_b64 v[13:14], off, s32 offset:520
	scratch_load_b64 v[15:16], off, s32 offset:528
	scratch_load_b32 v25, off, s32 offset:1900
	v_mul_f32_e32 v7, v139, v7
	s_waitcnt vmcnt(1)
	v_or_b32_e32 v12, v15, v13
	v_cndmask_b32_e64 v13, 0, v10, s3
	v_or_b32_e32 v6, v16, v14
	v_cndmask_b32_e64 v14, 0, v7, s2
	s_waitcnt vmcnt(0)
	v_dual_add_f32 v25, v25, v11 :: v_dual_mul_f32 v12, v139, v12
	v_cndmask_b32_e32 v10, v10, v13, vcc_lo
	v_mul_f32_e32 v6, v138, v6
	v_cndmask_b32_e32 v7, v7, v14, vcc_lo
	s_delay_alu instid0(VALU_DEP_4) | instskip(NEXT) | instid1(VALU_DEP_4)
	v_cndmask_b32_e64 v8, 0, v12, s1
	v_mul_f32_e32 v10, v1, v10
	s_delay_alu instid0(VALU_DEP_4) | instskip(SKIP_1) | instid1(VALU_DEP_4)
	v_cndmask_b32_e64 v5, 0, v6, s0
	v_add_f32_e32 v35, v35, v28
	v_cndmask_b32_e32 v8, v12, v8, vcc_lo
	s_delay_alu instid0(VALU_DEP_4)
	v_fmac_f32_e32 v10, v0, v7
	s_clause 0x2
	scratch_load_b64 v[11:12], off, s32 offset:472
	scratch_load_b64 v[13:14], off, s32 offset:480
	scratch_load_b32 v26, off, s32 offset:1904
	v_fmac_f32_e32 v10, v2, v8
	s_waitcnt vmcnt(1)
	v_or_b32_e32 v7, v14, v12
	s_waitcnt vmcnt(0)
	v_add_f32_e32 v26, v26, v4
	v_cndmask_b32_e32 v4, v6, v5, vcc_lo
	v_or_b32_e32 v5, v13, v11
	s_clause 0x2
	scratch_load_b64 v[11:12], off, s32 offset:488
	scratch_load_b64 v[13:14], off, s32 offset:496
	scratch_load_b32 v27, off, s32 offset:1908
	v_mul_f32_e32 v6, v138, v7
	v_fmac_f32_e32 v10, v3, v4
	v_mul_f32_e32 v5, v139, v5
	s_delay_alu instid0(VALU_DEP_3) | instskip(NEXT) | instid1(VALU_DEP_1)
	v_cndmask_b32_e64 v4, 0, v6, s3
	v_cndmask_b32_e32 v4, v6, v4, vcc_lo
	s_delay_alu instid0(VALU_DEP_1)
	v_mul_f32_e32 v4, v1, v4
	s_waitcnt vmcnt(1)
	v_or_b32_e32 v7, v14, v12
	v_or_b32_e32 v8, v13, v11
	s_clause 0x1
	scratch_load_b64 v[12:13], off, s32 offset:440
	scratch_load_b64 v[14:15], off, s32 offset:448
	v_cndmask_b32_e64 v11, 0, v5, s2
	s_waitcnt vmcnt(2)
	v_add_f32_e32 v27, v27, v10
	v_dual_mul_f32 v7, v138, v7 :: v_dual_mul_f32 v8, v139, v8
	s_delay_alu instid0(VALU_DEP_3) | instskip(NEXT) | instid1(VALU_DEP_2)
	v_cndmask_b32_e32 v5, v5, v11, vcc_lo
	v_cndmask_b32_e64 v6, 0, v7, s0
	s_delay_alu instid0(VALU_DEP_3) | instskip(NEXT) | instid1(VALU_DEP_3)
	v_cndmask_b32_e64 v10, 0, v8, s1
	v_fmac_f32_e32 v4, v0, v5
	s_delay_alu instid0(VALU_DEP_3) | instskip(NEXT) | instid1(VALU_DEP_3)
	v_cndmask_b32_e32 v6, v7, v6, vcc_lo
	v_cndmask_b32_e32 v7, v8, v10, vcc_lo
	s_delay_alu instid0(VALU_DEP_1) | instskip(NEXT) | instid1(VALU_DEP_1)
	v_fmac_f32_e32 v4, v2, v7
	v_fmac_f32_e32 v4, v3, v6
	s_waitcnt vmcnt(0)
	v_or_b32_e32 v11, v15, v13
	v_or_b32_e32 v8, v14, v12
	s_delay_alu instid0(VALU_DEP_2)
	v_mul_f32_e32 v10, v138, v11
	s_clause 0x2
	scratch_load_b64 v[11:12], off, s32 offset:456
	scratch_load_b64 v[13:14], off, s32 offset:464
	scratch_load_b32 v28, off, s32 offset:1912
	v_mul_f32_e32 v8, v139, v8
	s_waitcnt vmcnt(1)
	v_or_b32_e32 v5, v14, v12
	v_or_b32_e32 v11, v13, v11
	s_clause 0x1
	scratch_load_b64 v[13:14], off, s32 offset:408
	scratch_load_b64 v[15:16], off, s32 offset:416
	v_cndmask_b32_e64 v12, 0, v10, s3
	s_waitcnt vmcnt(2)
	v_dual_add_f32 v28, v28, v4 :: v_dual_mul_f32 v5, v138, v5
	v_mul_f32_e32 v7, v139, v11
	v_cndmask_b32_e64 v11, 0, v8, s2
	v_cndmask_b32_e32 v10, v10, v12, vcc_lo
	s_delay_alu instid0(VALU_DEP_4) | instskip(NEXT) | instid1(VALU_DEP_4)
	v_cndmask_b32_e64 v6, 0, v5, s0
	v_cndmask_b32_e64 v12, 0, v7, s1
	s_delay_alu instid0(VALU_DEP_4) | instskip(NEXT) | instid1(VALU_DEP_4)
	v_cndmask_b32_e32 v8, v8, v11, vcc_lo
	v_mul_f32_e32 v10, v1, v10
	s_delay_alu instid0(VALU_DEP_4) | instskip(NEXT) | instid1(VALU_DEP_4)
	v_cndmask_b32_e32 v4, v5, v6, vcc_lo
	v_cndmask_b32_e32 v6, v7, v12, vcc_lo
	s_delay_alu instid0(VALU_DEP_3) | instskip(NEXT) | instid1(VALU_DEP_1)
	v_fmac_f32_e32 v10, v0, v8
	v_fmac_f32_e32 v10, v2, v6
	s_delay_alu instid0(VALU_DEP_1)
	v_fmac_f32_e32 v10, v3, v4
	s_waitcnt vmcnt(0)
	v_or_b32_e32 v5, v16, v14
	s_clause 0x2
	scratch_load_b64 v[11:12], off, s32 offset:424
	scratch_load_b64 v[16:17], off, s32 offset:432
	scratch_load_b32 v23, off, s32 offset:1916
	v_or_b32_e32 v8, v15, v13
	v_mul_f32_e32 v5, v138, v5
	s_waitcnt vmcnt(1)
	v_or_b32_e32 v7, v17, v12
	v_or_b32_e32 v11, v16, v11
	s_waitcnt vmcnt(0)
	s_delay_alu instid0(VALU_DEP_2) | instskip(SKIP_3) | instid1(VALU_DEP_4)
	v_dual_add_f32 v23, v23, v10 :: v_dual_mul_f32 v6, v138, v7
	v_mul_f32_e32 v7, v139, v8
	v_cndmask_b32_e64 v8, 0, v5, s3
	v_mul_f32_e32 v11, v139, v11
	v_cndmask_b32_e64 v4, 0, v6, s0
	s_delay_alu instid0(VALU_DEP_4) | instskip(NEXT) | instid1(VALU_DEP_4)
	v_cndmask_b32_e64 v12, 0, v7, s2
	v_cndmask_b32_e32 v5, v5, v8, vcc_lo
	s_delay_alu instid0(VALU_DEP_4) | instskip(NEXT) | instid1(VALU_DEP_4)
	v_cndmask_b32_e64 v8, 0, v11, s1
	v_cndmask_b32_e32 v4, v6, v4, vcc_lo
	s_delay_alu instid0(VALU_DEP_3) | instskip(NEXT) | instid1(VALU_DEP_3)
	v_dual_cndmask_b32 v6, v7, v12 :: v_dual_mul_f32 v5, v1, v5
	v_cndmask_b32_e32 v7, v11, v8, vcc_lo
	s_clause 0x1
	scratch_load_b64 v[10:11], off, s32 offset:392
	scratch_load_b64 v[12:13], off, s32 offset:400
	v_fmac_f32_e32 v5, v0, v6
	s_delay_alu instid0(VALU_DEP_1) | instskip(NEXT) | instid1(VALU_DEP_1)
	v_fmac_f32_e32 v5, v2, v7
	v_fmac_f32_e32 v5, v3, v4
	s_waitcnt vmcnt(0)
	v_or_b32_e32 v8, v13, v11
	v_or_b32_e32 v10, v12, v10
	s_clause 0x1
	scratch_load_b64 v[11:12], off, s32 offset:376
	scratch_load_b64 v[13:14], off, s32 offset:384
	v_mul_f32_e32 v8, v138, v8
	v_mul_f32_e32 v10, v139, v10
	s_delay_alu instid0(VALU_DEP_2) | instskip(NEXT) | instid1(VALU_DEP_1)
	v_cndmask_b32_e64 v7, 0, v8, s0
	v_cndmask_b32_e32 v7, v8, v7, vcc_lo
	s_waitcnt vmcnt(0)
	v_or_b32_e32 v11, v13, v11
	v_or_b32_e32 v6, v14, v12
	v_cndmask_b32_e64 v12, 0, v10, s1
	s_delay_alu instid0(VALU_DEP_2) | instskip(NEXT) | instid1(VALU_DEP_2)
	v_dual_mul_f32 v11, v139, v11 :: v_dual_mul_f32 v6, v138, v6
	v_cndmask_b32_e32 v8, v10, v12, vcc_lo
	s_delay_alu instid0(VALU_DEP_2) | instskip(NEXT) | instid1(VALU_DEP_3)
	v_cndmask_b32_e64 v13, 0, v11, s2
	v_cndmask_b32_e64 v4, 0, v6, s3
	s_delay_alu instid0(VALU_DEP_2) | instskip(SKIP_4) | instid1(VALU_DEP_1)
	v_cndmask_b32_e32 v10, v11, v13, vcc_lo
	s_clause 0x1
	scratch_load_b64 v[13:14], off, s32 offset:344
	scratch_load_b64 v[15:16], off, s32 offset:352
	v_cndmask_b32_e32 v4, v6, v4, vcc_lo
	v_mul_f32_e32 v4, v1, v4
	s_delay_alu instid0(VALU_DEP_1) | instskip(NEXT) | instid1(VALU_DEP_1)
	v_fmac_f32_e32 v4, v0, v10
	v_fmac_f32_e32 v4, v2, v8
	s_delay_alu instid0(VALU_DEP_1)
	v_fmac_f32_e32 v4, v3, v7
	s_waitcnt vmcnt(0)
	v_or_b32_e32 v11, v16, v14
	s_clause 0x1
	scratch_load_b64 v[16:17], off, s32 offset:360
	scratch_load_b64 v[18:19], off, s32 offset:368
	v_or_b32_e32 v13, v15, v13
	v_mul_f32_e32 v11, v138, v11
	s_delay_alu instid0(VALU_DEP_2) | instskip(NEXT) | instid1(VALU_DEP_2)
	v_mul_f32_e32 v13, v139, v13
	v_cndmask_b32_e64 v14, 0, v11, s3
	s_delay_alu instid0(VALU_DEP_1) | instskip(NEXT) | instid1(VALU_DEP_1)
	v_cndmask_b32_e32 v11, v11, v14, vcc_lo
	v_mul_f32_e32 v11, v1, v11
	s_waitcnt vmcnt(0)
	v_or_b32_e32 v6, v19, v17
	v_or_b32_e32 v12, v18, v16
	v_cndmask_b32_e64 v16, 0, v13, s2
	s_delay_alu instid0(VALU_DEP_3) | instskip(NEXT) | instid1(VALU_DEP_3)
	v_mul_f32_e32 v6, v138, v6
	v_mul_f32_e32 v12, v139, v12
	s_delay_alu instid0(VALU_DEP_2) | instskip(NEXT) | instid1(VALU_DEP_2)
	v_cndmask_b32_e64 v10, 0, v6, s0
	v_cndmask_b32_e64 v15, 0, v12, s1
	s_delay_alu instid0(VALU_DEP_2) | instskip(NEXT) | instid1(VALU_DEP_2)
	v_cndmask_b32_e32 v6, v6, v10, vcc_lo
	v_cndmask_b32_e32 v8, v12, v15, vcc_lo
	;; [unrolled: 1-line block ×3, first 2 shown]
	s_clause 0x1
	scratch_load_b64 v[12:13], off, s32 offset:1948
	scratch_load_b64 v[14:15], off, s32 offset:320
	v_fmac_f32_e32 v11, v0, v10
	s_delay_alu instid0(VALU_DEP_1) | instskip(NEXT) | instid1(VALU_DEP_1)
	v_fmac_f32_e32 v11, v2, v8
	v_fmac_f32_e32 v11, v3, v6
	s_waitcnt vmcnt(0)
	v_or_b32_e32 v12, v14, v12
	v_or_b32_e32 v13, v15, v13
	s_clause 0x4
	scratch_load_b64 v[14:15], off, s32 offset:328
	scratch_load_b64 v[16:17], off, s32 offset:336
	;; [unrolled: 1-line block ×4, first 2 shown]
	scratch_load_b32 v128, off, s32 offset:1748
	v_mul_f32_e32 v10, v139, v12
	v_mul_f32_e32 v12, v138, v13
	s_waitcnt vmcnt(3)
	v_or_b32_e32 v15, v17, v15
	s_delay_alu instid0(VALU_DEP_2)
	v_cndmask_b32_e64 v17, 0, v12, s3
	v_or_b32_e32 v14, v16, v14
	v_cndmask_b32_e64 v16, 0, v10, s2
	s_waitcnt vmcnt(1)
	v_or_b32_e32 v19, v86, v19
	v_cndmask_b32_e32 v12, v12, v17, vcc_lo
	v_or_b32_e32 v17, v55, v22
	v_dual_cndmask_b32 v10, v10, v16 :: v_dual_mul_f32 v13, v139, v14
	v_mul_f32_e32 v14, v138, v15
	s_delay_alu instid0(VALU_DEP_3) | instskip(SKIP_3) | instid1(VALU_DEP_4)
	v_dual_mul_f32 v12, v1, v12 :: v_dual_mul_f32 v17, v138, v17
	v_or_b32_e32 v15, v87, v20
	v_or_b32_e32 v16, v54, v21
	v_cndmask_b32_e64 v18, 0, v13, s1
	v_fmac_f32_e32 v12, v0, v10
	v_cndmask_b32_e64 v10, 0, v17, s0
	v_cndmask_b32_e64 v20, 0, v14, s0
	s_delay_alu instid0(VALU_DEP_4)
	v_dual_mul_f32 v16, v139, v16 :: v_dual_cndmask_b32 v13, v13, v18
	scratch_load_b32 v18, off, s32 offset:1928 ; 4-byte Folded Reload
	v_cndmask_b32_e32 v8, v17, v10, vcc_lo
	scratch_load_b32 v17, off, s32 offset:1924 ; 4-byte Folded Reload
	v_mul_f32_e32 v15, v138, v15
	v_dual_mul_f32 v19, v139, v19 :: v_dual_fmac_f32 v12, v2, v13
	s_delay_alu instid0(VALU_DEP_2) | instskip(NEXT) | instid1(VALU_DEP_2)
	v_cndmask_b32_e64 v21, 0, v15, s3
	v_cndmask_b32_e64 v22, 0, v19, s2
	s_delay_alu instid0(VALU_DEP_2) | instskip(SKIP_1) | instid1(VALU_DEP_3)
	v_cndmask_b32_e32 v15, v15, v21, vcc_lo
	v_cndmask_b32_e64 v21, 0, v16, s1
	v_cndmask_b32_e32 v19, v19, v22, vcc_lo
	s_delay_alu instid0(VALU_DEP_3) | instskip(NEXT) | instid1(VALU_DEP_3)
	v_mul_f32_e32 v1, v1, v15
	v_cndmask_b32_e32 v15, v16, v21, vcc_lo
	s_delay_alu instid0(VALU_DEP_2) | instskip(SKIP_2) | instid1(VALU_DEP_1)
	v_dual_fmac_f32 v1, v0, v19 :: v_dual_cndmask_b32 v0, v14, v20
	scratch_load_b32 v19, off, s32 offset:1932 ; 4-byte Folded Reload
	v_dual_fmac_f32 v1, v2, v15 :: v_dual_fmac_f32 v12, v3, v0
	v_dual_mov_b32 v0, v85 :: v_dual_fmac_f32 v1, v3, v8
	scratch_store_b64 off, v[0:1], s32 offset:1668 ; 8-byte Folded Spill
	scratch_load_b32 v0, off, s32 offset:1680 ; 4-byte Folded Reload
	s_waitcnt vmcnt(4)
	v_add_f32_e32 v128, v128, v1
	s_waitcnt vmcnt(2)
	v_add_f32_e32 v17, v17, v5
	s_clause 0x1
	scratch_load_b32 v5, off, s32 offset:1944
	scratch_load_b32 v16, off, s32 offset:1920
	s_waitcnt vmcnt(3)
	v_dual_add_f32 v18, v18, v4 :: v_dual_add_f32 v19, v19, v11
	s_waitcnt vmcnt(2)
	v_cmp_ge_i32_e32 vcc_lo, v85, v0
	scratch_load_b64 v[0:1], off, s32 offset:1936 ; 8-byte Folded Reload
	v_mov_b32_e32 v85, v24
	s_or_b32 s17, vcc_lo, s17
	s_delay_alu instid0(VALU_DEP_1) | instskip(SKIP_4) | instid1(VALU_DEP_1)
	v_add_nc_u32_e32 v85, 0x80, v85
	s_waitcnt vmcnt(1)
	v_dual_add_f32 v16, v16, v12 :: v_dual_add_nc_u32 v5, 0x200, v5
	s_waitcnt vmcnt(0)
	v_add_co_u32 v0, s0, v0, 16
	v_add_co_ci_u32_e64 v1, s0, 0, v1, s0
	s_and_not1_b32 exec_lo, exec_lo, s17
	s_cbranch_execz .LBB287_4127
.LBB287_2082:                           ; =>This Inner Loop Header: Depth=1
	s_clause 0x1f
	scratch_store_b32 off, v19, s32 offset:1932
	scratch_store_b32 off, v18, s32 offset:1928
	;; [unrolled: 1-line block ×32, first 2 shown]
	s_clause 0xe
	scratch_store_b32 off, v146, s32 offset:1800
	scratch_store_b32 off, v83, s32 offset:1796
	;; [unrolled: 1-line block ×14, first 2 shown]
	scratch_store_b64 off, v[0:1], s32 offset:1936
	flat_load_b32 v0, v[0:1]
	s_clause 0x1
	scratch_load_b32 v1, off, s32 offset:1676
	scratch_load_b64 v[2:3], off, s32 offset:2308
	s_mov_b32 s0, exec_lo
	s_waitcnt vmcnt(0) lgkmcnt(0)
	v_mad_i64_i32 v[162:163], null, v0, v1, v[2:3]
	scratch_load_b32 v0, off, s32 offset:2340 ; 4-byte Folded Reload
	s_waitcnt vmcnt(0)
	v_add_co_u32 v34, vcc_lo, v162, v0
	v_add_co_ci_u32_e32 v35, vcc_lo, 0, v163, vcc_lo
	ds_load_b128 v[0:3], v5
	flat_load_b32 v4, v[34:35]
	v_mov_b32_e32 v70, 0
	v_mov_b32_e32 v71, 0
	s_clause 0x1
	scratch_store_b32 off, v5, s32 offset:1944
	scratch_store_b64 off, v[70:71], s32 offset:320
	s_waitcnt vmcnt(0) lgkmcnt(0)
	v_and_b32_e32 v5, 0xff, v4
	s_delay_alu instid0(VALU_DEP_1)
	v_cmpx_ne_u16_e32 0, v5
	s_cbranch_execz .LBB287_2090
; %bb.2083:                             ;   in Loop: Header=BB287_2082 Depth=1
	v_bfrev_b32_e32 v70, 1
	v_mov_b32_e32 v71, 0
	s_mov_b32 s1, exec_lo
	v_cmpx_ne_u16_e32 0x80, v5
	s_cbranch_execz .LBB287_2089
; %bb.2084:                             ;   in Loop: Header=BB287_2082 Depth=1
	v_mov_b32_e32 v70, 0x7f800001
	v_dual_mov_b32 v71, 0 :: v_dual_and_b32 v6, 0x7f, v4
	s_mov_b32 s2, exec_lo
	s_delay_alu instid0(VALU_DEP_1)
	v_cmpx_ne_u32_e32 0x7f, v6
	s_cbranch_execz .LBB287_2088
; %bb.2085:                             ;   in Loop: Header=BB287_2082 Depth=1
	v_and_b32_e32 v8, 7, v4
	v_lshrrev_b32_e32 v5, 3, v6
	s_mov_b32 s3, exec_lo
	v_cmpx_gt_u32_e32 8, v6
; %bb.2086:                             ;   in Loop: Header=BB287_2082 Depth=1
	s_delay_alu instid0(VALU_DEP_3) | instskip(NEXT) | instid1(VALU_DEP_1)
	v_clz_i32_u32_e32 v5, v8
	v_min_u32_e32 v5, 32, v5
	s_delay_alu instid0(VALU_DEP_1) | instskip(SKIP_1) | instid1(VALU_DEP_2)
	v_subrev_nc_u32_e32 v6, 28, v5
	v_sub_nc_u32_e32 v5, 29, v5
	v_lshlrev_b64 v[6:7], v6, v[8:9]
	s_delay_alu instid0(VALU_DEP_1)
	v_and_b32_e32 v8, 7, v6
; %bb.2087:                             ;   in Loop: Header=BB287_2082 Depth=1
	s_or_b32 exec_lo, exec_lo, s3
	v_lshlrev_b32_e32 v6, 24, v4
	s_delay_alu instid0(VALU_DEP_2) | instskip(SKIP_1) | instid1(VALU_DEP_3)
	v_lshlrev_b32_e32 v7, 20, v8
	v_lshl_add_u32 v5, v5, 23, 0x3c000000
	v_and_b32_e32 v6, 0x80000000, v6
	s_delay_alu instid0(VALU_DEP_1) | instskip(NEXT) | instid1(VALU_DEP_1)
	v_or3_b32 v8, v7, v6, v5
	v_dual_mov_b32 v71, v9 :: v_dual_mov_b32 v70, v8
.LBB287_2088:                           ;   in Loop: Header=BB287_2082 Depth=1
	s_or_b32 exec_lo, exec_lo, s2
.LBB287_2089:                           ;   in Loop: Header=BB287_2082 Depth=1
	s_delay_alu instid0(SALU_CYCLE_1)
	s_or_b32 exec_lo, exec_lo, s1
.LBB287_2090:                           ;   in Loop: Header=BB287_2082 Depth=1
	s_delay_alu instid0(SALU_CYCLE_1) | instskip(SKIP_2) | instid1(VALU_DEP_1)
	s_or_b32 exec_lo, exec_lo, s0
	v_lshrrev_b16 v5, 8, v4
	s_mov_b32 s0, exec_lo
	v_cmpx_ne_u16_e32 0, v5
	s_cbranch_execz .LBB287_2098
; %bb.2091:                             ;   in Loop: Header=BB287_2082 Depth=1
	v_dual_mov_b32 v6, s8 :: v_dual_mov_b32 v7, s9
	s_mov_b32 s1, exec_lo
	scratch_store_b64 off, v[6:7], s32 offset:320 ; 8-byte Folded Spill
	v_cmpx_ne_u16_e32 0x80, v5
	s_cbranch_execz .LBB287_2097
; %bb.2092:                             ;   in Loop: Header=BB287_2082 Depth=1
	s_mov_b32 s12, s8
	v_and_b32_e32 v5, 0xffff, v5
	v_dual_mov_b32 v7, s12 :: v_dual_mov_b32 v8, s13
	s_mov_b32 s2, exec_lo
	s_delay_alu instid0(VALU_DEP_2)
	v_and_b32_e32 v6, 0x7f, v5
	scratch_store_b64 off, v[7:8], s32 offset:320 ; 8-byte Folded Spill
	v_cmpx_ne_u32_e32 0x7f, v6
	s_cbranch_execz .LBB287_2096
; %bb.2093:                             ;   in Loop: Header=BB287_2082 Depth=1
	v_and_b32_e32 v8, 7, v5
	v_lshrrev_b32_e32 v5, 3, v6
	s_mov_b32 s3, exec_lo
	v_cmpx_gt_u32_e32 8, v6
; %bb.2094:                             ;   in Loop: Header=BB287_2082 Depth=1
	s_delay_alu instid0(VALU_DEP_3) | instskip(NEXT) | instid1(VALU_DEP_1)
	v_clz_i32_u32_e32 v5, v8
	v_min_u32_e32 v5, 32, v5
	s_delay_alu instid0(VALU_DEP_1) | instskip(SKIP_1) | instid1(VALU_DEP_2)
	v_subrev_nc_u32_e32 v6, 28, v5
	v_sub_nc_u32_e32 v5, 29, v5
	v_lshlrev_b64 v[6:7], v6, v[8:9]
	s_delay_alu instid0(VALU_DEP_1)
	v_and_b32_e32 v8, 7, v6
; %bb.2095:                             ;   in Loop: Header=BB287_2082 Depth=1
	s_or_b32 exec_lo, exec_lo, s3
	v_lshlrev_b32_e32 v6, 16, v4
	s_delay_alu instid0(VALU_DEP_2) | instskip(SKIP_1) | instid1(VALU_DEP_3)
	v_lshlrev_b32_e32 v7, 20, v8
	v_lshl_add_u32 v5, v5, 23, 0x3c000000
	v_and_b32_e32 v6, 0x80000000, v6
	s_delay_alu instid0(VALU_DEP_1)
	v_or3_b32 v6, v7, v6, v5
	v_mov_b32_e32 v5, v9
	scratch_store_b64 off, v[5:6], s32 offset:320 ; 8-byte Folded Spill
.LBB287_2096:                           ;   in Loop: Header=BB287_2082 Depth=1
	s_or_b32 exec_lo, exec_lo, s2
.LBB287_2097:                           ;   in Loop: Header=BB287_2082 Depth=1
	s_delay_alu instid0(SALU_CYCLE_1)
	s_or_b32 exec_lo, exec_lo, s1
.LBB287_2098:                           ;   in Loop: Header=BB287_2082 Depth=1
	s_delay_alu instid0(SALU_CYCLE_1)
	s_or_b32 exec_lo, exec_lo, s0
	v_lshrrev_b32_e32 v5, 16, v4
	v_mov_b32_e32 v7, 0
	v_mov_b32_e32 v8, 0
	s_mov_b32 s0, exec_lo
	s_clause 0x1
	scratch_store_b64 off, v[7:8], s32 offset:336
	scratch_store_b64 off, v[7:8], s32 offset:328
	v_and_b32_e32 v6, 0xff, v5
	s_delay_alu instid0(VALU_DEP_1)
	v_cmpx_ne_u16_e32 0, v6
	s_cbranch_execz .LBB287_2106
; %bb.2099:                             ;   in Loop: Header=BB287_2082 Depth=1
	v_bfrev_b32_e32 v7, 1
	v_mov_b32_e32 v8, 0
	s_mov_b32 s1, exec_lo
	scratch_store_b64 off, v[7:8], s32 offset:328 ; 8-byte Folded Spill
	v_cmpx_ne_u16_e32 0x80, v6
	s_cbranch_execz .LBB287_2105
; %bb.2100:                             ;   in Loop: Header=BB287_2082 Depth=1
	v_mov_b32_e32 v10, 0x7f800001
	v_bfe_u32 v7, v4, 16, 7
	v_mov_b32_e32 v11, 0
	s_mov_b32 s2, exec_lo
	scratch_store_b64 off, v[10:11], s32 offset:328 ; 8-byte Folded Spill
	v_cmpx_ne_u32_e32 0x7f, v7
	s_cbranch_execz .LBB287_2104
; %bb.2101:                             ;   in Loop: Header=BB287_2082 Depth=1
	v_and_b32_e32 v8, 7, v5
	v_lshrrev_b32_e32 v6, 3, v7
	s_mov_b32 s3, exec_lo
	v_cmpx_gt_u32_e32 8, v7
; %bb.2102:                             ;   in Loop: Header=BB287_2082 Depth=1
	s_delay_alu instid0(VALU_DEP_3) | instskip(NEXT) | instid1(VALU_DEP_1)
	v_clz_i32_u32_e32 v6, v8
	v_min_u32_e32 v6, 32, v6
	s_delay_alu instid0(VALU_DEP_1) | instskip(SKIP_1) | instid1(VALU_DEP_2)
	v_subrev_nc_u32_e32 v7, 28, v6
	v_sub_nc_u32_e32 v6, 29, v6
	v_lshlrev_b64 v[7:8], v7, v[8:9]
	s_delay_alu instid0(VALU_DEP_1)
	v_and_b32_e32 v8, 7, v7
; %bb.2103:                             ;   in Loop: Header=BB287_2082 Depth=1
	s_or_b32 exec_lo, exec_lo, s3
	v_lshlrev_b32_e32 v5, 24, v5
	s_delay_alu instid0(VALU_DEP_2) | instskip(SKIP_1) | instid1(VALU_DEP_3)
	v_lshlrev_b32_e32 v7, 20, v8
	v_lshl_add_u32 v6, v6, 23, 0x3c000000
	v_and_b32_e32 v5, 0x80000000, v5
	s_delay_alu instid0(VALU_DEP_1)
	v_or3_b32 v8, v7, v5, v6
	scratch_store_b64 off, v[8:9], s32 offset:328 ; 8-byte Folded Spill
.LBB287_2104:                           ;   in Loop: Header=BB287_2082 Depth=1
	s_or_b32 exec_lo, exec_lo, s2
.LBB287_2105:                           ;   in Loop: Header=BB287_2082 Depth=1
	s_delay_alu instid0(SALU_CYCLE_1)
	s_or_b32 exec_lo, exec_lo, s1
.LBB287_2106:                           ;   in Loop: Header=BB287_2082 Depth=1
	s_delay_alu instid0(SALU_CYCLE_1) | instskip(NEXT) | instid1(SALU_CYCLE_1)
	s_or_b32 exec_lo, exec_lo, s0
	s_mov_b32 s0, exec_lo
	v_cmpx_lt_u32_e32 0xffffff, v4
	s_cbranch_execz .LBB287_2114
; %bb.2107:                             ;   in Loop: Header=BB287_2082 Depth=1
	v_lshrrev_b32_e32 v5, 24, v4
	v_dual_mov_b32 v6, s8 :: v_dual_mov_b32 v7, s9
	s_mov_b32 s1, exec_lo
	scratch_store_b64 off, v[6:7], s32 offset:336 ; 8-byte Folded Spill
	v_cmpx_ne_u32_e32 0x80, v5
	s_cbranch_execz .LBB287_2113
; %bb.2108:                             ;   in Loop: Header=BB287_2082 Depth=1
	s_mov_b32 s12, s8
	v_bfe_u32 v6, v4, 24, 7
	v_dual_mov_b32 v7, s12 :: v_dual_mov_b32 v8, s13
	s_mov_b32 s2, exec_lo
	scratch_store_b64 off, v[7:8], s32 offset:336 ; 8-byte Folded Spill
	v_cmpx_ne_u32_e32 0x7f, v6
	s_cbranch_execz .LBB287_2112
; %bb.2109:                             ;   in Loop: Header=BB287_2082 Depth=1
	v_and_b32_e32 v8, 7, v5
	v_lshrrev_b32_e32 v4, 3, v6
	s_mov_b32 s3, exec_lo
	v_cmpx_gt_u32_e32 8, v6
; %bb.2110:                             ;   in Loop: Header=BB287_2082 Depth=1
	s_delay_alu instid0(VALU_DEP_3) | instskip(NEXT) | instid1(VALU_DEP_1)
	v_clz_i32_u32_e32 v4, v8
	v_min_u32_e32 v4, 32, v4
	s_delay_alu instid0(VALU_DEP_1) | instskip(SKIP_1) | instid1(VALU_DEP_2)
	v_subrev_nc_u32_e32 v6, 28, v4
	v_sub_nc_u32_e32 v4, 29, v4
	v_lshlrev_b64 v[6:7], v6, v[8:9]
	s_delay_alu instid0(VALU_DEP_1)
	v_and_b32_e32 v8, 7, v6
; %bb.2111:                             ;   in Loop: Header=BB287_2082 Depth=1
	s_or_b32 exec_lo, exec_lo, s3
	v_lshlrev_b32_e32 v5, 24, v5
	s_delay_alu instid0(VALU_DEP_2) | instskip(SKIP_1) | instid1(VALU_DEP_3)
	v_lshlrev_b32_e32 v6, 20, v8
	v_lshl_add_u32 v4, v4, 23, 0x3c000000
	v_and_b32_e32 v5, 0x80000000, v5
	s_delay_alu instid0(VALU_DEP_1)
	v_or3_b32 v5, v6, v5, v4
	v_mov_b32_e32 v4, v9
	scratch_store_b64 off, v[4:5], s32 offset:336 ; 8-byte Folded Spill
.LBB287_2112:                           ;   in Loop: Header=BB287_2082 Depth=1
	s_or_b32 exec_lo, exec_lo, s2
.LBB287_2113:                           ;   in Loop: Header=BB287_2082 Depth=1
	s_delay_alu instid0(SALU_CYCLE_1)
	s_or_b32 exec_lo, exec_lo, s1
.LBB287_2114:                           ;   in Loop: Header=BB287_2082 Depth=1
	s_delay_alu instid0(SALU_CYCLE_1)
	s_or_b32 exec_lo, exec_lo, s0
	flat_load_b32 v4, v[34:35] offset:128
	v_mov_b32_e32 v6, 0
	v_mov_b32_e32 v7, 0
	s_mov_b32 s0, exec_lo
	s_clause 0x1
	scratch_store_b64 off, v[6:7], s32 offset:352
	scratch_store_b64 off, v[6:7], s32 offset:344
	s_waitcnt vmcnt(0) lgkmcnt(0)
	v_and_b32_e32 v5, 0xff, v4
	s_delay_alu instid0(VALU_DEP_1)
	v_cmpx_ne_u16_e32 0, v5
	s_cbranch_execz .LBB287_2122
; %bb.2115:                             ;   in Loop: Header=BB287_2082 Depth=1
	v_bfrev_b32_e32 v6, 1
	v_mov_b32_e32 v7, 0
	s_mov_b32 s1, exec_lo
	scratch_store_b64 off, v[6:7], s32 offset:344 ; 8-byte Folded Spill
	v_cmpx_ne_u16_e32 0x80, v5
	s_cbranch_execz .LBB287_2121
; %bb.2116:                             ;   in Loop: Header=BB287_2082 Depth=1
	v_mov_b32_e32 v7, 0x7f800001
	v_and_b32_e32 v6, 0x7f, v4
	v_mov_b32_e32 v8, 0
	s_mov_b32 s2, exec_lo
	scratch_store_b64 off, v[7:8], s32 offset:344 ; 8-byte Folded Spill
	v_cmpx_ne_u32_e32 0x7f, v6
	s_cbranch_execz .LBB287_2120
; %bb.2117:                             ;   in Loop: Header=BB287_2082 Depth=1
	v_and_b32_e32 v8, 7, v4
	v_lshrrev_b32_e32 v5, 3, v6
	s_mov_b32 s3, exec_lo
	v_cmpx_gt_u32_e32 8, v6
; %bb.2118:                             ;   in Loop: Header=BB287_2082 Depth=1
	s_delay_alu instid0(VALU_DEP_3) | instskip(NEXT) | instid1(VALU_DEP_1)
	v_clz_i32_u32_e32 v5, v8
	v_min_u32_e32 v5, 32, v5
	s_delay_alu instid0(VALU_DEP_1) | instskip(SKIP_1) | instid1(VALU_DEP_2)
	v_subrev_nc_u32_e32 v6, 28, v5
	v_sub_nc_u32_e32 v5, 29, v5
	v_lshlrev_b64 v[6:7], v6, v[8:9]
	s_delay_alu instid0(VALU_DEP_1)
	v_and_b32_e32 v8, 7, v6
; %bb.2119:                             ;   in Loop: Header=BB287_2082 Depth=1
	s_or_b32 exec_lo, exec_lo, s3
	v_lshlrev_b32_e32 v6, 24, v4
	s_delay_alu instid0(VALU_DEP_2) | instskip(SKIP_1) | instid1(VALU_DEP_3)
	v_lshlrev_b32_e32 v7, 20, v8
	v_lshl_add_u32 v5, v5, 23, 0x3c000000
	v_and_b32_e32 v6, 0x80000000, v6
	s_delay_alu instid0(VALU_DEP_1)
	v_or3_b32 v8, v7, v6, v5
	scratch_store_b64 off, v[8:9], s32 offset:344 ; 8-byte Folded Spill
.LBB287_2120:                           ;   in Loop: Header=BB287_2082 Depth=1
	s_or_b32 exec_lo, exec_lo, s2
.LBB287_2121:                           ;   in Loop: Header=BB287_2082 Depth=1
	s_delay_alu instid0(SALU_CYCLE_1)
	s_or_b32 exec_lo, exec_lo, s1
.LBB287_2122:                           ;   in Loop: Header=BB287_2082 Depth=1
	s_delay_alu instid0(SALU_CYCLE_1) | instskip(SKIP_2) | instid1(VALU_DEP_1)
	s_or_b32 exec_lo, exec_lo, s0
	v_lshrrev_b16 v5, 8, v4
	s_mov_b32 s0, exec_lo
	v_cmpx_ne_u16_e32 0, v5
	s_cbranch_execz .LBB287_2130
; %bb.2123:                             ;   in Loop: Header=BB287_2082 Depth=1
	v_dual_mov_b32 v6, s8 :: v_dual_mov_b32 v7, s9
	s_mov_b32 s1, exec_lo
	scratch_store_b64 off, v[6:7], s32 offset:352 ; 8-byte Folded Spill
	v_cmpx_ne_u16_e32 0x80, v5
	s_cbranch_execz .LBB287_2129
; %bb.2124:                             ;   in Loop: Header=BB287_2082 Depth=1
	s_mov_b32 s12, s8
	v_and_b32_e32 v5, 0xffff, v5
	v_dual_mov_b32 v7, s12 :: v_dual_mov_b32 v8, s13
	s_mov_b32 s2, exec_lo
	s_delay_alu instid0(VALU_DEP_2)
	v_and_b32_e32 v6, 0x7f, v5
	scratch_store_b64 off, v[7:8], s32 offset:352 ; 8-byte Folded Spill
	v_cmpx_ne_u32_e32 0x7f, v6
	s_cbranch_execz .LBB287_2128
; %bb.2125:                             ;   in Loop: Header=BB287_2082 Depth=1
	v_and_b32_e32 v8, 7, v5
	v_lshrrev_b32_e32 v5, 3, v6
	s_mov_b32 s3, exec_lo
	v_cmpx_gt_u32_e32 8, v6
; %bb.2126:                             ;   in Loop: Header=BB287_2082 Depth=1
	s_delay_alu instid0(VALU_DEP_3) | instskip(NEXT) | instid1(VALU_DEP_1)
	v_clz_i32_u32_e32 v5, v8
	v_min_u32_e32 v5, 32, v5
	s_delay_alu instid0(VALU_DEP_1) | instskip(SKIP_1) | instid1(VALU_DEP_2)
	v_subrev_nc_u32_e32 v6, 28, v5
	v_sub_nc_u32_e32 v5, 29, v5
	v_lshlrev_b64 v[6:7], v6, v[8:9]
	s_delay_alu instid0(VALU_DEP_1)
	v_and_b32_e32 v8, 7, v6
; %bb.2127:                             ;   in Loop: Header=BB287_2082 Depth=1
	s_or_b32 exec_lo, exec_lo, s3
	v_lshlrev_b32_e32 v6, 16, v4
	s_delay_alu instid0(VALU_DEP_2) | instskip(SKIP_1) | instid1(VALU_DEP_3)
	v_lshlrev_b32_e32 v7, 20, v8
	v_lshl_add_u32 v5, v5, 23, 0x3c000000
	v_and_b32_e32 v6, 0x80000000, v6
	s_delay_alu instid0(VALU_DEP_1)
	v_or3_b32 v6, v7, v6, v5
	v_mov_b32_e32 v5, v9
	scratch_store_b64 off, v[5:6], s32 offset:352 ; 8-byte Folded Spill
.LBB287_2128:                           ;   in Loop: Header=BB287_2082 Depth=1
	s_or_b32 exec_lo, exec_lo, s2
.LBB287_2129:                           ;   in Loop: Header=BB287_2082 Depth=1
	s_delay_alu instid0(SALU_CYCLE_1)
	s_or_b32 exec_lo, exec_lo, s1
.LBB287_2130:                           ;   in Loop: Header=BB287_2082 Depth=1
	s_delay_alu instid0(SALU_CYCLE_1)
	s_or_b32 exec_lo, exec_lo, s0
	v_lshrrev_b32_e32 v5, 16, v4
	v_mov_b32_e32 v7, 0
	v_mov_b32_e32 v8, 0
	s_mov_b32 s0, exec_lo
	s_clause 0x1
	scratch_store_b64 off, v[7:8], s32 offset:368
	scratch_store_b64 off, v[7:8], s32 offset:360
	v_and_b32_e32 v6, 0xff, v5
	s_delay_alu instid0(VALU_DEP_1)
	v_cmpx_ne_u16_e32 0, v6
	s_cbranch_execz .LBB287_2138
; %bb.2131:                             ;   in Loop: Header=BB287_2082 Depth=1
	v_bfrev_b32_e32 v7, 1
	v_mov_b32_e32 v8, 0
	s_mov_b32 s1, exec_lo
	scratch_store_b64 off, v[7:8], s32 offset:360 ; 8-byte Folded Spill
	v_cmpx_ne_u16_e32 0x80, v6
	s_cbranch_execz .LBB287_2137
; %bb.2132:                             ;   in Loop: Header=BB287_2082 Depth=1
	v_mov_b32_e32 v10, 0x7f800001
	v_bfe_u32 v7, v4, 16, 7
	v_mov_b32_e32 v11, 0
	s_mov_b32 s2, exec_lo
	scratch_store_b64 off, v[10:11], s32 offset:360 ; 8-byte Folded Spill
	v_cmpx_ne_u32_e32 0x7f, v7
	s_cbranch_execz .LBB287_2136
; %bb.2133:                             ;   in Loop: Header=BB287_2082 Depth=1
	v_and_b32_e32 v8, 7, v5
	v_lshrrev_b32_e32 v6, 3, v7
	s_mov_b32 s3, exec_lo
	v_cmpx_gt_u32_e32 8, v7
; %bb.2134:                             ;   in Loop: Header=BB287_2082 Depth=1
	s_delay_alu instid0(VALU_DEP_3) | instskip(NEXT) | instid1(VALU_DEP_1)
	v_clz_i32_u32_e32 v6, v8
	v_min_u32_e32 v6, 32, v6
	s_delay_alu instid0(VALU_DEP_1) | instskip(SKIP_1) | instid1(VALU_DEP_2)
	v_subrev_nc_u32_e32 v7, 28, v6
	v_sub_nc_u32_e32 v6, 29, v6
	v_lshlrev_b64 v[7:8], v7, v[8:9]
	s_delay_alu instid0(VALU_DEP_1)
	v_and_b32_e32 v8, 7, v7
; %bb.2135:                             ;   in Loop: Header=BB287_2082 Depth=1
	s_or_b32 exec_lo, exec_lo, s3
	v_lshlrev_b32_e32 v5, 24, v5
	s_delay_alu instid0(VALU_DEP_2) | instskip(SKIP_1) | instid1(VALU_DEP_3)
	v_lshlrev_b32_e32 v7, 20, v8
	v_lshl_add_u32 v6, v6, 23, 0x3c000000
	v_and_b32_e32 v5, 0x80000000, v5
	s_delay_alu instid0(VALU_DEP_1)
	v_or3_b32 v8, v7, v5, v6
	scratch_store_b64 off, v[8:9], s32 offset:360 ; 8-byte Folded Spill
.LBB287_2136:                           ;   in Loop: Header=BB287_2082 Depth=1
	s_or_b32 exec_lo, exec_lo, s2
.LBB287_2137:                           ;   in Loop: Header=BB287_2082 Depth=1
	s_delay_alu instid0(SALU_CYCLE_1)
	s_or_b32 exec_lo, exec_lo, s1
.LBB287_2138:                           ;   in Loop: Header=BB287_2082 Depth=1
	s_delay_alu instid0(SALU_CYCLE_1) | instskip(NEXT) | instid1(SALU_CYCLE_1)
	s_or_b32 exec_lo, exec_lo, s0
	s_mov_b32 s0, exec_lo
	v_cmpx_lt_u32_e32 0xffffff, v4
	s_cbranch_execz .LBB287_2146
; %bb.2139:                             ;   in Loop: Header=BB287_2082 Depth=1
	v_lshrrev_b32_e32 v5, 24, v4
	v_dual_mov_b32 v6, s8 :: v_dual_mov_b32 v7, s9
	s_mov_b32 s1, exec_lo
	scratch_store_b64 off, v[6:7], s32 offset:368 ; 8-byte Folded Spill
	v_cmpx_ne_u32_e32 0x80, v5
	s_cbranch_execz .LBB287_2145
; %bb.2140:                             ;   in Loop: Header=BB287_2082 Depth=1
	s_mov_b32 s12, s8
	v_bfe_u32 v6, v4, 24, 7
	v_dual_mov_b32 v7, s12 :: v_dual_mov_b32 v8, s13
	s_mov_b32 s2, exec_lo
	scratch_store_b64 off, v[7:8], s32 offset:368 ; 8-byte Folded Spill
	v_cmpx_ne_u32_e32 0x7f, v6
	s_cbranch_execz .LBB287_2144
; %bb.2141:                             ;   in Loop: Header=BB287_2082 Depth=1
	v_and_b32_e32 v8, 7, v5
	v_lshrrev_b32_e32 v4, 3, v6
	s_mov_b32 s3, exec_lo
	v_cmpx_gt_u32_e32 8, v6
; %bb.2142:                             ;   in Loop: Header=BB287_2082 Depth=1
	s_delay_alu instid0(VALU_DEP_3) | instskip(NEXT) | instid1(VALU_DEP_1)
	v_clz_i32_u32_e32 v4, v8
	v_min_u32_e32 v4, 32, v4
	s_delay_alu instid0(VALU_DEP_1) | instskip(SKIP_1) | instid1(VALU_DEP_2)
	v_subrev_nc_u32_e32 v6, 28, v4
	v_sub_nc_u32_e32 v4, 29, v4
	v_lshlrev_b64 v[6:7], v6, v[8:9]
	s_delay_alu instid0(VALU_DEP_1)
	v_and_b32_e32 v8, 7, v6
; %bb.2143:                             ;   in Loop: Header=BB287_2082 Depth=1
	s_or_b32 exec_lo, exec_lo, s3
	v_lshlrev_b32_e32 v5, 24, v5
	s_delay_alu instid0(VALU_DEP_2) | instskip(SKIP_1) | instid1(VALU_DEP_3)
	v_lshlrev_b32_e32 v6, 20, v8
	v_lshl_add_u32 v4, v4, 23, 0x3c000000
	v_and_b32_e32 v5, 0x80000000, v5
	s_delay_alu instid0(VALU_DEP_1)
	v_or3_b32 v5, v6, v5, v4
	v_mov_b32_e32 v4, v9
	scratch_store_b64 off, v[4:5], s32 offset:368 ; 8-byte Folded Spill
.LBB287_2144:                           ;   in Loop: Header=BB287_2082 Depth=1
	s_or_b32 exec_lo, exec_lo, s2
.LBB287_2145:                           ;   in Loop: Header=BB287_2082 Depth=1
	s_delay_alu instid0(SALU_CYCLE_1)
	s_or_b32 exec_lo, exec_lo, s1
.LBB287_2146:                           ;   in Loop: Header=BB287_2082 Depth=1
	s_delay_alu instid0(SALU_CYCLE_1)
	s_or_b32 exec_lo, exec_lo, s0
	flat_load_b32 v4, v[34:35] offset:256
	v_mov_b32_e32 v6, 0
	v_mov_b32_e32 v7, 0
	s_mov_b32 s0, exec_lo
	s_clause 0x1
	scratch_store_b64 off, v[6:7], s32 offset:384
	scratch_store_b64 off, v[6:7], s32 offset:376
	s_waitcnt vmcnt(0) lgkmcnt(0)
	v_and_b32_e32 v5, 0xff, v4
	s_delay_alu instid0(VALU_DEP_1)
	v_cmpx_ne_u16_e32 0, v5
	s_cbranch_execz .LBB287_2154
; %bb.2147:                             ;   in Loop: Header=BB287_2082 Depth=1
	v_bfrev_b32_e32 v6, 1
	v_mov_b32_e32 v7, 0
	s_mov_b32 s1, exec_lo
	scratch_store_b64 off, v[6:7], s32 offset:376 ; 8-byte Folded Spill
	v_cmpx_ne_u16_e32 0x80, v5
	s_cbranch_execz .LBB287_2153
; %bb.2148:                             ;   in Loop: Header=BB287_2082 Depth=1
	v_mov_b32_e32 v7, 0x7f800001
	v_and_b32_e32 v6, 0x7f, v4
	v_mov_b32_e32 v8, 0
	s_mov_b32 s2, exec_lo
	scratch_store_b64 off, v[7:8], s32 offset:376 ; 8-byte Folded Spill
	v_cmpx_ne_u32_e32 0x7f, v6
	s_cbranch_execz .LBB287_2152
; %bb.2149:                             ;   in Loop: Header=BB287_2082 Depth=1
	v_and_b32_e32 v8, 7, v4
	v_lshrrev_b32_e32 v5, 3, v6
	s_mov_b32 s3, exec_lo
	v_cmpx_gt_u32_e32 8, v6
; %bb.2150:                             ;   in Loop: Header=BB287_2082 Depth=1
	s_delay_alu instid0(VALU_DEP_3) | instskip(NEXT) | instid1(VALU_DEP_1)
	v_clz_i32_u32_e32 v5, v8
	v_min_u32_e32 v5, 32, v5
	s_delay_alu instid0(VALU_DEP_1) | instskip(SKIP_1) | instid1(VALU_DEP_2)
	v_subrev_nc_u32_e32 v6, 28, v5
	v_sub_nc_u32_e32 v5, 29, v5
	v_lshlrev_b64 v[6:7], v6, v[8:9]
	s_delay_alu instid0(VALU_DEP_1)
	v_and_b32_e32 v8, 7, v6
; %bb.2151:                             ;   in Loop: Header=BB287_2082 Depth=1
	s_or_b32 exec_lo, exec_lo, s3
	v_lshlrev_b32_e32 v6, 24, v4
	s_delay_alu instid0(VALU_DEP_2) | instskip(SKIP_1) | instid1(VALU_DEP_3)
	v_lshlrev_b32_e32 v7, 20, v8
	v_lshl_add_u32 v5, v5, 23, 0x3c000000
	v_and_b32_e32 v6, 0x80000000, v6
	s_delay_alu instid0(VALU_DEP_1)
	v_or3_b32 v8, v7, v6, v5
	scratch_store_b64 off, v[8:9], s32 offset:376 ; 8-byte Folded Spill
.LBB287_2152:                           ;   in Loop: Header=BB287_2082 Depth=1
	s_or_b32 exec_lo, exec_lo, s2
.LBB287_2153:                           ;   in Loop: Header=BB287_2082 Depth=1
	s_delay_alu instid0(SALU_CYCLE_1)
	s_or_b32 exec_lo, exec_lo, s1
.LBB287_2154:                           ;   in Loop: Header=BB287_2082 Depth=1
	s_delay_alu instid0(SALU_CYCLE_1) | instskip(SKIP_2) | instid1(VALU_DEP_1)
	s_or_b32 exec_lo, exec_lo, s0
	v_lshrrev_b16 v5, 8, v4
	s_mov_b32 s0, exec_lo
	v_cmpx_ne_u16_e32 0, v5
	s_cbranch_execz .LBB287_2162
; %bb.2155:                             ;   in Loop: Header=BB287_2082 Depth=1
	v_dual_mov_b32 v6, s8 :: v_dual_mov_b32 v7, s9
	s_mov_b32 s1, exec_lo
	scratch_store_b64 off, v[6:7], s32 offset:384 ; 8-byte Folded Spill
	v_cmpx_ne_u16_e32 0x80, v5
	s_cbranch_execz .LBB287_2161
; %bb.2156:                             ;   in Loop: Header=BB287_2082 Depth=1
	s_mov_b32 s12, s8
	v_and_b32_e32 v5, 0xffff, v5
	v_dual_mov_b32 v7, s12 :: v_dual_mov_b32 v8, s13
	s_mov_b32 s2, exec_lo
	s_delay_alu instid0(VALU_DEP_2)
	v_and_b32_e32 v6, 0x7f, v5
	scratch_store_b64 off, v[7:8], s32 offset:384 ; 8-byte Folded Spill
	v_cmpx_ne_u32_e32 0x7f, v6
	s_cbranch_execz .LBB287_2160
; %bb.2157:                             ;   in Loop: Header=BB287_2082 Depth=1
	v_and_b32_e32 v8, 7, v5
	v_lshrrev_b32_e32 v5, 3, v6
	s_mov_b32 s3, exec_lo
	v_cmpx_gt_u32_e32 8, v6
; %bb.2158:                             ;   in Loop: Header=BB287_2082 Depth=1
	s_delay_alu instid0(VALU_DEP_3) | instskip(NEXT) | instid1(VALU_DEP_1)
	v_clz_i32_u32_e32 v5, v8
	v_min_u32_e32 v5, 32, v5
	s_delay_alu instid0(VALU_DEP_1) | instskip(SKIP_1) | instid1(VALU_DEP_2)
	v_subrev_nc_u32_e32 v6, 28, v5
	v_sub_nc_u32_e32 v5, 29, v5
	v_lshlrev_b64 v[6:7], v6, v[8:9]
	s_delay_alu instid0(VALU_DEP_1)
	v_and_b32_e32 v8, 7, v6
; %bb.2159:                             ;   in Loop: Header=BB287_2082 Depth=1
	s_or_b32 exec_lo, exec_lo, s3
	v_lshlrev_b32_e32 v6, 16, v4
	s_delay_alu instid0(VALU_DEP_2) | instskip(SKIP_1) | instid1(VALU_DEP_3)
	v_lshlrev_b32_e32 v7, 20, v8
	v_lshl_add_u32 v5, v5, 23, 0x3c000000
	v_and_b32_e32 v6, 0x80000000, v6
	s_delay_alu instid0(VALU_DEP_1)
	v_or3_b32 v6, v7, v6, v5
	v_mov_b32_e32 v5, v9
	scratch_store_b64 off, v[5:6], s32 offset:384 ; 8-byte Folded Spill
.LBB287_2160:                           ;   in Loop: Header=BB287_2082 Depth=1
	s_or_b32 exec_lo, exec_lo, s2
.LBB287_2161:                           ;   in Loop: Header=BB287_2082 Depth=1
	s_delay_alu instid0(SALU_CYCLE_1)
	s_or_b32 exec_lo, exec_lo, s1
.LBB287_2162:                           ;   in Loop: Header=BB287_2082 Depth=1
	s_delay_alu instid0(SALU_CYCLE_1)
	s_or_b32 exec_lo, exec_lo, s0
	v_lshrrev_b32_e32 v5, 16, v4
	v_mov_b32_e32 v7, 0
	v_mov_b32_e32 v8, 0
	s_mov_b32 s0, exec_lo
	s_clause 0x1
	scratch_store_b64 off, v[7:8], s32 offset:400
	scratch_store_b64 off, v[7:8], s32 offset:392
	v_and_b32_e32 v6, 0xff, v5
	s_delay_alu instid0(VALU_DEP_1)
	v_cmpx_ne_u16_e32 0, v6
	s_cbranch_execz .LBB287_2170
; %bb.2163:                             ;   in Loop: Header=BB287_2082 Depth=1
	v_bfrev_b32_e32 v7, 1
	v_mov_b32_e32 v8, 0
	s_mov_b32 s1, exec_lo
	scratch_store_b64 off, v[7:8], s32 offset:392 ; 8-byte Folded Spill
	v_cmpx_ne_u16_e32 0x80, v6
	s_cbranch_execz .LBB287_2169
; %bb.2164:                             ;   in Loop: Header=BB287_2082 Depth=1
	v_mov_b32_e32 v10, 0x7f800001
	v_bfe_u32 v7, v4, 16, 7
	v_mov_b32_e32 v11, 0
	s_mov_b32 s2, exec_lo
	scratch_store_b64 off, v[10:11], s32 offset:392 ; 8-byte Folded Spill
	v_cmpx_ne_u32_e32 0x7f, v7
	s_cbranch_execz .LBB287_2168
; %bb.2165:                             ;   in Loop: Header=BB287_2082 Depth=1
	v_and_b32_e32 v8, 7, v5
	v_lshrrev_b32_e32 v6, 3, v7
	s_mov_b32 s3, exec_lo
	v_cmpx_gt_u32_e32 8, v7
; %bb.2166:                             ;   in Loop: Header=BB287_2082 Depth=1
	s_delay_alu instid0(VALU_DEP_3) | instskip(NEXT) | instid1(VALU_DEP_1)
	v_clz_i32_u32_e32 v6, v8
	v_min_u32_e32 v6, 32, v6
	s_delay_alu instid0(VALU_DEP_1) | instskip(SKIP_1) | instid1(VALU_DEP_2)
	v_subrev_nc_u32_e32 v7, 28, v6
	v_sub_nc_u32_e32 v6, 29, v6
	v_lshlrev_b64 v[7:8], v7, v[8:9]
	s_delay_alu instid0(VALU_DEP_1)
	v_and_b32_e32 v8, 7, v7
; %bb.2167:                             ;   in Loop: Header=BB287_2082 Depth=1
	s_or_b32 exec_lo, exec_lo, s3
	v_lshlrev_b32_e32 v5, 24, v5
	s_delay_alu instid0(VALU_DEP_2) | instskip(SKIP_1) | instid1(VALU_DEP_3)
	v_lshlrev_b32_e32 v7, 20, v8
	v_lshl_add_u32 v6, v6, 23, 0x3c000000
	v_and_b32_e32 v5, 0x80000000, v5
	s_delay_alu instid0(VALU_DEP_1)
	v_or3_b32 v8, v7, v5, v6
	scratch_store_b64 off, v[8:9], s32 offset:392 ; 8-byte Folded Spill
.LBB287_2168:                           ;   in Loop: Header=BB287_2082 Depth=1
	s_or_b32 exec_lo, exec_lo, s2
.LBB287_2169:                           ;   in Loop: Header=BB287_2082 Depth=1
	s_delay_alu instid0(SALU_CYCLE_1)
	s_or_b32 exec_lo, exec_lo, s1
.LBB287_2170:                           ;   in Loop: Header=BB287_2082 Depth=1
	s_delay_alu instid0(SALU_CYCLE_1) | instskip(NEXT) | instid1(SALU_CYCLE_1)
	s_or_b32 exec_lo, exec_lo, s0
	s_mov_b32 s0, exec_lo
	v_cmpx_lt_u32_e32 0xffffff, v4
	s_cbranch_execz .LBB287_2178
; %bb.2171:                             ;   in Loop: Header=BB287_2082 Depth=1
	v_lshrrev_b32_e32 v5, 24, v4
	v_dual_mov_b32 v6, s8 :: v_dual_mov_b32 v7, s9
	s_mov_b32 s1, exec_lo
	scratch_store_b64 off, v[6:7], s32 offset:400 ; 8-byte Folded Spill
	v_cmpx_ne_u32_e32 0x80, v5
	s_cbranch_execz .LBB287_2177
; %bb.2172:                             ;   in Loop: Header=BB287_2082 Depth=1
	s_mov_b32 s12, s8
	v_bfe_u32 v6, v4, 24, 7
	v_dual_mov_b32 v7, s12 :: v_dual_mov_b32 v8, s13
	s_mov_b32 s2, exec_lo
	scratch_store_b64 off, v[7:8], s32 offset:400 ; 8-byte Folded Spill
	v_cmpx_ne_u32_e32 0x7f, v6
	s_cbranch_execz .LBB287_2176
; %bb.2173:                             ;   in Loop: Header=BB287_2082 Depth=1
	v_and_b32_e32 v8, 7, v5
	v_lshrrev_b32_e32 v4, 3, v6
	s_mov_b32 s3, exec_lo
	v_cmpx_gt_u32_e32 8, v6
; %bb.2174:                             ;   in Loop: Header=BB287_2082 Depth=1
	s_delay_alu instid0(VALU_DEP_3) | instskip(NEXT) | instid1(VALU_DEP_1)
	v_clz_i32_u32_e32 v4, v8
	v_min_u32_e32 v4, 32, v4
	s_delay_alu instid0(VALU_DEP_1) | instskip(SKIP_1) | instid1(VALU_DEP_2)
	v_subrev_nc_u32_e32 v6, 28, v4
	v_sub_nc_u32_e32 v4, 29, v4
	v_lshlrev_b64 v[6:7], v6, v[8:9]
	s_delay_alu instid0(VALU_DEP_1)
	v_and_b32_e32 v8, 7, v6
; %bb.2175:                             ;   in Loop: Header=BB287_2082 Depth=1
	s_or_b32 exec_lo, exec_lo, s3
	v_lshlrev_b32_e32 v5, 24, v5
	s_delay_alu instid0(VALU_DEP_2) | instskip(SKIP_1) | instid1(VALU_DEP_3)
	v_lshlrev_b32_e32 v6, 20, v8
	v_lshl_add_u32 v4, v4, 23, 0x3c000000
	v_and_b32_e32 v5, 0x80000000, v5
	s_delay_alu instid0(VALU_DEP_1)
	v_or3_b32 v5, v6, v5, v4
	v_mov_b32_e32 v4, v9
	scratch_store_b64 off, v[4:5], s32 offset:400 ; 8-byte Folded Spill
.LBB287_2176:                           ;   in Loop: Header=BB287_2082 Depth=1
	s_or_b32 exec_lo, exec_lo, s2
.LBB287_2177:                           ;   in Loop: Header=BB287_2082 Depth=1
	s_delay_alu instid0(SALU_CYCLE_1)
	s_or_b32 exec_lo, exec_lo, s1
.LBB287_2178:                           ;   in Loop: Header=BB287_2082 Depth=1
	s_delay_alu instid0(SALU_CYCLE_1)
	s_or_b32 exec_lo, exec_lo, s0
	flat_load_b32 v4, v[34:35] offset:384
	v_mov_b32_e32 v6, 0
	v_mov_b32_e32 v7, 0
	s_mov_b32 s0, exec_lo
	s_clause 0x1
	scratch_store_b64 off, v[6:7], s32 offset:416
	scratch_store_b64 off, v[6:7], s32 offset:408
	s_waitcnt vmcnt(0) lgkmcnt(0)
	v_and_b32_e32 v5, 0xff, v4
	s_delay_alu instid0(VALU_DEP_1)
	v_cmpx_ne_u16_e32 0, v5
	s_cbranch_execz .LBB287_2186
; %bb.2179:                             ;   in Loop: Header=BB287_2082 Depth=1
	v_bfrev_b32_e32 v6, 1
	v_mov_b32_e32 v7, 0
	s_mov_b32 s1, exec_lo
	scratch_store_b64 off, v[6:7], s32 offset:408 ; 8-byte Folded Spill
	v_cmpx_ne_u16_e32 0x80, v5
	s_cbranch_execz .LBB287_2185
; %bb.2180:                             ;   in Loop: Header=BB287_2082 Depth=1
	v_mov_b32_e32 v7, 0x7f800001
	v_and_b32_e32 v6, 0x7f, v4
	v_mov_b32_e32 v8, 0
	s_mov_b32 s2, exec_lo
	scratch_store_b64 off, v[7:8], s32 offset:408 ; 8-byte Folded Spill
	v_cmpx_ne_u32_e32 0x7f, v6
	s_cbranch_execz .LBB287_2184
; %bb.2181:                             ;   in Loop: Header=BB287_2082 Depth=1
	v_and_b32_e32 v8, 7, v4
	v_lshrrev_b32_e32 v5, 3, v6
	s_mov_b32 s3, exec_lo
	v_cmpx_gt_u32_e32 8, v6
; %bb.2182:                             ;   in Loop: Header=BB287_2082 Depth=1
	s_delay_alu instid0(VALU_DEP_3) | instskip(NEXT) | instid1(VALU_DEP_1)
	v_clz_i32_u32_e32 v5, v8
	v_min_u32_e32 v5, 32, v5
	s_delay_alu instid0(VALU_DEP_1) | instskip(SKIP_1) | instid1(VALU_DEP_2)
	v_subrev_nc_u32_e32 v6, 28, v5
	v_sub_nc_u32_e32 v5, 29, v5
	v_lshlrev_b64 v[6:7], v6, v[8:9]
	s_delay_alu instid0(VALU_DEP_1)
	v_and_b32_e32 v8, 7, v6
; %bb.2183:                             ;   in Loop: Header=BB287_2082 Depth=1
	s_or_b32 exec_lo, exec_lo, s3
	v_lshlrev_b32_e32 v6, 24, v4
	s_delay_alu instid0(VALU_DEP_2) | instskip(SKIP_1) | instid1(VALU_DEP_3)
	v_lshlrev_b32_e32 v7, 20, v8
	v_lshl_add_u32 v5, v5, 23, 0x3c000000
	v_and_b32_e32 v6, 0x80000000, v6
	s_delay_alu instid0(VALU_DEP_1)
	v_or3_b32 v8, v7, v6, v5
	scratch_store_b64 off, v[8:9], s32 offset:408 ; 8-byte Folded Spill
.LBB287_2184:                           ;   in Loop: Header=BB287_2082 Depth=1
	s_or_b32 exec_lo, exec_lo, s2
.LBB287_2185:                           ;   in Loop: Header=BB287_2082 Depth=1
	s_delay_alu instid0(SALU_CYCLE_1)
	s_or_b32 exec_lo, exec_lo, s1
.LBB287_2186:                           ;   in Loop: Header=BB287_2082 Depth=1
	s_delay_alu instid0(SALU_CYCLE_1) | instskip(SKIP_2) | instid1(VALU_DEP_1)
	s_or_b32 exec_lo, exec_lo, s0
	v_lshrrev_b16 v5, 8, v4
	s_mov_b32 s0, exec_lo
	v_cmpx_ne_u16_e32 0, v5
	s_cbranch_execz .LBB287_2194
; %bb.2187:                             ;   in Loop: Header=BB287_2082 Depth=1
	v_dual_mov_b32 v6, s8 :: v_dual_mov_b32 v7, s9
	s_mov_b32 s1, exec_lo
	scratch_store_b64 off, v[6:7], s32 offset:416 ; 8-byte Folded Spill
	v_cmpx_ne_u16_e32 0x80, v5
	s_cbranch_execz .LBB287_2193
; %bb.2188:                             ;   in Loop: Header=BB287_2082 Depth=1
	s_mov_b32 s12, s8
	v_and_b32_e32 v5, 0xffff, v5
	v_dual_mov_b32 v7, s12 :: v_dual_mov_b32 v8, s13
	s_mov_b32 s2, exec_lo
	s_delay_alu instid0(VALU_DEP_2)
	v_and_b32_e32 v6, 0x7f, v5
	scratch_store_b64 off, v[7:8], s32 offset:416 ; 8-byte Folded Spill
	v_cmpx_ne_u32_e32 0x7f, v6
	s_cbranch_execz .LBB287_2192
; %bb.2189:                             ;   in Loop: Header=BB287_2082 Depth=1
	v_and_b32_e32 v8, 7, v5
	v_lshrrev_b32_e32 v5, 3, v6
	s_mov_b32 s3, exec_lo
	v_cmpx_gt_u32_e32 8, v6
; %bb.2190:                             ;   in Loop: Header=BB287_2082 Depth=1
	s_delay_alu instid0(VALU_DEP_3) | instskip(NEXT) | instid1(VALU_DEP_1)
	v_clz_i32_u32_e32 v5, v8
	v_min_u32_e32 v5, 32, v5
	s_delay_alu instid0(VALU_DEP_1) | instskip(SKIP_1) | instid1(VALU_DEP_2)
	v_subrev_nc_u32_e32 v6, 28, v5
	v_sub_nc_u32_e32 v5, 29, v5
	v_lshlrev_b64 v[6:7], v6, v[8:9]
	s_delay_alu instid0(VALU_DEP_1)
	v_and_b32_e32 v8, 7, v6
; %bb.2191:                             ;   in Loop: Header=BB287_2082 Depth=1
	s_or_b32 exec_lo, exec_lo, s3
	v_lshlrev_b32_e32 v6, 16, v4
	s_delay_alu instid0(VALU_DEP_2) | instskip(SKIP_1) | instid1(VALU_DEP_3)
	v_lshlrev_b32_e32 v7, 20, v8
	v_lshl_add_u32 v5, v5, 23, 0x3c000000
	v_and_b32_e32 v6, 0x80000000, v6
	s_delay_alu instid0(VALU_DEP_1)
	v_or3_b32 v6, v7, v6, v5
	v_mov_b32_e32 v5, v9
	scratch_store_b64 off, v[5:6], s32 offset:416 ; 8-byte Folded Spill
.LBB287_2192:                           ;   in Loop: Header=BB287_2082 Depth=1
	s_or_b32 exec_lo, exec_lo, s2
.LBB287_2193:                           ;   in Loop: Header=BB287_2082 Depth=1
	s_delay_alu instid0(SALU_CYCLE_1)
	s_or_b32 exec_lo, exec_lo, s1
.LBB287_2194:                           ;   in Loop: Header=BB287_2082 Depth=1
	s_delay_alu instid0(SALU_CYCLE_1)
	s_or_b32 exec_lo, exec_lo, s0
	v_lshrrev_b32_e32 v5, 16, v4
	v_mov_b32_e32 v7, 0
	v_mov_b32_e32 v8, 0
	s_mov_b32 s0, exec_lo
	s_clause 0x1
	scratch_store_b64 off, v[7:8], s32 offset:432
	scratch_store_b64 off, v[7:8], s32 offset:424
	v_and_b32_e32 v6, 0xff, v5
	s_delay_alu instid0(VALU_DEP_1)
	v_cmpx_ne_u16_e32 0, v6
	s_cbranch_execz .LBB287_2202
; %bb.2195:                             ;   in Loop: Header=BB287_2082 Depth=1
	v_bfrev_b32_e32 v7, 1
	v_mov_b32_e32 v8, 0
	s_mov_b32 s1, exec_lo
	scratch_store_b64 off, v[7:8], s32 offset:424 ; 8-byte Folded Spill
	v_cmpx_ne_u16_e32 0x80, v6
	s_cbranch_execz .LBB287_2201
; %bb.2196:                             ;   in Loop: Header=BB287_2082 Depth=1
	v_mov_b32_e32 v10, 0x7f800001
	v_bfe_u32 v7, v4, 16, 7
	v_mov_b32_e32 v11, 0
	s_mov_b32 s2, exec_lo
	scratch_store_b64 off, v[10:11], s32 offset:424 ; 8-byte Folded Spill
	v_cmpx_ne_u32_e32 0x7f, v7
	s_cbranch_execz .LBB287_2200
; %bb.2197:                             ;   in Loop: Header=BB287_2082 Depth=1
	v_and_b32_e32 v8, 7, v5
	v_lshrrev_b32_e32 v6, 3, v7
	s_mov_b32 s3, exec_lo
	v_cmpx_gt_u32_e32 8, v7
; %bb.2198:                             ;   in Loop: Header=BB287_2082 Depth=1
	s_delay_alu instid0(VALU_DEP_3) | instskip(NEXT) | instid1(VALU_DEP_1)
	v_clz_i32_u32_e32 v6, v8
	v_min_u32_e32 v6, 32, v6
	s_delay_alu instid0(VALU_DEP_1) | instskip(SKIP_1) | instid1(VALU_DEP_2)
	v_subrev_nc_u32_e32 v7, 28, v6
	v_sub_nc_u32_e32 v6, 29, v6
	v_lshlrev_b64 v[7:8], v7, v[8:9]
	s_delay_alu instid0(VALU_DEP_1)
	v_and_b32_e32 v8, 7, v7
; %bb.2199:                             ;   in Loop: Header=BB287_2082 Depth=1
	s_or_b32 exec_lo, exec_lo, s3
	v_lshlrev_b32_e32 v5, 24, v5
	s_delay_alu instid0(VALU_DEP_2) | instskip(SKIP_1) | instid1(VALU_DEP_3)
	v_lshlrev_b32_e32 v7, 20, v8
	v_lshl_add_u32 v6, v6, 23, 0x3c000000
	v_and_b32_e32 v5, 0x80000000, v5
	s_delay_alu instid0(VALU_DEP_1)
	v_or3_b32 v8, v7, v5, v6
	scratch_store_b64 off, v[8:9], s32 offset:424 ; 8-byte Folded Spill
.LBB287_2200:                           ;   in Loop: Header=BB287_2082 Depth=1
	s_or_b32 exec_lo, exec_lo, s2
.LBB287_2201:                           ;   in Loop: Header=BB287_2082 Depth=1
	s_delay_alu instid0(SALU_CYCLE_1)
	s_or_b32 exec_lo, exec_lo, s1
.LBB287_2202:                           ;   in Loop: Header=BB287_2082 Depth=1
	s_delay_alu instid0(SALU_CYCLE_1) | instskip(NEXT) | instid1(SALU_CYCLE_1)
	s_or_b32 exec_lo, exec_lo, s0
	s_mov_b32 s0, exec_lo
	v_cmpx_lt_u32_e32 0xffffff, v4
	s_cbranch_execz .LBB287_2210
; %bb.2203:                             ;   in Loop: Header=BB287_2082 Depth=1
	v_lshrrev_b32_e32 v5, 24, v4
	v_dual_mov_b32 v6, s8 :: v_dual_mov_b32 v7, s9
	s_mov_b32 s1, exec_lo
	scratch_store_b64 off, v[6:7], s32 offset:432 ; 8-byte Folded Spill
	v_cmpx_ne_u32_e32 0x80, v5
	s_cbranch_execz .LBB287_2209
; %bb.2204:                             ;   in Loop: Header=BB287_2082 Depth=1
	s_mov_b32 s12, s8
	v_bfe_u32 v6, v4, 24, 7
	v_dual_mov_b32 v7, s12 :: v_dual_mov_b32 v8, s13
	s_mov_b32 s2, exec_lo
	scratch_store_b64 off, v[7:8], s32 offset:432 ; 8-byte Folded Spill
	v_cmpx_ne_u32_e32 0x7f, v6
	s_cbranch_execz .LBB287_2208
; %bb.2205:                             ;   in Loop: Header=BB287_2082 Depth=1
	v_and_b32_e32 v8, 7, v5
	v_lshrrev_b32_e32 v4, 3, v6
	s_mov_b32 s3, exec_lo
	v_cmpx_gt_u32_e32 8, v6
; %bb.2206:                             ;   in Loop: Header=BB287_2082 Depth=1
	s_delay_alu instid0(VALU_DEP_3) | instskip(NEXT) | instid1(VALU_DEP_1)
	v_clz_i32_u32_e32 v4, v8
	v_min_u32_e32 v4, 32, v4
	s_delay_alu instid0(VALU_DEP_1) | instskip(SKIP_1) | instid1(VALU_DEP_2)
	v_subrev_nc_u32_e32 v6, 28, v4
	v_sub_nc_u32_e32 v4, 29, v4
	v_lshlrev_b64 v[6:7], v6, v[8:9]
	s_delay_alu instid0(VALU_DEP_1)
	v_and_b32_e32 v8, 7, v6
; %bb.2207:                             ;   in Loop: Header=BB287_2082 Depth=1
	s_or_b32 exec_lo, exec_lo, s3
	v_lshlrev_b32_e32 v5, 24, v5
	s_delay_alu instid0(VALU_DEP_2) | instskip(SKIP_1) | instid1(VALU_DEP_3)
	v_lshlrev_b32_e32 v6, 20, v8
	v_lshl_add_u32 v4, v4, 23, 0x3c000000
	v_and_b32_e32 v5, 0x80000000, v5
	s_delay_alu instid0(VALU_DEP_1)
	v_or3_b32 v5, v6, v5, v4
	v_mov_b32_e32 v4, v9
	scratch_store_b64 off, v[4:5], s32 offset:432 ; 8-byte Folded Spill
.LBB287_2208:                           ;   in Loop: Header=BB287_2082 Depth=1
	s_or_b32 exec_lo, exec_lo, s2
.LBB287_2209:                           ;   in Loop: Header=BB287_2082 Depth=1
	s_delay_alu instid0(SALU_CYCLE_1)
	s_or_b32 exec_lo, exec_lo, s1
.LBB287_2210:                           ;   in Loop: Header=BB287_2082 Depth=1
	s_delay_alu instid0(SALU_CYCLE_1)
	s_or_b32 exec_lo, exec_lo, s0
	flat_load_b32 v4, v[34:35] offset:512
	v_mov_b32_e32 v6, 0
	v_mov_b32_e32 v7, 0
	s_mov_b32 s0, exec_lo
	s_clause 0x1
	scratch_store_b64 off, v[6:7], s32 offset:448
	scratch_store_b64 off, v[6:7], s32 offset:440
	s_waitcnt vmcnt(0) lgkmcnt(0)
	v_and_b32_e32 v5, 0xff, v4
	s_delay_alu instid0(VALU_DEP_1)
	v_cmpx_ne_u16_e32 0, v5
	s_cbranch_execz .LBB287_2218
; %bb.2211:                             ;   in Loop: Header=BB287_2082 Depth=1
	v_bfrev_b32_e32 v6, 1
	v_mov_b32_e32 v7, 0
	s_mov_b32 s1, exec_lo
	scratch_store_b64 off, v[6:7], s32 offset:440 ; 8-byte Folded Spill
	v_cmpx_ne_u16_e32 0x80, v5
	s_cbranch_execz .LBB287_2217
; %bb.2212:                             ;   in Loop: Header=BB287_2082 Depth=1
	v_mov_b32_e32 v7, 0x7f800001
	v_and_b32_e32 v6, 0x7f, v4
	v_mov_b32_e32 v8, 0
	s_mov_b32 s2, exec_lo
	scratch_store_b64 off, v[7:8], s32 offset:440 ; 8-byte Folded Spill
	v_cmpx_ne_u32_e32 0x7f, v6
	s_cbranch_execz .LBB287_2216
; %bb.2213:                             ;   in Loop: Header=BB287_2082 Depth=1
	v_and_b32_e32 v8, 7, v4
	v_lshrrev_b32_e32 v5, 3, v6
	s_mov_b32 s3, exec_lo
	v_cmpx_gt_u32_e32 8, v6
; %bb.2214:                             ;   in Loop: Header=BB287_2082 Depth=1
	s_delay_alu instid0(VALU_DEP_3) | instskip(NEXT) | instid1(VALU_DEP_1)
	v_clz_i32_u32_e32 v5, v8
	v_min_u32_e32 v5, 32, v5
	s_delay_alu instid0(VALU_DEP_1) | instskip(SKIP_1) | instid1(VALU_DEP_2)
	v_subrev_nc_u32_e32 v6, 28, v5
	v_sub_nc_u32_e32 v5, 29, v5
	v_lshlrev_b64 v[6:7], v6, v[8:9]
	s_delay_alu instid0(VALU_DEP_1)
	v_and_b32_e32 v8, 7, v6
; %bb.2215:                             ;   in Loop: Header=BB287_2082 Depth=1
	s_or_b32 exec_lo, exec_lo, s3
	v_lshlrev_b32_e32 v6, 24, v4
	s_delay_alu instid0(VALU_DEP_2) | instskip(SKIP_1) | instid1(VALU_DEP_3)
	v_lshlrev_b32_e32 v7, 20, v8
	v_lshl_add_u32 v5, v5, 23, 0x3c000000
	v_and_b32_e32 v6, 0x80000000, v6
	s_delay_alu instid0(VALU_DEP_1)
	v_or3_b32 v8, v7, v6, v5
	scratch_store_b64 off, v[8:9], s32 offset:440 ; 8-byte Folded Spill
.LBB287_2216:                           ;   in Loop: Header=BB287_2082 Depth=1
	s_or_b32 exec_lo, exec_lo, s2
.LBB287_2217:                           ;   in Loop: Header=BB287_2082 Depth=1
	s_delay_alu instid0(SALU_CYCLE_1)
	s_or_b32 exec_lo, exec_lo, s1
.LBB287_2218:                           ;   in Loop: Header=BB287_2082 Depth=1
	s_delay_alu instid0(SALU_CYCLE_1) | instskip(SKIP_2) | instid1(VALU_DEP_1)
	s_or_b32 exec_lo, exec_lo, s0
	v_lshrrev_b16 v5, 8, v4
	s_mov_b32 s0, exec_lo
	v_cmpx_ne_u16_e32 0, v5
	s_cbranch_execz .LBB287_2226
; %bb.2219:                             ;   in Loop: Header=BB287_2082 Depth=1
	v_dual_mov_b32 v6, s8 :: v_dual_mov_b32 v7, s9
	s_mov_b32 s1, exec_lo
	scratch_store_b64 off, v[6:7], s32 offset:448 ; 8-byte Folded Spill
	v_cmpx_ne_u16_e32 0x80, v5
	s_cbranch_execz .LBB287_2225
; %bb.2220:                             ;   in Loop: Header=BB287_2082 Depth=1
	s_mov_b32 s12, s8
	v_and_b32_e32 v5, 0xffff, v5
	v_dual_mov_b32 v7, s12 :: v_dual_mov_b32 v8, s13
	s_mov_b32 s2, exec_lo
	s_delay_alu instid0(VALU_DEP_2)
	v_and_b32_e32 v6, 0x7f, v5
	scratch_store_b64 off, v[7:8], s32 offset:448 ; 8-byte Folded Spill
	v_cmpx_ne_u32_e32 0x7f, v6
	s_cbranch_execz .LBB287_2224
; %bb.2221:                             ;   in Loop: Header=BB287_2082 Depth=1
	v_and_b32_e32 v8, 7, v5
	v_lshrrev_b32_e32 v5, 3, v6
	s_mov_b32 s3, exec_lo
	v_cmpx_gt_u32_e32 8, v6
; %bb.2222:                             ;   in Loop: Header=BB287_2082 Depth=1
	s_delay_alu instid0(VALU_DEP_3) | instskip(NEXT) | instid1(VALU_DEP_1)
	v_clz_i32_u32_e32 v5, v8
	v_min_u32_e32 v5, 32, v5
	s_delay_alu instid0(VALU_DEP_1) | instskip(SKIP_1) | instid1(VALU_DEP_2)
	v_subrev_nc_u32_e32 v6, 28, v5
	v_sub_nc_u32_e32 v5, 29, v5
	v_lshlrev_b64 v[6:7], v6, v[8:9]
	s_delay_alu instid0(VALU_DEP_1)
	v_and_b32_e32 v8, 7, v6
; %bb.2223:                             ;   in Loop: Header=BB287_2082 Depth=1
	s_or_b32 exec_lo, exec_lo, s3
	v_lshlrev_b32_e32 v6, 16, v4
	s_delay_alu instid0(VALU_DEP_2) | instskip(SKIP_1) | instid1(VALU_DEP_3)
	v_lshlrev_b32_e32 v7, 20, v8
	v_lshl_add_u32 v5, v5, 23, 0x3c000000
	v_and_b32_e32 v6, 0x80000000, v6
	s_delay_alu instid0(VALU_DEP_1)
	v_or3_b32 v6, v7, v6, v5
	v_mov_b32_e32 v5, v9
	scratch_store_b64 off, v[5:6], s32 offset:448 ; 8-byte Folded Spill
.LBB287_2224:                           ;   in Loop: Header=BB287_2082 Depth=1
	s_or_b32 exec_lo, exec_lo, s2
.LBB287_2225:                           ;   in Loop: Header=BB287_2082 Depth=1
	s_delay_alu instid0(SALU_CYCLE_1)
	s_or_b32 exec_lo, exec_lo, s1
.LBB287_2226:                           ;   in Loop: Header=BB287_2082 Depth=1
	s_delay_alu instid0(SALU_CYCLE_1)
	s_or_b32 exec_lo, exec_lo, s0
	v_lshrrev_b32_e32 v5, 16, v4
	v_mov_b32_e32 v7, 0
	v_mov_b32_e32 v8, 0
	s_mov_b32 s0, exec_lo
	s_clause 0x1
	scratch_store_b64 off, v[7:8], s32 offset:464
	scratch_store_b64 off, v[7:8], s32 offset:456
	v_and_b32_e32 v6, 0xff, v5
	s_delay_alu instid0(VALU_DEP_1)
	v_cmpx_ne_u16_e32 0, v6
	s_cbranch_execz .LBB287_2234
; %bb.2227:                             ;   in Loop: Header=BB287_2082 Depth=1
	v_bfrev_b32_e32 v7, 1
	v_mov_b32_e32 v8, 0
	s_mov_b32 s1, exec_lo
	scratch_store_b64 off, v[7:8], s32 offset:456 ; 8-byte Folded Spill
	v_cmpx_ne_u16_e32 0x80, v6
	s_cbranch_execz .LBB287_2233
; %bb.2228:                             ;   in Loop: Header=BB287_2082 Depth=1
	v_mov_b32_e32 v10, 0x7f800001
	v_bfe_u32 v7, v4, 16, 7
	v_mov_b32_e32 v11, 0
	s_mov_b32 s2, exec_lo
	scratch_store_b64 off, v[10:11], s32 offset:456 ; 8-byte Folded Spill
	v_cmpx_ne_u32_e32 0x7f, v7
	s_cbranch_execz .LBB287_2232
; %bb.2229:                             ;   in Loop: Header=BB287_2082 Depth=1
	v_and_b32_e32 v8, 7, v5
	v_lshrrev_b32_e32 v6, 3, v7
	s_mov_b32 s3, exec_lo
	v_cmpx_gt_u32_e32 8, v7
; %bb.2230:                             ;   in Loop: Header=BB287_2082 Depth=1
	s_delay_alu instid0(VALU_DEP_3) | instskip(NEXT) | instid1(VALU_DEP_1)
	v_clz_i32_u32_e32 v6, v8
	v_min_u32_e32 v6, 32, v6
	s_delay_alu instid0(VALU_DEP_1) | instskip(SKIP_1) | instid1(VALU_DEP_2)
	v_subrev_nc_u32_e32 v7, 28, v6
	v_sub_nc_u32_e32 v6, 29, v6
	v_lshlrev_b64 v[7:8], v7, v[8:9]
	s_delay_alu instid0(VALU_DEP_1)
	v_and_b32_e32 v8, 7, v7
; %bb.2231:                             ;   in Loop: Header=BB287_2082 Depth=1
	s_or_b32 exec_lo, exec_lo, s3
	v_lshlrev_b32_e32 v5, 24, v5
	s_delay_alu instid0(VALU_DEP_2) | instskip(SKIP_1) | instid1(VALU_DEP_3)
	v_lshlrev_b32_e32 v7, 20, v8
	v_lshl_add_u32 v6, v6, 23, 0x3c000000
	v_and_b32_e32 v5, 0x80000000, v5
	s_delay_alu instid0(VALU_DEP_1)
	v_or3_b32 v8, v7, v5, v6
	scratch_store_b64 off, v[8:9], s32 offset:456 ; 8-byte Folded Spill
.LBB287_2232:                           ;   in Loop: Header=BB287_2082 Depth=1
	s_or_b32 exec_lo, exec_lo, s2
.LBB287_2233:                           ;   in Loop: Header=BB287_2082 Depth=1
	s_delay_alu instid0(SALU_CYCLE_1)
	s_or_b32 exec_lo, exec_lo, s1
.LBB287_2234:                           ;   in Loop: Header=BB287_2082 Depth=1
	s_delay_alu instid0(SALU_CYCLE_1) | instskip(NEXT) | instid1(SALU_CYCLE_1)
	s_or_b32 exec_lo, exec_lo, s0
	s_mov_b32 s0, exec_lo
	v_cmpx_lt_u32_e32 0xffffff, v4
	s_cbranch_execz .LBB287_2242
; %bb.2235:                             ;   in Loop: Header=BB287_2082 Depth=1
	v_lshrrev_b32_e32 v5, 24, v4
	v_dual_mov_b32 v6, s8 :: v_dual_mov_b32 v7, s9
	s_mov_b32 s1, exec_lo
	scratch_store_b64 off, v[6:7], s32 offset:464 ; 8-byte Folded Spill
	v_cmpx_ne_u32_e32 0x80, v5
	s_cbranch_execz .LBB287_2241
; %bb.2236:                             ;   in Loop: Header=BB287_2082 Depth=1
	s_mov_b32 s12, s8
	v_bfe_u32 v6, v4, 24, 7
	v_dual_mov_b32 v7, s12 :: v_dual_mov_b32 v8, s13
	s_mov_b32 s2, exec_lo
	scratch_store_b64 off, v[7:8], s32 offset:464 ; 8-byte Folded Spill
	v_cmpx_ne_u32_e32 0x7f, v6
	s_cbranch_execz .LBB287_2240
; %bb.2237:                             ;   in Loop: Header=BB287_2082 Depth=1
	v_and_b32_e32 v8, 7, v5
	v_lshrrev_b32_e32 v4, 3, v6
	s_mov_b32 s3, exec_lo
	v_cmpx_gt_u32_e32 8, v6
; %bb.2238:                             ;   in Loop: Header=BB287_2082 Depth=1
	s_delay_alu instid0(VALU_DEP_3) | instskip(NEXT) | instid1(VALU_DEP_1)
	v_clz_i32_u32_e32 v4, v8
	v_min_u32_e32 v4, 32, v4
	s_delay_alu instid0(VALU_DEP_1) | instskip(SKIP_1) | instid1(VALU_DEP_2)
	v_subrev_nc_u32_e32 v6, 28, v4
	v_sub_nc_u32_e32 v4, 29, v4
	v_lshlrev_b64 v[6:7], v6, v[8:9]
	s_delay_alu instid0(VALU_DEP_1)
	v_and_b32_e32 v8, 7, v6
; %bb.2239:                             ;   in Loop: Header=BB287_2082 Depth=1
	s_or_b32 exec_lo, exec_lo, s3
	v_lshlrev_b32_e32 v5, 24, v5
	s_delay_alu instid0(VALU_DEP_2) | instskip(SKIP_1) | instid1(VALU_DEP_3)
	v_lshlrev_b32_e32 v6, 20, v8
	v_lshl_add_u32 v4, v4, 23, 0x3c000000
	v_and_b32_e32 v5, 0x80000000, v5
	s_delay_alu instid0(VALU_DEP_1)
	v_or3_b32 v5, v6, v5, v4
	v_mov_b32_e32 v4, v9
	scratch_store_b64 off, v[4:5], s32 offset:464 ; 8-byte Folded Spill
.LBB287_2240:                           ;   in Loop: Header=BB287_2082 Depth=1
	s_or_b32 exec_lo, exec_lo, s2
.LBB287_2241:                           ;   in Loop: Header=BB287_2082 Depth=1
	s_delay_alu instid0(SALU_CYCLE_1)
	s_or_b32 exec_lo, exec_lo, s1
.LBB287_2242:                           ;   in Loop: Header=BB287_2082 Depth=1
	s_delay_alu instid0(SALU_CYCLE_1)
	s_or_b32 exec_lo, exec_lo, s0
	flat_load_b32 v4, v[34:35] offset:640
	v_mov_b32_e32 v6, 0
	v_mov_b32_e32 v7, 0
	s_mov_b32 s0, exec_lo
	s_clause 0x1
	scratch_store_b64 off, v[6:7], s32 offset:480
	scratch_store_b64 off, v[6:7], s32 offset:472
	s_waitcnt vmcnt(0) lgkmcnt(0)
	v_and_b32_e32 v5, 0xff, v4
	s_delay_alu instid0(VALU_DEP_1)
	v_cmpx_ne_u16_e32 0, v5
	s_cbranch_execz .LBB287_2250
; %bb.2243:                             ;   in Loop: Header=BB287_2082 Depth=1
	v_bfrev_b32_e32 v6, 1
	v_mov_b32_e32 v7, 0
	s_mov_b32 s1, exec_lo
	scratch_store_b64 off, v[6:7], s32 offset:472 ; 8-byte Folded Spill
	v_cmpx_ne_u16_e32 0x80, v5
	s_cbranch_execz .LBB287_2249
; %bb.2244:                             ;   in Loop: Header=BB287_2082 Depth=1
	v_mov_b32_e32 v7, 0x7f800001
	v_and_b32_e32 v6, 0x7f, v4
	v_mov_b32_e32 v8, 0
	s_mov_b32 s2, exec_lo
	scratch_store_b64 off, v[7:8], s32 offset:472 ; 8-byte Folded Spill
	v_cmpx_ne_u32_e32 0x7f, v6
	s_cbranch_execz .LBB287_2248
; %bb.2245:                             ;   in Loop: Header=BB287_2082 Depth=1
	v_and_b32_e32 v8, 7, v4
	v_lshrrev_b32_e32 v5, 3, v6
	s_mov_b32 s3, exec_lo
	v_cmpx_gt_u32_e32 8, v6
; %bb.2246:                             ;   in Loop: Header=BB287_2082 Depth=1
	s_delay_alu instid0(VALU_DEP_3) | instskip(NEXT) | instid1(VALU_DEP_1)
	v_clz_i32_u32_e32 v5, v8
	v_min_u32_e32 v5, 32, v5
	s_delay_alu instid0(VALU_DEP_1) | instskip(SKIP_1) | instid1(VALU_DEP_2)
	v_subrev_nc_u32_e32 v6, 28, v5
	v_sub_nc_u32_e32 v5, 29, v5
	v_lshlrev_b64 v[6:7], v6, v[8:9]
	s_delay_alu instid0(VALU_DEP_1)
	v_and_b32_e32 v8, 7, v6
; %bb.2247:                             ;   in Loop: Header=BB287_2082 Depth=1
	s_or_b32 exec_lo, exec_lo, s3
	v_lshlrev_b32_e32 v6, 24, v4
	s_delay_alu instid0(VALU_DEP_2) | instskip(SKIP_1) | instid1(VALU_DEP_3)
	v_lshlrev_b32_e32 v7, 20, v8
	v_lshl_add_u32 v5, v5, 23, 0x3c000000
	v_and_b32_e32 v6, 0x80000000, v6
	s_delay_alu instid0(VALU_DEP_1)
	v_or3_b32 v8, v7, v6, v5
	scratch_store_b64 off, v[8:9], s32 offset:472 ; 8-byte Folded Spill
.LBB287_2248:                           ;   in Loop: Header=BB287_2082 Depth=1
	s_or_b32 exec_lo, exec_lo, s2
.LBB287_2249:                           ;   in Loop: Header=BB287_2082 Depth=1
	s_delay_alu instid0(SALU_CYCLE_1)
	s_or_b32 exec_lo, exec_lo, s1
.LBB287_2250:                           ;   in Loop: Header=BB287_2082 Depth=1
	s_delay_alu instid0(SALU_CYCLE_1) | instskip(SKIP_2) | instid1(VALU_DEP_1)
	s_or_b32 exec_lo, exec_lo, s0
	v_lshrrev_b16 v5, 8, v4
	s_mov_b32 s0, exec_lo
	v_cmpx_ne_u16_e32 0, v5
	s_cbranch_execz .LBB287_2258
; %bb.2251:                             ;   in Loop: Header=BB287_2082 Depth=1
	v_dual_mov_b32 v6, s8 :: v_dual_mov_b32 v7, s9
	s_mov_b32 s1, exec_lo
	scratch_store_b64 off, v[6:7], s32 offset:480 ; 8-byte Folded Spill
	v_cmpx_ne_u16_e32 0x80, v5
	s_cbranch_execz .LBB287_2257
; %bb.2252:                             ;   in Loop: Header=BB287_2082 Depth=1
	s_mov_b32 s12, s8
	v_and_b32_e32 v5, 0xffff, v5
	v_dual_mov_b32 v7, s12 :: v_dual_mov_b32 v8, s13
	s_mov_b32 s2, exec_lo
	s_delay_alu instid0(VALU_DEP_2)
	v_and_b32_e32 v6, 0x7f, v5
	scratch_store_b64 off, v[7:8], s32 offset:480 ; 8-byte Folded Spill
	v_cmpx_ne_u32_e32 0x7f, v6
	s_cbranch_execz .LBB287_2256
; %bb.2253:                             ;   in Loop: Header=BB287_2082 Depth=1
	v_and_b32_e32 v8, 7, v5
	v_lshrrev_b32_e32 v5, 3, v6
	s_mov_b32 s3, exec_lo
	v_cmpx_gt_u32_e32 8, v6
; %bb.2254:                             ;   in Loop: Header=BB287_2082 Depth=1
	s_delay_alu instid0(VALU_DEP_3) | instskip(NEXT) | instid1(VALU_DEP_1)
	v_clz_i32_u32_e32 v5, v8
	v_min_u32_e32 v5, 32, v5
	s_delay_alu instid0(VALU_DEP_1) | instskip(SKIP_1) | instid1(VALU_DEP_2)
	v_subrev_nc_u32_e32 v6, 28, v5
	v_sub_nc_u32_e32 v5, 29, v5
	v_lshlrev_b64 v[6:7], v6, v[8:9]
	s_delay_alu instid0(VALU_DEP_1)
	v_and_b32_e32 v8, 7, v6
; %bb.2255:                             ;   in Loop: Header=BB287_2082 Depth=1
	s_or_b32 exec_lo, exec_lo, s3
	v_lshlrev_b32_e32 v6, 16, v4
	s_delay_alu instid0(VALU_DEP_2) | instskip(SKIP_1) | instid1(VALU_DEP_3)
	v_lshlrev_b32_e32 v7, 20, v8
	v_lshl_add_u32 v5, v5, 23, 0x3c000000
	v_and_b32_e32 v6, 0x80000000, v6
	s_delay_alu instid0(VALU_DEP_1)
	v_or3_b32 v6, v7, v6, v5
	v_mov_b32_e32 v5, v9
	scratch_store_b64 off, v[5:6], s32 offset:480 ; 8-byte Folded Spill
.LBB287_2256:                           ;   in Loop: Header=BB287_2082 Depth=1
	s_or_b32 exec_lo, exec_lo, s2
.LBB287_2257:                           ;   in Loop: Header=BB287_2082 Depth=1
	s_delay_alu instid0(SALU_CYCLE_1)
	s_or_b32 exec_lo, exec_lo, s1
.LBB287_2258:                           ;   in Loop: Header=BB287_2082 Depth=1
	s_delay_alu instid0(SALU_CYCLE_1)
	s_or_b32 exec_lo, exec_lo, s0
	v_lshrrev_b32_e32 v5, 16, v4
	v_mov_b32_e32 v7, 0
	v_mov_b32_e32 v8, 0
	s_mov_b32 s0, exec_lo
	s_clause 0x1
	scratch_store_b64 off, v[7:8], s32 offset:496
	scratch_store_b64 off, v[7:8], s32 offset:488
	v_and_b32_e32 v6, 0xff, v5
	s_delay_alu instid0(VALU_DEP_1)
	v_cmpx_ne_u16_e32 0, v6
	s_cbranch_execz .LBB287_2266
; %bb.2259:                             ;   in Loop: Header=BB287_2082 Depth=1
	v_bfrev_b32_e32 v7, 1
	v_mov_b32_e32 v8, 0
	s_mov_b32 s1, exec_lo
	scratch_store_b64 off, v[7:8], s32 offset:488 ; 8-byte Folded Spill
	v_cmpx_ne_u16_e32 0x80, v6
	s_cbranch_execz .LBB287_2265
; %bb.2260:                             ;   in Loop: Header=BB287_2082 Depth=1
	v_mov_b32_e32 v10, 0x7f800001
	v_bfe_u32 v7, v4, 16, 7
	v_mov_b32_e32 v11, 0
	s_mov_b32 s2, exec_lo
	scratch_store_b64 off, v[10:11], s32 offset:488 ; 8-byte Folded Spill
	v_cmpx_ne_u32_e32 0x7f, v7
	s_cbranch_execz .LBB287_2264
; %bb.2261:                             ;   in Loop: Header=BB287_2082 Depth=1
	v_and_b32_e32 v8, 7, v5
	v_lshrrev_b32_e32 v6, 3, v7
	s_mov_b32 s3, exec_lo
	v_cmpx_gt_u32_e32 8, v7
; %bb.2262:                             ;   in Loop: Header=BB287_2082 Depth=1
	s_delay_alu instid0(VALU_DEP_3) | instskip(NEXT) | instid1(VALU_DEP_1)
	v_clz_i32_u32_e32 v6, v8
	v_min_u32_e32 v6, 32, v6
	s_delay_alu instid0(VALU_DEP_1) | instskip(SKIP_1) | instid1(VALU_DEP_2)
	v_subrev_nc_u32_e32 v7, 28, v6
	v_sub_nc_u32_e32 v6, 29, v6
	v_lshlrev_b64 v[7:8], v7, v[8:9]
	s_delay_alu instid0(VALU_DEP_1)
	v_and_b32_e32 v8, 7, v7
; %bb.2263:                             ;   in Loop: Header=BB287_2082 Depth=1
	s_or_b32 exec_lo, exec_lo, s3
	v_lshlrev_b32_e32 v5, 24, v5
	s_delay_alu instid0(VALU_DEP_2) | instskip(SKIP_1) | instid1(VALU_DEP_3)
	v_lshlrev_b32_e32 v7, 20, v8
	v_lshl_add_u32 v6, v6, 23, 0x3c000000
	v_and_b32_e32 v5, 0x80000000, v5
	s_delay_alu instid0(VALU_DEP_1)
	v_or3_b32 v8, v7, v5, v6
	scratch_store_b64 off, v[8:9], s32 offset:488 ; 8-byte Folded Spill
.LBB287_2264:                           ;   in Loop: Header=BB287_2082 Depth=1
	s_or_b32 exec_lo, exec_lo, s2
.LBB287_2265:                           ;   in Loop: Header=BB287_2082 Depth=1
	s_delay_alu instid0(SALU_CYCLE_1)
	s_or_b32 exec_lo, exec_lo, s1
.LBB287_2266:                           ;   in Loop: Header=BB287_2082 Depth=1
	s_delay_alu instid0(SALU_CYCLE_1) | instskip(NEXT) | instid1(SALU_CYCLE_1)
	s_or_b32 exec_lo, exec_lo, s0
	s_mov_b32 s0, exec_lo
	v_cmpx_lt_u32_e32 0xffffff, v4
	s_cbranch_execz .LBB287_2274
; %bb.2267:                             ;   in Loop: Header=BB287_2082 Depth=1
	v_lshrrev_b32_e32 v5, 24, v4
	v_dual_mov_b32 v6, s8 :: v_dual_mov_b32 v7, s9
	s_mov_b32 s1, exec_lo
	scratch_store_b64 off, v[6:7], s32 offset:496 ; 8-byte Folded Spill
	v_cmpx_ne_u32_e32 0x80, v5
	s_cbranch_execz .LBB287_2273
; %bb.2268:                             ;   in Loop: Header=BB287_2082 Depth=1
	s_mov_b32 s12, s8
	v_bfe_u32 v6, v4, 24, 7
	v_dual_mov_b32 v7, s12 :: v_dual_mov_b32 v8, s13
	s_mov_b32 s2, exec_lo
	scratch_store_b64 off, v[7:8], s32 offset:496 ; 8-byte Folded Spill
	v_cmpx_ne_u32_e32 0x7f, v6
	s_cbranch_execz .LBB287_2272
; %bb.2269:                             ;   in Loop: Header=BB287_2082 Depth=1
	v_and_b32_e32 v8, 7, v5
	v_lshrrev_b32_e32 v4, 3, v6
	s_mov_b32 s3, exec_lo
	v_cmpx_gt_u32_e32 8, v6
; %bb.2270:                             ;   in Loop: Header=BB287_2082 Depth=1
	s_delay_alu instid0(VALU_DEP_3) | instskip(NEXT) | instid1(VALU_DEP_1)
	v_clz_i32_u32_e32 v4, v8
	v_min_u32_e32 v4, 32, v4
	s_delay_alu instid0(VALU_DEP_1) | instskip(SKIP_1) | instid1(VALU_DEP_2)
	v_subrev_nc_u32_e32 v6, 28, v4
	v_sub_nc_u32_e32 v4, 29, v4
	v_lshlrev_b64 v[6:7], v6, v[8:9]
	s_delay_alu instid0(VALU_DEP_1)
	v_and_b32_e32 v8, 7, v6
; %bb.2271:                             ;   in Loop: Header=BB287_2082 Depth=1
	s_or_b32 exec_lo, exec_lo, s3
	v_lshlrev_b32_e32 v5, 24, v5
	s_delay_alu instid0(VALU_DEP_2) | instskip(SKIP_1) | instid1(VALU_DEP_3)
	v_lshlrev_b32_e32 v6, 20, v8
	v_lshl_add_u32 v4, v4, 23, 0x3c000000
	v_and_b32_e32 v5, 0x80000000, v5
	s_delay_alu instid0(VALU_DEP_1)
	v_or3_b32 v5, v6, v5, v4
	v_mov_b32_e32 v4, v9
	scratch_store_b64 off, v[4:5], s32 offset:496 ; 8-byte Folded Spill
.LBB287_2272:                           ;   in Loop: Header=BB287_2082 Depth=1
	s_or_b32 exec_lo, exec_lo, s2
.LBB287_2273:                           ;   in Loop: Header=BB287_2082 Depth=1
	s_delay_alu instid0(SALU_CYCLE_1)
	s_or_b32 exec_lo, exec_lo, s1
.LBB287_2274:                           ;   in Loop: Header=BB287_2082 Depth=1
	s_delay_alu instid0(SALU_CYCLE_1)
	s_or_b32 exec_lo, exec_lo, s0
	flat_load_b32 v4, v[34:35] offset:768
	v_mov_b32_e32 v6, 0
	v_mov_b32_e32 v7, 0
	s_mov_b32 s0, exec_lo
	s_clause 0x1
	scratch_store_b64 off, v[6:7], s32 offset:512
	scratch_store_b64 off, v[6:7], s32 offset:504
	s_waitcnt vmcnt(0) lgkmcnt(0)
	v_and_b32_e32 v5, 0xff, v4
	s_delay_alu instid0(VALU_DEP_1)
	v_cmpx_ne_u16_e32 0, v5
	s_cbranch_execz .LBB287_2282
; %bb.2275:                             ;   in Loop: Header=BB287_2082 Depth=1
	v_bfrev_b32_e32 v6, 1
	v_mov_b32_e32 v7, 0
	s_mov_b32 s1, exec_lo
	scratch_store_b64 off, v[6:7], s32 offset:504 ; 8-byte Folded Spill
	v_cmpx_ne_u16_e32 0x80, v5
	s_cbranch_execz .LBB287_2281
; %bb.2276:                             ;   in Loop: Header=BB287_2082 Depth=1
	v_mov_b32_e32 v7, 0x7f800001
	v_and_b32_e32 v6, 0x7f, v4
	v_mov_b32_e32 v8, 0
	s_mov_b32 s2, exec_lo
	scratch_store_b64 off, v[7:8], s32 offset:504 ; 8-byte Folded Spill
	v_cmpx_ne_u32_e32 0x7f, v6
	s_cbranch_execz .LBB287_2280
; %bb.2277:                             ;   in Loop: Header=BB287_2082 Depth=1
	v_and_b32_e32 v8, 7, v4
	v_lshrrev_b32_e32 v5, 3, v6
	s_mov_b32 s3, exec_lo
	v_cmpx_gt_u32_e32 8, v6
; %bb.2278:                             ;   in Loop: Header=BB287_2082 Depth=1
	s_delay_alu instid0(VALU_DEP_3) | instskip(NEXT) | instid1(VALU_DEP_1)
	v_clz_i32_u32_e32 v5, v8
	v_min_u32_e32 v5, 32, v5
	s_delay_alu instid0(VALU_DEP_1) | instskip(SKIP_1) | instid1(VALU_DEP_2)
	v_subrev_nc_u32_e32 v6, 28, v5
	v_sub_nc_u32_e32 v5, 29, v5
	v_lshlrev_b64 v[6:7], v6, v[8:9]
	s_delay_alu instid0(VALU_DEP_1)
	v_and_b32_e32 v8, 7, v6
; %bb.2279:                             ;   in Loop: Header=BB287_2082 Depth=1
	s_or_b32 exec_lo, exec_lo, s3
	v_lshlrev_b32_e32 v6, 24, v4
	s_delay_alu instid0(VALU_DEP_2) | instskip(SKIP_1) | instid1(VALU_DEP_3)
	v_lshlrev_b32_e32 v7, 20, v8
	v_lshl_add_u32 v5, v5, 23, 0x3c000000
	v_and_b32_e32 v6, 0x80000000, v6
	s_delay_alu instid0(VALU_DEP_1)
	v_or3_b32 v8, v7, v6, v5
	scratch_store_b64 off, v[8:9], s32 offset:504 ; 8-byte Folded Spill
.LBB287_2280:                           ;   in Loop: Header=BB287_2082 Depth=1
	s_or_b32 exec_lo, exec_lo, s2
.LBB287_2281:                           ;   in Loop: Header=BB287_2082 Depth=1
	s_delay_alu instid0(SALU_CYCLE_1)
	s_or_b32 exec_lo, exec_lo, s1
.LBB287_2282:                           ;   in Loop: Header=BB287_2082 Depth=1
	s_delay_alu instid0(SALU_CYCLE_1) | instskip(SKIP_2) | instid1(VALU_DEP_1)
	s_or_b32 exec_lo, exec_lo, s0
	v_lshrrev_b16 v5, 8, v4
	s_mov_b32 s0, exec_lo
	v_cmpx_ne_u16_e32 0, v5
	s_cbranch_execz .LBB287_2290
; %bb.2283:                             ;   in Loop: Header=BB287_2082 Depth=1
	v_dual_mov_b32 v6, s8 :: v_dual_mov_b32 v7, s9
	s_mov_b32 s1, exec_lo
	scratch_store_b64 off, v[6:7], s32 offset:512 ; 8-byte Folded Spill
	v_cmpx_ne_u16_e32 0x80, v5
	s_cbranch_execz .LBB287_2289
; %bb.2284:                             ;   in Loop: Header=BB287_2082 Depth=1
	s_mov_b32 s12, s8
	v_and_b32_e32 v5, 0xffff, v5
	v_dual_mov_b32 v7, s12 :: v_dual_mov_b32 v8, s13
	s_mov_b32 s2, exec_lo
	s_delay_alu instid0(VALU_DEP_2)
	v_and_b32_e32 v6, 0x7f, v5
	scratch_store_b64 off, v[7:8], s32 offset:512 ; 8-byte Folded Spill
	v_cmpx_ne_u32_e32 0x7f, v6
	s_cbranch_execz .LBB287_2288
; %bb.2285:                             ;   in Loop: Header=BB287_2082 Depth=1
	v_and_b32_e32 v8, 7, v5
	v_lshrrev_b32_e32 v5, 3, v6
	s_mov_b32 s3, exec_lo
	v_cmpx_gt_u32_e32 8, v6
; %bb.2286:                             ;   in Loop: Header=BB287_2082 Depth=1
	s_delay_alu instid0(VALU_DEP_3) | instskip(NEXT) | instid1(VALU_DEP_1)
	v_clz_i32_u32_e32 v5, v8
	v_min_u32_e32 v5, 32, v5
	s_delay_alu instid0(VALU_DEP_1) | instskip(SKIP_1) | instid1(VALU_DEP_2)
	v_subrev_nc_u32_e32 v6, 28, v5
	v_sub_nc_u32_e32 v5, 29, v5
	v_lshlrev_b64 v[6:7], v6, v[8:9]
	s_delay_alu instid0(VALU_DEP_1)
	v_and_b32_e32 v8, 7, v6
; %bb.2287:                             ;   in Loop: Header=BB287_2082 Depth=1
	s_or_b32 exec_lo, exec_lo, s3
	v_lshlrev_b32_e32 v6, 16, v4
	s_delay_alu instid0(VALU_DEP_2) | instskip(SKIP_1) | instid1(VALU_DEP_3)
	v_lshlrev_b32_e32 v7, 20, v8
	v_lshl_add_u32 v5, v5, 23, 0x3c000000
	v_and_b32_e32 v6, 0x80000000, v6
	s_delay_alu instid0(VALU_DEP_1)
	v_or3_b32 v6, v7, v6, v5
	v_mov_b32_e32 v5, v9
	scratch_store_b64 off, v[5:6], s32 offset:512 ; 8-byte Folded Spill
.LBB287_2288:                           ;   in Loop: Header=BB287_2082 Depth=1
	s_or_b32 exec_lo, exec_lo, s2
.LBB287_2289:                           ;   in Loop: Header=BB287_2082 Depth=1
	s_delay_alu instid0(SALU_CYCLE_1)
	s_or_b32 exec_lo, exec_lo, s1
.LBB287_2290:                           ;   in Loop: Header=BB287_2082 Depth=1
	s_delay_alu instid0(SALU_CYCLE_1)
	s_or_b32 exec_lo, exec_lo, s0
	v_lshrrev_b32_e32 v5, 16, v4
	v_mov_b32_e32 v7, 0
	v_mov_b32_e32 v8, 0
	s_mov_b32 s0, exec_lo
	s_clause 0x1
	scratch_store_b64 off, v[7:8], s32 offset:528
	scratch_store_b64 off, v[7:8], s32 offset:520
	v_and_b32_e32 v6, 0xff, v5
	s_delay_alu instid0(VALU_DEP_1)
	v_cmpx_ne_u16_e32 0, v6
	s_cbranch_execz .LBB287_2298
; %bb.2291:                             ;   in Loop: Header=BB287_2082 Depth=1
	v_bfrev_b32_e32 v7, 1
	v_mov_b32_e32 v8, 0
	s_mov_b32 s1, exec_lo
	scratch_store_b64 off, v[7:8], s32 offset:520 ; 8-byte Folded Spill
	v_cmpx_ne_u16_e32 0x80, v6
	s_cbranch_execz .LBB287_2297
; %bb.2292:                             ;   in Loop: Header=BB287_2082 Depth=1
	v_mov_b32_e32 v10, 0x7f800001
	v_bfe_u32 v7, v4, 16, 7
	v_mov_b32_e32 v11, 0
	s_mov_b32 s2, exec_lo
	scratch_store_b64 off, v[10:11], s32 offset:520 ; 8-byte Folded Spill
	v_cmpx_ne_u32_e32 0x7f, v7
	s_cbranch_execz .LBB287_2296
; %bb.2293:                             ;   in Loop: Header=BB287_2082 Depth=1
	v_and_b32_e32 v8, 7, v5
	v_lshrrev_b32_e32 v6, 3, v7
	s_mov_b32 s3, exec_lo
	v_cmpx_gt_u32_e32 8, v7
; %bb.2294:                             ;   in Loop: Header=BB287_2082 Depth=1
	s_delay_alu instid0(VALU_DEP_3) | instskip(NEXT) | instid1(VALU_DEP_1)
	v_clz_i32_u32_e32 v6, v8
	v_min_u32_e32 v6, 32, v6
	s_delay_alu instid0(VALU_DEP_1) | instskip(SKIP_1) | instid1(VALU_DEP_2)
	v_subrev_nc_u32_e32 v7, 28, v6
	v_sub_nc_u32_e32 v6, 29, v6
	v_lshlrev_b64 v[7:8], v7, v[8:9]
	s_delay_alu instid0(VALU_DEP_1)
	v_and_b32_e32 v8, 7, v7
; %bb.2295:                             ;   in Loop: Header=BB287_2082 Depth=1
	s_or_b32 exec_lo, exec_lo, s3
	v_lshlrev_b32_e32 v5, 24, v5
	s_delay_alu instid0(VALU_DEP_2) | instskip(SKIP_1) | instid1(VALU_DEP_3)
	v_lshlrev_b32_e32 v7, 20, v8
	v_lshl_add_u32 v6, v6, 23, 0x3c000000
	v_and_b32_e32 v5, 0x80000000, v5
	s_delay_alu instid0(VALU_DEP_1)
	v_or3_b32 v8, v7, v5, v6
	scratch_store_b64 off, v[8:9], s32 offset:520 ; 8-byte Folded Spill
.LBB287_2296:                           ;   in Loop: Header=BB287_2082 Depth=1
	s_or_b32 exec_lo, exec_lo, s2
.LBB287_2297:                           ;   in Loop: Header=BB287_2082 Depth=1
	s_delay_alu instid0(SALU_CYCLE_1)
	s_or_b32 exec_lo, exec_lo, s1
.LBB287_2298:                           ;   in Loop: Header=BB287_2082 Depth=1
	s_delay_alu instid0(SALU_CYCLE_1) | instskip(NEXT) | instid1(SALU_CYCLE_1)
	s_or_b32 exec_lo, exec_lo, s0
	s_mov_b32 s0, exec_lo
	v_cmpx_lt_u32_e32 0xffffff, v4
	s_cbranch_execz .LBB287_2306
; %bb.2299:                             ;   in Loop: Header=BB287_2082 Depth=1
	v_lshrrev_b32_e32 v5, 24, v4
	v_dual_mov_b32 v6, s8 :: v_dual_mov_b32 v7, s9
	s_mov_b32 s1, exec_lo
	scratch_store_b64 off, v[6:7], s32 offset:528 ; 8-byte Folded Spill
	v_cmpx_ne_u32_e32 0x80, v5
	s_cbranch_execz .LBB287_2305
; %bb.2300:                             ;   in Loop: Header=BB287_2082 Depth=1
	s_mov_b32 s12, s8
	v_bfe_u32 v6, v4, 24, 7
	v_dual_mov_b32 v7, s12 :: v_dual_mov_b32 v8, s13
	s_mov_b32 s2, exec_lo
	scratch_store_b64 off, v[7:8], s32 offset:528 ; 8-byte Folded Spill
	v_cmpx_ne_u32_e32 0x7f, v6
	s_cbranch_execz .LBB287_2304
; %bb.2301:                             ;   in Loop: Header=BB287_2082 Depth=1
	v_and_b32_e32 v8, 7, v5
	v_lshrrev_b32_e32 v4, 3, v6
	s_mov_b32 s3, exec_lo
	v_cmpx_gt_u32_e32 8, v6
; %bb.2302:                             ;   in Loop: Header=BB287_2082 Depth=1
	s_delay_alu instid0(VALU_DEP_3) | instskip(NEXT) | instid1(VALU_DEP_1)
	v_clz_i32_u32_e32 v4, v8
	v_min_u32_e32 v4, 32, v4
	s_delay_alu instid0(VALU_DEP_1) | instskip(SKIP_1) | instid1(VALU_DEP_2)
	v_subrev_nc_u32_e32 v6, 28, v4
	v_sub_nc_u32_e32 v4, 29, v4
	v_lshlrev_b64 v[6:7], v6, v[8:9]
	s_delay_alu instid0(VALU_DEP_1)
	v_and_b32_e32 v8, 7, v6
; %bb.2303:                             ;   in Loop: Header=BB287_2082 Depth=1
	s_or_b32 exec_lo, exec_lo, s3
	v_lshlrev_b32_e32 v5, 24, v5
	s_delay_alu instid0(VALU_DEP_2) | instskip(SKIP_1) | instid1(VALU_DEP_3)
	v_lshlrev_b32_e32 v6, 20, v8
	v_lshl_add_u32 v4, v4, 23, 0x3c000000
	v_and_b32_e32 v5, 0x80000000, v5
	s_delay_alu instid0(VALU_DEP_1)
	v_or3_b32 v5, v6, v5, v4
	v_mov_b32_e32 v4, v9
	scratch_store_b64 off, v[4:5], s32 offset:528 ; 8-byte Folded Spill
.LBB287_2304:                           ;   in Loop: Header=BB287_2082 Depth=1
	s_or_b32 exec_lo, exec_lo, s2
.LBB287_2305:                           ;   in Loop: Header=BB287_2082 Depth=1
	s_delay_alu instid0(SALU_CYCLE_1)
	s_or_b32 exec_lo, exec_lo, s1
.LBB287_2306:                           ;   in Loop: Header=BB287_2082 Depth=1
	s_delay_alu instid0(SALU_CYCLE_1)
	s_or_b32 exec_lo, exec_lo, s0
	flat_load_b32 v4, v[34:35] offset:896
	v_mov_b32_e32 v6, 0
	v_mov_b32_e32 v7, 0
	s_mov_b32 s0, exec_lo
	s_clause 0x1
	scratch_store_b64 off, v[6:7], s32 offset:544
	scratch_store_b64 off, v[6:7], s32 offset:536
	s_waitcnt vmcnt(0) lgkmcnt(0)
	v_and_b32_e32 v5, 0xff, v4
	s_delay_alu instid0(VALU_DEP_1)
	v_cmpx_ne_u16_e32 0, v5
	s_cbranch_execz .LBB287_2314
; %bb.2307:                             ;   in Loop: Header=BB287_2082 Depth=1
	v_bfrev_b32_e32 v6, 1
	v_mov_b32_e32 v7, 0
	s_mov_b32 s1, exec_lo
	scratch_store_b64 off, v[6:7], s32 offset:536 ; 8-byte Folded Spill
	v_cmpx_ne_u16_e32 0x80, v5
	s_cbranch_execz .LBB287_2313
; %bb.2308:                             ;   in Loop: Header=BB287_2082 Depth=1
	v_mov_b32_e32 v7, 0x7f800001
	v_and_b32_e32 v6, 0x7f, v4
	v_mov_b32_e32 v8, 0
	s_mov_b32 s2, exec_lo
	scratch_store_b64 off, v[7:8], s32 offset:536 ; 8-byte Folded Spill
	v_cmpx_ne_u32_e32 0x7f, v6
	s_cbranch_execz .LBB287_2312
; %bb.2309:                             ;   in Loop: Header=BB287_2082 Depth=1
	v_and_b32_e32 v8, 7, v4
	v_lshrrev_b32_e32 v5, 3, v6
	s_mov_b32 s3, exec_lo
	v_cmpx_gt_u32_e32 8, v6
; %bb.2310:                             ;   in Loop: Header=BB287_2082 Depth=1
	s_delay_alu instid0(VALU_DEP_3) | instskip(NEXT) | instid1(VALU_DEP_1)
	v_clz_i32_u32_e32 v5, v8
	v_min_u32_e32 v5, 32, v5
	s_delay_alu instid0(VALU_DEP_1) | instskip(SKIP_1) | instid1(VALU_DEP_2)
	v_subrev_nc_u32_e32 v6, 28, v5
	v_sub_nc_u32_e32 v5, 29, v5
	v_lshlrev_b64 v[6:7], v6, v[8:9]
	s_delay_alu instid0(VALU_DEP_1)
	v_and_b32_e32 v8, 7, v6
; %bb.2311:                             ;   in Loop: Header=BB287_2082 Depth=1
	s_or_b32 exec_lo, exec_lo, s3
	v_lshlrev_b32_e32 v6, 24, v4
	s_delay_alu instid0(VALU_DEP_2) | instskip(SKIP_1) | instid1(VALU_DEP_3)
	v_lshlrev_b32_e32 v7, 20, v8
	v_lshl_add_u32 v5, v5, 23, 0x3c000000
	v_and_b32_e32 v6, 0x80000000, v6
	s_delay_alu instid0(VALU_DEP_1)
	v_or3_b32 v8, v7, v6, v5
	scratch_store_b64 off, v[8:9], s32 offset:536 ; 8-byte Folded Spill
.LBB287_2312:                           ;   in Loop: Header=BB287_2082 Depth=1
	s_or_b32 exec_lo, exec_lo, s2
.LBB287_2313:                           ;   in Loop: Header=BB287_2082 Depth=1
	s_delay_alu instid0(SALU_CYCLE_1)
	s_or_b32 exec_lo, exec_lo, s1
.LBB287_2314:                           ;   in Loop: Header=BB287_2082 Depth=1
	s_delay_alu instid0(SALU_CYCLE_1) | instskip(SKIP_2) | instid1(VALU_DEP_1)
	s_or_b32 exec_lo, exec_lo, s0
	v_lshrrev_b16 v5, 8, v4
	s_mov_b32 s0, exec_lo
	v_cmpx_ne_u16_e32 0, v5
	s_cbranch_execz .LBB287_2322
; %bb.2315:                             ;   in Loop: Header=BB287_2082 Depth=1
	v_dual_mov_b32 v6, s8 :: v_dual_mov_b32 v7, s9
	s_mov_b32 s1, exec_lo
	scratch_store_b64 off, v[6:7], s32 offset:544 ; 8-byte Folded Spill
	v_cmpx_ne_u16_e32 0x80, v5
	s_cbranch_execz .LBB287_2321
; %bb.2316:                             ;   in Loop: Header=BB287_2082 Depth=1
	s_mov_b32 s12, s8
	v_and_b32_e32 v5, 0xffff, v5
	v_dual_mov_b32 v7, s12 :: v_dual_mov_b32 v8, s13
	s_mov_b32 s2, exec_lo
	s_delay_alu instid0(VALU_DEP_2)
	v_and_b32_e32 v6, 0x7f, v5
	scratch_store_b64 off, v[7:8], s32 offset:544 ; 8-byte Folded Spill
	v_cmpx_ne_u32_e32 0x7f, v6
	s_cbranch_execz .LBB287_2320
; %bb.2317:                             ;   in Loop: Header=BB287_2082 Depth=1
	v_and_b32_e32 v8, 7, v5
	v_lshrrev_b32_e32 v5, 3, v6
	s_mov_b32 s3, exec_lo
	v_cmpx_gt_u32_e32 8, v6
; %bb.2318:                             ;   in Loop: Header=BB287_2082 Depth=1
	s_delay_alu instid0(VALU_DEP_3) | instskip(NEXT) | instid1(VALU_DEP_1)
	v_clz_i32_u32_e32 v5, v8
	v_min_u32_e32 v5, 32, v5
	s_delay_alu instid0(VALU_DEP_1) | instskip(SKIP_1) | instid1(VALU_DEP_2)
	v_subrev_nc_u32_e32 v6, 28, v5
	v_sub_nc_u32_e32 v5, 29, v5
	v_lshlrev_b64 v[6:7], v6, v[8:9]
	s_delay_alu instid0(VALU_DEP_1)
	v_and_b32_e32 v8, 7, v6
; %bb.2319:                             ;   in Loop: Header=BB287_2082 Depth=1
	s_or_b32 exec_lo, exec_lo, s3
	v_lshlrev_b32_e32 v6, 16, v4
	s_delay_alu instid0(VALU_DEP_2) | instskip(SKIP_1) | instid1(VALU_DEP_3)
	v_lshlrev_b32_e32 v7, 20, v8
	v_lshl_add_u32 v5, v5, 23, 0x3c000000
	v_and_b32_e32 v6, 0x80000000, v6
	s_delay_alu instid0(VALU_DEP_1)
	v_or3_b32 v6, v7, v6, v5
	v_mov_b32_e32 v5, v9
	scratch_store_b64 off, v[5:6], s32 offset:544 ; 8-byte Folded Spill
.LBB287_2320:                           ;   in Loop: Header=BB287_2082 Depth=1
	s_or_b32 exec_lo, exec_lo, s2
.LBB287_2321:                           ;   in Loop: Header=BB287_2082 Depth=1
	s_delay_alu instid0(SALU_CYCLE_1)
	s_or_b32 exec_lo, exec_lo, s1
.LBB287_2322:                           ;   in Loop: Header=BB287_2082 Depth=1
	s_delay_alu instid0(SALU_CYCLE_1)
	s_or_b32 exec_lo, exec_lo, s0
	v_lshrrev_b32_e32 v5, 16, v4
	v_mov_b32_e32 v7, 0
	v_mov_b32_e32 v8, 0
	s_mov_b32 s0, exec_lo
	s_clause 0x1
	scratch_store_b64 off, v[7:8], s32 offset:552
	scratch_store_b64 off, v[7:8], s32 offset:560
	v_and_b32_e32 v6, 0xff, v5
	s_delay_alu instid0(VALU_DEP_1)
	v_cmpx_ne_u16_e32 0, v6
	s_cbranch_execz .LBB287_2330
; %bb.2323:                             ;   in Loop: Header=BB287_2082 Depth=1
	v_cmp_ne_u16_e32 vcc_lo, 0x80, v6
	v_bfrev_b32_e32 v6, 1
	v_mov_b32_e32 v7, 0
	scratch_store_b64 off, v[6:7], s32 offset:560 ; 8-byte Folded Spill
	s_and_saveexec_b32 s1, vcc_lo
	s_cbranch_execz .LBB287_2329
; %bb.2324:                             ;   in Loop: Header=BB287_2082 Depth=1
	v_mov_b32_e32 v10, 0x7f800001
	v_bfe_u32 v7, v4, 16, 7
	v_mov_b32_e32 v11, 0
	s_mov_b32 s2, exec_lo
	scratch_store_b64 off, v[10:11], s32 offset:560 ; 8-byte Folded Spill
	v_cmpx_ne_u32_e32 0x7f, v7
	s_cbranch_execz .LBB287_2328
; %bb.2325:                             ;   in Loop: Header=BB287_2082 Depth=1
	v_and_b32_e32 v8, 7, v5
	v_lshrrev_b32_e32 v6, 3, v7
	s_mov_b32 s3, exec_lo
	v_cmpx_gt_u32_e32 8, v7
; %bb.2326:                             ;   in Loop: Header=BB287_2082 Depth=1
	s_delay_alu instid0(VALU_DEP_3) | instskip(NEXT) | instid1(VALU_DEP_1)
	v_clz_i32_u32_e32 v6, v8
	v_min_u32_e32 v6, 32, v6
	s_delay_alu instid0(VALU_DEP_1) | instskip(SKIP_1) | instid1(VALU_DEP_2)
	v_subrev_nc_u32_e32 v7, 28, v6
	v_sub_nc_u32_e32 v6, 29, v6
	v_lshlrev_b64 v[7:8], v7, v[8:9]
	s_delay_alu instid0(VALU_DEP_1)
	v_and_b32_e32 v8, 7, v7
; %bb.2327:                             ;   in Loop: Header=BB287_2082 Depth=1
	s_or_b32 exec_lo, exec_lo, s3
	v_lshlrev_b32_e32 v5, 24, v5
	s_delay_alu instid0(VALU_DEP_2) | instskip(SKIP_1) | instid1(VALU_DEP_3)
	v_lshlrev_b32_e32 v7, 20, v8
	v_lshl_add_u32 v6, v6, 23, 0x3c000000
	v_and_b32_e32 v5, 0x80000000, v5
	s_delay_alu instid0(VALU_DEP_1)
	v_or3_b32 v8, v7, v5, v6
	scratch_store_b64 off, v[8:9], s32 offset:560 ; 8-byte Folded Spill
.LBB287_2328:                           ;   in Loop: Header=BB287_2082 Depth=1
	s_or_b32 exec_lo, exec_lo, s2
.LBB287_2329:                           ;   in Loop: Header=BB287_2082 Depth=1
	s_delay_alu instid0(SALU_CYCLE_1)
	s_or_b32 exec_lo, exec_lo, s1
.LBB287_2330:                           ;   in Loop: Header=BB287_2082 Depth=1
	s_delay_alu instid0(SALU_CYCLE_1) | instskip(NEXT) | instid1(SALU_CYCLE_1)
	s_or_b32 exec_lo, exec_lo, s0
	s_mov_b32 s0, exec_lo
	v_cmpx_lt_u32_e32 0xffffff, v4
	s_cbranch_execz .LBB287_2338
; %bb.2331:                             ;   in Loop: Header=BB287_2082 Depth=1
	v_lshrrev_b32_e32 v5, 24, v4
	v_dual_mov_b32 v6, s8 :: v_dual_mov_b32 v7, s9
	s_mov_b32 s1, exec_lo
	scratch_store_b64 off, v[6:7], s32 offset:552 ; 8-byte Folded Spill
	v_cmpx_ne_u32_e32 0x80, v5
	s_cbranch_execz .LBB287_2337
; %bb.2332:                             ;   in Loop: Header=BB287_2082 Depth=1
	s_mov_b32 s12, s8
	v_bfe_u32 v6, v4, 24, 7
	v_dual_mov_b32 v7, s12 :: v_dual_mov_b32 v8, s13
	s_mov_b32 s2, exec_lo
	scratch_store_b64 off, v[7:8], s32 offset:552 ; 8-byte Folded Spill
	v_cmpx_ne_u32_e32 0x7f, v6
	s_cbranch_execz .LBB287_2336
; %bb.2333:                             ;   in Loop: Header=BB287_2082 Depth=1
	v_and_b32_e32 v8, 7, v5
	v_lshrrev_b32_e32 v4, 3, v6
	s_mov_b32 s3, exec_lo
	v_cmpx_gt_u32_e32 8, v6
; %bb.2334:                             ;   in Loop: Header=BB287_2082 Depth=1
	s_delay_alu instid0(VALU_DEP_3) | instskip(NEXT) | instid1(VALU_DEP_1)
	v_clz_i32_u32_e32 v4, v8
	v_min_u32_e32 v4, 32, v4
	s_delay_alu instid0(VALU_DEP_1) | instskip(SKIP_1) | instid1(VALU_DEP_2)
	v_subrev_nc_u32_e32 v6, 28, v4
	v_sub_nc_u32_e32 v4, 29, v4
	v_lshlrev_b64 v[6:7], v6, v[8:9]
	s_delay_alu instid0(VALU_DEP_1)
	v_and_b32_e32 v8, 7, v6
; %bb.2335:                             ;   in Loop: Header=BB287_2082 Depth=1
	s_or_b32 exec_lo, exec_lo, s3
	v_lshlrev_b32_e32 v5, 24, v5
	s_delay_alu instid0(VALU_DEP_2) | instskip(SKIP_1) | instid1(VALU_DEP_3)
	v_lshlrev_b32_e32 v6, 20, v8
	v_lshl_add_u32 v4, v4, 23, 0x3c000000
	v_and_b32_e32 v5, 0x80000000, v5
	s_delay_alu instid0(VALU_DEP_1)
	v_or3_b32 v5, v6, v5, v4
	v_mov_b32_e32 v4, v9
	scratch_store_b64 off, v[4:5], s32 offset:552 ; 8-byte Folded Spill
.LBB287_2336:                           ;   in Loop: Header=BB287_2082 Depth=1
	s_or_b32 exec_lo, exec_lo, s2
.LBB287_2337:                           ;   in Loop: Header=BB287_2082 Depth=1
	s_delay_alu instid0(SALU_CYCLE_1)
	s_or_b32 exec_lo, exec_lo, s1
.LBB287_2338:                           ;   in Loop: Header=BB287_2082 Depth=1
	s_delay_alu instid0(SALU_CYCLE_1)
	s_or_b32 exec_lo, exec_lo, s0
	flat_load_b32 v4, v[34:35] offset:1024
	v_mov_b32_e32 v6, 0
	v_mov_b32_e32 v7, 0
	s_mov_b32 s0, exec_lo
	s_clause 0x1
	scratch_store_b64 off, v[6:7], s32 offset:568
	scratch_store_b64 off, v[6:7], s32 offset:576
	s_waitcnt vmcnt(0) lgkmcnt(0)
	v_and_b32_e32 v5, 0xff, v4
	s_delay_alu instid0(VALU_DEP_1)
	v_cmpx_ne_u16_e32 0, v5
	s_cbranch_execz .LBB287_2346
; %bb.2339:                             ;   in Loop: Header=BB287_2082 Depth=1
	v_cmp_ne_u16_e32 vcc_lo, 0x80, v5
	v_bfrev_b32_e32 v5, 1
	v_mov_b32_e32 v6, 0
	scratch_store_b64 off, v[5:6], s32 offset:576 ; 8-byte Folded Spill
	s_and_saveexec_b32 s1, vcc_lo
	s_cbranch_execz .LBB287_2345
; %bb.2340:                             ;   in Loop: Header=BB287_2082 Depth=1
	v_mov_b32_e32 v7, 0x7f800001
	v_and_b32_e32 v6, 0x7f, v4
	v_mov_b32_e32 v8, 0
	s_mov_b32 s2, exec_lo
	scratch_store_b64 off, v[7:8], s32 offset:576 ; 8-byte Folded Spill
	v_cmpx_ne_u32_e32 0x7f, v6
	s_cbranch_execz .LBB287_2344
; %bb.2341:                             ;   in Loop: Header=BB287_2082 Depth=1
	v_and_b32_e32 v8, 7, v4
	v_lshrrev_b32_e32 v5, 3, v6
	s_mov_b32 s3, exec_lo
	v_cmpx_gt_u32_e32 8, v6
; %bb.2342:                             ;   in Loop: Header=BB287_2082 Depth=1
	s_delay_alu instid0(VALU_DEP_3) | instskip(NEXT) | instid1(VALU_DEP_1)
	v_clz_i32_u32_e32 v5, v8
	v_min_u32_e32 v5, 32, v5
	s_delay_alu instid0(VALU_DEP_1) | instskip(SKIP_1) | instid1(VALU_DEP_2)
	v_subrev_nc_u32_e32 v6, 28, v5
	v_sub_nc_u32_e32 v5, 29, v5
	v_lshlrev_b64 v[6:7], v6, v[8:9]
	s_delay_alu instid0(VALU_DEP_1)
	v_and_b32_e32 v8, 7, v6
; %bb.2343:                             ;   in Loop: Header=BB287_2082 Depth=1
	s_or_b32 exec_lo, exec_lo, s3
	v_lshlrev_b32_e32 v6, 24, v4
	s_delay_alu instid0(VALU_DEP_2) | instskip(SKIP_1) | instid1(VALU_DEP_3)
	v_lshlrev_b32_e32 v7, 20, v8
	v_lshl_add_u32 v5, v5, 23, 0x3c000000
	v_and_b32_e32 v6, 0x80000000, v6
	s_delay_alu instid0(VALU_DEP_1)
	v_or3_b32 v8, v7, v6, v5
	scratch_store_b64 off, v[8:9], s32 offset:576 ; 8-byte Folded Spill
.LBB287_2344:                           ;   in Loop: Header=BB287_2082 Depth=1
	s_or_b32 exec_lo, exec_lo, s2
.LBB287_2345:                           ;   in Loop: Header=BB287_2082 Depth=1
	s_delay_alu instid0(SALU_CYCLE_1)
	s_or_b32 exec_lo, exec_lo, s1
.LBB287_2346:                           ;   in Loop: Header=BB287_2082 Depth=1
	s_delay_alu instid0(SALU_CYCLE_1) | instskip(SKIP_2) | instid1(VALU_DEP_1)
	s_or_b32 exec_lo, exec_lo, s0
	v_lshrrev_b16 v5, 8, v4
	s_mov_b32 s0, exec_lo
	v_cmpx_ne_u16_e32 0, v5
	s_cbranch_execz .LBB287_2354
; %bb.2347:                             ;   in Loop: Header=BB287_2082 Depth=1
	v_dual_mov_b32 v6, s8 :: v_dual_mov_b32 v7, s9
	s_mov_b32 s1, exec_lo
	scratch_store_b64 off, v[6:7], s32 offset:568 ; 8-byte Folded Spill
	v_cmpx_ne_u16_e32 0x80, v5
	s_cbranch_execz .LBB287_2353
; %bb.2348:                             ;   in Loop: Header=BB287_2082 Depth=1
	s_mov_b32 s12, s8
	v_and_b32_e32 v5, 0xffff, v5
	v_dual_mov_b32 v7, s12 :: v_dual_mov_b32 v8, s13
	s_mov_b32 s2, exec_lo
	s_delay_alu instid0(VALU_DEP_2)
	v_and_b32_e32 v6, 0x7f, v5
	scratch_store_b64 off, v[7:8], s32 offset:568 ; 8-byte Folded Spill
	v_cmpx_ne_u32_e32 0x7f, v6
	s_cbranch_execz .LBB287_2352
; %bb.2349:                             ;   in Loop: Header=BB287_2082 Depth=1
	v_and_b32_e32 v8, 7, v5
	v_lshrrev_b32_e32 v5, 3, v6
	s_mov_b32 s3, exec_lo
	v_cmpx_gt_u32_e32 8, v6
; %bb.2350:                             ;   in Loop: Header=BB287_2082 Depth=1
	s_delay_alu instid0(VALU_DEP_3) | instskip(NEXT) | instid1(VALU_DEP_1)
	v_clz_i32_u32_e32 v5, v8
	v_min_u32_e32 v5, 32, v5
	s_delay_alu instid0(VALU_DEP_1) | instskip(SKIP_1) | instid1(VALU_DEP_2)
	v_subrev_nc_u32_e32 v6, 28, v5
	v_sub_nc_u32_e32 v5, 29, v5
	v_lshlrev_b64 v[6:7], v6, v[8:9]
	s_delay_alu instid0(VALU_DEP_1)
	v_and_b32_e32 v8, 7, v6
; %bb.2351:                             ;   in Loop: Header=BB287_2082 Depth=1
	s_or_b32 exec_lo, exec_lo, s3
	v_lshlrev_b32_e32 v6, 16, v4
	s_delay_alu instid0(VALU_DEP_2) | instskip(SKIP_1) | instid1(VALU_DEP_3)
	v_lshlrev_b32_e32 v7, 20, v8
	v_lshl_add_u32 v5, v5, 23, 0x3c000000
	v_and_b32_e32 v6, 0x80000000, v6
	s_delay_alu instid0(VALU_DEP_1)
	v_or3_b32 v6, v7, v6, v5
	v_mov_b32_e32 v5, v9
	scratch_store_b64 off, v[5:6], s32 offset:568 ; 8-byte Folded Spill
.LBB287_2352:                           ;   in Loop: Header=BB287_2082 Depth=1
	s_or_b32 exec_lo, exec_lo, s2
.LBB287_2353:                           ;   in Loop: Header=BB287_2082 Depth=1
	s_delay_alu instid0(SALU_CYCLE_1)
	s_or_b32 exec_lo, exec_lo, s1
.LBB287_2354:                           ;   in Loop: Header=BB287_2082 Depth=1
	s_delay_alu instid0(SALU_CYCLE_1)
	s_or_b32 exec_lo, exec_lo, s0
	v_lshrrev_b32_e32 v5, 16, v4
	v_mov_b32_e32 v7, 0
	v_mov_b32_e32 v8, 0
	s_mov_b32 s0, exec_lo
	s_clause 0x1
	scratch_store_b64 off, v[7:8], s32 offset:584
	scratch_store_b64 off, v[7:8], s32 offset:592
	v_and_b32_e32 v6, 0xff, v5
	s_delay_alu instid0(VALU_DEP_1)
	v_cmpx_ne_u16_e32 0, v6
	s_cbranch_execz .LBB287_2362
; %bb.2355:                             ;   in Loop: Header=BB287_2082 Depth=1
	v_cmp_ne_u16_e32 vcc_lo, 0x80, v6
	v_bfrev_b32_e32 v6, 1
	v_mov_b32_e32 v7, 0
	scratch_store_b64 off, v[6:7], s32 offset:592 ; 8-byte Folded Spill
	s_and_saveexec_b32 s1, vcc_lo
	s_cbranch_execz .LBB287_2361
; %bb.2356:                             ;   in Loop: Header=BB287_2082 Depth=1
	v_mov_b32_e32 v10, 0x7f800001
	v_bfe_u32 v7, v4, 16, 7
	v_mov_b32_e32 v11, 0
	s_mov_b32 s2, exec_lo
	scratch_store_b64 off, v[10:11], s32 offset:592 ; 8-byte Folded Spill
	v_cmpx_ne_u32_e32 0x7f, v7
	s_cbranch_execz .LBB287_2360
; %bb.2357:                             ;   in Loop: Header=BB287_2082 Depth=1
	v_and_b32_e32 v8, 7, v5
	v_lshrrev_b32_e32 v6, 3, v7
	s_mov_b32 s3, exec_lo
	v_cmpx_gt_u32_e32 8, v7
; %bb.2358:                             ;   in Loop: Header=BB287_2082 Depth=1
	s_delay_alu instid0(VALU_DEP_3) | instskip(NEXT) | instid1(VALU_DEP_1)
	v_clz_i32_u32_e32 v6, v8
	v_min_u32_e32 v6, 32, v6
	s_delay_alu instid0(VALU_DEP_1) | instskip(SKIP_1) | instid1(VALU_DEP_2)
	v_subrev_nc_u32_e32 v7, 28, v6
	v_sub_nc_u32_e32 v6, 29, v6
	v_lshlrev_b64 v[7:8], v7, v[8:9]
	s_delay_alu instid0(VALU_DEP_1)
	v_and_b32_e32 v8, 7, v7
; %bb.2359:                             ;   in Loop: Header=BB287_2082 Depth=1
	s_or_b32 exec_lo, exec_lo, s3
	v_lshlrev_b32_e32 v5, 24, v5
	s_delay_alu instid0(VALU_DEP_2) | instskip(SKIP_1) | instid1(VALU_DEP_3)
	v_lshlrev_b32_e32 v7, 20, v8
	v_lshl_add_u32 v6, v6, 23, 0x3c000000
	v_and_b32_e32 v5, 0x80000000, v5
	s_delay_alu instid0(VALU_DEP_1)
	v_or3_b32 v8, v7, v5, v6
	scratch_store_b64 off, v[8:9], s32 offset:592 ; 8-byte Folded Spill
.LBB287_2360:                           ;   in Loop: Header=BB287_2082 Depth=1
	s_or_b32 exec_lo, exec_lo, s2
.LBB287_2361:                           ;   in Loop: Header=BB287_2082 Depth=1
	s_delay_alu instid0(SALU_CYCLE_1)
	s_or_b32 exec_lo, exec_lo, s1
.LBB287_2362:                           ;   in Loop: Header=BB287_2082 Depth=1
	s_delay_alu instid0(SALU_CYCLE_1) | instskip(NEXT) | instid1(SALU_CYCLE_1)
	s_or_b32 exec_lo, exec_lo, s0
	s_mov_b32 s0, exec_lo
	v_cmpx_lt_u32_e32 0xffffff, v4
	s_cbranch_execz .LBB287_2370
; %bb.2363:                             ;   in Loop: Header=BB287_2082 Depth=1
	v_lshrrev_b32_e32 v5, 24, v4
	v_dual_mov_b32 v6, s8 :: v_dual_mov_b32 v7, s9
	s_mov_b32 s1, exec_lo
	scratch_store_b64 off, v[6:7], s32 offset:584 ; 8-byte Folded Spill
	v_cmpx_ne_u32_e32 0x80, v5
	s_cbranch_execz .LBB287_2369
; %bb.2364:                             ;   in Loop: Header=BB287_2082 Depth=1
	s_mov_b32 s12, s8
	v_bfe_u32 v6, v4, 24, 7
	v_dual_mov_b32 v7, s12 :: v_dual_mov_b32 v8, s13
	s_mov_b32 s2, exec_lo
	scratch_store_b64 off, v[7:8], s32 offset:584 ; 8-byte Folded Spill
	v_cmpx_ne_u32_e32 0x7f, v6
	s_cbranch_execz .LBB287_2368
; %bb.2365:                             ;   in Loop: Header=BB287_2082 Depth=1
	v_and_b32_e32 v8, 7, v5
	v_lshrrev_b32_e32 v4, 3, v6
	s_mov_b32 s3, exec_lo
	v_cmpx_gt_u32_e32 8, v6
; %bb.2366:                             ;   in Loop: Header=BB287_2082 Depth=1
	s_delay_alu instid0(VALU_DEP_3) | instskip(NEXT) | instid1(VALU_DEP_1)
	v_clz_i32_u32_e32 v4, v8
	v_min_u32_e32 v4, 32, v4
	s_delay_alu instid0(VALU_DEP_1) | instskip(SKIP_1) | instid1(VALU_DEP_2)
	v_subrev_nc_u32_e32 v6, 28, v4
	v_sub_nc_u32_e32 v4, 29, v4
	v_lshlrev_b64 v[6:7], v6, v[8:9]
	s_delay_alu instid0(VALU_DEP_1)
	v_and_b32_e32 v8, 7, v6
; %bb.2367:                             ;   in Loop: Header=BB287_2082 Depth=1
	s_or_b32 exec_lo, exec_lo, s3
	v_lshlrev_b32_e32 v5, 24, v5
	s_delay_alu instid0(VALU_DEP_2) | instskip(SKIP_1) | instid1(VALU_DEP_3)
	v_lshlrev_b32_e32 v6, 20, v8
	v_lshl_add_u32 v4, v4, 23, 0x3c000000
	v_and_b32_e32 v5, 0x80000000, v5
	s_delay_alu instid0(VALU_DEP_1)
	v_or3_b32 v5, v6, v5, v4
	v_mov_b32_e32 v4, v9
	scratch_store_b64 off, v[4:5], s32 offset:584 ; 8-byte Folded Spill
.LBB287_2368:                           ;   in Loop: Header=BB287_2082 Depth=1
	s_or_b32 exec_lo, exec_lo, s2
.LBB287_2369:                           ;   in Loop: Header=BB287_2082 Depth=1
	s_delay_alu instid0(SALU_CYCLE_1)
	s_or_b32 exec_lo, exec_lo, s1
.LBB287_2370:                           ;   in Loop: Header=BB287_2082 Depth=1
	s_delay_alu instid0(SALU_CYCLE_1)
	s_or_b32 exec_lo, exec_lo, s0
	flat_load_b32 v4, v[34:35] offset:1152
	v_mov_b32_e32 v6, 0
	v_mov_b32_e32 v7, 0
	s_mov_b32 s0, exec_lo
	s_clause 0x1
	scratch_store_b64 off, v[6:7], s32 offset:600
	scratch_store_b64 off, v[6:7], s32 offset:608
	s_waitcnt vmcnt(0) lgkmcnt(0)
	v_and_b32_e32 v5, 0xff, v4
	s_delay_alu instid0(VALU_DEP_1)
	v_cmpx_ne_u16_e32 0, v5
	s_cbranch_execz .LBB287_2378
; %bb.2371:                             ;   in Loop: Header=BB287_2082 Depth=1
	v_cmp_ne_u16_e32 vcc_lo, 0x80, v5
	v_bfrev_b32_e32 v5, 1
	v_mov_b32_e32 v6, 0
	scratch_store_b64 off, v[5:6], s32 offset:608 ; 8-byte Folded Spill
	s_and_saveexec_b32 s1, vcc_lo
	s_cbranch_execz .LBB287_2377
; %bb.2372:                             ;   in Loop: Header=BB287_2082 Depth=1
	v_mov_b32_e32 v7, 0x7f800001
	v_and_b32_e32 v6, 0x7f, v4
	v_mov_b32_e32 v8, 0
	s_mov_b32 s2, exec_lo
	scratch_store_b64 off, v[7:8], s32 offset:608 ; 8-byte Folded Spill
	v_cmpx_ne_u32_e32 0x7f, v6
	s_cbranch_execz .LBB287_2376
; %bb.2373:                             ;   in Loop: Header=BB287_2082 Depth=1
	v_and_b32_e32 v8, 7, v4
	v_lshrrev_b32_e32 v5, 3, v6
	s_mov_b32 s3, exec_lo
	v_cmpx_gt_u32_e32 8, v6
; %bb.2374:                             ;   in Loop: Header=BB287_2082 Depth=1
	s_delay_alu instid0(VALU_DEP_3) | instskip(NEXT) | instid1(VALU_DEP_1)
	v_clz_i32_u32_e32 v5, v8
	v_min_u32_e32 v5, 32, v5
	s_delay_alu instid0(VALU_DEP_1) | instskip(SKIP_1) | instid1(VALU_DEP_2)
	v_subrev_nc_u32_e32 v6, 28, v5
	v_sub_nc_u32_e32 v5, 29, v5
	v_lshlrev_b64 v[6:7], v6, v[8:9]
	s_delay_alu instid0(VALU_DEP_1)
	v_and_b32_e32 v8, 7, v6
; %bb.2375:                             ;   in Loop: Header=BB287_2082 Depth=1
	s_or_b32 exec_lo, exec_lo, s3
	v_lshlrev_b32_e32 v6, 24, v4
	s_delay_alu instid0(VALU_DEP_2) | instskip(SKIP_1) | instid1(VALU_DEP_3)
	v_lshlrev_b32_e32 v7, 20, v8
	v_lshl_add_u32 v5, v5, 23, 0x3c000000
	v_and_b32_e32 v6, 0x80000000, v6
	s_delay_alu instid0(VALU_DEP_1)
	v_or3_b32 v8, v7, v6, v5
	scratch_store_b64 off, v[8:9], s32 offset:608 ; 8-byte Folded Spill
.LBB287_2376:                           ;   in Loop: Header=BB287_2082 Depth=1
	s_or_b32 exec_lo, exec_lo, s2
.LBB287_2377:                           ;   in Loop: Header=BB287_2082 Depth=1
	s_delay_alu instid0(SALU_CYCLE_1)
	s_or_b32 exec_lo, exec_lo, s1
.LBB287_2378:                           ;   in Loop: Header=BB287_2082 Depth=1
	s_delay_alu instid0(SALU_CYCLE_1) | instskip(SKIP_2) | instid1(VALU_DEP_1)
	s_or_b32 exec_lo, exec_lo, s0
	v_lshrrev_b16 v5, 8, v4
	s_mov_b32 s0, exec_lo
	v_cmpx_ne_u16_e32 0, v5
	s_cbranch_execz .LBB287_2386
; %bb.2379:                             ;   in Loop: Header=BB287_2082 Depth=1
	v_dual_mov_b32 v6, s8 :: v_dual_mov_b32 v7, s9
	s_mov_b32 s1, exec_lo
	scratch_store_b64 off, v[6:7], s32 offset:600 ; 8-byte Folded Spill
	v_cmpx_ne_u16_e32 0x80, v5
	s_cbranch_execz .LBB287_2385
; %bb.2380:                             ;   in Loop: Header=BB287_2082 Depth=1
	s_mov_b32 s12, s8
	v_and_b32_e32 v5, 0xffff, v5
	v_dual_mov_b32 v7, s12 :: v_dual_mov_b32 v8, s13
	s_mov_b32 s2, exec_lo
	s_delay_alu instid0(VALU_DEP_2)
	v_and_b32_e32 v6, 0x7f, v5
	scratch_store_b64 off, v[7:8], s32 offset:600 ; 8-byte Folded Spill
	v_cmpx_ne_u32_e32 0x7f, v6
	s_cbranch_execz .LBB287_2384
; %bb.2381:                             ;   in Loop: Header=BB287_2082 Depth=1
	v_and_b32_e32 v8, 7, v5
	v_lshrrev_b32_e32 v5, 3, v6
	s_mov_b32 s3, exec_lo
	v_cmpx_gt_u32_e32 8, v6
; %bb.2382:                             ;   in Loop: Header=BB287_2082 Depth=1
	s_delay_alu instid0(VALU_DEP_3) | instskip(NEXT) | instid1(VALU_DEP_1)
	v_clz_i32_u32_e32 v5, v8
	v_min_u32_e32 v5, 32, v5
	s_delay_alu instid0(VALU_DEP_1) | instskip(SKIP_1) | instid1(VALU_DEP_2)
	v_subrev_nc_u32_e32 v6, 28, v5
	v_sub_nc_u32_e32 v5, 29, v5
	v_lshlrev_b64 v[6:7], v6, v[8:9]
	s_delay_alu instid0(VALU_DEP_1)
	v_and_b32_e32 v8, 7, v6
; %bb.2383:                             ;   in Loop: Header=BB287_2082 Depth=1
	s_or_b32 exec_lo, exec_lo, s3
	v_lshlrev_b32_e32 v6, 16, v4
	s_delay_alu instid0(VALU_DEP_2) | instskip(SKIP_1) | instid1(VALU_DEP_3)
	v_lshlrev_b32_e32 v7, 20, v8
	v_lshl_add_u32 v5, v5, 23, 0x3c000000
	v_and_b32_e32 v6, 0x80000000, v6
	s_delay_alu instid0(VALU_DEP_1)
	v_or3_b32 v6, v7, v6, v5
	v_mov_b32_e32 v5, v9
	scratch_store_b64 off, v[5:6], s32 offset:600 ; 8-byte Folded Spill
.LBB287_2384:                           ;   in Loop: Header=BB287_2082 Depth=1
	s_or_b32 exec_lo, exec_lo, s2
.LBB287_2385:                           ;   in Loop: Header=BB287_2082 Depth=1
	s_delay_alu instid0(SALU_CYCLE_1)
	s_or_b32 exec_lo, exec_lo, s1
.LBB287_2386:                           ;   in Loop: Header=BB287_2082 Depth=1
	s_delay_alu instid0(SALU_CYCLE_1)
	s_or_b32 exec_lo, exec_lo, s0
	v_lshrrev_b32_e32 v5, 16, v4
	v_mov_b32_e32 v7, 0
	v_mov_b32_e32 v8, 0
	s_mov_b32 s0, exec_lo
	s_clause 0x1
	scratch_store_b64 off, v[7:8], s32 offset:616
	scratch_store_b64 off, v[7:8], s32 offset:624
	v_and_b32_e32 v6, 0xff, v5
	s_delay_alu instid0(VALU_DEP_1)
	v_cmpx_ne_u16_e32 0, v6
	s_cbranch_execz .LBB287_2394
; %bb.2387:                             ;   in Loop: Header=BB287_2082 Depth=1
	v_cmp_ne_u16_e32 vcc_lo, 0x80, v6
	v_bfrev_b32_e32 v6, 1
	v_mov_b32_e32 v7, 0
	scratch_store_b64 off, v[6:7], s32 offset:624 ; 8-byte Folded Spill
	s_and_saveexec_b32 s1, vcc_lo
	s_cbranch_execz .LBB287_2393
; %bb.2388:                             ;   in Loop: Header=BB287_2082 Depth=1
	v_mov_b32_e32 v10, 0x7f800001
	v_bfe_u32 v7, v4, 16, 7
	v_mov_b32_e32 v11, 0
	s_mov_b32 s2, exec_lo
	scratch_store_b64 off, v[10:11], s32 offset:624 ; 8-byte Folded Spill
	v_cmpx_ne_u32_e32 0x7f, v7
	s_cbranch_execz .LBB287_2392
; %bb.2389:                             ;   in Loop: Header=BB287_2082 Depth=1
	v_and_b32_e32 v8, 7, v5
	v_lshrrev_b32_e32 v6, 3, v7
	s_mov_b32 s3, exec_lo
	v_cmpx_gt_u32_e32 8, v7
; %bb.2390:                             ;   in Loop: Header=BB287_2082 Depth=1
	s_delay_alu instid0(VALU_DEP_3) | instskip(NEXT) | instid1(VALU_DEP_1)
	v_clz_i32_u32_e32 v6, v8
	v_min_u32_e32 v6, 32, v6
	s_delay_alu instid0(VALU_DEP_1) | instskip(SKIP_1) | instid1(VALU_DEP_2)
	v_subrev_nc_u32_e32 v7, 28, v6
	v_sub_nc_u32_e32 v6, 29, v6
	v_lshlrev_b64 v[7:8], v7, v[8:9]
	s_delay_alu instid0(VALU_DEP_1)
	v_and_b32_e32 v8, 7, v7
; %bb.2391:                             ;   in Loop: Header=BB287_2082 Depth=1
	s_or_b32 exec_lo, exec_lo, s3
	v_lshlrev_b32_e32 v5, 24, v5
	s_delay_alu instid0(VALU_DEP_2) | instskip(SKIP_1) | instid1(VALU_DEP_3)
	v_lshlrev_b32_e32 v7, 20, v8
	v_lshl_add_u32 v6, v6, 23, 0x3c000000
	v_and_b32_e32 v5, 0x80000000, v5
	s_delay_alu instid0(VALU_DEP_1)
	v_or3_b32 v8, v7, v5, v6
	scratch_store_b64 off, v[8:9], s32 offset:624 ; 8-byte Folded Spill
.LBB287_2392:                           ;   in Loop: Header=BB287_2082 Depth=1
	s_or_b32 exec_lo, exec_lo, s2
.LBB287_2393:                           ;   in Loop: Header=BB287_2082 Depth=1
	s_delay_alu instid0(SALU_CYCLE_1)
	s_or_b32 exec_lo, exec_lo, s1
.LBB287_2394:                           ;   in Loop: Header=BB287_2082 Depth=1
	s_delay_alu instid0(SALU_CYCLE_1) | instskip(NEXT) | instid1(SALU_CYCLE_1)
	s_or_b32 exec_lo, exec_lo, s0
	s_mov_b32 s0, exec_lo
	v_cmpx_lt_u32_e32 0xffffff, v4
	s_cbranch_execz .LBB287_2402
; %bb.2395:                             ;   in Loop: Header=BB287_2082 Depth=1
	v_lshrrev_b32_e32 v5, 24, v4
	v_dual_mov_b32 v6, s8 :: v_dual_mov_b32 v7, s9
	s_mov_b32 s1, exec_lo
	scratch_store_b64 off, v[6:7], s32 offset:616 ; 8-byte Folded Spill
	v_cmpx_ne_u32_e32 0x80, v5
	s_cbranch_execz .LBB287_2401
; %bb.2396:                             ;   in Loop: Header=BB287_2082 Depth=1
	s_mov_b32 s12, s8
	v_bfe_u32 v6, v4, 24, 7
	v_dual_mov_b32 v7, s12 :: v_dual_mov_b32 v8, s13
	s_mov_b32 s2, exec_lo
	scratch_store_b64 off, v[7:8], s32 offset:616 ; 8-byte Folded Spill
	v_cmpx_ne_u32_e32 0x7f, v6
	s_cbranch_execz .LBB287_2400
; %bb.2397:                             ;   in Loop: Header=BB287_2082 Depth=1
	v_and_b32_e32 v8, 7, v5
	v_lshrrev_b32_e32 v4, 3, v6
	s_mov_b32 s3, exec_lo
	v_cmpx_gt_u32_e32 8, v6
; %bb.2398:                             ;   in Loop: Header=BB287_2082 Depth=1
	s_delay_alu instid0(VALU_DEP_3) | instskip(NEXT) | instid1(VALU_DEP_1)
	v_clz_i32_u32_e32 v4, v8
	v_min_u32_e32 v4, 32, v4
	s_delay_alu instid0(VALU_DEP_1) | instskip(SKIP_1) | instid1(VALU_DEP_2)
	v_subrev_nc_u32_e32 v6, 28, v4
	v_sub_nc_u32_e32 v4, 29, v4
	v_lshlrev_b64 v[6:7], v6, v[8:9]
	s_delay_alu instid0(VALU_DEP_1)
	v_and_b32_e32 v8, 7, v6
; %bb.2399:                             ;   in Loop: Header=BB287_2082 Depth=1
	s_or_b32 exec_lo, exec_lo, s3
	v_lshlrev_b32_e32 v5, 24, v5
	s_delay_alu instid0(VALU_DEP_2) | instskip(SKIP_1) | instid1(VALU_DEP_3)
	v_lshlrev_b32_e32 v6, 20, v8
	v_lshl_add_u32 v4, v4, 23, 0x3c000000
	v_and_b32_e32 v5, 0x80000000, v5
	s_delay_alu instid0(VALU_DEP_1)
	v_or3_b32 v5, v6, v5, v4
	v_mov_b32_e32 v4, v9
	scratch_store_b64 off, v[4:5], s32 offset:616 ; 8-byte Folded Spill
.LBB287_2400:                           ;   in Loop: Header=BB287_2082 Depth=1
	s_or_b32 exec_lo, exec_lo, s2
.LBB287_2401:                           ;   in Loop: Header=BB287_2082 Depth=1
	s_delay_alu instid0(SALU_CYCLE_1)
	s_or_b32 exec_lo, exec_lo, s1
.LBB287_2402:                           ;   in Loop: Header=BB287_2082 Depth=1
	s_delay_alu instid0(SALU_CYCLE_1)
	s_or_b32 exec_lo, exec_lo, s0
	flat_load_b32 v4, v[34:35] offset:1280
	v_mov_b32_e32 v6, 0
	v_mov_b32_e32 v7, 0
	s_mov_b32 s0, exec_lo
	s_clause 0x1
	scratch_store_b64 off, v[6:7], s32 offset:632
	scratch_store_b64 off, v[6:7], s32 offset:640
	s_waitcnt vmcnt(0) lgkmcnt(0)
	v_and_b32_e32 v5, 0xff, v4
	s_delay_alu instid0(VALU_DEP_1)
	v_cmpx_ne_u16_e32 0, v5
	s_cbranch_execz .LBB287_2410
; %bb.2403:                             ;   in Loop: Header=BB287_2082 Depth=1
	v_cmp_ne_u16_e32 vcc_lo, 0x80, v5
	v_bfrev_b32_e32 v5, 1
	v_mov_b32_e32 v6, 0
	scratch_store_b64 off, v[5:6], s32 offset:640 ; 8-byte Folded Spill
	s_and_saveexec_b32 s1, vcc_lo
	s_cbranch_execz .LBB287_2409
; %bb.2404:                             ;   in Loop: Header=BB287_2082 Depth=1
	v_mov_b32_e32 v7, 0x7f800001
	v_and_b32_e32 v6, 0x7f, v4
	v_mov_b32_e32 v8, 0
	s_mov_b32 s2, exec_lo
	scratch_store_b64 off, v[7:8], s32 offset:640 ; 8-byte Folded Spill
	v_cmpx_ne_u32_e32 0x7f, v6
	s_cbranch_execz .LBB287_2408
; %bb.2405:                             ;   in Loop: Header=BB287_2082 Depth=1
	v_and_b32_e32 v8, 7, v4
	v_lshrrev_b32_e32 v5, 3, v6
	s_mov_b32 s3, exec_lo
	v_cmpx_gt_u32_e32 8, v6
; %bb.2406:                             ;   in Loop: Header=BB287_2082 Depth=1
	s_delay_alu instid0(VALU_DEP_3) | instskip(NEXT) | instid1(VALU_DEP_1)
	v_clz_i32_u32_e32 v5, v8
	v_min_u32_e32 v5, 32, v5
	s_delay_alu instid0(VALU_DEP_1) | instskip(SKIP_1) | instid1(VALU_DEP_2)
	v_subrev_nc_u32_e32 v6, 28, v5
	v_sub_nc_u32_e32 v5, 29, v5
	v_lshlrev_b64 v[6:7], v6, v[8:9]
	s_delay_alu instid0(VALU_DEP_1)
	v_and_b32_e32 v8, 7, v6
; %bb.2407:                             ;   in Loop: Header=BB287_2082 Depth=1
	s_or_b32 exec_lo, exec_lo, s3
	v_lshlrev_b32_e32 v6, 24, v4
	s_delay_alu instid0(VALU_DEP_2) | instskip(SKIP_1) | instid1(VALU_DEP_3)
	v_lshlrev_b32_e32 v7, 20, v8
	v_lshl_add_u32 v5, v5, 23, 0x3c000000
	v_and_b32_e32 v6, 0x80000000, v6
	s_delay_alu instid0(VALU_DEP_1)
	v_or3_b32 v8, v7, v6, v5
	scratch_store_b64 off, v[8:9], s32 offset:640 ; 8-byte Folded Spill
.LBB287_2408:                           ;   in Loop: Header=BB287_2082 Depth=1
	s_or_b32 exec_lo, exec_lo, s2
.LBB287_2409:                           ;   in Loop: Header=BB287_2082 Depth=1
	s_delay_alu instid0(SALU_CYCLE_1)
	s_or_b32 exec_lo, exec_lo, s1
.LBB287_2410:                           ;   in Loop: Header=BB287_2082 Depth=1
	s_delay_alu instid0(SALU_CYCLE_1) | instskip(SKIP_2) | instid1(VALU_DEP_1)
	s_or_b32 exec_lo, exec_lo, s0
	v_lshrrev_b16 v5, 8, v4
	s_mov_b32 s0, exec_lo
	v_cmpx_ne_u16_e32 0, v5
	s_cbranch_execz .LBB287_2418
; %bb.2411:                             ;   in Loop: Header=BB287_2082 Depth=1
	v_dual_mov_b32 v6, s8 :: v_dual_mov_b32 v7, s9
	s_mov_b32 s1, exec_lo
	scratch_store_b64 off, v[6:7], s32 offset:632 ; 8-byte Folded Spill
	v_cmpx_ne_u16_e32 0x80, v5
	s_cbranch_execz .LBB287_2417
; %bb.2412:                             ;   in Loop: Header=BB287_2082 Depth=1
	s_mov_b32 s12, s8
	v_and_b32_e32 v5, 0xffff, v5
	v_dual_mov_b32 v7, s12 :: v_dual_mov_b32 v8, s13
	s_mov_b32 s2, exec_lo
	s_delay_alu instid0(VALU_DEP_2)
	v_and_b32_e32 v6, 0x7f, v5
	scratch_store_b64 off, v[7:8], s32 offset:632 ; 8-byte Folded Spill
	v_cmpx_ne_u32_e32 0x7f, v6
	s_cbranch_execz .LBB287_2416
; %bb.2413:                             ;   in Loop: Header=BB287_2082 Depth=1
	v_and_b32_e32 v8, 7, v5
	v_lshrrev_b32_e32 v5, 3, v6
	s_mov_b32 s3, exec_lo
	v_cmpx_gt_u32_e32 8, v6
; %bb.2414:                             ;   in Loop: Header=BB287_2082 Depth=1
	s_delay_alu instid0(VALU_DEP_3) | instskip(NEXT) | instid1(VALU_DEP_1)
	v_clz_i32_u32_e32 v5, v8
	v_min_u32_e32 v5, 32, v5
	s_delay_alu instid0(VALU_DEP_1) | instskip(SKIP_1) | instid1(VALU_DEP_2)
	v_subrev_nc_u32_e32 v6, 28, v5
	v_sub_nc_u32_e32 v5, 29, v5
	v_lshlrev_b64 v[6:7], v6, v[8:9]
	s_delay_alu instid0(VALU_DEP_1)
	v_and_b32_e32 v8, 7, v6
; %bb.2415:                             ;   in Loop: Header=BB287_2082 Depth=1
	s_or_b32 exec_lo, exec_lo, s3
	v_lshlrev_b32_e32 v6, 16, v4
	s_delay_alu instid0(VALU_DEP_2) | instskip(SKIP_1) | instid1(VALU_DEP_3)
	v_lshlrev_b32_e32 v7, 20, v8
	v_lshl_add_u32 v5, v5, 23, 0x3c000000
	v_and_b32_e32 v6, 0x80000000, v6
	s_delay_alu instid0(VALU_DEP_1)
	v_or3_b32 v6, v7, v6, v5
	v_mov_b32_e32 v5, v9
	scratch_store_b64 off, v[5:6], s32 offset:632 ; 8-byte Folded Spill
.LBB287_2416:                           ;   in Loop: Header=BB287_2082 Depth=1
	s_or_b32 exec_lo, exec_lo, s2
.LBB287_2417:                           ;   in Loop: Header=BB287_2082 Depth=1
	s_delay_alu instid0(SALU_CYCLE_1)
	s_or_b32 exec_lo, exec_lo, s1
.LBB287_2418:                           ;   in Loop: Header=BB287_2082 Depth=1
	s_delay_alu instid0(SALU_CYCLE_1)
	s_or_b32 exec_lo, exec_lo, s0
	v_lshrrev_b32_e32 v5, 16, v4
	v_mov_b32_e32 v7, 0
	v_mov_b32_e32 v8, 0
	s_mov_b32 s0, exec_lo
	s_clause 0x1
	scratch_store_b64 off, v[7:8], s32 offset:648
	scratch_store_b64 off, v[7:8], s32 offset:656
	v_and_b32_e32 v6, 0xff, v5
	s_delay_alu instid0(VALU_DEP_1)
	v_cmpx_ne_u16_e32 0, v6
	s_cbranch_execz .LBB287_2426
; %bb.2419:                             ;   in Loop: Header=BB287_2082 Depth=1
	v_cmp_ne_u16_e32 vcc_lo, 0x80, v6
	v_bfrev_b32_e32 v6, 1
	v_mov_b32_e32 v7, 0
	scratch_store_b64 off, v[6:7], s32 offset:656 ; 8-byte Folded Spill
	s_and_saveexec_b32 s1, vcc_lo
	s_cbranch_execz .LBB287_2425
; %bb.2420:                             ;   in Loop: Header=BB287_2082 Depth=1
	v_mov_b32_e32 v10, 0x7f800001
	v_bfe_u32 v7, v4, 16, 7
	v_mov_b32_e32 v11, 0
	s_mov_b32 s2, exec_lo
	scratch_store_b64 off, v[10:11], s32 offset:656 ; 8-byte Folded Spill
	v_cmpx_ne_u32_e32 0x7f, v7
	s_cbranch_execz .LBB287_2424
; %bb.2421:                             ;   in Loop: Header=BB287_2082 Depth=1
	v_and_b32_e32 v8, 7, v5
	v_lshrrev_b32_e32 v6, 3, v7
	s_mov_b32 s3, exec_lo
	v_cmpx_gt_u32_e32 8, v7
; %bb.2422:                             ;   in Loop: Header=BB287_2082 Depth=1
	s_delay_alu instid0(VALU_DEP_3) | instskip(NEXT) | instid1(VALU_DEP_1)
	v_clz_i32_u32_e32 v6, v8
	v_min_u32_e32 v6, 32, v6
	s_delay_alu instid0(VALU_DEP_1) | instskip(SKIP_1) | instid1(VALU_DEP_2)
	v_subrev_nc_u32_e32 v7, 28, v6
	v_sub_nc_u32_e32 v6, 29, v6
	v_lshlrev_b64 v[7:8], v7, v[8:9]
	s_delay_alu instid0(VALU_DEP_1)
	v_and_b32_e32 v8, 7, v7
; %bb.2423:                             ;   in Loop: Header=BB287_2082 Depth=1
	s_or_b32 exec_lo, exec_lo, s3
	v_lshlrev_b32_e32 v5, 24, v5
	s_delay_alu instid0(VALU_DEP_2) | instskip(SKIP_1) | instid1(VALU_DEP_3)
	v_lshlrev_b32_e32 v7, 20, v8
	v_lshl_add_u32 v6, v6, 23, 0x3c000000
	v_and_b32_e32 v5, 0x80000000, v5
	s_delay_alu instid0(VALU_DEP_1)
	v_or3_b32 v8, v7, v5, v6
	scratch_store_b64 off, v[8:9], s32 offset:656 ; 8-byte Folded Spill
.LBB287_2424:                           ;   in Loop: Header=BB287_2082 Depth=1
	s_or_b32 exec_lo, exec_lo, s2
.LBB287_2425:                           ;   in Loop: Header=BB287_2082 Depth=1
	s_delay_alu instid0(SALU_CYCLE_1)
	s_or_b32 exec_lo, exec_lo, s1
.LBB287_2426:                           ;   in Loop: Header=BB287_2082 Depth=1
	s_delay_alu instid0(SALU_CYCLE_1) | instskip(NEXT) | instid1(SALU_CYCLE_1)
	s_or_b32 exec_lo, exec_lo, s0
	s_mov_b32 s0, exec_lo
	v_cmpx_lt_u32_e32 0xffffff, v4
	s_cbranch_execz .LBB287_2434
; %bb.2427:                             ;   in Loop: Header=BB287_2082 Depth=1
	v_lshrrev_b32_e32 v5, 24, v4
	v_dual_mov_b32 v6, s8 :: v_dual_mov_b32 v7, s9
	s_mov_b32 s1, exec_lo
	scratch_store_b64 off, v[6:7], s32 offset:648 ; 8-byte Folded Spill
	v_cmpx_ne_u32_e32 0x80, v5
	s_cbranch_execz .LBB287_2433
; %bb.2428:                             ;   in Loop: Header=BB287_2082 Depth=1
	s_mov_b32 s12, s8
	v_bfe_u32 v6, v4, 24, 7
	v_dual_mov_b32 v7, s12 :: v_dual_mov_b32 v8, s13
	s_mov_b32 s2, exec_lo
	scratch_store_b64 off, v[7:8], s32 offset:648 ; 8-byte Folded Spill
	v_cmpx_ne_u32_e32 0x7f, v6
	s_cbranch_execz .LBB287_2432
; %bb.2429:                             ;   in Loop: Header=BB287_2082 Depth=1
	v_and_b32_e32 v8, 7, v5
	v_lshrrev_b32_e32 v4, 3, v6
	s_mov_b32 s3, exec_lo
	v_cmpx_gt_u32_e32 8, v6
; %bb.2430:                             ;   in Loop: Header=BB287_2082 Depth=1
	s_delay_alu instid0(VALU_DEP_3) | instskip(NEXT) | instid1(VALU_DEP_1)
	v_clz_i32_u32_e32 v4, v8
	v_min_u32_e32 v4, 32, v4
	s_delay_alu instid0(VALU_DEP_1) | instskip(SKIP_1) | instid1(VALU_DEP_2)
	v_subrev_nc_u32_e32 v6, 28, v4
	v_sub_nc_u32_e32 v4, 29, v4
	v_lshlrev_b64 v[6:7], v6, v[8:9]
	s_delay_alu instid0(VALU_DEP_1)
	v_and_b32_e32 v8, 7, v6
; %bb.2431:                             ;   in Loop: Header=BB287_2082 Depth=1
	s_or_b32 exec_lo, exec_lo, s3
	v_lshlrev_b32_e32 v5, 24, v5
	s_delay_alu instid0(VALU_DEP_2) | instskip(SKIP_1) | instid1(VALU_DEP_3)
	v_lshlrev_b32_e32 v6, 20, v8
	v_lshl_add_u32 v4, v4, 23, 0x3c000000
	v_and_b32_e32 v5, 0x80000000, v5
	s_delay_alu instid0(VALU_DEP_1)
	v_or3_b32 v5, v6, v5, v4
	v_mov_b32_e32 v4, v9
	scratch_store_b64 off, v[4:5], s32 offset:648 ; 8-byte Folded Spill
.LBB287_2432:                           ;   in Loop: Header=BB287_2082 Depth=1
	s_or_b32 exec_lo, exec_lo, s2
.LBB287_2433:                           ;   in Loop: Header=BB287_2082 Depth=1
	s_delay_alu instid0(SALU_CYCLE_1)
	s_or_b32 exec_lo, exec_lo, s1
.LBB287_2434:                           ;   in Loop: Header=BB287_2082 Depth=1
	s_delay_alu instid0(SALU_CYCLE_1)
	s_or_b32 exec_lo, exec_lo, s0
	flat_load_b32 v4, v[34:35] offset:1408
	v_mov_b32_e32 v6, 0
	v_mov_b32_e32 v7, 0
	s_mov_b32 s0, exec_lo
	s_clause 0x1
	scratch_store_b64 off, v[6:7], s32 offset:664
	scratch_store_b64 off, v[6:7], s32 offset:672
	s_waitcnt vmcnt(0) lgkmcnt(0)
	v_and_b32_e32 v5, 0xff, v4
	s_delay_alu instid0(VALU_DEP_1)
	v_cmpx_ne_u16_e32 0, v5
	s_cbranch_execz .LBB287_2442
; %bb.2435:                             ;   in Loop: Header=BB287_2082 Depth=1
	v_cmp_ne_u16_e32 vcc_lo, 0x80, v5
	v_bfrev_b32_e32 v5, 1
	v_mov_b32_e32 v6, 0
	scratch_store_b64 off, v[5:6], s32 offset:672 ; 8-byte Folded Spill
	s_and_saveexec_b32 s1, vcc_lo
	s_cbranch_execz .LBB287_2441
; %bb.2436:                             ;   in Loop: Header=BB287_2082 Depth=1
	v_mov_b32_e32 v7, 0x7f800001
	v_and_b32_e32 v6, 0x7f, v4
	v_mov_b32_e32 v8, 0
	s_mov_b32 s2, exec_lo
	scratch_store_b64 off, v[7:8], s32 offset:672 ; 8-byte Folded Spill
	v_cmpx_ne_u32_e32 0x7f, v6
	s_cbranch_execz .LBB287_2440
; %bb.2437:                             ;   in Loop: Header=BB287_2082 Depth=1
	v_and_b32_e32 v8, 7, v4
	v_lshrrev_b32_e32 v5, 3, v6
	s_mov_b32 s3, exec_lo
	v_cmpx_gt_u32_e32 8, v6
; %bb.2438:                             ;   in Loop: Header=BB287_2082 Depth=1
	s_delay_alu instid0(VALU_DEP_3) | instskip(NEXT) | instid1(VALU_DEP_1)
	v_clz_i32_u32_e32 v5, v8
	v_min_u32_e32 v5, 32, v5
	s_delay_alu instid0(VALU_DEP_1) | instskip(SKIP_1) | instid1(VALU_DEP_2)
	v_subrev_nc_u32_e32 v6, 28, v5
	v_sub_nc_u32_e32 v5, 29, v5
	v_lshlrev_b64 v[6:7], v6, v[8:9]
	s_delay_alu instid0(VALU_DEP_1)
	v_and_b32_e32 v8, 7, v6
; %bb.2439:                             ;   in Loop: Header=BB287_2082 Depth=1
	s_or_b32 exec_lo, exec_lo, s3
	v_lshlrev_b32_e32 v6, 24, v4
	s_delay_alu instid0(VALU_DEP_2) | instskip(SKIP_1) | instid1(VALU_DEP_3)
	v_lshlrev_b32_e32 v7, 20, v8
	v_lshl_add_u32 v5, v5, 23, 0x3c000000
	v_and_b32_e32 v6, 0x80000000, v6
	s_delay_alu instid0(VALU_DEP_1)
	v_or3_b32 v8, v7, v6, v5
	scratch_store_b64 off, v[8:9], s32 offset:672 ; 8-byte Folded Spill
.LBB287_2440:                           ;   in Loop: Header=BB287_2082 Depth=1
	s_or_b32 exec_lo, exec_lo, s2
.LBB287_2441:                           ;   in Loop: Header=BB287_2082 Depth=1
	s_delay_alu instid0(SALU_CYCLE_1)
	s_or_b32 exec_lo, exec_lo, s1
.LBB287_2442:                           ;   in Loop: Header=BB287_2082 Depth=1
	s_delay_alu instid0(SALU_CYCLE_1) | instskip(SKIP_2) | instid1(VALU_DEP_1)
	s_or_b32 exec_lo, exec_lo, s0
	v_lshrrev_b16 v5, 8, v4
	s_mov_b32 s0, exec_lo
	v_cmpx_ne_u16_e32 0, v5
	s_cbranch_execz .LBB287_2450
; %bb.2443:                             ;   in Loop: Header=BB287_2082 Depth=1
	v_dual_mov_b32 v6, s8 :: v_dual_mov_b32 v7, s9
	s_mov_b32 s1, exec_lo
	scratch_store_b64 off, v[6:7], s32 offset:664 ; 8-byte Folded Spill
	v_cmpx_ne_u16_e32 0x80, v5
	s_cbranch_execz .LBB287_2449
; %bb.2444:                             ;   in Loop: Header=BB287_2082 Depth=1
	s_mov_b32 s12, s8
	v_and_b32_e32 v5, 0xffff, v5
	v_dual_mov_b32 v7, s12 :: v_dual_mov_b32 v8, s13
	s_mov_b32 s2, exec_lo
	s_delay_alu instid0(VALU_DEP_2)
	v_and_b32_e32 v6, 0x7f, v5
	scratch_store_b64 off, v[7:8], s32 offset:664 ; 8-byte Folded Spill
	v_cmpx_ne_u32_e32 0x7f, v6
	s_cbranch_execz .LBB287_2448
; %bb.2445:                             ;   in Loop: Header=BB287_2082 Depth=1
	v_and_b32_e32 v8, 7, v5
	v_lshrrev_b32_e32 v5, 3, v6
	s_mov_b32 s3, exec_lo
	v_cmpx_gt_u32_e32 8, v6
; %bb.2446:                             ;   in Loop: Header=BB287_2082 Depth=1
	s_delay_alu instid0(VALU_DEP_3) | instskip(NEXT) | instid1(VALU_DEP_1)
	v_clz_i32_u32_e32 v5, v8
	v_min_u32_e32 v5, 32, v5
	s_delay_alu instid0(VALU_DEP_1) | instskip(SKIP_1) | instid1(VALU_DEP_2)
	v_subrev_nc_u32_e32 v6, 28, v5
	v_sub_nc_u32_e32 v5, 29, v5
	v_lshlrev_b64 v[6:7], v6, v[8:9]
	s_delay_alu instid0(VALU_DEP_1)
	v_and_b32_e32 v8, 7, v6
; %bb.2447:                             ;   in Loop: Header=BB287_2082 Depth=1
	s_or_b32 exec_lo, exec_lo, s3
	v_lshlrev_b32_e32 v6, 16, v4
	s_delay_alu instid0(VALU_DEP_2) | instskip(SKIP_1) | instid1(VALU_DEP_3)
	v_lshlrev_b32_e32 v7, 20, v8
	v_lshl_add_u32 v5, v5, 23, 0x3c000000
	v_and_b32_e32 v6, 0x80000000, v6
	s_delay_alu instid0(VALU_DEP_1)
	v_or3_b32 v6, v7, v6, v5
	v_mov_b32_e32 v5, v9
	scratch_store_b64 off, v[5:6], s32 offset:664 ; 8-byte Folded Spill
.LBB287_2448:                           ;   in Loop: Header=BB287_2082 Depth=1
	s_or_b32 exec_lo, exec_lo, s2
.LBB287_2449:                           ;   in Loop: Header=BB287_2082 Depth=1
	s_delay_alu instid0(SALU_CYCLE_1)
	s_or_b32 exec_lo, exec_lo, s1
.LBB287_2450:                           ;   in Loop: Header=BB287_2082 Depth=1
	s_delay_alu instid0(SALU_CYCLE_1)
	s_or_b32 exec_lo, exec_lo, s0
	v_lshrrev_b32_e32 v5, 16, v4
	v_mov_b32_e32 v7, 0
	v_mov_b32_e32 v8, 0
	s_mov_b32 s0, exec_lo
	s_clause 0x1
	scratch_store_b64 off, v[7:8], s32 offset:680
	scratch_store_b64 off, v[7:8], s32 offset:688
	v_and_b32_e32 v6, 0xff, v5
	s_delay_alu instid0(VALU_DEP_1)
	v_cmpx_ne_u16_e32 0, v6
	s_cbranch_execz .LBB287_2458
; %bb.2451:                             ;   in Loop: Header=BB287_2082 Depth=1
	v_cmp_ne_u16_e32 vcc_lo, 0x80, v6
	v_bfrev_b32_e32 v6, 1
	v_mov_b32_e32 v7, 0
	scratch_store_b64 off, v[6:7], s32 offset:688 ; 8-byte Folded Spill
	s_and_saveexec_b32 s1, vcc_lo
	s_cbranch_execz .LBB287_2457
; %bb.2452:                             ;   in Loop: Header=BB287_2082 Depth=1
	v_mov_b32_e32 v10, 0x7f800001
	v_bfe_u32 v7, v4, 16, 7
	v_mov_b32_e32 v11, 0
	s_mov_b32 s2, exec_lo
	scratch_store_b64 off, v[10:11], s32 offset:688 ; 8-byte Folded Spill
	v_cmpx_ne_u32_e32 0x7f, v7
	s_cbranch_execz .LBB287_2456
; %bb.2453:                             ;   in Loop: Header=BB287_2082 Depth=1
	v_and_b32_e32 v8, 7, v5
	v_lshrrev_b32_e32 v6, 3, v7
	s_mov_b32 s3, exec_lo
	v_cmpx_gt_u32_e32 8, v7
; %bb.2454:                             ;   in Loop: Header=BB287_2082 Depth=1
	s_delay_alu instid0(VALU_DEP_3) | instskip(NEXT) | instid1(VALU_DEP_1)
	v_clz_i32_u32_e32 v6, v8
	v_min_u32_e32 v6, 32, v6
	s_delay_alu instid0(VALU_DEP_1) | instskip(SKIP_1) | instid1(VALU_DEP_2)
	v_subrev_nc_u32_e32 v7, 28, v6
	v_sub_nc_u32_e32 v6, 29, v6
	v_lshlrev_b64 v[7:8], v7, v[8:9]
	s_delay_alu instid0(VALU_DEP_1)
	v_and_b32_e32 v8, 7, v7
; %bb.2455:                             ;   in Loop: Header=BB287_2082 Depth=1
	s_or_b32 exec_lo, exec_lo, s3
	v_lshlrev_b32_e32 v5, 24, v5
	s_delay_alu instid0(VALU_DEP_2) | instskip(SKIP_1) | instid1(VALU_DEP_3)
	v_lshlrev_b32_e32 v7, 20, v8
	v_lshl_add_u32 v6, v6, 23, 0x3c000000
	v_and_b32_e32 v5, 0x80000000, v5
	s_delay_alu instid0(VALU_DEP_1)
	v_or3_b32 v8, v7, v5, v6
	scratch_store_b64 off, v[8:9], s32 offset:688 ; 8-byte Folded Spill
.LBB287_2456:                           ;   in Loop: Header=BB287_2082 Depth=1
	s_or_b32 exec_lo, exec_lo, s2
.LBB287_2457:                           ;   in Loop: Header=BB287_2082 Depth=1
	s_delay_alu instid0(SALU_CYCLE_1)
	s_or_b32 exec_lo, exec_lo, s1
.LBB287_2458:                           ;   in Loop: Header=BB287_2082 Depth=1
	s_delay_alu instid0(SALU_CYCLE_1) | instskip(NEXT) | instid1(SALU_CYCLE_1)
	s_or_b32 exec_lo, exec_lo, s0
	s_mov_b32 s0, exec_lo
	v_cmpx_lt_u32_e32 0xffffff, v4
	s_cbranch_execz .LBB287_2466
; %bb.2459:                             ;   in Loop: Header=BB287_2082 Depth=1
	v_lshrrev_b32_e32 v5, 24, v4
	v_dual_mov_b32 v6, s8 :: v_dual_mov_b32 v7, s9
	s_mov_b32 s1, exec_lo
	scratch_store_b64 off, v[6:7], s32 offset:680 ; 8-byte Folded Spill
	v_cmpx_ne_u32_e32 0x80, v5
	s_cbranch_execz .LBB287_2465
; %bb.2460:                             ;   in Loop: Header=BB287_2082 Depth=1
	s_mov_b32 s12, s8
	v_bfe_u32 v6, v4, 24, 7
	v_dual_mov_b32 v7, s12 :: v_dual_mov_b32 v8, s13
	s_mov_b32 s2, exec_lo
	scratch_store_b64 off, v[7:8], s32 offset:680 ; 8-byte Folded Spill
	v_cmpx_ne_u32_e32 0x7f, v6
	s_cbranch_execz .LBB287_2464
; %bb.2461:                             ;   in Loop: Header=BB287_2082 Depth=1
	v_and_b32_e32 v8, 7, v5
	v_lshrrev_b32_e32 v4, 3, v6
	s_mov_b32 s3, exec_lo
	v_cmpx_gt_u32_e32 8, v6
; %bb.2462:                             ;   in Loop: Header=BB287_2082 Depth=1
	s_delay_alu instid0(VALU_DEP_3) | instskip(NEXT) | instid1(VALU_DEP_1)
	v_clz_i32_u32_e32 v4, v8
	v_min_u32_e32 v4, 32, v4
	s_delay_alu instid0(VALU_DEP_1) | instskip(SKIP_1) | instid1(VALU_DEP_2)
	v_subrev_nc_u32_e32 v6, 28, v4
	v_sub_nc_u32_e32 v4, 29, v4
	v_lshlrev_b64 v[6:7], v6, v[8:9]
	s_delay_alu instid0(VALU_DEP_1)
	v_and_b32_e32 v8, 7, v6
; %bb.2463:                             ;   in Loop: Header=BB287_2082 Depth=1
	s_or_b32 exec_lo, exec_lo, s3
	v_lshlrev_b32_e32 v5, 24, v5
	s_delay_alu instid0(VALU_DEP_2) | instskip(SKIP_1) | instid1(VALU_DEP_3)
	v_lshlrev_b32_e32 v6, 20, v8
	v_lshl_add_u32 v4, v4, 23, 0x3c000000
	v_and_b32_e32 v5, 0x80000000, v5
	s_delay_alu instid0(VALU_DEP_1)
	v_or3_b32 v5, v6, v5, v4
	v_mov_b32_e32 v4, v9
	scratch_store_b64 off, v[4:5], s32 offset:680 ; 8-byte Folded Spill
.LBB287_2464:                           ;   in Loop: Header=BB287_2082 Depth=1
	s_or_b32 exec_lo, exec_lo, s2
.LBB287_2465:                           ;   in Loop: Header=BB287_2082 Depth=1
	s_delay_alu instid0(SALU_CYCLE_1)
	s_or_b32 exec_lo, exec_lo, s1
.LBB287_2466:                           ;   in Loop: Header=BB287_2082 Depth=1
	s_delay_alu instid0(SALU_CYCLE_1)
	s_or_b32 exec_lo, exec_lo, s0
	flat_load_b32 v4, v[34:35] offset:1536
	v_mov_b32_e32 v6, 0
	v_mov_b32_e32 v7, 0
	s_mov_b32 s0, exec_lo
	s_clause 0x1
	scratch_store_b64 off, v[6:7], s32 offset:696
	scratch_store_b64 off, v[6:7], s32 offset:704
	s_waitcnt vmcnt(0) lgkmcnt(0)
	v_and_b32_e32 v5, 0xff, v4
	s_delay_alu instid0(VALU_DEP_1)
	v_cmpx_ne_u16_e32 0, v5
	s_cbranch_execz .LBB287_2474
; %bb.2467:                             ;   in Loop: Header=BB287_2082 Depth=1
	v_cmp_ne_u16_e32 vcc_lo, 0x80, v5
	v_bfrev_b32_e32 v5, 1
	v_mov_b32_e32 v6, 0
	scratch_store_b64 off, v[5:6], s32 offset:704 ; 8-byte Folded Spill
	s_and_saveexec_b32 s1, vcc_lo
	s_cbranch_execz .LBB287_2473
; %bb.2468:                             ;   in Loop: Header=BB287_2082 Depth=1
	v_mov_b32_e32 v7, 0x7f800001
	v_and_b32_e32 v6, 0x7f, v4
	v_mov_b32_e32 v8, 0
	s_mov_b32 s2, exec_lo
	scratch_store_b64 off, v[7:8], s32 offset:704 ; 8-byte Folded Spill
	v_cmpx_ne_u32_e32 0x7f, v6
	s_cbranch_execz .LBB287_2472
; %bb.2469:                             ;   in Loop: Header=BB287_2082 Depth=1
	v_and_b32_e32 v8, 7, v4
	v_lshrrev_b32_e32 v5, 3, v6
	s_mov_b32 s3, exec_lo
	v_cmpx_gt_u32_e32 8, v6
; %bb.2470:                             ;   in Loop: Header=BB287_2082 Depth=1
	s_delay_alu instid0(VALU_DEP_3) | instskip(NEXT) | instid1(VALU_DEP_1)
	v_clz_i32_u32_e32 v5, v8
	v_min_u32_e32 v5, 32, v5
	s_delay_alu instid0(VALU_DEP_1) | instskip(SKIP_1) | instid1(VALU_DEP_2)
	v_subrev_nc_u32_e32 v6, 28, v5
	v_sub_nc_u32_e32 v5, 29, v5
	v_lshlrev_b64 v[6:7], v6, v[8:9]
	s_delay_alu instid0(VALU_DEP_1)
	v_and_b32_e32 v8, 7, v6
; %bb.2471:                             ;   in Loop: Header=BB287_2082 Depth=1
	s_or_b32 exec_lo, exec_lo, s3
	v_lshlrev_b32_e32 v6, 24, v4
	s_delay_alu instid0(VALU_DEP_2) | instskip(SKIP_1) | instid1(VALU_DEP_3)
	v_lshlrev_b32_e32 v7, 20, v8
	v_lshl_add_u32 v5, v5, 23, 0x3c000000
	v_and_b32_e32 v6, 0x80000000, v6
	s_delay_alu instid0(VALU_DEP_1)
	v_or3_b32 v8, v7, v6, v5
	scratch_store_b64 off, v[8:9], s32 offset:704 ; 8-byte Folded Spill
.LBB287_2472:                           ;   in Loop: Header=BB287_2082 Depth=1
	s_or_b32 exec_lo, exec_lo, s2
.LBB287_2473:                           ;   in Loop: Header=BB287_2082 Depth=1
	s_delay_alu instid0(SALU_CYCLE_1)
	s_or_b32 exec_lo, exec_lo, s1
.LBB287_2474:                           ;   in Loop: Header=BB287_2082 Depth=1
	s_delay_alu instid0(SALU_CYCLE_1) | instskip(SKIP_2) | instid1(VALU_DEP_1)
	s_or_b32 exec_lo, exec_lo, s0
	v_lshrrev_b16 v5, 8, v4
	s_mov_b32 s0, exec_lo
	v_cmpx_ne_u16_e32 0, v5
	s_cbranch_execz .LBB287_2482
; %bb.2475:                             ;   in Loop: Header=BB287_2082 Depth=1
	v_dual_mov_b32 v6, s8 :: v_dual_mov_b32 v7, s9
	s_mov_b32 s1, exec_lo
	scratch_store_b64 off, v[6:7], s32 offset:696 ; 8-byte Folded Spill
	v_cmpx_ne_u16_e32 0x80, v5
	s_cbranch_execz .LBB287_2481
; %bb.2476:                             ;   in Loop: Header=BB287_2082 Depth=1
	s_mov_b32 s12, s8
	v_and_b32_e32 v5, 0xffff, v5
	v_dual_mov_b32 v7, s12 :: v_dual_mov_b32 v8, s13
	s_mov_b32 s2, exec_lo
	s_delay_alu instid0(VALU_DEP_2)
	v_and_b32_e32 v6, 0x7f, v5
	scratch_store_b64 off, v[7:8], s32 offset:696 ; 8-byte Folded Spill
	v_cmpx_ne_u32_e32 0x7f, v6
	s_cbranch_execz .LBB287_2480
; %bb.2477:                             ;   in Loop: Header=BB287_2082 Depth=1
	v_and_b32_e32 v8, 7, v5
	v_lshrrev_b32_e32 v5, 3, v6
	s_mov_b32 s3, exec_lo
	v_cmpx_gt_u32_e32 8, v6
; %bb.2478:                             ;   in Loop: Header=BB287_2082 Depth=1
	s_delay_alu instid0(VALU_DEP_3) | instskip(NEXT) | instid1(VALU_DEP_1)
	v_clz_i32_u32_e32 v5, v8
	v_min_u32_e32 v5, 32, v5
	s_delay_alu instid0(VALU_DEP_1) | instskip(SKIP_1) | instid1(VALU_DEP_2)
	v_subrev_nc_u32_e32 v6, 28, v5
	v_sub_nc_u32_e32 v5, 29, v5
	v_lshlrev_b64 v[6:7], v6, v[8:9]
	s_delay_alu instid0(VALU_DEP_1)
	v_and_b32_e32 v8, 7, v6
; %bb.2479:                             ;   in Loop: Header=BB287_2082 Depth=1
	s_or_b32 exec_lo, exec_lo, s3
	v_lshlrev_b32_e32 v6, 16, v4
	s_delay_alu instid0(VALU_DEP_2) | instskip(SKIP_1) | instid1(VALU_DEP_3)
	v_lshlrev_b32_e32 v7, 20, v8
	v_lshl_add_u32 v5, v5, 23, 0x3c000000
	v_and_b32_e32 v6, 0x80000000, v6
	s_delay_alu instid0(VALU_DEP_1)
	v_or3_b32 v6, v7, v6, v5
	v_mov_b32_e32 v5, v9
	scratch_store_b64 off, v[5:6], s32 offset:696 ; 8-byte Folded Spill
.LBB287_2480:                           ;   in Loop: Header=BB287_2082 Depth=1
	s_or_b32 exec_lo, exec_lo, s2
.LBB287_2481:                           ;   in Loop: Header=BB287_2082 Depth=1
	s_delay_alu instid0(SALU_CYCLE_1)
	s_or_b32 exec_lo, exec_lo, s1
.LBB287_2482:                           ;   in Loop: Header=BB287_2082 Depth=1
	s_delay_alu instid0(SALU_CYCLE_1)
	s_or_b32 exec_lo, exec_lo, s0
	v_lshrrev_b32_e32 v5, 16, v4
	v_mov_b32_e32 v7, 0
	v_mov_b32_e32 v8, 0
	s_mov_b32 s0, exec_lo
	s_clause 0x1
	scratch_store_b64 off, v[7:8], s32 offset:712
	scratch_store_b64 off, v[7:8], s32 offset:720
	v_and_b32_e32 v6, 0xff, v5
	s_delay_alu instid0(VALU_DEP_1)
	v_cmpx_ne_u16_e32 0, v6
	s_cbranch_execz .LBB287_2490
; %bb.2483:                             ;   in Loop: Header=BB287_2082 Depth=1
	v_cmp_ne_u16_e32 vcc_lo, 0x80, v6
	v_bfrev_b32_e32 v6, 1
	v_mov_b32_e32 v7, 0
	scratch_store_b64 off, v[6:7], s32 offset:720 ; 8-byte Folded Spill
	s_and_saveexec_b32 s1, vcc_lo
	s_cbranch_execz .LBB287_2489
; %bb.2484:                             ;   in Loop: Header=BB287_2082 Depth=1
	v_mov_b32_e32 v10, 0x7f800001
	v_bfe_u32 v7, v4, 16, 7
	v_mov_b32_e32 v11, 0
	s_mov_b32 s2, exec_lo
	scratch_store_b64 off, v[10:11], s32 offset:720 ; 8-byte Folded Spill
	v_cmpx_ne_u32_e32 0x7f, v7
	s_cbranch_execz .LBB287_2488
; %bb.2485:                             ;   in Loop: Header=BB287_2082 Depth=1
	v_and_b32_e32 v8, 7, v5
	v_lshrrev_b32_e32 v6, 3, v7
	s_mov_b32 s3, exec_lo
	v_cmpx_gt_u32_e32 8, v7
; %bb.2486:                             ;   in Loop: Header=BB287_2082 Depth=1
	s_delay_alu instid0(VALU_DEP_3) | instskip(NEXT) | instid1(VALU_DEP_1)
	v_clz_i32_u32_e32 v6, v8
	v_min_u32_e32 v6, 32, v6
	s_delay_alu instid0(VALU_DEP_1) | instskip(SKIP_1) | instid1(VALU_DEP_2)
	v_subrev_nc_u32_e32 v7, 28, v6
	v_sub_nc_u32_e32 v6, 29, v6
	v_lshlrev_b64 v[7:8], v7, v[8:9]
	s_delay_alu instid0(VALU_DEP_1)
	v_and_b32_e32 v8, 7, v7
; %bb.2487:                             ;   in Loop: Header=BB287_2082 Depth=1
	s_or_b32 exec_lo, exec_lo, s3
	v_lshlrev_b32_e32 v5, 24, v5
	s_delay_alu instid0(VALU_DEP_2) | instskip(SKIP_1) | instid1(VALU_DEP_3)
	v_lshlrev_b32_e32 v7, 20, v8
	v_lshl_add_u32 v6, v6, 23, 0x3c000000
	v_and_b32_e32 v5, 0x80000000, v5
	s_delay_alu instid0(VALU_DEP_1)
	v_or3_b32 v8, v7, v5, v6
	scratch_store_b64 off, v[8:9], s32 offset:720 ; 8-byte Folded Spill
.LBB287_2488:                           ;   in Loop: Header=BB287_2082 Depth=1
	s_or_b32 exec_lo, exec_lo, s2
.LBB287_2489:                           ;   in Loop: Header=BB287_2082 Depth=1
	s_delay_alu instid0(SALU_CYCLE_1)
	s_or_b32 exec_lo, exec_lo, s1
.LBB287_2490:                           ;   in Loop: Header=BB287_2082 Depth=1
	s_delay_alu instid0(SALU_CYCLE_1) | instskip(NEXT) | instid1(SALU_CYCLE_1)
	s_or_b32 exec_lo, exec_lo, s0
	s_mov_b32 s0, exec_lo
	v_cmpx_lt_u32_e32 0xffffff, v4
	s_cbranch_execz .LBB287_2498
; %bb.2491:                             ;   in Loop: Header=BB287_2082 Depth=1
	v_lshrrev_b32_e32 v5, 24, v4
	v_dual_mov_b32 v6, s8 :: v_dual_mov_b32 v7, s9
	s_mov_b32 s1, exec_lo
	scratch_store_b64 off, v[6:7], s32 offset:712 ; 8-byte Folded Spill
	v_cmpx_ne_u32_e32 0x80, v5
	s_cbranch_execz .LBB287_2497
; %bb.2492:                             ;   in Loop: Header=BB287_2082 Depth=1
	s_mov_b32 s12, s8
	v_bfe_u32 v6, v4, 24, 7
	v_dual_mov_b32 v7, s12 :: v_dual_mov_b32 v8, s13
	s_mov_b32 s2, exec_lo
	scratch_store_b64 off, v[7:8], s32 offset:712 ; 8-byte Folded Spill
	v_cmpx_ne_u32_e32 0x7f, v6
	s_cbranch_execz .LBB287_2496
; %bb.2493:                             ;   in Loop: Header=BB287_2082 Depth=1
	v_and_b32_e32 v8, 7, v5
	v_lshrrev_b32_e32 v4, 3, v6
	s_mov_b32 s3, exec_lo
	v_cmpx_gt_u32_e32 8, v6
; %bb.2494:                             ;   in Loop: Header=BB287_2082 Depth=1
	s_delay_alu instid0(VALU_DEP_3) | instskip(NEXT) | instid1(VALU_DEP_1)
	v_clz_i32_u32_e32 v4, v8
	v_min_u32_e32 v4, 32, v4
	s_delay_alu instid0(VALU_DEP_1) | instskip(SKIP_1) | instid1(VALU_DEP_2)
	v_subrev_nc_u32_e32 v6, 28, v4
	v_sub_nc_u32_e32 v4, 29, v4
	v_lshlrev_b64 v[6:7], v6, v[8:9]
	s_delay_alu instid0(VALU_DEP_1)
	v_and_b32_e32 v8, 7, v6
; %bb.2495:                             ;   in Loop: Header=BB287_2082 Depth=1
	s_or_b32 exec_lo, exec_lo, s3
	v_lshlrev_b32_e32 v5, 24, v5
	s_delay_alu instid0(VALU_DEP_2) | instskip(SKIP_1) | instid1(VALU_DEP_3)
	v_lshlrev_b32_e32 v6, 20, v8
	v_lshl_add_u32 v4, v4, 23, 0x3c000000
	v_and_b32_e32 v5, 0x80000000, v5
	s_delay_alu instid0(VALU_DEP_1)
	v_or3_b32 v5, v6, v5, v4
	v_mov_b32_e32 v4, v9
	scratch_store_b64 off, v[4:5], s32 offset:712 ; 8-byte Folded Spill
.LBB287_2496:                           ;   in Loop: Header=BB287_2082 Depth=1
	s_or_b32 exec_lo, exec_lo, s2
.LBB287_2497:                           ;   in Loop: Header=BB287_2082 Depth=1
	s_delay_alu instid0(SALU_CYCLE_1)
	s_or_b32 exec_lo, exec_lo, s1
.LBB287_2498:                           ;   in Loop: Header=BB287_2082 Depth=1
	s_delay_alu instid0(SALU_CYCLE_1)
	s_or_b32 exec_lo, exec_lo, s0
	flat_load_b32 v4, v[34:35] offset:1664
	v_mov_b32_e32 v6, 0
	v_mov_b32_e32 v7, 0
	s_mov_b32 s0, exec_lo
	s_clause 0x1
	scratch_store_b64 off, v[6:7], s32 offset:728
	scratch_store_b64 off, v[6:7], s32 offset:736
	s_waitcnt vmcnt(0) lgkmcnt(0)
	v_and_b32_e32 v5, 0xff, v4
	s_delay_alu instid0(VALU_DEP_1)
	v_cmpx_ne_u16_e32 0, v5
	s_cbranch_execz .LBB287_2506
; %bb.2499:                             ;   in Loop: Header=BB287_2082 Depth=1
	v_cmp_ne_u16_e32 vcc_lo, 0x80, v5
	v_bfrev_b32_e32 v5, 1
	v_mov_b32_e32 v6, 0
	scratch_store_b64 off, v[5:6], s32 offset:736 ; 8-byte Folded Spill
	s_and_saveexec_b32 s1, vcc_lo
	s_cbranch_execz .LBB287_2505
; %bb.2500:                             ;   in Loop: Header=BB287_2082 Depth=1
	v_mov_b32_e32 v7, 0x7f800001
	v_and_b32_e32 v6, 0x7f, v4
	v_mov_b32_e32 v8, 0
	s_mov_b32 s2, exec_lo
	scratch_store_b64 off, v[7:8], s32 offset:736 ; 8-byte Folded Spill
	v_cmpx_ne_u32_e32 0x7f, v6
	s_cbranch_execz .LBB287_2504
; %bb.2501:                             ;   in Loop: Header=BB287_2082 Depth=1
	v_and_b32_e32 v8, 7, v4
	v_lshrrev_b32_e32 v5, 3, v6
	s_mov_b32 s3, exec_lo
	v_cmpx_gt_u32_e32 8, v6
; %bb.2502:                             ;   in Loop: Header=BB287_2082 Depth=1
	s_delay_alu instid0(VALU_DEP_3) | instskip(NEXT) | instid1(VALU_DEP_1)
	v_clz_i32_u32_e32 v5, v8
	v_min_u32_e32 v5, 32, v5
	s_delay_alu instid0(VALU_DEP_1) | instskip(SKIP_1) | instid1(VALU_DEP_2)
	v_subrev_nc_u32_e32 v6, 28, v5
	v_sub_nc_u32_e32 v5, 29, v5
	v_lshlrev_b64 v[6:7], v6, v[8:9]
	s_delay_alu instid0(VALU_DEP_1)
	v_and_b32_e32 v8, 7, v6
; %bb.2503:                             ;   in Loop: Header=BB287_2082 Depth=1
	s_or_b32 exec_lo, exec_lo, s3
	v_lshlrev_b32_e32 v6, 24, v4
	s_delay_alu instid0(VALU_DEP_2) | instskip(SKIP_1) | instid1(VALU_DEP_3)
	v_lshlrev_b32_e32 v7, 20, v8
	v_lshl_add_u32 v5, v5, 23, 0x3c000000
	v_and_b32_e32 v6, 0x80000000, v6
	s_delay_alu instid0(VALU_DEP_1)
	v_or3_b32 v8, v7, v6, v5
	scratch_store_b64 off, v[8:9], s32 offset:736 ; 8-byte Folded Spill
.LBB287_2504:                           ;   in Loop: Header=BB287_2082 Depth=1
	s_or_b32 exec_lo, exec_lo, s2
.LBB287_2505:                           ;   in Loop: Header=BB287_2082 Depth=1
	s_delay_alu instid0(SALU_CYCLE_1)
	s_or_b32 exec_lo, exec_lo, s1
.LBB287_2506:                           ;   in Loop: Header=BB287_2082 Depth=1
	s_delay_alu instid0(SALU_CYCLE_1) | instskip(SKIP_2) | instid1(VALU_DEP_1)
	s_or_b32 exec_lo, exec_lo, s0
	v_lshrrev_b16 v5, 8, v4
	s_mov_b32 s0, exec_lo
	v_cmpx_ne_u16_e32 0, v5
	s_cbranch_execz .LBB287_2514
; %bb.2507:                             ;   in Loop: Header=BB287_2082 Depth=1
	v_dual_mov_b32 v6, s8 :: v_dual_mov_b32 v7, s9
	s_mov_b32 s1, exec_lo
	scratch_store_b64 off, v[6:7], s32 offset:728 ; 8-byte Folded Spill
	v_cmpx_ne_u16_e32 0x80, v5
	s_cbranch_execz .LBB287_2513
; %bb.2508:                             ;   in Loop: Header=BB287_2082 Depth=1
	s_mov_b32 s12, s8
	v_and_b32_e32 v5, 0xffff, v5
	v_dual_mov_b32 v7, s12 :: v_dual_mov_b32 v8, s13
	s_mov_b32 s2, exec_lo
	s_delay_alu instid0(VALU_DEP_2)
	v_and_b32_e32 v6, 0x7f, v5
	scratch_store_b64 off, v[7:8], s32 offset:728 ; 8-byte Folded Spill
	v_cmpx_ne_u32_e32 0x7f, v6
	s_cbranch_execz .LBB287_2512
; %bb.2509:                             ;   in Loop: Header=BB287_2082 Depth=1
	v_and_b32_e32 v8, 7, v5
	v_lshrrev_b32_e32 v5, 3, v6
	s_mov_b32 s3, exec_lo
	v_cmpx_gt_u32_e32 8, v6
; %bb.2510:                             ;   in Loop: Header=BB287_2082 Depth=1
	s_delay_alu instid0(VALU_DEP_3) | instskip(NEXT) | instid1(VALU_DEP_1)
	v_clz_i32_u32_e32 v5, v8
	v_min_u32_e32 v5, 32, v5
	s_delay_alu instid0(VALU_DEP_1) | instskip(SKIP_1) | instid1(VALU_DEP_2)
	v_subrev_nc_u32_e32 v6, 28, v5
	v_sub_nc_u32_e32 v5, 29, v5
	v_lshlrev_b64 v[6:7], v6, v[8:9]
	s_delay_alu instid0(VALU_DEP_1)
	v_and_b32_e32 v8, 7, v6
; %bb.2511:                             ;   in Loop: Header=BB287_2082 Depth=1
	s_or_b32 exec_lo, exec_lo, s3
	v_lshlrev_b32_e32 v6, 16, v4
	s_delay_alu instid0(VALU_DEP_2) | instskip(SKIP_1) | instid1(VALU_DEP_3)
	v_lshlrev_b32_e32 v7, 20, v8
	v_lshl_add_u32 v5, v5, 23, 0x3c000000
	v_and_b32_e32 v6, 0x80000000, v6
	s_delay_alu instid0(VALU_DEP_1)
	v_or3_b32 v6, v7, v6, v5
	v_mov_b32_e32 v5, v9
	scratch_store_b64 off, v[5:6], s32 offset:728 ; 8-byte Folded Spill
.LBB287_2512:                           ;   in Loop: Header=BB287_2082 Depth=1
	s_or_b32 exec_lo, exec_lo, s2
.LBB287_2513:                           ;   in Loop: Header=BB287_2082 Depth=1
	s_delay_alu instid0(SALU_CYCLE_1)
	s_or_b32 exec_lo, exec_lo, s1
.LBB287_2514:                           ;   in Loop: Header=BB287_2082 Depth=1
	s_delay_alu instid0(SALU_CYCLE_1)
	s_or_b32 exec_lo, exec_lo, s0
	v_lshrrev_b32_e32 v5, 16, v4
	v_mov_b32_e32 v7, 0
	v_mov_b32_e32 v8, 0
	s_mov_b32 s0, exec_lo
	s_clause 0x1
	scratch_store_b64 off, v[7:8], s32 offset:744
	scratch_store_b64 off, v[7:8], s32 offset:752
	v_and_b32_e32 v6, 0xff, v5
	s_delay_alu instid0(VALU_DEP_1)
	v_cmpx_ne_u16_e32 0, v6
	s_cbranch_execz .LBB287_2522
; %bb.2515:                             ;   in Loop: Header=BB287_2082 Depth=1
	v_cmp_ne_u16_e32 vcc_lo, 0x80, v6
	v_bfrev_b32_e32 v6, 1
	v_mov_b32_e32 v7, 0
	scratch_store_b64 off, v[6:7], s32 offset:752 ; 8-byte Folded Spill
	s_and_saveexec_b32 s1, vcc_lo
	s_cbranch_execz .LBB287_2521
; %bb.2516:                             ;   in Loop: Header=BB287_2082 Depth=1
	v_mov_b32_e32 v10, 0x7f800001
	v_bfe_u32 v7, v4, 16, 7
	v_mov_b32_e32 v11, 0
	s_mov_b32 s2, exec_lo
	scratch_store_b64 off, v[10:11], s32 offset:752 ; 8-byte Folded Spill
	v_cmpx_ne_u32_e32 0x7f, v7
	s_cbranch_execz .LBB287_2520
; %bb.2517:                             ;   in Loop: Header=BB287_2082 Depth=1
	v_and_b32_e32 v8, 7, v5
	v_lshrrev_b32_e32 v6, 3, v7
	s_mov_b32 s3, exec_lo
	v_cmpx_gt_u32_e32 8, v7
; %bb.2518:                             ;   in Loop: Header=BB287_2082 Depth=1
	s_delay_alu instid0(VALU_DEP_3) | instskip(NEXT) | instid1(VALU_DEP_1)
	v_clz_i32_u32_e32 v6, v8
	v_min_u32_e32 v6, 32, v6
	s_delay_alu instid0(VALU_DEP_1) | instskip(SKIP_1) | instid1(VALU_DEP_2)
	v_subrev_nc_u32_e32 v7, 28, v6
	v_sub_nc_u32_e32 v6, 29, v6
	v_lshlrev_b64 v[7:8], v7, v[8:9]
	s_delay_alu instid0(VALU_DEP_1)
	v_and_b32_e32 v8, 7, v7
; %bb.2519:                             ;   in Loop: Header=BB287_2082 Depth=1
	s_or_b32 exec_lo, exec_lo, s3
	v_lshlrev_b32_e32 v5, 24, v5
	s_delay_alu instid0(VALU_DEP_2) | instskip(SKIP_1) | instid1(VALU_DEP_3)
	v_lshlrev_b32_e32 v7, 20, v8
	v_lshl_add_u32 v6, v6, 23, 0x3c000000
	v_and_b32_e32 v5, 0x80000000, v5
	s_delay_alu instid0(VALU_DEP_1)
	v_or3_b32 v8, v7, v5, v6
	scratch_store_b64 off, v[8:9], s32 offset:752 ; 8-byte Folded Spill
.LBB287_2520:                           ;   in Loop: Header=BB287_2082 Depth=1
	s_or_b32 exec_lo, exec_lo, s2
.LBB287_2521:                           ;   in Loop: Header=BB287_2082 Depth=1
	s_delay_alu instid0(SALU_CYCLE_1)
	s_or_b32 exec_lo, exec_lo, s1
.LBB287_2522:                           ;   in Loop: Header=BB287_2082 Depth=1
	s_delay_alu instid0(SALU_CYCLE_1) | instskip(NEXT) | instid1(SALU_CYCLE_1)
	s_or_b32 exec_lo, exec_lo, s0
	s_mov_b32 s0, exec_lo
	v_cmpx_lt_u32_e32 0xffffff, v4
	s_cbranch_execz .LBB287_2530
; %bb.2523:                             ;   in Loop: Header=BB287_2082 Depth=1
	v_lshrrev_b32_e32 v5, 24, v4
	v_dual_mov_b32 v6, s8 :: v_dual_mov_b32 v7, s9
	s_mov_b32 s1, exec_lo
	scratch_store_b64 off, v[6:7], s32 offset:744 ; 8-byte Folded Spill
	v_cmpx_ne_u32_e32 0x80, v5
	s_cbranch_execz .LBB287_2529
; %bb.2524:                             ;   in Loop: Header=BB287_2082 Depth=1
	s_mov_b32 s12, s8
	v_bfe_u32 v6, v4, 24, 7
	v_dual_mov_b32 v7, s12 :: v_dual_mov_b32 v8, s13
	s_mov_b32 s2, exec_lo
	scratch_store_b64 off, v[7:8], s32 offset:744 ; 8-byte Folded Spill
	v_cmpx_ne_u32_e32 0x7f, v6
	s_cbranch_execz .LBB287_2528
; %bb.2525:                             ;   in Loop: Header=BB287_2082 Depth=1
	v_and_b32_e32 v8, 7, v5
	v_lshrrev_b32_e32 v4, 3, v6
	s_mov_b32 s3, exec_lo
	v_cmpx_gt_u32_e32 8, v6
; %bb.2526:                             ;   in Loop: Header=BB287_2082 Depth=1
	s_delay_alu instid0(VALU_DEP_3) | instskip(NEXT) | instid1(VALU_DEP_1)
	v_clz_i32_u32_e32 v4, v8
	v_min_u32_e32 v4, 32, v4
	s_delay_alu instid0(VALU_DEP_1) | instskip(SKIP_1) | instid1(VALU_DEP_2)
	v_subrev_nc_u32_e32 v6, 28, v4
	v_sub_nc_u32_e32 v4, 29, v4
	v_lshlrev_b64 v[6:7], v6, v[8:9]
	s_delay_alu instid0(VALU_DEP_1)
	v_and_b32_e32 v8, 7, v6
; %bb.2527:                             ;   in Loop: Header=BB287_2082 Depth=1
	s_or_b32 exec_lo, exec_lo, s3
	v_lshlrev_b32_e32 v5, 24, v5
	s_delay_alu instid0(VALU_DEP_2) | instskip(SKIP_1) | instid1(VALU_DEP_3)
	v_lshlrev_b32_e32 v6, 20, v8
	v_lshl_add_u32 v4, v4, 23, 0x3c000000
	v_and_b32_e32 v5, 0x80000000, v5
	s_delay_alu instid0(VALU_DEP_1)
	v_or3_b32 v5, v6, v5, v4
	v_mov_b32_e32 v4, v9
	scratch_store_b64 off, v[4:5], s32 offset:744 ; 8-byte Folded Spill
.LBB287_2528:                           ;   in Loop: Header=BB287_2082 Depth=1
	s_or_b32 exec_lo, exec_lo, s2
.LBB287_2529:                           ;   in Loop: Header=BB287_2082 Depth=1
	s_delay_alu instid0(SALU_CYCLE_1)
	s_or_b32 exec_lo, exec_lo, s1
.LBB287_2530:                           ;   in Loop: Header=BB287_2082 Depth=1
	s_delay_alu instid0(SALU_CYCLE_1)
	s_or_b32 exec_lo, exec_lo, s0
	flat_load_b32 v4, v[34:35] offset:1792
	v_mov_b32_e32 v6, 0
	v_mov_b32_e32 v7, 0
	s_mov_b32 s0, exec_lo
	s_clause 0x1
	scratch_store_b64 off, v[6:7], s32 offset:760
	scratch_store_b64 off, v[6:7], s32 offset:768
	s_waitcnt vmcnt(0) lgkmcnt(0)
	v_and_b32_e32 v5, 0xff, v4
	s_delay_alu instid0(VALU_DEP_1)
	v_cmpx_ne_u16_e32 0, v5
	s_cbranch_execz .LBB287_2538
; %bb.2531:                             ;   in Loop: Header=BB287_2082 Depth=1
	v_cmp_ne_u16_e32 vcc_lo, 0x80, v5
	v_bfrev_b32_e32 v5, 1
	v_mov_b32_e32 v6, 0
	scratch_store_b64 off, v[5:6], s32 offset:768 ; 8-byte Folded Spill
	s_and_saveexec_b32 s1, vcc_lo
	s_cbranch_execz .LBB287_2537
; %bb.2532:                             ;   in Loop: Header=BB287_2082 Depth=1
	v_mov_b32_e32 v7, 0x7f800001
	v_and_b32_e32 v6, 0x7f, v4
	v_mov_b32_e32 v8, 0
	s_mov_b32 s2, exec_lo
	scratch_store_b64 off, v[7:8], s32 offset:768 ; 8-byte Folded Spill
	v_cmpx_ne_u32_e32 0x7f, v6
	s_cbranch_execz .LBB287_2536
; %bb.2533:                             ;   in Loop: Header=BB287_2082 Depth=1
	v_and_b32_e32 v8, 7, v4
	v_lshrrev_b32_e32 v5, 3, v6
	s_mov_b32 s3, exec_lo
	v_cmpx_gt_u32_e32 8, v6
; %bb.2534:                             ;   in Loop: Header=BB287_2082 Depth=1
	s_delay_alu instid0(VALU_DEP_3) | instskip(NEXT) | instid1(VALU_DEP_1)
	v_clz_i32_u32_e32 v5, v8
	v_min_u32_e32 v5, 32, v5
	s_delay_alu instid0(VALU_DEP_1) | instskip(SKIP_1) | instid1(VALU_DEP_2)
	v_subrev_nc_u32_e32 v6, 28, v5
	v_sub_nc_u32_e32 v5, 29, v5
	v_lshlrev_b64 v[6:7], v6, v[8:9]
	s_delay_alu instid0(VALU_DEP_1)
	v_and_b32_e32 v8, 7, v6
; %bb.2535:                             ;   in Loop: Header=BB287_2082 Depth=1
	s_or_b32 exec_lo, exec_lo, s3
	v_lshlrev_b32_e32 v6, 24, v4
	s_delay_alu instid0(VALU_DEP_2) | instskip(SKIP_1) | instid1(VALU_DEP_3)
	v_lshlrev_b32_e32 v7, 20, v8
	v_lshl_add_u32 v5, v5, 23, 0x3c000000
	v_and_b32_e32 v6, 0x80000000, v6
	s_delay_alu instid0(VALU_DEP_1)
	v_or3_b32 v8, v7, v6, v5
	scratch_store_b64 off, v[8:9], s32 offset:768 ; 8-byte Folded Spill
.LBB287_2536:                           ;   in Loop: Header=BB287_2082 Depth=1
	s_or_b32 exec_lo, exec_lo, s2
.LBB287_2537:                           ;   in Loop: Header=BB287_2082 Depth=1
	s_delay_alu instid0(SALU_CYCLE_1)
	s_or_b32 exec_lo, exec_lo, s1
.LBB287_2538:                           ;   in Loop: Header=BB287_2082 Depth=1
	s_delay_alu instid0(SALU_CYCLE_1) | instskip(SKIP_2) | instid1(VALU_DEP_1)
	s_or_b32 exec_lo, exec_lo, s0
	v_lshrrev_b16 v5, 8, v4
	s_mov_b32 s0, exec_lo
	v_cmpx_ne_u16_e32 0, v5
	s_cbranch_execz .LBB287_2546
; %bb.2539:                             ;   in Loop: Header=BB287_2082 Depth=1
	v_dual_mov_b32 v6, s8 :: v_dual_mov_b32 v7, s9
	s_mov_b32 s1, exec_lo
	scratch_store_b64 off, v[6:7], s32 offset:760 ; 8-byte Folded Spill
	v_cmpx_ne_u16_e32 0x80, v5
	s_cbranch_execz .LBB287_2545
; %bb.2540:                             ;   in Loop: Header=BB287_2082 Depth=1
	s_mov_b32 s12, s8
	v_and_b32_e32 v5, 0xffff, v5
	v_dual_mov_b32 v7, s12 :: v_dual_mov_b32 v8, s13
	s_mov_b32 s2, exec_lo
	s_delay_alu instid0(VALU_DEP_2)
	v_and_b32_e32 v6, 0x7f, v5
	scratch_store_b64 off, v[7:8], s32 offset:760 ; 8-byte Folded Spill
	v_cmpx_ne_u32_e32 0x7f, v6
	s_cbranch_execz .LBB287_2544
; %bb.2541:                             ;   in Loop: Header=BB287_2082 Depth=1
	v_and_b32_e32 v8, 7, v5
	v_lshrrev_b32_e32 v5, 3, v6
	s_mov_b32 s3, exec_lo
	v_cmpx_gt_u32_e32 8, v6
; %bb.2542:                             ;   in Loop: Header=BB287_2082 Depth=1
	s_delay_alu instid0(VALU_DEP_3) | instskip(NEXT) | instid1(VALU_DEP_1)
	v_clz_i32_u32_e32 v5, v8
	v_min_u32_e32 v5, 32, v5
	s_delay_alu instid0(VALU_DEP_1) | instskip(SKIP_1) | instid1(VALU_DEP_2)
	v_subrev_nc_u32_e32 v6, 28, v5
	v_sub_nc_u32_e32 v5, 29, v5
	v_lshlrev_b64 v[6:7], v6, v[8:9]
	s_delay_alu instid0(VALU_DEP_1)
	v_and_b32_e32 v8, 7, v6
; %bb.2543:                             ;   in Loop: Header=BB287_2082 Depth=1
	s_or_b32 exec_lo, exec_lo, s3
	v_lshlrev_b32_e32 v6, 16, v4
	s_delay_alu instid0(VALU_DEP_2) | instskip(SKIP_1) | instid1(VALU_DEP_3)
	v_lshlrev_b32_e32 v7, 20, v8
	v_lshl_add_u32 v5, v5, 23, 0x3c000000
	v_and_b32_e32 v6, 0x80000000, v6
	s_delay_alu instid0(VALU_DEP_1)
	v_or3_b32 v6, v7, v6, v5
	v_mov_b32_e32 v5, v9
	scratch_store_b64 off, v[5:6], s32 offset:760 ; 8-byte Folded Spill
.LBB287_2544:                           ;   in Loop: Header=BB287_2082 Depth=1
	s_or_b32 exec_lo, exec_lo, s2
.LBB287_2545:                           ;   in Loop: Header=BB287_2082 Depth=1
	s_delay_alu instid0(SALU_CYCLE_1)
	s_or_b32 exec_lo, exec_lo, s1
.LBB287_2546:                           ;   in Loop: Header=BB287_2082 Depth=1
	s_delay_alu instid0(SALU_CYCLE_1)
	s_or_b32 exec_lo, exec_lo, s0
	v_lshrrev_b32_e32 v5, 16, v4
	v_mov_b32_e32 v7, 0
	v_mov_b32_e32 v8, 0
	s_mov_b32 s0, exec_lo
	s_clause 0x1
	scratch_store_b64 off, v[7:8], s32 offset:776
	scratch_store_b64 off, v[7:8], s32 offset:784
	v_and_b32_e32 v6, 0xff, v5
	s_delay_alu instid0(VALU_DEP_1)
	v_cmpx_ne_u16_e32 0, v6
	s_cbranch_execz .LBB287_2554
; %bb.2547:                             ;   in Loop: Header=BB287_2082 Depth=1
	v_cmp_ne_u16_e32 vcc_lo, 0x80, v6
	v_bfrev_b32_e32 v6, 1
	v_mov_b32_e32 v7, 0
	scratch_store_b64 off, v[6:7], s32 offset:784 ; 8-byte Folded Spill
	s_and_saveexec_b32 s1, vcc_lo
	s_cbranch_execz .LBB287_2553
; %bb.2548:                             ;   in Loop: Header=BB287_2082 Depth=1
	v_mov_b32_e32 v10, 0x7f800001
	v_bfe_u32 v7, v4, 16, 7
	v_mov_b32_e32 v11, 0
	s_mov_b32 s2, exec_lo
	scratch_store_b64 off, v[10:11], s32 offset:784 ; 8-byte Folded Spill
	v_cmpx_ne_u32_e32 0x7f, v7
	s_cbranch_execz .LBB287_2552
; %bb.2549:                             ;   in Loop: Header=BB287_2082 Depth=1
	v_and_b32_e32 v8, 7, v5
	v_lshrrev_b32_e32 v6, 3, v7
	s_mov_b32 s3, exec_lo
	v_cmpx_gt_u32_e32 8, v7
; %bb.2550:                             ;   in Loop: Header=BB287_2082 Depth=1
	s_delay_alu instid0(VALU_DEP_3) | instskip(NEXT) | instid1(VALU_DEP_1)
	v_clz_i32_u32_e32 v6, v8
	v_min_u32_e32 v6, 32, v6
	s_delay_alu instid0(VALU_DEP_1) | instskip(SKIP_1) | instid1(VALU_DEP_2)
	v_subrev_nc_u32_e32 v7, 28, v6
	v_sub_nc_u32_e32 v6, 29, v6
	v_lshlrev_b64 v[7:8], v7, v[8:9]
	s_delay_alu instid0(VALU_DEP_1)
	v_and_b32_e32 v8, 7, v7
; %bb.2551:                             ;   in Loop: Header=BB287_2082 Depth=1
	s_or_b32 exec_lo, exec_lo, s3
	v_lshlrev_b32_e32 v5, 24, v5
	s_delay_alu instid0(VALU_DEP_2) | instskip(SKIP_1) | instid1(VALU_DEP_3)
	v_lshlrev_b32_e32 v7, 20, v8
	v_lshl_add_u32 v6, v6, 23, 0x3c000000
	v_and_b32_e32 v5, 0x80000000, v5
	s_delay_alu instid0(VALU_DEP_1)
	v_or3_b32 v8, v7, v5, v6
	scratch_store_b64 off, v[8:9], s32 offset:784 ; 8-byte Folded Spill
.LBB287_2552:                           ;   in Loop: Header=BB287_2082 Depth=1
	s_or_b32 exec_lo, exec_lo, s2
.LBB287_2553:                           ;   in Loop: Header=BB287_2082 Depth=1
	s_delay_alu instid0(SALU_CYCLE_1)
	s_or_b32 exec_lo, exec_lo, s1
.LBB287_2554:                           ;   in Loop: Header=BB287_2082 Depth=1
	s_delay_alu instid0(SALU_CYCLE_1) | instskip(NEXT) | instid1(SALU_CYCLE_1)
	s_or_b32 exec_lo, exec_lo, s0
	s_mov_b32 s0, exec_lo
	v_cmpx_lt_u32_e32 0xffffff, v4
	s_cbranch_execz .LBB287_2562
; %bb.2555:                             ;   in Loop: Header=BB287_2082 Depth=1
	v_lshrrev_b32_e32 v5, 24, v4
	v_dual_mov_b32 v6, s8 :: v_dual_mov_b32 v7, s9
	s_mov_b32 s1, exec_lo
	scratch_store_b64 off, v[6:7], s32 offset:776 ; 8-byte Folded Spill
	v_cmpx_ne_u32_e32 0x80, v5
	s_cbranch_execz .LBB287_2561
; %bb.2556:                             ;   in Loop: Header=BB287_2082 Depth=1
	s_mov_b32 s12, s8
	v_bfe_u32 v6, v4, 24, 7
	v_dual_mov_b32 v7, s12 :: v_dual_mov_b32 v8, s13
	s_mov_b32 s2, exec_lo
	scratch_store_b64 off, v[7:8], s32 offset:776 ; 8-byte Folded Spill
	v_cmpx_ne_u32_e32 0x7f, v6
	s_cbranch_execz .LBB287_2560
; %bb.2557:                             ;   in Loop: Header=BB287_2082 Depth=1
	v_and_b32_e32 v8, 7, v5
	v_lshrrev_b32_e32 v4, 3, v6
	s_mov_b32 s3, exec_lo
	v_cmpx_gt_u32_e32 8, v6
; %bb.2558:                             ;   in Loop: Header=BB287_2082 Depth=1
	s_delay_alu instid0(VALU_DEP_3) | instskip(NEXT) | instid1(VALU_DEP_1)
	v_clz_i32_u32_e32 v4, v8
	v_min_u32_e32 v4, 32, v4
	s_delay_alu instid0(VALU_DEP_1) | instskip(SKIP_1) | instid1(VALU_DEP_2)
	v_subrev_nc_u32_e32 v6, 28, v4
	v_sub_nc_u32_e32 v4, 29, v4
	v_lshlrev_b64 v[6:7], v6, v[8:9]
	s_delay_alu instid0(VALU_DEP_1)
	v_and_b32_e32 v8, 7, v6
; %bb.2559:                             ;   in Loop: Header=BB287_2082 Depth=1
	s_or_b32 exec_lo, exec_lo, s3
	v_lshlrev_b32_e32 v5, 24, v5
	s_delay_alu instid0(VALU_DEP_2) | instskip(SKIP_1) | instid1(VALU_DEP_3)
	v_lshlrev_b32_e32 v6, 20, v8
	v_lshl_add_u32 v4, v4, 23, 0x3c000000
	v_and_b32_e32 v5, 0x80000000, v5
	s_delay_alu instid0(VALU_DEP_1)
	v_or3_b32 v5, v6, v5, v4
	v_mov_b32_e32 v4, v9
	scratch_store_b64 off, v[4:5], s32 offset:776 ; 8-byte Folded Spill
.LBB287_2560:                           ;   in Loop: Header=BB287_2082 Depth=1
	s_or_b32 exec_lo, exec_lo, s2
.LBB287_2561:                           ;   in Loop: Header=BB287_2082 Depth=1
	s_delay_alu instid0(SALU_CYCLE_1)
	s_or_b32 exec_lo, exec_lo, s1
.LBB287_2562:                           ;   in Loop: Header=BB287_2082 Depth=1
	s_delay_alu instid0(SALU_CYCLE_1)
	s_or_b32 exec_lo, exec_lo, s0
	flat_load_b32 v4, v[34:35] offset:1920
	v_mov_b32_e32 v6, 0
	v_mov_b32_e32 v7, 0
	s_mov_b32 s0, exec_lo
	s_clause 0x1
	scratch_store_b64 off, v[6:7], s32 offset:792
	scratch_store_b64 off, v[6:7], s32 offset:800
	s_waitcnt vmcnt(0) lgkmcnt(0)
	v_and_b32_e32 v5, 0xff, v4
	s_delay_alu instid0(VALU_DEP_1)
	v_cmpx_ne_u16_e32 0, v5
	s_cbranch_execz .LBB287_2570
; %bb.2563:                             ;   in Loop: Header=BB287_2082 Depth=1
	v_cmp_ne_u16_e32 vcc_lo, 0x80, v5
	v_bfrev_b32_e32 v5, 1
	v_mov_b32_e32 v6, 0
	scratch_store_b64 off, v[5:6], s32 offset:800 ; 8-byte Folded Spill
	s_and_saveexec_b32 s1, vcc_lo
	s_cbranch_execz .LBB287_2569
; %bb.2564:                             ;   in Loop: Header=BB287_2082 Depth=1
	v_mov_b32_e32 v7, 0x7f800001
	v_and_b32_e32 v6, 0x7f, v4
	v_mov_b32_e32 v8, 0
	s_mov_b32 s2, exec_lo
	scratch_store_b64 off, v[7:8], s32 offset:800 ; 8-byte Folded Spill
	v_cmpx_ne_u32_e32 0x7f, v6
	s_cbranch_execz .LBB287_2568
; %bb.2565:                             ;   in Loop: Header=BB287_2082 Depth=1
	v_and_b32_e32 v8, 7, v4
	v_lshrrev_b32_e32 v5, 3, v6
	s_mov_b32 s3, exec_lo
	v_cmpx_gt_u32_e32 8, v6
; %bb.2566:                             ;   in Loop: Header=BB287_2082 Depth=1
	s_delay_alu instid0(VALU_DEP_3) | instskip(NEXT) | instid1(VALU_DEP_1)
	v_clz_i32_u32_e32 v5, v8
	v_min_u32_e32 v5, 32, v5
	s_delay_alu instid0(VALU_DEP_1) | instskip(SKIP_1) | instid1(VALU_DEP_2)
	v_subrev_nc_u32_e32 v6, 28, v5
	v_sub_nc_u32_e32 v5, 29, v5
	v_lshlrev_b64 v[6:7], v6, v[8:9]
	s_delay_alu instid0(VALU_DEP_1)
	v_and_b32_e32 v8, 7, v6
; %bb.2567:                             ;   in Loop: Header=BB287_2082 Depth=1
	s_or_b32 exec_lo, exec_lo, s3
	v_lshlrev_b32_e32 v6, 24, v4
	s_delay_alu instid0(VALU_DEP_2) | instskip(SKIP_1) | instid1(VALU_DEP_3)
	v_lshlrev_b32_e32 v7, 20, v8
	v_lshl_add_u32 v5, v5, 23, 0x3c000000
	v_and_b32_e32 v6, 0x80000000, v6
	s_delay_alu instid0(VALU_DEP_1)
	v_or3_b32 v8, v7, v6, v5
	scratch_store_b64 off, v[8:9], s32 offset:800 ; 8-byte Folded Spill
.LBB287_2568:                           ;   in Loop: Header=BB287_2082 Depth=1
	s_or_b32 exec_lo, exec_lo, s2
.LBB287_2569:                           ;   in Loop: Header=BB287_2082 Depth=1
	s_delay_alu instid0(SALU_CYCLE_1)
	s_or_b32 exec_lo, exec_lo, s1
.LBB287_2570:                           ;   in Loop: Header=BB287_2082 Depth=1
	s_delay_alu instid0(SALU_CYCLE_1) | instskip(SKIP_2) | instid1(VALU_DEP_1)
	s_or_b32 exec_lo, exec_lo, s0
	v_lshrrev_b16 v5, 8, v4
	s_mov_b32 s0, exec_lo
	v_cmpx_ne_u16_e32 0, v5
	s_cbranch_execz .LBB287_2578
; %bb.2571:                             ;   in Loop: Header=BB287_2082 Depth=1
	v_dual_mov_b32 v6, s8 :: v_dual_mov_b32 v7, s9
	s_mov_b32 s1, exec_lo
	scratch_store_b64 off, v[6:7], s32 offset:792 ; 8-byte Folded Spill
	v_cmpx_ne_u16_e32 0x80, v5
	s_cbranch_execz .LBB287_2577
; %bb.2572:                             ;   in Loop: Header=BB287_2082 Depth=1
	s_mov_b32 s12, s8
	v_and_b32_e32 v5, 0xffff, v5
	v_dual_mov_b32 v7, s12 :: v_dual_mov_b32 v8, s13
	s_mov_b32 s2, exec_lo
	s_delay_alu instid0(VALU_DEP_2)
	v_and_b32_e32 v6, 0x7f, v5
	scratch_store_b64 off, v[7:8], s32 offset:792 ; 8-byte Folded Spill
	v_cmpx_ne_u32_e32 0x7f, v6
	s_cbranch_execz .LBB287_2576
; %bb.2573:                             ;   in Loop: Header=BB287_2082 Depth=1
	v_and_b32_e32 v8, 7, v5
	v_lshrrev_b32_e32 v5, 3, v6
	s_mov_b32 s3, exec_lo
	v_cmpx_gt_u32_e32 8, v6
; %bb.2574:                             ;   in Loop: Header=BB287_2082 Depth=1
	s_delay_alu instid0(VALU_DEP_3) | instskip(NEXT) | instid1(VALU_DEP_1)
	v_clz_i32_u32_e32 v5, v8
	v_min_u32_e32 v5, 32, v5
	s_delay_alu instid0(VALU_DEP_1) | instskip(SKIP_1) | instid1(VALU_DEP_2)
	v_subrev_nc_u32_e32 v6, 28, v5
	v_sub_nc_u32_e32 v5, 29, v5
	v_lshlrev_b64 v[6:7], v6, v[8:9]
	s_delay_alu instid0(VALU_DEP_1)
	v_and_b32_e32 v8, 7, v6
; %bb.2575:                             ;   in Loop: Header=BB287_2082 Depth=1
	s_or_b32 exec_lo, exec_lo, s3
	v_lshlrev_b32_e32 v6, 16, v4
	s_delay_alu instid0(VALU_DEP_2) | instskip(SKIP_1) | instid1(VALU_DEP_3)
	v_lshlrev_b32_e32 v7, 20, v8
	v_lshl_add_u32 v5, v5, 23, 0x3c000000
	v_and_b32_e32 v6, 0x80000000, v6
	s_delay_alu instid0(VALU_DEP_1)
	v_or3_b32 v6, v7, v6, v5
	v_mov_b32_e32 v5, v9
	scratch_store_b64 off, v[5:6], s32 offset:792 ; 8-byte Folded Spill
.LBB287_2576:                           ;   in Loop: Header=BB287_2082 Depth=1
	s_or_b32 exec_lo, exec_lo, s2
.LBB287_2577:                           ;   in Loop: Header=BB287_2082 Depth=1
	s_delay_alu instid0(SALU_CYCLE_1)
	s_or_b32 exec_lo, exec_lo, s1
.LBB287_2578:                           ;   in Loop: Header=BB287_2082 Depth=1
	s_delay_alu instid0(SALU_CYCLE_1)
	s_or_b32 exec_lo, exec_lo, s0
	v_lshrrev_b32_e32 v5, 16, v4
	v_mov_b32_e32 v7, 0
	v_mov_b32_e32 v8, 0
	s_mov_b32 s0, exec_lo
	s_clause 0x1
	scratch_store_b64 off, v[7:8], s32 offset:808
	scratch_store_b64 off, v[7:8], s32 offset:816
	v_and_b32_e32 v6, 0xff, v5
	s_delay_alu instid0(VALU_DEP_1)
	v_cmpx_ne_u16_e32 0, v6
	s_cbranch_execz .LBB287_2586
; %bb.2579:                             ;   in Loop: Header=BB287_2082 Depth=1
	v_cmp_ne_u16_e32 vcc_lo, 0x80, v6
	v_bfrev_b32_e32 v6, 1
	v_mov_b32_e32 v7, 0
	scratch_store_b64 off, v[6:7], s32 offset:816 ; 8-byte Folded Spill
	s_and_saveexec_b32 s1, vcc_lo
	s_cbranch_execz .LBB287_2585
; %bb.2580:                             ;   in Loop: Header=BB287_2082 Depth=1
	v_mov_b32_e32 v10, 0x7f800001
	v_bfe_u32 v7, v4, 16, 7
	v_mov_b32_e32 v11, 0
	s_mov_b32 s2, exec_lo
	scratch_store_b64 off, v[10:11], s32 offset:816 ; 8-byte Folded Spill
	v_cmpx_ne_u32_e32 0x7f, v7
	s_cbranch_execz .LBB287_2584
; %bb.2581:                             ;   in Loop: Header=BB287_2082 Depth=1
	v_and_b32_e32 v8, 7, v5
	v_lshrrev_b32_e32 v6, 3, v7
	s_mov_b32 s3, exec_lo
	v_cmpx_gt_u32_e32 8, v7
; %bb.2582:                             ;   in Loop: Header=BB287_2082 Depth=1
	s_delay_alu instid0(VALU_DEP_3) | instskip(NEXT) | instid1(VALU_DEP_1)
	v_clz_i32_u32_e32 v6, v8
	v_min_u32_e32 v6, 32, v6
	s_delay_alu instid0(VALU_DEP_1) | instskip(SKIP_1) | instid1(VALU_DEP_2)
	v_subrev_nc_u32_e32 v7, 28, v6
	v_sub_nc_u32_e32 v6, 29, v6
	v_lshlrev_b64 v[7:8], v7, v[8:9]
	s_delay_alu instid0(VALU_DEP_1)
	v_and_b32_e32 v8, 7, v7
; %bb.2583:                             ;   in Loop: Header=BB287_2082 Depth=1
	s_or_b32 exec_lo, exec_lo, s3
	v_lshlrev_b32_e32 v5, 24, v5
	s_delay_alu instid0(VALU_DEP_2) | instskip(SKIP_1) | instid1(VALU_DEP_3)
	v_lshlrev_b32_e32 v7, 20, v8
	v_lshl_add_u32 v6, v6, 23, 0x3c000000
	v_and_b32_e32 v5, 0x80000000, v5
	s_delay_alu instid0(VALU_DEP_1)
	v_or3_b32 v8, v7, v5, v6
	scratch_store_b64 off, v[8:9], s32 offset:816 ; 8-byte Folded Spill
.LBB287_2584:                           ;   in Loop: Header=BB287_2082 Depth=1
	s_or_b32 exec_lo, exec_lo, s2
.LBB287_2585:                           ;   in Loop: Header=BB287_2082 Depth=1
	s_delay_alu instid0(SALU_CYCLE_1)
	s_or_b32 exec_lo, exec_lo, s1
.LBB287_2586:                           ;   in Loop: Header=BB287_2082 Depth=1
	s_delay_alu instid0(SALU_CYCLE_1) | instskip(NEXT) | instid1(SALU_CYCLE_1)
	s_or_b32 exec_lo, exec_lo, s0
	s_mov_b32 s0, exec_lo
	v_cmpx_lt_u32_e32 0xffffff, v4
	s_cbranch_execz .LBB287_2594
; %bb.2587:                             ;   in Loop: Header=BB287_2082 Depth=1
	v_lshrrev_b32_e32 v5, 24, v4
	v_dual_mov_b32 v6, s8 :: v_dual_mov_b32 v7, s9
	s_mov_b32 s1, exec_lo
	scratch_store_b64 off, v[6:7], s32 offset:808 ; 8-byte Folded Spill
	v_cmpx_ne_u32_e32 0x80, v5
	s_cbranch_execz .LBB287_2593
; %bb.2588:                             ;   in Loop: Header=BB287_2082 Depth=1
	s_mov_b32 s12, s8
	v_bfe_u32 v6, v4, 24, 7
	v_dual_mov_b32 v7, s12 :: v_dual_mov_b32 v8, s13
	s_mov_b32 s2, exec_lo
	scratch_store_b64 off, v[7:8], s32 offset:808 ; 8-byte Folded Spill
	v_cmpx_ne_u32_e32 0x7f, v6
	s_cbranch_execz .LBB287_2592
; %bb.2589:                             ;   in Loop: Header=BB287_2082 Depth=1
	v_and_b32_e32 v8, 7, v5
	v_lshrrev_b32_e32 v4, 3, v6
	s_mov_b32 s3, exec_lo
	v_cmpx_gt_u32_e32 8, v6
; %bb.2590:                             ;   in Loop: Header=BB287_2082 Depth=1
	s_delay_alu instid0(VALU_DEP_3) | instskip(NEXT) | instid1(VALU_DEP_1)
	v_clz_i32_u32_e32 v4, v8
	v_min_u32_e32 v4, 32, v4
	s_delay_alu instid0(VALU_DEP_1) | instskip(SKIP_1) | instid1(VALU_DEP_2)
	v_subrev_nc_u32_e32 v6, 28, v4
	v_sub_nc_u32_e32 v4, 29, v4
	v_lshlrev_b64 v[6:7], v6, v[8:9]
	s_delay_alu instid0(VALU_DEP_1)
	v_and_b32_e32 v8, 7, v6
; %bb.2591:                             ;   in Loop: Header=BB287_2082 Depth=1
	s_or_b32 exec_lo, exec_lo, s3
	v_lshlrev_b32_e32 v5, 24, v5
	s_delay_alu instid0(VALU_DEP_2) | instskip(SKIP_1) | instid1(VALU_DEP_3)
	v_lshlrev_b32_e32 v6, 20, v8
	v_lshl_add_u32 v4, v4, 23, 0x3c000000
	v_and_b32_e32 v5, 0x80000000, v5
	s_delay_alu instid0(VALU_DEP_1)
	v_or3_b32 v5, v6, v5, v4
	v_mov_b32_e32 v4, v9
	scratch_store_b64 off, v[4:5], s32 offset:808 ; 8-byte Folded Spill
.LBB287_2592:                           ;   in Loop: Header=BB287_2082 Depth=1
	s_or_b32 exec_lo, exec_lo, s2
.LBB287_2593:                           ;   in Loop: Header=BB287_2082 Depth=1
	s_delay_alu instid0(SALU_CYCLE_1)
	s_or_b32 exec_lo, exec_lo, s1
.LBB287_2594:                           ;   in Loop: Header=BB287_2082 Depth=1
	s_delay_alu instid0(SALU_CYCLE_1)
	s_or_b32 exec_lo, exec_lo, s0
	flat_load_b32 v4, v[34:35] offset:2048
	v_mov_b32_e32 v6, 0
	v_mov_b32_e32 v7, 0
	s_mov_b32 s0, exec_lo
	s_clause 0x1
	scratch_store_b64 off, v[6:7], s32 offset:824
	scratch_store_b64 off, v[6:7], s32 offset:832
	s_waitcnt vmcnt(0) lgkmcnt(0)
	v_and_b32_e32 v5, 0xff, v4
	s_delay_alu instid0(VALU_DEP_1)
	v_cmpx_ne_u16_e32 0, v5
	s_cbranch_execz .LBB287_2602
; %bb.2595:                             ;   in Loop: Header=BB287_2082 Depth=1
	v_cmp_ne_u16_e32 vcc_lo, 0x80, v5
	v_bfrev_b32_e32 v5, 1
	v_mov_b32_e32 v6, 0
	scratch_store_b64 off, v[5:6], s32 offset:832 ; 8-byte Folded Spill
	s_and_saveexec_b32 s1, vcc_lo
	s_cbranch_execz .LBB287_2601
; %bb.2596:                             ;   in Loop: Header=BB287_2082 Depth=1
	v_mov_b32_e32 v7, 0x7f800001
	v_and_b32_e32 v6, 0x7f, v4
	v_mov_b32_e32 v8, 0
	s_mov_b32 s2, exec_lo
	scratch_store_b64 off, v[7:8], s32 offset:832 ; 8-byte Folded Spill
	v_cmpx_ne_u32_e32 0x7f, v6
	s_cbranch_execz .LBB287_2600
; %bb.2597:                             ;   in Loop: Header=BB287_2082 Depth=1
	v_and_b32_e32 v8, 7, v4
	v_lshrrev_b32_e32 v5, 3, v6
	s_mov_b32 s3, exec_lo
	v_cmpx_gt_u32_e32 8, v6
; %bb.2598:                             ;   in Loop: Header=BB287_2082 Depth=1
	s_delay_alu instid0(VALU_DEP_3) | instskip(NEXT) | instid1(VALU_DEP_1)
	v_clz_i32_u32_e32 v5, v8
	v_min_u32_e32 v5, 32, v5
	s_delay_alu instid0(VALU_DEP_1) | instskip(SKIP_1) | instid1(VALU_DEP_2)
	v_subrev_nc_u32_e32 v6, 28, v5
	v_sub_nc_u32_e32 v5, 29, v5
	v_lshlrev_b64 v[6:7], v6, v[8:9]
	s_delay_alu instid0(VALU_DEP_1)
	v_and_b32_e32 v8, 7, v6
; %bb.2599:                             ;   in Loop: Header=BB287_2082 Depth=1
	s_or_b32 exec_lo, exec_lo, s3
	v_lshlrev_b32_e32 v6, 24, v4
	s_delay_alu instid0(VALU_DEP_2) | instskip(SKIP_1) | instid1(VALU_DEP_3)
	v_lshlrev_b32_e32 v7, 20, v8
	v_lshl_add_u32 v5, v5, 23, 0x3c000000
	v_and_b32_e32 v6, 0x80000000, v6
	s_delay_alu instid0(VALU_DEP_1)
	v_or3_b32 v8, v7, v6, v5
	scratch_store_b64 off, v[8:9], s32 offset:832 ; 8-byte Folded Spill
.LBB287_2600:                           ;   in Loop: Header=BB287_2082 Depth=1
	s_or_b32 exec_lo, exec_lo, s2
.LBB287_2601:                           ;   in Loop: Header=BB287_2082 Depth=1
	s_delay_alu instid0(SALU_CYCLE_1)
	s_or_b32 exec_lo, exec_lo, s1
.LBB287_2602:                           ;   in Loop: Header=BB287_2082 Depth=1
	s_delay_alu instid0(SALU_CYCLE_1) | instskip(SKIP_2) | instid1(VALU_DEP_1)
	s_or_b32 exec_lo, exec_lo, s0
	v_lshrrev_b16 v5, 8, v4
	s_mov_b32 s0, exec_lo
	v_cmpx_ne_u16_e32 0, v5
	s_cbranch_execz .LBB287_2610
; %bb.2603:                             ;   in Loop: Header=BB287_2082 Depth=1
	v_dual_mov_b32 v6, s8 :: v_dual_mov_b32 v7, s9
	s_mov_b32 s1, exec_lo
	scratch_store_b64 off, v[6:7], s32 offset:824 ; 8-byte Folded Spill
	v_cmpx_ne_u16_e32 0x80, v5
	s_cbranch_execz .LBB287_2609
; %bb.2604:                             ;   in Loop: Header=BB287_2082 Depth=1
	s_mov_b32 s12, s8
	v_and_b32_e32 v5, 0xffff, v5
	v_dual_mov_b32 v7, s12 :: v_dual_mov_b32 v8, s13
	s_mov_b32 s2, exec_lo
	s_delay_alu instid0(VALU_DEP_2)
	v_and_b32_e32 v6, 0x7f, v5
	scratch_store_b64 off, v[7:8], s32 offset:824 ; 8-byte Folded Spill
	v_cmpx_ne_u32_e32 0x7f, v6
	s_cbranch_execz .LBB287_2608
; %bb.2605:                             ;   in Loop: Header=BB287_2082 Depth=1
	v_and_b32_e32 v8, 7, v5
	v_lshrrev_b32_e32 v5, 3, v6
	s_mov_b32 s3, exec_lo
	v_cmpx_gt_u32_e32 8, v6
; %bb.2606:                             ;   in Loop: Header=BB287_2082 Depth=1
	s_delay_alu instid0(VALU_DEP_3) | instskip(NEXT) | instid1(VALU_DEP_1)
	v_clz_i32_u32_e32 v5, v8
	v_min_u32_e32 v5, 32, v5
	s_delay_alu instid0(VALU_DEP_1) | instskip(SKIP_1) | instid1(VALU_DEP_2)
	v_subrev_nc_u32_e32 v6, 28, v5
	v_sub_nc_u32_e32 v5, 29, v5
	v_lshlrev_b64 v[6:7], v6, v[8:9]
	s_delay_alu instid0(VALU_DEP_1)
	v_and_b32_e32 v8, 7, v6
; %bb.2607:                             ;   in Loop: Header=BB287_2082 Depth=1
	s_or_b32 exec_lo, exec_lo, s3
	v_lshlrev_b32_e32 v6, 16, v4
	s_delay_alu instid0(VALU_DEP_2) | instskip(SKIP_1) | instid1(VALU_DEP_3)
	v_lshlrev_b32_e32 v7, 20, v8
	v_lshl_add_u32 v5, v5, 23, 0x3c000000
	v_and_b32_e32 v6, 0x80000000, v6
	s_delay_alu instid0(VALU_DEP_1)
	v_or3_b32 v6, v7, v6, v5
	v_mov_b32_e32 v5, v9
	scratch_store_b64 off, v[5:6], s32 offset:824 ; 8-byte Folded Spill
.LBB287_2608:                           ;   in Loop: Header=BB287_2082 Depth=1
	s_or_b32 exec_lo, exec_lo, s2
.LBB287_2609:                           ;   in Loop: Header=BB287_2082 Depth=1
	s_delay_alu instid0(SALU_CYCLE_1)
	s_or_b32 exec_lo, exec_lo, s1
.LBB287_2610:                           ;   in Loop: Header=BB287_2082 Depth=1
	s_delay_alu instid0(SALU_CYCLE_1)
	s_or_b32 exec_lo, exec_lo, s0
	v_lshrrev_b32_e32 v5, 16, v4
	v_mov_b32_e32 v7, 0
	v_mov_b32_e32 v8, 0
	s_mov_b32 s0, exec_lo
	s_clause 0x1
	scratch_store_b64 off, v[7:8], s32 offset:840
	scratch_store_b64 off, v[7:8], s32 offset:848
	v_and_b32_e32 v6, 0xff, v5
	s_delay_alu instid0(VALU_DEP_1)
	v_cmpx_ne_u16_e32 0, v6
	s_cbranch_execz .LBB287_2618
; %bb.2611:                             ;   in Loop: Header=BB287_2082 Depth=1
	v_cmp_ne_u16_e32 vcc_lo, 0x80, v6
	v_bfrev_b32_e32 v6, 1
	v_mov_b32_e32 v7, 0
	scratch_store_b64 off, v[6:7], s32 offset:848 ; 8-byte Folded Spill
	s_and_saveexec_b32 s1, vcc_lo
	s_cbranch_execz .LBB287_2617
; %bb.2612:                             ;   in Loop: Header=BB287_2082 Depth=1
	v_mov_b32_e32 v10, 0x7f800001
	v_bfe_u32 v7, v4, 16, 7
	v_mov_b32_e32 v11, 0
	s_mov_b32 s2, exec_lo
	scratch_store_b64 off, v[10:11], s32 offset:848 ; 8-byte Folded Spill
	v_cmpx_ne_u32_e32 0x7f, v7
	s_cbranch_execz .LBB287_2616
; %bb.2613:                             ;   in Loop: Header=BB287_2082 Depth=1
	v_and_b32_e32 v8, 7, v5
	v_lshrrev_b32_e32 v6, 3, v7
	s_mov_b32 s3, exec_lo
	v_cmpx_gt_u32_e32 8, v7
; %bb.2614:                             ;   in Loop: Header=BB287_2082 Depth=1
	s_delay_alu instid0(VALU_DEP_3) | instskip(NEXT) | instid1(VALU_DEP_1)
	v_clz_i32_u32_e32 v6, v8
	v_min_u32_e32 v6, 32, v6
	s_delay_alu instid0(VALU_DEP_1) | instskip(SKIP_1) | instid1(VALU_DEP_2)
	v_subrev_nc_u32_e32 v7, 28, v6
	v_sub_nc_u32_e32 v6, 29, v6
	v_lshlrev_b64 v[7:8], v7, v[8:9]
	s_delay_alu instid0(VALU_DEP_1)
	v_and_b32_e32 v8, 7, v7
; %bb.2615:                             ;   in Loop: Header=BB287_2082 Depth=1
	s_or_b32 exec_lo, exec_lo, s3
	v_lshlrev_b32_e32 v5, 24, v5
	s_delay_alu instid0(VALU_DEP_2) | instskip(SKIP_1) | instid1(VALU_DEP_3)
	v_lshlrev_b32_e32 v7, 20, v8
	v_lshl_add_u32 v6, v6, 23, 0x3c000000
	v_and_b32_e32 v5, 0x80000000, v5
	s_delay_alu instid0(VALU_DEP_1)
	v_or3_b32 v8, v7, v5, v6
	scratch_store_b64 off, v[8:9], s32 offset:848 ; 8-byte Folded Spill
.LBB287_2616:                           ;   in Loop: Header=BB287_2082 Depth=1
	s_or_b32 exec_lo, exec_lo, s2
.LBB287_2617:                           ;   in Loop: Header=BB287_2082 Depth=1
	s_delay_alu instid0(SALU_CYCLE_1)
	s_or_b32 exec_lo, exec_lo, s1
.LBB287_2618:                           ;   in Loop: Header=BB287_2082 Depth=1
	s_delay_alu instid0(SALU_CYCLE_1) | instskip(NEXT) | instid1(SALU_CYCLE_1)
	s_or_b32 exec_lo, exec_lo, s0
	s_mov_b32 s0, exec_lo
	v_cmpx_lt_u32_e32 0xffffff, v4
	s_cbranch_execz .LBB287_2626
; %bb.2619:                             ;   in Loop: Header=BB287_2082 Depth=1
	v_lshrrev_b32_e32 v5, 24, v4
	v_dual_mov_b32 v6, s8 :: v_dual_mov_b32 v7, s9
	s_mov_b32 s1, exec_lo
	scratch_store_b64 off, v[6:7], s32 offset:840 ; 8-byte Folded Spill
	v_cmpx_ne_u32_e32 0x80, v5
	s_cbranch_execz .LBB287_2625
; %bb.2620:                             ;   in Loop: Header=BB287_2082 Depth=1
	s_mov_b32 s12, s8
	v_bfe_u32 v6, v4, 24, 7
	v_dual_mov_b32 v7, s12 :: v_dual_mov_b32 v8, s13
	s_mov_b32 s2, exec_lo
	scratch_store_b64 off, v[7:8], s32 offset:840 ; 8-byte Folded Spill
	v_cmpx_ne_u32_e32 0x7f, v6
	s_cbranch_execz .LBB287_2624
; %bb.2621:                             ;   in Loop: Header=BB287_2082 Depth=1
	v_and_b32_e32 v8, 7, v5
	v_lshrrev_b32_e32 v4, 3, v6
	s_mov_b32 s3, exec_lo
	v_cmpx_gt_u32_e32 8, v6
; %bb.2622:                             ;   in Loop: Header=BB287_2082 Depth=1
	s_delay_alu instid0(VALU_DEP_3) | instskip(NEXT) | instid1(VALU_DEP_1)
	v_clz_i32_u32_e32 v4, v8
	v_min_u32_e32 v4, 32, v4
	s_delay_alu instid0(VALU_DEP_1) | instskip(SKIP_1) | instid1(VALU_DEP_2)
	v_subrev_nc_u32_e32 v6, 28, v4
	v_sub_nc_u32_e32 v4, 29, v4
	v_lshlrev_b64 v[6:7], v6, v[8:9]
	s_delay_alu instid0(VALU_DEP_1)
	v_and_b32_e32 v8, 7, v6
; %bb.2623:                             ;   in Loop: Header=BB287_2082 Depth=1
	s_or_b32 exec_lo, exec_lo, s3
	v_lshlrev_b32_e32 v5, 24, v5
	s_delay_alu instid0(VALU_DEP_2) | instskip(SKIP_1) | instid1(VALU_DEP_3)
	v_lshlrev_b32_e32 v6, 20, v8
	v_lshl_add_u32 v4, v4, 23, 0x3c000000
	v_and_b32_e32 v5, 0x80000000, v5
	s_delay_alu instid0(VALU_DEP_1)
	v_or3_b32 v5, v6, v5, v4
	v_mov_b32_e32 v4, v9
	scratch_store_b64 off, v[4:5], s32 offset:840 ; 8-byte Folded Spill
.LBB287_2624:                           ;   in Loop: Header=BB287_2082 Depth=1
	s_or_b32 exec_lo, exec_lo, s2
.LBB287_2625:                           ;   in Loop: Header=BB287_2082 Depth=1
	s_delay_alu instid0(SALU_CYCLE_1)
	s_or_b32 exec_lo, exec_lo, s1
.LBB287_2626:                           ;   in Loop: Header=BB287_2082 Depth=1
	s_delay_alu instid0(SALU_CYCLE_1)
	s_or_b32 exec_lo, exec_lo, s0
	flat_load_b32 v4, v[34:35] offset:2176
	v_mov_b32_e32 v6, 0
	v_mov_b32_e32 v7, 0
	s_mov_b32 s0, exec_lo
	s_clause 0x1
	scratch_store_b64 off, v[6:7], s32 offset:856
	scratch_store_b64 off, v[6:7], s32 offset:864
	s_waitcnt vmcnt(0) lgkmcnt(0)
	v_and_b32_e32 v5, 0xff, v4
	s_delay_alu instid0(VALU_DEP_1)
	v_cmpx_ne_u16_e32 0, v5
	s_cbranch_execz .LBB287_2634
; %bb.2627:                             ;   in Loop: Header=BB287_2082 Depth=1
	v_cmp_ne_u16_e32 vcc_lo, 0x80, v5
	v_bfrev_b32_e32 v5, 1
	v_mov_b32_e32 v6, 0
	scratch_store_b64 off, v[5:6], s32 offset:864 ; 8-byte Folded Spill
	s_and_saveexec_b32 s1, vcc_lo
	s_cbranch_execz .LBB287_2633
; %bb.2628:                             ;   in Loop: Header=BB287_2082 Depth=1
	v_mov_b32_e32 v7, 0x7f800001
	v_and_b32_e32 v6, 0x7f, v4
	v_mov_b32_e32 v8, 0
	s_mov_b32 s2, exec_lo
	scratch_store_b64 off, v[7:8], s32 offset:864 ; 8-byte Folded Spill
	v_cmpx_ne_u32_e32 0x7f, v6
	s_cbranch_execz .LBB287_2632
; %bb.2629:                             ;   in Loop: Header=BB287_2082 Depth=1
	v_and_b32_e32 v8, 7, v4
	v_lshrrev_b32_e32 v5, 3, v6
	s_mov_b32 s3, exec_lo
	v_cmpx_gt_u32_e32 8, v6
; %bb.2630:                             ;   in Loop: Header=BB287_2082 Depth=1
	s_delay_alu instid0(VALU_DEP_3) | instskip(NEXT) | instid1(VALU_DEP_1)
	v_clz_i32_u32_e32 v5, v8
	v_min_u32_e32 v5, 32, v5
	s_delay_alu instid0(VALU_DEP_1) | instskip(SKIP_1) | instid1(VALU_DEP_2)
	v_subrev_nc_u32_e32 v6, 28, v5
	v_sub_nc_u32_e32 v5, 29, v5
	v_lshlrev_b64 v[6:7], v6, v[8:9]
	s_delay_alu instid0(VALU_DEP_1)
	v_and_b32_e32 v8, 7, v6
; %bb.2631:                             ;   in Loop: Header=BB287_2082 Depth=1
	s_or_b32 exec_lo, exec_lo, s3
	v_lshlrev_b32_e32 v6, 24, v4
	s_delay_alu instid0(VALU_DEP_2) | instskip(SKIP_1) | instid1(VALU_DEP_3)
	v_lshlrev_b32_e32 v7, 20, v8
	v_lshl_add_u32 v5, v5, 23, 0x3c000000
	v_and_b32_e32 v6, 0x80000000, v6
	s_delay_alu instid0(VALU_DEP_1)
	v_or3_b32 v8, v7, v6, v5
	scratch_store_b64 off, v[8:9], s32 offset:864 ; 8-byte Folded Spill
.LBB287_2632:                           ;   in Loop: Header=BB287_2082 Depth=1
	s_or_b32 exec_lo, exec_lo, s2
.LBB287_2633:                           ;   in Loop: Header=BB287_2082 Depth=1
	s_delay_alu instid0(SALU_CYCLE_1)
	s_or_b32 exec_lo, exec_lo, s1
.LBB287_2634:                           ;   in Loop: Header=BB287_2082 Depth=1
	s_delay_alu instid0(SALU_CYCLE_1) | instskip(SKIP_2) | instid1(VALU_DEP_1)
	s_or_b32 exec_lo, exec_lo, s0
	v_lshrrev_b16 v5, 8, v4
	s_mov_b32 s0, exec_lo
	v_cmpx_ne_u16_e32 0, v5
	s_cbranch_execz .LBB287_2642
; %bb.2635:                             ;   in Loop: Header=BB287_2082 Depth=1
	v_dual_mov_b32 v6, s8 :: v_dual_mov_b32 v7, s9
	s_mov_b32 s1, exec_lo
	scratch_store_b64 off, v[6:7], s32 offset:856 ; 8-byte Folded Spill
	v_cmpx_ne_u16_e32 0x80, v5
	s_cbranch_execz .LBB287_2641
; %bb.2636:                             ;   in Loop: Header=BB287_2082 Depth=1
	s_mov_b32 s12, s8
	v_and_b32_e32 v5, 0xffff, v5
	v_dual_mov_b32 v7, s12 :: v_dual_mov_b32 v8, s13
	s_mov_b32 s2, exec_lo
	s_delay_alu instid0(VALU_DEP_2)
	v_and_b32_e32 v6, 0x7f, v5
	scratch_store_b64 off, v[7:8], s32 offset:856 ; 8-byte Folded Spill
	v_cmpx_ne_u32_e32 0x7f, v6
	s_cbranch_execz .LBB287_2640
; %bb.2637:                             ;   in Loop: Header=BB287_2082 Depth=1
	v_and_b32_e32 v8, 7, v5
	v_lshrrev_b32_e32 v5, 3, v6
	s_mov_b32 s3, exec_lo
	v_cmpx_gt_u32_e32 8, v6
; %bb.2638:                             ;   in Loop: Header=BB287_2082 Depth=1
	s_delay_alu instid0(VALU_DEP_3) | instskip(NEXT) | instid1(VALU_DEP_1)
	v_clz_i32_u32_e32 v5, v8
	v_min_u32_e32 v5, 32, v5
	s_delay_alu instid0(VALU_DEP_1) | instskip(SKIP_1) | instid1(VALU_DEP_2)
	v_subrev_nc_u32_e32 v6, 28, v5
	v_sub_nc_u32_e32 v5, 29, v5
	v_lshlrev_b64 v[6:7], v6, v[8:9]
	s_delay_alu instid0(VALU_DEP_1)
	v_and_b32_e32 v8, 7, v6
; %bb.2639:                             ;   in Loop: Header=BB287_2082 Depth=1
	s_or_b32 exec_lo, exec_lo, s3
	v_lshlrev_b32_e32 v6, 16, v4
	s_delay_alu instid0(VALU_DEP_2) | instskip(SKIP_1) | instid1(VALU_DEP_3)
	v_lshlrev_b32_e32 v7, 20, v8
	v_lshl_add_u32 v5, v5, 23, 0x3c000000
	v_and_b32_e32 v6, 0x80000000, v6
	s_delay_alu instid0(VALU_DEP_1)
	v_or3_b32 v6, v7, v6, v5
	v_mov_b32_e32 v5, v9
	scratch_store_b64 off, v[5:6], s32 offset:856 ; 8-byte Folded Spill
.LBB287_2640:                           ;   in Loop: Header=BB287_2082 Depth=1
	s_or_b32 exec_lo, exec_lo, s2
.LBB287_2641:                           ;   in Loop: Header=BB287_2082 Depth=1
	s_delay_alu instid0(SALU_CYCLE_1)
	s_or_b32 exec_lo, exec_lo, s1
.LBB287_2642:                           ;   in Loop: Header=BB287_2082 Depth=1
	s_delay_alu instid0(SALU_CYCLE_1)
	s_or_b32 exec_lo, exec_lo, s0
	v_lshrrev_b32_e32 v5, 16, v4
	v_mov_b32_e32 v7, 0
	v_mov_b32_e32 v8, 0
	s_mov_b32 s0, exec_lo
	s_clause 0x1
	scratch_store_b64 off, v[7:8], s32 offset:872
	scratch_store_b64 off, v[7:8], s32 offset:880
	v_and_b32_e32 v6, 0xff, v5
	s_delay_alu instid0(VALU_DEP_1)
	v_cmpx_ne_u16_e32 0, v6
	s_cbranch_execz .LBB287_2650
; %bb.2643:                             ;   in Loop: Header=BB287_2082 Depth=1
	v_cmp_ne_u16_e32 vcc_lo, 0x80, v6
	v_bfrev_b32_e32 v6, 1
	v_mov_b32_e32 v7, 0
	scratch_store_b64 off, v[6:7], s32 offset:880 ; 8-byte Folded Spill
	s_and_saveexec_b32 s1, vcc_lo
	s_cbranch_execz .LBB287_2649
; %bb.2644:                             ;   in Loop: Header=BB287_2082 Depth=1
	v_mov_b32_e32 v10, 0x7f800001
	v_bfe_u32 v7, v4, 16, 7
	v_mov_b32_e32 v11, 0
	s_mov_b32 s2, exec_lo
	scratch_store_b64 off, v[10:11], s32 offset:880 ; 8-byte Folded Spill
	v_cmpx_ne_u32_e32 0x7f, v7
	s_cbranch_execz .LBB287_2648
; %bb.2645:                             ;   in Loop: Header=BB287_2082 Depth=1
	v_and_b32_e32 v8, 7, v5
	v_lshrrev_b32_e32 v6, 3, v7
	s_mov_b32 s3, exec_lo
	v_cmpx_gt_u32_e32 8, v7
; %bb.2646:                             ;   in Loop: Header=BB287_2082 Depth=1
	s_delay_alu instid0(VALU_DEP_3) | instskip(NEXT) | instid1(VALU_DEP_1)
	v_clz_i32_u32_e32 v6, v8
	v_min_u32_e32 v6, 32, v6
	s_delay_alu instid0(VALU_DEP_1) | instskip(SKIP_1) | instid1(VALU_DEP_2)
	v_subrev_nc_u32_e32 v7, 28, v6
	v_sub_nc_u32_e32 v6, 29, v6
	v_lshlrev_b64 v[7:8], v7, v[8:9]
	s_delay_alu instid0(VALU_DEP_1)
	v_and_b32_e32 v8, 7, v7
; %bb.2647:                             ;   in Loop: Header=BB287_2082 Depth=1
	s_or_b32 exec_lo, exec_lo, s3
	v_lshlrev_b32_e32 v5, 24, v5
	s_delay_alu instid0(VALU_DEP_2) | instskip(SKIP_1) | instid1(VALU_DEP_3)
	v_lshlrev_b32_e32 v7, 20, v8
	v_lshl_add_u32 v6, v6, 23, 0x3c000000
	v_and_b32_e32 v5, 0x80000000, v5
	s_delay_alu instid0(VALU_DEP_1)
	v_or3_b32 v8, v7, v5, v6
	scratch_store_b64 off, v[8:9], s32 offset:880 ; 8-byte Folded Spill
.LBB287_2648:                           ;   in Loop: Header=BB287_2082 Depth=1
	s_or_b32 exec_lo, exec_lo, s2
.LBB287_2649:                           ;   in Loop: Header=BB287_2082 Depth=1
	s_delay_alu instid0(SALU_CYCLE_1)
	s_or_b32 exec_lo, exec_lo, s1
.LBB287_2650:                           ;   in Loop: Header=BB287_2082 Depth=1
	s_delay_alu instid0(SALU_CYCLE_1) | instskip(NEXT) | instid1(SALU_CYCLE_1)
	s_or_b32 exec_lo, exec_lo, s0
	s_mov_b32 s0, exec_lo
	v_cmpx_lt_u32_e32 0xffffff, v4
	s_cbranch_execz .LBB287_2658
; %bb.2651:                             ;   in Loop: Header=BB287_2082 Depth=1
	v_lshrrev_b32_e32 v5, 24, v4
	v_dual_mov_b32 v6, s8 :: v_dual_mov_b32 v7, s9
	s_mov_b32 s1, exec_lo
	scratch_store_b64 off, v[6:7], s32 offset:872 ; 8-byte Folded Spill
	v_cmpx_ne_u32_e32 0x80, v5
	s_cbranch_execz .LBB287_2657
; %bb.2652:                             ;   in Loop: Header=BB287_2082 Depth=1
	s_mov_b32 s12, s8
	v_bfe_u32 v6, v4, 24, 7
	v_dual_mov_b32 v7, s12 :: v_dual_mov_b32 v8, s13
	s_mov_b32 s2, exec_lo
	scratch_store_b64 off, v[7:8], s32 offset:872 ; 8-byte Folded Spill
	v_cmpx_ne_u32_e32 0x7f, v6
	s_cbranch_execz .LBB287_2656
; %bb.2653:                             ;   in Loop: Header=BB287_2082 Depth=1
	v_and_b32_e32 v8, 7, v5
	v_lshrrev_b32_e32 v4, 3, v6
	s_mov_b32 s3, exec_lo
	v_cmpx_gt_u32_e32 8, v6
; %bb.2654:                             ;   in Loop: Header=BB287_2082 Depth=1
	s_delay_alu instid0(VALU_DEP_3) | instskip(NEXT) | instid1(VALU_DEP_1)
	v_clz_i32_u32_e32 v4, v8
	v_min_u32_e32 v4, 32, v4
	s_delay_alu instid0(VALU_DEP_1) | instskip(SKIP_1) | instid1(VALU_DEP_2)
	v_subrev_nc_u32_e32 v6, 28, v4
	v_sub_nc_u32_e32 v4, 29, v4
	v_lshlrev_b64 v[6:7], v6, v[8:9]
	s_delay_alu instid0(VALU_DEP_1)
	v_and_b32_e32 v8, 7, v6
; %bb.2655:                             ;   in Loop: Header=BB287_2082 Depth=1
	s_or_b32 exec_lo, exec_lo, s3
	v_lshlrev_b32_e32 v5, 24, v5
	s_delay_alu instid0(VALU_DEP_2) | instskip(SKIP_1) | instid1(VALU_DEP_3)
	v_lshlrev_b32_e32 v6, 20, v8
	v_lshl_add_u32 v4, v4, 23, 0x3c000000
	v_and_b32_e32 v5, 0x80000000, v5
	s_delay_alu instid0(VALU_DEP_1)
	v_or3_b32 v5, v6, v5, v4
	v_mov_b32_e32 v4, v9
	scratch_store_b64 off, v[4:5], s32 offset:872 ; 8-byte Folded Spill
.LBB287_2656:                           ;   in Loop: Header=BB287_2082 Depth=1
	s_or_b32 exec_lo, exec_lo, s2
.LBB287_2657:                           ;   in Loop: Header=BB287_2082 Depth=1
	s_delay_alu instid0(SALU_CYCLE_1)
	s_or_b32 exec_lo, exec_lo, s1
.LBB287_2658:                           ;   in Loop: Header=BB287_2082 Depth=1
	s_delay_alu instid0(SALU_CYCLE_1)
	s_or_b32 exec_lo, exec_lo, s0
	flat_load_b32 v4, v[34:35] offset:2304
	v_mov_b32_e32 v6, 0
	v_mov_b32_e32 v7, 0
	s_mov_b32 s0, exec_lo
	s_clause 0x1
	scratch_store_b64 off, v[6:7], s32 offset:888
	scratch_store_b64 off, v[6:7], s32 offset:896
	s_waitcnt vmcnt(0) lgkmcnt(0)
	v_and_b32_e32 v5, 0xff, v4
	s_delay_alu instid0(VALU_DEP_1)
	v_cmpx_ne_u16_e32 0, v5
	s_cbranch_execz .LBB287_2666
; %bb.2659:                             ;   in Loop: Header=BB287_2082 Depth=1
	v_cmp_ne_u16_e32 vcc_lo, 0x80, v5
	v_bfrev_b32_e32 v5, 1
	v_mov_b32_e32 v6, 0
	scratch_store_b64 off, v[5:6], s32 offset:896 ; 8-byte Folded Spill
	s_and_saveexec_b32 s1, vcc_lo
	s_cbranch_execz .LBB287_2665
; %bb.2660:                             ;   in Loop: Header=BB287_2082 Depth=1
	v_mov_b32_e32 v7, 0x7f800001
	v_and_b32_e32 v6, 0x7f, v4
	v_mov_b32_e32 v8, 0
	s_mov_b32 s2, exec_lo
	scratch_store_b64 off, v[7:8], s32 offset:896 ; 8-byte Folded Spill
	v_cmpx_ne_u32_e32 0x7f, v6
	s_cbranch_execz .LBB287_2664
; %bb.2661:                             ;   in Loop: Header=BB287_2082 Depth=1
	v_and_b32_e32 v8, 7, v4
	v_lshrrev_b32_e32 v5, 3, v6
	s_mov_b32 s3, exec_lo
	v_cmpx_gt_u32_e32 8, v6
; %bb.2662:                             ;   in Loop: Header=BB287_2082 Depth=1
	s_delay_alu instid0(VALU_DEP_3) | instskip(NEXT) | instid1(VALU_DEP_1)
	v_clz_i32_u32_e32 v5, v8
	v_min_u32_e32 v5, 32, v5
	s_delay_alu instid0(VALU_DEP_1) | instskip(SKIP_1) | instid1(VALU_DEP_2)
	v_subrev_nc_u32_e32 v6, 28, v5
	v_sub_nc_u32_e32 v5, 29, v5
	v_lshlrev_b64 v[6:7], v6, v[8:9]
	s_delay_alu instid0(VALU_DEP_1)
	v_and_b32_e32 v8, 7, v6
; %bb.2663:                             ;   in Loop: Header=BB287_2082 Depth=1
	s_or_b32 exec_lo, exec_lo, s3
	v_lshlrev_b32_e32 v6, 24, v4
	s_delay_alu instid0(VALU_DEP_2) | instskip(SKIP_1) | instid1(VALU_DEP_3)
	v_lshlrev_b32_e32 v7, 20, v8
	v_lshl_add_u32 v5, v5, 23, 0x3c000000
	v_and_b32_e32 v6, 0x80000000, v6
	s_delay_alu instid0(VALU_DEP_1)
	v_or3_b32 v8, v7, v6, v5
	scratch_store_b64 off, v[8:9], s32 offset:896 ; 8-byte Folded Spill
.LBB287_2664:                           ;   in Loop: Header=BB287_2082 Depth=1
	s_or_b32 exec_lo, exec_lo, s2
.LBB287_2665:                           ;   in Loop: Header=BB287_2082 Depth=1
	s_delay_alu instid0(SALU_CYCLE_1)
	s_or_b32 exec_lo, exec_lo, s1
.LBB287_2666:                           ;   in Loop: Header=BB287_2082 Depth=1
	s_delay_alu instid0(SALU_CYCLE_1) | instskip(SKIP_2) | instid1(VALU_DEP_1)
	s_or_b32 exec_lo, exec_lo, s0
	v_lshrrev_b16 v5, 8, v4
	s_mov_b32 s0, exec_lo
	v_cmpx_ne_u16_e32 0, v5
	s_cbranch_execz .LBB287_2674
; %bb.2667:                             ;   in Loop: Header=BB287_2082 Depth=1
	v_dual_mov_b32 v6, s8 :: v_dual_mov_b32 v7, s9
	s_mov_b32 s1, exec_lo
	scratch_store_b64 off, v[6:7], s32 offset:888 ; 8-byte Folded Spill
	v_cmpx_ne_u16_e32 0x80, v5
	s_cbranch_execz .LBB287_2673
; %bb.2668:                             ;   in Loop: Header=BB287_2082 Depth=1
	s_mov_b32 s12, s8
	v_and_b32_e32 v5, 0xffff, v5
	v_dual_mov_b32 v7, s12 :: v_dual_mov_b32 v8, s13
	s_mov_b32 s2, exec_lo
	s_delay_alu instid0(VALU_DEP_2)
	v_and_b32_e32 v6, 0x7f, v5
	scratch_store_b64 off, v[7:8], s32 offset:888 ; 8-byte Folded Spill
	v_cmpx_ne_u32_e32 0x7f, v6
	s_cbranch_execz .LBB287_2672
; %bb.2669:                             ;   in Loop: Header=BB287_2082 Depth=1
	v_and_b32_e32 v8, 7, v5
	v_lshrrev_b32_e32 v5, 3, v6
	s_mov_b32 s3, exec_lo
	v_cmpx_gt_u32_e32 8, v6
; %bb.2670:                             ;   in Loop: Header=BB287_2082 Depth=1
	s_delay_alu instid0(VALU_DEP_3) | instskip(NEXT) | instid1(VALU_DEP_1)
	v_clz_i32_u32_e32 v5, v8
	v_min_u32_e32 v5, 32, v5
	s_delay_alu instid0(VALU_DEP_1) | instskip(SKIP_1) | instid1(VALU_DEP_2)
	v_subrev_nc_u32_e32 v6, 28, v5
	v_sub_nc_u32_e32 v5, 29, v5
	v_lshlrev_b64 v[6:7], v6, v[8:9]
	s_delay_alu instid0(VALU_DEP_1)
	v_and_b32_e32 v8, 7, v6
; %bb.2671:                             ;   in Loop: Header=BB287_2082 Depth=1
	s_or_b32 exec_lo, exec_lo, s3
	v_lshlrev_b32_e32 v6, 16, v4
	s_delay_alu instid0(VALU_DEP_2) | instskip(SKIP_1) | instid1(VALU_DEP_3)
	v_lshlrev_b32_e32 v7, 20, v8
	v_lshl_add_u32 v5, v5, 23, 0x3c000000
	v_and_b32_e32 v6, 0x80000000, v6
	s_delay_alu instid0(VALU_DEP_1)
	v_or3_b32 v6, v7, v6, v5
	v_mov_b32_e32 v5, v9
	scratch_store_b64 off, v[5:6], s32 offset:888 ; 8-byte Folded Spill
.LBB287_2672:                           ;   in Loop: Header=BB287_2082 Depth=1
	s_or_b32 exec_lo, exec_lo, s2
.LBB287_2673:                           ;   in Loop: Header=BB287_2082 Depth=1
	s_delay_alu instid0(SALU_CYCLE_1)
	s_or_b32 exec_lo, exec_lo, s1
.LBB287_2674:                           ;   in Loop: Header=BB287_2082 Depth=1
	s_delay_alu instid0(SALU_CYCLE_1)
	s_or_b32 exec_lo, exec_lo, s0
	v_lshrrev_b32_e32 v5, 16, v4
	v_mov_b32_e32 v7, 0
	v_mov_b32_e32 v8, 0
	s_mov_b32 s0, exec_lo
	s_clause 0x1
	scratch_store_b64 off, v[7:8], s32 offset:904
	scratch_store_b64 off, v[7:8], s32 offset:912
	v_and_b32_e32 v6, 0xff, v5
	s_delay_alu instid0(VALU_DEP_1)
	v_cmpx_ne_u16_e32 0, v6
	s_cbranch_execz .LBB287_2682
; %bb.2675:                             ;   in Loop: Header=BB287_2082 Depth=1
	v_cmp_ne_u16_e32 vcc_lo, 0x80, v6
	v_bfrev_b32_e32 v6, 1
	v_mov_b32_e32 v7, 0
	scratch_store_b64 off, v[6:7], s32 offset:912 ; 8-byte Folded Spill
	s_and_saveexec_b32 s1, vcc_lo
	s_cbranch_execz .LBB287_2681
; %bb.2676:                             ;   in Loop: Header=BB287_2082 Depth=1
	v_mov_b32_e32 v10, 0x7f800001
	v_bfe_u32 v7, v4, 16, 7
	v_mov_b32_e32 v11, 0
	s_mov_b32 s2, exec_lo
	scratch_store_b64 off, v[10:11], s32 offset:912 ; 8-byte Folded Spill
	v_cmpx_ne_u32_e32 0x7f, v7
	s_cbranch_execz .LBB287_2680
; %bb.2677:                             ;   in Loop: Header=BB287_2082 Depth=1
	v_and_b32_e32 v8, 7, v5
	v_lshrrev_b32_e32 v6, 3, v7
	s_mov_b32 s3, exec_lo
	v_cmpx_gt_u32_e32 8, v7
; %bb.2678:                             ;   in Loop: Header=BB287_2082 Depth=1
	s_delay_alu instid0(VALU_DEP_3) | instskip(NEXT) | instid1(VALU_DEP_1)
	v_clz_i32_u32_e32 v6, v8
	v_min_u32_e32 v6, 32, v6
	s_delay_alu instid0(VALU_DEP_1) | instskip(SKIP_1) | instid1(VALU_DEP_2)
	v_subrev_nc_u32_e32 v7, 28, v6
	v_sub_nc_u32_e32 v6, 29, v6
	v_lshlrev_b64 v[7:8], v7, v[8:9]
	s_delay_alu instid0(VALU_DEP_1)
	v_and_b32_e32 v8, 7, v7
; %bb.2679:                             ;   in Loop: Header=BB287_2082 Depth=1
	s_or_b32 exec_lo, exec_lo, s3
	v_lshlrev_b32_e32 v5, 24, v5
	s_delay_alu instid0(VALU_DEP_2) | instskip(SKIP_1) | instid1(VALU_DEP_3)
	v_lshlrev_b32_e32 v7, 20, v8
	v_lshl_add_u32 v6, v6, 23, 0x3c000000
	v_and_b32_e32 v5, 0x80000000, v5
	s_delay_alu instid0(VALU_DEP_1)
	v_or3_b32 v8, v7, v5, v6
	scratch_store_b64 off, v[8:9], s32 offset:912 ; 8-byte Folded Spill
.LBB287_2680:                           ;   in Loop: Header=BB287_2082 Depth=1
	s_or_b32 exec_lo, exec_lo, s2
.LBB287_2681:                           ;   in Loop: Header=BB287_2082 Depth=1
	s_delay_alu instid0(SALU_CYCLE_1)
	s_or_b32 exec_lo, exec_lo, s1
.LBB287_2682:                           ;   in Loop: Header=BB287_2082 Depth=1
	s_delay_alu instid0(SALU_CYCLE_1) | instskip(NEXT) | instid1(SALU_CYCLE_1)
	s_or_b32 exec_lo, exec_lo, s0
	s_mov_b32 s0, exec_lo
	v_cmpx_lt_u32_e32 0xffffff, v4
	s_cbranch_execz .LBB287_2690
; %bb.2683:                             ;   in Loop: Header=BB287_2082 Depth=1
	v_lshrrev_b32_e32 v5, 24, v4
	v_dual_mov_b32 v6, s8 :: v_dual_mov_b32 v7, s9
	s_mov_b32 s1, exec_lo
	scratch_store_b64 off, v[6:7], s32 offset:904 ; 8-byte Folded Spill
	v_cmpx_ne_u32_e32 0x80, v5
	s_cbranch_execz .LBB287_2689
; %bb.2684:                             ;   in Loop: Header=BB287_2082 Depth=1
	s_mov_b32 s12, s8
	v_bfe_u32 v6, v4, 24, 7
	v_dual_mov_b32 v7, s12 :: v_dual_mov_b32 v8, s13
	s_mov_b32 s2, exec_lo
	scratch_store_b64 off, v[7:8], s32 offset:904 ; 8-byte Folded Spill
	v_cmpx_ne_u32_e32 0x7f, v6
	s_cbranch_execz .LBB287_2688
; %bb.2685:                             ;   in Loop: Header=BB287_2082 Depth=1
	v_and_b32_e32 v8, 7, v5
	v_lshrrev_b32_e32 v4, 3, v6
	s_mov_b32 s3, exec_lo
	v_cmpx_gt_u32_e32 8, v6
; %bb.2686:                             ;   in Loop: Header=BB287_2082 Depth=1
	s_delay_alu instid0(VALU_DEP_3) | instskip(NEXT) | instid1(VALU_DEP_1)
	v_clz_i32_u32_e32 v4, v8
	v_min_u32_e32 v4, 32, v4
	s_delay_alu instid0(VALU_DEP_1) | instskip(SKIP_1) | instid1(VALU_DEP_2)
	v_subrev_nc_u32_e32 v6, 28, v4
	v_sub_nc_u32_e32 v4, 29, v4
	v_lshlrev_b64 v[6:7], v6, v[8:9]
	s_delay_alu instid0(VALU_DEP_1)
	v_and_b32_e32 v8, 7, v6
; %bb.2687:                             ;   in Loop: Header=BB287_2082 Depth=1
	s_or_b32 exec_lo, exec_lo, s3
	v_lshlrev_b32_e32 v5, 24, v5
	s_delay_alu instid0(VALU_DEP_2) | instskip(SKIP_1) | instid1(VALU_DEP_3)
	v_lshlrev_b32_e32 v6, 20, v8
	v_lshl_add_u32 v4, v4, 23, 0x3c000000
	v_and_b32_e32 v5, 0x80000000, v5
	s_delay_alu instid0(VALU_DEP_1)
	v_or3_b32 v5, v6, v5, v4
	v_mov_b32_e32 v4, v9
	scratch_store_b64 off, v[4:5], s32 offset:904 ; 8-byte Folded Spill
.LBB287_2688:                           ;   in Loop: Header=BB287_2082 Depth=1
	s_or_b32 exec_lo, exec_lo, s2
.LBB287_2689:                           ;   in Loop: Header=BB287_2082 Depth=1
	s_delay_alu instid0(SALU_CYCLE_1)
	s_or_b32 exec_lo, exec_lo, s1
.LBB287_2690:                           ;   in Loop: Header=BB287_2082 Depth=1
	s_delay_alu instid0(SALU_CYCLE_1)
	s_or_b32 exec_lo, exec_lo, s0
	flat_load_b32 v4, v[34:35] offset:2432
	v_mov_b32_e32 v6, 0
	v_mov_b32_e32 v7, 0
	s_mov_b32 s0, exec_lo
	s_clause 0x1
	scratch_store_b64 off, v[6:7], s32 offset:920
	scratch_store_b64 off, v[6:7], s32 offset:928
	s_waitcnt vmcnt(0) lgkmcnt(0)
	v_and_b32_e32 v5, 0xff, v4
	s_delay_alu instid0(VALU_DEP_1)
	v_cmpx_ne_u16_e32 0, v5
	s_cbranch_execz .LBB287_2698
; %bb.2691:                             ;   in Loop: Header=BB287_2082 Depth=1
	v_cmp_ne_u16_e32 vcc_lo, 0x80, v5
	v_bfrev_b32_e32 v5, 1
	v_mov_b32_e32 v6, 0
	scratch_store_b64 off, v[5:6], s32 offset:928 ; 8-byte Folded Spill
	s_and_saveexec_b32 s1, vcc_lo
	s_cbranch_execz .LBB287_2697
; %bb.2692:                             ;   in Loop: Header=BB287_2082 Depth=1
	v_mov_b32_e32 v7, 0x7f800001
	v_and_b32_e32 v6, 0x7f, v4
	v_mov_b32_e32 v8, 0
	s_mov_b32 s2, exec_lo
	scratch_store_b64 off, v[7:8], s32 offset:928 ; 8-byte Folded Spill
	v_cmpx_ne_u32_e32 0x7f, v6
	s_cbranch_execz .LBB287_2696
; %bb.2693:                             ;   in Loop: Header=BB287_2082 Depth=1
	v_and_b32_e32 v8, 7, v4
	v_lshrrev_b32_e32 v5, 3, v6
	s_mov_b32 s3, exec_lo
	v_cmpx_gt_u32_e32 8, v6
; %bb.2694:                             ;   in Loop: Header=BB287_2082 Depth=1
	s_delay_alu instid0(VALU_DEP_3) | instskip(NEXT) | instid1(VALU_DEP_1)
	v_clz_i32_u32_e32 v5, v8
	v_min_u32_e32 v5, 32, v5
	s_delay_alu instid0(VALU_DEP_1) | instskip(SKIP_1) | instid1(VALU_DEP_2)
	v_subrev_nc_u32_e32 v6, 28, v5
	v_sub_nc_u32_e32 v5, 29, v5
	v_lshlrev_b64 v[6:7], v6, v[8:9]
	s_delay_alu instid0(VALU_DEP_1)
	v_and_b32_e32 v8, 7, v6
; %bb.2695:                             ;   in Loop: Header=BB287_2082 Depth=1
	s_or_b32 exec_lo, exec_lo, s3
	v_lshlrev_b32_e32 v6, 24, v4
	s_delay_alu instid0(VALU_DEP_2) | instskip(SKIP_1) | instid1(VALU_DEP_3)
	v_lshlrev_b32_e32 v7, 20, v8
	v_lshl_add_u32 v5, v5, 23, 0x3c000000
	v_and_b32_e32 v6, 0x80000000, v6
	s_delay_alu instid0(VALU_DEP_1)
	v_or3_b32 v8, v7, v6, v5
	scratch_store_b64 off, v[8:9], s32 offset:928 ; 8-byte Folded Spill
.LBB287_2696:                           ;   in Loop: Header=BB287_2082 Depth=1
	s_or_b32 exec_lo, exec_lo, s2
.LBB287_2697:                           ;   in Loop: Header=BB287_2082 Depth=1
	s_delay_alu instid0(SALU_CYCLE_1)
	s_or_b32 exec_lo, exec_lo, s1
.LBB287_2698:                           ;   in Loop: Header=BB287_2082 Depth=1
	s_delay_alu instid0(SALU_CYCLE_1) | instskip(SKIP_2) | instid1(VALU_DEP_1)
	s_or_b32 exec_lo, exec_lo, s0
	v_lshrrev_b16 v5, 8, v4
	s_mov_b32 s0, exec_lo
	v_cmpx_ne_u16_e32 0, v5
	s_cbranch_execz .LBB287_2706
; %bb.2699:                             ;   in Loop: Header=BB287_2082 Depth=1
	v_dual_mov_b32 v6, s8 :: v_dual_mov_b32 v7, s9
	s_mov_b32 s1, exec_lo
	scratch_store_b64 off, v[6:7], s32 offset:920 ; 8-byte Folded Spill
	v_cmpx_ne_u16_e32 0x80, v5
	s_cbranch_execz .LBB287_2705
; %bb.2700:                             ;   in Loop: Header=BB287_2082 Depth=1
	s_mov_b32 s12, s8
	v_and_b32_e32 v5, 0xffff, v5
	v_dual_mov_b32 v7, s12 :: v_dual_mov_b32 v8, s13
	s_mov_b32 s2, exec_lo
	s_delay_alu instid0(VALU_DEP_2)
	v_and_b32_e32 v6, 0x7f, v5
	scratch_store_b64 off, v[7:8], s32 offset:920 ; 8-byte Folded Spill
	v_cmpx_ne_u32_e32 0x7f, v6
	s_cbranch_execz .LBB287_2704
; %bb.2701:                             ;   in Loop: Header=BB287_2082 Depth=1
	v_and_b32_e32 v8, 7, v5
	v_lshrrev_b32_e32 v5, 3, v6
	s_mov_b32 s3, exec_lo
	v_cmpx_gt_u32_e32 8, v6
; %bb.2702:                             ;   in Loop: Header=BB287_2082 Depth=1
	s_delay_alu instid0(VALU_DEP_3) | instskip(NEXT) | instid1(VALU_DEP_1)
	v_clz_i32_u32_e32 v5, v8
	v_min_u32_e32 v5, 32, v5
	s_delay_alu instid0(VALU_DEP_1) | instskip(SKIP_1) | instid1(VALU_DEP_2)
	v_subrev_nc_u32_e32 v6, 28, v5
	v_sub_nc_u32_e32 v5, 29, v5
	v_lshlrev_b64 v[6:7], v6, v[8:9]
	s_delay_alu instid0(VALU_DEP_1)
	v_and_b32_e32 v8, 7, v6
; %bb.2703:                             ;   in Loop: Header=BB287_2082 Depth=1
	s_or_b32 exec_lo, exec_lo, s3
	v_lshlrev_b32_e32 v6, 16, v4
	s_delay_alu instid0(VALU_DEP_2) | instskip(SKIP_1) | instid1(VALU_DEP_3)
	v_lshlrev_b32_e32 v7, 20, v8
	v_lshl_add_u32 v5, v5, 23, 0x3c000000
	v_and_b32_e32 v6, 0x80000000, v6
	s_delay_alu instid0(VALU_DEP_1)
	v_or3_b32 v6, v7, v6, v5
	v_mov_b32_e32 v5, v9
	scratch_store_b64 off, v[5:6], s32 offset:920 ; 8-byte Folded Spill
.LBB287_2704:                           ;   in Loop: Header=BB287_2082 Depth=1
	s_or_b32 exec_lo, exec_lo, s2
.LBB287_2705:                           ;   in Loop: Header=BB287_2082 Depth=1
	s_delay_alu instid0(SALU_CYCLE_1)
	s_or_b32 exec_lo, exec_lo, s1
.LBB287_2706:                           ;   in Loop: Header=BB287_2082 Depth=1
	s_delay_alu instid0(SALU_CYCLE_1)
	s_or_b32 exec_lo, exec_lo, s0
	v_lshrrev_b32_e32 v5, 16, v4
	v_mov_b32_e32 v7, 0
	v_mov_b32_e32 v8, 0
	s_mov_b32 s0, exec_lo
	s_clause 0x1
	scratch_store_b64 off, v[7:8], s32 offset:936
	scratch_store_b64 off, v[7:8], s32 offset:944
	v_and_b32_e32 v6, 0xff, v5
	s_delay_alu instid0(VALU_DEP_1)
	v_cmpx_ne_u16_e32 0, v6
	s_cbranch_execz .LBB287_2714
; %bb.2707:                             ;   in Loop: Header=BB287_2082 Depth=1
	v_cmp_ne_u16_e32 vcc_lo, 0x80, v6
	v_bfrev_b32_e32 v6, 1
	v_mov_b32_e32 v7, 0
	scratch_store_b64 off, v[6:7], s32 offset:944 ; 8-byte Folded Spill
	s_and_saveexec_b32 s1, vcc_lo
	s_cbranch_execz .LBB287_2713
; %bb.2708:                             ;   in Loop: Header=BB287_2082 Depth=1
	v_mov_b32_e32 v10, 0x7f800001
	v_bfe_u32 v7, v4, 16, 7
	v_mov_b32_e32 v11, 0
	s_mov_b32 s2, exec_lo
	scratch_store_b64 off, v[10:11], s32 offset:944 ; 8-byte Folded Spill
	v_cmpx_ne_u32_e32 0x7f, v7
	s_cbranch_execz .LBB287_2712
; %bb.2709:                             ;   in Loop: Header=BB287_2082 Depth=1
	v_and_b32_e32 v8, 7, v5
	v_lshrrev_b32_e32 v6, 3, v7
	s_mov_b32 s3, exec_lo
	v_cmpx_gt_u32_e32 8, v7
; %bb.2710:                             ;   in Loop: Header=BB287_2082 Depth=1
	s_delay_alu instid0(VALU_DEP_3) | instskip(NEXT) | instid1(VALU_DEP_1)
	v_clz_i32_u32_e32 v6, v8
	v_min_u32_e32 v6, 32, v6
	s_delay_alu instid0(VALU_DEP_1) | instskip(SKIP_1) | instid1(VALU_DEP_2)
	v_subrev_nc_u32_e32 v7, 28, v6
	v_sub_nc_u32_e32 v6, 29, v6
	v_lshlrev_b64 v[7:8], v7, v[8:9]
	s_delay_alu instid0(VALU_DEP_1)
	v_and_b32_e32 v8, 7, v7
; %bb.2711:                             ;   in Loop: Header=BB287_2082 Depth=1
	s_or_b32 exec_lo, exec_lo, s3
	v_lshlrev_b32_e32 v5, 24, v5
	s_delay_alu instid0(VALU_DEP_2) | instskip(SKIP_1) | instid1(VALU_DEP_3)
	v_lshlrev_b32_e32 v7, 20, v8
	v_lshl_add_u32 v6, v6, 23, 0x3c000000
	v_and_b32_e32 v5, 0x80000000, v5
	s_delay_alu instid0(VALU_DEP_1)
	v_or3_b32 v8, v7, v5, v6
	scratch_store_b64 off, v[8:9], s32 offset:944 ; 8-byte Folded Spill
.LBB287_2712:                           ;   in Loop: Header=BB287_2082 Depth=1
	s_or_b32 exec_lo, exec_lo, s2
.LBB287_2713:                           ;   in Loop: Header=BB287_2082 Depth=1
	s_delay_alu instid0(SALU_CYCLE_1)
	s_or_b32 exec_lo, exec_lo, s1
.LBB287_2714:                           ;   in Loop: Header=BB287_2082 Depth=1
	s_delay_alu instid0(SALU_CYCLE_1) | instskip(NEXT) | instid1(SALU_CYCLE_1)
	s_or_b32 exec_lo, exec_lo, s0
	s_mov_b32 s0, exec_lo
	v_cmpx_lt_u32_e32 0xffffff, v4
	s_cbranch_execz .LBB287_2722
; %bb.2715:                             ;   in Loop: Header=BB287_2082 Depth=1
	v_lshrrev_b32_e32 v5, 24, v4
	v_dual_mov_b32 v6, s8 :: v_dual_mov_b32 v7, s9
	s_mov_b32 s1, exec_lo
	scratch_store_b64 off, v[6:7], s32 offset:936 ; 8-byte Folded Spill
	v_cmpx_ne_u32_e32 0x80, v5
	s_cbranch_execz .LBB287_2721
; %bb.2716:                             ;   in Loop: Header=BB287_2082 Depth=1
	s_mov_b32 s12, s8
	v_bfe_u32 v6, v4, 24, 7
	v_dual_mov_b32 v7, s12 :: v_dual_mov_b32 v8, s13
	s_mov_b32 s2, exec_lo
	scratch_store_b64 off, v[7:8], s32 offset:936 ; 8-byte Folded Spill
	v_cmpx_ne_u32_e32 0x7f, v6
	s_cbranch_execz .LBB287_2720
; %bb.2717:                             ;   in Loop: Header=BB287_2082 Depth=1
	v_and_b32_e32 v8, 7, v5
	v_lshrrev_b32_e32 v4, 3, v6
	s_mov_b32 s3, exec_lo
	v_cmpx_gt_u32_e32 8, v6
; %bb.2718:                             ;   in Loop: Header=BB287_2082 Depth=1
	s_delay_alu instid0(VALU_DEP_3) | instskip(NEXT) | instid1(VALU_DEP_1)
	v_clz_i32_u32_e32 v4, v8
	v_min_u32_e32 v4, 32, v4
	s_delay_alu instid0(VALU_DEP_1) | instskip(SKIP_1) | instid1(VALU_DEP_2)
	v_subrev_nc_u32_e32 v6, 28, v4
	v_sub_nc_u32_e32 v4, 29, v4
	v_lshlrev_b64 v[6:7], v6, v[8:9]
	s_delay_alu instid0(VALU_DEP_1)
	v_and_b32_e32 v8, 7, v6
; %bb.2719:                             ;   in Loop: Header=BB287_2082 Depth=1
	s_or_b32 exec_lo, exec_lo, s3
	v_lshlrev_b32_e32 v5, 24, v5
	s_delay_alu instid0(VALU_DEP_2) | instskip(SKIP_1) | instid1(VALU_DEP_3)
	v_lshlrev_b32_e32 v6, 20, v8
	v_lshl_add_u32 v4, v4, 23, 0x3c000000
	v_and_b32_e32 v5, 0x80000000, v5
	s_delay_alu instid0(VALU_DEP_1)
	v_or3_b32 v5, v6, v5, v4
	v_mov_b32_e32 v4, v9
	scratch_store_b64 off, v[4:5], s32 offset:936 ; 8-byte Folded Spill
.LBB287_2720:                           ;   in Loop: Header=BB287_2082 Depth=1
	s_or_b32 exec_lo, exec_lo, s2
.LBB287_2721:                           ;   in Loop: Header=BB287_2082 Depth=1
	s_delay_alu instid0(SALU_CYCLE_1)
	s_or_b32 exec_lo, exec_lo, s1
.LBB287_2722:                           ;   in Loop: Header=BB287_2082 Depth=1
	s_delay_alu instid0(SALU_CYCLE_1)
	s_or_b32 exec_lo, exec_lo, s0
	flat_load_b32 v4, v[34:35] offset:2560
	v_mov_b32_e32 v6, 0
	v_mov_b32_e32 v7, 0
	s_mov_b32 s0, exec_lo
	s_clause 0x1
	scratch_store_b64 off, v[6:7], s32 offset:952
	scratch_store_b64 off, v[6:7], s32 offset:960
	s_waitcnt vmcnt(0) lgkmcnt(0)
	v_and_b32_e32 v5, 0xff, v4
	s_delay_alu instid0(VALU_DEP_1)
	v_cmpx_ne_u16_e32 0, v5
	s_cbranch_execz .LBB287_2730
; %bb.2723:                             ;   in Loop: Header=BB287_2082 Depth=1
	v_cmp_ne_u16_e32 vcc_lo, 0x80, v5
	v_bfrev_b32_e32 v5, 1
	v_mov_b32_e32 v6, 0
	scratch_store_b64 off, v[5:6], s32 offset:960 ; 8-byte Folded Spill
	s_and_saveexec_b32 s1, vcc_lo
	s_cbranch_execz .LBB287_2729
; %bb.2724:                             ;   in Loop: Header=BB287_2082 Depth=1
	v_mov_b32_e32 v7, 0x7f800001
	v_and_b32_e32 v6, 0x7f, v4
	v_mov_b32_e32 v8, 0
	s_mov_b32 s2, exec_lo
	scratch_store_b64 off, v[7:8], s32 offset:960 ; 8-byte Folded Spill
	v_cmpx_ne_u32_e32 0x7f, v6
	s_cbranch_execz .LBB287_2728
; %bb.2725:                             ;   in Loop: Header=BB287_2082 Depth=1
	v_and_b32_e32 v8, 7, v4
	v_lshrrev_b32_e32 v5, 3, v6
	s_mov_b32 s3, exec_lo
	v_cmpx_gt_u32_e32 8, v6
; %bb.2726:                             ;   in Loop: Header=BB287_2082 Depth=1
	s_delay_alu instid0(VALU_DEP_3) | instskip(NEXT) | instid1(VALU_DEP_1)
	v_clz_i32_u32_e32 v5, v8
	v_min_u32_e32 v5, 32, v5
	s_delay_alu instid0(VALU_DEP_1) | instskip(SKIP_1) | instid1(VALU_DEP_2)
	v_subrev_nc_u32_e32 v6, 28, v5
	v_sub_nc_u32_e32 v5, 29, v5
	v_lshlrev_b64 v[6:7], v6, v[8:9]
	s_delay_alu instid0(VALU_DEP_1)
	v_and_b32_e32 v8, 7, v6
; %bb.2727:                             ;   in Loop: Header=BB287_2082 Depth=1
	s_or_b32 exec_lo, exec_lo, s3
	v_lshlrev_b32_e32 v6, 24, v4
	s_delay_alu instid0(VALU_DEP_2) | instskip(SKIP_1) | instid1(VALU_DEP_3)
	v_lshlrev_b32_e32 v7, 20, v8
	v_lshl_add_u32 v5, v5, 23, 0x3c000000
	v_and_b32_e32 v6, 0x80000000, v6
	s_delay_alu instid0(VALU_DEP_1)
	v_or3_b32 v8, v7, v6, v5
	scratch_store_b64 off, v[8:9], s32 offset:960 ; 8-byte Folded Spill
.LBB287_2728:                           ;   in Loop: Header=BB287_2082 Depth=1
	s_or_b32 exec_lo, exec_lo, s2
.LBB287_2729:                           ;   in Loop: Header=BB287_2082 Depth=1
	s_delay_alu instid0(SALU_CYCLE_1)
	s_or_b32 exec_lo, exec_lo, s1
.LBB287_2730:                           ;   in Loop: Header=BB287_2082 Depth=1
	s_delay_alu instid0(SALU_CYCLE_1) | instskip(SKIP_2) | instid1(VALU_DEP_1)
	s_or_b32 exec_lo, exec_lo, s0
	v_lshrrev_b16 v5, 8, v4
	s_mov_b32 s0, exec_lo
	v_cmpx_ne_u16_e32 0, v5
	s_cbranch_execz .LBB287_2738
; %bb.2731:                             ;   in Loop: Header=BB287_2082 Depth=1
	v_dual_mov_b32 v6, s8 :: v_dual_mov_b32 v7, s9
	s_mov_b32 s1, exec_lo
	scratch_store_b64 off, v[6:7], s32 offset:952 ; 8-byte Folded Spill
	v_cmpx_ne_u16_e32 0x80, v5
	s_cbranch_execz .LBB287_2737
; %bb.2732:                             ;   in Loop: Header=BB287_2082 Depth=1
	s_mov_b32 s12, s8
	v_and_b32_e32 v5, 0xffff, v5
	v_dual_mov_b32 v7, s12 :: v_dual_mov_b32 v8, s13
	s_mov_b32 s2, exec_lo
	s_delay_alu instid0(VALU_DEP_2)
	v_and_b32_e32 v6, 0x7f, v5
	scratch_store_b64 off, v[7:8], s32 offset:952 ; 8-byte Folded Spill
	v_cmpx_ne_u32_e32 0x7f, v6
	s_cbranch_execz .LBB287_2736
; %bb.2733:                             ;   in Loop: Header=BB287_2082 Depth=1
	v_and_b32_e32 v8, 7, v5
	v_lshrrev_b32_e32 v5, 3, v6
	s_mov_b32 s3, exec_lo
	v_cmpx_gt_u32_e32 8, v6
; %bb.2734:                             ;   in Loop: Header=BB287_2082 Depth=1
	s_delay_alu instid0(VALU_DEP_3) | instskip(NEXT) | instid1(VALU_DEP_1)
	v_clz_i32_u32_e32 v5, v8
	v_min_u32_e32 v5, 32, v5
	s_delay_alu instid0(VALU_DEP_1) | instskip(SKIP_1) | instid1(VALU_DEP_2)
	v_subrev_nc_u32_e32 v6, 28, v5
	v_sub_nc_u32_e32 v5, 29, v5
	v_lshlrev_b64 v[6:7], v6, v[8:9]
	s_delay_alu instid0(VALU_DEP_1)
	v_and_b32_e32 v8, 7, v6
; %bb.2735:                             ;   in Loop: Header=BB287_2082 Depth=1
	s_or_b32 exec_lo, exec_lo, s3
	v_lshlrev_b32_e32 v6, 16, v4
	s_delay_alu instid0(VALU_DEP_2) | instskip(SKIP_1) | instid1(VALU_DEP_3)
	v_lshlrev_b32_e32 v7, 20, v8
	v_lshl_add_u32 v5, v5, 23, 0x3c000000
	v_and_b32_e32 v6, 0x80000000, v6
	s_delay_alu instid0(VALU_DEP_1)
	v_or3_b32 v6, v7, v6, v5
	v_mov_b32_e32 v5, v9
	scratch_store_b64 off, v[5:6], s32 offset:952 ; 8-byte Folded Spill
.LBB287_2736:                           ;   in Loop: Header=BB287_2082 Depth=1
	s_or_b32 exec_lo, exec_lo, s2
.LBB287_2737:                           ;   in Loop: Header=BB287_2082 Depth=1
	s_delay_alu instid0(SALU_CYCLE_1)
	s_or_b32 exec_lo, exec_lo, s1
.LBB287_2738:                           ;   in Loop: Header=BB287_2082 Depth=1
	s_delay_alu instid0(SALU_CYCLE_1)
	s_or_b32 exec_lo, exec_lo, s0
	v_lshrrev_b32_e32 v5, 16, v4
	v_mov_b32_e32 v7, 0
	v_mov_b32_e32 v8, 0
	s_mov_b32 s0, exec_lo
	s_clause 0x1
	scratch_store_b64 off, v[7:8], s32 offset:968
	scratch_store_b64 off, v[7:8], s32 offset:976
	v_and_b32_e32 v6, 0xff, v5
	s_delay_alu instid0(VALU_DEP_1)
	v_cmpx_ne_u16_e32 0, v6
	s_cbranch_execz .LBB287_2746
; %bb.2739:                             ;   in Loop: Header=BB287_2082 Depth=1
	v_cmp_ne_u16_e32 vcc_lo, 0x80, v6
	v_bfrev_b32_e32 v6, 1
	v_mov_b32_e32 v7, 0
	scratch_store_b64 off, v[6:7], s32 offset:976 ; 8-byte Folded Spill
	s_and_saveexec_b32 s1, vcc_lo
	s_cbranch_execz .LBB287_2745
; %bb.2740:                             ;   in Loop: Header=BB287_2082 Depth=1
	v_mov_b32_e32 v10, 0x7f800001
	v_bfe_u32 v7, v4, 16, 7
	v_mov_b32_e32 v11, 0
	s_mov_b32 s2, exec_lo
	scratch_store_b64 off, v[10:11], s32 offset:976 ; 8-byte Folded Spill
	v_cmpx_ne_u32_e32 0x7f, v7
	s_cbranch_execz .LBB287_2744
; %bb.2741:                             ;   in Loop: Header=BB287_2082 Depth=1
	v_and_b32_e32 v8, 7, v5
	v_lshrrev_b32_e32 v6, 3, v7
	s_mov_b32 s3, exec_lo
	v_cmpx_gt_u32_e32 8, v7
; %bb.2742:                             ;   in Loop: Header=BB287_2082 Depth=1
	s_delay_alu instid0(VALU_DEP_3) | instskip(NEXT) | instid1(VALU_DEP_1)
	v_clz_i32_u32_e32 v6, v8
	v_min_u32_e32 v6, 32, v6
	s_delay_alu instid0(VALU_DEP_1) | instskip(SKIP_1) | instid1(VALU_DEP_2)
	v_subrev_nc_u32_e32 v7, 28, v6
	v_sub_nc_u32_e32 v6, 29, v6
	v_lshlrev_b64 v[7:8], v7, v[8:9]
	s_delay_alu instid0(VALU_DEP_1)
	v_and_b32_e32 v8, 7, v7
; %bb.2743:                             ;   in Loop: Header=BB287_2082 Depth=1
	s_or_b32 exec_lo, exec_lo, s3
	v_lshlrev_b32_e32 v5, 24, v5
	s_delay_alu instid0(VALU_DEP_2) | instskip(SKIP_1) | instid1(VALU_DEP_3)
	v_lshlrev_b32_e32 v7, 20, v8
	v_lshl_add_u32 v6, v6, 23, 0x3c000000
	v_and_b32_e32 v5, 0x80000000, v5
	s_delay_alu instid0(VALU_DEP_1)
	v_or3_b32 v8, v7, v5, v6
	scratch_store_b64 off, v[8:9], s32 offset:976 ; 8-byte Folded Spill
.LBB287_2744:                           ;   in Loop: Header=BB287_2082 Depth=1
	s_or_b32 exec_lo, exec_lo, s2
.LBB287_2745:                           ;   in Loop: Header=BB287_2082 Depth=1
	s_delay_alu instid0(SALU_CYCLE_1)
	s_or_b32 exec_lo, exec_lo, s1
.LBB287_2746:                           ;   in Loop: Header=BB287_2082 Depth=1
	s_delay_alu instid0(SALU_CYCLE_1) | instskip(NEXT) | instid1(SALU_CYCLE_1)
	s_or_b32 exec_lo, exec_lo, s0
	s_mov_b32 s0, exec_lo
	v_cmpx_lt_u32_e32 0xffffff, v4
	s_cbranch_execz .LBB287_2754
; %bb.2747:                             ;   in Loop: Header=BB287_2082 Depth=1
	v_lshrrev_b32_e32 v5, 24, v4
	v_dual_mov_b32 v6, s8 :: v_dual_mov_b32 v7, s9
	s_mov_b32 s1, exec_lo
	scratch_store_b64 off, v[6:7], s32 offset:968 ; 8-byte Folded Spill
	v_cmpx_ne_u32_e32 0x80, v5
	s_cbranch_execz .LBB287_2753
; %bb.2748:                             ;   in Loop: Header=BB287_2082 Depth=1
	s_mov_b32 s12, s8
	v_bfe_u32 v6, v4, 24, 7
	v_dual_mov_b32 v7, s12 :: v_dual_mov_b32 v8, s13
	s_mov_b32 s2, exec_lo
	scratch_store_b64 off, v[7:8], s32 offset:968 ; 8-byte Folded Spill
	v_cmpx_ne_u32_e32 0x7f, v6
	s_cbranch_execz .LBB287_2752
; %bb.2749:                             ;   in Loop: Header=BB287_2082 Depth=1
	v_and_b32_e32 v8, 7, v5
	v_lshrrev_b32_e32 v4, 3, v6
	s_mov_b32 s3, exec_lo
	v_cmpx_gt_u32_e32 8, v6
; %bb.2750:                             ;   in Loop: Header=BB287_2082 Depth=1
	s_delay_alu instid0(VALU_DEP_3) | instskip(NEXT) | instid1(VALU_DEP_1)
	v_clz_i32_u32_e32 v4, v8
	v_min_u32_e32 v4, 32, v4
	s_delay_alu instid0(VALU_DEP_1) | instskip(SKIP_1) | instid1(VALU_DEP_2)
	v_subrev_nc_u32_e32 v6, 28, v4
	v_sub_nc_u32_e32 v4, 29, v4
	v_lshlrev_b64 v[6:7], v6, v[8:9]
	s_delay_alu instid0(VALU_DEP_1)
	v_and_b32_e32 v8, 7, v6
; %bb.2751:                             ;   in Loop: Header=BB287_2082 Depth=1
	s_or_b32 exec_lo, exec_lo, s3
	v_lshlrev_b32_e32 v5, 24, v5
	s_delay_alu instid0(VALU_DEP_2) | instskip(SKIP_1) | instid1(VALU_DEP_3)
	v_lshlrev_b32_e32 v6, 20, v8
	v_lshl_add_u32 v4, v4, 23, 0x3c000000
	v_and_b32_e32 v5, 0x80000000, v5
	s_delay_alu instid0(VALU_DEP_1)
	v_or3_b32 v5, v6, v5, v4
	v_mov_b32_e32 v4, v9
	scratch_store_b64 off, v[4:5], s32 offset:968 ; 8-byte Folded Spill
.LBB287_2752:                           ;   in Loop: Header=BB287_2082 Depth=1
	s_or_b32 exec_lo, exec_lo, s2
.LBB287_2753:                           ;   in Loop: Header=BB287_2082 Depth=1
	s_delay_alu instid0(SALU_CYCLE_1)
	s_or_b32 exec_lo, exec_lo, s1
.LBB287_2754:                           ;   in Loop: Header=BB287_2082 Depth=1
	s_delay_alu instid0(SALU_CYCLE_1)
	s_or_b32 exec_lo, exec_lo, s0
	flat_load_b32 v4, v[34:35] offset:2688
	v_mov_b32_e32 v6, 0
	v_mov_b32_e32 v7, 0
	s_mov_b32 s0, exec_lo
	s_clause 0x1
	scratch_store_b64 off, v[6:7], s32 offset:984
	scratch_store_b64 off, v[6:7], s32 offset:992
	s_waitcnt vmcnt(0) lgkmcnt(0)
	v_and_b32_e32 v5, 0xff, v4
	s_delay_alu instid0(VALU_DEP_1)
	v_cmpx_ne_u16_e32 0, v5
	s_cbranch_execz .LBB287_2762
; %bb.2755:                             ;   in Loop: Header=BB287_2082 Depth=1
	v_cmp_ne_u16_e32 vcc_lo, 0x80, v5
	v_bfrev_b32_e32 v5, 1
	v_mov_b32_e32 v6, 0
	scratch_store_b64 off, v[5:6], s32 offset:992 ; 8-byte Folded Spill
	s_and_saveexec_b32 s1, vcc_lo
	s_cbranch_execz .LBB287_2761
; %bb.2756:                             ;   in Loop: Header=BB287_2082 Depth=1
	v_mov_b32_e32 v7, 0x7f800001
	v_and_b32_e32 v6, 0x7f, v4
	v_mov_b32_e32 v8, 0
	s_mov_b32 s2, exec_lo
	scratch_store_b64 off, v[7:8], s32 offset:992 ; 8-byte Folded Spill
	v_cmpx_ne_u32_e32 0x7f, v6
	s_cbranch_execz .LBB287_2760
; %bb.2757:                             ;   in Loop: Header=BB287_2082 Depth=1
	v_and_b32_e32 v8, 7, v4
	v_lshrrev_b32_e32 v5, 3, v6
	s_mov_b32 s3, exec_lo
	v_cmpx_gt_u32_e32 8, v6
; %bb.2758:                             ;   in Loop: Header=BB287_2082 Depth=1
	s_delay_alu instid0(VALU_DEP_3) | instskip(NEXT) | instid1(VALU_DEP_1)
	v_clz_i32_u32_e32 v5, v8
	v_min_u32_e32 v5, 32, v5
	s_delay_alu instid0(VALU_DEP_1) | instskip(SKIP_1) | instid1(VALU_DEP_2)
	v_subrev_nc_u32_e32 v6, 28, v5
	v_sub_nc_u32_e32 v5, 29, v5
	v_lshlrev_b64 v[6:7], v6, v[8:9]
	s_delay_alu instid0(VALU_DEP_1)
	v_and_b32_e32 v8, 7, v6
; %bb.2759:                             ;   in Loop: Header=BB287_2082 Depth=1
	s_or_b32 exec_lo, exec_lo, s3
	v_lshlrev_b32_e32 v6, 24, v4
	s_delay_alu instid0(VALU_DEP_2) | instskip(SKIP_1) | instid1(VALU_DEP_3)
	v_lshlrev_b32_e32 v7, 20, v8
	v_lshl_add_u32 v5, v5, 23, 0x3c000000
	v_and_b32_e32 v6, 0x80000000, v6
	s_delay_alu instid0(VALU_DEP_1)
	v_or3_b32 v8, v7, v6, v5
	scratch_store_b64 off, v[8:9], s32 offset:992 ; 8-byte Folded Spill
.LBB287_2760:                           ;   in Loop: Header=BB287_2082 Depth=1
	s_or_b32 exec_lo, exec_lo, s2
.LBB287_2761:                           ;   in Loop: Header=BB287_2082 Depth=1
	s_delay_alu instid0(SALU_CYCLE_1)
	s_or_b32 exec_lo, exec_lo, s1
.LBB287_2762:                           ;   in Loop: Header=BB287_2082 Depth=1
	s_delay_alu instid0(SALU_CYCLE_1) | instskip(SKIP_2) | instid1(VALU_DEP_1)
	s_or_b32 exec_lo, exec_lo, s0
	v_lshrrev_b16 v5, 8, v4
	s_mov_b32 s0, exec_lo
	v_cmpx_ne_u16_e32 0, v5
	s_cbranch_execz .LBB287_2770
; %bb.2763:                             ;   in Loop: Header=BB287_2082 Depth=1
	v_dual_mov_b32 v6, s8 :: v_dual_mov_b32 v7, s9
	s_mov_b32 s1, exec_lo
	scratch_store_b64 off, v[6:7], s32 offset:984 ; 8-byte Folded Spill
	v_cmpx_ne_u16_e32 0x80, v5
	s_cbranch_execz .LBB287_2769
; %bb.2764:                             ;   in Loop: Header=BB287_2082 Depth=1
	s_mov_b32 s12, s8
	v_and_b32_e32 v5, 0xffff, v5
	v_dual_mov_b32 v7, s12 :: v_dual_mov_b32 v8, s13
	s_mov_b32 s2, exec_lo
	s_delay_alu instid0(VALU_DEP_2)
	v_and_b32_e32 v6, 0x7f, v5
	scratch_store_b64 off, v[7:8], s32 offset:984 ; 8-byte Folded Spill
	v_cmpx_ne_u32_e32 0x7f, v6
	s_cbranch_execz .LBB287_2768
; %bb.2765:                             ;   in Loop: Header=BB287_2082 Depth=1
	v_and_b32_e32 v8, 7, v5
	v_lshrrev_b32_e32 v5, 3, v6
	s_mov_b32 s3, exec_lo
	v_cmpx_gt_u32_e32 8, v6
; %bb.2766:                             ;   in Loop: Header=BB287_2082 Depth=1
	s_delay_alu instid0(VALU_DEP_3) | instskip(NEXT) | instid1(VALU_DEP_1)
	v_clz_i32_u32_e32 v5, v8
	v_min_u32_e32 v5, 32, v5
	s_delay_alu instid0(VALU_DEP_1) | instskip(SKIP_1) | instid1(VALU_DEP_2)
	v_subrev_nc_u32_e32 v6, 28, v5
	v_sub_nc_u32_e32 v5, 29, v5
	v_lshlrev_b64 v[6:7], v6, v[8:9]
	s_delay_alu instid0(VALU_DEP_1)
	v_and_b32_e32 v8, 7, v6
; %bb.2767:                             ;   in Loop: Header=BB287_2082 Depth=1
	s_or_b32 exec_lo, exec_lo, s3
	v_lshlrev_b32_e32 v6, 16, v4
	s_delay_alu instid0(VALU_DEP_2) | instskip(SKIP_1) | instid1(VALU_DEP_3)
	v_lshlrev_b32_e32 v7, 20, v8
	v_lshl_add_u32 v5, v5, 23, 0x3c000000
	v_and_b32_e32 v6, 0x80000000, v6
	s_delay_alu instid0(VALU_DEP_1)
	v_or3_b32 v6, v7, v6, v5
	v_mov_b32_e32 v5, v9
	scratch_store_b64 off, v[5:6], s32 offset:984 ; 8-byte Folded Spill
.LBB287_2768:                           ;   in Loop: Header=BB287_2082 Depth=1
	s_or_b32 exec_lo, exec_lo, s2
.LBB287_2769:                           ;   in Loop: Header=BB287_2082 Depth=1
	s_delay_alu instid0(SALU_CYCLE_1)
	s_or_b32 exec_lo, exec_lo, s1
.LBB287_2770:                           ;   in Loop: Header=BB287_2082 Depth=1
	s_delay_alu instid0(SALU_CYCLE_1)
	s_or_b32 exec_lo, exec_lo, s0
	v_lshrrev_b32_e32 v5, 16, v4
	v_mov_b32_e32 v7, 0
	v_mov_b32_e32 v8, 0
	s_mov_b32 s0, exec_lo
	s_clause 0x1
	scratch_store_b64 off, v[7:8], s32 offset:1000
	scratch_store_b64 off, v[7:8], s32 offset:1008
	v_and_b32_e32 v6, 0xff, v5
	s_delay_alu instid0(VALU_DEP_1)
	v_cmpx_ne_u16_e32 0, v6
	s_cbranch_execz .LBB287_2778
; %bb.2771:                             ;   in Loop: Header=BB287_2082 Depth=1
	v_cmp_ne_u16_e32 vcc_lo, 0x80, v6
	v_bfrev_b32_e32 v6, 1
	v_mov_b32_e32 v7, 0
	scratch_store_b64 off, v[6:7], s32 offset:1008 ; 8-byte Folded Spill
	s_and_saveexec_b32 s1, vcc_lo
	s_cbranch_execz .LBB287_2777
; %bb.2772:                             ;   in Loop: Header=BB287_2082 Depth=1
	v_mov_b32_e32 v10, 0x7f800001
	v_bfe_u32 v7, v4, 16, 7
	v_mov_b32_e32 v11, 0
	s_mov_b32 s2, exec_lo
	scratch_store_b64 off, v[10:11], s32 offset:1008 ; 8-byte Folded Spill
	v_cmpx_ne_u32_e32 0x7f, v7
	s_cbranch_execz .LBB287_2776
; %bb.2773:                             ;   in Loop: Header=BB287_2082 Depth=1
	v_and_b32_e32 v8, 7, v5
	v_lshrrev_b32_e32 v6, 3, v7
	s_mov_b32 s3, exec_lo
	v_cmpx_gt_u32_e32 8, v7
; %bb.2774:                             ;   in Loop: Header=BB287_2082 Depth=1
	s_delay_alu instid0(VALU_DEP_3) | instskip(NEXT) | instid1(VALU_DEP_1)
	v_clz_i32_u32_e32 v6, v8
	v_min_u32_e32 v6, 32, v6
	s_delay_alu instid0(VALU_DEP_1) | instskip(SKIP_1) | instid1(VALU_DEP_2)
	v_subrev_nc_u32_e32 v7, 28, v6
	v_sub_nc_u32_e32 v6, 29, v6
	v_lshlrev_b64 v[7:8], v7, v[8:9]
	s_delay_alu instid0(VALU_DEP_1)
	v_and_b32_e32 v8, 7, v7
; %bb.2775:                             ;   in Loop: Header=BB287_2082 Depth=1
	s_or_b32 exec_lo, exec_lo, s3
	v_lshlrev_b32_e32 v5, 24, v5
	s_delay_alu instid0(VALU_DEP_2) | instskip(SKIP_1) | instid1(VALU_DEP_3)
	v_lshlrev_b32_e32 v7, 20, v8
	v_lshl_add_u32 v6, v6, 23, 0x3c000000
	v_and_b32_e32 v5, 0x80000000, v5
	s_delay_alu instid0(VALU_DEP_1)
	v_or3_b32 v8, v7, v5, v6
	scratch_store_b64 off, v[8:9], s32 offset:1008 ; 8-byte Folded Spill
.LBB287_2776:                           ;   in Loop: Header=BB287_2082 Depth=1
	s_or_b32 exec_lo, exec_lo, s2
.LBB287_2777:                           ;   in Loop: Header=BB287_2082 Depth=1
	s_delay_alu instid0(SALU_CYCLE_1)
	s_or_b32 exec_lo, exec_lo, s1
.LBB287_2778:                           ;   in Loop: Header=BB287_2082 Depth=1
	s_delay_alu instid0(SALU_CYCLE_1) | instskip(NEXT) | instid1(SALU_CYCLE_1)
	s_or_b32 exec_lo, exec_lo, s0
	s_mov_b32 s0, exec_lo
	v_cmpx_lt_u32_e32 0xffffff, v4
	s_cbranch_execz .LBB287_2786
; %bb.2779:                             ;   in Loop: Header=BB287_2082 Depth=1
	v_lshrrev_b32_e32 v5, 24, v4
	v_dual_mov_b32 v6, s8 :: v_dual_mov_b32 v7, s9
	s_mov_b32 s1, exec_lo
	scratch_store_b64 off, v[6:7], s32 offset:1000 ; 8-byte Folded Spill
	v_cmpx_ne_u32_e32 0x80, v5
	s_cbranch_execz .LBB287_2785
; %bb.2780:                             ;   in Loop: Header=BB287_2082 Depth=1
	s_mov_b32 s12, s8
	v_bfe_u32 v6, v4, 24, 7
	v_dual_mov_b32 v7, s12 :: v_dual_mov_b32 v8, s13
	s_mov_b32 s2, exec_lo
	scratch_store_b64 off, v[7:8], s32 offset:1000 ; 8-byte Folded Spill
	v_cmpx_ne_u32_e32 0x7f, v6
	s_cbranch_execz .LBB287_2784
; %bb.2781:                             ;   in Loop: Header=BB287_2082 Depth=1
	v_and_b32_e32 v8, 7, v5
	v_lshrrev_b32_e32 v4, 3, v6
	s_mov_b32 s3, exec_lo
	v_cmpx_gt_u32_e32 8, v6
; %bb.2782:                             ;   in Loop: Header=BB287_2082 Depth=1
	s_delay_alu instid0(VALU_DEP_3) | instskip(NEXT) | instid1(VALU_DEP_1)
	v_clz_i32_u32_e32 v4, v8
	v_min_u32_e32 v4, 32, v4
	s_delay_alu instid0(VALU_DEP_1) | instskip(SKIP_1) | instid1(VALU_DEP_2)
	v_subrev_nc_u32_e32 v6, 28, v4
	v_sub_nc_u32_e32 v4, 29, v4
	v_lshlrev_b64 v[6:7], v6, v[8:9]
	s_delay_alu instid0(VALU_DEP_1)
	v_and_b32_e32 v8, 7, v6
; %bb.2783:                             ;   in Loop: Header=BB287_2082 Depth=1
	s_or_b32 exec_lo, exec_lo, s3
	v_lshlrev_b32_e32 v5, 24, v5
	s_delay_alu instid0(VALU_DEP_2) | instskip(SKIP_1) | instid1(VALU_DEP_3)
	v_lshlrev_b32_e32 v6, 20, v8
	v_lshl_add_u32 v4, v4, 23, 0x3c000000
	v_and_b32_e32 v5, 0x80000000, v5
	s_delay_alu instid0(VALU_DEP_1)
	v_or3_b32 v5, v6, v5, v4
	v_mov_b32_e32 v4, v9
	scratch_store_b64 off, v[4:5], s32 offset:1000 ; 8-byte Folded Spill
.LBB287_2784:                           ;   in Loop: Header=BB287_2082 Depth=1
	s_or_b32 exec_lo, exec_lo, s2
.LBB287_2785:                           ;   in Loop: Header=BB287_2082 Depth=1
	s_delay_alu instid0(SALU_CYCLE_1)
	s_or_b32 exec_lo, exec_lo, s1
.LBB287_2786:                           ;   in Loop: Header=BB287_2082 Depth=1
	s_delay_alu instid0(SALU_CYCLE_1)
	s_or_b32 exec_lo, exec_lo, s0
	flat_load_b32 v4, v[34:35] offset:2816
	v_mov_b32_e32 v6, 0
	v_mov_b32_e32 v7, 0
	s_mov_b32 s0, exec_lo
	s_clause 0x1
	scratch_store_b64 off, v[6:7], s32 offset:1016
	scratch_store_b64 off, v[6:7], s32 offset:1024
	s_waitcnt vmcnt(0) lgkmcnt(0)
	v_and_b32_e32 v5, 0xff, v4
	s_delay_alu instid0(VALU_DEP_1)
	v_cmpx_ne_u16_e32 0, v5
	s_cbranch_execz .LBB287_2794
; %bb.2787:                             ;   in Loop: Header=BB287_2082 Depth=1
	v_cmp_ne_u16_e32 vcc_lo, 0x80, v5
	v_bfrev_b32_e32 v5, 1
	v_mov_b32_e32 v6, 0
	scratch_store_b64 off, v[5:6], s32 offset:1024 ; 8-byte Folded Spill
	s_and_saveexec_b32 s1, vcc_lo
	s_cbranch_execz .LBB287_2793
; %bb.2788:                             ;   in Loop: Header=BB287_2082 Depth=1
	v_mov_b32_e32 v7, 0x7f800001
	v_and_b32_e32 v6, 0x7f, v4
	v_mov_b32_e32 v8, 0
	s_mov_b32 s2, exec_lo
	scratch_store_b64 off, v[7:8], s32 offset:1024 ; 8-byte Folded Spill
	v_cmpx_ne_u32_e32 0x7f, v6
	s_cbranch_execz .LBB287_2792
; %bb.2789:                             ;   in Loop: Header=BB287_2082 Depth=1
	v_and_b32_e32 v8, 7, v4
	v_lshrrev_b32_e32 v5, 3, v6
	s_mov_b32 s3, exec_lo
	v_cmpx_gt_u32_e32 8, v6
; %bb.2790:                             ;   in Loop: Header=BB287_2082 Depth=1
	s_delay_alu instid0(VALU_DEP_3) | instskip(NEXT) | instid1(VALU_DEP_1)
	v_clz_i32_u32_e32 v5, v8
	v_min_u32_e32 v5, 32, v5
	s_delay_alu instid0(VALU_DEP_1) | instskip(SKIP_1) | instid1(VALU_DEP_2)
	v_subrev_nc_u32_e32 v6, 28, v5
	v_sub_nc_u32_e32 v5, 29, v5
	v_lshlrev_b64 v[6:7], v6, v[8:9]
	s_delay_alu instid0(VALU_DEP_1)
	v_and_b32_e32 v8, 7, v6
; %bb.2791:                             ;   in Loop: Header=BB287_2082 Depth=1
	s_or_b32 exec_lo, exec_lo, s3
	v_lshlrev_b32_e32 v6, 24, v4
	s_delay_alu instid0(VALU_DEP_2) | instskip(SKIP_1) | instid1(VALU_DEP_3)
	v_lshlrev_b32_e32 v7, 20, v8
	v_lshl_add_u32 v5, v5, 23, 0x3c000000
	v_and_b32_e32 v6, 0x80000000, v6
	s_delay_alu instid0(VALU_DEP_1)
	v_or3_b32 v8, v7, v6, v5
	scratch_store_b64 off, v[8:9], s32 offset:1024 ; 8-byte Folded Spill
.LBB287_2792:                           ;   in Loop: Header=BB287_2082 Depth=1
	s_or_b32 exec_lo, exec_lo, s2
.LBB287_2793:                           ;   in Loop: Header=BB287_2082 Depth=1
	s_delay_alu instid0(SALU_CYCLE_1)
	s_or_b32 exec_lo, exec_lo, s1
.LBB287_2794:                           ;   in Loop: Header=BB287_2082 Depth=1
	s_delay_alu instid0(SALU_CYCLE_1) | instskip(SKIP_2) | instid1(VALU_DEP_1)
	s_or_b32 exec_lo, exec_lo, s0
	v_lshrrev_b16 v5, 8, v4
	s_mov_b32 s0, exec_lo
	v_cmpx_ne_u16_e32 0, v5
	s_cbranch_execz .LBB287_2802
; %bb.2795:                             ;   in Loop: Header=BB287_2082 Depth=1
	v_dual_mov_b32 v6, s8 :: v_dual_mov_b32 v7, s9
	s_mov_b32 s1, exec_lo
	scratch_store_b64 off, v[6:7], s32 offset:1016 ; 8-byte Folded Spill
	v_cmpx_ne_u16_e32 0x80, v5
	s_cbranch_execz .LBB287_2801
; %bb.2796:                             ;   in Loop: Header=BB287_2082 Depth=1
	s_mov_b32 s12, s8
	v_and_b32_e32 v5, 0xffff, v5
	v_dual_mov_b32 v7, s12 :: v_dual_mov_b32 v8, s13
	s_mov_b32 s2, exec_lo
	s_delay_alu instid0(VALU_DEP_2)
	v_and_b32_e32 v6, 0x7f, v5
	scratch_store_b64 off, v[7:8], s32 offset:1016 ; 8-byte Folded Spill
	v_cmpx_ne_u32_e32 0x7f, v6
	s_cbranch_execz .LBB287_2800
; %bb.2797:                             ;   in Loop: Header=BB287_2082 Depth=1
	v_and_b32_e32 v8, 7, v5
	v_lshrrev_b32_e32 v5, 3, v6
	s_mov_b32 s3, exec_lo
	v_cmpx_gt_u32_e32 8, v6
; %bb.2798:                             ;   in Loop: Header=BB287_2082 Depth=1
	s_delay_alu instid0(VALU_DEP_3) | instskip(NEXT) | instid1(VALU_DEP_1)
	v_clz_i32_u32_e32 v5, v8
	v_min_u32_e32 v5, 32, v5
	s_delay_alu instid0(VALU_DEP_1) | instskip(SKIP_1) | instid1(VALU_DEP_2)
	v_subrev_nc_u32_e32 v6, 28, v5
	v_sub_nc_u32_e32 v5, 29, v5
	v_lshlrev_b64 v[6:7], v6, v[8:9]
	s_delay_alu instid0(VALU_DEP_1)
	v_and_b32_e32 v8, 7, v6
; %bb.2799:                             ;   in Loop: Header=BB287_2082 Depth=1
	s_or_b32 exec_lo, exec_lo, s3
	v_lshlrev_b32_e32 v6, 16, v4
	s_delay_alu instid0(VALU_DEP_2) | instskip(SKIP_1) | instid1(VALU_DEP_3)
	v_lshlrev_b32_e32 v7, 20, v8
	v_lshl_add_u32 v5, v5, 23, 0x3c000000
	v_and_b32_e32 v6, 0x80000000, v6
	s_delay_alu instid0(VALU_DEP_1)
	v_or3_b32 v6, v7, v6, v5
	v_mov_b32_e32 v5, v9
	scratch_store_b64 off, v[5:6], s32 offset:1016 ; 8-byte Folded Spill
.LBB287_2800:                           ;   in Loop: Header=BB287_2082 Depth=1
	s_or_b32 exec_lo, exec_lo, s2
.LBB287_2801:                           ;   in Loop: Header=BB287_2082 Depth=1
	s_delay_alu instid0(SALU_CYCLE_1)
	s_or_b32 exec_lo, exec_lo, s1
.LBB287_2802:                           ;   in Loop: Header=BB287_2082 Depth=1
	s_delay_alu instid0(SALU_CYCLE_1)
	s_or_b32 exec_lo, exec_lo, s0
	v_lshrrev_b32_e32 v5, 16, v4
	v_mov_b32_e32 v7, 0
	v_mov_b32_e32 v8, 0
	s_mov_b32 s0, exec_lo
	s_clause 0x1
	scratch_store_b64 off, v[7:8], s32 offset:1032
	scratch_store_b64 off, v[7:8], s32 offset:1040
	v_and_b32_e32 v6, 0xff, v5
	s_delay_alu instid0(VALU_DEP_1)
	v_cmpx_ne_u16_e32 0, v6
	s_cbranch_execz .LBB287_2810
; %bb.2803:                             ;   in Loop: Header=BB287_2082 Depth=1
	v_cmp_ne_u16_e32 vcc_lo, 0x80, v6
	v_bfrev_b32_e32 v6, 1
	v_mov_b32_e32 v7, 0
	scratch_store_b64 off, v[6:7], s32 offset:1040 ; 8-byte Folded Spill
	s_and_saveexec_b32 s1, vcc_lo
	s_cbranch_execz .LBB287_2809
; %bb.2804:                             ;   in Loop: Header=BB287_2082 Depth=1
	v_mov_b32_e32 v10, 0x7f800001
	v_bfe_u32 v7, v4, 16, 7
	v_mov_b32_e32 v11, 0
	s_mov_b32 s2, exec_lo
	scratch_store_b64 off, v[10:11], s32 offset:1040 ; 8-byte Folded Spill
	v_cmpx_ne_u32_e32 0x7f, v7
	s_cbranch_execz .LBB287_2808
; %bb.2805:                             ;   in Loop: Header=BB287_2082 Depth=1
	v_and_b32_e32 v8, 7, v5
	v_lshrrev_b32_e32 v6, 3, v7
	s_mov_b32 s3, exec_lo
	v_cmpx_gt_u32_e32 8, v7
; %bb.2806:                             ;   in Loop: Header=BB287_2082 Depth=1
	s_delay_alu instid0(VALU_DEP_3) | instskip(NEXT) | instid1(VALU_DEP_1)
	v_clz_i32_u32_e32 v6, v8
	v_min_u32_e32 v6, 32, v6
	s_delay_alu instid0(VALU_DEP_1) | instskip(SKIP_1) | instid1(VALU_DEP_2)
	v_subrev_nc_u32_e32 v7, 28, v6
	v_sub_nc_u32_e32 v6, 29, v6
	v_lshlrev_b64 v[7:8], v7, v[8:9]
	s_delay_alu instid0(VALU_DEP_1)
	v_and_b32_e32 v8, 7, v7
; %bb.2807:                             ;   in Loop: Header=BB287_2082 Depth=1
	s_or_b32 exec_lo, exec_lo, s3
	v_lshlrev_b32_e32 v5, 24, v5
	s_delay_alu instid0(VALU_DEP_2) | instskip(SKIP_1) | instid1(VALU_DEP_3)
	v_lshlrev_b32_e32 v7, 20, v8
	v_lshl_add_u32 v6, v6, 23, 0x3c000000
	v_and_b32_e32 v5, 0x80000000, v5
	s_delay_alu instid0(VALU_DEP_1)
	v_or3_b32 v8, v7, v5, v6
	scratch_store_b64 off, v[8:9], s32 offset:1040 ; 8-byte Folded Spill
.LBB287_2808:                           ;   in Loop: Header=BB287_2082 Depth=1
	s_or_b32 exec_lo, exec_lo, s2
.LBB287_2809:                           ;   in Loop: Header=BB287_2082 Depth=1
	s_delay_alu instid0(SALU_CYCLE_1)
	s_or_b32 exec_lo, exec_lo, s1
.LBB287_2810:                           ;   in Loop: Header=BB287_2082 Depth=1
	s_delay_alu instid0(SALU_CYCLE_1) | instskip(NEXT) | instid1(SALU_CYCLE_1)
	s_or_b32 exec_lo, exec_lo, s0
	s_mov_b32 s0, exec_lo
	v_cmpx_lt_u32_e32 0xffffff, v4
	s_cbranch_execz .LBB287_2818
; %bb.2811:                             ;   in Loop: Header=BB287_2082 Depth=1
	v_lshrrev_b32_e32 v5, 24, v4
	v_dual_mov_b32 v6, s8 :: v_dual_mov_b32 v7, s9
	s_mov_b32 s1, exec_lo
	scratch_store_b64 off, v[6:7], s32 offset:1032 ; 8-byte Folded Spill
	v_cmpx_ne_u32_e32 0x80, v5
	s_cbranch_execz .LBB287_2817
; %bb.2812:                             ;   in Loop: Header=BB287_2082 Depth=1
	s_mov_b32 s12, s8
	v_bfe_u32 v6, v4, 24, 7
	v_dual_mov_b32 v7, s12 :: v_dual_mov_b32 v8, s13
	s_mov_b32 s2, exec_lo
	scratch_store_b64 off, v[7:8], s32 offset:1032 ; 8-byte Folded Spill
	v_cmpx_ne_u32_e32 0x7f, v6
	s_cbranch_execz .LBB287_2816
; %bb.2813:                             ;   in Loop: Header=BB287_2082 Depth=1
	v_and_b32_e32 v8, 7, v5
	v_lshrrev_b32_e32 v4, 3, v6
	s_mov_b32 s3, exec_lo
	v_cmpx_gt_u32_e32 8, v6
; %bb.2814:                             ;   in Loop: Header=BB287_2082 Depth=1
	s_delay_alu instid0(VALU_DEP_3) | instskip(NEXT) | instid1(VALU_DEP_1)
	v_clz_i32_u32_e32 v4, v8
	v_min_u32_e32 v4, 32, v4
	s_delay_alu instid0(VALU_DEP_1) | instskip(SKIP_1) | instid1(VALU_DEP_2)
	v_subrev_nc_u32_e32 v6, 28, v4
	v_sub_nc_u32_e32 v4, 29, v4
	v_lshlrev_b64 v[6:7], v6, v[8:9]
	s_delay_alu instid0(VALU_DEP_1)
	v_and_b32_e32 v8, 7, v6
; %bb.2815:                             ;   in Loop: Header=BB287_2082 Depth=1
	s_or_b32 exec_lo, exec_lo, s3
	v_lshlrev_b32_e32 v5, 24, v5
	s_delay_alu instid0(VALU_DEP_2) | instskip(SKIP_1) | instid1(VALU_DEP_3)
	v_lshlrev_b32_e32 v6, 20, v8
	v_lshl_add_u32 v4, v4, 23, 0x3c000000
	v_and_b32_e32 v5, 0x80000000, v5
	s_delay_alu instid0(VALU_DEP_1)
	v_or3_b32 v5, v6, v5, v4
	v_mov_b32_e32 v4, v9
	scratch_store_b64 off, v[4:5], s32 offset:1032 ; 8-byte Folded Spill
.LBB287_2816:                           ;   in Loop: Header=BB287_2082 Depth=1
	s_or_b32 exec_lo, exec_lo, s2
.LBB287_2817:                           ;   in Loop: Header=BB287_2082 Depth=1
	s_delay_alu instid0(SALU_CYCLE_1)
	s_or_b32 exec_lo, exec_lo, s1
.LBB287_2818:                           ;   in Loop: Header=BB287_2082 Depth=1
	s_delay_alu instid0(SALU_CYCLE_1)
	s_or_b32 exec_lo, exec_lo, s0
	flat_load_b32 v4, v[34:35] offset:2944
	v_mov_b32_e32 v6, 0
	v_mov_b32_e32 v7, 0
	s_mov_b32 s0, exec_lo
	s_clause 0x1
	scratch_store_b64 off, v[6:7], s32 offset:1048
	scratch_store_b64 off, v[6:7], s32 offset:1056
	s_waitcnt vmcnt(0) lgkmcnt(0)
	v_and_b32_e32 v5, 0xff, v4
	s_delay_alu instid0(VALU_DEP_1)
	v_cmpx_ne_u16_e32 0, v5
	s_cbranch_execz .LBB287_2826
; %bb.2819:                             ;   in Loop: Header=BB287_2082 Depth=1
	v_cmp_ne_u16_e32 vcc_lo, 0x80, v5
	v_bfrev_b32_e32 v5, 1
	v_mov_b32_e32 v6, 0
	scratch_store_b64 off, v[5:6], s32 offset:1056 ; 8-byte Folded Spill
	s_and_saveexec_b32 s1, vcc_lo
	s_cbranch_execz .LBB287_2825
; %bb.2820:                             ;   in Loop: Header=BB287_2082 Depth=1
	v_mov_b32_e32 v7, 0x7f800001
	v_and_b32_e32 v6, 0x7f, v4
	v_mov_b32_e32 v8, 0
	s_mov_b32 s2, exec_lo
	scratch_store_b64 off, v[7:8], s32 offset:1056 ; 8-byte Folded Spill
	v_cmpx_ne_u32_e32 0x7f, v6
	s_cbranch_execz .LBB287_2824
; %bb.2821:                             ;   in Loop: Header=BB287_2082 Depth=1
	v_and_b32_e32 v8, 7, v4
	v_lshrrev_b32_e32 v5, 3, v6
	s_mov_b32 s3, exec_lo
	v_cmpx_gt_u32_e32 8, v6
; %bb.2822:                             ;   in Loop: Header=BB287_2082 Depth=1
	s_delay_alu instid0(VALU_DEP_3) | instskip(NEXT) | instid1(VALU_DEP_1)
	v_clz_i32_u32_e32 v5, v8
	v_min_u32_e32 v5, 32, v5
	s_delay_alu instid0(VALU_DEP_1) | instskip(SKIP_1) | instid1(VALU_DEP_2)
	v_subrev_nc_u32_e32 v6, 28, v5
	v_sub_nc_u32_e32 v5, 29, v5
	v_lshlrev_b64 v[6:7], v6, v[8:9]
	s_delay_alu instid0(VALU_DEP_1)
	v_and_b32_e32 v8, 7, v6
; %bb.2823:                             ;   in Loop: Header=BB287_2082 Depth=1
	s_or_b32 exec_lo, exec_lo, s3
	v_lshlrev_b32_e32 v6, 24, v4
	s_delay_alu instid0(VALU_DEP_2) | instskip(SKIP_1) | instid1(VALU_DEP_3)
	v_lshlrev_b32_e32 v7, 20, v8
	v_lshl_add_u32 v5, v5, 23, 0x3c000000
	v_and_b32_e32 v6, 0x80000000, v6
	s_delay_alu instid0(VALU_DEP_1)
	v_or3_b32 v8, v7, v6, v5
	scratch_store_b64 off, v[8:9], s32 offset:1056 ; 8-byte Folded Spill
.LBB287_2824:                           ;   in Loop: Header=BB287_2082 Depth=1
	s_or_b32 exec_lo, exec_lo, s2
.LBB287_2825:                           ;   in Loop: Header=BB287_2082 Depth=1
	s_delay_alu instid0(SALU_CYCLE_1)
	s_or_b32 exec_lo, exec_lo, s1
.LBB287_2826:                           ;   in Loop: Header=BB287_2082 Depth=1
	s_delay_alu instid0(SALU_CYCLE_1) | instskip(SKIP_2) | instid1(VALU_DEP_1)
	s_or_b32 exec_lo, exec_lo, s0
	v_lshrrev_b16 v5, 8, v4
	s_mov_b32 s0, exec_lo
	v_cmpx_ne_u16_e32 0, v5
	s_cbranch_execz .LBB287_2834
; %bb.2827:                             ;   in Loop: Header=BB287_2082 Depth=1
	v_dual_mov_b32 v6, s8 :: v_dual_mov_b32 v7, s9
	s_mov_b32 s1, exec_lo
	scratch_store_b64 off, v[6:7], s32 offset:1048 ; 8-byte Folded Spill
	v_cmpx_ne_u16_e32 0x80, v5
	s_cbranch_execz .LBB287_2833
; %bb.2828:                             ;   in Loop: Header=BB287_2082 Depth=1
	s_mov_b32 s12, s8
	v_and_b32_e32 v5, 0xffff, v5
	v_dual_mov_b32 v7, s12 :: v_dual_mov_b32 v8, s13
	s_mov_b32 s2, exec_lo
	s_delay_alu instid0(VALU_DEP_2)
	v_and_b32_e32 v6, 0x7f, v5
	scratch_store_b64 off, v[7:8], s32 offset:1048 ; 8-byte Folded Spill
	v_cmpx_ne_u32_e32 0x7f, v6
	s_cbranch_execz .LBB287_2832
; %bb.2829:                             ;   in Loop: Header=BB287_2082 Depth=1
	v_and_b32_e32 v8, 7, v5
	v_lshrrev_b32_e32 v5, 3, v6
	s_mov_b32 s3, exec_lo
	v_cmpx_gt_u32_e32 8, v6
; %bb.2830:                             ;   in Loop: Header=BB287_2082 Depth=1
	s_delay_alu instid0(VALU_DEP_3) | instskip(NEXT) | instid1(VALU_DEP_1)
	v_clz_i32_u32_e32 v5, v8
	v_min_u32_e32 v5, 32, v5
	s_delay_alu instid0(VALU_DEP_1) | instskip(SKIP_1) | instid1(VALU_DEP_2)
	v_subrev_nc_u32_e32 v6, 28, v5
	v_sub_nc_u32_e32 v5, 29, v5
	v_lshlrev_b64 v[6:7], v6, v[8:9]
	s_delay_alu instid0(VALU_DEP_1)
	v_and_b32_e32 v8, 7, v6
; %bb.2831:                             ;   in Loop: Header=BB287_2082 Depth=1
	s_or_b32 exec_lo, exec_lo, s3
	v_lshlrev_b32_e32 v6, 16, v4
	s_delay_alu instid0(VALU_DEP_2) | instskip(SKIP_1) | instid1(VALU_DEP_3)
	v_lshlrev_b32_e32 v7, 20, v8
	v_lshl_add_u32 v5, v5, 23, 0x3c000000
	v_and_b32_e32 v6, 0x80000000, v6
	s_delay_alu instid0(VALU_DEP_1)
	v_or3_b32 v6, v7, v6, v5
	v_mov_b32_e32 v5, v9
	scratch_store_b64 off, v[5:6], s32 offset:1048 ; 8-byte Folded Spill
.LBB287_2832:                           ;   in Loop: Header=BB287_2082 Depth=1
	s_or_b32 exec_lo, exec_lo, s2
.LBB287_2833:                           ;   in Loop: Header=BB287_2082 Depth=1
	s_delay_alu instid0(SALU_CYCLE_1)
	s_or_b32 exec_lo, exec_lo, s1
.LBB287_2834:                           ;   in Loop: Header=BB287_2082 Depth=1
	s_delay_alu instid0(SALU_CYCLE_1)
	s_or_b32 exec_lo, exec_lo, s0
	v_lshrrev_b32_e32 v5, 16, v4
	v_mov_b32_e32 v7, 0
	v_mov_b32_e32 v8, 0
	s_mov_b32 s0, exec_lo
	s_clause 0x1
	scratch_store_b64 off, v[7:8], s32 offset:1064
	scratch_store_b64 off, v[7:8], s32 offset:1072
	v_and_b32_e32 v6, 0xff, v5
	s_delay_alu instid0(VALU_DEP_1)
	v_cmpx_ne_u16_e32 0, v6
	s_cbranch_execz .LBB287_2842
; %bb.2835:                             ;   in Loop: Header=BB287_2082 Depth=1
	v_cmp_ne_u16_e32 vcc_lo, 0x80, v6
	v_bfrev_b32_e32 v6, 1
	v_mov_b32_e32 v7, 0
	scratch_store_b64 off, v[6:7], s32 offset:1072 ; 8-byte Folded Spill
	s_and_saveexec_b32 s1, vcc_lo
	s_cbranch_execz .LBB287_2841
; %bb.2836:                             ;   in Loop: Header=BB287_2082 Depth=1
	v_mov_b32_e32 v10, 0x7f800001
	v_bfe_u32 v7, v4, 16, 7
	v_mov_b32_e32 v11, 0
	s_mov_b32 s2, exec_lo
	scratch_store_b64 off, v[10:11], s32 offset:1072 ; 8-byte Folded Spill
	v_cmpx_ne_u32_e32 0x7f, v7
	s_cbranch_execz .LBB287_2840
; %bb.2837:                             ;   in Loop: Header=BB287_2082 Depth=1
	v_and_b32_e32 v8, 7, v5
	v_lshrrev_b32_e32 v6, 3, v7
	s_mov_b32 s3, exec_lo
	v_cmpx_gt_u32_e32 8, v7
; %bb.2838:                             ;   in Loop: Header=BB287_2082 Depth=1
	s_delay_alu instid0(VALU_DEP_3) | instskip(NEXT) | instid1(VALU_DEP_1)
	v_clz_i32_u32_e32 v6, v8
	v_min_u32_e32 v6, 32, v6
	s_delay_alu instid0(VALU_DEP_1) | instskip(SKIP_1) | instid1(VALU_DEP_2)
	v_subrev_nc_u32_e32 v7, 28, v6
	v_sub_nc_u32_e32 v6, 29, v6
	v_lshlrev_b64 v[7:8], v7, v[8:9]
	s_delay_alu instid0(VALU_DEP_1)
	v_and_b32_e32 v8, 7, v7
; %bb.2839:                             ;   in Loop: Header=BB287_2082 Depth=1
	s_or_b32 exec_lo, exec_lo, s3
	v_lshlrev_b32_e32 v5, 24, v5
	s_delay_alu instid0(VALU_DEP_2) | instskip(SKIP_1) | instid1(VALU_DEP_3)
	v_lshlrev_b32_e32 v7, 20, v8
	v_lshl_add_u32 v6, v6, 23, 0x3c000000
	v_and_b32_e32 v5, 0x80000000, v5
	s_delay_alu instid0(VALU_DEP_1)
	v_or3_b32 v8, v7, v5, v6
	scratch_store_b64 off, v[8:9], s32 offset:1072 ; 8-byte Folded Spill
.LBB287_2840:                           ;   in Loop: Header=BB287_2082 Depth=1
	s_or_b32 exec_lo, exec_lo, s2
.LBB287_2841:                           ;   in Loop: Header=BB287_2082 Depth=1
	s_delay_alu instid0(SALU_CYCLE_1)
	s_or_b32 exec_lo, exec_lo, s1
.LBB287_2842:                           ;   in Loop: Header=BB287_2082 Depth=1
	s_delay_alu instid0(SALU_CYCLE_1) | instskip(NEXT) | instid1(SALU_CYCLE_1)
	s_or_b32 exec_lo, exec_lo, s0
	s_mov_b32 s0, exec_lo
	v_cmpx_lt_u32_e32 0xffffff, v4
	s_cbranch_execz .LBB287_2850
; %bb.2843:                             ;   in Loop: Header=BB287_2082 Depth=1
	v_lshrrev_b32_e32 v5, 24, v4
	v_dual_mov_b32 v6, s8 :: v_dual_mov_b32 v7, s9
	s_mov_b32 s1, exec_lo
	scratch_store_b64 off, v[6:7], s32 offset:1064 ; 8-byte Folded Spill
	v_cmpx_ne_u32_e32 0x80, v5
	s_cbranch_execz .LBB287_2849
; %bb.2844:                             ;   in Loop: Header=BB287_2082 Depth=1
	s_mov_b32 s12, s8
	v_bfe_u32 v6, v4, 24, 7
	v_dual_mov_b32 v7, s12 :: v_dual_mov_b32 v8, s13
	s_mov_b32 s2, exec_lo
	scratch_store_b64 off, v[7:8], s32 offset:1064 ; 8-byte Folded Spill
	v_cmpx_ne_u32_e32 0x7f, v6
	s_cbranch_execz .LBB287_2848
; %bb.2845:                             ;   in Loop: Header=BB287_2082 Depth=1
	v_and_b32_e32 v8, 7, v5
	v_lshrrev_b32_e32 v4, 3, v6
	s_mov_b32 s3, exec_lo
	v_cmpx_gt_u32_e32 8, v6
; %bb.2846:                             ;   in Loop: Header=BB287_2082 Depth=1
	s_delay_alu instid0(VALU_DEP_3) | instskip(NEXT) | instid1(VALU_DEP_1)
	v_clz_i32_u32_e32 v4, v8
	v_min_u32_e32 v4, 32, v4
	s_delay_alu instid0(VALU_DEP_1) | instskip(SKIP_1) | instid1(VALU_DEP_2)
	v_subrev_nc_u32_e32 v6, 28, v4
	v_sub_nc_u32_e32 v4, 29, v4
	v_lshlrev_b64 v[6:7], v6, v[8:9]
	s_delay_alu instid0(VALU_DEP_1)
	v_and_b32_e32 v8, 7, v6
; %bb.2847:                             ;   in Loop: Header=BB287_2082 Depth=1
	s_or_b32 exec_lo, exec_lo, s3
	v_lshlrev_b32_e32 v5, 24, v5
	s_delay_alu instid0(VALU_DEP_2) | instskip(SKIP_1) | instid1(VALU_DEP_3)
	v_lshlrev_b32_e32 v6, 20, v8
	v_lshl_add_u32 v4, v4, 23, 0x3c000000
	v_and_b32_e32 v5, 0x80000000, v5
	s_delay_alu instid0(VALU_DEP_1)
	v_or3_b32 v5, v6, v5, v4
	v_mov_b32_e32 v4, v9
	scratch_store_b64 off, v[4:5], s32 offset:1064 ; 8-byte Folded Spill
.LBB287_2848:                           ;   in Loop: Header=BB287_2082 Depth=1
	s_or_b32 exec_lo, exec_lo, s2
.LBB287_2849:                           ;   in Loop: Header=BB287_2082 Depth=1
	s_delay_alu instid0(SALU_CYCLE_1)
	s_or_b32 exec_lo, exec_lo, s1
.LBB287_2850:                           ;   in Loop: Header=BB287_2082 Depth=1
	s_delay_alu instid0(SALU_CYCLE_1)
	s_or_b32 exec_lo, exec_lo, s0
	flat_load_b32 v4, v[34:35] offset:3072
	v_mov_b32_e32 v6, 0
	v_mov_b32_e32 v7, 0
	s_mov_b32 s0, exec_lo
	s_clause 0x1
	scratch_store_b64 off, v[6:7], s32 offset:1080
	scratch_store_b64 off, v[6:7], s32 offset:1088
	s_waitcnt vmcnt(0) lgkmcnt(0)
	v_and_b32_e32 v5, 0xff, v4
	s_delay_alu instid0(VALU_DEP_1)
	v_cmpx_ne_u16_e32 0, v5
	s_cbranch_execz .LBB287_2858
; %bb.2851:                             ;   in Loop: Header=BB287_2082 Depth=1
	v_cmp_ne_u16_e32 vcc_lo, 0x80, v5
	v_bfrev_b32_e32 v5, 1
	v_mov_b32_e32 v6, 0
	scratch_store_b64 off, v[5:6], s32 offset:1088 ; 8-byte Folded Spill
	s_and_saveexec_b32 s1, vcc_lo
	s_cbranch_execz .LBB287_2857
; %bb.2852:                             ;   in Loop: Header=BB287_2082 Depth=1
	v_mov_b32_e32 v7, 0x7f800001
	v_and_b32_e32 v6, 0x7f, v4
	v_mov_b32_e32 v8, 0
	s_mov_b32 s2, exec_lo
	scratch_store_b64 off, v[7:8], s32 offset:1088 ; 8-byte Folded Spill
	v_cmpx_ne_u32_e32 0x7f, v6
	s_cbranch_execz .LBB287_2856
; %bb.2853:                             ;   in Loop: Header=BB287_2082 Depth=1
	v_and_b32_e32 v8, 7, v4
	v_lshrrev_b32_e32 v5, 3, v6
	s_mov_b32 s3, exec_lo
	v_cmpx_gt_u32_e32 8, v6
; %bb.2854:                             ;   in Loop: Header=BB287_2082 Depth=1
	s_delay_alu instid0(VALU_DEP_3) | instskip(NEXT) | instid1(VALU_DEP_1)
	v_clz_i32_u32_e32 v5, v8
	v_min_u32_e32 v5, 32, v5
	s_delay_alu instid0(VALU_DEP_1) | instskip(SKIP_1) | instid1(VALU_DEP_2)
	v_subrev_nc_u32_e32 v6, 28, v5
	v_sub_nc_u32_e32 v5, 29, v5
	v_lshlrev_b64 v[6:7], v6, v[8:9]
	s_delay_alu instid0(VALU_DEP_1)
	v_and_b32_e32 v8, 7, v6
; %bb.2855:                             ;   in Loop: Header=BB287_2082 Depth=1
	s_or_b32 exec_lo, exec_lo, s3
	v_lshlrev_b32_e32 v6, 24, v4
	s_delay_alu instid0(VALU_DEP_2) | instskip(SKIP_1) | instid1(VALU_DEP_3)
	v_lshlrev_b32_e32 v7, 20, v8
	v_lshl_add_u32 v5, v5, 23, 0x3c000000
	v_and_b32_e32 v6, 0x80000000, v6
	s_delay_alu instid0(VALU_DEP_1)
	v_or3_b32 v8, v7, v6, v5
	scratch_store_b64 off, v[8:9], s32 offset:1088 ; 8-byte Folded Spill
.LBB287_2856:                           ;   in Loop: Header=BB287_2082 Depth=1
	s_or_b32 exec_lo, exec_lo, s2
.LBB287_2857:                           ;   in Loop: Header=BB287_2082 Depth=1
	s_delay_alu instid0(SALU_CYCLE_1)
	s_or_b32 exec_lo, exec_lo, s1
.LBB287_2858:                           ;   in Loop: Header=BB287_2082 Depth=1
	s_delay_alu instid0(SALU_CYCLE_1) | instskip(SKIP_2) | instid1(VALU_DEP_1)
	s_or_b32 exec_lo, exec_lo, s0
	v_lshrrev_b16 v5, 8, v4
	s_mov_b32 s0, exec_lo
	v_cmpx_ne_u16_e32 0, v5
	s_cbranch_execz .LBB287_2866
; %bb.2859:                             ;   in Loop: Header=BB287_2082 Depth=1
	v_dual_mov_b32 v6, s8 :: v_dual_mov_b32 v7, s9
	s_mov_b32 s1, exec_lo
	scratch_store_b64 off, v[6:7], s32 offset:1080 ; 8-byte Folded Spill
	v_cmpx_ne_u16_e32 0x80, v5
	s_cbranch_execz .LBB287_2865
; %bb.2860:                             ;   in Loop: Header=BB287_2082 Depth=1
	s_mov_b32 s12, s8
	v_and_b32_e32 v5, 0xffff, v5
	v_dual_mov_b32 v7, s12 :: v_dual_mov_b32 v8, s13
	s_mov_b32 s2, exec_lo
	s_delay_alu instid0(VALU_DEP_2)
	v_and_b32_e32 v6, 0x7f, v5
	scratch_store_b64 off, v[7:8], s32 offset:1080 ; 8-byte Folded Spill
	v_cmpx_ne_u32_e32 0x7f, v6
	s_cbranch_execz .LBB287_2864
; %bb.2861:                             ;   in Loop: Header=BB287_2082 Depth=1
	v_and_b32_e32 v8, 7, v5
	v_lshrrev_b32_e32 v5, 3, v6
	s_mov_b32 s3, exec_lo
	v_cmpx_gt_u32_e32 8, v6
; %bb.2862:                             ;   in Loop: Header=BB287_2082 Depth=1
	s_delay_alu instid0(VALU_DEP_3) | instskip(NEXT) | instid1(VALU_DEP_1)
	v_clz_i32_u32_e32 v5, v8
	v_min_u32_e32 v5, 32, v5
	s_delay_alu instid0(VALU_DEP_1) | instskip(SKIP_1) | instid1(VALU_DEP_2)
	v_subrev_nc_u32_e32 v6, 28, v5
	v_sub_nc_u32_e32 v5, 29, v5
	v_lshlrev_b64 v[6:7], v6, v[8:9]
	s_delay_alu instid0(VALU_DEP_1)
	v_and_b32_e32 v8, 7, v6
; %bb.2863:                             ;   in Loop: Header=BB287_2082 Depth=1
	s_or_b32 exec_lo, exec_lo, s3
	v_lshlrev_b32_e32 v6, 16, v4
	s_delay_alu instid0(VALU_DEP_2) | instskip(SKIP_1) | instid1(VALU_DEP_3)
	v_lshlrev_b32_e32 v7, 20, v8
	v_lshl_add_u32 v5, v5, 23, 0x3c000000
	v_and_b32_e32 v6, 0x80000000, v6
	s_delay_alu instid0(VALU_DEP_1)
	v_or3_b32 v6, v7, v6, v5
	v_mov_b32_e32 v5, v9
	scratch_store_b64 off, v[5:6], s32 offset:1080 ; 8-byte Folded Spill
.LBB287_2864:                           ;   in Loop: Header=BB287_2082 Depth=1
	s_or_b32 exec_lo, exec_lo, s2
.LBB287_2865:                           ;   in Loop: Header=BB287_2082 Depth=1
	s_delay_alu instid0(SALU_CYCLE_1)
	s_or_b32 exec_lo, exec_lo, s1
.LBB287_2866:                           ;   in Loop: Header=BB287_2082 Depth=1
	s_delay_alu instid0(SALU_CYCLE_1)
	s_or_b32 exec_lo, exec_lo, s0
	v_lshrrev_b32_e32 v5, 16, v4
	v_mov_b32_e32 v7, 0
	v_mov_b32_e32 v8, 0
	s_mov_b32 s0, exec_lo
	s_clause 0x1
	scratch_store_b64 off, v[7:8], s32 offset:1096
	scratch_store_b64 off, v[7:8], s32 offset:1104
	v_and_b32_e32 v6, 0xff, v5
	s_delay_alu instid0(VALU_DEP_1)
	v_cmpx_ne_u16_e32 0, v6
	s_cbranch_execz .LBB287_2874
; %bb.2867:                             ;   in Loop: Header=BB287_2082 Depth=1
	v_cmp_ne_u16_e32 vcc_lo, 0x80, v6
	v_bfrev_b32_e32 v6, 1
	v_mov_b32_e32 v7, 0
	scratch_store_b64 off, v[6:7], s32 offset:1104 ; 8-byte Folded Spill
	s_and_saveexec_b32 s1, vcc_lo
	s_cbranch_execz .LBB287_2873
; %bb.2868:                             ;   in Loop: Header=BB287_2082 Depth=1
	v_mov_b32_e32 v10, 0x7f800001
	v_bfe_u32 v7, v4, 16, 7
	v_mov_b32_e32 v11, 0
	s_mov_b32 s2, exec_lo
	scratch_store_b64 off, v[10:11], s32 offset:1104 ; 8-byte Folded Spill
	v_cmpx_ne_u32_e32 0x7f, v7
	s_cbranch_execz .LBB287_2872
; %bb.2869:                             ;   in Loop: Header=BB287_2082 Depth=1
	v_and_b32_e32 v8, 7, v5
	v_lshrrev_b32_e32 v6, 3, v7
	s_mov_b32 s3, exec_lo
	v_cmpx_gt_u32_e32 8, v7
; %bb.2870:                             ;   in Loop: Header=BB287_2082 Depth=1
	s_delay_alu instid0(VALU_DEP_3) | instskip(NEXT) | instid1(VALU_DEP_1)
	v_clz_i32_u32_e32 v6, v8
	v_min_u32_e32 v6, 32, v6
	s_delay_alu instid0(VALU_DEP_1) | instskip(SKIP_1) | instid1(VALU_DEP_2)
	v_subrev_nc_u32_e32 v7, 28, v6
	v_sub_nc_u32_e32 v6, 29, v6
	v_lshlrev_b64 v[7:8], v7, v[8:9]
	s_delay_alu instid0(VALU_DEP_1)
	v_and_b32_e32 v8, 7, v7
; %bb.2871:                             ;   in Loop: Header=BB287_2082 Depth=1
	s_or_b32 exec_lo, exec_lo, s3
	v_lshlrev_b32_e32 v5, 24, v5
	s_delay_alu instid0(VALU_DEP_2) | instskip(SKIP_1) | instid1(VALU_DEP_3)
	v_lshlrev_b32_e32 v7, 20, v8
	v_lshl_add_u32 v6, v6, 23, 0x3c000000
	v_and_b32_e32 v5, 0x80000000, v5
	s_delay_alu instid0(VALU_DEP_1)
	v_or3_b32 v8, v7, v5, v6
	scratch_store_b64 off, v[8:9], s32 offset:1104 ; 8-byte Folded Spill
.LBB287_2872:                           ;   in Loop: Header=BB287_2082 Depth=1
	s_or_b32 exec_lo, exec_lo, s2
.LBB287_2873:                           ;   in Loop: Header=BB287_2082 Depth=1
	s_delay_alu instid0(SALU_CYCLE_1)
	s_or_b32 exec_lo, exec_lo, s1
.LBB287_2874:                           ;   in Loop: Header=BB287_2082 Depth=1
	s_delay_alu instid0(SALU_CYCLE_1) | instskip(NEXT) | instid1(SALU_CYCLE_1)
	s_or_b32 exec_lo, exec_lo, s0
	s_mov_b32 s0, exec_lo
	v_cmpx_lt_u32_e32 0xffffff, v4
	s_cbranch_execz .LBB287_2882
; %bb.2875:                             ;   in Loop: Header=BB287_2082 Depth=1
	v_lshrrev_b32_e32 v5, 24, v4
	v_dual_mov_b32 v6, s8 :: v_dual_mov_b32 v7, s9
	s_mov_b32 s1, exec_lo
	scratch_store_b64 off, v[6:7], s32 offset:1096 ; 8-byte Folded Spill
	v_cmpx_ne_u32_e32 0x80, v5
	s_cbranch_execz .LBB287_2881
; %bb.2876:                             ;   in Loop: Header=BB287_2082 Depth=1
	s_mov_b32 s12, s8
	v_bfe_u32 v6, v4, 24, 7
	v_dual_mov_b32 v7, s12 :: v_dual_mov_b32 v8, s13
	s_mov_b32 s2, exec_lo
	scratch_store_b64 off, v[7:8], s32 offset:1096 ; 8-byte Folded Spill
	v_cmpx_ne_u32_e32 0x7f, v6
	s_cbranch_execz .LBB287_2880
; %bb.2877:                             ;   in Loop: Header=BB287_2082 Depth=1
	v_and_b32_e32 v8, 7, v5
	v_lshrrev_b32_e32 v4, 3, v6
	s_mov_b32 s3, exec_lo
	v_cmpx_gt_u32_e32 8, v6
; %bb.2878:                             ;   in Loop: Header=BB287_2082 Depth=1
	s_delay_alu instid0(VALU_DEP_3) | instskip(NEXT) | instid1(VALU_DEP_1)
	v_clz_i32_u32_e32 v4, v8
	v_min_u32_e32 v4, 32, v4
	s_delay_alu instid0(VALU_DEP_1) | instskip(SKIP_1) | instid1(VALU_DEP_2)
	v_subrev_nc_u32_e32 v6, 28, v4
	v_sub_nc_u32_e32 v4, 29, v4
	v_lshlrev_b64 v[6:7], v6, v[8:9]
	s_delay_alu instid0(VALU_DEP_1)
	v_and_b32_e32 v8, 7, v6
; %bb.2879:                             ;   in Loop: Header=BB287_2082 Depth=1
	s_or_b32 exec_lo, exec_lo, s3
	v_lshlrev_b32_e32 v5, 24, v5
	s_delay_alu instid0(VALU_DEP_2) | instskip(SKIP_1) | instid1(VALU_DEP_3)
	v_lshlrev_b32_e32 v6, 20, v8
	v_lshl_add_u32 v4, v4, 23, 0x3c000000
	v_and_b32_e32 v5, 0x80000000, v5
	s_delay_alu instid0(VALU_DEP_1)
	v_or3_b32 v5, v6, v5, v4
	v_mov_b32_e32 v4, v9
	scratch_store_b64 off, v[4:5], s32 offset:1096 ; 8-byte Folded Spill
.LBB287_2880:                           ;   in Loop: Header=BB287_2082 Depth=1
	s_or_b32 exec_lo, exec_lo, s2
.LBB287_2881:                           ;   in Loop: Header=BB287_2082 Depth=1
	s_delay_alu instid0(SALU_CYCLE_1)
	s_or_b32 exec_lo, exec_lo, s1
.LBB287_2882:                           ;   in Loop: Header=BB287_2082 Depth=1
	s_delay_alu instid0(SALU_CYCLE_1)
	s_or_b32 exec_lo, exec_lo, s0
	flat_load_b32 v4, v[34:35] offset:3200
	v_mov_b32_e32 v6, 0
	v_mov_b32_e32 v7, 0
	s_mov_b32 s0, exec_lo
	s_clause 0x1
	scratch_store_b64 off, v[6:7], s32 offset:1112
	scratch_store_b64 off, v[6:7], s32 offset:1120
	s_waitcnt vmcnt(0) lgkmcnt(0)
	v_and_b32_e32 v5, 0xff, v4
	s_delay_alu instid0(VALU_DEP_1)
	v_cmpx_ne_u16_e32 0, v5
	s_cbranch_execz .LBB287_2890
; %bb.2883:                             ;   in Loop: Header=BB287_2082 Depth=1
	v_cmp_ne_u16_e32 vcc_lo, 0x80, v5
	v_bfrev_b32_e32 v5, 1
	v_mov_b32_e32 v6, 0
	scratch_store_b64 off, v[5:6], s32 offset:1120 ; 8-byte Folded Spill
	s_and_saveexec_b32 s1, vcc_lo
	s_cbranch_execz .LBB287_2889
; %bb.2884:                             ;   in Loop: Header=BB287_2082 Depth=1
	v_mov_b32_e32 v7, 0x7f800001
	v_and_b32_e32 v6, 0x7f, v4
	v_mov_b32_e32 v8, 0
	s_mov_b32 s2, exec_lo
	scratch_store_b64 off, v[7:8], s32 offset:1120 ; 8-byte Folded Spill
	v_cmpx_ne_u32_e32 0x7f, v6
	s_cbranch_execz .LBB287_2888
; %bb.2885:                             ;   in Loop: Header=BB287_2082 Depth=1
	v_and_b32_e32 v8, 7, v4
	v_lshrrev_b32_e32 v5, 3, v6
	s_mov_b32 s3, exec_lo
	v_cmpx_gt_u32_e32 8, v6
; %bb.2886:                             ;   in Loop: Header=BB287_2082 Depth=1
	s_delay_alu instid0(VALU_DEP_3) | instskip(NEXT) | instid1(VALU_DEP_1)
	v_clz_i32_u32_e32 v5, v8
	v_min_u32_e32 v5, 32, v5
	s_delay_alu instid0(VALU_DEP_1) | instskip(SKIP_1) | instid1(VALU_DEP_2)
	v_subrev_nc_u32_e32 v6, 28, v5
	v_sub_nc_u32_e32 v5, 29, v5
	v_lshlrev_b64 v[6:7], v6, v[8:9]
	s_delay_alu instid0(VALU_DEP_1)
	v_and_b32_e32 v8, 7, v6
; %bb.2887:                             ;   in Loop: Header=BB287_2082 Depth=1
	s_or_b32 exec_lo, exec_lo, s3
	v_lshlrev_b32_e32 v6, 24, v4
	s_delay_alu instid0(VALU_DEP_2) | instskip(SKIP_1) | instid1(VALU_DEP_3)
	v_lshlrev_b32_e32 v7, 20, v8
	v_lshl_add_u32 v5, v5, 23, 0x3c000000
	v_and_b32_e32 v6, 0x80000000, v6
	s_delay_alu instid0(VALU_DEP_1)
	v_or3_b32 v8, v7, v6, v5
	scratch_store_b64 off, v[8:9], s32 offset:1120 ; 8-byte Folded Spill
.LBB287_2888:                           ;   in Loop: Header=BB287_2082 Depth=1
	s_or_b32 exec_lo, exec_lo, s2
.LBB287_2889:                           ;   in Loop: Header=BB287_2082 Depth=1
	s_delay_alu instid0(SALU_CYCLE_1)
	s_or_b32 exec_lo, exec_lo, s1
.LBB287_2890:                           ;   in Loop: Header=BB287_2082 Depth=1
	s_delay_alu instid0(SALU_CYCLE_1) | instskip(SKIP_2) | instid1(VALU_DEP_1)
	s_or_b32 exec_lo, exec_lo, s0
	v_lshrrev_b16 v5, 8, v4
	s_mov_b32 s0, exec_lo
	v_cmpx_ne_u16_e32 0, v5
	s_cbranch_execz .LBB287_2898
; %bb.2891:                             ;   in Loop: Header=BB287_2082 Depth=1
	v_dual_mov_b32 v6, s8 :: v_dual_mov_b32 v7, s9
	s_mov_b32 s1, exec_lo
	scratch_store_b64 off, v[6:7], s32 offset:1112 ; 8-byte Folded Spill
	v_cmpx_ne_u16_e32 0x80, v5
	s_cbranch_execz .LBB287_2897
; %bb.2892:                             ;   in Loop: Header=BB287_2082 Depth=1
	s_mov_b32 s12, s8
	v_and_b32_e32 v5, 0xffff, v5
	v_dual_mov_b32 v7, s12 :: v_dual_mov_b32 v8, s13
	s_mov_b32 s2, exec_lo
	s_delay_alu instid0(VALU_DEP_2)
	v_and_b32_e32 v6, 0x7f, v5
	scratch_store_b64 off, v[7:8], s32 offset:1112 ; 8-byte Folded Spill
	v_cmpx_ne_u32_e32 0x7f, v6
	s_cbranch_execz .LBB287_2896
; %bb.2893:                             ;   in Loop: Header=BB287_2082 Depth=1
	v_and_b32_e32 v8, 7, v5
	v_lshrrev_b32_e32 v5, 3, v6
	s_mov_b32 s3, exec_lo
	v_cmpx_gt_u32_e32 8, v6
; %bb.2894:                             ;   in Loop: Header=BB287_2082 Depth=1
	s_delay_alu instid0(VALU_DEP_3) | instskip(NEXT) | instid1(VALU_DEP_1)
	v_clz_i32_u32_e32 v5, v8
	v_min_u32_e32 v5, 32, v5
	s_delay_alu instid0(VALU_DEP_1) | instskip(SKIP_1) | instid1(VALU_DEP_2)
	v_subrev_nc_u32_e32 v6, 28, v5
	v_sub_nc_u32_e32 v5, 29, v5
	v_lshlrev_b64 v[6:7], v6, v[8:9]
	s_delay_alu instid0(VALU_DEP_1)
	v_and_b32_e32 v8, 7, v6
; %bb.2895:                             ;   in Loop: Header=BB287_2082 Depth=1
	s_or_b32 exec_lo, exec_lo, s3
	v_lshlrev_b32_e32 v6, 16, v4
	s_delay_alu instid0(VALU_DEP_2) | instskip(SKIP_1) | instid1(VALU_DEP_3)
	v_lshlrev_b32_e32 v7, 20, v8
	v_lshl_add_u32 v5, v5, 23, 0x3c000000
	v_and_b32_e32 v6, 0x80000000, v6
	s_delay_alu instid0(VALU_DEP_1)
	v_or3_b32 v6, v7, v6, v5
	v_mov_b32_e32 v5, v9
	scratch_store_b64 off, v[5:6], s32 offset:1112 ; 8-byte Folded Spill
.LBB287_2896:                           ;   in Loop: Header=BB287_2082 Depth=1
	s_or_b32 exec_lo, exec_lo, s2
.LBB287_2897:                           ;   in Loop: Header=BB287_2082 Depth=1
	s_delay_alu instid0(SALU_CYCLE_1)
	s_or_b32 exec_lo, exec_lo, s1
.LBB287_2898:                           ;   in Loop: Header=BB287_2082 Depth=1
	s_delay_alu instid0(SALU_CYCLE_1)
	s_or_b32 exec_lo, exec_lo, s0
	v_lshrrev_b32_e32 v5, 16, v4
	v_mov_b32_e32 v7, 0
	v_mov_b32_e32 v8, 0
	s_mov_b32 s0, exec_lo
	s_clause 0x1
	scratch_store_b64 off, v[7:8], s32 offset:1128
	scratch_store_b64 off, v[7:8], s32 offset:1136
	v_and_b32_e32 v6, 0xff, v5
	s_delay_alu instid0(VALU_DEP_1)
	v_cmpx_ne_u16_e32 0, v6
	s_cbranch_execz .LBB287_2906
; %bb.2899:                             ;   in Loop: Header=BB287_2082 Depth=1
	v_cmp_ne_u16_e32 vcc_lo, 0x80, v6
	v_bfrev_b32_e32 v6, 1
	v_mov_b32_e32 v7, 0
	scratch_store_b64 off, v[6:7], s32 offset:1136 ; 8-byte Folded Spill
	s_and_saveexec_b32 s1, vcc_lo
	s_cbranch_execz .LBB287_2905
; %bb.2900:                             ;   in Loop: Header=BB287_2082 Depth=1
	v_mov_b32_e32 v10, 0x7f800001
	v_bfe_u32 v7, v4, 16, 7
	v_mov_b32_e32 v11, 0
	s_mov_b32 s2, exec_lo
	scratch_store_b64 off, v[10:11], s32 offset:1136 ; 8-byte Folded Spill
	v_cmpx_ne_u32_e32 0x7f, v7
	s_cbranch_execz .LBB287_2904
; %bb.2901:                             ;   in Loop: Header=BB287_2082 Depth=1
	v_and_b32_e32 v8, 7, v5
	v_lshrrev_b32_e32 v6, 3, v7
	s_mov_b32 s3, exec_lo
	v_cmpx_gt_u32_e32 8, v7
; %bb.2902:                             ;   in Loop: Header=BB287_2082 Depth=1
	s_delay_alu instid0(VALU_DEP_3) | instskip(NEXT) | instid1(VALU_DEP_1)
	v_clz_i32_u32_e32 v6, v8
	v_min_u32_e32 v6, 32, v6
	s_delay_alu instid0(VALU_DEP_1) | instskip(SKIP_1) | instid1(VALU_DEP_2)
	v_subrev_nc_u32_e32 v7, 28, v6
	v_sub_nc_u32_e32 v6, 29, v6
	v_lshlrev_b64 v[7:8], v7, v[8:9]
	s_delay_alu instid0(VALU_DEP_1)
	v_and_b32_e32 v8, 7, v7
; %bb.2903:                             ;   in Loop: Header=BB287_2082 Depth=1
	s_or_b32 exec_lo, exec_lo, s3
	v_lshlrev_b32_e32 v5, 24, v5
	s_delay_alu instid0(VALU_DEP_2) | instskip(SKIP_1) | instid1(VALU_DEP_3)
	v_lshlrev_b32_e32 v7, 20, v8
	v_lshl_add_u32 v6, v6, 23, 0x3c000000
	v_and_b32_e32 v5, 0x80000000, v5
	s_delay_alu instid0(VALU_DEP_1)
	v_or3_b32 v8, v7, v5, v6
	scratch_store_b64 off, v[8:9], s32 offset:1136 ; 8-byte Folded Spill
.LBB287_2904:                           ;   in Loop: Header=BB287_2082 Depth=1
	s_or_b32 exec_lo, exec_lo, s2
.LBB287_2905:                           ;   in Loop: Header=BB287_2082 Depth=1
	s_delay_alu instid0(SALU_CYCLE_1)
	s_or_b32 exec_lo, exec_lo, s1
.LBB287_2906:                           ;   in Loop: Header=BB287_2082 Depth=1
	s_delay_alu instid0(SALU_CYCLE_1) | instskip(NEXT) | instid1(SALU_CYCLE_1)
	s_or_b32 exec_lo, exec_lo, s0
	s_mov_b32 s0, exec_lo
	v_cmpx_lt_u32_e32 0xffffff, v4
	s_cbranch_execz .LBB287_2914
; %bb.2907:                             ;   in Loop: Header=BB287_2082 Depth=1
	v_lshrrev_b32_e32 v5, 24, v4
	v_dual_mov_b32 v6, s8 :: v_dual_mov_b32 v7, s9
	s_mov_b32 s1, exec_lo
	scratch_store_b64 off, v[6:7], s32 offset:1128 ; 8-byte Folded Spill
	v_cmpx_ne_u32_e32 0x80, v5
	s_cbranch_execz .LBB287_2913
; %bb.2908:                             ;   in Loop: Header=BB287_2082 Depth=1
	s_mov_b32 s12, s8
	v_bfe_u32 v6, v4, 24, 7
	v_dual_mov_b32 v7, s12 :: v_dual_mov_b32 v8, s13
	s_mov_b32 s2, exec_lo
	scratch_store_b64 off, v[7:8], s32 offset:1128 ; 8-byte Folded Spill
	v_cmpx_ne_u32_e32 0x7f, v6
	s_cbranch_execz .LBB287_2912
; %bb.2909:                             ;   in Loop: Header=BB287_2082 Depth=1
	v_and_b32_e32 v8, 7, v5
	v_lshrrev_b32_e32 v4, 3, v6
	s_mov_b32 s3, exec_lo
	v_cmpx_gt_u32_e32 8, v6
; %bb.2910:                             ;   in Loop: Header=BB287_2082 Depth=1
	s_delay_alu instid0(VALU_DEP_3) | instskip(NEXT) | instid1(VALU_DEP_1)
	v_clz_i32_u32_e32 v4, v8
	v_min_u32_e32 v4, 32, v4
	s_delay_alu instid0(VALU_DEP_1) | instskip(SKIP_1) | instid1(VALU_DEP_2)
	v_subrev_nc_u32_e32 v6, 28, v4
	v_sub_nc_u32_e32 v4, 29, v4
	v_lshlrev_b64 v[6:7], v6, v[8:9]
	s_delay_alu instid0(VALU_DEP_1)
	v_and_b32_e32 v8, 7, v6
; %bb.2911:                             ;   in Loop: Header=BB287_2082 Depth=1
	s_or_b32 exec_lo, exec_lo, s3
	v_lshlrev_b32_e32 v5, 24, v5
	s_delay_alu instid0(VALU_DEP_2) | instskip(SKIP_1) | instid1(VALU_DEP_3)
	v_lshlrev_b32_e32 v6, 20, v8
	v_lshl_add_u32 v4, v4, 23, 0x3c000000
	v_and_b32_e32 v5, 0x80000000, v5
	s_delay_alu instid0(VALU_DEP_1)
	v_or3_b32 v5, v6, v5, v4
	v_mov_b32_e32 v4, v9
	scratch_store_b64 off, v[4:5], s32 offset:1128 ; 8-byte Folded Spill
.LBB287_2912:                           ;   in Loop: Header=BB287_2082 Depth=1
	s_or_b32 exec_lo, exec_lo, s2
.LBB287_2913:                           ;   in Loop: Header=BB287_2082 Depth=1
	s_delay_alu instid0(SALU_CYCLE_1)
	s_or_b32 exec_lo, exec_lo, s1
.LBB287_2914:                           ;   in Loop: Header=BB287_2082 Depth=1
	s_delay_alu instid0(SALU_CYCLE_1)
	s_or_b32 exec_lo, exec_lo, s0
	flat_load_b32 v4, v[34:35] offset:3328
	v_mov_b32_e32 v6, 0
	v_mov_b32_e32 v7, 0
	s_mov_b32 s0, exec_lo
	s_clause 0x1
	scratch_store_b64 off, v[6:7], s32 offset:1144
	scratch_store_b64 off, v[6:7], s32 offset:1152
	s_waitcnt vmcnt(0) lgkmcnt(0)
	v_and_b32_e32 v5, 0xff, v4
	s_delay_alu instid0(VALU_DEP_1)
	v_cmpx_ne_u16_e32 0, v5
	s_cbranch_execz .LBB287_2922
; %bb.2915:                             ;   in Loop: Header=BB287_2082 Depth=1
	v_cmp_ne_u16_e32 vcc_lo, 0x80, v5
	v_bfrev_b32_e32 v5, 1
	v_mov_b32_e32 v6, 0
	scratch_store_b64 off, v[5:6], s32 offset:1152 ; 8-byte Folded Spill
	s_and_saveexec_b32 s1, vcc_lo
	s_cbranch_execz .LBB287_2921
; %bb.2916:                             ;   in Loop: Header=BB287_2082 Depth=1
	v_mov_b32_e32 v7, 0x7f800001
	v_and_b32_e32 v6, 0x7f, v4
	v_mov_b32_e32 v8, 0
	s_mov_b32 s2, exec_lo
	scratch_store_b64 off, v[7:8], s32 offset:1152 ; 8-byte Folded Spill
	v_cmpx_ne_u32_e32 0x7f, v6
	s_cbranch_execz .LBB287_2920
; %bb.2917:                             ;   in Loop: Header=BB287_2082 Depth=1
	v_and_b32_e32 v8, 7, v4
	v_lshrrev_b32_e32 v5, 3, v6
	s_mov_b32 s3, exec_lo
	v_cmpx_gt_u32_e32 8, v6
; %bb.2918:                             ;   in Loop: Header=BB287_2082 Depth=1
	s_delay_alu instid0(VALU_DEP_3) | instskip(NEXT) | instid1(VALU_DEP_1)
	v_clz_i32_u32_e32 v5, v8
	v_min_u32_e32 v5, 32, v5
	s_delay_alu instid0(VALU_DEP_1) | instskip(SKIP_1) | instid1(VALU_DEP_2)
	v_subrev_nc_u32_e32 v6, 28, v5
	v_sub_nc_u32_e32 v5, 29, v5
	v_lshlrev_b64 v[6:7], v6, v[8:9]
	s_delay_alu instid0(VALU_DEP_1)
	v_and_b32_e32 v8, 7, v6
; %bb.2919:                             ;   in Loop: Header=BB287_2082 Depth=1
	s_or_b32 exec_lo, exec_lo, s3
	v_lshlrev_b32_e32 v6, 24, v4
	s_delay_alu instid0(VALU_DEP_2) | instskip(SKIP_1) | instid1(VALU_DEP_3)
	v_lshlrev_b32_e32 v7, 20, v8
	v_lshl_add_u32 v5, v5, 23, 0x3c000000
	v_and_b32_e32 v6, 0x80000000, v6
	s_delay_alu instid0(VALU_DEP_1)
	v_or3_b32 v8, v7, v6, v5
	scratch_store_b64 off, v[8:9], s32 offset:1152 ; 8-byte Folded Spill
.LBB287_2920:                           ;   in Loop: Header=BB287_2082 Depth=1
	s_or_b32 exec_lo, exec_lo, s2
.LBB287_2921:                           ;   in Loop: Header=BB287_2082 Depth=1
	s_delay_alu instid0(SALU_CYCLE_1)
	s_or_b32 exec_lo, exec_lo, s1
.LBB287_2922:                           ;   in Loop: Header=BB287_2082 Depth=1
	s_delay_alu instid0(SALU_CYCLE_1) | instskip(SKIP_2) | instid1(VALU_DEP_1)
	s_or_b32 exec_lo, exec_lo, s0
	v_lshrrev_b16 v5, 8, v4
	s_mov_b32 s0, exec_lo
	v_cmpx_ne_u16_e32 0, v5
	s_cbranch_execz .LBB287_2930
; %bb.2923:                             ;   in Loop: Header=BB287_2082 Depth=1
	v_dual_mov_b32 v6, s8 :: v_dual_mov_b32 v7, s9
	s_mov_b32 s1, exec_lo
	scratch_store_b64 off, v[6:7], s32 offset:1144 ; 8-byte Folded Spill
	v_cmpx_ne_u16_e32 0x80, v5
	s_cbranch_execz .LBB287_2929
; %bb.2924:                             ;   in Loop: Header=BB287_2082 Depth=1
	s_mov_b32 s12, s8
	v_and_b32_e32 v5, 0xffff, v5
	v_dual_mov_b32 v7, s12 :: v_dual_mov_b32 v8, s13
	s_mov_b32 s2, exec_lo
	s_delay_alu instid0(VALU_DEP_2)
	v_and_b32_e32 v6, 0x7f, v5
	scratch_store_b64 off, v[7:8], s32 offset:1144 ; 8-byte Folded Spill
	v_cmpx_ne_u32_e32 0x7f, v6
	s_cbranch_execz .LBB287_2928
; %bb.2925:                             ;   in Loop: Header=BB287_2082 Depth=1
	v_and_b32_e32 v8, 7, v5
	v_lshrrev_b32_e32 v5, 3, v6
	s_mov_b32 s3, exec_lo
	v_cmpx_gt_u32_e32 8, v6
; %bb.2926:                             ;   in Loop: Header=BB287_2082 Depth=1
	s_delay_alu instid0(VALU_DEP_3) | instskip(NEXT) | instid1(VALU_DEP_1)
	v_clz_i32_u32_e32 v5, v8
	v_min_u32_e32 v5, 32, v5
	s_delay_alu instid0(VALU_DEP_1) | instskip(SKIP_1) | instid1(VALU_DEP_2)
	v_subrev_nc_u32_e32 v6, 28, v5
	v_sub_nc_u32_e32 v5, 29, v5
	v_lshlrev_b64 v[6:7], v6, v[8:9]
	s_delay_alu instid0(VALU_DEP_1)
	v_and_b32_e32 v8, 7, v6
; %bb.2927:                             ;   in Loop: Header=BB287_2082 Depth=1
	s_or_b32 exec_lo, exec_lo, s3
	v_lshlrev_b32_e32 v6, 16, v4
	s_delay_alu instid0(VALU_DEP_2) | instskip(SKIP_1) | instid1(VALU_DEP_3)
	v_lshlrev_b32_e32 v7, 20, v8
	v_lshl_add_u32 v5, v5, 23, 0x3c000000
	v_and_b32_e32 v6, 0x80000000, v6
	s_delay_alu instid0(VALU_DEP_1)
	v_or3_b32 v6, v7, v6, v5
	v_mov_b32_e32 v5, v9
	scratch_store_b64 off, v[5:6], s32 offset:1144 ; 8-byte Folded Spill
.LBB287_2928:                           ;   in Loop: Header=BB287_2082 Depth=1
	s_or_b32 exec_lo, exec_lo, s2
.LBB287_2929:                           ;   in Loop: Header=BB287_2082 Depth=1
	s_delay_alu instid0(SALU_CYCLE_1)
	s_or_b32 exec_lo, exec_lo, s1
.LBB287_2930:                           ;   in Loop: Header=BB287_2082 Depth=1
	s_delay_alu instid0(SALU_CYCLE_1)
	s_or_b32 exec_lo, exec_lo, s0
	v_lshrrev_b32_e32 v5, 16, v4
	v_mov_b32_e32 v7, 0
	v_mov_b32_e32 v8, 0
	s_mov_b32 s0, exec_lo
	s_clause 0x1
	scratch_store_b64 off, v[7:8], s32 offset:1160
	scratch_store_b64 off, v[7:8], s32 offset:1168
	v_and_b32_e32 v6, 0xff, v5
	s_delay_alu instid0(VALU_DEP_1)
	v_cmpx_ne_u16_e32 0, v6
	s_cbranch_execz .LBB287_2938
; %bb.2931:                             ;   in Loop: Header=BB287_2082 Depth=1
	v_cmp_ne_u16_e32 vcc_lo, 0x80, v6
	v_bfrev_b32_e32 v6, 1
	v_mov_b32_e32 v7, 0
	scratch_store_b64 off, v[6:7], s32 offset:1168 ; 8-byte Folded Spill
	s_and_saveexec_b32 s1, vcc_lo
	s_cbranch_execz .LBB287_2937
; %bb.2932:                             ;   in Loop: Header=BB287_2082 Depth=1
	v_mov_b32_e32 v10, 0x7f800001
	v_bfe_u32 v7, v4, 16, 7
	v_mov_b32_e32 v11, 0
	s_mov_b32 s2, exec_lo
	scratch_store_b64 off, v[10:11], s32 offset:1168 ; 8-byte Folded Spill
	v_cmpx_ne_u32_e32 0x7f, v7
	s_cbranch_execz .LBB287_2936
; %bb.2933:                             ;   in Loop: Header=BB287_2082 Depth=1
	v_and_b32_e32 v8, 7, v5
	v_lshrrev_b32_e32 v6, 3, v7
	s_mov_b32 s3, exec_lo
	v_cmpx_gt_u32_e32 8, v7
; %bb.2934:                             ;   in Loop: Header=BB287_2082 Depth=1
	s_delay_alu instid0(VALU_DEP_3) | instskip(NEXT) | instid1(VALU_DEP_1)
	v_clz_i32_u32_e32 v6, v8
	v_min_u32_e32 v6, 32, v6
	s_delay_alu instid0(VALU_DEP_1) | instskip(SKIP_1) | instid1(VALU_DEP_2)
	v_subrev_nc_u32_e32 v7, 28, v6
	v_sub_nc_u32_e32 v6, 29, v6
	v_lshlrev_b64 v[7:8], v7, v[8:9]
	s_delay_alu instid0(VALU_DEP_1)
	v_and_b32_e32 v8, 7, v7
; %bb.2935:                             ;   in Loop: Header=BB287_2082 Depth=1
	s_or_b32 exec_lo, exec_lo, s3
	v_lshlrev_b32_e32 v5, 24, v5
	s_delay_alu instid0(VALU_DEP_2) | instskip(SKIP_1) | instid1(VALU_DEP_3)
	v_lshlrev_b32_e32 v7, 20, v8
	v_lshl_add_u32 v6, v6, 23, 0x3c000000
	v_and_b32_e32 v5, 0x80000000, v5
	s_delay_alu instid0(VALU_DEP_1)
	v_or3_b32 v8, v7, v5, v6
	scratch_store_b64 off, v[8:9], s32 offset:1168 ; 8-byte Folded Spill
.LBB287_2936:                           ;   in Loop: Header=BB287_2082 Depth=1
	s_or_b32 exec_lo, exec_lo, s2
.LBB287_2937:                           ;   in Loop: Header=BB287_2082 Depth=1
	s_delay_alu instid0(SALU_CYCLE_1)
	s_or_b32 exec_lo, exec_lo, s1
.LBB287_2938:                           ;   in Loop: Header=BB287_2082 Depth=1
	s_delay_alu instid0(SALU_CYCLE_1) | instskip(NEXT) | instid1(SALU_CYCLE_1)
	s_or_b32 exec_lo, exec_lo, s0
	s_mov_b32 s0, exec_lo
	v_cmpx_lt_u32_e32 0xffffff, v4
	s_cbranch_execz .LBB287_2946
; %bb.2939:                             ;   in Loop: Header=BB287_2082 Depth=1
	v_lshrrev_b32_e32 v5, 24, v4
	v_dual_mov_b32 v6, s8 :: v_dual_mov_b32 v7, s9
	s_mov_b32 s1, exec_lo
	scratch_store_b64 off, v[6:7], s32 offset:1160 ; 8-byte Folded Spill
	v_cmpx_ne_u32_e32 0x80, v5
	s_cbranch_execz .LBB287_2945
; %bb.2940:                             ;   in Loop: Header=BB287_2082 Depth=1
	s_mov_b32 s12, s8
	v_bfe_u32 v6, v4, 24, 7
	v_dual_mov_b32 v7, s12 :: v_dual_mov_b32 v8, s13
	s_mov_b32 s2, exec_lo
	scratch_store_b64 off, v[7:8], s32 offset:1160 ; 8-byte Folded Spill
	v_cmpx_ne_u32_e32 0x7f, v6
	s_cbranch_execz .LBB287_2944
; %bb.2941:                             ;   in Loop: Header=BB287_2082 Depth=1
	v_and_b32_e32 v8, 7, v5
	v_lshrrev_b32_e32 v4, 3, v6
	s_mov_b32 s3, exec_lo
	v_cmpx_gt_u32_e32 8, v6
; %bb.2942:                             ;   in Loop: Header=BB287_2082 Depth=1
	s_delay_alu instid0(VALU_DEP_3) | instskip(NEXT) | instid1(VALU_DEP_1)
	v_clz_i32_u32_e32 v4, v8
	v_min_u32_e32 v4, 32, v4
	s_delay_alu instid0(VALU_DEP_1) | instskip(SKIP_1) | instid1(VALU_DEP_2)
	v_subrev_nc_u32_e32 v6, 28, v4
	v_sub_nc_u32_e32 v4, 29, v4
	v_lshlrev_b64 v[6:7], v6, v[8:9]
	s_delay_alu instid0(VALU_DEP_1)
	v_and_b32_e32 v8, 7, v6
; %bb.2943:                             ;   in Loop: Header=BB287_2082 Depth=1
	s_or_b32 exec_lo, exec_lo, s3
	v_lshlrev_b32_e32 v5, 24, v5
	s_delay_alu instid0(VALU_DEP_2) | instskip(SKIP_1) | instid1(VALU_DEP_3)
	v_lshlrev_b32_e32 v6, 20, v8
	v_lshl_add_u32 v4, v4, 23, 0x3c000000
	v_and_b32_e32 v5, 0x80000000, v5
	s_delay_alu instid0(VALU_DEP_1)
	v_or3_b32 v5, v6, v5, v4
	v_mov_b32_e32 v4, v9
	scratch_store_b64 off, v[4:5], s32 offset:1160 ; 8-byte Folded Spill
.LBB287_2944:                           ;   in Loop: Header=BB287_2082 Depth=1
	s_or_b32 exec_lo, exec_lo, s2
.LBB287_2945:                           ;   in Loop: Header=BB287_2082 Depth=1
	s_delay_alu instid0(SALU_CYCLE_1)
	s_or_b32 exec_lo, exec_lo, s1
.LBB287_2946:                           ;   in Loop: Header=BB287_2082 Depth=1
	s_delay_alu instid0(SALU_CYCLE_1)
	s_or_b32 exec_lo, exec_lo, s0
	flat_load_b32 v4, v[34:35] offset:3456
	v_mov_b32_e32 v6, 0
	v_mov_b32_e32 v7, 0
	s_mov_b32 s0, exec_lo
	s_clause 0x1
	scratch_store_b64 off, v[6:7], s32 offset:1176
	scratch_store_b64 off, v[6:7], s32 offset:1184
	s_waitcnt vmcnt(0) lgkmcnt(0)
	v_and_b32_e32 v5, 0xff, v4
	s_delay_alu instid0(VALU_DEP_1)
	v_cmpx_ne_u16_e32 0, v5
	s_cbranch_execz .LBB287_2954
; %bb.2947:                             ;   in Loop: Header=BB287_2082 Depth=1
	v_cmp_ne_u16_e32 vcc_lo, 0x80, v5
	v_bfrev_b32_e32 v5, 1
	v_mov_b32_e32 v6, 0
	scratch_store_b64 off, v[5:6], s32 offset:1184 ; 8-byte Folded Spill
	s_and_saveexec_b32 s1, vcc_lo
	s_cbranch_execz .LBB287_2953
; %bb.2948:                             ;   in Loop: Header=BB287_2082 Depth=1
	v_mov_b32_e32 v7, 0x7f800001
	v_and_b32_e32 v6, 0x7f, v4
	v_mov_b32_e32 v8, 0
	s_mov_b32 s2, exec_lo
	scratch_store_b64 off, v[7:8], s32 offset:1184 ; 8-byte Folded Spill
	v_cmpx_ne_u32_e32 0x7f, v6
	s_cbranch_execz .LBB287_2952
; %bb.2949:                             ;   in Loop: Header=BB287_2082 Depth=1
	v_and_b32_e32 v8, 7, v4
	v_lshrrev_b32_e32 v5, 3, v6
	s_mov_b32 s3, exec_lo
	v_cmpx_gt_u32_e32 8, v6
; %bb.2950:                             ;   in Loop: Header=BB287_2082 Depth=1
	s_delay_alu instid0(VALU_DEP_3) | instskip(NEXT) | instid1(VALU_DEP_1)
	v_clz_i32_u32_e32 v5, v8
	v_min_u32_e32 v5, 32, v5
	s_delay_alu instid0(VALU_DEP_1) | instskip(SKIP_1) | instid1(VALU_DEP_2)
	v_subrev_nc_u32_e32 v6, 28, v5
	v_sub_nc_u32_e32 v5, 29, v5
	v_lshlrev_b64 v[6:7], v6, v[8:9]
	s_delay_alu instid0(VALU_DEP_1)
	v_and_b32_e32 v8, 7, v6
; %bb.2951:                             ;   in Loop: Header=BB287_2082 Depth=1
	s_or_b32 exec_lo, exec_lo, s3
	v_lshlrev_b32_e32 v6, 24, v4
	s_delay_alu instid0(VALU_DEP_2) | instskip(SKIP_1) | instid1(VALU_DEP_3)
	v_lshlrev_b32_e32 v7, 20, v8
	v_lshl_add_u32 v5, v5, 23, 0x3c000000
	v_and_b32_e32 v6, 0x80000000, v6
	s_delay_alu instid0(VALU_DEP_1)
	v_or3_b32 v8, v7, v6, v5
	scratch_store_b64 off, v[8:9], s32 offset:1184 ; 8-byte Folded Spill
.LBB287_2952:                           ;   in Loop: Header=BB287_2082 Depth=1
	s_or_b32 exec_lo, exec_lo, s2
.LBB287_2953:                           ;   in Loop: Header=BB287_2082 Depth=1
	s_delay_alu instid0(SALU_CYCLE_1)
	s_or_b32 exec_lo, exec_lo, s1
.LBB287_2954:                           ;   in Loop: Header=BB287_2082 Depth=1
	s_delay_alu instid0(SALU_CYCLE_1) | instskip(SKIP_2) | instid1(VALU_DEP_1)
	s_or_b32 exec_lo, exec_lo, s0
	v_lshrrev_b16 v5, 8, v4
	s_mov_b32 s0, exec_lo
	v_cmpx_ne_u16_e32 0, v5
	s_cbranch_execz .LBB287_2962
; %bb.2955:                             ;   in Loop: Header=BB287_2082 Depth=1
	v_dual_mov_b32 v6, s8 :: v_dual_mov_b32 v7, s9
	s_mov_b32 s1, exec_lo
	scratch_store_b64 off, v[6:7], s32 offset:1176 ; 8-byte Folded Spill
	v_cmpx_ne_u16_e32 0x80, v5
	s_cbranch_execz .LBB287_2961
; %bb.2956:                             ;   in Loop: Header=BB287_2082 Depth=1
	s_mov_b32 s12, s8
	v_and_b32_e32 v5, 0xffff, v5
	v_dual_mov_b32 v7, s12 :: v_dual_mov_b32 v8, s13
	s_mov_b32 s2, exec_lo
	s_delay_alu instid0(VALU_DEP_2)
	v_and_b32_e32 v6, 0x7f, v5
	scratch_store_b64 off, v[7:8], s32 offset:1176 ; 8-byte Folded Spill
	v_cmpx_ne_u32_e32 0x7f, v6
	s_cbranch_execz .LBB287_2960
; %bb.2957:                             ;   in Loop: Header=BB287_2082 Depth=1
	v_and_b32_e32 v8, 7, v5
	v_lshrrev_b32_e32 v5, 3, v6
	s_mov_b32 s3, exec_lo
	v_cmpx_gt_u32_e32 8, v6
; %bb.2958:                             ;   in Loop: Header=BB287_2082 Depth=1
	s_delay_alu instid0(VALU_DEP_3) | instskip(NEXT) | instid1(VALU_DEP_1)
	v_clz_i32_u32_e32 v5, v8
	v_min_u32_e32 v5, 32, v5
	s_delay_alu instid0(VALU_DEP_1) | instskip(SKIP_1) | instid1(VALU_DEP_2)
	v_subrev_nc_u32_e32 v6, 28, v5
	v_sub_nc_u32_e32 v5, 29, v5
	v_lshlrev_b64 v[6:7], v6, v[8:9]
	s_delay_alu instid0(VALU_DEP_1)
	v_and_b32_e32 v8, 7, v6
; %bb.2959:                             ;   in Loop: Header=BB287_2082 Depth=1
	s_or_b32 exec_lo, exec_lo, s3
	v_lshlrev_b32_e32 v6, 16, v4
	s_delay_alu instid0(VALU_DEP_2) | instskip(SKIP_1) | instid1(VALU_DEP_3)
	v_lshlrev_b32_e32 v7, 20, v8
	v_lshl_add_u32 v5, v5, 23, 0x3c000000
	v_and_b32_e32 v6, 0x80000000, v6
	s_delay_alu instid0(VALU_DEP_1)
	v_or3_b32 v6, v7, v6, v5
	v_mov_b32_e32 v5, v9
	scratch_store_b64 off, v[5:6], s32 offset:1176 ; 8-byte Folded Spill
.LBB287_2960:                           ;   in Loop: Header=BB287_2082 Depth=1
	s_or_b32 exec_lo, exec_lo, s2
.LBB287_2961:                           ;   in Loop: Header=BB287_2082 Depth=1
	s_delay_alu instid0(SALU_CYCLE_1)
	s_or_b32 exec_lo, exec_lo, s1
.LBB287_2962:                           ;   in Loop: Header=BB287_2082 Depth=1
	s_delay_alu instid0(SALU_CYCLE_1)
	s_or_b32 exec_lo, exec_lo, s0
	v_lshrrev_b32_e32 v5, 16, v4
	v_mov_b32_e32 v7, 0
	v_mov_b32_e32 v8, 0
	s_mov_b32 s0, exec_lo
	s_clause 0x1
	scratch_store_b64 off, v[7:8], s32 offset:1192
	scratch_store_b64 off, v[7:8], s32 offset:1200
	v_and_b32_e32 v6, 0xff, v5
	s_delay_alu instid0(VALU_DEP_1)
	v_cmpx_ne_u16_e32 0, v6
	s_cbranch_execz .LBB287_2970
; %bb.2963:                             ;   in Loop: Header=BB287_2082 Depth=1
	v_cmp_ne_u16_e32 vcc_lo, 0x80, v6
	v_bfrev_b32_e32 v6, 1
	v_mov_b32_e32 v7, 0
	scratch_store_b64 off, v[6:7], s32 offset:1200 ; 8-byte Folded Spill
	s_and_saveexec_b32 s1, vcc_lo
	s_cbranch_execz .LBB287_2969
; %bb.2964:                             ;   in Loop: Header=BB287_2082 Depth=1
	v_mov_b32_e32 v10, 0x7f800001
	v_bfe_u32 v7, v4, 16, 7
	v_mov_b32_e32 v11, 0
	s_mov_b32 s2, exec_lo
	scratch_store_b64 off, v[10:11], s32 offset:1200 ; 8-byte Folded Spill
	v_cmpx_ne_u32_e32 0x7f, v7
	s_cbranch_execz .LBB287_2968
; %bb.2965:                             ;   in Loop: Header=BB287_2082 Depth=1
	v_and_b32_e32 v8, 7, v5
	v_lshrrev_b32_e32 v6, 3, v7
	s_mov_b32 s3, exec_lo
	v_cmpx_gt_u32_e32 8, v7
; %bb.2966:                             ;   in Loop: Header=BB287_2082 Depth=1
	s_delay_alu instid0(VALU_DEP_3) | instskip(NEXT) | instid1(VALU_DEP_1)
	v_clz_i32_u32_e32 v6, v8
	v_min_u32_e32 v6, 32, v6
	s_delay_alu instid0(VALU_DEP_1) | instskip(SKIP_1) | instid1(VALU_DEP_2)
	v_subrev_nc_u32_e32 v7, 28, v6
	v_sub_nc_u32_e32 v6, 29, v6
	v_lshlrev_b64 v[7:8], v7, v[8:9]
	s_delay_alu instid0(VALU_DEP_1)
	v_and_b32_e32 v8, 7, v7
; %bb.2967:                             ;   in Loop: Header=BB287_2082 Depth=1
	s_or_b32 exec_lo, exec_lo, s3
	v_lshlrev_b32_e32 v5, 24, v5
	s_delay_alu instid0(VALU_DEP_2) | instskip(SKIP_1) | instid1(VALU_DEP_3)
	v_lshlrev_b32_e32 v7, 20, v8
	v_lshl_add_u32 v6, v6, 23, 0x3c000000
	v_and_b32_e32 v5, 0x80000000, v5
	s_delay_alu instid0(VALU_DEP_1)
	v_or3_b32 v8, v7, v5, v6
	scratch_store_b64 off, v[8:9], s32 offset:1200 ; 8-byte Folded Spill
.LBB287_2968:                           ;   in Loop: Header=BB287_2082 Depth=1
	s_or_b32 exec_lo, exec_lo, s2
.LBB287_2969:                           ;   in Loop: Header=BB287_2082 Depth=1
	s_delay_alu instid0(SALU_CYCLE_1)
	s_or_b32 exec_lo, exec_lo, s1
.LBB287_2970:                           ;   in Loop: Header=BB287_2082 Depth=1
	s_delay_alu instid0(SALU_CYCLE_1) | instskip(NEXT) | instid1(SALU_CYCLE_1)
	s_or_b32 exec_lo, exec_lo, s0
	s_mov_b32 s0, exec_lo
	v_cmpx_lt_u32_e32 0xffffff, v4
	s_cbranch_execz .LBB287_2978
; %bb.2971:                             ;   in Loop: Header=BB287_2082 Depth=1
	v_lshrrev_b32_e32 v5, 24, v4
	v_dual_mov_b32 v6, s8 :: v_dual_mov_b32 v7, s9
	s_mov_b32 s1, exec_lo
	scratch_store_b64 off, v[6:7], s32 offset:1192 ; 8-byte Folded Spill
	v_cmpx_ne_u32_e32 0x80, v5
	s_cbranch_execz .LBB287_2977
; %bb.2972:                             ;   in Loop: Header=BB287_2082 Depth=1
	s_mov_b32 s12, s8
	v_bfe_u32 v6, v4, 24, 7
	v_dual_mov_b32 v7, s12 :: v_dual_mov_b32 v8, s13
	s_mov_b32 s2, exec_lo
	scratch_store_b64 off, v[7:8], s32 offset:1192 ; 8-byte Folded Spill
	v_cmpx_ne_u32_e32 0x7f, v6
	s_cbranch_execz .LBB287_2976
; %bb.2973:                             ;   in Loop: Header=BB287_2082 Depth=1
	v_and_b32_e32 v8, 7, v5
	v_lshrrev_b32_e32 v4, 3, v6
	s_mov_b32 s3, exec_lo
	v_cmpx_gt_u32_e32 8, v6
; %bb.2974:                             ;   in Loop: Header=BB287_2082 Depth=1
	s_delay_alu instid0(VALU_DEP_3) | instskip(NEXT) | instid1(VALU_DEP_1)
	v_clz_i32_u32_e32 v4, v8
	v_min_u32_e32 v4, 32, v4
	s_delay_alu instid0(VALU_DEP_1) | instskip(SKIP_1) | instid1(VALU_DEP_2)
	v_subrev_nc_u32_e32 v6, 28, v4
	v_sub_nc_u32_e32 v4, 29, v4
	v_lshlrev_b64 v[6:7], v6, v[8:9]
	s_delay_alu instid0(VALU_DEP_1)
	v_and_b32_e32 v8, 7, v6
; %bb.2975:                             ;   in Loop: Header=BB287_2082 Depth=1
	s_or_b32 exec_lo, exec_lo, s3
	v_lshlrev_b32_e32 v5, 24, v5
	s_delay_alu instid0(VALU_DEP_2) | instskip(SKIP_1) | instid1(VALU_DEP_3)
	v_lshlrev_b32_e32 v6, 20, v8
	v_lshl_add_u32 v4, v4, 23, 0x3c000000
	v_and_b32_e32 v5, 0x80000000, v5
	s_delay_alu instid0(VALU_DEP_1)
	v_or3_b32 v5, v6, v5, v4
	v_mov_b32_e32 v4, v9
	scratch_store_b64 off, v[4:5], s32 offset:1192 ; 8-byte Folded Spill
.LBB287_2976:                           ;   in Loop: Header=BB287_2082 Depth=1
	s_or_b32 exec_lo, exec_lo, s2
.LBB287_2977:                           ;   in Loop: Header=BB287_2082 Depth=1
	s_delay_alu instid0(SALU_CYCLE_1)
	s_or_b32 exec_lo, exec_lo, s1
.LBB287_2978:                           ;   in Loop: Header=BB287_2082 Depth=1
	s_delay_alu instid0(SALU_CYCLE_1)
	s_or_b32 exec_lo, exec_lo, s0
	flat_load_b32 v4, v[34:35] offset:3584
	v_mov_b32_e32 v6, 0
	v_mov_b32_e32 v7, 0
	s_mov_b32 s0, exec_lo
	s_clause 0x1
	scratch_store_b64 off, v[6:7], s32 offset:1208
	scratch_store_b64 off, v[6:7], s32 offset:1216
	s_waitcnt vmcnt(0) lgkmcnt(0)
	v_and_b32_e32 v5, 0xff, v4
	s_delay_alu instid0(VALU_DEP_1)
	v_cmpx_ne_u16_e32 0, v5
	s_cbranch_execz .LBB287_2986
; %bb.2979:                             ;   in Loop: Header=BB287_2082 Depth=1
	v_cmp_ne_u16_e32 vcc_lo, 0x80, v5
	v_bfrev_b32_e32 v5, 1
	v_mov_b32_e32 v6, 0
	scratch_store_b64 off, v[5:6], s32 offset:1216 ; 8-byte Folded Spill
	s_and_saveexec_b32 s1, vcc_lo
	s_cbranch_execz .LBB287_2985
; %bb.2980:                             ;   in Loop: Header=BB287_2082 Depth=1
	v_mov_b32_e32 v7, 0x7f800001
	v_and_b32_e32 v6, 0x7f, v4
	v_mov_b32_e32 v8, 0
	s_mov_b32 s2, exec_lo
	scratch_store_b64 off, v[7:8], s32 offset:1216 ; 8-byte Folded Spill
	v_cmpx_ne_u32_e32 0x7f, v6
	s_cbranch_execz .LBB287_2984
; %bb.2981:                             ;   in Loop: Header=BB287_2082 Depth=1
	v_and_b32_e32 v8, 7, v4
	v_lshrrev_b32_e32 v5, 3, v6
	s_mov_b32 s3, exec_lo
	v_cmpx_gt_u32_e32 8, v6
; %bb.2982:                             ;   in Loop: Header=BB287_2082 Depth=1
	s_delay_alu instid0(VALU_DEP_3) | instskip(NEXT) | instid1(VALU_DEP_1)
	v_clz_i32_u32_e32 v5, v8
	v_min_u32_e32 v5, 32, v5
	s_delay_alu instid0(VALU_DEP_1) | instskip(SKIP_1) | instid1(VALU_DEP_2)
	v_subrev_nc_u32_e32 v6, 28, v5
	v_sub_nc_u32_e32 v5, 29, v5
	v_lshlrev_b64 v[6:7], v6, v[8:9]
	s_delay_alu instid0(VALU_DEP_1)
	v_and_b32_e32 v8, 7, v6
; %bb.2983:                             ;   in Loop: Header=BB287_2082 Depth=1
	s_or_b32 exec_lo, exec_lo, s3
	v_lshlrev_b32_e32 v6, 24, v4
	s_delay_alu instid0(VALU_DEP_2) | instskip(SKIP_1) | instid1(VALU_DEP_3)
	v_lshlrev_b32_e32 v7, 20, v8
	v_lshl_add_u32 v5, v5, 23, 0x3c000000
	v_and_b32_e32 v6, 0x80000000, v6
	s_delay_alu instid0(VALU_DEP_1)
	v_or3_b32 v8, v7, v6, v5
	scratch_store_b64 off, v[8:9], s32 offset:1216 ; 8-byte Folded Spill
.LBB287_2984:                           ;   in Loop: Header=BB287_2082 Depth=1
	s_or_b32 exec_lo, exec_lo, s2
.LBB287_2985:                           ;   in Loop: Header=BB287_2082 Depth=1
	s_delay_alu instid0(SALU_CYCLE_1)
	s_or_b32 exec_lo, exec_lo, s1
.LBB287_2986:                           ;   in Loop: Header=BB287_2082 Depth=1
	s_delay_alu instid0(SALU_CYCLE_1) | instskip(SKIP_2) | instid1(VALU_DEP_1)
	s_or_b32 exec_lo, exec_lo, s0
	v_lshrrev_b16 v5, 8, v4
	s_mov_b32 s0, exec_lo
	v_cmpx_ne_u16_e32 0, v5
	s_cbranch_execz .LBB287_2994
; %bb.2987:                             ;   in Loop: Header=BB287_2082 Depth=1
	v_dual_mov_b32 v6, s8 :: v_dual_mov_b32 v7, s9
	s_mov_b32 s1, exec_lo
	scratch_store_b64 off, v[6:7], s32 offset:1208 ; 8-byte Folded Spill
	v_cmpx_ne_u16_e32 0x80, v5
	s_cbranch_execz .LBB287_2993
; %bb.2988:                             ;   in Loop: Header=BB287_2082 Depth=1
	s_mov_b32 s12, s8
	v_and_b32_e32 v5, 0xffff, v5
	v_dual_mov_b32 v7, s12 :: v_dual_mov_b32 v8, s13
	s_mov_b32 s2, exec_lo
	s_delay_alu instid0(VALU_DEP_2)
	v_and_b32_e32 v6, 0x7f, v5
	scratch_store_b64 off, v[7:8], s32 offset:1208 ; 8-byte Folded Spill
	v_cmpx_ne_u32_e32 0x7f, v6
	s_cbranch_execz .LBB287_2992
; %bb.2989:                             ;   in Loop: Header=BB287_2082 Depth=1
	v_and_b32_e32 v8, 7, v5
	v_lshrrev_b32_e32 v5, 3, v6
	s_mov_b32 s3, exec_lo
	v_cmpx_gt_u32_e32 8, v6
; %bb.2990:                             ;   in Loop: Header=BB287_2082 Depth=1
	s_delay_alu instid0(VALU_DEP_3) | instskip(NEXT) | instid1(VALU_DEP_1)
	v_clz_i32_u32_e32 v5, v8
	v_min_u32_e32 v5, 32, v5
	s_delay_alu instid0(VALU_DEP_1) | instskip(SKIP_1) | instid1(VALU_DEP_2)
	v_subrev_nc_u32_e32 v6, 28, v5
	v_sub_nc_u32_e32 v5, 29, v5
	v_lshlrev_b64 v[6:7], v6, v[8:9]
	s_delay_alu instid0(VALU_DEP_1)
	v_and_b32_e32 v8, 7, v6
; %bb.2991:                             ;   in Loop: Header=BB287_2082 Depth=1
	s_or_b32 exec_lo, exec_lo, s3
	v_lshlrev_b32_e32 v6, 16, v4
	s_delay_alu instid0(VALU_DEP_2) | instskip(SKIP_1) | instid1(VALU_DEP_3)
	v_lshlrev_b32_e32 v7, 20, v8
	v_lshl_add_u32 v5, v5, 23, 0x3c000000
	v_and_b32_e32 v6, 0x80000000, v6
	s_delay_alu instid0(VALU_DEP_1)
	v_or3_b32 v6, v7, v6, v5
	v_mov_b32_e32 v5, v9
	scratch_store_b64 off, v[5:6], s32 offset:1208 ; 8-byte Folded Spill
.LBB287_2992:                           ;   in Loop: Header=BB287_2082 Depth=1
	s_or_b32 exec_lo, exec_lo, s2
.LBB287_2993:                           ;   in Loop: Header=BB287_2082 Depth=1
	s_delay_alu instid0(SALU_CYCLE_1)
	s_or_b32 exec_lo, exec_lo, s1
.LBB287_2994:                           ;   in Loop: Header=BB287_2082 Depth=1
	s_delay_alu instid0(SALU_CYCLE_1)
	s_or_b32 exec_lo, exec_lo, s0
	v_lshrrev_b32_e32 v5, 16, v4
	v_mov_b32_e32 v7, 0
	v_mov_b32_e32 v8, 0
	s_mov_b32 s0, exec_lo
	s_clause 0x1
	scratch_store_b64 off, v[7:8], s32 offset:1224
	scratch_store_b64 off, v[7:8], s32 offset:1232
	v_and_b32_e32 v6, 0xff, v5
	s_delay_alu instid0(VALU_DEP_1)
	v_cmpx_ne_u16_e32 0, v6
	s_cbranch_execz .LBB287_3002
; %bb.2995:                             ;   in Loop: Header=BB287_2082 Depth=1
	v_cmp_ne_u16_e32 vcc_lo, 0x80, v6
	v_bfrev_b32_e32 v6, 1
	v_mov_b32_e32 v7, 0
	scratch_store_b64 off, v[6:7], s32 offset:1232 ; 8-byte Folded Spill
	s_and_saveexec_b32 s1, vcc_lo
	s_cbranch_execz .LBB287_3001
; %bb.2996:                             ;   in Loop: Header=BB287_2082 Depth=1
	v_mov_b32_e32 v10, 0x7f800001
	v_bfe_u32 v7, v4, 16, 7
	v_mov_b32_e32 v11, 0
	s_mov_b32 s2, exec_lo
	scratch_store_b64 off, v[10:11], s32 offset:1232 ; 8-byte Folded Spill
	v_cmpx_ne_u32_e32 0x7f, v7
	s_cbranch_execz .LBB287_3000
; %bb.2997:                             ;   in Loop: Header=BB287_2082 Depth=1
	v_and_b32_e32 v8, 7, v5
	v_lshrrev_b32_e32 v6, 3, v7
	s_mov_b32 s3, exec_lo
	v_cmpx_gt_u32_e32 8, v7
; %bb.2998:                             ;   in Loop: Header=BB287_2082 Depth=1
	s_delay_alu instid0(VALU_DEP_3) | instskip(NEXT) | instid1(VALU_DEP_1)
	v_clz_i32_u32_e32 v6, v8
	v_min_u32_e32 v6, 32, v6
	s_delay_alu instid0(VALU_DEP_1) | instskip(SKIP_1) | instid1(VALU_DEP_2)
	v_subrev_nc_u32_e32 v7, 28, v6
	v_sub_nc_u32_e32 v6, 29, v6
	v_lshlrev_b64 v[7:8], v7, v[8:9]
	s_delay_alu instid0(VALU_DEP_1)
	v_and_b32_e32 v8, 7, v7
; %bb.2999:                             ;   in Loop: Header=BB287_2082 Depth=1
	s_or_b32 exec_lo, exec_lo, s3
	v_lshlrev_b32_e32 v5, 24, v5
	s_delay_alu instid0(VALU_DEP_2) | instskip(SKIP_1) | instid1(VALU_DEP_3)
	v_lshlrev_b32_e32 v7, 20, v8
	v_lshl_add_u32 v6, v6, 23, 0x3c000000
	v_and_b32_e32 v5, 0x80000000, v5
	s_delay_alu instid0(VALU_DEP_1)
	v_or3_b32 v8, v7, v5, v6
	scratch_store_b64 off, v[8:9], s32 offset:1232 ; 8-byte Folded Spill
.LBB287_3000:                           ;   in Loop: Header=BB287_2082 Depth=1
	s_or_b32 exec_lo, exec_lo, s2
.LBB287_3001:                           ;   in Loop: Header=BB287_2082 Depth=1
	s_delay_alu instid0(SALU_CYCLE_1)
	s_or_b32 exec_lo, exec_lo, s1
.LBB287_3002:                           ;   in Loop: Header=BB287_2082 Depth=1
	s_delay_alu instid0(SALU_CYCLE_1) | instskip(NEXT) | instid1(SALU_CYCLE_1)
	s_or_b32 exec_lo, exec_lo, s0
	s_mov_b32 s0, exec_lo
	v_cmpx_lt_u32_e32 0xffffff, v4
	s_cbranch_execz .LBB287_3010
; %bb.3003:                             ;   in Loop: Header=BB287_2082 Depth=1
	v_lshrrev_b32_e32 v5, 24, v4
	v_dual_mov_b32 v6, s8 :: v_dual_mov_b32 v7, s9
	s_mov_b32 s1, exec_lo
	scratch_store_b64 off, v[6:7], s32 offset:1224 ; 8-byte Folded Spill
	v_cmpx_ne_u32_e32 0x80, v5
	s_cbranch_execz .LBB287_3009
; %bb.3004:                             ;   in Loop: Header=BB287_2082 Depth=1
	s_mov_b32 s12, s8
	v_bfe_u32 v6, v4, 24, 7
	v_dual_mov_b32 v7, s12 :: v_dual_mov_b32 v8, s13
	s_mov_b32 s2, exec_lo
	scratch_store_b64 off, v[7:8], s32 offset:1224 ; 8-byte Folded Spill
	v_cmpx_ne_u32_e32 0x7f, v6
	s_cbranch_execz .LBB287_3008
; %bb.3005:                             ;   in Loop: Header=BB287_2082 Depth=1
	v_and_b32_e32 v8, 7, v5
	v_lshrrev_b32_e32 v4, 3, v6
	s_mov_b32 s3, exec_lo
	v_cmpx_gt_u32_e32 8, v6
; %bb.3006:                             ;   in Loop: Header=BB287_2082 Depth=1
	s_delay_alu instid0(VALU_DEP_3) | instskip(NEXT) | instid1(VALU_DEP_1)
	v_clz_i32_u32_e32 v4, v8
	v_min_u32_e32 v4, 32, v4
	s_delay_alu instid0(VALU_DEP_1) | instskip(SKIP_1) | instid1(VALU_DEP_2)
	v_subrev_nc_u32_e32 v6, 28, v4
	v_sub_nc_u32_e32 v4, 29, v4
	v_lshlrev_b64 v[6:7], v6, v[8:9]
	s_delay_alu instid0(VALU_DEP_1)
	v_and_b32_e32 v8, 7, v6
; %bb.3007:                             ;   in Loop: Header=BB287_2082 Depth=1
	s_or_b32 exec_lo, exec_lo, s3
	v_lshlrev_b32_e32 v5, 24, v5
	s_delay_alu instid0(VALU_DEP_2) | instskip(SKIP_1) | instid1(VALU_DEP_3)
	v_lshlrev_b32_e32 v6, 20, v8
	v_lshl_add_u32 v4, v4, 23, 0x3c000000
	v_and_b32_e32 v5, 0x80000000, v5
	s_delay_alu instid0(VALU_DEP_1)
	v_or3_b32 v5, v6, v5, v4
	v_mov_b32_e32 v4, v9
	scratch_store_b64 off, v[4:5], s32 offset:1224 ; 8-byte Folded Spill
.LBB287_3008:                           ;   in Loop: Header=BB287_2082 Depth=1
	s_or_b32 exec_lo, exec_lo, s2
.LBB287_3009:                           ;   in Loop: Header=BB287_2082 Depth=1
	s_delay_alu instid0(SALU_CYCLE_1)
	s_or_b32 exec_lo, exec_lo, s1
.LBB287_3010:                           ;   in Loop: Header=BB287_2082 Depth=1
	s_delay_alu instid0(SALU_CYCLE_1)
	s_or_b32 exec_lo, exec_lo, s0
	flat_load_b32 v4, v[34:35] offset:3712
	v_mov_b32_e32 v6, 0
	v_mov_b32_e32 v7, 0
	s_mov_b32 s0, exec_lo
	s_clause 0x1
	scratch_store_b64 off, v[6:7], s32 offset:1240
	scratch_store_b64 off, v[6:7], s32 offset:1248
	s_waitcnt vmcnt(0) lgkmcnt(0)
	v_and_b32_e32 v5, 0xff, v4
	s_delay_alu instid0(VALU_DEP_1)
	v_cmpx_ne_u16_e32 0, v5
	s_cbranch_execz .LBB287_3018
; %bb.3011:                             ;   in Loop: Header=BB287_2082 Depth=1
	v_cmp_ne_u16_e32 vcc_lo, 0x80, v5
	v_bfrev_b32_e32 v5, 1
	v_mov_b32_e32 v6, 0
	scratch_store_b64 off, v[5:6], s32 offset:1248 ; 8-byte Folded Spill
	s_and_saveexec_b32 s1, vcc_lo
	s_cbranch_execz .LBB287_3017
; %bb.3012:                             ;   in Loop: Header=BB287_2082 Depth=1
	v_mov_b32_e32 v7, 0x7f800001
	v_and_b32_e32 v6, 0x7f, v4
	v_mov_b32_e32 v8, 0
	s_mov_b32 s2, exec_lo
	scratch_store_b64 off, v[7:8], s32 offset:1248 ; 8-byte Folded Spill
	v_cmpx_ne_u32_e32 0x7f, v6
	s_cbranch_execz .LBB287_3016
; %bb.3013:                             ;   in Loop: Header=BB287_2082 Depth=1
	v_and_b32_e32 v8, 7, v4
	v_lshrrev_b32_e32 v5, 3, v6
	s_mov_b32 s3, exec_lo
	v_cmpx_gt_u32_e32 8, v6
; %bb.3014:                             ;   in Loop: Header=BB287_2082 Depth=1
	s_delay_alu instid0(VALU_DEP_3) | instskip(NEXT) | instid1(VALU_DEP_1)
	v_clz_i32_u32_e32 v5, v8
	v_min_u32_e32 v5, 32, v5
	s_delay_alu instid0(VALU_DEP_1) | instskip(SKIP_1) | instid1(VALU_DEP_2)
	v_subrev_nc_u32_e32 v6, 28, v5
	v_sub_nc_u32_e32 v5, 29, v5
	v_lshlrev_b64 v[6:7], v6, v[8:9]
	s_delay_alu instid0(VALU_DEP_1)
	v_and_b32_e32 v8, 7, v6
; %bb.3015:                             ;   in Loop: Header=BB287_2082 Depth=1
	s_or_b32 exec_lo, exec_lo, s3
	v_lshlrev_b32_e32 v6, 24, v4
	s_delay_alu instid0(VALU_DEP_2) | instskip(SKIP_1) | instid1(VALU_DEP_3)
	v_lshlrev_b32_e32 v7, 20, v8
	v_lshl_add_u32 v5, v5, 23, 0x3c000000
	v_and_b32_e32 v6, 0x80000000, v6
	s_delay_alu instid0(VALU_DEP_1)
	v_or3_b32 v8, v7, v6, v5
	scratch_store_b64 off, v[8:9], s32 offset:1248 ; 8-byte Folded Spill
.LBB287_3016:                           ;   in Loop: Header=BB287_2082 Depth=1
	s_or_b32 exec_lo, exec_lo, s2
.LBB287_3017:                           ;   in Loop: Header=BB287_2082 Depth=1
	s_delay_alu instid0(SALU_CYCLE_1)
	s_or_b32 exec_lo, exec_lo, s1
.LBB287_3018:                           ;   in Loop: Header=BB287_2082 Depth=1
	s_delay_alu instid0(SALU_CYCLE_1) | instskip(SKIP_2) | instid1(VALU_DEP_1)
	s_or_b32 exec_lo, exec_lo, s0
	v_lshrrev_b16 v5, 8, v4
	s_mov_b32 s0, exec_lo
	v_cmpx_ne_u16_e32 0, v5
	s_cbranch_execz .LBB287_3026
; %bb.3019:                             ;   in Loop: Header=BB287_2082 Depth=1
	v_dual_mov_b32 v6, s8 :: v_dual_mov_b32 v7, s9
	s_mov_b32 s1, exec_lo
	scratch_store_b64 off, v[6:7], s32 offset:1240 ; 8-byte Folded Spill
	v_cmpx_ne_u16_e32 0x80, v5
	s_cbranch_execz .LBB287_3025
; %bb.3020:                             ;   in Loop: Header=BB287_2082 Depth=1
	s_mov_b32 s12, s8
	v_and_b32_e32 v5, 0xffff, v5
	v_dual_mov_b32 v7, s12 :: v_dual_mov_b32 v8, s13
	s_mov_b32 s2, exec_lo
	s_delay_alu instid0(VALU_DEP_2)
	v_and_b32_e32 v6, 0x7f, v5
	scratch_store_b64 off, v[7:8], s32 offset:1240 ; 8-byte Folded Spill
	v_cmpx_ne_u32_e32 0x7f, v6
	s_cbranch_execz .LBB287_3024
; %bb.3021:                             ;   in Loop: Header=BB287_2082 Depth=1
	v_and_b32_e32 v8, 7, v5
	v_lshrrev_b32_e32 v5, 3, v6
	s_mov_b32 s3, exec_lo
	v_cmpx_gt_u32_e32 8, v6
; %bb.3022:                             ;   in Loop: Header=BB287_2082 Depth=1
	s_delay_alu instid0(VALU_DEP_3) | instskip(NEXT) | instid1(VALU_DEP_1)
	v_clz_i32_u32_e32 v5, v8
	v_min_u32_e32 v5, 32, v5
	s_delay_alu instid0(VALU_DEP_1) | instskip(SKIP_1) | instid1(VALU_DEP_2)
	v_subrev_nc_u32_e32 v6, 28, v5
	v_sub_nc_u32_e32 v5, 29, v5
	v_lshlrev_b64 v[6:7], v6, v[8:9]
	s_delay_alu instid0(VALU_DEP_1)
	v_and_b32_e32 v8, 7, v6
; %bb.3023:                             ;   in Loop: Header=BB287_2082 Depth=1
	s_or_b32 exec_lo, exec_lo, s3
	v_lshlrev_b32_e32 v6, 16, v4
	s_delay_alu instid0(VALU_DEP_2) | instskip(SKIP_1) | instid1(VALU_DEP_3)
	v_lshlrev_b32_e32 v7, 20, v8
	v_lshl_add_u32 v5, v5, 23, 0x3c000000
	v_and_b32_e32 v6, 0x80000000, v6
	s_delay_alu instid0(VALU_DEP_1)
	v_or3_b32 v6, v7, v6, v5
	v_mov_b32_e32 v5, v9
	scratch_store_b64 off, v[5:6], s32 offset:1240 ; 8-byte Folded Spill
.LBB287_3024:                           ;   in Loop: Header=BB287_2082 Depth=1
	s_or_b32 exec_lo, exec_lo, s2
.LBB287_3025:                           ;   in Loop: Header=BB287_2082 Depth=1
	s_delay_alu instid0(SALU_CYCLE_1)
	s_or_b32 exec_lo, exec_lo, s1
.LBB287_3026:                           ;   in Loop: Header=BB287_2082 Depth=1
	s_delay_alu instid0(SALU_CYCLE_1)
	s_or_b32 exec_lo, exec_lo, s0
	v_lshrrev_b32_e32 v5, 16, v4
	v_mov_b32_e32 v7, 0
	v_mov_b32_e32 v8, 0
	s_mov_b32 s0, exec_lo
	s_clause 0x1
	scratch_store_b64 off, v[7:8], s32 offset:1256
	scratch_store_b64 off, v[7:8], s32 offset:1264
	v_and_b32_e32 v6, 0xff, v5
	s_delay_alu instid0(VALU_DEP_1)
	v_cmpx_ne_u16_e32 0, v6
	s_cbranch_execz .LBB287_3034
; %bb.3027:                             ;   in Loop: Header=BB287_2082 Depth=1
	v_cmp_ne_u16_e32 vcc_lo, 0x80, v6
	v_bfrev_b32_e32 v6, 1
	v_mov_b32_e32 v7, 0
	scratch_store_b64 off, v[6:7], s32 offset:1264 ; 8-byte Folded Spill
	s_and_saveexec_b32 s1, vcc_lo
	s_cbranch_execz .LBB287_3033
; %bb.3028:                             ;   in Loop: Header=BB287_2082 Depth=1
	v_mov_b32_e32 v10, 0x7f800001
	v_bfe_u32 v7, v4, 16, 7
	v_mov_b32_e32 v11, 0
	s_mov_b32 s2, exec_lo
	scratch_store_b64 off, v[10:11], s32 offset:1264 ; 8-byte Folded Spill
	v_cmpx_ne_u32_e32 0x7f, v7
	s_cbranch_execz .LBB287_3032
; %bb.3029:                             ;   in Loop: Header=BB287_2082 Depth=1
	v_and_b32_e32 v8, 7, v5
	v_lshrrev_b32_e32 v6, 3, v7
	s_mov_b32 s3, exec_lo
	v_cmpx_gt_u32_e32 8, v7
; %bb.3030:                             ;   in Loop: Header=BB287_2082 Depth=1
	s_delay_alu instid0(VALU_DEP_3) | instskip(NEXT) | instid1(VALU_DEP_1)
	v_clz_i32_u32_e32 v6, v8
	v_min_u32_e32 v6, 32, v6
	s_delay_alu instid0(VALU_DEP_1) | instskip(SKIP_1) | instid1(VALU_DEP_2)
	v_subrev_nc_u32_e32 v7, 28, v6
	v_sub_nc_u32_e32 v6, 29, v6
	v_lshlrev_b64 v[7:8], v7, v[8:9]
	s_delay_alu instid0(VALU_DEP_1)
	v_and_b32_e32 v8, 7, v7
; %bb.3031:                             ;   in Loop: Header=BB287_2082 Depth=1
	s_or_b32 exec_lo, exec_lo, s3
	v_lshlrev_b32_e32 v5, 24, v5
	s_delay_alu instid0(VALU_DEP_2) | instskip(SKIP_1) | instid1(VALU_DEP_3)
	v_lshlrev_b32_e32 v7, 20, v8
	v_lshl_add_u32 v6, v6, 23, 0x3c000000
	v_and_b32_e32 v5, 0x80000000, v5
	s_delay_alu instid0(VALU_DEP_1)
	v_or3_b32 v8, v7, v5, v6
	scratch_store_b64 off, v[8:9], s32 offset:1264 ; 8-byte Folded Spill
.LBB287_3032:                           ;   in Loop: Header=BB287_2082 Depth=1
	s_or_b32 exec_lo, exec_lo, s2
.LBB287_3033:                           ;   in Loop: Header=BB287_2082 Depth=1
	s_delay_alu instid0(SALU_CYCLE_1)
	s_or_b32 exec_lo, exec_lo, s1
.LBB287_3034:                           ;   in Loop: Header=BB287_2082 Depth=1
	s_delay_alu instid0(SALU_CYCLE_1) | instskip(NEXT) | instid1(SALU_CYCLE_1)
	s_or_b32 exec_lo, exec_lo, s0
	s_mov_b32 s0, exec_lo
	v_cmpx_lt_u32_e32 0xffffff, v4
	s_cbranch_execz .LBB287_3042
; %bb.3035:                             ;   in Loop: Header=BB287_2082 Depth=1
	v_lshrrev_b32_e32 v5, 24, v4
	v_dual_mov_b32 v6, s8 :: v_dual_mov_b32 v7, s9
	s_mov_b32 s1, exec_lo
	scratch_store_b64 off, v[6:7], s32 offset:1256 ; 8-byte Folded Spill
	v_cmpx_ne_u32_e32 0x80, v5
	s_cbranch_execz .LBB287_3041
; %bb.3036:                             ;   in Loop: Header=BB287_2082 Depth=1
	s_mov_b32 s12, s8
	v_bfe_u32 v6, v4, 24, 7
	v_dual_mov_b32 v7, s12 :: v_dual_mov_b32 v8, s13
	s_mov_b32 s2, exec_lo
	scratch_store_b64 off, v[7:8], s32 offset:1256 ; 8-byte Folded Spill
	v_cmpx_ne_u32_e32 0x7f, v6
	s_cbranch_execz .LBB287_3040
; %bb.3037:                             ;   in Loop: Header=BB287_2082 Depth=1
	v_and_b32_e32 v8, 7, v5
	v_lshrrev_b32_e32 v4, 3, v6
	s_mov_b32 s3, exec_lo
	v_cmpx_gt_u32_e32 8, v6
; %bb.3038:                             ;   in Loop: Header=BB287_2082 Depth=1
	s_delay_alu instid0(VALU_DEP_3) | instskip(NEXT) | instid1(VALU_DEP_1)
	v_clz_i32_u32_e32 v4, v8
	v_min_u32_e32 v4, 32, v4
	s_delay_alu instid0(VALU_DEP_1) | instskip(SKIP_1) | instid1(VALU_DEP_2)
	v_subrev_nc_u32_e32 v6, 28, v4
	v_sub_nc_u32_e32 v4, 29, v4
	v_lshlrev_b64 v[6:7], v6, v[8:9]
	s_delay_alu instid0(VALU_DEP_1)
	v_and_b32_e32 v8, 7, v6
; %bb.3039:                             ;   in Loop: Header=BB287_2082 Depth=1
	s_or_b32 exec_lo, exec_lo, s3
	v_lshlrev_b32_e32 v5, 24, v5
	s_delay_alu instid0(VALU_DEP_2) | instskip(SKIP_1) | instid1(VALU_DEP_3)
	v_lshlrev_b32_e32 v6, 20, v8
	v_lshl_add_u32 v4, v4, 23, 0x3c000000
	v_and_b32_e32 v5, 0x80000000, v5
	s_delay_alu instid0(VALU_DEP_1)
	v_or3_b32 v5, v6, v5, v4
	v_mov_b32_e32 v4, v9
	scratch_store_b64 off, v[4:5], s32 offset:1256 ; 8-byte Folded Spill
.LBB287_3040:                           ;   in Loop: Header=BB287_2082 Depth=1
	s_or_b32 exec_lo, exec_lo, s2
.LBB287_3041:                           ;   in Loop: Header=BB287_2082 Depth=1
	s_delay_alu instid0(SALU_CYCLE_1)
	s_or_b32 exec_lo, exec_lo, s1
.LBB287_3042:                           ;   in Loop: Header=BB287_2082 Depth=1
	s_delay_alu instid0(SALU_CYCLE_1)
	s_or_b32 exec_lo, exec_lo, s0
	flat_load_b32 v4, v[34:35] offset:3840
	v_mov_b32_e32 v6, 0
	v_mov_b32_e32 v7, 0
	s_mov_b32 s0, exec_lo
	s_clause 0x1
	scratch_store_b64 off, v[6:7], s32 offset:1272
	scratch_store_b64 off, v[6:7], s32 offset:1280
	s_waitcnt vmcnt(0) lgkmcnt(0)
	v_and_b32_e32 v5, 0xff, v4
	s_delay_alu instid0(VALU_DEP_1)
	v_cmpx_ne_u16_e32 0, v5
	s_cbranch_execz .LBB287_3050
; %bb.3043:                             ;   in Loop: Header=BB287_2082 Depth=1
	v_cmp_ne_u16_e32 vcc_lo, 0x80, v5
	v_bfrev_b32_e32 v5, 1
	v_mov_b32_e32 v6, 0
	scratch_store_b64 off, v[5:6], s32 offset:1280 ; 8-byte Folded Spill
	s_and_saveexec_b32 s1, vcc_lo
	s_cbranch_execz .LBB287_3049
; %bb.3044:                             ;   in Loop: Header=BB287_2082 Depth=1
	v_mov_b32_e32 v7, 0x7f800001
	v_and_b32_e32 v6, 0x7f, v4
	v_mov_b32_e32 v8, 0
	s_mov_b32 s2, exec_lo
	scratch_store_b64 off, v[7:8], s32 offset:1280 ; 8-byte Folded Spill
	v_cmpx_ne_u32_e32 0x7f, v6
	s_cbranch_execz .LBB287_3048
; %bb.3045:                             ;   in Loop: Header=BB287_2082 Depth=1
	v_and_b32_e32 v8, 7, v4
	v_lshrrev_b32_e32 v5, 3, v6
	s_mov_b32 s3, exec_lo
	v_cmpx_gt_u32_e32 8, v6
; %bb.3046:                             ;   in Loop: Header=BB287_2082 Depth=1
	s_delay_alu instid0(VALU_DEP_3) | instskip(NEXT) | instid1(VALU_DEP_1)
	v_clz_i32_u32_e32 v5, v8
	v_min_u32_e32 v5, 32, v5
	s_delay_alu instid0(VALU_DEP_1) | instskip(SKIP_1) | instid1(VALU_DEP_2)
	v_subrev_nc_u32_e32 v6, 28, v5
	v_sub_nc_u32_e32 v5, 29, v5
	v_lshlrev_b64 v[6:7], v6, v[8:9]
	s_delay_alu instid0(VALU_DEP_1)
	v_and_b32_e32 v8, 7, v6
; %bb.3047:                             ;   in Loop: Header=BB287_2082 Depth=1
	s_or_b32 exec_lo, exec_lo, s3
	v_lshlrev_b32_e32 v6, 24, v4
	s_delay_alu instid0(VALU_DEP_2) | instskip(SKIP_1) | instid1(VALU_DEP_3)
	v_lshlrev_b32_e32 v7, 20, v8
	v_lshl_add_u32 v5, v5, 23, 0x3c000000
	v_and_b32_e32 v6, 0x80000000, v6
	s_delay_alu instid0(VALU_DEP_1)
	v_or3_b32 v8, v7, v6, v5
	scratch_store_b64 off, v[8:9], s32 offset:1280 ; 8-byte Folded Spill
.LBB287_3048:                           ;   in Loop: Header=BB287_2082 Depth=1
	s_or_b32 exec_lo, exec_lo, s2
.LBB287_3049:                           ;   in Loop: Header=BB287_2082 Depth=1
	s_delay_alu instid0(SALU_CYCLE_1)
	s_or_b32 exec_lo, exec_lo, s1
.LBB287_3050:                           ;   in Loop: Header=BB287_2082 Depth=1
	s_delay_alu instid0(SALU_CYCLE_1) | instskip(SKIP_2) | instid1(VALU_DEP_1)
	s_or_b32 exec_lo, exec_lo, s0
	v_lshrrev_b16 v5, 8, v4
	s_mov_b32 s0, exec_lo
	v_cmpx_ne_u16_e32 0, v5
	s_cbranch_execz .LBB287_3058
; %bb.3051:                             ;   in Loop: Header=BB287_2082 Depth=1
	v_dual_mov_b32 v6, s8 :: v_dual_mov_b32 v7, s9
	s_mov_b32 s1, exec_lo
	scratch_store_b64 off, v[6:7], s32 offset:1272 ; 8-byte Folded Spill
	v_cmpx_ne_u16_e32 0x80, v5
	s_cbranch_execz .LBB287_3057
; %bb.3052:                             ;   in Loop: Header=BB287_2082 Depth=1
	s_mov_b32 s12, s8
	v_and_b32_e32 v5, 0xffff, v5
	v_dual_mov_b32 v7, s12 :: v_dual_mov_b32 v8, s13
	s_mov_b32 s2, exec_lo
	s_delay_alu instid0(VALU_DEP_2)
	v_and_b32_e32 v6, 0x7f, v5
	scratch_store_b64 off, v[7:8], s32 offset:1272 ; 8-byte Folded Spill
	v_cmpx_ne_u32_e32 0x7f, v6
	s_cbranch_execz .LBB287_3056
; %bb.3053:                             ;   in Loop: Header=BB287_2082 Depth=1
	v_and_b32_e32 v8, 7, v5
	v_lshrrev_b32_e32 v5, 3, v6
	s_mov_b32 s3, exec_lo
	v_cmpx_gt_u32_e32 8, v6
; %bb.3054:                             ;   in Loop: Header=BB287_2082 Depth=1
	s_delay_alu instid0(VALU_DEP_3) | instskip(NEXT) | instid1(VALU_DEP_1)
	v_clz_i32_u32_e32 v5, v8
	v_min_u32_e32 v5, 32, v5
	s_delay_alu instid0(VALU_DEP_1) | instskip(SKIP_1) | instid1(VALU_DEP_2)
	v_subrev_nc_u32_e32 v6, 28, v5
	v_sub_nc_u32_e32 v5, 29, v5
	v_lshlrev_b64 v[6:7], v6, v[8:9]
	s_delay_alu instid0(VALU_DEP_1)
	v_and_b32_e32 v8, 7, v6
; %bb.3055:                             ;   in Loop: Header=BB287_2082 Depth=1
	s_or_b32 exec_lo, exec_lo, s3
	v_lshlrev_b32_e32 v6, 16, v4
	s_delay_alu instid0(VALU_DEP_2) | instskip(SKIP_1) | instid1(VALU_DEP_3)
	v_lshlrev_b32_e32 v7, 20, v8
	v_lshl_add_u32 v5, v5, 23, 0x3c000000
	v_and_b32_e32 v6, 0x80000000, v6
	s_delay_alu instid0(VALU_DEP_1)
	v_or3_b32 v6, v7, v6, v5
	v_mov_b32_e32 v5, v9
	scratch_store_b64 off, v[5:6], s32 offset:1272 ; 8-byte Folded Spill
.LBB287_3056:                           ;   in Loop: Header=BB287_2082 Depth=1
	s_or_b32 exec_lo, exec_lo, s2
.LBB287_3057:                           ;   in Loop: Header=BB287_2082 Depth=1
	s_delay_alu instid0(SALU_CYCLE_1)
	s_or_b32 exec_lo, exec_lo, s1
.LBB287_3058:                           ;   in Loop: Header=BB287_2082 Depth=1
	s_delay_alu instid0(SALU_CYCLE_1)
	s_or_b32 exec_lo, exec_lo, s0
	v_lshrrev_b32_e32 v5, 16, v4
	v_mov_b32_e32 v7, 0
	v_mov_b32_e32 v8, 0
	s_mov_b32 s0, exec_lo
	s_clause 0x1
	scratch_store_b64 off, v[7:8], s32 offset:1288
	scratch_store_b64 off, v[7:8], s32 offset:1296
	v_and_b32_e32 v6, 0xff, v5
	s_delay_alu instid0(VALU_DEP_1)
	v_cmpx_ne_u16_e32 0, v6
	s_cbranch_execz .LBB287_3066
; %bb.3059:                             ;   in Loop: Header=BB287_2082 Depth=1
	v_cmp_ne_u16_e32 vcc_lo, 0x80, v6
	v_bfrev_b32_e32 v6, 1
	v_mov_b32_e32 v7, 0
	scratch_store_b64 off, v[6:7], s32 offset:1296 ; 8-byte Folded Spill
	s_and_saveexec_b32 s1, vcc_lo
	s_cbranch_execz .LBB287_3065
; %bb.3060:                             ;   in Loop: Header=BB287_2082 Depth=1
	v_mov_b32_e32 v10, 0x7f800001
	v_bfe_u32 v7, v4, 16, 7
	v_mov_b32_e32 v11, 0
	s_mov_b32 s2, exec_lo
	scratch_store_b64 off, v[10:11], s32 offset:1296 ; 8-byte Folded Spill
	v_cmpx_ne_u32_e32 0x7f, v7
	s_cbranch_execz .LBB287_3064
; %bb.3061:                             ;   in Loop: Header=BB287_2082 Depth=1
	v_and_b32_e32 v8, 7, v5
	v_lshrrev_b32_e32 v6, 3, v7
	s_mov_b32 s3, exec_lo
	v_cmpx_gt_u32_e32 8, v7
; %bb.3062:                             ;   in Loop: Header=BB287_2082 Depth=1
	s_delay_alu instid0(VALU_DEP_3) | instskip(NEXT) | instid1(VALU_DEP_1)
	v_clz_i32_u32_e32 v6, v8
	v_min_u32_e32 v6, 32, v6
	s_delay_alu instid0(VALU_DEP_1) | instskip(SKIP_1) | instid1(VALU_DEP_2)
	v_subrev_nc_u32_e32 v7, 28, v6
	v_sub_nc_u32_e32 v6, 29, v6
	v_lshlrev_b64 v[7:8], v7, v[8:9]
	s_delay_alu instid0(VALU_DEP_1)
	v_and_b32_e32 v8, 7, v7
; %bb.3063:                             ;   in Loop: Header=BB287_2082 Depth=1
	s_or_b32 exec_lo, exec_lo, s3
	v_lshlrev_b32_e32 v5, 24, v5
	s_delay_alu instid0(VALU_DEP_2) | instskip(SKIP_1) | instid1(VALU_DEP_3)
	v_lshlrev_b32_e32 v7, 20, v8
	v_lshl_add_u32 v6, v6, 23, 0x3c000000
	v_and_b32_e32 v5, 0x80000000, v5
	s_delay_alu instid0(VALU_DEP_1)
	v_or3_b32 v8, v7, v5, v6
	scratch_store_b64 off, v[8:9], s32 offset:1296 ; 8-byte Folded Spill
.LBB287_3064:                           ;   in Loop: Header=BB287_2082 Depth=1
	s_or_b32 exec_lo, exec_lo, s2
.LBB287_3065:                           ;   in Loop: Header=BB287_2082 Depth=1
	s_delay_alu instid0(SALU_CYCLE_1)
	s_or_b32 exec_lo, exec_lo, s1
.LBB287_3066:                           ;   in Loop: Header=BB287_2082 Depth=1
	s_delay_alu instid0(SALU_CYCLE_1) | instskip(NEXT) | instid1(SALU_CYCLE_1)
	s_or_b32 exec_lo, exec_lo, s0
	s_mov_b32 s0, exec_lo
	v_cmpx_lt_u32_e32 0xffffff, v4
	s_cbranch_execz .LBB287_3074
; %bb.3067:                             ;   in Loop: Header=BB287_2082 Depth=1
	v_lshrrev_b32_e32 v5, 24, v4
	v_dual_mov_b32 v6, s8 :: v_dual_mov_b32 v7, s9
	s_mov_b32 s1, exec_lo
	scratch_store_b64 off, v[6:7], s32 offset:1288 ; 8-byte Folded Spill
	v_cmpx_ne_u32_e32 0x80, v5
	s_cbranch_execz .LBB287_3073
; %bb.3068:                             ;   in Loop: Header=BB287_2082 Depth=1
	s_mov_b32 s12, s8
	v_bfe_u32 v6, v4, 24, 7
	v_dual_mov_b32 v7, s12 :: v_dual_mov_b32 v8, s13
	s_mov_b32 s2, exec_lo
	scratch_store_b64 off, v[7:8], s32 offset:1288 ; 8-byte Folded Spill
	v_cmpx_ne_u32_e32 0x7f, v6
	s_cbranch_execz .LBB287_3072
; %bb.3069:                             ;   in Loop: Header=BB287_2082 Depth=1
	v_and_b32_e32 v8, 7, v5
	v_lshrrev_b32_e32 v4, 3, v6
	s_mov_b32 s3, exec_lo
	v_cmpx_gt_u32_e32 8, v6
; %bb.3070:                             ;   in Loop: Header=BB287_2082 Depth=1
	s_delay_alu instid0(VALU_DEP_3) | instskip(NEXT) | instid1(VALU_DEP_1)
	v_clz_i32_u32_e32 v4, v8
	v_min_u32_e32 v4, 32, v4
	s_delay_alu instid0(VALU_DEP_1) | instskip(SKIP_1) | instid1(VALU_DEP_2)
	v_subrev_nc_u32_e32 v6, 28, v4
	v_sub_nc_u32_e32 v4, 29, v4
	v_lshlrev_b64 v[6:7], v6, v[8:9]
	s_delay_alu instid0(VALU_DEP_1)
	v_and_b32_e32 v8, 7, v6
; %bb.3071:                             ;   in Loop: Header=BB287_2082 Depth=1
	s_or_b32 exec_lo, exec_lo, s3
	v_lshlrev_b32_e32 v5, 24, v5
	s_delay_alu instid0(VALU_DEP_2) | instskip(SKIP_1) | instid1(VALU_DEP_3)
	v_lshlrev_b32_e32 v6, 20, v8
	v_lshl_add_u32 v4, v4, 23, 0x3c000000
	v_and_b32_e32 v5, 0x80000000, v5
	s_delay_alu instid0(VALU_DEP_1)
	v_or3_b32 v5, v6, v5, v4
	v_mov_b32_e32 v4, v9
	scratch_store_b64 off, v[4:5], s32 offset:1288 ; 8-byte Folded Spill
.LBB287_3072:                           ;   in Loop: Header=BB287_2082 Depth=1
	s_or_b32 exec_lo, exec_lo, s2
.LBB287_3073:                           ;   in Loop: Header=BB287_2082 Depth=1
	s_delay_alu instid0(SALU_CYCLE_1)
	s_or_b32 exec_lo, exec_lo, s1
.LBB287_3074:                           ;   in Loop: Header=BB287_2082 Depth=1
	s_delay_alu instid0(SALU_CYCLE_1)
	s_or_b32 exec_lo, exec_lo, s0
	scratch_load_b32 v4, off, s32 offset:2356 ; 4-byte Folded Reload
	s_mov_b32 s0, exec_lo
	s_waitcnt vmcnt(0)
	v_add_co_u32 v4, vcc_lo, v162, v4
	v_add_co_ci_u32_e32 v5, vcc_lo, 0, v163, vcc_lo
	flat_load_b32 v6, v[4:5]
	v_mov_b32_e32 v7, 0
	v_mov_b32_e32 v8, 0
	s_clause 0x1
	scratch_store_b64 off, v[7:8], s32 offset:1304
	scratch_store_b64 off, v[7:8], s32 offset:1312
	s_waitcnt vmcnt(0) lgkmcnt(0)
	v_and_b32_e32 v4, 0xff, v6
	s_delay_alu instid0(VALU_DEP_1)
	v_cmpx_ne_u16_e32 0, v4
	s_cbranch_execz .LBB287_3082
; %bb.3075:                             ;   in Loop: Header=BB287_2082 Depth=1
	v_cmp_ne_u16_e32 vcc_lo, 0x80, v4
	v_bfrev_b32_e32 v4, 1
	v_mov_b32_e32 v5, 0
	scratch_store_b64 off, v[4:5], s32 offset:1312 ; 8-byte Folded Spill
	s_and_saveexec_b32 s1, vcc_lo
	s_cbranch_execz .LBB287_3081
; %bb.3076:                             ;   in Loop: Header=BB287_2082 Depth=1
	v_mov_b32_e32 v7, 0x7f800001
	v_dual_mov_b32 v8, 0 :: v_dual_and_b32 v5, 0x7f, v6
	s_mov_b32 s2, exec_lo
	scratch_store_b64 off, v[7:8], s32 offset:1312 ; 8-byte Folded Spill
	v_cmpx_ne_u32_e32 0x7f, v5
	s_cbranch_execz .LBB287_3080
; %bb.3077:                             ;   in Loop: Header=BB287_2082 Depth=1
	v_and_b32_e32 v8, 7, v6
	v_lshrrev_b32_e32 v4, 3, v5
	s_mov_b32 s3, exec_lo
	v_cmpx_gt_u32_e32 8, v5
; %bb.3078:                             ;   in Loop: Header=BB287_2082 Depth=1
	s_delay_alu instid0(VALU_DEP_3) | instskip(NEXT) | instid1(VALU_DEP_1)
	v_clz_i32_u32_e32 v4, v8
	v_min_u32_e32 v4, 32, v4
	s_delay_alu instid0(VALU_DEP_1) | instskip(SKIP_1) | instid1(VALU_DEP_2)
	v_subrev_nc_u32_e32 v5, 28, v4
	v_sub_nc_u32_e32 v4, 29, v4
	v_lshlrev_b64 v[7:8], v5, v[8:9]
	s_delay_alu instid0(VALU_DEP_1)
	v_and_b32_e32 v8, 7, v7
; %bb.3079:                             ;   in Loop: Header=BB287_2082 Depth=1
	s_or_b32 exec_lo, exec_lo, s3
	v_lshlrev_b32_e32 v5, 24, v6
	s_delay_alu instid0(VALU_DEP_2) | instskip(SKIP_1) | instid1(VALU_DEP_3)
	v_lshlrev_b32_e32 v7, 20, v8
	v_lshl_add_u32 v4, v4, 23, 0x3c000000
	v_and_b32_e32 v5, 0x80000000, v5
	s_delay_alu instid0(VALU_DEP_1)
	v_or3_b32 v8, v7, v5, v4
	scratch_store_b64 off, v[8:9], s32 offset:1312 ; 8-byte Folded Spill
.LBB287_3080:                           ;   in Loop: Header=BB287_2082 Depth=1
	s_or_b32 exec_lo, exec_lo, s2
.LBB287_3081:                           ;   in Loop: Header=BB287_2082 Depth=1
	s_delay_alu instid0(SALU_CYCLE_1)
	s_or_b32 exec_lo, exec_lo, s1
.LBB287_3082:                           ;   in Loop: Header=BB287_2082 Depth=1
	s_delay_alu instid0(SALU_CYCLE_1) | instskip(SKIP_2) | instid1(VALU_DEP_1)
	s_or_b32 exec_lo, exec_lo, s0
	v_lshrrev_b16 v4, 8, v6
	s_mov_b32 s0, exec_lo
	v_cmpx_ne_u16_e32 0, v4
	s_cbranch_execz .LBB287_3090
; %bb.3083:                             ;   in Loop: Header=BB287_2082 Depth=1
	v_dual_mov_b32 v7, s8 :: v_dual_mov_b32 v8, s9
	s_mov_b32 s1, exec_lo
	scratch_store_b64 off, v[7:8], s32 offset:1304 ; 8-byte Folded Spill
	v_cmpx_ne_u16_e32 0x80, v4
	s_cbranch_execz .LBB287_3089
; %bb.3084:                             ;   in Loop: Header=BB287_2082 Depth=1
	s_mov_b32 s12, s8
	v_and_b32_e32 v5, 0xffff, v4
	v_dual_mov_b32 v7, s12 :: v_dual_mov_b32 v8, s13
	s_mov_b32 s2, exec_lo
	s_delay_alu instid0(VALU_DEP_2)
	v_and_b32_e32 v4, 0x7f, v5
	scratch_store_b64 off, v[7:8], s32 offset:1304 ; 8-byte Folded Spill
	v_cmpx_ne_u32_e32 0x7f, v4
	s_cbranch_execz .LBB287_3088
; %bb.3085:                             ;   in Loop: Header=BB287_2082 Depth=1
	v_and_b32_e32 v8, 7, v5
	v_lshrrev_b32_e32 v7, 3, v4
	v_cmp_gt_u32_e32 vcc_lo, 8, v4
	s_delay_alu instid0(VALU_DEP_3)
	v_dual_mov_b32 v4, v8 :: v_dual_mov_b32 v5, v9
	s_and_saveexec_b32 s3, vcc_lo
; %bb.3086:                             ;   in Loop: Header=BB287_2082 Depth=1
	v_clz_i32_u32_e32 v4, v8
	s_delay_alu instid0(VALU_DEP_1) | instskip(NEXT) | instid1(VALU_DEP_1)
	v_min_u32_e32 v7, 32, v4
	v_subrev_nc_u32_e32 v4, 28, v7
	v_sub_nc_u32_e32 v7, 29, v7
	s_delay_alu instid0(VALU_DEP_2) | instskip(NEXT) | instid1(VALU_DEP_1)
	v_lshlrev_b64 v[4:5], v4, v[8:9]
	v_and_b32_e32 v4, 7, v4
; %bb.3087:                             ;   in Loop: Header=BB287_2082 Depth=1
	s_or_b32 exec_lo, exec_lo, s3
	v_lshlrev_b32_e32 v5, 16, v6
	s_delay_alu instid0(VALU_DEP_2) | instskip(SKIP_1) | instid1(VALU_DEP_3)
	v_lshlrev_b32_e32 v4, 20, v4
	v_lshl_add_u32 v7, v7, 23, 0x3c000000
	v_and_b32_e32 v5, 0x80000000, v5
	s_delay_alu instid0(VALU_DEP_1)
	v_or3_b32 v5, v4, v5, v7
	v_mov_b32_e32 v4, v9
	scratch_store_b64 off, v[4:5], s32 offset:1304 ; 8-byte Folded Spill
.LBB287_3088:                           ;   in Loop: Header=BB287_2082 Depth=1
	s_or_b32 exec_lo, exec_lo, s2
.LBB287_3089:                           ;   in Loop: Header=BB287_2082 Depth=1
	s_delay_alu instid0(SALU_CYCLE_1)
	s_or_b32 exec_lo, exec_lo, s1
.LBB287_3090:                           ;   in Loop: Header=BB287_2082 Depth=1
	s_delay_alu instid0(SALU_CYCLE_1) | instskip(SKIP_4) | instid1(VALU_DEP_3)
	s_or_b32 exec_lo, exec_lo, s0
	v_lshrrev_b32_e32 v7, 16, v6
	v_mov_b32_e32 v10, 0
	v_mov_b32_e32 v11, 0
	s_mov_b32 s0, exec_lo
	v_and_b32_e32 v4, 0xff, v7
	s_clause 0x1
	scratch_store_b64 off, v[10:11], s32 offset:1600
	scratch_store_b64 off, v[10:11], s32 offset:1320
	v_cmpx_ne_u16_e32 0, v4
	s_cbranch_execz .LBB287_3098
; %bb.3091:                             ;   in Loop: Header=BB287_2082 Depth=1
	v_cmp_ne_u16_e32 vcc_lo, 0x80, v4
	v_bfrev_b32_e32 v4, 1
	v_mov_b32_e32 v5, 0
	scratch_store_b64 off, v[4:5], s32 offset:1320 ; 8-byte Folded Spill
	s_and_saveexec_b32 s1, vcc_lo
	s_cbranch_execz .LBB287_3097
; %bb.3092:                             ;   in Loop: Header=BB287_2082 Depth=1
	v_mov_b32_e32 v10, 0x7f800001
	v_bfe_u32 v4, v6, 16, 7
	v_mov_b32_e32 v11, 0
	s_mov_b32 s2, exec_lo
	scratch_store_b64 off, v[10:11], s32 offset:1320 ; 8-byte Folded Spill
	v_cmpx_ne_u32_e32 0x7f, v4
	s_cbranch_execz .LBB287_3096
; %bb.3093:                             ;   in Loop: Header=BB287_2082 Depth=1
	v_and_b32_e32 v8, 7, v7
	v_lshrrev_b32_e32 v10, 3, v4
	v_cmp_gt_u32_e32 vcc_lo, 8, v4
	s_delay_alu instid0(VALU_DEP_3)
	v_dual_mov_b32 v4, v8 :: v_dual_mov_b32 v5, v9
	s_and_saveexec_b32 s3, vcc_lo
; %bb.3094:                             ;   in Loop: Header=BB287_2082 Depth=1
	v_clz_i32_u32_e32 v4, v8
	s_delay_alu instid0(VALU_DEP_1) | instskip(NEXT) | instid1(VALU_DEP_1)
	v_min_u32_e32 v10, 32, v4
	v_subrev_nc_u32_e32 v4, 28, v10
	v_sub_nc_u32_e32 v10, 29, v10
	s_delay_alu instid0(VALU_DEP_2) | instskip(NEXT) | instid1(VALU_DEP_1)
	v_lshlrev_b64 v[4:5], v4, v[8:9]
	v_and_b32_e32 v4, 7, v4
; %bb.3095:                             ;   in Loop: Header=BB287_2082 Depth=1
	s_or_b32 exec_lo, exec_lo, s3
	v_lshlrev_b32_e32 v5, 24, v7
	s_delay_alu instid0(VALU_DEP_2) | instskip(SKIP_1) | instid1(VALU_DEP_3)
	v_lshlrev_b32_e32 v4, 20, v4
	v_lshl_add_u32 v7, v10, 23, 0x3c000000
	v_and_b32_e32 v5, 0x80000000, v5
	s_delay_alu instid0(VALU_DEP_1)
	v_or3_b32 v8, v4, v5, v7
	scratch_store_b64 off, v[8:9], s32 offset:1320 ; 8-byte Folded Spill
.LBB287_3096:                           ;   in Loop: Header=BB287_2082 Depth=1
	s_or_b32 exec_lo, exec_lo, s2
.LBB287_3097:                           ;   in Loop: Header=BB287_2082 Depth=1
	s_delay_alu instid0(SALU_CYCLE_1)
	s_or_b32 exec_lo, exec_lo, s1
.LBB287_3098:                           ;   in Loop: Header=BB287_2082 Depth=1
	s_delay_alu instid0(SALU_CYCLE_1) | instskip(NEXT) | instid1(SALU_CYCLE_1)
	s_or_b32 exec_lo, exec_lo, s0
	s_mov_b32 s0, exec_lo
	v_cmpx_lt_u32_e32 0xffffff, v6
	s_cbranch_execz .LBB287_3106
; %bb.3099:                             ;   in Loop: Header=BB287_2082 Depth=1
	v_lshrrev_b32_e32 v7, 24, v6
	v_dual_mov_b32 v4, s8 :: v_dual_mov_b32 v5, s9
	s_mov_b32 s1, exec_lo
	scratch_store_b64 off, v[4:5], s32 offset:1600 ; 8-byte Folded Spill
	v_cmpx_ne_u32_e32 0x80, v7
	s_cbranch_execz .LBB287_3105
; %bb.3100:                             ;   in Loop: Header=BB287_2082 Depth=1
	s_mov_b32 s12, s8
	v_bfe_u32 v4, v6, 24, 7
	v_dual_mov_b32 v5, s12 :: v_dual_mov_b32 v6, s13
	s_mov_b32 s2, exec_lo
	s_delay_alu instid0(VALU_DEP_2)
	v_cmpx_ne_u32_e32 0x7f, v4
	s_cbranch_execz .LBB287_3104
; %bb.3101:                             ;   in Loop: Header=BB287_2082 Depth=1
	v_and_b32_e32 v8, 7, v7
	v_lshrrev_b32_e32 v6, 3, v4
	v_cmp_gt_u32_e32 vcc_lo, 8, v4
	s_delay_alu instid0(VALU_DEP_3)
	v_dual_mov_b32 v4, v8 :: v_dual_mov_b32 v5, v9
	s_and_saveexec_b32 s3, vcc_lo
; %bb.3102:                             ;   in Loop: Header=BB287_2082 Depth=1
	v_clz_i32_u32_e32 v4, v8
	s_delay_alu instid0(VALU_DEP_1) | instskip(NEXT) | instid1(VALU_DEP_1)
	v_min_u32_e32 v6, 32, v4
	v_subrev_nc_u32_e32 v4, 28, v6
	v_sub_nc_u32_e32 v6, 29, v6
	s_delay_alu instid0(VALU_DEP_2) | instskip(NEXT) | instid1(VALU_DEP_1)
	v_lshlrev_b64 v[4:5], v4, v[8:9]
	v_and_b32_e32 v4, 7, v4
; %bb.3103:                             ;   in Loop: Header=BB287_2082 Depth=1
	s_or_b32 exec_lo, exec_lo, s3
	v_lshlrev_b32_e32 v5, 24, v7
	s_delay_alu instid0(VALU_DEP_2) | instskip(SKIP_1) | instid1(VALU_DEP_3)
	v_lshlrev_b32_e32 v4, 20, v4
	v_lshl_add_u32 v6, v6, 23, 0x3c000000
	v_and_b32_e32 v5, 0x80000000, v5
	s_delay_alu instid0(VALU_DEP_1)
	v_or3_b32 v6, v4, v5, v6
	v_mov_b32_e32 v5, v9
.LBB287_3104:                           ;   in Loop: Header=BB287_2082 Depth=1
	s_or_b32 exec_lo, exec_lo, s2
	scratch_store_b64 off, v[5:6], s32 offset:1600 ; 8-byte Folded Spill
.LBB287_3105:                           ;   in Loop: Header=BB287_2082 Depth=1
	s_or_b32 exec_lo, exec_lo, s1
.LBB287_3106:                           ;   in Loop: Header=BB287_2082 Depth=1
	s_delay_alu instid0(SALU_CYCLE_1)
	s_or_b32 exec_lo, exec_lo, s0
	scratch_load_b32 v4, off, s32 offset:2388 ; 4-byte Folded Reload
	s_mov_b32 s0, exec_lo
	s_waitcnt vmcnt(0)
	v_add_co_u32 v4, vcc_lo, v162, v4
	v_add_co_ci_u32_e32 v5, vcc_lo, 0, v163, vcc_lo
	flat_load_b32 v6, v[4:5]
	v_mov_b32_e32 v7, 0
	v_mov_b32_e32 v8, 0
	s_clause 0x1
	scratch_store_b64 off, v[7:8], s32 offset:1328
	scratch_store_b64 off, v[7:8], s32 offset:1336
	s_waitcnt vmcnt(0) lgkmcnt(0)
	v_and_b32_e32 v4, 0xff, v6
	s_delay_alu instid0(VALU_DEP_1)
	v_cmpx_ne_u16_e32 0, v4
	s_cbranch_execz .LBB287_3114
; %bb.3107:                             ;   in Loop: Header=BB287_2082 Depth=1
	v_cmp_ne_u16_e32 vcc_lo, 0x80, v4
	v_bfrev_b32_e32 v4, 1
	v_mov_b32_e32 v5, 0
	scratch_store_b64 off, v[4:5], s32 offset:1336 ; 8-byte Folded Spill
	s_and_saveexec_b32 s1, vcc_lo
	s_cbranch_execz .LBB287_3113
; %bb.3108:                             ;   in Loop: Header=BB287_2082 Depth=1
	v_mov_b32_e32 v7, 0x7f800001
	v_and_b32_e32 v4, 0x7f, v6
	v_mov_b32_e32 v8, 0
	s_mov_b32 s2, exec_lo
	scratch_store_b64 off, v[7:8], s32 offset:1336 ; 8-byte Folded Spill
	v_cmpx_ne_u32_e32 0x7f, v4
	s_cbranch_execz .LBB287_3112
; %bb.3109:                             ;   in Loop: Header=BB287_2082 Depth=1
	v_and_b32_e32 v8, 7, v6
	v_lshrrev_b32_e32 v7, 3, v4
	v_cmp_gt_u32_e32 vcc_lo, 8, v4
	s_delay_alu instid0(VALU_DEP_3)
	v_dual_mov_b32 v4, v8 :: v_dual_mov_b32 v5, v9
	s_and_saveexec_b32 s3, vcc_lo
; %bb.3110:                             ;   in Loop: Header=BB287_2082 Depth=1
	v_clz_i32_u32_e32 v4, v8
	s_delay_alu instid0(VALU_DEP_1) | instskip(NEXT) | instid1(VALU_DEP_1)
	v_min_u32_e32 v7, 32, v4
	v_subrev_nc_u32_e32 v4, 28, v7
	v_sub_nc_u32_e32 v7, 29, v7
	s_delay_alu instid0(VALU_DEP_2) | instskip(NEXT) | instid1(VALU_DEP_1)
	v_lshlrev_b64 v[4:5], v4, v[8:9]
	v_and_b32_e32 v4, 7, v4
; %bb.3111:                             ;   in Loop: Header=BB287_2082 Depth=1
	s_or_b32 exec_lo, exec_lo, s3
	v_lshlrev_b32_e32 v5, 24, v6
	s_delay_alu instid0(VALU_DEP_2) | instskip(SKIP_1) | instid1(VALU_DEP_3)
	v_lshlrev_b32_e32 v4, 20, v4
	v_lshl_add_u32 v7, v7, 23, 0x3c000000
	v_and_b32_e32 v5, 0x80000000, v5
	s_delay_alu instid0(VALU_DEP_1)
	v_or3_b32 v8, v4, v5, v7
	scratch_store_b64 off, v[8:9], s32 offset:1336 ; 8-byte Folded Spill
.LBB287_3112:                           ;   in Loop: Header=BB287_2082 Depth=1
	s_or_b32 exec_lo, exec_lo, s2
.LBB287_3113:                           ;   in Loop: Header=BB287_2082 Depth=1
	s_delay_alu instid0(SALU_CYCLE_1)
	s_or_b32 exec_lo, exec_lo, s1
.LBB287_3114:                           ;   in Loop: Header=BB287_2082 Depth=1
	s_delay_alu instid0(SALU_CYCLE_1) | instskip(SKIP_2) | instid1(VALU_DEP_1)
	s_or_b32 exec_lo, exec_lo, s0
	v_lshrrev_b16 v4, 8, v6
	s_mov_b32 s0, exec_lo
	v_cmpx_ne_u16_e32 0, v4
	s_cbranch_execz .LBB287_3122
; %bb.3115:                             ;   in Loop: Header=BB287_2082 Depth=1
	v_dual_mov_b32 v7, s8 :: v_dual_mov_b32 v8, s9
	s_mov_b32 s1, exec_lo
	scratch_store_b64 off, v[7:8], s32 offset:1328 ; 8-byte Folded Spill
	v_cmpx_ne_u16_e32 0x80, v4
	s_cbranch_execz .LBB287_3121
; %bb.3116:                             ;   in Loop: Header=BB287_2082 Depth=1
	s_mov_b32 s12, s8
	v_and_b32_e32 v5, 0xffff, v4
	v_dual_mov_b32 v7, s12 :: v_dual_mov_b32 v8, s13
	s_mov_b32 s2, exec_lo
	s_delay_alu instid0(VALU_DEP_2)
	v_and_b32_e32 v4, 0x7f, v5
	scratch_store_b64 off, v[7:8], s32 offset:1328 ; 8-byte Folded Spill
	v_cmpx_ne_u32_e32 0x7f, v4
	s_cbranch_execz .LBB287_3120
; %bb.3117:                             ;   in Loop: Header=BB287_2082 Depth=1
	v_and_b32_e32 v8, 7, v5
	v_lshrrev_b32_e32 v7, 3, v4
	v_cmp_gt_u32_e32 vcc_lo, 8, v4
	s_delay_alu instid0(VALU_DEP_3)
	v_dual_mov_b32 v4, v8 :: v_dual_mov_b32 v5, v9
	s_and_saveexec_b32 s3, vcc_lo
; %bb.3118:                             ;   in Loop: Header=BB287_2082 Depth=1
	v_clz_i32_u32_e32 v4, v8
	s_delay_alu instid0(VALU_DEP_1) | instskip(NEXT) | instid1(VALU_DEP_1)
	v_min_u32_e32 v7, 32, v4
	v_subrev_nc_u32_e32 v4, 28, v7
	v_sub_nc_u32_e32 v7, 29, v7
	s_delay_alu instid0(VALU_DEP_2) | instskip(NEXT) | instid1(VALU_DEP_1)
	v_lshlrev_b64 v[4:5], v4, v[8:9]
	v_and_b32_e32 v4, 7, v4
; %bb.3119:                             ;   in Loop: Header=BB287_2082 Depth=1
	s_or_b32 exec_lo, exec_lo, s3
	v_lshlrev_b32_e32 v5, 16, v6
	s_delay_alu instid0(VALU_DEP_2) | instskip(SKIP_1) | instid1(VALU_DEP_3)
	v_lshlrev_b32_e32 v4, 20, v4
	v_lshl_add_u32 v7, v7, 23, 0x3c000000
	v_and_b32_e32 v5, 0x80000000, v5
	s_delay_alu instid0(VALU_DEP_1)
	v_or3_b32 v5, v4, v5, v7
	v_mov_b32_e32 v4, v9
	scratch_store_b64 off, v[4:5], s32 offset:1328 ; 8-byte Folded Spill
.LBB287_3120:                           ;   in Loop: Header=BB287_2082 Depth=1
	s_or_b32 exec_lo, exec_lo, s2
.LBB287_3121:                           ;   in Loop: Header=BB287_2082 Depth=1
	s_delay_alu instid0(SALU_CYCLE_1)
	s_or_b32 exec_lo, exec_lo, s1
.LBB287_3122:                           ;   in Loop: Header=BB287_2082 Depth=1
	s_delay_alu instid0(SALU_CYCLE_1) | instskip(SKIP_4) | instid1(VALU_DEP_3)
	s_or_b32 exec_lo, exec_lo, s0
	v_lshrrev_b32_e32 v7, 16, v6
	v_mov_b32_e32 v10, 0
	v_mov_b32_e32 v11, 0
	s_mov_b32 s0, exec_lo
	v_and_b32_e32 v4, 0xff, v7
	s_clause 0x1
	scratch_store_b64 off, v[10:11], s32 offset:1608
	scratch_store_b64 off, v[10:11], s32 offset:1344
	v_cmpx_ne_u16_e32 0, v4
	s_cbranch_execz .LBB287_3130
; %bb.3123:                             ;   in Loop: Header=BB287_2082 Depth=1
	v_cmp_ne_u16_e32 vcc_lo, 0x80, v4
	v_bfrev_b32_e32 v4, 1
	v_mov_b32_e32 v5, 0
	scratch_store_b64 off, v[4:5], s32 offset:1344 ; 8-byte Folded Spill
	s_and_saveexec_b32 s1, vcc_lo
	s_cbranch_execz .LBB287_3129
; %bb.3124:                             ;   in Loop: Header=BB287_2082 Depth=1
	v_mov_b32_e32 v10, 0x7f800001
	v_bfe_u32 v4, v6, 16, 7
	v_mov_b32_e32 v11, 0
	s_mov_b32 s2, exec_lo
	scratch_store_b64 off, v[10:11], s32 offset:1344 ; 8-byte Folded Spill
	v_cmpx_ne_u32_e32 0x7f, v4
	s_cbranch_execz .LBB287_3128
; %bb.3125:                             ;   in Loop: Header=BB287_2082 Depth=1
	v_and_b32_e32 v8, 7, v7
	v_lshrrev_b32_e32 v10, 3, v4
	v_cmp_gt_u32_e32 vcc_lo, 8, v4
	s_delay_alu instid0(VALU_DEP_3)
	v_dual_mov_b32 v4, v8 :: v_dual_mov_b32 v5, v9
	s_and_saveexec_b32 s3, vcc_lo
; %bb.3126:                             ;   in Loop: Header=BB287_2082 Depth=1
	v_clz_i32_u32_e32 v4, v8
	s_delay_alu instid0(VALU_DEP_1) | instskip(NEXT) | instid1(VALU_DEP_1)
	v_min_u32_e32 v10, 32, v4
	v_subrev_nc_u32_e32 v4, 28, v10
	v_sub_nc_u32_e32 v10, 29, v10
	s_delay_alu instid0(VALU_DEP_2) | instskip(NEXT) | instid1(VALU_DEP_1)
	v_lshlrev_b64 v[4:5], v4, v[8:9]
	v_and_b32_e32 v4, 7, v4
; %bb.3127:                             ;   in Loop: Header=BB287_2082 Depth=1
	s_or_b32 exec_lo, exec_lo, s3
	v_lshlrev_b32_e32 v5, 24, v7
	s_delay_alu instid0(VALU_DEP_2) | instskip(SKIP_1) | instid1(VALU_DEP_3)
	v_lshlrev_b32_e32 v4, 20, v4
	v_lshl_add_u32 v7, v10, 23, 0x3c000000
	v_and_b32_e32 v5, 0x80000000, v5
	s_delay_alu instid0(VALU_DEP_1)
	v_or3_b32 v8, v4, v5, v7
	scratch_store_b64 off, v[8:9], s32 offset:1344 ; 8-byte Folded Spill
.LBB287_3128:                           ;   in Loop: Header=BB287_2082 Depth=1
	s_or_b32 exec_lo, exec_lo, s2
.LBB287_3129:                           ;   in Loop: Header=BB287_2082 Depth=1
	s_delay_alu instid0(SALU_CYCLE_1)
	s_or_b32 exec_lo, exec_lo, s1
.LBB287_3130:                           ;   in Loop: Header=BB287_2082 Depth=1
	s_delay_alu instid0(SALU_CYCLE_1) | instskip(NEXT) | instid1(SALU_CYCLE_1)
	s_or_b32 exec_lo, exec_lo, s0
	s_mov_b32 s0, exec_lo
	v_cmpx_lt_u32_e32 0xffffff, v6
	s_cbranch_execz .LBB287_3138
; %bb.3131:                             ;   in Loop: Header=BB287_2082 Depth=1
	v_lshrrev_b32_e32 v7, 24, v6
	v_dual_mov_b32 v4, s8 :: v_dual_mov_b32 v5, s9
	s_mov_b32 s1, exec_lo
	scratch_store_b64 off, v[4:5], s32 offset:1608 ; 8-byte Folded Spill
	v_cmpx_ne_u32_e32 0x80, v7
	s_cbranch_execz .LBB287_3137
; %bb.3132:                             ;   in Loop: Header=BB287_2082 Depth=1
	s_mov_b32 s12, s8
	v_bfe_u32 v4, v6, 24, 7
	v_dual_mov_b32 v5, s12 :: v_dual_mov_b32 v6, s13
	s_mov_b32 s2, exec_lo
	s_delay_alu instid0(VALU_DEP_2)
	v_cmpx_ne_u32_e32 0x7f, v4
	s_cbranch_execz .LBB287_3136
; %bb.3133:                             ;   in Loop: Header=BB287_2082 Depth=1
	v_and_b32_e32 v8, 7, v7
	v_lshrrev_b32_e32 v6, 3, v4
	v_cmp_gt_u32_e32 vcc_lo, 8, v4
	s_delay_alu instid0(VALU_DEP_3)
	v_dual_mov_b32 v4, v8 :: v_dual_mov_b32 v5, v9
	s_and_saveexec_b32 s3, vcc_lo
; %bb.3134:                             ;   in Loop: Header=BB287_2082 Depth=1
	v_clz_i32_u32_e32 v4, v8
	s_delay_alu instid0(VALU_DEP_1) | instskip(NEXT) | instid1(VALU_DEP_1)
	v_min_u32_e32 v6, 32, v4
	v_subrev_nc_u32_e32 v4, 28, v6
	v_sub_nc_u32_e32 v6, 29, v6
	s_delay_alu instid0(VALU_DEP_2) | instskip(NEXT) | instid1(VALU_DEP_1)
	v_lshlrev_b64 v[4:5], v4, v[8:9]
	v_and_b32_e32 v4, 7, v4
; %bb.3135:                             ;   in Loop: Header=BB287_2082 Depth=1
	s_or_b32 exec_lo, exec_lo, s3
	v_lshlrev_b32_e32 v5, 24, v7
	s_delay_alu instid0(VALU_DEP_2) | instskip(SKIP_1) | instid1(VALU_DEP_3)
	v_lshlrev_b32_e32 v4, 20, v4
	v_lshl_add_u32 v6, v6, 23, 0x3c000000
	v_and_b32_e32 v5, 0x80000000, v5
	s_delay_alu instid0(VALU_DEP_1)
	v_or3_b32 v6, v4, v5, v6
	v_mov_b32_e32 v5, v9
.LBB287_3136:                           ;   in Loop: Header=BB287_2082 Depth=1
	s_or_b32 exec_lo, exec_lo, s2
	scratch_store_b64 off, v[5:6], s32 offset:1608 ; 8-byte Folded Spill
.LBB287_3137:                           ;   in Loop: Header=BB287_2082 Depth=1
	s_or_b32 exec_lo, exec_lo, s1
.LBB287_3138:                           ;   in Loop: Header=BB287_2082 Depth=1
	s_delay_alu instid0(SALU_CYCLE_1)
	s_or_b32 exec_lo, exec_lo, s0
	scratch_load_b32 v4, off, s32 offset:2404 ; 4-byte Folded Reload
	s_mov_b32 s0, exec_lo
	s_waitcnt vmcnt(0)
	v_add_co_u32 v4, vcc_lo, v162, v4
	v_add_co_ci_u32_e32 v5, vcc_lo, 0, v163, vcc_lo
	flat_load_b32 v6, v[4:5]
	v_mov_b32_e32 v7, 0
	v_mov_b32_e32 v8, 0
	s_clause 0x1
	scratch_store_b64 off, v[7:8], s32 offset:1352
	scratch_store_b64 off, v[7:8], s32 offset:1360
	s_waitcnt vmcnt(0) lgkmcnt(0)
	v_and_b32_e32 v4, 0xff, v6
	s_delay_alu instid0(VALU_DEP_1)
	v_cmpx_ne_u16_e32 0, v4
	s_cbranch_execz .LBB287_3146
; %bb.3139:                             ;   in Loop: Header=BB287_2082 Depth=1
	v_cmp_ne_u16_e32 vcc_lo, 0x80, v4
	v_bfrev_b32_e32 v4, 1
	v_mov_b32_e32 v5, 0
	scratch_store_b64 off, v[4:5], s32 offset:1360 ; 8-byte Folded Spill
	s_and_saveexec_b32 s1, vcc_lo
	s_cbranch_execz .LBB287_3145
; %bb.3140:                             ;   in Loop: Header=BB287_2082 Depth=1
	v_mov_b32_e32 v7, 0x7f800001
	v_and_b32_e32 v4, 0x7f, v6
	v_mov_b32_e32 v8, 0
	s_mov_b32 s2, exec_lo
	scratch_store_b64 off, v[7:8], s32 offset:1360 ; 8-byte Folded Spill
	v_cmpx_ne_u32_e32 0x7f, v4
	s_cbranch_execz .LBB287_3144
; %bb.3141:                             ;   in Loop: Header=BB287_2082 Depth=1
	v_and_b32_e32 v8, 7, v6
	v_lshrrev_b32_e32 v7, 3, v4
	v_cmp_gt_u32_e32 vcc_lo, 8, v4
	s_delay_alu instid0(VALU_DEP_3)
	v_dual_mov_b32 v4, v8 :: v_dual_mov_b32 v5, v9
	s_and_saveexec_b32 s3, vcc_lo
; %bb.3142:                             ;   in Loop: Header=BB287_2082 Depth=1
	v_clz_i32_u32_e32 v4, v8
	s_delay_alu instid0(VALU_DEP_1) | instskip(NEXT) | instid1(VALU_DEP_1)
	v_min_u32_e32 v7, 32, v4
	v_subrev_nc_u32_e32 v4, 28, v7
	v_sub_nc_u32_e32 v7, 29, v7
	s_delay_alu instid0(VALU_DEP_2) | instskip(NEXT) | instid1(VALU_DEP_1)
	v_lshlrev_b64 v[4:5], v4, v[8:9]
	v_and_b32_e32 v4, 7, v4
; %bb.3143:                             ;   in Loop: Header=BB287_2082 Depth=1
	s_or_b32 exec_lo, exec_lo, s3
	v_lshlrev_b32_e32 v5, 24, v6
	s_delay_alu instid0(VALU_DEP_2) | instskip(SKIP_1) | instid1(VALU_DEP_3)
	v_lshlrev_b32_e32 v4, 20, v4
	v_lshl_add_u32 v7, v7, 23, 0x3c000000
	v_and_b32_e32 v5, 0x80000000, v5
	s_delay_alu instid0(VALU_DEP_1)
	v_or3_b32 v8, v4, v5, v7
	scratch_store_b64 off, v[8:9], s32 offset:1360 ; 8-byte Folded Spill
.LBB287_3144:                           ;   in Loop: Header=BB287_2082 Depth=1
	s_or_b32 exec_lo, exec_lo, s2
.LBB287_3145:                           ;   in Loop: Header=BB287_2082 Depth=1
	s_delay_alu instid0(SALU_CYCLE_1)
	s_or_b32 exec_lo, exec_lo, s1
.LBB287_3146:                           ;   in Loop: Header=BB287_2082 Depth=1
	s_delay_alu instid0(SALU_CYCLE_1) | instskip(SKIP_2) | instid1(VALU_DEP_1)
	s_or_b32 exec_lo, exec_lo, s0
	v_lshrrev_b16 v4, 8, v6
	s_mov_b32 s0, exec_lo
	v_cmpx_ne_u16_e32 0, v4
	s_cbranch_execz .LBB287_3154
; %bb.3147:                             ;   in Loop: Header=BB287_2082 Depth=1
	v_dual_mov_b32 v7, s8 :: v_dual_mov_b32 v8, s9
	s_mov_b32 s1, exec_lo
	scratch_store_b64 off, v[7:8], s32 offset:1352 ; 8-byte Folded Spill
	v_cmpx_ne_u16_e32 0x80, v4
	s_cbranch_execz .LBB287_3153
; %bb.3148:                             ;   in Loop: Header=BB287_2082 Depth=1
	s_mov_b32 s12, s8
	v_and_b32_e32 v5, 0xffff, v4
	v_dual_mov_b32 v7, s12 :: v_dual_mov_b32 v8, s13
	s_mov_b32 s2, exec_lo
	s_delay_alu instid0(VALU_DEP_2)
	v_and_b32_e32 v4, 0x7f, v5
	scratch_store_b64 off, v[7:8], s32 offset:1352 ; 8-byte Folded Spill
	v_cmpx_ne_u32_e32 0x7f, v4
	s_cbranch_execz .LBB287_3152
; %bb.3149:                             ;   in Loop: Header=BB287_2082 Depth=1
	v_and_b32_e32 v8, 7, v5
	v_lshrrev_b32_e32 v7, 3, v4
	v_cmp_gt_u32_e32 vcc_lo, 8, v4
	s_delay_alu instid0(VALU_DEP_3)
	v_dual_mov_b32 v4, v8 :: v_dual_mov_b32 v5, v9
	s_and_saveexec_b32 s3, vcc_lo
; %bb.3150:                             ;   in Loop: Header=BB287_2082 Depth=1
	v_clz_i32_u32_e32 v4, v8
	s_delay_alu instid0(VALU_DEP_1) | instskip(NEXT) | instid1(VALU_DEP_1)
	v_min_u32_e32 v7, 32, v4
	v_subrev_nc_u32_e32 v4, 28, v7
	v_sub_nc_u32_e32 v7, 29, v7
	s_delay_alu instid0(VALU_DEP_2) | instskip(NEXT) | instid1(VALU_DEP_1)
	v_lshlrev_b64 v[4:5], v4, v[8:9]
	v_and_b32_e32 v4, 7, v4
; %bb.3151:                             ;   in Loop: Header=BB287_2082 Depth=1
	s_or_b32 exec_lo, exec_lo, s3
	v_lshlrev_b32_e32 v5, 16, v6
	s_delay_alu instid0(VALU_DEP_2) | instskip(SKIP_1) | instid1(VALU_DEP_3)
	v_lshlrev_b32_e32 v4, 20, v4
	v_lshl_add_u32 v7, v7, 23, 0x3c000000
	v_and_b32_e32 v5, 0x80000000, v5
	s_delay_alu instid0(VALU_DEP_1)
	v_or3_b32 v5, v4, v5, v7
	v_mov_b32_e32 v4, v9
	scratch_store_b64 off, v[4:5], s32 offset:1352 ; 8-byte Folded Spill
.LBB287_3152:                           ;   in Loop: Header=BB287_2082 Depth=1
	s_or_b32 exec_lo, exec_lo, s2
.LBB287_3153:                           ;   in Loop: Header=BB287_2082 Depth=1
	s_delay_alu instid0(SALU_CYCLE_1)
	s_or_b32 exec_lo, exec_lo, s1
.LBB287_3154:                           ;   in Loop: Header=BB287_2082 Depth=1
	s_delay_alu instid0(SALU_CYCLE_1) | instskip(SKIP_4) | instid1(VALU_DEP_3)
	s_or_b32 exec_lo, exec_lo, s0
	v_lshrrev_b32_e32 v7, 16, v6
	v_mov_b32_e32 v10, 0
	v_mov_b32_e32 v11, 0
	s_mov_b32 s0, exec_lo
	v_and_b32_e32 v4, 0xff, v7
	s_clause 0x1
	scratch_store_b64 off, v[10:11], s32 offset:1616
	scratch_store_b64 off, v[10:11], s32 offset:1368
	v_cmpx_ne_u16_e32 0, v4
	s_cbranch_execz .LBB287_3162
; %bb.3155:                             ;   in Loop: Header=BB287_2082 Depth=1
	v_cmp_ne_u16_e32 vcc_lo, 0x80, v4
	v_bfrev_b32_e32 v4, 1
	v_mov_b32_e32 v5, 0
	scratch_store_b64 off, v[4:5], s32 offset:1368 ; 8-byte Folded Spill
	s_and_saveexec_b32 s1, vcc_lo
	s_cbranch_execz .LBB287_3161
; %bb.3156:                             ;   in Loop: Header=BB287_2082 Depth=1
	v_mov_b32_e32 v10, 0x7f800001
	v_bfe_u32 v4, v6, 16, 7
	v_mov_b32_e32 v11, 0
	s_mov_b32 s2, exec_lo
	scratch_store_b64 off, v[10:11], s32 offset:1368 ; 8-byte Folded Spill
	v_cmpx_ne_u32_e32 0x7f, v4
	s_cbranch_execz .LBB287_3160
; %bb.3157:                             ;   in Loop: Header=BB287_2082 Depth=1
	v_and_b32_e32 v8, 7, v7
	v_lshrrev_b32_e32 v10, 3, v4
	v_cmp_gt_u32_e32 vcc_lo, 8, v4
	s_delay_alu instid0(VALU_DEP_3)
	v_dual_mov_b32 v4, v8 :: v_dual_mov_b32 v5, v9
	s_and_saveexec_b32 s3, vcc_lo
; %bb.3158:                             ;   in Loop: Header=BB287_2082 Depth=1
	v_clz_i32_u32_e32 v4, v8
	s_delay_alu instid0(VALU_DEP_1) | instskip(NEXT) | instid1(VALU_DEP_1)
	v_min_u32_e32 v10, 32, v4
	v_subrev_nc_u32_e32 v4, 28, v10
	v_sub_nc_u32_e32 v10, 29, v10
	s_delay_alu instid0(VALU_DEP_2) | instskip(NEXT) | instid1(VALU_DEP_1)
	v_lshlrev_b64 v[4:5], v4, v[8:9]
	v_and_b32_e32 v4, 7, v4
; %bb.3159:                             ;   in Loop: Header=BB287_2082 Depth=1
	s_or_b32 exec_lo, exec_lo, s3
	v_lshlrev_b32_e32 v5, 24, v7
	s_delay_alu instid0(VALU_DEP_2) | instskip(SKIP_1) | instid1(VALU_DEP_3)
	v_lshlrev_b32_e32 v4, 20, v4
	v_lshl_add_u32 v7, v10, 23, 0x3c000000
	v_and_b32_e32 v5, 0x80000000, v5
	s_delay_alu instid0(VALU_DEP_1)
	v_or3_b32 v8, v4, v5, v7
	scratch_store_b64 off, v[8:9], s32 offset:1368 ; 8-byte Folded Spill
.LBB287_3160:                           ;   in Loop: Header=BB287_2082 Depth=1
	s_or_b32 exec_lo, exec_lo, s2
.LBB287_3161:                           ;   in Loop: Header=BB287_2082 Depth=1
	s_delay_alu instid0(SALU_CYCLE_1)
	s_or_b32 exec_lo, exec_lo, s1
.LBB287_3162:                           ;   in Loop: Header=BB287_2082 Depth=1
	s_delay_alu instid0(SALU_CYCLE_1) | instskip(NEXT) | instid1(SALU_CYCLE_1)
	s_or_b32 exec_lo, exec_lo, s0
	s_mov_b32 s0, exec_lo
	v_cmpx_lt_u32_e32 0xffffff, v6
	s_cbranch_execz .LBB287_3170
; %bb.3163:                             ;   in Loop: Header=BB287_2082 Depth=1
	v_lshrrev_b32_e32 v7, 24, v6
	v_dual_mov_b32 v4, s8 :: v_dual_mov_b32 v5, s9
	s_mov_b32 s1, exec_lo
	scratch_store_b64 off, v[4:5], s32 offset:1616 ; 8-byte Folded Spill
	v_cmpx_ne_u32_e32 0x80, v7
	s_cbranch_execz .LBB287_3169
; %bb.3164:                             ;   in Loop: Header=BB287_2082 Depth=1
	s_mov_b32 s12, s8
	v_bfe_u32 v4, v6, 24, 7
	v_dual_mov_b32 v5, s12 :: v_dual_mov_b32 v6, s13
	s_mov_b32 s2, exec_lo
	s_delay_alu instid0(VALU_DEP_2)
	v_cmpx_ne_u32_e32 0x7f, v4
	s_cbranch_execz .LBB287_3168
; %bb.3165:                             ;   in Loop: Header=BB287_2082 Depth=1
	v_and_b32_e32 v8, 7, v7
	v_lshrrev_b32_e32 v6, 3, v4
	v_cmp_gt_u32_e32 vcc_lo, 8, v4
	s_delay_alu instid0(VALU_DEP_3)
	v_dual_mov_b32 v4, v8 :: v_dual_mov_b32 v5, v9
	s_and_saveexec_b32 s3, vcc_lo
; %bb.3166:                             ;   in Loop: Header=BB287_2082 Depth=1
	v_clz_i32_u32_e32 v4, v8
	s_delay_alu instid0(VALU_DEP_1) | instskip(NEXT) | instid1(VALU_DEP_1)
	v_min_u32_e32 v6, 32, v4
	v_subrev_nc_u32_e32 v4, 28, v6
	v_sub_nc_u32_e32 v6, 29, v6
	s_delay_alu instid0(VALU_DEP_2) | instskip(NEXT) | instid1(VALU_DEP_1)
	v_lshlrev_b64 v[4:5], v4, v[8:9]
	v_and_b32_e32 v4, 7, v4
; %bb.3167:                             ;   in Loop: Header=BB287_2082 Depth=1
	s_or_b32 exec_lo, exec_lo, s3
	v_lshlrev_b32_e32 v5, 24, v7
	s_delay_alu instid0(VALU_DEP_2) | instskip(SKIP_1) | instid1(VALU_DEP_3)
	v_lshlrev_b32_e32 v4, 20, v4
	v_lshl_add_u32 v6, v6, 23, 0x3c000000
	v_and_b32_e32 v5, 0x80000000, v5
	s_delay_alu instid0(VALU_DEP_1)
	v_or3_b32 v6, v4, v5, v6
	v_mov_b32_e32 v5, v9
.LBB287_3168:                           ;   in Loop: Header=BB287_2082 Depth=1
	s_or_b32 exec_lo, exec_lo, s2
	scratch_store_b64 off, v[5:6], s32 offset:1616 ; 8-byte Folded Spill
.LBB287_3169:                           ;   in Loop: Header=BB287_2082 Depth=1
	s_or_b32 exec_lo, exec_lo, s1
.LBB287_3170:                           ;   in Loop: Header=BB287_2082 Depth=1
	s_delay_alu instid0(SALU_CYCLE_1)
	s_or_b32 exec_lo, exec_lo, s0
	scratch_load_b32 v4, off, s32 offset:2420 ; 4-byte Folded Reload
	s_mov_b32 s0, exec_lo
	s_waitcnt vmcnt(0)
	v_add_co_u32 v4, vcc_lo, v162, v4
	v_add_co_ci_u32_e32 v5, vcc_lo, 0, v163, vcc_lo
	flat_load_b32 v6, v[4:5]
	v_mov_b32_e32 v7, 0
	v_mov_b32_e32 v8, 0
	s_clause 0x1
	scratch_store_b64 off, v[7:8], s32 offset:1376
	scratch_store_b64 off, v[7:8], s32 offset:1384
	s_waitcnt vmcnt(0) lgkmcnt(0)
	v_and_b32_e32 v4, 0xff, v6
	s_delay_alu instid0(VALU_DEP_1)
	v_cmpx_ne_u16_e32 0, v4
	s_cbranch_execz .LBB287_3178
; %bb.3171:                             ;   in Loop: Header=BB287_2082 Depth=1
	v_cmp_ne_u16_e32 vcc_lo, 0x80, v4
	v_bfrev_b32_e32 v4, 1
	v_mov_b32_e32 v5, 0
	scratch_store_b64 off, v[4:5], s32 offset:1384 ; 8-byte Folded Spill
	s_and_saveexec_b32 s1, vcc_lo
	s_cbranch_execz .LBB287_3177
; %bb.3172:                             ;   in Loop: Header=BB287_2082 Depth=1
	v_mov_b32_e32 v7, 0x7f800001
	v_and_b32_e32 v4, 0x7f, v6
	v_mov_b32_e32 v8, 0
	s_mov_b32 s2, exec_lo
	scratch_store_b64 off, v[7:8], s32 offset:1384 ; 8-byte Folded Spill
	v_cmpx_ne_u32_e32 0x7f, v4
	s_cbranch_execz .LBB287_3176
; %bb.3173:                             ;   in Loop: Header=BB287_2082 Depth=1
	v_and_b32_e32 v8, 7, v6
	v_lshrrev_b32_e32 v7, 3, v4
	v_cmp_gt_u32_e32 vcc_lo, 8, v4
	s_delay_alu instid0(VALU_DEP_3)
	v_dual_mov_b32 v4, v8 :: v_dual_mov_b32 v5, v9
	s_and_saveexec_b32 s3, vcc_lo
; %bb.3174:                             ;   in Loop: Header=BB287_2082 Depth=1
	v_clz_i32_u32_e32 v4, v8
	s_delay_alu instid0(VALU_DEP_1) | instskip(NEXT) | instid1(VALU_DEP_1)
	v_min_u32_e32 v7, 32, v4
	v_subrev_nc_u32_e32 v4, 28, v7
	v_sub_nc_u32_e32 v7, 29, v7
	s_delay_alu instid0(VALU_DEP_2) | instskip(NEXT) | instid1(VALU_DEP_1)
	v_lshlrev_b64 v[4:5], v4, v[8:9]
	v_and_b32_e32 v4, 7, v4
; %bb.3175:                             ;   in Loop: Header=BB287_2082 Depth=1
	s_or_b32 exec_lo, exec_lo, s3
	v_lshlrev_b32_e32 v5, 24, v6
	s_delay_alu instid0(VALU_DEP_2) | instskip(SKIP_1) | instid1(VALU_DEP_3)
	v_lshlrev_b32_e32 v4, 20, v4
	v_lshl_add_u32 v7, v7, 23, 0x3c000000
	v_and_b32_e32 v5, 0x80000000, v5
	s_delay_alu instid0(VALU_DEP_1)
	v_or3_b32 v8, v4, v5, v7
	scratch_store_b64 off, v[8:9], s32 offset:1384 ; 8-byte Folded Spill
.LBB287_3176:                           ;   in Loop: Header=BB287_2082 Depth=1
	s_or_b32 exec_lo, exec_lo, s2
.LBB287_3177:                           ;   in Loop: Header=BB287_2082 Depth=1
	s_delay_alu instid0(SALU_CYCLE_1)
	s_or_b32 exec_lo, exec_lo, s1
.LBB287_3178:                           ;   in Loop: Header=BB287_2082 Depth=1
	s_delay_alu instid0(SALU_CYCLE_1) | instskip(SKIP_2) | instid1(VALU_DEP_1)
	s_or_b32 exec_lo, exec_lo, s0
	v_lshrrev_b16 v4, 8, v6
	s_mov_b32 s0, exec_lo
	v_cmpx_ne_u16_e32 0, v4
	s_cbranch_execz .LBB287_3186
; %bb.3179:                             ;   in Loop: Header=BB287_2082 Depth=1
	v_dual_mov_b32 v7, s8 :: v_dual_mov_b32 v8, s9
	s_mov_b32 s1, exec_lo
	scratch_store_b64 off, v[7:8], s32 offset:1376 ; 8-byte Folded Spill
	v_cmpx_ne_u16_e32 0x80, v4
	s_cbranch_execz .LBB287_3185
; %bb.3180:                             ;   in Loop: Header=BB287_2082 Depth=1
	s_mov_b32 s12, s8
	v_and_b32_e32 v5, 0xffff, v4
	v_dual_mov_b32 v7, s12 :: v_dual_mov_b32 v8, s13
	s_mov_b32 s2, exec_lo
	s_delay_alu instid0(VALU_DEP_2)
	v_and_b32_e32 v4, 0x7f, v5
	scratch_store_b64 off, v[7:8], s32 offset:1376 ; 8-byte Folded Spill
	v_cmpx_ne_u32_e32 0x7f, v4
	s_cbranch_execz .LBB287_3184
; %bb.3181:                             ;   in Loop: Header=BB287_2082 Depth=1
	v_and_b32_e32 v8, 7, v5
	v_lshrrev_b32_e32 v7, 3, v4
	v_cmp_gt_u32_e32 vcc_lo, 8, v4
	s_delay_alu instid0(VALU_DEP_3)
	v_dual_mov_b32 v4, v8 :: v_dual_mov_b32 v5, v9
	s_and_saveexec_b32 s3, vcc_lo
; %bb.3182:                             ;   in Loop: Header=BB287_2082 Depth=1
	v_clz_i32_u32_e32 v4, v8
	s_delay_alu instid0(VALU_DEP_1) | instskip(NEXT) | instid1(VALU_DEP_1)
	v_min_u32_e32 v7, 32, v4
	v_subrev_nc_u32_e32 v4, 28, v7
	v_sub_nc_u32_e32 v7, 29, v7
	s_delay_alu instid0(VALU_DEP_2) | instskip(NEXT) | instid1(VALU_DEP_1)
	v_lshlrev_b64 v[4:5], v4, v[8:9]
	v_and_b32_e32 v4, 7, v4
; %bb.3183:                             ;   in Loop: Header=BB287_2082 Depth=1
	s_or_b32 exec_lo, exec_lo, s3
	v_lshlrev_b32_e32 v5, 16, v6
	s_delay_alu instid0(VALU_DEP_2) | instskip(SKIP_1) | instid1(VALU_DEP_3)
	v_lshlrev_b32_e32 v4, 20, v4
	v_lshl_add_u32 v7, v7, 23, 0x3c000000
	v_and_b32_e32 v5, 0x80000000, v5
	s_delay_alu instid0(VALU_DEP_1)
	v_or3_b32 v5, v4, v5, v7
	v_mov_b32_e32 v4, v9
	scratch_store_b64 off, v[4:5], s32 offset:1376 ; 8-byte Folded Spill
.LBB287_3184:                           ;   in Loop: Header=BB287_2082 Depth=1
	s_or_b32 exec_lo, exec_lo, s2
.LBB287_3185:                           ;   in Loop: Header=BB287_2082 Depth=1
	s_delay_alu instid0(SALU_CYCLE_1)
	s_or_b32 exec_lo, exec_lo, s1
.LBB287_3186:                           ;   in Loop: Header=BB287_2082 Depth=1
	s_delay_alu instid0(SALU_CYCLE_1) | instskip(SKIP_4) | instid1(VALU_DEP_3)
	s_or_b32 exec_lo, exec_lo, s0
	v_lshrrev_b32_e32 v7, 16, v6
	v_mov_b32_e32 v10, 0
	v_mov_b32_e32 v11, 0
	s_mov_b32 s0, exec_lo
	v_and_b32_e32 v4, 0xff, v7
	s_clause 0x1
	scratch_store_b64 off, v[10:11], s32 offset:1624
	scratch_store_b64 off, v[10:11], s32 offset:1392
	v_cmpx_ne_u16_e32 0, v4
	s_cbranch_execz .LBB287_3194
; %bb.3187:                             ;   in Loop: Header=BB287_2082 Depth=1
	v_cmp_ne_u16_e32 vcc_lo, 0x80, v4
	v_bfrev_b32_e32 v4, 1
	v_mov_b32_e32 v5, 0
	scratch_store_b64 off, v[4:5], s32 offset:1392 ; 8-byte Folded Spill
	s_and_saveexec_b32 s1, vcc_lo
	s_cbranch_execz .LBB287_3193
; %bb.3188:                             ;   in Loop: Header=BB287_2082 Depth=1
	v_mov_b32_e32 v10, 0x7f800001
	v_bfe_u32 v4, v6, 16, 7
	v_mov_b32_e32 v11, 0
	s_mov_b32 s2, exec_lo
	scratch_store_b64 off, v[10:11], s32 offset:1392 ; 8-byte Folded Spill
	v_cmpx_ne_u32_e32 0x7f, v4
	s_cbranch_execz .LBB287_3192
; %bb.3189:                             ;   in Loop: Header=BB287_2082 Depth=1
	v_and_b32_e32 v8, 7, v7
	v_lshrrev_b32_e32 v10, 3, v4
	v_cmp_gt_u32_e32 vcc_lo, 8, v4
	s_delay_alu instid0(VALU_DEP_3)
	v_dual_mov_b32 v4, v8 :: v_dual_mov_b32 v5, v9
	s_and_saveexec_b32 s3, vcc_lo
; %bb.3190:                             ;   in Loop: Header=BB287_2082 Depth=1
	v_clz_i32_u32_e32 v4, v8
	s_delay_alu instid0(VALU_DEP_1) | instskip(NEXT) | instid1(VALU_DEP_1)
	v_min_u32_e32 v10, 32, v4
	v_subrev_nc_u32_e32 v4, 28, v10
	v_sub_nc_u32_e32 v10, 29, v10
	s_delay_alu instid0(VALU_DEP_2) | instskip(NEXT) | instid1(VALU_DEP_1)
	v_lshlrev_b64 v[4:5], v4, v[8:9]
	v_and_b32_e32 v4, 7, v4
; %bb.3191:                             ;   in Loop: Header=BB287_2082 Depth=1
	s_or_b32 exec_lo, exec_lo, s3
	v_lshlrev_b32_e32 v5, 24, v7
	s_delay_alu instid0(VALU_DEP_2) | instskip(SKIP_1) | instid1(VALU_DEP_3)
	v_lshlrev_b32_e32 v4, 20, v4
	v_lshl_add_u32 v7, v10, 23, 0x3c000000
	v_and_b32_e32 v5, 0x80000000, v5
	s_delay_alu instid0(VALU_DEP_1)
	v_or3_b32 v8, v4, v5, v7
	scratch_store_b64 off, v[8:9], s32 offset:1392 ; 8-byte Folded Spill
.LBB287_3192:                           ;   in Loop: Header=BB287_2082 Depth=1
	s_or_b32 exec_lo, exec_lo, s2
.LBB287_3193:                           ;   in Loop: Header=BB287_2082 Depth=1
	s_delay_alu instid0(SALU_CYCLE_1)
	s_or_b32 exec_lo, exec_lo, s1
.LBB287_3194:                           ;   in Loop: Header=BB287_2082 Depth=1
	s_delay_alu instid0(SALU_CYCLE_1) | instskip(NEXT) | instid1(SALU_CYCLE_1)
	s_or_b32 exec_lo, exec_lo, s0
	s_mov_b32 s0, exec_lo
	v_cmpx_lt_u32_e32 0xffffff, v6
	s_cbranch_execz .LBB287_3202
; %bb.3195:                             ;   in Loop: Header=BB287_2082 Depth=1
	v_lshrrev_b32_e32 v7, 24, v6
	v_dual_mov_b32 v4, s8 :: v_dual_mov_b32 v5, s9
	s_mov_b32 s1, exec_lo
	scratch_store_b64 off, v[4:5], s32 offset:1624 ; 8-byte Folded Spill
	v_cmpx_ne_u32_e32 0x80, v7
	s_cbranch_execz .LBB287_3201
; %bb.3196:                             ;   in Loop: Header=BB287_2082 Depth=1
	s_mov_b32 s12, s8
	v_bfe_u32 v4, v6, 24, 7
	v_dual_mov_b32 v5, s12 :: v_dual_mov_b32 v6, s13
	s_mov_b32 s2, exec_lo
	s_delay_alu instid0(VALU_DEP_2)
	v_cmpx_ne_u32_e32 0x7f, v4
	s_cbranch_execz .LBB287_3200
; %bb.3197:                             ;   in Loop: Header=BB287_2082 Depth=1
	v_and_b32_e32 v8, 7, v7
	v_lshrrev_b32_e32 v6, 3, v4
	v_cmp_gt_u32_e32 vcc_lo, 8, v4
	s_delay_alu instid0(VALU_DEP_3)
	v_dual_mov_b32 v4, v8 :: v_dual_mov_b32 v5, v9
	s_and_saveexec_b32 s3, vcc_lo
; %bb.3198:                             ;   in Loop: Header=BB287_2082 Depth=1
	v_clz_i32_u32_e32 v4, v8
	s_delay_alu instid0(VALU_DEP_1) | instskip(NEXT) | instid1(VALU_DEP_1)
	v_min_u32_e32 v6, 32, v4
	v_subrev_nc_u32_e32 v4, 28, v6
	v_sub_nc_u32_e32 v6, 29, v6
	s_delay_alu instid0(VALU_DEP_2) | instskip(NEXT) | instid1(VALU_DEP_1)
	v_lshlrev_b64 v[4:5], v4, v[8:9]
	v_and_b32_e32 v4, 7, v4
; %bb.3199:                             ;   in Loop: Header=BB287_2082 Depth=1
	s_or_b32 exec_lo, exec_lo, s3
	v_lshlrev_b32_e32 v5, 24, v7
	s_delay_alu instid0(VALU_DEP_2) | instskip(SKIP_1) | instid1(VALU_DEP_3)
	v_lshlrev_b32_e32 v4, 20, v4
	v_lshl_add_u32 v6, v6, 23, 0x3c000000
	v_and_b32_e32 v5, 0x80000000, v5
	s_delay_alu instid0(VALU_DEP_1)
	v_or3_b32 v6, v4, v5, v6
	v_mov_b32_e32 v5, v9
.LBB287_3200:                           ;   in Loop: Header=BB287_2082 Depth=1
	s_or_b32 exec_lo, exec_lo, s2
	scratch_store_b64 off, v[5:6], s32 offset:1624 ; 8-byte Folded Spill
.LBB287_3201:                           ;   in Loop: Header=BB287_2082 Depth=1
	s_or_b32 exec_lo, exec_lo, s1
.LBB287_3202:                           ;   in Loop: Header=BB287_2082 Depth=1
	s_delay_alu instid0(SALU_CYCLE_1)
	s_or_b32 exec_lo, exec_lo, s0
	scratch_load_b32 v4, off, s32 offset:2436 ; 4-byte Folded Reload
	s_mov_b32 s0, exec_lo
	s_waitcnt vmcnt(0)
	v_add_co_u32 v4, vcc_lo, v162, v4
	v_add_co_ci_u32_e32 v5, vcc_lo, 0, v163, vcc_lo
	flat_load_b32 v6, v[4:5]
	v_mov_b32_e32 v7, 0
	v_mov_b32_e32 v8, 0
	s_clause 0x1
	scratch_store_b64 off, v[7:8], s32 offset:1400
	scratch_store_b64 off, v[7:8], s32 offset:1408
	s_waitcnt vmcnt(0) lgkmcnt(0)
	v_and_b32_e32 v4, 0xff, v6
	s_delay_alu instid0(VALU_DEP_1)
	v_cmpx_ne_u16_e32 0, v4
	s_cbranch_execz .LBB287_3210
; %bb.3203:                             ;   in Loop: Header=BB287_2082 Depth=1
	v_cmp_ne_u16_e32 vcc_lo, 0x80, v4
	v_bfrev_b32_e32 v4, 1
	v_mov_b32_e32 v5, 0
	scratch_store_b64 off, v[4:5], s32 offset:1408 ; 8-byte Folded Spill
	s_and_saveexec_b32 s1, vcc_lo
	s_cbranch_execz .LBB287_3209
; %bb.3204:                             ;   in Loop: Header=BB287_2082 Depth=1
	v_mov_b32_e32 v7, 0x7f800001
	v_and_b32_e32 v4, 0x7f, v6
	v_mov_b32_e32 v8, 0
	s_mov_b32 s2, exec_lo
	scratch_store_b64 off, v[7:8], s32 offset:1408 ; 8-byte Folded Spill
	v_cmpx_ne_u32_e32 0x7f, v4
	s_cbranch_execz .LBB287_3208
; %bb.3205:                             ;   in Loop: Header=BB287_2082 Depth=1
	v_and_b32_e32 v8, 7, v6
	v_lshrrev_b32_e32 v7, 3, v4
	v_cmp_gt_u32_e32 vcc_lo, 8, v4
	s_delay_alu instid0(VALU_DEP_3)
	v_dual_mov_b32 v4, v8 :: v_dual_mov_b32 v5, v9
	s_and_saveexec_b32 s3, vcc_lo
; %bb.3206:                             ;   in Loop: Header=BB287_2082 Depth=1
	v_clz_i32_u32_e32 v4, v8
	s_delay_alu instid0(VALU_DEP_1) | instskip(NEXT) | instid1(VALU_DEP_1)
	v_min_u32_e32 v7, 32, v4
	v_subrev_nc_u32_e32 v4, 28, v7
	v_sub_nc_u32_e32 v7, 29, v7
	s_delay_alu instid0(VALU_DEP_2) | instskip(NEXT) | instid1(VALU_DEP_1)
	v_lshlrev_b64 v[4:5], v4, v[8:9]
	v_and_b32_e32 v4, 7, v4
; %bb.3207:                             ;   in Loop: Header=BB287_2082 Depth=1
	s_or_b32 exec_lo, exec_lo, s3
	v_lshlrev_b32_e32 v5, 24, v6
	s_delay_alu instid0(VALU_DEP_2) | instskip(SKIP_1) | instid1(VALU_DEP_3)
	v_lshlrev_b32_e32 v4, 20, v4
	v_lshl_add_u32 v7, v7, 23, 0x3c000000
	v_and_b32_e32 v5, 0x80000000, v5
	s_delay_alu instid0(VALU_DEP_1)
	v_or3_b32 v8, v4, v5, v7
	scratch_store_b64 off, v[8:9], s32 offset:1408 ; 8-byte Folded Spill
.LBB287_3208:                           ;   in Loop: Header=BB287_2082 Depth=1
	s_or_b32 exec_lo, exec_lo, s2
.LBB287_3209:                           ;   in Loop: Header=BB287_2082 Depth=1
	s_delay_alu instid0(SALU_CYCLE_1)
	s_or_b32 exec_lo, exec_lo, s1
.LBB287_3210:                           ;   in Loop: Header=BB287_2082 Depth=1
	s_delay_alu instid0(SALU_CYCLE_1) | instskip(SKIP_2) | instid1(VALU_DEP_1)
	s_or_b32 exec_lo, exec_lo, s0
	v_lshrrev_b16 v4, 8, v6
	s_mov_b32 s0, exec_lo
	v_cmpx_ne_u16_e32 0, v4
	s_cbranch_execz .LBB287_3218
; %bb.3211:                             ;   in Loop: Header=BB287_2082 Depth=1
	v_dual_mov_b32 v7, s8 :: v_dual_mov_b32 v8, s9
	s_mov_b32 s1, exec_lo
	scratch_store_b64 off, v[7:8], s32 offset:1400 ; 8-byte Folded Spill
	v_cmpx_ne_u16_e32 0x80, v4
	s_cbranch_execz .LBB287_3217
; %bb.3212:                             ;   in Loop: Header=BB287_2082 Depth=1
	s_mov_b32 s12, s8
	v_and_b32_e32 v5, 0xffff, v4
	v_dual_mov_b32 v7, s12 :: v_dual_mov_b32 v8, s13
	s_mov_b32 s2, exec_lo
	s_delay_alu instid0(VALU_DEP_2)
	v_and_b32_e32 v4, 0x7f, v5
	scratch_store_b64 off, v[7:8], s32 offset:1400 ; 8-byte Folded Spill
	v_cmpx_ne_u32_e32 0x7f, v4
	s_cbranch_execz .LBB287_3216
; %bb.3213:                             ;   in Loop: Header=BB287_2082 Depth=1
	v_and_b32_e32 v8, 7, v5
	v_lshrrev_b32_e32 v7, 3, v4
	v_cmp_gt_u32_e32 vcc_lo, 8, v4
	s_delay_alu instid0(VALU_DEP_3)
	v_dual_mov_b32 v4, v8 :: v_dual_mov_b32 v5, v9
	s_and_saveexec_b32 s3, vcc_lo
; %bb.3214:                             ;   in Loop: Header=BB287_2082 Depth=1
	v_clz_i32_u32_e32 v4, v8
	s_delay_alu instid0(VALU_DEP_1) | instskip(NEXT) | instid1(VALU_DEP_1)
	v_min_u32_e32 v7, 32, v4
	v_subrev_nc_u32_e32 v4, 28, v7
	v_sub_nc_u32_e32 v7, 29, v7
	s_delay_alu instid0(VALU_DEP_2) | instskip(NEXT) | instid1(VALU_DEP_1)
	v_lshlrev_b64 v[4:5], v4, v[8:9]
	v_and_b32_e32 v4, 7, v4
; %bb.3215:                             ;   in Loop: Header=BB287_2082 Depth=1
	s_or_b32 exec_lo, exec_lo, s3
	v_lshlrev_b32_e32 v5, 16, v6
	s_delay_alu instid0(VALU_DEP_2) | instskip(SKIP_1) | instid1(VALU_DEP_3)
	v_lshlrev_b32_e32 v4, 20, v4
	v_lshl_add_u32 v7, v7, 23, 0x3c000000
	v_and_b32_e32 v5, 0x80000000, v5
	s_delay_alu instid0(VALU_DEP_1)
	v_or3_b32 v5, v4, v5, v7
	v_mov_b32_e32 v4, v9
	scratch_store_b64 off, v[4:5], s32 offset:1400 ; 8-byte Folded Spill
.LBB287_3216:                           ;   in Loop: Header=BB287_2082 Depth=1
	s_or_b32 exec_lo, exec_lo, s2
.LBB287_3217:                           ;   in Loop: Header=BB287_2082 Depth=1
	s_delay_alu instid0(SALU_CYCLE_1)
	s_or_b32 exec_lo, exec_lo, s1
.LBB287_3218:                           ;   in Loop: Header=BB287_2082 Depth=1
	s_delay_alu instid0(SALU_CYCLE_1) | instskip(SKIP_4) | instid1(VALU_DEP_3)
	s_or_b32 exec_lo, exec_lo, s0
	v_lshrrev_b32_e32 v7, 16, v6
	v_mov_b32_e32 v10, 0
	v_mov_b32_e32 v11, 0
	s_mov_b32 s0, exec_lo
	v_and_b32_e32 v4, 0xff, v7
	s_clause 0x1
	scratch_store_b64 off, v[10:11], s32 offset:1632
	scratch_store_b64 off, v[10:11], s32 offset:1416
	v_cmpx_ne_u16_e32 0, v4
	s_cbranch_execz .LBB287_3226
; %bb.3219:                             ;   in Loop: Header=BB287_2082 Depth=1
	v_cmp_ne_u16_e32 vcc_lo, 0x80, v4
	v_bfrev_b32_e32 v4, 1
	v_mov_b32_e32 v5, 0
	scratch_store_b64 off, v[4:5], s32 offset:1416 ; 8-byte Folded Spill
	s_and_saveexec_b32 s1, vcc_lo
	s_cbranch_execz .LBB287_3225
; %bb.3220:                             ;   in Loop: Header=BB287_2082 Depth=1
	v_mov_b32_e32 v10, 0x7f800001
	v_bfe_u32 v4, v6, 16, 7
	v_mov_b32_e32 v11, 0
	s_mov_b32 s2, exec_lo
	scratch_store_b64 off, v[10:11], s32 offset:1416 ; 8-byte Folded Spill
	v_cmpx_ne_u32_e32 0x7f, v4
	s_cbranch_execz .LBB287_3224
; %bb.3221:                             ;   in Loop: Header=BB287_2082 Depth=1
	v_and_b32_e32 v8, 7, v7
	v_lshrrev_b32_e32 v10, 3, v4
	v_cmp_gt_u32_e32 vcc_lo, 8, v4
	s_delay_alu instid0(VALU_DEP_3)
	v_dual_mov_b32 v4, v8 :: v_dual_mov_b32 v5, v9
	s_and_saveexec_b32 s3, vcc_lo
; %bb.3222:                             ;   in Loop: Header=BB287_2082 Depth=1
	v_clz_i32_u32_e32 v4, v8
	s_delay_alu instid0(VALU_DEP_1) | instskip(NEXT) | instid1(VALU_DEP_1)
	v_min_u32_e32 v10, 32, v4
	v_subrev_nc_u32_e32 v4, 28, v10
	v_sub_nc_u32_e32 v10, 29, v10
	s_delay_alu instid0(VALU_DEP_2) | instskip(NEXT) | instid1(VALU_DEP_1)
	v_lshlrev_b64 v[4:5], v4, v[8:9]
	v_and_b32_e32 v4, 7, v4
; %bb.3223:                             ;   in Loop: Header=BB287_2082 Depth=1
	s_or_b32 exec_lo, exec_lo, s3
	v_lshlrev_b32_e32 v5, 24, v7
	s_delay_alu instid0(VALU_DEP_2) | instskip(SKIP_1) | instid1(VALU_DEP_3)
	v_lshlrev_b32_e32 v4, 20, v4
	v_lshl_add_u32 v7, v10, 23, 0x3c000000
	v_and_b32_e32 v5, 0x80000000, v5
	s_delay_alu instid0(VALU_DEP_1)
	v_or3_b32 v8, v4, v5, v7
	scratch_store_b64 off, v[8:9], s32 offset:1416 ; 8-byte Folded Spill
.LBB287_3224:                           ;   in Loop: Header=BB287_2082 Depth=1
	s_or_b32 exec_lo, exec_lo, s2
.LBB287_3225:                           ;   in Loop: Header=BB287_2082 Depth=1
	s_delay_alu instid0(SALU_CYCLE_1)
	s_or_b32 exec_lo, exec_lo, s1
.LBB287_3226:                           ;   in Loop: Header=BB287_2082 Depth=1
	s_delay_alu instid0(SALU_CYCLE_1) | instskip(NEXT) | instid1(SALU_CYCLE_1)
	s_or_b32 exec_lo, exec_lo, s0
	s_mov_b32 s0, exec_lo
	v_cmpx_lt_u32_e32 0xffffff, v6
	s_cbranch_execz .LBB287_3234
; %bb.3227:                             ;   in Loop: Header=BB287_2082 Depth=1
	v_lshrrev_b32_e32 v7, 24, v6
	v_dual_mov_b32 v4, s8 :: v_dual_mov_b32 v5, s9
	s_mov_b32 s1, exec_lo
	scratch_store_b64 off, v[4:5], s32 offset:1632 ; 8-byte Folded Spill
	v_cmpx_ne_u32_e32 0x80, v7
	s_cbranch_execz .LBB287_3233
; %bb.3228:                             ;   in Loop: Header=BB287_2082 Depth=1
	s_mov_b32 s12, s8
	v_bfe_u32 v4, v6, 24, 7
	v_dual_mov_b32 v5, s12 :: v_dual_mov_b32 v6, s13
	s_mov_b32 s2, exec_lo
	s_delay_alu instid0(VALU_DEP_2)
	v_cmpx_ne_u32_e32 0x7f, v4
	s_cbranch_execz .LBB287_3232
; %bb.3229:                             ;   in Loop: Header=BB287_2082 Depth=1
	v_and_b32_e32 v8, 7, v7
	v_lshrrev_b32_e32 v6, 3, v4
	v_cmp_gt_u32_e32 vcc_lo, 8, v4
	s_delay_alu instid0(VALU_DEP_3)
	v_dual_mov_b32 v4, v8 :: v_dual_mov_b32 v5, v9
	s_and_saveexec_b32 s3, vcc_lo
; %bb.3230:                             ;   in Loop: Header=BB287_2082 Depth=1
	v_clz_i32_u32_e32 v4, v8
	s_delay_alu instid0(VALU_DEP_1) | instskip(NEXT) | instid1(VALU_DEP_1)
	v_min_u32_e32 v6, 32, v4
	v_subrev_nc_u32_e32 v4, 28, v6
	v_sub_nc_u32_e32 v6, 29, v6
	s_delay_alu instid0(VALU_DEP_2) | instskip(NEXT) | instid1(VALU_DEP_1)
	v_lshlrev_b64 v[4:5], v4, v[8:9]
	v_and_b32_e32 v4, 7, v4
; %bb.3231:                             ;   in Loop: Header=BB287_2082 Depth=1
	s_or_b32 exec_lo, exec_lo, s3
	v_lshlrev_b32_e32 v5, 24, v7
	s_delay_alu instid0(VALU_DEP_2) | instskip(SKIP_1) | instid1(VALU_DEP_3)
	v_lshlrev_b32_e32 v4, 20, v4
	v_lshl_add_u32 v6, v6, 23, 0x3c000000
	v_and_b32_e32 v5, 0x80000000, v5
	s_delay_alu instid0(VALU_DEP_1)
	v_or3_b32 v6, v4, v5, v6
	v_mov_b32_e32 v5, v9
.LBB287_3232:                           ;   in Loop: Header=BB287_2082 Depth=1
	s_or_b32 exec_lo, exec_lo, s2
	scratch_store_b64 off, v[5:6], s32 offset:1632 ; 8-byte Folded Spill
.LBB287_3233:                           ;   in Loop: Header=BB287_2082 Depth=1
	s_or_b32 exec_lo, exec_lo, s1
.LBB287_3234:                           ;   in Loop: Header=BB287_2082 Depth=1
	s_delay_alu instid0(SALU_CYCLE_1)
	s_or_b32 exec_lo, exec_lo, s0
	scratch_load_b32 v4, off, s32 offset:2452 ; 4-byte Folded Reload
	s_mov_b32 s0, exec_lo
	s_waitcnt vmcnt(0)
	v_add_co_u32 v4, vcc_lo, v162, v4
	v_add_co_ci_u32_e32 v5, vcc_lo, 0, v163, vcc_lo
	flat_load_b32 v6, v[4:5]
	v_mov_b32_e32 v7, 0
	v_mov_b32_e32 v8, 0
	s_clause 0x1
	scratch_store_b64 off, v[7:8], s32 offset:1424
	scratch_store_b64 off, v[7:8], s32 offset:1432
	s_waitcnt vmcnt(0) lgkmcnt(0)
	v_and_b32_e32 v4, 0xff, v6
	s_delay_alu instid0(VALU_DEP_1)
	v_cmpx_ne_u16_e32 0, v4
	s_cbranch_execz .LBB287_3242
; %bb.3235:                             ;   in Loop: Header=BB287_2082 Depth=1
	v_cmp_ne_u16_e32 vcc_lo, 0x80, v4
	v_bfrev_b32_e32 v4, 1
	v_mov_b32_e32 v5, 0
	scratch_store_b64 off, v[4:5], s32 offset:1432 ; 8-byte Folded Spill
	s_and_saveexec_b32 s1, vcc_lo
	s_cbranch_execz .LBB287_3241
; %bb.3236:                             ;   in Loop: Header=BB287_2082 Depth=1
	v_mov_b32_e32 v7, 0x7f800001
	v_and_b32_e32 v4, 0x7f, v6
	v_mov_b32_e32 v8, 0
	s_mov_b32 s2, exec_lo
	scratch_store_b64 off, v[7:8], s32 offset:1432 ; 8-byte Folded Spill
	v_cmpx_ne_u32_e32 0x7f, v4
	s_cbranch_execz .LBB287_3240
; %bb.3237:                             ;   in Loop: Header=BB287_2082 Depth=1
	v_and_b32_e32 v8, 7, v6
	v_lshrrev_b32_e32 v7, 3, v4
	v_cmp_gt_u32_e32 vcc_lo, 8, v4
	s_delay_alu instid0(VALU_DEP_3)
	v_dual_mov_b32 v4, v8 :: v_dual_mov_b32 v5, v9
	s_and_saveexec_b32 s3, vcc_lo
; %bb.3238:                             ;   in Loop: Header=BB287_2082 Depth=1
	v_clz_i32_u32_e32 v4, v8
	s_delay_alu instid0(VALU_DEP_1) | instskip(NEXT) | instid1(VALU_DEP_1)
	v_min_u32_e32 v7, 32, v4
	v_subrev_nc_u32_e32 v4, 28, v7
	v_sub_nc_u32_e32 v7, 29, v7
	s_delay_alu instid0(VALU_DEP_2) | instskip(NEXT) | instid1(VALU_DEP_1)
	v_lshlrev_b64 v[4:5], v4, v[8:9]
	v_and_b32_e32 v4, 7, v4
; %bb.3239:                             ;   in Loop: Header=BB287_2082 Depth=1
	s_or_b32 exec_lo, exec_lo, s3
	v_lshlrev_b32_e32 v5, 24, v6
	s_delay_alu instid0(VALU_DEP_2) | instskip(SKIP_1) | instid1(VALU_DEP_3)
	v_lshlrev_b32_e32 v4, 20, v4
	v_lshl_add_u32 v7, v7, 23, 0x3c000000
	v_and_b32_e32 v5, 0x80000000, v5
	s_delay_alu instid0(VALU_DEP_1)
	v_or3_b32 v8, v4, v5, v7
	scratch_store_b64 off, v[8:9], s32 offset:1432 ; 8-byte Folded Spill
.LBB287_3240:                           ;   in Loop: Header=BB287_2082 Depth=1
	s_or_b32 exec_lo, exec_lo, s2
.LBB287_3241:                           ;   in Loop: Header=BB287_2082 Depth=1
	s_delay_alu instid0(SALU_CYCLE_1)
	s_or_b32 exec_lo, exec_lo, s1
.LBB287_3242:                           ;   in Loop: Header=BB287_2082 Depth=1
	s_delay_alu instid0(SALU_CYCLE_1) | instskip(SKIP_2) | instid1(VALU_DEP_1)
	s_or_b32 exec_lo, exec_lo, s0
	v_lshrrev_b16 v4, 8, v6
	s_mov_b32 s0, exec_lo
	v_cmpx_ne_u16_e32 0, v4
	s_cbranch_execz .LBB287_3250
; %bb.3243:                             ;   in Loop: Header=BB287_2082 Depth=1
	v_dual_mov_b32 v7, s8 :: v_dual_mov_b32 v8, s9
	s_mov_b32 s1, exec_lo
	scratch_store_b64 off, v[7:8], s32 offset:1424 ; 8-byte Folded Spill
	v_cmpx_ne_u16_e32 0x80, v4
	s_cbranch_execz .LBB287_3249
; %bb.3244:                             ;   in Loop: Header=BB287_2082 Depth=1
	s_mov_b32 s12, s8
	v_and_b32_e32 v5, 0xffff, v4
	v_dual_mov_b32 v7, s12 :: v_dual_mov_b32 v8, s13
	s_mov_b32 s2, exec_lo
	s_delay_alu instid0(VALU_DEP_2)
	v_and_b32_e32 v4, 0x7f, v5
	scratch_store_b64 off, v[7:8], s32 offset:1424 ; 8-byte Folded Spill
	v_cmpx_ne_u32_e32 0x7f, v4
	s_cbranch_execz .LBB287_3248
; %bb.3245:                             ;   in Loop: Header=BB287_2082 Depth=1
	v_and_b32_e32 v8, 7, v5
	v_lshrrev_b32_e32 v7, 3, v4
	v_cmp_gt_u32_e32 vcc_lo, 8, v4
	s_delay_alu instid0(VALU_DEP_3)
	v_dual_mov_b32 v4, v8 :: v_dual_mov_b32 v5, v9
	s_and_saveexec_b32 s3, vcc_lo
; %bb.3246:                             ;   in Loop: Header=BB287_2082 Depth=1
	v_clz_i32_u32_e32 v4, v8
	s_delay_alu instid0(VALU_DEP_1) | instskip(NEXT) | instid1(VALU_DEP_1)
	v_min_u32_e32 v7, 32, v4
	v_subrev_nc_u32_e32 v4, 28, v7
	v_sub_nc_u32_e32 v7, 29, v7
	s_delay_alu instid0(VALU_DEP_2) | instskip(NEXT) | instid1(VALU_DEP_1)
	v_lshlrev_b64 v[4:5], v4, v[8:9]
	v_and_b32_e32 v4, 7, v4
; %bb.3247:                             ;   in Loop: Header=BB287_2082 Depth=1
	s_or_b32 exec_lo, exec_lo, s3
	v_lshlrev_b32_e32 v5, 16, v6
	s_delay_alu instid0(VALU_DEP_2) | instskip(SKIP_1) | instid1(VALU_DEP_3)
	v_lshlrev_b32_e32 v4, 20, v4
	v_lshl_add_u32 v7, v7, 23, 0x3c000000
	v_and_b32_e32 v5, 0x80000000, v5
	s_delay_alu instid0(VALU_DEP_1)
	v_or3_b32 v5, v4, v5, v7
	v_mov_b32_e32 v4, v9
	scratch_store_b64 off, v[4:5], s32 offset:1424 ; 8-byte Folded Spill
.LBB287_3248:                           ;   in Loop: Header=BB287_2082 Depth=1
	s_or_b32 exec_lo, exec_lo, s2
.LBB287_3249:                           ;   in Loop: Header=BB287_2082 Depth=1
	s_delay_alu instid0(SALU_CYCLE_1)
	s_or_b32 exec_lo, exec_lo, s1
.LBB287_3250:                           ;   in Loop: Header=BB287_2082 Depth=1
	s_delay_alu instid0(SALU_CYCLE_1) | instskip(SKIP_4) | instid1(VALU_DEP_3)
	s_or_b32 exec_lo, exec_lo, s0
	v_lshrrev_b32_e32 v7, 16, v6
	v_mov_b32_e32 v10, 0
	v_mov_b32_e32 v11, 0
	s_mov_b32 s0, exec_lo
	v_and_b32_e32 v4, 0xff, v7
	s_clause 0x1
	scratch_store_b64 off, v[10:11], s32 offset:1640
	scratch_store_b64 off, v[10:11], s32 offset:1440
	v_cmpx_ne_u16_e32 0, v4
	s_cbranch_execz .LBB287_3258
; %bb.3251:                             ;   in Loop: Header=BB287_2082 Depth=1
	v_cmp_ne_u16_e32 vcc_lo, 0x80, v4
	v_bfrev_b32_e32 v4, 1
	v_mov_b32_e32 v5, 0
	scratch_store_b64 off, v[4:5], s32 offset:1440 ; 8-byte Folded Spill
	s_and_saveexec_b32 s1, vcc_lo
	s_cbranch_execz .LBB287_3257
; %bb.3252:                             ;   in Loop: Header=BB287_2082 Depth=1
	v_mov_b32_e32 v10, 0x7f800001
	v_bfe_u32 v4, v6, 16, 7
	v_mov_b32_e32 v11, 0
	s_mov_b32 s2, exec_lo
	scratch_store_b64 off, v[10:11], s32 offset:1440 ; 8-byte Folded Spill
	v_cmpx_ne_u32_e32 0x7f, v4
	s_cbranch_execz .LBB287_3256
; %bb.3253:                             ;   in Loop: Header=BB287_2082 Depth=1
	v_and_b32_e32 v8, 7, v7
	v_lshrrev_b32_e32 v10, 3, v4
	v_cmp_gt_u32_e32 vcc_lo, 8, v4
	s_delay_alu instid0(VALU_DEP_3)
	v_dual_mov_b32 v4, v8 :: v_dual_mov_b32 v5, v9
	s_and_saveexec_b32 s3, vcc_lo
; %bb.3254:                             ;   in Loop: Header=BB287_2082 Depth=1
	v_clz_i32_u32_e32 v4, v8
	s_delay_alu instid0(VALU_DEP_1) | instskip(NEXT) | instid1(VALU_DEP_1)
	v_min_u32_e32 v10, 32, v4
	v_subrev_nc_u32_e32 v4, 28, v10
	v_sub_nc_u32_e32 v10, 29, v10
	s_delay_alu instid0(VALU_DEP_2) | instskip(NEXT) | instid1(VALU_DEP_1)
	v_lshlrev_b64 v[4:5], v4, v[8:9]
	v_and_b32_e32 v4, 7, v4
; %bb.3255:                             ;   in Loop: Header=BB287_2082 Depth=1
	s_or_b32 exec_lo, exec_lo, s3
	v_lshlrev_b32_e32 v5, 24, v7
	s_delay_alu instid0(VALU_DEP_2) | instskip(SKIP_1) | instid1(VALU_DEP_3)
	v_lshlrev_b32_e32 v4, 20, v4
	v_lshl_add_u32 v7, v10, 23, 0x3c000000
	v_and_b32_e32 v5, 0x80000000, v5
	s_delay_alu instid0(VALU_DEP_1)
	v_or3_b32 v8, v4, v5, v7
	scratch_store_b64 off, v[8:9], s32 offset:1440 ; 8-byte Folded Spill
.LBB287_3256:                           ;   in Loop: Header=BB287_2082 Depth=1
	s_or_b32 exec_lo, exec_lo, s2
.LBB287_3257:                           ;   in Loop: Header=BB287_2082 Depth=1
	s_delay_alu instid0(SALU_CYCLE_1)
	s_or_b32 exec_lo, exec_lo, s1
.LBB287_3258:                           ;   in Loop: Header=BB287_2082 Depth=1
	s_delay_alu instid0(SALU_CYCLE_1) | instskip(NEXT) | instid1(SALU_CYCLE_1)
	s_or_b32 exec_lo, exec_lo, s0
	s_mov_b32 s0, exec_lo
	v_cmpx_lt_u32_e32 0xffffff, v6
	s_cbranch_execz .LBB287_3266
; %bb.3259:                             ;   in Loop: Header=BB287_2082 Depth=1
	v_lshrrev_b32_e32 v7, 24, v6
	v_dual_mov_b32 v4, s8 :: v_dual_mov_b32 v5, s9
	s_mov_b32 s1, exec_lo
	scratch_store_b64 off, v[4:5], s32 offset:1640 ; 8-byte Folded Spill
	v_cmpx_ne_u32_e32 0x80, v7
	s_cbranch_execz .LBB287_3265
; %bb.3260:                             ;   in Loop: Header=BB287_2082 Depth=1
	s_mov_b32 s12, s8
	v_bfe_u32 v4, v6, 24, 7
	v_dual_mov_b32 v5, s12 :: v_dual_mov_b32 v6, s13
	s_mov_b32 s2, exec_lo
	s_delay_alu instid0(VALU_DEP_2)
	v_cmpx_ne_u32_e32 0x7f, v4
	s_cbranch_execz .LBB287_3264
; %bb.3261:                             ;   in Loop: Header=BB287_2082 Depth=1
	v_and_b32_e32 v8, 7, v7
	v_lshrrev_b32_e32 v6, 3, v4
	v_cmp_gt_u32_e32 vcc_lo, 8, v4
	s_delay_alu instid0(VALU_DEP_3)
	v_dual_mov_b32 v4, v8 :: v_dual_mov_b32 v5, v9
	s_and_saveexec_b32 s3, vcc_lo
; %bb.3262:                             ;   in Loop: Header=BB287_2082 Depth=1
	v_clz_i32_u32_e32 v4, v8
	s_delay_alu instid0(VALU_DEP_1) | instskip(NEXT) | instid1(VALU_DEP_1)
	v_min_u32_e32 v6, 32, v4
	v_subrev_nc_u32_e32 v4, 28, v6
	v_sub_nc_u32_e32 v6, 29, v6
	s_delay_alu instid0(VALU_DEP_2) | instskip(NEXT) | instid1(VALU_DEP_1)
	v_lshlrev_b64 v[4:5], v4, v[8:9]
	v_and_b32_e32 v4, 7, v4
; %bb.3263:                             ;   in Loop: Header=BB287_2082 Depth=1
	s_or_b32 exec_lo, exec_lo, s3
	v_lshlrev_b32_e32 v5, 24, v7
	s_delay_alu instid0(VALU_DEP_2) | instskip(SKIP_1) | instid1(VALU_DEP_3)
	v_lshlrev_b32_e32 v4, 20, v4
	v_lshl_add_u32 v6, v6, 23, 0x3c000000
	v_and_b32_e32 v5, 0x80000000, v5
	s_delay_alu instid0(VALU_DEP_1)
	v_or3_b32 v6, v4, v5, v6
	v_mov_b32_e32 v5, v9
.LBB287_3264:                           ;   in Loop: Header=BB287_2082 Depth=1
	s_or_b32 exec_lo, exec_lo, s2
	scratch_store_b64 off, v[5:6], s32 offset:1640 ; 8-byte Folded Spill
.LBB287_3265:                           ;   in Loop: Header=BB287_2082 Depth=1
	s_or_b32 exec_lo, exec_lo, s1
.LBB287_3266:                           ;   in Loop: Header=BB287_2082 Depth=1
	s_delay_alu instid0(SALU_CYCLE_1)
	s_or_b32 exec_lo, exec_lo, s0
	scratch_load_b32 v4, off, s32 offset:2468 ; 4-byte Folded Reload
	s_mov_b32 s0, exec_lo
	s_waitcnt vmcnt(0)
	v_add_co_u32 v4, vcc_lo, v162, v4
	v_add_co_ci_u32_e32 v5, vcc_lo, 0, v163, vcc_lo
	flat_load_b32 v6, v[4:5]
	v_mov_b32_e32 v7, 0
	v_mov_b32_e32 v8, 0
	s_clause 0x1
	scratch_store_b64 off, v[7:8], s32 offset:1448
	scratch_store_b64 off, v[7:8], s32 offset:1456
	s_waitcnt vmcnt(0) lgkmcnt(0)
	v_and_b32_e32 v4, 0xff, v6
	s_delay_alu instid0(VALU_DEP_1)
	v_cmpx_ne_u16_e32 0, v4
	s_cbranch_execz .LBB287_3274
; %bb.3267:                             ;   in Loop: Header=BB287_2082 Depth=1
	v_cmp_ne_u16_e32 vcc_lo, 0x80, v4
	v_bfrev_b32_e32 v4, 1
	v_mov_b32_e32 v5, 0
	scratch_store_b64 off, v[4:5], s32 offset:1456 ; 8-byte Folded Spill
	s_and_saveexec_b32 s1, vcc_lo
	s_cbranch_execz .LBB287_3273
; %bb.3268:                             ;   in Loop: Header=BB287_2082 Depth=1
	v_mov_b32_e32 v7, 0x7f800001
	v_and_b32_e32 v4, 0x7f, v6
	v_mov_b32_e32 v8, 0
	s_mov_b32 s2, exec_lo
	scratch_store_b64 off, v[7:8], s32 offset:1456 ; 8-byte Folded Spill
	v_cmpx_ne_u32_e32 0x7f, v4
	s_cbranch_execz .LBB287_3272
; %bb.3269:                             ;   in Loop: Header=BB287_2082 Depth=1
	v_and_b32_e32 v8, 7, v6
	v_lshrrev_b32_e32 v7, 3, v4
	v_cmp_gt_u32_e32 vcc_lo, 8, v4
	s_delay_alu instid0(VALU_DEP_3)
	v_dual_mov_b32 v4, v8 :: v_dual_mov_b32 v5, v9
	s_and_saveexec_b32 s3, vcc_lo
; %bb.3270:                             ;   in Loop: Header=BB287_2082 Depth=1
	v_clz_i32_u32_e32 v4, v8
	s_delay_alu instid0(VALU_DEP_1) | instskip(NEXT) | instid1(VALU_DEP_1)
	v_min_u32_e32 v7, 32, v4
	v_subrev_nc_u32_e32 v4, 28, v7
	v_sub_nc_u32_e32 v7, 29, v7
	s_delay_alu instid0(VALU_DEP_2) | instskip(NEXT) | instid1(VALU_DEP_1)
	v_lshlrev_b64 v[4:5], v4, v[8:9]
	v_and_b32_e32 v4, 7, v4
; %bb.3271:                             ;   in Loop: Header=BB287_2082 Depth=1
	s_or_b32 exec_lo, exec_lo, s3
	v_lshlrev_b32_e32 v5, 24, v6
	s_delay_alu instid0(VALU_DEP_2) | instskip(SKIP_1) | instid1(VALU_DEP_3)
	v_lshlrev_b32_e32 v4, 20, v4
	v_lshl_add_u32 v7, v7, 23, 0x3c000000
	v_and_b32_e32 v5, 0x80000000, v5
	s_delay_alu instid0(VALU_DEP_1)
	v_or3_b32 v8, v4, v5, v7
	scratch_store_b64 off, v[8:9], s32 offset:1456 ; 8-byte Folded Spill
.LBB287_3272:                           ;   in Loop: Header=BB287_2082 Depth=1
	s_or_b32 exec_lo, exec_lo, s2
.LBB287_3273:                           ;   in Loop: Header=BB287_2082 Depth=1
	s_delay_alu instid0(SALU_CYCLE_1)
	s_or_b32 exec_lo, exec_lo, s1
.LBB287_3274:                           ;   in Loop: Header=BB287_2082 Depth=1
	s_delay_alu instid0(SALU_CYCLE_1) | instskip(SKIP_2) | instid1(VALU_DEP_1)
	s_or_b32 exec_lo, exec_lo, s0
	v_lshrrev_b16 v4, 8, v6
	s_mov_b32 s0, exec_lo
	v_cmpx_ne_u16_e32 0, v4
	s_cbranch_execz .LBB287_3282
; %bb.3275:                             ;   in Loop: Header=BB287_2082 Depth=1
	v_dual_mov_b32 v7, s8 :: v_dual_mov_b32 v8, s9
	s_mov_b32 s1, exec_lo
	scratch_store_b64 off, v[7:8], s32 offset:1448 ; 8-byte Folded Spill
	v_cmpx_ne_u16_e32 0x80, v4
	s_cbranch_execz .LBB287_3281
; %bb.3276:                             ;   in Loop: Header=BB287_2082 Depth=1
	s_mov_b32 s12, s8
	v_and_b32_e32 v5, 0xffff, v4
	v_dual_mov_b32 v7, s12 :: v_dual_mov_b32 v8, s13
	s_mov_b32 s2, exec_lo
	s_delay_alu instid0(VALU_DEP_2)
	v_and_b32_e32 v4, 0x7f, v5
	scratch_store_b64 off, v[7:8], s32 offset:1448 ; 8-byte Folded Spill
	v_cmpx_ne_u32_e32 0x7f, v4
	s_cbranch_execz .LBB287_3280
; %bb.3277:                             ;   in Loop: Header=BB287_2082 Depth=1
	v_and_b32_e32 v8, 7, v5
	v_lshrrev_b32_e32 v7, 3, v4
	v_cmp_gt_u32_e32 vcc_lo, 8, v4
	s_delay_alu instid0(VALU_DEP_3)
	v_dual_mov_b32 v4, v8 :: v_dual_mov_b32 v5, v9
	s_and_saveexec_b32 s3, vcc_lo
; %bb.3278:                             ;   in Loop: Header=BB287_2082 Depth=1
	v_clz_i32_u32_e32 v4, v8
	s_delay_alu instid0(VALU_DEP_1) | instskip(NEXT) | instid1(VALU_DEP_1)
	v_min_u32_e32 v7, 32, v4
	v_subrev_nc_u32_e32 v4, 28, v7
	v_sub_nc_u32_e32 v7, 29, v7
	s_delay_alu instid0(VALU_DEP_2) | instskip(NEXT) | instid1(VALU_DEP_1)
	v_lshlrev_b64 v[4:5], v4, v[8:9]
	v_and_b32_e32 v4, 7, v4
; %bb.3279:                             ;   in Loop: Header=BB287_2082 Depth=1
	s_or_b32 exec_lo, exec_lo, s3
	v_lshlrev_b32_e32 v5, 16, v6
	s_delay_alu instid0(VALU_DEP_2) | instskip(SKIP_1) | instid1(VALU_DEP_3)
	v_lshlrev_b32_e32 v4, 20, v4
	v_lshl_add_u32 v7, v7, 23, 0x3c000000
	v_and_b32_e32 v5, 0x80000000, v5
	s_delay_alu instid0(VALU_DEP_1)
	v_or3_b32 v5, v4, v5, v7
	v_mov_b32_e32 v4, v9
	scratch_store_b64 off, v[4:5], s32 offset:1448 ; 8-byte Folded Spill
.LBB287_3280:                           ;   in Loop: Header=BB287_2082 Depth=1
	s_or_b32 exec_lo, exec_lo, s2
.LBB287_3281:                           ;   in Loop: Header=BB287_2082 Depth=1
	s_delay_alu instid0(SALU_CYCLE_1)
	s_or_b32 exec_lo, exec_lo, s1
.LBB287_3282:                           ;   in Loop: Header=BB287_2082 Depth=1
	s_delay_alu instid0(SALU_CYCLE_1) | instskip(SKIP_4) | instid1(VALU_DEP_3)
	s_or_b32 exec_lo, exec_lo, s0
	v_lshrrev_b32_e32 v7, 16, v6
	v_mov_b32_e32 v10, 0
	v_mov_b32_e32 v11, 0
	s_mov_b32 s0, exec_lo
	v_and_b32_e32 v4, 0xff, v7
	s_clause 0x1
	scratch_store_b64 off, v[10:11], s32 offset:1648
	scratch_store_b64 off, v[10:11], s32 offset:1464
	v_cmpx_ne_u16_e32 0, v4
	s_cbranch_execz .LBB287_3290
; %bb.3283:                             ;   in Loop: Header=BB287_2082 Depth=1
	v_cmp_ne_u16_e32 vcc_lo, 0x80, v4
	v_bfrev_b32_e32 v4, 1
	v_mov_b32_e32 v5, 0
	scratch_store_b64 off, v[4:5], s32 offset:1464 ; 8-byte Folded Spill
	s_and_saveexec_b32 s1, vcc_lo
	s_cbranch_execz .LBB287_3289
; %bb.3284:                             ;   in Loop: Header=BB287_2082 Depth=1
	v_mov_b32_e32 v10, 0x7f800001
	v_bfe_u32 v4, v6, 16, 7
	v_mov_b32_e32 v11, 0
	s_mov_b32 s2, exec_lo
	scratch_store_b64 off, v[10:11], s32 offset:1464 ; 8-byte Folded Spill
	v_cmpx_ne_u32_e32 0x7f, v4
	s_cbranch_execz .LBB287_3288
; %bb.3285:                             ;   in Loop: Header=BB287_2082 Depth=1
	v_and_b32_e32 v8, 7, v7
	v_lshrrev_b32_e32 v10, 3, v4
	v_cmp_gt_u32_e32 vcc_lo, 8, v4
	s_delay_alu instid0(VALU_DEP_3)
	v_dual_mov_b32 v4, v8 :: v_dual_mov_b32 v5, v9
	s_and_saveexec_b32 s3, vcc_lo
; %bb.3286:                             ;   in Loop: Header=BB287_2082 Depth=1
	v_clz_i32_u32_e32 v4, v8
	s_delay_alu instid0(VALU_DEP_1) | instskip(NEXT) | instid1(VALU_DEP_1)
	v_min_u32_e32 v10, 32, v4
	v_subrev_nc_u32_e32 v4, 28, v10
	v_sub_nc_u32_e32 v10, 29, v10
	s_delay_alu instid0(VALU_DEP_2) | instskip(NEXT) | instid1(VALU_DEP_1)
	v_lshlrev_b64 v[4:5], v4, v[8:9]
	v_and_b32_e32 v4, 7, v4
; %bb.3287:                             ;   in Loop: Header=BB287_2082 Depth=1
	s_or_b32 exec_lo, exec_lo, s3
	v_lshlrev_b32_e32 v5, 24, v7
	s_delay_alu instid0(VALU_DEP_2) | instskip(SKIP_1) | instid1(VALU_DEP_3)
	v_lshlrev_b32_e32 v4, 20, v4
	v_lshl_add_u32 v7, v10, 23, 0x3c000000
	v_and_b32_e32 v5, 0x80000000, v5
	s_delay_alu instid0(VALU_DEP_1)
	v_or3_b32 v8, v4, v5, v7
	scratch_store_b64 off, v[8:9], s32 offset:1464 ; 8-byte Folded Spill
.LBB287_3288:                           ;   in Loop: Header=BB287_2082 Depth=1
	s_or_b32 exec_lo, exec_lo, s2
.LBB287_3289:                           ;   in Loop: Header=BB287_2082 Depth=1
	s_delay_alu instid0(SALU_CYCLE_1)
	s_or_b32 exec_lo, exec_lo, s1
.LBB287_3290:                           ;   in Loop: Header=BB287_2082 Depth=1
	s_delay_alu instid0(SALU_CYCLE_1) | instskip(NEXT) | instid1(SALU_CYCLE_1)
	s_or_b32 exec_lo, exec_lo, s0
	s_mov_b32 s0, exec_lo
	v_cmpx_lt_u32_e32 0xffffff, v6
	s_cbranch_execz .LBB287_3298
; %bb.3291:                             ;   in Loop: Header=BB287_2082 Depth=1
	v_lshrrev_b32_e32 v7, 24, v6
	v_dual_mov_b32 v4, s8 :: v_dual_mov_b32 v5, s9
	s_mov_b32 s1, exec_lo
	scratch_store_b64 off, v[4:5], s32 offset:1648 ; 8-byte Folded Spill
	v_cmpx_ne_u32_e32 0x80, v7
	s_cbranch_execz .LBB287_3297
; %bb.3292:                             ;   in Loop: Header=BB287_2082 Depth=1
	s_mov_b32 s12, s8
	v_bfe_u32 v4, v6, 24, 7
	v_dual_mov_b32 v5, s12 :: v_dual_mov_b32 v6, s13
	s_mov_b32 s2, exec_lo
	s_delay_alu instid0(VALU_DEP_2)
	v_cmpx_ne_u32_e32 0x7f, v4
	s_cbranch_execz .LBB287_3296
; %bb.3293:                             ;   in Loop: Header=BB287_2082 Depth=1
	v_and_b32_e32 v8, 7, v7
	v_lshrrev_b32_e32 v6, 3, v4
	v_cmp_gt_u32_e32 vcc_lo, 8, v4
	s_delay_alu instid0(VALU_DEP_3)
	v_dual_mov_b32 v4, v8 :: v_dual_mov_b32 v5, v9
	s_and_saveexec_b32 s3, vcc_lo
; %bb.3294:                             ;   in Loop: Header=BB287_2082 Depth=1
	v_clz_i32_u32_e32 v4, v8
	s_delay_alu instid0(VALU_DEP_1) | instskip(NEXT) | instid1(VALU_DEP_1)
	v_min_u32_e32 v6, 32, v4
	v_subrev_nc_u32_e32 v4, 28, v6
	v_sub_nc_u32_e32 v6, 29, v6
	s_delay_alu instid0(VALU_DEP_2) | instskip(NEXT) | instid1(VALU_DEP_1)
	v_lshlrev_b64 v[4:5], v4, v[8:9]
	v_and_b32_e32 v4, 7, v4
; %bb.3295:                             ;   in Loop: Header=BB287_2082 Depth=1
	s_or_b32 exec_lo, exec_lo, s3
	v_lshlrev_b32_e32 v5, 24, v7
	s_delay_alu instid0(VALU_DEP_2) | instskip(SKIP_1) | instid1(VALU_DEP_3)
	v_lshlrev_b32_e32 v4, 20, v4
	v_lshl_add_u32 v6, v6, 23, 0x3c000000
	v_and_b32_e32 v5, 0x80000000, v5
	s_delay_alu instid0(VALU_DEP_1)
	v_or3_b32 v6, v4, v5, v6
	v_mov_b32_e32 v5, v9
.LBB287_3296:                           ;   in Loop: Header=BB287_2082 Depth=1
	s_or_b32 exec_lo, exec_lo, s2
	scratch_store_b64 off, v[5:6], s32 offset:1648 ; 8-byte Folded Spill
.LBB287_3297:                           ;   in Loop: Header=BB287_2082 Depth=1
	s_or_b32 exec_lo, exec_lo, s1
.LBB287_3298:                           ;   in Loop: Header=BB287_2082 Depth=1
	s_delay_alu instid0(SALU_CYCLE_1)
	s_or_b32 exec_lo, exec_lo, s0
	scratch_load_b32 v4, off, s32 offset:2484 ; 4-byte Folded Reload
	s_mov_b32 s0, exec_lo
	s_waitcnt vmcnt(0)
	v_add_co_u32 v4, vcc_lo, v162, v4
	v_add_co_ci_u32_e32 v5, vcc_lo, 0, v163, vcc_lo
	flat_load_b32 v6, v[4:5]
	v_mov_b32_e32 v7, 0
	v_mov_b32_e32 v8, 0
	s_clause 0x1
	scratch_store_b64 off, v[7:8], s32 offset:1472
	scratch_store_b64 off, v[7:8], s32 offset:1480
	s_waitcnt vmcnt(0) lgkmcnt(0)
	v_and_b32_e32 v4, 0xff, v6
	s_delay_alu instid0(VALU_DEP_1)
	v_cmpx_ne_u16_e32 0, v4
	s_cbranch_execz .LBB287_3306
; %bb.3299:                             ;   in Loop: Header=BB287_2082 Depth=1
	v_cmp_ne_u16_e32 vcc_lo, 0x80, v4
	v_bfrev_b32_e32 v4, 1
	v_mov_b32_e32 v5, 0
	scratch_store_b64 off, v[4:5], s32 offset:1480 ; 8-byte Folded Spill
	s_and_saveexec_b32 s1, vcc_lo
	s_cbranch_execz .LBB287_3305
; %bb.3300:                             ;   in Loop: Header=BB287_2082 Depth=1
	v_mov_b32_e32 v7, 0x7f800001
	v_and_b32_e32 v4, 0x7f, v6
	v_mov_b32_e32 v8, 0
	s_mov_b32 s2, exec_lo
	scratch_store_b64 off, v[7:8], s32 offset:1480 ; 8-byte Folded Spill
	v_cmpx_ne_u32_e32 0x7f, v4
	s_cbranch_execz .LBB287_3304
; %bb.3301:                             ;   in Loop: Header=BB287_2082 Depth=1
	v_and_b32_e32 v8, 7, v6
	v_lshrrev_b32_e32 v7, 3, v4
	v_cmp_gt_u32_e32 vcc_lo, 8, v4
	s_delay_alu instid0(VALU_DEP_3)
	v_dual_mov_b32 v4, v8 :: v_dual_mov_b32 v5, v9
	s_and_saveexec_b32 s3, vcc_lo
; %bb.3302:                             ;   in Loop: Header=BB287_2082 Depth=1
	v_clz_i32_u32_e32 v4, v8
	s_delay_alu instid0(VALU_DEP_1) | instskip(NEXT) | instid1(VALU_DEP_1)
	v_min_u32_e32 v7, 32, v4
	v_subrev_nc_u32_e32 v4, 28, v7
	v_sub_nc_u32_e32 v7, 29, v7
	s_delay_alu instid0(VALU_DEP_2) | instskip(NEXT) | instid1(VALU_DEP_1)
	v_lshlrev_b64 v[4:5], v4, v[8:9]
	v_and_b32_e32 v4, 7, v4
; %bb.3303:                             ;   in Loop: Header=BB287_2082 Depth=1
	s_or_b32 exec_lo, exec_lo, s3
	v_lshlrev_b32_e32 v5, 24, v6
	s_delay_alu instid0(VALU_DEP_2) | instskip(SKIP_1) | instid1(VALU_DEP_3)
	v_lshlrev_b32_e32 v4, 20, v4
	v_lshl_add_u32 v7, v7, 23, 0x3c000000
	v_and_b32_e32 v5, 0x80000000, v5
	s_delay_alu instid0(VALU_DEP_1)
	v_or3_b32 v8, v4, v5, v7
	scratch_store_b64 off, v[8:9], s32 offset:1480 ; 8-byte Folded Spill
.LBB287_3304:                           ;   in Loop: Header=BB287_2082 Depth=1
	s_or_b32 exec_lo, exec_lo, s2
.LBB287_3305:                           ;   in Loop: Header=BB287_2082 Depth=1
	s_delay_alu instid0(SALU_CYCLE_1)
	s_or_b32 exec_lo, exec_lo, s1
.LBB287_3306:                           ;   in Loop: Header=BB287_2082 Depth=1
	s_delay_alu instid0(SALU_CYCLE_1) | instskip(SKIP_2) | instid1(VALU_DEP_1)
	s_or_b32 exec_lo, exec_lo, s0
	v_lshrrev_b16 v4, 8, v6
	s_mov_b32 s0, exec_lo
	v_cmpx_ne_u16_e32 0, v4
	s_cbranch_execz .LBB287_3314
; %bb.3307:                             ;   in Loop: Header=BB287_2082 Depth=1
	v_dual_mov_b32 v7, s8 :: v_dual_mov_b32 v8, s9
	s_mov_b32 s1, exec_lo
	scratch_store_b64 off, v[7:8], s32 offset:1472 ; 8-byte Folded Spill
	v_cmpx_ne_u16_e32 0x80, v4
	s_cbranch_execz .LBB287_3313
; %bb.3308:                             ;   in Loop: Header=BB287_2082 Depth=1
	s_mov_b32 s12, s8
	v_and_b32_e32 v5, 0xffff, v4
	v_dual_mov_b32 v7, s12 :: v_dual_mov_b32 v8, s13
	s_mov_b32 s2, exec_lo
	s_delay_alu instid0(VALU_DEP_2)
	v_and_b32_e32 v4, 0x7f, v5
	scratch_store_b64 off, v[7:8], s32 offset:1472 ; 8-byte Folded Spill
	v_cmpx_ne_u32_e32 0x7f, v4
	s_cbranch_execz .LBB287_3312
; %bb.3309:                             ;   in Loop: Header=BB287_2082 Depth=1
	v_and_b32_e32 v8, 7, v5
	v_lshrrev_b32_e32 v7, 3, v4
	v_cmp_gt_u32_e32 vcc_lo, 8, v4
	s_delay_alu instid0(VALU_DEP_3)
	v_dual_mov_b32 v4, v8 :: v_dual_mov_b32 v5, v9
	s_and_saveexec_b32 s3, vcc_lo
; %bb.3310:                             ;   in Loop: Header=BB287_2082 Depth=1
	v_clz_i32_u32_e32 v4, v8
	s_delay_alu instid0(VALU_DEP_1) | instskip(NEXT) | instid1(VALU_DEP_1)
	v_min_u32_e32 v7, 32, v4
	v_subrev_nc_u32_e32 v4, 28, v7
	v_sub_nc_u32_e32 v7, 29, v7
	s_delay_alu instid0(VALU_DEP_2) | instskip(NEXT) | instid1(VALU_DEP_1)
	v_lshlrev_b64 v[4:5], v4, v[8:9]
	v_and_b32_e32 v4, 7, v4
; %bb.3311:                             ;   in Loop: Header=BB287_2082 Depth=1
	s_or_b32 exec_lo, exec_lo, s3
	v_lshlrev_b32_e32 v5, 16, v6
	s_delay_alu instid0(VALU_DEP_2) | instskip(SKIP_1) | instid1(VALU_DEP_3)
	v_lshlrev_b32_e32 v4, 20, v4
	v_lshl_add_u32 v7, v7, 23, 0x3c000000
	v_and_b32_e32 v5, 0x80000000, v5
	s_delay_alu instid0(VALU_DEP_1)
	v_or3_b32 v5, v4, v5, v7
	v_mov_b32_e32 v4, v9
	scratch_store_b64 off, v[4:5], s32 offset:1472 ; 8-byte Folded Spill
.LBB287_3312:                           ;   in Loop: Header=BB287_2082 Depth=1
	s_or_b32 exec_lo, exec_lo, s2
.LBB287_3313:                           ;   in Loop: Header=BB287_2082 Depth=1
	s_delay_alu instid0(SALU_CYCLE_1)
	s_or_b32 exec_lo, exec_lo, s1
.LBB287_3314:                           ;   in Loop: Header=BB287_2082 Depth=1
	s_delay_alu instid0(SALU_CYCLE_1) | instskip(SKIP_4) | instid1(VALU_DEP_3)
	s_or_b32 exec_lo, exec_lo, s0
	v_lshrrev_b32_e32 v7, 16, v6
	v_mov_b32_e32 v170, 0
	v_mov_b32_e32 v171, 0
	s_mov_b32 s0, exec_lo
	v_and_b32_e32 v4, 0xff, v7
	scratch_store_b64 off, v[170:171], s32 offset:1488 ; 8-byte Folded Spill
	v_cmpx_ne_u16_e32 0, v4
	s_cbranch_execz .LBB287_3322
; %bb.3315:                             ;   in Loop: Header=BB287_2082 Depth=1
	v_cmp_ne_u16_e32 vcc_lo, 0x80, v4
	v_bfrev_b32_e32 v4, 1
	v_mov_b32_e32 v5, 0
	scratch_store_b64 off, v[4:5], s32 offset:1488 ; 8-byte Folded Spill
	s_and_saveexec_b32 s1, vcc_lo
	s_cbranch_execz .LBB287_3321
; %bb.3316:                             ;   in Loop: Header=BB287_2082 Depth=1
	v_mov_b32_e32 v10, 0x7f800001
	v_bfe_u32 v4, v6, 16, 7
	v_mov_b32_e32 v11, 0
	s_mov_b32 s2, exec_lo
	scratch_store_b64 off, v[10:11], s32 offset:1488 ; 8-byte Folded Spill
	v_cmpx_ne_u32_e32 0x7f, v4
	s_cbranch_execz .LBB287_3320
; %bb.3317:                             ;   in Loop: Header=BB287_2082 Depth=1
	v_and_b32_e32 v8, 7, v7
	v_lshrrev_b32_e32 v10, 3, v4
	v_cmp_gt_u32_e32 vcc_lo, 8, v4
	s_delay_alu instid0(VALU_DEP_3)
	v_dual_mov_b32 v4, v8 :: v_dual_mov_b32 v5, v9
	s_and_saveexec_b32 s3, vcc_lo
; %bb.3318:                             ;   in Loop: Header=BB287_2082 Depth=1
	v_clz_i32_u32_e32 v4, v8
	s_delay_alu instid0(VALU_DEP_1) | instskip(NEXT) | instid1(VALU_DEP_1)
	v_min_u32_e32 v10, 32, v4
	v_subrev_nc_u32_e32 v4, 28, v10
	v_sub_nc_u32_e32 v10, 29, v10
	s_delay_alu instid0(VALU_DEP_2) | instskip(NEXT) | instid1(VALU_DEP_1)
	v_lshlrev_b64 v[4:5], v4, v[8:9]
	v_and_b32_e32 v4, 7, v4
; %bb.3319:                             ;   in Loop: Header=BB287_2082 Depth=1
	s_or_b32 exec_lo, exec_lo, s3
	v_lshlrev_b32_e32 v5, 24, v7
	s_delay_alu instid0(VALU_DEP_2) | instskip(SKIP_1) | instid1(VALU_DEP_3)
	v_lshlrev_b32_e32 v4, 20, v4
	v_lshl_add_u32 v7, v10, 23, 0x3c000000
	v_and_b32_e32 v5, 0x80000000, v5
	s_delay_alu instid0(VALU_DEP_1)
	v_or3_b32 v8, v4, v5, v7
	scratch_store_b64 off, v[8:9], s32 offset:1488 ; 8-byte Folded Spill
.LBB287_3320:                           ;   in Loop: Header=BB287_2082 Depth=1
	s_or_b32 exec_lo, exec_lo, s2
.LBB287_3321:                           ;   in Loop: Header=BB287_2082 Depth=1
	s_delay_alu instid0(SALU_CYCLE_1)
	s_or_b32 exec_lo, exec_lo, s1
.LBB287_3322:                           ;   in Loop: Header=BB287_2082 Depth=1
	s_delay_alu instid0(SALU_CYCLE_1) | instskip(NEXT) | instid1(SALU_CYCLE_1)
	s_or_b32 exec_lo, exec_lo, s0
	s_mov_b32 s0, exec_lo
	v_cmpx_lt_u32_e32 0xffffff, v6
	s_cbranch_execz .LBB287_3330
; %bb.3323:                             ;   in Loop: Header=BB287_2082 Depth=1
	v_lshrrev_b32_e32 v7, 24, v6
	v_dual_mov_b32 v171, s9 :: v_dual_mov_b32 v170, s8
	s_mov_b32 s1, exec_lo
	s_delay_alu instid0(VALU_DEP_2)
	v_cmpx_ne_u32_e32 0x80, v7
	s_cbranch_execz .LBB287_3329
; %bb.3324:                             ;   in Loop: Header=BB287_2082 Depth=1
	s_mov_b32 s12, s8
	v_bfe_u32 v4, v6, 24, 7
	v_dual_mov_b32 v171, s13 :: v_dual_mov_b32 v170, s12
	s_mov_b32 s2, exec_lo
	s_delay_alu instid0(VALU_DEP_2)
	v_cmpx_ne_u32_e32 0x7f, v4
	s_cbranch_execz .LBB287_3328
; %bb.3325:                             ;   in Loop: Header=BB287_2082 Depth=1
	v_and_b32_e32 v8, 7, v7
	v_lshrrev_b32_e32 v6, 3, v4
	v_cmp_gt_u32_e32 vcc_lo, 8, v4
	s_delay_alu instid0(VALU_DEP_3)
	v_dual_mov_b32 v4, v8 :: v_dual_mov_b32 v5, v9
	s_and_saveexec_b32 s3, vcc_lo
; %bb.3326:                             ;   in Loop: Header=BB287_2082 Depth=1
	v_clz_i32_u32_e32 v4, v8
	s_delay_alu instid0(VALU_DEP_1) | instskip(NEXT) | instid1(VALU_DEP_1)
	v_min_u32_e32 v6, 32, v4
	v_subrev_nc_u32_e32 v4, 28, v6
	v_sub_nc_u32_e32 v6, 29, v6
	s_delay_alu instid0(VALU_DEP_2) | instskip(NEXT) | instid1(VALU_DEP_1)
	v_lshlrev_b64 v[4:5], v4, v[8:9]
	v_and_b32_e32 v4, 7, v4
; %bb.3327:                             ;   in Loop: Header=BB287_2082 Depth=1
	s_or_b32 exec_lo, exec_lo, s3
	v_dual_mov_b32 v170, v9 :: v_dual_lshlrev_b32 v5, 24, v7
	s_delay_alu instid0(VALU_DEP_2) | instskip(SKIP_1) | instid1(VALU_DEP_3)
	v_lshlrev_b32_e32 v4, 20, v4
	v_lshl_add_u32 v6, v6, 23, 0x3c000000
	v_and_b32_e32 v5, 0x80000000, v5
	s_delay_alu instid0(VALU_DEP_1)
	v_or3_b32 v171, v4, v5, v6
.LBB287_3328:                           ;   in Loop: Header=BB287_2082 Depth=1
	s_or_b32 exec_lo, exec_lo, s2
.LBB287_3329:                           ;   in Loop: Header=BB287_2082 Depth=1
	s_delay_alu instid0(SALU_CYCLE_1)
	s_or_b32 exec_lo, exec_lo, s1
.LBB287_3330:                           ;   in Loop: Header=BB287_2082 Depth=1
	s_delay_alu instid0(SALU_CYCLE_1)
	s_or_b32 exec_lo, exec_lo, s0
	scratch_load_b32 v4, off, s32 offset:2500 ; 4-byte Folded Reload
	v_mov_b32_e32 v176, 0
	s_mov_b32 s0, exec_lo
	s_waitcnt vmcnt(0)
	v_add_co_u32 v4, vcc_lo, v162, v4
	v_add_co_ci_u32_e32 v5, vcc_lo, 0, v163, vcc_lo
	flat_load_b32 v6, v[4:5]
	s_waitcnt vmcnt(0) lgkmcnt(0)
	v_dual_mov_b32 v177, 0 :: v_dual_and_b32 v4, 0xff, v6
	scratch_store_b64 off, v[176:177], s32 offset:1496 ; 8-byte Folded Spill
	v_cmpx_ne_u16_e32 0, v4
	s_cbranch_execz .LBB287_3338
; %bb.3331:                             ;   in Loop: Header=BB287_2082 Depth=1
	v_cmp_ne_u16_e32 vcc_lo, 0x80, v4
	v_bfrev_b32_e32 v4, 1
	v_mov_b32_e32 v5, 0
	scratch_store_b64 off, v[4:5], s32 offset:1496 ; 8-byte Folded Spill
	s_and_saveexec_b32 s1, vcc_lo
	s_cbranch_execz .LBB287_3337
; %bb.3332:                             ;   in Loop: Header=BB287_2082 Depth=1
	v_mov_b32_e32 v7, 0x7f800001
	v_and_b32_e32 v4, 0x7f, v6
	v_mov_b32_e32 v8, 0
	s_mov_b32 s2, exec_lo
	scratch_store_b64 off, v[7:8], s32 offset:1496 ; 8-byte Folded Spill
	v_cmpx_ne_u32_e32 0x7f, v4
	s_cbranch_execz .LBB287_3336
; %bb.3333:                             ;   in Loop: Header=BB287_2082 Depth=1
	v_and_b32_e32 v8, 7, v6
	v_lshrrev_b32_e32 v7, 3, v4
	v_cmp_gt_u32_e32 vcc_lo, 8, v4
	s_delay_alu instid0(VALU_DEP_3)
	v_dual_mov_b32 v4, v8 :: v_dual_mov_b32 v5, v9
	s_and_saveexec_b32 s3, vcc_lo
; %bb.3334:                             ;   in Loop: Header=BB287_2082 Depth=1
	v_clz_i32_u32_e32 v4, v8
	s_delay_alu instid0(VALU_DEP_1) | instskip(NEXT) | instid1(VALU_DEP_1)
	v_min_u32_e32 v7, 32, v4
	v_subrev_nc_u32_e32 v4, 28, v7
	v_sub_nc_u32_e32 v7, 29, v7
	s_delay_alu instid0(VALU_DEP_2) | instskip(NEXT) | instid1(VALU_DEP_1)
	v_lshlrev_b64 v[4:5], v4, v[8:9]
	v_and_b32_e32 v4, 7, v4
; %bb.3335:                             ;   in Loop: Header=BB287_2082 Depth=1
	s_or_b32 exec_lo, exec_lo, s3
	v_lshlrev_b32_e32 v5, 24, v6
	s_delay_alu instid0(VALU_DEP_2) | instskip(SKIP_1) | instid1(VALU_DEP_3)
	v_lshlrev_b32_e32 v4, 20, v4
	v_lshl_add_u32 v7, v7, 23, 0x3c000000
	v_and_b32_e32 v5, 0x80000000, v5
	s_delay_alu instid0(VALU_DEP_1)
	v_or3_b32 v8, v4, v5, v7
	scratch_store_b64 off, v[8:9], s32 offset:1496 ; 8-byte Folded Spill
.LBB287_3336:                           ;   in Loop: Header=BB287_2082 Depth=1
	s_or_b32 exec_lo, exec_lo, s2
.LBB287_3337:                           ;   in Loop: Header=BB287_2082 Depth=1
	s_delay_alu instid0(SALU_CYCLE_1)
	s_or_b32 exec_lo, exec_lo, s1
.LBB287_3338:                           ;   in Loop: Header=BB287_2082 Depth=1
	s_delay_alu instid0(SALU_CYCLE_1) | instskip(SKIP_2) | instid1(VALU_DEP_1)
	s_or_b32 exec_lo, exec_lo, s0
	v_lshrrev_b16 v4, 8, v6
	s_mov_b32 s0, exec_lo
	v_cmpx_ne_u16_e32 0, v4
	s_cbranch_execz .LBB287_3346
; %bb.3339:                             ;   in Loop: Header=BB287_2082 Depth=1
	v_dual_mov_b32 v177, s9 :: v_dual_mov_b32 v176, s8
	s_mov_b32 s1, exec_lo
	v_cmpx_ne_u16_e32 0x80, v4
	s_cbranch_execz .LBB287_3345
; %bb.3340:                             ;   in Loop: Header=BB287_2082 Depth=1
	s_mov_b32 s12, s8
	v_and_b32_e32 v5, 0xffff, v4
	v_dual_mov_b32 v177, s13 :: v_dual_mov_b32 v176, s12
	s_mov_b32 s2, exec_lo
	s_delay_alu instid0(VALU_DEP_2) | instskip(NEXT) | instid1(VALU_DEP_1)
	v_and_b32_e32 v4, 0x7f, v5
	v_cmpx_ne_u32_e32 0x7f, v4
	s_cbranch_execz .LBB287_3344
; %bb.3341:                             ;   in Loop: Header=BB287_2082 Depth=1
	v_and_b32_e32 v8, 7, v5
	v_lshrrev_b32_e32 v7, 3, v4
	v_cmp_gt_u32_e32 vcc_lo, 8, v4
	s_delay_alu instid0(VALU_DEP_3)
	v_dual_mov_b32 v4, v8 :: v_dual_mov_b32 v5, v9
	s_and_saveexec_b32 s3, vcc_lo
; %bb.3342:                             ;   in Loop: Header=BB287_2082 Depth=1
	v_clz_i32_u32_e32 v4, v8
	s_delay_alu instid0(VALU_DEP_1) | instskip(NEXT) | instid1(VALU_DEP_1)
	v_min_u32_e32 v7, 32, v4
	v_subrev_nc_u32_e32 v4, 28, v7
	v_sub_nc_u32_e32 v7, 29, v7
	s_delay_alu instid0(VALU_DEP_2) | instskip(NEXT) | instid1(VALU_DEP_1)
	v_lshlrev_b64 v[4:5], v4, v[8:9]
	v_and_b32_e32 v4, 7, v4
; %bb.3343:                             ;   in Loop: Header=BB287_2082 Depth=1
	s_or_b32 exec_lo, exec_lo, s3
	v_dual_mov_b32 v176, v9 :: v_dual_lshlrev_b32 v5, 16, v6
	s_delay_alu instid0(VALU_DEP_2) | instskip(SKIP_1) | instid1(VALU_DEP_3)
	v_lshlrev_b32_e32 v4, 20, v4
	v_lshl_add_u32 v7, v7, 23, 0x3c000000
	v_and_b32_e32 v5, 0x80000000, v5
	s_delay_alu instid0(VALU_DEP_1)
	v_or3_b32 v177, v4, v5, v7
.LBB287_3344:                           ;   in Loop: Header=BB287_2082 Depth=1
	s_or_b32 exec_lo, exec_lo, s2
.LBB287_3345:                           ;   in Loop: Header=BB287_2082 Depth=1
	s_delay_alu instid0(SALU_CYCLE_1)
	s_or_b32 exec_lo, exec_lo, s1
.LBB287_3346:                           ;   in Loop: Header=BB287_2082 Depth=1
	s_delay_alu instid0(SALU_CYCLE_1) | instskip(SKIP_4) | instid1(VALU_DEP_3)
	s_or_b32 exec_lo, exec_lo, s0
	v_lshrrev_b32_e32 v7, 16, v6
	v_mov_b32_e32 v186, 0
	v_mov_b32_e32 v187, 0
	s_mov_b32 s0, exec_lo
	v_and_b32_e32 v4, 0xff, v7
	scratch_store_b64 off, v[186:187], s32 offset:1504 ; 8-byte Folded Spill
	v_cmpx_ne_u16_e32 0, v4
	s_cbranch_execz .LBB287_3354
; %bb.3347:                             ;   in Loop: Header=BB287_2082 Depth=1
	v_cmp_ne_u16_e32 vcc_lo, 0x80, v4
	v_bfrev_b32_e32 v4, 1
	v_mov_b32_e32 v5, 0
	scratch_store_b64 off, v[4:5], s32 offset:1504 ; 8-byte Folded Spill
	s_and_saveexec_b32 s1, vcc_lo
	s_cbranch_execz .LBB287_3353
; %bb.3348:                             ;   in Loop: Header=BB287_2082 Depth=1
	v_mov_b32_e32 v10, 0x7f800001
	v_bfe_u32 v4, v6, 16, 7
	v_mov_b32_e32 v11, 0
	s_mov_b32 s2, exec_lo
	scratch_store_b64 off, v[10:11], s32 offset:1504 ; 8-byte Folded Spill
	v_cmpx_ne_u32_e32 0x7f, v4
	s_cbranch_execz .LBB287_3352
; %bb.3349:                             ;   in Loop: Header=BB287_2082 Depth=1
	v_and_b32_e32 v8, 7, v7
	v_lshrrev_b32_e32 v10, 3, v4
	v_cmp_gt_u32_e32 vcc_lo, 8, v4
	s_delay_alu instid0(VALU_DEP_3)
	v_dual_mov_b32 v4, v8 :: v_dual_mov_b32 v5, v9
	s_and_saveexec_b32 s3, vcc_lo
; %bb.3350:                             ;   in Loop: Header=BB287_2082 Depth=1
	v_clz_i32_u32_e32 v4, v8
	s_delay_alu instid0(VALU_DEP_1) | instskip(NEXT) | instid1(VALU_DEP_1)
	v_min_u32_e32 v10, 32, v4
	v_subrev_nc_u32_e32 v4, 28, v10
	v_sub_nc_u32_e32 v10, 29, v10
	s_delay_alu instid0(VALU_DEP_2) | instskip(NEXT) | instid1(VALU_DEP_1)
	v_lshlrev_b64 v[4:5], v4, v[8:9]
	v_and_b32_e32 v4, 7, v4
; %bb.3351:                             ;   in Loop: Header=BB287_2082 Depth=1
	s_or_b32 exec_lo, exec_lo, s3
	v_lshlrev_b32_e32 v5, 24, v7
	s_delay_alu instid0(VALU_DEP_2) | instskip(SKIP_1) | instid1(VALU_DEP_3)
	v_lshlrev_b32_e32 v4, 20, v4
	v_lshl_add_u32 v7, v10, 23, 0x3c000000
	v_and_b32_e32 v5, 0x80000000, v5
	s_delay_alu instid0(VALU_DEP_1)
	v_or3_b32 v8, v4, v5, v7
	scratch_store_b64 off, v[8:9], s32 offset:1504 ; 8-byte Folded Spill
.LBB287_3352:                           ;   in Loop: Header=BB287_2082 Depth=1
	s_or_b32 exec_lo, exec_lo, s2
.LBB287_3353:                           ;   in Loop: Header=BB287_2082 Depth=1
	s_delay_alu instid0(SALU_CYCLE_1)
	s_or_b32 exec_lo, exec_lo, s1
.LBB287_3354:                           ;   in Loop: Header=BB287_2082 Depth=1
	s_delay_alu instid0(SALU_CYCLE_1) | instskip(NEXT) | instid1(SALU_CYCLE_1)
	s_or_b32 exec_lo, exec_lo, s0
	s_mov_b32 s0, exec_lo
	v_cmpx_lt_u32_e32 0xffffff, v6
	s_cbranch_execz .LBB287_3362
; %bb.3355:                             ;   in Loop: Header=BB287_2082 Depth=1
	v_lshrrev_b32_e32 v7, 24, v6
	v_dual_mov_b32 v187, s9 :: v_dual_mov_b32 v186, s8
	s_mov_b32 s1, exec_lo
	s_delay_alu instid0(VALU_DEP_2)
	v_cmpx_ne_u32_e32 0x80, v7
	s_cbranch_execz .LBB287_3361
; %bb.3356:                             ;   in Loop: Header=BB287_2082 Depth=1
	s_mov_b32 s12, s8
	v_bfe_u32 v4, v6, 24, 7
	v_dual_mov_b32 v187, s13 :: v_dual_mov_b32 v186, s12
	s_mov_b32 s2, exec_lo
	s_delay_alu instid0(VALU_DEP_2)
	v_cmpx_ne_u32_e32 0x7f, v4
	s_cbranch_execz .LBB287_3360
; %bb.3357:                             ;   in Loop: Header=BB287_2082 Depth=1
	v_and_b32_e32 v8, 7, v7
	v_lshrrev_b32_e32 v6, 3, v4
	v_cmp_gt_u32_e32 vcc_lo, 8, v4
	s_delay_alu instid0(VALU_DEP_3)
	v_dual_mov_b32 v4, v8 :: v_dual_mov_b32 v5, v9
	s_and_saveexec_b32 s3, vcc_lo
; %bb.3358:                             ;   in Loop: Header=BB287_2082 Depth=1
	v_clz_i32_u32_e32 v4, v8
	s_delay_alu instid0(VALU_DEP_1) | instskip(NEXT) | instid1(VALU_DEP_1)
	v_min_u32_e32 v6, 32, v4
	v_subrev_nc_u32_e32 v4, 28, v6
	v_sub_nc_u32_e32 v6, 29, v6
	s_delay_alu instid0(VALU_DEP_2) | instskip(NEXT) | instid1(VALU_DEP_1)
	v_lshlrev_b64 v[4:5], v4, v[8:9]
	v_and_b32_e32 v4, 7, v4
; %bb.3359:                             ;   in Loop: Header=BB287_2082 Depth=1
	s_or_b32 exec_lo, exec_lo, s3
	v_dual_mov_b32 v186, v9 :: v_dual_lshlrev_b32 v5, 24, v7
	s_delay_alu instid0(VALU_DEP_2) | instskip(SKIP_1) | instid1(VALU_DEP_3)
	v_lshlrev_b32_e32 v4, 20, v4
	v_lshl_add_u32 v6, v6, 23, 0x3c000000
	v_and_b32_e32 v5, 0x80000000, v5
	s_delay_alu instid0(VALU_DEP_1)
	v_or3_b32 v187, v4, v5, v6
.LBB287_3360:                           ;   in Loop: Header=BB287_2082 Depth=1
	s_or_b32 exec_lo, exec_lo, s2
.LBB287_3361:                           ;   in Loop: Header=BB287_2082 Depth=1
	s_delay_alu instid0(SALU_CYCLE_1)
	s_or_b32 exec_lo, exec_lo, s1
.LBB287_3362:                           ;   in Loop: Header=BB287_2082 Depth=1
	s_delay_alu instid0(SALU_CYCLE_1)
	s_or_b32 exec_lo, exec_lo, s0
	scratch_load_b32 v4, off, s32 offset:2516 ; 4-byte Folded Reload
	v_mov_b32_e32 v12, 0
	s_mov_b32 s0, exec_lo
	s_waitcnt vmcnt(0)
	v_add_co_u32 v4, vcc_lo, v162, v4
	v_add_co_ci_u32_e32 v5, vcc_lo, 0, v163, vcc_lo
	flat_load_b32 v6, v[4:5]
	s_waitcnt vmcnt(0) lgkmcnt(0)
	v_dual_mov_b32 v13, 0 :: v_dual_and_b32 v4, 0xff, v6
	scratch_store_b64 off, v[12:13], s32 offset:1512 ; 8-byte Folded Spill
	v_cmpx_ne_u16_e32 0, v4
	s_cbranch_execz .LBB287_3370
; %bb.3363:                             ;   in Loop: Header=BB287_2082 Depth=1
	v_cmp_ne_u16_e32 vcc_lo, 0x80, v4
	v_bfrev_b32_e32 v4, 1
	v_mov_b32_e32 v5, 0
	scratch_store_b64 off, v[4:5], s32 offset:1512 ; 8-byte Folded Spill
	s_and_saveexec_b32 s1, vcc_lo
	s_cbranch_execz .LBB287_3369
; %bb.3364:                             ;   in Loop: Header=BB287_2082 Depth=1
	v_mov_b32_e32 v7, 0x7f800001
	v_and_b32_e32 v4, 0x7f, v6
	v_mov_b32_e32 v8, 0
	s_mov_b32 s2, exec_lo
	scratch_store_b64 off, v[7:8], s32 offset:1512 ; 8-byte Folded Spill
	v_cmpx_ne_u32_e32 0x7f, v4
	s_cbranch_execz .LBB287_3368
; %bb.3365:                             ;   in Loop: Header=BB287_2082 Depth=1
	v_and_b32_e32 v8, 7, v6
	v_lshrrev_b32_e32 v7, 3, v4
	v_cmp_gt_u32_e32 vcc_lo, 8, v4
	s_delay_alu instid0(VALU_DEP_3)
	v_dual_mov_b32 v4, v8 :: v_dual_mov_b32 v5, v9
	s_and_saveexec_b32 s3, vcc_lo
; %bb.3366:                             ;   in Loop: Header=BB287_2082 Depth=1
	v_clz_i32_u32_e32 v4, v8
	s_delay_alu instid0(VALU_DEP_1) | instskip(NEXT) | instid1(VALU_DEP_1)
	v_min_u32_e32 v7, 32, v4
	v_subrev_nc_u32_e32 v4, 28, v7
	v_sub_nc_u32_e32 v7, 29, v7
	s_delay_alu instid0(VALU_DEP_2) | instskip(NEXT) | instid1(VALU_DEP_1)
	v_lshlrev_b64 v[4:5], v4, v[8:9]
	v_and_b32_e32 v4, 7, v4
; %bb.3367:                             ;   in Loop: Header=BB287_2082 Depth=1
	s_or_b32 exec_lo, exec_lo, s3
	v_lshlrev_b32_e32 v5, 24, v6
	s_delay_alu instid0(VALU_DEP_2) | instskip(SKIP_1) | instid1(VALU_DEP_3)
	v_lshlrev_b32_e32 v4, 20, v4
	v_lshl_add_u32 v7, v7, 23, 0x3c000000
	v_and_b32_e32 v5, 0x80000000, v5
	s_delay_alu instid0(VALU_DEP_1)
	v_or3_b32 v8, v4, v5, v7
	scratch_store_b64 off, v[8:9], s32 offset:1512 ; 8-byte Folded Spill
.LBB287_3368:                           ;   in Loop: Header=BB287_2082 Depth=1
	s_or_b32 exec_lo, exec_lo, s2
.LBB287_3369:                           ;   in Loop: Header=BB287_2082 Depth=1
	s_delay_alu instid0(SALU_CYCLE_1)
	s_or_b32 exec_lo, exec_lo, s1
.LBB287_3370:                           ;   in Loop: Header=BB287_2082 Depth=1
	s_delay_alu instid0(SALU_CYCLE_1) | instskip(SKIP_2) | instid1(VALU_DEP_1)
	s_or_b32 exec_lo, exec_lo, s0
	v_lshrrev_b16 v4, 8, v6
	s_mov_b32 s0, exec_lo
	v_cmpx_ne_u16_e32 0, v4
	s_cbranch_execz .LBB287_3378
; %bb.3371:                             ;   in Loop: Header=BB287_2082 Depth=1
	v_dual_mov_b32 v13, s9 :: v_dual_mov_b32 v12, s8
	s_mov_b32 s1, exec_lo
	v_cmpx_ne_u16_e32 0x80, v4
	s_cbranch_execz .LBB287_3377
; %bb.3372:                             ;   in Loop: Header=BB287_2082 Depth=1
	s_mov_b32 s12, s8
	s_delay_alu instid0(SALU_CYCLE_1) | instskip(SKIP_1) | instid1(VALU_DEP_1)
	v_dual_mov_b32 v12, s12 :: v_dual_and_b32 v5, 0xffff, v4
	s_mov_b32 s2, exec_lo
	v_dual_mov_b32 v13, s13 :: v_dual_and_b32 v4, 0x7f, v5
	s_delay_alu instid0(VALU_DEP_1)
	v_cmpx_ne_u32_e32 0x7f, v4
	s_cbranch_execz .LBB287_3376
; %bb.3373:                             ;   in Loop: Header=BB287_2082 Depth=1
	v_and_b32_e32 v8, 7, v5
	v_lshrrev_b32_e32 v7, 3, v4
	v_cmp_gt_u32_e32 vcc_lo, 8, v4
	s_delay_alu instid0(VALU_DEP_3)
	v_dual_mov_b32 v4, v8 :: v_dual_mov_b32 v5, v9
	s_and_saveexec_b32 s3, vcc_lo
; %bb.3374:                             ;   in Loop: Header=BB287_2082 Depth=1
	v_clz_i32_u32_e32 v4, v8
	s_delay_alu instid0(VALU_DEP_1) | instskip(NEXT) | instid1(VALU_DEP_1)
	v_min_u32_e32 v7, 32, v4
	v_subrev_nc_u32_e32 v4, 28, v7
	v_sub_nc_u32_e32 v7, 29, v7
	s_delay_alu instid0(VALU_DEP_2) | instskip(NEXT) | instid1(VALU_DEP_1)
	v_lshlrev_b64 v[4:5], v4, v[8:9]
	v_and_b32_e32 v4, 7, v4
; %bb.3375:                             ;   in Loop: Header=BB287_2082 Depth=1
	s_or_b32 exec_lo, exec_lo, s3
	v_dual_mov_b32 v12, v9 :: v_dual_lshlrev_b32 v5, 16, v6
	s_delay_alu instid0(VALU_DEP_2) | instskip(SKIP_1) | instid1(VALU_DEP_3)
	v_lshlrev_b32_e32 v4, 20, v4
	v_lshl_add_u32 v7, v7, 23, 0x3c000000
	v_and_b32_e32 v5, 0x80000000, v5
	s_delay_alu instid0(VALU_DEP_1)
	v_or3_b32 v13, v4, v5, v7
.LBB287_3376:                           ;   in Loop: Header=BB287_2082 Depth=1
	s_or_b32 exec_lo, exec_lo, s2
.LBB287_3377:                           ;   in Loop: Header=BB287_2082 Depth=1
	s_delay_alu instid0(SALU_CYCLE_1)
	s_or_b32 exec_lo, exec_lo, s1
.LBB287_3378:                           ;   in Loop: Header=BB287_2082 Depth=1
	s_delay_alu instid0(SALU_CYCLE_1) | instskip(SKIP_4) | instid1(VALU_DEP_3)
	s_or_b32 exec_lo, exec_lo, s0
	v_lshrrev_b32_e32 v7, 16, v6
	v_mov_b32_e32 v28, 0
	v_mov_b32_e32 v29, 0
	s_mov_b32 s0, exec_lo
	v_and_b32_e32 v4, 0xff, v7
	scratch_store_b64 off, v[28:29], s32 offset:1520 ; 8-byte Folded Spill
	v_cmpx_ne_u16_e32 0, v4
	s_cbranch_execz .LBB287_3386
; %bb.3379:                             ;   in Loop: Header=BB287_2082 Depth=1
	v_cmp_ne_u16_e32 vcc_lo, 0x80, v4
	v_bfrev_b32_e32 v4, 1
	v_mov_b32_e32 v5, 0
	scratch_store_b64 off, v[4:5], s32 offset:1520 ; 8-byte Folded Spill
	s_and_saveexec_b32 s1, vcc_lo
	s_cbranch_execz .LBB287_3385
; %bb.3380:                             ;   in Loop: Header=BB287_2082 Depth=1
	v_mov_b32_e32 v10, 0x7f800001
	v_bfe_u32 v4, v6, 16, 7
	v_mov_b32_e32 v11, 0
	s_mov_b32 s2, exec_lo
	scratch_store_b64 off, v[10:11], s32 offset:1520 ; 8-byte Folded Spill
	v_cmpx_ne_u32_e32 0x7f, v4
	s_cbranch_execz .LBB287_3384
; %bb.3381:                             ;   in Loop: Header=BB287_2082 Depth=1
	v_and_b32_e32 v8, 7, v7
	v_lshrrev_b32_e32 v10, 3, v4
	v_cmp_gt_u32_e32 vcc_lo, 8, v4
	s_delay_alu instid0(VALU_DEP_3)
	v_dual_mov_b32 v4, v8 :: v_dual_mov_b32 v5, v9
	s_and_saveexec_b32 s3, vcc_lo
; %bb.3382:                             ;   in Loop: Header=BB287_2082 Depth=1
	v_clz_i32_u32_e32 v4, v8
	s_delay_alu instid0(VALU_DEP_1) | instskip(NEXT) | instid1(VALU_DEP_1)
	v_min_u32_e32 v10, 32, v4
	v_subrev_nc_u32_e32 v4, 28, v10
	v_sub_nc_u32_e32 v10, 29, v10
	s_delay_alu instid0(VALU_DEP_2) | instskip(NEXT) | instid1(VALU_DEP_1)
	v_lshlrev_b64 v[4:5], v4, v[8:9]
	v_and_b32_e32 v4, 7, v4
; %bb.3383:                             ;   in Loop: Header=BB287_2082 Depth=1
	s_or_b32 exec_lo, exec_lo, s3
	v_lshlrev_b32_e32 v5, 24, v7
	s_delay_alu instid0(VALU_DEP_2) | instskip(SKIP_1) | instid1(VALU_DEP_3)
	v_lshlrev_b32_e32 v4, 20, v4
	v_lshl_add_u32 v7, v10, 23, 0x3c000000
	v_and_b32_e32 v5, 0x80000000, v5
	s_delay_alu instid0(VALU_DEP_1)
	v_or3_b32 v8, v4, v5, v7
	scratch_store_b64 off, v[8:9], s32 offset:1520 ; 8-byte Folded Spill
.LBB287_3384:                           ;   in Loop: Header=BB287_2082 Depth=1
	s_or_b32 exec_lo, exec_lo, s2
.LBB287_3385:                           ;   in Loop: Header=BB287_2082 Depth=1
	s_delay_alu instid0(SALU_CYCLE_1)
	s_or_b32 exec_lo, exec_lo, s1
.LBB287_3386:                           ;   in Loop: Header=BB287_2082 Depth=1
	s_delay_alu instid0(SALU_CYCLE_1) | instskip(NEXT) | instid1(SALU_CYCLE_1)
	s_or_b32 exec_lo, exec_lo, s0
	s_mov_b32 s0, exec_lo
	v_cmpx_lt_u32_e32 0xffffff, v6
	s_cbranch_execz .LBB287_3394
; %bb.3387:                             ;   in Loop: Header=BB287_2082 Depth=1
	v_lshrrev_b32_e32 v7, 24, v6
	v_dual_mov_b32 v29, s9 :: v_dual_mov_b32 v28, s8
	s_mov_b32 s1, exec_lo
	s_delay_alu instid0(VALU_DEP_2)
	v_cmpx_ne_u32_e32 0x80, v7
	s_cbranch_execz .LBB287_3393
; %bb.3388:                             ;   in Loop: Header=BB287_2082 Depth=1
	s_mov_b32 s12, s8
	v_bfe_u32 v4, v6, 24, 7
	v_dual_mov_b32 v29, s13 :: v_dual_mov_b32 v28, s12
	s_mov_b32 s2, exec_lo
	s_delay_alu instid0(VALU_DEP_2)
	v_cmpx_ne_u32_e32 0x7f, v4
	s_cbranch_execz .LBB287_3392
; %bb.3389:                             ;   in Loop: Header=BB287_2082 Depth=1
	v_and_b32_e32 v8, 7, v7
	v_lshrrev_b32_e32 v6, 3, v4
	v_cmp_gt_u32_e32 vcc_lo, 8, v4
	s_delay_alu instid0(VALU_DEP_3)
	v_dual_mov_b32 v4, v8 :: v_dual_mov_b32 v5, v9
	s_and_saveexec_b32 s3, vcc_lo
; %bb.3390:                             ;   in Loop: Header=BB287_2082 Depth=1
	v_clz_i32_u32_e32 v4, v8
	s_delay_alu instid0(VALU_DEP_1) | instskip(NEXT) | instid1(VALU_DEP_1)
	v_min_u32_e32 v6, 32, v4
	v_subrev_nc_u32_e32 v4, 28, v6
	v_sub_nc_u32_e32 v6, 29, v6
	s_delay_alu instid0(VALU_DEP_2) | instskip(NEXT) | instid1(VALU_DEP_1)
	v_lshlrev_b64 v[4:5], v4, v[8:9]
	v_and_b32_e32 v4, 7, v4
; %bb.3391:                             ;   in Loop: Header=BB287_2082 Depth=1
	s_or_b32 exec_lo, exec_lo, s3
	v_dual_mov_b32 v28, v9 :: v_dual_lshlrev_b32 v5, 24, v7
	s_delay_alu instid0(VALU_DEP_2) | instskip(SKIP_1) | instid1(VALU_DEP_3)
	v_lshlrev_b32_e32 v4, 20, v4
	v_lshl_add_u32 v6, v6, 23, 0x3c000000
	v_and_b32_e32 v5, 0x80000000, v5
	s_delay_alu instid0(VALU_DEP_1)
	v_or3_b32 v29, v4, v5, v6
.LBB287_3392:                           ;   in Loop: Header=BB287_2082 Depth=1
	s_or_b32 exec_lo, exec_lo, s2
.LBB287_3393:                           ;   in Loop: Header=BB287_2082 Depth=1
	s_delay_alu instid0(SALU_CYCLE_1)
	s_or_b32 exec_lo, exec_lo, s1
.LBB287_3394:                           ;   in Loop: Header=BB287_2082 Depth=1
	s_delay_alu instid0(SALU_CYCLE_1)
	s_or_b32 exec_lo, exec_lo, s0
	scratch_load_b32 v4, off, s32 offset:2532 ; 4-byte Folded Reload
	s_mov_b32 s0, exec_lo
	s_waitcnt vmcnt(0)
	v_add_co_u32 v4, vcc_lo, v162, v4
	v_add_co_ci_u32_e32 v5, vcc_lo, 0, v163, vcc_lo
	flat_load_b32 v10, v[4:5]
	v_mov_b32_e32 v4, 0
	s_waitcnt vmcnt(0) lgkmcnt(0)
	v_dual_mov_b32 v5, 0 :: v_dual_and_b32 v6, 0xff, v10
	scratch_store_b64 off, v[4:5], s32 offset:1528 ; 8-byte Folded Spill
	v_cmpx_ne_u16_e32 0, v6
	s_cbranch_execz .LBB287_3402
; %bb.3395:                             ;   in Loop: Header=BB287_2082 Depth=1
	v_cmp_ne_u16_e32 vcc_lo, 0x80, v6
	v_bfrev_b32_e32 v6, 1
	v_mov_b32_e32 v7, 0
	scratch_store_b64 off, v[6:7], s32 offset:1528 ; 8-byte Folded Spill
	s_and_saveexec_b32 s1, vcc_lo
	s_cbranch_execz .LBB287_3401
; %bb.3396:                             ;   in Loop: Header=BB287_2082 Depth=1
	v_mov_b32_e32 v7, 0x7f800001
	v_and_b32_e32 v6, 0x7f, v10
	v_mov_b32_e32 v8, 0
	s_mov_b32 s2, exec_lo
	scratch_store_b64 off, v[7:8], s32 offset:1528 ; 8-byte Folded Spill
	v_cmpx_ne_u32_e32 0x7f, v6
	s_cbranch_execz .LBB287_3400
; %bb.3397:                             ;   in Loop: Header=BB287_2082 Depth=1
	v_and_b32_e32 v8, 7, v10
	v_lshrrev_b32_e32 v11, 3, v6
	v_cmp_gt_u32_e32 vcc_lo, 8, v6
	s_delay_alu instid0(VALU_DEP_3)
	v_dual_mov_b32 v6, v8 :: v_dual_mov_b32 v7, v9
	s_and_saveexec_b32 s3, vcc_lo
; %bb.3398:                             ;   in Loop: Header=BB287_2082 Depth=1
	v_clz_i32_u32_e32 v6, v8
	s_delay_alu instid0(VALU_DEP_1) | instskip(NEXT) | instid1(VALU_DEP_1)
	v_min_u32_e32 v11, 32, v6
	v_subrev_nc_u32_e32 v6, 28, v11
	v_sub_nc_u32_e32 v11, 29, v11
	s_delay_alu instid0(VALU_DEP_2) | instskip(NEXT) | instid1(VALU_DEP_1)
	v_lshlrev_b64 v[6:7], v6, v[8:9]
	v_and_b32_e32 v6, 7, v6
; %bb.3399:                             ;   in Loop: Header=BB287_2082 Depth=1
	s_or_b32 exec_lo, exec_lo, s3
	v_lshlrev_b32_e32 v7, 24, v10
	s_delay_alu instid0(VALU_DEP_2) | instskip(SKIP_1) | instid1(VALU_DEP_3)
	v_lshlrev_b32_e32 v6, 20, v6
	v_lshl_add_u32 v8, v11, 23, 0x3c000000
	v_and_b32_e32 v7, 0x80000000, v7
	s_delay_alu instid0(VALU_DEP_1)
	v_or3_b32 v8, v6, v7, v8
	scratch_store_b64 off, v[8:9], s32 offset:1528 ; 8-byte Folded Spill
.LBB287_3400:                           ;   in Loop: Header=BB287_2082 Depth=1
	s_or_b32 exec_lo, exec_lo, s2
.LBB287_3401:                           ;   in Loop: Header=BB287_2082 Depth=1
	s_delay_alu instid0(SALU_CYCLE_1)
	s_or_b32 exec_lo, exec_lo, s1
.LBB287_3402:                           ;   in Loop: Header=BB287_2082 Depth=1
	s_delay_alu instid0(SALU_CYCLE_1) | instskip(SKIP_2) | instid1(VALU_DEP_1)
	s_or_b32 exec_lo, exec_lo, s0
	v_lshrrev_b16 v6, 8, v10
	s_mov_b32 s0, exec_lo
	v_cmpx_ne_u16_e32 0, v6
	s_cbranch_execz .LBB287_3410
; %bb.3403:                             ;   in Loop: Header=BB287_2082 Depth=1
	v_dual_mov_b32 v4, s8 :: v_dual_mov_b32 v5, s9
	s_mov_b32 s1, exec_lo
	v_cmpx_ne_u16_e32 0x80, v6
	s_cbranch_execz .LBB287_3409
; %bb.3404:                             ;   in Loop: Header=BB287_2082 Depth=1
	s_mov_b32 s12, s8
	v_and_b32_e32 v6, 0xffff, v6
	v_dual_mov_b32 v4, s12 :: v_dual_mov_b32 v5, s13
	s_mov_b32 s2, exec_lo
	s_delay_alu instid0(VALU_DEP_2) | instskip(NEXT) | instid1(VALU_DEP_1)
	v_and_b32_e32 v7, 0x7f, v6
	v_cmpx_ne_u32_e32 0x7f, v7
	s_cbranch_execz .LBB287_3408
; %bb.3405:                             ;   in Loop: Header=BB287_2082 Depth=1
	v_and_b32_e32 v8, 7, v6
	v_lshrrev_b32_e32 v6, 3, v7
	s_mov_b32 s3, exec_lo
	s_delay_alu instid0(VALU_DEP_2)
	v_dual_mov_b32 v4, v8 :: v_dual_mov_b32 v5, v9
	v_cmpx_gt_u32_e32 8, v7
; %bb.3406:                             ;   in Loop: Header=BB287_2082 Depth=1
	v_clz_i32_u32_e32 v4, v8
	s_delay_alu instid0(VALU_DEP_1) | instskip(NEXT) | instid1(VALU_DEP_1)
	v_min_u32_e32 v6, 32, v4
	v_subrev_nc_u32_e32 v4, 28, v6
	v_sub_nc_u32_e32 v6, 29, v6
	s_delay_alu instid0(VALU_DEP_2) | instskip(NEXT) | instid1(VALU_DEP_1)
	v_lshlrev_b64 v[4:5], v4, v[8:9]
	v_and_b32_e32 v4, 7, v4
; %bb.3407:                             ;   in Loop: Header=BB287_2082 Depth=1
	s_or_b32 exec_lo, exec_lo, s3
	v_lshlrev_b32_e32 v5, 16, v10
	s_delay_alu instid0(VALU_DEP_2) | instskip(SKIP_1) | instid1(VALU_DEP_3)
	v_lshlrev_b32_e32 v4, 20, v4
	v_lshl_add_u32 v6, v6, 23, 0x3c000000
	v_and_b32_e32 v5, 0x80000000, v5
	s_delay_alu instid0(VALU_DEP_1)
	v_or3_b32 v5, v4, v5, v6
	v_mov_b32_e32 v4, v9
.LBB287_3408:                           ;   in Loop: Header=BB287_2082 Depth=1
	s_or_b32 exec_lo, exec_lo, s2
.LBB287_3409:                           ;   in Loop: Header=BB287_2082 Depth=1
	s_delay_alu instid0(SALU_CYCLE_1)
	s_or_b32 exec_lo, exec_lo, s1
.LBB287_3410:                           ;   in Loop: Header=BB287_2082 Depth=1
	s_delay_alu instid0(SALU_CYCLE_1) | instskip(SKIP_4) | instid1(VALU_DEP_3)
	s_or_b32 exec_lo, exec_lo, s0
	v_lshrrev_b32_e32 v11, 16, v10
	v_mov_b32_e32 v66, 0
	v_mov_b32_e32 v67, 0
	s_mov_b32 s0, exec_lo
	v_and_b32_e32 v6, 0xff, v11
	scratch_store_b64 off, v[66:67], s32 offset:1536 ; 8-byte Folded Spill
	v_cmpx_ne_u16_e32 0, v6
	s_cbranch_execz .LBB287_3418
; %bb.3411:                             ;   in Loop: Header=BB287_2082 Depth=1
	v_cmp_ne_u16_e32 vcc_lo, 0x80, v6
	v_bfrev_b32_e32 v6, 1
	v_mov_b32_e32 v7, 0
	scratch_store_b64 off, v[6:7], s32 offset:1536 ; 8-byte Folded Spill
	s_and_saveexec_b32 s1, vcc_lo
	s_cbranch_execz .LBB287_3417
; %bb.3412:                             ;   in Loop: Header=BB287_2082 Depth=1
	v_mov_b32_e32 v7, 0x7f800001
	v_bfe_u32 v6, v10, 16, 7
	v_mov_b32_e32 v8, 0
	s_mov_b32 s2, exec_lo
	scratch_store_b64 off, v[7:8], s32 offset:1536 ; 8-byte Folded Spill
	v_cmpx_ne_u32_e32 0x7f, v6
	s_cbranch_execz .LBB287_3416
; %bb.3413:                             ;   in Loop: Header=BB287_2082 Depth=1
	v_and_b32_e32 v8, 7, v11
	v_lshrrev_b32_e32 v14, 3, v6
	v_cmp_gt_u32_e32 vcc_lo, 8, v6
	s_delay_alu instid0(VALU_DEP_3)
	v_dual_mov_b32 v6, v8 :: v_dual_mov_b32 v7, v9
	s_and_saveexec_b32 s3, vcc_lo
; %bb.3414:                             ;   in Loop: Header=BB287_2082 Depth=1
	v_clz_i32_u32_e32 v6, v8
	s_delay_alu instid0(VALU_DEP_1) | instskip(NEXT) | instid1(VALU_DEP_1)
	v_min_u32_e32 v14, 32, v6
	v_subrev_nc_u32_e32 v6, 28, v14
	v_sub_nc_u32_e32 v14, 29, v14
	s_delay_alu instid0(VALU_DEP_2) | instskip(NEXT) | instid1(VALU_DEP_1)
	v_lshlrev_b64 v[6:7], v6, v[8:9]
	v_and_b32_e32 v6, 7, v6
; %bb.3415:                             ;   in Loop: Header=BB287_2082 Depth=1
	s_or_b32 exec_lo, exec_lo, s3
	v_lshlrev_b32_e32 v7, 24, v11
	s_delay_alu instid0(VALU_DEP_2) | instskip(SKIP_1) | instid1(VALU_DEP_3)
	v_lshlrev_b32_e32 v6, 20, v6
	v_lshl_add_u32 v8, v14, 23, 0x3c000000
	v_and_b32_e32 v7, 0x80000000, v7
	s_delay_alu instid0(VALU_DEP_1)
	v_or3_b32 v8, v6, v7, v8
	scratch_store_b64 off, v[8:9], s32 offset:1536 ; 8-byte Folded Spill
.LBB287_3416:                           ;   in Loop: Header=BB287_2082 Depth=1
	s_or_b32 exec_lo, exec_lo, s2
.LBB287_3417:                           ;   in Loop: Header=BB287_2082 Depth=1
	s_delay_alu instid0(SALU_CYCLE_1)
	s_or_b32 exec_lo, exec_lo, s1
.LBB287_3418:                           ;   in Loop: Header=BB287_2082 Depth=1
	s_delay_alu instid0(SALU_CYCLE_1) | instskip(NEXT) | instid1(SALU_CYCLE_1)
	s_or_b32 exec_lo, exec_lo, s0
	s_mov_b32 s0, exec_lo
	v_cmpx_lt_u32_e32 0xffffff, v10
	s_cbranch_execz .LBB287_3426
; %bb.3419:                             ;   in Loop: Header=BB287_2082 Depth=1
	v_lshrrev_b32_e32 v11, 24, v10
	v_dual_mov_b32 v67, s9 :: v_dual_mov_b32 v66, s8
	s_mov_b32 s1, exec_lo
	s_delay_alu instid0(VALU_DEP_2)
	v_cmpx_ne_u32_e32 0x80, v11
	s_cbranch_execz .LBB287_3425
; %bb.3420:                             ;   in Loop: Header=BB287_2082 Depth=1
	s_mov_b32 s12, s8
	v_bfe_u32 v6, v10, 24, 7
	v_dual_mov_b32 v67, s13 :: v_dual_mov_b32 v66, s12
	s_mov_b32 s2, exec_lo
	s_delay_alu instid0(VALU_DEP_2)
	v_cmpx_ne_u32_e32 0x7f, v6
	s_cbranch_execz .LBB287_3424
; %bb.3421:                             ;   in Loop: Header=BB287_2082 Depth=1
	v_and_b32_e32 v8, 7, v11
	v_lshrrev_b32_e32 v10, 3, v6
	v_cmp_gt_u32_e32 vcc_lo, 8, v6
	s_delay_alu instid0(VALU_DEP_3)
	v_dual_mov_b32 v6, v8 :: v_dual_mov_b32 v7, v9
	s_and_saveexec_b32 s3, vcc_lo
; %bb.3422:                             ;   in Loop: Header=BB287_2082 Depth=1
	v_clz_i32_u32_e32 v6, v8
	s_delay_alu instid0(VALU_DEP_1) | instskip(NEXT) | instid1(VALU_DEP_1)
	v_min_u32_e32 v10, 32, v6
	v_subrev_nc_u32_e32 v6, 28, v10
	v_sub_nc_u32_e32 v10, 29, v10
	s_delay_alu instid0(VALU_DEP_2) | instskip(NEXT) | instid1(VALU_DEP_1)
	v_lshlrev_b64 v[6:7], v6, v[8:9]
	v_and_b32_e32 v6, 7, v6
; %bb.3423:                             ;   in Loop: Header=BB287_2082 Depth=1
	s_or_b32 exec_lo, exec_lo, s3
	v_dual_mov_b32 v66, v9 :: v_dual_lshlrev_b32 v7, 24, v11
	s_delay_alu instid0(VALU_DEP_2) | instskip(SKIP_1) | instid1(VALU_DEP_3)
	v_lshlrev_b32_e32 v6, 20, v6
	v_lshl_add_u32 v8, v10, 23, 0x3c000000
	v_and_b32_e32 v7, 0x80000000, v7
	s_delay_alu instid0(VALU_DEP_1)
	v_or3_b32 v67, v6, v7, v8
.LBB287_3424:                           ;   in Loop: Header=BB287_2082 Depth=1
	s_or_b32 exec_lo, exec_lo, s2
.LBB287_3425:                           ;   in Loop: Header=BB287_2082 Depth=1
	s_delay_alu instid0(SALU_CYCLE_1)
	s_or_b32 exec_lo, exec_lo, s1
.LBB287_3426:                           ;   in Loop: Header=BB287_2082 Depth=1
	s_delay_alu instid0(SALU_CYCLE_1)
	s_or_b32 exec_lo, exec_lo, s0
	scratch_load_b32 v6, off, s32 offset:2548 ; 4-byte Folded Reload
	v_mov_b32_e32 v82, 0
	s_mov_b32 s0, exec_lo
	s_waitcnt vmcnt(0)
	v_add_co_u32 v6, vcc_lo, v162, v6
	v_add_co_ci_u32_e32 v7, vcc_lo, 0, v163, vcc_lo
	flat_load_b32 v10, v[6:7]
	s_waitcnt vmcnt(0) lgkmcnt(0)
	v_dual_mov_b32 v83, 0 :: v_dual_and_b32 v6, 0xff, v10
	scratch_store_b64 off, v[82:83], s32 offset:1544 ; 8-byte Folded Spill
	v_cmpx_ne_u16_e32 0, v6
	s_cbranch_execz .LBB287_3434
; %bb.3427:                             ;   in Loop: Header=BB287_2082 Depth=1
	v_cmp_ne_u16_e32 vcc_lo, 0x80, v6
	v_bfrev_b32_e32 v6, 1
	v_mov_b32_e32 v7, 0
	scratch_store_b64 off, v[6:7], s32 offset:1544 ; 8-byte Folded Spill
	s_and_saveexec_b32 s1, vcc_lo
	s_cbranch_execz .LBB287_3433
; %bb.3428:                             ;   in Loop: Header=BB287_2082 Depth=1
	v_mov_b32_e32 v7, 0x7f800001
	v_and_b32_e32 v6, 0x7f, v10
	v_mov_b32_e32 v8, 0
	s_mov_b32 s2, exec_lo
	scratch_store_b64 off, v[7:8], s32 offset:1544 ; 8-byte Folded Spill
	v_cmpx_ne_u32_e32 0x7f, v6
	s_cbranch_execz .LBB287_3432
; %bb.3429:                             ;   in Loop: Header=BB287_2082 Depth=1
	v_and_b32_e32 v8, 7, v10
	v_lshrrev_b32_e32 v11, 3, v6
	v_cmp_gt_u32_e32 vcc_lo, 8, v6
	s_delay_alu instid0(VALU_DEP_3)
	v_dual_mov_b32 v6, v8 :: v_dual_mov_b32 v7, v9
	s_and_saveexec_b32 s3, vcc_lo
; %bb.3430:                             ;   in Loop: Header=BB287_2082 Depth=1
	v_clz_i32_u32_e32 v6, v8
	s_delay_alu instid0(VALU_DEP_1) | instskip(NEXT) | instid1(VALU_DEP_1)
	v_min_u32_e32 v11, 32, v6
	v_subrev_nc_u32_e32 v6, 28, v11
	v_sub_nc_u32_e32 v11, 29, v11
	s_delay_alu instid0(VALU_DEP_2) | instskip(NEXT) | instid1(VALU_DEP_1)
	v_lshlrev_b64 v[6:7], v6, v[8:9]
	v_and_b32_e32 v6, 7, v6
; %bb.3431:                             ;   in Loop: Header=BB287_2082 Depth=1
	s_or_b32 exec_lo, exec_lo, s3
	v_lshlrev_b32_e32 v7, 24, v10
	s_delay_alu instid0(VALU_DEP_2) | instskip(SKIP_1) | instid1(VALU_DEP_3)
	v_lshlrev_b32_e32 v6, 20, v6
	v_lshl_add_u32 v8, v11, 23, 0x3c000000
	v_and_b32_e32 v7, 0x80000000, v7
	s_delay_alu instid0(VALU_DEP_1)
	v_or3_b32 v8, v6, v7, v8
	scratch_store_b64 off, v[8:9], s32 offset:1544 ; 8-byte Folded Spill
.LBB287_3432:                           ;   in Loop: Header=BB287_2082 Depth=1
	s_or_b32 exec_lo, exec_lo, s2
.LBB287_3433:                           ;   in Loop: Header=BB287_2082 Depth=1
	s_delay_alu instid0(SALU_CYCLE_1)
	s_or_b32 exec_lo, exec_lo, s1
.LBB287_3434:                           ;   in Loop: Header=BB287_2082 Depth=1
	s_delay_alu instid0(SALU_CYCLE_1) | instskip(SKIP_2) | instid1(VALU_DEP_1)
	s_or_b32 exec_lo, exec_lo, s0
	v_lshrrev_b16 v6, 8, v10
	s_mov_b32 s0, exec_lo
	v_cmpx_ne_u16_e32 0, v6
	s_cbranch_execz .LBB287_3442
; %bb.3435:                             ;   in Loop: Header=BB287_2082 Depth=1
	v_dual_mov_b32 v83, s9 :: v_dual_mov_b32 v82, s8
	s_mov_b32 s1, exec_lo
	v_cmpx_ne_u16_e32 0x80, v6
	s_cbranch_execz .LBB287_3441
; %bb.3436:                             ;   in Loop: Header=BB287_2082 Depth=1
	s_mov_b32 s12, s8
	v_and_b32_e32 v7, 0xffff, v6
	v_dual_mov_b32 v83, s13 :: v_dual_mov_b32 v82, s12
	s_mov_b32 s2, exec_lo
	s_delay_alu instid0(VALU_DEP_2) | instskip(NEXT) | instid1(VALU_DEP_1)
	v_and_b32_e32 v6, 0x7f, v7
	v_cmpx_ne_u32_e32 0x7f, v6
	s_cbranch_execz .LBB287_3440
; %bb.3437:                             ;   in Loop: Header=BB287_2082 Depth=1
	v_and_b32_e32 v8, 7, v7
	v_lshrrev_b32_e32 v11, 3, v6
	v_cmp_gt_u32_e32 vcc_lo, 8, v6
	s_delay_alu instid0(VALU_DEP_3)
	v_dual_mov_b32 v6, v8 :: v_dual_mov_b32 v7, v9
	s_and_saveexec_b32 s3, vcc_lo
; %bb.3438:                             ;   in Loop: Header=BB287_2082 Depth=1
	v_clz_i32_u32_e32 v6, v8
	s_delay_alu instid0(VALU_DEP_1) | instskip(NEXT) | instid1(VALU_DEP_1)
	v_min_u32_e32 v11, 32, v6
	v_subrev_nc_u32_e32 v6, 28, v11
	v_sub_nc_u32_e32 v11, 29, v11
	s_delay_alu instid0(VALU_DEP_2) | instskip(NEXT) | instid1(VALU_DEP_1)
	v_lshlrev_b64 v[6:7], v6, v[8:9]
	v_and_b32_e32 v6, 7, v6
; %bb.3439:                             ;   in Loop: Header=BB287_2082 Depth=1
	s_or_b32 exec_lo, exec_lo, s3
	v_dual_mov_b32 v82, v9 :: v_dual_lshlrev_b32 v7, 16, v10
	s_delay_alu instid0(VALU_DEP_2) | instskip(SKIP_1) | instid1(VALU_DEP_3)
	v_lshlrev_b32_e32 v6, 20, v6
	v_lshl_add_u32 v8, v11, 23, 0x3c000000
	v_and_b32_e32 v7, 0x80000000, v7
	s_delay_alu instid0(VALU_DEP_1)
	v_or3_b32 v83, v6, v7, v8
.LBB287_3440:                           ;   in Loop: Header=BB287_2082 Depth=1
	s_or_b32 exec_lo, exec_lo, s2
.LBB287_3441:                           ;   in Loop: Header=BB287_2082 Depth=1
	s_delay_alu instid0(SALU_CYCLE_1)
	s_or_b32 exec_lo, exec_lo, s1
.LBB287_3442:                           ;   in Loop: Header=BB287_2082 Depth=1
	s_delay_alu instid0(SALU_CYCLE_1) | instskip(SKIP_4) | instid1(VALU_DEP_3)
	s_or_b32 exec_lo, exec_lo, s0
	v_lshrrev_b32_e32 v11, 16, v10
	v_mov_b32_e32 v56, 0
	v_mov_b32_e32 v57, 0
	s_mov_b32 s0, exec_lo
	v_and_b32_e32 v6, 0xff, v11
	scratch_store_b64 off, v[56:57], s32 offset:1552 ; 8-byte Folded Spill
	v_cmpx_ne_u16_e32 0, v6
	s_cbranch_execz .LBB287_3450
; %bb.3443:                             ;   in Loop: Header=BB287_2082 Depth=1
	v_cmp_ne_u16_e32 vcc_lo, 0x80, v6
	v_bfrev_b32_e32 v6, 1
	v_mov_b32_e32 v7, 0
	scratch_store_b64 off, v[6:7], s32 offset:1552 ; 8-byte Folded Spill
	s_and_saveexec_b32 s1, vcc_lo
	s_cbranch_execz .LBB287_3449
; %bb.3444:                             ;   in Loop: Header=BB287_2082 Depth=1
	v_mov_b32_e32 v7, 0x7f800001
	v_bfe_u32 v6, v10, 16, 7
	v_mov_b32_e32 v8, 0
	s_mov_b32 s2, exec_lo
	scratch_store_b64 off, v[7:8], s32 offset:1552 ; 8-byte Folded Spill
	v_cmpx_ne_u32_e32 0x7f, v6
	s_cbranch_execz .LBB287_3448
; %bb.3445:                             ;   in Loop: Header=BB287_2082 Depth=1
	v_and_b32_e32 v8, 7, v11
	v_lshrrev_b32_e32 v14, 3, v6
	v_cmp_gt_u32_e32 vcc_lo, 8, v6
	s_delay_alu instid0(VALU_DEP_3)
	v_dual_mov_b32 v6, v8 :: v_dual_mov_b32 v7, v9
	s_and_saveexec_b32 s3, vcc_lo
; %bb.3446:                             ;   in Loop: Header=BB287_2082 Depth=1
	v_clz_i32_u32_e32 v6, v8
	s_delay_alu instid0(VALU_DEP_1) | instskip(NEXT) | instid1(VALU_DEP_1)
	v_min_u32_e32 v14, 32, v6
	v_subrev_nc_u32_e32 v6, 28, v14
	v_sub_nc_u32_e32 v14, 29, v14
	s_delay_alu instid0(VALU_DEP_2) | instskip(NEXT) | instid1(VALU_DEP_1)
	v_lshlrev_b64 v[6:7], v6, v[8:9]
	v_and_b32_e32 v6, 7, v6
; %bb.3447:                             ;   in Loop: Header=BB287_2082 Depth=1
	s_or_b32 exec_lo, exec_lo, s3
	v_lshlrev_b32_e32 v7, 24, v11
	s_delay_alu instid0(VALU_DEP_2) | instskip(SKIP_1) | instid1(VALU_DEP_3)
	v_lshlrev_b32_e32 v6, 20, v6
	v_lshl_add_u32 v8, v14, 23, 0x3c000000
	v_and_b32_e32 v7, 0x80000000, v7
	s_delay_alu instid0(VALU_DEP_1)
	v_or3_b32 v8, v6, v7, v8
	scratch_store_b64 off, v[8:9], s32 offset:1552 ; 8-byte Folded Spill
.LBB287_3448:                           ;   in Loop: Header=BB287_2082 Depth=1
	s_or_b32 exec_lo, exec_lo, s2
.LBB287_3449:                           ;   in Loop: Header=BB287_2082 Depth=1
	s_delay_alu instid0(SALU_CYCLE_1)
	s_or_b32 exec_lo, exec_lo, s1
.LBB287_3450:                           ;   in Loop: Header=BB287_2082 Depth=1
	s_delay_alu instid0(SALU_CYCLE_1) | instskip(NEXT) | instid1(SALU_CYCLE_1)
	s_or_b32 exec_lo, exec_lo, s0
	s_mov_b32 s0, exec_lo
	v_cmpx_lt_u32_e32 0xffffff, v10
	s_cbranch_execz .LBB287_3458
; %bb.3451:                             ;   in Loop: Header=BB287_2082 Depth=1
	v_lshrrev_b32_e32 v11, 24, v10
	v_dual_mov_b32 v57, s9 :: v_dual_mov_b32 v56, s8
	s_mov_b32 s1, exec_lo
	s_delay_alu instid0(VALU_DEP_2)
	v_cmpx_ne_u32_e32 0x80, v11
	s_cbranch_execz .LBB287_3457
; %bb.3452:                             ;   in Loop: Header=BB287_2082 Depth=1
	s_mov_b32 s12, s8
	v_bfe_u32 v6, v10, 24, 7
	v_dual_mov_b32 v57, s13 :: v_dual_mov_b32 v56, s12
	s_mov_b32 s2, exec_lo
	s_delay_alu instid0(VALU_DEP_2)
	v_cmpx_ne_u32_e32 0x7f, v6
	s_cbranch_execz .LBB287_3456
; %bb.3453:                             ;   in Loop: Header=BB287_2082 Depth=1
	v_and_b32_e32 v8, 7, v11
	v_lshrrev_b32_e32 v10, 3, v6
	v_cmp_gt_u32_e32 vcc_lo, 8, v6
	s_delay_alu instid0(VALU_DEP_3)
	v_dual_mov_b32 v6, v8 :: v_dual_mov_b32 v7, v9
	s_and_saveexec_b32 s3, vcc_lo
; %bb.3454:                             ;   in Loop: Header=BB287_2082 Depth=1
	v_clz_i32_u32_e32 v6, v8
	s_delay_alu instid0(VALU_DEP_1) | instskip(NEXT) | instid1(VALU_DEP_1)
	v_min_u32_e32 v10, 32, v6
	v_subrev_nc_u32_e32 v6, 28, v10
	v_sub_nc_u32_e32 v10, 29, v10
	s_delay_alu instid0(VALU_DEP_2) | instskip(NEXT) | instid1(VALU_DEP_1)
	v_lshlrev_b64 v[6:7], v6, v[8:9]
	v_and_b32_e32 v6, 7, v6
; %bb.3455:                             ;   in Loop: Header=BB287_2082 Depth=1
	s_or_b32 exec_lo, exec_lo, s3
	v_dual_mov_b32 v56, v9 :: v_dual_lshlrev_b32 v7, 24, v11
	s_delay_alu instid0(VALU_DEP_2) | instskip(SKIP_1) | instid1(VALU_DEP_3)
	v_lshlrev_b32_e32 v6, 20, v6
	v_lshl_add_u32 v8, v10, 23, 0x3c000000
	v_and_b32_e32 v7, 0x80000000, v7
	s_delay_alu instid0(VALU_DEP_1)
	v_or3_b32 v57, v6, v7, v8
.LBB287_3456:                           ;   in Loop: Header=BB287_2082 Depth=1
	s_or_b32 exec_lo, exec_lo, s2
.LBB287_3457:                           ;   in Loop: Header=BB287_2082 Depth=1
	s_delay_alu instid0(SALU_CYCLE_1)
	s_or_b32 exec_lo, exec_lo, s1
.LBB287_3458:                           ;   in Loop: Header=BB287_2082 Depth=1
	s_delay_alu instid0(SALU_CYCLE_1)
	s_or_b32 exec_lo, exec_lo, s0
	scratch_load_b32 v6, off, s32 offset:2564 ; 4-byte Folded Reload
	v_mov_b32_e32 v60, 0
	s_mov_b32 s0, exec_lo
	s_waitcnt vmcnt(0)
	v_add_co_u32 v6, vcc_lo, v162, v6
	v_add_co_ci_u32_e32 v7, vcc_lo, 0, v163, vcc_lo
	flat_load_b32 v10, v[6:7]
	s_waitcnt vmcnt(0) lgkmcnt(0)
	v_dual_mov_b32 v61, 0 :: v_dual_and_b32 v6, 0xff, v10
	scratch_store_b64 off, v[60:61], s32 offset:1560 ; 8-byte Folded Spill
	v_cmpx_ne_u16_e32 0, v6
	s_cbranch_execz .LBB287_3466
; %bb.3459:                             ;   in Loop: Header=BB287_2082 Depth=1
	v_cmp_ne_u16_e32 vcc_lo, 0x80, v6
	v_bfrev_b32_e32 v6, 1
	v_mov_b32_e32 v7, 0
	scratch_store_b64 off, v[6:7], s32 offset:1560 ; 8-byte Folded Spill
	s_and_saveexec_b32 s1, vcc_lo
	s_cbranch_execz .LBB287_3465
; %bb.3460:                             ;   in Loop: Header=BB287_2082 Depth=1
	v_mov_b32_e32 v7, 0x7f800001
	v_and_b32_e32 v6, 0x7f, v10
	v_mov_b32_e32 v8, 0
	s_mov_b32 s2, exec_lo
	scratch_store_b64 off, v[7:8], s32 offset:1560 ; 8-byte Folded Spill
	v_cmpx_ne_u32_e32 0x7f, v6
	s_cbranch_execz .LBB287_3464
; %bb.3461:                             ;   in Loop: Header=BB287_2082 Depth=1
	v_and_b32_e32 v8, 7, v10
	v_lshrrev_b32_e32 v11, 3, v6
	v_cmp_gt_u32_e32 vcc_lo, 8, v6
	s_delay_alu instid0(VALU_DEP_3)
	v_dual_mov_b32 v6, v8 :: v_dual_mov_b32 v7, v9
	s_and_saveexec_b32 s3, vcc_lo
; %bb.3462:                             ;   in Loop: Header=BB287_2082 Depth=1
	v_clz_i32_u32_e32 v6, v8
	s_delay_alu instid0(VALU_DEP_1) | instskip(NEXT) | instid1(VALU_DEP_1)
	v_min_u32_e32 v11, 32, v6
	v_subrev_nc_u32_e32 v6, 28, v11
	v_sub_nc_u32_e32 v11, 29, v11
	s_delay_alu instid0(VALU_DEP_2) | instskip(NEXT) | instid1(VALU_DEP_1)
	v_lshlrev_b64 v[6:7], v6, v[8:9]
	v_and_b32_e32 v6, 7, v6
; %bb.3463:                             ;   in Loop: Header=BB287_2082 Depth=1
	s_or_b32 exec_lo, exec_lo, s3
	v_lshlrev_b32_e32 v7, 24, v10
	s_delay_alu instid0(VALU_DEP_2) | instskip(SKIP_1) | instid1(VALU_DEP_3)
	v_lshlrev_b32_e32 v6, 20, v6
	v_lshl_add_u32 v8, v11, 23, 0x3c000000
	v_and_b32_e32 v7, 0x80000000, v7
	s_delay_alu instid0(VALU_DEP_1)
	v_or3_b32 v8, v6, v7, v8
	scratch_store_b64 off, v[8:9], s32 offset:1560 ; 8-byte Folded Spill
.LBB287_3464:                           ;   in Loop: Header=BB287_2082 Depth=1
	s_or_b32 exec_lo, exec_lo, s2
.LBB287_3465:                           ;   in Loop: Header=BB287_2082 Depth=1
	s_delay_alu instid0(SALU_CYCLE_1)
	s_or_b32 exec_lo, exec_lo, s1
.LBB287_3466:                           ;   in Loop: Header=BB287_2082 Depth=1
	s_delay_alu instid0(SALU_CYCLE_1) | instskip(SKIP_2) | instid1(VALU_DEP_1)
	s_or_b32 exec_lo, exec_lo, s0
	v_lshrrev_b16 v6, 8, v10
	s_mov_b32 s0, exec_lo
	v_cmpx_ne_u16_e32 0, v6
	s_cbranch_execz .LBB287_3474
; %bb.3467:                             ;   in Loop: Header=BB287_2082 Depth=1
	v_dual_mov_b32 v61, s9 :: v_dual_mov_b32 v60, s8
	s_mov_b32 s1, exec_lo
	v_cmpx_ne_u16_e32 0x80, v6
	s_cbranch_execz .LBB287_3473
; %bb.3468:                             ;   in Loop: Header=BB287_2082 Depth=1
	s_mov_b32 s12, s8
	v_and_b32_e32 v7, 0xffff, v6
	v_dual_mov_b32 v61, s13 :: v_dual_mov_b32 v60, s12
	s_mov_b32 s2, exec_lo
	s_delay_alu instid0(VALU_DEP_2) | instskip(NEXT) | instid1(VALU_DEP_1)
	v_and_b32_e32 v6, 0x7f, v7
	v_cmpx_ne_u32_e32 0x7f, v6
	s_cbranch_execz .LBB287_3472
; %bb.3469:                             ;   in Loop: Header=BB287_2082 Depth=1
	v_and_b32_e32 v8, 7, v7
	v_lshrrev_b32_e32 v11, 3, v6
	v_cmp_gt_u32_e32 vcc_lo, 8, v6
	s_delay_alu instid0(VALU_DEP_3)
	v_dual_mov_b32 v6, v8 :: v_dual_mov_b32 v7, v9
	s_and_saveexec_b32 s3, vcc_lo
; %bb.3470:                             ;   in Loop: Header=BB287_2082 Depth=1
	v_clz_i32_u32_e32 v6, v8
	s_delay_alu instid0(VALU_DEP_1) | instskip(NEXT) | instid1(VALU_DEP_1)
	v_min_u32_e32 v11, 32, v6
	v_subrev_nc_u32_e32 v6, 28, v11
	v_sub_nc_u32_e32 v11, 29, v11
	s_delay_alu instid0(VALU_DEP_2) | instskip(NEXT) | instid1(VALU_DEP_1)
	v_lshlrev_b64 v[6:7], v6, v[8:9]
	v_and_b32_e32 v6, 7, v6
; %bb.3471:                             ;   in Loop: Header=BB287_2082 Depth=1
	s_or_b32 exec_lo, exec_lo, s3
	v_dual_mov_b32 v60, v9 :: v_dual_lshlrev_b32 v7, 16, v10
	s_delay_alu instid0(VALU_DEP_2) | instskip(SKIP_1) | instid1(VALU_DEP_3)
	v_lshlrev_b32_e32 v6, 20, v6
	v_lshl_add_u32 v8, v11, 23, 0x3c000000
	v_and_b32_e32 v7, 0x80000000, v7
	s_delay_alu instid0(VALU_DEP_1)
	v_or3_b32 v61, v6, v7, v8
.LBB287_3472:                           ;   in Loop: Header=BB287_2082 Depth=1
	s_or_b32 exec_lo, exec_lo, s2
.LBB287_3473:                           ;   in Loop: Header=BB287_2082 Depth=1
	s_delay_alu instid0(SALU_CYCLE_1)
	s_or_b32 exec_lo, exec_lo, s1
.LBB287_3474:                           ;   in Loop: Header=BB287_2082 Depth=1
	s_delay_alu instid0(SALU_CYCLE_1) | instskip(SKIP_4) | instid1(VALU_DEP_3)
	s_or_b32 exec_lo, exec_lo, s0
	v_lshrrev_b32_e32 v11, 16, v10
	v_mov_b32_e32 v72, 0
	v_mov_b32_e32 v73, 0
	s_mov_b32 s0, exec_lo
	v_and_b32_e32 v6, 0xff, v11
	scratch_store_b64 off, v[72:73], s32 offset:1568 ; 8-byte Folded Spill
	v_cmpx_ne_u16_e32 0, v6
	s_cbranch_execz .LBB287_3482
; %bb.3475:                             ;   in Loop: Header=BB287_2082 Depth=1
	v_cmp_ne_u16_e32 vcc_lo, 0x80, v6
	v_bfrev_b32_e32 v6, 1
	v_mov_b32_e32 v7, 0
	scratch_store_b64 off, v[6:7], s32 offset:1568 ; 8-byte Folded Spill
	s_and_saveexec_b32 s1, vcc_lo
	s_cbranch_execz .LBB287_3481
; %bb.3476:                             ;   in Loop: Header=BB287_2082 Depth=1
	v_mov_b32_e32 v7, 0x7f800001
	v_bfe_u32 v6, v10, 16, 7
	v_mov_b32_e32 v8, 0
	s_mov_b32 s2, exec_lo
	scratch_store_b64 off, v[7:8], s32 offset:1568 ; 8-byte Folded Spill
	v_cmpx_ne_u32_e32 0x7f, v6
	s_cbranch_execz .LBB287_3480
; %bb.3477:                             ;   in Loop: Header=BB287_2082 Depth=1
	v_and_b32_e32 v8, 7, v11
	v_lshrrev_b32_e32 v14, 3, v6
	v_cmp_gt_u32_e32 vcc_lo, 8, v6
	s_delay_alu instid0(VALU_DEP_3)
	v_dual_mov_b32 v6, v8 :: v_dual_mov_b32 v7, v9
	s_and_saveexec_b32 s3, vcc_lo
; %bb.3478:                             ;   in Loop: Header=BB287_2082 Depth=1
	v_clz_i32_u32_e32 v6, v8
	s_delay_alu instid0(VALU_DEP_1) | instskip(NEXT) | instid1(VALU_DEP_1)
	v_min_u32_e32 v14, 32, v6
	v_subrev_nc_u32_e32 v6, 28, v14
	v_sub_nc_u32_e32 v14, 29, v14
	s_delay_alu instid0(VALU_DEP_2) | instskip(NEXT) | instid1(VALU_DEP_1)
	v_lshlrev_b64 v[6:7], v6, v[8:9]
	v_and_b32_e32 v6, 7, v6
; %bb.3479:                             ;   in Loop: Header=BB287_2082 Depth=1
	s_or_b32 exec_lo, exec_lo, s3
	v_lshlrev_b32_e32 v7, 24, v11
	s_delay_alu instid0(VALU_DEP_2) | instskip(SKIP_1) | instid1(VALU_DEP_3)
	v_lshlrev_b32_e32 v6, 20, v6
	v_lshl_add_u32 v8, v14, 23, 0x3c000000
	v_and_b32_e32 v7, 0x80000000, v7
	s_delay_alu instid0(VALU_DEP_1)
	v_or3_b32 v8, v6, v7, v8
	scratch_store_b64 off, v[8:9], s32 offset:1568 ; 8-byte Folded Spill
.LBB287_3480:                           ;   in Loop: Header=BB287_2082 Depth=1
	s_or_b32 exec_lo, exec_lo, s2
.LBB287_3481:                           ;   in Loop: Header=BB287_2082 Depth=1
	s_delay_alu instid0(SALU_CYCLE_1)
	s_or_b32 exec_lo, exec_lo, s1
.LBB287_3482:                           ;   in Loop: Header=BB287_2082 Depth=1
	s_delay_alu instid0(SALU_CYCLE_1) | instskip(NEXT) | instid1(SALU_CYCLE_1)
	s_or_b32 exec_lo, exec_lo, s0
	s_mov_b32 s0, exec_lo
	v_cmpx_lt_u32_e32 0xffffff, v10
	s_cbranch_execz .LBB287_3490
; %bb.3483:                             ;   in Loop: Header=BB287_2082 Depth=1
	v_lshrrev_b32_e32 v11, 24, v10
	v_dual_mov_b32 v73, s9 :: v_dual_mov_b32 v72, s8
	s_mov_b32 s1, exec_lo
	s_delay_alu instid0(VALU_DEP_2)
	v_cmpx_ne_u32_e32 0x80, v11
	s_cbranch_execz .LBB287_3489
; %bb.3484:                             ;   in Loop: Header=BB287_2082 Depth=1
	s_mov_b32 s12, s8
	v_bfe_u32 v6, v10, 24, 7
	v_dual_mov_b32 v73, s13 :: v_dual_mov_b32 v72, s12
	s_mov_b32 s2, exec_lo
	s_delay_alu instid0(VALU_DEP_2)
	v_cmpx_ne_u32_e32 0x7f, v6
	s_cbranch_execz .LBB287_3488
; %bb.3485:                             ;   in Loop: Header=BB287_2082 Depth=1
	v_and_b32_e32 v8, 7, v11
	v_lshrrev_b32_e32 v10, 3, v6
	v_cmp_gt_u32_e32 vcc_lo, 8, v6
	s_delay_alu instid0(VALU_DEP_3)
	v_dual_mov_b32 v6, v8 :: v_dual_mov_b32 v7, v9
	s_and_saveexec_b32 s3, vcc_lo
; %bb.3486:                             ;   in Loop: Header=BB287_2082 Depth=1
	v_clz_i32_u32_e32 v6, v8
	s_delay_alu instid0(VALU_DEP_1) | instskip(NEXT) | instid1(VALU_DEP_1)
	v_min_u32_e32 v10, 32, v6
	v_subrev_nc_u32_e32 v6, 28, v10
	v_sub_nc_u32_e32 v10, 29, v10
	s_delay_alu instid0(VALU_DEP_2) | instskip(NEXT) | instid1(VALU_DEP_1)
	v_lshlrev_b64 v[6:7], v6, v[8:9]
	v_and_b32_e32 v6, 7, v6
; %bb.3487:                             ;   in Loop: Header=BB287_2082 Depth=1
	s_or_b32 exec_lo, exec_lo, s3
	v_dual_mov_b32 v72, v9 :: v_dual_lshlrev_b32 v7, 24, v11
	s_delay_alu instid0(VALU_DEP_2) | instskip(SKIP_1) | instid1(VALU_DEP_3)
	v_lshlrev_b32_e32 v6, 20, v6
	v_lshl_add_u32 v8, v10, 23, 0x3c000000
	v_and_b32_e32 v7, 0x80000000, v7
	s_delay_alu instid0(VALU_DEP_1)
	v_or3_b32 v73, v6, v7, v8
.LBB287_3488:                           ;   in Loop: Header=BB287_2082 Depth=1
	s_or_b32 exec_lo, exec_lo, s2
.LBB287_3489:                           ;   in Loop: Header=BB287_2082 Depth=1
	s_delay_alu instid0(SALU_CYCLE_1)
	s_or_b32 exec_lo, exec_lo, s1
.LBB287_3490:                           ;   in Loop: Header=BB287_2082 Depth=1
	s_delay_alu instid0(SALU_CYCLE_1)
	s_or_b32 exec_lo, exec_lo, s0
	scratch_load_b32 v6, off, s32 offset:2580 ; 4-byte Folded Reload
	v_mov_b32_e32 v132, 0
	s_mov_b32 s0, exec_lo
	s_waitcnt vmcnt(0)
	v_add_co_u32 v6, vcc_lo, v162, v6
	v_add_co_ci_u32_e32 v7, vcc_lo, 0, v163, vcc_lo
	flat_load_b32 v10, v[6:7]
	s_waitcnt vmcnt(0) lgkmcnt(0)
	v_dual_mov_b32 v133, 0 :: v_dual_and_b32 v6, 0xff, v10
	scratch_store_b64 off, v[132:133], s32 offset:1576 ; 8-byte Folded Spill
	v_cmpx_ne_u16_e32 0, v6
	s_cbranch_execz .LBB287_3498
; %bb.3491:                             ;   in Loop: Header=BB287_2082 Depth=1
	v_cmp_ne_u16_e32 vcc_lo, 0x80, v6
	v_bfrev_b32_e32 v6, 1
	v_mov_b32_e32 v7, 0
	scratch_store_b64 off, v[6:7], s32 offset:1576 ; 8-byte Folded Spill
	s_and_saveexec_b32 s1, vcc_lo
	s_cbranch_execz .LBB287_3497
; %bb.3492:                             ;   in Loop: Header=BB287_2082 Depth=1
	v_mov_b32_e32 v7, 0x7f800001
	v_and_b32_e32 v6, 0x7f, v10
	v_mov_b32_e32 v8, 0
	s_mov_b32 s2, exec_lo
	scratch_store_b64 off, v[7:8], s32 offset:1576 ; 8-byte Folded Spill
	v_cmpx_ne_u32_e32 0x7f, v6
	s_cbranch_execz .LBB287_3496
; %bb.3493:                             ;   in Loop: Header=BB287_2082 Depth=1
	v_and_b32_e32 v8, 7, v10
	v_lshrrev_b32_e32 v11, 3, v6
	v_cmp_gt_u32_e32 vcc_lo, 8, v6
	s_delay_alu instid0(VALU_DEP_3)
	v_dual_mov_b32 v6, v8 :: v_dual_mov_b32 v7, v9
	s_and_saveexec_b32 s3, vcc_lo
; %bb.3494:                             ;   in Loop: Header=BB287_2082 Depth=1
	v_clz_i32_u32_e32 v6, v8
	s_delay_alu instid0(VALU_DEP_1) | instskip(NEXT) | instid1(VALU_DEP_1)
	v_min_u32_e32 v11, 32, v6
	v_subrev_nc_u32_e32 v6, 28, v11
	v_sub_nc_u32_e32 v11, 29, v11
	s_delay_alu instid0(VALU_DEP_2) | instskip(NEXT) | instid1(VALU_DEP_1)
	v_lshlrev_b64 v[6:7], v6, v[8:9]
	v_and_b32_e32 v6, 7, v6
; %bb.3495:                             ;   in Loop: Header=BB287_2082 Depth=1
	s_or_b32 exec_lo, exec_lo, s3
	v_lshlrev_b32_e32 v7, 24, v10
	s_delay_alu instid0(VALU_DEP_2) | instskip(SKIP_1) | instid1(VALU_DEP_3)
	v_lshlrev_b32_e32 v6, 20, v6
	v_lshl_add_u32 v8, v11, 23, 0x3c000000
	v_and_b32_e32 v7, 0x80000000, v7
	s_delay_alu instid0(VALU_DEP_1)
	v_or3_b32 v8, v6, v7, v8
	scratch_store_b64 off, v[8:9], s32 offset:1576 ; 8-byte Folded Spill
.LBB287_3496:                           ;   in Loop: Header=BB287_2082 Depth=1
	s_or_b32 exec_lo, exec_lo, s2
.LBB287_3497:                           ;   in Loop: Header=BB287_2082 Depth=1
	s_delay_alu instid0(SALU_CYCLE_1)
	s_or_b32 exec_lo, exec_lo, s1
.LBB287_3498:                           ;   in Loop: Header=BB287_2082 Depth=1
	s_delay_alu instid0(SALU_CYCLE_1) | instskip(SKIP_2) | instid1(VALU_DEP_1)
	s_or_b32 exec_lo, exec_lo, s0
	v_lshrrev_b16 v6, 8, v10
	s_mov_b32 s0, exec_lo
	v_cmpx_ne_u16_e32 0, v6
	s_cbranch_execz .LBB287_3506
; %bb.3499:                             ;   in Loop: Header=BB287_2082 Depth=1
	v_dual_mov_b32 v133, s9 :: v_dual_mov_b32 v132, s8
	s_mov_b32 s1, exec_lo
	v_cmpx_ne_u16_e32 0x80, v6
	s_cbranch_execz .LBB287_3505
; %bb.3500:                             ;   in Loop: Header=BB287_2082 Depth=1
	s_mov_b32 s12, s8
	v_and_b32_e32 v7, 0xffff, v6
	v_dual_mov_b32 v133, s13 :: v_dual_mov_b32 v132, s12
	s_mov_b32 s2, exec_lo
	s_delay_alu instid0(VALU_DEP_2) | instskip(NEXT) | instid1(VALU_DEP_1)
	v_and_b32_e32 v6, 0x7f, v7
	v_cmpx_ne_u32_e32 0x7f, v6
	s_cbranch_execz .LBB287_3504
; %bb.3501:                             ;   in Loop: Header=BB287_2082 Depth=1
	v_and_b32_e32 v8, 7, v7
	v_lshrrev_b32_e32 v11, 3, v6
	v_cmp_gt_u32_e32 vcc_lo, 8, v6
	s_delay_alu instid0(VALU_DEP_3)
	v_dual_mov_b32 v6, v8 :: v_dual_mov_b32 v7, v9
	s_and_saveexec_b32 s3, vcc_lo
; %bb.3502:                             ;   in Loop: Header=BB287_2082 Depth=1
	v_clz_i32_u32_e32 v6, v8
	s_delay_alu instid0(VALU_DEP_1) | instskip(NEXT) | instid1(VALU_DEP_1)
	v_min_u32_e32 v11, 32, v6
	v_subrev_nc_u32_e32 v6, 28, v11
	v_sub_nc_u32_e32 v11, 29, v11
	s_delay_alu instid0(VALU_DEP_2) | instskip(NEXT) | instid1(VALU_DEP_1)
	v_lshlrev_b64 v[6:7], v6, v[8:9]
	v_and_b32_e32 v6, 7, v6
; %bb.3503:                             ;   in Loop: Header=BB287_2082 Depth=1
	s_or_b32 exec_lo, exec_lo, s3
	v_dual_mov_b32 v132, v9 :: v_dual_lshlrev_b32 v7, 16, v10
	s_delay_alu instid0(VALU_DEP_2) | instskip(SKIP_1) | instid1(VALU_DEP_3)
	v_lshlrev_b32_e32 v6, 20, v6
	v_lshl_add_u32 v8, v11, 23, 0x3c000000
	v_and_b32_e32 v7, 0x80000000, v7
	s_delay_alu instid0(VALU_DEP_1)
	v_or3_b32 v133, v6, v7, v8
.LBB287_3504:                           ;   in Loop: Header=BB287_2082 Depth=1
	s_or_b32 exec_lo, exec_lo, s2
.LBB287_3505:                           ;   in Loop: Header=BB287_2082 Depth=1
	s_delay_alu instid0(SALU_CYCLE_1)
	s_or_b32 exec_lo, exec_lo, s1
.LBB287_3506:                           ;   in Loop: Header=BB287_2082 Depth=1
	s_delay_alu instid0(SALU_CYCLE_1) | instskip(SKIP_4) | instid1(VALU_DEP_3)
	s_or_b32 exec_lo, exec_lo, s0
	v_lshrrev_b32_e32 v11, 16, v10
	v_mov_b32_e32 v148, 0
	v_mov_b32_e32 v149, 0
	s_mov_b32 s0, exec_lo
	v_and_b32_e32 v6, 0xff, v11
	scratch_store_b64 off, v[148:149], s32 offset:1584 ; 8-byte Folded Spill
	v_cmpx_ne_u16_e32 0, v6
	s_cbranch_execz .LBB287_3514
; %bb.3507:                             ;   in Loop: Header=BB287_2082 Depth=1
	v_cmp_ne_u16_e32 vcc_lo, 0x80, v6
	v_bfrev_b32_e32 v6, 1
	v_mov_b32_e32 v7, 0
	scratch_store_b64 off, v[6:7], s32 offset:1584 ; 8-byte Folded Spill
	s_and_saveexec_b32 s1, vcc_lo
	s_cbranch_execz .LBB287_3513
; %bb.3508:                             ;   in Loop: Header=BB287_2082 Depth=1
	v_mov_b32_e32 v7, 0x7f800001
	v_bfe_u32 v6, v10, 16, 7
	v_mov_b32_e32 v8, 0
	s_mov_b32 s2, exec_lo
	scratch_store_b64 off, v[7:8], s32 offset:1584 ; 8-byte Folded Spill
	v_cmpx_ne_u32_e32 0x7f, v6
	s_cbranch_execz .LBB287_3512
; %bb.3509:                             ;   in Loop: Header=BB287_2082 Depth=1
	v_and_b32_e32 v8, 7, v11
	v_lshrrev_b32_e32 v14, 3, v6
	v_cmp_gt_u32_e32 vcc_lo, 8, v6
	s_delay_alu instid0(VALU_DEP_3)
	v_dual_mov_b32 v6, v8 :: v_dual_mov_b32 v7, v9
	s_and_saveexec_b32 s3, vcc_lo
; %bb.3510:                             ;   in Loop: Header=BB287_2082 Depth=1
	v_clz_i32_u32_e32 v6, v8
	s_delay_alu instid0(VALU_DEP_1) | instskip(NEXT) | instid1(VALU_DEP_1)
	v_min_u32_e32 v14, 32, v6
	v_subrev_nc_u32_e32 v6, 28, v14
	v_sub_nc_u32_e32 v14, 29, v14
	s_delay_alu instid0(VALU_DEP_2) | instskip(NEXT) | instid1(VALU_DEP_1)
	v_lshlrev_b64 v[6:7], v6, v[8:9]
	v_and_b32_e32 v6, 7, v6
; %bb.3511:                             ;   in Loop: Header=BB287_2082 Depth=1
	s_or_b32 exec_lo, exec_lo, s3
	v_lshlrev_b32_e32 v7, 24, v11
	s_delay_alu instid0(VALU_DEP_2) | instskip(SKIP_1) | instid1(VALU_DEP_3)
	v_lshlrev_b32_e32 v6, 20, v6
	v_lshl_add_u32 v8, v14, 23, 0x3c000000
	v_and_b32_e32 v7, 0x80000000, v7
	s_delay_alu instid0(VALU_DEP_1)
	v_or3_b32 v8, v6, v7, v8
	scratch_store_b64 off, v[8:9], s32 offset:1584 ; 8-byte Folded Spill
.LBB287_3512:                           ;   in Loop: Header=BB287_2082 Depth=1
	s_or_b32 exec_lo, exec_lo, s2
.LBB287_3513:                           ;   in Loop: Header=BB287_2082 Depth=1
	s_delay_alu instid0(SALU_CYCLE_1)
	s_or_b32 exec_lo, exec_lo, s1
.LBB287_3514:                           ;   in Loop: Header=BB287_2082 Depth=1
	s_delay_alu instid0(SALU_CYCLE_1) | instskip(NEXT) | instid1(SALU_CYCLE_1)
	s_or_b32 exec_lo, exec_lo, s0
	s_mov_b32 s0, exec_lo
	v_cmpx_lt_u32_e32 0xffffff, v10
	s_cbranch_execz .LBB287_3522
; %bb.3515:                             ;   in Loop: Header=BB287_2082 Depth=1
	v_lshrrev_b32_e32 v11, 24, v10
	v_dual_mov_b32 v149, s9 :: v_dual_mov_b32 v148, s8
	s_mov_b32 s1, exec_lo
	s_delay_alu instid0(VALU_DEP_2)
	v_cmpx_ne_u32_e32 0x80, v11
	s_cbranch_execz .LBB287_3521
; %bb.3516:                             ;   in Loop: Header=BB287_2082 Depth=1
	s_mov_b32 s12, s8
	v_bfe_u32 v6, v10, 24, 7
	v_dual_mov_b32 v149, s13 :: v_dual_mov_b32 v148, s12
	s_mov_b32 s2, exec_lo
	s_delay_alu instid0(VALU_DEP_2)
	v_cmpx_ne_u32_e32 0x7f, v6
	s_cbranch_execz .LBB287_3520
; %bb.3517:                             ;   in Loop: Header=BB287_2082 Depth=1
	v_and_b32_e32 v8, 7, v11
	v_lshrrev_b32_e32 v10, 3, v6
	v_cmp_gt_u32_e32 vcc_lo, 8, v6
	s_delay_alu instid0(VALU_DEP_3)
	v_dual_mov_b32 v6, v8 :: v_dual_mov_b32 v7, v9
	s_and_saveexec_b32 s3, vcc_lo
; %bb.3518:                             ;   in Loop: Header=BB287_2082 Depth=1
	v_clz_i32_u32_e32 v6, v8
	s_delay_alu instid0(VALU_DEP_1) | instskip(NEXT) | instid1(VALU_DEP_1)
	v_min_u32_e32 v10, 32, v6
	v_subrev_nc_u32_e32 v6, 28, v10
	v_sub_nc_u32_e32 v10, 29, v10
	s_delay_alu instid0(VALU_DEP_2) | instskip(NEXT) | instid1(VALU_DEP_1)
	v_lshlrev_b64 v[6:7], v6, v[8:9]
	v_and_b32_e32 v6, 7, v6
; %bb.3519:                             ;   in Loop: Header=BB287_2082 Depth=1
	s_or_b32 exec_lo, exec_lo, s3
	v_dual_mov_b32 v148, v9 :: v_dual_lshlrev_b32 v7, 24, v11
	s_delay_alu instid0(VALU_DEP_2) | instskip(SKIP_1) | instid1(VALU_DEP_3)
	v_lshlrev_b32_e32 v6, 20, v6
	v_lshl_add_u32 v8, v10, 23, 0x3c000000
	v_and_b32_e32 v7, 0x80000000, v7
	s_delay_alu instid0(VALU_DEP_1)
	v_or3_b32 v149, v6, v7, v8
.LBB287_3520:                           ;   in Loop: Header=BB287_2082 Depth=1
	s_or_b32 exec_lo, exec_lo, s2
.LBB287_3521:                           ;   in Loop: Header=BB287_2082 Depth=1
	s_delay_alu instid0(SALU_CYCLE_1)
	s_or_b32 exec_lo, exec_lo, s1
.LBB287_3522:                           ;   in Loop: Header=BB287_2082 Depth=1
	s_delay_alu instid0(SALU_CYCLE_1)
	s_or_b32 exec_lo, exec_lo, s0
	scratch_load_b32 v6, off, s32 offset:2596 ; 4-byte Folded Reload
	v_mov_b32_e32 v166, 0
	s_mov_b32 s0, exec_lo
	s_waitcnt vmcnt(0)
	v_add_co_u32 v6, vcc_lo, v162, v6
	v_add_co_ci_u32_e32 v7, vcc_lo, 0, v163, vcc_lo
	flat_load_b32 v10, v[6:7]
	s_waitcnt vmcnt(0) lgkmcnt(0)
	v_dual_mov_b32 v167, 0 :: v_dual_and_b32 v6, 0xff, v10
	s_delay_alu instid0(VALU_DEP_1) | instskip(NEXT) | instid1(VALU_DEP_2)
	v_dual_mov_b32 v104, v166 :: v_dual_mov_b32 v105, v167
	v_cmpx_ne_u16_e32 0, v6
	s_cbranch_execz .LBB287_3530
; %bb.3523:                             ;   in Loop: Header=BB287_2082 Depth=1
	v_bfrev_b32_e32 v104, 1
	v_mov_b32_e32 v105, 0
	s_mov_b32 s1, exec_lo
	v_cmpx_ne_u16_e32 0x80, v6
	s_cbranch_execz .LBB287_3529
; %bb.3524:                             ;   in Loop: Header=BB287_2082 Depth=1
	v_mov_b32_e32 v104, 0x7f800001
	v_dual_mov_b32 v105, 0 :: v_dual_and_b32 v6, 0x7f, v10
	s_mov_b32 s2, exec_lo
	s_delay_alu instid0(VALU_DEP_1)
	v_cmpx_ne_u32_e32 0x7f, v6
	s_cbranch_execz .LBB287_3528
; %bb.3525:                             ;   in Loop: Header=BB287_2082 Depth=1
	v_and_b32_e32 v8, 7, v10
	v_lshrrev_b32_e32 v11, 3, v6
	v_cmp_gt_u32_e32 vcc_lo, 8, v6
	s_delay_alu instid0(VALU_DEP_3)
	v_dual_mov_b32 v6, v8 :: v_dual_mov_b32 v7, v9
	s_and_saveexec_b32 s3, vcc_lo
; %bb.3526:                             ;   in Loop: Header=BB287_2082 Depth=1
	v_clz_i32_u32_e32 v6, v8
	s_delay_alu instid0(VALU_DEP_1) | instskip(NEXT) | instid1(VALU_DEP_1)
	v_min_u32_e32 v11, 32, v6
	v_subrev_nc_u32_e32 v6, 28, v11
	v_sub_nc_u32_e32 v11, 29, v11
	s_delay_alu instid0(VALU_DEP_2) | instskip(NEXT) | instid1(VALU_DEP_1)
	v_lshlrev_b64 v[6:7], v6, v[8:9]
	v_and_b32_e32 v6, 7, v6
; %bb.3527:                             ;   in Loop: Header=BB287_2082 Depth=1
	s_or_b32 exec_lo, exec_lo, s3
	v_lshlrev_b32_e32 v7, 24, v10
	s_delay_alu instid0(VALU_DEP_2) | instskip(SKIP_1) | instid1(VALU_DEP_3)
	v_lshlrev_b32_e32 v6, 20, v6
	v_lshl_add_u32 v8, v11, 23, 0x3c000000
	v_and_b32_e32 v7, 0x80000000, v7
	s_delay_alu instid0(VALU_DEP_1) | instskip(NEXT) | instid1(VALU_DEP_1)
	v_or3_b32 v8, v6, v7, v8
	v_dual_mov_b32 v105, v9 :: v_dual_mov_b32 v104, v8
.LBB287_3528:                           ;   in Loop: Header=BB287_2082 Depth=1
	s_or_b32 exec_lo, exec_lo, s2
.LBB287_3529:                           ;   in Loop: Header=BB287_2082 Depth=1
	s_delay_alu instid0(SALU_CYCLE_1)
	s_or_b32 exec_lo, exec_lo, s1
.LBB287_3530:                           ;   in Loop: Header=BB287_2082 Depth=1
	s_delay_alu instid0(SALU_CYCLE_1) | instskip(SKIP_2) | instid1(VALU_DEP_1)
	s_or_b32 exec_lo, exec_lo, s0
	v_lshrrev_b16 v6, 8, v10
	s_mov_b32 s0, exec_lo
	v_cmpx_ne_u16_e32 0, v6
	s_cbranch_execz .LBB287_3538
; %bb.3531:                             ;   in Loop: Header=BB287_2082 Depth=1
	v_dual_mov_b32 v167, s9 :: v_dual_mov_b32 v166, s8
	s_mov_b32 s1, exec_lo
	v_cmpx_ne_u16_e32 0x80, v6
	s_cbranch_execz .LBB287_3537
; %bb.3532:                             ;   in Loop: Header=BB287_2082 Depth=1
	s_mov_b32 s12, s8
	v_and_b32_e32 v7, 0xffff, v6
	v_dual_mov_b32 v167, s13 :: v_dual_mov_b32 v166, s12
	s_mov_b32 s2, exec_lo
	s_delay_alu instid0(VALU_DEP_2) | instskip(NEXT) | instid1(VALU_DEP_1)
	v_and_b32_e32 v6, 0x7f, v7
	v_cmpx_ne_u32_e32 0x7f, v6
	s_cbranch_execz .LBB287_3536
; %bb.3533:                             ;   in Loop: Header=BB287_2082 Depth=1
	v_and_b32_e32 v8, 7, v7
	v_lshrrev_b32_e32 v11, 3, v6
	v_cmp_gt_u32_e32 vcc_lo, 8, v6
	s_delay_alu instid0(VALU_DEP_3)
	v_dual_mov_b32 v6, v8 :: v_dual_mov_b32 v7, v9
	s_and_saveexec_b32 s3, vcc_lo
; %bb.3534:                             ;   in Loop: Header=BB287_2082 Depth=1
	v_clz_i32_u32_e32 v6, v8
	s_delay_alu instid0(VALU_DEP_1) | instskip(NEXT) | instid1(VALU_DEP_1)
	v_min_u32_e32 v11, 32, v6
	v_subrev_nc_u32_e32 v6, 28, v11
	v_sub_nc_u32_e32 v11, 29, v11
	s_delay_alu instid0(VALU_DEP_2) | instskip(NEXT) | instid1(VALU_DEP_1)
	v_lshlrev_b64 v[6:7], v6, v[8:9]
	v_and_b32_e32 v6, 7, v6
; %bb.3535:                             ;   in Loop: Header=BB287_2082 Depth=1
	s_or_b32 exec_lo, exec_lo, s3
	v_dual_mov_b32 v166, v9 :: v_dual_lshlrev_b32 v7, 16, v10
	s_delay_alu instid0(VALU_DEP_2) | instskip(SKIP_1) | instid1(VALU_DEP_3)
	v_lshlrev_b32_e32 v6, 20, v6
	v_lshl_add_u32 v8, v11, 23, 0x3c000000
	v_and_b32_e32 v7, 0x80000000, v7
	s_delay_alu instid0(VALU_DEP_1)
	v_or3_b32 v167, v6, v7, v8
.LBB287_3536:                           ;   in Loop: Header=BB287_2082 Depth=1
	s_or_b32 exec_lo, exec_lo, s2
.LBB287_3537:                           ;   in Loop: Header=BB287_2082 Depth=1
	s_delay_alu instid0(SALU_CYCLE_1)
	s_or_b32 exec_lo, exec_lo, s1
.LBB287_3538:                           ;   in Loop: Header=BB287_2082 Depth=1
	s_delay_alu instid0(SALU_CYCLE_1) | instskip(SKIP_4) | instid1(VALU_DEP_1)
	s_or_b32 exec_lo, exec_lo, s0
	v_mov_b32_e32 v14, 0
	v_lshrrev_b32_e32 v11, 16, v10
	v_mov_b32_e32 v15, 0
	s_mov_b32 s0, exec_lo
	v_dual_mov_b32 v109, v15 :: v_dual_and_b32 v6, 0xff, v11
	v_mov_b32_e32 v108, v14
	s_delay_alu instid0(VALU_DEP_2)
	v_cmpx_ne_u16_e32 0, v6
	s_cbranch_execz .LBB287_3546
; %bb.3539:                             ;   in Loop: Header=BB287_2082 Depth=1
	v_bfrev_b32_e32 v108, 1
	v_mov_b32_e32 v109, 0
	s_mov_b32 s1, exec_lo
	v_cmpx_ne_u16_e32 0x80, v6
	s_cbranch_execz .LBB287_3545
; %bb.3540:                             ;   in Loop: Header=BB287_2082 Depth=1
	v_mov_b32_e32 v108, 0x7f800001
	v_bfe_u32 v6, v10, 16, 7
	v_mov_b32_e32 v109, 0
	s_mov_b32 s2, exec_lo
	s_delay_alu instid0(VALU_DEP_2)
	v_cmpx_ne_u32_e32 0x7f, v6
	s_cbranch_execz .LBB287_3544
; %bb.3541:                             ;   in Loop: Header=BB287_2082 Depth=1
	v_and_b32_e32 v8, 7, v11
	v_lshrrev_b32_e32 v16, 3, v6
	v_cmp_gt_u32_e32 vcc_lo, 8, v6
	s_delay_alu instid0(VALU_DEP_3)
	v_dual_mov_b32 v6, v8 :: v_dual_mov_b32 v7, v9
	s_and_saveexec_b32 s3, vcc_lo
; %bb.3542:                             ;   in Loop: Header=BB287_2082 Depth=1
	v_clz_i32_u32_e32 v6, v8
	s_delay_alu instid0(VALU_DEP_1) | instskip(NEXT) | instid1(VALU_DEP_1)
	v_min_u32_e32 v16, 32, v6
	v_subrev_nc_u32_e32 v6, 28, v16
	v_sub_nc_u32_e32 v16, 29, v16
	s_delay_alu instid0(VALU_DEP_2) | instskip(NEXT) | instid1(VALU_DEP_1)
	v_lshlrev_b64 v[6:7], v6, v[8:9]
	v_and_b32_e32 v6, 7, v6
; %bb.3543:                             ;   in Loop: Header=BB287_2082 Depth=1
	s_or_b32 exec_lo, exec_lo, s3
	v_lshlrev_b32_e32 v7, 24, v11
	s_delay_alu instid0(VALU_DEP_2) | instskip(SKIP_1) | instid1(VALU_DEP_3)
	v_lshlrev_b32_e32 v6, 20, v6
	v_lshl_add_u32 v8, v16, 23, 0x3c000000
	v_and_b32_e32 v7, 0x80000000, v7
	s_delay_alu instid0(VALU_DEP_1) | instskip(NEXT) | instid1(VALU_DEP_1)
	v_or3_b32 v8, v6, v7, v8
	v_dual_mov_b32 v109, v9 :: v_dual_mov_b32 v108, v8
.LBB287_3544:                           ;   in Loop: Header=BB287_2082 Depth=1
	s_or_b32 exec_lo, exec_lo, s2
.LBB287_3545:                           ;   in Loop: Header=BB287_2082 Depth=1
	s_delay_alu instid0(SALU_CYCLE_1)
	s_or_b32 exec_lo, exec_lo, s1
.LBB287_3546:                           ;   in Loop: Header=BB287_2082 Depth=1
	s_delay_alu instid0(SALU_CYCLE_1) | instskip(NEXT) | instid1(SALU_CYCLE_1)
	s_or_b32 exec_lo, exec_lo, s0
	s_mov_b32 s0, exec_lo
	v_cmpx_lt_u32_e32 0xffffff, v10
	s_cbranch_execz .LBB287_3554
; %bb.3547:                             ;   in Loop: Header=BB287_2082 Depth=1
	v_lshrrev_b32_e32 v11, 24, v10
	v_dual_mov_b32 v15, s9 :: v_dual_mov_b32 v14, s8
	s_mov_b32 s1, exec_lo
	s_delay_alu instid0(VALU_DEP_2)
	v_cmpx_ne_u32_e32 0x80, v11
	s_cbranch_execz .LBB287_3553
; %bb.3548:                             ;   in Loop: Header=BB287_2082 Depth=1
	s_mov_b32 s12, s8
	v_bfe_u32 v6, v10, 24, 7
	v_dual_mov_b32 v15, s13 :: v_dual_mov_b32 v14, s12
	s_mov_b32 s2, exec_lo
	s_delay_alu instid0(VALU_DEP_2)
	v_cmpx_ne_u32_e32 0x7f, v6
	s_cbranch_execz .LBB287_3552
; %bb.3549:                             ;   in Loop: Header=BB287_2082 Depth=1
	v_and_b32_e32 v8, 7, v11
	v_lshrrev_b32_e32 v10, 3, v6
	v_cmp_gt_u32_e32 vcc_lo, 8, v6
	s_delay_alu instid0(VALU_DEP_3)
	v_dual_mov_b32 v6, v8 :: v_dual_mov_b32 v7, v9
	s_and_saveexec_b32 s3, vcc_lo
; %bb.3550:                             ;   in Loop: Header=BB287_2082 Depth=1
	v_clz_i32_u32_e32 v6, v8
	s_delay_alu instid0(VALU_DEP_1) | instskip(NEXT) | instid1(VALU_DEP_1)
	v_min_u32_e32 v10, 32, v6
	v_subrev_nc_u32_e32 v6, 28, v10
	v_sub_nc_u32_e32 v10, 29, v10
	s_delay_alu instid0(VALU_DEP_2) | instskip(NEXT) | instid1(VALU_DEP_1)
	v_lshlrev_b64 v[6:7], v6, v[8:9]
	v_and_b32_e32 v6, 7, v6
; %bb.3551:                             ;   in Loop: Header=BB287_2082 Depth=1
	s_or_b32 exec_lo, exec_lo, s3
	v_dual_mov_b32 v14, v9 :: v_dual_lshlrev_b32 v7, 24, v11
	s_delay_alu instid0(VALU_DEP_2) | instskip(SKIP_1) | instid1(VALU_DEP_3)
	v_lshlrev_b32_e32 v6, 20, v6
	v_lshl_add_u32 v8, v10, 23, 0x3c000000
	v_and_b32_e32 v7, 0x80000000, v7
	s_delay_alu instid0(VALU_DEP_1)
	v_or3_b32 v15, v6, v7, v8
.LBB287_3552:                           ;   in Loop: Header=BB287_2082 Depth=1
	s_or_b32 exec_lo, exec_lo, s2
.LBB287_3553:                           ;   in Loop: Header=BB287_2082 Depth=1
	s_delay_alu instid0(SALU_CYCLE_1)
	s_or_b32 exec_lo, exec_lo, s1
.LBB287_3554:                           ;   in Loop: Header=BB287_2082 Depth=1
	s_delay_alu instid0(SALU_CYCLE_1)
	s_or_b32 exec_lo, exec_lo, s0
	scratch_load_b32 v6, off, s32 offset:2612 ; 4-byte Folded Reload
	v_mov_b32_e32 v120, 0
	s_mov_b32 s0, exec_lo
	s_waitcnt vmcnt(0)
	v_add_co_u32 v6, vcc_lo, v162, v6
	v_add_co_ci_u32_e32 v7, vcc_lo, 0, v163, vcc_lo
	flat_load_b32 v10, v[6:7]
	s_waitcnt vmcnt(0) lgkmcnt(0)
	v_dual_mov_b32 v121, 0 :: v_dual_and_b32 v6, 0xff, v10
	s_delay_alu instid0(VALU_DEP_1) | instskip(NEXT) | instid1(VALU_DEP_2)
	v_dual_mov_b32 v155, v121 :: v_dual_mov_b32 v154, v120
	v_cmpx_ne_u16_e32 0, v6
	s_cbranch_execz .LBB287_3562
; %bb.3555:                             ;   in Loop: Header=BB287_2082 Depth=1
	v_bfrev_b32_e32 v154, 1
	v_mov_b32_e32 v155, 0
	s_mov_b32 s1, exec_lo
	v_cmpx_ne_u16_e32 0x80, v6
	s_cbranch_execz .LBB287_3561
; %bb.3556:                             ;   in Loop: Header=BB287_2082 Depth=1
	v_mov_b32_e32 v154, 0x7f800001
	v_dual_mov_b32 v155, 0 :: v_dual_and_b32 v6, 0x7f, v10
	s_mov_b32 s2, exec_lo
	s_delay_alu instid0(VALU_DEP_1)
	v_cmpx_ne_u32_e32 0x7f, v6
	s_cbranch_execz .LBB287_3560
; %bb.3557:                             ;   in Loop: Header=BB287_2082 Depth=1
	v_and_b32_e32 v8, 7, v10
	v_lshrrev_b32_e32 v11, 3, v6
	v_cmp_gt_u32_e32 vcc_lo, 8, v6
	s_delay_alu instid0(VALU_DEP_3)
	v_dual_mov_b32 v6, v8 :: v_dual_mov_b32 v7, v9
	s_and_saveexec_b32 s3, vcc_lo
; %bb.3558:                             ;   in Loop: Header=BB287_2082 Depth=1
	v_clz_i32_u32_e32 v6, v8
	s_delay_alu instid0(VALU_DEP_1) | instskip(NEXT) | instid1(VALU_DEP_1)
	v_min_u32_e32 v11, 32, v6
	v_subrev_nc_u32_e32 v6, 28, v11
	v_sub_nc_u32_e32 v11, 29, v11
	s_delay_alu instid0(VALU_DEP_2) | instskip(NEXT) | instid1(VALU_DEP_1)
	v_lshlrev_b64 v[6:7], v6, v[8:9]
	v_and_b32_e32 v6, 7, v6
; %bb.3559:                             ;   in Loop: Header=BB287_2082 Depth=1
	s_or_b32 exec_lo, exec_lo, s3
	v_lshlrev_b32_e32 v7, 24, v10
	s_delay_alu instid0(VALU_DEP_2) | instskip(SKIP_1) | instid1(VALU_DEP_3)
	v_lshlrev_b32_e32 v6, 20, v6
	v_lshl_add_u32 v8, v11, 23, 0x3c000000
	v_and_b32_e32 v7, 0x80000000, v7
	s_delay_alu instid0(VALU_DEP_1) | instskip(NEXT) | instid1(VALU_DEP_1)
	v_or3_b32 v8, v6, v7, v8
	v_dual_mov_b32 v155, v9 :: v_dual_mov_b32 v154, v8
.LBB287_3560:                           ;   in Loop: Header=BB287_2082 Depth=1
	s_or_b32 exec_lo, exec_lo, s2
.LBB287_3561:                           ;   in Loop: Header=BB287_2082 Depth=1
	s_delay_alu instid0(SALU_CYCLE_1)
	s_or_b32 exec_lo, exec_lo, s1
.LBB287_3562:                           ;   in Loop: Header=BB287_2082 Depth=1
	s_delay_alu instid0(SALU_CYCLE_1) | instskip(SKIP_2) | instid1(VALU_DEP_1)
	s_or_b32 exec_lo, exec_lo, s0
	v_lshrrev_b16 v6, 8, v10
	s_mov_b32 s0, exec_lo
	v_cmpx_ne_u16_e32 0, v6
	s_cbranch_execz .LBB287_3570
; %bb.3563:                             ;   in Loop: Header=BB287_2082 Depth=1
	v_dual_mov_b32 v121, s9 :: v_dual_mov_b32 v120, s8
	s_mov_b32 s1, exec_lo
	v_cmpx_ne_u16_e32 0x80, v6
	s_cbranch_execz .LBB287_3569
; %bb.3564:                             ;   in Loop: Header=BB287_2082 Depth=1
	s_mov_b32 s12, s8
	v_and_b32_e32 v7, 0xffff, v6
	v_dual_mov_b32 v121, s13 :: v_dual_mov_b32 v120, s12
	s_mov_b32 s2, exec_lo
	s_delay_alu instid0(VALU_DEP_2) | instskip(NEXT) | instid1(VALU_DEP_1)
	v_and_b32_e32 v6, 0x7f, v7
	v_cmpx_ne_u32_e32 0x7f, v6
	s_cbranch_execz .LBB287_3568
; %bb.3565:                             ;   in Loop: Header=BB287_2082 Depth=1
	v_and_b32_e32 v8, 7, v7
	v_lshrrev_b32_e32 v11, 3, v6
	v_cmp_gt_u32_e32 vcc_lo, 8, v6
	s_delay_alu instid0(VALU_DEP_3)
	v_dual_mov_b32 v6, v8 :: v_dual_mov_b32 v7, v9
	s_and_saveexec_b32 s3, vcc_lo
; %bb.3566:                             ;   in Loop: Header=BB287_2082 Depth=1
	v_clz_i32_u32_e32 v6, v8
	s_delay_alu instid0(VALU_DEP_1) | instskip(NEXT) | instid1(VALU_DEP_1)
	v_min_u32_e32 v11, 32, v6
	v_subrev_nc_u32_e32 v6, 28, v11
	v_sub_nc_u32_e32 v11, 29, v11
	s_delay_alu instid0(VALU_DEP_2) | instskip(NEXT) | instid1(VALU_DEP_1)
	v_lshlrev_b64 v[6:7], v6, v[8:9]
	v_and_b32_e32 v6, 7, v6
; %bb.3567:                             ;   in Loop: Header=BB287_2082 Depth=1
	s_or_b32 exec_lo, exec_lo, s3
	v_dual_mov_b32 v120, v9 :: v_dual_lshlrev_b32 v7, 16, v10
	s_delay_alu instid0(VALU_DEP_2) | instskip(SKIP_1) | instid1(VALU_DEP_3)
	v_lshlrev_b32_e32 v6, 20, v6
	v_lshl_add_u32 v8, v11, 23, 0x3c000000
	v_and_b32_e32 v7, 0x80000000, v7
	s_delay_alu instid0(VALU_DEP_1)
	v_or3_b32 v121, v6, v7, v8
.LBB287_3568:                           ;   in Loop: Header=BB287_2082 Depth=1
	s_or_b32 exec_lo, exec_lo, s2
.LBB287_3569:                           ;   in Loop: Header=BB287_2082 Depth=1
	s_delay_alu instid0(SALU_CYCLE_1)
	s_or_b32 exec_lo, exec_lo, s1
.LBB287_3570:                           ;   in Loop: Header=BB287_2082 Depth=1
	s_delay_alu instid0(SALU_CYCLE_1) | instskip(SKIP_4) | instid1(VALU_DEP_2)
	s_or_b32 exec_lo, exec_lo, s0
	v_mov_b32_e32 v124, 0
	v_lshrrev_b32_e32 v11, 16, v10
	v_mov_b32_e32 v125, 0
	s_mov_b32 s0, exec_lo
	v_and_b32_e32 v6, 0xff, v11
	s_delay_alu instid0(VALU_DEP_2) | instskip(NEXT) | instid1(VALU_DEP_2)
	v_dual_mov_b32 v22, v124 :: v_dual_mov_b32 v23, v125
	v_cmpx_ne_u16_e32 0, v6
	s_cbranch_execz .LBB287_3578
; %bb.3571:                             ;   in Loop: Header=BB287_2082 Depth=1
	v_bfrev_b32_e32 v22, 1
	v_mov_b32_e32 v23, 0
	s_mov_b32 s1, exec_lo
	v_cmpx_ne_u16_e32 0x80, v6
	s_cbranch_execz .LBB287_3577
; %bb.3572:                             ;   in Loop: Header=BB287_2082 Depth=1
	v_mov_b32_e32 v22, 0x7f800001
	v_bfe_u32 v6, v10, 16, 7
	v_mov_b32_e32 v23, 0
	s_mov_b32 s2, exec_lo
	s_delay_alu instid0(VALU_DEP_2)
	v_cmpx_ne_u32_e32 0x7f, v6
	s_cbranch_execz .LBB287_3576
; %bb.3573:                             ;   in Loop: Header=BB287_2082 Depth=1
	v_and_b32_e32 v8, 7, v11
	v_lshrrev_b32_e32 v16, 3, v6
	v_cmp_gt_u32_e32 vcc_lo, 8, v6
	s_delay_alu instid0(VALU_DEP_3)
	v_dual_mov_b32 v6, v8 :: v_dual_mov_b32 v7, v9
	s_and_saveexec_b32 s3, vcc_lo
; %bb.3574:                             ;   in Loop: Header=BB287_2082 Depth=1
	v_clz_i32_u32_e32 v6, v8
	s_delay_alu instid0(VALU_DEP_1) | instskip(NEXT) | instid1(VALU_DEP_1)
	v_min_u32_e32 v16, 32, v6
	v_subrev_nc_u32_e32 v6, 28, v16
	v_sub_nc_u32_e32 v16, 29, v16
	s_delay_alu instid0(VALU_DEP_2) | instskip(NEXT) | instid1(VALU_DEP_1)
	v_lshlrev_b64 v[6:7], v6, v[8:9]
	v_and_b32_e32 v6, 7, v6
; %bb.3575:                             ;   in Loop: Header=BB287_2082 Depth=1
	s_or_b32 exec_lo, exec_lo, s3
	v_lshlrev_b32_e32 v7, 24, v11
	s_delay_alu instid0(VALU_DEP_2) | instskip(SKIP_1) | instid1(VALU_DEP_3)
	v_lshlrev_b32_e32 v6, 20, v6
	v_lshl_add_u32 v8, v16, 23, 0x3c000000
	v_and_b32_e32 v7, 0x80000000, v7
	s_delay_alu instid0(VALU_DEP_1) | instskip(NEXT) | instid1(VALU_DEP_1)
	v_or3_b32 v8, v6, v7, v8
	v_dual_mov_b32 v23, v9 :: v_dual_mov_b32 v22, v8
.LBB287_3576:                           ;   in Loop: Header=BB287_2082 Depth=1
	s_or_b32 exec_lo, exec_lo, s2
.LBB287_3577:                           ;   in Loop: Header=BB287_2082 Depth=1
	s_delay_alu instid0(SALU_CYCLE_1)
	s_or_b32 exec_lo, exec_lo, s1
.LBB287_3578:                           ;   in Loop: Header=BB287_2082 Depth=1
	s_delay_alu instid0(SALU_CYCLE_1) | instskip(NEXT) | instid1(SALU_CYCLE_1)
	s_or_b32 exec_lo, exec_lo, s0
	s_mov_b32 s0, exec_lo
	v_cmpx_lt_u32_e32 0xffffff, v10
	s_cbranch_execz .LBB287_3586
; %bb.3579:                             ;   in Loop: Header=BB287_2082 Depth=1
	v_lshrrev_b32_e32 v11, 24, v10
	v_dual_mov_b32 v125, s9 :: v_dual_mov_b32 v124, s8
	s_mov_b32 s1, exec_lo
	s_delay_alu instid0(VALU_DEP_2)
	v_cmpx_ne_u32_e32 0x80, v11
	s_cbranch_execz .LBB287_3585
; %bb.3580:                             ;   in Loop: Header=BB287_2082 Depth=1
	s_mov_b32 s12, s8
	v_bfe_u32 v6, v10, 24, 7
	v_dual_mov_b32 v125, s13 :: v_dual_mov_b32 v124, s12
	s_mov_b32 s2, exec_lo
	s_delay_alu instid0(VALU_DEP_2)
	v_cmpx_ne_u32_e32 0x7f, v6
	s_cbranch_execz .LBB287_3584
; %bb.3581:                             ;   in Loop: Header=BB287_2082 Depth=1
	v_and_b32_e32 v8, 7, v11
	v_lshrrev_b32_e32 v10, 3, v6
	v_cmp_gt_u32_e32 vcc_lo, 8, v6
	s_delay_alu instid0(VALU_DEP_3)
	v_dual_mov_b32 v6, v8 :: v_dual_mov_b32 v7, v9
	s_and_saveexec_b32 s3, vcc_lo
; %bb.3582:                             ;   in Loop: Header=BB287_2082 Depth=1
	v_clz_i32_u32_e32 v6, v8
	s_delay_alu instid0(VALU_DEP_1) | instskip(NEXT) | instid1(VALU_DEP_1)
	v_min_u32_e32 v10, 32, v6
	v_subrev_nc_u32_e32 v6, 28, v10
	v_sub_nc_u32_e32 v10, 29, v10
	s_delay_alu instid0(VALU_DEP_2) | instskip(NEXT) | instid1(VALU_DEP_1)
	v_lshlrev_b64 v[6:7], v6, v[8:9]
	v_and_b32_e32 v6, 7, v6
; %bb.3583:                             ;   in Loop: Header=BB287_2082 Depth=1
	s_or_b32 exec_lo, exec_lo, s3
	v_dual_mov_b32 v124, v9 :: v_dual_lshlrev_b32 v7, 24, v11
	s_delay_alu instid0(VALU_DEP_2) | instskip(SKIP_1) | instid1(VALU_DEP_3)
	v_lshlrev_b32_e32 v6, 20, v6
	v_lshl_add_u32 v8, v10, 23, 0x3c000000
	v_and_b32_e32 v7, 0x80000000, v7
	s_delay_alu instid0(VALU_DEP_1)
	v_or3_b32 v125, v6, v7, v8
.LBB287_3584:                           ;   in Loop: Header=BB287_2082 Depth=1
	s_or_b32 exec_lo, exec_lo, s2
.LBB287_3585:                           ;   in Loop: Header=BB287_2082 Depth=1
	s_delay_alu instid0(SALU_CYCLE_1)
	s_or_b32 exec_lo, exec_lo, s1
.LBB287_3586:                           ;   in Loop: Header=BB287_2082 Depth=1
	s_delay_alu instid0(SALU_CYCLE_1)
	s_or_b32 exec_lo, exec_lo, s0
	scratch_load_b32 v6, off, s32 offset:2628 ; 4-byte Folded Reload
	v_mov_b32_e32 v136, 0
	s_mov_b32 s0, exec_lo
	s_waitcnt vmcnt(0)
	v_add_co_u32 v6, vcc_lo, v162, v6
	v_add_co_ci_u32_e32 v7, vcc_lo, 0, v163, vcc_lo
	flat_load_b32 v10, v[6:7]
	s_waitcnt vmcnt(0) lgkmcnt(0)
	v_dual_mov_b32 v137, 0 :: v_dual_and_b32 v6, 0xff, v10
	s_delay_alu instid0(VALU_DEP_1) | instskip(NEXT) | instid1(VALU_DEP_2)
	v_dual_mov_b32 v80, v136 :: v_dual_mov_b32 v81, v137
	v_cmpx_ne_u16_e32 0, v6
	s_cbranch_execz .LBB287_3594
; %bb.3587:                             ;   in Loop: Header=BB287_2082 Depth=1
	v_bfrev_b32_e32 v80, 1
	v_mov_b32_e32 v81, 0
	s_mov_b32 s1, exec_lo
	v_cmpx_ne_u16_e32 0x80, v6
	s_cbranch_execz .LBB287_3593
; %bb.3588:                             ;   in Loop: Header=BB287_2082 Depth=1
	v_mov_b32_e32 v80, 0x7f800001
	v_dual_mov_b32 v81, 0 :: v_dual_and_b32 v6, 0x7f, v10
	s_mov_b32 s2, exec_lo
	s_delay_alu instid0(VALU_DEP_1)
	v_cmpx_ne_u32_e32 0x7f, v6
	s_cbranch_execz .LBB287_3592
; %bb.3589:                             ;   in Loop: Header=BB287_2082 Depth=1
	v_and_b32_e32 v8, 7, v10
	v_lshrrev_b32_e32 v11, 3, v6
	v_cmp_gt_u32_e32 vcc_lo, 8, v6
	s_delay_alu instid0(VALU_DEP_3)
	v_dual_mov_b32 v6, v8 :: v_dual_mov_b32 v7, v9
	s_and_saveexec_b32 s3, vcc_lo
; %bb.3590:                             ;   in Loop: Header=BB287_2082 Depth=1
	v_clz_i32_u32_e32 v6, v8
	s_delay_alu instid0(VALU_DEP_1) | instskip(NEXT) | instid1(VALU_DEP_1)
	v_min_u32_e32 v11, 32, v6
	v_subrev_nc_u32_e32 v6, 28, v11
	v_sub_nc_u32_e32 v11, 29, v11
	s_delay_alu instid0(VALU_DEP_2) | instskip(NEXT) | instid1(VALU_DEP_1)
	v_lshlrev_b64 v[6:7], v6, v[8:9]
	v_and_b32_e32 v6, 7, v6
; %bb.3591:                             ;   in Loop: Header=BB287_2082 Depth=1
	s_or_b32 exec_lo, exec_lo, s3
	v_lshlrev_b32_e32 v7, 24, v10
	s_delay_alu instid0(VALU_DEP_2) | instskip(SKIP_1) | instid1(VALU_DEP_3)
	v_lshlrev_b32_e32 v6, 20, v6
	v_lshl_add_u32 v8, v11, 23, 0x3c000000
	v_and_b32_e32 v7, 0x80000000, v7
	s_delay_alu instid0(VALU_DEP_1) | instskip(NEXT) | instid1(VALU_DEP_1)
	v_or3_b32 v8, v6, v7, v8
	v_dual_mov_b32 v81, v9 :: v_dual_mov_b32 v80, v8
.LBB287_3592:                           ;   in Loop: Header=BB287_2082 Depth=1
	s_or_b32 exec_lo, exec_lo, s2
.LBB287_3593:                           ;   in Loop: Header=BB287_2082 Depth=1
	s_delay_alu instid0(SALU_CYCLE_1)
	s_or_b32 exec_lo, exec_lo, s1
.LBB287_3594:                           ;   in Loop: Header=BB287_2082 Depth=1
	s_delay_alu instid0(SALU_CYCLE_1) | instskip(SKIP_2) | instid1(VALU_DEP_1)
	s_or_b32 exec_lo, exec_lo, s0
	v_lshrrev_b16 v6, 8, v10
	s_mov_b32 s0, exec_lo
	v_cmpx_ne_u16_e32 0, v6
	s_cbranch_execz .LBB287_3602
; %bb.3595:                             ;   in Loop: Header=BB287_2082 Depth=1
	v_dual_mov_b32 v137, s9 :: v_dual_mov_b32 v136, s8
	s_mov_b32 s1, exec_lo
	v_cmpx_ne_u16_e32 0x80, v6
	s_cbranch_execz .LBB287_3601
; %bb.3596:                             ;   in Loop: Header=BB287_2082 Depth=1
	s_mov_b32 s12, s8
	v_and_b32_e32 v7, 0xffff, v6
	v_dual_mov_b32 v137, s13 :: v_dual_mov_b32 v136, s12
	s_mov_b32 s2, exec_lo
	s_delay_alu instid0(VALU_DEP_2) | instskip(NEXT) | instid1(VALU_DEP_1)
	v_and_b32_e32 v6, 0x7f, v7
	v_cmpx_ne_u32_e32 0x7f, v6
	s_cbranch_execz .LBB287_3600
; %bb.3597:                             ;   in Loop: Header=BB287_2082 Depth=1
	v_and_b32_e32 v8, 7, v7
	v_lshrrev_b32_e32 v11, 3, v6
	v_cmp_gt_u32_e32 vcc_lo, 8, v6
	s_delay_alu instid0(VALU_DEP_3)
	v_dual_mov_b32 v6, v8 :: v_dual_mov_b32 v7, v9
	s_and_saveexec_b32 s3, vcc_lo
; %bb.3598:                             ;   in Loop: Header=BB287_2082 Depth=1
	v_clz_i32_u32_e32 v6, v8
	s_delay_alu instid0(VALU_DEP_1) | instskip(NEXT) | instid1(VALU_DEP_1)
	v_min_u32_e32 v11, 32, v6
	v_subrev_nc_u32_e32 v6, 28, v11
	v_sub_nc_u32_e32 v11, 29, v11
	s_delay_alu instid0(VALU_DEP_2) | instskip(NEXT) | instid1(VALU_DEP_1)
	v_lshlrev_b64 v[6:7], v6, v[8:9]
	v_and_b32_e32 v6, 7, v6
; %bb.3599:                             ;   in Loop: Header=BB287_2082 Depth=1
	s_or_b32 exec_lo, exec_lo, s3
	v_dual_mov_b32 v136, v9 :: v_dual_lshlrev_b32 v7, 16, v10
	s_delay_alu instid0(VALU_DEP_2) | instskip(SKIP_1) | instid1(VALU_DEP_3)
	v_lshlrev_b32_e32 v6, 20, v6
	v_lshl_add_u32 v8, v11, 23, 0x3c000000
	v_and_b32_e32 v7, 0x80000000, v7
	s_delay_alu instid0(VALU_DEP_1)
	v_or3_b32 v137, v6, v7, v8
.LBB287_3600:                           ;   in Loop: Header=BB287_2082 Depth=1
	s_or_b32 exec_lo, exec_lo, s2
.LBB287_3601:                           ;   in Loop: Header=BB287_2082 Depth=1
	s_delay_alu instid0(SALU_CYCLE_1)
	s_or_b32 exec_lo, exec_lo, s1
.LBB287_3602:                           ;   in Loop: Header=BB287_2082 Depth=1
	s_delay_alu instid0(SALU_CYCLE_1) | instskip(SKIP_4) | instid1(VALU_DEP_1)
	s_or_b32 exec_lo, exec_lo, s0
	v_mov_b32_e32 v140, 0
	v_lshrrev_b32_e32 v11, 16, v10
	v_mov_b32_e32 v141, 0
	s_mov_b32 s0, exec_lo
	v_dual_mov_b32 v153, v141 :: v_dual_and_b32 v6, 0xff, v11
	v_mov_b32_e32 v152, v140
	s_delay_alu instid0(VALU_DEP_2)
	v_cmpx_ne_u16_e32 0, v6
	s_cbranch_execz .LBB287_3610
; %bb.3603:                             ;   in Loop: Header=BB287_2082 Depth=1
	v_bfrev_b32_e32 v152, 1
	v_mov_b32_e32 v153, 0
	s_mov_b32 s1, exec_lo
	v_cmpx_ne_u16_e32 0x80, v6
	s_cbranch_execz .LBB287_3609
; %bb.3604:                             ;   in Loop: Header=BB287_2082 Depth=1
	v_mov_b32_e32 v152, 0x7f800001
	v_bfe_u32 v6, v10, 16, 7
	v_mov_b32_e32 v153, 0
	s_mov_b32 s2, exec_lo
	s_delay_alu instid0(VALU_DEP_2)
	v_cmpx_ne_u32_e32 0x7f, v6
	s_cbranch_execz .LBB287_3608
; %bb.3605:                             ;   in Loop: Header=BB287_2082 Depth=1
	v_and_b32_e32 v8, 7, v11
	v_lshrrev_b32_e32 v16, 3, v6
	v_cmp_gt_u32_e32 vcc_lo, 8, v6
	s_delay_alu instid0(VALU_DEP_3)
	v_dual_mov_b32 v6, v8 :: v_dual_mov_b32 v7, v9
	s_and_saveexec_b32 s3, vcc_lo
; %bb.3606:                             ;   in Loop: Header=BB287_2082 Depth=1
	v_clz_i32_u32_e32 v6, v8
	s_delay_alu instid0(VALU_DEP_1) | instskip(NEXT) | instid1(VALU_DEP_1)
	v_min_u32_e32 v16, 32, v6
	v_subrev_nc_u32_e32 v6, 28, v16
	v_sub_nc_u32_e32 v16, 29, v16
	s_delay_alu instid0(VALU_DEP_2) | instskip(NEXT) | instid1(VALU_DEP_1)
	v_lshlrev_b64 v[6:7], v6, v[8:9]
	v_and_b32_e32 v6, 7, v6
; %bb.3607:                             ;   in Loop: Header=BB287_2082 Depth=1
	s_or_b32 exec_lo, exec_lo, s3
	v_lshlrev_b32_e32 v7, 24, v11
	s_delay_alu instid0(VALU_DEP_2) | instskip(SKIP_1) | instid1(VALU_DEP_3)
	v_lshlrev_b32_e32 v6, 20, v6
	v_lshl_add_u32 v8, v16, 23, 0x3c000000
	v_and_b32_e32 v7, 0x80000000, v7
	s_delay_alu instid0(VALU_DEP_1) | instskip(NEXT) | instid1(VALU_DEP_1)
	v_or3_b32 v8, v6, v7, v8
	v_dual_mov_b32 v153, v9 :: v_dual_mov_b32 v152, v8
.LBB287_3608:                           ;   in Loop: Header=BB287_2082 Depth=1
	s_or_b32 exec_lo, exec_lo, s2
.LBB287_3609:                           ;   in Loop: Header=BB287_2082 Depth=1
	s_delay_alu instid0(SALU_CYCLE_1)
	s_or_b32 exec_lo, exec_lo, s1
.LBB287_3610:                           ;   in Loop: Header=BB287_2082 Depth=1
	s_delay_alu instid0(SALU_CYCLE_1) | instskip(NEXT) | instid1(SALU_CYCLE_1)
	s_or_b32 exec_lo, exec_lo, s0
	s_mov_b32 s0, exec_lo
	v_cmpx_lt_u32_e32 0xffffff, v10
	s_cbranch_execz .LBB287_3618
; %bb.3611:                             ;   in Loop: Header=BB287_2082 Depth=1
	v_lshrrev_b32_e32 v11, 24, v10
	v_dual_mov_b32 v141, s9 :: v_dual_mov_b32 v140, s8
	s_mov_b32 s1, exec_lo
	s_delay_alu instid0(VALU_DEP_2)
	v_cmpx_ne_u32_e32 0x80, v11
	s_cbranch_execz .LBB287_3617
; %bb.3612:                             ;   in Loop: Header=BB287_2082 Depth=1
	s_mov_b32 s12, s8
	v_bfe_u32 v6, v10, 24, 7
	v_dual_mov_b32 v141, s13 :: v_dual_mov_b32 v140, s12
	s_mov_b32 s2, exec_lo
	s_delay_alu instid0(VALU_DEP_2)
	v_cmpx_ne_u32_e32 0x7f, v6
	s_cbranch_execz .LBB287_3616
; %bb.3613:                             ;   in Loop: Header=BB287_2082 Depth=1
	v_and_b32_e32 v8, 7, v11
	v_lshrrev_b32_e32 v10, 3, v6
	v_cmp_gt_u32_e32 vcc_lo, 8, v6
	s_delay_alu instid0(VALU_DEP_3)
	v_dual_mov_b32 v6, v8 :: v_dual_mov_b32 v7, v9
	s_and_saveexec_b32 s3, vcc_lo
; %bb.3614:                             ;   in Loop: Header=BB287_2082 Depth=1
	v_clz_i32_u32_e32 v6, v8
	s_delay_alu instid0(VALU_DEP_1) | instskip(NEXT) | instid1(VALU_DEP_1)
	v_min_u32_e32 v10, 32, v6
	v_subrev_nc_u32_e32 v6, 28, v10
	v_sub_nc_u32_e32 v10, 29, v10
	s_delay_alu instid0(VALU_DEP_2) | instskip(NEXT) | instid1(VALU_DEP_1)
	v_lshlrev_b64 v[6:7], v6, v[8:9]
	v_and_b32_e32 v6, 7, v6
; %bb.3615:                             ;   in Loop: Header=BB287_2082 Depth=1
	s_or_b32 exec_lo, exec_lo, s3
	v_dual_mov_b32 v140, v9 :: v_dual_lshlrev_b32 v7, 24, v11
	s_delay_alu instid0(VALU_DEP_2) | instskip(SKIP_1) | instid1(VALU_DEP_3)
	v_lshlrev_b32_e32 v6, 20, v6
	v_lshl_add_u32 v8, v10, 23, 0x3c000000
	v_and_b32_e32 v7, 0x80000000, v7
	s_delay_alu instid0(VALU_DEP_1)
	v_or3_b32 v141, v6, v7, v8
.LBB287_3616:                           ;   in Loop: Header=BB287_2082 Depth=1
	s_or_b32 exec_lo, exec_lo, s2
.LBB287_3617:                           ;   in Loop: Header=BB287_2082 Depth=1
	s_delay_alu instid0(SALU_CYCLE_1)
	s_or_b32 exec_lo, exec_lo, s1
.LBB287_3618:                           ;   in Loop: Header=BB287_2082 Depth=1
	s_delay_alu instid0(SALU_CYCLE_1)
	s_or_b32 exec_lo, exec_lo, s0
	scratch_load_b32 v6, off, s32 offset:2644 ; 4-byte Folded Reload
	v_mov_b32_e32 v32, 0
	s_mov_b32 s0, exec_lo
	s_waitcnt vmcnt(0)
	v_add_co_u32 v6, vcc_lo, v162, v6
	v_add_co_ci_u32_e32 v7, vcc_lo, 0, v163, vcc_lo
	flat_load_b32 v10, v[6:7]
	s_waitcnt vmcnt(0) lgkmcnt(0)
	v_dual_mov_b32 v33, 0 :: v_dual_and_b32 v6, 0xff, v10
	s_delay_alu instid0(VALU_DEP_1) | instskip(NEXT) | instid1(VALU_DEP_2)
	v_dual_mov_b32 v157, v33 :: v_dual_mov_b32 v156, v32
	v_cmpx_ne_u16_e32 0, v6
	s_cbranch_execz .LBB287_3626
; %bb.3619:                             ;   in Loop: Header=BB287_2082 Depth=1
	v_bfrev_b32_e32 v156, 1
	v_mov_b32_e32 v157, 0
	s_mov_b32 s1, exec_lo
	v_cmpx_ne_u16_e32 0x80, v6
	s_cbranch_execz .LBB287_3625
; %bb.3620:                             ;   in Loop: Header=BB287_2082 Depth=1
	v_mov_b32_e32 v156, 0x7f800001
	v_dual_mov_b32 v157, 0 :: v_dual_and_b32 v6, 0x7f, v10
	s_mov_b32 s2, exec_lo
	s_delay_alu instid0(VALU_DEP_1)
	v_cmpx_ne_u32_e32 0x7f, v6
	s_cbranch_execz .LBB287_3624
; %bb.3621:                             ;   in Loop: Header=BB287_2082 Depth=1
	v_and_b32_e32 v8, 7, v10
	v_lshrrev_b32_e32 v11, 3, v6
	v_cmp_gt_u32_e32 vcc_lo, 8, v6
	s_delay_alu instid0(VALU_DEP_3)
	v_dual_mov_b32 v6, v8 :: v_dual_mov_b32 v7, v9
	s_and_saveexec_b32 s3, vcc_lo
; %bb.3622:                             ;   in Loop: Header=BB287_2082 Depth=1
	v_clz_i32_u32_e32 v6, v8
	s_delay_alu instid0(VALU_DEP_1) | instskip(NEXT) | instid1(VALU_DEP_1)
	v_min_u32_e32 v11, 32, v6
	v_subrev_nc_u32_e32 v6, 28, v11
	v_sub_nc_u32_e32 v11, 29, v11
	s_delay_alu instid0(VALU_DEP_2) | instskip(NEXT) | instid1(VALU_DEP_1)
	v_lshlrev_b64 v[6:7], v6, v[8:9]
	v_and_b32_e32 v6, 7, v6
; %bb.3623:                             ;   in Loop: Header=BB287_2082 Depth=1
	s_or_b32 exec_lo, exec_lo, s3
	v_lshlrev_b32_e32 v7, 24, v10
	s_delay_alu instid0(VALU_DEP_2) | instskip(SKIP_1) | instid1(VALU_DEP_3)
	v_lshlrev_b32_e32 v6, 20, v6
	v_lshl_add_u32 v8, v11, 23, 0x3c000000
	v_and_b32_e32 v7, 0x80000000, v7
	s_delay_alu instid0(VALU_DEP_1) | instskip(NEXT) | instid1(VALU_DEP_1)
	v_or3_b32 v8, v6, v7, v8
	v_dual_mov_b32 v157, v9 :: v_dual_mov_b32 v156, v8
.LBB287_3624:                           ;   in Loop: Header=BB287_2082 Depth=1
	s_or_b32 exec_lo, exec_lo, s2
.LBB287_3625:                           ;   in Loop: Header=BB287_2082 Depth=1
	s_delay_alu instid0(SALU_CYCLE_1)
	s_or_b32 exec_lo, exec_lo, s1
.LBB287_3626:                           ;   in Loop: Header=BB287_2082 Depth=1
	s_delay_alu instid0(SALU_CYCLE_1) | instskip(SKIP_2) | instid1(VALU_DEP_1)
	s_or_b32 exec_lo, exec_lo, s0
	v_lshrrev_b16 v6, 8, v10
	s_mov_b32 s0, exec_lo
	v_cmpx_ne_u16_e32 0, v6
	s_cbranch_execz .LBB287_3634
; %bb.3627:                             ;   in Loop: Header=BB287_2082 Depth=1
	v_dual_mov_b32 v33, s9 :: v_dual_mov_b32 v32, s8
	s_mov_b32 s1, exec_lo
	v_cmpx_ne_u16_e32 0x80, v6
	s_cbranch_execz .LBB287_3633
; %bb.3628:                             ;   in Loop: Header=BB287_2082 Depth=1
	s_mov_b32 s12, s8
	v_and_b32_e32 v7, 0xffff, v6
	v_dual_mov_b32 v33, s13 :: v_dual_mov_b32 v32, s12
	s_mov_b32 s2, exec_lo
	s_delay_alu instid0(VALU_DEP_2) | instskip(NEXT) | instid1(VALU_DEP_1)
	v_and_b32_e32 v6, 0x7f, v7
	v_cmpx_ne_u32_e32 0x7f, v6
	s_cbranch_execz .LBB287_3632
; %bb.3629:                             ;   in Loop: Header=BB287_2082 Depth=1
	v_and_b32_e32 v8, 7, v7
	v_lshrrev_b32_e32 v11, 3, v6
	v_cmp_gt_u32_e32 vcc_lo, 8, v6
	s_delay_alu instid0(VALU_DEP_3)
	v_dual_mov_b32 v6, v8 :: v_dual_mov_b32 v7, v9
	s_and_saveexec_b32 s3, vcc_lo
; %bb.3630:                             ;   in Loop: Header=BB287_2082 Depth=1
	v_clz_i32_u32_e32 v6, v8
	s_delay_alu instid0(VALU_DEP_1) | instskip(NEXT) | instid1(VALU_DEP_1)
	v_min_u32_e32 v11, 32, v6
	v_subrev_nc_u32_e32 v6, 28, v11
	v_sub_nc_u32_e32 v11, 29, v11
	s_delay_alu instid0(VALU_DEP_2) | instskip(NEXT) | instid1(VALU_DEP_1)
	v_lshlrev_b64 v[6:7], v6, v[8:9]
	v_and_b32_e32 v6, 7, v6
; %bb.3631:                             ;   in Loop: Header=BB287_2082 Depth=1
	s_or_b32 exec_lo, exec_lo, s3
	v_dual_mov_b32 v32, v9 :: v_dual_lshlrev_b32 v7, 16, v10
	s_delay_alu instid0(VALU_DEP_2) | instskip(SKIP_1) | instid1(VALU_DEP_3)
	v_lshlrev_b32_e32 v6, 20, v6
	v_lshl_add_u32 v8, v11, 23, 0x3c000000
	v_and_b32_e32 v7, 0x80000000, v7
	s_delay_alu instid0(VALU_DEP_1)
	v_or3_b32 v33, v6, v7, v8
.LBB287_3632:                           ;   in Loop: Header=BB287_2082 Depth=1
	s_or_b32 exec_lo, exec_lo, s2
.LBB287_3633:                           ;   in Loop: Header=BB287_2082 Depth=1
	s_delay_alu instid0(SALU_CYCLE_1)
	s_or_b32 exec_lo, exec_lo, s1
.LBB287_3634:                           ;   in Loop: Header=BB287_2082 Depth=1
	s_delay_alu instid0(SALU_CYCLE_1) | instskip(SKIP_4) | instid1(VALU_DEP_1)
	s_or_b32 exec_lo, exec_lo, s0
	v_mov_b32_e32 v46, 0
	v_lshrrev_b32_e32 v11, 16, v10
	v_mov_b32_e32 v47, 0
	s_mov_b32 s0, exec_lo
	v_dual_mov_b32 v169, v47 :: v_dual_and_b32 v6, 0xff, v11
	v_mov_b32_e32 v168, v46
	s_delay_alu instid0(VALU_DEP_2)
	v_cmpx_ne_u16_e32 0, v6
	s_cbranch_execz .LBB287_3642
; %bb.3635:                             ;   in Loop: Header=BB287_2082 Depth=1
	v_bfrev_b32_e32 v168, 1
	v_mov_b32_e32 v169, 0
	s_mov_b32 s1, exec_lo
	v_cmpx_ne_u16_e32 0x80, v6
	s_cbranch_execz .LBB287_3641
; %bb.3636:                             ;   in Loop: Header=BB287_2082 Depth=1
	v_mov_b32_e32 v168, 0x7f800001
	v_bfe_u32 v6, v10, 16, 7
	v_mov_b32_e32 v169, 0
	s_mov_b32 s2, exec_lo
	s_delay_alu instid0(VALU_DEP_2)
	v_cmpx_ne_u32_e32 0x7f, v6
	s_cbranch_execz .LBB287_3640
; %bb.3637:                             ;   in Loop: Header=BB287_2082 Depth=1
	v_and_b32_e32 v8, 7, v11
	v_lshrrev_b32_e32 v16, 3, v6
	v_cmp_gt_u32_e32 vcc_lo, 8, v6
	s_delay_alu instid0(VALU_DEP_3)
	v_dual_mov_b32 v6, v8 :: v_dual_mov_b32 v7, v9
	s_and_saveexec_b32 s3, vcc_lo
; %bb.3638:                             ;   in Loop: Header=BB287_2082 Depth=1
	v_clz_i32_u32_e32 v6, v8
	s_delay_alu instid0(VALU_DEP_1) | instskip(NEXT) | instid1(VALU_DEP_1)
	v_min_u32_e32 v16, 32, v6
	v_subrev_nc_u32_e32 v6, 28, v16
	v_sub_nc_u32_e32 v16, 29, v16
	s_delay_alu instid0(VALU_DEP_2) | instskip(NEXT) | instid1(VALU_DEP_1)
	v_lshlrev_b64 v[6:7], v6, v[8:9]
	v_and_b32_e32 v6, 7, v6
; %bb.3639:                             ;   in Loop: Header=BB287_2082 Depth=1
	s_or_b32 exec_lo, exec_lo, s3
	v_lshlrev_b32_e32 v7, 24, v11
	s_delay_alu instid0(VALU_DEP_2) | instskip(SKIP_1) | instid1(VALU_DEP_3)
	v_lshlrev_b32_e32 v6, 20, v6
	v_lshl_add_u32 v8, v16, 23, 0x3c000000
	v_and_b32_e32 v7, 0x80000000, v7
	s_delay_alu instid0(VALU_DEP_1) | instskip(NEXT) | instid1(VALU_DEP_1)
	v_or3_b32 v8, v6, v7, v8
	v_dual_mov_b32 v169, v9 :: v_dual_mov_b32 v168, v8
.LBB287_3640:                           ;   in Loop: Header=BB287_2082 Depth=1
	s_or_b32 exec_lo, exec_lo, s2
.LBB287_3641:                           ;   in Loop: Header=BB287_2082 Depth=1
	s_delay_alu instid0(SALU_CYCLE_1)
	s_or_b32 exec_lo, exec_lo, s1
.LBB287_3642:                           ;   in Loop: Header=BB287_2082 Depth=1
	s_delay_alu instid0(SALU_CYCLE_1) | instskip(NEXT) | instid1(SALU_CYCLE_1)
	s_or_b32 exec_lo, exec_lo, s0
	s_mov_b32 s0, exec_lo
	v_cmpx_lt_u32_e32 0xffffff, v10
	s_cbranch_execz .LBB287_3650
; %bb.3643:                             ;   in Loop: Header=BB287_2082 Depth=1
	v_lshrrev_b32_e32 v11, 24, v10
	v_dual_mov_b32 v47, s9 :: v_dual_mov_b32 v46, s8
	s_mov_b32 s1, exec_lo
	s_delay_alu instid0(VALU_DEP_2)
	v_cmpx_ne_u32_e32 0x80, v11
	s_cbranch_execz .LBB287_3649
; %bb.3644:                             ;   in Loop: Header=BB287_2082 Depth=1
	s_mov_b32 s12, s8
	v_bfe_u32 v6, v10, 24, 7
	v_dual_mov_b32 v47, s13 :: v_dual_mov_b32 v46, s12
	s_mov_b32 s2, exec_lo
	s_delay_alu instid0(VALU_DEP_2)
	v_cmpx_ne_u32_e32 0x7f, v6
	s_cbranch_execz .LBB287_3648
; %bb.3645:                             ;   in Loop: Header=BB287_2082 Depth=1
	v_and_b32_e32 v8, 7, v11
	v_lshrrev_b32_e32 v10, 3, v6
	v_cmp_gt_u32_e32 vcc_lo, 8, v6
	s_delay_alu instid0(VALU_DEP_3)
	v_dual_mov_b32 v6, v8 :: v_dual_mov_b32 v7, v9
	s_and_saveexec_b32 s3, vcc_lo
; %bb.3646:                             ;   in Loop: Header=BB287_2082 Depth=1
	v_clz_i32_u32_e32 v6, v8
	s_delay_alu instid0(VALU_DEP_1) | instskip(NEXT) | instid1(VALU_DEP_1)
	v_min_u32_e32 v10, 32, v6
	v_subrev_nc_u32_e32 v6, 28, v10
	v_sub_nc_u32_e32 v10, 29, v10
	s_delay_alu instid0(VALU_DEP_2) | instskip(NEXT) | instid1(VALU_DEP_1)
	v_lshlrev_b64 v[6:7], v6, v[8:9]
	v_and_b32_e32 v6, 7, v6
; %bb.3647:                             ;   in Loop: Header=BB287_2082 Depth=1
	s_or_b32 exec_lo, exec_lo, s3
	v_dual_mov_b32 v46, v9 :: v_dual_lshlrev_b32 v7, 24, v11
	s_delay_alu instid0(VALU_DEP_2) | instskip(SKIP_1) | instid1(VALU_DEP_3)
	v_lshlrev_b32_e32 v6, 20, v6
	v_lshl_add_u32 v8, v10, 23, 0x3c000000
	v_and_b32_e32 v7, 0x80000000, v7
	s_delay_alu instid0(VALU_DEP_1)
	v_or3_b32 v47, v6, v7, v8
.LBB287_3648:                           ;   in Loop: Header=BB287_2082 Depth=1
	s_or_b32 exec_lo, exec_lo, s2
.LBB287_3649:                           ;   in Loop: Header=BB287_2082 Depth=1
	s_delay_alu instid0(SALU_CYCLE_1)
	s_or_b32 exec_lo, exec_lo, s1
.LBB287_3650:                           ;   in Loop: Header=BB287_2082 Depth=1
	s_delay_alu instid0(SALU_CYCLE_1)
	s_or_b32 exec_lo, exec_lo, s0
	scratch_load_b32 v6, off, s32 offset:2660 ; 4-byte Folded Reload
	v_mov_b32_e32 v58, 0
	s_mov_b32 s0, exec_lo
	s_waitcnt vmcnt(0)
	v_add_co_u32 v6, vcc_lo, v162, v6
	v_add_co_ci_u32_e32 v7, vcc_lo, 0, v163, vcc_lo
	flat_load_b32 v10, v[6:7]
	s_waitcnt vmcnt(0) lgkmcnt(0)
	v_dual_mov_b32 v59, 0 :: v_dual_and_b32 v6, 0xff, v10
	s_delay_alu instid0(VALU_DEP_1) | instskip(NEXT) | instid1(VALU_DEP_2)
	v_dual_mov_b32 v173, v59 :: v_dual_mov_b32 v172, v58
	v_cmpx_ne_u16_e32 0, v6
	s_cbranch_execz .LBB287_3658
; %bb.3651:                             ;   in Loop: Header=BB287_2082 Depth=1
	v_bfrev_b32_e32 v172, 1
	v_mov_b32_e32 v173, 0
	s_mov_b32 s1, exec_lo
	v_cmpx_ne_u16_e32 0x80, v6
	s_cbranch_execz .LBB287_3657
; %bb.3652:                             ;   in Loop: Header=BB287_2082 Depth=1
	v_mov_b32_e32 v172, 0x7f800001
	v_dual_mov_b32 v173, 0 :: v_dual_and_b32 v6, 0x7f, v10
	s_mov_b32 s2, exec_lo
	s_delay_alu instid0(VALU_DEP_1)
	v_cmpx_ne_u32_e32 0x7f, v6
	s_cbranch_execz .LBB287_3656
; %bb.3653:                             ;   in Loop: Header=BB287_2082 Depth=1
	v_and_b32_e32 v8, 7, v10
	v_lshrrev_b32_e32 v11, 3, v6
	v_cmp_gt_u32_e32 vcc_lo, 8, v6
	s_delay_alu instid0(VALU_DEP_3)
	v_dual_mov_b32 v6, v8 :: v_dual_mov_b32 v7, v9
	s_and_saveexec_b32 s3, vcc_lo
; %bb.3654:                             ;   in Loop: Header=BB287_2082 Depth=1
	v_clz_i32_u32_e32 v6, v8
	s_delay_alu instid0(VALU_DEP_1) | instskip(NEXT) | instid1(VALU_DEP_1)
	v_min_u32_e32 v11, 32, v6
	v_subrev_nc_u32_e32 v6, 28, v11
	v_sub_nc_u32_e32 v11, 29, v11
	s_delay_alu instid0(VALU_DEP_2) | instskip(NEXT) | instid1(VALU_DEP_1)
	v_lshlrev_b64 v[6:7], v6, v[8:9]
	v_and_b32_e32 v6, 7, v6
; %bb.3655:                             ;   in Loop: Header=BB287_2082 Depth=1
	s_or_b32 exec_lo, exec_lo, s3
	v_lshlrev_b32_e32 v7, 24, v10
	s_delay_alu instid0(VALU_DEP_2) | instskip(SKIP_1) | instid1(VALU_DEP_3)
	v_lshlrev_b32_e32 v6, 20, v6
	v_lshl_add_u32 v8, v11, 23, 0x3c000000
	v_and_b32_e32 v7, 0x80000000, v7
	s_delay_alu instid0(VALU_DEP_1) | instskip(NEXT) | instid1(VALU_DEP_1)
	v_or3_b32 v8, v6, v7, v8
	v_dual_mov_b32 v173, v9 :: v_dual_mov_b32 v172, v8
.LBB287_3656:                           ;   in Loop: Header=BB287_2082 Depth=1
	s_or_b32 exec_lo, exec_lo, s2
.LBB287_3657:                           ;   in Loop: Header=BB287_2082 Depth=1
	s_delay_alu instid0(SALU_CYCLE_1)
	s_or_b32 exec_lo, exec_lo, s1
.LBB287_3658:                           ;   in Loop: Header=BB287_2082 Depth=1
	s_delay_alu instid0(SALU_CYCLE_1) | instskip(SKIP_2) | instid1(VALU_DEP_1)
	s_or_b32 exec_lo, exec_lo, s0
	v_lshrrev_b16 v6, 8, v10
	s_mov_b32 s0, exec_lo
	v_cmpx_ne_u16_e32 0, v6
	s_cbranch_execz .LBB287_3666
; %bb.3659:                             ;   in Loop: Header=BB287_2082 Depth=1
	v_dual_mov_b32 v59, s9 :: v_dual_mov_b32 v58, s8
	s_mov_b32 s1, exec_lo
	v_cmpx_ne_u16_e32 0x80, v6
	s_cbranch_execz .LBB287_3665
; %bb.3660:                             ;   in Loop: Header=BB287_2082 Depth=1
	s_mov_b32 s12, s8
	v_and_b32_e32 v7, 0xffff, v6
	v_dual_mov_b32 v59, s13 :: v_dual_mov_b32 v58, s12
	s_mov_b32 s2, exec_lo
	s_delay_alu instid0(VALU_DEP_2) | instskip(NEXT) | instid1(VALU_DEP_1)
	v_and_b32_e32 v6, 0x7f, v7
	v_cmpx_ne_u32_e32 0x7f, v6
	s_cbranch_execz .LBB287_3664
; %bb.3661:                             ;   in Loop: Header=BB287_2082 Depth=1
	v_and_b32_e32 v8, 7, v7
	v_lshrrev_b32_e32 v11, 3, v6
	v_cmp_gt_u32_e32 vcc_lo, 8, v6
	s_delay_alu instid0(VALU_DEP_3)
	v_dual_mov_b32 v6, v8 :: v_dual_mov_b32 v7, v9
	s_and_saveexec_b32 s3, vcc_lo
; %bb.3662:                             ;   in Loop: Header=BB287_2082 Depth=1
	v_clz_i32_u32_e32 v6, v8
	s_delay_alu instid0(VALU_DEP_1) | instskip(NEXT) | instid1(VALU_DEP_1)
	v_min_u32_e32 v11, 32, v6
	v_subrev_nc_u32_e32 v6, 28, v11
	v_sub_nc_u32_e32 v11, 29, v11
	s_delay_alu instid0(VALU_DEP_2) | instskip(NEXT) | instid1(VALU_DEP_1)
	v_lshlrev_b64 v[6:7], v6, v[8:9]
	v_and_b32_e32 v6, 7, v6
; %bb.3663:                             ;   in Loop: Header=BB287_2082 Depth=1
	s_or_b32 exec_lo, exec_lo, s3
	v_dual_mov_b32 v58, v9 :: v_dual_lshlrev_b32 v7, 16, v10
	s_delay_alu instid0(VALU_DEP_2) | instskip(SKIP_1) | instid1(VALU_DEP_3)
	v_lshlrev_b32_e32 v6, 20, v6
	v_lshl_add_u32 v8, v11, 23, 0x3c000000
	v_and_b32_e32 v7, 0x80000000, v7
	s_delay_alu instid0(VALU_DEP_1)
	v_or3_b32 v59, v6, v7, v8
.LBB287_3664:                           ;   in Loop: Header=BB287_2082 Depth=1
	s_or_b32 exec_lo, exec_lo, s2
.LBB287_3665:                           ;   in Loop: Header=BB287_2082 Depth=1
	s_delay_alu instid0(SALU_CYCLE_1)
	s_or_b32 exec_lo, exec_lo, s1
.LBB287_3666:                           ;   in Loop: Header=BB287_2082 Depth=1
	s_delay_alu instid0(SALU_CYCLE_1) | instskip(SKIP_4) | instid1(VALU_DEP_2)
	s_or_b32 exec_lo, exec_lo, s0
	v_mov_b32_e32 v184, 0
	v_lshrrev_b32_e32 v11, 16, v10
	v_mov_b32_e32 v185, 0
	s_mov_b32 s0, exec_lo
	v_and_b32_e32 v6, 0xff, v11
	s_delay_alu instid0(VALU_DEP_2) | instskip(NEXT) | instid1(VALU_DEP_2)
	v_dual_mov_b32 v62, v184 :: v_dual_mov_b32 v63, v185
	v_cmpx_ne_u16_e32 0, v6
	s_cbranch_execz .LBB287_3674
; %bb.3667:                             ;   in Loop: Header=BB287_2082 Depth=1
	v_bfrev_b32_e32 v62, 1
	v_mov_b32_e32 v63, 0
	s_mov_b32 s1, exec_lo
	v_cmpx_ne_u16_e32 0x80, v6
	s_cbranch_execz .LBB287_3673
; %bb.3668:                             ;   in Loop: Header=BB287_2082 Depth=1
	v_mov_b32_e32 v62, 0x7f800001
	v_bfe_u32 v6, v10, 16, 7
	v_mov_b32_e32 v63, 0
	s_mov_b32 s2, exec_lo
	s_delay_alu instid0(VALU_DEP_2)
	v_cmpx_ne_u32_e32 0x7f, v6
	s_cbranch_execz .LBB287_3672
; %bb.3669:                             ;   in Loop: Header=BB287_2082 Depth=1
	v_and_b32_e32 v8, 7, v11
	v_lshrrev_b32_e32 v16, 3, v6
	v_cmp_gt_u32_e32 vcc_lo, 8, v6
	s_delay_alu instid0(VALU_DEP_3)
	v_dual_mov_b32 v6, v8 :: v_dual_mov_b32 v7, v9
	s_and_saveexec_b32 s3, vcc_lo
; %bb.3670:                             ;   in Loop: Header=BB287_2082 Depth=1
	v_clz_i32_u32_e32 v6, v8
	s_delay_alu instid0(VALU_DEP_1) | instskip(NEXT) | instid1(VALU_DEP_1)
	v_min_u32_e32 v16, 32, v6
	v_subrev_nc_u32_e32 v6, 28, v16
	v_sub_nc_u32_e32 v16, 29, v16
	s_delay_alu instid0(VALU_DEP_2) | instskip(NEXT) | instid1(VALU_DEP_1)
	v_lshlrev_b64 v[6:7], v6, v[8:9]
	v_and_b32_e32 v6, 7, v6
; %bb.3671:                             ;   in Loop: Header=BB287_2082 Depth=1
	s_or_b32 exec_lo, exec_lo, s3
	v_lshlrev_b32_e32 v7, 24, v11
	s_delay_alu instid0(VALU_DEP_2) | instskip(SKIP_1) | instid1(VALU_DEP_3)
	v_lshlrev_b32_e32 v6, 20, v6
	v_lshl_add_u32 v8, v16, 23, 0x3c000000
	v_and_b32_e32 v7, 0x80000000, v7
	s_delay_alu instid0(VALU_DEP_1) | instskip(NEXT) | instid1(VALU_DEP_1)
	v_or3_b32 v8, v6, v7, v8
	v_dual_mov_b32 v63, v9 :: v_dual_mov_b32 v62, v8
.LBB287_3672:                           ;   in Loop: Header=BB287_2082 Depth=1
	s_or_b32 exec_lo, exec_lo, s2
.LBB287_3673:                           ;   in Loop: Header=BB287_2082 Depth=1
	s_delay_alu instid0(SALU_CYCLE_1)
	s_or_b32 exec_lo, exec_lo, s1
.LBB287_3674:                           ;   in Loop: Header=BB287_2082 Depth=1
	s_delay_alu instid0(SALU_CYCLE_1) | instskip(NEXT) | instid1(SALU_CYCLE_1)
	s_or_b32 exec_lo, exec_lo, s0
	s_mov_b32 s0, exec_lo
	v_cmpx_lt_u32_e32 0xffffff, v10
	s_cbranch_execz .LBB287_3682
; %bb.3675:                             ;   in Loop: Header=BB287_2082 Depth=1
	v_lshrrev_b32_e32 v11, 24, v10
	v_dual_mov_b32 v185, s9 :: v_dual_mov_b32 v184, s8
	s_mov_b32 s1, exec_lo
	s_delay_alu instid0(VALU_DEP_2)
	v_cmpx_ne_u32_e32 0x80, v11
	s_cbranch_execz .LBB287_3681
; %bb.3676:                             ;   in Loop: Header=BB287_2082 Depth=1
	s_mov_b32 s12, s8
	v_bfe_u32 v6, v10, 24, 7
	v_dual_mov_b32 v185, s13 :: v_dual_mov_b32 v184, s12
	s_mov_b32 s2, exec_lo
	s_delay_alu instid0(VALU_DEP_2)
	v_cmpx_ne_u32_e32 0x7f, v6
	s_cbranch_execz .LBB287_3680
; %bb.3677:                             ;   in Loop: Header=BB287_2082 Depth=1
	v_and_b32_e32 v8, 7, v11
	v_lshrrev_b32_e32 v10, 3, v6
	v_cmp_gt_u32_e32 vcc_lo, 8, v6
	s_delay_alu instid0(VALU_DEP_3)
	v_dual_mov_b32 v6, v8 :: v_dual_mov_b32 v7, v9
	s_and_saveexec_b32 s3, vcc_lo
; %bb.3678:                             ;   in Loop: Header=BB287_2082 Depth=1
	v_clz_i32_u32_e32 v6, v8
	s_delay_alu instid0(VALU_DEP_1) | instskip(NEXT) | instid1(VALU_DEP_1)
	v_min_u32_e32 v10, 32, v6
	v_subrev_nc_u32_e32 v6, 28, v10
	v_sub_nc_u32_e32 v10, 29, v10
	s_delay_alu instid0(VALU_DEP_2) | instskip(NEXT) | instid1(VALU_DEP_1)
	v_lshlrev_b64 v[6:7], v6, v[8:9]
	v_and_b32_e32 v6, 7, v6
; %bb.3679:                             ;   in Loop: Header=BB287_2082 Depth=1
	s_or_b32 exec_lo, exec_lo, s3
	v_dual_mov_b32 v184, v9 :: v_dual_lshlrev_b32 v7, 24, v11
	s_delay_alu instid0(VALU_DEP_2) | instskip(SKIP_1) | instid1(VALU_DEP_3)
	v_lshlrev_b32_e32 v6, 20, v6
	v_lshl_add_u32 v8, v10, 23, 0x3c000000
	v_and_b32_e32 v7, 0x80000000, v7
	s_delay_alu instid0(VALU_DEP_1)
	v_or3_b32 v185, v6, v7, v8
.LBB287_3680:                           ;   in Loop: Header=BB287_2082 Depth=1
	s_or_b32 exec_lo, exec_lo, s2
.LBB287_3681:                           ;   in Loop: Header=BB287_2082 Depth=1
	s_delay_alu instid0(SALU_CYCLE_1)
	s_or_b32 exec_lo, exec_lo, s1
.LBB287_3682:                           ;   in Loop: Header=BB287_2082 Depth=1
	s_delay_alu instid0(SALU_CYCLE_1)
	s_or_b32 exec_lo, exec_lo, s0
	scratch_load_b32 v6, off, s32 offset:2676 ; 4-byte Folded Reload
	v_mov_b32_e32 v188, 0
	s_mov_b32 s0, exec_lo
	s_waitcnt vmcnt(0)
	v_add_co_u32 v6, vcc_lo, v162, v6
	v_add_co_ci_u32_e32 v7, vcc_lo, 0, v163, vcc_lo
	flat_load_b32 v16, v[6:7]
	s_waitcnt vmcnt(0) lgkmcnt(0)
	v_dual_mov_b32 v189, 0 :: v_dual_and_b32 v6, 0xff, v16
	s_delay_alu instid0(VALU_DEP_1) | instskip(NEXT) | instid1(VALU_DEP_2)
	v_dual_mov_b32 v88, v188 :: v_dual_mov_b32 v89, v189
	v_cmpx_ne_u16_e32 0, v6
	s_cbranch_execz .LBB287_3690
; %bb.3683:                             ;   in Loop: Header=BB287_2082 Depth=1
	v_bfrev_b32_e32 v88, 1
	v_mov_b32_e32 v89, 0
	s_mov_b32 s1, exec_lo
	v_cmpx_ne_u16_e32 0x80, v6
	s_cbranch_execz .LBB287_3689
; %bb.3684:                             ;   in Loop: Header=BB287_2082 Depth=1
	v_mov_b32_e32 v88, 0x7f800001
	v_dual_mov_b32 v89, 0 :: v_dual_and_b32 v6, 0x7f, v16
	s_mov_b32 s2, exec_lo
	s_delay_alu instid0(VALU_DEP_1)
	v_cmpx_ne_u32_e32 0x7f, v6
	s_cbranch_execz .LBB287_3688
; %bb.3685:                             ;   in Loop: Header=BB287_2082 Depth=1
	v_and_b32_e32 v8, 7, v16
	v_lshrrev_b32_e32 v10, 3, v6
	v_cmp_gt_u32_e32 vcc_lo, 8, v6
	s_delay_alu instid0(VALU_DEP_3)
	v_dual_mov_b32 v6, v8 :: v_dual_mov_b32 v7, v9
	s_and_saveexec_b32 s3, vcc_lo
; %bb.3686:                             ;   in Loop: Header=BB287_2082 Depth=1
	v_clz_i32_u32_e32 v6, v8
	s_delay_alu instid0(VALU_DEP_1) | instskip(NEXT) | instid1(VALU_DEP_1)
	v_min_u32_e32 v10, 32, v6
	v_subrev_nc_u32_e32 v6, 28, v10
	v_sub_nc_u32_e32 v10, 29, v10
	s_delay_alu instid0(VALU_DEP_2) | instskip(NEXT) | instid1(VALU_DEP_1)
	v_lshlrev_b64 v[6:7], v6, v[8:9]
	v_and_b32_e32 v6, 7, v6
; %bb.3687:                             ;   in Loop: Header=BB287_2082 Depth=1
	s_or_b32 exec_lo, exec_lo, s3
	v_lshlrev_b32_e32 v7, 24, v16
	s_delay_alu instid0(VALU_DEP_2) | instskip(SKIP_1) | instid1(VALU_DEP_3)
	v_lshlrev_b32_e32 v6, 20, v6
	v_lshl_add_u32 v8, v10, 23, 0x3c000000
	v_and_b32_e32 v7, 0x80000000, v7
	s_delay_alu instid0(VALU_DEP_1) | instskip(NEXT) | instid1(VALU_DEP_1)
	v_or3_b32 v8, v6, v7, v8
	v_dual_mov_b32 v89, v9 :: v_dual_mov_b32 v88, v8
.LBB287_3688:                           ;   in Loop: Header=BB287_2082 Depth=1
	s_or_b32 exec_lo, exec_lo, s2
.LBB287_3689:                           ;   in Loop: Header=BB287_2082 Depth=1
	s_delay_alu instid0(SALU_CYCLE_1)
	s_or_b32 exec_lo, exec_lo, s1
.LBB287_3690:                           ;   in Loop: Header=BB287_2082 Depth=1
	s_delay_alu instid0(SALU_CYCLE_1) | instskip(SKIP_2) | instid1(VALU_DEP_1)
	s_or_b32 exec_lo, exec_lo, s0
	v_lshrrev_b16 v6, 8, v16
	s_mov_b32 s0, exec_lo
	v_cmpx_ne_u16_e32 0, v6
	s_cbranch_execz .LBB287_3698
; %bb.3691:                             ;   in Loop: Header=BB287_2082 Depth=1
	v_dual_mov_b32 v189, s9 :: v_dual_mov_b32 v188, s8
	s_mov_b32 s1, exec_lo
	v_cmpx_ne_u16_e32 0x80, v6
	s_cbranch_execz .LBB287_3697
; %bb.3692:                             ;   in Loop: Header=BB287_2082 Depth=1
	s_mov_b32 s12, s8
	v_and_b32_e32 v7, 0xffff, v6
	v_dual_mov_b32 v189, s13 :: v_dual_mov_b32 v188, s12
	s_mov_b32 s2, exec_lo
	s_delay_alu instid0(VALU_DEP_2) | instskip(NEXT) | instid1(VALU_DEP_1)
	v_and_b32_e32 v6, 0x7f, v7
	v_cmpx_ne_u32_e32 0x7f, v6
	s_cbranch_execz .LBB287_3696
; %bb.3693:                             ;   in Loop: Header=BB287_2082 Depth=1
	v_and_b32_e32 v8, 7, v7
	v_lshrrev_b32_e32 v10, 3, v6
	v_cmp_gt_u32_e32 vcc_lo, 8, v6
	s_delay_alu instid0(VALU_DEP_3)
	v_dual_mov_b32 v6, v8 :: v_dual_mov_b32 v7, v9
	s_and_saveexec_b32 s3, vcc_lo
; %bb.3694:                             ;   in Loop: Header=BB287_2082 Depth=1
	v_clz_i32_u32_e32 v6, v8
	s_delay_alu instid0(VALU_DEP_1) | instskip(NEXT) | instid1(VALU_DEP_1)
	v_min_u32_e32 v10, 32, v6
	v_subrev_nc_u32_e32 v6, 28, v10
	v_sub_nc_u32_e32 v10, 29, v10
	s_delay_alu instid0(VALU_DEP_2) | instskip(NEXT) | instid1(VALU_DEP_1)
	v_lshlrev_b64 v[6:7], v6, v[8:9]
	v_and_b32_e32 v6, 7, v6
; %bb.3695:                             ;   in Loop: Header=BB287_2082 Depth=1
	s_or_b32 exec_lo, exec_lo, s3
	v_dual_mov_b32 v188, v9 :: v_dual_lshlrev_b32 v7, 16, v16
	s_delay_alu instid0(VALU_DEP_2) | instskip(SKIP_1) | instid1(VALU_DEP_3)
	v_lshlrev_b32_e32 v6, 20, v6
	v_lshl_add_u32 v8, v10, 23, 0x3c000000
	v_and_b32_e32 v7, 0x80000000, v7
	s_delay_alu instid0(VALU_DEP_1)
	v_or3_b32 v189, v6, v7, v8
.LBB287_3696:                           ;   in Loop: Header=BB287_2082 Depth=1
	s_or_b32 exec_lo, exec_lo, s2
.LBB287_3697:                           ;   in Loop: Header=BB287_2082 Depth=1
	s_delay_alu instid0(SALU_CYCLE_1)
	s_or_b32 exec_lo, exec_lo, s1
.LBB287_3698:                           ;   in Loop: Header=BB287_2082 Depth=1
	s_delay_alu instid0(SALU_CYCLE_1) | instskip(SKIP_4) | instid1(VALU_DEP_1)
	s_or_b32 exec_lo, exec_lo, s0
	v_mov_b32_e32 v6, 0
	v_lshrrev_b32_e32 v17, 16, v16
	v_mov_b32_e32 v7, 0
	s_mov_b32 s0, exec_lo
	v_dual_mov_b32 v35, v7 :: v_dual_and_b32 v8, 0xff, v17
	v_mov_b32_e32 v34, v6
	s_delay_alu instid0(VALU_DEP_2)
	v_cmpx_ne_u16_e32 0, v8
	s_cbranch_execz .LBB287_3706
; %bb.3699:                             ;   in Loop: Header=BB287_2082 Depth=1
	v_bfrev_b32_e32 v34, 1
	v_mov_b32_e32 v35, 0
	s_mov_b32 s1, exec_lo
	v_cmpx_ne_u16_e32 0x80, v8
	s_cbranch_execz .LBB287_3705
; %bb.3700:                             ;   in Loop: Header=BB287_2082 Depth=1
	v_mov_b32_e32 v34, 0x7f800001
	v_bfe_u32 v10, v16, 16, 7
	v_mov_b32_e32 v35, 0
	s_mov_b32 s2, exec_lo
	s_delay_alu instid0(VALU_DEP_2)
	v_cmpx_ne_u32_e32 0x7f, v10
	s_cbranch_execz .LBB287_3704
; %bb.3701:                             ;   in Loop: Header=BB287_2082 Depth=1
	v_and_b32_e32 v8, 7, v17
	v_lshrrev_b32_e32 v18, 3, v10
	v_cmp_gt_u32_e32 vcc_lo, 8, v10
	s_delay_alu instid0(VALU_DEP_3)
	v_dual_mov_b32 v11, v9 :: v_dual_mov_b32 v10, v8
	s_and_saveexec_b32 s3, vcc_lo
; %bb.3702:                             ;   in Loop: Header=BB287_2082 Depth=1
	v_clz_i32_u32_e32 v10, v8
	s_delay_alu instid0(VALU_DEP_1) | instskip(NEXT) | instid1(VALU_DEP_1)
	v_min_u32_e32 v18, 32, v10
	v_subrev_nc_u32_e32 v10, 28, v18
	v_sub_nc_u32_e32 v18, 29, v18
	s_delay_alu instid0(VALU_DEP_2) | instskip(NEXT) | instid1(VALU_DEP_1)
	v_lshlrev_b64 v[10:11], v10, v[8:9]
	v_and_b32_e32 v10, 7, v10
; %bb.3703:                             ;   in Loop: Header=BB287_2082 Depth=1
	s_or_b32 exec_lo, exec_lo, s3
	v_lshlrev_b32_e32 v8, 24, v17
	s_delay_alu instid0(VALU_DEP_2) | instskip(SKIP_1) | instid1(VALU_DEP_3)
	v_lshlrev_b32_e32 v10, 20, v10
	v_lshl_add_u32 v11, v18, 23, 0x3c000000
	v_and_b32_e32 v8, 0x80000000, v8
	s_delay_alu instid0(VALU_DEP_1) | instskip(NEXT) | instid1(VALU_DEP_1)
	v_or3_b32 v8, v10, v8, v11
	v_dual_mov_b32 v35, v9 :: v_dual_mov_b32 v34, v8
.LBB287_3704:                           ;   in Loop: Header=BB287_2082 Depth=1
	s_or_b32 exec_lo, exec_lo, s2
.LBB287_3705:                           ;   in Loop: Header=BB287_2082 Depth=1
	s_delay_alu instid0(SALU_CYCLE_1)
	s_or_b32 exec_lo, exec_lo, s1
.LBB287_3706:                           ;   in Loop: Header=BB287_2082 Depth=1
	s_delay_alu instid0(SALU_CYCLE_1) | instskip(NEXT) | instid1(SALU_CYCLE_1)
	s_or_b32 exec_lo, exec_lo, s0
	s_mov_b32 s0, exec_lo
	v_cmpx_lt_u32_e32 0xffffff, v16
	s_cbranch_execz .LBB287_3714
; %bb.3707:                             ;   in Loop: Header=BB287_2082 Depth=1
	v_lshrrev_b32_e32 v10, 24, v16
	v_dual_mov_b32 v6, s8 :: v_dual_mov_b32 v7, s9
	s_mov_b32 s1, exec_lo
	s_delay_alu instid0(VALU_DEP_2)
	v_cmpx_ne_u32_e32 0x80, v10
	s_cbranch_execz .LBB287_3713
; %bb.3708:                             ;   in Loop: Header=BB287_2082 Depth=1
	s_mov_b32 s12, s8
	v_bfe_u32 v16, v16, 24, 7
	v_dual_mov_b32 v6, s12 :: v_dual_mov_b32 v7, s13
	s_mov_b32 s2, exec_lo
	s_delay_alu instid0(VALU_DEP_2)
	v_cmpx_ne_u32_e32 0x7f, v16
	s_cbranch_execz .LBB287_3712
; %bb.3709:                             ;   in Loop: Header=BB287_2082 Depth=1
	v_and_b32_e32 v8, 7, v10
	v_lshrrev_b32_e32 v11, 3, v16
	s_mov_b32 s3, exec_lo
	s_delay_alu instid0(VALU_DEP_2)
	v_dual_mov_b32 v6, v8 :: v_dual_mov_b32 v7, v9
	v_cmpx_gt_u32_e32 8, v16
; %bb.3710:                             ;   in Loop: Header=BB287_2082 Depth=1
	v_clz_i32_u32_e32 v6, v8
	s_delay_alu instid0(VALU_DEP_1) | instskip(NEXT) | instid1(VALU_DEP_1)
	v_min_u32_e32 v11, 32, v6
	v_subrev_nc_u32_e32 v6, 28, v11
	v_sub_nc_u32_e32 v11, 29, v11
	s_delay_alu instid0(VALU_DEP_2) | instskip(NEXT) | instid1(VALU_DEP_1)
	v_lshlrev_b64 v[6:7], v6, v[8:9]
	v_and_b32_e32 v6, 7, v6
; %bb.3711:                             ;   in Loop: Header=BB287_2082 Depth=1
	s_or_b32 exec_lo, exec_lo, s3
	v_lshlrev_b32_e32 v7, 24, v10
	s_delay_alu instid0(VALU_DEP_2) | instskip(SKIP_1) | instid1(VALU_DEP_3)
	v_lshlrev_b32_e32 v6, 20, v6
	v_lshl_add_u32 v8, v11, 23, 0x3c000000
	v_and_b32_e32 v7, 0x80000000, v7
	s_delay_alu instid0(VALU_DEP_1)
	v_or3_b32 v7, v6, v7, v8
	v_mov_b32_e32 v6, v9
.LBB287_3712:                           ;   in Loop: Header=BB287_2082 Depth=1
	s_or_b32 exec_lo, exec_lo, s2
.LBB287_3713:                           ;   in Loop: Header=BB287_2082 Depth=1
	s_delay_alu instid0(SALU_CYCLE_1)
	s_or_b32 exec_lo, exec_lo, s1
.LBB287_3714:                           ;   in Loop: Header=BB287_2082 Depth=1
	s_delay_alu instid0(SALU_CYCLE_1)
	s_or_b32 exec_lo, exec_lo, s0
	scratch_load_b32 v8, off, s32 offset:2692 ; 4-byte Folded Reload
	v_mov_b32_e32 v16, 0
	s_mov_b32 s0, exec_lo
	s_waitcnt vmcnt(0)
	v_add_co_u32 v10, vcc_lo, v162, v8
	v_add_co_ci_u32_e32 v11, vcc_lo, 0, v163, vcc_lo
	flat_load_b32 v18, v[10:11]
	s_waitcnt vmcnt(0) lgkmcnt(0)
	v_dual_mov_b32 v17, 0 :: v_dual_and_b32 v8, 0xff, v18
	s_delay_alu instid0(VALU_DEP_1) | instskip(NEXT) | instid1(VALU_DEP_2)
	v_dual_mov_b32 v101, v17 :: v_dual_mov_b32 v100, v16
	v_cmpx_ne_u16_e32 0, v8
	s_cbranch_execz .LBB287_3722
; %bb.3715:                             ;   in Loop: Header=BB287_2082 Depth=1
	v_bfrev_b32_e32 v100, 1
	v_mov_b32_e32 v101, 0
	s_mov_b32 s1, exec_lo
	v_cmpx_ne_u16_e32 0x80, v8
	s_cbranch_execz .LBB287_3721
; %bb.3716:                             ;   in Loop: Header=BB287_2082 Depth=1
	v_mov_b32_e32 v100, 0x7f800001
	v_dual_mov_b32 v101, 0 :: v_dual_and_b32 v10, 0x7f, v18
	s_mov_b32 s2, exec_lo
	s_delay_alu instid0(VALU_DEP_1)
	v_cmpx_ne_u32_e32 0x7f, v10
	s_cbranch_execz .LBB287_3720
; %bb.3717:                             ;   in Loop: Header=BB287_2082 Depth=1
	v_and_b32_e32 v8, 7, v18
	v_lshrrev_b32_e32 v19, 3, v10
	v_cmp_gt_u32_e32 vcc_lo, 8, v10
	s_delay_alu instid0(VALU_DEP_3)
	v_dual_mov_b32 v11, v9 :: v_dual_mov_b32 v10, v8
	s_and_saveexec_b32 s3, vcc_lo
; %bb.3718:                             ;   in Loop: Header=BB287_2082 Depth=1
	v_clz_i32_u32_e32 v10, v8
	s_delay_alu instid0(VALU_DEP_1) | instskip(NEXT) | instid1(VALU_DEP_1)
	v_min_u32_e32 v19, 32, v10
	v_subrev_nc_u32_e32 v10, 28, v19
	v_sub_nc_u32_e32 v19, 29, v19
	s_delay_alu instid0(VALU_DEP_2) | instskip(NEXT) | instid1(VALU_DEP_1)
	v_lshlrev_b64 v[10:11], v10, v[8:9]
	v_and_b32_e32 v10, 7, v10
; %bb.3719:                             ;   in Loop: Header=BB287_2082 Depth=1
	s_or_b32 exec_lo, exec_lo, s3
	v_lshlrev_b32_e32 v8, 24, v18
	s_delay_alu instid0(VALU_DEP_2) | instskip(SKIP_1) | instid1(VALU_DEP_3)
	v_lshlrev_b32_e32 v10, 20, v10
	v_lshl_add_u32 v11, v19, 23, 0x3c000000
	v_and_b32_e32 v8, 0x80000000, v8
	s_delay_alu instid0(VALU_DEP_1) | instskip(NEXT) | instid1(VALU_DEP_1)
	v_or3_b32 v8, v10, v8, v11
	v_dual_mov_b32 v101, v9 :: v_dual_mov_b32 v100, v8
.LBB287_3720:                           ;   in Loop: Header=BB287_2082 Depth=1
	s_or_b32 exec_lo, exec_lo, s2
.LBB287_3721:                           ;   in Loop: Header=BB287_2082 Depth=1
	s_delay_alu instid0(SALU_CYCLE_1)
	s_or_b32 exec_lo, exec_lo, s1
.LBB287_3722:                           ;   in Loop: Header=BB287_2082 Depth=1
	s_delay_alu instid0(SALU_CYCLE_1) | instskip(SKIP_2) | instid1(VALU_DEP_1)
	s_or_b32 exec_lo, exec_lo, s0
	v_lshrrev_b16 v8, 8, v18
	s_mov_b32 s0, exec_lo
	v_cmpx_ne_u16_e32 0, v8
	s_cbranch_execz .LBB287_3730
; %bb.3723:                             ;   in Loop: Header=BB287_2082 Depth=1
	v_dual_mov_b32 v17, s9 :: v_dual_mov_b32 v16, s8
	s_mov_b32 s1, exec_lo
	v_cmpx_ne_u16_e32 0x80, v8
	s_cbranch_execz .LBB287_3729
; %bb.3724:                             ;   in Loop: Header=BB287_2082 Depth=1
	s_mov_b32 s12, s8
	v_dual_mov_b32 v17, s13 :: v_dual_and_b32 v8, 0xffff, v8
	v_mov_b32_e32 v16, s12
	s_mov_b32 s2, exec_lo
	s_delay_alu instid0(VALU_DEP_2) | instskip(NEXT) | instid1(VALU_DEP_1)
	v_and_b32_e32 v10, 0x7f, v8
	v_cmpx_ne_u32_e32 0x7f, v10
	s_cbranch_execz .LBB287_3728
; %bb.3725:                             ;   in Loop: Header=BB287_2082 Depth=1
	v_and_b32_e32 v8, 7, v8
	v_lshrrev_b32_e32 v16, 3, v10
	v_cmp_gt_u32_e32 vcc_lo, 8, v10
	s_delay_alu instid0(VALU_DEP_3)
	v_dual_mov_b32 v11, v9 :: v_dual_mov_b32 v10, v8
	s_and_saveexec_b32 s3, vcc_lo
; %bb.3726:                             ;   in Loop: Header=BB287_2082 Depth=1
	v_clz_i32_u32_e32 v10, v8
	s_delay_alu instid0(VALU_DEP_1) | instskip(NEXT) | instid1(VALU_DEP_1)
	v_min_u32_e32 v16, 32, v10
	v_subrev_nc_u32_e32 v10, 28, v16
	v_sub_nc_u32_e32 v16, 29, v16
	s_delay_alu instid0(VALU_DEP_2) | instskip(NEXT) | instid1(VALU_DEP_1)
	v_lshlrev_b64 v[10:11], v10, v[8:9]
	v_and_b32_e32 v10, 7, v10
; %bb.3727:                             ;   in Loop: Header=BB287_2082 Depth=1
	s_or_b32 exec_lo, exec_lo, s3
	v_lshlrev_b32_e32 v8, 16, v18
	s_delay_alu instid0(VALU_DEP_2) | instskip(SKIP_2) | instid1(VALU_DEP_4)
	v_lshlrev_b32_e32 v10, 20, v10
	v_lshl_add_u32 v11, v16, 23, 0x3c000000
	v_mov_b32_e32 v16, v9
	v_and_b32_e32 v8, 0x80000000, v8
	s_delay_alu instid0(VALU_DEP_1)
	v_or3_b32 v17, v10, v8, v11
.LBB287_3728:                           ;   in Loop: Header=BB287_2082 Depth=1
	s_or_b32 exec_lo, exec_lo, s2
.LBB287_3729:                           ;   in Loop: Header=BB287_2082 Depth=1
	s_delay_alu instid0(SALU_CYCLE_1)
	s_or_b32 exec_lo, exec_lo, s1
.LBB287_3730:                           ;   in Loop: Header=BB287_2082 Depth=1
	s_delay_alu instid0(SALU_CYCLE_1) | instskip(SKIP_4) | instid1(VALU_DEP_2)
	s_or_b32 exec_lo, exec_lo, s0
	v_mov_b32_e32 v96, 0
	v_lshrrev_b32_e32 v19, 16, v18
	v_mov_b32_e32 v97, 0
	s_mov_b32 s0, exec_lo
	v_and_b32_e32 v8, 0xff, v19
	s_delay_alu instid0(VALU_DEP_2) | instskip(NEXT) | instid1(VALU_DEP_2)
	v_dual_mov_b32 v24, v96 :: v_dual_mov_b32 v25, v97
	v_cmpx_ne_u16_e32 0, v8
	s_cbranch_execz .LBB287_3738
; %bb.3731:                             ;   in Loop: Header=BB287_2082 Depth=1
	v_bfrev_b32_e32 v24, 1
	v_mov_b32_e32 v25, 0
	s_mov_b32 s1, exec_lo
	v_cmpx_ne_u16_e32 0x80, v8
	s_cbranch_execz .LBB287_3737
; %bb.3732:                             ;   in Loop: Header=BB287_2082 Depth=1
	v_mov_b32_e32 v24, 0x7f800001
	v_bfe_u32 v10, v18, 16, 7
	v_mov_b32_e32 v25, 0
	s_mov_b32 s2, exec_lo
	s_delay_alu instid0(VALU_DEP_2)
	v_cmpx_ne_u32_e32 0x7f, v10
	s_cbranch_execz .LBB287_3736
; %bb.3733:                             ;   in Loop: Header=BB287_2082 Depth=1
	v_and_b32_e32 v8, 7, v19
	v_lshrrev_b32_e32 v20, 3, v10
	v_cmp_gt_u32_e32 vcc_lo, 8, v10
	s_delay_alu instid0(VALU_DEP_3)
	v_dual_mov_b32 v11, v9 :: v_dual_mov_b32 v10, v8
	s_and_saveexec_b32 s3, vcc_lo
; %bb.3734:                             ;   in Loop: Header=BB287_2082 Depth=1
	v_clz_i32_u32_e32 v10, v8
	s_delay_alu instid0(VALU_DEP_1) | instskip(NEXT) | instid1(VALU_DEP_1)
	v_min_u32_e32 v20, 32, v10
	v_subrev_nc_u32_e32 v10, 28, v20
	v_sub_nc_u32_e32 v20, 29, v20
	s_delay_alu instid0(VALU_DEP_2) | instskip(NEXT) | instid1(VALU_DEP_1)
	v_lshlrev_b64 v[10:11], v10, v[8:9]
	v_and_b32_e32 v10, 7, v10
; %bb.3735:                             ;   in Loop: Header=BB287_2082 Depth=1
	s_or_b32 exec_lo, exec_lo, s3
	v_lshlrev_b32_e32 v8, 24, v19
	s_delay_alu instid0(VALU_DEP_2) | instskip(SKIP_1) | instid1(VALU_DEP_3)
	v_lshlrev_b32_e32 v10, 20, v10
	v_lshl_add_u32 v11, v20, 23, 0x3c000000
	v_and_b32_e32 v8, 0x80000000, v8
	s_delay_alu instid0(VALU_DEP_1) | instskip(NEXT) | instid1(VALU_DEP_1)
	v_or3_b32 v8, v10, v8, v11
	v_dual_mov_b32 v25, v9 :: v_dual_mov_b32 v24, v8
.LBB287_3736:                           ;   in Loop: Header=BB287_2082 Depth=1
	s_or_b32 exec_lo, exec_lo, s2
.LBB287_3737:                           ;   in Loop: Header=BB287_2082 Depth=1
	s_delay_alu instid0(SALU_CYCLE_1)
	s_or_b32 exec_lo, exec_lo, s1
.LBB287_3738:                           ;   in Loop: Header=BB287_2082 Depth=1
	s_delay_alu instid0(SALU_CYCLE_1) | instskip(NEXT) | instid1(SALU_CYCLE_1)
	s_or_b32 exec_lo, exec_lo, s0
	s_mov_b32 s0, exec_lo
	v_cmpx_lt_u32_e32 0xffffff, v18
	s_cbranch_execz .LBB287_3746
; %bb.3739:                             ;   in Loop: Header=BB287_2082 Depth=1
	v_lshrrev_b32_e32 v19, 24, v18
	v_dual_mov_b32 v97, s9 :: v_dual_mov_b32 v96, s8
	s_mov_b32 s1, exec_lo
	s_delay_alu instid0(VALU_DEP_2)
	v_cmpx_ne_u32_e32 0x80, v19
	s_cbranch_execz .LBB287_3745
; %bb.3740:                             ;   in Loop: Header=BB287_2082 Depth=1
	s_mov_b32 s12, s8
	v_bfe_u32 v10, v18, 24, 7
	v_dual_mov_b32 v97, s13 :: v_dual_mov_b32 v96, s12
	s_mov_b32 s2, exec_lo
	s_delay_alu instid0(VALU_DEP_2)
	v_cmpx_ne_u32_e32 0x7f, v10
	s_cbranch_execz .LBB287_3744
; %bb.3741:                             ;   in Loop: Header=BB287_2082 Depth=1
	v_and_b32_e32 v8, 7, v19
	v_lshrrev_b32_e32 v18, 3, v10
	v_cmp_gt_u32_e32 vcc_lo, 8, v10
	s_delay_alu instid0(VALU_DEP_3)
	v_dual_mov_b32 v11, v9 :: v_dual_mov_b32 v10, v8
	s_and_saveexec_b32 s3, vcc_lo
; %bb.3742:                             ;   in Loop: Header=BB287_2082 Depth=1
	v_clz_i32_u32_e32 v10, v8
	s_delay_alu instid0(VALU_DEP_1) | instskip(NEXT) | instid1(VALU_DEP_1)
	v_min_u32_e32 v18, 32, v10
	v_subrev_nc_u32_e32 v10, 28, v18
	v_sub_nc_u32_e32 v18, 29, v18
	s_delay_alu instid0(VALU_DEP_2) | instskip(NEXT) | instid1(VALU_DEP_1)
	v_lshlrev_b64 v[10:11], v10, v[8:9]
	v_and_b32_e32 v10, 7, v10
; %bb.3743:                             ;   in Loop: Header=BB287_2082 Depth=1
	s_or_b32 exec_lo, exec_lo, s3
	v_lshlrev_b32_e32 v8, 24, v19
	s_delay_alu instid0(VALU_DEP_2) | instskip(SKIP_2) | instid1(VALU_DEP_4)
	v_lshlrev_b32_e32 v10, 20, v10
	v_lshl_add_u32 v11, v18, 23, 0x3c000000
	v_mov_b32_e32 v96, v9
	v_and_b32_e32 v8, 0x80000000, v8
	s_delay_alu instid0(VALU_DEP_1)
	v_or3_b32 v97, v10, v8, v11
.LBB287_3744:                           ;   in Loop: Header=BB287_2082 Depth=1
	s_or_b32 exec_lo, exec_lo, s2
.LBB287_3745:                           ;   in Loop: Header=BB287_2082 Depth=1
	s_delay_alu instid0(SALU_CYCLE_1)
	s_or_b32 exec_lo, exec_lo, s1
.LBB287_3746:                           ;   in Loop: Header=BB287_2082 Depth=1
	s_delay_alu instid0(SALU_CYCLE_1)
	s_or_b32 exec_lo, exec_lo, s0
	scratch_load_b32 v8, off, s32 offset:2708 ; 4-byte Folded Reload
	v_mov_b32_e32 v48, 0
	s_mov_b32 s0, exec_lo
	s_waitcnt vmcnt(0)
	v_add_co_u32 v10, vcc_lo, v162, v8
	v_add_co_ci_u32_e32 v11, vcc_lo, 0, v163, vcc_lo
	flat_load_b32 v18, v[10:11]
	s_waitcnt vmcnt(0) lgkmcnt(0)
	v_dual_mov_b32 v49, 0 :: v_dual_and_b32 v8, 0xff, v18
	s_delay_alu instid0(VALU_DEP_1) | instskip(NEXT) | instid1(VALU_DEP_2)
	v_dual_mov_b32 v95, v49 :: v_dual_mov_b32 v94, v48
	v_cmpx_ne_u16_e32 0, v8
	s_cbranch_execz .LBB287_3754
; %bb.3747:                             ;   in Loop: Header=BB287_2082 Depth=1
	v_bfrev_b32_e32 v94, 1
	v_mov_b32_e32 v95, 0
	s_mov_b32 s1, exec_lo
	v_cmpx_ne_u16_e32 0x80, v8
	s_cbranch_execz .LBB287_3753
; %bb.3748:                             ;   in Loop: Header=BB287_2082 Depth=1
	v_mov_b32_e32 v94, 0x7f800001
	v_dual_mov_b32 v95, 0 :: v_dual_and_b32 v10, 0x7f, v18
	s_mov_b32 s2, exec_lo
	s_delay_alu instid0(VALU_DEP_1)
	v_cmpx_ne_u32_e32 0x7f, v10
	s_cbranch_execz .LBB287_3752
; %bb.3749:                             ;   in Loop: Header=BB287_2082 Depth=1
	v_and_b32_e32 v8, 7, v18
	v_lshrrev_b32_e32 v19, 3, v10
	v_cmp_gt_u32_e32 vcc_lo, 8, v10
	s_delay_alu instid0(VALU_DEP_3)
	v_dual_mov_b32 v11, v9 :: v_dual_mov_b32 v10, v8
	s_and_saveexec_b32 s3, vcc_lo
; %bb.3750:                             ;   in Loop: Header=BB287_2082 Depth=1
	v_clz_i32_u32_e32 v10, v8
	s_delay_alu instid0(VALU_DEP_1) | instskip(NEXT) | instid1(VALU_DEP_1)
	v_min_u32_e32 v19, 32, v10
	v_subrev_nc_u32_e32 v10, 28, v19
	v_sub_nc_u32_e32 v19, 29, v19
	s_delay_alu instid0(VALU_DEP_2) | instskip(NEXT) | instid1(VALU_DEP_1)
	v_lshlrev_b64 v[10:11], v10, v[8:9]
	v_and_b32_e32 v10, 7, v10
; %bb.3751:                             ;   in Loop: Header=BB287_2082 Depth=1
	s_or_b32 exec_lo, exec_lo, s3
	v_lshlrev_b32_e32 v8, 24, v18
	s_delay_alu instid0(VALU_DEP_2) | instskip(SKIP_1) | instid1(VALU_DEP_3)
	v_lshlrev_b32_e32 v10, 20, v10
	v_lshl_add_u32 v11, v19, 23, 0x3c000000
	v_and_b32_e32 v8, 0x80000000, v8
	s_delay_alu instid0(VALU_DEP_1) | instskip(NEXT) | instid1(VALU_DEP_1)
	v_or3_b32 v8, v10, v8, v11
	v_dual_mov_b32 v95, v9 :: v_dual_mov_b32 v94, v8
.LBB287_3752:                           ;   in Loop: Header=BB287_2082 Depth=1
	s_or_b32 exec_lo, exec_lo, s2
.LBB287_3753:                           ;   in Loop: Header=BB287_2082 Depth=1
	s_delay_alu instid0(SALU_CYCLE_1)
	s_or_b32 exec_lo, exec_lo, s1
.LBB287_3754:                           ;   in Loop: Header=BB287_2082 Depth=1
	s_delay_alu instid0(SALU_CYCLE_1) | instskip(SKIP_2) | instid1(VALU_DEP_1)
	s_or_b32 exec_lo, exec_lo, s0
	v_lshrrev_b16 v8, 8, v18
	s_mov_b32 s0, exec_lo
	v_cmpx_ne_u16_e32 0, v8
	s_cbranch_execz .LBB287_3762
; %bb.3755:                             ;   in Loop: Header=BB287_2082 Depth=1
	v_dual_mov_b32 v49, s9 :: v_dual_mov_b32 v48, s8
	s_mov_b32 s1, exec_lo
	v_cmpx_ne_u16_e32 0x80, v8
	s_cbranch_execz .LBB287_3761
; %bb.3756:                             ;   in Loop: Header=BB287_2082 Depth=1
	s_mov_b32 s12, s8
	v_dual_mov_b32 v49, s13 :: v_dual_and_b32 v8, 0xffff, v8
	v_mov_b32_e32 v48, s12
	s_mov_b32 s2, exec_lo
	s_delay_alu instid0(VALU_DEP_2) | instskip(NEXT) | instid1(VALU_DEP_1)
	v_and_b32_e32 v10, 0x7f, v8
	v_cmpx_ne_u32_e32 0x7f, v10
	s_cbranch_execz .LBB287_3760
; %bb.3757:                             ;   in Loop: Header=BB287_2082 Depth=1
	v_and_b32_e32 v8, 7, v8
	v_lshrrev_b32_e32 v19, 3, v10
	v_cmp_gt_u32_e32 vcc_lo, 8, v10
	s_delay_alu instid0(VALU_DEP_3)
	v_dual_mov_b32 v11, v9 :: v_dual_mov_b32 v10, v8
	s_and_saveexec_b32 s3, vcc_lo
; %bb.3758:                             ;   in Loop: Header=BB287_2082 Depth=1
	v_clz_i32_u32_e32 v10, v8
	s_delay_alu instid0(VALU_DEP_1) | instskip(NEXT) | instid1(VALU_DEP_1)
	v_min_u32_e32 v19, 32, v10
	v_subrev_nc_u32_e32 v10, 28, v19
	v_sub_nc_u32_e32 v19, 29, v19
	s_delay_alu instid0(VALU_DEP_2) | instskip(NEXT) | instid1(VALU_DEP_1)
	v_lshlrev_b64 v[10:11], v10, v[8:9]
	v_and_b32_e32 v10, 7, v10
; %bb.3759:                             ;   in Loop: Header=BB287_2082 Depth=1
	s_or_b32 exec_lo, exec_lo, s3
	v_lshlrev_b32_e32 v8, 16, v18
	s_delay_alu instid0(VALU_DEP_2) | instskip(SKIP_2) | instid1(VALU_DEP_4)
	v_lshlrev_b32_e32 v10, 20, v10
	v_lshl_add_u32 v11, v19, 23, 0x3c000000
	v_mov_b32_e32 v48, v9
	v_and_b32_e32 v8, 0x80000000, v8
	s_delay_alu instid0(VALU_DEP_1)
	v_or3_b32 v49, v10, v8, v11
.LBB287_3760:                           ;   in Loop: Header=BB287_2082 Depth=1
	s_or_b32 exec_lo, exec_lo, s2
.LBB287_3761:                           ;   in Loop: Header=BB287_2082 Depth=1
	s_delay_alu instid0(SALU_CYCLE_1)
	s_or_b32 exec_lo, exec_lo, s1
.LBB287_3762:                           ;   in Loop: Header=BB287_2082 Depth=1
	s_delay_alu instid0(SALU_CYCLE_1) | instskip(SKIP_4) | instid1(VALU_DEP_2)
	s_or_b32 exec_lo, exec_lo, s0
	v_mov_b32_e32 v106, 0
	v_lshrrev_b32_e32 v19, 16, v18
	v_mov_b32_e32 v107, 0
	s_mov_b32 s0, exec_lo
	v_and_b32_e32 v8, 0xff, v19
	s_delay_alu instid0(VALU_DEP_2) | instskip(NEXT) | instid1(VALU_DEP_2)
	v_dual_mov_b32 v92, v106 :: v_dual_mov_b32 v93, v107
	v_cmpx_ne_u16_e32 0, v8
	s_cbranch_execz .LBB287_3770
; %bb.3763:                             ;   in Loop: Header=BB287_2082 Depth=1
	v_bfrev_b32_e32 v92, 1
	v_mov_b32_e32 v93, 0
	s_mov_b32 s1, exec_lo
	v_cmpx_ne_u16_e32 0x80, v8
	s_cbranch_execz .LBB287_3769
; %bb.3764:                             ;   in Loop: Header=BB287_2082 Depth=1
	v_mov_b32_e32 v92, 0x7f800001
	v_bfe_u32 v10, v18, 16, 7
	v_mov_b32_e32 v93, 0
	s_mov_b32 s2, exec_lo
	s_delay_alu instid0(VALU_DEP_2)
	v_cmpx_ne_u32_e32 0x7f, v10
	s_cbranch_execz .LBB287_3768
; %bb.3765:                             ;   in Loop: Header=BB287_2082 Depth=1
	v_and_b32_e32 v8, 7, v19
	v_lshrrev_b32_e32 v20, 3, v10
	v_cmp_gt_u32_e32 vcc_lo, 8, v10
	s_delay_alu instid0(VALU_DEP_3)
	v_dual_mov_b32 v11, v9 :: v_dual_mov_b32 v10, v8
	s_and_saveexec_b32 s3, vcc_lo
; %bb.3766:                             ;   in Loop: Header=BB287_2082 Depth=1
	v_clz_i32_u32_e32 v10, v8
	s_delay_alu instid0(VALU_DEP_1) | instskip(NEXT) | instid1(VALU_DEP_1)
	v_min_u32_e32 v20, 32, v10
	v_subrev_nc_u32_e32 v10, 28, v20
	v_sub_nc_u32_e32 v20, 29, v20
	s_delay_alu instid0(VALU_DEP_2) | instskip(NEXT) | instid1(VALU_DEP_1)
	v_lshlrev_b64 v[10:11], v10, v[8:9]
	v_and_b32_e32 v10, 7, v10
; %bb.3767:                             ;   in Loop: Header=BB287_2082 Depth=1
	s_or_b32 exec_lo, exec_lo, s3
	v_lshlrev_b32_e32 v8, 24, v19
	s_delay_alu instid0(VALU_DEP_2) | instskip(SKIP_1) | instid1(VALU_DEP_3)
	v_lshlrev_b32_e32 v10, 20, v10
	v_lshl_add_u32 v11, v20, 23, 0x3c000000
	v_and_b32_e32 v8, 0x80000000, v8
	s_delay_alu instid0(VALU_DEP_1) | instskip(NEXT) | instid1(VALU_DEP_1)
	v_or3_b32 v8, v10, v8, v11
	v_dual_mov_b32 v93, v9 :: v_dual_mov_b32 v92, v8
.LBB287_3768:                           ;   in Loop: Header=BB287_2082 Depth=1
	s_or_b32 exec_lo, exec_lo, s2
.LBB287_3769:                           ;   in Loop: Header=BB287_2082 Depth=1
	s_delay_alu instid0(SALU_CYCLE_1)
	s_or_b32 exec_lo, exec_lo, s1
.LBB287_3770:                           ;   in Loop: Header=BB287_2082 Depth=1
	s_delay_alu instid0(SALU_CYCLE_1) | instskip(NEXT) | instid1(SALU_CYCLE_1)
	s_or_b32 exec_lo, exec_lo, s0
	s_mov_b32 s0, exec_lo
	v_cmpx_lt_u32_e32 0xffffff, v18
	s_cbranch_execz .LBB287_3778
; %bb.3771:                             ;   in Loop: Header=BB287_2082 Depth=1
	v_lshrrev_b32_e32 v19, 24, v18
	v_dual_mov_b32 v107, s9 :: v_dual_mov_b32 v106, s8
	s_mov_b32 s1, exec_lo
	s_delay_alu instid0(VALU_DEP_2)
	v_cmpx_ne_u32_e32 0x80, v19
	s_cbranch_execz .LBB287_3777
; %bb.3772:                             ;   in Loop: Header=BB287_2082 Depth=1
	s_mov_b32 s12, s8
	v_bfe_u32 v10, v18, 24, 7
	v_dual_mov_b32 v107, s13 :: v_dual_mov_b32 v106, s12
	s_mov_b32 s2, exec_lo
	s_delay_alu instid0(VALU_DEP_2)
	v_cmpx_ne_u32_e32 0x7f, v10
	s_cbranch_execz .LBB287_3776
; %bb.3773:                             ;   in Loop: Header=BB287_2082 Depth=1
	v_and_b32_e32 v8, 7, v19
	v_lshrrev_b32_e32 v18, 3, v10
	v_cmp_gt_u32_e32 vcc_lo, 8, v10
	s_delay_alu instid0(VALU_DEP_3)
	v_dual_mov_b32 v11, v9 :: v_dual_mov_b32 v10, v8
	s_and_saveexec_b32 s3, vcc_lo
; %bb.3774:                             ;   in Loop: Header=BB287_2082 Depth=1
	v_clz_i32_u32_e32 v10, v8
	s_delay_alu instid0(VALU_DEP_1) | instskip(NEXT) | instid1(VALU_DEP_1)
	v_min_u32_e32 v18, 32, v10
	v_subrev_nc_u32_e32 v10, 28, v18
	v_sub_nc_u32_e32 v18, 29, v18
	s_delay_alu instid0(VALU_DEP_2) | instskip(NEXT) | instid1(VALU_DEP_1)
	v_lshlrev_b64 v[10:11], v10, v[8:9]
	v_and_b32_e32 v10, 7, v10
; %bb.3775:                             ;   in Loop: Header=BB287_2082 Depth=1
	s_or_b32 exec_lo, exec_lo, s3
	v_lshlrev_b32_e32 v8, 24, v19
	s_delay_alu instid0(VALU_DEP_2) | instskip(SKIP_2) | instid1(VALU_DEP_4)
	v_lshlrev_b32_e32 v10, 20, v10
	v_lshl_add_u32 v11, v18, 23, 0x3c000000
	v_mov_b32_e32 v106, v9
	v_and_b32_e32 v8, 0x80000000, v8
	s_delay_alu instid0(VALU_DEP_1)
	v_or3_b32 v107, v10, v8, v11
.LBB287_3776:                           ;   in Loop: Header=BB287_2082 Depth=1
	s_or_b32 exec_lo, exec_lo, s2
.LBB287_3777:                           ;   in Loop: Header=BB287_2082 Depth=1
	s_delay_alu instid0(SALU_CYCLE_1)
	s_or_b32 exec_lo, exec_lo, s1
.LBB287_3778:                           ;   in Loop: Header=BB287_2082 Depth=1
	s_delay_alu instid0(SALU_CYCLE_1)
	s_or_b32 exec_lo, exec_lo, s0
	scratch_load_b32 v8, off, s32 offset:2724 ; 4-byte Folded Reload
	v_mov_b32_e32 v110, 0
	s_mov_b32 s0, exec_lo
	s_waitcnt vmcnt(0)
	v_add_co_u32 v10, vcc_lo, v162, v8
	v_add_co_ci_u32_e32 v11, vcc_lo, 0, v163, vcc_lo
	flat_load_b32 v18, v[10:11]
	s_waitcnt vmcnt(0) lgkmcnt(0)
	v_dual_mov_b32 v111, 0 :: v_dual_and_b32 v8, 0xff, v18
	s_delay_alu instid0(VALU_DEP_1) | instskip(NEXT) | instid1(VALU_DEP_2)
	v_dual_mov_b32 v113, v111 :: v_dual_mov_b32 v112, v110
	v_cmpx_ne_u16_e32 0, v8
	s_cbranch_execz .LBB287_3786
; %bb.3779:                             ;   in Loop: Header=BB287_2082 Depth=1
	v_bfrev_b32_e32 v112, 1
	v_mov_b32_e32 v113, 0
	s_mov_b32 s1, exec_lo
	v_cmpx_ne_u16_e32 0x80, v8
	s_cbranch_execz .LBB287_3785
; %bb.3780:                             ;   in Loop: Header=BB287_2082 Depth=1
	v_mov_b32_e32 v112, 0x7f800001
	v_dual_mov_b32 v113, 0 :: v_dual_and_b32 v10, 0x7f, v18
	s_mov_b32 s2, exec_lo
	s_delay_alu instid0(VALU_DEP_1)
	v_cmpx_ne_u32_e32 0x7f, v10
	s_cbranch_execz .LBB287_3784
; %bb.3781:                             ;   in Loop: Header=BB287_2082 Depth=1
	v_and_b32_e32 v8, 7, v18
	v_lshrrev_b32_e32 v19, 3, v10
	v_cmp_gt_u32_e32 vcc_lo, 8, v10
	s_delay_alu instid0(VALU_DEP_3)
	v_dual_mov_b32 v11, v9 :: v_dual_mov_b32 v10, v8
	s_and_saveexec_b32 s3, vcc_lo
; %bb.3782:                             ;   in Loop: Header=BB287_2082 Depth=1
	v_clz_i32_u32_e32 v10, v8
	s_delay_alu instid0(VALU_DEP_1) | instskip(NEXT) | instid1(VALU_DEP_1)
	v_min_u32_e32 v19, 32, v10
	v_subrev_nc_u32_e32 v10, 28, v19
	v_sub_nc_u32_e32 v19, 29, v19
	s_delay_alu instid0(VALU_DEP_2) | instskip(NEXT) | instid1(VALU_DEP_1)
	v_lshlrev_b64 v[10:11], v10, v[8:9]
	v_and_b32_e32 v10, 7, v10
; %bb.3783:                             ;   in Loop: Header=BB287_2082 Depth=1
	s_or_b32 exec_lo, exec_lo, s3
	v_lshlrev_b32_e32 v8, 24, v18
	s_delay_alu instid0(VALU_DEP_2) | instskip(SKIP_1) | instid1(VALU_DEP_3)
	v_lshlrev_b32_e32 v10, 20, v10
	v_lshl_add_u32 v11, v19, 23, 0x3c000000
	v_and_b32_e32 v8, 0x80000000, v8
	s_delay_alu instid0(VALU_DEP_1) | instskip(NEXT) | instid1(VALU_DEP_1)
	v_or3_b32 v8, v10, v8, v11
	v_dual_mov_b32 v113, v9 :: v_dual_mov_b32 v112, v8
.LBB287_3784:                           ;   in Loop: Header=BB287_2082 Depth=1
	s_or_b32 exec_lo, exec_lo, s2
.LBB287_3785:                           ;   in Loop: Header=BB287_2082 Depth=1
	s_delay_alu instid0(SALU_CYCLE_1)
	s_or_b32 exec_lo, exec_lo, s1
.LBB287_3786:                           ;   in Loop: Header=BB287_2082 Depth=1
	s_delay_alu instid0(SALU_CYCLE_1) | instskip(SKIP_2) | instid1(VALU_DEP_1)
	s_or_b32 exec_lo, exec_lo, s0
	v_lshrrev_b16 v8, 8, v18
	s_mov_b32 s0, exec_lo
	v_cmpx_ne_u16_e32 0, v8
	s_cbranch_execz .LBB287_3794
; %bb.3787:                             ;   in Loop: Header=BB287_2082 Depth=1
	v_dual_mov_b32 v111, s9 :: v_dual_mov_b32 v110, s8
	s_mov_b32 s1, exec_lo
	v_cmpx_ne_u16_e32 0x80, v8
	s_cbranch_execz .LBB287_3793
; %bb.3788:                             ;   in Loop: Header=BB287_2082 Depth=1
	s_mov_b32 s12, s8
	v_dual_mov_b32 v111, s13 :: v_dual_and_b32 v8, 0xffff, v8
	v_mov_b32_e32 v110, s12
	s_mov_b32 s2, exec_lo
	s_delay_alu instid0(VALU_DEP_2) | instskip(NEXT) | instid1(VALU_DEP_1)
	v_and_b32_e32 v10, 0x7f, v8
	v_cmpx_ne_u32_e32 0x7f, v10
	s_cbranch_execz .LBB287_3792
; %bb.3789:                             ;   in Loop: Header=BB287_2082 Depth=1
	v_and_b32_e32 v8, 7, v8
	v_lshrrev_b32_e32 v19, 3, v10
	v_cmp_gt_u32_e32 vcc_lo, 8, v10
	s_delay_alu instid0(VALU_DEP_3)
	v_dual_mov_b32 v11, v9 :: v_dual_mov_b32 v10, v8
	s_and_saveexec_b32 s3, vcc_lo
; %bb.3790:                             ;   in Loop: Header=BB287_2082 Depth=1
	v_clz_i32_u32_e32 v10, v8
	s_delay_alu instid0(VALU_DEP_1) | instskip(NEXT) | instid1(VALU_DEP_1)
	v_min_u32_e32 v19, 32, v10
	v_subrev_nc_u32_e32 v10, 28, v19
	v_sub_nc_u32_e32 v19, 29, v19
	s_delay_alu instid0(VALU_DEP_2) | instskip(NEXT) | instid1(VALU_DEP_1)
	v_lshlrev_b64 v[10:11], v10, v[8:9]
	v_and_b32_e32 v10, 7, v10
; %bb.3791:                             ;   in Loop: Header=BB287_2082 Depth=1
	s_or_b32 exec_lo, exec_lo, s3
	v_lshlrev_b32_e32 v8, 16, v18
	s_delay_alu instid0(VALU_DEP_2) | instskip(SKIP_2) | instid1(VALU_DEP_4)
	v_lshlrev_b32_e32 v10, 20, v10
	v_lshl_add_u32 v11, v19, 23, 0x3c000000
	v_mov_b32_e32 v110, v9
	v_and_b32_e32 v8, 0x80000000, v8
	s_delay_alu instid0(VALU_DEP_1)
	v_or3_b32 v111, v10, v8, v11
.LBB287_3792:                           ;   in Loop: Header=BB287_2082 Depth=1
	s_or_b32 exec_lo, exec_lo, s2
.LBB287_3793:                           ;   in Loop: Header=BB287_2082 Depth=1
	s_delay_alu instid0(SALU_CYCLE_1)
	s_or_b32 exec_lo, exec_lo, s1
.LBB287_3794:                           ;   in Loop: Header=BB287_2082 Depth=1
	s_delay_alu instid0(SALU_CYCLE_1) | instskip(SKIP_4) | instid1(VALU_DEP_2)
	s_or_b32 exec_lo, exec_lo, s0
	v_mov_b32_e32 v128, 0
	v_lshrrev_b32_e32 v19, 16, v18
	v_mov_b32_e32 v129, 0
	s_mov_b32 s0, exec_lo
	v_and_b32_e32 v8, 0xff, v19
	s_delay_alu instid0(VALU_DEP_2) | instskip(NEXT) | instid1(VALU_DEP_2)
	v_dual_mov_b32 v122, v128 :: v_dual_mov_b32 v123, v129
	v_cmpx_ne_u16_e32 0, v8
	s_cbranch_execz .LBB287_3802
; %bb.3795:                             ;   in Loop: Header=BB287_2082 Depth=1
	v_bfrev_b32_e32 v122, 1
	v_mov_b32_e32 v123, 0
	s_mov_b32 s1, exec_lo
	v_cmpx_ne_u16_e32 0x80, v8
	s_cbranch_execz .LBB287_3801
; %bb.3796:                             ;   in Loop: Header=BB287_2082 Depth=1
	v_mov_b32_e32 v122, 0x7f800001
	v_bfe_u32 v10, v18, 16, 7
	v_mov_b32_e32 v123, 0
	s_mov_b32 s2, exec_lo
	s_delay_alu instid0(VALU_DEP_2)
	v_cmpx_ne_u32_e32 0x7f, v10
	s_cbranch_execz .LBB287_3800
; %bb.3797:                             ;   in Loop: Header=BB287_2082 Depth=1
	v_and_b32_e32 v8, 7, v19
	v_lshrrev_b32_e32 v20, 3, v10
	v_cmp_gt_u32_e32 vcc_lo, 8, v10
	s_delay_alu instid0(VALU_DEP_3)
	v_dual_mov_b32 v11, v9 :: v_dual_mov_b32 v10, v8
	s_and_saveexec_b32 s3, vcc_lo
; %bb.3798:                             ;   in Loop: Header=BB287_2082 Depth=1
	v_clz_i32_u32_e32 v10, v8
	s_delay_alu instid0(VALU_DEP_1) | instskip(NEXT) | instid1(VALU_DEP_1)
	v_min_u32_e32 v20, 32, v10
	v_subrev_nc_u32_e32 v10, 28, v20
	v_sub_nc_u32_e32 v20, 29, v20
	s_delay_alu instid0(VALU_DEP_2) | instskip(NEXT) | instid1(VALU_DEP_1)
	v_lshlrev_b64 v[10:11], v10, v[8:9]
	v_and_b32_e32 v10, 7, v10
; %bb.3799:                             ;   in Loop: Header=BB287_2082 Depth=1
	s_or_b32 exec_lo, exec_lo, s3
	v_lshlrev_b32_e32 v8, 24, v19
	s_delay_alu instid0(VALU_DEP_2) | instskip(SKIP_1) | instid1(VALU_DEP_3)
	v_lshlrev_b32_e32 v10, 20, v10
	v_lshl_add_u32 v11, v20, 23, 0x3c000000
	v_and_b32_e32 v8, 0x80000000, v8
	s_delay_alu instid0(VALU_DEP_1) | instskip(NEXT) | instid1(VALU_DEP_1)
	v_or3_b32 v8, v10, v8, v11
	v_dual_mov_b32 v123, v9 :: v_dual_mov_b32 v122, v8
.LBB287_3800:                           ;   in Loop: Header=BB287_2082 Depth=1
	s_or_b32 exec_lo, exec_lo, s2
.LBB287_3801:                           ;   in Loop: Header=BB287_2082 Depth=1
	s_delay_alu instid0(SALU_CYCLE_1)
	s_or_b32 exec_lo, exec_lo, s1
.LBB287_3802:                           ;   in Loop: Header=BB287_2082 Depth=1
	s_delay_alu instid0(SALU_CYCLE_1) | instskip(NEXT) | instid1(SALU_CYCLE_1)
	s_or_b32 exec_lo, exec_lo, s0
	s_mov_b32 s0, exec_lo
	v_cmpx_lt_u32_e32 0xffffff, v18
	s_cbranch_execz .LBB287_3810
; %bb.3803:                             ;   in Loop: Header=BB287_2082 Depth=1
	v_lshrrev_b32_e32 v19, 24, v18
	v_dual_mov_b32 v129, s9 :: v_dual_mov_b32 v128, s8
	s_mov_b32 s1, exec_lo
	s_delay_alu instid0(VALU_DEP_2)
	v_cmpx_ne_u32_e32 0x80, v19
	s_cbranch_execz .LBB287_3809
; %bb.3804:                             ;   in Loop: Header=BB287_2082 Depth=1
	s_mov_b32 s12, s8
	v_bfe_u32 v10, v18, 24, 7
	v_dual_mov_b32 v129, s13 :: v_dual_mov_b32 v128, s12
	s_mov_b32 s2, exec_lo
	s_delay_alu instid0(VALU_DEP_2)
	v_cmpx_ne_u32_e32 0x7f, v10
	s_cbranch_execz .LBB287_3808
; %bb.3805:                             ;   in Loop: Header=BB287_2082 Depth=1
	v_and_b32_e32 v8, 7, v19
	v_lshrrev_b32_e32 v18, 3, v10
	v_cmp_gt_u32_e32 vcc_lo, 8, v10
	s_delay_alu instid0(VALU_DEP_3)
	v_dual_mov_b32 v11, v9 :: v_dual_mov_b32 v10, v8
	s_and_saveexec_b32 s3, vcc_lo
; %bb.3806:                             ;   in Loop: Header=BB287_2082 Depth=1
	v_clz_i32_u32_e32 v10, v8
	s_delay_alu instid0(VALU_DEP_1) | instskip(NEXT) | instid1(VALU_DEP_1)
	v_min_u32_e32 v18, 32, v10
	v_subrev_nc_u32_e32 v10, 28, v18
	v_sub_nc_u32_e32 v18, 29, v18
	s_delay_alu instid0(VALU_DEP_2) | instskip(NEXT) | instid1(VALU_DEP_1)
	v_lshlrev_b64 v[10:11], v10, v[8:9]
	v_and_b32_e32 v10, 7, v10
; %bb.3807:                             ;   in Loop: Header=BB287_2082 Depth=1
	s_or_b32 exec_lo, exec_lo, s3
	v_lshlrev_b32_e32 v8, 24, v19
	s_delay_alu instid0(VALU_DEP_2) | instskip(SKIP_2) | instid1(VALU_DEP_4)
	v_lshlrev_b32_e32 v10, 20, v10
	v_lshl_add_u32 v11, v18, 23, 0x3c000000
	v_mov_b32_e32 v128, v9
	v_and_b32_e32 v8, 0x80000000, v8
	s_delay_alu instid0(VALU_DEP_1)
	v_or3_b32 v129, v10, v8, v11
.LBB287_3808:                           ;   in Loop: Header=BB287_2082 Depth=1
	s_or_b32 exec_lo, exec_lo, s2
.LBB287_3809:                           ;   in Loop: Header=BB287_2082 Depth=1
	s_delay_alu instid0(SALU_CYCLE_1)
	s_or_b32 exec_lo, exec_lo, s1
.LBB287_3810:                           ;   in Loop: Header=BB287_2082 Depth=1
	s_delay_alu instid0(SALU_CYCLE_1)
	s_or_b32 exec_lo, exec_lo, s0
	scratch_load_b32 v8, off, s32 offset:2740 ; 4-byte Folded Reload
	v_mov_b32_e32 v144, 0
	s_mov_b32 s0, exec_lo
	s_waitcnt vmcnt(0)
	v_add_co_u32 v10, vcc_lo, v162, v8
	v_add_co_ci_u32_e32 v11, vcc_lo, 0, v163, vcc_lo
	flat_load_b32 v18, v[10:11]
	s_waitcnt vmcnt(0) lgkmcnt(0)
	v_dual_mov_b32 v145, 0 :: v_dual_and_b32 v8, 0xff, v18
	s_delay_alu instid0(VALU_DEP_1) | instskip(NEXT) | instid1(VALU_DEP_2)
	v_dual_mov_b32 v147, v145 :: v_dual_mov_b32 v146, v144
	v_cmpx_ne_u16_e32 0, v8
	s_cbranch_execz .LBB287_3818
; %bb.3811:                             ;   in Loop: Header=BB287_2082 Depth=1
	v_bfrev_b32_e32 v146, 1
	v_mov_b32_e32 v147, 0
	s_mov_b32 s1, exec_lo
	v_cmpx_ne_u16_e32 0x80, v8
	s_cbranch_execz .LBB287_3817
; %bb.3812:                             ;   in Loop: Header=BB287_2082 Depth=1
	v_mov_b32_e32 v146, 0x7f800001
	v_dual_mov_b32 v147, 0 :: v_dual_and_b32 v10, 0x7f, v18
	s_mov_b32 s2, exec_lo
	s_delay_alu instid0(VALU_DEP_1)
	v_cmpx_ne_u32_e32 0x7f, v10
	s_cbranch_execz .LBB287_3816
; %bb.3813:                             ;   in Loop: Header=BB287_2082 Depth=1
	v_and_b32_e32 v8, 7, v18
	v_lshrrev_b32_e32 v19, 3, v10
	v_cmp_gt_u32_e32 vcc_lo, 8, v10
	s_delay_alu instid0(VALU_DEP_3)
	v_dual_mov_b32 v11, v9 :: v_dual_mov_b32 v10, v8
	s_and_saveexec_b32 s3, vcc_lo
; %bb.3814:                             ;   in Loop: Header=BB287_2082 Depth=1
	v_clz_i32_u32_e32 v10, v8
	s_delay_alu instid0(VALU_DEP_1) | instskip(NEXT) | instid1(VALU_DEP_1)
	v_min_u32_e32 v19, 32, v10
	v_subrev_nc_u32_e32 v10, 28, v19
	v_sub_nc_u32_e32 v19, 29, v19
	s_delay_alu instid0(VALU_DEP_2) | instskip(NEXT) | instid1(VALU_DEP_1)
	v_lshlrev_b64 v[10:11], v10, v[8:9]
	v_and_b32_e32 v10, 7, v10
; %bb.3815:                             ;   in Loop: Header=BB287_2082 Depth=1
	s_or_b32 exec_lo, exec_lo, s3
	v_lshlrev_b32_e32 v8, 24, v18
	s_delay_alu instid0(VALU_DEP_2) | instskip(SKIP_1) | instid1(VALU_DEP_3)
	v_lshlrev_b32_e32 v10, 20, v10
	v_lshl_add_u32 v11, v19, 23, 0x3c000000
	v_and_b32_e32 v8, 0x80000000, v8
	s_delay_alu instid0(VALU_DEP_1) | instskip(NEXT) | instid1(VALU_DEP_1)
	v_or3_b32 v8, v10, v8, v11
	v_dual_mov_b32 v147, v9 :: v_dual_mov_b32 v146, v8
.LBB287_3816:                           ;   in Loop: Header=BB287_2082 Depth=1
	s_or_b32 exec_lo, exec_lo, s2
.LBB287_3817:                           ;   in Loop: Header=BB287_2082 Depth=1
	s_delay_alu instid0(SALU_CYCLE_1)
	s_or_b32 exec_lo, exec_lo, s1
.LBB287_3818:                           ;   in Loop: Header=BB287_2082 Depth=1
	s_delay_alu instid0(SALU_CYCLE_1) | instskip(SKIP_2) | instid1(VALU_DEP_1)
	s_or_b32 exec_lo, exec_lo, s0
	v_lshrrev_b16 v8, 8, v18
	s_mov_b32 s0, exec_lo
	v_cmpx_ne_u16_e32 0, v8
	s_cbranch_execz .LBB287_3826
; %bb.3819:                             ;   in Loop: Header=BB287_2082 Depth=1
	v_dual_mov_b32 v145, s9 :: v_dual_mov_b32 v144, s8
	s_mov_b32 s1, exec_lo
	v_cmpx_ne_u16_e32 0x80, v8
	s_cbranch_execz .LBB287_3825
; %bb.3820:                             ;   in Loop: Header=BB287_2082 Depth=1
	s_mov_b32 s12, s8
	v_dual_mov_b32 v145, s13 :: v_dual_and_b32 v8, 0xffff, v8
	v_mov_b32_e32 v144, s12
	s_mov_b32 s2, exec_lo
	s_delay_alu instid0(VALU_DEP_2) | instskip(NEXT) | instid1(VALU_DEP_1)
	v_and_b32_e32 v10, 0x7f, v8
	v_cmpx_ne_u32_e32 0x7f, v10
	s_cbranch_execz .LBB287_3824
; %bb.3821:                             ;   in Loop: Header=BB287_2082 Depth=1
	v_and_b32_e32 v8, 7, v8
	v_lshrrev_b32_e32 v19, 3, v10
	v_cmp_gt_u32_e32 vcc_lo, 8, v10
	s_delay_alu instid0(VALU_DEP_3)
	v_dual_mov_b32 v11, v9 :: v_dual_mov_b32 v10, v8
	s_and_saveexec_b32 s3, vcc_lo
; %bb.3822:                             ;   in Loop: Header=BB287_2082 Depth=1
	v_clz_i32_u32_e32 v10, v8
	s_delay_alu instid0(VALU_DEP_1) | instskip(NEXT) | instid1(VALU_DEP_1)
	v_min_u32_e32 v19, 32, v10
	v_subrev_nc_u32_e32 v10, 28, v19
	v_sub_nc_u32_e32 v19, 29, v19
	s_delay_alu instid0(VALU_DEP_2) | instskip(NEXT) | instid1(VALU_DEP_1)
	v_lshlrev_b64 v[10:11], v10, v[8:9]
	v_and_b32_e32 v10, 7, v10
; %bb.3823:                             ;   in Loop: Header=BB287_2082 Depth=1
	s_or_b32 exec_lo, exec_lo, s3
	v_lshlrev_b32_e32 v8, 16, v18
	s_delay_alu instid0(VALU_DEP_2) | instskip(SKIP_2) | instid1(VALU_DEP_4)
	v_lshlrev_b32_e32 v10, 20, v10
	v_lshl_add_u32 v11, v19, 23, 0x3c000000
	v_mov_b32_e32 v144, v9
	v_and_b32_e32 v8, 0x80000000, v8
	s_delay_alu instid0(VALU_DEP_1)
	v_or3_b32 v145, v10, v8, v11
.LBB287_3824:                           ;   in Loop: Header=BB287_2082 Depth=1
	s_or_b32 exec_lo, exec_lo, s2
.LBB287_3825:                           ;   in Loop: Header=BB287_2082 Depth=1
	s_delay_alu instid0(SALU_CYCLE_1)
	s_or_b32 exec_lo, exec_lo, s1
.LBB287_3826:                           ;   in Loop: Header=BB287_2082 Depth=1
	s_delay_alu instid0(SALU_CYCLE_1) | instskip(SKIP_4) | instid1(VALU_DEP_2)
	s_or_b32 exec_lo, exec_lo, s0
	v_mov_b32_e32 v160, 0
	v_lshrrev_b32_e32 v19, 16, v18
	v_mov_b32_e32 v161, 0
	s_mov_b32 s0, exec_lo
	v_and_b32_e32 v8, 0xff, v19
	s_delay_alu instid0(VALU_DEP_2) | instskip(NEXT) | instid1(VALU_DEP_2)
	v_dual_mov_b32 v150, v160 :: v_dual_mov_b32 v151, v161
	v_cmpx_ne_u16_e32 0, v8
	s_cbranch_execz .LBB287_3834
; %bb.3827:                             ;   in Loop: Header=BB287_2082 Depth=1
	v_bfrev_b32_e32 v150, 1
	v_mov_b32_e32 v151, 0
	s_mov_b32 s1, exec_lo
	v_cmpx_ne_u16_e32 0x80, v8
	s_cbranch_execz .LBB287_3833
; %bb.3828:                             ;   in Loop: Header=BB287_2082 Depth=1
	v_mov_b32_e32 v150, 0x7f800001
	v_bfe_u32 v10, v18, 16, 7
	v_mov_b32_e32 v151, 0
	s_mov_b32 s2, exec_lo
	s_delay_alu instid0(VALU_DEP_2)
	v_cmpx_ne_u32_e32 0x7f, v10
	s_cbranch_execz .LBB287_3832
; %bb.3829:                             ;   in Loop: Header=BB287_2082 Depth=1
	v_and_b32_e32 v8, 7, v19
	v_lshrrev_b32_e32 v20, 3, v10
	v_cmp_gt_u32_e32 vcc_lo, 8, v10
	s_delay_alu instid0(VALU_DEP_3)
	v_dual_mov_b32 v11, v9 :: v_dual_mov_b32 v10, v8
	s_and_saveexec_b32 s3, vcc_lo
; %bb.3830:                             ;   in Loop: Header=BB287_2082 Depth=1
	v_clz_i32_u32_e32 v10, v8
	s_delay_alu instid0(VALU_DEP_1) | instskip(NEXT) | instid1(VALU_DEP_1)
	v_min_u32_e32 v20, 32, v10
	v_subrev_nc_u32_e32 v10, 28, v20
	v_sub_nc_u32_e32 v20, 29, v20
	s_delay_alu instid0(VALU_DEP_2) | instskip(NEXT) | instid1(VALU_DEP_1)
	v_lshlrev_b64 v[10:11], v10, v[8:9]
	v_and_b32_e32 v10, 7, v10
; %bb.3831:                             ;   in Loop: Header=BB287_2082 Depth=1
	s_or_b32 exec_lo, exec_lo, s3
	v_lshlrev_b32_e32 v8, 24, v19
	s_delay_alu instid0(VALU_DEP_2) | instskip(SKIP_1) | instid1(VALU_DEP_3)
	v_lshlrev_b32_e32 v10, 20, v10
	v_lshl_add_u32 v11, v20, 23, 0x3c000000
	v_and_b32_e32 v8, 0x80000000, v8
	s_delay_alu instid0(VALU_DEP_1) | instskip(NEXT) | instid1(VALU_DEP_1)
	v_or3_b32 v8, v10, v8, v11
	v_dual_mov_b32 v151, v9 :: v_dual_mov_b32 v150, v8
.LBB287_3832:                           ;   in Loop: Header=BB287_2082 Depth=1
	s_or_b32 exec_lo, exec_lo, s2
.LBB287_3833:                           ;   in Loop: Header=BB287_2082 Depth=1
	s_delay_alu instid0(SALU_CYCLE_1)
	s_or_b32 exec_lo, exec_lo, s1
.LBB287_3834:                           ;   in Loop: Header=BB287_2082 Depth=1
	s_delay_alu instid0(SALU_CYCLE_1) | instskip(NEXT) | instid1(SALU_CYCLE_1)
	s_or_b32 exec_lo, exec_lo, s0
	s_mov_b32 s0, exec_lo
	v_cmpx_lt_u32_e32 0xffffff, v18
	s_cbranch_execz .LBB287_3842
; %bb.3835:                             ;   in Loop: Header=BB287_2082 Depth=1
	v_lshrrev_b32_e32 v19, 24, v18
	v_dual_mov_b32 v161, s9 :: v_dual_mov_b32 v160, s8
	s_mov_b32 s1, exec_lo
	s_delay_alu instid0(VALU_DEP_2)
	v_cmpx_ne_u32_e32 0x80, v19
	s_cbranch_execz .LBB287_3841
; %bb.3836:                             ;   in Loop: Header=BB287_2082 Depth=1
	s_mov_b32 s12, s8
	v_bfe_u32 v10, v18, 24, 7
	v_dual_mov_b32 v161, s13 :: v_dual_mov_b32 v160, s12
	s_mov_b32 s2, exec_lo
	s_delay_alu instid0(VALU_DEP_2)
	v_cmpx_ne_u32_e32 0x7f, v10
	s_cbranch_execz .LBB287_3840
; %bb.3837:                             ;   in Loop: Header=BB287_2082 Depth=1
	v_and_b32_e32 v8, 7, v19
	v_lshrrev_b32_e32 v18, 3, v10
	v_cmp_gt_u32_e32 vcc_lo, 8, v10
	s_delay_alu instid0(VALU_DEP_3)
	v_dual_mov_b32 v11, v9 :: v_dual_mov_b32 v10, v8
	s_and_saveexec_b32 s3, vcc_lo
; %bb.3838:                             ;   in Loop: Header=BB287_2082 Depth=1
	v_clz_i32_u32_e32 v10, v8
	s_delay_alu instid0(VALU_DEP_1) | instskip(NEXT) | instid1(VALU_DEP_1)
	v_min_u32_e32 v18, 32, v10
	v_subrev_nc_u32_e32 v10, 28, v18
	v_sub_nc_u32_e32 v18, 29, v18
	s_delay_alu instid0(VALU_DEP_2) | instskip(NEXT) | instid1(VALU_DEP_1)
	v_lshlrev_b64 v[10:11], v10, v[8:9]
	v_and_b32_e32 v10, 7, v10
; %bb.3839:                             ;   in Loop: Header=BB287_2082 Depth=1
	s_or_b32 exec_lo, exec_lo, s3
	v_lshlrev_b32_e32 v8, 24, v19
	s_delay_alu instid0(VALU_DEP_2) | instskip(SKIP_2) | instid1(VALU_DEP_4)
	v_lshlrev_b32_e32 v10, 20, v10
	v_lshl_add_u32 v11, v18, 23, 0x3c000000
	v_mov_b32_e32 v160, v9
	v_and_b32_e32 v8, 0x80000000, v8
	s_delay_alu instid0(VALU_DEP_1)
	v_or3_b32 v161, v10, v8, v11
.LBB287_3840:                           ;   in Loop: Header=BB287_2082 Depth=1
	s_or_b32 exec_lo, exec_lo, s2
.LBB287_3841:                           ;   in Loop: Header=BB287_2082 Depth=1
	s_delay_alu instid0(SALU_CYCLE_1)
	s_or_b32 exec_lo, exec_lo, s1
.LBB287_3842:                           ;   in Loop: Header=BB287_2082 Depth=1
	s_delay_alu instid0(SALU_CYCLE_1)
	s_or_b32 exec_lo, exec_lo, s0
	scratch_load_b32 v8, off, s32 offset:2756 ; 4-byte Folded Reload
	v_mov_b32_e32 v178, 0
	s_mov_b32 s0, exec_lo
	s_waitcnt vmcnt(0)
	v_add_co_u32 v10, vcc_lo, v162, v8
	v_add_co_ci_u32_e32 v11, vcc_lo, 0, v163, vcc_lo
	flat_load_b32 v20, v[10:11]
	s_waitcnt vmcnt(0) lgkmcnt(0)
	v_dual_mov_b32 v179, 0 :: v_dual_and_b32 v8, 0xff, v20
	s_delay_alu instid0(VALU_DEP_1) | instskip(NEXT) | instid1(VALU_DEP_2)
	v_dual_mov_b32 v142, v178 :: v_dual_mov_b32 v143, v179
	v_cmpx_ne_u16_e32 0, v8
	s_cbranch_execz .LBB287_3850
; %bb.3843:                             ;   in Loop: Header=BB287_2082 Depth=1
	v_bfrev_b32_e32 v142, 1
	v_mov_b32_e32 v143, 0
	s_mov_b32 s1, exec_lo
	v_cmpx_ne_u16_e32 0x80, v8
	s_cbranch_execz .LBB287_3849
; %bb.3844:                             ;   in Loop: Header=BB287_2082 Depth=1
	v_mov_b32_e32 v142, 0x7f800001
	v_dual_mov_b32 v143, 0 :: v_dual_and_b32 v10, 0x7f, v20
	s_mov_b32 s2, exec_lo
	s_delay_alu instid0(VALU_DEP_1)
	v_cmpx_ne_u32_e32 0x7f, v10
	s_cbranch_execz .LBB287_3848
; %bb.3845:                             ;   in Loop: Header=BB287_2082 Depth=1
	v_and_b32_e32 v8, 7, v20
	v_lshrrev_b32_e32 v18, 3, v10
	v_cmp_gt_u32_e32 vcc_lo, 8, v10
	s_delay_alu instid0(VALU_DEP_3)
	v_dual_mov_b32 v11, v9 :: v_dual_mov_b32 v10, v8
	s_and_saveexec_b32 s3, vcc_lo
; %bb.3846:                             ;   in Loop: Header=BB287_2082 Depth=1
	v_clz_i32_u32_e32 v10, v8
	s_delay_alu instid0(VALU_DEP_1) | instskip(NEXT) | instid1(VALU_DEP_1)
	v_min_u32_e32 v18, 32, v10
	v_subrev_nc_u32_e32 v10, 28, v18
	v_sub_nc_u32_e32 v18, 29, v18
	s_delay_alu instid0(VALU_DEP_2) | instskip(NEXT) | instid1(VALU_DEP_1)
	v_lshlrev_b64 v[10:11], v10, v[8:9]
	v_and_b32_e32 v10, 7, v10
; %bb.3847:                             ;   in Loop: Header=BB287_2082 Depth=1
	s_or_b32 exec_lo, exec_lo, s3
	v_lshlrev_b32_e32 v8, 24, v20
	s_delay_alu instid0(VALU_DEP_2) | instskip(SKIP_1) | instid1(VALU_DEP_3)
	v_lshlrev_b32_e32 v10, 20, v10
	v_lshl_add_u32 v11, v18, 23, 0x3c000000
	v_and_b32_e32 v8, 0x80000000, v8
	s_delay_alu instid0(VALU_DEP_1) | instskip(NEXT) | instid1(VALU_DEP_1)
	v_or3_b32 v8, v10, v8, v11
	v_dual_mov_b32 v143, v9 :: v_dual_mov_b32 v142, v8
.LBB287_3848:                           ;   in Loop: Header=BB287_2082 Depth=1
	s_or_b32 exec_lo, exec_lo, s2
.LBB287_3849:                           ;   in Loop: Header=BB287_2082 Depth=1
	s_delay_alu instid0(SALU_CYCLE_1)
	s_or_b32 exec_lo, exec_lo, s1
.LBB287_3850:                           ;   in Loop: Header=BB287_2082 Depth=1
	s_delay_alu instid0(SALU_CYCLE_1) | instskip(SKIP_2) | instid1(VALU_DEP_1)
	s_or_b32 exec_lo, exec_lo, s0
	v_lshrrev_b16 v8, 8, v20
	s_mov_b32 s0, exec_lo
	v_cmpx_ne_u16_e32 0, v8
	s_cbranch_execz .LBB287_3858
; %bb.3851:                             ;   in Loop: Header=BB287_2082 Depth=1
	v_dual_mov_b32 v179, s9 :: v_dual_mov_b32 v178, s8
	s_mov_b32 s1, exec_lo
	v_cmpx_ne_u16_e32 0x80, v8
	s_cbranch_execz .LBB287_3857
; %bb.3852:                             ;   in Loop: Header=BB287_2082 Depth=1
	s_mov_b32 s12, s8
	v_dual_mov_b32 v179, s13 :: v_dual_and_b32 v8, 0xffff, v8
	v_mov_b32_e32 v178, s12
	s_mov_b32 s2, exec_lo
	s_delay_alu instid0(VALU_DEP_2) | instskip(NEXT) | instid1(VALU_DEP_1)
	v_and_b32_e32 v10, 0x7f, v8
	v_cmpx_ne_u32_e32 0x7f, v10
	s_cbranch_execz .LBB287_3856
; %bb.3853:                             ;   in Loop: Header=BB287_2082 Depth=1
	v_and_b32_e32 v8, 7, v8
	v_lshrrev_b32_e32 v18, 3, v10
	v_cmp_gt_u32_e32 vcc_lo, 8, v10
	s_delay_alu instid0(VALU_DEP_3)
	v_dual_mov_b32 v11, v9 :: v_dual_mov_b32 v10, v8
	s_and_saveexec_b32 s3, vcc_lo
; %bb.3854:                             ;   in Loop: Header=BB287_2082 Depth=1
	v_clz_i32_u32_e32 v10, v8
	s_delay_alu instid0(VALU_DEP_1) | instskip(NEXT) | instid1(VALU_DEP_1)
	v_min_u32_e32 v18, 32, v10
	v_subrev_nc_u32_e32 v10, 28, v18
	v_sub_nc_u32_e32 v18, 29, v18
	s_delay_alu instid0(VALU_DEP_2) | instskip(NEXT) | instid1(VALU_DEP_1)
	v_lshlrev_b64 v[10:11], v10, v[8:9]
	v_and_b32_e32 v10, 7, v10
; %bb.3855:                             ;   in Loop: Header=BB287_2082 Depth=1
	s_or_b32 exec_lo, exec_lo, s3
	v_lshlrev_b32_e32 v8, 16, v20
	s_delay_alu instid0(VALU_DEP_2) | instskip(SKIP_2) | instid1(VALU_DEP_4)
	v_lshlrev_b32_e32 v10, 20, v10
	v_lshl_add_u32 v11, v18, 23, 0x3c000000
	v_mov_b32_e32 v178, v9
	v_and_b32_e32 v8, 0x80000000, v8
	s_delay_alu instid0(VALU_DEP_1)
	v_or3_b32 v179, v10, v8, v11
.LBB287_3856:                           ;   in Loop: Header=BB287_2082 Depth=1
	s_or_b32 exec_lo, exec_lo, s2
.LBB287_3857:                           ;   in Loop: Header=BB287_2082 Depth=1
	s_delay_alu instid0(SALU_CYCLE_1)
	s_or_b32 exec_lo, exec_lo, s1
.LBB287_3858:                           ;   in Loop: Header=BB287_2082 Depth=1
	s_delay_alu instid0(SALU_CYCLE_1) | instskip(SKIP_4) | instid1(VALU_DEP_1)
	s_or_b32 exec_lo, exec_lo, s0
	v_mov_b32_e32 v18, 0
	v_lshrrev_b32_e32 v21, 16, v20
	v_mov_b32_e32 v19, 0
	s_mov_b32 s0, exec_lo
	v_dual_mov_b32 v27, v19 :: v_dual_and_b32 v8, 0xff, v21
	v_mov_b32_e32 v26, v18
	s_delay_alu instid0(VALU_DEP_2)
	v_cmpx_ne_u16_e32 0, v8
	s_cbranch_execz .LBB287_3866
; %bb.3859:                             ;   in Loop: Header=BB287_2082 Depth=1
	v_bfrev_b32_e32 v26, 1
	v_mov_b32_e32 v27, 0
	s_mov_b32 s1, exec_lo
	v_cmpx_ne_u16_e32 0x80, v8
	s_cbranch_execz .LBB287_3865
; %bb.3860:                             ;   in Loop: Header=BB287_2082 Depth=1
	v_mov_b32_e32 v26, 0x7f800001
	v_bfe_u32 v10, v20, 16, 7
	v_mov_b32_e32 v27, 0
	s_mov_b32 s2, exec_lo
	s_delay_alu instid0(VALU_DEP_2)
	v_cmpx_ne_u32_e32 0x7f, v10
	s_cbranch_execz .LBB287_3864
; %bb.3861:                             ;   in Loop: Header=BB287_2082 Depth=1
	v_and_b32_e32 v8, 7, v21
	v_lshrrev_b32_e32 v26, 3, v10
	v_cmp_gt_u32_e32 vcc_lo, 8, v10
	s_delay_alu instid0(VALU_DEP_3)
	v_dual_mov_b32 v11, v9 :: v_dual_mov_b32 v10, v8
	s_and_saveexec_b32 s3, vcc_lo
; %bb.3862:                             ;   in Loop: Header=BB287_2082 Depth=1
	v_clz_i32_u32_e32 v10, v8
	s_delay_alu instid0(VALU_DEP_1) | instskip(NEXT) | instid1(VALU_DEP_1)
	v_min_u32_e32 v26, 32, v10
	v_subrev_nc_u32_e32 v10, 28, v26
	v_sub_nc_u32_e32 v26, 29, v26
	s_delay_alu instid0(VALU_DEP_2) | instskip(NEXT) | instid1(VALU_DEP_1)
	v_lshlrev_b64 v[10:11], v10, v[8:9]
	v_and_b32_e32 v10, 7, v10
; %bb.3863:                             ;   in Loop: Header=BB287_2082 Depth=1
	s_or_b32 exec_lo, exec_lo, s3
	v_lshlrev_b32_e32 v8, 24, v21
	s_delay_alu instid0(VALU_DEP_2) | instskip(SKIP_1) | instid1(VALU_DEP_3)
	v_lshlrev_b32_e32 v10, 20, v10
	v_lshl_add_u32 v11, v26, 23, 0x3c000000
	v_and_b32_e32 v8, 0x80000000, v8
	s_delay_alu instid0(VALU_DEP_1) | instskip(NEXT) | instid1(VALU_DEP_1)
	v_or3_b32 v8, v10, v8, v11
	v_dual_mov_b32 v27, v9 :: v_dual_mov_b32 v26, v8
.LBB287_3864:                           ;   in Loop: Header=BB287_2082 Depth=1
	s_or_b32 exec_lo, exec_lo, s2
.LBB287_3865:                           ;   in Loop: Header=BB287_2082 Depth=1
	s_delay_alu instid0(SALU_CYCLE_1)
	s_or_b32 exec_lo, exec_lo, s1
.LBB287_3866:                           ;   in Loop: Header=BB287_2082 Depth=1
	s_delay_alu instid0(SALU_CYCLE_1) | instskip(NEXT) | instid1(SALU_CYCLE_1)
	s_or_b32 exec_lo, exec_lo, s0
	s_mov_b32 s0, exec_lo
	v_cmpx_lt_u32_e32 0xffffff, v20
	s_cbranch_execz .LBB287_3874
; %bb.3867:                             ;   in Loop: Header=BB287_2082 Depth=1
	v_lshrrev_b32_e32 v21, 24, v20
	v_dual_mov_b32 v19, s9 :: v_dual_mov_b32 v18, s8
	s_mov_b32 s1, exec_lo
	s_delay_alu instid0(VALU_DEP_2)
	v_cmpx_ne_u32_e32 0x80, v21
	s_cbranch_execz .LBB287_3873
; %bb.3868:                             ;   in Loop: Header=BB287_2082 Depth=1
	s_mov_b32 s12, s8
	v_bfe_u32 v10, v20, 24, 7
	v_dual_mov_b32 v19, s13 :: v_dual_mov_b32 v18, s12
	s_mov_b32 s2, exec_lo
	s_delay_alu instid0(VALU_DEP_2)
	v_cmpx_ne_u32_e32 0x7f, v10
	s_cbranch_execz .LBB287_3872
; %bb.3869:                             ;   in Loop: Header=BB287_2082 Depth=1
	v_and_b32_e32 v8, 7, v21
	v_lshrrev_b32_e32 v18, 3, v10
	v_cmp_gt_u32_e32 vcc_lo, 8, v10
	s_delay_alu instid0(VALU_DEP_3)
	v_dual_mov_b32 v11, v9 :: v_dual_mov_b32 v10, v8
	s_and_saveexec_b32 s3, vcc_lo
; %bb.3870:                             ;   in Loop: Header=BB287_2082 Depth=1
	v_clz_i32_u32_e32 v10, v8
	s_delay_alu instid0(VALU_DEP_1) | instskip(NEXT) | instid1(VALU_DEP_1)
	v_min_u32_e32 v18, 32, v10
	v_subrev_nc_u32_e32 v10, 28, v18
	v_sub_nc_u32_e32 v18, 29, v18
	s_delay_alu instid0(VALU_DEP_2) | instskip(NEXT) | instid1(VALU_DEP_1)
	v_lshlrev_b64 v[10:11], v10, v[8:9]
	v_and_b32_e32 v10, 7, v10
; %bb.3871:                             ;   in Loop: Header=BB287_2082 Depth=1
	s_or_b32 exec_lo, exec_lo, s3
	v_lshlrev_b32_e32 v8, 24, v21
	s_delay_alu instid0(VALU_DEP_2) | instskip(SKIP_2) | instid1(VALU_DEP_4)
	v_lshlrev_b32_e32 v10, 20, v10
	v_lshl_add_u32 v11, v18, 23, 0x3c000000
	v_mov_b32_e32 v18, v9
	v_and_b32_e32 v8, 0x80000000, v8
	s_delay_alu instid0(VALU_DEP_1)
	v_or3_b32 v19, v10, v8, v11
.LBB287_3872:                           ;   in Loop: Header=BB287_2082 Depth=1
	s_or_b32 exec_lo, exec_lo, s2
.LBB287_3873:                           ;   in Loop: Header=BB287_2082 Depth=1
	s_delay_alu instid0(SALU_CYCLE_1)
	s_or_b32 exec_lo, exec_lo, s1
.LBB287_3874:                           ;   in Loop: Header=BB287_2082 Depth=1
	s_delay_alu instid0(SALU_CYCLE_1)
	s_or_b32 exec_lo, exec_lo, s0
	scratch_load_b32 v8, off, s32 offset:2772 ; 4-byte Folded Reload
	v_mov_b32_e32 v158, 0
	s_mov_b32 s0, exec_lo
	s_waitcnt vmcnt(0)
	v_add_co_u32 v10, vcc_lo, v162, v8
	v_add_co_ci_u32_e32 v11, vcc_lo, 0, v163, vcc_lo
	flat_load_b32 v20, v[10:11]
	s_waitcnt vmcnt(0) lgkmcnt(0)
	v_dual_mov_b32 v159, 0 :: v_dual_and_b32 v8, 0xff, v20
	s_delay_alu instid0(VALU_DEP_1) | instskip(NEXT) | instid1(VALU_DEP_2)
	v_dual_mov_b32 v183, v159 :: v_dual_mov_b32 v182, v158
	v_cmpx_ne_u16_e32 0, v8
	s_cbranch_execz .LBB287_3882
; %bb.3875:                             ;   in Loop: Header=BB287_2082 Depth=1
	v_bfrev_b32_e32 v182, 1
	v_mov_b32_e32 v183, 0
	s_mov_b32 s1, exec_lo
	v_cmpx_ne_u16_e32 0x80, v8
	s_cbranch_execz .LBB287_3881
; %bb.3876:                             ;   in Loop: Header=BB287_2082 Depth=1
	v_mov_b32_e32 v182, 0x7f800001
	v_dual_mov_b32 v183, 0 :: v_dual_and_b32 v10, 0x7f, v20
	s_mov_b32 s2, exec_lo
	s_delay_alu instid0(VALU_DEP_1)
	v_cmpx_ne_u32_e32 0x7f, v10
	s_cbranch_execz .LBB287_3880
; %bb.3877:                             ;   in Loop: Header=BB287_2082 Depth=1
	v_and_b32_e32 v8, 7, v20
	v_lshrrev_b32_e32 v21, 3, v10
	v_cmp_gt_u32_e32 vcc_lo, 8, v10
	s_delay_alu instid0(VALU_DEP_3)
	v_dual_mov_b32 v11, v9 :: v_dual_mov_b32 v10, v8
	s_and_saveexec_b32 s3, vcc_lo
; %bb.3878:                             ;   in Loop: Header=BB287_2082 Depth=1
	v_clz_i32_u32_e32 v10, v8
	s_delay_alu instid0(VALU_DEP_1) | instskip(NEXT) | instid1(VALU_DEP_1)
	v_min_u32_e32 v21, 32, v10
	v_subrev_nc_u32_e32 v10, 28, v21
	v_sub_nc_u32_e32 v21, 29, v21
	s_delay_alu instid0(VALU_DEP_2) | instskip(NEXT) | instid1(VALU_DEP_1)
	v_lshlrev_b64 v[10:11], v10, v[8:9]
	v_and_b32_e32 v10, 7, v10
; %bb.3879:                             ;   in Loop: Header=BB287_2082 Depth=1
	s_or_b32 exec_lo, exec_lo, s3
	v_lshlrev_b32_e32 v8, 24, v20
	s_delay_alu instid0(VALU_DEP_2) | instskip(SKIP_1) | instid1(VALU_DEP_3)
	v_lshlrev_b32_e32 v10, 20, v10
	v_lshl_add_u32 v11, v21, 23, 0x3c000000
	v_and_b32_e32 v8, 0x80000000, v8
	s_delay_alu instid0(VALU_DEP_1) | instskip(NEXT) | instid1(VALU_DEP_1)
	v_or3_b32 v8, v10, v8, v11
	v_dual_mov_b32 v183, v9 :: v_dual_mov_b32 v182, v8
.LBB287_3880:                           ;   in Loop: Header=BB287_2082 Depth=1
	s_or_b32 exec_lo, exec_lo, s2
.LBB287_3881:                           ;   in Loop: Header=BB287_2082 Depth=1
	s_delay_alu instid0(SALU_CYCLE_1)
	s_or_b32 exec_lo, exec_lo, s1
.LBB287_3882:                           ;   in Loop: Header=BB287_2082 Depth=1
	s_delay_alu instid0(SALU_CYCLE_1) | instskip(SKIP_2) | instid1(VALU_DEP_1)
	s_or_b32 exec_lo, exec_lo, s0
	v_lshrrev_b16 v8, 8, v20
	s_mov_b32 s0, exec_lo
	v_cmpx_ne_u16_e32 0, v8
	s_cbranch_execz .LBB287_3890
; %bb.3883:                             ;   in Loop: Header=BB287_2082 Depth=1
	v_dual_mov_b32 v159, s9 :: v_dual_mov_b32 v158, s8
	s_mov_b32 s1, exec_lo
	v_cmpx_ne_u16_e32 0x80, v8
	s_cbranch_execz .LBB287_3889
; %bb.3884:                             ;   in Loop: Header=BB287_2082 Depth=1
	s_mov_b32 s12, s8
	v_dual_mov_b32 v159, s13 :: v_dual_and_b32 v8, 0xffff, v8
	v_mov_b32_e32 v158, s12
	s_mov_b32 s2, exec_lo
	s_delay_alu instid0(VALU_DEP_2) | instskip(NEXT) | instid1(VALU_DEP_1)
	v_and_b32_e32 v10, 0x7f, v8
	v_cmpx_ne_u32_e32 0x7f, v10
	s_cbranch_execz .LBB287_3888
; %bb.3885:                             ;   in Loop: Header=BB287_2082 Depth=1
	v_and_b32_e32 v8, 7, v8
	v_lshrrev_b32_e32 v21, 3, v10
	v_cmp_gt_u32_e32 vcc_lo, 8, v10
	s_delay_alu instid0(VALU_DEP_3)
	v_dual_mov_b32 v11, v9 :: v_dual_mov_b32 v10, v8
	s_and_saveexec_b32 s3, vcc_lo
; %bb.3886:                             ;   in Loop: Header=BB287_2082 Depth=1
	v_clz_i32_u32_e32 v10, v8
	s_delay_alu instid0(VALU_DEP_1) | instskip(NEXT) | instid1(VALU_DEP_1)
	v_min_u32_e32 v21, 32, v10
	v_subrev_nc_u32_e32 v10, 28, v21
	v_sub_nc_u32_e32 v21, 29, v21
	s_delay_alu instid0(VALU_DEP_2) | instskip(NEXT) | instid1(VALU_DEP_1)
	v_lshlrev_b64 v[10:11], v10, v[8:9]
	v_and_b32_e32 v10, 7, v10
; %bb.3887:                             ;   in Loop: Header=BB287_2082 Depth=1
	s_or_b32 exec_lo, exec_lo, s3
	v_lshlrev_b32_e32 v8, 16, v20
	s_delay_alu instid0(VALU_DEP_2) | instskip(SKIP_2) | instid1(VALU_DEP_4)
	v_lshlrev_b32_e32 v10, 20, v10
	v_lshl_add_u32 v11, v21, 23, 0x3c000000
	v_mov_b32_e32 v158, v9
	v_and_b32_e32 v8, 0x80000000, v8
	s_delay_alu instid0(VALU_DEP_1)
	v_or3_b32 v159, v10, v8, v11
.LBB287_3888:                           ;   in Loop: Header=BB287_2082 Depth=1
	s_or_b32 exec_lo, exec_lo, s2
.LBB287_3889:                           ;   in Loop: Header=BB287_2082 Depth=1
	s_delay_alu instid0(SALU_CYCLE_1)
	s_or_b32 exec_lo, exec_lo, s1
.LBB287_3890:                           ;   in Loop: Header=BB287_2082 Depth=1
	s_delay_alu instid0(SALU_CYCLE_1) | instskip(SKIP_4) | instid1(VALU_DEP_2)
	s_or_b32 exec_lo, exec_lo, s0
	v_mov_b32_e32 v164, 0
	v_lshrrev_b32_e32 v21, 16, v20
	v_mov_b32_e32 v165, 0
	s_mov_b32 s0, exec_lo
	v_and_b32_e32 v8, 0xff, v21
	s_delay_alu instid0(VALU_DEP_2) | instskip(NEXT) | instid1(VALU_DEP_2)
	v_dual_mov_b32 v42, v164 :: v_dual_mov_b32 v43, v165
	v_cmpx_ne_u16_e32 0, v8
	s_cbranch_execz .LBB287_3898
; %bb.3891:                             ;   in Loop: Header=BB287_2082 Depth=1
	v_bfrev_b32_e32 v42, 1
	v_mov_b32_e32 v43, 0
	s_mov_b32 s1, exec_lo
	v_cmpx_ne_u16_e32 0x80, v8
	s_cbranch_execz .LBB287_3897
; %bb.3892:                             ;   in Loop: Header=BB287_2082 Depth=1
	v_mov_b32_e32 v42, 0x7f800001
	v_bfe_u32 v10, v20, 16, 7
	v_mov_b32_e32 v43, 0
	s_mov_b32 s2, exec_lo
	s_delay_alu instid0(VALU_DEP_2)
	v_cmpx_ne_u32_e32 0x7f, v10
	s_cbranch_execz .LBB287_3896
; %bb.3893:                             ;   in Loop: Header=BB287_2082 Depth=1
	v_and_b32_e32 v8, 7, v21
	v_lshrrev_b32_e32 v30, 3, v10
	v_cmp_gt_u32_e32 vcc_lo, 8, v10
	s_delay_alu instid0(VALU_DEP_3)
	v_dual_mov_b32 v11, v9 :: v_dual_mov_b32 v10, v8
	s_and_saveexec_b32 s3, vcc_lo
; %bb.3894:                             ;   in Loop: Header=BB287_2082 Depth=1
	v_clz_i32_u32_e32 v10, v8
	s_delay_alu instid0(VALU_DEP_1) | instskip(NEXT) | instid1(VALU_DEP_1)
	v_min_u32_e32 v30, 32, v10
	v_subrev_nc_u32_e32 v10, 28, v30
	v_sub_nc_u32_e32 v30, 29, v30
	s_delay_alu instid0(VALU_DEP_2) | instskip(NEXT) | instid1(VALU_DEP_1)
	v_lshlrev_b64 v[10:11], v10, v[8:9]
	v_and_b32_e32 v10, 7, v10
; %bb.3895:                             ;   in Loop: Header=BB287_2082 Depth=1
	s_or_b32 exec_lo, exec_lo, s3
	v_lshlrev_b32_e32 v8, 24, v21
	s_delay_alu instid0(VALU_DEP_2) | instskip(SKIP_1) | instid1(VALU_DEP_3)
	v_lshlrev_b32_e32 v10, 20, v10
	v_lshl_add_u32 v11, v30, 23, 0x3c000000
	v_and_b32_e32 v8, 0x80000000, v8
	s_delay_alu instid0(VALU_DEP_1) | instskip(NEXT) | instid1(VALU_DEP_1)
	v_or3_b32 v8, v10, v8, v11
	v_dual_mov_b32 v43, v9 :: v_dual_mov_b32 v42, v8
.LBB287_3896:                           ;   in Loop: Header=BB287_2082 Depth=1
	s_or_b32 exec_lo, exec_lo, s2
.LBB287_3897:                           ;   in Loop: Header=BB287_2082 Depth=1
	s_delay_alu instid0(SALU_CYCLE_1)
	s_or_b32 exec_lo, exec_lo, s1
.LBB287_3898:                           ;   in Loop: Header=BB287_2082 Depth=1
	s_delay_alu instid0(SALU_CYCLE_1) | instskip(NEXT) | instid1(SALU_CYCLE_1)
	s_or_b32 exec_lo, exec_lo, s0
	s_mov_b32 s0, exec_lo
	v_cmpx_lt_u32_e32 0xffffff, v20
	s_cbranch_execz .LBB287_3906
; %bb.3899:                             ;   in Loop: Header=BB287_2082 Depth=1
	v_lshrrev_b32_e32 v21, 24, v20
	v_dual_mov_b32 v165, s9 :: v_dual_mov_b32 v164, s8
	s_mov_b32 s1, exec_lo
	s_delay_alu instid0(VALU_DEP_2)
	v_cmpx_ne_u32_e32 0x80, v21
	s_cbranch_execz .LBB287_3905
; %bb.3900:                             ;   in Loop: Header=BB287_2082 Depth=1
	s_mov_b32 s12, s8
	v_bfe_u32 v10, v20, 24, 7
	v_dual_mov_b32 v165, s13 :: v_dual_mov_b32 v164, s12
	s_mov_b32 s2, exec_lo
	s_delay_alu instid0(VALU_DEP_2)
	v_cmpx_ne_u32_e32 0x7f, v10
	s_cbranch_execz .LBB287_3904
; %bb.3901:                             ;   in Loop: Header=BB287_2082 Depth=1
	v_and_b32_e32 v8, 7, v21
	v_lshrrev_b32_e32 v20, 3, v10
	v_cmp_gt_u32_e32 vcc_lo, 8, v10
	s_delay_alu instid0(VALU_DEP_3)
	v_dual_mov_b32 v11, v9 :: v_dual_mov_b32 v10, v8
	s_and_saveexec_b32 s3, vcc_lo
; %bb.3902:                             ;   in Loop: Header=BB287_2082 Depth=1
	v_clz_i32_u32_e32 v10, v8
	s_delay_alu instid0(VALU_DEP_1) | instskip(NEXT) | instid1(VALU_DEP_1)
	v_min_u32_e32 v20, 32, v10
	v_subrev_nc_u32_e32 v10, 28, v20
	v_sub_nc_u32_e32 v20, 29, v20
	s_delay_alu instid0(VALU_DEP_2) | instskip(NEXT) | instid1(VALU_DEP_1)
	v_lshlrev_b64 v[10:11], v10, v[8:9]
	v_and_b32_e32 v10, 7, v10
; %bb.3903:                             ;   in Loop: Header=BB287_2082 Depth=1
	s_or_b32 exec_lo, exec_lo, s3
	v_lshlrev_b32_e32 v8, 24, v21
	s_delay_alu instid0(VALU_DEP_2) | instskip(SKIP_2) | instid1(VALU_DEP_4)
	v_lshlrev_b32_e32 v10, 20, v10
	v_lshl_add_u32 v11, v20, 23, 0x3c000000
	v_mov_b32_e32 v164, v9
	v_and_b32_e32 v8, 0x80000000, v8
	s_delay_alu instid0(VALU_DEP_1)
	v_or3_b32 v165, v10, v8, v11
.LBB287_3904:                           ;   in Loop: Header=BB287_2082 Depth=1
	s_or_b32 exec_lo, exec_lo, s2
.LBB287_3905:                           ;   in Loop: Header=BB287_2082 Depth=1
	s_delay_alu instid0(SALU_CYCLE_1)
	s_or_b32 exec_lo, exec_lo, s1
.LBB287_3906:                           ;   in Loop: Header=BB287_2082 Depth=1
	s_delay_alu instid0(SALU_CYCLE_1)
	s_or_b32 exec_lo, exec_lo, s0
	scratch_load_b32 v8, off, s32 offset:2788 ; 4-byte Folded Reload
	v_mov_b32_e32 v50, 0
	s_mov_b32 s0, exec_lo
	s_waitcnt vmcnt(0)
	v_add_co_u32 v10, vcc_lo, v162, v8
	v_add_co_ci_u32_e32 v11, vcc_lo, 0, v163, vcc_lo
	flat_load_b32 v20, v[10:11]
	s_waitcnt vmcnt(0) lgkmcnt(0)
	v_dual_mov_b32 v51, 0 :: v_dual_and_b32 v8, 0xff, v20
	s_delay_alu instid0(VALU_DEP_1) | instskip(NEXT) | instid1(VALU_DEP_2)
	v_dual_mov_b32 v175, v51 :: v_dual_mov_b32 v174, v50
	v_cmpx_ne_u16_e32 0, v8
	s_cbranch_execz .LBB287_3914
; %bb.3907:                             ;   in Loop: Header=BB287_2082 Depth=1
	v_bfrev_b32_e32 v174, 1
	v_mov_b32_e32 v175, 0
	s_mov_b32 s1, exec_lo
	v_cmpx_ne_u16_e32 0x80, v8
	s_cbranch_execz .LBB287_3913
; %bb.3908:                             ;   in Loop: Header=BB287_2082 Depth=1
	v_mov_b32_e32 v174, 0x7f800001
	v_dual_mov_b32 v175, 0 :: v_dual_and_b32 v10, 0x7f, v20
	s_mov_b32 s2, exec_lo
	s_delay_alu instid0(VALU_DEP_1)
	v_cmpx_ne_u32_e32 0x7f, v10
	s_cbranch_execz .LBB287_3912
; %bb.3909:                             ;   in Loop: Header=BB287_2082 Depth=1
	v_and_b32_e32 v8, 7, v20
	v_lshrrev_b32_e32 v21, 3, v10
	v_cmp_gt_u32_e32 vcc_lo, 8, v10
	s_delay_alu instid0(VALU_DEP_3)
	v_dual_mov_b32 v11, v9 :: v_dual_mov_b32 v10, v8
	s_and_saveexec_b32 s3, vcc_lo
; %bb.3910:                             ;   in Loop: Header=BB287_2082 Depth=1
	v_clz_i32_u32_e32 v10, v8
	s_delay_alu instid0(VALU_DEP_1) | instskip(NEXT) | instid1(VALU_DEP_1)
	v_min_u32_e32 v21, 32, v10
	v_subrev_nc_u32_e32 v10, 28, v21
	v_sub_nc_u32_e32 v21, 29, v21
	s_delay_alu instid0(VALU_DEP_2) | instskip(NEXT) | instid1(VALU_DEP_1)
	v_lshlrev_b64 v[10:11], v10, v[8:9]
	v_and_b32_e32 v10, 7, v10
; %bb.3911:                             ;   in Loop: Header=BB287_2082 Depth=1
	s_or_b32 exec_lo, exec_lo, s3
	v_lshlrev_b32_e32 v8, 24, v20
	s_delay_alu instid0(VALU_DEP_2) | instskip(SKIP_1) | instid1(VALU_DEP_3)
	v_lshlrev_b32_e32 v10, 20, v10
	v_lshl_add_u32 v11, v21, 23, 0x3c000000
	v_and_b32_e32 v8, 0x80000000, v8
	s_delay_alu instid0(VALU_DEP_1) | instskip(NEXT) | instid1(VALU_DEP_1)
	v_or3_b32 v8, v10, v8, v11
	v_dual_mov_b32 v175, v9 :: v_dual_mov_b32 v174, v8
.LBB287_3912:                           ;   in Loop: Header=BB287_2082 Depth=1
	s_or_b32 exec_lo, exec_lo, s2
.LBB287_3913:                           ;   in Loop: Header=BB287_2082 Depth=1
	s_delay_alu instid0(SALU_CYCLE_1)
	s_or_b32 exec_lo, exec_lo, s1
.LBB287_3914:                           ;   in Loop: Header=BB287_2082 Depth=1
	s_delay_alu instid0(SALU_CYCLE_1) | instskip(SKIP_2) | instid1(VALU_DEP_1)
	s_or_b32 exec_lo, exec_lo, s0
	v_lshrrev_b16 v8, 8, v20
	s_mov_b32 s0, exec_lo
	v_cmpx_ne_u16_e32 0, v8
	s_cbranch_execz .LBB287_3922
; %bb.3915:                             ;   in Loop: Header=BB287_2082 Depth=1
	v_dual_mov_b32 v51, s9 :: v_dual_mov_b32 v50, s8
	s_mov_b32 s1, exec_lo
	v_cmpx_ne_u16_e32 0x80, v8
	s_cbranch_execz .LBB287_3921
; %bb.3916:                             ;   in Loop: Header=BB287_2082 Depth=1
	s_mov_b32 s12, s8
	v_dual_mov_b32 v51, s13 :: v_dual_and_b32 v8, 0xffff, v8
	v_mov_b32_e32 v50, s12
	s_mov_b32 s2, exec_lo
	s_delay_alu instid0(VALU_DEP_2) | instskip(NEXT) | instid1(VALU_DEP_1)
	v_and_b32_e32 v10, 0x7f, v8
	v_cmpx_ne_u32_e32 0x7f, v10
	s_cbranch_execz .LBB287_3920
; %bb.3917:                             ;   in Loop: Header=BB287_2082 Depth=1
	v_and_b32_e32 v8, 7, v8
	v_lshrrev_b32_e32 v21, 3, v10
	v_cmp_gt_u32_e32 vcc_lo, 8, v10
	s_delay_alu instid0(VALU_DEP_3)
	v_dual_mov_b32 v11, v9 :: v_dual_mov_b32 v10, v8
	s_and_saveexec_b32 s3, vcc_lo
; %bb.3918:                             ;   in Loop: Header=BB287_2082 Depth=1
	v_clz_i32_u32_e32 v10, v8
	s_delay_alu instid0(VALU_DEP_1) | instskip(NEXT) | instid1(VALU_DEP_1)
	v_min_u32_e32 v21, 32, v10
	v_subrev_nc_u32_e32 v10, 28, v21
	v_sub_nc_u32_e32 v21, 29, v21
	s_delay_alu instid0(VALU_DEP_2) | instskip(NEXT) | instid1(VALU_DEP_1)
	v_lshlrev_b64 v[10:11], v10, v[8:9]
	v_and_b32_e32 v10, 7, v10
; %bb.3919:                             ;   in Loop: Header=BB287_2082 Depth=1
	s_or_b32 exec_lo, exec_lo, s3
	v_lshlrev_b32_e32 v8, 16, v20
	s_delay_alu instid0(VALU_DEP_2) | instskip(SKIP_2) | instid1(VALU_DEP_4)
	v_lshlrev_b32_e32 v10, 20, v10
	v_lshl_add_u32 v11, v21, 23, 0x3c000000
	v_mov_b32_e32 v50, v9
	v_and_b32_e32 v8, 0x80000000, v8
	s_delay_alu instid0(VALU_DEP_1)
	v_or3_b32 v51, v10, v8, v11
.LBB287_3920:                           ;   in Loop: Header=BB287_2082 Depth=1
	s_or_b32 exec_lo, exec_lo, s2
.LBB287_3921:                           ;   in Loop: Header=BB287_2082 Depth=1
	s_delay_alu instid0(SALU_CYCLE_1)
	s_or_b32 exec_lo, exec_lo, s1
.LBB287_3922:                           ;   in Loop: Header=BB287_2082 Depth=1
	s_delay_alu instid0(SALU_CYCLE_1) | instskip(SKIP_4) | instid1(VALU_DEP_1)
	s_or_b32 exec_lo, exec_lo, s0
	v_mov_b32_e32 v52, 0
	v_lshrrev_b32_e32 v21, 16, v20
	v_mov_b32_e32 v53, 0
	s_mov_b32 s0, exec_lo
	v_dual_mov_b32 v191, v53 :: v_dual_and_b32 v8, 0xff, v21
	v_mov_b32_e32 v190, v52
	s_delay_alu instid0(VALU_DEP_2)
	v_cmpx_ne_u16_e32 0, v8
	s_cbranch_execz .LBB287_3930
; %bb.3923:                             ;   in Loop: Header=BB287_2082 Depth=1
	v_bfrev_b32_e32 v190, 1
	v_mov_b32_e32 v191, 0
	s_mov_b32 s1, exec_lo
	v_cmpx_ne_u16_e32 0x80, v8
	s_cbranch_execz .LBB287_3929
; %bb.3924:                             ;   in Loop: Header=BB287_2082 Depth=1
	v_mov_b32_e32 v190, 0x7f800001
	v_bfe_u32 v10, v20, 16, 7
	v_mov_b32_e32 v191, 0
	s_mov_b32 s2, exec_lo
	s_delay_alu instid0(VALU_DEP_2)
	v_cmpx_ne_u32_e32 0x7f, v10
	s_cbranch_execz .LBB287_3928
; %bb.3925:                             ;   in Loop: Header=BB287_2082 Depth=1
	v_and_b32_e32 v8, 7, v21
	v_lshrrev_b32_e32 v30, 3, v10
	v_cmp_gt_u32_e32 vcc_lo, 8, v10
	s_delay_alu instid0(VALU_DEP_3)
	v_dual_mov_b32 v11, v9 :: v_dual_mov_b32 v10, v8
	s_and_saveexec_b32 s3, vcc_lo
; %bb.3926:                             ;   in Loop: Header=BB287_2082 Depth=1
	v_clz_i32_u32_e32 v10, v8
	s_delay_alu instid0(VALU_DEP_1) | instskip(NEXT) | instid1(VALU_DEP_1)
	v_min_u32_e32 v30, 32, v10
	v_subrev_nc_u32_e32 v10, 28, v30
	v_sub_nc_u32_e32 v30, 29, v30
	s_delay_alu instid0(VALU_DEP_2) | instskip(NEXT) | instid1(VALU_DEP_1)
	v_lshlrev_b64 v[10:11], v10, v[8:9]
	v_and_b32_e32 v10, 7, v10
; %bb.3927:                             ;   in Loop: Header=BB287_2082 Depth=1
	s_or_b32 exec_lo, exec_lo, s3
	v_lshlrev_b32_e32 v8, 24, v21
	s_delay_alu instid0(VALU_DEP_2) | instskip(SKIP_1) | instid1(VALU_DEP_3)
	v_lshlrev_b32_e32 v10, 20, v10
	v_lshl_add_u32 v11, v30, 23, 0x3c000000
	v_and_b32_e32 v8, 0x80000000, v8
	s_delay_alu instid0(VALU_DEP_1) | instskip(NEXT) | instid1(VALU_DEP_1)
	v_or3_b32 v8, v10, v8, v11
	v_dual_mov_b32 v191, v9 :: v_dual_mov_b32 v190, v8
.LBB287_3928:                           ;   in Loop: Header=BB287_2082 Depth=1
	s_or_b32 exec_lo, exec_lo, s2
.LBB287_3929:                           ;   in Loop: Header=BB287_2082 Depth=1
	s_delay_alu instid0(SALU_CYCLE_1)
	s_or_b32 exec_lo, exec_lo, s1
.LBB287_3930:                           ;   in Loop: Header=BB287_2082 Depth=1
	s_delay_alu instid0(SALU_CYCLE_1) | instskip(NEXT) | instid1(SALU_CYCLE_1)
	s_or_b32 exec_lo, exec_lo, s0
	s_mov_b32 s0, exec_lo
	v_cmpx_lt_u32_e32 0xffffff, v20
	s_cbranch_execz .LBB287_3938
; %bb.3931:                             ;   in Loop: Header=BB287_2082 Depth=1
	v_lshrrev_b32_e32 v21, 24, v20
	v_dual_mov_b32 v53, s9 :: v_dual_mov_b32 v52, s8
	s_mov_b32 s1, exec_lo
	s_delay_alu instid0(VALU_DEP_2)
	v_cmpx_ne_u32_e32 0x80, v21
	s_cbranch_execz .LBB287_3937
; %bb.3932:                             ;   in Loop: Header=BB287_2082 Depth=1
	s_mov_b32 s12, s8
	v_bfe_u32 v10, v20, 24, 7
	v_dual_mov_b32 v53, s13 :: v_dual_mov_b32 v52, s12
	s_mov_b32 s2, exec_lo
	s_delay_alu instid0(VALU_DEP_2)
	v_cmpx_ne_u32_e32 0x7f, v10
	s_cbranch_execz .LBB287_3936
; %bb.3933:                             ;   in Loop: Header=BB287_2082 Depth=1
	v_and_b32_e32 v8, 7, v21
	v_lshrrev_b32_e32 v20, 3, v10
	v_cmp_gt_u32_e32 vcc_lo, 8, v10
	s_delay_alu instid0(VALU_DEP_3)
	v_dual_mov_b32 v11, v9 :: v_dual_mov_b32 v10, v8
	s_and_saveexec_b32 s3, vcc_lo
; %bb.3934:                             ;   in Loop: Header=BB287_2082 Depth=1
	v_clz_i32_u32_e32 v10, v8
	s_delay_alu instid0(VALU_DEP_1) | instskip(NEXT) | instid1(VALU_DEP_1)
	v_min_u32_e32 v20, 32, v10
	v_subrev_nc_u32_e32 v10, 28, v20
	v_sub_nc_u32_e32 v20, 29, v20
	s_delay_alu instid0(VALU_DEP_2) | instskip(NEXT) | instid1(VALU_DEP_1)
	v_lshlrev_b64 v[10:11], v10, v[8:9]
	v_and_b32_e32 v10, 7, v10
; %bb.3935:                             ;   in Loop: Header=BB287_2082 Depth=1
	s_or_b32 exec_lo, exec_lo, s3
	v_lshlrev_b32_e32 v8, 24, v21
	s_delay_alu instid0(VALU_DEP_2) | instskip(SKIP_2) | instid1(VALU_DEP_4)
	v_lshlrev_b32_e32 v10, 20, v10
	v_lshl_add_u32 v11, v20, 23, 0x3c000000
	v_mov_b32_e32 v52, v9
	v_and_b32_e32 v8, 0x80000000, v8
	s_delay_alu instid0(VALU_DEP_1)
	v_or3_b32 v53, v10, v8, v11
.LBB287_3936:                           ;   in Loop: Header=BB287_2082 Depth=1
	s_or_b32 exec_lo, exec_lo, s2
.LBB287_3937:                           ;   in Loop: Header=BB287_2082 Depth=1
	s_delay_alu instid0(SALU_CYCLE_1)
	s_or_b32 exec_lo, exec_lo, s1
.LBB287_3938:                           ;   in Loop: Header=BB287_2082 Depth=1
	s_delay_alu instid0(SALU_CYCLE_1)
	s_or_b32 exec_lo, exec_lo, s0
	scratch_load_b32 v8, off, s32 offset:2804 ; 4-byte Folded Reload
	v_mov_b32_e32 v64, 0
	s_mov_b32 s0, exec_lo
	s_waitcnt vmcnt(0)
	v_add_co_u32 v10, vcc_lo, v162, v8
	v_add_co_ci_u32_e32 v11, vcc_lo, 0, v163, vcc_lo
	flat_load_b32 v30, v[10:11]
	s_waitcnt vmcnt(0) lgkmcnt(0)
	v_dual_mov_b32 v65, 0 :: v_dual_and_b32 v8, 0xff, v30
	s_delay_alu instid0(VALU_DEP_1) | instskip(NEXT) | instid1(VALU_DEP_2)
	v_dual_mov_b32 v20, v64 :: v_dual_mov_b32 v21, v65
	v_cmpx_ne_u16_e32 0, v8
	s_cbranch_execz .LBB287_3946
; %bb.3939:                             ;   in Loop: Header=BB287_2082 Depth=1
	v_bfrev_b32_e32 v20, 1
	v_mov_b32_e32 v21, 0
	s_mov_b32 s1, exec_lo
	v_cmpx_ne_u16_e32 0x80, v8
	s_cbranch_execz .LBB287_3945
; %bb.3940:                             ;   in Loop: Header=BB287_2082 Depth=1
	v_mov_b32_e32 v20, 0x7f800001
	v_dual_mov_b32 v21, 0 :: v_dual_and_b32 v10, 0x7f, v30
	s_mov_b32 s2, exec_lo
	s_delay_alu instid0(VALU_DEP_1)
	v_cmpx_ne_u32_e32 0x7f, v10
	s_cbranch_execz .LBB287_3944
; %bb.3941:                             ;   in Loop: Header=BB287_2082 Depth=1
	v_and_b32_e32 v8, 7, v30
	v_lshrrev_b32_e32 v20, 3, v10
	v_cmp_gt_u32_e32 vcc_lo, 8, v10
	s_delay_alu instid0(VALU_DEP_3)
	v_dual_mov_b32 v11, v9 :: v_dual_mov_b32 v10, v8
	s_and_saveexec_b32 s3, vcc_lo
; %bb.3942:                             ;   in Loop: Header=BB287_2082 Depth=1
	v_clz_i32_u32_e32 v10, v8
	s_delay_alu instid0(VALU_DEP_1) | instskip(NEXT) | instid1(VALU_DEP_1)
	v_min_u32_e32 v20, 32, v10
	v_subrev_nc_u32_e32 v10, 28, v20
	v_sub_nc_u32_e32 v20, 29, v20
	s_delay_alu instid0(VALU_DEP_2) | instskip(NEXT) | instid1(VALU_DEP_1)
	v_lshlrev_b64 v[10:11], v10, v[8:9]
	v_and_b32_e32 v10, 7, v10
; %bb.3943:                             ;   in Loop: Header=BB287_2082 Depth=1
	s_or_b32 exec_lo, exec_lo, s3
	v_lshlrev_b32_e32 v8, 24, v30
	s_delay_alu instid0(VALU_DEP_2) | instskip(SKIP_1) | instid1(VALU_DEP_3)
	v_lshlrev_b32_e32 v10, 20, v10
	v_lshl_add_u32 v11, v20, 23, 0x3c000000
	v_and_b32_e32 v8, 0x80000000, v8
	s_delay_alu instid0(VALU_DEP_1) | instskip(NEXT) | instid1(VALU_DEP_1)
	v_or3_b32 v8, v10, v8, v11
	v_dual_mov_b32 v21, v9 :: v_dual_mov_b32 v20, v8
.LBB287_3944:                           ;   in Loop: Header=BB287_2082 Depth=1
	s_or_b32 exec_lo, exec_lo, s2
.LBB287_3945:                           ;   in Loop: Header=BB287_2082 Depth=1
	s_delay_alu instid0(SALU_CYCLE_1)
	s_or_b32 exec_lo, exec_lo, s1
.LBB287_3946:                           ;   in Loop: Header=BB287_2082 Depth=1
	s_delay_alu instid0(SALU_CYCLE_1) | instskip(SKIP_2) | instid1(VALU_DEP_1)
	s_or_b32 exec_lo, exec_lo, s0
	v_lshrrev_b16 v8, 8, v30
	s_mov_b32 s0, exec_lo
	v_cmpx_ne_u16_e32 0, v8
	s_cbranch_execz .LBB287_3954
; %bb.3947:                             ;   in Loop: Header=BB287_2082 Depth=1
	v_dual_mov_b32 v65, s9 :: v_dual_mov_b32 v64, s8
	s_mov_b32 s1, exec_lo
	v_cmpx_ne_u16_e32 0x80, v8
	s_cbranch_execz .LBB287_3953
; %bb.3948:                             ;   in Loop: Header=BB287_2082 Depth=1
	s_mov_b32 s12, s8
	v_dual_mov_b32 v65, s13 :: v_dual_and_b32 v8, 0xffff, v8
	v_mov_b32_e32 v64, s12
	s_mov_b32 s2, exec_lo
	s_delay_alu instid0(VALU_DEP_2) | instskip(NEXT) | instid1(VALU_DEP_1)
	v_and_b32_e32 v10, 0x7f, v8
	v_cmpx_ne_u32_e32 0x7f, v10
	s_cbranch_execz .LBB287_3952
; %bb.3949:                             ;   in Loop: Header=BB287_2082 Depth=1
	v_and_b32_e32 v8, 7, v8
	v_lshrrev_b32_e32 v31, 3, v10
	v_cmp_gt_u32_e32 vcc_lo, 8, v10
	s_delay_alu instid0(VALU_DEP_3)
	v_dual_mov_b32 v11, v9 :: v_dual_mov_b32 v10, v8
	s_and_saveexec_b32 s3, vcc_lo
; %bb.3950:                             ;   in Loop: Header=BB287_2082 Depth=1
	v_clz_i32_u32_e32 v10, v8
	s_delay_alu instid0(VALU_DEP_1) | instskip(NEXT) | instid1(VALU_DEP_1)
	v_min_u32_e32 v31, 32, v10
	v_subrev_nc_u32_e32 v10, 28, v31
	v_sub_nc_u32_e32 v31, 29, v31
	s_delay_alu instid0(VALU_DEP_2) | instskip(NEXT) | instid1(VALU_DEP_1)
	v_lshlrev_b64 v[10:11], v10, v[8:9]
	v_and_b32_e32 v10, 7, v10
; %bb.3951:                             ;   in Loop: Header=BB287_2082 Depth=1
	s_or_b32 exec_lo, exec_lo, s3
	v_lshlrev_b32_e32 v8, 16, v30
	s_delay_alu instid0(VALU_DEP_2) | instskip(SKIP_2) | instid1(VALU_DEP_4)
	v_lshlrev_b32_e32 v10, 20, v10
	v_lshl_add_u32 v11, v31, 23, 0x3c000000
	v_mov_b32_e32 v64, v9
	v_and_b32_e32 v8, 0x80000000, v8
	s_delay_alu instid0(VALU_DEP_1)
	v_or3_b32 v65, v10, v8, v11
.LBB287_3952:                           ;   in Loop: Header=BB287_2082 Depth=1
	s_or_b32 exec_lo, exec_lo, s2
.LBB287_3953:                           ;   in Loop: Header=BB287_2082 Depth=1
	s_delay_alu instid0(SALU_CYCLE_1)
	s_or_b32 exec_lo, exec_lo, s1
.LBB287_3954:                           ;   in Loop: Header=BB287_2082 Depth=1
	s_delay_alu instid0(SALU_CYCLE_1) | instskip(SKIP_4) | instid1(VALU_DEP_2)
	s_or_b32 exec_lo, exec_lo, s0
	v_mov_b32_e32 v68, 0
	v_lshrrev_b32_e32 v31, 16, v30
	v_mov_b32_e32 v69, 0
	s_mov_b32 s0, exec_lo
	v_and_b32_e32 v8, 0xff, v31
	s_delay_alu instid0(VALU_DEP_2) | instskip(NEXT) | instid1(VALU_DEP_2)
	v_dual_mov_b32 v36, v68 :: v_dual_mov_b32 v37, v69
	v_cmpx_ne_u16_e32 0, v8
	s_cbranch_execz .LBB287_3962
; %bb.3955:                             ;   in Loop: Header=BB287_2082 Depth=1
	v_bfrev_b32_e32 v36, 1
	v_mov_b32_e32 v37, 0
	s_mov_b32 s1, exec_lo
	v_cmpx_ne_u16_e32 0x80, v8
	s_cbranch_execz .LBB287_3961
; %bb.3956:                             ;   in Loop: Header=BB287_2082 Depth=1
	v_mov_b32_e32 v36, 0x7f800001
	v_bfe_u32 v10, v30, 16, 7
	v_mov_b32_e32 v37, 0
	s_mov_b32 s2, exec_lo
	s_delay_alu instid0(VALU_DEP_2)
	v_cmpx_ne_u32_e32 0x7f, v10
	s_cbranch_execz .LBB287_3960
; %bb.3957:                             ;   in Loop: Header=BB287_2082 Depth=1
	v_and_b32_e32 v8, 7, v31
	v_lshrrev_b32_e32 v36, 3, v10
	v_cmp_gt_u32_e32 vcc_lo, 8, v10
	s_delay_alu instid0(VALU_DEP_3)
	v_dual_mov_b32 v11, v9 :: v_dual_mov_b32 v10, v8
	s_and_saveexec_b32 s3, vcc_lo
; %bb.3958:                             ;   in Loop: Header=BB287_2082 Depth=1
	v_clz_i32_u32_e32 v10, v8
	s_delay_alu instid0(VALU_DEP_1) | instskip(NEXT) | instid1(VALU_DEP_1)
	v_min_u32_e32 v36, 32, v10
	v_subrev_nc_u32_e32 v10, 28, v36
	v_sub_nc_u32_e32 v36, 29, v36
	s_delay_alu instid0(VALU_DEP_2) | instskip(NEXT) | instid1(VALU_DEP_1)
	v_lshlrev_b64 v[10:11], v10, v[8:9]
	v_and_b32_e32 v10, 7, v10
; %bb.3959:                             ;   in Loop: Header=BB287_2082 Depth=1
	s_or_b32 exec_lo, exec_lo, s3
	v_lshlrev_b32_e32 v8, 24, v31
	s_delay_alu instid0(VALU_DEP_2) | instskip(SKIP_1) | instid1(VALU_DEP_3)
	v_lshlrev_b32_e32 v10, 20, v10
	v_lshl_add_u32 v11, v36, 23, 0x3c000000
	v_and_b32_e32 v8, 0x80000000, v8
	s_delay_alu instid0(VALU_DEP_1) | instskip(NEXT) | instid1(VALU_DEP_1)
	v_or3_b32 v8, v10, v8, v11
	v_dual_mov_b32 v37, v9 :: v_dual_mov_b32 v36, v8
.LBB287_3960:                           ;   in Loop: Header=BB287_2082 Depth=1
	s_or_b32 exec_lo, exec_lo, s2
.LBB287_3961:                           ;   in Loop: Header=BB287_2082 Depth=1
	s_delay_alu instid0(SALU_CYCLE_1)
	s_or_b32 exec_lo, exec_lo, s1
.LBB287_3962:                           ;   in Loop: Header=BB287_2082 Depth=1
	s_delay_alu instid0(SALU_CYCLE_1) | instskip(NEXT) | instid1(SALU_CYCLE_1)
	s_or_b32 exec_lo, exec_lo, s0
	s_mov_b32 s0, exec_lo
	v_cmpx_lt_u32_e32 0xffffff, v30
	s_cbranch_execz .LBB287_3970
; %bb.3963:                             ;   in Loop: Header=BB287_2082 Depth=1
	v_lshrrev_b32_e32 v31, 24, v30
	v_dual_mov_b32 v69, s9 :: v_dual_mov_b32 v68, s8
	s_mov_b32 s1, exec_lo
	s_delay_alu instid0(VALU_DEP_2)
	v_cmpx_ne_u32_e32 0x80, v31
	s_cbranch_execz .LBB287_3969
; %bb.3964:                             ;   in Loop: Header=BB287_2082 Depth=1
	s_mov_b32 s12, s8
	v_bfe_u32 v10, v30, 24, 7
	v_dual_mov_b32 v69, s13 :: v_dual_mov_b32 v68, s12
	s_mov_b32 s2, exec_lo
	s_delay_alu instid0(VALU_DEP_2)
	v_cmpx_ne_u32_e32 0x7f, v10
	s_cbranch_execz .LBB287_3968
; %bb.3965:                             ;   in Loop: Header=BB287_2082 Depth=1
	v_and_b32_e32 v8, 7, v31
	v_lshrrev_b32_e32 v30, 3, v10
	v_cmp_gt_u32_e32 vcc_lo, 8, v10
	s_delay_alu instid0(VALU_DEP_3)
	v_dual_mov_b32 v11, v9 :: v_dual_mov_b32 v10, v8
	s_and_saveexec_b32 s3, vcc_lo
; %bb.3966:                             ;   in Loop: Header=BB287_2082 Depth=1
	v_clz_i32_u32_e32 v10, v8
	s_delay_alu instid0(VALU_DEP_1) | instskip(NEXT) | instid1(VALU_DEP_1)
	v_min_u32_e32 v30, 32, v10
	v_subrev_nc_u32_e32 v10, 28, v30
	v_sub_nc_u32_e32 v30, 29, v30
	s_delay_alu instid0(VALU_DEP_2) | instskip(NEXT) | instid1(VALU_DEP_1)
	v_lshlrev_b64 v[10:11], v10, v[8:9]
	v_and_b32_e32 v10, 7, v10
; %bb.3967:                             ;   in Loop: Header=BB287_2082 Depth=1
	s_or_b32 exec_lo, exec_lo, s3
	v_lshlrev_b32_e32 v8, 24, v31
	s_delay_alu instid0(VALU_DEP_2) | instskip(SKIP_2) | instid1(VALU_DEP_4)
	v_lshlrev_b32_e32 v10, 20, v10
	v_lshl_add_u32 v11, v30, 23, 0x3c000000
	v_mov_b32_e32 v68, v9
	v_and_b32_e32 v8, 0x80000000, v8
	s_delay_alu instid0(VALU_DEP_1)
	v_or3_b32 v69, v10, v8, v11
.LBB287_3968:                           ;   in Loop: Header=BB287_2082 Depth=1
	s_or_b32 exec_lo, exec_lo, s2
.LBB287_3969:                           ;   in Loop: Header=BB287_2082 Depth=1
	s_delay_alu instid0(SALU_CYCLE_1)
	s_or_b32 exec_lo, exec_lo, s1
.LBB287_3970:                           ;   in Loop: Header=BB287_2082 Depth=1
	s_delay_alu instid0(SALU_CYCLE_1)
	s_or_b32 exec_lo, exec_lo, s0
	scratch_load_b32 v8, off, s32 offset:2820 ; 4-byte Folded Reload
	v_mov_b32_e32 v74, 0
	s_mov_b32 s0, exec_lo
	s_waitcnt vmcnt(0)
	v_add_co_u32 v10, vcc_lo, v162, v8
	v_add_co_ci_u32_e32 v11, vcc_lo, 0, v163, vcc_lo
	flat_load_b32 v30, v[10:11]
	s_waitcnt vmcnt(0) lgkmcnt(0)
	v_dual_mov_b32 v75, 0 :: v_dual_and_b32 v8, 0xff, v30
	s_delay_alu instid0(VALU_DEP_1) | instskip(NEXT) | instid1(VALU_DEP_2)
	v_dual_mov_b32 v79, v75 :: v_dual_mov_b32 v78, v74
	v_cmpx_ne_u16_e32 0, v8
	s_cbranch_execz .LBB287_3978
; %bb.3971:                             ;   in Loop: Header=BB287_2082 Depth=1
	v_bfrev_b32_e32 v78, 1
	v_mov_b32_e32 v79, 0
	s_mov_b32 s1, exec_lo
	v_cmpx_ne_u16_e32 0x80, v8
	s_cbranch_execz .LBB287_3977
; %bb.3972:                             ;   in Loop: Header=BB287_2082 Depth=1
	v_mov_b32_e32 v78, 0x7f800001
	v_dual_mov_b32 v79, 0 :: v_dual_and_b32 v10, 0x7f, v30
	s_mov_b32 s2, exec_lo
	s_delay_alu instid0(VALU_DEP_1)
	v_cmpx_ne_u32_e32 0x7f, v10
	s_cbranch_execz .LBB287_3976
; %bb.3973:                             ;   in Loop: Header=BB287_2082 Depth=1
	v_and_b32_e32 v8, 7, v30
	v_lshrrev_b32_e32 v31, 3, v10
	v_cmp_gt_u32_e32 vcc_lo, 8, v10
	s_delay_alu instid0(VALU_DEP_3)
	v_dual_mov_b32 v11, v9 :: v_dual_mov_b32 v10, v8
	s_and_saveexec_b32 s3, vcc_lo
; %bb.3974:                             ;   in Loop: Header=BB287_2082 Depth=1
	v_clz_i32_u32_e32 v10, v8
	s_delay_alu instid0(VALU_DEP_1) | instskip(NEXT) | instid1(VALU_DEP_1)
	v_min_u32_e32 v31, 32, v10
	v_subrev_nc_u32_e32 v10, 28, v31
	v_sub_nc_u32_e32 v31, 29, v31
	s_delay_alu instid0(VALU_DEP_2) | instskip(NEXT) | instid1(VALU_DEP_1)
	v_lshlrev_b64 v[10:11], v10, v[8:9]
	v_and_b32_e32 v10, 7, v10
; %bb.3975:                             ;   in Loop: Header=BB287_2082 Depth=1
	s_or_b32 exec_lo, exec_lo, s3
	v_lshlrev_b32_e32 v8, 24, v30
	s_delay_alu instid0(VALU_DEP_2) | instskip(SKIP_1) | instid1(VALU_DEP_3)
	v_lshlrev_b32_e32 v10, 20, v10
	v_lshl_add_u32 v11, v31, 23, 0x3c000000
	v_and_b32_e32 v8, 0x80000000, v8
	s_delay_alu instid0(VALU_DEP_1) | instskip(NEXT) | instid1(VALU_DEP_1)
	v_or3_b32 v8, v10, v8, v11
	v_dual_mov_b32 v79, v9 :: v_dual_mov_b32 v78, v8
.LBB287_3976:                           ;   in Loop: Header=BB287_2082 Depth=1
	s_or_b32 exec_lo, exec_lo, s2
.LBB287_3977:                           ;   in Loop: Header=BB287_2082 Depth=1
	s_delay_alu instid0(SALU_CYCLE_1)
	s_or_b32 exec_lo, exec_lo, s1
.LBB287_3978:                           ;   in Loop: Header=BB287_2082 Depth=1
	s_delay_alu instid0(SALU_CYCLE_1) | instskip(SKIP_2) | instid1(VALU_DEP_1)
	s_or_b32 exec_lo, exec_lo, s0
	v_lshrrev_b16 v8, 8, v30
	s_mov_b32 s0, exec_lo
	v_cmpx_ne_u16_e32 0, v8
	s_cbranch_execz .LBB287_3986
; %bb.3979:                             ;   in Loop: Header=BB287_2082 Depth=1
	v_dual_mov_b32 v75, s9 :: v_dual_mov_b32 v74, s8
	s_mov_b32 s1, exec_lo
	v_cmpx_ne_u16_e32 0x80, v8
	s_cbranch_execz .LBB287_3985
; %bb.3980:                             ;   in Loop: Header=BB287_2082 Depth=1
	s_mov_b32 s12, s8
	v_dual_mov_b32 v75, s13 :: v_dual_and_b32 v8, 0xffff, v8
	v_mov_b32_e32 v74, s12
	s_mov_b32 s2, exec_lo
	s_delay_alu instid0(VALU_DEP_2) | instskip(NEXT) | instid1(VALU_DEP_1)
	v_and_b32_e32 v10, 0x7f, v8
	v_cmpx_ne_u32_e32 0x7f, v10
	s_cbranch_execz .LBB287_3984
; %bb.3981:                             ;   in Loop: Header=BB287_2082 Depth=1
	v_and_b32_e32 v8, 7, v8
	v_lshrrev_b32_e32 v31, 3, v10
	v_cmp_gt_u32_e32 vcc_lo, 8, v10
	s_delay_alu instid0(VALU_DEP_3)
	v_dual_mov_b32 v11, v9 :: v_dual_mov_b32 v10, v8
	s_and_saveexec_b32 s3, vcc_lo
; %bb.3982:                             ;   in Loop: Header=BB287_2082 Depth=1
	v_clz_i32_u32_e32 v10, v8
	s_delay_alu instid0(VALU_DEP_1) | instskip(NEXT) | instid1(VALU_DEP_1)
	v_min_u32_e32 v31, 32, v10
	v_subrev_nc_u32_e32 v10, 28, v31
	v_sub_nc_u32_e32 v31, 29, v31
	s_delay_alu instid0(VALU_DEP_2) | instskip(NEXT) | instid1(VALU_DEP_1)
	v_lshlrev_b64 v[10:11], v10, v[8:9]
	v_and_b32_e32 v10, 7, v10
; %bb.3983:                             ;   in Loop: Header=BB287_2082 Depth=1
	s_or_b32 exec_lo, exec_lo, s3
	v_lshlrev_b32_e32 v8, 16, v30
	s_delay_alu instid0(VALU_DEP_2) | instskip(SKIP_2) | instid1(VALU_DEP_4)
	v_lshlrev_b32_e32 v10, 20, v10
	v_lshl_add_u32 v11, v31, 23, 0x3c000000
	v_mov_b32_e32 v74, v9
	v_and_b32_e32 v8, 0x80000000, v8
	s_delay_alu instid0(VALU_DEP_1)
	v_or3_b32 v75, v10, v8, v11
.LBB287_3984:                           ;   in Loop: Header=BB287_2082 Depth=1
	s_or_b32 exec_lo, exec_lo, s2
.LBB287_3985:                           ;   in Loop: Header=BB287_2082 Depth=1
	s_delay_alu instid0(SALU_CYCLE_1)
	s_or_b32 exec_lo, exec_lo, s1
.LBB287_3986:                           ;   in Loop: Header=BB287_2082 Depth=1
	s_delay_alu instid0(SALU_CYCLE_1) | instskip(SKIP_4) | instid1(VALU_DEP_2)
	s_or_b32 exec_lo, exec_lo, s0
	v_mov_b32_e32 v180, 0
	v_lshrrev_b32_e32 v31, 16, v30
	v_mov_b32_e32 v181, 0
	s_mov_b32 s0, exec_lo
	v_and_b32_e32 v8, 0xff, v31
	s_delay_alu instid0(VALU_DEP_2) | instskip(NEXT) | instid1(VALU_DEP_2)
	v_dual_mov_b32 v90, v180 :: v_dual_mov_b32 v91, v181
	v_cmpx_ne_u16_e32 0, v8
	s_cbranch_execz .LBB287_3994
; %bb.3987:                             ;   in Loop: Header=BB287_2082 Depth=1
	v_bfrev_b32_e32 v90, 1
	v_mov_b32_e32 v91, 0
	s_mov_b32 s1, exec_lo
	v_cmpx_ne_u16_e32 0x80, v8
	s_cbranch_execz .LBB287_3993
; %bb.3988:                             ;   in Loop: Header=BB287_2082 Depth=1
	v_mov_b32_e32 v90, 0x7f800001
	v_bfe_u32 v10, v30, 16, 7
	v_mov_b32_e32 v91, 0
	s_mov_b32 s2, exec_lo
	s_delay_alu instid0(VALU_DEP_2)
	v_cmpx_ne_u32_e32 0x7f, v10
	s_cbranch_execz .LBB287_3992
; %bb.3989:                             ;   in Loop: Header=BB287_2082 Depth=1
	v_and_b32_e32 v8, 7, v31
	v_lshrrev_b32_e32 v38, 3, v10
	v_cmp_gt_u32_e32 vcc_lo, 8, v10
	s_delay_alu instid0(VALU_DEP_3)
	v_dual_mov_b32 v11, v9 :: v_dual_mov_b32 v10, v8
	s_and_saveexec_b32 s3, vcc_lo
; %bb.3990:                             ;   in Loop: Header=BB287_2082 Depth=1
	v_clz_i32_u32_e32 v10, v8
	s_delay_alu instid0(VALU_DEP_1) | instskip(NEXT) | instid1(VALU_DEP_1)
	v_min_u32_e32 v38, 32, v10
	v_subrev_nc_u32_e32 v10, 28, v38
	v_sub_nc_u32_e32 v38, 29, v38
	s_delay_alu instid0(VALU_DEP_2) | instskip(NEXT) | instid1(VALU_DEP_1)
	v_lshlrev_b64 v[10:11], v10, v[8:9]
	v_and_b32_e32 v10, 7, v10
; %bb.3991:                             ;   in Loop: Header=BB287_2082 Depth=1
	s_or_b32 exec_lo, exec_lo, s3
	v_lshlrev_b32_e32 v8, 24, v31
	s_delay_alu instid0(VALU_DEP_2) | instskip(SKIP_1) | instid1(VALU_DEP_3)
	v_lshlrev_b32_e32 v10, 20, v10
	v_lshl_add_u32 v11, v38, 23, 0x3c000000
	v_and_b32_e32 v8, 0x80000000, v8
	s_delay_alu instid0(VALU_DEP_1) | instskip(NEXT) | instid1(VALU_DEP_1)
	v_or3_b32 v8, v10, v8, v11
	v_dual_mov_b32 v91, v9 :: v_dual_mov_b32 v90, v8
.LBB287_3992:                           ;   in Loop: Header=BB287_2082 Depth=1
	s_or_b32 exec_lo, exec_lo, s2
.LBB287_3993:                           ;   in Loop: Header=BB287_2082 Depth=1
	s_delay_alu instid0(SALU_CYCLE_1)
	s_or_b32 exec_lo, exec_lo, s1
.LBB287_3994:                           ;   in Loop: Header=BB287_2082 Depth=1
	s_delay_alu instid0(SALU_CYCLE_1) | instskip(NEXT) | instid1(SALU_CYCLE_1)
	s_or_b32 exec_lo, exec_lo, s0
	s_mov_b32 s0, exec_lo
	v_cmpx_lt_u32_e32 0xffffff, v30
	s_cbranch_execz .LBB287_4002
; %bb.3995:                             ;   in Loop: Header=BB287_2082 Depth=1
	v_lshrrev_b32_e32 v31, 24, v30
	v_dual_mov_b32 v181, s9 :: v_dual_mov_b32 v180, s8
	s_mov_b32 s1, exec_lo
	s_delay_alu instid0(VALU_DEP_2)
	v_cmpx_ne_u32_e32 0x80, v31
	s_cbranch_execz .LBB287_4001
; %bb.3996:                             ;   in Loop: Header=BB287_2082 Depth=1
	s_mov_b32 s12, s8
	v_bfe_u32 v10, v30, 24, 7
	v_dual_mov_b32 v181, s13 :: v_dual_mov_b32 v180, s12
	s_mov_b32 s2, exec_lo
	s_delay_alu instid0(VALU_DEP_2)
	v_cmpx_ne_u32_e32 0x7f, v10
	s_cbranch_execz .LBB287_4000
; %bb.3997:                             ;   in Loop: Header=BB287_2082 Depth=1
	v_and_b32_e32 v8, 7, v31
	v_lshrrev_b32_e32 v30, 3, v10
	v_cmp_gt_u32_e32 vcc_lo, 8, v10
	s_delay_alu instid0(VALU_DEP_3)
	v_dual_mov_b32 v11, v9 :: v_dual_mov_b32 v10, v8
	s_and_saveexec_b32 s3, vcc_lo
; %bb.3998:                             ;   in Loop: Header=BB287_2082 Depth=1
	v_clz_i32_u32_e32 v10, v8
	s_delay_alu instid0(VALU_DEP_1) | instskip(NEXT) | instid1(VALU_DEP_1)
	v_min_u32_e32 v30, 32, v10
	v_subrev_nc_u32_e32 v10, 28, v30
	v_sub_nc_u32_e32 v30, 29, v30
	s_delay_alu instid0(VALU_DEP_2) | instskip(NEXT) | instid1(VALU_DEP_1)
	v_lshlrev_b64 v[10:11], v10, v[8:9]
	v_and_b32_e32 v10, 7, v10
; %bb.3999:                             ;   in Loop: Header=BB287_2082 Depth=1
	s_or_b32 exec_lo, exec_lo, s3
	v_lshlrev_b32_e32 v8, 24, v31
	s_delay_alu instid0(VALU_DEP_2) | instskip(SKIP_2) | instid1(VALU_DEP_4)
	v_lshlrev_b32_e32 v10, 20, v10
	v_lshl_add_u32 v11, v30, 23, 0x3c000000
	v_mov_b32_e32 v180, v9
	v_and_b32_e32 v8, 0x80000000, v8
	s_delay_alu instid0(VALU_DEP_1)
	v_or3_b32 v181, v10, v8, v11
.LBB287_4000:                           ;   in Loop: Header=BB287_2082 Depth=1
	s_or_b32 exec_lo, exec_lo, s2
.LBB287_4001:                           ;   in Loop: Header=BB287_2082 Depth=1
	s_delay_alu instid0(SALU_CYCLE_1)
	s_or_b32 exec_lo, exec_lo, s1
.LBB287_4002:                           ;   in Loop: Header=BB287_2082 Depth=1
	s_delay_alu instid0(SALU_CYCLE_1)
	s_or_b32 exec_lo, exec_lo, s0
	scratch_load_b32 v8, off, s32 offset:2836 ; 4-byte Folded Reload
	v_mov_b32_e32 v40, 0
	s_mov_b32 s0, exec_lo
	s_waitcnt vmcnt(0)
	v_add_co_u32 v10, vcc_lo, v162, v8
	v_add_co_ci_u32_e32 v11, vcc_lo, 0, v163, vcc_lo
	flat_load_b32 v30, v[10:11]
	s_waitcnt vmcnt(0) lgkmcnt(0)
	v_dual_mov_b32 v41, 0 :: v_dual_and_b32 v8, 0xff, v30
	s_delay_alu instid0(VALU_DEP_1) | instskip(NEXT) | instid1(VALU_DEP_2)
	v_dual_mov_b32 v103, v41 :: v_dual_mov_b32 v102, v40
	v_cmpx_ne_u16_e32 0, v8
	s_cbranch_execz .LBB287_4010
; %bb.4003:                             ;   in Loop: Header=BB287_2082 Depth=1
	v_bfrev_b32_e32 v102, 1
	v_mov_b32_e32 v103, 0
	s_mov_b32 s1, exec_lo
	v_cmpx_ne_u16_e32 0x80, v8
	s_cbranch_execz .LBB287_4009
; %bb.4004:                             ;   in Loop: Header=BB287_2082 Depth=1
	v_mov_b32_e32 v102, 0x7f800001
	v_dual_mov_b32 v103, 0 :: v_dual_and_b32 v10, 0x7f, v30
	s_mov_b32 s2, exec_lo
	s_delay_alu instid0(VALU_DEP_1)
	v_cmpx_ne_u32_e32 0x7f, v10
	s_cbranch_execz .LBB287_4008
; %bb.4005:                             ;   in Loop: Header=BB287_2082 Depth=1
	v_and_b32_e32 v8, 7, v30
	v_lshrrev_b32_e32 v31, 3, v10
	v_cmp_gt_u32_e32 vcc_lo, 8, v10
	s_delay_alu instid0(VALU_DEP_3)
	v_dual_mov_b32 v11, v9 :: v_dual_mov_b32 v10, v8
	s_and_saveexec_b32 s3, vcc_lo
; %bb.4006:                             ;   in Loop: Header=BB287_2082 Depth=1
	v_clz_i32_u32_e32 v10, v8
	s_delay_alu instid0(VALU_DEP_1) | instskip(NEXT) | instid1(VALU_DEP_1)
	v_min_u32_e32 v31, 32, v10
	v_subrev_nc_u32_e32 v10, 28, v31
	v_sub_nc_u32_e32 v31, 29, v31
	s_delay_alu instid0(VALU_DEP_2) | instskip(NEXT) | instid1(VALU_DEP_1)
	v_lshlrev_b64 v[10:11], v10, v[8:9]
	v_and_b32_e32 v10, 7, v10
; %bb.4007:                             ;   in Loop: Header=BB287_2082 Depth=1
	s_or_b32 exec_lo, exec_lo, s3
	v_lshlrev_b32_e32 v8, 24, v30
	s_delay_alu instid0(VALU_DEP_2) | instskip(SKIP_1) | instid1(VALU_DEP_3)
	v_lshlrev_b32_e32 v10, 20, v10
	v_lshl_add_u32 v11, v31, 23, 0x3c000000
	v_and_b32_e32 v8, 0x80000000, v8
	s_delay_alu instid0(VALU_DEP_1) | instskip(NEXT) | instid1(VALU_DEP_1)
	v_or3_b32 v8, v10, v8, v11
	v_dual_mov_b32 v103, v9 :: v_dual_mov_b32 v102, v8
.LBB287_4008:                           ;   in Loop: Header=BB287_2082 Depth=1
	s_or_b32 exec_lo, exec_lo, s2
.LBB287_4009:                           ;   in Loop: Header=BB287_2082 Depth=1
	s_delay_alu instid0(SALU_CYCLE_1)
	s_or_b32 exec_lo, exec_lo, s1
.LBB287_4010:                           ;   in Loop: Header=BB287_2082 Depth=1
	s_delay_alu instid0(SALU_CYCLE_1) | instskip(SKIP_2) | instid1(VALU_DEP_1)
	s_or_b32 exec_lo, exec_lo, s0
	v_lshrrev_b16 v8, 8, v30
	s_mov_b32 s0, exec_lo
	v_cmpx_ne_u16_e32 0, v8
	s_cbranch_execz .LBB287_4018
; %bb.4011:                             ;   in Loop: Header=BB287_2082 Depth=1
	v_dual_mov_b32 v41, s9 :: v_dual_mov_b32 v40, s8
	s_mov_b32 s1, exec_lo
	v_cmpx_ne_u16_e32 0x80, v8
	s_cbranch_execz .LBB287_4017
; %bb.4012:                             ;   in Loop: Header=BB287_2082 Depth=1
	s_mov_b32 s12, s8
	v_dual_mov_b32 v41, s13 :: v_dual_and_b32 v8, 0xffff, v8
	v_mov_b32_e32 v40, s12
	s_mov_b32 s2, exec_lo
	s_delay_alu instid0(VALU_DEP_2) | instskip(NEXT) | instid1(VALU_DEP_1)
	v_and_b32_e32 v10, 0x7f, v8
	v_cmpx_ne_u32_e32 0x7f, v10
	s_cbranch_execz .LBB287_4016
; %bb.4013:                             ;   in Loop: Header=BB287_2082 Depth=1
	v_and_b32_e32 v8, 7, v8
	v_lshrrev_b32_e32 v31, 3, v10
	v_cmp_gt_u32_e32 vcc_lo, 8, v10
	s_delay_alu instid0(VALU_DEP_3)
	v_dual_mov_b32 v11, v9 :: v_dual_mov_b32 v10, v8
	s_and_saveexec_b32 s3, vcc_lo
; %bb.4014:                             ;   in Loop: Header=BB287_2082 Depth=1
	v_clz_i32_u32_e32 v10, v8
	s_delay_alu instid0(VALU_DEP_1) | instskip(NEXT) | instid1(VALU_DEP_1)
	v_min_u32_e32 v31, 32, v10
	v_subrev_nc_u32_e32 v10, 28, v31
	v_sub_nc_u32_e32 v31, 29, v31
	s_delay_alu instid0(VALU_DEP_2) | instskip(NEXT) | instid1(VALU_DEP_1)
	v_lshlrev_b64 v[10:11], v10, v[8:9]
	v_and_b32_e32 v10, 7, v10
; %bb.4015:                             ;   in Loop: Header=BB287_2082 Depth=1
	s_or_b32 exec_lo, exec_lo, s3
	v_lshlrev_b32_e32 v8, 16, v30
	s_delay_alu instid0(VALU_DEP_2) | instskip(SKIP_2) | instid1(VALU_DEP_4)
	v_lshlrev_b32_e32 v10, 20, v10
	v_lshl_add_u32 v11, v31, 23, 0x3c000000
	v_mov_b32_e32 v40, v9
	v_and_b32_e32 v8, 0x80000000, v8
	s_delay_alu instid0(VALU_DEP_1)
	v_or3_b32 v41, v10, v8, v11
.LBB287_4016:                           ;   in Loop: Header=BB287_2082 Depth=1
	s_or_b32 exec_lo, exec_lo, s2
.LBB287_4017:                           ;   in Loop: Header=BB287_2082 Depth=1
	s_delay_alu instid0(SALU_CYCLE_1)
	s_or_b32 exec_lo, exec_lo, s1
.LBB287_4018:                           ;   in Loop: Header=BB287_2082 Depth=1
	s_delay_alu instid0(SALU_CYCLE_1) | instskip(SKIP_4) | instid1(VALU_DEP_1)
	s_or_b32 exec_lo, exec_lo, s0
	v_mov_b32_e32 v44, 0
	v_lshrrev_b32_e32 v31, 16, v30
	v_mov_b32_e32 v45, 0
	s_mov_b32 s0, exec_lo
	v_dual_mov_b32 v115, v45 :: v_dual_and_b32 v8, 0xff, v31
	v_mov_b32_e32 v114, v44
	s_delay_alu instid0(VALU_DEP_2)
	v_cmpx_ne_u16_e32 0, v8
	s_cbranch_execz .LBB287_4026
; %bb.4019:                             ;   in Loop: Header=BB287_2082 Depth=1
	v_bfrev_b32_e32 v114, 1
	v_mov_b32_e32 v115, 0
	s_mov_b32 s1, exec_lo
	v_cmpx_ne_u16_e32 0x80, v8
	s_cbranch_execz .LBB287_4025
; %bb.4020:                             ;   in Loop: Header=BB287_2082 Depth=1
	v_mov_b32_e32 v114, 0x7f800001
	v_bfe_u32 v10, v30, 16, 7
	v_mov_b32_e32 v115, 0
	s_mov_b32 s2, exec_lo
	s_delay_alu instid0(VALU_DEP_2)
	v_cmpx_ne_u32_e32 0x7f, v10
	s_cbranch_execz .LBB287_4024
; %bb.4021:                             ;   in Loop: Header=BB287_2082 Depth=1
	v_and_b32_e32 v8, 7, v31
	v_lshrrev_b32_e32 v38, 3, v10
	v_cmp_gt_u32_e32 vcc_lo, 8, v10
	s_delay_alu instid0(VALU_DEP_3)
	v_dual_mov_b32 v11, v9 :: v_dual_mov_b32 v10, v8
	s_and_saveexec_b32 s3, vcc_lo
; %bb.4022:                             ;   in Loop: Header=BB287_2082 Depth=1
	v_clz_i32_u32_e32 v10, v8
	s_delay_alu instid0(VALU_DEP_1) | instskip(NEXT) | instid1(VALU_DEP_1)
	v_min_u32_e32 v38, 32, v10
	v_subrev_nc_u32_e32 v10, 28, v38
	v_sub_nc_u32_e32 v38, 29, v38
	s_delay_alu instid0(VALU_DEP_2) | instskip(NEXT) | instid1(VALU_DEP_1)
	v_lshlrev_b64 v[10:11], v10, v[8:9]
	v_and_b32_e32 v10, 7, v10
; %bb.4023:                             ;   in Loop: Header=BB287_2082 Depth=1
	s_or_b32 exec_lo, exec_lo, s3
	v_lshlrev_b32_e32 v8, 24, v31
	s_delay_alu instid0(VALU_DEP_2) | instskip(SKIP_1) | instid1(VALU_DEP_3)
	v_lshlrev_b32_e32 v10, 20, v10
	v_lshl_add_u32 v11, v38, 23, 0x3c000000
	v_and_b32_e32 v8, 0x80000000, v8
	s_delay_alu instid0(VALU_DEP_1) | instskip(NEXT) | instid1(VALU_DEP_1)
	v_or3_b32 v8, v10, v8, v11
	v_dual_mov_b32 v115, v9 :: v_dual_mov_b32 v114, v8
.LBB287_4024:                           ;   in Loop: Header=BB287_2082 Depth=1
	s_or_b32 exec_lo, exec_lo, s2
.LBB287_4025:                           ;   in Loop: Header=BB287_2082 Depth=1
	s_delay_alu instid0(SALU_CYCLE_1)
	s_or_b32 exec_lo, exec_lo, s1
.LBB287_4026:                           ;   in Loop: Header=BB287_2082 Depth=1
	s_delay_alu instid0(SALU_CYCLE_1) | instskip(NEXT) | instid1(SALU_CYCLE_1)
	s_or_b32 exec_lo, exec_lo, s0
	s_mov_b32 s0, exec_lo
	v_cmpx_lt_u32_e32 0xffffff, v30
	s_cbranch_execz .LBB287_4034
; %bb.4027:                             ;   in Loop: Header=BB287_2082 Depth=1
	v_lshrrev_b32_e32 v31, 24, v30
	v_dual_mov_b32 v45, s9 :: v_dual_mov_b32 v44, s8
	s_mov_b32 s1, exec_lo
	s_delay_alu instid0(VALU_DEP_2)
	v_cmpx_ne_u32_e32 0x80, v31
	s_cbranch_execz .LBB287_4033
; %bb.4028:                             ;   in Loop: Header=BB287_2082 Depth=1
	s_mov_b32 s12, s8
	v_bfe_u32 v10, v30, 24, 7
	v_dual_mov_b32 v45, s13 :: v_dual_mov_b32 v44, s12
	s_mov_b32 s2, exec_lo
	s_delay_alu instid0(VALU_DEP_2)
	v_cmpx_ne_u32_e32 0x7f, v10
	s_cbranch_execz .LBB287_4032
; %bb.4029:                             ;   in Loop: Header=BB287_2082 Depth=1
	v_and_b32_e32 v8, 7, v31
	v_lshrrev_b32_e32 v30, 3, v10
	v_cmp_gt_u32_e32 vcc_lo, 8, v10
	s_delay_alu instid0(VALU_DEP_3)
	v_dual_mov_b32 v11, v9 :: v_dual_mov_b32 v10, v8
	s_and_saveexec_b32 s3, vcc_lo
; %bb.4030:                             ;   in Loop: Header=BB287_2082 Depth=1
	v_clz_i32_u32_e32 v10, v8
	s_delay_alu instid0(VALU_DEP_1) | instskip(NEXT) | instid1(VALU_DEP_1)
	v_min_u32_e32 v30, 32, v10
	v_subrev_nc_u32_e32 v10, 28, v30
	v_sub_nc_u32_e32 v30, 29, v30
	s_delay_alu instid0(VALU_DEP_2) | instskip(NEXT) | instid1(VALU_DEP_1)
	v_lshlrev_b64 v[10:11], v10, v[8:9]
	v_and_b32_e32 v10, 7, v10
; %bb.4031:                             ;   in Loop: Header=BB287_2082 Depth=1
	s_or_b32 exec_lo, exec_lo, s3
	v_lshlrev_b32_e32 v8, 24, v31
	s_delay_alu instid0(VALU_DEP_2) | instskip(SKIP_2) | instid1(VALU_DEP_4)
	v_lshlrev_b32_e32 v10, 20, v10
	v_lshl_add_u32 v11, v30, 23, 0x3c000000
	v_mov_b32_e32 v44, v9
	v_and_b32_e32 v8, 0x80000000, v8
	s_delay_alu instid0(VALU_DEP_1)
	v_or3_b32 v45, v10, v8, v11
.LBB287_4032:                           ;   in Loop: Header=BB287_2082 Depth=1
	s_or_b32 exec_lo, exec_lo, s2
.LBB287_4033:                           ;   in Loop: Header=BB287_2082 Depth=1
	s_delay_alu instid0(SALU_CYCLE_1)
	s_or_b32 exec_lo, exec_lo, s1
.LBB287_4034:                           ;   in Loop: Header=BB287_2082 Depth=1
	s_delay_alu instid0(SALU_CYCLE_1)
	s_or_b32 exec_lo, exec_lo, s0
	scratch_load_b32 v8, off, s32 offset:2852 ; 4-byte Folded Reload
	v_mov_b32_e32 v118, 0
	s_mov_b32 s0, exec_lo
	s_waitcnt vmcnt(0)
	v_add_co_u32 v10, vcc_lo, v162, v8
	v_add_co_ci_u32_e32 v11, vcc_lo, 0, v163, vcc_lo
	flat_load_b32 v30, v[10:11]
	s_waitcnt vmcnt(0) lgkmcnt(0)
	v_dual_mov_b32 v119, 0 :: v_dual_and_b32 v8, 0xff, v30
	s_delay_alu instid0(VALU_DEP_1) | instskip(NEXT) | instid1(VALU_DEP_2)
	v_dual_mov_b32 v98, v118 :: v_dual_mov_b32 v99, v119
	v_cmpx_ne_u16_e32 0, v8
	s_cbranch_execz .LBB287_4042
; %bb.4035:                             ;   in Loop: Header=BB287_2082 Depth=1
	v_bfrev_b32_e32 v98, 1
	v_mov_b32_e32 v99, 0
	s_mov_b32 s1, exec_lo
	v_cmpx_ne_u16_e32 0x80, v8
	s_cbranch_execz .LBB287_4041
; %bb.4036:                             ;   in Loop: Header=BB287_2082 Depth=1
	v_mov_b32_e32 v98, 0x7f800001
	v_dual_mov_b32 v99, 0 :: v_dual_and_b32 v10, 0x7f, v30
	s_mov_b32 s2, exec_lo
	s_delay_alu instid0(VALU_DEP_1)
	v_cmpx_ne_u32_e32 0x7f, v10
	s_cbranch_execz .LBB287_4040
; %bb.4037:                             ;   in Loop: Header=BB287_2082 Depth=1
	v_and_b32_e32 v8, 7, v30
	v_lshrrev_b32_e32 v31, 3, v10
	v_cmp_gt_u32_e32 vcc_lo, 8, v10
	s_delay_alu instid0(VALU_DEP_3)
	v_dual_mov_b32 v11, v9 :: v_dual_mov_b32 v10, v8
	s_and_saveexec_b32 s3, vcc_lo
; %bb.4038:                             ;   in Loop: Header=BB287_2082 Depth=1
	v_clz_i32_u32_e32 v10, v8
	s_delay_alu instid0(VALU_DEP_1) | instskip(NEXT) | instid1(VALU_DEP_1)
	v_min_u32_e32 v31, 32, v10
	v_subrev_nc_u32_e32 v10, 28, v31
	v_sub_nc_u32_e32 v31, 29, v31
	s_delay_alu instid0(VALU_DEP_2) | instskip(NEXT) | instid1(VALU_DEP_1)
	v_lshlrev_b64 v[10:11], v10, v[8:9]
	v_and_b32_e32 v10, 7, v10
; %bb.4039:                             ;   in Loop: Header=BB287_2082 Depth=1
	s_or_b32 exec_lo, exec_lo, s3
	v_lshlrev_b32_e32 v8, 24, v30
	s_delay_alu instid0(VALU_DEP_2) | instskip(SKIP_1) | instid1(VALU_DEP_3)
	v_lshlrev_b32_e32 v10, 20, v10
	v_lshl_add_u32 v11, v31, 23, 0x3c000000
	v_and_b32_e32 v8, 0x80000000, v8
	s_delay_alu instid0(VALU_DEP_1) | instskip(NEXT) | instid1(VALU_DEP_1)
	v_or3_b32 v8, v10, v8, v11
	v_dual_mov_b32 v99, v9 :: v_dual_mov_b32 v98, v8
.LBB287_4040:                           ;   in Loop: Header=BB287_2082 Depth=1
	s_or_b32 exec_lo, exec_lo, s2
.LBB287_4041:                           ;   in Loop: Header=BB287_2082 Depth=1
	s_delay_alu instid0(SALU_CYCLE_1)
	s_or_b32 exec_lo, exec_lo, s1
.LBB287_4042:                           ;   in Loop: Header=BB287_2082 Depth=1
	s_delay_alu instid0(SALU_CYCLE_1) | instskip(SKIP_2) | instid1(VALU_DEP_1)
	s_or_b32 exec_lo, exec_lo, s0
	v_lshrrev_b16 v8, 8, v30
	s_mov_b32 s0, exec_lo
	v_cmpx_ne_u16_e32 0, v8
	s_cbranch_execz .LBB287_4050
; %bb.4043:                             ;   in Loop: Header=BB287_2082 Depth=1
	v_dual_mov_b32 v119, s9 :: v_dual_mov_b32 v118, s8
	s_mov_b32 s1, exec_lo
	v_cmpx_ne_u16_e32 0x80, v8
	s_cbranch_execz .LBB287_4049
; %bb.4044:                             ;   in Loop: Header=BB287_2082 Depth=1
	s_mov_b32 s12, s8
	v_dual_mov_b32 v119, s13 :: v_dual_and_b32 v8, 0xffff, v8
	v_mov_b32_e32 v118, s12
	s_mov_b32 s2, exec_lo
	s_delay_alu instid0(VALU_DEP_2) | instskip(NEXT) | instid1(VALU_DEP_1)
	v_and_b32_e32 v10, 0x7f, v8
	v_cmpx_ne_u32_e32 0x7f, v10
	s_cbranch_execz .LBB287_4048
; %bb.4045:                             ;   in Loop: Header=BB287_2082 Depth=1
	v_and_b32_e32 v8, 7, v8
	v_lshrrev_b32_e32 v31, 3, v10
	v_cmp_gt_u32_e32 vcc_lo, 8, v10
	s_delay_alu instid0(VALU_DEP_3)
	v_dual_mov_b32 v11, v9 :: v_dual_mov_b32 v10, v8
	s_and_saveexec_b32 s3, vcc_lo
; %bb.4046:                             ;   in Loop: Header=BB287_2082 Depth=1
	v_clz_i32_u32_e32 v10, v8
	s_delay_alu instid0(VALU_DEP_1) | instskip(NEXT) | instid1(VALU_DEP_1)
	v_min_u32_e32 v31, 32, v10
	v_subrev_nc_u32_e32 v10, 28, v31
	v_sub_nc_u32_e32 v31, 29, v31
	s_delay_alu instid0(VALU_DEP_2) | instskip(NEXT) | instid1(VALU_DEP_1)
	v_lshlrev_b64 v[10:11], v10, v[8:9]
	v_and_b32_e32 v10, 7, v10
; %bb.4047:                             ;   in Loop: Header=BB287_2082 Depth=1
	s_or_b32 exec_lo, exec_lo, s3
	v_lshlrev_b32_e32 v8, 16, v30
	s_delay_alu instid0(VALU_DEP_2) | instskip(SKIP_2) | instid1(VALU_DEP_4)
	v_lshlrev_b32_e32 v10, 20, v10
	v_lshl_add_u32 v11, v31, 23, 0x3c000000
	v_mov_b32_e32 v118, v9
	v_and_b32_e32 v8, 0x80000000, v8
	s_delay_alu instid0(VALU_DEP_1)
	v_or3_b32 v119, v10, v8, v11
.LBB287_4048:                           ;   in Loop: Header=BB287_2082 Depth=1
	s_or_b32 exec_lo, exec_lo, s2
.LBB287_4049:                           ;   in Loop: Header=BB287_2082 Depth=1
	s_delay_alu instid0(SALU_CYCLE_1)
	s_or_b32 exec_lo, exec_lo, s1
.LBB287_4050:                           ;   in Loop: Header=BB287_2082 Depth=1
	s_delay_alu instid0(SALU_CYCLE_1) | instskip(SKIP_4) | instid1(VALU_DEP_1)
	s_or_b32 exec_lo, exec_lo, s0
	v_mov_b32_e32 v10, 0
	v_lshrrev_b32_e32 v31, 16, v30
	v_mov_b32_e32 v11, 0
	s_mov_b32 s0, exec_lo
	v_dual_mov_b32 v131, v11 :: v_dual_and_b32 v8, 0xff, v31
	v_mov_b32_e32 v130, v10
	s_delay_alu instid0(VALU_DEP_2)
	v_cmpx_ne_u16_e32 0, v8
	s_cbranch_execz .LBB287_4058
; %bb.4051:                             ;   in Loop: Header=BB287_2082 Depth=1
	v_bfrev_b32_e32 v130, 1
	v_mov_b32_e32 v131, 0
	s_mov_b32 s1, exec_lo
	v_cmpx_ne_u16_e32 0x80, v8
	s_cbranch_execz .LBB287_4057
; %bb.4052:                             ;   in Loop: Header=BB287_2082 Depth=1
	v_mov_b32_e32 v130, 0x7f800001
	v_bfe_u32 v39, v30, 16, 7
	v_mov_b32_e32 v131, 0
	s_mov_b32 s2, exec_lo
	s_delay_alu instid0(VALU_DEP_2)
	v_cmpx_ne_u32_e32 0x7f, v39
	s_cbranch_execz .LBB287_4056
; %bb.4053:                             ;   in Loop: Header=BB287_2082 Depth=1
	v_and_b32_e32 v8, 7, v31
	v_lshrrev_b32_e32 v38, 3, v39
	v_mov_b32_e32 v55, v9
	s_mov_b32 s3, exec_lo
	s_delay_alu instid0(VALU_DEP_3)
	v_mov_b32_e32 v54, v8
	v_cmpx_gt_u32_e32 8, v39
; %bb.4054:                             ;   in Loop: Header=BB287_2082 Depth=1
	v_clz_i32_u32_e32 v38, v8
	s_delay_alu instid0(VALU_DEP_1) | instskip(NEXT) | instid1(VALU_DEP_1)
	v_min_u32_e32 v38, 32, v38
	v_subrev_nc_u32_e32 v39, 28, v38
	v_sub_nc_u32_e32 v38, 29, v38
	s_delay_alu instid0(VALU_DEP_2) | instskip(NEXT) | instid1(VALU_DEP_1)
	v_lshlrev_b64 v[54:55], v39, v[8:9]
	v_and_b32_e32 v54, 7, v54
; %bb.4055:                             ;   in Loop: Header=BB287_2082 Depth=1
	s_or_b32 exec_lo, exec_lo, s3
	v_lshlrev_b32_e32 v8, 24, v31
	s_delay_alu instid0(VALU_DEP_2) | instskip(SKIP_1) | instid1(VALU_DEP_3)
	v_lshlrev_b32_e32 v31, 20, v54
	v_lshl_add_u32 v38, v38, 23, 0x3c000000
	v_and_b32_e32 v8, 0x80000000, v8
	s_delay_alu instid0(VALU_DEP_1) | instskip(NEXT) | instid1(VALU_DEP_1)
	v_or3_b32 v8, v31, v8, v38
	v_dual_mov_b32 v131, v9 :: v_dual_mov_b32 v130, v8
.LBB287_4056:                           ;   in Loop: Header=BB287_2082 Depth=1
	s_or_b32 exec_lo, exec_lo, s2
.LBB287_4057:                           ;   in Loop: Header=BB287_2082 Depth=1
	s_delay_alu instid0(SALU_CYCLE_1)
	s_or_b32 exec_lo, exec_lo, s1
.LBB287_4058:                           ;   in Loop: Header=BB287_2082 Depth=1
	s_delay_alu instid0(SALU_CYCLE_1) | instskip(NEXT) | instid1(SALU_CYCLE_1)
	s_or_b32 exec_lo, exec_lo, s0
	s_mov_b32 s0, exec_lo
	v_cmpx_lt_u32_e32 0xffffff, v30
	s_cbranch_execz .LBB287_4066
; %bb.4059:                             ;   in Loop: Header=BB287_2082 Depth=1
	v_lshrrev_b32_e32 v31, 24, v30
	v_dual_mov_b32 v11, s9 :: v_dual_mov_b32 v10, s8
	s_mov_b32 s1, exec_lo
	s_delay_alu instid0(VALU_DEP_2)
	v_cmpx_ne_u32_e32 0x80, v31
	s_cbranch_execz .LBB287_4065
; %bb.4060:                             ;   in Loop: Header=BB287_2082 Depth=1
	s_mov_b32 s12, s8
	v_bfe_u32 v38, v30, 24, 7
	v_dual_mov_b32 v10, s12 :: v_dual_mov_b32 v11, s13
	s_mov_b32 s2, exec_lo
	s_delay_alu instid0(VALU_DEP_2)
	v_cmpx_ne_u32_e32 0x7f, v38
	s_cbranch_execz .LBB287_4064
; %bb.4061:                             ;   in Loop: Header=BB287_2082 Depth=1
	v_and_b32_e32 v8, 7, v31
	v_lshrrev_b32_e32 v30, 3, v38
	v_mov_b32_e32 v11, v9
	s_mov_b32 s3, exec_lo
	s_delay_alu instid0(VALU_DEP_3)
	v_mov_b32_e32 v10, v8
	v_cmpx_gt_u32_e32 8, v38
; %bb.4062:                             ;   in Loop: Header=BB287_2082 Depth=1
	v_clz_i32_u32_e32 v10, v8
	s_delay_alu instid0(VALU_DEP_1) | instskip(NEXT) | instid1(VALU_DEP_1)
	v_min_u32_e32 v30, 32, v10
	v_subrev_nc_u32_e32 v10, 28, v30
	v_sub_nc_u32_e32 v30, 29, v30
	s_delay_alu instid0(VALU_DEP_2) | instskip(NEXT) | instid1(VALU_DEP_1)
	v_lshlrev_b64 v[10:11], v10, v[8:9]
	v_and_b32_e32 v10, 7, v10
; %bb.4063:                             ;   in Loop: Header=BB287_2082 Depth=1
	s_or_b32 exec_lo, exec_lo, s3
	v_lshlrev_b32_e32 v8, 24, v31
	s_delay_alu instid0(VALU_DEP_2) | instskip(SKIP_1) | instid1(VALU_DEP_3)
	v_lshlrev_b32_e32 v10, 20, v10
	v_lshl_add_u32 v11, v30, 23, 0x3c000000
	v_and_b32_e32 v8, 0x80000000, v8
	s_delay_alu instid0(VALU_DEP_1)
	v_or3_b32 v11, v10, v8, v11
	v_mov_b32_e32 v10, v9
.LBB287_4064:                           ;   in Loop: Header=BB287_2082 Depth=1
	s_or_b32 exec_lo, exec_lo, s2
.LBB287_4065:                           ;   in Loop: Header=BB287_2082 Depth=1
	s_delay_alu instid0(SALU_CYCLE_1)
	s_or_b32 exec_lo, exec_lo, s1
.LBB287_4066:                           ;   in Loop: Header=BB287_2082 Depth=1
	s_delay_alu instid0(SALU_CYCLE_1)
	s_or_b32 exec_lo, exec_lo, s0
	scratch_load_b32 v8, off, s32 offset:2868 ; 4-byte Folded Reload
	v_mov_b32_e32 v116, 0
	s_mov_b32 s0, exec_lo
	s_waitcnt vmcnt(0)
	v_add_co_u32 v30, vcc_lo, v162, v8
	v_add_co_ci_u32_e32 v31, vcc_lo, 0, v163, vcc_lo
	flat_load_b32 v30, v[30:31]
	s_waitcnt vmcnt(0) lgkmcnt(0)
	v_dual_mov_b32 v117, 0 :: v_dual_and_b32 v8, 0xff, v30
	s_delay_alu instid0(VALU_DEP_1) | instskip(NEXT) | instid1(VALU_DEP_2)
	v_dual_mov_b32 v135, v117 :: v_dual_mov_b32 v134, v116
	v_cmpx_ne_u16_e32 0, v8
	s_cbranch_execz .LBB287_4074
; %bb.4067:                             ;   in Loop: Header=BB287_2082 Depth=1
	v_bfrev_b32_e32 v134, 1
	v_mov_b32_e32 v135, 0
	s_mov_b32 s1, exec_lo
	v_cmpx_ne_u16_e32 0x80, v8
	s_cbranch_execz .LBB287_4073
; %bb.4068:                             ;   in Loop: Header=BB287_2082 Depth=1
	v_mov_b32_e32 v134, 0x7f800001
	v_dual_mov_b32 v135, 0 :: v_dual_and_b32 v38, 0x7f, v30
	s_mov_b32 s2, exec_lo
	s_delay_alu instid0(VALU_DEP_1)
	v_cmpx_ne_u32_e32 0x7f, v38
	s_cbranch_execz .LBB287_4072
; %bb.4069:                             ;   in Loop: Header=BB287_2082 Depth=1
	v_and_b32_e32 v8, 7, v30
	v_lshrrev_b32_e32 v31, 3, v38
	v_mov_b32_e32 v55, v9
	s_mov_b32 s3, exec_lo
	s_delay_alu instid0(VALU_DEP_3)
	v_mov_b32_e32 v54, v8
	v_cmpx_gt_u32_e32 8, v38
; %bb.4070:                             ;   in Loop: Header=BB287_2082 Depth=1
	v_clz_i32_u32_e32 v31, v8
	s_delay_alu instid0(VALU_DEP_1) | instskip(NEXT) | instid1(VALU_DEP_1)
	v_min_u32_e32 v31, 32, v31
	v_subrev_nc_u32_e32 v38, 28, v31
	v_sub_nc_u32_e32 v31, 29, v31
	s_delay_alu instid0(VALU_DEP_2) | instskip(NEXT) | instid1(VALU_DEP_1)
	v_lshlrev_b64 v[38:39], v38, v[8:9]
	v_and_b32_e32 v54, 7, v38
; %bb.4071:                             ;   in Loop: Header=BB287_2082 Depth=1
	s_or_b32 exec_lo, exec_lo, s3
	v_lshlrev_b32_e32 v8, 24, v30
	s_delay_alu instid0(VALU_DEP_2) | instskip(SKIP_1) | instid1(VALU_DEP_3)
	v_lshlrev_b32_e32 v38, 20, v54
	v_lshl_add_u32 v31, v31, 23, 0x3c000000
	v_and_b32_e32 v8, 0x80000000, v8
	s_delay_alu instid0(VALU_DEP_1) | instskip(NEXT) | instid1(VALU_DEP_1)
	v_or3_b32 v8, v38, v8, v31
	v_dual_mov_b32 v135, v9 :: v_dual_mov_b32 v134, v8
.LBB287_4072:                           ;   in Loop: Header=BB287_2082 Depth=1
	s_or_b32 exec_lo, exec_lo, s2
.LBB287_4073:                           ;   in Loop: Header=BB287_2082 Depth=1
	s_delay_alu instid0(SALU_CYCLE_1)
	s_or_b32 exec_lo, exec_lo, s1
.LBB287_4074:                           ;   in Loop: Header=BB287_2082 Depth=1
	s_delay_alu instid0(SALU_CYCLE_1) | instskip(SKIP_2) | instid1(VALU_DEP_1)
	s_or_b32 exec_lo, exec_lo, s0
	v_lshrrev_b16 v8, 8, v30
	s_mov_b32 s0, exec_lo
	v_cmpx_ne_u16_e32 0, v8
	s_cbranch_execz .LBB287_4082
; %bb.4075:                             ;   in Loop: Header=BB287_2082 Depth=1
	v_dual_mov_b32 v117, s9 :: v_dual_mov_b32 v116, s8
	s_mov_b32 s1, exec_lo
	v_cmpx_ne_u16_e32 0x80, v8
	s_cbranch_execz .LBB287_4081
; %bb.4076:                             ;   in Loop: Header=BB287_2082 Depth=1
	s_mov_b32 s12, s8
	v_dual_mov_b32 v117, s13 :: v_dual_and_b32 v8, 0xffff, v8
	v_mov_b32_e32 v116, s12
	s_mov_b32 s2, exec_lo
	s_delay_alu instid0(VALU_DEP_2) | instskip(NEXT) | instid1(VALU_DEP_1)
	v_and_b32_e32 v38, 0x7f, v8
	v_cmpx_ne_u32_e32 0x7f, v38
	s_cbranch_execz .LBB287_4080
; %bb.4077:                             ;   in Loop: Header=BB287_2082 Depth=1
	v_and_b32_e32 v8, 7, v8
	v_lshrrev_b32_e32 v31, 3, v38
	v_mov_b32_e32 v55, v9
	s_mov_b32 s3, exec_lo
	s_delay_alu instid0(VALU_DEP_3)
	v_mov_b32_e32 v54, v8
	v_cmpx_gt_u32_e32 8, v38
; %bb.4078:                             ;   in Loop: Header=BB287_2082 Depth=1
	v_clz_i32_u32_e32 v31, v8
	s_delay_alu instid0(VALU_DEP_1) | instskip(NEXT) | instid1(VALU_DEP_1)
	v_min_u32_e32 v31, 32, v31
	v_subrev_nc_u32_e32 v38, 28, v31
	v_sub_nc_u32_e32 v31, 29, v31
	s_delay_alu instid0(VALU_DEP_2) | instskip(NEXT) | instid1(VALU_DEP_1)
	v_lshlrev_b64 v[38:39], v38, v[8:9]
	v_and_b32_e32 v54, 7, v38
; %bb.4079:                             ;   in Loop: Header=BB287_2082 Depth=1
	s_or_b32 exec_lo, exec_lo, s3
	v_lshlrev_b32_e32 v8, 16, v30
	s_delay_alu instid0(VALU_DEP_2) | instskip(SKIP_2) | instid1(VALU_DEP_4)
	v_lshlrev_b32_e32 v38, 20, v54
	v_lshl_add_u32 v31, v31, 23, 0x3c000000
	v_mov_b32_e32 v116, v9
	v_and_b32_e32 v8, 0x80000000, v8
	s_delay_alu instid0(VALU_DEP_1)
	v_or3_b32 v117, v38, v8, v31
.LBB287_4080:                           ;   in Loop: Header=BB287_2082 Depth=1
	s_or_b32 exec_lo, exec_lo, s2
.LBB287_4081:                           ;   in Loop: Header=BB287_2082 Depth=1
	s_delay_alu instid0(SALU_CYCLE_1)
	s_or_b32 exec_lo, exec_lo, s1
.LBB287_4082:                           ;   in Loop: Header=BB287_2082 Depth=1
	s_delay_alu instid0(SALU_CYCLE_1) | instskip(SKIP_4) | instid1(VALU_DEP_1)
	s_or_b32 exec_lo, exec_lo, s0
	v_mov_b32_e32 v76, 0
	v_lshrrev_b32_e32 v31, 16, v30
	v_mov_b32_e32 v77, 0
	s_mov_b32 s0, exec_lo
	v_dual_mov_b32 v127, v77 :: v_dual_and_b32 v8, 0xff, v31
	v_mov_b32_e32 v126, v76
	s_delay_alu instid0(VALU_DEP_2)
	v_cmpx_ne_u16_e32 0, v8
	s_cbranch_execz .LBB287_4090
; %bb.4083:                             ;   in Loop: Header=BB287_2082 Depth=1
	v_bfrev_b32_e32 v126, 1
	v_mov_b32_e32 v127, 0
	s_mov_b32 s1, exec_lo
	v_cmpx_ne_u16_e32 0x80, v8
	s_cbranch_execz .LBB287_4089
; %bb.4084:                             ;   in Loop: Header=BB287_2082 Depth=1
	v_mov_b32_e32 v126, 0x7f800001
	v_bfe_u32 v39, v30, 16, 7
	v_mov_b32_e32 v127, 0
	s_mov_b32 s2, exec_lo
	s_delay_alu instid0(VALU_DEP_2)
	v_cmpx_ne_u32_e32 0x7f, v39
	s_cbranch_execz .LBB287_4088
; %bb.4085:                             ;   in Loop: Header=BB287_2082 Depth=1
	v_and_b32_e32 v8, 7, v31
	v_lshrrev_b32_e32 v38, 3, v39
	v_mov_b32_e32 v55, v9
	s_mov_b32 s3, exec_lo
	s_delay_alu instid0(VALU_DEP_3)
	v_mov_b32_e32 v54, v8
	v_cmpx_gt_u32_e32 8, v39
; %bb.4086:                             ;   in Loop: Header=BB287_2082 Depth=1
	v_clz_i32_u32_e32 v38, v8
	s_delay_alu instid0(VALU_DEP_1) | instskip(NEXT) | instid1(VALU_DEP_1)
	v_min_u32_e32 v38, 32, v38
	v_subrev_nc_u32_e32 v39, 28, v38
	v_sub_nc_u32_e32 v38, 29, v38
	s_delay_alu instid0(VALU_DEP_2) | instskip(NEXT) | instid1(VALU_DEP_1)
	v_lshlrev_b64 v[54:55], v39, v[8:9]
	v_and_b32_e32 v54, 7, v54
; %bb.4087:                             ;   in Loop: Header=BB287_2082 Depth=1
	s_or_b32 exec_lo, exec_lo, s3
	v_lshlrev_b32_e32 v8, 24, v31
	s_delay_alu instid0(VALU_DEP_2) | instskip(SKIP_1) | instid1(VALU_DEP_3)
	v_lshlrev_b32_e32 v31, 20, v54
	v_lshl_add_u32 v38, v38, 23, 0x3c000000
	v_and_b32_e32 v8, 0x80000000, v8
	s_delay_alu instid0(VALU_DEP_1) | instskip(NEXT) | instid1(VALU_DEP_1)
	v_or3_b32 v8, v31, v8, v38
	v_dual_mov_b32 v127, v9 :: v_dual_mov_b32 v126, v8
.LBB287_4088:                           ;   in Loop: Header=BB287_2082 Depth=1
	s_or_b32 exec_lo, exec_lo, s2
.LBB287_4089:                           ;   in Loop: Header=BB287_2082 Depth=1
	s_delay_alu instid0(SALU_CYCLE_1)
	s_or_b32 exec_lo, exec_lo, s1
.LBB287_4090:                           ;   in Loop: Header=BB287_2082 Depth=1
	s_delay_alu instid0(SALU_CYCLE_1) | instskip(NEXT) | instid1(SALU_CYCLE_1)
	s_or_b32 exec_lo, exec_lo, s0
	s_mov_b32 s0, exec_lo
	v_cmpx_lt_u32_e32 0xffffff, v30
	s_cbranch_execz .LBB287_4098
; %bb.4091:                             ;   in Loop: Header=BB287_2082 Depth=1
	v_lshrrev_b32_e32 v31, 24, v30
	v_dual_mov_b32 v77, s9 :: v_dual_mov_b32 v76, s8
	s_mov_b32 s1, exec_lo
	s_delay_alu instid0(VALU_DEP_2)
	v_cmpx_ne_u32_e32 0x80, v31
	s_cbranch_execz .LBB287_4097
; %bb.4092:                             ;   in Loop: Header=BB287_2082 Depth=1
	s_mov_b32 s12, s8
	v_bfe_u32 v38, v30, 24, 7
	v_dual_mov_b32 v77, s13 :: v_dual_mov_b32 v76, s12
	s_mov_b32 s2, exec_lo
	s_delay_alu instid0(VALU_DEP_2)
	v_cmpx_ne_u32_e32 0x7f, v38
	s_cbranch_execz .LBB287_4096
; %bb.4093:                             ;   in Loop: Header=BB287_2082 Depth=1
	v_and_b32_e32 v8, 7, v31
	v_lshrrev_b32_e32 v30, 3, v38
	v_mov_b32_e32 v55, v9
	s_mov_b32 s3, exec_lo
	s_delay_alu instid0(VALU_DEP_3)
	v_mov_b32_e32 v54, v8
	v_cmpx_gt_u32_e32 8, v38
; %bb.4094:                             ;   in Loop: Header=BB287_2082 Depth=1
	v_clz_i32_u32_e32 v30, v8
	s_delay_alu instid0(VALU_DEP_1) | instskip(NEXT) | instid1(VALU_DEP_1)
	v_min_u32_e32 v30, 32, v30
	v_subrev_nc_u32_e32 v38, 28, v30
	v_sub_nc_u32_e32 v30, 29, v30
	s_delay_alu instid0(VALU_DEP_2) | instskip(NEXT) | instid1(VALU_DEP_1)
	v_lshlrev_b64 v[38:39], v38, v[8:9]
	v_and_b32_e32 v54, 7, v38
; %bb.4095:                             ;   in Loop: Header=BB287_2082 Depth=1
	s_or_b32 exec_lo, exec_lo, s3
	v_lshlrev_b32_e32 v8, 24, v31
	s_delay_alu instid0(VALU_DEP_2) | instskip(SKIP_1) | instid1(VALU_DEP_3)
	v_dual_mov_b32 v76, v9 :: v_dual_lshlrev_b32 v31, 20, v54
	v_lshl_add_u32 v30, v30, 23, 0x3c000000
	v_and_b32_e32 v8, 0x80000000, v8
	s_delay_alu instid0(VALU_DEP_1)
	v_or3_b32 v77, v31, v8, v30
.LBB287_4096:                           ;   in Loop: Header=BB287_2082 Depth=1
	s_or_b32 exec_lo, exec_lo, s2
.LBB287_4097:                           ;   in Loop: Header=BB287_2082 Depth=1
	s_delay_alu instid0(SALU_CYCLE_1)
	s_or_b32 exec_lo, exec_lo, s1
.LBB287_4098:                           ;   in Loop: Header=BB287_2082 Depth=1
	s_delay_alu instid0(SALU_CYCLE_1)
	s_or_b32 exec_lo, exec_lo, s0
	scratch_load_b32 v8, off, s32 offset:2372 ; 4-byte Folded Reload
	v_mov_b32_e32 v86, 0
	s_mov_b32 s0, exec_lo
	s_waitcnt vmcnt(0)
	v_add_co_u32 v30, vcc_lo, v162, v8
	v_add_co_ci_u32_e32 v31, vcc_lo, 0, v163, vcc_lo
	flat_load_b32 v38, v[30:31]
	s_waitcnt vmcnt(0) lgkmcnt(0)
	v_dual_mov_b32 v87, 0 :: v_dual_and_b32 v8, 0xff, v38
	scratch_store_b64 off, v[86:87], s32 offset:1592 ; 8-byte Folded Spill
	v_cmpx_ne_u16_e32 0, v8
	s_cbranch_execz .LBB287_4106
; %bb.4099:                             ;   in Loop: Header=BB287_2082 Depth=1
	v_bfrev_b32_e32 v30, 1
	v_mov_b32_e32 v31, 0
	s_mov_b32 s1, exec_lo
	scratch_store_b64 off, v[30:31], s32 offset:1592 ; 8-byte Folded Spill
	v_cmpx_ne_u16_e32 0x80, v8
	s_cbranch_execz .LBB287_4105
; %bb.4100:                             ;   in Loop: Header=BB287_2082 Depth=1
	v_mov_b32_e32 v30, 0x7f800001
	v_dual_mov_b32 v31, 0 :: v_dual_and_b32 v54, 0x7f, v38
	s_mov_b32 s2, exec_lo
	scratch_store_b64 off, v[30:31], s32 offset:1592 ; 8-byte Folded Spill
	v_cmpx_ne_u32_e32 0x7f, v54
	s_cbranch_execz .LBB287_4104
; %bb.4101:                             ;   in Loop: Header=BB287_2082 Depth=1
	v_and_b32_e32 v8, 7, v38
	v_lshrrev_b32_e32 v39, 3, v54
	v_cmp_gt_u32_e32 vcc_lo, 8, v54
	s_delay_alu instid0(VALU_DEP_3)
	v_dual_mov_b32 v55, v9 :: v_dual_mov_b32 v54, v8
	s_and_saveexec_b32 s3, vcc_lo
; %bb.4102:                             ;   in Loop: Header=BB287_2082 Depth=1
	v_clz_i32_u32_e32 v39, v8
	s_delay_alu instid0(VALU_DEP_1) | instskip(NEXT) | instid1(VALU_DEP_1)
	v_min_u32_e32 v39, 32, v39
	v_subrev_nc_u32_e32 v54, 28, v39
	v_sub_nc_u32_e32 v39, 29, v39
	s_delay_alu instid0(VALU_DEP_2) | instskip(NEXT) | instid1(VALU_DEP_1)
	v_lshlrev_b64 v[54:55], v54, v[8:9]
	v_and_b32_e32 v54, 7, v54
; %bb.4103:                             ;   in Loop: Header=BB287_2082 Depth=1
	s_or_b32 exec_lo, exec_lo, s3
	v_lshlrev_b32_e32 v8, 24, v38
	s_delay_alu instid0(VALU_DEP_2) | instskip(SKIP_1) | instid1(VALU_DEP_3)
	v_lshlrev_b32_e32 v54, 20, v54
	v_lshl_add_u32 v39, v39, 23, 0x3c000000
	v_and_b32_e32 v8, 0x80000000, v8
	s_delay_alu instid0(VALU_DEP_1)
	v_or3_b32 v8, v54, v8, v39
	scratch_store_b64 off, v[8:9], s32 offset:1592 ; 8-byte Folded Spill
.LBB287_4104:                           ;   in Loop: Header=BB287_2082 Depth=1
	s_or_b32 exec_lo, exec_lo, s2
.LBB287_4105:                           ;   in Loop: Header=BB287_2082 Depth=1
	s_delay_alu instid0(SALU_CYCLE_1)
	s_or_b32 exec_lo, exec_lo, s1
.LBB287_4106:                           ;   in Loop: Header=BB287_2082 Depth=1
	s_delay_alu instid0(SALU_CYCLE_1) | instskip(SKIP_2) | instid1(VALU_DEP_1)
	s_or_b32 exec_lo, exec_lo, s0
	v_lshrrev_b16 v8, 8, v38
	s_mov_b32 s0, exec_lo
	v_cmpx_ne_u16_e32 0, v8
	s_cbranch_execz .LBB287_4114
; %bb.4107:                             ;   in Loop: Header=BB287_2082 Depth=1
	v_dual_mov_b32 v87, s9 :: v_dual_mov_b32 v86, s8
	s_mov_b32 s1, exec_lo
	v_cmpx_ne_u16_e32 0x80, v8
	s_cbranch_execz .LBB287_4113
; %bb.4108:                             ;   in Loop: Header=BB287_2082 Depth=1
	s_mov_b32 s12, s8
	v_dual_mov_b32 v87, s13 :: v_dual_and_b32 v8, 0xffff, v8
	s_mov_b32 s2, exec_lo
	s_delay_alu instid0(VALU_DEP_1) | instskip(NEXT) | instid1(VALU_DEP_1)
	v_dual_mov_b32 v86, s12 :: v_dual_and_b32 v39, 0x7f, v8
	v_cmpx_ne_u32_e32 0x7f, v39
	s_cbranch_execz .LBB287_4112
; %bb.4109:                             ;   in Loop: Header=BB287_2082 Depth=1
	v_and_b32_e32 v8, 7, v8
	v_lshrrev_b32_e32 v30, 3, v39
	v_mov_b32_e32 v55, v9
	s_mov_b32 s3, exec_lo
	s_delay_alu instid0(VALU_DEP_3)
	v_mov_b32_e32 v54, v8
	v_cmpx_gt_u32_e32 8, v39
; %bb.4110:                             ;   in Loop: Header=BB287_2082 Depth=1
	v_clz_i32_u32_e32 v30, v8
	s_delay_alu instid0(VALU_DEP_1) | instskip(NEXT) | instid1(VALU_DEP_1)
	v_min_u32_e32 v30, 32, v30
	v_subrev_nc_u32_e32 v31, 28, v30
	v_sub_nc_u32_e32 v30, 29, v30
	s_delay_alu instid0(VALU_DEP_2) | instskip(NEXT) | instid1(VALU_DEP_1)
	v_lshlrev_b64 v[54:55], v31, v[8:9]
	v_and_b32_e32 v54, 7, v54
; %bb.4111:                             ;   in Loop: Header=BB287_2082 Depth=1
	s_or_b32 exec_lo, exec_lo, s3
	v_lshlrev_b32_e32 v8, 16, v38
	s_delay_alu instid0(VALU_DEP_2) | instskip(SKIP_1) | instid1(VALU_DEP_3)
	v_dual_mov_b32 v86, v9 :: v_dual_lshlrev_b32 v31, 20, v54
	v_lshl_add_u32 v30, v30, 23, 0x3c000000
	v_and_b32_e32 v8, 0x80000000, v8
	s_delay_alu instid0(VALU_DEP_1)
	v_or3_b32 v87, v31, v8, v30
.LBB287_4112:                           ;   in Loop: Header=BB287_2082 Depth=1
	s_or_b32 exec_lo, exec_lo, s2
.LBB287_4113:                           ;   in Loop: Header=BB287_2082 Depth=1
	s_delay_alu instid0(SALU_CYCLE_1)
	s_or_b32 exec_lo, exec_lo, s1
.LBB287_4114:                           ;   in Loop: Header=BB287_2082 Depth=1
	s_delay_alu instid0(SALU_CYCLE_1) | instskip(SKIP_4) | instid1(VALU_DEP_1)
	s_or_b32 exec_lo, exec_lo, s0
	v_mov_b32_e32 v54, 0
	v_lshrrev_b32_e32 v39, 16, v38
	v_mov_b32_e32 v55, 0
	s_mov_b32 s0, exec_lo
	v_dual_mov_b32 v163, v55 :: v_dual_and_b32 v8, 0xff, v39
	v_mov_b32_e32 v162, v54
	s_delay_alu instid0(VALU_DEP_2)
	v_cmpx_ne_u16_e32 0, v8
	s_cbranch_execz .LBB287_4122
; %bb.4115:                             ;   in Loop: Header=BB287_2082 Depth=1
	v_bfrev_b32_e32 v162, 1
	v_mov_b32_e32 v163, 0
	s_mov_b32 s1, exec_lo
	v_cmpx_ne_u16_e32 0x80, v8
	s_cbranch_execz .LBB287_4121
; %bb.4116:                             ;   in Loop: Header=BB287_2082 Depth=1
	v_mov_b32_e32 v162, 0x7f800001
	v_dual_mov_b32 v30, v70 :: v_dual_mov_b32 v31, v71
	v_bfe_u32 v70, v38, 16, 7
	v_mov_b32_e32 v163, 0
	s_mov_b32 s2, exec_lo
	s_delay_alu instid0(VALU_DEP_2)
	v_cmpx_ne_u32_e32 0x7f, v70
	s_cbranch_execz .LBB287_4120
; %bb.4117:                             ;   in Loop: Header=BB287_2082 Depth=1
	v_and_b32_e32 v8, 7, v39
	v_lshrrev_b32_e32 v162, 3, v70
	v_cmp_gt_u32_e32 vcc_lo, 8, v70
	s_delay_alu instid0(VALU_DEP_3)
	v_dual_mov_b32 v71, v9 :: v_dual_mov_b32 v70, v8
	s_and_saveexec_b32 s3, vcc_lo
; %bb.4118:                             ;   in Loop: Header=BB287_2082 Depth=1
	v_clz_i32_u32_e32 v70, v8
	s_delay_alu instid0(VALU_DEP_1) | instskip(NEXT) | instid1(VALU_DEP_1)
	v_min_u32_e32 v162, 32, v70
	v_subrev_nc_u32_e32 v70, 28, v162
	v_sub_nc_u32_e32 v162, 29, v162
	s_delay_alu instid0(VALU_DEP_2) | instskip(NEXT) | instid1(VALU_DEP_1)
	v_lshlrev_b64 v[70:71], v70, v[8:9]
	v_and_b32_e32 v70, 7, v70
; %bb.4119:                             ;   in Loop: Header=BB287_2082 Depth=1
	s_or_b32 exec_lo, exec_lo, s3
	v_lshlrev_b32_e32 v8, 24, v39
	s_delay_alu instid0(VALU_DEP_2) | instskip(SKIP_1) | instid1(VALU_DEP_3)
	v_lshlrev_b32_e32 v39, 20, v70
	v_lshl_add_u32 v70, v162, 23, 0x3c000000
	v_and_b32_e32 v8, 0x80000000, v8
	s_delay_alu instid0(VALU_DEP_1) | instskip(NEXT) | instid1(VALU_DEP_1)
	v_or3_b32 v8, v39, v8, v70
	v_dual_mov_b32 v163, v9 :: v_dual_mov_b32 v162, v8
.LBB287_4120:                           ;   in Loop: Header=BB287_2082 Depth=1
	s_or_b32 exec_lo, exec_lo, s2
	v_dual_mov_b32 v71, v31 :: v_dual_mov_b32 v70, v30
.LBB287_4121:                           ;   in Loop: Header=BB287_2082 Depth=1
	s_or_b32 exec_lo, exec_lo, s1
.LBB287_4122:                           ;   in Loop: Header=BB287_2082 Depth=1
	s_delay_alu instid0(SALU_CYCLE_1) | instskip(NEXT) | instid1(SALU_CYCLE_1)
	s_or_b32 exec_lo, exec_lo, s0
	s_mov_b32 s0, exec_lo
	s_clause 0x2
	scratch_store_b64 off, v[162:163], s32 offset:1956
	scratch_store_b64 off, v[70:71], s32 offset:1948
	scratch_store_b32 off, v84, s32 offset:1896
	v_cmpx_lt_u32_e32 0xffffff, v38
	s_cbranch_execz .LBB287_2081
; %bb.4123:                             ;   in Loop: Header=BB287_2082 Depth=1
	v_lshrrev_b32_e32 v39, 24, v38
	v_dual_mov_b32 v55, s9 :: v_dual_mov_b32 v54, s8
	s_mov_b32 s1, exec_lo
	s_delay_alu instid0(VALU_DEP_2)
	v_cmpx_ne_u32_e32 0x80, v39
	s_cbranch_execz .LBB287_2080
; %bb.4124:                             ;   in Loop: Header=BB287_2082 Depth=1
	s_mov_b32 s12, s8
	v_bfe_u32 v70, v38, 24, 7
	v_dual_mov_b32 v55, s13 :: v_dual_mov_b32 v54, s12
	s_mov_b32 s2, exec_lo
	s_delay_alu instid0(VALU_DEP_2)
	v_cmpx_ne_u32_e32 0x7f, v70
	s_cbranch_execz .LBB287_2079
; %bb.4125:                             ;   in Loop: Header=BB287_2082 Depth=1
	v_and_b32_e32 v8, 7, v39
	v_lshrrev_b32_e32 v38, 3, v70
	v_mov_b32_e32 v55, v9
	s_mov_b32 s3, exec_lo
	s_delay_alu instid0(VALU_DEP_3)
	v_mov_b32_e32 v54, v8
	v_cmpx_gt_u32_e32 8, v70
	s_cbranch_execz .LBB287_2078
; %bb.4126:                             ;   in Loop: Header=BB287_2082 Depth=1
	v_clz_i32_u32_e32 v38, v8
	s_delay_alu instid0(VALU_DEP_1) | instskip(NEXT) | instid1(VALU_DEP_1)
	v_min_u32_e32 v38, 32, v38
	v_subrev_nc_u32_e32 v54, 28, v38
	v_sub_nc_u32_e32 v38, 29, v38
	s_delay_alu instid0(VALU_DEP_2) | instskip(NEXT) | instid1(VALU_DEP_1)
	v_lshlrev_b64 v[54:55], v54, v[8:9]
	v_and_b32_e32 v54, 7, v54
	s_branch .LBB287_2078
.LBB287_4127:
	s_or_b32 exec_lo, exec_lo, s17
	s_clause 0x14
	scratch_load_b32 v148, off, s32 offset:2884
	scratch_load_b32 v131, off, s32 offset:2900
	;; [unrolled: 1-line block ×21, first 2 shown]
	v_dual_mov_b32 v0, s10 :: v_dual_mov_b32 v1, s11
.LBB287_4128:
	s_or_b32 exec_lo, exec_lo, s15
	s_waitcnt vmcnt(18)
	ds_bpermute_b32 v2, v115, v16
	ds_bpermute_b32 v3, v115, v19
	;; [unrolled: 1-line block ×20, first 2 shown]
	s_waitcnt lgkmcnt(18)
	v_dual_add_f32 v2, v16, v2 :: v_dual_add_f32 v3, v19, v3
	s_waitcnt lgkmcnt(16)
	v_dual_add_f32 v4, v18, v4 :: v_dual_add_f32 v5, v17, v5
	;; [unrolled: 2-line block ×3, first 2 shown]
	ds_bpermute_b32 v16, v131, v2
	ds_bpermute_b32 v17, v131, v3
	;; [unrolled: 1-line block ×5, first 2 shown]
	s_waitcnt lgkmcnt(17)
	v_dual_add_f32 v10, v25, v10 :: v_dual_add_f32 v11, v84, v11
	ds_bpermute_b32 v25, v131, v7
	s_waitcnt lgkmcnt(16)
	v_dual_add_f32 v8, v27, v8 :: v_dual_add_f32 v9, v26, v9
	ds_bpermute_b32 v28, v131, v10
	ds_bpermute_b32 v29, v131, v11
	s_waitcnt lgkmcnt(15)
	v_dual_add_f32 v12, v34, v12 :: v_dual_add_f32 v13, v33, v13
	ds_bpermute_b32 v26, v131, v8
	s_waitcnt lgkmcnt(15)
	v_dual_add_f32 v14, v32, v14 :: v_dual_add_f32 v15, v31, v15
	ds_bpermute_b32 v23, v115, v51
	ds_bpermute_b32 v27, v131, v9
	ds_bpermute_b32 v31, v131, v12
	s_waitcnt lgkmcnt(10)
	v_dual_add_f32 v2, v2, v16 :: v_dual_add_f32 v3, v3, v17
	s_waitcnt lgkmcnt(9)
	v_add_f32_e32 v16, v5, v19
	s_waitcnt lgkmcnt(7)
	v_dual_add_f32 v4, v4, v18 :: v_dual_add_f32 v17, v6, v20
	ds_bpermute_b32 v5, v148, v2
	ds_bpermute_b32 v18, v148, v3
	s_waitcnt lgkmcnt(8)
	v_add_f32_e32 v7, v7, v25
	ds_bpermute_b32 v20, v148, v16
	ds_bpermute_b32 v30, v148, v17
	;; [unrolled: 1-line block ×6, first 2 shown]
	s_waitcnt lgkmcnt(12)
	v_dual_add_f32 v10, v10, v28 :: v_dual_add_f32 v25, v11, v29
	ds_bpermute_b32 v11, v148, v7
	s_waitcnt lgkmcnt(10)
	v_dual_add_f32 v8, v8, v26 :: v_dual_add_f32 v9, v9, v27
	s_waitcnt lgkmcnt(9)
	v_add_f32_e32 v26, v12, v31
	ds_bpermute_b32 v12, v115, v35
	v_add_f32_e32 v23, v51, v23
	v_dual_add_f32 v21, v70, v21 :: v_dual_add_f32 v22, v52, v22
	v_add_f32_e32 v24, v48, v24
	s_waitcnt lgkmcnt(8)
	v_dual_add_f32 v6, v2, v5 :: v_dual_add_f32 v5, v3, v18
	ds_bpermute_b32 v18, v148, v9
	s_waitcnt lgkmcnt(7)
	v_dual_add_f32 v3, v16, v20 :: v_dual_add_f32 v2, v17, v30
	s_waitcnt vmcnt(0)
	ds_bpermute_b32 v16, v115, v36
	ds_bpermute_b32 v17, v148, v8
	s_waitcnt lgkmcnt(8)
	v_add_f32_e32 v14, v14, v33
	s_waitcnt lgkmcnt(6)
	v_dual_add_f32 v4, v4, v19 :: v_dual_add_f32 v13, v13, v32
	ds_bpermute_b32 v19, v148, v10
	s_waitcnt lgkmcnt(6)
	v_add_f32_e32 v15, v15, v34
	ds_bpermute_b32 v33, v131, v23
	ds_bpermute_b32 v20, v148, v25
	;; [unrolled: 1-line block ×7, first 2 shown]
	s_waitcnt lgkmcnt(12)
	v_add_f32_e32 v7, v7, v11
	ds_bpermute_b32 v34, v131, v24
	v_mov_b32_e32 v11, v35
	ds_bpermute_b32 v29, v148, v14
	ds_bpermute_b32 v51, v115, v64
	;; [unrolled: 1-line block ×3, first 2 shown]
	s_waitcnt lgkmcnt(13)
	v_add_f32_e32 v16, v36, v16
	s_waitcnt lgkmcnt(12)
	v_dual_add_f32 v8, v8, v17 :: v_dual_add_f32 v17, v11, v12
	v_add_f32_e32 v12, v9, v18
	ds_bpermute_b32 v36, v115, v163
	s_waitcnt lgkmcnt(12)
	v_add_f32_e32 v11, v10, v19
	ds_bpermute_b32 v35, v131, v16
	ds_bpermute_b32 v18, v131, v17
	;; [unrolled: 1-line block ×3, first 2 shown]
	s_waitcnt lgkmcnt(13)
	v_dual_add_f32 v23, v23, v33 :: v_dual_add_f32 v10, v25, v20
	s_waitcnt lgkmcnt(12)
	v_add_f32_e32 v9, v26, v27
	s_waitcnt lgkmcnt(11)
	v_add_f32_e32 v13, v13, v28
	ds_bpermute_b32 v20, v115, v39
	s_waitcnt lgkmcnt(9)
	v_dual_add_f32 v21, v21, v31 :: v_dual_add_f32 v22, v22, v32
	ds_bpermute_b32 v25, v115, v49
	v_add_f32_e32 v15, v15, v30
	ds_bpermute_b32 v26, v115, v50
	s_waitcnt lgkmcnt(10)
	v_add_f32_e32 v24, v24, v34
	ds_bpermute_b32 v31, v148, v23
	s_waitcnt lgkmcnt(10)
	v_add_f32_e32 v14, v14, v29
	ds_bpermute_b32 v27, v148, v21
	ds_bpermute_b32 v29, v148, v22
	;; [unrolled: 1-line block ×4, first 2 shown]
	s_waitcnt lgkmcnt(10)
	v_add_f32_e32 v28, v16, v35
	ds_bpermute_b32 v34, v115, v54
	s_waitcnt lgkmcnt(10)
	v_add_f32_e32 v35, v17, v18
	s_waitcnt lgkmcnt(9)
	v_add_f32_e32 v37, v37, v19
	s_waitcnt lgkmcnt(0)
	s_waitcnt_vscnt null, 0x0
	ds_bpermute_b32 v33, v148, v28
	s_waitcnt lgkmcnt(0)
	s_barrier
	v_add_f32_e32 v39, v39, v20
	buffer_gl0_inv
	v_lshlrev_b64 v[0:1], 2, v[0:1]
	v_add_f32_e32 v25, v49, v25
	s_getpc_b64 s[0:1]
	s_add_u32 s0, s0, llvm.amdgcn.dynlds.offset.table@rel32@lo+4
	s_addc_u32 s1, s1, llvm.amdgcn.dynlds.offset.table@rel32@hi+12
	v_add_f32_e32 v26, v50, v26
	ds_bpermute_b32 v49, v131, v37
	v_add_f32_e32 v20, v23, v31
	ds_bpermute_b32 v48, v148, v35
	;; [unrolled: 2-line block ×3, first 2 shown]
	ds_bpermute_b32 v27, v131, v26
	v_dual_add_f32 v17, v22, v29 :: v_dual_add_f32 v22, v55, v30
	ds_bpermute_b32 v52, v131, v25
	v_dual_add_f32 v19, v24, v32 :: v_dual_add_f32 v30, v161, v38
	v_dual_add_f32 v23, v54, v34 :: v_dual_add_f32 v18, v28, v33
	v_add_f32_e32 v28, v163, v36
	ds_bpermute_b32 v24, v131, v22
	ds_bpermute_b32 v34, v131, v30
	;; [unrolled: 1-line block ×3, first 2 shown]
	v_add_f32_e32 v36, v64, v51
	ds_bpermute_b32 v32, v131, v28
	ds_bpermute_b32 v31, v131, v23
	s_waitcnt lgkmcnt(9)
	v_add_f32_e32 v33, v37, v49
	ds_bpermute_b32 v37, v115, v65
	s_waitcnt lgkmcnt(9)
	v_add_f32_e32 v21, v35, v48
	ds_bpermute_b32 v38, v131, v36
	s_waitcnt lgkmcnt(8)
	v_dual_add_f32 v35, v39, v50 :: v_dual_add_f32 v26, v26, v27
	ds_bpermute_b32 v27, v115, v66
	ds_bpermute_b32 v39, v148, v33
	s_waitcnt lgkmcnt(9)
	v_add_f32_e32 v25, v25, v52
	ds_bpermute_b32 v49, v115, v160
	ds_bpermute_b32 v52, v115, v151
	ds_bpermute_b32 v54, v115, v150
	ds_bpermute_b32 v51, v148, v26
	v_add_co_u32 v0, vcc_lo, v0, s0
	s_waitcnt lgkmcnt(11)
	v_add_f32_e32 v30, v30, v34
	ds_bpermute_b32 v50, v148, v25
	s_waitcnt lgkmcnt(10)
	v_dual_add_f32 v29, v53, v29 :: v_dual_add_f32 v28, v28, v32
	ds_bpermute_b32 v48, v148, v35
	v_add_f32_e32 v53, v22, v24
	s_waitcnt lgkmcnt(9)
	v_add_f32_e32 v37, v65, v37
	s_waitcnt lgkmcnt(8)
	v_dual_add_f32 v31, v23, v31 :: v_dual_add_f32 v36, v36, v38
	ds_bpermute_b32 v64, v148, v28
	ds_bpermute_b32 v34, v148, v53
	s_waitcnt lgkmcnt(9)
	v_add_f32_e32 v66, v66, v27
	s_waitcnt lgkmcnt(8)
	v_add_f32_e32 v22, v33, v39
	ds_bpermute_b32 v32, v131, v29
	s_waitcnt lgkmcnt(8)
	v_add_f32_e32 v38, v160, v49
	s_waitcnt lgkmcnt(7)
	v_add_f32_e32 v52, v151, v52
	ds_bpermute_b32 v33, v131, v37
	ds_bpermute_b32 v65, v148, v30
	;; [unrolled: 1-line block ×5, first 2 shown]
	s_waitcnt lgkmcnt(9)
	v_add_f32_e32 v24, v25, v50
	ds_bpermute_b32 v50, v131, v52
	s_waitcnt lgkmcnt(9)
	v_dual_add_f32 v26, v26, v51 :: v_dual_add_f32 v23, v35, v48
	ds_bpermute_b32 v35, v131, v38
	v_add_f32_e32 v48, v150, v54
	ds_bpermute_b32 v51, v115, v67
	ds_bpermute_b32 v54, v115, v71
	s_waitcnt lgkmcnt(10)
	v_dual_add_f32 v28, v28, v64 :: v_dual_add_f32 v25, v53, v34
	ds_bpermute_b32 v53, v115, v68
	v_add_co_ci_u32_e32 v1, vcc_lo, s1, v1, vcc_lo
	s_waitcnt lgkmcnt(10)
	v_add_f32_e32 v32, v29, v32
	v_cmp_eq_u32_e32 vcc_lo, 0, v149
	s_waitcnt lgkmcnt(9)
	v_add_f32_e32 v33, v37, v33
	s_waitcnt lgkmcnt(8)
	v_add_f32_e32 v29, v30, v65
	ds_bpermute_b32 v34, v131, v48
	ds_bpermute_b32 v37, v115, v69
	s_waitcnt lgkmcnt(8)
	v_dual_add_f32 v39, v66, v39 :: v_dual_add_f32 v30, v36, v49
	s_waitcnt lgkmcnt(7)
	v_add_f32_e32 v27, v31, v55
	ds_bpermute_b32 v31, v148, v32
	ds_bpermute_b32 v36, v148, v33
	s_waitcnt lgkmcnt(7)
	v_add_f32_e32 v35, v38, v35
	ds_bpermute_b32 v38, v115, v147
	ds_bpermute_b32 v49, v148, v39
	s_waitcnt lgkmcnt(8)
	v_dual_add_f32 v50, v52, v50 :: v_dual_add_f32 v51, v67, v51
	ds_bpermute_b32 v52, v115, v146
	ds_bpermute_b32 v55, v115, v83
	;; [unrolled: 1-line block ×5, first 2 shown]
	s_waitcnt lgkmcnt(11)
	v_add_f32_e32 v53, v68, v53
	ds_bpermute_b32 v68, v115, v145
	v_add_f32_e32 v54, v71, v54
	s_waitcnt lgkmcnt(10)
	v_dual_add_f32 v48, v48, v34 :: v_dual_add_f32 v37, v69, v37
	ds_bpermute_b32 v69, v131, v51
	global_load_b32 v98, v[0:1], off
	ds_bpermute_b32 v80, v131, v54
	ds_bpermute_b32 v67, v148, v48
	s_waitcnt lgkmcnt(11)
	v_dual_add_f32 v31, v32, v31 :: v_dual_add_f32 v32, v33, v36
	s_waitcnt lgkmcnt(10)
	v_add_f32_e32 v38, v147, v38
	ds_bpermute_b32 v71, v131, v37
	s_waitcnt lgkmcnt(10)
	v_add_f32_e32 v33, v39, v49
	ds_bpermute_b32 v70, v131, v53
	;; [unrolled: 3-line block ×3, first 2 shown]
	s_waitcnt lgkmcnt(10)
	v_add_f32_e32 v49, v83, v55
	s_waitcnt lgkmcnt(8)
	v_dual_add_f32 v34, v35, v64 :: v_dual_add_f32 v55, v82, v65
	ds_bpermute_b32 v64, v131, v39
	s_waitcnt lgkmcnt(8)
	v_add_f32_e32 v36, v50, v66
	s_waitcnt lgkmcnt(7)
	v_add_f32_e32 v50, v145, v68
	ds_bpermute_b32 v65, v131, v49
	ds_bpermute_b32 v66, v115, v103
	s_waitcnt lgkmcnt(8)
	v_add_f32_e32 v51, v51, v69
	s_mov_b32 s1, exec_lo
	ds_bpermute_b32 v68, v131, v50
	s_waitcnt lgkmcnt(7)
	v_dual_add_f32 v35, v48, v67 :: v_dual_add_f32 v54, v54, v80
	ds_bpermute_b32 v67, v115, v96
	ds_bpermute_b32 v48, v131, v55
	s_waitcnt lgkmcnt(8)
	v_add_f32_e32 v69, v37, v71
	s_waitcnt lgkmcnt(7)
	v_add_f32_e32 v53, v53, v70
	ds_bpermute_b32 v70, v115, v97
	s_waitcnt lgkmcnt(7)
	v_add_f32_e32 v52, v38, v52
	ds_bpermute_b32 v37, v148, v51
	ds_bpermute_b32 v82, v148, v54
	s_waitcnt lgkmcnt(8)
	v_add_f32_e32 v64, v39, v64
	ds_bpermute_b32 v71, v148, v53
	;; [unrolled: 4-line block ×3, first 2 shown]
	s_waitcnt lgkmcnt(9)
	v_add_f32_e32 v66, v103, v66
	ds_bpermute_b32 v80, v148, v69
	s_waitcnt lgkmcnt(9)
	v_add_f32_e32 v68, v50, v68
	ds_bpermute_b32 v83, v148, v64
	ds_bpermute_b32 v84, v148, v49
	s_waitcnt lgkmcnt(10)
	v_add_f32_e32 v67, v96, v67
	ds_bpermute_b32 v86, v131, v66
	s_waitcnt lgkmcnt(10)
	v_add_f32_e32 v55, v55, v48
	;; [unrolled: 3-line block ×4, first 2 shown]
	ds_bpermute_b32 v96, v131, v67
	ds_bpermute_b32 v85, v148, v55
	s_waitcnt lgkmcnt(10)
	v_add_f32_e32 v37, v53, v71
	v_add_f32_e32 v71, v99, v81
	ds_bpermute_b32 v99, v115, v135
	s_waitcnt lgkmcnt(10)
	v_add_f32_e32 v101, v102, v39
	s_waitcnt lgkmcnt(9)
	v_add_f32_e32 v51, v52, v65
	s_waitcnt lgkmcnt(8)
	v_dual_add_f32 v65, v144, v87 :: v_dual_add_f32 v48, v69, v80
	s_waitcnt lgkmcnt(7)
	v_dual_add_f32 v39, v54, v82 :: v_dual_add_f32 v50, v64, v83
	ds_bpermute_b32 v69, v115, v112
	s_waitcnt lgkmcnt(6)
	v_add_f32_e32 v64, v66, v86
	v_add_f32_e32 v82, v114, v100
	ds_bpermute_b32 v81, v131, v70
	v_add_f32_e32 v49, v49, v84
	ds_bpermute_b32 v87, v115, v133
	s_waitcnt lgkmcnt(6)
	v_add_f32_e32 v52, v68, v97
	ds_bpermute_b32 v84, v131, v82
	s_waitcnt lgkmcnt(6)
	v_add_f32_e32 v66, v67, v96
	ds_bpermute_b32 v54, v131, v101
	ds_bpermute_b32 v67, v131, v65
	;; [unrolled: 1-line block ×4, first 2 shown]
	s_waitcnt lgkmcnt(8)
	v_add_f32_e32 v80, v135, v99
	ds_bpermute_b32 v97, v115, v117
	ds_bpermute_b32 v100, v115, v116
	;; [unrolled: 1-line block ×4, first 2 shown]
	v_add_f32_e32 v53, v55, v85
	s_waitcnt lgkmcnt(11)
	v_add_f32_e32 v69, v112, v69
	ds_bpermute_b32 v112, v115, v129
	ds_bpermute_b32 v55, v148, v64
	s_waitcnt lgkmcnt(12)
	v_dual_add_f32 v70, v70, v81 :: v_dual_add_f32 v81, v113, v103
	ds_bpermute_b32 v103, v115, v130
	ds_bpermute_b32 v113, v115, v119
	s_waitcnt lgkmcnt(12)
	v_add_f32_e32 v82, v82, v84
	v_add_f32_e32 v84, v133, v87
	s_waitcnt lgkmcnt(11)
	v_add_f32_e32 v85, v101, v54
	ds_bpermute_b32 v54, v115, v134
	s_waitcnt lgkmcnt(11)
	v_add_f32_e32 v65, v65, v67
	ds_bpermute_b32 v67, v115, v118
	ds_bpermute_b32 v86, v131, v81
	;; [unrolled: 1-line block ×3, first 2 shown]
	s_waitcnt lgkmcnt(12)
	v_add_f32_e32 v71, v71, v102
	s_waitcnt lgkmcnt(11)
	v_add_f32_e32 v87, v117, v97
	ds_bpermute_b32 v99, v148, v70
	s_waitcnt lgkmcnt(9)
	v_add_f32_e32 v80, v80, v83
	ds_bpermute_b32 v83, v131, v69
	ds_bpermute_b32 v101, v148, v71
	s_waitcnt lgkmcnt(10)
	v_add_f32_e32 v112, v129, v112
	v_add_f32_e32 v97, v116, v100
	ds_bpermute_b32 v100, v131, v84
	ds_bpermute_b32 v129, v131, v112
	s_waitcnt lgkmcnt(10)
	v_add_f32_e32 v103, v130, v103
	s_waitcnt lgkmcnt(8)
	v_add_f32_e32 v54, v134, v54
	ds_bpermute_b32 v114, v148, v65
	s_waitcnt lgkmcnt(8)
	v_add_f32_e32 v67, v118, v67
	s_waitcnt lgkmcnt(7)
	v_dual_add_f32 v81, v81, v86 :: v_dual_add_f32 v86, v132, v96
	s_waitcnt lgkmcnt(6)
	v_add_f32_e32 v115, v128, v115
	ds_bpermute_b32 v132, v148, v82
	ds_bpermute_b32 v96, v131, v54
	;; [unrolled: 1-line block ×4, first 2 shown]
	v_add_f32_e32 v113, v119, v113
	ds_bpermute_b32 v119, v131, v67
	s_waitcnt lgkmcnt(7)
	v_dual_add_f32 v69, v69, v83 :: v_dual_add_f32 v100, v84, v100
	ds_bpermute_b32 v117, v131, v87
	s_waitcnt lgkmcnt(7)
	v_add_f32_e32 v112, v112, v129
	ds_bpermute_b32 v128, v131, v103
	s_waitcnt lgkmcnt(7)
	v_add_f32_e32 v84, v65, v114
	s_waitcnt lgkmcnt(6)
	v_add_f32_e32 v82, v82, v132
	ds_bpermute_b32 v135, v148, v69
	s_waitcnt lgkmcnt(6)
	v_add_f32_e32 v134, v54, v96
	s_waitcnt lgkmcnt(4)
	v_add_f32_e32 v116, v86, v116
	v_add_f32_e32 v86, v71, v101
	ds_bpermute_b32 v118, v131, v97
	s_waitcnt lgkmcnt(4)
	v_dual_add_f32 v119, v67, v119 :: v_dual_add_f32 v96, v66, v68
	s_waitcnt lgkmcnt(3)
	v_dual_add_f32 v117, v87, v117 :: v_dual_add_f32 v54, v64, v55
	ds_bpermute_b32 v130, v131, v113
	s_waitcnt lgkmcnt(3)
	v_add_f32_e32 v103, v103, v128
	ds_bpermute_b32 v128, v148, v119
	ds_bpermute_b32 v146, v148, v117
	v_add_f32_e32 v87, v70, v99
	ds_bpermute_b32 v83, v131, v115
	ds_bpermute_b32 v131, v148, v80
	;; [unrolled: 1-line block ×5, first 2 shown]
	v_add_f32_e32 v85, v85, v102
	s_clause 0x1
	scratch_load_b32 v99, off, s32 offset:3064
	scratch_load_b32 v101, off, s32 offset:3068
	s_waitcnt lgkmcnt(8)
	v_add_f32_e32 v97, v97, v118
	ds_bpermute_b32 v118, v148, v100
	s_waitcnt lgkmcnt(7)
	v_add_f32_e32 v66, v119, v128
	ds_bpermute_b32 v67, v148, v97
	s_waitcnt lgkmcnt(6)
	v_dual_add_f32 v68, v117, v146 :: v_dual_add_f32 v115, v115, v83
	s_waitcnt lgkmcnt(5)
	v_add_f32_e32 v83, v80, v131
	v_add_f32_e32 v80, v69, v135
	ds_bpermute_b32 v129, v148, v103
	s_waitcnt lgkmcnt(4)
	v_add_f32_e32 v71, v134, v144
	s_waitcnt lgkmcnt(3)
	v_add_f32_e32 v69, v116, v145
	s_waitcnt lgkmcnt(1)
	v_dual_add_f32 v70, v100, v118 :: v_dual_add_f32 v67, v97, v67
	scratch_load_b32 v97, off, s32 offset:3060 ; 4-byte Folded Reload
	v_add_f32_e32 v113, v113, v130
	ds_bpermute_b32 v130, v148, v112
	v_add_f32_e32 v81, v81, v133
	s_waitcnt lgkmcnt(0)
	v_dual_add_f32 v65, v103, v129 :: v_dual_add_f32 v64, v112, v130
	s_waitcnt vmcnt(2)
	v_lshrrev_b32_e32 v99, 3, v99
	s_waitcnt vmcnt(1)
	v_lshl_add_u32 v98, v101, 10, v98
	s_waitcnt vmcnt(0)
	v_and_b32_e32 v100, 0x3c0, v97
	ds_bpermute_b32 v147, v148, v113
	ds_bpermute_b32 v148, v148, v115
	s_waitcnt lgkmcnt(1)
	v_add_f32_e32 v55, v113, v147
	s_waitcnt lgkmcnt(0)
	v_add_f32_e32 v97, v115, v148
	v_cmpx_eq_u32_e32 64, v100
	s_cbranch_execz .LBB287_4131
; %bb.4129:
	s_and_b32 exec_lo, exec_lo, vcc_lo
	s_cbranch_execz .LBB287_4131
; %bb.4130:
	v_lshlrev_b32_e32 v100, 2, v99
	s_delay_alu instid0(VALU_DEP_1)
	v_add3_u32 v100, v98, v100, 0xfffff800
	ds_store_2addr_b32 v100, v6, v5 offset1:4
	ds_store_2addr_b32 v100, v4, v3 offset0:8 offset1:12
	ds_store_2addr_b32 v100, v2, v7 offset0:16 offset1:20
	;; [unrolled: 1-line block ×31, first 2 shown]
.LBB287_4131:
	s_or_b32 exec_lo, exec_lo, s1
	scratch_load_b32 v100, off, s32 offset:3060 ; 4-byte Folded Reload
	v_lshl_add_u32 v98, v99, 2, v98
	s_mov_b32 s1, exec_lo
	s_waitcnt vmcnt(0) lgkmcnt(0)
	s_barrier
	buffer_gl0_inv
	v_and_b32_e32 v100, 0x3c7, v100
	s_delay_alu instid0(VALU_DEP_1)
	v_cmpx_eq_u32_e32 0, v100
	s_cbranch_execz .LBB287_4133
; %bb.4132:
	ds_load_2addr_b32 v[100:101], v98 offset1:4
	ds_load_2addr_b32 v[102:103], v98 offset0:8 offset1:12
	ds_load_2addr_b32 v[112:113], v98 offset0:16 offset1:20
	ds_load_2addr_b32 v[114:115], v98 offset0:24 offset1:28
	ds_load_2addr_b32 v[116:117], v98 offset0:32 offset1:36
	ds_load_2addr_b32 v[118:119], v98 offset0:40 offset1:44
	ds_load_2addr_b32 v[128:129], v98 offset0:48 offset1:52
	ds_load_2addr_b32 v[130:131], v98 offset0:56 offset1:60
	ds_load_2addr_b32 v[132:133], v98 offset0:64 offset1:68
	ds_load_2addr_b32 v[134:135], v98 offset0:72 offset1:76
	ds_load_2addr_b32 v[144:145], v98 offset0:80 offset1:84
	ds_load_2addr_b32 v[146:147], v98 offset0:88 offset1:92
	s_waitcnt lgkmcnt(11)
	v_dual_add_f32 v6, v100, v6 :: v_dual_add_f32 v5, v101, v5
	s_waitcnt lgkmcnt(10)
	v_dual_add_f32 v4, v102, v4 :: v_dual_add_f32 v3, v103, v3
	ds_load_2addr_b32 v[100:101], v98 offset0:96 offset1:100
	ds_load_2addr_b32 v[102:103], v98 offset0:104 offset1:108
	s_waitcnt lgkmcnt(11)
	v_dual_add_f32 v2, v112, v2 :: v_dual_add_f32 v7, v113, v7
	s_waitcnt lgkmcnt(9)
	v_dual_add_f32 v8, v114, v8 :: v_dual_add_f32 v11, v116, v11
	;; [unrolled: 2-line block ×3, first 2 shown]
	v_dual_add_f32 v10, v117, v10 :: v_dual_add_f32 v13, v119, v13
	s_waitcnt lgkmcnt(7)
	v_dual_add_f32 v14, v128, v14 :: v_dual_add_f32 v15, v129, v15
	ds_load_2addr_b32 v[112:113], v98 offset0:112 offset1:116
	ds_load_2addr_b32 v[114:115], v98 offset0:120 offset1:124
	;; [unrolled: 1-line block ×4, first 2 shown]
	s_waitcnt lgkmcnt(6)
	v_add_f32_e32 v24, v146, v24
	ds_load_2addr_b32 v[128:129], v98 offset0:144 offset1:148
	v_add_f32_e32 v26, v147, v26
	v_dual_add_f32 v16, v130, v16 :: v_dual_add_f32 v17, v131, v17
	s_waitcnt lgkmcnt(6)
	v_add_f32_e32 v25, v100, v25
	v_add_f32_e32 v27, v101, v27
	ds_load_2addr_b32 v[100:101], v98 offset0:152 offset1:156
	s_waitcnt lgkmcnt(6)
	v_dual_add_f32 v28, v102, v28 :: v_dual_add_f32 v29, v103, v29
	ds_load_2addr_b32 v[102:103], v98 offset0:160 offset1:164
	v_dual_add_f32 v20, v132, v20 :: v_dual_add_f32 v19, v133, v19
	v_dual_add_f32 v18, v134, v18 :: v_dual_add_f32 v21, v135, v21
	;; [unrolled: 1-line block ×3, first 2 shown]
	s_waitcnt lgkmcnt(6)
	v_dual_add_f32 v30, v112, v30 :: v_dual_add_f32 v31, v113, v31
	s_waitcnt lgkmcnt(5)
	v_dual_add_f32 v32, v114, v32 :: v_dual_add_f32 v33, v115, v33
	ds_load_2addr_b32 v[112:113], v98 offset0:168 offset1:172
	s_waitcnt lgkmcnt(4)
	v_dual_add_f32 v34, v116, v34 :: v_dual_add_f32 v35, v118, v35
	s_waitcnt lgkmcnt(3)
	v_dual_add_f32 v36, v117, v36 :: v_dual_add_f32 v37, v128, v37
	ds_load_2addr_b32 v[114:115], v98 offset0:176 offset1:180
	ds_load_2addr_b32 v[116:117], v98 offset0:184 offset1:188
	s_waitcnt lgkmcnt(4)
	v_dual_add_f32 v38, v119, v38 :: v_dual_add_f32 v39, v100, v39
	ds_load_2addr_b32 v[118:119], v98 offset0:192 offset1:196
	ds_load_2addr_b32 v[130:131], v98 offset0:200 offset1:204
	;; [unrolled: 4-line block ×3, first 2 shown]
	v_dual_add_f32 v51, v101, v51 :: v_dual_add_f32 v50, v102, v50
	ds_load_2addr_b32 v[100:101], v98 offset0:224 offset1:228
	ds_load_2addr_b32 v[134:135], v98 offset0:232 offset1:236
	;; [unrolled: 1-line block ×4, first 2 shown]
	s_waitcnt lgkmcnt(10)
	v_dual_add_f32 v53, v112, v53 :: v_dual_add_f32 v52, v113, v52
	s_waitcnt lgkmcnt(8)
	v_dual_add_f32 v54, v114, v54 :: v_dual_add_f32 v87, v116, v87
	v_add_f32_e32 v96, v115, v96
	s_waitcnt lgkmcnt(7)
	v_dual_add_f32 v86, v117, v86 :: v_dual_add_f32 v85, v118, v85
	s_waitcnt lgkmcnt(6)
	v_dual_add_f32 v83, v130, v83 :: v_dual_add_f32 v84, v119, v84
	;; [unrolled: 2-line block ×8, first 2 shown]
	v_add_f32_e32 v97, v145, v97
.LBB287_4133:
	s_or_b32 exec_lo, exec_lo, s1
	scratch_load_b32 v100, off, s32 offset:3060 ; 4-byte Folded Reload
	s_mov_b32 s1, exec_lo
	s_waitcnt vmcnt(0)
	s_barrier
	buffer_gl0_inv
	v_and_b32_e32 v100, 0x3e7, v100
	s_delay_alu instid0(VALU_DEP_1)
	v_cmpx_eq_u32_e32 32, v100
	s_cbranch_execz .LBB287_4135
; %bb.4134:
	global_load_b32 v0, v[0:1], off
	s_waitcnt vmcnt(0)
	v_lshl_add_u32 v0, v99, 2, v0
	ds_store_2addr_b32 v0, v6, v5 offset1:4
	ds_store_2addr_b32 v0, v4, v3 offset0:8 offset1:12
	ds_store_2addr_b32 v0, v2, v7 offset0:16 offset1:20
	;; [unrolled: 1-line block ×31, first 2 shown]
.LBB287_4135:
	s_or_b32 exec_lo, exec_lo, s1
	s_delay_alu instid0(SALU_CYCLE_1)
	s_mov_b32 s1, exec_lo
	s_waitcnt lgkmcnt(0)
	s_barrier
	buffer_gl0_inv
	v_cmpx_eq_u32_e32 0, v100
	s_cbranch_execz .LBB287_4137
; %bb.4136:
	ds_load_2addr_b32 v[0:1], v98 offset1:4
	ds_load_2addr_b32 v[99:100], v98 offset0:8 offset1:12
	ds_load_2addr_b32 v[101:102], v98 offset0:16 offset1:20
	;; [unrolled: 1-line block ×11, first 2 shown]
	s_waitcnt lgkmcnt(11)
	v_dual_add_f32 v6, v0, v6 :: v_dual_add_f32 v5, v1, v5
	s_waitcnt lgkmcnt(10)
	v_dual_add_f32 v4, v99, v4 :: v_dual_add_f32 v3, v100, v3
	ds_load_2addr_b32 v[0:1], v98 offset0:96 offset1:100
	ds_load_2addr_b32 v[99:100], v98 offset0:104 offset1:108
	s_waitcnt lgkmcnt(11)
	v_dual_add_f32 v2, v101, v2 :: v_dual_add_f32 v7, v102, v7
	s_waitcnt lgkmcnt(9)
	v_dual_add_f32 v8, v112, v8 :: v_dual_add_f32 v11, v114, v11
	;; [unrolled: 2-line block ×3, first 2 shown]
	v_dual_add_f32 v10, v115, v10 :: v_dual_add_f32 v13, v117, v13
	s_waitcnt lgkmcnt(7)
	v_dual_add_f32 v14, v118, v14 :: v_dual_add_f32 v15, v119, v15
	ds_load_2addr_b32 v[101:102], v98 offset0:112 offset1:116
	ds_load_2addr_b32 v[112:113], v98 offset0:120 offset1:124
	ds_load_2addr_b32 v[114:115], v98 offset0:128 offset1:132
	ds_load_2addr_b32 v[116:117], v98 offset0:136 offset1:140
	s_waitcnt lgkmcnt(6)
	v_add_f32_e32 v24, v144, v24
	ds_load_2addr_b32 v[118:119], v98 offset0:144 offset1:148
	v_add_f32_e32 v26, v145, v26
	v_dual_add_f32 v16, v128, v16 :: v_dual_add_f32 v17, v129, v17
	s_waitcnt lgkmcnt(6)
	v_add_f32_e32 v25, v0, v25
	v_add_f32_e32 v27, v1, v27
	ds_load_2addr_b32 v[0:1], v98 offset0:152 offset1:156
	s_waitcnt lgkmcnt(6)
	v_dual_add_f32 v28, v99, v28 :: v_dual_add_f32 v29, v100, v29
	ds_load_2addr_b32 v[99:100], v98 offset0:160 offset1:164
	v_dual_add_f32 v20, v130, v20 :: v_dual_add_f32 v19, v131, v19
	v_dual_add_f32 v18, v132, v18 :: v_dual_add_f32 v21, v133, v21
	;; [unrolled: 1-line block ×3, first 2 shown]
	s_waitcnt lgkmcnt(6)
	v_dual_add_f32 v30, v101, v30 :: v_dual_add_f32 v31, v102, v31
	s_waitcnt lgkmcnt(5)
	v_dual_add_f32 v32, v112, v32 :: v_dual_add_f32 v33, v113, v33
	ds_load_2addr_b32 v[101:102], v98 offset0:168 offset1:172
	s_waitcnt lgkmcnt(4)
	v_dual_add_f32 v34, v114, v34 :: v_dual_add_f32 v35, v116, v35
	s_waitcnt lgkmcnt(3)
	v_dual_add_f32 v36, v115, v36 :: v_dual_add_f32 v37, v118, v37
	ds_load_2addr_b32 v[112:113], v98 offset0:176 offset1:180
	ds_load_2addr_b32 v[114:115], v98 offset0:184 offset1:188
	s_waitcnt lgkmcnt(4)
	v_dual_add_f32 v38, v117, v38 :: v_dual_add_f32 v39, v0, v39
	ds_load_2addr_b32 v[116:117], v98 offset0:192 offset1:196
	ds_load_2addr_b32 v[128:129], v98 offset0:200 offset1:204
	v_dual_add_f32 v48, v119, v48 :: v_dual_add_f32 v51, v1, v51
	ds_load_2addr_b32 v[118:119], v98 offset0:208 offset1:212
	ds_load_2addr_b32 v[130:131], v98 offset0:216 offset1:220
	ds_load_2addr_b32 v[0:1], v98 offset0:224 offset1:228
	s_waitcnt lgkmcnt(8)
	v_dual_add_f32 v50, v99, v50 :: v_dual_add_f32 v49, v100, v49
	ds_load_2addr_b32 v[132:133], v98 offset0:232 offset1:236
	ds_load_2addr_b32 v[99:100], v98 offset0:240 offset1:244
	;; [unrolled: 1-line block ×3, first 2 shown]
	s_waitcnt lgkmcnt(10)
	v_dual_add_f32 v53, v101, v53 :: v_dual_add_f32 v52, v102, v52
	s_waitcnt lgkmcnt(8)
	v_dual_add_f32 v54, v112, v54 :: v_dual_add_f32 v87, v114, v87
	v_add_f32_e32 v96, v113, v96
	s_waitcnt lgkmcnt(7)
	v_dual_add_f32 v86, v115, v86 :: v_dual_add_f32 v85, v116, v85
	s_waitcnt lgkmcnt(6)
	v_dual_add_f32 v83, v128, v83 :: v_dual_add_f32 v84, v117, v84
	;; [unrolled: 2-line block ×8, first 2 shown]
	v_add_f32_e32 v97, v135, v97
.LBB287_4137:
	s_or_b32 exec_lo, exec_lo, s1
	scratch_load_b32 v0, off, s32 offset:3060 ; 4-byte Folded Reload
	s_waitcnt vmcnt(0)
	s_barrier
	buffer_gl0_inv
	v_cmp_gt_u32_e64 s0, 32, v0
	s_delay_alu instid0(VALU_DEP_1)
	s_and_b32 exec_lo, exec_lo, s0
	s_cbranch_execz .LBB287_4140
; %bb.4138:
	s_and_b32 exec_lo, exec_lo, vcc_lo
	s_cbranch_execz .LBB287_4140
; %bb.4139:
	s_clause 0x2
	scratch_load_b32 v0, off, s32 offset:3060
	scratch_load_b32 v98, off, s32 offset:3104
	;; [unrolled: 1-line block ×3, first 2 shown]
	s_mul_i32 s1, s7, s4
	s_mul_i32 s0, s6, s7
	;; [unrolled: 1-line block ×3, first 2 shown]
	s_lshl_b32 s2, s14, 8
	s_lshl_b32 s6, s1, 8
	s_ashr_i32 s1, s0, 31
	s_ashr_i32 s3, s2, 31
	;; [unrolled: 1-line block ×3, first 2 shown]
	s_lshl_b64 s[0:1], s[0:1], 2
	s_lshl_b64 s[2:3], s[2:3], 2
	;; [unrolled: 1-line block ×3, first 2 shown]
	s_add_u32 s0, s2, s0
	s_addc_u32 s1, s3, s1
	s_add_u32 s0, s0, s6
	s_addc_u32 s1, s1, s7
	s_waitcnt vmcnt(2)
	v_lshrrev_b32_e32 v0, 1, v0
	s_waitcnt vmcnt(0)
	v_add_co_u32 v1, vcc_lo, s0, v1
	v_add_co_ci_u32_e32 v98, vcc_lo, s1, v98, vcc_lo
	s_delay_alu instid0(VALU_DEP_3) | instskip(NEXT) | instid1(VALU_DEP_1)
	v_and_b32_e32 v0, 0x1fc, v0
	v_add_co_u32 v0, vcc_lo, v1, v0
	s_delay_alu instid0(VALU_DEP_3)
	v_add_co_ci_u32_e32 v1, vcc_lo, 0, v98, vcc_lo
	s_clause 0x1f
	flat_store_b32 v[0:1], v6
	flat_store_b32 v[0:1], v5 offset:16
	flat_store_b32 v[0:1], v4 offset:32
	flat_store_b32 v[0:1], v3 offset:48
	flat_store_b32 v[0:1], v2 offset:64
	flat_store_b32 v[0:1], v7 offset:80
	flat_store_b32 v[0:1], v8 offset:96
	flat_store_b32 v[0:1], v12 offset:112
	flat_store_b32 v[0:1], v11 offset:128
	flat_store_b32 v[0:1], v10 offset:144
	flat_store_b32 v[0:1], v9 offset:160
	flat_store_b32 v[0:1], v13 offset:176
	flat_store_b32 v[0:1], v14 offset:192
	flat_store_b32 v[0:1], v15 offset:208
	flat_store_b32 v[0:1], v16 offset:224
	flat_store_b32 v[0:1], v17 offset:240
	flat_store_b32 v[0:1], v20 offset:256
	flat_store_b32 v[0:1], v19 offset:272
	flat_store_b32 v[0:1], v18 offset:288
	flat_store_b32 v[0:1], v21 offset:304
	flat_store_b32 v[0:1], v22 offset:320
	flat_store_b32 v[0:1], v23 offset:336
	flat_store_b32 v[0:1], v24 offset:352
	flat_store_b32 v[0:1], v26 offset:368
	flat_store_b32 v[0:1], v25 offset:384
	flat_store_b32 v[0:1], v27 offset:400
	flat_store_b32 v[0:1], v28 offset:416
	flat_store_b32 v[0:1], v29 offset:432
	flat_store_b32 v[0:1], v30 offset:448
	flat_store_b32 v[0:1], v31 offset:464
	flat_store_b32 v[0:1], v32 offset:480
	flat_store_b32 v[0:1], v33 offset:496
	s_clause 0x1f
	flat_store_b32 v[0:1], v34 offset:512
	flat_store_b32 v[0:1], v36 offset:528
	;; [unrolled: 1-line block ×32, first 2 shown]
.LBB287_4140:
	s_or_b32 exec_lo, exec_lo, s5
	s_clause 0x1f
	scratch_load_b32 v191, off, s32
	scratch_load_b32 v190, off, s32 offset:4
	scratch_load_b32 v189, off, s32 offset:8
	;; [unrolled: 1-line block ×31, first 2 shown]
	s_clause 0x1f
	scratch_load_b32 v127, off, s32 offset:128
	scratch_load_b32 v126, off, s32 offset:132
	scratch_load_b32 v125, off, s32 offset:136
	scratch_load_b32 v124, off, s32 offset:140
	scratch_load_b32 v123, off, s32 offset:144
	scratch_load_b32 v122, off, s32 offset:148
	scratch_load_b32 v121, off, s32 offset:152
	scratch_load_b32 v120, off, s32 offset:156
	scratch_load_b32 v111, off, s32 offset:160
	scratch_load_b32 v110, off, s32 offset:164
	scratch_load_b32 v109, off, s32 offset:168
	scratch_load_b32 v108, off, s32 offset:172
	scratch_load_b32 v107, off, s32 offset:176
	scratch_load_b32 v106, off, s32 offset:180
	scratch_load_b32 v105, off, s32 offset:184
	scratch_load_b32 v104, off, s32 offset:188
	scratch_load_b32 v95, off, s32 offset:192
	scratch_load_b32 v94, off, s32 offset:196
	scratch_load_b32 v93, off, s32 offset:200
	scratch_load_b32 v92, off, s32 offset:204
	scratch_load_b32 v91, off, s32 offset:208
	scratch_load_b32 v90, off, s32 offset:212
	scratch_load_b32 v89, off, s32 offset:216
	scratch_load_b32 v88, off, s32 offset:220
	scratch_load_b32 v79, off, s32 offset:224
	scratch_load_b32 v78, off, s32 offset:228
	scratch_load_b32 v77, off, s32 offset:232
	scratch_load_b32 v76, off, s32 offset:236
	scratch_load_b32 v75, off, s32 offset:240
	scratch_load_b32 v74, off, s32 offset:244
	scratch_load_b32 v73, off, s32 offset:248
	scratch_load_b32 v72, off, s32 offset:252
	s_clause 0xf
	scratch_load_b32 v63, off, s32 offset:256
	scratch_load_b32 v62, off, s32 offset:260
	;; [unrolled: 1-line block ×16, first 2 shown]
	s_waitcnt vmcnt(0) lgkmcnt(0)
	s_setpc_b64 s[30:31]
.Lfunc_end287:
	.size	_ZN4vllm22paged_attention_kernelIfhLi256ELi32ELi128ELNS_18Fp8KVCacheDataTypeE1ELb0ELi512EEEvPfS2_PT_PKS3_PKT0_S9_ifPKiSB_iPKfiiiSD_SD_iiiii, .Lfunc_end287-_ZN4vllm22paged_attention_kernelIfhLi256ELi32ELi128ELNS_18Fp8KVCacheDataTypeE1ELb0ELi512EEEvPfS2_PT_PKS3_PKT0_S9_ifPKiSB_iPKfiiiSD_SD_iiiii
                                        ; -- End function
	.section	.AMDGPU.csdata,"",@progbits
; Function info:
; codeLenInByte = 161396
; NumSgprs: 35
; NumVgprs: 192
; ScratchSize: 3152
; MemoryBound: 0
	.section	.text._ZN4vllm25paged_attention_v2_kernelIfhLi256ELi32ELi128ELNS_18Fp8KVCacheDataTypeE1ELb0ELi512EEEvPfS2_PT_PKS3_PKT0_S9_ifPKiSB_iPKfiiiSD_SD_iiiii,"axG",@progbits,_ZN4vllm25paged_attention_v2_kernelIfhLi256ELi32ELi128ELNS_18Fp8KVCacheDataTypeE1ELb0ELi512EEEvPfS2_PT_PKS3_PKT0_S9_ifPKiSB_iPKfiiiSD_SD_iiiii,comdat
	.protected	_ZN4vllm25paged_attention_v2_kernelIfhLi256ELi32ELi128ELNS_18Fp8KVCacheDataTypeE1ELb0ELi512EEEvPfS2_PT_PKS3_PKT0_S9_ifPKiSB_iPKfiiiSD_SD_iiiii ; -- Begin function _ZN4vllm25paged_attention_v2_kernelIfhLi256ELi32ELi128ELNS_18Fp8KVCacheDataTypeE1ELb0ELi512EEEvPfS2_PT_PKS3_PKT0_S9_ifPKiSB_iPKfiiiSD_SD_iiiii
	.globl	_ZN4vllm25paged_attention_v2_kernelIfhLi256ELi32ELi128ELNS_18Fp8KVCacheDataTypeE1ELb0ELi512EEEvPfS2_PT_PKS3_PKT0_S9_ifPKiSB_iPKfiiiSD_SD_iiiii
	.p2align	8
	.type	_ZN4vllm25paged_attention_v2_kernelIfhLi256ELi32ELi128ELNS_18Fp8KVCacheDataTypeE1ELb0ELi512EEEvPfS2_PT_PKS3_PKT0_S9_ifPKiSB_iPKfiiiSD_SD_iiiii,@function
_ZN4vllm25paged_attention_v2_kernelIfhLi256ELi32ELi128ELNS_18Fp8KVCacheDataTypeE1ELb0ELi512EEEvPfS2_PT_PKS3_PKT0_S9_ifPKiSB_iPKfiiiSD_SD_iiiii: ; @_ZN4vllm25paged_attention_v2_kernelIfhLi256ELi32ELi128ELNS_18Fp8KVCacheDataTypeE1ELb0ELi512EEEvPfS2_PT_PKS3_PKT0_S9_ifPKiSB_iPKfiiiSD_SD_iiiii
; %bb.0:
	s_clause 0x5
	s_load_b256 s[24:31], s[0:1], 0x0
	s_load_b256 s[16:23], s[0:1], 0x20
	s_load_b64 s[2:3], s[0:1], 0x40
	s_load_b64 s[4:5], s[0:1], 0x50
	s_load_b32 s6, s[0:1], 0x48
	s_load_b256 s[36:43], s[0:1], 0x58
	v_mov_b32_e32 v31, v0
	s_add_u32 s8, s0, 0x90
	s_mov_b32 s12, s13
	s_addc_u32 s9, s1, 0
	s_mov_b32 s13, s14
	s_mov_b32 s14, s15
	s_movk_i32 s15, 0x49
	s_mov_b32 s32, 0
	s_getpc_b64 s[0:1]
	s_add_u32 s0, s0, _ZN4vllm22paged_attention_kernelIfhLi256ELi32ELi128ELNS_18Fp8KVCacheDataTypeE1ELb0ELi512EEEvPfS2_PT_PKS3_PKT0_S9_ifPKiSB_iPKfiiiSD_SD_iiiii@rel32@lo+4
	s_addc_u32 s1, s1, _ZN4vllm22paged_attention_kernelIfhLi256ELi32ELi128ELNS_18Fp8KVCacheDataTypeE1ELb0ELi512EEEvPfS2_PT_PKS3_PKT0_S9_ifPKiSB_iPKfiiiSD_SD_iiiii@rel32@hi+12
	s_waitcnt lgkmcnt(0)
	v_dual_mov_b32 v0, s24 :: v_dual_mov_b32 v1, s25
	v_dual_mov_b32 v2, s26 :: v_dual_mov_b32 v3, s27
	;; [unrolled: 1-line block ×14, first 2 shown]
	s_swappc_b64 s[30:31], s[0:1]
	s_endpgm
	.section	.rodata,"a",@progbits
	.p2align	6, 0x0
	.amdhsa_kernel _ZN4vllm25paged_attention_v2_kernelIfhLi256ELi32ELi128ELNS_18Fp8KVCacheDataTypeE1ELb0ELi512EEEvPfS2_PT_PKS3_PKT0_S9_ifPKiSB_iPKfiiiSD_SD_iiiii
		.amdhsa_group_segment_fixed_size 1056
		.amdhsa_private_segment_fixed_size 3152
		.amdhsa_kernarg_size 400
		.amdhsa_user_sgpr_count 13
		.amdhsa_user_sgpr_dispatch_ptr 0
		.amdhsa_user_sgpr_queue_ptr 0
		.amdhsa_user_sgpr_kernarg_segment_ptr 1
		.amdhsa_user_sgpr_dispatch_id 0
		.amdhsa_user_sgpr_private_segment_size 0
		.amdhsa_wavefront_size32 1
		.amdhsa_uses_dynamic_stack 0
		.amdhsa_enable_private_segment 1
		.amdhsa_system_sgpr_workgroup_id_x 1
		.amdhsa_system_sgpr_workgroup_id_y 1
		.amdhsa_system_sgpr_workgroup_id_z 1
		.amdhsa_system_sgpr_workgroup_info 0
		.amdhsa_system_vgpr_workitem_id 0
		.amdhsa_next_free_vgpr 192
		.amdhsa_next_free_sgpr 44
		.amdhsa_reserve_vcc 1
		.amdhsa_float_round_mode_32 0
		.amdhsa_float_round_mode_16_64 0
		.amdhsa_float_denorm_mode_32 3
		.amdhsa_float_denorm_mode_16_64 3
		.amdhsa_dx10_clamp 1
		.amdhsa_ieee_mode 1
		.amdhsa_fp16_overflow 0
		.amdhsa_workgroup_processor_mode 1
		.amdhsa_memory_ordered 1
		.amdhsa_forward_progress 0
		.amdhsa_shared_vgpr_count 0
		.amdhsa_exception_fp_ieee_invalid_op 0
		.amdhsa_exception_fp_denorm_src 0
		.amdhsa_exception_fp_ieee_div_zero 0
		.amdhsa_exception_fp_ieee_overflow 0
		.amdhsa_exception_fp_ieee_underflow 0
		.amdhsa_exception_fp_ieee_inexact 0
		.amdhsa_exception_int_div_zero 0
	.end_amdhsa_kernel
	.section	.text._ZN4vllm25paged_attention_v2_kernelIfhLi256ELi32ELi128ELNS_18Fp8KVCacheDataTypeE1ELb0ELi512EEEvPfS2_PT_PKS3_PKT0_S9_ifPKiSB_iPKfiiiSD_SD_iiiii,"axG",@progbits,_ZN4vllm25paged_attention_v2_kernelIfhLi256ELi32ELi128ELNS_18Fp8KVCacheDataTypeE1ELb0ELi512EEEvPfS2_PT_PKS3_PKT0_S9_ifPKiSB_iPKfiiiSD_SD_iiiii,comdat
.Lfunc_end288:
	.size	_ZN4vllm25paged_attention_v2_kernelIfhLi256ELi32ELi128ELNS_18Fp8KVCacheDataTypeE1ELb0ELi512EEEvPfS2_PT_PKS3_PKT0_S9_ifPKiSB_iPKfiiiSD_SD_iiiii, .Lfunc_end288-_ZN4vllm25paged_attention_v2_kernelIfhLi256ELi32ELi128ELNS_18Fp8KVCacheDataTypeE1ELb0ELi512EEEvPfS2_PT_PKS3_PKT0_S9_ifPKiSB_iPKfiiiSD_SD_iiiii
                                        ; -- End function
	.section	.AMDGPU.csdata,"",@progbits
; Kernel info:
; codeLenInByte = 232
; NumSgprs: 46
; NumVgprs: 192
; ScratchSize: 3152
; MemoryBound: 0
; FloatMode: 240
; IeeeMode: 1
; LDSByteSize: 1056 bytes/workgroup (compile time only)
; SGPRBlocks: 5
; VGPRBlocks: 23
; NumSGPRsForWavesPerEU: 46
; NumVGPRsForWavesPerEU: 192
; Occupancy: 8
; WaveLimiterHint : 1
; COMPUTE_PGM_RSRC2:SCRATCH_EN: 1
; COMPUTE_PGM_RSRC2:USER_SGPR: 13
; COMPUTE_PGM_RSRC2:TRAP_HANDLER: 0
; COMPUTE_PGM_RSRC2:TGID_X_EN: 1
; COMPUTE_PGM_RSRC2:TGID_Y_EN: 1
; COMPUTE_PGM_RSRC2:TGID_Z_EN: 1
; COMPUTE_PGM_RSRC2:TIDIG_COMP_CNT: 0
	.section	.text._ZN4vllm25paged_attention_v2_kernelIthLi32ELi8ELi128ELNS_18Fp8KVCacheDataTypeE1ELb1ELi512EEEvPfS2_PT_PKS3_PKT0_S9_ifPKiSB_iPKfiiiSD_SD_iiiii,"axG",@progbits,_ZN4vllm25paged_attention_v2_kernelIthLi32ELi8ELi128ELNS_18Fp8KVCacheDataTypeE1ELb1ELi512EEEvPfS2_PT_PKS3_PKT0_S9_ifPKiSB_iPKfiiiSD_SD_iiiii,comdat
	.protected	_ZN4vllm25paged_attention_v2_kernelIthLi32ELi8ELi128ELNS_18Fp8KVCacheDataTypeE1ELb1ELi512EEEvPfS2_PT_PKS3_PKT0_S9_ifPKiSB_iPKfiiiSD_SD_iiiii ; -- Begin function _ZN4vllm25paged_attention_v2_kernelIthLi32ELi8ELi128ELNS_18Fp8KVCacheDataTypeE1ELb1ELi512EEEvPfS2_PT_PKS3_PKT0_S9_ifPKiSB_iPKfiiiSD_SD_iiiii
	.globl	_ZN4vllm25paged_attention_v2_kernelIthLi32ELi8ELi128ELNS_18Fp8KVCacheDataTypeE1ELb1ELi512EEEvPfS2_PT_PKS3_PKT0_S9_ifPKiSB_iPKfiiiSD_SD_iiiii
	.p2align	8
	.type	_ZN4vllm25paged_attention_v2_kernelIthLi32ELi8ELi128ELNS_18Fp8KVCacheDataTypeE1ELb1ELi512EEEvPfS2_PT_PKS3_PKT0_S9_ifPKiSB_iPKfiiiSD_SD_iiiii,@function
_ZN4vllm25paged_attention_v2_kernelIthLi32ELi8ELi128ELNS_18Fp8KVCacheDataTypeE1ELb1ELi512EEEvPfS2_PT_PKS3_PKT0_S9_ifPKiSB_iPKfiiiSD_SD_iiiii: ; @_ZN4vllm25paged_attention_v2_kernelIthLi32ELi8ELi128ELNS_18Fp8KVCacheDataTypeE1ELb1ELi512EEEvPfS2_PT_PKS3_PKT0_S9_ifPKiSB_iPKfiiiSD_SD_iiiii
; %bb.0:
	s_load_b64 s[2:3], s[0:1], 0x40
	s_mov_b32 s12, s15
	s_ashr_i32 s15, s14, 31
	s_delay_alu instid0(SALU_CYCLE_1)
	s_lshl_b64 s[4:5], s[14:15], 2
	s_waitcnt lgkmcnt(0)
	s_add_u32 s2, s2, s4
	s_addc_u32 s3, s3, s5
	s_lshl_b32 s33, s12, 9
	s_load_b32 s15, s[2:3], 0x0
	s_waitcnt lgkmcnt(0)
	s_cmp_ge_i32 s33, s15
	s_cbranch_scc1 .LBB289_178
; %bb.1:
	s_mov_b32 s28, s13
	s_clause 0x1
	s_load_b32 s13, s[0:1], 0x90
	s_load_b64 s[38:39], s[0:1], 0x30
	s_mov_b32 s41, 0
	s_waitcnt lgkmcnt(0)
	s_abs_i32 s5, s13
	s_abs_i32 s2, s38
	s_delay_alu instid0(SALU_CYCLE_1) | instskip(SKIP_1) | instid1(VALU_DEP_1)
	v_cvt_f32_u32_e32 v1, s2
	s_sub_i32 s4, 0, s2
	v_rcp_iflag_f32_e32 v1, v1
	s_waitcnt_depctr 0xfff
	v_mul_f32_e32 v1, 0x4f7ffffe, v1
	s_delay_alu instid0(VALU_DEP_1) | instskip(NEXT) | instid1(VALU_DEP_1)
	v_cvt_u32_f32_e32 v1, v1
	v_readfirstlane_b32 s3, v1
	s_delay_alu instid0(VALU_DEP_1) | instskip(NEXT) | instid1(SALU_CYCLE_1)
	s_mul_i32 s4, s4, s3
	s_mul_hi_u32 s4, s3, s4
	s_delay_alu instid0(SALU_CYCLE_1) | instskip(SKIP_4) | instid1(SALU_CYCLE_1)
	s_add_i32 s3, s3, s4
	s_xor_b32 s4, s13, s38
	s_mul_hi_u32 s3, s5, s3
	s_ashr_i32 s4, s4, 31
	s_mul_i32 s6, s3, s2
	s_sub_i32 s5, s5, s6
	s_add_i32 s6, s3, 1
	s_sub_i32 s7, s5, s2
	s_cmp_ge_u32 s5, s2
	s_cselect_b32 s3, s6, s3
	s_cselect_b32 s5, s7, s5
	s_add_i32 s6, s3, 1
	s_cmp_ge_u32 s5, s2
	s_cselect_b32 s2, s6, s3
	s_delay_alu instid0(SALU_CYCLE_1) | instskip(NEXT) | instid1(SALU_CYCLE_1)
	s_xor_b32 s2, s2, s4
	s_sub_i32 s7, s2, s4
	s_load_b64 s[2:3], s[0:1], 0x50
	s_abs_i32 s4, s7
	s_delay_alu instid0(SALU_CYCLE_1) | instskip(SKIP_1) | instid1(VALU_DEP_1)
	v_cvt_f32_u32_e32 v1, s4
	s_sub_i32 s5, 0, s4
	v_rcp_iflag_f32_e32 v1, v1
	s_waitcnt_depctr 0xfff
	v_mul_f32_e32 v1, 0x4f7ffffe, v1
	s_delay_alu instid0(VALU_DEP_1) | instskip(NEXT) | instid1(VALU_DEP_1)
	v_cvt_u32_f32_e32 v1, v1
	v_readfirstlane_b32 s6, v1
	s_delay_alu instid0(VALU_DEP_1) | instskip(NEXT) | instid1(SALU_CYCLE_1)
	s_mul_i32 s5, s5, s6
	s_mul_hi_u32 s8, s6, s5
	s_abs_i32 s5, s28
	s_add_i32 s6, s6, s8
	s_waitcnt lgkmcnt(0)
	s_cmp_eq_u64 s[2:3], 0
	s_mul_hi_u32 s6, s5, s6
	s_cbranch_scc1 .LBB289_3
; %bb.2:
	s_ashr_i32 s29, s28, 31
	s_delay_alu instid0(SALU_CYCLE_1) | instskip(NEXT) | instid1(SALU_CYCLE_1)
	s_lshl_b64 s[8:9], s[28:29], 2
	s_add_u32 s2, s2, s8
	s_addc_u32 s3, s3, s9
	s_load_b32 s41, s[2:3], 0x0
.LBB289_3:
	s_load_b128 s[8:11], s[0:1], 0x58
	v_and_b32_e32 v3, 3, v0
	s_ashr_i32 s2, s28, 31
	s_ashr_i32 s3, s7, 31
	s_lshl_b32 s24, s28, 5
	s_mov_b32 s7, exec_lo
	v_cmpx_gt_u32_e32 16, v0
	s_cbranch_execz .LBB289_5
; %bb.4:
	s_load_b64 s[16:17], s[0:1], 0x18
	s_waitcnt lgkmcnt(0)
	s_mul_i32 s18, s14, s8
	v_lshlrev_b32_e32 v1, 2, v0
	s_ashr_i32 s19, s18, 31
	v_and_b32_e32 v2, 0x3fc, v0
	s_lshl_b64 s[18:19], s[18:19], 1
	s_delay_alu instid0(VALU_DEP_1) | instskip(SKIP_3) | instid1(SALU_CYCLE_1)
	v_lshl_add_u32 v2, v3, 4, v2
	s_add_u32 s8, s16, s18
	s_addc_u32 s11, s17, s19
	s_ashr_i32 s25, s24, 31
	s_lshl_b64 s[16:17], s[24:25], 1
	s_delay_alu instid0(SALU_CYCLE_1)
	s_add_u32 s16, s8, s16
	s_addc_u32 s17, s11, s17
	global_load_b32 v1, v1, s[16:17]
	s_waitcnt vmcnt(0)
	ds_store_b32 v2, v1
.LBB289_5:
	s_or_b32 exec_lo, exec_lo, s7
	s_load_b128 s[16:19], s[0:1], 0x78
	s_mul_i32 s7, s6, s4
	s_xor_b32 s2, s2, s3
	s_sub_i32 s3, s5, s7
	s_add_i32 s5, s6, 1
	s_sub_i32 s7, s3, s4
	s_cmp_ge_u32 s3, s4
	s_waitcnt lgkmcnt(0)
	s_cselect_b32 s5, s5, s6
	s_cselect_b32 s3, s7, s3
	s_add_i32 s6, s5, 1
	s_cmp_ge_u32 s3, s4
	s_load_b32 s4, s[0:1], 0x88
	s_cselect_b32 s3, s6, s5
	s_add_i32 s5, s15, -1
	s_xor_b32 s3, s3, s2
	s_abs_i32 s34, s5
	s_sub_i32 s3, s3, s2
	s_mov_b32 s6, -1
	s_waitcnt lgkmcnt(0)
	s_barrier
	s_abs_i32 s11, s19
	buffer_gl0_inv
	v_cvt_f32_u32_e32 v1, s11
	s_sub_i32 s2, 0, s11
                                        ; implicit-def: $sgpr29
	s_delay_alu instid0(VALU_DEP_1) | instskip(SKIP_2) | instid1(VALU_DEP_1)
	v_rcp_iflag_f32_e32 v1, v1
	s_waitcnt_depctr 0xfff
	v_mul_f32_e32 v1, 0x4f7ffffe, v1
	v_cvt_u32_f32_e32 v1, v1
	s_delay_alu instid0(VALU_DEP_1) | instskip(NEXT) | instid1(VALU_DEP_1)
	v_readfirstlane_b32 s25, v1
	s_mul_i32 s2, s2, s25
	s_delay_alu instid0(SALU_CYCLE_1) | instskip(NEXT) | instid1(SALU_CYCLE_1)
	s_mul_hi_u32 s2, s25, s2
	s_add_i32 s25, s25, s2
	s_cmp_lt_i32 s4, 0
	s_mul_hi_u32 s2, s34, s25
	s_cbranch_scc0 .LBB289_7
; %bb.6:
	s_mul_i32 s6, s16, s38
	s_delay_alu instid0(SALU_CYCLE_1) | instskip(NEXT) | instid1(SALU_CYCLE_1)
	s_add_i32 s6, s3, s6
	s_mul_i32 s6, s6, s4
	s_delay_alu instid0(SALU_CYCLE_1)
	s_sub_i32 s29, 1, s6
	s_mov_b32 s6, 0
.LBB289_7:
	s_load_b64 s[30:31], s[0:1], 0x38
	s_ashr_i32 s35, s5, 31
	s_and_not1_b32 vcc_lo, exec_lo, s6
	s_ashr_i32 s19, s19, 31
	s_cbranch_vccnz .LBB289_9
; %bb.8:
	s_mul_i32 s5, s13, s16
	s_delay_alu instid0(SALU_CYCLE_1) | instskip(NEXT) | instid1(SALU_CYCLE_1)
	s_add_i32 s5, s5, s28
	s_mul_i32 s4, s5, s4
	s_delay_alu instid0(SALU_CYCLE_1)
	s_add_i32 s29, s4, 1
.LBB289_9:
	s_clause 0x5
	s_load_b32 s16, s[0:1], 0x48
	s_load_b64 s[36:37], s[0:1], 0x28
	s_load_b128 s[20:23], s[0:1], 0x0
	s_load_b64 s[26:27], s[0:1], 0x10
	s_load_b32 s8, s[0:1], 0x98
	s_load_b128 s[4:7], s[0:1], 0x68
	s_xor_b32 s40, s35, s19
	s_mul_i32 s35, s2, s11
	s_add_i32 s38, s2, 1
	s_sub_i32 s42, s34, s35
	v_lshrrev_b32_e32 v11, 5, v0
	v_mov_b32_e32 v14, 0xff7fffff
	v_mbcnt_lo_u32_b32 v13, -1, 0
	s_mul_i32 s10, s3, s10
	s_delay_alu instid0(VALU_DEP_3)
	v_lshl_add_u32 v12, v11, 3, s33
	s_waitcnt lgkmcnt(0)
	s_mul_i32 s34, s14, s16
	s_sub_i32 s16, s42, s11
	s_ashr_i32 s35, s34, 31
	s_cmp_ge_u32 s42, s11
	s_cselect_b32 s2, s38, s2
	s_cselect_b32 s16, s16, s42
	s_add_i32 s38, s2, 1
	s_cmp_ge_u32 s16, s11
	s_cselect_b32 s2, s38, s2
	s_add_i32 s16, s15, 7
	s_lshl_b32 s42, s12, 6
	s_ashr_i32 s38, s16, 31
	v_or_b32_e32 v1, s42, v11
	s_lshr_b32 s38, s38, 29
	s_add_i32 s43, s42, 64
	s_add_i32 s16, s16, s38
	s_xor_b32 s44, s2, s40
	s_ashr_i32 s38, s16, 3
	v_ashrrev_i32_e32 v2, 31, v1
	s_min_i32 s16, s43, s38
	s_sub_i32 s40, s44, s40
	v_cmp_gt_i32_e64 s2, s16, v1
	s_delay_alu instid0(VALU_DEP_1)
	s_and_saveexec_b32 s43, s2
	s_cbranch_execz .LBB289_83
; %bb.10:
	s_load_b64 s[0:1], s[0:1], 0x20
	s_sub_i32 s44, s40, s17
	s_ashr_i32 s3, s10, 31
	v_cmp_eq_u32_e32 vcc_lo, 0, v3
	v_bfe_u32 v15, v0, 2, 3
	v_dual_mov_b32 v19, 0xff7fffff :: v_dual_lshlrev_b32 v16, 1, v3
	v_dual_mov_b32 v14, 0xff7fffff :: v_dual_lshlrev_b32 v17, 4, v3
	s_delay_alu instid0(VALU_DEP_3) | instskip(SKIP_3) | instid1(VALU_DEP_3)
	v_dual_mov_b32 v23, v1 :: v_dual_lshlrev_b32 v10, 4, v15
	v_subrev_nc_u32_e32 v6, s15, v15
	v_lshlrev_b64 v[7:8], 2, v[1:2]
	v_lshl_add_u32 v18, v11, 3, s33
	v_add_nc_u32_e32 v20, 1, v6
	s_waitcnt lgkmcnt(0)
	s_add_u32 s48, s0, s10
	s_addc_u32 s1, s1, s3
	s_abs_i32 s45, s18
	s_lshl_b64 s[46:47], s[34:35], 2
	v_cvt_f32_u32_e32 v4, s45
	s_sub_i32 s3, 0, s45
	v_cmp_neq_f32_e64 s0, s41, 0
	s_delay_alu instid0(VALU_DEP_2) | instskip(SKIP_2) | instid1(VALU_DEP_1)
	v_rcp_iflag_f32_e32 v5, v4
	s_waitcnt_depctr 0xfff
	v_dual_mov_b32 v4, 0 :: v_dual_mul_f32 v5, 0x4f7ffffe, v5
	v_cvt_u32_f32_e32 v3, v5
	v_lshlrev_b32_e32 v5, 2, v15
	s_delay_alu instid0(VALU_DEP_2) | instskip(NEXT) | instid1(VALU_DEP_2)
	v_mul_lo_u32 v9, s3, v3
	v_lshl_or_b32 v5, v11, 5, v5
	s_delay_alu instid0(VALU_DEP_1) | instskip(SKIP_1) | instid1(VALU_DEP_4)
	v_add_nc_u32_e32 v21, 0x60, v5
	v_add_co_u32 v5, s3, s48, v10
	v_mul_hi_u32 v9, v3, v9
	v_add_co_ci_u32_e64 v6, null, s1, 0, s3
	s_add_u32 s1, s30, s46
	s_addc_u32 s3, s31, s47
	v_add_co_u32 v7, s1, s1, v7
	s_delay_alu instid0(VALU_DEP_1) | instskip(NEXT) | instid1(VALU_DEP_4)
	v_add_co_ci_u32_e64 v8, s1, s3, v8, s1
	v_add_nc_u32_e32 v22, v3, v9
	s_mov_b32 s46, 0
	s_mov_b32 s47, s9
	s_branch .LBB289_13
.LBB289_11:                             ;   in Loop: Header=BB289_13 Depth=1
	s_or_b32 exec_lo, exec_lo, s48
.LBB289_12:                             ;   in Loop: Header=BB289_13 Depth=1
	s_delay_alu instid0(SALU_CYCLE_1) | instskip(SKIP_2) | instid1(VALU_DEP_1)
	s_or_b32 exec_lo, exec_lo, s3
	v_add_nc_u32_e32 v23, 4, v23
	v_add_co_u32 v7, s3, v7, 16
	v_add_co_ci_u32_e64 v8, s3, 0, v8, s3
	s_delay_alu instid0(VALU_DEP_3) | instskip(SKIP_2) | instid1(VALU_DEP_3)
	v_cmp_le_i32_e64 s1, s16, v23
	v_add_nc_u32_e32 v18, 32, v18
	v_add_nc_u32_e32 v21, 0x80, v21
	s_or_b32 s46, s1, s46
	s_delay_alu instid0(SALU_CYCLE_1)
	s_and_not1_b32 exec_lo, exec_lo, s46
	s_cbranch_execz .LBB289_82
.LBB289_13:                             ; =>This Inner Loop Header: Depth=1
	v_sub_nc_u32_e32 v3, 0, v18
	s_delay_alu instid0(VALU_DEP_1) | instskip(SKIP_1) | instid1(VALU_DEP_1)
	v_max_i32_e32 v3, v18, v3
	s_waitcnt lgkmcnt(0)
	v_mul_hi_u32 v9, v3, s25
	s_delay_alu instid0(VALU_DEP_1) | instskip(NEXT) | instid1(VALU_DEP_1)
	v_mul_lo_u32 v10, v9, s11
	v_sub_nc_u32_e32 v3, v3, v10
	v_add_nc_u32_e32 v10, 1, v9
	s_delay_alu instid0(VALU_DEP_2) | instskip(SKIP_1) | instid1(VALU_DEP_1)
	v_subrev_nc_u32_e32 v24, s11, v3
	v_cmp_le_u32_e64 s1, s11, v3
	v_cndmask_b32_e64 v9, v9, v10, s1
	s_delay_alu instid0(VALU_DEP_3) | instskip(SKIP_1) | instid1(VALU_DEP_3)
	v_cndmask_b32_e64 v3, v3, v24, s1
	v_ashrrev_i32_e32 v10, 31, v18
	v_add_nc_u32_e32 v24, 1, v9
	s_delay_alu instid0(VALU_DEP_3) | instskip(NEXT) | instid1(VALU_DEP_3)
	v_cmp_le_u32_e64 s1, s11, v3
	v_xor_b32_e32 v10, s19, v10
	s_delay_alu instid0(VALU_DEP_2) | instskip(NEXT) | instid1(VALU_DEP_1)
	v_cndmask_b32_e64 v3, v9, v24, s1
	v_xor_b32_e32 v3, v3, v10
	s_delay_alu instid0(VALU_DEP_1) | instskip(NEXT) | instid1(VALU_DEP_1)
	v_sub_nc_u32_e32 v3, v3, v10
	v_add_nc_u32_e32 v9, s29, v3
	v_cmp_ge_i32_e64 s3, s44, v3
	s_delay_alu instid0(VALU_DEP_2) | instskip(NEXT) | instid1(VALU_DEP_1)
	v_sub_nc_u32_e32 v10, 0, v9
	v_max_i32_e32 v10, v9, v10
	v_ashrrev_i32_e32 v9, 31, v9
	s_delay_alu instid0(VALU_DEP_2) | instskip(NEXT) | instid1(VALU_DEP_1)
	v_mul_hi_u32 v24, v10, v22
	v_mul_lo_u32 v24, v24, s45
	s_delay_alu instid0(VALU_DEP_1) | instskip(NEXT) | instid1(VALU_DEP_1)
	v_sub_nc_u32_e32 v10, v10, v24
	v_subrev_nc_u32_e32 v24, s45, v10
	v_cmp_le_u32_e64 s1, s45, v10
	s_delay_alu instid0(VALU_DEP_1) | instskip(NEXT) | instid1(VALU_DEP_1)
	v_cndmask_b32_e64 v10, v10, v24, s1
	v_subrev_nc_u32_e32 v24, s45, v10
	v_cmp_le_u32_e64 s1, s45, v10
	s_delay_alu instid0(VALU_DEP_1) | instskip(NEXT) | instid1(VALU_DEP_1)
	v_cndmask_b32_e64 v10, v10, v24, s1
	v_xor_b32_e32 v10, v10, v9
	s_delay_alu instid0(VALU_DEP_1) | instskip(NEXT) | instid1(VALU_DEP_1)
	v_sub_nc_u32_e32 v9, v10, v9
	v_cmp_ne_u32_e64 s1, 0, v9
	s_delay_alu instid0(VALU_DEP_1) | instskip(NEXT) | instid1(SALU_CYCLE_1)
	s_and_b32 s1, s1, s3
	s_and_b32 s48, vcc_lo, s1
	s_delay_alu instid0(SALU_CYCLE_1)
	s_and_saveexec_b32 s3, s48
	s_cbranch_execz .LBB289_15
; %bb.14:                               ;   in Loop: Header=BB289_13 Depth=1
	ds_store_b32 v21, v19
.LBB289_15:                             ;   in Loop: Header=BB289_13 Depth=1
	s_or_b32 exec_lo, exec_lo, s3
	s_xor_b32 s1, s1, -1
	s_delay_alu instid0(SALU_CYCLE_1)
	s_and_saveexec_b32 s3, s1
	s_cbranch_execz .LBB289_12
; %bb.16:                               ;   in Loop: Header=BB289_13 Depth=1
	global_load_b32 v3, v[7:8], off
	v_mov_b32_e32 v25, 0
	s_waitcnt vmcnt(0)
	v_mad_i64_i32 v[9:10], null, v3, s47, v[5:6]
	s_delay_alu instid0(VALU_DEP_1) | instskip(NEXT) | instid1(VALU_DEP_1)
	v_add_co_u32 v9, s1, v9, v16
	v_add_co_ci_u32_e64 v10, s1, 0, v10, s1
	global_load_u16 v3, v[9:10], off
	global_load_b32 v24, v4, s[4:5]
	s_waitcnt vmcnt(1)
	v_and_b32_e32 v26, 0xff, v3
	v_and_b32_e32 v27, 0xffff, v3
	s_delay_alu instid0(VALU_DEP_2) | instskip(SKIP_1) | instid1(VALU_DEP_2)
	v_cmp_ne_u16_e64 s1, 0, v26
	v_mov_b32_e32 v26, 0
	s_and_saveexec_b32 s48, s1
	s_cbranch_execz .LBB289_24
; %bb.17:                               ;   in Loop: Header=BB289_13 Depth=1
	v_and_b32_e32 v3, 0xff, v27
	v_bfrev_b32_e32 v26, 1
	s_mov_b32 s49, exec_lo
	s_delay_alu instid0(VALU_DEP_2)
	v_cmpx_ne_u16_e32 0x80, v3
	s_cbranch_execz .LBB289_23
; %bb.18:                               ;   in Loop: Header=BB289_13 Depth=1
	v_and_b32_e32 v28, 0x7f, v27
	v_mov_b32_e32 v26, 0x7fc02000
	s_mov_b32 s50, exec_lo
	s_delay_alu instid0(VALU_DEP_2)
	v_cmpx_ne_u32_e32 0x7f, v28
	s_cbranch_execz .LBB289_22
; %bb.19:                               ;   in Loop: Header=BB289_13 Depth=1
	v_and_b32_e32 v3, 7, v27
	v_lshrrev_b32_e32 v26, 3, v28
	s_mov_b32 s51, exec_lo
	v_cmpx_gt_u32_e32 8, v28
; %bb.20:                               ;   in Loop: Header=BB289_13 Depth=1
	s_delay_alu instid0(VALU_DEP_3) | instskip(NEXT) | instid1(VALU_DEP_1)
	v_clz_i32_u32_e32 v26, v3
	v_min_u32_e32 v26, 32, v26
	s_delay_alu instid0(VALU_DEP_1) | instskip(SKIP_1) | instid1(VALU_DEP_2)
	v_subrev_nc_u32_e32 v28, 28, v26
	v_sub_nc_u32_e32 v26, 29, v26
	v_lshlrev_b64 v[28:29], v28, v[3:4]
	s_delay_alu instid0(VALU_DEP_1)
	v_and_b32_e32 v3, 7, v28
; %bb.21:                               ;   in Loop: Header=BB289_13 Depth=1
	s_or_b32 exec_lo, exec_lo, s51
	v_lshlrev_b32_e32 v28, 8, v27
	v_lshl_add_u32 v26, v26, 10, 0x2000
	s_delay_alu instid0(VALU_DEP_1) | instskip(NEXT) | instid1(VALU_DEP_1)
	v_and_or_b32 v26, 0x8000, v28, v26
	v_lshl_or_b32 v3, v3, 7, v26
	s_delay_alu instid0(VALU_DEP_1)
	v_cvt_f32_f16_e32 v26, v3
.LBB289_22:                             ;   in Loop: Header=BB289_13 Depth=1
	s_or_b32 exec_lo, exec_lo, s50
.LBB289_23:                             ;   in Loop: Header=BB289_13 Depth=1
	s_delay_alu instid0(SALU_CYCLE_1)
	s_or_b32 exec_lo, exec_lo, s49
.LBB289_24:                             ;   in Loop: Header=BB289_13 Depth=1
	s_delay_alu instid0(SALU_CYCLE_1) | instskip(SKIP_2) | instid1(VALU_DEP_1)
	s_or_b32 exec_lo, exec_lo, s48
	v_lshrrev_b16 v3, 8, v27
	s_mov_b32 s48, exec_lo
	v_cmpx_ne_u16_e32 0, v3
	s_cbranch_execz .LBB289_32
; %bb.25:                               ;   in Loop: Header=BB289_13 Depth=1
	v_bfrev_b32_e32 v25, 1
	s_mov_b32 s49, exec_lo
	v_cmpx_ne_u16_e32 0x80, v3
	s_cbranch_execz .LBB289_31
; %bb.26:                               ;   in Loop: Header=BB289_13 Depth=1
	v_and_b32_e32 v27, 0xffff, v3
	v_mov_b32_e32 v25, 0x7fc02000
	s_mov_b32 s50, exec_lo
	s_delay_alu instid0(VALU_DEP_2) | instskip(NEXT) | instid1(VALU_DEP_1)
	v_and_b32_e32 v28, 0x7f, v27
	v_cmpx_ne_u32_e32 0x7f, v28
	s_cbranch_execz .LBB289_30
; %bb.27:                               ;   in Loop: Header=BB289_13 Depth=1
	v_and_b32_e32 v3, 7, v27
	v_lshrrev_b32_e32 v25, 3, v28
	s_mov_b32 s51, exec_lo
	v_cmpx_gt_u32_e32 8, v28
; %bb.28:                               ;   in Loop: Header=BB289_13 Depth=1
	s_delay_alu instid0(VALU_DEP_3) | instskip(NEXT) | instid1(VALU_DEP_1)
	v_clz_i32_u32_e32 v25, v3
	v_min_u32_e32 v25, 32, v25
	s_delay_alu instid0(VALU_DEP_1) | instskip(SKIP_1) | instid1(VALU_DEP_2)
	v_subrev_nc_u32_e32 v28, 28, v25
	v_sub_nc_u32_e32 v25, 29, v25
	v_lshlrev_b64 v[28:29], v28, v[3:4]
	s_delay_alu instid0(VALU_DEP_1)
	v_and_b32_e32 v3, 7, v28
; %bb.29:                               ;   in Loop: Header=BB289_13 Depth=1
	s_or_b32 exec_lo, exec_lo, s51
	v_lshlrev_b32_e32 v27, 8, v27
	v_lshl_add_u32 v25, v25, 10, 0x2000
	s_delay_alu instid0(VALU_DEP_1) | instskip(NEXT) | instid1(VALU_DEP_1)
	v_and_or_b32 v25, 0x8000, v27, v25
	v_lshl_or_b32 v3, v3, 7, v25
	s_delay_alu instid0(VALU_DEP_1)
	v_cvt_f32_f16_e32 v25, v3
.LBB289_30:                             ;   in Loop: Header=BB289_13 Depth=1
	s_or_b32 exec_lo, exec_lo, s50
.LBB289_31:                             ;   in Loop: Header=BB289_13 Depth=1
	s_delay_alu instid0(SALU_CYCLE_1)
	s_or_b32 exec_lo, exec_lo, s49
.LBB289_32:                             ;   in Loop: Header=BB289_13 Depth=1
	s_delay_alu instid0(SALU_CYCLE_1) | instskip(SKIP_4) | instid1(VALU_DEP_2)
	s_or_b32 exec_lo, exec_lo, s48
	global_load_u16 v3, v[9:10], off offset:8
	s_waitcnt vmcnt(0)
	v_dual_mov_b32 v27, 0 :: v_dual_and_b32 v28, 0xff, v3
	v_and_b32_e32 v29, 0xffff, v3
	v_cmp_ne_u16_e64 s1, 0, v28
	v_mov_b32_e32 v28, 0
	s_delay_alu instid0(VALU_DEP_2)
	s_and_saveexec_b32 s48, s1
	s_cbranch_execz .LBB289_40
; %bb.33:                               ;   in Loop: Header=BB289_13 Depth=1
	v_and_b32_e32 v3, 0xff, v29
	v_bfrev_b32_e32 v28, 1
	s_mov_b32 s49, exec_lo
	s_delay_alu instid0(VALU_DEP_2)
	v_cmpx_ne_u16_e32 0x80, v3
	s_cbranch_execz .LBB289_39
; %bb.34:                               ;   in Loop: Header=BB289_13 Depth=1
	v_and_b32_e32 v30, 0x7f, v29
	v_mov_b32_e32 v28, 0x7fc02000
	s_mov_b32 s50, exec_lo
	s_delay_alu instid0(VALU_DEP_2)
	v_cmpx_ne_u32_e32 0x7f, v30
	s_cbranch_execz .LBB289_38
; %bb.35:                               ;   in Loop: Header=BB289_13 Depth=1
	v_and_b32_e32 v3, 7, v29
	v_lshrrev_b32_e32 v28, 3, v30
	s_mov_b32 s51, exec_lo
	v_cmpx_gt_u32_e32 8, v30
; %bb.36:                               ;   in Loop: Header=BB289_13 Depth=1
	s_delay_alu instid0(VALU_DEP_3) | instskip(NEXT) | instid1(VALU_DEP_1)
	v_clz_i32_u32_e32 v28, v3
	v_min_u32_e32 v28, 32, v28
	s_delay_alu instid0(VALU_DEP_1) | instskip(SKIP_1) | instid1(VALU_DEP_2)
	v_subrev_nc_u32_e32 v30, 28, v28
	v_sub_nc_u32_e32 v28, 29, v28
	v_lshlrev_b64 v[30:31], v30, v[3:4]
	s_delay_alu instid0(VALU_DEP_1)
	v_and_b32_e32 v3, 7, v30
; %bb.37:                               ;   in Loop: Header=BB289_13 Depth=1
	s_or_b32 exec_lo, exec_lo, s51
	v_lshlrev_b32_e32 v30, 8, v29
	v_lshl_add_u32 v28, v28, 10, 0x2000
	s_delay_alu instid0(VALU_DEP_1) | instskip(NEXT) | instid1(VALU_DEP_1)
	v_and_or_b32 v28, 0x8000, v30, v28
	v_lshl_or_b32 v3, v3, 7, v28
	s_delay_alu instid0(VALU_DEP_1)
	v_cvt_f32_f16_e32 v28, v3
.LBB289_38:                             ;   in Loop: Header=BB289_13 Depth=1
	s_or_b32 exec_lo, exec_lo, s50
.LBB289_39:                             ;   in Loop: Header=BB289_13 Depth=1
	s_delay_alu instid0(SALU_CYCLE_1)
	s_or_b32 exec_lo, exec_lo, s49
.LBB289_40:                             ;   in Loop: Header=BB289_13 Depth=1
	s_delay_alu instid0(SALU_CYCLE_1) | instskip(SKIP_2) | instid1(VALU_DEP_1)
	s_or_b32 exec_lo, exec_lo, s48
	v_lshrrev_b16 v3, 8, v29
	s_mov_b32 s48, exec_lo
	v_cmpx_ne_u16_e32 0, v3
	s_cbranch_execz .LBB289_48
; %bb.41:                               ;   in Loop: Header=BB289_13 Depth=1
	v_bfrev_b32_e32 v27, 1
	s_mov_b32 s49, exec_lo
	v_cmpx_ne_u16_e32 0x80, v3
	s_cbranch_execz .LBB289_47
; %bb.42:                               ;   in Loop: Header=BB289_13 Depth=1
	v_and_b32_e32 v29, 0xffff, v3
	v_mov_b32_e32 v27, 0x7fc02000
	s_mov_b32 s50, exec_lo
	s_delay_alu instid0(VALU_DEP_2) | instskip(NEXT) | instid1(VALU_DEP_1)
	v_and_b32_e32 v30, 0x7f, v29
	v_cmpx_ne_u32_e32 0x7f, v30
	s_cbranch_execz .LBB289_46
; %bb.43:                               ;   in Loop: Header=BB289_13 Depth=1
	v_and_b32_e32 v3, 7, v29
	v_lshrrev_b32_e32 v27, 3, v30
	s_mov_b32 s51, exec_lo
	v_cmpx_gt_u32_e32 8, v30
; %bb.44:                               ;   in Loop: Header=BB289_13 Depth=1
	s_delay_alu instid0(VALU_DEP_3) | instskip(NEXT) | instid1(VALU_DEP_1)
	v_clz_i32_u32_e32 v27, v3
	v_min_u32_e32 v27, 32, v27
	s_delay_alu instid0(VALU_DEP_1) | instskip(SKIP_1) | instid1(VALU_DEP_2)
	v_subrev_nc_u32_e32 v30, 28, v27
	v_sub_nc_u32_e32 v27, 29, v27
	v_lshlrev_b64 v[30:31], v30, v[3:4]
	s_delay_alu instid0(VALU_DEP_1)
	v_and_b32_e32 v3, 7, v30
; %bb.45:                               ;   in Loop: Header=BB289_13 Depth=1
	s_or_b32 exec_lo, exec_lo, s51
	v_lshlrev_b32_e32 v29, 8, v29
	v_lshl_add_u32 v27, v27, 10, 0x2000
	s_delay_alu instid0(VALU_DEP_1) | instskip(NEXT) | instid1(VALU_DEP_1)
	v_and_or_b32 v27, 0x8000, v29, v27
	v_lshl_or_b32 v3, v3, 7, v27
	s_delay_alu instid0(VALU_DEP_1)
	v_cvt_f32_f16_e32 v27, v3
.LBB289_46:                             ;   in Loop: Header=BB289_13 Depth=1
	s_or_b32 exec_lo, exec_lo, s50
.LBB289_47:                             ;   in Loop: Header=BB289_13 Depth=1
	s_delay_alu instid0(SALU_CYCLE_1)
	s_or_b32 exec_lo, exec_lo, s49
.LBB289_48:                             ;   in Loop: Header=BB289_13 Depth=1
	s_delay_alu instid0(SALU_CYCLE_1) | instskip(SKIP_4) | instid1(VALU_DEP_2)
	s_or_b32 exec_lo, exec_lo, s48
	global_load_u16 v3, v[9:10], off offset:128
	s_waitcnt vmcnt(0)
	v_dual_mov_b32 v29, 0 :: v_dual_and_b32 v30, 0xff, v3
	v_and_b32_e32 v31, 0xffff, v3
	v_cmp_ne_u16_e64 s1, 0, v30
	v_mov_b32_e32 v30, 0
	s_delay_alu instid0(VALU_DEP_2)
	s_and_saveexec_b32 s48, s1
	s_cbranch_execz .LBB289_56
; %bb.49:                               ;   in Loop: Header=BB289_13 Depth=1
	v_and_b32_e32 v3, 0xff, v31
	v_bfrev_b32_e32 v30, 1
	s_mov_b32 s49, exec_lo
	s_delay_alu instid0(VALU_DEP_2)
	v_cmpx_ne_u16_e32 0x80, v3
	s_cbranch_execz .LBB289_55
; %bb.50:                               ;   in Loop: Header=BB289_13 Depth=1
	v_and_b32_e32 v32, 0x7f, v31
	v_mov_b32_e32 v30, 0x7fc02000
	s_mov_b32 s50, exec_lo
	s_delay_alu instid0(VALU_DEP_2)
	v_cmpx_ne_u32_e32 0x7f, v32
	s_cbranch_execz .LBB289_54
; %bb.51:                               ;   in Loop: Header=BB289_13 Depth=1
	v_and_b32_e32 v3, 7, v31
	v_lshrrev_b32_e32 v30, 3, v32
	s_mov_b32 s51, exec_lo
	v_cmpx_gt_u32_e32 8, v32
; %bb.52:                               ;   in Loop: Header=BB289_13 Depth=1
	s_delay_alu instid0(VALU_DEP_3) | instskip(NEXT) | instid1(VALU_DEP_1)
	v_clz_i32_u32_e32 v30, v3
	v_min_u32_e32 v30, 32, v30
	s_delay_alu instid0(VALU_DEP_1) | instskip(SKIP_1) | instid1(VALU_DEP_2)
	v_subrev_nc_u32_e32 v32, 28, v30
	v_sub_nc_u32_e32 v30, 29, v30
	v_lshlrev_b64 v[32:33], v32, v[3:4]
	s_delay_alu instid0(VALU_DEP_1)
	v_and_b32_e32 v3, 7, v32
; %bb.53:                               ;   in Loop: Header=BB289_13 Depth=1
	s_or_b32 exec_lo, exec_lo, s51
	v_lshlrev_b32_e32 v32, 8, v31
	v_lshl_add_u32 v30, v30, 10, 0x2000
	s_delay_alu instid0(VALU_DEP_1) | instskip(NEXT) | instid1(VALU_DEP_1)
	v_and_or_b32 v30, 0x8000, v32, v30
	v_lshl_or_b32 v3, v3, 7, v30
	s_delay_alu instid0(VALU_DEP_1)
	v_cvt_f32_f16_e32 v30, v3
.LBB289_54:                             ;   in Loop: Header=BB289_13 Depth=1
	s_or_b32 exec_lo, exec_lo, s50
.LBB289_55:                             ;   in Loop: Header=BB289_13 Depth=1
	s_delay_alu instid0(SALU_CYCLE_1)
	s_or_b32 exec_lo, exec_lo, s49
.LBB289_56:                             ;   in Loop: Header=BB289_13 Depth=1
	s_delay_alu instid0(SALU_CYCLE_1) | instskip(SKIP_2) | instid1(VALU_DEP_1)
	s_or_b32 exec_lo, exec_lo, s48
	v_lshrrev_b16 v3, 8, v31
	s_mov_b32 s48, exec_lo
	v_cmpx_ne_u16_e32 0, v3
	s_cbranch_execz .LBB289_64
; %bb.57:                               ;   in Loop: Header=BB289_13 Depth=1
	v_bfrev_b32_e32 v29, 1
	s_mov_b32 s49, exec_lo
	v_cmpx_ne_u16_e32 0x80, v3
	s_cbranch_execz .LBB289_63
; %bb.58:                               ;   in Loop: Header=BB289_13 Depth=1
	v_and_b32_e32 v31, 0xffff, v3
	v_mov_b32_e32 v29, 0x7fc02000
	s_mov_b32 s50, exec_lo
	s_delay_alu instid0(VALU_DEP_2) | instskip(NEXT) | instid1(VALU_DEP_1)
	v_and_b32_e32 v32, 0x7f, v31
	v_cmpx_ne_u32_e32 0x7f, v32
	s_cbranch_execz .LBB289_62
; %bb.59:                               ;   in Loop: Header=BB289_13 Depth=1
	v_and_b32_e32 v3, 7, v31
	v_lshrrev_b32_e32 v29, 3, v32
	s_mov_b32 s51, exec_lo
	v_cmpx_gt_u32_e32 8, v32
; %bb.60:                               ;   in Loop: Header=BB289_13 Depth=1
	s_delay_alu instid0(VALU_DEP_3) | instskip(NEXT) | instid1(VALU_DEP_1)
	v_clz_i32_u32_e32 v29, v3
	v_min_u32_e32 v29, 32, v29
	s_delay_alu instid0(VALU_DEP_1) | instskip(SKIP_1) | instid1(VALU_DEP_2)
	v_subrev_nc_u32_e32 v32, 28, v29
	v_sub_nc_u32_e32 v29, 29, v29
	v_lshlrev_b64 v[32:33], v32, v[3:4]
	s_delay_alu instid0(VALU_DEP_1)
	v_and_b32_e32 v3, 7, v32
; %bb.61:                               ;   in Loop: Header=BB289_13 Depth=1
	s_or_b32 exec_lo, exec_lo, s51
	v_lshlrev_b32_e32 v31, 8, v31
	v_lshl_add_u32 v29, v29, 10, 0x2000
	s_delay_alu instid0(VALU_DEP_1) | instskip(NEXT) | instid1(VALU_DEP_1)
	v_and_or_b32 v29, 0x8000, v31, v29
	v_lshl_or_b32 v3, v3, 7, v29
	s_delay_alu instid0(VALU_DEP_1)
	v_cvt_f32_f16_e32 v29, v3
.LBB289_62:                             ;   in Loop: Header=BB289_13 Depth=1
	s_or_b32 exec_lo, exec_lo, s50
.LBB289_63:                             ;   in Loop: Header=BB289_13 Depth=1
	s_delay_alu instid0(SALU_CYCLE_1)
	s_or_b32 exec_lo, exec_lo, s49
.LBB289_64:                             ;   in Loop: Header=BB289_13 Depth=1
	s_delay_alu instid0(SALU_CYCLE_1) | instskip(SKIP_4) | instid1(VALU_DEP_2)
	s_or_b32 exec_lo, exec_lo, s48
	global_load_u16 v3, v[9:10], off offset:136
	s_waitcnt vmcnt(0)
	v_dual_mov_b32 v9, 0 :: v_dual_and_b32 v10, 0xff, v3
	v_and_b32_e32 v31, 0xffff, v3
	v_cmp_ne_u16_e64 s1, 0, v10
	v_mov_b32_e32 v10, 0
	s_delay_alu instid0(VALU_DEP_2)
	s_and_saveexec_b32 s48, s1
	s_cbranch_execz .LBB289_72
; %bb.65:                               ;   in Loop: Header=BB289_13 Depth=1
	v_and_b32_e32 v3, 0xff, v31
	v_bfrev_b32_e32 v10, 1
	s_mov_b32 s49, exec_lo
	s_delay_alu instid0(VALU_DEP_2)
	v_cmpx_ne_u16_e32 0x80, v3
	s_cbranch_execz .LBB289_71
; %bb.66:                               ;   in Loop: Header=BB289_13 Depth=1
	v_and_b32_e32 v32, 0x7f, v31
	v_mov_b32_e32 v10, 0x7fc02000
	s_mov_b32 s50, exec_lo
	s_delay_alu instid0(VALU_DEP_2)
	v_cmpx_ne_u32_e32 0x7f, v32
	s_cbranch_execz .LBB289_70
; %bb.67:                               ;   in Loop: Header=BB289_13 Depth=1
	v_and_b32_e32 v3, 7, v31
	v_lshrrev_b32_e32 v10, 3, v32
	s_mov_b32 s51, exec_lo
	v_cmpx_gt_u32_e32 8, v32
; %bb.68:                               ;   in Loop: Header=BB289_13 Depth=1
	s_delay_alu instid0(VALU_DEP_3) | instskip(NEXT) | instid1(VALU_DEP_1)
	v_clz_i32_u32_e32 v10, v3
	v_min_u32_e32 v10, 32, v10
	s_delay_alu instid0(VALU_DEP_1) | instskip(SKIP_1) | instid1(VALU_DEP_2)
	v_subrev_nc_u32_e32 v32, 28, v10
	v_sub_nc_u32_e32 v10, 29, v10
	v_lshlrev_b64 v[32:33], v32, v[3:4]
	s_delay_alu instid0(VALU_DEP_1)
	v_and_b32_e32 v3, 7, v32
; %bb.69:                               ;   in Loop: Header=BB289_13 Depth=1
	s_or_b32 exec_lo, exec_lo, s51
	v_lshlrev_b32_e32 v32, 8, v31
	v_lshl_add_u32 v10, v10, 10, 0x2000
	s_delay_alu instid0(VALU_DEP_1) | instskip(NEXT) | instid1(VALU_DEP_1)
	v_and_or_b32 v10, 0x8000, v32, v10
	v_lshl_or_b32 v3, v3, 7, v10
	s_delay_alu instid0(VALU_DEP_1)
	v_cvt_f32_f16_e32 v10, v3
.LBB289_70:                             ;   in Loop: Header=BB289_13 Depth=1
	s_or_b32 exec_lo, exec_lo, s50
.LBB289_71:                             ;   in Loop: Header=BB289_13 Depth=1
	s_delay_alu instid0(SALU_CYCLE_1)
	s_or_b32 exec_lo, exec_lo, s49
.LBB289_72:                             ;   in Loop: Header=BB289_13 Depth=1
	s_delay_alu instid0(SALU_CYCLE_1) | instskip(SKIP_2) | instid1(VALU_DEP_1)
	s_or_b32 exec_lo, exec_lo, s48
	v_lshrrev_b16 v3, 8, v31
	s_mov_b32 s48, exec_lo
	v_cmpx_ne_u16_e32 0, v3
	s_cbranch_execz .LBB289_80
; %bb.73:                               ;   in Loop: Header=BB289_13 Depth=1
	v_bfrev_b32_e32 v9, 1
	s_mov_b32 s49, exec_lo
	v_cmpx_ne_u16_e32 0x80, v3
	s_cbranch_execz .LBB289_79
; %bb.74:                               ;   in Loop: Header=BB289_13 Depth=1
	v_and_b32_e32 v31, 0xffff, v3
	v_mov_b32_e32 v9, 0x7fc02000
	s_mov_b32 s50, exec_lo
	s_delay_alu instid0(VALU_DEP_2) | instskip(NEXT) | instid1(VALU_DEP_1)
	v_and_b32_e32 v32, 0x7f, v31
	v_cmpx_ne_u32_e32 0x7f, v32
	s_cbranch_execz .LBB289_78
; %bb.75:                               ;   in Loop: Header=BB289_13 Depth=1
	v_and_b32_e32 v3, 7, v31
	v_lshrrev_b32_e32 v9, 3, v32
	s_mov_b32 s51, exec_lo
	v_cmpx_gt_u32_e32 8, v32
; %bb.76:                               ;   in Loop: Header=BB289_13 Depth=1
	s_delay_alu instid0(VALU_DEP_3) | instskip(NEXT) | instid1(VALU_DEP_1)
	v_clz_i32_u32_e32 v9, v3
	v_min_u32_e32 v9, 32, v9
	s_delay_alu instid0(VALU_DEP_1) | instskip(SKIP_1) | instid1(VALU_DEP_2)
	v_subrev_nc_u32_e32 v32, 28, v9
	v_sub_nc_u32_e32 v9, 29, v9
	v_lshlrev_b64 v[32:33], v32, v[3:4]
	s_delay_alu instid0(VALU_DEP_1)
	v_and_b32_e32 v3, 7, v32
; %bb.77:                               ;   in Loop: Header=BB289_13 Depth=1
	s_or_b32 exec_lo, exec_lo, s51
	v_lshlrev_b32_e32 v31, 8, v31
	v_lshl_add_u32 v9, v9, 10, 0x2000
	s_delay_alu instid0(VALU_DEP_1) | instskip(NEXT) | instid1(VALU_DEP_1)
	v_and_or_b32 v9, 0x8000, v31, v9
	v_lshl_or_b32 v3, v3, 7, v9
	s_delay_alu instid0(VALU_DEP_1)
	v_cvt_f32_f16_e32 v9, v3
.LBB289_78:                             ;   in Loop: Header=BB289_13 Depth=1
	s_or_b32 exec_lo, exec_lo, s50
.LBB289_79:                             ;   in Loop: Header=BB289_13 Depth=1
	s_delay_alu instid0(SALU_CYCLE_1)
	s_or_b32 exec_lo, exec_lo, s49
.LBB289_80:                             ;   in Loop: Header=BB289_13 Depth=1
	s_delay_alu instid0(SALU_CYCLE_1)
	s_or_b32 exec_lo, exec_lo, s48
	ds_load_b32 v3, v17
	v_fma_mixlo_f16 v26, v24, v26, 0
	v_fma_mixlo_f16 v25, v24, v25, 0
	;; [unrolled: 1-line block ×5, first 2 shown]
	v_and_b32_e32 v26, 0xffff, v26
	v_fma_mixlo_f16 v29, v24, v29, 0
	v_fma_mixlo_f16 v10, v24, v10, 0
	v_and_b32_e32 v27, 0xffff, v27
	v_fma_mixlo_f16 v9, v24, v9, 0
	s_delay_alu instid0(VALU_DEP_4) | instskip(NEXT) | instid1(VALU_DEP_2)
	v_and_b32_e32 v29, 0xffff, v29
	v_and_b32_e32 v9, 0xffff, v9
	s_waitcnt lgkmcnt(0)
	v_and_b32_e32 v31, 0xffff, v3
	v_lshrrev_b32_e32 v3, 16, v3
	;;#ASMSTART
	v_cvt_f32_f16 v31, v31;
	;;#ASMEND
	;;#ASMSTART
	v_cvt_f32_f16 v3, v3;
	;;#ASMEND
	;; [unrolled: 3-line block ×3, first 2 shown]
	v_and_b32_e32 v25, 0xffff, v25
	;;#ASMSTART
	v_cvt_f32_f16 v25, v25;
	;;#ASMEND
	ds_load_b32 v32, v17 offset:4
	v_and_b32_e32 v28, 0xffff, v28
	s_waitcnt lgkmcnt(0)
	v_and_b32_e32 v33, 0xffff, v32
	v_lshrrev_b32_e32 v32, 16, v32
	;;#ASMSTART
	v_cvt_f32_f16 v33, v33;
	;;#ASMEND
	;;#ASMSTART
	v_cvt_f32_f16 v32, v32;
	;;#ASMEND
	;; [unrolled: 3-line block ×4, first 2 shown]
	ds_load_b32 v34, v17 offset:8
	v_dual_mul_f32 v27, v32, v27 :: v_dual_mul_f32 v24, v33, v28
	v_xor_b32_e32 v28, 2, v13
	s_delay_alu instid0(VALU_DEP_2) | instskip(NEXT) | instid1(VALU_DEP_3)
	v_fmac_f32_e32 v27, v3, v25
	v_fmac_f32_e32 v24, v31, v26
	s_delay_alu instid0(VALU_DEP_3) | instskip(NEXT) | instid1(VALU_DEP_1)
	v_cmp_gt_i32_e64 s1, 32, v28
	v_cndmask_b32_e64 v26, v13, v28, s1
	s_waitcnt lgkmcnt(0)
	v_and_b32_e32 v35, 0xffff, v34
	v_lshrrev_b32_e32 v34, 16, v34
	;;#ASMSTART
	v_cvt_f32_f16 v35, v35;
	;;#ASMEND
	;;#ASMSTART
	v_cvt_f32_f16 v34, v34;
	;;#ASMEND
	v_and_b32_e32 v30, 0xffff, v30
	;;#ASMSTART
	v_cvt_f32_f16 v30, v30;
	;;#ASMEND
	;;#ASMSTART
	v_cvt_f32_f16 v29, v29;
	;;#ASMEND
	v_fmac_f32_e32 v27, v34, v29
	ds_load_b32 v36, v17 offset:12
	v_fmac_f32_e32 v24, v35, v30
	s_waitcnt lgkmcnt(0)
	v_lshrrev_b32_e32 v3, 16, v36
	v_and_b32_e32 v25, 0xffff, v36
	;;#ASMSTART
	v_cvt_f32_f16 v25, v25;
	;;#ASMEND
	;;#ASMSTART
	v_cvt_f32_f16 v3, v3;
	;;#ASMEND
	v_and_b32_e32 v10, 0xffff, v10
	;;#ASMSTART
	v_cvt_f32_f16 v10, v10;
	;;#ASMEND
	;;#ASMSTART
	v_cvt_f32_f16 v9, v9;
	;;#ASMEND
	s_delay_alu instid0(VALU_DEP_1) | instskip(SKIP_2) | instid1(VALU_DEP_3)
	v_dual_fmac_f32 v27, v3, v9 :: v_dual_fmac_f32 v24, v25, v10
	v_lshlrev_b32_e32 v3, 2, v26
	v_xor_b32_e32 v10, 1, v13
	v_add_f32_e32 v9, v24, v27
	s_delay_alu instid0(VALU_DEP_2) | instskip(SKIP_4) | instid1(VALU_DEP_2)
	v_cmp_gt_i32_e64 s1, 32, v10
	ds_bpermute_b32 v3, v3, v9
	v_cndmask_b32_e64 v10, v13, v10, s1
	s_waitcnt lgkmcnt(0)
	v_add_f32_e32 v3, v9, v3
	v_lshlrev_b32_e32 v9, 2, v10
	ds_bpermute_b32 v9, v9, v3
	s_and_saveexec_b32 s48, vcc_lo
	s_cbranch_execz .LBB289_11
; %bb.81:                               ;   in Loop: Header=BB289_13 Depth=1
	s_waitcnt lgkmcnt(0)
	v_dual_add_f32 v3, v3, v9 :: v_dual_add_nc_u32 v10, v20, v18
	s_delay_alu instid0(VALU_DEP_1) | instskip(NEXT) | instid1(VALU_DEP_1)
	v_cvt_f32_i32_e32 v10, v10
	v_mul_f32_e32 v10, s41, v10
	s_delay_alu instid0(VALU_DEP_1) | instskip(NEXT) | instid1(VALU_DEP_1)
	v_cndmask_b32_e64 v9, 0, v10, s0
	v_dual_max_f32 v10, v14, v14 :: v_dual_fmac_f32 v9, s39, v3
	s_delay_alu instid0(VALU_DEP_1) | instskip(NEXT) | instid1(VALU_DEP_1)
	v_dual_max_f32 v10, v10, v9 :: v_dual_add_nc_u32 v3, v15, v18
	v_cmp_gt_i32_e64 s1, s15, v3
	s_delay_alu instid0(VALU_DEP_1) | instskip(NEXT) | instid1(VALU_DEP_3)
	v_cndmask_b32_e64 v3, 0, v9, s1
	v_cndmask_b32_e64 v14, v14, v10, s1
	ds_store_b32 v21, v3
	s_branch .LBB289_11
.LBB289_82:
	s_or_b32 exec_lo, exec_lo, s46
.LBB289_83:
	s_delay_alu instid0(SALU_CYCLE_1) | instskip(SKIP_3) | instid1(VALU_DEP_3)
	s_or_b32 exec_lo, exec_lo, s43
	v_xor_b32_e32 v3, 16, v13
	v_xor_b32_e32 v5, 8, v13
	v_dual_max_f32 v7, v14, v14 :: v_dual_and_b32 v10, 31, v0
	v_cmp_gt_i32_e32 vcc_lo, 32, v3
	v_cndmask_b32_e32 v3, v13, v3, vcc_lo
	s_delay_alu instid0(VALU_DEP_4) | instskip(SKIP_1) | instid1(VALU_DEP_1)
	v_cmp_gt_i32_e32 vcc_lo, 32, v5
	v_cndmask_b32_e32 v5, v13, v5, vcc_lo
	v_lshlrev_b32_e32 v6, 2, v5
	s_delay_alu instid0(VALU_DEP_4) | instskip(SKIP_3) | instid1(VALU_DEP_1)
	v_lshlrev_b32_e32 v4, 2, v3
	ds_bpermute_b32 v3, v4, v14
	s_waitcnt lgkmcnt(0)
	v_max_f32_e32 v3, v3, v3
	v_max_f32_e32 v3, v7, v3
	v_xor_b32_e32 v7, 4, v13
	ds_bpermute_b32 v5, v6, v3
	v_cmp_gt_i32_e32 vcc_lo, 32, v7
	v_cndmask_b32_e32 v7, v13, v7, vcc_lo
	v_cmp_eq_u32_e32 vcc_lo, 0, v10
	s_delay_alu instid0(VALU_DEP_2) | instskip(SKIP_3) | instid1(VALU_DEP_1)
	v_lshlrev_b32_e32 v9, 2, v7
	v_lshlrev_b32_e32 v7, 2, v11
	s_waitcnt lgkmcnt(0)
	v_max_f32_e32 v5, v5, v5
	v_max_f32_e32 v3, v3, v5
	ds_bpermute_b32 v5, v9, v3
	s_and_saveexec_b32 s0, vcc_lo
	s_cbranch_execz .LBB289_85
; %bb.84:
	s_waitcnt lgkmcnt(0)
	v_max_f32_e32 v5, v5, v5
	v_max_f32_e32 v3, v3, v3
	s_delay_alu instid0(VALU_DEP_1)
	v_max_f32_e32 v3, v3, v5
	ds_store_b32 v7, v3 offset:64
.LBB289_85:
	s_or_b32 exec_lo, exec_lo, s0
	v_cmp_gt_u32_e64 s0, 4, v10
	v_dual_mov_b32 v3, 0xff7fffff :: v_dual_lshlrev_b32 v8, 2, v10
	s_waitcnt lgkmcnt(0)
	s_barrier
	buffer_gl0_inv
	s_and_saveexec_b32 s1, s0
	s_cbranch_execz .LBB289_87
; %bb.86:
	ds_load_b32 v3, v8 offset:64
.LBB289_87:
	s_or_b32 exec_lo, exec_lo, s1
	v_xor_b32_e32 v5, 2, v13
	v_xor_b32_e32 v15, 1, v13
	s_delay_alu instid0(VALU_DEP_2) | instskip(NEXT) | instid1(VALU_DEP_1)
	v_cmp_gt_i32_e64 s1, 32, v5
	v_cndmask_b32_e64 v5, v13, v5, s1
	s_delay_alu instid0(VALU_DEP_3) | instskip(NEXT) | instid1(VALU_DEP_2)
	v_cmp_gt_i32_e64 s1, 32, v15
	v_lshlrev_b32_e32 v14, 2, v5
	s_delay_alu instid0(VALU_DEP_2) | instskip(SKIP_2) | instid1(SALU_CYCLE_1)
	v_cndmask_b32_e64 v13, v13, v15, s1
	v_mov_b32_e32 v15, 0
	s_sub_i32 s1, s16, s42
	s_lshl_b32 s1, s1, 3
	s_waitcnt lgkmcnt(0)
	ds_bpermute_b32 v5, v14, v3
	v_max_f32_e32 v3, v3, v3
	v_lshlrev_b32_e32 v13, 2, v13
	s_add_i32 s1, s1, s33
	s_delay_alu instid0(SALU_CYCLE_1) | instskip(NEXT) | instid1(SALU_CYCLE_1)
	s_min_i32 s1, s1, s15
	s_sub_i32 s4, s1, s33
	s_delay_alu instid0(SALU_CYCLE_1) | instskip(SKIP_2) | instid1(VALU_DEP_1)
	v_cmp_gt_i32_e64 s1, s4, v0
	s_waitcnt lgkmcnt(0)
	v_max_f32_e32 v5, v5, v5
	v_max_f32_e32 v3, v3, v5
	ds_bpermute_b32 v5, v13, v3
	s_waitcnt lgkmcnt(0)
	v_max_f32_e32 v5, v5, v5
	s_delay_alu instid0(VALU_DEP_1)
	v_max_f32_e32 v3, v3, v5
	v_lshl_add_u32 v5, v0, 2, 0x60
	ds_bpermute_b32 v3, v15, v3
	s_and_saveexec_b32 s5, s1
	s_cbranch_execz .LBB289_91
; %bb.88:
	v_lshl_add_u32 v16, v0, 2, 0x60
	v_mov_b32_e32 v15, 0
	v_mov_b32_e32 v17, v0
	s_mov_b32 s33, 0
	.p2align	6
.LBB289_89:                             ; =>This Inner Loop Header: Depth=1
	ds_load_b32 v18, v16
	v_add_nc_u32_e32 v17, 0x80, v17
	s_delay_alu instid0(VALU_DEP_1) | instskip(NEXT) | instid1(VALU_DEP_1)
	v_cmp_le_i32_e64 s3, s4, v17
	s_or_b32 s33, s3, s33
	s_waitcnt lgkmcnt(0)
	v_sub_f32_e32 v18, v18, v3
	s_delay_alu instid0(VALU_DEP_1) | instskip(NEXT) | instid1(VALU_DEP_1)
	v_mul_f32_e32 v18, 0x3fb8aa3b, v18
	v_exp_f32_e32 v18, v18
	ds_store_b32 v16, v18
	v_dual_add_f32 v15, v15, v18 :: v_dual_add_nc_u32 v16, 0x200, v16
	s_and_not1_b32 exec_lo, exec_lo, s33
	s_cbranch_execnz .LBB289_89
; %bb.90:
	s_or_b32 exec_lo, exec_lo, s33
.LBB289_91:
	s_delay_alu instid0(SALU_CYCLE_1)
	s_or_b32 exec_lo, exec_lo, s5
	ds_bpermute_b32 v4, v4, v15
	s_waitcnt lgkmcnt(0)
	v_add_f32_e32 v4, v15, v4
	ds_bpermute_b32 v6, v6, v4
	s_waitcnt lgkmcnt(0)
	v_add_f32_e32 v4, v4, v6
	;; [unrolled: 3-line block ×5, first 2 shown]
	s_and_saveexec_b32 s3, vcc_lo
	s_cbranch_execz .LBB289_93
; %bb.92:
	ds_store_b32 v7, v4 offset:80
.LBB289_93:
	s_or_b32 exec_lo, exec_lo, s3
	s_waitcnt lgkmcnt(0)
	s_barrier
	buffer_gl0_inv
	s_and_saveexec_b32 s3, s0
	s_cbranch_execz .LBB289_95
; %bb.94:
	ds_load_b32 v4, v8 offset:80
.LBB289_95:
	s_or_b32 exec_lo, exec_lo, s3
	s_waitcnt lgkmcnt(0)
	ds_bpermute_b32 v6, v14, v4
	s_waitcnt lgkmcnt(0)
	v_add_f32_e32 v4, v4, v6
	ds_bpermute_b32 v6, v13, v4
	s_waitcnt lgkmcnt(0)
	v_add_f32_e32 v4, v4, v6
	v_mov_b32_e32 v6, 0
	ds_bpermute_b32 v4, v6, v4
	s_and_saveexec_b32 s0, s1
	s_cbranch_execz .LBB289_98
; %bb.96:
	s_waitcnt lgkmcnt(0)
	v_add_f32_e32 v6, 0x358637bd, v4
	s_mov_b32 s1, 0
	s_delay_alu instid0(VALU_DEP_1) | instskip(SKIP_1) | instid1(VALU_DEP_2)
	v_div_scale_f32 v7, null, v6, v6, 1.0
	v_div_scale_f32 v13, vcc_lo, 1.0, v6, 1.0
	v_rcp_f32_e32 v8, v7
	s_waitcnt_depctr 0xfff
	v_fma_f32 v9, -v7, v8, 1.0
	s_delay_alu instid0(VALU_DEP_1) | instskip(NEXT) | instid1(VALU_DEP_1)
	v_fmac_f32_e32 v8, v9, v8
	v_mul_f32_e32 v9, v13, v8
	s_delay_alu instid0(VALU_DEP_1) | instskip(NEXT) | instid1(VALU_DEP_1)
	v_fma_f32 v14, -v7, v9, v13
	v_fmac_f32_e32 v9, v14, v8
	s_delay_alu instid0(VALU_DEP_1) | instskip(NEXT) | instid1(VALU_DEP_1)
	v_fma_f32 v7, -v7, v9, v13
	v_div_fmas_f32 v7, v7, v8, v9
	s_delay_alu instid0(VALU_DEP_1)
	v_div_fixup_f32 v6, v7, v6, 1.0
	v_mov_b32_e32 v7, v0
.LBB289_97:                             ; =>This Inner Loop Header: Depth=1
	ds_load_b32 v8, v5
	s_waitcnt lgkmcnt(0)
	v_dual_mul_f32 v8, v6, v8 :: v_dual_add_nc_u32 v7, 0x80, v7
	s_delay_alu instid0(VALU_DEP_1) | instskip(SKIP_3) | instid1(SALU_CYCLE_1)
	v_cmp_le_i32_e32 vcc_lo, s4, v7
	ds_store_b32 v5, v8
	v_add_nc_u32_e32 v5, 0x200, v5
	s_or_b32 s1, vcc_lo, s1
	s_and_not1_b32 exec_lo, exec_lo, s1
	s_cbranch_execnz .LBB289_97
.LBB289_98:
	s_or_b32 exec_lo, exec_lo, s0
	s_mul_i32 s0, s8, s14
	s_waitcnt lgkmcnt(0)
	s_mul_i32 s4, s0, s13
	s_mov_b32 s0, exec_lo
	s_barrier
	buffer_gl0_inv
	v_cmpx_eq_u32_e32 0, v0
	s_cbranch_execz .LBB289_100
; %bb.99:
	s_ashr_i32 s5, s4, 31
	s_mul_i32 s44, s8, s28
	s_lshl_b64 s[42:43], s[4:5], 2
	v_mov_b32_e32 v5, 0
	s_add_u32 s1, s22, s42
	s_addc_u32 s3, s23, s43
	s_ashr_i32 s45, s44, 31
	s_delay_alu instid0(SALU_CYCLE_1) | instskip(NEXT) | instid1(SALU_CYCLE_1)
	s_lshl_b64 s[22:23], s[44:45], 2
	s_add_u32 s1, s1, s22
	s_addc_u32 s3, s3, s23
	s_ashr_i32 s13, s12, 31
	s_delay_alu instid0(SALU_CYCLE_1) | instskip(NEXT) | instid1(SALU_CYCLE_1)
	s_lshl_b64 s[44:45], s[12:13], 2
	s_add_u32 s46, s1, s44
	s_addc_u32 s47, s3, s45
	s_add_u32 s1, s20, s42
	s_addc_u32 s3, s21, s43
	;; [unrolled: 2-line block ×4, first 2 shown]
	s_clause 0x1
	global_store_b32 v5, v3, s[46:47]
	global_store_b32 v5, v4, s[20:21]
.LBB289_100:
	s_or_b32 exec_lo, exec_lo, s0
	v_mov_b32_e32 v13, 0
	s_and_saveexec_b32 s1, s2
	s_cbranch_execz .LBB289_168
; %bb.101:
	s_sub_i32 s5, s40, s17
	s_ashr_i32 s0, s10, 31
	s_add_u32 s13, s36, s10
	s_addc_u32 s0, s37, s0
	s_abs_i32 s10, s18
	v_lshlrev_b64 v[6:7], 2, v[1:2]
	v_cvt_f32_u32_e32 v3, s10
	s_sub_i32 s2, 0, s10
	s_lshl_b64 s[20:21], s[34:35], 2
	s_add_i32 s38, s38, -1
	v_lshl_add_u32 v14, v11, 5, 0x60
	v_rcp_iflag_f32_e32 v3, v3
	v_mov_b32_e32 v13, 0
	s_mov_b32 s14, s15
	v_lshlrev_b32_e32 v4, 3, v10
	s_delay_alu instid0(VALU_DEP_1) | instskip(SKIP_2) | instid1(VALU_DEP_1)
	v_add_co_u32 v4, s13, s13, v4
	s_waitcnt_depctr 0xfff
	v_mul_f32_e32 v3, 0x4f7ffffe, v3
	v_cvt_u32_f32_e32 v8, v3
	v_mov_b32_e32 v3, 0
	s_delay_alu instid0(VALU_DEP_2) | instskip(SKIP_2) | instid1(VALU_DEP_1)
	v_mul_lo_u32 v5, s2, v8
	s_mov_b32 s2, -1
	s_mov_b32 s3, 0xffffff
	v_mul_hi_u32 v2, v8, v5
	v_add_co_ci_u32_e64 v5, null, s0, 0, s13
	s_add_u32 s0, s30, s20
	s_addc_u32 s13, s31, s21
	v_add_co_u32 v6, vcc_lo, s0, v6
	v_add_co_ci_u32_e32 v7, vcc_lo, s13, v7, vcc_lo
	s_delay_alu instid0(VALU_DEP_4)
	v_add_nc_u32_e32 v15, v8, v2
	s_mov_b32 s13, s9
	s_mov_b32 s9, 0
	s_branch .LBB289_104
.LBB289_102:                            ;   in Loop: Header=BB289_104 Depth=1
	s_or_b32 exec_lo, exec_lo, s17
	v_and_b32_e32 v16, 0xffff, v16
	v_and_b32_e32 v21, 0xffff, v21
	;; [unrolled: 1-line block ×4, first 2 shown]
	s_delay_alu instid0(VALU_DEP_4) | instskip(NEXT) | instid1(VALU_DEP_4)
	v_lshl_or_b32 v16, v17, 16, v16
	v_lshl_or_b32 v17, v18, 16, v21
	s_delay_alu instid0(VALU_DEP_4)
	v_lshl_or_b32 v18, v19, 16, v22
	;;#ASMSTART
	v_pk_mul_f16 v16, v16, v25;

	;;#ASMEND
	;;#ASMSTART
	v_pk_mul_f16 v9, v17, v9;

	;;#ASMEND
	;; [unrolled: 4-line block ×3, first 2 shown]
	v_lshl_or_b32 v19, v20, 16, v23
	;;#ASMSTART
	v_pk_mul_f16 v8, v19, v8;

	;;#ASMEND
	;;#ASMSTART
	v_pk_add_f16 v9, v16, v9;

	;;#ASMEND
	;;#ASMSTART
	v_pk_add_f16 v2, v9, v2;
	;; [unrolled: 4-line block ×3, first 2 shown]

	;;#ASMEND
	v_and_b32_e32 v8, 0xffff, v2
	v_lshrrev_b32_e32 v2, 16, v2
	;;#ASMSTART
	v_cvt_f32_f16 v8, v8;
	;;#ASMEND
	;;#ASMSTART
	v_cvt_f32_f16 v2, v2;
	;;#ASMEND
	s_delay_alu instid0(VALU_DEP_1) | instskip(NEXT) | instid1(VALU_DEP_1)
	v_add_f32_e32 v2, v8, v2
	v_add_f32_e32 v13, v13, v2
.LBB289_103:                            ;   in Loop: Header=BB289_104 Depth=1
	s_or_b32 exec_lo, exec_lo, s0
	v_add_nc_u32_e32 v1, 4, v1
	v_add_co_u32 v6, s0, v6, 16
	s_delay_alu instid0(VALU_DEP_1) | instskip(NEXT) | instid1(VALU_DEP_3)
	v_add_co_ci_u32_e64 v7, s0, 0, v7, s0
	v_cmp_le_i32_e32 vcc_lo, s16, v1
	v_add_nc_u32_e32 v12, 32, v12
	v_add_nc_u32_e32 v14, 0x80, v14
	s_or_b32 s9, vcc_lo, s9
	s_delay_alu instid0(SALU_CYCLE_1)
	s_and_not1_b32 exec_lo, exec_lo, s9
	s_cbranch_execz .LBB289_167
.LBB289_104:                            ; =>This Inner Loop Header: Depth=1
	v_sub_nc_u32_e32 v2, 0, v12
	s_delay_alu instid0(VALU_DEP_1) | instskip(NEXT) | instid1(VALU_DEP_1)
	v_max_i32_e32 v2, v12, v2
	v_mul_hi_u32 v8, v2, s25
	s_delay_alu instid0(VALU_DEP_1) | instskip(NEXT) | instid1(VALU_DEP_1)
	v_mul_lo_u32 v9, v8, s11
	v_sub_nc_u32_e32 v2, v2, v9
	v_add_nc_u32_e32 v9, 1, v8
	s_delay_alu instid0(VALU_DEP_2) | instskip(SKIP_1) | instid1(VALU_DEP_3)
	v_subrev_nc_u32_e32 v16, s11, v2
	v_cmp_le_u32_e32 vcc_lo, s11, v2
	v_cndmask_b32_e32 v8, v8, v9, vcc_lo
	s_delay_alu instid0(VALU_DEP_3) | instskip(SKIP_1) | instid1(VALU_DEP_3)
	v_cndmask_b32_e32 v2, v2, v16, vcc_lo
	v_ashrrev_i32_e32 v9, 31, v12
	v_add_nc_u32_e32 v16, 1, v8
	s_delay_alu instid0(VALU_DEP_3) | instskip(NEXT) | instid1(VALU_DEP_3)
	v_cmp_le_u32_e32 vcc_lo, s11, v2
	v_xor_b32_e32 v9, s19, v9
	s_delay_alu instid0(VALU_DEP_3) | instskip(NEXT) | instid1(VALU_DEP_1)
	v_cndmask_b32_e32 v2, v8, v16, vcc_lo
	v_xor_b32_e32 v2, v2, v9
	s_delay_alu instid0(VALU_DEP_1) | instskip(NEXT) | instid1(VALU_DEP_1)
	v_sub_nc_u32_e32 v2, v2, v9
	v_add_nc_u32_e32 v8, s29, v2
	v_cmp_lt_i32_e64 s0, s5, v2
	s_delay_alu instid0(VALU_DEP_2) | instskip(NEXT) | instid1(VALU_DEP_1)
	v_sub_nc_u32_e32 v9, 0, v8
	v_max_i32_e32 v9, v8, v9
	s_delay_alu instid0(VALU_DEP_1) | instskip(NEXT) | instid1(VALU_DEP_1)
	v_mul_hi_u32 v16, v9, v15
	v_mul_lo_u32 v16, v16, s10
	s_delay_alu instid0(VALU_DEP_1) | instskip(NEXT) | instid1(VALU_DEP_1)
	v_sub_nc_u32_e32 v9, v9, v16
	v_subrev_nc_u32_e32 v16, s10, v9
	v_cmp_le_u32_e32 vcc_lo, s10, v9
	s_delay_alu instid0(VALU_DEP_2) | instskip(NEXT) | instid1(VALU_DEP_1)
	v_cndmask_b32_e32 v9, v9, v16, vcc_lo
	v_subrev_nc_u32_e32 v16, s10, v9
	v_cmp_le_u32_e32 vcc_lo, s10, v9
	s_delay_alu instid0(VALU_DEP_2) | instskip(SKIP_1) | instid1(VALU_DEP_1)
	v_cndmask_b32_e32 v9, v9, v16, vcc_lo
	v_ashrrev_i32_e32 v8, 31, v8
	v_xor_b32_e32 v9, v9, v8
	s_delay_alu instid0(VALU_DEP_1) | instskip(NEXT) | instid1(VALU_DEP_1)
	v_sub_nc_u32_e32 v8, v9, v8
	v_cmp_eq_u32_e32 vcc_lo, 0, v8
	s_or_b32 s17, vcc_lo, s0
	s_delay_alu instid0(SALU_CYCLE_1)
	s_and_saveexec_b32 s0, s17
	s_cbranch_execz .LBB289_103
; %bb.105:                              ;   in Loop: Header=BB289_104 Depth=1
	global_load_b32 v2, v[6:7], off
	ds_load_2addr_b64 v[16:19], v14 offset1:1
	ds_load_2addr_b64 v[22:25], v14 offset0:2 offset1:3
	v_mov_b32_e32 v26, 0
	s_mov_b32 s17, exec_lo
	s_waitcnt lgkmcnt(1)
	;;#ASMSTART
	v_cvt_f16_f32 v16, v16;

	;;#ASMEND
	;;#ASMSTART
	v_cvt_f16_f32 v17, v17;

	;;#ASMEND
	;; [unrolled: 4-line block ×4, first 2 shown]
	s_waitcnt lgkmcnt(0)
	;;#ASMSTART
	v_cvt_f16_f32 v22, v22;

	;;#ASMEND
	;;#ASMSTART
	v_cvt_f16_f32 v19, v23;

	;;#ASMEND
	;;#ASMSTART
	v_cvt_f16_f32 v23, v24;

	;;#ASMEND
	;;#ASMSTART
	v_cvt_f16_f32 v20, v25;

	;;#ASMEND
	v_mov_b32_e32 v25, 0
	s_waitcnt vmcnt(0)
	v_mad_i64_i32 v[8:9], null, v2, s13, v[4:5]
	global_load_b64 v[8:9], v[8:9], off
	global_load_b32 v24, v3, s[6:7]
	s_waitcnt vmcnt(1)
	v_and_b32_e32 v2, 0xff, v8
	s_delay_alu instid0(VALU_DEP_1)
	v_cmpx_ne_u16_e32 0, v2
	s_cbranch_execz .LBB289_111
; %bb.106:                              ;   in Loop: Header=BB289_104 Depth=1
	v_bfrev_b32_e32 v25, 1
	s_mov_b32 s18, exec_lo
	v_cmpx_ne_u16_e32 0x80, v2
	s_cbranch_execz .LBB289_110
; %bb.107:                              ;   in Loop: Header=BB289_104 Depth=1
	v_and_b32_e32 v2, 0x7f, v8
	v_mov_b32_e32 v25, 0x7fc02000
	s_mov_b32 s20, exec_lo
	s_delay_alu instid0(VALU_DEP_2)
	v_cmpx_ne_u32_e32 0x7f, v2
	s_cbranch_execz .LBB289_109
; %bb.108:                              ;   in Loop: Header=BB289_104 Depth=1
	v_and_b32_e32 v25, 7, v8
	v_cmp_gt_u32_e32 vcc_lo, 8, v2
	v_lshrrev_b32_e32 v27, 3, v2
	s_delay_alu instid0(VALU_DEP_3) | instskip(NEXT) | instid1(VALU_DEP_1)
	v_clz_i32_u32_e32 v25, v25
	v_min_u32_e32 v25, 32, v25
	s_delay_alu instid0(VALU_DEP_1) | instskip(SKIP_1) | instid1(VALU_DEP_1)
	v_subrev_nc_u32_e32 v28, 28, v25
	v_sub_nc_u32_e32 v25, 29, v25
	v_dual_cndmask_b32 v2, 0, v28 :: v_dual_cndmask_b32 v25, v27, v25
	s_delay_alu instid0(VALU_DEP_1) | instskip(SKIP_1) | instid1(VALU_DEP_3)
	v_lshlrev_b64 v[27:28], v2, v[8:9]
	v_lshlrev_b32_e32 v2, 8, v8
	v_lshl_add_u32 v25, v25, 10, 0x2000
	s_delay_alu instid0(VALU_DEP_3) | instskip(NEXT) | instid1(VALU_DEP_2)
	v_lshlrev_b32_e32 v27, 7, v27
	v_and_or_b32 v2, 0x8000, v2, v25
	s_delay_alu instid0(VALU_DEP_1) | instskip(NEXT) | instid1(VALU_DEP_1)
	v_and_or_b32 v2, 0x380, v27, v2
	v_cvt_f32_f16_e32 v25, v2
.LBB289_109:                            ;   in Loop: Header=BB289_104 Depth=1
	s_or_b32 exec_lo, exec_lo, s20
.LBB289_110:                            ;   in Loop: Header=BB289_104 Depth=1
	s_delay_alu instid0(SALU_CYCLE_1)
	s_or_b32 exec_lo, exec_lo, s18
.LBB289_111:                            ;   in Loop: Header=BB289_104 Depth=1
	s_delay_alu instid0(SALU_CYCLE_1) | instskip(SKIP_2) | instid1(VALU_DEP_1)
	s_or_b32 exec_lo, exec_lo, s17
	v_lshrrev_b16 v2, 8, v8
	s_mov_b32 s17, exec_lo
	v_cmpx_ne_u16_e32 0, v2
	s_cbranch_execz .LBB289_119
; %bb.112:                              ;   in Loop: Header=BB289_104 Depth=1
	v_bfrev_b32_e32 v26, 1
	s_mov_b32 s18, exec_lo
	v_cmpx_ne_u16_e32 0x80, v2
	s_cbranch_execz .LBB289_118
; %bb.113:                              ;   in Loop: Header=BB289_104 Depth=1
	v_and_b32_e32 v27, 0xffff, v2
	v_mov_b32_e32 v26, 0x7fc02000
	s_mov_b32 s20, exec_lo
	s_delay_alu instid0(VALU_DEP_2) | instskip(NEXT) | instid1(VALU_DEP_1)
	v_and_b32_e32 v28, 0x7f, v27
	v_cmpx_ne_u32_e32 0x7f, v28
	s_cbranch_execz .LBB289_117
; %bb.114:                              ;   in Loop: Header=BB289_104 Depth=1
	v_and_b32_e32 v2, 7, v27
	v_lshrrev_b32_e32 v26, 3, v28
	s_mov_b32 s21, exec_lo
	v_cmpx_gt_u32_e32 8, v28
; %bb.115:                              ;   in Loop: Header=BB289_104 Depth=1
	s_delay_alu instid0(VALU_DEP_3) | instskip(NEXT) | instid1(VALU_DEP_1)
	v_clz_i32_u32_e32 v26, v2
	v_min_u32_e32 v26, 32, v26
	s_delay_alu instid0(VALU_DEP_1) | instskip(SKIP_1) | instid1(VALU_DEP_2)
	v_subrev_nc_u32_e32 v28, 28, v26
	v_sub_nc_u32_e32 v26, 29, v26
	v_lshlrev_b64 v[28:29], v28, v[2:3]
	s_delay_alu instid0(VALU_DEP_1)
	v_and_b32_e32 v2, 7, v28
; %bb.116:                              ;   in Loop: Header=BB289_104 Depth=1
	s_or_b32 exec_lo, exec_lo, s21
	v_lshlrev_b32_e32 v27, 8, v27
	v_lshl_add_u32 v26, v26, 10, 0x2000
	s_delay_alu instid0(VALU_DEP_1) | instskip(NEXT) | instid1(VALU_DEP_1)
	v_and_or_b32 v26, 0x8000, v27, v26
	v_lshl_or_b32 v2, v2, 7, v26
	s_delay_alu instid0(VALU_DEP_1)
	v_cvt_f32_f16_e32 v26, v2
.LBB289_117:                            ;   in Loop: Header=BB289_104 Depth=1
	s_or_b32 exec_lo, exec_lo, s20
.LBB289_118:                            ;   in Loop: Header=BB289_104 Depth=1
	s_delay_alu instid0(SALU_CYCLE_1)
	s_or_b32 exec_lo, exec_lo, s18
.LBB289_119:                            ;   in Loop: Header=BB289_104 Depth=1
	s_delay_alu instid0(SALU_CYCLE_1) | instskip(SKIP_3) | instid1(VALU_DEP_2)
	s_or_b32 exec_lo, exec_lo, s17
	v_lshrrev_b32_e32 v29, 16, v8
	v_mov_b32_e32 v28, 0
	s_mov_b32 s17, exec_lo
	v_dual_mov_b32 v27, 0 :: v_dual_and_b32 v2, 0xff, v29
	s_delay_alu instid0(VALU_DEP_1)
	v_cmpx_ne_u16_e32 0, v2
	s_cbranch_execz .LBB289_127
; %bb.120:                              ;   in Loop: Header=BB289_104 Depth=1
	v_bfrev_b32_e32 v27, 1
	s_mov_b32 s18, exec_lo
	v_cmpx_ne_u16_e32 0x80, v2
	s_cbranch_execz .LBB289_126
; %bb.121:                              ;   in Loop: Header=BB289_104 Depth=1
	v_bfe_u32 v30, v8, 16, 7
	v_mov_b32_e32 v27, 0x7fc02000
	s_mov_b32 s20, exec_lo
	s_delay_alu instid0(VALU_DEP_2)
	v_cmpx_ne_u32_e32 0x7f, v30
	s_cbranch_execz .LBB289_125
; %bb.122:                              ;   in Loop: Header=BB289_104 Depth=1
	v_and_b32_e32 v2, 7, v29
	v_lshrrev_b32_e32 v27, 3, v30
	s_mov_b32 s21, exec_lo
	v_cmpx_gt_u32_e32 8, v30
; %bb.123:                              ;   in Loop: Header=BB289_104 Depth=1
	s_delay_alu instid0(VALU_DEP_3) | instskip(NEXT) | instid1(VALU_DEP_1)
	v_clz_i32_u32_e32 v27, v2
	v_min_u32_e32 v27, 32, v27
	s_delay_alu instid0(VALU_DEP_1) | instskip(SKIP_1) | instid1(VALU_DEP_2)
	v_subrev_nc_u32_e32 v30, 28, v27
	v_sub_nc_u32_e32 v27, 29, v27
	v_lshlrev_b64 v[30:31], v30, v[2:3]
	s_delay_alu instid0(VALU_DEP_1)
	v_and_b32_e32 v2, 7, v30
; %bb.124:                              ;   in Loop: Header=BB289_104 Depth=1
	s_or_b32 exec_lo, exec_lo, s21
	v_lshlrev_b32_e32 v29, 8, v29
	v_lshl_add_u32 v27, v27, 10, 0x2000
	s_delay_alu instid0(VALU_DEP_1) | instskip(NEXT) | instid1(VALU_DEP_1)
	v_and_or_b32 v27, 0x8000, v29, v27
	v_lshl_or_b32 v2, v2, 7, v27
	s_delay_alu instid0(VALU_DEP_1)
	v_cvt_f32_f16_e32 v27, v2
.LBB289_125:                            ;   in Loop: Header=BB289_104 Depth=1
	s_or_b32 exec_lo, exec_lo, s20
.LBB289_126:                            ;   in Loop: Header=BB289_104 Depth=1
	s_delay_alu instid0(SALU_CYCLE_1)
	s_or_b32 exec_lo, exec_lo, s18
.LBB289_127:                            ;   in Loop: Header=BB289_104 Depth=1
	s_delay_alu instid0(SALU_CYCLE_1) | instskip(NEXT) | instid1(SALU_CYCLE_1)
	s_or_b32 exec_lo, exec_lo, s17
	s_mov_b32 s17, exec_lo
	v_cmpx_lt_u32_e32 0xffffff, v8
	s_cbranch_execz .LBB289_135
; %bb.128:                              ;   in Loop: Header=BB289_104 Depth=1
	v_lshrrev_b32_e32 v29, 24, v8
	v_bfrev_b32_e32 v28, 1
	s_mov_b32 s18, exec_lo
	s_delay_alu instid0(VALU_DEP_2)
	v_cmpx_ne_u32_e32 0x80, v29
	s_cbranch_execz .LBB289_134
; %bb.129:                              ;   in Loop: Header=BB289_104 Depth=1
	v_and_b32_e32 v30, 0x7f, v29
	v_mov_b32_e32 v28, 0x7fc02000
	s_mov_b32 s20, exec_lo
	s_delay_alu instid0(VALU_DEP_2)
	v_cmpx_ne_u32_e32 0x7f, v30
	s_cbranch_execz .LBB289_133
; %bb.130:                              ;   in Loop: Header=BB289_104 Depth=1
	v_and_b32_e32 v2, 7, v29
	v_lshrrev_b32_e32 v28, 3, v30
	s_mov_b32 s21, exec_lo
	v_cmpx_gt_u32_e32 8, v30
; %bb.131:                              ;   in Loop: Header=BB289_104 Depth=1
	s_delay_alu instid0(VALU_DEP_3) | instskip(NEXT) | instid1(VALU_DEP_1)
	v_clz_i32_u32_e32 v28, v2
	v_min_u32_e32 v28, 32, v28
	s_delay_alu instid0(VALU_DEP_1) | instskip(SKIP_1) | instid1(VALU_DEP_2)
	v_subrev_nc_u32_e32 v30, 28, v28
	v_sub_nc_u32_e32 v28, 29, v28
	v_lshlrev_b64 v[30:31], v30, v[2:3]
	s_delay_alu instid0(VALU_DEP_1)
	v_and_b32_e32 v2, 7, v30
; %bb.132:                              ;   in Loop: Header=BB289_104 Depth=1
	s_or_b32 exec_lo, exec_lo, s21
	v_lshlrev_b32_e32 v29, 8, v29
	v_lshl_add_u32 v28, v28, 10, 0x2000
	s_delay_alu instid0(VALU_DEP_1) | instskip(NEXT) | instid1(VALU_DEP_1)
	v_and_or_b32 v28, 0x8000, v29, v28
	v_lshl_or_b32 v2, v2, 7, v28
	s_delay_alu instid0(VALU_DEP_1)
	v_cvt_f32_f16_e32 v28, v2
.LBB289_133:                            ;   in Loop: Header=BB289_104 Depth=1
	s_or_b32 exec_lo, exec_lo, s20
.LBB289_134:                            ;   in Loop: Header=BB289_104 Depth=1
	s_delay_alu instid0(SALU_CYCLE_1)
	s_or_b32 exec_lo, exec_lo, s18
.LBB289_135:                            ;   in Loop: Header=BB289_104 Depth=1
	s_delay_alu instid0(SALU_CYCLE_1) | instskip(SKIP_3) | instid1(VALU_DEP_2)
	s_or_b32 exec_lo, exec_lo, s17
	v_dual_mov_b32 v2, v9 :: v_dual_and_b32 v31, 0xff, v9
	v_dual_mov_b32 v30, 0 :: v_dual_mov_b32 v29, 0
	s_mov_b32 s17, exec_lo
	v_cmpx_ne_u16_e32 0, v31
	s_cbranch_execz .LBB289_141
; %bb.136:                              ;   in Loop: Header=BB289_104 Depth=1
	v_bfrev_b32_e32 v29, 1
	s_mov_b32 s18, exec_lo
	v_cmpx_ne_u16_e32 0x80, v31
	s_cbranch_execz .LBB289_140
; %bb.137:                              ;   in Loop: Header=BB289_104 Depth=1
	v_and_b32_e32 v31, 0x7f, v9
	v_mov_b32_e32 v29, 0x7fc02000
	s_mov_b32 s20, exec_lo
	s_delay_alu instid0(VALU_DEP_2)
	v_cmpx_ne_u32_e32 0x7f, v31
	s_cbranch_execz .LBB289_139
; %bb.138:                              ;   in Loop: Header=BB289_104 Depth=1
	v_and_b32_e32 v29, 7, v9
	v_cmp_gt_u32_e32 vcc_lo, 8, v31
	v_lshrrev_b32_e32 v32, 3, v31
	s_delay_alu instid0(VALU_DEP_3) | instskip(NEXT) | instid1(VALU_DEP_1)
	v_clz_i32_u32_e32 v29, v29
	v_min_u32_e32 v29, 32, v29
	s_delay_alu instid0(VALU_DEP_1) | instskip(SKIP_1) | instid1(VALU_DEP_2)
	v_subrev_nc_u32_e32 v33, 28, v29
	v_sub_nc_u32_e32 v29, 29, v29
	v_cndmask_b32_e32 v31, 0, v33, vcc_lo
	s_delay_alu instid0(VALU_DEP_2) | instskip(NEXT) | instid1(VALU_DEP_2)
	v_cndmask_b32_e32 v29, v32, v29, vcc_lo
	v_lshlrev_b64 v[31:32], v31, v[2:3]
	v_lshlrev_b32_e32 v32, 8, v9
	s_delay_alu instid0(VALU_DEP_3) | instskip(NEXT) | instid1(VALU_DEP_3)
	v_lshl_add_u32 v29, v29, 10, 0x2000
	v_lshlrev_b32_e32 v31, 7, v31
	s_delay_alu instid0(VALU_DEP_2) | instskip(NEXT) | instid1(VALU_DEP_1)
	v_and_or_b32 v29, 0x8000, v32, v29
	v_and_or_b32 v29, 0x380, v31, v29
	s_delay_alu instid0(VALU_DEP_1)
	v_cvt_f32_f16_e32 v29, v29
.LBB289_139:                            ;   in Loop: Header=BB289_104 Depth=1
	s_or_b32 exec_lo, exec_lo, s20
.LBB289_140:                            ;   in Loop: Header=BB289_104 Depth=1
	s_delay_alu instid0(SALU_CYCLE_1)
	s_or_b32 exec_lo, exec_lo, s18
.LBB289_141:                            ;   in Loop: Header=BB289_104 Depth=1
	s_delay_alu instid0(SALU_CYCLE_1) | instskip(SKIP_2) | instid1(VALU_DEP_1)
	s_or_b32 exec_lo, exec_lo, s17
	v_lshrrev_b16 v2, 8, v2
	s_mov_b32 s17, exec_lo
	v_cmpx_ne_u16_e32 0, v2
	s_cbranch_execz .LBB289_149
; %bb.142:                              ;   in Loop: Header=BB289_104 Depth=1
	v_bfrev_b32_e32 v30, 1
	s_mov_b32 s18, exec_lo
	v_cmpx_ne_u16_e32 0x80, v2
	s_cbranch_execz .LBB289_148
; %bb.143:                              ;   in Loop: Header=BB289_104 Depth=1
	v_and_b32_e32 v31, 0xffff, v2
	v_mov_b32_e32 v30, 0x7fc02000
	s_mov_b32 s20, exec_lo
	s_delay_alu instid0(VALU_DEP_2) | instskip(NEXT) | instid1(VALU_DEP_1)
	v_and_b32_e32 v32, 0x7f, v31
	v_cmpx_ne_u32_e32 0x7f, v32
	s_cbranch_execz .LBB289_147
; %bb.144:                              ;   in Loop: Header=BB289_104 Depth=1
	v_and_b32_e32 v2, 7, v31
	v_lshrrev_b32_e32 v30, 3, v32
	s_mov_b32 s21, exec_lo
	v_cmpx_gt_u32_e32 8, v32
; %bb.145:                              ;   in Loop: Header=BB289_104 Depth=1
	s_delay_alu instid0(VALU_DEP_3) | instskip(NEXT) | instid1(VALU_DEP_1)
	v_clz_i32_u32_e32 v30, v2
	v_min_u32_e32 v30, 32, v30
	s_delay_alu instid0(VALU_DEP_1) | instskip(SKIP_1) | instid1(VALU_DEP_2)
	v_subrev_nc_u32_e32 v32, 28, v30
	v_sub_nc_u32_e32 v30, 29, v30
	v_lshlrev_b64 v[32:33], v32, v[2:3]
	s_delay_alu instid0(VALU_DEP_1)
	v_and_b32_e32 v2, 7, v32
; %bb.146:                              ;   in Loop: Header=BB289_104 Depth=1
	s_or_b32 exec_lo, exec_lo, s21
	v_lshlrev_b32_e32 v31, 8, v31
	v_lshl_add_u32 v30, v30, 10, 0x2000
	s_delay_alu instid0(VALU_DEP_1) | instskip(NEXT) | instid1(VALU_DEP_1)
	v_and_or_b32 v30, 0x8000, v31, v30
	v_lshl_or_b32 v2, v2, 7, v30
	s_delay_alu instid0(VALU_DEP_1)
	v_cvt_f32_f16_e32 v30, v2
.LBB289_147:                            ;   in Loop: Header=BB289_104 Depth=1
	s_or_b32 exec_lo, exec_lo, s20
.LBB289_148:                            ;   in Loop: Header=BB289_104 Depth=1
	s_delay_alu instid0(SALU_CYCLE_1)
	s_or_b32 exec_lo, exec_lo, s18
.LBB289_149:                            ;   in Loop: Header=BB289_104 Depth=1
	s_delay_alu instid0(SALU_CYCLE_1) | instskip(SKIP_3) | instid1(VALU_DEP_2)
	s_or_b32 exec_lo, exec_lo, s17
	v_lshrrev_b32_e32 v33, 16, v9
	v_mov_b32_e32 v32, 0
	s_mov_b32 s17, exec_lo
	v_dual_mov_b32 v31, 0 :: v_dual_and_b32 v2, 0xff, v33
	s_delay_alu instid0(VALU_DEP_1)
	v_cmpx_ne_u16_e32 0, v2
	s_cbranch_execz .LBB289_157
; %bb.150:                              ;   in Loop: Header=BB289_104 Depth=1
	v_bfrev_b32_e32 v31, 1
	s_mov_b32 s18, exec_lo
	v_cmpx_ne_u16_e32 0x80, v2
	s_cbranch_execz .LBB289_156
; %bb.151:                              ;   in Loop: Header=BB289_104 Depth=1
	v_bfe_u32 v34, v9, 16, 7
	v_mov_b32_e32 v31, 0x7fc02000
	s_mov_b32 s20, exec_lo
	s_delay_alu instid0(VALU_DEP_2)
	v_cmpx_ne_u32_e32 0x7f, v34
	s_cbranch_execz .LBB289_155
; %bb.152:                              ;   in Loop: Header=BB289_104 Depth=1
	v_and_b32_e32 v2, 7, v33
	v_lshrrev_b32_e32 v31, 3, v34
	s_mov_b32 s21, exec_lo
	v_cmpx_gt_u32_e32 8, v34
; %bb.153:                              ;   in Loop: Header=BB289_104 Depth=1
	s_delay_alu instid0(VALU_DEP_3) | instskip(NEXT) | instid1(VALU_DEP_1)
	v_clz_i32_u32_e32 v31, v2
	v_min_u32_e32 v31, 32, v31
	s_delay_alu instid0(VALU_DEP_1) | instskip(SKIP_1) | instid1(VALU_DEP_2)
	v_subrev_nc_u32_e32 v34, 28, v31
	v_sub_nc_u32_e32 v31, 29, v31
	v_lshlrev_b64 v[34:35], v34, v[2:3]
	s_delay_alu instid0(VALU_DEP_1)
	v_and_b32_e32 v2, 7, v34
; %bb.154:                              ;   in Loop: Header=BB289_104 Depth=1
	s_or_b32 exec_lo, exec_lo, s21
	v_lshlrev_b32_e32 v33, 8, v33
	v_lshl_add_u32 v31, v31, 10, 0x2000
	s_delay_alu instid0(VALU_DEP_1) | instskip(NEXT) | instid1(VALU_DEP_1)
	v_and_or_b32 v31, 0x8000, v33, v31
	v_lshl_or_b32 v2, v2, 7, v31
	s_delay_alu instid0(VALU_DEP_1)
	v_cvt_f32_f16_e32 v31, v2
.LBB289_155:                            ;   in Loop: Header=BB289_104 Depth=1
	s_or_b32 exec_lo, exec_lo, s20
.LBB289_156:                            ;   in Loop: Header=BB289_104 Depth=1
	s_delay_alu instid0(SALU_CYCLE_1)
	s_or_b32 exec_lo, exec_lo, s18
.LBB289_157:                            ;   in Loop: Header=BB289_104 Depth=1
	s_delay_alu instid0(SALU_CYCLE_1) | instskip(NEXT) | instid1(SALU_CYCLE_1)
	s_or_b32 exec_lo, exec_lo, s17
	s_mov_b32 s17, exec_lo
	v_cmpx_lt_u64_e64 s[2:3], v[8:9]
	s_cbranch_execz .LBB289_165
; %bb.158:                              ;   in Loop: Header=BB289_104 Depth=1
	v_lshrrev_b32_e32 v8, 24, v9
	v_bfrev_b32_e32 v32, 1
	s_mov_b32 s18, exec_lo
	s_delay_alu instid0(VALU_DEP_2)
	v_cmpx_ne_u32_e32 0x80, v8
	s_cbranch_execz .LBB289_164
; %bb.159:                              ;   in Loop: Header=BB289_104 Depth=1
	v_and_b32_e32 v33, 0x7f, v8
	v_mov_b32_e32 v32, 0x7fc02000
	s_mov_b32 s20, exec_lo
	s_delay_alu instid0(VALU_DEP_2)
	v_cmpx_ne_u32_e32 0x7f, v33
	s_cbranch_execz .LBB289_163
; %bb.160:                              ;   in Loop: Header=BB289_104 Depth=1
	v_and_b32_e32 v2, 7, v8
	v_lshrrev_b32_e32 v9, 3, v33
	s_mov_b32 s21, exec_lo
	v_cmpx_gt_u32_e32 8, v33
; %bb.161:                              ;   in Loop: Header=BB289_104 Depth=1
	s_delay_alu instid0(VALU_DEP_3) | instskip(NEXT) | instid1(VALU_DEP_1)
	v_clz_i32_u32_e32 v9, v2
	v_min_u32_e32 v9, 32, v9
	s_delay_alu instid0(VALU_DEP_1) | instskip(SKIP_1) | instid1(VALU_DEP_2)
	v_subrev_nc_u32_e32 v32, 28, v9
	v_sub_nc_u32_e32 v9, 29, v9
	v_lshlrev_b64 v[32:33], v32, v[2:3]
	s_delay_alu instid0(VALU_DEP_1)
	v_and_b32_e32 v2, 7, v32
; %bb.162:                              ;   in Loop: Header=BB289_104 Depth=1
	s_or_b32 exec_lo, exec_lo, s21
	v_lshlrev_b32_e32 v8, 8, v8
	v_lshl_add_u32 v9, v9, 10, 0x2000
	s_delay_alu instid0(VALU_DEP_1) | instskip(NEXT) | instid1(VALU_DEP_1)
	v_and_or_b32 v8, 0x8000, v8, v9
	v_lshl_or_b32 v2, v2, 7, v8
	s_delay_alu instid0(VALU_DEP_1)
	v_cvt_f32_f16_e32 v32, v2
.LBB289_163:                            ;   in Loop: Header=BB289_104 Depth=1
	s_or_b32 exec_lo, exec_lo, s20
.LBB289_164:                            ;   in Loop: Header=BB289_104 Depth=1
	s_delay_alu instid0(SALU_CYCLE_1)
	s_or_b32 exec_lo, exec_lo, s18
.LBB289_165:                            ;   in Loop: Header=BB289_104 Depth=1
	s_delay_alu instid0(SALU_CYCLE_1)
	s_or_b32 exec_lo, exec_lo, s17
	s_waitcnt vmcnt(0)
	v_fma_mixlo_f16 v9, v24, v26, 0
	v_fma_mixlo_f16 v2, v24, v28, 0
	;; [unrolled: 1-line block ×5, first 2 shown]
	v_lshlrev_b32_e32 v26, 16, v9
	v_fma_mixlo_f16 v9, v24, v25, 0
	v_fma_mixlo_f16 v25, v24, v30, 0
	;; [unrolled: 1-line block ×3, first 2 shown]
	v_lshlrev_b32_e32 v2, 16, v2
	v_and_b32_e32 v8, 0xffff, v8
	v_and_b32_e32 v29, 0xffff, v9
	v_lshlrev_b32_e32 v30, 16, v25
	v_and_b32_e32 v27, 0xffff, v27
	v_lshlrev_b32_e32 v28, 16, v28
	v_and_b32_e32 v31, 0xffff, v24
	v_or_b32_e32 v9, v2, v8
	v_or_b32_e32 v25, v26, v29
	;; [unrolled: 1-line block ×3, first 2 shown]
	s_mov_b32 s17, exec_lo
	v_or_b32_e32 v8, v28, v31
	v_cmpx_eq_u32_e64 s38, v1
	s_cbranch_execz .LBB289_102
; %bb.166:                              ;   in Loop: Header=BB289_104 Depth=1
	v_add_nc_u32_e32 v26, 1, v12
	v_lshrrev_b32_e32 v27, 16, v25
	v_or_b32_e32 v28, 3, v12
	v_lshrrev_b32_e32 v29, 16, v9
	v_lshrrev_b32_e32 v30, 16, v2
	v_cmp_gt_i32_e32 vcc_lo, s14, v26
	v_lshrrev_b32_e32 v8, 16, v8
	v_or_b32_e32 v31, 6, v12
	v_cndmask_b32_e32 v26, 0, v27, vcc_lo
	v_cmp_gt_i32_e32 vcc_lo, s15, v12
	v_or_b32_e32 v27, 2, v12
	v_cndmask_b32_e32 v25, 0, v25, vcc_lo
	v_cmp_gt_i32_e32 vcc_lo, s14, v28
	v_cndmask_b32_e32 v28, 0, v29, vcc_lo
	v_or_b32_e32 v29, 5, v12
	v_cmp_gt_i32_e32 vcc_lo, s15, v27
	v_or_b32_e32 v27, 4, v12
	v_cndmask_b32_e32 v9, 0, v9, vcc_lo
	s_delay_alu instid0(VALU_DEP_4)
	v_cmp_gt_i32_e32 vcc_lo, s14, v29
	v_perm_b32 v25, v26, v25, 0x5040100
	v_cndmask_b32_e32 v29, 0, v30, vcc_lo
	v_or_b32_e32 v30, 7, v12
	v_cmp_gt_i32_e32 vcc_lo, s15, v27
	v_perm_b32 v9, v28, v9, 0x5040100
	v_cndmask_b32_e32 v2, 0, v2, vcc_lo
	s_delay_alu instid0(VALU_DEP_4) | instskip(NEXT) | instid1(VALU_DEP_2)
	v_cmp_gt_i32_e32 vcc_lo, s14, v30
	v_perm_b32 v2, v29, v2, 0x5040100
	v_cndmask_b32_e32 v8, 0, v8, vcc_lo
	v_cmp_gt_i32_e32 vcc_lo, s15, v31
	v_cndmask_b32_e32 v24, 0, v24, vcc_lo
	s_delay_alu instid0(VALU_DEP_1)
	v_perm_b32 v8, v8, v24, 0x5040100
	s_branch .LBB289_102
.LBB289_167:
	s_or_b32 exec_lo, exec_lo, s9
.LBB289_168:
	s_delay_alu instid0(SALU_CYCLE_1)
	s_or_b32 exec_lo, exec_lo, s1
	v_and_b32_e32 v2, 0x3c0, v0
	v_lshl_add_u32 v1, v10, 2, 0x60
	s_mov_b32 s0, exec_lo
	s_waitcnt_vscnt null, 0x0
	s_barrier
	buffer_gl0_inv
	v_cmpx_eq_u32_e32 64, v2
	s_cbranch_execz .LBB289_170
; %bb.169:
	v_lshlrev_b32_e32 v2, 7, v11
	s_delay_alu instid0(VALU_DEP_1)
	v_add3_u32 v2, v1, v2, 0xffffff00
	ds_store_b32 v2, v13
.LBB289_170:
	s_or_b32 exec_lo, exec_lo, s0
	v_and_b32_e32 v3, 0x3e0, v0
	s_mov_b32 s0, exec_lo
	s_waitcnt lgkmcnt(0)
	s_barrier
	buffer_gl0_inv
	v_lshl_add_u32 v2, v3, 2, v1
	v_cmpx_gt_u32_e32 64, v0
	s_cbranch_execz .LBB289_172
; %bb.171:
	ds_load_b32 v4, v2
	s_waitcnt lgkmcnt(0)
	v_add_f32_e32 v13, v13, v4
.LBB289_172:
	s_or_b32 exec_lo, exec_lo, s0
	s_delay_alu instid0(SALU_CYCLE_1)
	s_mov_b32 s0, exec_lo
	s_barrier
	buffer_gl0_inv
	v_cmpx_eq_u32_e32 32, v3
	s_cbranch_execz .LBB289_174
; %bb.173:
	ds_store_b32 v1, v13
.LBB289_174:
	s_or_b32 exec_lo, exec_lo, s0
	v_cmp_gt_u32_e32 vcc_lo, 32, v0
	s_waitcnt lgkmcnt(0)
	s_barrier
	buffer_gl0_inv
	s_and_saveexec_b32 s0, vcc_lo
	s_cbranch_execz .LBB289_176
; %bb.175:
	ds_load_b32 v0, v2
	s_waitcnt lgkmcnt(0)
	v_add_f32_e32 v13, v13, v0
.LBB289_176:
	s_or_b32 exec_lo, exec_lo, s0
	s_barrier
	buffer_gl0_inv
	s_and_saveexec_b32 s0, vcc_lo
	s_cbranch_execz .LBB289_178
; %bb.177:
	s_lshl_b32 s0, s4, 5
	s_mul_i32 s2, s8, s24
	s_ashr_i32 s1, s0, 31
	v_lshlrev_b32_e32 v0, 1, v10
	s_lshl_b64 s[0:1], s[0:1], 1
	;;#ASMSTART
	v_cvt_f16_f32 v1, v13;

	;;#ASMEND
	s_add_u32 s4, s26, s0
	s_addc_u32 s5, s27, s1
	s_ashr_i32 s3, s2, 31
	s_delay_alu instid0(SALU_CYCLE_1) | instskip(NEXT) | instid1(SALU_CYCLE_1)
	s_lshl_b64 s[0:1], s[2:3], 1
	s_add_u32 s2, s4, s0
	s_addc_u32 s3, s5, s1
	s_lshl_b32 s0, s12, 5
	s_delay_alu instid0(SALU_CYCLE_1) | instskip(NEXT) | instid1(SALU_CYCLE_1)
	s_ashr_i32 s1, s0, 31
	s_lshl_b64 s[0:1], s[0:1], 1
	s_delay_alu instid0(SALU_CYCLE_1)
	s_add_u32 s0, s2, s0
	s_addc_u32 s1, s3, s1
	global_store_b16 v0, v1, s[0:1]
.LBB289_178:
	s_nop 0
	s_sendmsg sendmsg(MSG_DEALLOC_VGPRS)
	s_endpgm
	.section	.rodata,"a",@progbits
	.p2align	6, 0x0
	.amdhsa_kernel _ZN4vllm25paged_attention_v2_kernelIthLi32ELi8ELi128ELNS_18Fp8KVCacheDataTypeE1ELb1ELi512EEEvPfS2_PT_PKS3_PKT0_S9_ifPKiSB_iPKfiiiSD_SD_iiiii
		.amdhsa_group_segment_fixed_size 96
		.amdhsa_private_segment_fixed_size 0
		.amdhsa_kernarg_size 400
		.amdhsa_user_sgpr_count 13
		.amdhsa_user_sgpr_dispatch_ptr 0
		.amdhsa_user_sgpr_queue_ptr 0
		.amdhsa_user_sgpr_kernarg_segment_ptr 1
		.amdhsa_user_sgpr_dispatch_id 0
		.amdhsa_user_sgpr_private_segment_size 0
		.amdhsa_wavefront_size32 1
		.amdhsa_uses_dynamic_stack 0
		.amdhsa_enable_private_segment 0
		.amdhsa_system_sgpr_workgroup_id_x 1
		.amdhsa_system_sgpr_workgroup_id_y 1
		.amdhsa_system_sgpr_workgroup_id_z 1
		.amdhsa_system_sgpr_workgroup_info 0
		.amdhsa_system_vgpr_workitem_id 0
		.amdhsa_next_free_vgpr 37
		.amdhsa_next_free_sgpr 52
		.amdhsa_reserve_vcc 1
		.amdhsa_float_round_mode_32 0
		.amdhsa_float_round_mode_16_64 0
		.amdhsa_float_denorm_mode_32 3
		.amdhsa_float_denorm_mode_16_64 3
		.amdhsa_dx10_clamp 1
		.amdhsa_ieee_mode 1
		.amdhsa_fp16_overflow 0
		.amdhsa_workgroup_processor_mode 1
		.amdhsa_memory_ordered 1
		.amdhsa_forward_progress 0
		.amdhsa_shared_vgpr_count 0
		.amdhsa_exception_fp_ieee_invalid_op 0
		.amdhsa_exception_fp_denorm_src 0
		.amdhsa_exception_fp_ieee_div_zero 0
		.amdhsa_exception_fp_ieee_overflow 0
		.amdhsa_exception_fp_ieee_underflow 0
		.amdhsa_exception_fp_ieee_inexact 0
		.amdhsa_exception_int_div_zero 0
	.end_amdhsa_kernel
	.section	.text._ZN4vllm25paged_attention_v2_kernelIthLi32ELi8ELi128ELNS_18Fp8KVCacheDataTypeE1ELb1ELi512EEEvPfS2_PT_PKS3_PKT0_S9_ifPKiSB_iPKfiiiSD_SD_iiiii,"axG",@progbits,_ZN4vllm25paged_attention_v2_kernelIthLi32ELi8ELi128ELNS_18Fp8KVCacheDataTypeE1ELb1ELi512EEEvPfS2_PT_PKS3_PKT0_S9_ifPKiSB_iPKfiiiSD_SD_iiiii,comdat
.Lfunc_end289:
	.size	_ZN4vllm25paged_attention_v2_kernelIthLi32ELi8ELi128ELNS_18Fp8KVCacheDataTypeE1ELb1ELi512EEEvPfS2_PT_PKS3_PKT0_S9_ifPKiSB_iPKfiiiSD_SD_iiiii, .Lfunc_end289-_ZN4vllm25paged_attention_v2_kernelIthLi32ELi8ELi128ELNS_18Fp8KVCacheDataTypeE1ELb1ELi512EEEvPfS2_PT_PKS3_PKT0_S9_ifPKiSB_iPKfiiiSD_SD_iiiii
                                        ; -- End function
	.section	.AMDGPU.csdata,"",@progbits
; Kernel info:
; codeLenInByte = 8708
; NumSgprs: 54
; NumVgprs: 37
; ScratchSize: 0
; MemoryBound: 0
; FloatMode: 240
; IeeeMode: 1
; LDSByteSize: 96 bytes/workgroup (compile time only)
; SGPRBlocks: 6
; VGPRBlocks: 4
; NumSGPRsForWavesPerEU: 54
; NumVGPRsForWavesPerEU: 37
; Occupancy: 16
; WaveLimiterHint : 1
; COMPUTE_PGM_RSRC2:SCRATCH_EN: 0
; COMPUTE_PGM_RSRC2:USER_SGPR: 13
; COMPUTE_PGM_RSRC2:TRAP_HANDLER: 0
; COMPUTE_PGM_RSRC2:TGID_X_EN: 1
; COMPUTE_PGM_RSRC2:TGID_Y_EN: 1
; COMPUTE_PGM_RSRC2:TGID_Z_EN: 1
; COMPUTE_PGM_RSRC2:TIDIG_COMP_CNT: 0
	.section	.text._ZN4vllm25paged_attention_v2_kernelIthLi64ELi8ELi128ELNS_18Fp8KVCacheDataTypeE1ELb1ELi512EEEvPfS2_PT_PKS3_PKT0_S9_ifPKiSB_iPKfiiiSD_SD_iiiii,"axG",@progbits,_ZN4vllm25paged_attention_v2_kernelIthLi64ELi8ELi128ELNS_18Fp8KVCacheDataTypeE1ELb1ELi512EEEvPfS2_PT_PKS3_PKT0_S9_ifPKiSB_iPKfiiiSD_SD_iiiii,comdat
	.protected	_ZN4vllm25paged_attention_v2_kernelIthLi64ELi8ELi128ELNS_18Fp8KVCacheDataTypeE1ELb1ELi512EEEvPfS2_PT_PKS3_PKT0_S9_ifPKiSB_iPKfiiiSD_SD_iiiii ; -- Begin function _ZN4vllm25paged_attention_v2_kernelIthLi64ELi8ELi128ELNS_18Fp8KVCacheDataTypeE1ELb1ELi512EEEvPfS2_PT_PKS3_PKT0_S9_ifPKiSB_iPKfiiiSD_SD_iiiii
	.globl	_ZN4vllm25paged_attention_v2_kernelIthLi64ELi8ELi128ELNS_18Fp8KVCacheDataTypeE1ELb1ELi512EEEvPfS2_PT_PKS3_PKT0_S9_ifPKiSB_iPKfiiiSD_SD_iiiii
	.p2align	8
	.type	_ZN4vllm25paged_attention_v2_kernelIthLi64ELi8ELi128ELNS_18Fp8KVCacheDataTypeE1ELb1ELi512EEEvPfS2_PT_PKS3_PKT0_S9_ifPKiSB_iPKfiiiSD_SD_iiiii,@function
_ZN4vllm25paged_attention_v2_kernelIthLi64ELi8ELi128ELNS_18Fp8KVCacheDataTypeE1ELb1ELi512EEEvPfS2_PT_PKS3_PKT0_S9_ifPKiSB_iPKfiiiSD_SD_iiiii: ; @_ZN4vllm25paged_attention_v2_kernelIthLi64ELi8ELi128ELNS_18Fp8KVCacheDataTypeE1ELb1ELi512EEEvPfS2_PT_PKS3_PKT0_S9_ifPKiSB_iPKfiiiSD_SD_iiiii
; %bb.0:
	s_load_b64 s[2:3], s[0:1], 0x40
	s_mov_b32 s26, s15
	s_ashr_i32 s15, s14, 31
	s_delay_alu instid0(SALU_CYCLE_1)
	s_lshl_b64 s[4:5], s[14:15], 2
	s_waitcnt lgkmcnt(0)
	s_add_u32 s2, s2, s4
	s_addc_u32 s3, s3, s5
	s_lshl_b32 s41, s26, 9
	s_load_b32 s15, s[2:3], 0x0
	s_waitcnt lgkmcnt(0)
	s_cmp_ge_i32 s41, s15
	s_cbranch_scc1 .LBB290_304
; %bb.1:
	s_clause 0x1
	s_load_b32 s27, s[0:1], 0x90
	s_load_b64 s[38:39], s[0:1], 0x30
	s_mov_b32 s28, s13
	s_mov_b32 s45, 0
	s_waitcnt lgkmcnt(0)
	s_abs_i32 s5, s27
	s_abs_i32 s2, s38
	s_delay_alu instid0(SALU_CYCLE_1) | instskip(SKIP_1) | instid1(VALU_DEP_1)
	v_cvt_f32_u32_e32 v1, s2
	s_sub_i32 s4, 0, s2
	v_rcp_iflag_f32_e32 v1, v1
	s_waitcnt_depctr 0xfff
	v_mul_f32_e32 v1, 0x4f7ffffe, v1
	s_delay_alu instid0(VALU_DEP_1) | instskip(NEXT) | instid1(VALU_DEP_1)
	v_cvt_u32_f32_e32 v1, v1
	v_readfirstlane_b32 s3, v1
	s_delay_alu instid0(VALU_DEP_1) | instskip(NEXT) | instid1(SALU_CYCLE_1)
	s_mul_i32 s4, s4, s3
	s_mul_hi_u32 s4, s3, s4
	s_delay_alu instid0(SALU_CYCLE_1) | instskip(SKIP_4) | instid1(SALU_CYCLE_1)
	s_add_i32 s3, s3, s4
	s_xor_b32 s4, s27, s38
	s_mul_hi_u32 s3, s5, s3
	s_ashr_i32 s4, s4, 31
	s_mul_i32 s6, s3, s2
	s_sub_i32 s5, s5, s6
	s_add_i32 s6, s3, 1
	s_sub_i32 s7, s5, s2
	s_cmp_ge_u32 s5, s2
	s_cselect_b32 s3, s6, s3
	s_cselect_b32 s5, s7, s5
	s_add_i32 s6, s3, 1
	s_cmp_ge_u32 s5, s2
	s_cselect_b32 s2, s6, s3
	s_abs_i32 s9, s13
	s_xor_b32 s2, s2, s4
	s_delay_alu instid0(SALU_CYCLE_1) | instskip(SKIP_2) | instid1(SALU_CYCLE_1)
	s_sub_i32 s11, s2, s4
	s_load_b64 s[2:3], s[0:1], 0x50
	s_abs_i32 s8, s11
	v_cvt_f32_u32_e32 v1, s8
	s_sub_i32 s5, 0, s8
	s_delay_alu instid0(VALU_DEP_1) | instskip(SKIP_2) | instid1(VALU_DEP_1)
	v_rcp_iflag_f32_e32 v1, v1
	s_waitcnt_depctr 0xfff
	v_mul_f32_e32 v1, 0x4f7ffffe, v1
	v_cvt_u32_f32_e32 v1, v1
	s_delay_alu instid0(VALU_DEP_1) | instskip(NEXT) | instid1(VALU_DEP_1)
	v_readfirstlane_b32 s4, v1
	s_mul_i32 s5, s5, s4
	s_delay_alu instid0(SALU_CYCLE_1) | instskip(NEXT) | instid1(SALU_CYCLE_1)
	s_mul_hi_u32 s5, s4, s5
	s_add_i32 s4, s4, s5
	s_waitcnt lgkmcnt(0)
	s_cmp_eq_u64 s[2:3], 0
	s_mul_hi_u32 s10, s9, s4
	s_cbranch_scc1 .LBB290_3
; %bb.2:
	s_ashr_i32 s29, s28, 31
	s_delay_alu instid0(SALU_CYCLE_1) | instskip(NEXT) | instid1(SALU_CYCLE_1)
	s_lshl_b64 s[4:5], s[28:29], 2
	s_add_u32 s2, s2, s4
	s_addc_u32 s3, s3, s5
	s_load_b32 s45, s[2:3], 0x0
.LBB290_3:
	s_load_b128 s[4:7], s[0:1], 0x58
	v_and_b32_e32 v3, 3, v0
	v_cmp_gt_u32_e64 s2, 32, v0
	s_ashr_i32 s3, s28, 31
	s_waitcnt lgkmcnt(0)
	s_ashr_i32 s7, s11, 31
	s_lshl_b32 s12, s28, 6
	s_and_saveexec_b32 s11, s2
	s_cbranch_execz .LBB290_5
; %bb.4:
	s_load_b64 s[16:17], s[0:1], 0x18
	s_mul_i32 s18, s14, s4
	v_lshlrev_b32_e32 v1, 2, v0
	s_ashr_i32 s19, s18, 31
	v_and_b32_e32 v2, 0x3fc, v0
	s_lshl_b64 s[18:19], s[18:19], 1
	s_delay_alu instid0(VALU_DEP_1) | instskip(SKIP_4) | instid1(SALU_CYCLE_1)
	v_lshl_add_u32 v2, v3, 5, v2
	s_waitcnt lgkmcnt(0)
	s_add_u32 s4, s16, s18
	s_addc_u32 s18, s17, s19
	s_ashr_i32 s13, s12, 31
	s_lshl_b64 s[16:17], s[12:13], 1
	s_delay_alu instid0(SALU_CYCLE_1)
	s_add_u32 s16, s4, s16
	s_addc_u32 s17, s18, s17
	global_load_b32 v1, v1, s[16:17]
	s_waitcnt vmcnt(0)
	ds_store_b32 v2, v1
.LBB290_5:
	s_or_b32 exec_lo, exec_lo, s11
	s_load_b128 s[16:19], s[0:1], 0x78
	s_mul_i32 s4, s10, s8
	s_xor_b32 s3, s3, s7
	s_sub_i32 s4, s9, s4
	s_add_i32 s7, s10, 1
	s_sub_i32 s9, s4, s8
	s_cmp_ge_u32 s4, s8
	s_waitcnt lgkmcnt(0)
	s_cselect_b32 s7, s7, s10
	s_cselect_b32 s4, s9, s4
	s_add_i32 s9, s7, 1
	s_cmp_ge_u32 s4, s8
	s_barrier
	s_cselect_b32 s4, s9, s7
	s_load_b32 s7, s[0:1], 0x88
	s_xor_b32 s4, s4, s3
	s_add_i32 s8, s15, -1
	s_sub_i32 s43, s4, s3
	s_abs_i32 s4, s8
	s_mov_b32 s9, -1
	s_abs_i32 s29, s19
	s_waitcnt lgkmcnt(0)
	buffer_gl0_inv
	v_cvt_f32_u32_e32 v1, s29
	s_sub_i32 s3, 0, s29
                                        ; implicit-def: $sgpr40
	s_delay_alu instid0(VALU_DEP_1) | instskip(SKIP_2) | instid1(VALU_DEP_1)
	v_rcp_iflag_f32_e32 v1, v1
	s_waitcnt_depctr 0xfff
	v_mul_f32_e32 v1, 0x4f7ffffe, v1
	v_cvt_u32_f32_e32 v1, v1
	s_delay_alu instid0(VALU_DEP_1) | instskip(NEXT) | instid1(VALU_DEP_1)
	v_readfirstlane_b32 s33, v1
	s_mul_i32 s3, s3, s33
	s_delay_alu instid0(SALU_CYCLE_1) | instskip(NEXT) | instid1(SALU_CYCLE_1)
	s_mul_hi_u32 s3, s33, s3
	s_add_i32 s33, s33, s3
	s_cmp_lt_i32 s7, 0
	s_mul_hi_u32 s3, s4, s33
	s_cbranch_scc0 .LBB290_7
; %bb.6:
	s_mul_i32 s9, s16, s38
	s_delay_alu instid0(SALU_CYCLE_1) | instskip(NEXT) | instid1(SALU_CYCLE_1)
	s_add_i32 s9, s43, s9
	s_mul_i32 s9, s9, s7
	s_delay_alu instid0(SALU_CYCLE_1)
	s_sub_i32 s40, 1, s9
	s_mov_b32 s9, 0
.LBB290_7:
	s_load_b64 s[30:31], s[0:1], 0x38
	s_ashr_i32 s34, s8, 31
	s_and_not1_b32 vcc_lo, exec_lo, s9
	s_ashr_i32 s19, s19, 31
	s_cbranch_vccnz .LBB290_9
; %bb.8:
	s_mul_i32 s8, s27, s16
	s_delay_alu instid0(SALU_CYCLE_1) | instskip(NEXT) | instid1(SALU_CYCLE_1)
	s_add_i32 s8, s8, s28
	s_mul_i32 s7, s8, s7
	s_delay_alu instid0(SALU_CYCLE_1)
	s_add_i32 s40, s7, 1
.LBB290_9:
	s_clause 0x5
	s_load_b32 s7, s[0:1], 0x48
	s_load_b64 s[36:37], s[0:1], 0x28
	s_load_b128 s[20:23], s[0:1], 0x0
	s_load_b64 s[24:25], s[0:1], 0x10
	s_load_b32 s13, s[0:1], 0x98
	s_load_b128 s[8:11], s[0:1], 0x68
	s_mul_i32 s16, s3, s29
	s_xor_b32 s44, s34, s19
	s_sub_i32 s4, s4, s16
	s_add_i32 s38, s3, 1
	v_lshrrev_b32_e32 v12, 5, v0
	v_mov_b32_e32 v14, 0xff7fffff
	v_mbcnt_lo_u32_b32 v11, -1, 0
	s_mul_i32 s43, s43, s6
	s_delay_alu instid0(VALU_DEP_3)
	v_lshl_add_u32 v13, v12, 3, s41
	s_waitcnt lgkmcnt(0)
	s_mul_i32 s34, s14, s7
	s_sub_i32 s7, s4, s29
	s_ashr_i32 s35, s34, 31
	s_cmp_ge_u32 s4, s29
	s_cselect_b32 s3, s38, s3
	s_cselect_b32 s4, s7, s4
	s_add_i32 s7, s3, 1
	s_cmp_ge_u32 s4, s29
	s_cselect_b32 s3, s7, s3
	s_add_i32 s4, s15, 7
	s_lshl_b32 s16, s26, 6
	s_ashr_i32 s7, s4, 31
	v_or_b32_e32 v1, s16, v12
	s_lshr_b32 s7, s7, 29
	s_delay_alu instid0(SALU_CYCLE_1)
	s_add_i32 s4, s4, s7
	s_add_i32 s7, s16, 64
	s_ashr_i32 s42, s4, 3
	s_xor_b32 s4, s3, s44
	s_min_i32 s38, s7, s42
	v_ashrrev_i32_e32 v2, 31, v1
	v_cmp_gt_i32_e64 s3, s38, v1
	s_sub_i32 s44, s4, s44
	s_delay_alu instid0(VALU_DEP_1)
	s_and_saveexec_b32 s6, s3
	s_cbranch_execz .LBB290_147
; %bb.10:
	s_load_b64 s[0:1], s[0:1], 0x20
	s_sub_i32 s7, s44, s17
	s_ashr_i32 s4, s43, 31
	v_cmp_eq_u32_e32 vcc_lo, 0, v3
	v_bfe_u32 v15, v0, 2, 3
	v_dual_mov_b32 v19, 0xff7fffff :: v_dual_lshlrev_b32 v16, 1, v3
	v_dual_mov_b32 v14, 0xff7fffff :: v_dual_lshlrev_b32 v17, 5, v3
	s_delay_alu instid0(VALU_DEP_3) | instskip(SKIP_3) | instid1(VALU_DEP_3)
	v_dual_mov_b32 v23, v1 :: v_dual_lshlrev_b32 v10, 4, v15
	v_subrev_nc_u32_e32 v6, s15, v15
	v_lshlrev_b64 v[7:8], 2, v[1:2]
	v_lshl_add_u32 v18, v12, 3, s41
	v_add_nc_u32_e32 v20, 1, v6
	s_waitcnt lgkmcnt(0)
	s_add_u32 s47, s0, s43
	s_addc_u32 s1, s1, s4
	s_abs_i32 s46, s18
	s_lshl_b64 s[48:49], s[34:35], 2
	v_cvt_f32_u32_e32 v4, s46
	s_sub_i32 s4, 0, s46
	v_cmp_neq_f32_e64 s0, s45, 0
	s_delay_alu instid0(VALU_DEP_2) | instskip(SKIP_2) | instid1(VALU_DEP_1)
	v_rcp_iflag_f32_e32 v5, v4
	s_waitcnt_depctr 0xfff
	v_dual_mov_b32 v4, 0 :: v_dual_mul_f32 v5, 0x4f7ffffe, v5
	v_cvt_u32_f32_e32 v3, v5
	v_lshlrev_b32_e32 v5, 2, v15
	s_delay_alu instid0(VALU_DEP_2) | instskip(NEXT) | instid1(VALU_DEP_2)
	v_mul_lo_u32 v9, s4, v3
	v_lshl_or_b32 v5, v12, 5, v5
	s_delay_alu instid0(VALU_DEP_1) | instskip(SKIP_1) | instid1(VALU_DEP_4)
	v_add_nc_u32_e32 v21, 0xa0, v5
	v_add_co_u32 v5, s4, s47, v10
	v_mul_hi_u32 v9, v3, v9
	v_add_co_ci_u32_e64 v6, null, s1, 0, s4
	s_add_u32 s1, s30, s48
	s_addc_u32 s4, s31, s49
	v_add_co_u32 v7, s1, s1, v7
	s_delay_alu instid0(VALU_DEP_1) | instskip(NEXT) | instid1(VALU_DEP_4)
	v_add_co_ci_u32_e64 v8, s1, s4, v8, s1
	v_add_nc_u32_e32 v22, v3, v9
	s_mov_b32 s47, 0
	s_mov_b32 s48, s5
	s_branch .LBB290_13
.LBB290_11:                             ;   in Loop: Header=BB290_13 Depth=1
	s_or_b32 exec_lo, exec_lo, s49
.LBB290_12:                             ;   in Loop: Header=BB290_13 Depth=1
	s_delay_alu instid0(SALU_CYCLE_1) | instskip(SKIP_2) | instid1(VALU_DEP_1)
	s_or_b32 exec_lo, exec_lo, s4
	v_add_nc_u32_e32 v23, 4, v23
	v_add_co_u32 v7, s4, v7, 16
	v_add_co_ci_u32_e64 v8, s4, 0, v8, s4
	s_delay_alu instid0(VALU_DEP_3) | instskip(SKIP_2) | instid1(VALU_DEP_3)
	v_cmp_le_i32_e64 s1, s38, v23
	v_add_nc_u32_e32 v18, 32, v18
	v_add_nc_u32_e32 v21, 0x80, v21
	s_or_b32 s47, s1, s47
	s_delay_alu instid0(SALU_CYCLE_1)
	s_and_not1_b32 exec_lo, exec_lo, s47
	s_cbranch_execz .LBB290_146
.LBB290_13:                             ; =>This Inner Loop Header: Depth=1
	v_sub_nc_u32_e32 v3, 0, v18
	s_delay_alu instid0(VALU_DEP_1) | instskip(SKIP_1) | instid1(VALU_DEP_1)
	v_max_i32_e32 v3, v18, v3
	s_waitcnt lgkmcnt(0)
	v_mul_hi_u32 v9, v3, s33
	s_delay_alu instid0(VALU_DEP_1) | instskip(NEXT) | instid1(VALU_DEP_1)
	v_mul_lo_u32 v10, v9, s29
	v_sub_nc_u32_e32 v3, v3, v10
	v_add_nc_u32_e32 v10, 1, v9
	s_delay_alu instid0(VALU_DEP_2) | instskip(SKIP_1) | instid1(VALU_DEP_1)
	v_subrev_nc_u32_e32 v24, s29, v3
	v_cmp_le_u32_e64 s1, s29, v3
	v_cndmask_b32_e64 v9, v9, v10, s1
	s_delay_alu instid0(VALU_DEP_3) | instskip(SKIP_1) | instid1(VALU_DEP_3)
	v_cndmask_b32_e64 v3, v3, v24, s1
	v_ashrrev_i32_e32 v10, 31, v18
	v_add_nc_u32_e32 v24, 1, v9
	s_delay_alu instid0(VALU_DEP_3) | instskip(NEXT) | instid1(VALU_DEP_3)
	v_cmp_le_u32_e64 s1, s29, v3
	v_xor_b32_e32 v10, s19, v10
	s_delay_alu instid0(VALU_DEP_2) | instskip(NEXT) | instid1(VALU_DEP_1)
	v_cndmask_b32_e64 v3, v9, v24, s1
	v_xor_b32_e32 v3, v3, v10
	s_delay_alu instid0(VALU_DEP_1) | instskip(NEXT) | instid1(VALU_DEP_1)
	v_sub_nc_u32_e32 v3, v3, v10
	v_add_nc_u32_e32 v9, s40, v3
	v_cmp_ge_i32_e64 s4, s7, v3
	s_delay_alu instid0(VALU_DEP_2) | instskip(NEXT) | instid1(VALU_DEP_1)
	v_sub_nc_u32_e32 v10, 0, v9
	v_max_i32_e32 v10, v9, v10
	v_ashrrev_i32_e32 v9, 31, v9
	s_delay_alu instid0(VALU_DEP_2) | instskip(NEXT) | instid1(VALU_DEP_1)
	v_mul_hi_u32 v24, v10, v22
	v_mul_lo_u32 v24, v24, s46
	s_delay_alu instid0(VALU_DEP_1) | instskip(NEXT) | instid1(VALU_DEP_1)
	v_sub_nc_u32_e32 v10, v10, v24
	v_subrev_nc_u32_e32 v24, s46, v10
	v_cmp_le_u32_e64 s1, s46, v10
	s_delay_alu instid0(VALU_DEP_1) | instskip(NEXT) | instid1(VALU_DEP_1)
	v_cndmask_b32_e64 v10, v10, v24, s1
	v_subrev_nc_u32_e32 v24, s46, v10
	v_cmp_le_u32_e64 s1, s46, v10
	s_delay_alu instid0(VALU_DEP_1) | instskip(NEXT) | instid1(VALU_DEP_1)
	v_cndmask_b32_e64 v10, v10, v24, s1
	v_xor_b32_e32 v10, v10, v9
	s_delay_alu instid0(VALU_DEP_1) | instskip(NEXT) | instid1(VALU_DEP_1)
	v_sub_nc_u32_e32 v9, v10, v9
	v_cmp_ne_u32_e64 s1, 0, v9
	s_delay_alu instid0(VALU_DEP_1) | instskip(NEXT) | instid1(SALU_CYCLE_1)
	s_and_b32 s1, s1, s4
	s_and_b32 s49, vcc_lo, s1
	s_delay_alu instid0(SALU_CYCLE_1)
	s_and_saveexec_b32 s4, s49
	s_cbranch_execz .LBB290_15
; %bb.14:                               ;   in Loop: Header=BB290_13 Depth=1
	ds_store_b32 v21, v19
.LBB290_15:                             ;   in Loop: Header=BB290_13 Depth=1
	s_or_b32 exec_lo, exec_lo, s4
	s_xor_b32 s1, s1, -1
	s_delay_alu instid0(SALU_CYCLE_1)
	s_and_saveexec_b32 s4, s1
	s_cbranch_execz .LBB290_12
; %bb.16:                               ;   in Loop: Header=BB290_13 Depth=1
	global_load_b32 v3, v[7:8], off
	v_mov_b32_e32 v25, 0
	s_waitcnt vmcnt(0)
	v_mad_i64_i32 v[9:10], null, v3, s48, v[5:6]
	s_delay_alu instid0(VALU_DEP_1) | instskip(NEXT) | instid1(VALU_DEP_1)
	v_add_co_u32 v9, s1, v9, v16
	v_add_co_ci_u32_e64 v10, s1, 0, v10, s1
	global_load_u16 v3, v[9:10], off
	global_load_b32 v24, v4, s[8:9]
	s_waitcnt vmcnt(1)
	v_and_b32_e32 v26, 0xff, v3
	v_and_b32_e32 v27, 0xffff, v3
	s_delay_alu instid0(VALU_DEP_2) | instskip(SKIP_1) | instid1(VALU_DEP_2)
	v_cmp_ne_u16_e64 s1, 0, v26
	v_mov_b32_e32 v26, 0
	s_and_saveexec_b32 s49, s1
	s_cbranch_execz .LBB290_24
; %bb.17:                               ;   in Loop: Header=BB290_13 Depth=1
	v_and_b32_e32 v3, 0xff, v27
	v_bfrev_b32_e32 v26, 1
	s_mov_b32 s50, exec_lo
	s_delay_alu instid0(VALU_DEP_2)
	v_cmpx_ne_u16_e32 0x80, v3
	s_cbranch_execz .LBB290_23
; %bb.18:                               ;   in Loop: Header=BB290_13 Depth=1
	v_and_b32_e32 v28, 0x7f, v27
	v_mov_b32_e32 v26, 0x7fc02000
	s_mov_b32 s51, exec_lo
	s_delay_alu instid0(VALU_DEP_2)
	v_cmpx_ne_u32_e32 0x7f, v28
	s_cbranch_execz .LBB290_22
; %bb.19:                               ;   in Loop: Header=BB290_13 Depth=1
	v_and_b32_e32 v3, 7, v27
	v_lshrrev_b32_e32 v26, 3, v28
	s_mov_b32 s52, exec_lo
	v_cmpx_gt_u32_e32 8, v28
; %bb.20:                               ;   in Loop: Header=BB290_13 Depth=1
	s_delay_alu instid0(VALU_DEP_3) | instskip(NEXT) | instid1(VALU_DEP_1)
	v_clz_i32_u32_e32 v26, v3
	v_min_u32_e32 v26, 32, v26
	s_delay_alu instid0(VALU_DEP_1) | instskip(SKIP_1) | instid1(VALU_DEP_2)
	v_subrev_nc_u32_e32 v28, 28, v26
	v_sub_nc_u32_e32 v26, 29, v26
	v_lshlrev_b64 v[28:29], v28, v[3:4]
	s_delay_alu instid0(VALU_DEP_1)
	v_and_b32_e32 v3, 7, v28
; %bb.21:                               ;   in Loop: Header=BB290_13 Depth=1
	s_or_b32 exec_lo, exec_lo, s52
	v_lshlrev_b32_e32 v28, 8, v27
	v_lshl_add_u32 v26, v26, 10, 0x2000
	s_delay_alu instid0(VALU_DEP_1) | instskip(NEXT) | instid1(VALU_DEP_1)
	v_and_or_b32 v26, 0x8000, v28, v26
	v_lshl_or_b32 v3, v3, 7, v26
	s_delay_alu instid0(VALU_DEP_1)
	v_cvt_f32_f16_e32 v26, v3
.LBB290_22:                             ;   in Loop: Header=BB290_13 Depth=1
	s_or_b32 exec_lo, exec_lo, s51
.LBB290_23:                             ;   in Loop: Header=BB290_13 Depth=1
	s_delay_alu instid0(SALU_CYCLE_1)
	s_or_b32 exec_lo, exec_lo, s50
.LBB290_24:                             ;   in Loop: Header=BB290_13 Depth=1
	s_delay_alu instid0(SALU_CYCLE_1) | instskip(SKIP_2) | instid1(VALU_DEP_1)
	s_or_b32 exec_lo, exec_lo, s49
	v_lshrrev_b16 v3, 8, v27
	s_mov_b32 s49, exec_lo
	v_cmpx_ne_u16_e32 0, v3
	s_cbranch_execz .LBB290_32
; %bb.25:                               ;   in Loop: Header=BB290_13 Depth=1
	v_bfrev_b32_e32 v25, 1
	s_mov_b32 s50, exec_lo
	v_cmpx_ne_u16_e32 0x80, v3
	s_cbranch_execz .LBB290_31
; %bb.26:                               ;   in Loop: Header=BB290_13 Depth=1
	v_and_b32_e32 v27, 0xffff, v3
	v_mov_b32_e32 v25, 0x7fc02000
	s_mov_b32 s51, exec_lo
	s_delay_alu instid0(VALU_DEP_2) | instskip(NEXT) | instid1(VALU_DEP_1)
	v_and_b32_e32 v28, 0x7f, v27
	v_cmpx_ne_u32_e32 0x7f, v28
	s_cbranch_execz .LBB290_30
; %bb.27:                               ;   in Loop: Header=BB290_13 Depth=1
	v_and_b32_e32 v3, 7, v27
	v_lshrrev_b32_e32 v25, 3, v28
	s_mov_b32 s52, exec_lo
	v_cmpx_gt_u32_e32 8, v28
; %bb.28:                               ;   in Loop: Header=BB290_13 Depth=1
	s_delay_alu instid0(VALU_DEP_3) | instskip(NEXT) | instid1(VALU_DEP_1)
	v_clz_i32_u32_e32 v25, v3
	v_min_u32_e32 v25, 32, v25
	s_delay_alu instid0(VALU_DEP_1) | instskip(SKIP_1) | instid1(VALU_DEP_2)
	v_subrev_nc_u32_e32 v28, 28, v25
	v_sub_nc_u32_e32 v25, 29, v25
	v_lshlrev_b64 v[28:29], v28, v[3:4]
	s_delay_alu instid0(VALU_DEP_1)
	v_and_b32_e32 v3, 7, v28
; %bb.29:                               ;   in Loop: Header=BB290_13 Depth=1
	s_or_b32 exec_lo, exec_lo, s52
	v_lshlrev_b32_e32 v27, 8, v27
	v_lshl_add_u32 v25, v25, 10, 0x2000
	s_delay_alu instid0(VALU_DEP_1) | instskip(NEXT) | instid1(VALU_DEP_1)
	v_and_or_b32 v25, 0x8000, v27, v25
	v_lshl_or_b32 v3, v3, 7, v25
	s_delay_alu instid0(VALU_DEP_1)
	v_cvt_f32_f16_e32 v25, v3
.LBB290_30:                             ;   in Loop: Header=BB290_13 Depth=1
	s_or_b32 exec_lo, exec_lo, s51
.LBB290_31:                             ;   in Loop: Header=BB290_13 Depth=1
	s_delay_alu instid0(SALU_CYCLE_1)
	s_or_b32 exec_lo, exec_lo, s50
.LBB290_32:                             ;   in Loop: Header=BB290_13 Depth=1
	s_delay_alu instid0(SALU_CYCLE_1) | instskip(SKIP_4) | instid1(VALU_DEP_2)
	s_or_b32 exec_lo, exec_lo, s49
	global_load_u16 v3, v[9:10], off offset:8
	s_waitcnt vmcnt(0)
	v_dual_mov_b32 v27, 0 :: v_dual_and_b32 v28, 0xff, v3
	v_and_b32_e32 v29, 0xffff, v3
	v_cmp_ne_u16_e64 s1, 0, v28
	v_mov_b32_e32 v28, 0
	s_delay_alu instid0(VALU_DEP_2)
	s_and_saveexec_b32 s49, s1
	s_cbranch_execz .LBB290_40
; %bb.33:                               ;   in Loop: Header=BB290_13 Depth=1
	v_and_b32_e32 v3, 0xff, v29
	v_bfrev_b32_e32 v28, 1
	s_mov_b32 s50, exec_lo
	s_delay_alu instid0(VALU_DEP_2)
	v_cmpx_ne_u16_e32 0x80, v3
	s_cbranch_execz .LBB290_39
; %bb.34:                               ;   in Loop: Header=BB290_13 Depth=1
	v_and_b32_e32 v30, 0x7f, v29
	v_mov_b32_e32 v28, 0x7fc02000
	s_mov_b32 s51, exec_lo
	s_delay_alu instid0(VALU_DEP_2)
	v_cmpx_ne_u32_e32 0x7f, v30
	s_cbranch_execz .LBB290_38
; %bb.35:                               ;   in Loop: Header=BB290_13 Depth=1
	v_and_b32_e32 v3, 7, v29
	v_lshrrev_b32_e32 v28, 3, v30
	s_mov_b32 s52, exec_lo
	v_cmpx_gt_u32_e32 8, v30
; %bb.36:                               ;   in Loop: Header=BB290_13 Depth=1
	s_delay_alu instid0(VALU_DEP_3) | instskip(NEXT) | instid1(VALU_DEP_1)
	v_clz_i32_u32_e32 v28, v3
	v_min_u32_e32 v28, 32, v28
	s_delay_alu instid0(VALU_DEP_1) | instskip(SKIP_1) | instid1(VALU_DEP_2)
	v_subrev_nc_u32_e32 v30, 28, v28
	v_sub_nc_u32_e32 v28, 29, v28
	v_lshlrev_b64 v[30:31], v30, v[3:4]
	s_delay_alu instid0(VALU_DEP_1)
	v_and_b32_e32 v3, 7, v30
; %bb.37:                               ;   in Loop: Header=BB290_13 Depth=1
	s_or_b32 exec_lo, exec_lo, s52
	v_lshlrev_b32_e32 v30, 8, v29
	v_lshl_add_u32 v28, v28, 10, 0x2000
	s_delay_alu instid0(VALU_DEP_1) | instskip(NEXT) | instid1(VALU_DEP_1)
	v_and_or_b32 v28, 0x8000, v30, v28
	v_lshl_or_b32 v3, v3, 7, v28
	s_delay_alu instid0(VALU_DEP_1)
	v_cvt_f32_f16_e32 v28, v3
.LBB290_38:                             ;   in Loop: Header=BB290_13 Depth=1
	s_or_b32 exec_lo, exec_lo, s51
.LBB290_39:                             ;   in Loop: Header=BB290_13 Depth=1
	s_delay_alu instid0(SALU_CYCLE_1)
	s_or_b32 exec_lo, exec_lo, s50
.LBB290_40:                             ;   in Loop: Header=BB290_13 Depth=1
	s_delay_alu instid0(SALU_CYCLE_1) | instskip(SKIP_2) | instid1(VALU_DEP_1)
	s_or_b32 exec_lo, exec_lo, s49
	v_lshrrev_b16 v3, 8, v29
	s_mov_b32 s49, exec_lo
	v_cmpx_ne_u16_e32 0, v3
	s_cbranch_execz .LBB290_48
; %bb.41:                               ;   in Loop: Header=BB290_13 Depth=1
	v_bfrev_b32_e32 v27, 1
	s_mov_b32 s50, exec_lo
	v_cmpx_ne_u16_e32 0x80, v3
	s_cbranch_execz .LBB290_47
; %bb.42:                               ;   in Loop: Header=BB290_13 Depth=1
	v_and_b32_e32 v29, 0xffff, v3
	v_mov_b32_e32 v27, 0x7fc02000
	s_mov_b32 s51, exec_lo
	s_delay_alu instid0(VALU_DEP_2) | instskip(NEXT) | instid1(VALU_DEP_1)
	v_and_b32_e32 v30, 0x7f, v29
	v_cmpx_ne_u32_e32 0x7f, v30
	s_cbranch_execz .LBB290_46
; %bb.43:                               ;   in Loop: Header=BB290_13 Depth=1
	v_and_b32_e32 v3, 7, v29
	v_lshrrev_b32_e32 v27, 3, v30
	s_mov_b32 s52, exec_lo
	v_cmpx_gt_u32_e32 8, v30
; %bb.44:                               ;   in Loop: Header=BB290_13 Depth=1
	s_delay_alu instid0(VALU_DEP_3) | instskip(NEXT) | instid1(VALU_DEP_1)
	v_clz_i32_u32_e32 v27, v3
	v_min_u32_e32 v27, 32, v27
	s_delay_alu instid0(VALU_DEP_1) | instskip(SKIP_1) | instid1(VALU_DEP_2)
	v_subrev_nc_u32_e32 v30, 28, v27
	v_sub_nc_u32_e32 v27, 29, v27
	v_lshlrev_b64 v[30:31], v30, v[3:4]
	s_delay_alu instid0(VALU_DEP_1)
	v_and_b32_e32 v3, 7, v30
; %bb.45:                               ;   in Loop: Header=BB290_13 Depth=1
	s_or_b32 exec_lo, exec_lo, s52
	v_lshlrev_b32_e32 v29, 8, v29
	v_lshl_add_u32 v27, v27, 10, 0x2000
	s_delay_alu instid0(VALU_DEP_1) | instskip(NEXT) | instid1(VALU_DEP_1)
	v_and_or_b32 v27, 0x8000, v29, v27
	v_lshl_or_b32 v3, v3, 7, v27
	s_delay_alu instid0(VALU_DEP_1)
	v_cvt_f32_f16_e32 v27, v3
.LBB290_46:                             ;   in Loop: Header=BB290_13 Depth=1
	s_or_b32 exec_lo, exec_lo, s51
.LBB290_47:                             ;   in Loop: Header=BB290_13 Depth=1
	s_delay_alu instid0(SALU_CYCLE_1)
	s_or_b32 exec_lo, exec_lo, s50
.LBB290_48:                             ;   in Loop: Header=BB290_13 Depth=1
	s_delay_alu instid0(SALU_CYCLE_1) | instskip(SKIP_4) | instid1(VALU_DEP_2)
	s_or_b32 exec_lo, exec_lo, s49
	global_load_u16 v3, v[9:10], off offset:128
	s_waitcnt vmcnt(0)
	v_dual_mov_b32 v29, 0 :: v_dual_and_b32 v30, 0xff, v3
	v_and_b32_e32 v31, 0xffff, v3
	v_cmp_ne_u16_e64 s1, 0, v30
	v_mov_b32_e32 v30, 0
	s_delay_alu instid0(VALU_DEP_2)
	s_and_saveexec_b32 s49, s1
	s_cbranch_execz .LBB290_56
; %bb.49:                               ;   in Loop: Header=BB290_13 Depth=1
	v_and_b32_e32 v3, 0xff, v31
	v_bfrev_b32_e32 v30, 1
	s_mov_b32 s50, exec_lo
	s_delay_alu instid0(VALU_DEP_2)
	v_cmpx_ne_u16_e32 0x80, v3
	s_cbranch_execz .LBB290_55
; %bb.50:                               ;   in Loop: Header=BB290_13 Depth=1
	v_and_b32_e32 v32, 0x7f, v31
	v_mov_b32_e32 v30, 0x7fc02000
	s_mov_b32 s51, exec_lo
	s_delay_alu instid0(VALU_DEP_2)
	v_cmpx_ne_u32_e32 0x7f, v32
	s_cbranch_execz .LBB290_54
; %bb.51:                               ;   in Loop: Header=BB290_13 Depth=1
	v_and_b32_e32 v3, 7, v31
	v_lshrrev_b32_e32 v30, 3, v32
	s_mov_b32 s52, exec_lo
	v_cmpx_gt_u32_e32 8, v32
; %bb.52:                               ;   in Loop: Header=BB290_13 Depth=1
	s_delay_alu instid0(VALU_DEP_3) | instskip(NEXT) | instid1(VALU_DEP_1)
	v_clz_i32_u32_e32 v30, v3
	v_min_u32_e32 v30, 32, v30
	s_delay_alu instid0(VALU_DEP_1) | instskip(SKIP_1) | instid1(VALU_DEP_2)
	v_subrev_nc_u32_e32 v32, 28, v30
	v_sub_nc_u32_e32 v30, 29, v30
	v_lshlrev_b64 v[32:33], v32, v[3:4]
	s_delay_alu instid0(VALU_DEP_1)
	v_and_b32_e32 v3, 7, v32
; %bb.53:                               ;   in Loop: Header=BB290_13 Depth=1
	s_or_b32 exec_lo, exec_lo, s52
	v_lshlrev_b32_e32 v32, 8, v31
	v_lshl_add_u32 v30, v30, 10, 0x2000
	s_delay_alu instid0(VALU_DEP_1) | instskip(NEXT) | instid1(VALU_DEP_1)
	v_and_or_b32 v30, 0x8000, v32, v30
	v_lshl_or_b32 v3, v3, 7, v30
	s_delay_alu instid0(VALU_DEP_1)
	v_cvt_f32_f16_e32 v30, v3
.LBB290_54:                             ;   in Loop: Header=BB290_13 Depth=1
	s_or_b32 exec_lo, exec_lo, s51
.LBB290_55:                             ;   in Loop: Header=BB290_13 Depth=1
	s_delay_alu instid0(SALU_CYCLE_1)
	s_or_b32 exec_lo, exec_lo, s50
.LBB290_56:                             ;   in Loop: Header=BB290_13 Depth=1
	s_delay_alu instid0(SALU_CYCLE_1) | instskip(SKIP_2) | instid1(VALU_DEP_1)
	s_or_b32 exec_lo, exec_lo, s49
	v_lshrrev_b16 v3, 8, v31
	s_mov_b32 s49, exec_lo
	v_cmpx_ne_u16_e32 0, v3
	s_cbranch_execz .LBB290_64
; %bb.57:                               ;   in Loop: Header=BB290_13 Depth=1
	v_bfrev_b32_e32 v29, 1
	s_mov_b32 s50, exec_lo
	v_cmpx_ne_u16_e32 0x80, v3
	s_cbranch_execz .LBB290_63
; %bb.58:                               ;   in Loop: Header=BB290_13 Depth=1
	v_and_b32_e32 v31, 0xffff, v3
	v_mov_b32_e32 v29, 0x7fc02000
	s_mov_b32 s51, exec_lo
	s_delay_alu instid0(VALU_DEP_2) | instskip(NEXT) | instid1(VALU_DEP_1)
	v_and_b32_e32 v32, 0x7f, v31
	v_cmpx_ne_u32_e32 0x7f, v32
	s_cbranch_execz .LBB290_62
; %bb.59:                               ;   in Loop: Header=BB290_13 Depth=1
	v_and_b32_e32 v3, 7, v31
	v_lshrrev_b32_e32 v29, 3, v32
	s_mov_b32 s52, exec_lo
	v_cmpx_gt_u32_e32 8, v32
; %bb.60:                               ;   in Loop: Header=BB290_13 Depth=1
	s_delay_alu instid0(VALU_DEP_3) | instskip(NEXT) | instid1(VALU_DEP_1)
	v_clz_i32_u32_e32 v29, v3
	v_min_u32_e32 v29, 32, v29
	s_delay_alu instid0(VALU_DEP_1) | instskip(SKIP_1) | instid1(VALU_DEP_2)
	v_subrev_nc_u32_e32 v32, 28, v29
	v_sub_nc_u32_e32 v29, 29, v29
	v_lshlrev_b64 v[32:33], v32, v[3:4]
	s_delay_alu instid0(VALU_DEP_1)
	v_and_b32_e32 v3, 7, v32
; %bb.61:                               ;   in Loop: Header=BB290_13 Depth=1
	s_or_b32 exec_lo, exec_lo, s52
	v_lshlrev_b32_e32 v31, 8, v31
	v_lshl_add_u32 v29, v29, 10, 0x2000
	s_delay_alu instid0(VALU_DEP_1) | instskip(NEXT) | instid1(VALU_DEP_1)
	v_and_or_b32 v29, 0x8000, v31, v29
	v_lshl_or_b32 v3, v3, 7, v29
	s_delay_alu instid0(VALU_DEP_1)
	v_cvt_f32_f16_e32 v29, v3
.LBB290_62:                             ;   in Loop: Header=BB290_13 Depth=1
	s_or_b32 exec_lo, exec_lo, s51
.LBB290_63:                             ;   in Loop: Header=BB290_13 Depth=1
	s_delay_alu instid0(SALU_CYCLE_1)
	s_or_b32 exec_lo, exec_lo, s50
.LBB290_64:                             ;   in Loop: Header=BB290_13 Depth=1
	s_delay_alu instid0(SALU_CYCLE_1) | instskip(SKIP_4) | instid1(VALU_DEP_2)
	s_or_b32 exec_lo, exec_lo, s49
	global_load_u16 v3, v[9:10], off offset:136
	s_waitcnt vmcnt(0)
	v_dual_mov_b32 v31, 0 :: v_dual_and_b32 v32, 0xff, v3
	v_and_b32_e32 v33, 0xffff, v3
	v_cmp_ne_u16_e64 s1, 0, v32
	v_mov_b32_e32 v32, 0
	s_delay_alu instid0(VALU_DEP_2)
	s_and_saveexec_b32 s49, s1
	s_cbranch_execz .LBB290_72
; %bb.65:                               ;   in Loop: Header=BB290_13 Depth=1
	v_and_b32_e32 v3, 0xff, v33
	v_bfrev_b32_e32 v32, 1
	s_mov_b32 s50, exec_lo
	s_delay_alu instid0(VALU_DEP_2)
	v_cmpx_ne_u16_e32 0x80, v3
	s_cbranch_execz .LBB290_71
; %bb.66:                               ;   in Loop: Header=BB290_13 Depth=1
	v_and_b32_e32 v34, 0x7f, v33
	v_mov_b32_e32 v32, 0x7fc02000
	s_mov_b32 s51, exec_lo
	s_delay_alu instid0(VALU_DEP_2)
	v_cmpx_ne_u32_e32 0x7f, v34
	s_cbranch_execz .LBB290_70
; %bb.67:                               ;   in Loop: Header=BB290_13 Depth=1
	v_and_b32_e32 v3, 7, v33
	v_lshrrev_b32_e32 v32, 3, v34
	s_mov_b32 s52, exec_lo
	v_cmpx_gt_u32_e32 8, v34
; %bb.68:                               ;   in Loop: Header=BB290_13 Depth=1
	s_delay_alu instid0(VALU_DEP_3) | instskip(NEXT) | instid1(VALU_DEP_1)
	v_clz_i32_u32_e32 v32, v3
	v_min_u32_e32 v32, 32, v32
	s_delay_alu instid0(VALU_DEP_1) | instskip(SKIP_1) | instid1(VALU_DEP_2)
	v_subrev_nc_u32_e32 v34, 28, v32
	v_sub_nc_u32_e32 v32, 29, v32
	v_lshlrev_b64 v[34:35], v34, v[3:4]
	s_delay_alu instid0(VALU_DEP_1)
	v_and_b32_e32 v3, 7, v34
; %bb.69:                               ;   in Loop: Header=BB290_13 Depth=1
	s_or_b32 exec_lo, exec_lo, s52
	v_lshlrev_b32_e32 v34, 8, v33
	v_lshl_add_u32 v32, v32, 10, 0x2000
	s_delay_alu instid0(VALU_DEP_1) | instskip(NEXT) | instid1(VALU_DEP_1)
	v_and_or_b32 v32, 0x8000, v34, v32
	v_lshl_or_b32 v3, v3, 7, v32
	s_delay_alu instid0(VALU_DEP_1)
	v_cvt_f32_f16_e32 v32, v3
.LBB290_70:                             ;   in Loop: Header=BB290_13 Depth=1
	s_or_b32 exec_lo, exec_lo, s51
.LBB290_71:                             ;   in Loop: Header=BB290_13 Depth=1
	s_delay_alu instid0(SALU_CYCLE_1)
	s_or_b32 exec_lo, exec_lo, s50
.LBB290_72:                             ;   in Loop: Header=BB290_13 Depth=1
	s_delay_alu instid0(SALU_CYCLE_1) | instskip(SKIP_2) | instid1(VALU_DEP_1)
	s_or_b32 exec_lo, exec_lo, s49
	v_lshrrev_b16 v3, 8, v33
	s_mov_b32 s49, exec_lo
	v_cmpx_ne_u16_e32 0, v3
	s_cbranch_execz .LBB290_80
; %bb.73:                               ;   in Loop: Header=BB290_13 Depth=1
	v_bfrev_b32_e32 v31, 1
	s_mov_b32 s50, exec_lo
	v_cmpx_ne_u16_e32 0x80, v3
	s_cbranch_execz .LBB290_79
; %bb.74:                               ;   in Loop: Header=BB290_13 Depth=1
	v_and_b32_e32 v33, 0xffff, v3
	v_mov_b32_e32 v31, 0x7fc02000
	s_mov_b32 s51, exec_lo
	s_delay_alu instid0(VALU_DEP_2) | instskip(NEXT) | instid1(VALU_DEP_1)
	v_and_b32_e32 v34, 0x7f, v33
	v_cmpx_ne_u32_e32 0x7f, v34
	s_cbranch_execz .LBB290_78
; %bb.75:                               ;   in Loop: Header=BB290_13 Depth=1
	v_and_b32_e32 v3, 7, v33
	v_lshrrev_b32_e32 v31, 3, v34
	s_mov_b32 s52, exec_lo
	v_cmpx_gt_u32_e32 8, v34
; %bb.76:                               ;   in Loop: Header=BB290_13 Depth=1
	s_delay_alu instid0(VALU_DEP_3) | instskip(NEXT) | instid1(VALU_DEP_1)
	v_clz_i32_u32_e32 v31, v3
	v_min_u32_e32 v31, 32, v31
	s_delay_alu instid0(VALU_DEP_1) | instskip(SKIP_1) | instid1(VALU_DEP_2)
	v_subrev_nc_u32_e32 v34, 28, v31
	v_sub_nc_u32_e32 v31, 29, v31
	v_lshlrev_b64 v[34:35], v34, v[3:4]
	s_delay_alu instid0(VALU_DEP_1)
	v_and_b32_e32 v3, 7, v34
; %bb.77:                               ;   in Loop: Header=BB290_13 Depth=1
	s_or_b32 exec_lo, exec_lo, s52
	v_lshlrev_b32_e32 v33, 8, v33
	v_lshl_add_u32 v31, v31, 10, 0x2000
	s_delay_alu instid0(VALU_DEP_1) | instskip(NEXT) | instid1(VALU_DEP_1)
	v_and_or_b32 v31, 0x8000, v33, v31
	v_lshl_or_b32 v3, v3, 7, v31
	s_delay_alu instid0(VALU_DEP_1)
	v_cvt_f32_f16_e32 v31, v3
.LBB290_78:                             ;   in Loop: Header=BB290_13 Depth=1
	s_or_b32 exec_lo, exec_lo, s51
.LBB290_79:                             ;   in Loop: Header=BB290_13 Depth=1
	s_delay_alu instid0(SALU_CYCLE_1)
	s_or_b32 exec_lo, exec_lo, s50
.LBB290_80:                             ;   in Loop: Header=BB290_13 Depth=1
	s_delay_alu instid0(SALU_CYCLE_1) | instskip(SKIP_4) | instid1(VALU_DEP_2)
	s_or_b32 exec_lo, exec_lo, s49
	global_load_u16 v3, v[9:10], off offset:256
	s_waitcnt vmcnt(0)
	v_dual_mov_b32 v33, 0 :: v_dual_and_b32 v34, 0xff, v3
	v_and_b32_e32 v35, 0xffff, v3
	v_cmp_ne_u16_e64 s1, 0, v34
	v_mov_b32_e32 v34, 0
	s_delay_alu instid0(VALU_DEP_2)
	s_and_saveexec_b32 s49, s1
	s_cbranch_execz .LBB290_88
; %bb.81:                               ;   in Loop: Header=BB290_13 Depth=1
	v_and_b32_e32 v3, 0xff, v35
	v_bfrev_b32_e32 v34, 1
	s_mov_b32 s50, exec_lo
	s_delay_alu instid0(VALU_DEP_2)
	v_cmpx_ne_u16_e32 0x80, v3
	s_cbranch_execz .LBB290_87
; %bb.82:                               ;   in Loop: Header=BB290_13 Depth=1
	v_and_b32_e32 v36, 0x7f, v35
	v_mov_b32_e32 v34, 0x7fc02000
	s_mov_b32 s51, exec_lo
	s_delay_alu instid0(VALU_DEP_2)
	v_cmpx_ne_u32_e32 0x7f, v36
	s_cbranch_execz .LBB290_86
; %bb.83:                               ;   in Loop: Header=BB290_13 Depth=1
	v_and_b32_e32 v3, 7, v35
	v_lshrrev_b32_e32 v34, 3, v36
	s_mov_b32 s52, exec_lo
	v_cmpx_gt_u32_e32 8, v36
; %bb.84:                               ;   in Loop: Header=BB290_13 Depth=1
	s_delay_alu instid0(VALU_DEP_3) | instskip(NEXT) | instid1(VALU_DEP_1)
	v_clz_i32_u32_e32 v34, v3
	v_min_u32_e32 v34, 32, v34
	s_delay_alu instid0(VALU_DEP_1) | instskip(SKIP_1) | instid1(VALU_DEP_2)
	v_subrev_nc_u32_e32 v36, 28, v34
	v_sub_nc_u32_e32 v34, 29, v34
	v_lshlrev_b64 v[36:37], v36, v[3:4]
	s_delay_alu instid0(VALU_DEP_1)
	v_and_b32_e32 v3, 7, v36
; %bb.85:                               ;   in Loop: Header=BB290_13 Depth=1
	s_or_b32 exec_lo, exec_lo, s52
	v_lshlrev_b32_e32 v36, 8, v35
	v_lshl_add_u32 v34, v34, 10, 0x2000
	s_delay_alu instid0(VALU_DEP_1) | instskip(NEXT) | instid1(VALU_DEP_1)
	v_and_or_b32 v34, 0x8000, v36, v34
	v_lshl_or_b32 v3, v3, 7, v34
	s_delay_alu instid0(VALU_DEP_1)
	v_cvt_f32_f16_e32 v34, v3
.LBB290_86:                             ;   in Loop: Header=BB290_13 Depth=1
	s_or_b32 exec_lo, exec_lo, s51
.LBB290_87:                             ;   in Loop: Header=BB290_13 Depth=1
	s_delay_alu instid0(SALU_CYCLE_1)
	s_or_b32 exec_lo, exec_lo, s50
.LBB290_88:                             ;   in Loop: Header=BB290_13 Depth=1
	s_delay_alu instid0(SALU_CYCLE_1) | instskip(SKIP_2) | instid1(VALU_DEP_1)
	s_or_b32 exec_lo, exec_lo, s49
	v_lshrrev_b16 v3, 8, v35
	s_mov_b32 s49, exec_lo
	v_cmpx_ne_u16_e32 0, v3
	s_cbranch_execz .LBB290_96
; %bb.89:                               ;   in Loop: Header=BB290_13 Depth=1
	v_bfrev_b32_e32 v33, 1
	s_mov_b32 s50, exec_lo
	v_cmpx_ne_u16_e32 0x80, v3
	s_cbranch_execz .LBB290_95
; %bb.90:                               ;   in Loop: Header=BB290_13 Depth=1
	v_and_b32_e32 v35, 0xffff, v3
	v_mov_b32_e32 v33, 0x7fc02000
	s_mov_b32 s51, exec_lo
	s_delay_alu instid0(VALU_DEP_2) | instskip(NEXT) | instid1(VALU_DEP_1)
	v_and_b32_e32 v36, 0x7f, v35
	v_cmpx_ne_u32_e32 0x7f, v36
	s_cbranch_execz .LBB290_94
; %bb.91:                               ;   in Loop: Header=BB290_13 Depth=1
	v_and_b32_e32 v3, 7, v35
	v_lshrrev_b32_e32 v33, 3, v36
	s_mov_b32 s52, exec_lo
	v_cmpx_gt_u32_e32 8, v36
; %bb.92:                               ;   in Loop: Header=BB290_13 Depth=1
	s_delay_alu instid0(VALU_DEP_3) | instskip(NEXT) | instid1(VALU_DEP_1)
	v_clz_i32_u32_e32 v33, v3
	v_min_u32_e32 v33, 32, v33
	s_delay_alu instid0(VALU_DEP_1) | instskip(SKIP_1) | instid1(VALU_DEP_2)
	v_subrev_nc_u32_e32 v36, 28, v33
	v_sub_nc_u32_e32 v33, 29, v33
	v_lshlrev_b64 v[36:37], v36, v[3:4]
	s_delay_alu instid0(VALU_DEP_1)
	v_and_b32_e32 v3, 7, v36
; %bb.93:                               ;   in Loop: Header=BB290_13 Depth=1
	s_or_b32 exec_lo, exec_lo, s52
	v_lshlrev_b32_e32 v35, 8, v35
	v_lshl_add_u32 v33, v33, 10, 0x2000
	s_delay_alu instid0(VALU_DEP_1) | instskip(NEXT) | instid1(VALU_DEP_1)
	v_and_or_b32 v33, 0x8000, v35, v33
	v_lshl_or_b32 v3, v3, 7, v33
	s_delay_alu instid0(VALU_DEP_1)
	v_cvt_f32_f16_e32 v33, v3
.LBB290_94:                             ;   in Loop: Header=BB290_13 Depth=1
	s_or_b32 exec_lo, exec_lo, s51
.LBB290_95:                             ;   in Loop: Header=BB290_13 Depth=1
	s_delay_alu instid0(SALU_CYCLE_1)
	s_or_b32 exec_lo, exec_lo, s50
.LBB290_96:                             ;   in Loop: Header=BB290_13 Depth=1
	s_delay_alu instid0(SALU_CYCLE_1) | instskip(SKIP_4) | instid1(VALU_DEP_2)
	s_or_b32 exec_lo, exec_lo, s49
	global_load_u16 v3, v[9:10], off offset:264
	s_waitcnt vmcnt(0)
	v_dual_mov_b32 v35, 0 :: v_dual_and_b32 v36, 0xff, v3
	v_and_b32_e32 v37, 0xffff, v3
	v_cmp_ne_u16_e64 s1, 0, v36
	v_mov_b32_e32 v36, 0
	s_delay_alu instid0(VALU_DEP_2)
	s_and_saveexec_b32 s49, s1
	s_cbranch_execz .LBB290_104
; %bb.97:                               ;   in Loop: Header=BB290_13 Depth=1
	v_and_b32_e32 v3, 0xff, v37
	v_bfrev_b32_e32 v36, 1
	s_mov_b32 s50, exec_lo
	s_delay_alu instid0(VALU_DEP_2)
	v_cmpx_ne_u16_e32 0x80, v3
	s_cbranch_execz .LBB290_103
; %bb.98:                               ;   in Loop: Header=BB290_13 Depth=1
	v_and_b32_e32 v38, 0x7f, v37
	v_mov_b32_e32 v36, 0x7fc02000
	s_mov_b32 s51, exec_lo
	s_delay_alu instid0(VALU_DEP_2)
	v_cmpx_ne_u32_e32 0x7f, v38
	s_cbranch_execz .LBB290_102
; %bb.99:                               ;   in Loop: Header=BB290_13 Depth=1
	v_and_b32_e32 v3, 7, v37
	v_lshrrev_b32_e32 v36, 3, v38
	s_mov_b32 s52, exec_lo
	v_cmpx_gt_u32_e32 8, v38
; %bb.100:                              ;   in Loop: Header=BB290_13 Depth=1
	s_delay_alu instid0(VALU_DEP_3) | instskip(NEXT) | instid1(VALU_DEP_1)
	v_clz_i32_u32_e32 v36, v3
	v_min_u32_e32 v36, 32, v36
	s_delay_alu instid0(VALU_DEP_1) | instskip(SKIP_1) | instid1(VALU_DEP_2)
	v_subrev_nc_u32_e32 v38, 28, v36
	v_sub_nc_u32_e32 v36, 29, v36
	v_lshlrev_b64 v[38:39], v38, v[3:4]
	s_delay_alu instid0(VALU_DEP_1)
	v_and_b32_e32 v3, 7, v38
; %bb.101:                              ;   in Loop: Header=BB290_13 Depth=1
	s_or_b32 exec_lo, exec_lo, s52
	v_lshlrev_b32_e32 v38, 8, v37
	v_lshl_add_u32 v36, v36, 10, 0x2000
	s_delay_alu instid0(VALU_DEP_1) | instskip(NEXT) | instid1(VALU_DEP_1)
	v_and_or_b32 v36, 0x8000, v38, v36
	v_lshl_or_b32 v3, v3, 7, v36
	s_delay_alu instid0(VALU_DEP_1)
	v_cvt_f32_f16_e32 v36, v3
.LBB290_102:                            ;   in Loop: Header=BB290_13 Depth=1
	s_or_b32 exec_lo, exec_lo, s51
.LBB290_103:                            ;   in Loop: Header=BB290_13 Depth=1
	s_delay_alu instid0(SALU_CYCLE_1)
	s_or_b32 exec_lo, exec_lo, s50
.LBB290_104:                            ;   in Loop: Header=BB290_13 Depth=1
	s_delay_alu instid0(SALU_CYCLE_1) | instskip(SKIP_2) | instid1(VALU_DEP_1)
	s_or_b32 exec_lo, exec_lo, s49
	v_lshrrev_b16 v3, 8, v37
	s_mov_b32 s49, exec_lo
	v_cmpx_ne_u16_e32 0, v3
	s_cbranch_execz .LBB290_112
; %bb.105:                              ;   in Loop: Header=BB290_13 Depth=1
	v_bfrev_b32_e32 v35, 1
	s_mov_b32 s50, exec_lo
	v_cmpx_ne_u16_e32 0x80, v3
	s_cbranch_execz .LBB290_111
; %bb.106:                              ;   in Loop: Header=BB290_13 Depth=1
	v_and_b32_e32 v37, 0xffff, v3
	v_mov_b32_e32 v35, 0x7fc02000
	s_mov_b32 s51, exec_lo
	s_delay_alu instid0(VALU_DEP_2) | instskip(NEXT) | instid1(VALU_DEP_1)
	v_and_b32_e32 v38, 0x7f, v37
	v_cmpx_ne_u32_e32 0x7f, v38
	s_cbranch_execz .LBB290_110
; %bb.107:                              ;   in Loop: Header=BB290_13 Depth=1
	v_and_b32_e32 v3, 7, v37
	v_lshrrev_b32_e32 v35, 3, v38
	s_mov_b32 s52, exec_lo
	v_cmpx_gt_u32_e32 8, v38
; %bb.108:                              ;   in Loop: Header=BB290_13 Depth=1
	s_delay_alu instid0(VALU_DEP_3) | instskip(NEXT) | instid1(VALU_DEP_1)
	v_clz_i32_u32_e32 v35, v3
	v_min_u32_e32 v35, 32, v35
	s_delay_alu instid0(VALU_DEP_1) | instskip(SKIP_1) | instid1(VALU_DEP_2)
	v_subrev_nc_u32_e32 v38, 28, v35
	v_sub_nc_u32_e32 v35, 29, v35
	v_lshlrev_b64 v[38:39], v38, v[3:4]
	s_delay_alu instid0(VALU_DEP_1)
	v_and_b32_e32 v3, 7, v38
; %bb.109:                              ;   in Loop: Header=BB290_13 Depth=1
	s_or_b32 exec_lo, exec_lo, s52
	v_lshlrev_b32_e32 v37, 8, v37
	v_lshl_add_u32 v35, v35, 10, 0x2000
	s_delay_alu instid0(VALU_DEP_1) | instskip(NEXT) | instid1(VALU_DEP_1)
	v_and_or_b32 v35, 0x8000, v37, v35
	v_lshl_or_b32 v3, v3, 7, v35
	s_delay_alu instid0(VALU_DEP_1)
	v_cvt_f32_f16_e32 v35, v3
.LBB290_110:                            ;   in Loop: Header=BB290_13 Depth=1
	s_or_b32 exec_lo, exec_lo, s51
.LBB290_111:                            ;   in Loop: Header=BB290_13 Depth=1
	s_delay_alu instid0(SALU_CYCLE_1)
	s_or_b32 exec_lo, exec_lo, s50
.LBB290_112:                            ;   in Loop: Header=BB290_13 Depth=1
	s_delay_alu instid0(SALU_CYCLE_1) | instskip(SKIP_4) | instid1(VALU_DEP_2)
	s_or_b32 exec_lo, exec_lo, s49
	global_load_u16 v3, v[9:10], off offset:384
	s_waitcnt vmcnt(0)
	v_dual_mov_b32 v37, 0 :: v_dual_and_b32 v38, 0xff, v3
	v_and_b32_e32 v39, 0xffff, v3
	v_cmp_ne_u16_e64 s1, 0, v38
	v_mov_b32_e32 v38, 0
	s_delay_alu instid0(VALU_DEP_2)
	s_and_saveexec_b32 s49, s1
	s_cbranch_execz .LBB290_120
; %bb.113:                              ;   in Loop: Header=BB290_13 Depth=1
	v_and_b32_e32 v3, 0xff, v39
	v_bfrev_b32_e32 v38, 1
	s_mov_b32 s50, exec_lo
	s_delay_alu instid0(VALU_DEP_2)
	v_cmpx_ne_u16_e32 0x80, v3
	s_cbranch_execz .LBB290_119
; %bb.114:                              ;   in Loop: Header=BB290_13 Depth=1
	v_and_b32_e32 v40, 0x7f, v39
	v_mov_b32_e32 v38, 0x7fc02000
	s_mov_b32 s51, exec_lo
	s_delay_alu instid0(VALU_DEP_2)
	v_cmpx_ne_u32_e32 0x7f, v40
	s_cbranch_execz .LBB290_118
; %bb.115:                              ;   in Loop: Header=BB290_13 Depth=1
	v_and_b32_e32 v3, 7, v39
	v_lshrrev_b32_e32 v38, 3, v40
	s_mov_b32 s52, exec_lo
	v_cmpx_gt_u32_e32 8, v40
; %bb.116:                              ;   in Loop: Header=BB290_13 Depth=1
	s_delay_alu instid0(VALU_DEP_3) | instskip(NEXT) | instid1(VALU_DEP_1)
	v_clz_i32_u32_e32 v38, v3
	v_min_u32_e32 v38, 32, v38
	s_delay_alu instid0(VALU_DEP_1) | instskip(SKIP_1) | instid1(VALU_DEP_2)
	v_subrev_nc_u32_e32 v40, 28, v38
	v_sub_nc_u32_e32 v38, 29, v38
	v_lshlrev_b64 v[40:41], v40, v[3:4]
	s_delay_alu instid0(VALU_DEP_1)
	v_and_b32_e32 v3, 7, v40
; %bb.117:                              ;   in Loop: Header=BB290_13 Depth=1
	s_or_b32 exec_lo, exec_lo, s52
	v_lshlrev_b32_e32 v40, 8, v39
	v_lshl_add_u32 v38, v38, 10, 0x2000
	s_delay_alu instid0(VALU_DEP_1) | instskip(NEXT) | instid1(VALU_DEP_1)
	v_and_or_b32 v38, 0x8000, v40, v38
	v_lshl_or_b32 v3, v3, 7, v38
	s_delay_alu instid0(VALU_DEP_1)
	v_cvt_f32_f16_e32 v38, v3
.LBB290_118:                            ;   in Loop: Header=BB290_13 Depth=1
	s_or_b32 exec_lo, exec_lo, s51
.LBB290_119:                            ;   in Loop: Header=BB290_13 Depth=1
	s_delay_alu instid0(SALU_CYCLE_1)
	s_or_b32 exec_lo, exec_lo, s50
.LBB290_120:                            ;   in Loop: Header=BB290_13 Depth=1
	s_delay_alu instid0(SALU_CYCLE_1) | instskip(SKIP_2) | instid1(VALU_DEP_1)
	s_or_b32 exec_lo, exec_lo, s49
	v_lshrrev_b16 v3, 8, v39
	s_mov_b32 s49, exec_lo
	v_cmpx_ne_u16_e32 0, v3
	s_cbranch_execz .LBB290_128
; %bb.121:                              ;   in Loop: Header=BB290_13 Depth=1
	v_bfrev_b32_e32 v37, 1
	s_mov_b32 s50, exec_lo
	v_cmpx_ne_u16_e32 0x80, v3
	s_cbranch_execz .LBB290_127
; %bb.122:                              ;   in Loop: Header=BB290_13 Depth=1
	v_and_b32_e32 v39, 0xffff, v3
	v_mov_b32_e32 v37, 0x7fc02000
	s_mov_b32 s51, exec_lo
	s_delay_alu instid0(VALU_DEP_2) | instskip(NEXT) | instid1(VALU_DEP_1)
	v_and_b32_e32 v40, 0x7f, v39
	v_cmpx_ne_u32_e32 0x7f, v40
	s_cbranch_execz .LBB290_126
; %bb.123:                              ;   in Loop: Header=BB290_13 Depth=1
	v_and_b32_e32 v3, 7, v39
	v_lshrrev_b32_e32 v37, 3, v40
	s_mov_b32 s52, exec_lo
	v_cmpx_gt_u32_e32 8, v40
; %bb.124:                              ;   in Loop: Header=BB290_13 Depth=1
	s_delay_alu instid0(VALU_DEP_3) | instskip(NEXT) | instid1(VALU_DEP_1)
	v_clz_i32_u32_e32 v37, v3
	v_min_u32_e32 v37, 32, v37
	s_delay_alu instid0(VALU_DEP_1) | instskip(SKIP_1) | instid1(VALU_DEP_2)
	v_subrev_nc_u32_e32 v40, 28, v37
	v_sub_nc_u32_e32 v37, 29, v37
	v_lshlrev_b64 v[40:41], v40, v[3:4]
	s_delay_alu instid0(VALU_DEP_1)
	v_and_b32_e32 v3, 7, v40
; %bb.125:                              ;   in Loop: Header=BB290_13 Depth=1
	s_or_b32 exec_lo, exec_lo, s52
	v_lshlrev_b32_e32 v39, 8, v39
	v_lshl_add_u32 v37, v37, 10, 0x2000
	s_delay_alu instid0(VALU_DEP_1) | instskip(NEXT) | instid1(VALU_DEP_1)
	v_and_or_b32 v37, 0x8000, v39, v37
	v_lshl_or_b32 v3, v3, 7, v37
	s_delay_alu instid0(VALU_DEP_1)
	v_cvt_f32_f16_e32 v37, v3
.LBB290_126:                            ;   in Loop: Header=BB290_13 Depth=1
	s_or_b32 exec_lo, exec_lo, s51
.LBB290_127:                            ;   in Loop: Header=BB290_13 Depth=1
	s_delay_alu instid0(SALU_CYCLE_1)
	s_or_b32 exec_lo, exec_lo, s50
.LBB290_128:                            ;   in Loop: Header=BB290_13 Depth=1
	s_delay_alu instid0(SALU_CYCLE_1) | instskip(SKIP_4) | instid1(VALU_DEP_2)
	s_or_b32 exec_lo, exec_lo, s49
	global_load_u16 v3, v[9:10], off offset:392
	s_waitcnt vmcnt(0)
	v_dual_mov_b32 v9, 0 :: v_dual_and_b32 v10, 0xff, v3
	v_and_b32_e32 v39, 0xffff, v3
	v_cmp_ne_u16_e64 s1, 0, v10
	v_mov_b32_e32 v10, 0
	s_delay_alu instid0(VALU_DEP_2)
	s_and_saveexec_b32 s49, s1
	s_cbranch_execz .LBB290_136
; %bb.129:                              ;   in Loop: Header=BB290_13 Depth=1
	v_and_b32_e32 v3, 0xff, v39
	v_bfrev_b32_e32 v10, 1
	s_mov_b32 s50, exec_lo
	s_delay_alu instid0(VALU_DEP_2)
	v_cmpx_ne_u16_e32 0x80, v3
	s_cbranch_execz .LBB290_135
; %bb.130:                              ;   in Loop: Header=BB290_13 Depth=1
	v_and_b32_e32 v40, 0x7f, v39
	v_mov_b32_e32 v10, 0x7fc02000
	s_mov_b32 s51, exec_lo
	s_delay_alu instid0(VALU_DEP_2)
	v_cmpx_ne_u32_e32 0x7f, v40
	s_cbranch_execz .LBB290_134
; %bb.131:                              ;   in Loop: Header=BB290_13 Depth=1
	v_and_b32_e32 v3, 7, v39
	v_lshrrev_b32_e32 v10, 3, v40
	s_mov_b32 s52, exec_lo
	v_cmpx_gt_u32_e32 8, v40
; %bb.132:                              ;   in Loop: Header=BB290_13 Depth=1
	s_delay_alu instid0(VALU_DEP_3) | instskip(NEXT) | instid1(VALU_DEP_1)
	v_clz_i32_u32_e32 v10, v3
	v_min_u32_e32 v10, 32, v10
	s_delay_alu instid0(VALU_DEP_1) | instskip(SKIP_1) | instid1(VALU_DEP_2)
	v_subrev_nc_u32_e32 v40, 28, v10
	v_sub_nc_u32_e32 v10, 29, v10
	v_lshlrev_b64 v[40:41], v40, v[3:4]
	s_delay_alu instid0(VALU_DEP_1)
	v_and_b32_e32 v3, 7, v40
; %bb.133:                              ;   in Loop: Header=BB290_13 Depth=1
	s_or_b32 exec_lo, exec_lo, s52
	v_lshlrev_b32_e32 v40, 8, v39
	v_lshl_add_u32 v10, v10, 10, 0x2000
	s_delay_alu instid0(VALU_DEP_1) | instskip(NEXT) | instid1(VALU_DEP_1)
	v_and_or_b32 v10, 0x8000, v40, v10
	v_lshl_or_b32 v3, v3, 7, v10
	s_delay_alu instid0(VALU_DEP_1)
	v_cvt_f32_f16_e32 v10, v3
.LBB290_134:                            ;   in Loop: Header=BB290_13 Depth=1
	s_or_b32 exec_lo, exec_lo, s51
.LBB290_135:                            ;   in Loop: Header=BB290_13 Depth=1
	s_delay_alu instid0(SALU_CYCLE_1)
	s_or_b32 exec_lo, exec_lo, s50
.LBB290_136:                            ;   in Loop: Header=BB290_13 Depth=1
	s_delay_alu instid0(SALU_CYCLE_1) | instskip(SKIP_2) | instid1(VALU_DEP_1)
	s_or_b32 exec_lo, exec_lo, s49
	v_lshrrev_b16 v3, 8, v39
	s_mov_b32 s49, exec_lo
	v_cmpx_ne_u16_e32 0, v3
	s_cbranch_execz .LBB290_144
; %bb.137:                              ;   in Loop: Header=BB290_13 Depth=1
	v_bfrev_b32_e32 v9, 1
	s_mov_b32 s50, exec_lo
	v_cmpx_ne_u16_e32 0x80, v3
	s_cbranch_execz .LBB290_143
; %bb.138:                              ;   in Loop: Header=BB290_13 Depth=1
	v_and_b32_e32 v39, 0xffff, v3
	v_mov_b32_e32 v9, 0x7fc02000
	s_mov_b32 s51, exec_lo
	s_delay_alu instid0(VALU_DEP_2) | instskip(NEXT) | instid1(VALU_DEP_1)
	v_and_b32_e32 v40, 0x7f, v39
	v_cmpx_ne_u32_e32 0x7f, v40
	s_cbranch_execz .LBB290_142
; %bb.139:                              ;   in Loop: Header=BB290_13 Depth=1
	v_and_b32_e32 v3, 7, v39
	v_lshrrev_b32_e32 v9, 3, v40
	s_mov_b32 s52, exec_lo
	v_cmpx_gt_u32_e32 8, v40
; %bb.140:                              ;   in Loop: Header=BB290_13 Depth=1
	s_delay_alu instid0(VALU_DEP_3) | instskip(NEXT) | instid1(VALU_DEP_1)
	v_clz_i32_u32_e32 v9, v3
	v_min_u32_e32 v9, 32, v9
	s_delay_alu instid0(VALU_DEP_1) | instskip(SKIP_1) | instid1(VALU_DEP_2)
	v_subrev_nc_u32_e32 v40, 28, v9
	v_sub_nc_u32_e32 v9, 29, v9
	v_lshlrev_b64 v[40:41], v40, v[3:4]
	s_delay_alu instid0(VALU_DEP_1)
	v_and_b32_e32 v3, 7, v40
; %bb.141:                              ;   in Loop: Header=BB290_13 Depth=1
	s_or_b32 exec_lo, exec_lo, s52
	v_lshlrev_b32_e32 v39, 8, v39
	v_lshl_add_u32 v9, v9, 10, 0x2000
	s_delay_alu instid0(VALU_DEP_1) | instskip(NEXT) | instid1(VALU_DEP_1)
	v_and_or_b32 v9, 0x8000, v39, v9
	v_lshl_or_b32 v3, v3, 7, v9
	s_delay_alu instid0(VALU_DEP_1)
	v_cvt_f32_f16_e32 v9, v3
.LBB290_142:                            ;   in Loop: Header=BB290_13 Depth=1
	s_or_b32 exec_lo, exec_lo, s51
.LBB290_143:                            ;   in Loop: Header=BB290_13 Depth=1
	s_delay_alu instid0(SALU_CYCLE_1)
	s_or_b32 exec_lo, exec_lo, s50
.LBB290_144:                            ;   in Loop: Header=BB290_13 Depth=1
	s_delay_alu instid0(SALU_CYCLE_1)
	s_or_b32 exec_lo, exec_lo, s49
	ds_load_b32 v3, v17
	v_fma_mixlo_f16 v26, v24, v26, 0
	v_fma_mixlo_f16 v25, v24, v25, 0
	;; [unrolled: 1-line block ×5, first 2 shown]
	v_and_b32_e32 v26, 0xffff, v26
	v_fma_mixlo_f16 v29, v24, v29, 0
	v_fma_mixlo_f16 v32, v24, v32, 0
	v_and_b32_e32 v27, 0xffff, v27
	v_fma_mixlo_f16 v31, v24, v31, 0
	v_fma_mixlo_f16 v34, v24, v34, 0
	;; [unrolled: 3-line block ×4, first 2 shown]
	v_and_b32_e32 v33, 0xffff, v33
	v_fma_mixlo_f16 v37, v24, v37, 0
	s_waitcnt lgkmcnt(0)
	v_and_b32_e32 v39, 0xffff, v3
	v_lshrrev_b32_e32 v3, 16, v3
	;;#ASMSTART
	v_cvt_f32_f16 v39, v39;
	;;#ASMEND
	;;#ASMSTART
	v_cvt_f32_f16 v3, v3;
	;;#ASMEND
	;; [unrolled: 3-line block ×3, first 2 shown]
	v_and_b32_e32 v25, 0xffff, v25
	;;#ASMSTART
	v_cvt_f32_f16 v25, v25;
	;;#ASMEND
	ds_load_b32 v40, v17 offset:4
	v_and_b32_e32 v28, 0xffff, v28
	v_and_b32_e32 v35, 0xffff, v35
	;; [unrolled: 1-line block ×3, first 2 shown]
	v_fma_mixlo_f16 v10, v24, v10, 0
	v_fma_mixlo_f16 v9, v24, v9, 0
	v_xor_b32_e32 v24, 2, v11
	s_delay_alu instid0(VALU_DEP_3) | instskip(NEXT) | instid1(VALU_DEP_3)
	v_and_b32_e32 v10, 0xffff, v10
	v_and_b32_e32 v9, 0xffff, v9
	s_delay_alu instid0(VALU_DEP_3) | instskip(NEXT) | instid1(VALU_DEP_1)
	v_cmp_gt_i32_e64 s1, 32, v24
	v_cndmask_b32_e64 v24, v11, v24, s1
	s_waitcnt lgkmcnt(0)
	v_and_b32_e32 v41, 0xffff, v40
	v_lshrrev_b32_e32 v40, 16, v40
	;;#ASMSTART
	v_cvt_f32_f16 v41, v41;
	;;#ASMEND
	;;#ASMSTART
	v_cvt_f32_f16 v40, v40;
	;;#ASMEND
	;; [unrolled: 3-line block ×4, first 2 shown]
	ds_load_b32 v42, v17 offset:8
	v_dual_mul_f32 v27, v40, v27 :: v_dual_mul_f32 v28, v41, v28
	s_delay_alu instid0(VALU_DEP_1) | instskip(NEXT) | instid1(VALU_DEP_2)
	v_fmac_f32_e32 v27, v3, v25
	v_fmac_f32_e32 v28, v39, v26
	s_waitcnt lgkmcnt(0)
	v_and_b32_e32 v43, 0xffff, v42
	v_lshrrev_b32_e32 v42, 16, v42
	;;#ASMSTART
	v_cvt_f32_f16 v43, v43;
	;;#ASMEND
	;;#ASMSTART
	v_cvt_f32_f16 v42, v42;
	;;#ASMEND
	v_and_b32_e32 v30, 0xffff, v30
	;;#ASMSTART
	v_cvt_f32_f16 v30, v30;
	;;#ASMEND
	;;#ASMSTART
	v_cvt_f32_f16 v29, v29;
	;;#ASMEND
	v_fmac_f32_e32 v27, v42, v29
	ds_load_b32 v44, v17 offset:12
	s_waitcnt lgkmcnt(0)
	v_dual_fmac_f32 v28, v43, v30 :: v_dual_and_b32 v45, 0xffff, v44
	v_lshrrev_b32_e32 v44, 16, v44
	;;#ASMSTART
	v_cvt_f32_f16 v45, v45;
	;;#ASMEND
	;;#ASMSTART
	v_cvt_f32_f16 v44, v44;
	;;#ASMEND
	v_and_b32_e32 v32, 0xffff, v32
	;;#ASMSTART
	v_cvt_f32_f16 v32, v32;
	;;#ASMEND
	;;#ASMSTART
	v_cvt_f32_f16 v31, v31;
	;;#ASMEND
	v_fmac_f32_e32 v27, v44, v31
	ds_load_b32 v46, v17 offset:16
	s_waitcnt lgkmcnt(0)
	v_dual_fmac_f32 v28, v45, v32 :: v_dual_and_b32 v47, 0xffff, v46
	;; [unrolled: 18-line block ×3, first 2 shown]
	v_lshrrev_b32_e32 v48, 16, v48
	;;#ASMSTART
	v_cvt_f32_f16 v49, v49;
	;;#ASMEND
	;;#ASMSTART
	v_cvt_f32_f16 v48, v48;
	;;#ASMEND
	v_and_b32_e32 v36, 0xffff, v36
	;;#ASMSTART
	v_cvt_f32_f16 v36, v36;
	;;#ASMEND
	;;#ASMSTART
	v_cvt_f32_f16 v35, v35;
	;;#ASMEND
	v_fmac_f32_e32 v27, v48, v35
	ds_load_b32 v50, v17 offset:24
	v_fmac_f32_e32 v28, v49, v36
	s_waitcnt lgkmcnt(0)
	v_and_b32_e32 v40, 0xffff, v50
	v_lshrrev_b32_e32 v41, 16, v50
	;;#ASMSTART
	v_cvt_f32_f16 v3, v40;
	;;#ASMEND
	;;#ASMSTART
	v_cvt_f32_f16 v25, v41;
	;;#ASMEND
	v_and_b32_e32 v38, 0xffff, v38
	;;#ASMSTART
	v_cvt_f32_f16 v26, v38;
	;;#ASMEND
	;;#ASMSTART
	v_cvt_f32_f16 v37, v37;
	;;#ASMEND
	v_fmac_f32_e32 v27, v25, v37
	ds_load_b32 v38, v17 offset:28
	v_fmac_f32_e32 v28, v3, v26
	s_waitcnt lgkmcnt(0)
	v_lshrrev_b32_e32 v29, 16, v38
	v_and_b32_e32 v30, 0xffff, v38
	;;#ASMSTART
	v_cvt_f32_f16 v3, v30;
	;;#ASMEND
	;;#ASMSTART
	v_cvt_f32_f16 v25, v29;
	;;#ASMEND
	;; [unrolled: 3-line block ×4, first 2 shown]
	v_dual_fmac_f32 v28, v3, v10 :: v_dual_fmac_f32 v27, v25, v9
	v_lshlrev_b32_e32 v3, 2, v24
	v_xor_b32_e32 v10, 1, v11
	s_delay_alu instid0(VALU_DEP_3) | instskip(NEXT) | instid1(VALU_DEP_2)
	v_add_f32_e32 v9, v28, v27
	v_cmp_gt_i32_e64 s1, 32, v10
	ds_bpermute_b32 v3, v3, v9
	v_cndmask_b32_e64 v10, v11, v10, s1
	s_waitcnt lgkmcnt(0)
	v_add_f32_e32 v3, v9, v3
	s_delay_alu instid0(VALU_DEP_2)
	v_lshlrev_b32_e32 v9, 2, v10
	ds_bpermute_b32 v9, v9, v3
	s_and_saveexec_b32 s49, vcc_lo
	s_cbranch_execz .LBB290_11
; %bb.145:                              ;   in Loop: Header=BB290_13 Depth=1
	s_waitcnt lgkmcnt(0)
	v_dual_add_f32 v3, v3, v9 :: v_dual_add_nc_u32 v10, v20, v18
	s_delay_alu instid0(VALU_DEP_1) | instskip(NEXT) | instid1(VALU_DEP_1)
	v_cvt_f32_i32_e32 v10, v10
	v_mul_f32_e32 v10, s45, v10
	s_delay_alu instid0(VALU_DEP_1) | instskip(NEXT) | instid1(VALU_DEP_1)
	v_cndmask_b32_e64 v9, 0, v10, s0
	v_dual_max_f32 v10, v14, v14 :: v_dual_fmac_f32 v9, s39, v3
	s_delay_alu instid0(VALU_DEP_1) | instskip(NEXT) | instid1(VALU_DEP_1)
	v_dual_max_f32 v10, v10, v9 :: v_dual_add_nc_u32 v3, v15, v18
	v_cmp_gt_i32_e64 s1, s15, v3
	s_delay_alu instid0(VALU_DEP_1) | instskip(NEXT) | instid1(VALU_DEP_3)
	v_cndmask_b32_e64 v3, 0, v9, s1
	v_cndmask_b32_e64 v14, v14, v10, s1
	ds_store_b32 v21, v3
	s_branch .LBB290_11
.LBB290_146:
	s_or_b32 exec_lo, exec_lo, s47
.LBB290_147:
	s_delay_alu instid0(SALU_CYCLE_1) | instskip(SKIP_4) | instid1(VALU_DEP_4)
	s_or_b32 exec_lo, exec_lo, s6
	v_xor_b32_e32 v3, 16, v11
	v_xor_b32_e32 v5, 8, v11
	;; [unrolled: 1-line block ×3, first 2 shown]
	v_max_f32_e32 v6, v14, v14
	v_cmp_gt_i32_e32 vcc_lo, 32, v3
	v_cndmask_b32_e32 v3, v11, v3, vcc_lo
	v_cmp_gt_i32_e32 vcc_lo, 32, v5
	s_delay_alu instid0(VALU_DEP_2) | instskip(SKIP_4) | instid1(VALU_DEP_1)
	v_dual_cndmask_b32 v5, v11, v5 :: v_dual_lshlrev_b32 v4, 2, v3
	v_cmp_gt_i32_e32 vcc_lo, 32, v7
	ds_bpermute_b32 v3, v4, v14
	v_lshlrev_b32_e32 v5, 2, v5
	v_dual_cndmask_b32 v7, v11, v7 :: v_dual_and_b32 v14, 31, v0
	v_cmp_eq_u32_e32 vcc_lo, 0, v14
	s_waitcnt lgkmcnt(0)
	v_max_f32_e32 v3, v3, v3
	s_delay_alu instid0(VALU_DEP_1) | instskip(SKIP_3) | instid1(VALU_DEP_1)
	v_max_f32_e32 v3, v6, v3
	ds_bpermute_b32 v6, v5, v3
	s_waitcnt lgkmcnt(0)
	v_max_f32_e32 v6, v6, v6
	v_dual_max_f32 v3, v3, v6 :: v_dual_lshlrev_b32 v6, 2, v12
	v_lshlrev_b32_e32 v7, 2, v7
	ds_bpermute_b32 v8, v7, v3
	s_and_saveexec_b32 s0, vcc_lo
	s_cbranch_execz .LBB290_149
; %bb.148:
	s_waitcnt lgkmcnt(0)
	v_dual_max_f32 v8, v8, v8 :: v_dual_max_f32 v3, v3, v3
	s_delay_alu instid0(VALU_DEP_1)
	v_max_f32_e32 v3, v3, v8
	ds_store_b32 v6, v3 offset:128
.LBB290_149:
	s_or_b32 exec_lo, exec_lo, s0
	v_cmp_gt_u32_e64 s0, 4, v14
	v_dual_mov_b32 v3, 0xff7fffff :: v_dual_lshlrev_b32 v16, 2, v14
	s_waitcnt lgkmcnt(0)
	s_barrier
	buffer_gl0_inv
	s_and_saveexec_b32 s1, s0
	s_cbranch_execz .LBB290_151
; %bb.150:
	ds_load_b32 v3, v16 offset:128
.LBB290_151:
	s_or_b32 exec_lo, exec_lo, s1
	v_xor_b32_e32 v8, 2, v11
	v_xor_b32_e32 v10, 1, v11
	v_lshl_add_u32 v15, v0, 2, 0xa0
	s_delay_alu instid0(VALU_DEP_3) | instskip(NEXT) | instid1(VALU_DEP_1)
	v_cmp_gt_i32_e64 s1, 32, v8
	v_cndmask_b32_e64 v8, v11, v8, s1
	s_delay_alu instid0(VALU_DEP_4) | instskip(NEXT) | instid1(VALU_DEP_2)
	v_cmp_gt_i32_e64 s1, 32, v10
	v_lshlrev_b32_e32 v8, 2, v8
	s_delay_alu instid0(VALU_DEP_2) | instskip(SKIP_1) | instid1(SALU_CYCLE_1)
	v_cndmask_b32_e64 v10, v11, v10, s1
	s_sub_i32 s1, s38, s16
	s_lshl_b32 s1, s1, 3
	s_waitcnt lgkmcnt(0)
	ds_bpermute_b32 v9, v8, v3
	v_max_f32_e32 v3, v3, v3
	s_add_i32 s1, s1, s41
	s_delay_alu instid0(SALU_CYCLE_1) | instskip(NEXT) | instid1(SALU_CYCLE_1)
	s_min_i32 s1, s1, s15
	s_sub_i32 s6, s1, s41
	s_delay_alu instid0(SALU_CYCLE_1) | instskip(SKIP_3) | instid1(VALU_DEP_2)
	v_cmp_gt_i32_e64 s1, s6, v0
	s_waitcnt lgkmcnt(0)
	v_max_f32_e32 v11, v9, v9
	v_lshlrev_b32_e32 v9, 2, v10
	v_max_f32_e32 v3, v3, v11
	ds_bpermute_b32 v10, v9, v3
	s_waitcnt lgkmcnt(0)
	v_max_f32_e32 v10, v10, v10
	s_delay_alu instid0(VALU_DEP_1)
	v_dual_max_f32 v3, v3, v10 :: v_dual_mov_b32 v10, 0
	ds_bpermute_b32 v3, v10, v3
	s_and_saveexec_b32 s7, s1
	s_cbranch_execz .LBB290_155
; %bb.152:
	v_lshl_add_u32 v11, v0, 2, 0xa0
	v_dual_mov_b32 v10, 0 :: v_dual_mov_b32 v17, v0
	s_mov_b32 s8, 0
	.p2align	6
.LBB290_153:                            ; =>This Inner Loop Header: Depth=1
	ds_load_b32 v18, v11
	v_add_nc_u32_e32 v17, 0x80, v17
	s_delay_alu instid0(VALU_DEP_1) | instskip(NEXT) | instid1(VALU_DEP_1)
	v_cmp_le_i32_e64 s4, s6, v17
	s_or_b32 s8, s4, s8
	s_waitcnt lgkmcnt(0)
	v_sub_f32_e32 v18, v18, v3
	s_delay_alu instid0(VALU_DEP_1) | instskip(NEXT) | instid1(VALU_DEP_1)
	v_mul_f32_e32 v18, 0x3fb8aa3b, v18
	v_exp_f32_e32 v18, v18
	ds_store_b32 v11, v18
	v_dual_add_f32 v10, v10, v18 :: v_dual_add_nc_u32 v11, 0x200, v11
	s_and_not1_b32 exec_lo, exec_lo, s8
	s_cbranch_execnz .LBB290_153
; %bb.154:
	s_or_b32 exec_lo, exec_lo, s8
.LBB290_155:
	s_delay_alu instid0(SALU_CYCLE_1)
	s_or_b32 exec_lo, exec_lo, s7
	ds_bpermute_b32 v4, v4, v10
	s_waitcnt lgkmcnt(0)
	v_add_f32_e32 v4, v10, v4
	ds_bpermute_b32 v5, v5, v4
	s_waitcnt lgkmcnt(0)
	v_add_f32_e32 v4, v4, v5
	;; [unrolled: 3-line block ×5, first 2 shown]
	s_and_saveexec_b32 s4, vcc_lo
	s_cbranch_execz .LBB290_157
; %bb.156:
	ds_store_b32 v6, v4 offset:144
.LBB290_157:
	s_or_b32 exec_lo, exec_lo, s4
	s_waitcnt lgkmcnt(0)
	s_barrier
	buffer_gl0_inv
	s_and_saveexec_b32 s4, s0
	s_cbranch_execz .LBB290_159
; %bb.158:
	ds_load_b32 v4, v16 offset:144
.LBB290_159:
	s_or_b32 exec_lo, exec_lo, s4
	s_waitcnt lgkmcnt(0)
	ds_bpermute_b32 v5, v8, v4
	s_waitcnt lgkmcnt(0)
	v_add_f32_e32 v4, v4, v5
	ds_bpermute_b32 v5, v9, v4
	s_waitcnt lgkmcnt(0)
	v_dual_add_f32 v4, v4, v5 :: v_dual_mov_b32 v5, 0
	ds_bpermute_b32 v4, v5, v4
	s_and_saveexec_b32 s0, s1
	s_cbranch_execz .LBB290_162
; %bb.160:
	s_waitcnt lgkmcnt(0)
	v_add_f32_e32 v6, 0x358637bd, v4
	s_mov_b32 s1, 0
	s_delay_alu instid0(VALU_DEP_1) | instskip(NEXT) | instid1(VALU_DEP_1)
	v_div_scale_f32 v5, null, v6, v6, 1.0
	v_rcp_f32_e32 v7, v5
	s_waitcnt_depctr 0xfff
	v_fma_f32 v8, -v5, v7, 1.0
	s_delay_alu instid0(VALU_DEP_1) | instskip(SKIP_1) | instid1(VALU_DEP_1)
	v_fmac_f32_e32 v7, v8, v7
	v_div_scale_f32 v9, vcc_lo, 1.0, v6, 1.0
	v_mul_f32_e32 v8, v9, v7
	s_delay_alu instid0(VALU_DEP_1) | instskip(NEXT) | instid1(VALU_DEP_1)
	v_fma_f32 v10, -v5, v8, v9
	v_fmac_f32_e32 v8, v10, v7
	s_delay_alu instid0(VALU_DEP_1) | instskip(NEXT) | instid1(VALU_DEP_1)
	v_fma_f32 v5, -v5, v8, v9
	v_div_fmas_f32 v7, v5, v7, v8
	v_mov_b32_e32 v5, v15
	s_delay_alu instid0(VALU_DEP_2)
	v_div_fixup_f32 v6, v7, v6, 1.0
	v_mov_b32_e32 v7, v0
.LBB290_161:                            ; =>This Inner Loop Header: Depth=1
	ds_load_b32 v8, v5
	s_waitcnt lgkmcnt(0)
	v_dual_mul_f32 v8, v6, v8 :: v_dual_add_nc_u32 v7, 0x80, v7
	s_delay_alu instid0(VALU_DEP_1) | instskip(SKIP_3) | instid1(SALU_CYCLE_1)
	v_cmp_le_i32_e32 vcc_lo, s6, v7
	ds_store_b32 v5, v8
	v_add_nc_u32_e32 v5, 0x200, v5
	s_or_b32 s1, vcc_lo, s1
	s_and_not1_b32 exec_lo, exec_lo, s1
	s_cbranch_execnz .LBB290_161
.LBB290_162:
	s_or_b32 exec_lo, exec_lo, s0
	s_mul_i32 s0, s13, s14
	s_waitcnt lgkmcnt(0)
	s_mul_i32 s6, s0, s27
	s_mov_b32 s0, exec_lo
	s_barrier
	buffer_gl0_inv
	v_cmpx_eq_u32_e32 0, v0
	s_cbranch_execz .LBB290_164
; %bb.163:
	s_ashr_i32 s7, s6, 31
	s_mul_i32 s46, s13, s28
	s_lshl_b64 s[8:9], s[6:7], 2
	v_mov_b32_e32 v5, 0
	s_add_u32 s1, s22, s8
	s_addc_u32 s4, s23, s9
	s_ashr_i32 s47, s46, 31
	s_delay_alu instid0(SALU_CYCLE_1) | instskip(NEXT) | instid1(SALU_CYCLE_1)
	s_lshl_b64 s[22:23], s[46:47], 2
	s_add_u32 s1, s1, s22
	s_addc_u32 s4, s4, s23
	s_ashr_i32 s27, s26, 31
	s_delay_alu instid0(SALU_CYCLE_1) | instskip(NEXT) | instid1(SALU_CYCLE_1)
	s_lshl_b64 s[26:27], s[26:27], 2
	s_add_u32 s46, s1, s26
	s_addc_u32 s47, s4, s27
	s_add_u32 s1, s20, s8
	s_addc_u32 s4, s21, s9
	;; [unrolled: 2-line block ×4, first 2 shown]
	s_clause 0x1
	global_store_b32 v5, v3, s[46:47]
	global_store_b32 v5, v4, s[8:9]
.LBB290_164:
	s_or_b32 exec_lo, exec_lo, s0
	v_dual_mov_b32 v18, 0 :: v_dual_mov_b32 v17, 0
	s_mov_b32 s4, 0
	s_and_saveexec_b32 s1, s3
	s_cbranch_execz .LBB290_294
; %bb.165:
	s_sub_i32 s3, s44, s17
	s_ashr_i32 s0, s43, 31
	s_add_u32 s14, s36, s43
	s_addc_u32 s0, s37, s0
	s_abs_i32 s7, s18
	v_lshlrev_b64 v[6:7], 2, v[1:2]
	v_cvt_f32_u32_e32 v3, s7
	s_sub_i32 s8, 0, s7
	s_lshl_b64 s[20:21], s[34:35], 2
	s_add_i32 s42, s42, -1
	v_lshl_add_u32 v19, v12, 5, 0xa0
	v_rcp_iflag_f32_e32 v3, v3
	v_lshlrev_b32_e32 v4, 3, v14
	v_mov_b32_e32 v18, 0
	s_delay_alu instid0(VALU_DEP_2) | instskip(SKIP_2) | instid1(VALU_DEP_1)
	v_add_co_u32 v4, s14, s14, v4
	s_waitcnt_depctr 0xfff
	v_mul_f32_e32 v3, 0x4f7ffffe, v3
	v_cvt_u32_f32_e32 v8, v3
	v_mov_b32_e32 v3, 0
	s_delay_alu instid0(VALU_DEP_2) | instskip(SKIP_2) | instid1(VALU_DEP_1)
	v_mul_lo_u32 v5, s8, v8
	s_mov_b32 s8, -1
	s_mov_b32 s9, 0xffffff
	v_mul_hi_u32 v2, v8, v5
	v_add_co_ci_u32_e64 v5, null, s0, 0, s14
	s_add_u32 s0, s30, s20
	s_addc_u32 s14, s31, s21
	v_add_co_u32 v6, vcc_lo, s0, v6
	s_delay_alu instid0(VALU_DEP_3)
	v_dual_mov_b32 v17, 0 :: v_dual_add_nc_u32 v20, v8, v2
	v_add_co_ci_u32_e32 v7, vcc_lo, s14, v7, vcc_lo
	s_mov_b32 s14, s15
	s_branch .LBB290_168
.LBB290_166:                            ;   in Loop: Header=BB290_168 Depth=1
	s_or_b32 exec_lo, exec_lo, s0
	;;#ASMSTART
	v_pk_mul_f16 v9, v32, v33;

	;;#ASMEND
	;;#ASMSTART
	v_pk_mul_f16 v10, v30, v31;

	;;#ASMEND
	;; [unrolled: 4-line block ×4, first 2 shown]
	;;#ASMSTART
	v_pk_add_f16 v9, v9, v10;

	;;#ASMEND
	;;#ASMSTART
	v_pk_add_f16 v2, v9, v2;

	;;#ASMEND
	;;#ASMSTART
	v_pk_add_f16 v2, v2, v8;

	;;#ASMEND
	v_dual_add_f32 v9, v26, v27 :: v_dual_and_b32 v8, 0xffff, v2
	v_lshrrev_b32_e32 v2, 16, v2
	;;#ASMSTART
	v_cvt_f32_f16 v8, v8;
	;;#ASMEND
	;;#ASMSTART
	v_cvt_f32_f16 v2, v2;
	;;#ASMEND
	s_delay_alu instid0(VALU_DEP_1) | instskip(NEXT) | instid1(VALU_DEP_1)
	v_add_f32_e32 v2, v8, v2
	v_dual_add_f32 v18, v18, v9 :: v_dual_add_f32 v17, v17, v2
.LBB290_167:                            ;   in Loop: Header=BB290_168 Depth=1
	s_or_b32 exec_lo, exec_lo, s17
	v_add_nc_u32_e32 v1, 4, v1
	v_add_co_u32 v6, s0, v6, 16
	s_delay_alu instid0(VALU_DEP_1) | instskip(NEXT) | instid1(VALU_DEP_3)
	v_add_co_ci_u32_e64 v7, s0, 0, v7, s0
	v_cmp_le_i32_e32 vcc_lo, s38, v1
	v_add_nc_u32_e32 v13, 32, v13
	v_add_nc_u32_e32 v19, 0x80, v19
	s_or_b32 s4, vcc_lo, s4
	s_delay_alu instid0(SALU_CYCLE_1)
	s_and_not1_b32 exec_lo, exec_lo, s4
	s_cbranch_execz .LBB290_293
.LBB290_168:                            ; =>This Inner Loop Header: Depth=1
	v_sub_nc_u32_e32 v2, 0, v13
	s_delay_alu instid0(VALU_DEP_1) | instskip(NEXT) | instid1(VALU_DEP_1)
	v_max_i32_e32 v2, v13, v2
	v_mul_hi_u32 v8, v2, s33
	s_delay_alu instid0(VALU_DEP_1) | instskip(NEXT) | instid1(VALU_DEP_1)
	v_mul_lo_u32 v9, v8, s29
	v_sub_nc_u32_e32 v2, v2, v9
	s_delay_alu instid0(VALU_DEP_1) | instskip(SKIP_1) | instid1(VALU_DEP_2)
	v_subrev_nc_u32_e32 v10, s29, v2
	v_cmp_le_u32_e32 vcc_lo, s29, v2
	v_dual_cndmask_b32 v2, v2, v10 :: v_dual_add_nc_u32 v9, 1, v8
	s_delay_alu instid0(VALU_DEP_1) | instskip(SKIP_1) | instid1(VALU_DEP_3)
	v_cndmask_b32_e32 v8, v8, v9, vcc_lo
	v_ashrrev_i32_e32 v9, 31, v13
	v_cmp_le_u32_e32 vcc_lo, s29, v2
	s_delay_alu instid0(VALU_DEP_3) | instskip(NEXT) | instid1(VALU_DEP_3)
	v_add_nc_u32_e32 v10, 1, v8
	v_xor_b32_e32 v9, s19, v9
	s_delay_alu instid0(VALU_DEP_2) | instskip(NEXT) | instid1(VALU_DEP_1)
	v_cndmask_b32_e32 v2, v8, v10, vcc_lo
	v_xor_b32_e32 v2, v2, v9
	s_delay_alu instid0(VALU_DEP_1) | instskip(NEXT) | instid1(VALU_DEP_1)
	v_sub_nc_u32_e32 v2, v2, v9
	v_add_nc_u32_e32 v8, s40, v2
	v_cmp_lt_i32_e64 s0, s3, v2
	s_delay_alu instid0(VALU_DEP_2) | instskip(NEXT) | instid1(VALU_DEP_1)
	v_sub_nc_u32_e32 v9, 0, v8
	v_max_i32_e32 v9, v8, v9
	v_ashrrev_i32_e32 v8, 31, v8
	s_delay_alu instid0(VALU_DEP_2) | instskip(NEXT) | instid1(VALU_DEP_1)
	v_mul_hi_u32 v10, v9, v20
	v_mul_lo_u32 v10, v10, s7
	s_delay_alu instid0(VALU_DEP_1) | instskip(NEXT) | instid1(VALU_DEP_1)
	v_sub_nc_u32_e32 v9, v9, v10
	v_subrev_nc_u32_e32 v10, s7, v9
	v_cmp_le_u32_e32 vcc_lo, s7, v9
	s_delay_alu instid0(VALU_DEP_2) | instskip(NEXT) | instid1(VALU_DEP_1)
	v_cndmask_b32_e32 v9, v9, v10, vcc_lo
	v_subrev_nc_u32_e32 v10, s7, v9
	v_cmp_le_u32_e32 vcc_lo, s7, v9
	s_delay_alu instid0(VALU_DEP_2) | instskip(NEXT) | instid1(VALU_DEP_1)
	v_cndmask_b32_e32 v9, v9, v10, vcc_lo
	v_xor_b32_e32 v9, v9, v8
	s_delay_alu instid0(VALU_DEP_1) | instskip(NEXT) | instid1(VALU_DEP_1)
	v_sub_nc_u32_e32 v8, v9, v8
	v_cmp_eq_u32_e32 vcc_lo, 0, v8
	s_or_b32 s0, vcc_lo, s0
	s_delay_alu instid0(SALU_CYCLE_1)
	s_and_saveexec_b32 s17, s0
	s_cbranch_execz .LBB290_167
; %bb.169:                              ;   in Loop: Header=BB290_168 Depth=1
	global_load_b32 v2, v[6:7], off
	ds_load_2addr_b64 v[21:24], v19 offset1:1
	ds_load_2addr_b64 v[32:35], v19 offset0:2 offset1:3
	s_mov_b32 s0, exec_lo
	s_waitcnt lgkmcnt(1)
	;;#ASMSTART
	v_cvt_f16_f32 v26, v21;

	;;#ASMEND
	;;#ASMSTART
	v_cvt_f16_f32 v27, v22;

	;;#ASMEND
	;; [unrolled: 4-line block ×4, first 2 shown]
	s_waitcnt lgkmcnt(0)
	;;#ASMSTART
	v_cvt_f16_f32 v32, v32;

	;;#ASMEND
	;;#ASMSTART
	v_cvt_f16_f32 v29, v33;

	;;#ASMEND
	;; [unrolled: 4-line block ×4, first 2 shown]
	v_dual_mov_b32 v22, 0 :: v_dual_mov_b32 v23, 0
	s_waitcnt vmcnt(0)
	v_mad_i64_i32 v[8:9], null, v2, s5, v[4:5]
	global_load_b64 v[10:11], v[8:9], off
	global_load_b32 v21, v3, s[10:11]
	s_waitcnt vmcnt(1)
	v_and_b32_e32 v2, 0xff, v10
	s_delay_alu instid0(VALU_DEP_1)
	v_cmpx_ne_u16_e32 0, v2
	s_cbranch_execz .LBB290_175
; %bb.170:                              ;   in Loop: Header=BB290_168 Depth=1
	v_bfrev_b32_e32 v22, 1
	s_mov_b32 s18, exec_lo
	v_cmpx_ne_u16_e32 0x80, v2
	s_cbranch_execz .LBB290_174
; %bb.171:                              ;   in Loop: Header=BB290_168 Depth=1
	v_and_b32_e32 v2, 0x7f, v10
	v_mov_b32_e32 v22, 0x7fc02000
	s_mov_b32 s20, exec_lo
	s_delay_alu instid0(VALU_DEP_2)
	v_cmpx_ne_u32_e32 0x7f, v2
	s_cbranch_execz .LBB290_173
; %bb.172:                              ;   in Loop: Header=BB290_168 Depth=1
	v_and_b32_e32 v22, 7, v10
	v_cmp_gt_u32_e32 vcc_lo, 8, v2
	v_lshrrev_b32_e32 v24, 3, v2
	s_delay_alu instid0(VALU_DEP_3) | instskip(NEXT) | instid1(VALU_DEP_1)
	v_clz_i32_u32_e32 v22, v22
	v_min_u32_e32 v22, 32, v22
	s_delay_alu instid0(VALU_DEP_1) | instskip(SKIP_1) | instid1(VALU_DEP_2)
	v_subrev_nc_u32_e32 v25, 28, v22
	v_sub_nc_u32_e32 v22, 29, v22
	v_cndmask_b32_e32 v2, 0, v25, vcc_lo
	s_delay_alu instid0(VALU_DEP_2) | instskip(NEXT) | instid1(VALU_DEP_2)
	v_cndmask_b32_e32 v22, v24, v22, vcc_lo
	v_lshlrev_b64 v[24:25], v2, v[10:11]
	v_lshlrev_b32_e32 v2, 8, v10
	s_delay_alu instid0(VALU_DEP_3) | instskip(NEXT) | instid1(VALU_DEP_3)
	v_lshl_add_u32 v22, v22, 10, 0x2000
	v_lshlrev_b32_e32 v24, 7, v24
	s_delay_alu instid0(VALU_DEP_2) | instskip(NEXT) | instid1(VALU_DEP_1)
	v_and_or_b32 v2, 0x8000, v2, v22
	v_and_or_b32 v2, 0x380, v24, v2
	s_delay_alu instid0(VALU_DEP_1)
	v_cvt_f32_f16_e32 v22, v2
.LBB290_173:                            ;   in Loop: Header=BB290_168 Depth=1
	s_or_b32 exec_lo, exec_lo, s20
.LBB290_174:                            ;   in Loop: Header=BB290_168 Depth=1
	s_delay_alu instid0(SALU_CYCLE_1)
	s_or_b32 exec_lo, exec_lo, s18
.LBB290_175:                            ;   in Loop: Header=BB290_168 Depth=1
	s_delay_alu instid0(SALU_CYCLE_1) | instskip(SKIP_2) | instid1(VALU_DEP_1)
	s_or_b32 exec_lo, exec_lo, s0
	v_lshrrev_b16 v2, 8, v10
	s_mov_b32 s0, exec_lo
	v_cmpx_ne_u16_e32 0, v2
	s_cbranch_execz .LBB290_183
; %bb.176:                              ;   in Loop: Header=BB290_168 Depth=1
	v_bfrev_b32_e32 v23, 1
	s_mov_b32 s18, exec_lo
	v_cmpx_ne_u16_e32 0x80, v2
	s_cbranch_execz .LBB290_182
; %bb.177:                              ;   in Loop: Header=BB290_168 Depth=1
	v_and_b32_e32 v24, 0xffff, v2
	v_mov_b32_e32 v23, 0x7fc02000
	s_mov_b32 s20, exec_lo
	s_delay_alu instid0(VALU_DEP_2) | instskip(NEXT) | instid1(VALU_DEP_1)
	v_and_b32_e32 v25, 0x7f, v24
	v_cmpx_ne_u32_e32 0x7f, v25
	s_cbranch_execz .LBB290_181
; %bb.178:                              ;   in Loop: Header=BB290_168 Depth=1
	v_and_b32_e32 v2, 7, v24
	v_lshrrev_b32_e32 v23, 3, v25
	s_mov_b32 s21, exec_lo
	v_cmpx_gt_u32_e32 8, v25
; %bb.179:                              ;   in Loop: Header=BB290_168 Depth=1
	s_delay_alu instid0(VALU_DEP_3) | instskip(NEXT) | instid1(VALU_DEP_1)
	v_clz_i32_u32_e32 v23, v2
	v_min_u32_e32 v23, 32, v23
	s_delay_alu instid0(VALU_DEP_1) | instskip(SKIP_1) | instid1(VALU_DEP_2)
	v_subrev_nc_u32_e32 v25, 28, v23
	v_sub_nc_u32_e32 v23, 29, v23
	v_lshlrev_b64 v[34:35], v25, v[2:3]
	s_delay_alu instid0(VALU_DEP_1)
	v_and_b32_e32 v2, 7, v34
; %bb.180:                              ;   in Loop: Header=BB290_168 Depth=1
	s_or_b32 exec_lo, exec_lo, s21
	v_lshlrev_b32_e32 v24, 8, v24
	v_lshl_add_u32 v23, v23, 10, 0x2000
	s_delay_alu instid0(VALU_DEP_1) | instskip(NEXT) | instid1(VALU_DEP_1)
	v_and_or_b32 v23, 0x8000, v24, v23
	v_lshl_or_b32 v2, v2, 7, v23
	s_delay_alu instid0(VALU_DEP_1)
	v_cvt_f32_f16_e32 v23, v2
.LBB290_181:                            ;   in Loop: Header=BB290_168 Depth=1
	s_or_b32 exec_lo, exec_lo, s20
.LBB290_182:                            ;   in Loop: Header=BB290_168 Depth=1
	s_delay_alu instid0(SALU_CYCLE_1)
	s_or_b32 exec_lo, exec_lo, s18
.LBB290_183:                            ;   in Loop: Header=BB290_168 Depth=1
	s_delay_alu instid0(SALU_CYCLE_1) | instskip(SKIP_3) | instid1(VALU_DEP_2)
	s_or_b32 exec_lo, exec_lo, s0
	v_lshrrev_b32_e32 v34, 16, v10
	v_mov_b32_e32 v24, 0
	s_mov_b32 s0, exec_lo
	v_dual_mov_b32 v25, 0 :: v_dual_and_b32 v2, 0xff, v34
	s_delay_alu instid0(VALU_DEP_1)
	v_cmpx_ne_u16_e32 0, v2
	s_cbranch_execz .LBB290_191
; %bb.184:                              ;   in Loop: Header=BB290_168 Depth=1
	v_bfrev_b32_e32 v24, 1
	s_mov_b32 s18, exec_lo
	v_cmpx_ne_u16_e32 0x80, v2
	s_cbranch_execz .LBB290_190
; %bb.185:                              ;   in Loop: Header=BB290_168 Depth=1
	v_bfe_u32 v35, v10, 16, 7
	v_mov_b32_e32 v24, 0x7fc02000
	s_mov_b32 s20, exec_lo
	s_delay_alu instid0(VALU_DEP_2)
	v_cmpx_ne_u32_e32 0x7f, v35
	s_cbranch_execz .LBB290_189
; %bb.186:                              ;   in Loop: Header=BB290_168 Depth=1
	v_and_b32_e32 v2, 7, v34
	v_lshrrev_b32_e32 v24, 3, v35
	s_mov_b32 s21, exec_lo
	v_cmpx_gt_u32_e32 8, v35
; %bb.187:                              ;   in Loop: Header=BB290_168 Depth=1
	s_delay_alu instid0(VALU_DEP_3) | instskip(NEXT) | instid1(VALU_DEP_1)
	v_clz_i32_u32_e32 v24, v2
	v_min_u32_e32 v24, 32, v24
	s_delay_alu instid0(VALU_DEP_1) | instskip(SKIP_1) | instid1(VALU_DEP_2)
	v_subrev_nc_u32_e32 v35, 28, v24
	v_sub_nc_u32_e32 v24, 29, v24
	v_lshlrev_b64 v[35:36], v35, v[2:3]
	s_delay_alu instid0(VALU_DEP_1)
	v_and_b32_e32 v2, 7, v35
; %bb.188:                              ;   in Loop: Header=BB290_168 Depth=1
	s_or_b32 exec_lo, exec_lo, s21
	v_lshlrev_b32_e32 v34, 8, v34
	v_lshl_add_u32 v24, v24, 10, 0x2000
	s_delay_alu instid0(VALU_DEP_1) | instskip(NEXT) | instid1(VALU_DEP_1)
	v_and_or_b32 v24, 0x8000, v34, v24
	v_lshl_or_b32 v2, v2, 7, v24
	s_delay_alu instid0(VALU_DEP_1)
	v_cvt_f32_f16_e32 v24, v2
.LBB290_189:                            ;   in Loop: Header=BB290_168 Depth=1
	s_or_b32 exec_lo, exec_lo, s20
.LBB290_190:                            ;   in Loop: Header=BB290_168 Depth=1
	s_delay_alu instid0(SALU_CYCLE_1)
	s_or_b32 exec_lo, exec_lo, s18
.LBB290_191:                            ;   in Loop: Header=BB290_168 Depth=1
	s_delay_alu instid0(SALU_CYCLE_1) | instskip(NEXT) | instid1(SALU_CYCLE_1)
	s_or_b32 exec_lo, exec_lo, s0
	s_mov_b32 s0, exec_lo
	v_cmpx_lt_u32_e32 0xffffff, v10
	s_cbranch_execz .LBB290_199
; %bb.192:                              ;   in Loop: Header=BB290_168 Depth=1
	v_lshrrev_b32_e32 v34, 24, v10
	v_bfrev_b32_e32 v25, 1
	s_mov_b32 s18, exec_lo
	s_delay_alu instid0(VALU_DEP_2)
	v_cmpx_ne_u32_e32 0x80, v34
	s_cbranch_execz .LBB290_198
; %bb.193:                              ;   in Loop: Header=BB290_168 Depth=1
	v_and_b32_e32 v35, 0x7f, v34
	v_mov_b32_e32 v25, 0x7fc02000
	s_mov_b32 s20, exec_lo
	s_delay_alu instid0(VALU_DEP_2)
	v_cmpx_ne_u32_e32 0x7f, v35
	s_cbranch_execz .LBB290_197
; %bb.194:                              ;   in Loop: Header=BB290_168 Depth=1
	v_and_b32_e32 v2, 7, v34
	v_lshrrev_b32_e32 v25, 3, v35
	s_mov_b32 s21, exec_lo
	v_cmpx_gt_u32_e32 8, v35
; %bb.195:                              ;   in Loop: Header=BB290_168 Depth=1
	s_delay_alu instid0(VALU_DEP_3) | instskip(NEXT) | instid1(VALU_DEP_1)
	v_clz_i32_u32_e32 v25, v2
	v_min_u32_e32 v25, 32, v25
	s_delay_alu instid0(VALU_DEP_1) | instskip(SKIP_1) | instid1(VALU_DEP_2)
	v_subrev_nc_u32_e32 v35, 28, v25
	v_sub_nc_u32_e32 v25, 29, v25
	v_lshlrev_b64 v[35:36], v35, v[2:3]
	s_delay_alu instid0(VALU_DEP_1)
	v_and_b32_e32 v2, 7, v35
; %bb.196:                              ;   in Loop: Header=BB290_168 Depth=1
	s_or_b32 exec_lo, exec_lo, s21
	v_lshlrev_b32_e32 v34, 8, v34
	v_lshl_add_u32 v25, v25, 10, 0x2000
	s_delay_alu instid0(VALU_DEP_1) | instskip(NEXT) | instid1(VALU_DEP_1)
	v_and_or_b32 v25, 0x8000, v34, v25
	v_lshl_or_b32 v2, v2, 7, v25
	s_delay_alu instid0(VALU_DEP_1)
	v_cvt_f32_f16_e32 v25, v2
.LBB290_197:                            ;   in Loop: Header=BB290_168 Depth=1
	s_or_b32 exec_lo, exec_lo, s20
.LBB290_198:                            ;   in Loop: Header=BB290_168 Depth=1
	s_delay_alu instid0(SALU_CYCLE_1)
	s_or_b32 exec_lo, exec_lo, s18
.LBB290_199:                            ;   in Loop: Header=BB290_168 Depth=1
	s_delay_alu instid0(SALU_CYCLE_1) | instskip(SKIP_4) | instid1(VALU_DEP_3)
	s_or_b32 exec_lo, exec_lo, s0
	v_dual_mov_b32 v35, 0 :: v_dual_and_b32 v36, 0xff, v11
	v_mov_b32_e32 v2, v11
	v_mov_b32_e32 v34, 0
	s_mov_b32 s0, exec_lo
	v_cmpx_ne_u16_e32 0, v36
	s_cbranch_execz .LBB290_205
; %bb.200:                              ;   in Loop: Header=BB290_168 Depth=1
	v_bfrev_b32_e32 v34, 1
	s_mov_b32 s18, exec_lo
	v_cmpx_ne_u16_e32 0x80, v36
	s_cbranch_execz .LBB290_204
; %bb.201:                              ;   in Loop: Header=BB290_168 Depth=1
	v_and_b32_e32 v36, 0x7f, v11
	v_mov_b32_e32 v34, 0x7fc02000
	s_mov_b32 s20, exec_lo
	s_delay_alu instid0(VALU_DEP_2)
	v_cmpx_ne_u32_e32 0x7f, v36
	s_cbranch_execz .LBB290_203
; %bb.202:                              ;   in Loop: Header=BB290_168 Depth=1
	v_and_b32_e32 v34, 7, v11
	v_cmp_gt_u32_e32 vcc_lo, 8, v36
	v_lshrrev_b32_e32 v37, 3, v36
	s_delay_alu instid0(VALU_DEP_3) | instskip(NEXT) | instid1(VALU_DEP_1)
	v_clz_i32_u32_e32 v34, v34
	v_min_u32_e32 v34, 32, v34
	s_delay_alu instid0(VALU_DEP_1) | instskip(SKIP_1) | instid1(VALU_DEP_2)
	v_subrev_nc_u32_e32 v38, 28, v34
	v_sub_nc_u32_e32 v34, 29, v34
	v_cndmask_b32_e32 v36, 0, v38, vcc_lo
	s_delay_alu instid0(VALU_DEP_2) | instskip(NEXT) | instid1(VALU_DEP_2)
	v_cndmask_b32_e32 v34, v37, v34, vcc_lo
	v_lshlrev_b64 v[36:37], v36, v[2:3]
	v_lshlrev_b32_e32 v37, 8, v11
	s_delay_alu instid0(VALU_DEP_3) | instskip(NEXT) | instid1(VALU_DEP_3)
	v_lshl_add_u32 v34, v34, 10, 0x2000
	v_lshlrev_b32_e32 v36, 7, v36
	s_delay_alu instid0(VALU_DEP_2) | instskip(NEXT) | instid1(VALU_DEP_1)
	v_and_or_b32 v34, 0x8000, v37, v34
	v_and_or_b32 v34, 0x380, v36, v34
	s_delay_alu instid0(VALU_DEP_1)
	v_cvt_f32_f16_e32 v34, v34
.LBB290_203:                            ;   in Loop: Header=BB290_168 Depth=1
	s_or_b32 exec_lo, exec_lo, s20
.LBB290_204:                            ;   in Loop: Header=BB290_168 Depth=1
	s_delay_alu instid0(SALU_CYCLE_1)
	s_or_b32 exec_lo, exec_lo, s18
.LBB290_205:                            ;   in Loop: Header=BB290_168 Depth=1
	s_delay_alu instid0(SALU_CYCLE_1) | instskip(SKIP_2) | instid1(VALU_DEP_1)
	s_or_b32 exec_lo, exec_lo, s0
	v_lshrrev_b16 v2, 8, v2
	s_mov_b32 s0, exec_lo
	v_cmpx_ne_u16_e32 0, v2
	s_cbranch_execz .LBB290_213
; %bb.206:                              ;   in Loop: Header=BB290_168 Depth=1
	v_bfrev_b32_e32 v35, 1
	s_mov_b32 s18, exec_lo
	v_cmpx_ne_u16_e32 0x80, v2
	s_cbranch_execz .LBB290_212
; %bb.207:                              ;   in Loop: Header=BB290_168 Depth=1
	v_and_b32_e32 v36, 0xffff, v2
	v_mov_b32_e32 v35, 0x7fc02000
	s_mov_b32 s20, exec_lo
	s_delay_alu instid0(VALU_DEP_2) | instskip(NEXT) | instid1(VALU_DEP_1)
	v_and_b32_e32 v37, 0x7f, v36
	v_cmpx_ne_u32_e32 0x7f, v37
	s_cbranch_execz .LBB290_211
; %bb.208:                              ;   in Loop: Header=BB290_168 Depth=1
	v_and_b32_e32 v2, 7, v36
	v_lshrrev_b32_e32 v35, 3, v37
	s_mov_b32 s21, exec_lo
	v_cmpx_gt_u32_e32 8, v37
; %bb.209:                              ;   in Loop: Header=BB290_168 Depth=1
	s_delay_alu instid0(VALU_DEP_3) | instskip(NEXT) | instid1(VALU_DEP_1)
	v_clz_i32_u32_e32 v35, v2
	v_min_u32_e32 v35, 32, v35
	s_delay_alu instid0(VALU_DEP_1) | instskip(SKIP_1) | instid1(VALU_DEP_2)
	v_subrev_nc_u32_e32 v37, 28, v35
	v_sub_nc_u32_e32 v35, 29, v35
	v_lshlrev_b64 v[37:38], v37, v[2:3]
	s_delay_alu instid0(VALU_DEP_1)
	v_and_b32_e32 v2, 7, v37
; %bb.210:                              ;   in Loop: Header=BB290_168 Depth=1
	s_or_b32 exec_lo, exec_lo, s21
	v_lshlrev_b32_e32 v36, 8, v36
	v_lshl_add_u32 v35, v35, 10, 0x2000
	s_delay_alu instid0(VALU_DEP_1) | instskip(NEXT) | instid1(VALU_DEP_1)
	v_and_or_b32 v35, 0x8000, v36, v35
	v_lshl_or_b32 v2, v2, 7, v35
	s_delay_alu instid0(VALU_DEP_1)
	v_cvt_f32_f16_e32 v35, v2
.LBB290_211:                            ;   in Loop: Header=BB290_168 Depth=1
	s_or_b32 exec_lo, exec_lo, s20
.LBB290_212:                            ;   in Loop: Header=BB290_168 Depth=1
	s_delay_alu instid0(SALU_CYCLE_1)
	s_or_b32 exec_lo, exec_lo, s18
.LBB290_213:                            ;   in Loop: Header=BB290_168 Depth=1
	s_delay_alu instid0(SALU_CYCLE_1) | instskip(SKIP_3) | instid1(VALU_DEP_2)
	s_or_b32 exec_lo, exec_lo, s0
	v_lshrrev_b32_e32 v38, 16, v11
	v_mov_b32_e32 v36, 0
	s_mov_b32 s0, exec_lo
	v_dual_mov_b32 v37, 0 :: v_dual_and_b32 v2, 0xff, v38
	s_delay_alu instid0(VALU_DEP_1)
	v_cmpx_ne_u16_e32 0, v2
	s_cbranch_execz .LBB290_221
; %bb.214:                              ;   in Loop: Header=BB290_168 Depth=1
	v_bfrev_b32_e32 v36, 1
	s_mov_b32 s18, exec_lo
	v_cmpx_ne_u16_e32 0x80, v2
	s_cbranch_execz .LBB290_220
; %bb.215:                              ;   in Loop: Header=BB290_168 Depth=1
	v_bfe_u32 v39, v11, 16, 7
	v_mov_b32_e32 v36, 0x7fc02000
	s_mov_b32 s20, exec_lo
	s_delay_alu instid0(VALU_DEP_2)
	v_cmpx_ne_u32_e32 0x7f, v39
	s_cbranch_execz .LBB290_219
; %bb.216:                              ;   in Loop: Header=BB290_168 Depth=1
	v_and_b32_e32 v2, 7, v38
	v_lshrrev_b32_e32 v36, 3, v39
	s_mov_b32 s21, exec_lo
	v_cmpx_gt_u32_e32 8, v39
; %bb.217:                              ;   in Loop: Header=BB290_168 Depth=1
	s_delay_alu instid0(VALU_DEP_3) | instskip(NEXT) | instid1(VALU_DEP_1)
	v_clz_i32_u32_e32 v36, v2
	v_min_u32_e32 v36, 32, v36
	s_delay_alu instid0(VALU_DEP_1) | instskip(SKIP_1) | instid1(VALU_DEP_2)
	v_subrev_nc_u32_e32 v39, 28, v36
	v_sub_nc_u32_e32 v36, 29, v36
	v_lshlrev_b64 v[39:40], v39, v[2:3]
	s_delay_alu instid0(VALU_DEP_1)
	v_and_b32_e32 v2, 7, v39
; %bb.218:                              ;   in Loop: Header=BB290_168 Depth=1
	s_or_b32 exec_lo, exec_lo, s21
	v_lshlrev_b32_e32 v38, 8, v38
	v_lshl_add_u32 v36, v36, 10, 0x2000
	s_delay_alu instid0(VALU_DEP_1) | instskip(NEXT) | instid1(VALU_DEP_1)
	v_and_or_b32 v36, 0x8000, v38, v36
	v_lshl_or_b32 v2, v2, 7, v36
	s_delay_alu instid0(VALU_DEP_1)
	v_cvt_f32_f16_e32 v36, v2
.LBB290_219:                            ;   in Loop: Header=BB290_168 Depth=1
	s_or_b32 exec_lo, exec_lo, s20
.LBB290_220:                            ;   in Loop: Header=BB290_168 Depth=1
	s_delay_alu instid0(SALU_CYCLE_1)
	s_or_b32 exec_lo, exec_lo, s18
.LBB290_221:                            ;   in Loop: Header=BB290_168 Depth=1
	s_delay_alu instid0(SALU_CYCLE_1) | instskip(NEXT) | instid1(SALU_CYCLE_1)
	s_or_b32 exec_lo, exec_lo, s0
	s_mov_b32 s0, exec_lo
	v_cmpx_lt_u64_e64 s[8:9], v[10:11]
	s_cbranch_execz .LBB290_229
; %bb.222:                              ;   in Loop: Header=BB290_168 Depth=1
	v_lshrrev_b32_e32 v10, 24, v11
	v_bfrev_b32_e32 v37, 1
	s_mov_b32 s18, exec_lo
	s_delay_alu instid0(VALU_DEP_2)
	v_cmpx_ne_u32_e32 0x80, v10
	s_cbranch_execz .LBB290_228
; %bb.223:                              ;   in Loop: Header=BB290_168 Depth=1
	v_and_b32_e32 v38, 0x7f, v10
	v_mov_b32_e32 v37, 0x7fc02000
	s_mov_b32 s20, exec_lo
	s_delay_alu instid0(VALU_DEP_2)
	v_cmpx_ne_u32_e32 0x7f, v38
	s_cbranch_execz .LBB290_227
; %bb.224:                              ;   in Loop: Header=BB290_168 Depth=1
	v_and_b32_e32 v2, 7, v10
	v_lshrrev_b32_e32 v11, 3, v38
	s_mov_b32 s21, exec_lo
	v_cmpx_gt_u32_e32 8, v38
; %bb.225:                              ;   in Loop: Header=BB290_168 Depth=1
	s_delay_alu instid0(VALU_DEP_3) | instskip(NEXT) | instid1(VALU_DEP_1)
	v_clz_i32_u32_e32 v11, v2
	v_min_u32_e32 v11, 32, v11
	s_delay_alu instid0(VALU_DEP_1) | instskip(SKIP_1) | instid1(VALU_DEP_2)
	v_subrev_nc_u32_e32 v37, 28, v11
	v_sub_nc_u32_e32 v11, 29, v11
	v_lshlrev_b64 v[37:38], v37, v[2:3]
	s_delay_alu instid0(VALU_DEP_1)
	v_and_b32_e32 v2, 7, v37
; %bb.226:                              ;   in Loop: Header=BB290_168 Depth=1
	s_or_b32 exec_lo, exec_lo, s21
	v_lshlrev_b32_e32 v10, 8, v10
	v_lshl_add_u32 v11, v11, 10, 0x2000
	s_delay_alu instid0(VALU_DEP_1) | instskip(NEXT) | instid1(VALU_DEP_1)
	v_and_or_b32 v10, 0x8000, v10, v11
	v_lshl_or_b32 v2, v2, 7, v10
	s_delay_alu instid0(VALU_DEP_1)
	v_cvt_f32_f16_e32 v37, v2
.LBB290_227:                            ;   in Loop: Header=BB290_168 Depth=1
	s_or_b32 exec_lo, exec_lo, s20
.LBB290_228:                            ;   in Loop: Header=BB290_168 Depth=1
	s_delay_alu instid0(SALU_CYCLE_1)
	s_or_b32 exec_lo, exec_lo, s18
.LBB290_229:                            ;   in Loop: Header=BB290_168 Depth=1
	s_delay_alu instid0(SALU_CYCLE_1)
	s_or_b32 exec_lo, exec_lo, s0
	s_waitcnt vmcnt(0)
	v_fma_mixlo_f16 v2, v21, v25, 0
	v_fma_mixlo_f16 v10, v21, v24, 0
	;; [unrolled: 1-line block ×8, first 2 shown]
	v_lshlrev_b32_e32 v2, 16, v2
	v_and_b32_e32 v10, 0xffff, v10
	v_lshlrev_b32_e32 v11, 16, v11
	v_and_b32_e32 v21, 0xffff, v22
	;; [unrolled: 2-line block ×4, first 2 shown]
	v_cmp_eq_u32_e32 vcc_lo, s42, v1
	v_or_b32_e32 v35, v2, v10
	v_or_b32_e32 v37, v11, v21
	;; [unrolled: 1-line block ×4, first 2 shown]
	v_add_nc_u32_e32 v25, 1, v13
	v_or_b32_e32 v24, 3, v13
	v_or_b32_e32 v23, 2, v13
	;; [unrolled: 1-line block ×6, first 2 shown]
	s_and_saveexec_b32 s18, vcc_lo
	s_cbranch_execz .LBB290_231
; %bb.230:                              ;   in Loop: Header=BB290_168 Depth=1
	v_cmp_gt_i32_e64 s0, s15, v13
	v_lshrrev_b32_e32 v38, 16, v37
	v_lshrrev_b32_e32 v39, 16, v35
	;; [unrolled: 1-line block ×4, first 2 shown]
	v_cndmask_b32_e64 v37, 0, v37, s0
	v_cmp_gt_i32_e64 s0, s14, v25
	s_delay_alu instid0(VALU_DEP_1) | instskip(SKIP_1) | instid1(VALU_DEP_2)
	v_cndmask_b32_e64 v38, 0, v38, s0
	v_cmp_gt_i32_e64 s0, s14, v24
	v_perm_b32 v37, v38, v37, 0x5040100
	s_delay_alu instid0(VALU_DEP_2) | instskip(SKIP_1) | instid1(VALU_DEP_1)
	v_cndmask_b32_e64 v39, 0, v39, s0
	v_cmp_gt_i32_e64 s0, s15, v23
	v_cndmask_b32_e64 v35, 0, v35, s0
	v_cmp_gt_i32_e64 s0, s14, v22
	s_delay_alu instid0(VALU_DEP_2) | instskip(NEXT) | instid1(VALU_DEP_2)
	v_perm_b32 v35, v39, v35, 0x5040100
	v_cndmask_b32_e64 v40, 0, v40, s0
	v_cmp_gt_i32_e64 s0, s15, v21
	s_delay_alu instid0(VALU_DEP_1) | instskip(SKIP_1) | instid1(VALU_DEP_2)
	v_cndmask_b32_e64 v2, 0, v2, s0
	v_cmp_gt_i32_e64 s0, s14, v11
	v_perm_b32 v2, v40, v2, 0x5040100
	s_delay_alu instid0(VALU_DEP_2) | instskip(SKIP_1) | instid1(VALU_DEP_1)
	v_cndmask_b32_e64 v34, 0, v34, s0
	v_cmp_gt_i32_e64 s0, s15, v10
	v_cndmask_b32_e64 v36, 0, v36, s0
	s_delay_alu instid0(VALU_DEP_1)
	v_perm_b32 v34, v34, v36, 0x5040100
.LBB290_231:                            ;   in Loop: Header=BB290_168 Depth=1
	s_or_b32 exec_lo, exec_lo, s18
	v_and_b32_e32 v26, 0xffff, v26
	v_and_b32_e32 v30, 0xffff, v30
	;; [unrolled: 1-line block ×4, first 2 shown]
	s_mov_b32 s18, exec_lo
	s_delay_alu instid0(VALU_DEP_3) | instskip(NEXT) | instid1(VALU_DEP_3)
	v_lshl_or_b32 v30, v28, 16, v30
	v_lshl_or_b32 v29, v29, 16, v36
	s_delay_alu instid0(VALU_DEP_3)
	v_lshl_or_b32 v28, v31, 16, v33
	v_mov_b32_e32 v33, 0
	v_lshl_or_b32 v32, v27, 16, v26
	;;#ASMSTART
	v_pk_mul_f16 v26, v32, v37;

	;;#ASMEND
	;;#ASMSTART
	v_pk_mul_f16 v27, v30, v35;

	;;#ASMEND
	;;#ASMSTART
	v_pk_mul_f16 v2, v29, v2;

	;;#ASMEND
	;;#ASMSTART
	v_pk_mul_f16 v31, v28, v34;

	;;#ASMEND
	v_mov_b32_e32 v34, 0
	;;#ASMSTART
	v_pk_add_f16 v26, v26, v27;

	;;#ASMEND
	;;#ASMSTART
	v_pk_add_f16 v2, v26, v2;

	;;#ASMEND
	;; [unrolled: 4-line block ×3, first 2 shown]
	v_and_b32_e32 v26, 0xffff, v2
	v_lshrrev_b32_e32 v2, 16, v2
	;;#ASMSTART
	v_cvt_f32_f16 v26, v26;
	;;#ASMEND
	;;#ASMSTART
	v_cvt_f32_f16 v27, v2;
	;;#ASMEND
	global_load_b64 v[8:9], v[8:9], off offset:256
	global_load_b32 v31, v3, s[10:11]
	s_waitcnt vmcnt(1)
	v_and_b32_e32 v2, 0xff, v8
	s_delay_alu instid0(VALU_DEP_1)
	v_cmpx_ne_u16_e32 0, v2
	s_cbranch_execz .LBB290_237
; %bb.232:                              ;   in Loop: Header=BB290_168 Depth=1
	v_bfrev_b32_e32 v33, 1
	s_mov_b32 s20, exec_lo
	v_cmpx_ne_u16_e32 0x80, v2
	s_cbranch_execz .LBB290_236
; %bb.233:                              ;   in Loop: Header=BB290_168 Depth=1
	v_and_b32_e32 v2, 0x7f, v8
	v_mov_b32_e32 v33, 0x7fc02000
	s_mov_b32 s21, exec_lo
	s_delay_alu instid0(VALU_DEP_2)
	v_cmpx_ne_u32_e32 0x7f, v2
	s_cbranch_execz .LBB290_235
; %bb.234:                              ;   in Loop: Header=BB290_168 Depth=1
	v_and_b32_e32 v33, 7, v8
	v_cmp_gt_u32_e64 s0, 8, v2
	v_lshrrev_b32_e32 v35, 3, v2
	s_delay_alu instid0(VALU_DEP_3) | instskip(NEXT) | instid1(VALU_DEP_1)
	v_clz_i32_u32_e32 v33, v33
	v_min_u32_e32 v33, 32, v33
	s_delay_alu instid0(VALU_DEP_1) | instskip(SKIP_1) | instid1(VALU_DEP_2)
	v_subrev_nc_u32_e32 v36, 28, v33
	v_sub_nc_u32_e32 v33, 29, v33
	v_cndmask_b32_e64 v2, 0, v36, s0
	s_delay_alu instid0(VALU_DEP_2) | instskip(NEXT) | instid1(VALU_DEP_2)
	v_cndmask_b32_e64 v33, v35, v33, s0
	v_lshlrev_b64 v[35:36], v2, v[8:9]
	v_lshlrev_b32_e32 v2, 8, v8
	s_delay_alu instid0(VALU_DEP_3) | instskip(NEXT) | instid1(VALU_DEP_3)
	v_lshl_add_u32 v33, v33, 10, 0x2000
	v_lshlrev_b32_e32 v35, 7, v35
	s_delay_alu instid0(VALU_DEP_2) | instskip(NEXT) | instid1(VALU_DEP_1)
	v_and_or_b32 v2, 0x8000, v2, v33
	v_and_or_b32 v2, 0x380, v35, v2
	s_delay_alu instid0(VALU_DEP_1)
	v_cvt_f32_f16_e32 v33, v2
.LBB290_235:                            ;   in Loop: Header=BB290_168 Depth=1
	s_or_b32 exec_lo, exec_lo, s21
.LBB290_236:                            ;   in Loop: Header=BB290_168 Depth=1
	s_delay_alu instid0(SALU_CYCLE_1)
	s_or_b32 exec_lo, exec_lo, s20
.LBB290_237:                            ;   in Loop: Header=BB290_168 Depth=1
	s_delay_alu instid0(SALU_CYCLE_1) | instskip(SKIP_2) | instid1(VALU_DEP_1)
	s_or_b32 exec_lo, exec_lo, s18
	v_lshrrev_b16 v2, 8, v8
	s_mov_b32 s18, exec_lo
	v_cmpx_ne_u16_e32 0, v2
	s_cbranch_execz .LBB290_245
; %bb.238:                              ;   in Loop: Header=BB290_168 Depth=1
	v_bfrev_b32_e32 v34, 1
	s_mov_b32 s20, exec_lo
	v_cmpx_ne_u16_e32 0x80, v2
	s_cbranch_execz .LBB290_244
; %bb.239:                              ;   in Loop: Header=BB290_168 Depth=1
	v_and_b32_e32 v35, 0xffff, v2
	v_mov_b32_e32 v34, 0x7fc02000
	s_mov_b32 s21, exec_lo
	s_delay_alu instid0(VALU_DEP_2) | instskip(NEXT) | instid1(VALU_DEP_1)
	v_and_b32_e32 v36, 0x7f, v35
	v_cmpx_ne_u32_e32 0x7f, v36
	s_cbranch_execz .LBB290_243
; %bb.240:                              ;   in Loop: Header=BB290_168 Depth=1
	v_and_b32_e32 v2, 7, v35
	v_lshrrev_b32_e32 v34, 3, v36
	s_mov_b32 s22, exec_lo
	v_cmpx_gt_u32_e32 8, v36
; %bb.241:                              ;   in Loop: Header=BB290_168 Depth=1
	s_delay_alu instid0(VALU_DEP_3) | instskip(NEXT) | instid1(VALU_DEP_1)
	v_clz_i32_u32_e32 v34, v2
	v_min_u32_e32 v34, 32, v34
	s_delay_alu instid0(VALU_DEP_1) | instskip(SKIP_1) | instid1(VALU_DEP_2)
	v_subrev_nc_u32_e32 v36, 28, v34
	v_sub_nc_u32_e32 v34, 29, v34
	v_lshlrev_b64 v[36:37], v36, v[2:3]
	s_delay_alu instid0(VALU_DEP_1)
	v_and_b32_e32 v2, 7, v36
; %bb.242:                              ;   in Loop: Header=BB290_168 Depth=1
	s_or_b32 exec_lo, exec_lo, s22
	v_lshlrev_b32_e32 v35, 8, v35
	v_lshl_add_u32 v34, v34, 10, 0x2000
	s_delay_alu instid0(VALU_DEP_1) | instskip(NEXT) | instid1(VALU_DEP_1)
	v_and_or_b32 v34, 0x8000, v35, v34
	v_lshl_or_b32 v2, v2, 7, v34
	s_delay_alu instid0(VALU_DEP_1)
	v_cvt_f32_f16_e32 v34, v2
.LBB290_243:                            ;   in Loop: Header=BB290_168 Depth=1
	s_or_b32 exec_lo, exec_lo, s21
.LBB290_244:                            ;   in Loop: Header=BB290_168 Depth=1
	s_delay_alu instid0(SALU_CYCLE_1)
	s_or_b32 exec_lo, exec_lo, s20
.LBB290_245:                            ;   in Loop: Header=BB290_168 Depth=1
	s_delay_alu instid0(SALU_CYCLE_1) | instskip(SKIP_3) | instid1(VALU_DEP_2)
	s_or_b32 exec_lo, exec_lo, s18
	v_lshrrev_b32_e32 v37, 16, v8
	v_mov_b32_e32 v36, 0
	s_mov_b32 s18, exec_lo
	v_dual_mov_b32 v35, 0 :: v_dual_and_b32 v2, 0xff, v37
	s_delay_alu instid0(VALU_DEP_1)
	v_cmpx_ne_u16_e32 0, v2
	s_cbranch_execz .LBB290_253
; %bb.246:                              ;   in Loop: Header=BB290_168 Depth=1
	v_bfrev_b32_e32 v35, 1
	s_mov_b32 s20, exec_lo
	v_cmpx_ne_u16_e32 0x80, v2
	s_cbranch_execz .LBB290_252
; %bb.247:                              ;   in Loop: Header=BB290_168 Depth=1
	v_bfe_u32 v38, v8, 16, 7
	v_mov_b32_e32 v35, 0x7fc02000
	s_mov_b32 s21, exec_lo
	s_delay_alu instid0(VALU_DEP_2)
	v_cmpx_ne_u32_e32 0x7f, v38
	s_cbranch_execz .LBB290_251
; %bb.248:                              ;   in Loop: Header=BB290_168 Depth=1
	v_and_b32_e32 v2, 7, v37
	v_lshrrev_b32_e32 v35, 3, v38
	s_mov_b32 s22, exec_lo
	v_cmpx_gt_u32_e32 8, v38
; %bb.249:                              ;   in Loop: Header=BB290_168 Depth=1
	s_delay_alu instid0(VALU_DEP_3) | instskip(NEXT) | instid1(VALU_DEP_1)
	v_clz_i32_u32_e32 v35, v2
	v_min_u32_e32 v35, 32, v35
	s_delay_alu instid0(VALU_DEP_1) | instskip(SKIP_1) | instid1(VALU_DEP_2)
	v_subrev_nc_u32_e32 v38, 28, v35
	v_sub_nc_u32_e32 v35, 29, v35
	v_lshlrev_b64 v[38:39], v38, v[2:3]
	s_delay_alu instid0(VALU_DEP_1)
	v_and_b32_e32 v2, 7, v38
; %bb.250:                              ;   in Loop: Header=BB290_168 Depth=1
	s_or_b32 exec_lo, exec_lo, s22
	v_lshlrev_b32_e32 v37, 8, v37
	v_lshl_add_u32 v35, v35, 10, 0x2000
	s_delay_alu instid0(VALU_DEP_1) | instskip(NEXT) | instid1(VALU_DEP_1)
	v_and_or_b32 v35, 0x8000, v37, v35
	v_lshl_or_b32 v2, v2, 7, v35
	s_delay_alu instid0(VALU_DEP_1)
	v_cvt_f32_f16_e32 v35, v2
.LBB290_251:                            ;   in Loop: Header=BB290_168 Depth=1
	s_or_b32 exec_lo, exec_lo, s21
.LBB290_252:                            ;   in Loop: Header=BB290_168 Depth=1
	s_delay_alu instid0(SALU_CYCLE_1)
	s_or_b32 exec_lo, exec_lo, s20
.LBB290_253:                            ;   in Loop: Header=BB290_168 Depth=1
	s_delay_alu instid0(SALU_CYCLE_1) | instskip(NEXT) | instid1(SALU_CYCLE_1)
	s_or_b32 exec_lo, exec_lo, s18
	s_mov_b32 s18, exec_lo
	v_cmpx_lt_u32_e32 0xffffff, v8
	s_cbranch_execz .LBB290_261
; %bb.254:                              ;   in Loop: Header=BB290_168 Depth=1
	v_lshrrev_b32_e32 v37, 24, v8
	v_bfrev_b32_e32 v36, 1
	s_mov_b32 s20, exec_lo
	s_delay_alu instid0(VALU_DEP_2)
	v_cmpx_ne_u32_e32 0x80, v37
	s_cbranch_execz .LBB290_260
; %bb.255:                              ;   in Loop: Header=BB290_168 Depth=1
	v_and_b32_e32 v38, 0x7f, v37
	v_mov_b32_e32 v36, 0x7fc02000
	s_mov_b32 s21, exec_lo
	s_delay_alu instid0(VALU_DEP_2)
	v_cmpx_ne_u32_e32 0x7f, v38
	s_cbranch_execz .LBB290_259
; %bb.256:                              ;   in Loop: Header=BB290_168 Depth=1
	v_and_b32_e32 v2, 7, v37
	v_lshrrev_b32_e32 v36, 3, v38
	s_mov_b32 s22, exec_lo
	v_cmpx_gt_u32_e32 8, v38
; %bb.257:                              ;   in Loop: Header=BB290_168 Depth=1
	s_delay_alu instid0(VALU_DEP_3) | instskip(NEXT) | instid1(VALU_DEP_1)
	v_clz_i32_u32_e32 v36, v2
	v_min_u32_e32 v36, 32, v36
	s_delay_alu instid0(VALU_DEP_1) | instskip(SKIP_1) | instid1(VALU_DEP_2)
	v_subrev_nc_u32_e32 v38, 28, v36
	v_sub_nc_u32_e32 v36, 29, v36
	v_lshlrev_b64 v[38:39], v38, v[2:3]
	s_delay_alu instid0(VALU_DEP_1)
	v_and_b32_e32 v2, 7, v38
; %bb.258:                              ;   in Loop: Header=BB290_168 Depth=1
	s_or_b32 exec_lo, exec_lo, s22
	v_lshlrev_b32_e32 v37, 8, v37
	v_lshl_add_u32 v36, v36, 10, 0x2000
	s_delay_alu instid0(VALU_DEP_1) | instskip(NEXT) | instid1(VALU_DEP_1)
	v_and_or_b32 v36, 0x8000, v37, v36
	v_lshl_or_b32 v2, v2, 7, v36
	s_delay_alu instid0(VALU_DEP_1)
	v_cvt_f32_f16_e32 v36, v2
.LBB290_259:                            ;   in Loop: Header=BB290_168 Depth=1
	s_or_b32 exec_lo, exec_lo, s21
.LBB290_260:                            ;   in Loop: Header=BB290_168 Depth=1
	s_delay_alu instid0(SALU_CYCLE_1)
	s_or_b32 exec_lo, exec_lo, s20
.LBB290_261:                            ;   in Loop: Header=BB290_168 Depth=1
	s_delay_alu instid0(SALU_CYCLE_1) | instskip(SKIP_3) | instid1(VALU_DEP_2)
	s_or_b32 exec_lo, exec_lo, s18
	v_dual_mov_b32 v2, v9 :: v_dual_and_b32 v39, 0xff, v9
	v_dual_mov_b32 v38, 0 :: v_dual_mov_b32 v37, 0
	s_mov_b32 s18, exec_lo
	v_cmpx_ne_u16_e32 0, v39
	s_cbranch_execz .LBB290_267
; %bb.262:                              ;   in Loop: Header=BB290_168 Depth=1
	v_bfrev_b32_e32 v37, 1
	s_mov_b32 s20, exec_lo
	v_cmpx_ne_u16_e32 0x80, v39
	s_cbranch_execz .LBB290_266
; %bb.263:                              ;   in Loop: Header=BB290_168 Depth=1
	v_and_b32_e32 v39, 0x7f, v9
	v_mov_b32_e32 v37, 0x7fc02000
	s_mov_b32 s21, exec_lo
	s_delay_alu instid0(VALU_DEP_2)
	v_cmpx_ne_u32_e32 0x7f, v39
	s_cbranch_execz .LBB290_265
; %bb.264:                              ;   in Loop: Header=BB290_168 Depth=1
	v_and_b32_e32 v37, 7, v9
	v_cmp_gt_u32_e64 s0, 8, v39
	v_lshrrev_b32_e32 v40, 3, v39
	s_delay_alu instid0(VALU_DEP_3) | instskip(NEXT) | instid1(VALU_DEP_1)
	v_clz_i32_u32_e32 v37, v37
	v_min_u32_e32 v37, 32, v37
	s_delay_alu instid0(VALU_DEP_1) | instskip(SKIP_1) | instid1(VALU_DEP_2)
	v_subrev_nc_u32_e32 v41, 28, v37
	v_sub_nc_u32_e32 v37, 29, v37
	v_cndmask_b32_e64 v39, 0, v41, s0
	s_delay_alu instid0(VALU_DEP_2) | instskip(NEXT) | instid1(VALU_DEP_2)
	v_cndmask_b32_e64 v37, v40, v37, s0
	v_lshlrev_b64 v[39:40], v39, v[2:3]
	v_lshlrev_b32_e32 v40, 8, v9
	s_delay_alu instid0(VALU_DEP_3) | instskip(NEXT) | instid1(VALU_DEP_3)
	v_lshl_add_u32 v37, v37, 10, 0x2000
	v_lshlrev_b32_e32 v39, 7, v39
	s_delay_alu instid0(VALU_DEP_2) | instskip(NEXT) | instid1(VALU_DEP_1)
	v_and_or_b32 v37, 0x8000, v40, v37
	v_and_or_b32 v37, 0x380, v39, v37
	s_delay_alu instid0(VALU_DEP_1)
	v_cvt_f32_f16_e32 v37, v37
.LBB290_265:                            ;   in Loop: Header=BB290_168 Depth=1
	s_or_b32 exec_lo, exec_lo, s21
.LBB290_266:                            ;   in Loop: Header=BB290_168 Depth=1
	s_delay_alu instid0(SALU_CYCLE_1)
	s_or_b32 exec_lo, exec_lo, s20
.LBB290_267:                            ;   in Loop: Header=BB290_168 Depth=1
	s_delay_alu instid0(SALU_CYCLE_1) | instskip(SKIP_2) | instid1(VALU_DEP_1)
	s_or_b32 exec_lo, exec_lo, s18
	v_lshrrev_b16 v2, 8, v2
	s_mov_b32 s18, exec_lo
	v_cmpx_ne_u16_e32 0, v2
	s_cbranch_execz .LBB290_275
; %bb.268:                              ;   in Loop: Header=BB290_168 Depth=1
	v_bfrev_b32_e32 v38, 1
	s_mov_b32 s20, exec_lo
	v_cmpx_ne_u16_e32 0x80, v2
	s_cbranch_execz .LBB290_274
; %bb.269:                              ;   in Loop: Header=BB290_168 Depth=1
	v_and_b32_e32 v39, 0xffff, v2
	v_mov_b32_e32 v38, 0x7fc02000
	s_mov_b32 s21, exec_lo
	s_delay_alu instid0(VALU_DEP_2) | instskip(NEXT) | instid1(VALU_DEP_1)
	v_and_b32_e32 v40, 0x7f, v39
	v_cmpx_ne_u32_e32 0x7f, v40
	s_cbranch_execz .LBB290_273
; %bb.270:                              ;   in Loop: Header=BB290_168 Depth=1
	v_and_b32_e32 v2, 7, v39
	v_lshrrev_b32_e32 v38, 3, v40
	s_mov_b32 s22, exec_lo
	v_cmpx_gt_u32_e32 8, v40
; %bb.271:                              ;   in Loop: Header=BB290_168 Depth=1
	s_delay_alu instid0(VALU_DEP_3) | instskip(NEXT) | instid1(VALU_DEP_1)
	v_clz_i32_u32_e32 v38, v2
	v_min_u32_e32 v38, 32, v38
	s_delay_alu instid0(VALU_DEP_1) | instskip(SKIP_1) | instid1(VALU_DEP_2)
	v_subrev_nc_u32_e32 v40, 28, v38
	v_sub_nc_u32_e32 v38, 29, v38
	v_lshlrev_b64 v[40:41], v40, v[2:3]
	s_delay_alu instid0(VALU_DEP_1)
	v_and_b32_e32 v2, 7, v40
; %bb.272:                              ;   in Loop: Header=BB290_168 Depth=1
	s_or_b32 exec_lo, exec_lo, s22
	v_lshlrev_b32_e32 v39, 8, v39
	v_lshl_add_u32 v38, v38, 10, 0x2000
	s_delay_alu instid0(VALU_DEP_1) | instskip(NEXT) | instid1(VALU_DEP_1)
	v_and_or_b32 v38, 0x8000, v39, v38
	v_lshl_or_b32 v2, v2, 7, v38
	s_delay_alu instid0(VALU_DEP_1)
	v_cvt_f32_f16_e32 v38, v2
.LBB290_273:                            ;   in Loop: Header=BB290_168 Depth=1
	s_or_b32 exec_lo, exec_lo, s21
.LBB290_274:                            ;   in Loop: Header=BB290_168 Depth=1
	s_delay_alu instid0(SALU_CYCLE_1)
	s_or_b32 exec_lo, exec_lo, s20
.LBB290_275:                            ;   in Loop: Header=BB290_168 Depth=1
	s_delay_alu instid0(SALU_CYCLE_1) | instskip(SKIP_3) | instid1(VALU_DEP_2)
	s_or_b32 exec_lo, exec_lo, s18
	v_lshrrev_b32_e32 v41, 16, v9
	v_mov_b32_e32 v40, 0
	s_mov_b32 s18, exec_lo
	v_dual_mov_b32 v39, 0 :: v_dual_and_b32 v2, 0xff, v41
	s_delay_alu instid0(VALU_DEP_1)
	v_cmpx_ne_u16_e32 0, v2
	s_cbranch_execz .LBB290_283
; %bb.276:                              ;   in Loop: Header=BB290_168 Depth=1
	v_bfrev_b32_e32 v39, 1
	s_mov_b32 s20, exec_lo
	v_cmpx_ne_u16_e32 0x80, v2
	s_cbranch_execz .LBB290_282
; %bb.277:                              ;   in Loop: Header=BB290_168 Depth=1
	v_bfe_u32 v42, v9, 16, 7
	v_mov_b32_e32 v39, 0x7fc02000
	s_mov_b32 s21, exec_lo
	s_delay_alu instid0(VALU_DEP_2)
	v_cmpx_ne_u32_e32 0x7f, v42
	s_cbranch_execz .LBB290_281
; %bb.278:                              ;   in Loop: Header=BB290_168 Depth=1
	v_and_b32_e32 v2, 7, v41
	v_lshrrev_b32_e32 v39, 3, v42
	s_mov_b32 s22, exec_lo
	v_cmpx_gt_u32_e32 8, v42
; %bb.279:                              ;   in Loop: Header=BB290_168 Depth=1
	s_delay_alu instid0(VALU_DEP_3) | instskip(NEXT) | instid1(VALU_DEP_1)
	v_clz_i32_u32_e32 v39, v2
	v_min_u32_e32 v39, 32, v39
	s_delay_alu instid0(VALU_DEP_1) | instskip(SKIP_1) | instid1(VALU_DEP_2)
	v_subrev_nc_u32_e32 v42, 28, v39
	v_sub_nc_u32_e32 v39, 29, v39
	v_lshlrev_b64 v[42:43], v42, v[2:3]
	s_delay_alu instid0(VALU_DEP_1)
	v_and_b32_e32 v2, 7, v42
; %bb.280:                              ;   in Loop: Header=BB290_168 Depth=1
	s_or_b32 exec_lo, exec_lo, s22
	v_lshlrev_b32_e32 v41, 8, v41
	v_lshl_add_u32 v39, v39, 10, 0x2000
	s_delay_alu instid0(VALU_DEP_1) | instskip(NEXT) | instid1(VALU_DEP_1)
	v_and_or_b32 v39, 0x8000, v41, v39
	v_lshl_or_b32 v2, v2, 7, v39
	s_delay_alu instid0(VALU_DEP_1)
	v_cvt_f32_f16_e32 v39, v2
.LBB290_281:                            ;   in Loop: Header=BB290_168 Depth=1
	s_or_b32 exec_lo, exec_lo, s21
.LBB290_282:                            ;   in Loop: Header=BB290_168 Depth=1
	s_delay_alu instid0(SALU_CYCLE_1)
	s_or_b32 exec_lo, exec_lo, s20
.LBB290_283:                            ;   in Loop: Header=BB290_168 Depth=1
	s_delay_alu instid0(SALU_CYCLE_1) | instskip(NEXT) | instid1(SALU_CYCLE_1)
	s_or_b32 exec_lo, exec_lo, s18
	s_mov_b32 s18, exec_lo
	v_cmpx_lt_u64_e64 s[8:9], v[8:9]
	s_cbranch_execz .LBB290_291
; %bb.284:                              ;   in Loop: Header=BB290_168 Depth=1
	v_lshrrev_b32_e32 v8, 24, v9
	v_bfrev_b32_e32 v40, 1
	s_mov_b32 s20, exec_lo
	s_delay_alu instid0(VALU_DEP_2)
	v_cmpx_ne_u32_e32 0x80, v8
	s_cbranch_execz .LBB290_290
; %bb.285:                              ;   in Loop: Header=BB290_168 Depth=1
	v_and_b32_e32 v41, 0x7f, v8
	v_mov_b32_e32 v40, 0x7fc02000
	s_mov_b32 s21, exec_lo
	s_delay_alu instid0(VALU_DEP_2)
	v_cmpx_ne_u32_e32 0x7f, v41
	s_cbranch_execz .LBB290_289
; %bb.286:                              ;   in Loop: Header=BB290_168 Depth=1
	v_and_b32_e32 v2, 7, v8
	v_lshrrev_b32_e32 v9, 3, v41
	s_mov_b32 s22, exec_lo
	v_cmpx_gt_u32_e32 8, v41
; %bb.287:                              ;   in Loop: Header=BB290_168 Depth=1
	s_delay_alu instid0(VALU_DEP_3) | instskip(NEXT) | instid1(VALU_DEP_1)
	v_clz_i32_u32_e32 v9, v2
	v_min_u32_e32 v9, 32, v9
	s_delay_alu instid0(VALU_DEP_1) | instskip(SKIP_1) | instid1(VALU_DEP_2)
	v_subrev_nc_u32_e32 v40, 28, v9
	v_sub_nc_u32_e32 v9, 29, v9
	v_lshlrev_b64 v[40:41], v40, v[2:3]
	s_delay_alu instid0(VALU_DEP_1)
	v_and_b32_e32 v2, 7, v40
; %bb.288:                              ;   in Loop: Header=BB290_168 Depth=1
	s_or_b32 exec_lo, exec_lo, s22
	v_lshlrev_b32_e32 v8, 8, v8
	v_lshl_add_u32 v9, v9, 10, 0x2000
	s_delay_alu instid0(VALU_DEP_1) | instskip(NEXT) | instid1(VALU_DEP_1)
	v_and_or_b32 v8, 0x8000, v8, v9
	v_lshl_or_b32 v2, v2, 7, v8
	s_delay_alu instid0(VALU_DEP_1)
	v_cvt_f32_f16_e32 v40, v2
.LBB290_289:                            ;   in Loop: Header=BB290_168 Depth=1
	s_or_b32 exec_lo, exec_lo, s21
.LBB290_290:                            ;   in Loop: Header=BB290_168 Depth=1
	s_delay_alu instid0(SALU_CYCLE_1)
	s_or_b32 exec_lo, exec_lo, s20
.LBB290_291:                            ;   in Loop: Header=BB290_168 Depth=1
	s_delay_alu instid0(SALU_CYCLE_1)
	s_or_b32 exec_lo, exec_lo, s18
	s_waitcnt vmcnt(0)
	v_fma_mixlo_f16 v9, v31, v34, 0
	v_fma_mixlo_f16 v2, v31, v36, 0
	;; [unrolled: 1-line block ×5, first 2 shown]
	v_lshlrev_b32_e32 v34, 16, v9
	v_fma_mixlo_f16 v36, v31, v37, 0
	v_fma_mixlo_f16 v37, v31, v40, 0
	;; [unrolled: 1-line block ×3, first 2 shown]
	v_lshlrev_b32_e32 v2, 16, v2
	v_and_b32_e32 v8, 0xffff, v8
	v_and_b32_e32 v33, 0xffff, v33
	v_lshlrev_b32_e32 v35, 16, v35
	v_and_b32_e32 v36, 0xffff, v36
	v_lshlrev_b32_e32 v37, 16, v37
	v_and_b32_e32 v38, 0xffff, v9
	v_or_b32_e32 v31, v2, v8
	v_or_b32_e32 v33, v34, v33
	;; [unrolled: 1-line block ×3, first 2 shown]
	s_delay_alu instid0(VALU_DEP_4)
	v_or_b32_e32 v8, v37, v38
	s_and_saveexec_b32 s0, vcc_lo
	s_cbranch_execz .LBB290_166
; %bb.292:                              ;   in Loop: Header=BB290_168 Depth=1
	v_cmp_gt_i32_e32 vcc_lo, s15, v13
	v_lshrrev_b32_e32 v34, 16, v33
	v_lshrrev_b32_e32 v35, 16, v31
	;; [unrolled: 1-line block ×3, first 2 shown]
	v_cndmask_b32_e32 v33, 0, v33, vcc_lo
	v_cmp_gt_i32_e32 vcc_lo, s14, v25
	v_cndmask_b32_e32 v25, 0, v34, vcc_lo
	v_cmp_gt_i32_e32 vcc_lo, s14, v24
	v_lshrrev_b32_e32 v34, 16, v2
	v_cndmask_b32_e32 v24, 0, v35, vcc_lo
	v_cmp_gt_i32_e32 vcc_lo, s15, v23
	v_cndmask_b32_e32 v23, 0, v31, vcc_lo
	v_cmp_gt_i32_e32 vcc_lo, s14, v22
	v_cndmask_b32_e32 v22, 0, v34, vcc_lo
	v_cmp_gt_i32_e32 vcc_lo, s15, v21
	s_delay_alu instid0(VALU_DEP_4)
	v_perm_b32 v31, v24, v23, 0x5040100
	v_cndmask_b32_e32 v2, 0, v2, vcc_lo
	v_cmp_gt_i32_e32 vcc_lo, s14, v11
	v_cndmask_b32_e32 v8, 0, v8, vcc_lo
	v_cmp_gt_i32_e32 vcc_lo, s15, v10
	v_perm_b32 v33, v25, v33, 0x5040100
	v_cndmask_b32_e32 v9, 0, v9, vcc_lo
	v_perm_b32 v2, v22, v2, 0x5040100
	s_delay_alu instid0(VALU_DEP_2)
	v_perm_b32 v8, v8, v9, 0x5040100
	s_branch .LBB290_166
.LBB290_293:
	s_or_b32 exec_lo, exec_lo, s4
.LBB290_294:
	s_delay_alu instid0(SALU_CYCLE_1)
	s_or_b32 exec_lo, exec_lo, s1
	v_and_b32_e32 v2, 0x3c0, v0
	v_lshl_add_u32 v1, v12, 8, 0xa0
	s_mov_b32 s0, exec_lo
	s_waitcnt_vscnt null, 0x0
	s_barrier
	buffer_gl0_inv
	v_cmpx_eq_u32_e32 64, v2
	s_cbranch_execz .LBB290_296
; %bb.295:
	v_add3_u32 v2, v1, v16, 0xfffffe00
	ds_store_2addr_b32 v2, v18, v17 offset1:32
.LBB290_296:
	s_or_b32 exec_lo, exec_lo, s0
	v_lshl_add_u32 v2, v14, 2, v1
	s_mov_b32 s0, exec_lo
	s_waitcnt lgkmcnt(0)
	s_barrier
	buffer_gl0_inv
	v_cmpx_gt_u32_e32 64, v0
	s_cbranch_execz .LBB290_298
; %bb.297:
	v_lshl_or_b32 v3, v0, 2, 0x80
	s_delay_alu instid0(VALU_DEP_1)
	v_add_nc_u32_e32 v3, v1, v3
	ds_load_b32 v4, v2
	ds_load_b32 v3, v3
	s_waitcnt lgkmcnt(0)
	v_dual_add_f32 v18, v18, v4 :: v_dual_add_f32 v17, v17, v3
.LBB290_298:
	s_or_b32 exec_lo, exec_lo, s0
	v_and_b32_e32 v3, 0x3e0, v0
	s_mov_b32 s0, exec_lo
	s_barrier
	buffer_gl0_inv
	v_cmpx_eq_u32_e32 32, v3
	s_cbranch_execz .LBB290_300
; %bb.299:
	v_lshl_add_u32 v3, v14, 2, 0xa0
	ds_store_b32 v3, v18
	ds_store_b32 v15, v17
.LBB290_300:
	s_or_b32 exec_lo, exec_lo, s0
	s_waitcnt lgkmcnt(0)
	s_barrier
	buffer_gl0_inv
	s_and_saveexec_b32 s0, s2
	s_cbranch_execz .LBB290_302
; %bb.301:
	v_lshl_add_u32 v1, v0, 2, v1
	ds_load_b32 v2, v2
	ds_load_b32 v1, v1 offset:128
	s_waitcnt lgkmcnt(0)
	v_dual_add_f32 v18, v18, v2 :: v_dual_add_f32 v17, v17, v1
.LBB290_302:
	s_or_b32 exec_lo, exec_lo, s0
	s_barrier
	buffer_gl0_inv
	s_and_saveexec_b32 s0, s2
	s_cbranch_execz .LBB290_304
; %bb.303:
	s_lshl_b32 s0, s6, 6
	s_mul_i32 s2, s13, s12
	s_ashr_i32 s1, s0, 31
	v_lshlrev_b32_e32 v0, 1, v0
	s_lshl_b64 s[0:1], s[0:1], 1
	;;#ASMSTART
	v_cvt_f16_f32 v1, v18;

	;;#ASMEND
	s_add_u32 s4, s24, s0
	s_addc_u32 s5, s25, s1
	s_ashr_i32 s3, s2, 31
	s_delay_alu instid0(SALU_CYCLE_1) | instskip(NEXT) | instid1(SALU_CYCLE_1)
	s_lshl_b64 s[0:1], s[2:3], 1
	s_add_u32 s2, s4, s0
	s_addc_u32 s3, s5, s1
	s_ashr_i32 s17, s16, 31
	s_delay_alu instid0(SALU_CYCLE_1) | instskip(NEXT) | instid1(SALU_CYCLE_1)
	s_lshl_b64 s[0:1], s[16:17], 1
	s_add_u32 s0, s2, s0
	s_addc_u32 s1, s3, s1
	global_store_b16 v0, v1, s[0:1]
	;;#ASMSTART
	v_cvt_f16_f32 v1, v17;

	;;#ASMEND
	global_store_b16 v0, v1, s[0:1] offset:64
.LBB290_304:
	s_nop 0
	s_sendmsg sendmsg(MSG_DEALLOC_VGPRS)
	s_endpgm
	.section	.rodata,"a",@progbits
	.p2align	6, 0x0
	.amdhsa_kernel _ZN4vllm25paged_attention_v2_kernelIthLi64ELi8ELi128ELNS_18Fp8KVCacheDataTypeE1ELb1ELi512EEEvPfS2_PT_PKS3_PKT0_S9_ifPKiSB_iPKfiiiSD_SD_iiiii
		.amdhsa_group_segment_fixed_size 160
		.amdhsa_private_segment_fixed_size 0
		.amdhsa_kernarg_size 400
		.amdhsa_user_sgpr_count 13
		.amdhsa_user_sgpr_dispatch_ptr 0
		.amdhsa_user_sgpr_queue_ptr 0
		.amdhsa_user_sgpr_kernarg_segment_ptr 1
		.amdhsa_user_sgpr_dispatch_id 0
		.amdhsa_user_sgpr_private_segment_size 0
		.amdhsa_wavefront_size32 1
		.amdhsa_uses_dynamic_stack 0
		.amdhsa_enable_private_segment 0
		.amdhsa_system_sgpr_workgroup_id_x 1
		.amdhsa_system_sgpr_workgroup_id_y 1
		.amdhsa_system_sgpr_workgroup_id_z 1
		.amdhsa_system_sgpr_workgroup_info 0
		.amdhsa_system_vgpr_workitem_id 0
		.amdhsa_next_free_vgpr 51
		.amdhsa_next_free_sgpr 53
		.amdhsa_reserve_vcc 1
		.amdhsa_float_round_mode_32 0
		.amdhsa_float_round_mode_16_64 0
		.amdhsa_float_denorm_mode_32 3
		.amdhsa_float_denorm_mode_16_64 3
		.amdhsa_dx10_clamp 1
		.amdhsa_ieee_mode 1
		.amdhsa_fp16_overflow 0
		.amdhsa_workgroup_processor_mode 1
		.amdhsa_memory_ordered 1
		.amdhsa_forward_progress 0
		.amdhsa_shared_vgpr_count 0
		.amdhsa_exception_fp_ieee_invalid_op 0
		.amdhsa_exception_fp_denorm_src 0
		.amdhsa_exception_fp_ieee_div_zero 0
		.amdhsa_exception_fp_ieee_overflow 0
		.amdhsa_exception_fp_ieee_underflow 0
		.amdhsa_exception_fp_ieee_inexact 0
		.amdhsa_exception_int_div_zero 0
	.end_amdhsa_kernel
	.section	.text._ZN4vllm25paged_attention_v2_kernelIthLi64ELi8ELi128ELNS_18Fp8KVCacheDataTypeE1ELb1ELi512EEEvPfS2_PT_PKS3_PKT0_S9_ifPKiSB_iPKfiiiSD_SD_iiiii,"axG",@progbits,_ZN4vllm25paged_attention_v2_kernelIthLi64ELi8ELi128ELNS_18Fp8KVCacheDataTypeE1ELb1ELi512EEEvPfS2_PT_PKS3_PKT0_S9_ifPKiSB_iPKfiiiSD_SD_iiiii,comdat
.Lfunc_end290:
	.size	_ZN4vllm25paged_attention_v2_kernelIthLi64ELi8ELi128ELNS_18Fp8KVCacheDataTypeE1ELb1ELi512EEEvPfS2_PT_PKS3_PKT0_S9_ifPKiSB_iPKfiiiSD_SD_iiiii, .Lfunc_end290-_ZN4vllm25paged_attention_v2_kernelIthLi64ELi8ELi128ELNS_18Fp8KVCacheDataTypeE1ELb1ELi512EEEvPfS2_PT_PKS3_PKT0_S9_ifPKiSB_iPKfiiiSD_SD_iiiii
                                        ; -- End function
	.section	.AMDGPU.csdata,"",@progbits
; Kernel info:
; codeLenInByte = 13564
; NumSgprs: 55
; NumVgprs: 51
; ScratchSize: 0
; MemoryBound: 0
; FloatMode: 240
; IeeeMode: 1
; LDSByteSize: 160 bytes/workgroup (compile time only)
; SGPRBlocks: 6
; VGPRBlocks: 6
; NumSGPRsForWavesPerEU: 55
; NumVGPRsForWavesPerEU: 51
; Occupancy: 16
; WaveLimiterHint : 1
; COMPUTE_PGM_RSRC2:SCRATCH_EN: 0
; COMPUTE_PGM_RSRC2:USER_SGPR: 13
; COMPUTE_PGM_RSRC2:TRAP_HANDLER: 0
; COMPUTE_PGM_RSRC2:TGID_X_EN: 1
; COMPUTE_PGM_RSRC2:TGID_Y_EN: 1
; COMPUTE_PGM_RSRC2:TGID_Z_EN: 1
; COMPUTE_PGM_RSRC2:TIDIG_COMP_CNT: 0
	.section	.text._ZN4vllm25paged_attention_v2_kernelIthLi80ELi8ELi128ELNS_18Fp8KVCacheDataTypeE1ELb1ELi512EEEvPfS2_PT_PKS3_PKT0_S9_ifPKiSB_iPKfiiiSD_SD_iiiii,"axG",@progbits,_ZN4vllm25paged_attention_v2_kernelIthLi80ELi8ELi128ELNS_18Fp8KVCacheDataTypeE1ELb1ELi512EEEvPfS2_PT_PKS3_PKT0_S9_ifPKiSB_iPKfiiiSD_SD_iiiii,comdat
	.protected	_ZN4vllm25paged_attention_v2_kernelIthLi80ELi8ELi128ELNS_18Fp8KVCacheDataTypeE1ELb1ELi512EEEvPfS2_PT_PKS3_PKT0_S9_ifPKiSB_iPKfiiiSD_SD_iiiii ; -- Begin function _ZN4vllm25paged_attention_v2_kernelIthLi80ELi8ELi128ELNS_18Fp8KVCacheDataTypeE1ELb1ELi512EEEvPfS2_PT_PKS3_PKT0_S9_ifPKiSB_iPKfiiiSD_SD_iiiii
	.globl	_ZN4vllm25paged_attention_v2_kernelIthLi80ELi8ELi128ELNS_18Fp8KVCacheDataTypeE1ELb1ELi512EEEvPfS2_PT_PKS3_PKT0_S9_ifPKiSB_iPKfiiiSD_SD_iiiii
	.p2align	8
	.type	_ZN4vllm25paged_attention_v2_kernelIthLi80ELi8ELi128ELNS_18Fp8KVCacheDataTypeE1ELb1ELi512EEEvPfS2_PT_PKS3_PKT0_S9_ifPKiSB_iPKfiiiSD_SD_iiiii,@function
_ZN4vllm25paged_attention_v2_kernelIthLi80ELi8ELi128ELNS_18Fp8KVCacheDataTypeE1ELb1ELi512EEEvPfS2_PT_PKS3_PKT0_S9_ifPKiSB_iPKfiiiSD_SD_iiiii: ; @_ZN4vllm25paged_attention_v2_kernelIthLi80ELi8ELi128ELNS_18Fp8KVCacheDataTypeE1ELb1ELi512EEEvPfS2_PT_PKS3_PKT0_S9_ifPKiSB_iPKfiiiSD_SD_iiiii
; %bb.0:
	s_load_b64 s[2:3], s[0:1], 0x40
	s_mov_b32 s24, s15
	s_ashr_i32 s15, s14, 31
	s_delay_alu instid0(SALU_CYCLE_1)
	s_lshl_b64 s[4:5], s[14:15], 2
	s_waitcnt lgkmcnt(0)
	s_add_u32 s2, s2, s4
	s_addc_u32 s3, s3, s5
	s_lshl_b32 s40, s24, 9
	s_load_b32 s15, s[2:3], 0x0
	s_waitcnt lgkmcnt(0)
	s_cmp_ge_i32 s40, s15
	s_cbranch_scc1 .LBB291_407
; %bb.1:
	s_mov_b32 s30, s13
	s_clause 0x1
	s_load_b32 s25, s[0:1], 0x90
	s_load_b64 s[12:13], s[0:1], 0x30
	s_mov_b32 s42, 0
	s_waitcnt lgkmcnt(0)
	s_abs_i32 s5, s25
	s_abs_i32 s2, s12
	s_delay_alu instid0(SALU_CYCLE_1) | instskip(SKIP_1) | instid1(VALU_DEP_1)
	v_cvt_f32_u32_e32 v1, s2
	s_sub_i32 s4, 0, s2
	v_rcp_iflag_f32_e32 v1, v1
	s_waitcnt_depctr 0xfff
	v_mul_f32_e32 v1, 0x4f7ffffe, v1
	s_delay_alu instid0(VALU_DEP_1) | instskip(NEXT) | instid1(VALU_DEP_1)
	v_cvt_u32_f32_e32 v1, v1
	v_readfirstlane_b32 s3, v1
	s_delay_alu instid0(VALU_DEP_1) | instskip(NEXT) | instid1(SALU_CYCLE_1)
	s_mul_i32 s4, s4, s3
	s_mul_hi_u32 s4, s3, s4
	s_delay_alu instid0(SALU_CYCLE_1) | instskip(SKIP_4) | instid1(SALU_CYCLE_1)
	s_add_i32 s3, s3, s4
	s_xor_b32 s4, s25, s12
	s_mul_hi_u32 s3, s5, s3
	s_ashr_i32 s4, s4, 31
	s_mul_i32 s6, s3, s2
	s_sub_i32 s5, s5, s6
	s_add_i32 s6, s3, 1
	s_sub_i32 s7, s5, s2
	s_cmp_ge_u32 s5, s2
	s_cselect_b32 s3, s6, s3
	s_cselect_b32 s5, s7, s5
	s_add_i32 s6, s3, 1
	s_cmp_ge_u32 s5, s2
	s_cselect_b32 s2, s6, s3
	s_delay_alu instid0(SALU_CYCLE_1) | instskip(NEXT) | instid1(SALU_CYCLE_1)
	s_xor_b32 s2, s2, s4
	s_sub_i32 s7, s2, s4
	s_load_b64 s[2:3], s[0:1], 0x50
	s_abs_i32 s4, s7
	s_delay_alu instid0(SALU_CYCLE_1) | instskip(SKIP_1) | instid1(VALU_DEP_1)
	v_cvt_f32_u32_e32 v1, s4
	s_sub_i32 s5, 0, s4
	v_rcp_iflag_f32_e32 v1, v1
	s_waitcnt_depctr 0xfff
	v_mul_f32_e32 v1, 0x4f7ffffe, v1
	s_delay_alu instid0(VALU_DEP_1) | instskip(NEXT) | instid1(VALU_DEP_1)
	v_cvt_u32_f32_e32 v1, v1
	v_readfirstlane_b32 s6, v1
	s_delay_alu instid0(VALU_DEP_1) | instskip(NEXT) | instid1(SALU_CYCLE_1)
	s_mul_i32 s5, s5, s6
	s_mul_hi_u32 s8, s6, s5
	s_abs_i32 s5, s30
	s_add_i32 s6, s6, s8
	s_waitcnt lgkmcnt(0)
	s_cmp_eq_u64 s[2:3], 0
	s_mul_hi_u32 s6, s5, s6
	s_cbranch_scc1 .LBB291_3
; %bb.2:
	s_ashr_i32 s31, s30, 31
	s_delay_alu instid0(SALU_CYCLE_1) | instskip(NEXT) | instid1(SALU_CYCLE_1)
	s_lshl_b64 s[8:9], s[30:31], 2
	s_add_u32 s2, s2, s8
	s_addc_u32 s3, s3, s9
	s_load_b32 s42, s[2:3], 0x0
.LBB291_3:
	s_load_b128 s[8:11], s[0:1], 0x58
	v_and_b32_e32 v1, 3, v0
	s_ashr_i32 s2, s30, 31
	s_ashr_i32 s3, s7, 31
	s_mul_i32 s26, s30, 0x50
	s_mov_b32 s7, exec_lo
	v_cmpx_gt_u32_e32 40, v0
	s_cbranch_execz .LBB291_5
; %bb.4:
	s_load_b64 s[16:17], s[0:1], 0x18
	s_waitcnt lgkmcnt(0)
	s_mul_i32 s18, s14, s8
	v_lshlrev_b32_e32 v2, 2, v0
	s_ashr_i32 s19, s18, 31
	v_and_b32_e32 v3, 0x3fc, v0
	s_lshl_b64 s[18:19], s[18:19], 1
	s_delay_alu instid0(VALU_DEP_1) | instskip(SKIP_3) | instid1(SALU_CYCLE_1)
	v_mad_u32_u24 v3, v1, 40, v3
	s_add_u32 s8, s16, s18
	s_addc_u32 s11, s17, s19
	s_ashr_i32 s27, s26, 31
	s_lshl_b64 s[16:17], s[26:27], 1
	s_delay_alu instid0(SALU_CYCLE_1)
	s_add_u32 s16, s8, s16
	s_addc_u32 s17, s11, s17
	global_load_b32 v2, v2, s[16:17]
	s_waitcnt vmcnt(0)
	ds_store_b32 v3, v2
.LBB291_5:
	s_or_b32 exec_lo, exec_lo, s7
	s_load_b128 s[16:19], s[0:1], 0x78
	s_mul_i32 s7, s6, s4
	s_xor_b32 s2, s2, s3
	s_sub_i32 s3, s5, s7
	s_add_i32 s5, s6, 1
	s_sub_i32 s7, s3, s4
	s_cmp_ge_u32 s3, s4
	s_waitcnt lgkmcnt(0)
	s_cselect_b32 s5, s5, s6
	s_cselect_b32 s3, s7, s3
	s_add_i32 s6, s5, 1
	s_cmp_ge_u32 s3, s4
	s_load_b32 s4, s[0:1], 0x88
	s_cselect_b32 s3, s6, s5
	s_add_i32 s5, s15, -1
	s_xor_b32 s3, s3, s2
	s_abs_i32 s11, s5
	s_sub_i32 s3, s3, s2
	s_mov_b32 s6, -1
	s_waitcnt lgkmcnt(0)
	s_barrier
	s_abs_i32 s27, s19
	buffer_gl0_inv
	v_cvt_f32_u32_e32 v2, s27
	s_sub_i32 s2, 0, s27
                                        ; implicit-def: $sgpr33
	s_delay_alu instid0(VALU_DEP_1) | instskip(SKIP_2) | instid1(VALU_DEP_1)
	v_rcp_iflag_f32_e32 v2, v2
	s_waitcnt_depctr 0xfff
	v_mul_f32_e32 v2, 0x4f7ffffe, v2
	v_cvt_u32_f32_e32 v2, v2
	s_delay_alu instid0(VALU_DEP_1) | instskip(NEXT) | instid1(VALU_DEP_1)
	v_readfirstlane_b32 s31, v2
	s_mul_i32 s2, s2, s31
	s_delay_alu instid0(SALU_CYCLE_1) | instskip(NEXT) | instid1(SALU_CYCLE_1)
	s_mul_hi_u32 s2, s31, s2
	s_add_i32 s31, s31, s2
	s_cmp_lt_i32 s4, 0
	s_mul_hi_u32 s2, s11, s31
	s_cbranch_scc0 .LBB291_7
; %bb.6:
	s_mul_i32 s6, s16, s12
	s_delay_alu instid0(SALU_CYCLE_1) | instskip(NEXT) | instid1(SALU_CYCLE_1)
	s_add_i32 s6, s3, s6
	s_mul_i32 s6, s6, s4
	s_delay_alu instid0(SALU_CYCLE_1)
	s_sub_i32 s33, 1, s6
	s_mov_b32 s6, 0
.LBB291_7:
	s_load_b64 s[34:35], s[0:1], 0x38
	s_ashr_i32 s12, s5, 31
	s_and_not1_b32 vcc_lo, exec_lo, s6
	s_ashr_i32 s19, s19, 31
	s_cbranch_vccnz .LBB291_9
; %bb.8:
	s_mul_i32 s5, s25, s16
	s_delay_alu instid0(SALU_CYCLE_1) | instskip(NEXT) | instid1(SALU_CYCLE_1)
	s_add_i32 s5, s5, s30
	s_mul_i32 s4, s5, s4
	s_delay_alu instid0(SALU_CYCLE_1)
	s_add_i32 s33, s4, 1
.LBB291_9:
	s_clause 0x5
	s_load_b32 s16, s[0:1], 0x48
	s_load_b64 s[38:39], s[0:1], 0x28
	s_load_b128 s[20:23], s[0:1], 0x0
	s_load_b64 s[28:29], s[0:1], 0x10
	s_load_b32 s8, s[0:1], 0x98
	s_load_b128 s[4:7], s[0:1], 0x68
	s_xor_b32 s43, s12, s19
	s_mul_i32 s12, s2, s27
	s_add_i32 s41, s2, 1
	s_sub_i32 s11, s11, s12
	v_lshrrev_b32_e32 v15, 5, v0
	s_sub_i32 s12, s11, s27
	v_mov_b32_e32 v12, 0xff7fffff
	v_mbcnt_lo_u32_b32 v3, -1, 0
	s_mul_i32 s10, s3, s10
	v_lshl_add_u32 v16, v15, 3, s40
	s_waitcnt lgkmcnt(0)
	s_mul_i32 s36, s14, s16
	s_delay_alu instid0(SALU_CYCLE_1)
	s_ashr_i32 s37, s36, 31
	s_cmp_ge_u32 s11, s27
	s_cselect_b32 s2, s41, s2
	s_cselect_b32 s11, s12, s11
	s_add_i32 s12, s2, 1
	s_cmp_ge_u32 s11, s27
	s_cselect_b32 s2, s12, s2
	s_add_i32 s11, s15, 7
	s_lshl_b32 s12, s24, 6
	s_ashr_i32 s16, s11, 31
	v_or_b32_e32 v4, s12, v15
	s_lshr_b32 s16, s16, 29
	s_delay_alu instid0(SALU_CYCLE_1)
	s_add_i32 s11, s11, s16
	s_add_i32 s16, s12, 64
	s_ashr_i32 s41, s11, 3
	s_xor_b32 s11, s2, s43
	s_min_i32 s16, s16, s41
	v_ashrrev_i32_e32 v5, 31, v4
	v_cmp_gt_i32_e64 s2, s16, v4
	s_sub_i32 s11, s11, s43
	s_delay_alu instid0(VALU_DEP_1)
	s_and_saveexec_b32 s43, s2
	s_cbranch_execz .LBB291_179
; %bb.10:
	s_load_b64 s[0:1], s[0:1], 0x20
	s_sub_i32 s44, s11, s17
	s_ashr_i32 s3, s10, 31
	v_bfe_u32 v13, v0, 2, 3
	v_cmp_eq_u32_e32 vcc_lo, 0, v1
	v_dual_mov_b32 v23, v4 :: v_dual_lshlrev_b32 v14, 1, v1
	v_mul_u32_u24_e32 v17, 40, v1
	s_delay_alu instid0(VALU_DEP_4) | instskip(SKIP_3) | instid1(VALU_DEP_4)
	v_subrev_nc_u32_e32 v7, s15, v13
	v_lshlrev_b64 v[8:9], 2, v[4:5]
	v_lshl_add_u32 v18, v15, 3, s40
	v_dual_mov_b32 v12, 0xff7fffff :: v_dual_mov_b32 v19, 0xff7fffff
	v_add_nc_u32_e32 v20, 1, v7
	v_lshlrev_b32_e32 v11, 4, v13
	s_waitcnt lgkmcnt(0)
	s_add_u32 s48, s0, s10
	s_addc_u32 s1, s1, s3
	s_abs_i32 s45, s18
	s_lshl_b64 s[46:47], s[36:37], 2
	v_cvt_f32_u32_e32 v2, s45
	s_sub_i32 s3, 0, s45
	v_cmp_neq_f32_e64 s0, s42, 0
	s_delay_alu instid0(VALU_DEP_2) | instskip(SKIP_3) | instid1(VALU_DEP_1)
	v_rcp_iflag_f32_e32 v6, v2
	v_mov_b32_e32 v2, 0
	s_waitcnt_depctr 0xfff
	v_mul_f32_e32 v6, 0x4f7ffffe, v6
	v_cvt_u32_f32_e32 v1, v6
	v_lshlrev_b32_e32 v6, 2, v13
	s_delay_alu instid0(VALU_DEP_2) | instskip(NEXT) | instid1(VALU_DEP_2)
	v_mul_lo_u32 v10, s3, v1
	v_lshl_or_b32 v6, v15, 5, v6
	s_delay_alu instid0(VALU_DEP_1) | instskip(SKIP_1) | instid1(VALU_DEP_4)
	v_add_nc_u32_e32 v21, 0xc0, v6
	v_add_co_u32 v6, s3, s48, v11
	v_mul_hi_u32 v10, v1, v10
	v_add_co_ci_u32_e64 v7, null, s1, 0, s3
	s_add_u32 s1, s34, s46
	s_addc_u32 s3, s35, s47
	v_add_co_u32 v8, s1, s1, v8
	s_delay_alu instid0(VALU_DEP_1) | instskip(NEXT) | instid1(VALU_DEP_4)
	v_add_co_ci_u32_e64 v9, s1, s3, v9, s1
	v_add_nc_u32_e32 v22, v1, v10
	s_mov_b32 s46, 0
	s_mov_b32 s47, s9
	s_branch .LBB291_13
.LBB291_11:                             ;   in Loop: Header=BB291_13 Depth=1
	s_or_b32 exec_lo, exec_lo, s48
.LBB291_12:                             ;   in Loop: Header=BB291_13 Depth=1
	s_delay_alu instid0(SALU_CYCLE_1) | instskip(SKIP_2) | instid1(VALU_DEP_1)
	s_or_b32 exec_lo, exec_lo, s3
	v_add_nc_u32_e32 v23, 4, v23
	v_add_co_u32 v8, s3, v8, 16
	v_add_co_ci_u32_e64 v9, s3, 0, v9, s3
	s_delay_alu instid0(VALU_DEP_3) | instskip(SKIP_2) | instid1(VALU_DEP_3)
	v_cmp_le_i32_e64 s1, s16, v23
	v_add_nc_u32_e32 v18, 32, v18
	v_add_nc_u32_e32 v21, 0x80, v21
	s_or_b32 s46, s1, s46
	s_delay_alu instid0(SALU_CYCLE_1)
	s_and_not1_b32 exec_lo, exec_lo, s46
	s_cbranch_execz .LBB291_178
.LBB291_13:                             ; =>This Inner Loop Header: Depth=1
	v_sub_nc_u32_e32 v1, 0, v18
	s_delay_alu instid0(VALU_DEP_1) | instskip(SKIP_1) | instid1(VALU_DEP_1)
	v_max_i32_e32 v1, v18, v1
	s_waitcnt lgkmcnt(0)
	v_mul_hi_u32 v10, v1, s31
	s_delay_alu instid0(VALU_DEP_1) | instskip(NEXT) | instid1(VALU_DEP_1)
	v_mul_lo_u32 v11, v10, s27
	v_sub_nc_u32_e32 v1, v1, v11
	v_add_nc_u32_e32 v11, 1, v10
	s_delay_alu instid0(VALU_DEP_2) | instskip(SKIP_1) | instid1(VALU_DEP_1)
	v_subrev_nc_u32_e32 v24, s27, v1
	v_cmp_le_u32_e64 s1, s27, v1
	v_cndmask_b32_e64 v10, v10, v11, s1
	s_delay_alu instid0(VALU_DEP_3) | instskip(SKIP_1) | instid1(VALU_DEP_3)
	v_cndmask_b32_e64 v1, v1, v24, s1
	v_ashrrev_i32_e32 v11, 31, v18
	v_add_nc_u32_e32 v24, 1, v10
	s_delay_alu instid0(VALU_DEP_3) | instskip(NEXT) | instid1(VALU_DEP_3)
	v_cmp_le_u32_e64 s1, s27, v1
	v_xor_b32_e32 v11, s19, v11
	s_delay_alu instid0(VALU_DEP_2) | instskip(NEXT) | instid1(VALU_DEP_1)
	v_cndmask_b32_e64 v1, v10, v24, s1
	v_xor_b32_e32 v1, v1, v11
	s_delay_alu instid0(VALU_DEP_1) | instskip(NEXT) | instid1(VALU_DEP_1)
	v_sub_nc_u32_e32 v1, v1, v11
	v_add_nc_u32_e32 v10, s33, v1
	v_cmp_ge_i32_e64 s3, s44, v1
	s_delay_alu instid0(VALU_DEP_2) | instskip(NEXT) | instid1(VALU_DEP_1)
	v_sub_nc_u32_e32 v11, 0, v10
	v_max_i32_e32 v11, v10, v11
	v_ashrrev_i32_e32 v10, 31, v10
	s_delay_alu instid0(VALU_DEP_2) | instskip(NEXT) | instid1(VALU_DEP_1)
	v_mul_hi_u32 v24, v11, v22
	v_mul_lo_u32 v24, v24, s45
	s_delay_alu instid0(VALU_DEP_1) | instskip(NEXT) | instid1(VALU_DEP_1)
	v_sub_nc_u32_e32 v11, v11, v24
	v_subrev_nc_u32_e32 v24, s45, v11
	v_cmp_le_u32_e64 s1, s45, v11
	s_delay_alu instid0(VALU_DEP_1) | instskip(NEXT) | instid1(VALU_DEP_1)
	v_cndmask_b32_e64 v11, v11, v24, s1
	v_subrev_nc_u32_e32 v24, s45, v11
	v_cmp_le_u32_e64 s1, s45, v11
	s_delay_alu instid0(VALU_DEP_1) | instskip(NEXT) | instid1(VALU_DEP_1)
	v_cndmask_b32_e64 v11, v11, v24, s1
	v_xor_b32_e32 v11, v11, v10
	s_delay_alu instid0(VALU_DEP_1) | instskip(NEXT) | instid1(VALU_DEP_1)
	v_sub_nc_u32_e32 v10, v11, v10
	v_cmp_ne_u32_e64 s1, 0, v10
	s_delay_alu instid0(VALU_DEP_1) | instskip(NEXT) | instid1(SALU_CYCLE_1)
	s_and_b32 s1, s1, s3
	s_and_b32 s48, vcc_lo, s1
	s_delay_alu instid0(SALU_CYCLE_1)
	s_and_saveexec_b32 s3, s48
	s_cbranch_execz .LBB291_15
; %bb.14:                               ;   in Loop: Header=BB291_13 Depth=1
	ds_store_b32 v21, v19
.LBB291_15:                             ;   in Loop: Header=BB291_13 Depth=1
	s_or_b32 exec_lo, exec_lo, s3
	s_xor_b32 s1, s1, -1
	s_delay_alu instid0(SALU_CYCLE_1)
	s_and_saveexec_b32 s3, s1
	s_cbranch_execz .LBB291_12
; %bb.16:                               ;   in Loop: Header=BB291_13 Depth=1
	global_load_b32 v1, v[8:9], off
	v_mov_b32_e32 v25, 0
	s_waitcnt vmcnt(0)
	v_mad_i64_i32 v[10:11], null, v1, s47, v[6:7]
	s_delay_alu instid0(VALU_DEP_1) | instskip(NEXT) | instid1(VALU_DEP_1)
	v_add_co_u32 v10, s1, v10, v14
	v_add_co_ci_u32_e64 v11, s1, 0, v11, s1
	global_load_u16 v1, v[10:11], off
	global_load_b32 v24, v2, s[4:5]
	s_waitcnt vmcnt(1)
	v_and_b32_e32 v26, 0xff, v1
	v_and_b32_e32 v27, 0xffff, v1
	s_delay_alu instid0(VALU_DEP_2) | instskip(SKIP_1) | instid1(VALU_DEP_2)
	v_cmp_ne_u16_e64 s1, 0, v26
	v_mov_b32_e32 v26, 0
	s_and_saveexec_b32 s48, s1
	s_cbranch_execz .LBB291_24
; %bb.17:                               ;   in Loop: Header=BB291_13 Depth=1
	v_and_b32_e32 v1, 0xff, v27
	v_bfrev_b32_e32 v26, 1
	s_mov_b32 s49, exec_lo
	s_delay_alu instid0(VALU_DEP_2)
	v_cmpx_ne_u16_e32 0x80, v1
	s_cbranch_execz .LBB291_23
; %bb.18:                               ;   in Loop: Header=BB291_13 Depth=1
	v_and_b32_e32 v28, 0x7f, v27
	v_mov_b32_e32 v26, 0x7fc02000
	s_mov_b32 s50, exec_lo
	s_delay_alu instid0(VALU_DEP_2)
	v_cmpx_ne_u32_e32 0x7f, v28
	s_cbranch_execz .LBB291_22
; %bb.19:                               ;   in Loop: Header=BB291_13 Depth=1
	v_and_b32_e32 v1, 7, v27
	v_lshrrev_b32_e32 v26, 3, v28
	s_mov_b32 s51, exec_lo
	v_cmpx_gt_u32_e32 8, v28
; %bb.20:                               ;   in Loop: Header=BB291_13 Depth=1
	s_delay_alu instid0(VALU_DEP_3) | instskip(NEXT) | instid1(VALU_DEP_1)
	v_clz_i32_u32_e32 v26, v1
	v_min_u32_e32 v26, 32, v26
	s_delay_alu instid0(VALU_DEP_1) | instskip(SKIP_1) | instid1(VALU_DEP_2)
	v_subrev_nc_u32_e32 v28, 28, v26
	v_sub_nc_u32_e32 v26, 29, v26
	v_lshlrev_b64 v[28:29], v28, v[1:2]
	s_delay_alu instid0(VALU_DEP_1)
	v_and_b32_e32 v1, 7, v28
; %bb.21:                               ;   in Loop: Header=BB291_13 Depth=1
	s_or_b32 exec_lo, exec_lo, s51
	v_lshlrev_b32_e32 v28, 8, v27
	v_lshl_add_u32 v26, v26, 10, 0x2000
	s_delay_alu instid0(VALU_DEP_1) | instskip(NEXT) | instid1(VALU_DEP_1)
	v_and_or_b32 v26, 0x8000, v28, v26
	v_lshl_or_b32 v1, v1, 7, v26
	s_delay_alu instid0(VALU_DEP_1)
	v_cvt_f32_f16_e32 v26, v1
.LBB291_22:                             ;   in Loop: Header=BB291_13 Depth=1
	s_or_b32 exec_lo, exec_lo, s50
.LBB291_23:                             ;   in Loop: Header=BB291_13 Depth=1
	s_delay_alu instid0(SALU_CYCLE_1)
	s_or_b32 exec_lo, exec_lo, s49
.LBB291_24:                             ;   in Loop: Header=BB291_13 Depth=1
	s_delay_alu instid0(SALU_CYCLE_1) | instskip(SKIP_2) | instid1(VALU_DEP_1)
	s_or_b32 exec_lo, exec_lo, s48
	v_lshrrev_b16 v1, 8, v27
	s_mov_b32 s48, exec_lo
	v_cmpx_ne_u16_e32 0, v1
	s_cbranch_execz .LBB291_32
; %bb.25:                               ;   in Loop: Header=BB291_13 Depth=1
	v_bfrev_b32_e32 v25, 1
	s_mov_b32 s49, exec_lo
	v_cmpx_ne_u16_e32 0x80, v1
	s_cbranch_execz .LBB291_31
; %bb.26:                               ;   in Loop: Header=BB291_13 Depth=1
	v_and_b32_e32 v27, 0xffff, v1
	v_mov_b32_e32 v25, 0x7fc02000
	s_mov_b32 s50, exec_lo
	s_delay_alu instid0(VALU_DEP_2) | instskip(NEXT) | instid1(VALU_DEP_1)
	v_and_b32_e32 v28, 0x7f, v27
	v_cmpx_ne_u32_e32 0x7f, v28
	s_cbranch_execz .LBB291_30
; %bb.27:                               ;   in Loop: Header=BB291_13 Depth=1
	v_and_b32_e32 v1, 7, v27
	v_lshrrev_b32_e32 v25, 3, v28
	s_mov_b32 s51, exec_lo
	v_cmpx_gt_u32_e32 8, v28
; %bb.28:                               ;   in Loop: Header=BB291_13 Depth=1
	s_delay_alu instid0(VALU_DEP_3) | instskip(NEXT) | instid1(VALU_DEP_1)
	v_clz_i32_u32_e32 v25, v1
	v_min_u32_e32 v25, 32, v25
	s_delay_alu instid0(VALU_DEP_1) | instskip(SKIP_1) | instid1(VALU_DEP_2)
	v_subrev_nc_u32_e32 v28, 28, v25
	v_sub_nc_u32_e32 v25, 29, v25
	v_lshlrev_b64 v[28:29], v28, v[1:2]
	s_delay_alu instid0(VALU_DEP_1)
	v_and_b32_e32 v1, 7, v28
; %bb.29:                               ;   in Loop: Header=BB291_13 Depth=1
	s_or_b32 exec_lo, exec_lo, s51
	v_lshlrev_b32_e32 v27, 8, v27
	v_lshl_add_u32 v25, v25, 10, 0x2000
	s_delay_alu instid0(VALU_DEP_1) | instskip(NEXT) | instid1(VALU_DEP_1)
	v_and_or_b32 v25, 0x8000, v27, v25
	v_lshl_or_b32 v1, v1, 7, v25
	s_delay_alu instid0(VALU_DEP_1)
	v_cvt_f32_f16_e32 v25, v1
.LBB291_30:                             ;   in Loop: Header=BB291_13 Depth=1
	s_or_b32 exec_lo, exec_lo, s50
.LBB291_31:                             ;   in Loop: Header=BB291_13 Depth=1
	s_delay_alu instid0(SALU_CYCLE_1)
	s_or_b32 exec_lo, exec_lo, s49
.LBB291_32:                             ;   in Loop: Header=BB291_13 Depth=1
	s_delay_alu instid0(SALU_CYCLE_1) | instskip(SKIP_4) | instid1(VALU_DEP_2)
	s_or_b32 exec_lo, exec_lo, s48
	global_load_u16 v1, v[10:11], off offset:8
	s_waitcnt vmcnt(0)
	v_dual_mov_b32 v27, 0 :: v_dual_and_b32 v28, 0xff, v1
	v_and_b32_e32 v29, 0xffff, v1
	v_cmp_ne_u16_e64 s1, 0, v28
	v_mov_b32_e32 v28, 0
	s_delay_alu instid0(VALU_DEP_2)
	s_and_saveexec_b32 s48, s1
	s_cbranch_execz .LBB291_40
; %bb.33:                               ;   in Loop: Header=BB291_13 Depth=1
	v_and_b32_e32 v1, 0xff, v29
	v_bfrev_b32_e32 v28, 1
	s_mov_b32 s49, exec_lo
	s_delay_alu instid0(VALU_DEP_2)
	v_cmpx_ne_u16_e32 0x80, v1
	s_cbranch_execz .LBB291_39
; %bb.34:                               ;   in Loop: Header=BB291_13 Depth=1
	v_and_b32_e32 v30, 0x7f, v29
	v_mov_b32_e32 v28, 0x7fc02000
	s_mov_b32 s50, exec_lo
	s_delay_alu instid0(VALU_DEP_2)
	v_cmpx_ne_u32_e32 0x7f, v30
	s_cbranch_execz .LBB291_38
; %bb.35:                               ;   in Loop: Header=BB291_13 Depth=1
	v_and_b32_e32 v1, 7, v29
	v_lshrrev_b32_e32 v28, 3, v30
	s_mov_b32 s51, exec_lo
	v_cmpx_gt_u32_e32 8, v30
; %bb.36:                               ;   in Loop: Header=BB291_13 Depth=1
	s_delay_alu instid0(VALU_DEP_3) | instskip(NEXT) | instid1(VALU_DEP_1)
	v_clz_i32_u32_e32 v28, v1
	v_min_u32_e32 v28, 32, v28
	s_delay_alu instid0(VALU_DEP_1) | instskip(SKIP_1) | instid1(VALU_DEP_2)
	v_subrev_nc_u32_e32 v30, 28, v28
	v_sub_nc_u32_e32 v28, 29, v28
	v_lshlrev_b64 v[30:31], v30, v[1:2]
	s_delay_alu instid0(VALU_DEP_1)
	v_and_b32_e32 v1, 7, v30
; %bb.37:                               ;   in Loop: Header=BB291_13 Depth=1
	s_or_b32 exec_lo, exec_lo, s51
	v_lshlrev_b32_e32 v30, 8, v29
	v_lshl_add_u32 v28, v28, 10, 0x2000
	s_delay_alu instid0(VALU_DEP_1) | instskip(NEXT) | instid1(VALU_DEP_1)
	v_and_or_b32 v28, 0x8000, v30, v28
	v_lshl_or_b32 v1, v1, 7, v28
	s_delay_alu instid0(VALU_DEP_1)
	v_cvt_f32_f16_e32 v28, v1
.LBB291_38:                             ;   in Loop: Header=BB291_13 Depth=1
	s_or_b32 exec_lo, exec_lo, s50
.LBB291_39:                             ;   in Loop: Header=BB291_13 Depth=1
	s_delay_alu instid0(SALU_CYCLE_1)
	s_or_b32 exec_lo, exec_lo, s49
.LBB291_40:                             ;   in Loop: Header=BB291_13 Depth=1
	s_delay_alu instid0(SALU_CYCLE_1) | instskip(SKIP_2) | instid1(VALU_DEP_1)
	s_or_b32 exec_lo, exec_lo, s48
	v_lshrrev_b16 v1, 8, v29
	s_mov_b32 s48, exec_lo
	v_cmpx_ne_u16_e32 0, v1
	s_cbranch_execz .LBB291_48
; %bb.41:                               ;   in Loop: Header=BB291_13 Depth=1
	v_bfrev_b32_e32 v27, 1
	s_mov_b32 s49, exec_lo
	v_cmpx_ne_u16_e32 0x80, v1
	s_cbranch_execz .LBB291_47
; %bb.42:                               ;   in Loop: Header=BB291_13 Depth=1
	v_and_b32_e32 v29, 0xffff, v1
	v_mov_b32_e32 v27, 0x7fc02000
	s_mov_b32 s50, exec_lo
	s_delay_alu instid0(VALU_DEP_2) | instskip(NEXT) | instid1(VALU_DEP_1)
	v_and_b32_e32 v30, 0x7f, v29
	v_cmpx_ne_u32_e32 0x7f, v30
	s_cbranch_execz .LBB291_46
; %bb.43:                               ;   in Loop: Header=BB291_13 Depth=1
	v_and_b32_e32 v1, 7, v29
	v_lshrrev_b32_e32 v27, 3, v30
	s_mov_b32 s51, exec_lo
	v_cmpx_gt_u32_e32 8, v30
; %bb.44:                               ;   in Loop: Header=BB291_13 Depth=1
	s_delay_alu instid0(VALU_DEP_3) | instskip(NEXT) | instid1(VALU_DEP_1)
	v_clz_i32_u32_e32 v27, v1
	v_min_u32_e32 v27, 32, v27
	s_delay_alu instid0(VALU_DEP_1) | instskip(SKIP_1) | instid1(VALU_DEP_2)
	v_subrev_nc_u32_e32 v30, 28, v27
	v_sub_nc_u32_e32 v27, 29, v27
	v_lshlrev_b64 v[30:31], v30, v[1:2]
	s_delay_alu instid0(VALU_DEP_1)
	v_and_b32_e32 v1, 7, v30
; %bb.45:                               ;   in Loop: Header=BB291_13 Depth=1
	s_or_b32 exec_lo, exec_lo, s51
	v_lshlrev_b32_e32 v29, 8, v29
	v_lshl_add_u32 v27, v27, 10, 0x2000
	s_delay_alu instid0(VALU_DEP_1) | instskip(NEXT) | instid1(VALU_DEP_1)
	v_and_or_b32 v27, 0x8000, v29, v27
	v_lshl_or_b32 v1, v1, 7, v27
	s_delay_alu instid0(VALU_DEP_1)
	v_cvt_f32_f16_e32 v27, v1
.LBB291_46:                             ;   in Loop: Header=BB291_13 Depth=1
	s_or_b32 exec_lo, exec_lo, s50
.LBB291_47:                             ;   in Loop: Header=BB291_13 Depth=1
	s_delay_alu instid0(SALU_CYCLE_1)
	s_or_b32 exec_lo, exec_lo, s49
.LBB291_48:                             ;   in Loop: Header=BB291_13 Depth=1
	s_delay_alu instid0(SALU_CYCLE_1) | instskip(SKIP_4) | instid1(VALU_DEP_2)
	s_or_b32 exec_lo, exec_lo, s48
	global_load_u16 v1, v[10:11], off offset:128
	s_waitcnt vmcnt(0)
	v_dual_mov_b32 v29, 0 :: v_dual_and_b32 v30, 0xff, v1
	v_and_b32_e32 v31, 0xffff, v1
	v_cmp_ne_u16_e64 s1, 0, v30
	v_mov_b32_e32 v30, 0
	s_delay_alu instid0(VALU_DEP_2)
	s_and_saveexec_b32 s48, s1
	s_cbranch_execz .LBB291_56
; %bb.49:                               ;   in Loop: Header=BB291_13 Depth=1
	v_and_b32_e32 v1, 0xff, v31
	v_bfrev_b32_e32 v30, 1
	s_mov_b32 s49, exec_lo
	s_delay_alu instid0(VALU_DEP_2)
	v_cmpx_ne_u16_e32 0x80, v1
	s_cbranch_execz .LBB291_55
; %bb.50:                               ;   in Loop: Header=BB291_13 Depth=1
	v_and_b32_e32 v32, 0x7f, v31
	v_mov_b32_e32 v30, 0x7fc02000
	s_mov_b32 s50, exec_lo
	s_delay_alu instid0(VALU_DEP_2)
	v_cmpx_ne_u32_e32 0x7f, v32
	s_cbranch_execz .LBB291_54
; %bb.51:                               ;   in Loop: Header=BB291_13 Depth=1
	v_and_b32_e32 v1, 7, v31
	v_lshrrev_b32_e32 v30, 3, v32
	s_mov_b32 s51, exec_lo
	v_cmpx_gt_u32_e32 8, v32
; %bb.52:                               ;   in Loop: Header=BB291_13 Depth=1
	s_delay_alu instid0(VALU_DEP_3) | instskip(NEXT) | instid1(VALU_DEP_1)
	v_clz_i32_u32_e32 v30, v1
	v_min_u32_e32 v30, 32, v30
	s_delay_alu instid0(VALU_DEP_1) | instskip(SKIP_1) | instid1(VALU_DEP_2)
	v_subrev_nc_u32_e32 v32, 28, v30
	v_sub_nc_u32_e32 v30, 29, v30
	v_lshlrev_b64 v[32:33], v32, v[1:2]
	s_delay_alu instid0(VALU_DEP_1)
	v_and_b32_e32 v1, 7, v32
; %bb.53:                               ;   in Loop: Header=BB291_13 Depth=1
	s_or_b32 exec_lo, exec_lo, s51
	v_lshlrev_b32_e32 v32, 8, v31
	v_lshl_add_u32 v30, v30, 10, 0x2000
	s_delay_alu instid0(VALU_DEP_1) | instskip(NEXT) | instid1(VALU_DEP_1)
	v_and_or_b32 v30, 0x8000, v32, v30
	v_lshl_or_b32 v1, v1, 7, v30
	s_delay_alu instid0(VALU_DEP_1)
	v_cvt_f32_f16_e32 v30, v1
.LBB291_54:                             ;   in Loop: Header=BB291_13 Depth=1
	s_or_b32 exec_lo, exec_lo, s50
.LBB291_55:                             ;   in Loop: Header=BB291_13 Depth=1
	s_delay_alu instid0(SALU_CYCLE_1)
	s_or_b32 exec_lo, exec_lo, s49
.LBB291_56:                             ;   in Loop: Header=BB291_13 Depth=1
	s_delay_alu instid0(SALU_CYCLE_1) | instskip(SKIP_2) | instid1(VALU_DEP_1)
	s_or_b32 exec_lo, exec_lo, s48
	v_lshrrev_b16 v1, 8, v31
	s_mov_b32 s48, exec_lo
	v_cmpx_ne_u16_e32 0, v1
	s_cbranch_execz .LBB291_64
; %bb.57:                               ;   in Loop: Header=BB291_13 Depth=1
	v_bfrev_b32_e32 v29, 1
	s_mov_b32 s49, exec_lo
	v_cmpx_ne_u16_e32 0x80, v1
	s_cbranch_execz .LBB291_63
; %bb.58:                               ;   in Loop: Header=BB291_13 Depth=1
	v_and_b32_e32 v31, 0xffff, v1
	v_mov_b32_e32 v29, 0x7fc02000
	s_mov_b32 s50, exec_lo
	s_delay_alu instid0(VALU_DEP_2) | instskip(NEXT) | instid1(VALU_DEP_1)
	v_and_b32_e32 v32, 0x7f, v31
	v_cmpx_ne_u32_e32 0x7f, v32
	s_cbranch_execz .LBB291_62
; %bb.59:                               ;   in Loop: Header=BB291_13 Depth=1
	v_and_b32_e32 v1, 7, v31
	v_lshrrev_b32_e32 v29, 3, v32
	s_mov_b32 s51, exec_lo
	v_cmpx_gt_u32_e32 8, v32
; %bb.60:                               ;   in Loop: Header=BB291_13 Depth=1
	s_delay_alu instid0(VALU_DEP_3) | instskip(NEXT) | instid1(VALU_DEP_1)
	v_clz_i32_u32_e32 v29, v1
	v_min_u32_e32 v29, 32, v29
	s_delay_alu instid0(VALU_DEP_1) | instskip(SKIP_1) | instid1(VALU_DEP_2)
	v_subrev_nc_u32_e32 v32, 28, v29
	v_sub_nc_u32_e32 v29, 29, v29
	v_lshlrev_b64 v[32:33], v32, v[1:2]
	s_delay_alu instid0(VALU_DEP_1)
	v_and_b32_e32 v1, 7, v32
; %bb.61:                               ;   in Loop: Header=BB291_13 Depth=1
	s_or_b32 exec_lo, exec_lo, s51
	v_lshlrev_b32_e32 v31, 8, v31
	v_lshl_add_u32 v29, v29, 10, 0x2000
	s_delay_alu instid0(VALU_DEP_1) | instskip(NEXT) | instid1(VALU_DEP_1)
	v_and_or_b32 v29, 0x8000, v31, v29
	v_lshl_or_b32 v1, v1, 7, v29
	s_delay_alu instid0(VALU_DEP_1)
	v_cvt_f32_f16_e32 v29, v1
.LBB291_62:                             ;   in Loop: Header=BB291_13 Depth=1
	s_or_b32 exec_lo, exec_lo, s50
.LBB291_63:                             ;   in Loop: Header=BB291_13 Depth=1
	s_delay_alu instid0(SALU_CYCLE_1)
	s_or_b32 exec_lo, exec_lo, s49
.LBB291_64:                             ;   in Loop: Header=BB291_13 Depth=1
	s_delay_alu instid0(SALU_CYCLE_1) | instskip(SKIP_4) | instid1(VALU_DEP_2)
	s_or_b32 exec_lo, exec_lo, s48
	global_load_u16 v1, v[10:11], off offset:136
	s_waitcnt vmcnt(0)
	v_dual_mov_b32 v31, 0 :: v_dual_and_b32 v32, 0xff, v1
	v_and_b32_e32 v33, 0xffff, v1
	v_cmp_ne_u16_e64 s1, 0, v32
	v_mov_b32_e32 v32, 0
	s_delay_alu instid0(VALU_DEP_2)
	s_and_saveexec_b32 s48, s1
	s_cbranch_execz .LBB291_72
; %bb.65:                               ;   in Loop: Header=BB291_13 Depth=1
	v_and_b32_e32 v1, 0xff, v33
	v_bfrev_b32_e32 v32, 1
	s_mov_b32 s49, exec_lo
	s_delay_alu instid0(VALU_DEP_2)
	v_cmpx_ne_u16_e32 0x80, v1
	s_cbranch_execz .LBB291_71
; %bb.66:                               ;   in Loop: Header=BB291_13 Depth=1
	v_and_b32_e32 v34, 0x7f, v33
	v_mov_b32_e32 v32, 0x7fc02000
	s_mov_b32 s50, exec_lo
	s_delay_alu instid0(VALU_DEP_2)
	v_cmpx_ne_u32_e32 0x7f, v34
	s_cbranch_execz .LBB291_70
; %bb.67:                               ;   in Loop: Header=BB291_13 Depth=1
	v_and_b32_e32 v1, 7, v33
	v_lshrrev_b32_e32 v32, 3, v34
	s_mov_b32 s51, exec_lo
	v_cmpx_gt_u32_e32 8, v34
; %bb.68:                               ;   in Loop: Header=BB291_13 Depth=1
	s_delay_alu instid0(VALU_DEP_3) | instskip(NEXT) | instid1(VALU_DEP_1)
	v_clz_i32_u32_e32 v32, v1
	v_min_u32_e32 v32, 32, v32
	s_delay_alu instid0(VALU_DEP_1) | instskip(SKIP_1) | instid1(VALU_DEP_2)
	v_subrev_nc_u32_e32 v34, 28, v32
	v_sub_nc_u32_e32 v32, 29, v32
	v_lshlrev_b64 v[34:35], v34, v[1:2]
	s_delay_alu instid0(VALU_DEP_1)
	v_and_b32_e32 v1, 7, v34
; %bb.69:                               ;   in Loop: Header=BB291_13 Depth=1
	s_or_b32 exec_lo, exec_lo, s51
	v_lshlrev_b32_e32 v34, 8, v33
	v_lshl_add_u32 v32, v32, 10, 0x2000
	s_delay_alu instid0(VALU_DEP_1) | instskip(NEXT) | instid1(VALU_DEP_1)
	v_and_or_b32 v32, 0x8000, v34, v32
	v_lshl_or_b32 v1, v1, 7, v32
	s_delay_alu instid0(VALU_DEP_1)
	v_cvt_f32_f16_e32 v32, v1
.LBB291_70:                             ;   in Loop: Header=BB291_13 Depth=1
	s_or_b32 exec_lo, exec_lo, s50
.LBB291_71:                             ;   in Loop: Header=BB291_13 Depth=1
	s_delay_alu instid0(SALU_CYCLE_1)
	s_or_b32 exec_lo, exec_lo, s49
.LBB291_72:                             ;   in Loop: Header=BB291_13 Depth=1
	s_delay_alu instid0(SALU_CYCLE_1) | instskip(SKIP_2) | instid1(VALU_DEP_1)
	s_or_b32 exec_lo, exec_lo, s48
	v_lshrrev_b16 v1, 8, v33
	s_mov_b32 s48, exec_lo
	v_cmpx_ne_u16_e32 0, v1
	s_cbranch_execz .LBB291_80
; %bb.73:                               ;   in Loop: Header=BB291_13 Depth=1
	v_bfrev_b32_e32 v31, 1
	s_mov_b32 s49, exec_lo
	v_cmpx_ne_u16_e32 0x80, v1
	s_cbranch_execz .LBB291_79
; %bb.74:                               ;   in Loop: Header=BB291_13 Depth=1
	v_and_b32_e32 v33, 0xffff, v1
	v_mov_b32_e32 v31, 0x7fc02000
	s_mov_b32 s50, exec_lo
	s_delay_alu instid0(VALU_DEP_2) | instskip(NEXT) | instid1(VALU_DEP_1)
	v_and_b32_e32 v34, 0x7f, v33
	v_cmpx_ne_u32_e32 0x7f, v34
	s_cbranch_execz .LBB291_78
; %bb.75:                               ;   in Loop: Header=BB291_13 Depth=1
	v_and_b32_e32 v1, 7, v33
	v_lshrrev_b32_e32 v31, 3, v34
	s_mov_b32 s51, exec_lo
	v_cmpx_gt_u32_e32 8, v34
; %bb.76:                               ;   in Loop: Header=BB291_13 Depth=1
	s_delay_alu instid0(VALU_DEP_3) | instskip(NEXT) | instid1(VALU_DEP_1)
	v_clz_i32_u32_e32 v31, v1
	v_min_u32_e32 v31, 32, v31
	s_delay_alu instid0(VALU_DEP_1) | instskip(SKIP_1) | instid1(VALU_DEP_2)
	v_subrev_nc_u32_e32 v34, 28, v31
	v_sub_nc_u32_e32 v31, 29, v31
	v_lshlrev_b64 v[34:35], v34, v[1:2]
	s_delay_alu instid0(VALU_DEP_1)
	v_and_b32_e32 v1, 7, v34
; %bb.77:                               ;   in Loop: Header=BB291_13 Depth=1
	s_or_b32 exec_lo, exec_lo, s51
	v_lshlrev_b32_e32 v33, 8, v33
	v_lshl_add_u32 v31, v31, 10, 0x2000
	s_delay_alu instid0(VALU_DEP_1) | instskip(NEXT) | instid1(VALU_DEP_1)
	v_and_or_b32 v31, 0x8000, v33, v31
	v_lshl_or_b32 v1, v1, 7, v31
	s_delay_alu instid0(VALU_DEP_1)
	v_cvt_f32_f16_e32 v31, v1
.LBB291_78:                             ;   in Loop: Header=BB291_13 Depth=1
	s_or_b32 exec_lo, exec_lo, s50
.LBB291_79:                             ;   in Loop: Header=BB291_13 Depth=1
	s_delay_alu instid0(SALU_CYCLE_1)
	s_or_b32 exec_lo, exec_lo, s49
.LBB291_80:                             ;   in Loop: Header=BB291_13 Depth=1
	s_delay_alu instid0(SALU_CYCLE_1) | instskip(SKIP_4) | instid1(VALU_DEP_2)
	s_or_b32 exec_lo, exec_lo, s48
	global_load_u16 v1, v[10:11], off offset:256
	s_waitcnt vmcnt(0)
	v_dual_mov_b32 v33, 0 :: v_dual_and_b32 v34, 0xff, v1
	v_and_b32_e32 v35, 0xffff, v1
	v_cmp_ne_u16_e64 s1, 0, v34
	v_mov_b32_e32 v34, 0
	s_delay_alu instid0(VALU_DEP_2)
	s_and_saveexec_b32 s48, s1
	s_cbranch_execz .LBB291_88
; %bb.81:                               ;   in Loop: Header=BB291_13 Depth=1
	v_and_b32_e32 v1, 0xff, v35
	v_bfrev_b32_e32 v34, 1
	s_mov_b32 s49, exec_lo
	s_delay_alu instid0(VALU_DEP_2)
	v_cmpx_ne_u16_e32 0x80, v1
	s_cbranch_execz .LBB291_87
; %bb.82:                               ;   in Loop: Header=BB291_13 Depth=1
	v_and_b32_e32 v36, 0x7f, v35
	v_mov_b32_e32 v34, 0x7fc02000
	s_mov_b32 s50, exec_lo
	s_delay_alu instid0(VALU_DEP_2)
	v_cmpx_ne_u32_e32 0x7f, v36
	s_cbranch_execz .LBB291_86
; %bb.83:                               ;   in Loop: Header=BB291_13 Depth=1
	v_and_b32_e32 v1, 7, v35
	v_lshrrev_b32_e32 v34, 3, v36
	s_mov_b32 s51, exec_lo
	v_cmpx_gt_u32_e32 8, v36
; %bb.84:                               ;   in Loop: Header=BB291_13 Depth=1
	s_delay_alu instid0(VALU_DEP_3) | instskip(NEXT) | instid1(VALU_DEP_1)
	v_clz_i32_u32_e32 v34, v1
	v_min_u32_e32 v34, 32, v34
	s_delay_alu instid0(VALU_DEP_1) | instskip(SKIP_1) | instid1(VALU_DEP_2)
	v_subrev_nc_u32_e32 v36, 28, v34
	v_sub_nc_u32_e32 v34, 29, v34
	v_lshlrev_b64 v[36:37], v36, v[1:2]
	s_delay_alu instid0(VALU_DEP_1)
	v_and_b32_e32 v1, 7, v36
; %bb.85:                               ;   in Loop: Header=BB291_13 Depth=1
	s_or_b32 exec_lo, exec_lo, s51
	v_lshlrev_b32_e32 v36, 8, v35
	v_lshl_add_u32 v34, v34, 10, 0x2000
	s_delay_alu instid0(VALU_DEP_1) | instskip(NEXT) | instid1(VALU_DEP_1)
	v_and_or_b32 v34, 0x8000, v36, v34
	v_lshl_or_b32 v1, v1, 7, v34
	s_delay_alu instid0(VALU_DEP_1)
	v_cvt_f32_f16_e32 v34, v1
.LBB291_86:                             ;   in Loop: Header=BB291_13 Depth=1
	s_or_b32 exec_lo, exec_lo, s50
.LBB291_87:                             ;   in Loop: Header=BB291_13 Depth=1
	s_delay_alu instid0(SALU_CYCLE_1)
	s_or_b32 exec_lo, exec_lo, s49
.LBB291_88:                             ;   in Loop: Header=BB291_13 Depth=1
	s_delay_alu instid0(SALU_CYCLE_1) | instskip(SKIP_2) | instid1(VALU_DEP_1)
	s_or_b32 exec_lo, exec_lo, s48
	v_lshrrev_b16 v1, 8, v35
	s_mov_b32 s48, exec_lo
	v_cmpx_ne_u16_e32 0, v1
	s_cbranch_execz .LBB291_96
; %bb.89:                               ;   in Loop: Header=BB291_13 Depth=1
	v_bfrev_b32_e32 v33, 1
	s_mov_b32 s49, exec_lo
	v_cmpx_ne_u16_e32 0x80, v1
	s_cbranch_execz .LBB291_95
; %bb.90:                               ;   in Loop: Header=BB291_13 Depth=1
	v_and_b32_e32 v35, 0xffff, v1
	v_mov_b32_e32 v33, 0x7fc02000
	s_mov_b32 s50, exec_lo
	s_delay_alu instid0(VALU_DEP_2) | instskip(NEXT) | instid1(VALU_DEP_1)
	v_and_b32_e32 v36, 0x7f, v35
	v_cmpx_ne_u32_e32 0x7f, v36
	s_cbranch_execz .LBB291_94
; %bb.91:                               ;   in Loop: Header=BB291_13 Depth=1
	v_and_b32_e32 v1, 7, v35
	v_lshrrev_b32_e32 v33, 3, v36
	s_mov_b32 s51, exec_lo
	v_cmpx_gt_u32_e32 8, v36
; %bb.92:                               ;   in Loop: Header=BB291_13 Depth=1
	s_delay_alu instid0(VALU_DEP_3) | instskip(NEXT) | instid1(VALU_DEP_1)
	v_clz_i32_u32_e32 v33, v1
	v_min_u32_e32 v33, 32, v33
	s_delay_alu instid0(VALU_DEP_1) | instskip(SKIP_1) | instid1(VALU_DEP_2)
	v_subrev_nc_u32_e32 v36, 28, v33
	v_sub_nc_u32_e32 v33, 29, v33
	v_lshlrev_b64 v[36:37], v36, v[1:2]
	s_delay_alu instid0(VALU_DEP_1)
	v_and_b32_e32 v1, 7, v36
; %bb.93:                               ;   in Loop: Header=BB291_13 Depth=1
	s_or_b32 exec_lo, exec_lo, s51
	v_lshlrev_b32_e32 v35, 8, v35
	v_lshl_add_u32 v33, v33, 10, 0x2000
	s_delay_alu instid0(VALU_DEP_1) | instskip(NEXT) | instid1(VALU_DEP_1)
	v_and_or_b32 v33, 0x8000, v35, v33
	v_lshl_or_b32 v1, v1, 7, v33
	s_delay_alu instid0(VALU_DEP_1)
	v_cvt_f32_f16_e32 v33, v1
.LBB291_94:                             ;   in Loop: Header=BB291_13 Depth=1
	s_or_b32 exec_lo, exec_lo, s50
.LBB291_95:                             ;   in Loop: Header=BB291_13 Depth=1
	s_delay_alu instid0(SALU_CYCLE_1)
	s_or_b32 exec_lo, exec_lo, s49
.LBB291_96:                             ;   in Loop: Header=BB291_13 Depth=1
	s_delay_alu instid0(SALU_CYCLE_1) | instskip(SKIP_4) | instid1(VALU_DEP_2)
	s_or_b32 exec_lo, exec_lo, s48
	global_load_u16 v1, v[10:11], off offset:264
	s_waitcnt vmcnt(0)
	v_dual_mov_b32 v35, 0 :: v_dual_and_b32 v36, 0xff, v1
	v_and_b32_e32 v37, 0xffff, v1
	v_cmp_ne_u16_e64 s1, 0, v36
	v_mov_b32_e32 v36, 0
	s_delay_alu instid0(VALU_DEP_2)
	s_and_saveexec_b32 s48, s1
	s_cbranch_execz .LBB291_104
; %bb.97:                               ;   in Loop: Header=BB291_13 Depth=1
	v_and_b32_e32 v1, 0xff, v37
	v_bfrev_b32_e32 v36, 1
	s_mov_b32 s49, exec_lo
	s_delay_alu instid0(VALU_DEP_2)
	v_cmpx_ne_u16_e32 0x80, v1
	s_cbranch_execz .LBB291_103
; %bb.98:                               ;   in Loop: Header=BB291_13 Depth=1
	v_and_b32_e32 v38, 0x7f, v37
	v_mov_b32_e32 v36, 0x7fc02000
	s_mov_b32 s50, exec_lo
	s_delay_alu instid0(VALU_DEP_2)
	v_cmpx_ne_u32_e32 0x7f, v38
	s_cbranch_execz .LBB291_102
; %bb.99:                               ;   in Loop: Header=BB291_13 Depth=1
	v_and_b32_e32 v1, 7, v37
	v_lshrrev_b32_e32 v36, 3, v38
	s_mov_b32 s51, exec_lo
	v_cmpx_gt_u32_e32 8, v38
; %bb.100:                              ;   in Loop: Header=BB291_13 Depth=1
	s_delay_alu instid0(VALU_DEP_3) | instskip(NEXT) | instid1(VALU_DEP_1)
	v_clz_i32_u32_e32 v36, v1
	v_min_u32_e32 v36, 32, v36
	s_delay_alu instid0(VALU_DEP_1) | instskip(SKIP_1) | instid1(VALU_DEP_2)
	v_subrev_nc_u32_e32 v38, 28, v36
	v_sub_nc_u32_e32 v36, 29, v36
	v_lshlrev_b64 v[38:39], v38, v[1:2]
	s_delay_alu instid0(VALU_DEP_1)
	v_and_b32_e32 v1, 7, v38
; %bb.101:                              ;   in Loop: Header=BB291_13 Depth=1
	s_or_b32 exec_lo, exec_lo, s51
	v_lshlrev_b32_e32 v38, 8, v37
	v_lshl_add_u32 v36, v36, 10, 0x2000
	s_delay_alu instid0(VALU_DEP_1) | instskip(NEXT) | instid1(VALU_DEP_1)
	v_and_or_b32 v36, 0x8000, v38, v36
	v_lshl_or_b32 v1, v1, 7, v36
	s_delay_alu instid0(VALU_DEP_1)
	v_cvt_f32_f16_e32 v36, v1
.LBB291_102:                            ;   in Loop: Header=BB291_13 Depth=1
	s_or_b32 exec_lo, exec_lo, s50
.LBB291_103:                            ;   in Loop: Header=BB291_13 Depth=1
	s_delay_alu instid0(SALU_CYCLE_1)
	s_or_b32 exec_lo, exec_lo, s49
.LBB291_104:                            ;   in Loop: Header=BB291_13 Depth=1
	s_delay_alu instid0(SALU_CYCLE_1) | instskip(SKIP_2) | instid1(VALU_DEP_1)
	s_or_b32 exec_lo, exec_lo, s48
	v_lshrrev_b16 v1, 8, v37
	s_mov_b32 s48, exec_lo
	v_cmpx_ne_u16_e32 0, v1
	s_cbranch_execz .LBB291_112
; %bb.105:                              ;   in Loop: Header=BB291_13 Depth=1
	v_bfrev_b32_e32 v35, 1
	s_mov_b32 s49, exec_lo
	v_cmpx_ne_u16_e32 0x80, v1
	s_cbranch_execz .LBB291_111
; %bb.106:                              ;   in Loop: Header=BB291_13 Depth=1
	v_and_b32_e32 v37, 0xffff, v1
	v_mov_b32_e32 v35, 0x7fc02000
	s_mov_b32 s50, exec_lo
	s_delay_alu instid0(VALU_DEP_2) | instskip(NEXT) | instid1(VALU_DEP_1)
	v_and_b32_e32 v38, 0x7f, v37
	v_cmpx_ne_u32_e32 0x7f, v38
	s_cbranch_execz .LBB291_110
; %bb.107:                              ;   in Loop: Header=BB291_13 Depth=1
	v_and_b32_e32 v1, 7, v37
	v_lshrrev_b32_e32 v35, 3, v38
	s_mov_b32 s51, exec_lo
	v_cmpx_gt_u32_e32 8, v38
; %bb.108:                              ;   in Loop: Header=BB291_13 Depth=1
	s_delay_alu instid0(VALU_DEP_3) | instskip(NEXT) | instid1(VALU_DEP_1)
	v_clz_i32_u32_e32 v35, v1
	v_min_u32_e32 v35, 32, v35
	s_delay_alu instid0(VALU_DEP_1) | instskip(SKIP_1) | instid1(VALU_DEP_2)
	v_subrev_nc_u32_e32 v38, 28, v35
	v_sub_nc_u32_e32 v35, 29, v35
	v_lshlrev_b64 v[38:39], v38, v[1:2]
	s_delay_alu instid0(VALU_DEP_1)
	v_and_b32_e32 v1, 7, v38
; %bb.109:                              ;   in Loop: Header=BB291_13 Depth=1
	s_or_b32 exec_lo, exec_lo, s51
	v_lshlrev_b32_e32 v37, 8, v37
	v_lshl_add_u32 v35, v35, 10, 0x2000
	s_delay_alu instid0(VALU_DEP_1) | instskip(NEXT) | instid1(VALU_DEP_1)
	v_and_or_b32 v35, 0x8000, v37, v35
	v_lshl_or_b32 v1, v1, 7, v35
	s_delay_alu instid0(VALU_DEP_1)
	v_cvt_f32_f16_e32 v35, v1
.LBB291_110:                            ;   in Loop: Header=BB291_13 Depth=1
	s_or_b32 exec_lo, exec_lo, s50
.LBB291_111:                            ;   in Loop: Header=BB291_13 Depth=1
	s_delay_alu instid0(SALU_CYCLE_1)
	s_or_b32 exec_lo, exec_lo, s49
.LBB291_112:                            ;   in Loop: Header=BB291_13 Depth=1
	s_delay_alu instid0(SALU_CYCLE_1) | instskip(SKIP_4) | instid1(VALU_DEP_2)
	s_or_b32 exec_lo, exec_lo, s48
	global_load_u16 v1, v[10:11], off offset:384
	s_waitcnt vmcnt(0)
	v_dual_mov_b32 v37, 0 :: v_dual_and_b32 v38, 0xff, v1
	v_and_b32_e32 v39, 0xffff, v1
	v_cmp_ne_u16_e64 s1, 0, v38
	v_mov_b32_e32 v38, 0
	s_delay_alu instid0(VALU_DEP_2)
	s_and_saveexec_b32 s48, s1
	s_cbranch_execz .LBB291_120
; %bb.113:                              ;   in Loop: Header=BB291_13 Depth=1
	v_and_b32_e32 v1, 0xff, v39
	v_bfrev_b32_e32 v38, 1
	s_mov_b32 s49, exec_lo
	s_delay_alu instid0(VALU_DEP_2)
	v_cmpx_ne_u16_e32 0x80, v1
	s_cbranch_execz .LBB291_119
; %bb.114:                              ;   in Loop: Header=BB291_13 Depth=1
	v_and_b32_e32 v40, 0x7f, v39
	v_mov_b32_e32 v38, 0x7fc02000
	s_mov_b32 s50, exec_lo
	s_delay_alu instid0(VALU_DEP_2)
	v_cmpx_ne_u32_e32 0x7f, v40
	s_cbranch_execz .LBB291_118
; %bb.115:                              ;   in Loop: Header=BB291_13 Depth=1
	v_and_b32_e32 v1, 7, v39
	v_lshrrev_b32_e32 v38, 3, v40
	s_mov_b32 s51, exec_lo
	v_cmpx_gt_u32_e32 8, v40
; %bb.116:                              ;   in Loop: Header=BB291_13 Depth=1
	s_delay_alu instid0(VALU_DEP_3) | instskip(NEXT) | instid1(VALU_DEP_1)
	v_clz_i32_u32_e32 v38, v1
	v_min_u32_e32 v38, 32, v38
	s_delay_alu instid0(VALU_DEP_1) | instskip(SKIP_1) | instid1(VALU_DEP_2)
	v_subrev_nc_u32_e32 v40, 28, v38
	v_sub_nc_u32_e32 v38, 29, v38
	v_lshlrev_b64 v[40:41], v40, v[1:2]
	s_delay_alu instid0(VALU_DEP_1)
	v_and_b32_e32 v1, 7, v40
; %bb.117:                              ;   in Loop: Header=BB291_13 Depth=1
	s_or_b32 exec_lo, exec_lo, s51
	v_lshlrev_b32_e32 v40, 8, v39
	v_lshl_add_u32 v38, v38, 10, 0x2000
	s_delay_alu instid0(VALU_DEP_1) | instskip(NEXT) | instid1(VALU_DEP_1)
	v_and_or_b32 v38, 0x8000, v40, v38
	v_lshl_or_b32 v1, v1, 7, v38
	s_delay_alu instid0(VALU_DEP_1)
	v_cvt_f32_f16_e32 v38, v1
.LBB291_118:                            ;   in Loop: Header=BB291_13 Depth=1
	s_or_b32 exec_lo, exec_lo, s50
.LBB291_119:                            ;   in Loop: Header=BB291_13 Depth=1
	s_delay_alu instid0(SALU_CYCLE_1)
	s_or_b32 exec_lo, exec_lo, s49
.LBB291_120:                            ;   in Loop: Header=BB291_13 Depth=1
	s_delay_alu instid0(SALU_CYCLE_1) | instskip(SKIP_2) | instid1(VALU_DEP_1)
	s_or_b32 exec_lo, exec_lo, s48
	v_lshrrev_b16 v1, 8, v39
	s_mov_b32 s48, exec_lo
	v_cmpx_ne_u16_e32 0, v1
	s_cbranch_execz .LBB291_128
; %bb.121:                              ;   in Loop: Header=BB291_13 Depth=1
	v_bfrev_b32_e32 v37, 1
	s_mov_b32 s49, exec_lo
	v_cmpx_ne_u16_e32 0x80, v1
	s_cbranch_execz .LBB291_127
; %bb.122:                              ;   in Loop: Header=BB291_13 Depth=1
	v_and_b32_e32 v39, 0xffff, v1
	v_mov_b32_e32 v37, 0x7fc02000
	s_mov_b32 s50, exec_lo
	s_delay_alu instid0(VALU_DEP_2) | instskip(NEXT) | instid1(VALU_DEP_1)
	v_and_b32_e32 v40, 0x7f, v39
	v_cmpx_ne_u32_e32 0x7f, v40
	s_cbranch_execz .LBB291_126
; %bb.123:                              ;   in Loop: Header=BB291_13 Depth=1
	v_and_b32_e32 v1, 7, v39
	v_lshrrev_b32_e32 v37, 3, v40
	s_mov_b32 s51, exec_lo
	v_cmpx_gt_u32_e32 8, v40
; %bb.124:                              ;   in Loop: Header=BB291_13 Depth=1
	s_delay_alu instid0(VALU_DEP_3) | instskip(NEXT) | instid1(VALU_DEP_1)
	v_clz_i32_u32_e32 v37, v1
	v_min_u32_e32 v37, 32, v37
	s_delay_alu instid0(VALU_DEP_1) | instskip(SKIP_1) | instid1(VALU_DEP_2)
	v_subrev_nc_u32_e32 v40, 28, v37
	v_sub_nc_u32_e32 v37, 29, v37
	v_lshlrev_b64 v[40:41], v40, v[1:2]
	s_delay_alu instid0(VALU_DEP_1)
	v_and_b32_e32 v1, 7, v40
; %bb.125:                              ;   in Loop: Header=BB291_13 Depth=1
	s_or_b32 exec_lo, exec_lo, s51
	v_lshlrev_b32_e32 v39, 8, v39
	v_lshl_add_u32 v37, v37, 10, 0x2000
	s_delay_alu instid0(VALU_DEP_1) | instskip(NEXT) | instid1(VALU_DEP_1)
	v_and_or_b32 v37, 0x8000, v39, v37
	v_lshl_or_b32 v1, v1, 7, v37
	s_delay_alu instid0(VALU_DEP_1)
	v_cvt_f32_f16_e32 v37, v1
.LBB291_126:                            ;   in Loop: Header=BB291_13 Depth=1
	s_or_b32 exec_lo, exec_lo, s50
.LBB291_127:                            ;   in Loop: Header=BB291_13 Depth=1
	s_delay_alu instid0(SALU_CYCLE_1)
	s_or_b32 exec_lo, exec_lo, s49
.LBB291_128:                            ;   in Loop: Header=BB291_13 Depth=1
	s_delay_alu instid0(SALU_CYCLE_1) | instskip(SKIP_4) | instid1(VALU_DEP_2)
	s_or_b32 exec_lo, exec_lo, s48
	global_load_u16 v1, v[10:11], off offset:392
	s_waitcnt vmcnt(0)
	v_dual_mov_b32 v39, 0 :: v_dual_and_b32 v40, 0xff, v1
	v_and_b32_e32 v41, 0xffff, v1
	v_cmp_ne_u16_e64 s1, 0, v40
	v_mov_b32_e32 v40, 0
	s_delay_alu instid0(VALU_DEP_2)
	s_and_saveexec_b32 s48, s1
	s_cbranch_execz .LBB291_136
; %bb.129:                              ;   in Loop: Header=BB291_13 Depth=1
	v_and_b32_e32 v1, 0xff, v41
	v_bfrev_b32_e32 v40, 1
	s_mov_b32 s49, exec_lo
	s_delay_alu instid0(VALU_DEP_2)
	v_cmpx_ne_u16_e32 0x80, v1
	s_cbranch_execz .LBB291_135
; %bb.130:                              ;   in Loop: Header=BB291_13 Depth=1
	v_and_b32_e32 v42, 0x7f, v41
	v_mov_b32_e32 v40, 0x7fc02000
	s_mov_b32 s50, exec_lo
	s_delay_alu instid0(VALU_DEP_2)
	v_cmpx_ne_u32_e32 0x7f, v42
	s_cbranch_execz .LBB291_134
; %bb.131:                              ;   in Loop: Header=BB291_13 Depth=1
	v_and_b32_e32 v1, 7, v41
	v_lshrrev_b32_e32 v40, 3, v42
	s_mov_b32 s51, exec_lo
	v_cmpx_gt_u32_e32 8, v42
; %bb.132:                              ;   in Loop: Header=BB291_13 Depth=1
	s_delay_alu instid0(VALU_DEP_3) | instskip(NEXT) | instid1(VALU_DEP_1)
	v_clz_i32_u32_e32 v40, v1
	v_min_u32_e32 v40, 32, v40
	s_delay_alu instid0(VALU_DEP_1) | instskip(SKIP_1) | instid1(VALU_DEP_2)
	v_subrev_nc_u32_e32 v42, 28, v40
	v_sub_nc_u32_e32 v40, 29, v40
	v_lshlrev_b64 v[42:43], v42, v[1:2]
	s_delay_alu instid0(VALU_DEP_1)
	v_and_b32_e32 v1, 7, v42
; %bb.133:                              ;   in Loop: Header=BB291_13 Depth=1
	s_or_b32 exec_lo, exec_lo, s51
	v_lshlrev_b32_e32 v42, 8, v41
	v_lshl_add_u32 v40, v40, 10, 0x2000
	s_delay_alu instid0(VALU_DEP_1) | instskip(NEXT) | instid1(VALU_DEP_1)
	v_and_or_b32 v40, 0x8000, v42, v40
	v_lshl_or_b32 v1, v1, 7, v40
	s_delay_alu instid0(VALU_DEP_1)
	v_cvt_f32_f16_e32 v40, v1
.LBB291_134:                            ;   in Loop: Header=BB291_13 Depth=1
	s_or_b32 exec_lo, exec_lo, s50
.LBB291_135:                            ;   in Loop: Header=BB291_13 Depth=1
	s_delay_alu instid0(SALU_CYCLE_1)
	s_or_b32 exec_lo, exec_lo, s49
.LBB291_136:                            ;   in Loop: Header=BB291_13 Depth=1
	s_delay_alu instid0(SALU_CYCLE_1) | instskip(SKIP_2) | instid1(VALU_DEP_1)
	s_or_b32 exec_lo, exec_lo, s48
	v_lshrrev_b16 v1, 8, v41
	s_mov_b32 s48, exec_lo
	v_cmpx_ne_u16_e32 0, v1
	s_cbranch_execz .LBB291_144
; %bb.137:                              ;   in Loop: Header=BB291_13 Depth=1
	v_bfrev_b32_e32 v39, 1
	s_mov_b32 s49, exec_lo
	v_cmpx_ne_u16_e32 0x80, v1
	s_cbranch_execz .LBB291_143
; %bb.138:                              ;   in Loop: Header=BB291_13 Depth=1
	v_and_b32_e32 v41, 0xffff, v1
	v_mov_b32_e32 v39, 0x7fc02000
	s_mov_b32 s50, exec_lo
	s_delay_alu instid0(VALU_DEP_2) | instskip(NEXT) | instid1(VALU_DEP_1)
	v_and_b32_e32 v42, 0x7f, v41
	v_cmpx_ne_u32_e32 0x7f, v42
	s_cbranch_execz .LBB291_142
; %bb.139:                              ;   in Loop: Header=BB291_13 Depth=1
	v_and_b32_e32 v1, 7, v41
	v_lshrrev_b32_e32 v39, 3, v42
	s_mov_b32 s51, exec_lo
	v_cmpx_gt_u32_e32 8, v42
; %bb.140:                              ;   in Loop: Header=BB291_13 Depth=1
	s_delay_alu instid0(VALU_DEP_3) | instskip(NEXT) | instid1(VALU_DEP_1)
	v_clz_i32_u32_e32 v39, v1
	v_min_u32_e32 v39, 32, v39
	s_delay_alu instid0(VALU_DEP_1) | instskip(SKIP_1) | instid1(VALU_DEP_2)
	v_subrev_nc_u32_e32 v42, 28, v39
	v_sub_nc_u32_e32 v39, 29, v39
	v_lshlrev_b64 v[42:43], v42, v[1:2]
	s_delay_alu instid0(VALU_DEP_1)
	v_and_b32_e32 v1, 7, v42
; %bb.141:                              ;   in Loop: Header=BB291_13 Depth=1
	s_or_b32 exec_lo, exec_lo, s51
	v_lshlrev_b32_e32 v41, 8, v41
	v_lshl_add_u32 v39, v39, 10, 0x2000
	s_delay_alu instid0(VALU_DEP_1) | instskip(NEXT) | instid1(VALU_DEP_1)
	v_and_or_b32 v39, 0x8000, v41, v39
	v_lshl_or_b32 v1, v1, 7, v39
	s_delay_alu instid0(VALU_DEP_1)
	v_cvt_f32_f16_e32 v39, v1
.LBB291_142:                            ;   in Loop: Header=BB291_13 Depth=1
	s_or_b32 exec_lo, exec_lo, s50
.LBB291_143:                            ;   in Loop: Header=BB291_13 Depth=1
	s_delay_alu instid0(SALU_CYCLE_1)
	s_or_b32 exec_lo, exec_lo, s49
.LBB291_144:                            ;   in Loop: Header=BB291_13 Depth=1
	s_delay_alu instid0(SALU_CYCLE_1) | instskip(SKIP_4) | instid1(VALU_DEP_2)
	s_or_b32 exec_lo, exec_lo, s48
	global_load_u16 v1, v[10:11], off offset:512
	s_waitcnt vmcnt(0)
	v_dual_mov_b32 v41, 0 :: v_dual_and_b32 v42, 0xff, v1
	v_and_b32_e32 v43, 0xffff, v1
	v_cmp_ne_u16_e64 s1, 0, v42
	v_mov_b32_e32 v42, 0
	s_delay_alu instid0(VALU_DEP_2)
	s_and_saveexec_b32 s48, s1
	s_cbranch_execz .LBB291_152
; %bb.145:                              ;   in Loop: Header=BB291_13 Depth=1
	v_and_b32_e32 v1, 0xff, v43
	v_bfrev_b32_e32 v42, 1
	s_mov_b32 s49, exec_lo
	s_delay_alu instid0(VALU_DEP_2)
	v_cmpx_ne_u16_e32 0x80, v1
	s_cbranch_execz .LBB291_151
; %bb.146:                              ;   in Loop: Header=BB291_13 Depth=1
	v_and_b32_e32 v44, 0x7f, v43
	v_mov_b32_e32 v42, 0x7fc02000
	s_mov_b32 s50, exec_lo
	s_delay_alu instid0(VALU_DEP_2)
	v_cmpx_ne_u32_e32 0x7f, v44
	s_cbranch_execz .LBB291_150
; %bb.147:                              ;   in Loop: Header=BB291_13 Depth=1
	v_and_b32_e32 v1, 7, v43
	v_lshrrev_b32_e32 v42, 3, v44
	s_mov_b32 s51, exec_lo
	v_cmpx_gt_u32_e32 8, v44
; %bb.148:                              ;   in Loop: Header=BB291_13 Depth=1
	s_delay_alu instid0(VALU_DEP_3) | instskip(NEXT) | instid1(VALU_DEP_1)
	v_clz_i32_u32_e32 v42, v1
	v_min_u32_e32 v42, 32, v42
	s_delay_alu instid0(VALU_DEP_1) | instskip(SKIP_1) | instid1(VALU_DEP_2)
	v_subrev_nc_u32_e32 v44, 28, v42
	v_sub_nc_u32_e32 v42, 29, v42
	v_lshlrev_b64 v[44:45], v44, v[1:2]
	s_delay_alu instid0(VALU_DEP_1)
	v_and_b32_e32 v1, 7, v44
; %bb.149:                              ;   in Loop: Header=BB291_13 Depth=1
	s_or_b32 exec_lo, exec_lo, s51
	v_lshlrev_b32_e32 v44, 8, v43
	v_lshl_add_u32 v42, v42, 10, 0x2000
	s_delay_alu instid0(VALU_DEP_1) | instskip(NEXT) | instid1(VALU_DEP_1)
	v_and_or_b32 v42, 0x8000, v44, v42
	v_lshl_or_b32 v1, v1, 7, v42
	s_delay_alu instid0(VALU_DEP_1)
	v_cvt_f32_f16_e32 v42, v1
.LBB291_150:                            ;   in Loop: Header=BB291_13 Depth=1
	s_or_b32 exec_lo, exec_lo, s50
.LBB291_151:                            ;   in Loop: Header=BB291_13 Depth=1
	s_delay_alu instid0(SALU_CYCLE_1)
	s_or_b32 exec_lo, exec_lo, s49
.LBB291_152:                            ;   in Loop: Header=BB291_13 Depth=1
	s_delay_alu instid0(SALU_CYCLE_1) | instskip(SKIP_2) | instid1(VALU_DEP_1)
	s_or_b32 exec_lo, exec_lo, s48
	v_lshrrev_b16 v1, 8, v43
	s_mov_b32 s48, exec_lo
	v_cmpx_ne_u16_e32 0, v1
	s_cbranch_execz .LBB291_160
; %bb.153:                              ;   in Loop: Header=BB291_13 Depth=1
	v_bfrev_b32_e32 v41, 1
	s_mov_b32 s49, exec_lo
	v_cmpx_ne_u16_e32 0x80, v1
	s_cbranch_execz .LBB291_159
; %bb.154:                              ;   in Loop: Header=BB291_13 Depth=1
	v_and_b32_e32 v43, 0xffff, v1
	v_mov_b32_e32 v41, 0x7fc02000
	s_mov_b32 s50, exec_lo
	s_delay_alu instid0(VALU_DEP_2) | instskip(NEXT) | instid1(VALU_DEP_1)
	v_and_b32_e32 v44, 0x7f, v43
	v_cmpx_ne_u32_e32 0x7f, v44
	s_cbranch_execz .LBB291_158
; %bb.155:                              ;   in Loop: Header=BB291_13 Depth=1
	v_and_b32_e32 v1, 7, v43
	v_lshrrev_b32_e32 v41, 3, v44
	s_mov_b32 s51, exec_lo
	v_cmpx_gt_u32_e32 8, v44
; %bb.156:                              ;   in Loop: Header=BB291_13 Depth=1
	s_delay_alu instid0(VALU_DEP_3) | instskip(NEXT) | instid1(VALU_DEP_1)
	v_clz_i32_u32_e32 v41, v1
	v_min_u32_e32 v41, 32, v41
	s_delay_alu instid0(VALU_DEP_1) | instskip(SKIP_1) | instid1(VALU_DEP_2)
	v_subrev_nc_u32_e32 v44, 28, v41
	v_sub_nc_u32_e32 v41, 29, v41
	v_lshlrev_b64 v[44:45], v44, v[1:2]
	s_delay_alu instid0(VALU_DEP_1)
	v_and_b32_e32 v1, 7, v44
; %bb.157:                              ;   in Loop: Header=BB291_13 Depth=1
	s_or_b32 exec_lo, exec_lo, s51
	v_lshlrev_b32_e32 v43, 8, v43
	v_lshl_add_u32 v41, v41, 10, 0x2000
	s_delay_alu instid0(VALU_DEP_1) | instskip(NEXT) | instid1(VALU_DEP_1)
	v_and_or_b32 v41, 0x8000, v43, v41
	v_lshl_or_b32 v1, v1, 7, v41
	s_delay_alu instid0(VALU_DEP_1)
	v_cvt_f32_f16_e32 v41, v1
.LBB291_158:                            ;   in Loop: Header=BB291_13 Depth=1
	s_or_b32 exec_lo, exec_lo, s50
.LBB291_159:                            ;   in Loop: Header=BB291_13 Depth=1
	s_delay_alu instid0(SALU_CYCLE_1)
	s_or_b32 exec_lo, exec_lo, s49
.LBB291_160:                            ;   in Loop: Header=BB291_13 Depth=1
	s_delay_alu instid0(SALU_CYCLE_1) | instskip(SKIP_4) | instid1(VALU_DEP_2)
	s_or_b32 exec_lo, exec_lo, s48
	global_load_u16 v1, v[10:11], off offset:520
	s_waitcnt vmcnt(0)
	v_dual_mov_b32 v10, 0 :: v_dual_and_b32 v11, 0xff, v1
	v_and_b32_e32 v43, 0xffff, v1
	v_cmp_ne_u16_e64 s1, 0, v11
	v_mov_b32_e32 v11, 0
	s_delay_alu instid0(VALU_DEP_2)
	s_and_saveexec_b32 s48, s1
	s_cbranch_execz .LBB291_168
; %bb.161:                              ;   in Loop: Header=BB291_13 Depth=1
	v_and_b32_e32 v1, 0xff, v43
	v_bfrev_b32_e32 v11, 1
	s_mov_b32 s49, exec_lo
	s_delay_alu instid0(VALU_DEP_2)
	v_cmpx_ne_u16_e32 0x80, v1
	s_cbranch_execz .LBB291_167
; %bb.162:                              ;   in Loop: Header=BB291_13 Depth=1
	v_and_b32_e32 v44, 0x7f, v43
	v_mov_b32_e32 v11, 0x7fc02000
	s_mov_b32 s50, exec_lo
	s_delay_alu instid0(VALU_DEP_2)
	v_cmpx_ne_u32_e32 0x7f, v44
	s_cbranch_execz .LBB291_166
; %bb.163:                              ;   in Loop: Header=BB291_13 Depth=1
	v_and_b32_e32 v1, 7, v43
	v_lshrrev_b32_e32 v11, 3, v44
	s_mov_b32 s51, exec_lo
	v_cmpx_gt_u32_e32 8, v44
; %bb.164:                              ;   in Loop: Header=BB291_13 Depth=1
	s_delay_alu instid0(VALU_DEP_3) | instskip(NEXT) | instid1(VALU_DEP_1)
	v_clz_i32_u32_e32 v11, v1
	v_min_u32_e32 v11, 32, v11
	s_delay_alu instid0(VALU_DEP_1) | instskip(SKIP_1) | instid1(VALU_DEP_2)
	v_subrev_nc_u32_e32 v44, 28, v11
	v_sub_nc_u32_e32 v11, 29, v11
	v_lshlrev_b64 v[44:45], v44, v[1:2]
	s_delay_alu instid0(VALU_DEP_1)
	v_and_b32_e32 v1, 7, v44
; %bb.165:                              ;   in Loop: Header=BB291_13 Depth=1
	s_or_b32 exec_lo, exec_lo, s51
	v_lshlrev_b32_e32 v44, 8, v43
	v_lshl_add_u32 v11, v11, 10, 0x2000
	s_delay_alu instid0(VALU_DEP_1) | instskip(NEXT) | instid1(VALU_DEP_1)
	v_and_or_b32 v11, 0x8000, v44, v11
	v_lshl_or_b32 v1, v1, 7, v11
	s_delay_alu instid0(VALU_DEP_1)
	v_cvt_f32_f16_e32 v11, v1
.LBB291_166:                            ;   in Loop: Header=BB291_13 Depth=1
	s_or_b32 exec_lo, exec_lo, s50
.LBB291_167:                            ;   in Loop: Header=BB291_13 Depth=1
	s_delay_alu instid0(SALU_CYCLE_1)
	s_or_b32 exec_lo, exec_lo, s49
.LBB291_168:                            ;   in Loop: Header=BB291_13 Depth=1
	s_delay_alu instid0(SALU_CYCLE_1) | instskip(SKIP_2) | instid1(VALU_DEP_1)
	s_or_b32 exec_lo, exec_lo, s48
	v_lshrrev_b16 v1, 8, v43
	s_mov_b32 s48, exec_lo
	v_cmpx_ne_u16_e32 0, v1
	s_cbranch_execz .LBB291_176
; %bb.169:                              ;   in Loop: Header=BB291_13 Depth=1
	v_bfrev_b32_e32 v10, 1
	s_mov_b32 s49, exec_lo
	v_cmpx_ne_u16_e32 0x80, v1
	s_cbranch_execz .LBB291_175
; %bb.170:                              ;   in Loop: Header=BB291_13 Depth=1
	v_and_b32_e32 v43, 0xffff, v1
	v_mov_b32_e32 v10, 0x7fc02000
	s_mov_b32 s50, exec_lo
	s_delay_alu instid0(VALU_DEP_2) | instskip(NEXT) | instid1(VALU_DEP_1)
	v_and_b32_e32 v44, 0x7f, v43
	v_cmpx_ne_u32_e32 0x7f, v44
	s_cbranch_execz .LBB291_174
; %bb.171:                              ;   in Loop: Header=BB291_13 Depth=1
	v_and_b32_e32 v1, 7, v43
	v_lshrrev_b32_e32 v10, 3, v44
	s_mov_b32 s51, exec_lo
	v_cmpx_gt_u32_e32 8, v44
; %bb.172:                              ;   in Loop: Header=BB291_13 Depth=1
	s_delay_alu instid0(VALU_DEP_3) | instskip(NEXT) | instid1(VALU_DEP_1)
	v_clz_i32_u32_e32 v10, v1
	v_min_u32_e32 v10, 32, v10
	s_delay_alu instid0(VALU_DEP_1) | instskip(SKIP_1) | instid1(VALU_DEP_2)
	v_subrev_nc_u32_e32 v44, 28, v10
	v_sub_nc_u32_e32 v10, 29, v10
	v_lshlrev_b64 v[44:45], v44, v[1:2]
	s_delay_alu instid0(VALU_DEP_1)
	v_and_b32_e32 v1, 7, v44
; %bb.173:                              ;   in Loop: Header=BB291_13 Depth=1
	s_or_b32 exec_lo, exec_lo, s51
	v_lshlrev_b32_e32 v43, 8, v43
	v_lshl_add_u32 v10, v10, 10, 0x2000
	s_delay_alu instid0(VALU_DEP_1) | instskip(NEXT) | instid1(VALU_DEP_1)
	v_and_or_b32 v10, 0x8000, v43, v10
	v_lshl_or_b32 v1, v1, 7, v10
	s_delay_alu instid0(VALU_DEP_1)
	v_cvt_f32_f16_e32 v10, v1
.LBB291_174:                            ;   in Loop: Header=BB291_13 Depth=1
	s_or_b32 exec_lo, exec_lo, s50
.LBB291_175:                            ;   in Loop: Header=BB291_13 Depth=1
	s_delay_alu instid0(SALU_CYCLE_1)
	s_or_b32 exec_lo, exec_lo, s49
.LBB291_176:                            ;   in Loop: Header=BB291_13 Depth=1
	s_delay_alu instid0(SALU_CYCLE_1)
	s_or_b32 exec_lo, exec_lo, s48
	ds_load_b32 v1, v17
	v_fma_mixlo_f16 v26, v24, v26, 0
	v_fma_mixlo_f16 v25, v24, v25, 0
	;; [unrolled: 1-line block ×5, first 2 shown]
	v_and_b32_e32 v26, 0xffff, v26
	v_fma_mixlo_f16 v29, v24, v29, 0
	v_fma_mixlo_f16 v32, v24, v32, 0
	v_and_b32_e32 v27, 0xffff, v27
	v_fma_mixlo_f16 v31, v24, v31, 0
	v_fma_mixlo_f16 v34, v24, v34, 0
	;; [unrolled: 3-line block ×4, first 2 shown]
	v_and_b32_e32 v33, 0xffff, v33
	v_fma_mixlo_f16 v37, v24, v37, 0
	s_waitcnt lgkmcnt(0)
	v_and_b32_e32 v43, 0xffff, v1
	v_lshrrev_b32_e32 v1, 16, v1
	;;#ASMSTART
	v_cvt_f32_f16 v43, v43;
	;;#ASMEND
	;;#ASMSTART
	v_cvt_f32_f16 v1, v1;
	;;#ASMEND
	;; [unrolled: 3-line block ×3, first 2 shown]
	v_and_b32_e32 v25, 0xffff, v25
	;;#ASMSTART
	v_cvt_f32_f16 v25, v25;
	;;#ASMEND
	ds_load_b32 v44, v17 offset:4
	v_and_b32_e32 v28, 0xffff, v28
	v_and_b32_e32 v35, 0xffff, v35
	;; [unrolled: 1-line block ×3, first 2 shown]
	v_fma_mixlo_f16 v40, v24, v40, 0
	v_fma_mixlo_f16 v39, v24, v39, 0
	;; [unrolled: 1-line block ×5, first 2 shown]
	s_delay_alu instid0(VALU_DEP_4) | instskip(NEXT) | instid1(VALU_DEP_3)
	v_and_b32_e32 v39, 0xffff, v39
	v_and_b32_e32 v11, 0xffff, v11
	s_delay_alu instid0(VALU_DEP_3)
	v_and_b32_e32 v10, 0xffff, v10
	s_waitcnt lgkmcnt(0)
	v_and_b32_e32 v45, 0xffff, v44
	v_lshrrev_b32_e32 v44, 16, v44
	;;#ASMSTART
	v_cvt_f32_f16 v45, v45;
	;;#ASMEND
	;;#ASMSTART
	v_cvt_f32_f16 v44, v44;
	;;#ASMEND
	;; [unrolled: 3-line block ×4, first 2 shown]
	ds_load_b32 v46, v17 offset:8
	v_dual_mul_f32 v27, v44, v27 :: v_dual_mul_f32 v28, v45, v28
	s_delay_alu instid0(VALU_DEP_1) | instskip(SKIP_3) | instid1(VALU_DEP_3)
	v_dual_fmac_f32 v27, v1, v25 :: v_dual_fmac_f32 v28, v43, v26
	v_fma_mixlo_f16 v1, v24, v41, 0
	v_and_b32_e32 v25, 0xffff, v42
	v_xor_b32_e32 v24, 2, v3
	v_and_b32_e32 v1, 0xffff, v1
	s_delay_alu instid0(VALU_DEP_2)
	v_cmp_gt_i32_e64 s1, 32, v24
	s_waitcnt lgkmcnt(0)
	v_and_b32_e32 v47, 0xffff, v46
	v_lshrrev_b32_e32 v46, 16, v46
	;;#ASMSTART
	v_cvt_f32_f16 v47, v47;
	;;#ASMEND
	;;#ASMSTART
	v_cvt_f32_f16 v46, v46;
	;;#ASMEND
	v_and_b32_e32 v30, 0xffff, v30
	;;#ASMSTART
	v_cvt_f32_f16 v30, v30;
	;;#ASMEND
	;;#ASMSTART
	v_cvt_f32_f16 v29, v29;
	;;#ASMEND
	v_fmac_f32_e32 v27, v46, v29
	ds_load_b32 v48, v17 offset:12
	v_fmac_f32_e32 v28, v47, v30
	v_cndmask_b32_e64 v24, v3, v24, s1
	s_waitcnt lgkmcnt(0)
	v_and_b32_e32 v49, 0xffff, v48
	v_lshrrev_b32_e32 v48, 16, v48
	;;#ASMSTART
	v_cvt_f32_f16 v49, v49;
	;;#ASMEND
	;;#ASMSTART
	v_cvt_f32_f16 v48, v48;
	;;#ASMEND
	v_and_b32_e32 v32, 0xffff, v32
	;;#ASMSTART
	v_cvt_f32_f16 v32, v32;
	;;#ASMEND
	;;#ASMSTART
	v_cvt_f32_f16 v31, v31;
	;;#ASMEND
	v_fmac_f32_e32 v27, v48, v31
	ds_load_b32 v50, v17 offset:16
	s_waitcnt lgkmcnt(0)
	v_dual_fmac_f32 v28, v49, v32 :: v_dual_and_b32 v51, 0xffff, v50
	v_lshrrev_b32_e32 v50, 16, v50
	;;#ASMSTART
	v_cvt_f32_f16 v51, v51;
	;;#ASMEND
	;;#ASMSTART
	v_cvt_f32_f16 v50, v50;
	;;#ASMEND
	v_and_b32_e32 v34, 0xffff, v34
	;;#ASMSTART
	v_cvt_f32_f16 v34, v34;
	;;#ASMEND
	;;#ASMSTART
	v_cvt_f32_f16 v33, v33;
	;;#ASMEND
	v_fmac_f32_e32 v27, v50, v33
	ds_load_b32 v52, v17 offset:20
	s_waitcnt lgkmcnt(0)
	v_dual_fmac_f32 v28, v51, v34 :: v_dual_and_b32 v53, 0xffff, v52
	;; [unrolled: 18-line block ×4, first 2 shown]
	v_lshrrev_b32_e32 v56, 16, v56
	;;#ASMSTART
	v_cvt_f32_f16 v57, v57;
	;;#ASMEND
	;;#ASMSTART
	v_cvt_f32_f16 v56, v56;
	;;#ASMEND
	v_and_b32_e32 v40, 0xffff, v40
	;;#ASMSTART
	v_cvt_f32_f16 v40, v40;
	;;#ASMEND
	;;#ASMSTART
	v_cvt_f32_f16 v39, v39;
	;;#ASMEND
	v_fmac_f32_e32 v27, v56, v39
	ds_load_b32 v58, v17 offset:32
	v_fmac_f32_e32 v28, v57, v40
	s_waitcnt lgkmcnt(0)
	v_and_b32_e32 v26, 0xffff, v58
	v_lshrrev_b32_e32 v29, 16, v58
	;;#ASMSTART
	v_cvt_f32_f16 v26, v26;
	;;#ASMEND
	;;#ASMSTART
	v_cvt_f32_f16 v29, v29;
	;;#ASMEND
	;; [unrolled: 3-line block ×4, first 2 shown]
	v_fmac_f32_e32 v27, v29, v1
	ds_load_b32 v30, v17 offset:36
	v_fmac_f32_e32 v28, v26, v25
	s_waitcnt lgkmcnt(0)
	v_lshrrev_b32_e32 v31, 16, v30
	v_and_b32_e32 v30, 0xffff, v30
	;;#ASMSTART
	v_cvt_f32_f16 v1, v30;
	;;#ASMEND
	;;#ASMSTART
	v_cvt_f32_f16 v25, v31;
	;;#ASMEND
	;; [unrolled: 3-line block ×3, first 2 shown]
	v_fmac_f32_e32 v28, v1, v11
	v_xor_b32_e32 v11, 1, v3
	;;#ASMSTART
	v_cvt_f32_f16 v10, v10;
	;;#ASMEND
	v_lshlrev_b32_e32 v1, 2, v24
	s_delay_alu instid0(VALU_DEP_2) | instskip(NEXT) | instid1(VALU_DEP_1)
	v_cmp_gt_i32_e64 s1, 32, v11
	v_cndmask_b32_e64 v11, v3, v11, s1
	v_fmac_f32_e32 v27, v25, v10
	s_delay_alu instid0(VALU_DEP_1)
	v_add_f32_e32 v10, v28, v27
	ds_bpermute_b32 v1, v1, v10
	s_waitcnt lgkmcnt(0)
	v_dual_add_f32 v1, v10, v1 :: v_dual_lshlrev_b32 v10, 2, v11
	ds_bpermute_b32 v10, v10, v1
	s_and_saveexec_b32 s48, vcc_lo
	s_cbranch_execz .LBB291_11
; %bb.177:                              ;   in Loop: Header=BB291_13 Depth=1
	s_waitcnt lgkmcnt(0)
	v_add_f32_e32 v1, v1, v10
	v_add_nc_u32_e32 v11, v20, v18
	s_delay_alu instid0(VALU_DEP_1) | instskip(NEXT) | instid1(VALU_DEP_1)
	v_cvt_f32_i32_e32 v11, v11
	v_mul_f32_e32 v11, s42, v11
	s_delay_alu instid0(VALU_DEP_1) | instskip(NEXT) | instid1(VALU_DEP_1)
	v_cndmask_b32_e64 v10, 0, v11, s0
	v_dual_max_f32 v11, v12, v12 :: v_dual_fmac_f32 v10, s13, v1
	v_add_nc_u32_e32 v1, v13, v18
	s_delay_alu instid0(VALU_DEP_2) | instskip(NEXT) | instid1(VALU_DEP_2)
	v_max_f32_e32 v11, v11, v10
	v_cmp_gt_i32_e64 s1, s15, v1
	s_delay_alu instid0(VALU_DEP_1) | instskip(NEXT) | instid1(VALU_DEP_3)
	v_cndmask_b32_e64 v1, 0, v10, s1
	v_cndmask_b32_e64 v12, v12, v11, s1
	ds_store_b32 v21, v1
	s_branch .LBB291_11
.LBB291_178:
	s_or_b32 exec_lo, exec_lo, s46
.LBB291_179:
	s_delay_alu instid0(SALU_CYCLE_1)
	s_or_b32 exec_lo, exec_lo, s43
	v_xor_b32_e32 v1, 16, v3
	v_xor_b32_e32 v6, 8, v3
	;; [unrolled: 1-line block ×3, first 2 shown]
	v_and_b32_e32 v17, 31, v0
	v_max_f32_e32 v7, v12, v12
	v_cmp_gt_i32_e32 vcc_lo, 32, v1
	v_cndmask_b32_e32 v1, v3, v1, vcc_lo
	v_cmp_gt_i32_e32 vcc_lo, 32, v6
	v_cndmask_b32_e32 v6, v3, v6, vcc_lo
	v_cmp_gt_i32_e32 vcc_lo, 32, v8
	s_delay_alu instid0(VALU_DEP_2)
	v_lshlrev_b32_e32 v6, 2, v6
	v_lshlrev_b32_e32 v2, 2, v1
	v_cndmask_b32_e32 v8, v3, v8, vcc_lo
	v_cmp_eq_u32_e32 vcc_lo, 0, v17
	ds_bpermute_b32 v1, v2, v12
	s_waitcnt lgkmcnt(0)
	v_dual_max_f32 v1, v1, v1 :: v_dual_lshlrev_b32 v8, 2, v8
	s_delay_alu instid0(VALU_DEP_1) | instskip(SKIP_3) | instid1(VALU_DEP_1)
	v_max_f32_e32 v1, v7, v1
	ds_bpermute_b32 v7, v6, v1
	s_waitcnt lgkmcnt(0)
	v_max_f32_e32 v7, v7, v7
	v_max_f32_e32 v1, v1, v7
	v_lshlrev_b32_e32 v7, 2, v15
	ds_bpermute_b32 v9, v8, v1
	s_and_saveexec_b32 s0, vcc_lo
	s_cbranch_execz .LBB291_181
; %bb.180:
	s_waitcnt lgkmcnt(0)
	v_max_f32_e32 v9, v9, v9
	v_max_f32_e32 v1, v1, v1
	s_delay_alu instid0(VALU_DEP_1)
	v_max_f32_e32 v1, v1, v9
	ds_store_b32 v7, v1 offset:160
.LBB291_181:
	s_or_b32 exec_lo, exec_lo, s0
	v_cmp_gt_u32_e64 s0, 4, v17
	v_dual_mov_b32 v1, 0xff7fffff :: v_dual_lshlrev_b32 v18, 2, v17
	s_waitcnt lgkmcnt(0)
	s_barrier
	buffer_gl0_inv
	s_and_saveexec_b32 s1, s0
	s_cbranch_execz .LBB291_183
; %bb.182:
	ds_load_b32 v1, v18 offset:160
.LBB291_183:
	s_or_b32 exec_lo, exec_lo, s1
	v_xor_b32_e32 v9, 2, v3
	v_xor_b32_e32 v11, 1, v3
	s_delay_alu instid0(VALU_DEP_2) | instskip(NEXT) | instid1(VALU_DEP_1)
	v_cmp_gt_i32_e64 s1, 32, v9
	v_cndmask_b32_e64 v9, v3, v9, s1
	s_delay_alu instid0(VALU_DEP_3) | instskip(NEXT) | instid1(VALU_DEP_2)
	v_cmp_gt_i32_e64 s1, 32, v11
	v_lshlrev_b32_e32 v9, 2, v9
	s_delay_alu instid0(VALU_DEP_2) | instskip(SKIP_1) | instid1(SALU_CYCLE_1)
	v_cndmask_b32_e64 v3, v3, v11, s1
	s_sub_i32 s1, s16, s12
	s_lshl_b32 s1, s1, 3
	s_waitcnt lgkmcnt(0)
	ds_bpermute_b32 v10, v9, v1
	v_max_f32_e32 v1, v1, v1
	s_add_i32 s1, s1, s40
	s_delay_alu instid0(SALU_CYCLE_1) | instskip(NEXT) | instid1(SALU_CYCLE_1)
	s_min_i32 s1, s1, s15
	s_sub_i32 s4, s1, s40
	s_delay_alu instid0(SALU_CYCLE_1) | instskip(SKIP_2) | instid1(VALU_DEP_1)
	v_cmp_gt_i32_e64 s1, s4, v0
	s_waitcnt lgkmcnt(0)
	v_dual_max_f32 v11, v10, v10 :: v_dual_lshlrev_b32 v10, 2, v3
	v_max_f32_e32 v1, v1, v11
	v_mov_b32_e32 v11, 0
	ds_bpermute_b32 v3, v10, v1
	s_waitcnt lgkmcnt(0)
	v_max_f32_e32 v3, v3, v3
	s_delay_alu instid0(VALU_DEP_1)
	v_max_f32_e32 v1, v1, v3
	v_lshl_add_u32 v3, v0, 2, 0xc0
	ds_bpermute_b32 v1, v11, v1
	s_and_saveexec_b32 s5, s1
	s_cbranch_execz .LBB291_187
; %bb.184:
	v_lshl_add_u32 v12, v0, 2, 0xc0
	v_mov_b32_e32 v11, 0
	v_mov_b32_e32 v13, v0
	s_mov_b32 s12, 0
	.p2align	6
.LBB291_185:                            ; =>This Inner Loop Header: Depth=1
	ds_load_b32 v14, v12
	v_add_nc_u32_e32 v13, 0x80, v13
	s_delay_alu instid0(VALU_DEP_1) | instskip(NEXT) | instid1(VALU_DEP_1)
	v_cmp_le_i32_e64 s3, s4, v13
	s_or_b32 s12, s3, s12
	s_waitcnt lgkmcnt(0)
	v_sub_f32_e32 v14, v14, v1
	s_delay_alu instid0(VALU_DEP_1) | instskip(NEXT) | instid1(VALU_DEP_1)
	v_mul_f32_e32 v14, 0x3fb8aa3b, v14
	v_exp_f32_e32 v14, v14
	ds_store_b32 v12, v14
	v_dual_add_f32 v11, v11, v14 :: v_dual_add_nc_u32 v12, 0x200, v12
	s_and_not1_b32 exec_lo, exec_lo, s12
	s_cbranch_execnz .LBB291_185
; %bb.186:
	s_or_b32 exec_lo, exec_lo, s12
.LBB291_187:
	s_delay_alu instid0(SALU_CYCLE_1)
	s_or_b32 exec_lo, exec_lo, s5
	ds_bpermute_b32 v2, v2, v11
	s_waitcnt lgkmcnt(0)
	v_add_f32_e32 v2, v11, v2
	ds_bpermute_b32 v6, v6, v2
	s_waitcnt lgkmcnt(0)
	v_add_f32_e32 v2, v2, v6
	;; [unrolled: 3-line block ×5, first 2 shown]
	s_and_saveexec_b32 s3, vcc_lo
	s_cbranch_execz .LBB291_189
; %bb.188:
	ds_store_b32 v7, v2 offset:176
.LBB291_189:
	s_or_b32 exec_lo, exec_lo, s3
	s_waitcnt lgkmcnt(0)
	s_barrier
	buffer_gl0_inv
	s_and_saveexec_b32 s3, s0
	s_cbranch_execz .LBB291_191
; %bb.190:
	ds_load_b32 v2, v18 offset:176
.LBB291_191:
	s_or_b32 exec_lo, exec_lo, s3
	s_waitcnt lgkmcnt(0)
	ds_bpermute_b32 v6, v9, v2
	s_waitcnt lgkmcnt(0)
	v_add_f32_e32 v2, v2, v6
	ds_bpermute_b32 v6, v10, v2
	s_waitcnt lgkmcnt(0)
	v_add_f32_e32 v2, v2, v6
	v_mov_b32_e32 v6, 0
	ds_bpermute_b32 v2, v6, v2
	s_and_saveexec_b32 s0, s1
	s_cbranch_execz .LBB291_194
; %bb.192:
	s_waitcnt lgkmcnt(0)
	v_add_f32_e32 v6, 0x358637bd, v2
	s_mov_b32 s1, 0
	s_delay_alu instid0(VALU_DEP_1) | instskip(SKIP_1) | instid1(VALU_DEP_2)
	v_div_scale_f32 v7, null, v6, v6, 1.0
	v_div_scale_f32 v10, vcc_lo, 1.0, v6, 1.0
	v_rcp_f32_e32 v8, v7
	s_waitcnt_depctr 0xfff
	v_fma_f32 v9, -v7, v8, 1.0
	s_delay_alu instid0(VALU_DEP_1) | instskip(NEXT) | instid1(VALU_DEP_1)
	v_fmac_f32_e32 v8, v9, v8
	v_mul_f32_e32 v9, v10, v8
	s_delay_alu instid0(VALU_DEP_1) | instskip(NEXT) | instid1(VALU_DEP_1)
	v_fma_f32 v11, -v7, v9, v10
	v_fmac_f32_e32 v9, v11, v8
	s_delay_alu instid0(VALU_DEP_1) | instskip(NEXT) | instid1(VALU_DEP_1)
	v_fma_f32 v7, -v7, v9, v10
	v_div_fmas_f32 v7, v7, v8, v9
	s_delay_alu instid0(VALU_DEP_1)
	v_div_fixup_f32 v6, v7, v6, 1.0
	v_mov_b32_e32 v7, v0
.LBB291_193:                            ; =>This Inner Loop Header: Depth=1
	ds_load_b32 v8, v3
	s_waitcnt lgkmcnt(0)
	v_dual_mul_f32 v8, v6, v8 :: v_dual_add_nc_u32 v7, 0x80, v7
	s_delay_alu instid0(VALU_DEP_1) | instskip(SKIP_3) | instid1(SALU_CYCLE_1)
	v_cmp_le_i32_e32 vcc_lo, s4, v7
	ds_store_b32 v3, v8
	v_add_nc_u32_e32 v3, 0x200, v3
	s_or_b32 s1, vcc_lo, s1
	s_and_not1_b32 exec_lo, exec_lo, s1
	s_cbranch_execnz .LBB291_193
.LBB291_194:
	s_or_b32 exec_lo, exec_lo, s0
	s_mul_i32 s0, s8, s14
	s_mov_b32 s12, 0
	s_mul_i32 s4, s0, s25
	s_mov_b32 s0, exec_lo
	s_waitcnt lgkmcnt(0)
	s_barrier
	buffer_gl0_inv
	v_cmpx_eq_u32_e32 0, v0
	s_cbranch_execz .LBB291_196
; %bb.195:
	s_ashr_i32 s5, s4, 31
	s_mul_i32 s44, s8, s30
	s_lshl_b64 s[42:43], s[4:5], 2
	v_mov_b32_e32 v3, 0
	s_add_u32 s1, s22, s42
	s_addc_u32 s3, s23, s43
	s_ashr_i32 s45, s44, 31
	s_delay_alu instid0(SALU_CYCLE_1) | instskip(NEXT) | instid1(SALU_CYCLE_1)
	s_lshl_b64 s[22:23], s[44:45], 2
	s_add_u32 s1, s1, s22
	s_addc_u32 s3, s3, s23
	s_ashr_i32 s25, s24, 31
	s_delay_alu instid0(SALU_CYCLE_1) | instskip(NEXT) | instid1(SALU_CYCLE_1)
	s_lshl_b64 s[44:45], s[24:25], 2
	s_add_u32 s46, s1, s44
	s_addc_u32 s47, s3, s45
	s_add_u32 s1, s20, s42
	s_addc_u32 s3, s21, s43
	;; [unrolled: 2-line block ×4, first 2 shown]
	s_clause 0x1
	global_store_b32 v3, v1, s[46:47]
	global_store_b32 v3, v2, s[20:21]
.LBB291_196:
	s_or_b32 exec_lo, exec_lo, s0
	s_mov_b32 s13, s12
	s_mov_b32 s14, s12
	v_dual_mov_b32 v1, s12 :: v_dual_mov_b32 v2, s13
	v_mov_b32_e32 v3, s14
	v_or_b32_e32 v19, 64, v17
	s_and_saveexec_b32 s5, s2
	s_cbranch_execz .LBB291_390
; %bb.197:
	s_sub_i32 s17, s11, s17
	s_ashr_i32 s0, s10, 31
	s_add_u32 s2, s38, s10
	s_addc_u32 s3, s39, s0
	s_abs_i32 s18, s18
	s_add_i32 s41, s41, -1
	v_cvt_f32_u32_e32 v1, s18
	s_sub_i32 s0, 0, s18
	s_mov_b32 s13, s12
	s_mov_b32 s14, s12
	v_lshlrev_b32_e32 v20, 3, v17
	v_rcp_iflag_f32_e32 v1, v1
	v_cmp_gt_u32_e32 vcc_lo, 0x50, v19
	v_lshlrev_b32_e32 v21, 3, v19
	v_lshl_add_u32 v22, v15, 5, 0xc0
	s_mov_b32 s10, -1
	s_mov_b32 s11, 0xffffff
	s_waitcnt_depctr 0xfff
	v_dual_mov_b32 v6, 0 :: v_dual_mul_f32 v1, 0x4f7ffffe, v1
	s_delay_alu instid0(VALU_DEP_1) | instskip(SKIP_1) | instid1(VALU_DEP_2)
	v_cvt_u32_f32_e32 v3, v1
	v_lshlrev_b64 v[1:2], 2, v[4:5]
	v_mul_lo_u32 v7, s0, v3
	s_lshl_b64 s[0:1], s[36:37], 2
	s_delay_alu instid0(SALU_CYCLE_1) | instskip(SKIP_1) | instid1(VALU_DEP_1)
	s_add_u32 s0, s34, s0
	s_addc_u32 s1, s35, s1
	v_mul_hi_u32 v5, v3, v7
	v_add_co_u32 v7, s0, s0, v1
	s_delay_alu instid0(VALU_DEP_1) | instskip(NEXT) | instid1(VALU_DEP_3)
	v_add_co_ci_u32_e64 v8, s0, s1, v2, s0
	v_add_nc_u32_e32 v23, v3, v5
	v_dual_mov_b32 v1, s12 :: v_dual_mov_b32 v2, s13
	v_mov_b32_e32 v3, s14
	s_mov_b32 s13, s15
	s_branch .LBB291_201
.LBB291_198:                            ;   in Loop: Header=BB291_201 Depth=1
	s_or_b32 exec_lo, exec_lo, s1
	;;#ASMSTART
	v_pk_mul_f16 v10, v25, v12;

	;;#ASMEND
	;;#ASMSTART
	v_pk_mul_f16 v11, v24, v11;

	;;#ASMEND
	;; [unrolled: 4-line block ×4, first 2 shown]
	;;#ASMSTART
	v_pk_add_f16 v10, v10, v11;

	;;#ASMEND
	;;#ASMSTART
	v_pk_add_f16 v5, v10, v5;

	;;#ASMEND
	;; [unrolled: 4-line block ×3, first 2 shown]
	v_and_b32_e32 v9, 0xffff, v5
	v_lshrrev_b32_e32 v5, 16, v5
	;;#ASMSTART
	v_cvt_f32_f16 v9, v9;
	;;#ASMEND
	;;#ASMSTART
	v_cvt_f32_f16 v5, v5;
	;;#ASMEND
	s_delay_alu instid0(VALU_DEP_1) | instskip(NEXT) | instid1(VALU_DEP_1)
	v_add_f32_e32 v5, v9, v5
	v_add_f32_e32 v3, v3, v5
.LBB291_199:                            ;   in Loop: Header=BB291_201 Depth=1
	s_or_b32 exec_lo, exec_lo, s20
.LBB291_200:                            ;   in Loop: Header=BB291_201 Depth=1
	s_delay_alu instid0(SALU_CYCLE_1) | instskip(SKIP_2) | instid1(VALU_DEP_1)
	s_or_b32 exec_lo, exec_lo, s14
	v_add_nc_u32_e32 v4, 4, v4
	v_add_co_u32 v7, s1, v7, 16
	v_add_co_ci_u32_e64 v8, s1, 0, v8, s1
	s_delay_alu instid0(VALU_DEP_3) | instskip(SKIP_2) | instid1(VALU_DEP_3)
	v_cmp_le_i32_e64 s0, s16, v4
	v_add_nc_u32_e32 v16, 32, v16
	v_add_nc_u32_e32 v22, 0x80, v22
	s_or_b32 s12, s0, s12
	s_delay_alu instid0(SALU_CYCLE_1)
	s_and_not1_b32 exec_lo, exec_lo, s12
	s_cbranch_execz .LBB291_389
.LBB291_201:                            ; =>This Inner Loop Header: Depth=1
	v_sub_nc_u32_e32 v5, 0, v16
	s_delay_alu instid0(VALU_DEP_1) | instskip(NEXT) | instid1(VALU_DEP_1)
	v_max_i32_e32 v5, v16, v5
	v_mul_hi_u32 v9, v5, s31
	s_delay_alu instid0(VALU_DEP_1) | instskip(NEXT) | instid1(VALU_DEP_1)
	v_mul_lo_u32 v10, v9, s27
	v_sub_nc_u32_e32 v5, v5, v10
	v_add_nc_u32_e32 v10, 1, v9
	s_delay_alu instid0(VALU_DEP_2) | instskip(SKIP_1) | instid1(VALU_DEP_1)
	v_subrev_nc_u32_e32 v11, s27, v5
	v_cmp_le_u32_e64 s0, s27, v5
	v_cndmask_b32_e64 v9, v9, v10, s0
	s_delay_alu instid0(VALU_DEP_3) | instskip(SKIP_1) | instid1(VALU_DEP_3)
	v_cndmask_b32_e64 v5, v5, v11, s0
	v_ashrrev_i32_e32 v10, 31, v16
	v_add_nc_u32_e32 v11, 1, v9
	s_delay_alu instid0(VALU_DEP_3) | instskip(NEXT) | instid1(VALU_DEP_3)
	v_cmp_le_u32_e64 s0, s27, v5
	v_xor_b32_e32 v10, s19, v10
	s_delay_alu instid0(VALU_DEP_2) | instskip(NEXT) | instid1(VALU_DEP_1)
	v_cndmask_b32_e64 v5, v9, v11, s0
	v_xor_b32_e32 v5, v5, v10
	s_delay_alu instid0(VALU_DEP_1) | instskip(NEXT) | instid1(VALU_DEP_1)
	v_sub_nc_u32_e32 v5, v5, v10
	v_add_nc_u32_e32 v9, s33, v5
	v_cmp_lt_i32_e64 s1, s17, v5
	s_delay_alu instid0(VALU_DEP_2) | instskip(NEXT) | instid1(VALU_DEP_1)
	v_sub_nc_u32_e32 v10, 0, v9
	v_max_i32_e32 v10, v9, v10
	v_ashrrev_i32_e32 v9, 31, v9
	s_delay_alu instid0(VALU_DEP_2) | instskip(NEXT) | instid1(VALU_DEP_1)
	v_mul_hi_u32 v11, v10, v23
	v_mul_lo_u32 v11, v11, s18
	s_delay_alu instid0(VALU_DEP_1) | instskip(NEXT) | instid1(VALU_DEP_1)
	v_sub_nc_u32_e32 v10, v10, v11
	v_subrev_nc_u32_e32 v11, s18, v10
	v_cmp_le_u32_e64 s0, s18, v10
	s_delay_alu instid0(VALU_DEP_1) | instskip(NEXT) | instid1(VALU_DEP_1)
	v_cndmask_b32_e64 v10, v10, v11, s0
	v_subrev_nc_u32_e32 v11, s18, v10
	v_cmp_le_u32_e64 s0, s18, v10
	s_delay_alu instid0(VALU_DEP_1) | instskip(NEXT) | instid1(VALU_DEP_1)
	v_cndmask_b32_e64 v10, v10, v11, s0
	v_xor_b32_e32 v10, v10, v9
	s_delay_alu instid0(VALU_DEP_1) | instskip(NEXT) | instid1(VALU_DEP_1)
	v_sub_nc_u32_e32 v9, v10, v9
	v_cmp_eq_u32_e64 s0, 0, v9
	s_delay_alu instid0(VALU_DEP_1) | instskip(NEXT) | instid1(SALU_CYCLE_1)
	s_or_b32 s0, s0, s1
	s_and_saveexec_b32 s14, s0
	s_cbranch_execz .LBB291_200
; %bb.202:                              ;   in Loop: Header=BB291_201 Depth=1
	global_load_b32 v5, v[7:8], off
	ds_load_2addr_b64 v[11:14], v22 offset1:1
	ds_load_2addr_b64 v[30:33], v22 offset0:2 offset1:3
	s_mov_b32 s1, exec_lo
	s_waitcnt lgkmcnt(1)
	;;#ASMSTART
	v_cvt_f16_f32 v25, v11;

	;;#ASMEND
	;;#ASMSTART
	v_cvt_f16_f32 v24, v12;

	;;#ASMEND
	;; [unrolled: 4-line block ×4, first 2 shown]
	s_waitcnt lgkmcnt(0)
	;;#ASMSTART
	v_cvt_f16_f32 v30, v30;

	;;#ASMEND
	;;#ASMSTART
	v_cvt_f16_f32 v27, v31;

	;;#ASMEND
	;; [unrolled: 4-line block ×4, first 2 shown]
	v_dual_mov_b32 v33, 0 :: v_dual_mov_b32 v34, 0
	s_waitcnt vmcnt(0)
	v_mad_i64_i32 v[9:10], null, v5, s9, s[2:3]
	s_delay_alu instid0(VALU_DEP_1) | instskip(NEXT) | instid1(VALU_DEP_1)
	v_add_co_u32 v11, s0, v9, v20
	v_add_co_ci_u32_e64 v12, s0, 0, v10, s0
	global_load_b64 v[13:14], v[11:12], off
	global_load_b32 v32, v6, s[6:7]
	s_waitcnt vmcnt(1)
	v_and_b32_e32 v5, 0xff, v13
	s_delay_alu instid0(VALU_DEP_1)
	v_cmpx_ne_u16_e32 0, v5
	s_cbranch_execz .LBB291_208
; %bb.203:                              ;   in Loop: Header=BB291_201 Depth=1
	v_bfrev_b32_e32 v33, 1
	s_mov_b32 s20, exec_lo
	v_cmpx_ne_u16_e32 0x80, v5
	s_cbranch_execz .LBB291_207
; %bb.204:                              ;   in Loop: Header=BB291_201 Depth=1
	v_and_b32_e32 v5, 0x7f, v13
	v_mov_b32_e32 v33, 0x7fc02000
	s_mov_b32 s21, exec_lo
	s_delay_alu instid0(VALU_DEP_2)
	v_cmpx_ne_u32_e32 0x7f, v5
	s_cbranch_execz .LBB291_206
; %bb.205:                              ;   in Loop: Header=BB291_201 Depth=1
	v_and_b32_e32 v33, 7, v13
	v_cmp_gt_u32_e64 s0, 8, v5
	v_lshrrev_b32_e32 v35, 3, v5
	s_delay_alu instid0(VALU_DEP_3) | instskip(NEXT) | instid1(VALU_DEP_1)
	v_clz_i32_u32_e32 v33, v33
	v_min_u32_e32 v33, 32, v33
	s_delay_alu instid0(VALU_DEP_1) | instskip(SKIP_1) | instid1(VALU_DEP_2)
	v_subrev_nc_u32_e32 v36, 28, v33
	v_sub_nc_u32_e32 v33, 29, v33
	v_cndmask_b32_e64 v5, 0, v36, s0
	s_delay_alu instid0(VALU_DEP_2) | instskip(NEXT) | instid1(VALU_DEP_2)
	v_cndmask_b32_e64 v33, v35, v33, s0
	v_lshlrev_b64 v[35:36], v5, v[13:14]
	v_lshlrev_b32_e32 v5, 8, v13
	s_delay_alu instid0(VALU_DEP_3) | instskip(NEXT) | instid1(VALU_DEP_3)
	v_lshl_add_u32 v33, v33, 10, 0x2000
	v_lshlrev_b32_e32 v35, 7, v35
	s_delay_alu instid0(VALU_DEP_2) | instskip(NEXT) | instid1(VALU_DEP_1)
	v_and_or_b32 v5, 0x8000, v5, v33
	v_and_or_b32 v5, 0x380, v35, v5
	s_delay_alu instid0(VALU_DEP_1)
	v_cvt_f32_f16_e32 v33, v5
.LBB291_206:                            ;   in Loop: Header=BB291_201 Depth=1
	s_or_b32 exec_lo, exec_lo, s21
.LBB291_207:                            ;   in Loop: Header=BB291_201 Depth=1
	s_delay_alu instid0(SALU_CYCLE_1)
	s_or_b32 exec_lo, exec_lo, s20
.LBB291_208:                            ;   in Loop: Header=BB291_201 Depth=1
	s_delay_alu instid0(SALU_CYCLE_1) | instskip(SKIP_2) | instid1(VALU_DEP_1)
	s_or_b32 exec_lo, exec_lo, s1
	v_lshrrev_b16 v5, 8, v13
	s_mov_b32 s1, exec_lo
	v_cmpx_ne_u16_e32 0, v5
	s_cbranch_execz .LBB291_216
; %bb.209:                              ;   in Loop: Header=BB291_201 Depth=1
	v_bfrev_b32_e32 v34, 1
	s_mov_b32 s20, exec_lo
	v_cmpx_ne_u16_e32 0x80, v5
	s_cbranch_execz .LBB291_215
; %bb.210:                              ;   in Loop: Header=BB291_201 Depth=1
	v_and_b32_e32 v35, 0xffff, v5
	v_mov_b32_e32 v34, 0x7fc02000
	s_mov_b32 s21, exec_lo
	s_delay_alu instid0(VALU_DEP_2) | instskip(NEXT) | instid1(VALU_DEP_1)
	v_and_b32_e32 v36, 0x7f, v35
	v_cmpx_ne_u32_e32 0x7f, v36
	s_cbranch_execz .LBB291_214
; %bb.211:                              ;   in Loop: Header=BB291_201 Depth=1
	v_and_b32_e32 v5, 7, v35
	v_lshrrev_b32_e32 v34, 3, v36
	s_mov_b32 s22, exec_lo
	v_cmpx_gt_u32_e32 8, v36
; %bb.212:                              ;   in Loop: Header=BB291_201 Depth=1
	s_delay_alu instid0(VALU_DEP_3) | instskip(NEXT) | instid1(VALU_DEP_1)
	v_clz_i32_u32_e32 v34, v5
	v_min_u32_e32 v34, 32, v34
	s_delay_alu instid0(VALU_DEP_1) | instskip(SKIP_1) | instid1(VALU_DEP_2)
	v_subrev_nc_u32_e32 v36, 28, v34
	v_sub_nc_u32_e32 v34, 29, v34
	v_lshlrev_b64 v[36:37], v36, v[5:6]
	s_delay_alu instid0(VALU_DEP_1)
	v_and_b32_e32 v5, 7, v36
; %bb.213:                              ;   in Loop: Header=BB291_201 Depth=1
	s_or_b32 exec_lo, exec_lo, s22
	v_lshlrev_b32_e32 v35, 8, v35
	v_lshl_add_u32 v34, v34, 10, 0x2000
	s_delay_alu instid0(VALU_DEP_1) | instskip(NEXT) | instid1(VALU_DEP_1)
	v_and_or_b32 v34, 0x8000, v35, v34
	v_lshl_or_b32 v5, v5, 7, v34
	s_delay_alu instid0(VALU_DEP_1)
	v_cvt_f32_f16_e32 v34, v5
.LBB291_214:                            ;   in Loop: Header=BB291_201 Depth=1
	s_or_b32 exec_lo, exec_lo, s21
.LBB291_215:                            ;   in Loop: Header=BB291_201 Depth=1
	s_delay_alu instid0(SALU_CYCLE_1)
	s_or_b32 exec_lo, exec_lo, s20
.LBB291_216:                            ;   in Loop: Header=BB291_201 Depth=1
	s_delay_alu instid0(SALU_CYCLE_1) | instskip(SKIP_3) | instid1(VALU_DEP_2)
	s_or_b32 exec_lo, exec_lo, s1
	v_lshrrev_b32_e32 v37, 16, v13
	v_mov_b32_e32 v35, 0
	s_mov_b32 s1, exec_lo
	v_dual_mov_b32 v36, 0 :: v_dual_and_b32 v5, 0xff, v37
	s_delay_alu instid0(VALU_DEP_1)
	v_cmpx_ne_u16_e32 0, v5
	s_cbranch_execz .LBB291_224
; %bb.217:                              ;   in Loop: Header=BB291_201 Depth=1
	v_bfrev_b32_e32 v35, 1
	s_mov_b32 s20, exec_lo
	v_cmpx_ne_u16_e32 0x80, v5
	s_cbranch_execz .LBB291_223
; %bb.218:                              ;   in Loop: Header=BB291_201 Depth=1
	v_bfe_u32 v38, v13, 16, 7
	v_mov_b32_e32 v35, 0x7fc02000
	s_mov_b32 s21, exec_lo
	s_delay_alu instid0(VALU_DEP_2)
	v_cmpx_ne_u32_e32 0x7f, v38
	s_cbranch_execz .LBB291_222
; %bb.219:                              ;   in Loop: Header=BB291_201 Depth=1
	v_and_b32_e32 v5, 7, v37
	v_lshrrev_b32_e32 v35, 3, v38
	s_mov_b32 s22, exec_lo
	v_cmpx_gt_u32_e32 8, v38
; %bb.220:                              ;   in Loop: Header=BB291_201 Depth=1
	s_delay_alu instid0(VALU_DEP_3) | instskip(NEXT) | instid1(VALU_DEP_1)
	v_clz_i32_u32_e32 v35, v5
	v_min_u32_e32 v35, 32, v35
	s_delay_alu instid0(VALU_DEP_1) | instskip(SKIP_1) | instid1(VALU_DEP_2)
	v_subrev_nc_u32_e32 v38, 28, v35
	v_sub_nc_u32_e32 v35, 29, v35
	v_lshlrev_b64 v[38:39], v38, v[5:6]
	s_delay_alu instid0(VALU_DEP_1)
	v_and_b32_e32 v5, 7, v38
; %bb.221:                              ;   in Loop: Header=BB291_201 Depth=1
	s_or_b32 exec_lo, exec_lo, s22
	v_lshlrev_b32_e32 v37, 8, v37
	v_lshl_add_u32 v35, v35, 10, 0x2000
	s_delay_alu instid0(VALU_DEP_1) | instskip(NEXT) | instid1(VALU_DEP_1)
	v_and_or_b32 v35, 0x8000, v37, v35
	v_lshl_or_b32 v5, v5, 7, v35
	s_delay_alu instid0(VALU_DEP_1)
	v_cvt_f32_f16_e32 v35, v5
.LBB291_222:                            ;   in Loop: Header=BB291_201 Depth=1
	s_or_b32 exec_lo, exec_lo, s21
.LBB291_223:                            ;   in Loop: Header=BB291_201 Depth=1
	s_delay_alu instid0(SALU_CYCLE_1)
	s_or_b32 exec_lo, exec_lo, s20
.LBB291_224:                            ;   in Loop: Header=BB291_201 Depth=1
	s_delay_alu instid0(SALU_CYCLE_1) | instskip(NEXT) | instid1(SALU_CYCLE_1)
	s_or_b32 exec_lo, exec_lo, s1
	s_mov_b32 s1, exec_lo
	v_cmpx_lt_u32_e32 0xffffff, v13
	s_cbranch_execz .LBB291_232
; %bb.225:                              ;   in Loop: Header=BB291_201 Depth=1
	v_lshrrev_b32_e32 v37, 24, v13
	v_bfrev_b32_e32 v36, 1
	s_mov_b32 s20, exec_lo
	s_delay_alu instid0(VALU_DEP_2)
	v_cmpx_ne_u32_e32 0x80, v37
	s_cbranch_execz .LBB291_231
; %bb.226:                              ;   in Loop: Header=BB291_201 Depth=1
	v_and_b32_e32 v38, 0x7f, v37
	v_mov_b32_e32 v36, 0x7fc02000
	s_mov_b32 s21, exec_lo
	s_delay_alu instid0(VALU_DEP_2)
	v_cmpx_ne_u32_e32 0x7f, v38
	s_cbranch_execz .LBB291_230
; %bb.227:                              ;   in Loop: Header=BB291_201 Depth=1
	v_and_b32_e32 v5, 7, v37
	v_lshrrev_b32_e32 v36, 3, v38
	s_mov_b32 s22, exec_lo
	v_cmpx_gt_u32_e32 8, v38
; %bb.228:                              ;   in Loop: Header=BB291_201 Depth=1
	s_delay_alu instid0(VALU_DEP_3) | instskip(NEXT) | instid1(VALU_DEP_1)
	v_clz_i32_u32_e32 v36, v5
	v_min_u32_e32 v36, 32, v36
	s_delay_alu instid0(VALU_DEP_1) | instskip(SKIP_1) | instid1(VALU_DEP_2)
	v_subrev_nc_u32_e32 v38, 28, v36
	v_sub_nc_u32_e32 v36, 29, v36
	v_lshlrev_b64 v[38:39], v38, v[5:6]
	s_delay_alu instid0(VALU_DEP_1)
	v_and_b32_e32 v5, 7, v38
; %bb.229:                              ;   in Loop: Header=BB291_201 Depth=1
	s_or_b32 exec_lo, exec_lo, s22
	v_lshlrev_b32_e32 v37, 8, v37
	v_lshl_add_u32 v36, v36, 10, 0x2000
	s_delay_alu instid0(VALU_DEP_1) | instskip(NEXT) | instid1(VALU_DEP_1)
	v_and_or_b32 v36, 0x8000, v37, v36
	v_lshl_or_b32 v5, v5, 7, v36
	s_delay_alu instid0(VALU_DEP_1)
	v_cvt_f32_f16_e32 v36, v5
.LBB291_230:                            ;   in Loop: Header=BB291_201 Depth=1
	s_or_b32 exec_lo, exec_lo, s21
.LBB291_231:                            ;   in Loop: Header=BB291_201 Depth=1
	s_delay_alu instid0(SALU_CYCLE_1)
	s_or_b32 exec_lo, exec_lo, s20
.LBB291_232:                            ;   in Loop: Header=BB291_201 Depth=1
	s_delay_alu instid0(SALU_CYCLE_1) | instskip(SKIP_4) | instid1(VALU_DEP_3)
	s_or_b32 exec_lo, exec_lo, s1
	v_dual_mov_b32 v38, 0 :: v_dual_and_b32 v39, 0xff, v14
	v_mov_b32_e32 v5, v14
	v_mov_b32_e32 v37, 0
	s_mov_b32 s1, exec_lo
	v_cmpx_ne_u16_e32 0, v39
	s_cbranch_execz .LBB291_238
; %bb.233:                              ;   in Loop: Header=BB291_201 Depth=1
	v_bfrev_b32_e32 v37, 1
	s_mov_b32 s20, exec_lo
	v_cmpx_ne_u16_e32 0x80, v39
	s_cbranch_execz .LBB291_237
; %bb.234:                              ;   in Loop: Header=BB291_201 Depth=1
	v_and_b32_e32 v39, 0x7f, v14
	v_mov_b32_e32 v37, 0x7fc02000
	s_mov_b32 s21, exec_lo
	s_delay_alu instid0(VALU_DEP_2)
	v_cmpx_ne_u32_e32 0x7f, v39
	s_cbranch_execz .LBB291_236
; %bb.235:                              ;   in Loop: Header=BB291_201 Depth=1
	v_and_b32_e32 v37, 7, v14
	v_cmp_gt_u32_e64 s0, 8, v39
	v_lshrrev_b32_e32 v40, 3, v39
	s_delay_alu instid0(VALU_DEP_3) | instskip(NEXT) | instid1(VALU_DEP_1)
	v_clz_i32_u32_e32 v37, v37
	v_min_u32_e32 v37, 32, v37
	s_delay_alu instid0(VALU_DEP_1) | instskip(SKIP_1) | instid1(VALU_DEP_2)
	v_subrev_nc_u32_e32 v41, 28, v37
	v_sub_nc_u32_e32 v37, 29, v37
	v_cndmask_b32_e64 v39, 0, v41, s0
	s_delay_alu instid0(VALU_DEP_2) | instskip(NEXT) | instid1(VALU_DEP_2)
	v_cndmask_b32_e64 v37, v40, v37, s0
	v_lshlrev_b64 v[39:40], v39, v[5:6]
	v_lshlrev_b32_e32 v40, 8, v14
	s_delay_alu instid0(VALU_DEP_3) | instskip(NEXT) | instid1(VALU_DEP_3)
	v_lshl_add_u32 v37, v37, 10, 0x2000
	v_lshlrev_b32_e32 v39, 7, v39
	s_delay_alu instid0(VALU_DEP_2) | instskip(NEXT) | instid1(VALU_DEP_1)
	v_and_or_b32 v37, 0x8000, v40, v37
	v_and_or_b32 v37, 0x380, v39, v37
	s_delay_alu instid0(VALU_DEP_1)
	v_cvt_f32_f16_e32 v37, v37
.LBB291_236:                            ;   in Loop: Header=BB291_201 Depth=1
	s_or_b32 exec_lo, exec_lo, s21
.LBB291_237:                            ;   in Loop: Header=BB291_201 Depth=1
	s_delay_alu instid0(SALU_CYCLE_1)
	s_or_b32 exec_lo, exec_lo, s20
.LBB291_238:                            ;   in Loop: Header=BB291_201 Depth=1
	s_delay_alu instid0(SALU_CYCLE_1) | instskip(SKIP_2) | instid1(VALU_DEP_1)
	s_or_b32 exec_lo, exec_lo, s1
	v_lshrrev_b16 v5, 8, v5
	s_mov_b32 s1, exec_lo
	v_cmpx_ne_u16_e32 0, v5
	s_cbranch_execz .LBB291_246
; %bb.239:                              ;   in Loop: Header=BB291_201 Depth=1
	v_bfrev_b32_e32 v38, 1
	s_mov_b32 s20, exec_lo
	v_cmpx_ne_u16_e32 0x80, v5
	s_cbranch_execz .LBB291_245
; %bb.240:                              ;   in Loop: Header=BB291_201 Depth=1
	v_and_b32_e32 v39, 0xffff, v5
	v_mov_b32_e32 v38, 0x7fc02000
	s_mov_b32 s21, exec_lo
	s_delay_alu instid0(VALU_DEP_2) | instskip(NEXT) | instid1(VALU_DEP_1)
	v_and_b32_e32 v40, 0x7f, v39
	v_cmpx_ne_u32_e32 0x7f, v40
	s_cbranch_execz .LBB291_244
; %bb.241:                              ;   in Loop: Header=BB291_201 Depth=1
	v_and_b32_e32 v5, 7, v39
	v_lshrrev_b32_e32 v38, 3, v40
	s_mov_b32 s22, exec_lo
	v_cmpx_gt_u32_e32 8, v40
; %bb.242:                              ;   in Loop: Header=BB291_201 Depth=1
	s_delay_alu instid0(VALU_DEP_3) | instskip(NEXT) | instid1(VALU_DEP_1)
	v_clz_i32_u32_e32 v38, v5
	v_min_u32_e32 v38, 32, v38
	s_delay_alu instid0(VALU_DEP_1) | instskip(SKIP_1) | instid1(VALU_DEP_2)
	v_subrev_nc_u32_e32 v40, 28, v38
	v_sub_nc_u32_e32 v38, 29, v38
	v_lshlrev_b64 v[40:41], v40, v[5:6]
	s_delay_alu instid0(VALU_DEP_1)
	v_and_b32_e32 v5, 7, v40
; %bb.243:                              ;   in Loop: Header=BB291_201 Depth=1
	s_or_b32 exec_lo, exec_lo, s22
	v_lshlrev_b32_e32 v39, 8, v39
	v_lshl_add_u32 v38, v38, 10, 0x2000
	s_delay_alu instid0(VALU_DEP_1) | instskip(NEXT) | instid1(VALU_DEP_1)
	v_and_or_b32 v38, 0x8000, v39, v38
	v_lshl_or_b32 v5, v5, 7, v38
	s_delay_alu instid0(VALU_DEP_1)
	v_cvt_f32_f16_e32 v38, v5
.LBB291_244:                            ;   in Loop: Header=BB291_201 Depth=1
	s_or_b32 exec_lo, exec_lo, s21
.LBB291_245:                            ;   in Loop: Header=BB291_201 Depth=1
	s_delay_alu instid0(SALU_CYCLE_1)
	s_or_b32 exec_lo, exec_lo, s20
.LBB291_246:                            ;   in Loop: Header=BB291_201 Depth=1
	s_delay_alu instid0(SALU_CYCLE_1) | instskip(SKIP_3) | instid1(VALU_DEP_2)
	s_or_b32 exec_lo, exec_lo, s1
	v_lshrrev_b32_e32 v41, 16, v14
	v_mov_b32_e32 v39, 0
	s_mov_b32 s1, exec_lo
	v_dual_mov_b32 v40, 0 :: v_dual_and_b32 v5, 0xff, v41
	s_delay_alu instid0(VALU_DEP_1)
	v_cmpx_ne_u16_e32 0, v5
	s_cbranch_execz .LBB291_254
; %bb.247:                              ;   in Loop: Header=BB291_201 Depth=1
	v_bfrev_b32_e32 v39, 1
	s_mov_b32 s20, exec_lo
	v_cmpx_ne_u16_e32 0x80, v5
	s_cbranch_execz .LBB291_253
; %bb.248:                              ;   in Loop: Header=BB291_201 Depth=1
	v_bfe_u32 v42, v14, 16, 7
	v_mov_b32_e32 v39, 0x7fc02000
	s_mov_b32 s21, exec_lo
	s_delay_alu instid0(VALU_DEP_2)
	v_cmpx_ne_u32_e32 0x7f, v42
	s_cbranch_execz .LBB291_252
; %bb.249:                              ;   in Loop: Header=BB291_201 Depth=1
	v_and_b32_e32 v5, 7, v41
	v_lshrrev_b32_e32 v39, 3, v42
	s_mov_b32 s22, exec_lo
	v_cmpx_gt_u32_e32 8, v42
; %bb.250:                              ;   in Loop: Header=BB291_201 Depth=1
	s_delay_alu instid0(VALU_DEP_3) | instskip(NEXT) | instid1(VALU_DEP_1)
	v_clz_i32_u32_e32 v39, v5
	v_min_u32_e32 v39, 32, v39
	s_delay_alu instid0(VALU_DEP_1) | instskip(SKIP_1) | instid1(VALU_DEP_2)
	v_subrev_nc_u32_e32 v42, 28, v39
	v_sub_nc_u32_e32 v39, 29, v39
	v_lshlrev_b64 v[42:43], v42, v[5:6]
	s_delay_alu instid0(VALU_DEP_1)
	v_and_b32_e32 v5, 7, v42
; %bb.251:                              ;   in Loop: Header=BB291_201 Depth=1
	s_or_b32 exec_lo, exec_lo, s22
	v_lshlrev_b32_e32 v41, 8, v41
	v_lshl_add_u32 v39, v39, 10, 0x2000
	s_delay_alu instid0(VALU_DEP_1) | instskip(NEXT) | instid1(VALU_DEP_1)
	v_and_or_b32 v39, 0x8000, v41, v39
	v_lshl_or_b32 v5, v5, 7, v39
	s_delay_alu instid0(VALU_DEP_1)
	v_cvt_f32_f16_e32 v39, v5
.LBB291_252:                            ;   in Loop: Header=BB291_201 Depth=1
	s_or_b32 exec_lo, exec_lo, s21
.LBB291_253:                            ;   in Loop: Header=BB291_201 Depth=1
	s_delay_alu instid0(SALU_CYCLE_1)
	s_or_b32 exec_lo, exec_lo, s20
.LBB291_254:                            ;   in Loop: Header=BB291_201 Depth=1
	s_delay_alu instid0(SALU_CYCLE_1) | instskip(NEXT) | instid1(SALU_CYCLE_1)
	s_or_b32 exec_lo, exec_lo, s1
	s_mov_b32 s1, exec_lo
	v_cmpx_lt_u64_e64 s[10:11], v[13:14]
	s_cbranch_execz .LBB291_262
; %bb.255:                              ;   in Loop: Header=BB291_201 Depth=1
	v_lshrrev_b32_e32 v13, 24, v14
	v_bfrev_b32_e32 v40, 1
	s_mov_b32 s20, exec_lo
	s_delay_alu instid0(VALU_DEP_2)
	v_cmpx_ne_u32_e32 0x80, v13
	s_cbranch_execz .LBB291_261
; %bb.256:                              ;   in Loop: Header=BB291_201 Depth=1
	v_and_b32_e32 v41, 0x7f, v13
	v_mov_b32_e32 v40, 0x7fc02000
	s_mov_b32 s21, exec_lo
	s_delay_alu instid0(VALU_DEP_2)
	v_cmpx_ne_u32_e32 0x7f, v41
	s_cbranch_execz .LBB291_260
; %bb.257:                              ;   in Loop: Header=BB291_201 Depth=1
	v_and_b32_e32 v5, 7, v13
	v_lshrrev_b32_e32 v14, 3, v41
	s_mov_b32 s22, exec_lo
	v_cmpx_gt_u32_e32 8, v41
; %bb.258:                              ;   in Loop: Header=BB291_201 Depth=1
	s_delay_alu instid0(VALU_DEP_3) | instskip(NEXT) | instid1(VALU_DEP_1)
	v_clz_i32_u32_e32 v14, v5
	v_min_u32_e32 v14, 32, v14
	s_delay_alu instid0(VALU_DEP_1) | instskip(SKIP_1) | instid1(VALU_DEP_2)
	v_subrev_nc_u32_e32 v40, 28, v14
	v_sub_nc_u32_e32 v14, 29, v14
	v_lshlrev_b64 v[40:41], v40, v[5:6]
	s_delay_alu instid0(VALU_DEP_1)
	v_and_b32_e32 v5, 7, v40
; %bb.259:                              ;   in Loop: Header=BB291_201 Depth=1
	s_or_b32 exec_lo, exec_lo, s22
	v_lshlrev_b32_e32 v13, 8, v13
	v_lshl_add_u32 v14, v14, 10, 0x2000
	s_delay_alu instid0(VALU_DEP_1) | instskip(NEXT) | instid1(VALU_DEP_1)
	v_and_or_b32 v13, 0x8000, v13, v14
	v_lshl_or_b32 v5, v5, 7, v13
	s_delay_alu instid0(VALU_DEP_1)
	v_cvt_f32_f16_e32 v40, v5
.LBB291_260:                            ;   in Loop: Header=BB291_201 Depth=1
	s_or_b32 exec_lo, exec_lo, s21
.LBB291_261:                            ;   in Loop: Header=BB291_201 Depth=1
	s_delay_alu instid0(SALU_CYCLE_1)
	s_or_b32 exec_lo, exec_lo, s20
.LBB291_262:                            ;   in Loop: Header=BB291_201 Depth=1
	s_delay_alu instid0(SALU_CYCLE_1)
	s_or_b32 exec_lo, exec_lo, s1
	s_waitcnt vmcnt(0)
	v_fma_mixlo_f16 v13, v32, v35, 0
	v_fma_mixlo_f16 v5, v32, v36, 0
	;; [unrolled: 1-line block ×5, first 2 shown]
	v_and_b32_e32 v34, 0xffff, v13
	v_fma_mixlo_f16 v36, v32, v37, 0
	v_fma_mixlo_f16 v37, v32, v40, 0
	;; [unrolled: 1-line block ×3, first 2 shown]
	v_lshlrev_b32_e32 v5, 16, v5
	v_lshlrev_b32_e32 v14, 16, v14
	v_and_b32_e32 v32, 0xffff, v33
	v_lshlrev_b32_e32 v35, 16, v35
	v_and_b32_e32 v36, 0xffff, v36
	;; [unrolled: 2-line block ×3, first 2 shown]
	v_cmp_eq_u32_e64 s0, s41, v4
	v_or_b32_e32 v33, v5, v34
	v_or_b32_e32 v34, v14, v32
	;; [unrolled: 1-line block ×4, first 2 shown]
	s_and_saveexec_b32 s20, s0
	s_cbranch_execz .LBB291_264
; %bb.263:                              ;   in Loop: Header=BB291_201 Depth=1
	v_add_nc_u32_e32 v14, 1, v16
	v_lshrrev_b32_e32 v35, 16, v34
	v_or_b32_e32 v36, 3, v16
	v_lshrrev_b32_e32 v37, 16, v33
	v_lshrrev_b32_e32 v38, 16, v5
	v_cmp_gt_i32_e64 s1, s13, v14
	v_lshrrev_b32_e32 v32, 16, v32
	v_or_b32_e32 v39, 6, v16
	s_delay_alu instid0(VALU_DEP_3) | instskip(SKIP_2) | instid1(VALU_DEP_2)
	v_cndmask_b32_e64 v14, 0, v35, s1
	v_cmp_gt_i32_e64 s1, s15, v16
	v_or_b32_e32 v35, 2, v16
	v_cndmask_b32_e64 v34, 0, v34, s1
	v_cmp_gt_i32_e64 s1, s13, v36
	s_delay_alu instid0(VALU_DEP_2) | instskip(NEXT) | instid1(VALU_DEP_2)
	v_perm_b32 v34, v14, v34, 0x5040100
	v_cndmask_b32_e64 v36, 0, v37, s1
	v_or_b32_e32 v37, 5, v16
	v_cmp_gt_i32_e64 s1, s15, v35
	v_or_b32_e32 v35, 4, v16
	s_delay_alu instid0(VALU_DEP_2) | instskip(NEXT) | instid1(VALU_DEP_4)
	v_cndmask_b32_e64 v33, 0, v33, s1
	v_cmp_gt_i32_e64 s1, s13, v37
	s_delay_alu instid0(VALU_DEP_2) | instskip(NEXT) | instid1(VALU_DEP_2)
	v_perm_b32 v33, v36, v33, 0x5040100
	v_cndmask_b32_e64 v37, 0, v38, s1
	v_or_b32_e32 v38, 7, v16
	v_cmp_gt_i32_e64 s1, s15, v35
	s_delay_alu instid0(VALU_DEP_1) | instskip(NEXT) | instid1(VALU_DEP_3)
	v_cndmask_b32_e64 v5, 0, v5, s1
	v_cmp_gt_i32_e64 s1, s13, v38
	s_delay_alu instid0(VALU_DEP_2) | instskip(NEXT) | instid1(VALU_DEP_2)
	v_perm_b32 v5, v37, v5, 0x5040100
	v_cndmask_b32_e64 v32, 0, v32, s1
	v_cmp_gt_i32_e64 s1, s15, v39
	s_delay_alu instid0(VALU_DEP_1) | instskip(NEXT) | instid1(VALU_DEP_1)
	v_cndmask_b32_e64 v13, 0, v13, s1
	v_perm_b32 v32, v32, v13, 0x5040100
.LBB291_264:                            ;   in Loop: Header=BB291_201 Depth=1
	s_or_b32 exec_lo, exec_lo, s20
	v_and_b32_e32 v13, 0xffff, v25
	v_and_b32_e32 v14, 0xffff, v29
	;; [unrolled: 1-line block ×4, first 2 shown]
	s_mov_b32 s20, exec_lo
	v_lshl_or_b32 v25, v24, 16, v13
	v_lshl_or_b32 v24, v26, 16, v14
	;; [unrolled: 1-line block ×3, first 2 shown]
	v_mov_b32_e32 v29, 0
	;;#ASMSTART
	v_pk_mul_f16 v26, v25, v34;

	;;#ASMEND
	;;#ASMSTART
	v_pk_mul_f16 v27, v24, v33;

	;;#ASMEND
	;; [unrolled: 4-line block ×3, first 2 shown]
	v_lshl_or_b32 v13, v28, 16, v30
	;;#ASMSTART
	v_pk_mul_f16 v28, v13, v32;

	;;#ASMEND
	;;#ASMSTART
	v_pk_add_f16 v26, v26, v27;

	;;#ASMEND
	;;#ASMSTART
	v_pk_add_f16 v5, v26, v5;
	;; [unrolled: 4-line block ×3, first 2 shown]

	;;#ASMEND
	v_and_b32_e32 v26, 0xffff, v5
	v_lshrrev_b32_e32 v5, 16, v5
	;;#ASMSTART
	v_cvt_f32_f16 v26, v26;
	;;#ASMEND
	;;#ASMSTART
	v_cvt_f32_f16 v27, v5;
	;;#ASMEND
	global_load_b64 v[11:12], v[11:12], off offset:256
	global_load_b32 v28, v6, s[6:7]
	s_waitcnt vmcnt(1)
	v_dual_mov_b32 v30, 0 :: v_dual_and_b32 v5, 0xff, v11
	s_delay_alu instid0(VALU_DEP_1)
	v_cmpx_ne_u16_e32 0, v5
	s_cbranch_execz .LBB291_270
; %bb.265:                              ;   in Loop: Header=BB291_201 Depth=1
	v_bfrev_b32_e32 v29, 1
	s_mov_b32 s21, exec_lo
	v_cmpx_ne_u16_e32 0x80, v5
	s_cbranch_execz .LBB291_269
; %bb.266:                              ;   in Loop: Header=BB291_201 Depth=1
	v_and_b32_e32 v5, 0x7f, v11
	v_mov_b32_e32 v29, 0x7fc02000
	s_mov_b32 s22, exec_lo
	s_delay_alu instid0(VALU_DEP_2)
	v_cmpx_ne_u32_e32 0x7f, v5
	s_cbranch_execz .LBB291_268
; %bb.267:                              ;   in Loop: Header=BB291_201 Depth=1
	v_and_b32_e32 v29, 7, v11
	v_cmp_gt_u32_e64 s1, 8, v5
	v_lshrrev_b32_e32 v31, 3, v5
	s_delay_alu instid0(VALU_DEP_3) | instskip(NEXT) | instid1(VALU_DEP_1)
	v_clz_i32_u32_e32 v29, v29
	v_min_u32_e32 v29, 32, v29
	s_delay_alu instid0(VALU_DEP_1) | instskip(SKIP_1) | instid1(VALU_DEP_2)
	v_subrev_nc_u32_e32 v32, 28, v29
	v_sub_nc_u32_e32 v29, 29, v29
	v_cndmask_b32_e64 v5, 0, v32, s1
	s_delay_alu instid0(VALU_DEP_2) | instskip(NEXT) | instid1(VALU_DEP_2)
	v_cndmask_b32_e64 v29, v31, v29, s1
	v_lshlrev_b64 v[31:32], v5, v[11:12]
	v_lshlrev_b32_e32 v5, 8, v11
	s_delay_alu instid0(VALU_DEP_3) | instskip(NEXT) | instid1(VALU_DEP_3)
	v_lshl_add_u32 v29, v29, 10, 0x2000
	v_lshlrev_b32_e32 v31, 7, v31
	s_delay_alu instid0(VALU_DEP_2) | instskip(NEXT) | instid1(VALU_DEP_1)
	v_and_or_b32 v5, 0x8000, v5, v29
	v_and_or_b32 v5, 0x380, v31, v5
	s_delay_alu instid0(VALU_DEP_1)
	v_cvt_f32_f16_e32 v29, v5
.LBB291_268:                            ;   in Loop: Header=BB291_201 Depth=1
	s_or_b32 exec_lo, exec_lo, s22
.LBB291_269:                            ;   in Loop: Header=BB291_201 Depth=1
	s_delay_alu instid0(SALU_CYCLE_1)
	s_or_b32 exec_lo, exec_lo, s21
.LBB291_270:                            ;   in Loop: Header=BB291_201 Depth=1
	s_delay_alu instid0(SALU_CYCLE_1) | instskip(SKIP_2) | instid1(VALU_DEP_1)
	s_or_b32 exec_lo, exec_lo, s20
	v_lshrrev_b16 v5, 8, v11
	s_mov_b32 s20, exec_lo
	v_cmpx_ne_u16_e32 0, v5
	s_cbranch_execz .LBB291_278
; %bb.271:                              ;   in Loop: Header=BB291_201 Depth=1
	v_bfrev_b32_e32 v30, 1
	s_mov_b32 s21, exec_lo
	v_cmpx_ne_u16_e32 0x80, v5
	s_cbranch_execz .LBB291_277
; %bb.272:                              ;   in Loop: Header=BB291_201 Depth=1
	v_and_b32_e32 v31, 0xffff, v5
	v_mov_b32_e32 v30, 0x7fc02000
	s_mov_b32 s22, exec_lo
	s_delay_alu instid0(VALU_DEP_2) | instskip(NEXT) | instid1(VALU_DEP_1)
	v_and_b32_e32 v32, 0x7f, v31
	v_cmpx_ne_u32_e32 0x7f, v32
	s_cbranch_execz .LBB291_276
; %bb.273:                              ;   in Loop: Header=BB291_201 Depth=1
	v_and_b32_e32 v5, 7, v31
	v_lshrrev_b32_e32 v30, 3, v32
	s_mov_b32 s23, exec_lo
	v_cmpx_gt_u32_e32 8, v32
; %bb.274:                              ;   in Loop: Header=BB291_201 Depth=1
	s_delay_alu instid0(VALU_DEP_3) | instskip(NEXT) | instid1(VALU_DEP_1)
	v_clz_i32_u32_e32 v30, v5
	v_min_u32_e32 v30, 32, v30
	s_delay_alu instid0(VALU_DEP_1) | instskip(SKIP_1) | instid1(VALU_DEP_2)
	v_subrev_nc_u32_e32 v32, 28, v30
	v_sub_nc_u32_e32 v30, 29, v30
	v_lshlrev_b64 v[32:33], v32, v[5:6]
	s_delay_alu instid0(VALU_DEP_1)
	v_and_b32_e32 v5, 7, v32
; %bb.275:                              ;   in Loop: Header=BB291_201 Depth=1
	s_or_b32 exec_lo, exec_lo, s23
	v_lshlrev_b32_e32 v31, 8, v31
	v_lshl_add_u32 v30, v30, 10, 0x2000
	s_delay_alu instid0(VALU_DEP_1) | instskip(NEXT) | instid1(VALU_DEP_1)
	v_and_or_b32 v30, 0x8000, v31, v30
	v_lshl_or_b32 v5, v5, 7, v30
	s_delay_alu instid0(VALU_DEP_1)
	v_cvt_f32_f16_e32 v30, v5
.LBB291_276:                            ;   in Loop: Header=BB291_201 Depth=1
	s_or_b32 exec_lo, exec_lo, s22
.LBB291_277:                            ;   in Loop: Header=BB291_201 Depth=1
	s_delay_alu instid0(SALU_CYCLE_1)
	s_or_b32 exec_lo, exec_lo, s21
.LBB291_278:                            ;   in Loop: Header=BB291_201 Depth=1
	s_delay_alu instid0(SALU_CYCLE_1) | instskip(SKIP_3) | instid1(VALU_DEP_2)
	s_or_b32 exec_lo, exec_lo, s20
	v_lshrrev_b32_e32 v33, 16, v11
	v_mov_b32_e32 v31, 0
	s_mov_b32 s20, exec_lo
	v_dual_mov_b32 v32, 0 :: v_dual_and_b32 v5, 0xff, v33
	s_delay_alu instid0(VALU_DEP_1)
	v_cmpx_ne_u16_e32 0, v5
	s_cbranch_execz .LBB291_286
; %bb.279:                              ;   in Loop: Header=BB291_201 Depth=1
	v_bfrev_b32_e32 v31, 1
	s_mov_b32 s21, exec_lo
	v_cmpx_ne_u16_e32 0x80, v5
	s_cbranch_execz .LBB291_285
; %bb.280:                              ;   in Loop: Header=BB291_201 Depth=1
	v_bfe_u32 v34, v11, 16, 7
	v_mov_b32_e32 v31, 0x7fc02000
	s_mov_b32 s22, exec_lo
	s_delay_alu instid0(VALU_DEP_2)
	v_cmpx_ne_u32_e32 0x7f, v34
	s_cbranch_execz .LBB291_284
; %bb.281:                              ;   in Loop: Header=BB291_201 Depth=1
	v_and_b32_e32 v5, 7, v33
	v_lshrrev_b32_e32 v31, 3, v34
	s_mov_b32 s23, exec_lo
	v_cmpx_gt_u32_e32 8, v34
; %bb.282:                              ;   in Loop: Header=BB291_201 Depth=1
	s_delay_alu instid0(VALU_DEP_3) | instskip(NEXT) | instid1(VALU_DEP_1)
	v_clz_i32_u32_e32 v31, v5
	v_min_u32_e32 v31, 32, v31
	s_delay_alu instid0(VALU_DEP_1) | instskip(SKIP_1) | instid1(VALU_DEP_2)
	v_subrev_nc_u32_e32 v34, 28, v31
	v_sub_nc_u32_e32 v31, 29, v31
	v_lshlrev_b64 v[34:35], v34, v[5:6]
	s_delay_alu instid0(VALU_DEP_1)
	v_and_b32_e32 v5, 7, v34
; %bb.283:                              ;   in Loop: Header=BB291_201 Depth=1
	s_or_b32 exec_lo, exec_lo, s23
	v_lshlrev_b32_e32 v33, 8, v33
	v_lshl_add_u32 v31, v31, 10, 0x2000
	s_delay_alu instid0(VALU_DEP_1) | instskip(NEXT) | instid1(VALU_DEP_1)
	v_and_or_b32 v31, 0x8000, v33, v31
	v_lshl_or_b32 v5, v5, 7, v31
	s_delay_alu instid0(VALU_DEP_1)
	v_cvt_f32_f16_e32 v31, v5
.LBB291_284:                            ;   in Loop: Header=BB291_201 Depth=1
	s_or_b32 exec_lo, exec_lo, s22
.LBB291_285:                            ;   in Loop: Header=BB291_201 Depth=1
	s_delay_alu instid0(SALU_CYCLE_1)
	s_or_b32 exec_lo, exec_lo, s21
.LBB291_286:                            ;   in Loop: Header=BB291_201 Depth=1
	s_delay_alu instid0(SALU_CYCLE_1) | instskip(NEXT) | instid1(SALU_CYCLE_1)
	s_or_b32 exec_lo, exec_lo, s20
	s_mov_b32 s20, exec_lo
	v_cmpx_lt_u32_e32 0xffffff, v11
	s_cbranch_execz .LBB291_294
; %bb.287:                              ;   in Loop: Header=BB291_201 Depth=1
	v_lshrrev_b32_e32 v33, 24, v11
	v_bfrev_b32_e32 v32, 1
	s_mov_b32 s21, exec_lo
	s_delay_alu instid0(VALU_DEP_2)
	v_cmpx_ne_u32_e32 0x80, v33
	s_cbranch_execz .LBB291_293
; %bb.288:                              ;   in Loop: Header=BB291_201 Depth=1
	v_and_b32_e32 v34, 0x7f, v33
	v_mov_b32_e32 v32, 0x7fc02000
	s_mov_b32 s22, exec_lo
	s_delay_alu instid0(VALU_DEP_2)
	v_cmpx_ne_u32_e32 0x7f, v34
	s_cbranch_execz .LBB291_292
; %bb.289:                              ;   in Loop: Header=BB291_201 Depth=1
	v_and_b32_e32 v5, 7, v33
	v_lshrrev_b32_e32 v32, 3, v34
	s_mov_b32 s23, exec_lo
	v_cmpx_gt_u32_e32 8, v34
; %bb.290:                              ;   in Loop: Header=BB291_201 Depth=1
	s_delay_alu instid0(VALU_DEP_3) | instskip(NEXT) | instid1(VALU_DEP_1)
	v_clz_i32_u32_e32 v32, v5
	v_min_u32_e32 v32, 32, v32
	s_delay_alu instid0(VALU_DEP_1) | instskip(SKIP_1) | instid1(VALU_DEP_2)
	v_subrev_nc_u32_e32 v34, 28, v32
	v_sub_nc_u32_e32 v32, 29, v32
	v_lshlrev_b64 v[34:35], v34, v[5:6]
	s_delay_alu instid0(VALU_DEP_1)
	v_and_b32_e32 v5, 7, v34
; %bb.291:                              ;   in Loop: Header=BB291_201 Depth=1
	s_or_b32 exec_lo, exec_lo, s23
	v_lshlrev_b32_e32 v33, 8, v33
	v_lshl_add_u32 v32, v32, 10, 0x2000
	s_delay_alu instid0(VALU_DEP_1) | instskip(NEXT) | instid1(VALU_DEP_1)
	v_and_or_b32 v32, 0x8000, v33, v32
	v_lshl_or_b32 v5, v5, 7, v32
	s_delay_alu instid0(VALU_DEP_1)
	v_cvt_f32_f16_e32 v32, v5
.LBB291_292:                            ;   in Loop: Header=BB291_201 Depth=1
	s_or_b32 exec_lo, exec_lo, s22
.LBB291_293:                            ;   in Loop: Header=BB291_201 Depth=1
	s_delay_alu instid0(SALU_CYCLE_1)
	s_or_b32 exec_lo, exec_lo, s21
.LBB291_294:                            ;   in Loop: Header=BB291_201 Depth=1
	s_delay_alu instid0(SALU_CYCLE_1) | instskip(SKIP_4) | instid1(VALU_DEP_3)
	s_or_b32 exec_lo, exec_lo, s20
	v_dual_mov_b32 v34, 0 :: v_dual_and_b32 v35, 0xff, v12
	v_mov_b32_e32 v5, v12
	v_mov_b32_e32 v33, 0
	s_mov_b32 s20, exec_lo
	v_cmpx_ne_u16_e32 0, v35
	s_cbranch_execz .LBB291_300
; %bb.295:                              ;   in Loop: Header=BB291_201 Depth=1
	v_bfrev_b32_e32 v33, 1
	s_mov_b32 s21, exec_lo
	v_cmpx_ne_u16_e32 0x80, v35
	s_cbranch_execz .LBB291_299
; %bb.296:                              ;   in Loop: Header=BB291_201 Depth=1
	v_and_b32_e32 v35, 0x7f, v12
	v_mov_b32_e32 v33, 0x7fc02000
	s_mov_b32 s22, exec_lo
	s_delay_alu instid0(VALU_DEP_2)
	v_cmpx_ne_u32_e32 0x7f, v35
	s_cbranch_execz .LBB291_298
; %bb.297:                              ;   in Loop: Header=BB291_201 Depth=1
	v_and_b32_e32 v33, 7, v12
	v_cmp_gt_u32_e64 s1, 8, v35
	v_lshrrev_b32_e32 v36, 3, v35
	s_delay_alu instid0(VALU_DEP_3) | instskip(NEXT) | instid1(VALU_DEP_1)
	v_clz_i32_u32_e32 v33, v33
	v_min_u32_e32 v33, 32, v33
	s_delay_alu instid0(VALU_DEP_1) | instskip(SKIP_1) | instid1(VALU_DEP_2)
	v_subrev_nc_u32_e32 v37, 28, v33
	v_sub_nc_u32_e32 v33, 29, v33
	v_cndmask_b32_e64 v35, 0, v37, s1
	s_delay_alu instid0(VALU_DEP_2) | instskip(NEXT) | instid1(VALU_DEP_2)
	v_cndmask_b32_e64 v33, v36, v33, s1
	v_lshlrev_b64 v[35:36], v35, v[5:6]
	v_lshlrev_b32_e32 v36, 8, v12
	s_delay_alu instid0(VALU_DEP_3) | instskip(NEXT) | instid1(VALU_DEP_3)
	v_lshl_add_u32 v33, v33, 10, 0x2000
	v_lshlrev_b32_e32 v35, 7, v35
	s_delay_alu instid0(VALU_DEP_2) | instskip(NEXT) | instid1(VALU_DEP_1)
	v_and_or_b32 v33, 0x8000, v36, v33
	v_and_or_b32 v33, 0x380, v35, v33
	s_delay_alu instid0(VALU_DEP_1)
	v_cvt_f32_f16_e32 v33, v33
.LBB291_298:                            ;   in Loop: Header=BB291_201 Depth=1
	s_or_b32 exec_lo, exec_lo, s22
.LBB291_299:                            ;   in Loop: Header=BB291_201 Depth=1
	s_delay_alu instid0(SALU_CYCLE_1)
	s_or_b32 exec_lo, exec_lo, s21
.LBB291_300:                            ;   in Loop: Header=BB291_201 Depth=1
	s_delay_alu instid0(SALU_CYCLE_1) | instskip(SKIP_2) | instid1(VALU_DEP_1)
	s_or_b32 exec_lo, exec_lo, s20
	v_lshrrev_b16 v5, 8, v5
	s_mov_b32 s20, exec_lo
	v_cmpx_ne_u16_e32 0, v5
	s_cbranch_execz .LBB291_308
; %bb.301:                              ;   in Loop: Header=BB291_201 Depth=1
	v_bfrev_b32_e32 v34, 1
	s_mov_b32 s21, exec_lo
	v_cmpx_ne_u16_e32 0x80, v5
	s_cbranch_execz .LBB291_307
; %bb.302:                              ;   in Loop: Header=BB291_201 Depth=1
	v_and_b32_e32 v35, 0xffff, v5
	v_mov_b32_e32 v34, 0x7fc02000
	s_mov_b32 s22, exec_lo
	s_delay_alu instid0(VALU_DEP_2) | instskip(NEXT) | instid1(VALU_DEP_1)
	v_and_b32_e32 v36, 0x7f, v35
	v_cmpx_ne_u32_e32 0x7f, v36
	s_cbranch_execz .LBB291_306
; %bb.303:                              ;   in Loop: Header=BB291_201 Depth=1
	v_and_b32_e32 v5, 7, v35
	v_lshrrev_b32_e32 v34, 3, v36
	s_mov_b32 s23, exec_lo
	v_cmpx_gt_u32_e32 8, v36
; %bb.304:                              ;   in Loop: Header=BB291_201 Depth=1
	s_delay_alu instid0(VALU_DEP_3) | instskip(NEXT) | instid1(VALU_DEP_1)
	v_clz_i32_u32_e32 v34, v5
	v_min_u32_e32 v34, 32, v34
	s_delay_alu instid0(VALU_DEP_1) | instskip(SKIP_1) | instid1(VALU_DEP_2)
	v_subrev_nc_u32_e32 v36, 28, v34
	v_sub_nc_u32_e32 v34, 29, v34
	v_lshlrev_b64 v[36:37], v36, v[5:6]
	s_delay_alu instid0(VALU_DEP_1)
	v_and_b32_e32 v5, 7, v36
; %bb.305:                              ;   in Loop: Header=BB291_201 Depth=1
	s_or_b32 exec_lo, exec_lo, s23
	v_lshlrev_b32_e32 v35, 8, v35
	v_lshl_add_u32 v34, v34, 10, 0x2000
	s_delay_alu instid0(VALU_DEP_1) | instskip(NEXT) | instid1(VALU_DEP_1)
	v_and_or_b32 v34, 0x8000, v35, v34
	v_lshl_or_b32 v5, v5, 7, v34
	s_delay_alu instid0(VALU_DEP_1)
	v_cvt_f32_f16_e32 v34, v5
.LBB291_306:                            ;   in Loop: Header=BB291_201 Depth=1
	s_or_b32 exec_lo, exec_lo, s22
.LBB291_307:                            ;   in Loop: Header=BB291_201 Depth=1
	s_delay_alu instid0(SALU_CYCLE_1)
	s_or_b32 exec_lo, exec_lo, s21
.LBB291_308:                            ;   in Loop: Header=BB291_201 Depth=1
	s_delay_alu instid0(SALU_CYCLE_1) | instskip(SKIP_3) | instid1(VALU_DEP_2)
	s_or_b32 exec_lo, exec_lo, s20
	v_lshrrev_b32_e32 v37, 16, v12
	v_mov_b32_e32 v35, 0
	s_mov_b32 s20, exec_lo
	v_dual_mov_b32 v36, 0 :: v_dual_and_b32 v5, 0xff, v37
	s_delay_alu instid0(VALU_DEP_1)
	v_cmpx_ne_u16_e32 0, v5
	s_cbranch_execz .LBB291_316
; %bb.309:                              ;   in Loop: Header=BB291_201 Depth=1
	v_bfrev_b32_e32 v35, 1
	s_mov_b32 s21, exec_lo
	v_cmpx_ne_u16_e32 0x80, v5
	s_cbranch_execz .LBB291_315
; %bb.310:                              ;   in Loop: Header=BB291_201 Depth=1
	v_bfe_u32 v38, v12, 16, 7
	v_mov_b32_e32 v35, 0x7fc02000
	s_mov_b32 s22, exec_lo
	s_delay_alu instid0(VALU_DEP_2)
	v_cmpx_ne_u32_e32 0x7f, v38
	s_cbranch_execz .LBB291_314
; %bb.311:                              ;   in Loop: Header=BB291_201 Depth=1
	v_and_b32_e32 v5, 7, v37
	v_lshrrev_b32_e32 v35, 3, v38
	s_mov_b32 s23, exec_lo
	v_cmpx_gt_u32_e32 8, v38
; %bb.312:                              ;   in Loop: Header=BB291_201 Depth=1
	s_delay_alu instid0(VALU_DEP_3) | instskip(NEXT) | instid1(VALU_DEP_1)
	v_clz_i32_u32_e32 v35, v5
	v_min_u32_e32 v35, 32, v35
	s_delay_alu instid0(VALU_DEP_1) | instskip(SKIP_1) | instid1(VALU_DEP_2)
	v_subrev_nc_u32_e32 v38, 28, v35
	v_sub_nc_u32_e32 v35, 29, v35
	v_lshlrev_b64 v[38:39], v38, v[5:6]
	s_delay_alu instid0(VALU_DEP_1)
	v_and_b32_e32 v5, 7, v38
; %bb.313:                              ;   in Loop: Header=BB291_201 Depth=1
	s_or_b32 exec_lo, exec_lo, s23
	v_lshlrev_b32_e32 v37, 8, v37
	v_lshl_add_u32 v35, v35, 10, 0x2000
	s_delay_alu instid0(VALU_DEP_1) | instskip(NEXT) | instid1(VALU_DEP_1)
	v_and_or_b32 v35, 0x8000, v37, v35
	v_lshl_or_b32 v5, v5, 7, v35
	s_delay_alu instid0(VALU_DEP_1)
	v_cvt_f32_f16_e32 v35, v5
.LBB291_314:                            ;   in Loop: Header=BB291_201 Depth=1
	s_or_b32 exec_lo, exec_lo, s22
.LBB291_315:                            ;   in Loop: Header=BB291_201 Depth=1
	s_delay_alu instid0(SALU_CYCLE_1)
	s_or_b32 exec_lo, exec_lo, s21
.LBB291_316:                            ;   in Loop: Header=BB291_201 Depth=1
	s_delay_alu instid0(SALU_CYCLE_1) | instskip(NEXT) | instid1(SALU_CYCLE_1)
	s_or_b32 exec_lo, exec_lo, s20
	s_mov_b32 s20, exec_lo
	v_cmpx_lt_u64_e64 s[10:11], v[11:12]
	s_cbranch_execz .LBB291_324
; %bb.317:                              ;   in Loop: Header=BB291_201 Depth=1
	v_lshrrev_b32_e32 v11, 24, v12
	v_bfrev_b32_e32 v36, 1
	s_mov_b32 s21, exec_lo
	s_delay_alu instid0(VALU_DEP_2)
	v_cmpx_ne_u32_e32 0x80, v11
	s_cbranch_execz .LBB291_323
; %bb.318:                              ;   in Loop: Header=BB291_201 Depth=1
	v_and_b32_e32 v37, 0x7f, v11
	v_mov_b32_e32 v36, 0x7fc02000
	s_mov_b32 s22, exec_lo
	s_delay_alu instid0(VALU_DEP_2)
	v_cmpx_ne_u32_e32 0x7f, v37
	s_cbranch_execz .LBB291_322
; %bb.319:                              ;   in Loop: Header=BB291_201 Depth=1
	v_and_b32_e32 v5, 7, v11
	v_lshrrev_b32_e32 v12, 3, v37
	s_mov_b32 s23, exec_lo
	v_cmpx_gt_u32_e32 8, v37
; %bb.320:                              ;   in Loop: Header=BB291_201 Depth=1
	s_delay_alu instid0(VALU_DEP_3) | instskip(NEXT) | instid1(VALU_DEP_1)
	v_clz_i32_u32_e32 v12, v5
	v_min_u32_e32 v12, 32, v12
	s_delay_alu instid0(VALU_DEP_1) | instskip(SKIP_1) | instid1(VALU_DEP_2)
	v_subrev_nc_u32_e32 v36, 28, v12
	v_sub_nc_u32_e32 v12, 29, v12
	v_lshlrev_b64 v[36:37], v36, v[5:6]
	s_delay_alu instid0(VALU_DEP_1)
	v_and_b32_e32 v5, 7, v36
; %bb.321:                              ;   in Loop: Header=BB291_201 Depth=1
	s_or_b32 exec_lo, exec_lo, s23
	v_lshlrev_b32_e32 v11, 8, v11
	v_lshl_add_u32 v12, v12, 10, 0x2000
	s_delay_alu instid0(VALU_DEP_1) | instskip(NEXT) | instid1(VALU_DEP_1)
	v_and_or_b32 v11, 0x8000, v11, v12
	v_lshl_or_b32 v5, v5, 7, v11
	s_delay_alu instid0(VALU_DEP_1)
	v_cvt_f32_f16_e32 v36, v5
.LBB291_322:                            ;   in Loop: Header=BB291_201 Depth=1
	s_or_b32 exec_lo, exec_lo, s22
.LBB291_323:                            ;   in Loop: Header=BB291_201 Depth=1
	s_delay_alu instid0(SALU_CYCLE_1)
	s_or_b32 exec_lo, exec_lo, s21
.LBB291_324:                            ;   in Loop: Header=BB291_201 Depth=1
	s_delay_alu instid0(SALU_CYCLE_1)
	s_or_b32 exec_lo, exec_lo, s20
	s_waitcnt vmcnt(0)
	v_fma_mixlo_f16 v12, v28, v30, 0
	v_fma_mixlo_f16 v5, v28, v32, 0
	;; [unrolled: 1-line block ×5, first 2 shown]
	v_lshlrev_b32_e32 v30, 16, v12
	v_fma_mixlo_f16 v32, v28, v33, 0
	v_fma_mixlo_f16 v33, v28, v36, 0
	v_fma_mixlo_f16 v12, v28, v35, 0
	v_lshlrev_b32_e32 v5, 16, v5
	v_and_b32_e32 v11, 0xffff, v11
	v_and_b32_e32 v29, 0xffff, v29
	v_lshlrev_b32_e32 v31, 16, v31
	v_and_b32_e32 v32, 0xffff, v32
	v_lshlrev_b32_e32 v33, 16, v33
	v_and_b32_e32 v34, 0xffff, v12
	v_or_b32_e32 v28, v5, v11
	v_or_b32_e32 v29, v30, v29
	;; [unrolled: 1-line block ×3, first 2 shown]
	s_delay_alu instid0(VALU_DEP_4)
	v_or_b32_e32 v11, v33, v34
	s_and_saveexec_b32 s20, s0
	s_cbranch_execz .LBB291_326
; %bb.325:                              ;   in Loop: Header=BB291_201 Depth=1
	v_add_nc_u32_e32 v30, 1, v16
	v_lshrrev_b32_e32 v31, 16, v29
	v_or_b32_e32 v32, 3, v16
	v_lshrrev_b32_e32 v33, 16, v28
	v_lshrrev_b32_e32 v34, 16, v5
	v_cmp_gt_i32_e64 s1, s13, v30
	v_lshrrev_b32_e32 v11, 16, v11
	v_or_b32_e32 v35, 6, v16
	s_delay_alu instid0(VALU_DEP_3) | instskip(SKIP_2) | instid1(VALU_DEP_2)
	v_cndmask_b32_e64 v30, 0, v31, s1
	v_cmp_gt_i32_e64 s1, s15, v16
	v_or_b32_e32 v31, 2, v16
	v_cndmask_b32_e64 v29, 0, v29, s1
	v_cmp_gt_i32_e64 s1, s13, v32
	s_delay_alu instid0(VALU_DEP_2) | instskip(NEXT) | instid1(VALU_DEP_2)
	v_perm_b32 v29, v30, v29, 0x5040100
	v_cndmask_b32_e64 v32, 0, v33, s1
	v_or_b32_e32 v33, 5, v16
	v_cmp_gt_i32_e64 s1, s15, v31
	v_or_b32_e32 v31, 4, v16
	s_delay_alu instid0(VALU_DEP_2) | instskip(NEXT) | instid1(VALU_DEP_4)
	v_cndmask_b32_e64 v28, 0, v28, s1
	v_cmp_gt_i32_e64 s1, s13, v33
	s_delay_alu instid0(VALU_DEP_2) | instskip(NEXT) | instid1(VALU_DEP_2)
	v_perm_b32 v28, v32, v28, 0x5040100
	v_cndmask_b32_e64 v33, 0, v34, s1
	v_or_b32_e32 v34, 7, v16
	v_cmp_gt_i32_e64 s1, s15, v31
	s_delay_alu instid0(VALU_DEP_1) | instskip(NEXT) | instid1(VALU_DEP_3)
	v_cndmask_b32_e64 v5, 0, v5, s1
	v_cmp_gt_i32_e64 s1, s13, v34
	s_delay_alu instid0(VALU_DEP_2) | instskip(NEXT) | instid1(VALU_DEP_2)
	v_perm_b32 v5, v33, v5, 0x5040100
	v_cndmask_b32_e64 v11, 0, v11, s1
	v_cmp_gt_i32_e64 s1, s15, v35
	s_delay_alu instid0(VALU_DEP_1) | instskip(NEXT) | instid1(VALU_DEP_1)
	v_cndmask_b32_e64 v12, 0, v12, s1
	v_perm_b32 v11, v11, v12, 0x5040100
.LBB291_326:                            ;   in Loop: Header=BB291_201 Depth=1
	s_or_b32 exec_lo, exec_lo, s20
	;;#ASMSTART
	v_pk_mul_f16 v12, v25, v29;

	;;#ASMEND
	;;#ASMSTART
	v_pk_mul_f16 v28, v24, v28;

	;;#ASMEND
	;; [unrolled: 4-line block ×4, first 2 shown]
	;;#ASMSTART
	v_pk_add_f16 v12, v12, v28;

	;;#ASMEND
	;;#ASMSTART
	v_pk_add_f16 v5, v12, v5;

	;;#ASMEND
	;; [unrolled: 4-line block ×3, first 2 shown]
	v_dual_add_f32 v12, v26, v27 :: v_dual_and_b32 v11, 0xffff, v5
	v_lshrrev_b32_e32 v5, 16, v5
	;;#ASMSTART
	v_cvt_f32_f16 v11, v11;
	;;#ASMEND
	;;#ASMSTART
	v_cvt_f32_f16 v5, v5;
	;;#ASMEND
	s_delay_alu instid0(VALU_DEP_1) | instskip(NEXT) | instid1(VALU_DEP_1)
	v_add_f32_e32 v5, v11, v5
	v_dual_add_f32 v1, v1, v12 :: v_dual_add_f32 v2, v2, v5
	s_and_saveexec_b32 s20, vcc_lo
	s_cbranch_execz .LBB291_199
; %bb.327:                              ;   in Loop: Header=BB291_201 Depth=1
	v_add_co_u32 v9, s1, v9, v21
	s_delay_alu instid0(VALU_DEP_1)
	v_add_co_ci_u32_e64 v10, s1, 0, v10, s1
	v_mov_b32_e32 v12, 0
	s_mov_b32 s21, exec_lo
	global_load_b64 v[9:10], v[9:10], off
	global_load_b32 v11, v6, s[6:7]
	s_waitcnt vmcnt(1)
	v_dual_mov_b32 v26, 0 :: v_dual_and_b32 v5, 0xff, v9
	s_delay_alu instid0(VALU_DEP_1)
	v_cmpx_ne_u16_e32 0, v5
	s_cbranch_execz .LBB291_333
; %bb.328:                              ;   in Loop: Header=BB291_201 Depth=1
	v_bfrev_b32_e32 v12, 1
	s_mov_b32 s22, exec_lo
	v_cmpx_ne_u16_e32 0x80, v5
	s_cbranch_execz .LBB291_332
; %bb.329:                              ;   in Loop: Header=BB291_201 Depth=1
	v_and_b32_e32 v5, 0x7f, v9
	v_mov_b32_e32 v12, 0x7fc02000
	s_mov_b32 s23, exec_lo
	s_delay_alu instid0(VALU_DEP_2)
	v_cmpx_ne_u32_e32 0x7f, v5
	s_cbranch_execz .LBB291_331
; %bb.330:                              ;   in Loop: Header=BB291_201 Depth=1
	v_and_b32_e32 v12, 7, v9
	v_cmp_gt_u32_e64 s1, 8, v5
	v_lshrrev_b32_e32 v27, 3, v5
	s_delay_alu instid0(VALU_DEP_3) | instskip(NEXT) | instid1(VALU_DEP_1)
	v_clz_i32_u32_e32 v12, v12
	v_min_u32_e32 v12, 32, v12
	s_delay_alu instid0(VALU_DEP_1) | instskip(SKIP_1) | instid1(VALU_DEP_2)
	v_subrev_nc_u32_e32 v28, 28, v12
	v_sub_nc_u32_e32 v12, 29, v12
	v_cndmask_b32_e64 v5, 0, v28, s1
	s_delay_alu instid0(VALU_DEP_2) | instskip(NEXT) | instid1(VALU_DEP_2)
	v_cndmask_b32_e64 v12, v27, v12, s1
	v_lshlrev_b64 v[27:28], v5, v[9:10]
	v_lshlrev_b32_e32 v5, 8, v9
	s_delay_alu instid0(VALU_DEP_3) | instskip(NEXT) | instid1(VALU_DEP_3)
	v_lshl_add_u32 v12, v12, 10, 0x2000
	v_lshlrev_b32_e32 v27, 7, v27
	s_delay_alu instid0(VALU_DEP_2) | instskip(NEXT) | instid1(VALU_DEP_1)
	v_and_or_b32 v5, 0x8000, v5, v12
	v_and_or_b32 v5, 0x380, v27, v5
	s_delay_alu instid0(VALU_DEP_1)
	v_cvt_f32_f16_e32 v12, v5
.LBB291_331:                            ;   in Loop: Header=BB291_201 Depth=1
	s_or_b32 exec_lo, exec_lo, s23
.LBB291_332:                            ;   in Loop: Header=BB291_201 Depth=1
	s_delay_alu instid0(SALU_CYCLE_1)
	s_or_b32 exec_lo, exec_lo, s22
.LBB291_333:                            ;   in Loop: Header=BB291_201 Depth=1
	s_delay_alu instid0(SALU_CYCLE_1) | instskip(SKIP_2) | instid1(VALU_DEP_1)
	s_or_b32 exec_lo, exec_lo, s21
	v_lshrrev_b16 v5, 8, v9
	s_mov_b32 s21, exec_lo
	v_cmpx_ne_u16_e32 0, v5
	s_cbranch_execz .LBB291_341
; %bb.334:                              ;   in Loop: Header=BB291_201 Depth=1
	v_bfrev_b32_e32 v26, 1
	s_mov_b32 s22, exec_lo
	v_cmpx_ne_u16_e32 0x80, v5
	s_cbranch_execz .LBB291_340
; %bb.335:                              ;   in Loop: Header=BB291_201 Depth=1
	v_and_b32_e32 v27, 0xffff, v5
	v_mov_b32_e32 v26, 0x7fc02000
	s_mov_b32 s23, exec_lo
	s_delay_alu instid0(VALU_DEP_2) | instskip(NEXT) | instid1(VALU_DEP_1)
	v_and_b32_e32 v28, 0x7f, v27
	v_cmpx_ne_u32_e32 0x7f, v28
	s_cbranch_execz .LBB291_339
; %bb.336:                              ;   in Loop: Header=BB291_201 Depth=1
	v_and_b32_e32 v5, 7, v27
	v_lshrrev_b32_e32 v26, 3, v28
	s_mov_b32 s25, exec_lo
	v_cmpx_gt_u32_e32 8, v28
; %bb.337:                              ;   in Loop: Header=BB291_201 Depth=1
	s_delay_alu instid0(VALU_DEP_3) | instskip(NEXT) | instid1(VALU_DEP_1)
	v_clz_i32_u32_e32 v26, v5
	v_min_u32_e32 v26, 32, v26
	s_delay_alu instid0(VALU_DEP_1) | instskip(SKIP_1) | instid1(VALU_DEP_2)
	v_subrev_nc_u32_e32 v28, 28, v26
	v_sub_nc_u32_e32 v26, 29, v26
	v_lshlrev_b64 v[28:29], v28, v[5:6]
	s_delay_alu instid0(VALU_DEP_1)
	v_and_b32_e32 v5, 7, v28
; %bb.338:                              ;   in Loop: Header=BB291_201 Depth=1
	s_or_b32 exec_lo, exec_lo, s25
	v_lshlrev_b32_e32 v27, 8, v27
	v_lshl_add_u32 v26, v26, 10, 0x2000
	s_delay_alu instid0(VALU_DEP_1) | instskip(NEXT) | instid1(VALU_DEP_1)
	v_and_or_b32 v26, 0x8000, v27, v26
	v_lshl_or_b32 v5, v5, 7, v26
	s_delay_alu instid0(VALU_DEP_1)
	v_cvt_f32_f16_e32 v26, v5
.LBB291_339:                            ;   in Loop: Header=BB291_201 Depth=1
	s_or_b32 exec_lo, exec_lo, s23
.LBB291_340:                            ;   in Loop: Header=BB291_201 Depth=1
	s_delay_alu instid0(SALU_CYCLE_1)
	s_or_b32 exec_lo, exec_lo, s22
.LBB291_341:                            ;   in Loop: Header=BB291_201 Depth=1
	s_delay_alu instid0(SALU_CYCLE_1) | instskip(SKIP_3) | instid1(VALU_DEP_2)
	s_or_b32 exec_lo, exec_lo, s21
	v_lshrrev_b32_e32 v29, 16, v9
	v_mov_b32_e32 v27, 0
	s_mov_b32 s21, exec_lo
	v_dual_mov_b32 v28, 0 :: v_dual_and_b32 v5, 0xff, v29
	s_delay_alu instid0(VALU_DEP_1)
	v_cmpx_ne_u16_e32 0, v5
	s_cbranch_execz .LBB291_349
; %bb.342:                              ;   in Loop: Header=BB291_201 Depth=1
	v_bfrev_b32_e32 v27, 1
	s_mov_b32 s22, exec_lo
	v_cmpx_ne_u16_e32 0x80, v5
	s_cbranch_execz .LBB291_348
; %bb.343:                              ;   in Loop: Header=BB291_201 Depth=1
	v_bfe_u32 v30, v9, 16, 7
	v_mov_b32_e32 v27, 0x7fc02000
	s_mov_b32 s23, exec_lo
	s_delay_alu instid0(VALU_DEP_2)
	v_cmpx_ne_u32_e32 0x7f, v30
	s_cbranch_execz .LBB291_347
; %bb.344:                              ;   in Loop: Header=BB291_201 Depth=1
	v_and_b32_e32 v5, 7, v29
	v_lshrrev_b32_e32 v27, 3, v30
	s_mov_b32 s25, exec_lo
	v_cmpx_gt_u32_e32 8, v30
; %bb.345:                              ;   in Loop: Header=BB291_201 Depth=1
	s_delay_alu instid0(VALU_DEP_3) | instskip(NEXT) | instid1(VALU_DEP_1)
	v_clz_i32_u32_e32 v27, v5
	v_min_u32_e32 v27, 32, v27
	s_delay_alu instid0(VALU_DEP_1) | instskip(SKIP_1) | instid1(VALU_DEP_2)
	v_subrev_nc_u32_e32 v30, 28, v27
	v_sub_nc_u32_e32 v27, 29, v27
	v_lshlrev_b64 v[30:31], v30, v[5:6]
	s_delay_alu instid0(VALU_DEP_1)
	v_and_b32_e32 v5, 7, v30
; %bb.346:                              ;   in Loop: Header=BB291_201 Depth=1
	s_or_b32 exec_lo, exec_lo, s25
	v_lshlrev_b32_e32 v29, 8, v29
	v_lshl_add_u32 v27, v27, 10, 0x2000
	s_delay_alu instid0(VALU_DEP_1) | instskip(NEXT) | instid1(VALU_DEP_1)
	v_and_or_b32 v27, 0x8000, v29, v27
	v_lshl_or_b32 v5, v5, 7, v27
	s_delay_alu instid0(VALU_DEP_1)
	v_cvt_f32_f16_e32 v27, v5
.LBB291_347:                            ;   in Loop: Header=BB291_201 Depth=1
	s_or_b32 exec_lo, exec_lo, s23
.LBB291_348:                            ;   in Loop: Header=BB291_201 Depth=1
	s_delay_alu instid0(SALU_CYCLE_1)
	s_or_b32 exec_lo, exec_lo, s22
.LBB291_349:                            ;   in Loop: Header=BB291_201 Depth=1
	s_delay_alu instid0(SALU_CYCLE_1) | instskip(NEXT) | instid1(SALU_CYCLE_1)
	s_or_b32 exec_lo, exec_lo, s21
	s_mov_b32 s21, exec_lo
	v_cmpx_lt_u32_e32 0xffffff, v9
	s_cbranch_execz .LBB291_357
; %bb.350:                              ;   in Loop: Header=BB291_201 Depth=1
	v_lshrrev_b32_e32 v29, 24, v9
	v_bfrev_b32_e32 v28, 1
	s_mov_b32 s22, exec_lo
	s_delay_alu instid0(VALU_DEP_2)
	v_cmpx_ne_u32_e32 0x80, v29
	s_cbranch_execz .LBB291_356
; %bb.351:                              ;   in Loop: Header=BB291_201 Depth=1
	v_and_b32_e32 v30, 0x7f, v29
	v_mov_b32_e32 v28, 0x7fc02000
	s_mov_b32 s23, exec_lo
	s_delay_alu instid0(VALU_DEP_2)
	v_cmpx_ne_u32_e32 0x7f, v30
	s_cbranch_execz .LBB291_355
; %bb.352:                              ;   in Loop: Header=BB291_201 Depth=1
	v_and_b32_e32 v5, 7, v29
	v_lshrrev_b32_e32 v28, 3, v30
	s_mov_b32 s25, exec_lo
	v_cmpx_gt_u32_e32 8, v30
; %bb.353:                              ;   in Loop: Header=BB291_201 Depth=1
	s_delay_alu instid0(VALU_DEP_3) | instskip(NEXT) | instid1(VALU_DEP_1)
	v_clz_i32_u32_e32 v28, v5
	v_min_u32_e32 v28, 32, v28
	s_delay_alu instid0(VALU_DEP_1) | instskip(SKIP_1) | instid1(VALU_DEP_2)
	v_subrev_nc_u32_e32 v30, 28, v28
	v_sub_nc_u32_e32 v28, 29, v28
	v_lshlrev_b64 v[30:31], v30, v[5:6]
	s_delay_alu instid0(VALU_DEP_1)
	v_and_b32_e32 v5, 7, v30
; %bb.354:                              ;   in Loop: Header=BB291_201 Depth=1
	s_or_b32 exec_lo, exec_lo, s25
	v_lshlrev_b32_e32 v29, 8, v29
	v_lshl_add_u32 v28, v28, 10, 0x2000
	s_delay_alu instid0(VALU_DEP_1) | instskip(NEXT) | instid1(VALU_DEP_1)
	v_and_or_b32 v28, 0x8000, v29, v28
	v_lshl_or_b32 v5, v5, 7, v28
	s_delay_alu instid0(VALU_DEP_1)
	v_cvt_f32_f16_e32 v28, v5
.LBB291_355:                            ;   in Loop: Header=BB291_201 Depth=1
	s_or_b32 exec_lo, exec_lo, s23
.LBB291_356:                            ;   in Loop: Header=BB291_201 Depth=1
	s_delay_alu instid0(SALU_CYCLE_1)
	s_or_b32 exec_lo, exec_lo, s22
.LBB291_357:                            ;   in Loop: Header=BB291_201 Depth=1
	s_delay_alu instid0(SALU_CYCLE_1) | instskip(SKIP_4) | instid1(VALU_DEP_3)
	s_or_b32 exec_lo, exec_lo, s21
	v_dual_mov_b32 v30, 0 :: v_dual_and_b32 v31, 0xff, v10
	v_mov_b32_e32 v5, v10
	v_mov_b32_e32 v29, 0
	s_mov_b32 s21, exec_lo
	v_cmpx_ne_u16_e32 0, v31
	s_cbranch_execz .LBB291_363
; %bb.358:                              ;   in Loop: Header=BB291_201 Depth=1
	v_bfrev_b32_e32 v29, 1
	s_mov_b32 s22, exec_lo
	v_cmpx_ne_u16_e32 0x80, v31
	s_cbranch_execz .LBB291_362
; %bb.359:                              ;   in Loop: Header=BB291_201 Depth=1
	v_and_b32_e32 v31, 0x7f, v10
	v_mov_b32_e32 v29, 0x7fc02000
	s_mov_b32 s23, exec_lo
	s_delay_alu instid0(VALU_DEP_2)
	v_cmpx_ne_u32_e32 0x7f, v31
	s_cbranch_execz .LBB291_361
; %bb.360:                              ;   in Loop: Header=BB291_201 Depth=1
	v_and_b32_e32 v29, 7, v10
	v_cmp_gt_u32_e64 s1, 8, v31
	v_lshrrev_b32_e32 v32, 3, v31
	s_delay_alu instid0(VALU_DEP_3) | instskip(NEXT) | instid1(VALU_DEP_1)
	v_clz_i32_u32_e32 v29, v29
	v_min_u32_e32 v29, 32, v29
	s_delay_alu instid0(VALU_DEP_1) | instskip(SKIP_1) | instid1(VALU_DEP_2)
	v_subrev_nc_u32_e32 v33, 28, v29
	v_sub_nc_u32_e32 v29, 29, v29
	v_cndmask_b32_e64 v31, 0, v33, s1
	s_delay_alu instid0(VALU_DEP_2) | instskip(NEXT) | instid1(VALU_DEP_2)
	v_cndmask_b32_e64 v29, v32, v29, s1
	v_lshlrev_b64 v[31:32], v31, v[5:6]
	v_lshlrev_b32_e32 v32, 8, v10
	s_delay_alu instid0(VALU_DEP_3) | instskip(NEXT) | instid1(VALU_DEP_3)
	v_lshl_add_u32 v29, v29, 10, 0x2000
	v_lshlrev_b32_e32 v31, 7, v31
	s_delay_alu instid0(VALU_DEP_2) | instskip(NEXT) | instid1(VALU_DEP_1)
	v_and_or_b32 v29, 0x8000, v32, v29
	v_and_or_b32 v29, 0x380, v31, v29
	s_delay_alu instid0(VALU_DEP_1)
	v_cvt_f32_f16_e32 v29, v29
.LBB291_361:                            ;   in Loop: Header=BB291_201 Depth=1
	s_or_b32 exec_lo, exec_lo, s23
.LBB291_362:                            ;   in Loop: Header=BB291_201 Depth=1
	s_delay_alu instid0(SALU_CYCLE_1)
	s_or_b32 exec_lo, exec_lo, s22
.LBB291_363:                            ;   in Loop: Header=BB291_201 Depth=1
	s_delay_alu instid0(SALU_CYCLE_1) | instskip(SKIP_2) | instid1(VALU_DEP_1)
	s_or_b32 exec_lo, exec_lo, s21
	v_lshrrev_b16 v5, 8, v5
	s_mov_b32 s21, exec_lo
	v_cmpx_ne_u16_e32 0, v5
	s_cbranch_execz .LBB291_371
; %bb.364:                              ;   in Loop: Header=BB291_201 Depth=1
	v_bfrev_b32_e32 v30, 1
	s_mov_b32 s22, exec_lo
	v_cmpx_ne_u16_e32 0x80, v5
	s_cbranch_execz .LBB291_370
; %bb.365:                              ;   in Loop: Header=BB291_201 Depth=1
	v_and_b32_e32 v31, 0xffff, v5
	v_mov_b32_e32 v30, 0x7fc02000
	s_mov_b32 s23, exec_lo
	s_delay_alu instid0(VALU_DEP_2) | instskip(NEXT) | instid1(VALU_DEP_1)
	v_and_b32_e32 v32, 0x7f, v31
	v_cmpx_ne_u32_e32 0x7f, v32
	s_cbranch_execz .LBB291_369
; %bb.366:                              ;   in Loop: Header=BB291_201 Depth=1
	v_and_b32_e32 v5, 7, v31
	v_lshrrev_b32_e32 v30, 3, v32
	s_mov_b32 s25, exec_lo
	v_cmpx_gt_u32_e32 8, v32
; %bb.367:                              ;   in Loop: Header=BB291_201 Depth=1
	s_delay_alu instid0(VALU_DEP_3) | instskip(NEXT) | instid1(VALU_DEP_1)
	v_clz_i32_u32_e32 v30, v5
	v_min_u32_e32 v30, 32, v30
	s_delay_alu instid0(VALU_DEP_1) | instskip(SKIP_1) | instid1(VALU_DEP_2)
	v_subrev_nc_u32_e32 v32, 28, v30
	v_sub_nc_u32_e32 v30, 29, v30
	v_lshlrev_b64 v[32:33], v32, v[5:6]
	s_delay_alu instid0(VALU_DEP_1)
	v_and_b32_e32 v5, 7, v32
; %bb.368:                              ;   in Loop: Header=BB291_201 Depth=1
	s_or_b32 exec_lo, exec_lo, s25
	v_lshlrev_b32_e32 v31, 8, v31
	v_lshl_add_u32 v30, v30, 10, 0x2000
	s_delay_alu instid0(VALU_DEP_1) | instskip(NEXT) | instid1(VALU_DEP_1)
	v_and_or_b32 v30, 0x8000, v31, v30
	v_lshl_or_b32 v5, v5, 7, v30
	s_delay_alu instid0(VALU_DEP_1)
	v_cvt_f32_f16_e32 v30, v5
.LBB291_369:                            ;   in Loop: Header=BB291_201 Depth=1
	s_or_b32 exec_lo, exec_lo, s23
.LBB291_370:                            ;   in Loop: Header=BB291_201 Depth=1
	s_delay_alu instid0(SALU_CYCLE_1)
	s_or_b32 exec_lo, exec_lo, s22
.LBB291_371:                            ;   in Loop: Header=BB291_201 Depth=1
	s_delay_alu instid0(SALU_CYCLE_1) | instskip(SKIP_3) | instid1(VALU_DEP_2)
	s_or_b32 exec_lo, exec_lo, s21
	v_lshrrev_b32_e32 v33, 16, v10
	v_mov_b32_e32 v31, 0
	s_mov_b32 s21, exec_lo
	v_dual_mov_b32 v32, 0 :: v_dual_and_b32 v5, 0xff, v33
	s_delay_alu instid0(VALU_DEP_1)
	v_cmpx_ne_u16_e32 0, v5
	s_cbranch_execz .LBB291_379
; %bb.372:                              ;   in Loop: Header=BB291_201 Depth=1
	v_bfrev_b32_e32 v31, 1
	s_mov_b32 s22, exec_lo
	v_cmpx_ne_u16_e32 0x80, v5
	s_cbranch_execz .LBB291_378
; %bb.373:                              ;   in Loop: Header=BB291_201 Depth=1
	v_bfe_u32 v34, v10, 16, 7
	v_mov_b32_e32 v31, 0x7fc02000
	s_mov_b32 s23, exec_lo
	s_delay_alu instid0(VALU_DEP_2)
	v_cmpx_ne_u32_e32 0x7f, v34
	s_cbranch_execz .LBB291_377
; %bb.374:                              ;   in Loop: Header=BB291_201 Depth=1
	v_and_b32_e32 v5, 7, v33
	v_lshrrev_b32_e32 v31, 3, v34
	s_mov_b32 s25, exec_lo
	v_cmpx_gt_u32_e32 8, v34
; %bb.375:                              ;   in Loop: Header=BB291_201 Depth=1
	s_delay_alu instid0(VALU_DEP_3) | instskip(NEXT) | instid1(VALU_DEP_1)
	v_clz_i32_u32_e32 v31, v5
	v_min_u32_e32 v31, 32, v31
	s_delay_alu instid0(VALU_DEP_1) | instskip(SKIP_1) | instid1(VALU_DEP_2)
	v_subrev_nc_u32_e32 v34, 28, v31
	v_sub_nc_u32_e32 v31, 29, v31
	v_lshlrev_b64 v[34:35], v34, v[5:6]
	s_delay_alu instid0(VALU_DEP_1)
	v_and_b32_e32 v5, 7, v34
; %bb.376:                              ;   in Loop: Header=BB291_201 Depth=1
	s_or_b32 exec_lo, exec_lo, s25
	v_lshlrev_b32_e32 v33, 8, v33
	v_lshl_add_u32 v31, v31, 10, 0x2000
	s_delay_alu instid0(VALU_DEP_1) | instskip(NEXT) | instid1(VALU_DEP_1)
	v_and_or_b32 v31, 0x8000, v33, v31
	v_lshl_or_b32 v5, v5, 7, v31
	s_delay_alu instid0(VALU_DEP_1)
	v_cvt_f32_f16_e32 v31, v5
.LBB291_377:                            ;   in Loop: Header=BB291_201 Depth=1
	s_or_b32 exec_lo, exec_lo, s23
.LBB291_378:                            ;   in Loop: Header=BB291_201 Depth=1
	s_delay_alu instid0(SALU_CYCLE_1)
	s_or_b32 exec_lo, exec_lo, s22
.LBB291_379:                            ;   in Loop: Header=BB291_201 Depth=1
	s_delay_alu instid0(SALU_CYCLE_1) | instskip(NEXT) | instid1(SALU_CYCLE_1)
	s_or_b32 exec_lo, exec_lo, s21
	s_mov_b32 s21, exec_lo
	v_cmpx_lt_u64_e64 s[10:11], v[9:10]
	s_cbranch_execz .LBB291_387
; %bb.380:                              ;   in Loop: Header=BB291_201 Depth=1
	v_lshrrev_b32_e32 v9, 24, v10
	v_bfrev_b32_e32 v32, 1
	s_mov_b32 s22, exec_lo
	s_delay_alu instid0(VALU_DEP_2)
	v_cmpx_ne_u32_e32 0x80, v9
	s_cbranch_execz .LBB291_386
; %bb.381:                              ;   in Loop: Header=BB291_201 Depth=1
	v_and_b32_e32 v33, 0x7f, v9
	v_mov_b32_e32 v32, 0x7fc02000
	s_mov_b32 s23, exec_lo
	s_delay_alu instid0(VALU_DEP_2)
	v_cmpx_ne_u32_e32 0x7f, v33
	s_cbranch_execz .LBB291_385
; %bb.382:                              ;   in Loop: Header=BB291_201 Depth=1
	v_and_b32_e32 v5, 7, v9
	v_lshrrev_b32_e32 v10, 3, v33
	s_mov_b32 s25, exec_lo
	v_cmpx_gt_u32_e32 8, v33
; %bb.383:                              ;   in Loop: Header=BB291_201 Depth=1
	s_delay_alu instid0(VALU_DEP_3) | instskip(NEXT) | instid1(VALU_DEP_1)
	v_clz_i32_u32_e32 v10, v5
	v_min_u32_e32 v10, 32, v10
	s_delay_alu instid0(VALU_DEP_1) | instskip(SKIP_1) | instid1(VALU_DEP_2)
	v_subrev_nc_u32_e32 v32, 28, v10
	v_sub_nc_u32_e32 v10, 29, v10
	v_lshlrev_b64 v[32:33], v32, v[5:6]
	s_delay_alu instid0(VALU_DEP_1)
	v_and_b32_e32 v5, 7, v32
; %bb.384:                              ;   in Loop: Header=BB291_201 Depth=1
	s_or_b32 exec_lo, exec_lo, s25
	v_lshlrev_b32_e32 v9, 8, v9
	v_lshl_add_u32 v10, v10, 10, 0x2000
	s_delay_alu instid0(VALU_DEP_1) | instskip(NEXT) | instid1(VALU_DEP_1)
	v_and_or_b32 v9, 0x8000, v9, v10
	v_lshl_or_b32 v5, v5, 7, v9
	s_delay_alu instid0(VALU_DEP_1)
	v_cvt_f32_f16_e32 v32, v5
.LBB291_385:                            ;   in Loop: Header=BB291_201 Depth=1
	s_or_b32 exec_lo, exec_lo, s23
.LBB291_386:                            ;   in Loop: Header=BB291_201 Depth=1
	s_delay_alu instid0(SALU_CYCLE_1)
	s_or_b32 exec_lo, exec_lo, s22
.LBB291_387:                            ;   in Loop: Header=BB291_201 Depth=1
	s_delay_alu instid0(SALU_CYCLE_1)
	s_or_b32 exec_lo, exec_lo, s21
	s_waitcnt vmcnt(0)
	v_fma_mixlo_f16 v10, v11, v26, 0
	v_fma_mixlo_f16 v5, v11, v28, 0
	v_fma_mixlo_f16 v9, v11, v27, 0
	v_fma_mixlo_f16 v12, v11, v12, 0
	v_fma_mixlo_f16 v27, v11, v30, 0
	v_lshlrev_b32_e32 v26, 16, v10
	v_fma_mixlo_f16 v28, v11, v29, 0
	v_fma_mixlo_f16 v29, v11, v32, 0
	;; [unrolled: 1-line block ×3, first 2 shown]
	v_lshlrev_b32_e32 v5, 16, v5
	v_and_b32_e32 v9, 0xffff, v9
	v_and_b32_e32 v12, 0xffff, v12
	v_lshlrev_b32_e32 v27, 16, v27
	v_and_b32_e32 v28, 0xffff, v28
	v_lshlrev_b32_e32 v29, 16, v29
	v_and_b32_e32 v30, 0xffff, v10
	v_or_b32_e32 v11, v5, v9
	v_or_b32_e32 v12, v26, v12
	;; [unrolled: 1-line block ×3, first 2 shown]
	s_delay_alu instid0(VALU_DEP_4)
	v_or_b32_e32 v9, v29, v30
	s_and_saveexec_b32 s1, s0
	s_cbranch_execz .LBB291_198
; %bb.388:                              ;   in Loop: Header=BB291_201 Depth=1
	v_add_nc_u32_e32 v26, 1, v16
	v_lshrrev_b32_e32 v27, 16, v12
	v_or_b32_e32 v28, 3, v16
	v_lshrrev_b32_e32 v29, 16, v11
	v_lshrrev_b32_e32 v30, 16, v5
	v_cmp_gt_i32_e64 s0, s13, v26
	v_lshrrev_b32_e32 v9, 16, v9
	v_or_b32_e32 v31, 6, v16
	s_delay_alu instid0(VALU_DEP_3) | instskip(SKIP_2) | instid1(VALU_DEP_2)
	v_cndmask_b32_e64 v26, 0, v27, s0
	v_cmp_gt_i32_e64 s0, s15, v16
	v_or_b32_e32 v27, 2, v16
	v_cndmask_b32_e64 v12, 0, v12, s0
	v_cmp_gt_i32_e64 s0, s13, v28
	s_delay_alu instid0(VALU_DEP_2) | instskip(NEXT) | instid1(VALU_DEP_2)
	v_perm_b32 v12, v26, v12, 0x5040100
	v_cndmask_b32_e64 v28, 0, v29, s0
	v_or_b32_e32 v29, 5, v16
	v_cmp_gt_i32_e64 s0, s15, v27
	v_or_b32_e32 v27, 4, v16
	s_delay_alu instid0(VALU_DEP_2) | instskip(NEXT) | instid1(VALU_DEP_4)
	v_cndmask_b32_e64 v11, 0, v11, s0
	v_cmp_gt_i32_e64 s0, s13, v29
	s_delay_alu instid0(VALU_DEP_2) | instskip(NEXT) | instid1(VALU_DEP_2)
	v_perm_b32 v11, v28, v11, 0x5040100
	v_cndmask_b32_e64 v29, 0, v30, s0
	v_or_b32_e32 v30, 7, v16
	v_cmp_gt_i32_e64 s0, s15, v27
	s_delay_alu instid0(VALU_DEP_1) | instskip(NEXT) | instid1(VALU_DEP_3)
	v_cndmask_b32_e64 v5, 0, v5, s0
	v_cmp_gt_i32_e64 s0, s13, v30
	s_delay_alu instid0(VALU_DEP_2) | instskip(NEXT) | instid1(VALU_DEP_2)
	v_perm_b32 v5, v29, v5, 0x5040100
	v_cndmask_b32_e64 v9, 0, v9, s0
	v_cmp_gt_i32_e64 s0, s15, v31
	s_delay_alu instid0(VALU_DEP_1) | instskip(NEXT) | instid1(VALU_DEP_1)
	v_cndmask_b32_e64 v10, 0, v10, s0
	v_perm_b32 v9, v9, v10, 0x5040100
	s_branch .LBB291_198
.LBB291_389:
	s_or_b32 exec_lo, exec_lo, s12
.LBB291_390:
	s_delay_alu instid0(SALU_CYCLE_1)
	s_or_b32 exec_lo, exec_lo, s5
	s_movk_i32 s0, 0x140
	v_and_b32_e32 v5, 0x3c0, v0
	v_mad_u32_u24 v4, v15, s0, 0xc0
	s_mov_b32 s0, exec_lo
	s_waitcnt_vscnt null, 0x0
	s_barrier
	buffer_gl0_inv
	v_cmpx_eq_u32_e32 64, v5
	s_cbranch_execz .LBB291_393
; %bb.391:
	v_add3_u32 v5, v4, v18, 0xfffffd80
	v_cmp_gt_u32_e32 vcc_lo, 0x50, v19
	ds_store_2addr_b32 v5, v1, v2 offset1:32
	s_and_b32 exec_lo, exec_lo, vcc_lo
	s_cbranch_execz .LBB291_393
; %bb.392:
	ds_store_b32 v5, v3 offset:256
.LBB291_393:
	s_or_b32 exec_lo, exec_lo, s0
	v_lshl_add_u32 v5, v17, 2, v4
	s_mov_b32 s0, exec_lo
	s_waitcnt lgkmcnt(0)
	s_barrier
	buffer_gl0_inv
	v_cmpx_gt_u32_e32 64, v0
	s_cbranch_execz .LBB291_397
; %bb.394:
	v_lshl_or_b32 v6, v0, 2, 0x80
	s_mov_b32 s1, exec_lo
	s_delay_alu instid0(VALU_DEP_1)
	v_add_nc_u32_e32 v6, v4, v6
	ds_load_b32 v7, v5
	ds_load_b32 v6, v6
	s_waitcnt lgkmcnt(0)
	v_dual_add_f32 v1, v1, v7 :: v_dual_add_f32 v2, v2, v6
	v_cmpx_gt_u32_e32 0x50, v19
	s_cbranch_execz .LBB291_396
; %bb.395:
	ds_load_b32 v6, v5 offset:256
	s_waitcnt lgkmcnt(0)
	v_add_f32_e32 v3, v3, v6
.LBB291_396:
	s_or_b32 exec_lo, exec_lo, s1
.LBB291_397:
	s_delay_alu instid0(SALU_CYCLE_1)
	s_or_b32 exec_lo, exec_lo, s0
	v_and_b32_e32 v6, 0x3e0, v0
	s_mov_b32 s0, exec_lo
	s_barrier
	buffer_gl0_inv
	v_cmpx_eq_u32_e32 32, v6
	s_cbranch_execz .LBB291_400
; %bb.398:
	v_add_nc_u32_e32 v7, 0xfffffec0, v4
	v_cmp_gt_u32_e32 vcc_lo, 0x50, v19
	s_delay_alu instid0(VALU_DEP_2)
	v_lshl_add_u32 v6, v17, 2, v7
	v_lshl_add_u32 v7, v0, 2, v7
	ds_store_b32 v6, v1
	ds_store_b32 v7, v2
	s_and_b32 exec_lo, exec_lo, vcc_lo
	s_cbranch_execz .LBB291_400
; %bb.399:
	ds_store_b32 v6, v3 offset:256
.LBB291_400:
	s_or_b32 exec_lo, exec_lo, s0
	v_cmp_gt_u32_e32 vcc_lo, 32, v0
	v_or_b32_e32 v6, 64, v0
	s_waitcnt lgkmcnt(0)
	s_barrier
	buffer_gl0_inv
	s_and_saveexec_b32 s1, vcc_lo
	s_cbranch_execz .LBB291_404
; %bb.401:
	v_lshl_add_u32 v4, v0, 2, v4
	s_mov_b32 s2, exec_lo
	ds_load_b32 v5, v5
	ds_load_b32 v7, v4 offset:128
	s_waitcnt lgkmcnt(0)
	v_dual_add_f32 v1, v1, v5 :: v_dual_add_f32 v2, v2, v7
	v_cmpx_gt_u32_e32 0x50, v6
	s_cbranch_execz .LBB291_403
; %bb.402:
	ds_load_b32 v4, v4 offset:256
	s_waitcnt lgkmcnt(0)
	v_add_f32_e32 v3, v3, v4
.LBB291_403:
	s_or_b32 exec_lo, exec_lo, s2
.LBB291_404:
	s_delay_alu instid0(SALU_CYCLE_1)
	s_or_b32 exec_lo, exec_lo, s1
	s_barrier
	buffer_gl0_inv
	s_and_saveexec_b32 s0, vcc_lo
	s_cbranch_execz .LBB291_407
; %bb.405:
	s_mul_i32 s0, s4, 0x50
	s_mul_i32 s2, s8, s26
	s_ashr_i32 s1, s0, 31
	v_lshlrev_b32_e32 v0, 1, v0
	s_lshl_b64 s[0:1], s[0:1], 1
	v_cmp_gt_u32_e32 vcc_lo, 0x50, v6
	s_add_u32 s4, s28, s0
	s_addc_u32 s5, s29, s1
	s_ashr_i32 s3, s2, 31
	;;#ASMSTART
	v_cvt_f16_f32 v1, v1;

	;;#ASMEND
	s_lshl_b64 s[0:1], s[2:3], 1
	s_mul_i32 s2, s24, 0x50
	s_add_u32 s4, s4, s0
	s_addc_u32 s5, s5, s1
	s_ashr_i32 s3, s2, 31
	s_delay_alu instid0(SALU_CYCLE_1) | instskip(NEXT) | instid1(SALU_CYCLE_1)
	s_lshl_b64 s[0:1], s[2:3], 1
	s_add_u32 s0, s4, s0
	s_addc_u32 s1, s5, s1
	global_store_b16 v0, v1, s[0:1]
	;;#ASMSTART
	v_cvt_f16_f32 v1, v2;

	;;#ASMEND
	global_store_b16 v0, v1, s[0:1] offset:64
	s_and_b32 exec_lo, exec_lo, vcc_lo
	s_cbranch_execz .LBB291_407
; %bb.406:
	v_add_co_u32 v0, s0, s0, v0
	s_delay_alu instid0(VALU_DEP_1)
	v_add_co_ci_u32_e64 v1, null, s1, 0, s0
	;;#ASMSTART
	v_cvt_f16_f32 v2, v3;

	;;#ASMEND
	global_store_b16 v[0:1], v2, off offset:128
.LBB291_407:
	s_nop 0
	s_sendmsg sendmsg(MSG_DEALLOC_VGPRS)
	s_endpgm
	.section	.rodata,"a",@progbits
	.p2align	6, 0x0
	.amdhsa_kernel _ZN4vllm25paged_attention_v2_kernelIthLi80ELi8ELi128ELNS_18Fp8KVCacheDataTypeE1ELb1ELi512EEEvPfS2_PT_PKS3_PKT0_S9_ifPKiSB_iPKfiiiSD_SD_iiiii
		.amdhsa_group_segment_fixed_size 192
		.amdhsa_private_segment_fixed_size 0
		.amdhsa_kernarg_size 400
		.amdhsa_user_sgpr_count 13
		.amdhsa_user_sgpr_dispatch_ptr 0
		.amdhsa_user_sgpr_queue_ptr 0
		.amdhsa_user_sgpr_kernarg_segment_ptr 1
		.amdhsa_user_sgpr_dispatch_id 0
		.amdhsa_user_sgpr_private_segment_size 0
		.amdhsa_wavefront_size32 1
		.amdhsa_uses_dynamic_stack 0
		.amdhsa_enable_private_segment 0
		.amdhsa_system_sgpr_workgroup_id_x 1
		.amdhsa_system_sgpr_workgroup_id_y 1
		.amdhsa_system_sgpr_workgroup_id_z 1
		.amdhsa_system_sgpr_workgroup_info 0
		.amdhsa_system_vgpr_workitem_id 0
		.amdhsa_next_free_vgpr 59
		.amdhsa_next_free_sgpr 52
		.amdhsa_reserve_vcc 1
		.amdhsa_float_round_mode_32 0
		.amdhsa_float_round_mode_16_64 0
		.amdhsa_float_denorm_mode_32 3
		.amdhsa_float_denorm_mode_16_64 3
		.amdhsa_dx10_clamp 1
		.amdhsa_ieee_mode 1
		.amdhsa_fp16_overflow 0
		.amdhsa_workgroup_processor_mode 1
		.amdhsa_memory_ordered 1
		.amdhsa_forward_progress 0
		.amdhsa_shared_vgpr_count 0
		.amdhsa_exception_fp_ieee_invalid_op 0
		.amdhsa_exception_fp_denorm_src 0
		.amdhsa_exception_fp_ieee_div_zero 0
		.amdhsa_exception_fp_ieee_overflow 0
		.amdhsa_exception_fp_ieee_underflow 0
		.amdhsa_exception_fp_ieee_inexact 0
		.amdhsa_exception_int_div_zero 0
	.end_amdhsa_kernel
	.section	.text._ZN4vllm25paged_attention_v2_kernelIthLi80ELi8ELi128ELNS_18Fp8KVCacheDataTypeE1ELb1ELi512EEEvPfS2_PT_PKS3_PKT0_S9_ifPKiSB_iPKfiiiSD_SD_iiiii,"axG",@progbits,_ZN4vllm25paged_attention_v2_kernelIthLi80ELi8ELi128ELNS_18Fp8KVCacheDataTypeE1ELb1ELi512EEEvPfS2_PT_PKS3_PKT0_S9_ifPKiSB_iPKfiiiSD_SD_iiiii,comdat
.Lfunc_end291:
	.size	_ZN4vllm25paged_attention_v2_kernelIthLi80ELi8ELi128ELNS_18Fp8KVCacheDataTypeE1ELb1ELi512EEEvPfS2_PT_PKS3_PKT0_S9_ifPKiSB_iPKfiiiSD_SD_iiiii, .Lfunc_end291-_ZN4vllm25paged_attention_v2_kernelIthLi80ELi8ELi128ELNS_18Fp8KVCacheDataTypeE1ELb1ELi512EEEvPfS2_PT_PKS3_PKT0_S9_ifPKiSB_iPKfiiiSD_SD_iiiii
                                        ; -- End function
	.section	.AMDGPU.csdata,"",@progbits
; Kernel info:
; codeLenInByte = 17636
; NumSgprs: 54
; NumVgprs: 59
; ScratchSize: 0
; MemoryBound: 0
; FloatMode: 240
; IeeeMode: 1
; LDSByteSize: 192 bytes/workgroup (compile time only)
; SGPRBlocks: 6
; VGPRBlocks: 7
; NumSGPRsForWavesPerEU: 54
; NumVGPRsForWavesPerEU: 59
; Occupancy: 16
; WaveLimiterHint : 1
; COMPUTE_PGM_RSRC2:SCRATCH_EN: 0
; COMPUTE_PGM_RSRC2:USER_SGPR: 13
; COMPUTE_PGM_RSRC2:TRAP_HANDLER: 0
; COMPUTE_PGM_RSRC2:TGID_X_EN: 1
; COMPUTE_PGM_RSRC2:TGID_Y_EN: 1
; COMPUTE_PGM_RSRC2:TGID_Z_EN: 1
; COMPUTE_PGM_RSRC2:TIDIG_COMP_CNT: 0
	.section	.text._ZN4vllm25paged_attention_v2_kernelIthLi96ELi8ELi128ELNS_18Fp8KVCacheDataTypeE1ELb1ELi512EEEvPfS2_PT_PKS3_PKT0_S9_ifPKiSB_iPKfiiiSD_SD_iiiii,"axG",@progbits,_ZN4vllm25paged_attention_v2_kernelIthLi96ELi8ELi128ELNS_18Fp8KVCacheDataTypeE1ELb1ELi512EEEvPfS2_PT_PKS3_PKT0_S9_ifPKiSB_iPKfiiiSD_SD_iiiii,comdat
	.protected	_ZN4vllm25paged_attention_v2_kernelIthLi96ELi8ELi128ELNS_18Fp8KVCacheDataTypeE1ELb1ELi512EEEvPfS2_PT_PKS3_PKT0_S9_ifPKiSB_iPKfiiiSD_SD_iiiii ; -- Begin function _ZN4vllm25paged_attention_v2_kernelIthLi96ELi8ELi128ELNS_18Fp8KVCacheDataTypeE1ELb1ELi512EEEvPfS2_PT_PKS3_PKT0_S9_ifPKiSB_iPKfiiiSD_SD_iiiii
	.globl	_ZN4vllm25paged_attention_v2_kernelIthLi96ELi8ELi128ELNS_18Fp8KVCacheDataTypeE1ELb1ELi512EEEvPfS2_PT_PKS3_PKT0_S9_ifPKiSB_iPKfiiiSD_SD_iiiii
	.p2align	8
	.type	_ZN4vllm25paged_attention_v2_kernelIthLi96ELi8ELi128ELNS_18Fp8KVCacheDataTypeE1ELb1ELi512EEEvPfS2_PT_PKS3_PKT0_S9_ifPKiSB_iPKfiiiSD_SD_iiiii,@function
_ZN4vllm25paged_attention_v2_kernelIthLi96ELi8ELi128ELNS_18Fp8KVCacheDataTypeE1ELb1ELi512EEEvPfS2_PT_PKS3_PKT0_S9_ifPKiSB_iPKfiiiSD_SD_iiiii: ; @_ZN4vllm25paged_attention_v2_kernelIthLi96ELi8ELi128ELNS_18Fp8KVCacheDataTypeE1ELb1ELi512EEEvPfS2_PT_PKS3_PKT0_S9_ifPKiSB_iPKfiiiSD_SD_iiiii
; %bb.0:
	s_load_b64 s[2:3], s[0:1], 0x40
	s_mov_b32 s12, s15
	s_ashr_i32 s15, s14, 31
	s_delay_alu instid0(SALU_CYCLE_1)
	s_lshl_b64 s[4:5], s[14:15], 2
	s_waitcnt lgkmcnt(0)
	s_add_u32 s2, s2, s4
	s_addc_u32 s3, s3, s5
	s_lshl_b32 s33, s12, 9
	s_load_b32 s15, s[2:3], 0x0
	s_waitcnt lgkmcnt(0)
	s_cmp_ge_i32 s33, s15
	s_cbranch_scc1 .LBB292_430
; %bb.1:
	s_mov_b32 s28, s13
	s_clause 0x1
	s_load_b32 s13, s[0:1], 0x90
	s_load_b64 s[38:39], s[0:1], 0x30
	s_mov_b32 s41, 0
	s_waitcnt lgkmcnt(0)
	s_abs_i32 s5, s13
	s_abs_i32 s2, s38
	s_delay_alu instid0(SALU_CYCLE_1) | instskip(SKIP_1) | instid1(VALU_DEP_1)
	v_cvt_f32_u32_e32 v1, s2
	s_sub_i32 s4, 0, s2
	v_rcp_iflag_f32_e32 v1, v1
	s_waitcnt_depctr 0xfff
	v_mul_f32_e32 v1, 0x4f7ffffe, v1
	s_delay_alu instid0(VALU_DEP_1) | instskip(NEXT) | instid1(VALU_DEP_1)
	v_cvt_u32_f32_e32 v1, v1
	v_readfirstlane_b32 s3, v1
	s_delay_alu instid0(VALU_DEP_1) | instskip(NEXT) | instid1(SALU_CYCLE_1)
	s_mul_i32 s4, s4, s3
	s_mul_hi_u32 s4, s3, s4
	s_delay_alu instid0(SALU_CYCLE_1) | instskip(SKIP_4) | instid1(SALU_CYCLE_1)
	s_add_i32 s3, s3, s4
	s_xor_b32 s4, s13, s38
	s_mul_hi_u32 s3, s5, s3
	s_ashr_i32 s4, s4, 31
	s_mul_i32 s6, s3, s2
	s_sub_i32 s5, s5, s6
	s_add_i32 s6, s3, 1
	s_sub_i32 s7, s5, s2
	s_cmp_ge_u32 s5, s2
	s_cselect_b32 s3, s6, s3
	s_cselect_b32 s5, s7, s5
	s_add_i32 s6, s3, 1
	s_cmp_ge_u32 s5, s2
	s_cselect_b32 s2, s6, s3
	s_delay_alu instid0(SALU_CYCLE_1) | instskip(NEXT) | instid1(SALU_CYCLE_1)
	s_xor_b32 s2, s2, s4
	s_sub_i32 s7, s2, s4
	s_load_b64 s[2:3], s[0:1], 0x50
	s_abs_i32 s4, s7
	s_delay_alu instid0(SALU_CYCLE_1) | instskip(SKIP_1) | instid1(VALU_DEP_1)
	v_cvt_f32_u32_e32 v1, s4
	s_sub_i32 s5, 0, s4
	v_rcp_iflag_f32_e32 v1, v1
	s_waitcnt_depctr 0xfff
	v_mul_f32_e32 v1, 0x4f7ffffe, v1
	s_delay_alu instid0(VALU_DEP_1) | instskip(NEXT) | instid1(VALU_DEP_1)
	v_cvt_u32_f32_e32 v1, v1
	v_readfirstlane_b32 s6, v1
	s_delay_alu instid0(VALU_DEP_1) | instskip(NEXT) | instid1(SALU_CYCLE_1)
	s_mul_i32 s5, s5, s6
	s_mul_hi_u32 s8, s6, s5
	s_abs_i32 s5, s28
	s_add_i32 s6, s6, s8
	s_waitcnt lgkmcnt(0)
	s_cmp_eq_u64 s[2:3], 0
	s_mul_hi_u32 s6, s5, s6
	s_cbranch_scc1 .LBB292_3
; %bb.2:
	s_ashr_i32 s29, s28, 31
	s_delay_alu instid0(SALU_CYCLE_1) | instskip(NEXT) | instid1(SALU_CYCLE_1)
	s_lshl_b64 s[8:9], s[28:29], 2
	s_add_u32 s2, s2, s8
	s_addc_u32 s3, s3, s9
	s_load_b32 s41, s[2:3], 0x0
.LBB292_3:
	s_load_b128 s[8:11], s[0:1], 0x58
	v_and_b32_e32 v3, 3, v0
	s_ashr_i32 s2, s28, 31
	s_ashr_i32 s3, s7, 31
	s_mul_i32 s24, s28, 0x60
	s_mov_b32 s7, exec_lo
	v_cmpx_gt_u32_e32 48, v0
	s_cbranch_execz .LBB292_5
; %bb.4:
	s_load_b64 s[16:17], s[0:1], 0x18
	s_waitcnt lgkmcnt(0)
	s_mul_i32 s18, s14, s8
	v_lshlrev_b32_e32 v1, 2, v0
	s_ashr_i32 s19, s18, 31
	v_and_b32_e32 v2, 0x3fc, v0
	s_lshl_b64 s[18:19], s[18:19], 1
	s_delay_alu instid0(VALU_DEP_1) | instskip(SKIP_3) | instid1(SALU_CYCLE_1)
	v_mad_u32_u24 v2, v3, 48, v2
	s_add_u32 s8, s16, s18
	s_addc_u32 s11, s17, s19
	s_ashr_i32 s25, s24, 31
	s_lshl_b64 s[16:17], s[24:25], 1
	s_delay_alu instid0(SALU_CYCLE_1)
	s_add_u32 s16, s8, s16
	s_addc_u32 s17, s11, s17
	global_load_b32 v1, v1, s[16:17]
	s_waitcnt vmcnt(0)
	ds_store_b32 v2, v1
.LBB292_5:
	s_or_b32 exec_lo, exec_lo, s7
	s_load_b128 s[16:19], s[0:1], 0x78
	s_mul_i32 s7, s6, s4
	s_xor_b32 s2, s2, s3
	s_sub_i32 s3, s5, s7
	s_add_i32 s5, s6, 1
	s_sub_i32 s7, s3, s4
	s_cmp_ge_u32 s3, s4
	s_waitcnt lgkmcnt(0)
	s_cselect_b32 s5, s5, s6
	s_cselect_b32 s3, s7, s3
	s_add_i32 s6, s5, 1
	s_cmp_ge_u32 s3, s4
	s_load_b32 s4, s[0:1], 0x88
	s_cselect_b32 s3, s6, s5
	s_add_i32 s5, s15, -1
	s_xor_b32 s3, s3, s2
	s_abs_i32 s34, s5
	s_sub_i32 s3, s3, s2
	s_mov_b32 s6, -1
	s_waitcnt lgkmcnt(0)
	s_barrier
	s_abs_i32 s11, s19
	buffer_gl0_inv
	v_cvt_f32_u32_e32 v1, s11
	s_sub_i32 s2, 0, s11
                                        ; implicit-def: $sgpr29
	s_delay_alu instid0(VALU_DEP_1) | instskip(SKIP_2) | instid1(VALU_DEP_1)
	v_rcp_iflag_f32_e32 v1, v1
	s_waitcnt_depctr 0xfff
	v_mul_f32_e32 v1, 0x4f7ffffe, v1
	v_cvt_u32_f32_e32 v1, v1
	s_delay_alu instid0(VALU_DEP_1) | instskip(NEXT) | instid1(VALU_DEP_1)
	v_readfirstlane_b32 s25, v1
	s_mul_i32 s2, s2, s25
	s_delay_alu instid0(SALU_CYCLE_1) | instskip(NEXT) | instid1(SALU_CYCLE_1)
	s_mul_hi_u32 s2, s25, s2
	s_add_i32 s25, s25, s2
	s_cmp_lt_i32 s4, 0
	s_mul_hi_u32 s2, s34, s25
	s_cbranch_scc0 .LBB292_7
; %bb.6:
	s_mul_i32 s6, s16, s38
	s_delay_alu instid0(SALU_CYCLE_1) | instskip(NEXT) | instid1(SALU_CYCLE_1)
	s_add_i32 s6, s3, s6
	s_mul_i32 s6, s6, s4
	s_delay_alu instid0(SALU_CYCLE_1)
	s_sub_i32 s29, 1, s6
	s_mov_b32 s6, 0
.LBB292_7:
	s_load_b64 s[30:31], s[0:1], 0x38
	s_ashr_i32 s35, s5, 31
	s_and_not1_b32 vcc_lo, exec_lo, s6
	s_ashr_i32 s19, s19, 31
	s_cbranch_vccnz .LBB292_9
; %bb.8:
	s_mul_i32 s5, s13, s16
	s_delay_alu instid0(SALU_CYCLE_1) | instskip(NEXT) | instid1(SALU_CYCLE_1)
	s_add_i32 s5, s5, s28
	s_mul_i32 s4, s5, s4
	s_delay_alu instid0(SALU_CYCLE_1)
	s_add_i32 s29, s4, 1
.LBB292_9:
	s_clause 0x5
	s_load_b32 s16, s[0:1], 0x48
	s_load_b64 s[36:37], s[0:1], 0x28
	s_load_b128 s[20:23], s[0:1], 0x0
	s_load_b64 s[26:27], s[0:1], 0x10
	s_load_b32 s8, s[0:1], 0x98
	s_load_b128 s[4:7], s[0:1], 0x68
	s_xor_b32 s40, s35, s19
	s_mul_i32 s35, s2, s11
	s_add_i32 s38, s2, 1
	s_sub_i32 s42, s34, s35
	v_lshrrev_b32_e32 v12, 5, v0
	v_mov_b32_e32 v14, 0xff7fffff
	v_mbcnt_lo_u32_b32 v11, -1, 0
	s_mul_i32 s10, s3, s10
	s_delay_alu instid0(VALU_DEP_3)
	v_lshl_add_u32 v13, v12, 3, s33
	s_waitcnt lgkmcnt(0)
	s_mul_i32 s34, s14, s16
	s_sub_i32 s16, s42, s11
	s_ashr_i32 s35, s34, 31
	s_cmp_ge_u32 s42, s11
	s_cselect_b32 s2, s38, s2
	s_cselect_b32 s16, s16, s42
	s_add_i32 s38, s2, 1
	s_cmp_ge_u32 s16, s11
	s_cselect_b32 s2, s38, s2
	s_add_i32 s16, s15, 7
	s_lshl_b32 s42, s12, 6
	s_ashr_i32 s38, s16, 31
	v_or_b32_e32 v1, s42, v12
	s_lshr_b32 s38, s38, 29
	s_add_i32 s43, s42, 64
	s_add_i32 s16, s16, s38
	s_xor_b32 s44, s2, s40
	s_ashr_i32 s38, s16, 3
	v_ashrrev_i32_e32 v2, 31, v1
	s_min_i32 s16, s43, s38
	s_sub_i32 s40, s44, s40
	v_cmp_gt_i32_e64 s2, s16, v1
	s_delay_alu instid0(VALU_DEP_1)
	s_and_saveexec_b32 s43, s2
	s_cbranch_execz .LBB292_211
; %bb.10:
	s_load_b64 s[0:1], s[0:1], 0x20
	s_sub_i32 s44, s40, s17
	s_ashr_i32 s3, s10, 31
	v_cmp_eq_u32_e32 vcc_lo, 0, v3
	v_bfe_u32 v15, v0, 2, 3
	v_dual_mov_b32 v19, 0xff7fffff :: v_dual_lshlrev_b32 v16, 1, v3
	v_mul_u32_u24_e32 v17, 48, v3
	v_lshlrev_b64 v[7:8], 2, v[1:2]
	s_delay_alu instid0(VALU_DEP_4) | instskip(SKIP_3) | instid1(VALU_DEP_3)
	v_dual_mov_b32 v23, v1 :: v_dual_lshlrev_b32 v10, 4, v15
	v_subrev_nc_u32_e32 v6, s15, v15
	v_lshl_add_u32 v18, v12, 3, s33
	v_mov_b32_e32 v14, 0xff7fffff
	v_add_nc_u32_e32 v20, 1, v6
	s_waitcnt lgkmcnt(0)
	s_add_u32 s48, s0, s10
	s_addc_u32 s1, s1, s3
	s_abs_i32 s45, s18
	s_lshl_b64 s[46:47], s[34:35], 2
	v_cvt_f32_u32_e32 v4, s45
	s_sub_i32 s3, 0, s45
	v_cmp_neq_f32_e64 s0, s41, 0
	s_delay_alu instid0(VALU_DEP_2) | instskip(SKIP_2) | instid1(VALU_DEP_1)
	v_rcp_iflag_f32_e32 v5, v4
	s_waitcnt_depctr 0xfff
	v_dual_mov_b32 v4, 0 :: v_dual_mul_f32 v5, 0x4f7ffffe, v5
	v_cvt_u32_f32_e32 v3, v5
	v_lshlrev_b32_e32 v5, 2, v15
	s_delay_alu instid0(VALU_DEP_2) | instskip(NEXT) | instid1(VALU_DEP_2)
	v_mul_lo_u32 v9, s3, v3
	v_lshl_or_b32 v5, v12, 5, v5
	s_delay_alu instid0(VALU_DEP_1) | instskip(SKIP_1) | instid1(VALU_DEP_4)
	v_add_nc_u32_e32 v21, 0xe0, v5
	v_add_co_u32 v5, s3, s48, v10
	v_mul_hi_u32 v9, v3, v9
	v_add_co_ci_u32_e64 v6, null, s1, 0, s3
	s_add_u32 s1, s30, s46
	s_addc_u32 s3, s31, s47
	v_add_co_u32 v7, s1, s1, v7
	s_delay_alu instid0(VALU_DEP_1) | instskip(NEXT) | instid1(VALU_DEP_4)
	v_add_co_ci_u32_e64 v8, s1, s3, v8, s1
	v_add_nc_u32_e32 v22, v3, v9
	s_mov_b32 s46, 0
	s_mov_b32 s47, s9
	s_branch .LBB292_13
.LBB292_11:                             ;   in Loop: Header=BB292_13 Depth=1
	s_or_b32 exec_lo, exec_lo, s48
.LBB292_12:                             ;   in Loop: Header=BB292_13 Depth=1
	s_delay_alu instid0(SALU_CYCLE_1) | instskip(SKIP_2) | instid1(VALU_DEP_1)
	s_or_b32 exec_lo, exec_lo, s3
	v_add_nc_u32_e32 v23, 4, v23
	v_add_co_u32 v7, s3, v7, 16
	v_add_co_ci_u32_e64 v8, s3, 0, v8, s3
	s_delay_alu instid0(VALU_DEP_3) | instskip(SKIP_2) | instid1(VALU_DEP_3)
	v_cmp_le_i32_e64 s1, s16, v23
	v_add_nc_u32_e32 v18, 32, v18
	v_add_nc_u32_e32 v21, 0x80, v21
	s_or_b32 s46, s1, s46
	s_delay_alu instid0(SALU_CYCLE_1)
	s_and_not1_b32 exec_lo, exec_lo, s46
	s_cbranch_execz .LBB292_210
.LBB292_13:                             ; =>This Inner Loop Header: Depth=1
	v_sub_nc_u32_e32 v3, 0, v18
	s_delay_alu instid0(VALU_DEP_1) | instskip(SKIP_1) | instid1(VALU_DEP_1)
	v_max_i32_e32 v3, v18, v3
	s_waitcnt lgkmcnt(0)
	v_mul_hi_u32 v9, v3, s25
	s_delay_alu instid0(VALU_DEP_1) | instskip(NEXT) | instid1(VALU_DEP_1)
	v_mul_lo_u32 v10, v9, s11
	v_sub_nc_u32_e32 v3, v3, v10
	v_add_nc_u32_e32 v10, 1, v9
	s_delay_alu instid0(VALU_DEP_2) | instskip(SKIP_1) | instid1(VALU_DEP_1)
	v_subrev_nc_u32_e32 v24, s11, v3
	v_cmp_le_u32_e64 s1, s11, v3
	v_cndmask_b32_e64 v9, v9, v10, s1
	s_delay_alu instid0(VALU_DEP_3) | instskip(SKIP_1) | instid1(VALU_DEP_3)
	v_cndmask_b32_e64 v3, v3, v24, s1
	v_ashrrev_i32_e32 v10, 31, v18
	v_add_nc_u32_e32 v24, 1, v9
	s_delay_alu instid0(VALU_DEP_3) | instskip(NEXT) | instid1(VALU_DEP_3)
	v_cmp_le_u32_e64 s1, s11, v3
	v_xor_b32_e32 v10, s19, v10
	s_delay_alu instid0(VALU_DEP_2) | instskip(NEXT) | instid1(VALU_DEP_1)
	v_cndmask_b32_e64 v3, v9, v24, s1
	v_xor_b32_e32 v3, v3, v10
	s_delay_alu instid0(VALU_DEP_1) | instskip(NEXT) | instid1(VALU_DEP_1)
	v_sub_nc_u32_e32 v3, v3, v10
	v_add_nc_u32_e32 v9, s29, v3
	v_cmp_ge_i32_e64 s3, s44, v3
	s_delay_alu instid0(VALU_DEP_2) | instskip(NEXT) | instid1(VALU_DEP_1)
	v_sub_nc_u32_e32 v10, 0, v9
	v_max_i32_e32 v10, v9, v10
	v_ashrrev_i32_e32 v9, 31, v9
	s_delay_alu instid0(VALU_DEP_2) | instskip(NEXT) | instid1(VALU_DEP_1)
	v_mul_hi_u32 v24, v10, v22
	v_mul_lo_u32 v24, v24, s45
	s_delay_alu instid0(VALU_DEP_1) | instskip(NEXT) | instid1(VALU_DEP_1)
	v_sub_nc_u32_e32 v10, v10, v24
	v_subrev_nc_u32_e32 v24, s45, v10
	v_cmp_le_u32_e64 s1, s45, v10
	s_delay_alu instid0(VALU_DEP_1) | instskip(NEXT) | instid1(VALU_DEP_1)
	v_cndmask_b32_e64 v10, v10, v24, s1
	v_subrev_nc_u32_e32 v24, s45, v10
	v_cmp_le_u32_e64 s1, s45, v10
	s_delay_alu instid0(VALU_DEP_1) | instskip(NEXT) | instid1(VALU_DEP_1)
	v_cndmask_b32_e64 v10, v10, v24, s1
	v_xor_b32_e32 v10, v10, v9
	s_delay_alu instid0(VALU_DEP_1) | instskip(NEXT) | instid1(VALU_DEP_1)
	v_sub_nc_u32_e32 v9, v10, v9
	v_cmp_ne_u32_e64 s1, 0, v9
	s_delay_alu instid0(VALU_DEP_1) | instskip(NEXT) | instid1(SALU_CYCLE_1)
	s_and_b32 s1, s1, s3
	s_and_b32 s48, vcc_lo, s1
	s_delay_alu instid0(SALU_CYCLE_1)
	s_and_saveexec_b32 s3, s48
	s_cbranch_execz .LBB292_15
; %bb.14:                               ;   in Loop: Header=BB292_13 Depth=1
	ds_store_b32 v21, v19
.LBB292_15:                             ;   in Loop: Header=BB292_13 Depth=1
	s_or_b32 exec_lo, exec_lo, s3
	s_xor_b32 s1, s1, -1
	s_delay_alu instid0(SALU_CYCLE_1)
	s_and_saveexec_b32 s3, s1
	s_cbranch_execz .LBB292_12
; %bb.16:                               ;   in Loop: Header=BB292_13 Depth=1
	global_load_b32 v3, v[7:8], off
	v_mov_b32_e32 v25, 0
	s_waitcnt vmcnt(0)
	v_mad_i64_i32 v[9:10], null, v3, s47, v[5:6]
	s_delay_alu instid0(VALU_DEP_1) | instskip(NEXT) | instid1(VALU_DEP_1)
	v_add_co_u32 v9, s1, v9, v16
	v_add_co_ci_u32_e64 v10, s1, 0, v10, s1
	global_load_u16 v3, v[9:10], off
	global_load_b32 v24, v4, s[4:5]
	s_waitcnt vmcnt(1)
	v_and_b32_e32 v26, 0xff, v3
	v_and_b32_e32 v27, 0xffff, v3
	s_delay_alu instid0(VALU_DEP_2) | instskip(SKIP_1) | instid1(VALU_DEP_2)
	v_cmp_ne_u16_e64 s1, 0, v26
	v_mov_b32_e32 v26, 0
	s_and_saveexec_b32 s48, s1
	s_cbranch_execz .LBB292_24
; %bb.17:                               ;   in Loop: Header=BB292_13 Depth=1
	v_and_b32_e32 v3, 0xff, v27
	v_bfrev_b32_e32 v26, 1
	s_mov_b32 s49, exec_lo
	s_delay_alu instid0(VALU_DEP_2)
	v_cmpx_ne_u16_e32 0x80, v3
	s_cbranch_execz .LBB292_23
; %bb.18:                               ;   in Loop: Header=BB292_13 Depth=1
	v_and_b32_e32 v28, 0x7f, v27
	v_mov_b32_e32 v26, 0x7fc02000
	s_mov_b32 s50, exec_lo
	s_delay_alu instid0(VALU_DEP_2)
	v_cmpx_ne_u32_e32 0x7f, v28
	s_cbranch_execz .LBB292_22
; %bb.19:                               ;   in Loop: Header=BB292_13 Depth=1
	v_and_b32_e32 v3, 7, v27
	v_lshrrev_b32_e32 v26, 3, v28
	s_mov_b32 s51, exec_lo
	v_cmpx_gt_u32_e32 8, v28
; %bb.20:                               ;   in Loop: Header=BB292_13 Depth=1
	s_delay_alu instid0(VALU_DEP_3) | instskip(NEXT) | instid1(VALU_DEP_1)
	v_clz_i32_u32_e32 v26, v3
	v_min_u32_e32 v26, 32, v26
	s_delay_alu instid0(VALU_DEP_1) | instskip(SKIP_1) | instid1(VALU_DEP_2)
	v_subrev_nc_u32_e32 v28, 28, v26
	v_sub_nc_u32_e32 v26, 29, v26
	v_lshlrev_b64 v[28:29], v28, v[3:4]
	s_delay_alu instid0(VALU_DEP_1)
	v_and_b32_e32 v3, 7, v28
; %bb.21:                               ;   in Loop: Header=BB292_13 Depth=1
	s_or_b32 exec_lo, exec_lo, s51
	v_lshlrev_b32_e32 v28, 8, v27
	v_lshl_add_u32 v26, v26, 10, 0x2000
	s_delay_alu instid0(VALU_DEP_1) | instskip(NEXT) | instid1(VALU_DEP_1)
	v_and_or_b32 v26, 0x8000, v28, v26
	v_lshl_or_b32 v3, v3, 7, v26
	s_delay_alu instid0(VALU_DEP_1)
	v_cvt_f32_f16_e32 v26, v3
.LBB292_22:                             ;   in Loop: Header=BB292_13 Depth=1
	s_or_b32 exec_lo, exec_lo, s50
.LBB292_23:                             ;   in Loop: Header=BB292_13 Depth=1
	s_delay_alu instid0(SALU_CYCLE_1)
	s_or_b32 exec_lo, exec_lo, s49
.LBB292_24:                             ;   in Loop: Header=BB292_13 Depth=1
	s_delay_alu instid0(SALU_CYCLE_1) | instskip(SKIP_2) | instid1(VALU_DEP_1)
	s_or_b32 exec_lo, exec_lo, s48
	v_lshrrev_b16 v3, 8, v27
	s_mov_b32 s48, exec_lo
	v_cmpx_ne_u16_e32 0, v3
	s_cbranch_execz .LBB292_32
; %bb.25:                               ;   in Loop: Header=BB292_13 Depth=1
	v_bfrev_b32_e32 v25, 1
	s_mov_b32 s49, exec_lo
	v_cmpx_ne_u16_e32 0x80, v3
	s_cbranch_execz .LBB292_31
; %bb.26:                               ;   in Loop: Header=BB292_13 Depth=1
	v_and_b32_e32 v27, 0xffff, v3
	v_mov_b32_e32 v25, 0x7fc02000
	s_mov_b32 s50, exec_lo
	s_delay_alu instid0(VALU_DEP_2) | instskip(NEXT) | instid1(VALU_DEP_1)
	v_and_b32_e32 v28, 0x7f, v27
	v_cmpx_ne_u32_e32 0x7f, v28
	s_cbranch_execz .LBB292_30
; %bb.27:                               ;   in Loop: Header=BB292_13 Depth=1
	v_and_b32_e32 v3, 7, v27
	v_lshrrev_b32_e32 v25, 3, v28
	s_mov_b32 s51, exec_lo
	v_cmpx_gt_u32_e32 8, v28
; %bb.28:                               ;   in Loop: Header=BB292_13 Depth=1
	s_delay_alu instid0(VALU_DEP_3) | instskip(NEXT) | instid1(VALU_DEP_1)
	v_clz_i32_u32_e32 v25, v3
	v_min_u32_e32 v25, 32, v25
	s_delay_alu instid0(VALU_DEP_1) | instskip(SKIP_1) | instid1(VALU_DEP_2)
	v_subrev_nc_u32_e32 v28, 28, v25
	v_sub_nc_u32_e32 v25, 29, v25
	v_lshlrev_b64 v[28:29], v28, v[3:4]
	s_delay_alu instid0(VALU_DEP_1)
	v_and_b32_e32 v3, 7, v28
; %bb.29:                               ;   in Loop: Header=BB292_13 Depth=1
	s_or_b32 exec_lo, exec_lo, s51
	v_lshlrev_b32_e32 v27, 8, v27
	v_lshl_add_u32 v25, v25, 10, 0x2000
	s_delay_alu instid0(VALU_DEP_1) | instskip(NEXT) | instid1(VALU_DEP_1)
	v_and_or_b32 v25, 0x8000, v27, v25
	v_lshl_or_b32 v3, v3, 7, v25
	s_delay_alu instid0(VALU_DEP_1)
	v_cvt_f32_f16_e32 v25, v3
.LBB292_30:                             ;   in Loop: Header=BB292_13 Depth=1
	s_or_b32 exec_lo, exec_lo, s50
.LBB292_31:                             ;   in Loop: Header=BB292_13 Depth=1
	s_delay_alu instid0(SALU_CYCLE_1)
	s_or_b32 exec_lo, exec_lo, s49
.LBB292_32:                             ;   in Loop: Header=BB292_13 Depth=1
	s_delay_alu instid0(SALU_CYCLE_1) | instskip(SKIP_4) | instid1(VALU_DEP_2)
	s_or_b32 exec_lo, exec_lo, s48
	global_load_u16 v3, v[9:10], off offset:8
	s_waitcnt vmcnt(0)
	v_dual_mov_b32 v27, 0 :: v_dual_and_b32 v28, 0xff, v3
	v_and_b32_e32 v29, 0xffff, v3
	v_cmp_ne_u16_e64 s1, 0, v28
	v_mov_b32_e32 v28, 0
	s_delay_alu instid0(VALU_DEP_2)
	s_and_saveexec_b32 s48, s1
	s_cbranch_execz .LBB292_40
; %bb.33:                               ;   in Loop: Header=BB292_13 Depth=1
	v_and_b32_e32 v3, 0xff, v29
	v_bfrev_b32_e32 v28, 1
	s_mov_b32 s49, exec_lo
	s_delay_alu instid0(VALU_DEP_2)
	v_cmpx_ne_u16_e32 0x80, v3
	s_cbranch_execz .LBB292_39
; %bb.34:                               ;   in Loop: Header=BB292_13 Depth=1
	v_and_b32_e32 v30, 0x7f, v29
	v_mov_b32_e32 v28, 0x7fc02000
	s_mov_b32 s50, exec_lo
	s_delay_alu instid0(VALU_DEP_2)
	v_cmpx_ne_u32_e32 0x7f, v30
	s_cbranch_execz .LBB292_38
; %bb.35:                               ;   in Loop: Header=BB292_13 Depth=1
	v_and_b32_e32 v3, 7, v29
	v_lshrrev_b32_e32 v28, 3, v30
	s_mov_b32 s51, exec_lo
	v_cmpx_gt_u32_e32 8, v30
; %bb.36:                               ;   in Loop: Header=BB292_13 Depth=1
	s_delay_alu instid0(VALU_DEP_3) | instskip(NEXT) | instid1(VALU_DEP_1)
	v_clz_i32_u32_e32 v28, v3
	v_min_u32_e32 v28, 32, v28
	s_delay_alu instid0(VALU_DEP_1) | instskip(SKIP_1) | instid1(VALU_DEP_2)
	v_subrev_nc_u32_e32 v30, 28, v28
	v_sub_nc_u32_e32 v28, 29, v28
	v_lshlrev_b64 v[30:31], v30, v[3:4]
	s_delay_alu instid0(VALU_DEP_1)
	v_and_b32_e32 v3, 7, v30
; %bb.37:                               ;   in Loop: Header=BB292_13 Depth=1
	s_or_b32 exec_lo, exec_lo, s51
	v_lshlrev_b32_e32 v30, 8, v29
	v_lshl_add_u32 v28, v28, 10, 0x2000
	s_delay_alu instid0(VALU_DEP_1) | instskip(NEXT) | instid1(VALU_DEP_1)
	v_and_or_b32 v28, 0x8000, v30, v28
	v_lshl_or_b32 v3, v3, 7, v28
	s_delay_alu instid0(VALU_DEP_1)
	v_cvt_f32_f16_e32 v28, v3
.LBB292_38:                             ;   in Loop: Header=BB292_13 Depth=1
	s_or_b32 exec_lo, exec_lo, s50
.LBB292_39:                             ;   in Loop: Header=BB292_13 Depth=1
	s_delay_alu instid0(SALU_CYCLE_1)
	s_or_b32 exec_lo, exec_lo, s49
.LBB292_40:                             ;   in Loop: Header=BB292_13 Depth=1
	s_delay_alu instid0(SALU_CYCLE_1) | instskip(SKIP_2) | instid1(VALU_DEP_1)
	s_or_b32 exec_lo, exec_lo, s48
	v_lshrrev_b16 v3, 8, v29
	s_mov_b32 s48, exec_lo
	v_cmpx_ne_u16_e32 0, v3
	s_cbranch_execz .LBB292_48
; %bb.41:                               ;   in Loop: Header=BB292_13 Depth=1
	v_bfrev_b32_e32 v27, 1
	s_mov_b32 s49, exec_lo
	v_cmpx_ne_u16_e32 0x80, v3
	s_cbranch_execz .LBB292_47
; %bb.42:                               ;   in Loop: Header=BB292_13 Depth=1
	v_and_b32_e32 v29, 0xffff, v3
	v_mov_b32_e32 v27, 0x7fc02000
	s_mov_b32 s50, exec_lo
	s_delay_alu instid0(VALU_DEP_2) | instskip(NEXT) | instid1(VALU_DEP_1)
	v_and_b32_e32 v30, 0x7f, v29
	v_cmpx_ne_u32_e32 0x7f, v30
	s_cbranch_execz .LBB292_46
; %bb.43:                               ;   in Loop: Header=BB292_13 Depth=1
	v_and_b32_e32 v3, 7, v29
	v_lshrrev_b32_e32 v27, 3, v30
	s_mov_b32 s51, exec_lo
	v_cmpx_gt_u32_e32 8, v30
; %bb.44:                               ;   in Loop: Header=BB292_13 Depth=1
	s_delay_alu instid0(VALU_DEP_3) | instskip(NEXT) | instid1(VALU_DEP_1)
	v_clz_i32_u32_e32 v27, v3
	v_min_u32_e32 v27, 32, v27
	s_delay_alu instid0(VALU_DEP_1) | instskip(SKIP_1) | instid1(VALU_DEP_2)
	v_subrev_nc_u32_e32 v30, 28, v27
	v_sub_nc_u32_e32 v27, 29, v27
	v_lshlrev_b64 v[30:31], v30, v[3:4]
	s_delay_alu instid0(VALU_DEP_1)
	v_and_b32_e32 v3, 7, v30
; %bb.45:                               ;   in Loop: Header=BB292_13 Depth=1
	s_or_b32 exec_lo, exec_lo, s51
	v_lshlrev_b32_e32 v29, 8, v29
	v_lshl_add_u32 v27, v27, 10, 0x2000
	s_delay_alu instid0(VALU_DEP_1) | instskip(NEXT) | instid1(VALU_DEP_1)
	v_and_or_b32 v27, 0x8000, v29, v27
	v_lshl_or_b32 v3, v3, 7, v27
	s_delay_alu instid0(VALU_DEP_1)
	v_cvt_f32_f16_e32 v27, v3
.LBB292_46:                             ;   in Loop: Header=BB292_13 Depth=1
	s_or_b32 exec_lo, exec_lo, s50
.LBB292_47:                             ;   in Loop: Header=BB292_13 Depth=1
	s_delay_alu instid0(SALU_CYCLE_1)
	s_or_b32 exec_lo, exec_lo, s49
.LBB292_48:                             ;   in Loop: Header=BB292_13 Depth=1
	s_delay_alu instid0(SALU_CYCLE_1) | instskip(SKIP_4) | instid1(VALU_DEP_2)
	s_or_b32 exec_lo, exec_lo, s48
	global_load_u16 v3, v[9:10], off offset:128
	s_waitcnt vmcnt(0)
	v_dual_mov_b32 v29, 0 :: v_dual_and_b32 v30, 0xff, v3
	v_and_b32_e32 v31, 0xffff, v3
	v_cmp_ne_u16_e64 s1, 0, v30
	v_mov_b32_e32 v30, 0
	s_delay_alu instid0(VALU_DEP_2)
	s_and_saveexec_b32 s48, s1
	s_cbranch_execz .LBB292_56
; %bb.49:                               ;   in Loop: Header=BB292_13 Depth=1
	v_and_b32_e32 v3, 0xff, v31
	v_bfrev_b32_e32 v30, 1
	s_mov_b32 s49, exec_lo
	s_delay_alu instid0(VALU_DEP_2)
	v_cmpx_ne_u16_e32 0x80, v3
	s_cbranch_execz .LBB292_55
; %bb.50:                               ;   in Loop: Header=BB292_13 Depth=1
	v_and_b32_e32 v32, 0x7f, v31
	v_mov_b32_e32 v30, 0x7fc02000
	s_mov_b32 s50, exec_lo
	s_delay_alu instid0(VALU_DEP_2)
	v_cmpx_ne_u32_e32 0x7f, v32
	s_cbranch_execz .LBB292_54
; %bb.51:                               ;   in Loop: Header=BB292_13 Depth=1
	v_and_b32_e32 v3, 7, v31
	v_lshrrev_b32_e32 v30, 3, v32
	s_mov_b32 s51, exec_lo
	v_cmpx_gt_u32_e32 8, v32
; %bb.52:                               ;   in Loop: Header=BB292_13 Depth=1
	s_delay_alu instid0(VALU_DEP_3) | instskip(NEXT) | instid1(VALU_DEP_1)
	v_clz_i32_u32_e32 v30, v3
	v_min_u32_e32 v30, 32, v30
	s_delay_alu instid0(VALU_DEP_1) | instskip(SKIP_1) | instid1(VALU_DEP_2)
	v_subrev_nc_u32_e32 v32, 28, v30
	v_sub_nc_u32_e32 v30, 29, v30
	v_lshlrev_b64 v[32:33], v32, v[3:4]
	s_delay_alu instid0(VALU_DEP_1)
	v_and_b32_e32 v3, 7, v32
; %bb.53:                               ;   in Loop: Header=BB292_13 Depth=1
	s_or_b32 exec_lo, exec_lo, s51
	v_lshlrev_b32_e32 v32, 8, v31
	v_lshl_add_u32 v30, v30, 10, 0x2000
	s_delay_alu instid0(VALU_DEP_1) | instskip(NEXT) | instid1(VALU_DEP_1)
	v_and_or_b32 v30, 0x8000, v32, v30
	v_lshl_or_b32 v3, v3, 7, v30
	s_delay_alu instid0(VALU_DEP_1)
	v_cvt_f32_f16_e32 v30, v3
.LBB292_54:                             ;   in Loop: Header=BB292_13 Depth=1
	s_or_b32 exec_lo, exec_lo, s50
.LBB292_55:                             ;   in Loop: Header=BB292_13 Depth=1
	s_delay_alu instid0(SALU_CYCLE_1)
	s_or_b32 exec_lo, exec_lo, s49
.LBB292_56:                             ;   in Loop: Header=BB292_13 Depth=1
	s_delay_alu instid0(SALU_CYCLE_1) | instskip(SKIP_2) | instid1(VALU_DEP_1)
	s_or_b32 exec_lo, exec_lo, s48
	v_lshrrev_b16 v3, 8, v31
	s_mov_b32 s48, exec_lo
	v_cmpx_ne_u16_e32 0, v3
	s_cbranch_execz .LBB292_64
; %bb.57:                               ;   in Loop: Header=BB292_13 Depth=1
	v_bfrev_b32_e32 v29, 1
	s_mov_b32 s49, exec_lo
	v_cmpx_ne_u16_e32 0x80, v3
	s_cbranch_execz .LBB292_63
; %bb.58:                               ;   in Loop: Header=BB292_13 Depth=1
	v_and_b32_e32 v31, 0xffff, v3
	v_mov_b32_e32 v29, 0x7fc02000
	s_mov_b32 s50, exec_lo
	s_delay_alu instid0(VALU_DEP_2) | instskip(NEXT) | instid1(VALU_DEP_1)
	v_and_b32_e32 v32, 0x7f, v31
	v_cmpx_ne_u32_e32 0x7f, v32
	s_cbranch_execz .LBB292_62
; %bb.59:                               ;   in Loop: Header=BB292_13 Depth=1
	v_and_b32_e32 v3, 7, v31
	v_lshrrev_b32_e32 v29, 3, v32
	s_mov_b32 s51, exec_lo
	v_cmpx_gt_u32_e32 8, v32
; %bb.60:                               ;   in Loop: Header=BB292_13 Depth=1
	s_delay_alu instid0(VALU_DEP_3) | instskip(NEXT) | instid1(VALU_DEP_1)
	v_clz_i32_u32_e32 v29, v3
	v_min_u32_e32 v29, 32, v29
	s_delay_alu instid0(VALU_DEP_1) | instskip(SKIP_1) | instid1(VALU_DEP_2)
	v_subrev_nc_u32_e32 v32, 28, v29
	v_sub_nc_u32_e32 v29, 29, v29
	v_lshlrev_b64 v[32:33], v32, v[3:4]
	s_delay_alu instid0(VALU_DEP_1)
	v_and_b32_e32 v3, 7, v32
; %bb.61:                               ;   in Loop: Header=BB292_13 Depth=1
	s_or_b32 exec_lo, exec_lo, s51
	v_lshlrev_b32_e32 v31, 8, v31
	v_lshl_add_u32 v29, v29, 10, 0x2000
	s_delay_alu instid0(VALU_DEP_1) | instskip(NEXT) | instid1(VALU_DEP_1)
	v_and_or_b32 v29, 0x8000, v31, v29
	v_lshl_or_b32 v3, v3, 7, v29
	s_delay_alu instid0(VALU_DEP_1)
	v_cvt_f32_f16_e32 v29, v3
.LBB292_62:                             ;   in Loop: Header=BB292_13 Depth=1
	s_or_b32 exec_lo, exec_lo, s50
.LBB292_63:                             ;   in Loop: Header=BB292_13 Depth=1
	s_delay_alu instid0(SALU_CYCLE_1)
	s_or_b32 exec_lo, exec_lo, s49
.LBB292_64:                             ;   in Loop: Header=BB292_13 Depth=1
	s_delay_alu instid0(SALU_CYCLE_1) | instskip(SKIP_4) | instid1(VALU_DEP_2)
	s_or_b32 exec_lo, exec_lo, s48
	global_load_u16 v3, v[9:10], off offset:136
	s_waitcnt vmcnt(0)
	v_dual_mov_b32 v31, 0 :: v_dual_and_b32 v32, 0xff, v3
	v_and_b32_e32 v33, 0xffff, v3
	v_cmp_ne_u16_e64 s1, 0, v32
	v_mov_b32_e32 v32, 0
	s_delay_alu instid0(VALU_DEP_2)
	s_and_saveexec_b32 s48, s1
	s_cbranch_execz .LBB292_72
; %bb.65:                               ;   in Loop: Header=BB292_13 Depth=1
	v_and_b32_e32 v3, 0xff, v33
	v_bfrev_b32_e32 v32, 1
	s_mov_b32 s49, exec_lo
	s_delay_alu instid0(VALU_DEP_2)
	v_cmpx_ne_u16_e32 0x80, v3
	s_cbranch_execz .LBB292_71
; %bb.66:                               ;   in Loop: Header=BB292_13 Depth=1
	v_and_b32_e32 v34, 0x7f, v33
	v_mov_b32_e32 v32, 0x7fc02000
	s_mov_b32 s50, exec_lo
	s_delay_alu instid0(VALU_DEP_2)
	v_cmpx_ne_u32_e32 0x7f, v34
	s_cbranch_execz .LBB292_70
; %bb.67:                               ;   in Loop: Header=BB292_13 Depth=1
	v_and_b32_e32 v3, 7, v33
	v_lshrrev_b32_e32 v32, 3, v34
	s_mov_b32 s51, exec_lo
	v_cmpx_gt_u32_e32 8, v34
; %bb.68:                               ;   in Loop: Header=BB292_13 Depth=1
	s_delay_alu instid0(VALU_DEP_3) | instskip(NEXT) | instid1(VALU_DEP_1)
	v_clz_i32_u32_e32 v32, v3
	v_min_u32_e32 v32, 32, v32
	s_delay_alu instid0(VALU_DEP_1) | instskip(SKIP_1) | instid1(VALU_DEP_2)
	v_subrev_nc_u32_e32 v34, 28, v32
	v_sub_nc_u32_e32 v32, 29, v32
	v_lshlrev_b64 v[34:35], v34, v[3:4]
	s_delay_alu instid0(VALU_DEP_1)
	v_and_b32_e32 v3, 7, v34
; %bb.69:                               ;   in Loop: Header=BB292_13 Depth=1
	s_or_b32 exec_lo, exec_lo, s51
	v_lshlrev_b32_e32 v34, 8, v33
	v_lshl_add_u32 v32, v32, 10, 0x2000
	s_delay_alu instid0(VALU_DEP_1) | instskip(NEXT) | instid1(VALU_DEP_1)
	v_and_or_b32 v32, 0x8000, v34, v32
	v_lshl_or_b32 v3, v3, 7, v32
	s_delay_alu instid0(VALU_DEP_1)
	v_cvt_f32_f16_e32 v32, v3
.LBB292_70:                             ;   in Loop: Header=BB292_13 Depth=1
	s_or_b32 exec_lo, exec_lo, s50
.LBB292_71:                             ;   in Loop: Header=BB292_13 Depth=1
	s_delay_alu instid0(SALU_CYCLE_1)
	s_or_b32 exec_lo, exec_lo, s49
.LBB292_72:                             ;   in Loop: Header=BB292_13 Depth=1
	s_delay_alu instid0(SALU_CYCLE_1) | instskip(SKIP_2) | instid1(VALU_DEP_1)
	s_or_b32 exec_lo, exec_lo, s48
	v_lshrrev_b16 v3, 8, v33
	s_mov_b32 s48, exec_lo
	v_cmpx_ne_u16_e32 0, v3
	s_cbranch_execz .LBB292_80
; %bb.73:                               ;   in Loop: Header=BB292_13 Depth=1
	v_bfrev_b32_e32 v31, 1
	s_mov_b32 s49, exec_lo
	v_cmpx_ne_u16_e32 0x80, v3
	s_cbranch_execz .LBB292_79
; %bb.74:                               ;   in Loop: Header=BB292_13 Depth=1
	v_and_b32_e32 v33, 0xffff, v3
	v_mov_b32_e32 v31, 0x7fc02000
	s_mov_b32 s50, exec_lo
	s_delay_alu instid0(VALU_DEP_2) | instskip(NEXT) | instid1(VALU_DEP_1)
	v_and_b32_e32 v34, 0x7f, v33
	v_cmpx_ne_u32_e32 0x7f, v34
	s_cbranch_execz .LBB292_78
; %bb.75:                               ;   in Loop: Header=BB292_13 Depth=1
	v_and_b32_e32 v3, 7, v33
	v_lshrrev_b32_e32 v31, 3, v34
	s_mov_b32 s51, exec_lo
	v_cmpx_gt_u32_e32 8, v34
; %bb.76:                               ;   in Loop: Header=BB292_13 Depth=1
	s_delay_alu instid0(VALU_DEP_3) | instskip(NEXT) | instid1(VALU_DEP_1)
	v_clz_i32_u32_e32 v31, v3
	v_min_u32_e32 v31, 32, v31
	s_delay_alu instid0(VALU_DEP_1) | instskip(SKIP_1) | instid1(VALU_DEP_2)
	v_subrev_nc_u32_e32 v34, 28, v31
	v_sub_nc_u32_e32 v31, 29, v31
	v_lshlrev_b64 v[34:35], v34, v[3:4]
	s_delay_alu instid0(VALU_DEP_1)
	v_and_b32_e32 v3, 7, v34
; %bb.77:                               ;   in Loop: Header=BB292_13 Depth=1
	s_or_b32 exec_lo, exec_lo, s51
	v_lshlrev_b32_e32 v33, 8, v33
	v_lshl_add_u32 v31, v31, 10, 0x2000
	s_delay_alu instid0(VALU_DEP_1) | instskip(NEXT) | instid1(VALU_DEP_1)
	v_and_or_b32 v31, 0x8000, v33, v31
	v_lshl_or_b32 v3, v3, 7, v31
	s_delay_alu instid0(VALU_DEP_1)
	v_cvt_f32_f16_e32 v31, v3
.LBB292_78:                             ;   in Loop: Header=BB292_13 Depth=1
	s_or_b32 exec_lo, exec_lo, s50
.LBB292_79:                             ;   in Loop: Header=BB292_13 Depth=1
	s_delay_alu instid0(SALU_CYCLE_1)
	s_or_b32 exec_lo, exec_lo, s49
.LBB292_80:                             ;   in Loop: Header=BB292_13 Depth=1
	s_delay_alu instid0(SALU_CYCLE_1) | instskip(SKIP_4) | instid1(VALU_DEP_2)
	s_or_b32 exec_lo, exec_lo, s48
	global_load_u16 v3, v[9:10], off offset:256
	s_waitcnt vmcnt(0)
	v_dual_mov_b32 v33, 0 :: v_dual_and_b32 v34, 0xff, v3
	v_and_b32_e32 v35, 0xffff, v3
	v_cmp_ne_u16_e64 s1, 0, v34
	v_mov_b32_e32 v34, 0
	s_delay_alu instid0(VALU_DEP_2)
	s_and_saveexec_b32 s48, s1
	s_cbranch_execz .LBB292_88
; %bb.81:                               ;   in Loop: Header=BB292_13 Depth=1
	v_and_b32_e32 v3, 0xff, v35
	v_bfrev_b32_e32 v34, 1
	s_mov_b32 s49, exec_lo
	s_delay_alu instid0(VALU_DEP_2)
	v_cmpx_ne_u16_e32 0x80, v3
	s_cbranch_execz .LBB292_87
; %bb.82:                               ;   in Loop: Header=BB292_13 Depth=1
	v_and_b32_e32 v36, 0x7f, v35
	v_mov_b32_e32 v34, 0x7fc02000
	s_mov_b32 s50, exec_lo
	s_delay_alu instid0(VALU_DEP_2)
	v_cmpx_ne_u32_e32 0x7f, v36
	s_cbranch_execz .LBB292_86
; %bb.83:                               ;   in Loop: Header=BB292_13 Depth=1
	v_and_b32_e32 v3, 7, v35
	v_lshrrev_b32_e32 v34, 3, v36
	s_mov_b32 s51, exec_lo
	v_cmpx_gt_u32_e32 8, v36
; %bb.84:                               ;   in Loop: Header=BB292_13 Depth=1
	s_delay_alu instid0(VALU_DEP_3) | instskip(NEXT) | instid1(VALU_DEP_1)
	v_clz_i32_u32_e32 v34, v3
	v_min_u32_e32 v34, 32, v34
	s_delay_alu instid0(VALU_DEP_1) | instskip(SKIP_1) | instid1(VALU_DEP_2)
	v_subrev_nc_u32_e32 v36, 28, v34
	v_sub_nc_u32_e32 v34, 29, v34
	v_lshlrev_b64 v[36:37], v36, v[3:4]
	s_delay_alu instid0(VALU_DEP_1)
	v_and_b32_e32 v3, 7, v36
; %bb.85:                               ;   in Loop: Header=BB292_13 Depth=1
	s_or_b32 exec_lo, exec_lo, s51
	v_lshlrev_b32_e32 v36, 8, v35
	v_lshl_add_u32 v34, v34, 10, 0x2000
	s_delay_alu instid0(VALU_DEP_1) | instskip(NEXT) | instid1(VALU_DEP_1)
	v_and_or_b32 v34, 0x8000, v36, v34
	v_lshl_or_b32 v3, v3, 7, v34
	s_delay_alu instid0(VALU_DEP_1)
	v_cvt_f32_f16_e32 v34, v3
.LBB292_86:                             ;   in Loop: Header=BB292_13 Depth=1
	s_or_b32 exec_lo, exec_lo, s50
.LBB292_87:                             ;   in Loop: Header=BB292_13 Depth=1
	s_delay_alu instid0(SALU_CYCLE_1)
	s_or_b32 exec_lo, exec_lo, s49
.LBB292_88:                             ;   in Loop: Header=BB292_13 Depth=1
	s_delay_alu instid0(SALU_CYCLE_1) | instskip(SKIP_2) | instid1(VALU_DEP_1)
	s_or_b32 exec_lo, exec_lo, s48
	v_lshrrev_b16 v3, 8, v35
	s_mov_b32 s48, exec_lo
	v_cmpx_ne_u16_e32 0, v3
	s_cbranch_execz .LBB292_96
; %bb.89:                               ;   in Loop: Header=BB292_13 Depth=1
	v_bfrev_b32_e32 v33, 1
	s_mov_b32 s49, exec_lo
	v_cmpx_ne_u16_e32 0x80, v3
	s_cbranch_execz .LBB292_95
; %bb.90:                               ;   in Loop: Header=BB292_13 Depth=1
	v_and_b32_e32 v35, 0xffff, v3
	v_mov_b32_e32 v33, 0x7fc02000
	s_mov_b32 s50, exec_lo
	s_delay_alu instid0(VALU_DEP_2) | instskip(NEXT) | instid1(VALU_DEP_1)
	v_and_b32_e32 v36, 0x7f, v35
	v_cmpx_ne_u32_e32 0x7f, v36
	s_cbranch_execz .LBB292_94
; %bb.91:                               ;   in Loop: Header=BB292_13 Depth=1
	v_and_b32_e32 v3, 7, v35
	v_lshrrev_b32_e32 v33, 3, v36
	s_mov_b32 s51, exec_lo
	v_cmpx_gt_u32_e32 8, v36
; %bb.92:                               ;   in Loop: Header=BB292_13 Depth=1
	s_delay_alu instid0(VALU_DEP_3) | instskip(NEXT) | instid1(VALU_DEP_1)
	v_clz_i32_u32_e32 v33, v3
	v_min_u32_e32 v33, 32, v33
	s_delay_alu instid0(VALU_DEP_1) | instskip(SKIP_1) | instid1(VALU_DEP_2)
	v_subrev_nc_u32_e32 v36, 28, v33
	v_sub_nc_u32_e32 v33, 29, v33
	v_lshlrev_b64 v[36:37], v36, v[3:4]
	s_delay_alu instid0(VALU_DEP_1)
	v_and_b32_e32 v3, 7, v36
; %bb.93:                               ;   in Loop: Header=BB292_13 Depth=1
	s_or_b32 exec_lo, exec_lo, s51
	v_lshlrev_b32_e32 v35, 8, v35
	v_lshl_add_u32 v33, v33, 10, 0x2000
	s_delay_alu instid0(VALU_DEP_1) | instskip(NEXT) | instid1(VALU_DEP_1)
	v_and_or_b32 v33, 0x8000, v35, v33
	v_lshl_or_b32 v3, v3, 7, v33
	s_delay_alu instid0(VALU_DEP_1)
	v_cvt_f32_f16_e32 v33, v3
.LBB292_94:                             ;   in Loop: Header=BB292_13 Depth=1
	s_or_b32 exec_lo, exec_lo, s50
.LBB292_95:                             ;   in Loop: Header=BB292_13 Depth=1
	s_delay_alu instid0(SALU_CYCLE_1)
	s_or_b32 exec_lo, exec_lo, s49
.LBB292_96:                             ;   in Loop: Header=BB292_13 Depth=1
	s_delay_alu instid0(SALU_CYCLE_1) | instskip(SKIP_4) | instid1(VALU_DEP_2)
	s_or_b32 exec_lo, exec_lo, s48
	global_load_u16 v3, v[9:10], off offset:264
	s_waitcnt vmcnt(0)
	v_dual_mov_b32 v35, 0 :: v_dual_and_b32 v36, 0xff, v3
	v_and_b32_e32 v37, 0xffff, v3
	v_cmp_ne_u16_e64 s1, 0, v36
	v_mov_b32_e32 v36, 0
	s_delay_alu instid0(VALU_DEP_2)
	s_and_saveexec_b32 s48, s1
	s_cbranch_execz .LBB292_104
; %bb.97:                               ;   in Loop: Header=BB292_13 Depth=1
	v_and_b32_e32 v3, 0xff, v37
	v_bfrev_b32_e32 v36, 1
	s_mov_b32 s49, exec_lo
	s_delay_alu instid0(VALU_DEP_2)
	v_cmpx_ne_u16_e32 0x80, v3
	s_cbranch_execz .LBB292_103
; %bb.98:                               ;   in Loop: Header=BB292_13 Depth=1
	v_and_b32_e32 v38, 0x7f, v37
	v_mov_b32_e32 v36, 0x7fc02000
	s_mov_b32 s50, exec_lo
	s_delay_alu instid0(VALU_DEP_2)
	v_cmpx_ne_u32_e32 0x7f, v38
	s_cbranch_execz .LBB292_102
; %bb.99:                               ;   in Loop: Header=BB292_13 Depth=1
	v_and_b32_e32 v3, 7, v37
	v_lshrrev_b32_e32 v36, 3, v38
	s_mov_b32 s51, exec_lo
	v_cmpx_gt_u32_e32 8, v38
; %bb.100:                              ;   in Loop: Header=BB292_13 Depth=1
	s_delay_alu instid0(VALU_DEP_3) | instskip(NEXT) | instid1(VALU_DEP_1)
	v_clz_i32_u32_e32 v36, v3
	v_min_u32_e32 v36, 32, v36
	s_delay_alu instid0(VALU_DEP_1) | instskip(SKIP_1) | instid1(VALU_DEP_2)
	v_subrev_nc_u32_e32 v38, 28, v36
	v_sub_nc_u32_e32 v36, 29, v36
	v_lshlrev_b64 v[38:39], v38, v[3:4]
	s_delay_alu instid0(VALU_DEP_1)
	v_and_b32_e32 v3, 7, v38
; %bb.101:                              ;   in Loop: Header=BB292_13 Depth=1
	s_or_b32 exec_lo, exec_lo, s51
	v_lshlrev_b32_e32 v38, 8, v37
	v_lshl_add_u32 v36, v36, 10, 0x2000
	s_delay_alu instid0(VALU_DEP_1) | instskip(NEXT) | instid1(VALU_DEP_1)
	v_and_or_b32 v36, 0x8000, v38, v36
	v_lshl_or_b32 v3, v3, 7, v36
	s_delay_alu instid0(VALU_DEP_1)
	v_cvt_f32_f16_e32 v36, v3
.LBB292_102:                            ;   in Loop: Header=BB292_13 Depth=1
	s_or_b32 exec_lo, exec_lo, s50
.LBB292_103:                            ;   in Loop: Header=BB292_13 Depth=1
	s_delay_alu instid0(SALU_CYCLE_1)
	s_or_b32 exec_lo, exec_lo, s49
.LBB292_104:                            ;   in Loop: Header=BB292_13 Depth=1
	s_delay_alu instid0(SALU_CYCLE_1) | instskip(SKIP_2) | instid1(VALU_DEP_1)
	s_or_b32 exec_lo, exec_lo, s48
	v_lshrrev_b16 v3, 8, v37
	s_mov_b32 s48, exec_lo
	v_cmpx_ne_u16_e32 0, v3
	s_cbranch_execz .LBB292_112
; %bb.105:                              ;   in Loop: Header=BB292_13 Depth=1
	v_bfrev_b32_e32 v35, 1
	s_mov_b32 s49, exec_lo
	v_cmpx_ne_u16_e32 0x80, v3
	s_cbranch_execz .LBB292_111
; %bb.106:                              ;   in Loop: Header=BB292_13 Depth=1
	v_and_b32_e32 v37, 0xffff, v3
	v_mov_b32_e32 v35, 0x7fc02000
	s_mov_b32 s50, exec_lo
	s_delay_alu instid0(VALU_DEP_2) | instskip(NEXT) | instid1(VALU_DEP_1)
	v_and_b32_e32 v38, 0x7f, v37
	v_cmpx_ne_u32_e32 0x7f, v38
	s_cbranch_execz .LBB292_110
; %bb.107:                              ;   in Loop: Header=BB292_13 Depth=1
	v_and_b32_e32 v3, 7, v37
	v_lshrrev_b32_e32 v35, 3, v38
	s_mov_b32 s51, exec_lo
	v_cmpx_gt_u32_e32 8, v38
; %bb.108:                              ;   in Loop: Header=BB292_13 Depth=1
	s_delay_alu instid0(VALU_DEP_3) | instskip(NEXT) | instid1(VALU_DEP_1)
	v_clz_i32_u32_e32 v35, v3
	v_min_u32_e32 v35, 32, v35
	s_delay_alu instid0(VALU_DEP_1) | instskip(SKIP_1) | instid1(VALU_DEP_2)
	v_subrev_nc_u32_e32 v38, 28, v35
	v_sub_nc_u32_e32 v35, 29, v35
	v_lshlrev_b64 v[38:39], v38, v[3:4]
	s_delay_alu instid0(VALU_DEP_1)
	v_and_b32_e32 v3, 7, v38
; %bb.109:                              ;   in Loop: Header=BB292_13 Depth=1
	s_or_b32 exec_lo, exec_lo, s51
	v_lshlrev_b32_e32 v37, 8, v37
	v_lshl_add_u32 v35, v35, 10, 0x2000
	s_delay_alu instid0(VALU_DEP_1) | instskip(NEXT) | instid1(VALU_DEP_1)
	v_and_or_b32 v35, 0x8000, v37, v35
	v_lshl_or_b32 v3, v3, 7, v35
	s_delay_alu instid0(VALU_DEP_1)
	v_cvt_f32_f16_e32 v35, v3
.LBB292_110:                            ;   in Loop: Header=BB292_13 Depth=1
	s_or_b32 exec_lo, exec_lo, s50
.LBB292_111:                            ;   in Loop: Header=BB292_13 Depth=1
	s_delay_alu instid0(SALU_CYCLE_1)
	s_or_b32 exec_lo, exec_lo, s49
.LBB292_112:                            ;   in Loop: Header=BB292_13 Depth=1
	s_delay_alu instid0(SALU_CYCLE_1) | instskip(SKIP_4) | instid1(VALU_DEP_2)
	s_or_b32 exec_lo, exec_lo, s48
	global_load_u16 v3, v[9:10], off offset:384
	s_waitcnt vmcnt(0)
	v_dual_mov_b32 v37, 0 :: v_dual_and_b32 v38, 0xff, v3
	v_and_b32_e32 v39, 0xffff, v3
	v_cmp_ne_u16_e64 s1, 0, v38
	v_mov_b32_e32 v38, 0
	s_delay_alu instid0(VALU_DEP_2)
	s_and_saveexec_b32 s48, s1
	s_cbranch_execz .LBB292_120
; %bb.113:                              ;   in Loop: Header=BB292_13 Depth=1
	v_and_b32_e32 v3, 0xff, v39
	v_bfrev_b32_e32 v38, 1
	s_mov_b32 s49, exec_lo
	s_delay_alu instid0(VALU_DEP_2)
	v_cmpx_ne_u16_e32 0x80, v3
	s_cbranch_execz .LBB292_119
; %bb.114:                              ;   in Loop: Header=BB292_13 Depth=1
	v_and_b32_e32 v40, 0x7f, v39
	v_mov_b32_e32 v38, 0x7fc02000
	s_mov_b32 s50, exec_lo
	s_delay_alu instid0(VALU_DEP_2)
	v_cmpx_ne_u32_e32 0x7f, v40
	s_cbranch_execz .LBB292_118
; %bb.115:                              ;   in Loop: Header=BB292_13 Depth=1
	v_and_b32_e32 v3, 7, v39
	v_lshrrev_b32_e32 v38, 3, v40
	s_mov_b32 s51, exec_lo
	v_cmpx_gt_u32_e32 8, v40
; %bb.116:                              ;   in Loop: Header=BB292_13 Depth=1
	s_delay_alu instid0(VALU_DEP_3) | instskip(NEXT) | instid1(VALU_DEP_1)
	v_clz_i32_u32_e32 v38, v3
	v_min_u32_e32 v38, 32, v38
	s_delay_alu instid0(VALU_DEP_1) | instskip(SKIP_1) | instid1(VALU_DEP_2)
	v_subrev_nc_u32_e32 v40, 28, v38
	v_sub_nc_u32_e32 v38, 29, v38
	v_lshlrev_b64 v[40:41], v40, v[3:4]
	s_delay_alu instid0(VALU_DEP_1)
	v_and_b32_e32 v3, 7, v40
; %bb.117:                              ;   in Loop: Header=BB292_13 Depth=1
	s_or_b32 exec_lo, exec_lo, s51
	v_lshlrev_b32_e32 v40, 8, v39
	v_lshl_add_u32 v38, v38, 10, 0x2000
	s_delay_alu instid0(VALU_DEP_1) | instskip(NEXT) | instid1(VALU_DEP_1)
	v_and_or_b32 v38, 0x8000, v40, v38
	v_lshl_or_b32 v3, v3, 7, v38
	s_delay_alu instid0(VALU_DEP_1)
	v_cvt_f32_f16_e32 v38, v3
.LBB292_118:                            ;   in Loop: Header=BB292_13 Depth=1
	s_or_b32 exec_lo, exec_lo, s50
.LBB292_119:                            ;   in Loop: Header=BB292_13 Depth=1
	s_delay_alu instid0(SALU_CYCLE_1)
	s_or_b32 exec_lo, exec_lo, s49
.LBB292_120:                            ;   in Loop: Header=BB292_13 Depth=1
	s_delay_alu instid0(SALU_CYCLE_1) | instskip(SKIP_2) | instid1(VALU_DEP_1)
	s_or_b32 exec_lo, exec_lo, s48
	v_lshrrev_b16 v3, 8, v39
	s_mov_b32 s48, exec_lo
	v_cmpx_ne_u16_e32 0, v3
	s_cbranch_execz .LBB292_128
; %bb.121:                              ;   in Loop: Header=BB292_13 Depth=1
	v_bfrev_b32_e32 v37, 1
	s_mov_b32 s49, exec_lo
	v_cmpx_ne_u16_e32 0x80, v3
	s_cbranch_execz .LBB292_127
; %bb.122:                              ;   in Loop: Header=BB292_13 Depth=1
	v_and_b32_e32 v39, 0xffff, v3
	v_mov_b32_e32 v37, 0x7fc02000
	s_mov_b32 s50, exec_lo
	s_delay_alu instid0(VALU_DEP_2) | instskip(NEXT) | instid1(VALU_DEP_1)
	v_and_b32_e32 v40, 0x7f, v39
	v_cmpx_ne_u32_e32 0x7f, v40
	s_cbranch_execz .LBB292_126
; %bb.123:                              ;   in Loop: Header=BB292_13 Depth=1
	v_and_b32_e32 v3, 7, v39
	v_lshrrev_b32_e32 v37, 3, v40
	s_mov_b32 s51, exec_lo
	v_cmpx_gt_u32_e32 8, v40
; %bb.124:                              ;   in Loop: Header=BB292_13 Depth=1
	s_delay_alu instid0(VALU_DEP_3) | instskip(NEXT) | instid1(VALU_DEP_1)
	v_clz_i32_u32_e32 v37, v3
	v_min_u32_e32 v37, 32, v37
	s_delay_alu instid0(VALU_DEP_1) | instskip(SKIP_1) | instid1(VALU_DEP_2)
	v_subrev_nc_u32_e32 v40, 28, v37
	v_sub_nc_u32_e32 v37, 29, v37
	v_lshlrev_b64 v[40:41], v40, v[3:4]
	s_delay_alu instid0(VALU_DEP_1)
	v_and_b32_e32 v3, 7, v40
; %bb.125:                              ;   in Loop: Header=BB292_13 Depth=1
	s_or_b32 exec_lo, exec_lo, s51
	v_lshlrev_b32_e32 v39, 8, v39
	v_lshl_add_u32 v37, v37, 10, 0x2000
	s_delay_alu instid0(VALU_DEP_1) | instskip(NEXT) | instid1(VALU_DEP_1)
	v_and_or_b32 v37, 0x8000, v39, v37
	v_lshl_or_b32 v3, v3, 7, v37
	s_delay_alu instid0(VALU_DEP_1)
	v_cvt_f32_f16_e32 v37, v3
.LBB292_126:                            ;   in Loop: Header=BB292_13 Depth=1
	s_or_b32 exec_lo, exec_lo, s50
.LBB292_127:                            ;   in Loop: Header=BB292_13 Depth=1
	s_delay_alu instid0(SALU_CYCLE_1)
	s_or_b32 exec_lo, exec_lo, s49
.LBB292_128:                            ;   in Loop: Header=BB292_13 Depth=1
	s_delay_alu instid0(SALU_CYCLE_1) | instskip(SKIP_4) | instid1(VALU_DEP_2)
	s_or_b32 exec_lo, exec_lo, s48
	global_load_u16 v3, v[9:10], off offset:392
	s_waitcnt vmcnt(0)
	v_dual_mov_b32 v39, 0 :: v_dual_and_b32 v40, 0xff, v3
	v_and_b32_e32 v41, 0xffff, v3
	v_cmp_ne_u16_e64 s1, 0, v40
	v_mov_b32_e32 v40, 0
	s_delay_alu instid0(VALU_DEP_2)
	s_and_saveexec_b32 s48, s1
	s_cbranch_execz .LBB292_136
; %bb.129:                              ;   in Loop: Header=BB292_13 Depth=1
	v_and_b32_e32 v3, 0xff, v41
	v_bfrev_b32_e32 v40, 1
	s_mov_b32 s49, exec_lo
	s_delay_alu instid0(VALU_DEP_2)
	v_cmpx_ne_u16_e32 0x80, v3
	s_cbranch_execz .LBB292_135
; %bb.130:                              ;   in Loop: Header=BB292_13 Depth=1
	v_and_b32_e32 v42, 0x7f, v41
	v_mov_b32_e32 v40, 0x7fc02000
	s_mov_b32 s50, exec_lo
	s_delay_alu instid0(VALU_DEP_2)
	v_cmpx_ne_u32_e32 0x7f, v42
	s_cbranch_execz .LBB292_134
; %bb.131:                              ;   in Loop: Header=BB292_13 Depth=1
	v_and_b32_e32 v3, 7, v41
	v_lshrrev_b32_e32 v40, 3, v42
	s_mov_b32 s51, exec_lo
	v_cmpx_gt_u32_e32 8, v42
; %bb.132:                              ;   in Loop: Header=BB292_13 Depth=1
	s_delay_alu instid0(VALU_DEP_3) | instskip(NEXT) | instid1(VALU_DEP_1)
	v_clz_i32_u32_e32 v40, v3
	v_min_u32_e32 v40, 32, v40
	s_delay_alu instid0(VALU_DEP_1) | instskip(SKIP_1) | instid1(VALU_DEP_2)
	v_subrev_nc_u32_e32 v42, 28, v40
	v_sub_nc_u32_e32 v40, 29, v40
	v_lshlrev_b64 v[42:43], v42, v[3:4]
	s_delay_alu instid0(VALU_DEP_1)
	v_and_b32_e32 v3, 7, v42
; %bb.133:                              ;   in Loop: Header=BB292_13 Depth=1
	s_or_b32 exec_lo, exec_lo, s51
	v_lshlrev_b32_e32 v42, 8, v41
	v_lshl_add_u32 v40, v40, 10, 0x2000
	s_delay_alu instid0(VALU_DEP_1) | instskip(NEXT) | instid1(VALU_DEP_1)
	v_and_or_b32 v40, 0x8000, v42, v40
	v_lshl_or_b32 v3, v3, 7, v40
	s_delay_alu instid0(VALU_DEP_1)
	v_cvt_f32_f16_e32 v40, v3
.LBB292_134:                            ;   in Loop: Header=BB292_13 Depth=1
	s_or_b32 exec_lo, exec_lo, s50
.LBB292_135:                            ;   in Loop: Header=BB292_13 Depth=1
	s_delay_alu instid0(SALU_CYCLE_1)
	s_or_b32 exec_lo, exec_lo, s49
.LBB292_136:                            ;   in Loop: Header=BB292_13 Depth=1
	s_delay_alu instid0(SALU_CYCLE_1) | instskip(SKIP_2) | instid1(VALU_DEP_1)
	s_or_b32 exec_lo, exec_lo, s48
	v_lshrrev_b16 v3, 8, v41
	s_mov_b32 s48, exec_lo
	v_cmpx_ne_u16_e32 0, v3
	s_cbranch_execz .LBB292_144
; %bb.137:                              ;   in Loop: Header=BB292_13 Depth=1
	v_bfrev_b32_e32 v39, 1
	s_mov_b32 s49, exec_lo
	v_cmpx_ne_u16_e32 0x80, v3
	s_cbranch_execz .LBB292_143
; %bb.138:                              ;   in Loop: Header=BB292_13 Depth=1
	v_and_b32_e32 v41, 0xffff, v3
	v_mov_b32_e32 v39, 0x7fc02000
	s_mov_b32 s50, exec_lo
	s_delay_alu instid0(VALU_DEP_2) | instskip(NEXT) | instid1(VALU_DEP_1)
	v_and_b32_e32 v42, 0x7f, v41
	v_cmpx_ne_u32_e32 0x7f, v42
	s_cbranch_execz .LBB292_142
; %bb.139:                              ;   in Loop: Header=BB292_13 Depth=1
	v_and_b32_e32 v3, 7, v41
	v_lshrrev_b32_e32 v39, 3, v42
	s_mov_b32 s51, exec_lo
	v_cmpx_gt_u32_e32 8, v42
; %bb.140:                              ;   in Loop: Header=BB292_13 Depth=1
	s_delay_alu instid0(VALU_DEP_3) | instskip(NEXT) | instid1(VALU_DEP_1)
	v_clz_i32_u32_e32 v39, v3
	v_min_u32_e32 v39, 32, v39
	s_delay_alu instid0(VALU_DEP_1) | instskip(SKIP_1) | instid1(VALU_DEP_2)
	v_subrev_nc_u32_e32 v42, 28, v39
	v_sub_nc_u32_e32 v39, 29, v39
	v_lshlrev_b64 v[42:43], v42, v[3:4]
	s_delay_alu instid0(VALU_DEP_1)
	v_and_b32_e32 v3, 7, v42
; %bb.141:                              ;   in Loop: Header=BB292_13 Depth=1
	s_or_b32 exec_lo, exec_lo, s51
	v_lshlrev_b32_e32 v41, 8, v41
	v_lshl_add_u32 v39, v39, 10, 0x2000
	s_delay_alu instid0(VALU_DEP_1) | instskip(NEXT) | instid1(VALU_DEP_1)
	v_and_or_b32 v39, 0x8000, v41, v39
	v_lshl_or_b32 v3, v3, 7, v39
	s_delay_alu instid0(VALU_DEP_1)
	v_cvt_f32_f16_e32 v39, v3
.LBB292_142:                            ;   in Loop: Header=BB292_13 Depth=1
	s_or_b32 exec_lo, exec_lo, s50
.LBB292_143:                            ;   in Loop: Header=BB292_13 Depth=1
	s_delay_alu instid0(SALU_CYCLE_1)
	s_or_b32 exec_lo, exec_lo, s49
.LBB292_144:                            ;   in Loop: Header=BB292_13 Depth=1
	s_delay_alu instid0(SALU_CYCLE_1) | instskip(SKIP_4) | instid1(VALU_DEP_2)
	s_or_b32 exec_lo, exec_lo, s48
	global_load_u16 v3, v[9:10], off offset:512
	s_waitcnt vmcnt(0)
	v_dual_mov_b32 v41, 0 :: v_dual_and_b32 v42, 0xff, v3
	v_and_b32_e32 v43, 0xffff, v3
	v_cmp_ne_u16_e64 s1, 0, v42
	v_mov_b32_e32 v42, 0
	s_delay_alu instid0(VALU_DEP_2)
	s_and_saveexec_b32 s48, s1
	s_cbranch_execz .LBB292_152
; %bb.145:                              ;   in Loop: Header=BB292_13 Depth=1
	v_and_b32_e32 v3, 0xff, v43
	v_bfrev_b32_e32 v42, 1
	s_mov_b32 s49, exec_lo
	s_delay_alu instid0(VALU_DEP_2)
	v_cmpx_ne_u16_e32 0x80, v3
	s_cbranch_execz .LBB292_151
; %bb.146:                              ;   in Loop: Header=BB292_13 Depth=1
	v_and_b32_e32 v44, 0x7f, v43
	v_mov_b32_e32 v42, 0x7fc02000
	s_mov_b32 s50, exec_lo
	s_delay_alu instid0(VALU_DEP_2)
	v_cmpx_ne_u32_e32 0x7f, v44
	s_cbranch_execz .LBB292_150
; %bb.147:                              ;   in Loop: Header=BB292_13 Depth=1
	v_and_b32_e32 v3, 7, v43
	v_lshrrev_b32_e32 v42, 3, v44
	s_mov_b32 s51, exec_lo
	v_cmpx_gt_u32_e32 8, v44
; %bb.148:                              ;   in Loop: Header=BB292_13 Depth=1
	s_delay_alu instid0(VALU_DEP_3) | instskip(NEXT) | instid1(VALU_DEP_1)
	v_clz_i32_u32_e32 v42, v3
	v_min_u32_e32 v42, 32, v42
	s_delay_alu instid0(VALU_DEP_1) | instskip(SKIP_1) | instid1(VALU_DEP_2)
	v_subrev_nc_u32_e32 v44, 28, v42
	v_sub_nc_u32_e32 v42, 29, v42
	v_lshlrev_b64 v[44:45], v44, v[3:4]
	s_delay_alu instid0(VALU_DEP_1)
	v_and_b32_e32 v3, 7, v44
; %bb.149:                              ;   in Loop: Header=BB292_13 Depth=1
	s_or_b32 exec_lo, exec_lo, s51
	v_lshlrev_b32_e32 v44, 8, v43
	v_lshl_add_u32 v42, v42, 10, 0x2000
	s_delay_alu instid0(VALU_DEP_1) | instskip(NEXT) | instid1(VALU_DEP_1)
	v_and_or_b32 v42, 0x8000, v44, v42
	v_lshl_or_b32 v3, v3, 7, v42
	s_delay_alu instid0(VALU_DEP_1)
	v_cvt_f32_f16_e32 v42, v3
.LBB292_150:                            ;   in Loop: Header=BB292_13 Depth=1
	s_or_b32 exec_lo, exec_lo, s50
.LBB292_151:                            ;   in Loop: Header=BB292_13 Depth=1
	s_delay_alu instid0(SALU_CYCLE_1)
	s_or_b32 exec_lo, exec_lo, s49
.LBB292_152:                            ;   in Loop: Header=BB292_13 Depth=1
	s_delay_alu instid0(SALU_CYCLE_1) | instskip(SKIP_2) | instid1(VALU_DEP_1)
	s_or_b32 exec_lo, exec_lo, s48
	v_lshrrev_b16 v3, 8, v43
	s_mov_b32 s48, exec_lo
	v_cmpx_ne_u16_e32 0, v3
	s_cbranch_execz .LBB292_160
; %bb.153:                              ;   in Loop: Header=BB292_13 Depth=1
	v_bfrev_b32_e32 v41, 1
	s_mov_b32 s49, exec_lo
	v_cmpx_ne_u16_e32 0x80, v3
	s_cbranch_execz .LBB292_159
; %bb.154:                              ;   in Loop: Header=BB292_13 Depth=1
	v_and_b32_e32 v43, 0xffff, v3
	v_mov_b32_e32 v41, 0x7fc02000
	s_mov_b32 s50, exec_lo
	s_delay_alu instid0(VALU_DEP_2) | instskip(NEXT) | instid1(VALU_DEP_1)
	v_and_b32_e32 v44, 0x7f, v43
	v_cmpx_ne_u32_e32 0x7f, v44
	s_cbranch_execz .LBB292_158
; %bb.155:                              ;   in Loop: Header=BB292_13 Depth=1
	v_and_b32_e32 v3, 7, v43
	v_lshrrev_b32_e32 v41, 3, v44
	s_mov_b32 s51, exec_lo
	v_cmpx_gt_u32_e32 8, v44
; %bb.156:                              ;   in Loop: Header=BB292_13 Depth=1
	s_delay_alu instid0(VALU_DEP_3) | instskip(NEXT) | instid1(VALU_DEP_1)
	v_clz_i32_u32_e32 v41, v3
	v_min_u32_e32 v41, 32, v41
	s_delay_alu instid0(VALU_DEP_1) | instskip(SKIP_1) | instid1(VALU_DEP_2)
	v_subrev_nc_u32_e32 v44, 28, v41
	v_sub_nc_u32_e32 v41, 29, v41
	v_lshlrev_b64 v[44:45], v44, v[3:4]
	s_delay_alu instid0(VALU_DEP_1)
	v_and_b32_e32 v3, 7, v44
; %bb.157:                              ;   in Loop: Header=BB292_13 Depth=1
	s_or_b32 exec_lo, exec_lo, s51
	v_lshlrev_b32_e32 v43, 8, v43
	v_lshl_add_u32 v41, v41, 10, 0x2000
	s_delay_alu instid0(VALU_DEP_1) | instskip(NEXT) | instid1(VALU_DEP_1)
	v_and_or_b32 v41, 0x8000, v43, v41
	v_lshl_or_b32 v3, v3, 7, v41
	s_delay_alu instid0(VALU_DEP_1)
	v_cvt_f32_f16_e32 v41, v3
.LBB292_158:                            ;   in Loop: Header=BB292_13 Depth=1
	s_or_b32 exec_lo, exec_lo, s50
.LBB292_159:                            ;   in Loop: Header=BB292_13 Depth=1
	s_delay_alu instid0(SALU_CYCLE_1)
	s_or_b32 exec_lo, exec_lo, s49
.LBB292_160:                            ;   in Loop: Header=BB292_13 Depth=1
	s_delay_alu instid0(SALU_CYCLE_1) | instskip(SKIP_4) | instid1(VALU_DEP_2)
	s_or_b32 exec_lo, exec_lo, s48
	global_load_u16 v3, v[9:10], off offset:520
	s_waitcnt vmcnt(0)
	v_dual_mov_b32 v43, 0 :: v_dual_and_b32 v44, 0xff, v3
	v_and_b32_e32 v45, 0xffff, v3
	v_cmp_ne_u16_e64 s1, 0, v44
	v_mov_b32_e32 v44, 0
	s_delay_alu instid0(VALU_DEP_2)
	s_and_saveexec_b32 s48, s1
	s_cbranch_execz .LBB292_168
; %bb.161:                              ;   in Loop: Header=BB292_13 Depth=1
	v_and_b32_e32 v3, 0xff, v45
	v_bfrev_b32_e32 v44, 1
	s_mov_b32 s49, exec_lo
	s_delay_alu instid0(VALU_DEP_2)
	v_cmpx_ne_u16_e32 0x80, v3
	s_cbranch_execz .LBB292_167
; %bb.162:                              ;   in Loop: Header=BB292_13 Depth=1
	v_and_b32_e32 v46, 0x7f, v45
	v_mov_b32_e32 v44, 0x7fc02000
	s_mov_b32 s50, exec_lo
	s_delay_alu instid0(VALU_DEP_2)
	v_cmpx_ne_u32_e32 0x7f, v46
	s_cbranch_execz .LBB292_166
; %bb.163:                              ;   in Loop: Header=BB292_13 Depth=1
	v_and_b32_e32 v3, 7, v45
	v_lshrrev_b32_e32 v44, 3, v46
	s_mov_b32 s51, exec_lo
	v_cmpx_gt_u32_e32 8, v46
; %bb.164:                              ;   in Loop: Header=BB292_13 Depth=1
	s_delay_alu instid0(VALU_DEP_3) | instskip(NEXT) | instid1(VALU_DEP_1)
	v_clz_i32_u32_e32 v44, v3
	v_min_u32_e32 v44, 32, v44
	s_delay_alu instid0(VALU_DEP_1) | instskip(SKIP_1) | instid1(VALU_DEP_2)
	v_subrev_nc_u32_e32 v46, 28, v44
	v_sub_nc_u32_e32 v44, 29, v44
	v_lshlrev_b64 v[46:47], v46, v[3:4]
	s_delay_alu instid0(VALU_DEP_1)
	v_and_b32_e32 v3, 7, v46
; %bb.165:                              ;   in Loop: Header=BB292_13 Depth=1
	s_or_b32 exec_lo, exec_lo, s51
	v_lshlrev_b32_e32 v46, 8, v45
	v_lshl_add_u32 v44, v44, 10, 0x2000
	s_delay_alu instid0(VALU_DEP_1) | instskip(NEXT) | instid1(VALU_DEP_1)
	v_and_or_b32 v44, 0x8000, v46, v44
	v_lshl_or_b32 v3, v3, 7, v44
	s_delay_alu instid0(VALU_DEP_1)
	v_cvt_f32_f16_e32 v44, v3
.LBB292_166:                            ;   in Loop: Header=BB292_13 Depth=1
	s_or_b32 exec_lo, exec_lo, s50
.LBB292_167:                            ;   in Loop: Header=BB292_13 Depth=1
	s_delay_alu instid0(SALU_CYCLE_1)
	s_or_b32 exec_lo, exec_lo, s49
.LBB292_168:                            ;   in Loop: Header=BB292_13 Depth=1
	s_delay_alu instid0(SALU_CYCLE_1) | instskip(SKIP_2) | instid1(VALU_DEP_1)
	s_or_b32 exec_lo, exec_lo, s48
	v_lshrrev_b16 v3, 8, v45
	s_mov_b32 s48, exec_lo
	v_cmpx_ne_u16_e32 0, v3
	s_cbranch_execz .LBB292_176
; %bb.169:                              ;   in Loop: Header=BB292_13 Depth=1
	v_bfrev_b32_e32 v43, 1
	s_mov_b32 s49, exec_lo
	v_cmpx_ne_u16_e32 0x80, v3
	s_cbranch_execz .LBB292_175
; %bb.170:                              ;   in Loop: Header=BB292_13 Depth=1
	v_and_b32_e32 v45, 0xffff, v3
	v_mov_b32_e32 v43, 0x7fc02000
	s_mov_b32 s50, exec_lo
	s_delay_alu instid0(VALU_DEP_2) | instskip(NEXT) | instid1(VALU_DEP_1)
	v_and_b32_e32 v46, 0x7f, v45
	v_cmpx_ne_u32_e32 0x7f, v46
	s_cbranch_execz .LBB292_174
; %bb.171:                              ;   in Loop: Header=BB292_13 Depth=1
	v_and_b32_e32 v3, 7, v45
	v_lshrrev_b32_e32 v43, 3, v46
	s_mov_b32 s51, exec_lo
	v_cmpx_gt_u32_e32 8, v46
; %bb.172:                              ;   in Loop: Header=BB292_13 Depth=1
	s_delay_alu instid0(VALU_DEP_3) | instskip(NEXT) | instid1(VALU_DEP_1)
	v_clz_i32_u32_e32 v43, v3
	v_min_u32_e32 v43, 32, v43
	s_delay_alu instid0(VALU_DEP_1) | instskip(SKIP_1) | instid1(VALU_DEP_2)
	v_subrev_nc_u32_e32 v46, 28, v43
	v_sub_nc_u32_e32 v43, 29, v43
	v_lshlrev_b64 v[46:47], v46, v[3:4]
	s_delay_alu instid0(VALU_DEP_1)
	v_and_b32_e32 v3, 7, v46
; %bb.173:                              ;   in Loop: Header=BB292_13 Depth=1
	s_or_b32 exec_lo, exec_lo, s51
	v_lshlrev_b32_e32 v45, 8, v45
	v_lshl_add_u32 v43, v43, 10, 0x2000
	s_delay_alu instid0(VALU_DEP_1) | instskip(NEXT) | instid1(VALU_DEP_1)
	v_and_or_b32 v43, 0x8000, v45, v43
	v_lshl_or_b32 v3, v3, 7, v43
	s_delay_alu instid0(VALU_DEP_1)
	v_cvt_f32_f16_e32 v43, v3
.LBB292_174:                            ;   in Loop: Header=BB292_13 Depth=1
	s_or_b32 exec_lo, exec_lo, s50
.LBB292_175:                            ;   in Loop: Header=BB292_13 Depth=1
	s_delay_alu instid0(SALU_CYCLE_1)
	s_or_b32 exec_lo, exec_lo, s49
.LBB292_176:                            ;   in Loop: Header=BB292_13 Depth=1
	s_delay_alu instid0(SALU_CYCLE_1) | instskip(SKIP_4) | instid1(VALU_DEP_2)
	s_or_b32 exec_lo, exec_lo, s48
	global_load_u16 v3, v[9:10], off offset:640
	s_waitcnt vmcnt(0)
	v_dual_mov_b32 v45, 0 :: v_dual_and_b32 v46, 0xff, v3
	v_and_b32_e32 v47, 0xffff, v3
	v_cmp_ne_u16_e64 s1, 0, v46
	v_mov_b32_e32 v46, 0
	s_delay_alu instid0(VALU_DEP_2)
	s_and_saveexec_b32 s48, s1
	s_cbranch_execz .LBB292_184
; %bb.177:                              ;   in Loop: Header=BB292_13 Depth=1
	v_and_b32_e32 v3, 0xff, v47
	v_bfrev_b32_e32 v46, 1
	s_mov_b32 s49, exec_lo
	s_delay_alu instid0(VALU_DEP_2)
	v_cmpx_ne_u16_e32 0x80, v3
	s_cbranch_execz .LBB292_183
; %bb.178:                              ;   in Loop: Header=BB292_13 Depth=1
	v_and_b32_e32 v48, 0x7f, v47
	v_mov_b32_e32 v46, 0x7fc02000
	s_mov_b32 s50, exec_lo
	s_delay_alu instid0(VALU_DEP_2)
	v_cmpx_ne_u32_e32 0x7f, v48
	s_cbranch_execz .LBB292_182
; %bb.179:                              ;   in Loop: Header=BB292_13 Depth=1
	v_and_b32_e32 v3, 7, v47
	v_lshrrev_b32_e32 v46, 3, v48
	s_mov_b32 s51, exec_lo
	v_cmpx_gt_u32_e32 8, v48
; %bb.180:                              ;   in Loop: Header=BB292_13 Depth=1
	s_delay_alu instid0(VALU_DEP_3) | instskip(NEXT) | instid1(VALU_DEP_1)
	v_clz_i32_u32_e32 v46, v3
	v_min_u32_e32 v46, 32, v46
	s_delay_alu instid0(VALU_DEP_1) | instskip(SKIP_1) | instid1(VALU_DEP_2)
	v_subrev_nc_u32_e32 v48, 28, v46
	v_sub_nc_u32_e32 v46, 29, v46
	v_lshlrev_b64 v[48:49], v48, v[3:4]
	s_delay_alu instid0(VALU_DEP_1)
	v_and_b32_e32 v3, 7, v48
; %bb.181:                              ;   in Loop: Header=BB292_13 Depth=1
	s_or_b32 exec_lo, exec_lo, s51
	v_lshlrev_b32_e32 v48, 8, v47
	v_lshl_add_u32 v46, v46, 10, 0x2000
	s_delay_alu instid0(VALU_DEP_1) | instskip(NEXT) | instid1(VALU_DEP_1)
	v_and_or_b32 v46, 0x8000, v48, v46
	v_lshl_or_b32 v3, v3, 7, v46
	s_delay_alu instid0(VALU_DEP_1)
	v_cvt_f32_f16_e32 v46, v3
.LBB292_182:                            ;   in Loop: Header=BB292_13 Depth=1
	s_or_b32 exec_lo, exec_lo, s50
.LBB292_183:                            ;   in Loop: Header=BB292_13 Depth=1
	s_delay_alu instid0(SALU_CYCLE_1)
	s_or_b32 exec_lo, exec_lo, s49
.LBB292_184:                            ;   in Loop: Header=BB292_13 Depth=1
	s_delay_alu instid0(SALU_CYCLE_1) | instskip(SKIP_2) | instid1(VALU_DEP_1)
	s_or_b32 exec_lo, exec_lo, s48
	v_lshrrev_b16 v3, 8, v47
	s_mov_b32 s48, exec_lo
	v_cmpx_ne_u16_e32 0, v3
	s_cbranch_execz .LBB292_192
; %bb.185:                              ;   in Loop: Header=BB292_13 Depth=1
	v_bfrev_b32_e32 v45, 1
	s_mov_b32 s49, exec_lo
	v_cmpx_ne_u16_e32 0x80, v3
	s_cbranch_execz .LBB292_191
; %bb.186:                              ;   in Loop: Header=BB292_13 Depth=1
	v_and_b32_e32 v47, 0xffff, v3
	v_mov_b32_e32 v45, 0x7fc02000
	s_mov_b32 s50, exec_lo
	s_delay_alu instid0(VALU_DEP_2) | instskip(NEXT) | instid1(VALU_DEP_1)
	v_and_b32_e32 v48, 0x7f, v47
	v_cmpx_ne_u32_e32 0x7f, v48
	s_cbranch_execz .LBB292_190
; %bb.187:                              ;   in Loop: Header=BB292_13 Depth=1
	v_and_b32_e32 v3, 7, v47
	v_lshrrev_b32_e32 v45, 3, v48
	s_mov_b32 s51, exec_lo
	v_cmpx_gt_u32_e32 8, v48
; %bb.188:                              ;   in Loop: Header=BB292_13 Depth=1
	s_delay_alu instid0(VALU_DEP_3) | instskip(NEXT) | instid1(VALU_DEP_1)
	v_clz_i32_u32_e32 v45, v3
	v_min_u32_e32 v45, 32, v45
	s_delay_alu instid0(VALU_DEP_1) | instskip(SKIP_1) | instid1(VALU_DEP_2)
	v_subrev_nc_u32_e32 v48, 28, v45
	v_sub_nc_u32_e32 v45, 29, v45
	v_lshlrev_b64 v[48:49], v48, v[3:4]
	s_delay_alu instid0(VALU_DEP_1)
	v_and_b32_e32 v3, 7, v48
; %bb.189:                              ;   in Loop: Header=BB292_13 Depth=1
	s_or_b32 exec_lo, exec_lo, s51
	v_lshlrev_b32_e32 v47, 8, v47
	v_lshl_add_u32 v45, v45, 10, 0x2000
	s_delay_alu instid0(VALU_DEP_1) | instskip(NEXT) | instid1(VALU_DEP_1)
	v_and_or_b32 v45, 0x8000, v47, v45
	v_lshl_or_b32 v3, v3, 7, v45
	s_delay_alu instid0(VALU_DEP_1)
	v_cvt_f32_f16_e32 v45, v3
.LBB292_190:                            ;   in Loop: Header=BB292_13 Depth=1
	s_or_b32 exec_lo, exec_lo, s50
.LBB292_191:                            ;   in Loop: Header=BB292_13 Depth=1
	s_delay_alu instid0(SALU_CYCLE_1)
	s_or_b32 exec_lo, exec_lo, s49
.LBB292_192:                            ;   in Loop: Header=BB292_13 Depth=1
	s_delay_alu instid0(SALU_CYCLE_1) | instskip(SKIP_4) | instid1(VALU_DEP_2)
	s_or_b32 exec_lo, exec_lo, s48
	global_load_u16 v3, v[9:10], off offset:648
	s_waitcnt vmcnt(0)
	v_dual_mov_b32 v9, 0 :: v_dual_and_b32 v10, 0xff, v3
	v_and_b32_e32 v47, 0xffff, v3
	v_cmp_ne_u16_e64 s1, 0, v10
	v_mov_b32_e32 v10, 0
	s_delay_alu instid0(VALU_DEP_2)
	s_and_saveexec_b32 s48, s1
	s_cbranch_execz .LBB292_200
; %bb.193:                              ;   in Loop: Header=BB292_13 Depth=1
	v_and_b32_e32 v3, 0xff, v47
	v_bfrev_b32_e32 v10, 1
	s_mov_b32 s49, exec_lo
	s_delay_alu instid0(VALU_DEP_2)
	v_cmpx_ne_u16_e32 0x80, v3
	s_cbranch_execz .LBB292_199
; %bb.194:                              ;   in Loop: Header=BB292_13 Depth=1
	v_and_b32_e32 v48, 0x7f, v47
	v_mov_b32_e32 v10, 0x7fc02000
	s_mov_b32 s50, exec_lo
	s_delay_alu instid0(VALU_DEP_2)
	v_cmpx_ne_u32_e32 0x7f, v48
	s_cbranch_execz .LBB292_198
; %bb.195:                              ;   in Loop: Header=BB292_13 Depth=1
	v_and_b32_e32 v3, 7, v47
	v_lshrrev_b32_e32 v10, 3, v48
	s_mov_b32 s51, exec_lo
	v_cmpx_gt_u32_e32 8, v48
; %bb.196:                              ;   in Loop: Header=BB292_13 Depth=1
	s_delay_alu instid0(VALU_DEP_3) | instskip(NEXT) | instid1(VALU_DEP_1)
	v_clz_i32_u32_e32 v10, v3
	v_min_u32_e32 v10, 32, v10
	s_delay_alu instid0(VALU_DEP_1) | instskip(SKIP_1) | instid1(VALU_DEP_2)
	v_subrev_nc_u32_e32 v48, 28, v10
	v_sub_nc_u32_e32 v10, 29, v10
	v_lshlrev_b64 v[48:49], v48, v[3:4]
	s_delay_alu instid0(VALU_DEP_1)
	v_and_b32_e32 v3, 7, v48
; %bb.197:                              ;   in Loop: Header=BB292_13 Depth=1
	s_or_b32 exec_lo, exec_lo, s51
	v_lshlrev_b32_e32 v48, 8, v47
	v_lshl_add_u32 v10, v10, 10, 0x2000
	s_delay_alu instid0(VALU_DEP_1) | instskip(NEXT) | instid1(VALU_DEP_1)
	v_and_or_b32 v10, 0x8000, v48, v10
	v_lshl_or_b32 v3, v3, 7, v10
	s_delay_alu instid0(VALU_DEP_1)
	v_cvt_f32_f16_e32 v10, v3
.LBB292_198:                            ;   in Loop: Header=BB292_13 Depth=1
	s_or_b32 exec_lo, exec_lo, s50
.LBB292_199:                            ;   in Loop: Header=BB292_13 Depth=1
	s_delay_alu instid0(SALU_CYCLE_1)
	s_or_b32 exec_lo, exec_lo, s49
.LBB292_200:                            ;   in Loop: Header=BB292_13 Depth=1
	s_delay_alu instid0(SALU_CYCLE_1) | instskip(SKIP_2) | instid1(VALU_DEP_1)
	s_or_b32 exec_lo, exec_lo, s48
	v_lshrrev_b16 v3, 8, v47
	s_mov_b32 s48, exec_lo
	v_cmpx_ne_u16_e32 0, v3
	s_cbranch_execz .LBB292_208
; %bb.201:                              ;   in Loop: Header=BB292_13 Depth=1
	v_bfrev_b32_e32 v9, 1
	s_mov_b32 s49, exec_lo
	v_cmpx_ne_u16_e32 0x80, v3
	s_cbranch_execz .LBB292_207
; %bb.202:                              ;   in Loop: Header=BB292_13 Depth=1
	v_and_b32_e32 v47, 0xffff, v3
	v_mov_b32_e32 v9, 0x7fc02000
	s_mov_b32 s50, exec_lo
	s_delay_alu instid0(VALU_DEP_2) | instskip(NEXT) | instid1(VALU_DEP_1)
	v_and_b32_e32 v48, 0x7f, v47
	v_cmpx_ne_u32_e32 0x7f, v48
	s_cbranch_execz .LBB292_206
; %bb.203:                              ;   in Loop: Header=BB292_13 Depth=1
	v_and_b32_e32 v3, 7, v47
	v_lshrrev_b32_e32 v9, 3, v48
	s_mov_b32 s51, exec_lo
	v_cmpx_gt_u32_e32 8, v48
; %bb.204:                              ;   in Loop: Header=BB292_13 Depth=1
	s_delay_alu instid0(VALU_DEP_3) | instskip(NEXT) | instid1(VALU_DEP_1)
	v_clz_i32_u32_e32 v9, v3
	v_min_u32_e32 v9, 32, v9
	s_delay_alu instid0(VALU_DEP_1) | instskip(SKIP_1) | instid1(VALU_DEP_2)
	v_subrev_nc_u32_e32 v48, 28, v9
	v_sub_nc_u32_e32 v9, 29, v9
	v_lshlrev_b64 v[48:49], v48, v[3:4]
	s_delay_alu instid0(VALU_DEP_1)
	v_and_b32_e32 v3, 7, v48
; %bb.205:                              ;   in Loop: Header=BB292_13 Depth=1
	s_or_b32 exec_lo, exec_lo, s51
	v_lshlrev_b32_e32 v47, 8, v47
	v_lshl_add_u32 v9, v9, 10, 0x2000
	s_delay_alu instid0(VALU_DEP_1) | instskip(NEXT) | instid1(VALU_DEP_1)
	v_and_or_b32 v9, 0x8000, v47, v9
	v_lshl_or_b32 v3, v3, 7, v9
	s_delay_alu instid0(VALU_DEP_1)
	v_cvt_f32_f16_e32 v9, v3
.LBB292_206:                            ;   in Loop: Header=BB292_13 Depth=1
	s_or_b32 exec_lo, exec_lo, s50
.LBB292_207:                            ;   in Loop: Header=BB292_13 Depth=1
	s_delay_alu instid0(SALU_CYCLE_1)
	s_or_b32 exec_lo, exec_lo, s49
.LBB292_208:                            ;   in Loop: Header=BB292_13 Depth=1
	s_delay_alu instid0(SALU_CYCLE_1)
	s_or_b32 exec_lo, exec_lo, s48
	ds_load_b32 v3, v17
	v_fma_mixlo_f16 v26, v24, v26, 0
	v_fma_mixlo_f16 v25, v24, v25, 0
	;; [unrolled: 1-line block ×5, first 2 shown]
	v_and_b32_e32 v26, 0xffff, v26
	v_fma_mixlo_f16 v29, v24, v29, 0
	v_fma_mixlo_f16 v32, v24, v32, 0
	v_and_b32_e32 v27, 0xffff, v27
	v_fma_mixlo_f16 v31, v24, v31, 0
	v_fma_mixlo_f16 v34, v24, v34, 0
	;; [unrolled: 3-line block ×4, first 2 shown]
	v_and_b32_e32 v33, 0xffff, v33
	v_fma_mixlo_f16 v37, v24, v37, 0
	s_waitcnt lgkmcnt(0)
	v_and_b32_e32 v47, 0xffff, v3
	v_lshrrev_b32_e32 v3, 16, v3
	;;#ASMSTART
	v_cvt_f32_f16 v47, v47;
	;;#ASMEND
	;;#ASMSTART
	v_cvt_f32_f16 v3, v3;
	;;#ASMEND
	;; [unrolled: 3-line block ×3, first 2 shown]
	v_and_b32_e32 v25, 0xffff, v25
	;;#ASMSTART
	v_cvt_f32_f16 v25, v25;
	;;#ASMEND
	ds_load_b32 v48, v17 offset:4
	v_and_b32_e32 v28, 0xffff, v28
	v_and_b32_e32 v35, 0xffff, v35
	v_and_b32_e32 v37, 0xffff, v37
	v_fma_mixlo_f16 v40, v24, v40, 0
	v_fma_mixlo_f16 v39, v24, v39, 0
	;; [unrolled: 1-line block ×6, first 2 shown]
	v_and_b32_e32 v39, 0xffff, v39
	v_fma_mixlo_f16 v10, v24, v10, 0
	v_and_b32_e32 v41, 0xffff, v41
	v_fma_mixlo_f16 v9, v24, v9, 0
	v_and_b32_e32 v43, 0xffff, v43
	s_delay_alu instid0(VALU_DEP_2)
	v_and_b32_e32 v9, 0xffff, v9
	s_waitcnt lgkmcnt(0)
	v_and_b32_e32 v49, 0xffff, v48
	v_lshrrev_b32_e32 v48, 16, v48
	;;#ASMSTART
	v_cvt_f32_f16 v49, v49;
	;;#ASMEND
	;;#ASMSTART
	v_cvt_f32_f16 v48, v48;
	;;#ASMEND
	;; [unrolled: 3-line block ×4, first 2 shown]
	ds_load_b32 v50, v17 offset:8
	v_dual_mul_f32 v27, v48, v27 :: v_dual_mul_f32 v28, v49, v28
	s_delay_alu instid0(VALU_DEP_1) | instskip(NEXT) | instid1(VALU_DEP_2)
	v_fmac_f32_e32 v27, v3, v25
	v_fmac_f32_e32 v28, v47, v26
	v_fma_mixlo_f16 v3, v24, v46, 0
	v_fma_mixlo_f16 v25, v24, v45, 0
	v_xor_b32_e32 v24, 2, v11
	s_delay_alu instid0(VALU_DEP_3) | instskip(NEXT) | instid1(VALU_DEP_3)
	v_and_b32_e32 v3, 0xffff, v3
	v_and_b32_e32 v25, 0xffff, v25
	s_delay_alu instid0(VALU_DEP_3)
	v_cmp_gt_i32_e64 s1, 32, v24
	s_waitcnt lgkmcnt(0)
	v_and_b32_e32 v51, 0xffff, v50
	v_lshrrev_b32_e32 v50, 16, v50
	;;#ASMSTART
	v_cvt_f32_f16 v51, v51;
	;;#ASMEND
	;;#ASMSTART
	v_cvt_f32_f16 v50, v50;
	;;#ASMEND
	v_and_b32_e32 v30, 0xffff, v30
	;;#ASMSTART
	v_cvt_f32_f16 v30, v30;
	;;#ASMEND
	;;#ASMSTART
	v_cvt_f32_f16 v29, v29;
	;;#ASMEND
	v_fmac_f32_e32 v27, v50, v29
	ds_load_b32 v52, v17 offset:12
	v_fmac_f32_e32 v28, v51, v30
	v_cndmask_b32_e64 v24, v11, v24, s1
	s_waitcnt lgkmcnt(0)
	v_and_b32_e32 v53, 0xffff, v52
	v_lshrrev_b32_e32 v52, 16, v52
	;;#ASMSTART
	v_cvt_f32_f16 v53, v53;
	;;#ASMEND
	;;#ASMSTART
	v_cvt_f32_f16 v52, v52;
	;;#ASMEND
	v_and_b32_e32 v32, 0xffff, v32
	;;#ASMSTART
	v_cvt_f32_f16 v32, v32;
	;;#ASMEND
	;;#ASMSTART
	v_cvt_f32_f16 v31, v31;
	;;#ASMEND
	v_fmac_f32_e32 v27, v52, v31
	ds_load_b32 v54, v17 offset:16
	s_waitcnt lgkmcnt(0)
	v_dual_fmac_f32 v28, v53, v32 :: v_dual_and_b32 v55, 0xffff, v54
	v_lshrrev_b32_e32 v54, 16, v54
	;;#ASMSTART
	v_cvt_f32_f16 v55, v55;
	;;#ASMEND
	;;#ASMSTART
	v_cvt_f32_f16 v54, v54;
	;;#ASMEND
	v_and_b32_e32 v34, 0xffff, v34
	;;#ASMSTART
	v_cvt_f32_f16 v34, v34;
	;;#ASMEND
	;;#ASMSTART
	v_cvt_f32_f16 v33, v33;
	;;#ASMEND
	v_fmac_f32_e32 v27, v54, v33
	ds_load_b32 v56, v17 offset:20
	s_waitcnt lgkmcnt(0)
	v_dual_fmac_f32 v28, v55, v34 :: v_dual_and_b32 v57, 0xffff, v56
	;; [unrolled: 18-line block ×6, first 2 shown]
	v_lshrrev_b32_e32 v64, 16, v64
	;;#ASMSTART
	v_cvt_f32_f16 v48, v65;
	;;#ASMEND
	;;#ASMSTART
	v_cvt_f32_f16 v49, v64;
	;;#ASMEND
	v_and_b32_e32 v44, 0xffff, v44
	;;#ASMSTART
	v_cvt_f32_f16 v44, v44;
	;;#ASMEND
	;;#ASMSTART
	v_cvt_f32_f16 v43, v43;
	;;#ASMEND
	v_fmac_f32_e32 v27, v49, v43
	ds_load_b32 v64, v17 offset:40
	v_fmac_f32_e32 v28, v48, v44
	s_waitcnt lgkmcnt(0)
	v_and_b32_e32 v26, 0xffff, v64
	v_lshrrev_b32_e32 v29, 16, v64
	;;#ASMSTART
	v_cvt_f32_f16 v26, v26;
	;;#ASMEND
	;;#ASMSTART
	v_cvt_f32_f16 v29, v29;
	;;#ASMEND
	;; [unrolled: 3-line block ×4, first 2 shown]
	v_fmac_f32_e32 v27, v29, v25
	ds_load_b32 v30, v17 offset:44
	v_fmac_f32_e32 v28, v26, v3
	s_waitcnt lgkmcnt(0)
	v_lshrrev_b32_e32 v31, 16, v30
	v_and_b32_e32 v30, 0xffff, v30
	;;#ASMSTART
	v_cvt_f32_f16 v3, v30;
	;;#ASMEND
	;;#ASMSTART
	v_cvt_f32_f16 v25, v31;
	;;#ASMEND
	v_and_b32_e32 v10, 0xffff, v10
	;;#ASMSTART
	v_cvt_f32_f16 v10, v10;
	;;#ASMEND
	;;#ASMSTART
	v_cvt_f32_f16 v9, v9;
	;;#ASMEND
	s_delay_alu instid0(VALU_DEP_1) | instskip(SKIP_2) | instid1(VALU_DEP_3)
	v_dual_fmac_f32 v27, v25, v9 :: v_dual_fmac_f32 v28, v3, v10
	v_lshlrev_b32_e32 v3, 2, v24
	v_xor_b32_e32 v10, 1, v11
	v_add_f32_e32 v9, v28, v27
	s_delay_alu instid0(VALU_DEP_2) | instskip(SKIP_4) | instid1(VALU_DEP_2)
	v_cmp_gt_i32_e64 s1, 32, v10
	ds_bpermute_b32 v3, v3, v9
	v_cndmask_b32_e64 v10, v11, v10, s1
	s_waitcnt lgkmcnt(0)
	v_add_f32_e32 v3, v9, v3
	v_lshlrev_b32_e32 v9, 2, v10
	ds_bpermute_b32 v9, v9, v3
	s_and_saveexec_b32 s48, vcc_lo
	s_cbranch_execz .LBB292_11
; %bb.209:                              ;   in Loop: Header=BB292_13 Depth=1
	s_waitcnt lgkmcnt(0)
	v_dual_add_f32 v3, v3, v9 :: v_dual_add_nc_u32 v10, v20, v18
	s_delay_alu instid0(VALU_DEP_1) | instskip(NEXT) | instid1(VALU_DEP_1)
	v_cvt_f32_i32_e32 v10, v10
	v_mul_f32_e32 v10, s41, v10
	s_delay_alu instid0(VALU_DEP_1) | instskip(NEXT) | instid1(VALU_DEP_1)
	v_cndmask_b32_e64 v9, 0, v10, s0
	v_dual_max_f32 v10, v14, v14 :: v_dual_fmac_f32 v9, s39, v3
	s_delay_alu instid0(VALU_DEP_1) | instskip(NEXT) | instid1(VALU_DEP_1)
	v_dual_max_f32 v10, v10, v9 :: v_dual_add_nc_u32 v3, v15, v18
	v_cmp_gt_i32_e64 s1, s15, v3
	s_delay_alu instid0(VALU_DEP_1) | instskip(NEXT) | instid1(VALU_DEP_3)
	v_cndmask_b32_e64 v3, 0, v9, s1
	v_cndmask_b32_e64 v14, v14, v10, s1
	ds_store_b32 v21, v3
	s_branch .LBB292_11
.LBB292_210:
	s_or_b32 exec_lo, exec_lo, s46
.LBB292_211:
	s_delay_alu instid0(SALU_CYCLE_1) | instskip(SKIP_3) | instid1(VALU_DEP_3)
	s_or_b32 exec_lo, exec_lo, s43
	v_xor_b32_e32 v3, 16, v11
	v_xor_b32_e32 v5, 8, v11
	v_max_f32_e32 v7, v14, v14
	v_cmp_gt_i32_e32 vcc_lo, 32, v3
	v_cndmask_b32_e32 v3, v11, v3, vcc_lo
	s_delay_alu instid0(VALU_DEP_4) | instskip(SKIP_1) | instid1(VALU_DEP_1)
	v_cmp_gt_i32_e32 vcc_lo, 32, v5
	v_cndmask_b32_e32 v5, v11, v5, vcc_lo
	v_lshlrev_b32_e32 v6, 2, v5
	s_delay_alu instid0(VALU_DEP_4) | instskip(SKIP_3) | instid1(VALU_DEP_1)
	v_lshlrev_b32_e32 v4, 2, v3
	ds_bpermute_b32 v3, v4, v14
	s_waitcnt lgkmcnt(0)
	v_dual_max_f32 v3, v3, v3 :: v_dual_and_b32 v14, 31, v0
	v_max_f32_e32 v3, v7, v3
	v_xor_b32_e32 v7, 4, v11
	ds_bpermute_b32 v5, v6, v3
	v_cmp_gt_i32_e32 vcc_lo, 32, v7
	v_cndmask_b32_e32 v7, v11, v7, vcc_lo
	v_cmp_eq_u32_e32 vcc_lo, 0, v14
	s_delay_alu instid0(VALU_DEP_2) | instskip(SKIP_3) | instid1(VALU_DEP_1)
	v_lshlrev_b32_e32 v8, 2, v7
	v_lshlrev_b32_e32 v7, 2, v12
	s_waitcnt lgkmcnt(0)
	v_max_f32_e32 v5, v5, v5
	v_max_f32_e32 v3, v3, v5
	ds_bpermute_b32 v5, v8, v3
	s_and_saveexec_b32 s0, vcc_lo
	s_cbranch_execz .LBB292_213
; %bb.212:
	s_waitcnt lgkmcnt(0)
	v_max_f32_e32 v5, v5, v5
	v_max_f32_e32 v3, v3, v3
	s_delay_alu instid0(VALU_DEP_1)
	v_max_f32_e32 v3, v3, v5
	ds_store_b32 v7, v3 offset:192
.LBB292_213:
	s_or_b32 exec_lo, exec_lo, s0
	v_cmp_gt_u32_e64 s0, 4, v14
	v_mov_b32_e32 v3, 0xff7fffff
	v_lshlrev_b32_e32 v15, 2, v14
	s_waitcnt lgkmcnt(0)
	s_barrier
	buffer_gl0_inv
	s_and_saveexec_b32 s1, s0
	s_cbranch_execz .LBB292_215
; %bb.214:
	ds_load_b32 v3, v15 offset:192
.LBB292_215:
	s_or_b32 exec_lo, exec_lo, s1
	v_xor_b32_e32 v5, 2, v11
	v_xor_b32_e32 v10, 1, v11
	s_delay_alu instid0(VALU_DEP_2) | instskip(NEXT) | instid1(VALU_DEP_1)
	v_cmp_gt_i32_e64 s1, 32, v5
	v_cndmask_b32_e64 v5, v11, v5, s1
	s_delay_alu instid0(VALU_DEP_3) | instskip(NEXT) | instid1(VALU_DEP_2)
	v_cmp_gt_i32_e64 s1, 32, v10
	v_lshlrev_b32_e32 v9, 2, v5
	s_delay_alu instid0(VALU_DEP_2) | instskip(SKIP_2) | instid1(SALU_CYCLE_1)
	v_cndmask_b32_e64 v10, v11, v10, s1
	v_mov_b32_e32 v11, 0
	s_sub_i32 s1, s16, s42
	s_lshl_b32 s1, s1, 3
	s_waitcnt lgkmcnt(0)
	ds_bpermute_b32 v5, v9, v3
	v_dual_max_f32 v3, v3, v3 :: v_dual_lshlrev_b32 v10, 2, v10
	s_add_i32 s1, s1, s33
	s_delay_alu instid0(SALU_CYCLE_1) | instskip(NEXT) | instid1(SALU_CYCLE_1)
	s_min_i32 s1, s1, s15
	s_sub_i32 s4, s1, s33
	s_delay_alu instid0(SALU_CYCLE_1) | instskip(SKIP_2) | instid1(VALU_DEP_1)
	v_cmp_gt_i32_e64 s1, s4, v0
	s_waitcnt lgkmcnt(0)
	v_max_f32_e32 v5, v5, v5
	v_max_f32_e32 v3, v3, v5
	ds_bpermute_b32 v5, v10, v3
	s_waitcnt lgkmcnt(0)
	v_max_f32_e32 v5, v5, v5
	s_delay_alu instid0(VALU_DEP_1)
	v_max_f32_e32 v3, v3, v5
	v_lshl_add_u32 v5, v0, 2, 0xe0
	ds_bpermute_b32 v3, v11, v3
	s_and_saveexec_b32 s5, s1
	s_cbranch_execz .LBB292_219
; %bb.216:
	v_lshl_add_u32 v16, v0, 2, 0xe0
	v_mov_b32_e32 v11, 0
	v_mov_b32_e32 v17, v0
	s_mov_b32 s33, 0
	.p2align	6
.LBB292_217:                            ; =>This Inner Loop Header: Depth=1
	ds_load_b32 v18, v16
	v_add_nc_u32_e32 v17, 0x80, v17
	s_delay_alu instid0(VALU_DEP_1) | instskip(NEXT) | instid1(VALU_DEP_1)
	v_cmp_le_i32_e64 s3, s4, v17
	s_or_b32 s33, s3, s33
	s_waitcnt lgkmcnt(0)
	v_sub_f32_e32 v18, v18, v3
	s_delay_alu instid0(VALU_DEP_1) | instskip(NEXT) | instid1(VALU_DEP_1)
	v_mul_f32_e32 v18, 0x3fb8aa3b, v18
	v_exp_f32_e32 v18, v18
	ds_store_b32 v16, v18
	v_dual_add_f32 v11, v11, v18 :: v_dual_add_nc_u32 v16, 0x200, v16
	s_and_not1_b32 exec_lo, exec_lo, s33
	s_cbranch_execnz .LBB292_217
; %bb.218:
	s_or_b32 exec_lo, exec_lo, s33
.LBB292_219:
	s_delay_alu instid0(SALU_CYCLE_1)
	s_or_b32 exec_lo, exec_lo, s5
	ds_bpermute_b32 v4, v4, v11
	s_waitcnt lgkmcnt(0)
	v_add_f32_e32 v4, v11, v4
	ds_bpermute_b32 v6, v6, v4
	s_waitcnt lgkmcnt(0)
	v_add_f32_e32 v4, v4, v6
	;; [unrolled: 3-line block ×5, first 2 shown]
	s_and_saveexec_b32 s3, vcc_lo
	s_cbranch_execz .LBB292_221
; %bb.220:
	ds_store_b32 v7, v4 offset:208
.LBB292_221:
	s_or_b32 exec_lo, exec_lo, s3
	s_waitcnt lgkmcnt(0)
	s_barrier
	buffer_gl0_inv
	s_and_saveexec_b32 s3, s0
	s_cbranch_execz .LBB292_223
; %bb.222:
	ds_load_b32 v4, v15 offset:208
.LBB292_223:
	s_or_b32 exec_lo, exec_lo, s3
	s_waitcnt lgkmcnt(0)
	ds_bpermute_b32 v6, v9, v4
	s_waitcnt lgkmcnt(0)
	v_add_f32_e32 v4, v4, v6
	ds_bpermute_b32 v6, v10, v4
	s_waitcnt lgkmcnt(0)
	v_add_f32_e32 v4, v4, v6
	v_mov_b32_e32 v6, 0
	ds_bpermute_b32 v4, v6, v4
	s_and_saveexec_b32 s0, s1
	s_cbranch_execz .LBB292_226
; %bb.224:
	s_waitcnt lgkmcnt(0)
	v_add_f32_e32 v6, 0x358637bd, v4
	s_mov_b32 s1, 0
	s_delay_alu instid0(VALU_DEP_1) | instskip(SKIP_1) | instid1(VALU_DEP_2)
	v_div_scale_f32 v7, null, v6, v6, 1.0
	v_div_scale_f32 v10, vcc_lo, 1.0, v6, 1.0
	v_rcp_f32_e32 v8, v7
	s_waitcnt_depctr 0xfff
	v_fma_f32 v9, -v7, v8, 1.0
	s_delay_alu instid0(VALU_DEP_1) | instskip(NEXT) | instid1(VALU_DEP_1)
	v_fmac_f32_e32 v8, v9, v8
	v_mul_f32_e32 v9, v10, v8
	s_delay_alu instid0(VALU_DEP_1) | instskip(NEXT) | instid1(VALU_DEP_1)
	v_fma_f32 v11, -v7, v9, v10
	v_fmac_f32_e32 v9, v11, v8
	s_delay_alu instid0(VALU_DEP_1) | instskip(NEXT) | instid1(VALU_DEP_1)
	v_fma_f32 v7, -v7, v9, v10
	v_div_fmas_f32 v7, v7, v8, v9
	s_delay_alu instid0(VALU_DEP_1)
	v_div_fixup_f32 v6, v7, v6, 1.0
	v_mov_b32_e32 v7, v0
.LBB292_225:                            ; =>This Inner Loop Header: Depth=1
	ds_load_b32 v8, v5
	s_waitcnt lgkmcnt(0)
	v_dual_mul_f32 v8, v6, v8 :: v_dual_add_nc_u32 v7, 0x80, v7
	s_delay_alu instid0(VALU_DEP_1) | instskip(SKIP_3) | instid1(SALU_CYCLE_1)
	v_cmp_le_i32_e32 vcc_lo, s4, v7
	ds_store_b32 v5, v8
	v_add_nc_u32_e32 v5, 0x200, v5
	s_or_b32 s1, vcc_lo, s1
	s_and_not1_b32 exec_lo, exec_lo, s1
	s_cbranch_execnz .LBB292_225
.LBB292_226:
	s_or_b32 exec_lo, exec_lo, s0
	s_mul_i32 s0, s8, s14
	s_waitcnt lgkmcnt(0)
	s_mul_i32 s4, s0, s13
	s_mov_b32 s0, exec_lo
	s_barrier
	buffer_gl0_inv
	v_cmpx_eq_u32_e32 0, v0
	s_cbranch_execz .LBB292_228
; %bb.227:
	s_ashr_i32 s5, s4, 31
	s_mul_i32 s44, s8, s28
	s_lshl_b64 s[42:43], s[4:5], 2
	v_mov_b32_e32 v5, 0
	s_add_u32 s1, s22, s42
	s_addc_u32 s3, s23, s43
	s_ashr_i32 s45, s44, 31
	s_delay_alu instid0(SALU_CYCLE_1) | instskip(NEXT) | instid1(SALU_CYCLE_1)
	s_lshl_b64 s[22:23], s[44:45], 2
	s_add_u32 s1, s1, s22
	s_addc_u32 s3, s3, s23
	s_ashr_i32 s13, s12, 31
	s_delay_alu instid0(SALU_CYCLE_1) | instskip(NEXT) | instid1(SALU_CYCLE_1)
	s_lshl_b64 s[44:45], s[12:13], 2
	s_add_u32 s46, s1, s44
	s_addc_u32 s47, s3, s45
	s_add_u32 s1, s20, s42
	s_addc_u32 s3, s21, s43
	;; [unrolled: 2-line block ×4, first 2 shown]
	s_clause 0x1
	global_store_b32 v5, v3, s[46:47]
	global_store_b32 v5, v4, s[20:21]
.LBB292_228:
	s_or_b32 exec_lo, exec_lo, s0
	v_dual_mov_b32 v18, 0 :: v_dual_mov_b32 v17, 0
	v_mov_b32_e32 v16, 0
	s_mov_b32 s5, 0
	s_and_saveexec_b32 s1, s2
	s_cbranch_execz .LBB292_420
; %bb.229:
	s_sub_i32 s13, s40, s17
	s_ashr_i32 s0, s10, 31
	s_add_u32 s14, s36, s10
	s_addc_u32 s0, s37, s0
	s_abs_i32 s10, s18
	v_lshlrev_b64 v[6:7], 2, v[1:2]
	v_cvt_f32_u32_e32 v3, s10
	s_sub_i32 s17, 0, s10
	s_lshl_b64 s[20:21], s[34:35], 2
	s_add_i32 s38, s38, -1
	v_lshl_add_u32 v19, v12, 5, 0xe0
	v_rcp_iflag_f32_e32 v3, v3
	v_mov_b32_e32 v16, 0
	v_mov_b32_e32 v18, 0
	s_mov_b32 s2, -1
	s_mov_b32 s3, 0xffffff
	s_waitcnt_depctr 0xfff
	v_dual_mul_f32 v3, 0x4f7ffffe, v3 :: v_dual_lshlrev_b32 v4, 3, v14
	s_delay_alu instid0(VALU_DEP_1) | instskip(NEXT) | instid1(VALU_DEP_2)
	v_add_co_u32 v4, s14, s14, v4
	v_cvt_u32_f32_e32 v8, v3
	v_mov_b32_e32 v3, 0
	s_delay_alu instid0(VALU_DEP_2) | instskip(NEXT) | instid1(VALU_DEP_1)
	v_mul_lo_u32 v5, s17, v8
	v_mul_hi_u32 v2, v8, v5
	v_add_co_ci_u32_e64 v5, null, s0, 0, s14
	s_add_u32 s0, s30, s20
	s_addc_u32 s14, s31, s21
	v_add_co_u32 v6, vcc_lo, s0, v6
	s_delay_alu instid0(VALU_DEP_3)
	v_dual_mov_b32 v17, 0 :: v_dual_add_nc_u32 v20, v8, v2
	v_add_co_ci_u32_e32 v7, vcc_lo, s14, v7, vcc_lo
	s_mov_b32 s14, s15
	s_branch .LBB292_232
.LBB292_230:                            ;   in Loop: Header=BB292_232 Depth=1
	s_or_b32 exec_lo, exec_lo, s0
	;;#ASMSTART
	v_pk_mul_f16 v21, v33, v35;

	;;#ASMEND
	;;#ASMSTART
	v_pk_mul_f16 v9, v32, v9;

	;;#ASMEND
	;; [unrolled: 4-line block ×4, first 2 shown]
	;;#ASMSTART
	v_pk_add_f16 v9, v21, v9;

	;;#ASMEND
	;;#ASMSTART
	v_pk_add_f16 v2, v9, v2;

	;;#ASMEND
	;;#ASMSTART
	v_pk_add_f16 v2, v2, v8;

	;;#ASMEND
	v_dual_add_f32 v9, v10, v11 :: v_dual_and_b32 v8, 0xffff, v2
	v_lshrrev_b32_e32 v2, 16, v2
	;;#ASMSTART
	v_cvt_f32_f16 v8, v8;
	;;#ASMEND
	;;#ASMSTART
	v_cvt_f32_f16 v2, v2;
	;;#ASMEND
	v_add_f32_e32 v10, v28, v29
	s_delay_alu instid0(VALU_DEP_2) | instskip(NEXT) | instid1(VALU_DEP_2)
	v_dual_add_f32 v2, v8, v2 :: v_dual_add_f32 v17, v17, v9
	v_add_f32_e32 v16, v16, v10
	s_delay_alu instid0(VALU_DEP_2)
	v_add_f32_e32 v18, v18, v2
.LBB292_231:                            ;   in Loop: Header=BB292_232 Depth=1
	s_or_b32 exec_lo, exec_lo, s17
	v_add_nc_u32_e32 v1, 4, v1
	v_add_co_u32 v6, s0, v6, 16
	s_delay_alu instid0(VALU_DEP_1) | instskip(NEXT) | instid1(VALU_DEP_3)
	v_add_co_ci_u32_e64 v7, s0, 0, v7, s0
	v_cmp_le_i32_e32 vcc_lo, s16, v1
	v_add_nc_u32_e32 v13, 32, v13
	v_add_nc_u32_e32 v19, 0x80, v19
	s_or_b32 s5, vcc_lo, s5
	s_delay_alu instid0(SALU_CYCLE_1)
	s_and_not1_b32 exec_lo, exec_lo, s5
	s_cbranch_execz .LBB292_419
.LBB292_232:                            ; =>This Inner Loop Header: Depth=1
	v_sub_nc_u32_e32 v2, 0, v13
	s_delay_alu instid0(VALU_DEP_1) | instskip(NEXT) | instid1(VALU_DEP_1)
	v_max_i32_e32 v2, v13, v2
	v_mul_hi_u32 v8, v2, s25
	s_delay_alu instid0(VALU_DEP_1) | instskip(NEXT) | instid1(VALU_DEP_1)
	v_mul_lo_u32 v9, v8, s11
	v_sub_nc_u32_e32 v2, v2, v9
	s_delay_alu instid0(VALU_DEP_1) | instskip(SKIP_1) | instid1(VALU_DEP_2)
	v_subrev_nc_u32_e32 v10, s11, v2
	v_cmp_le_u32_e32 vcc_lo, s11, v2
	v_dual_cndmask_b32 v2, v2, v10 :: v_dual_add_nc_u32 v9, 1, v8
	s_delay_alu instid0(VALU_DEP_1) | instskip(SKIP_1) | instid1(VALU_DEP_3)
	v_cndmask_b32_e32 v8, v8, v9, vcc_lo
	v_ashrrev_i32_e32 v9, 31, v13
	v_cmp_le_u32_e32 vcc_lo, s11, v2
	s_delay_alu instid0(VALU_DEP_3) | instskip(NEXT) | instid1(VALU_DEP_3)
	v_add_nc_u32_e32 v10, 1, v8
	v_xor_b32_e32 v9, s19, v9
	s_delay_alu instid0(VALU_DEP_2) | instskip(NEXT) | instid1(VALU_DEP_1)
	v_cndmask_b32_e32 v2, v8, v10, vcc_lo
	v_xor_b32_e32 v2, v2, v9
	s_delay_alu instid0(VALU_DEP_1) | instskip(NEXT) | instid1(VALU_DEP_1)
	v_sub_nc_u32_e32 v2, v2, v9
	v_add_nc_u32_e32 v8, s29, v2
	v_cmp_lt_i32_e64 s0, s13, v2
	s_delay_alu instid0(VALU_DEP_2) | instskip(NEXT) | instid1(VALU_DEP_1)
	v_sub_nc_u32_e32 v9, 0, v8
	v_max_i32_e32 v9, v8, v9
	v_ashrrev_i32_e32 v8, 31, v8
	s_delay_alu instid0(VALU_DEP_2) | instskip(NEXT) | instid1(VALU_DEP_1)
	v_mul_hi_u32 v10, v9, v20
	v_mul_lo_u32 v10, v10, s10
	s_delay_alu instid0(VALU_DEP_1) | instskip(NEXT) | instid1(VALU_DEP_1)
	v_sub_nc_u32_e32 v9, v9, v10
	v_subrev_nc_u32_e32 v10, s10, v9
	v_cmp_le_u32_e32 vcc_lo, s10, v9
	s_delay_alu instid0(VALU_DEP_2) | instskip(NEXT) | instid1(VALU_DEP_1)
	v_cndmask_b32_e32 v9, v9, v10, vcc_lo
	v_subrev_nc_u32_e32 v10, s10, v9
	v_cmp_le_u32_e32 vcc_lo, s10, v9
	s_delay_alu instid0(VALU_DEP_2) | instskip(NEXT) | instid1(VALU_DEP_1)
	v_cndmask_b32_e32 v9, v9, v10, vcc_lo
	v_xor_b32_e32 v9, v9, v8
	s_delay_alu instid0(VALU_DEP_1) | instskip(NEXT) | instid1(VALU_DEP_1)
	v_sub_nc_u32_e32 v8, v9, v8
	v_cmp_eq_u32_e32 vcc_lo, 0, v8
	s_or_b32 s0, vcc_lo, s0
	s_delay_alu instid0(SALU_CYCLE_1)
	s_and_saveexec_b32 s17, s0
	s_cbranch_execz .LBB292_231
; %bb.233:                              ;   in Loop: Header=BB292_232 Depth=1
	global_load_b32 v2, v[6:7], off
	ds_load_2addr_b64 v[21:24], v19 offset1:1
	ds_load_2addr_b64 v[33:36], v19 offset0:2 offset1:3
	s_mov_b32 s0, exec_lo
	s_waitcnt lgkmcnt(1)
	;;#ASMSTART
	v_cvt_f16_f32 v28, v21;

	;;#ASMEND
	;;#ASMSTART
	v_cvt_f16_f32 v29, v22;

	;;#ASMEND
	;;#ASMSTART
	v_cvt_f16_f32 v32, v23;

	;;#ASMEND
	;;#ASMSTART
	v_cvt_f16_f32 v30, v24;

	;;#ASMEND
	s_waitcnt lgkmcnt(0)
	;;#ASMSTART
	v_cvt_f16_f32 v33, v33;

	;;#ASMEND
	;;#ASMSTART
	v_cvt_f16_f32 v31, v34;

	;;#ASMEND
	;; [unrolled: 4-line block ×4, first 2 shown]
	v_dual_mov_b32 v22, 0 :: v_dual_mov_b32 v23, 0
	s_waitcnt vmcnt(0)
	v_mad_i64_i32 v[8:9], null, v2, s9, v[4:5]
	global_load_b64 v[10:11], v[8:9], off
	global_load_b32 v21, v3, s[6:7]
	s_waitcnt vmcnt(1)
	v_and_b32_e32 v2, 0xff, v10
	s_delay_alu instid0(VALU_DEP_1)
	v_cmpx_ne_u16_e32 0, v2
	s_cbranch_execz .LBB292_239
; %bb.234:                              ;   in Loop: Header=BB292_232 Depth=1
	v_bfrev_b32_e32 v22, 1
	s_mov_b32 s18, exec_lo
	v_cmpx_ne_u16_e32 0x80, v2
	s_cbranch_execz .LBB292_238
; %bb.235:                              ;   in Loop: Header=BB292_232 Depth=1
	v_and_b32_e32 v2, 0x7f, v10
	v_mov_b32_e32 v22, 0x7fc02000
	s_mov_b32 s20, exec_lo
	s_delay_alu instid0(VALU_DEP_2)
	v_cmpx_ne_u32_e32 0x7f, v2
	s_cbranch_execz .LBB292_237
; %bb.236:                              ;   in Loop: Header=BB292_232 Depth=1
	v_and_b32_e32 v22, 7, v10
	v_cmp_gt_u32_e32 vcc_lo, 8, v2
	v_lshrrev_b32_e32 v24, 3, v2
	s_delay_alu instid0(VALU_DEP_3) | instskip(NEXT) | instid1(VALU_DEP_1)
	v_clz_i32_u32_e32 v22, v22
	v_min_u32_e32 v22, 32, v22
	s_delay_alu instid0(VALU_DEP_1) | instskip(SKIP_1) | instid1(VALU_DEP_2)
	v_subrev_nc_u32_e32 v25, 28, v22
	v_sub_nc_u32_e32 v22, 29, v22
	v_cndmask_b32_e32 v2, 0, v25, vcc_lo
	s_delay_alu instid0(VALU_DEP_2) | instskip(NEXT) | instid1(VALU_DEP_2)
	v_cndmask_b32_e32 v22, v24, v22, vcc_lo
	v_lshlrev_b64 v[24:25], v2, v[10:11]
	v_lshlrev_b32_e32 v2, 8, v10
	s_delay_alu instid0(VALU_DEP_3) | instskip(NEXT) | instid1(VALU_DEP_3)
	v_lshl_add_u32 v22, v22, 10, 0x2000
	v_lshlrev_b32_e32 v24, 7, v24
	s_delay_alu instid0(VALU_DEP_2) | instskip(NEXT) | instid1(VALU_DEP_1)
	v_and_or_b32 v2, 0x8000, v2, v22
	v_and_or_b32 v2, 0x380, v24, v2
	s_delay_alu instid0(VALU_DEP_1)
	v_cvt_f32_f16_e32 v22, v2
.LBB292_237:                            ;   in Loop: Header=BB292_232 Depth=1
	s_or_b32 exec_lo, exec_lo, s20
.LBB292_238:                            ;   in Loop: Header=BB292_232 Depth=1
	s_delay_alu instid0(SALU_CYCLE_1)
	s_or_b32 exec_lo, exec_lo, s18
.LBB292_239:                            ;   in Loop: Header=BB292_232 Depth=1
	s_delay_alu instid0(SALU_CYCLE_1) | instskip(SKIP_2) | instid1(VALU_DEP_1)
	s_or_b32 exec_lo, exec_lo, s0
	v_lshrrev_b16 v2, 8, v10
	s_mov_b32 s0, exec_lo
	v_cmpx_ne_u16_e32 0, v2
	s_cbranch_execz .LBB292_247
; %bb.240:                              ;   in Loop: Header=BB292_232 Depth=1
	v_bfrev_b32_e32 v23, 1
	s_mov_b32 s18, exec_lo
	v_cmpx_ne_u16_e32 0x80, v2
	s_cbranch_execz .LBB292_246
; %bb.241:                              ;   in Loop: Header=BB292_232 Depth=1
	v_and_b32_e32 v24, 0xffff, v2
	v_mov_b32_e32 v23, 0x7fc02000
	s_mov_b32 s20, exec_lo
	s_delay_alu instid0(VALU_DEP_2) | instskip(NEXT) | instid1(VALU_DEP_1)
	v_and_b32_e32 v25, 0x7f, v24
	v_cmpx_ne_u32_e32 0x7f, v25
	s_cbranch_execz .LBB292_245
; %bb.242:                              ;   in Loop: Header=BB292_232 Depth=1
	v_and_b32_e32 v2, 7, v24
	v_lshrrev_b32_e32 v23, 3, v25
	s_mov_b32 s21, exec_lo
	v_cmpx_gt_u32_e32 8, v25
; %bb.243:                              ;   in Loop: Header=BB292_232 Depth=1
	s_delay_alu instid0(VALU_DEP_3) | instskip(NEXT) | instid1(VALU_DEP_1)
	v_clz_i32_u32_e32 v23, v2
	v_min_u32_e32 v23, 32, v23
	s_delay_alu instid0(VALU_DEP_1) | instskip(SKIP_1) | instid1(VALU_DEP_2)
	v_subrev_nc_u32_e32 v25, 28, v23
	v_sub_nc_u32_e32 v23, 29, v23
	v_lshlrev_b64 v[25:26], v25, v[2:3]
	s_delay_alu instid0(VALU_DEP_1)
	v_and_b32_e32 v2, 7, v25
; %bb.244:                              ;   in Loop: Header=BB292_232 Depth=1
	s_or_b32 exec_lo, exec_lo, s21
	v_lshlrev_b32_e32 v24, 8, v24
	v_lshl_add_u32 v23, v23, 10, 0x2000
	s_delay_alu instid0(VALU_DEP_1) | instskip(NEXT) | instid1(VALU_DEP_1)
	v_and_or_b32 v23, 0x8000, v24, v23
	v_lshl_or_b32 v2, v2, 7, v23
	s_delay_alu instid0(VALU_DEP_1)
	v_cvt_f32_f16_e32 v23, v2
.LBB292_245:                            ;   in Loop: Header=BB292_232 Depth=1
	s_or_b32 exec_lo, exec_lo, s20
.LBB292_246:                            ;   in Loop: Header=BB292_232 Depth=1
	s_delay_alu instid0(SALU_CYCLE_1)
	s_or_b32 exec_lo, exec_lo, s18
.LBB292_247:                            ;   in Loop: Header=BB292_232 Depth=1
	s_delay_alu instid0(SALU_CYCLE_1) | instskip(SKIP_3) | instid1(VALU_DEP_2)
	s_or_b32 exec_lo, exec_lo, s0
	v_lshrrev_b32_e32 v26, 16, v10
	v_mov_b32_e32 v24, 0
	s_mov_b32 s0, exec_lo
	v_dual_mov_b32 v25, 0 :: v_dual_and_b32 v2, 0xff, v26
	s_delay_alu instid0(VALU_DEP_1)
	v_cmpx_ne_u16_e32 0, v2
	s_cbranch_execz .LBB292_255
; %bb.248:                              ;   in Loop: Header=BB292_232 Depth=1
	v_bfrev_b32_e32 v24, 1
	s_mov_b32 s18, exec_lo
	v_cmpx_ne_u16_e32 0x80, v2
	s_cbranch_execz .LBB292_254
; %bb.249:                              ;   in Loop: Header=BB292_232 Depth=1
	v_bfe_u32 v27, v10, 16, 7
	v_mov_b32_e32 v24, 0x7fc02000
	s_mov_b32 s20, exec_lo
	s_delay_alu instid0(VALU_DEP_2)
	v_cmpx_ne_u32_e32 0x7f, v27
	s_cbranch_execz .LBB292_253
; %bb.250:                              ;   in Loop: Header=BB292_232 Depth=1
	v_and_b32_e32 v2, 7, v26
	v_lshrrev_b32_e32 v24, 3, v27
	s_mov_b32 s21, exec_lo
	v_cmpx_gt_u32_e32 8, v27
; %bb.251:                              ;   in Loop: Header=BB292_232 Depth=1
	s_delay_alu instid0(VALU_DEP_3) | instskip(NEXT) | instid1(VALU_DEP_1)
	v_clz_i32_u32_e32 v24, v2
	v_min_u32_e32 v24, 32, v24
	s_delay_alu instid0(VALU_DEP_1) | instskip(SKIP_1) | instid1(VALU_DEP_2)
	v_subrev_nc_u32_e32 v27, 28, v24
	v_sub_nc_u32_e32 v24, 29, v24
	v_lshlrev_b64 v[36:37], v27, v[2:3]
	s_delay_alu instid0(VALU_DEP_1)
	v_and_b32_e32 v2, 7, v36
; %bb.252:                              ;   in Loop: Header=BB292_232 Depth=1
	s_or_b32 exec_lo, exec_lo, s21
	v_lshlrev_b32_e32 v26, 8, v26
	v_lshl_add_u32 v24, v24, 10, 0x2000
	s_delay_alu instid0(VALU_DEP_1) | instskip(NEXT) | instid1(VALU_DEP_1)
	v_and_or_b32 v24, 0x8000, v26, v24
	v_lshl_or_b32 v2, v2, 7, v24
	s_delay_alu instid0(VALU_DEP_1)
	v_cvt_f32_f16_e32 v24, v2
.LBB292_253:                            ;   in Loop: Header=BB292_232 Depth=1
	s_or_b32 exec_lo, exec_lo, s20
.LBB292_254:                            ;   in Loop: Header=BB292_232 Depth=1
	s_delay_alu instid0(SALU_CYCLE_1)
	s_or_b32 exec_lo, exec_lo, s18
.LBB292_255:                            ;   in Loop: Header=BB292_232 Depth=1
	s_delay_alu instid0(SALU_CYCLE_1) | instskip(NEXT) | instid1(SALU_CYCLE_1)
	s_or_b32 exec_lo, exec_lo, s0
	s_mov_b32 s0, exec_lo
	v_cmpx_lt_u32_e32 0xffffff, v10
	s_cbranch_execz .LBB292_263
; %bb.256:                              ;   in Loop: Header=BB292_232 Depth=1
	v_lshrrev_b32_e32 v26, 24, v10
	v_bfrev_b32_e32 v25, 1
	s_mov_b32 s18, exec_lo
	s_delay_alu instid0(VALU_DEP_2)
	v_cmpx_ne_u32_e32 0x80, v26
	s_cbranch_execz .LBB292_262
; %bb.257:                              ;   in Loop: Header=BB292_232 Depth=1
	v_and_b32_e32 v27, 0x7f, v26
	v_mov_b32_e32 v25, 0x7fc02000
	s_mov_b32 s20, exec_lo
	s_delay_alu instid0(VALU_DEP_2)
	v_cmpx_ne_u32_e32 0x7f, v27
	s_cbranch_execz .LBB292_261
; %bb.258:                              ;   in Loop: Header=BB292_232 Depth=1
	v_and_b32_e32 v2, 7, v26
	v_lshrrev_b32_e32 v25, 3, v27
	s_mov_b32 s21, exec_lo
	v_cmpx_gt_u32_e32 8, v27
; %bb.259:                              ;   in Loop: Header=BB292_232 Depth=1
	s_delay_alu instid0(VALU_DEP_3) | instskip(NEXT) | instid1(VALU_DEP_1)
	v_clz_i32_u32_e32 v25, v2
	v_min_u32_e32 v25, 32, v25
	s_delay_alu instid0(VALU_DEP_1) | instskip(SKIP_1) | instid1(VALU_DEP_2)
	v_subrev_nc_u32_e32 v27, 28, v25
	v_sub_nc_u32_e32 v25, 29, v25
	v_lshlrev_b64 v[36:37], v27, v[2:3]
	s_delay_alu instid0(VALU_DEP_1)
	v_and_b32_e32 v2, 7, v36
; %bb.260:                              ;   in Loop: Header=BB292_232 Depth=1
	s_or_b32 exec_lo, exec_lo, s21
	v_lshlrev_b32_e32 v26, 8, v26
	v_lshl_add_u32 v25, v25, 10, 0x2000
	s_delay_alu instid0(VALU_DEP_1) | instskip(NEXT) | instid1(VALU_DEP_1)
	v_and_or_b32 v25, 0x8000, v26, v25
	v_lshl_or_b32 v2, v2, 7, v25
	s_delay_alu instid0(VALU_DEP_1)
	v_cvt_f32_f16_e32 v25, v2
.LBB292_261:                            ;   in Loop: Header=BB292_232 Depth=1
	s_or_b32 exec_lo, exec_lo, s20
.LBB292_262:                            ;   in Loop: Header=BB292_232 Depth=1
	s_delay_alu instid0(SALU_CYCLE_1)
	s_or_b32 exec_lo, exec_lo, s18
.LBB292_263:                            ;   in Loop: Header=BB292_232 Depth=1
	s_delay_alu instid0(SALU_CYCLE_1) | instskip(SKIP_4) | instid1(VALU_DEP_3)
	s_or_b32 exec_lo, exec_lo, s0
	v_dual_mov_b32 v27, 0 :: v_dual_and_b32 v36, 0xff, v11
	v_mov_b32_e32 v2, v11
	v_mov_b32_e32 v26, 0
	s_mov_b32 s0, exec_lo
	v_cmpx_ne_u16_e32 0, v36
	s_cbranch_execz .LBB292_269
; %bb.264:                              ;   in Loop: Header=BB292_232 Depth=1
	v_bfrev_b32_e32 v26, 1
	s_mov_b32 s18, exec_lo
	v_cmpx_ne_u16_e32 0x80, v36
	s_cbranch_execz .LBB292_268
; %bb.265:                              ;   in Loop: Header=BB292_232 Depth=1
	v_and_b32_e32 v36, 0x7f, v11
	v_mov_b32_e32 v26, 0x7fc02000
	s_mov_b32 s20, exec_lo
	s_delay_alu instid0(VALU_DEP_2)
	v_cmpx_ne_u32_e32 0x7f, v36
	s_cbranch_execz .LBB292_267
; %bb.266:                              ;   in Loop: Header=BB292_232 Depth=1
	v_and_b32_e32 v26, 7, v11
	v_cmp_gt_u32_e32 vcc_lo, 8, v36
	v_lshrrev_b32_e32 v37, 3, v36
	s_delay_alu instid0(VALU_DEP_3) | instskip(NEXT) | instid1(VALU_DEP_1)
	v_clz_i32_u32_e32 v26, v26
	v_min_u32_e32 v26, 32, v26
	s_delay_alu instid0(VALU_DEP_1) | instskip(SKIP_1) | instid1(VALU_DEP_2)
	v_subrev_nc_u32_e32 v38, 28, v26
	v_sub_nc_u32_e32 v26, 29, v26
	v_cndmask_b32_e32 v36, 0, v38, vcc_lo
	s_delay_alu instid0(VALU_DEP_2) | instskip(NEXT) | instid1(VALU_DEP_2)
	v_cndmask_b32_e32 v26, v37, v26, vcc_lo
	v_lshlrev_b64 v[36:37], v36, v[2:3]
	v_lshlrev_b32_e32 v37, 8, v11
	s_delay_alu instid0(VALU_DEP_3) | instskip(NEXT) | instid1(VALU_DEP_3)
	v_lshl_add_u32 v26, v26, 10, 0x2000
	v_lshlrev_b32_e32 v36, 7, v36
	s_delay_alu instid0(VALU_DEP_2) | instskip(NEXT) | instid1(VALU_DEP_1)
	v_and_or_b32 v26, 0x8000, v37, v26
	v_and_or_b32 v26, 0x380, v36, v26
	s_delay_alu instid0(VALU_DEP_1)
	v_cvt_f32_f16_e32 v26, v26
.LBB292_267:                            ;   in Loop: Header=BB292_232 Depth=1
	s_or_b32 exec_lo, exec_lo, s20
.LBB292_268:                            ;   in Loop: Header=BB292_232 Depth=1
	s_delay_alu instid0(SALU_CYCLE_1)
	s_or_b32 exec_lo, exec_lo, s18
.LBB292_269:                            ;   in Loop: Header=BB292_232 Depth=1
	s_delay_alu instid0(SALU_CYCLE_1) | instskip(SKIP_2) | instid1(VALU_DEP_1)
	s_or_b32 exec_lo, exec_lo, s0
	v_lshrrev_b16 v2, 8, v2
	s_mov_b32 s0, exec_lo
	v_cmpx_ne_u16_e32 0, v2
	s_cbranch_execz .LBB292_277
; %bb.270:                              ;   in Loop: Header=BB292_232 Depth=1
	v_bfrev_b32_e32 v27, 1
	s_mov_b32 s18, exec_lo
	v_cmpx_ne_u16_e32 0x80, v2
	s_cbranch_execz .LBB292_276
; %bb.271:                              ;   in Loop: Header=BB292_232 Depth=1
	v_and_b32_e32 v36, 0xffff, v2
	v_mov_b32_e32 v27, 0x7fc02000
	s_mov_b32 s20, exec_lo
	s_delay_alu instid0(VALU_DEP_2) | instskip(NEXT) | instid1(VALU_DEP_1)
	v_and_b32_e32 v37, 0x7f, v36
	v_cmpx_ne_u32_e32 0x7f, v37
	s_cbranch_execz .LBB292_275
; %bb.272:                              ;   in Loop: Header=BB292_232 Depth=1
	v_and_b32_e32 v2, 7, v36
	v_lshrrev_b32_e32 v27, 3, v37
	s_mov_b32 s21, exec_lo
	v_cmpx_gt_u32_e32 8, v37
; %bb.273:                              ;   in Loop: Header=BB292_232 Depth=1
	s_delay_alu instid0(VALU_DEP_3) | instskip(NEXT) | instid1(VALU_DEP_1)
	v_clz_i32_u32_e32 v27, v2
	v_min_u32_e32 v27, 32, v27
	s_delay_alu instid0(VALU_DEP_1) | instskip(SKIP_1) | instid1(VALU_DEP_2)
	v_subrev_nc_u32_e32 v37, 28, v27
	v_sub_nc_u32_e32 v27, 29, v27
	v_lshlrev_b64 v[37:38], v37, v[2:3]
	s_delay_alu instid0(VALU_DEP_1)
	v_and_b32_e32 v2, 7, v37
; %bb.274:                              ;   in Loop: Header=BB292_232 Depth=1
	s_or_b32 exec_lo, exec_lo, s21
	v_lshlrev_b32_e32 v36, 8, v36
	v_lshl_add_u32 v27, v27, 10, 0x2000
	s_delay_alu instid0(VALU_DEP_1) | instskip(NEXT) | instid1(VALU_DEP_1)
	v_and_or_b32 v27, 0x8000, v36, v27
	v_lshl_or_b32 v2, v2, 7, v27
	s_delay_alu instid0(VALU_DEP_1)
	v_cvt_f32_f16_e32 v27, v2
.LBB292_275:                            ;   in Loop: Header=BB292_232 Depth=1
	s_or_b32 exec_lo, exec_lo, s20
.LBB292_276:                            ;   in Loop: Header=BB292_232 Depth=1
	s_delay_alu instid0(SALU_CYCLE_1)
	s_or_b32 exec_lo, exec_lo, s18
.LBB292_277:                            ;   in Loop: Header=BB292_232 Depth=1
	s_delay_alu instid0(SALU_CYCLE_1) | instskip(SKIP_3) | instid1(VALU_DEP_2)
	s_or_b32 exec_lo, exec_lo, s0
	v_lshrrev_b32_e32 v38, 16, v11
	v_mov_b32_e32 v36, 0
	s_mov_b32 s0, exec_lo
	v_dual_mov_b32 v37, 0 :: v_dual_and_b32 v2, 0xff, v38
	s_delay_alu instid0(VALU_DEP_1)
	v_cmpx_ne_u16_e32 0, v2
	s_cbranch_execz .LBB292_285
; %bb.278:                              ;   in Loop: Header=BB292_232 Depth=1
	v_bfrev_b32_e32 v36, 1
	s_mov_b32 s18, exec_lo
	v_cmpx_ne_u16_e32 0x80, v2
	s_cbranch_execz .LBB292_284
; %bb.279:                              ;   in Loop: Header=BB292_232 Depth=1
	v_bfe_u32 v39, v11, 16, 7
	v_mov_b32_e32 v36, 0x7fc02000
	s_mov_b32 s20, exec_lo
	s_delay_alu instid0(VALU_DEP_2)
	v_cmpx_ne_u32_e32 0x7f, v39
	s_cbranch_execz .LBB292_283
; %bb.280:                              ;   in Loop: Header=BB292_232 Depth=1
	v_and_b32_e32 v2, 7, v38
	v_lshrrev_b32_e32 v36, 3, v39
	s_mov_b32 s21, exec_lo
	v_cmpx_gt_u32_e32 8, v39
; %bb.281:                              ;   in Loop: Header=BB292_232 Depth=1
	s_delay_alu instid0(VALU_DEP_3) | instskip(NEXT) | instid1(VALU_DEP_1)
	v_clz_i32_u32_e32 v36, v2
	v_min_u32_e32 v36, 32, v36
	s_delay_alu instid0(VALU_DEP_1) | instskip(SKIP_1) | instid1(VALU_DEP_2)
	v_subrev_nc_u32_e32 v39, 28, v36
	v_sub_nc_u32_e32 v36, 29, v36
	v_lshlrev_b64 v[39:40], v39, v[2:3]
	s_delay_alu instid0(VALU_DEP_1)
	v_and_b32_e32 v2, 7, v39
; %bb.282:                              ;   in Loop: Header=BB292_232 Depth=1
	s_or_b32 exec_lo, exec_lo, s21
	v_lshlrev_b32_e32 v38, 8, v38
	v_lshl_add_u32 v36, v36, 10, 0x2000
	s_delay_alu instid0(VALU_DEP_1) | instskip(NEXT) | instid1(VALU_DEP_1)
	v_and_or_b32 v36, 0x8000, v38, v36
	v_lshl_or_b32 v2, v2, 7, v36
	s_delay_alu instid0(VALU_DEP_1)
	v_cvt_f32_f16_e32 v36, v2
.LBB292_283:                            ;   in Loop: Header=BB292_232 Depth=1
	s_or_b32 exec_lo, exec_lo, s20
.LBB292_284:                            ;   in Loop: Header=BB292_232 Depth=1
	s_delay_alu instid0(SALU_CYCLE_1)
	s_or_b32 exec_lo, exec_lo, s18
.LBB292_285:                            ;   in Loop: Header=BB292_232 Depth=1
	s_delay_alu instid0(SALU_CYCLE_1) | instskip(NEXT) | instid1(SALU_CYCLE_1)
	s_or_b32 exec_lo, exec_lo, s0
	s_mov_b32 s0, exec_lo
	v_cmpx_lt_u64_e64 s[2:3], v[10:11]
	s_cbranch_execz .LBB292_293
; %bb.286:                              ;   in Loop: Header=BB292_232 Depth=1
	v_lshrrev_b32_e32 v10, 24, v11
	v_bfrev_b32_e32 v37, 1
	s_mov_b32 s18, exec_lo
	s_delay_alu instid0(VALU_DEP_2)
	v_cmpx_ne_u32_e32 0x80, v10
	s_cbranch_execz .LBB292_292
; %bb.287:                              ;   in Loop: Header=BB292_232 Depth=1
	v_and_b32_e32 v38, 0x7f, v10
	v_mov_b32_e32 v37, 0x7fc02000
	s_mov_b32 s20, exec_lo
	s_delay_alu instid0(VALU_DEP_2)
	v_cmpx_ne_u32_e32 0x7f, v38
	s_cbranch_execz .LBB292_291
; %bb.288:                              ;   in Loop: Header=BB292_232 Depth=1
	v_and_b32_e32 v2, 7, v10
	v_lshrrev_b32_e32 v11, 3, v38
	s_mov_b32 s21, exec_lo
	v_cmpx_gt_u32_e32 8, v38
; %bb.289:                              ;   in Loop: Header=BB292_232 Depth=1
	s_delay_alu instid0(VALU_DEP_3) | instskip(NEXT) | instid1(VALU_DEP_1)
	v_clz_i32_u32_e32 v11, v2
	v_min_u32_e32 v11, 32, v11
	s_delay_alu instid0(VALU_DEP_1) | instskip(SKIP_1) | instid1(VALU_DEP_2)
	v_subrev_nc_u32_e32 v37, 28, v11
	v_sub_nc_u32_e32 v11, 29, v11
	v_lshlrev_b64 v[37:38], v37, v[2:3]
	s_delay_alu instid0(VALU_DEP_1)
	v_and_b32_e32 v2, 7, v37
; %bb.290:                              ;   in Loop: Header=BB292_232 Depth=1
	s_or_b32 exec_lo, exec_lo, s21
	v_lshlrev_b32_e32 v10, 8, v10
	v_lshl_add_u32 v11, v11, 10, 0x2000
	s_delay_alu instid0(VALU_DEP_1) | instskip(NEXT) | instid1(VALU_DEP_1)
	v_and_or_b32 v10, 0x8000, v10, v11
	v_lshl_or_b32 v2, v2, 7, v10
	s_delay_alu instid0(VALU_DEP_1)
	v_cvt_f32_f16_e32 v37, v2
.LBB292_291:                            ;   in Loop: Header=BB292_232 Depth=1
	s_or_b32 exec_lo, exec_lo, s20
.LBB292_292:                            ;   in Loop: Header=BB292_232 Depth=1
	s_delay_alu instid0(SALU_CYCLE_1)
	s_or_b32 exec_lo, exec_lo, s18
.LBB292_293:                            ;   in Loop: Header=BB292_232 Depth=1
	s_delay_alu instid0(SALU_CYCLE_1)
	s_or_b32 exec_lo, exec_lo, s0
	s_waitcnt vmcnt(0)
	v_fma_mixlo_f16 v11, v21, v23, 0
	v_fma_mixlo_f16 v2, v21, v25, 0
	;; [unrolled: 1-line block ×5, first 2 shown]
	v_lshlrev_b32_e32 v23, 16, v11
	v_fma_mixlo_f16 v11, v21, v22, 0
	v_fma_mixlo_f16 v22, v21, v27, 0
	;; [unrolled: 1-line block ×3, first 2 shown]
	v_lshlrev_b32_e32 v2, 16, v2
	v_and_b32_e32 v10, 0xffff, v10
	v_and_b32_e32 v21, 0xffff, v11
	v_lshlrev_b32_e32 v22, 16, v22
	v_and_b32_e32 v24, 0xffff, v24
	v_lshlrev_b32_e32 v25, 16, v25
	v_and_b32_e32 v26, 0xffff, v36
	v_cmp_eq_u32_e32 vcc_lo, s38, v1
	v_or_b32_e32 v11, v2, v10
	v_or_b32_e32 v37, v23, v21
	;; [unrolled: 1-line block ×4, first 2 shown]
	v_add_nc_u32_e32 v27, 1, v13
	v_or_b32_e32 v26, 3, v13
	v_or_b32_e32 v25, 2, v13
	;; [unrolled: 1-line block ×6, first 2 shown]
	s_and_saveexec_b32 s18, vcc_lo
	s_cbranch_execz .LBB292_295
; %bb.294:                              ;   in Loop: Header=BB292_232 Depth=1
	v_cmp_gt_i32_e64 s0, s15, v13
	v_lshrrev_b32_e32 v38, 16, v37
	v_lshrrev_b32_e32 v39, 16, v11
	;; [unrolled: 1-line block ×4, first 2 shown]
	v_cndmask_b32_e64 v37, 0, v37, s0
	v_cmp_gt_i32_e64 s0, s14, v27
	s_delay_alu instid0(VALU_DEP_1) | instskip(SKIP_1) | instid1(VALU_DEP_2)
	v_cndmask_b32_e64 v38, 0, v38, s0
	v_cmp_gt_i32_e64 s0, s14, v26
	v_perm_b32 v37, v38, v37, 0x5040100
	s_delay_alu instid0(VALU_DEP_2) | instskip(SKIP_1) | instid1(VALU_DEP_1)
	v_cndmask_b32_e64 v39, 0, v39, s0
	v_cmp_gt_i32_e64 s0, s15, v25
	v_cndmask_b32_e64 v11, 0, v11, s0
	v_cmp_gt_i32_e64 s0, s14, v24
	s_delay_alu instid0(VALU_DEP_2) | instskip(NEXT) | instid1(VALU_DEP_2)
	v_perm_b32 v11, v39, v11, 0x5040100
	v_cndmask_b32_e64 v40, 0, v40, s0
	v_cmp_gt_i32_e64 s0, s15, v23
	s_delay_alu instid0(VALU_DEP_1) | instskip(SKIP_1) | instid1(VALU_DEP_2)
	v_cndmask_b32_e64 v2, 0, v2, s0
	v_cmp_gt_i32_e64 s0, s14, v22
	v_perm_b32 v2, v40, v2, 0x5040100
	s_delay_alu instid0(VALU_DEP_2) | instskip(SKIP_1) | instid1(VALU_DEP_1)
	v_cndmask_b32_e64 v10, 0, v10, s0
	v_cmp_gt_i32_e64 s0, s15, v21
	v_cndmask_b32_e64 v36, 0, v36, s0
	s_delay_alu instid0(VALU_DEP_1)
	v_perm_b32 v10, v10, v36, 0x5040100
.LBB292_295:                            ;   in Loop: Header=BB292_232 Depth=1
	s_or_b32 exec_lo, exec_lo, s18
	v_and_b32_e32 v28, 0xffff, v28
	v_and_b32_e32 v32, 0xffff, v32
	;; [unrolled: 1-line block ×4, first 2 shown]
	s_mov_b32 s18, exec_lo
	s_delay_alu instid0(VALU_DEP_3) | instskip(NEXT) | instid1(VALU_DEP_3)
	v_lshl_or_b32 v32, v30, 16, v32
	v_lshl_or_b32 v31, v31, 16, v36
	v_mov_b32_e32 v36, 0
	v_lshl_or_b32 v30, v34, 16, v35
	v_mov_b32_e32 v35, 0
	v_lshl_or_b32 v33, v29, 16, v28
	;;#ASMSTART
	v_pk_mul_f16 v28, v33, v37;

	;;#ASMEND
	;;#ASMSTART
	v_pk_mul_f16 v11, v32, v11;

	;;#ASMEND
	;; [unrolled: 4-line block ×4, first 2 shown]
	;;#ASMSTART
	v_pk_add_f16 v11, v28, v11;

	;;#ASMEND
	;;#ASMSTART
	v_pk_add_f16 v2, v11, v2;

	;;#ASMEND
	;; [unrolled: 4-line block ×3, first 2 shown]
	v_and_b32_e32 v10, 0xffff, v2
	v_lshrrev_b32_e32 v2, 16, v2
	;;#ASMSTART
	v_cvt_f32_f16 v28, v10;
	;;#ASMEND
	;;#ASMSTART
	v_cvt_f32_f16 v29, v2;
	;;#ASMEND
	global_load_b64 v[10:11], v[8:9], off offset:256
	global_load_b32 v34, v3, s[6:7]
	s_waitcnt vmcnt(1)
	v_and_b32_e32 v2, 0xff, v10
	s_delay_alu instid0(VALU_DEP_1)
	v_cmpx_ne_u16_e32 0, v2
	s_cbranch_execz .LBB292_301
; %bb.296:                              ;   in Loop: Header=BB292_232 Depth=1
	v_bfrev_b32_e32 v35, 1
	s_mov_b32 s20, exec_lo
	v_cmpx_ne_u16_e32 0x80, v2
	s_cbranch_execz .LBB292_300
; %bb.297:                              ;   in Loop: Header=BB292_232 Depth=1
	v_and_b32_e32 v2, 0x7f, v10
	v_mov_b32_e32 v35, 0x7fc02000
	s_mov_b32 s21, exec_lo
	s_delay_alu instid0(VALU_DEP_2)
	v_cmpx_ne_u32_e32 0x7f, v2
	s_cbranch_execz .LBB292_299
; %bb.298:                              ;   in Loop: Header=BB292_232 Depth=1
	v_and_b32_e32 v35, 7, v10
	v_cmp_gt_u32_e64 s0, 8, v2
	v_lshrrev_b32_e32 v37, 3, v2
	s_delay_alu instid0(VALU_DEP_3) | instskip(NEXT) | instid1(VALU_DEP_1)
	v_clz_i32_u32_e32 v35, v35
	v_min_u32_e32 v35, 32, v35
	s_delay_alu instid0(VALU_DEP_1) | instskip(SKIP_1) | instid1(VALU_DEP_2)
	v_subrev_nc_u32_e32 v38, 28, v35
	v_sub_nc_u32_e32 v35, 29, v35
	v_cndmask_b32_e64 v2, 0, v38, s0
	s_delay_alu instid0(VALU_DEP_2) | instskip(NEXT) | instid1(VALU_DEP_2)
	v_cndmask_b32_e64 v35, v37, v35, s0
	v_lshlrev_b64 v[37:38], v2, v[10:11]
	v_lshlrev_b32_e32 v2, 8, v10
	s_delay_alu instid0(VALU_DEP_3) | instskip(NEXT) | instid1(VALU_DEP_3)
	v_lshl_add_u32 v35, v35, 10, 0x2000
	v_lshlrev_b32_e32 v37, 7, v37
	s_delay_alu instid0(VALU_DEP_2) | instskip(NEXT) | instid1(VALU_DEP_1)
	v_and_or_b32 v2, 0x8000, v2, v35
	v_and_or_b32 v2, 0x380, v37, v2
	s_delay_alu instid0(VALU_DEP_1)
	v_cvt_f32_f16_e32 v35, v2
.LBB292_299:                            ;   in Loop: Header=BB292_232 Depth=1
	s_or_b32 exec_lo, exec_lo, s21
.LBB292_300:                            ;   in Loop: Header=BB292_232 Depth=1
	s_delay_alu instid0(SALU_CYCLE_1)
	s_or_b32 exec_lo, exec_lo, s20
.LBB292_301:                            ;   in Loop: Header=BB292_232 Depth=1
	s_delay_alu instid0(SALU_CYCLE_1) | instskip(SKIP_2) | instid1(VALU_DEP_1)
	s_or_b32 exec_lo, exec_lo, s18
	v_lshrrev_b16 v2, 8, v10
	s_mov_b32 s18, exec_lo
	v_cmpx_ne_u16_e32 0, v2
	s_cbranch_execz .LBB292_309
; %bb.302:                              ;   in Loop: Header=BB292_232 Depth=1
	v_bfrev_b32_e32 v36, 1
	s_mov_b32 s20, exec_lo
	v_cmpx_ne_u16_e32 0x80, v2
	s_cbranch_execz .LBB292_308
; %bb.303:                              ;   in Loop: Header=BB292_232 Depth=1
	v_and_b32_e32 v37, 0xffff, v2
	v_mov_b32_e32 v36, 0x7fc02000
	s_mov_b32 s21, exec_lo
	s_delay_alu instid0(VALU_DEP_2) | instskip(NEXT) | instid1(VALU_DEP_1)
	v_and_b32_e32 v38, 0x7f, v37
	v_cmpx_ne_u32_e32 0x7f, v38
	s_cbranch_execz .LBB292_307
; %bb.304:                              ;   in Loop: Header=BB292_232 Depth=1
	v_and_b32_e32 v2, 7, v37
	v_lshrrev_b32_e32 v36, 3, v38
	s_mov_b32 s22, exec_lo
	v_cmpx_gt_u32_e32 8, v38
; %bb.305:                              ;   in Loop: Header=BB292_232 Depth=1
	s_delay_alu instid0(VALU_DEP_3) | instskip(NEXT) | instid1(VALU_DEP_1)
	v_clz_i32_u32_e32 v36, v2
	v_min_u32_e32 v36, 32, v36
	s_delay_alu instid0(VALU_DEP_1) | instskip(SKIP_1) | instid1(VALU_DEP_2)
	v_subrev_nc_u32_e32 v38, 28, v36
	v_sub_nc_u32_e32 v36, 29, v36
	v_lshlrev_b64 v[38:39], v38, v[2:3]
	s_delay_alu instid0(VALU_DEP_1)
	v_and_b32_e32 v2, 7, v38
; %bb.306:                              ;   in Loop: Header=BB292_232 Depth=1
	s_or_b32 exec_lo, exec_lo, s22
	v_lshlrev_b32_e32 v37, 8, v37
	v_lshl_add_u32 v36, v36, 10, 0x2000
	s_delay_alu instid0(VALU_DEP_1) | instskip(NEXT) | instid1(VALU_DEP_1)
	v_and_or_b32 v36, 0x8000, v37, v36
	v_lshl_or_b32 v2, v2, 7, v36
	s_delay_alu instid0(VALU_DEP_1)
	v_cvt_f32_f16_e32 v36, v2
.LBB292_307:                            ;   in Loop: Header=BB292_232 Depth=1
	s_or_b32 exec_lo, exec_lo, s21
.LBB292_308:                            ;   in Loop: Header=BB292_232 Depth=1
	s_delay_alu instid0(SALU_CYCLE_1)
	s_or_b32 exec_lo, exec_lo, s20
.LBB292_309:                            ;   in Loop: Header=BB292_232 Depth=1
	s_delay_alu instid0(SALU_CYCLE_1) | instskip(SKIP_3) | instid1(VALU_DEP_2)
	s_or_b32 exec_lo, exec_lo, s18
	v_lshrrev_b32_e32 v39, 16, v10
	v_mov_b32_e32 v38, 0
	s_mov_b32 s18, exec_lo
	v_dual_mov_b32 v37, 0 :: v_dual_and_b32 v2, 0xff, v39
	s_delay_alu instid0(VALU_DEP_1)
	v_cmpx_ne_u16_e32 0, v2
	s_cbranch_execz .LBB292_317
; %bb.310:                              ;   in Loop: Header=BB292_232 Depth=1
	v_bfrev_b32_e32 v37, 1
	s_mov_b32 s20, exec_lo
	v_cmpx_ne_u16_e32 0x80, v2
	s_cbranch_execz .LBB292_316
; %bb.311:                              ;   in Loop: Header=BB292_232 Depth=1
	v_bfe_u32 v40, v10, 16, 7
	v_mov_b32_e32 v37, 0x7fc02000
	s_mov_b32 s21, exec_lo
	s_delay_alu instid0(VALU_DEP_2)
	v_cmpx_ne_u32_e32 0x7f, v40
	s_cbranch_execz .LBB292_315
; %bb.312:                              ;   in Loop: Header=BB292_232 Depth=1
	v_and_b32_e32 v2, 7, v39
	v_lshrrev_b32_e32 v37, 3, v40
	s_mov_b32 s22, exec_lo
	v_cmpx_gt_u32_e32 8, v40
; %bb.313:                              ;   in Loop: Header=BB292_232 Depth=1
	s_delay_alu instid0(VALU_DEP_3) | instskip(NEXT) | instid1(VALU_DEP_1)
	v_clz_i32_u32_e32 v37, v2
	v_min_u32_e32 v37, 32, v37
	s_delay_alu instid0(VALU_DEP_1) | instskip(SKIP_1) | instid1(VALU_DEP_2)
	v_subrev_nc_u32_e32 v40, 28, v37
	v_sub_nc_u32_e32 v37, 29, v37
	v_lshlrev_b64 v[40:41], v40, v[2:3]
	s_delay_alu instid0(VALU_DEP_1)
	v_and_b32_e32 v2, 7, v40
; %bb.314:                              ;   in Loop: Header=BB292_232 Depth=1
	s_or_b32 exec_lo, exec_lo, s22
	v_lshlrev_b32_e32 v39, 8, v39
	v_lshl_add_u32 v37, v37, 10, 0x2000
	s_delay_alu instid0(VALU_DEP_1) | instskip(NEXT) | instid1(VALU_DEP_1)
	v_and_or_b32 v37, 0x8000, v39, v37
	v_lshl_or_b32 v2, v2, 7, v37
	s_delay_alu instid0(VALU_DEP_1)
	v_cvt_f32_f16_e32 v37, v2
.LBB292_315:                            ;   in Loop: Header=BB292_232 Depth=1
	s_or_b32 exec_lo, exec_lo, s21
.LBB292_316:                            ;   in Loop: Header=BB292_232 Depth=1
	s_delay_alu instid0(SALU_CYCLE_1)
	s_or_b32 exec_lo, exec_lo, s20
.LBB292_317:                            ;   in Loop: Header=BB292_232 Depth=1
	s_delay_alu instid0(SALU_CYCLE_1) | instskip(NEXT) | instid1(SALU_CYCLE_1)
	s_or_b32 exec_lo, exec_lo, s18
	s_mov_b32 s18, exec_lo
	v_cmpx_lt_u32_e32 0xffffff, v10
	s_cbranch_execz .LBB292_325
; %bb.318:                              ;   in Loop: Header=BB292_232 Depth=1
	v_lshrrev_b32_e32 v39, 24, v10
	v_bfrev_b32_e32 v38, 1
	s_mov_b32 s20, exec_lo
	s_delay_alu instid0(VALU_DEP_2)
	v_cmpx_ne_u32_e32 0x80, v39
	s_cbranch_execz .LBB292_324
; %bb.319:                              ;   in Loop: Header=BB292_232 Depth=1
	v_and_b32_e32 v40, 0x7f, v39
	v_mov_b32_e32 v38, 0x7fc02000
	s_mov_b32 s21, exec_lo
	s_delay_alu instid0(VALU_DEP_2)
	v_cmpx_ne_u32_e32 0x7f, v40
	s_cbranch_execz .LBB292_323
; %bb.320:                              ;   in Loop: Header=BB292_232 Depth=1
	v_and_b32_e32 v2, 7, v39
	v_lshrrev_b32_e32 v38, 3, v40
	s_mov_b32 s22, exec_lo
	v_cmpx_gt_u32_e32 8, v40
; %bb.321:                              ;   in Loop: Header=BB292_232 Depth=1
	s_delay_alu instid0(VALU_DEP_3) | instskip(NEXT) | instid1(VALU_DEP_1)
	v_clz_i32_u32_e32 v38, v2
	v_min_u32_e32 v38, 32, v38
	s_delay_alu instid0(VALU_DEP_1) | instskip(SKIP_1) | instid1(VALU_DEP_2)
	v_subrev_nc_u32_e32 v40, 28, v38
	v_sub_nc_u32_e32 v38, 29, v38
	v_lshlrev_b64 v[40:41], v40, v[2:3]
	s_delay_alu instid0(VALU_DEP_1)
	v_and_b32_e32 v2, 7, v40
; %bb.322:                              ;   in Loop: Header=BB292_232 Depth=1
	s_or_b32 exec_lo, exec_lo, s22
	v_lshlrev_b32_e32 v39, 8, v39
	v_lshl_add_u32 v38, v38, 10, 0x2000
	s_delay_alu instid0(VALU_DEP_1) | instskip(NEXT) | instid1(VALU_DEP_1)
	v_and_or_b32 v38, 0x8000, v39, v38
	v_lshl_or_b32 v2, v2, 7, v38
	s_delay_alu instid0(VALU_DEP_1)
	v_cvt_f32_f16_e32 v38, v2
.LBB292_323:                            ;   in Loop: Header=BB292_232 Depth=1
	s_or_b32 exec_lo, exec_lo, s21
.LBB292_324:                            ;   in Loop: Header=BB292_232 Depth=1
	s_delay_alu instid0(SALU_CYCLE_1)
	s_or_b32 exec_lo, exec_lo, s20
.LBB292_325:                            ;   in Loop: Header=BB292_232 Depth=1
	s_delay_alu instid0(SALU_CYCLE_1) | instskip(SKIP_3) | instid1(VALU_DEP_2)
	s_or_b32 exec_lo, exec_lo, s18
	v_dual_mov_b32 v2, v11 :: v_dual_and_b32 v41, 0xff, v11
	v_dual_mov_b32 v40, 0 :: v_dual_mov_b32 v39, 0
	s_mov_b32 s18, exec_lo
	v_cmpx_ne_u16_e32 0, v41
	s_cbranch_execz .LBB292_331
; %bb.326:                              ;   in Loop: Header=BB292_232 Depth=1
	v_bfrev_b32_e32 v39, 1
	s_mov_b32 s20, exec_lo
	v_cmpx_ne_u16_e32 0x80, v41
	s_cbranch_execz .LBB292_330
; %bb.327:                              ;   in Loop: Header=BB292_232 Depth=1
	v_and_b32_e32 v41, 0x7f, v11
	v_mov_b32_e32 v39, 0x7fc02000
	s_mov_b32 s21, exec_lo
	s_delay_alu instid0(VALU_DEP_2)
	v_cmpx_ne_u32_e32 0x7f, v41
	s_cbranch_execz .LBB292_329
; %bb.328:                              ;   in Loop: Header=BB292_232 Depth=1
	v_and_b32_e32 v39, 7, v11
	v_cmp_gt_u32_e64 s0, 8, v41
	v_lshrrev_b32_e32 v42, 3, v41
	s_delay_alu instid0(VALU_DEP_3) | instskip(NEXT) | instid1(VALU_DEP_1)
	v_clz_i32_u32_e32 v39, v39
	v_min_u32_e32 v39, 32, v39
	s_delay_alu instid0(VALU_DEP_1) | instskip(SKIP_1) | instid1(VALU_DEP_2)
	v_subrev_nc_u32_e32 v43, 28, v39
	v_sub_nc_u32_e32 v39, 29, v39
	v_cndmask_b32_e64 v41, 0, v43, s0
	s_delay_alu instid0(VALU_DEP_2) | instskip(NEXT) | instid1(VALU_DEP_2)
	v_cndmask_b32_e64 v39, v42, v39, s0
	v_lshlrev_b64 v[41:42], v41, v[2:3]
	v_lshlrev_b32_e32 v42, 8, v11
	s_delay_alu instid0(VALU_DEP_3) | instskip(NEXT) | instid1(VALU_DEP_3)
	v_lshl_add_u32 v39, v39, 10, 0x2000
	v_lshlrev_b32_e32 v41, 7, v41
	s_delay_alu instid0(VALU_DEP_2) | instskip(NEXT) | instid1(VALU_DEP_1)
	v_and_or_b32 v39, 0x8000, v42, v39
	v_and_or_b32 v39, 0x380, v41, v39
	s_delay_alu instid0(VALU_DEP_1)
	v_cvt_f32_f16_e32 v39, v39
.LBB292_329:                            ;   in Loop: Header=BB292_232 Depth=1
	s_or_b32 exec_lo, exec_lo, s21
.LBB292_330:                            ;   in Loop: Header=BB292_232 Depth=1
	s_delay_alu instid0(SALU_CYCLE_1)
	s_or_b32 exec_lo, exec_lo, s20
.LBB292_331:                            ;   in Loop: Header=BB292_232 Depth=1
	s_delay_alu instid0(SALU_CYCLE_1) | instskip(SKIP_2) | instid1(VALU_DEP_1)
	s_or_b32 exec_lo, exec_lo, s18
	v_lshrrev_b16 v2, 8, v2
	s_mov_b32 s18, exec_lo
	v_cmpx_ne_u16_e32 0, v2
	s_cbranch_execz .LBB292_339
; %bb.332:                              ;   in Loop: Header=BB292_232 Depth=1
	v_bfrev_b32_e32 v40, 1
	s_mov_b32 s20, exec_lo
	v_cmpx_ne_u16_e32 0x80, v2
	s_cbranch_execz .LBB292_338
; %bb.333:                              ;   in Loop: Header=BB292_232 Depth=1
	v_and_b32_e32 v41, 0xffff, v2
	v_mov_b32_e32 v40, 0x7fc02000
	s_mov_b32 s21, exec_lo
	s_delay_alu instid0(VALU_DEP_2) | instskip(NEXT) | instid1(VALU_DEP_1)
	v_and_b32_e32 v42, 0x7f, v41
	v_cmpx_ne_u32_e32 0x7f, v42
	s_cbranch_execz .LBB292_337
; %bb.334:                              ;   in Loop: Header=BB292_232 Depth=1
	v_and_b32_e32 v2, 7, v41
	v_lshrrev_b32_e32 v40, 3, v42
	s_mov_b32 s22, exec_lo
	v_cmpx_gt_u32_e32 8, v42
; %bb.335:                              ;   in Loop: Header=BB292_232 Depth=1
	s_delay_alu instid0(VALU_DEP_3) | instskip(NEXT) | instid1(VALU_DEP_1)
	v_clz_i32_u32_e32 v40, v2
	v_min_u32_e32 v40, 32, v40
	s_delay_alu instid0(VALU_DEP_1) | instskip(SKIP_1) | instid1(VALU_DEP_2)
	v_subrev_nc_u32_e32 v42, 28, v40
	v_sub_nc_u32_e32 v40, 29, v40
	v_lshlrev_b64 v[42:43], v42, v[2:3]
	s_delay_alu instid0(VALU_DEP_1)
	v_and_b32_e32 v2, 7, v42
; %bb.336:                              ;   in Loop: Header=BB292_232 Depth=1
	s_or_b32 exec_lo, exec_lo, s22
	v_lshlrev_b32_e32 v41, 8, v41
	v_lshl_add_u32 v40, v40, 10, 0x2000
	s_delay_alu instid0(VALU_DEP_1) | instskip(NEXT) | instid1(VALU_DEP_1)
	v_and_or_b32 v40, 0x8000, v41, v40
	v_lshl_or_b32 v2, v2, 7, v40
	s_delay_alu instid0(VALU_DEP_1)
	v_cvt_f32_f16_e32 v40, v2
.LBB292_337:                            ;   in Loop: Header=BB292_232 Depth=1
	s_or_b32 exec_lo, exec_lo, s21
.LBB292_338:                            ;   in Loop: Header=BB292_232 Depth=1
	s_delay_alu instid0(SALU_CYCLE_1)
	s_or_b32 exec_lo, exec_lo, s20
.LBB292_339:                            ;   in Loop: Header=BB292_232 Depth=1
	s_delay_alu instid0(SALU_CYCLE_1) | instskip(SKIP_3) | instid1(VALU_DEP_2)
	s_or_b32 exec_lo, exec_lo, s18
	v_lshrrev_b32_e32 v43, 16, v11
	v_mov_b32_e32 v42, 0
	s_mov_b32 s18, exec_lo
	v_dual_mov_b32 v41, 0 :: v_dual_and_b32 v2, 0xff, v43
	s_delay_alu instid0(VALU_DEP_1)
	v_cmpx_ne_u16_e32 0, v2
	s_cbranch_execz .LBB292_347
; %bb.340:                              ;   in Loop: Header=BB292_232 Depth=1
	v_bfrev_b32_e32 v41, 1
	s_mov_b32 s20, exec_lo
	v_cmpx_ne_u16_e32 0x80, v2
	s_cbranch_execz .LBB292_346
; %bb.341:                              ;   in Loop: Header=BB292_232 Depth=1
	v_bfe_u32 v44, v11, 16, 7
	v_mov_b32_e32 v41, 0x7fc02000
	s_mov_b32 s21, exec_lo
	s_delay_alu instid0(VALU_DEP_2)
	v_cmpx_ne_u32_e32 0x7f, v44
	s_cbranch_execz .LBB292_345
; %bb.342:                              ;   in Loop: Header=BB292_232 Depth=1
	v_and_b32_e32 v2, 7, v43
	v_lshrrev_b32_e32 v41, 3, v44
	s_mov_b32 s22, exec_lo
	v_cmpx_gt_u32_e32 8, v44
; %bb.343:                              ;   in Loop: Header=BB292_232 Depth=1
	s_delay_alu instid0(VALU_DEP_3) | instskip(NEXT) | instid1(VALU_DEP_1)
	v_clz_i32_u32_e32 v41, v2
	v_min_u32_e32 v41, 32, v41
	s_delay_alu instid0(VALU_DEP_1) | instskip(SKIP_1) | instid1(VALU_DEP_2)
	v_subrev_nc_u32_e32 v44, 28, v41
	v_sub_nc_u32_e32 v41, 29, v41
	v_lshlrev_b64 v[44:45], v44, v[2:3]
	s_delay_alu instid0(VALU_DEP_1)
	v_and_b32_e32 v2, 7, v44
; %bb.344:                              ;   in Loop: Header=BB292_232 Depth=1
	s_or_b32 exec_lo, exec_lo, s22
	v_lshlrev_b32_e32 v43, 8, v43
	v_lshl_add_u32 v41, v41, 10, 0x2000
	s_delay_alu instid0(VALU_DEP_1) | instskip(NEXT) | instid1(VALU_DEP_1)
	v_and_or_b32 v41, 0x8000, v43, v41
	v_lshl_or_b32 v2, v2, 7, v41
	s_delay_alu instid0(VALU_DEP_1)
	v_cvt_f32_f16_e32 v41, v2
.LBB292_345:                            ;   in Loop: Header=BB292_232 Depth=1
	s_or_b32 exec_lo, exec_lo, s21
.LBB292_346:                            ;   in Loop: Header=BB292_232 Depth=1
	s_delay_alu instid0(SALU_CYCLE_1)
	s_or_b32 exec_lo, exec_lo, s20
.LBB292_347:                            ;   in Loop: Header=BB292_232 Depth=1
	s_delay_alu instid0(SALU_CYCLE_1) | instskip(NEXT) | instid1(SALU_CYCLE_1)
	s_or_b32 exec_lo, exec_lo, s18
	s_mov_b32 s18, exec_lo
	v_cmpx_lt_u64_e64 s[2:3], v[10:11]
	s_cbranch_execz .LBB292_355
; %bb.348:                              ;   in Loop: Header=BB292_232 Depth=1
	v_lshrrev_b32_e32 v10, 24, v11
	v_bfrev_b32_e32 v42, 1
	s_mov_b32 s20, exec_lo
	s_delay_alu instid0(VALU_DEP_2)
	v_cmpx_ne_u32_e32 0x80, v10
	s_cbranch_execz .LBB292_354
; %bb.349:                              ;   in Loop: Header=BB292_232 Depth=1
	v_and_b32_e32 v43, 0x7f, v10
	v_mov_b32_e32 v42, 0x7fc02000
	s_mov_b32 s21, exec_lo
	s_delay_alu instid0(VALU_DEP_2)
	v_cmpx_ne_u32_e32 0x7f, v43
	s_cbranch_execz .LBB292_353
; %bb.350:                              ;   in Loop: Header=BB292_232 Depth=1
	v_and_b32_e32 v2, 7, v10
	v_lshrrev_b32_e32 v11, 3, v43
	s_mov_b32 s22, exec_lo
	v_cmpx_gt_u32_e32 8, v43
; %bb.351:                              ;   in Loop: Header=BB292_232 Depth=1
	s_delay_alu instid0(VALU_DEP_3) | instskip(NEXT) | instid1(VALU_DEP_1)
	v_clz_i32_u32_e32 v11, v2
	v_min_u32_e32 v11, 32, v11
	s_delay_alu instid0(VALU_DEP_1) | instskip(SKIP_1) | instid1(VALU_DEP_2)
	v_subrev_nc_u32_e32 v42, 28, v11
	v_sub_nc_u32_e32 v11, 29, v11
	v_lshlrev_b64 v[42:43], v42, v[2:3]
	s_delay_alu instid0(VALU_DEP_1)
	v_and_b32_e32 v2, 7, v42
; %bb.352:                              ;   in Loop: Header=BB292_232 Depth=1
	s_or_b32 exec_lo, exec_lo, s22
	v_lshlrev_b32_e32 v10, 8, v10
	v_lshl_add_u32 v11, v11, 10, 0x2000
	s_delay_alu instid0(VALU_DEP_1) | instskip(NEXT) | instid1(VALU_DEP_1)
	v_and_or_b32 v10, 0x8000, v10, v11
	v_lshl_or_b32 v2, v2, 7, v10
	s_delay_alu instid0(VALU_DEP_1)
	v_cvt_f32_f16_e32 v42, v2
.LBB292_353:                            ;   in Loop: Header=BB292_232 Depth=1
	s_or_b32 exec_lo, exec_lo, s21
.LBB292_354:                            ;   in Loop: Header=BB292_232 Depth=1
	s_delay_alu instid0(SALU_CYCLE_1)
	s_or_b32 exec_lo, exec_lo, s20
.LBB292_355:                            ;   in Loop: Header=BB292_232 Depth=1
	s_delay_alu instid0(SALU_CYCLE_1)
	s_or_b32 exec_lo, exec_lo, s18
	s_waitcnt vmcnt(0)
	v_fma_mixlo_f16 v11, v34, v36, 0
	v_fma_mixlo_f16 v2, v34, v38, 0
	;; [unrolled: 1-line block ×5, first 2 shown]
	v_lshlrev_b32_e32 v36, 16, v11
	v_fma_mixlo_f16 v38, v34, v39, 0
	v_fma_mixlo_f16 v39, v34, v42, 0
	;; [unrolled: 1-line block ×3, first 2 shown]
	v_lshlrev_b32_e32 v2, 16, v2
	v_and_b32_e32 v10, 0xffff, v10
	v_and_b32_e32 v35, 0xffff, v35
	v_lshlrev_b32_e32 v37, 16, v37
	v_and_b32_e32 v38, 0xffff, v38
	v_lshlrev_b32_e32 v39, 16, v39
	v_and_b32_e32 v40, 0xffff, v11
	v_or_b32_e32 v34, v2, v10
	v_or_b32_e32 v35, v36, v35
	;; [unrolled: 1-line block ×3, first 2 shown]
	s_delay_alu instid0(VALU_DEP_4)
	v_or_b32_e32 v10, v39, v40
	s_and_saveexec_b32 s18, vcc_lo
	s_cbranch_execz .LBB292_357
; %bb.356:                              ;   in Loop: Header=BB292_232 Depth=1
	v_cmp_gt_i32_e64 s0, s15, v13
	v_lshrrev_b32_e32 v36, 16, v35
	v_lshrrev_b32_e32 v37, 16, v34
	;; [unrolled: 1-line block ×4, first 2 shown]
	v_cndmask_b32_e64 v35, 0, v35, s0
	v_cmp_gt_i32_e64 s0, s14, v27
	s_delay_alu instid0(VALU_DEP_1) | instskip(SKIP_1) | instid1(VALU_DEP_2)
	v_cndmask_b32_e64 v36, 0, v36, s0
	v_cmp_gt_i32_e64 s0, s14, v26
	v_perm_b32 v35, v36, v35, 0x5040100
	s_delay_alu instid0(VALU_DEP_2) | instskip(SKIP_1) | instid1(VALU_DEP_1)
	v_cndmask_b32_e64 v37, 0, v37, s0
	v_cmp_gt_i32_e64 s0, s15, v25
	v_cndmask_b32_e64 v34, 0, v34, s0
	v_cmp_gt_i32_e64 s0, s14, v24
	s_delay_alu instid0(VALU_DEP_2) | instskip(NEXT) | instid1(VALU_DEP_2)
	v_perm_b32 v34, v37, v34, 0x5040100
	v_cndmask_b32_e64 v38, 0, v38, s0
	v_cmp_gt_i32_e64 s0, s15, v23
	s_delay_alu instid0(VALU_DEP_1) | instskip(SKIP_1) | instid1(VALU_DEP_2)
	v_cndmask_b32_e64 v2, 0, v2, s0
	v_cmp_gt_i32_e64 s0, s14, v22
	v_perm_b32 v2, v38, v2, 0x5040100
	s_delay_alu instid0(VALU_DEP_2) | instskip(SKIP_1) | instid1(VALU_DEP_1)
	v_cndmask_b32_e64 v10, 0, v10, s0
	v_cmp_gt_i32_e64 s0, s15, v21
	v_cndmask_b32_e64 v11, 0, v11, s0
	s_delay_alu instid0(VALU_DEP_1)
	v_perm_b32 v10, v10, v11, 0x5040100
.LBB292_357:                            ;   in Loop: Header=BB292_232 Depth=1
	s_or_b32 exec_lo, exec_lo, s18
	;;#ASMSTART
	v_pk_mul_f16 v11, v33, v35;

	;;#ASMEND
	;;#ASMSTART
	v_pk_mul_f16 v34, v32, v34;

	;;#ASMEND
	;; [unrolled: 4-line block ×4, first 2 shown]
	;;#ASMSTART
	v_pk_add_f16 v11, v11, v34;

	;;#ASMEND
	;;#ASMSTART
	v_pk_add_f16 v2, v11, v2;

	;;#ASMEND
	;; [unrolled: 4-line block ×3, first 2 shown]
	v_dual_mov_b32 v35, 0 :: v_dual_and_b32 v10, 0xffff, v2
	v_lshrrev_b32_e32 v2, 16, v2
	;;#ASMSTART
	v_cvt_f32_f16 v10, v10;
	;;#ASMEND
	;;#ASMSTART
	v_cvt_f32_f16 v11, v2;
	;;#ASMEND
	global_load_b64 v[8:9], v[8:9], off offset:512
	global_load_b32 v34, v3, s[6:7]
	v_mov_b32_e32 v36, 0
	s_mov_b32 s18, exec_lo
	s_waitcnt vmcnt(1)
	v_and_b32_e32 v2, 0xff, v8
	s_delay_alu instid0(VALU_DEP_1)
	v_cmpx_ne_u16_e32 0, v2
	s_cbranch_execz .LBB292_363
; %bb.358:                              ;   in Loop: Header=BB292_232 Depth=1
	v_bfrev_b32_e32 v35, 1
	s_mov_b32 s20, exec_lo
	v_cmpx_ne_u16_e32 0x80, v2
	s_cbranch_execz .LBB292_362
; %bb.359:                              ;   in Loop: Header=BB292_232 Depth=1
	v_and_b32_e32 v2, 0x7f, v8
	v_mov_b32_e32 v35, 0x7fc02000
	s_mov_b32 s21, exec_lo
	s_delay_alu instid0(VALU_DEP_2)
	v_cmpx_ne_u32_e32 0x7f, v2
	s_cbranch_execz .LBB292_361
; %bb.360:                              ;   in Loop: Header=BB292_232 Depth=1
	v_and_b32_e32 v35, 7, v8
	v_cmp_gt_u32_e64 s0, 8, v2
	v_lshrrev_b32_e32 v37, 3, v2
	s_delay_alu instid0(VALU_DEP_3) | instskip(NEXT) | instid1(VALU_DEP_1)
	v_clz_i32_u32_e32 v35, v35
	v_min_u32_e32 v35, 32, v35
	s_delay_alu instid0(VALU_DEP_1) | instskip(SKIP_1) | instid1(VALU_DEP_2)
	v_subrev_nc_u32_e32 v38, 28, v35
	v_sub_nc_u32_e32 v35, 29, v35
	v_cndmask_b32_e64 v2, 0, v38, s0
	s_delay_alu instid0(VALU_DEP_2) | instskip(NEXT) | instid1(VALU_DEP_2)
	v_cndmask_b32_e64 v35, v37, v35, s0
	v_lshlrev_b64 v[37:38], v2, v[8:9]
	v_lshlrev_b32_e32 v2, 8, v8
	s_delay_alu instid0(VALU_DEP_3) | instskip(NEXT) | instid1(VALU_DEP_3)
	v_lshl_add_u32 v35, v35, 10, 0x2000
	v_lshlrev_b32_e32 v37, 7, v37
	s_delay_alu instid0(VALU_DEP_2) | instskip(NEXT) | instid1(VALU_DEP_1)
	v_and_or_b32 v2, 0x8000, v2, v35
	v_and_or_b32 v2, 0x380, v37, v2
	s_delay_alu instid0(VALU_DEP_1)
	v_cvt_f32_f16_e32 v35, v2
.LBB292_361:                            ;   in Loop: Header=BB292_232 Depth=1
	s_or_b32 exec_lo, exec_lo, s21
.LBB292_362:                            ;   in Loop: Header=BB292_232 Depth=1
	s_delay_alu instid0(SALU_CYCLE_1)
	s_or_b32 exec_lo, exec_lo, s20
.LBB292_363:                            ;   in Loop: Header=BB292_232 Depth=1
	s_delay_alu instid0(SALU_CYCLE_1) | instskip(SKIP_2) | instid1(VALU_DEP_1)
	s_or_b32 exec_lo, exec_lo, s18
	v_lshrrev_b16 v2, 8, v8
	s_mov_b32 s18, exec_lo
	v_cmpx_ne_u16_e32 0, v2
	s_cbranch_execz .LBB292_371
; %bb.364:                              ;   in Loop: Header=BB292_232 Depth=1
	v_bfrev_b32_e32 v36, 1
	s_mov_b32 s20, exec_lo
	v_cmpx_ne_u16_e32 0x80, v2
	s_cbranch_execz .LBB292_370
; %bb.365:                              ;   in Loop: Header=BB292_232 Depth=1
	v_and_b32_e32 v37, 0xffff, v2
	v_mov_b32_e32 v36, 0x7fc02000
	s_mov_b32 s21, exec_lo
	s_delay_alu instid0(VALU_DEP_2) | instskip(NEXT) | instid1(VALU_DEP_1)
	v_and_b32_e32 v38, 0x7f, v37
	v_cmpx_ne_u32_e32 0x7f, v38
	s_cbranch_execz .LBB292_369
; %bb.366:                              ;   in Loop: Header=BB292_232 Depth=1
	v_and_b32_e32 v2, 7, v37
	v_lshrrev_b32_e32 v36, 3, v38
	s_mov_b32 s22, exec_lo
	v_cmpx_gt_u32_e32 8, v38
; %bb.367:                              ;   in Loop: Header=BB292_232 Depth=1
	s_delay_alu instid0(VALU_DEP_3) | instskip(NEXT) | instid1(VALU_DEP_1)
	v_clz_i32_u32_e32 v36, v2
	v_min_u32_e32 v36, 32, v36
	s_delay_alu instid0(VALU_DEP_1) | instskip(SKIP_1) | instid1(VALU_DEP_2)
	v_subrev_nc_u32_e32 v38, 28, v36
	v_sub_nc_u32_e32 v36, 29, v36
	v_lshlrev_b64 v[38:39], v38, v[2:3]
	s_delay_alu instid0(VALU_DEP_1)
	v_and_b32_e32 v2, 7, v38
; %bb.368:                              ;   in Loop: Header=BB292_232 Depth=1
	s_or_b32 exec_lo, exec_lo, s22
	v_lshlrev_b32_e32 v37, 8, v37
	v_lshl_add_u32 v36, v36, 10, 0x2000
	s_delay_alu instid0(VALU_DEP_1) | instskip(NEXT) | instid1(VALU_DEP_1)
	v_and_or_b32 v36, 0x8000, v37, v36
	v_lshl_or_b32 v2, v2, 7, v36
	s_delay_alu instid0(VALU_DEP_1)
	v_cvt_f32_f16_e32 v36, v2
.LBB292_369:                            ;   in Loop: Header=BB292_232 Depth=1
	s_or_b32 exec_lo, exec_lo, s21
.LBB292_370:                            ;   in Loop: Header=BB292_232 Depth=1
	s_delay_alu instid0(SALU_CYCLE_1)
	s_or_b32 exec_lo, exec_lo, s20
.LBB292_371:                            ;   in Loop: Header=BB292_232 Depth=1
	s_delay_alu instid0(SALU_CYCLE_1) | instskip(SKIP_3) | instid1(VALU_DEP_2)
	s_or_b32 exec_lo, exec_lo, s18
	v_lshrrev_b32_e32 v39, 16, v8
	v_mov_b32_e32 v38, 0
	s_mov_b32 s18, exec_lo
	v_dual_mov_b32 v37, 0 :: v_dual_and_b32 v2, 0xff, v39
	s_delay_alu instid0(VALU_DEP_1)
	v_cmpx_ne_u16_e32 0, v2
	s_cbranch_execz .LBB292_379
; %bb.372:                              ;   in Loop: Header=BB292_232 Depth=1
	v_bfrev_b32_e32 v37, 1
	s_mov_b32 s20, exec_lo
	v_cmpx_ne_u16_e32 0x80, v2
	s_cbranch_execz .LBB292_378
; %bb.373:                              ;   in Loop: Header=BB292_232 Depth=1
	v_bfe_u32 v40, v8, 16, 7
	v_mov_b32_e32 v37, 0x7fc02000
	s_mov_b32 s21, exec_lo
	s_delay_alu instid0(VALU_DEP_2)
	v_cmpx_ne_u32_e32 0x7f, v40
	s_cbranch_execz .LBB292_377
; %bb.374:                              ;   in Loop: Header=BB292_232 Depth=1
	v_and_b32_e32 v2, 7, v39
	v_lshrrev_b32_e32 v37, 3, v40
	s_mov_b32 s22, exec_lo
	v_cmpx_gt_u32_e32 8, v40
; %bb.375:                              ;   in Loop: Header=BB292_232 Depth=1
	s_delay_alu instid0(VALU_DEP_3) | instskip(NEXT) | instid1(VALU_DEP_1)
	v_clz_i32_u32_e32 v37, v2
	v_min_u32_e32 v37, 32, v37
	s_delay_alu instid0(VALU_DEP_1) | instskip(SKIP_1) | instid1(VALU_DEP_2)
	v_subrev_nc_u32_e32 v40, 28, v37
	v_sub_nc_u32_e32 v37, 29, v37
	v_lshlrev_b64 v[40:41], v40, v[2:3]
	s_delay_alu instid0(VALU_DEP_1)
	v_and_b32_e32 v2, 7, v40
; %bb.376:                              ;   in Loop: Header=BB292_232 Depth=1
	s_or_b32 exec_lo, exec_lo, s22
	v_lshlrev_b32_e32 v39, 8, v39
	v_lshl_add_u32 v37, v37, 10, 0x2000
	s_delay_alu instid0(VALU_DEP_1) | instskip(NEXT) | instid1(VALU_DEP_1)
	v_and_or_b32 v37, 0x8000, v39, v37
	v_lshl_or_b32 v2, v2, 7, v37
	s_delay_alu instid0(VALU_DEP_1)
	v_cvt_f32_f16_e32 v37, v2
.LBB292_377:                            ;   in Loop: Header=BB292_232 Depth=1
	s_or_b32 exec_lo, exec_lo, s21
.LBB292_378:                            ;   in Loop: Header=BB292_232 Depth=1
	s_delay_alu instid0(SALU_CYCLE_1)
	s_or_b32 exec_lo, exec_lo, s20
.LBB292_379:                            ;   in Loop: Header=BB292_232 Depth=1
	s_delay_alu instid0(SALU_CYCLE_1) | instskip(NEXT) | instid1(SALU_CYCLE_1)
	s_or_b32 exec_lo, exec_lo, s18
	s_mov_b32 s18, exec_lo
	v_cmpx_lt_u32_e32 0xffffff, v8
	s_cbranch_execz .LBB292_387
; %bb.380:                              ;   in Loop: Header=BB292_232 Depth=1
	v_lshrrev_b32_e32 v39, 24, v8
	v_bfrev_b32_e32 v38, 1
	s_mov_b32 s20, exec_lo
	s_delay_alu instid0(VALU_DEP_2)
	v_cmpx_ne_u32_e32 0x80, v39
	s_cbranch_execz .LBB292_386
; %bb.381:                              ;   in Loop: Header=BB292_232 Depth=1
	v_and_b32_e32 v40, 0x7f, v39
	v_mov_b32_e32 v38, 0x7fc02000
	s_mov_b32 s21, exec_lo
	s_delay_alu instid0(VALU_DEP_2)
	v_cmpx_ne_u32_e32 0x7f, v40
	s_cbranch_execz .LBB292_385
; %bb.382:                              ;   in Loop: Header=BB292_232 Depth=1
	v_and_b32_e32 v2, 7, v39
	v_lshrrev_b32_e32 v38, 3, v40
	s_mov_b32 s22, exec_lo
	v_cmpx_gt_u32_e32 8, v40
; %bb.383:                              ;   in Loop: Header=BB292_232 Depth=1
	s_delay_alu instid0(VALU_DEP_3) | instskip(NEXT) | instid1(VALU_DEP_1)
	v_clz_i32_u32_e32 v38, v2
	v_min_u32_e32 v38, 32, v38
	s_delay_alu instid0(VALU_DEP_1) | instskip(SKIP_1) | instid1(VALU_DEP_2)
	v_subrev_nc_u32_e32 v40, 28, v38
	v_sub_nc_u32_e32 v38, 29, v38
	v_lshlrev_b64 v[40:41], v40, v[2:3]
	s_delay_alu instid0(VALU_DEP_1)
	v_and_b32_e32 v2, 7, v40
; %bb.384:                              ;   in Loop: Header=BB292_232 Depth=1
	s_or_b32 exec_lo, exec_lo, s22
	v_lshlrev_b32_e32 v39, 8, v39
	v_lshl_add_u32 v38, v38, 10, 0x2000
	s_delay_alu instid0(VALU_DEP_1) | instskip(NEXT) | instid1(VALU_DEP_1)
	v_and_or_b32 v38, 0x8000, v39, v38
	v_lshl_or_b32 v2, v2, 7, v38
	s_delay_alu instid0(VALU_DEP_1)
	v_cvt_f32_f16_e32 v38, v2
.LBB292_385:                            ;   in Loop: Header=BB292_232 Depth=1
	s_or_b32 exec_lo, exec_lo, s21
.LBB292_386:                            ;   in Loop: Header=BB292_232 Depth=1
	s_delay_alu instid0(SALU_CYCLE_1)
	s_or_b32 exec_lo, exec_lo, s20
.LBB292_387:                            ;   in Loop: Header=BB292_232 Depth=1
	s_delay_alu instid0(SALU_CYCLE_1) | instskip(SKIP_3) | instid1(VALU_DEP_2)
	s_or_b32 exec_lo, exec_lo, s18
	v_dual_mov_b32 v2, v9 :: v_dual_and_b32 v41, 0xff, v9
	v_dual_mov_b32 v40, 0 :: v_dual_mov_b32 v39, 0
	s_mov_b32 s18, exec_lo
	v_cmpx_ne_u16_e32 0, v41
	s_cbranch_execz .LBB292_393
; %bb.388:                              ;   in Loop: Header=BB292_232 Depth=1
	v_bfrev_b32_e32 v39, 1
	s_mov_b32 s20, exec_lo
	v_cmpx_ne_u16_e32 0x80, v41
	s_cbranch_execz .LBB292_392
; %bb.389:                              ;   in Loop: Header=BB292_232 Depth=1
	v_and_b32_e32 v41, 0x7f, v9
	v_mov_b32_e32 v39, 0x7fc02000
	s_mov_b32 s21, exec_lo
	s_delay_alu instid0(VALU_DEP_2)
	v_cmpx_ne_u32_e32 0x7f, v41
	s_cbranch_execz .LBB292_391
; %bb.390:                              ;   in Loop: Header=BB292_232 Depth=1
	v_and_b32_e32 v39, 7, v9
	v_cmp_gt_u32_e64 s0, 8, v41
	v_lshrrev_b32_e32 v42, 3, v41
	s_delay_alu instid0(VALU_DEP_3) | instskip(NEXT) | instid1(VALU_DEP_1)
	v_clz_i32_u32_e32 v39, v39
	v_min_u32_e32 v39, 32, v39
	s_delay_alu instid0(VALU_DEP_1) | instskip(SKIP_1) | instid1(VALU_DEP_2)
	v_subrev_nc_u32_e32 v43, 28, v39
	v_sub_nc_u32_e32 v39, 29, v39
	v_cndmask_b32_e64 v41, 0, v43, s0
	s_delay_alu instid0(VALU_DEP_2) | instskip(NEXT) | instid1(VALU_DEP_2)
	v_cndmask_b32_e64 v39, v42, v39, s0
	v_lshlrev_b64 v[41:42], v41, v[2:3]
	v_lshlrev_b32_e32 v42, 8, v9
	s_delay_alu instid0(VALU_DEP_3) | instskip(NEXT) | instid1(VALU_DEP_3)
	v_lshl_add_u32 v39, v39, 10, 0x2000
	v_lshlrev_b32_e32 v41, 7, v41
	s_delay_alu instid0(VALU_DEP_2) | instskip(NEXT) | instid1(VALU_DEP_1)
	v_and_or_b32 v39, 0x8000, v42, v39
	v_and_or_b32 v39, 0x380, v41, v39
	s_delay_alu instid0(VALU_DEP_1)
	v_cvt_f32_f16_e32 v39, v39
.LBB292_391:                            ;   in Loop: Header=BB292_232 Depth=1
	s_or_b32 exec_lo, exec_lo, s21
.LBB292_392:                            ;   in Loop: Header=BB292_232 Depth=1
	s_delay_alu instid0(SALU_CYCLE_1)
	s_or_b32 exec_lo, exec_lo, s20
.LBB292_393:                            ;   in Loop: Header=BB292_232 Depth=1
	s_delay_alu instid0(SALU_CYCLE_1) | instskip(SKIP_2) | instid1(VALU_DEP_1)
	s_or_b32 exec_lo, exec_lo, s18
	v_lshrrev_b16 v2, 8, v2
	s_mov_b32 s18, exec_lo
	v_cmpx_ne_u16_e32 0, v2
	s_cbranch_execz .LBB292_401
; %bb.394:                              ;   in Loop: Header=BB292_232 Depth=1
	v_bfrev_b32_e32 v40, 1
	s_mov_b32 s20, exec_lo
	v_cmpx_ne_u16_e32 0x80, v2
	s_cbranch_execz .LBB292_400
; %bb.395:                              ;   in Loop: Header=BB292_232 Depth=1
	v_and_b32_e32 v41, 0xffff, v2
	v_mov_b32_e32 v40, 0x7fc02000
	s_mov_b32 s21, exec_lo
	s_delay_alu instid0(VALU_DEP_2) | instskip(NEXT) | instid1(VALU_DEP_1)
	v_and_b32_e32 v42, 0x7f, v41
	v_cmpx_ne_u32_e32 0x7f, v42
	s_cbranch_execz .LBB292_399
; %bb.396:                              ;   in Loop: Header=BB292_232 Depth=1
	v_and_b32_e32 v2, 7, v41
	v_lshrrev_b32_e32 v40, 3, v42
	s_mov_b32 s22, exec_lo
	v_cmpx_gt_u32_e32 8, v42
; %bb.397:                              ;   in Loop: Header=BB292_232 Depth=1
	s_delay_alu instid0(VALU_DEP_3) | instskip(NEXT) | instid1(VALU_DEP_1)
	v_clz_i32_u32_e32 v40, v2
	v_min_u32_e32 v40, 32, v40
	s_delay_alu instid0(VALU_DEP_1) | instskip(SKIP_1) | instid1(VALU_DEP_2)
	v_subrev_nc_u32_e32 v42, 28, v40
	v_sub_nc_u32_e32 v40, 29, v40
	v_lshlrev_b64 v[42:43], v42, v[2:3]
	s_delay_alu instid0(VALU_DEP_1)
	v_and_b32_e32 v2, 7, v42
; %bb.398:                              ;   in Loop: Header=BB292_232 Depth=1
	s_or_b32 exec_lo, exec_lo, s22
	v_lshlrev_b32_e32 v41, 8, v41
	v_lshl_add_u32 v40, v40, 10, 0x2000
	s_delay_alu instid0(VALU_DEP_1) | instskip(NEXT) | instid1(VALU_DEP_1)
	v_and_or_b32 v40, 0x8000, v41, v40
	v_lshl_or_b32 v2, v2, 7, v40
	s_delay_alu instid0(VALU_DEP_1)
	v_cvt_f32_f16_e32 v40, v2
.LBB292_399:                            ;   in Loop: Header=BB292_232 Depth=1
	s_or_b32 exec_lo, exec_lo, s21
.LBB292_400:                            ;   in Loop: Header=BB292_232 Depth=1
	s_delay_alu instid0(SALU_CYCLE_1)
	s_or_b32 exec_lo, exec_lo, s20
.LBB292_401:                            ;   in Loop: Header=BB292_232 Depth=1
	s_delay_alu instid0(SALU_CYCLE_1) | instskip(SKIP_3) | instid1(VALU_DEP_2)
	s_or_b32 exec_lo, exec_lo, s18
	v_lshrrev_b32_e32 v43, 16, v9
	v_mov_b32_e32 v42, 0
	s_mov_b32 s18, exec_lo
	v_dual_mov_b32 v41, 0 :: v_dual_and_b32 v2, 0xff, v43
	s_delay_alu instid0(VALU_DEP_1)
	v_cmpx_ne_u16_e32 0, v2
	s_cbranch_execz .LBB292_409
; %bb.402:                              ;   in Loop: Header=BB292_232 Depth=1
	v_bfrev_b32_e32 v41, 1
	s_mov_b32 s20, exec_lo
	v_cmpx_ne_u16_e32 0x80, v2
	s_cbranch_execz .LBB292_408
; %bb.403:                              ;   in Loop: Header=BB292_232 Depth=1
	v_bfe_u32 v44, v9, 16, 7
	v_mov_b32_e32 v41, 0x7fc02000
	s_mov_b32 s21, exec_lo
	s_delay_alu instid0(VALU_DEP_2)
	v_cmpx_ne_u32_e32 0x7f, v44
	s_cbranch_execz .LBB292_407
; %bb.404:                              ;   in Loop: Header=BB292_232 Depth=1
	v_and_b32_e32 v2, 7, v43
	v_lshrrev_b32_e32 v41, 3, v44
	s_mov_b32 s22, exec_lo
	v_cmpx_gt_u32_e32 8, v44
; %bb.405:                              ;   in Loop: Header=BB292_232 Depth=1
	s_delay_alu instid0(VALU_DEP_3) | instskip(NEXT) | instid1(VALU_DEP_1)
	v_clz_i32_u32_e32 v41, v2
	v_min_u32_e32 v41, 32, v41
	s_delay_alu instid0(VALU_DEP_1) | instskip(SKIP_1) | instid1(VALU_DEP_2)
	v_subrev_nc_u32_e32 v44, 28, v41
	v_sub_nc_u32_e32 v41, 29, v41
	v_lshlrev_b64 v[44:45], v44, v[2:3]
	s_delay_alu instid0(VALU_DEP_1)
	v_and_b32_e32 v2, 7, v44
; %bb.406:                              ;   in Loop: Header=BB292_232 Depth=1
	s_or_b32 exec_lo, exec_lo, s22
	v_lshlrev_b32_e32 v43, 8, v43
	v_lshl_add_u32 v41, v41, 10, 0x2000
	s_delay_alu instid0(VALU_DEP_1) | instskip(NEXT) | instid1(VALU_DEP_1)
	v_and_or_b32 v41, 0x8000, v43, v41
	v_lshl_or_b32 v2, v2, 7, v41
	s_delay_alu instid0(VALU_DEP_1)
	v_cvt_f32_f16_e32 v41, v2
.LBB292_407:                            ;   in Loop: Header=BB292_232 Depth=1
	s_or_b32 exec_lo, exec_lo, s21
.LBB292_408:                            ;   in Loop: Header=BB292_232 Depth=1
	s_delay_alu instid0(SALU_CYCLE_1)
	s_or_b32 exec_lo, exec_lo, s20
.LBB292_409:                            ;   in Loop: Header=BB292_232 Depth=1
	s_delay_alu instid0(SALU_CYCLE_1) | instskip(NEXT) | instid1(SALU_CYCLE_1)
	s_or_b32 exec_lo, exec_lo, s18
	s_mov_b32 s18, exec_lo
	v_cmpx_lt_u64_e64 s[2:3], v[8:9]
	s_cbranch_execz .LBB292_417
; %bb.410:                              ;   in Loop: Header=BB292_232 Depth=1
	v_lshrrev_b32_e32 v8, 24, v9
	v_bfrev_b32_e32 v42, 1
	s_mov_b32 s20, exec_lo
	s_delay_alu instid0(VALU_DEP_2)
	v_cmpx_ne_u32_e32 0x80, v8
	s_cbranch_execz .LBB292_416
; %bb.411:                              ;   in Loop: Header=BB292_232 Depth=1
	v_and_b32_e32 v43, 0x7f, v8
	v_mov_b32_e32 v42, 0x7fc02000
	s_mov_b32 s21, exec_lo
	s_delay_alu instid0(VALU_DEP_2)
	v_cmpx_ne_u32_e32 0x7f, v43
	s_cbranch_execz .LBB292_415
; %bb.412:                              ;   in Loop: Header=BB292_232 Depth=1
	v_and_b32_e32 v2, 7, v8
	v_lshrrev_b32_e32 v9, 3, v43
	s_mov_b32 s22, exec_lo
	v_cmpx_gt_u32_e32 8, v43
; %bb.413:                              ;   in Loop: Header=BB292_232 Depth=1
	s_delay_alu instid0(VALU_DEP_3) | instskip(NEXT) | instid1(VALU_DEP_1)
	v_clz_i32_u32_e32 v9, v2
	v_min_u32_e32 v9, 32, v9
	s_delay_alu instid0(VALU_DEP_1) | instskip(SKIP_1) | instid1(VALU_DEP_2)
	v_subrev_nc_u32_e32 v42, 28, v9
	v_sub_nc_u32_e32 v9, 29, v9
	v_lshlrev_b64 v[42:43], v42, v[2:3]
	s_delay_alu instid0(VALU_DEP_1)
	v_and_b32_e32 v2, 7, v42
; %bb.414:                              ;   in Loop: Header=BB292_232 Depth=1
	s_or_b32 exec_lo, exec_lo, s22
	v_lshlrev_b32_e32 v8, 8, v8
	v_lshl_add_u32 v9, v9, 10, 0x2000
	s_delay_alu instid0(VALU_DEP_1) | instskip(NEXT) | instid1(VALU_DEP_1)
	v_and_or_b32 v8, 0x8000, v8, v9
	v_lshl_or_b32 v2, v2, 7, v8
	s_delay_alu instid0(VALU_DEP_1)
	v_cvt_f32_f16_e32 v42, v2
.LBB292_415:                            ;   in Loop: Header=BB292_232 Depth=1
	s_or_b32 exec_lo, exec_lo, s21
.LBB292_416:                            ;   in Loop: Header=BB292_232 Depth=1
	s_delay_alu instid0(SALU_CYCLE_1)
	s_or_b32 exec_lo, exec_lo, s20
.LBB292_417:                            ;   in Loop: Header=BB292_232 Depth=1
	s_delay_alu instid0(SALU_CYCLE_1)
	s_or_b32 exec_lo, exec_lo, s18
	s_waitcnt vmcnt(0)
	v_fma_mixlo_f16 v9, v34, v36, 0
	v_fma_mixlo_f16 v2, v34, v38, 0
	;; [unrolled: 1-line block ×5, first 2 shown]
	v_lshlrev_b32_e32 v36, 16, v9
	v_fma_mixlo_f16 v9, v34, v35, 0
	v_fma_mixlo_f16 v35, v34, v40, 0
	;; [unrolled: 1-line block ×3, first 2 shown]
	v_lshlrev_b32_e32 v2, 16, v2
	v_and_b32_e32 v8, 0xffff, v8
	v_and_b32_e32 v39, 0xffff, v9
	v_lshlrev_b32_e32 v40, 16, v35
	v_and_b32_e32 v37, 0xffff, v37
	v_lshlrev_b32_e32 v38, 16, v38
	v_and_b32_e32 v41, 0xffff, v34
	v_or_b32_e32 v9, v2, v8
	v_or_b32_e32 v35, v36, v39
	;; [unrolled: 1-line block ×3, first 2 shown]
	s_delay_alu instid0(VALU_DEP_4)
	v_or_b32_e32 v8, v38, v41
	s_and_saveexec_b32 s0, vcc_lo
	s_cbranch_execz .LBB292_230
; %bb.418:                              ;   in Loop: Header=BB292_232 Depth=1
	v_cmp_gt_i32_e32 vcc_lo, s15, v13
	v_lshrrev_b32_e32 v36, 16, v35
	v_lshrrev_b32_e32 v37, 16, v9
	;; [unrolled: 1-line block ×3, first 2 shown]
	v_cndmask_b32_e32 v35, 0, v35, vcc_lo
	v_cmp_gt_i32_e32 vcc_lo, s14, v27
	v_cndmask_b32_e32 v27, 0, v36, vcc_lo
	v_cmp_gt_i32_e32 vcc_lo, s14, v26
	v_lshrrev_b32_e32 v36, 16, v2
	v_cndmask_b32_e32 v26, 0, v37, vcc_lo
	v_cmp_gt_i32_e32 vcc_lo, s15, v25
	v_cndmask_b32_e32 v9, 0, v9, vcc_lo
	v_cmp_gt_i32_e32 vcc_lo, s14, v24
	;; [unrolled: 2-line block ×3, first 2 shown]
	s_delay_alu instid0(VALU_DEP_4) | instskip(SKIP_3) | instid1(VALU_DEP_3)
	v_perm_b32 v9, v26, v9, 0x5040100
	v_cndmask_b32_e32 v2, 0, v2, vcc_lo
	v_cmp_gt_i32_e32 vcc_lo, s14, v22
	v_perm_b32 v35, v27, v35, 0x5040100
	v_perm_b32 v2, v24, v2, 0x5040100
	v_cndmask_b32_e32 v8, 0, v8, vcc_lo
	v_cmp_gt_i32_e32 vcc_lo, s15, v21
	v_cndmask_b32_e32 v21, 0, v34, vcc_lo
	s_delay_alu instid0(VALU_DEP_1)
	v_perm_b32 v8, v8, v21, 0x5040100
	s_branch .LBB292_230
.LBB292_419:
	s_or_b32 exec_lo, exec_lo, s5
.LBB292_420:
	s_delay_alu instid0(SALU_CYCLE_1)
	s_or_b32 exec_lo, exec_lo, s1
	s_movk_i32 s0, 0x180
	v_and_b32_e32 v2, 0x3c0, v0
	v_mad_u32_u24 v1, v12, s0, 0xe0
	s_mov_b32 s0, exec_lo
	s_waitcnt_vscnt null, 0x0
	s_barrier
	buffer_gl0_inv
	v_cmpx_eq_u32_e32 64, v2
	s_cbranch_execz .LBB292_422
; %bb.421:
	v_add3_u32 v2, v1, v15, 0xfffffd00
	ds_store_2addr_b32 v2, v16, v17 offset1:32
	ds_store_b32 v2, v18 offset:256
.LBB292_422:
	s_or_b32 exec_lo, exec_lo, s0
	v_lshl_add_u32 v2, v14, 2, v1
	s_mov_b32 s0, exec_lo
	s_waitcnt lgkmcnt(0)
	s_barrier
	buffer_gl0_inv
	v_cmpx_gt_u32_e32 64, v0
	s_cbranch_execz .LBB292_424
; %bb.423:
	v_lshl_or_b32 v3, v0, 2, 0x80
	s_delay_alu instid0(VALU_DEP_1)
	v_add_nc_u32_e32 v5, v1, v3
	ds_load_2addr_stride64_b32 v[3:4], v2 offset1:1
	ds_load_b32 v5, v5
	s_waitcnt lgkmcnt(1)
	v_add_f32_e32 v18, v18, v4
	s_waitcnt lgkmcnt(0)
	v_dual_add_f32 v16, v16, v3 :: v_dual_add_f32 v17, v17, v5
.LBB292_424:
	s_or_b32 exec_lo, exec_lo, s0
	v_and_b32_e32 v3, 0x3e0, v0
	s_mov_b32 s0, exec_lo
	s_barrier
	buffer_gl0_inv
	v_cmpx_eq_u32_e32 32, v3
	s_cbranch_execz .LBB292_426
; %bb.425:
	v_add_nc_u32_e32 v3, 0xfffffe80, v1
	s_delay_alu instid0(VALU_DEP_1)
	v_lshl_add_u32 v4, v14, 2, v3
	v_lshl_add_u32 v3, v0, 2, v3
	ds_store_b32 v4, v16
	ds_store_b32 v3, v17
	ds_store_b32 v4, v18 offset:256
.LBB292_426:
	s_or_b32 exec_lo, exec_lo, s0
	v_cmp_gt_u32_e32 vcc_lo, 32, v0
	s_waitcnt lgkmcnt(0)
	s_barrier
	buffer_gl0_inv
	s_and_saveexec_b32 s0, vcc_lo
	s_cbranch_execz .LBB292_428
; %bb.427:
	v_lshl_add_u32 v1, v0, 2, v1
	ds_load_b32 v3, v2
	ds_load_2addr_b32 v[1:2], v1 offset0:32 offset1:64
	s_waitcnt lgkmcnt(0)
	v_dual_add_f32 v16, v16, v3 :: v_dual_add_f32 v17, v17, v1
	v_add_f32_e32 v18, v18, v2
.LBB292_428:
	s_or_b32 exec_lo, exec_lo, s0
	s_barrier
	buffer_gl0_inv
	s_and_saveexec_b32 s0, vcc_lo
	s_cbranch_execz .LBB292_430
; %bb.429:
	s_mul_i32 s0, s4, 0x60
	s_mul_i32 s2, s8, s24
	s_ashr_i32 s1, s0, 31
	v_lshlrev_b32_e32 v0, 1, v0
	s_lshl_b64 s[0:1], s[0:1], 1
	;;#ASMSTART
	v_cvt_f16_f32 v1, v16;

	;;#ASMEND
	s_add_u32 s4, s26, s0
	s_addc_u32 s5, s27, s1
	s_ashr_i32 s3, s2, 31
	s_delay_alu instid0(SALU_CYCLE_1) | instskip(SKIP_4) | instid1(SALU_CYCLE_1)
	s_lshl_b64 s[0:1], s[2:3], 1
	s_mul_i32 s2, s12, 0x60
	s_add_u32 s4, s4, s0
	s_addc_u32 s5, s5, s1
	s_ashr_i32 s3, s2, 31
	s_lshl_b64 s[0:1], s[2:3], 1
	s_delay_alu instid0(SALU_CYCLE_1)
	s_add_u32 s0, s4, s0
	s_addc_u32 s1, s5, s1
	global_store_b16 v0, v1, s[0:1]
	;;#ASMSTART
	v_cvt_f16_f32 v1, v17;

	;;#ASMEND
	global_store_b16 v0, v1, s[0:1] offset:64
	;;#ASMSTART
	v_cvt_f16_f32 v1, v18;

	;;#ASMEND
	global_store_b16 v0, v1, s[0:1] offset:128
.LBB292_430:
	s_nop 0
	s_sendmsg sendmsg(MSG_DEALLOC_VGPRS)
	s_endpgm
	.section	.rodata,"a",@progbits
	.p2align	6, 0x0
	.amdhsa_kernel _ZN4vllm25paged_attention_v2_kernelIthLi96ELi8ELi128ELNS_18Fp8KVCacheDataTypeE1ELb1ELi512EEEvPfS2_PT_PKS3_PKT0_S9_ifPKiSB_iPKfiiiSD_SD_iiiii
		.amdhsa_group_segment_fixed_size 224
		.amdhsa_private_segment_fixed_size 0
		.amdhsa_kernarg_size 400
		.amdhsa_user_sgpr_count 13
		.amdhsa_user_sgpr_dispatch_ptr 0
		.amdhsa_user_sgpr_queue_ptr 0
		.amdhsa_user_sgpr_kernarg_segment_ptr 1
		.amdhsa_user_sgpr_dispatch_id 0
		.amdhsa_user_sgpr_private_segment_size 0
		.amdhsa_wavefront_size32 1
		.amdhsa_uses_dynamic_stack 0
		.amdhsa_enable_private_segment 0
		.amdhsa_system_sgpr_workgroup_id_x 1
		.amdhsa_system_sgpr_workgroup_id_y 1
		.amdhsa_system_sgpr_workgroup_id_z 1
		.amdhsa_system_sgpr_workgroup_info 0
		.amdhsa_system_vgpr_workitem_id 0
		.amdhsa_next_free_vgpr 66
		.amdhsa_next_free_sgpr 52
		.amdhsa_reserve_vcc 1
		.amdhsa_float_round_mode_32 0
		.amdhsa_float_round_mode_16_64 0
		.amdhsa_float_denorm_mode_32 3
		.amdhsa_float_denorm_mode_16_64 3
		.amdhsa_dx10_clamp 1
		.amdhsa_ieee_mode 1
		.amdhsa_fp16_overflow 0
		.amdhsa_workgroup_processor_mode 1
		.amdhsa_memory_ordered 1
		.amdhsa_forward_progress 0
		.amdhsa_shared_vgpr_count 0
		.amdhsa_exception_fp_ieee_invalid_op 0
		.amdhsa_exception_fp_denorm_src 0
		.amdhsa_exception_fp_ieee_div_zero 0
		.amdhsa_exception_fp_ieee_overflow 0
		.amdhsa_exception_fp_ieee_underflow 0
		.amdhsa_exception_fp_ieee_inexact 0
		.amdhsa_exception_int_div_zero 0
	.end_amdhsa_kernel
	.section	.text._ZN4vllm25paged_attention_v2_kernelIthLi96ELi8ELi128ELNS_18Fp8KVCacheDataTypeE1ELb1ELi512EEEvPfS2_PT_PKS3_PKT0_S9_ifPKiSB_iPKfiiiSD_SD_iiiii,"axG",@progbits,_ZN4vllm25paged_attention_v2_kernelIthLi96ELi8ELi128ELNS_18Fp8KVCacheDataTypeE1ELb1ELi512EEEvPfS2_PT_PKS3_PKT0_S9_ifPKiSB_iPKfiiiSD_SD_iiiii,comdat
.Lfunc_end292:
	.size	_ZN4vllm25paged_attention_v2_kernelIthLi96ELi8ELi128ELNS_18Fp8KVCacheDataTypeE1ELb1ELi512EEEvPfS2_PT_PKS3_PKT0_S9_ifPKiSB_iPKfiiiSD_SD_iiiii, .Lfunc_end292-_ZN4vllm25paged_attention_v2_kernelIthLi96ELi8ELi128ELNS_18Fp8KVCacheDataTypeE1ELb1ELi512EEEvPfS2_PT_PKS3_PKT0_S9_ifPKiSB_iPKfiiiSD_SD_iiiii
                                        ; -- End function
	.section	.AMDGPU.csdata,"",@progbits
; Kernel info:
; codeLenInByte = 18428
; NumSgprs: 54
; NumVgprs: 66
; ScratchSize: 0
; MemoryBound: 0
; FloatMode: 240
; IeeeMode: 1
; LDSByteSize: 224 bytes/workgroup (compile time only)
; SGPRBlocks: 6
; VGPRBlocks: 8
; NumSGPRsForWavesPerEU: 54
; NumVGPRsForWavesPerEU: 66
; Occupancy: 16
; WaveLimiterHint : 1
; COMPUTE_PGM_RSRC2:SCRATCH_EN: 0
; COMPUTE_PGM_RSRC2:USER_SGPR: 13
; COMPUTE_PGM_RSRC2:TRAP_HANDLER: 0
; COMPUTE_PGM_RSRC2:TGID_X_EN: 1
; COMPUTE_PGM_RSRC2:TGID_Y_EN: 1
; COMPUTE_PGM_RSRC2:TGID_Z_EN: 1
; COMPUTE_PGM_RSRC2:TIDIG_COMP_CNT: 0
	.section	.text._ZN4vllm25paged_attention_v2_kernelIthLi112ELi8ELi128ELNS_18Fp8KVCacheDataTypeE1ELb1ELi512EEEvPfS2_PT_PKS3_PKT0_S9_ifPKiSB_iPKfiiiSD_SD_iiiii,"axG",@progbits,_ZN4vllm25paged_attention_v2_kernelIthLi112ELi8ELi128ELNS_18Fp8KVCacheDataTypeE1ELb1ELi512EEEvPfS2_PT_PKS3_PKT0_S9_ifPKiSB_iPKfiiiSD_SD_iiiii,comdat
	.protected	_ZN4vllm25paged_attention_v2_kernelIthLi112ELi8ELi128ELNS_18Fp8KVCacheDataTypeE1ELb1ELi512EEEvPfS2_PT_PKS3_PKT0_S9_ifPKiSB_iPKfiiiSD_SD_iiiii ; -- Begin function _ZN4vllm25paged_attention_v2_kernelIthLi112ELi8ELi128ELNS_18Fp8KVCacheDataTypeE1ELb1ELi512EEEvPfS2_PT_PKS3_PKT0_S9_ifPKiSB_iPKfiiiSD_SD_iiiii
	.globl	_ZN4vllm25paged_attention_v2_kernelIthLi112ELi8ELi128ELNS_18Fp8KVCacheDataTypeE1ELb1ELi512EEEvPfS2_PT_PKS3_PKT0_S9_ifPKiSB_iPKfiiiSD_SD_iiiii
	.p2align	8
	.type	_ZN4vllm25paged_attention_v2_kernelIthLi112ELi8ELi128ELNS_18Fp8KVCacheDataTypeE1ELb1ELi512EEEvPfS2_PT_PKS3_PKT0_S9_ifPKiSB_iPKfiiiSD_SD_iiiii,@function
_ZN4vllm25paged_attention_v2_kernelIthLi112ELi8ELi128ELNS_18Fp8KVCacheDataTypeE1ELb1ELi512EEEvPfS2_PT_PKS3_PKT0_S9_ifPKiSB_iPKfiiiSD_SD_iiiii: ; @_ZN4vllm25paged_attention_v2_kernelIthLi112ELi8ELi128ELNS_18Fp8KVCacheDataTypeE1ELb1ELi512EEEvPfS2_PT_PKS3_PKT0_S9_ifPKiSB_iPKfiiiSD_SD_iiiii
; %bb.0:
	s_load_b64 s[2:3], s[0:1], 0x40
	s_mov_b32 s24, s15
	s_ashr_i32 s15, s14, 31
	s_delay_alu instid0(SALU_CYCLE_1)
	s_lshl_b64 s[4:5], s[14:15], 2
	s_waitcnt lgkmcnt(0)
	s_add_u32 s2, s2, s4
	s_addc_u32 s3, s3, s5
	s_lshl_b32 s25, s24, 9
	s_load_b32 s33, s[2:3], 0x0
	s_waitcnt lgkmcnt(0)
	s_cmp_ge_i32 s25, s33
	s_cbranch_scc1 .LBB293_533
; %bb.1:
	s_mov_b32 s30, s13
	s_clause 0x1
	s_load_b32 s15, s[0:1], 0x90
	s_load_b64 s[12:13], s[0:1], 0x30
	s_mov_b32 s42, 0
	s_waitcnt lgkmcnt(0)
	s_abs_i32 s5, s15
	s_abs_i32 s2, s12
	s_delay_alu instid0(SALU_CYCLE_1) | instskip(SKIP_1) | instid1(VALU_DEP_1)
	v_cvt_f32_u32_e32 v1, s2
	s_sub_i32 s4, 0, s2
	v_rcp_iflag_f32_e32 v1, v1
	s_waitcnt_depctr 0xfff
	v_mul_f32_e32 v1, 0x4f7ffffe, v1
	s_delay_alu instid0(VALU_DEP_1) | instskip(NEXT) | instid1(VALU_DEP_1)
	v_cvt_u32_f32_e32 v1, v1
	v_readfirstlane_b32 s3, v1
	s_delay_alu instid0(VALU_DEP_1) | instskip(NEXT) | instid1(SALU_CYCLE_1)
	s_mul_i32 s4, s4, s3
	s_mul_hi_u32 s4, s3, s4
	s_delay_alu instid0(SALU_CYCLE_1) | instskip(SKIP_4) | instid1(SALU_CYCLE_1)
	s_add_i32 s3, s3, s4
	s_xor_b32 s4, s15, s12
	s_mul_hi_u32 s3, s5, s3
	s_ashr_i32 s4, s4, 31
	s_mul_i32 s6, s3, s2
	s_sub_i32 s5, s5, s6
	s_add_i32 s6, s3, 1
	s_sub_i32 s7, s5, s2
	s_cmp_ge_u32 s5, s2
	s_cselect_b32 s3, s6, s3
	s_cselect_b32 s5, s7, s5
	s_add_i32 s6, s3, 1
	s_cmp_ge_u32 s5, s2
	s_cselect_b32 s2, s6, s3
	s_delay_alu instid0(SALU_CYCLE_1) | instskip(NEXT) | instid1(SALU_CYCLE_1)
	s_xor_b32 s2, s2, s4
	s_sub_i32 s7, s2, s4
	s_load_b64 s[2:3], s[0:1], 0x50
	s_abs_i32 s4, s7
	s_delay_alu instid0(SALU_CYCLE_1) | instskip(SKIP_1) | instid1(VALU_DEP_1)
	v_cvt_f32_u32_e32 v1, s4
	s_sub_i32 s5, 0, s4
	v_rcp_iflag_f32_e32 v1, v1
	s_waitcnt_depctr 0xfff
	v_mul_f32_e32 v1, 0x4f7ffffe, v1
	s_delay_alu instid0(VALU_DEP_1) | instskip(NEXT) | instid1(VALU_DEP_1)
	v_cvt_u32_f32_e32 v1, v1
	v_readfirstlane_b32 s6, v1
	s_delay_alu instid0(VALU_DEP_1) | instskip(NEXT) | instid1(SALU_CYCLE_1)
	s_mul_i32 s5, s5, s6
	s_mul_hi_u32 s8, s6, s5
	s_abs_i32 s5, s30
	s_add_i32 s6, s6, s8
	s_waitcnt lgkmcnt(0)
	s_cmp_eq_u64 s[2:3], 0
	s_mul_hi_u32 s6, s5, s6
	s_cbranch_scc1 .LBB293_3
; %bb.2:
	s_ashr_i32 s31, s30, 31
	s_delay_alu instid0(SALU_CYCLE_1) | instskip(NEXT) | instid1(SALU_CYCLE_1)
	s_lshl_b64 s[8:9], s[30:31], 2
	s_add_u32 s2, s2, s8
	s_addc_u32 s3, s3, s9
	s_load_b32 s42, s[2:3], 0x0
.LBB293_3:
	s_load_b128 s[8:11], s[0:1], 0x58
	v_and_b32_e32 v1, 3, v0
	s_ashr_i32 s2, s30, 31
	s_ashr_i32 s3, s7, 31
	s_mul_i32 s26, s30, 0x70
	s_mov_b32 s7, exec_lo
	v_cmpx_gt_u32_e32 56, v0
	s_cbranch_execz .LBB293_5
; %bb.4:
	s_load_b64 s[16:17], s[0:1], 0x18
	s_waitcnt lgkmcnt(0)
	s_mul_i32 s18, s14, s8
	v_lshlrev_b32_e32 v2, 2, v0
	s_ashr_i32 s19, s18, 31
	v_and_b32_e32 v3, 0x3fc, v0
	s_lshl_b64 s[18:19], s[18:19], 1
	s_delay_alu instid0(VALU_DEP_1) | instskip(SKIP_3) | instid1(SALU_CYCLE_1)
	v_mad_u32_u24 v3, v1, 56, v3
	s_add_u32 s8, s16, s18
	s_addc_u32 s11, s17, s19
	s_ashr_i32 s27, s26, 31
	s_lshl_b64 s[16:17], s[26:27], 1
	s_delay_alu instid0(SALU_CYCLE_1)
	s_add_u32 s16, s8, s16
	s_addc_u32 s17, s11, s17
	global_load_b32 v2, v2, s[16:17]
	s_waitcnt vmcnt(0)
	ds_store_b32 v3, v2
.LBB293_5:
	s_or_b32 exec_lo, exec_lo, s7
	s_load_b128 s[16:19], s[0:1], 0x78
	s_mul_i32 s7, s6, s4
	s_xor_b32 s2, s2, s3
	s_sub_i32 s3, s5, s7
	s_add_i32 s5, s6, 1
	s_sub_i32 s7, s3, s4
	s_cmp_ge_u32 s3, s4
	s_waitcnt lgkmcnt(0)
	s_cselect_b32 s5, s5, s6
	s_cselect_b32 s3, s7, s3
	s_add_i32 s6, s5, 1
	s_cmp_ge_u32 s3, s4
	s_load_b32 s4, s[0:1], 0x88
	s_cselect_b32 s3, s6, s5
	s_add_i32 s5, s33, -1
	s_xor_b32 s3, s3, s2
	s_abs_i32 s11, s5
	s_sub_i32 s3, s3, s2
	s_mov_b32 s6, -1
	s_waitcnt lgkmcnt(0)
	s_barrier
	s_abs_i32 s27, s19
	buffer_gl0_inv
	v_cvt_f32_u32_e32 v2, s27
	s_sub_i32 s2, 0, s27
                                        ; implicit-def: $sgpr40
	s_delay_alu instid0(VALU_DEP_1) | instskip(SKIP_2) | instid1(VALU_DEP_1)
	v_rcp_iflag_f32_e32 v2, v2
	s_waitcnt_depctr 0xfff
	v_mul_f32_e32 v2, 0x4f7ffffe, v2
	v_cvt_u32_f32_e32 v2, v2
	s_delay_alu instid0(VALU_DEP_1) | instskip(NEXT) | instid1(VALU_DEP_1)
	v_readfirstlane_b32 s31, v2
	s_mul_i32 s2, s2, s31
	s_delay_alu instid0(SALU_CYCLE_1) | instskip(NEXT) | instid1(SALU_CYCLE_1)
	s_mul_hi_u32 s2, s31, s2
	s_add_i32 s31, s31, s2
	s_cmp_lt_i32 s4, 0
	s_mul_hi_u32 s2, s11, s31
	s_cbranch_scc0 .LBB293_7
; %bb.6:
	s_mul_i32 s6, s16, s12
	s_delay_alu instid0(SALU_CYCLE_1) | instskip(NEXT) | instid1(SALU_CYCLE_1)
	s_add_i32 s6, s3, s6
	s_mul_i32 s6, s6, s4
	s_delay_alu instid0(SALU_CYCLE_1)
	s_sub_i32 s40, 1, s6
	s_mov_b32 s6, 0
.LBB293_7:
	s_load_b64 s[34:35], s[0:1], 0x38
	s_ashr_i32 s12, s5, 31
	s_and_not1_b32 vcc_lo, exec_lo, s6
	s_ashr_i32 s19, s19, 31
	s_cbranch_vccnz .LBB293_9
; %bb.8:
	s_mul_i32 s5, s15, s16
	s_delay_alu instid0(SALU_CYCLE_1) | instskip(NEXT) | instid1(SALU_CYCLE_1)
	s_add_i32 s5, s5, s30
	s_mul_i32 s4, s5, s4
	s_delay_alu instid0(SALU_CYCLE_1)
	s_add_i32 s40, s4, 1
.LBB293_9:
	s_clause 0x5
	s_load_b32 s16, s[0:1], 0x48
	s_load_b64 s[38:39], s[0:1], 0x28
	s_load_b128 s[20:23], s[0:1], 0x0
	s_load_b64 s[28:29], s[0:1], 0x10
	s_load_b32 s8, s[0:1], 0x98
	s_load_b128 s[4:7], s[0:1], 0x68
	s_xor_b32 s43, s12, s19
	s_mul_i32 s12, s2, s27
	s_add_i32 s41, s2, 1
	s_sub_i32 s11, s11, s12
	v_lshrrev_b32_e32 v16, 5, v0
	s_sub_i32 s12, s11, s27
	v_mov_b32_e32 v12, 0xff7fffff
	v_mbcnt_lo_u32_b32 v11, -1, 0
	s_mul_i32 s10, s3, s10
	v_lshl_add_u32 v17, v16, 3, s25
	s_waitcnt lgkmcnt(0)
	s_mul_i32 s36, s14, s16
	s_delay_alu instid0(SALU_CYCLE_1)
	s_ashr_i32 s37, s36, 31
	s_cmp_ge_u32 s11, s27
	s_cselect_b32 s2, s41, s2
	s_cselect_b32 s11, s12, s11
	s_add_i32 s12, s2, 1
	s_cmp_ge_u32 s11, s27
	s_cselect_b32 s2, s12, s2
	s_add_i32 s11, s33, 7
	s_lshl_b32 s12, s24, 6
	s_ashr_i32 s16, s11, 31
	v_or_b32_e32 v5, s12, v16
	s_lshr_b32 s16, s16, 29
	s_delay_alu instid0(SALU_CYCLE_1)
	s_add_i32 s11, s11, s16
	s_add_i32 s16, s12, 64
	s_ashr_i32 s41, s11, 3
	s_xor_b32 s11, s2, s43
	s_min_i32 s16, s16, s41
	v_ashrrev_i32_e32 v6, 31, v5
	v_cmp_gt_i32_e64 s2, s16, v5
	s_sub_i32 s11, s11, s43
	s_delay_alu instid0(VALU_DEP_1)
	s_and_saveexec_b32 s43, s2
	s_cbranch_execz .LBB293_243
; %bb.10:
	s_load_b64 s[0:1], s[0:1], 0x20
	s_sub_i32 s44, s11, s17
	s_ashr_i32 s3, s10, 31
	v_cmp_eq_u32_e32 vcc_lo, 0, v1
	v_bfe_u32 v13, v0, 2, 3
	v_dual_mov_b32 v19, 0xff7fffff :: v_dual_lshlrev_b32 v14, 1, v1
	v_mul_u32_u24_e32 v15, 56, v1
	v_lshlrev_b64 v[7:8], 2, v[5:6]
	s_delay_alu instid0(VALU_DEP_4) | instskip(SKIP_3) | instid1(VALU_DEP_3)
	v_dual_mov_b32 v23, v5 :: v_dual_lshlrev_b32 v10, 4, v13
	v_subrev_nc_u32_e32 v4, s33, v13
	v_lshl_add_u32 v18, v16, 3, s25
	v_mov_b32_e32 v12, 0xff7fffff
	v_add_nc_u32_e32 v20, 1, v4
	s_waitcnt lgkmcnt(0)
	s_add_u32 s48, s0, s10
	s_addc_u32 s1, s1, s3
	s_abs_i32 s45, s18
	s_lshl_b64 s[46:47], s[36:37], 2
	v_cvt_f32_u32_e32 v2, s45
	s_sub_i32 s3, 0, s45
	v_cmp_neq_f32_e64 s0, s42, 0
	s_delay_alu instid0(VALU_DEP_2) | instskip(SKIP_2) | instid1(VALU_DEP_1)
	v_rcp_iflag_f32_e32 v3, v2
	s_waitcnt_depctr 0xfff
	v_dual_mov_b32 v2, 0 :: v_dual_mul_f32 v3, 0x4f7ffffe, v3
	v_cvt_u32_f32_e32 v1, v3
	v_lshlrev_b32_e32 v3, 2, v13
	s_delay_alu instid0(VALU_DEP_2) | instskip(NEXT) | instid1(VALU_DEP_2)
	v_mul_lo_u32 v9, s3, v1
	v_lshl_or_b32 v3, v16, 5, v3
	s_delay_alu instid0(VALU_DEP_1) | instskip(SKIP_1) | instid1(VALU_DEP_4)
	v_add_nc_u32_e32 v21, 0x100, v3
	v_add_co_u32 v3, s3, s48, v10
	v_mul_hi_u32 v9, v1, v9
	v_add_co_ci_u32_e64 v4, null, s1, 0, s3
	s_add_u32 s1, s34, s46
	s_addc_u32 s3, s35, s47
	v_add_co_u32 v7, s1, s1, v7
	s_delay_alu instid0(VALU_DEP_1) | instskip(NEXT) | instid1(VALU_DEP_4)
	v_add_co_ci_u32_e64 v8, s1, s3, v8, s1
	v_add_nc_u32_e32 v22, v1, v9
	s_mov_b32 s46, 0
	s_mov_b32 s47, s9
	s_branch .LBB293_13
.LBB293_11:                             ;   in Loop: Header=BB293_13 Depth=1
	s_or_b32 exec_lo, exec_lo, s48
.LBB293_12:                             ;   in Loop: Header=BB293_13 Depth=1
	s_delay_alu instid0(SALU_CYCLE_1) | instskip(SKIP_2) | instid1(VALU_DEP_1)
	s_or_b32 exec_lo, exec_lo, s3
	v_add_nc_u32_e32 v23, 4, v23
	v_add_co_u32 v7, s3, v7, 16
	v_add_co_ci_u32_e64 v8, s3, 0, v8, s3
	s_delay_alu instid0(VALU_DEP_3) | instskip(SKIP_2) | instid1(VALU_DEP_3)
	v_cmp_le_i32_e64 s1, s16, v23
	v_add_nc_u32_e32 v18, 32, v18
	v_add_nc_u32_e32 v21, 0x80, v21
	s_or_b32 s46, s1, s46
	s_delay_alu instid0(SALU_CYCLE_1)
	s_and_not1_b32 exec_lo, exec_lo, s46
	s_cbranch_execz .LBB293_242
.LBB293_13:                             ; =>This Inner Loop Header: Depth=1
	v_sub_nc_u32_e32 v1, 0, v18
	s_delay_alu instid0(VALU_DEP_1) | instskip(SKIP_1) | instid1(VALU_DEP_1)
	v_max_i32_e32 v1, v18, v1
	s_waitcnt lgkmcnt(0)
	v_mul_hi_u32 v9, v1, s31
	s_delay_alu instid0(VALU_DEP_1) | instskip(NEXT) | instid1(VALU_DEP_1)
	v_mul_lo_u32 v10, v9, s27
	v_sub_nc_u32_e32 v1, v1, v10
	v_add_nc_u32_e32 v10, 1, v9
	s_delay_alu instid0(VALU_DEP_2) | instskip(SKIP_1) | instid1(VALU_DEP_1)
	v_subrev_nc_u32_e32 v24, s27, v1
	v_cmp_le_u32_e64 s1, s27, v1
	v_cndmask_b32_e64 v9, v9, v10, s1
	s_delay_alu instid0(VALU_DEP_3) | instskip(SKIP_1) | instid1(VALU_DEP_3)
	v_cndmask_b32_e64 v1, v1, v24, s1
	v_ashrrev_i32_e32 v10, 31, v18
	v_add_nc_u32_e32 v24, 1, v9
	s_delay_alu instid0(VALU_DEP_3) | instskip(NEXT) | instid1(VALU_DEP_3)
	v_cmp_le_u32_e64 s1, s27, v1
	v_xor_b32_e32 v10, s19, v10
	s_delay_alu instid0(VALU_DEP_2) | instskip(NEXT) | instid1(VALU_DEP_1)
	v_cndmask_b32_e64 v1, v9, v24, s1
	v_xor_b32_e32 v1, v1, v10
	s_delay_alu instid0(VALU_DEP_1) | instskip(NEXT) | instid1(VALU_DEP_1)
	v_sub_nc_u32_e32 v1, v1, v10
	v_add_nc_u32_e32 v9, s40, v1
	v_cmp_ge_i32_e64 s3, s44, v1
	s_delay_alu instid0(VALU_DEP_2) | instskip(NEXT) | instid1(VALU_DEP_1)
	v_sub_nc_u32_e32 v10, 0, v9
	v_max_i32_e32 v10, v9, v10
	v_ashrrev_i32_e32 v9, 31, v9
	s_delay_alu instid0(VALU_DEP_2) | instskip(NEXT) | instid1(VALU_DEP_1)
	v_mul_hi_u32 v24, v10, v22
	v_mul_lo_u32 v24, v24, s45
	s_delay_alu instid0(VALU_DEP_1) | instskip(NEXT) | instid1(VALU_DEP_1)
	v_sub_nc_u32_e32 v10, v10, v24
	v_subrev_nc_u32_e32 v24, s45, v10
	v_cmp_le_u32_e64 s1, s45, v10
	s_delay_alu instid0(VALU_DEP_1) | instskip(NEXT) | instid1(VALU_DEP_1)
	v_cndmask_b32_e64 v10, v10, v24, s1
	v_subrev_nc_u32_e32 v24, s45, v10
	v_cmp_le_u32_e64 s1, s45, v10
	s_delay_alu instid0(VALU_DEP_1) | instskip(NEXT) | instid1(VALU_DEP_1)
	v_cndmask_b32_e64 v10, v10, v24, s1
	v_xor_b32_e32 v10, v10, v9
	s_delay_alu instid0(VALU_DEP_1) | instskip(NEXT) | instid1(VALU_DEP_1)
	v_sub_nc_u32_e32 v9, v10, v9
	v_cmp_ne_u32_e64 s1, 0, v9
	s_delay_alu instid0(VALU_DEP_1) | instskip(NEXT) | instid1(SALU_CYCLE_1)
	s_and_b32 s1, s1, s3
	s_and_b32 s48, vcc_lo, s1
	s_delay_alu instid0(SALU_CYCLE_1)
	s_and_saveexec_b32 s3, s48
	s_cbranch_execz .LBB293_15
; %bb.14:                               ;   in Loop: Header=BB293_13 Depth=1
	ds_store_b32 v21, v19
.LBB293_15:                             ;   in Loop: Header=BB293_13 Depth=1
	s_or_b32 exec_lo, exec_lo, s3
	s_xor_b32 s1, s1, -1
	s_delay_alu instid0(SALU_CYCLE_1)
	s_and_saveexec_b32 s3, s1
	s_cbranch_execz .LBB293_12
; %bb.16:                               ;   in Loop: Header=BB293_13 Depth=1
	global_load_b32 v1, v[7:8], off
	v_mov_b32_e32 v25, 0
	s_waitcnt vmcnt(0)
	v_mad_i64_i32 v[9:10], null, v1, s47, v[3:4]
	s_delay_alu instid0(VALU_DEP_1) | instskip(NEXT) | instid1(VALU_DEP_1)
	v_add_co_u32 v9, s1, v9, v14
	v_add_co_ci_u32_e64 v10, s1, 0, v10, s1
	global_load_u16 v1, v[9:10], off
	global_load_b32 v24, v2, s[4:5]
	s_waitcnt vmcnt(1)
	v_and_b32_e32 v26, 0xff, v1
	v_and_b32_e32 v27, 0xffff, v1
	s_delay_alu instid0(VALU_DEP_2) | instskip(SKIP_1) | instid1(VALU_DEP_2)
	v_cmp_ne_u16_e64 s1, 0, v26
	v_mov_b32_e32 v26, 0
	s_and_saveexec_b32 s48, s1
	s_cbranch_execz .LBB293_24
; %bb.17:                               ;   in Loop: Header=BB293_13 Depth=1
	v_and_b32_e32 v1, 0xff, v27
	v_bfrev_b32_e32 v26, 1
	s_mov_b32 s49, exec_lo
	s_delay_alu instid0(VALU_DEP_2)
	v_cmpx_ne_u16_e32 0x80, v1
	s_cbranch_execz .LBB293_23
; %bb.18:                               ;   in Loop: Header=BB293_13 Depth=1
	v_and_b32_e32 v28, 0x7f, v27
	v_mov_b32_e32 v26, 0x7fc02000
	s_mov_b32 s50, exec_lo
	s_delay_alu instid0(VALU_DEP_2)
	v_cmpx_ne_u32_e32 0x7f, v28
	s_cbranch_execz .LBB293_22
; %bb.19:                               ;   in Loop: Header=BB293_13 Depth=1
	v_and_b32_e32 v1, 7, v27
	v_lshrrev_b32_e32 v26, 3, v28
	s_mov_b32 s51, exec_lo
	v_cmpx_gt_u32_e32 8, v28
; %bb.20:                               ;   in Loop: Header=BB293_13 Depth=1
	s_delay_alu instid0(VALU_DEP_3) | instskip(NEXT) | instid1(VALU_DEP_1)
	v_clz_i32_u32_e32 v26, v1
	v_min_u32_e32 v26, 32, v26
	s_delay_alu instid0(VALU_DEP_1) | instskip(SKIP_1) | instid1(VALU_DEP_2)
	v_subrev_nc_u32_e32 v28, 28, v26
	v_sub_nc_u32_e32 v26, 29, v26
	v_lshlrev_b64 v[28:29], v28, v[1:2]
	s_delay_alu instid0(VALU_DEP_1)
	v_and_b32_e32 v1, 7, v28
; %bb.21:                               ;   in Loop: Header=BB293_13 Depth=1
	s_or_b32 exec_lo, exec_lo, s51
	v_lshlrev_b32_e32 v28, 8, v27
	v_lshl_add_u32 v26, v26, 10, 0x2000
	s_delay_alu instid0(VALU_DEP_1) | instskip(NEXT) | instid1(VALU_DEP_1)
	v_and_or_b32 v26, 0x8000, v28, v26
	v_lshl_or_b32 v1, v1, 7, v26
	s_delay_alu instid0(VALU_DEP_1)
	v_cvt_f32_f16_e32 v26, v1
.LBB293_22:                             ;   in Loop: Header=BB293_13 Depth=1
	s_or_b32 exec_lo, exec_lo, s50
.LBB293_23:                             ;   in Loop: Header=BB293_13 Depth=1
	s_delay_alu instid0(SALU_CYCLE_1)
	s_or_b32 exec_lo, exec_lo, s49
.LBB293_24:                             ;   in Loop: Header=BB293_13 Depth=1
	s_delay_alu instid0(SALU_CYCLE_1) | instskip(SKIP_2) | instid1(VALU_DEP_1)
	s_or_b32 exec_lo, exec_lo, s48
	v_lshrrev_b16 v1, 8, v27
	s_mov_b32 s48, exec_lo
	v_cmpx_ne_u16_e32 0, v1
	s_cbranch_execz .LBB293_32
; %bb.25:                               ;   in Loop: Header=BB293_13 Depth=1
	v_bfrev_b32_e32 v25, 1
	s_mov_b32 s49, exec_lo
	v_cmpx_ne_u16_e32 0x80, v1
	s_cbranch_execz .LBB293_31
; %bb.26:                               ;   in Loop: Header=BB293_13 Depth=1
	v_and_b32_e32 v27, 0xffff, v1
	v_mov_b32_e32 v25, 0x7fc02000
	s_mov_b32 s50, exec_lo
	s_delay_alu instid0(VALU_DEP_2) | instskip(NEXT) | instid1(VALU_DEP_1)
	v_and_b32_e32 v28, 0x7f, v27
	v_cmpx_ne_u32_e32 0x7f, v28
	s_cbranch_execz .LBB293_30
; %bb.27:                               ;   in Loop: Header=BB293_13 Depth=1
	v_and_b32_e32 v1, 7, v27
	v_lshrrev_b32_e32 v25, 3, v28
	s_mov_b32 s51, exec_lo
	v_cmpx_gt_u32_e32 8, v28
; %bb.28:                               ;   in Loop: Header=BB293_13 Depth=1
	s_delay_alu instid0(VALU_DEP_3) | instskip(NEXT) | instid1(VALU_DEP_1)
	v_clz_i32_u32_e32 v25, v1
	v_min_u32_e32 v25, 32, v25
	s_delay_alu instid0(VALU_DEP_1) | instskip(SKIP_1) | instid1(VALU_DEP_2)
	v_subrev_nc_u32_e32 v28, 28, v25
	v_sub_nc_u32_e32 v25, 29, v25
	v_lshlrev_b64 v[28:29], v28, v[1:2]
	s_delay_alu instid0(VALU_DEP_1)
	v_and_b32_e32 v1, 7, v28
; %bb.29:                               ;   in Loop: Header=BB293_13 Depth=1
	s_or_b32 exec_lo, exec_lo, s51
	v_lshlrev_b32_e32 v27, 8, v27
	v_lshl_add_u32 v25, v25, 10, 0x2000
	s_delay_alu instid0(VALU_DEP_1) | instskip(NEXT) | instid1(VALU_DEP_1)
	v_and_or_b32 v25, 0x8000, v27, v25
	v_lshl_or_b32 v1, v1, 7, v25
	s_delay_alu instid0(VALU_DEP_1)
	v_cvt_f32_f16_e32 v25, v1
.LBB293_30:                             ;   in Loop: Header=BB293_13 Depth=1
	s_or_b32 exec_lo, exec_lo, s50
.LBB293_31:                             ;   in Loop: Header=BB293_13 Depth=1
	s_delay_alu instid0(SALU_CYCLE_1)
	s_or_b32 exec_lo, exec_lo, s49
.LBB293_32:                             ;   in Loop: Header=BB293_13 Depth=1
	s_delay_alu instid0(SALU_CYCLE_1) | instskip(SKIP_4) | instid1(VALU_DEP_2)
	s_or_b32 exec_lo, exec_lo, s48
	global_load_u16 v1, v[9:10], off offset:8
	s_waitcnt vmcnt(0)
	v_dual_mov_b32 v27, 0 :: v_dual_and_b32 v28, 0xff, v1
	v_and_b32_e32 v29, 0xffff, v1
	v_cmp_ne_u16_e64 s1, 0, v28
	v_mov_b32_e32 v28, 0
	s_delay_alu instid0(VALU_DEP_2)
	s_and_saveexec_b32 s48, s1
	s_cbranch_execz .LBB293_40
; %bb.33:                               ;   in Loop: Header=BB293_13 Depth=1
	v_and_b32_e32 v1, 0xff, v29
	v_bfrev_b32_e32 v28, 1
	s_mov_b32 s49, exec_lo
	s_delay_alu instid0(VALU_DEP_2)
	v_cmpx_ne_u16_e32 0x80, v1
	s_cbranch_execz .LBB293_39
; %bb.34:                               ;   in Loop: Header=BB293_13 Depth=1
	v_and_b32_e32 v30, 0x7f, v29
	v_mov_b32_e32 v28, 0x7fc02000
	s_mov_b32 s50, exec_lo
	s_delay_alu instid0(VALU_DEP_2)
	v_cmpx_ne_u32_e32 0x7f, v30
	s_cbranch_execz .LBB293_38
; %bb.35:                               ;   in Loop: Header=BB293_13 Depth=1
	v_and_b32_e32 v1, 7, v29
	v_lshrrev_b32_e32 v28, 3, v30
	s_mov_b32 s51, exec_lo
	v_cmpx_gt_u32_e32 8, v30
; %bb.36:                               ;   in Loop: Header=BB293_13 Depth=1
	s_delay_alu instid0(VALU_DEP_3) | instskip(NEXT) | instid1(VALU_DEP_1)
	v_clz_i32_u32_e32 v28, v1
	v_min_u32_e32 v28, 32, v28
	s_delay_alu instid0(VALU_DEP_1) | instskip(SKIP_1) | instid1(VALU_DEP_2)
	v_subrev_nc_u32_e32 v30, 28, v28
	v_sub_nc_u32_e32 v28, 29, v28
	v_lshlrev_b64 v[30:31], v30, v[1:2]
	s_delay_alu instid0(VALU_DEP_1)
	v_and_b32_e32 v1, 7, v30
; %bb.37:                               ;   in Loop: Header=BB293_13 Depth=1
	s_or_b32 exec_lo, exec_lo, s51
	v_lshlrev_b32_e32 v30, 8, v29
	v_lshl_add_u32 v28, v28, 10, 0x2000
	s_delay_alu instid0(VALU_DEP_1) | instskip(NEXT) | instid1(VALU_DEP_1)
	v_and_or_b32 v28, 0x8000, v30, v28
	v_lshl_or_b32 v1, v1, 7, v28
	s_delay_alu instid0(VALU_DEP_1)
	v_cvt_f32_f16_e32 v28, v1
.LBB293_38:                             ;   in Loop: Header=BB293_13 Depth=1
	s_or_b32 exec_lo, exec_lo, s50
.LBB293_39:                             ;   in Loop: Header=BB293_13 Depth=1
	s_delay_alu instid0(SALU_CYCLE_1)
	s_or_b32 exec_lo, exec_lo, s49
.LBB293_40:                             ;   in Loop: Header=BB293_13 Depth=1
	s_delay_alu instid0(SALU_CYCLE_1) | instskip(SKIP_2) | instid1(VALU_DEP_1)
	s_or_b32 exec_lo, exec_lo, s48
	v_lshrrev_b16 v1, 8, v29
	s_mov_b32 s48, exec_lo
	v_cmpx_ne_u16_e32 0, v1
	s_cbranch_execz .LBB293_48
; %bb.41:                               ;   in Loop: Header=BB293_13 Depth=1
	v_bfrev_b32_e32 v27, 1
	s_mov_b32 s49, exec_lo
	v_cmpx_ne_u16_e32 0x80, v1
	s_cbranch_execz .LBB293_47
; %bb.42:                               ;   in Loop: Header=BB293_13 Depth=1
	v_and_b32_e32 v29, 0xffff, v1
	v_mov_b32_e32 v27, 0x7fc02000
	s_mov_b32 s50, exec_lo
	s_delay_alu instid0(VALU_DEP_2) | instskip(NEXT) | instid1(VALU_DEP_1)
	v_and_b32_e32 v30, 0x7f, v29
	v_cmpx_ne_u32_e32 0x7f, v30
	s_cbranch_execz .LBB293_46
; %bb.43:                               ;   in Loop: Header=BB293_13 Depth=1
	v_and_b32_e32 v1, 7, v29
	v_lshrrev_b32_e32 v27, 3, v30
	s_mov_b32 s51, exec_lo
	v_cmpx_gt_u32_e32 8, v30
; %bb.44:                               ;   in Loop: Header=BB293_13 Depth=1
	s_delay_alu instid0(VALU_DEP_3) | instskip(NEXT) | instid1(VALU_DEP_1)
	v_clz_i32_u32_e32 v27, v1
	v_min_u32_e32 v27, 32, v27
	s_delay_alu instid0(VALU_DEP_1) | instskip(SKIP_1) | instid1(VALU_DEP_2)
	v_subrev_nc_u32_e32 v30, 28, v27
	v_sub_nc_u32_e32 v27, 29, v27
	v_lshlrev_b64 v[30:31], v30, v[1:2]
	s_delay_alu instid0(VALU_DEP_1)
	v_and_b32_e32 v1, 7, v30
; %bb.45:                               ;   in Loop: Header=BB293_13 Depth=1
	s_or_b32 exec_lo, exec_lo, s51
	v_lshlrev_b32_e32 v29, 8, v29
	v_lshl_add_u32 v27, v27, 10, 0x2000
	s_delay_alu instid0(VALU_DEP_1) | instskip(NEXT) | instid1(VALU_DEP_1)
	v_and_or_b32 v27, 0x8000, v29, v27
	v_lshl_or_b32 v1, v1, 7, v27
	s_delay_alu instid0(VALU_DEP_1)
	v_cvt_f32_f16_e32 v27, v1
.LBB293_46:                             ;   in Loop: Header=BB293_13 Depth=1
	s_or_b32 exec_lo, exec_lo, s50
.LBB293_47:                             ;   in Loop: Header=BB293_13 Depth=1
	s_delay_alu instid0(SALU_CYCLE_1)
	s_or_b32 exec_lo, exec_lo, s49
.LBB293_48:                             ;   in Loop: Header=BB293_13 Depth=1
	s_delay_alu instid0(SALU_CYCLE_1) | instskip(SKIP_4) | instid1(VALU_DEP_2)
	s_or_b32 exec_lo, exec_lo, s48
	global_load_u16 v1, v[9:10], off offset:128
	s_waitcnt vmcnt(0)
	v_dual_mov_b32 v29, 0 :: v_dual_and_b32 v30, 0xff, v1
	v_and_b32_e32 v31, 0xffff, v1
	v_cmp_ne_u16_e64 s1, 0, v30
	v_mov_b32_e32 v30, 0
	s_delay_alu instid0(VALU_DEP_2)
	s_and_saveexec_b32 s48, s1
	s_cbranch_execz .LBB293_56
; %bb.49:                               ;   in Loop: Header=BB293_13 Depth=1
	v_and_b32_e32 v1, 0xff, v31
	v_bfrev_b32_e32 v30, 1
	s_mov_b32 s49, exec_lo
	s_delay_alu instid0(VALU_DEP_2)
	v_cmpx_ne_u16_e32 0x80, v1
	s_cbranch_execz .LBB293_55
; %bb.50:                               ;   in Loop: Header=BB293_13 Depth=1
	v_and_b32_e32 v32, 0x7f, v31
	v_mov_b32_e32 v30, 0x7fc02000
	s_mov_b32 s50, exec_lo
	s_delay_alu instid0(VALU_DEP_2)
	v_cmpx_ne_u32_e32 0x7f, v32
	s_cbranch_execz .LBB293_54
; %bb.51:                               ;   in Loop: Header=BB293_13 Depth=1
	v_and_b32_e32 v1, 7, v31
	v_lshrrev_b32_e32 v30, 3, v32
	s_mov_b32 s51, exec_lo
	v_cmpx_gt_u32_e32 8, v32
; %bb.52:                               ;   in Loop: Header=BB293_13 Depth=1
	s_delay_alu instid0(VALU_DEP_3) | instskip(NEXT) | instid1(VALU_DEP_1)
	v_clz_i32_u32_e32 v30, v1
	v_min_u32_e32 v30, 32, v30
	s_delay_alu instid0(VALU_DEP_1) | instskip(SKIP_1) | instid1(VALU_DEP_2)
	v_subrev_nc_u32_e32 v32, 28, v30
	v_sub_nc_u32_e32 v30, 29, v30
	v_lshlrev_b64 v[32:33], v32, v[1:2]
	s_delay_alu instid0(VALU_DEP_1)
	v_and_b32_e32 v1, 7, v32
; %bb.53:                               ;   in Loop: Header=BB293_13 Depth=1
	s_or_b32 exec_lo, exec_lo, s51
	v_lshlrev_b32_e32 v32, 8, v31
	v_lshl_add_u32 v30, v30, 10, 0x2000
	s_delay_alu instid0(VALU_DEP_1) | instskip(NEXT) | instid1(VALU_DEP_1)
	v_and_or_b32 v30, 0x8000, v32, v30
	v_lshl_or_b32 v1, v1, 7, v30
	s_delay_alu instid0(VALU_DEP_1)
	v_cvt_f32_f16_e32 v30, v1
.LBB293_54:                             ;   in Loop: Header=BB293_13 Depth=1
	s_or_b32 exec_lo, exec_lo, s50
.LBB293_55:                             ;   in Loop: Header=BB293_13 Depth=1
	s_delay_alu instid0(SALU_CYCLE_1)
	s_or_b32 exec_lo, exec_lo, s49
.LBB293_56:                             ;   in Loop: Header=BB293_13 Depth=1
	s_delay_alu instid0(SALU_CYCLE_1) | instskip(SKIP_2) | instid1(VALU_DEP_1)
	s_or_b32 exec_lo, exec_lo, s48
	v_lshrrev_b16 v1, 8, v31
	s_mov_b32 s48, exec_lo
	v_cmpx_ne_u16_e32 0, v1
	s_cbranch_execz .LBB293_64
; %bb.57:                               ;   in Loop: Header=BB293_13 Depth=1
	v_bfrev_b32_e32 v29, 1
	s_mov_b32 s49, exec_lo
	v_cmpx_ne_u16_e32 0x80, v1
	s_cbranch_execz .LBB293_63
; %bb.58:                               ;   in Loop: Header=BB293_13 Depth=1
	v_and_b32_e32 v31, 0xffff, v1
	v_mov_b32_e32 v29, 0x7fc02000
	s_mov_b32 s50, exec_lo
	s_delay_alu instid0(VALU_DEP_2) | instskip(NEXT) | instid1(VALU_DEP_1)
	v_and_b32_e32 v32, 0x7f, v31
	v_cmpx_ne_u32_e32 0x7f, v32
	s_cbranch_execz .LBB293_62
; %bb.59:                               ;   in Loop: Header=BB293_13 Depth=1
	v_and_b32_e32 v1, 7, v31
	v_lshrrev_b32_e32 v29, 3, v32
	s_mov_b32 s51, exec_lo
	v_cmpx_gt_u32_e32 8, v32
; %bb.60:                               ;   in Loop: Header=BB293_13 Depth=1
	s_delay_alu instid0(VALU_DEP_3) | instskip(NEXT) | instid1(VALU_DEP_1)
	v_clz_i32_u32_e32 v29, v1
	v_min_u32_e32 v29, 32, v29
	s_delay_alu instid0(VALU_DEP_1) | instskip(SKIP_1) | instid1(VALU_DEP_2)
	v_subrev_nc_u32_e32 v32, 28, v29
	v_sub_nc_u32_e32 v29, 29, v29
	v_lshlrev_b64 v[32:33], v32, v[1:2]
	s_delay_alu instid0(VALU_DEP_1)
	v_and_b32_e32 v1, 7, v32
; %bb.61:                               ;   in Loop: Header=BB293_13 Depth=1
	s_or_b32 exec_lo, exec_lo, s51
	v_lshlrev_b32_e32 v31, 8, v31
	v_lshl_add_u32 v29, v29, 10, 0x2000
	s_delay_alu instid0(VALU_DEP_1) | instskip(NEXT) | instid1(VALU_DEP_1)
	v_and_or_b32 v29, 0x8000, v31, v29
	v_lshl_or_b32 v1, v1, 7, v29
	s_delay_alu instid0(VALU_DEP_1)
	v_cvt_f32_f16_e32 v29, v1
.LBB293_62:                             ;   in Loop: Header=BB293_13 Depth=1
	s_or_b32 exec_lo, exec_lo, s50
.LBB293_63:                             ;   in Loop: Header=BB293_13 Depth=1
	s_delay_alu instid0(SALU_CYCLE_1)
	s_or_b32 exec_lo, exec_lo, s49
.LBB293_64:                             ;   in Loop: Header=BB293_13 Depth=1
	s_delay_alu instid0(SALU_CYCLE_1) | instskip(SKIP_4) | instid1(VALU_DEP_2)
	s_or_b32 exec_lo, exec_lo, s48
	global_load_u16 v1, v[9:10], off offset:136
	s_waitcnt vmcnt(0)
	v_dual_mov_b32 v31, 0 :: v_dual_and_b32 v32, 0xff, v1
	v_and_b32_e32 v33, 0xffff, v1
	v_cmp_ne_u16_e64 s1, 0, v32
	v_mov_b32_e32 v32, 0
	s_delay_alu instid0(VALU_DEP_2)
	s_and_saveexec_b32 s48, s1
	s_cbranch_execz .LBB293_72
; %bb.65:                               ;   in Loop: Header=BB293_13 Depth=1
	v_and_b32_e32 v1, 0xff, v33
	v_bfrev_b32_e32 v32, 1
	s_mov_b32 s49, exec_lo
	s_delay_alu instid0(VALU_DEP_2)
	v_cmpx_ne_u16_e32 0x80, v1
	s_cbranch_execz .LBB293_71
; %bb.66:                               ;   in Loop: Header=BB293_13 Depth=1
	v_and_b32_e32 v34, 0x7f, v33
	v_mov_b32_e32 v32, 0x7fc02000
	s_mov_b32 s50, exec_lo
	s_delay_alu instid0(VALU_DEP_2)
	v_cmpx_ne_u32_e32 0x7f, v34
	s_cbranch_execz .LBB293_70
; %bb.67:                               ;   in Loop: Header=BB293_13 Depth=1
	v_and_b32_e32 v1, 7, v33
	v_lshrrev_b32_e32 v32, 3, v34
	s_mov_b32 s51, exec_lo
	v_cmpx_gt_u32_e32 8, v34
; %bb.68:                               ;   in Loop: Header=BB293_13 Depth=1
	s_delay_alu instid0(VALU_DEP_3) | instskip(NEXT) | instid1(VALU_DEP_1)
	v_clz_i32_u32_e32 v32, v1
	v_min_u32_e32 v32, 32, v32
	s_delay_alu instid0(VALU_DEP_1) | instskip(SKIP_1) | instid1(VALU_DEP_2)
	v_subrev_nc_u32_e32 v34, 28, v32
	v_sub_nc_u32_e32 v32, 29, v32
	v_lshlrev_b64 v[34:35], v34, v[1:2]
	s_delay_alu instid0(VALU_DEP_1)
	v_and_b32_e32 v1, 7, v34
; %bb.69:                               ;   in Loop: Header=BB293_13 Depth=1
	s_or_b32 exec_lo, exec_lo, s51
	v_lshlrev_b32_e32 v34, 8, v33
	v_lshl_add_u32 v32, v32, 10, 0x2000
	s_delay_alu instid0(VALU_DEP_1) | instskip(NEXT) | instid1(VALU_DEP_1)
	v_and_or_b32 v32, 0x8000, v34, v32
	v_lshl_or_b32 v1, v1, 7, v32
	s_delay_alu instid0(VALU_DEP_1)
	v_cvt_f32_f16_e32 v32, v1
.LBB293_70:                             ;   in Loop: Header=BB293_13 Depth=1
	s_or_b32 exec_lo, exec_lo, s50
.LBB293_71:                             ;   in Loop: Header=BB293_13 Depth=1
	s_delay_alu instid0(SALU_CYCLE_1)
	s_or_b32 exec_lo, exec_lo, s49
.LBB293_72:                             ;   in Loop: Header=BB293_13 Depth=1
	s_delay_alu instid0(SALU_CYCLE_1) | instskip(SKIP_2) | instid1(VALU_DEP_1)
	s_or_b32 exec_lo, exec_lo, s48
	v_lshrrev_b16 v1, 8, v33
	s_mov_b32 s48, exec_lo
	v_cmpx_ne_u16_e32 0, v1
	s_cbranch_execz .LBB293_80
; %bb.73:                               ;   in Loop: Header=BB293_13 Depth=1
	v_bfrev_b32_e32 v31, 1
	s_mov_b32 s49, exec_lo
	v_cmpx_ne_u16_e32 0x80, v1
	s_cbranch_execz .LBB293_79
; %bb.74:                               ;   in Loop: Header=BB293_13 Depth=1
	v_and_b32_e32 v33, 0xffff, v1
	v_mov_b32_e32 v31, 0x7fc02000
	s_mov_b32 s50, exec_lo
	s_delay_alu instid0(VALU_DEP_2) | instskip(NEXT) | instid1(VALU_DEP_1)
	v_and_b32_e32 v34, 0x7f, v33
	v_cmpx_ne_u32_e32 0x7f, v34
	s_cbranch_execz .LBB293_78
; %bb.75:                               ;   in Loop: Header=BB293_13 Depth=1
	v_and_b32_e32 v1, 7, v33
	v_lshrrev_b32_e32 v31, 3, v34
	s_mov_b32 s51, exec_lo
	v_cmpx_gt_u32_e32 8, v34
; %bb.76:                               ;   in Loop: Header=BB293_13 Depth=1
	s_delay_alu instid0(VALU_DEP_3) | instskip(NEXT) | instid1(VALU_DEP_1)
	v_clz_i32_u32_e32 v31, v1
	v_min_u32_e32 v31, 32, v31
	s_delay_alu instid0(VALU_DEP_1) | instskip(SKIP_1) | instid1(VALU_DEP_2)
	v_subrev_nc_u32_e32 v34, 28, v31
	v_sub_nc_u32_e32 v31, 29, v31
	v_lshlrev_b64 v[34:35], v34, v[1:2]
	s_delay_alu instid0(VALU_DEP_1)
	v_and_b32_e32 v1, 7, v34
; %bb.77:                               ;   in Loop: Header=BB293_13 Depth=1
	s_or_b32 exec_lo, exec_lo, s51
	v_lshlrev_b32_e32 v33, 8, v33
	v_lshl_add_u32 v31, v31, 10, 0x2000
	s_delay_alu instid0(VALU_DEP_1) | instskip(NEXT) | instid1(VALU_DEP_1)
	v_and_or_b32 v31, 0x8000, v33, v31
	v_lshl_or_b32 v1, v1, 7, v31
	s_delay_alu instid0(VALU_DEP_1)
	v_cvt_f32_f16_e32 v31, v1
.LBB293_78:                             ;   in Loop: Header=BB293_13 Depth=1
	s_or_b32 exec_lo, exec_lo, s50
.LBB293_79:                             ;   in Loop: Header=BB293_13 Depth=1
	s_delay_alu instid0(SALU_CYCLE_1)
	s_or_b32 exec_lo, exec_lo, s49
.LBB293_80:                             ;   in Loop: Header=BB293_13 Depth=1
	s_delay_alu instid0(SALU_CYCLE_1) | instskip(SKIP_4) | instid1(VALU_DEP_2)
	s_or_b32 exec_lo, exec_lo, s48
	global_load_u16 v1, v[9:10], off offset:256
	s_waitcnt vmcnt(0)
	v_dual_mov_b32 v33, 0 :: v_dual_and_b32 v34, 0xff, v1
	v_and_b32_e32 v35, 0xffff, v1
	v_cmp_ne_u16_e64 s1, 0, v34
	v_mov_b32_e32 v34, 0
	s_delay_alu instid0(VALU_DEP_2)
	s_and_saveexec_b32 s48, s1
	s_cbranch_execz .LBB293_88
; %bb.81:                               ;   in Loop: Header=BB293_13 Depth=1
	v_and_b32_e32 v1, 0xff, v35
	v_bfrev_b32_e32 v34, 1
	s_mov_b32 s49, exec_lo
	s_delay_alu instid0(VALU_DEP_2)
	v_cmpx_ne_u16_e32 0x80, v1
	s_cbranch_execz .LBB293_87
; %bb.82:                               ;   in Loop: Header=BB293_13 Depth=1
	v_and_b32_e32 v36, 0x7f, v35
	v_mov_b32_e32 v34, 0x7fc02000
	s_mov_b32 s50, exec_lo
	s_delay_alu instid0(VALU_DEP_2)
	v_cmpx_ne_u32_e32 0x7f, v36
	s_cbranch_execz .LBB293_86
; %bb.83:                               ;   in Loop: Header=BB293_13 Depth=1
	v_and_b32_e32 v1, 7, v35
	v_lshrrev_b32_e32 v34, 3, v36
	s_mov_b32 s51, exec_lo
	v_cmpx_gt_u32_e32 8, v36
; %bb.84:                               ;   in Loop: Header=BB293_13 Depth=1
	s_delay_alu instid0(VALU_DEP_3) | instskip(NEXT) | instid1(VALU_DEP_1)
	v_clz_i32_u32_e32 v34, v1
	v_min_u32_e32 v34, 32, v34
	s_delay_alu instid0(VALU_DEP_1) | instskip(SKIP_1) | instid1(VALU_DEP_2)
	v_subrev_nc_u32_e32 v36, 28, v34
	v_sub_nc_u32_e32 v34, 29, v34
	v_lshlrev_b64 v[36:37], v36, v[1:2]
	s_delay_alu instid0(VALU_DEP_1)
	v_and_b32_e32 v1, 7, v36
; %bb.85:                               ;   in Loop: Header=BB293_13 Depth=1
	s_or_b32 exec_lo, exec_lo, s51
	v_lshlrev_b32_e32 v36, 8, v35
	v_lshl_add_u32 v34, v34, 10, 0x2000
	s_delay_alu instid0(VALU_DEP_1) | instskip(NEXT) | instid1(VALU_DEP_1)
	v_and_or_b32 v34, 0x8000, v36, v34
	v_lshl_or_b32 v1, v1, 7, v34
	s_delay_alu instid0(VALU_DEP_1)
	v_cvt_f32_f16_e32 v34, v1
.LBB293_86:                             ;   in Loop: Header=BB293_13 Depth=1
	s_or_b32 exec_lo, exec_lo, s50
.LBB293_87:                             ;   in Loop: Header=BB293_13 Depth=1
	s_delay_alu instid0(SALU_CYCLE_1)
	s_or_b32 exec_lo, exec_lo, s49
.LBB293_88:                             ;   in Loop: Header=BB293_13 Depth=1
	s_delay_alu instid0(SALU_CYCLE_1) | instskip(SKIP_2) | instid1(VALU_DEP_1)
	s_or_b32 exec_lo, exec_lo, s48
	v_lshrrev_b16 v1, 8, v35
	s_mov_b32 s48, exec_lo
	v_cmpx_ne_u16_e32 0, v1
	s_cbranch_execz .LBB293_96
; %bb.89:                               ;   in Loop: Header=BB293_13 Depth=1
	v_bfrev_b32_e32 v33, 1
	s_mov_b32 s49, exec_lo
	v_cmpx_ne_u16_e32 0x80, v1
	s_cbranch_execz .LBB293_95
; %bb.90:                               ;   in Loop: Header=BB293_13 Depth=1
	v_and_b32_e32 v35, 0xffff, v1
	v_mov_b32_e32 v33, 0x7fc02000
	s_mov_b32 s50, exec_lo
	s_delay_alu instid0(VALU_DEP_2) | instskip(NEXT) | instid1(VALU_DEP_1)
	v_and_b32_e32 v36, 0x7f, v35
	v_cmpx_ne_u32_e32 0x7f, v36
	s_cbranch_execz .LBB293_94
; %bb.91:                               ;   in Loop: Header=BB293_13 Depth=1
	v_and_b32_e32 v1, 7, v35
	v_lshrrev_b32_e32 v33, 3, v36
	s_mov_b32 s51, exec_lo
	v_cmpx_gt_u32_e32 8, v36
; %bb.92:                               ;   in Loop: Header=BB293_13 Depth=1
	s_delay_alu instid0(VALU_DEP_3) | instskip(NEXT) | instid1(VALU_DEP_1)
	v_clz_i32_u32_e32 v33, v1
	v_min_u32_e32 v33, 32, v33
	s_delay_alu instid0(VALU_DEP_1) | instskip(SKIP_1) | instid1(VALU_DEP_2)
	v_subrev_nc_u32_e32 v36, 28, v33
	v_sub_nc_u32_e32 v33, 29, v33
	v_lshlrev_b64 v[36:37], v36, v[1:2]
	s_delay_alu instid0(VALU_DEP_1)
	v_and_b32_e32 v1, 7, v36
; %bb.93:                               ;   in Loop: Header=BB293_13 Depth=1
	s_or_b32 exec_lo, exec_lo, s51
	v_lshlrev_b32_e32 v35, 8, v35
	v_lshl_add_u32 v33, v33, 10, 0x2000
	s_delay_alu instid0(VALU_DEP_1) | instskip(NEXT) | instid1(VALU_DEP_1)
	v_and_or_b32 v33, 0x8000, v35, v33
	v_lshl_or_b32 v1, v1, 7, v33
	s_delay_alu instid0(VALU_DEP_1)
	v_cvt_f32_f16_e32 v33, v1
.LBB293_94:                             ;   in Loop: Header=BB293_13 Depth=1
	s_or_b32 exec_lo, exec_lo, s50
.LBB293_95:                             ;   in Loop: Header=BB293_13 Depth=1
	s_delay_alu instid0(SALU_CYCLE_1)
	s_or_b32 exec_lo, exec_lo, s49
.LBB293_96:                             ;   in Loop: Header=BB293_13 Depth=1
	s_delay_alu instid0(SALU_CYCLE_1) | instskip(SKIP_4) | instid1(VALU_DEP_2)
	s_or_b32 exec_lo, exec_lo, s48
	global_load_u16 v1, v[9:10], off offset:264
	s_waitcnt vmcnt(0)
	v_dual_mov_b32 v35, 0 :: v_dual_and_b32 v36, 0xff, v1
	v_and_b32_e32 v37, 0xffff, v1
	v_cmp_ne_u16_e64 s1, 0, v36
	v_mov_b32_e32 v36, 0
	s_delay_alu instid0(VALU_DEP_2)
	s_and_saveexec_b32 s48, s1
	s_cbranch_execz .LBB293_104
; %bb.97:                               ;   in Loop: Header=BB293_13 Depth=1
	v_and_b32_e32 v1, 0xff, v37
	v_bfrev_b32_e32 v36, 1
	s_mov_b32 s49, exec_lo
	s_delay_alu instid0(VALU_DEP_2)
	v_cmpx_ne_u16_e32 0x80, v1
	s_cbranch_execz .LBB293_103
; %bb.98:                               ;   in Loop: Header=BB293_13 Depth=1
	v_and_b32_e32 v38, 0x7f, v37
	v_mov_b32_e32 v36, 0x7fc02000
	s_mov_b32 s50, exec_lo
	s_delay_alu instid0(VALU_DEP_2)
	v_cmpx_ne_u32_e32 0x7f, v38
	s_cbranch_execz .LBB293_102
; %bb.99:                               ;   in Loop: Header=BB293_13 Depth=1
	v_and_b32_e32 v1, 7, v37
	v_lshrrev_b32_e32 v36, 3, v38
	s_mov_b32 s51, exec_lo
	v_cmpx_gt_u32_e32 8, v38
; %bb.100:                              ;   in Loop: Header=BB293_13 Depth=1
	s_delay_alu instid0(VALU_DEP_3) | instskip(NEXT) | instid1(VALU_DEP_1)
	v_clz_i32_u32_e32 v36, v1
	v_min_u32_e32 v36, 32, v36
	s_delay_alu instid0(VALU_DEP_1) | instskip(SKIP_1) | instid1(VALU_DEP_2)
	v_subrev_nc_u32_e32 v38, 28, v36
	v_sub_nc_u32_e32 v36, 29, v36
	v_lshlrev_b64 v[38:39], v38, v[1:2]
	s_delay_alu instid0(VALU_DEP_1)
	v_and_b32_e32 v1, 7, v38
; %bb.101:                              ;   in Loop: Header=BB293_13 Depth=1
	s_or_b32 exec_lo, exec_lo, s51
	v_lshlrev_b32_e32 v38, 8, v37
	v_lshl_add_u32 v36, v36, 10, 0x2000
	s_delay_alu instid0(VALU_DEP_1) | instskip(NEXT) | instid1(VALU_DEP_1)
	v_and_or_b32 v36, 0x8000, v38, v36
	v_lshl_or_b32 v1, v1, 7, v36
	s_delay_alu instid0(VALU_DEP_1)
	v_cvt_f32_f16_e32 v36, v1
.LBB293_102:                            ;   in Loop: Header=BB293_13 Depth=1
	s_or_b32 exec_lo, exec_lo, s50
.LBB293_103:                            ;   in Loop: Header=BB293_13 Depth=1
	s_delay_alu instid0(SALU_CYCLE_1)
	s_or_b32 exec_lo, exec_lo, s49
.LBB293_104:                            ;   in Loop: Header=BB293_13 Depth=1
	s_delay_alu instid0(SALU_CYCLE_1) | instskip(SKIP_2) | instid1(VALU_DEP_1)
	s_or_b32 exec_lo, exec_lo, s48
	v_lshrrev_b16 v1, 8, v37
	s_mov_b32 s48, exec_lo
	v_cmpx_ne_u16_e32 0, v1
	s_cbranch_execz .LBB293_112
; %bb.105:                              ;   in Loop: Header=BB293_13 Depth=1
	v_bfrev_b32_e32 v35, 1
	s_mov_b32 s49, exec_lo
	v_cmpx_ne_u16_e32 0x80, v1
	s_cbranch_execz .LBB293_111
; %bb.106:                              ;   in Loop: Header=BB293_13 Depth=1
	v_and_b32_e32 v37, 0xffff, v1
	v_mov_b32_e32 v35, 0x7fc02000
	s_mov_b32 s50, exec_lo
	s_delay_alu instid0(VALU_DEP_2) | instskip(NEXT) | instid1(VALU_DEP_1)
	v_and_b32_e32 v38, 0x7f, v37
	v_cmpx_ne_u32_e32 0x7f, v38
	s_cbranch_execz .LBB293_110
; %bb.107:                              ;   in Loop: Header=BB293_13 Depth=1
	v_and_b32_e32 v1, 7, v37
	v_lshrrev_b32_e32 v35, 3, v38
	s_mov_b32 s51, exec_lo
	v_cmpx_gt_u32_e32 8, v38
; %bb.108:                              ;   in Loop: Header=BB293_13 Depth=1
	s_delay_alu instid0(VALU_DEP_3) | instskip(NEXT) | instid1(VALU_DEP_1)
	v_clz_i32_u32_e32 v35, v1
	v_min_u32_e32 v35, 32, v35
	s_delay_alu instid0(VALU_DEP_1) | instskip(SKIP_1) | instid1(VALU_DEP_2)
	v_subrev_nc_u32_e32 v38, 28, v35
	v_sub_nc_u32_e32 v35, 29, v35
	v_lshlrev_b64 v[38:39], v38, v[1:2]
	s_delay_alu instid0(VALU_DEP_1)
	v_and_b32_e32 v1, 7, v38
; %bb.109:                              ;   in Loop: Header=BB293_13 Depth=1
	s_or_b32 exec_lo, exec_lo, s51
	v_lshlrev_b32_e32 v37, 8, v37
	v_lshl_add_u32 v35, v35, 10, 0x2000
	s_delay_alu instid0(VALU_DEP_1) | instskip(NEXT) | instid1(VALU_DEP_1)
	v_and_or_b32 v35, 0x8000, v37, v35
	v_lshl_or_b32 v1, v1, 7, v35
	s_delay_alu instid0(VALU_DEP_1)
	v_cvt_f32_f16_e32 v35, v1
.LBB293_110:                            ;   in Loop: Header=BB293_13 Depth=1
	s_or_b32 exec_lo, exec_lo, s50
.LBB293_111:                            ;   in Loop: Header=BB293_13 Depth=1
	s_delay_alu instid0(SALU_CYCLE_1)
	s_or_b32 exec_lo, exec_lo, s49
.LBB293_112:                            ;   in Loop: Header=BB293_13 Depth=1
	s_delay_alu instid0(SALU_CYCLE_1) | instskip(SKIP_4) | instid1(VALU_DEP_2)
	s_or_b32 exec_lo, exec_lo, s48
	global_load_u16 v1, v[9:10], off offset:384
	s_waitcnt vmcnt(0)
	v_dual_mov_b32 v37, 0 :: v_dual_and_b32 v38, 0xff, v1
	v_and_b32_e32 v39, 0xffff, v1
	v_cmp_ne_u16_e64 s1, 0, v38
	v_mov_b32_e32 v38, 0
	s_delay_alu instid0(VALU_DEP_2)
	s_and_saveexec_b32 s48, s1
	s_cbranch_execz .LBB293_120
; %bb.113:                              ;   in Loop: Header=BB293_13 Depth=1
	v_and_b32_e32 v1, 0xff, v39
	v_bfrev_b32_e32 v38, 1
	s_mov_b32 s49, exec_lo
	s_delay_alu instid0(VALU_DEP_2)
	v_cmpx_ne_u16_e32 0x80, v1
	s_cbranch_execz .LBB293_119
; %bb.114:                              ;   in Loop: Header=BB293_13 Depth=1
	v_and_b32_e32 v40, 0x7f, v39
	v_mov_b32_e32 v38, 0x7fc02000
	s_mov_b32 s50, exec_lo
	s_delay_alu instid0(VALU_DEP_2)
	v_cmpx_ne_u32_e32 0x7f, v40
	s_cbranch_execz .LBB293_118
; %bb.115:                              ;   in Loop: Header=BB293_13 Depth=1
	v_and_b32_e32 v1, 7, v39
	v_lshrrev_b32_e32 v38, 3, v40
	s_mov_b32 s51, exec_lo
	v_cmpx_gt_u32_e32 8, v40
; %bb.116:                              ;   in Loop: Header=BB293_13 Depth=1
	s_delay_alu instid0(VALU_DEP_3) | instskip(NEXT) | instid1(VALU_DEP_1)
	v_clz_i32_u32_e32 v38, v1
	v_min_u32_e32 v38, 32, v38
	s_delay_alu instid0(VALU_DEP_1) | instskip(SKIP_1) | instid1(VALU_DEP_2)
	v_subrev_nc_u32_e32 v40, 28, v38
	v_sub_nc_u32_e32 v38, 29, v38
	v_lshlrev_b64 v[40:41], v40, v[1:2]
	s_delay_alu instid0(VALU_DEP_1)
	v_and_b32_e32 v1, 7, v40
; %bb.117:                              ;   in Loop: Header=BB293_13 Depth=1
	s_or_b32 exec_lo, exec_lo, s51
	v_lshlrev_b32_e32 v40, 8, v39
	v_lshl_add_u32 v38, v38, 10, 0x2000
	s_delay_alu instid0(VALU_DEP_1) | instskip(NEXT) | instid1(VALU_DEP_1)
	v_and_or_b32 v38, 0x8000, v40, v38
	v_lshl_or_b32 v1, v1, 7, v38
	s_delay_alu instid0(VALU_DEP_1)
	v_cvt_f32_f16_e32 v38, v1
.LBB293_118:                            ;   in Loop: Header=BB293_13 Depth=1
	s_or_b32 exec_lo, exec_lo, s50
.LBB293_119:                            ;   in Loop: Header=BB293_13 Depth=1
	s_delay_alu instid0(SALU_CYCLE_1)
	s_or_b32 exec_lo, exec_lo, s49
.LBB293_120:                            ;   in Loop: Header=BB293_13 Depth=1
	s_delay_alu instid0(SALU_CYCLE_1) | instskip(SKIP_2) | instid1(VALU_DEP_1)
	s_or_b32 exec_lo, exec_lo, s48
	v_lshrrev_b16 v1, 8, v39
	s_mov_b32 s48, exec_lo
	v_cmpx_ne_u16_e32 0, v1
	s_cbranch_execz .LBB293_128
; %bb.121:                              ;   in Loop: Header=BB293_13 Depth=1
	v_bfrev_b32_e32 v37, 1
	s_mov_b32 s49, exec_lo
	v_cmpx_ne_u16_e32 0x80, v1
	s_cbranch_execz .LBB293_127
; %bb.122:                              ;   in Loop: Header=BB293_13 Depth=1
	v_and_b32_e32 v39, 0xffff, v1
	v_mov_b32_e32 v37, 0x7fc02000
	s_mov_b32 s50, exec_lo
	s_delay_alu instid0(VALU_DEP_2) | instskip(NEXT) | instid1(VALU_DEP_1)
	v_and_b32_e32 v40, 0x7f, v39
	v_cmpx_ne_u32_e32 0x7f, v40
	s_cbranch_execz .LBB293_126
; %bb.123:                              ;   in Loop: Header=BB293_13 Depth=1
	v_and_b32_e32 v1, 7, v39
	v_lshrrev_b32_e32 v37, 3, v40
	s_mov_b32 s51, exec_lo
	v_cmpx_gt_u32_e32 8, v40
; %bb.124:                              ;   in Loop: Header=BB293_13 Depth=1
	s_delay_alu instid0(VALU_DEP_3) | instskip(NEXT) | instid1(VALU_DEP_1)
	v_clz_i32_u32_e32 v37, v1
	v_min_u32_e32 v37, 32, v37
	s_delay_alu instid0(VALU_DEP_1) | instskip(SKIP_1) | instid1(VALU_DEP_2)
	v_subrev_nc_u32_e32 v40, 28, v37
	v_sub_nc_u32_e32 v37, 29, v37
	v_lshlrev_b64 v[40:41], v40, v[1:2]
	s_delay_alu instid0(VALU_DEP_1)
	v_and_b32_e32 v1, 7, v40
; %bb.125:                              ;   in Loop: Header=BB293_13 Depth=1
	s_or_b32 exec_lo, exec_lo, s51
	v_lshlrev_b32_e32 v39, 8, v39
	v_lshl_add_u32 v37, v37, 10, 0x2000
	s_delay_alu instid0(VALU_DEP_1) | instskip(NEXT) | instid1(VALU_DEP_1)
	v_and_or_b32 v37, 0x8000, v39, v37
	v_lshl_or_b32 v1, v1, 7, v37
	s_delay_alu instid0(VALU_DEP_1)
	v_cvt_f32_f16_e32 v37, v1
.LBB293_126:                            ;   in Loop: Header=BB293_13 Depth=1
	s_or_b32 exec_lo, exec_lo, s50
.LBB293_127:                            ;   in Loop: Header=BB293_13 Depth=1
	s_delay_alu instid0(SALU_CYCLE_1)
	s_or_b32 exec_lo, exec_lo, s49
.LBB293_128:                            ;   in Loop: Header=BB293_13 Depth=1
	s_delay_alu instid0(SALU_CYCLE_1) | instskip(SKIP_4) | instid1(VALU_DEP_2)
	s_or_b32 exec_lo, exec_lo, s48
	global_load_u16 v1, v[9:10], off offset:392
	s_waitcnt vmcnt(0)
	v_dual_mov_b32 v39, 0 :: v_dual_and_b32 v40, 0xff, v1
	v_and_b32_e32 v41, 0xffff, v1
	v_cmp_ne_u16_e64 s1, 0, v40
	v_mov_b32_e32 v40, 0
	s_delay_alu instid0(VALU_DEP_2)
	s_and_saveexec_b32 s48, s1
	s_cbranch_execz .LBB293_136
; %bb.129:                              ;   in Loop: Header=BB293_13 Depth=1
	v_and_b32_e32 v1, 0xff, v41
	v_bfrev_b32_e32 v40, 1
	s_mov_b32 s49, exec_lo
	s_delay_alu instid0(VALU_DEP_2)
	v_cmpx_ne_u16_e32 0x80, v1
	s_cbranch_execz .LBB293_135
; %bb.130:                              ;   in Loop: Header=BB293_13 Depth=1
	v_and_b32_e32 v42, 0x7f, v41
	v_mov_b32_e32 v40, 0x7fc02000
	s_mov_b32 s50, exec_lo
	s_delay_alu instid0(VALU_DEP_2)
	v_cmpx_ne_u32_e32 0x7f, v42
	s_cbranch_execz .LBB293_134
; %bb.131:                              ;   in Loop: Header=BB293_13 Depth=1
	v_and_b32_e32 v1, 7, v41
	v_lshrrev_b32_e32 v40, 3, v42
	s_mov_b32 s51, exec_lo
	v_cmpx_gt_u32_e32 8, v42
; %bb.132:                              ;   in Loop: Header=BB293_13 Depth=1
	s_delay_alu instid0(VALU_DEP_3) | instskip(NEXT) | instid1(VALU_DEP_1)
	v_clz_i32_u32_e32 v40, v1
	v_min_u32_e32 v40, 32, v40
	s_delay_alu instid0(VALU_DEP_1) | instskip(SKIP_1) | instid1(VALU_DEP_2)
	v_subrev_nc_u32_e32 v42, 28, v40
	v_sub_nc_u32_e32 v40, 29, v40
	v_lshlrev_b64 v[42:43], v42, v[1:2]
	s_delay_alu instid0(VALU_DEP_1)
	v_and_b32_e32 v1, 7, v42
; %bb.133:                              ;   in Loop: Header=BB293_13 Depth=1
	s_or_b32 exec_lo, exec_lo, s51
	v_lshlrev_b32_e32 v42, 8, v41
	v_lshl_add_u32 v40, v40, 10, 0x2000
	s_delay_alu instid0(VALU_DEP_1) | instskip(NEXT) | instid1(VALU_DEP_1)
	v_and_or_b32 v40, 0x8000, v42, v40
	v_lshl_or_b32 v1, v1, 7, v40
	s_delay_alu instid0(VALU_DEP_1)
	v_cvt_f32_f16_e32 v40, v1
.LBB293_134:                            ;   in Loop: Header=BB293_13 Depth=1
	s_or_b32 exec_lo, exec_lo, s50
.LBB293_135:                            ;   in Loop: Header=BB293_13 Depth=1
	s_delay_alu instid0(SALU_CYCLE_1)
	s_or_b32 exec_lo, exec_lo, s49
.LBB293_136:                            ;   in Loop: Header=BB293_13 Depth=1
	s_delay_alu instid0(SALU_CYCLE_1) | instskip(SKIP_2) | instid1(VALU_DEP_1)
	s_or_b32 exec_lo, exec_lo, s48
	v_lshrrev_b16 v1, 8, v41
	s_mov_b32 s48, exec_lo
	v_cmpx_ne_u16_e32 0, v1
	s_cbranch_execz .LBB293_144
; %bb.137:                              ;   in Loop: Header=BB293_13 Depth=1
	v_bfrev_b32_e32 v39, 1
	s_mov_b32 s49, exec_lo
	v_cmpx_ne_u16_e32 0x80, v1
	s_cbranch_execz .LBB293_143
; %bb.138:                              ;   in Loop: Header=BB293_13 Depth=1
	v_and_b32_e32 v41, 0xffff, v1
	v_mov_b32_e32 v39, 0x7fc02000
	s_mov_b32 s50, exec_lo
	s_delay_alu instid0(VALU_DEP_2) | instskip(NEXT) | instid1(VALU_DEP_1)
	v_and_b32_e32 v42, 0x7f, v41
	v_cmpx_ne_u32_e32 0x7f, v42
	s_cbranch_execz .LBB293_142
; %bb.139:                              ;   in Loop: Header=BB293_13 Depth=1
	v_and_b32_e32 v1, 7, v41
	v_lshrrev_b32_e32 v39, 3, v42
	s_mov_b32 s51, exec_lo
	v_cmpx_gt_u32_e32 8, v42
; %bb.140:                              ;   in Loop: Header=BB293_13 Depth=1
	s_delay_alu instid0(VALU_DEP_3) | instskip(NEXT) | instid1(VALU_DEP_1)
	v_clz_i32_u32_e32 v39, v1
	v_min_u32_e32 v39, 32, v39
	s_delay_alu instid0(VALU_DEP_1) | instskip(SKIP_1) | instid1(VALU_DEP_2)
	v_subrev_nc_u32_e32 v42, 28, v39
	v_sub_nc_u32_e32 v39, 29, v39
	v_lshlrev_b64 v[42:43], v42, v[1:2]
	s_delay_alu instid0(VALU_DEP_1)
	v_and_b32_e32 v1, 7, v42
; %bb.141:                              ;   in Loop: Header=BB293_13 Depth=1
	s_or_b32 exec_lo, exec_lo, s51
	v_lshlrev_b32_e32 v41, 8, v41
	v_lshl_add_u32 v39, v39, 10, 0x2000
	s_delay_alu instid0(VALU_DEP_1) | instskip(NEXT) | instid1(VALU_DEP_1)
	v_and_or_b32 v39, 0x8000, v41, v39
	v_lshl_or_b32 v1, v1, 7, v39
	s_delay_alu instid0(VALU_DEP_1)
	v_cvt_f32_f16_e32 v39, v1
.LBB293_142:                            ;   in Loop: Header=BB293_13 Depth=1
	s_or_b32 exec_lo, exec_lo, s50
.LBB293_143:                            ;   in Loop: Header=BB293_13 Depth=1
	s_delay_alu instid0(SALU_CYCLE_1)
	s_or_b32 exec_lo, exec_lo, s49
.LBB293_144:                            ;   in Loop: Header=BB293_13 Depth=1
	s_delay_alu instid0(SALU_CYCLE_1) | instskip(SKIP_4) | instid1(VALU_DEP_2)
	s_or_b32 exec_lo, exec_lo, s48
	global_load_u16 v1, v[9:10], off offset:512
	s_waitcnt vmcnt(0)
	v_dual_mov_b32 v41, 0 :: v_dual_and_b32 v42, 0xff, v1
	v_and_b32_e32 v43, 0xffff, v1
	v_cmp_ne_u16_e64 s1, 0, v42
	v_mov_b32_e32 v42, 0
	s_delay_alu instid0(VALU_DEP_2)
	s_and_saveexec_b32 s48, s1
	s_cbranch_execz .LBB293_152
; %bb.145:                              ;   in Loop: Header=BB293_13 Depth=1
	v_and_b32_e32 v1, 0xff, v43
	v_bfrev_b32_e32 v42, 1
	s_mov_b32 s49, exec_lo
	s_delay_alu instid0(VALU_DEP_2)
	v_cmpx_ne_u16_e32 0x80, v1
	s_cbranch_execz .LBB293_151
; %bb.146:                              ;   in Loop: Header=BB293_13 Depth=1
	v_and_b32_e32 v44, 0x7f, v43
	v_mov_b32_e32 v42, 0x7fc02000
	s_mov_b32 s50, exec_lo
	s_delay_alu instid0(VALU_DEP_2)
	v_cmpx_ne_u32_e32 0x7f, v44
	s_cbranch_execz .LBB293_150
; %bb.147:                              ;   in Loop: Header=BB293_13 Depth=1
	v_and_b32_e32 v1, 7, v43
	v_lshrrev_b32_e32 v42, 3, v44
	s_mov_b32 s51, exec_lo
	v_cmpx_gt_u32_e32 8, v44
; %bb.148:                              ;   in Loop: Header=BB293_13 Depth=1
	s_delay_alu instid0(VALU_DEP_3) | instskip(NEXT) | instid1(VALU_DEP_1)
	v_clz_i32_u32_e32 v42, v1
	v_min_u32_e32 v42, 32, v42
	s_delay_alu instid0(VALU_DEP_1) | instskip(SKIP_1) | instid1(VALU_DEP_2)
	v_subrev_nc_u32_e32 v44, 28, v42
	v_sub_nc_u32_e32 v42, 29, v42
	v_lshlrev_b64 v[44:45], v44, v[1:2]
	s_delay_alu instid0(VALU_DEP_1)
	v_and_b32_e32 v1, 7, v44
; %bb.149:                              ;   in Loop: Header=BB293_13 Depth=1
	s_or_b32 exec_lo, exec_lo, s51
	v_lshlrev_b32_e32 v44, 8, v43
	v_lshl_add_u32 v42, v42, 10, 0x2000
	s_delay_alu instid0(VALU_DEP_1) | instskip(NEXT) | instid1(VALU_DEP_1)
	v_and_or_b32 v42, 0x8000, v44, v42
	v_lshl_or_b32 v1, v1, 7, v42
	s_delay_alu instid0(VALU_DEP_1)
	v_cvt_f32_f16_e32 v42, v1
.LBB293_150:                            ;   in Loop: Header=BB293_13 Depth=1
	s_or_b32 exec_lo, exec_lo, s50
.LBB293_151:                            ;   in Loop: Header=BB293_13 Depth=1
	s_delay_alu instid0(SALU_CYCLE_1)
	s_or_b32 exec_lo, exec_lo, s49
.LBB293_152:                            ;   in Loop: Header=BB293_13 Depth=1
	s_delay_alu instid0(SALU_CYCLE_1) | instskip(SKIP_2) | instid1(VALU_DEP_1)
	s_or_b32 exec_lo, exec_lo, s48
	v_lshrrev_b16 v1, 8, v43
	s_mov_b32 s48, exec_lo
	v_cmpx_ne_u16_e32 0, v1
	s_cbranch_execz .LBB293_160
; %bb.153:                              ;   in Loop: Header=BB293_13 Depth=1
	v_bfrev_b32_e32 v41, 1
	s_mov_b32 s49, exec_lo
	v_cmpx_ne_u16_e32 0x80, v1
	s_cbranch_execz .LBB293_159
; %bb.154:                              ;   in Loop: Header=BB293_13 Depth=1
	v_and_b32_e32 v43, 0xffff, v1
	v_mov_b32_e32 v41, 0x7fc02000
	s_mov_b32 s50, exec_lo
	s_delay_alu instid0(VALU_DEP_2) | instskip(NEXT) | instid1(VALU_DEP_1)
	v_and_b32_e32 v44, 0x7f, v43
	v_cmpx_ne_u32_e32 0x7f, v44
	s_cbranch_execz .LBB293_158
; %bb.155:                              ;   in Loop: Header=BB293_13 Depth=1
	v_and_b32_e32 v1, 7, v43
	v_lshrrev_b32_e32 v41, 3, v44
	s_mov_b32 s51, exec_lo
	v_cmpx_gt_u32_e32 8, v44
; %bb.156:                              ;   in Loop: Header=BB293_13 Depth=1
	s_delay_alu instid0(VALU_DEP_3) | instskip(NEXT) | instid1(VALU_DEP_1)
	v_clz_i32_u32_e32 v41, v1
	v_min_u32_e32 v41, 32, v41
	s_delay_alu instid0(VALU_DEP_1) | instskip(SKIP_1) | instid1(VALU_DEP_2)
	v_subrev_nc_u32_e32 v44, 28, v41
	v_sub_nc_u32_e32 v41, 29, v41
	v_lshlrev_b64 v[44:45], v44, v[1:2]
	s_delay_alu instid0(VALU_DEP_1)
	v_and_b32_e32 v1, 7, v44
; %bb.157:                              ;   in Loop: Header=BB293_13 Depth=1
	s_or_b32 exec_lo, exec_lo, s51
	v_lshlrev_b32_e32 v43, 8, v43
	v_lshl_add_u32 v41, v41, 10, 0x2000
	s_delay_alu instid0(VALU_DEP_1) | instskip(NEXT) | instid1(VALU_DEP_1)
	v_and_or_b32 v41, 0x8000, v43, v41
	v_lshl_or_b32 v1, v1, 7, v41
	s_delay_alu instid0(VALU_DEP_1)
	v_cvt_f32_f16_e32 v41, v1
.LBB293_158:                            ;   in Loop: Header=BB293_13 Depth=1
	s_or_b32 exec_lo, exec_lo, s50
.LBB293_159:                            ;   in Loop: Header=BB293_13 Depth=1
	s_delay_alu instid0(SALU_CYCLE_1)
	s_or_b32 exec_lo, exec_lo, s49
.LBB293_160:                            ;   in Loop: Header=BB293_13 Depth=1
	s_delay_alu instid0(SALU_CYCLE_1) | instskip(SKIP_4) | instid1(VALU_DEP_2)
	s_or_b32 exec_lo, exec_lo, s48
	global_load_u16 v1, v[9:10], off offset:520
	s_waitcnt vmcnt(0)
	v_dual_mov_b32 v43, 0 :: v_dual_and_b32 v44, 0xff, v1
	v_and_b32_e32 v45, 0xffff, v1
	v_cmp_ne_u16_e64 s1, 0, v44
	v_mov_b32_e32 v44, 0
	s_delay_alu instid0(VALU_DEP_2)
	s_and_saveexec_b32 s48, s1
	s_cbranch_execz .LBB293_168
; %bb.161:                              ;   in Loop: Header=BB293_13 Depth=1
	v_and_b32_e32 v1, 0xff, v45
	v_bfrev_b32_e32 v44, 1
	s_mov_b32 s49, exec_lo
	s_delay_alu instid0(VALU_DEP_2)
	v_cmpx_ne_u16_e32 0x80, v1
	s_cbranch_execz .LBB293_167
; %bb.162:                              ;   in Loop: Header=BB293_13 Depth=1
	v_and_b32_e32 v46, 0x7f, v45
	v_mov_b32_e32 v44, 0x7fc02000
	s_mov_b32 s50, exec_lo
	s_delay_alu instid0(VALU_DEP_2)
	v_cmpx_ne_u32_e32 0x7f, v46
	s_cbranch_execz .LBB293_166
; %bb.163:                              ;   in Loop: Header=BB293_13 Depth=1
	v_and_b32_e32 v1, 7, v45
	v_lshrrev_b32_e32 v44, 3, v46
	s_mov_b32 s51, exec_lo
	v_cmpx_gt_u32_e32 8, v46
; %bb.164:                              ;   in Loop: Header=BB293_13 Depth=1
	s_delay_alu instid0(VALU_DEP_3) | instskip(NEXT) | instid1(VALU_DEP_1)
	v_clz_i32_u32_e32 v44, v1
	v_min_u32_e32 v44, 32, v44
	s_delay_alu instid0(VALU_DEP_1) | instskip(SKIP_1) | instid1(VALU_DEP_2)
	v_subrev_nc_u32_e32 v46, 28, v44
	v_sub_nc_u32_e32 v44, 29, v44
	v_lshlrev_b64 v[46:47], v46, v[1:2]
	s_delay_alu instid0(VALU_DEP_1)
	v_and_b32_e32 v1, 7, v46
; %bb.165:                              ;   in Loop: Header=BB293_13 Depth=1
	s_or_b32 exec_lo, exec_lo, s51
	v_lshlrev_b32_e32 v46, 8, v45
	v_lshl_add_u32 v44, v44, 10, 0x2000
	s_delay_alu instid0(VALU_DEP_1) | instskip(NEXT) | instid1(VALU_DEP_1)
	v_and_or_b32 v44, 0x8000, v46, v44
	v_lshl_or_b32 v1, v1, 7, v44
	s_delay_alu instid0(VALU_DEP_1)
	v_cvt_f32_f16_e32 v44, v1
.LBB293_166:                            ;   in Loop: Header=BB293_13 Depth=1
	s_or_b32 exec_lo, exec_lo, s50
.LBB293_167:                            ;   in Loop: Header=BB293_13 Depth=1
	s_delay_alu instid0(SALU_CYCLE_1)
	s_or_b32 exec_lo, exec_lo, s49
.LBB293_168:                            ;   in Loop: Header=BB293_13 Depth=1
	s_delay_alu instid0(SALU_CYCLE_1) | instskip(SKIP_2) | instid1(VALU_DEP_1)
	s_or_b32 exec_lo, exec_lo, s48
	v_lshrrev_b16 v1, 8, v45
	s_mov_b32 s48, exec_lo
	v_cmpx_ne_u16_e32 0, v1
	s_cbranch_execz .LBB293_176
; %bb.169:                              ;   in Loop: Header=BB293_13 Depth=1
	v_bfrev_b32_e32 v43, 1
	s_mov_b32 s49, exec_lo
	v_cmpx_ne_u16_e32 0x80, v1
	s_cbranch_execz .LBB293_175
; %bb.170:                              ;   in Loop: Header=BB293_13 Depth=1
	v_and_b32_e32 v45, 0xffff, v1
	v_mov_b32_e32 v43, 0x7fc02000
	s_mov_b32 s50, exec_lo
	s_delay_alu instid0(VALU_DEP_2) | instskip(NEXT) | instid1(VALU_DEP_1)
	v_and_b32_e32 v46, 0x7f, v45
	v_cmpx_ne_u32_e32 0x7f, v46
	s_cbranch_execz .LBB293_174
; %bb.171:                              ;   in Loop: Header=BB293_13 Depth=1
	v_and_b32_e32 v1, 7, v45
	v_lshrrev_b32_e32 v43, 3, v46
	s_mov_b32 s51, exec_lo
	v_cmpx_gt_u32_e32 8, v46
; %bb.172:                              ;   in Loop: Header=BB293_13 Depth=1
	s_delay_alu instid0(VALU_DEP_3) | instskip(NEXT) | instid1(VALU_DEP_1)
	v_clz_i32_u32_e32 v43, v1
	v_min_u32_e32 v43, 32, v43
	s_delay_alu instid0(VALU_DEP_1) | instskip(SKIP_1) | instid1(VALU_DEP_2)
	v_subrev_nc_u32_e32 v46, 28, v43
	v_sub_nc_u32_e32 v43, 29, v43
	v_lshlrev_b64 v[46:47], v46, v[1:2]
	s_delay_alu instid0(VALU_DEP_1)
	v_and_b32_e32 v1, 7, v46
; %bb.173:                              ;   in Loop: Header=BB293_13 Depth=1
	s_or_b32 exec_lo, exec_lo, s51
	v_lshlrev_b32_e32 v45, 8, v45
	v_lshl_add_u32 v43, v43, 10, 0x2000
	s_delay_alu instid0(VALU_DEP_1) | instskip(NEXT) | instid1(VALU_DEP_1)
	v_and_or_b32 v43, 0x8000, v45, v43
	v_lshl_or_b32 v1, v1, 7, v43
	s_delay_alu instid0(VALU_DEP_1)
	v_cvt_f32_f16_e32 v43, v1
.LBB293_174:                            ;   in Loop: Header=BB293_13 Depth=1
	s_or_b32 exec_lo, exec_lo, s50
.LBB293_175:                            ;   in Loop: Header=BB293_13 Depth=1
	s_delay_alu instid0(SALU_CYCLE_1)
	s_or_b32 exec_lo, exec_lo, s49
.LBB293_176:                            ;   in Loop: Header=BB293_13 Depth=1
	s_delay_alu instid0(SALU_CYCLE_1) | instskip(SKIP_4) | instid1(VALU_DEP_2)
	s_or_b32 exec_lo, exec_lo, s48
	global_load_u16 v1, v[9:10], off offset:640
	s_waitcnt vmcnt(0)
	v_dual_mov_b32 v45, 0 :: v_dual_and_b32 v46, 0xff, v1
	v_and_b32_e32 v47, 0xffff, v1
	v_cmp_ne_u16_e64 s1, 0, v46
	v_mov_b32_e32 v46, 0
	s_delay_alu instid0(VALU_DEP_2)
	s_and_saveexec_b32 s48, s1
	s_cbranch_execz .LBB293_184
; %bb.177:                              ;   in Loop: Header=BB293_13 Depth=1
	v_and_b32_e32 v1, 0xff, v47
	v_bfrev_b32_e32 v46, 1
	s_mov_b32 s49, exec_lo
	s_delay_alu instid0(VALU_DEP_2)
	v_cmpx_ne_u16_e32 0x80, v1
	s_cbranch_execz .LBB293_183
; %bb.178:                              ;   in Loop: Header=BB293_13 Depth=1
	v_and_b32_e32 v48, 0x7f, v47
	v_mov_b32_e32 v46, 0x7fc02000
	s_mov_b32 s50, exec_lo
	s_delay_alu instid0(VALU_DEP_2)
	v_cmpx_ne_u32_e32 0x7f, v48
	s_cbranch_execz .LBB293_182
; %bb.179:                              ;   in Loop: Header=BB293_13 Depth=1
	v_and_b32_e32 v1, 7, v47
	v_lshrrev_b32_e32 v46, 3, v48
	s_mov_b32 s51, exec_lo
	v_cmpx_gt_u32_e32 8, v48
; %bb.180:                              ;   in Loop: Header=BB293_13 Depth=1
	s_delay_alu instid0(VALU_DEP_3) | instskip(NEXT) | instid1(VALU_DEP_1)
	v_clz_i32_u32_e32 v46, v1
	v_min_u32_e32 v46, 32, v46
	s_delay_alu instid0(VALU_DEP_1) | instskip(SKIP_1) | instid1(VALU_DEP_2)
	v_subrev_nc_u32_e32 v48, 28, v46
	v_sub_nc_u32_e32 v46, 29, v46
	v_lshlrev_b64 v[48:49], v48, v[1:2]
	s_delay_alu instid0(VALU_DEP_1)
	v_and_b32_e32 v1, 7, v48
; %bb.181:                              ;   in Loop: Header=BB293_13 Depth=1
	s_or_b32 exec_lo, exec_lo, s51
	v_lshlrev_b32_e32 v48, 8, v47
	v_lshl_add_u32 v46, v46, 10, 0x2000
	s_delay_alu instid0(VALU_DEP_1) | instskip(NEXT) | instid1(VALU_DEP_1)
	v_and_or_b32 v46, 0x8000, v48, v46
	v_lshl_or_b32 v1, v1, 7, v46
	s_delay_alu instid0(VALU_DEP_1)
	v_cvt_f32_f16_e32 v46, v1
.LBB293_182:                            ;   in Loop: Header=BB293_13 Depth=1
	s_or_b32 exec_lo, exec_lo, s50
.LBB293_183:                            ;   in Loop: Header=BB293_13 Depth=1
	s_delay_alu instid0(SALU_CYCLE_1)
	s_or_b32 exec_lo, exec_lo, s49
.LBB293_184:                            ;   in Loop: Header=BB293_13 Depth=1
	s_delay_alu instid0(SALU_CYCLE_1) | instskip(SKIP_2) | instid1(VALU_DEP_1)
	s_or_b32 exec_lo, exec_lo, s48
	v_lshrrev_b16 v1, 8, v47
	s_mov_b32 s48, exec_lo
	v_cmpx_ne_u16_e32 0, v1
	s_cbranch_execz .LBB293_192
; %bb.185:                              ;   in Loop: Header=BB293_13 Depth=1
	v_bfrev_b32_e32 v45, 1
	s_mov_b32 s49, exec_lo
	v_cmpx_ne_u16_e32 0x80, v1
	s_cbranch_execz .LBB293_191
; %bb.186:                              ;   in Loop: Header=BB293_13 Depth=1
	v_and_b32_e32 v47, 0xffff, v1
	v_mov_b32_e32 v45, 0x7fc02000
	s_mov_b32 s50, exec_lo
	s_delay_alu instid0(VALU_DEP_2) | instskip(NEXT) | instid1(VALU_DEP_1)
	v_and_b32_e32 v48, 0x7f, v47
	v_cmpx_ne_u32_e32 0x7f, v48
	s_cbranch_execz .LBB293_190
; %bb.187:                              ;   in Loop: Header=BB293_13 Depth=1
	v_and_b32_e32 v1, 7, v47
	v_lshrrev_b32_e32 v45, 3, v48
	s_mov_b32 s51, exec_lo
	v_cmpx_gt_u32_e32 8, v48
; %bb.188:                              ;   in Loop: Header=BB293_13 Depth=1
	s_delay_alu instid0(VALU_DEP_3) | instskip(NEXT) | instid1(VALU_DEP_1)
	v_clz_i32_u32_e32 v45, v1
	v_min_u32_e32 v45, 32, v45
	s_delay_alu instid0(VALU_DEP_1) | instskip(SKIP_1) | instid1(VALU_DEP_2)
	v_subrev_nc_u32_e32 v48, 28, v45
	v_sub_nc_u32_e32 v45, 29, v45
	v_lshlrev_b64 v[48:49], v48, v[1:2]
	s_delay_alu instid0(VALU_DEP_1)
	v_and_b32_e32 v1, 7, v48
; %bb.189:                              ;   in Loop: Header=BB293_13 Depth=1
	s_or_b32 exec_lo, exec_lo, s51
	v_lshlrev_b32_e32 v47, 8, v47
	v_lshl_add_u32 v45, v45, 10, 0x2000
	s_delay_alu instid0(VALU_DEP_1) | instskip(NEXT) | instid1(VALU_DEP_1)
	v_and_or_b32 v45, 0x8000, v47, v45
	v_lshl_or_b32 v1, v1, 7, v45
	s_delay_alu instid0(VALU_DEP_1)
	v_cvt_f32_f16_e32 v45, v1
.LBB293_190:                            ;   in Loop: Header=BB293_13 Depth=1
	s_or_b32 exec_lo, exec_lo, s50
.LBB293_191:                            ;   in Loop: Header=BB293_13 Depth=1
	s_delay_alu instid0(SALU_CYCLE_1)
	s_or_b32 exec_lo, exec_lo, s49
.LBB293_192:                            ;   in Loop: Header=BB293_13 Depth=1
	s_delay_alu instid0(SALU_CYCLE_1) | instskip(SKIP_4) | instid1(VALU_DEP_2)
	s_or_b32 exec_lo, exec_lo, s48
	global_load_u16 v1, v[9:10], off offset:648
	s_waitcnt vmcnt(0)
	v_dual_mov_b32 v47, 0 :: v_dual_and_b32 v48, 0xff, v1
	v_and_b32_e32 v49, 0xffff, v1
	v_cmp_ne_u16_e64 s1, 0, v48
	v_mov_b32_e32 v48, 0
	s_delay_alu instid0(VALU_DEP_2)
	s_and_saveexec_b32 s48, s1
	s_cbranch_execz .LBB293_200
; %bb.193:                              ;   in Loop: Header=BB293_13 Depth=1
	v_and_b32_e32 v1, 0xff, v49
	v_bfrev_b32_e32 v48, 1
	s_mov_b32 s49, exec_lo
	s_delay_alu instid0(VALU_DEP_2)
	v_cmpx_ne_u16_e32 0x80, v1
	s_cbranch_execz .LBB293_199
; %bb.194:                              ;   in Loop: Header=BB293_13 Depth=1
	v_and_b32_e32 v50, 0x7f, v49
	v_mov_b32_e32 v48, 0x7fc02000
	s_mov_b32 s50, exec_lo
	s_delay_alu instid0(VALU_DEP_2)
	v_cmpx_ne_u32_e32 0x7f, v50
	s_cbranch_execz .LBB293_198
; %bb.195:                              ;   in Loop: Header=BB293_13 Depth=1
	v_and_b32_e32 v1, 7, v49
	v_lshrrev_b32_e32 v48, 3, v50
	s_mov_b32 s51, exec_lo
	v_cmpx_gt_u32_e32 8, v50
; %bb.196:                              ;   in Loop: Header=BB293_13 Depth=1
	s_delay_alu instid0(VALU_DEP_3) | instskip(NEXT) | instid1(VALU_DEP_1)
	v_clz_i32_u32_e32 v48, v1
	v_min_u32_e32 v48, 32, v48
	s_delay_alu instid0(VALU_DEP_1) | instskip(SKIP_1) | instid1(VALU_DEP_2)
	v_subrev_nc_u32_e32 v50, 28, v48
	v_sub_nc_u32_e32 v48, 29, v48
	v_lshlrev_b64 v[50:51], v50, v[1:2]
	s_delay_alu instid0(VALU_DEP_1)
	v_and_b32_e32 v1, 7, v50
; %bb.197:                              ;   in Loop: Header=BB293_13 Depth=1
	s_or_b32 exec_lo, exec_lo, s51
	v_lshlrev_b32_e32 v50, 8, v49
	v_lshl_add_u32 v48, v48, 10, 0x2000
	s_delay_alu instid0(VALU_DEP_1) | instskip(NEXT) | instid1(VALU_DEP_1)
	v_and_or_b32 v48, 0x8000, v50, v48
	v_lshl_or_b32 v1, v1, 7, v48
	s_delay_alu instid0(VALU_DEP_1)
	v_cvt_f32_f16_e32 v48, v1
.LBB293_198:                            ;   in Loop: Header=BB293_13 Depth=1
	s_or_b32 exec_lo, exec_lo, s50
.LBB293_199:                            ;   in Loop: Header=BB293_13 Depth=1
	s_delay_alu instid0(SALU_CYCLE_1)
	s_or_b32 exec_lo, exec_lo, s49
.LBB293_200:                            ;   in Loop: Header=BB293_13 Depth=1
	s_delay_alu instid0(SALU_CYCLE_1) | instskip(SKIP_2) | instid1(VALU_DEP_1)
	s_or_b32 exec_lo, exec_lo, s48
	v_lshrrev_b16 v1, 8, v49
	s_mov_b32 s48, exec_lo
	v_cmpx_ne_u16_e32 0, v1
	s_cbranch_execz .LBB293_208
; %bb.201:                              ;   in Loop: Header=BB293_13 Depth=1
	v_bfrev_b32_e32 v47, 1
	s_mov_b32 s49, exec_lo
	v_cmpx_ne_u16_e32 0x80, v1
	s_cbranch_execz .LBB293_207
; %bb.202:                              ;   in Loop: Header=BB293_13 Depth=1
	v_and_b32_e32 v49, 0xffff, v1
	v_mov_b32_e32 v47, 0x7fc02000
	s_mov_b32 s50, exec_lo
	s_delay_alu instid0(VALU_DEP_2) | instskip(NEXT) | instid1(VALU_DEP_1)
	v_and_b32_e32 v50, 0x7f, v49
	v_cmpx_ne_u32_e32 0x7f, v50
	s_cbranch_execz .LBB293_206
; %bb.203:                              ;   in Loop: Header=BB293_13 Depth=1
	v_and_b32_e32 v1, 7, v49
	v_lshrrev_b32_e32 v47, 3, v50
	s_mov_b32 s51, exec_lo
	v_cmpx_gt_u32_e32 8, v50
; %bb.204:                              ;   in Loop: Header=BB293_13 Depth=1
	s_delay_alu instid0(VALU_DEP_3) | instskip(NEXT) | instid1(VALU_DEP_1)
	v_clz_i32_u32_e32 v47, v1
	v_min_u32_e32 v47, 32, v47
	s_delay_alu instid0(VALU_DEP_1) | instskip(SKIP_1) | instid1(VALU_DEP_2)
	v_subrev_nc_u32_e32 v50, 28, v47
	v_sub_nc_u32_e32 v47, 29, v47
	v_lshlrev_b64 v[50:51], v50, v[1:2]
	s_delay_alu instid0(VALU_DEP_1)
	v_and_b32_e32 v1, 7, v50
; %bb.205:                              ;   in Loop: Header=BB293_13 Depth=1
	s_or_b32 exec_lo, exec_lo, s51
	v_lshlrev_b32_e32 v49, 8, v49
	v_lshl_add_u32 v47, v47, 10, 0x2000
	s_delay_alu instid0(VALU_DEP_1) | instskip(NEXT) | instid1(VALU_DEP_1)
	v_and_or_b32 v47, 0x8000, v49, v47
	v_lshl_or_b32 v1, v1, 7, v47
	s_delay_alu instid0(VALU_DEP_1)
	v_cvt_f32_f16_e32 v47, v1
.LBB293_206:                            ;   in Loop: Header=BB293_13 Depth=1
	s_or_b32 exec_lo, exec_lo, s50
.LBB293_207:                            ;   in Loop: Header=BB293_13 Depth=1
	s_delay_alu instid0(SALU_CYCLE_1)
	s_or_b32 exec_lo, exec_lo, s49
.LBB293_208:                            ;   in Loop: Header=BB293_13 Depth=1
	s_delay_alu instid0(SALU_CYCLE_1) | instskip(SKIP_4) | instid1(VALU_DEP_2)
	s_or_b32 exec_lo, exec_lo, s48
	global_load_u16 v1, v[9:10], off offset:768
	s_waitcnt vmcnt(0)
	v_dual_mov_b32 v49, 0 :: v_dual_and_b32 v50, 0xff, v1
	v_and_b32_e32 v51, 0xffff, v1
	v_cmp_ne_u16_e64 s1, 0, v50
	v_mov_b32_e32 v50, 0
	s_delay_alu instid0(VALU_DEP_2)
	s_and_saveexec_b32 s48, s1
	s_cbranch_execz .LBB293_216
; %bb.209:                              ;   in Loop: Header=BB293_13 Depth=1
	v_and_b32_e32 v1, 0xff, v51
	v_bfrev_b32_e32 v50, 1
	s_mov_b32 s49, exec_lo
	s_delay_alu instid0(VALU_DEP_2)
	v_cmpx_ne_u16_e32 0x80, v1
	s_cbranch_execz .LBB293_215
; %bb.210:                              ;   in Loop: Header=BB293_13 Depth=1
	v_and_b32_e32 v52, 0x7f, v51
	v_mov_b32_e32 v50, 0x7fc02000
	s_mov_b32 s50, exec_lo
	s_delay_alu instid0(VALU_DEP_2)
	v_cmpx_ne_u32_e32 0x7f, v52
	s_cbranch_execz .LBB293_214
; %bb.211:                              ;   in Loop: Header=BB293_13 Depth=1
	v_and_b32_e32 v1, 7, v51
	v_lshrrev_b32_e32 v50, 3, v52
	s_mov_b32 s51, exec_lo
	v_cmpx_gt_u32_e32 8, v52
; %bb.212:                              ;   in Loop: Header=BB293_13 Depth=1
	s_delay_alu instid0(VALU_DEP_3) | instskip(NEXT) | instid1(VALU_DEP_1)
	v_clz_i32_u32_e32 v50, v1
	v_min_u32_e32 v50, 32, v50
	s_delay_alu instid0(VALU_DEP_1) | instskip(SKIP_1) | instid1(VALU_DEP_2)
	v_subrev_nc_u32_e32 v52, 28, v50
	v_sub_nc_u32_e32 v50, 29, v50
	v_lshlrev_b64 v[52:53], v52, v[1:2]
	s_delay_alu instid0(VALU_DEP_1)
	v_and_b32_e32 v1, 7, v52
; %bb.213:                              ;   in Loop: Header=BB293_13 Depth=1
	s_or_b32 exec_lo, exec_lo, s51
	v_lshlrev_b32_e32 v52, 8, v51
	v_lshl_add_u32 v50, v50, 10, 0x2000
	s_delay_alu instid0(VALU_DEP_1) | instskip(NEXT) | instid1(VALU_DEP_1)
	v_and_or_b32 v50, 0x8000, v52, v50
	v_lshl_or_b32 v1, v1, 7, v50
	s_delay_alu instid0(VALU_DEP_1)
	v_cvt_f32_f16_e32 v50, v1
.LBB293_214:                            ;   in Loop: Header=BB293_13 Depth=1
	s_or_b32 exec_lo, exec_lo, s50
.LBB293_215:                            ;   in Loop: Header=BB293_13 Depth=1
	s_delay_alu instid0(SALU_CYCLE_1)
	s_or_b32 exec_lo, exec_lo, s49
.LBB293_216:                            ;   in Loop: Header=BB293_13 Depth=1
	s_delay_alu instid0(SALU_CYCLE_1) | instskip(SKIP_2) | instid1(VALU_DEP_1)
	s_or_b32 exec_lo, exec_lo, s48
	v_lshrrev_b16 v1, 8, v51
	s_mov_b32 s48, exec_lo
	v_cmpx_ne_u16_e32 0, v1
	s_cbranch_execz .LBB293_224
; %bb.217:                              ;   in Loop: Header=BB293_13 Depth=1
	v_bfrev_b32_e32 v49, 1
	s_mov_b32 s49, exec_lo
	v_cmpx_ne_u16_e32 0x80, v1
	s_cbranch_execz .LBB293_223
; %bb.218:                              ;   in Loop: Header=BB293_13 Depth=1
	v_and_b32_e32 v51, 0xffff, v1
	v_mov_b32_e32 v49, 0x7fc02000
	s_mov_b32 s50, exec_lo
	s_delay_alu instid0(VALU_DEP_2) | instskip(NEXT) | instid1(VALU_DEP_1)
	v_and_b32_e32 v52, 0x7f, v51
	v_cmpx_ne_u32_e32 0x7f, v52
	s_cbranch_execz .LBB293_222
; %bb.219:                              ;   in Loop: Header=BB293_13 Depth=1
	v_and_b32_e32 v1, 7, v51
	v_lshrrev_b32_e32 v49, 3, v52
	s_mov_b32 s51, exec_lo
	v_cmpx_gt_u32_e32 8, v52
; %bb.220:                              ;   in Loop: Header=BB293_13 Depth=1
	s_delay_alu instid0(VALU_DEP_3) | instskip(NEXT) | instid1(VALU_DEP_1)
	v_clz_i32_u32_e32 v49, v1
	v_min_u32_e32 v49, 32, v49
	s_delay_alu instid0(VALU_DEP_1) | instskip(SKIP_1) | instid1(VALU_DEP_2)
	v_subrev_nc_u32_e32 v52, 28, v49
	v_sub_nc_u32_e32 v49, 29, v49
	v_lshlrev_b64 v[52:53], v52, v[1:2]
	s_delay_alu instid0(VALU_DEP_1)
	v_and_b32_e32 v1, 7, v52
; %bb.221:                              ;   in Loop: Header=BB293_13 Depth=1
	s_or_b32 exec_lo, exec_lo, s51
	v_lshlrev_b32_e32 v51, 8, v51
	v_lshl_add_u32 v49, v49, 10, 0x2000
	s_delay_alu instid0(VALU_DEP_1) | instskip(NEXT) | instid1(VALU_DEP_1)
	v_and_or_b32 v49, 0x8000, v51, v49
	v_lshl_or_b32 v1, v1, 7, v49
	s_delay_alu instid0(VALU_DEP_1)
	v_cvt_f32_f16_e32 v49, v1
.LBB293_222:                            ;   in Loop: Header=BB293_13 Depth=1
	s_or_b32 exec_lo, exec_lo, s50
.LBB293_223:                            ;   in Loop: Header=BB293_13 Depth=1
	s_delay_alu instid0(SALU_CYCLE_1)
	s_or_b32 exec_lo, exec_lo, s49
.LBB293_224:                            ;   in Loop: Header=BB293_13 Depth=1
	s_delay_alu instid0(SALU_CYCLE_1) | instskip(SKIP_4) | instid1(VALU_DEP_2)
	s_or_b32 exec_lo, exec_lo, s48
	global_load_u16 v1, v[9:10], off offset:776
	s_waitcnt vmcnt(0)
	v_dual_mov_b32 v9, 0 :: v_dual_and_b32 v10, 0xff, v1
	v_and_b32_e32 v51, 0xffff, v1
	v_cmp_ne_u16_e64 s1, 0, v10
	v_mov_b32_e32 v10, 0
	s_delay_alu instid0(VALU_DEP_2)
	s_and_saveexec_b32 s48, s1
	s_cbranch_execz .LBB293_232
; %bb.225:                              ;   in Loop: Header=BB293_13 Depth=1
	v_and_b32_e32 v1, 0xff, v51
	v_bfrev_b32_e32 v10, 1
	s_mov_b32 s49, exec_lo
	s_delay_alu instid0(VALU_DEP_2)
	v_cmpx_ne_u16_e32 0x80, v1
	s_cbranch_execz .LBB293_231
; %bb.226:                              ;   in Loop: Header=BB293_13 Depth=1
	v_and_b32_e32 v52, 0x7f, v51
	v_mov_b32_e32 v10, 0x7fc02000
	s_mov_b32 s50, exec_lo
	s_delay_alu instid0(VALU_DEP_2)
	v_cmpx_ne_u32_e32 0x7f, v52
	s_cbranch_execz .LBB293_230
; %bb.227:                              ;   in Loop: Header=BB293_13 Depth=1
	v_and_b32_e32 v1, 7, v51
	v_lshrrev_b32_e32 v10, 3, v52
	s_mov_b32 s51, exec_lo
	v_cmpx_gt_u32_e32 8, v52
; %bb.228:                              ;   in Loop: Header=BB293_13 Depth=1
	s_delay_alu instid0(VALU_DEP_3) | instskip(NEXT) | instid1(VALU_DEP_1)
	v_clz_i32_u32_e32 v10, v1
	v_min_u32_e32 v10, 32, v10
	s_delay_alu instid0(VALU_DEP_1) | instskip(SKIP_1) | instid1(VALU_DEP_2)
	v_subrev_nc_u32_e32 v52, 28, v10
	v_sub_nc_u32_e32 v10, 29, v10
	v_lshlrev_b64 v[52:53], v52, v[1:2]
	s_delay_alu instid0(VALU_DEP_1)
	v_and_b32_e32 v1, 7, v52
; %bb.229:                              ;   in Loop: Header=BB293_13 Depth=1
	s_or_b32 exec_lo, exec_lo, s51
	v_lshlrev_b32_e32 v52, 8, v51
	v_lshl_add_u32 v10, v10, 10, 0x2000
	s_delay_alu instid0(VALU_DEP_1) | instskip(NEXT) | instid1(VALU_DEP_1)
	v_and_or_b32 v10, 0x8000, v52, v10
	v_lshl_or_b32 v1, v1, 7, v10
	s_delay_alu instid0(VALU_DEP_1)
	v_cvt_f32_f16_e32 v10, v1
.LBB293_230:                            ;   in Loop: Header=BB293_13 Depth=1
	s_or_b32 exec_lo, exec_lo, s50
.LBB293_231:                            ;   in Loop: Header=BB293_13 Depth=1
	s_delay_alu instid0(SALU_CYCLE_1)
	s_or_b32 exec_lo, exec_lo, s49
.LBB293_232:                            ;   in Loop: Header=BB293_13 Depth=1
	s_delay_alu instid0(SALU_CYCLE_1) | instskip(SKIP_2) | instid1(VALU_DEP_1)
	s_or_b32 exec_lo, exec_lo, s48
	v_lshrrev_b16 v1, 8, v51
	s_mov_b32 s48, exec_lo
	v_cmpx_ne_u16_e32 0, v1
	s_cbranch_execz .LBB293_240
; %bb.233:                              ;   in Loop: Header=BB293_13 Depth=1
	v_bfrev_b32_e32 v9, 1
	s_mov_b32 s49, exec_lo
	v_cmpx_ne_u16_e32 0x80, v1
	s_cbranch_execz .LBB293_239
; %bb.234:                              ;   in Loop: Header=BB293_13 Depth=1
	v_and_b32_e32 v51, 0xffff, v1
	v_mov_b32_e32 v9, 0x7fc02000
	s_mov_b32 s50, exec_lo
	s_delay_alu instid0(VALU_DEP_2) | instskip(NEXT) | instid1(VALU_DEP_1)
	v_and_b32_e32 v52, 0x7f, v51
	v_cmpx_ne_u32_e32 0x7f, v52
	s_cbranch_execz .LBB293_238
; %bb.235:                              ;   in Loop: Header=BB293_13 Depth=1
	v_and_b32_e32 v1, 7, v51
	v_lshrrev_b32_e32 v9, 3, v52
	s_mov_b32 s51, exec_lo
	v_cmpx_gt_u32_e32 8, v52
; %bb.236:                              ;   in Loop: Header=BB293_13 Depth=1
	s_delay_alu instid0(VALU_DEP_3) | instskip(NEXT) | instid1(VALU_DEP_1)
	v_clz_i32_u32_e32 v9, v1
	v_min_u32_e32 v9, 32, v9
	s_delay_alu instid0(VALU_DEP_1) | instskip(SKIP_1) | instid1(VALU_DEP_2)
	v_subrev_nc_u32_e32 v52, 28, v9
	v_sub_nc_u32_e32 v9, 29, v9
	v_lshlrev_b64 v[52:53], v52, v[1:2]
	s_delay_alu instid0(VALU_DEP_1)
	v_and_b32_e32 v1, 7, v52
; %bb.237:                              ;   in Loop: Header=BB293_13 Depth=1
	s_or_b32 exec_lo, exec_lo, s51
	v_lshlrev_b32_e32 v51, 8, v51
	v_lshl_add_u32 v9, v9, 10, 0x2000
	s_delay_alu instid0(VALU_DEP_1) | instskip(NEXT) | instid1(VALU_DEP_1)
	v_and_or_b32 v9, 0x8000, v51, v9
	v_lshl_or_b32 v1, v1, 7, v9
	s_delay_alu instid0(VALU_DEP_1)
	v_cvt_f32_f16_e32 v9, v1
.LBB293_238:                            ;   in Loop: Header=BB293_13 Depth=1
	s_or_b32 exec_lo, exec_lo, s50
.LBB293_239:                            ;   in Loop: Header=BB293_13 Depth=1
	s_delay_alu instid0(SALU_CYCLE_1)
	s_or_b32 exec_lo, exec_lo, s49
.LBB293_240:                            ;   in Loop: Header=BB293_13 Depth=1
	s_delay_alu instid0(SALU_CYCLE_1)
	s_or_b32 exec_lo, exec_lo, s48
	ds_load_b32 v1, v15
	v_fma_mixlo_f16 v26, v24, v26, 0
	v_fma_mixlo_f16 v25, v24, v25, 0
	;; [unrolled: 1-line block ×5, first 2 shown]
	v_and_b32_e32 v26, 0xffff, v26
	v_fma_mixlo_f16 v29, v24, v29, 0
	v_fma_mixlo_f16 v32, v24, v32, 0
	v_and_b32_e32 v27, 0xffff, v27
	v_fma_mixlo_f16 v31, v24, v31, 0
	v_fma_mixlo_f16 v34, v24, v34, 0
	;; [unrolled: 3-line block ×4, first 2 shown]
	v_and_b32_e32 v33, 0xffff, v33
	v_fma_mixlo_f16 v37, v24, v37, 0
	s_waitcnt lgkmcnt(0)
	v_and_b32_e32 v51, 0xffff, v1
	v_lshrrev_b32_e32 v1, 16, v1
	;;#ASMSTART
	v_cvt_f32_f16 v51, v51;
	;;#ASMEND
	;;#ASMSTART
	v_cvt_f32_f16 v1, v1;
	;;#ASMEND
	;; [unrolled: 3-line block ×3, first 2 shown]
	v_and_b32_e32 v25, 0xffff, v25
	;;#ASMSTART
	v_cvt_f32_f16 v25, v25;
	;;#ASMEND
	ds_load_b32 v52, v15 offset:4
	v_and_b32_e32 v28, 0xffff, v28
	v_and_b32_e32 v35, 0xffff, v35
	;; [unrolled: 1-line block ×3, first 2 shown]
	v_fma_mixlo_f16 v40, v24, v40, 0
	v_fma_mixlo_f16 v39, v24, v39, 0
	;; [unrolled: 1-line block ×6, first 2 shown]
	v_and_b32_e32 v39, 0xffff, v39
	v_fma_mixlo_f16 v46, v24, v46, 0
	v_and_b32_e32 v41, 0xffff, v41
	v_fma_mixlo_f16 v45, v24, v45, 0
	;; [unrolled: 2-line block ×3, first 2 shown]
	v_fma_mixlo_f16 v48, v24, v48, 0
	v_fma_mixlo_f16 v10, v24, v10, 0
	v_and_b32_e32 v45, 0xffff, v45
	v_fma_mixlo_f16 v9, v24, v9, 0
	s_waitcnt lgkmcnt(0)
	v_and_b32_e32 v53, 0xffff, v52
	v_lshrrev_b32_e32 v52, 16, v52
	;;#ASMSTART
	v_cvt_f32_f16 v53, v53;
	;;#ASMEND
	;;#ASMSTART
	v_cvt_f32_f16 v52, v52;
	;;#ASMEND
	;; [unrolled: 3-line block ×4, first 2 shown]
	ds_load_b32 v54, v15 offset:8
	v_dual_mul_f32 v27, v52, v27 :: v_dual_mul_f32 v28, v53, v28
	v_and_b32_e32 v10, 0xffff, v10
	v_and_b32_e32 v9, 0xffff, v9
	s_delay_alu instid0(VALU_DEP_3)
	v_dual_fmac_f32 v27, v1, v25 :: v_dual_fmac_f32 v28, v51, v26
	v_and_b32_e32 v26, 0xffff, v47
	s_waitcnt lgkmcnt(0)
	v_and_b32_e32 v55, 0xffff, v54
	v_lshrrev_b32_e32 v54, 16, v54
	;;#ASMSTART
	v_cvt_f32_f16 v55, v55;
	;;#ASMEND
	;;#ASMSTART
	v_cvt_f32_f16 v54, v54;
	;;#ASMEND
	v_and_b32_e32 v30, 0xffff, v30
	;;#ASMSTART
	v_cvt_f32_f16 v30, v30;
	;;#ASMEND
	;;#ASMSTART
	v_cvt_f32_f16 v29, v29;
	;;#ASMEND
	v_fmac_f32_e32 v27, v54, v29
	ds_load_b32 v56, v15 offset:12
	s_waitcnt lgkmcnt(0)
	v_dual_fmac_f32 v28, v55, v30 :: v_dual_and_b32 v57, 0xffff, v56
	v_lshrrev_b32_e32 v56, 16, v56
	;;#ASMSTART
	v_cvt_f32_f16 v57, v57;
	;;#ASMEND
	;;#ASMSTART
	v_cvt_f32_f16 v56, v56;
	;;#ASMEND
	v_and_b32_e32 v32, 0xffff, v32
	;;#ASMSTART
	v_cvt_f32_f16 v32, v32;
	;;#ASMEND
	;;#ASMSTART
	v_cvt_f32_f16 v31, v31;
	;;#ASMEND
	v_fmac_f32_e32 v27, v56, v31
	ds_load_b32 v58, v15 offset:16
	v_fmac_f32_e32 v28, v57, v32
	v_fma_mixlo_f16 v31, v24, v50, 0
	v_fma_mixlo_f16 v32, v24, v49, 0
	v_xor_b32_e32 v24, 2, v11
	s_delay_alu instid0(VALU_DEP_3) | instskip(NEXT) | instid1(VALU_DEP_3)
	v_and_b32_e32 v31, 0xffff, v31
	v_and_b32_e32 v32, 0xffff, v32
	s_delay_alu instid0(VALU_DEP_3) | instskip(NEXT) | instid1(VALU_DEP_1)
	v_cmp_gt_i32_e64 s1, 32, v24
	v_cndmask_b32_e64 v24, v11, v24, s1
	s_waitcnt lgkmcnt(0)
	v_and_b32_e32 v59, 0xffff, v58
	v_lshrrev_b32_e32 v58, 16, v58
	;;#ASMSTART
	v_cvt_f32_f16 v59, v59;
	;;#ASMEND
	;;#ASMSTART
	v_cvt_f32_f16 v58, v58;
	;;#ASMEND
	v_and_b32_e32 v34, 0xffff, v34
	;;#ASMSTART
	v_cvt_f32_f16 v34, v34;
	;;#ASMEND
	;;#ASMSTART
	v_cvt_f32_f16 v33, v33;
	;;#ASMEND
	v_fmac_f32_e32 v27, v58, v33
	ds_load_b32 v60, v15 offset:20
	s_waitcnt lgkmcnt(0)
	v_dual_fmac_f32 v28, v59, v34 :: v_dual_and_b32 v61, 0xffff, v60
	v_lshrrev_b32_e32 v60, 16, v60
	;;#ASMSTART
	v_cvt_f32_f16 v61, v61;
	;;#ASMEND
	;;#ASMSTART
	v_cvt_f32_f16 v60, v60;
	;;#ASMEND
	v_and_b32_e32 v36, 0xffff, v36
	;;#ASMSTART
	v_cvt_f32_f16 v36, v36;
	;;#ASMEND
	;;#ASMSTART
	v_cvt_f32_f16 v35, v35;
	;;#ASMEND
	v_fmac_f32_e32 v27, v60, v35
	ds_load_b32 v62, v15 offset:24
	s_waitcnt lgkmcnt(0)
	v_dual_fmac_f32 v28, v61, v36 :: v_dual_and_b32 v63, 0xffff, v62
	;; [unrolled: 18-line block ×8, first 2 shown]
	v_lshrrev_b32_e32 v30, 16, v30
	;;#ASMSTART
	v_cvt_f32_f16 v33, v33;
	;;#ASMEND
	;;#ASMSTART
	v_cvt_f32_f16 v30, v30;
	;;#ASMEND
	;; [unrolled: 3-line block ×4, first 2 shown]
	ds_load_b32 v34, v15 offset:52
	v_dual_fmac_f32 v28, v33, v31 :: v_dual_fmac_f32 v27, v30, v32
	s_waitcnt lgkmcnt(0)
	v_lshrrev_b32_e32 v1, 16, v34
	v_and_b32_e32 v25, 0xffff, v34
	;;#ASMSTART
	v_cvt_f32_f16 v25, v25;
	;;#ASMEND
	;;#ASMSTART
	v_cvt_f32_f16 v1, v1;
	;;#ASMEND
	;; [unrolled: 3-line block ×4, first 2 shown]
	v_fmac_f32_e32 v28, v25, v10
	v_fmac_f32_e32 v27, v1, v9
	v_lshlrev_b32_e32 v1, 2, v24
	v_xor_b32_e32 v10, 1, v11
	s_delay_alu instid0(VALU_DEP_3) | instskip(NEXT) | instid1(VALU_DEP_2)
	v_add_f32_e32 v9, v28, v27
	v_cmp_gt_i32_e64 s1, 32, v10
	ds_bpermute_b32 v1, v1, v9
	v_cndmask_b32_e64 v10, v11, v10, s1
	s_waitcnt lgkmcnt(0)
	v_add_f32_e32 v1, v9, v1
	s_delay_alu instid0(VALU_DEP_2)
	v_lshlrev_b32_e32 v9, 2, v10
	ds_bpermute_b32 v9, v9, v1
	s_and_saveexec_b32 s48, vcc_lo
	s_cbranch_execz .LBB293_11
; %bb.241:                              ;   in Loop: Header=BB293_13 Depth=1
	s_waitcnt lgkmcnt(0)
	v_dual_add_f32 v1, v1, v9 :: v_dual_add_nc_u32 v10, v20, v18
	s_delay_alu instid0(VALU_DEP_1) | instskip(NEXT) | instid1(VALU_DEP_1)
	v_cvt_f32_i32_e32 v10, v10
	v_mul_f32_e32 v10, s42, v10
	s_delay_alu instid0(VALU_DEP_1) | instskip(NEXT) | instid1(VALU_DEP_1)
	v_cndmask_b32_e64 v9, 0, v10, s0
	v_dual_max_f32 v10, v12, v12 :: v_dual_fmac_f32 v9, s13, v1
	s_delay_alu instid0(VALU_DEP_1) | instskip(NEXT) | instid1(VALU_DEP_1)
	v_dual_max_f32 v10, v10, v9 :: v_dual_add_nc_u32 v1, v13, v18
	v_cmp_gt_i32_e64 s1, s33, v1
	s_delay_alu instid0(VALU_DEP_1) | instskip(NEXT) | instid1(VALU_DEP_3)
	v_cndmask_b32_e64 v1, 0, v9, s1
	v_cndmask_b32_e64 v12, v12, v10, s1
	ds_store_b32 v21, v1
	s_branch .LBB293_11
.LBB293_242:
	s_or_b32 exec_lo, exec_lo, s46
.LBB293_243:
	s_delay_alu instid0(SALU_CYCLE_1) | instskip(SKIP_4) | instid1(VALU_DEP_4)
	s_or_b32 exec_lo, exec_lo, s43
	v_xor_b32_e32 v1, 16, v11
	v_xor_b32_e32 v3, 8, v11
	v_and_b32_e32 v18, 31, v0
	v_max_f32_e32 v7, v12, v12
	v_cmp_gt_i32_e32 vcc_lo, 32, v1
	v_cndmask_b32_e32 v1, v11, v1, vcc_lo
	v_cmp_gt_i32_e32 vcc_lo, 32, v3
	v_cndmask_b32_e32 v3, v11, v3, vcc_lo
	s_delay_alu instid0(VALU_DEP_1) | instskip(NEXT) | instid1(VALU_DEP_4)
	v_lshlrev_b32_e32 v4, 2, v3
	v_lshlrev_b32_e32 v2, 2, v1
	ds_bpermute_b32 v1, v2, v12
	s_waitcnt lgkmcnt(0)
	v_max_f32_e32 v1, v1, v1
	s_delay_alu instid0(VALU_DEP_1)
	v_max_f32_e32 v1, v7, v1
	v_xor_b32_e32 v7, 4, v11
	ds_bpermute_b32 v3, v4, v1
	v_cmp_gt_i32_e32 vcc_lo, 32, v7
	v_cndmask_b32_e32 v7, v11, v7, vcc_lo
	v_cmp_eq_u32_e32 vcc_lo, 0, v18
	s_delay_alu instid0(VALU_DEP_2) | instskip(SKIP_3) | instid1(VALU_DEP_1)
	v_lshlrev_b32_e32 v9, 2, v7
	v_lshlrev_b32_e32 v7, 2, v16
	s_waitcnt lgkmcnt(0)
	v_max_f32_e32 v3, v3, v3
	v_max_f32_e32 v1, v1, v3
	ds_bpermute_b32 v3, v9, v1
	s_and_saveexec_b32 s0, vcc_lo
	s_cbranch_execz .LBB293_245
; %bb.244:
	s_waitcnt lgkmcnt(0)
	v_max_f32_e32 v3, v3, v3
	v_max_f32_e32 v1, v1, v1
	s_delay_alu instid0(VALU_DEP_1)
	v_max_f32_e32 v1, v1, v3
	ds_store_b32 v7, v1 offset:224
.LBB293_245:
	s_or_b32 exec_lo, exec_lo, s0
	v_cmp_gt_u32_e64 s0, 4, v18
	v_dual_mov_b32 v1, 0xff7fffff :: v_dual_lshlrev_b32 v8, 2, v18
	s_waitcnt lgkmcnt(0)
	s_barrier
	buffer_gl0_inv
	s_and_saveexec_b32 s1, s0
	s_cbranch_execz .LBB293_247
; %bb.246:
	ds_load_b32 v1, v8 offset:224
.LBB293_247:
	s_or_b32 exec_lo, exec_lo, s1
	v_xor_b32_e32 v3, 2, v11
	v_xor_b32_e32 v12, 1, v11
	s_delay_alu instid0(VALU_DEP_2) | instskip(NEXT) | instid1(VALU_DEP_1)
	v_cmp_gt_i32_e64 s1, 32, v3
	v_cndmask_b32_e64 v3, v11, v3, s1
	s_delay_alu instid0(VALU_DEP_3) | instskip(NEXT) | instid1(VALU_DEP_2)
	v_cmp_gt_i32_e64 s1, 32, v12
	v_lshlrev_b32_e32 v10, 2, v3
	s_delay_alu instid0(VALU_DEP_2)
	v_cndmask_b32_e64 v11, v11, v12, s1
	s_sub_i32 s1, s16, s12
	v_mov_b32_e32 v12, 0
	s_lshl_b32 s1, s1, 3
	s_waitcnt lgkmcnt(0)
	ds_bpermute_b32 v3, v10, v1
	v_max_f32_e32 v1, v1, v1
	v_lshlrev_b32_e32 v11, 2, v11
	s_add_i32 s1, s1, s25
	s_delay_alu instid0(SALU_CYCLE_1) | instskip(NEXT) | instid1(SALU_CYCLE_1)
	s_min_i32 s1, s1, s33
	s_sub_i32 s4, s1, s25
	s_delay_alu instid0(SALU_CYCLE_1) | instskip(SKIP_2) | instid1(VALU_DEP_1)
	v_cmp_gt_i32_e64 s1, s4, v0
	s_waitcnt lgkmcnt(0)
	v_max_f32_e32 v3, v3, v3
	v_max_f32_e32 v1, v1, v3
	ds_bpermute_b32 v3, v11, v1
	s_waitcnt lgkmcnt(0)
	v_max_f32_e32 v3, v3, v3
	s_delay_alu instid0(VALU_DEP_1)
	v_max_f32_e32 v1, v1, v3
	v_lshl_add_u32 v3, v0, 2, 0x100
	ds_bpermute_b32 v1, v12, v1
	s_and_saveexec_b32 s5, s1
	s_cbranch_execz .LBB293_251
; %bb.248:
	v_lshl_add_u32 v13, v0, 2, 0x100
	v_mov_b32_e32 v12, 0
	v_mov_b32_e32 v14, v0
	s_mov_b32 s12, 0
	.p2align	6
.LBB293_249:                            ; =>This Inner Loop Header: Depth=1
	ds_load_b32 v15, v13
	v_add_nc_u32_e32 v14, 0x80, v14
	s_delay_alu instid0(VALU_DEP_1) | instskip(NEXT) | instid1(VALU_DEP_1)
	v_cmp_le_i32_e64 s3, s4, v14
	s_or_b32 s12, s3, s12
	s_waitcnt lgkmcnt(0)
	v_sub_f32_e32 v15, v15, v1
	s_delay_alu instid0(VALU_DEP_1) | instskip(NEXT) | instid1(VALU_DEP_1)
	v_mul_f32_e32 v15, 0x3fb8aa3b, v15
	v_exp_f32_e32 v15, v15
	ds_store_b32 v13, v15
	v_dual_add_f32 v12, v12, v15 :: v_dual_add_nc_u32 v13, 0x200, v13
	s_and_not1_b32 exec_lo, exec_lo, s12
	s_cbranch_execnz .LBB293_249
; %bb.250:
	s_or_b32 exec_lo, exec_lo, s12
.LBB293_251:
	s_delay_alu instid0(SALU_CYCLE_1)
	s_or_b32 exec_lo, exec_lo, s5
	ds_bpermute_b32 v2, v2, v12
	s_waitcnt lgkmcnt(0)
	v_add_f32_e32 v2, v12, v2
	ds_bpermute_b32 v4, v4, v2
	s_waitcnt lgkmcnt(0)
	v_add_f32_e32 v2, v2, v4
	;; [unrolled: 3-line block ×5, first 2 shown]
	s_and_saveexec_b32 s3, vcc_lo
	s_cbranch_execz .LBB293_253
; %bb.252:
	ds_store_b32 v7, v2 offset:240
.LBB293_253:
	s_or_b32 exec_lo, exec_lo, s3
	s_waitcnt lgkmcnt(0)
	s_barrier
	buffer_gl0_inv
	s_and_saveexec_b32 s3, s0
	s_cbranch_execz .LBB293_255
; %bb.254:
	ds_load_b32 v2, v8 offset:240
.LBB293_255:
	s_or_b32 exec_lo, exec_lo, s3
	s_waitcnt lgkmcnt(0)
	ds_bpermute_b32 v4, v10, v2
	s_waitcnt lgkmcnt(0)
	v_add_f32_e32 v2, v2, v4
	ds_bpermute_b32 v4, v11, v2
	s_waitcnt lgkmcnt(0)
	v_add_f32_e32 v2, v2, v4
	v_mov_b32_e32 v4, 0
	ds_bpermute_b32 v2, v4, v2
	s_and_saveexec_b32 s0, s1
	s_cbranch_execz .LBB293_258
; %bb.256:
	s_waitcnt lgkmcnt(0)
	v_add_f32_e32 v4, 0x358637bd, v2
	s_mov_b32 s1, 0
	s_delay_alu instid0(VALU_DEP_1) | instskip(SKIP_1) | instid1(VALU_DEP_2)
	v_div_scale_f32 v7, null, v4, v4, 1.0
	v_div_scale_f32 v10, vcc_lo, 1.0, v4, 1.0
	v_rcp_f32_e32 v8, v7
	s_waitcnt_depctr 0xfff
	v_fma_f32 v9, -v7, v8, 1.0
	s_delay_alu instid0(VALU_DEP_1) | instskip(NEXT) | instid1(VALU_DEP_1)
	v_fmac_f32_e32 v8, v9, v8
	v_mul_f32_e32 v9, v10, v8
	s_delay_alu instid0(VALU_DEP_1) | instskip(NEXT) | instid1(VALU_DEP_1)
	v_fma_f32 v11, -v7, v9, v10
	v_fmac_f32_e32 v9, v11, v8
	s_delay_alu instid0(VALU_DEP_1) | instskip(NEXT) | instid1(VALU_DEP_1)
	v_fma_f32 v7, -v7, v9, v10
	v_div_fmas_f32 v7, v7, v8, v9
	s_delay_alu instid0(VALU_DEP_1)
	v_div_fixup_f32 v4, v7, v4, 1.0
	v_mov_b32_e32 v7, v0
.LBB293_257:                            ; =>This Inner Loop Header: Depth=1
	ds_load_b32 v8, v3
	s_waitcnt lgkmcnt(0)
	v_dual_mul_f32 v8, v4, v8 :: v_dual_add_nc_u32 v7, 0x80, v7
	s_delay_alu instid0(VALU_DEP_1) | instskip(SKIP_3) | instid1(SALU_CYCLE_1)
	v_cmp_le_i32_e32 vcc_lo, s4, v7
	ds_store_b32 v3, v8
	v_add_nc_u32_e32 v3, 0x200, v3
	s_or_b32 s1, vcc_lo, s1
	s_and_not1_b32 exec_lo, exec_lo, s1
	s_cbranch_execnz .LBB293_257
.LBB293_258:
	s_or_b32 exec_lo, exec_lo, s0
	s_mul_i32 s0, s8, s14
	s_mov_b32 s12, 0
	s_mul_i32 s4, s0, s15
	s_mov_b32 s0, exec_lo
	s_waitcnt lgkmcnt(0)
	s_barrier
	buffer_gl0_inv
	v_cmpx_eq_u32_e32 0, v0
	s_cbranch_execz .LBB293_260
; %bb.259:
	s_ashr_i32 s5, s4, 31
	s_mul_i32 s42, s8, s30
	s_lshl_b64 s[14:15], s[4:5], 2
	v_mov_b32_e32 v3, 0
	s_add_u32 s1, s22, s14
	s_addc_u32 s3, s23, s15
	s_ashr_i32 s43, s42, 31
	s_delay_alu instid0(SALU_CYCLE_1) | instskip(NEXT) | instid1(SALU_CYCLE_1)
	s_lshl_b64 s[22:23], s[42:43], 2
	s_add_u32 s1, s1, s22
	s_addc_u32 s3, s3, s23
	s_ashr_i32 s25, s24, 31
	s_delay_alu instid0(SALU_CYCLE_1) | instskip(NEXT) | instid1(SALU_CYCLE_1)
	s_lshl_b64 s[42:43], s[24:25], 2
	s_add_u32 s44, s1, s42
	s_addc_u32 s45, s3, s43
	s_add_u32 s1, s20, s14
	s_addc_u32 s3, s21, s15
	;; [unrolled: 2-line block ×4, first 2 shown]
	s_clause 0x1
	global_store_b32 v3, v1, s[44:45]
	global_store_b32 v3, v2, s[14:15]
.LBB293_260:
	s_or_b32 exec_lo, exec_lo, s0
	s_mov_b32 s13, s12
	s_mov_b32 s14, s12
	;; [unrolled: 1-line block ×3, first 2 shown]
	v_dual_mov_b32 v1, s12 :: v_dual_mov_b32 v2, s13
	v_dual_mov_b32 v3, s14 :: v_dual_mov_b32 v4, s15
	s_and_saveexec_b32 s5, s2
	s_cbranch_execz .LBB293_516
; %bb.261:
	s_sub_i32 s17, s11, s17
	s_ashr_i32 s0, s10, 31
	s_add_u32 s2, s38, s10
	s_addc_u32 s3, s39, s0
	s_abs_i32 s18, s18
	v_or_b32_e32 v4, 0x60, v18
	v_cvt_f32_u32_e32 v1, s18
	s_sub_i32 s0, 0, s18
	s_add_i32 s41, s41, -1
	s_mov_b32 s13, s12
	s_mov_b32 s14, s12
	v_rcp_iflag_f32_e32 v1, v1
	s_mov_b32 s15, s12
	v_cmp_gt_u32_e32 vcc_lo, 0x70, v4
	v_lshlrev_b32_e32 v21, 3, v4
	v_lshlrev_b32_e32 v19, 3, v18
	v_mov_b32_e32 v7, 0
	v_lshl_add_u32 v20, v16, 5, 0x100
	s_mov_b32 s10, -1
	s_mov_b32 s11, 0xffffff
	s_waitcnt_depctr 0xfff
	v_mul_f32_e32 v1, 0x4f7ffffe, v1
	s_delay_alu instid0(VALU_DEP_1) | instskip(SKIP_1) | instid1(VALU_DEP_2)
	v_cvt_u32_f32_e32 v3, v1
	v_lshlrev_b64 v[1:2], 2, v[5:6]
	v_mul_lo_u32 v6, s0, v3
	s_lshl_b64 s[0:1], s[36:37], 2
	s_delay_alu instid0(SALU_CYCLE_1) | instskip(SKIP_1) | instid1(VALU_DEP_2)
	s_add_u32 s0, s34, s0
	s_addc_u32 s1, s35, s1
	v_add_co_u32 v8, s0, s0, v1
	s_delay_alu instid0(VALU_DEP_1) | instskip(NEXT) | instid1(VALU_DEP_3)
	v_add_co_ci_u32_e64 v9, s0, s1, v2, s0
	v_mul_hi_u32 v6, v3, v6
	s_delay_alu instid0(VALU_DEP_1)
	v_dual_mov_b32 v1, s12 :: v_dual_add_nc_u32 v22, v3, v6
	v_dual_mov_b32 v2, s13 :: v_dual_mov_b32 v3, s14
	v_mov_b32_e32 v4, s15
	s_mov_b32 s13, s33
	s_branch .LBB293_265
.LBB293_262:                            ;   in Loop: Header=BB293_265 Depth=1
	s_or_b32 exec_lo, exec_lo, s1
	;;#ASMSTART
	v_pk_mul_f16 v11, v26, v13;

	;;#ASMEND
	;;#ASMSTART
	v_pk_mul_f16 v12, v25, v12;

	;;#ASMEND
	;;#ASMSTART
	v_pk_mul_f16 v6, v24, v6;

	;;#ASMEND
	;;#ASMSTART
	v_pk_mul_f16 v10, v23, v10;

	;;#ASMEND
	;;#ASMSTART
	v_pk_add_f16 v11, v11, v12;

	;;#ASMEND
	;;#ASMSTART
	v_pk_add_f16 v6, v11, v6;

	;;#ASMEND
	;; [unrolled: 4-line block ×3, first 2 shown]
	v_and_b32_e32 v10, 0xffff, v6
	v_lshrrev_b32_e32 v6, 16, v6
	;;#ASMSTART
	v_cvt_f32_f16 v10, v10;
	;;#ASMEND
	;;#ASMSTART
	v_cvt_f32_f16 v6, v6;
	;;#ASMEND
	s_delay_alu instid0(VALU_DEP_1) | instskip(NEXT) | instid1(VALU_DEP_1)
	v_add_f32_e32 v6, v10, v6
	v_add_f32_e32 v4, v4, v6
.LBB293_263:                            ;   in Loop: Header=BB293_265 Depth=1
	s_or_b32 exec_lo, exec_lo, s15
.LBB293_264:                            ;   in Loop: Header=BB293_265 Depth=1
	s_delay_alu instid0(SALU_CYCLE_1) | instskip(SKIP_2) | instid1(VALU_DEP_1)
	s_or_b32 exec_lo, exec_lo, s14
	v_add_nc_u32_e32 v5, 4, v5
	v_add_co_u32 v8, s1, v8, 16
	v_add_co_ci_u32_e64 v9, s1, 0, v9, s1
	s_delay_alu instid0(VALU_DEP_3) | instskip(SKIP_2) | instid1(VALU_DEP_3)
	v_cmp_le_i32_e64 s0, s16, v5
	v_add_nc_u32_e32 v17, 32, v17
	v_add_nc_u32_e32 v20, 0x80, v20
	s_or_b32 s12, s0, s12
	s_delay_alu instid0(SALU_CYCLE_1)
	s_and_not1_b32 exec_lo, exec_lo, s12
	s_cbranch_execz .LBB293_515
.LBB293_265:                            ; =>This Inner Loop Header: Depth=1
	v_sub_nc_u32_e32 v6, 0, v17
	s_delay_alu instid0(VALU_DEP_1) | instskip(NEXT) | instid1(VALU_DEP_1)
	v_max_i32_e32 v6, v17, v6
	v_mul_hi_u32 v10, v6, s31
	s_delay_alu instid0(VALU_DEP_1) | instskip(NEXT) | instid1(VALU_DEP_1)
	v_mul_lo_u32 v11, v10, s27
	v_sub_nc_u32_e32 v6, v6, v11
	v_add_nc_u32_e32 v11, 1, v10
	s_delay_alu instid0(VALU_DEP_2) | instskip(SKIP_1) | instid1(VALU_DEP_1)
	v_subrev_nc_u32_e32 v12, s27, v6
	v_cmp_le_u32_e64 s0, s27, v6
	v_cndmask_b32_e64 v10, v10, v11, s0
	s_delay_alu instid0(VALU_DEP_3) | instskip(SKIP_1) | instid1(VALU_DEP_3)
	v_cndmask_b32_e64 v6, v6, v12, s0
	v_ashrrev_i32_e32 v11, 31, v17
	v_add_nc_u32_e32 v12, 1, v10
	s_delay_alu instid0(VALU_DEP_3) | instskip(NEXT) | instid1(VALU_DEP_3)
	v_cmp_le_u32_e64 s0, s27, v6
	v_xor_b32_e32 v11, s19, v11
	s_delay_alu instid0(VALU_DEP_2) | instskip(NEXT) | instid1(VALU_DEP_1)
	v_cndmask_b32_e64 v6, v10, v12, s0
	v_xor_b32_e32 v6, v6, v11
	s_delay_alu instid0(VALU_DEP_1) | instskip(NEXT) | instid1(VALU_DEP_1)
	v_sub_nc_u32_e32 v6, v6, v11
	v_add_nc_u32_e32 v10, s40, v6
	v_cmp_lt_i32_e64 s1, s17, v6
	s_delay_alu instid0(VALU_DEP_2) | instskip(NEXT) | instid1(VALU_DEP_1)
	v_sub_nc_u32_e32 v11, 0, v10
	v_max_i32_e32 v11, v10, v11
	v_ashrrev_i32_e32 v10, 31, v10
	s_delay_alu instid0(VALU_DEP_2) | instskip(NEXT) | instid1(VALU_DEP_1)
	v_mul_hi_u32 v12, v11, v22
	v_mul_lo_u32 v12, v12, s18
	s_delay_alu instid0(VALU_DEP_1) | instskip(NEXT) | instid1(VALU_DEP_1)
	v_sub_nc_u32_e32 v11, v11, v12
	v_subrev_nc_u32_e32 v12, s18, v11
	v_cmp_le_u32_e64 s0, s18, v11
	s_delay_alu instid0(VALU_DEP_1) | instskip(NEXT) | instid1(VALU_DEP_1)
	v_cndmask_b32_e64 v11, v11, v12, s0
	v_subrev_nc_u32_e32 v12, s18, v11
	v_cmp_le_u32_e64 s0, s18, v11
	s_delay_alu instid0(VALU_DEP_1) | instskip(NEXT) | instid1(VALU_DEP_1)
	v_cndmask_b32_e64 v11, v11, v12, s0
	v_xor_b32_e32 v11, v11, v10
	s_delay_alu instid0(VALU_DEP_1) | instskip(NEXT) | instid1(VALU_DEP_1)
	v_sub_nc_u32_e32 v10, v11, v10
	v_cmp_eq_u32_e64 s0, 0, v10
	s_delay_alu instid0(VALU_DEP_1) | instskip(NEXT) | instid1(SALU_CYCLE_1)
	s_or_b32 s0, s0, s1
	s_and_saveexec_b32 s14, s0
	s_cbranch_execz .LBB293_264
; %bb.266:                              ;   in Loop: Header=BB293_265 Depth=1
	global_load_b32 v6, v[8:9], off
	ds_load_2addr_b64 v[12:15], v20 offset1:1
	ds_load_2addr_b64 v[29:32], v20 offset0:2 offset1:3
	s_mov_b32 s1, exec_lo
	s_waitcnt lgkmcnt(1)
	;;#ASMSTART
	v_cvt_f16_f32 v25, v12;

	;;#ASMEND
	;;#ASMSTART
	v_cvt_f16_f32 v23, v13;

	;;#ASMEND
	;; [unrolled: 4-line block ×4, first 2 shown]
	s_waitcnt lgkmcnt(0)
	;;#ASMSTART
	v_cvt_f16_f32 v29, v29;

	;;#ASMEND
	;;#ASMSTART
	v_cvt_f16_f32 v27, v30;

	;;#ASMEND
	;;#ASMSTART
	v_cvt_f16_f32 v30, v31;

	;;#ASMEND
	;;#ASMSTART
	v_cvt_f16_f32 v28, v32;

	;;#ASMEND
	v_dual_mov_b32 v32, 0 :: v_dual_mov_b32 v33, 0
	s_waitcnt vmcnt(0)
	v_mad_i64_i32 v[10:11], null, v6, s9, s[2:3]
	s_delay_alu instid0(VALU_DEP_1) | instskip(NEXT) | instid1(VALU_DEP_1)
	v_add_co_u32 v12, s0, v10, v19
	v_add_co_ci_u32_e64 v13, s0, 0, v11, s0
	global_load_b64 v[14:15], v[12:13], off
	global_load_b32 v31, v7, s[6:7]
	s_waitcnt vmcnt(1)
	v_and_b32_e32 v6, 0xff, v14
	s_delay_alu instid0(VALU_DEP_1)
	v_cmpx_ne_u16_e32 0, v6
	s_cbranch_execz .LBB293_272
; %bb.267:                              ;   in Loop: Header=BB293_265 Depth=1
	v_bfrev_b32_e32 v32, 1
	s_mov_b32 s15, exec_lo
	v_cmpx_ne_u16_e32 0x80, v6
	s_cbranch_execz .LBB293_271
; %bb.268:                              ;   in Loop: Header=BB293_265 Depth=1
	v_and_b32_e32 v6, 0x7f, v14
	v_mov_b32_e32 v32, 0x7fc02000
	s_mov_b32 s20, exec_lo
	s_delay_alu instid0(VALU_DEP_2)
	v_cmpx_ne_u32_e32 0x7f, v6
	s_cbranch_execz .LBB293_270
; %bb.269:                              ;   in Loop: Header=BB293_265 Depth=1
	v_and_b32_e32 v32, 7, v14
	v_cmp_gt_u32_e64 s0, 8, v6
	v_lshrrev_b32_e32 v34, 3, v6
	s_delay_alu instid0(VALU_DEP_3) | instskip(NEXT) | instid1(VALU_DEP_1)
	v_clz_i32_u32_e32 v32, v32
	v_min_u32_e32 v32, 32, v32
	s_delay_alu instid0(VALU_DEP_1) | instskip(SKIP_1) | instid1(VALU_DEP_2)
	v_subrev_nc_u32_e32 v35, 28, v32
	v_sub_nc_u32_e32 v32, 29, v32
	v_cndmask_b32_e64 v6, 0, v35, s0
	s_delay_alu instid0(VALU_DEP_2) | instskip(NEXT) | instid1(VALU_DEP_2)
	v_cndmask_b32_e64 v32, v34, v32, s0
	v_lshlrev_b64 v[34:35], v6, v[14:15]
	v_lshlrev_b32_e32 v6, 8, v14
	s_delay_alu instid0(VALU_DEP_3) | instskip(NEXT) | instid1(VALU_DEP_3)
	v_lshl_add_u32 v32, v32, 10, 0x2000
	v_lshlrev_b32_e32 v34, 7, v34
	s_delay_alu instid0(VALU_DEP_2) | instskip(NEXT) | instid1(VALU_DEP_1)
	v_and_or_b32 v6, 0x8000, v6, v32
	v_and_or_b32 v6, 0x380, v34, v6
	s_delay_alu instid0(VALU_DEP_1)
	v_cvt_f32_f16_e32 v32, v6
.LBB293_270:                            ;   in Loop: Header=BB293_265 Depth=1
	s_or_b32 exec_lo, exec_lo, s20
.LBB293_271:                            ;   in Loop: Header=BB293_265 Depth=1
	s_delay_alu instid0(SALU_CYCLE_1)
	s_or_b32 exec_lo, exec_lo, s15
.LBB293_272:                            ;   in Loop: Header=BB293_265 Depth=1
	s_delay_alu instid0(SALU_CYCLE_1) | instskip(SKIP_2) | instid1(VALU_DEP_1)
	s_or_b32 exec_lo, exec_lo, s1
	v_lshrrev_b16 v6, 8, v14
	s_mov_b32 s1, exec_lo
	v_cmpx_ne_u16_e32 0, v6
	s_cbranch_execz .LBB293_280
; %bb.273:                              ;   in Loop: Header=BB293_265 Depth=1
	v_bfrev_b32_e32 v33, 1
	s_mov_b32 s15, exec_lo
	v_cmpx_ne_u16_e32 0x80, v6
	s_cbranch_execz .LBB293_279
; %bb.274:                              ;   in Loop: Header=BB293_265 Depth=1
	v_and_b32_e32 v34, 0xffff, v6
	v_mov_b32_e32 v33, 0x7fc02000
	s_mov_b32 s20, exec_lo
	s_delay_alu instid0(VALU_DEP_2) | instskip(NEXT) | instid1(VALU_DEP_1)
	v_and_b32_e32 v35, 0x7f, v34
	v_cmpx_ne_u32_e32 0x7f, v35
	s_cbranch_execz .LBB293_278
; %bb.275:                              ;   in Loop: Header=BB293_265 Depth=1
	v_and_b32_e32 v6, 7, v34
	v_lshrrev_b32_e32 v33, 3, v35
	s_mov_b32 s21, exec_lo
	v_cmpx_gt_u32_e32 8, v35
; %bb.276:                              ;   in Loop: Header=BB293_265 Depth=1
	s_delay_alu instid0(VALU_DEP_3) | instskip(NEXT) | instid1(VALU_DEP_1)
	v_clz_i32_u32_e32 v33, v6
	v_min_u32_e32 v33, 32, v33
	s_delay_alu instid0(VALU_DEP_1) | instskip(SKIP_1) | instid1(VALU_DEP_2)
	v_subrev_nc_u32_e32 v35, 28, v33
	v_sub_nc_u32_e32 v33, 29, v33
	v_lshlrev_b64 v[35:36], v35, v[6:7]
	s_delay_alu instid0(VALU_DEP_1)
	v_and_b32_e32 v6, 7, v35
; %bb.277:                              ;   in Loop: Header=BB293_265 Depth=1
	s_or_b32 exec_lo, exec_lo, s21
	v_lshlrev_b32_e32 v34, 8, v34
	v_lshl_add_u32 v33, v33, 10, 0x2000
	s_delay_alu instid0(VALU_DEP_1) | instskip(NEXT) | instid1(VALU_DEP_1)
	v_and_or_b32 v33, 0x8000, v34, v33
	v_lshl_or_b32 v6, v6, 7, v33
	s_delay_alu instid0(VALU_DEP_1)
	v_cvt_f32_f16_e32 v33, v6
.LBB293_278:                            ;   in Loop: Header=BB293_265 Depth=1
	s_or_b32 exec_lo, exec_lo, s20
.LBB293_279:                            ;   in Loop: Header=BB293_265 Depth=1
	s_delay_alu instid0(SALU_CYCLE_1)
	s_or_b32 exec_lo, exec_lo, s15
.LBB293_280:                            ;   in Loop: Header=BB293_265 Depth=1
	s_delay_alu instid0(SALU_CYCLE_1) | instskip(SKIP_3) | instid1(VALU_DEP_2)
	s_or_b32 exec_lo, exec_lo, s1
	v_lshrrev_b32_e32 v36, 16, v14
	v_mov_b32_e32 v34, 0
	s_mov_b32 s1, exec_lo
	v_dual_mov_b32 v35, 0 :: v_dual_and_b32 v6, 0xff, v36
	s_delay_alu instid0(VALU_DEP_1)
	v_cmpx_ne_u16_e32 0, v6
	s_cbranch_execz .LBB293_288
; %bb.281:                              ;   in Loop: Header=BB293_265 Depth=1
	v_bfrev_b32_e32 v34, 1
	s_mov_b32 s15, exec_lo
	v_cmpx_ne_u16_e32 0x80, v6
	s_cbranch_execz .LBB293_287
; %bb.282:                              ;   in Loop: Header=BB293_265 Depth=1
	v_bfe_u32 v37, v14, 16, 7
	v_mov_b32_e32 v34, 0x7fc02000
	s_mov_b32 s20, exec_lo
	s_delay_alu instid0(VALU_DEP_2)
	v_cmpx_ne_u32_e32 0x7f, v37
	s_cbranch_execz .LBB293_286
; %bb.283:                              ;   in Loop: Header=BB293_265 Depth=1
	v_and_b32_e32 v6, 7, v36
	v_lshrrev_b32_e32 v34, 3, v37
	s_mov_b32 s21, exec_lo
	v_cmpx_gt_u32_e32 8, v37
; %bb.284:                              ;   in Loop: Header=BB293_265 Depth=1
	s_delay_alu instid0(VALU_DEP_3) | instskip(NEXT) | instid1(VALU_DEP_1)
	v_clz_i32_u32_e32 v34, v6
	v_min_u32_e32 v34, 32, v34
	s_delay_alu instid0(VALU_DEP_1) | instskip(SKIP_1) | instid1(VALU_DEP_2)
	v_subrev_nc_u32_e32 v37, 28, v34
	v_sub_nc_u32_e32 v34, 29, v34
	v_lshlrev_b64 v[37:38], v37, v[6:7]
	s_delay_alu instid0(VALU_DEP_1)
	v_and_b32_e32 v6, 7, v37
; %bb.285:                              ;   in Loop: Header=BB293_265 Depth=1
	s_or_b32 exec_lo, exec_lo, s21
	v_lshlrev_b32_e32 v36, 8, v36
	v_lshl_add_u32 v34, v34, 10, 0x2000
	s_delay_alu instid0(VALU_DEP_1) | instskip(NEXT) | instid1(VALU_DEP_1)
	v_and_or_b32 v34, 0x8000, v36, v34
	v_lshl_or_b32 v6, v6, 7, v34
	s_delay_alu instid0(VALU_DEP_1)
	v_cvt_f32_f16_e32 v34, v6
.LBB293_286:                            ;   in Loop: Header=BB293_265 Depth=1
	s_or_b32 exec_lo, exec_lo, s20
.LBB293_287:                            ;   in Loop: Header=BB293_265 Depth=1
	s_delay_alu instid0(SALU_CYCLE_1)
	s_or_b32 exec_lo, exec_lo, s15
.LBB293_288:                            ;   in Loop: Header=BB293_265 Depth=1
	s_delay_alu instid0(SALU_CYCLE_1) | instskip(NEXT) | instid1(SALU_CYCLE_1)
	s_or_b32 exec_lo, exec_lo, s1
	s_mov_b32 s1, exec_lo
	v_cmpx_lt_u32_e32 0xffffff, v14
	s_cbranch_execz .LBB293_296
; %bb.289:                              ;   in Loop: Header=BB293_265 Depth=1
	v_lshrrev_b32_e32 v36, 24, v14
	v_bfrev_b32_e32 v35, 1
	s_mov_b32 s15, exec_lo
	s_delay_alu instid0(VALU_DEP_2)
	v_cmpx_ne_u32_e32 0x80, v36
	s_cbranch_execz .LBB293_295
; %bb.290:                              ;   in Loop: Header=BB293_265 Depth=1
	v_and_b32_e32 v37, 0x7f, v36
	v_mov_b32_e32 v35, 0x7fc02000
	s_mov_b32 s20, exec_lo
	s_delay_alu instid0(VALU_DEP_2)
	v_cmpx_ne_u32_e32 0x7f, v37
	s_cbranch_execz .LBB293_294
; %bb.291:                              ;   in Loop: Header=BB293_265 Depth=1
	v_and_b32_e32 v6, 7, v36
	v_lshrrev_b32_e32 v35, 3, v37
	s_mov_b32 s21, exec_lo
	v_cmpx_gt_u32_e32 8, v37
; %bb.292:                              ;   in Loop: Header=BB293_265 Depth=1
	s_delay_alu instid0(VALU_DEP_3) | instskip(NEXT) | instid1(VALU_DEP_1)
	v_clz_i32_u32_e32 v35, v6
	v_min_u32_e32 v35, 32, v35
	s_delay_alu instid0(VALU_DEP_1) | instskip(SKIP_1) | instid1(VALU_DEP_2)
	v_subrev_nc_u32_e32 v37, 28, v35
	v_sub_nc_u32_e32 v35, 29, v35
	v_lshlrev_b64 v[37:38], v37, v[6:7]
	s_delay_alu instid0(VALU_DEP_1)
	v_and_b32_e32 v6, 7, v37
; %bb.293:                              ;   in Loop: Header=BB293_265 Depth=1
	s_or_b32 exec_lo, exec_lo, s21
	v_lshlrev_b32_e32 v36, 8, v36
	v_lshl_add_u32 v35, v35, 10, 0x2000
	s_delay_alu instid0(VALU_DEP_1) | instskip(NEXT) | instid1(VALU_DEP_1)
	v_and_or_b32 v35, 0x8000, v36, v35
	v_lshl_or_b32 v6, v6, 7, v35
	s_delay_alu instid0(VALU_DEP_1)
	v_cvt_f32_f16_e32 v35, v6
.LBB293_294:                            ;   in Loop: Header=BB293_265 Depth=1
	s_or_b32 exec_lo, exec_lo, s20
.LBB293_295:                            ;   in Loop: Header=BB293_265 Depth=1
	s_delay_alu instid0(SALU_CYCLE_1)
	s_or_b32 exec_lo, exec_lo, s15
.LBB293_296:                            ;   in Loop: Header=BB293_265 Depth=1
	s_delay_alu instid0(SALU_CYCLE_1) | instskip(SKIP_4) | instid1(VALU_DEP_3)
	s_or_b32 exec_lo, exec_lo, s1
	v_dual_mov_b32 v37, 0 :: v_dual_and_b32 v38, 0xff, v15
	v_mov_b32_e32 v6, v15
	v_mov_b32_e32 v36, 0
	s_mov_b32 s1, exec_lo
	v_cmpx_ne_u16_e32 0, v38
	s_cbranch_execz .LBB293_302
; %bb.297:                              ;   in Loop: Header=BB293_265 Depth=1
	v_bfrev_b32_e32 v36, 1
	s_mov_b32 s15, exec_lo
	v_cmpx_ne_u16_e32 0x80, v38
	s_cbranch_execz .LBB293_301
; %bb.298:                              ;   in Loop: Header=BB293_265 Depth=1
	v_and_b32_e32 v38, 0x7f, v15
	v_mov_b32_e32 v36, 0x7fc02000
	s_mov_b32 s20, exec_lo
	s_delay_alu instid0(VALU_DEP_2)
	v_cmpx_ne_u32_e32 0x7f, v38
	s_cbranch_execz .LBB293_300
; %bb.299:                              ;   in Loop: Header=BB293_265 Depth=1
	v_and_b32_e32 v36, 7, v15
	v_cmp_gt_u32_e64 s0, 8, v38
	v_lshrrev_b32_e32 v39, 3, v38
	s_delay_alu instid0(VALU_DEP_3) | instskip(NEXT) | instid1(VALU_DEP_1)
	v_clz_i32_u32_e32 v36, v36
	v_min_u32_e32 v36, 32, v36
	s_delay_alu instid0(VALU_DEP_1) | instskip(SKIP_1) | instid1(VALU_DEP_2)
	v_subrev_nc_u32_e32 v40, 28, v36
	v_sub_nc_u32_e32 v36, 29, v36
	v_cndmask_b32_e64 v38, 0, v40, s0
	s_delay_alu instid0(VALU_DEP_2) | instskip(NEXT) | instid1(VALU_DEP_2)
	v_cndmask_b32_e64 v36, v39, v36, s0
	v_lshlrev_b64 v[38:39], v38, v[6:7]
	v_lshlrev_b32_e32 v39, 8, v15
	s_delay_alu instid0(VALU_DEP_3) | instskip(NEXT) | instid1(VALU_DEP_3)
	v_lshl_add_u32 v36, v36, 10, 0x2000
	v_lshlrev_b32_e32 v38, 7, v38
	s_delay_alu instid0(VALU_DEP_2) | instskip(NEXT) | instid1(VALU_DEP_1)
	v_and_or_b32 v36, 0x8000, v39, v36
	v_and_or_b32 v36, 0x380, v38, v36
	s_delay_alu instid0(VALU_DEP_1)
	v_cvt_f32_f16_e32 v36, v36
.LBB293_300:                            ;   in Loop: Header=BB293_265 Depth=1
	s_or_b32 exec_lo, exec_lo, s20
.LBB293_301:                            ;   in Loop: Header=BB293_265 Depth=1
	s_delay_alu instid0(SALU_CYCLE_1)
	s_or_b32 exec_lo, exec_lo, s15
.LBB293_302:                            ;   in Loop: Header=BB293_265 Depth=1
	s_delay_alu instid0(SALU_CYCLE_1) | instskip(SKIP_2) | instid1(VALU_DEP_1)
	s_or_b32 exec_lo, exec_lo, s1
	v_lshrrev_b16 v6, 8, v6
	s_mov_b32 s1, exec_lo
	v_cmpx_ne_u16_e32 0, v6
	s_cbranch_execz .LBB293_310
; %bb.303:                              ;   in Loop: Header=BB293_265 Depth=1
	v_bfrev_b32_e32 v37, 1
	s_mov_b32 s15, exec_lo
	v_cmpx_ne_u16_e32 0x80, v6
	s_cbranch_execz .LBB293_309
; %bb.304:                              ;   in Loop: Header=BB293_265 Depth=1
	v_and_b32_e32 v38, 0xffff, v6
	v_mov_b32_e32 v37, 0x7fc02000
	s_mov_b32 s20, exec_lo
	s_delay_alu instid0(VALU_DEP_2) | instskip(NEXT) | instid1(VALU_DEP_1)
	v_and_b32_e32 v39, 0x7f, v38
	v_cmpx_ne_u32_e32 0x7f, v39
	s_cbranch_execz .LBB293_308
; %bb.305:                              ;   in Loop: Header=BB293_265 Depth=1
	v_and_b32_e32 v6, 7, v38
	v_lshrrev_b32_e32 v37, 3, v39
	s_mov_b32 s21, exec_lo
	v_cmpx_gt_u32_e32 8, v39
; %bb.306:                              ;   in Loop: Header=BB293_265 Depth=1
	s_delay_alu instid0(VALU_DEP_3) | instskip(NEXT) | instid1(VALU_DEP_1)
	v_clz_i32_u32_e32 v37, v6
	v_min_u32_e32 v37, 32, v37
	s_delay_alu instid0(VALU_DEP_1) | instskip(SKIP_1) | instid1(VALU_DEP_2)
	v_subrev_nc_u32_e32 v39, 28, v37
	v_sub_nc_u32_e32 v37, 29, v37
	v_lshlrev_b64 v[39:40], v39, v[6:7]
	s_delay_alu instid0(VALU_DEP_1)
	v_and_b32_e32 v6, 7, v39
; %bb.307:                              ;   in Loop: Header=BB293_265 Depth=1
	s_or_b32 exec_lo, exec_lo, s21
	v_lshlrev_b32_e32 v38, 8, v38
	v_lshl_add_u32 v37, v37, 10, 0x2000
	s_delay_alu instid0(VALU_DEP_1) | instskip(NEXT) | instid1(VALU_DEP_1)
	v_and_or_b32 v37, 0x8000, v38, v37
	v_lshl_or_b32 v6, v6, 7, v37
	s_delay_alu instid0(VALU_DEP_1)
	v_cvt_f32_f16_e32 v37, v6
.LBB293_308:                            ;   in Loop: Header=BB293_265 Depth=1
	s_or_b32 exec_lo, exec_lo, s20
.LBB293_309:                            ;   in Loop: Header=BB293_265 Depth=1
	s_delay_alu instid0(SALU_CYCLE_1)
	s_or_b32 exec_lo, exec_lo, s15
.LBB293_310:                            ;   in Loop: Header=BB293_265 Depth=1
	s_delay_alu instid0(SALU_CYCLE_1) | instskip(SKIP_3) | instid1(VALU_DEP_2)
	s_or_b32 exec_lo, exec_lo, s1
	v_lshrrev_b32_e32 v40, 16, v15
	v_mov_b32_e32 v38, 0
	s_mov_b32 s1, exec_lo
	v_dual_mov_b32 v39, 0 :: v_dual_and_b32 v6, 0xff, v40
	s_delay_alu instid0(VALU_DEP_1)
	v_cmpx_ne_u16_e32 0, v6
	s_cbranch_execz .LBB293_318
; %bb.311:                              ;   in Loop: Header=BB293_265 Depth=1
	v_bfrev_b32_e32 v38, 1
	s_mov_b32 s15, exec_lo
	v_cmpx_ne_u16_e32 0x80, v6
	s_cbranch_execz .LBB293_317
; %bb.312:                              ;   in Loop: Header=BB293_265 Depth=1
	v_bfe_u32 v41, v15, 16, 7
	v_mov_b32_e32 v38, 0x7fc02000
	s_mov_b32 s20, exec_lo
	s_delay_alu instid0(VALU_DEP_2)
	v_cmpx_ne_u32_e32 0x7f, v41
	s_cbranch_execz .LBB293_316
; %bb.313:                              ;   in Loop: Header=BB293_265 Depth=1
	v_and_b32_e32 v6, 7, v40
	v_lshrrev_b32_e32 v38, 3, v41
	s_mov_b32 s21, exec_lo
	v_cmpx_gt_u32_e32 8, v41
; %bb.314:                              ;   in Loop: Header=BB293_265 Depth=1
	s_delay_alu instid0(VALU_DEP_3) | instskip(NEXT) | instid1(VALU_DEP_1)
	v_clz_i32_u32_e32 v38, v6
	v_min_u32_e32 v38, 32, v38
	s_delay_alu instid0(VALU_DEP_1) | instskip(SKIP_1) | instid1(VALU_DEP_2)
	v_subrev_nc_u32_e32 v41, 28, v38
	v_sub_nc_u32_e32 v38, 29, v38
	v_lshlrev_b64 v[41:42], v41, v[6:7]
	s_delay_alu instid0(VALU_DEP_1)
	v_and_b32_e32 v6, 7, v41
; %bb.315:                              ;   in Loop: Header=BB293_265 Depth=1
	s_or_b32 exec_lo, exec_lo, s21
	v_lshlrev_b32_e32 v40, 8, v40
	v_lshl_add_u32 v38, v38, 10, 0x2000
	s_delay_alu instid0(VALU_DEP_1) | instskip(NEXT) | instid1(VALU_DEP_1)
	v_and_or_b32 v38, 0x8000, v40, v38
	v_lshl_or_b32 v6, v6, 7, v38
	s_delay_alu instid0(VALU_DEP_1)
	v_cvt_f32_f16_e32 v38, v6
.LBB293_316:                            ;   in Loop: Header=BB293_265 Depth=1
	s_or_b32 exec_lo, exec_lo, s20
.LBB293_317:                            ;   in Loop: Header=BB293_265 Depth=1
	s_delay_alu instid0(SALU_CYCLE_1)
	s_or_b32 exec_lo, exec_lo, s15
.LBB293_318:                            ;   in Loop: Header=BB293_265 Depth=1
	s_delay_alu instid0(SALU_CYCLE_1) | instskip(NEXT) | instid1(SALU_CYCLE_1)
	s_or_b32 exec_lo, exec_lo, s1
	s_mov_b32 s1, exec_lo
	v_cmpx_lt_u64_e64 s[10:11], v[14:15]
	s_cbranch_execz .LBB293_326
; %bb.319:                              ;   in Loop: Header=BB293_265 Depth=1
	v_lshrrev_b32_e32 v14, 24, v15
	v_bfrev_b32_e32 v39, 1
	s_mov_b32 s15, exec_lo
	s_delay_alu instid0(VALU_DEP_2)
	v_cmpx_ne_u32_e32 0x80, v14
	s_cbranch_execz .LBB293_325
; %bb.320:                              ;   in Loop: Header=BB293_265 Depth=1
	v_and_b32_e32 v40, 0x7f, v14
	v_mov_b32_e32 v39, 0x7fc02000
	s_mov_b32 s20, exec_lo
	s_delay_alu instid0(VALU_DEP_2)
	v_cmpx_ne_u32_e32 0x7f, v40
	s_cbranch_execz .LBB293_324
; %bb.321:                              ;   in Loop: Header=BB293_265 Depth=1
	v_and_b32_e32 v6, 7, v14
	v_lshrrev_b32_e32 v15, 3, v40
	s_mov_b32 s21, exec_lo
	v_cmpx_gt_u32_e32 8, v40
; %bb.322:                              ;   in Loop: Header=BB293_265 Depth=1
	s_delay_alu instid0(VALU_DEP_3) | instskip(NEXT) | instid1(VALU_DEP_1)
	v_clz_i32_u32_e32 v15, v6
	v_min_u32_e32 v15, 32, v15
	s_delay_alu instid0(VALU_DEP_1) | instskip(SKIP_1) | instid1(VALU_DEP_2)
	v_subrev_nc_u32_e32 v39, 28, v15
	v_sub_nc_u32_e32 v15, 29, v15
	v_lshlrev_b64 v[39:40], v39, v[6:7]
	s_delay_alu instid0(VALU_DEP_1)
	v_and_b32_e32 v6, 7, v39
; %bb.323:                              ;   in Loop: Header=BB293_265 Depth=1
	s_or_b32 exec_lo, exec_lo, s21
	v_lshlrev_b32_e32 v14, 8, v14
	v_lshl_add_u32 v15, v15, 10, 0x2000
	s_delay_alu instid0(VALU_DEP_1) | instskip(NEXT) | instid1(VALU_DEP_1)
	v_and_or_b32 v14, 0x8000, v14, v15
	v_lshl_or_b32 v6, v6, 7, v14
	s_delay_alu instid0(VALU_DEP_1)
	v_cvt_f32_f16_e32 v39, v6
.LBB293_324:                            ;   in Loop: Header=BB293_265 Depth=1
	s_or_b32 exec_lo, exec_lo, s20
.LBB293_325:                            ;   in Loop: Header=BB293_265 Depth=1
	s_delay_alu instid0(SALU_CYCLE_1)
	s_or_b32 exec_lo, exec_lo, s15
.LBB293_326:                            ;   in Loop: Header=BB293_265 Depth=1
	s_delay_alu instid0(SALU_CYCLE_1)
	s_or_b32 exec_lo, exec_lo, s1
	s_waitcnt vmcnt(0)
	v_fma_mixlo_f16 v15, v31, v33, 0
	v_fma_mixlo_f16 v6, v31, v35, 0
	;; [unrolled: 1-line block ×5, first 2 shown]
	v_lshlrev_b32_e32 v33, 16, v15
	v_fma_mixlo_f16 v15, v31, v32, 0
	v_fma_mixlo_f16 v32, v31, v37, 0
	;; [unrolled: 1-line block ×3, first 2 shown]
	v_lshlrev_b32_e32 v6, 16, v6
	v_and_b32_e32 v14, 0xffff, v14
	v_and_b32_e32 v36, 0xffff, v15
	v_lshlrev_b32_e32 v37, 16, v32
	v_and_b32_e32 v34, 0xffff, v34
	v_lshlrev_b32_e32 v35, 16, v35
	v_and_b32_e32 v38, 0xffff, v31
	v_cmp_eq_u32_e64 s0, s41, v5
	v_or_b32_e32 v15, v6, v14
	v_or_b32_e32 v32, v33, v36
	;; [unrolled: 1-line block ×4, first 2 shown]
	s_and_saveexec_b32 s15, s0
	s_cbranch_execz .LBB293_328
; %bb.327:                              ;   in Loop: Header=BB293_265 Depth=1
	v_add_nc_u32_e32 v33, 1, v17
	v_lshrrev_b32_e32 v34, 16, v32
	v_or_b32_e32 v35, 3, v17
	v_lshrrev_b32_e32 v36, 16, v15
	v_lshrrev_b32_e32 v37, 16, v6
	v_cmp_gt_i32_e64 s1, s13, v33
	v_lshrrev_b32_e32 v14, 16, v14
	v_or_b32_e32 v38, 6, v17
	s_delay_alu instid0(VALU_DEP_3) | instskip(SKIP_2) | instid1(VALU_DEP_2)
	v_cndmask_b32_e64 v33, 0, v34, s1
	v_cmp_gt_i32_e64 s1, s33, v17
	v_or_b32_e32 v34, 2, v17
	v_cndmask_b32_e64 v32, 0, v32, s1
	v_cmp_gt_i32_e64 s1, s13, v35
	s_delay_alu instid0(VALU_DEP_2) | instskip(NEXT) | instid1(VALU_DEP_2)
	v_perm_b32 v32, v33, v32, 0x5040100
	v_cndmask_b32_e64 v35, 0, v36, s1
	v_or_b32_e32 v36, 5, v17
	v_cmp_gt_i32_e64 s1, s33, v34
	v_or_b32_e32 v34, 4, v17
	s_delay_alu instid0(VALU_DEP_2) | instskip(NEXT) | instid1(VALU_DEP_4)
	v_cndmask_b32_e64 v15, 0, v15, s1
	v_cmp_gt_i32_e64 s1, s13, v36
	s_delay_alu instid0(VALU_DEP_2) | instskip(NEXT) | instid1(VALU_DEP_2)
	v_perm_b32 v15, v35, v15, 0x5040100
	v_cndmask_b32_e64 v36, 0, v37, s1
	v_or_b32_e32 v37, 7, v17
	v_cmp_gt_i32_e64 s1, s33, v34
	s_delay_alu instid0(VALU_DEP_1) | instskip(NEXT) | instid1(VALU_DEP_3)
	v_cndmask_b32_e64 v6, 0, v6, s1
	v_cmp_gt_i32_e64 s1, s13, v37
	s_delay_alu instid0(VALU_DEP_2) | instskip(NEXT) | instid1(VALU_DEP_2)
	v_perm_b32 v6, v36, v6, 0x5040100
	v_cndmask_b32_e64 v14, 0, v14, s1
	v_cmp_gt_i32_e64 s1, s33, v38
	s_delay_alu instid0(VALU_DEP_1) | instskip(NEXT) | instid1(VALU_DEP_1)
	v_cndmask_b32_e64 v31, 0, v31, s1
	v_perm_b32 v14, v14, v31, 0x5040100
.LBB293_328:                            ;   in Loop: Header=BB293_265 Depth=1
	s_or_b32 exec_lo, exec_lo, s15
	v_and_b32_e32 v25, 0xffff, v25
	v_and_b32_e32 v31, 0xffff, v26
	;; [unrolled: 1-line block ×4, first 2 shown]
	s_mov_b32 s15, exec_lo
	v_lshl_or_b32 v26, v23, 16, v25
	v_lshl_or_b32 v25, v24, 16, v31
	v_mov_b32_e32 v31, 0
	v_lshl_or_b32 v24, v27, 16, v29
	;;#ASMSTART
	v_pk_mul_f16 v27, v26, v32;

	;;#ASMEND
	;;#ASMSTART
	v_pk_mul_f16 v15, v25, v15;

	;;#ASMEND
	;; [unrolled: 4-line block ×3, first 2 shown]
	v_lshl_or_b32 v23, v28, 16, v30
	;;#ASMSTART
	v_pk_mul_f16 v14, v23, v14;

	;;#ASMEND
	;;#ASMSTART
	v_pk_add_f16 v15, v27, v15;

	;;#ASMEND
	;;#ASMSTART
	v_pk_add_f16 v6, v15, v6;
	;; [unrolled: 4-line block ×3, first 2 shown]

	;;#ASMEND
	v_and_b32_e32 v14, 0xffff, v6
	v_lshrrev_b32_e32 v6, 16, v6
	;;#ASMSTART
	v_cvt_f32_f16 v27, v14;
	;;#ASMEND
	;;#ASMSTART
	v_cvt_f32_f16 v28, v6;
	;;#ASMEND
	global_load_b64 v[14:15], v[12:13], off offset:256
	global_load_b32 v29, v7, s[6:7]
	v_mov_b32_e32 v30, 0
	s_waitcnt vmcnt(1)
	v_and_b32_e32 v6, 0xff, v14
	s_delay_alu instid0(VALU_DEP_1)
	v_cmpx_ne_u16_e32 0, v6
	s_cbranch_execz .LBB293_334
; %bb.329:                              ;   in Loop: Header=BB293_265 Depth=1
	v_bfrev_b32_e32 v30, 1
	s_mov_b32 s20, exec_lo
	v_cmpx_ne_u16_e32 0x80, v6
	s_cbranch_execz .LBB293_333
; %bb.330:                              ;   in Loop: Header=BB293_265 Depth=1
	v_and_b32_e32 v6, 0x7f, v14
	v_mov_b32_e32 v30, 0x7fc02000
	s_mov_b32 s21, exec_lo
	s_delay_alu instid0(VALU_DEP_2)
	v_cmpx_ne_u32_e32 0x7f, v6
	s_cbranch_execz .LBB293_332
; %bb.331:                              ;   in Loop: Header=BB293_265 Depth=1
	v_and_b32_e32 v30, 7, v14
	v_cmp_gt_u32_e64 s1, 8, v6
	v_lshrrev_b32_e32 v32, 3, v6
	s_delay_alu instid0(VALU_DEP_3) | instskip(NEXT) | instid1(VALU_DEP_1)
	v_clz_i32_u32_e32 v30, v30
	v_min_u32_e32 v30, 32, v30
	s_delay_alu instid0(VALU_DEP_1) | instskip(SKIP_1) | instid1(VALU_DEP_2)
	v_subrev_nc_u32_e32 v33, 28, v30
	v_sub_nc_u32_e32 v30, 29, v30
	v_cndmask_b32_e64 v6, 0, v33, s1
	s_delay_alu instid0(VALU_DEP_2) | instskip(NEXT) | instid1(VALU_DEP_2)
	v_cndmask_b32_e64 v30, v32, v30, s1
	v_lshlrev_b64 v[32:33], v6, v[14:15]
	v_lshlrev_b32_e32 v6, 8, v14
	s_delay_alu instid0(VALU_DEP_3) | instskip(NEXT) | instid1(VALU_DEP_3)
	v_lshl_add_u32 v30, v30, 10, 0x2000
	v_lshlrev_b32_e32 v32, 7, v32
	s_delay_alu instid0(VALU_DEP_2) | instskip(NEXT) | instid1(VALU_DEP_1)
	v_and_or_b32 v6, 0x8000, v6, v30
	v_and_or_b32 v6, 0x380, v32, v6
	s_delay_alu instid0(VALU_DEP_1)
	v_cvt_f32_f16_e32 v30, v6
.LBB293_332:                            ;   in Loop: Header=BB293_265 Depth=1
	s_or_b32 exec_lo, exec_lo, s21
.LBB293_333:                            ;   in Loop: Header=BB293_265 Depth=1
	s_delay_alu instid0(SALU_CYCLE_1)
	s_or_b32 exec_lo, exec_lo, s20
.LBB293_334:                            ;   in Loop: Header=BB293_265 Depth=1
	s_delay_alu instid0(SALU_CYCLE_1) | instskip(SKIP_2) | instid1(VALU_DEP_1)
	s_or_b32 exec_lo, exec_lo, s15
	v_lshrrev_b16 v6, 8, v14
	s_mov_b32 s15, exec_lo
	v_cmpx_ne_u16_e32 0, v6
	s_cbranch_execz .LBB293_342
; %bb.335:                              ;   in Loop: Header=BB293_265 Depth=1
	v_bfrev_b32_e32 v31, 1
	s_mov_b32 s20, exec_lo
	v_cmpx_ne_u16_e32 0x80, v6
	s_cbranch_execz .LBB293_341
; %bb.336:                              ;   in Loop: Header=BB293_265 Depth=1
	v_and_b32_e32 v32, 0xffff, v6
	v_mov_b32_e32 v31, 0x7fc02000
	s_mov_b32 s21, exec_lo
	s_delay_alu instid0(VALU_DEP_2) | instskip(NEXT) | instid1(VALU_DEP_1)
	v_and_b32_e32 v33, 0x7f, v32
	v_cmpx_ne_u32_e32 0x7f, v33
	s_cbranch_execz .LBB293_340
; %bb.337:                              ;   in Loop: Header=BB293_265 Depth=1
	v_and_b32_e32 v6, 7, v32
	v_lshrrev_b32_e32 v31, 3, v33
	s_mov_b32 s22, exec_lo
	v_cmpx_gt_u32_e32 8, v33
; %bb.338:                              ;   in Loop: Header=BB293_265 Depth=1
	s_delay_alu instid0(VALU_DEP_3) | instskip(NEXT) | instid1(VALU_DEP_1)
	v_clz_i32_u32_e32 v31, v6
	v_min_u32_e32 v31, 32, v31
	s_delay_alu instid0(VALU_DEP_1) | instskip(SKIP_1) | instid1(VALU_DEP_2)
	v_subrev_nc_u32_e32 v33, 28, v31
	v_sub_nc_u32_e32 v31, 29, v31
	v_lshlrev_b64 v[33:34], v33, v[6:7]
	s_delay_alu instid0(VALU_DEP_1)
	v_and_b32_e32 v6, 7, v33
; %bb.339:                              ;   in Loop: Header=BB293_265 Depth=1
	s_or_b32 exec_lo, exec_lo, s22
	v_lshlrev_b32_e32 v32, 8, v32
	v_lshl_add_u32 v31, v31, 10, 0x2000
	s_delay_alu instid0(VALU_DEP_1) | instskip(NEXT) | instid1(VALU_DEP_1)
	v_and_or_b32 v31, 0x8000, v32, v31
	v_lshl_or_b32 v6, v6, 7, v31
	s_delay_alu instid0(VALU_DEP_1)
	v_cvt_f32_f16_e32 v31, v6
.LBB293_340:                            ;   in Loop: Header=BB293_265 Depth=1
	s_or_b32 exec_lo, exec_lo, s21
.LBB293_341:                            ;   in Loop: Header=BB293_265 Depth=1
	s_delay_alu instid0(SALU_CYCLE_1)
	s_or_b32 exec_lo, exec_lo, s20
.LBB293_342:                            ;   in Loop: Header=BB293_265 Depth=1
	s_delay_alu instid0(SALU_CYCLE_1) | instskip(SKIP_3) | instid1(VALU_DEP_2)
	s_or_b32 exec_lo, exec_lo, s15
	v_lshrrev_b32_e32 v34, 16, v14
	v_mov_b32_e32 v32, 0
	s_mov_b32 s15, exec_lo
	v_dual_mov_b32 v33, 0 :: v_dual_and_b32 v6, 0xff, v34
	s_delay_alu instid0(VALU_DEP_1)
	v_cmpx_ne_u16_e32 0, v6
	s_cbranch_execz .LBB293_350
; %bb.343:                              ;   in Loop: Header=BB293_265 Depth=1
	v_bfrev_b32_e32 v32, 1
	s_mov_b32 s20, exec_lo
	v_cmpx_ne_u16_e32 0x80, v6
	s_cbranch_execz .LBB293_349
; %bb.344:                              ;   in Loop: Header=BB293_265 Depth=1
	v_bfe_u32 v35, v14, 16, 7
	v_mov_b32_e32 v32, 0x7fc02000
	s_mov_b32 s21, exec_lo
	s_delay_alu instid0(VALU_DEP_2)
	v_cmpx_ne_u32_e32 0x7f, v35
	s_cbranch_execz .LBB293_348
; %bb.345:                              ;   in Loop: Header=BB293_265 Depth=1
	v_and_b32_e32 v6, 7, v34
	v_lshrrev_b32_e32 v32, 3, v35
	s_mov_b32 s22, exec_lo
	v_cmpx_gt_u32_e32 8, v35
; %bb.346:                              ;   in Loop: Header=BB293_265 Depth=1
	s_delay_alu instid0(VALU_DEP_3) | instskip(NEXT) | instid1(VALU_DEP_1)
	v_clz_i32_u32_e32 v32, v6
	v_min_u32_e32 v32, 32, v32
	s_delay_alu instid0(VALU_DEP_1) | instskip(SKIP_1) | instid1(VALU_DEP_2)
	v_subrev_nc_u32_e32 v35, 28, v32
	v_sub_nc_u32_e32 v32, 29, v32
	v_lshlrev_b64 v[35:36], v35, v[6:7]
	s_delay_alu instid0(VALU_DEP_1)
	v_and_b32_e32 v6, 7, v35
; %bb.347:                              ;   in Loop: Header=BB293_265 Depth=1
	s_or_b32 exec_lo, exec_lo, s22
	v_lshlrev_b32_e32 v34, 8, v34
	v_lshl_add_u32 v32, v32, 10, 0x2000
	s_delay_alu instid0(VALU_DEP_1) | instskip(NEXT) | instid1(VALU_DEP_1)
	v_and_or_b32 v32, 0x8000, v34, v32
	v_lshl_or_b32 v6, v6, 7, v32
	s_delay_alu instid0(VALU_DEP_1)
	v_cvt_f32_f16_e32 v32, v6
.LBB293_348:                            ;   in Loop: Header=BB293_265 Depth=1
	s_or_b32 exec_lo, exec_lo, s21
.LBB293_349:                            ;   in Loop: Header=BB293_265 Depth=1
	s_delay_alu instid0(SALU_CYCLE_1)
	s_or_b32 exec_lo, exec_lo, s20
.LBB293_350:                            ;   in Loop: Header=BB293_265 Depth=1
	s_delay_alu instid0(SALU_CYCLE_1) | instskip(NEXT) | instid1(SALU_CYCLE_1)
	s_or_b32 exec_lo, exec_lo, s15
	s_mov_b32 s15, exec_lo
	v_cmpx_lt_u32_e32 0xffffff, v14
	s_cbranch_execz .LBB293_358
; %bb.351:                              ;   in Loop: Header=BB293_265 Depth=1
	v_lshrrev_b32_e32 v34, 24, v14
	v_bfrev_b32_e32 v33, 1
	s_mov_b32 s20, exec_lo
	s_delay_alu instid0(VALU_DEP_2)
	v_cmpx_ne_u32_e32 0x80, v34
	s_cbranch_execz .LBB293_357
; %bb.352:                              ;   in Loop: Header=BB293_265 Depth=1
	v_and_b32_e32 v35, 0x7f, v34
	v_mov_b32_e32 v33, 0x7fc02000
	s_mov_b32 s21, exec_lo
	s_delay_alu instid0(VALU_DEP_2)
	v_cmpx_ne_u32_e32 0x7f, v35
	s_cbranch_execz .LBB293_356
; %bb.353:                              ;   in Loop: Header=BB293_265 Depth=1
	v_and_b32_e32 v6, 7, v34
	v_lshrrev_b32_e32 v33, 3, v35
	s_mov_b32 s22, exec_lo
	v_cmpx_gt_u32_e32 8, v35
; %bb.354:                              ;   in Loop: Header=BB293_265 Depth=1
	s_delay_alu instid0(VALU_DEP_3) | instskip(NEXT) | instid1(VALU_DEP_1)
	v_clz_i32_u32_e32 v33, v6
	v_min_u32_e32 v33, 32, v33
	s_delay_alu instid0(VALU_DEP_1) | instskip(SKIP_1) | instid1(VALU_DEP_2)
	v_subrev_nc_u32_e32 v35, 28, v33
	v_sub_nc_u32_e32 v33, 29, v33
	v_lshlrev_b64 v[35:36], v35, v[6:7]
	s_delay_alu instid0(VALU_DEP_1)
	v_and_b32_e32 v6, 7, v35
; %bb.355:                              ;   in Loop: Header=BB293_265 Depth=1
	s_or_b32 exec_lo, exec_lo, s22
	v_lshlrev_b32_e32 v34, 8, v34
	v_lshl_add_u32 v33, v33, 10, 0x2000
	s_delay_alu instid0(VALU_DEP_1) | instskip(NEXT) | instid1(VALU_DEP_1)
	v_and_or_b32 v33, 0x8000, v34, v33
	v_lshl_or_b32 v6, v6, 7, v33
	s_delay_alu instid0(VALU_DEP_1)
	v_cvt_f32_f16_e32 v33, v6
.LBB293_356:                            ;   in Loop: Header=BB293_265 Depth=1
	s_or_b32 exec_lo, exec_lo, s21
.LBB293_357:                            ;   in Loop: Header=BB293_265 Depth=1
	s_delay_alu instid0(SALU_CYCLE_1)
	s_or_b32 exec_lo, exec_lo, s20
.LBB293_358:                            ;   in Loop: Header=BB293_265 Depth=1
	s_delay_alu instid0(SALU_CYCLE_1) | instskip(SKIP_4) | instid1(VALU_DEP_3)
	s_or_b32 exec_lo, exec_lo, s15
	v_dual_mov_b32 v35, 0 :: v_dual_and_b32 v36, 0xff, v15
	v_mov_b32_e32 v6, v15
	v_mov_b32_e32 v34, 0
	s_mov_b32 s15, exec_lo
	v_cmpx_ne_u16_e32 0, v36
	s_cbranch_execz .LBB293_364
; %bb.359:                              ;   in Loop: Header=BB293_265 Depth=1
	v_bfrev_b32_e32 v34, 1
	s_mov_b32 s20, exec_lo
	v_cmpx_ne_u16_e32 0x80, v36
	s_cbranch_execz .LBB293_363
; %bb.360:                              ;   in Loop: Header=BB293_265 Depth=1
	v_and_b32_e32 v36, 0x7f, v15
	v_mov_b32_e32 v34, 0x7fc02000
	s_mov_b32 s21, exec_lo
	s_delay_alu instid0(VALU_DEP_2)
	v_cmpx_ne_u32_e32 0x7f, v36
	s_cbranch_execz .LBB293_362
; %bb.361:                              ;   in Loop: Header=BB293_265 Depth=1
	v_and_b32_e32 v34, 7, v15
	v_cmp_gt_u32_e64 s1, 8, v36
	v_lshrrev_b32_e32 v37, 3, v36
	s_delay_alu instid0(VALU_DEP_3) | instskip(NEXT) | instid1(VALU_DEP_1)
	v_clz_i32_u32_e32 v34, v34
	v_min_u32_e32 v34, 32, v34
	s_delay_alu instid0(VALU_DEP_1) | instskip(SKIP_1) | instid1(VALU_DEP_2)
	v_subrev_nc_u32_e32 v38, 28, v34
	v_sub_nc_u32_e32 v34, 29, v34
	v_cndmask_b32_e64 v36, 0, v38, s1
	s_delay_alu instid0(VALU_DEP_2) | instskip(NEXT) | instid1(VALU_DEP_2)
	v_cndmask_b32_e64 v34, v37, v34, s1
	v_lshlrev_b64 v[36:37], v36, v[6:7]
	v_lshlrev_b32_e32 v37, 8, v15
	s_delay_alu instid0(VALU_DEP_3) | instskip(NEXT) | instid1(VALU_DEP_3)
	v_lshl_add_u32 v34, v34, 10, 0x2000
	v_lshlrev_b32_e32 v36, 7, v36
	s_delay_alu instid0(VALU_DEP_2) | instskip(NEXT) | instid1(VALU_DEP_1)
	v_and_or_b32 v34, 0x8000, v37, v34
	v_and_or_b32 v34, 0x380, v36, v34
	s_delay_alu instid0(VALU_DEP_1)
	v_cvt_f32_f16_e32 v34, v34
.LBB293_362:                            ;   in Loop: Header=BB293_265 Depth=1
	s_or_b32 exec_lo, exec_lo, s21
.LBB293_363:                            ;   in Loop: Header=BB293_265 Depth=1
	s_delay_alu instid0(SALU_CYCLE_1)
	s_or_b32 exec_lo, exec_lo, s20
.LBB293_364:                            ;   in Loop: Header=BB293_265 Depth=1
	s_delay_alu instid0(SALU_CYCLE_1) | instskip(SKIP_2) | instid1(VALU_DEP_1)
	s_or_b32 exec_lo, exec_lo, s15
	v_lshrrev_b16 v6, 8, v6
	s_mov_b32 s15, exec_lo
	v_cmpx_ne_u16_e32 0, v6
	s_cbranch_execz .LBB293_372
; %bb.365:                              ;   in Loop: Header=BB293_265 Depth=1
	v_bfrev_b32_e32 v35, 1
	s_mov_b32 s20, exec_lo
	v_cmpx_ne_u16_e32 0x80, v6
	s_cbranch_execz .LBB293_371
; %bb.366:                              ;   in Loop: Header=BB293_265 Depth=1
	v_and_b32_e32 v36, 0xffff, v6
	v_mov_b32_e32 v35, 0x7fc02000
	s_mov_b32 s21, exec_lo
	s_delay_alu instid0(VALU_DEP_2) | instskip(NEXT) | instid1(VALU_DEP_1)
	v_and_b32_e32 v37, 0x7f, v36
	v_cmpx_ne_u32_e32 0x7f, v37
	s_cbranch_execz .LBB293_370
; %bb.367:                              ;   in Loop: Header=BB293_265 Depth=1
	v_and_b32_e32 v6, 7, v36
	v_lshrrev_b32_e32 v35, 3, v37
	s_mov_b32 s22, exec_lo
	v_cmpx_gt_u32_e32 8, v37
; %bb.368:                              ;   in Loop: Header=BB293_265 Depth=1
	s_delay_alu instid0(VALU_DEP_3) | instskip(NEXT) | instid1(VALU_DEP_1)
	v_clz_i32_u32_e32 v35, v6
	v_min_u32_e32 v35, 32, v35
	s_delay_alu instid0(VALU_DEP_1) | instskip(SKIP_1) | instid1(VALU_DEP_2)
	v_subrev_nc_u32_e32 v37, 28, v35
	v_sub_nc_u32_e32 v35, 29, v35
	v_lshlrev_b64 v[37:38], v37, v[6:7]
	s_delay_alu instid0(VALU_DEP_1)
	v_and_b32_e32 v6, 7, v37
; %bb.369:                              ;   in Loop: Header=BB293_265 Depth=1
	s_or_b32 exec_lo, exec_lo, s22
	v_lshlrev_b32_e32 v36, 8, v36
	v_lshl_add_u32 v35, v35, 10, 0x2000
	s_delay_alu instid0(VALU_DEP_1) | instskip(NEXT) | instid1(VALU_DEP_1)
	v_and_or_b32 v35, 0x8000, v36, v35
	v_lshl_or_b32 v6, v6, 7, v35
	s_delay_alu instid0(VALU_DEP_1)
	v_cvt_f32_f16_e32 v35, v6
.LBB293_370:                            ;   in Loop: Header=BB293_265 Depth=1
	s_or_b32 exec_lo, exec_lo, s21
.LBB293_371:                            ;   in Loop: Header=BB293_265 Depth=1
	s_delay_alu instid0(SALU_CYCLE_1)
	s_or_b32 exec_lo, exec_lo, s20
.LBB293_372:                            ;   in Loop: Header=BB293_265 Depth=1
	s_delay_alu instid0(SALU_CYCLE_1) | instskip(SKIP_3) | instid1(VALU_DEP_2)
	s_or_b32 exec_lo, exec_lo, s15
	v_lshrrev_b32_e32 v38, 16, v15
	v_mov_b32_e32 v36, 0
	s_mov_b32 s15, exec_lo
	v_dual_mov_b32 v37, 0 :: v_dual_and_b32 v6, 0xff, v38
	s_delay_alu instid0(VALU_DEP_1)
	v_cmpx_ne_u16_e32 0, v6
	s_cbranch_execz .LBB293_380
; %bb.373:                              ;   in Loop: Header=BB293_265 Depth=1
	v_bfrev_b32_e32 v36, 1
	s_mov_b32 s20, exec_lo
	v_cmpx_ne_u16_e32 0x80, v6
	s_cbranch_execz .LBB293_379
; %bb.374:                              ;   in Loop: Header=BB293_265 Depth=1
	v_bfe_u32 v39, v15, 16, 7
	v_mov_b32_e32 v36, 0x7fc02000
	s_mov_b32 s21, exec_lo
	s_delay_alu instid0(VALU_DEP_2)
	v_cmpx_ne_u32_e32 0x7f, v39
	s_cbranch_execz .LBB293_378
; %bb.375:                              ;   in Loop: Header=BB293_265 Depth=1
	v_and_b32_e32 v6, 7, v38
	v_lshrrev_b32_e32 v36, 3, v39
	s_mov_b32 s22, exec_lo
	v_cmpx_gt_u32_e32 8, v39
; %bb.376:                              ;   in Loop: Header=BB293_265 Depth=1
	s_delay_alu instid0(VALU_DEP_3) | instskip(NEXT) | instid1(VALU_DEP_1)
	v_clz_i32_u32_e32 v36, v6
	v_min_u32_e32 v36, 32, v36
	s_delay_alu instid0(VALU_DEP_1) | instskip(SKIP_1) | instid1(VALU_DEP_2)
	v_subrev_nc_u32_e32 v39, 28, v36
	v_sub_nc_u32_e32 v36, 29, v36
	v_lshlrev_b64 v[39:40], v39, v[6:7]
	s_delay_alu instid0(VALU_DEP_1)
	v_and_b32_e32 v6, 7, v39
; %bb.377:                              ;   in Loop: Header=BB293_265 Depth=1
	s_or_b32 exec_lo, exec_lo, s22
	v_lshlrev_b32_e32 v38, 8, v38
	v_lshl_add_u32 v36, v36, 10, 0x2000
	s_delay_alu instid0(VALU_DEP_1) | instskip(NEXT) | instid1(VALU_DEP_1)
	v_and_or_b32 v36, 0x8000, v38, v36
	v_lshl_or_b32 v6, v6, 7, v36
	s_delay_alu instid0(VALU_DEP_1)
	v_cvt_f32_f16_e32 v36, v6
.LBB293_378:                            ;   in Loop: Header=BB293_265 Depth=1
	s_or_b32 exec_lo, exec_lo, s21
.LBB293_379:                            ;   in Loop: Header=BB293_265 Depth=1
	s_delay_alu instid0(SALU_CYCLE_1)
	s_or_b32 exec_lo, exec_lo, s20
.LBB293_380:                            ;   in Loop: Header=BB293_265 Depth=1
	s_delay_alu instid0(SALU_CYCLE_1) | instskip(NEXT) | instid1(SALU_CYCLE_1)
	s_or_b32 exec_lo, exec_lo, s15
	s_mov_b32 s15, exec_lo
	v_cmpx_lt_u64_e64 s[10:11], v[14:15]
	s_cbranch_execz .LBB293_388
; %bb.381:                              ;   in Loop: Header=BB293_265 Depth=1
	v_lshrrev_b32_e32 v14, 24, v15
	v_bfrev_b32_e32 v37, 1
	s_mov_b32 s20, exec_lo
	s_delay_alu instid0(VALU_DEP_2)
	v_cmpx_ne_u32_e32 0x80, v14
	s_cbranch_execz .LBB293_387
; %bb.382:                              ;   in Loop: Header=BB293_265 Depth=1
	v_and_b32_e32 v38, 0x7f, v14
	v_mov_b32_e32 v37, 0x7fc02000
	s_mov_b32 s21, exec_lo
	s_delay_alu instid0(VALU_DEP_2)
	v_cmpx_ne_u32_e32 0x7f, v38
	s_cbranch_execz .LBB293_386
; %bb.383:                              ;   in Loop: Header=BB293_265 Depth=1
	v_and_b32_e32 v6, 7, v14
	v_lshrrev_b32_e32 v15, 3, v38
	s_mov_b32 s22, exec_lo
	v_cmpx_gt_u32_e32 8, v38
; %bb.384:                              ;   in Loop: Header=BB293_265 Depth=1
	s_delay_alu instid0(VALU_DEP_3) | instskip(NEXT) | instid1(VALU_DEP_1)
	v_clz_i32_u32_e32 v15, v6
	v_min_u32_e32 v15, 32, v15
	s_delay_alu instid0(VALU_DEP_1) | instskip(SKIP_1) | instid1(VALU_DEP_2)
	v_subrev_nc_u32_e32 v37, 28, v15
	v_sub_nc_u32_e32 v15, 29, v15
	v_lshlrev_b64 v[37:38], v37, v[6:7]
	s_delay_alu instid0(VALU_DEP_1)
	v_and_b32_e32 v6, 7, v37
; %bb.385:                              ;   in Loop: Header=BB293_265 Depth=1
	s_or_b32 exec_lo, exec_lo, s22
	v_lshlrev_b32_e32 v14, 8, v14
	v_lshl_add_u32 v15, v15, 10, 0x2000
	s_delay_alu instid0(VALU_DEP_1) | instskip(NEXT) | instid1(VALU_DEP_1)
	v_and_or_b32 v14, 0x8000, v14, v15
	v_lshl_or_b32 v6, v6, 7, v14
	s_delay_alu instid0(VALU_DEP_1)
	v_cvt_f32_f16_e32 v37, v6
.LBB293_386:                            ;   in Loop: Header=BB293_265 Depth=1
	s_or_b32 exec_lo, exec_lo, s21
.LBB293_387:                            ;   in Loop: Header=BB293_265 Depth=1
	s_delay_alu instid0(SALU_CYCLE_1)
	s_or_b32 exec_lo, exec_lo, s20
.LBB293_388:                            ;   in Loop: Header=BB293_265 Depth=1
	s_delay_alu instid0(SALU_CYCLE_1)
	s_or_b32 exec_lo, exec_lo, s15
	s_waitcnt vmcnt(0)
	v_fma_mixlo_f16 v15, v29, v31, 0
	v_fma_mixlo_f16 v6, v29, v33, 0
	;; [unrolled: 1-line block ×5, first 2 shown]
	v_lshlrev_b32_e32 v31, 16, v15
	v_fma_mixlo_f16 v33, v29, v34, 0
	v_fma_mixlo_f16 v34, v29, v37, 0
	;; [unrolled: 1-line block ×3, first 2 shown]
	v_lshlrev_b32_e32 v6, 16, v6
	v_and_b32_e32 v14, 0xffff, v14
	v_and_b32_e32 v30, 0xffff, v30
	v_lshlrev_b32_e32 v32, 16, v32
	v_and_b32_e32 v33, 0xffff, v33
	v_lshlrev_b32_e32 v34, 16, v34
	v_and_b32_e32 v35, 0xffff, v15
	v_or_b32_e32 v29, v6, v14
	v_or_b32_e32 v30, v31, v30
	;; [unrolled: 1-line block ×3, first 2 shown]
	s_delay_alu instid0(VALU_DEP_4)
	v_or_b32_e32 v14, v34, v35
	s_and_saveexec_b32 s15, s0
	s_cbranch_execz .LBB293_390
; %bb.389:                              ;   in Loop: Header=BB293_265 Depth=1
	v_add_nc_u32_e32 v31, 1, v17
	v_lshrrev_b32_e32 v32, 16, v30
	v_or_b32_e32 v33, 3, v17
	v_lshrrev_b32_e32 v34, 16, v29
	v_lshrrev_b32_e32 v35, 16, v6
	v_cmp_gt_i32_e64 s1, s13, v31
	v_lshrrev_b32_e32 v14, 16, v14
	v_or_b32_e32 v36, 6, v17
	s_delay_alu instid0(VALU_DEP_3) | instskip(SKIP_2) | instid1(VALU_DEP_2)
	v_cndmask_b32_e64 v31, 0, v32, s1
	v_cmp_gt_i32_e64 s1, s33, v17
	v_or_b32_e32 v32, 2, v17
	v_cndmask_b32_e64 v30, 0, v30, s1
	v_cmp_gt_i32_e64 s1, s13, v33
	s_delay_alu instid0(VALU_DEP_2) | instskip(NEXT) | instid1(VALU_DEP_2)
	v_perm_b32 v30, v31, v30, 0x5040100
	v_cndmask_b32_e64 v33, 0, v34, s1
	v_or_b32_e32 v34, 5, v17
	v_cmp_gt_i32_e64 s1, s33, v32
	v_or_b32_e32 v32, 4, v17
	s_delay_alu instid0(VALU_DEP_2) | instskip(NEXT) | instid1(VALU_DEP_4)
	v_cndmask_b32_e64 v29, 0, v29, s1
	v_cmp_gt_i32_e64 s1, s13, v34
	s_delay_alu instid0(VALU_DEP_2) | instskip(NEXT) | instid1(VALU_DEP_2)
	v_perm_b32 v29, v33, v29, 0x5040100
	v_cndmask_b32_e64 v34, 0, v35, s1
	v_or_b32_e32 v35, 7, v17
	v_cmp_gt_i32_e64 s1, s33, v32
	s_delay_alu instid0(VALU_DEP_1) | instskip(NEXT) | instid1(VALU_DEP_3)
	v_cndmask_b32_e64 v6, 0, v6, s1
	v_cmp_gt_i32_e64 s1, s13, v35
	s_delay_alu instid0(VALU_DEP_2) | instskip(NEXT) | instid1(VALU_DEP_2)
	v_perm_b32 v6, v34, v6, 0x5040100
	v_cndmask_b32_e64 v14, 0, v14, s1
	v_cmp_gt_i32_e64 s1, s33, v36
	s_delay_alu instid0(VALU_DEP_1) | instskip(NEXT) | instid1(VALU_DEP_1)
	v_cndmask_b32_e64 v15, 0, v15, s1
	v_perm_b32 v14, v14, v15, 0x5040100
.LBB293_390:                            ;   in Loop: Header=BB293_265 Depth=1
	s_or_b32 exec_lo, exec_lo, s15
	;;#ASMSTART
	v_pk_mul_f16 v15, v26, v30;

	;;#ASMEND
	;;#ASMSTART
	v_pk_mul_f16 v29, v25, v29;

	;;#ASMEND
	;; [unrolled: 4-line block ×4, first 2 shown]
	;;#ASMSTART
	v_pk_add_f16 v15, v15, v29;

	;;#ASMEND
	;;#ASMSTART
	v_pk_add_f16 v6, v15, v6;

	;;#ASMEND
	;; [unrolled: 4-line block ×3, first 2 shown]
	v_dual_mov_b32 v31, 0 :: v_dual_and_b32 v14, 0xffff, v6
	v_lshrrev_b32_e32 v6, 16, v6
	;;#ASMSTART
	v_cvt_f32_f16 v14, v14;
	;;#ASMEND
	;;#ASMSTART
	v_cvt_f32_f16 v15, v6;
	;;#ASMEND
	global_load_b64 v[12:13], v[12:13], off offset:512
	global_load_b32 v29, v7, s[6:7]
	v_mov_b32_e32 v30, 0
	s_mov_b32 s15, exec_lo
	s_waitcnt vmcnt(1)
	v_and_b32_e32 v6, 0xff, v12
	s_delay_alu instid0(VALU_DEP_1)
	v_cmpx_ne_u16_e32 0, v6
	s_cbranch_execz .LBB293_396
; %bb.391:                              ;   in Loop: Header=BB293_265 Depth=1
	v_bfrev_b32_e32 v30, 1
	s_mov_b32 s20, exec_lo
	v_cmpx_ne_u16_e32 0x80, v6
	s_cbranch_execz .LBB293_395
; %bb.392:                              ;   in Loop: Header=BB293_265 Depth=1
	v_and_b32_e32 v6, 0x7f, v12
	v_mov_b32_e32 v30, 0x7fc02000
	s_mov_b32 s21, exec_lo
	s_delay_alu instid0(VALU_DEP_2)
	v_cmpx_ne_u32_e32 0x7f, v6
	s_cbranch_execz .LBB293_394
; %bb.393:                              ;   in Loop: Header=BB293_265 Depth=1
	v_and_b32_e32 v30, 7, v12
	v_cmp_gt_u32_e64 s1, 8, v6
	v_lshrrev_b32_e32 v32, 3, v6
	s_delay_alu instid0(VALU_DEP_3) | instskip(NEXT) | instid1(VALU_DEP_1)
	v_clz_i32_u32_e32 v30, v30
	v_min_u32_e32 v30, 32, v30
	s_delay_alu instid0(VALU_DEP_1) | instskip(SKIP_1) | instid1(VALU_DEP_2)
	v_subrev_nc_u32_e32 v33, 28, v30
	v_sub_nc_u32_e32 v30, 29, v30
	v_cndmask_b32_e64 v6, 0, v33, s1
	s_delay_alu instid0(VALU_DEP_2) | instskip(NEXT) | instid1(VALU_DEP_2)
	v_cndmask_b32_e64 v30, v32, v30, s1
	v_lshlrev_b64 v[32:33], v6, v[12:13]
	v_lshlrev_b32_e32 v6, 8, v12
	s_delay_alu instid0(VALU_DEP_3) | instskip(NEXT) | instid1(VALU_DEP_3)
	v_lshl_add_u32 v30, v30, 10, 0x2000
	v_lshlrev_b32_e32 v32, 7, v32
	s_delay_alu instid0(VALU_DEP_2) | instskip(NEXT) | instid1(VALU_DEP_1)
	v_and_or_b32 v6, 0x8000, v6, v30
	v_and_or_b32 v6, 0x380, v32, v6
	s_delay_alu instid0(VALU_DEP_1)
	v_cvt_f32_f16_e32 v30, v6
.LBB293_394:                            ;   in Loop: Header=BB293_265 Depth=1
	s_or_b32 exec_lo, exec_lo, s21
.LBB293_395:                            ;   in Loop: Header=BB293_265 Depth=1
	s_delay_alu instid0(SALU_CYCLE_1)
	s_or_b32 exec_lo, exec_lo, s20
.LBB293_396:                            ;   in Loop: Header=BB293_265 Depth=1
	s_delay_alu instid0(SALU_CYCLE_1) | instskip(SKIP_2) | instid1(VALU_DEP_1)
	s_or_b32 exec_lo, exec_lo, s15
	v_lshrrev_b16 v6, 8, v12
	s_mov_b32 s15, exec_lo
	v_cmpx_ne_u16_e32 0, v6
	s_cbranch_execz .LBB293_404
; %bb.397:                              ;   in Loop: Header=BB293_265 Depth=1
	v_bfrev_b32_e32 v31, 1
	s_mov_b32 s20, exec_lo
	v_cmpx_ne_u16_e32 0x80, v6
	s_cbranch_execz .LBB293_403
; %bb.398:                              ;   in Loop: Header=BB293_265 Depth=1
	v_and_b32_e32 v32, 0xffff, v6
	v_mov_b32_e32 v31, 0x7fc02000
	s_mov_b32 s21, exec_lo
	s_delay_alu instid0(VALU_DEP_2) | instskip(NEXT) | instid1(VALU_DEP_1)
	v_and_b32_e32 v33, 0x7f, v32
	v_cmpx_ne_u32_e32 0x7f, v33
	s_cbranch_execz .LBB293_402
; %bb.399:                              ;   in Loop: Header=BB293_265 Depth=1
	v_and_b32_e32 v6, 7, v32
	v_lshrrev_b32_e32 v31, 3, v33
	s_mov_b32 s22, exec_lo
	v_cmpx_gt_u32_e32 8, v33
; %bb.400:                              ;   in Loop: Header=BB293_265 Depth=1
	s_delay_alu instid0(VALU_DEP_3) | instskip(NEXT) | instid1(VALU_DEP_1)
	v_clz_i32_u32_e32 v31, v6
	v_min_u32_e32 v31, 32, v31
	s_delay_alu instid0(VALU_DEP_1) | instskip(SKIP_1) | instid1(VALU_DEP_2)
	v_subrev_nc_u32_e32 v33, 28, v31
	v_sub_nc_u32_e32 v31, 29, v31
	v_lshlrev_b64 v[33:34], v33, v[6:7]
	s_delay_alu instid0(VALU_DEP_1)
	v_and_b32_e32 v6, 7, v33
; %bb.401:                              ;   in Loop: Header=BB293_265 Depth=1
	s_or_b32 exec_lo, exec_lo, s22
	v_lshlrev_b32_e32 v32, 8, v32
	v_lshl_add_u32 v31, v31, 10, 0x2000
	s_delay_alu instid0(VALU_DEP_1) | instskip(NEXT) | instid1(VALU_DEP_1)
	v_and_or_b32 v31, 0x8000, v32, v31
	v_lshl_or_b32 v6, v6, 7, v31
	s_delay_alu instid0(VALU_DEP_1)
	v_cvt_f32_f16_e32 v31, v6
.LBB293_402:                            ;   in Loop: Header=BB293_265 Depth=1
	s_or_b32 exec_lo, exec_lo, s21
.LBB293_403:                            ;   in Loop: Header=BB293_265 Depth=1
	s_delay_alu instid0(SALU_CYCLE_1)
	s_or_b32 exec_lo, exec_lo, s20
.LBB293_404:                            ;   in Loop: Header=BB293_265 Depth=1
	s_delay_alu instid0(SALU_CYCLE_1) | instskip(SKIP_3) | instid1(VALU_DEP_2)
	s_or_b32 exec_lo, exec_lo, s15
	v_lshrrev_b32_e32 v34, 16, v12
	v_mov_b32_e32 v32, 0
	s_mov_b32 s15, exec_lo
	v_dual_mov_b32 v33, 0 :: v_dual_and_b32 v6, 0xff, v34
	s_delay_alu instid0(VALU_DEP_1)
	v_cmpx_ne_u16_e32 0, v6
	s_cbranch_execz .LBB293_412
; %bb.405:                              ;   in Loop: Header=BB293_265 Depth=1
	v_bfrev_b32_e32 v32, 1
	s_mov_b32 s20, exec_lo
	v_cmpx_ne_u16_e32 0x80, v6
	s_cbranch_execz .LBB293_411
; %bb.406:                              ;   in Loop: Header=BB293_265 Depth=1
	v_bfe_u32 v35, v12, 16, 7
	v_mov_b32_e32 v32, 0x7fc02000
	s_mov_b32 s21, exec_lo
	s_delay_alu instid0(VALU_DEP_2)
	v_cmpx_ne_u32_e32 0x7f, v35
	s_cbranch_execz .LBB293_410
; %bb.407:                              ;   in Loop: Header=BB293_265 Depth=1
	v_and_b32_e32 v6, 7, v34
	v_lshrrev_b32_e32 v32, 3, v35
	s_mov_b32 s22, exec_lo
	v_cmpx_gt_u32_e32 8, v35
; %bb.408:                              ;   in Loop: Header=BB293_265 Depth=1
	s_delay_alu instid0(VALU_DEP_3) | instskip(NEXT) | instid1(VALU_DEP_1)
	v_clz_i32_u32_e32 v32, v6
	v_min_u32_e32 v32, 32, v32
	s_delay_alu instid0(VALU_DEP_1) | instskip(SKIP_1) | instid1(VALU_DEP_2)
	v_subrev_nc_u32_e32 v35, 28, v32
	v_sub_nc_u32_e32 v32, 29, v32
	v_lshlrev_b64 v[35:36], v35, v[6:7]
	s_delay_alu instid0(VALU_DEP_1)
	v_and_b32_e32 v6, 7, v35
; %bb.409:                              ;   in Loop: Header=BB293_265 Depth=1
	s_or_b32 exec_lo, exec_lo, s22
	v_lshlrev_b32_e32 v34, 8, v34
	v_lshl_add_u32 v32, v32, 10, 0x2000
	s_delay_alu instid0(VALU_DEP_1) | instskip(NEXT) | instid1(VALU_DEP_1)
	v_and_or_b32 v32, 0x8000, v34, v32
	v_lshl_or_b32 v6, v6, 7, v32
	s_delay_alu instid0(VALU_DEP_1)
	v_cvt_f32_f16_e32 v32, v6
.LBB293_410:                            ;   in Loop: Header=BB293_265 Depth=1
	s_or_b32 exec_lo, exec_lo, s21
.LBB293_411:                            ;   in Loop: Header=BB293_265 Depth=1
	s_delay_alu instid0(SALU_CYCLE_1)
	s_or_b32 exec_lo, exec_lo, s20
.LBB293_412:                            ;   in Loop: Header=BB293_265 Depth=1
	s_delay_alu instid0(SALU_CYCLE_1) | instskip(NEXT) | instid1(SALU_CYCLE_1)
	s_or_b32 exec_lo, exec_lo, s15
	s_mov_b32 s15, exec_lo
	v_cmpx_lt_u32_e32 0xffffff, v12
	s_cbranch_execz .LBB293_420
; %bb.413:                              ;   in Loop: Header=BB293_265 Depth=1
	v_lshrrev_b32_e32 v34, 24, v12
	v_bfrev_b32_e32 v33, 1
	s_mov_b32 s20, exec_lo
	s_delay_alu instid0(VALU_DEP_2)
	v_cmpx_ne_u32_e32 0x80, v34
	s_cbranch_execz .LBB293_419
; %bb.414:                              ;   in Loop: Header=BB293_265 Depth=1
	v_and_b32_e32 v35, 0x7f, v34
	v_mov_b32_e32 v33, 0x7fc02000
	s_mov_b32 s21, exec_lo
	s_delay_alu instid0(VALU_DEP_2)
	v_cmpx_ne_u32_e32 0x7f, v35
	s_cbranch_execz .LBB293_418
; %bb.415:                              ;   in Loop: Header=BB293_265 Depth=1
	v_and_b32_e32 v6, 7, v34
	v_lshrrev_b32_e32 v33, 3, v35
	s_mov_b32 s22, exec_lo
	v_cmpx_gt_u32_e32 8, v35
; %bb.416:                              ;   in Loop: Header=BB293_265 Depth=1
	s_delay_alu instid0(VALU_DEP_3) | instskip(NEXT) | instid1(VALU_DEP_1)
	v_clz_i32_u32_e32 v33, v6
	v_min_u32_e32 v33, 32, v33
	s_delay_alu instid0(VALU_DEP_1) | instskip(SKIP_1) | instid1(VALU_DEP_2)
	v_subrev_nc_u32_e32 v35, 28, v33
	v_sub_nc_u32_e32 v33, 29, v33
	v_lshlrev_b64 v[35:36], v35, v[6:7]
	s_delay_alu instid0(VALU_DEP_1)
	v_and_b32_e32 v6, 7, v35
; %bb.417:                              ;   in Loop: Header=BB293_265 Depth=1
	s_or_b32 exec_lo, exec_lo, s22
	v_lshlrev_b32_e32 v34, 8, v34
	v_lshl_add_u32 v33, v33, 10, 0x2000
	s_delay_alu instid0(VALU_DEP_1) | instskip(NEXT) | instid1(VALU_DEP_1)
	v_and_or_b32 v33, 0x8000, v34, v33
	v_lshl_or_b32 v6, v6, 7, v33
	s_delay_alu instid0(VALU_DEP_1)
	v_cvt_f32_f16_e32 v33, v6
.LBB293_418:                            ;   in Loop: Header=BB293_265 Depth=1
	s_or_b32 exec_lo, exec_lo, s21
.LBB293_419:                            ;   in Loop: Header=BB293_265 Depth=1
	s_delay_alu instid0(SALU_CYCLE_1)
	s_or_b32 exec_lo, exec_lo, s20
.LBB293_420:                            ;   in Loop: Header=BB293_265 Depth=1
	s_delay_alu instid0(SALU_CYCLE_1) | instskip(SKIP_4) | instid1(VALU_DEP_3)
	s_or_b32 exec_lo, exec_lo, s15
	v_dual_mov_b32 v35, 0 :: v_dual_and_b32 v36, 0xff, v13
	v_mov_b32_e32 v6, v13
	v_mov_b32_e32 v34, 0
	s_mov_b32 s15, exec_lo
	v_cmpx_ne_u16_e32 0, v36
	s_cbranch_execz .LBB293_426
; %bb.421:                              ;   in Loop: Header=BB293_265 Depth=1
	v_bfrev_b32_e32 v34, 1
	s_mov_b32 s20, exec_lo
	v_cmpx_ne_u16_e32 0x80, v36
	s_cbranch_execz .LBB293_425
; %bb.422:                              ;   in Loop: Header=BB293_265 Depth=1
	v_and_b32_e32 v36, 0x7f, v13
	v_mov_b32_e32 v34, 0x7fc02000
	s_mov_b32 s21, exec_lo
	s_delay_alu instid0(VALU_DEP_2)
	v_cmpx_ne_u32_e32 0x7f, v36
	s_cbranch_execz .LBB293_424
; %bb.423:                              ;   in Loop: Header=BB293_265 Depth=1
	v_and_b32_e32 v34, 7, v13
	v_cmp_gt_u32_e64 s1, 8, v36
	v_lshrrev_b32_e32 v37, 3, v36
	s_delay_alu instid0(VALU_DEP_3) | instskip(NEXT) | instid1(VALU_DEP_1)
	v_clz_i32_u32_e32 v34, v34
	v_min_u32_e32 v34, 32, v34
	s_delay_alu instid0(VALU_DEP_1) | instskip(SKIP_1) | instid1(VALU_DEP_2)
	v_subrev_nc_u32_e32 v38, 28, v34
	v_sub_nc_u32_e32 v34, 29, v34
	v_cndmask_b32_e64 v36, 0, v38, s1
	s_delay_alu instid0(VALU_DEP_2) | instskip(NEXT) | instid1(VALU_DEP_2)
	v_cndmask_b32_e64 v34, v37, v34, s1
	v_lshlrev_b64 v[36:37], v36, v[6:7]
	v_lshlrev_b32_e32 v37, 8, v13
	s_delay_alu instid0(VALU_DEP_3) | instskip(NEXT) | instid1(VALU_DEP_3)
	v_lshl_add_u32 v34, v34, 10, 0x2000
	v_lshlrev_b32_e32 v36, 7, v36
	s_delay_alu instid0(VALU_DEP_2) | instskip(NEXT) | instid1(VALU_DEP_1)
	v_and_or_b32 v34, 0x8000, v37, v34
	v_and_or_b32 v34, 0x380, v36, v34
	s_delay_alu instid0(VALU_DEP_1)
	v_cvt_f32_f16_e32 v34, v34
.LBB293_424:                            ;   in Loop: Header=BB293_265 Depth=1
	s_or_b32 exec_lo, exec_lo, s21
.LBB293_425:                            ;   in Loop: Header=BB293_265 Depth=1
	s_delay_alu instid0(SALU_CYCLE_1)
	s_or_b32 exec_lo, exec_lo, s20
.LBB293_426:                            ;   in Loop: Header=BB293_265 Depth=1
	s_delay_alu instid0(SALU_CYCLE_1) | instskip(SKIP_2) | instid1(VALU_DEP_1)
	s_or_b32 exec_lo, exec_lo, s15
	v_lshrrev_b16 v6, 8, v6
	s_mov_b32 s15, exec_lo
	v_cmpx_ne_u16_e32 0, v6
	s_cbranch_execz .LBB293_434
; %bb.427:                              ;   in Loop: Header=BB293_265 Depth=1
	v_bfrev_b32_e32 v35, 1
	s_mov_b32 s20, exec_lo
	v_cmpx_ne_u16_e32 0x80, v6
	s_cbranch_execz .LBB293_433
; %bb.428:                              ;   in Loop: Header=BB293_265 Depth=1
	v_and_b32_e32 v36, 0xffff, v6
	v_mov_b32_e32 v35, 0x7fc02000
	s_mov_b32 s21, exec_lo
	s_delay_alu instid0(VALU_DEP_2) | instskip(NEXT) | instid1(VALU_DEP_1)
	v_and_b32_e32 v37, 0x7f, v36
	v_cmpx_ne_u32_e32 0x7f, v37
	s_cbranch_execz .LBB293_432
; %bb.429:                              ;   in Loop: Header=BB293_265 Depth=1
	v_and_b32_e32 v6, 7, v36
	v_lshrrev_b32_e32 v35, 3, v37
	s_mov_b32 s22, exec_lo
	v_cmpx_gt_u32_e32 8, v37
; %bb.430:                              ;   in Loop: Header=BB293_265 Depth=1
	s_delay_alu instid0(VALU_DEP_3) | instskip(NEXT) | instid1(VALU_DEP_1)
	v_clz_i32_u32_e32 v35, v6
	v_min_u32_e32 v35, 32, v35
	s_delay_alu instid0(VALU_DEP_1) | instskip(SKIP_1) | instid1(VALU_DEP_2)
	v_subrev_nc_u32_e32 v37, 28, v35
	v_sub_nc_u32_e32 v35, 29, v35
	v_lshlrev_b64 v[37:38], v37, v[6:7]
	s_delay_alu instid0(VALU_DEP_1)
	v_and_b32_e32 v6, 7, v37
; %bb.431:                              ;   in Loop: Header=BB293_265 Depth=1
	s_or_b32 exec_lo, exec_lo, s22
	v_lshlrev_b32_e32 v36, 8, v36
	v_lshl_add_u32 v35, v35, 10, 0x2000
	s_delay_alu instid0(VALU_DEP_1) | instskip(NEXT) | instid1(VALU_DEP_1)
	v_and_or_b32 v35, 0x8000, v36, v35
	v_lshl_or_b32 v6, v6, 7, v35
	s_delay_alu instid0(VALU_DEP_1)
	v_cvt_f32_f16_e32 v35, v6
.LBB293_432:                            ;   in Loop: Header=BB293_265 Depth=1
	s_or_b32 exec_lo, exec_lo, s21
.LBB293_433:                            ;   in Loop: Header=BB293_265 Depth=1
	s_delay_alu instid0(SALU_CYCLE_1)
	s_or_b32 exec_lo, exec_lo, s20
.LBB293_434:                            ;   in Loop: Header=BB293_265 Depth=1
	s_delay_alu instid0(SALU_CYCLE_1) | instskip(SKIP_3) | instid1(VALU_DEP_2)
	s_or_b32 exec_lo, exec_lo, s15
	v_lshrrev_b32_e32 v38, 16, v13
	v_mov_b32_e32 v36, 0
	s_mov_b32 s15, exec_lo
	v_dual_mov_b32 v37, 0 :: v_dual_and_b32 v6, 0xff, v38
	s_delay_alu instid0(VALU_DEP_1)
	v_cmpx_ne_u16_e32 0, v6
	s_cbranch_execz .LBB293_442
; %bb.435:                              ;   in Loop: Header=BB293_265 Depth=1
	v_bfrev_b32_e32 v36, 1
	s_mov_b32 s20, exec_lo
	v_cmpx_ne_u16_e32 0x80, v6
	s_cbranch_execz .LBB293_441
; %bb.436:                              ;   in Loop: Header=BB293_265 Depth=1
	v_bfe_u32 v39, v13, 16, 7
	v_mov_b32_e32 v36, 0x7fc02000
	s_mov_b32 s21, exec_lo
	s_delay_alu instid0(VALU_DEP_2)
	v_cmpx_ne_u32_e32 0x7f, v39
	s_cbranch_execz .LBB293_440
; %bb.437:                              ;   in Loop: Header=BB293_265 Depth=1
	v_and_b32_e32 v6, 7, v38
	v_lshrrev_b32_e32 v36, 3, v39
	s_mov_b32 s22, exec_lo
	v_cmpx_gt_u32_e32 8, v39
; %bb.438:                              ;   in Loop: Header=BB293_265 Depth=1
	s_delay_alu instid0(VALU_DEP_3) | instskip(NEXT) | instid1(VALU_DEP_1)
	v_clz_i32_u32_e32 v36, v6
	v_min_u32_e32 v36, 32, v36
	s_delay_alu instid0(VALU_DEP_1) | instskip(SKIP_1) | instid1(VALU_DEP_2)
	v_subrev_nc_u32_e32 v39, 28, v36
	v_sub_nc_u32_e32 v36, 29, v36
	v_lshlrev_b64 v[39:40], v39, v[6:7]
	s_delay_alu instid0(VALU_DEP_1)
	v_and_b32_e32 v6, 7, v39
; %bb.439:                              ;   in Loop: Header=BB293_265 Depth=1
	s_or_b32 exec_lo, exec_lo, s22
	v_lshlrev_b32_e32 v38, 8, v38
	v_lshl_add_u32 v36, v36, 10, 0x2000
	s_delay_alu instid0(VALU_DEP_1) | instskip(NEXT) | instid1(VALU_DEP_1)
	v_and_or_b32 v36, 0x8000, v38, v36
	v_lshl_or_b32 v6, v6, 7, v36
	s_delay_alu instid0(VALU_DEP_1)
	v_cvt_f32_f16_e32 v36, v6
.LBB293_440:                            ;   in Loop: Header=BB293_265 Depth=1
	s_or_b32 exec_lo, exec_lo, s21
.LBB293_441:                            ;   in Loop: Header=BB293_265 Depth=1
	s_delay_alu instid0(SALU_CYCLE_1)
	s_or_b32 exec_lo, exec_lo, s20
.LBB293_442:                            ;   in Loop: Header=BB293_265 Depth=1
	s_delay_alu instid0(SALU_CYCLE_1) | instskip(NEXT) | instid1(SALU_CYCLE_1)
	s_or_b32 exec_lo, exec_lo, s15
	s_mov_b32 s15, exec_lo
	v_cmpx_lt_u64_e64 s[10:11], v[12:13]
	s_cbranch_execz .LBB293_450
; %bb.443:                              ;   in Loop: Header=BB293_265 Depth=1
	v_lshrrev_b32_e32 v12, 24, v13
	v_bfrev_b32_e32 v37, 1
	s_mov_b32 s20, exec_lo
	s_delay_alu instid0(VALU_DEP_2)
	v_cmpx_ne_u32_e32 0x80, v12
	s_cbranch_execz .LBB293_449
; %bb.444:                              ;   in Loop: Header=BB293_265 Depth=1
	v_and_b32_e32 v38, 0x7f, v12
	v_mov_b32_e32 v37, 0x7fc02000
	s_mov_b32 s21, exec_lo
	s_delay_alu instid0(VALU_DEP_2)
	v_cmpx_ne_u32_e32 0x7f, v38
	s_cbranch_execz .LBB293_448
; %bb.445:                              ;   in Loop: Header=BB293_265 Depth=1
	v_and_b32_e32 v6, 7, v12
	v_lshrrev_b32_e32 v13, 3, v38
	s_mov_b32 s22, exec_lo
	v_cmpx_gt_u32_e32 8, v38
; %bb.446:                              ;   in Loop: Header=BB293_265 Depth=1
	s_delay_alu instid0(VALU_DEP_3) | instskip(NEXT) | instid1(VALU_DEP_1)
	v_clz_i32_u32_e32 v13, v6
	v_min_u32_e32 v13, 32, v13
	s_delay_alu instid0(VALU_DEP_1) | instskip(SKIP_1) | instid1(VALU_DEP_2)
	v_subrev_nc_u32_e32 v37, 28, v13
	v_sub_nc_u32_e32 v13, 29, v13
	v_lshlrev_b64 v[37:38], v37, v[6:7]
	s_delay_alu instid0(VALU_DEP_1)
	v_and_b32_e32 v6, 7, v37
; %bb.447:                              ;   in Loop: Header=BB293_265 Depth=1
	s_or_b32 exec_lo, exec_lo, s22
	v_lshlrev_b32_e32 v12, 8, v12
	v_lshl_add_u32 v13, v13, 10, 0x2000
	s_delay_alu instid0(VALU_DEP_1) | instskip(NEXT) | instid1(VALU_DEP_1)
	v_and_or_b32 v12, 0x8000, v12, v13
	v_lshl_or_b32 v6, v6, 7, v12
	s_delay_alu instid0(VALU_DEP_1)
	v_cvt_f32_f16_e32 v37, v6
.LBB293_448:                            ;   in Loop: Header=BB293_265 Depth=1
	s_or_b32 exec_lo, exec_lo, s21
.LBB293_449:                            ;   in Loop: Header=BB293_265 Depth=1
	s_delay_alu instid0(SALU_CYCLE_1)
	s_or_b32 exec_lo, exec_lo, s20
.LBB293_450:                            ;   in Loop: Header=BB293_265 Depth=1
	s_delay_alu instid0(SALU_CYCLE_1)
	s_or_b32 exec_lo, exec_lo, s15
	s_waitcnt vmcnt(0)
	v_fma_mixlo_f16 v13, v29, v31, 0
	v_fma_mixlo_f16 v6, v29, v33, 0
	;; [unrolled: 1-line block ×5, first 2 shown]
	v_lshlrev_b32_e32 v31, 16, v13
	v_fma_mixlo_f16 v13, v29, v30, 0
	v_fma_mixlo_f16 v30, v29, v35, 0
	;; [unrolled: 1-line block ×3, first 2 shown]
	v_lshlrev_b32_e32 v6, 16, v6
	v_and_b32_e32 v12, 0xffff, v12
	v_and_b32_e32 v34, 0xffff, v13
	v_lshlrev_b32_e32 v35, 16, v30
	v_and_b32_e32 v32, 0xffff, v32
	v_lshlrev_b32_e32 v33, 16, v33
	v_and_b32_e32 v36, 0xffff, v29
	v_or_b32_e32 v13, v6, v12
	v_or_b32_e32 v30, v31, v34
	;; [unrolled: 1-line block ×3, first 2 shown]
	s_delay_alu instid0(VALU_DEP_4)
	v_or_b32_e32 v12, v33, v36
	s_and_saveexec_b32 s15, s0
	s_cbranch_execz .LBB293_452
; %bb.451:                              ;   in Loop: Header=BB293_265 Depth=1
	v_add_nc_u32_e32 v31, 1, v17
	v_lshrrev_b32_e32 v32, 16, v30
	v_or_b32_e32 v33, 3, v17
	v_lshrrev_b32_e32 v34, 16, v13
	v_lshrrev_b32_e32 v35, 16, v6
	v_cmp_gt_i32_e64 s1, s13, v31
	v_lshrrev_b32_e32 v12, 16, v12
	v_or_b32_e32 v36, 6, v17
	s_delay_alu instid0(VALU_DEP_3) | instskip(SKIP_2) | instid1(VALU_DEP_2)
	v_cndmask_b32_e64 v31, 0, v32, s1
	v_cmp_gt_i32_e64 s1, s33, v17
	v_or_b32_e32 v32, 2, v17
	v_cndmask_b32_e64 v30, 0, v30, s1
	v_cmp_gt_i32_e64 s1, s13, v33
	s_delay_alu instid0(VALU_DEP_2) | instskip(NEXT) | instid1(VALU_DEP_2)
	v_perm_b32 v30, v31, v30, 0x5040100
	v_cndmask_b32_e64 v33, 0, v34, s1
	v_or_b32_e32 v34, 5, v17
	v_cmp_gt_i32_e64 s1, s33, v32
	v_or_b32_e32 v32, 4, v17
	s_delay_alu instid0(VALU_DEP_2) | instskip(NEXT) | instid1(VALU_DEP_4)
	v_cndmask_b32_e64 v13, 0, v13, s1
	v_cmp_gt_i32_e64 s1, s13, v34
	s_delay_alu instid0(VALU_DEP_2) | instskip(NEXT) | instid1(VALU_DEP_2)
	v_perm_b32 v13, v33, v13, 0x5040100
	v_cndmask_b32_e64 v34, 0, v35, s1
	v_or_b32_e32 v35, 7, v17
	v_cmp_gt_i32_e64 s1, s33, v32
	s_delay_alu instid0(VALU_DEP_1) | instskip(NEXT) | instid1(VALU_DEP_3)
	v_cndmask_b32_e64 v6, 0, v6, s1
	v_cmp_gt_i32_e64 s1, s13, v35
	s_delay_alu instid0(VALU_DEP_2) | instskip(NEXT) | instid1(VALU_DEP_2)
	v_perm_b32 v6, v34, v6, 0x5040100
	v_cndmask_b32_e64 v12, 0, v12, s1
	v_cmp_gt_i32_e64 s1, s33, v36
	s_delay_alu instid0(VALU_DEP_1) | instskip(NEXT) | instid1(VALU_DEP_1)
	v_cndmask_b32_e64 v29, 0, v29, s1
	v_perm_b32 v12, v12, v29, 0x5040100
.LBB293_452:                            ;   in Loop: Header=BB293_265 Depth=1
	s_or_b32 exec_lo, exec_lo, s15
	;;#ASMSTART
	v_pk_mul_f16 v29, v26, v30;

	;;#ASMEND
	;;#ASMSTART
	v_pk_mul_f16 v13, v25, v13;

	;;#ASMEND
	;; [unrolled: 4-line block ×4, first 2 shown]
	;;#ASMSTART
	v_pk_add_f16 v13, v29, v13;

	;;#ASMEND
	;;#ASMSTART
	v_pk_add_f16 v6, v13, v6;

	;;#ASMEND
	;; [unrolled: 4-line block ×3, first 2 shown]
	v_dual_add_f32 v13, v27, v28 :: v_dual_and_b32 v12, 0xffff, v6
	v_lshrrev_b32_e32 v6, 16, v6
	;;#ASMSTART
	v_cvt_f32_f16 v12, v12;
	;;#ASMEND
	;;#ASMSTART
	v_cvt_f32_f16 v6, v6;
	;;#ASMEND
	s_delay_alu instid0(VALU_DEP_2) | instskip(NEXT) | instid1(VALU_DEP_2)
	v_dual_add_f32 v14, v14, v15 :: v_dual_add_f32 v1, v1, v13
	v_add_f32_e32 v6, v12, v6
	s_delay_alu instid0(VALU_DEP_2) | instskip(NEXT) | instid1(VALU_DEP_2)
	v_add_f32_e32 v2, v2, v14
	v_add_f32_e32 v3, v3, v6
	s_and_saveexec_b32 s15, vcc_lo
	s_cbranch_execz .LBB293_263
; %bb.453:                              ;   in Loop: Header=BB293_265 Depth=1
	v_add_co_u32 v10, s1, v10, v21
	s_delay_alu instid0(VALU_DEP_1)
	v_add_co_ci_u32_e64 v11, s1, 0, v11, s1
	v_mov_b32_e32 v14, 0
	s_mov_b32 s20, exec_lo
	global_load_b64 v[10:11], v[10:11], off
	global_load_b32 v12, v7, s[6:7]
	s_waitcnt vmcnt(1)
	v_dual_mov_b32 v13, 0 :: v_dual_and_b32 v6, 0xff, v10
	s_delay_alu instid0(VALU_DEP_1)
	v_cmpx_ne_u16_e32 0, v6
	s_cbranch_execz .LBB293_459
; %bb.454:                              ;   in Loop: Header=BB293_265 Depth=1
	v_bfrev_b32_e32 v13, 1
	s_mov_b32 s21, exec_lo
	v_cmpx_ne_u16_e32 0x80, v6
	s_cbranch_execz .LBB293_458
; %bb.455:                              ;   in Loop: Header=BB293_265 Depth=1
	v_and_b32_e32 v6, 0x7f, v10
	v_mov_b32_e32 v13, 0x7fc02000
	s_mov_b32 s22, exec_lo
	s_delay_alu instid0(VALU_DEP_2)
	v_cmpx_ne_u32_e32 0x7f, v6
	s_cbranch_execz .LBB293_457
; %bb.456:                              ;   in Loop: Header=BB293_265 Depth=1
	v_and_b32_e32 v13, 7, v10
	v_cmp_gt_u32_e64 s1, 8, v6
	v_lshrrev_b32_e32 v15, 3, v6
	s_delay_alu instid0(VALU_DEP_3) | instskip(NEXT) | instid1(VALU_DEP_1)
	v_clz_i32_u32_e32 v13, v13
	v_min_u32_e32 v13, 32, v13
	s_delay_alu instid0(VALU_DEP_1) | instskip(SKIP_1) | instid1(VALU_DEP_2)
	v_subrev_nc_u32_e32 v27, 28, v13
	v_sub_nc_u32_e32 v13, 29, v13
	v_cndmask_b32_e64 v6, 0, v27, s1
	s_delay_alu instid0(VALU_DEP_2) | instskip(NEXT) | instid1(VALU_DEP_2)
	v_cndmask_b32_e64 v13, v15, v13, s1
	v_lshlrev_b64 v[27:28], v6, v[10:11]
	v_lshlrev_b32_e32 v6, 8, v10
	s_delay_alu instid0(VALU_DEP_3) | instskip(NEXT) | instid1(VALU_DEP_3)
	v_lshl_add_u32 v13, v13, 10, 0x2000
	v_lshlrev_b32_e32 v15, 7, v27
	s_delay_alu instid0(VALU_DEP_2) | instskip(NEXT) | instid1(VALU_DEP_1)
	v_and_or_b32 v6, 0x8000, v6, v13
	v_and_or_b32 v6, 0x380, v15, v6
	s_delay_alu instid0(VALU_DEP_1)
	v_cvt_f32_f16_e32 v13, v6
.LBB293_457:                            ;   in Loop: Header=BB293_265 Depth=1
	s_or_b32 exec_lo, exec_lo, s22
.LBB293_458:                            ;   in Loop: Header=BB293_265 Depth=1
	s_delay_alu instid0(SALU_CYCLE_1)
	s_or_b32 exec_lo, exec_lo, s21
.LBB293_459:                            ;   in Loop: Header=BB293_265 Depth=1
	s_delay_alu instid0(SALU_CYCLE_1) | instskip(SKIP_2) | instid1(VALU_DEP_1)
	s_or_b32 exec_lo, exec_lo, s20
	v_lshrrev_b16 v6, 8, v10
	s_mov_b32 s20, exec_lo
	v_cmpx_ne_u16_e32 0, v6
	s_cbranch_execz .LBB293_467
; %bb.460:                              ;   in Loop: Header=BB293_265 Depth=1
	v_bfrev_b32_e32 v14, 1
	s_mov_b32 s21, exec_lo
	v_cmpx_ne_u16_e32 0x80, v6
	s_cbranch_execz .LBB293_466
; %bb.461:                              ;   in Loop: Header=BB293_265 Depth=1
	v_and_b32_e32 v15, 0xffff, v6
	v_mov_b32_e32 v14, 0x7fc02000
	s_mov_b32 s22, exec_lo
	s_delay_alu instid0(VALU_DEP_2) | instskip(NEXT) | instid1(VALU_DEP_1)
	v_and_b32_e32 v27, 0x7f, v15
	v_cmpx_ne_u32_e32 0x7f, v27
	s_cbranch_execz .LBB293_465
; %bb.462:                              ;   in Loop: Header=BB293_265 Depth=1
	v_and_b32_e32 v6, 7, v15
	v_lshrrev_b32_e32 v14, 3, v27
	s_mov_b32 s23, exec_lo
	v_cmpx_gt_u32_e32 8, v27
; %bb.463:                              ;   in Loop: Header=BB293_265 Depth=1
	s_delay_alu instid0(VALU_DEP_3) | instskip(NEXT) | instid1(VALU_DEP_1)
	v_clz_i32_u32_e32 v14, v6
	v_min_u32_e32 v14, 32, v14
	s_delay_alu instid0(VALU_DEP_1) | instskip(SKIP_1) | instid1(VALU_DEP_2)
	v_subrev_nc_u32_e32 v27, 28, v14
	v_sub_nc_u32_e32 v14, 29, v14
	v_lshlrev_b64 v[27:28], v27, v[6:7]
	s_delay_alu instid0(VALU_DEP_1)
	v_and_b32_e32 v6, 7, v27
; %bb.464:                              ;   in Loop: Header=BB293_265 Depth=1
	s_or_b32 exec_lo, exec_lo, s23
	v_lshlrev_b32_e32 v15, 8, v15
	v_lshl_add_u32 v14, v14, 10, 0x2000
	s_delay_alu instid0(VALU_DEP_1) | instskip(NEXT) | instid1(VALU_DEP_1)
	v_and_or_b32 v14, 0x8000, v15, v14
	v_lshl_or_b32 v6, v6, 7, v14
	s_delay_alu instid0(VALU_DEP_1)
	v_cvt_f32_f16_e32 v14, v6
.LBB293_465:                            ;   in Loop: Header=BB293_265 Depth=1
	s_or_b32 exec_lo, exec_lo, s22
.LBB293_466:                            ;   in Loop: Header=BB293_265 Depth=1
	s_delay_alu instid0(SALU_CYCLE_1)
	s_or_b32 exec_lo, exec_lo, s21
.LBB293_467:                            ;   in Loop: Header=BB293_265 Depth=1
	s_delay_alu instid0(SALU_CYCLE_1) | instskip(SKIP_3) | instid1(VALU_DEP_2)
	s_or_b32 exec_lo, exec_lo, s20
	v_lshrrev_b32_e32 v28, 16, v10
	v_mov_b32_e32 v15, 0
	s_mov_b32 s20, exec_lo
	v_dual_mov_b32 v27, 0 :: v_dual_and_b32 v6, 0xff, v28
	s_delay_alu instid0(VALU_DEP_1)
	v_cmpx_ne_u16_e32 0, v6
	s_cbranch_execz .LBB293_475
; %bb.468:                              ;   in Loop: Header=BB293_265 Depth=1
	v_bfrev_b32_e32 v15, 1
	s_mov_b32 s21, exec_lo
	v_cmpx_ne_u16_e32 0x80, v6
	s_cbranch_execz .LBB293_474
; %bb.469:                              ;   in Loop: Header=BB293_265 Depth=1
	v_bfe_u32 v29, v10, 16, 7
	v_mov_b32_e32 v15, 0x7fc02000
	s_mov_b32 s22, exec_lo
	s_delay_alu instid0(VALU_DEP_2)
	v_cmpx_ne_u32_e32 0x7f, v29
	s_cbranch_execz .LBB293_473
; %bb.470:                              ;   in Loop: Header=BB293_265 Depth=1
	v_and_b32_e32 v6, 7, v28
	v_lshrrev_b32_e32 v15, 3, v29
	s_mov_b32 s23, exec_lo
	v_cmpx_gt_u32_e32 8, v29
; %bb.471:                              ;   in Loop: Header=BB293_265 Depth=1
	s_delay_alu instid0(VALU_DEP_3) | instskip(NEXT) | instid1(VALU_DEP_1)
	v_clz_i32_u32_e32 v15, v6
	v_min_u32_e32 v15, 32, v15
	s_delay_alu instid0(VALU_DEP_1) | instskip(SKIP_1) | instid1(VALU_DEP_2)
	v_subrev_nc_u32_e32 v29, 28, v15
	v_sub_nc_u32_e32 v15, 29, v15
	v_lshlrev_b64 v[29:30], v29, v[6:7]
	s_delay_alu instid0(VALU_DEP_1)
	v_and_b32_e32 v6, 7, v29
; %bb.472:                              ;   in Loop: Header=BB293_265 Depth=1
	s_or_b32 exec_lo, exec_lo, s23
	v_lshlrev_b32_e32 v28, 8, v28
	v_lshl_add_u32 v15, v15, 10, 0x2000
	s_delay_alu instid0(VALU_DEP_1) | instskip(NEXT) | instid1(VALU_DEP_1)
	v_and_or_b32 v15, 0x8000, v28, v15
	v_lshl_or_b32 v6, v6, 7, v15
	s_delay_alu instid0(VALU_DEP_1)
	v_cvt_f32_f16_e32 v15, v6
.LBB293_473:                            ;   in Loop: Header=BB293_265 Depth=1
	s_or_b32 exec_lo, exec_lo, s22
.LBB293_474:                            ;   in Loop: Header=BB293_265 Depth=1
	s_delay_alu instid0(SALU_CYCLE_1)
	s_or_b32 exec_lo, exec_lo, s21
.LBB293_475:                            ;   in Loop: Header=BB293_265 Depth=1
	s_delay_alu instid0(SALU_CYCLE_1) | instskip(NEXT) | instid1(SALU_CYCLE_1)
	s_or_b32 exec_lo, exec_lo, s20
	s_mov_b32 s20, exec_lo
	v_cmpx_lt_u32_e32 0xffffff, v10
	s_cbranch_execz .LBB293_483
; %bb.476:                              ;   in Loop: Header=BB293_265 Depth=1
	v_lshrrev_b32_e32 v28, 24, v10
	v_bfrev_b32_e32 v27, 1
	s_mov_b32 s21, exec_lo
	s_delay_alu instid0(VALU_DEP_2)
	v_cmpx_ne_u32_e32 0x80, v28
	s_cbranch_execz .LBB293_482
; %bb.477:                              ;   in Loop: Header=BB293_265 Depth=1
	v_and_b32_e32 v29, 0x7f, v28
	v_mov_b32_e32 v27, 0x7fc02000
	s_mov_b32 s22, exec_lo
	s_delay_alu instid0(VALU_DEP_2)
	v_cmpx_ne_u32_e32 0x7f, v29
	s_cbranch_execz .LBB293_481
; %bb.478:                              ;   in Loop: Header=BB293_265 Depth=1
	v_and_b32_e32 v6, 7, v28
	v_lshrrev_b32_e32 v27, 3, v29
	s_mov_b32 s23, exec_lo
	v_cmpx_gt_u32_e32 8, v29
; %bb.479:                              ;   in Loop: Header=BB293_265 Depth=1
	s_delay_alu instid0(VALU_DEP_3) | instskip(NEXT) | instid1(VALU_DEP_1)
	v_clz_i32_u32_e32 v27, v6
	v_min_u32_e32 v27, 32, v27
	s_delay_alu instid0(VALU_DEP_1) | instskip(SKIP_1) | instid1(VALU_DEP_2)
	v_subrev_nc_u32_e32 v29, 28, v27
	v_sub_nc_u32_e32 v27, 29, v27
	v_lshlrev_b64 v[29:30], v29, v[6:7]
	s_delay_alu instid0(VALU_DEP_1)
	v_and_b32_e32 v6, 7, v29
; %bb.480:                              ;   in Loop: Header=BB293_265 Depth=1
	s_or_b32 exec_lo, exec_lo, s23
	v_lshlrev_b32_e32 v28, 8, v28
	v_lshl_add_u32 v27, v27, 10, 0x2000
	s_delay_alu instid0(VALU_DEP_1) | instskip(NEXT) | instid1(VALU_DEP_1)
	v_and_or_b32 v27, 0x8000, v28, v27
	v_lshl_or_b32 v6, v6, 7, v27
	s_delay_alu instid0(VALU_DEP_1)
	v_cvt_f32_f16_e32 v27, v6
.LBB293_481:                            ;   in Loop: Header=BB293_265 Depth=1
	s_or_b32 exec_lo, exec_lo, s22
.LBB293_482:                            ;   in Loop: Header=BB293_265 Depth=1
	s_delay_alu instid0(SALU_CYCLE_1)
	s_or_b32 exec_lo, exec_lo, s21
.LBB293_483:                            ;   in Loop: Header=BB293_265 Depth=1
	s_delay_alu instid0(SALU_CYCLE_1) | instskip(SKIP_4) | instid1(VALU_DEP_3)
	s_or_b32 exec_lo, exec_lo, s20
	v_dual_mov_b32 v29, 0 :: v_dual_and_b32 v30, 0xff, v11
	v_mov_b32_e32 v6, v11
	v_mov_b32_e32 v28, 0
	s_mov_b32 s20, exec_lo
	v_cmpx_ne_u16_e32 0, v30
	s_cbranch_execz .LBB293_489
; %bb.484:                              ;   in Loop: Header=BB293_265 Depth=1
	v_bfrev_b32_e32 v28, 1
	s_mov_b32 s21, exec_lo
	v_cmpx_ne_u16_e32 0x80, v30
	s_cbranch_execz .LBB293_488
; %bb.485:                              ;   in Loop: Header=BB293_265 Depth=1
	v_and_b32_e32 v30, 0x7f, v11
	v_mov_b32_e32 v28, 0x7fc02000
	s_mov_b32 s22, exec_lo
	s_delay_alu instid0(VALU_DEP_2)
	v_cmpx_ne_u32_e32 0x7f, v30
	s_cbranch_execz .LBB293_487
; %bb.486:                              ;   in Loop: Header=BB293_265 Depth=1
	v_and_b32_e32 v28, 7, v11
	v_cmp_gt_u32_e64 s1, 8, v30
	v_lshrrev_b32_e32 v31, 3, v30
	s_delay_alu instid0(VALU_DEP_3) | instskip(NEXT) | instid1(VALU_DEP_1)
	v_clz_i32_u32_e32 v28, v28
	v_min_u32_e32 v28, 32, v28
	s_delay_alu instid0(VALU_DEP_1) | instskip(SKIP_1) | instid1(VALU_DEP_2)
	v_subrev_nc_u32_e32 v32, 28, v28
	v_sub_nc_u32_e32 v28, 29, v28
	v_cndmask_b32_e64 v30, 0, v32, s1
	s_delay_alu instid0(VALU_DEP_2) | instskip(NEXT) | instid1(VALU_DEP_2)
	v_cndmask_b32_e64 v28, v31, v28, s1
	v_lshlrev_b64 v[30:31], v30, v[6:7]
	v_lshlrev_b32_e32 v31, 8, v11
	s_delay_alu instid0(VALU_DEP_3) | instskip(NEXT) | instid1(VALU_DEP_3)
	v_lshl_add_u32 v28, v28, 10, 0x2000
	v_lshlrev_b32_e32 v30, 7, v30
	s_delay_alu instid0(VALU_DEP_2) | instskip(NEXT) | instid1(VALU_DEP_1)
	v_and_or_b32 v28, 0x8000, v31, v28
	v_and_or_b32 v28, 0x380, v30, v28
	s_delay_alu instid0(VALU_DEP_1)
	v_cvt_f32_f16_e32 v28, v28
.LBB293_487:                            ;   in Loop: Header=BB293_265 Depth=1
	s_or_b32 exec_lo, exec_lo, s22
.LBB293_488:                            ;   in Loop: Header=BB293_265 Depth=1
	s_delay_alu instid0(SALU_CYCLE_1)
	s_or_b32 exec_lo, exec_lo, s21
.LBB293_489:                            ;   in Loop: Header=BB293_265 Depth=1
	s_delay_alu instid0(SALU_CYCLE_1) | instskip(SKIP_2) | instid1(VALU_DEP_1)
	s_or_b32 exec_lo, exec_lo, s20
	v_lshrrev_b16 v6, 8, v6
	s_mov_b32 s20, exec_lo
	v_cmpx_ne_u16_e32 0, v6
	s_cbranch_execz .LBB293_497
; %bb.490:                              ;   in Loop: Header=BB293_265 Depth=1
	v_bfrev_b32_e32 v29, 1
	s_mov_b32 s21, exec_lo
	v_cmpx_ne_u16_e32 0x80, v6
	s_cbranch_execz .LBB293_496
; %bb.491:                              ;   in Loop: Header=BB293_265 Depth=1
	v_and_b32_e32 v30, 0xffff, v6
	v_mov_b32_e32 v29, 0x7fc02000
	s_mov_b32 s22, exec_lo
	s_delay_alu instid0(VALU_DEP_2) | instskip(NEXT) | instid1(VALU_DEP_1)
	v_and_b32_e32 v31, 0x7f, v30
	v_cmpx_ne_u32_e32 0x7f, v31
	s_cbranch_execz .LBB293_495
; %bb.492:                              ;   in Loop: Header=BB293_265 Depth=1
	v_and_b32_e32 v6, 7, v30
	v_lshrrev_b32_e32 v29, 3, v31
	s_mov_b32 s23, exec_lo
	v_cmpx_gt_u32_e32 8, v31
; %bb.493:                              ;   in Loop: Header=BB293_265 Depth=1
	s_delay_alu instid0(VALU_DEP_3) | instskip(NEXT) | instid1(VALU_DEP_1)
	v_clz_i32_u32_e32 v29, v6
	v_min_u32_e32 v29, 32, v29
	s_delay_alu instid0(VALU_DEP_1) | instskip(SKIP_1) | instid1(VALU_DEP_2)
	v_subrev_nc_u32_e32 v31, 28, v29
	v_sub_nc_u32_e32 v29, 29, v29
	v_lshlrev_b64 v[31:32], v31, v[6:7]
	s_delay_alu instid0(VALU_DEP_1)
	v_and_b32_e32 v6, 7, v31
; %bb.494:                              ;   in Loop: Header=BB293_265 Depth=1
	s_or_b32 exec_lo, exec_lo, s23
	v_lshlrev_b32_e32 v30, 8, v30
	v_lshl_add_u32 v29, v29, 10, 0x2000
	s_delay_alu instid0(VALU_DEP_1) | instskip(NEXT) | instid1(VALU_DEP_1)
	v_and_or_b32 v29, 0x8000, v30, v29
	v_lshl_or_b32 v6, v6, 7, v29
	s_delay_alu instid0(VALU_DEP_1)
	v_cvt_f32_f16_e32 v29, v6
.LBB293_495:                            ;   in Loop: Header=BB293_265 Depth=1
	s_or_b32 exec_lo, exec_lo, s22
.LBB293_496:                            ;   in Loop: Header=BB293_265 Depth=1
	s_delay_alu instid0(SALU_CYCLE_1)
	s_or_b32 exec_lo, exec_lo, s21
.LBB293_497:                            ;   in Loop: Header=BB293_265 Depth=1
	s_delay_alu instid0(SALU_CYCLE_1) | instskip(SKIP_3) | instid1(VALU_DEP_2)
	s_or_b32 exec_lo, exec_lo, s20
	v_lshrrev_b32_e32 v32, 16, v11
	v_mov_b32_e32 v30, 0
	s_mov_b32 s20, exec_lo
	v_dual_mov_b32 v31, 0 :: v_dual_and_b32 v6, 0xff, v32
	s_delay_alu instid0(VALU_DEP_1)
	v_cmpx_ne_u16_e32 0, v6
	s_cbranch_execz .LBB293_505
; %bb.498:                              ;   in Loop: Header=BB293_265 Depth=1
	v_bfrev_b32_e32 v30, 1
	s_mov_b32 s21, exec_lo
	v_cmpx_ne_u16_e32 0x80, v6
	s_cbranch_execz .LBB293_504
; %bb.499:                              ;   in Loop: Header=BB293_265 Depth=1
	v_bfe_u32 v33, v11, 16, 7
	v_mov_b32_e32 v30, 0x7fc02000
	s_mov_b32 s22, exec_lo
	s_delay_alu instid0(VALU_DEP_2)
	v_cmpx_ne_u32_e32 0x7f, v33
	s_cbranch_execz .LBB293_503
; %bb.500:                              ;   in Loop: Header=BB293_265 Depth=1
	v_and_b32_e32 v6, 7, v32
	v_lshrrev_b32_e32 v30, 3, v33
	s_mov_b32 s23, exec_lo
	v_cmpx_gt_u32_e32 8, v33
; %bb.501:                              ;   in Loop: Header=BB293_265 Depth=1
	s_delay_alu instid0(VALU_DEP_3) | instskip(NEXT) | instid1(VALU_DEP_1)
	v_clz_i32_u32_e32 v30, v6
	v_min_u32_e32 v30, 32, v30
	s_delay_alu instid0(VALU_DEP_1) | instskip(SKIP_1) | instid1(VALU_DEP_2)
	v_subrev_nc_u32_e32 v33, 28, v30
	v_sub_nc_u32_e32 v30, 29, v30
	v_lshlrev_b64 v[33:34], v33, v[6:7]
	s_delay_alu instid0(VALU_DEP_1)
	v_and_b32_e32 v6, 7, v33
; %bb.502:                              ;   in Loop: Header=BB293_265 Depth=1
	s_or_b32 exec_lo, exec_lo, s23
	v_lshlrev_b32_e32 v32, 8, v32
	v_lshl_add_u32 v30, v30, 10, 0x2000
	s_delay_alu instid0(VALU_DEP_1) | instskip(NEXT) | instid1(VALU_DEP_1)
	v_and_or_b32 v30, 0x8000, v32, v30
	v_lshl_or_b32 v6, v6, 7, v30
	s_delay_alu instid0(VALU_DEP_1)
	v_cvt_f32_f16_e32 v30, v6
.LBB293_503:                            ;   in Loop: Header=BB293_265 Depth=1
	s_or_b32 exec_lo, exec_lo, s22
.LBB293_504:                            ;   in Loop: Header=BB293_265 Depth=1
	s_delay_alu instid0(SALU_CYCLE_1)
	s_or_b32 exec_lo, exec_lo, s21
.LBB293_505:                            ;   in Loop: Header=BB293_265 Depth=1
	s_delay_alu instid0(SALU_CYCLE_1) | instskip(NEXT) | instid1(SALU_CYCLE_1)
	s_or_b32 exec_lo, exec_lo, s20
	s_mov_b32 s20, exec_lo
	v_cmpx_lt_u64_e64 s[10:11], v[10:11]
	s_cbranch_execz .LBB293_513
; %bb.506:                              ;   in Loop: Header=BB293_265 Depth=1
	v_lshrrev_b32_e32 v10, 24, v11
	v_bfrev_b32_e32 v31, 1
	s_mov_b32 s21, exec_lo
	s_delay_alu instid0(VALU_DEP_2)
	v_cmpx_ne_u32_e32 0x80, v10
	s_cbranch_execz .LBB293_512
; %bb.507:                              ;   in Loop: Header=BB293_265 Depth=1
	v_and_b32_e32 v32, 0x7f, v10
	v_mov_b32_e32 v31, 0x7fc02000
	s_mov_b32 s22, exec_lo
	s_delay_alu instid0(VALU_DEP_2)
	v_cmpx_ne_u32_e32 0x7f, v32
	s_cbranch_execz .LBB293_511
; %bb.508:                              ;   in Loop: Header=BB293_265 Depth=1
	v_and_b32_e32 v6, 7, v10
	v_lshrrev_b32_e32 v11, 3, v32
	s_mov_b32 s23, exec_lo
	v_cmpx_gt_u32_e32 8, v32
; %bb.509:                              ;   in Loop: Header=BB293_265 Depth=1
	s_delay_alu instid0(VALU_DEP_3) | instskip(NEXT) | instid1(VALU_DEP_1)
	v_clz_i32_u32_e32 v11, v6
	v_min_u32_e32 v11, 32, v11
	s_delay_alu instid0(VALU_DEP_1) | instskip(SKIP_1) | instid1(VALU_DEP_2)
	v_subrev_nc_u32_e32 v31, 28, v11
	v_sub_nc_u32_e32 v11, 29, v11
	v_lshlrev_b64 v[31:32], v31, v[6:7]
	s_delay_alu instid0(VALU_DEP_1)
	v_and_b32_e32 v6, 7, v31
; %bb.510:                              ;   in Loop: Header=BB293_265 Depth=1
	s_or_b32 exec_lo, exec_lo, s23
	v_lshlrev_b32_e32 v10, 8, v10
	v_lshl_add_u32 v11, v11, 10, 0x2000
	s_delay_alu instid0(VALU_DEP_1) | instskip(NEXT) | instid1(VALU_DEP_1)
	v_and_or_b32 v10, 0x8000, v10, v11
	v_lshl_or_b32 v6, v6, 7, v10
	s_delay_alu instid0(VALU_DEP_1)
	v_cvt_f32_f16_e32 v31, v6
.LBB293_511:                            ;   in Loop: Header=BB293_265 Depth=1
	s_or_b32 exec_lo, exec_lo, s22
.LBB293_512:                            ;   in Loop: Header=BB293_265 Depth=1
	s_delay_alu instid0(SALU_CYCLE_1)
	s_or_b32 exec_lo, exec_lo, s21
.LBB293_513:                            ;   in Loop: Header=BB293_265 Depth=1
	s_delay_alu instid0(SALU_CYCLE_1)
	s_or_b32 exec_lo, exec_lo, s20
	s_waitcnt vmcnt(0)
	v_fma_mixlo_f16 v11, v12, v14, 0
	v_fma_mixlo_f16 v6, v12, v27, 0
	;; [unrolled: 1-line block ×5, first 2 shown]
	v_lshlrev_b32_e32 v14, 16, v11
	v_fma_mixlo_f16 v27, v12, v28, 0
	v_fma_mixlo_f16 v28, v12, v31, 0
	;; [unrolled: 1-line block ×3, first 2 shown]
	v_lshlrev_b32_e32 v6, 16, v6
	v_and_b32_e32 v10, 0xffff, v10
	v_and_b32_e32 v13, 0xffff, v13
	v_lshlrev_b32_e32 v15, 16, v15
	v_and_b32_e32 v27, 0xffff, v27
	v_lshlrev_b32_e32 v28, 16, v28
	v_and_b32_e32 v29, 0xffff, v11
	v_or_b32_e32 v12, v6, v10
	v_or_b32_e32 v13, v14, v13
	;; [unrolled: 1-line block ×3, first 2 shown]
	s_delay_alu instid0(VALU_DEP_4)
	v_or_b32_e32 v10, v28, v29
	s_and_saveexec_b32 s1, s0
	s_cbranch_execz .LBB293_262
; %bb.514:                              ;   in Loop: Header=BB293_265 Depth=1
	v_add_nc_u32_e32 v14, 1, v17
	v_lshrrev_b32_e32 v15, 16, v13
	v_or_b32_e32 v27, 3, v17
	v_lshrrev_b32_e32 v28, 16, v12
	v_lshrrev_b32_e32 v29, 16, v6
	v_cmp_gt_i32_e64 s0, s13, v14
	v_lshrrev_b32_e32 v10, 16, v10
	v_or_b32_e32 v30, 6, v17
	s_delay_alu instid0(VALU_DEP_3) | instskip(SKIP_2) | instid1(VALU_DEP_2)
	v_cndmask_b32_e64 v14, 0, v15, s0
	v_cmp_gt_i32_e64 s0, s33, v17
	v_or_b32_e32 v15, 2, v17
	v_cndmask_b32_e64 v13, 0, v13, s0
	v_cmp_gt_i32_e64 s0, s13, v27
	s_delay_alu instid0(VALU_DEP_2) | instskip(NEXT) | instid1(VALU_DEP_2)
	v_perm_b32 v13, v14, v13, 0x5040100
	v_cndmask_b32_e64 v27, 0, v28, s0
	v_or_b32_e32 v28, 5, v17
	v_cmp_gt_i32_e64 s0, s33, v15
	v_or_b32_e32 v15, 4, v17
	s_delay_alu instid0(VALU_DEP_2) | instskip(NEXT) | instid1(VALU_DEP_4)
	v_cndmask_b32_e64 v12, 0, v12, s0
	v_cmp_gt_i32_e64 s0, s13, v28
	s_delay_alu instid0(VALU_DEP_2) | instskip(NEXT) | instid1(VALU_DEP_2)
	v_perm_b32 v12, v27, v12, 0x5040100
	v_cndmask_b32_e64 v28, 0, v29, s0
	v_or_b32_e32 v29, 7, v17
	v_cmp_gt_i32_e64 s0, s33, v15
	s_delay_alu instid0(VALU_DEP_1) | instskip(NEXT) | instid1(VALU_DEP_3)
	v_cndmask_b32_e64 v6, 0, v6, s0
	v_cmp_gt_i32_e64 s0, s13, v29
	s_delay_alu instid0(VALU_DEP_2) | instskip(NEXT) | instid1(VALU_DEP_2)
	v_perm_b32 v6, v28, v6, 0x5040100
	v_cndmask_b32_e64 v10, 0, v10, s0
	v_cmp_gt_i32_e64 s0, s33, v30
	s_delay_alu instid0(VALU_DEP_1) | instskip(NEXT) | instid1(VALU_DEP_1)
	v_cndmask_b32_e64 v11, 0, v11, s0
	v_perm_b32 v10, v10, v11, 0x5040100
	s_branch .LBB293_262
.LBB293_515:
	s_or_b32 exec_lo, exec_lo, s12
.LBB293_516:
	s_delay_alu instid0(SALU_CYCLE_1)
	s_or_b32 exec_lo, exec_lo, s5
	v_and_b32_e32 v5, 0x3c0, v0
	s_movk_i32 s0, 0x1c0
	s_waitcnt_vscnt null, 0x0
	v_mad_u32_u24 v6, v16, s0, 0x100
	s_barrier
	v_cmp_eq_u32_e32 vcc_lo, 64, v5
	v_or_b32_e32 v5, 0x60, v0
	buffer_gl0_inv
	s_and_saveexec_b32 s0, vcc_lo
	s_cbranch_execz .LBB293_519
; %bb.517:
	v_add_nc_u32_e32 v7, 0xfffffc80, v6
	v_cmp_gt_u32_e32 vcc_lo, 0x70, v5
	s_delay_alu instid0(VALU_DEP_2)
	v_lshl_add_u32 v8, v18, 2, v7
	ds_store_2addr_b32 v8, v1, v2 offset1:32
	ds_store_b32 v8, v3 offset:256
	s_and_b32 exec_lo, exec_lo, vcc_lo
	s_cbranch_execz .LBB293_519
; %bb.518:
	v_lshl_add_u32 v7, v5, 2, v7
	ds_store_b32 v7, v4
.LBB293_519:
	s_or_b32 exec_lo, exec_lo, s0
	v_lshl_add_u32 v7, v18, 2, v6
	s_mov_b32 s0, exec_lo
	s_waitcnt lgkmcnt(0)
	s_barrier
	buffer_gl0_inv
	v_cmpx_gt_u32_e32 64, v0
	s_cbranch_execz .LBB293_523
; %bb.520:
	v_lshl_or_b32 v8, v0, 2, 0x80
	s_mov_b32 s1, exec_lo
	s_delay_alu instid0(VALU_DEP_1)
	v_add_nc_u32_e32 v10, v6, v8
	ds_load_2addr_stride64_b32 v[8:9], v7 offset1:1
	ds_load_b32 v10, v10
	s_waitcnt lgkmcnt(1)
	v_add_f32_e32 v3, v3, v9
	s_waitcnt lgkmcnt(0)
	v_dual_add_f32 v1, v1, v8 :: v_dual_add_f32 v2, v2, v10
	v_cmpx_gt_u32_e32 0x70, v5
	s_cbranch_execz .LBB293_522
; %bb.521:
	v_lshl_add_u32 v8, v5, 2, v6
	ds_load_b32 v8, v8
	s_waitcnt lgkmcnt(0)
	v_add_f32_e32 v4, v4, v8
.LBB293_522:
	s_or_b32 exec_lo, exec_lo, s1
.LBB293_523:
	s_delay_alu instid0(SALU_CYCLE_1)
	s_or_b32 exec_lo, exec_lo, s0
	v_and_b32_e32 v8, 0x3e0, v0
	s_mov_b32 s0, exec_lo
	s_barrier
	buffer_gl0_inv
	v_cmpx_eq_u32_e32 32, v8
	s_cbranch_execz .LBB293_526
; %bb.524:
	v_add_nc_u32_e32 v8, 0xfffffe40, v6
	v_cmp_gt_u32_e32 vcc_lo, 0x70, v5
	s_delay_alu instid0(VALU_DEP_2)
	v_lshl_add_u32 v9, v18, 2, v8
	v_lshl_add_u32 v10, v0, 2, v8
	ds_store_b32 v9, v1
	ds_store_b32 v10, v2
	ds_store_b32 v9, v3 offset:256
	s_and_b32 exec_lo, exec_lo, vcc_lo
	s_cbranch_execz .LBB293_526
; %bb.525:
	v_lshl_add_u32 v8, v5, 2, v8
	ds_store_b32 v8, v4
.LBB293_526:
	s_or_b32 exec_lo, exec_lo, s0
	v_cmp_gt_u32_e32 vcc_lo, 32, v0
	s_waitcnt lgkmcnt(0)
	s_barrier
	buffer_gl0_inv
	s_and_saveexec_b32 s1, vcc_lo
	s_cbranch_execz .LBB293_530
; %bb.527:
	v_lshl_add_u32 v6, v0, 2, v6
	s_mov_b32 s2, exec_lo
	ds_load_b32 v9, v7
	ds_load_2addr_b32 v[7:8], v6 offset0:32 offset1:64
	s_waitcnt lgkmcnt(0)
	v_dual_add_f32 v1, v1, v9 :: v_dual_add_f32 v2, v2, v7
	v_add_f32_e32 v3, v3, v8
	v_cmpx_gt_u32_e32 0x70, v5
	s_cbranch_execz .LBB293_529
; %bb.528:
	ds_load_b32 v6, v6 offset:384
	s_waitcnt lgkmcnt(0)
	v_add_f32_e32 v4, v4, v6
.LBB293_529:
	s_or_b32 exec_lo, exec_lo, s2
.LBB293_530:
	s_delay_alu instid0(SALU_CYCLE_1)
	s_or_b32 exec_lo, exec_lo, s1
	s_barrier
	buffer_gl0_inv
	s_and_saveexec_b32 s0, vcc_lo
	s_cbranch_execz .LBB293_533
; %bb.531:
	s_mul_i32 s0, s4, 0x70
	s_mul_i32 s2, s8, s26
	s_ashr_i32 s1, s0, 31
	v_lshlrev_b32_e32 v0, 1, v0
	s_lshl_b64 s[0:1], s[0:1], 1
	v_cmp_gt_u32_e32 vcc_lo, 0x70, v5
	s_add_u32 s4, s28, s0
	s_addc_u32 s5, s29, s1
	s_ashr_i32 s3, s2, 31
	;;#ASMSTART
	v_cvt_f16_f32 v1, v1;

	;;#ASMEND
	s_lshl_b64 s[0:1], s[2:3], 1
	s_mul_i32 s2, s24, 0x70
	s_add_u32 s4, s4, s0
	s_addc_u32 s5, s5, s1
	s_ashr_i32 s3, s2, 31
	s_delay_alu instid0(SALU_CYCLE_1) | instskip(NEXT) | instid1(SALU_CYCLE_1)
	s_lshl_b64 s[0:1], s[2:3], 1
	s_add_u32 s0, s4, s0
	s_addc_u32 s1, s5, s1
	global_store_b16 v0, v1, s[0:1]
	;;#ASMSTART
	v_cvt_f16_f32 v1, v2;

	;;#ASMEND
	global_store_b16 v0, v1, s[0:1] offset:64
	;;#ASMSTART
	v_cvt_f16_f32 v1, v3;

	;;#ASMEND
	global_store_b16 v0, v1, s[0:1] offset:128
	s_and_b32 exec_lo, exec_lo, vcc_lo
	s_cbranch_execz .LBB293_533
; %bb.532:
	v_add_co_u32 v0, s0, s0, v0
	s_delay_alu instid0(VALU_DEP_1)
	v_add_co_ci_u32_e64 v1, null, s1, 0, s0
	;;#ASMSTART
	v_cvt_f16_f32 v2, v4;

	;;#ASMEND
	global_store_b16 v[0:1], v2, off offset:192
.LBB293_533:
	s_nop 0
	s_sendmsg sendmsg(MSG_DEALLOC_VGPRS)
	s_endpgm
	.section	.rodata,"a",@progbits
	.p2align	6, 0x0
	.amdhsa_kernel _ZN4vllm25paged_attention_v2_kernelIthLi112ELi8ELi128ELNS_18Fp8KVCacheDataTypeE1ELb1ELi512EEEvPfS2_PT_PKS3_PKT0_S9_ifPKiSB_iPKfiiiSD_SD_iiiii
		.amdhsa_group_segment_fixed_size 256
		.amdhsa_private_segment_fixed_size 0
		.amdhsa_kernarg_size 400
		.amdhsa_user_sgpr_count 13
		.amdhsa_user_sgpr_dispatch_ptr 0
		.amdhsa_user_sgpr_queue_ptr 0
		.amdhsa_user_sgpr_kernarg_segment_ptr 1
		.amdhsa_user_sgpr_dispatch_id 0
		.amdhsa_user_sgpr_private_segment_size 0
		.amdhsa_wavefront_size32 1
		.amdhsa_uses_dynamic_stack 0
		.amdhsa_enable_private_segment 0
		.amdhsa_system_sgpr_workgroup_id_x 1
		.amdhsa_system_sgpr_workgroup_id_y 1
		.amdhsa_system_sgpr_workgroup_id_z 1
		.amdhsa_system_sgpr_workgroup_info 0
		.amdhsa_system_vgpr_workitem_id 0
		.amdhsa_next_free_vgpr 73
		.amdhsa_next_free_sgpr 52
		.amdhsa_reserve_vcc 1
		.amdhsa_float_round_mode_32 0
		.amdhsa_float_round_mode_16_64 0
		.amdhsa_float_denorm_mode_32 3
		.amdhsa_float_denorm_mode_16_64 3
		.amdhsa_dx10_clamp 1
		.amdhsa_ieee_mode 1
		.amdhsa_fp16_overflow 0
		.amdhsa_workgroup_processor_mode 1
		.amdhsa_memory_ordered 1
		.amdhsa_forward_progress 0
		.amdhsa_shared_vgpr_count 0
		.amdhsa_exception_fp_ieee_invalid_op 0
		.amdhsa_exception_fp_denorm_src 0
		.amdhsa_exception_fp_ieee_div_zero 0
		.amdhsa_exception_fp_ieee_overflow 0
		.amdhsa_exception_fp_ieee_underflow 0
		.amdhsa_exception_fp_ieee_inexact 0
		.amdhsa_exception_int_div_zero 0
	.end_amdhsa_kernel
	.section	.text._ZN4vllm25paged_attention_v2_kernelIthLi112ELi8ELi128ELNS_18Fp8KVCacheDataTypeE1ELb1ELi512EEEvPfS2_PT_PKS3_PKT0_S9_ifPKiSB_iPKfiiiSD_SD_iiiii,"axG",@progbits,_ZN4vllm25paged_attention_v2_kernelIthLi112ELi8ELi128ELNS_18Fp8KVCacheDataTypeE1ELb1ELi512EEEvPfS2_PT_PKS3_PKT0_S9_ifPKiSB_iPKfiiiSD_SD_iiiii,comdat
.Lfunc_end293:
	.size	_ZN4vllm25paged_attention_v2_kernelIthLi112ELi8ELi128ELNS_18Fp8KVCacheDataTypeE1ELb1ELi512EEEvPfS2_PT_PKS3_PKT0_S9_ifPKiSB_iPKfiiiSD_SD_iiiii, .Lfunc_end293-_ZN4vllm25paged_attention_v2_kernelIthLi112ELi8ELi128ELNS_18Fp8KVCacheDataTypeE1ELb1ELi512EEEvPfS2_PT_PKS3_PKT0_S9_ifPKiSB_iPKfiiiSD_SD_iiiii
                                        ; -- End function
	.section	.AMDGPU.csdata,"",@progbits
; Kernel info:
; codeLenInByte = 22560
; NumSgprs: 54
; NumVgprs: 73
; ScratchSize: 0
; MemoryBound: 0
; FloatMode: 240
; IeeeMode: 1
; LDSByteSize: 256 bytes/workgroup (compile time only)
; SGPRBlocks: 6
; VGPRBlocks: 9
; NumSGPRsForWavesPerEU: 54
; NumVGPRsForWavesPerEU: 73
; Occupancy: 16
; WaveLimiterHint : 1
; COMPUTE_PGM_RSRC2:SCRATCH_EN: 0
; COMPUTE_PGM_RSRC2:USER_SGPR: 13
; COMPUTE_PGM_RSRC2:TRAP_HANDLER: 0
; COMPUTE_PGM_RSRC2:TGID_X_EN: 1
; COMPUTE_PGM_RSRC2:TGID_Y_EN: 1
; COMPUTE_PGM_RSRC2:TGID_Z_EN: 1
; COMPUTE_PGM_RSRC2:TIDIG_COMP_CNT: 0
	.section	.text._ZN4vllm25paged_attention_v2_kernelIthLi120ELi8ELi128ELNS_18Fp8KVCacheDataTypeE1ELb1ELi512EEEvPfS2_PT_PKS3_PKT0_S9_ifPKiSB_iPKfiiiSD_SD_iiiii,"axG",@progbits,_ZN4vllm25paged_attention_v2_kernelIthLi120ELi8ELi128ELNS_18Fp8KVCacheDataTypeE1ELb1ELi512EEEvPfS2_PT_PKS3_PKT0_S9_ifPKiSB_iPKfiiiSD_SD_iiiii,comdat
	.protected	_ZN4vllm25paged_attention_v2_kernelIthLi120ELi8ELi128ELNS_18Fp8KVCacheDataTypeE1ELb1ELi512EEEvPfS2_PT_PKS3_PKT0_S9_ifPKiSB_iPKfiiiSD_SD_iiiii ; -- Begin function _ZN4vllm25paged_attention_v2_kernelIthLi120ELi8ELi128ELNS_18Fp8KVCacheDataTypeE1ELb1ELi512EEEvPfS2_PT_PKS3_PKT0_S9_ifPKiSB_iPKfiiiSD_SD_iiiii
	.globl	_ZN4vllm25paged_attention_v2_kernelIthLi120ELi8ELi128ELNS_18Fp8KVCacheDataTypeE1ELb1ELi512EEEvPfS2_PT_PKS3_PKT0_S9_ifPKiSB_iPKfiiiSD_SD_iiiii
	.p2align	8
	.type	_ZN4vllm25paged_attention_v2_kernelIthLi120ELi8ELi128ELNS_18Fp8KVCacheDataTypeE1ELb1ELi512EEEvPfS2_PT_PKS3_PKT0_S9_ifPKiSB_iPKfiiiSD_SD_iiiii,@function
_ZN4vllm25paged_attention_v2_kernelIthLi120ELi8ELi128ELNS_18Fp8KVCacheDataTypeE1ELb1ELi512EEEvPfS2_PT_PKS3_PKT0_S9_ifPKiSB_iPKfiiiSD_SD_iiiii: ; @_ZN4vllm25paged_attention_v2_kernelIthLi120ELi8ELi128ELNS_18Fp8KVCacheDataTypeE1ELb1ELi512EEEvPfS2_PT_PKS3_PKT0_S9_ifPKiSB_iPKfiiiSD_SD_iiiii
; %bb.0:
	s_load_b64 s[2:3], s[0:1], 0x40
	s_mov_b32 s24, s15
	s_ashr_i32 s15, s14, 31
	s_delay_alu instid0(SALU_CYCLE_1)
	s_lshl_b64 s[4:5], s[14:15], 2
	s_waitcnt lgkmcnt(0)
	s_add_u32 s2, s2, s4
	s_addc_u32 s3, s3, s5
	s_lshl_b32 s25, s24, 9
	s_load_b32 s33, s[2:3], 0x0
	s_waitcnt lgkmcnt(0)
	s_cmp_ge_i32 s25, s33
	s_cbranch_scc1 .LBB294_549
; %bb.1:
	s_mov_b32 s30, s13
	s_clause 0x1
	s_load_b32 s15, s[0:1], 0x90
	s_load_b64 s[12:13], s[0:1], 0x30
	s_mov_b32 s42, 0
	s_waitcnt lgkmcnt(0)
	s_abs_i32 s5, s15
	s_abs_i32 s2, s12
	s_delay_alu instid0(SALU_CYCLE_1) | instskip(SKIP_1) | instid1(VALU_DEP_1)
	v_cvt_f32_u32_e32 v1, s2
	s_sub_i32 s4, 0, s2
	v_rcp_iflag_f32_e32 v1, v1
	s_waitcnt_depctr 0xfff
	v_mul_f32_e32 v1, 0x4f7ffffe, v1
	s_delay_alu instid0(VALU_DEP_1) | instskip(NEXT) | instid1(VALU_DEP_1)
	v_cvt_u32_f32_e32 v1, v1
	v_readfirstlane_b32 s3, v1
	s_delay_alu instid0(VALU_DEP_1) | instskip(NEXT) | instid1(SALU_CYCLE_1)
	s_mul_i32 s4, s4, s3
	s_mul_hi_u32 s4, s3, s4
	s_delay_alu instid0(SALU_CYCLE_1) | instskip(SKIP_4) | instid1(SALU_CYCLE_1)
	s_add_i32 s3, s3, s4
	s_xor_b32 s4, s15, s12
	s_mul_hi_u32 s3, s5, s3
	s_ashr_i32 s4, s4, 31
	s_mul_i32 s6, s3, s2
	s_sub_i32 s5, s5, s6
	s_add_i32 s6, s3, 1
	s_sub_i32 s7, s5, s2
	s_cmp_ge_u32 s5, s2
	s_cselect_b32 s3, s6, s3
	s_cselect_b32 s5, s7, s5
	s_add_i32 s6, s3, 1
	s_cmp_ge_u32 s5, s2
	s_cselect_b32 s2, s6, s3
	s_delay_alu instid0(SALU_CYCLE_1) | instskip(NEXT) | instid1(SALU_CYCLE_1)
	s_xor_b32 s2, s2, s4
	s_sub_i32 s7, s2, s4
	s_load_b64 s[2:3], s[0:1], 0x50
	s_abs_i32 s4, s7
	s_delay_alu instid0(SALU_CYCLE_1) | instskip(SKIP_1) | instid1(VALU_DEP_1)
	v_cvt_f32_u32_e32 v1, s4
	s_sub_i32 s5, 0, s4
	v_rcp_iflag_f32_e32 v1, v1
	s_waitcnt_depctr 0xfff
	v_mul_f32_e32 v1, 0x4f7ffffe, v1
	s_delay_alu instid0(VALU_DEP_1) | instskip(NEXT) | instid1(VALU_DEP_1)
	v_cvt_u32_f32_e32 v1, v1
	v_readfirstlane_b32 s6, v1
	s_delay_alu instid0(VALU_DEP_1) | instskip(NEXT) | instid1(SALU_CYCLE_1)
	s_mul_i32 s5, s5, s6
	s_mul_hi_u32 s8, s6, s5
	s_abs_i32 s5, s30
	s_add_i32 s6, s6, s8
	s_waitcnt lgkmcnt(0)
	s_cmp_eq_u64 s[2:3], 0
	s_mul_hi_u32 s6, s5, s6
	s_cbranch_scc1 .LBB294_3
; %bb.2:
	s_ashr_i32 s31, s30, 31
	s_delay_alu instid0(SALU_CYCLE_1) | instskip(NEXT) | instid1(SALU_CYCLE_1)
	s_lshl_b64 s[8:9], s[30:31], 2
	s_add_u32 s2, s2, s8
	s_addc_u32 s3, s3, s9
	s_load_b32 s42, s[2:3], 0x0
.LBB294_3:
	s_load_b128 s[8:11], s[0:1], 0x58
	v_and_b32_e32 v1, 3, v0
	s_ashr_i32 s2, s30, 31
	s_ashr_i32 s3, s7, 31
	s_mul_i32 s26, s30, 0x78
	s_mov_b32 s7, exec_lo
	v_cmpx_gt_u32_e32 60, v0
	s_cbranch_execz .LBB294_5
; %bb.4:
	s_load_b64 s[16:17], s[0:1], 0x18
	s_waitcnt lgkmcnt(0)
	s_mul_i32 s18, s14, s8
	v_lshlrev_b32_e32 v2, 2, v0
	s_ashr_i32 s19, s18, 31
	v_and_b32_e32 v3, 0x3fc, v0
	s_lshl_b64 s[18:19], s[18:19], 1
	s_delay_alu instid0(VALU_DEP_1) | instskip(SKIP_3) | instid1(SALU_CYCLE_1)
	v_mad_u32_u24 v3, v1, 60, v3
	s_add_u32 s8, s16, s18
	s_addc_u32 s11, s17, s19
	s_ashr_i32 s27, s26, 31
	s_lshl_b64 s[16:17], s[26:27], 1
	s_delay_alu instid0(SALU_CYCLE_1)
	s_add_u32 s16, s8, s16
	s_addc_u32 s17, s11, s17
	global_load_b32 v2, v2, s[16:17]
	s_waitcnt vmcnt(0)
	ds_store_b32 v3, v2
.LBB294_5:
	s_or_b32 exec_lo, exec_lo, s7
	s_load_b128 s[16:19], s[0:1], 0x78
	s_mul_i32 s7, s6, s4
	s_xor_b32 s2, s2, s3
	s_sub_i32 s3, s5, s7
	s_add_i32 s5, s6, 1
	s_sub_i32 s7, s3, s4
	s_cmp_ge_u32 s3, s4
	s_waitcnt lgkmcnt(0)
	s_cselect_b32 s5, s5, s6
	s_cselect_b32 s3, s7, s3
	s_add_i32 s6, s5, 1
	s_cmp_ge_u32 s3, s4
	s_load_b32 s4, s[0:1], 0x88
	s_cselect_b32 s3, s6, s5
	s_add_i32 s5, s33, -1
	s_xor_b32 s3, s3, s2
	s_abs_i32 s11, s5
	s_sub_i32 s3, s3, s2
	s_mov_b32 s6, -1
	s_waitcnt lgkmcnt(0)
	s_barrier
	s_abs_i32 s27, s19
	buffer_gl0_inv
	v_cvt_f32_u32_e32 v2, s27
	s_sub_i32 s2, 0, s27
                                        ; implicit-def: $sgpr40
	s_delay_alu instid0(VALU_DEP_1) | instskip(SKIP_2) | instid1(VALU_DEP_1)
	v_rcp_iflag_f32_e32 v2, v2
	s_waitcnt_depctr 0xfff
	v_mul_f32_e32 v2, 0x4f7ffffe, v2
	v_cvt_u32_f32_e32 v2, v2
	s_delay_alu instid0(VALU_DEP_1) | instskip(NEXT) | instid1(VALU_DEP_1)
	v_readfirstlane_b32 s31, v2
	s_mul_i32 s2, s2, s31
	s_delay_alu instid0(SALU_CYCLE_1) | instskip(NEXT) | instid1(SALU_CYCLE_1)
	s_mul_hi_u32 s2, s31, s2
	s_add_i32 s31, s31, s2
	s_cmp_lt_i32 s4, 0
	s_mul_hi_u32 s2, s11, s31
	s_cbranch_scc0 .LBB294_7
; %bb.6:
	s_mul_i32 s6, s16, s12
	s_delay_alu instid0(SALU_CYCLE_1) | instskip(NEXT) | instid1(SALU_CYCLE_1)
	s_add_i32 s6, s3, s6
	s_mul_i32 s6, s6, s4
	s_delay_alu instid0(SALU_CYCLE_1)
	s_sub_i32 s40, 1, s6
	s_mov_b32 s6, 0
.LBB294_7:
	s_load_b64 s[34:35], s[0:1], 0x38
	s_ashr_i32 s12, s5, 31
	s_and_not1_b32 vcc_lo, exec_lo, s6
	s_ashr_i32 s19, s19, 31
	s_cbranch_vccnz .LBB294_9
; %bb.8:
	s_mul_i32 s5, s15, s16
	s_delay_alu instid0(SALU_CYCLE_1) | instskip(NEXT) | instid1(SALU_CYCLE_1)
	s_add_i32 s5, s5, s30
	s_mul_i32 s4, s5, s4
	s_delay_alu instid0(SALU_CYCLE_1)
	s_add_i32 s40, s4, 1
.LBB294_9:
	s_clause 0x5
	s_load_b32 s16, s[0:1], 0x48
	s_load_b64 s[38:39], s[0:1], 0x28
	s_load_b128 s[20:23], s[0:1], 0x0
	s_load_b64 s[28:29], s[0:1], 0x10
	s_load_b32 s8, s[0:1], 0x98
	s_load_b128 s[4:7], s[0:1], 0x68
	s_xor_b32 s43, s12, s19
	s_mul_i32 s12, s2, s27
	s_add_i32 s41, s2, 1
	s_sub_i32 s11, s11, s12
	v_lshrrev_b32_e32 v16, 5, v0
	s_sub_i32 s12, s11, s27
	v_mov_b32_e32 v12, 0xff7fffff
	v_mbcnt_lo_u32_b32 v11, -1, 0
	s_mul_i32 s10, s3, s10
	v_lshl_add_u32 v17, v16, 3, s25
	s_waitcnt lgkmcnt(0)
	s_mul_i32 s36, s14, s16
	s_delay_alu instid0(SALU_CYCLE_1)
	s_ashr_i32 s37, s36, 31
	s_cmp_ge_u32 s11, s27
	s_cselect_b32 s2, s41, s2
	s_cselect_b32 s11, s12, s11
	s_add_i32 s12, s2, 1
	s_cmp_ge_u32 s11, s27
	s_cselect_b32 s2, s12, s2
	s_add_i32 s11, s33, 7
	s_lshl_b32 s12, s24, 6
	s_ashr_i32 s16, s11, 31
	v_or_b32_e32 v5, s12, v16
	s_lshr_b32 s16, s16, 29
	s_delay_alu instid0(SALU_CYCLE_1)
	s_add_i32 s11, s11, s16
	s_add_i32 s16, s12, 64
	s_ashr_i32 s41, s11, 3
	s_xor_b32 s11, s2, s43
	s_min_i32 s16, s16, s41
	v_ashrrev_i32_e32 v6, 31, v5
	v_cmp_gt_i32_e64 s2, s16, v5
	s_sub_i32 s11, s11, s43
	s_delay_alu instid0(VALU_DEP_1)
	s_and_saveexec_b32 s43, s2
	s_cbranch_execz .LBB294_259
; %bb.10:
	s_load_b64 s[0:1], s[0:1], 0x20
	s_sub_i32 s44, s11, s17
	s_ashr_i32 s3, s10, 31
	v_cmp_eq_u32_e32 vcc_lo, 0, v1
	v_bfe_u32 v13, v0, 2, 3
	v_dual_mov_b32 v19, 0xff7fffff :: v_dual_lshlrev_b32 v14, 1, v1
	v_mul_u32_u24_e32 v15, 60, v1
	v_lshlrev_b64 v[7:8], 2, v[5:6]
	s_delay_alu instid0(VALU_DEP_4) | instskip(SKIP_3) | instid1(VALU_DEP_3)
	v_dual_mov_b32 v23, v5 :: v_dual_lshlrev_b32 v10, 4, v13
	v_subrev_nc_u32_e32 v4, s33, v13
	v_lshl_add_u32 v18, v16, 3, s25
	v_mov_b32_e32 v12, 0xff7fffff
	v_add_nc_u32_e32 v20, 1, v4
	s_waitcnt lgkmcnt(0)
	s_add_u32 s48, s0, s10
	s_addc_u32 s1, s1, s3
	s_abs_i32 s45, s18
	s_lshl_b64 s[46:47], s[36:37], 2
	v_cvt_f32_u32_e32 v2, s45
	s_sub_i32 s3, 0, s45
	v_cmp_neq_f32_e64 s0, s42, 0
	s_delay_alu instid0(VALU_DEP_2) | instskip(SKIP_2) | instid1(VALU_DEP_1)
	v_rcp_iflag_f32_e32 v3, v2
	s_waitcnt_depctr 0xfff
	v_dual_mov_b32 v2, 0 :: v_dual_mul_f32 v3, 0x4f7ffffe, v3
	v_cvt_u32_f32_e32 v1, v3
	v_lshlrev_b32_e32 v3, 2, v13
	s_delay_alu instid0(VALU_DEP_2) | instskip(NEXT) | instid1(VALU_DEP_2)
	v_mul_lo_u32 v9, s3, v1
	v_lshl_or_b32 v3, v16, 5, v3
	s_delay_alu instid0(VALU_DEP_1) | instskip(SKIP_1) | instid1(VALU_DEP_4)
	v_add_nc_u32_e32 v21, 0x110, v3
	v_add_co_u32 v3, s3, s48, v10
	v_mul_hi_u32 v9, v1, v9
	v_add_co_ci_u32_e64 v4, null, s1, 0, s3
	s_add_u32 s1, s34, s46
	s_addc_u32 s3, s35, s47
	v_add_co_u32 v7, s1, s1, v7
	s_delay_alu instid0(VALU_DEP_1) | instskip(NEXT) | instid1(VALU_DEP_4)
	v_add_co_ci_u32_e64 v8, s1, s3, v8, s1
	v_add_nc_u32_e32 v22, v1, v9
	s_mov_b32 s46, 0
	s_mov_b32 s47, s9
	s_branch .LBB294_13
.LBB294_11:                             ;   in Loop: Header=BB294_13 Depth=1
	s_or_b32 exec_lo, exec_lo, s48
.LBB294_12:                             ;   in Loop: Header=BB294_13 Depth=1
	s_delay_alu instid0(SALU_CYCLE_1) | instskip(SKIP_2) | instid1(VALU_DEP_1)
	s_or_b32 exec_lo, exec_lo, s3
	v_add_nc_u32_e32 v23, 4, v23
	v_add_co_u32 v7, s3, v7, 16
	v_add_co_ci_u32_e64 v8, s3, 0, v8, s3
	s_delay_alu instid0(VALU_DEP_3) | instskip(SKIP_2) | instid1(VALU_DEP_3)
	v_cmp_le_i32_e64 s1, s16, v23
	v_add_nc_u32_e32 v18, 32, v18
	v_add_nc_u32_e32 v21, 0x80, v21
	s_or_b32 s46, s1, s46
	s_delay_alu instid0(SALU_CYCLE_1)
	s_and_not1_b32 exec_lo, exec_lo, s46
	s_cbranch_execz .LBB294_258
.LBB294_13:                             ; =>This Inner Loop Header: Depth=1
	v_sub_nc_u32_e32 v1, 0, v18
	s_delay_alu instid0(VALU_DEP_1) | instskip(SKIP_1) | instid1(VALU_DEP_1)
	v_max_i32_e32 v1, v18, v1
	s_waitcnt lgkmcnt(0)
	v_mul_hi_u32 v9, v1, s31
	s_delay_alu instid0(VALU_DEP_1) | instskip(NEXT) | instid1(VALU_DEP_1)
	v_mul_lo_u32 v10, v9, s27
	v_sub_nc_u32_e32 v1, v1, v10
	v_add_nc_u32_e32 v10, 1, v9
	s_delay_alu instid0(VALU_DEP_2) | instskip(SKIP_1) | instid1(VALU_DEP_1)
	v_subrev_nc_u32_e32 v24, s27, v1
	v_cmp_le_u32_e64 s1, s27, v1
	v_cndmask_b32_e64 v9, v9, v10, s1
	s_delay_alu instid0(VALU_DEP_3) | instskip(SKIP_1) | instid1(VALU_DEP_3)
	v_cndmask_b32_e64 v1, v1, v24, s1
	v_ashrrev_i32_e32 v10, 31, v18
	v_add_nc_u32_e32 v24, 1, v9
	s_delay_alu instid0(VALU_DEP_3) | instskip(NEXT) | instid1(VALU_DEP_3)
	v_cmp_le_u32_e64 s1, s27, v1
	v_xor_b32_e32 v10, s19, v10
	s_delay_alu instid0(VALU_DEP_2) | instskip(NEXT) | instid1(VALU_DEP_1)
	v_cndmask_b32_e64 v1, v9, v24, s1
	v_xor_b32_e32 v1, v1, v10
	s_delay_alu instid0(VALU_DEP_1) | instskip(NEXT) | instid1(VALU_DEP_1)
	v_sub_nc_u32_e32 v1, v1, v10
	v_add_nc_u32_e32 v9, s40, v1
	v_cmp_ge_i32_e64 s3, s44, v1
	s_delay_alu instid0(VALU_DEP_2) | instskip(NEXT) | instid1(VALU_DEP_1)
	v_sub_nc_u32_e32 v10, 0, v9
	v_max_i32_e32 v10, v9, v10
	v_ashrrev_i32_e32 v9, 31, v9
	s_delay_alu instid0(VALU_DEP_2) | instskip(NEXT) | instid1(VALU_DEP_1)
	v_mul_hi_u32 v24, v10, v22
	v_mul_lo_u32 v24, v24, s45
	s_delay_alu instid0(VALU_DEP_1) | instskip(NEXT) | instid1(VALU_DEP_1)
	v_sub_nc_u32_e32 v10, v10, v24
	v_subrev_nc_u32_e32 v24, s45, v10
	v_cmp_le_u32_e64 s1, s45, v10
	s_delay_alu instid0(VALU_DEP_1) | instskip(NEXT) | instid1(VALU_DEP_1)
	v_cndmask_b32_e64 v10, v10, v24, s1
	v_subrev_nc_u32_e32 v24, s45, v10
	v_cmp_le_u32_e64 s1, s45, v10
	s_delay_alu instid0(VALU_DEP_1) | instskip(NEXT) | instid1(VALU_DEP_1)
	v_cndmask_b32_e64 v10, v10, v24, s1
	v_xor_b32_e32 v10, v10, v9
	s_delay_alu instid0(VALU_DEP_1) | instskip(NEXT) | instid1(VALU_DEP_1)
	v_sub_nc_u32_e32 v9, v10, v9
	v_cmp_ne_u32_e64 s1, 0, v9
	s_delay_alu instid0(VALU_DEP_1) | instskip(NEXT) | instid1(SALU_CYCLE_1)
	s_and_b32 s1, s1, s3
	s_and_b32 s48, vcc_lo, s1
	s_delay_alu instid0(SALU_CYCLE_1)
	s_and_saveexec_b32 s3, s48
	s_cbranch_execz .LBB294_15
; %bb.14:                               ;   in Loop: Header=BB294_13 Depth=1
	ds_store_b32 v21, v19
.LBB294_15:                             ;   in Loop: Header=BB294_13 Depth=1
	s_or_b32 exec_lo, exec_lo, s3
	s_xor_b32 s1, s1, -1
	s_delay_alu instid0(SALU_CYCLE_1)
	s_and_saveexec_b32 s3, s1
	s_cbranch_execz .LBB294_12
; %bb.16:                               ;   in Loop: Header=BB294_13 Depth=1
	global_load_b32 v1, v[7:8], off
	v_mov_b32_e32 v25, 0
	s_waitcnt vmcnt(0)
	v_mad_i64_i32 v[9:10], null, v1, s47, v[3:4]
	s_delay_alu instid0(VALU_DEP_1) | instskip(NEXT) | instid1(VALU_DEP_1)
	v_add_co_u32 v9, s1, v9, v14
	v_add_co_ci_u32_e64 v10, s1, 0, v10, s1
	global_load_u16 v1, v[9:10], off
	global_load_b32 v24, v2, s[4:5]
	s_waitcnt vmcnt(1)
	v_and_b32_e32 v26, 0xff, v1
	v_and_b32_e32 v27, 0xffff, v1
	s_delay_alu instid0(VALU_DEP_2) | instskip(SKIP_1) | instid1(VALU_DEP_2)
	v_cmp_ne_u16_e64 s1, 0, v26
	v_mov_b32_e32 v26, 0
	s_and_saveexec_b32 s48, s1
	s_cbranch_execz .LBB294_24
; %bb.17:                               ;   in Loop: Header=BB294_13 Depth=1
	v_and_b32_e32 v1, 0xff, v27
	v_bfrev_b32_e32 v26, 1
	s_mov_b32 s49, exec_lo
	s_delay_alu instid0(VALU_DEP_2)
	v_cmpx_ne_u16_e32 0x80, v1
	s_cbranch_execz .LBB294_23
; %bb.18:                               ;   in Loop: Header=BB294_13 Depth=1
	v_and_b32_e32 v28, 0x7f, v27
	v_mov_b32_e32 v26, 0x7fc02000
	s_mov_b32 s50, exec_lo
	s_delay_alu instid0(VALU_DEP_2)
	v_cmpx_ne_u32_e32 0x7f, v28
	s_cbranch_execz .LBB294_22
; %bb.19:                               ;   in Loop: Header=BB294_13 Depth=1
	v_and_b32_e32 v1, 7, v27
	v_lshrrev_b32_e32 v26, 3, v28
	s_mov_b32 s51, exec_lo
	v_cmpx_gt_u32_e32 8, v28
; %bb.20:                               ;   in Loop: Header=BB294_13 Depth=1
	s_delay_alu instid0(VALU_DEP_3) | instskip(NEXT) | instid1(VALU_DEP_1)
	v_clz_i32_u32_e32 v26, v1
	v_min_u32_e32 v26, 32, v26
	s_delay_alu instid0(VALU_DEP_1) | instskip(SKIP_1) | instid1(VALU_DEP_2)
	v_subrev_nc_u32_e32 v28, 28, v26
	v_sub_nc_u32_e32 v26, 29, v26
	v_lshlrev_b64 v[28:29], v28, v[1:2]
	s_delay_alu instid0(VALU_DEP_1)
	v_and_b32_e32 v1, 7, v28
; %bb.21:                               ;   in Loop: Header=BB294_13 Depth=1
	s_or_b32 exec_lo, exec_lo, s51
	v_lshlrev_b32_e32 v28, 8, v27
	v_lshl_add_u32 v26, v26, 10, 0x2000
	s_delay_alu instid0(VALU_DEP_1) | instskip(NEXT) | instid1(VALU_DEP_1)
	v_and_or_b32 v26, 0x8000, v28, v26
	v_lshl_or_b32 v1, v1, 7, v26
	s_delay_alu instid0(VALU_DEP_1)
	v_cvt_f32_f16_e32 v26, v1
.LBB294_22:                             ;   in Loop: Header=BB294_13 Depth=1
	s_or_b32 exec_lo, exec_lo, s50
.LBB294_23:                             ;   in Loop: Header=BB294_13 Depth=1
	s_delay_alu instid0(SALU_CYCLE_1)
	s_or_b32 exec_lo, exec_lo, s49
.LBB294_24:                             ;   in Loop: Header=BB294_13 Depth=1
	s_delay_alu instid0(SALU_CYCLE_1) | instskip(SKIP_2) | instid1(VALU_DEP_1)
	s_or_b32 exec_lo, exec_lo, s48
	v_lshrrev_b16 v1, 8, v27
	s_mov_b32 s48, exec_lo
	v_cmpx_ne_u16_e32 0, v1
	s_cbranch_execz .LBB294_32
; %bb.25:                               ;   in Loop: Header=BB294_13 Depth=1
	v_bfrev_b32_e32 v25, 1
	s_mov_b32 s49, exec_lo
	v_cmpx_ne_u16_e32 0x80, v1
	s_cbranch_execz .LBB294_31
; %bb.26:                               ;   in Loop: Header=BB294_13 Depth=1
	v_and_b32_e32 v27, 0xffff, v1
	v_mov_b32_e32 v25, 0x7fc02000
	s_mov_b32 s50, exec_lo
	s_delay_alu instid0(VALU_DEP_2) | instskip(NEXT) | instid1(VALU_DEP_1)
	v_and_b32_e32 v28, 0x7f, v27
	v_cmpx_ne_u32_e32 0x7f, v28
	s_cbranch_execz .LBB294_30
; %bb.27:                               ;   in Loop: Header=BB294_13 Depth=1
	v_and_b32_e32 v1, 7, v27
	v_lshrrev_b32_e32 v25, 3, v28
	s_mov_b32 s51, exec_lo
	v_cmpx_gt_u32_e32 8, v28
; %bb.28:                               ;   in Loop: Header=BB294_13 Depth=1
	s_delay_alu instid0(VALU_DEP_3) | instskip(NEXT) | instid1(VALU_DEP_1)
	v_clz_i32_u32_e32 v25, v1
	v_min_u32_e32 v25, 32, v25
	s_delay_alu instid0(VALU_DEP_1) | instskip(SKIP_1) | instid1(VALU_DEP_2)
	v_subrev_nc_u32_e32 v28, 28, v25
	v_sub_nc_u32_e32 v25, 29, v25
	v_lshlrev_b64 v[28:29], v28, v[1:2]
	s_delay_alu instid0(VALU_DEP_1)
	v_and_b32_e32 v1, 7, v28
; %bb.29:                               ;   in Loop: Header=BB294_13 Depth=1
	s_or_b32 exec_lo, exec_lo, s51
	v_lshlrev_b32_e32 v27, 8, v27
	v_lshl_add_u32 v25, v25, 10, 0x2000
	s_delay_alu instid0(VALU_DEP_1) | instskip(NEXT) | instid1(VALU_DEP_1)
	v_and_or_b32 v25, 0x8000, v27, v25
	v_lshl_or_b32 v1, v1, 7, v25
	s_delay_alu instid0(VALU_DEP_1)
	v_cvt_f32_f16_e32 v25, v1
.LBB294_30:                             ;   in Loop: Header=BB294_13 Depth=1
	s_or_b32 exec_lo, exec_lo, s50
.LBB294_31:                             ;   in Loop: Header=BB294_13 Depth=1
	s_delay_alu instid0(SALU_CYCLE_1)
	s_or_b32 exec_lo, exec_lo, s49
.LBB294_32:                             ;   in Loop: Header=BB294_13 Depth=1
	s_delay_alu instid0(SALU_CYCLE_1) | instskip(SKIP_4) | instid1(VALU_DEP_2)
	s_or_b32 exec_lo, exec_lo, s48
	global_load_u16 v1, v[9:10], off offset:8
	s_waitcnt vmcnt(0)
	v_dual_mov_b32 v27, 0 :: v_dual_and_b32 v28, 0xff, v1
	v_and_b32_e32 v29, 0xffff, v1
	v_cmp_ne_u16_e64 s1, 0, v28
	v_mov_b32_e32 v28, 0
	s_delay_alu instid0(VALU_DEP_2)
	s_and_saveexec_b32 s48, s1
	s_cbranch_execz .LBB294_40
; %bb.33:                               ;   in Loop: Header=BB294_13 Depth=1
	v_and_b32_e32 v1, 0xff, v29
	v_bfrev_b32_e32 v28, 1
	s_mov_b32 s49, exec_lo
	s_delay_alu instid0(VALU_DEP_2)
	v_cmpx_ne_u16_e32 0x80, v1
	s_cbranch_execz .LBB294_39
; %bb.34:                               ;   in Loop: Header=BB294_13 Depth=1
	v_and_b32_e32 v30, 0x7f, v29
	v_mov_b32_e32 v28, 0x7fc02000
	s_mov_b32 s50, exec_lo
	s_delay_alu instid0(VALU_DEP_2)
	v_cmpx_ne_u32_e32 0x7f, v30
	s_cbranch_execz .LBB294_38
; %bb.35:                               ;   in Loop: Header=BB294_13 Depth=1
	v_and_b32_e32 v1, 7, v29
	v_lshrrev_b32_e32 v28, 3, v30
	s_mov_b32 s51, exec_lo
	v_cmpx_gt_u32_e32 8, v30
; %bb.36:                               ;   in Loop: Header=BB294_13 Depth=1
	s_delay_alu instid0(VALU_DEP_3) | instskip(NEXT) | instid1(VALU_DEP_1)
	v_clz_i32_u32_e32 v28, v1
	v_min_u32_e32 v28, 32, v28
	s_delay_alu instid0(VALU_DEP_1) | instskip(SKIP_1) | instid1(VALU_DEP_2)
	v_subrev_nc_u32_e32 v30, 28, v28
	v_sub_nc_u32_e32 v28, 29, v28
	v_lshlrev_b64 v[30:31], v30, v[1:2]
	s_delay_alu instid0(VALU_DEP_1)
	v_and_b32_e32 v1, 7, v30
; %bb.37:                               ;   in Loop: Header=BB294_13 Depth=1
	s_or_b32 exec_lo, exec_lo, s51
	v_lshlrev_b32_e32 v30, 8, v29
	v_lshl_add_u32 v28, v28, 10, 0x2000
	s_delay_alu instid0(VALU_DEP_1) | instskip(NEXT) | instid1(VALU_DEP_1)
	v_and_or_b32 v28, 0x8000, v30, v28
	v_lshl_or_b32 v1, v1, 7, v28
	s_delay_alu instid0(VALU_DEP_1)
	v_cvt_f32_f16_e32 v28, v1
.LBB294_38:                             ;   in Loop: Header=BB294_13 Depth=1
	s_or_b32 exec_lo, exec_lo, s50
.LBB294_39:                             ;   in Loop: Header=BB294_13 Depth=1
	s_delay_alu instid0(SALU_CYCLE_1)
	s_or_b32 exec_lo, exec_lo, s49
.LBB294_40:                             ;   in Loop: Header=BB294_13 Depth=1
	s_delay_alu instid0(SALU_CYCLE_1) | instskip(SKIP_2) | instid1(VALU_DEP_1)
	s_or_b32 exec_lo, exec_lo, s48
	v_lshrrev_b16 v1, 8, v29
	s_mov_b32 s48, exec_lo
	v_cmpx_ne_u16_e32 0, v1
	s_cbranch_execz .LBB294_48
; %bb.41:                               ;   in Loop: Header=BB294_13 Depth=1
	v_bfrev_b32_e32 v27, 1
	s_mov_b32 s49, exec_lo
	v_cmpx_ne_u16_e32 0x80, v1
	s_cbranch_execz .LBB294_47
; %bb.42:                               ;   in Loop: Header=BB294_13 Depth=1
	v_and_b32_e32 v29, 0xffff, v1
	v_mov_b32_e32 v27, 0x7fc02000
	s_mov_b32 s50, exec_lo
	s_delay_alu instid0(VALU_DEP_2) | instskip(NEXT) | instid1(VALU_DEP_1)
	v_and_b32_e32 v30, 0x7f, v29
	v_cmpx_ne_u32_e32 0x7f, v30
	s_cbranch_execz .LBB294_46
; %bb.43:                               ;   in Loop: Header=BB294_13 Depth=1
	v_and_b32_e32 v1, 7, v29
	v_lshrrev_b32_e32 v27, 3, v30
	s_mov_b32 s51, exec_lo
	v_cmpx_gt_u32_e32 8, v30
; %bb.44:                               ;   in Loop: Header=BB294_13 Depth=1
	s_delay_alu instid0(VALU_DEP_3) | instskip(NEXT) | instid1(VALU_DEP_1)
	v_clz_i32_u32_e32 v27, v1
	v_min_u32_e32 v27, 32, v27
	s_delay_alu instid0(VALU_DEP_1) | instskip(SKIP_1) | instid1(VALU_DEP_2)
	v_subrev_nc_u32_e32 v30, 28, v27
	v_sub_nc_u32_e32 v27, 29, v27
	v_lshlrev_b64 v[30:31], v30, v[1:2]
	s_delay_alu instid0(VALU_DEP_1)
	v_and_b32_e32 v1, 7, v30
; %bb.45:                               ;   in Loop: Header=BB294_13 Depth=1
	s_or_b32 exec_lo, exec_lo, s51
	v_lshlrev_b32_e32 v29, 8, v29
	v_lshl_add_u32 v27, v27, 10, 0x2000
	s_delay_alu instid0(VALU_DEP_1) | instskip(NEXT) | instid1(VALU_DEP_1)
	v_and_or_b32 v27, 0x8000, v29, v27
	v_lshl_or_b32 v1, v1, 7, v27
	s_delay_alu instid0(VALU_DEP_1)
	v_cvt_f32_f16_e32 v27, v1
.LBB294_46:                             ;   in Loop: Header=BB294_13 Depth=1
	s_or_b32 exec_lo, exec_lo, s50
.LBB294_47:                             ;   in Loop: Header=BB294_13 Depth=1
	s_delay_alu instid0(SALU_CYCLE_1)
	s_or_b32 exec_lo, exec_lo, s49
.LBB294_48:                             ;   in Loop: Header=BB294_13 Depth=1
	s_delay_alu instid0(SALU_CYCLE_1) | instskip(SKIP_4) | instid1(VALU_DEP_2)
	s_or_b32 exec_lo, exec_lo, s48
	global_load_u16 v1, v[9:10], off offset:128
	s_waitcnt vmcnt(0)
	v_dual_mov_b32 v29, 0 :: v_dual_and_b32 v30, 0xff, v1
	v_and_b32_e32 v31, 0xffff, v1
	v_cmp_ne_u16_e64 s1, 0, v30
	v_mov_b32_e32 v30, 0
	s_delay_alu instid0(VALU_DEP_2)
	s_and_saveexec_b32 s48, s1
	s_cbranch_execz .LBB294_56
; %bb.49:                               ;   in Loop: Header=BB294_13 Depth=1
	v_and_b32_e32 v1, 0xff, v31
	v_bfrev_b32_e32 v30, 1
	s_mov_b32 s49, exec_lo
	s_delay_alu instid0(VALU_DEP_2)
	v_cmpx_ne_u16_e32 0x80, v1
	s_cbranch_execz .LBB294_55
; %bb.50:                               ;   in Loop: Header=BB294_13 Depth=1
	v_and_b32_e32 v32, 0x7f, v31
	v_mov_b32_e32 v30, 0x7fc02000
	s_mov_b32 s50, exec_lo
	s_delay_alu instid0(VALU_DEP_2)
	v_cmpx_ne_u32_e32 0x7f, v32
	s_cbranch_execz .LBB294_54
; %bb.51:                               ;   in Loop: Header=BB294_13 Depth=1
	v_and_b32_e32 v1, 7, v31
	v_lshrrev_b32_e32 v30, 3, v32
	s_mov_b32 s51, exec_lo
	v_cmpx_gt_u32_e32 8, v32
; %bb.52:                               ;   in Loop: Header=BB294_13 Depth=1
	s_delay_alu instid0(VALU_DEP_3) | instskip(NEXT) | instid1(VALU_DEP_1)
	v_clz_i32_u32_e32 v30, v1
	v_min_u32_e32 v30, 32, v30
	s_delay_alu instid0(VALU_DEP_1) | instskip(SKIP_1) | instid1(VALU_DEP_2)
	v_subrev_nc_u32_e32 v32, 28, v30
	v_sub_nc_u32_e32 v30, 29, v30
	v_lshlrev_b64 v[32:33], v32, v[1:2]
	s_delay_alu instid0(VALU_DEP_1)
	v_and_b32_e32 v1, 7, v32
; %bb.53:                               ;   in Loop: Header=BB294_13 Depth=1
	s_or_b32 exec_lo, exec_lo, s51
	v_lshlrev_b32_e32 v32, 8, v31
	v_lshl_add_u32 v30, v30, 10, 0x2000
	s_delay_alu instid0(VALU_DEP_1) | instskip(NEXT) | instid1(VALU_DEP_1)
	v_and_or_b32 v30, 0x8000, v32, v30
	v_lshl_or_b32 v1, v1, 7, v30
	s_delay_alu instid0(VALU_DEP_1)
	v_cvt_f32_f16_e32 v30, v1
.LBB294_54:                             ;   in Loop: Header=BB294_13 Depth=1
	s_or_b32 exec_lo, exec_lo, s50
.LBB294_55:                             ;   in Loop: Header=BB294_13 Depth=1
	s_delay_alu instid0(SALU_CYCLE_1)
	s_or_b32 exec_lo, exec_lo, s49
.LBB294_56:                             ;   in Loop: Header=BB294_13 Depth=1
	s_delay_alu instid0(SALU_CYCLE_1) | instskip(SKIP_2) | instid1(VALU_DEP_1)
	s_or_b32 exec_lo, exec_lo, s48
	v_lshrrev_b16 v1, 8, v31
	s_mov_b32 s48, exec_lo
	v_cmpx_ne_u16_e32 0, v1
	s_cbranch_execz .LBB294_64
; %bb.57:                               ;   in Loop: Header=BB294_13 Depth=1
	v_bfrev_b32_e32 v29, 1
	s_mov_b32 s49, exec_lo
	v_cmpx_ne_u16_e32 0x80, v1
	s_cbranch_execz .LBB294_63
; %bb.58:                               ;   in Loop: Header=BB294_13 Depth=1
	v_and_b32_e32 v31, 0xffff, v1
	v_mov_b32_e32 v29, 0x7fc02000
	s_mov_b32 s50, exec_lo
	s_delay_alu instid0(VALU_DEP_2) | instskip(NEXT) | instid1(VALU_DEP_1)
	v_and_b32_e32 v32, 0x7f, v31
	v_cmpx_ne_u32_e32 0x7f, v32
	s_cbranch_execz .LBB294_62
; %bb.59:                               ;   in Loop: Header=BB294_13 Depth=1
	v_and_b32_e32 v1, 7, v31
	v_lshrrev_b32_e32 v29, 3, v32
	s_mov_b32 s51, exec_lo
	v_cmpx_gt_u32_e32 8, v32
; %bb.60:                               ;   in Loop: Header=BB294_13 Depth=1
	s_delay_alu instid0(VALU_DEP_3) | instskip(NEXT) | instid1(VALU_DEP_1)
	v_clz_i32_u32_e32 v29, v1
	v_min_u32_e32 v29, 32, v29
	s_delay_alu instid0(VALU_DEP_1) | instskip(SKIP_1) | instid1(VALU_DEP_2)
	v_subrev_nc_u32_e32 v32, 28, v29
	v_sub_nc_u32_e32 v29, 29, v29
	v_lshlrev_b64 v[32:33], v32, v[1:2]
	s_delay_alu instid0(VALU_DEP_1)
	v_and_b32_e32 v1, 7, v32
; %bb.61:                               ;   in Loop: Header=BB294_13 Depth=1
	s_or_b32 exec_lo, exec_lo, s51
	v_lshlrev_b32_e32 v31, 8, v31
	v_lshl_add_u32 v29, v29, 10, 0x2000
	s_delay_alu instid0(VALU_DEP_1) | instskip(NEXT) | instid1(VALU_DEP_1)
	v_and_or_b32 v29, 0x8000, v31, v29
	v_lshl_or_b32 v1, v1, 7, v29
	s_delay_alu instid0(VALU_DEP_1)
	v_cvt_f32_f16_e32 v29, v1
.LBB294_62:                             ;   in Loop: Header=BB294_13 Depth=1
	s_or_b32 exec_lo, exec_lo, s50
.LBB294_63:                             ;   in Loop: Header=BB294_13 Depth=1
	s_delay_alu instid0(SALU_CYCLE_1)
	s_or_b32 exec_lo, exec_lo, s49
.LBB294_64:                             ;   in Loop: Header=BB294_13 Depth=1
	s_delay_alu instid0(SALU_CYCLE_1) | instskip(SKIP_4) | instid1(VALU_DEP_2)
	s_or_b32 exec_lo, exec_lo, s48
	global_load_u16 v1, v[9:10], off offset:136
	s_waitcnt vmcnt(0)
	v_dual_mov_b32 v31, 0 :: v_dual_and_b32 v32, 0xff, v1
	v_and_b32_e32 v33, 0xffff, v1
	v_cmp_ne_u16_e64 s1, 0, v32
	v_mov_b32_e32 v32, 0
	s_delay_alu instid0(VALU_DEP_2)
	s_and_saveexec_b32 s48, s1
	s_cbranch_execz .LBB294_72
; %bb.65:                               ;   in Loop: Header=BB294_13 Depth=1
	v_and_b32_e32 v1, 0xff, v33
	v_bfrev_b32_e32 v32, 1
	s_mov_b32 s49, exec_lo
	s_delay_alu instid0(VALU_DEP_2)
	v_cmpx_ne_u16_e32 0x80, v1
	s_cbranch_execz .LBB294_71
; %bb.66:                               ;   in Loop: Header=BB294_13 Depth=1
	v_and_b32_e32 v34, 0x7f, v33
	v_mov_b32_e32 v32, 0x7fc02000
	s_mov_b32 s50, exec_lo
	s_delay_alu instid0(VALU_DEP_2)
	v_cmpx_ne_u32_e32 0x7f, v34
	s_cbranch_execz .LBB294_70
; %bb.67:                               ;   in Loop: Header=BB294_13 Depth=1
	v_and_b32_e32 v1, 7, v33
	v_lshrrev_b32_e32 v32, 3, v34
	s_mov_b32 s51, exec_lo
	v_cmpx_gt_u32_e32 8, v34
; %bb.68:                               ;   in Loop: Header=BB294_13 Depth=1
	s_delay_alu instid0(VALU_DEP_3) | instskip(NEXT) | instid1(VALU_DEP_1)
	v_clz_i32_u32_e32 v32, v1
	v_min_u32_e32 v32, 32, v32
	s_delay_alu instid0(VALU_DEP_1) | instskip(SKIP_1) | instid1(VALU_DEP_2)
	v_subrev_nc_u32_e32 v34, 28, v32
	v_sub_nc_u32_e32 v32, 29, v32
	v_lshlrev_b64 v[34:35], v34, v[1:2]
	s_delay_alu instid0(VALU_DEP_1)
	v_and_b32_e32 v1, 7, v34
; %bb.69:                               ;   in Loop: Header=BB294_13 Depth=1
	s_or_b32 exec_lo, exec_lo, s51
	v_lshlrev_b32_e32 v34, 8, v33
	v_lshl_add_u32 v32, v32, 10, 0x2000
	s_delay_alu instid0(VALU_DEP_1) | instskip(NEXT) | instid1(VALU_DEP_1)
	v_and_or_b32 v32, 0x8000, v34, v32
	v_lshl_or_b32 v1, v1, 7, v32
	s_delay_alu instid0(VALU_DEP_1)
	v_cvt_f32_f16_e32 v32, v1
.LBB294_70:                             ;   in Loop: Header=BB294_13 Depth=1
	s_or_b32 exec_lo, exec_lo, s50
.LBB294_71:                             ;   in Loop: Header=BB294_13 Depth=1
	s_delay_alu instid0(SALU_CYCLE_1)
	s_or_b32 exec_lo, exec_lo, s49
.LBB294_72:                             ;   in Loop: Header=BB294_13 Depth=1
	s_delay_alu instid0(SALU_CYCLE_1) | instskip(SKIP_2) | instid1(VALU_DEP_1)
	s_or_b32 exec_lo, exec_lo, s48
	v_lshrrev_b16 v1, 8, v33
	s_mov_b32 s48, exec_lo
	v_cmpx_ne_u16_e32 0, v1
	s_cbranch_execz .LBB294_80
; %bb.73:                               ;   in Loop: Header=BB294_13 Depth=1
	v_bfrev_b32_e32 v31, 1
	s_mov_b32 s49, exec_lo
	v_cmpx_ne_u16_e32 0x80, v1
	s_cbranch_execz .LBB294_79
; %bb.74:                               ;   in Loop: Header=BB294_13 Depth=1
	v_and_b32_e32 v33, 0xffff, v1
	v_mov_b32_e32 v31, 0x7fc02000
	s_mov_b32 s50, exec_lo
	s_delay_alu instid0(VALU_DEP_2) | instskip(NEXT) | instid1(VALU_DEP_1)
	v_and_b32_e32 v34, 0x7f, v33
	v_cmpx_ne_u32_e32 0x7f, v34
	s_cbranch_execz .LBB294_78
; %bb.75:                               ;   in Loop: Header=BB294_13 Depth=1
	v_and_b32_e32 v1, 7, v33
	v_lshrrev_b32_e32 v31, 3, v34
	s_mov_b32 s51, exec_lo
	v_cmpx_gt_u32_e32 8, v34
; %bb.76:                               ;   in Loop: Header=BB294_13 Depth=1
	s_delay_alu instid0(VALU_DEP_3) | instskip(NEXT) | instid1(VALU_DEP_1)
	v_clz_i32_u32_e32 v31, v1
	v_min_u32_e32 v31, 32, v31
	s_delay_alu instid0(VALU_DEP_1) | instskip(SKIP_1) | instid1(VALU_DEP_2)
	v_subrev_nc_u32_e32 v34, 28, v31
	v_sub_nc_u32_e32 v31, 29, v31
	v_lshlrev_b64 v[34:35], v34, v[1:2]
	s_delay_alu instid0(VALU_DEP_1)
	v_and_b32_e32 v1, 7, v34
; %bb.77:                               ;   in Loop: Header=BB294_13 Depth=1
	s_or_b32 exec_lo, exec_lo, s51
	v_lshlrev_b32_e32 v33, 8, v33
	v_lshl_add_u32 v31, v31, 10, 0x2000
	s_delay_alu instid0(VALU_DEP_1) | instskip(NEXT) | instid1(VALU_DEP_1)
	v_and_or_b32 v31, 0x8000, v33, v31
	v_lshl_or_b32 v1, v1, 7, v31
	s_delay_alu instid0(VALU_DEP_1)
	v_cvt_f32_f16_e32 v31, v1
.LBB294_78:                             ;   in Loop: Header=BB294_13 Depth=1
	s_or_b32 exec_lo, exec_lo, s50
.LBB294_79:                             ;   in Loop: Header=BB294_13 Depth=1
	s_delay_alu instid0(SALU_CYCLE_1)
	s_or_b32 exec_lo, exec_lo, s49
.LBB294_80:                             ;   in Loop: Header=BB294_13 Depth=1
	s_delay_alu instid0(SALU_CYCLE_1) | instskip(SKIP_4) | instid1(VALU_DEP_2)
	s_or_b32 exec_lo, exec_lo, s48
	global_load_u16 v1, v[9:10], off offset:256
	s_waitcnt vmcnt(0)
	v_dual_mov_b32 v33, 0 :: v_dual_and_b32 v34, 0xff, v1
	v_and_b32_e32 v35, 0xffff, v1
	v_cmp_ne_u16_e64 s1, 0, v34
	v_mov_b32_e32 v34, 0
	s_delay_alu instid0(VALU_DEP_2)
	s_and_saveexec_b32 s48, s1
	s_cbranch_execz .LBB294_88
; %bb.81:                               ;   in Loop: Header=BB294_13 Depth=1
	v_and_b32_e32 v1, 0xff, v35
	v_bfrev_b32_e32 v34, 1
	s_mov_b32 s49, exec_lo
	s_delay_alu instid0(VALU_DEP_2)
	v_cmpx_ne_u16_e32 0x80, v1
	s_cbranch_execz .LBB294_87
; %bb.82:                               ;   in Loop: Header=BB294_13 Depth=1
	v_and_b32_e32 v36, 0x7f, v35
	v_mov_b32_e32 v34, 0x7fc02000
	s_mov_b32 s50, exec_lo
	s_delay_alu instid0(VALU_DEP_2)
	v_cmpx_ne_u32_e32 0x7f, v36
	s_cbranch_execz .LBB294_86
; %bb.83:                               ;   in Loop: Header=BB294_13 Depth=1
	v_and_b32_e32 v1, 7, v35
	v_lshrrev_b32_e32 v34, 3, v36
	s_mov_b32 s51, exec_lo
	v_cmpx_gt_u32_e32 8, v36
; %bb.84:                               ;   in Loop: Header=BB294_13 Depth=1
	s_delay_alu instid0(VALU_DEP_3) | instskip(NEXT) | instid1(VALU_DEP_1)
	v_clz_i32_u32_e32 v34, v1
	v_min_u32_e32 v34, 32, v34
	s_delay_alu instid0(VALU_DEP_1) | instskip(SKIP_1) | instid1(VALU_DEP_2)
	v_subrev_nc_u32_e32 v36, 28, v34
	v_sub_nc_u32_e32 v34, 29, v34
	v_lshlrev_b64 v[36:37], v36, v[1:2]
	s_delay_alu instid0(VALU_DEP_1)
	v_and_b32_e32 v1, 7, v36
; %bb.85:                               ;   in Loop: Header=BB294_13 Depth=1
	s_or_b32 exec_lo, exec_lo, s51
	v_lshlrev_b32_e32 v36, 8, v35
	v_lshl_add_u32 v34, v34, 10, 0x2000
	s_delay_alu instid0(VALU_DEP_1) | instskip(NEXT) | instid1(VALU_DEP_1)
	v_and_or_b32 v34, 0x8000, v36, v34
	v_lshl_or_b32 v1, v1, 7, v34
	s_delay_alu instid0(VALU_DEP_1)
	v_cvt_f32_f16_e32 v34, v1
.LBB294_86:                             ;   in Loop: Header=BB294_13 Depth=1
	s_or_b32 exec_lo, exec_lo, s50
.LBB294_87:                             ;   in Loop: Header=BB294_13 Depth=1
	s_delay_alu instid0(SALU_CYCLE_1)
	s_or_b32 exec_lo, exec_lo, s49
.LBB294_88:                             ;   in Loop: Header=BB294_13 Depth=1
	s_delay_alu instid0(SALU_CYCLE_1) | instskip(SKIP_2) | instid1(VALU_DEP_1)
	s_or_b32 exec_lo, exec_lo, s48
	v_lshrrev_b16 v1, 8, v35
	s_mov_b32 s48, exec_lo
	v_cmpx_ne_u16_e32 0, v1
	s_cbranch_execz .LBB294_96
; %bb.89:                               ;   in Loop: Header=BB294_13 Depth=1
	v_bfrev_b32_e32 v33, 1
	s_mov_b32 s49, exec_lo
	v_cmpx_ne_u16_e32 0x80, v1
	s_cbranch_execz .LBB294_95
; %bb.90:                               ;   in Loop: Header=BB294_13 Depth=1
	v_and_b32_e32 v35, 0xffff, v1
	v_mov_b32_e32 v33, 0x7fc02000
	s_mov_b32 s50, exec_lo
	s_delay_alu instid0(VALU_DEP_2) | instskip(NEXT) | instid1(VALU_DEP_1)
	v_and_b32_e32 v36, 0x7f, v35
	v_cmpx_ne_u32_e32 0x7f, v36
	s_cbranch_execz .LBB294_94
; %bb.91:                               ;   in Loop: Header=BB294_13 Depth=1
	v_and_b32_e32 v1, 7, v35
	v_lshrrev_b32_e32 v33, 3, v36
	s_mov_b32 s51, exec_lo
	v_cmpx_gt_u32_e32 8, v36
; %bb.92:                               ;   in Loop: Header=BB294_13 Depth=1
	s_delay_alu instid0(VALU_DEP_3) | instskip(NEXT) | instid1(VALU_DEP_1)
	v_clz_i32_u32_e32 v33, v1
	v_min_u32_e32 v33, 32, v33
	s_delay_alu instid0(VALU_DEP_1) | instskip(SKIP_1) | instid1(VALU_DEP_2)
	v_subrev_nc_u32_e32 v36, 28, v33
	v_sub_nc_u32_e32 v33, 29, v33
	v_lshlrev_b64 v[36:37], v36, v[1:2]
	s_delay_alu instid0(VALU_DEP_1)
	v_and_b32_e32 v1, 7, v36
; %bb.93:                               ;   in Loop: Header=BB294_13 Depth=1
	s_or_b32 exec_lo, exec_lo, s51
	v_lshlrev_b32_e32 v35, 8, v35
	v_lshl_add_u32 v33, v33, 10, 0x2000
	s_delay_alu instid0(VALU_DEP_1) | instskip(NEXT) | instid1(VALU_DEP_1)
	v_and_or_b32 v33, 0x8000, v35, v33
	v_lshl_or_b32 v1, v1, 7, v33
	s_delay_alu instid0(VALU_DEP_1)
	v_cvt_f32_f16_e32 v33, v1
.LBB294_94:                             ;   in Loop: Header=BB294_13 Depth=1
	s_or_b32 exec_lo, exec_lo, s50
.LBB294_95:                             ;   in Loop: Header=BB294_13 Depth=1
	s_delay_alu instid0(SALU_CYCLE_1)
	s_or_b32 exec_lo, exec_lo, s49
.LBB294_96:                             ;   in Loop: Header=BB294_13 Depth=1
	s_delay_alu instid0(SALU_CYCLE_1) | instskip(SKIP_4) | instid1(VALU_DEP_2)
	s_or_b32 exec_lo, exec_lo, s48
	global_load_u16 v1, v[9:10], off offset:264
	s_waitcnt vmcnt(0)
	v_dual_mov_b32 v35, 0 :: v_dual_and_b32 v36, 0xff, v1
	v_and_b32_e32 v37, 0xffff, v1
	v_cmp_ne_u16_e64 s1, 0, v36
	v_mov_b32_e32 v36, 0
	s_delay_alu instid0(VALU_DEP_2)
	s_and_saveexec_b32 s48, s1
	s_cbranch_execz .LBB294_104
; %bb.97:                               ;   in Loop: Header=BB294_13 Depth=1
	v_and_b32_e32 v1, 0xff, v37
	v_bfrev_b32_e32 v36, 1
	s_mov_b32 s49, exec_lo
	s_delay_alu instid0(VALU_DEP_2)
	v_cmpx_ne_u16_e32 0x80, v1
	s_cbranch_execz .LBB294_103
; %bb.98:                               ;   in Loop: Header=BB294_13 Depth=1
	v_and_b32_e32 v38, 0x7f, v37
	v_mov_b32_e32 v36, 0x7fc02000
	s_mov_b32 s50, exec_lo
	s_delay_alu instid0(VALU_DEP_2)
	v_cmpx_ne_u32_e32 0x7f, v38
	s_cbranch_execz .LBB294_102
; %bb.99:                               ;   in Loop: Header=BB294_13 Depth=1
	v_and_b32_e32 v1, 7, v37
	v_lshrrev_b32_e32 v36, 3, v38
	s_mov_b32 s51, exec_lo
	v_cmpx_gt_u32_e32 8, v38
; %bb.100:                              ;   in Loop: Header=BB294_13 Depth=1
	s_delay_alu instid0(VALU_DEP_3) | instskip(NEXT) | instid1(VALU_DEP_1)
	v_clz_i32_u32_e32 v36, v1
	v_min_u32_e32 v36, 32, v36
	s_delay_alu instid0(VALU_DEP_1) | instskip(SKIP_1) | instid1(VALU_DEP_2)
	v_subrev_nc_u32_e32 v38, 28, v36
	v_sub_nc_u32_e32 v36, 29, v36
	v_lshlrev_b64 v[38:39], v38, v[1:2]
	s_delay_alu instid0(VALU_DEP_1)
	v_and_b32_e32 v1, 7, v38
; %bb.101:                              ;   in Loop: Header=BB294_13 Depth=1
	s_or_b32 exec_lo, exec_lo, s51
	v_lshlrev_b32_e32 v38, 8, v37
	v_lshl_add_u32 v36, v36, 10, 0x2000
	s_delay_alu instid0(VALU_DEP_1) | instskip(NEXT) | instid1(VALU_DEP_1)
	v_and_or_b32 v36, 0x8000, v38, v36
	v_lshl_or_b32 v1, v1, 7, v36
	s_delay_alu instid0(VALU_DEP_1)
	v_cvt_f32_f16_e32 v36, v1
.LBB294_102:                            ;   in Loop: Header=BB294_13 Depth=1
	s_or_b32 exec_lo, exec_lo, s50
.LBB294_103:                            ;   in Loop: Header=BB294_13 Depth=1
	s_delay_alu instid0(SALU_CYCLE_1)
	s_or_b32 exec_lo, exec_lo, s49
.LBB294_104:                            ;   in Loop: Header=BB294_13 Depth=1
	s_delay_alu instid0(SALU_CYCLE_1) | instskip(SKIP_2) | instid1(VALU_DEP_1)
	s_or_b32 exec_lo, exec_lo, s48
	v_lshrrev_b16 v1, 8, v37
	s_mov_b32 s48, exec_lo
	v_cmpx_ne_u16_e32 0, v1
	s_cbranch_execz .LBB294_112
; %bb.105:                              ;   in Loop: Header=BB294_13 Depth=1
	v_bfrev_b32_e32 v35, 1
	s_mov_b32 s49, exec_lo
	v_cmpx_ne_u16_e32 0x80, v1
	s_cbranch_execz .LBB294_111
; %bb.106:                              ;   in Loop: Header=BB294_13 Depth=1
	v_and_b32_e32 v37, 0xffff, v1
	v_mov_b32_e32 v35, 0x7fc02000
	s_mov_b32 s50, exec_lo
	s_delay_alu instid0(VALU_DEP_2) | instskip(NEXT) | instid1(VALU_DEP_1)
	v_and_b32_e32 v38, 0x7f, v37
	v_cmpx_ne_u32_e32 0x7f, v38
	s_cbranch_execz .LBB294_110
; %bb.107:                              ;   in Loop: Header=BB294_13 Depth=1
	v_and_b32_e32 v1, 7, v37
	v_lshrrev_b32_e32 v35, 3, v38
	s_mov_b32 s51, exec_lo
	v_cmpx_gt_u32_e32 8, v38
; %bb.108:                              ;   in Loop: Header=BB294_13 Depth=1
	s_delay_alu instid0(VALU_DEP_3) | instskip(NEXT) | instid1(VALU_DEP_1)
	v_clz_i32_u32_e32 v35, v1
	v_min_u32_e32 v35, 32, v35
	s_delay_alu instid0(VALU_DEP_1) | instskip(SKIP_1) | instid1(VALU_DEP_2)
	v_subrev_nc_u32_e32 v38, 28, v35
	v_sub_nc_u32_e32 v35, 29, v35
	v_lshlrev_b64 v[38:39], v38, v[1:2]
	s_delay_alu instid0(VALU_DEP_1)
	v_and_b32_e32 v1, 7, v38
; %bb.109:                              ;   in Loop: Header=BB294_13 Depth=1
	s_or_b32 exec_lo, exec_lo, s51
	v_lshlrev_b32_e32 v37, 8, v37
	v_lshl_add_u32 v35, v35, 10, 0x2000
	s_delay_alu instid0(VALU_DEP_1) | instskip(NEXT) | instid1(VALU_DEP_1)
	v_and_or_b32 v35, 0x8000, v37, v35
	v_lshl_or_b32 v1, v1, 7, v35
	s_delay_alu instid0(VALU_DEP_1)
	v_cvt_f32_f16_e32 v35, v1
.LBB294_110:                            ;   in Loop: Header=BB294_13 Depth=1
	s_or_b32 exec_lo, exec_lo, s50
.LBB294_111:                            ;   in Loop: Header=BB294_13 Depth=1
	s_delay_alu instid0(SALU_CYCLE_1)
	s_or_b32 exec_lo, exec_lo, s49
.LBB294_112:                            ;   in Loop: Header=BB294_13 Depth=1
	s_delay_alu instid0(SALU_CYCLE_1) | instskip(SKIP_4) | instid1(VALU_DEP_2)
	s_or_b32 exec_lo, exec_lo, s48
	global_load_u16 v1, v[9:10], off offset:384
	s_waitcnt vmcnt(0)
	v_dual_mov_b32 v37, 0 :: v_dual_and_b32 v38, 0xff, v1
	v_and_b32_e32 v39, 0xffff, v1
	v_cmp_ne_u16_e64 s1, 0, v38
	v_mov_b32_e32 v38, 0
	s_delay_alu instid0(VALU_DEP_2)
	s_and_saveexec_b32 s48, s1
	s_cbranch_execz .LBB294_120
; %bb.113:                              ;   in Loop: Header=BB294_13 Depth=1
	v_and_b32_e32 v1, 0xff, v39
	v_bfrev_b32_e32 v38, 1
	s_mov_b32 s49, exec_lo
	s_delay_alu instid0(VALU_DEP_2)
	v_cmpx_ne_u16_e32 0x80, v1
	s_cbranch_execz .LBB294_119
; %bb.114:                              ;   in Loop: Header=BB294_13 Depth=1
	v_and_b32_e32 v40, 0x7f, v39
	v_mov_b32_e32 v38, 0x7fc02000
	s_mov_b32 s50, exec_lo
	s_delay_alu instid0(VALU_DEP_2)
	v_cmpx_ne_u32_e32 0x7f, v40
	s_cbranch_execz .LBB294_118
; %bb.115:                              ;   in Loop: Header=BB294_13 Depth=1
	v_and_b32_e32 v1, 7, v39
	v_lshrrev_b32_e32 v38, 3, v40
	s_mov_b32 s51, exec_lo
	v_cmpx_gt_u32_e32 8, v40
; %bb.116:                              ;   in Loop: Header=BB294_13 Depth=1
	s_delay_alu instid0(VALU_DEP_3) | instskip(NEXT) | instid1(VALU_DEP_1)
	v_clz_i32_u32_e32 v38, v1
	v_min_u32_e32 v38, 32, v38
	s_delay_alu instid0(VALU_DEP_1) | instskip(SKIP_1) | instid1(VALU_DEP_2)
	v_subrev_nc_u32_e32 v40, 28, v38
	v_sub_nc_u32_e32 v38, 29, v38
	v_lshlrev_b64 v[40:41], v40, v[1:2]
	s_delay_alu instid0(VALU_DEP_1)
	v_and_b32_e32 v1, 7, v40
; %bb.117:                              ;   in Loop: Header=BB294_13 Depth=1
	s_or_b32 exec_lo, exec_lo, s51
	v_lshlrev_b32_e32 v40, 8, v39
	v_lshl_add_u32 v38, v38, 10, 0x2000
	s_delay_alu instid0(VALU_DEP_1) | instskip(NEXT) | instid1(VALU_DEP_1)
	v_and_or_b32 v38, 0x8000, v40, v38
	v_lshl_or_b32 v1, v1, 7, v38
	s_delay_alu instid0(VALU_DEP_1)
	v_cvt_f32_f16_e32 v38, v1
.LBB294_118:                            ;   in Loop: Header=BB294_13 Depth=1
	s_or_b32 exec_lo, exec_lo, s50
.LBB294_119:                            ;   in Loop: Header=BB294_13 Depth=1
	s_delay_alu instid0(SALU_CYCLE_1)
	s_or_b32 exec_lo, exec_lo, s49
.LBB294_120:                            ;   in Loop: Header=BB294_13 Depth=1
	s_delay_alu instid0(SALU_CYCLE_1) | instskip(SKIP_2) | instid1(VALU_DEP_1)
	s_or_b32 exec_lo, exec_lo, s48
	v_lshrrev_b16 v1, 8, v39
	s_mov_b32 s48, exec_lo
	v_cmpx_ne_u16_e32 0, v1
	s_cbranch_execz .LBB294_128
; %bb.121:                              ;   in Loop: Header=BB294_13 Depth=1
	v_bfrev_b32_e32 v37, 1
	s_mov_b32 s49, exec_lo
	v_cmpx_ne_u16_e32 0x80, v1
	s_cbranch_execz .LBB294_127
; %bb.122:                              ;   in Loop: Header=BB294_13 Depth=1
	v_and_b32_e32 v39, 0xffff, v1
	v_mov_b32_e32 v37, 0x7fc02000
	s_mov_b32 s50, exec_lo
	s_delay_alu instid0(VALU_DEP_2) | instskip(NEXT) | instid1(VALU_DEP_1)
	v_and_b32_e32 v40, 0x7f, v39
	v_cmpx_ne_u32_e32 0x7f, v40
	s_cbranch_execz .LBB294_126
; %bb.123:                              ;   in Loop: Header=BB294_13 Depth=1
	v_and_b32_e32 v1, 7, v39
	v_lshrrev_b32_e32 v37, 3, v40
	s_mov_b32 s51, exec_lo
	v_cmpx_gt_u32_e32 8, v40
; %bb.124:                              ;   in Loop: Header=BB294_13 Depth=1
	s_delay_alu instid0(VALU_DEP_3) | instskip(NEXT) | instid1(VALU_DEP_1)
	v_clz_i32_u32_e32 v37, v1
	v_min_u32_e32 v37, 32, v37
	s_delay_alu instid0(VALU_DEP_1) | instskip(SKIP_1) | instid1(VALU_DEP_2)
	v_subrev_nc_u32_e32 v40, 28, v37
	v_sub_nc_u32_e32 v37, 29, v37
	v_lshlrev_b64 v[40:41], v40, v[1:2]
	s_delay_alu instid0(VALU_DEP_1)
	v_and_b32_e32 v1, 7, v40
; %bb.125:                              ;   in Loop: Header=BB294_13 Depth=1
	s_or_b32 exec_lo, exec_lo, s51
	v_lshlrev_b32_e32 v39, 8, v39
	v_lshl_add_u32 v37, v37, 10, 0x2000
	s_delay_alu instid0(VALU_DEP_1) | instskip(NEXT) | instid1(VALU_DEP_1)
	v_and_or_b32 v37, 0x8000, v39, v37
	v_lshl_or_b32 v1, v1, 7, v37
	s_delay_alu instid0(VALU_DEP_1)
	v_cvt_f32_f16_e32 v37, v1
.LBB294_126:                            ;   in Loop: Header=BB294_13 Depth=1
	s_or_b32 exec_lo, exec_lo, s50
.LBB294_127:                            ;   in Loop: Header=BB294_13 Depth=1
	s_delay_alu instid0(SALU_CYCLE_1)
	s_or_b32 exec_lo, exec_lo, s49
.LBB294_128:                            ;   in Loop: Header=BB294_13 Depth=1
	s_delay_alu instid0(SALU_CYCLE_1) | instskip(SKIP_4) | instid1(VALU_DEP_2)
	s_or_b32 exec_lo, exec_lo, s48
	global_load_u16 v1, v[9:10], off offset:392
	s_waitcnt vmcnt(0)
	v_dual_mov_b32 v39, 0 :: v_dual_and_b32 v40, 0xff, v1
	v_and_b32_e32 v41, 0xffff, v1
	v_cmp_ne_u16_e64 s1, 0, v40
	v_mov_b32_e32 v40, 0
	s_delay_alu instid0(VALU_DEP_2)
	s_and_saveexec_b32 s48, s1
	s_cbranch_execz .LBB294_136
; %bb.129:                              ;   in Loop: Header=BB294_13 Depth=1
	v_and_b32_e32 v1, 0xff, v41
	v_bfrev_b32_e32 v40, 1
	s_mov_b32 s49, exec_lo
	s_delay_alu instid0(VALU_DEP_2)
	v_cmpx_ne_u16_e32 0x80, v1
	s_cbranch_execz .LBB294_135
; %bb.130:                              ;   in Loop: Header=BB294_13 Depth=1
	v_and_b32_e32 v42, 0x7f, v41
	v_mov_b32_e32 v40, 0x7fc02000
	s_mov_b32 s50, exec_lo
	s_delay_alu instid0(VALU_DEP_2)
	v_cmpx_ne_u32_e32 0x7f, v42
	s_cbranch_execz .LBB294_134
; %bb.131:                              ;   in Loop: Header=BB294_13 Depth=1
	v_and_b32_e32 v1, 7, v41
	v_lshrrev_b32_e32 v40, 3, v42
	s_mov_b32 s51, exec_lo
	v_cmpx_gt_u32_e32 8, v42
; %bb.132:                              ;   in Loop: Header=BB294_13 Depth=1
	s_delay_alu instid0(VALU_DEP_3) | instskip(NEXT) | instid1(VALU_DEP_1)
	v_clz_i32_u32_e32 v40, v1
	v_min_u32_e32 v40, 32, v40
	s_delay_alu instid0(VALU_DEP_1) | instskip(SKIP_1) | instid1(VALU_DEP_2)
	v_subrev_nc_u32_e32 v42, 28, v40
	v_sub_nc_u32_e32 v40, 29, v40
	v_lshlrev_b64 v[42:43], v42, v[1:2]
	s_delay_alu instid0(VALU_DEP_1)
	v_and_b32_e32 v1, 7, v42
; %bb.133:                              ;   in Loop: Header=BB294_13 Depth=1
	s_or_b32 exec_lo, exec_lo, s51
	v_lshlrev_b32_e32 v42, 8, v41
	v_lshl_add_u32 v40, v40, 10, 0x2000
	s_delay_alu instid0(VALU_DEP_1) | instskip(NEXT) | instid1(VALU_DEP_1)
	v_and_or_b32 v40, 0x8000, v42, v40
	v_lshl_or_b32 v1, v1, 7, v40
	s_delay_alu instid0(VALU_DEP_1)
	v_cvt_f32_f16_e32 v40, v1
.LBB294_134:                            ;   in Loop: Header=BB294_13 Depth=1
	s_or_b32 exec_lo, exec_lo, s50
.LBB294_135:                            ;   in Loop: Header=BB294_13 Depth=1
	s_delay_alu instid0(SALU_CYCLE_1)
	s_or_b32 exec_lo, exec_lo, s49
.LBB294_136:                            ;   in Loop: Header=BB294_13 Depth=1
	s_delay_alu instid0(SALU_CYCLE_1) | instskip(SKIP_2) | instid1(VALU_DEP_1)
	s_or_b32 exec_lo, exec_lo, s48
	v_lshrrev_b16 v1, 8, v41
	s_mov_b32 s48, exec_lo
	v_cmpx_ne_u16_e32 0, v1
	s_cbranch_execz .LBB294_144
; %bb.137:                              ;   in Loop: Header=BB294_13 Depth=1
	v_bfrev_b32_e32 v39, 1
	s_mov_b32 s49, exec_lo
	v_cmpx_ne_u16_e32 0x80, v1
	s_cbranch_execz .LBB294_143
; %bb.138:                              ;   in Loop: Header=BB294_13 Depth=1
	v_and_b32_e32 v41, 0xffff, v1
	v_mov_b32_e32 v39, 0x7fc02000
	s_mov_b32 s50, exec_lo
	s_delay_alu instid0(VALU_DEP_2) | instskip(NEXT) | instid1(VALU_DEP_1)
	v_and_b32_e32 v42, 0x7f, v41
	v_cmpx_ne_u32_e32 0x7f, v42
	s_cbranch_execz .LBB294_142
; %bb.139:                              ;   in Loop: Header=BB294_13 Depth=1
	v_and_b32_e32 v1, 7, v41
	v_lshrrev_b32_e32 v39, 3, v42
	s_mov_b32 s51, exec_lo
	v_cmpx_gt_u32_e32 8, v42
; %bb.140:                              ;   in Loop: Header=BB294_13 Depth=1
	s_delay_alu instid0(VALU_DEP_3) | instskip(NEXT) | instid1(VALU_DEP_1)
	v_clz_i32_u32_e32 v39, v1
	v_min_u32_e32 v39, 32, v39
	s_delay_alu instid0(VALU_DEP_1) | instskip(SKIP_1) | instid1(VALU_DEP_2)
	v_subrev_nc_u32_e32 v42, 28, v39
	v_sub_nc_u32_e32 v39, 29, v39
	v_lshlrev_b64 v[42:43], v42, v[1:2]
	s_delay_alu instid0(VALU_DEP_1)
	v_and_b32_e32 v1, 7, v42
; %bb.141:                              ;   in Loop: Header=BB294_13 Depth=1
	s_or_b32 exec_lo, exec_lo, s51
	v_lshlrev_b32_e32 v41, 8, v41
	v_lshl_add_u32 v39, v39, 10, 0x2000
	s_delay_alu instid0(VALU_DEP_1) | instskip(NEXT) | instid1(VALU_DEP_1)
	v_and_or_b32 v39, 0x8000, v41, v39
	v_lshl_or_b32 v1, v1, 7, v39
	s_delay_alu instid0(VALU_DEP_1)
	v_cvt_f32_f16_e32 v39, v1
.LBB294_142:                            ;   in Loop: Header=BB294_13 Depth=1
	s_or_b32 exec_lo, exec_lo, s50
.LBB294_143:                            ;   in Loop: Header=BB294_13 Depth=1
	s_delay_alu instid0(SALU_CYCLE_1)
	s_or_b32 exec_lo, exec_lo, s49
.LBB294_144:                            ;   in Loop: Header=BB294_13 Depth=1
	s_delay_alu instid0(SALU_CYCLE_1) | instskip(SKIP_4) | instid1(VALU_DEP_2)
	s_or_b32 exec_lo, exec_lo, s48
	global_load_u16 v1, v[9:10], off offset:512
	s_waitcnt vmcnt(0)
	v_dual_mov_b32 v41, 0 :: v_dual_and_b32 v42, 0xff, v1
	v_and_b32_e32 v43, 0xffff, v1
	v_cmp_ne_u16_e64 s1, 0, v42
	v_mov_b32_e32 v42, 0
	s_delay_alu instid0(VALU_DEP_2)
	s_and_saveexec_b32 s48, s1
	s_cbranch_execz .LBB294_152
; %bb.145:                              ;   in Loop: Header=BB294_13 Depth=1
	v_and_b32_e32 v1, 0xff, v43
	v_bfrev_b32_e32 v42, 1
	s_mov_b32 s49, exec_lo
	s_delay_alu instid0(VALU_DEP_2)
	v_cmpx_ne_u16_e32 0x80, v1
	s_cbranch_execz .LBB294_151
; %bb.146:                              ;   in Loop: Header=BB294_13 Depth=1
	v_and_b32_e32 v44, 0x7f, v43
	v_mov_b32_e32 v42, 0x7fc02000
	s_mov_b32 s50, exec_lo
	s_delay_alu instid0(VALU_DEP_2)
	v_cmpx_ne_u32_e32 0x7f, v44
	s_cbranch_execz .LBB294_150
; %bb.147:                              ;   in Loop: Header=BB294_13 Depth=1
	v_and_b32_e32 v1, 7, v43
	v_lshrrev_b32_e32 v42, 3, v44
	s_mov_b32 s51, exec_lo
	v_cmpx_gt_u32_e32 8, v44
; %bb.148:                              ;   in Loop: Header=BB294_13 Depth=1
	s_delay_alu instid0(VALU_DEP_3) | instskip(NEXT) | instid1(VALU_DEP_1)
	v_clz_i32_u32_e32 v42, v1
	v_min_u32_e32 v42, 32, v42
	s_delay_alu instid0(VALU_DEP_1) | instskip(SKIP_1) | instid1(VALU_DEP_2)
	v_subrev_nc_u32_e32 v44, 28, v42
	v_sub_nc_u32_e32 v42, 29, v42
	v_lshlrev_b64 v[44:45], v44, v[1:2]
	s_delay_alu instid0(VALU_DEP_1)
	v_and_b32_e32 v1, 7, v44
; %bb.149:                              ;   in Loop: Header=BB294_13 Depth=1
	s_or_b32 exec_lo, exec_lo, s51
	v_lshlrev_b32_e32 v44, 8, v43
	v_lshl_add_u32 v42, v42, 10, 0x2000
	s_delay_alu instid0(VALU_DEP_1) | instskip(NEXT) | instid1(VALU_DEP_1)
	v_and_or_b32 v42, 0x8000, v44, v42
	v_lshl_or_b32 v1, v1, 7, v42
	s_delay_alu instid0(VALU_DEP_1)
	v_cvt_f32_f16_e32 v42, v1
.LBB294_150:                            ;   in Loop: Header=BB294_13 Depth=1
	s_or_b32 exec_lo, exec_lo, s50
.LBB294_151:                            ;   in Loop: Header=BB294_13 Depth=1
	s_delay_alu instid0(SALU_CYCLE_1)
	s_or_b32 exec_lo, exec_lo, s49
.LBB294_152:                            ;   in Loop: Header=BB294_13 Depth=1
	s_delay_alu instid0(SALU_CYCLE_1) | instskip(SKIP_2) | instid1(VALU_DEP_1)
	s_or_b32 exec_lo, exec_lo, s48
	v_lshrrev_b16 v1, 8, v43
	s_mov_b32 s48, exec_lo
	v_cmpx_ne_u16_e32 0, v1
	s_cbranch_execz .LBB294_160
; %bb.153:                              ;   in Loop: Header=BB294_13 Depth=1
	v_bfrev_b32_e32 v41, 1
	s_mov_b32 s49, exec_lo
	v_cmpx_ne_u16_e32 0x80, v1
	s_cbranch_execz .LBB294_159
; %bb.154:                              ;   in Loop: Header=BB294_13 Depth=1
	v_and_b32_e32 v43, 0xffff, v1
	v_mov_b32_e32 v41, 0x7fc02000
	s_mov_b32 s50, exec_lo
	s_delay_alu instid0(VALU_DEP_2) | instskip(NEXT) | instid1(VALU_DEP_1)
	v_and_b32_e32 v44, 0x7f, v43
	v_cmpx_ne_u32_e32 0x7f, v44
	s_cbranch_execz .LBB294_158
; %bb.155:                              ;   in Loop: Header=BB294_13 Depth=1
	v_and_b32_e32 v1, 7, v43
	v_lshrrev_b32_e32 v41, 3, v44
	s_mov_b32 s51, exec_lo
	v_cmpx_gt_u32_e32 8, v44
; %bb.156:                              ;   in Loop: Header=BB294_13 Depth=1
	s_delay_alu instid0(VALU_DEP_3) | instskip(NEXT) | instid1(VALU_DEP_1)
	v_clz_i32_u32_e32 v41, v1
	v_min_u32_e32 v41, 32, v41
	s_delay_alu instid0(VALU_DEP_1) | instskip(SKIP_1) | instid1(VALU_DEP_2)
	v_subrev_nc_u32_e32 v44, 28, v41
	v_sub_nc_u32_e32 v41, 29, v41
	v_lshlrev_b64 v[44:45], v44, v[1:2]
	s_delay_alu instid0(VALU_DEP_1)
	v_and_b32_e32 v1, 7, v44
; %bb.157:                              ;   in Loop: Header=BB294_13 Depth=1
	s_or_b32 exec_lo, exec_lo, s51
	v_lshlrev_b32_e32 v43, 8, v43
	v_lshl_add_u32 v41, v41, 10, 0x2000
	s_delay_alu instid0(VALU_DEP_1) | instskip(NEXT) | instid1(VALU_DEP_1)
	v_and_or_b32 v41, 0x8000, v43, v41
	v_lshl_or_b32 v1, v1, 7, v41
	s_delay_alu instid0(VALU_DEP_1)
	v_cvt_f32_f16_e32 v41, v1
.LBB294_158:                            ;   in Loop: Header=BB294_13 Depth=1
	s_or_b32 exec_lo, exec_lo, s50
.LBB294_159:                            ;   in Loop: Header=BB294_13 Depth=1
	s_delay_alu instid0(SALU_CYCLE_1)
	s_or_b32 exec_lo, exec_lo, s49
.LBB294_160:                            ;   in Loop: Header=BB294_13 Depth=1
	s_delay_alu instid0(SALU_CYCLE_1) | instskip(SKIP_4) | instid1(VALU_DEP_2)
	s_or_b32 exec_lo, exec_lo, s48
	global_load_u16 v1, v[9:10], off offset:520
	s_waitcnt vmcnt(0)
	v_dual_mov_b32 v43, 0 :: v_dual_and_b32 v44, 0xff, v1
	v_and_b32_e32 v45, 0xffff, v1
	v_cmp_ne_u16_e64 s1, 0, v44
	v_mov_b32_e32 v44, 0
	s_delay_alu instid0(VALU_DEP_2)
	s_and_saveexec_b32 s48, s1
	s_cbranch_execz .LBB294_168
; %bb.161:                              ;   in Loop: Header=BB294_13 Depth=1
	v_and_b32_e32 v1, 0xff, v45
	v_bfrev_b32_e32 v44, 1
	s_mov_b32 s49, exec_lo
	s_delay_alu instid0(VALU_DEP_2)
	v_cmpx_ne_u16_e32 0x80, v1
	s_cbranch_execz .LBB294_167
; %bb.162:                              ;   in Loop: Header=BB294_13 Depth=1
	v_and_b32_e32 v46, 0x7f, v45
	v_mov_b32_e32 v44, 0x7fc02000
	s_mov_b32 s50, exec_lo
	s_delay_alu instid0(VALU_DEP_2)
	v_cmpx_ne_u32_e32 0x7f, v46
	s_cbranch_execz .LBB294_166
; %bb.163:                              ;   in Loop: Header=BB294_13 Depth=1
	v_and_b32_e32 v1, 7, v45
	v_lshrrev_b32_e32 v44, 3, v46
	s_mov_b32 s51, exec_lo
	v_cmpx_gt_u32_e32 8, v46
; %bb.164:                              ;   in Loop: Header=BB294_13 Depth=1
	s_delay_alu instid0(VALU_DEP_3) | instskip(NEXT) | instid1(VALU_DEP_1)
	v_clz_i32_u32_e32 v44, v1
	v_min_u32_e32 v44, 32, v44
	s_delay_alu instid0(VALU_DEP_1) | instskip(SKIP_1) | instid1(VALU_DEP_2)
	v_subrev_nc_u32_e32 v46, 28, v44
	v_sub_nc_u32_e32 v44, 29, v44
	v_lshlrev_b64 v[46:47], v46, v[1:2]
	s_delay_alu instid0(VALU_DEP_1)
	v_and_b32_e32 v1, 7, v46
; %bb.165:                              ;   in Loop: Header=BB294_13 Depth=1
	s_or_b32 exec_lo, exec_lo, s51
	v_lshlrev_b32_e32 v46, 8, v45
	v_lshl_add_u32 v44, v44, 10, 0x2000
	s_delay_alu instid0(VALU_DEP_1) | instskip(NEXT) | instid1(VALU_DEP_1)
	v_and_or_b32 v44, 0x8000, v46, v44
	v_lshl_or_b32 v1, v1, 7, v44
	s_delay_alu instid0(VALU_DEP_1)
	v_cvt_f32_f16_e32 v44, v1
.LBB294_166:                            ;   in Loop: Header=BB294_13 Depth=1
	s_or_b32 exec_lo, exec_lo, s50
.LBB294_167:                            ;   in Loop: Header=BB294_13 Depth=1
	s_delay_alu instid0(SALU_CYCLE_1)
	s_or_b32 exec_lo, exec_lo, s49
.LBB294_168:                            ;   in Loop: Header=BB294_13 Depth=1
	s_delay_alu instid0(SALU_CYCLE_1) | instskip(SKIP_2) | instid1(VALU_DEP_1)
	s_or_b32 exec_lo, exec_lo, s48
	v_lshrrev_b16 v1, 8, v45
	s_mov_b32 s48, exec_lo
	v_cmpx_ne_u16_e32 0, v1
	s_cbranch_execz .LBB294_176
; %bb.169:                              ;   in Loop: Header=BB294_13 Depth=1
	v_bfrev_b32_e32 v43, 1
	s_mov_b32 s49, exec_lo
	v_cmpx_ne_u16_e32 0x80, v1
	s_cbranch_execz .LBB294_175
; %bb.170:                              ;   in Loop: Header=BB294_13 Depth=1
	v_and_b32_e32 v45, 0xffff, v1
	v_mov_b32_e32 v43, 0x7fc02000
	s_mov_b32 s50, exec_lo
	s_delay_alu instid0(VALU_DEP_2) | instskip(NEXT) | instid1(VALU_DEP_1)
	v_and_b32_e32 v46, 0x7f, v45
	v_cmpx_ne_u32_e32 0x7f, v46
	s_cbranch_execz .LBB294_174
; %bb.171:                              ;   in Loop: Header=BB294_13 Depth=1
	v_and_b32_e32 v1, 7, v45
	v_lshrrev_b32_e32 v43, 3, v46
	s_mov_b32 s51, exec_lo
	v_cmpx_gt_u32_e32 8, v46
; %bb.172:                              ;   in Loop: Header=BB294_13 Depth=1
	s_delay_alu instid0(VALU_DEP_3) | instskip(NEXT) | instid1(VALU_DEP_1)
	v_clz_i32_u32_e32 v43, v1
	v_min_u32_e32 v43, 32, v43
	s_delay_alu instid0(VALU_DEP_1) | instskip(SKIP_1) | instid1(VALU_DEP_2)
	v_subrev_nc_u32_e32 v46, 28, v43
	v_sub_nc_u32_e32 v43, 29, v43
	v_lshlrev_b64 v[46:47], v46, v[1:2]
	s_delay_alu instid0(VALU_DEP_1)
	v_and_b32_e32 v1, 7, v46
; %bb.173:                              ;   in Loop: Header=BB294_13 Depth=1
	s_or_b32 exec_lo, exec_lo, s51
	v_lshlrev_b32_e32 v45, 8, v45
	v_lshl_add_u32 v43, v43, 10, 0x2000
	s_delay_alu instid0(VALU_DEP_1) | instskip(NEXT) | instid1(VALU_DEP_1)
	v_and_or_b32 v43, 0x8000, v45, v43
	v_lshl_or_b32 v1, v1, 7, v43
	s_delay_alu instid0(VALU_DEP_1)
	v_cvt_f32_f16_e32 v43, v1
.LBB294_174:                            ;   in Loop: Header=BB294_13 Depth=1
	s_or_b32 exec_lo, exec_lo, s50
.LBB294_175:                            ;   in Loop: Header=BB294_13 Depth=1
	s_delay_alu instid0(SALU_CYCLE_1)
	s_or_b32 exec_lo, exec_lo, s49
.LBB294_176:                            ;   in Loop: Header=BB294_13 Depth=1
	s_delay_alu instid0(SALU_CYCLE_1) | instskip(SKIP_4) | instid1(VALU_DEP_2)
	s_or_b32 exec_lo, exec_lo, s48
	global_load_u16 v1, v[9:10], off offset:640
	s_waitcnt vmcnt(0)
	v_dual_mov_b32 v45, 0 :: v_dual_and_b32 v46, 0xff, v1
	v_and_b32_e32 v47, 0xffff, v1
	v_cmp_ne_u16_e64 s1, 0, v46
	v_mov_b32_e32 v46, 0
	s_delay_alu instid0(VALU_DEP_2)
	s_and_saveexec_b32 s48, s1
	s_cbranch_execz .LBB294_184
; %bb.177:                              ;   in Loop: Header=BB294_13 Depth=1
	v_and_b32_e32 v1, 0xff, v47
	v_bfrev_b32_e32 v46, 1
	s_mov_b32 s49, exec_lo
	s_delay_alu instid0(VALU_DEP_2)
	v_cmpx_ne_u16_e32 0x80, v1
	s_cbranch_execz .LBB294_183
; %bb.178:                              ;   in Loop: Header=BB294_13 Depth=1
	v_and_b32_e32 v48, 0x7f, v47
	v_mov_b32_e32 v46, 0x7fc02000
	s_mov_b32 s50, exec_lo
	s_delay_alu instid0(VALU_DEP_2)
	v_cmpx_ne_u32_e32 0x7f, v48
	s_cbranch_execz .LBB294_182
; %bb.179:                              ;   in Loop: Header=BB294_13 Depth=1
	v_and_b32_e32 v1, 7, v47
	v_lshrrev_b32_e32 v46, 3, v48
	s_mov_b32 s51, exec_lo
	v_cmpx_gt_u32_e32 8, v48
; %bb.180:                              ;   in Loop: Header=BB294_13 Depth=1
	s_delay_alu instid0(VALU_DEP_3) | instskip(NEXT) | instid1(VALU_DEP_1)
	v_clz_i32_u32_e32 v46, v1
	v_min_u32_e32 v46, 32, v46
	s_delay_alu instid0(VALU_DEP_1) | instskip(SKIP_1) | instid1(VALU_DEP_2)
	v_subrev_nc_u32_e32 v48, 28, v46
	v_sub_nc_u32_e32 v46, 29, v46
	v_lshlrev_b64 v[48:49], v48, v[1:2]
	s_delay_alu instid0(VALU_DEP_1)
	v_and_b32_e32 v1, 7, v48
; %bb.181:                              ;   in Loop: Header=BB294_13 Depth=1
	s_or_b32 exec_lo, exec_lo, s51
	v_lshlrev_b32_e32 v48, 8, v47
	v_lshl_add_u32 v46, v46, 10, 0x2000
	s_delay_alu instid0(VALU_DEP_1) | instskip(NEXT) | instid1(VALU_DEP_1)
	v_and_or_b32 v46, 0x8000, v48, v46
	v_lshl_or_b32 v1, v1, 7, v46
	s_delay_alu instid0(VALU_DEP_1)
	v_cvt_f32_f16_e32 v46, v1
.LBB294_182:                            ;   in Loop: Header=BB294_13 Depth=1
	s_or_b32 exec_lo, exec_lo, s50
.LBB294_183:                            ;   in Loop: Header=BB294_13 Depth=1
	s_delay_alu instid0(SALU_CYCLE_1)
	s_or_b32 exec_lo, exec_lo, s49
.LBB294_184:                            ;   in Loop: Header=BB294_13 Depth=1
	s_delay_alu instid0(SALU_CYCLE_1) | instskip(SKIP_2) | instid1(VALU_DEP_1)
	s_or_b32 exec_lo, exec_lo, s48
	v_lshrrev_b16 v1, 8, v47
	s_mov_b32 s48, exec_lo
	v_cmpx_ne_u16_e32 0, v1
	s_cbranch_execz .LBB294_192
; %bb.185:                              ;   in Loop: Header=BB294_13 Depth=1
	v_bfrev_b32_e32 v45, 1
	s_mov_b32 s49, exec_lo
	v_cmpx_ne_u16_e32 0x80, v1
	s_cbranch_execz .LBB294_191
; %bb.186:                              ;   in Loop: Header=BB294_13 Depth=1
	v_and_b32_e32 v47, 0xffff, v1
	v_mov_b32_e32 v45, 0x7fc02000
	s_mov_b32 s50, exec_lo
	s_delay_alu instid0(VALU_DEP_2) | instskip(NEXT) | instid1(VALU_DEP_1)
	v_and_b32_e32 v48, 0x7f, v47
	v_cmpx_ne_u32_e32 0x7f, v48
	s_cbranch_execz .LBB294_190
; %bb.187:                              ;   in Loop: Header=BB294_13 Depth=1
	v_and_b32_e32 v1, 7, v47
	v_lshrrev_b32_e32 v45, 3, v48
	s_mov_b32 s51, exec_lo
	v_cmpx_gt_u32_e32 8, v48
; %bb.188:                              ;   in Loop: Header=BB294_13 Depth=1
	s_delay_alu instid0(VALU_DEP_3) | instskip(NEXT) | instid1(VALU_DEP_1)
	v_clz_i32_u32_e32 v45, v1
	v_min_u32_e32 v45, 32, v45
	s_delay_alu instid0(VALU_DEP_1) | instskip(SKIP_1) | instid1(VALU_DEP_2)
	v_subrev_nc_u32_e32 v48, 28, v45
	v_sub_nc_u32_e32 v45, 29, v45
	v_lshlrev_b64 v[48:49], v48, v[1:2]
	s_delay_alu instid0(VALU_DEP_1)
	v_and_b32_e32 v1, 7, v48
; %bb.189:                              ;   in Loop: Header=BB294_13 Depth=1
	s_or_b32 exec_lo, exec_lo, s51
	v_lshlrev_b32_e32 v47, 8, v47
	v_lshl_add_u32 v45, v45, 10, 0x2000
	s_delay_alu instid0(VALU_DEP_1) | instskip(NEXT) | instid1(VALU_DEP_1)
	v_and_or_b32 v45, 0x8000, v47, v45
	v_lshl_or_b32 v1, v1, 7, v45
	s_delay_alu instid0(VALU_DEP_1)
	v_cvt_f32_f16_e32 v45, v1
.LBB294_190:                            ;   in Loop: Header=BB294_13 Depth=1
	s_or_b32 exec_lo, exec_lo, s50
.LBB294_191:                            ;   in Loop: Header=BB294_13 Depth=1
	s_delay_alu instid0(SALU_CYCLE_1)
	s_or_b32 exec_lo, exec_lo, s49
.LBB294_192:                            ;   in Loop: Header=BB294_13 Depth=1
	s_delay_alu instid0(SALU_CYCLE_1) | instskip(SKIP_4) | instid1(VALU_DEP_2)
	s_or_b32 exec_lo, exec_lo, s48
	global_load_u16 v1, v[9:10], off offset:648
	s_waitcnt vmcnt(0)
	v_dual_mov_b32 v47, 0 :: v_dual_and_b32 v48, 0xff, v1
	v_and_b32_e32 v49, 0xffff, v1
	v_cmp_ne_u16_e64 s1, 0, v48
	v_mov_b32_e32 v48, 0
	s_delay_alu instid0(VALU_DEP_2)
	s_and_saveexec_b32 s48, s1
	s_cbranch_execz .LBB294_200
; %bb.193:                              ;   in Loop: Header=BB294_13 Depth=1
	v_and_b32_e32 v1, 0xff, v49
	v_bfrev_b32_e32 v48, 1
	s_mov_b32 s49, exec_lo
	s_delay_alu instid0(VALU_DEP_2)
	v_cmpx_ne_u16_e32 0x80, v1
	s_cbranch_execz .LBB294_199
; %bb.194:                              ;   in Loop: Header=BB294_13 Depth=1
	v_and_b32_e32 v50, 0x7f, v49
	v_mov_b32_e32 v48, 0x7fc02000
	s_mov_b32 s50, exec_lo
	s_delay_alu instid0(VALU_DEP_2)
	v_cmpx_ne_u32_e32 0x7f, v50
	s_cbranch_execz .LBB294_198
; %bb.195:                              ;   in Loop: Header=BB294_13 Depth=1
	v_and_b32_e32 v1, 7, v49
	v_lshrrev_b32_e32 v48, 3, v50
	s_mov_b32 s51, exec_lo
	v_cmpx_gt_u32_e32 8, v50
; %bb.196:                              ;   in Loop: Header=BB294_13 Depth=1
	s_delay_alu instid0(VALU_DEP_3) | instskip(NEXT) | instid1(VALU_DEP_1)
	v_clz_i32_u32_e32 v48, v1
	v_min_u32_e32 v48, 32, v48
	s_delay_alu instid0(VALU_DEP_1) | instskip(SKIP_1) | instid1(VALU_DEP_2)
	v_subrev_nc_u32_e32 v50, 28, v48
	v_sub_nc_u32_e32 v48, 29, v48
	v_lshlrev_b64 v[50:51], v50, v[1:2]
	s_delay_alu instid0(VALU_DEP_1)
	v_and_b32_e32 v1, 7, v50
; %bb.197:                              ;   in Loop: Header=BB294_13 Depth=1
	s_or_b32 exec_lo, exec_lo, s51
	v_lshlrev_b32_e32 v50, 8, v49
	v_lshl_add_u32 v48, v48, 10, 0x2000
	s_delay_alu instid0(VALU_DEP_1) | instskip(NEXT) | instid1(VALU_DEP_1)
	v_and_or_b32 v48, 0x8000, v50, v48
	v_lshl_or_b32 v1, v1, 7, v48
	s_delay_alu instid0(VALU_DEP_1)
	v_cvt_f32_f16_e32 v48, v1
.LBB294_198:                            ;   in Loop: Header=BB294_13 Depth=1
	s_or_b32 exec_lo, exec_lo, s50
.LBB294_199:                            ;   in Loop: Header=BB294_13 Depth=1
	s_delay_alu instid0(SALU_CYCLE_1)
	s_or_b32 exec_lo, exec_lo, s49
.LBB294_200:                            ;   in Loop: Header=BB294_13 Depth=1
	s_delay_alu instid0(SALU_CYCLE_1) | instskip(SKIP_2) | instid1(VALU_DEP_1)
	s_or_b32 exec_lo, exec_lo, s48
	v_lshrrev_b16 v1, 8, v49
	s_mov_b32 s48, exec_lo
	v_cmpx_ne_u16_e32 0, v1
	s_cbranch_execz .LBB294_208
; %bb.201:                              ;   in Loop: Header=BB294_13 Depth=1
	v_bfrev_b32_e32 v47, 1
	s_mov_b32 s49, exec_lo
	v_cmpx_ne_u16_e32 0x80, v1
	s_cbranch_execz .LBB294_207
; %bb.202:                              ;   in Loop: Header=BB294_13 Depth=1
	v_and_b32_e32 v49, 0xffff, v1
	v_mov_b32_e32 v47, 0x7fc02000
	s_mov_b32 s50, exec_lo
	s_delay_alu instid0(VALU_DEP_2) | instskip(NEXT) | instid1(VALU_DEP_1)
	v_and_b32_e32 v50, 0x7f, v49
	v_cmpx_ne_u32_e32 0x7f, v50
	s_cbranch_execz .LBB294_206
; %bb.203:                              ;   in Loop: Header=BB294_13 Depth=1
	v_and_b32_e32 v1, 7, v49
	v_lshrrev_b32_e32 v47, 3, v50
	s_mov_b32 s51, exec_lo
	v_cmpx_gt_u32_e32 8, v50
; %bb.204:                              ;   in Loop: Header=BB294_13 Depth=1
	s_delay_alu instid0(VALU_DEP_3) | instskip(NEXT) | instid1(VALU_DEP_1)
	v_clz_i32_u32_e32 v47, v1
	v_min_u32_e32 v47, 32, v47
	s_delay_alu instid0(VALU_DEP_1) | instskip(SKIP_1) | instid1(VALU_DEP_2)
	v_subrev_nc_u32_e32 v50, 28, v47
	v_sub_nc_u32_e32 v47, 29, v47
	v_lshlrev_b64 v[50:51], v50, v[1:2]
	s_delay_alu instid0(VALU_DEP_1)
	v_and_b32_e32 v1, 7, v50
; %bb.205:                              ;   in Loop: Header=BB294_13 Depth=1
	s_or_b32 exec_lo, exec_lo, s51
	v_lshlrev_b32_e32 v49, 8, v49
	v_lshl_add_u32 v47, v47, 10, 0x2000
	s_delay_alu instid0(VALU_DEP_1) | instskip(NEXT) | instid1(VALU_DEP_1)
	v_and_or_b32 v47, 0x8000, v49, v47
	v_lshl_or_b32 v1, v1, 7, v47
	s_delay_alu instid0(VALU_DEP_1)
	v_cvt_f32_f16_e32 v47, v1
.LBB294_206:                            ;   in Loop: Header=BB294_13 Depth=1
	s_or_b32 exec_lo, exec_lo, s50
.LBB294_207:                            ;   in Loop: Header=BB294_13 Depth=1
	s_delay_alu instid0(SALU_CYCLE_1)
	s_or_b32 exec_lo, exec_lo, s49
.LBB294_208:                            ;   in Loop: Header=BB294_13 Depth=1
	s_delay_alu instid0(SALU_CYCLE_1) | instskip(SKIP_4) | instid1(VALU_DEP_2)
	s_or_b32 exec_lo, exec_lo, s48
	global_load_u16 v1, v[9:10], off offset:768
	s_waitcnt vmcnt(0)
	v_dual_mov_b32 v49, 0 :: v_dual_and_b32 v50, 0xff, v1
	v_and_b32_e32 v51, 0xffff, v1
	v_cmp_ne_u16_e64 s1, 0, v50
	v_mov_b32_e32 v50, 0
	s_delay_alu instid0(VALU_DEP_2)
	s_and_saveexec_b32 s48, s1
	s_cbranch_execz .LBB294_216
; %bb.209:                              ;   in Loop: Header=BB294_13 Depth=1
	v_and_b32_e32 v1, 0xff, v51
	v_bfrev_b32_e32 v50, 1
	s_mov_b32 s49, exec_lo
	s_delay_alu instid0(VALU_DEP_2)
	v_cmpx_ne_u16_e32 0x80, v1
	s_cbranch_execz .LBB294_215
; %bb.210:                              ;   in Loop: Header=BB294_13 Depth=1
	v_and_b32_e32 v52, 0x7f, v51
	v_mov_b32_e32 v50, 0x7fc02000
	s_mov_b32 s50, exec_lo
	s_delay_alu instid0(VALU_DEP_2)
	v_cmpx_ne_u32_e32 0x7f, v52
	s_cbranch_execz .LBB294_214
; %bb.211:                              ;   in Loop: Header=BB294_13 Depth=1
	v_and_b32_e32 v1, 7, v51
	v_lshrrev_b32_e32 v50, 3, v52
	s_mov_b32 s51, exec_lo
	v_cmpx_gt_u32_e32 8, v52
; %bb.212:                              ;   in Loop: Header=BB294_13 Depth=1
	s_delay_alu instid0(VALU_DEP_3) | instskip(NEXT) | instid1(VALU_DEP_1)
	v_clz_i32_u32_e32 v50, v1
	v_min_u32_e32 v50, 32, v50
	s_delay_alu instid0(VALU_DEP_1) | instskip(SKIP_1) | instid1(VALU_DEP_2)
	v_subrev_nc_u32_e32 v52, 28, v50
	v_sub_nc_u32_e32 v50, 29, v50
	v_lshlrev_b64 v[52:53], v52, v[1:2]
	s_delay_alu instid0(VALU_DEP_1)
	v_and_b32_e32 v1, 7, v52
; %bb.213:                              ;   in Loop: Header=BB294_13 Depth=1
	s_or_b32 exec_lo, exec_lo, s51
	v_lshlrev_b32_e32 v52, 8, v51
	v_lshl_add_u32 v50, v50, 10, 0x2000
	s_delay_alu instid0(VALU_DEP_1) | instskip(NEXT) | instid1(VALU_DEP_1)
	v_and_or_b32 v50, 0x8000, v52, v50
	v_lshl_or_b32 v1, v1, 7, v50
	s_delay_alu instid0(VALU_DEP_1)
	v_cvt_f32_f16_e32 v50, v1
.LBB294_214:                            ;   in Loop: Header=BB294_13 Depth=1
	s_or_b32 exec_lo, exec_lo, s50
.LBB294_215:                            ;   in Loop: Header=BB294_13 Depth=1
	s_delay_alu instid0(SALU_CYCLE_1)
	s_or_b32 exec_lo, exec_lo, s49
.LBB294_216:                            ;   in Loop: Header=BB294_13 Depth=1
	s_delay_alu instid0(SALU_CYCLE_1) | instskip(SKIP_2) | instid1(VALU_DEP_1)
	s_or_b32 exec_lo, exec_lo, s48
	v_lshrrev_b16 v1, 8, v51
	s_mov_b32 s48, exec_lo
	v_cmpx_ne_u16_e32 0, v1
	s_cbranch_execz .LBB294_224
; %bb.217:                              ;   in Loop: Header=BB294_13 Depth=1
	v_bfrev_b32_e32 v49, 1
	s_mov_b32 s49, exec_lo
	v_cmpx_ne_u16_e32 0x80, v1
	s_cbranch_execz .LBB294_223
; %bb.218:                              ;   in Loop: Header=BB294_13 Depth=1
	v_and_b32_e32 v51, 0xffff, v1
	v_mov_b32_e32 v49, 0x7fc02000
	s_mov_b32 s50, exec_lo
	s_delay_alu instid0(VALU_DEP_2) | instskip(NEXT) | instid1(VALU_DEP_1)
	v_and_b32_e32 v52, 0x7f, v51
	v_cmpx_ne_u32_e32 0x7f, v52
	s_cbranch_execz .LBB294_222
; %bb.219:                              ;   in Loop: Header=BB294_13 Depth=1
	v_and_b32_e32 v1, 7, v51
	v_lshrrev_b32_e32 v49, 3, v52
	s_mov_b32 s51, exec_lo
	v_cmpx_gt_u32_e32 8, v52
; %bb.220:                              ;   in Loop: Header=BB294_13 Depth=1
	s_delay_alu instid0(VALU_DEP_3) | instskip(NEXT) | instid1(VALU_DEP_1)
	v_clz_i32_u32_e32 v49, v1
	v_min_u32_e32 v49, 32, v49
	s_delay_alu instid0(VALU_DEP_1) | instskip(SKIP_1) | instid1(VALU_DEP_2)
	v_subrev_nc_u32_e32 v52, 28, v49
	v_sub_nc_u32_e32 v49, 29, v49
	v_lshlrev_b64 v[52:53], v52, v[1:2]
	s_delay_alu instid0(VALU_DEP_1)
	v_and_b32_e32 v1, 7, v52
; %bb.221:                              ;   in Loop: Header=BB294_13 Depth=1
	s_or_b32 exec_lo, exec_lo, s51
	v_lshlrev_b32_e32 v51, 8, v51
	v_lshl_add_u32 v49, v49, 10, 0x2000
	s_delay_alu instid0(VALU_DEP_1) | instskip(NEXT) | instid1(VALU_DEP_1)
	v_and_or_b32 v49, 0x8000, v51, v49
	v_lshl_or_b32 v1, v1, 7, v49
	s_delay_alu instid0(VALU_DEP_1)
	v_cvt_f32_f16_e32 v49, v1
.LBB294_222:                            ;   in Loop: Header=BB294_13 Depth=1
	s_or_b32 exec_lo, exec_lo, s50
.LBB294_223:                            ;   in Loop: Header=BB294_13 Depth=1
	s_delay_alu instid0(SALU_CYCLE_1)
	s_or_b32 exec_lo, exec_lo, s49
.LBB294_224:                            ;   in Loop: Header=BB294_13 Depth=1
	s_delay_alu instid0(SALU_CYCLE_1) | instskip(SKIP_4) | instid1(VALU_DEP_2)
	s_or_b32 exec_lo, exec_lo, s48
	global_load_u16 v1, v[9:10], off offset:776
	s_waitcnt vmcnt(0)
	v_dual_mov_b32 v51, 0 :: v_dual_and_b32 v52, 0xff, v1
	v_and_b32_e32 v53, 0xffff, v1
	v_cmp_ne_u16_e64 s1, 0, v52
	v_mov_b32_e32 v52, 0
	s_delay_alu instid0(VALU_DEP_2)
	s_and_saveexec_b32 s48, s1
	s_cbranch_execz .LBB294_232
; %bb.225:                              ;   in Loop: Header=BB294_13 Depth=1
	v_and_b32_e32 v1, 0xff, v53
	v_bfrev_b32_e32 v52, 1
	s_mov_b32 s49, exec_lo
	s_delay_alu instid0(VALU_DEP_2)
	v_cmpx_ne_u16_e32 0x80, v1
	s_cbranch_execz .LBB294_231
; %bb.226:                              ;   in Loop: Header=BB294_13 Depth=1
	v_and_b32_e32 v54, 0x7f, v53
	v_mov_b32_e32 v52, 0x7fc02000
	s_mov_b32 s50, exec_lo
	s_delay_alu instid0(VALU_DEP_2)
	v_cmpx_ne_u32_e32 0x7f, v54
	s_cbranch_execz .LBB294_230
; %bb.227:                              ;   in Loop: Header=BB294_13 Depth=1
	v_and_b32_e32 v1, 7, v53
	v_lshrrev_b32_e32 v52, 3, v54
	s_mov_b32 s51, exec_lo
	v_cmpx_gt_u32_e32 8, v54
; %bb.228:                              ;   in Loop: Header=BB294_13 Depth=1
	s_delay_alu instid0(VALU_DEP_3) | instskip(NEXT) | instid1(VALU_DEP_1)
	v_clz_i32_u32_e32 v52, v1
	v_min_u32_e32 v52, 32, v52
	s_delay_alu instid0(VALU_DEP_1) | instskip(SKIP_1) | instid1(VALU_DEP_2)
	v_subrev_nc_u32_e32 v54, 28, v52
	v_sub_nc_u32_e32 v52, 29, v52
	v_lshlrev_b64 v[54:55], v54, v[1:2]
	s_delay_alu instid0(VALU_DEP_1)
	v_and_b32_e32 v1, 7, v54
; %bb.229:                              ;   in Loop: Header=BB294_13 Depth=1
	s_or_b32 exec_lo, exec_lo, s51
	v_lshlrev_b32_e32 v54, 8, v53
	v_lshl_add_u32 v52, v52, 10, 0x2000
	s_delay_alu instid0(VALU_DEP_1) | instskip(NEXT) | instid1(VALU_DEP_1)
	v_and_or_b32 v52, 0x8000, v54, v52
	v_lshl_or_b32 v1, v1, 7, v52
	s_delay_alu instid0(VALU_DEP_1)
	v_cvt_f32_f16_e32 v52, v1
.LBB294_230:                            ;   in Loop: Header=BB294_13 Depth=1
	s_or_b32 exec_lo, exec_lo, s50
.LBB294_231:                            ;   in Loop: Header=BB294_13 Depth=1
	s_delay_alu instid0(SALU_CYCLE_1)
	s_or_b32 exec_lo, exec_lo, s49
.LBB294_232:                            ;   in Loop: Header=BB294_13 Depth=1
	s_delay_alu instid0(SALU_CYCLE_1) | instskip(SKIP_2) | instid1(VALU_DEP_1)
	s_or_b32 exec_lo, exec_lo, s48
	v_lshrrev_b16 v1, 8, v53
	s_mov_b32 s48, exec_lo
	v_cmpx_ne_u16_e32 0, v1
	s_cbranch_execz .LBB294_240
; %bb.233:                              ;   in Loop: Header=BB294_13 Depth=1
	v_bfrev_b32_e32 v51, 1
	s_mov_b32 s49, exec_lo
	v_cmpx_ne_u16_e32 0x80, v1
	s_cbranch_execz .LBB294_239
; %bb.234:                              ;   in Loop: Header=BB294_13 Depth=1
	v_and_b32_e32 v53, 0xffff, v1
	v_mov_b32_e32 v51, 0x7fc02000
	s_mov_b32 s50, exec_lo
	s_delay_alu instid0(VALU_DEP_2) | instskip(NEXT) | instid1(VALU_DEP_1)
	v_and_b32_e32 v54, 0x7f, v53
	v_cmpx_ne_u32_e32 0x7f, v54
	s_cbranch_execz .LBB294_238
; %bb.235:                              ;   in Loop: Header=BB294_13 Depth=1
	v_and_b32_e32 v1, 7, v53
	v_lshrrev_b32_e32 v51, 3, v54
	s_mov_b32 s51, exec_lo
	v_cmpx_gt_u32_e32 8, v54
; %bb.236:                              ;   in Loop: Header=BB294_13 Depth=1
	s_delay_alu instid0(VALU_DEP_3) | instskip(NEXT) | instid1(VALU_DEP_1)
	v_clz_i32_u32_e32 v51, v1
	v_min_u32_e32 v51, 32, v51
	s_delay_alu instid0(VALU_DEP_1) | instskip(SKIP_1) | instid1(VALU_DEP_2)
	v_subrev_nc_u32_e32 v54, 28, v51
	v_sub_nc_u32_e32 v51, 29, v51
	v_lshlrev_b64 v[54:55], v54, v[1:2]
	s_delay_alu instid0(VALU_DEP_1)
	v_and_b32_e32 v1, 7, v54
; %bb.237:                              ;   in Loop: Header=BB294_13 Depth=1
	s_or_b32 exec_lo, exec_lo, s51
	v_lshlrev_b32_e32 v53, 8, v53
	v_lshl_add_u32 v51, v51, 10, 0x2000
	s_delay_alu instid0(VALU_DEP_1) | instskip(NEXT) | instid1(VALU_DEP_1)
	v_and_or_b32 v51, 0x8000, v53, v51
	v_lshl_or_b32 v1, v1, 7, v51
	s_delay_alu instid0(VALU_DEP_1)
	v_cvt_f32_f16_e32 v51, v1
.LBB294_238:                            ;   in Loop: Header=BB294_13 Depth=1
	s_or_b32 exec_lo, exec_lo, s50
.LBB294_239:                            ;   in Loop: Header=BB294_13 Depth=1
	s_delay_alu instid0(SALU_CYCLE_1)
	s_or_b32 exec_lo, exec_lo, s49
.LBB294_240:                            ;   in Loop: Header=BB294_13 Depth=1
	s_delay_alu instid0(SALU_CYCLE_1) | instskip(SKIP_4) | instid1(VALU_DEP_2)
	s_or_b32 exec_lo, exec_lo, s48
	global_load_u16 v1, v[9:10], off offset:896
	s_waitcnt vmcnt(0)
	v_dual_mov_b32 v9, 0 :: v_dual_and_b32 v10, 0xff, v1
	v_and_b32_e32 v53, 0xffff, v1
	v_cmp_ne_u16_e64 s1, 0, v10
	v_mov_b32_e32 v10, 0
	s_delay_alu instid0(VALU_DEP_2)
	s_and_saveexec_b32 s48, s1
	s_cbranch_execz .LBB294_248
; %bb.241:                              ;   in Loop: Header=BB294_13 Depth=1
	v_and_b32_e32 v1, 0xff, v53
	v_bfrev_b32_e32 v10, 1
	s_mov_b32 s49, exec_lo
	s_delay_alu instid0(VALU_DEP_2)
	v_cmpx_ne_u16_e32 0x80, v1
	s_cbranch_execz .LBB294_247
; %bb.242:                              ;   in Loop: Header=BB294_13 Depth=1
	v_and_b32_e32 v54, 0x7f, v53
	v_mov_b32_e32 v10, 0x7fc02000
	s_mov_b32 s50, exec_lo
	s_delay_alu instid0(VALU_DEP_2)
	v_cmpx_ne_u32_e32 0x7f, v54
	s_cbranch_execz .LBB294_246
; %bb.243:                              ;   in Loop: Header=BB294_13 Depth=1
	v_and_b32_e32 v1, 7, v53
	v_lshrrev_b32_e32 v10, 3, v54
	s_mov_b32 s51, exec_lo
	v_cmpx_gt_u32_e32 8, v54
; %bb.244:                              ;   in Loop: Header=BB294_13 Depth=1
	s_delay_alu instid0(VALU_DEP_3) | instskip(NEXT) | instid1(VALU_DEP_1)
	v_clz_i32_u32_e32 v10, v1
	v_min_u32_e32 v10, 32, v10
	s_delay_alu instid0(VALU_DEP_1) | instskip(SKIP_1) | instid1(VALU_DEP_2)
	v_subrev_nc_u32_e32 v54, 28, v10
	v_sub_nc_u32_e32 v10, 29, v10
	v_lshlrev_b64 v[54:55], v54, v[1:2]
	s_delay_alu instid0(VALU_DEP_1)
	v_and_b32_e32 v1, 7, v54
; %bb.245:                              ;   in Loop: Header=BB294_13 Depth=1
	s_or_b32 exec_lo, exec_lo, s51
	v_lshlrev_b32_e32 v54, 8, v53
	v_lshl_add_u32 v10, v10, 10, 0x2000
	s_delay_alu instid0(VALU_DEP_1) | instskip(NEXT) | instid1(VALU_DEP_1)
	v_and_or_b32 v10, 0x8000, v54, v10
	v_lshl_or_b32 v1, v1, 7, v10
	s_delay_alu instid0(VALU_DEP_1)
	v_cvt_f32_f16_e32 v10, v1
.LBB294_246:                            ;   in Loop: Header=BB294_13 Depth=1
	s_or_b32 exec_lo, exec_lo, s50
.LBB294_247:                            ;   in Loop: Header=BB294_13 Depth=1
	s_delay_alu instid0(SALU_CYCLE_1)
	s_or_b32 exec_lo, exec_lo, s49
.LBB294_248:                            ;   in Loop: Header=BB294_13 Depth=1
	s_delay_alu instid0(SALU_CYCLE_1) | instskip(SKIP_2) | instid1(VALU_DEP_1)
	s_or_b32 exec_lo, exec_lo, s48
	v_lshrrev_b16 v1, 8, v53
	s_mov_b32 s48, exec_lo
	v_cmpx_ne_u16_e32 0, v1
	s_cbranch_execz .LBB294_256
; %bb.249:                              ;   in Loop: Header=BB294_13 Depth=1
	v_bfrev_b32_e32 v9, 1
	s_mov_b32 s49, exec_lo
	v_cmpx_ne_u16_e32 0x80, v1
	s_cbranch_execz .LBB294_255
; %bb.250:                              ;   in Loop: Header=BB294_13 Depth=1
	v_and_b32_e32 v53, 0xffff, v1
	v_mov_b32_e32 v9, 0x7fc02000
	s_mov_b32 s50, exec_lo
	s_delay_alu instid0(VALU_DEP_2) | instskip(NEXT) | instid1(VALU_DEP_1)
	v_and_b32_e32 v54, 0x7f, v53
	v_cmpx_ne_u32_e32 0x7f, v54
	s_cbranch_execz .LBB294_254
; %bb.251:                              ;   in Loop: Header=BB294_13 Depth=1
	v_and_b32_e32 v1, 7, v53
	v_lshrrev_b32_e32 v9, 3, v54
	s_mov_b32 s51, exec_lo
	v_cmpx_gt_u32_e32 8, v54
; %bb.252:                              ;   in Loop: Header=BB294_13 Depth=1
	s_delay_alu instid0(VALU_DEP_3) | instskip(NEXT) | instid1(VALU_DEP_1)
	v_clz_i32_u32_e32 v9, v1
	v_min_u32_e32 v9, 32, v9
	s_delay_alu instid0(VALU_DEP_1) | instskip(SKIP_1) | instid1(VALU_DEP_2)
	v_subrev_nc_u32_e32 v54, 28, v9
	v_sub_nc_u32_e32 v9, 29, v9
	v_lshlrev_b64 v[54:55], v54, v[1:2]
	s_delay_alu instid0(VALU_DEP_1)
	v_and_b32_e32 v1, 7, v54
; %bb.253:                              ;   in Loop: Header=BB294_13 Depth=1
	s_or_b32 exec_lo, exec_lo, s51
	v_lshlrev_b32_e32 v53, 8, v53
	v_lshl_add_u32 v9, v9, 10, 0x2000
	s_delay_alu instid0(VALU_DEP_1) | instskip(NEXT) | instid1(VALU_DEP_1)
	v_and_or_b32 v9, 0x8000, v53, v9
	v_lshl_or_b32 v1, v1, 7, v9
	s_delay_alu instid0(VALU_DEP_1)
	v_cvt_f32_f16_e32 v9, v1
.LBB294_254:                            ;   in Loop: Header=BB294_13 Depth=1
	s_or_b32 exec_lo, exec_lo, s50
.LBB294_255:                            ;   in Loop: Header=BB294_13 Depth=1
	s_delay_alu instid0(SALU_CYCLE_1)
	s_or_b32 exec_lo, exec_lo, s49
.LBB294_256:                            ;   in Loop: Header=BB294_13 Depth=1
	s_delay_alu instid0(SALU_CYCLE_1)
	s_or_b32 exec_lo, exec_lo, s48
	ds_load_b32 v1, v15
	v_fma_mixlo_f16 v26, v24, v26, 0
	v_fma_mixlo_f16 v25, v24, v25, 0
	;; [unrolled: 1-line block ×5, first 2 shown]
	v_and_b32_e32 v26, 0xffff, v26
	v_fma_mixlo_f16 v29, v24, v29, 0
	v_fma_mixlo_f16 v32, v24, v32, 0
	;; [unrolled: 1-line block ×5, first 2 shown]
	v_and_b32_e32 v29, 0xffff, v29
	v_fma_mixlo_f16 v36, v24, v36, 0
	v_and_b32_e32 v31, 0xffff, v31
	v_fma_mixlo_f16 v35, v24, v35, 0
	;; [unrolled: 2-line block ×3, first 2 shown]
	v_fma_mixlo_f16 v37, v24, v37, 0
	v_fma_mixlo_f16 v40, v24, v40, 0
	s_waitcnt lgkmcnt(0)
	v_and_b32_e32 v53, 0xffff, v1
	v_lshrrev_b32_e32 v1, 16, v1
	;;#ASMSTART
	v_cvt_f32_f16 v53, v53;
	;;#ASMEND
	;;#ASMSTART
	v_cvt_f32_f16 v1, v1;
	;;#ASMEND
	;; [unrolled: 3-line block ×3, first 2 shown]
	v_and_b32_e32 v25, 0xffff, v25
	;;#ASMSTART
	v_cvt_f32_f16 v25, v25;
	;;#ASMEND
	ds_load_b32 v54, v15 offset:4
	v_and_b32_e32 v28, 0xffff, v28
	v_and_b32_e32 v35, 0xffff, v35
	;; [unrolled: 1-line block ×3, first 2 shown]
	v_fma_mixlo_f16 v39, v24, v39, 0
	v_fma_mixlo_f16 v42, v24, v42, 0
	;; [unrolled: 1-line block ×5, first 2 shown]
	v_and_b32_e32 v39, 0xffff, v39
	v_fma_mixlo_f16 v46, v24, v46, 0
	v_and_b32_e32 v41, 0xffff, v41
	v_fma_mixlo_f16 v45, v24, v45, 0
	;; [unrolled: 2-line block ×3, first 2 shown]
	v_fma_mixlo_f16 v47, v24, v47, 0
	v_fma_mixlo_f16 v50, v24, v50, 0
	v_and_b32_e32 v45, 0xffff, v45
	v_fma_mixlo_f16 v10, v24, v10, 0
	v_fma_mixlo_f16 v9, v24, v9, 0
	s_waitcnt lgkmcnt(0)
	v_and_b32_e32 v55, 0xffff, v54
	v_lshrrev_b32_e32 v54, 16, v54
	;;#ASMSTART
	v_cvt_f32_f16 v55, v55;
	;;#ASMEND
	;;#ASMSTART
	v_cvt_f32_f16 v54, v54;
	;;#ASMEND
	;; [unrolled: 3-line block ×3, first 2 shown]
	v_dual_mul_f32 v28, v55, v28 :: v_dual_and_b32 v47, 0xffff, v47
	s_delay_alu instid0(VALU_DEP_1) | instskip(SKIP_4) | instid1(VALU_DEP_1)
	v_dual_fmac_f32 v28, v53, v26 :: v_dual_and_b32 v9, 0xffff, v9
	v_and_b32_e32 v27, 0xffff, v27
	;;#ASMSTART
	v_cvt_f32_f16 v27, v27;
	;;#ASMEND
	ds_load_b32 v56, v15 offset:8
	v_mul_f32_e32 v27, v54, v27
	v_fmac_f32_e32 v27, v1, v25
	v_fma_mixlo_f16 v1, v24, v49, 0
	v_and_b32_e32 v25, 0xffff, v50
	s_delay_alu instid0(VALU_DEP_2)
	v_and_b32_e32 v1, 0xffff, v1
	s_waitcnt lgkmcnt(0)
	v_and_b32_e32 v57, 0xffff, v56
	v_lshrrev_b32_e32 v56, 16, v56
	;;#ASMSTART
	v_cvt_f32_f16 v57, v57;
	;;#ASMEND
	;;#ASMSTART
	v_cvt_f32_f16 v56, v56;
	;;#ASMEND
	v_and_b32_e32 v30, 0xffff, v30
	;;#ASMSTART
	v_cvt_f32_f16 v30, v30;
	;;#ASMEND
	;;#ASMSTART
	v_cvt_f32_f16 v29, v29;
	;;#ASMEND
	v_fmac_f32_e32 v27, v56, v29
	ds_load_b32 v58, v15 offset:12
	v_fmac_f32_e32 v28, v57, v30
	s_waitcnt lgkmcnt(0)
	v_and_b32_e32 v59, 0xffff, v58
	v_lshrrev_b32_e32 v58, 16, v58
	;;#ASMSTART
	v_cvt_f32_f16 v59, v59;
	;;#ASMEND
	;;#ASMSTART
	v_cvt_f32_f16 v58, v58;
	;;#ASMEND
	v_and_b32_e32 v32, 0xffff, v32
	;;#ASMSTART
	v_cvt_f32_f16 v32, v32;
	;;#ASMEND
	;;#ASMSTART
	v_cvt_f32_f16 v31, v31;
	;;#ASMEND
	v_fmac_f32_e32 v27, v58, v31
	ds_load_b32 v60, v15 offset:16
	v_fmac_f32_e32 v28, v59, v32
	v_fma_mixlo_f16 v31, v24, v52, 0
	v_fma_mixlo_f16 v32, v24, v51, 0
	v_xor_b32_e32 v24, 2, v11
	s_delay_alu instid0(VALU_DEP_3) | instskip(NEXT) | instid1(VALU_DEP_3)
	v_and_b32_e32 v31, 0xffff, v31
	v_and_b32_e32 v32, 0xffff, v32
	s_delay_alu instid0(VALU_DEP_3) | instskip(NEXT) | instid1(VALU_DEP_1)
	v_cmp_gt_i32_e64 s1, 32, v24
	v_cndmask_b32_e64 v24, v11, v24, s1
	s_waitcnt lgkmcnt(0)
	v_and_b32_e32 v61, 0xffff, v60
	v_lshrrev_b32_e32 v60, 16, v60
	;;#ASMSTART
	v_cvt_f32_f16 v61, v61;
	;;#ASMEND
	;;#ASMSTART
	v_cvt_f32_f16 v60, v60;
	;;#ASMEND
	v_and_b32_e32 v34, 0xffff, v34
	;;#ASMSTART
	v_cvt_f32_f16 v34, v34;
	;;#ASMEND
	;;#ASMSTART
	v_cvt_f32_f16 v33, v33;
	;;#ASMEND
	v_fmac_f32_e32 v27, v60, v33
	ds_load_b32 v62, v15 offset:20
	v_fmac_f32_e32 v28, v61, v34
	s_waitcnt lgkmcnt(0)
	v_and_b32_e32 v63, 0xffff, v62
	v_lshrrev_b32_e32 v62, 16, v62
	;;#ASMSTART
	v_cvt_f32_f16 v63, v63;
	;;#ASMEND
	;;#ASMSTART
	v_cvt_f32_f16 v62, v62;
	;;#ASMEND
	v_and_b32_e32 v36, 0xffff, v36
	;;#ASMSTART
	v_cvt_f32_f16 v36, v36;
	;;#ASMEND
	;;#ASMSTART
	v_cvt_f32_f16 v35, v35;
	;;#ASMEND
	v_fmac_f32_e32 v27, v62, v35
	ds_load_b32 v64, v15 offset:24
	v_fmac_f32_e32 v28, v63, v36
	;; [unrolled: 19-line block ×8, first 2 shown]
	s_waitcnt lgkmcnt(0)
	v_and_b32_e32 v26, 0xffff, v76
	v_lshrrev_b32_e32 v29, 16, v76
	;;#ASMSTART
	v_cvt_f32_f16 v26, v26;
	;;#ASMEND
	;;#ASMSTART
	v_cvt_f32_f16 v29, v29;
	;;#ASMEND
	;; [unrolled: 3-line block ×4, first 2 shown]
	v_fmac_f32_e32 v27, v29, v1
	ds_load_b32 v30, v15 offset:52
	s_waitcnt lgkmcnt(0)
	v_dual_fmac_f32 v28, v26, v25 :: v_dual_and_b32 v33, 0xffff, v30
	v_lshrrev_b32_e32 v30, 16, v30
	;;#ASMSTART
	v_cvt_f32_f16 v33, v33;
	;;#ASMEND
	;;#ASMSTART
	v_cvt_f32_f16 v30, v30;
	;;#ASMEND
	;; [unrolled: 3-line block ×4, first 2 shown]
	ds_load_b32 v34, v15 offset:56
	v_dual_fmac_f32 v27, v30, v32 :: v_dual_and_b32 v10, 0xffff, v10
	v_fmac_f32_e32 v28, v33, v31
	s_waitcnt lgkmcnt(0)
	v_lshrrev_b32_e32 v1, 16, v34
	v_and_b32_e32 v25, 0xffff, v34
	;;#ASMSTART
	v_cvt_f32_f16 v25, v25;
	;;#ASMEND
	;;#ASMSTART
	v_cvt_f32_f16 v1, v1;
	;;#ASMEND
	;; [unrolled: 3-line block ×4, first 2 shown]
	v_fmac_f32_e32 v28, v25, v10
	v_fmac_f32_e32 v27, v1, v9
	v_lshlrev_b32_e32 v1, 2, v24
	v_xor_b32_e32 v10, 1, v11
	s_delay_alu instid0(VALU_DEP_3) | instskip(NEXT) | instid1(VALU_DEP_2)
	v_add_f32_e32 v9, v28, v27
	v_cmp_gt_i32_e64 s1, 32, v10
	ds_bpermute_b32 v1, v1, v9
	v_cndmask_b32_e64 v10, v11, v10, s1
	s_waitcnt lgkmcnt(0)
	v_add_f32_e32 v1, v9, v1
	s_delay_alu instid0(VALU_DEP_2)
	v_lshlrev_b32_e32 v9, 2, v10
	ds_bpermute_b32 v9, v9, v1
	s_and_saveexec_b32 s48, vcc_lo
	s_cbranch_execz .LBB294_11
; %bb.257:                              ;   in Loop: Header=BB294_13 Depth=1
	s_waitcnt lgkmcnt(0)
	v_dual_add_f32 v1, v1, v9 :: v_dual_add_nc_u32 v10, v20, v18
	s_delay_alu instid0(VALU_DEP_1) | instskip(NEXT) | instid1(VALU_DEP_1)
	v_cvt_f32_i32_e32 v10, v10
	v_mul_f32_e32 v10, s42, v10
	s_delay_alu instid0(VALU_DEP_1) | instskip(NEXT) | instid1(VALU_DEP_1)
	v_cndmask_b32_e64 v9, 0, v10, s0
	v_dual_max_f32 v10, v12, v12 :: v_dual_fmac_f32 v9, s13, v1
	s_delay_alu instid0(VALU_DEP_1) | instskip(NEXT) | instid1(VALU_DEP_1)
	v_dual_max_f32 v10, v10, v9 :: v_dual_add_nc_u32 v1, v13, v18
	v_cmp_gt_i32_e64 s1, s33, v1
	s_delay_alu instid0(VALU_DEP_1) | instskip(NEXT) | instid1(VALU_DEP_3)
	v_cndmask_b32_e64 v1, 0, v9, s1
	v_cndmask_b32_e64 v12, v12, v10, s1
	ds_store_b32 v21, v1
	s_branch .LBB294_11
.LBB294_258:
	s_or_b32 exec_lo, exec_lo, s46
.LBB294_259:
	s_delay_alu instid0(SALU_CYCLE_1) | instskip(SKIP_4) | instid1(VALU_DEP_4)
	s_or_b32 exec_lo, exec_lo, s43
	v_xor_b32_e32 v1, 16, v11
	v_xor_b32_e32 v3, 8, v11
	v_and_b32_e32 v18, 31, v0
	v_max_f32_e32 v7, v12, v12
	v_cmp_gt_i32_e32 vcc_lo, 32, v1
	v_cndmask_b32_e32 v1, v11, v1, vcc_lo
	v_cmp_gt_i32_e32 vcc_lo, 32, v3
	v_cndmask_b32_e32 v3, v11, v3, vcc_lo
	s_delay_alu instid0(VALU_DEP_1) | instskip(NEXT) | instid1(VALU_DEP_4)
	v_lshlrev_b32_e32 v4, 2, v3
	v_lshlrev_b32_e32 v2, 2, v1
	ds_bpermute_b32 v1, v2, v12
	s_waitcnt lgkmcnt(0)
	v_max_f32_e32 v1, v1, v1
	s_delay_alu instid0(VALU_DEP_1)
	v_max_f32_e32 v1, v7, v1
	v_xor_b32_e32 v7, 4, v11
	ds_bpermute_b32 v3, v4, v1
	v_cmp_gt_i32_e32 vcc_lo, 32, v7
	v_cndmask_b32_e32 v7, v11, v7, vcc_lo
	v_cmp_eq_u32_e32 vcc_lo, 0, v18
	s_delay_alu instid0(VALU_DEP_2) | instskip(SKIP_3) | instid1(VALU_DEP_1)
	v_lshlrev_b32_e32 v9, 2, v7
	v_lshlrev_b32_e32 v7, 2, v16
	s_waitcnt lgkmcnt(0)
	v_max_f32_e32 v3, v3, v3
	v_max_f32_e32 v1, v1, v3
	ds_bpermute_b32 v3, v9, v1
	s_and_saveexec_b32 s0, vcc_lo
	s_cbranch_execz .LBB294_261
; %bb.260:
	s_waitcnt lgkmcnt(0)
	v_max_f32_e32 v3, v3, v3
	v_max_f32_e32 v1, v1, v1
	s_delay_alu instid0(VALU_DEP_1)
	v_max_f32_e32 v1, v1, v3
	ds_store_b32 v7, v1 offset:240
.LBB294_261:
	s_or_b32 exec_lo, exec_lo, s0
	v_cmp_gt_u32_e64 s0, 4, v18
	v_dual_mov_b32 v1, 0xff7fffff :: v_dual_lshlrev_b32 v8, 2, v18
	s_waitcnt lgkmcnt(0)
	s_barrier
	buffer_gl0_inv
	s_and_saveexec_b32 s1, s0
	s_cbranch_execz .LBB294_263
; %bb.262:
	ds_load_b32 v1, v8 offset:240
.LBB294_263:
	s_or_b32 exec_lo, exec_lo, s1
	v_xor_b32_e32 v3, 2, v11
	v_xor_b32_e32 v12, 1, v11
	s_delay_alu instid0(VALU_DEP_2) | instskip(NEXT) | instid1(VALU_DEP_1)
	v_cmp_gt_i32_e64 s1, 32, v3
	v_cndmask_b32_e64 v3, v11, v3, s1
	s_delay_alu instid0(VALU_DEP_3) | instskip(NEXT) | instid1(VALU_DEP_2)
	v_cmp_gt_i32_e64 s1, 32, v12
	v_lshlrev_b32_e32 v10, 2, v3
	s_delay_alu instid0(VALU_DEP_2)
	v_cndmask_b32_e64 v11, v11, v12, s1
	s_sub_i32 s1, s16, s12
	v_mov_b32_e32 v12, 0
	s_lshl_b32 s1, s1, 3
	s_waitcnt lgkmcnt(0)
	ds_bpermute_b32 v3, v10, v1
	v_max_f32_e32 v1, v1, v1
	v_lshlrev_b32_e32 v11, 2, v11
	s_add_i32 s1, s1, s25
	s_delay_alu instid0(SALU_CYCLE_1) | instskip(NEXT) | instid1(SALU_CYCLE_1)
	s_min_i32 s1, s1, s33
	s_sub_i32 s4, s1, s25
	s_delay_alu instid0(SALU_CYCLE_1) | instskip(SKIP_2) | instid1(VALU_DEP_1)
	v_cmp_gt_i32_e64 s1, s4, v0
	s_waitcnt lgkmcnt(0)
	v_max_f32_e32 v3, v3, v3
	v_max_f32_e32 v1, v1, v3
	ds_bpermute_b32 v3, v11, v1
	s_waitcnt lgkmcnt(0)
	v_max_f32_e32 v3, v3, v3
	s_delay_alu instid0(VALU_DEP_1)
	v_max_f32_e32 v1, v1, v3
	v_lshl_add_u32 v3, v0, 2, 0x110
	ds_bpermute_b32 v1, v12, v1
	s_and_saveexec_b32 s5, s1
	s_cbranch_execz .LBB294_267
; %bb.264:
	v_lshl_add_u32 v13, v0, 2, 0x110
	v_mov_b32_e32 v12, 0
	v_mov_b32_e32 v14, v0
	s_mov_b32 s12, 0
	.p2align	6
.LBB294_265:                            ; =>This Inner Loop Header: Depth=1
	ds_load_b32 v15, v13
	v_add_nc_u32_e32 v14, 0x80, v14
	s_delay_alu instid0(VALU_DEP_1) | instskip(NEXT) | instid1(VALU_DEP_1)
	v_cmp_le_i32_e64 s3, s4, v14
	s_or_b32 s12, s3, s12
	s_waitcnt lgkmcnt(0)
	v_sub_f32_e32 v15, v15, v1
	s_delay_alu instid0(VALU_DEP_1) | instskip(NEXT) | instid1(VALU_DEP_1)
	v_mul_f32_e32 v15, 0x3fb8aa3b, v15
	v_exp_f32_e32 v15, v15
	ds_store_b32 v13, v15
	v_dual_add_f32 v12, v12, v15 :: v_dual_add_nc_u32 v13, 0x200, v13
	s_and_not1_b32 exec_lo, exec_lo, s12
	s_cbranch_execnz .LBB294_265
; %bb.266:
	s_or_b32 exec_lo, exec_lo, s12
.LBB294_267:
	s_delay_alu instid0(SALU_CYCLE_1)
	s_or_b32 exec_lo, exec_lo, s5
	ds_bpermute_b32 v2, v2, v12
	s_waitcnt lgkmcnt(0)
	v_add_f32_e32 v2, v12, v2
	ds_bpermute_b32 v4, v4, v2
	s_waitcnt lgkmcnt(0)
	v_add_f32_e32 v2, v2, v4
	;; [unrolled: 3-line block ×5, first 2 shown]
	s_and_saveexec_b32 s3, vcc_lo
	s_cbranch_execz .LBB294_269
; %bb.268:
	ds_store_b32 v7, v2 offset:256
.LBB294_269:
	s_or_b32 exec_lo, exec_lo, s3
	s_waitcnt lgkmcnt(0)
	s_barrier
	buffer_gl0_inv
	s_and_saveexec_b32 s3, s0
	s_cbranch_execz .LBB294_271
; %bb.270:
	ds_load_b32 v2, v8 offset:256
.LBB294_271:
	s_or_b32 exec_lo, exec_lo, s3
	s_waitcnt lgkmcnt(0)
	ds_bpermute_b32 v4, v10, v2
	s_waitcnt lgkmcnt(0)
	v_add_f32_e32 v2, v2, v4
	ds_bpermute_b32 v4, v11, v2
	s_waitcnt lgkmcnt(0)
	v_add_f32_e32 v2, v2, v4
	v_mov_b32_e32 v4, 0
	ds_bpermute_b32 v2, v4, v2
	s_and_saveexec_b32 s0, s1
	s_cbranch_execz .LBB294_274
; %bb.272:
	s_waitcnt lgkmcnt(0)
	v_add_f32_e32 v4, 0x358637bd, v2
	s_mov_b32 s1, 0
	s_delay_alu instid0(VALU_DEP_1) | instskip(SKIP_1) | instid1(VALU_DEP_2)
	v_div_scale_f32 v7, null, v4, v4, 1.0
	v_div_scale_f32 v10, vcc_lo, 1.0, v4, 1.0
	v_rcp_f32_e32 v8, v7
	s_waitcnt_depctr 0xfff
	v_fma_f32 v9, -v7, v8, 1.0
	s_delay_alu instid0(VALU_DEP_1) | instskip(NEXT) | instid1(VALU_DEP_1)
	v_fmac_f32_e32 v8, v9, v8
	v_mul_f32_e32 v9, v10, v8
	s_delay_alu instid0(VALU_DEP_1) | instskip(NEXT) | instid1(VALU_DEP_1)
	v_fma_f32 v11, -v7, v9, v10
	v_fmac_f32_e32 v9, v11, v8
	s_delay_alu instid0(VALU_DEP_1) | instskip(NEXT) | instid1(VALU_DEP_1)
	v_fma_f32 v7, -v7, v9, v10
	v_div_fmas_f32 v7, v7, v8, v9
	s_delay_alu instid0(VALU_DEP_1)
	v_div_fixup_f32 v4, v7, v4, 1.0
	v_mov_b32_e32 v7, v0
.LBB294_273:                            ; =>This Inner Loop Header: Depth=1
	ds_load_b32 v8, v3
	s_waitcnt lgkmcnt(0)
	v_dual_mul_f32 v8, v4, v8 :: v_dual_add_nc_u32 v7, 0x80, v7
	s_delay_alu instid0(VALU_DEP_1) | instskip(SKIP_3) | instid1(SALU_CYCLE_1)
	v_cmp_le_i32_e32 vcc_lo, s4, v7
	ds_store_b32 v3, v8
	v_add_nc_u32_e32 v3, 0x200, v3
	s_or_b32 s1, vcc_lo, s1
	s_and_not1_b32 exec_lo, exec_lo, s1
	s_cbranch_execnz .LBB294_273
.LBB294_274:
	s_or_b32 exec_lo, exec_lo, s0
	s_mul_i32 s0, s8, s14
	s_mov_b32 s12, 0
	s_mul_i32 s4, s0, s15
	s_mov_b32 s0, exec_lo
	s_waitcnt lgkmcnt(0)
	s_barrier
	buffer_gl0_inv
	v_cmpx_eq_u32_e32 0, v0
	s_cbranch_execz .LBB294_276
; %bb.275:
	s_ashr_i32 s5, s4, 31
	s_mul_i32 s42, s8, s30
	s_lshl_b64 s[14:15], s[4:5], 2
	v_mov_b32_e32 v3, 0
	s_add_u32 s1, s22, s14
	s_addc_u32 s3, s23, s15
	s_ashr_i32 s43, s42, 31
	s_delay_alu instid0(SALU_CYCLE_1) | instskip(NEXT) | instid1(SALU_CYCLE_1)
	s_lshl_b64 s[22:23], s[42:43], 2
	s_add_u32 s1, s1, s22
	s_addc_u32 s3, s3, s23
	s_ashr_i32 s25, s24, 31
	s_delay_alu instid0(SALU_CYCLE_1) | instskip(NEXT) | instid1(SALU_CYCLE_1)
	s_lshl_b64 s[42:43], s[24:25], 2
	s_add_u32 s44, s1, s42
	s_addc_u32 s45, s3, s43
	s_add_u32 s1, s20, s14
	s_addc_u32 s3, s21, s15
	;; [unrolled: 2-line block ×4, first 2 shown]
	s_clause 0x1
	global_store_b32 v3, v1, s[44:45]
	global_store_b32 v3, v2, s[14:15]
.LBB294_276:
	s_or_b32 exec_lo, exec_lo, s0
	s_mov_b32 s13, s12
	s_mov_b32 s14, s12
	;; [unrolled: 1-line block ×3, first 2 shown]
	v_dual_mov_b32 v1, s12 :: v_dual_mov_b32 v2, s13
	v_dual_mov_b32 v3, s14 :: v_dual_mov_b32 v4, s15
	s_and_saveexec_b32 s5, s2
	s_cbranch_execz .LBB294_532
; %bb.277:
	s_sub_i32 s17, s11, s17
	s_ashr_i32 s0, s10, 31
	s_add_u32 s2, s38, s10
	s_addc_u32 s3, s39, s0
	s_abs_i32 s18, s18
	v_or_b32_e32 v4, 0x60, v18
	v_cvt_f32_u32_e32 v1, s18
	s_sub_i32 s0, 0, s18
	s_add_i32 s41, s41, -1
	s_mov_b32 s13, s12
	s_mov_b32 s14, s12
	v_rcp_iflag_f32_e32 v1, v1
	s_mov_b32 s15, s12
	v_cmp_gt_u32_e32 vcc_lo, 0x78, v4
	v_lshlrev_b32_e32 v21, 3, v4
	v_lshlrev_b32_e32 v19, 3, v18
	v_mov_b32_e32 v7, 0
	v_lshl_add_u32 v20, v16, 5, 0x110
	s_mov_b32 s10, -1
	s_mov_b32 s11, 0xffffff
	s_waitcnt_depctr 0xfff
	v_mul_f32_e32 v1, 0x4f7ffffe, v1
	s_delay_alu instid0(VALU_DEP_1) | instskip(SKIP_1) | instid1(VALU_DEP_2)
	v_cvt_u32_f32_e32 v3, v1
	v_lshlrev_b64 v[1:2], 2, v[5:6]
	v_mul_lo_u32 v6, s0, v3
	s_lshl_b64 s[0:1], s[36:37], 2
	s_delay_alu instid0(SALU_CYCLE_1) | instskip(SKIP_1) | instid1(VALU_DEP_2)
	s_add_u32 s0, s34, s0
	s_addc_u32 s1, s35, s1
	v_add_co_u32 v8, s0, s0, v1
	s_delay_alu instid0(VALU_DEP_1) | instskip(NEXT) | instid1(VALU_DEP_3)
	v_add_co_ci_u32_e64 v9, s0, s1, v2, s0
	v_mul_hi_u32 v6, v3, v6
	s_delay_alu instid0(VALU_DEP_1)
	v_dual_mov_b32 v1, s12 :: v_dual_add_nc_u32 v22, v3, v6
	v_dual_mov_b32 v2, s13 :: v_dual_mov_b32 v3, s14
	v_mov_b32_e32 v4, s15
	s_mov_b32 s13, s33
	s_branch .LBB294_281
.LBB294_278:                            ;   in Loop: Header=BB294_281 Depth=1
	s_or_b32 exec_lo, exec_lo, s1
	;;#ASMSTART
	v_pk_mul_f16 v11, v26, v13;

	;;#ASMEND
	;;#ASMSTART
	v_pk_mul_f16 v12, v25, v12;

	;;#ASMEND
	;;#ASMSTART
	v_pk_mul_f16 v6, v24, v6;

	;;#ASMEND
	;;#ASMSTART
	v_pk_mul_f16 v10, v23, v10;

	;;#ASMEND
	;;#ASMSTART
	v_pk_add_f16 v11, v11, v12;

	;;#ASMEND
	;;#ASMSTART
	v_pk_add_f16 v6, v11, v6;

	;;#ASMEND
	;; [unrolled: 4-line block ×3, first 2 shown]
	v_and_b32_e32 v10, 0xffff, v6
	v_lshrrev_b32_e32 v6, 16, v6
	;;#ASMSTART
	v_cvt_f32_f16 v10, v10;
	;;#ASMEND
	;;#ASMSTART
	v_cvt_f32_f16 v6, v6;
	;;#ASMEND
	s_delay_alu instid0(VALU_DEP_1) | instskip(NEXT) | instid1(VALU_DEP_1)
	v_add_f32_e32 v6, v10, v6
	v_add_f32_e32 v4, v4, v6
.LBB294_279:                            ;   in Loop: Header=BB294_281 Depth=1
	s_or_b32 exec_lo, exec_lo, s15
.LBB294_280:                            ;   in Loop: Header=BB294_281 Depth=1
	s_delay_alu instid0(SALU_CYCLE_1) | instskip(SKIP_2) | instid1(VALU_DEP_1)
	s_or_b32 exec_lo, exec_lo, s14
	v_add_nc_u32_e32 v5, 4, v5
	v_add_co_u32 v8, s1, v8, 16
	v_add_co_ci_u32_e64 v9, s1, 0, v9, s1
	s_delay_alu instid0(VALU_DEP_3) | instskip(SKIP_2) | instid1(VALU_DEP_3)
	v_cmp_le_i32_e64 s0, s16, v5
	v_add_nc_u32_e32 v17, 32, v17
	v_add_nc_u32_e32 v20, 0x80, v20
	s_or_b32 s12, s0, s12
	s_delay_alu instid0(SALU_CYCLE_1)
	s_and_not1_b32 exec_lo, exec_lo, s12
	s_cbranch_execz .LBB294_531
.LBB294_281:                            ; =>This Inner Loop Header: Depth=1
	v_sub_nc_u32_e32 v6, 0, v17
	s_delay_alu instid0(VALU_DEP_1) | instskip(NEXT) | instid1(VALU_DEP_1)
	v_max_i32_e32 v6, v17, v6
	v_mul_hi_u32 v10, v6, s31
	s_delay_alu instid0(VALU_DEP_1) | instskip(NEXT) | instid1(VALU_DEP_1)
	v_mul_lo_u32 v11, v10, s27
	v_sub_nc_u32_e32 v6, v6, v11
	v_add_nc_u32_e32 v11, 1, v10
	s_delay_alu instid0(VALU_DEP_2) | instskip(SKIP_1) | instid1(VALU_DEP_1)
	v_subrev_nc_u32_e32 v12, s27, v6
	v_cmp_le_u32_e64 s0, s27, v6
	v_cndmask_b32_e64 v10, v10, v11, s0
	s_delay_alu instid0(VALU_DEP_3) | instskip(SKIP_1) | instid1(VALU_DEP_3)
	v_cndmask_b32_e64 v6, v6, v12, s0
	v_ashrrev_i32_e32 v11, 31, v17
	v_add_nc_u32_e32 v12, 1, v10
	s_delay_alu instid0(VALU_DEP_3) | instskip(NEXT) | instid1(VALU_DEP_3)
	v_cmp_le_u32_e64 s0, s27, v6
	v_xor_b32_e32 v11, s19, v11
	s_delay_alu instid0(VALU_DEP_2) | instskip(NEXT) | instid1(VALU_DEP_1)
	v_cndmask_b32_e64 v6, v10, v12, s0
	v_xor_b32_e32 v6, v6, v11
	s_delay_alu instid0(VALU_DEP_1) | instskip(NEXT) | instid1(VALU_DEP_1)
	v_sub_nc_u32_e32 v6, v6, v11
	v_add_nc_u32_e32 v10, s40, v6
	v_cmp_lt_i32_e64 s1, s17, v6
	s_delay_alu instid0(VALU_DEP_2) | instskip(NEXT) | instid1(VALU_DEP_1)
	v_sub_nc_u32_e32 v11, 0, v10
	v_max_i32_e32 v11, v10, v11
	v_ashrrev_i32_e32 v10, 31, v10
	s_delay_alu instid0(VALU_DEP_2) | instskip(NEXT) | instid1(VALU_DEP_1)
	v_mul_hi_u32 v12, v11, v22
	v_mul_lo_u32 v12, v12, s18
	s_delay_alu instid0(VALU_DEP_1) | instskip(NEXT) | instid1(VALU_DEP_1)
	v_sub_nc_u32_e32 v11, v11, v12
	v_subrev_nc_u32_e32 v12, s18, v11
	v_cmp_le_u32_e64 s0, s18, v11
	s_delay_alu instid0(VALU_DEP_1) | instskip(NEXT) | instid1(VALU_DEP_1)
	v_cndmask_b32_e64 v11, v11, v12, s0
	v_subrev_nc_u32_e32 v12, s18, v11
	v_cmp_le_u32_e64 s0, s18, v11
	s_delay_alu instid0(VALU_DEP_1) | instskip(NEXT) | instid1(VALU_DEP_1)
	v_cndmask_b32_e64 v11, v11, v12, s0
	v_xor_b32_e32 v11, v11, v10
	s_delay_alu instid0(VALU_DEP_1) | instskip(NEXT) | instid1(VALU_DEP_1)
	v_sub_nc_u32_e32 v10, v11, v10
	v_cmp_eq_u32_e64 s0, 0, v10
	s_delay_alu instid0(VALU_DEP_1) | instskip(NEXT) | instid1(SALU_CYCLE_1)
	s_or_b32 s0, s0, s1
	s_and_saveexec_b32 s14, s0
	s_cbranch_execz .LBB294_280
; %bb.282:                              ;   in Loop: Header=BB294_281 Depth=1
	global_load_b32 v6, v[8:9], off
	ds_load_2addr_b64 v[12:15], v20 offset1:1
	ds_load_2addr_b64 v[29:32], v20 offset0:2 offset1:3
	s_mov_b32 s1, exec_lo
	s_waitcnt lgkmcnt(1)
	;;#ASMSTART
	v_cvt_f16_f32 v25, v12;

	;;#ASMEND
	;;#ASMSTART
	v_cvt_f16_f32 v23, v13;

	;;#ASMEND
	;; [unrolled: 4-line block ×4, first 2 shown]
	s_waitcnt lgkmcnt(0)
	;;#ASMSTART
	v_cvt_f16_f32 v29, v29;

	;;#ASMEND
	;;#ASMSTART
	v_cvt_f16_f32 v27, v30;

	;;#ASMEND
	;; [unrolled: 4-line block ×4, first 2 shown]
	v_dual_mov_b32 v32, 0 :: v_dual_mov_b32 v33, 0
	s_waitcnt vmcnt(0)
	v_mad_i64_i32 v[10:11], null, v6, s9, s[2:3]
	s_delay_alu instid0(VALU_DEP_1) | instskip(NEXT) | instid1(VALU_DEP_1)
	v_add_co_u32 v12, s0, v10, v19
	v_add_co_ci_u32_e64 v13, s0, 0, v11, s0
	global_load_b64 v[14:15], v[12:13], off
	global_load_b32 v31, v7, s[6:7]
	s_waitcnt vmcnt(1)
	v_and_b32_e32 v6, 0xff, v14
	s_delay_alu instid0(VALU_DEP_1)
	v_cmpx_ne_u16_e32 0, v6
	s_cbranch_execz .LBB294_288
; %bb.283:                              ;   in Loop: Header=BB294_281 Depth=1
	v_bfrev_b32_e32 v32, 1
	s_mov_b32 s15, exec_lo
	v_cmpx_ne_u16_e32 0x80, v6
	s_cbranch_execz .LBB294_287
; %bb.284:                              ;   in Loop: Header=BB294_281 Depth=1
	v_and_b32_e32 v6, 0x7f, v14
	v_mov_b32_e32 v32, 0x7fc02000
	s_mov_b32 s20, exec_lo
	s_delay_alu instid0(VALU_DEP_2)
	v_cmpx_ne_u32_e32 0x7f, v6
	s_cbranch_execz .LBB294_286
; %bb.285:                              ;   in Loop: Header=BB294_281 Depth=1
	v_and_b32_e32 v32, 7, v14
	v_cmp_gt_u32_e64 s0, 8, v6
	v_lshrrev_b32_e32 v34, 3, v6
	s_delay_alu instid0(VALU_DEP_3) | instskip(NEXT) | instid1(VALU_DEP_1)
	v_clz_i32_u32_e32 v32, v32
	v_min_u32_e32 v32, 32, v32
	s_delay_alu instid0(VALU_DEP_1) | instskip(SKIP_1) | instid1(VALU_DEP_2)
	v_subrev_nc_u32_e32 v35, 28, v32
	v_sub_nc_u32_e32 v32, 29, v32
	v_cndmask_b32_e64 v6, 0, v35, s0
	s_delay_alu instid0(VALU_DEP_2) | instskip(NEXT) | instid1(VALU_DEP_2)
	v_cndmask_b32_e64 v32, v34, v32, s0
	v_lshlrev_b64 v[34:35], v6, v[14:15]
	v_lshlrev_b32_e32 v6, 8, v14
	s_delay_alu instid0(VALU_DEP_3) | instskip(NEXT) | instid1(VALU_DEP_3)
	v_lshl_add_u32 v32, v32, 10, 0x2000
	v_lshlrev_b32_e32 v34, 7, v34
	s_delay_alu instid0(VALU_DEP_2) | instskip(NEXT) | instid1(VALU_DEP_1)
	v_and_or_b32 v6, 0x8000, v6, v32
	v_and_or_b32 v6, 0x380, v34, v6
	s_delay_alu instid0(VALU_DEP_1)
	v_cvt_f32_f16_e32 v32, v6
.LBB294_286:                            ;   in Loop: Header=BB294_281 Depth=1
	s_or_b32 exec_lo, exec_lo, s20
.LBB294_287:                            ;   in Loop: Header=BB294_281 Depth=1
	s_delay_alu instid0(SALU_CYCLE_1)
	s_or_b32 exec_lo, exec_lo, s15
.LBB294_288:                            ;   in Loop: Header=BB294_281 Depth=1
	s_delay_alu instid0(SALU_CYCLE_1) | instskip(SKIP_2) | instid1(VALU_DEP_1)
	s_or_b32 exec_lo, exec_lo, s1
	v_lshrrev_b16 v6, 8, v14
	s_mov_b32 s1, exec_lo
	v_cmpx_ne_u16_e32 0, v6
	s_cbranch_execz .LBB294_296
; %bb.289:                              ;   in Loop: Header=BB294_281 Depth=1
	v_bfrev_b32_e32 v33, 1
	s_mov_b32 s15, exec_lo
	v_cmpx_ne_u16_e32 0x80, v6
	s_cbranch_execz .LBB294_295
; %bb.290:                              ;   in Loop: Header=BB294_281 Depth=1
	v_and_b32_e32 v34, 0xffff, v6
	v_mov_b32_e32 v33, 0x7fc02000
	s_mov_b32 s20, exec_lo
	s_delay_alu instid0(VALU_DEP_2) | instskip(NEXT) | instid1(VALU_DEP_1)
	v_and_b32_e32 v35, 0x7f, v34
	v_cmpx_ne_u32_e32 0x7f, v35
	s_cbranch_execz .LBB294_294
; %bb.291:                              ;   in Loop: Header=BB294_281 Depth=1
	v_and_b32_e32 v6, 7, v34
	v_lshrrev_b32_e32 v33, 3, v35
	s_mov_b32 s21, exec_lo
	v_cmpx_gt_u32_e32 8, v35
; %bb.292:                              ;   in Loop: Header=BB294_281 Depth=1
	s_delay_alu instid0(VALU_DEP_3) | instskip(NEXT) | instid1(VALU_DEP_1)
	v_clz_i32_u32_e32 v33, v6
	v_min_u32_e32 v33, 32, v33
	s_delay_alu instid0(VALU_DEP_1) | instskip(SKIP_1) | instid1(VALU_DEP_2)
	v_subrev_nc_u32_e32 v35, 28, v33
	v_sub_nc_u32_e32 v33, 29, v33
	v_lshlrev_b64 v[35:36], v35, v[6:7]
	s_delay_alu instid0(VALU_DEP_1)
	v_and_b32_e32 v6, 7, v35
; %bb.293:                              ;   in Loop: Header=BB294_281 Depth=1
	s_or_b32 exec_lo, exec_lo, s21
	v_lshlrev_b32_e32 v34, 8, v34
	v_lshl_add_u32 v33, v33, 10, 0x2000
	s_delay_alu instid0(VALU_DEP_1) | instskip(NEXT) | instid1(VALU_DEP_1)
	v_and_or_b32 v33, 0x8000, v34, v33
	v_lshl_or_b32 v6, v6, 7, v33
	s_delay_alu instid0(VALU_DEP_1)
	v_cvt_f32_f16_e32 v33, v6
.LBB294_294:                            ;   in Loop: Header=BB294_281 Depth=1
	s_or_b32 exec_lo, exec_lo, s20
.LBB294_295:                            ;   in Loop: Header=BB294_281 Depth=1
	s_delay_alu instid0(SALU_CYCLE_1)
	s_or_b32 exec_lo, exec_lo, s15
.LBB294_296:                            ;   in Loop: Header=BB294_281 Depth=1
	s_delay_alu instid0(SALU_CYCLE_1) | instskip(SKIP_3) | instid1(VALU_DEP_2)
	s_or_b32 exec_lo, exec_lo, s1
	v_lshrrev_b32_e32 v36, 16, v14
	v_mov_b32_e32 v34, 0
	s_mov_b32 s1, exec_lo
	v_dual_mov_b32 v35, 0 :: v_dual_and_b32 v6, 0xff, v36
	s_delay_alu instid0(VALU_DEP_1)
	v_cmpx_ne_u16_e32 0, v6
	s_cbranch_execz .LBB294_304
; %bb.297:                              ;   in Loop: Header=BB294_281 Depth=1
	v_bfrev_b32_e32 v34, 1
	s_mov_b32 s15, exec_lo
	v_cmpx_ne_u16_e32 0x80, v6
	s_cbranch_execz .LBB294_303
; %bb.298:                              ;   in Loop: Header=BB294_281 Depth=1
	v_bfe_u32 v37, v14, 16, 7
	v_mov_b32_e32 v34, 0x7fc02000
	s_mov_b32 s20, exec_lo
	s_delay_alu instid0(VALU_DEP_2)
	v_cmpx_ne_u32_e32 0x7f, v37
	s_cbranch_execz .LBB294_302
; %bb.299:                              ;   in Loop: Header=BB294_281 Depth=1
	v_and_b32_e32 v6, 7, v36
	v_lshrrev_b32_e32 v34, 3, v37
	s_mov_b32 s21, exec_lo
	v_cmpx_gt_u32_e32 8, v37
; %bb.300:                              ;   in Loop: Header=BB294_281 Depth=1
	s_delay_alu instid0(VALU_DEP_3) | instskip(NEXT) | instid1(VALU_DEP_1)
	v_clz_i32_u32_e32 v34, v6
	v_min_u32_e32 v34, 32, v34
	s_delay_alu instid0(VALU_DEP_1) | instskip(SKIP_1) | instid1(VALU_DEP_2)
	v_subrev_nc_u32_e32 v37, 28, v34
	v_sub_nc_u32_e32 v34, 29, v34
	v_lshlrev_b64 v[37:38], v37, v[6:7]
	s_delay_alu instid0(VALU_DEP_1)
	v_and_b32_e32 v6, 7, v37
; %bb.301:                              ;   in Loop: Header=BB294_281 Depth=1
	s_or_b32 exec_lo, exec_lo, s21
	v_lshlrev_b32_e32 v36, 8, v36
	v_lshl_add_u32 v34, v34, 10, 0x2000
	s_delay_alu instid0(VALU_DEP_1) | instskip(NEXT) | instid1(VALU_DEP_1)
	v_and_or_b32 v34, 0x8000, v36, v34
	v_lshl_or_b32 v6, v6, 7, v34
	s_delay_alu instid0(VALU_DEP_1)
	v_cvt_f32_f16_e32 v34, v6
.LBB294_302:                            ;   in Loop: Header=BB294_281 Depth=1
	s_or_b32 exec_lo, exec_lo, s20
.LBB294_303:                            ;   in Loop: Header=BB294_281 Depth=1
	s_delay_alu instid0(SALU_CYCLE_1)
	s_or_b32 exec_lo, exec_lo, s15
.LBB294_304:                            ;   in Loop: Header=BB294_281 Depth=1
	s_delay_alu instid0(SALU_CYCLE_1) | instskip(NEXT) | instid1(SALU_CYCLE_1)
	s_or_b32 exec_lo, exec_lo, s1
	s_mov_b32 s1, exec_lo
	v_cmpx_lt_u32_e32 0xffffff, v14
	s_cbranch_execz .LBB294_312
; %bb.305:                              ;   in Loop: Header=BB294_281 Depth=1
	v_lshrrev_b32_e32 v36, 24, v14
	v_bfrev_b32_e32 v35, 1
	s_mov_b32 s15, exec_lo
	s_delay_alu instid0(VALU_DEP_2)
	v_cmpx_ne_u32_e32 0x80, v36
	s_cbranch_execz .LBB294_311
; %bb.306:                              ;   in Loop: Header=BB294_281 Depth=1
	v_and_b32_e32 v37, 0x7f, v36
	v_mov_b32_e32 v35, 0x7fc02000
	s_mov_b32 s20, exec_lo
	s_delay_alu instid0(VALU_DEP_2)
	v_cmpx_ne_u32_e32 0x7f, v37
	s_cbranch_execz .LBB294_310
; %bb.307:                              ;   in Loop: Header=BB294_281 Depth=1
	v_and_b32_e32 v6, 7, v36
	v_lshrrev_b32_e32 v35, 3, v37
	s_mov_b32 s21, exec_lo
	v_cmpx_gt_u32_e32 8, v37
; %bb.308:                              ;   in Loop: Header=BB294_281 Depth=1
	s_delay_alu instid0(VALU_DEP_3) | instskip(NEXT) | instid1(VALU_DEP_1)
	v_clz_i32_u32_e32 v35, v6
	v_min_u32_e32 v35, 32, v35
	s_delay_alu instid0(VALU_DEP_1) | instskip(SKIP_1) | instid1(VALU_DEP_2)
	v_subrev_nc_u32_e32 v37, 28, v35
	v_sub_nc_u32_e32 v35, 29, v35
	v_lshlrev_b64 v[37:38], v37, v[6:7]
	s_delay_alu instid0(VALU_DEP_1)
	v_and_b32_e32 v6, 7, v37
; %bb.309:                              ;   in Loop: Header=BB294_281 Depth=1
	s_or_b32 exec_lo, exec_lo, s21
	v_lshlrev_b32_e32 v36, 8, v36
	v_lshl_add_u32 v35, v35, 10, 0x2000
	s_delay_alu instid0(VALU_DEP_1) | instskip(NEXT) | instid1(VALU_DEP_1)
	v_and_or_b32 v35, 0x8000, v36, v35
	v_lshl_or_b32 v6, v6, 7, v35
	s_delay_alu instid0(VALU_DEP_1)
	v_cvt_f32_f16_e32 v35, v6
.LBB294_310:                            ;   in Loop: Header=BB294_281 Depth=1
	s_or_b32 exec_lo, exec_lo, s20
.LBB294_311:                            ;   in Loop: Header=BB294_281 Depth=1
	s_delay_alu instid0(SALU_CYCLE_1)
	s_or_b32 exec_lo, exec_lo, s15
.LBB294_312:                            ;   in Loop: Header=BB294_281 Depth=1
	s_delay_alu instid0(SALU_CYCLE_1) | instskip(SKIP_4) | instid1(VALU_DEP_3)
	s_or_b32 exec_lo, exec_lo, s1
	v_dual_mov_b32 v37, 0 :: v_dual_and_b32 v38, 0xff, v15
	v_mov_b32_e32 v6, v15
	v_mov_b32_e32 v36, 0
	s_mov_b32 s1, exec_lo
	v_cmpx_ne_u16_e32 0, v38
	s_cbranch_execz .LBB294_318
; %bb.313:                              ;   in Loop: Header=BB294_281 Depth=1
	v_bfrev_b32_e32 v36, 1
	s_mov_b32 s15, exec_lo
	v_cmpx_ne_u16_e32 0x80, v38
	s_cbranch_execz .LBB294_317
; %bb.314:                              ;   in Loop: Header=BB294_281 Depth=1
	v_and_b32_e32 v38, 0x7f, v15
	v_mov_b32_e32 v36, 0x7fc02000
	s_mov_b32 s20, exec_lo
	s_delay_alu instid0(VALU_DEP_2)
	v_cmpx_ne_u32_e32 0x7f, v38
	s_cbranch_execz .LBB294_316
; %bb.315:                              ;   in Loop: Header=BB294_281 Depth=1
	v_and_b32_e32 v36, 7, v15
	v_cmp_gt_u32_e64 s0, 8, v38
	v_lshrrev_b32_e32 v39, 3, v38
	s_delay_alu instid0(VALU_DEP_3) | instskip(NEXT) | instid1(VALU_DEP_1)
	v_clz_i32_u32_e32 v36, v36
	v_min_u32_e32 v36, 32, v36
	s_delay_alu instid0(VALU_DEP_1) | instskip(SKIP_1) | instid1(VALU_DEP_2)
	v_subrev_nc_u32_e32 v40, 28, v36
	v_sub_nc_u32_e32 v36, 29, v36
	v_cndmask_b32_e64 v38, 0, v40, s0
	s_delay_alu instid0(VALU_DEP_2) | instskip(NEXT) | instid1(VALU_DEP_2)
	v_cndmask_b32_e64 v36, v39, v36, s0
	v_lshlrev_b64 v[38:39], v38, v[6:7]
	v_lshlrev_b32_e32 v39, 8, v15
	s_delay_alu instid0(VALU_DEP_3) | instskip(NEXT) | instid1(VALU_DEP_3)
	v_lshl_add_u32 v36, v36, 10, 0x2000
	v_lshlrev_b32_e32 v38, 7, v38
	s_delay_alu instid0(VALU_DEP_2) | instskip(NEXT) | instid1(VALU_DEP_1)
	v_and_or_b32 v36, 0x8000, v39, v36
	v_and_or_b32 v36, 0x380, v38, v36
	s_delay_alu instid0(VALU_DEP_1)
	v_cvt_f32_f16_e32 v36, v36
.LBB294_316:                            ;   in Loop: Header=BB294_281 Depth=1
	s_or_b32 exec_lo, exec_lo, s20
.LBB294_317:                            ;   in Loop: Header=BB294_281 Depth=1
	s_delay_alu instid0(SALU_CYCLE_1)
	s_or_b32 exec_lo, exec_lo, s15
.LBB294_318:                            ;   in Loop: Header=BB294_281 Depth=1
	s_delay_alu instid0(SALU_CYCLE_1) | instskip(SKIP_2) | instid1(VALU_DEP_1)
	s_or_b32 exec_lo, exec_lo, s1
	v_lshrrev_b16 v6, 8, v6
	s_mov_b32 s1, exec_lo
	v_cmpx_ne_u16_e32 0, v6
	s_cbranch_execz .LBB294_326
; %bb.319:                              ;   in Loop: Header=BB294_281 Depth=1
	v_bfrev_b32_e32 v37, 1
	s_mov_b32 s15, exec_lo
	v_cmpx_ne_u16_e32 0x80, v6
	s_cbranch_execz .LBB294_325
; %bb.320:                              ;   in Loop: Header=BB294_281 Depth=1
	v_and_b32_e32 v38, 0xffff, v6
	v_mov_b32_e32 v37, 0x7fc02000
	s_mov_b32 s20, exec_lo
	s_delay_alu instid0(VALU_DEP_2) | instskip(NEXT) | instid1(VALU_DEP_1)
	v_and_b32_e32 v39, 0x7f, v38
	v_cmpx_ne_u32_e32 0x7f, v39
	s_cbranch_execz .LBB294_324
; %bb.321:                              ;   in Loop: Header=BB294_281 Depth=1
	v_and_b32_e32 v6, 7, v38
	v_lshrrev_b32_e32 v37, 3, v39
	s_mov_b32 s21, exec_lo
	v_cmpx_gt_u32_e32 8, v39
; %bb.322:                              ;   in Loop: Header=BB294_281 Depth=1
	s_delay_alu instid0(VALU_DEP_3) | instskip(NEXT) | instid1(VALU_DEP_1)
	v_clz_i32_u32_e32 v37, v6
	v_min_u32_e32 v37, 32, v37
	s_delay_alu instid0(VALU_DEP_1) | instskip(SKIP_1) | instid1(VALU_DEP_2)
	v_subrev_nc_u32_e32 v39, 28, v37
	v_sub_nc_u32_e32 v37, 29, v37
	v_lshlrev_b64 v[39:40], v39, v[6:7]
	s_delay_alu instid0(VALU_DEP_1)
	v_and_b32_e32 v6, 7, v39
; %bb.323:                              ;   in Loop: Header=BB294_281 Depth=1
	s_or_b32 exec_lo, exec_lo, s21
	v_lshlrev_b32_e32 v38, 8, v38
	v_lshl_add_u32 v37, v37, 10, 0x2000
	s_delay_alu instid0(VALU_DEP_1) | instskip(NEXT) | instid1(VALU_DEP_1)
	v_and_or_b32 v37, 0x8000, v38, v37
	v_lshl_or_b32 v6, v6, 7, v37
	s_delay_alu instid0(VALU_DEP_1)
	v_cvt_f32_f16_e32 v37, v6
.LBB294_324:                            ;   in Loop: Header=BB294_281 Depth=1
	s_or_b32 exec_lo, exec_lo, s20
.LBB294_325:                            ;   in Loop: Header=BB294_281 Depth=1
	s_delay_alu instid0(SALU_CYCLE_1)
	s_or_b32 exec_lo, exec_lo, s15
.LBB294_326:                            ;   in Loop: Header=BB294_281 Depth=1
	s_delay_alu instid0(SALU_CYCLE_1) | instskip(SKIP_3) | instid1(VALU_DEP_2)
	s_or_b32 exec_lo, exec_lo, s1
	v_lshrrev_b32_e32 v40, 16, v15
	v_mov_b32_e32 v38, 0
	s_mov_b32 s1, exec_lo
	v_dual_mov_b32 v39, 0 :: v_dual_and_b32 v6, 0xff, v40
	s_delay_alu instid0(VALU_DEP_1)
	v_cmpx_ne_u16_e32 0, v6
	s_cbranch_execz .LBB294_334
; %bb.327:                              ;   in Loop: Header=BB294_281 Depth=1
	v_bfrev_b32_e32 v38, 1
	s_mov_b32 s15, exec_lo
	v_cmpx_ne_u16_e32 0x80, v6
	s_cbranch_execz .LBB294_333
; %bb.328:                              ;   in Loop: Header=BB294_281 Depth=1
	v_bfe_u32 v41, v15, 16, 7
	v_mov_b32_e32 v38, 0x7fc02000
	s_mov_b32 s20, exec_lo
	s_delay_alu instid0(VALU_DEP_2)
	v_cmpx_ne_u32_e32 0x7f, v41
	s_cbranch_execz .LBB294_332
; %bb.329:                              ;   in Loop: Header=BB294_281 Depth=1
	v_and_b32_e32 v6, 7, v40
	v_lshrrev_b32_e32 v38, 3, v41
	s_mov_b32 s21, exec_lo
	v_cmpx_gt_u32_e32 8, v41
; %bb.330:                              ;   in Loop: Header=BB294_281 Depth=1
	s_delay_alu instid0(VALU_DEP_3) | instskip(NEXT) | instid1(VALU_DEP_1)
	v_clz_i32_u32_e32 v38, v6
	v_min_u32_e32 v38, 32, v38
	s_delay_alu instid0(VALU_DEP_1) | instskip(SKIP_1) | instid1(VALU_DEP_2)
	v_subrev_nc_u32_e32 v41, 28, v38
	v_sub_nc_u32_e32 v38, 29, v38
	v_lshlrev_b64 v[41:42], v41, v[6:7]
	s_delay_alu instid0(VALU_DEP_1)
	v_and_b32_e32 v6, 7, v41
; %bb.331:                              ;   in Loop: Header=BB294_281 Depth=1
	s_or_b32 exec_lo, exec_lo, s21
	v_lshlrev_b32_e32 v40, 8, v40
	v_lshl_add_u32 v38, v38, 10, 0x2000
	s_delay_alu instid0(VALU_DEP_1) | instskip(NEXT) | instid1(VALU_DEP_1)
	v_and_or_b32 v38, 0x8000, v40, v38
	v_lshl_or_b32 v6, v6, 7, v38
	s_delay_alu instid0(VALU_DEP_1)
	v_cvt_f32_f16_e32 v38, v6
.LBB294_332:                            ;   in Loop: Header=BB294_281 Depth=1
	s_or_b32 exec_lo, exec_lo, s20
.LBB294_333:                            ;   in Loop: Header=BB294_281 Depth=1
	s_delay_alu instid0(SALU_CYCLE_1)
	s_or_b32 exec_lo, exec_lo, s15
.LBB294_334:                            ;   in Loop: Header=BB294_281 Depth=1
	s_delay_alu instid0(SALU_CYCLE_1) | instskip(NEXT) | instid1(SALU_CYCLE_1)
	s_or_b32 exec_lo, exec_lo, s1
	s_mov_b32 s1, exec_lo
	v_cmpx_lt_u64_e64 s[10:11], v[14:15]
	s_cbranch_execz .LBB294_342
; %bb.335:                              ;   in Loop: Header=BB294_281 Depth=1
	v_lshrrev_b32_e32 v14, 24, v15
	v_bfrev_b32_e32 v39, 1
	s_mov_b32 s15, exec_lo
	s_delay_alu instid0(VALU_DEP_2)
	v_cmpx_ne_u32_e32 0x80, v14
	s_cbranch_execz .LBB294_341
; %bb.336:                              ;   in Loop: Header=BB294_281 Depth=1
	v_and_b32_e32 v40, 0x7f, v14
	v_mov_b32_e32 v39, 0x7fc02000
	s_mov_b32 s20, exec_lo
	s_delay_alu instid0(VALU_DEP_2)
	v_cmpx_ne_u32_e32 0x7f, v40
	s_cbranch_execz .LBB294_340
; %bb.337:                              ;   in Loop: Header=BB294_281 Depth=1
	v_and_b32_e32 v6, 7, v14
	v_lshrrev_b32_e32 v15, 3, v40
	s_mov_b32 s21, exec_lo
	v_cmpx_gt_u32_e32 8, v40
; %bb.338:                              ;   in Loop: Header=BB294_281 Depth=1
	s_delay_alu instid0(VALU_DEP_3) | instskip(NEXT) | instid1(VALU_DEP_1)
	v_clz_i32_u32_e32 v15, v6
	v_min_u32_e32 v15, 32, v15
	s_delay_alu instid0(VALU_DEP_1) | instskip(SKIP_1) | instid1(VALU_DEP_2)
	v_subrev_nc_u32_e32 v39, 28, v15
	v_sub_nc_u32_e32 v15, 29, v15
	v_lshlrev_b64 v[39:40], v39, v[6:7]
	s_delay_alu instid0(VALU_DEP_1)
	v_and_b32_e32 v6, 7, v39
; %bb.339:                              ;   in Loop: Header=BB294_281 Depth=1
	s_or_b32 exec_lo, exec_lo, s21
	v_lshlrev_b32_e32 v14, 8, v14
	v_lshl_add_u32 v15, v15, 10, 0x2000
	s_delay_alu instid0(VALU_DEP_1) | instskip(NEXT) | instid1(VALU_DEP_1)
	v_and_or_b32 v14, 0x8000, v14, v15
	v_lshl_or_b32 v6, v6, 7, v14
	s_delay_alu instid0(VALU_DEP_1)
	v_cvt_f32_f16_e32 v39, v6
.LBB294_340:                            ;   in Loop: Header=BB294_281 Depth=1
	s_or_b32 exec_lo, exec_lo, s20
.LBB294_341:                            ;   in Loop: Header=BB294_281 Depth=1
	s_delay_alu instid0(SALU_CYCLE_1)
	s_or_b32 exec_lo, exec_lo, s15
.LBB294_342:                            ;   in Loop: Header=BB294_281 Depth=1
	s_delay_alu instid0(SALU_CYCLE_1)
	s_or_b32 exec_lo, exec_lo, s1
	s_waitcnt vmcnt(0)
	v_fma_mixlo_f16 v15, v31, v33, 0
	v_fma_mixlo_f16 v6, v31, v35, 0
	;; [unrolled: 1-line block ×5, first 2 shown]
	v_lshlrev_b32_e32 v33, 16, v15
	v_fma_mixlo_f16 v15, v31, v32, 0
	v_fma_mixlo_f16 v32, v31, v37, 0
	;; [unrolled: 1-line block ×3, first 2 shown]
	v_lshlrev_b32_e32 v6, 16, v6
	v_and_b32_e32 v14, 0xffff, v14
	v_and_b32_e32 v36, 0xffff, v15
	v_lshlrev_b32_e32 v37, 16, v32
	v_and_b32_e32 v34, 0xffff, v34
	v_lshlrev_b32_e32 v35, 16, v35
	v_and_b32_e32 v38, 0xffff, v31
	v_cmp_eq_u32_e64 s0, s41, v5
	v_or_b32_e32 v15, v6, v14
	v_or_b32_e32 v32, v33, v36
	;; [unrolled: 1-line block ×4, first 2 shown]
	s_and_saveexec_b32 s15, s0
	s_cbranch_execz .LBB294_344
; %bb.343:                              ;   in Loop: Header=BB294_281 Depth=1
	v_add_nc_u32_e32 v33, 1, v17
	v_lshrrev_b32_e32 v34, 16, v32
	v_or_b32_e32 v35, 3, v17
	v_lshrrev_b32_e32 v36, 16, v15
	v_lshrrev_b32_e32 v37, 16, v6
	v_cmp_gt_i32_e64 s1, s13, v33
	v_lshrrev_b32_e32 v14, 16, v14
	v_or_b32_e32 v38, 6, v17
	s_delay_alu instid0(VALU_DEP_3) | instskip(SKIP_2) | instid1(VALU_DEP_2)
	v_cndmask_b32_e64 v33, 0, v34, s1
	v_cmp_gt_i32_e64 s1, s33, v17
	v_or_b32_e32 v34, 2, v17
	v_cndmask_b32_e64 v32, 0, v32, s1
	v_cmp_gt_i32_e64 s1, s13, v35
	s_delay_alu instid0(VALU_DEP_2) | instskip(NEXT) | instid1(VALU_DEP_2)
	v_perm_b32 v32, v33, v32, 0x5040100
	v_cndmask_b32_e64 v35, 0, v36, s1
	v_or_b32_e32 v36, 5, v17
	v_cmp_gt_i32_e64 s1, s33, v34
	v_or_b32_e32 v34, 4, v17
	s_delay_alu instid0(VALU_DEP_2) | instskip(NEXT) | instid1(VALU_DEP_4)
	v_cndmask_b32_e64 v15, 0, v15, s1
	v_cmp_gt_i32_e64 s1, s13, v36
	s_delay_alu instid0(VALU_DEP_2) | instskip(NEXT) | instid1(VALU_DEP_2)
	v_perm_b32 v15, v35, v15, 0x5040100
	v_cndmask_b32_e64 v36, 0, v37, s1
	v_or_b32_e32 v37, 7, v17
	v_cmp_gt_i32_e64 s1, s33, v34
	s_delay_alu instid0(VALU_DEP_1) | instskip(NEXT) | instid1(VALU_DEP_3)
	v_cndmask_b32_e64 v6, 0, v6, s1
	v_cmp_gt_i32_e64 s1, s13, v37
	s_delay_alu instid0(VALU_DEP_2) | instskip(NEXT) | instid1(VALU_DEP_2)
	v_perm_b32 v6, v36, v6, 0x5040100
	v_cndmask_b32_e64 v14, 0, v14, s1
	v_cmp_gt_i32_e64 s1, s33, v38
	s_delay_alu instid0(VALU_DEP_1) | instskip(NEXT) | instid1(VALU_DEP_1)
	v_cndmask_b32_e64 v31, 0, v31, s1
	v_perm_b32 v14, v14, v31, 0x5040100
.LBB294_344:                            ;   in Loop: Header=BB294_281 Depth=1
	s_or_b32 exec_lo, exec_lo, s15
	v_and_b32_e32 v25, 0xffff, v25
	v_and_b32_e32 v31, 0xffff, v26
	;; [unrolled: 1-line block ×4, first 2 shown]
	s_mov_b32 s15, exec_lo
	v_lshl_or_b32 v26, v23, 16, v25
	v_lshl_or_b32 v25, v24, 16, v31
	v_mov_b32_e32 v31, 0
	v_lshl_or_b32 v24, v27, 16, v29
	;;#ASMSTART
	v_pk_mul_f16 v27, v26, v32;

	;;#ASMEND
	;;#ASMSTART
	v_pk_mul_f16 v15, v25, v15;

	;;#ASMEND
	;; [unrolled: 4-line block ×3, first 2 shown]
	v_lshl_or_b32 v23, v28, 16, v30
	;;#ASMSTART
	v_pk_mul_f16 v14, v23, v14;

	;;#ASMEND
	;;#ASMSTART
	v_pk_add_f16 v15, v27, v15;

	;;#ASMEND
	;;#ASMSTART
	v_pk_add_f16 v6, v15, v6;
	;; [unrolled: 4-line block ×3, first 2 shown]

	;;#ASMEND
	v_and_b32_e32 v14, 0xffff, v6
	v_lshrrev_b32_e32 v6, 16, v6
	;;#ASMSTART
	v_cvt_f32_f16 v27, v14;
	;;#ASMEND
	;;#ASMSTART
	v_cvt_f32_f16 v28, v6;
	;;#ASMEND
	global_load_b64 v[14:15], v[12:13], off offset:256
	global_load_b32 v29, v7, s[6:7]
	v_mov_b32_e32 v30, 0
	s_waitcnt vmcnt(1)
	v_and_b32_e32 v6, 0xff, v14
	s_delay_alu instid0(VALU_DEP_1)
	v_cmpx_ne_u16_e32 0, v6
	s_cbranch_execz .LBB294_350
; %bb.345:                              ;   in Loop: Header=BB294_281 Depth=1
	v_bfrev_b32_e32 v30, 1
	s_mov_b32 s20, exec_lo
	v_cmpx_ne_u16_e32 0x80, v6
	s_cbranch_execz .LBB294_349
; %bb.346:                              ;   in Loop: Header=BB294_281 Depth=1
	v_and_b32_e32 v6, 0x7f, v14
	v_mov_b32_e32 v30, 0x7fc02000
	s_mov_b32 s21, exec_lo
	s_delay_alu instid0(VALU_DEP_2)
	v_cmpx_ne_u32_e32 0x7f, v6
	s_cbranch_execz .LBB294_348
; %bb.347:                              ;   in Loop: Header=BB294_281 Depth=1
	v_and_b32_e32 v30, 7, v14
	v_cmp_gt_u32_e64 s1, 8, v6
	v_lshrrev_b32_e32 v32, 3, v6
	s_delay_alu instid0(VALU_DEP_3) | instskip(NEXT) | instid1(VALU_DEP_1)
	v_clz_i32_u32_e32 v30, v30
	v_min_u32_e32 v30, 32, v30
	s_delay_alu instid0(VALU_DEP_1) | instskip(SKIP_1) | instid1(VALU_DEP_2)
	v_subrev_nc_u32_e32 v33, 28, v30
	v_sub_nc_u32_e32 v30, 29, v30
	v_cndmask_b32_e64 v6, 0, v33, s1
	s_delay_alu instid0(VALU_DEP_2) | instskip(NEXT) | instid1(VALU_DEP_2)
	v_cndmask_b32_e64 v30, v32, v30, s1
	v_lshlrev_b64 v[32:33], v6, v[14:15]
	v_lshlrev_b32_e32 v6, 8, v14
	s_delay_alu instid0(VALU_DEP_3) | instskip(NEXT) | instid1(VALU_DEP_3)
	v_lshl_add_u32 v30, v30, 10, 0x2000
	v_lshlrev_b32_e32 v32, 7, v32
	s_delay_alu instid0(VALU_DEP_2) | instskip(NEXT) | instid1(VALU_DEP_1)
	v_and_or_b32 v6, 0x8000, v6, v30
	v_and_or_b32 v6, 0x380, v32, v6
	s_delay_alu instid0(VALU_DEP_1)
	v_cvt_f32_f16_e32 v30, v6
.LBB294_348:                            ;   in Loop: Header=BB294_281 Depth=1
	s_or_b32 exec_lo, exec_lo, s21
.LBB294_349:                            ;   in Loop: Header=BB294_281 Depth=1
	s_delay_alu instid0(SALU_CYCLE_1)
	s_or_b32 exec_lo, exec_lo, s20
.LBB294_350:                            ;   in Loop: Header=BB294_281 Depth=1
	s_delay_alu instid0(SALU_CYCLE_1) | instskip(SKIP_2) | instid1(VALU_DEP_1)
	s_or_b32 exec_lo, exec_lo, s15
	v_lshrrev_b16 v6, 8, v14
	s_mov_b32 s15, exec_lo
	v_cmpx_ne_u16_e32 0, v6
	s_cbranch_execz .LBB294_358
; %bb.351:                              ;   in Loop: Header=BB294_281 Depth=1
	v_bfrev_b32_e32 v31, 1
	s_mov_b32 s20, exec_lo
	v_cmpx_ne_u16_e32 0x80, v6
	s_cbranch_execz .LBB294_357
; %bb.352:                              ;   in Loop: Header=BB294_281 Depth=1
	v_and_b32_e32 v32, 0xffff, v6
	v_mov_b32_e32 v31, 0x7fc02000
	s_mov_b32 s21, exec_lo
	s_delay_alu instid0(VALU_DEP_2) | instskip(NEXT) | instid1(VALU_DEP_1)
	v_and_b32_e32 v33, 0x7f, v32
	v_cmpx_ne_u32_e32 0x7f, v33
	s_cbranch_execz .LBB294_356
; %bb.353:                              ;   in Loop: Header=BB294_281 Depth=1
	v_and_b32_e32 v6, 7, v32
	v_lshrrev_b32_e32 v31, 3, v33
	s_mov_b32 s22, exec_lo
	v_cmpx_gt_u32_e32 8, v33
; %bb.354:                              ;   in Loop: Header=BB294_281 Depth=1
	s_delay_alu instid0(VALU_DEP_3) | instskip(NEXT) | instid1(VALU_DEP_1)
	v_clz_i32_u32_e32 v31, v6
	v_min_u32_e32 v31, 32, v31
	s_delay_alu instid0(VALU_DEP_1) | instskip(SKIP_1) | instid1(VALU_DEP_2)
	v_subrev_nc_u32_e32 v33, 28, v31
	v_sub_nc_u32_e32 v31, 29, v31
	v_lshlrev_b64 v[33:34], v33, v[6:7]
	s_delay_alu instid0(VALU_DEP_1)
	v_and_b32_e32 v6, 7, v33
; %bb.355:                              ;   in Loop: Header=BB294_281 Depth=1
	s_or_b32 exec_lo, exec_lo, s22
	v_lshlrev_b32_e32 v32, 8, v32
	v_lshl_add_u32 v31, v31, 10, 0x2000
	s_delay_alu instid0(VALU_DEP_1) | instskip(NEXT) | instid1(VALU_DEP_1)
	v_and_or_b32 v31, 0x8000, v32, v31
	v_lshl_or_b32 v6, v6, 7, v31
	s_delay_alu instid0(VALU_DEP_1)
	v_cvt_f32_f16_e32 v31, v6
.LBB294_356:                            ;   in Loop: Header=BB294_281 Depth=1
	s_or_b32 exec_lo, exec_lo, s21
.LBB294_357:                            ;   in Loop: Header=BB294_281 Depth=1
	s_delay_alu instid0(SALU_CYCLE_1)
	s_or_b32 exec_lo, exec_lo, s20
.LBB294_358:                            ;   in Loop: Header=BB294_281 Depth=1
	s_delay_alu instid0(SALU_CYCLE_1) | instskip(SKIP_3) | instid1(VALU_DEP_2)
	s_or_b32 exec_lo, exec_lo, s15
	v_lshrrev_b32_e32 v34, 16, v14
	v_mov_b32_e32 v32, 0
	s_mov_b32 s15, exec_lo
	v_dual_mov_b32 v33, 0 :: v_dual_and_b32 v6, 0xff, v34
	s_delay_alu instid0(VALU_DEP_1)
	v_cmpx_ne_u16_e32 0, v6
	s_cbranch_execz .LBB294_366
; %bb.359:                              ;   in Loop: Header=BB294_281 Depth=1
	v_bfrev_b32_e32 v32, 1
	s_mov_b32 s20, exec_lo
	v_cmpx_ne_u16_e32 0x80, v6
	s_cbranch_execz .LBB294_365
; %bb.360:                              ;   in Loop: Header=BB294_281 Depth=1
	v_bfe_u32 v35, v14, 16, 7
	v_mov_b32_e32 v32, 0x7fc02000
	s_mov_b32 s21, exec_lo
	s_delay_alu instid0(VALU_DEP_2)
	v_cmpx_ne_u32_e32 0x7f, v35
	s_cbranch_execz .LBB294_364
; %bb.361:                              ;   in Loop: Header=BB294_281 Depth=1
	v_and_b32_e32 v6, 7, v34
	v_lshrrev_b32_e32 v32, 3, v35
	s_mov_b32 s22, exec_lo
	v_cmpx_gt_u32_e32 8, v35
; %bb.362:                              ;   in Loop: Header=BB294_281 Depth=1
	s_delay_alu instid0(VALU_DEP_3) | instskip(NEXT) | instid1(VALU_DEP_1)
	v_clz_i32_u32_e32 v32, v6
	v_min_u32_e32 v32, 32, v32
	s_delay_alu instid0(VALU_DEP_1) | instskip(SKIP_1) | instid1(VALU_DEP_2)
	v_subrev_nc_u32_e32 v35, 28, v32
	v_sub_nc_u32_e32 v32, 29, v32
	v_lshlrev_b64 v[35:36], v35, v[6:7]
	s_delay_alu instid0(VALU_DEP_1)
	v_and_b32_e32 v6, 7, v35
; %bb.363:                              ;   in Loop: Header=BB294_281 Depth=1
	s_or_b32 exec_lo, exec_lo, s22
	v_lshlrev_b32_e32 v34, 8, v34
	v_lshl_add_u32 v32, v32, 10, 0x2000
	s_delay_alu instid0(VALU_DEP_1) | instskip(NEXT) | instid1(VALU_DEP_1)
	v_and_or_b32 v32, 0x8000, v34, v32
	v_lshl_or_b32 v6, v6, 7, v32
	s_delay_alu instid0(VALU_DEP_1)
	v_cvt_f32_f16_e32 v32, v6
.LBB294_364:                            ;   in Loop: Header=BB294_281 Depth=1
	s_or_b32 exec_lo, exec_lo, s21
.LBB294_365:                            ;   in Loop: Header=BB294_281 Depth=1
	s_delay_alu instid0(SALU_CYCLE_1)
	s_or_b32 exec_lo, exec_lo, s20
.LBB294_366:                            ;   in Loop: Header=BB294_281 Depth=1
	s_delay_alu instid0(SALU_CYCLE_1) | instskip(NEXT) | instid1(SALU_CYCLE_1)
	s_or_b32 exec_lo, exec_lo, s15
	s_mov_b32 s15, exec_lo
	v_cmpx_lt_u32_e32 0xffffff, v14
	s_cbranch_execz .LBB294_374
; %bb.367:                              ;   in Loop: Header=BB294_281 Depth=1
	v_lshrrev_b32_e32 v34, 24, v14
	v_bfrev_b32_e32 v33, 1
	s_mov_b32 s20, exec_lo
	s_delay_alu instid0(VALU_DEP_2)
	v_cmpx_ne_u32_e32 0x80, v34
	s_cbranch_execz .LBB294_373
; %bb.368:                              ;   in Loop: Header=BB294_281 Depth=1
	v_and_b32_e32 v35, 0x7f, v34
	v_mov_b32_e32 v33, 0x7fc02000
	s_mov_b32 s21, exec_lo
	s_delay_alu instid0(VALU_DEP_2)
	v_cmpx_ne_u32_e32 0x7f, v35
	s_cbranch_execz .LBB294_372
; %bb.369:                              ;   in Loop: Header=BB294_281 Depth=1
	v_and_b32_e32 v6, 7, v34
	v_lshrrev_b32_e32 v33, 3, v35
	s_mov_b32 s22, exec_lo
	v_cmpx_gt_u32_e32 8, v35
; %bb.370:                              ;   in Loop: Header=BB294_281 Depth=1
	s_delay_alu instid0(VALU_DEP_3) | instskip(NEXT) | instid1(VALU_DEP_1)
	v_clz_i32_u32_e32 v33, v6
	v_min_u32_e32 v33, 32, v33
	s_delay_alu instid0(VALU_DEP_1) | instskip(SKIP_1) | instid1(VALU_DEP_2)
	v_subrev_nc_u32_e32 v35, 28, v33
	v_sub_nc_u32_e32 v33, 29, v33
	v_lshlrev_b64 v[35:36], v35, v[6:7]
	s_delay_alu instid0(VALU_DEP_1)
	v_and_b32_e32 v6, 7, v35
; %bb.371:                              ;   in Loop: Header=BB294_281 Depth=1
	s_or_b32 exec_lo, exec_lo, s22
	v_lshlrev_b32_e32 v34, 8, v34
	v_lshl_add_u32 v33, v33, 10, 0x2000
	s_delay_alu instid0(VALU_DEP_1) | instskip(NEXT) | instid1(VALU_DEP_1)
	v_and_or_b32 v33, 0x8000, v34, v33
	v_lshl_or_b32 v6, v6, 7, v33
	s_delay_alu instid0(VALU_DEP_1)
	v_cvt_f32_f16_e32 v33, v6
.LBB294_372:                            ;   in Loop: Header=BB294_281 Depth=1
	s_or_b32 exec_lo, exec_lo, s21
.LBB294_373:                            ;   in Loop: Header=BB294_281 Depth=1
	s_delay_alu instid0(SALU_CYCLE_1)
	s_or_b32 exec_lo, exec_lo, s20
.LBB294_374:                            ;   in Loop: Header=BB294_281 Depth=1
	s_delay_alu instid0(SALU_CYCLE_1) | instskip(SKIP_4) | instid1(VALU_DEP_3)
	s_or_b32 exec_lo, exec_lo, s15
	v_dual_mov_b32 v35, 0 :: v_dual_and_b32 v36, 0xff, v15
	v_mov_b32_e32 v6, v15
	v_mov_b32_e32 v34, 0
	s_mov_b32 s15, exec_lo
	v_cmpx_ne_u16_e32 0, v36
	s_cbranch_execz .LBB294_380
; %bb.375:                              ;   in Loop: Header=BB294_281 Depth=1
	v_bfrev_b32_e32 v34, 1
	s_mov_b32 s20, exec_lo
	v_cmpx_ne_u16_e32 0x80, v36
	s_cbranch_execz .LBB294_379
; %bb.376:                              ;   in Loop: Header=BB294_281 Depth=1
	v_and_b32_e32 v36, 0x7f, v15
	v_mov_b32_e32 v34, 0x7fc02000
	s_mov_b32 s21, exec_lo
	s_delay_alu instid0(VALU_DEP_2)
	v_cmpx_ne_u32_e32 0x7f, v36
	s_cbranch_execz .LBB294_378
; %bb.377:                              ;   in Loop: Header=BB294_281 Depth=1
	v_and_b32_e32 v34, 7, v15
	v_cmp_gt_u32_e64 s1, 8, v36
	v_lshrrev_b32_e32 v37, 3, v36
	s_delay_alu instid0(VALU_DEP_3) | instskip(NEXT) | instid1(VALU_DEP_1)
	v_clz_i32_u32_e32 v34, v34
	v_min_u32_e32 v34, 32, v34
	s_delay_alu instid0(VALU_DEP_1) | instskip(SKIP_1) | instid1(VALU_DEP_2)
	v_subrev_nc_u32_e32 v38, 28, v34
	v_sub_nc_u32_e32 v34, 29, v34
	v_cndmask_b32_e64 v36, 0, v38, s1
	s_delay_alu instid0(VALU_DEP_2) | instskip(NEXT) | instid1(VALU_DEP_2)
	v_cndmask_b32_e64 v34, v37, v34, s1
	v_lshlrev_b64 v[36:37], v36, v[6:7]
	v_lshlrev_b32_e32 v37, 8, v15
	s_delay_alu instid0(VALU_DEP_3) | instskip(NEXT) | instid1(VALU_DEP_3)
	v_lshl_add_u32 v34, v34, 10, 0x2000
	v_lshlrev_b32_e32 v36, 7, v36
	s_delay_alu instid0(VALU_DEP_2) | instskip(NEXT) | instid1(VALU_DEP_1)
	v_and_or_b32 v34, 0x8000, v37, v34
	v_and_or_b32 v34, 0x380, v36, v34
	s_delay_alu instid0(VALU_DEP_1)
	v_cvt_f32_f16_e32 v34, v34
.LBB294_378:                            ;   in Loop: Header=BB294_281 Depth=1
	s_or_b32 exec_lo, exec_lo, s21
.LBB294_379:                            ;   in Loop: Header=BB294_281 Depth=1
	s_delay_alu instid0(SALU_CYCLE_1)
	s_or_b32 exec_lo, exec_lo, s20
.LBB294_380:                            ;   in Loop: Header=BB294_281 Depth=1
	s_delay_alu instid0(SALU_CYCLE_1) | instskip(SKIP_2) | instid1(VALU_DEP_1)
	s_or_b32 exec_lo, exec_lo, s15
	v_lshrrev_b16 v6, 8, v6
	s_mov_b32 s15, exec_lo
	v_cmpx_ne_u16_e32 0, v6
	s_cbranch_execz .LBB294_388
; %bb.381:                              ;   in Loop: Header=BB294_281 Depth=1
	v_bfrev_b32_e32 v35, 1
	s_mov_b32 s20, exec_lo
	v_cmpx_ne_u16_e32 0x80, v6
	s_cbranch_execz .LBB294_387
; %bb.382:                              ;   in Loop: Header=BB294_281 Depth=1
	v_and_b32_e32 v36, 0xffff, v6
	v_mov_b32_e32 v35, 0x7fc02000
	s_mov_b32 s21, exec_lo
	s_delay_alu instid0(VALU_DEP_2) | instskip(NEXT) | instid1(VALU_DEP_1)
	v_and_b32_e32 v37, 0x7f, v36
	v_cmpx_ne_u32_e32 0x7f, v37
	s_cbranch_execz .LBB294_386
; %bb.383:                              ;   in Loop: Header=BB294_281 Depth=1
	v_and_b32_e32 v6, 7, v36
	v_lshrrev_b32_e32 v35, 3, v37
	s_mov_b32 s22, exec_lo
	v_cmpx_gt_u32_e32 8, v37
; %bb.384:                              ;   in Loop: Header=BB294_281 Depth=1
	s_delay_alu instid0(VALU_DEP_3) | instskip(NEXT) | instid1(VALU_DEP_1)
	v_clz_i32_u32_e32 v35, v6
	v_min_u32_e32 v35, 32, v35
	s_delay_alu instid0(VALU_DEP_1) | instskip(SKIP_1) | instid1(VALU_DEP_2)
	v_subrev_nc_u32_e32 v37, 28, v35
	v_sub_nc_u32_e32 v35, 29, v35
	v_lshlrev_b64 v[37:38], v37, v[6:7]
	s_delay_alu instid0(VALU_DEP_1)
	v_and_b32_e32 v6, 7, v37
; %bb.385:                              ;   in Loop: Header=BB294_281 Depth=1
	s_or_b32 exec_lo, exec_lo, s22
	v_lshlrev_b32_e32 v36, 8, v36
	v_lshl_add_u32 v35, v35, 10, 0x2000
	s_delay_alu instid0(VALU_DEP_1) | instskip(NEXT) | instid1(VALU_DEP_1)
	v_and_or_b32 v35, 0x8000, v36, v35
	v_lshl_or_b32 v6, v6, 7, v35
	s_delay_alu instid0(VALU_DEP_1)
	v_cvt_f32_f16_e32 v35, v6
.LBB294_386:                            ;   in Loop: Header=BB294_281 Depth=1
	s_or_b32 exec_lo, exec_lo, s21
.LBB294_387:                            ;   in Loop: Header=BB294_281 Depth=1
	s_delay_alu instid0(SALU_CYCLE_1)
	s_or_b32 exec_lo, exec_lo, s20
.LBB294_388:                            ;   in Loop: Header=BB294_281 Depth=1
	s_delay_alu instid0(SALU_CYCLE_1) | instskip(SKIP_3) | instid1(VALU_DEP_2)
	s_or_b32 exec_lo, exec_lo, s15
	v_lshrrev_b32_e32 v38, 16, v15
	v_mov_b32_e32 v36, 0
	s_mov_b32 s15, exec_lo
	v_dual_mov_b32 v37, 0 :: v_dual_and_b32 v6, 0xff, v38
	s_delay_alu instid0(VALU_DEP_1)
	v_cmpx_ne_u16_e32 0, v6
	s_cbranch_execz .LBB294_396
; %bb.389:                              ;   in Loop: Header=BB294_281 Depth=1
	v_bfrev_b32_e32 v36, 1
	s_mov_b32 s20, exec_lo
	v_cmpx_ne_u16_e32 0x80, v6
	s_cbranch_execz .LBB294_395
; %bb.390:                              ;   in Loop: Header=BB294_281 Depth=1
	v_bfe_u32 v39, v15, 16, 7
	v_mov_b32_e32 v36, 0x7fc02000
	s_mov_b32 s21, exec_lo
	s_delay_alu instid0(VALU_DEP_2)
	v_cmpx_ne_u32_e32 0x7f, v39
	s_cbranch_execz .LBB294_394
; %bb.391:                              ;   in Loop: Header=BB294_281 Depth=1
	v_and_b32_e32 v6, 7, v38
	v_lshrrev_b32_e32 v36, 3, v39
	s_mov_b32 s22, exec_lo
	v_cmpx_gt_u32_e32 8, v39
; %bb.392:                              ;   in Loop: Header=BB294_281 Depth=1
	s_delay_alu instid0(VALU_DEP_3) | instskip(NEXT) | instid1(VALU_DEP_1)
	v_clz_i32_u32_e32 v36, v6
	v_min_u32_e32 v36, 32, v36
	s_delay_alu instid0(VALU_DEP_1) | instskip(SKIP_1) | instid1(VALU_DEP_2)
	v_subrev_nc_u32_e32 v39, 28, v36
	v_sub_nc_u32_e32 v36, 29, v36
	v_lshlrev_b64 v[39:40], v39, v[6:7]
	s_delay_alu instid0(VALU_DEP_1)
	v_and_b32_e32 v6, 7, v39
; %bb.393:                              ;   in Loop: Header=BB294_281 Depth=1
	s_or_b32 exec_lo, exec_lo, s22
	v_lshlrev_b32_e32 v38, 8, v38
	v_lshl_add_u32 v36, v36, 10, 0x2000
	s_delay_alu instid0(VALU_DEP_1) | instskip(NEXT) | instid1(VALU_DEP_1)
	v_and_or_b32 v36, 0x8000, v38, v36
	v_lshl_or_b32 v6, v6, 7, v36
	s_delay_alu instid0(VALU_DEP_1)
	v_cvt_f32_f16_e32 v36, v6
.LBB294_394:                            ;   in Loop: Header=BB294_281 Depth=1
	s_or_b32 exec_lo, exec_lo, s21
.LBB294_395:                            ;   in Loop: Header=BB294_281 Depth=1
	s_delay_alu instid0(SALU_CYCLE_1)
	s_or_b32 exec_lo, exec_lo, s20
.LBB294_396:                            ;   in Loop: Header=BB294_281 Depth=1
	s_delay_alu instid0(SALU_CYCLE_1) | instskip(NEXT) | instid1(SALU_CYCLE_1)
	s_or_b32 exec_lo, exec_lo, s15
	s_mov_b32 s15, exec_lo
	v_cmpx_lt_u64_e64 s[10:11], v[14:15]
	s_cbranch_execz .LBB294_404
; %bb.397:                              ;   in Loop: Header=BB294_281 Depth=1
	v_lshrrev_b32_e32 v14, 24, v15
	v_bfrev_b32_e32 v37, 1
	s_mov_b32 s20, exec_lo
	s_delay_alu instid0(VALU_DEP_2)
	v_cmpx_ne_u32_e32 0x80, v14
	s_cbranch_execz .LBB294_403
; %bb.398:                              ;   in Loop: Header=BB294_281 Depth=1
	v_and_b32_e32 v38, 0x7f, v14
	v_mov_b32_e32 v37, 0x7fc02000
	s_mov_b32 s21, exec_lo
	s_delay_alu instid0(VALU_DEP_2)
	v_cmpx_ne_u32_e32 0x7f, v38
	s_cbranch_execz .LBB294_402
; %bb.399:                              ;   in Loop: Header=BB294_281 Depth=1
	v_and_b32_e32 v6, 7, v14
	v_lshrrev_b32_e32 v15, 3, v38
	s_mov_b32 s22, exec_lo
	v_cmpx_gt_u32_e32 8, v38
; %bb.400:                              ;   in Loop: Header=BB294_281 Depth=1
	s_delay_alu instid0(VALU_DEP_3) | instskip(NEXT) | instid1(VALU_DEP_1)
	v_clz_i32_u32_e32 v15, v6
	v_min_u32_e32 v15, 32, v15
	s_delay_alu instid0(VALU_DEP_1) | instskip(SKIP_1) | instid1(VALU_DEP_2)
	v_subrev_nc_u32_e32 v37, 28, v15
	v_sub_nc_u32_e32 v15, 29, v15
	v_lshlrev_b64 v[37:38], v37, v[6:7]
	s_delay_alu instid0(VALU_DEP_1)
	v_and_b32_e32 v6, 7, v37
; %bb.401:                              ;   in Loop: Header=BB294_281 Depth=1
	s_or_b32 exec_lo, exec_lo, s22
	v_lshlrev_b32_e32 v14, 8, v14
	v_lshl_add_u32 v15, v15, 10, 0x2000
	s_delay_alu instid0(VALU_DEP_1) | instskip(NEXT) | instid1(VALU_DEP_1)
	v_and_or_b32 v14, 0x8000, v14, v15
	v_lshl_or_b32 v6, v6, 7, v14
	s_delay_alu instid0(VALU_DEP_1)
	v_cvt_f32_f16_e32 v37, v6
.LBB294_402:                            ;   in Loop: Header=BB294_281 Depth=1
	s_or_b32 exec_lo, exec_lo, s21
.LBB294_403:                            ;   in Loop: Header=BB294_281 Depth=1
	s_delay_alu instid0(SALU_CYCLE_1)
	s_or_b32 exec_lo, exec_lo, s20
.LBB294_404:                            ;   in Loop: Header=BB294_281 Depth=1
	s_delay_alu instid0(SALU_CYCLE_1)
	s_or_b32 exec_lo, exec_lo, s15
	s_waitcnt vmcnt(0)
	v_fma_mixlo_f16 v15, v29, v31, 0
	v_fma_mixlo_f16 v6, v29, v33, 0
	;; [unrolled: 1-line block ×5, first 2 shown]
	v_lshlrev_b32_e32 v31, 16, v15
	v_fma_mixlo_f16 v33, v29, v34, 0
	v_fma_mixlo_f16 v34, v29, v37, 0
	;; [unrolled: 1-line block ×3, first 2 shown]
	v_lshlrev_b32_e32 v6, 16, v6
	v_and_b32_e32 v14, 0xffff, v14
	v_and_b32_e32 v30, 0xffff, v30
	v_lshlrev_b32_e32 v32, 16, v32
	v_and_b32_e32 v33, 0xffff, v33
	v_lshlrev_b32_e32 v34, 16, v34
	v_and_b32_e32 v35, 0xffff, v15
	v_or_b32_e32 v29, v6, v14
	v_or_b32_e32 v30, v31, v30
	;; [unrolled: 1-line block ×3, first 2 shown]
	s_delay_alu instid0(VALU_DEP_4)
	v_or_b32_e32 v14, v34, v35
	s_and_saveexec_b32 s15, s0
	s_cbranch_execz .LBB294_406
; %bb.405:                              ;   in Loop: Header=BB294_281 Depth=1
	v_add_nc_u32_e32 v31, 1, v17
	v_lshrrev_b32_e32 v32, 16, v30
	v_or_b32_e32 v33, 3, v17
	v_lshrrev_b32_e32 v34, 16, v29
	v_lshrrev_b32_e32 v35, 16, v6
	v_cmp_gt_i32_e64 s1, s13, v31
	v_lshrrev_b32_e32 v14, 16, v14
	v_or_b32_e32 v36, 6, v17
	s_delay_alu instid0(VALU_DEP_3) | instskip(SKIP_2) | instid1(VALU_DEP_2)
	v_cndmask_b32_e64 v31, 0, v32, s1
	v_cmp_gt_i32_e64 s1, s33, v17
	v_or_b32_e32 v32, 2, v17
	v_cndmask_b32_e64 v30, 0, v30, s1
	v_cmp_gt_i32_e64 s1, s13, v33
	s_delay_alu instid0(VALU_DEP_2) | instskip(NEXT) | instid1(VALU_DEP_2)
	v_perm_b32 v30, v31, v30, 0x5040100
	v_cndmask_b32_e64 v33, 0, v34, s1
	v_or_b32_e32 v34, 5, v17
	v_cmp_gt_i32_e64 s1, s33, v32
	v_or_b32_e32 v32, 4, v17
	s_delay_alu instid0(VALU_DEP_2) | instskip(NEXT) | instid1(VALU_DEP_4)
	v_cndmask_b32_e64 v29, 0, v29, s1
	v_cmp_gt_i32_e64 s1, s13, v34
	s_delay_alu instid0(VALU_DEP_2) | instskip(NEXT) | instid1(VALU_DEP_2)
	v_perm_b32 v29, v33, v29, 0x5040100
	v_cndmask_b32_e64 v34, 0, v35, s1
	v_or_b32_e32 v35, 7, v17
	v_cmp_gt_i32_e64 s1, s33, v32
	s_delay_alu instid0(VALU_DEP_1) | instskip(NEXT) | instid1(VALU_DEP_3)
	v_cndmask_b32_e64 v6, 0, v6, s1
	v_cmp_gt_i32_e64 s1, s13, v35
	s_delay_alu instid0(VALU_DEP_2) | instskip(NEXT) | instid1(VALU_DEP_2)
	v_perm_b32 v6, v34, v6, 0x5040100
	v_cndmask_b32_e64 v14, 0, v14, s1
	v_cmp_gt_i32_e64 s1, s33, v36
	s_delay_alu instid0(VALU_DEP_1) | instskip(NEXT) | instid1(VALU_DEP_1)
	v_cndmask_b32_e64 v15, 0, v15, s1
	v_perm_b32 v14, v14, v15, 0x5040100
.LBB294_406:                            ;   in Loop: Header=BB294_281 Depth=1
	s_or_b32 exec_lo, exec_lo, s15
	;;#ASMSTART
	v_pk_mul_f16 v15, v26, v30;

	;;#ASMEND
	;;#ASMSTART
	v_pk_mul_f16 v29, v25, v29;

	;;#ASMEND
	;; [unrolled: 4-line block ×4, first 2 shown]
	;;#ASMSTART
	v_pk_add_f16 v15, v15, v29;

	;;#ASMEND
	;;#ASMSTART
	v_pk_add_f16 v6, v15, v6;

	;;#ASMEND
	;; [unrolled: 4-line block ×3, first 2 shown]
	v_dual_mov_b32 v31, 0 :: v_dual_and_b32 v14, 0xffff, v6
	v_lshrrev_b32_e32 v6, 16, v6
	;;#ASMSTART
	v_cvt_f32_f16 v14, v14;
	;;#ASMEND
	;;#ASMSTART
	v_cvt_f32_f16 v15, v6;
	;;#ASMEND
	global_load_b64 v[12:13], v[12:13], off offset:512
	global_load_b32 v29, v7, s[6:7]
	v_mov_b32_e32 v30, 0
	s_mov_b32 s15, exec_lo
	s_waitcnt vmcnt(1)
	v_and_b32_e32 v6, 0xff, v12
	s_delay_alu instid0(VALU_DEP_1)
	v_cmpx_ne_u16_e32 0, v6
	s_cbranch_execz .LBB294_412
; %bb.407:                              ;   in Loop: Header=BB294_281 Depth=1
	v_bfrev_b32_e32 v30, 1
	s_mov_b32 s20, exec_lo
	v_cmpx_ne_u16_e32 0x80, v6
	s_cbranch_execz .LBB294_411
; %bb.408:                              ;   in Loop: Header=BB294_281 Depth=1
	v_and_b32_e32 v6, 0x7f, v12
	v_mov_b32_e32 v30, 0x7fc02000
	s_mov_b32 s21, exec_lo
	s_delay_alu instid0(VALU_DEP_2)
	v_cmpx_ne_u32_e32 0x7f, v6
	s_cbranch_execz .LBB294_410
; %bb.409:                              ;   in Loop: Header=BB294_281 Depth=1
	v_and_b32_e32 v30, 7, v12
	v_cmp_gt_u32_e64 s1, 8, v6
	v_lshrrev_b32_e32 v32, 3, v6
	s_delay_alu instid0(VALU_DEP_3) | instskip(NEXT) | instid1(VALU_DEP_1)
	v_clz_i32_u32_e32 v30, v30
	v_min_u32_e32 v30, 32, v30
	s_delay_alu instid0(VALU_DEP_1) | instskip(SKIP_1) | instid1(VALU_DEP_2)
	v_subrev_nc_u32_e32 v33, 28, v30
	v_sub_nc_u32_e32 v30, 29, v30
	v_cndmask_b32_e64 v6, 0, v33, s1
	s_delay_alu instid0(VALU_DEP_2) | instskip(NEXT) | instid1(VALU_DEP_2)
	v_cndmask_b32_e64 v30, v32, v30, s1
	v_lshlrev_b64 v[32:33], v6, v[12:13]
	v_lshlrev_b32_e32 v6, 8, v12
	s_delay_alu instid0(VALU_DEP_3) | instskip(NEXT) | instid1(VALU_DEP_3)
	v_lshl_add_u32 v30, v30, 10, 0x2000
	v_lshlrev_b32_e32 v32, 7, v32
	s_delay_alu instid0(VALU_DEP_2) | instskip(NEXT) | instid1(VALU_DEP_1)
	v_and_or_b32 v6, 0x8000, v6, v30
	v_and_or_b32 v6, 0x380, v32, v6
	s_delay_alu instid0(VALU_DEP_1)
	v_cvt_f32_f16_e32 v30, v6
.LBB294_410:                            ;   in Loop: Header=BB294_281 Depth=1
	s_or_b32 exec_lo, exec_lo, s21
.LBB294_411:                            ;   in Loop: Header=BB294_281 Depth=1
	s_delay_alu instid0(SALU_CYCLE_1)
	s_or_b32 exec_lo, exec_lo, s20
.LBB294_412:                            ;   in Loop: Header=BB294_281 Depth=1
	s_delay_alu instid0(SALU_CYCLE_1) | instskip(SKIP_2) | instid1(VALU_DEP_1)
	s_or_b32 exec_lo, exec_lo, s15
	v_lshrrev_b16 v6, 8, v12
	s_mov_b32 s15, exec_lo
	v_cmpx_ne_u16_e32 0, v6
	s_cbranch_execz .LBB294_420
; %bb.413:                              ;   in Loop: Header=BB294_281 Depth=1
	v_bfrev_b32_e32 v31, 1
	s_mov_b32 s20, exec_lo
	v_cmpx_ne_u16_e32 0x80, v6
	s_cbranch_execz .LBB294_419
; %bb.414:                              ;   in Loop: Header=BB294_281 Depth=1
	v_and_b32_e32 v32, 0xffff, v6
	v_mov_b32_e32 v31, 0x7fc02000
	s_mov_b32 s21, exec_lo
	s_delay_alu instid0(VALU_DEP_2) | instskip(NEXT) | instid1(VALU_DEP_1)
	v_and_b32_e32 v33, 0x7f, v32
	v_cmpx_ne_u32_e32 0x7f, v33
	s_cbranch_execz .LBB294_418
; %bb.415:                              ;   in Loop: Header=BB294_281 Depth=1
	v_and_b32_e32 v6, 7, v32
	v_lshrrev_b32_e32 v31, 3, v33
	s_mov_b32 s22, exec_lo
	v_cmpx_gt_u32_e32 8, v33
; %bb.416:                              ;   in Loop: Header=BB294_281 Depth=1
	s_delay_alu instid0(VALU_DEP_3) | instskip(NEXT) | instid1(VALU_DEP_1)
	v_clz_i32_u32_e32 v31, v6
	v_min_u32_e32 v31, 32, v31
	s_delay_alu instid0(VALU_DEP_1) | instskip(SKIP_1) | instid1(VALU_DEP_2)
	v_subrev_nc_u32_e32 v33, 28, v31
	v_sub_nc_u32_e32 v31, 29, v31
	v_lshlrev_b64 v[33:34], v33, v[6:7]
	s_delay_alu instid0(VALU_DEP_1)
	v_and_b32_e32 v6, 7, v33
; %bb.417:                              ;   in Loop: Header=BB294_281 Depth=1
	s_or_b32 exec_lo, exec_lo, s22
	v_lshlrev_b32_e32 v32, 8, v32
	v_lshl_add_u32 v31, v31, 10, 0x2000
	s_delay_alu instid0(VALU_DEP_1) | instskip(NEXT) | instid1(VALU_DEP_1)
	v_and_or_b32 v31, 0x8000, v32, v31
	v_lshl_or_b32 v6, v6, 7, v31
	s_delay_alu instid0(VALU_DEP_1)
	v_cvt_f32_f16_e32 v31, v6
.LBB294_418:                            ;   in Loop: Header=BB294_281 Depth=1
	s_or_b32 exec_lo, exec_lo, s21
.LBB294_419:                            ;   in Loop: Header=BB294_281 Depth=1
	s_delay_alu instid0(SALU_CYCLE_1)
	s_or_b32 exec_lo, exec_lo, s20
.LBB294_420:                            ;   in Loop: Header=BB294_281 Depth=1
	s_delay_alu instid0(SALU_CYCLE_1) | instskip(SKIP_3) | instid1(VALU_DEP_2)
	s_or_b32 exec_lo, exec_lo, s15
	v_lshrrev_b32_e32 v34, 16, v12
	v_mov_b32_e32 v32, 0
	s_mov_b32 s15, exec_lo
	v_dual_mov_b32 v33, 0 :: v_dual_and_b32 v6, 0xff, v34
	s_delay_alu instid0(VALU_DEP_1)
	v_cmpx_ne_u16_e32 0, v6
	s_cbranch_execz .LBB294_428
; %bb.421:                              ;   in Loop: Header=BB294_281 Depth=1
	v_bfrev_b32_e32 v32, 1
	s_mov_b32 s20, exec_lo
	v_cmpx_ne_u16_e32 0x80, v6
	s_cbranch_execz .LBB294_427
; %bb.422:                              ;   in Loop: Header=BB294_281 Depth=1
	v_bfe_u32 v35, v12, 16, 7
	v_mov_b32_e32 v32, 0x7fc02000
	s_mov_b32 s21, exec_lo
	s_delay_alu instid0(VALU_DEP_2)
	v_cmpx_ne_u32_e32 0x7f, v35
	s_cbranch_execz .LBB294_426
; %bb.423:                              ;   in Loop: Header=BB294_281 Depth=1
	v_and_b32_e32 v6, 7, v34
	v_lshrrev_b32_e32 v32, 3, v35
	s_mov_b32 s22, exec_lo
	v_cmpx_gt_u32_e32 8, v35
; %bb.424:                              ;   in Loop: Header=BB294_281 Depth=1
	s_delay_alu instid0(VALU_DEP_3) | instskip(NEXT) | instid1(VALU_DEP_1)
	v_clz_i32_u32_e32 v32, v6
	v_min_u32_e32 v32, 32, v32
	s_delay_alu instid0(VALU_DEP_1) | instskip(SKIP_1) | instid1(VALU_DEP_2)
	v_subrev_nc_u32_e32 v35, 28, v32
	v_sub_nc_u32_e32 v32, 29, v32
	v_lshlrev_b64 v[35:36], v35, v[6:7]
	s_delay_alu instid0(VALU_DEP_1)
	v_and_b32_e32 v6, 7, v35
; %bb.425:                              ;   in Loop: Header=BB294_281 Depth=1
	s_or_b32 exec_lo, exec_lo, s22
	v_lshlrev_b32_e32 v34, 8, v34
	v_lshl_add_u32 v32, v32, 10, 0x2000
	s_delay_alu instid0(VALU_DEP_1) | instskip(NEXT) | instid1(VALU_DEP_1)
	v_and_or_b32 v32, 0x8000, v34, v32
	v_lshl_or_b32 v6, v6, 7, v32
	s_delay_alu instid0(VALU_DEP_1)
	v_cvt_f32_f16_e32 v32, v6
.LBB294_426:                            ;   in Loop: Header=BB294_281 Depth=1
	s_or_b32 exec_lo, exec_lo, s21
.LBB294_427:                            ;   in Loop: Header=BB294_281 Depth=1
	s_delay_alu instid0(SALU_CYCLE_1)
	s_or_b32 exec_lo, exec_lo, s20
.LBB294_428:                            ;   in Loop: Header=BB294_281 Depth=1
	s_delay_alu instid0(SALU_CYCLE_1) | instskip(NEXT) | instid1(SALU_CYCLE_1)
	s_or_b32 exec_lo, exec_lo, s15
	s_mov_b32 s15, exec_lo
	v_cmpx_lt_u32_e32 0xffffff, v12
	s_cbranch_execz .LBB294_436
; %bb.429:                              ;   in Loop: Header=BB294_281 Depth=1
	v_lshrrev_b32_e32 v34, 24, v12
	v_bfrev_b32_e32 v33, 1
	s_mov_b32 s20, exec_lo
	s_delay_alu instid0(VALU_DEP_2)
	v_cmpx_ne_u32_e32 0x80, v34
	s_cbranch_execz .LBB294_435
; %bb.430:                              ;   in Loop: Header=BB294_281 Depth=1
	v_and_b32_e32 v35, 0x7f, v34
	v_mov_b32_e32 v33, 0x7fc02000
	s_mov_b32 s21, exec_lo
	s_delay_alu instid0(VALU_DEP_2)
	v_cmpx_ne_u32_e32 0x7f, v35
	s_cbranch_execz .LBB294_434
; %bb.431:                              ;   in Loop: Header=BB294_281 Depth=1
	v_and_b32_e32 v6, 7, v34
	v_lshrrev_b32_e32 v33, 3, v35
	s_mov_b32 s22, exec_lo
	v_cmpx_gt_u32_e32 8, v35
; %bb.432:                              ;   in Loop: Header=BB294_281 Depth=1
	s_delay_alu instid0(VALU_DEP_3) | instskip(NEXT) | instid1(VALU_DEP_1)
	v_clz_i32_u32_e32 v33, v6
	v_min_u32_e32 v33, 32, v33
	s_delay_alu instid0(VALU_DEP_1) | instskip(SKIP_1) | instid1(VALU_DEP_2)
	v_subrev_nc_u32_e32 v35, 28, v33
	v_sub_nc_u32_e32 v33, 29, v33
	v_lshlrev_b64 v[35:36], v35, v[6:7]
	s_delay_alu instid0(VALU_DEP_1)
	v_and_b32_e32 v6, 7, v35
; %bb.433:                              ;   in Loop: Header=BB294_281 Depth=1
	s_or_b32 exec_lo, exec_lo, s22
	v_lshlrev_b32_e32 v34, 8, v34
	v_lshl_add_u32 v33, v33, 10, 0x2000
	s_delay_alu instid0(VALU_DEP_1) | instskip(NEXT) | instid1(VALU_DEP_1)
	v_and_or_b32 v33, 0x8000, v34, v33
	v_lshl_or_b32 v6, v6, 7, v33
	s_delay_alu instid0(VALU_DEP_1)
	v_cvt_f32_f16_e32 v33, v6
.LBB294_434:                            ;   in Loop: Header=BB294_281 Depth=1
	s_or_b32 exec_lo, exec_lo, s21
.LBB294_435:                            ;   in Loop: Header=BB294_281 Depth=1
	s_delay_alu instid0(SALU_CYCLE_1)
	s_or_b32 exec_lo, exec_lo, s20
.LBB294_436:                            ;   in Loop: Header=BB294_281 Depth=1
	s_delay_alu instid0(SALU_CYCLE_1) | instskip(SKIP_4) | instid1(VALU_DEP_3)
	s_or_b32 exec_lo, exec_lo, s15
	v_dual_mov_b32 v35, 0 :: v_dual_and_b32 v36, 0xff, v13
	v_mov_b32_e32 v6, v13
	v_mov_b32_e32 v34, 0
	s_mov_b32 s15, exec_lo
	v_cmpx_ne_u16_e32 0, v36
	s_cbranch_execz .LBB294_442
; %bb.437:                              ;   in Loop: Header=BB294_281 Depth=1
	v_bfrev_b32_e32 v34, 1
	s_mov_b32 s20, exec_lo
	v_cmpx_ne_u16_e32 0x80, v36
	s_cbranch_execz .LBB294_441
; %bb.438:                              ;   in Loop: Header=BB294_281 Depth=1
	v_and_b32_e32 v36, 0x7f, v13
	v_mov_b32_e32 v34, 0x7fc02000
	s_mov_b32 s21, exec_lo
	s_delay_alu instid0(VALU_DEP_2)
	v_cmpx_ne_u32_e32 0x7f, v36
	s_cbranch_execz .LBB294_440
; %bb.439:                              ;   in Loop: Header=BB294_281 Depth=1
	v_and_b32_e32 v34, 7, v13
	v_cmp_gt_u32_e64 s1, 8, v36
	v_lshrrev_b32_e32 v37, 3, v36
	s_delay_alu instid0(VALU_DEP_3) | instskip(NEXT) | instid1(VALU_DEP_1)
	v_clz_i32_u32_e32 v34, v34
	v_min_u32_e32 v34, 32, v34
	s_delay_alu instid0(VALU_DEP_1) | instskip(SKIP_1) | instid1(VALU_DEP_2)
	v_subrev_nc_u32_e32 v38, 28, v34
	v_sub_nc_u32_e32 v34, 29, v34
	v_cndmask_b32_e64 v36, 0, v38, s1
	s_delay_alu instid0(VALU_DEP_2) | instskip(NEXT) | instid1(VALU_DEP_2)
	v_cndmask_b32_e64 v34, v37, v34, s1
	v_lshlrev_b64 v[36:37], v36, v[6:7]
	v_lshlrev_b32_e32 v37, 8, v13
	s_delay_alu instid0(VALU_DEP_3) | instskip(NEXT) | instid1(VALU_DEP_3)
	v_lshl_add_u32 v34, v34, 10, 0x2000
	v_lshlrev_b32_e32 v36, 7, v36
	s_delay_alu instid0(VALU_DEP_2) | instskip(NEXT) | instid1(VALU_DEP_1)
	v_and_or_b32 v34, 0x8000, v37, v34
	v_and_or_b32 v34, 0x380, v36, v34
	s_delay_alu instid0(VALU_DEP_1)
	v_cvt_f32_f16_e32 v34, v34
.LBB294_440:                            ;   in Loop: Header=BB294_281 Depth=1
	s_or_b32 exec_lo, exec_lo, s21
.LBB294_441:                            ;   in Loop: Header=BB294_281 Depth=1
	s_delay_alu instid0(SALU_CYCLE_1)
	s_or_b32 exec_lo, exec_lo, s20
.LBB294_442:                            ;   in Loop: Header=BB294_281 Depth=1
	s_delay_alu instid0(SALU_CYCLE_1) | instskip(SKIP_2) | instid1(VALU_DEP_1)
	s_or_b32 exec_lo, exec_lo, s15
	v_lshrrev_b16 v6, 8, v6
	s_mov_b32 s15, exec_lo
	v_cmpx_ne_u16_e32 0, v6
	s_cbranch_execz .LBB294_450
; %bb.443:                              ;   in Loop: Header=BB294_281 Depth=1
	v_bfrev_b32_e32 v35, 1
	s_mov_b32 s20, exec_lo
	v_cmpx_ne_u16_e32 0x80, v6
	s_cbranch_execz .LBB294_449
; %bb.444:                              ;   in Loop: Header=BB294_281 Depth=1
	v_and_b32_e32 v36, 0xffff, v6
	v_mov_b32_e32 v35, 0x7fc02000
	s_mov_b32 s21, exec_lo
	s_delay_alu instid0(VALU_DEP_2) | instskip(NEXT) | instid1(VALU_DEP_1)
	v_and_b32_e32 v37, 0x7f, v36
	v_cmpx_ne_u32_e32 0x7f, v37
	s_cbranch_execz .LBB294_448
; %bb.445:                              ;   in Loop: Header=BB294_281 Depth=1
	v_and_b32_e32 v6, 7, v36
	v_lshrrev_b32_e32 v35, 3, v37
	s_mov_b32 s22, exec_lo
	v_cmpx_gt_u32_e32 8, v37
; %bb.446:                              ;   in Loop: Header=BB294_281 Depth=1
	s_delay_alu instid0(VALU_DEP_3) | instskip(NEXT) | instid1(VALU_DEP_1)
	v_clz_i32_u32_e32 v35, v6
	v_min_u32_e32 v35, 32, v35
	s_delay_alu instid0(VALU_DEP_1) | instskip(SKIP_1) | instid1(VALU_DEP_2)
	v_subrev_nc_u32_e32 v37, 28, v35
	v_sub_nc_u32_e32 v35, 29, v35
	v_lshlrev_b64 v[37:38], v37, v[6:7]
	s_delay_alu instid0(VALU_DEP_1)
	v_and_b32_e32 v6, 7, v37
; %bb.447:                              ;   in Loop: Header=BB294_281 Depth=1
	s_or_b32 exec_lo, exec_lo, s22
	v_lshlrev_b32_e32 v36, 8, v36
	v_lshl_add_u32 v35, v35, 10, 0x2000
	s_delay_alu instid0(VALU_DEP_1) | instskip(NEXT) | instid1(VALU_DEP_1)
	v_and_or_b32 v35, 0x8000, v36, v35
	v_lshl_or_b32 v6, v6, 7, v35
	s_delay_alu instid0(VALU_DEP_1)
	v_cvt_f32_f16_e32 v35, v6
.LBB294_448:                            ;   in Loop: Header=BB294_281 Depth=1
	s_or_b32 exec_lo, exec_lo, s21
.LBB294_449:                            ;   in Loop: Header=BB294_281 Depth=1
	s_delay_alu instid0(SALU_CYCLE_1)
	s_or_b32 exec_lo, exec_lo, s20
.LBB294_450:                            ;   in Loop: Header=BB294_281 Depth=1
	s_delay_alu instid0(SALU_CYCLE_1) | instskip(SKIP_3) | instid1(VALU_DEP_2)
	s_or_b32 exec_lo, exec_lo, s15
	v_lshrrev_b32_e32 v38, 16, v13
	v_mov_b32_e32 v36, 0
	s_mov_b32 s15, exec_lo
	v_dual_mov_b32 v37, 0 :: v_dual_and_b32 v6, 0xff, v38
	s_delay_alu instid0(VALU_DEP_1)
	v_cmpx_ne_u16_e32 0, v6
	s_cbranch_execz .LBB294_458
; %bb.451:                              ;   in Loop: Header=BB294_281 Depth=1
	v_bfrev_b32_e32 v36, 1
	s_mov_b32 s20, exec_lo
	v_cmpx_ne_u16_e32 0x80, v6
	s_cbranch_execz .LBB294_457
; %bb.452:                              ;   in Loop: Header=BB294_281 Depth=1
	v_bfe_u32 v39, v13, 16, 7
	v_mov_b32_e32 v36, 0x7fc02000
	s_mov_b32 s21, exec_lo
	s_delay_alu instid0(VALU_DEP_2)
	v_cmpx_ne_u32_e32 0x7f, v39
	s_cbranch_execz .LBB294_456
; %bb.453:                              ;   in Loop: Header=BB294_281 Depth=1
	v_and_b32_e32 v6, 7, v38
	v_lshrrev_b32_e32 v36, 3, v39
	s_mov_b32 s22, exec_lo
	v_cmpx_gt_u32_e32 8, v39
; %bb.454:                              ;   in Loop: Header=BB294_281 Depth=1
	s_delay_alu instid0(VALU_DEP_3) | instskip(NEXT) | instid1(VALU_DEP_1)
	v_clz_i32_u32_e32 v36, v6
	v_min_u32_e32 v36, 32, v36
	s_delay_alu instid0(VALU_DEP_1) | instskip(SKIP_1) | instid1(VALU_DEP_2)
	v_subrev_nc_u32_e32 v39, 28, v36
	v_sub_nc_u32_e32 v36, 29, v36
	v_lshlrev_b64 v[39:40], v39, v[6:7]
	s_delay_alu instid0(VALU_DEP_1)
	v_and_b32_e32 v6, 7, v39
; %bb.455:                              ;   in Loop: Header=BB294_281 Depth=1
	s_or_b32 exec_lo, exec_lo, s22
	v_lshlrev_b32_e32 v38, 8, v38
	v_lshl_add_u32 v36, v36, 10, 0x2000
	s_delay_alu instid0(VALU_DEP_1) | instskip(NEXT) | instid1(VALU_DEP_1)
	v_and_or_b32 v36, 0x8000, v38, v36
	v_lshl_or_b32 v6, v6, 7, v36
	s_delay_alu instid0(VALU_DEP_1)
	v_cvt_f32_f16_e32 v36, v6
.LBB294_456:                            ;   in Loop: Header=BB294_281 Depth=1
	s_or_b32 exec_lo, exec_lo, s21
.LBB294_457:                            ;   in Loop: Header=BB294_281 Depth=1
	s_delay_alu instid0(SALU_CYCLE_1)
	s_or_b32 exec_lo, exec_lo, s20
.LBB294_458:                            ;   in Loop: Header=BB294_281 Depth=1
	s_delay_alu instid0(SALU_CYCLE_1) | instskip(NEXT) | instid1(SALU_CYCLE_1)
	s_or_b32 exec_lo, exec_lo, s15
	s_mov_b32 s15, exec_lo
	v_cmpx_lt_u64_e64 s[10:11], v[12:13]
	s_cbranch_execz .LBB294_466
; %bb.459:                              ;   in Loop: Header=BB294_281 Depth=1
	v_lshrrev_b32_e32 v12, 24, v13
	v_bfrev_b32_e32 v37, 1
	s_mov_b32 s20, exec_lo
	s_delay_alu instid0(VALU_DEP_2)
	v_cmpx_ne_u32_e32 0x80, v12
	s_cbranch_execz .LBB294_465
; %bb.460:                              ;   in Loop: Header=BB294_281 Depth=1
	v_and_b32_e32 v38, 0x7f, v12
	v_mov_b32_e32 v37, 0x7fc02000
	s_mov_b32 s21, exec_lo
	s_delay_alu instid0(VALU_DEP_2)
	v_cmpx_ne_u32_e32 0x7f, v38
	s_cbranch_execz .LBB294_464
; %bb.461:                              ;   in Loop: Header=BB294_281 Depth=1
	v_and_b32_e32 v6, 7, v12
	v_lshrrev_b32_e32 v13, 3, v38
	s_mov_b32 s22, exec_lo
	v_cmpx_gt_u32_e32 8, v38
; %bb.462:                              ;   in Loop: Header=BB294_281 Depth=1
	s_delay_alu instid0(VALU_DEP_3) | instskip(NEXT) | instid1(VALU_DEP_1)
	v_clz_i32_u32_e32 v13, v6
	v_min_u32_e32 v13, 32, v13
	s_delay_alu instid0(VALU_DEP_1) | instskip(SKIP_1) | instid1(VALU_DEP_2)
	v_subrev_nc_u32_e32 v37, 28, v13
	v_sub_nc_u32_e32 v13, 29, v13
	v_lshlrev_b64 v[37:38], v37, v[6:7]
	s_delay_alu instid0(VALU_DEP_1)
	v_and_b32_e32 v6, 7, v37
; %bb.463:                              ;   in Loop: Header=BB294_281 Depth=1
	s_or_b32 exec_lo, exec_lo, s22
	v_lshlrev_b32_e32 v12, 8, v12
	v_lshl_add_u32 v13, v13, 10, 0x2000
	s_delay_alu instid0(VALU_DEP_1) | instskip(NEXT) | instid1(VALU_DEP_1)
	v_and_or_b32 v12, 0x8000, v12, v13
	v_lshl_or_b32 v6, v6, 7, v12
	s_delay_alu instid0(VALU_DEP_1)
	v_cvt_f32_f16_e32 v37, v6
.LBB294_464:                            ;   in Loop: Header=BB294_281 Depth=1
	s_or_b32 exec_lo, exec_lo, s21
.LBB294_465:                            ;   in Loop: Header=BB294_281 Depth=1
	s_delay_alu instid0(SALU_CYCLE_1)
	s_or_b32 exec_lo, exec_lo, s20
.LBB294_466:                            ;   in Loop: Header=BB294_281 Depth=1
	s_delay_alu instid0(SALU_CYCLE_1)
	s_or_b32 exec_lo, exec_lo, s15
	s_waitcnt vmcnt(0)
	v_fma_mixlo_f16 v13, v29, v31, 0
	v_fma_mixlo_f16 v6, v29, v33, 0
	v_fma_mixlo_f16 v12, v29, v32, 0
	v_fma_mixlo_f16 v32, v29, v34, 0
	v_fma_mixlo_f16 v33, v29, v37, 0
	v_lshlrev_b32_e32 v31, 16, v13
	v_fma_mixlo_f16 v13, v29, v30, 0
	v_fma_mixlo_f16 v30, v29, v35, 0
	;; [unrolled: 1-line block ×3, first 2 shown]
	v_lshlrev_b32_e32 v6, 16, v6
	v_and_b32_e32 v12, 0xffff, v12
	v_and_b32_e32 v34, 0xffff, v13
	v_lshlrev_b32_e32 v35, 16, v30
	v_and_b32_e32 v32, 0xffff, v32
	v_lshlrev_b32_e32 v33, 16, v33
	v_and_b32_e32 v36, 0xffff, v29
	v_or_b32_e32 v13, v6, v12
	v_or_b32_e32 v30, v31, v34
	v_or_b32_e32 v6, v35, v32
	s_delay_alu instid0(VALU_DEP_4)
	v_or_b32_e32 v12, v33, v36
	s_and_saveexec_b32 s15, s0
	s_cbranch_execz .LBB294_468
; %bb.467:                              ;   in Loop: Header=BB294_281 Depth=1
	v_add_nc_u32_e32 v31, 1, v17
	v_lshrrev_b32_e32 v32, 16, v30
	v_or_b32_e32 v33, 3, v17
	v_lshrrev_b32_e32 v34, 16, v13
	v_lshrrev_b32_e32 v35, 16, v6
	v_cmp_gt_i32_e64 s1, s13, v31
	v_lshrrev_b32_e32 v12, 16, v12
	v_or_b32_e32 v36, 6, v17
	s_delay_alu instid0(VALU_DEP_3) | instskip(SKIP_2) | instid1(VALU_DEP_2)
	v_cndmask_b32_e64 v31, 0, v32, s1
	v_cmp_gt_i32_e64 s1, s33, v17
	v_or_b32_e32 v32, 2, v17
	v_cndmask_b32_e64 v30, 0, v30, s1
	v_cmp_gt_i32_e64 s1, s13, v33
	s_delay_alu instid0(VALU_DEP_2) | instskip(NEXT) | instid1(VALU_DEP_2)
	v_perm_b32 v30, v31, v30, 0x5040100
	v_cndmask_b32_e64 v33, 0, v34, s1
	v_or_b32_e32 v34, 5, v17
	v_cmp_gt_i32_e64 s1, s33, v32
	v_or_b32_e32 v32, 4, v17
	s_delay_alu instid0(VALU_DEP_2) | instskip(NEXT) | instid1(VALU_DEP_4)
	v_cndmask_b32_e64 v13, 0, v13, s1
	v_cmp_gt_i32_e64 s1, s13, v34
	s_delay_alu instid0(VALU_DEP_2) | instskip(NEXT) | instid1(VALU_DEP_2)
	v_perm_b32 v13, v33, v13, 0x5040100
	v_cndmask_b32_e64 v34, 0, v35, s1
	v_or_b32_e32 v35, 7, v17
	v_cmp_gt_i32_e64 s1, s33, v32
	s_delay_alu instid0(VALU_DEP_1) | instskip(NEXT) | instid1(VALU_DEP_3)
	v_cndmask_b32_e64 v6, 0, v6, s1
	v_cmp_gt_i32_e64 s1, s13, v35
	s_delay_alu instid0(VALU_DEP_2) | instskip(NEXT) | instid1(VALU_DEP_2)
	v_perm_b32 v6, v34, v6, 0x5040100
	v_cndmask_b32_e64 v12, 0, v12, s1
	v_cmp_gt_i32_e64 s1, s33, v36
	s_delay_alu instid0(VALU_DEP_1) | instskip(NEXT) | instid1(VALU_DEP_1)
	v_cndmask_b32_e64 v29, 0, v29, s1
	v_perm_b32 v12, v12, v29, 0x5040100
.LBB294_468:                            ;   in Loop: Header=BB294_281 Depth=1
	s_or_b32 exec_lo, exec_lo, s15
	;;#ASMSTART
	v_pk_mul_f16 v29, v26, v30;

	;;#ASMEND
	;;#ASMSTART
	v_pk_mul_f16 v13, v25, v13;

	;;#ASMEND
	;; [unrolled: 4-line block ×4, first 2 shown]
	;;#ASMSTART
	v_pk_add_f16 v13, v29, v13;

	;;#ASMEND
	;;#ASMSTART
	v_pk_add_f16 v6, v13, v6;

	;;#ASMEND
	;; [unrolled: 4-line block ×3, first 2 shown]
	v_dual_add_f32 v13, v27, v28 :: v_dual_and_b32 v12, 0xffff, v6
	v_lshrrev_b32_e32 v6, 16, v6
	;;#ASMSTART
	v_cvt_f32_f16 v12, v12;
	;;#ASMEND
	;;#ASMSTART
	v_cvt_f32_f16 v6, v6;
	;;#ASMEND
	s_delay_alu instid0(VALU_DEP_2) | instskip(NEXT) | instid1(VALU_DEP_2)
	v_dual_add_f32 v14, v14, v15 :: v_dual_add_f32 v1, v1, v13
	v_add_f32_e32 v6, v12, v6
	s_delay_alu instid0(VALU_DEP_2) | instskip(NEXT) | instid1(VALU_DEP_2)
	v_add_f32_e32 v2, v2, v14
	v_add_f32_e32 v3, v3, v6
	s_and_saveexec_b32 s15, vcc_lo
	s_cbranch_execz .LBB294_279
; %bb.469:                              ;   in Loop: Header=BB294_281 Depth=1
	v_add_co_u32 v10, s1, v10, v21
	s_delay_alu instid0(VALU_DEP_1)
	v_add_co_ci_u32_e64 v11, s1, 0, v11, s1
	v_mov_b32_e32 v14, 0
	s_mov_b32 s20, exec_lo
	global_load_b64 v[10:11], v[10:11], off
	global_load_b32 v12, v7, s[6:7]
	s_waitcnt vmcnt(1)
	v_dual_mov_b32 v13, 0 :: v_dual_and_b32 v6, 0xff, v10
	s_delay_alu instid0(VALU_DEP_1)
	v_cmpx_ne_u16_e32 0, v6
	s_cbranch_execz .LBB294_475
; %bb.470:                              ;   in Loop: Header=BB294_281 Depth=1
	v_bfrev_b32_e32 v13, 1
	s_mov_b32 s21, exec_lo
	v_cmpx_ne_u16_e32 0x80, v6
	s_cbranch_execz .LBB294_474
; %bb.471:                              ;   in Loop: Header=BB294_281 Depth=1
	v_and_b32_e32 v6, 0x7f, v10
	v_mov_b32_e32 v13, 0x7fc02000
	s_mov_b32 s22, exec_lo
	s_delay_alu instid0(VALU_DEP_2)
	v_cmpx_ne_u32_e32 0x7f, v6
	s_cbranch_execz .LBB294_473
; %bb.472:                              ;   in Loop: Header=BB294_281 Depth=1
	v_and_b32_e32 v13, 7, v10
	v_cmp_gt_u32_e64 s1, 8, v6
	v_lshrrev_b32_e32 v15, 3, v6
	s_delay_alu instid0(VALU_DEP_3) | instskip(NEXT) | instid1(VALU_DEP_1)
	v_clz_i32_u32_e32 v13, v13
	v_min_u32_e32 v13, 32, v13
	s_delay_alu instid0(VALU_DEP_1) | instskip(SKIP_1) | instid1(VALU_DEP_2)
	v_subrev_nc_u32_e32 v27, 28, v13
	v_sub_nc_u32_e32 v13, 29, v13
	v_cndmask_b32_e64 v6, 0, v27, s1
	s_delay_alu instid0(VALU_DEP_2) | instskip(NEXT) | instid1(VALU_DEP_2)
	v_cndmask_b32_e64 v13, v15, v13, s1
	v_lshlrev_b64 v[27:28], v6, v[10:11]
	v_lshlrev_b32_e32 v6, 8, v10
	s_delay_alu instid0(VALU_DEP_3) | instskip(NEXT) | instid1(VALU_DEP_3)
	v_lshl_add_u32 v13, v13, 10, 0x2000
	v_lshlrev_b32_e32 v15, 7, v27
	s_delay_alu instid0(VALU_DEP_2) | instskip(NEXT) | instid1(VALU_DEP_1)
	v_and_or_b32 v6, 0x8000, v6, v13
	v_and_or_b32 v6, 0x380, v15, v6
	s_delay_alu instid0(VALU_DEP_1)
	v_cvt_f32_f16_e32 v13, v6
.LBB294_473:                            ;   in Loop: Header=BB294_281 Depth=1
	s_or_b32 exec_lo, exec_lo, s22
.LBB294_474:                            ;   in Loop: Header=BB294_281 Depth=1
	s_delay_alu instid0(SALU_CYCLE_1)
	s_or_b32 exec_lo, exec_lo, s21
.LBB294_475:                            ;   in Loop: Header=BB294_281 Depth=1
	s_delay_alu instid0(SALU_CYCLE_1) | instskip(SKIP_2) | instid1(VALU_DEP_1)
	s_or_b32 exec_lo, exec_lo, s20
	v_lshrrev_b16 v6, 8, v10
	s_mov_b32 s20, exec_lo
	v_cmpx_ne_u16_e32 0, v6
	s_cbranch_execz .LBB294_483
; %bb.476:                              ;   in Loop: Header=BB294_281 Depth=1
	v_bfrev_b32_e32 v14, 1
	s_mov_b32 s21, exec_lo
	v_cmpx_ne_u16_e32 0x80, v6
	s_cbranch_execz .LBB294_482
; %bb.477:                              ;   in Loop: Header=BB294_281 Depth=1
	v_and_b32_e32 v15, 0xffff, v6
	v_mov_b32_e32 v14, 0x7fc02000
	s_mov_b32 s22, exec_lo
	s_delay_alu instid0(VALU_DEP_2) | instskip(NEXT) | instid1(VALU_DEP_1)
	v_and_b32_e32 v27, 0x7f, v15
	v_cmpx_ne_u32_e32 0x7f, v27
	s_cbranch_execz .LBB294_481
; %bb.478:                              ;   in Loop: Header=BB294_281 Depth=1
	v_and_b32_e32 v6, 7, v15
	v_lshrrev_b32_e32 v14, 3, v27
	s_mov_b32 s23, exec_lo
	v_cmpx_gt_u32_e32 8, v27
; %bb.479:                              ;   in Loop: Header=BB294_281 Depth=1
	s_delay_alu instid0(VALU_DEP_3) | instskip(NEXT) | instid1(VALU_DEP_1)
	v_clz_i32_u32_e32 v14, v6
	v_min_u32_e32 v14, 32, v14
	s_delay_alu instid0(VALU_DEP_1) | instskip(SKIP_1) | instid1(VALU_DEP_2)
	v_subrev_nc_u32_e32 v27, 28, v14
	v_sub_nc_u32_e32 v14, 29, v14
	v_lshlrev_b64 v[27:28], v27, v[6:7]
	s_delay_alu instid0(VALU_DEP_1)
	v_and_b32_e32 v6, 7, v27
; %bb.480:                              ;   in Loop: Header=BB294_281 Depth=1
	s_or_b32 exec_lo, exec_lo, s23
	v_lshlrev_b32_e32 v15, 8, v15
	v_lshl_add_u32 v14, v14, 10, 0x2000
	s_delay_alu instid0(VALU_DEP_1) | instskip(NEXT) | instid1(VALU_DEP_1)
	v_and_or_b32 v14, 0x8000, v15, v14
	v_lshl_or_b32 v6, v6, 7, v14
	s_delay_alu instid0(VALU_DEP_1)
	v_cvt_f32_f16_e32 v14, v6
.LBB294_481:                            ;   in Loop: Header=BB294_281 Depth=1
	s_or_b32 exec_lo, exec_lo, s22
.LBB294_482:                            ;   in Loop: Header=BB294_281 Depth=1
	s_delay_alu instid0(SALU_CYCLE_1)
	s_or_b32 exec_lo, exec_lo, s21
.LBB294_483:                            ;   in Loop: Header=BB294_281 Depth=1
	s_delay_alu instid0(SALU_CYCLE_1) | instskip(SKIP_3) | instid1(VALU_DEP_2)
	s_or_b32 exec_lo, exec_lo, s20
	v_lshrrev_b32_e32 v28, 16, v10
	v_mov_b32_e32 v15, 0
	s_mov_b32 s20, exec_lo
	v_dual_mov_b32 v27, 0 :: v_dual_and_b32 v6, 0xff, v28
	s_delay_alu instid0(VALU_DEP_1)
	v_cmpx_ne_u16_e32 0, v6
	s_cbranch_execz .LBB294_491
; %bb.484:                              ;   in Loop: Header=BB294_281 Depth=1
	v_bfrev_b32_e32 v15, 1
	s_mov_b32 s21, exec_lo
	v_cmpx_ne_u16_e32 0x80, v6
	s_cbranch_execz .LBB294_490
; %bb.485:                              ;   in Loop: Header=BB294_281 Depth=1
	v_bfe_u32 v29, v10, 16, 7
	v_mov_b32_e32 v15, 0x7fc02000
	s_mov_b32 s22, exec_lo
	s_delay_alu instid0(VALU_DEP_2)
	v_cmpx_ne_u32_e32 0x7f, v29
	s_cbranch_execz .LBB294_489
; %bb.486:                              ;   in Loop: Header=BB294_281 Depth=1
	v_and_b32_e32 v6, 7, v28
	v_lshrrev_b32_e32 v15, 3, v29
	s_mov_b32 s23, exec_lo
	v_cmpx_gt_u32_e32 8, v29
; %bb.487:                              ;   in Loop: Header=BB294_281 Depth=1
	s_delay_alu instid0(VALU_DEP_3) | instskip(NEXT) | instid1(VALU_DEP_1)
	v_clz_i32_u32_e32 v15, v6
	v_min_u32_e32 v15, 32, v15
	s_delay_alu instid0(VALU_DEP_1) | instskip(SKIP_1) | instid1(VALU_DEP_2)
	v_subrev_nc_u32_e32 v29, 28, v15
	v_sub_nc_u32_e32 v15, 29, v15
	v_lshlrev_b64 v[29:30], v29, v[6:7]
	s_delay_alu instid0(VALU_DEP_1)
	v_and_b32_e32 v6, 7, v29
; %bb.488:                              ;   in Loop: Header=BB294_281 Depth=1
	s_or_b32 exec_lo, exec_lo, s23
	v_lshlrev_b32_e32 v28, 8, v28
	v_lshl_add_u32 v15, v15, 10, 0x2000
	s_delay_alu instid0(VALU_DEP_1) | instskip(NEXT) | instid1(VALU_DEP_1)
	v_and_or_b32 v15, 0x8000, v28, v15
	v_lshl_or_b32 v6, v6, 7, v15
	s_delay_alu instid0(VALU_DEP_1)
	v_cvt_f32_f16_e32 v15, v6
.LBB294_489:                            ;   in Loop: Header=BB294_281 Depth=1
	s_or_b32 exec_lo, exec_lo, s22
.LBB294_490:                            ;   in Loop: Header=BB294_281 Depth=1
	s_delay_alu instid0(SALU_CYCLE_1)
	s_or_b32 exec_lo, exec_lo, s21
.LBB294_491:                            ;   in Loop: Header=BB294_281 Depth=1
	s_delay_alu instid0(SALU_CYCLE_1) | instskip(NEXT) | instid1(SALU_CYCLE_1)
	s_or_b32 exec_lo, exec_lo, s20
	s_mov_b32 s20, exec_lo
	v_cmpx_lt_u32_e32 0xffffff, v10
	s_cbranch_execz .LBB294_499
; %bb.492:                              ;   in Loop: Header=BB294_281 Depth=1
	v_lshrrev_b32_e32 v28, 24, v10
	v_bfrev_b32_e32 v27, 1
	s_mov_b32 s21, exec_lo
	s_delay_alu instid0(VALU_DEP_2)
	v_cmpx_ne_u32_e32 0x80, v28
	s_cbranch_execz .LBB294_498
; %bb.493:                              ;   in Loop: Header=BB294_281 Depth=1
	v_and_b32_e32 v29, 0x7f, v28
	v_mov_b32_e32 v27, 0x7fc02000
	s_mov_b32 s22, exec_lo
	s_delay_alu instid0(VALU_DEP_2)
	v_cmpx_ne_u32_e32 0x7f, v29
	s_cbranch_execz .LBB294_497
; %bb.494:                              ;   in Loop: Header=BB294_281 Depth=1
	v_and_b32_e32 v6, 7, v28
	v_lshrrev_b32_e32 v27, 3, v29
	s_mov_b32 s23, exec_lo
	v_cmpx_gt_u32_e32 8, v29
; %bb.495:                              ;   in Loop: Header=BB294_281 Depth=1
	s_delay_alu instid0(VALU_DEP_3) | instskip(NEXT) | instid1(VALU_DEP_1)
	v_clz_i32_u32_e32 v27, v6
	v_min_u32_e32 v27, 32, v27
	s_delay_alu instid0(VALU_DEP_1) | instskip(SKIP_1) | instid1(VALU_DEP_2)
	v_subrev_nc_u32_e32 v29, 28, v27
	v_sub_nc_u32_e32 v27, 29, v27
	v_lshlrev_b64 v[29:30], v29, v[6:7]
	s_delay_alu instid0(VALU_DEP_1)
	v_and_b32_e32 v6, 7, v29
; %bb.496:                              ;   in Loop: Header=BB294_281 Depth=1
	s_or_b32 exec_lo, exec_lo, s23
	v_lshlrev_b32_e32 v28, 8, v28
	v_lshl_add_u32 v27, v27, 10, 0x2000
	s_delay_alu instid0(VALU_DEP_1) | instskip(NEXT) | instid1(VALU_DEP_1)
	v_and_or_b32 v27, 0x8000, v28, v27
	v_lshl_or_b32 v6, v6, 7, v27
	s_delay_alu instid0(VALU_DEP_1)
	v_cvt_f32_f16_e32 v27, v6
.LBB294_497:                            ;   in Loop: Header=BB294_281 Depth=1
	s_or_b32 exec_lo, exec_lo, s22
.LBB294_498:                            ;   in Loop: Header=BB294_281 Depth=1
	s_delay_alu instid0(SALU_CYCLE_1)
	s_or_b32 exec_lo, exec_lo, s21
.LBB294_499:                            ;   in Loop: Header=BB294_281 Depth=1
	s_delay_alu instid0(SALU_CYCLE_1) | instskip(SKIP_4) | instid1(VALU_DEP_3)
	s_or_b32 exec_lo, exec_lo, s20
	v_dual_mov_b32 v29, 0 :: v_dual_and_b32 v30, 0xff, v11
	v_mov_b32_e32 v6, v11
	v_mov_b32_e32 v28, 0
	s_mov_b32 s20, exec_lo
	v_cmpx_ne_u16_e32 0, v30
	s_cbranch_execz .LBB294_505
; %bb.500:                              ;   in Loop: Header=BB294_281 Depth=1
	v_bfrev_b32_e32 v28, 1
	s_mov_b32 s21, exec_lo
	v_cmpx_ne_u16_e32 0x80, v30
	s_cbranch_execz .LBB294_504
; %bb.501:                              ;   in Loop: Header=BB294_281 Depth=1
	v_and_b32_e32 v30, 0x7f, v11
	v_mov_b32_e32 v28, 0x7fc02000
	s_mov_b32 s22, exec_lo
	s_delay_alu instid0(VALU_DEP_2)
	v_cmpx_ne_u32_e32 0x7f, v30
	s_cbranch_execz .LBB294_503
; %bb.502:                              ;   in Loop: Header=BB294_281 Depth=1
	v_and_b32_e32 v28, 7, v11
	v_cmp_gt_u32_e64 s1, 8, v30
	v_lshrrev_b32_e32 v31, 3, v30
	s_delay_alu instid0(VALU_DEP_3) | instskip(NEXT) | instid1(VALU_DEP_1)
	v_clz_i32_u32_e32 v28, v28
	v_min_u32_e32 v28, 32, v28
	s_delay_alu instid0(VALU_DEP_1) | instskip(SKIP_1) | instid1(VALU_DEP_2)
	v_subrev_nc_u32_e32 v32, 28, v28
	v_sub_nc_u32_e32 v28, 29, v28
	v_cndmask_b32_e64 v30, 0, v32, s1
	s_delay_alu instid0(VALU_DEP_2) | instskip(NEXT) | instid1(VALU_DEP_2)
	v_cndmask_b32_e64 v28, v31, v28, s1
	v_lshlrev_b64 v[30:31], v30, v[6:7]
	v_lshlrev_b32_e32 v31, 8, v11
	s_delay_alu instid0(VALU_DEP_3) | instskip(NEXT) | instid1(VALU_DEP_3)
	v_lshl_add_u32 v28, v28, 10, 0x2000
	v_lshlrev_b32_e32 v30, 7, v30
	s_delay_alu instid0(VALU_DEP_2) | instskip(NEXT) | instid1(VALU_DEP_1)
	v_and_or_b32 v28, 0x8000, v31, v28
	v_and_or_b32 v28, 0x380, v30, v28
	s_delay_alu instid0(VALU_DEP_1)
	v_cvt_f32_f16_e32 v28, v28
.LBB294_503:                            ;   in Loop: Header=BB294_281 Depth=1
	s_or_b32 exec_lo, exec_lo, s22
.LBB294_504:                            ;   in Loop: Header=BB294_281 Depth=1
	s_delay_alu instid0(SALU_CYCLE_1)
	s_or_b32 exec_lo, exec_lo, s21
.LBB294_505:                            ;   in Loop: Header=BB294_281 Depth=1
	s_delay_alu instid0(SALU_CYCLE_1) | instskip(SKIP_2) | instid1(VALU_DEP_1)
	s_or_b32 exec_lo, exec_lo, s20
	v_lshrrev_b16 v6, 8, v6
	s_mov_b32 s20, exec_lo
	v_cmpx_ne_u16_e32 0, v6
	s_cbranch_execz .LBB294_513
; %bb.506:                              ;   in Loop: Header=BB294_281 Depth=1
	v_bfrev_b32_e32 v29, 1
	s_mov_b32 s21, exec_lo
	v_cmpx_ne_u16_e32 0x80, v6
	s_cbranch_execz .LBB294_512
; %bb.507:                              ;   in Loop: Header=BB294_281 Depth=1
	v_and_b32_e32 v30, 0xffff, v6
	v_mov_b32_e32 v29, 0x7fc02000
	s_mov_b32 s22, exec_lo
	s_delay_alu instid0(VALU_DEP_2) | instskip(NEXT) | instid1(VALU_DEP_1)
	v_and_b32_e32 v31, 0x7f, v30
	v_cmpx_ne_u32_e32 0x7f, v31
	s_cbranch_execz .LBB294_511
; %bb.508:                              ;   in Loop: Header=BB294_281 Depth=1
	v_and_b32_e32 v6, 7, v30
	v_lshrrev_b32_e32 v29, 3, v31
	s_mov_b32 s23, exec_lo
	v_cmpx_gt_u32_e32 8, v31
; %bb.509:                              ;   in Loop: Header=BB294_281 Depth=1
	s_delay_alu instid0(VALU_DEP_3) | instskip(NEXT) | instid1(VALU_DEP_1)
	v_clz_i32_u32_e32 v29, v6
	v_min_u32_e32 v29, 32, v29
	s_delay_alu instid0(VALU_DEP_1) | instskip(SKIP_1) | instid1(VALU_DEP_2)
	v_subrev_nc_u32_e32 v31, 28, v29
	v_sub_nc_u32_e32 v29, 29, v29
	v_lshlrev_b64 v[31:32], v31, v[6:7]
	s_delay_alu instid0(VALU_DEP_1)
	v_and_b32_e32 v6, 7, v31
; %bb.510:                              ;   in Loop: Header=BB294_281 Depth=1
	s_or_b32 exec_lo, exec_lo, s23
	v_lshlrev_b32_e32 v30, 8, v30
	v_lshl_add_u32 v29, v29, 10, 0x2000
	s_delay_alu instid0(VALU_DEP_1) | instskip(NEXT) | instid1(VALU_DEP_1)
	v_and_or_b32 v29, 0x8000, v30, v29
	v_lshl_or_b32 v6, v6, 7, v29
	s_delay_alu instid0(VALU_DEP_1)
	v_cvt_f32_f16_e32 v29, v6
.LBB294_511:                            ;   in Loop: Header=BB294_281 Depth=1
	s_or_b32 exec_lo, exec_lo, s22
.LBB294_512:                            ;   in Loop: Header=BB294_281 Depth=1
	s_delay_alu instid0(SALU_CYCLE_1)
	s_or_b32 exec_lo, exec_lo, s21
.LBB294_513:                            ;   in Loop: Header=BB294_281 Depth=1
	s_delay_alu instid0(SALU_CYCLE_1) | instskip(SKIP_3) | instid1(VALU_DEP_2)
	s_or_b32 exec_lo, exec_lo, s20
	v_lshrrev_b32_e32 v32, 16, v11
	v_mov_b32_e32 v30, 0
	s_mov_b32 s20, exec_lo
	v_dual_mov_b32 v31, 0 :: v_dual_and_b32 v6, 0xff, v32
	s_delay_alu instid0(VALU_DEP_1)
	v_cmpx_ne_u16_e32 0, v6
	s_cbranch_execz .LBB294_521
; %bb.514:                              ;   in Loop: Header=BB294_281 Depth=1
	v_bfrev_b32_e32 v30, 1
	s_mov_b32 s21, exec_lo
	v_cmpx_ne_u16_e32 0x80, v6
	s_cbranch_execz .LBB294_520
; %bb.515:                              ;   in Loop: Header=BB294_281 Depth=1
	v_bfe_u32 v33, v11, 16, 7
	v_mov_b32_e32 v30, 0x7fc02000
	s_mov_b32 s22, exec_lo
	s_delay_alu instid0(VALU_DEP_2)
	v_cmpx_ne_u32_e32 0x7f, v33
	s_cbranch_execz .LBB294_519
; %bb.516:                              ;   in Loop: Header=BB294_281 Depth=1
	v_and_b32_e32 v6, 7, v32
	v_lshrrev_b32_e32 v30, 3, v33
	s_mov_b32 s23, exec_lo
	v_cmpx_gt_u32_e32 8, v33
; %bb.517:                              ;   in Loop: Header=BB294_281 Depth=1
	s_delay_alu instid0(VALU_DEP_3) | instskip(NEXT) | instid1(VALU_DEP_1)
	v_clz_i32_u32_e32 v30, v6
	v_min_u32_e32 v30, 32, v30
	s_delay_alu instid0(VALU_DEP_1) | instskip(SKIP_1) | instid1(VALU_DEP_2)
	v_subrev_nc_u32_e32 v33, 28, v30
	v_sub_nc_u32_e32 v30, 29, v30
	v_lshlrev_b64 v[33:34], v33, v[6:7]
	s_delay_alu instid0(VALU_DEP_1)
	v_and_b32_e32 v6, 7, v33
; %bb.518:                              ;   in Loop: Header=BB294_281 Depth=1
	s_or_b32 exec_lo, exec_lo, s23
	v_lshlrev_b32_e32 v32, 8, v32
	v_lshl_add_u32 v30, v30, 10, 0x2000
	s_delay_alu instid0(VALU_DEP_1) | instskip(NEXT) | instid1(VALU_DEP_1)
	v_and_or_b32 v30, 0x8000, v32, v30
	v_lshl_or_b32 v6, v6, 7, v30
	s_delay_alu instid0(VALU_DEP_1)
	v_cvt_f32_f16_e32 v30, v6
.LBB294_519:                            ;   in Loop: Header=BB294_281 Depth=1
	s_or_b32 exec_lo, exec_lo, s22
.LBB294_520:                            ;   in Loop: Header=BB294_281 Depth=1
	s_delay_alu instid0(SALU_CYCLE_1)
	s_or_b32 exec_lo, exec_lo, s21
.LBB294_521:                            ;   in Loop: Header=BB294_281 Depth=1
	s_delay_alu instid0(SALU_CYCLE_1) | instskip(NEXT) | instid1(SALU_CYCLE_1)
	s_or_b32 exec_lo, exec_lo, s20
	s_mov_b32 s20, exec_lo
	v_cmpx_lt_u64_e64 s[10:11], v[10:11]
	s_cbranch_execz .LBB294_529
; %bb.522:                              ;   in Loop: Header=BB294_281 Depth=1
	v_lshrrev_b32_e32 v10, 24, v11
	v_bfrev_b32_e32 v31, 1
	s_mov_b32 s21, exec_lo
	s_delay_alu instid0(VALU_DEP_2)
	v_cmpx_ne_u32_e32 0x80, v10
	s_cbranch_execz .LBB294_528
; %bb.523:                              ;   in Loop: Header=BB294_281 Depth=1
	v_and_b32_e32 v32, 0x7f, v10
	v_mov_b32_e32 v31, 0x7fc02000
	s_mov_b32 s22, exec_lo
	s_delay_alu instid0(VALU_DEP_2)
	v_cmpx_ne_u32_e32 0x7f, v32
	s_cbranch_execz .LBB294_527
; %bb.524:                              ;   in Loop: Header=BB294_281 Depth=1
	v_and_b32_e32 v6, 7, v10
	v_lshrrev_b32_e32 v11, 3, v32
	s_mov_b32 s23, exec_lo
	v_cmpx_gt_u32_e32 8, v32
; %bb.525:                              ;   in Loop: Header=BB294_281 Depth=1
	s_delay_alu instid0(VALU_DEP_3) | instskip(NEXT) | instid1(VALU_DEP_1)
	v_clz_i32_u32_e32 v11, v6
	v_min_u32_e32 v11, 32, v11
	s_delay_alu instid0(VALU_DEP_1) | instskip(SKIP_1) | instid1(VALU_DEP_2)
	v_subrev_nc_u32_e32 v31, 28, v11
	v_sub_nc_u32_e32 v11, 29, v11
	v_lshlrev_b64 v[31:32], v31, v[6:7]
	s_delay_alu instid0(VALU_DEP_1)
	v_and_b32_e32 v6, 7, v31
; %bb.526:                              ;   in Loop: Header=BB294_281 Depth=1
	s_or_b32 exec_lo, exec_lo, s23
	v_lshlrev_b32_e32 v10, 8, v10
	v_lshl_add_u32 v11, v11, 10, 0x2000
	s_delay_alu instid0(VALU_DEP_1) | instskip(NEXT) | instid1(VALU_DEP_1)
	v_and_or_b32 v10, 0x8000, v10, v11
	v_lshl_or_b32 v6, v6, 7, v10
	s_delay_alu instid0(VALU_DEP_1)
	v_cvt_f32_f16_e32 v31, v6
.LBB294_527:                            ;   in Loop: Header=BB294_281 Depth=1
	s_or_b32 exec_lo, exec_lo, s22
.LBB294_528:                            ;   in Loop: Header=BB294_281 Depth=1
	s_delay_alu instid0(SALU_CYCLE_1)
	s_or_b32 exec_lo, exec_lo, s21
.LBB294_529:                            ;   in Loop: Header=BB294_281 Depth=1
	s_delay_alu instid0(SALU_CYCLE_1)
	s_or_b32 exec_lo, exec_lo, s20
	s_waitcnt vmcnt(0)
	v_fma_mixlo_f16 v11, v12, v14, 0
	v_fma_mixlo_f16 v6, v12, v27, 0
	;; [unrolled: 1-line block ×5, first 2 shown]
	v_lshlrev_b32_e32 v14, 16, v11
	v_fma_mixlo_f16 v27, v12, v28, 0
	v_fma_mixlo_f16 v28, v12, v31, 0
	;; [unrolled: 1-line block ×3, first 2 shown]
	v_lshlrev_b32_e32 v6, 16, v6
	v_and_b32_e32 v10, 0xffff, v10
	v_and_b32_e32 v13, 0xffff, v13
	v_lshlrev_b32_e32 v15, 16, v15
	v_and_b32_e32 v27, 0xffff, v27
	v_lshlrev_b32_e32 v28, 16, v28
	v_and_b32_e32 v29, 0xffff, v11
	v_or_b32_e32 v12, v6, v10
	v_or_b32_e32 v13, v14, v13
	;; [unrolled: 1-line block ×3, first 2 shown]
	s_delay_alu instid0(VALU_DEP_4)
	v_or_b32_e32 v10, v28, v29
	s_and_saveexec_b32 s1, s0
	s_cbranch_execz .LBB294_278
; %bb.530:                              ;   in Loop: Header=BB294_281 Depth=1
	v_add_nc_u32_e32 v14, 1, v17
	v_lshrrev_b32_e32 v15, 16, v13
	v_or_b32_e32 v27, 3, v17
	v_lshrrev_b32_e32 v28, 16, v12
	v_lshrrev_b32_e32 v29, 16, v6
	v_cmp_gt_i32_e64 s0, s13, v14
	v_lshrrev_b32_e32 v10, 16, v10
	v_or_b32_e32 v30, 6, v17
	s_delay_alu instid0(VALU_DEP_3) | instskip(SKIP_2) | instid1(VALU_DEP_2)
	v_cndmask_b32_e64 v14, 0, v15, s0
	v_cmp_gt_i32_e64 s0, s33, v17
	v_or_b32_e32 v15, 2, v17
	v_cndmask_b32_e64 v13, 0, v13, s0
	v_cmp_gt_i32_e64 s0, s13, v27
	s_delay_alu instid0(VALU_DEP_2) | instskip(NEXT) | instid1(VALU_DEP_2)
	v_perm_b32 v13, v14, v13, 0x5040100
	v_cndmask_b32_e64 v27, 0, v28, s0
	v_or_b32_e32 v28, 5, v17
	v_cmp_gt_i32_e64 s0, s33, v15
	v_or_b32_e32 v15, 4, v17
	s_delay_alu instid0(VALU_DEP_2) | instskip(NEXT) | instid1(VALU_DEP_4)
	v_cndmask_b32_e64 v12, 0, v12, s0
	v_cmp_gt_i32_e64 s0, s13, v28
	s_delay_alu instid0(VALU_DEP_2) | instskip(NEXT) | instid1(VALU_DEP_2)
	v_perm_b32 v12, v27, v12, 0x5040100
	v_cndmask_b32_e64 v28, 0, v29, s0
	v_or_b32_e32 v29, 7, v17
	v_cmp_gt_i32_e64 s0, s33, v15
	s_delay_alu instid0(VALU_DEP_1) | instskip(NEXT) | instid1(VALU_DEP_3)
	v_cndmask_b32_e64 v6, 0, v6, s0
	v_cmp_gt_i32_e64 s0, s13, v29
	s_delay_alu instid0(VALU_DEP_2) | instskip(NEXT) | instid1(VALU_DEP_2)
	v_perm_b32 v6, v28, v6, 0x5040100
	v_cndmask_b32_e64 v10, 0, v10, s0
	v_cmp_gt_i32_e64 s0, s33, v30
	s_delay_alu instid0(VALU_DEP_1) | instskip(NEXT) | instid1(VALU_DEP_1)
	v_cndmask_b32_e64 v11, 0, v11, s0
	v_perm_b32 v10, v10, v11, 0x5040100
	s_branch .LBB294_278
.LBB294_531:
	s_or_b32 exec_lo, exec_lo, s12
.LBB294_532:
	s_delay_alu instid0(SALU_CYCLE_1)
	s_or_b32 exec_lo, exec_lo, s5
	v_and_b32_e32 v5, 0x3c0, v0
	s_movk_i32 s0, 0x1e0
	s_waitcnt_vscnt null, 0x0
	v_mad_u32_u24 v6, v16, s0, 0x110
	s_barrier
	v_cmp_eq_u32_e32 vcc_lo, 64, v5
	v_or_b32_e32 v5, 0x60, v0
	buffer_gl0_inv
	s_and_saveexec_b32 s0, vcc_lo
	s_cbranch_execz .LBB294_535
; %bb.533:
	v_add_nc_u32_e32 v7, 0xfffffc40, v6
	v_cmp_gt_u32_e32 vcc_lo, 0x78, v5
	s_delay_alu instid0(VALU_DEP_2)
	v_lshl_add_u32 v8, v18, 2, v7
	ds_store_2addr_b32 v8, v1, v2 offset1:32
	ds_store_b32 v8, v3 offset:256
	s_and_b32 exec_lo, exec_lo, vcc_lo
	s_cbranch_execz .LBB294_535
; %bb.534:
	v_lshl_add_u32 v7, v5, 2, v7
	ds_store_b32 v7, v4
.LBB294_535:
	s_or_b32 exec_lo, exec_lo, s0
	v_lshl_add_u32 v7, v18, 2, v6
	s_mov_b32 s0, exec_lo
	s_waitcnt lgkmcnt(0)
	s_barrier
	buffer_gl0_inv
	v_cmpx_gt_u32_e32 64, v0
	s_cbranch_execz .LBB294_539
; %bb.536:
	v_lshl_or_b32 v8, v0, 2, 0x80
	s_mov_b32 s1, exec_lo
	s_delay_alu instid0(VALU_DEP_1)
	v_add_nc_u32_e32 v10, v6, v8
	ds_load_2addr_stride64_b32 v[8:9], v7 offset1:1
	ds_load_b32 v10, v10
	s_waitcnt lgkmcnt(1)
	v_add_f32_e32 v3, v3, v9
	s_waitcnt lgkmcnt(0)
	v_dual_add_f32 v1, v1, v8 :: v_dual_add_f32 v2, v2, v10
	v_cmpx_gt_u32_e32 0x78, v5
	s_cbranch_execz .LBB294_538
; %bb.537:
	v_lshl_add_u32 v8, v5, 2, v6
	ds_load_b32 v8, v8
	s_waitcnt lgkmcnt(0)
	v_add_f32_e32 v4, v4, v8
.LBB294_538:
	s_or_b32 exec_lo, exec_lo, s1
.LBB294_539:
	s_delay_alu instid0(SALU_CYCLE_1)
	s_or_b32 exec_lo, exec_lo, s0
	v_and_b32_e32 v8, 0x3e0, v0
	s_mov_b32 s0, exec_lo
	s_barrier
	buffer_gl0_inv
	v_cmpx_eq_u32_e32 32, v8
	s_cbranch_execz .LBB294_542
; %bb.540:
	v_add_nc_u32_e32 v8, 0xfffffe20, v6
	v_cmp_gt_u32_e32 vcc_lo, 0x78, v5
	s_delay_alu instid0(VALU_DEP_2)
	v_lshl_add_u32 v9, v18, 2, v8
	v_lshl_add_u32 v10, v0, 2, v8
	ds_store_b32 v9, v1
	ds_store_b32 v10, v2
	ds_store_b32 v9, v3 offset:256
	s_and_b32 exec_lo, exec_lo, vcc_lo
	s_cbranch_execz .LBB294_542
; %bb.541:
	v_lshl_add_u32 v8, v5, 2, v8
	ds_store_b32 v8, v4
.LBB294_542:
	s_or_b32 exec_lo, exec_lo, s0
	v_cmp_gt_u32_e32 vcc_lo, 32, v0
	s_waitcnt lgkmcnt(0)
	s_barrier
	buffer_gl0_inv
	s_and_saveexec_b32 s1, vcc_lo
	s_cbranch_execz .LBB294_546
; %bb.543:
	v_lshl_add_u32 v6, v0, 2, v6
	s_mov_b32 s2, exec_lo
	ds_load_b32 v9, v7
	ds_load_2addr_b32 v[7:8], v6 offset0:32 offset1:64
	s_waitcnt lgkmcnt(0)
	v_dual_add_f32 v1, v1, v9 :: v_dual_add_f32 v2, v2, v7
	v_add_f32_e32 v3, v3, v8
	v_cmpx_gt_u32_e32 0x78, v5
	s_cbranch_execz .LBB294_545
; %bb.544:
	ds_load_b32 v6, v6 offset:384
	s_waitcnt lgkmcnt(0)
	v_add_f32_e32 v4, v4, v6
.LBB294_545:
	s_or_b32 exec_lo, exec_lo, s2
.LBB294_546:
	s_delay_alu instid0(SALU_CYCLE_1)
	s_or_b32 exec_lo, exec_lo, s1
	s_barrier
	buffer_gl0_inv
	s_and_saveexec_b32 s0, vcc_lo
	s_cbranch_execz .LBB294_549
; %bb.547:
	s_mul_i32 s0, s4, 0x78
	s_mul_i32 s2, s8, s26
	s_ashr_i32 s1, s0, 31
	v_lshlrev_b32_e32 v0, 1, v0
	s_lshl_b64 s[0:1], s[0:1], 1
	v_cmp_gt_u32_e32 vcc_lo, 0x78, v5
	s_add_u32 s4, s28, s0
	s_addc_u32 s5, s29, s1
	s_ashr_i32 s3, s2, 31
	;;#ASMSTART
	v_cvt_f16_f32 v1, v1;

	;;#ASMEND
	s_lshl_b64 s[0:1], s[2:3], 1
	s_mul_i32 s2, s24, 0x78
	s_add_u32 s4, s4, s0
	s_addc_u32 s5, s5, s1
	s_ashr_i32 s3, s2, 31
	s_delay_alu instid0(SALU_CYCLE_1) | instskip(NEXT) | instid1(SALU_CYCLE_1)
	s_lshl_b64 s[0:1], s[2:3], 1
	s_add_u32 s0, s4, s0
	s_addc_u32 s1, s5, s1
	global_store_b16 v0, v1, s[0:1]
	;;#ASMSTART
	v_cvt_f16_f32 v1, v2;

	;;#ASMEND
	global_store_b16 v0, v1, s[0:1] offset:64
	;;#ASMSTART
	v_cvt_f16_f32 v1, v3;

	;;#ASMEND
	global_store_b16 v0, v1, s[0:1] offset:128
	s_and_b32 exec_lo, exec_lo, vcc_lo
	s_cbranch_execz .LBB294_549
; %bb.548:
	v_add_co_u32 v0, s0, s0, v0
	s_delay_alu instid0(VALU_DEP_1)
	v_add_co_ci_u32_e64 v1, null, s1, 0, s0
	;;#ASMSTART
	v_cvt_f16_f32 v2, v4;

	;;#ASMEND
	global_store_b16 v[0:1], v2, off offset:192
.LBB294_549:
	s_nop 0
	s_sendmsg sendmsg(MSG_DEALLOC_VGPRS)
	s_endpgm
	.section	.rodata,"a",@progbits
	.p2align	6, 0x0
	.amdhsa_kernel _ZN4vllm25paged_attention_v2_kernelIthLi120ELi8ELi128ELNS_18Fp8KVCacheDataTypeE1ELb1ELi512EEEvPfS2_PT_PKS3_PKT0_S9_ifPKiSB_iPKfiiiSD_SD_iiiii
		.amdhsa_group_segment_fixed_size 272
		.amdhsa_private_segment_fixed_size 0
		.amdhsa_kernarg_size 400
		.amdhsa_user_sgpr_count 13
		.amdhsa_user_sgpr_dispatch_ptr 0
		.amdhsa_user_sgpr_queue_ptr 0
		.amdhsa_user_sgpr_kernarg_segment_ptr 1
		.amdhsa_user_sgpr_dispatch_id 0
		.amdhsa_user_sgpr_private_segment_size 0
		.amdhsa_wavefront_size32 1
		.amdhsa_uses_dynamic_stack 0
		.amdhsa_enable_private_segment 0
		.amdhsa_system_sgpr_workgroup_id_x 1
		.amdhsa_system_sgpr_workgroup_id_y 1
		.amdhsa_system_sgpr_workgroup_id_z 1
		.amdhsa_system_sgpr_workgroup_info 0
		.amdhsa_system_vgpr_workitem_id 0
		.amdhsa_next_free_vgpr 77
		.amdhsa_next_free_sgpr 52
		.amdhsa_reserve_vcc 1
		.amdhsa_float_round_mode_32 0
		.amdhsa_float_round_mode_16_64 0
		.amdhsa_float_denorm_mode_32 3
		.amdhsa_float_denorm_mode_16_64 3
		.amdhsa_dx10_clamp 1
		.amdhsa_ieee_mode 1
		.amdhsa_fp16_overflow 0
		.amdhsa_workgroup_processor_mode 1
		.amdhsa_memory_ordered 1
		.amdhsa_forward_progress 0
		.amdhsa_shared_vgpr_count 0
		.amdhsa_exception_fp_ieee_invalid_op 0
		.amdhsa_exception_fp_denorm_src 0
		.amdhsa_exception_fp_ieee_div_zero 0
		.amdhsa_exception_fp_ieee_overflow 0
		.amdhsa_exception_fp_ieee_underflow 0
		.amdhsa_exception_fp_ieee_inexact 0
		.amdhsa_exception_int_div_zero 0
	.end_amdhsa_kernel
	.section	.text._ZN4vllm25paged_attention_v2_kernelIthLi120ELi8ELi128ELNS_18Fp8KVCacheDataTypeE1ELb1ELi512EEEvPfS2_PT_PKS3_PKT0_S9_ifPKiSB_iPKfiiiSD_SD_iiiii,"axG",@progbits,_ZN4vllm25paged_attention_v2_kernelIthLi120ELi8ELi128ELNS_18Fp8KVCacheDataTypeE1ELb1ELi512EEEvPfS2_PT_PKS3_PKT0_S9_ifPKiSB_iPKfiiiSD_SD_iiiii,comdat
.Lfunc_end294:
	.size	_ZN4vllm25paged_attention_v2_kernelIthLi120ELi8ELi128ELNS_18Fp8KVCacheDataTypeE1ELb1ELi512EEEvPfS2_PT_PKS3_PKT0_S9_ifPKiSB_iPKfiiiSD_SD_iiiii, .Lfunc_end294-_ZN4vllm25paged_attention_v2_kernelIthLi120ELi8ELi128ELNS_18Fp8KVCacheDataTypeE1ELb1ELi512EEEvPfS2_PT_PKS3_PKT0_S9_ifPKiSB_iPKfiiiSD_SD_iiiii
                                        ; -- End function
	.section	.AMDGPU.csdata,"",@progbits
; Kernel info:
; codeLenInByte = 23172
; NumSgprs: 54
; NumVgprs: 77
; ScratchSize: 0
; MemoryBound: 0
; FloatMode: 240
; IeeeMode: 1
; LDSByteSize: 272 bytes/workgroup (compile time only)
; SGPRBlocks: 6
; VGPRBlocks: 9
; NumSGPRsForWavesPerEU: 54
; NumVGPRsForWavesPerEU: 77
; Occupancy: 16
; WaveLimiterHint : 1
; COMPUTE_PGM_RSRC2:SCRATCH_EN: 0
; COMPUTE_PGM_RSRC2:USER_SGPR: 13
; COMPUTE_PGM_RSRC2:TRAP_HANDLER: 0
; COMPUTE_PGM_RSRC2:TGID_X_EN: 1
; COMPUTE_PGM_RSRC2:TGID_Y_EN: 1
; COMPUTE_PGM_RSRC2:TGID_Z_EN: 1
; COMPUTE_PGM_RSRC2:TIDIG_COMP_CNT: 0
	.section	.text._ZN4vllm25paged_attention_v2_kernelIthLi128ELi8ELi128ELNS_18Fp8KVCacheDataTypeE1ELb1ELi512EEEvPfS2_PT_PKS3_PKT0_S9_ifPKiSB_iPKfiiiSD_SD_iiiii,"axG",@progbits,_ZN4vllm25paged_attention_v2_kernelIthLi128ELi8ELi128ELNS_18Fp8KVCacheDataTypeE1ELb1ELi512EEEvPfS2_PT_PKS3_PKT0_S9_ifPKiSB_iPKfiiiSD_SD_iiiii,comdat
	.protected	_ZN4vllm25paged_attention_v2_kernelIthLi128ELi8ELi128ELNS_18Fp8KVCacheDataTypeE1ELb1ELi512EEEvPfS2_PT_PKS3_PKT0_S9_ifPKiSB_iPKfiiiSD_SD_iiiii ; -- Begin function _ZN4vllm25paged_attention_v2_kernelIthLi128ELi8ELi128ELNS_18Fp8KVCacheDataTypeE1ELb1ELi512EEEvPfS2_PT_PKS3_PKT0_S9_ifPKiSB_iPKfiiiSD_SD_iiiii
	.globl	_ZN4vllm25paged_attention_v2_kernelIthLi128ELi8ELi128ELNS_18Fp8KVCacheDataTypeE1ELb1ELi512EEEvPfS2_PT_PKS3_PKT0_S9_ifPKiSB_iPKfiiiSD_SD_iiiii
	.p2align	8
	.type	_ZN4vllm25paged_attention_v2_kernelIthLi128ELi8ELi128ELNS_18Fp8KVCacheDataTypeE1ELb1ELi512EEEvPfS2_PT_PKS3_PKT0_S9_ifPKiSB_iPKfiiiSD_SD_iiiii,@function
_ZN4vllm25paged_attention_v2_kernelIthLi128ELi8ELi128ELNS_18Fp8KVCacheDataTypeE1ELb1ELi512EEEvPfS2_PT_PKS3_PKT0_S9_ifPKiSB_iPKfiiiSD_SD_iiiii: ; @_ZN4vllm25paged_attention_v2_kernelIthLi128ELi8ELi128ELNS_18Fp8KVCacheDataTypeE1ELb1ELi512EEEvPfS2_PT_PKS3_PKT0_S9_ifPKiSB_iPKfiiiSD_SD_iiiii
; %bb.0:
	s_load_b64 s[2:3], s[0:1], 0x40
	s_mov_b32 s12, s15
	s_ashr_i32 s15, s14, 31
	s_delay_alu instid0(SALU_CYCLE_1)
	s_lshl_b64 s[4:5], s[14:15], 2
	s_waitcnt lgkmcnt(0)
	s_add_u32 s2, s2, s4
	s_addc_u32 s3, s3, s5
	s_lshl_b32 s40, s12, 9
	s_load_b32 s15, s[2:3], 0x0
	s_waitcnt lgkmcnt(0)
	s_cmp_ge_i32 s40, s15
	s_cbranch_scc1 .LBB295_556
; %bb.1:
	s_mov_b32 s28, s13
	s_clause 0x1
	s_load_b32 s13, s[0:1], 0x90
	s_load_b64 s[38:39], s[0:1], 0x30
	s_mov_b32 s44, 0
	s_waitcnt lgkmcnt(0)
	s_abs_i32 s5, s13
	s_abs_i32 s2, s38
	s_delay_alu instid0(SALU_CYCLE_1) | instskip(SKIP_1) | instid1(VALU_DEP_1)
	v_cvt_f32_u32_e32 v1, s2
	s_sub_i32 s4, 0, s2
	v_rcp_iflag_f32_e32 v1, v1
	s_waitcnt_depctr 0xfff
	v_mul_f32_e32 v1, 0x4f7ffffe, v1
	s_delay_alu instid0(VALU_DEP_1) | instskip(NEXT) | instid1(VALU_DEP_1)
	v_cvt_u32_f32_e32 v1, v1
	v_readfirstlane_b32 s3, v1
	s_delay_alu instid0(VALU_DEP_1) | instskip(NEXT) | instid1(SALU_CYCLE_1)
	s_mul_i32 s4, s4, s3
	s_mul_hi_u32 s4, s3, s4
	s_delay_alu instid0(SALU_CYCLE_1) | instskip(SKIP_4) | instid1(SALU_CYCLE_1)
	s_add_i32 s3, s3, s4
	s_xor_b32 s4, s13, s38
	s_mul_hi_u32 s3, s5, s3
	s_ashr_i32 s4, s4, 31
	s_mul_i32 s6, s3, s2
	s_sub_i32 s5, s5, s6
	s_add_i32 s6, s3, 1
	s_sub_i32 s7, s5, s2
	s_cmp_ge_u32 s5, s2
	s_cselect_b32 s3, s6, s3
	s_cselect_b32 s5, s7, s5
	s_add_i32 s6, s3, 1
	s_cmp_ge_u32 s5, s2
	s_cselect_b32 s2, s6, s3
	s_abs_i32 s9, s28
	s_xor_b32 s2, s2, s4
	s_delay_alu instid0(SALU_CYCLE_1) | instskip(SKIP_2) | instid1(SALU_CYCLE_1)
	s_sub_i32 s11, s2, s4
	s_load_b64 s[2:3], s[0:1], 0x50
	s_abs_i32 s8, s11
	v_cvt_f32_u32_e32 v1, s8
	s_sub_i32 s5, 0, s8
	s_delay_alu instid0(VALU_DEP_1) | instskip(SKIP_2) | instid1(VALU_DEP_1)
	v_rcp_iflag_f32_e32 v1, v1
	s_waitcnt_depctr 0xfff
	v_mul_f32_e32 v1, 0x4f7ffffe, v1
	v_cvt_u32_f32_e32 v1, v1
	s_delay_alu instid0(VALU_DEP_1) | instskip(NEXT) | instid1(VALU_DEP_1)
	v_readfirstlane_b32 s4, v1
	s_mul_i32 s5, s5, s4
	s_delay_alu instid0(SALU_CYCLE_1) | instskip(NEXT) | instid1(SALU_CYCLE_1)
	s_mul_hi_u32 s5, s4, s5
	s_add_i32 s4, s4, s5
	s_waitcnt lgkmcnt(0)
	s_cmp_eq_u64 s[2:3], 0
	s_mul_hi_u32 s10, s9, s4
	s_cbranch_scc1 .LBB295_3
; %bb.2:
	s_ashr_i32 s29, s28, 31
	s_delay_alu instid0(SALU_CYCLE_1) | instskip(NEXT) | instid1(SALU_CYCLE_1)
	s_lshl_b64 s[4:5], s[28:29], 2
	s_add_u32 s2, s2, s4
	s_addc_u32 s3, s3, s5
	s_load_b32 s44, s[2:3], 0x0
.LBB295_3:
	s_load_b128 s[4:7], s[0:1], 0x58
	v_and_b32_e32 v3, 3, v0
	v_cmp_gt_u32_e64 s2, 64, v0
	v_lshlrev_b32_e32 v12, 2, v0
	s_ashr_i32 s3, s28, 31
	s_waitcnt lgkmcnt(0)
	s_ashr_i32 s7, s11, 31
	s_lshl_b32 s24, s28, 7
	s_and_saveexec_b32 s11, s2
	s_cbranch_execz .LBB295_5
; %bb.4:
	s_load_b64 s[16:17], s[0:1], 0x18
	s_mul_i32 s18, s14, s4
	v_and_b32_e32 v2, 0x3fc, v0
	s_ashr_i32 s19, s18, 31
	s_delay_alu instid0(SALU_CYCLE_1) | instskip(NEXT) | instid1(VALU_DEP_1)
	s_lshl_b64 s[18:19], s[18:19], 1
	v_lshl_add_u32 v2, v3, 6, v2
	s_waitcnt lgkmcnt(0)
	s_add_u32 s4, s16, s18
	s_addc_u32 s18, s17, s19
	s_ashr_i32 s25, s24, 31
	s_delay_alu instid0(SALU_CYCLE_1) | instskip(NEXT) | instid1(SALU_CYCLE_1)
	s_lshl_b64 s[16:17], s[24:25], 1
	s_add_u32 s16, s4, s16
	s_addc_u32 s17, s18, s17
	global_load_b32 v1, v12, s[16:17]
	s_waitcnt vmcnt(0)
	ds_store_b32 v2, v1
.LBB295_5:
	s_or_b32 exec_lo, exec_lo, s11
	s_load_b128 s[16:19], s[0:1], 0x78
	s_mul_i32 s4, s10, s8
	s_xor_b32 s3, s3, s7
	s_sub_i32 s4, s9, s4
	s_add_i32 s7, s10, 1
	s_sub_i32 s9, s4, s8
	s_cmp_ge_u32 s4, s8
	s_waitcnt lgkmcnt(0)
	s_cselect_b32 s7, s7, s10
	s_cselect_b32 s4, s9, s4
	s_add_i32 s9, s7, 1
	s_cmp_ge_u32 s4, s8
	s_barrier
	s_cselect_b32 s4, s9, s7
	s_load_b32 s7, s[0:1], 0x88
	s_xor_b32 s4, s4, s3
	s_add_i32 s8, s15, -1
	s_sub_i32 s42, s4, s3
	s_abs_i32 s4, s8
	s_mov_b32 s9, -1
	s_abs_i32 s25, s19
	s_waitcnt lgkmcnt(0)
	buffer_gl0_inv
	v_cvt_f32_u32_e32 v1, s25
	s_sub_i32 s3, 0, s25
                                        ; implicit-def: $sgpr33
	s_delay_alu instid0(VALU_DEP_1) | instskip(SKIP_2) | instid1(VALU_DEP_1)
	v_rcp_iflag_f32_e32 v1, v1
	s_waitcnt_depctr 0xfff
	v_mul_f32_e32 v1, 0x4f7ffffe, v1
	v_cvt_u32_f32_e32 v1, v1
	s_delay_alu instid0(VALU_DEP_1) | instskip(NEXT) | instid1(VALU_DEP_1)
	v_readfirstlane_b32 s29, v1
	s_mul_i32 s3, s3, s29
	s_delay_alu instid0(SALU_CYCLE_1) | instskip(NEXT) | instid1(SALU_CYCLE_1)
	s_mul_hi_u32 s3, s29, s3
	s_add_i32 s29, s29, s3
	s_cmp_lt_i32 s7, 0
	s_mul_hi_u32 s3, s4, s29
	s_cbranch_scc0 .LBB295_7
; %bb.6:
	s_mul_i32 s9, s16, s38
	s_delay_alu instid0(SALU_CYCLE_1) | instskip(NEXT) | instid1(SALU_CYCLE_1)
	s_add_i32 s9, s42, s9
	s_mul_i32 s9, s9, s7
	s_delay_alu instid0(SALU_CYCLE_1)
	s_sub_i32 s33, 1, s9
	s_mov_b32 s9, 0
.LBB295_7:
	s_load_b64 s[30:31], s[0:1], 0x38
	s_ashr_i32 s34, s8, 31
	s_and_not1_b32 vcc_lo, exec_lo, s9
	s_ashr_i32 s19, s19, 31
	s_cbranch_vccnz .LBB295_9
; %bb.8:
	s_mul_i32 s8, s13, s16
	s_delay_alu instid0(SALU_CYCLE_1) | instskip(NEXT) | instid1(SALU_CYCLE_1)
	s_add_i32 s8, s8, s28
	s_mul_i32 s7, s8, s7
	s_delay_alu instid0(SALU_CYCLE_1)
	s_add_i32 s33, s7, 1
.LBB295_9:
	s_clause 0x5
	s_load_b32 s7, s[0:1], 0x48
	s_load_b64 s[36:37], s[0:1], 0x28
	s_load_b128 s[20:23], s[0:1], 0x0
	s_load_b64 s[26:27], s[0:1], 0x10
	s_load_b32 s16, s[0:1], 0x98
	s_load_b128 s[8:11], s[0:1], 0x68
	s_xor_b32 s43, s34, s19
	s_mul_i32 s34, s3, s25
	s_add_i32 s38, s3, 1
	s_sub_i32 s4, s4, s34
	v_lshrrev_b32_e32 v13, 5, v0
	v_mov_b32_e32 v15, 0xff7fffff
	v_mbcnt_lo_u32_b32 v11, -1, 0
	s_mul_i32 s42, s42, s6
	s_delay_alu instid0(VALU_DEP_3)
	v_lshl_add_u32 v14, v13, 3, s40
	s_waitcnt lgkmcnt(0)
	s_mul_i32 s34, s14, s7
	s_sub_i32 s7, s4, s25
	s_ashr_i32 s35, s34, 31
	s_cmp_ge_u32 s4, s25
	s_cselect_b32 s3, s38, s3
	s_cselect_b32 s4, s7, s4
	s_add_i32 s7, s3, 1
	s_cmp_ge_u32 s4, s25
	s_cselect_b32 s3, s7, s3
	s_add_i32 s4, s15, 7
	s_lshl_b32 s7, s12, 6
	s_ashr_i32 s38, s4, 31
	v_or_b32_e32 v1, s7, v13
	s_lshr_b32 s38, s38, 29
	s_delay_alu instid0(SALU_CYCLE_1)
	s_add_i32 s4, s4, s38
	s_add_i32 s38, s7, 64
	s_ashr_i32 s41, s4, 3
	s_xor_b32 s4, s3, s43
	s_min_i32 s38, s38, s41
	v_ashrrev_i32_e32 v2, 31, v1
	v_cmp_gt_i32_e64 s3, s38, v1
	s_sub_i32 s43, s4, s43
	s_delay_alu instid0(VALU_DEP_1)
	s_and_saveexec_b32 s6, s3
	s_cbranch_execz .LBB295_275
; %bb.10:
	s_load_b64 s[0:1], s[0:1], 0x20
	s_sub_i32 s45, s43, s17
	s_ashr_i32 s4, s42, 31
	v_cmp_eq_u32_e32 vcc_lo, 0, v3
	v_bfe_u32 v16, v0, 2, 3
	v_dual_mov_b32 v20, 0xff7fffff :: v_dual_lshlrev_b32 v17, 1, v3
	v_dual_mov_b32 v15, 0xff7fffff :: v_dual_lshlrev_b32 v18, 6, v3
	s_delay_alu instid0(VALU_DEP_3) | instskip(SKIP_3) | instid1(VALU_DEP_3)
	v_lshlrev_b32_e32 v10, 4, v16
	v_subrev_nc_u32_e32 v6, s15, v16
	v_lshlrev_b64 v[7:8], 2, v[1:2]
	v_lshl_add_u32 v19, v13, 3, s40
	v_dual_mov_b32 v24, v1 :: v_dual_add_nc_u32 v21, 1, v6
	s_waitcnt lgkmcnt(0)
	s_add_u32 s47, s0, s42
	s_addc_u32 s1, s1, s4
	s_abs_i32 s46, s18
	s_lshl_b64 s[48:49], s[34:35], 2
	v_cvt_f32_u32_e32 v4, s46
	s_sub_i32 s4, 0, s46
	v_cmp_neq_f32_e64 s0, s44, 0
	s_delay_alu instid0(VALU_DEP_2) | instskip(SKIP_2) | instid1(VALU_DEP_1)
	v_rcp_iflag_f32_e32 v5, v4
	s_waitcnt_depctr 0xfff
	v_dual_mov_b32 v4, 0 :: v_dual_mul_f32 v5, 0x4f7ffffe, v5
	v_cvt_u32_f32_e32 v3, v5
	v_lshlrev_b32_e32 v5, 2, v16
	s_delay_alu instid0(VALU_DEP_2) | instskip(NEXT) | instid1(VALU_DEP_2)
	v_mul_lo_u32 v9, s4, v3
	v_lshl_or_b32 v5, v13, 5, v5
	s_delay_alu instid0(VALU_DEP_1) | instskip(SKIP_1) | instid1(VALU_DEP_4)
	v_add_nc_u32_e32 v22, 0x120, v5
	v_add_co_u32 v5, s4, s47, v10
	v_mul_hi_u32 v9, v3, v9
	v_add_co_ci_u32_e64 v6, null, s1, 0, s4
	s_add_u32 s1, s30, s48
	s_addc_u32 s4, s31, s49
	v_add_co_u32 v7, s1, s1, v7
	s_delay_alu instid0(VALU_DEP_1) | instskip(NEXT) | instid1(VALU_DEP_4)
	v_add_co_ci_u32_e64 v8, s1, s4, v8, s1
	v_add_nc_u32_e32 v23, v3, v9
	s_mov_b32 s47, 0
	s_mov_b32 s48, s5
	s_branch .LBB295_13
.LBB295_11:                             ;   in Loop: Header=BB295_13 Depth=1
	s_or_b32 exec_lo, exec_lo, s49
.LBB295_12:                             ;   in Loop: Header=BB295_13 Depth=1
	s_delay_alu instid0(SALU_CYCLE_1) | instskip(SKIP_2) | instid1(VALU_DEP_1)
	s_or_b32 exec_lo, exec_lo, s4
	v_add_nc_u32_e32 v24, 4, v24
	v_add_co_u32 v7, s4, v7, 16
	v_add_co_ci_u32_e64 v8, s4, 0, v8, s4
	s_delay_alu instid0(VALU_DEP_3) | instskip(SKIP_2) | instid1(VALU_DEP_3)
	v_cmp_le_i32_e64 s1, s38, v24
	v_add_nc_u32_e32 v19, 32, v19
	v_add_nc_u32_e32 v22, 0x80, v22
	s_or_b32 s47, s1, s47
	s_delay_alu instid0(SALU_CYCLE_1)
	s_and_not1_b32 exec_lo, exec_lo, s47
	s_cbranch_execz .LBB295_274
.LBB295_13:                             ; =>This Inner Loop Header: Depth=1
	v_sub_nc_u32_e32 v3, 0, v19
	s_delay_alu instid0(VALU_DEP_1) | instskip(SKIP_1) | instid1(VALU_DEP_1)
	v_max_i32_e32 v3, v19, v3
	s_waitcnt lgkmcnt(0)
	v_mul_hi_u32 v9, v3, s29
	s_delay_alu instid0(VALU_DEP_1) | instskip(NEXT) | instid1(VALU_DEP_1)
	v_mul_lo_u32 v10, v9, s25
	v_sub_nc_u32_e32 v3, v3, v10
	v_add_nc_u32_e32 v10, 1, v9
	s_delay_alu instid0(VALU_DEP_2) | instskip(SKIP_1) | instid1(VALU_DEP_1)
	v_subrev_nc_u32_e32 v25, s25, v3
	v_cmp_le_u32_e64 s1, s25, v3
	v_cndmask_b32_e64 v9, v9, v10, s1
	s_delay_alu instid0(VALU_DEP_3) | instskip(SKIP_1) | instid1(VALU_DEP_3)
	v_cndmask_b32_e64 v3, v3, v25, s1
	v_ashrrev_i32_e32 v10, 31, v19
	v_add_nc_u32_e32 v25, 1, v9
	s_delay_alu instid0(VALU_DEP_3) | instskip(NEXT) | instid1(VALU_DEP_3)
	v_cmp_le_u32_e64 s1, s25, v3
	v_xor_b32_e32 v10, s19, v10
	s_delay_alu instid0(VALU_DEP_2) | instskip(NEXT) | instid1(VALU_DEP_1)
	v_cndmask_b32_e64 v3, v9, v25, s1
	v_xor_b32_e32 v3, v3, v10
	s_delay_alu instid0(VALU_DEP_1) | instskip(NEXT) | instid1(VALU_DEP_1)
	v_sub_nc_u32_e32 v3, v3, v10
	v_add_nc_u32_e32 v9, s33, v3
	v_cmp_ge_i32_e64 s4, s45, v3
	s_delay_alu instid0(VALU_DEP_2) | instskip(NEXT) | instid1(VALU_DEP_1)
	v_sub_nc_u32_e32 v10, 0, v9
	v_max_i32_e32 v10, v9, v10
	v_ashrrev_i32_e32 v9, 31, v9
	s_delay_alu instid0(VALU_DEP_2) | instskip(NEXT) | instid1(VALU_DEP_1)
	v_mul_hi_u32 v25, v10, v23
	v_mul_lo_u32 v25, v25, s46
	s_delay_alu instid0(VALU_DEP_1) | instskip(NEXT) | instid1(VALU_DEP_1)
	v_sub_nc_u32_e32 v10, v10, v25
	v_subrev_nc_u32_e32 v25, s46, v10
	v_cmp_le_u32_e64 s1, s46, v10
	s_delay_alu instid0(VALU_DEP_1) | instskip(NEXT) | instid1(VALU_DEP_1)
	v_cndmask_b32_e64 v10, v10, v25, s1
	v_subrev_nc_u32_e32 v25, s46, v10
	v_cmp_le_u32_e64 s1, s46, v10
	s_delay_alu instid0(VALU_DEP_1) | instskip(NEXT) | instid1(VALU_DEP_1)
	v_cndmask_b32_e64 v10, v10, v25, s1
	v_xor_b32_e32 v10, v10, v9
	s_delay_alu instid0(VALU_DEP_1) | instskip(NEXT) | instid1(VALU_DEP_1)
	v_sub_nc_u32_e32 v9, v10, v9
	v_cmp_ne_u32_e64 s1, 0, v9
	s_delay_alu instid0(VALU_DEP_1) | instskip(NEXT) | instid1(SALU_CYCLE_1)
	s_and_b32 s1, s1, s4
	s_and_b32 s49, vcc_lo, s1
	s_delay_alu instid0(SALU_CYCLE_1)
	s_and_saveexec_b32 s4, s49
	s_cbranch_execz .LBB295_15
; %bb.14:                               ;   in Loop: Header=BB295_13 Depth=1
	ds_store_b32 v22, v20
.LBB295_15:                             ;   in Loop: Header=BB295_13 Depth=1
	s_or_b32 exec_lo, exec_lo, s4
	s_xor_b32 s1, s1, -1
	s_delay_alu instid0(SALU_CYCLE_1)
	s_and_saveexec_b32 s4, s1
	s_cbranch_execz .LBB295_12
; %bb.16:                               ;   in Loop: Header=BB295_13 Depth=1
	global_load_b32 v3, v[7:8], off
	v_mov_b32_e32 v26, 0
	s_waitcnt vmcnt(0)
	v_mad_i64_i32 v[9:10], null, v3, s48, v[5:6]
	s_delay_alu instid0(VALU_DEP_1) | instskip(NEXT) | instid1(VALU_DEP_1)
	v_add_co_u32 v9, s1, v9, v17
	v_add_co_ci_u32_e64 v10, s1, 0, v10, s1
	global_load_u16 v3, v[9:10], off
	global_load_b32 v25, v4, s[8:9]
	s_waitcnt vmcnt(1)
	v_and_b32_e32 v27, 0xff, v3
	v_and_b32_e32 v28, 0xffff, v3
	s_delay_alu instid0(VALU_DEP_2) | instskip(SKIP_1) | instid1(VALU_DEP_2)
	v_cmp_ne_u16_e64 s1, 0, v27
	v_mov_b32_e32 v27, 0
	s_and_saveexec_b32 s49, s1
	s_cbranch_execz .LBB295_24
; %bb.17:                               ;   in Loop: Header=BB295_13 Depth=1
	v_and_b32_e32 v3, 0xff, v28
	v_bfrev_b32_e32 v27, 1
	s_mov_b32 s50, exec_lo
	s_delay_alu instid0(VALU_DEP_2)
	v_cmpx_ne_u16_e32 0x80, v3
	s_cbranch_execz .LBB295_23
; %bb.18:                               ;   in Loop: Header=BB295_13 Depth=1
	v_and_b32_e32 v29, 0x7f, v28
	v_mov_b32_e32 v27, 0x7fc02000
	s_mov_b32 s51, exec_lo
	s_delay_alu instid0(VALU_DEP_2)
	v_cmpx_ne_u32_e32 0x7f, v29
	s_cbranch_execz .LBB295_22
; %bb.19:                               ;   in Loop: Header=BB295_13 Depth=1
	v_and_b32_e32 v3, 7, v28
	v_lshrrev_b32_e32 v27, 3, v29
	s_mov_b32 s52, exec_lo
	v_cmpx_gt_u32_e32 8, v29
; %bb.20:                               ;   in Loop: Header=BB295_13 Depth=1
	s_delay_alu instid0(VALU_DEP_3) | instskip(NEXT) | instid1(VALU_DEP_1)
	v_clz_i32_u32_e32 v27, v3
	v_min_u32_e32 v27, 32, v27
	s_delay_alu instid0(VALU_DEP_1) | instskip(SKIP_1) | instid1(VALU_DEP_2)
	v_subrev_nc_u32_e32 v29, 28, v27
	v_sub_nc_u32_e32 v27, 29, v27
	v_lshlrev_b64 v[29:30], v29, v[3:4]
	s_delay_alu instid0(VALU_DEP_1)
	v_and_b32_e32 v3, 7, v29
; %bb.21:                               ;   in Loop: Header=BB295_13 Depth=1
	s_or_b32 exec_lo, exec_lo, s52
	v_lshlrev_b32_e32 v29, 8, v28
	v_lshl_add_u32 v27, v27, 10, 0x2000
	s_delay_alu instid0(VALU_DEP_1) | instskip(NEXT) | instid1(VALU_DEP_1)
	v_and_or_b32 v27, 0x8000, v29, v27
	v_lshl_or_b32 v3, v3, 7, v27
	s_delay_alu instid0(VALU_DEP_1)
	v_cvt_f32_f16_e32 v27, v3
.LBB295_22:                             ;   in Loop: Header=BB295_13 Depth=1
	s_or_b32 exec_lo, exec_lo, s51
.LBB295_23:                             ;   in Loop: Header=BB295_13 Depth=1
	s_delay_alu instid0(SALU_CYCLE_1)
	s_or_b32 exec_lo, exec_lo, s50
.LBB295_24:                             ;   in Loop: Header=BB295_13 Depth=1
	s_delay_alu instid0(SALU_CYCLE_1) | instskip(SKIP_2) | instid1(VALU_DEP_1)
	s_or_b32 exec_lo, exec_lo, s49
	v_lshrrev_b16 v3, 8, v28
	s_mov_b32 s49, exec_lo
	v_cmpx_ne_u16_e32 0, v3
	s_cbranch_execz .LBB295_32
; %bb.25:                               ;   in Loop: Header=BB295_13 Depth=1
	v_bfrev_b32_e32 v26, 1
	s_mov_b32 s50, exec_lo
	v_cmpx_ne_u16_e32 0x80, v3
	s_cbranch_execz .LBB295_31
; %bb.26:                               ;   in Loop: Header=BB295_13 Depth=1
	v_and_b32_e32 v28, 0xffff, v3
	v_mov_b32_e32 v26, 0x7fc02000
	s_mov_b32 s51, exec_lo
	s_delay_alu instid0(VALU_DEP_2) | instskip(NEXT) | instid1(VALU_DEP_1)
	v_and_b32_e32 v29, 0x7f, v28
	v_cmpx_ne_u32_e32 0x7f, v29
	s_cbranch_execz .LBB295_30
; %bb.27:                               ;   in Loop: Header=BB295_13 Depth=1
	v_and_b32_e32 v3, 7, v28
	v_lshrrev_b32_e32 v26, 3, v29
	s_mov_b32 s52, exec_lo
	v_cmpx_gt_u32_e32 8, v29
; %bb.28:                               ;   in Loop: Header=BB295_13 Depth=1
	s_delay_alu instid0(VALU_DEP_3) | instskip(NEXT) | instid1(VALU_DEP_1)
	v_clz_i32_u32_e32 v26, v3
	v_min_u32_e32 v26, 32, v26
	s_delay_alu instid0(VALU_DEP_1) | instskip(SKIP_1) | instid1(VALU_DEP_2)
	v_subrev_nc_u32_e32 v29, 28, v26
	v_sub_nc_u32_e32 v26, 29, v26
	v_lshlrev_b64 v[29:30], v29, v[3:4]
	s_delay_alu instid0(VALU_DEP_1)
	v_and_b32_e32 v3, 7, v29
; %bb.29:                               ;   in Loop: Header=BB295_13 Depth=1
	s_or_b32 exec_lo, exec_lo, s52
	v_lshlrev_b32_e32 v28, 8, v28
	v_lshl_add_u32 v26, v26, 10, 0x2000
	s_delay_alu instid0(VALU_DEP_1) | instskip(NEXT) | instid1(VALU_DEP_1)
	v_and_or_b32 v26, 0x8000, v28, v26
	v_lshl_or_b32 v3, v3, 7, v26
	s_delay_alu instid0(VALU_DEP_1)
	v_cvt_f32_f16_e32 v26, v3
.LBB295_30:                             ;   in Loop: Header=BB295_13 Depth=1
	s_or_b32 exec_lo, exec_lo, s51
.LBB295_31:                             ;   in Loop: Header=BB295_13 Depth=1
	s_delay_alu instid0(SALU_CYCLE_1)
	s_or_b32 exec_lo, exec_lo, s50
.LBB295_32:                             ;   in Loop: Header=BB295_13 Depth=1
	s_delay_alu instid0(SALU_CYCLE_1) | instskip(SKIP_4) | instid1(VALU_DEP_2)
	s_or_b32 exec_lo, exec_lo, s49
	global_load_u16 v3, v[9:10], off offset:8
	s_waitcnt vmcnt(0)
	v_dual_mov_b32 v28, 0 :: v_dual_and_b32 v29, 0xff, v3
	v_and_b32_e32 v30, 0xffff, v3
	v_cmp_ne_u16_e64 s1, 0, v29
	v_mov_b32_e32 v29, 0
	s_delay_alu instid0(VALU_DEP_2)
	s_and_saveexec_b32 s49, s1
	s_cbranch_execz .LBB295_40
; %bb.33:                               ;   in Loop: Header=BB295_13 Depth=1
	v_and_b32_e32 v3, 0xff, v30
	v_bfrev_b32_e32 v29, 1
	s_mov_b32 s50, exec_lo
	s_delay_alu instid0(VALU_DEP_2)
	v_cmpx_ne_u16_e32 0x80, v3
	s_cbranch_execz .LBB295_39
; %bb.34:                               ;   in Loop: Header=BB295_13 Depth=1
	v_and_b32_e32 v31, 0x7f, v30
	v_mov_b32_e32 v29, 0x7fc02000
	s_mov_b32 s51, exec_lo
	s_delay_alu instid0(VALU_DEP_2)
	v_cmpx_ne_u32_e32 0x7f, v31
	s_cbranch_execz .LBB295_38
; %bb.35:                               ;   in Loop: Header=BB295_13 Depth=1
	v_and_b32_e32 v3, 7, v30
	v_lshrrev_b32_e32 v29, 3, v31
	s_mov_b32 s52, exec_lo
	v_cmpx_gt_u32_e32 8, v31
; %bb.36:                               ;   in Loop: Header=BB295_13 Depth=1
	s_delay_alu instid0(VALU_DEP_3) | instskip(NEXT) | instid1(VALU_DEP_1)
	v_clz_i32_u32_e32 v29, v3
	v_min_u32_e32 v29, 32, v29
	s_delay_alu instid0(VALU_DEP_1) | instskip(SKIP_1) | instid1(VALU_DEP_2)
	v_subrev_nc_u32_e32 v31, 28, v29
	v_sub_nc_u32_e32 v29, 29, v29
	v_lshlrev_b64 v[31:32], v31, v[3:4]
	s_delay_alu instid0(VALU_DEP_1)
	v_and_b32_e32 v3, 7, v31
; %bb.37:                               ;   in Loop: Header=BB295_13 Depth=1
	s_or_b32 exec_lo, exec_lo, s52
	v_lshlrev_b32_e32 v31, 8, v30
	v_lshl_add_u32 v29, v29, 10, 0x2000
	s_delay_alu instid0(VALU_DEP_1) | instskip(NEXT) | instid1(VALU_DEP_1)
	v_and_or_b32 v29, 0x8000, v31, v29
	v_lshl_or_b32 v3, v3, 7, v29
	s_delay_alu instid0(VALU_DEP_1)
	v_cvt_f32_f16_e32 v29, v3
.LBB295_38:                             ;   in Loop: Header=BB295_13 Depth=1
	s_or_b32 exec_lo, exec_lo, s51
.LBB295_39:                             ;   in Loop: Header=BB295_13 Depth=1
	s_delay_alu instid0(SALU_CYCLE_1)
	s_or_b32 exec_lo, exec_lo, s50
.LBB295_40:                             ;   in Loop: Header=BB295_13 Depth=1
	s_delay_alu instid0(SALU_CYCLE_1) | instskip(SKIP_2) | instid1(VALU_DEP_1)
	s_or_b32 exec_lo, exec_lo, s49
	v_lshrrev_b16 v3, 8, v30
	s_mov_b32 s49, exec_lo
	v_cmpx_ne_u16_e32 0, v3
	s_cbranch_execz .LBB295_48
; %bb.41:                               ;   in Loop: Header=BB295_13 Depth=1
	v_bfrev_b32_e32 v28, 1
	s_mov_b32 s50, exec_lo
	v_cmpx_ne_u16_e32 0x80, v3
	s_cbranch_execz .LBB295_47
; %bb.42:                               ;   in Loop: Header=BB295_13 Depth=1
	v_and_b32_e32 v30, 0xffff, v3
	v_mov_b32_e32 v28, 0x7fc02000
	s_mov_b32 s51, exec_lo
	s_delay_alu instid0(VALU_DEP_2) | instskip(NEXT) | instid1(VALU_DEP_1)
	v_and_b32_e32 v31, 0x7f, v30
	v_cmpx_ne_u32_e32 0x7f, v31
	s_cbranch_execz .LBB295_46
; %bb.43:                               ;   in Loop: Header=BB295_13 Depth=1
	v_and_b32_e32 v3, 7, v30
	v_lshrrev_b32_e32 v28, 3, v31
	s_mov_b32 s52, exec_lo
	v_cmpx_gt_u32_e32 8, v31
; %bb.44:                               ;   in Loop: Header=BB295_13 Depth=1
	s_delay_alu instid0(VALU_DEP_3) | instskip(NEXT) | instid1(VALU_DEP_1)
	v_clz_i32_u32_e32 v28, v3
	v_min_u32_e32 v28, 32, v28
	s_delay_alu instid0(VALU_DEP_1) | instskip(SKIP_1) | instid1(VALU_DEP_2)
	v_subrev_nc_u32_e32 v31, 28, v28
	v_sub_nc_u32_e32 v28, 29, v28
	v_lshlrev_b64 v[31:32], v31, v[3:4]
	s_delay_alu instid0(VALU_DEP_1)
	v_and_b32_e32 v3, 7, v31
; %bb.45:                               ;   in Loop: Header=BB295_13 Depth=1
	s_or_b32 exec_lo, exec_lo, s52
	v_lshlrev_b32_e32 v30, 8, v30
	v_lshl_add_u32 v28, v28, 10, 0x2000
	s_delay_alu instid0(VALU_DEP_1) | instskip(NEXT) | instid1(VALU_DEP_1)
	v_and_or_b32 v28, 0x8000, v30, v28
	v_lshl_or_b32 v3, v3, 7, v28
	s_delay_alu instid0(VALU_DEP_1)
	v_cvt_f32_f16_e32 v28, v3
.LBB295_46:                             ;   in Loop: Header=BB295_13 Depth=1
	s_or_b32 exec_lo, exec_lo, s51
.LBB295_47:                             ;   in Loop: Header=BB295_13 Depth=1
	s_delay_alu instid0(SALU_CYCLE_1)
	s_or_b32 exec_lo, exec_lo, s50
.LBB295_48:                             ;   in Loop: Header=BB295_13 Depth=1
	s_delay_alu instid0(SALU_CYCLE_1) | instskip(SKIP_4) | instid1(VALU_DEP_2)
	s_or_b32 exec_lo, exec_lo, s49
	global_load_u16 v3, v[9:10], off offset:128
	s_waitcnt vmcnt(0)
	v_dual_mov_b32 v30, 0 :: v_dual_and_b32 v31, 0xff, v3
	v_and_b32_e32 v32, 0xffff, v3
	v_cmp_ne_u16_e64 s1, 0, v31
	v_mov_b32_e32 v31, 0
	s_delay_alu instid0(VALU_DEP_2)
	s_and_saveexec_b32 s49, s1
	s_cbranch_execz .LBB295_56
; %bb.49:                               ;   in Loop: Header=BB295_13 Depth=1
	v_and_b32_e32 v3, 0xff, v32
	v_bfrev_b32_e32 v31, 1
	s_mov_b32 s50, exec_lo
	s_delay_alu instid0(VALU_DEP_2)
	v_cmpx_ne_u16_e32 0x80, v3
	s_cbranch_execz .LBB295_55
; %bb.50:                               ;   in Loop: Header=BB295_13 Depth=1
	v_and_b32_e32 v33, 0x7f, v32
	v_mov_b32_e32 v31, 0x7fc02000
	s_mov_b32 s51, exec_lo
	s_delay_alu instid0(VALU_DEP_2)
	v_cmpx_ne_u32_e32 0x7f, v33
	s_cbranch_execz .LBB295_54
; %bb.51:                               ;   in Loop: Header=BB295_13 Depth=1
	v_and_b32_e32 v3, 7, v32
	v_lshrrev_b32_e32 v31, 3, v33
	s_mov_b32 s52, exec_lo
	v_cmpx_gt_u32_e32 8, v33
; %bb.52:                               ;   in Loop: Header=BB295_13 Depth=1
	s_delay_alu instid0(VALU_DEP_3) | instskip(NEXT) | instid1(VALU_DEP_1)
	v_clz_i32_u32_e32 v31, v3
	v_min_u32_e32 v31, 32, v31
	s_delay_alu instid0(VALU_DEP_1) | instskip(SKIP_1) | instid1(VALU_DEP_2)
	v_subrev_nc_u32_e32 v33, 28, v31
	v_sub_nc_u32_e32 v31, 29, v31
	v_lshlrev_b64 v[33:34], v33, v[3:4]
	s_delay_alu instid0(VALU_DEP_1)
	v_and_b32_e32 v3, 7, v33
; %bb.53:                               ;   in Loop: Header=BB295_13 Depth=1
	s_or_b32 exec_lo, exec_lo, s52
	v_lshlrev_b32_e32 v33, 8, v32
	v_lshl_add_u32 v31, v31, 10, 0x2000
	s_delay_alu instid0(VALU_DEP_1) | instskip(NEXT) | instid1(VALU_DEP_1)
	v_and_or_b32 v31, 0x8000, v33, v31
	v_lshl_or_b32 v3, v3, 7, v31
	s_delay_alu instid0(VALU_DEP_1)
	v_cvt_f32_f16_e32 v31, v3
.LBB295_54:                             ;   in Loop: Header=BB295_13 Depth=1
	s_or_b32 exec_lo, exec_lo, s51
.LBB295_55:                             ;   in Loop: Header=BB295_13 Depth=1
	s_delay_alu instid0(SALU_CYCLE_1)
	s_or_b32 exec_lo, exec_lo, s50
.LBB295_56:                             ;   in Loop: Header=BB295_13 Depth=1
	s_delay_alu instid0(SALU_CYCLE_1) | instskip(SKIP_2) | instid1(VALU_DEP_1)
	s_or_b32 exec_lo, exec_lo, s49
	v_lshrrev_b16 v3, 8, v32
	s_mov_b32 s49, exec_lo
	v_cmpx_ne_u16_e32 0, v3
	s_cbranch_execz .LBB295_64
; %bb.57:                               ;   in Loop: Header=BB295_13 Depth=1
	v_bfrev_b32_e32 v30, 1
	s_mov_b32 s50, exec_lo
	v_cmpx_ne_u16_e32 0x80, v3
	s_cbranch_execz .LBB295_63
; %bb.58:                               ;   in Loop: Header=BB295_13 Depth=1
	v_and_b32_e32 v32, 0xffff, v3
	v_mov_b32_e32 v30, 0x7fc02000
	s_mov_b32 s51, exec_lo
	s_delay_alu instid0(VALU_DEP_2) | instskip(NEXT) | instid1(VALU_DEP_1)
	v_and_b32_e32 v33, 0x7f, v32
	v_cmpx_ne_u32_e32 0x7f, v33
	s_cbranch_execz .LBB295_62
; %bb.59:                               ;   in Loop: Header=BB295_13 Depth=1
	v_and_b32_e32 v3, 7, v32
	v_lshrrev_b32_e32 v30, 3, v33
	s_mov_b32 s52, exec_lo
	v_cmpx_gt_u32_e32 8, v33
; %bb.60:                               ;   in Loop: Header=BB295_13 Depth=1
	s_delay_alu instid0(VALU_DEP_3) | instskip(NEXT) | instid1(VALU_DEP_1)
	v_clz_i32_u32_e32 v30, v3
	v_min_u32_e32 v30, 32, v30
	s_delay_alu instid0(VALU_DEP_1) | instskip(SKIP_1) | instid1(VALU_DEP_2)
	v_subrev_nc_u32_e32 v33, 28, v30
	v_sub_nc_u32_e32 v30, 29, v30
	v_lshlrev_b64 v[33:34], v33, v[3:4]
	s_delay_alu instid0(VALU_DEP_1)
	v_and_b32_e32 v3, 7, v33
; %bb.61:                               ;   in Loop: Header=BB295_13 Depth=1
	s_or_b32 exec_lo, exec_lo, s52
	v_lshlrev_b32_e32 v32, 8, v32
	v_lshl_add_u32 v30, v30, 10, 0x2000
	s_delay_alu instid0(VALU_DEP_1) | instskip(NEXT) | instid1(VALU_DEP_1)
	v_and_or_b32 v30, 0x8000, v32, v30
	v_lshl_or_b32 v3, v3, 7, v30
	s_delay_alu instid0(VALU_DEP_1)
	v_cvt_f32_f16_e32 v30, v3
.LBB295_62:                             ;   in Loop: Header=BB295_13 Depth=1
	s_or_b32 exec_lo, exec_lo, s51
.LBB295_63:                             ;   in Loop: Header=BB295_13 Depth=1
	s_delay_alu instid0(SALU_CYCLE_1)
	s_or_b32 exec_lo, exec_lo, s50
.LBB295_64:                             ;   in Loop: Header=BB295_13 Depth=1
	s_delay_alu instid0(SALU_CYCLE_1) | instskip(SKIP_4) | instid1(VALU_DEP_2)
	s_or_b32 exec_lo, exec_lo, s49
	global_load_u16 v3, v[9:10], off offset:136
	s_waitcnt vmcnt(0)
	v_dual_mov_b32 v32, 0 :: v_dual_and_b32 v33, 0xff, v3
	v_and_b32_e32 v34, 0xffff, v3
	v_cmp_ne_u16_e64 s1, 0, v33
	v_mov_b32_e32 v33, 0
	s_delay_alu instid0(VALU_DEP_2)
	s_and_saveexec_b32 s49, s1
	s_cbranch_execz .LBB295_72
; %bb.65:                               ;   in Loop: Header=BB295_13 Depth=1
	v_and_b32_e32 v3, 0xff, v34
	v_bfrev_b32_e32 v33, 1
	s_mov_b32 s50, exec_lo
	s_delay_alu instid0(VALU_DEP_2)
	v_cmpx_ne_u16_e32 0x80, v3
	s_cbranch_execz .LBB295_71
; %bb.66:                               ;   in Loop: Header=BB295_13 Depth=1
	v_and_b32_e32 v35, 0x7f, v34
	v_mov_b32_e32 v33, 0x7fc02000
	s_mov_b32 s51, exec_lo
	s_delay_alu instid0(VALU_DEP_2)
	v_cmpx_ne_u32_e32 0x7f, v35
	s_cbranch_execz .LBB295_70
; %bb.67:                               ;   in Loop: Header=BB295_13 Depth=1
	v_and_b32_e32 v3, 7, v34
	v_lshrrev_b32_e32 v33, 3, v35
	s_mov_b32 s52, exec_lo
	v_cmpx_gt_u32_e32 8, v35
; %bb.68:                               ;   in Loop: Header=BB295_13 Depth=1
	s_delay_alu instid0(VALU_DEP_3) | instskip(NEXT) | instid1(VALU_DEP_1)
	v_clz_i32_u32_e32 v33, v3
	v_min_u32_e32 v33, 32, v33
	s_delay_alu instid0(VALU_DEP_1) | instskip(SKIP_1) | instid1(VALU_DEP_2)
	v_subrev_nc_u32_e32 v35, 28, v33
	v_sub_nc_u32_e32 v33, 29, v33
	v_lshlrev_b64 v[35:36], v35, v[3:4]
	s_delay_alu instid0(VALU_DEP_1)
	v_and_b32_e32 v3, 7, v35
; %bb.69:                               ;   in Loop: Header=BB295_13 Depth=1
	s_or_b32 exec_lo, exec_lo, s52
	v_lshlrev_b32_e32 v35, 8, v34
	v_lshl_add_u32 v33, v33, 10, 0x2000
	s_delay_alu instid0(VALU_DEP_1) | instskip(NEXT) | instid1(VALU_DEP_1)
	v_and_or_b32 v33, 0x8000, v35, v33
	v_lshl_or_b32 v3, v3, 7, v33
	s_delay_alu instid0(VALU_DEP_1)
	v_cvt_f32_f16_e32 v33, v3
.LBB295_70:                             ;   in Loop: Header=BB295_13 Depth=1
	s_or_b32 exec_lo, exec_lo, s51
.LBB295_71:                             ;   in Loop: Header=BB295_13 Depth=1
	s_delay_alu instid0(SALU_CYCLE_1)
	s_or_b32 exec_lo, exec_lo, s50
.LBB295_72:                             ;   in Loop: Header=BB295_13 Depth=1
	s_delay_alu instid0(SALU_CYCLE_1) | instskip(SKIP_2) | instid1(VALU_DEP_1)
	s_or_b32 exec_lo, exec_lo, s49
	v_lshrrev_b16 v3, 8, v34
	s_mov_b32 s49, exec_lo
	v_cmpx_ne_u16_e32 0, v3
	s_cbranch_execz .LBB295_80
; %bb.73:                               ;   in Loop: Header=BB295_13 Depth=1
	v_bfrev_b32_e32 v32, 1
	s_mov_b32 s50, exec_lo
	v_cmpx_ne_u16_e32 0x80, v3
	s_cbranch_execz .LBB295_79
; %bb.74:                               ;   in Loop: Header=BB295_13 Depth=1
	v_and_b32_e32 v34, 0xffff, v3
	v_mov_b32_e32 v32, 0x7fc02000
	s_mov_b32 s51, exec_lo
	s_delay_alu instid0(VALU_DEP_2) | instskip(NEXT) | instid1(VALU_DEP_1)
	v_and_b32_e32 v35, 0x7f, v34
	v_cmpx_ne_u32_e32 0x7f, v35
	s_cbranch_execz .LBB295_78
; %bb.75:                               ;   in Loop: Header=BB295_13 Depth=1
	v_and_b32_e32 v3, 7, v34
	v_lshrrev_b32_e32 v32, 3, v35
	s_mov_b32 s52, exec_lo
	v_cmpx_gt_u32_e32 8, v35
; %bb.76:                               ;   in Loop: Header=BB295_13 Depth=1
	s_delay_alu instid0(VALU_DEP_3) | instskip(NEXT) | instid1(VALU_DEP_1)
	v_clz_i32_u32_e32 v32, v3
	v_min_u32_e32 v32, 32, v32
	s_delay_alu instid0(VALU_DEP_1) | instskip(SKIP_1) | instid1(VALU_DEP_2)
	v_subrev_nc_u32_e32 v35, 28, v32
	v_sub_nc_u32_e32 v32, 29, v32
	v_lshlrev_b64 v[35:36], v35, v[3:4]
	s_delay_alu instid0(VALU_DEP_1)
	v_and_b32_e32 v3, 7, v35
; %bb.77:                               ;   in Loop: Header=BB295_13 Depth=1
	s_or_b32 exec_lo, exec_lo, s52
	v_lshlrev_b32_e32 v34, 8, v34
	v_lshl_add_u32 v32, v32, 10, 0x2000
	s_delay_alu instid0(VALU_DEP_1) | instskip(NEXT) | instid1(VALU_DEP_1)
	v_and_or_b32 v32, 0x8000, v34, v32
	v_lshl_or_b32 v3, v3, 7, v32
	s_delay_alu instid0(VALU_DEP_1)
	v_cvt_f32_f16_e32 v32, v3
.LBB295_78:                             ;   in Loop: Header=BB295_13 Depth=1
	s_or_b32 exec_lo, exec_lo, s51
.LBB295_79:                             ;   in Loop: Header=BB295_13 Depth=1
	s_delay_alu instid0(SALU_CYCLE_1)
	s_or_b32 exec_lo, exec_lo, s50
.LBB295_80:                             ;   in Loop: Header=BB295_13 Depth=1
	s_delay_alu instid0(SALU_CYCLE_1) | instskip(SKIP_4) | instid1(VALU_DEP_2)
	s_or_b32 exec_lo, exec_lo, s49
	global_load_u16 v3, v[9:10], off offset:256
	s_waitcnt vmcnt(0)
	v_dual_mov_b32 v34, 0 :: v_dual_and_b32 v35, 0xff, v3
	v_and_b32_e32 v36, 0xffff, v3
	v_cmp_ne_u16_e64 s1, 0, v35
	v_mov_b32_e32 v35, 0
	s_delay_alu instid0(VALU_DEP_2)
	s_and_saveexec_b32 s49, s1
	s_cbranch_execz .LBB295_88
; %bb.81:                               ;   in Loop: Header=BB295_13 Depth=1
	v_and_b32_e32 v3, 0xff, v36
	v_bfrev_b32_e32 v35, 1
	s_mov_b32 s50, exec_lo
	s_delay_alu instid0(VALU_DEP_2)
	v_cmpx_ne_u16_e32 0x80, v3
	s_cbranch_execz .LBB295_87
; %bb.82:                               ;   in Loop: Header=BB295_13 Depth=1
	v_and_b32_e32 v37, 0x7f, v36
	v_mov_b32_e32 v35, 0x7fc02000
	s_mov_b32 s51, exec_lo
	s_delay_alu instid0(VALU_DEP_2)
	v_cmpx_ne_u32_e32 0x7f, v37
	s_cbranch_execz .LBB295_86
; %bb.83:                               ;   in Loop: Header=BB295_13 Depth=1
	v_and_b32_e32 v3, 7, v36
	v_lshrrev_b32_e32 v35, 3, v37
	s_mov_b32 s52, exec_lo
	v_cmpx_gt_u32_e32 8, v37
; %bb.84:                               ;   in Loop: Header=BB295_13 Depth=1
	s_delay_alu instid0(VALU_DEP_3) | instskip(NEXT) | instid1(VALU_DEP_1)
	v_clz_i32_u32_e32 v35, v3
	v_min_u32_e32 v35, 32, v35
	s_delay_alu instid0(VALU_DEP_1) | instskip(SKIP_1) | instid1(VALU_DEP_2)
	v_subrev_nc_u32_e32 v37, 28, v35
	v_sub_nc_u32_e32 v35, 29, v35
	v_lshlrev_b64 v[37:38], v37, v[3:4]
	s_delay_alu instid0(VALU_DEP_1)
	v_and_b32_e32 v3, 7, v37
; %bb.85:                               ;   in Loop: Header=BB295_13 Depth=1
	s_or_b32 exec_lo, exec_lo, s52
	v_lshlrev_b32_e32 v37, 8, v36
	v_lshl_add_u32 v35, v35, 10, 0x2000
	s_delay_alu instid0(VALU_DEP_1) | instskip(NEXT) | instid1(VALU_DEP_1)
	v_and_or_b32 v35, 0x8000, v37, v35
	v_lshl_or_b32 v3, v3, 7, v35
	s_delay_alu instid0(VALU_DEP_1)
	v_cvt_f32_f16_e32 v35, v3
.LBB295_86:                             ;   in Loop: Header=BB295_13 Depth=1
	s_or_b32 exec_lo, exec_lo, s51
.LBB295_87:                             ;   in Loop: Header=BB295_13 Depth=1
	s_delay_alu instid0(SALU_CYCLE_1)
	s_or_b32 exec_lo, exec_lo, s50
.LBB295_88:                             ;   in Loop: Header=BB295_13 Depth=1
	s_delay_alu instid0(SALU_CYCLE_1) | instskip(SKIP_2) | instid1(VALU_DEP_1)
	s_or_b32 exec_lo, exec_lo, s49
	v_lshrrev_b16 v3, 8, v36
	s_mov_b32 s49, exec_lo
	v_cmpx_ne_u16_e32 0, v3
	s_cbranch_execz .LBB295_96
; %bb.89:                               ;   in Loop: Header=BB295_13 Depth=1
	v_bfrev_b32_e32 v34, 1
	s_mov_b32 s50, exec_lo
	v_cmpx_ne_u16_e32 0x80, v3
	s_cbranch_execz .LBB295_95
; %bb.90:                               ;   in Loop: Header=BB295_13 Depth=1
	v_and_b32_e32 v36, 0xffff, v3
	v_mov_b32_e32 v34, 0x7fc02000
	s_mov_b32 s51, exec_lo
	s_delay_alu instid0(VALU_DEP_2) | instskip(NEXT) | instid1(VALU_DEP_1)
	v_and_b32_e32 v37, 0x7f, v36
	v_cmpx_ne_u32_e32 0x7f, v37
	s_cbranch_execz .LBB295_94
; %bb.91:                               ;   in Loop: Header=BB295_13 Depth=1
	v_and_b32_e32 v3, 7, v36
	v_lshrrev_b32_e32 v34, 3, v37
	s_mov_b32 s52, exec_lo
	v_cmpx_gt_u32_e32 8, v37
; %bb.92:                               ;   in Loop: Header=BB295_13 Depth=1
	s_delay_alu instid0(VALU_DEP_3) | instskip(NEXT) | instid1(VALU_DEP_1)
	v_clz_i32_u32_e32 v34, v3
	v_min_u32_e32 v34, 32, v34
	s_delay_alu instid0(VALU_DEP_1) | instskip(SKIP_1) | instid1(VALU_DEP_2)
	v_subrev_nc_u32_e32 v37, 28, v34
	v_sub_nc_u32_e32 v34, 29, v34
	v_lshlrev_b64 v[37:38], v37, v[3:4]
	s_delay_alu instid0(VALU_DEP_1)
	v_and_b32_e32 v3, 7, v37
; %bb.93:                               ;   in Loop: Header=BB295_13 Depth=1
	s_or_b32 exec_lo, exec_lo, s52
	v_lshlrev_b32_e32 v36, 8, v36
	v_lshl_add_u32 v34, v34, 10, 0x2000
	s_delay_alu instid0(VALU_DEP_1) | instskip(NEXT) | instid1(VALU_DEP_1)
	v_and_or_b32 v34, 0x8000, v36, v34
	v_lshl_or_b32 v3, v3, 7, v34
	s_delay_alu instid0(VALU_DEP_1)
	v_cvt_f32_f16_e32 v34, v3
.LBB295_94:                             ;   in Loop: Header=BB295_13 Depth=1
	s_or_b32 exec_lo, exec_lo, s51
.LBB295_95:                             ;   in Loop: Header=BB295_13 Depth=1
	s_delay_alu instid0(SALU_CYCLE_1)
	s_or_b32 exec_lo, exec_lo, s50
.LBB295_96:                             ;   in Loop: Header=BB295_13 Depth=1
	s_delay_alu instid0(SALU_CYCLE_1) | instskip(SKIP_4) | instid1(VALU_DEP_2)
	s_or_b32 exec_lo, exec_lo, s49
	global_load_u16 v3, v[9:10], off offset:264
	s_waitcnt vmcnt(0)
	v_dual_mov_b32 v36, 0 :: v_dual_and_b32 v37, 0xff, v3
	v_and_b32_e32 v38, 0xffff, v3
	v_cmp_ne_u16_e64 s1, 0, v37
	v_mov_b32_e32 v37, 0
	s_delay_alu instid0(VALU_DEP_2)
	s_and_saveexec_b32 s49, s1
	s_cbranch_execz .LBB295_104
; %bb.97:                               ;   in Loop: Header=BB295_13 Depth=1
	v_and_b32_e32 v3, 0xff, v38
	v_bfrev_b32_e32 v37, 1
	s_mov_b32 s50, exec_lo
	s_delay_alu instid0(VALU_DEP_2)
	v_cmpx_ne_u16_e32 0x80, v3
	s_cbranch_execz .LBB295_103
; %bb.98:                               ;   in Loop: Header=BB295_13 Depth=1
	v_and_b32_e32 v39, 0x7f, v38
	v_mov_b32_e32 v37, 0x7fc02000
	s_mov_b32 s51, exec_lo
	s_delay_alu instid0(VALU_DEP_2)
	v_cmpx_ne_u32_e32 0x7f, v39
	s_cbranch_execz .LBB295_102
; %bb.99:                               ;   in Loop: Header=BB295_13 Depth=1
	v_and_b32_e32 v3, 7, v38
	v_lshrrev_b32_e32 v37, 3, v39
	s_mov_b32 s52, exec_lo
	v_cmpx_gt_u32_e32 8, v39
; %bb.100:                              ;   in Loop: Header=BB295_13 Depth=1
	s_delay_alu instid0(VALU_DEP_3) | instskip(NEXT) | instid1(VALU_DEP_1)
	v_clz_i32_u32_e32 v37, v3
	v_min_u32_e32 v37, 32, v37
	s_delay_alu instid0(VALU_DEP_1) | instskip(SKIP_1) | instid1(VALU_DEP_2)
	v_subrev_nc_u32_e32 v39, 28, v37
	v_sub_nc_u32_e32 v37, 29, v37
	v_lshlrev_b64 v[39:40], v39, v[3:4]
	s_delay_alu instid0(VALU_DEP_1)
	v_and_b32_e32 v3, 7, v39
; %bb.101:                              ;   in Loop: Header=BB295_13 Depth=1
	s_or_b32 exec_lo, exec_lo, s52
	v_lshlrev_b32_e32 v39, 8, v38
	v_lshl_add_u32 v37, v37, 10, 0x2000
	s_delay_alu instid0(VALU_DEP_1) | instskip(NEXT) | instid1(VALU_DEP_1)
	v_and_or_b32 v37, 0x8000, v39, v37
	v_lshl_or_b32 v3, v3, 7, v37
	s_delay_alu instid0(VALU_DEP_1)
	v_cvt_f32_f16_e32 v37, v3
.LBB295_102:                            ;   in Loop: Header=BB295_13 Depth=1
	s_or_b32 exec_lo, exec_lo, s51
.LBB295_103:                            ;   in Loop: Header=BB295_13 Depth=1
	s_delay_alu instid0(SALU_CYCLE_1)
	s_or_b32 exec_lo, exec_lo, s50
.LBB295_104:                            ;   in Loop: Header=BB295_13 Depth=1
	s_delay_alu instid0(SALU_CYCLE_1) | instskip(SKIP_2) | instid1(VALU_DEP_1)
	s_or_b32 exec_lo, exec_lo, s49
	v_lshrrev_b16 v3, 8, v38
	s_mov_b32 s49, exec_lo
	v_cmpx_ne_u16_e32 0, v3
	s_cbranch_execz .LBB295_112
; %bb.105:                              ;   in Loop: Header=BB295_13 Depth=1
	v_bfrev_b32_e32 v36, 1
	s_mov_b32 s50, exec_lo
	v_cmpx_ne_u16_e32 0x80, v3
	s_cbranch_execz .LBB295_111
; %bb.106:                              ;   in Loop: Header=BB295_13 Depth=1
	v_and_b32_e32 v38, 0xffff, v3
	v_mov_b32_e32 v36, 0x7fc02000
	s_mov_b32 s51, exec_lo
	s_delay_alu instid0(VALU_DEP_2) | instskip(NEXT) | instid1(VALU_DEP_1)
	v_and_b32_e32 v39, 0x7f, v38
	v_cmpx_ne_u32_e32 0x7f, v39
	s_cbranch_execz .LBB295_110
; %bb.107:                              ;   in Loop: Header=BB295_13 Depth=1
	v_and_b32_e32 v3, 7, v38
	v_lshrrev_b32_e32 v36, 3, v39
	s_mov_b32 s52, exec_lo
	v_cmpx_gt_u32_e32 8, v39
; %bb.108:                              ;   in Loop: Header=BB295_13 Depth=1
	s_delay_alu instid0(VALU_DEP_3) | instskip(NEXT) | instid1(VALU_DEP_1)
	v_clz_i32_u32_e32 v36, v3
	v_min_u32_e32 v36, 32, v36
	s_delay_alu instid0(VALU_DEP_1) | instskip(SKIP_1) | instid1(VALU_DEP_2)
	v_subrev_nc_u32_e32 v39, 28, v36
	v_sub_nc_u32_e32 v36, 29, v36
	v_lshlrev_b64 v[39:40], v39, v[3:4]
	s_delay_alu instid0(VALU_DEP_1)
	v_and_b32_e32 v3, 7, v39
; %bb.109:                              ;   in Loop: Header=BB295_13 Depth=1
	s_or_b32 exec_lo, exec_lo, s52
	v_lshlrev_b32_e32 v38, 8, v38
	v_lshl_add_u32 v36, v36, 10, 0x2000
	s_delay_alu instid0(VALU_DEP_1) | instskip(NEXT) | instid1(VALU_DEP_1)
	v_and_or_b32 v36, 0x8000, v38, v36
	v_lshl_or_b32 v3, v3, 7, v36
	s_delay_alu instid0(VALU_DEP_1)
	v_cvt_f32_f16_e32 v36, v3
.LBB295_110:                            ;   in Loop: Header=BB295_13 Depth=1
	s_or_b32 exec_lo, exec_lo, s51
.LBB295_111:                            ;   in Loop: Header=BB295_13 Depth=1
	s_delay_alu instid0(SALU_CYCLE_1)
	s_or_b32 exec_lo, exec_lo, s50
.LBB295_112:                            ;   in Loop: Header=BB295_13 Depth=1
	s_delay_alu instid0(SALU_CYCLE_1) | instskip(SKIP_4) | instid1(VALU_DEP_2)
	s_or_b32 exec_lo, exec_lo, s49
	global_load_u16 v3, v[9:10], off offset:384
	s_waitcnt vmcnt(0)
	v_dual_mov_b32 v38, 0 :: v_dual_and_b32 v39, 0xff, v3
	v_and_b32_e32 v40, 0xffff, v3
	v_cmp_ne_u16_e64 s1, 0, v39
	v_mov_b32_e32 v39, 0
	s_delay_alu instid0(VALU_DEP_2)
	s_and_saveexec_b32 s49, s1
	s_cbranch_execz .LBB295_120
; %bb.113:                              ;   in Loop: Header=BB295_13 Depth=1
	v_and_b32_e32 v3, 0xff, v40
	v_bfrev_b32_e32 v39, 1
	s_mov_b32 s50, exec_lo
	s_delay_alu instid0(VALU_DEP_2)
	v_cmpx_ne_u16_e32 0x80, v3
	s_cbranch_execz .LBB295_119
; %bb.114:                              ;   in Loop: Header=BB295_13 Depth=1
	v_and_b32_e32 v41, 0x7f, v40
	v_mov_b32_e32 v39, 0x7fc02000
	s_mov_b32 s51, exec_lo
	s_delay_alu instid0(VALU_DEP_2)
	v_cmpx_ne_u32_e32 0x7f, v41
	s_cbranch_execz .LBB295_118
; %bb.115:                              ;   in Loop: Header=BB295_13 Depth=1
	v_and_b32_e32 v3, 7, v40
	v_lshrrev_b32_e32 v39, 3, v41
	s_mov_b32 s52, exec_lo
	v_cmpx_gt_u32_e32 8, v41
; %bb.116:                              ;   in Loop: Header=BB295_13 Depth=1
	s_delay_alu instid0(VALU_DEP_3) | instskip(NEXT) | instid1(VALU_DEP_1)
	v_clz_i32_u32_e32 v39, v3
	v_min_u32_e32 v39, 32, v39
	s_delay_alu instid0(VALU_DEP_1) | instskip(SKIP_1) | instid1(VALU_DEP_2)
	v_subrev_nc_u32_e32 v41, 28, v39
	v_sub_nc_u32_e32 v39, 29, v39
	v_lshlrev_b64 v[41:42], v41, v[3:4]
	s_delay_alu instid0(VALU_DEP_1)
	v_and_b32_e32 v3, 7, v41
; %bb.117:                              ;   in Loop: Header=BB295_13 Depth=1
	s_or_b32 exec_lo, exec_lo, s52
	v_lshlrev_b32_e32 v41, 8, v40
	v_lshl_add_u32 v39, v39, 10, 0x2000
	s_delay_alu instid0(VALU_DEP_1) | instskip(NEXT) | instid1(VALU_DEP_1)
	v_and_or_b32 v39, 0x8000, v41, v39
	v_lshl_or_b32 v3, v3, 7, v39
	s_delay_alu instid0(VALU_DEP_1)
	v_cvt_f32_f16_e32 v39, v3
.LBB295_118:                            ;   in Loop: Header=BB295_13 Depth=1
	s_or_b32 exec_lo, exec_lo, s51
.LBB295_119:                            ;   in Loop: Header=BB295_13 Depth=1
	s_delay_alu instid0(SALU_CYCLE_1)
	s_or_b32 exec_lo, exec_lo, s50
.LBB295_120:                            ;   in Loop: Header=BB295_13 Depth=1
	s_delay_alu instid0(SALU_CYCLE_1) | instskip(SKIP_2) | instid1(VALU_DEP_1)
	s_or_b32 exec_lo, exec_lo, s49
	v_lshrrev_b16 v3, 8, v40
	s_mov_b32 s49, exec_lo
	v_cmpx_ne_u16_e32 0, v3
	s_cbranch_execz .LBB295_128
; %bb.121:                              ;   in Loop: Header=BB295_13 Depth=1
	v_bfrev_b32_e32 v38, 1
	s_mov_b32 s50, exec_lo
	v_cmpx_ne_u16_e32 0x80, v3
	s_cbranch_execz .LBB295_127
; %bb.122:                              ;   in Loop: Header=BB295_13 Depth=1
	v_and_b32_e32 v40, 0xffff, v3
	v_mov_b32_e32 v38, 0x7fc02000
	s_mov_b32 s51, exec_lo
	s_delay_alu instid0(VALU_DEP_2) | instskip(NEXT) | instid1(VALU_DEP_1)
	v_and_b32_e32 v41, 0x7f, v40
	v_cmpx_ne_u32_e32 0x7f, v41
	s_cbranch_execz .LBB295_126
; %bb.123:                              ;   in Loop: Header=BB295_13 Depth=1
	v_and_b32_e32 v3, 7, v40
	v_lshrrev_b32_e32 v38, 3, v41
	s_mov_b32 s52, exec_lo
	v_cmpx_gt_u32_e32 8, v41
; %bb.124:                              ;   in Loop: Header=BB295_13 Depth=1
	s_delay_alu instid0(VALU_DEP_3) | instskip(NEXT) | instid1(VALU_DEP_1)
	v_clz_i32_u32_e32 v38, v3
	v_min_u32_e32 v38, 32, v38
	s_delay_alu instid0(VALU_DEP_1) | instskip(SKIP_1) | instid1(VALU_DEP_2)
	v_subrev_nc_u32_e32 v41, 28, v38
	v_sub_nc_u32_e32 v38, 29, v38
	v_lshlrev_b64 v[41:42], v41, v[3:4]
	s_delay_alu instid0(VALU_DEP_1)
	v_and_b32_e32 v3, 7, v41
; %bb.125:                              ;   in Loop: Header=BB295_13 Depth=1
	s_or_b32 exec_lo, exec_lo, s52
	v_lshlrev_b32_e32 v40, 8, v40
	v_lshl_add_u32 v38, v38, 10, 0x2000
	s_delay_alu instid0(VALU_DEP_1) | instskip(NEXT) | instid1(VALU_DEP_1)
	v_and_or_b32 v38, 0x8000, v40, v38
	v_lshl_or_b32 v3, v3, 7, v38
	s_delay_alu instid0(VALU_DEP_1)
	v_cvt_f32_f16_e32 v38, v3
.LBB295_126:                            ;   in Loop: Header=BB295_13 Depth=1
	s_or_b32 exec_lo, exec_lo, s51
.LBB295_127:                            ;   in Loop: Header=BB295_13 Depth=1
	s_delay_alu instid0(SALU_CYCLE_1)
	s_or_b32 exec_lo, exec_lo, s50
.LBB295_128:                            ;   in Loop: Header=BB295_13 Depth=1
	s_delay_alu instid0(SALU_CYCLE_1) | instskip(SKIP_4) | instid1(VALU_DEP_2)
	s_or_b32 exec_lo, exec_lo, s49
	global_load_u16 v3, v[9:10], off offset:392
	s_waitcnt vmcnt(0)
	v_dual_mov_b32 v40, 0 :: v_dual_and_b32 v41, 0xff, v3
	v_and_b32_e32 v42, 0xffff, v3
	v_cmp_ne_u16_e64 s1, 0, v41
	v_mov_b32_e32 v41, 0
	s_delay_alu instid0(VALU_DEP_2)
	s_and_saveexec_b32 s49, s1
	s_cbranch_execz .LBB295_136
; %bb.129:                              ;   in Loop: Header=BB295_13 Depth=1
	v_and_b32_e32 v3, 0xff, v42
	v_bfrev_b32_e32 v41, 1
	s_mov_b32 s50, exec_lo
	s_delay_alu instid0(VALU_DEP_2)
	v_cmpx_ne_u16_e32 0x80, v3
	s_cbranch_execz .LBB295_135
; %bb.130:                              ;   in Loop: Header=BB295_13 Depth=1
	v_and_b32_e32 v43, 0x7f, v42
	v_mov_b32_e32 v41, 0x7fc02000
	s_mov_b32 s51, exec_lo
	s_delay_alu instid0(VALU_DEP_2)
	v_cmpx_ne_u32_e32 0x7f, v43
	s_cbranch_execz .LBB295_134
; %bb.131:                              ;   in Loop: Header=BB295_13 Depth=1
	v_and_b32_e32 v3, 7, v42
	v_lshrrev_b32_e32 v41, 3, v43
	s_mov_b32 s52, exec_lo
	v_cmpx_gt_u32_e32 8, v43
; %bb.132:                              ;   in Loop: Header=BB295_13 Depth=1
	s_delay_alu instid0(VALU_DEP_3) | instskip(NEXT) | instid1(VALU_DEP_1)
	v_clz_i32_u32_e32 v41, v3
	v_min_u32_e32 v41, 32, v41
	s_delay_alu instid0(VALU_DEP_1) | instskip(SKIP_1) | instid1(VALU_DEP_2)
	v_subrev_nc_u32_e32 v43, 28, v41
	v_sub_nc_u32_e32 v41, 29, v41
	v_lshlrev_b64 v[43:44], v43, v[3:4]
	s_delay_alu instid0(VALU_DEP_1)
	v_and_b32_e32 v3, 7, v43
; %bb.133:                              ;   in Loop: Header=BB295_13 Depth=1
	s_or_b32 exec_lo, exec_lo, s52
	v_lshlrev_b32_e32 v43, 8, v42
	v_lshl_add_u32 v41, v41, 10, 0x2000
	s_delay_alu instid0(VALU_DEP_1) | instskip(NEXT) | instid1(VALU_DEP_1)
	v_and_or_b32 v41, 0x8000, v43, v41
	v_lshl_or_b32 v3, v3, 7, v41
	s_delay_alu instid0(VALU_DEP_1)
	v_cvt_f32_f16_e32 v41, v3
.LBB295_134:                            ;   in Loop: Header=BB295_13 Depth=1
	s_or_b32 exec_lo, exec_lo, s51
.LBB295_135:                            ;   in Loop: Header=BB295_13 Depth=1
	s_delay_alu instid0(SALU_CYCLE_1)
	s_or_b32 exec_lo, exec_lo, s50
.LBB295_136:                            ;   in Loop: Header=BB295_13 Depth=1
	s_delay_alu instid0(SALU_CYCLE_1) | instskip(SKIP_2) | instid1(VALU_DEP_1)
	s_or_b32 exec_lo, exec_lo, s49
	v_lshrrev_b16 v3, 8, v42
	s_mov_b32 s49, exec_lo
	v_cmpx_ne_u16_e32 0, v3
	s_cbranch_execz .LBB295_144
; %bb.137:                              ;   in Loop: Header=BB295_13 Depth=1
	v_bfrev_b32_e32 v40, 1
	s_mov_b32 s50, exec_lo
	v_cmpx_ne_u16_e32 0x80, v3
	s_cbranch_execz .LBB295_143
; %bb.138:                              ;   in Loop: Header=BB295_13 Depth=1
	v_and_b32_e32 v42, 0xffff, v3
	v_mov_b32_e32 v40, 0x7fc02000
	s_mov_b32 s51, exec_lo
	s_delay_alu instid0(VALU_DEP_2) | instskip(NEXT) | instid1(VALU_DEP_1)
	v_and_b32_e32 v43, 0x7f, v42
	v_cmpx_ne_u32_e32 0x7f, v43
	s_cbranch_execz .LBB295_142
; %bb.139:                              ;   in Loop: Header=BB295_13 Depth=1
	v_and_b32_e32 v3, 7, v42
	v_lshrrev_b32_e32 v40, 3, v43
	s_mov_b32 s52, exec_lo
	v_cmpx_gt_u32_e32 8, v43
; %bb.140:                              ;   in Loop: Header=BB295_13 Depth=1
	s_delay_alu instid0(VALU_DEP_3) | instskip(NEXT) | instid1(VALU_DEP_1)
	v_clz_i32_u32_e32 v40, v3
	v_min_u32_e32 v40, 32, v40
	s_delay_alu instid0(VALU_DEP_1) | instskip(SKIP_1) | instid1(VALU_DEP_2)
	v_subrev_nc_u32_e32 v43, 28, v40
	v_sub_nc_u32_e32 v40, 29, v40
	v_lshlrev_b64 v[43:44], v43, v[3:4]
	s_delay_alu instid0(VALU_DEP_1)
	v_and_b32_e32 v3, 7, v43
; %bb.141:                              ;   in Loop: Header=BB295_13 Depth=1
	s_or_b32 exec_lo, exec_lo, s52
	v_lshlrev_b32_e32 v42, 8, v42
	v_lshl_add_u32 v40, v40, 10, 0x2000
	s_delay_alu instid0(VALU_DEP_1) | instskip(NEXT) | instid1(VALU_DEP_1)
	v_and_or_b32 v40, 0x8000, v42, v40
	v_lshl_or_b32 v3, v3, 7, v40
	s_delay_alu instid0(VALU_DEP_1)
	v_cvt_f32_f16_e32 v40, v3
.LBB295_142:                            ;   in Loop: Header=BB295_13 Depth=1
	s_or_b32 exec_lo, exec_lo, s51
.LBB295_143:                            ;   in Loop: Header=BB295_13 Depth=1
	s_delay_alu instid0(SALU_CYCLE_1)
	s_or_b32 exec_lo, exec_lo, s50
.LBB295_144:                            ;   in Loop: Header=BB295_13 Depth=1
	s_delay_alu instid0(SALU_CYCLE_1) | instskip(SKIP_4) | instid1(VALU_DEP_2)
	s_or_b32 exec_lo, exec_lo, s49
	global_load_u16 v3, v[9:10], off offset:512
	s_waitcnt vmcnt(0)
	v_dual_mov_b32 v42, 0 :: v_dual_and_b32 v43, 0xff, v3
	v_and_b32_e32 v44, 0xffff, v3
	v_cmp_ne_u16_e64 s1, 0, v43
	v_mov_b32_e32 v43, 0
	s_delay_alu instid0(VALU_DEP_2)
	s_and_saveexec_b32 s49, s1
	s_cbranch_execz .LBB295_152
; %bb.145:                              ;   in Loop: Header=BB295_13 Depth=1
	v_and_b32_e32 v3, 0xff, v44
	v_bfrev_b32_e32 v43, 1
	s_mov_b32 s50, exec_lo
	s_delay_alu instid0(VALU_DEP_2)
	v_cmpx_ne_u16_e32 0x80, v3
	s_cbranch_execz .LBB295_151
; %bb.146:                              ;   in Loop: Header=BB295_13 Depth=1
	v_and_b32_e32 v45, 0x7f, v44
	v_mov_b32_e32 v43, 0x7fc02000
	s_mov_b32 s51, exec_lo
	s_delay_alu instid0(VALU_DEP_2)
	v_cmpx_ne_u32_e32 0x7f, v45
	s_cbranch_execz .LBB295_150
; %bb.147:                              ;   in Loop: Header=BB295_13 Depth=1
	v_and_b32_e32 v3, 7, v44
	v_lshrrev_b32_e32 v43, 3, v45
	s_mov_b32 s52, exec_lo
	v_cmpx_gt_u32_e32 8, v45
; %bb.148:                              ;   in Loop: Header=BB295_13 Depth=1
	s_delay_alu instid0(VALU_DEP_3) | instskip(NEXT) | instid1(VALU_DEP_1)
	v_clz_i32_u32_e32 v43, v3
	v_min_u32_e32 v43, 32, v43
	s_delay_alu instid0(VALU_DEP_1) | instskip(SKIP_1) | instid1(VALU_DEP_2)
	v_subrev_nc_u32_e32 v45, 28, v43
	v_sub_nc_u32_e32 v43, 29, v43
	v_lshlrev_b64 v[45:46], v45, v[3:4]
	s_delay_alu instid0(VALU_DEP_1)
	v_and_b32_e32 v3, 7, v45
; %bb.149:                              ;   in Loop: Header=BB295_13 Depth=1
	s_or_b32 exec_lo, exec_lo, s52
	v_lshlrev_b32_e32 v45, 8, v44
	v_lshl_add_u32 v43, v43, 10, 0x2000
	s_delay_alu instid0(VALU_DEP_1) | instskip(NEXT) | instid1(VALU_DEP_1)
	v_and_or_b32 v43, 0x8000, v45, v43
	v_lshl_or_b32 v3, v3, 7, v43
	s_delay_alu instid0(VALU_DEP_1)
	v_cvt_f32_f16_e32 v43, v3
.LBB295_150:                            ;   in Loop: Header=BB295_13 Depth=1
	s_or_b32 exec_lo, exec_lo, s51
.LBB295_151:                            ;   in Loop: Header=BB295_13 Depth=1
	s_delay_alu instid0(SALU_CYCLE_1)
	s_or_b32 exec_lo, exec_lo, s50
.LBB295_152:                            ;   in Loop: Header=BB295_13 Depth=1
	s_delay_alu instid0(SALU_CYCLE_1) | instskip(SKIP_2) | instid1(VALU_DEP_1)
	s_or_b32 exec_lo, exec_lo, s49
	v_lshrrev_b16 v3, 8, v44
	s_mov_b32 s49, exec_lo
	v_cmpx_ne_u16_e32 0, v3
	s_cbranch_execz .LBB295_160
; %bb.153:                              ;   in Loop: Header=BB295_13 Depth=1
	v_bfrev_b32_e32 v42, 1
	s_mov_b32 s50, exec_lo
	v_cmpx_ne_u16_e32 0x80, v3
	s_cbranch_execz .LBB295_159
; %bb.154:                              ;   in Loop: Header=BB295_13 Depth=1
	v_and_b32_e32 v44, 0xffff, v3
	v_mov_b32_e32 v42, 0x7fc02000
	s_mov_b32 s51, exec_lo
	s_delay_alu instid0(VALU_DEP_2) | instskip(NEXT) | instid1(VALU_DEP_1)
	v_and_b32_e32 v45, 0x7f, v44
	v_cmpx_ne_u32_e32 0x7f, v45
	s_cbranch_execz .LBB295_158
; %bb.155:                              ;   in Loop: Header=BB295_13 Depth=1
	v_and_b32_e32 v3, 7, v44
	v_lshrrev_b32_e32 v42, 3, v45
	s_mov_b32 s52, exec_lo
	v_cmpx_gt_u32_e32 8, v45
; %bb.156:                              ;   in Loop: Header=BB295_13 Depth=1
	s_delay_alu instid0(VALU_DEP_3) | instskip(NEXT) | instid1(VALU_DEP_1)
	v_clz_i32_u32_e32 v42, v3
	v_min_u32_e32 v42, 32, v42
	s_delay_alu instid0(VALU_DEP_1) | instskip(SKIP_1) | instid1(VALU_DEP_2)
	v_subrev_nc_u32_e32 v45, 28, v42
	v_sub_nc_u32_e32 v42, 29, v42
	v_lshlrev_b64 v[45:46], v45, v[3:4]
	s_delay_alu instid0(VALU_DEP_1)
	v_and_b32_e32 v3, 7, v45
; %bb.157:                              ;   in Loop: Header=BB295_13 Depth=1
	s_or_b32 exec_lo, exec_lo, s52
	v_lshlrev_b32_e32 v44, 8, v44
	v_lshl_add_u32 v42, v42, 10, 0x2000
	s_delay_alu instid0(VALU_DEP_1) | instskip(NEXT) | instid1(VALU_DEP_1)
	v_and_or_b32 v42, 0x8000, v44, v42
	v_lshl_or_b32 v3, v3, 7, v42
	s_delay_alu instid0(VALU_DEP_1)
	v_cvt_f32_f16_e32 v42, v3
.LBB295_158:                            ;   in Loop: Header=BB295_13 Depth=1
	s_or_b32 exec_lo, exec_lo, s51
.LBB295_159:                            ;   in Loop: Header=BB295_13 Depth=1
	s_delay_alu instid0(SALU_CYCLE_1)
	s_or_b32 exec_lo, exec_lo, s50
.LBB295_160:                            ;   in Loop: Header=BB295_13 Depth=1
	s_delay_alu instid0(SALU_CYCLE_1) | instskip(SKIP_4) | instid1(VALU_DEP_2)
	s_or_b32 exec_lo, exec_lo, s49
	global_load_u16 v3, v[9:10], off offset:520
	s_waitcnt vmcnt(0)
	v_dual_mov_b32 v44, 0 :: v_dual_and_b32 v45, 0xff, v3
	v_and_b32_e32 v46, 0xffff, v3
	v_cmp_ne_u16_e64 s1, 0, v45
	v_mov_b32_e32 v45, 0
	s_delay_alu instid0(VALU_DEP_2)
	s_and_saveexec_b32 s49, s1
	s_cbranch_execz .LBB295_168
; %bb.161:                              ;   in Loop: Header=BB295_13 Depth=1
	v_and_b32_e32 v3, 0xff, v46
	v_bfrev_b32_e32 v45, 1
	s_mov_b32 s50, exec_lo
	s_delay_alu instid0(VALU_DEP_2)
	v_cmpx_ne_u16_e32 0x80, v3
	s_cbranch_execz .LBB295_167
; %bb.162:                              ;   in Loop: Header=BB295_13 Depth=1
	v_and_b32_e32 v47, 0x7f, v46
	v_mov_b32_e32 v45, 0x7fc02000
	s_mov_b32 s51, exec_lo
	s_delay_alu instid0(VALU_DEP_2)
	v_cmpx_ne_u32_e32 0x7f, v47
	s_cbranch_execz .LBB295_166
; %bb.163:                              ;   in Loop: Header=BB295_13 Depth=1
	v_and_b32_e32 v3, 7, v46
	v_lshrrev_b32_e32 v45, 3, v47
	s_mov_b32 s52, exec_lo
	v_cmpx_gt_u32_e32 8, v47
; %bb.164:                              ;   in Loop: Header=BB295_13 Depth=1
	s_delay_alu instid0(VALU_DEP_3) | instskip(NEXT) | instid1(VALU_DEP_1)
	v_clz_i32_u32_e32 v45, v3
	v_min_u32_e32 v45, 32, v45
	s_delay_alu instid0(VALU_DEP_1) | instskip(SKIP_1) | instid1(VALU_DEP_2)
	v_subrev_nc_u32_e32 v47, 28, v45
	v_sub_nc_u32_e32 v45, 29, v45
	v_lshlrev_b64 v[47:48], v47, v[3:4]
	s_delay_alu instid0(VALU_DEP_1)
	v_and_b32_e32 v3, 7, v47
; %bb.165:                              ;   in Loop: Header=BB295_13 Depth=1
	s_or_b32 exec_lo, exec_lo, s52
	v_lshlrev_b32_e32 v47, 8, v46
	v_lshl_add_u32 v45, v45, 10, 0x2000
	s_delay_alu instid0(VALU_DEP_1) | instskip(NEXT) | instid1(VALU_DEP_1)
	v_and_or_b32 v45, 0x8000, v47, v45
	v_lshl_or_b32 v3, v3, 7, v45
	s_delay_alu instid0(VALU_DEP_1)
	v_cvt_f32_f16_e32 v45, v3
.LBB295_166:                            ;   in Loop: Header=BB295_13 Depth=1
	s_or_b32 exec_lo, exec_lo, s51
.LBB295_167:                            ;   in Loop: Header=BB295_13 Depth=1
	s_delay_alu instid0(SALU_CYCLE_1)
	s_or_b32 exec_lo, exec_lo, s50
.LBB295_168:                            ;   in Loop: Header=BB295_13 Depth=1
	s_delay_alu instid0(SALU_CYCLE_1) | instskip(SKIP_2) | instid1(VALU_DEP_1)
	s_or_b32 exec_lo, exec_lo, s49
	v_lshrrev_b16 v3, 8, v46
	s_mov_b32 s49, exec_lo
	v_cmpx_ne_u16_e32 0, v3
	s_cbranch_execz .LBB295_176
; %bb.169:                              ;   in Loop: Header=BB295_13 Depth=1
	v_bfrev_b32_e32 v44, 1
	s_mov_b32 s50, exec_lo
	v_cmpx_ne_u16_e32 0x80, v3
	s_cbranch_execz .LBB295_175
; %bb.170:                              ;   in Loop: Header=BB295_13 Depth=1
	v_and_b32_e32 v46, 0xffff, v3
	v_mov_b32_e32 v44, 0x7fc02000
	s_mov_b32 s51, exec_lo
	s_delay_alu instid0(VALU_DEP_2) | instskip(NEXT) | instid1(VALU_DEP_1)
	v_and_b32_e32 v47, 0x7f, v46
	v_cmpx_ne_u32_e32 0x7f, v47
	s_cbranch_execz .LBB295_174
; %bb.171:                              ;   in Loop: Header=BB295_13 Depth=1
	v_and_b32_e32 v3, 7, v46
	v_lshrrev_b32_e32 v44, 3, v47
	s_mov_b32 s52, exec_lo
	v_cmpx_gt_u32_e32 8, v47
; %bb.172:                              ;   in Loop: Header=BB295_13 Depth=1
	s_delay_alu instid0(VALU_DEP_3) | instskip(NEXT) | instid1(VALU_DEP_1)
	v_clz_i32_u32_e32 v44, v3
	v_min_u32_e32 v44, 32, v44
	s_delay_alu instid0(VALU_DEP_1) | instskip(SKIP_1) | instid1(VALU_DEP_2)
	v_subrev_nc_u32_e32 v47, 28, v44
	v_sub_nc_u32_e32 v44, 29, v44
	v_lshlrev_b64 v[47:48], v47, v[3:4]
	s_delay_alu instid0(VALU_DEP_1)
	v_and_b32_e32 v3, 7, v47
; %bb.173:                              ;   in Loop: Header=BB295_13 Depth=1
	s_or_b32 exec_lo, exec_lo, s52
	v_lshlrev_b32_e32 v46, 8, v46
	v_lshl_add_u32 v44, v44, 10, 0x2000
	s_delay_alu instid0(VALU_DEP_1) | instskip(NEXT) | instid1(VALU_DEP_1)
	v_and_or_b32 v44, 0x8000, v46, v44
	v_lshl_or_b32 v3, v3, 7, v44
	s_delay_alu instid0(VALU_DEP_1)
	v_cvt_f32_f16_e32 v44, v3
.LBB295_174:                            ;   in Loop: Header=BB295_13 Depth=1
	s_or_b32 exec_lo, exec_lo, s51
.LBB295_175:                            ;   in Loop: Header=BB295_13 Depth=1
	s_delay_alu instid0(SALU_CYCLE_1)
	s_or_b32 exec_lo, exec_lo, s50
.LBB295_176:                            ;   in Loop: Header=BB295_13 Depth=1
	s_delay_alu instid0(SALU_CYCLE_1) | instskip(SKIP_4) | instid1(VALU_DEP_2)
	s_or_b32 exec_lo, exec_lo, s49
	global_load_u16 v3, v[9:10], off offset:640
	s_waitcnt vmcnt(0)
	v_dual_mov_b32 v46, 0 :: v_dual_and_b32 v47, 0xff, v3
	v_and_b32_e32 v48, 0xffff, v3
	v_cmp_ne_u16_e64 s1, 0, v47
	v_mov_b32_e32 v47, 0
	s_delay_alu instid0(VALU_DEP_2)
	s_and_saveexec_b32 s49, s1
	s_cbranch_execz .LBB295_184
; %bb.177:                              ;   in Loop: Header=BB295_13 Depth=1
	v_and_b32_e32 v3, 0xff, v48
	v_bfrev_b32_e32 v47, 1
	s_mov_b32 s50, exec_lo
	s_delay_alu instid0(VALU_DEP_2)
	v_cmpx_ne_u16_e32 0x80, v3
	s_cbranch_execz .LBB295_183
; %bb.178:                              ;   in Loop: Header=BB295_13 Depth=1
	v_and_b32_e32 v49, 0x7f, v48
	v_mov_b32_e32 v47, 0x7fc02000
	s_mov_b32 s51, exec_lo
	s_delay_alu instid0(VALU_DEP_2)
	v_cmpx_ne_u32_e32 0x7f, v49
	s_cbranch_execz .LBB295_182
; %bb.179:                              ;   in Loop: Header=BB295_13 Depth=1
	v_and_b32_e32 v3, 7, v48
	v_lshrrev_b32_e32 v47, 3, v49
	s_mov_b32 s52, exec_lo
	v_cmpx_gt_u32_e32 8, v49
; %bb.180:                              ;   in Loop: Header=BB295_13 Depth=1
	s_delay_alu instid0(VALU_DEP_3) | instskip(NEXT) | instid1(VALU_DEP_1)
	v_clz_i32_u32_e32 v47, v3
	v_min_u32_e32 v47, 32, v47
	s_delay_alu instid0(VALU_DEP_1) | instskip(SKIP_1) | instid1(VALU_DEP_2)
	v_subrev_nc_u32_e32 v49, 28, v47
	v_sub_nc_u32_e32 v47, 29, v47
	v_lshlrev_b64 v[49:50], v49, v[3:4]
	s_delay_alu instid0(VALU_DEP_1)
	v_and_b32_e32 v3, 7, v49
; %bb.181:                              ;   in Loop: Header=BB295_13 Depth=1
	s_or_b32 exec_lo, exec_lo, s52
	v_lshlrev_b32_e32 v49, 8, v48
	v_lshl_add_u32 v47, v47, 10, 0x2000
	s_delay_alu instid0(VALU_DEP_1) | instskip(NEXT) | instid1(VALU_DEP_1)
	v_and_or_b32 v47, 0x8000, v49, v47
	v_lshl_or_b32 v3, v3, 7, v47
	s_delay_alu instid0(VALU_DEP_1)
	v_cvt_f32_f16_e32 v47, v3
.LBB295_182:                            ;   in Loop: Header=BB295_13 Depth=1
	s_or_b32 exec_lo, exec_lo, s51
.LBB295_183:                            ;   in Loop: Header=BB295_13 Depth=1
	s_delay_alu instid0(SALU_CYCLE_1)
	s_or_b32 exec_lo, exec_lo, s50
.LBB295_184:                            ;   in Loop: Header=BB295_13 Depth=1
	s_delay_alu instid0(SALU_CYCLE_1) | instskip(SKIP_2) | instid1(VALU_DEP_1)
	s_or_b32 exec_lo, exec_lo, s49
	v_lshrrev_b16 v3, 8, v48
	s_mov_b32 s49, exec_lo
	v_cmpx_ne_u16_e32 0, v3
	s_cbranch_execz .LBB295_192
; %bb.185:                              ;   in Loop: Header=BB295_13 Depth=1
	v_bfrev_b32_e32 v46, 1
	s_mov_b32 s50, exec_lo
	v_cmpx_ne_u16_e32 0x80, v3
	s_cbranch_execz .LBB295_191
; %bb.186:                              ;   in Loop: Header=BB295_13 Depth=1
	v_and_b32_e32 v48, 0xffff, v3
	v_mov_b32_e32 v46, 0x7fc02000
	s_mov_b32 s51, exec_lo
	s_delay_alu instid0(VALU_DEP_2) | instskip(NEXT) | instid1(VALU_DEP_1)
	v_and_b32_e32 v49, 0x7f, v48
	v_cmpx_ne_u32_e32 0x7f, v49
	s_cbranch_execz .LBB295_190
; %bb.187:                              ;   in Loop: Header=BB295_13 Depth=1
	v_and_b32_e32 v3, 7, v48
	v_lshrrev_b32_e32 v46, 3, v49
	s_mov_b32 s52, exec_lo
	v_cmpx_gt_u32_e32 8, v49
; %bb.188:                              ;   in Loop: Header=BB295_13 Depth=1
	s_delay_alu instid0(VALU_DEP_3) | instskip(NEXT) | instid1(VALU_DEP_1)
	v_clz_i32_u32_e32 v46, v3
	v_min_u32_e32 v46, 32, v46
	s_delay_alu instid0(VALU_DEP_1) | instskip(SKIP_1) | instid1(VALU_DEP_2)
	v_subrev_nc_u32_e32 v49, 28, v46
	v_sub_nc_u32_e32 v46, 29, v46
	v_lshlrev_b64 v[49:50], v49, v[3:4]
	s_delay_alu instid0(VALU_DEP_1)
	v_and_b32_e32 v3, 7, v49
; %bb.189:                              ;   in Loop: Header=BB295_13 Depth=1
	s_or_b32 exec_lo, exec_lo, s52
	v_lshlrev_b32_e32 v48, 8, v48
	v_lshl_add_u32 v46, v46, 10, 0x2000
	s_delay_alu instid0(VALU_DEP_1) | instskip(NEXT) | instid1(VALU_DEP_1)
	v_and_or_b32 v46, 0x8000, v48, v46
	v_lshl_or_b32 v3, v3, 7, v46
	s_delay_alu instid0(VALU_DEP_1)
	v_cvt_f32_f16_e32 v46, v3
.LBB295_190:                            ;   in Loop: Header=BB295_13 Depth=1
	s_or_b32 exec_lo, exec_lo, s51
.LBB295_191:                            ;   in Loop: Header=BB295_13 Depth=1
	s_delay_alu instid0(SALU_CYCLE_1)
	s_or_b32 exec_lo, exec_lo, s50
.LBB295_192:                            ;   in Loop: Header=BB295_13 Depth=1
	s_delay_alu instid0(SALU_CYCLE_1) | instskip(SKIP_4) | instid1(VALU_DEP_2)
	s_or_b32 exec_lo, exec_lo, s49
	global_load_u16 v3, v[9:10], off offset:648
	s_waitcnt vmcnt(0)
	v_dual_mov_b32 v48, 0 :: v_dual_and_b32 v49, 0xff, v3
	v_and_b32_e32 v50, 0xffff, v3
	v_cmp_ne_u16_e64 s1, 0, v49
	v_mov_b32_e32 v49, 0
	s_delay_alu instid0(VALU_DEP_2)
	s_and_saveexec_b32 s49, s1
	s_cbranch_execz .LBB295_200
; %bb.193:                              ;   in Loop: Header=BB295_13 Depth=1
	v_and_b32_e32 v3, 0xff, v50
	v_bfrev_b32_e32 v49, 1
	s_mov_b32 s50, exec_lo
	s_delay_alu instid0(VALU_DEP_2)
	v_cmpx_ne_u16_e32 0x80, v3
	s_cbranch_execz .LBB295_199
; %bb.194:                              ;   in Loop: Header=BB295_13 Depth=1
	v_and_b32_e32 v51, 0x7f, v50
	v_mov_b32_e32 v49, 0x7fc02000
	s_mov_b32 s51, exec_lo
	s_delay_alu instid0(VALU_DEP_2)
	v_cmpx_ne_u32_e32 0x7f, v51
	s_cbranch_execz .LBB295_198
; %bb.195:                              ;   in Loop: Header=BB295_13 Depth=1
	v_and_b32_e32 v3, 7, v50
	v_lshrrev_b32_e32 v49, 3, v51
	s_mov_b32 s52, exec_lo
	v_cmpx_gt_u32_e32 8, v51
; %bb.196:                              ;   in Loop: Header=BB295_13 Depth=1
	s_delay_alu instid0(VALU_DEP_3) | instskip(NEXT) | instid1(VALU_DEP_1)
	v_clz_i32_u32_e32 v49, v3
	v_min_u32_e32 v49, 32, v49
	s_delay_alu instid0(VALU_DEP_1) | instskip(SKIP_1) | instid1(VALU_DEP_2)
	v_subrev_nc_u32_e32 v51, 28, v49
	v_sub_nc_u32_e32 v49, 29, v49
	v_lshlrev_b64 v[51:52], v51, v[3:4]
	s_delay_alu instid0(VALU_DEP_1)
	v_and_b32_e32 v3, 7, v51
; %bb.197:                              ;   in Loop: Header=BB295_13 Depth=1
	s_or_b32 exec_lo, exec_lo, s52
	v_lshlrev_b32_e32 v51, 8, v50
	v_lshl_add_u32 v49, v49, 10, 0x2000
	s_delay_alu instid0(VALU_DEP_1) | instskip(NEXT) | instid1(VALU_DEP_1)
	v_and_or_b32 v49, 0x8000, v51, v49
	v_lshl_or_b32 v3, v3, 7, v49
	s_delay_alu instid0(VALU_DEP_1)
	v_cvt_f32_f16_e32 v49, v3
.LBB295_198:                            ;   in Loop: Header=BB295_13 Depth=1
	s_or_b32 exec_lo, exec_lo, s51
.LBB295_199:                            ;   in Loop: Header=BB295_13 Depth=1
	s_delay_alu instid0(SALU_CYCLE_1)
	s_or_b32 exec_lo, exec_lo, s50
.LBB295_200:                            ;   in Loop: Header=BB295_13 Depth=1
	s_delay_alu instid0(SALU_CYCLE_1) | instskip(SKIP_2) | instid1(VALU_DEP_1)
	s_or_b32 exec_lo, exec_lo, s49
	v_lshrrev_b16 v3, 8, v50
	s_mov_b32 s49, exec_lo
	v_cmpx_ne_u16_e32 0, v3
	s_cbranch_execz .LBB295_208
; %bb.201:                              ;   in Loop: Header=BB295_13 Depth=1
	v_bfrev_b32_e32 v48, 1
	s_mov_b32 s50, exec_lo
	v_cmpx_ne_u16_e32 0x80, v3
	s_cbranch_execz .LBB295_207
; %bb.202:                              ;   in Loop: Header=BB295_13 Depth=1
	v_and_b32_e32 v50, 0xffff, v3
	v_mov_b32_e32 v48, 0x7fc02000
	s_mov_b32 s51, exec_lo
	s_delay_alu instid0(VALU_DEP_2) | instskip(NEXT) | instid1(VALU_DEP_1)
	v_and_b32_e32 v51, 0x7f, v50
	v_cmpx_ne_u32_e32 0x7f, v51
	s_cbranch_execz .LBB295_206
; %bb.203:                              ;   in Loop: Header=BB295_13 Depth=1
	v_and_b32_e32 v3, 7, v50
	v_lshrrev_b32_e32 v48, 3, v51
	s_mov_b32 s52, exec_lo
	v_cmpx_gt_u32_e32 8, v51
; %bb.204:                              ;   in Loop: Header=BB295_13 Depth=1
	s_delay_alu instid0(VALU_DEP_3) | instskip(NEXT) | instid1(VALU_DEP_1)
	v_clz_i32_u32_e32 v48, v3
	v_min_u32_e32 v48, 32, v48
	s_delay_alu instid0(VALU_DEP_1) | instskip(SKIP_1) | instid1(VALU_DEP_2)
	v_subrev_nc_u32_e32 v51, 28, v48
	v_sub_nc_u32_e32 v48, 29, v48
	v_lshlrev_b64 v[51:52], v51, v[3:4]
	s_delay_alu instid0(VALU_DEP_1)
	v_and_b32_e32 v3, 7, v51
; %bb.205:                              ;   in Loop: Header=BB295_13 Depth=1
	s_or_b32 exec_lo, exec_lo, s52
	v_lshlrev_b32_e32 v50, 8, v50
	v_lshl_add_u32 v48, v48, 10, 0x2000
	s_delay_alu instid0(VALU_DEP_1) | instskip(NEXT) | instid1(VALU_DEP_1)
	v_and_or_b32 v48, 0x8000, v50, v48
	v_lshl_or_b32 v3, v3, 7, v48
	s_delay_alu instid0(VALU_DEP_1)
	v_cvt_f32_f16_e32 v48, v3
.LBB295_206:                            ;   in Loop: Header=BB295_13 Depth=1
	s_or_b32 exec_lo, exec_lo, s51
.LBB295_207:                            ;   in Loop: Header=BB295_13 Depth=1
	s_delay_alu instid0(SALU_CYCLE_1)
	s_or_b32 exec_lo, exec_lo, s50
.LBB295_208:                            ;   in Loop: Header=BB295_13 Depth=1
	s_delay_alu instid0(SALU_CYCLE_1) | instskip(SKIP_4) | instid1(VALU_DEP_2)
	s_or_b32 exec_lo, exec_lo, s49
	global_load_u16 v3, v[9:10], off offset:768
	s_waitcnt vmcnt(0)
	v_dual_mov_b32 v50, 0 :: v_dual_and_b32 v51, 0xff, v3
	v_and_b32_e32 v52, 0xffff, v3
	v_cmp_ne_u16_e64 s1, 0, v51
	v_mov_b32_e32 v51, 0
	s_delay_alu instid0(VALU_DEP_2)
	s_and_saveexec_b32 s49, s1
	s_cbranch_execz .LBB295_216
; %bb.209:                              ;   in Loop: Header=BB295_13 Depth=1
	v_and_b32_e32 v3, 0xff, v52
	v_bfrev_b32_e32 v51, 1
	s_mov_b32 s50, exec_lo
	s_delay_alu instid0(VALU_DEP_2)
	v_cmpx_ne_u16_e32 0x80, v3
	s_cbranch_execz .LBB295_215
; %bb.210:                              ;   in Loop: Header=BB295_13 Depth=1
	v_and_b32_e32 v53, 0x7f, v52
	v_mov_b32_e32 v51, 0x7fc02000
	s_mov_b32 s51, exec_lo
	s_delay_alu instid0(VALU_DEP_2)
	v_cmpx_ne_u32_e32 0x7f, v53
	s_cbranch_execz .LBB295_214
; %bb.211:                              ;   in Loop: Header=BB295_13 Depth=1
	v_and_b32_e32 v3, 7, v52
	v_lshrrev_b32_e32 v51, 3, v53
	s_mov_b32 s52, exec_lo
	v_cmpx_gt_u32_e32 8, v53
; %bb.212:                              ;   in Loop: Header=BB295_13 Depth=1
	s_delay_alu instid0(VALU_DEP_3) | instskip(NEXT) | instid1(VALU_DEP_1)
	v_clz_i32_u32_e32 v51, v3
	v_min_u32_e32 v51, 32, v51
	s_delay_alu instid0(VALU_DEP_1) | instskip(SKIP_1) | instid1(VALU_DEP_2)
	v_subrev_nc_u32_e32 v53, 28, v51
	v_sub_nc_u32_e32 v51, 29, v51
	v_lshlrev_b64 v[53:54], v53, v[3:4]
	s_delay_alu instid0(VALU_DEP_1)
	v_and_b32_e32 v3, 7, v53
; %bb.213:                              ;   in Loop: Header=BB295_13 Depth=1
	s_or_b32 exec_lo, exec_lo, s52
	v_lshlrev_b32_e32 v53, 8, v52
	v_lshl_add_u32 v51, v51, 10, 0x2000
	s_delay_alu instid0(VALU_DEP_1) | instskip(NEXT) | instid1(VALU_DEP_1)
	v_and_or_b32 v51, 0x8000, v53, v51
	v_lshl_or_b32 v3, v3, 7, v51
	s_delay_alu instid0(VALU_DEP_1)
	v_cvt_f32_f16_e32 v51, v3
.LBB295_214:                            ;   in Loop: Header=BB295_13 Depth=1
	s_or_b32 exec_lo, exec_lo, s51
.LBB295_215:                            ;   in Loop: Header=BB295_13 Depth=1
	s_delay_alu instid0(SALU_CYCLE_1)
	s_or_b32 exec_lo, exec_lo, s50
.LBB295_216:                            ;   in Loop: Header=BB295_13 Depth=1
	s_delay_alu instid0(SALU_CYCLE_1) | instskip(SKIP_2) | instid1(VALU_DEP_1)
	s_or_b32 exec_lo, exec_lo, s49
	v_lshrrev_b16 v3, 8, v52
	s_mov_b32 s49, exec_lo
	v_cmpx_ne_u16_e32 0, v3
	s_cbranch_execz .LBB295_224
; %bb.217:                              ;   in Loop: Header=BB295_13 Depth=1
	v_bfrev_b32_e32 v50, 1
	s_mov_b32 s50, exec_lo
	v_cmpx_ne_u16_e32 0x80, v3
	s_cbranch_execz .LBB295_223
; %bb.218:                              ;   in Loop: Header=BB295_13 Depth=1
	v_and_b32_e32 v52, 0xffff, v3
	v_mov_b32_e32 v50, 0x7fc02000
	s_mov_b32 s51, exec_lo
	s_delay_alu instid0(VALU_DEP_2) | instskip(NEXT) | instid1(VALU_DEP_1)
	v_and_b32_e32 v53, 0x7f, v52
	v_cmpx_ne_u32_e32 0x7f, v53
	s_cbranch_execz .LBB295_222
; %bb.219:                              ;   in Loop: Header=BB295_13 Depth=1
	v_and_b32_e32 v3, 7, v52
	v_lshrrev_b32_e32 v50, 3, v53
	s_mov_b32 s52, exec_lo
	v_cmpx_gt_u32_e32 8, v53
; %bb.220:                              ;   in Loop: Header=BB295_13 Depth=1
	s_delay_alu instid0(VALU_DEP_3) | instskip(NEXT) | instid1(VALU_DEP_1)
	v_clz_i32_u32_e32 v50, v3
	v_min_u32_e32 v50, 32, v50
	s_delay_alu instid0(VALU_DEP_1) | instskip(SKIP_1) | instid1(VALU_DEP_2)
	v_subrev_nc_u32_e32 v53, 28, v50
	v_sub_nc_u32_e32 v50, 29, v50
	v_lshlrev_b64 v[53:54], v53, v[3:4]
	s_delay_alu instid0(VALU_DEP_1)
	v_and_b32_e32 v3, 7, v53
; %bb.221:                              ;   in Loop: Header=BB295_13 Depth=1
	s_or_b32 exec_lo, exec_lo, s52
	v_lshlrev_b32_e32 v52, 8, v52
	v_lshl_add_u32 v50, v50, 10, 0x2000
	s_delay_alu instid0(VALU_DEP_1) | instskip(NEXT) | instid1(VALU_DEP_1)
	v_and_or_b32 v50, 0x8000, v52, v50
	v_lshl_or_b32 v3, v3, 7, v50
	s_delay_alu instid0(VALU_DEP_1)
	v_cvt_f32_f16_e32 v50, v3
.LBB295_222:                            ;   in Loop: Header=BB295_13 Depth=1
	s_or_b32 exec_lo, exec_lo, s51
.LBB295_223:                            ;   in Loop: Header=BB295_13 Depth=1
	s_delay_alu instid0(SALU_CYCLE_1)
	s_or_b32 exec_lo, exec_lo, s50
.LBB295_224:                            ;   in Loop: Header=BB295_13 Depth=1
	s_delay_alu instid0(SALU_CYCLE_1) | instskip(SKIP_4) | instid1(VALU_DEP_2)
	s_or_b32 exec_lo, exec_lo, s49
	global_load_u16 v3, v[9:10], off offset:776
	s_waitcnt vmcnt(0)
	v_dual_mov_b32 v52, 0 :: v_dual_and_b32 v53, 0xff, v3
	v_and_b32_e32 v54, 0xffff, v3
	v_cmp_ne_u16_e64 s1, 0, v53
	v_mov_b32_e32 v53, 0
	s_delay_alu instid0(VALU_DEP_2)
	s_and_saveexec_b32 s49, s1
	s_cbranch_execz .LBB295_232
; %bb.225:                              ;   in Loop: Header=BB295_13 Depth=1
	v_and_b32_e32 v3, 0xff, v54
	v_bfrev_b32_e32 v53, 1
	s_mov_b32 s50, exec_lo
	s_delay_alu instid0(VALU_DEP_2)
	v_cmpx_ne_u16_e32 0x80, v3
	s_cbranch_execz .LBB295_231
; %bb.226:                              ;   in Loop: Header=BB295_13 Depth=1
	v_and_b32_e32 v55, 0x7f, v54
	v_mov_b32_e32 v53, 0x7fc02000
	s_mov_b32 s51, exec_lo
	s_delay_alu instid0(VALU_DEP_2)
	v_cmpx_ne_u32_e32 0x7f, v55
	s_cbranch_execz .LBB295_230
; %bb.227:                              ;   in Loop: Header=BB295_13 Depth=1
	v_and_b32_e32 v3, 7, v54
	v_lshrrev_b32_e32 v53, 3, v55
	s_mov_b32 s52, exec_lo
	v_cmpx_gt_u32_e32 8, v55
; %bb.228:                              ;   in Loop: Header=BB295_13 Depth=1
	s_delay_alu instid0(VALU_DEP_3) | instskip(NEXT) | instid1(VALU_DEP_1)
	v_clz_i32_u32_e32 v53, v3
	v_min_u32_e32 v53, 32, v53
	s_delay_alu instid0(VALU_DEP_1) | instskip(SKIP_1) | instid1(VALU_DEP_2)
	v_subrev_nc_u32_e32 v55, 28, v53
	v_sub_nc_u32_e32 v53, 29, v53
	v_lshlrev_b64 v[55:56], v55, v[3:4]
	s_delay_alu instid0(VALU_DEP_1)
	v_and_b32_e32 v3, 7, v55
; %bb.229:                              ;   in Loop: Header=BB295_13 Depth=1
	s_or_b32 exec_lo, exec_lo, s52
	v_lshlrev_b32_e32 v55, 8, v54
	v_lshl_add_u32 v53, v53, 10, 0x2000
	s_delay_alu instid0(VALU_DEP_1) | instskip(NEXT) | instid1(VALU_DEP_1)
	v_and_or_b32 v53, 0x8000, v55, v53
	v_lshl_or_b32 v3, v3, 7, v53
	s_delay_alu instid0(VALU_DEP_1)
	v_cvt_f32_f16_e32 v53, v3
.LBB295_230:                            ;   in Loop: Header=BB295_13 Depth=1
	s_or_b32 exec_lo, exec_lo, s51
.LBB295_231:                            ;   in Loop: Header=BB295_13 Depth=1
	s_delay_alu instid0(SALU_CYCLE_1)
	s_or_b32 exec_lo, exec_lo, s50
.LBB295_232:                            ;   in Loop: Header=BB295_13 Depth=1
	s_delay_alu instid0(SALU_CYCLE_1) | instskip(SKIP_2) | instid1(VALU_DEP_1)
	s_or_b32 exec_lo, exec_lo, s49
	v_lshrrev_b16 v3, 8, v54
	s_mov_b32 s49, exec_lo
	v_cmpx_ne_u16_e32 0, v3
	s_cbranch_execz .LBB295_240
; %bb.233:                              ;   in Loop: Header=BB295_13 Depth=1
	v_bfrev_b32_e32 v52, 1
	s_mov_b32 s50, exec_lo
	v_cmpx_ne_u16_e32 0x80, v3
	s_cbranch_execz .LBB295_239
; %bb.234:                              ;   in Loop: Header=BB295_13 Depth=1
	v_and_b32_e32 v54, 0xffff, v3
	v_mov_b32_e32 v52, 0x7fc02000
	s_mov_b32 s51, exec_lo
	s_delay_alu instid0(VALU_DEP_2) | instskip(NEXT) | instid1(VALU_DEP_1)
	v_and_b32_e32 v55, 0x7f, v54
	v_cmpx_ne_u32_e32 0x7f, v55
	s_cbranch_execz .LBB295_238
; %bb.235:                              ;   in Loop: Header=BB295_13 Depth=1
	v_and_b32_e32 v3, 7, v54
	v_lshrrev_b32_e32 v52, 3, v55
	s_mov_b32 s52, exec_lo
	v_cmpx_gt_u32_e32 8, v55
; %bb.236:                              ;   in Loop: Header=BB295_13 Depth=1
	s_delay_alu instid0(VALU_DEP_3) | instskip(NEXT) | instid1(VALU_DEP_1)
	v_clz_i32_u32_e32 v52, v3
	v_min_u32_e32 v52, 32, v52
	s_delay_alu instid0(VALU_DEP_1) | instskip(SKIP_1) | instid1(VALU_DEP_2)
	v_subrev_nc_u32_e32 v55, 28, v52
	v_sub_nc_u32_e32 v52, 29, v52
	v_lshlrev_b64 v[55:56], v55, v[3:4]
	s_delay_alu instid0(VALU_DEP_1)
	v_and_b32_e32 v3, 7, v55
; %bb.237:                              ;   in Loop: Header=BB295_13 Depth=1
	s_or_b32 exec_lo, exec_lo, s52
	v_lshlrev_b32_e32 v54, 8, v54
	v_lshl_add_u32 v52, v52, 10, 0x2000
	s_delay_alu instid0(VALU_DEP_1) | instskip(NEXT) | instid1(VALU_DEP_1)
	v_and_or_b32 v52, 0x8000, v54, v52
	v_lshl_or_b32 v3, v3, 7, v52
	s_delay_alu instid0(VALU_DEP_1)
	v_cvt_f32_f16_e32 v52, v3
.LBB295_238:                            ;   in Loop: Header=BB295_13 Depth=1
	s_or_b32 exec_lo, exec_lo, s51
.LBB295_239:                            ;   in Loop: Header=BB295_13 Depth=1
	s_delay_alu instid0(SALU_CYCLE_1)
	s_or_b32 exec_lo, exec_lo, s50
.LBB295_240:                            ;   in Loop: Header=BB295_13 Depth=1
	s_delay_alu instid0(SALU_CYCLE_1) | instskip(SKIP_4) | instid1(VALU_DEP_2)
	s_or_b32 exec_lo, exec_lo, s49
	global_load_u16 v3, v[9:10], off offset:896
	s_waitcnt vmcnt(0)
	v_dual_mov_b32 v54, 0 :: v_dual_and_b32 v55, 0xff, v3
	v_and_b32_e32 v56, 0xffff, v3
	v_cmp_ne_u16_e64 s1, 0, v55
	v_mov_b32_e32 v55, 0
	s_delay_alu instid0(VALU_DEP_2)
	s_and_saveexec_b32 s49, s1
	s_cbranch_execz .LBB295_248
; %bb.241:                              ;   in Loop: Header=BB295_13 Depth=1
	v_and_b32_e32 v3, 0xff, v56
	v_bfrev_b32_e32 v55, 1
	s_mov_b32 s50, exec_lo
	s_delay_alu instid0(VALU_DEP_2)
	v_cmpx_ne_u16_e32 0x80, v3
	s_cbranch_execz .LBB295_247
; %bb.242:                              ;   in Loop: Header=BB295_13 Depth=1
	v_and_b32_e32 v57, 0x7f, v56
	v_mov_b32_e32 v55, 0x7fc02000
	s_mov_b32 s51, exec_lo
	s_delay_alu instid0(VALU_DEP_2)
	v_cmpx_ne_u32_e32 0x7f, v57
	s_cbranch_execz .LBB295_246
; %bb.243:                              ;   in Loop: Header=BB295_13 Depth=1
	v_and_b32_e32 v3, 7, v56
	v_lshrrev_b32_e32 v55, 3, v57
	s_mov_b32 s52, exec_lo
	v_cmpx_gt_u32_e32 8, v57
; %bb.244:                              ;   in Loop: Header=BB295_13 Depth=1
	s_delay_alu instid0(VALU_DEP_3) | instskip(NEXT) | instid1(VALU_DEP_1)
	v_clz_i32_u32_e32 v55, v3
	v_min_u32_e32 v55, 32, v55
	s_delay_alu instid0(VALU_DEP_1) | instskip(SKIP_1) | instid1(VALU_DEP_2)
	v_subrev_nc_u32_e32 v57, 28, v55
	v_sub_nc_u32_e32 v55, 29, v55
	v_lshlrev_b64 v[57:58], v57, v[3:4]
	s_delay_alu instid0(VALU_DEP_1)
	v_and_b32_e32 v3, 7, v57
; %bb.245:                              ;   in Loop: Header=BB295_13 Depth=1
	s_or_b32 exec_lo, exec_lo, s52
	v_lshlrev_b32_e32 v57, 8, v56
	v_lshl_add_u32 v55, v55, 10, 0x2000
	s_delay_alu instid0(VALU_DEP_1) | instskip(NEXT) | instid1(VALU_DEP_1)
	v_and_or_b32 v55, 0x8000, v57, v55
	v_lshl_or_b32 v3, v3, 7, v55
	s_delay_alu instid0(VALU_DEP_1)
	v_cvt_f32_f16_e32 v55, v3
.LBB295_246:                            ;   in Loop: Header=BB295_13 Depth=1
	s_or_b32 exec_lo, exec_lo, s51
.LBB295_247:                            ;   in Loop: Header=BB295_13 Depth=1
	s_delay_alu instid0(SALU_CYCLE_1)
	s_or_b32 exec_lo, exec_lo, s50
.LBB295_248:                            ;   in Loop: Header=BB295_13 Depth=1
	s_delay_alu instid0(SALU_CYCLE_1) | instskip(SKIP_2) | instid1(VALU_DEP_1)
	s_or_b32 exec_lo, exec_lo, s49
	v_lshrrev_b16 v3, 8, v56
	s_mov_b32 s49, exec_lo
	v_cmpx_ne_u16_e32 0, v3
	s_cbranch_execz .LBB295_256
; %bb.249:                              ;   in Loop: Header=BB295_13 Depth=1
	v_bfrev_b32_e32 v54, 1
	s_mov_b32 s50, exec_lo
	v_cmpx_ne_u16_e32 0x80, v3
	s_cbranch_execz .LBB295_255
; %bb.250:                              ;   in Loop: Header=BB295_13 Depth=1
	v_and_b32_e32 v56, 0xffff, v3
	v_mov_b32_e32 v54, 0x7fc02000
	s_mov_b32 s51, exec_lo
	s_delay_alu instid0(VALU_DEP_2) | instskip(NEXT) | instid1(VALU_DEP_1)
	v_and_b32_e32 v57, 0x7f, v56
	v_cmpx_ne_u32_e32 0x7f, v57
	s_cbranch_execz .LBB295_254
; %bb.251:                              ;   in Loop: Header=BB295_13 Depth=1
	v_and_b32_e32 v3, 7, v56
	v_lshrrev_b32_e32 v54, 3, v57
	s_mov_b32 s52, exec_lo
	v_cmpx_gt_u32_e32 8, v57
; %bb.252:                              ;   in Loop: Header=BB295_13 Depth=1
	s_delay_alu instid0(VALU_DEP_3) | instskip(NEXT) | instid1(VALU_DEP_1)
	v_clz_i32_u32_e32 v54, v3
	v_min_u32_e32 v54, 32, v54
	s_delay_alu instid0(VALU_DEP_1) | instskip(SKIP_1) | instid1(VALU_DEP_2)
	v_subrev_nc_u32_e32 v57, 28, v54
	v_sub_nc_u32_e32 v54, 29, v54
	v_lshlrev_b64 v[57:58], v57, v[3:4]
	s_delay_alu instid0(VALU_DEP_1)
	v_and_b32_e32 v3, 7, v57
; %bb.253:                              ;   in Loop: Header=BB295_13 Depth=1
	s_or_b32 exec_lo, exec_lo, s52
	v_lshlrev_b32_e32 v56, 8, v56
	v_lshl_add_u32 v54, v54, 10, 0x2000
	s_delay_alu instid0(VALU_DEP_1) | instskip(NEXT) | instid1(VALU_DEP_1)
	v_and_or_b32 v54, 0x8000, v56, v54
	v_lshl_or_b32 v3, v3, 7, v54
	s_delay_alu instid0(VALU_DEP_1)
	v_cvt_f32_f16_e32 v54, v3
.LBB295_254:                            ;   in Loop: Header=BB295_13 Depth=1
	s_or_b32 exec_lo, exec_lo, s51
.LBB295_255:                            ;   in Loop: Header=BB295_13 Depth=1
	s_delay_alu instid0(SALU_CYCLE_1)
	s_or_b32 exec_lo, exec_lo, s50
.LBB295_256:                            ;   in Loop: Header=BB295_13 Depth=1
	s_delay_alu instid0(SALU_CYCLE_1) | instskip(SKIP_4) | instid1(VALU_DEP_2)
	s_or_b32 exec_lo, exec_lo, s49
	global_load_u16 v3, v[9:10], off offset:904
	s_waitcnt vmcnt(0)
	v_dual_mov_b32 v9, 0 :: v_dual_and_b32 v10, 0xff, v3
	v_and_b32_e32 v56, 0xffff, v3
	v_cmp_ne_u16_e64 s1, 0, v10
	v_mov_b32_e32 v10, 0
	s_delay_alu instid0(VALU_DEP_2)
	s_and_saveexec_b32 s49, s1
	s_cbranch_execz .LBB295_264
; %bb.257:                              ;   in Loop: Header=BB295_13 Depth=1
	v_and_b32_e32 v3, 0xff, v56
	v_bfrev_b32_e32 v10, 1
	s_mov_b32 s50, exec_lo
	s_delay_alu instid0(VALU_DEP_2)
	v_cmpx_ne_u16_e32 0x80, v3
	s_cbranch_execz .LBB295_263
; %bb.258:                              ;   in Loop: Header=BB295_13 Depth=1
	v_and_b32_e32 v57, 0x7f, v56
	v_mov_b32_e32 v10, 0x7fc02000
	s_mov_b32 s51, exec_lo
	s_delay_alu instid0(VALU_DEP_2)
	v_cmpx_ne_u32_e32 0x7f, v57
	s_cbranch_execz .LBB295_262
; %bb.259:                              ;   in Loop: Header=BB295_13 Depth=1
	v_and_b32_e32 v3, 7, v56
	v_lshrrev_b32_e32 v10, 3, v57
	s_mov_b32 s52, exec_lo
	v_cmpx_gt_u32_e32 8, v57
; %bb.260:                              ;   in Loop: Header=BB295_13 Depth=1
	s_delay_alu instid0(VALU_DEP_3) | instskip(NEXT) | instid1(VALU_DEP_1)
	v_clz_i32_u32_e32 v10, v3
	v_min_u32_e32 v10, 32, v10
	s_delay_alu instid0(VALU_DEP_1) | instskip(SKIP_1) | instid1(VALU_DEP_2)
	v_subrev_nc_u32_e32 v57, 28, v10
	v_sub_nc_u32_e32 v10, 29, v10
	v_lshlrev_b64 v[57:58], v57, v[3:4]
	s_delay_alu instid0(VALU_DEP_1)
	v_and_b32_e32 v3, 7, v57
; %bb.261:                              ;   in Loop: Header=BB295_13 Depth=1
	s_or_b32 exec_lo, exec_lo, s52
	v_lshlrev_b32_e32 v57, 8, v56
	v_lshl_add_u32 v10, v10, 10, 0x2000
	s_delay_alu instid0(VALU_DEP_1) | instskip(NEXT) | instid1(VALU_DEP_1)
	v_and_or_b32 v10, 0x8000, v57, v10
	v_lshl_or_b32 v3, v3, 7, v10
	s_delay_alu instid0(VALU_DEP_1)
	v_cvt_f32_f16_e32 v10, v3
.LBB295_262:                            ;   in Loop: Header=BB295_13 Depth=1
	s_or_b32 exec_lo, exec_lo, s51
.LBB295_263:                            ;   in Loop: Header=BB295_13 Depth=1
	s_delay_alu instid0(SALU_CYCLE_1)
	s_or_b32 exec_lo, exec_lo, s50
.LBB295_264:                            ;   in Loop: Header=BB295_13 Depth=1
	s_delay_alu instid0(SALU_CYCLE_1) | instskip(SKIP_2) | instid1(VALU_DEP_1)
	s_or_b32 exec_lo, exec_lo, s49
	v_lshrrev_b16 v3, 8, v56
	s_mov_b32 s49, exec_lo
	v_cmpx_ne_u16_e32 0, v3
	s_cbranch_execz .LBB295_272
; %bb.265:                              ;   in Loop: Header=BB295_13 Depth=1
	v_bfrev_b32_e32 v9, 1
	s_mov_b32 s50, exec_lo
	v_cmpx_ne_u16_e32 0x80, v3
	s_cbranch_execz .LBB295_271
; %bb.266:                              ;   in Loop: Header=BB295_13 Depth=1
	v_and_b32_e32 v56, 0xffff, v3
	v_mov_b32_e32 v9, 0x7fc02000
	s_mov_b32 s51, exec_lo
	s_delay_alu instid0(VALU_DEP_2) | instskip(NEXT) | instid1(VALU_DEP_1)
	v_and_b32_e32 v57, 0x7f, v56
	v_cmpx_ne_u32_e32 0x7f, v57
	s_cbranch_execz .LBB295_270
; %bb.267:                              ;   in Loop: Header=BB295_13 Depth=1
	v_and_b32_e32 v3, 7, v56
	v_lshrrev_b32_e32 v9, 3, v57
	s_mov_b32 s52, exec_lo
	v_cmpx_gt_u32_e32 8, v57
; %bb.268:                              ;   in Loop: Header=BB295_13 Depth=1
	s_delay_alu instid0(VALU_DEP_3) | instskip(NEXT) | instid1(VALU_DEP_1)
	v_clz_i32_u32_e32 v9, v3
	v_min_u32_e32 v9, 32, v9
	s_delay_alu instid0(VALU_DEP_1) | instskip(SKIP_1) | instid1(VALU_DEP_2)
	v_subrev_nc_u32_e32 v57, 28, v9
	v_sub_nc_u32_e32 v9, 29, v9
	v_lshlrev_b64 v[57:58], v57, v[3:4]
	s_delay_alu instid0(VALU_DEP_1)
	v_and_b32_e32 v3, 7, v57
; %bb.269:                              ;   in Loop: Header=BB295_13 Depth=1
	s_or_b32 exec_lo, exec_lo, s52
	v_lshlrev_b32_e32 v56, 8, v56
	v_lshl_add_u32 v9, v9, 10, 0x2000
	s_delay_alu instid0(VALU_DEP_1) | instskip(NEXT) | instid1(VALU_DEP_1)
	v_and_or_b32 v9, 0x8000, v56, v9
	v_lshl_or_b32 v3, v3, 7, v9
	s_delay_alu instid0(VALU_DEP_1)
	v_cvt_f32_f16_e32 v9, v3
.LBB295_270:                            ;   in Loop: Header=BB295_13 Depth=1
	s_or_b32 exec_lo, exec_lo, s51
.LBB295_271:                            ;   in Loop: Header=BB295_13 Depth=1
	s_delay_alu instid0(SALU_CYCLE_1)
	s_or_b32 exec_lo, exec_lo, s50
.LBB295_272:                            ;   in Loop: Header=BB295_13 Depth=1
	s_delay_alu instid0(SALU_CYCLE_1)
	s_or_b32 exec_lo, exec_lo, s49
	ds_load_b32 v3, v18
	v_fma_mixlo_f16 v27, v25, v27, 0
	v_fma_mixlo_f16 v26, v25, v26, 0
	;; [unrolled: 1-line block ×5, first 2 shown]
	v_and_b32_e32 v27, 0xffff, v27
	v_fma_mixlo_f16 v30, v25, v30, 0
	v_fma_mixlo_f16 v33, v25, v33, 0
	v_and_b32_e32 v28, 0xffff, v28
	v_fma_mixlo_f16 v32, v25, v32, 0
	v_fma_mixlo_f16 v35, v25, v35, 0
	;; [unrolled: 3-line block ×4, first 2 shown]
	v_and_b32_e32 v34, 0xffff, v34
	v_fma_mixlo_f16 v38, v25, v38, 0
	s_waitcnt lgkmcnt(0)
	v_and_b32_e32 v56, 0xffff, v3
	v_lshrrev_b32_e32 v3, 16, v3
	;;#ASMSTART
	v_cvt_f32_f16 v56, v56;
	;;#ASMEND
	;;#ASMSTART
	v_cvt_f32_f16 v3, v3;
	;;#ASMEND
	;; [unrolled: 3-line block ×3, first 2 shown]
	v_and_b32_e32 v26, 0xffff, v26
	;;#ASMSTART
	v_cvt_f32_f16 v26, v26;
	;;#ASMEND
	ds_load_b32 v57, v18 offset:4
	v_and_b32_e32 v29, 0xffff, v29
	v_and_b32_e32 v36, 0xffff, v36
	;; [unrolled: 1-line block ×3, first 2 shown]
	v_fma_mixlo_f16 v41, v25, v41, 0
	v_fma_mixlo_f16 v40, v25, v40, 0
	;; [unrolled: 1-line block ×6, first 2 shown]
	v_and_b32_e32 v40, 0xffff, v40
	v_fma_mixlo_f16 v47, v25, v47, 0
	v_and_b32_e32 v42, 0xffff, v42
	v_fma_mixlo_f16 v46, v25, v46, 0
	;; [unrolled: 2-line block ×3, first 2 shown]
	v_fma_mixlo_f16 v48, v25, v48, 0
	v_fma_mixlo_f16 v51, v25, v51, 0
	v_and_b32_e32 v46, 0xffff, v46
	v_fma_mixlo_f16 v50, v25, v50, 0
	s_waitcnt lgkmcnt(0)
	v_and_b32_e32 v58, 0xffff, v57
	v_lshrrev_b32_e32 v57, 16, v57
	;;#ASMSTART
	v_cvt_f32_f16 v58, v58;
	;;#ASMEND
	;;#ASMSTART
	v_cvt_f32_f16 v57, v57;
	;;#ASMEND
	;; [unrolled: 3-line block ×4, first 2 shown]
	ds_load_b32 v59, v18 offset:8
	v_mul_f32_e32 v28, v57, v28
	v_dual_mul_f32 v29, v58, v29 :: v_dual_and_b32 v48, 0xffff, v48
	v_and_b32_e32 v50, 0xffff, v50
	v_fma_mixlo_f16 v10, v25, v10, 0
	s_delay_alu instid0(VALU_DEP_4)
	v_fmac_f32_e32 v28, v3, v26
	v_fma_mixlo_f16 v3, v25, v53, 0
	v_fmac_f32_e32 v29, v56, v27
	v_fma_mixlo_f16 v26, v25, v52, 0
	v_fma_mixlo_f16 v9, v25, v9, 0
	v_and_b32_e32 v10, 0xffff, v10
	s_delay_alu instid0(VALU_DEP_3) | instskip(NEXT) | instid1(VALU_DEP_3)
	v_and_b32_e32 v26, 0xffff, v26
	v_and_b32_e32 v9, 0xffff, v9
	s_waitcnt lgkmcnt(0)
	v_and_b32_e32 v60, 0xffff, v59
	v_lshrrev_b32_e32 v59, 16, v59
	;;#ASMSTART
	v_cvt_f32_f16 v60, v60;
	;;#ASMEND
	;;#ASMSTART
	v_cvt_f32_f16 v59, v59;
	;;#ASMEND
	v_and_b32_e32 v31, 0xffff, v31
	;;#ASMSTART
	v_cvt_f32_f16 v31, v31;
	;;#ASMEND
	;;#ASMSTART
	v_cvt_f32_f16 v30, v30;
	;;#ASMEND
	v_fmac_f32_e32 v28, v59, v30
	ds_load_b32 v61, v18 offset:12
	s_waitcnt lgkmcnt(0)
	v_dual_fmac_f32 v29, v60, v31 :: v_dual_and_b32 v62, 0xffff, v61
	v_lshrrev_b32_e32 v61, 16, v61
	;;#ASMSTART
	v_cvt_f32_f16 v62, v62;
	;;#ASMEND
	;;#ASMSTART
	v_cvt_f32_f16 v61, v61;
	;;#ASMEND
	v_and_b32_e32 v33, 0xffff, v33
	;;#ASMSTART
	v_cvt_f32_f16 v33, v33;
	;;#ASMEND
	;;#ASMSTART
	v_cvt_f32_f16 v32, v32;
	;;#ASMEND
	v_fmac_f32_e32 v28, v61, v32
	ds_load_b32 v63, v18 offset:16
	v_fmac_f32_e32 v29, v62, v33
	v_fma_mixlo_f16 v32, v25, v55, 0
	v_fma_mixlo_f16 v33, v25, v54, 0
	v_xor_b32_e32 v25, 2, v11
	s_delay_alu instid0(VALU_DEP_3) | instskip(NEXT) | instid1(VALU_DEP_3)
	v_and_b32_e32 v32, 0xffff, v32
	v_and_b32_e32 v33, 0xffff, v33
	s_delay_alu instid0(VALU_DEP_3) | instskip(NEXT) | instid1(VALU_DEP_1)
	v_cmp_gt_i32_e64 s1, 32, v25
	v_cndmask_b32_e64 v25, v11, v25, s1
	s_waitcnt lgkmcnt(0)
	v_and_b32_e32 v64, 0xffff, v63
	v_lshrrev_b32_e32 v63, 16, v63
	;;#ASMSTART
	v_cvt_f32_f16 v64, v64;
	;;#ASMEND
	;;#ASMSTART
	v_cvt_f32_f16 v63, v63;
	;;#ASMEND
	v_and_b32_e32 v35, 0xffff, v35
	;;#ASMSTART
	v_cvt_f32_f16 v35, v35;
	;;#ASMEND
	;;#ASMSTART
	v_cvt_f32_f16 v34, v34;
	;;#ASMEND
	v_fmac_f32_e32 v28, v63, v34
	ds_load_b32 v65, v18 offset:20
	s_waitcnt lgkmcnt(0)
	v_dual_fmac_f32 v29, v64, v35 :: v_dual_and_b32 v66, 0xffff, v65
	v_lshrrev_b32_e32 v65, 16, v65
	;;#ASMSTART
	v_cvt_f32_f16 v66, v66;
	;;#ASMEND
	;;#ASMSTART
	v_cvt_f32_f16 v65, v65;
	;;#ASMEND
	v_and_b32_e32 v37, 0xffff, v37
	;;#ASMSTART
	v_cvt_f32_f16 v37, v37;
	;;#ASMEND
	;;#ASMSTART
	v_cvt_f32_f16 v36, v36;
	;;#ASMEND
	v_fmac_f32_e32 v28, v65, v36
	ds_load_b32 v67, v18 offset:24
	s_waitcnt lgkmcnt(0)
	v_dual_fmac_f32 v29, v66, v37 :: v_dual_and_b32 v68, 0xffff, v67
	;; [unrolled: 18-line block ×8, first 2 shown]
	v_lshrrev_b32_e32 v79, 16, v79
	;;#ASMSTART
	v_cvt_f32_f16 v80, v80;
	;;#ASMEND
	;;#ASMSTART
	v_cvt_f32_f16 v79, v79;
	;;#ASMEND
	v_and_b32_e32 v51, 0xffff, v51
	;;#ASMSTART
	v_cvt_f32_f16 v51, v51;
	;;#ASMEND
	;;#ASMSTART
	v_cvt_f32_f16 v50, v50;
	;;#ASMEND
	v_fmac_f32_e32 v28, v79, v50
	ds_load_b32 v81, v18 offset:52
	v_fmac_f32_e32 v29, v80, v51
	s_waitcnt lgkmcnt(0)
	v_and_b32_e32 v27, 0xffff, v81
	v_lshrrev_b32_e32 v30, 16, v81
	;;#ASMSTART
	v_cvt_f32_f16 v27, v27;
	;;#ASMEND
	;;#ASMSTART
	v_cvt_f32_f16 v30, v30;
	;;#ASMEND
	v_and_b32_e32 v3, 0xffff, v3
	;;#ASMSTART
	v_cvt_f32_f16 v3, v3;
	;;#ASMEND
	;;#ASMSTART
	v_cvt_f32_f16 v26, v26;
	;;#ASMEND
	v_fmac_f32_e32 v28, v30, v26
	ds_load_b32 v31, v18 offset:56
	v_fmac_f32_e32 v29, v27, v3
	s_waitcnt lgkmcnt(0)
	v_and_b32_e32 v34, 0xffff, v31
	v_lshrrev_b32_e32 v31, 16, v31
	;;#ASMSTART
	v_cvt_f32_f16 v34, v34;
	;;#ASMEND
	;;#ASMSTART
	v_cvt_f32_f16 v31, v31;
	;;#ASMEND
	;; [unrolled: 3-line block ×4, first 2 shown]
	ds_load_b32 v35, v18 offset:60
	v_fmac_f32_e32 v29, v34, v32
	s_waitcnt lgkmcnt(0)
	v_lshrrev_b32_e32 v3, 16, v35
	v_and_b32_e32 v26, 0xffff, v35
	;;#ASMSTART
	v_cvt_f32_f16 v26, v26;
	;;#ASMEND
	;;#ASMSTART
	v_cvt_f32_f16 v3, v3;
	;;#ASMEND
	;; [unrolled: 3-line block ×3, first 2 shown]
	s_delay_alu instid0(VALU_DEP_1) | instskip(SKIP_2) | instid1(VALU_DEP_1)
	v_fmac_f32_e32 v29, v26, v10
	v_xor_b32_e32 v10, 1, v11
	;;#ASMSTART
	v_cvt_f32_f16 v9, v9;
	;;#ASMEND
	v_cmp_gt_i32_e64 s1, 32, v10
	s_delay_alu instid0(VALU_DEP_1) | instskip(SKIP_1) | instid1(VALU_DEP_1)
	v_cndmask_b32_e64 v10, v11, v10, s1
	v_fmac_f32_e32 v28, v31, v33
	v_fmac_f32_e32 v28, v3, v9
	v_lshlrev_b32_e32 v3, 2, v25
	s_delay_alu instid0(VALU_DEP_2)
	v_add_f32_e32 v9, v29, v28
	ds_bpermute_b32 v3, v3, v9
	s_waitcnt lgkmcnt(0)
	v_add_f32_e32 v3, v9, v3
	v_lshlrev_b32_e32 v9, 2, v10
	ds_bpermute_b32 v9, v9, v3
	s_and_saveexec_b32 s49, vcc_lo
	s_cbranch_execz .LBB295_11
; %bb.273:                              ;   in Loop: Header=BB295_13 Depth=1
	s_waitcnt lgkmcnt(0)
	v_dual_add_f32 v3, v3, v9 :: v_dual_add_nc_u32 v10, v21, v19
	s_delay_alu instid0(VALU_DEP_1) | instskip(NEXT) | instid1(VALU_DEP_1)
	v_cvt_f32_i32_e32 v10, v10
	v_mul_f32_e32 v10, s44, v10
	s_delay_alu instid0(VALU_DEP_1) | instskip(SKIP_1) | instid1(VALU_DEP_2)
	v_cndmask_b32_e64 v9, 0, v10, s0
	v_max_f32_e32 v10, v15, v15
	v_fmac_f32_e32 v9, s39, v3
	s_delay_alu instid0(VALU_DEP_1) | instskip(NEXT) | instid1(VALU_DEP_1)
	v_dual_max_f32 v10, v10, v9 :: v_dual_add_nc_u32 v3, v16, v19
	v_cmp_gt_i32_e64 s1, s15, v3
	s_delay_alu instid0(VALU_DEP_1) | instskip(NEXT) | instid1(VALU_DEP_3)
	v_cndmask_b32_e64 v3, 0, v9, s1
	v_cndmask_b32_e64 v15, v15, v10, s1
	ds_store_b32 v22, v3
	s_branch .LBB295_11
.LBB295_274:
	s_or_b32 exec_lo, exec_lo, s47
.LBB295_275:
	s_delay_alu instid0(SALU_CYCLE_1) | instskip(SKIP_3) | instid1(VALU_DEP_3)
	s_or_b32 exec_lo, exec_lo, s6
	v_xor_b32_e32 v3, 16, v11
	v_xor_b32_e32 v5, 8, v11
	v_max_f32_e32 v7, v15, v15
	v_cmp_gt_i32_e32 vcc_lo, 32, v3
	v_cndmask_b32_e32 v3, v11, v3, vcc_lo
	s_delay_alu instid0(VALU_DEP_4) | instskip(SKIP_1) | instid1(VALU_DEP_1)
	v_cmp_gt_i32_e32 vcc_lo, 32, v5
	v_cndmask_b32_e32 v5, v11, v5, vcc_lo
	v_lshlrev_b32_e32 v6, 2, v5
	s_delay_alu instid0(VALU_DEP_4) | instskip(SKIP_4) | instid1(VALU_DEP_1)
	v_lshlrev_b32_e32 v4, 2, v3
	ds_bpermute_b32 v3, v4, v15
	v_and_b32_e32 v15, 31, v0
	s_waitcnt lgkmcnt(0)
	v_max_f32_e32 v3, v3, v3
	v_max_f32_e32 v3, v7, v3
	v_xor_b32_e32 v7, 4, v11
	ds_bpermute_b32 v5, v6, v3
	v_cmp_gt_i32_e32 vcc_lo, 32, v7
	v_cndmask_b32_e32 v7, v11, v7, vcc_lo
	v_cmp_eq_u32_e32 vcc_lo, 0, v15
	s_delay_alu instid0(VALU_DEP_2) | instskip(SKIP_3) | instid1(VALU_DEP_1)
	v_lshlrev_b32_e32 v9, 2, v7
	v_lshlrev_b32_e32 v7, 2, v13
	s_waitcnt lgkmcnt(0)
	v_max_f32_e32 v5, v5, v5
	v_max_f32_e32 v3, v3, v5
	ds_bpermute_b32 v5, v9, v3
	s_and_saveexec_b32 s0, vcc_lo
	s_cbranch_execz .LBB295_277
; %bb.276:
	s_waitcnt lgkmcnt(0)
	v_max_f32_e32 v5, v5, v5
	v_max_f32_e32 v3, v3, v3
	s_delay_alu instid0(VALU_DEP_1)
	v_max_f32_e32 v3, v3, v5
	ds_store_b32 v7, v3 offset:256
.LBB295_277:
	s_or_b32 exec_lo, exec_lo, s0
	v_cmp_gt_u32_e64 s0, 4, v15
	v_dual_mov_b32 v3, 0xff7fffff :: v_dual_lshlrev_b32 v8, 2, v15
	s_waitcnt lgkmcnt(0)
	s_barrier
	buffer_gl0_inv
	s_and_saveexec_b32 s1, s0
	s_cbranch_execz .LBB295_279
; %bb.278:
	ds_load_b32 v3, v8 offset:256
.LBB295_279:
	s_or_b32 exec_lo, exec_lo, s1
	v_xor_b32_e32 v5, 2, v11
	v_xor_b32_e32 v16, 1, v11
	s_delay_alu instid0(VALU_DEP_2) | instskip(NEXT) | instid1(VALU_DEP_1)
	v_cmp_gt_i32_e64 s1, 32, v5
	v_cndmask_b32_e64 v5, v11, v5, s1
	s_delay_alu instid0(VALU_DEP_3) | instskip(NEXT) | instid1(VALU_DEP_2)
	v_cmp_gt_i32_e64 s1, 32, v16
	v_lshlrev_b32_e32 v10, 2, v5
	s_delay_alu instid0(VALU_DEP_2)
	v_cndmask_b32_e64 v11, v11, v16, s1
	s_sub_i32 s1, s38, s7
	v_mov_b32_e32 v16, 0
	s_lshl_b32 s1, s1, 3
	s_waitcnt lgkmcnt(0)
	ds_bpermute_b32 v5, v10, v3
	v_max_f32_e32 v3, v3, v3
	v_lshlrev_b32_e32 v11, 2, v11
	s_add_i32 s1, s1, s40
	s_delay_alu instid0(SALU_CYCLE_1) | instskip(NEXT) | instid1(SALU_CYCLE_1)
	s_min_i32 s1, s1, s15
	s_sub_i32 s6, s1, s40
	s_delay_alu instid0(SALU_CYCLE_1) | instskip(SKIP_2) | instid1(VALU_DEP_1)
	v_cmp_gt_i32_e64 s1, s6, v0
	s_waitcnt lgkmcnt(0)
	v_max_f32_e32 v5, v5, v5
	v_max_f32_e32 v3, v3, v5
	ds_bpermute_b32 v5, v11, v3
	s_waitcnt lgkmcnt(0)
	v_max_f32_e32 v5, v5, v5
	s_delay_alu instid0(VALU_DEP_1)
	v_max_f32_e32 v3, v3, v5
	v_lshl_add_u32 v5, v0, 2, 0x120
	ds_bpermute_b32 v3, v16, v3
	s_and_saveexec_b32 s7, s1
	s_cbranch_execz .LBB295_283
; %bb.280:
	v_lshl_add_u32 v17, v0, 2, 0x120
	v_mov_b32_e32 v16, 0
	v_mov_b32_e32 v18, v0
	s_mov_b32 s8, 0
	.p2align	6
.LBB295_281:                            ; =>This Inner Loop Header: Depth=1
	ds_load_b32 v19, v17
	v_add_nc_u32_e32 v18, 0x80, v18
	s_delay_alu instid0(VALU_DEP_1) | instskip(NEXT) | instid1(VALU_DEP_1)
	v_cmp_le_i32_e64 s4, s6, v18
	s_or_b32 s8, s4, s8
	s_waitcnt lgkmcnt(0)
	v_sub_f32_e32 v19, v19, v3
	s_delay_alu instid0(VALU_DEP_1) | instskip(NEXT) | instid1(VALU_DEP_1)
	v_mul_f32_e32 v19, 0x3fb8aa3b, v19
	v_exp_f32_e32 v19, v19
	ds_store_b32 v17, v19
	v_dual_add_f32 v16, v16, v19 :: v_dual_add_nc_u32 v17, 0x200, v17
	s_and_not1_b32 exec_lo, exec_lo, s8
	s_cbranch_execnz .LBB295_281
; %bb.282:
	s_or_b32 exec_lo, exec_lo, s8
.LBB295_283:
	s_delay_alu instid0(SALU_CYCLE_1)
	s_or_b32 exec_lo, exec_lo, s7
	ds_bpermute_b32 v4, v4, v16
	s_waitcnt lgkmcnt(0)
	v_add_f32_e32 v4, v16, v4
	ds_bpermute_b32 v6, v6, v4
	s_waitcnt lgkmcnt(0)
	v_add_f32_e32 v4, v4, v6
	;; [unrolled: 3-line block ×5, first 2 shown]
	s_and_saveexec_b32 s4, vcc_lo
	s_cbranch_execz .LBB295_285
; %bb.284:
	ds_store_b32 v7, v4 offset:272
.LBB295_285:
	s_or_b32 exec_lo, exec_lo, s4
	s_waitcnt lgkmcnt(0)
	s_barrier
	buffer_gl0_inv
	s_and_saveexec_b32 s4, s0
	s_cbranch_execz .LBB295_287
; %bb.286:
	ds_load_b32 v4, v8 offset:272
.LBB295_287:
	s_or_b32 exec_lo, exec_lo, s4
	s_waitcnt lgkmcnt(0)
	ds_bpermute_b32 v6, v10, v4
	s_waitcnt lgkmcnt(0)
	v_add_f32_e32 v4, v4, v6
	ds_bpermute_b32 v6, v11, v4
	s_waitcnt lgkmcnt(0)
	v_add_f32_e32 v4, v4, v6
	v_mov_b32_e32 v6, 0
	ds_bpermute_b32 v4, v6, v4
	s_and_saveexec_b32 s0, s1
	s_cbranch_execz .LBB295_290
; %bb.288:
	s_waitcnt lgkmcnt(0)
	v_add_f32_e32 v6, 0x358637bd, v4
	s_mov_b32 s1, 0
	s_delay_alu instid0(VALU_DEP_1) | instskip(SKIP_1) | instid1(VALU_DEP_2)
	v_div_scale_f32 v7, null, v6, v6, 1.0
	v_div_scale_f32 v10, vcc_lo, 1.0, v6, 1.0
	v_rcp_f32_e32 v8, v7
	s_waitcnt_depctr 0xfff
	v_fma_f32 v9, -v7, v8, 1.0
	s_delay_alu instid0(VALU_DEP_1) | instskip(NEXT) | instid1(VALU_DEP_1)
	v_fmac_f32_e32 v8, v9, v8
	v_mul_f32_e32 v9, v10, v8
	s_delay_alu instid0(VALU_DEP_1) | instskip(NEXT) | instid1(VALU_DEP_1)
	v_fma_f32 v11, -v7, v9, v10
	v_fmac_f32_e32 v9, v11, v8
	s_delay_alu instid0(VALU_DEP_1) | instskip(NEXT) | instid1(VALU_DEP_1)
	v_fma_f32 v7, -v7, v9, v10
	v_div_fmas_f32 v7, v7, v8, v9
	s_delay_alu instid0(VALU_DEP_1)
	v_div_fixup_f32 v6, v7, v6, 1.0
	v_mov_b32_e32 v7, v0
.LBB295_289:                            ; =>This Inner Loop Header: Depth=1
	ds_load_b32 v8, v5
	s_waitcnt lgkmcnt(0)
	v_dual_mul_f32 v8, v6, v8 :: v_dual_add_nc_u32 v7, 0x80, v7
	s_delay_alu instid0(VALU_DEP_1) | instskip(SKIP_3) | instid1(SALU_CYCLE_1)
	v_cmp_le_i32_e32 vcc_lo, s6, v7
	ds_store_b32 v5, v8
	v_add_nc_u32_e32 v5, 0x200, v5
	s_or_b32 s1, vcc_lo, s1
	s_and_not1_b32 exec_lo, exec_lo, s1
	s_cbranch_execnz .LBB295_289
.LBB295_290:
	s_or_b32 exec_lo, exec_lo, s0
	s_mul_i32 s0, s16, s14
	s_waitcnt lgkmcnt(0)
	s_mul_i32 s6, s0, s13
	s_mov_b32 s0, exec_lo
	s_barrier
	buffer_gl0_inv
	v_cmpx_eq_u32_e32 0, v0
	s_cbranch_execz .LBB295_292
; %bb.291:
	s_ashr_i32 s7, s6, 31
	s_mul_i32 s44, s16, s28
	s_lshl_b64 s[8:9], s[6:7], 2
	v_mov_b32_e32 v5, 0
	s_add_u32 s1, s22, s8
	s_addc_u32 s4, s23, s9
	s_ashr_i32 s45, s44, 31
	s_delay_alu instid0(SALU_CYCLE_1) | instskip(NEXT) | instid1(SALU_CYCLE_1)
	s_lshl_b64 s[22:23], s[44:45], 2
	s_add_u32 s1, s1, s22
	s_addc_u32 s4, s4, s23
	s_ashr_i32 s13, s12, 31
	s_delay_alu instid0(SALU_CYCLE_1) | instskip(NEXT) | instid1(SALU_CYCLE_1)
	s_lshl_b64 s[44:45], s[12:13], 2
	s_add_u32 s46, s1, s44
	s_addc_u32 s47, s4, s45
	s_add_u32 s1, s20, s8
	s_addc_u32 s4, s21, s9
	s_add_u32 s1, s1, s22
	s_addc_u32 s4, s4, s23
	s_add_u32 s8, s1, s44
	s_addc_u32 s9, s4, s45
	s_clause 0x1
	global_store_b32 v5, v3, s[46:47]
	global_store_b32 v5, v4, s[8:9]
.LBB295_292:
	s_or_b32 exec_lo, exec_lo, s0
	v_dual_mov_b32 v19, 0 :: v_dual_mov_b32 v18, 0
	v_dual_mov_b32 v17, 0 :: v_dual_mov_b32 v16, 0
	s_mov_b32 s4, 0
	s_and_saveexec_b32 s1, s3
	s_cbranch_execz .LBB295_546
; %bb.293:
	s_sub_i32 s3, s43, s17
	s_ashr_i32 s0, s42, 31
	s_add_u32 s13, s36, s42
	s_addc_u32 s0, s37, s0
	s_abs_i32 s7, s18
	v_lshlrev_b64 v[6:7], 2, v[1:2]
	v_cvt_f32_u32_e32 v3, s7
	s_sub_i32 s14, 0, s7
	v_lshlrev_b32_e32 v4, 3, v15
	s_lshl_b64 s[20:21], s[34:35], 2
	s_add_i32 s41, s41, -1
	v_rcp_iflag_f32_e32 v3, v3
	v_lshl_add_u32 v20, v13, 5, 0x120
	v_dual_mov_b32 v18, 0 :: v_dual_mov_b32 v17, 0
	v_mov_b32_e32 v19, 0
	s_mov_b32 s8, -1
	s_mov_b32 s9, 0xffffff
	s_waitcnt_depctr 0xfff
	v_dual_mov_b32 v16, 0 :: v_dual_mul_f32 v3, 0x4f7ffffe, v3
	s_delay_alu instid0(VALU_DEP_1) | instskip(SKIP_2) | instid1(VALU_DEP_1)
	v_cvt_u32_f32_e32 v8, v3
	v_mov_b32_e32 v3, 0
	v_add_co_u32 v4, s13, s13, v4
	v_add_co_ci_u32_e64 v5, null, s0, 0, s13
	s_delay_alu instid0(VALU_DEP_4)
	v_mul_lo_u32 v2, s14, v8
	s_add_u32 s0, s30, s20
	s_addc_u32 s13, s31, s21
	v_add_co_u32 v6, vcc_lo, s0, v6
	v_add_co_ci_u32_e32 v7, vcc_lo, s13, v7, vcc_lo
	s_mov_b32 s13, s15
	s_delay_alu instid0(VALU_DEP_3) | instskip(NEXT) | instid1(VALU_DEP_1)
	v_mul_hi_u32 v2, v8, v2
	v_add_nc_u32_e32 v21, v8, v2
	s_branch .LBB295_296
.LBB295_294:                            ;   in Loop: Header=BB295_296 Depth=1
	s_or_b32 exec_lo, exec_lo, s0
	;;#ASMSTART
	v_pk_mul_f16 v22, v34, v38;

	;;#ASMEND
	;;#ASMSTART
	v_pk_mul_f16 v9, v33, v9;

	;;#ASMEND
	;; [unrolled: 4-line block ×4, first 2 shown]
	;;#ASMSTART
	v_pk_add_f16 v9, v22, v9;

	;;#ASMEND
	;;#ASMSTART
	v_pk_add_f16 v2, v9, v2;

	;;#ASMEND
	;;#ASMSTART
	v_pk_add_f16 v2, v2, v8;

	;;#ASMEND
	v_dual_add_f32 v9, v10, v11 :: v_dual_and_b32 v8, 0xffff, v2
	v_lshrrev_b32_e32 v2, 16, v2
	;;#ASMSTART
	v_cvt_f32_f16 v8, v8;
	;;#ASMEND
	;;#ASMSTART
	v_cvt_f32_f16 v2, v2;
	;;#ASMEND
	v_dual_add_f32 v10, v35, v36 :: v_dual_add_f32 v11, v29, v30
	s_delay_alu instid0(VALU_DEP_2) | instskip(NEXT) | instid1(VALU_DEP_2)
	v_dual_add_f32 v2, v8, v2 :: v_dual_add_f32 v17, v17, v9
	v_add_f32_e32 v18, v18, v10
	s_delay_alu instid0(VALU_DEP_2)
	v_dual_add_f32 v16, v16, v11 :: v_dual_add_f32 v19, v19, v2
.LBB295_295:                            ;   in Loop: Header=BB295_296 Depth=1
	s_or_b32 exec_lo, exec_lo, s14
	v_add_nc_u32_e32 v1, 4, v1
	v_add_co_u32 v6, s0, v6, 16
	s_delay_alu instid0(VALU_DEP_1) | instskip(NEXT) | instid1(VALU_DEP_3)
	v_add_co_ci_u32_e64 v7, s0, 0, v7, s0
	v_cmp_le_i32_e32 vcc_lo, s38, v1
	v_add_nc_u32_e32 v14, 32, v14
	v_add_nc_u32_e32 v20, 0x80, v20
	s_or_b32 s4, vcc_lo, s4
	s_delay_alu instid0(SALU_CYCLE_1)
	s_and_not1_b32 exec_lo, exec_lo, s4
	s_cbranch_execz .LBB295_545
.LBB295_296:                            ; =>This Inner Loop Header: Depth=1
	v_sub_nc_u32_e32 v2, 0, v14
	s_delay_alu instid0(VALU_DEP_1) | instskip(NEXT) | instid1(VALU_DEP_1)
	v_max_i32_e32 v2, v14, v2
	v_mul_hi_u32 v8, v2, s29
	s_delay_alu instid0(VALU_DEP_1) | instskip(NEXT) | instid1(VALU_DEP_1)
	v_mul_lo_u32 v9, v8, s25
	v_sub_nc_u32_e32 v2, v2, v9
	s_delay_alu instid0(VALU_DEP_1) | instskip(SKIP_1) | instid1(VALU_DEP_2)
	v_subrev_nc_u32_e32 v10, s25, v2
	v_cmp_le_u32_e32 vcc_lo, s25, v2
	v_dual_cndmask_b32 v2, v2, v10 :: v_dual_add_nc_u32 v9, 1, v8
	s_delay_alu instid0(VALU_DEP_1) | instskip(SKIP_1) | instid1(VALU_DEP_3)
	v_cndmask_b32_e32 v8, v8, v9, vcc_lo
	v_ashrrev_i32_e32 v9, 31, v14
	v_cmp_le_u32_e32 vcc_lo, s25, v2
	s_delay_alu instid0(VALU_DEP_3) | instskip(NEXT) | instid1(VALU_DEP_3)
	v_add_nc_u32_e32 v10, 1, v8
	v_xor_b32_e32 v9, s19, v9
	s_delay_alu instid0(VALU_DEP_2) | instskip(NEXT) | instid1(VALU_DEP_1)
	v_cndmask_b32_e32 v2, v8, v10, vcc_lo
	v_xor_b32_e32 v2, v2, v9
	s_delay_alu instid0(VALU_DEP_1) | instskip(NEXT) | instid1(VALU_DEP_1)
	v_sub_nc_u32_e32 v2, v2, v9
	v_add_nc_u32_e32 v8, s33, v2
	v_cmp_lt_i32_e64 s0, s3, v2
	s_delay_alu instid0(VALU_DEP_2) | instskip(NEXT) | instid1(VALU_DEP_1)
	v_sub_nc_u32_e32 v9, 0, v8
	v_max_i32_e32 v9, v8, v9
	v_ashrrev_i32_e32 v8, 31, v8
	s_delay_alu instid0(VALU_DEP_2) | instskip(NEXT) | instid1(VALU_DEP_1)
	v_mul_hi_u32 v10, v9, v21
	v_mul_lo_u32 v10, v10, s7
	s_delay_alu instid0(VALU_DEP_1) | instskip(NEXT) | instid1(VALU_DEP_1)
	v_sub_nc_u32_e32 v9, v9, v10
	v_subrev_nc_u32_e32 v10, s7, v9
	v_cmp_le_u32_e32 vcc_lo, s7, v9
	s_delay_alu instid0(VALU_DEP_2) | instskip(NEXT) | instid1(VALU_DEP_1)
	v_cndmask_b32_e32 v9, v9, v10, vcc_lo
	v_subrev_nc_u32_e32 v10, s7, v9
	v_cmp_le_u32_e32 vcc_lo, s7, v9
	s_delay_alu instid0(VALU_DEP_2) | instskip(NEXT) | instid1(VALU_DEP_1)
	v_cndmask_b32_e32 v9, v9, v10, vcc_lo
	v_xor_b32_e32 v9, v9, v8
	s_delay_alu instid0(VALU_DEP_1) | instskip(NEXT) | instid1(VALU_DEP_1)
	v_sub_nc_u32_e32 v8, v9, v8
	v_cmp_eq_u32_e32 vcc_lo, 0, v8
	s_or_b32 s0, vcc_lo, s0
	s_delay_alu instid0(SALU_CYCLE_1)
	s_and_saveexec_b32 s14, s0
	s_cbranch_execz .LBB295_295
; %bb.297:                              ;   in Loop: Header=BB295_296 Depth=1
	global_load_b32 v2, v[6:7], off
	ds_load_2addr_b64 v[22:25], v20 offset1:1
	ds_load_2addr_b64 v[34:37], v20 offset0:2 offset1:3
	s_mov_b32 s0, exec_lo
	s_waitcnt lgkmcnt(1)
	;;#ASMSTART
	v_cvt_f16_f32 v29, v22;

	;;#ASMEND
	;;#ASMSTART
	v_cvt_f16_f32 v30, v23;

	;;#ASMEND
	;; [unrolled: 4-line block ×4, first 2 shown]
	s_waitcnt lgkmcnt(0)
	;;#ASMSTART
	v_cvt_f16_f32 v34, v34;

	;;#ASMEND
	;;#ASMSTART
	v_cvt_f16_f32 v32, v35;

	;;#ASMEND
	;; [unrolled: 4-line block ×4, first 2 shown]
	v_dual_mov_b32 v24, 0 :: v_dual_mov_b32 v23, 0
	s_waitcnt vmcnt(0)
	v_mad_i64_i32 v[8:9], null, v2, s5, v[4:5]
	global_load_b64 v[10:11], v[8:9], off
	global_load_b32 v22, v3, s[10:11]
	s_waitcnt vmcnt(1)
	v_and_b32_e32 v2, 0xff, v10
	s_delay_alu instid0(VALU_DEP_1)
	v_cmpx_ne_u16_e32 0, v2
	s_cbranch_execz .LBB295_303
; %bb.298:                              ;   in Loop: Header=BB295_296 Depth=1
	v_bfrev_b32_e32 v23, 1
	s_mov_b32 s17, exec_lo
	v_cmpx_ne_u16_e32 0x80, v2
	s_cbranch_execz .LBB295_302
; %bb.299:                              ;   in Loop: Header=BB295_296 Depth=1
	v_and_b32_e32 v2, 0x7f, v10
	v_mov_b32_e32 v23, 0x7fc02000
	s_mov_b32 s18, exec_lo
	s_delay_alu instid0(VALU_DEP_2)
	v_cmpx_ne_u32_e32 0x7f, v2
	s_cbranch_execz .LBB295_301
; %bb.300:                              ;   in Loop: Header=BB295_296 Depth=1
	v_and_b32_e32 v23, 7, v10
	v_cmp_gt_u32_e32 vcc_lo, 8, v2
	v_lshrrev_b32_e32 v25, 3, v2
	s_delay_alu instid0(VALU_DEP_3) | instskip(NEXT) | instid1(VALU_DEP_1)
	v_clz_i32_u32_e32 v23, v23
	v_min_u32_e32 v23, 32, v23
	s_delay_alu instid0(VALU_DEP_1) | instskip(SKIP_1) | instid1(VALU_DEP_1)
	v_subrev_nc_u32_e32 v26, 28, v23
	v_sub_nc_u32_e32 v23, 29, v23
	v_dual_cndmask_b32 v2, 0, v26 :: v_dual_cndmask_b32 v23, v25, v23
	s_delay_alu instid0(VALU_DEP_1) | instskip(SKIP_1) | instid1(VALU_DEP_3)
	v_lshlrev_b64 v[25:26], v2, v[10:11]
	v_lshlrev_b32_e32 v2, 8, v10
	v_lshl_add_u32 v23, v23, 10, 0x2000
	s_delay_alu instid0(VALU_DEP_3) | instskip(NEXT) | instid1(VALU_DEP_2)
	v_lshlrev_b32_e32 v25, 7, v25
	v_and_or_b32 v2, 0x8000, v2, v23
	s_delay_alu instid0(VALU_DEP_1) | instskip(NEXT) | instid1(VALU_DEP_1)
	v_and_or_b32 v2, 0x380, v25, v2
	v_cvt_f32_f16_e32 v23, v2
.LBB295_301:                            ;   in Loop: Header=BB295_296 Depth=1
	s_or_b32 exec_lo, exec_lo, s18
.LBB295_302:                            ;   in Loop: Header=BB295_296 Depth=1
	s_delay_alu instid0(SALU_CYCLE_1)
	s_or_b32 exec_lo, exec_lo, s17
.LBB295_303:                            ;   in Loop: Header=BB295_296 Depth=1
	s_delay_alu instid0(SALU_CYCLE_1) | instskip(SKIP_2) | instid1(VALU_DEP_1)
	s_or_b32 exec_lo, exec_lo, s0
	v_lshrrev_b16 v2, 8, v10
	s_mov_b32 s0, exec_lo
	v_cmpx_ne_u16_e32 0, v2
	s_cbranch_execz .LBB295_311
; %bb.304:                              ;   in Loop: Header=BB295_296 Depth=1
	v_bfrev_b32_e32 v24, 1
	s_mov_b32 s17, exec_lo
	v_cmpx_ne_u16_e32 0x80, v2
	s_cbranch_execz .LBB295_310
; %bb.305:                              ;   in Loop: Header=BB295_296 Depth=1
	v_and_b32_e32 v25, 0xffff, v2
	v_mov_b32_e32 v24, 0x7fc02000
	s_mov_b32 s18, exec_lo
	s_delay_alu instid0(VALU_DEP_2) | instskip(NEXT) | instid1(VALU_DEP_1)
	v_and_b32_e32 v26, 0x7f, v25
	v_cmpx_ne_u32_e32 0x7f, v26
	s_cbranch_execz .LBB295_309
; %bb.306:                              ;   in Loop: Header=BB295_296 Depth=1
	v_and_b32_e32 v2, 7, v25
	v_lshrrev_b32_e32 v24, 3, v26
	s_mov_b32 s20, exec_lo
	v_cmpx_gt_u32_e32 8, v26
; %bb.307:                              ;   in Loop: Header=BB295_296 Depth=1
	s_delay_alu instid0(VALU_DEP_3) | instskip(NEXT) | instid1(VALU_DEP_1)
	v_clz_i32_u32_e32 v24, v2
	v_min_u32_e32 v24, 32, v24
	s_delay_alu instid0(VALU_DEP_1) | instskip(SKIP_1) | instid1(VALU_DEP_2)
	v_subrev_nc_u32_e32 v26, 28, v24
	v_sub_nc_u32_e32 v24, 29, v24
	v_lshlrev_b64 v[26:27], v26, v[2:3]
	s_delay_alu instid0(VALU_DEP_1)
	v_and_b32_e32 v2, 7, v26
; %bb.308:                              ;   in Loop: Header=BB295_296 Depth=1
	s_or_b32 exec_lo, exec_lo, s20
	v_lshlrev_b32_e32 v25, 8, v25
	v_lshl_add_u32 v24, v24, 10, 0x2000
	s_delay_alu instid0(VALU_DEP_1) | instskip(NEXT) | instid1(VALU_DEP_1)
	v_and_or_b32 v24, 0x8000, v25, v24
	v_lshl_or_b32 v2, v2, 7, v24
	s_delay_alu instid0(VALU_DEP_1)
	v_cvt_f32_f16_e32 v24, v2
.LBB295_309:                            ;   in Loop: Header=BB295_296 Depth=1
	s_or_b32 exec_lo, exec_lo, s18
.LBB295_310:                            ;   in Loop: Header=BB295_296 Depth=1
	s_delay_alu instid0(SALU_CYCLE_1)
	s_or_b32 exec_lo, exec_lo, s17
.LBB295_311:                            ;   in Loop: Header=BB295_296 Depth=1
	s_delay_alu instid0(SALU_CYCLE_1) | instskip(SKIP_3) | instid1(VALU_DEP_2)
	s_or_b32 exec_lo, exec_lo, s0
	v_lshrrev_b32_e32 v27, 16, v10
	v_mov_b32_e32 v26, 0
	s_mov_b32 s0, exec_lo
	v_dual_mov_b32 v25, 0 :: v_dual_and_b32 v2, 0xff, v27
	s_delay_alu instid0(VALU_DEP_1)
	v_cmpx_ne_u16_e32 0, v2
	s_cbranch_execz .LBB295_319
; %bb.312:                              ;   in Loop: Header=BB295_296 Depth=1
	v_bfrev_b32_e32 v25, 1
	s_mov_b32 s17, exec_lo
	v_cmpx_ne_u16_e32 0x80, v2
	s_cbranch_execz .LBB295_318
; %bb.313:                              ;   in Loop: Header=BB295_296 Depth=1
	v_bfe_u32 v28, v10, 16, 7
	v_mov_b32_e32 v25, 0x7fc02000
	s_mov_b32 s18, exec_lo
	s_delay_alu instid0(VALU_DEP_2)
	v_cmpx_ne_u32_e32 0x7f, v28
	s_cbranch_execz .LBB295_317
; %bb.314:                              ;   in Loop: Header=BB295_296 Depth=1
	v_and_b32_e32 v2, 7, v27
	v_lshrrev_b32_e32 v25, 3, v28
	s_mov_b32 s20, exec_lo
	v_cmpx_gt_u32_e32 8, v28
; %bb.315:                              ;   in Loop: Header=BB295_296 Depth=1
	s_delay_alu instid0(VALU_DEP_3) | instskip(NEXT) | instid1(VALU_DEP_1)
	v_clz_i32_u32_e32 v25, v2
	v_min_u32_e32 v25, 32, v25
	s_delay_alu instid0(VALU_DEP_1) | instskip(SKIP_1) | instid1(VALU_DEP_2)
	v_subrev_nc_u32_e32 v28, 28, v25
	v_sub_nc_u32_e32 v25, 29, v25
	v_lshlrev_b64 v[37:38], v28, v[2:3]
	s_delay_alu instid0(VALU_DEP_1)
	v_and_b32_e32 v2, 7, v37
; %bb.316:                              ;   in Loop: Header=BB295_296 Depth=1
	s_or_b32 exec_lo, exec_lo, s20
	v_lshlrev_b32_e32 v27, 8, v27
	v_lshl_add_u32 v25, v25, 10, 0x2000
	s_delay_alu instid0(VALU_DEP_1) | instskip(NEXT) | instid1(VALU_DEP_1)
	v_and_or_b32 v25, 0x8000, v27, v25
	v_lshl_or_b32 v2, v2, 7, v25
	s_delay_alu instid0(VALU_DEP_1)
	v_cvt_f32_f16_e32 v25, v2
.LBB295_317:                            ;   in Loop: Header=BB295_296 Depth=1
	s_or_b32 exec_lo, exec_lo, s18
.LBB295_318:                            ;   in Loop: Header=BB295_296 Depth=1
	s_delay_alu instid0(SALU_CYCLE_1)
	s_or_b32 exec_lo, exec_lo, s17
.LBB295_319:                            ;   in Loop: Header=BB295_296 Depth=1
	s_delay_alu instid0(SALU_CYCLE_1) | instskip(NEXT) | instid1(SALU_CYCLE_1)
	s_or_b32 exec_lo, exec_lo, s0
	s_mov_b32 s0, exec_lo
	v_cmpx_lt_u32_e32 0xffffff, v10
	s_cbranch_execz .LBB295_327
; %bb.320:                              ;   in Loop: Header=BB295_296 Depth=1
	v_lshrrev_b32_e32 v27, 24, v10
	v_bfrev_b32_e32 v26, 1
	s_mov_b32 s17, exec_lo
	s_delay_alu instid0(VALU_DEP_2)
	v_cmpx_ne_u32_e32 0x80, v27
	s_cbranch_execz .LBB295_326
; %bb.321:                              ;   in Loop: Header=BB295_296 Depth=1
	v_and_b32_e32 v28, 0x7f, v27
	v_mov_b32_e32 v26, 0x7fc02000
	s_mov_b32 s18, exec_lo
	s_delay_alu instid0(VALU_DEP_2)
	v_cmpx_ne_u32_e32 0x7f, v28
	s_cbranch_execz .LBB295_325
; %bb.322:                              ;   in Loop: Header=BB295_296 Depth=1
	v_and_b32_e32 v2, 7, v27
	v_lshrrev_b32_e32 v26, 3, v28
	s_mov_b32 s20, exec_lo
	v_cmpx_gt_u32_e32 8, v28
; %bb.323:                              ;   in Loop: Header=BB295_296 Depth=1
	s_delay_alu instid0(VALU_DEP_3) | instskip(NEXT) | instid1(VALU_DEP_1)
	v_clz_i32_u32_e32 v26, v2
	v_min_u32_e32 v26, 32, v26
	s_delay_alu instid0(VALU_DEP_1) | instskip(SKIP_1) | instid1(VALU_DEP_2)
	v_subrev_nc_u32_e32 v28, 28, v26
	v_sub_nc_u32_e32 v26, 29, v26
	v_lshlrev_b64 v[37:38], v28, v[2:3]
	s_delay_alu instid0(VALU_DEP_1)
	v_and_b32_e32 v2, 7, v37
; %bb.324:                              ;   in Loop: Header=BB295_296 Depth=1
	s_or_b32 exec_lo, exec_lo, s20
	v_lshlrev_b32_e32 v27, 8, v27
	v_lshl_add_u32 v26, v26, 10, 0x2000
	s_delay_alu instid0(VALU_DEP_1) | instskip(NEXT) | instid1(VALU_DEP_1)
	v_and_or_b32 v26, 0x8000, v27, v26
	v_lshl_or_b32 v2, v2, 7, v26
	s_delay_alu instid0(VALU_DEP_1)
	v_cvt_f32_f16_e32 v26, v2
.LBB295_325:                            ;   in Loop: Header=BB295_296 Depth=1
	s_or_b32 exec_lo, exec_lo, s18
.LBB295_326:                            ;   in Loop: Header=BB295_296 Depth=1
	s_delay_alu instid0(SALU_CYCLE_1)
	s_or_b32 exec_lo, exec_lo, s17
.LBB295_327:                            ;   in Loop: Header=BB295_296 Depth=1
	s_delay_alu instid0(SALU_CYCLE_1) | instskip(SKIP_3) | instid1(VALU_DEP_2)
	s_or_b32 exec_lo, exec_lo, s0
	v_dual_mov_b32 v2, v11 :: v_dual_and_b32 v37, 0xff, v11
	v_dual_mov_b32 v28, 0 :: v_dual_mov_b32 v27, 0
	s_mov_b32 s0, exec_lo
	v_cmpx_ne_u16_e32 0, v37
	s_cbranch_execz .LBB295_333
; %bb.328:                              ;   in Loop: Header=BB295_296 Depth=1
	v_bfrev_b32_e32 v27, 1
	s_mov_b32 s17, exec_lo
	v_cmpx_ne_u16_e32 0x80, v37
	s_cbranch_execz .LBB295_332
; %bb.329:                              ;   in Loop: Header=BB295_296 Depth=1
	v_and_b32_e32 v37, 0x7f, v11
	v_mov_b32_e32 v27, 0x7fc02000
	s_mov_b32 s18, exec_lo
	s_delay_alu instid0(VALU_DEP_2)
	v_cmpx_ne_u32_e32 0x7f, v37
	s_cbranch_execz .LBB295_331
; %bb.330:                              ;   in Loop: Header=BB295_296 Depth=1
	v_and_b32_e32 v27, 7, v11
	v_cmp_gt_u32_e32 vcc_lo, 8, v37
	v_lshrrev_b32_e32 v38, 3, v37
	s_delay_alu instid0(VALU_DEP_3) | instskip(NEXT) | instid1(VALU_DEP_1)
	v_clz_i32_u32_e32 v27, v27
	v_min_u32_e32 v27, 32, v27
	s_delay_alu instid0(VALU_DEP_1) | instskip(SKIP_1) | instid1(VALU_DEP_2)
	v_subrev_nc_u32_e32 v39, 28, v27
	v_sub_nc_u32_e32 v27, 29, v27
	v_cndmask_b32_e32 v37, 0, v39, vcc_lo
	s_delay_alu instid0(VALU_DEP_2) | instskip(NEXT) | instid1(VALU_DEP_2)
	v_cndmask_b32_e32 v27, v38, v27, vcc_lo
	v_lshlrev_b64 v[37:38], v37, v[2:3]
	v_lshlrev_b32_e32 v38, 8, v11
	s_delay_alu instid0(VALU_DEP_3) | instskip(NEXT) | instid1(VALU_DEP_3)
	v_lshl_add_u32 v27, v27, 10, 0x2000
	v_lshlrev_b32_e32 v37, 7, v37
	s_delay_alu instid0(VALU_DEP_2) | instskip(NEXT) | instid1(VALU_DEP_1)
	v_and_or_b32 v27, 0x8000, v38, v27
	v_and_or_b32 v27, 0x380, v37, v27
	s_delay_alu instid0(VALU_DEP_1)
	v_cvt_f32_f16_e32 v27, v27
.LBB295_331:                            ;   in Loop: Header=BB295_296 Depth=1
	s_or_b32 exec_lo, exec_lo, s18
.LBB295_332:                            ;   in Loop: Header=BB295_296 Depth=1
	s_delay_alu instid0(SALU_CYCLE_1)
	s_or_b32 exec_lo, exec_lo, s17
.LBB295_333:                            ;   in Loop: Header=BB295_296 Depth=1
	s_delay_alu instid0(SALU_CYCLE_1) | instskip(SKIP_2) | instid1(VALU_DEP_1)
	s_or_b32 exec_lo, exec_lo, s0
	v_lshrrev_b16 v2, 8, v2
	s_mov_b32 s0, exec_lo
	v_cmpx_ne_u16_e32 0, v2
	s_cbranch_execz .LBB295_341
; %bb.334:                              ;   in Loop: Header=BB295_296 Depth=1
	v_bfrev_b32_e32 v28, 1
	s_mov_b32 s17, exec_lo
	v_cmpx_ne_u16_e32 0x80, v2
	s_cbranch_execz .LBB295_340
; %bb.335:                              ;   in Loop: Header=BB295_296 Depth=1
	v_and_b32_e32 v37, 0xffff, v2
	v_mov_b32_e32 v28, 0x7fc02000
	s_mov_b32 s18, exec_lo
	s_delay_alu instid0(VALU_DEP_2) | instskip(NEXT) | instid1(VALU_DEP_1)
	v_and_b32_e32 v38, 0x7f, v37
	v_cmpx_ne_u32_e32 0x7f, v38
	s_cbranch_execz .LBB295_339
; %bb.336:                              ;   in Loop: Header=BB295_296 Depth=1
	v_and_b32_e32 v2, 7, v37
	v_lshrrev_b32_e32 v28, 3, v38
	s_mov_b32 s20, exec_lo
	v_cmpx_gt_u32_e32 8, v38
; %bb.337:                              ;   in Loop: Header=BB295_296 Depth=1
	s_delay_alu instid0(VALU_DEP_3) | instskip(NEXT) | instid1(VALU_DEP_1)
	v_clz_i32_u32_e32 v28, v2
	v_min_u32_e32 v28, 32, v28
	s_delay_alu instid0(VALU_DEP_1) | instskip(SKIP_1) | instid1(VALU_DEP_2)
	v_subrev_nc_u32_e32 v38, 28, v28
	v_sub_nc_u32_e32 v28, 29, v28
	v_lshlrev_b64 v[38:39], v38, v[2:3]
	s_delay_alu instid0(VALU_DEP_1)
	v_and_b32_e32 v2, 7, v38
; %bb.338:                              ;   in Loop: Header=BB295_296 Depth=1
	s_or_b32 exec_lo, exec_lo, s20
	v_lshlrev_b32_e32 v37, 8, v37
	v_lshl_add_u32 v28, v28, 10, 0x2000
	s_delay_alu instid0(VALU_DEP_1) | instskip(NEXT) | instid1(VALU_DEP_1)
	v_and_or_b32 v28, 0x8000, v37, v28
	v_lshl_or_b32 v2, v2, 7, v28
	s_delay_alu instid0(VALU_DEP_1)
	v_cvt_f32_f16_e32 v28, v2
.LBB295_339:                            ;   in Loop: Header=BB295_296 Depth=1
	s_or_b32 exec_lo, exec_lo, s18
.LBB295_340:                            ;   in Loop: Header=BB295_296 Depth=1
	s_delay_alu instid0(SALU_CYCLE_1)
	s_or_b32 exec_lo, exec_lo, s17
.LBB295_341:                            ;   in Loop: Header=BB295_296 Depth=1
	s_delay_alu instid0(SALU_CYCLE_1) | instskip(SKIP_3) | instid1(VALU_DEP_2)
	s_or_b32 exec_lo, exec_lo, s0
	v_lshrrev_b32_e32 v39, 16, v11
	v_mov_b32_e32 v38, 0
	s_mov_b32 s0, exec_lo
	v_dual_mov_b32 v37, 0 :: v_dual_and_b32 v2, 0xff, v39
	s_delay_alu instid0(VALU_DEP_1)
	v_cmpx_ne_u16_e32 0, v2
	s_cbranch_execz .LBB295_349
; %bb.342:                              ;   in Loop: Header=BB295_296 Depth=1
	v_bfrev_b32_e32 v37, 1
	s_mov_b32 s17, exec_lo
	v_cmpx_ne_u16_e32 0x80, v2
	s_cbranch_execz .LBB295_348
; %bb.343:                              ;   in Loop: Header=BB295_296 Depth=1
	v_bfe_u32 v40, v11, 16, 7
	v_mov_b32_e32 v37, 0x7fc02000
	s_mov_b32 s18, exec_lo
	s_delay_alu instid0(VALU_DEP_2)
	v_cmpx_ne_u32_e32 0x7f, v40
	s_cbranch_execz .LBB295_347
; %bb.344:                              ;   in Loop: Header=BB295_296 Depth=1
	v_and_b32_e32 v2, 7, v39
	v_lshrrev_b32_e32 v37, 3, v40
	s_mov_b32 s20, exec_lo
	v_cmpx_gt_u32_e32 8, v40
; %bb.345:                              ;   in Loop: Header=BB295_296 Depth=1
	s_delay_alu instid0(VALU_DEP_3) | instskip(NEXT) | instid1(VALU_DEP_1)
	v_clz_i32_u32_e32 v37, v2
	v_min_u32_e32 v37, 32, v37
	s_delay_alu instid0(VALU_DEP_1) | instskip(SKIP_1) | instid1(VALU_DEP_2)
	v_subrev_nc_u32_e32 v40, 28, v37
	v_sub_nc_u32_e32 v37, 29, v37
	v_lshlrev_b64 v[40:41], v40, v[2:3]
	s_delay_alu instid0(VALU_DEP_1)
	v_and_b32_e32 v2, 7, v40
; %bb.346:                              ;   in Loop: Header=BB295_296 Depth=1
	s_or_b32 exec_lo, exec_lo, s20
	v_lshlrev_b32_e32 v39, 8, v39
	v_lshl_add_u32 v37, v37, 10, 0x2000
	s_delay_alu instid0(VALU_DEP_1) | instskip(NEXT) | instid1(VALU_DEP_1)
	v_and_or_b32 v37, 0x8000, v39, v37
	v_lshl_or_b32 v2, v2, 7, v37
	s_delay_alu instid0(VALU_DEP_1)
	v_cvt_f32_f16_e32 v37, v2
.LBB295_347:                            ;   in Loop: Header=BB295_296 Depth=1
	s_or_b32 exec_lo, exec_lo, s18
.LBB295_348:                            ;   in Loop: Header=BB295_296 Depth=1
	s_delay_alu instid0(SALU_CYCLE_1)
	s_or_b32 exec_lo, exec_lo, s17
.LBB295_349:                            ;   in Loop: Header=BB295_296 Depth=1
	s_delay_alu instid0(SALU_CYCLE_1) | instskip(NEXT) | instid1(SALU_CYCLE_1)
	s_or_b32 exec_lo, exec_lo, s0
	s_mov_b32 s0, exec_lo
	v_cmpx_lt_u64_e64 s[8:9], v[10:11]
	s_cbranch_execz .LBB295_357
; %bb.350:                              ;   in Loop: Header=BB295_296 Depth=1
	v_lshrrev_b32_e32 v10, 24, v11
	v_bfrev_b32_e32 v38, 1
	s_mov_b32 s17, exec_lo
	s_delay_alu instid0(VALU_DEP_2)
	v_cmpx_ne_u32_e32 0x80, v10
	s_cbranch_execz .LBB295_356
; %bb.351:                              ;   in Loop: Header=BB295_296 Depth=1
	v_and_b32_e32 v39, 0x7f, v10
	v_mov_b32_e32 v38, 0x7fc02000
	s_mov_b32 s18, exec_lo
	s_delay_alu instid0(VALU_DEP_2)
	v_cmpx_ne_u32_e32 0x7f, v39
	s_cbranch_execz .LBB295_355
; %bb.352:                              ;   in Loop: Header=BB295_296 Depth=1
	v_and_b32_e32 v2, 7, v10
	v_lshrrev_b32_e32 v11, 3, v39
	s_mov_b32 s20, exec_lo
	v_cmpx_gt_u32_e32 8, v39
; %bb.353:                              ;   in Loop: Header=BB295_296 Depth=1
	s_delay_alu instid0(VALU_DEP_3) | instskip(NEXT) | instid1(VALU_DEP_1)
	v_clz_i32_u32_e32 v11, v2
	v_min_u32_e32 v11, 32, v11
	s_delay_alu instid0(VALU_DEP_1) | instskip(SKIP_1) | instid1(VALU_DEP_2)
	v_subrev_nc_u32_e32 v38, 28, v11
	v_sub_nc_u32_e32 v11, 29, v11
	v_lshlrev_b64 v[38:39], v38, v[2:3]
	s_delay_alu instid0(VALU_DEP_1)
	v_and_b32_e32 v2, 7, v38
; %bb.354:                              ;   in Loop: Header=BB295_296 Depth=1
	s_or_b32 exec_lo, exec_lo, s20
	v_lshlrev_b32_e32 v10, 8, v10
	v_lshl_add_u32 v11, v11, 10, 0x2000
	s_delay_alu instid0(VALU_DEP_1) | instskip(NEXT) | instid1(VALU_DEP_1)
	v_and_or_b32 v10, 0x8000, v10, v11
	v_lshl_or_b32 v2, v2, 7, v10
	s_delay_alu instid0(VALU_DEP_1)
	v_cvt_f32_f16_e32 v38, v2
.LBB295_355:                            ;   in Loop: Header=BB295_296 Depth=1
	s_or_b32 exec_lo, exec_lo, s18
.LBB295_356:                            ;   in Loop: Header=BB295_296 Depth=1
	s_delay_alu instid0(SALU_CYCLE_1)
	s_or_b32 exec_lo, exec_lo, s17
.LBB295_357:                            ;   in Loop: Header=BB295_296 Depth=1
	s_delay_alu instid0(SALU_CYCLE_1)
	s_or_b32 exec_lo, exec_lo, s0
	s_waitcnt vmcnt(0)
	v_fma_mixlo_f16 v11, v22, v24, 0
	v_fma_mixlo_f16 v2, v22, v26, 0
	;; [unrolled: 1-line block ×5, first 2 shown]
	v_lshlrev_b32_e32 v24, 16, v11
	v_fma_mixlo_f16 v11, v22, v23, 0
	v_fma_mixlo_f16 v23, v22, v28, 0
	;; [unrolled: 1-line block ×3, first 2 shown]
	v_lshlrev_b32_e32 v2, 16, v2
	v_and_b32_e32 v10, 0xffff, v10
	v_and_b32_e32 v22, 0xffff, v11
	v_lshlrev_b32_e32 v23, 16, v23
	v_and_b32_e32 v25, 0xffff, v25
	v_lshlrev_b32_e32 v26, 16, v26
	v_and_b32_e32 v27, 0xffff, v37
	v_cmp_eq_u32_e32 vcc_lo, s41, v1
	v_or_b32_e32 v11, v2, v10
	v_or_b32_e32 v38, v24, v22
	;; [unrolled: 1-line block ×4, first 2 shown]
	v_add_nc_u32_e32 v28, 1, v14
	v_or_b32_e32 v27, 3, v14
	v_or_b32_e32 v26, 2, v14
	;; [unrolled: 1-line block ×6, first 2 shown]
	s_and_saveexec_b32 s17, vcc_lo
	s_cbranch_execz .LBB295_359
; %bb.358:                              ;   in Loop: Header=BB295_296 Depth=1
	v_cmp_gt_i32_e64 s0, s15, v14
	v_lshrrev_b32_e32 v39, 16, v38
	v_lshrrev_b32_e32 v40, 16, v11
	;; [unrolled: 1-line block ×4, first 2 shown]
	v_cndmask_b32_e64 v38, 0, v38, s0
	v_cmp_gt_i32_e64 s0, s13, v28
	s_delay_alu instid0(VALU_DEP_1) | instskip(SKIP_1) | instid1(VALU_DEP_2)
	v_cndmask_b32_e64 v39, 0, v39, s0
	v_cmp_gt_i32_e64 s0, s13, v27
	v_perm_b32 v38, v39, v38, 0x5040100
	s_delay_alu instid0(VALU_DEP_2) | instskip(SKIP_1) | instid1(VALU_DEP_1)
	v_cndmask_b32_e64 v40, 0, v40, s0
	v_cmp_gt_i32_e64 s0, s15, v26
	v_cndmask_b32_e64 v11, 0, v11, s0
	v_cmp_gt_i32_e64 s0, s13, v25
	s_delay_alu instid0(VALU_DEP_2) | instskip(NEXT) | instid1(VALU_DEP_2)
	v_perm_b32 v11, v40, v11, 0x5040100
	v_cndmask_b32_e64 v41, 0, v41, s0
	v_cmp_gt_i32_e64 s0, s15, v24
	s_delay_alu instid0(VALU_DEP_1) | instskip(SKIP_1) | instid1(VALU_DEP_2)
	v_cndmask_b32_e64 v2, 0, v2, s0
	v_cmp_gt_i32_e64 s0, s13, v23
	v_perm_b32 v2, v41, v2, 0x5040100
	s_delay_alu instid0(VALU_DEP_2) | instskip(SKIP_1) | instid1(VALU_DEP_1)
	v_cndmask_b32_e64 v10, 0, v10, s0
	v_cmp_gt_i32_e64 s0, s15, v22
	v_cndmask_b32_e64 v37, 0, v37, s0
	s_delay_alu instid0(VALU_DEP_1)
	v_perm_b32 v10, v10, v37, 0x5040100
.LBB295_359:                            ;   in Loop: Header=BB295_296 Depth=1
	s_or_b32 exec_lo, exec_lo, s17
	v_and_b32_e32 v29, 0xffff, v29
	v_and_b32_e32 v33, 0xffff, v33
	;; [unrolled: 1-line block ×4, first 2 shown]
	s_mov_b32 s17, exec_lo
	s_delay_alu instid0(VALU_DEP_3) | instskip(NEXT) | instid1(VALU_DEP_3)
	v_lshl_or_b32 v33, v31, 16, v33
	v_lshl_or_b32 v32, v32, 16, v37
	v_mov_b32_e32 v37, 0
	v_lshl_or_b32 v31, v35, 16, v36
	v_mov_b32_e32 v36, 0
	v_lshl_or_b32 v34, v30, 16, v29
	;;#ASMSTART
	v_pk_mul_f16 v29, v34, v38;

	;;#ASMEND
	;;#ASMSTART
	v_pk_mul_f16 v11, v33, v11;

	;;#ASMEND
	;; [unrolled: 4-line block ×4, first 2 shown]
	;;#ASMSTART
	v_pk_add_f16 v11, v29, v11;

	;;#ASMEND
	;;#ASMSTART
	v_pk_add_f16 v2, v11, v2;

	;;#ASMEND
	;;#ASMSTART
	v_pk_add_f16 v2, v2, v10;

	;;#ASMEND
	v_and_b32_e32 v10, 0xffff, v2
	v_lshrrev_b32_e32 v2, 16, v2
	;;#ASMSTART
	v_cvt_f32_f16 v29, v10;
	;;#ASMEND
	;;#ASMSTART
	v_cvt_f32_f16 v30, v2;
	;;#ASMEND
	global_load_b64 v[10:11], v[8:9], off offset:256
	global_load_b32 v35, v3, s[10:11]
	s_waitcnt vmcnt(1)
	v_and_b32_e32 v2, 0xff, v10
	s_delay_alu instid0(VALU_DEP_1)
	v_cmpx_ne_u16_e32 0, v2
	s_cbranch_execz .LBB295_365
; %bb.360:                              ;   in Loop: Header=BB295_296 Depth=1
	v_bfrev_b32_e32 v36, 1
	s_mov_b32 s18, exec_lo
	v_cmpx_ne_u16_e32 0x80, v2
	s_cbranch_execz .LBB295_364
; %bb.361:                              ;   in Loop: Header=BB295_296 Depth=1
	v_and_b32_e32 v2, 0x7f, v10
	v_mov_b32_e32 v36, 0x7fc02000
	s_mov_b32 s20, exec_lo
	s_delay_alu instid0(VALU_DEP_2)
	v_cmpx_ne_u32_e32 0x7f, v2
	s_cbranch_execz .LBB295_363
; %bb.362:                              ;   in Loop: Header=BB295_296 Depth=1
	v_and_b32_e32 v36, 7, v10
	v_cmp_gt_u32_e64 s0, 8, v2
	v_lshrrev_b32_e32 v38, 3, v2
	s_delay_alu instid0(VALU_DEP_3) | instskip(NEXT) | instid1(VALU_DEP_1)
	v_clz_i32_u32_e32 v36, v36
	v_min_u32_e32 v36, 32, v36
	s_delay_alu instid0(VALU_DEP_1) | instskip(SKIP_1) | instid1(VALU_DEP_2)
	v_subrev_nc_u32_e32 v39, 28, v36
	v_sub_nc_u32_e32 v36, 29, v36
	v_cndmask_b32_e64 v2, 0, v39, s0
	s_delay_alu instid0(VALU_DEP_2) | instskip(NEXT) | instid1(VALU_DEP_2)
	v_cndmask_b32_e64 v36, v38, v36, s0
	v_lshlrev_b64 v[38:39], v2, v[10:11]
	v_lshlrev_b32_e32 v2, 8, v10
	s_delay_alu instid0(VALU_DEP_3) | instskip(NEXT) | instid1(VALU_DEP_3)
	v_lshl_add_u32 v36, v36, 10, 0x2000
	v_lshlrev_b32_e32 v38, 7, v38
	s_delay_alu instid0(VALU_DEP_2) | instskip(NEXT) | instid1(VALU_DEP_1)
	v_and_or_b32 v2, 0x8000, v2, v36
	v_and_or_b32 v2, 0x380, v38, v2
	s_delay_alu instid0(VALU_DEP_1)
	v_cvt_f32_f16_e32 v36, v2
.LBB295_363:                            ;   in Loop: Header=BB295_296 Depth=1
	s_or_b32 exec_lo, exec_lo, s20
.LBB295_364:                            ;   in Loop: Header=BB295_296 Depth=1
	s_delay_alu instid0(SALU_CYCLE_1)
	s_or_b32 exec_lo, exec_lo, s18
.LBB295_365:                            ;   in Loop: Header=BB295_296 Depth=1
	s_delay_alu instid0(SALU_CYCLE_1) | instskip(SKIP_2) | instid1(VALU_DEP_1)
	s_or_b32 exec_lo, exec_lo, s17
	v_lshrrev_b16 v2, 8, v10
	s_mov_b32 s17, exec_lo
	v_cmpx_ne_u16_e32 0, v2
	s_cbranch_execz .LBB295_373
; %bb.366:                              ;   in Loop: Header=BB295_296 Depth=1
	v_bfrev_b32_e32 v37, 1
	s_mov_b32 s18, exec_lo
	v_cmpx_ne_u16_e32 0x80, v2
	s_cbranch_execz .LBB295_372
; %bb.367:                              ;   in Loop: Header=BB295_296 Depth=1
	v_and_b32_e32 v38, 0xffff, v2
	v_mov_b32_e32 v37, 0x7fc02000
	s_mov_b32 s20, exec_lo
	s_delay_alu instid0(VALU_DEP_2) | instskip(NEXT) | instid1(VALU_DEP_1)
	v_and_b32_e32 v39, 0x7f, v38
	v_cmpx_ne_u32_e32 0x7f, v39
	s_cbranch_execz .LBB295_371
; %bb.368:                              ;   in Loop: Header=BB295_296 Depth=1
	v_and_b32_e32 v2, 7, v38
	v_lshrrev_b32_e32 v37, 3, v39
	s_mov_b32 s21, exec_lo
	v_cmpx_gt_u32_e32 8, v39
; %bb.369:                              ;   in Loop: Header=BB295_296 Depth=1
	s_delay_alu instid0(VALU_DEP_3) | instskip(NEXT) | instid1(VALU_DEP_1)
	v_clz_i32_u32_e32 v37, v2
	v_min_u32_e32 v37, 32, v37
	s_delay_alu instid0(VALU_DEP_1) | instskip(SKIP_1) | instid1(VALU_DEP_2)
	v_subrev_nc_u32_e32 v39, 28, v37
	v_sub_nc_u32_e32 v37, 29, v37
	v_lshlrev_b64 v[39:40], v39, v[2:3]
	s_delay_alu instid0(VALU_DEP_1)
	v_and_b32_e32 v2, 7, v39
; %bb.370:                              ;   in Loop: Header=BB295_296 Depth=1
	s_or_b32 exec_lo, exec_lo, s21
	v_lshlrev_b32_e32 v38, 8, v38
	v_lshl_add_u32 v37, v37, 10, 0x2000
	s_delay_alu instid0(VALU_DEP_1) | instskip(NEXT) | instid1(VALU_DEP_1)
	v_and_or_b32 v37, 0x8000, v38, v37
	v_lshl_or_b32 v2, v2, 7, v37
	s_delay_alu instid0(VALU_DEP_1)
	v_cvt_f32_f16_e32 v37, v2
.LBB295_371:                            ;   in Loop: Header=BB295_296 Depth=1
	s_or_b32 exec_lo, exec_lo, s20
.LBB295_372:                            ;   in Loop: Header=BB295_296 Depth=1
	s_delay_alu instid0(SALU_CYCLE_1)
	s_or_b32 exec_lo, exec_lo, s18
.LBB295_373:                            ;   in Loop: Header=BB295_296 Depth=1
	s_delay_alu instid0(SALU_CYCLE_1) | instskip(SKIP_3) | instid1(VALU_DEP_2)
	s_or_b32 exec_lo, exec_lo, s17
	v_lshrrev_b32_e32 v40, 16, v10
	v_mov_b32_e32 v38, 0
	s_mov_b32 s17, exec_lo
	v_dual_mov_b32 v39, 0 :: v_dual_and_b32 v2, 0xff, v40
	s_delay_alu instid0(VALU_DEP_1)
	v_cmpx_ne_u16_e32 0, v2
	s_cbranch_execz .LBB295_381
; %bb.374:                              ;   in Loop: Header=BB295_296 Depth=1
	v_bfrev_b32_e32 v38, 1
	s_mov_b32 s18, exec_lo
	v_cmpx_ne_u16_e32 0x80, v2
	s_cbranch_execz .LBB295_380
; %bb.375:                              ;   in Loop: Header=BB295_296 Depth=1
	v_bfe_u32 v41, v10, 16, 7
	v_mov_b32_e32 v38, 0x7fc02000
	s_mov_b32 s20, exec_lo
	s_delay_alu instid0(VALU_DEP_2)
	v_cmpx_ne_u32_e32 0x7f, v41
	s_cbranch_execz .LBB295_379
; %bb.376:                              ;   in Loop: Header=BB295_296 Depth=1
	v_and_b32_e32 v2, 7, v40
	v_lshrrev_b32_e32 v38, 3, v41
	s_mov_b32 s21, exec_lo
	v_cmpx_gt_u32_e32 8, v41
; %bb.377:                              ;   in Loop: Header=BB295_296 Depth=1
	s_delay_alu instid0(VALU_DEP_3) | instskip(NEXT) | instid1(VALU_DEP_1)
	v_clz_i32_u32_e32 v38, v2
	v_min_u32_e32 v38, 32, v38
	s_delay_alu instid0(VALU_DEP_1) | instskip(SKIP_1) | instid1(VALU_DEP_2)
	v_subrev_nc_u32_e32 v41, 28, v38
	v_sub_nc_u32_e32 v38, 29, v38
	v_lshlrev_b64 v[41:42], v41, v[2:3]
	s_delay_alu instid0(VALU_DEP_1)
	v_and_b32_e32 v2, 7, v41
; %bb.378:                              ;   in Loop: Header=BB295_296 Depth=1
	s_or_b32 exec_lo, exec_lo, s21
	v_lshlrev_b32_e32 v40, 8, v40
	v_lshl_add_u32 v38, v38, 10, 0x2000
	s_delay_alu instid0(VALU_DEP_1) | instskip(NEXT) | instid1(VALU_DEP_1)
	v_and_or_b32 v38, 0x8000, v40, v38
	v_lshl_or_b32 v2, v2, 7, v38
	s_delay_alu instid0(VALU_DEP_1)
	v_cvt_f32_f16_e32 v38, v2
.LBB295_379:                            ;   in Loop: Header=BB295_296 Depth=1
	s_or_b32 exec_lo, exec_lo, s20
.LBB295_380:                            ;   in Loop: Header=BB295_296 Depth=1
	s_delay_alu instid0(SALU_CYCLE_1)
	s_or_b32 exec_lo, exec_lo, s18
.LBB295_381:                            ;   in Loop: Header=BB295_296 Depth=1
	s_delay_alu instid0(SALU_CYCLE_1) | instskip(NEXT) | instid1(SALU_CYCLE_1)
	s_or_b32 exec_lo, exec_lo, s17
	s_mov_b32 s17, exec_lo
	v_cmpx_lt_u32_e32 0xffffff, v10
	s_cbranch_execz .LBB295_389
; %bb.382:                              ;   in Loop: Header=BB295_296 Depth=1
	v_lshrrev_b32_e32 v40, 24, v10
	v_bfrev_b32_e32 v39, 1
	s_mov_b32 s18, exec_lo
	s_delay_alu instid0(VALU_DEP_2)
	v_cmpx_ne_u32_e32 0x80, v40
	s_cbranch_execz .LBB295_388
; %bb.383:                              ;   in Loop: Header=BB295_296 Depth=1
	v_and_b32_e32 v41, 0x7f, v40
	v_mov_b32_e32 v39, 0x7fc02000
	s_mov_b32 s20, exec_lo
	s_delay_alu instid0(VALU_DEP_2)
	v_cmpx_ne_u32_e32 0x7f, v41
	s_cbranch_execz .LBB295_387
; %bb.384:                              ;   in Loop: Header=BB295_296 Depth=1
	v_and_b32_e32 v2, 7, v40
	v_lshrrev_b32_e32 v39, 3, v41
	s_mov_b32 s21, exec_lo
	v_cmpx_gt_u32_e32 8, v41
; %bb.385:                              ;   in Loop: Header=BB295_296 Depth=1
	s_delay_alu instid0(VALU_DEP_3) | instskip(NEXT) | instid1(VALU_DEP_1)
	v_clz_i32_u32_e32 v39, v2
	v_min_u32_e32 v39, 32, v39
	s_delay_alu instid0(VALU_DEP_1) | instskip(SKIP_1) | instid1(VALU_DEP_2)
	v_subrev_nc_u32_e32 v41, 28, v39
	v_sub_nc_u32_e32 v39, 29, v39
	v_lshlrev_b64 v[41:42], v41, v[2:3]
	s_delay_alu instid0(VALU_DEP_1)
	v_and_b32_e32 v2, 7, v41
; %bb.386:                              ;   in Loop: Header=BB295_296 Depth=1
	s_or_b32 exec_lo, exec_lo, s21
	v_lshlrev_b32_e32 v40, 8, v40
	v_lshl_add_u32 v39, v39, 10, 0x2000
	s_delay_alu instid0(VALU_DEP_1) | instskip(NEXT) | instid1(VALU_DEP_1)
	v_and_or_b32 v39, 0x8000, v40, v39
	v_lshl_or_b32 v2, v2, 7, v39
	s_delay_alu instid0(VALU_DEP_1)
	v_cvt_f32_f16_e32 v39, v2
.LBB295_387:                            ;   in Loop: Header=BB295_296 Depth=1
	s_or_b32 exec_lo, exec_lo, s20
.LBB295_388:                            ;   in Loop: Header=BB295_296 Depth=1
	s_delay_alu instid0(SALU_CYCLE_1)
	s_or_b32 exec_lo, exec_lo, s18
.LBB295_389:                            ;   in Loop: Header=BB295_296 Depth=1
	s_delay_alu instid0(SALU_CYCLE_1) | instskip(SKIP_4) | instid1(VALU_DEP_3)
	s_or_b32 exec_lo, exec_lo, s17
	v_dual_mov_b32 v41, 0 :: v_dual_and_b32 v42, 0xff, v11
	v_mov_b32_e32 v2, v11
	v_mov_b32_e32 v40, 0
	s_mov_b32 s17, exec_lo
	v_cmpx_ne_u16_e32 0, v42
	s_cbranch_execz .LBB295_395
; %bb.390:                              ;   in Loop: Header=BB295_296 Depth=1
	v_bfrev_b32_e32 v40, 1
	s_mov_b32 s18, exec_lo
	v_cmpx_ne_u16_e32 0x80, v42
	s_cbranch_execz .LBB295_394
; %bb.391:                              ;   in Loop: Header=BB295_296 Depth=1
	v_and_b32_e32 v42, 0x7f, v11
	v_mov_b32_e32 v40, 0x7fc02000
	s_mov_b32 s20, exec_lo
	s_delay_alu instid0(VALU_DEP_2)
	v_cmpx_ne_u32_e32 0x7f, v42
	s_cbranch_execz .LBB295_393
; %bb.392:                              ;   in Loop: Header=BB295_296 Depth=1
	v_and_b32_e32 v40, 7, v11
	v_cmp_gt_u32_e64 s0, 8, v42
	v_lshrrev_b32_e32 v43, 3, v42
	s_delay_alu instid0(VALU_DEP_3) | instskip(NEXT) | instid1(VALU_DEP_1)
	v_clz_i32_u32_e32 v40, v40
	v_min_u32_e32 v40, 32, v40
	s_delay_alu instid0(VALU_DEP_1) | instskip(SKIP_1) | instid1(VALU_DEP_2)
	v_subrev_nc_u32_e32 v44, 28, v40
	v_sub_nc_u32_e32 v40, 29, v40
	v_cndmask_b32_e64 v42, 0, v44, s0
	s_delay_alu instid0(VALU_DEP_2) | instskip(NEXT) | instid1(VALU_DEP_2)
	v_cndmask_b32_e64 v40, v43, v40, s0
	v_lshlrev_b64 v[42:43], v42, v[2:3]
	v_lshlrev_b32_e32 v43, 8, v11
	s_delay_alu instid0(VALU_DEP_3) | instskip(NEXT) | instid1(VALU_DEP_3)
	v_lshl_add_u32 v40, v40, 10, 0x2000
	v_lshlrev_b32_e32 v42, 7, v42
	s_delay_alu instid0(VALU_DEP_2) | instskip(NEXT) | instid1(VALU_DEP_1)
	v_and_or_b32 v40, 0x8000, v43, v40
	v_and_or_b32 v40, 0x380, v42, v40
	s_delay_alu instid0(VALU_DEP_1)
	v_cvt_f32_f16_e32 v40, v40
.LBB295_393:                            ;   in Loop: Header=BB295_296 Depth=1
	s_or_b32 exec_lo, exec_lo, s20
.LBB295_394:                            ;   in Loop: Header=BB295_296 Depth=1
	s_delay_alu instid0(SALU_CYCLE_1)
	s_or_b32 exec_lo, exec_lo, s18
.LBB295_395:                            ;   in Loop: Header=BB295_296 Depth=1
	s_delay_alu instid0(SALU_CYCLE_1) | instskip(SKIP_2) | instid1(VALU_DEP_1)
	s_or_b32 exec_lo, exec_lo, s17
	v_lshrrev_b16 v2, 8, v2
	s_mov_b32 s17, exec_lo
	v_cmpx_ne_u16_e32 0, v2
	s_cbranch_execz .LBB295_403
; %bb.396:                              ;   in Loop: Header=BB295_296 Depth=1
	v_bfrev_b32_e32 v41, 1
	s_mov_b32 s18, exec_lo
	v_cmpx_ne_u16_e32 0x80, v2
	s_cbranch_execz .LBB295_402
; %bb.397:                              ;   in Loop: Header=BB295_296 Depth=1
	v_and_b32_e32 v42, 0xffff, v2
	v_mov_b32_e32 v41, 0x7fc02000
	s_mov_b32 s20, exec_lo
	s_delay_alu instid0(VALU_DEP_2) | instskip(NEXT) | instid1(VALU_DEP_1)
	v_and_b32_e32 v43, 0x7f, v42
	v_cmpx_ne_u32_e32 0x7f, v43
	s_cbranch_execz .LBB295_401
; %bb.398:                              ;   in Loop: Header=BB295_296 Depth=1
	v_and_b32_e32 v2, 7, v42
	v_lshrrev_b32_e32 v41, 3, v43
	s_mov_b32 s21, exec_lo
	v_cmpx_gt_u32_e32 8, v43
; %bb.399:                              ;   in Loop: Header=BB295_296 Depth=1
	s_delay_alu instid0(VALU_DEP_3) | instskip(NEXT) | instid1(VALU_DEP_1)
	v_clz_i32_u32_e32 v41, v2
	v_min_u32_e32 v41, 32, v41
	s_delay_alu instid0(VALU_DEP_1) | instskip(SKIP_1) | instid1(VALU_DEP_2)
	v_subrev_nc_u32_e32 v43, 28, v41
	v_sub_nc_u32_e32 v41, 29, v41
	v_lshlrev_b64 v[43:44], v43, v[2:3]
	s_delay_alu instid0(VALU_DEP_1)
	v_and_b32_e32 v2, 7, v43
; %bb.400:                              ;   in Loop: Header=BB295_296 Depth=1
	s_or_b32 exec_lo, exec_lo, s21
	v_lshlrev_b32_e32 v42, 8, v42
	v_lshl_add_u32 v41, v41, 10, 0x2000
	s_delay_alu instid0(VALU_DEP_1) | instskip(NEXT) | instid1(VALU_DEP_1)
	v_and_or_b32 v41, 0x8000, v42, v41
	v_lshl_or_b32 v2, v2, 7, v41
	s_delay_alu instid0(VALU_DEP_1)
	v_cvt_f32_f16_e32 v41, v2
.LBB295_401:                            ;   in Loop: Header=BB295_296 Depth=1
	s_or_b32 exec_lo, exec_lo, s20
.LBB295_402:                            ;   in Loop: Header=BB295_296 Depth=1
	s_delay_alu instid0(SALU_CYCLE_1)
	s_or_b32 exec_lo, exec_lo, s18
.LBB295_403:                            ;   in Loop: Header=BB295_296 Depth=1
	s_delay_alu instid0(SALU_CYCLE_1) | instskip(SKIP_3) | instid1(VALU_DEP_2)
	s_or_b32 exec_lo, exec_lo, s17
	v_lshrrev_b32_e32 v44, 16, v11
	v_mov_b32_e32 v42, 0
	s_mov_b32 s17, exec_lo
	v_dual_mov_b32 v43, 0 :: v_dual_and_b32 v2, 0xff, v44
	s_delay_alu instid0(VALU_DEP_1)
	v_cmpx_ne_u16_e32 0, v2
	s_cbranch_execz .LBB295_411
; %bb.404:                              ;   in Loop: Header=BB295_296 Depth=1
	v_bfrev_b32_e32 v42, 1
	s_mov_b32 s18, exec_lo
	v_cmpx_ne_u16_e32 0x80, v2
	s_cbranch_execz .LBB295_410
; %bb.405:                              ;   in Loop: Header=BB295_296 Depth=1
	v_bfe_u32 v45, v11, 16, 7
	v_mov_b32_e32 v42, 0x7fc02000
	s_mov_b32 s20, exec_lo
	s_delay_alu instid0(VALU_DEP_2)
	v_cmpx_ne_u32_e32 0x7f, v45
	s_cbranch_execz .LBB295_409
; %bb.406:                              ;   in Loop: Header=BB295_296 Depth=1
	v_and_b32_e32 v2, 7, v44
	v_lshrrev_b32_e32 v42, 3, v45
	s_mov_b32 s21, exec_lo
	v_cmpx_gt_u32_e32 8, v45
; %bb.407:                              ;   in Loop: Header=BB295_296 Depth=1
	s_delay_alu instid0(VALU_DEP_3) | instskip(NEXT) | instid1(VALU_DEP_1)
	v_clz_i32_u32_e32 v42, v2
	v_min_u32_e32 v42, 32, v42
	s_delay_alu instid0(VALU_DEP_1) | instskip(SKIP_1) | instid1(VALU_DEP_2)
	v_subrev_nc_u32_e32 v45, 28, v42
	v_sub_nc_u32_e32 v42, 29, v42
	v_lshlrev_b64 v[45:46], v45, v[2:3]
	s_delay_alu instid0(VALU_DEP_1)
	v_and_b32_e32 v2, 7, v45
; %bb.408:                              ;   in Loop: Header=BB295_296 Depth=1
	s_or_b32 exec_lo, exec_lo, s21
	v_lshlrev_b32_e32 v44, 8, v44
	v_lshl_add_u32 v42, v42, 10, 0x2000
	s_delay_alu instid0(VALU_DEP_1) | instskip(NEXT) | instid1(VALU_DEP_1)
	v_and_or_b32 v42, 0x8000, v44, v42
	v_lshl_or_b32 v2, v2, 7, v42
	s_delay_alu instid0(VALU_DEP_1)
	v_cvt_f32_f16_e32 v42, v2
.LBB295_409:                            ;   in Loop: Header=BB295_296 Depth=1
	s_or_b32 exec_lo, exec_lo, s20
.LBB295_410:                            ;   in Loop: Header=BB295_296 Depth=1
	s_delay_alu instid0(SALU_CYCLE_1)
	s_or_b32 exec_lo, exec_lo, s18
.LBB295_411:                            ;   in Loop: Header=BB295_296 Depth=1
	s_delay_alu instid0(SALU_CYCLE_1) | instskip(NEXT) | instid1(SALU_CYCLE_1)
	s_or_b32 exec_lo, exec_lo, s17
	s_mov_b32 s17, exec_lo
	v_cmpx_lt_u64_e64 s[8:9], v[10:11]
	s_cbranch_execz .LBB295_419
; %bb.412:                              ;   in Loop: Header=BB295_296 Depth=1
	v_lshrrev_b32_e32 v10, 24, v11
	v_bfrev_b32_e32 v43, 1
	s_mov_b32 s18, exec_lo
	s_delay_alu instid0(VALU_DEP_2)
	v_cmpx_ne_u32_e32 0x80, v10
	s_cbranch_execz .LBB295_418
; %bb.413:                              ;   in Loop: Header=BB295_296 Depth=1
	v_and_b32_e32 v44, 0x7f, v10
	v_mov_b32_e32 v43, 0x7fc02000
	s_mov_b32 s20, exec_lo
	s_delay_alu instid0(VALU_DEP_2)
	v_cmpx_ne_u32_e32 0x7f, v44
	s_cbranch_execz .LBB295_417
; %bb.414:                              ;   in Loop: Header=BB295_296 Depth=1
	v_and_b32_e32 v2, 7, v10
	v_lshrrev_b32_e32 v11, 3, v44
	s_mov_b32 s21, exec_lo
	v_cmpx_gt_u32_e32 8, v44
; %bb.415:                              ;   in Loop: Header=BB295_296 Depth=1
	s_delay_alu instid0(VALU_DEP_3) | instskip(NEXT) | instid1(VALU_DEP_1)
	v_clz_i32_u32_e32 v11, v2
	v_min_u32_e32 v11, 32, v11
	s_delay_alu instid0(VALU_DEP_1) | instskip(SKIP_1) | instid1(VALU_DEP_2)
	v_subrev_nc_u32_e32 v43, 28, v11
	v_sub_nc_u32_e32 v11, 29, v11
	v_lshlrev_b64 v[43:44], v43, v[2:3]
	s_delay_alu instid0(VALU_DEP_1)
	v_and_b32_e32 v2, 7, v43
; %bb.416:                              ;   in Loop: Header=BB295_296 Depth=1
	s_or_b32 exec_lo, exec_lo, s21
	v_lshlrev_b32_e32 v10, 8, v10
	v_lshl_add_u32 v11, v11, 10, 0x2000
	s_delay_alu instid0(VALU_DEP_1) | instskip(NEXT) | instid1(VALU_DEP_1)
	v_and_or_b32 v10, 0x8000, v10, v11
	v_lshl_or_b32 v2, v2, 7, v10
	s_delay_alu instid0(VALU_DEP_1)
	v_cvt_f32_f16_e32 v43, v2
.LBB295_417:                            ;   in Loop: Header=BB295_296 Depth=1
	s_or_b32 exec_lo, exec_lo, s20
.LBB295_418:                            ;   in Loop: Header=BB295_296 Depth=1
	s_delay_alu instid0(SALU_CYCLE_1)
	s_or_b32 exec_lo, exec_lo, s18
.LBB295_419:                            ;   in Loop: Header=BB295_296 Depth=1
	s_delay_alu instid0(SALU_CYCLE_1)
	s_or_b32 exec_lo, exec_lo, s17
	s_waitcnt vmcnt(0)
	v_fma_mixlo_f16 v11, v35, v37, 0
	v_fma_mixlo_f16 v2, v35, v39, 0
	;; [unrolled: 1-line block ×5, first 2 shown]
	v_lshlrev_b32_e32 v37, 16, v11
	v_fma_mixlo_f16 v39, v35, v40, 0
	v_fma_mixlo_f16 v40, v35, v43, 0
	;; [unrolled: 1-line block ×3, first 2 shown]
	v_lshlrev_b32_e32 v2, 16, v2
	v_and_b32_e32 v10, 0xffff, v10
	v_and_b32_e32 v36, 0xffff, v36
	v_lshlrev_b32_e32 v38, 16, v38
	v_and_b32_e32 v39, 0xffff, v39
	v_lshlrev_b32_e32 v40, 16, v40
	v_and_b32_e32 v41, 0xffff, v11
	v_or_b32_e32 v35, v2, v10
	v_or_b32_e32 v36, v37, v36
	;; [unrolled: 1-line block ×3, first 2 shown]
	s_delay_alu instid0(VALU_DEP_4)
	v_or_b32_e32 v10, v40, v41
	s_and_saveexec_b32 s17, vcc_lo
	s_cbranch_execz .LBB295_421
; %bb.420:                              ;   in Loop: Header=BB295_296 Depth=1
	v_cmp_gt_i32_e64 s0, s15, v14
	v_lshrrev_b32_e32 v37, 16, v36
	v_lshrrev_b32_e32 v38, 16, v35
	;; [unrolled: 1-line block ×4, first 2 shown]
	v_cndmask_b32_e64 v36, 0, v36, s0
	v_cmp_gt_i32_e64 s0, s13, v28
	s_delay_alu instid0(VALU_DEP_1) | instskip(SKIP_1) | instid1(VALU_DEP_2)
	v_cndmask_b32_e64 v37, 0, v37, s0
	v_cmp_gt_i32_e64 s0, s13, v27
	v_perm_b32 v36, v37, v36, 0x5040100
	s_delay_alu instid0(VALU_DEP_2) | instskip(SKIP_1) | instid1(VALU_DEP_1)
	v_cndmask_b32_e64 v38, 0, v38, s0
	v_cmp_gt_i32_e64 s0, s15, v26
	v_cndmask_b32_e64 v35, 0, v35, s0
	v_cmp_gt_i32_e64 s0, s13, v25
	s_delay_alu instid0(VALU_DEP_2) | instskip(NEXT) | instid1(VALU_DEP_2)
	v_perm_b32 v35, v38, v35, 0x5040100
	v_cndmask_b32_e64 v39, 0, v39, s0
	v_cmp_gt_i32_e64 s0, s15, v24
	s_delay_alu instid0(VALU_DEP_1) | instskip(SKIP_1) | instid1(VALU_DEP_2)
	v_cndmask_b32_e64 v2, 0, v2, s0
	v_cmp_gt_i32_e64 s0, s13, v23
	v_perm_b32 v2, v39, v2, 0x5040100
	s_delay_alu instid0(VALU_DEP_2) | instskip(SKIP_1) | instid1(VALU_DEP_1)
	v_cndmask_b32_e64 v10, 0, v10, s0
	v_cmp_gt_i32_e64 s0, s15, v22
	v_cndmask_b32_e64 v11, 0, v11, s0
	s_delay_alu instid0(VALU_DEP_1)
	v_perm_b32 v10, v10, v11, 0x5040100
.LBB295_421:                            ;   in Loop: Header=BB295_296 Depth=1
	s_or_b32 exec_lo, exec_lo, s17
	;;#ASMSTART
	v_pk_mul_f16 v11, v34, v36;

	;;#ASMEND
	;;#ASMSTART
	v_pk_mul_f16 v35, v33, v35;

	;;#ASMEND
	;; [unrolled: 4-line block ×4, first 2 shown]
	;;#ASMSTART
	v_pk_add_f16 v11, v11, v35;

	;;#ASMEND
	;;#ASMSTART
	v_pk_add_f16 v2, v11, v2;

	;;#ASMEND
	;; [unrolled: 4-line block ×3, first 2 shown]
	v_dual_mov_b32 v39, 0 :: v_dual_and_b32 v10, 0xffff, v2
	v_lshrrev_b32_e32 v2, 16, v2
	;;#ASMSTART
	v_cvt_f32_f16 v35, v10;
	;;#ASMEND
	;;#ASMSTART
	v_cvt_f32_f16 v36, v2;
	;;#ASMEND
	global_load_b64 v[10:11], v[8:9], off offset:512
	global_load_b32 v37, v3, s[10:11]
	v_mov_b32_e32 v38, 0
	s_mov_b32 s17, exec_lo
	s_waitcnt vmcnt(1)
	v_and_b32_e32 v2, 0xff, v10
	s_delay_alu instid0(VALU_DEP_1)
	v_cmpx_ne_u16_e32 0, v2
	s_cbranch_execz .LBB295_427
; %bb.422:                              ;   in Loop: Header=BB295_296 Depth=1
	v_bfrev_b32_e32 v38, 1
	s_mov_b32 s18, exec_lo
	v_cmpx_ne_u16_e32 0x80, v2
	s_cbranch_execz .LBB295_426
; %bb.423:                              ;   in Loop: Header=BB295_296 Depth=1
	v_and_b32_e32 v2, 0x7f, v10
	v_mov_b32_e32 v38, 0x7fc02000
	s_mov_b32 s20, exec_lo
	s_delay_alu instid0(VALU_DEP_2)
	v_cmpx_ne_u32_e32 0x7f, v2
	s_cbranch_execz .LBB295_425
; %bb.424:                              ;   in Loop: Header=BB295_296 Depth=1
	v_and_b32_e32 v38, 7, v10
	v_cmp_gt_u32_e64 s0, 8, v2
	v_lshrrev_b32_e32 v40, 3, v2
	s_delay_alu instid0(VALU_DEP_3) | instskip(NEXT) | instid1(VALU_DEP_1)
	v_clz_i32_u32_e32 v38, v38
	v_min_u32_e32 v38, 32, v38
	s_delay_alu instid0(VALU_DEP_1) | instskip(SKIP_1) | instid1(VALU_DEP_2)
	v_subrev_nc_u32_e32 v41, 28, v38
	v_sub_nc_u32_e32 v38, 29, v38
	v_cndmask_b32_e64 v2, 0, v41, s0
	s_delay_alu instid0(VALU_DEP_2) | instskip(NEXT) | instid1(VALU_DEP_2)
	v_cndmask_b32_e64 v38, v40, v38, s0
	v_lshlrev_b64 v[40:41], v2, v[10:11]
	v_lshlrev_b32_e32 v2, 8, v10
	s_delay_alu instid0(VALU_DEP_3) | instskip(NEXT) | instid1(VALU_DEP_3)
	v_lshl_add_u32 v38, v38, 10, 0x2000
	v_lshlrev_b32_e32 v40, 7, v40
	s_delay_alu instid0(VALU_DEP_2) | instskip(NEXT) | instid1(VALU_DEP_1)
	v_and_or_b32 v2, 0x8000, v2, v38
	v_and_or_b32 v2, 0x380, v40, v2
	s_delay_alu instid0(VALU_DEP_1)
	v_cvt_f32_f16_e32 v38, v2
.LBB295_425:                            ;   in Loop: Header=BB295_296 Depth=1
	s_or_b32 exec_lo, exec_lo, s20
.LBB295_426:                            ;   in Loop: Header=BB295_296 Depth=1
	s_delay_alu instid0(SALU_CYCLE_1)
	s_or_b32 exec_lo, exec_lo, s18
.LBB295_427:                            ;   in Loop: Header=BB295_296 Depth=1
	s_delay_alu instid0(SALU_CYCLE_1) | instskip(SKIP_2) | instid1(VALU_DEP_1)
	s_or_b32 exec_lo, exec_lo, s17
	v_lshrrev_b16 v2, 8, v10
	s_mov_b32 s17, exec_lo
	v_cmpx_ne_u16_e32 0, v2
	s_cbranch_execz .LBB295_435
; %bb.428:                              ;   in Loop: Header=BB295_296 Depth=1
	v_bfrev_b32_e32 v39, 1
	s_mov_b32 s18, exec_lo
	v_cmpx_ne_u16_e32 0x80, v2
	s_cbranch_execz .LBB295_434
; %bb.429:                              ;   in Loop: Header=BB295_296 Depth=1
	v_and_b32_e32 v40, 0xffff, v2
	v_mov_b32_e32 v39, 0x7fc02000
	s_mov_b32 s20, exec_lo
	s_delay_alu instid0(VALU_DEP_2) | instskip(NEXT) | instid1(VALU_DEP_1)
	v_and_b32_e32 v41, 0x7f, v40
	v_cmpx_ne_u32_e32 0x7f, v41
	s_cbranch_execz .LBB295_433
; %bb.430:                              ;   in Loop: Header=BB295_296 Depth=1
	v_and_b32_e32 v2, 7, v40
	v_lshrrev_b32_e32 v39, 3, v41
	s_mov_b32 s21, exec_lo
	v_cmpx_gt_u32_e32 8, v41
; %bb.431:                              ;   in Loop: Header=BB295_296 Depth=1
	s_delay_alu instid0(VALU_DEP_3) | instskip(NEXT) | instid1(VALU_DEP_1)
	v_clz_i32_u32_e32 v39, v2
	v_min_u32_e32 v39, 32, v39
	s_delay_alu instid0(VALU_DEP_1) | instskip(SKIP_1) | instid1(VALU_DEP_2)
	v_subrev_nc_u32_e32 v41, 28, v39
	v_sub_nc_u32_e32 v39, 29, v39
	v_lshlrev_b64 v[41:42], v41, v[2:3]
	s_delay_alu instid0(VALU_DEP_1)
	v_and_b32_e32 v2, 7, v41
; %bb.432:                              ;   in Loop: Header=BB295_296 Depth=1
	s_or_b32 exec_lo, exec_lo, s21
	v_lshlrev_b32_e32 v40, 8, v40
	v_lshl_add_u32 v39, v39, 10, 0x2000
	s_delay_alu instid0(VALU_DEP_1) | instskip(NEXT) | instid1(VALU_DEP_1)
	v_and_or_b32 v39, 0x8000, v40, v39
	v_lshl_or_b32 v2, v2, 7, v39
	s_delay_alu instid0(VALU_DEP_1)
	v_cvt_f32_f16_e32 v39, v2
.LBB295_433:                            ;   in Loop: Header=BB295_296 Depth=1
	s_or_b32 exec_lo, exec_lo, s20
.LBB295_434:                            ;   in Loop: Header=BB295_296 Depth=1
	s_delay_alu instid0(SALU_CYCLE_1)
	s_or_b32 exec_lo, exec_lo, s18
.LBB295_435:                            ;   in Loop: Header=BB295_296 Depth=1
	s_delay_alu instid0(SALU_CYCLE_1) | instskip(SKIP_3) | instid1(VALU_DEP_2)
	s_or_b32 exec_lo, exec_lo, s17
	v_lshrrev_b32_e32 v42, 16, v10
	v_mov_b32_e32 v40, 0
	s_mov_b32 s17, exec_lo
	v_dual_mov_b32 v41, 0 :: v_dual_and_b32 v2, 0xff, v42
	s_delay_alu instid0(VALU_DEP_1)
	v_cmpx_ne_u16_e32 0, v2
	s_cbranch_execz .LBB295_443
; %bb.436:                              ;   in Loop: Header=BB295_296 Depth=1
	v_bfrev_b32_e32 v40, 1
	s_mov_b32 s18, exec_lo
	v_cmpx_ne_u16_e32 0x80, v2
	s_cbranch_execz .LBB295_442
; %bb.437:                              ;   in Loop: Header=BB295_296 Depth=1
	v_bfe_u32 v43, v10, 16, 7
	v_mov_b32_e32 v40, 0x7fc02000
	s_mov_b32 s20, exec_lo
	s_delay_alu instid0(VALU_DEP_2)
	v_cmpx_ne_u32_e32 0x7f, v43
	s_cbranch_execz .LBB295_441
; %bb.438:                              ;   in Loop: Header=BB295_296 Depth=1
	v_and_b32_e32 v2, 7, v42
	v_lshrrev_b32_e32 v40, 3, v43
	s_mov_b32 s21, exec_lo
	v_cmpx_gt_u32_e32 8, v43
; %bb.439:                              ;   in Loop: Header=BB295_296 Depth=1
	s_delay_alu instid0(VALU_DEP_3) | instskip(NEXT) | instid1(VALU_DEP_1)
	v_clz_i32_u32_e32 v40, v2
	v_min_u32_e32 v40, 32, v40
	s_delay_alu instid0(VALU_DEP_1) | instskip(SKIP_1) | instid1(VALU_DEP_2)
	v_subrev_nc_u32_e32 v43, 28, v40
	v_sub_nc_u32_e32 v40, 29, v40
	v_lshlrev_b64 v[43:44], v43, v[2:3]
	s_delay_alu instid0(VALU_DEP_1)
	v_and_b32_e32 v2, 7, v43
; %bb.440:                              ;   in Loop: Header=BB295_296 Depth=1
	s_or_b32 exec_lo, exec_lo, s21
	v_lshlrev_b32_e32 v42, 8, v42
	v_lshl_add_u32 v40, v40, 10, 0x2000
	s_delay_alu instid0(VALU_DEP_1) | instskip(NEXT) | instid1(VALU_DEP_1)
	v_and_or_b32 v40, 0x8000, v42, v40
	v_lshl_or_b32 v2, v2, 7, v40
	s_delay_alu instid0(VALU_DEP_1)
	v_cvt_f32_f16_e32 v40, v2
.LBB295_441:                            ;   in Loop: Header=BB295_296 Depth=1
	s_or_b32 exec_lo, exec_lo, s20
.LBB295_442:                            ;   in Loop: Header=BB295_296 Depth=1
	s_delay_alu instid0(SALU_CYCLE_1)
	s_or_b32 exec_lo, exec_lo, s18
.LBB295_443:                            ;   in Loop: Header=BB295_296 Depth=1
	s_delay_alu instid0(SALU_CYCLE_1) | instskip(NEXT) | instid1(SALU_CYCLE_1)
	s_or_b32 exec_lo, exec_lo, s17
	s_mov_b32 s17, exec_lo
	v_cmpx_lt_u32_e32 0xffffff, v10
	s_cbranch_execz .LBB295_451
; %bb.444:                              ;   in Loop: Header=BB295_296 Depth=1
	v_lshrrev_b32_e32 v42, 24, v10
	v_bfrev_b32_e32 v41, 1
	s_mov_b32 s18, exec_lo
	s_delay_alu instid0(VALU_DEP_2)
	v_cmpx_ne_u32_e32 0x80, v42
	s_cbranch_execz .LBB295_450
; %bb.445:                              ;   in Loop: Header=BB295_296 Depth=1
	v_and_b32_e32 v43, 0x7f, v42
	v_mov_b32_e32 v41, 0x7fc02000
	s_mov_b32 s20, exec_lo
	s_delay_alu instid0(VALU_DEP_2)
	v_cmpx_ne_u32_e32 0x7f, v43
	s_cbranch_execz .LBB295_449
; %bb.446:                              ;   in Loop: Header=BB295_296 Depth=1
	v_and_b32_e32 v2, 7, v42
	v_lshrrev_b32_e32 v41, 3, v43
	s_mov_b32 s21, exec_lo
	v_cmpx_gt_u32_e32 8, v43
; %bb.447:                              ;   in Loop: Header=BB295_296 Depth=1
	s_delay_alu instid0(VALU_DEP_3) | instskip(NEXT) | instid1(VALU_DEP_1)
	v_clz_i32_u32_e32 v41, v2
	v_min_u32_e32 v41, 32, v41
	s_delay_alu instid0(VALU_DEP_1) | instskip(SKIP_1) | instid1(VALU_DEP_2)
	v_subrev_nc_u32_e32 v43, 28, v41
	v_sub_nc_u32_e32 v41, 29, v41
	v_lshlrev_b64 v[43:44], v43, v[2:3]
	s_delay_alu instid0(VALU_DEP_1)
	v_and_b32_e32 v2, 7, v43
; %bb.448:                              ;   in Loop: Header=BB295_296 Depth=1
	s_or_b32 exec_lo, exec_lo, s21
	v_lshlrev_b32_e32 v42, 8, v42
	v_lshl_add_u32 v41, v41, 10, 0x2000
	s_delay_alu instid0(VALU_DEP_1) | instskip(NEXT) | instid1(VALU_DEP_1)
	v_and_or_b32 v41, 0x8000, v42, v41
	v_lshl_or_b32 v2, v2, 7, v41
	s_delay_alu instid0(VALU_DEP_1)
	v_cvt_f32_f16_e32 v41, v2
.LBB295_449:                            ;   in Loop: Header=BB295_296 Depth=1
	s_or_b32 exec_lo, exec_lo, s20
.LBB295_450:                            ;   in Loop: Header=BB295_296 Depth=1
	s_delay_alu instid0(SALU_CYCLE_1)
	s_or_b32 exec_lo, exec_lo, s18
.LBB295_451:                            ;   in Loop: Header=BB295_296 Depth=1
	s_delay_alu instid0(SALU_CYCLE_1) | instskip(SKIP_4) | instid1(VALU_DEP_3)
	s_or_b32 exec_lo, exec_lo, s17
	v_dual_mov_b32 v43, 0 :: v_dual_and_b32 v44, 0xff, v11
	v_mov_b32_e32 v2, v11
	v_mov_b32_e32 v42, 0
	s_mov_b32 s17, exec_lo
	v_cmpx_ne_u16_e32 0, v44
	s_cbranch_execz .LBB295_457
; %bb.452:                              ;   in Loop: Header=BB295_296 Depth=1
	v_bfrev_b32_e32 v42, 1
	s_mov_b32 s18, exec_lo
	v_cmpx_ne_u16_e32 0x80, v44
	s_cbranch_execz .LBB295_456
; %bb.453:                              ;   in Loop: Header=BB295_296 Depth=1
	v_and_b32_e32 v44, 0x7f, v11
	v_mov_b32_e32 v42, 0x7fc02000
	s_mov_b32 s20, exec_lo
	s_delay_alu instid0(VALU_DEP_2)
	v_cmpx_ne_u32_e32 0x7f, v44
	s_cbranch_execz .LBB295_455
; %bb.454:                              ;   in Loop: Header=BB295_296 Depth=1
	v_and_b32_e32 v42, 7, v11
	v_cmp_gt_u32_e64 s0, 8, v44
	v_lshrrev_b32_e32 v45, 3, v44
	s_delay_alu instid0(VALU_DEP_3) | instskip(NEXT) | instid1(VALU_DEP_1)
	v_clz_i32_u32_e32 v42, v42
	v_min_u32_e32 v42, 32, v42
	s_delay_alu instid0(VALU_DEP_1) | instskip(SKIP_1) | instid1(VALU_DEP_2)
	v_subrev_nc_u32_e32 v46, 28, v42
	v_sub_nc_u32_e32 v42, 29, v42
	v_cndmask_b32_e64 v44, 0, v46, s0
	s_delay_alu instid0(VALU_DEP_2) | instskip(NEXT) | instid1(VALU_DEP_2)
	v_cndmask_b32_e64 v42, v45, v42, s0
	v_lshlrev_b64 v[44:45], v44, v[2:3]
	v_lshlrev_b32_e32 v45, 8, v11
	s_delay_alu instid0(VALU_DEP_3) | instskip(NEXT) | instid1(VALU_DEP_3)
	v_lshl_add_u32 v42, v42, 10, 0x2000
	v_lshlrev_b32_e32 v44, 7, v44
	s_delay_alu instid0(VALU_DEP_2) | instskip(NEXT) | instid1(VALU_DEP_1)
	v_and_or_b32 v42, 0x8000, v45, v42
	v_and_or_b32 v42, 0x380, v44, v42
	s_delay_alu instid0(VALU_DEP_1)
	v_cvt_f32_f16_e32 v42, v42
.LBB295_455:                            ;   in Loop: Header=BB295_296 Depth=1
	s_or_b32 exec_lo, exec_lo, s20
.LBB295_456:                            ;   in Loop: Header=BB295_296 Depth=1
	s_delay_alu instid0(SALU_CYCLE_1)
	s_or_b32 exec_lo, exec_lo, s18
.LBB295_457:                            ;   in Loop: Header=BB295_296 Depth=1
	s_delay_alu instid0(SALU_CYCLE_1) | instskip(SKIP_2) | instid1(VALU_DEP_1)
	s_or_b32 exec_lo, exec_lo, s17
	v_lshrrev_b16 v2, 8, v2
	s_mov_b32 s17, exec_lo
	v_cmpx_ne_u16_e32 0, v2
	s_cbranch_execz .LBB295_465
; %bb.458:                              ;   in Loop: Header=BB295_296 Depth=1
	v_bfrev_b32_e32 v43, 1
	s_mov_b32 s18, exec_lo
	v_cmpx_ne_u16_e32 0x80, v2
	s_cbranch_execz .LBB295_464
; %bb.459:                              ;   in Loop: Header=BB295_296 Depth=1
	v_and_b32_e32 v44, 0xffff, v2
	v_mov_b32_e32 v43, 0x7fc02000
	s_mov_b32 s20, exec_lo
	s_delay_alu instid0(VALU_DEP_2) | instskip(NEXT) | instid1(VALU_DEP_1)
	v_and_b32_e32 v45, 0x7f, v44
	v_cmpx_ne_u32_e32 0x7f, v45
	s_cbranch_execz .LBB295_463
; %bb.460:                              ;   in Loop: Header=BB295_296 Depth=1
	v_and_b32_e32 v2, 7, v44
	v_lshrrev_b32_e32 v43, 3, v45
	s_mov_b32 s21, exec_lo
	v_cmpx_gt_u32_e32 8, v45
; %bb.461:                              ;   in Loop: Header=BB295_296 Depth=1
	s_delay_alu instid0(VALU_DEP_3) | instskip(NEXT) | instid1(VALU_DEP_1)
	v_clz_i32_u32_e32 v43, v2
	v_min_u32_e32 v43, 32, v43
	s_delay_alu instid0(VALU_DEP_1) | instskip(SKIP_1) | instid1(VALU_DEP_2)
	v_subrev_nc_u32_e32 v45, 28, v43
	v_sub_nc_u32_e32 v43, 29, v43
	v_lshlrev_b64 v[45:46], v45, v[2:3]
	s_delay_alu instid0(VALU_DEP_1)
	v_and_b32_e32 v2, 7, v45
; %bb.462:                              ;   in Loop: Header=BB295_296 Depth=1
	s_or_b32 exec_lo, exec_lo, s21
	v_lshlrev_b32_e32 v44, 8, v44
	v_lshl_add_u32 v43, v43, 10, 0x2000
	s_delay_alu instid0(VALU_DEP_1) | instskip(NEXT) | instid1(VALU_DEP_1)
	v_and_or_b32 v43, 0x8000, v44, v43
	v_lshl_or_b32 v2, v2, 7, v43
	s_delay_alu instid0(VALU_DEP_1)
	v_cvt_f32_f16_e32 v43, v2
.LBB295_463:                            ;   in Loop: Header=BB295_296 Depth=1
	s_or_b32 exec_lo, exec_lo, s20
.LBB295_464:                            ;   in Loop: Header=BB295_296 Depth=1
	s_delay_alu instid0(SALU_CYCLE_1)
	s_or_b32 exec_lo, exec_lo, s18
.LBB295_465:                            ;   in Loop: Header=BB295_296 Depth=1
	s_delay_alu instid0(SALU_CYCLE_1) | instskip(SKIP_3) | instid1(VALU_DEP_2)
	s_or_b32 exec_lo, exec_lo, s17
	v_lshrrev_b32_e32 v46, 16, v11
	v_mov_b32_e32 v44, 0
	s_mov_b32 s17, exec_lo
	v_dual_mov_b32 v45, 0 :: v_dual_and_b32 v2, 0xff, v46
	s_delay_alu instid0(VALU_DEP_1)
	v_cmpx_ne_u16_e32 0, v2
	s_cbranch_execz .LBB295_473
; %bb.466:                              ;   in Loop: Header=BB295_296 Depth=1
	v_bfrev_b32_e32 v44, 1
	s_mov_b32 s18, exec_lo
	v_cmpx_ne_u16_e32 0x80, v2
	s_cbranch_execz .LBB295_472
; %bb.467:                              ;   in Loop: Header=BB295_296 Depth=1
	v_bfe_u32 v47, v11, 16, 7
	v_mov_b32_e32 v44, 0x7fc02000
	s_mov_b32 s20, exec_lo
	s_delay_alu instid0(VALU_DEP_2)
	v_cmpx_ne_u32_e32 0x7f, v47
	s_cbranch_execz .LBB295_471
; %bb.468:                              ;   in Loop: Header=BB295_296 Depth=1
	v_and_b32_e32 v2, 7, v46
	v_lshrrev_b32_e32 v44, 3, v47
	s_mov_b32 s21, exec_lo
	v_cmpx_gt_u32_e32 8, v47
; %bb.469:                              ;   in Loop: Header=BB295_296 Depth=1
	s_delay_alu instid0(VALU_DEP_3) | instskip(NEXT) | instid1(VALU_DEP_1)
	v_clz_i32_u32_e32 v44, v2
	v_min_u32_e32 v44, 32, v44
	s_delay_alu instid0(VALU_DEP_1) | instskip(SKIP_1) | instid1(VALU_DEP_2)
	v_subrev_nc_u32_e32 v47, 28, v44
	v_sub_nc_u32_e32 v44, 29, v44
	v_lshlrev_b64 v[47:48], v47, v[2:3]
	s_delay_alu instid0(VALU_DEP_1)
	v_and_b32_e32 v2, 7, v47
; %bb.470:                              ;   in Loop: Header=BB295_296 Depth=1
	s_or_b32 exec_lo, exec_lo, s21
	v_lshlrev_b32_e32 v46, 8, v46
	v_lshl_add_u32 v44, v44, 10, 0x2000
	s_delay_alu instid0(VALU_DEP_1) | instskip(NEXT) | instid1(VALU_DEP_1)
	v_and_or_b32 v44, 0x8000, v46, v44
	v_lshl_or_b32 v2, v2, 7, v44
	s_delay_alu instid0(VALU_DEP_1)
	v_cvt_f32_f16_e32 v44, v2
.LBB295_471:                            ;   in Loop: Header=BB295_296 Depth=1
	s_or_b32 exec_lo, exec_lo, s20
.LBB295_472:                            ;   in Loop: Header=BB295_296 Depth=1
	s_delay_alu instid0(SALU_CYCLE_1)
	s_or_b32 exec_lo, exec_lo, s18
.LBB295_473:                            ;   in Loop: Header=BB295_296 Depth=1
	s_delay_alu instid0(SALU_CYCLE_1) | instskip(NEXT) | instid1(SALU_CYCLE_1)
	s_or_b32 exec_lo, exec_lo, s17
	s_mov_b32 s17, exec_lo
	v_cmpx_lt_u64_e64 s[8:9], v[10:11]
	s_cbranch_execz .LBB295_481
; %bb.474:                              ;   in Loop: Header=BB295_296 Depth=1
	v_lshrrev_b32_e32 v10, 24, v11
	v_bfrev_b32_e32 v45, 1
	s_mov_b32 s18, exec_lo
	s_delay_alu instid0(VALU_DEP_2)
	v_cmpx_ne_u32_e32 0x80, v10
	s_cbranch_execz .LBB295_480
; %bb.475:                              ;   in Loop: Header=BB295_296 Depth=1
	v_and_b32_e32 v46, 0x7f, v10
	v_mov_b32_e32 v45, 0x7fc02000
	s_mov_b32 s20, exec_lo
	s_delay_alu instid0(VALU_DEP_2)
	v_cmpx_ne_u32_e32 0x7f, v46
	s_cbranch_execz .LBB295_479
; %bb.476:                              ;   in Loop: Header=BB295_296 Depth=1
	v_and_b32_e32 v2, 7, v10
	v_lshrrev_b32_e32 v11, 3, v46
	s_mov_b32 s21, exec_lo
	v_cmpx_gt_u32_e32 8, v46
; %bb.477:                              ;   in Loop: Header=BB295_296 Depth=1
	s_delay_alu instid0(VALU_DEP_3) | instskip(NEXT) | instid1(VALU_DEP_1)
	v_clz_i32_u32_e32 v11, v2
	v_min_u32_e32 v11, 32, v11
	s_delay_alu instid0(VALU_DEP_1) | instskip(SKIP_1) | instid1(VALU_DEP_2)
	v_subrev_nc_u32_e32 v45, 28, v11
	v_sub_nc_u32_e32 v11, 29, v11
	v_lshlrev_b64 v[45:46], v45, v[2:3]
	s_delay_alu instid0(VALU_DEP_1)
	v_and_b32_e32 v2, 7, v45
; %bb.478:                              ;   in Loop: Header=BB295_296 Depth=1
	s_or_b32 exec_lo, exec_lo, s21
	v_lshlrev_b32_e32 v10, 8, v10
	v_lshl_add_u32 v11, v11, 10, 0x2000
	s_delay_alu instid0(VALU_DEP_1) | instskip(NEXT) | instid1(VALU_DEP_1)
	v_and_or_b32 v10, 0x8000, v10, v11
	v_lshl_or_b32 v2, v2, 7, v10
	s_delay_alu instid0(VALU_DEP_1)
	v_cvt_f32_f16_e32 v45, v2
.LBB295_479:                            ;   in Loop: Header=BB295_296 Depth=1
	s_or_b32 exec_lo, exec_lo, s20
.LBB295_480:                            ;   in Loop: Header=BB295_296 Depth=1
	s_delay_alu instid0(SALU_CYCLE_1)
	s_or_b32 exec_lo, exec_lo, s18
.LBB295_481:                            ;   in Loop: Header=BB295_296 Depth=1
	s_delay_alu instid0(SALU_CYCLE_1)
	s_or_b32 exec_lo, exec_lo, s17
	s_waitcnt vmcnt(0)
	v_fma_mixlo_f16 v11, v37, v39, 0
	v_fma_mixlo_f16 v2, v37, v41, 0
	;; [unrolled: 1-line block ×5, first 2 shown]
	v_lshlrev_b32_e32 v39, 16, v11
	v_fma_mixlo_f16 v41, v37, v42, 0
	v_fma_mixlo_f16 v42, v37, v45, 0
	;; [unrolled: 1-line block ×3, first 2 shown]
	v_lshlrev_b32_e32 v2, 16, v2
	v_and_b32_e32 v10, 0xffff, v10
	v_and_b32_e32 v38, 0xffff, v38
	v_lshlrev_b32_e32 v40, 16, v40
	v_and_b32_e32 v41, 0xffff, v41
	v_lshlrev_b32_e32 v42, 16, v42
	v_and_b32_e32 v43, 0xffff, v11
	v_or_b32_e32 v37, v2, v10
	v_or_b32_e32 v38, v39, v38
	;; [unrolled: 1-line block ×3, first 2 shown]
	s_delay_alu instid0(VALU_DEP_4)
	v_or_b32_e32 v10, v42, v43
	s_and_saveexec_b32 s17, vcc_lo
	s_cbranch_execz .LBB295_483
; %bb.482:                              ;   in Loop: Header=BB295_296 Depth=1
	v_cmp_gt_i32_e64 s0, s15, v14
	v_lshrrev_b32_e32 v39, 16, v38
	v_lshrrev_b32_e32 v40, 16, v37
	;; [unrolled: 1-line block ×4, first 2 shown]
	v_cndmask_b32_e64 v38, 0, v38, s0
	v_cmp_gt_i32_e64 s0, s13, v28
	s_delay_alu instid0(VALU_DEP_1) | instskip(SKIP_1) | instid1(VALU_DEP_2)
	v_cndmask_b32_e64 v39, 0, v39, s0
	v_cmp_gt_i32_e64 s0, s13, v27
	v_perm_b32 v38, v39, v38, 0x5040100
	s_delay_alu instid0(VALU_DEP_2) | instskip(SKIP_1) | instid1(VALU_DEP_1)
	v_cndmask_b32_e64 v40, 0, v40, s0
	v_cmp_gt_i32_e64 s0, s15, v26
	v_cndmask_b32_e64 v37, 0, v37, s0
	v_cmp_gt_i32_e64 s0, s13, v25
	s_delay_alu instid0(VALU_DEP_2) | instskip(NEXT) | instid1(VALU_DEP_2)
	v_perm_b32 v37, v40, v37, 0x5040100
	v_cndmask_b32_e64 v41, 0, v41, s0
	v_cmp_gt_i32_e64 s0, s15, v24
	s_delay_alu instid0(VALU_DEP_1) | instskip(SKIP_1) | instid1(VALU_DEP_2)
	v_cndmask_b32_e64 v2, 0, v2, s0
	v_cmp_gt_i32_e64 s0, s13, v23
	v_perm_b32 v2, v41, v2, 0x5040100
	s_delay_alu instid0(VALU_DEP_2) | instskip(SKIP_1) | instid1(VALU_DEP_1)
	v_cndmask_b32_e64 v10, 0, v10, s0
	v_cmp_gt_i32_e64 s0, s15, v22
	v_cndmask_b32_e64 v11, 0, v11, s0
	s_delay_alu instid0(VALU_DEP_1)
	v_perm_b32 v10, v10, v11, 0x5040100
.LBB295_483:                            ;   in Loop: Header=BB295_296 Depth=1
	s_or_b32 exec_lo, exec_lo, s17
	;;#ASMSTART
	v_pk_mul_f16 v11, v34, v38;

	;;#ASMEND
	;;#ASMSTART
	v_pk_mul_f16 v37, v33, v37;

	;;#ASMEND
	;; [unrolled: 4-line block ×4, first 2 shown]
	;;#ASMSTART
	v_pk_add_f16 v11, v11, v37;

	;;#ASMEND
	;;#ASMSTART
	v_pk_add_f16 v2, v11, v2;

	;;#ASMEND
	;; [unrolled: 4-line block ×3, first 2 shown]
	v_dual_mov_b32 v39, 0 :: v_dual_and_b32 v10, 0xffff, v2
	v_lshrrev_b32_e32 v2, 16, v2
	;;#ASMSTART
	v_cvt_f32_f16 v10, v10;
	;;#ASMEND
	;;#ASMSTART
	v_cvt_f32_f16 v11, v2;
	;;#ASMEND
	global_load_b64 v[8:9], v[8:9], off offset:768
	global_load_b32 v37, v3, s[10:11]
	v_mov_b32_e32 v38, 0
	s_mov_b32 s17, exec_lo
	s_waitcnt vmcnt(1)
	v_and_b32_e32 v2, 0xff, v8
	s_delay_alu instid0(VALU_DEP_1)
	v_cmpx_ne_u16_e32 0, v2
	s_cbranch_execz .LBB295_489
; %bb.484:                              ;   in Loop: Header=BB295_296 Depth=1
	v_bfrev_b32_e32 v38, 1
	s_mov_b32 s18, exec_lo
	v_cmpx_ne_u16_e32 0x80, v2
	s_cbranch_execz .LBB295_488
; %bb.485:                              ;   in Loop: Header=BB295_296 Depth=1
	v_and_b32_e32 v2, 0x7f, v8
	v_mov_b32_e32 v38, 0x7fc02000
	s_mov_b32 s20, exec_lo
	s_delay_alu instid0(VALU_DEP_2)
	v_cmpx_ne_u32_e32 0x7f, v2
	s_cbranch_execz .LBB295_487
; %bb.486:                              ;   in Loop: Header=BB295_296 Depth=1
	v_and_b32_e32 v38, 7, v8
	v_cmp_gt_u32_e64 s0, 8, v2
	v_lshrrev_b32_e32 v40, 3, v2
	s_delay_alu instid0(VALU_DEP_3) | instskip(NEXT) | instid1(VALU_DEP_1)
	v_clz_i32_u32_e32 v38, v38
	v_min_u32_e32 v38, 32, v38
	s_delay_alu instid0(VALU_DEP_1) | instskip(SKIP_1) | instid1(VALU_DEP_2)
	v_subrev_nc_u32_e32 v41, 28, v38
	v_sub_nc_u32_e32 v38, 29, v38
	v_cndmask_b32_e64 v2, 0, v41, s0
	s_delay_alu instid0(VALU_DEP_2) | instskip(NEXT) | instid1(VALU_DEP_2)
	v_cndmask_b32_e64 v38, v40, v38, s0
	v_lshlrev_b64 v[40:41], v2, v[8:9]
	v_lshlrev_b32_e32 v2, 8, v8
	s_delay_alu instid0(VALU_DEP_3) | instskip(NEXT) | instid1(VALU_DEP_3)
	v_lshl_add_u32 v38, v38, 10, 0x2000
	v_lshlrev_b32_e32 v40, 7, v40
	s_delay_alu instid0(VALU_DEP_2) | instskip(NEXT) | instid1(VALU_DEP_1)
	v_and_or_b32 v2, 0x8000, v2, v38
	v_and_or_b32 v2, 0x380, v40, v2
	s_delay_alu instid0(VALU_DEP_1)
	v_cvt_f32_f16_e32 v38, v2
.LBB295_487:                            ;   in Loop: Header=BB295_296 Depth=1
	s_or_b32 exec_lo, exec_lo, s20
.LBB295_488:                            ;   in Loop: Header=BB295_296 Depth=1
	s_delay_alu instid0(SALU_CYCLE_1)
	s_or_b32 exec_lo, exec_lo, s18
.LBB295_489:                            ;   in Loop: Header=BB295_296 Depth=1
	s_delay_alu instid0(SALU_CYCLE_1) | instskip(SKIP_2) | instid1(VALU_DEP_1)
	s_or_b32 exec_lo, exec_lo, s17
	v_lshrrev_b16 v2, 8, v8
	s_mov_b32 s17, exec_lo
	v_cmpx_ne_u16_e32 0, v2
	s_cbranch_execz .LBB295_497
; %bb.490:                              ;   in Loop: Header=BB295_296 Depth=1
	v_bfrev_b32_e32 v39, 1
	s_mov_b32 s18, exec_lo
	v_cmpx_ne_u16_e32 0x80, v2
	s_cbranch_execz .LBB295_496
; %bb.491:                              ;   in Loop: Header=BB295_296 Depth=1
	v_and_b32_e32 v40, 0xffff, v2
	v_mov_b32_e32 v39, 0x7fc02000
	s_mov_b32 s20, exec_lo
	s_delay_alu instid0(VALU_DEP_2) | instskip(NEXT) | instid1(VALU_DEP_1)
	v_and_b32_e32 v41, 0x7f, v40
	v_cmpx_ne_u32_e32 0x7f, v41
	s_cbranch_execz .LBB295_495
; %bb.492:                              ;   in Loop: Header=BB295_296 Depth=1
	v_and_b32_e32 v2, 7, v40
	v_lshrrev_b32_e32 v39, 3, v41
	s_mov_b32 s21, exec_lo
	v_cmpx_gt_u32_e32 8, v41
; %bb.493:                              ;   in Loop: Header=BB295_296 Depth=1
	s_delay_alu instid0(VALU_DEP_3) | instskip(NEXT) | instid1(VALU_DEP_1)
	v_clz_i32_u32_e32 v39, v2
	v_min_u32_e32 v39, 32, v39
	s_delay_alu instid0(VALU_DEP_1) | instskip(SKIP_1) | instid1(VALU_DEP_2)
	v_subrev_nc_u32_e32 v41, 28, v39
	v_sub_nc_u32_e32 v39, 29, v39
	v_lshlrev_b64 v[41:42], v41, v[2:3]
	s_delay_alu instid0(VALU_DEP_1)
	v_and_b32_e32 v2, 7, v41
; %bb.494:                              ;   in Loop: Header=BB295_296 Depth=1
	s_or_b32 exec_lo, exec_lo, s21
	v_lshlrev_b32_e32 v40, 8, v40
	v_lshl_add_u32 v39, v39, 10, 0x2000
	s_delay_alu instid0(VALU_DEP_1) | instskip(NEXT) | instid1(VALU_DEP_1)
	v_and_or_b32 v39, 0x8000, v40, v39
	v_lshl_or_b32 v2, v2, 7, v39
	s_delay_alu instid0(VALU_DEP_1)
	v_cvt_f32_f16_e32 v39, v2
.LBB295_495:                            ;   in Loop: Header=BB295_296 Depth=1
	s_or_b32 exec_lo, exec_lo, s20
.LBB295_496:                            ;   in Loop: Header=BB295_296 Depth=1
	s_delay_alu instid0(SALU_CYCLE_1)
	s_or_b32 exec_lo, exec_lo, s18
.LBB295_497:                            ;   in Loop: Header=BB295_296 Depth=1
	s_delay_alu instid0(SALU_CYCLE_1) | instskip(SKIP_3) | instid1(VALU_DEP_2)
	s_or_b32 exec_lo, exec_lo, s17
	v_lshrrev_b32_e32 v42, 16, v8
	v_mov_b32_e32 v40, 0
	s_mov_b32 s17, exec_lo
	v_dual_mov_b32 v41, 0 :: v_dual_and_b32 v2, 0xff, v42
	s_delay_alu instid0(VALU_DEP_1)
	v_cmpx_ne_u16_e32 0, v2
	s_cbranch_execz .LBB295_505
; %bb.498:                              ;   in Loop: Header=BB295_296 Depth=1
	v_bfrev_b32_e32 v40, 1
	s_mov_b32 s18, exec_lo
	v_cmpx_ne_u16_e32 0x80, v2
	s_cbranch_execz .LBB295_504
; %bb.499:                              ;   in Loop: Header=BB295_296 Depth=1
	v_bfe_u32 v43, v8, 16, 7
	v_mov_b32_e32 v40, 0x7fc02000
	s_mov_b32 s20, exec_lo
	s_delay_alu instid0(VALU_DEP_2)
	v_cmpx_ne_u32_e32 0x7f, v43
	s_cbranch_execz .LBB295_503
; %bb.500:                              ;   in Loop: Header=BB295_296 Depth=1
	v_and_b32_e32 v2, 7, v42
	v_lshrrev_b32_e32 v40, 3, v43
	s_mov_b32 s21, exec_lo
	v_cmpx_gt_u32_e32 8, v43
; %bb.501:                              ;   in Loop: Header=BB295_296 Depth=1
	s_delay_alu instid0(VALU_DEP_3) | instskip(NEXT) | instid1(VALU_DEP_1)
	v_clz_i32_u32_e32 v40, v2
	v_min_u32_e32 v40, 32, v40
	s_delay_alu instid0(VALU_DEP_1) | instskip(SKIP_1) | instid1(VALU_DEP_2)
	v_subrev_nc_u32_e32 v43, 28, v40
	v_sub_nc_u32_e32 v40, 29, v40
	v_lshlrev_b64 v[43:44], v43, v[2:3]
	s_delay_alu instid0(VALU_DEP_1)
	v_and_b32_e32 v2, 7, v43
; %bb.502:                              ;   in Loop: Header=BB295_296 Depth=1
	s_or_b32 exec_lo, exec_lo, s21
	v_lshlrev_b32_e32 v42, 8, v42
	v_lshl_add_u32 v40, v40, 10, 0x2000
	s_delay_alu instid0(VALU_DEP_1) | instskip(NEXT) | instid1(VALU_DEP_1)
	v_and_or_b32 v40, 0x8000, v42, v40
	v_lshl_or_b32 v2, v2, 7, v40
	s_delay_alu instid0(VALU_DEP_1)
	v_cvt_f32_f16_e32 v40, v2
.LBB295_503:                            ;   in Loop: Header=BB295_296 Depth=1
	s_or_b32 exec_lo, exec_lo, s20
.LBB295_504:                            ;   in Loop: Header=BB295_296 Depth=1
	s_delay_alu instid0(SALU_CYCLE_1)
	s_or_b32 exec_lo, exec_lo, s18
.LBB295_505:                            ;   in Loop: Header=BB295_296 Depth=1
	s_delay_alu instid0(SALU_CYCLE_1) | instskip(NEXT) | instid1(SALU_CYCLE_1)
	s_or_b32 exec_lo, exec_lo, s17
	s_mov_b32 s17, exec_lo
	v_cmpx_lt_u32_e32 0xffffff, v8
	s_cbranch_execz .LBB295_513
; %bb.506:                              ;   in Loop: Header=BB295_296 Depth=1
	v_lshrrev_b32_e32 v42, 24, v8
	v_bfrev_b32_e32 v41, 1
	s_mov_b32 s18, exec_lo
	s_delay_alu instid0(VALU_DEP_2)
	v_cmpx_ne_u32_e32 0x80, v42
	s_cbranch_execz .LBB295_512
; %bb.507:                              ;   in Loop: Header=BB295_296 Depth=1
	v_and_b32_e32 v43, 0x7f, v42
	v_mov_b32_e32 v41, 0x7fc02000
	s_mov_b32 s20, exec_lo
	s_delay_alu instid0(VALU_DEP_2)
	v_cmpx_ne_u32_e32 0x7f, v43
	s_cbranch_execz .LBB295_511
; %bb.508:                              ;   in Loop: Header=BB295_296 Depth=1
	v_and_b32_e32 v2, 7, v42
	v_lshrrev_b32_e32 v41, 3, v43
	s_mov_b32 s21, exec_lo
	v_cmpx_gt_u32_e32 8, v43
; %bb.509:                              ;   in Loop: Header=BB295_296 Depth=1
	s_delay_alu instid0(VALU_DEP_3) | instskip(NEXT) | instid1(VALU_DEP_1)
	v_clz_i32_u32_e32 v41, v2
	v_min_u32_e32 v41, 32, v41
	s_delay_alu instid0(VALU_DEP_1) | instskip(SKIP_1) | instid1(VALU_DEP_2)
	v_subrev_nc_u32_e32 v43, 28, v41
	v_sub_nc_u32_e32 v41, 29, v41
	v_lshlrev_b64 v[43:44], v43, v[2:3]
	s_delay_alu instid0(VALU_DEP_1)
	v_and_b32_e32 v2, 7, v43
; %bb.510:                              ;   in Loop: Header=BB295_296 Depth=1
	s_or_b32 exec_lo, exec_lo, s21
	v_lshlrev_b32_e32 v42, 8, v42
	v_lshl_add_u32 v41, v41, 10, 0x2000
	s_delay_alu instid0(VALU_DEP_1) | instskip(NEXT) | instid1(VALU_DEP_1)
	v_and_or_b32 v41, 0x8000, v42, v41
	v_lshl_or_b32 v2, v2, 7, v41
	s_delay_alu instid0(VALU_DEP_1)
	v_cvt_f32_f16_e32 v41, v2
.LBB295_511:                            ;   in Loop: Header=BB295_296 Depth=1
	s_or_b32 exec_lo, exec_lo, s20
.LBB295_512:                            ;   in Loop: Header=BB295_296 Depth=1
	s_delay_alu instid0(SALU_CYCLE_1)
	s_or_b32 exec_lo, exec_lo, s18
.LBB295_513:                            ;   in Loop: Header=BB295_296 Depth=1
	s_delay_alu instid0(SALU_CYCLE_1) | instskip(SKIP_4) | instid1(VALU_DEP_3)
	s_or_b32 exec_lo, exec_lo, s17
	v_dual_mov_b32 v43, 0 :: v_dual_and_b32 v44, 0xff, v9
	v_mov_b32_e32 v2, v9
	v_mov_b32_e32 v42, 0
	s_mov_b32 s17, exec_lo
	v_cmpx_ne_u16_e32 0, v44
	s_cbranch_execz .LBB295_519
; %bb.514:                              ;   in Loop: Header=BB295_296 Depth=1
	v_bfrev_b32_e32 v42, 1
	s_mov_b32 s18, exec_lo
	v_cmpx_ne_u16_e32 0x80, v44
	s_cbranch_execz .LBB295_518
; %bb.515:                              ;   in Loop: Header=BB295_296 Depth=1
	v_and_b32_e32 v44, 0x7f, v9
	v_mov_b32_e32 v42, 0x7fc02000
	s_mov_b32 s20, exec_lo
	s_delay_alu instid0(VALU_DEP_2)
	v_cmpx_ne_u32_e32 0x7f, v44
	s_cbranch_execz .LBB295_517
; %bb.516:                              ;   in Loop: Header=BB295_296 Depth=1
	v_and_b32_e32 v42, 7, v9
	v_cmp_gt_u32_e64 s0, 8, v44
	v_lshrrev_b32_e32 v45, 3, v44
	s_delay_alu instid0(VALU_DEP_3) | instskip(NEXT) | instid1(VALU_DEP_1)
	v_clz_i32_u32_e32 v42, v42
	v_min_u32_e32 v42, 32, v42
	s_delay_alu instid0(VALU_DEP_1) | instskip(SKIP_1) | instid1(VALU_DEP_2)
	v_subrev_nc_u32_e32 v46, 28, v42
	v_sub_nc_u32_e32 v42, 29, v42
	v_cndmask_b32_e64 v44, 0, v46, s0
	s_delay_alu instid0(VALU_DEP_2) | instskip(NEXT) | instid1(VALU_DEP_2)
	v_cndmask_b32_e64 v42, v45, v42, s0
	v_lshlrev_b64 v[44:45], v44, v[2:3]
	v_lshlrev_b32_e32 v45, 8, v9
	s_delay_alu instid0(VALU_DEP_3) | instskip(NEXT) | instid1(VALU_DEP_3)
	v_lshl_add_u32 v42, v42, 10, 0x2000
	v_lshlrev_b32_e32 v44, 7, v44
	s_delay_alu instid0(VALU_DEP_2) | instskip(NEXT) | instid1(VALU_DEP_1)
	v_and_or_b32 v42, 0x8000, v45, v42
	v_and_or_b32 v42, 0x380, v44, v42
	s_delay_alu instid0(VALU_DEP_1)
	v_cvt_f32_f16_e32 v42, v42
.LBB295_517:                            ;   in Loop: Header=BB295_296 Depth=1
	s_or_b32 exec_lo, exec_lo, s20
.LBB295_518:                            ;   in Loop: Header=BB295_296 Depth=1
	s_delay_alu instid0(SALU_CYCLE_1)
	s_or_b32 exec_lo, exec_lo, s18
.LBB295_519:                            ;   in Loop: Header=BB295_296 Depth=1
	s_delay_alu instid0(SALU_CYCLE_1) | instskip(SKIP_2) | instid1(VALU_DEP_1)
	s_or_b32 exec_lo, exec_lo, s17
	v_lshrrev_b16 v2, 8, v2
	s_mov_b32 s17, exec_lo
	v_cmpx_ne_u16_e32 0, v2
	s_cbranch_execz .LBB295_527
; %bb.520:                              ;   in Loop: Header=BB295_296 Depth=1
	v_bfrev_b32_e32 v43, 1
	s_mov_b32 s18, exec_lo
	v_cmpx_ne_u16_e32 0x80, v2
	s_cbranch_execz .LBB295_526
; %bb.521:                              ;   in Loop: Header=BB295_296 Depth=1
	v_and_b32_e32 v44, 0xffff, v2
	v_mov_b32_e32 v43, 0x7fc02000
	s_mov_b32 s20, exec_lo
	s_delay_alu instid0(VALU_DEP_2) | instskip(NEXT) | instid1(VALU_DEP_1)
	v_and_b32_e32 v45, 0x7f, v44
	v_cmpx_ne_u32_e32 0x7f, v45
	s_cbranch_execz .LBB295_525
; %bb.522:                              ;   in Loop: Header=BB295_296 Depth=1
	v_and_b32_e32 v2, 7, v44
	v_lshrrev_b32_e32 v43, 3, v45
	s_mov_b32 s21, exec_lo
	v_cmpx_gt_u32_e32 8, v45
; %bb.523:                              ;   in Loop: Header=BB295_296 Depth=1
	s_delay_alu instid0(VALU_DEP_3) | instskip(NEXT) | instid1(VALU_DEP_1)
	v_clz_i32_u32_e32 v43, v2
	v_min_u32_e32 v43, 32, v43
	s_delay_alu instid0(VALU_DEP_1) | instskip(SKIP_1) | instid1(VALU_DEP_2)
	v_subrev_nc_u32_e32 v45, 28, v43
	v_sub_nc_u32_e32 v43, 29, v43
	v_lshlrev_b64 v[45:46], v45, v[2:3]
	s_delay_alu instid0(VALU_DEP_1)
	v_and_b32_e32 v2, 7, v45
; %bb.524:                              ;   in Loop: Header=BB295_296 Depth=1
	s_or_b32 exec_lo, exec_lo, s21
	v_lshlrev_b32_e32 v44, 8, v44
	v_lshl_add_u32 v43, v43, 10, 0x2000
	s_delay_alu instid0(VALU_DEP_1) | instskip(NEXT) | instid1(VALU_DEP_1)
	v_and_or_b32 v43, 0x8000, v44, v43
	v_lshl_or_b32 v2, v2, 7, v43
	s_delay_alu instid0(VALU_DEP_1)
	v_cvt_f32_f16_e32 v43, v2
.LBB295_525:                            ;   in Loop: Header=BB295_296 Depth=1
	s_or_b32 exec_lo, exec_lo, s20
.LBB295_526:                            ;   in Loop: Header=BB295_296 Depth=1
	s_delay_alu instid0(SALU_CYCLE_1)
	s_or_b32 exec_lo, exec_lo, s18
.LBB295_527:                            ;   in Loop: Header=BB295_296 Depth=1
	s_delay_alu instid0(SALU_CYCLE_1) | instskip(SKIP_3) | instid1(VALU_DEP_2)
	s_or_b32 exec_lo, exec_lo, s17
	v_lshrrev_b32_e32 v46, 16, v9
	v_mov_b32_e32 v44, 0
	s_mov_b32 s17, exec_lo
	v_dual_mov_b32 v45, 0 :: v_dual_and_b32 v2, 0xff, v46
	s_delay_alu instid0(VALU_DEP_1)
	v_cmpx_ne_u16_e32 0, v2
	s_cbranch_execz .LBB295_535
; %bb.528:                              ;   in Loop: Header=BB295_296 Depth=1
	v_bfrev_b32_e32 v44, 1
	s_mov_b32 s18, exec_lo
	v_cmpx_ne_u16_e32 0x80, v2
	s_cbranch_execz .LBB295_534
; %bb.529:                              ;   in Loop: Header=BB295_296 Depth=1
	v_bfe_u32 v47, v9, 16, 7
	v_mov_b32_e32 v44, 0x7fc02000
	s_mov_b32 s20, exec_lo
	s_delay_alu instid0(VALU_DEP_2)
	v_cmpx_ne_u32_e32 0x7f, v47
	s_cbranch_execz .LBB295_533
; %bb.530:                              ;   in Loop: Header=BB295_296 Depth=1
	v_and_b32_e32 v2, 7, v46
	v_lshrrev_b32_e32 v44, 3, v47
	s_mov_b32 s21, exec_lo
	v_cmpx_gt_u32_e32 8, v47
; %bb.531:                              ;   in Loop: Header=BB295_296 Depth=1
	s_delay_alu instid0(VALU_DEP_3) | instskip(NEXT) | instid1(VALU_DEP_1)
	v_clz_i32_u32_e32 v44, v2
	v_min_u32_e32 v44, 32, v44
	s_delay_alu instid0(VALU_DEP_1) | instskip(SKIP_1) | instid1(VALU_DEP_2)
	v_subrev_nc_u32_e32 v47, 28, v44
	v_sub_nc_u32_e32 v44, 29, v44
	v_lshlrev_b64 v[47:48], v47, v[2:3]
	s_delay_alu instid0(VALU_DEP_1)
	v_and_b32_e32 v2, 7, v47
; %bb.532:                              ;   in Loop: Header=BB295_296 Depth=1
	s_or_b32 exec_lo, exec_lo, s21
	v_lshlrev_b32_e32 v46, 8, v46
	v_lshl_add_u32 v44, v44, 10, 0x2000
	s_delay_alu instid0(VALU_DEP_1) | instskip(NEXT) | instid1(VALU_DEP_1)
	v_and_or_b32 v44, 0x8000, v46, v44
	v_lshl_or_b32 v2, v2, 7, v44
	s_delay_alu instid0(VALU_DEP_1)
	v_cvt_f32_f16_e32 v44, v2
.LBB295_533:                            ;   in Loop: Header=BB295_296 Depth=1
	s_or_b32 exec_lo, exec_lo, s20
.LBB295_534:                            ;   in Loop: Header=BB295_296 Depth=1
	s_delay_alu instid0(SALU_CYCLE_1)
	s_or_b32 exec_lo, exec_lo, s18
.LBB295_535:                            ;   in Loop: Header=BB295_296 Depth=1
	s_delay_alu instid0(SALU_CYCLE_1) | instskip(NEXT) | instid1(SALU_CYCLE_1)
	s_or_b32 exec_lo, exec_lo, s17
	s_mov_b32 s17, exec_lo
	v_cmpx_lt_u64_e64 s[8:9], v[8:9]
	s_cbranch_execz .LBB295_543
; %bb.536:                              ;   in Loop: Header=BB295_296 Depth=1
	v_lshrrev_b32_e32 v8, 24, v9
	v_bfrev_b32_e32 v45, 1
	s_mov_b32 s18, exec_lo
	s_delay_alu instid0(VALU_DEP_2)
	v_cmpx_ne_u32_e32 0x80, v8
	s_cbranch_execz .LBB295_542
; %bb.537:                              ;   in Loop: Header=BB295_296 Depth=1
	v_and_b32_e32 v46, 0x7f, v8
	v_mov_b32_e32 v45, 0x7fc02000
	s_mov_b32 s20, exec_lo
	s_delay_alu instid0(VALU_DEP_2)
	v_cmpx_ne_u32_e32 0x7f, v46
	s_cbranch_execz .LBB295_541
; %bb.538:                              ;   in Loop: Header=BB295_296 Depth=1
	v_and_b32_e32 v2, 7, v8
	v_lshrrev_b32_e32 v9, 3, v46
	s_mov_b32 s21, exec_lo
	v_cmpx_gt_u32_e32 8, v46
; %bb.539:                              ;   in Loop: Header=BB295_296 Depth=1
	s_delay_alu instid0(VALU_DEP_3) | instskip(NEXT) | instid1(VALU_DEP_1)
	v_clz_i32_u32_e32 v9, v2
	v_min_u32_e32 v9, 32, v9
	s_delay_alu instid0(VALU_DEP_1) | instskip(SKIP_1) | instid1(VALU_DEP_2)
	v_subrev_nc_u32_e32 v45, 28, v9
	v_sub_nc_u32_e32 v9, 29, v9
	v_lshlrev_b64 v[45:46], v45, v[2:3]
	s_delay_alu instid0(VALU_DEP_1)
	v_and_b32_e32 v2, 7, v45
; %bb.540:                              ;   in Loop: Header=BB295_296 Depth=1
	s_or_b32 exec_lo, exec_lo, s21
	v_lshlrev_b32_e32 v8, 8, v8
	v_lshl_add_u32 v9, v9, 10, 0x2000
	s_delay_alu instid0(VALU_DEP_1) | instskip(NEXT) | instid1(VALU_DEP_1)
	v_and_or_b32 v8, 0x8000, v8, v9
	v_lshl_or_b32 v2, v2, 7, v8
	s_delay_alu instid0(VALU_DEP_1)
	v_cvt_f32_f16_e32 v45, v2
.LBB295_541:                            ;   in Loop: Header=BB295_296 Depth=1
	s_or_b32 exec_lo, exec_lo, s20
.LBB295_542:                            ;   in Loop: Header=BB295_296 Depth=1
	s_delay_alu instid0(SALU_CYCLE_1)
	s_or_b32 exec_lo, exec_lo, s18
.LBB295_543:                            ;   in Loop: Header=BB295_296 Depth=1
	s_delay_alu instid0(SALU_CYCLE_1)
	s_or_b32 exec_lo, exec_lo, s17
	s_waitcnt vmcnt(0)
	v_fma_mixlo_f16 v9, v37, v39, 0
	v_fma_mixlo_f16 v2, v37, v41, 0
	;; [unrolled: 1-line block ×5, first 2 shown]
	v_lshlrev_b32_e32 v39, 16, v9
	v_fma_mixlo_f16 v9, v37, v38, 0
	v_fma_mixlo_f16 v38, v37, v43, 0
	v_fma_mixlo_f16 v37, v37, v44, 0
	v_lshlrev_b32_e32 v2, 16, v2
	v_and_b32_e32 v8, 0xffff, v8
	v_and_b32_e32 v42, 0xffff, v9
	v_lshlrev_b32_e32 v43, 16, v38
	v_and_b32_e32 v40, 0xffff, v40
	v_lshlrev_b32_e32 v41, 16, v41
	v_and_b32_e32 v44, 0xffff, v37
	v_or_b32_e32 v9, v2, v8
	v_or_b32_e32 v38, v39, v42
	;; [unrolled: 1-line block ×3, first 2 shown]
	s_delay_alu instid0(VALU_DEP_4)
	v_or_b32_e32 v8, v41, v44
	s_and_saveexec_b32 s0, vcc_lo
	s_cbranch_execz .LBB295_294
; %bb.544:                              ;   in Loop: Header=BB295_296 Depth=1
	v_cmp_gt_i32_e32 vcc_lo, s15, v14
	v_lshrrev_b32_e32 v39, 16, v38
	v_lshrrev_b32_e32 v40, 16, v9
	;; [unrolled: 1-line block ×3, first 2 shown]
	v_cndmask_b32_e32 v38, 0, v38, vcc_lo
	v_cmp_gt_i32_e32 vcc_lo, s13, v28
	v_cndmask_b32_e32 v28, 0, v39, vcc_lo
	v_cmp_gt_i32_e32 vcc_lo, s13, v27
	v_lshrrev_b32_e32 v39, 16, v2
	v_cndmask_b32_e32 v27, 0, v40, vcc_lo
	v_cmp_gt_i32_e32 vcc_lo, s15, v26
	v_cndmask_b32_e32 v9, 0, v9, vcc_lo
	v_cmp_gt_i32_e32 vcc_lo, s13, v25
	v_perm_b32 v38, v28, v38, 0x5040100
	s_delay_alu instid0(VALU_DEP_3) | instskip(SKIP_4) | instid1(VALU_DEP_2)
	v_perm_b32 v9, v27, v9, 0x5040100
	v_cndmask_b32_e32 v25, 0, v39, vcc_lo
	v_cmp_gt_i32_e32 vcc_lo, s15, v24
	v_cndmask_b32_e32 v2, 0, v2, vcc_lo
	v_cmp_gt_i32_e32 vcc_lo, s13, v23
	v_perm_b32 v2, v25, v2, 0x5040100
	v_cndmask_b32_e32 v8, 0, v8, vcc_lo
	v_cmp_gt_i32_e32 vcc_lo, s15, v22
	v_cndmask_b32_e32 v22, 0, v37, vcc_lo
	s_delay_alu instid0(VALU_DEP_1)
	v_perm_b32 v8, v8, v22, 0x5040100
	s_branch .LBB295_294
.LBB295_545:
	s_or_b32 exec_lo, exec_lo, s4
.LBB295_546:
	s_delay_alu instid0(SALU_CYCLE_1)
	s_or_b32 exec_lo, exec_lo, s1
	v_and_b32_e32 v2, 0x3c0, v0
	v_lshl_add_u32 v1, v13, 9, 0x120
	s_mov_b32 s0, exec_lo
	s_waitcnt_vscnt null, 0x0
	s_barrier
	buffer_gl0_inv
	v_cmpx_eq_u32_e32 64, v2
	s_cbranch_execz .LBB295_548
; %bb.547:
	v_add_nc_u32_e32 v2, 0xfffffc00, v1
	v_lshl_or_b32 v3, v0, 2, 0x180
	s_delay_alu instid0(VALU_DEP_2) | instskip(NEXT) | instid1(VALU_DEP_2)
	v_lshl_add_u32 v4, v15, 2, v2
	v_add_nc_u32_e32 v2, v2, v3
	ds_store_2addr_b32 v4, v16, v18 offset1:32
	ds_store_b32 v4, v17 offset:256
	ds_store_b32 v2, v19
.LBB295_548:
	s_or_b32 exec_lo, exec_lo, s0
	v_lshl_add_u32 v2, v15, 2, v1
	s_waitcnt lgkmcnt(0)
	s_barrier
	buffer_gl0_inv
	s_and_saveexec_b32 s0, s2
	s_cbranch_execz .LBB295_550
; %bb.549:
	v_or_b32_e32 v3, 0x80, v12
	v_or_b32_e32 v4, 0x180, v12
	s_delay_alu instid0(VALU_DEP_2) | instskip(NEXT) | instid1(VALU_DEP_2)
	v_add_nc_u32_e32 v5, v1, v3
	v_add_nc_u32_e32 v6, v1, v4
	ds_load_2addr_stride64_b32 v[3:4], v2 offset1:1
	ds_load_b32 v5, v5
	ds_load_b32 v6, v6
	s_waitcnt lgkmcnt(2)
	v_dual_add_f32 v16, v16, v3 :: v_dual_add_f32 v17, v17, v4
	s_waitcnt lgkmcnt(0)
	v_dual_add_f32 v18, v18, v5 :: v_dual_add_f32 v19, v19, v6
.LBB295_550:
	s_or_b32 exec_lo, exec_lo, s0
	v_and_b32_e32 v3, 0x3e0, v0
	s_mov_b32 s0, exec_lo
	s_barrier
	buffer_gl0_inv
	v_cmpx_eq_u32_e32 32, v3
	s_cbranch_execz .LBB295_552
; %bb.551:
	v_or_b32_e32 v3, 0x180, v12
	v_lshl_add_u32 v4, v15, 2, 0x120
	v_add_nc_u32_e32 v5, 0x120, v12
	s_delay_alu instid0(VALU_DEP_3)
	v_add_nc_u32_e32 v3, 0x120, v3
	ds_store_b32 v4, v16
	ds_store_b32 v5, v18
	ds_store_b32 v4, v17 offset:256
	ds_store_b32 v3, v19
.LBB295_552:
	s_or_b32 exec_lo, exec_lo, s0
	v_cmp_gt_u32_e32 vcc_lo, 32, v0
	s_waitcnt lgkmcnt(0)
	s_barrier
	buffer_gl0_inv
	s_and_saveexec_b32 s0, vcc_lo
	s_cbranch_execz .LBB295_554
; %bb.553:
	v_lshl_add_u32 v3, v0, 2, v1
	ds_load_b32 v4, v2
	ds_load_2addr_b32 v[1:2], v3 offset0:32 offset1:64
	ds_load_b32 v3, v3 offset:384
	s_waitcnt lgkmcnt(1)
	v_dual_add_f32 v16, v16, v4 :: v_dual_add_f32 v17, v17, v2
	s_waitcnt lgkmcnt(0)
	v_dual_add_f32 v18, v18, v1 :: v_dual_add_f32 v19, v19, v3
.LBB295_554:
	s_or_b32 exec_lo, exec_lo, s0
	s_barrier
	buffer_gl0_inv
	s_and_saveexec_b32 s0, vcc_lo
	s_cbranch_execz .LBB295_556
; %bb.555:
	s_lshl_b32 s0, s6, 7
	s_mul_i32 s2, s16, s24
	s_ashr_i32 s1, s0, 31
	v_lshlrev_b32_e32 v0, 1, v0
	s_lshl_b64 s[0:1], s[0:1], 1
	;;#ASMSTART
	v_cvt_f16_f32 v1, v16;

	;;#ASMEND
	s_add_u32 s4, s26, s0
	s_addc_u32 s5, s27, s1
	s_ashr_i32 s3, s2, 31
	s_delay_alu instid0(SALU_CYCLE_1) | instskip(NEXT) | instid1(SALU_CYCLE_1)
	s_lshl_b64 s[0:1], s[2:3], 1
	s_add_u32 s2, s4, s0
	s_addc_u32 s3, s5, s1
	s_lshl_b32 s0, s12, 7
	s_delay_alu instid0(SALU_CYCLE_1) | instskip(NEXT) | instid1(SALU_CYCLE_1)
	s_ashr_i32 s1, s0, 31
	s_lshl_b64 s[0:1], s[0:1], 1
	s_delay_alu instid0(SALU_CYCLE_1)
	s_add_u32 s0, s2, s0
	s_addc_u32 s1, s3, s1
	global_store_b16 v0, v1, s[0:1]
	;;#ASMSTART
	v_cvt_f16_f32 v1, v18;

	;;#ASMEND
	global_store_b16 v0, v1, s[0:1] offset:64
	;;#ASMSTART
	v_cvt_f16_f32 v1, v17;

	;;#ASMEND
	global_store_b16 v0, v1, s[0:1] offset:128
	;; [unrolled: 5-line block ×3, first 2 shown]
.LBB295_556:
	s_nop 0
	s_sendmsg sendmsg(MSG_DEALLOC_VGPRS)
	s_endpgm
	.section	.rodata,"a",@progbits
	.p2align	6, 0x0
	.amdhsa_kernel _ZN4vllm25paged_attention_v2_kernelIthLi128ELi8ELi128ELNS_18Fp8KVCacheDataTypeE1ELb1ELi512EEEvPfS2_PT_PKS3_PKT0_S9_ifPKiSB_iPKfiiiSD_SD_iiiii
		.amdhsa_group_segment_fixed_size 288
		.amdhsa_private_segment_fixed_size 0
		.amdhsa_kernarg_size 400
		.amdhsa_user_sgpr_count 13
		.amdhsa_user_sgpr_dispatch_ptr 0
		.amdhsa_user_sgpr_queue_ptr 0
		.amdhsa_user_sgpr_kernarg_segment_ptr 1
		.amdhsa_user_sgpr_dispatch_id 0
		.amdhsa_user_sgpr_private_segment_size 0
		.amdhsa_wavefront_size32 1
		.amdhsa_uses_dynamic_stack 0
		.amdhsa_enable_private_segment 0
		.amdhsa_system_sgpr_workgroup_id_x 1
		.amdhsa_system_sgpr_workgroup_id_y 1
		.amdhsa_system_sgpr_workgroup_id_z 1
		.amdhsa_system_sgpr_workgroup_info 0
		.amdhsa_system_vgpr_workitem_id 0
		.amdhsa_next_free_vgpr 82
		.amdhsa_next_free_sgpr 53
		.amdhsa_reserve_vcc 1
		.amdhsa_float_round_mode_32 0
		.amdhsa_float_round_mode_16_64 0
		.amdhsa_float_denorm_mode_32 3
		.amdhsa_float_denorm_mode_16_64 3
		.amdhsa_dx10_clamp 1
		.amdhsa_ieee_mode 1
		.amdhsa_fp16_overflow 0
		.amdhsa_workgroup_processor_mode 1
		.amdhsa_memory_ordered 1
		.amdhsa_forward_progress 0
		.amdhsa_shared_vgpr_count 0
		.amdhsa_exception_fp_ieee_invalid_op 0
		.amdhsa_exception_fp_denorm_src 0
		.amdhsa_exception_fp_ieee_div_zero 0
		.amdhsa_exception_fp_ieee_overflow 0
		.amdhsa_exception_fp_ieee_underflow 0
		.amdhsa_exception_fp_ieee_inexact 0
		.amdhsa_exception_int_div_zero 0
	.end_amdhsa_kernel
	.section	.text._ZN4vllm25paged_attention_v2_kernelIthLi128ELi8ELi128ELNS_18Fp8KVCacheDataTypeE1ELb1ELi512EEEvPfS2_PT_PKS3_PKT0_S9_ifPKiSB_iPKfiiiSD_SD_iiiii,"axG",@progbits,_ZN4vllm25paged_attention_v2_kernelIthLi128ELi8ELi128ELNS_18Fp8KVCacheDataTypeE1ELb1ELi512EEEvPfS2_PT_PKS3_PKT0_S9_ifPKiSB_iPKfiiiSD_SD_iiiii,comdat
.Lfunc_end295:
	.size	_ZN4vllm25paged_attention_v2_kernelIthLi128ELi8ELi128ELNS_18Fp8KVCacheDataTypeE1ELb1ELi512EEEvPfS2_PT_PKS3_PKT0_S9_ifPKiSB_iPKfiiiSD_SD_iiiii, .Lfunc_end295-_ZN4vllm25paged_attention_v2_kernelIthLi128ELi8ELi128ELNS_18Fp8KVCacheDataTypeE1ELb1ELi512EEEvPfS2_PT_PKS3_PKT0_S9_ifPKiSB_iPKfiiiSD_SD_iiiii
                                        ; -- End function
	.section	.AMDGPU.csdata,"",@progbits
; Kernel info:
; codeLenInByte = 23316
; NumSgprs: 55
; NumVgprs: 82
; ScratchSize: 0
; MemoryBound: 0
; FloatMode: 240
; IeeeMode: 1
; LDSByteSize: 288 bytes/workgroup (compile time only)
; SGPRBlocks: 6
; VGPRBlocks: 10
; NumSGPRsForWavesPerEU: 55
; NumVGPRsForWavesPerEU: 82
; Occupancy: 16
; WaveLimiterHint : 1
; COMPUTE_PGM_RSRC2:SCRATCH_EN: 0
; COMPUTE_PGM_RSRC2:USER_SGPR: 13
; COMPUTE_PGM_RSRC2:TRAP_HANDLER: 0
; COMPUTE_PGM_RSRC2:TGID_X_EN: 1
; COMPUTE_PGM_RSRC2:TGID_Y_EN: 1
; COMPUTE_PGM_RSRC2:TGID_Z_EN: 1
; COMPUTE_PGM_RSRC2:TIDIG_COMP_CNT: 0
	.text
	.p2align	2                               ; -- Begin function _ZN4vllm22paged_attention_kernelIthLi192ELi8ELi128ELNS_18Fp8KVCacheDataTypeE1ELb1ELi512EEEvPfS2_PT_PKS3_PKT0_S9_ifPKiSB_iPKfiiiSD_SD_iiiii
	.type	_ZN4vllm22paged_attention_kernelIthLi192ELi8ELi128ELNS_18Fp8KVCacheDataTypeE1ELb1ELi512EEEvPfS2_PT_PKS3_PKT0_S9_ifPKiSB_iPKfiiiSD_SD_iiiii,@function
_ZN4vllm22paged_attention_kernelIthLi192ELi8ELi128ELNS_18Fp8KVCacheDataTypeE1ELb1ELi512EEEvPfS2_PT_PKS3_PKT0_S9_ifPKiSB_iPKfiiiSD_SD_iiiii: ; @_ZN4vllm22paged_attention_kernelIthLi192ELi8ELi128ELNS_18Fp8KVCacheDataTypeE1ELb1ELi512EEEvPfS2_PT_PKS3_PKT0_S9_ifPKiSB_iPKfiiiSD_SD_iiiii
; %bb.0:
	s_waitcnt vmcnt(0) expcnt(0) lgkmcnt(0)
	s_mov_b32 s10, s13
	s_ashr_i32 s11, s13, 31
	s_lshl_b32 s16, s14, 9
	s_lshl_b64 s[0:1], s[10:11], 2
	s_mov_b32 s11, exec_lo
	v_add_co_u32 v16, vcc_lo, v16, s0
	v_add_co_ci_u32_e32 v17, vcc_lo, s1, v17, vcc_lo
	flat_load_b32 v35, v[16:17]
	s_clause 0x1
	scratch_load_b32 v32, off, s32 offset:4
	scratch_load_b32 v38, off, s32
	s_waitcnt vmcnt(2) lgkmcnt(0)
	v_cmpx_lt_i32_e64 s16, v35
	s_cbranch_execz .LBB296_832
; %bb.1:
	v_sub_nc_u32_e32 v16, 0, v12
	s_clause 0x1
	s_load_b32 s0, s[8:9], 0x10
	s_load_b32 s1, s[8:9], 0x0
	s_mov_b32 s6, s15
	v_mov_b32_e32 v53, 0
	v_max_i32_e32 v16, v12, v16
	s_delay_alu instid0(VALU_DEP_1) | instskip(SKIP_1) | instid1(VALU_DEP_2)
	v_cvt_f32_u32_e32 v17, v16
	v_sub_nc_u32_e32 v33, 0, v16
	v_rcp_iflag_f32_e32 v17, v17
	s_waitcnt lgkmcnt(0)
	s_lshr_b32 s0, s0, 16
	s_delay_alu instid0(SALU_CYCLE_1) | instskip(SKIP_3) | instid1(SALU_CYCLE_1)
	s_cmp_lg_u32 s0, 0
	s_waitcnt_depctr 0xfff
	v_mul_f32_e32 v17, 0x4f7ffffe, v17
	s_cselect_b32 s0, -1, 0
	s_cmp_lg_u32 s0, 0
	s_delay_alu instid0(VALU_DEP_1) | instskip(SKIP_3) | instid1(VALU_DEP_1)
	v_cvt_u32_f32_e32 v17, v17
	s_addc_u32 s15, s1, 0
	s_mov_b32 s1, exec_lo
	s_abs_i32 s0, s15
	v_mul_lo_u32 v33, v33, v17
	s_delay_alu instid0(VALU_DEP_1) | instskip(NEXT) | instid1(VALU_DEP_1)
	v_mul_hi_u32 v33, v17, v33
	v_add_nc_u32_e32 v17, v17, v33
	s_delay_alu instid0(VALU_DEP_1) | instskip(NEXT) | instid1(VALU_DEP_1)
	v_mul_hi_u32 v17, s0, v17
	v_mul_lo_u32 v33, v17, v16
	s_delay_alu instid0(VALU_DEP_1) | instskip(SKIP_1) | instid1(VALU_DEP_1)
	v_sub_nc_u32_e32 v33, s0, v33
	s_abs_i32 s0, s12
	v_sub_nc_u32_e32 v36, v33, v16
	v_cmp_ge_u32_e32 vcc_lo, v33, v16
	s_delay_alu instid0(VALU_DEP_2) | instskip(NEXT) | instid1(VALU_DEP_1)
	v_dual_cndmask_b32 v33, v33, v36 :: v_dual_add_nc_u32 v34, 1, v17
	v_cndmask_b32_e32 v17, v17, v34, vcc_lo
	v_xor_b32_e32 v34, s15, v12
	s_delay_alu instid0(VALU_DEP_3) | instskip(NEXT) | instid1(VALU_DEP_3)
	v_cmp_ge_u32_e32 vcc_lo, v33, v16
	v_add_nc_u32_e32 v36, 1, v17
	s_delay_alu instid0(VALU_DEP_3) | instskip(NEXT) | instid1(VALU_DEP_2)
	v_ashrrev_i32_e32 v34, 31, v34
	v_cndmask_b32_e32 v16, v17, v36, vcc_lo
	s_delay_alu instid0(VALU_DEP_1) | instskip(NEXT) | instid1(VALU_DEP_1)
	v_xor_b32_e32 v16, v16, v34
	v_sub_nc_u32_e32 v34, v16, v34
	s_delay_alu instid0(VALU_DEP_1) | instskip(NEXT) | instid1(VALU_DEP_1)
	v_sub_nc_u32_e32 v16, 0, v34
	v_max_i32_e32 v37, v34, v16
	s_delay_alu instid0(VALU_DEP_1) | instskip(SKIP_1) | instid1(VALU_DEP_2)
	v_cvt_f32_u32_e32 v16, v37
	v_sub_nc_u32_e32 v17, 0, v37
	v_rcp_iflag_f32_e32 v16, v16
	s_waitcnt_depctr 0xfff
	v_mul_f32_e32 v16, 0x4f7ffffe, v16
	s_delay_alu instid0(VALU_DEP_1) | instskip(NEXT) | instid1(VALU_DEP_1)
	v_cvt_u32_f32_e32 v16, v16
	v_mul_lo_u32 v17, v17, v16
	s_delay_alu instid0(VALU_DEP_1) | instskip(NEXT) | instid1(VALU_DEP_1)
	v_mul_hi_u32 v17, v16, v17
	v_add_nc_u32_e32 v33, v16, v17
	s_delay_alu instid0(VALU_DEP_1)
	v_mad_u64_u32 v[16:17], null, s0, v33, 0
	v_cmpx_ne_u64_e32 0, v[19:20]
	s_cbranch_execz .LBB296_3
; %bb.2:
	s_ashr_i32 s13, s12, 31
	s_delay_alu instid0(SALU_CYCLE_1) | instskip(NEXT) | instid1(SALU_CYCLE_1)
	s_lshl_b64 s[2:3], s[12:13], 2
	v_add_co_u32 v19, vcc_lo, v19, s2
	v_add_co_ci_u32_e32 v20, vcc_lo, s3, v20, vcc_lo
	flat_load_b32 v53, v[19:20]
.LBB296_3:
	s_or_b32 exec_lo, exec_lo, s1
	v_and_b32_e32 v33, 0x3ff, v31
	v_ashrrev_i32_e32 v16, 31, v34
	s_ashr_i32 s1, s12, 31
	s_mul_i32 s4, s12, 0xc0
	s_mov_b32 s2, exec_lo
	v_and_b32_e32 v20, 3, v33
	v_lshlrev_b32_e32 v34, 2, v33
	v_cmpx_gt_u32_e32 0x60, v33
	s_cbranch_execz .LBB296_5
; %bb.4:
	v_mul_lo_u32 v48, s10, v21
	s_ashr_i32 s5, s4, 31
	s_delay_alu instid0(SALU_CYCLE_1) | instskip(NEXT) | instid1(VALU_DEP_1)
	s_lshl_b64 s[18:19], s[4:5], 1
	v_ashrrev_i32_e32 v49, 31, v48
	s_delay_alu instid0(VALU_DEP_1) | instskip(NEXT) | instid1(VALU_DEP_1)
	v_lshlrev_b64 v[48:49], 1, v[48:49]
	v_add_co_u32 v6, vcc_lo, v6, v48
	s_delay_alu instid0(VALU_DEP_2) | instskip(NEXT) | instid1(VALU_DEP_2)
	v_add_co_ci_u32_e32 v7, vcc_lo, v7, v49, vcc_lo
	v_add_co_u32 v6, vcc_lo, v6, s18
	s_delay_alu instid0(VALU_DEP_2) | instskip(NEXT) | instid1(VALU_DEP_2)
	v_add_co_ci_u32_e32 v7, vcc_lo, s19, v7, vcc_lo
	v_add_co_u32 v6, vcc_lo, v6, v34
	s_delay_alu instid0(VALU_DEP_2) | instskip(SKIP_2) | instid1(VALU_DEP_1)
	v_add_co_ci_u32_e32 v7, vcc_lo, 0, v7, vcc_lo
	flat_load_b32 v6, v[6:7]
	v_and_b32_e32 v7, 0x3fc, v33
	v_mad_u32_u24 v7, 0x60, v20, v7
	s_waitcnt vmcnt(0) lgkmcnt(0)
	ds_store_b32 v7, v6
.LBB296_5:
	s_or_b32 exec_lo, exec_lo, s2
	s_waitcnt vmcnt(0)
	v_sub_nc_u32_e32 v6, 0, v38
	v_mul_lo_u32 v7, v17, v37
	v_xor_b32_e32 v48, s1, v16
	s_waitcnt lgkmcnt(0)
	s_waitcnt_vscnt null, 0x0
	s_barrier
	v_max_i32_e32 v36, v38, v6
	buffer_gl0_inv
	v_add_nc_u32_e32 v21, 1, v17
	v_sub_nc_u32_e32 v19, s0, v7
	v_cvt_f32_u32_e32 v6, v36
	v_sub_nc_u32_e32 v7, 0, v36
	s_mov_b32 s0, exec_lo
	s_delay_alu instid0(VALU_DEP_3) | instskip(NEXT) | instid1(VALU_DEP_3)
	v_sub_nc_u32_e32 v31, v19, v37
	v_rcp_iflag_f32_e32 v6, v6
	v_cmp_ge_u32_e32 vcc_lo, v19, v37
	s_delay_alu instid0(VALU_DEP_2) | instskip(SKIP_3) | instid1(VALU_DEP_2)
	v_cndmask_b32_e32 v19, v19, v31, vcc_lo
	s_waitcnt_depctr 0xfff
	v_dual_cndmask_b32 v17, v17, v21 :: v_dual_mul_f32 v6, 0x4f7ffffe, v6
	v_cmp_ge_u32_e32 vcc_lo, v19, v37
	v_add_nc_u32_e32 v21, 1, v17
	s_delay_alu instid0(VALU_DEP_3) | instskip(NEXT) | instid1(VALU_DEP_2)
	v_cvt_u32_f32_e32 v6, v6
	v_cndmask_b32_e32 v16, v17, v21, vcc_lo
	s_delay_alu instid0(VALU_DEP_2) | instskip(SKIP_1) | instid1(VALU_DEP_2)
	v_mul_lo_u32 v39, v7, v6
	v_add_nc_u32_e32 v7, -1, v35
	v_mul_hi_u32 v31, v6, v39
	s_delay_alu instid0(VALU_DEP_2) | instskip(NEXT) | instid1(VALU_DEP_1)
	v_sub_nc_u32_e32 v39, 0, v7
	v_max_i32_e32 v19, v7, v39
	s_delay_alu instid0(VALU_DEP_3) | instskip(SKIP_1) | instid1(VALU_DEP_2)
	v_add_nc_u32_e32 v37, v6, v31
	v_xor_b32_e32 v6, v16, v48
	v_mad_u64_u32 v[16:17], null, v19, v37, 0
	s_delay_alu instid0(VALU_DEP_2)
	v_sub_nc_u32_e32 v16, v6, v48
                                        ; implicit-def: $vgpr6
	v_cmpx_gt_i32_e32 0, v32
	s_xor_b32 s0, exec_lo, s0
; %bb.6:
	s_delay_alu instid0(VALU_DEP_2) | instskip(NEXT) | instid1(VALU_DEP_1)
	v_mad_u64_u32 v[48:49], null, v28, v12, v[16:17]
                                        ; implicit-def: $vgpr28
	v_mul_lo_u32 v6, v48, v32
                                        ; implicit-def: $vgpr32
	s_delay_alu instid0(VALU_DEP_1)
	v_sub_nc_u32_e32 v6, 1, v6
; %bb.7:
	s_or_saveexec_b32 s0, s0
	v_ashrrev_i32_e32 v12, 31, v7
	v_ashrrev_i32_e32 v38, 31, v38
	s_xor_b32 exec_lo, exec_lo, s0
; %bb.8:
	v_mad_u64_u32 v[48:49], null, s15, v28, s[12:13]
	s_delay_alu instid0(VALU_DEP_1)
	v_mad_u64_u32 v[6:7], null, v48, v32, 1
; %bb.9:
	s_or_b32 exec_lo, exec_lo, s0
	v_mul_lo_u32 v7, v17, v36
	v_add_nc_u32_e32 v21, 7, v35
	v_xor_b32_e32 v32, v12, v38
	s_clause 0x1
	s_load_b32 s17, s[8:9], 0x14
	s_load_b32 s5, s[8:9], 0x8
	v_mul_lo_u32 v18, s10, v18
	v_lshrrev_b32_e32 v39, 5, v33
	v_ashrrev_i32_e32 v28, 31, v21
	s_lshl_b32 s13, s14, 6
	v_sub_nc_u32_e32 v7, v19, v7
	v_add_nc_u32_e32 v19, 1, v17
	v_mul_lo_u32 v50, v16, v23
	v_lshrrev_b32_e32 v12, 29, v28
	s_add_i32 s0, s13, 64
	v_sub_nc_u32_e32 v31, v7, v36
	v_cmp_ge_u32_e32 vcc_lo, v7, v36
	v_or_b32_e32 v16, s13, v39
	v_mov_b32_e32 v55, 0xff7fffff
	v_sub_nc_u32_e32 v51, 0, v30
	v_add_nc_u32_e32 v12, v21, v12
	v_cndmask_b32_e32 v17, v17, v19, vcc_lo
	v_cndmask_b32_e32 v7, v7, v31, vcc_lo
	v_lshl_add_u32 v23, v39, 3, s16
	v_ashrrev_i32_e32 v52, 31, v50
	v_ashrrev_i32_e32 v12, 3, v12
	v_add_nc_u32_e32 v19, 1, v17
	v_cmp_ge_u32_e32 vcc_lo, v7, v36
	v_mbcnt_lo_u32_b32 v54, -1, 0
	s_delay_alu instid0(VALU_DEP_4) | instskip(NEXT) | instid1(VALU_DEP_4)
	v_min_i32_e32 v48, s0, v12
	v_cndmask_b32_e32 v7, v17, v19, vcc_lo
	v_ashrrev_i32_e32 v19, 31, v18
	v_ashrrev_i32_e32 v17, 31, v16
	s_delay_alu instid0(VALU_DEP_4) | instskip(NEXT) | instid1(VALU_DEP_4)
	v_cmp_lt_i32_e64 s0, v16, v48
	v_xor_b32_e32 v7, v7, v32
	s_delay_alu instid0(VALU_DEP_4) | instskip(NEXT) | instid1(VALU_DEP_2)
	v_lshlrev_b64 v[18:19], 2, v[18:19]
	v_sub_nc_u32_e32 v7, v7, v32
	s_delay_alu instid0(VALU_DEP_1)
	v_sub_nc_u32_e32 v49, v7, v29
	s_and_saveexec_b32 s18, s0
	s_cbranch_execz .LBB296_403
; %bb.10:
	v_max_i32_e32 v64, v30, v51
	v_bfe_u32 v65, v33, 2, 3
	s_ashr_i32 s7, s6, 31
	s_getpc_b64 s[2:3]
	s_add_u32 s2, s2, llvm.amdgcn.dynlds.offset.table@rel32@lo+4
	s_addc_u32 s3, s3, llvm.amdgcn.dynlds.offset.table@rel32@hi+12
	s_lshl_b64 s[8:9], s[6:7], 2
	v_cvt_f32_u32_e32 v7, v64
	v_sub_nc_u32_e32 v31, 0, v64
	s_add_u32 s8, s8, s2
	s_addc_u32 s9, s9, s3
	v_add_co_u32 v28, s1, v8, v50
	v_rcp_iflag_f32_e32 v7, v7
	s_load_b32 s7, s[8:9], 0x0
	v_cmp_eq_u32_e32 vcc_lo, 0, v20
	v_add_co_ci_u32_e64 v29, s1, v9, v52, s1
	v_dual_mov_b32 v8, 0 :: v_dual_lshlrev_b32 v9, 1, v20
	v_mul_u32_u24_e32 v66, 0x60, v20
	v_lshlrev_b64 v[20:21], 2, v[16:17]
	s_waitcnt_depctr 0xfff
	v_dual_mul_f32 v7, 0x4f7ffffe, v7 :: v_dual_lshlrev_b32 v32, 4, v65
	v_lshlrev_b32_e32 v69, 2, v65
	v_sub_nc_u32_e32 v70, v65, v35
	v_cmp_neq_f32_e64 s1, 0, v53
	v_add_co_u32 v71, s2, v18, v20
	v_cvt_u32_f32_e32 v7, v7
	v_add_co_ci_u32_e64 v80, s2, v19, v21, s2
	v_add_co_u32 v20, s2, v28, v32
	s_delay_alu instid0(VALU_DEP_3)
	v_mul_lo_u32 v31, v31, v7
	v_add_co_ci_u32_e64 v21, s2, 0, v29, s2
	v_add_co_u32 v28, s2, v14, v71
	v_lshl_add_u32 v67, v39, 3, s16
	v_dual_mov_b32 v68, 0xff7fffff :: v_dual_mov_b32 v55, 0xff7fffff
	v_mul_hi_u32 v31, v7, v31
	v_add_nc_u32_e32 v70, 1, v70
	v_add_co_ci_u32_e64 v29, s2, v15, v80, s2
	v_mov_b32_e32 v80, v16
	v_lshl_or_b32 v69, v39, 5, v69
	s_mov_b32 s19, 0
	v_add_nc_u32_e32 v71, v7, v31
	s_branch .LBB296_13
.LBB296_11:                             ;   in Loop: Header=BB296_13 Depth=1
	s_or_b32 exec_lo, exec_lo, s20
.LBB296_12:                             ;   in Loop: Header=BB296_13 Depth=1
	s_delay_alu instid0(SALU_CYCLE_1) | instskip(SKIP_2) | instid1(VALU_DEP_1)
	s_or_b32 exec_lo, exec_lo, s3
	v_add_nc_u32_e32 v80, 4, v80
	v_add_co_u32 v28, s3, v28, 16
	v_add_co_ci_u32_e64 v29, s3, 0, v29, s3
	s_delay_alu instid0(VALU_DEP_3) | instskip(SKIP_2) | instid1(VALU_DEP_3)
	v_cmp_ge_i32_e64 s2, v80, v48
	v_add_nc_u32_e32 v67, 32, v67
	v_add_nc_u32_e32 v69, 0x80, v69
	s_or_b32 s19, s2, s19
	s_delay_alu instid0(SALU_CYCLE_1)
	s_and_not1_b32 exec_lo, exec_lo, s19
	s_cbranch_execz .LBB296_402
.LBB296_13:                             ; =>This Inner Loop Header: Depth=1
	v_sub_nc_u32_e32 v7, 0, v67
	s_delay_alu instid0(VALU_DEP_1) | instskip(SKIP_1) | instid1(VALU_DEP_1)
	v_max_i32_e32 v7, v67, v7
	s_waitcnt lgkmcnt(0)
	v_mul_hi_u32 v31, v7, v37
	s_delay_alu instid0(VALU_DEP_1) | instskip(NEXT) | instid1(VALU_DEP_1)
	v_mul_lo_u32 v32, v31, v36
	v_sub_nc_u32_e32 v7, v7, v32
	v_add_nc_u32_e32 v32, 1, v31
	s_delay_alu instid0(VALU_DEP_2) | instskip(SKIP_1) | instid1(VALU_DEP_1)
	v_sub_nc_u32_e32 v81, v7, v36
	v_cmp_ge_u32_e64 s2, v7, v36
	v_cndmask_b32_e64 v31, v31, v32, s2
	s_delay_alu instid0(VALU_DEP_3) | instskip(SKIP_1) | instid1(VALU_DEP_3)
	v_cndmask_b32_e64 v7, v7, v81, s2
	v_ashrrev_i32_e32 v32, 31, v67
	v_add_nc_u32_e32 v81, 1, v31
	s_delay_alu instid0(VALU_DEP_3) | instskip(NEXT) | instid1(VALU_DEP_3)
	v_cmp_ge_u32_e64 s2, v7, v36
	v_xor_b32_e32 v32, v32, v38
	s_delay_alu instid0(VALU_DEP_2) | instskip(NEXT) | instid1(VALU_DEP_1)
	v_cndmask_b32_e64 v7, v31, v81, s2
	v_xor_b32_e32 v7, v7, v32
	s_delay_alu instid0(VALU_DEP_1) | instskip(NEXT) | instid1(VALU_DEP_1)
	v_sub_nc_u32_e32 v7, v7, v32
	v_add_nc_u32_e32 v31, v7, v6
	v_cmp_le_i32_e64 s3, v7, v49
	s_delay_alu instid0(VALU_DEP_2) | instskip(NEXT) | instid1(VALU_DEP_1)
	v_sub_nc_u32_e32 v32, 0, v31
	v_max_i32_e32 v32, v31, v32
	v_ashrrev_i32_e32 v31, 31, v31
	s_delay_alu instid0(VALU_DEP_2) | instskip(NEXT) | instid1(VALU_DEP_1)
	v_mul_hi_u32 v81, v32, v71
	v_mul_lo_u32 v81, v81, v64
	s_delay_alu instid0(VALU_DEP_1) | instskip(NEXT) | instid1(VALU_DEP_1)
	v_sub_nc_u32_e32 v32, v32, v81
	v_sub_nc_u32_e32 v81, v32, v64
	v_cmp_ge_u32_e64 s2, v32, v64
	s_delay_alu instid0(VALU_DEP_1) | instskip(NEXT) | instid1(VALU_DEP_1)
	v_cndmask_b32_e64 v32, v32, v81, s2
	v_sub_nc_u32_e32 v81, v32, v64
	v_cmp_ge_u32_e64 s2, v32, v64
	s_delay_alu instid0(VALU_DEP_1) | instskip(NEXT) | instid1(VALU_DEP_1)
	v_cndmask_b32_e64 v32, v32, v81, s2
	v_xor_b32_e32 v32, v32, v31
	s_delay_alu instid0(VALU_DEP_1) | instskip(NEXT) | instid1(VALU_DEP_1)
	v_sub_nc_u32_e32 v31, v32, v31
	v_cmp_ne_u32_e64 s2, 0, v31
	s_delay_alu instid0(VALU_DEP_1) | instskip(NEXT) | instid1(SALU_CYCLE_1)
	s_and_b32 s2, s2, s3
	s_and_b32 s20, vcc_lo, s2
	s_delay_alu instid0(SALU_CYCLE_1)
	s_and_saveexec_b32 s3, s20
	s_cbranch_execz .LBB296_15
; %bb.14:                               ;   in Loop: Header=BB296_13 Depth=1
	s_waitcnt lgkmcnt(0)
	v_add_nc_u32_e32 v7, s7, v69
	ds_store_b32 v7, v68
.LBB296_15:                             ;   in Loop: Header=BB296_13 Depth=1
	s_or_b32 exec_lo, exec_lo, s3
	s_xor_b32 s2, s2, -1
	s_delay_alu instid0(SALU_CYCLE_1)
	s_and_saveexec_b32 s3, s2
	s_cbranch_execz .LBB296_12
; %bb.16:                               ;   in Loop: Header=BB296_13 Depth=1
	flat_load_b32 v7, v[28:29]
	v_mov_b32_e32 v82, 0
	s_waitcnt vmcnt(0) lgkmcnt(0)
	v_mad_i64_i32 v[31:32], null, v7, v22, v[20:21]
	s_delay_alu instid0(VALU_DEP_1) | instskip(NEXT) | instid1(VALU_DEP_1)
	v_add_co_u32 v31, s2, v31, v9
	v_add_co_ci_u32_e64 v32, s2, 0, v32, s2
	flat_load_u16 v7, v[31:32]
	flat_load_b32 v81, v[24:25]
	s_waitcnt vmcnt(1) lgkmcnt(1)
	v_and_b32_e32 v83, 0xff, v7
	v_and_b32_e32 v84, 0xffff, v7
	s_delay_alu instid0(VALU_DEP_2) | instskip(SKIP_1) | instid1(VALU_DEP_2)
	v_cmp_ne_u16_e64 s2, 0, v83
	v_mov_b32_e32 v83, 0
	s_and_saveexec_b32 s20, s2
	s_cbranch_execz .LBB296_24
; %bb.17:                               ;   in Loop: Header=BB296_13 Depth=1
	v_and_b32_e32 v7, 0xff, v84
	v_bfrev_b32_e32 v83, 1
	s_mov_b32 s21, exec_lo
	s_delay_alu instid0(VALU_DEP_2)
	v_cmpx_ne_u16_e32 0x80, v7
	s_cbranch_execz .LBB296_23
; %bb.18:                               ;   in Loop: Header=BB296_13 Depth=1
	v_and_b32_e32 v85, 0x7f, v84
	v_mov_b32_e32 v83, 0x7fc02000
	s_mov_b32 s22, exec_lo
	s_delay_alu instid0(VALU_DEP_2)
	v_cmpx_ne_u32_e32 0x7f, v85
	s_cbranch_execz .LBB296_22
; %bb.19:                               ;   in Loop: Header=BB296_13 Depth=1
	v_and_b32_e32 v7, 7, v84
	v_lshrrev_b32_e32 v83, 3, v85
	s_mov_b32 s23, exec_lo
	v_cmpx_gt_u32_e32 8, v85
; %bb.20:                               ;   in Loop: Header=BB296_13 Depth=1
	s_delay_alu instid0(VALU_DEP_3) | instskip(NEXT) | instid1(VALU_DEP_1)
	v_clz_i32_u32_e32 v83, v7
	v_min_u32_e32 v83, 32, v83
	s_delay_alu instid0(VALU_DEP_1) | instskip(SKIP_1) | instid1(VALU_DEP_2)
	v_subrev_nc_u32_e32 v85, 28, v83
	v_sub_nc_u32_e32 v83, 29, v83
	v_lshlrev_b64 v[85:86], v85, v[7:8]
	s_delay_alu instid0(VALU_DEP_1)
	v_and_b32_e32 v7, 7, v85
; %bb.21:                               ;   in Loop: Header=BB296_13 Depth=1
	s_or_b32 exec_lo, exec_lo, s23
	v_lshlrev_b32_e32 v85, 8, v84
	v_lshl_add_u32 v83, v83, 10, 0x2000
	s_delay_alu instid0(VALU_DEP_1) | instskip(NEXT) | instid1(VALU_DEP_1)
	v_and_or_b32 v83, 0x8000, v85, v83
	v_lshl_or_b32 v7, v7, 7, v83
	s_delay_alu instid0(VALU_DEP_1)
	v_cvt_f32_f16_e32 v83, v7
.LBB296_22:                             ;   in Loop: Header=BB296_13 Depth=1
	s_or_b32 exec_lo, exec_lo, s22
.LBB296_23:                             ;   in Loop: Header=BB296_13 Depth=1
	s_delay_alu instid0(SALU_CYCLE_1)
	s_or_b32 exec_lo, exec_lo, s21
.LBB296_24:                             ;   in Loop: Header=BB296_13 Depth=1
	s_delay_alu instid0(SALU_CYCLE_1) | instskip(SKIP_2) | instid1(VALU_DEP_1)
	s_or_b32 exec_lo, exec_lo, s20
	v_lshrrev_b16 v7, 8, v84
	s_mov_b32 s20, exec_lo
	v_cmpx_ne_u16_e32 0, v7
	s_cbranch_execz .LBB296_32
; %bb.25:                               ;   in Loop: Header=BB296_13 Depth=1
	v_bfrev_b32_e32 v82, 1
	s_mov_b32 s21, exec_lo
	v_cmpx_ne_u16_e32 0x80, v7
	s_cbranch_execz .LBB296_31
; %bb.26:                               ;   in Loop: Header=BB296_13 Depth=1
	v_and_b32_e32 v84, 0xffff, v7
	v_mov_b32_e32 v82, 0x7fc02000
	s_mov_b32 s22, exec_lo
	s_delay_alu instid0(VALU_DEP_2) | instskip(NEXT) | instid1(VALU_DEP_1)
	v_and_b32_e32 v85, 0x7f, v84
	v_cmpx_ne_u32_e32 0x7f, v85
	s_cbranch_execz .LBB296_30
; %bb.27:                               ;   in Loop: Header=BB296_13 Depth=1
	v_and_b32_e32 v7, 7, v84
	v_lshrrev_b32_e32 v82, 3, v85
	s_mov_b32 s23, exec_lo
	v_cmpx_gt_u32_e32 8, v85
; %bb.28:                               ;   in Loop: Header=BB296_13 Depth=1
	s_delay_alu instid0(VALU_DEP_3) | instskip(NEXT) | instid1(VALU_DEP_1)
	v_clz_i32_u32_e32 v82, v7
	v_min_u32_e32 v82, 32, v82
	s_delay_alu instid0(VALU_DEP_1) | instskip(SKIP_1) | instid1(VALU_DEP_2)
	v_subrev_nc_u32_e32 v85, 28, v82
	v_sub_nc_u32_e32 v82, 29, v82
	v_lshlrev_b64 v[85:86], v85, v[7:8]
	s_delay_alu instid0(VALU_DEP_1)
	v_and_b32_e32 v7, 7, v85
; %bb.29:                               ;   in Loop: Header=BB296_13 Depth=1
	s_or_b32 exec_lo, exec_lo, s23
	v_lshlrev_b32_e32 v84, 8, v84
	v_lshl_add_u32 v82, v82, 10, 0x2000
	s_delay_alu instid0(VALU_DEP_1) | instskip(NEXT) | instid1(VALU_DEP_1)
	v_and_or_b32 v82, 0x8000, v84, v82
	v_lshl_or_b32 v7, v7, 7, v82
	s_delay_alu instid0(VALU_DEP_1)
	v_cvt_f32_f16_e32 v82, v7
.LBB296_30:                             ;   in Loop: Header=BB296_13 Depth=1
	s_or_b32 exec_lo, exec_lo, s22
.LBB296_31:                             ;   in Loop: Header=BB296_13 Depth=1
	s_delay_alu instid0(SALU_CYCLE_1)
	s_or_b32 exec_lo, exec_lo, s21
.LBB296_32:                             ;   in Loop: Header=BB296_13 Depth=1
	s_delay_alu instid0(SALU_CYCLE_1) | instskip(SKIP_4) | instid1(VALU_DEP_2)
	s_or_b32 exec_lo, exec_lo, s20
	flat_load_u16 v7, v[31:32] offset:8
	s_waitcnt vmcnt(0) lgkmcnt(0)
	v_dual_mov_b32 v84, 0 :: v_dual_and_b32 v85, 0xff, v7
	v_and_b32_e32 v86, 0xffff, v7
	v_cmp_ne_u16_e64 s2, 0, v85
	v_mov_b32_e32 v85, 0
	s_delay_alu instid0(VALU_DEP_2)
	s_and_saveexec_b32 s20, s2
	s_cbranch_execz .LBB296_40
; %bb.33:                               ;   in Loop: Header=BB296_13 Depth=1
	v_and_b32_e32 v7, 0xff, v86
	v_bfrev_b32_e32 v85, 1
	s_mov_b32 s21, exec_lo
	s_delay_alu instid0(VALU_DEP_2)
	v_cmpx_ne_u16_e32 0x80, v7
	s_cbranch_execz .LBB296_39
; %bb.34:                               ;   in Loop: Header=BB296_13 Depth=1
	v_and_b32_e32 v87, 0x7f, v86
	v_mov_b32_e32 v85, 0x7fc02000
	s_mov_b32 s22, exec_lo
	s_delay_alu instid0(VALU_DEP_2)
	v_cmpx_ne_u32_e32 0x7f, v87
	s_cbranch_execz .LBB296_38
; %bb.35:                               ;   in Loop: Header=BB296_13 Depth=1
	v_and_b32_e32 v7, 7, v86
	v_lshrrev_b32_e32 v85, 3, v87
	s_mov_b32 s23, exec_lo
	v_cmpx_gt_u32_e32 8, v87
; %bb.36:                               ;   in Loop: Header=BB296_13 Depth=1
	s_delay_alu instid0(VALU_DEP_3) | instskip(NEXT) | instid1(VALU_DEP_1)
	v_clz_i32_u32_e32 v85, v7
	v_min_u32_e32 v85, 32, v85
	s_delay_alu instid0(VALU_DEP_1) | instskip(SKIP_1) | instid1(VALU_DEP_2)
	v_subrev_nc_u32_e32 v87, 28, v85
	v_sub_nc_u32_e32 v85, 29, v85
	v_lshlrev_b64 v[96:97], v87, v[7:8]
	s_delay_alu instid0(VALU_DEP_1)
	v_and_b32_e32 v7, 7, v96
; %bb.37:                               ;   in Loop: Header=BB296_13 Depth=1
	s_or_b32 exec_lo, exec_lo, s23
	v_lshlrev_b32_e32 v87, 8, v86
	v_lshl_add_u32 v85, v85, 10, 0x2000
	s_delay_alu instid0(VALU_DEP_1) | instskip(NEXT) | instid1(VALU_DEP_1)
	v_and_or_b32 v85, 0x8000, v87, v85
	v_lshl_or_b32 v7, v7, 7, v85
	s_delay_alu instid0(VALU_DEP_1)
	v_cvt_f32_f16_e32 v85, v7
.LBB296_38:                             ;   in Loop: Header=BB296_13 Depth=1
	s_or_b32 exec_lo, exec_lo, s22
.LBB296_39:                             ;   in Loop: Header=BB296_13 Depth=1
	s_delay_alu instid0(SALU_CYCLE_1)
	s_or_b32 exec_lo, exec_lo, s21
.LBB296_40:                             ;   in Loop: Header=BB296_13 Depth=1
	s_delay_alu instid0(SALU_CYCLE_1) | instskip(SKIP_2) | instid1(VALU_DEP_1)
	s_or_b32 exec_lo, exec_lo, s20
	v_lshrrev_b16 v7, 8, v86
	s_mov_b32 s20, exec_lo
	v_cmpx_ne_u16_e32 0, v7
	s_cbranch_execz .LBB296_48
; %bb.41:                               ;   in Loop: Header=BB296_13 Depth=1
	v_bfrev_b32_e32 v84, 1
	s_mov_b32 s21, exec_lo
	v_cmpx_ne_u16_e32 0x80, v7
	s_cbranch_execz .LBB296_47
; %bb.42:                               ;   in Loop: Header=BB296_13 Depth=1
	v_and_b32_e32 v86, 0xffff, v7
	v_mov_b32_e32 v84, 0x7fc02000
	s_mov_b32 s22, exec_lo
	s_delay_alu instid0(VALU_DEP_2) | instskip(NEXT) | instid1(VALU_DEP_1)
	v_and_b32_e32 v87, 0x7f, v86
	v_cmpx_ne_u32_e32 0x7f, v87
	s_cbranch_execz .LBB296_46
; %bb.43:                               ;   in Loop: Header=BB296_13 Depth=1
	v_and_b32_e32 v7, 7, v86
	v_lshrrev_b32_e32 v84, 3, v87
	s_mov_b32 s23, exec_lo
	v_cmpx_gt_u32_e32 8, v87
; %bb.44:                               ;   in Loop: Header=BB296_13 Depth=1
	s_delay_alu instid0(VALU_DEP_3) | instskip(NEXT) | instid1(VALU_DEP_1)
	v_clz_i32_u32_e32 v84, v7
	v_min_u32_e32 v84, 32, v84
	s_delay_alu instid0(VALU_DEP_1) | instskip(SKIP_1) | instid1(VALU_DEP_2)
	v_subrev_nc_u32_e32 v87, 28, v84
	v_sub_nc_u32_e32 v84, 29, v84
	v_lshlrev_b64 v[96:97], v87, v[7:8]
	s_delay_alu instid0(VALU_DEP_1)
	v_and_b32_e32 v7, 7, v96
; %bb.45:                               ;   in Loop: Header=BB296_13 Depth=1
	s_or_b32 exec_lo, exec_lo, s23
	v_lshlrev_b32_e32 v86, 8, v86
	v_lshl_add_u32 v84, v84, 10, 0x2000
	s_delay_alu instid0(VALU_DEP_1) | instskip(NEXT) | instid1(VALU_DEP_1)
	v_and_or_b32 v84, 0x8000, v86, v84
	v_lshl_or_b32 v7, v7, 7, v84
	s_delay_alu instid0(VALU_DEP_1)
	v_cvt_f32_f16_e32 v84, v7
.LBB296_46:                             ;   in Loop: Header=BB296_13 Depth=1
	s_or_b32 exec_lo, exec_lo, s22
.LBB296_47:                             ;   in Loop: Header=BB296_13 Depth=1
	s_delay_alu instid0(SALU_CYCLE_1)
	s_or_b32 exec_lo, exec_lo, s21
.LBB296_48:                             ;   in Loop: Header=BB296_13 Depth=1
	s_delay_alu instid0(SALU_CYCLE_1) | instskip(SKIP_4) | instid1(VALU_DEP_2)
	s_or_b32 exec_lo, exec_lo, s20
	flat_load_u16 v7, v[31:32] offset:128
	s_waitcnt vmcnt(0) lgkmcnt(0)
	v_dual_mov_b32 v86, 0 :: v_dual_and_b32 v87, 0xff, v7
	v_and_b32_e32 v96, 0xffff, v7
	v_cmp_ne_u16_e64 s2, 0, v87
	v_mov_b32_e32 v87, 0
	s_delay_alu instid0(VALU_DEP_2)
	s_and_saveexec_b32 s20, s2
	s_cbranch_execz .LBB296_56
; %bb.49:                               ;   in Loop: Header=BB296_13 Depth=1
	v_and_b32_e32 v7, 0xff, v96
	v_bfrev_b32_e32 v87, 1
	s_mov_b32 s21, exec_lo
	s_delay_alu instid0(VALU_DEP_2)
	v_cmpx_ne_u16_e32 0x80, v7
	s_cbranch_execz .LBB296_55
; %bb.50:                               ;   in Loop: Header=BB296_13 Depth=1
	v_and_b32_e32 v97, 0x7f, v96
	v_mov_b32_e32 v87, 0x7fc02000
	s_mov_b32 s22, exec_lo
	s_delay_alu instid0(VALU_DEP_2)
	v_cmpx_ne_u32_e32 0x7f, v97
	s_cbranch_execz .LBB296_54
; %bb.51:                               ;   in Loop: Header=BB296_13 Depth=1
	v_and_b32_e32 v7, 7, v96
	v_lshrrev_b32_e32 v87, 3, v97
	s_mov_b32 s23, exec_lo
	v_cmpx_gt_u32_e32 8, v97
; %bb.52:                               ;   in Loop: Header=BB296_13 Depth=1
	s_delay_alu instid0(VALU_DEP_3) | instskip(NEXT) | instid1(VALU_DEP_1)
	v_clz_i32_u32_e32 v87, v7
	v_min_u32_e32 v87, 32, v87
	s_delay_alu instid0(VALU_DEP_1) | instskip(SKIP_1) | instid1(VALU_DEP_2)
	v_subrev_nc_u32_e32 v97, 28, v87
	v_sub_nc_u32_e32 v87, 29, v87
	v_lshlrev_b64 v[97:98], v97, v[7:8]
	s_delay_alu instid0(VALU_DEP_1)
	v_and_b32_e32 v7, 7, v97
; %bb.53:                               ;   in Loop: Header=BB296_13 Depth=1
	s_or_b32 exec_lo, exec_lo, s23
	v_lshlrev_b32_e32 v97, 8, v96
	v_lshl_add_u32 v87, v87, 10, 0x2000
	s_delay_alu instid0(VALU_DEP_1) | instskip(NEXT) | instid1(VALU_DEP_1)
	v_and_or_b32 v87, 0x8000, v97, v87
	v_lshl_or_b32 v7, v7, 7, v87
	s_delay_alu instid0(VALU_DEP_1)
	v_cvt_f32_f16_e32 v87, v7
.LBB296_54:                             ;   in Loop: Header=BB296_13 Depth=1
	s_or_b32 exec_lo, exec_lo, s22
.LBB296_55:                             ;   in Loop: Header=BB296_13 Depth=1
	s_delay_alu instid0(SALU_CYCLE_1)
	s_or_b32 exec_lo, exec_lo, s21
.LBB296_56:                             ;   in Loop: Header=BB296_13 Depth=1
	s_delay_alu instid0(SALU_CYCLE_1) | instskip(SKIP_2) | instid1(VALU_DEP_1)
	s_or_b32 exec_lo, exec_lo, s20
	v_lshrrev_b16 v7, 8, v96
	s_mov_b32 s20, exec_lo
	v_cmpx_ne_u16_e32 0, v7
	s_cbranch_execz .LBB296_64
; %bb.57:                               ;   in Loop: Header=BB296_13 Depth=1
	v_bfrev_b32_e32 v86, 1
	s_mov_b32 s21, exec_lo
	v_cmpx_ne_u16_e32 0x80, v7
	s_cbranch_execz .LBB296_63
; %bb.58:                               ;   in Loop: Header=BB296_13 Depth=1
	v_and_b32_e32 v96, 0xffff, v7
	v_mov_b32_e32 v86, 0x7fc02000
	s_mov_b32 s22, exec_lo
	s_delay_alu instid0(VALU_DEP_2) | instskip(NEXT) | instid1(VALU_DEP_1)
	v_and_b32_e32 v97, 0x7f, v96
	v_cmpx_ne_u32_e32 0x7f, v97
	s_cbranch_execz .LBB296_62
; %bb.59:                               ;   in Loop: Header=BB296_13 Depth=1
	v_and_b32_e32 v7, 7, v96
	v_lshrrev_b32_e32 v86, 3, v97
	s_mov_b32 s23, exec_lo
	v_cmpx_gt_u32_e32 8, v97
; %bb.60:                               ;   in Loop: Header=BB296_13 Depth=1
	s_delay_alu instid0(VALU_DEP_3) | instskip(NEXT) | instid1(VALU_DEP_1)
	v_clz_i32_u32_e32 v86, v7
	v_min_u32_e32 v86, 32, v86
	s_delay_alu instid0(VALU_DEP_1) | instskip(SKIP_1) | instid1(VALU_DEP_2)
	v_subrev_nc_u32_e32 v97, 28, v86
	v_sub_nc_u32_e32 v86, 29, v86
	v_lshlrev_b64 v[97:98], v97, v[7:8]
	s_delay_alu instid0(VALU_DEP_1)
	v_and_b32_e32 v7, 7, v97
; %bb.61:                               ;   in Loop: Header=BB296_13 Depth=1
	s_or_b32 exec_lo, exec_lo, s23
	v_lshlrev_b32_e32 v96, 8, v96
	v_lshl_add_u32 v86, v86, 10, 0x2000
	s_delay_alu instid0(VALU_DEP_1) | instskip(NEXT) | instid1(VALU_DEP_1)
	v_and_or_b32 v86, 0x8000, v96, v86
	v_lshl_or_b32 v7, v7, 7, v86
	s_delay_alu instid0(VALU_DEP_1)
	v_cvt_f32_f16_e32 v86, v7
.LBB296_62:                             ;   in Loop: Header=BB296_13 Depth=1
	s_or_b32 exec_lo, exec_lo, s22
.LBB296_63:                             ;   in Loop: Header=BB296_13 Depth=1
	s_delay_alu instid0(SALU_CYCLE_1)
	s_or_b32 exec_lo, exec_lo, s21
.LBB296_64:                             ;   in Loop: Header=BB296_13 Depth=1
	s_delay_alu instid0(SALU_CYCLE_1) | instskip(SKIP_4) | instid1(VALU_DEP_2)
	s_or_b32 exec_lo, exec_lo, s20
	flat_load_u16 v7, v[31:32] offset:136
	s_waitcnt vmcnt(0) lgkmcnt(0)
	v_dual_mov_b32 v96, 0 :: v_dual_and_b32 v97, 0xff, v7
	v_and_b32_e32 v98, 0xffff, v7
	v_cmp_ne_u16_e64 s2, 0, v97
	v_mov_b32_e32 v97, 0
	s_delay_alu instid0(VALU_DEP_2)
	s_and_saveexec_b32 s20, s2
	s_cbranch_execz .LBB296_72
; %bb.65:                               ;   in Loop: Header=BB296_13 Depth=1
	v_and_b32_e32 v7, 0xff, v98
	v_bfrev_b32_e32 v97, 1
	s_mov_b32 s21, exec_lo
	s_delay_alu instid0(VALU_DEP_2)
	v_cmpx_ne_u16_e32 0x80, v7
	s_cbranch_execz .LBB296_71
; %bb.66:                               ;   in Loop: Header=BB296_13 Depth=1
	v_and_b32_e32 v99, 0x7f, v98
	v_mov_b32_e32 v97, 0x7fc02000
	s_mov_b32 s22, exec_lo
	s_delay_alu instid0(VALU_DEP_2)
	v_cmpx_ne_u32_e32 0x7f, v99
	s_cbranch_execz .LBB296_70
; %bb.67:                               ;   in Loop: Header=BB296_13 Depth=1
	v_and_b32_e32 v7, 7, v98
	v_lshrrev_b32_e32 v97, 3, v99
	s_mov_b32 s23, exec_lo
	v_cmpx_gt_u32_e32 8, v99
; %bb.68:                               ;   in Loop: Header=BB296_13 Depth=1
	s_delay_alu instid0(VALU_DEP_3) | instskip(NEXT) | instid1(VALU_DEP_1)
	v_clz_i32_u32_e32 v97, v7
	v_min_u32_e32 v97, 32, v97
	s_delay_alu instid0(VALU_DEP_1) | instskip(SKIP_1) | instid1(VALU_DEP_2)
	v_subrev_nc_u32_e32 v99, 28, v97
	v_sub_nc_u32_e32 v97, 29, v97
	v_lshlrev_b64 v[99:100], v99, v[7:8]
	s_delay_alu instid0(VALU_DEP_1)
	v_and_b32_e32 v7, 7, v99
; %bb.69:                               ;   in Loop: Header=BB296_13 Depth=1
	s_or_b32 exec_lo, exec_lo, s23
	v_lshlrev_b32_e32 v99, 8, v98
	v_lshl_add_u32 v97, v97, 10, 0x2000
	s_delay_alu instid0(VALU_DEP_1) | instskip(NEXT) | instid1(VALU_DEP_1)
	v_and_or_b32 v97, 0x8000, v99, v97
	v_lshl_or_b32 v7, v7, 7, v97
	s_delay_alu instid0(VALU_DEP_1)
	v_cvt_f32_f16_e32 v97, v7
.LBB296_70:                             ;   in Loop: Header=BB296_13 Depth=1
	s_or_b32 exec_lo, exec_lo, s22
.LBB296_71:                             ;   in Loop: Header=BB296_13 Depth=1
	s_delay_alu instid0(SALU_CYCLE_1)
	s_or_b32 exec_lo, exec_lo, s21
.LBB296_72:                             ;   in Loop: Header=BB296_13 Depth=1
	s_delay_alu instid0(SALU_CYCLE_1) | instskip(SKIP_2) | instid1(VALU_DEP_1)
	s_or_b32 exec_lo, exec_lo, s20
	v_lshrrev_b16 v7, 8, v98
	s_mov_b32 s20, exec_lo
	v_cmpx_ne_u16_e32 0, v7
	s_cbranch_execz .LBB296_80
; %bb.73:                               ;   in Loop: Header=BB296_13 Depth=1
	v_bfrev_b32_e32 v96, 1
	s_mov_b32 s21, exec_lo
	v_cmpx_ne_u16_e32 0x80, v7
	s_cbranch_execz .LBB296_79
; %bb.74:                               ;   in Loop: Header=BB296_13 Depth=1
	v_and_b32_e32 v98, 0xffff, v7
	v_mov_b32_e32 v96, 0x7fc02000
	s_mov_b32 s22, exec_lo
	s_delay_alu instid0(VALU_DEP_2) | instskip(NEXT) | instid1(VALU_DEP_1)
	v_and_b32_e32 v99, 0x7f, v98
	v_cmpx_ne_u32_e32 0x7f, v99
	s_cbranch_execz .LBB296_78
; %bb.75:                               ;   in Loop: Header=BB296_13 Depth=1
	v_and_b32_e32 v7, 7, v98
	v_lshrrev_b32_e32 v96, 3, v99
	s_mov_b32 s23, exec_lo
	v_cmpx_gt_u32_e32 8, v99
; %bb.76:                               ;   in Loop: Header=BB296_13 Depth=1
	s_delay_alu instid0(VALU_DEP_3) | instskip(NEXT) | instid1(VALU_DEP_1)
	v_clz_i32_u32_e32 v96, v7
	v_min_u32_e32 v96, 32, v96
	s_delay_alu instid0(VALU_DEP_1) | instskip(SKIP_1) | instid1(VALU_DEP_2)
	v_subrev_nc_u32_e32 v99, 28, v96
	v_sub_nc_u32_e32 v96, 29, v96
	v_lshlrev_b64 v[99:100], v99, v[7:8]
	s_delay_alu instid0(VALU_DEP_1)
	v_and_b32_e32 v7, 7, v99
; %bb.77:                               ;   in Loop: Header=BB296_13 Depth=1
	s_or_b32 exec_lo, exec_lo, s23
	v_lshlrev_b32_e32 v98, 8, v98
	v_lshl_add_u32 v96, v96, 10, 0x2000
	s_delay_alu instid0(VALU_DEP_1) | instskip(NEXT) | instid1(VALU_DEP_1)
	v_and_or_b32 v96, 0x8000, v98, v96
	v_lshl_or_b32 v7, v7, 7, v96
	s_delay_alu instid0(VALU_DEP_1)
	v_cvt_f32_f16_e32 v96, v7
.LBB296_78:                             ;   in Loop: Header=BB296_13 Depth=1
	s_or_b32 exec_lo, exec_lo, s22
.LBB296_79:                             ;   in Loop: Header=BB296_13 Depth=1
	s_delay_alu instid0(SALU_CYCLE_1)
	s_or_b32 exec_lo, exec_lo, s21
.LBB296_80:                             ;   in Loop: Header=BB296_13 Depth=1
	s_delay_alu instid0(SALU_CYCLE_1) | instskip(SKIP_4) | instid1(VALU_DEP_2)
	s_or_b32 exec_lo, exec_lo, s20
	flat_load_u16 v7, v[31:32] offset:256
	s_waitcnt vmcnt(0) lgkmcnt(0)
	v_dual_mov_b32 v98, 0 :: v_dual_and_b32 v99, 0xff, v7
	v_and_b32_e32 v100, 0xffff, v7
	v_cmp_ne_u16_e64 s2, 0, v99
	v_mov_b32_e32 v99, 0
	s_delay_alu instid0(VALU_DEP_2)
	s_and_saveexec_b32 s20, s2
	s_cbranch_execz .LBB296_88
; %bb.81:                               ;   in Loop: Header=BB296_13 Depth=1
	v_and_b32_e32 v7, 0xff, v100
	v_bfrev_b32_e32 v99, 1
	s_mov_b32 s21, exec_lo
	s_delay_alu instid0(VALU_DEP_2)
	v_cmpx_ne_u16_e32 0x80, v7
	s_cbranch_execz .LBB296_87
; %bb.82:                               ;   in Loop: Header=BB296_13 Depth=1
	v_and_b32_e32 v101, 0x7f, v100
	v_mov_b32_e32 v99, 0x7fc02000
	s_mov_b32 s22, exec_lo
	s_delay_alu instid0(VALU_DEP_2)
	v_cmpx_ne_u32_e32 0x7f, v101
	s_cbranch_execz .LBB296_86
; %bb.83:                               ;   in Loop: Header=BB296_13 Depth=1
	v_and_b32_e32 v7, 7, v100
	v_lshrrev_b32_e32 v99, 3, v101
	s_mov_b32 s23, exec_lo
	v_cmpx_gt_u32_e32 8, v101
; %bb.84:                               ;   in Loop: Header=BB296_13 Depth=1
	s_delay_alu instid0(VALU_DEP_3) | instskip(NEXT) | instid1(VALU_DEP_1)
	v_clz_i32_u32_e32 v99, v7
	v_min_u32_e32 v99, 32, v99
	s_delay_alu instid0(VALU_DEP_1) | instskip(SKIP_1) | instid1(VALU_DEP_2)
	v_subrev_nc_u32_e32 v101, 28, v99
	v_sub_nc_u32_e32 v99, 29, v99
	v_lshlrev_b64 v[101:102], v101, v[7:8]
	s_delay_alu instid0(VALU_DEP_1)
	v_and_b32_e32 v7, 7, v101
; %bb.85:                               ;   in Loop: Header=BB296_13 Depth=1
	s_or_b32 exec_lo, exec_lo, s23
	v_lshlrev_b32_e32 v101, 8, v100
	v_lshl_add_u32 v99, v99, 10, 0x2000
	s_delay_alu instid0(VALU_DEP_1) | instskip(NEXT) | instid1(VALU_DEP_1)
	v_and_or_b32 v99, 0x8000, v101, v99
	v_lshl_or_b32 v7, v7, 7, v99
	s_delay_alu instid0(VALU_DEP_1)
	v_cvt_f32_f16_e32 v99, v7
.LBB296_86:                             ;   in Loop: Header=BB296_13 Depth=1
	s_or_b32 exec_lo, exec_lo, s22
.LBB296_87:                             ;   in Loop: Header=BB296_13 Depth=1
	s_delay_alu instid0(SALU_CYCLE_1)
	s_or_b32 exec_lo, exec_lo, s21
.LBB296_88:                             ;   in Loop: Header=BB296_13 Depth=1
	s_delay_alu instid0(SALU_CYCLE_1) | instskip(SKIP_2) | instid1(VALU_DEP_1)
	s_or_b32 exec_lo, exec_lo, s20
	v_lshrrev_b16 v7, 8, v100
	s_mov_b32 s20, exec_lo
	v_cmpx_ne_u16_e32 0, v7
	s_cbranch_execz .LBB296_96
; %bb.89:                               ;   in Loop: Header=BB296_13 Depth=1
	v_bfrev_b32_e32 v98, 1
	s_mov_b32 s21, exec_lo
	v_cmpx_ne_u16_e32 0x80, v7
	s_cbranch_execz .LBB296_95
; %bb.90:                               ;   in Loop: Header=BB296_13 Depth=1
	v_and_b32_e32 v100, 0xffff, v7
	v_mov_b32_e32 v98, 0x7fc02000
	s_mov_b32 s22, exec_lo
	s_delay_alu instid0(VALU_DEP_2) | instskip(NEXT) | instid1(VALU_DEP_1)
	v_and_b32_e32 v101, 0x7f, v100
	v_cmpx_ne_u32_e32 0x7f, v101
	s_cbranch_execz .LBB296_94
; %bb.91:                               ;   in Loop: Header=BB296_13 Depth=1
	v_and_b32_e32 v7, 7, v100
	v_lshrrev_b32_e32 v98, 3, v101
	s_mov_b32 s23, exec_lo
	v_cmpx_gt_u32_e32 8, v101
; %bb.92:                               ;   in Loop: Header=BB296_13 Depth=1
	s_delay_alu instid0(VALU_DEP_3) | instskip(NEXT) | instid1(VALU_DEP_1)
	v_clz_i32_u32_e32 v98, v7
	v_min_u32_e32 v98, 32, v98
	s_delay_alu instid0(VALU_DEP_1) | instskip(SKIP_1) | instid1(VALU_DEP_2)
	v_subrev_nc_u32_e32 v101, 28, v98
	v_sub_nc_u32_e32 v98, 29, v98
	v_lshlrev_b64 v[101:102], v101, v[7:8]
	s_delay_alu instid0(VALU_DEP_1)
	v_and_b32_e32 v7, 7, v101
; %bb.93:                               ;   in Loop: Header=BB296_13 Depth=1
	s_or_b32 exec_lo, exec_lo, s23
	v_lshlrev_b32_e32 v100, 8, v100
	v_lshl_add_u32 v98, v98, 10, 0x2000
	s_delay_alu instid0(VALU_DEP_1) | instskip(NEXT) | instid1(VALU_DEP_1)
	v_and_or_b32 v98, 0x8000, v100, v98
	v_lshl_or_b32 v7, v7, 7, v98
	s_delay_alu instid0(VALU_DEP_1)
	v_cvt_f32_f16_e32 v98, v7
.LBB296_94:                             ;   in Loop: Header=BB296_13 Depth=1
	s_or_b32 exec_lo, exec_lo, s22
.LBB296_95:                             ;   in Loop: Header=BB296_13 Depth=1
	s_delay_alu instid0(SALU_CYCLE_1)
	s_or_b32 exec_lo, exec_lo, s21
.LBB296_96:                             ;   in Loop: Header=BB296_13 Depth=1
	s_delay_alu instid0(SALU_CYCLE_1) | instskip(SKIP_4) | instid1(VALU_DEP_2)
	s_or_b32 exec_lo, exec_lo, s20
	flat_load_u16 v7, v[31:32] offset:264
	s_waitcnt vmcnt(0) lgkmcnt(0)
	v_dual_mov_b32 v100, 0 :: v_dual_and_b32 v101, 0xff, v7
	v_and_b32_e32 v102, 0xffff, v7
	v_cmp_ne_u16_e64 s2, 0, v101
	v_mov_b32_e32 v101, 0
	s_delay_alu instid0(VALU_DEP_2)
	s_and_saveexec_b32 s20, s2
	s_cbranch_execz .LBB296_104
; %bb.97:                               ;   in Loop: Header=BB296_13 Depth=1
	v_and_b32_e32 v7, 0xff, v102
	v_bfrev_b32_e32 v101, 1
	s_mov_b32 s21, exec_lo
	s_delay_alu instid0(VALU_DEP_2)
	v_cmpx_ne_u16_e32 0x80, v7
	s_cbranch_execz .LBB296_103
; %bb.98:                               ;   in Loop: Header=BB296_13 Depth=1
	v_and_b32_e32 v103, 0x7f, v102
	v_mov_b32_e32 v101, 0x7fc02000
	s_mov_b32 s22, exec_lo
	s_delay_alu instid0(VALU_DEP_2)
	v_cmpx_ne_u32_e32 0x7f, v103
	s_cbranch_execz .LBB296_102
; %bb.99:                               ;   in Loop: Header=BB296_13 Depth=1
	v_and_b32_e32 v7, 7, v102
	v_lshrrev_b32_e32 v101, 3, v103
	s_mov_b32 s23, exec_lo
	v_cmpx_gt_u32_e32 8, v103
; %bb.100:                              ;   in Loop: Header=BB296_13 Depth=1
	s_delay_alu instid0(VALU_DEP_3) | instskip(NEXT) | instid1(VALU_DEP_1)
	v_clz_i32_u32_e32 v101, v7
	v_min_u32_e32 v101, 32, v101
	s_delay_alu instid0(VALU_DEP_1) | instskip(SKIP_1) | instid1(VALU_DEP_2)
	v_subrev_nc_u32_e32 v103, 28, v101
	v_sub_nc_u32_e32 v101, 29, v101
	v_lshlrev_b64 v[112:113], v103, v[7:8]
	s_delay_alu instid0(VALU_DEP_1)
	v_and_b32_e32 v7, 7, v112
; %bb.101:                              ;   in Loop: Header=BB296_13 Depth=1
	s_or_b32 exec_lo, exec_lo, s23
	v_lshlrev_b32_e32 v103, 8, v102
	v_lshl_add_u32 v101, v101, 10, 0x2000
	s_delay_alu instid0(VALU_DEP_1) | instskip(NEXT) | instid1(VALU_DEP_1)
	v_and_or_b32 v101, 0x8000, v103, v101
	v_lshl_or_b32 v7, v7, 7, v101
	s_delay_alu instid0(VALU_DEP_1)
	v_cvt_f32_f16_e32 v101, v7
.LBB296_102:                            ;   in Loop: Header=BB296_13 Depth=1
	s_or_b32 exec_lo, exec_lo, s22
.LBB296_103:                            ;   in Loop: Header=BB296_13 Depth=1
	s_delay_alu instid0(SALU_CYCLE_1)
	s_or_b32 exec_lo, exec_lo, s21
.LBB296_104:                            ;   in Loop: Header=BB296_13 Depth=1
	s_delay_alu instid0(SALU_CYCLE_1) | instskip(SKIP_2) | instid1(VALU_DEP_1)
	s_or_b32 exec_lo, exec_lo, s20
	v_lshrrev_b16 v7, 8, v102
	s_mov_b32 s20, exec_lo
	v_cmpx_ne_u16_e32 0, v7
	s_cbranch_execz .LBB296_112
; %bb.105:                              ;   in Loop: Header=BB296_13 Depth=1
	v_bfrev_b32_e32 v100, 1
	s_mov_b32 s21, exec_lo
	v_cmpx_ne_u16_e32 0x80, v7
	s_cbranch_execz .LBB296_111
; %bb.106:                              ;   in Loop: Header=BB296_13 Depth=1
	v_and_b32_e32 v102, 0xffff, v7
	v_mov_b32_e32 v100, 0x7fc02000
	s_mov_b32 s22, exec_lo
	s_delay_alu instid0(VALU_DEP_2) | instskip(NEXT) | instid1(VALU_DEP_1)
	v_and_b32_e32 v103, 0x7f, v102
	v_cmpx_ne_u32_e32 0x7f, v103
	s_cbranch_execz .LBB296_110
; %bb.107:                              ;   in Loop: Header=BB296_13 Depth=1
	v_and_b32_e32 v7, 7, v102
	v_lshrrev_b32_e32 v100, 3, v103
	s_mov_b32 s23, exec_lo
	v_cmpx_gt_u32_e32 8, v103
; %bb.108:                              ;   in Loop: Header=BB296_13 Depth=1
	s_delay_alu instid0(VALU_DEP_3) | instskip(NEXT) | instid1(VALU_DEP_1)
	v_clz_i32_u32_e32 v100, v7
	v_min_u32_e32 v100, 32, v100
	s_delay_alu instid0(VALU_DEP_1) | instskip(SKIP_1) | instid1(VALU_DEP_2)
	v_subrev_nc_u32_e32 v103, 28, v100
	v_sub_nc_u32_e32 v100, 29, v100
	v_lshlrev_b64 v[112:113], v103, v[7:8]
	s_delay_alu instid0(VALU_DEP_1)
	v_and_b32_e32 v7, 7, v112
; %bb.109:                              ;   in Loop: Header=BB296_13 Depth=1
	s_or_b32 exec_lo, exec_lo, s23
	v_lshlrev_b32_e32 v102, 8, v102
	v_lshl_add_u32 v100, v100, 10, 0x2000
	s_delay_alu instid0(VALU_DEP_1) | instskip(NEXT) | instid1(VALU_DEP_1)
	v_and_or_b32 v100, 0x8000, v102, v100
	v_lshl_or_b32 v7, v7, 7, v100
	s_delay_alu instid0(VALU_DEP_1)
	v_cvt_f32_f16_e32 v100, v7
.LBB296_110:                            ;   in Loop: Header=BB296_13 Depth=1
	s_or_b32 exec_lo, exec_lo, s22
.LBB296_111:                            ;   in Loop: Header=BB296_13 Depth=1
	s_delay_alu instid0(SALU_CYCLE_1)
	s_or_b32 exec_lo, exec_lo, s21
.LBB296_112:                            ;   in Loop: Header=BB296_13 Depth=1
	s_delay_alu instid0(SALU_CYCLE_1) | instskip(SKIP_4) | instid1(VALU_DEP_2)
	s_or_b32 exec_lo, exec_lo, s20
	flat_load_u16 v7, v[31:32] offset:384
	s_waitcnt vmcnt(0) lgkmcnt(0)
	v_dual_mov_b32 v102, 0 :: v_dual_and_b32 v103, 0xff, v7
	v_and_b32_e32 v112, 0xffff, v7
	v_cmp_ne_u16_e64 s2, 0, v103
	v_mov_b32_e32 v103, 0
	s_delay_alu instid0(VALU_DEP_2)
	s_and_saveexec_b32 s20, s2
	s_cbranch_execz .LBB296_120
; %bb.113:                              ;   in Loop: Header=BB296_13 Depth=1
	v_and_b32_e32 v7, 0xff, v112
	v_bfrev_b32_e32 v103, 1
	s_mov_b32 s21, exec_lo
	s_delay_alu instid0(VALU_DEP_2)
	v_cmpx_ne_u16_e32 0x80, v7
	s_cbranch_execz .LBB296_119
; %bb.114:                              ;   in Loop: Header=BB296_13 Depth=1
	v_and_b32_e32 v113, 0x7f, v112
	v_mov_b32_e32 v103, 0x7fc02000
	s_mov_b32 s22, exec_lo
	s_delay_alu instid0(VALU_DEP_2)
	v_cmpx_ne_u32_e32 0x7f, v113
	s_cbranch_execz .LBB296_118
; %bb.115:                              ;   in Loop: Header=BB296_13 Depth=1
	v_and_b32_e32 v7, 7, v112
	v_lshrrev_b32_e32 v103, 3, v113
	s_mov_b32 s23, exec_lo
	v_cmpx_gt_u32_e32 8, v113
; %bb.116:                              ;   in Loop: Header=BB296_13 Depth=1
	s_delay_alu instid0(VALU_DEP_3) | instskip(NEXT) | instid1(VALU_DEP_1)
	v_clz_i32_u32_e32 v103, v7
	v_min_u32_e32 v103, 32, v103
	s_delay_alu instid0(VALU_DEP_1) | instskip(SKIP_1) | instid1(VALU_DEP_2)
	v_subrev_nc_u32_e32 v113, 28, v103
	v_sub_nc_u32_e32 v103, 29, v103
	v_lshlrev_b64 v[113:114], v113, v[7:8]
	s_delay_alu instid0(VALU_DEP_1)
	v_and_b32_e32 v7, 7, v113
; %bb.117:                              ;   in Loop: Header=BB296_13 Depth=1
	s_or_b32 exec_lo, exec_lo, s23
	v_lshlrev_b32_e32 v113, 8, v112
	v_lshl_add_u32 v103, v103, 10, 0x2000
	s_delay_alu instid0(VALU_DEP_1) | instskip(NEXT) | instid1(VALU_DEP_1)
	v_and_or_b32 v103, 0x8000, v113, v103
	v_lshl_or_b32 v7, v7, 7, v103
	s_delay_alu instid0(VALU_DEP_1)
	v_cvt_f32_f16_e32 v103, v7
.LBB296_118:                            ;   in Loop: Header=BB296_13 Depth=1
	s_or_b32 exec_lo, exec_lo, s22
.LBB296_119:                            ;   in Loop: Header=BB296_13 Depth=1
	s_delay_alu instid0(SALU_CYCLE_1)
	s_or_b32 exec_lo, exec_lo, s21
.LBB296_120:                            ;   in Loop: Header=BB296_13 Depth=1
	s_delay_alu instid0(SALU_CYCLE_1) | instskip(SKIP_2) | instid1(VALU_DEP_1)
	s_or_b32 exec_lo, exec_lo, s20
	v_lshrrev_b16 v7, 8, v112
	s_mov_b32 s20, exec_lo
	v_cmpx_ne_u16_e32 0, v7
	s_cbranch_execz .LBB296_128
; %bb.121:                              ;   in Loop: Header=BB296_13 Depth=1
	v_bfrev_b32_e32 v102, 1
	s_mov_b32 s21, exec_lo
	v_cmpx_ne_u16_e32 0x80, v7
	s_cbranch_execz .LBB296_127
; %bb.122:                              ;   in Loop: Header=BB296_13 Depth=1
	v_and_b32_e32 v112, 0xffff, v7
	v_mov_b32_e32 v102, 0x7fc02000
	s_mov_b32 s22, exec_lo
	s_delay_alu instid0(VALU_DEP_2) | instskip(NEXT) | instid1(VALU_DEP_1)
	v_and_b32_e32 v113, 0x7f, v112
	v_cmpx_ne_u32_e32 0x7f, v113
	s_cbranch_execz .LBB296_126
; %bb.123:                              ;   in Loop: Header=BB296_13 Depth=1
	v_and_b32_e32 v7, 7, v112
	v_lshrrev_b32_e32 v102, 3, v113
	s_mov_b32 s23, exec_lo
	v_cmpx_gt_u32_e32 8, v113
; %bb.124:                              ;   in Loop: Header=BB296_13 Depth=1
	s_delay_alu instid0(VALU_DEP_3) | instskip(NEXT) | instid1(VALU_DEP_1)
	v_clz_i32_u32_e32 v102, v7
	v_min_u32_e32 v102, 32, v102
	s_delay_alu instid0(VALU_DEP_1) | instskip(SKIP_1) | instid1(VALU_DEP_2)
	v_subrev_nc_u32_e32 v113, 28, v102
	v_sub_nc_u32_e32 v102, 29, v102
	v_lshlrev_b64 v[113:114], v113, v[7:8]
	s_delay_alu instid0(VALU_DEP_1)
	v_and_b32_e32 v7, 7, v113
; %bb.125:                              ;   in Loop: Header=BB296_13 Depth=1
	s_or_b32 exec_lo, exec_lo, s23
	v_lshlrev_b32_e32 v112, 8, v112
	v_lshl_add_u32 v102, v102, 10, 0x2000
	s_delay_alu instid0(VALU_DEP_1) | instskip(NEXT) | instid1(VALU_DEP_1)
	v_and_or_b32 v102, 0x8000, v112, v102
	v_lshl_or_b32 v7, v7, 7, v102
	s_delay_alu instid0(VALU_DEP_1)
	v_cvt_f32_f16_e32 v102, v7
.LBB296_126:                            ;   in Loop: Header=BB296_13 Depth=1
	s_or_b32 exec_lo, exec_lo, s22
.LBB296_127:                            ;   in Loop: Header=BB296_13 Depth=1
	s_delay_alu instid0(SALU_CYCLE_1)
	s_or_b32 exec_lo, exec_lo, s21
.LBB296_128:                            ;   in Loop: Header=BB296_13 Depth=1
	s_delay_alu instid0(SALU_CYCLE_1) | instskip(SKIP_4) | instid1(VALU_DEP_2)
	s_or_b32 exec_lo, exec_lo, s20
	flat_load_u16 v7, v[31:32] offset:392
	s_waitcnt vmcnt(0) lgkmcnt(0)
	v_dual_mov_b32 v112, 0 :: v_dual_and_b32 v113, 0xff, v7
	v_and_b32_e32 v114, 0xffff, v7
	v_cmp_ne_u16_e64 s2, 0, v113
	v_mov_b32_e32 v113, 0
	s_delay_alu instid0(VALU_DEP_2)
	s_and_saveexec_b32 s20, s2
	s_cbranch_execz .LBB296_136
; %bb.129:                              ;   in Loop: Header=BB296_13 Depth=1
	v_and_b32_e32 v7, 0xff, v114
	v_bfrev_b32_e32 v113, 1
	s_mov_b32 s21, exec_lo
	s_delay_alu instid0(VALU_DEP_2)
	v_cmpx_ne_u16_e32 0x80, v7
	s_cbranch_execz .LBB296_135
; %bb.130:                              ;   in Loop: Header=BB296_13 Depth=1
	v_and_b32_e32 v115, 0x7f, v114
	v_mov_b32_e32 v113, 0x7fc02000
	s_mov_b32 s22, exec_lo
	s_delay_alu instid0(VALU_DEP_2)
	v_cmpx_ne_u32_e32 0x7f, v115
	s_cbranch_execz .LBB296_134
; %bb.131:                              ;   in Loop: Header=BB296_13 Depth=1
	v_and_b32_e32 v7, 7, v114
	v_lshrrev_b32_e32 v113, 3, v115
	s_mov_b32 s23, exec_lo
	v_cmpx_gt_u32_e32 8, v115
; %bb.132:                              ;   in Loop: Header=BB296_13 Depth=1
	s_delay_alu instid0(VALU_DEP_3) | instskip(NEXT) | instid1(VALU_DEP_1)
	v_clz_i32_u32_e32 v113, v7
	v_min_u32_e32 v113, 32, v113
	s_delay_alu instid0(VALU_DEP_1) | instskip(SKIP_1) | instid1(VALU_DEP_2)
	v_subrev_nc_u32_e32 v115, 28, v113
	v_sub_nc_u32_e32 v113, 29, v113
	v_lshlrev_b64 v[115:116], v115, v[7:8]
	s_delay_alu instid0(VALU_DEP_1)
	v_and_b32_e32 v7, 7, v115
; %bb.133:                              ;   in Loop: Header=BB296_13 Depth=1
	s_or_b32 exec_lo, exec_lo, s23
	v_lshlrev_b32_e32 v115, 8, v114
	v_lshl_add_u32 v113, v113, 10, 0x2000
	s_delay_alu instid0(VALU_DEP_1) | instskip(NEXT) | instid1(VALU_DEP_1)
	v_and_or_b32 v113, 0x8000, v115, v113
	v_lshl_or_b32 v7, v7, 7, v113
	s_delay_alu instid0(VALU_DEP_1)
	v_cvt_f32_f16_e32 v113, v7
.LBB296_134:                            ;   in Loop: Header=BB296_13 Depth=1
	s_or_b32 exec_lo, exec_lo, s22
.LBB296_135:                            ;   in Loop: Header=BB296_13 Depth=1
	s_delay_alu instid0(SALU_CYCLE_1)
	s_or_b32 exec_lo, exec_lo, s21
.LBB296_136:                            ;   in Loop: Header=BB296_13 Depth=1
	s_delay_alu instid0(SALU_CYCLE_1) | instskip(SKIP_2) | instid1(VALU_DEP_1)
	s_or_b32 exec_lo, exec_lo, s20
	v_lshrrev_b16 v7, 8, v114
	s_mov_b32 s20, exec_lo
	v_cmpx_ne_u16_e32 0, v7
	s_cbranch_execz .LBB296_144
; %bb.137:                              ;   in Loop: Header=BB296_13 Depth=1
	v_bfrev_b32_e32 v112, 1
	s_mov_b32 s21, exec_lo
	v_cmpx_ne_u16_e32 0x80, v7
	s_cbranch_execz .LBB296_143
; %bb.138:                              ;   in Loop: Header=BB296_13 Depth=1
	v_and_b32_e32 v114, 0xffff, v7
	v_mov_b32_e32 v112, 0x7fc02000
	s_mov_b32 s22, exec_lo
	s_delay_alu instid0(VALU_DEP_2) | instskip(NEXT) | instid1(VALU_DEP_1)
	v_and_b32_e32 v115, 0x7f, v114
	v_cmpx_ne_u32_e32 0x7f, v115
	s_cbranch_execz .LBB296_142
; %bb.139:                              ;   in Loop: Header=BB296_13 Depth=1
	v_and_b32_e32 v7, 7, v114
	v_lshrrev_b32_e32 v112, 3, v115
	s_mov_b32 s23, exec_lo
	v_cmpx_gt_u32_e32 8, v115
; %bb.140:                              ;   in Loop: Header=BB296_13 Depth=1
	s_delay_alu instid0(VALU_DEP_3) | instskip(NEXT) | instid1(VALU_DEP_1)
	v_clz_i32_u32_e32 v112, v7
	v_min_u32_e32 v112, 32, v112
	s_delay_alu instid0(VALU_DEP_1) | instskip(SKIP_1) | instid1(VALU_DEP_2)
	v_subrev_nc_u32_e32 v115, 28, v112
	v_sub_nc_u32_e32 v112, 29, v112
	v_lshlrev_b64 v[115:116], v115, v[7:8]
	s_delay_alu instid0(VALU_DEP_1)
	v_and_b32_e32 v7, 7, v115
; %bb.141:                              ;   in Loop: Header=BB296_13 Depth=1
	s_or_b32 exec_lo, exec_lo, s23
	v_lshlrev_b32_e32 v114, 8, v114
	v_lshl_add_u32 v112, v112, 10, 0x2000
	s_delay_alu instid0(VALU_DEP_1) | instskip(NEXT) | instid1(VALU_DEP_1)
	v_and_or_b32 v112, 0x8000, v114, v112
	v_lshl_or_b32 v7, v7, 7, v112
	s_delay_alu instid0(VALU_DEP_1)
	v_cvt_f32_f16_e32 v112, v7
.LBB296_142:                            ;   in Loop: Header=BB296_13 Depth=1
	s_or_b32 exec_lo, exec_lo, s22
.LBB296_143:                            ;   in Loop: Header=BB296_13 Depth=1
	s_delay_alu instid0(SALU_CYCLE_1)
	s_or_b32 exec_lo, exec_lo, s21
.LBB296_144:                            ;   in Loop: Header=BB296_13 Depth=1
	s_delay_alu instid0(SALU_CYCLE_1) | instskip(SKIP_4) | instid1(VALU_DEP_2)
	s_or_b32 exec_lo, exec_lo, s20
	flat_load_u16 v7, v[31:32] offset:512
	s_waitcnt vmcnt(0) lgkmcnt(0)
	v_dual_mov_b32 v114, 0 :: v_dual_and_b32 v115, 0xff, v7
	v_and_b32_e32 v116, 0xffff, v7
	v_cmp_ne_u16_e64 s2, 0, v115
	v_mov_b32_e32 v115, 0
	s_delay_alu instid0(VALU_DEP_2)
	s_and_saveexec_b32 s20, s2
	s_cbranch_execz .LBB296_152
; %bb.145:                              ;   in Loop: Header=BB296_13 Depth=1
	v_and_b32_e32 v7, 0xff, v116
	v_bfrev_b32_e32 v115, 1
	s_mov_b32 s21, exec_lo
	s_delay_alu instid0(VALU_DEP_2)
	v_cmpx_ne_u16_e32 0x80, v7
	s_cbranch_execz .LBB296_151
; %bb.146:                              ;   in Loop: Header=BB296_13 Depth=1
	v_and_b32_e32 v117, 0x7f, v116
	v_mov_b32_e32 v115, 0x7fc02000
	s_mov_b32 s22, exec_lo
	s_delay_alu instid0(VALU_DEP_2)
	v_cmpx_ne_u32_e32 0x7f, v117
	s_cbranch_execz .LBB296_150
; %bb.147:                              ;   in Loop: Header=BB296_13 Depth=1
	v_and_b32_e32 v7, 7, v116
	v_lshrrev_b32_e32 v115, 3, v117
	s_mov_b32 s23, exec_lo
	v_cmpx_gt_u32_e32 8, v117
; %bb.148:                              ;   in Loop: Header=BB296_13 Depth=1
	s_delay_alu instid0(VALU_DEP_3) | instskip(NEXT) | instid1(VALU_DEP_1)
	v_clz_i32_u32_e32 v115, v7
	v_min_u32_e32 v115, 32, v115
	s_delay_alu instid0(VALU_DEP_1) | instskip(SKIP_1) | instid1(VALU_DEP_2)
	v_subrev_nc_u32_e32 v117, 28, v115
	v_sub_nc_u32_e32 v115, 29, v115
	v_lshlrev_b64 v[117:118], v117, v[7:8]
	s_delay_alu instid0(VALU_DEP_1)
	v_and_b32_e32 v7, 7, v117
; %bb.149:                              ;   in Loop: Header=BB296_13 Depth=1
	s_or_b32 exec_lo, exec_lo, s23
	v_lshlrev_b32_e32 v117, 8, v116
	v_lshl_add_u32 v115, v115, 10, 0x2000
	s_delay_alu instid0(VALU_DEP_1) | instskip(NEXT) | instid1(VALU_DEP_1)
	v_and_or_b32 v115, 0x8000, v117, v115
	v_lshl_or_b32 v7, v7, 7, v115
	s_delay_alu instid0(VALU_DEP_1)
	v_cvt_f32_f16_e32 v115, v7
.LBB296_150:                            ;   in Loop: Header=BB296_13 Depth=1
	s_or_b32 exec_lo, exec_lo, s22
.LBB296_151:                            ;   in Loop: Header=BB296_13 Depth=1
	s_delay_alu instid0(SALU_CYCLE_1)
	s_or_b32 exec_lo, exec_lo, s21
.LBB296_152:                            ;   in Loop: Header=BB296_13 Depth=1
	s_delay_alu instid0(SALU_CYCLE_1) | instskip(SKIP_2) | instid1(VALU_DEP_1)
	s_or_b32 exec_lo, exec_lo, s20
	v_lshrrev_b16 v7, 8, v116
	s_mov_b32 s20, exec_lo
	v_cmpx_ne_u16_e32 0, v7
	s_cbranch_execz .LBB296_160
; %bb.153:                              ;   in Loop: Header=BB296_13 Depth=1
	v_bfrev_b32_e32 v114, 1
	s_mov_b32 s21, exec_lo
	v_cmpx_ne_u16_e32 0x80, v7
	s_cbranch_execz .LBB296_159
; %bb.154:                              ;   in Loop: Header=BB296_13 Depth=1
	v_and_b32_e32 v116, 0xffff, v7
	v_mov_b32_e32 v114, 0x7fc02000
	s_mov_b32 s22, exec_lo
	s_delay_alu instid0(VALU_DEP_2) | instskip(NEXT) | instid1(VALU_DEP_1)
	v_and_b32_e32 v117, 0x7f, v116
	v_cmpx_ne_u32_e32 0x7f, v117
	s_cbranch_execz .LBB296_158
; %bb.155:                              ;   in Loop: Header=BB296_13 Depth=1
	v_and_b32_e32 v7, 7, v116
	v_lshrrev_b32_e32 v114, 3, v117
	s_mov_b32 s23, exec_lo
	v_cmpx_gt_u32_e32 8, v117
; %bb.156:                              ;   in Loop: Header=BB296_13 Depth=1
	s_delay_alu instid0(VALU_DEP_3) | instskip(NEXT) | instid1(VALU_DEP_1)
	v_clz_i32_u32_e32 v114, v7
	v_min_u32_e32 v114, 32, v114
	s_delay_alu instid0(VALU_DEP_1) | instskip(SKIP_1) | instid1(VALU_DEP_2)
	v_subrev_nc_u32_e32 v117, 28, v114
	v_sub_nc_u32_e32 v114, 29, v114
	v_lshlrev_b64 v[117:118], v117, v[7:8]
	s_delay_alu instid0(VALU_DEP_1)
	v_and_b32_e32 v7, 7, v117
; %bb.157:                              ;   in Loop: Header=BB296_13 Depth=1
	s_or_b32 exec_lo, exec_lo, s23
	v_lshlrev_b32_e32 v116, 8, v116
	v_lshl_add_u32 v114, v114, 10, 0x2000
	s_delay_alu instid0(VALU_DEP_1) | instskip(NEXT) | instid1(VALU_DEP_1)
	v_and_or_b32 v114, 0x8000, v116, v114
	v_lshl_or_b32 v7, v7, 7, v114
	s_delay_alu instid0(VALU_DEP_1)
	v_cvt_f32_f16_e32 v114, v7
.LBB296_158:                            ;   in Loop: Header=BB296_13 Depth=1
	s_or_b32 exec_lo, exec_lo, s22
.LBB296_159:                            ;   in Loop: Header=BB296_13 Depth=1
	s_delay_alu instid0(SALU_CYCLE_1)
	s_or_b32 exec_lo, exec_lo, s21
.LBB296_160:                            ;   in Loop: Header=BB296_13 Depth=1
	s_delay_alu instid0(SALU_CYCLE_1) | instskip(SKIP_4) | instid1(VALU_DEP_2)
	s_or_b32 exec_lo, exec_lo, s20
	flat_load_u16 v7, v[31:32] offset:520
	s_waitcnt vmcnt(0) lgkmcnt(0)
	v_dual_mov_b32 v116, 0 :: v_dual_and_b32 v117, 0xff, v7
	v_and_b32_e32 v118, 0xffff, v7
	v_cmp_ne_u16_e64 s2, 0, v117
	v_mov_b32_e32 v117, 0
	s_delay_alu instid0(VALU_DEP_2)
	s_and_saveexec_b32 s20, s2
	s_cbranch_execz .LBB296_168
; %bb.161:                              ;   in Loop: Header=BB296_13 Depth=1
	v_and_b32_e32 v7, 0xff, v118
	v_bfrev_b32_e32 v117, 1
	s_mov_b32 s21, exec_lo
	s_delay_alu instid0(VALU_DEP_2)
	v_cmpx_ne_u16_e32 0x80, v7
	s_cbranch_execz .LBB296_167
; %bb.162:                              ;   in Loop: Header=BB296_13 Depth=1
	v_and_b32_e32 v119, 0x7f, v118
	v_mov_b32_e32 v117, 0x7fc02000
	s_mov_b32 s22, exec_lo
	s_delay_alu instid0(VALU_DEP_2)
	v_cmpx_ne_u32_e32 0x7f, v119
	s_cbranch_execz .LBB296_166
; %bb.163:                              ;   in Loop: Header=BB296_13 Depth=1
	v_and_b32_e32 v7, 7, v118
	v_lshrrev_b32_e32 v117, 3, v119
	s_mov_b32 s23, exec_lo
	v_cmpx_gt_u32_e32 8, v119
; %bb.164:                              ;   in Loop: Header=BB296_13 Depth=1
	s_delay_alu instid0(VALU_DEP_3) | instskip(NEXT) | instid1(VALU_DEP_1)
	v_clz_i32_u32_e32 v117, v7
	v_min_u32_e32 v117, 32, v117
	s_delay_alu instid0(VALU_DEP_1) | instskip(SKIP_1) | instid1(VALU_DEP_2)
	v_subrev_nc_u32_e32 v119, 28, v117
	v_sub_nc_u32_e32 v117, 29, v117
	v_lshlrev_b64 v[128:129], v119, v[7:8]
	s_delay_alu instid0(VALU_DEP_1)
	v_and_b32_e32 v7, 7, v128
; %bb.165:                              ;   in Loop: Header=BB296_13 Depth=1
	s_or_b32 exec_lo, exec_lo, s23
	v_lshlrev_b32_e32 v119, 8, v118
	v_lshl_add_u32 v117, v117, 10, 0x2000
	s_delay_alu instid0(VALU_DEP_1) | instskip(NEXT) | instid1(VALU_DEP_1)
	v_and_or_b32 v117, 0x8000, v119, v117
	v_lshl_or_b32 v7, v7, 7, v117
	s_delay_alu instid0(VALU_DEP_1)
	v_cvt_f32_f16_e32 v117, v7
.LBB296_166:                            ;   in Loop: Header=BB296_13 Depth=1
	s_or_b32 exec_lo, exec_lo, s22
.LBB296_167:                            ;   in Loop: Header=BB296_13 Depth=1
	s_delay_alu instid0(SALU_CYCLE_1)
	s_or_b32 exec_lo, exec_lo, s21
.LBB296_168:                            ;   in Loop: Header=BB296_13 Depth=1
	s_delay_alu instid0(SALU_CYCLE_1) | instskip(SKIP_2) | instid1(VALU_DEP_1)
	s_or_b32 exec_lo, exec_lo, s20
	v_lshrrev_b16 v7, 8, v118
	s_mov_b32 s20, exec_lo
	v_cmpx_ne_u16_e32 0, v7
	s_cbranch_execz .LBB296_176
; %bb.169:                              ;   in Loop: Header=BB296_13 Depth=1
	v_bfrev_b32_e32 v116, 1
	s_mov_b32 s21, exec_lo
	v_cmpx_ne_u16_e32 0x80, v7
	s_cbranch_execz .LBB296_175
; %bb.170:                              ;   in Loop: Header=BB296_13 Depth=1
	v_and_b32_e32 v118, 0xffff, v7
	v_mov_b32_e32 v116, 0x7fc02000
	s_mov_b32 s22, exec_lo
	s_delay_alu instid0(VALU_DEP_2) | instskip(NEXT) | instid1(VALU_DEP_1)
	v_and_b32_e32 v119, 0x7f, v118
	v_cmpx_ne_u32_e32 0x7f, v119
	s_cbranch_execz .LBB296_174
; %bb.171:                              ;   in Loop: Header=BB296_13 Depth=1
	v_and_b32_e32 v7, 7, v118
	v_lshrrev_b32_e32 v116, 3, v119
	s_mov_b32 s23, exec_lo
	v_cmpx_gt_u32_e32 8, v119
; %bb.172:                              ;   in Loop: Header=BB296_13 Depth=1
	s_delay_alu instid0(VALU_DEP_3) | instskip(NEXT) | instid1(VALU_DEP_1)
	v_clz_i32_u32_e32 v116, v7
	v_min_u32_e32 v116, 32, v116
	s_delay_alu instid0(VALU_DEP_1) | instskip(SKIP_1) | instid1(VALU_DEP_2)
	v_subrev_nc_u32_e32 v119, 28, v116
	v_sub_nc_u32_e32 v116, 29, v116
	v_lshlrev_b64 v[128:129], v119, v[7:8]
	s_delay_alu instid0(VALU_DEP_1)
	v_and_b32_e32 v7, 7, v128
; %bb.173:                              ;   in Loop: Header=BB296_13 Depth=1
	s_or_b32 exec_lo, exec_lo, s23
	v_lshlrev_b32_e32 v118, 8, v118
	v_lshl_add_u32 v116, v116, 10, 0x2000
	s_delay_alu instid0(VALU_DEP_1) | instskip(NEXT) | instid1(VALU_DEP_1)
	v_and_or_b32 v116, 0x8000, v118, v116
	v_lshl_or_b32 v7, v7, 7, v116
	s_delay_alu instid0(VALU_DEP_1)
	v_cvt_f32_f16_e32 v116, v7
.LBB296_174:                            ;   in Loop: Header=BB296_13 Depth=1
	s_or_b32 exec_lo, exec_lo, s22
.LBB296_175:                            ;   in Loop: Header=BB296_13 Depth=1
	s_delay_alu instid0(SALU_CYCLE_1)
	s_or_b32 exec_lo, exec_lo, s21
.LBB296_176:                            ;   in Loop: Header=BB296_13 Depth=1
	s_delay_alu instid0(SALU_CYCLE_1) | instskip(SKIP_4) | instid1(VALU_DEP_2)
	s_or_b32 exec_lo, exec_lo, s20
	flat_load_u16 v7, v[31:32] offset:640
	s_waitcnt vmcnt(0) lgkmcnt(0)
	v_dual_mov_b32 v118, 0 :: v_dual_and_b32 v119, 0xff, v7
	v_and_b32_e32 v128, 0xffff, v7
	v_cmp_ne_u16_e64 s2, 0, v119
	v_mov_b32_e32 v119, 0
	s_delay_alu instid0(VALU_DEP_2)
	s_and_saveexec_b32 s20, s2
	s_cbranch_execz .LBB296_184
; %bb.177:                              ;   in Loop: Header=BB296_13 Depth=1
	v_and_b32_e32 v7, 0xff, v128
	v_bfrev_b32_e32 v119, 1
	s_mov_b32 s21, exec_lo
	s_delay_alu instid0(VALU_DEP_2)
	v_cmpx_ne_u16_e32 0x80, v7
	s_cbranch_execz .LBB296_183
; %bb.178:                              ;   in Loop: Header=BB296_13 Depth=1
	v_and_b32_e32 v129, 0x7f, v128
	v_mov_b32_e32 v119, 0x7fc02000
	s_mov_b32 s22, exec_lo
	s_delay_alu instid0(VALU_DEP_2)
	v_cmpx_ne_u32_e32 0x7f, v129
	s_cbranch_execz .LBB296_182
; %bb.179:                              ;   in Loop: Header=BB296_13 Depth=1
	v_and_b32_e32 v7, 7, v128
	v_lshrrev_b32_e32 v119, 3, v129
	s_mov_b32 s23, exec_lo
	v_cmpx_gt_u32_e32 8, v129
; %bb.180:                              ;   in Loop: Header=BB296_13 Depth=1
	s_delay_alu instid0(VALU_DEP_3) | instskip(NEXT) | instid1(VALU_DEP_1)
	v_clz_i32_u32_e32 v119, v7
	v_min_u32_e32 v119, 32, v119
	s_delay_alu instid0(VALU_DEP_1) | instskip(SKIP_1) | instid1(VALU_DEP_2)
	v_subrev_nc_u32_e32 v129, 28, v119
	v_sub_nc_u32_e32 v119, 29, v119
	v_lshlrev_b64 v[129:130], v129, v[7:8]
	s_delay_alu instid0(VALU_DEP_1)
	v_and_b32_e32 v7, 7, v129
; %bb.181:                              ;   in Loop: Header=BB296_13 Depth=1
	s_or_b32 exec_lo, exec_lo, s23
	v_lshlrev_b32_e32 v129, 8, v128
	v_lshl_add_u32 v119, v119, 10, 0x2000
	s_delay_alu instid0(VALU_DEP_1) | instskip(NEXT) | instid1(VALU_DEP_1)
	v_and_or_b32 v119, 0x8000, v129, v119
	v_lshl_or_b32 v7, v7, 7, v119
	s_delay_alu instid0(VALU_DEP_1)
	v_cvt_f32_f16_e32 v119, v7
.LBB296_182:                            ;   in Loop: Header=BB296_13 Depth=1
	s_or_b32 exec_lo, exec_lo, s22
.LBB296_183:                            ;   in Loop: Header=BB296_13 Depth=1
	s_delay_alu instid0(SALU_CYCLE_1)
	s_or_b32 exec_lo, exec_lo, s21
.LBB296_184:                            ;   in Loop: Header=BB296_13 Depth=1
	s_delay_alu instid0(SALU_CYCLE_1) | instskip(SKIP_2) | instid1(VALU_DEP_1)
	s_or_b32 exec_lo, exec_lo, s20
	v_lshrrev_b16 v7, 8, v128
	s_mov_b32 s20, exec_lo
	v_cmpx_ne_u16_e32 0, v7
	s_cbranch_execz .LBB296_192
; %bb.185:                              ;   in Loop: Header=BB296_13 Depth=1
	v_bfrev_b32_e32 v118, 1
	s_mov_b32 s21, exec_lo
	v_cmpx_ne_u16_e32 0x80, v7
	s_cbranch_execz .LBB296_191
; %bb.186:                              ;   in Loop: Header=BB296_13 Depth=1
	v_and_b32_e32 v128, 0xffff, v7
	v_mov_b32_e32 v118, 0x7fc02000
	s_mov_b32 s22, exec_lo
	s_delay_alu instid0(VALU_DEP_2) | instskip(NEXT) | instid1(VALU_DEP_1)
	v_and_b32_e32 v129, 0x7f, v128
	v_cmpx_ne_u32_e32 0x7f, v129
	s_cbranch_execz .LBB296_190
; %bb.187:                              ;   in Loop: Header=BB296_13 Depth=1
	v_and_b32_e32 v7, 7, v128
	v_lshrrev_b32_e32 v118, 3, v129
	s_mov_b32 s23, exec_lo
	v_cmpx_gt_u32_e32 8, v129
; %bb.188:                              ;   in Loop: Header=BB296_13 Depth=1
	s_delay_alu instid0(VALU_DEP_3) | instskip(NEXT) | instid1(VALU_DEP_1)
	v_clz_i32_u32_e32 v118, v7
	v_min_u32_e32 v118, 32, v118
	s_delay_alu instid0(VALU_DEP_1) | instskip(SKIP_1) | instid1(VALU_DEP_2)
	v_subrev_nc_u32_e32 v129, 28, v118
	v_sub_nc_u32_e32 v118, 29, v118
	v_lshlrev_b64 v[129:130], v129, v[7:8]
	s_delay_alu instid0(VALU_DEP_1)
	v_and_b32_e32 v7, 7, v129
; %bb.189:                              ;   in Loop: Header=BB296_13 Depth=1
	s_or_b32 exec_lo, exec_lo, s23
	v_lshlrev_b32_e32 v128, 8, v128
	v_lshl_add_u32 v118, v118, 10, 0x2000
	s_delay_alu instid0(VALU_DEP_1) | instskip(NEXT) | instid1(VALU_DEP_1)
	v_and_or_b32 v118, 0x8000, v128, v118
	v_lshl_or_b32 v7, v7, 7, v118
	s_delay_alu instid0(VALU_DEP_1)
	v_cvt_f32_f16_e32 v118, v7
.LBB296_190:                            ;   in Loop: Header=BB296_13 Depth=1
	s_or_b32 exec_lo, exec_lo, s22
.LBB296_191:                            ;   in Loop: Header=BB296_13 Depth=1
	s_delay_alu instid0(SALU_CYCLE_1)
	s_or_b32 exec_lo, exec_lo, s21
.LBB296_192:                            ;   in Loop: Header=BB296_13 Depth=1
	s_delay_alu instid0(SALU_CYCLE_1) | instskip(SKIP_4) | instid1(VALU_DEP_2)
	s_or_b32 exec_lo, exec_lo, s20
	flat_load_u16 v7, v[31:32] offset:648
	s_waitcnt vmcnt(0) lgkmcnt(0)
	v_dual_mov_b32 v128, 0 :: v_dual_and_b32 v129, 0xff, v7
	v_and_b32_e32 v130, 0xffff, v7
	v_cmp_ne_u16_e64 s2, 0, v129
	v_mov_b32_e32 v129, 0
	s_delay_alu instid0(VALU_DEP_2)
	s_and_saveexec_b32 s20, s2
	s_cbranch_execz .LBB296_200
; %bb.193:                              ;   in Loop: Header=BB296_13 Depth=1
	v_and_b32_e32 v7, 0xff, v130
	v_bfrev_b32_e32 v129, 1
	s_mov_b32 s21, exec_lo
	s_delay_alu instid0(VALU_DEP_2)
	v_cmpx_ne_u16_e32 0x80, v7
	s_cbranch_execz .LBB296_199
; %bb.194:                              ;   in Loop: Header=BB296_13 Depth=1
	v_and_b32_e32 v131, 0x7f, v130
	v_mov_b32_e32 v129, 0x7fc02000
	s_mov_b32 s22, exec_lo
	s_delay_alu instid0(VALU_DEP_2)
	v_cmpx_ne_u32_e32 0x7f, v131
	s_cbranch_execz .LBB296_198
; %bb.195:                              ;   in Loop: Header=BB296_13 Depth=1
	v_and_b32_e32 v7, 7, v130
	v_lshrrev_b32_e32 v129, 3, v131
	s_mov_b32 s23, exec_lo
	v_cmpx_gt_u32_e32 8, v131
; %bb.196:                              ;   in Loop: Header=BB296_13 Depth=1
	s_delay_alu instid0(VALU_DEP_3) | instskip(NEXT) | instid1(VALU_DEP_1)
	v_clz_i32_u32_e32 v129, v7
	v_min_u32_e32 v129, 32, v129
	s_delay_alu instid0(VALU_DEP_1) | instskip(SKIP_1) | instid1(VALU_DEP_2)
	v_subrev_nc_u32_e32 v131, 28, v129
	v_sub_nc_u32_e32 v129, 29, v129
	v_lshlrev_b64 v[131:132], v131, v[7:8]
	s_delay_alu instid0(VALU_DEP_1)
	v_and_b32_e32 v7, 7, v131
; %bb.197:                              ;   in Loop: Header=BB296_13 Depth=1
	s_or_b32 exec_lo, exec_lo, s23
	v_lshlrev_b32_e32 v131, 8, v130
	v_lshl_add_u32 v129, v129, 10, 0x2000
	s_delay_alu instid0(VALU_DEP_1) | instskip(NEXT) | instid1(VALU_DEP_1)
	v_and_or_b32 v129, 0x8000, v131, v129
	v_lshl_or_b32 v7, v7, 7, v129
	s_delay_alu instid0(VALU_DEP_1)
	v_cvt_f32_f16_e64 v129, v7
.LBB296_198:                            ;   in Loop: Header=BB296_13 Depth=1
	s_or_b32 exec_lo, exec_lo, s22
.LBB296_199:                            ;   in Loop: Header=BB296_13 Depth=1
	s_delay_alu instid0(SALU_CYCLE_1)
	s_or_b32 exec_lo, exec_lo, s21
.LBB296_200:                            ;   in Loop: Header=BB296_13 Depth=1
	s_delay_alu instid0(SALU_CYCLE_1) | instskip(SKIP_2) | instid1(VALU_DEP_1)
	s_or_b32 exec_lo, exec_lo, s20
	v_lshrrev_b16 v7, 8, v130
	s_mov_b32 s20, exec_lo
	v_cmpx_ne_u16_e32 0, v7
	s_cbranch_execz .LBB296_208
; %bb.201:                              ;   in Loop: Header=BB296_13 Depth=1
	v_bfrev_b32_e32 v128, 1
	s_mov_b32 s21, exec_lo
	v_cmpx_ne_u16_e32 0x80, v7
	s_cbranch_execz .LBB296_207
; %bb.202:                              ;   in Loop: Header=BB296_13 Depth=1
	v_and_b32_e32 v130, 0xffff, v7
	v_mov_b32_e32 v128, 0x7fc02000
	s_mov_b32 s22, exec_lo
	s_delay_alu instid0(VALU_DEP_2) | instskip(NEXT) | instid1(VALU_DEP_1)
	v_and_b32_e32 v131, 0x7f, v130
	v_cmpx_ne_u32_e32 0x7f, v131
	s_cbranch_execz .LBB296_206
; %bb.203:                              ;   in Loop: Header=BB296_13 Depth=1
	v_and_b32_e32 v7, 7, v130
	v_lshrrev_b32_e32 v128, 3, v131
	s_mov_b32 s23, exec_lo
	v_cmpx_gt_u32_e32 8, v131
; %bb.204:                              ;   in Loop: Header=BB296_13 Depth=1
	s_delay_alu instid0(VALU_DEP_3) | instskip(NEXT) | instid1(VALU_DEP_1)
	v_clz_i32_u32_e32 v128, v7
	v_min_u32_e32 v128, 32, v128
	s_delay_alu instid0(VALU_DEP_1) | instskip(SKIP_1) | instid1(VALU_DEP_2)
	v_subrev_nc_u32_e32 v131, 28, v128
	v_sub_nc_u32_e32 v128, 29, v128
	v_lshlrev_b64 v[131:132], v131, v[7:8]
	s_delay_alu instid0(VALU_DEP_1)
	v_and_b32_e32 v7, 7, v131
; %bb.205:                              ;   in Loop: Header=BB296_13 Depth=1
	s_or_b32 exec_lo, exec_lo, s23
	v_lshlrev_b32_e32 v130, 8, v130
	v_lshl_add_u32 v128, v128, 10, 0x2000
	s_delay_alu instid0(VALU_DEP_1) | instskip(NEXT) | instid1(VALU_DEP_1)
	v_and_or_b32 v128, 0x8000, v130, v128
	v_lshl_or_b32 v7, v7, 7, v128
	s_delay_alu instid0(VALU_DEP_1)
	v_cvt_f32_f16_e64 v128, v7
.LBB296_206:                            ;   in Loop: Header=BB296_13 Depth=1
	s_or_b32 exec_lo, exec_lo, s22
.LBB296_207:                            ;   in Loop: Header=BB296_13 Depth=1
	s_delay_alu instid0(SALU_CYCLE_1)
	s_or_b32 exec_lo, exec_lo, s21
.LBB296_208:                            ;   in Loop: Header=BB296_13 Depth=1
	s_delay_alu instid0(SALU_CYCLE_1) | instskip(SKIP_4) | instid1(VALU_DEP_2)
	s_or_b32 exec_lo, exec_lo, s20
	flat_load_u16 v7, v[31:32] offset:768
	s_waitcnt vmcnt(0) lgkmcnt(0)
	v_dual_mov_b32 v130, 0 :: v_dual_and_b32 v131, 0xff, v7
	v_and_b32_e32 v132, 0xffff, v7
	v_cmp_ne_u16_e64 s2, 0, v131
	v_mov_b32_e32 v131, 0
	s_delay_alu instid0(VALU_DEP_2)
	s_and_saveexec_b32 s20, s2
	s_cbranch_execz .LBB296_216
; %bb.209:                              ;   in Loop: Header=BB296_13 Depth=1
	v_and_b32_e32 v7, 0xff, v132
	v_bfrev_b32_e32 v131, 1
	s_mov_b32 s21, exec_lo
	s_delay_alu instid0(VALU_DEP_2)
	v_cmpx_ne_u16_e32 0x80, v7
	s_cbranch_execz .LBB296_215
; %bb.210:                              ;   in Loop: Header=BB296_13 Depth=1
	v_and_b32_e32 v133, 0x7f, v132
	v_mov_b32_e32 v131, 0x7fc02000
	s_mov_b32 s22, exec_lo
	s_delay_alu instid0(VALU_DEP_2)
	v_cmpx_ne_u32_e32 0x7f, v133
	s_cbranch_execz .LBB296_214
; %bb.211:                              ;   in Loop: Header=BB296_13 Depth=1
	v_and_b32_e32 v7, 7, v132
	v_lshrrev_b32_e32 v131, 3, v133
	s_mov_b32 s23, exec_lo
	v_cmpx_gt_u32_e32 8, v133
; %bb.212:                              ;   in Loop: Header=BB296_13 Depth=1
	s_delay_alu instid0(VALU_DEP_3) | instskip(NEXT) | instid1(VALU_DEP_1)
	v_clz_i32_u32_e32 v131, v7
	v_min_u32_e32 v131, 32, v131
	s_delay_alu instid0(VALU_DEP_1) | instskip(SKIP_1) | instid1(VALU_DEP_2)
	v_subrev_nc_u32_e32 v133, 28, v131
	v_sub_nc_u32_e32 v131, 29, v131
	v_lshlrev_b64 v[133:134], v133, v[7:8]
	s_delay_alu instid0(VALU_DEP_1)
	v_and_b32_e32 v7, 7, v133
; %bb.213:                              ;   in Loop: Header=BB296_13 Depth=1
	s_or_b32 exec_lo, exec_lo, s23
	v_lshlrev_b32_e32 v133, 8, v132
	v_lshl_add_u32 v131, v131, 10, 0x2000
	s_delay_alu instid0(VALU_DEP_1) | instskip(NEXT) | instid1(VALU_DEP_1)
	v_and_or_b32 v131, 0x8000, v133, v131
	v_lshl_or_b32 v7, v7, 7, v131
	s_delay_alu instid0(VALU_DEP_1)
	v_cvt_f32_f16_e64 v131, v7
.LBB296_214:                            ;   in Loop: Header=BB296_13 Depth=1
	s_or_b32 exec_lo, exec_lo, s22
.LBB296_215:                            ;   in Loop: Header=BB296_13 Depth=1
	s_delay_alu instid0(SALU_CYCLE_1)
	s_or_b32 exec_lo, exec_lo, s21
.LBB296_216:                            ;   in Loop: Header=BB296_13 Depth=1
	s_delay_alu instid0(SALU_CYCLE_1) | instskip(SKIP_2) | instid1(VALU_DEP_1)
	s_or_b32 exec_lo, exec_lo, s20
	v_lshrrev_b16 v7, 8, v132
	s_mov_b32 s20, exec_lo
	v_cmpx_ne_u16_e32 0, v7
	s_cbranch_execz .LBB296_224
; %bb.217:                              ;   in Loop: Header=BB296_13 Depth=1
	v_bfrev_b32_e32 v130, 1
	s_mov_b32 s21, exec_lo
	v_cmpx_ne_u16_e32 0x80, v7
	s_cbranch_execz .LBB296_223
; %bb.218:                              ;   in Loop: Header=BB296_13 Depth=1
	v_and_b32_e32 v132, 0xffff, v7
	v_mov_b32_e32 v130, 0x7fc02000
	s_mov_b32 s22, exec_lo
	s_delay_alu instid0(VALU_DEP_2) | instskip(NEXT) | instid1(VALU_DEP_1)
	v_and_b32_e32 v133, 0x7f, v132
	v_cmpx_ne_u32_e32 0x7f, v133
	s_cbranch_execz .LBB296_222
; %bb.219:                              ;   in Loop: Header=BB296_13 Depth=1
	v_and_b32_e32 v7, 7, v132
	v_lshrrev_b32_e32 v130, 3, v133
	s_mov_b32 s23, exec_lo
	v_cmpx_gt_u32_e32 8, v133
; %bb.220:                              ;   in Loop: Header=BB296_13 Depth=1
	s_delay_alu instid0(VALU_DEP_3) | instskip(NEXT) | instid1(VALU_DEP_1)
	v_clz_i32_u32_e32 v130, v7
	v_min_u32_e32 v130, 32, v130
	s_delay_alu instid0(VALU_DEP_1) | instskip(SKIP_1) | instid1(VALU_DEP_2)
	v_subrev_nc_u32_e32 v133, 28, v130
	v_sub_nc_u32_e32 v130, 29, v130
	v_lshlrev_b64 v[133:134], v133, v[7:8]
	s_delay_alu instid0(VALU_DEP_1)
	v_and_b32_e32 v7, 7, v133
; %bb.221:                              ;   in Loop: Header=BB296_13 Depth=1
	s_or_b32 exec_lo, exec_lo, s23
	v_lshlrev_b32_e32 v132, 8, v132
	v_lshl_add_u32 v130, v130, 10, 0x2000
	s_delay_alu instid0(VALU_DEP_1) | instskip(NEXT) | instid1(VALU_DEP_1)
	v_and_or_b32 v130, 0x8000, v132, v130
	v_lshl_or_b32 v7, v7, 7, v130
	s_delay_alu instid0(VALU_DEP_1)
	v_cvt_f32_f16_e64 v130, v7
.LBB296_222:                            ;   in Loop: Header=BB296_13 Depth=1
	s_or_b32 exec_lo, exec_lo, s22
.LBB296_223:                            ;   in Loop: Header=BB296_13 Depth=1
	s_delay_alu instid0(SALU_CYCLE_1)
	s_or_b32 exec_lo, exec_lo, s21
.LBB296_224:                            ;   in Loop: Header=BB296_13 Depth=1
	s_delay_alu instid0(SALU_CYCLE_1) | instskip(SKIP_4) | instid1(VALU_DEP_2)
	s_or_b32 exec_lo, exec_lo, s20
	flat_load_u16 v7, v[31:32] offset:776
	s_waitcnt vmcnt(0) lgkmcnt(0)
	v_dual_mov_b32 v132, 0 :: v_dual_and_b32 v133, 0xff, v7
	v_and_b32_e32 v134, 0xffff, v7
	v_cmp_ne_u16_e64 s2, 0, v133
	v_mov_b32_e32 v133, 0
	s_delay_alu instid0(VALU_DEP_2)
	s_and_saveexec_b32 s20, s2
	s_cbranch_execz .LBB296_232
; %bb.225:                              ;   in Loop: Header=BB296_13 Depth=1
	v_and_b32_e32 v7, 0xff, v134
	v_bfrev_b32_e32 v133, 1
	s_mov_b32 s21, exec_lo
	s_delay_alu instid0(VALU_DEP_2)
	v_cmpx_ne_u16_e32 0x80, v7
	s_cbranch_execz .LBB296_231
; %bb.226:                              ;   in Loop: Header=BB296_13 Depth=1
	v_and_b32_e32 v135, 0x7f, v134
	v_mov_b32_e32 v133, 0x7fc02000
	s_mov_b32 s22, exec_lo
	s_delay_alu instid0(VALU_DEP_2)
	v_cmpx_ne_u32_e32 0x7f, v135
	s_cbranch_execz .LBB296_230
; %bb.227:                              ;   in Loop: Header=BB296_13 Depth=1
	v_and_b32_e32 v7, 7, v134
	v_lshrrev_b32_e32 v133, 3, v135
	s_mov_b32 s23, exec_lo
	v_cmpx_gt_u32_e32 8, v135
; %bb.228:                              ;   in Loop: Header=BB296_13 Depth=1
	s_delay_alu instid0(VALU_DEP_3) | instskip(NEXT) | instid1(VALU_DEP_1)
	v_clz_i32_u32_e32 v133, v7
	v_min_u32_e32 v133, 32, v133
	s_delay_alu instid0(VALU_DEP_1) | instskip(SKIP_1) | instid1(VALU_DEP_2)
	v_subrev_nc_u32_e32 v135, 28, v133
	v_sub_nc_u32_e32 v133, 29, v133
	v_lshlrev_b64 v[144:145], v135, v[7:8]
	s_delay_alu instid0(VALU_DEP_1)
	v_and_b32_e32 v7, 7, v144
; %bb.229:                              ;   in Loop: Header=BB296_13 Depth=1
	s_or_b32 exec_lo, exec_lo, s23
	v_lshlrev_b32_e32 v135, 8, v134
	v_lshl_add_u32 v133, v133, 10, 0x2000
	s_delay_alu instid0(VALU_DEP_1) | instskip(NEXT) | instid1(VALU_DEP_1)
	v_and_or_b32 v133, 0x8000, v135, v133
	v_lshl_or_b32 v7, v7, 7, v133
	s_delay_alu instid0(VALU_DEP_1)
	v_cvt_f32_f16_e64 v133, v7
.LBB296_230:                            ;   in Loop: Header=BB296_13 Depth=1
	s_or_b32 exec_lo, exec_lo, s22
.LBB296_231:                            ;   in Loop: Header=BB296_13 Depth=1
	s_delay_alu instid0(SALU_CYCLE_1)
	s_or_b32 exec_lo, exec_lo, s21
.LBB296_232:                            ;   in Loop: Header=BB296_13 Depth=1
	s_delay_alu instid0(SALU_CYCLE_1) | instskip(SKIP_2) | instid1(VALU_DEP_1)
	s_or_b32 exec_lo, exec_lo, s20
	v_lshrrev_b16 v7, 8, v134
	s_mov_b32 s20, exec_lo
	v_cmpx_ne_u16_e32 0, v7
	s_cbranch_execz .LBB296_240
; %bb.233:                              ;   in Loop: Header=BB296_13 Depth=1
	v_bfrev_b32_e32 v132, 1
	s_mov_b32 s21, exec_lo
	v_cmpx_ne_u16_e32 0x80, v7
	s_cbranch_execz .LBB296_239
; %bb.234:                              ;   in Loop: Header=BB296_13 Depth=1
	v_and_b32_e32 v134, 0xffff, v7
	v_mov_b32_e32 v132, 0x7fc02000
	s_mov_b32 s22, exec_lo
	s_delay_alu instid0(VALU_DEP_2) | instskip(NEXT) | instid1(VALU_DEP_1)
	v_and_b32_e32 v135, 0x7f, v134
	v_cmpx_ne_u32_e32 0x7f, v135
	s_cbranch_execz .LBB296_238
; %bb.235:                              ;   in Loop: Header=BB296_13 Depth=1
	v_and_b32_e32 v7, 7, v134
	v_lshrrev_b32_e32 v132, 3, v135
	s_mov_b32 s23, exec_lo
	v_cmpx_gt_u32_e32 8, v135
; %bb.236:                              ;   in Loop: Header=BB296_13 Depth=1
	s_delay_alu instid0(VALU_DEP_3) | instskip(NEXT) | instid1(VALU_DEP_1)
	v_clz_i32_u32_e32 v132, v7
	v_min_u32_e32 v132, 32, v132
	s_delay_alu instid0(VALU_DEP_1) | instskip(SKIP_1) | instid1(VALU_DEP_2)
	v_subrev_nc_u32_e32 v135, 28, v132
	v_sub_nc_u32_e32 v132, 29, v132
	v_lshlrev_b64 v[144:145], v135, v[7:8]
	s_delay_alu instid0(VALU_DEP_1)
	v_and_b32_e32 v7, 7, v144
; %bb.237:                              ;   in Loop: Header=BB296_13 Depth=1
	s_or_b32 exec_lo, exec_lo, s23
	v_lshlrev_b32_e32 v134, 8, v134
	v_lshl_add_u32 v132, v132, 10, 0x2000
	s_delay_alu instid0(VALU_DEP_1) | instskip(NEXT) | instid1(VALU_DEP_1)
	v_and_or_b32 v132, 0x8000, v134, v132
	v_lshl_or_b32 v7, v7, 7, v132
	s_delay_alu instid0(VALU_DEP_1)
	v_cvt_f32_f16_e64 v132, v7
.LBB296_238:                            ;   in Loop: Header=BB296_13 Depth=1
	s_or_b32 exec_lo, exec_lo, s22
.LBB296_239:                            ;   in Loop: Header=BB296_13 Depth=1
	s_delay_alu instid0(SALU_CYCLE_1)
	s_or_b32 exec_lo, exec_lo, s21
.LBB296_240:                            ;   in Loop: Header=BB296_13 Depth=1
	s_delay_alu instid0(SALU_CYCLE_1) | instskip(SKIP_4) | instid1(VALU_DEP_2)
	s_or_b32 exec_lo, exec_lo, s20
	flat_load_u16 v7, v[31:32] offset:896
	s_waitcnt vmcnt(0) lgkmcnt(0)
	v_dual_mov_b32 v134, 0 :: v_dual_and_b32 v135, 0xff, v7
	v_and_b32_e32 v144, 0xffff, v7
	v_cmp_ne_u16_e64 s2, 0, v135
	v_mov_b32_e32 v135, 0
	s_delay_alu instid0(VALU_DEP_2)
	s_and_saveexec_b32 s20, s2
	s_cbranch_execz .LBB296_248
; %bb.241:                              ;   in Loop: Header=BB296_13 Depth=1
	v_and_b32_e32 v7, 0xff, v144
	v_bfrev_b32_e32 v135, 1
	s_mov_b32 s21, exec_lo
	s_delay_alu instid0(VALU_DEP_2)
	v_cmpx_ne_u16_e32 0x80, v7
	s_cbranch_execz .LBB296_247
; %bb.242:                              ;   in Loop: Header=BB296_13 Depth=1
	v_and_b32_e32 v145, 0x7f, v144
	v_mov_b32_e32 v135, 0x7fc02000
	s_mov_b32 s22, exec_lo
	s_delay_alu instid0(VALU_DEP_2)
	v_cmpx_ne_u32_e32 0x7f, v145
	s_cbranch_execz .LBB296_246
; %bb.243:                              ;   in Loop: Header=BB296_13 Depth=1
	v_and_b32_e32 v7, 7, v144
	v_lshrrev_b32_e32 v135, 3, v145
	s_mov_b32 s23, exec_lo
	v_cmpx_gt_u32_e32 8, v145
; %bb.244:                              ;   in Loop: Header=BB296_13 Depth=1
	s_delay_alu instid0(VALU_DEP_3) | instskip(NEXT) | instid1(VALU_DEP_1)
	v_clz_i32_u32_e32 v135, v7
	v_min_u32_e32 v135, 32, v135
	s_delay_alu instid0(VALU_DEP_1) | instskip(SKIP_1) | instid1(VALU_DEP_2)
	v_subrev_nc_u32_e32 v145, 28, v135
	v_sub_nc_u32_e32 v135, 29, v135
	v_lshlrev_b64 v[145:146], v145, v[7:8]
	s_delay_alu instid0(VALU_DEP_1)
	v_and_b32_e32 v7, 7, v145
; %bb.245:                              ;   in Loop: Header=BB296_13 Depth=1
	s_or_b32 exec_lo, exec_lo, s23
	v_lshlrev_b32_e32 v145, 8, v144
	v_lshl_add_u32 v135, v135, 10, 0x2000
	s_delay_alu instid0(VALU_DEP_1) | instskip(NEXT) | instid1(VALU_DEP_1)
	v_and_or_b32 v135, 0x8000, v145, v135
	v_lshl_or_b32 v7, v7, 7, v135
	s_delay_alu instid0(VALU_DEP_1)
	v_cvt_f32_f16_e64 v135, v7
.LBB296_246:                            ;   in Loop: Header=BB296_13 Depth=1
	s_or_b32 exec_lo, exec_lo, s22
.LBB296_247:                            ;   in Loop: Header=BB296_13 Depth=1
	s_delay_alu instid0(SALU_CYCLE_1)
	s_or_b32 exec_lo, exec_lo, s21
.LBB296_248:                            ;   in Loop: Header=BB296_13 Depth=1
	s_delay_alu instid0(SALU_CYCLE_1) | instskip(SKIP_2) | instid1(VALU_DEP_1)
	s_or_b32 exec_lo, exec_lo, s20
	v_lshrrev_b16 v7, 8, v144
	s_mov_b32 s20, exec_lo
	v_cmpx_ne_u16_e32 0, v7
	s_cbranch_execz .LBB296_256
; %bb.249:                              ;   in Loop: Header=BB296_13 Depth=1
	v_bfrev_b32_e32 v134, 1
	s_mov_b32 s21, exec_lo
	v_cmpx_ne_u16_e32 0x80, v7
	s_cbranch_execz .LBB296_255
; %bb.250:                              ;   in Loop: Header=BB296_13 Depth=1
	v_and_b32_e32 v144, 0xffff, v7
	v_mov_b32_e32 v134, 0x7fc02000
	s_mov_b32 s22, exec_lo
	s_delay_alu instid0(VALU_DEP_2) | instskip(NEXT) | instid1(VALU_DEP_1)
	v_and_b32_e32 v145, 0x7f, v144
	v_cmpx_ne_u32_e32 0x7f, v145
	s_cbranch_execz .LBB296_254
; %bb.251:                              ;   in Loop: Header=BB296_13 Depth=1
	v_and_b32_e32 v7, 7, v144
	v_lshrrev_b32_e32 v134, 3, v145
	s_mov_b32 s23, exec_lo
	v_cmpx_gt_u32_e32 8, v145
; %bb.252:                              ;   in Loop: Header=BB296_13 Depth=1
	s_delay_alu instid0(VALU_DEP_3) | instskip(NEXT) | instid1(VALU_DEP_1)
	v_clz_i32_u32_e32 v134, v7
	v_min_u32_e32 v134, 32, v134
	s_delay_alu instid0(VALU_DEP_1) | instskip(SKIP_1) | instid1(VALU_DEP_2)
	v_subrev_nc_u32_e32 v145, 28, v134
	v_sub_nc_u32_e32 v134, 29, v134
	v_lshlrev_b64 v[145:146], v145, v[7:8]
	s_delay_alu instid0(VALU_DEP_1)
	v_and_b32_e32 v7, 7, v145
; %bb.253:                              ;   in Loop: Header=BB296_13 Depth=1
	s_or_b32 exec_lo, exec_lo, s23
	v_lshlrev_b32_e32 v144, 8, v144
	v_lshl_add_u32 v134, v134, 10, 0x2000
	s_delay_alu instid0(VALU_DEP_1) | instskip(NEXT) | instid1(VALU_DEP_1)
	v_and_or_b32 v134, 0x8000, v144, v134
	v_lshl_or_b32 v7, v7, 7, v134
	s_delay_alu instid0(VALU_DEP_1)
	v_cvt_f32_f16_e64 v134, v7
.LBB296_254:                            ;   in Loop: Header=BB296_13 Depth=1
	s_or_b32 exec_lo, exec_lo, s22
.LBB296_255:                            ;   in Loop: Header=BB296_13 Depth=1
	s_delay_alu instid0(SALU_CYCLE_1)
	s_or_b32 exec_lo, exec_lo, s21
.LBB296_256:                            ;   in Loop: Header=BB296_13 Depth=1
	s_delay_alu instid0(SALU_CYCLE_1) | instskip(SKIP_4) | instid1(VALU_DEP_2)
	s_or_b32 exec_lo, exec_lo, s20
	flat_load_u16 v7, v[31:32] offset:904
	s_waitcnt vmcnt(0) lgkmcnt(0)
	v_dual_mov_b32 v144, 0 :: v_dual_and_b32 v145, 0xff, v7
	v_and_b32_e32 v146, 0xffff, v7
	v_cmp_ne_u16_e64 s2, 0, v145
	v_mov_b32_e32 v145, 0
	s_delay_alu instid0(VALU_DEP_2)
	s_and_saveexec_b32 s20, s2
	s_cbranch_execz .LBB296_264
; %bb.257:                              ;   in Loop: Header=BB296_13 Depth=1
	v_and_b32_e32 v7, 0xff, v146
	v_bfrev_b32_e32 v145, 1
	s_mov_b32 s21, exec_lo
	s_delay_alu instid0(VALU_DEP_2)
	v_cmpx_ne_u16_e32 0x80, v7
	s_cbranch_execz .LBB296_263
; %bb.258:                              ;   in Loop: Header=BB296_13 Depth=1
	v_and_b32_e32 v147, 0x7f, v146
	v_mov_b32_e32 v145, 0x7fc02000
	s_mov_b32 s22, exec_lo
	s_delay_alu instid0(VALU_DEP_2)
	v_cmpx_ne_u32_e32 0x7f, v147
	s_cbranch_execz .LBB296_262
; %bb.259:                              ;   in Loop: Header=BB296_13 Depth=1
	v_and_b32_e32 v7, 7, v146
	v_lshrrev_b32_e32 v145, 3, v147
	s_mov_b32 s23, exec_lo
	v_cmpx_gt_u32_e32 8, v147
; %bb.260:                              ;   in Loop: Header=BB296_13 Depth=1
	s_delay_alu instid0(VALU_DEP_3) | instskip(NEXT) | instid1(VALU_DEP_1)
	v_clz_i32_u32_e32 v145, v7
	v_min_u32_e32 v145, 32, v145
	s_delay_alu instid0(VALU_DEP_1) | instskip(SKIP_1) | instid1(VALU_DEP_2)
	v_subrev_nc_u32_e32 v147, 28, v145
	v_sub_nc_u32_e32 v145, 29, v145
	v_lshlrev_b64 v[147:148], v147, v[7:8]
	s_delay_alu instid0(VALU_DEP_1)
	v_and_b32_e32 v7, 7, v147
; %bb.261:                              ;   in Loop: Header=BB296_13 Depth=1
	s_or_b32 exec_lo, exec_lo, s23
	v_lshlrev_b32_e32 v147, 8, v146
	v_lshl_add_u32 v145, v145, 10, 0x2000
	s_delay_alu instid0(VALU_DEP_1) | instskip(NEXT) | instid1(VALU_DEP_1)
	v_and_or_b32 v145, 0x8000, v147, v145
	v_lshl_or_b32 v7, v7, 7, v145
	s_delay_alu instid0(VALU_DEP_1)
	v_cvt_f32_f16_e64 v145, v7
.LBB296_262:                            ;   in Loop: Header=BB296_13 Depth=1
	s_or_b32 exec_lo, exec_lo, s22
.LBB296_263:                            ;   in Loop: Header=BB296_13 Depth=1
	s_delay_alu instid0(SALU_CYCLE_1)
	s_or_b32 exec_lo, exec_lo, s21
.LBB296_264:                            ;   in Loop: Header=BB296_13 Depth=1
	s_delay_alu instid0(SALU_CYCLE_1) | instskip(SKIP_2) | instid1(VALU_DEP_1)
	s_or_b32 exec_lo, exec_lo, s20
	v_lshrrev_b16 v7, 8, v146
	s_mov_b32 s20, exec_lo
	v_cmpx_ne_u16_e32 0, v7
	s_cbranch_execz .LBB296_272
; %bb.265:                              ;   in Loop: Header=BB296_13 Depth=1
	v_bfrev_b32_e32 v144, 1
	s_mov_b32 s21, exec_lo
	v_cmpx_ne_u16_e32 0x80, v7
	s_cbranch_execz .LBB296_271
; %bb.266:                              ;   in Loop: Header=BB296_13 Depth=1
	v_and_b32_e32 v146, 0xffff, v7
	v_mov_b32_e32 v144, 0x7fc02000
	s_mov_b32 s22, exec_lo
	s_delay_alu instid0(VALU_DEP_2) | instskip(NEXT) | instid1(VALU_DEP_1)
	v_and_b32_e32 v147, 0x7f, v146
	v_cmpx_ne_u32_e32 0x7f, v147
	s_cbranch_execz .LBB296_270
; %bb.267:                              ;   in Loop: Header=BB296_13 Depth=1
	v_and_b32_e32 v7, 7, v146
	v_lshrrev_b32_e32 v144, 3, v147
	s_mov_b32 s23, exec_lo
	v_cmpx_gt_u32_e32 8, v147
; %bb.268:                              ;   in Loop: Header=BB296_13 Depth=1
	s_delay_alu instid0(VALU_DEP_3) | instskip(NEXT) | instid1(VALU_DEP_1)
	v_clz_i32_u32_e32 v144, v7
	v_min_u32_e32 v144, 32, v144
	s_delay_alu instid0(VALU_DEP_1) | instskip(SKIP_1) | instid1(VALU_DEP_2)
	v_subrev_nc_u32_e32 v147, 28, v144
	v_sub_nc_u32_e32 v144, 29, v144
	v_lshlrev_b64 v[147:148], v147, v[7:8]
	s_delay_alu instid0(VALU_DEP_1)
	v_and_b32_e32 v7, 7, v147
; %bb.269:                              ;   in Loop: Header=BB296_13 Depth=1
	s_or_b32 exec_lo, exec_lo, s23
	v_lshlrev_b32_e32 v146, 8, v146
	v_lshl_add_u32 v144, v144, 10, 0x2000
	s_delay_alu instid0(VALU_DEP_1) | instskip(NEXT) | instid1(VALU_DEP_1)
	v_and_or_b32 v144, 0x8000, v146, v144
	v_lshl_or_b32 v7, v7, 7, v144
	s_delay_alu instid0(VALU_DEP_1)
	v_cvt_f32_f16_e64 v144, v7
.LBB296_270:                            ;   in Loop: Header=BB296_13 Depth=1
	s_or_b32 exec_lo, exec_lo, s22
.LBB296_271:                            ;   in Loop: Header=BB296_13 Depth=1
	s_delay_alu instid0(SALU_CYCLE_1)
	s_or_b32 exec_lo, exec_lo, s21
.LBB296_272:                            ;   in Loop: Header=BB296_13 Depth=1
	s_delay_alu instid0(SALU_CYCLE_1) | instskip(SKIP_4) | instid1(VALU_DEP_2)
	s_or_b32 exec_lo, exec_lo, s20
	flat_load_u16 v7, v[31:32] offset:1024
	s_waitcnt vmcnt(0) lgkmcnt(0)
	v_dual_mov_b32 v146, 0 :: v_dual_and_b32 v147, 0xff, v7
	v_and_b32_e32 v148, 0xffff, v7
	v_cmp_ne_u16_e64 s2, 0, v147
	v_mov_b32_e32 v147, 0
	s_delay_alu instid0(VALU_DEP_2)
	s_and_saveexec_b32 s20, s2
	s_cbranch_execz .LBB296_280
; %bb.273:                              ;   in Loop: Header=BB296_13 Depth=1
	v_and_b32_e32 v7, 0xff, v148
	v_bfrev_b32_e32 v147, 1
	s_mov_b32 s21, exec_lo
	s_delay_alu instid0(VALU_DEP_2)
	v_cmpx_ne_u16_e32 0x80, v7
	s_cbranch_execz .LBB296_279
; %bb.274:                              ;   in Loop: Header=BB296_13 Depth=1
	v_and_b32_e32 v149, 0x7f, v148
	v_mov_b32_e32 v147, 0x7fc02000
	s_mov_b32 s22, exec_lo
	s_delay_alu instid0(VALU_DEP_2)
	v_cmpx_ne_u32_e32 0x7f, v149
	s_cbranch_execz .LBB296_278
; %bb.275:                              ;   in Loop: Header=BB296_13 Depth=1
	v_and_b32_e32 v7, 7, v148
	v_lshrrev_b32_e32 v147, 3, v149
	s_mov_b32 s23, exec_lo
	v_cmpx_gt_u32_e32 8, v149
; %bb.276:                              ;   in Loop: Header=BB296_13 Depth=1
	s_delay_alu instid0(VALU_DEP_3) | instskip(NEXT) | instid1(VALU_DEP_1)
	v_clz_i32_u32_e32 v147, v7
	v_min_u32_e32 v147, 32, v147
	s_delay_alu instid0(VALU_DEP_1) | instskip(SKIP_1) | instid1(VALU_DEP_2)
	v_subrev_nc_u32_e32 v149, 28, v147
	v_sub_nc_u32_e32 v147, 29, v147
	v_lshlrev_b64 v[149:150], v149, v[7:8]
	s_delay_alu instid0(VALU_DEP_1)
	v_and_b32_e32 v7, 7, v149
; %bb.277:                              ;   in Loop: Header=BB296_13 Depth=1
	s_or_b32 exec_lo, exec_lo, s23
	v_lshlrev_b32_e32 v149, 8, v148
	v_lshl_add_u32 v147, v147, 10, 0x2000
	s_delay_alu instid0(VALU_DEP_1) | instskip(NEXT) | instid1(VALU_DEP_1)
	v_and_or_b32 v147, 0x8000, v149, v147
	v_lshl_or_b32 v7, v7, 7, v147
	s_delay_alu instid0(VALU_DEP_1)
	v_cvt_f32_f16_e64 v147, v7
.LBB296_278:                            ;   in Loop: Header=BB296_13 Depth=1
	s_or_b32 exec_lo, exec_lo, s22
.LBB296_279:                            ;   in Loop: Header=BB296_13 Depth=1
	s_delay_alu instid0(SALU_CYCLE_1)
	s_or_b32 exec_lo, exec_lo, s21
.LBB296_280:                            ;   in Loop: Header=BB296_13 Depth=1
	s_delay_alu instid0(SALU_CYCLE_1) | instskip(SKIP_2) | instid1(VALU_DEP_1)
	s_or_b32 exec_lo, exec_lo, s20
	v_lshrrev_b16 v7, 8, v148
	s_mov_b32 s20, exec_lo
	v_cmpx_ne_u16_e32 0, v7
	s_cbranch_execz .LBB296_288
; %bb.281:                              ;   in Loop: Header=BB296_13 Depth=1
	v_bfrev_b32_e32 v146, 1
	s_mov_b32 s21, exec_lo
	v_cmpx_ne_u16_e32 0x80, v7
	s_cbranch_execz .LBB296_287
; %bb.282:                              ;   in Loop: Header=BB296_13 Depth=1
	v_and_b32_e32 v148, 0xffff, v7
	v_mov_b32_e32 v146, 0x7fc02000
	s_mov_b32 s22, exec_lo
	s_delay_alu instid0(VALU_DEP_2) | instskip(NEXT) | instid1(VALU_DEP_1)
	v_and_b32_e32 v149, 0x7f, v148
	v_cmpx_ne_u32_e32 0x7f, v149
	s_cbranch_execz .LBB296_286
; %bb.283:                              ;   in Loop: Header=BB296_13 Depth=1
	v_and_b32_e32 v7, 7, v148
	v_lshrrev_b32_e32 v146, 3, v149
	s_mov_b32 s23, exec_lo
	v_cmpx_gt_u32_e32 8, v149
; %bb.284:                              ;   in Loop: Header=BB296_13 Depth=1
	s_delay_alu instid0(VALU_DEP_3) | instskip(NEXT) | instid1(VALU_DEP_1)
	v_clz_i32_u32_e32 v146, v7
	v_min_u32_e32 v146, 32, v146
	s_delay_alu instid0(VALU_DEP_1) | instskip(SKIP_1) | instid1(VALU_DEP_2)
	v_subrev_nc_u32_e32 v149, 28, v146
	v_sub_nc_u32_e32 v146, 29, v146
	v_lshlrev_b64 v[149:150], v149, v[7:8]
	s_delay_alu instid0(VALU_DEP_1)
	v_and_b32_e32 v7, 7, v149
; %bb.285:                              ;   in Loop: Header=BB296_13 Depth=1
	s_or_b32 exec_lo, exec_lo, s23
	v_lshlrev_b32_e32 v148, 8, v148
	v_lshl_add_u32 v146, v146, 10, 0x2000
	s_delay_alu instid0(VALU_DEP_1) | instskip(NEXT) | instid1(VALU_DEP_1)
	v_and_or_b32 v146, 0x8000, v148, v146
	v_lshl_or_b32 v7, v7, 7, v146
	s_delay_alu instid0(VALU_DEP_1)
	v_cvt_f32_f16_e64 v146, v7
.LBB296_286:                            ;   in Loop: Header=BB296_13 Depth=1
	s_or_b32 exec_lo, exec_lo, s22
.LBB296_287:                            ;   in Loop: Header=BB296_13 Depth=1
	s_delay_alu instid0(SALU_CYCLE_1)
	s_or_b32 exec_lo, exec_lo, s21
.LBB296_288:                            ;   in Loop: Header=BB296_13 Depth=1
	s_delay_alu instid0(SALU_CYCLE_1) | instskip(SKIP_4) | instid1(VALU_DEP_2)
	s_or_b32 exec_lo, exec_lo, s20
	flat_load_u16 v7, v[31:32] offset:1032
	s_waitcnt vmcnt(0) lgkmcnt(0)
	v_dual_mov_b32 v148, 0 :: v_dual_and_b32 v149, 0xff, v7
	v_and_b32_e32 v150, 0xffff, v7
	v_cmp_ne_u16_e64 s2, 0, v149
	v_mov_b32_e32 v149, 0
	s_delay_alu instid0(VALU_DEP_2)
	s_and_saveexec_b32 s20, s2
	s_cbranch_execz .LBB296_296
; %bb.289:                              ;   in Loop: Header=BB296_13 Depth=1
	v_and_b32_e32 v7, 0xff, v150
	v_bfrev_b32_e32 v149, 1
	s_mov_b32 s21, exec_lo
	s_delay_alu instid0(VALU_DEP_2)
	v_cmpx_ne_u16_e32 0x80, v7
	s_cbranch_execz .LBB296_295
; %bb.290:                              ;   in Loop: Header=BB296_13 Depth=1
	v_and_b32_e32 v151, 0x7f, v150
	v_mov_b32_e32 v149, 0x7fc02000
	s_mov_b32 s22, exec_lo
	s_delay_alu instid0(VALU_DEP_2)
	v_cmpx_ne_u32_e32 0x7f, v151
	s_cbranch_execz .LBB296_294
; %bb.291:                              ;   in Loop: Header=BB296_13 Depth=1
	v_and_b32_e32 v7, 7, v150
	v_lshrrev_b32_e32 v149, 3, v151
	s_mov_b32 s23, exec_lo
	v_cmpx_gt_u32_e32 8, v151
; %bb.292:                              ;   in Loop: Header=BB296_13 Depth=1
	s_delay_alu instid0(VALU_DEP_3) | instskip(NEXT) | instid1(VALU_DEP_1)
	v_clz_i32_u32_e32 v149, v7
	v_min_u32_e32 v149, 32, v149
	s_delay_alu instid0(VALU_DEP_1) | instskip(SKIP_1) | instid1(VALU_DEP_2)
	v_subrev_nc_u32_e32 v151, 28, v149
	v_sub_nc_u32_e32 v149, 29, v149
	v_lshlrev_b64 v[160:161], v151, v[7:8]
	s_delay_alu instid0(VALU_DEP_1)
	v_and_b32_e32 v7, 7, v160
; %bb.293:                              ;   in Loop: Header=BB296_13 Depth=1
	s_or_b32 exec_lo, exec_lo, s23
	v_lshlrev_b32_e32 v151, 8, v150
	v_lshl_add_u32 v149, v149, 10, 0x2000
	s_delay_alu instid0(VALU_DEP_1) | instskip(NEXT) | instid1(VALU_DEP_1)
	v_and_or_b32 v149, 0x8000, v151, v149
	v_lshl_or_b32 v7, v7, 7, v149
	s_delay_alu instid0(VALU_DEP_1)
	v_cvt_f32_f16_e64 v149, v7
.LBB296_294:                            ;   in Loop: Header=BB296_13 Depth=1
	s_or_b32 exec_lo, exec_lo, s22
.LBB296_295:                            ;   in Loop: Header=BB296_13 Depth=1
	s_delay_alu instid0(SALU_CYCLE_1)
	s_or_b32 exec_lo, exec_lo, s21
.LBB296_296:                            ;   in Loop: Header=BB296_13 Depth=1
	s_delay_alu instid0(SALU_CYCLE_1) | instskip(SKIP_2) | instid1(VALU_DEP_1)
	s_or_b32 exec_lo, exec_lo, s20
	v_lshrrev_b16 v7, 8, v150
	s_mov_b32 s20, exec_lo
	v_cmpx_ne_u16_e32 0, v7
	s_cbranch_execz .LBB296_304
; %bb.297:                              ;   in Loop: Header=BB296_13 Depth=1
	v_bfrev_b32_e32 v148, 1
	s_mov_b32 s21, exec_lo
	v_cmpx_ne_u16_e32 0x80, v7
	s_cbranch_execz .LBB296_303
; %bb.298:                              ;   in Loop: Header=BB296_13 Depth=1
	v_and_b32_e32 v150, 0xffff, v7
	v_mov_b32_e32 v148, 0x7fc02000
	s_mov_b32 s22, exec_lo
	s_delay_alu instid0(VALU_DEP_2) | instskip(NEXT) | instid1(VALU_DEP_1)
	v_and_b32_e32 v151, 0x7f, v150
	v_cmpx_ne_u32_e32 0x7f, v151
	s_cbranch_execz .LBB296_302
; %bb.299:                              ;   in Loop: Header=BB296_13 Depth=1
	v_and_b32_e32 v7, 7, v150
	v_lshrrev_b32_e32 v148, 3, v151
	s_mov_b32 s23, exec_lo
	v_cmpx_gt_u32_e32 8, v151
; %bb.300:                              ;   in Loop: Header=BB296_13 Depth=1
	s_delay_alu instid0(VALU_DEP_3) | instskip(NEXT) | instid1(VALU_DEP_1)
	v_clz_i32_u32_e32 v148, v7
	v_min_u32_e32 v148, 32, v148
	s_delay_alu instid0(VALU_DEP_1) | instskip(SKIP_1) | instid1(VALU_DEP_2)
	v_subrev_nc_u32_e32 v151, 28, v148
	v_sub_nc_u32_e32 v148, 29, v148
	v_lshlrev_b64 v[160:161], v151, v[7:8]
	s_delay_alu instid0(VALU_DEP_1)
	v_and_b32_e32 v7, 7, v160
; %bb.301:                              ;   in Loop: Header=BB296_13 Depth=1
	s_or_b32 exec_lo, exec_lo, s23
	v_lshlrev_b32_e32 v150, 8, v150
	v_lshl_add_u32 v148, v148, 10, 0x2000
	s_delay_alu instid0(VALU_DEP_1) | instskip(NEXT) | instid1(VALU_DEP_1)
	v_and_or_b32 v148, 0x8000, v150, v148
	v_lshl_or_b32 v7, v7, 7, v148
	s_delay_alu instid0(VALU_DEP_1)
	v_cvt_f32_f16_e64 v148, v7
.LBB296_302:                            ;   in Loop: Header=BB296_13 Depth=1
	s_or_b32 exec_lo, exec_lo, s22
.LBB296_303:                            ;   in Loop: Header=BB296_13 Depth=1
	s_delay_alu instid0(SALU_CYCLE_1)
	s_or_b32 exec_lo, exec_lo, s21
.LBB296_304:                            ;   in Loop: Header=BB296_13 Depth=1
	s_delay_alu instid0(SALU_CYCLE_1) | instskip(SKIP_4) | instid1(VALU_DEP_2)
	s_or_b32 exec_lo, exec_lo, s20
	flat_load_u16 v7, v[31:32] offset:1152
	s_waitcnt vmcnt(0) lgkmcnt(0)
	v_dual_mov_b32 v150, 0 :: v_dual_and_b32 v151, 0xff, v7
	v_and_b32_e32 v160, 0xffff, v7
	v_cmp_ne_u16_e64 s2, 0, v151
	v_mov_b32_e32 v151, 0
	s_delay_alu instid0(VALU_DEP_2)
	s_and_saveexec_b32 s20, s2
	s_cbranch_execz .LBB296_312
; %bb.305:                              ;   in Loop: Header=BB296_13 Depth=1
	v_and_b32_e32 v7, 0xff, v160
	v_bfrev_b32_e32 v151, 1
	s_mov_b32 s21, exec_lo
	s_delay_alu instid0(VALU_DEP_2)
	v_cmpx_ne_u16_e32 0x80, v7
	s_cbranch_execz .LBB296_311
; %bb.306:                              ;   in Loop: Header=BB296_13 Depth=1
	v_and_b32_e32 v161, 0x7f, v160
	v_mov_b32_e32 v151, 0x7fc02000
	s_mov_b32 s22, exec_lo
	s_delay_alu instid0(VALU_DEP_2)
	v_cmpx_ne_u32_e32 0x7f, v161
	s_cbranch_execz .LBB296_310
; %bb.307:                              ;   in Loop: Header=BB296_13 Depth=1
	v_and_b32_e32 v7, 7, v160
	v_lshrrev_b32_e32 v151, 3, v161
	s_mov_b32 s23, exec_lo
	v_cmpx_gt_u32_e32 8, v161
; %bb.308:                              ;   in Loop: Header=BB296_13 Depth=1
	s_delay_alu instid0(VALU_DEP_3) | instskip(NEXT) | instid1(VALU_DEP_1)
	v_clz_i32_u32_e32 v151, v7
	v_min_u32_e32 v151, 32, v151
	s_delay_alu instid0(VALU_DEP_1) | instskip(SKIP_1) | instid1(VALU_DEP_2)
	v_subrev_nc_u32_e32 v161, 28, v151
	v_sub_nc_u32_e32 v151, 29, v151
	v_lshlrev_b64 v[161:162], v161, v[7:8]
	s_delay_alu instid0(VALU_DEP_1)
	v_and_b32_e32 v7, 7, v161
; %bb.309:                              ;   in Loop: Header=BB296_13 Depth=1
	s_or_b32 exec_lo, exec_lo, s23
	v_lshlrev_b32_e32 v161, 8, v160
	v_lshl_add_u32 v151, v151, 10, 0x2000
	s_delay_alu instid0(VALU_DEP_1) | instskip(NEXT) | instid1(VALU_DEP_1)
	v_and_or_b32 v151, 0x8000, v161, v151
	v_lshl_or_b32 v7, v7, 7, v151
	s_delay_alu instid0(VALU_DEP_1)
	v_cvt_f32_f16_e64 v151, v7
.LBB296_310:                            ;   in Loop: Header=BB296_13 Depth=1
	s_or_b32 exec_lo, exec_lo, s22
.LBB296_311:                            ;   in Loop: Header=BB296_13 Depth=1
	s_delay_alu instid0(SALU_CYCLE_1)
	s_or_b32 exec_lo, exec_lo, s21
.LBB296_312:                            ;   in Loop: Header=BB296_13 Depth=1
	s_delay_alu instid0(SALU_CYCLE_1) | instskip(SKIP_2) | instid1(VALU_DEP_1)
	s_or_b32 exec_lo, exec_lo, s20
	v_lshrrev_b16 v7, 8, v160
	s_mov_b32 s20, exec_lo
	v_cmpx_ne_u16_e32 0, v7
	s_cbranch_execz .LBB296_320
; %bb.313:                              ;   in Loop: Header=BB296_13 Depth=1
	v_bfrev_b32_e32 v150, 1
	s_mov_b32 s21, exec_lo
	v_cmpx_ne_u16_e32 0x80, v7
	s_cbranch_execz .LBB296_319
; %bb.314:                              ;   in Loop: Header=BB296_13 Depth=1
	v_and_b32_e32 v160, 0xffff, v7
	v_mov_b32_e32 v150, 0x7fc02000
	s_mov_b32 s22, exec_lo
	s_delay_alu instid0(VALU_DEP_2) | instskip(NEXT) | instid1(VALU_DEP_1)
	v_and_b32_e32 v161, 0x7f, v160
	v_cmpx_ne_u32_e32 0x7f, v161
	s_cbranch_execz .LBB296_318
; %bb.315:                              ;   in Loop: Header=BB296_13 Depth=1
	v_and_b32_e32 v7, 7, v160
	v_lshrrev_b32_e32 v150, 3, v161
	s_mov_b32 s23, exec_lo
	v_cmpx_gt_u32_e32 8, v161
; %bb.316:                              ;   in Loop: Header=BB296_13 Depth=1
	s_delay_alu instid0(VALU_DEP_3) | instskip(NEXT) | instid1(VALU_DEP_1)
	v_clz_i32_u32_e32 v150, v7
	v_min_u32_e32 v150, 32, v150
	s_delay_alu instid0(VALU_DEP_1) | instskip(SKIP_1) | instid1(VALU_DEP_2)
	v_subrev_nc_u32_e32 v161, 28, v150
	v_sub_nc_u32_e32 v150, 29, v150
	v_lshlrev_b64 v[161:162], v161, v[7:8]
	s_delay_alu instid0(VALU_DEP_1)
	v_and_b32_e32 v7, 7, v161
; %bb.317:                              ;   in Loop: Header=BB296_13 Depth=1
	s_or_b32 exec_lo, exec_lo, s23
	v_lshlrev_b32_e32 v160, 8, v160
	v_lshl_add_u32 v150, v150, 10, 0x2000
	s_delay_alu instid0(VALU_DEP_1) | instskip(NEXT) | instid1(VALU_DEP_1)
	v_and_or_b32 v150, 0x8000, v160, v150
	v_lshl_or_b32 v7, v7, 7, v150
	s_delay_alu instid0(VALU_DEP_1)
	v_cvt_f32_f16_e64 v150, v7
.LBB296_318:                            ;   in Loop: Header=BB296_13 Depth=1
	s_or_b32 exec_lo, exec_lo, s22
.LBB296_319:                            ;   in Loop: Header=BB296_13 Depth=1
	s_delay_alu instid0(SALU_CYCLE_1)
	s_or_b32 exec_lo, exec_lo, s21
.LBB296_320:                            ;   in Loop: Header=BB296_13 Depth=1
	s_delay_alu instid0(SALU_CYCLE_1) | instskip(SKIP_4) | instid1(VALU_DEP_2)
	s_or_b32 exec_lo, exec_lo, s20
	flat_load_u16 v7, v[31:32] offset:1160
	s_waitcnt vmcnt(0) lgkmcnt(0)
	v_dual_mov_b32 v160, 0 :: v_dual_and_b32 v161, 0xff, v7
	v_and_b32_e32 v162, 0xffff, v7
	v_cmp_ne_u16_e64 s2, 0, v161
	v_mov_b32_e32 v161, 0
	s_delay_alu instid0(VALU_DEP_2)
	s_and_saveexec_b32 s20, s2
	s_cbranch_execz .LBB296_328
; %bb.321:                              ;   in Loop: Header=BB296_13 Depth=1
	v_and_b32_e32 v7, 0xff, v162
	v_bfrev_b32_e32 v161, 1
	s_mov_b32 s21, exec_lo
	s_delay_alu instid0(VALU_DEP_2)
	v_cmpx_ne_u16_e32 0x80, v7
	s_cbranch_execz .LBB296_327
; %bb.322:                              ;   in Loop: Header=BB296_13 Depth=1
	v_and_b32_e32 v163, 0x7f, v162
	v_mov_b32_e32 v161, 0x7fc02000
	s_mov_b32 s22, exec_lo
	s_delay_alu instid0(VALU_DEP_2)
	v_cmpx_ne_u32_e32 0x7f, v163
	s_cbranch_execz .LBB296_326
; %bb.323:                              ;   in Loop: Header=BB296_13 Depth=1
	v_and_b32_e32 v7, 7, v162
	v_lshrrev_b32_e32 v161, 3, v163
	s_mov_b32 s23, exec_lo
	v_cmpx_gt_u32_e32 8, v163
; %bb.324:                              ;   in Loop: Header=BB296_13 Depth=1
	s_delay_alu instid0(VALU_DEP_3) | instskip(NEXT) | instid1(VALU_DEP_1)
	v_clz_i32_u32_e32 v161, v7
	v_min_u32_e32 v161, 32, v161
	s_delay_alu instid0(VALU_DEP_1) | instskip(SKIP_1) | instid1(VALU_DEP_2)
	v_subrev_nc_u32_e32 v163, 28, v161
	v_sub_nc_u32_e32 v161, 29, v161
	v_lshlrev_b64 v[163:164], v163, v[7:8]
	s_delay_alu instid0(VALU_DEP_1)
	v_and_b32_e32 v7, 7, v163
; %bb.325:                              ;   in Loop: Header=BB296_13 Depth=1
	s_or_b32 exec_lo, exec_lo, s23
	v_lshlrev_b32_e32 v163, 8, v162
	v_lshl_add_u32 v161, v161, 10, 0x2000
	s_delay_alu instid0(VALU_DEP_1) | instskip(NEXT) | instid1(VALU_DEP_1)
	v_and_or_b32 v161, 0x8000, v163, v161
	v_lshl_or_b32 v7, v7, 7, v161
	s_delay_alu instid0(VALU_DEP_1)
	v_cvt_f32_f16_e64 v161, v7
.LBB296_326:                            ;   in Loop: Header=BB296_13 Depth=1
	s_or_b32 exec_lo, exec_lo, s22
.LBB296_327:                            ;   in Loop: Header=BB296_13 Depth=1
	s_delay_alu instid0(SALU_CYCLE_1)
	s_or_b32 exec_lo, exec_lo, s21
.LBB296_328:                            ;   in Loop: Header=BB296_13 Depth=1
	s_delay_alu instid0(SALU_CYCLE_1) | instskip(SKIP_2) | instid1(VALU_DEP_1)
	s_or_b32 exec_lo, exec_lo, s20
	v_lshrrev_b16 v7, 8, v162
	s_mov_b32 s20, exec_lo
	v_cmpx_ne_u16_e32 0, v7
	s_cbranch_execz .LBB296_336
; %bb.329:                              ;   in Loop: Header=BB296_13 Depth=1
	v_bfrev_b32_e32 v160, 1
	s_mov_b32 s21, exec_lo
	v_cmpx_ne_u16_e32 0x80, v7
	s_cbranch_execz .LBB296_335
; %bb.330:                              ;   in Loop: Header=BB296_13 Depth=1
	v_and_b32_e32 v162, 0xffff, v7
	v_mov_b32_e32 v160, 0x7fc02000
	s_mov_b32 s22, exec_lo
	s_delay_alu instid0(VALU_DEP_2) | instskip(NEXT) | instid1(VALU_DEP_1)
	v_and_b32_e32 v163, 0x7f, v162
	v_cmpx_ne_u32_e32 0x7f, v163
	s_cbranch_execz .LBB296_334
; %bb.331:                              ;   in Loop: Header=BB296_13 Depth=1
	v_and_b32_e32 v7, 7, v162
	v_lshrrev_b32_e32 v160, 3, v163
	s_mov_b32 s23, exec_lo
	v_cmpx_gt_u32_e32 8, v163
; %bb.332:                              ;   in Loop: Header=BB296_13 Depth=1
	s_delay_alu instid0(VALU_DEP_3) | instskip(NEXT) | instid1(VALU_DEP_1)
	v_clz_i32_u32_e32 v160, v7
	v_min_u32_e32 v160, 32, v160
	s_delay_alu instid0(VALU_DEP_1) | instskip(SKIP_1) | instid1(VALU_DEP_2)
	v_subrev_nc_u32_e32 v163, 28, v160
	v_sub_nc_u32_e32 v160, 29, v160
	v_lshlrev_b64 v[163:164], v163, v[7:8]
	s_delay_alu instid0(VALU_DEP_1)
	v_and_b32_e32 v7, 7, v163
; %bb.333:                              ;   in Loop: Header=BB296_13 Depth=1
	s_or_b32 exec_lo, exec_lo, s23
	v_lshlrev_b32_e32 v162, 8, v162
	v_lshl_add_u32 v160, v160, 10, 0x2000
	s_delay_alu instid0(VALU_DEP_1) | instskip(NEXT) | instid1(VALU_DEP_1)
	v_and_or_b32 v160, 0x8000, v162, v160
	v_lshl_or_b32 v7, v7, 7, v160
	s_delay_alu instid0(VALU_DEP_1)
	v_cvt_f32_f16_e64 v160, v7
.LBB296_334:                            ;   in Loop: Header=BB296_13 Depth=1
	s_or_b32 exec_lo, exec_lo, s22
.LBB296_335:                            ;   in Loop: Header=BB296_13 Depth=1
	s_delay_alu instid0(SALU_CYCLE_1)
	s_or_b32 exec_lo, exec_lo, s21
.LBB296_336:                            ;   in Loop: Header=BB296_13 Depth=1
	s_delay_alu instid0(SALU_CYCLE_1)
	s_or_b32 exec_lo, exec_lo, s20
	flat_load_u16 v7, v[31:32] offset:1280
	s_mov_b32 s20, exec_lo
	v_dual_mov_b32 v164, 0 :: v_dual_mov_b32 v165, 0
	s_waitcnt vmcnt(0) lgkmcnt(0)
	v_and_b32_e32 v163, 0xff, v7
	v_and_b32_e32 v162, 0xffff, v7
	s_delay_alu instid0(VALU_DEP_2)
	v_cmpx_ne_u16_e64 0, v163
	s_cbranch_execz .LBB296_344
; %bb.337:                              ;   in Loop: Header=BB296_13 Depth=1
	s_delay_alu instid0(VALU_DEP_2) | instskip(SKIP_2) | instid1(VALU_DEP_2)
	v_and_b32_e32 v7, 0xff, v162
	v_bfrev_b32_e32 v165, 1
	s_mov_b32 s21, exec_lo
	v_cmpx_ne_u16_e32 0x80, v7
	s_cbranch_execz .LBB296_343
; %bb.338:                              ;   in Loop: Header=BB296_13 Depth=1
	v_and_b32_e32 v166, 0x7f, v162
	v_mov_b32_e32 v165, 0x7fc02000
	s_mov_b32 s22, exec_lo
	s_delay_alu instid0(VALU_DEP_2)
	v_cmpx_ne_u32_e32 0x7f, v166
	s_cbranch_execz .LBB296_342
; %bb.339:                              ;   in Loop: Header=BB296_13 Depth=1
	v_and_b32_e32 v7, 7, v162
	v_lshrrev_b32_e32 v163, 3, v166
	s_mov_b32 s23, exec_lo
	v_cmpx_gt_u32_e32 8, v166
; %bb.340:                              ;   in Loop: Header=BB296_13 Depth=1
	s_delay_alu instid0(VALU_DEP_3) | instskip(NEXT) | instid1(VALU_DEP_1)
	v_clz_i32_u32_e32 v163, v7
	v_min_u32_e32 v163, 32, v163
	s_delay_alu instid0(VALU_DEP_1) | instskip(SKIP_1) | instid1(VALU_DEP_2)
	v_subrev_nc_u32_e32 v165, 28, v163
	v_sub_nc_u32_e32 v163, 29, v163
	v_lshlrev_b64 v[165:166], v165, v[7:8]
	s_delay_alu instid0(VALU_DEP_1)
	v_and_b32_e32 v7, 7, v165
; %bb.341:                              ;   in Loop: Header=BB296_13 Depth=1
	s_or_b32 exec_lo, exec_lo, s23
	v_lshlrev_b32_e32 v165, 8, v162
	v_lshl_add_u32 v163, v163, 10, 0x2000
	s_delay_alu instid0(VALU_DEP_1) | instskip(NEXT) | instid1(VALU_DEP_1)
	v_and_or_b32 v163, 0x8000, v165, v163
	v_lshl_or_b32 v7, v7, 7, v163
	s_delay_alu instid0(VALU_DEP_1)
	v_cvt_f32_f16_e64 v165, v7
.LBB296_342:                            ;   in Loop: Header=BB296_13 Depth=1
	s_or_b32 exec_lo, exec_lo, s22
.LBB296_343:                            ;   in Loop: Header=BB296_13 Depth=1
	s_delay_alu instid0(SALU_CYCLE_1)
	s_or_b32 exec_lo, exec_lo, s21
.LBB296_344:                            ;   in Loop: Header=BB296_13 Depth=1
	s_delay_alu instid0(SALU_CYCLE_1) | instskip(NEXT) | instid1(VALU_DEP_2)
	s_or_b32 exec_lo, exec_lo, s20
	v_lshrrev_b16 v7, 8, v162
	s_mov_b32 s20, exec_lo
	s_delay_alu instid0(VALU_DEP_1)
	v_cmpx_ne_u16_e32 0, v7
	s_cbranch_execz .LBB296_352
; %bb.345:                              ;   in Loop: Header=BB296_13 Depth=1
	v_bfrev_b32_e32 v164, 1
	s_mov_b32 s21, exec_lo
	v_cmpx_ne_u16_e32 0x80, v7
	s_cbranch_execz .LBB296_351
; %bb.346:                              ;   in Loop: Header=BB296_13 Depth=1
	v_and_b32_e32 v162, 0xffff, v7
	v_mov_b32_e32 v164, 0x7fc02000
	s_mov_b32 s22, exec_lo
	s_delay_alu instid0(VALU_DEP_2) | instskip(NEXT) | instid1(VALU_DEP_1)
	v_and_b32_e32 v166, 0x7f, v162
	v_cmpx_ne_u32_e32 0x7f, v166
	s_cbranch_execz .LBB296_350
; %bb.347:                              ;   in Loop: Header=BB296_13 Depth=1
	v_and_b32_e32 v7, 7, v162
	v_lshrrev_b32_e32 v163, 3, v166
	s_mov_b32 s23, exec_lo
	v_cmpx_gt_u32_e32 8, v166
; %bb.348:                              ;   in Loop: Header=BB296_13 Depth=1
	s_delay_alu instid0(VALU_DEP_3) | instskip(NEXT) | instid1(VALU_DEP_1)
	v_clz_i32_u32_e32 v163, v7
	v_min_u32_e32 v163, 32, v163
	s_delay_alu instid0(VALU_DEP_1) | instskip(SKIP_1) | instid1(VALU_DEP_2)
	v_subrev_nc_u32_e32 v164, 28, v163
	v_sub_nc_u32_e32 v163, 29, v163
	v_lshlrev_b64 v[166:167], v164, v[7:8]
	s_delay_alu instid0(VALU_DEP_1)
	v_and_b32_e32 v7, 7, v166
; %bb.349:                              ;   in Loop: Header=BB296_13 Depth=1
	s_or_b32 exec_lo, exec_lo, s23
	v_lshlrev_b32_e32 v162, 8, v162
	v_lshl_add_u32 v163, v163, 10, 0x2000
	s_delay_alu instid0(VALU_DEP_1) | instskip(NEXT) | instid1(VALU_DEP_1)
	v_and_or_b32 v162, 0x8000, v162, v163
	v_lshl_or_b32 v7, v7, 7, v162
	s_delay_alu instid0(VALU_DEP_1)
	v_cvt_f32_f16_e64 v164, v7
.LBB296_350:                            ;   in Loop: Header=BB296_13 Depth=1
	s_or_b32 exec_lo, exec_lo, s22
.LBB296_351:                            ;   in Loop: Header=BB296_13 Depth=1
	s_delay_alu instid0(SALU_CYCLE_1)
	s_or_b32 exec_lo, exec_lo, s21
.LBB296_352:                            ;   in Loop: Header=BB296_13 Depth=1
	s_delay_alu instid0(SALU_CYCLE_1) | instskip(SKIP_4) | instid1(VALU_DEP_2)
	s_or_b32 exec_lo, exec_lo, s20
	flat_load_u16 v7, v[31:32] offset:1288
	s_waitcnt vmcnt(0) lgkmcnt(0)
	v_dual_mov_b32 v162, 0 :: v_dual_and_b32 v163, 0xff, v7
	v_and_b32_e32 v166, 0xffff, v7
	v_cmp_ne_u16_e64 s2, 0, v163
	v_mov_b32_e32 v163, 0
	s_delay_alu instid0(VALU_DEP_2)
	s_and_saveexec_b32 s20, s2
	s_cbranch_execz .LBB296_360
; %bb.353:                              ;   in Loop: Header=BB296_13 Depth=1
	v_and_b32_e32 v7, 0xff, v166
	v_bfrev_b32_e32 v163, 1
	s_mov_b32 s21, exec_lo
	s_delay_alu instid0(VALU_DEP_2)
	v_cmpx_ne_u16_e32 0x80, v7
	s_cbranch_execz .LBB296_359
; %bb.354:                              ;   in Loop: Header=BB296_13 Depth=1
	v_and_b32_e32 v167, 0x7f, v166
	v_mov_b32_e32 v163, 0x7fc02000
	s_mov_b32 s22, exec_lo
	s_delay_alu instid0(VALU_DEP_2)
	v_cmpx_ne_u32_e32 0x7f, v167
	s_cbranch_execz .LBB296_358
; %bb.355:                              ;   in Loop: Header=BB296_13 Depth=1
	v_and_b32_e32 v7, 7, v166
	v_lshrrev_b32_e32 v163, 3, v167
	s_mov_b32 s23, exec_lo
	v_cmpx_gt_u32_e32 8, v167
; %bb.356:                              ;   in Loop: Header=BB296_13 Depth=1
	s_delay_alu instid0(VALU_DEP_3) | instskip(NEXT) | instid1(VALU_DEP_1)
	v_clz_i32_u32_e32 v163, v7
	v_min_u32_e32 v163, 32, v163
	s_delay_alu instid0(VALU_DEP_1) | instskip(SKIP_1) | instid1(VALU_DEP_2)
	v_subrev_nc_u32_e32 v167, 28, v163
	v_sub_nc_u32_e32 v163, 29, v163
	v_lshlrev_b64 v[176:177], v167, v[7:8]
	s_delay_alu instid0(VALU_DEP_1)
	v_and_b32_e32 v7, 7, v176
; %bb.357:                              ;   in Loop: Header=BB296_13 Depth=1
	s_or_b32 exec_lo, exec_lo, s23
	v_lshlrev_b32_e32 v167, 8, v166
	v_lshl_add_u32 v163, v163, 10, 0x2000
	s_delay_alu instid0(VALU_DEP_1) | instskip(NEXT) | instid1(VALU_DEP_1)
	v_and_or_b32 v163, 0x8000, v167, v163
	v_lshl_or_b32 v7, v7, 7, v163
	s_delay_alu instid0(VALU_DEP_1)
	v_cvt_f32_f16_e64 v163, v7
.LBB296_358:                            ;   in Loop: Header=BB296_13 Depth=1
	s_or_b32 exec_lo, exec_lo, s22
.LBB296_359:                            ;   in Loop: Header=BB296_13 Depth=1
	s_delay_alu instid0(SALU_CYCLE_1)
	s_or_b32 exec_lo, exec_lo, s21
.LBB296_360:                            ;   in Loop: Header=BB296_13 Depth=1
	s_delay_alu instid0(SALU_CYCLE_1) | instskip(SKIP_2) | instid1(VALU_DEP_1)
	s_or_b32 exec_lo, exec_lo, s20
	v_lshrrev_b16 v7, 8, v166
	s_mov_b32 s20, exec_lo
	v_cmpx_ne_u16_e32 0, v7
	s_cbranch_execz .LBB296_368
; %bb.361:                              ;   in Loop: Header=BB296_13 Depth=1
	v_bfrev_b32_e32 v162, 1
	s_mov_b32 s21, exec_lo
	v_cmpx_ne_u16_e32 0x80, v7
	s_cbranch_execz .LBB296_367
; %bb.362:                              ;   in Loop: Header=BB296_13 Depth=1
	v_and_b32_e32 v166, 0xffff, v7
	v_mov_b32_e32 v162, 0x7fc02000
	s_mov_b32 s22, exec_lo
	s_delay_alu instid0(VALU_DEP_2) | instskip(NEXT) | instid1(VALU_DEP_1)
	v_and_b32_e32 v167, 0x7f, v166
	v_cmpx_ne_u32_e32 0x7f, v167
	s_cbranch_execz .LBB296_366
; %bb.363:                              ;   in Loop: Header=BB296_13 Depth=1
	v_and_b32_e32 v7, 7, v166
	v_lshrrev_b32_e32 v162, 3, v167
	s_mov_b32 s23, exec_lo
	v_cmpx_gt_u32_e32 8, v167
; %bb.364:                              ;   in Loop: Header=BB296_13 Depth=1
	s_delay_alu instid0(VALU_DEP_3) | instskip(NEXT) | instid1(VALU_DEP_1)
	v_clz_i32_u32_e32 v162, v7
	v_min_u32_e32 v162, 32, v162
	s_delay_alu instid0(VALU_DEP_1) | instskip(SKIP_1) | instid1(VALU_DEP_2)
	v_subrev_nc_u32_e32 v167, 28, v162
	v_sub_nc_u32_e32 v162, 29, v162
	v_lshlrev_b64 v[176:177], v167, v[7:8]
	s_delay_alu instid0(VALU_DEP_1)
	v_and_b32_e32 v7, 7, v176
; %bb.365:                              ;   in Loop: Header=BB296_13 Depth=1
	s_or_b32 exec_lo, exec_lo, s23
	v_lshlrev_b32_e32 v166, 8, v166
	v_lshl_add_u32 v162, v162, 10, 0x2000
	s_delay_alu instid0(VALU_DEP_1) | instskip(NEXT) | instid1(VALU_DEP_1)
	v_and_or_b32 v162, 0x8000, v166, v162
	v_lshl_or_b32 v7, v7, 7, v162
	s_delay_alu instid0(VALU_DEP_1)
	v_cvt_f32_f16_e64 v162, v7
.LBB296_366:                            ;   in Loop: Header=BB296_13 Depth=1
	s_or_b32 exec_lo, exec_lo, s22
.LBB296_367:                            ;   in Loop: Header=BB296_13 Depth=1
	s_delay_alu instid0(SALU_CYCLE_1)
	s_or_b32 exec_lo, exec_lo, s21
.LBB296_368:                            ;   in Loop: Header=BB296_13 Depth=1
	s_delay_alu instid0(SALU_CYCLE_1) | instskip(SKIP_4) | instid1(VALU_DEP_2)
	s_or_b32 exec_lo, exec_lo, s20
	flat_load_u16 v7, v[31:32] offset:1408
	s_waitcnt vmcnt(0) lgkmcnt(0)
	v_dual_mov_b32 v166, 0 :: v_dual_and_b32 v167, 0xff, v7
	v_and_b32_e32 v176, 0xffff, v7
	v_cmp_ne_u16_e64 s2, 0, v167
	v_mov_b32_e32 v167, 0
	s_delay_alu instid0(VALU_DEP_2)
	s_and_saveexec_b32 s20, s2
	s_cbranch_execz .LBB296_376
; %bb.369:                              ;   in Loop: Header=BB296_13 Depth=1
	v_and_b32_e32 v7, 0xff, v176
	v_bfrev_b32_e32 v167, 1
	s_mov_b32 s21, exec_lo
	s_delay_alu instid0(VALU_DEP_2)
	v_cmpx_ne_u16_e32 0x80, v7
	s_cbranch_execz .LBB296_375
; %bb.370:                              ;   in Loop: Header=BB296_13 Depth=1
	v_and_b32_e32 v177, 0x7f, v176
	v_mov_b32_e32 v167, 0x7fc02000
	s_mov_b32 s22, exec_lo
	s_delay_alu instid0(VALU_DEP_2)
	v_cmpx_ne_u32_e32 0x7f, v177
	s_cbranch_execz .LBB296_374
; %bb.371:                              ;   in Loop: Header=BB296_13 Depth=1
	v_and_b32_e32 v7, 7, v176
	v_lshrrev_b32_e32 v167, 3, v177
	s_mov_b32 s23, exec_lo
	v_cmpx_gt_u32_e32 8, v177
; %bb.372:                              ;   in Loop: Header=BB296_13 Depth=1
	s_delay_alu instid0(VALU_DEP_3) | instskip(NEXT) | instid1(VALU_DEP_1)
	v_clz_i32_u32_e32 v167, v7
	v_min_u32_e32 v167, 32, v167
	s_delay_alu instid0(VALU_DEP_1) | instskip(SKIP_1) | instid1(VALU_DEP_2)
	v_subrev_nc_u32_e32 v177, 28, v167
	v_sub_nc_u32_e32 v167, 29, v167
	v_lshlrev_b64 v[177:178], v177, v[7:8]
	s_delay_alu instid0(VALU_DEP_1)
	v_and_b32_e32 v7, 7, v177
; %bb.373:                              ;   in Loop: Header=BB296_13 Depth=1
	s_or_b32 exec_lo, exec_lo, s23
	v_lshlrev_b32_e32 v177, 8, v176
	v_lshl_add_u32 v167, v167, 10, 0x2000
	s_delay_alu instid0(VALU_DEP_1) | instskip(NEXT) | instid1(VALU_DEP_1)
	v_and_or_b32 v167, 0x8000, v177, v167
	v_lshl_or_b32 v7, v7, 7, v167
	s_delay_alu instid0(VALU_DEP_1)
	v_cvt_f32_f16_e64 v167, v7
.LBB296_374:                            ;   in Loop: Header=BB296_13 Depth=1
	s_or_b32 exec_lo, exec_lo, s22
.LBB296_375:                            ;   in Loop: Header=BB296_13 Depth=1
	s_delay_alu instid0(SALU_CYCLE_1)
	s_or_b32 exec_lo, exec_lo, s21
.LBB296_376:                            ;   in Loop: Header=BB296_13 Depth=1
	s_delay_alu instid0(SALU_CYCLE_1) | instskip(SKIP_2) | instid1(VALU_DEP_1)
	s_or_b32 exec_lo, exec_lo, s20
	v_lshrrev_b16 v7, 8, v176
	s_mov_b32 s20, exec_lo
	v_cmpx_ne_u16_e32 0, v7
	s_cbranch_execz .LBB296_384
; %bb.377:                              ;   in Loop: Header=BB296_13 Depth=1
	v_bfrev_b32_e32 v166, 1
	s_mov_b32 s21, exec_lo
	v_cmpx_ne_u16_e32 0x80, v7
	s_cbranch_execz .LBB296_383
; %bb.378:                              ;   in Loop: Header=BB296_13 Depth=1
	v_and_b32_e32 v176, 0xffff, v7
	v_mov_b32_e32 v166, 0x7fc02000
	s_mov_b32 s22, exec_lo
	s_delay_alu instid0(VALU_DEP_2) | instskip(NEXT) | instid1(VALU_DEP_1)
	v_and_b32_e32 v177, 0x7f, v176
	v_cmpx_ne_u32_e32 0x7f, v177
	s_cbranch_execz .LBB296_382
; %bb.379:                              ;   in Loop: Header=BB296_13 Depth=1
	v_and_b32_e32 v7, 7, v176
	v_lshrrev_b32_e32 v166, 3, v177
	s_mov_b32 s23, exec_lo
	v_cmpx_gt_u32_e32 8, v177
; %bb.380:                              ;   in Loop: Header=BB296_13 Depth=1
	s_delay_alu instid0(VALU_DEP_3) | instskip(NEXT) | instid1(VALU_DEP_1)
	v_clz_i32_u32_e32 v166, v7
	v_min_u32_e32 v166, 32, v166
	s_delay_alu instid0(VALU_DEP_1) | instskip(SKIP_1) | instid1(VALU_DEP_2)
	v_subrev_nc_u32_e32 v177, 28, v166
	v_sub_nc_u32_e32 v166, 29, v166
	v_lshlrev_b64 v[177:178], v177, v[7:8]
	s_delay_alu instid0(VALU_DEP_1)
	v_and_b32_e32 v7, 7, v177
; %bb.381:                              ;   in Loop: Header=BB296_13 Depth=1
	s_or_b32 exec_lo, exec_lo, s23
	v_lshlrev_b32_e32 v176, 8, v176
	v_lshl_add_u32 v166, v166, 10, 0x2000
	s_delay_alu instid0(VALU_DEP_1) | instskip(NEXT) | instid1(VALU_DEP_1)
	v_and_or_b32 v166, 0x8000, v176, v166
	v_lshl_or_b32 v7, v7, 7, v166
	s_delay_alu instid0(VALU_DEP_1)
	v_cvt_f32_f16_e64 v166, v7
.LBB296_382:                            ;   in Loop: Header=BB296_13 Depth=1
	s_or_b32 exec_lo, exec_lo, s22
.LBB296_383:                            ;   in Loop: Header=BB296_13 Depth=1
	s_delay_alu instid0(SALU_CYCLE_1)
	s_or_b32 exec_lo, exec_lo, s21
.LBB296_384:                            ;   in Loop: Header=BB296_13 Depth=1
	s_delay_alu instid0(SALU_CYCLE_1) | instskip(SKIP_4) | instid1(VALU_DEP_1)
	s_or_b32 exec_lo, exec_lo, s20
	flat_load_u16 v7, v[31:32] offset:1416
	s_waitcnt vmcnt(0) lgkmcnt(0)
	v_dual_mov_b32 v32, 0 :: v_dual_and_b32 v31, 0xffff, v7
	v_and_b32_e32 v176, 0xff, v7
	v_cmp_ne_u16_e64 s2, 0, v176
	v_mov_b32_e32 v176, 0
	s_delay_alu instid0(VALU_DEP_2)
	s_and_saveexec_b32 s20, s2
	s_cbranch_execz .LBB296_392
; %bb.385:                              ;   in Loop: Header=BB296_13 Depth=1
	v_and_b32_e32 v7, 0xff, v31
	v_bfrev_b32_e32 v176, 1
	s_mov_b32 s21, exec_lo
	s_delay_alu instid0(VALU_DEP_2)
	v_cmpx_ne_u16_e32 0x80, v7
	s_cbranch_execz .LBB296_391
; %bb.386:                              ;   in Loop: Header=BB296_13 Depth=1
	v_and_b32_e32 v177, 0x7f, v31
	v_mov_b32_e32 v176, 0x7fc02000
	s_mov_b32 s22, exec_lo
	s_delay_alu instid0(VALU_DEP_2)
	v_cmpx_ne_u32_e32 0x7f, v177
	s_cbranch_execz .LBB296_390
; %bb.387:                              ;   in Loop: Header=BB296_13 Depth=1
	v_and_b32_e32 v7, 7, v31
	v_lshrrev_b32_e32 v176, 3, v177
	s_mov_b32 s23, exec_lo
	v_cmpx_gt_u32_e32 8, v177
; %bb.388:                              ;   in Loop: Header=BB296_13 Depth=1
	s_delay_alu instid0(VALU_DEP_3) | instskip(NEXT) | instid1(VALU_DEP_1)
	v_clz_i32_u32_e32 v176, v7
	v_min_u32_e32 v176, 32, v176
	s_delay_alu instid0(VALU_DEP_1) | instskip(SKIP_1) | instid1(VALU_DEP_2)
	v_subrev_nc_u32_e32 v177, 28, v176
	v_sub_nc_u32_e32 v176, 29, v176
	v_lshlrev_b64 v[177:178], v177, v[7:8]
	s_delay_alu instid0(VALU_DEP_1)
	v_and_b32_e32 v7, 7, v177
; %bb.389:                              ;   in Loop: Header=BB296_13 Depth=1
	s_or_b32 exec_lo, exec_lo, s23
	v_lshlrev_b32_e32 v177, 8, v31
	v_lshl_add_u32 v176, v176, 10, 0x2000
	s_delay_alu instid0(VALU_DEP_1) | instskip(NEXT) | instid1(VALU_DEP_1)
	v_and_or_b32 v176, 0x8000, v177, v176
	v_lshl_or_b32 v7, v7, 7, v176
	s_delay_alu instid0(VALU_DEP_1)
	v_cvt_f32_f16_e64 v176, v7
.LBB296_390:                            ;   in Loop: Header=BB296_13 Depth=1
	s_or_b32 exec_lo, exec_lo, s22
.LBB296_391:                            ;   in Loop: Header=BB296_13 Depth=1
	s_delay_alu instid0(SALU_CYCLE_1)
	s_or_b32 exec_lo, exec_lo, s21
.LBB296_392:                            ;   in Loop: Header=BB296_13 Depth=1
	s_delay_alu instid0(SALU_CYCLE_1) | instskip(SKIP_2) | instid1(VALU_DEP_1)
	s_or_b32 exec_lo, exec_lo, s20
	v_lshrrev_b16 v7, 8, v31
	s_mov_b32 s20, exec_lo
	v_cmpx_ne_u16_e32 0, v7
	s_cbranch_execz .LBB296_400
; %bb.393:                              ;   in Loop: Header=BB296_13 Depth=1
	v_bfrev_b32_e32 v32, 1
	s_mov_b32 s21, exec_lo
	v_cmpx_ne_u16_e32 0x80, v7
	s_cbranch_execz .LBB296_399
; %bb.394:                              ;   in Loop: Header=BB296_13 Depth=1
	v_and_b32_e32 v31, 0xffff, v7
	v_mov_b32_e32 v32, 0x7fc02000
	s_mov_b32 s22, exec_lo
	s_delay_alu instid0(VALU_DEP_2) | instskip(NEXT) | instid1(VALU_DEP_1)
	v_and_b32_e32 v177, 0x7f, v31
	v_cmpx_ne_u32_e32 0x7f, v177
	s_cbranch_execz .LBB296_398
; %bb.395:                              ;   in Loop: Header=BB296_13 Depth=1
	v_and_b32_e32 v7, 7, v31
	v_lshrrev_b32_e32 v32, 3, v177
	s_mov_b32 s23, exec_lo
	v_cmpx_gt_u32_e32 8, v177
; %bb.396:                              ;   in Loop: Header=BB296_13 Depth=1
	s_delay_alu instid0(VALU_DEP_3) | instskip(NEXT) | instid1(VALU_DEP_1)
	v_clz_i32_u32_e32 v32, v7
	v_min_u32_e32 v32, 32, v32
	s_delay_alu instid0(VALU_DEP_1) | instskip(SKIP_1) | instid1(VALU_DEP_2)
	v_subrev_nc_u32_e32 v177, 28, v32
	v_sub_nc_u32_e32 v32, 29, v32
	v_lshlrev_b64 v[177:178], v177, v[7:8]
	s_delay_alu instid0(VALU_DEP_1)
	v_and_b32_e32 v7, 7, v177
; %bb.397:                              ;   in Loop: Header=BB296_13 Depth=1
	s_or_b32 exec_lo, exec_lo, s23
	v_lshlrev_b32_e32 v31, 8, v31
	v_lshl_add_u32 v32, v32, 10, 0x2000
	s_delay_alu instid0(VALU_DEP_1) | instskip(NEXT) | instid1(VALU_DEP_1)
	v_and_or_b32 v31, 0x8000, v31, v32
	v_lshl_or_b32 v7, v7, 7, v31
	s_delay_alu instid0(VALU_DEP_1)
	v_cvt_f32_f16_e32 v32, v7
.LBB296_398:                            ;   in Loop: Header=BB296_13 Depth=1
	s_or_b32 exec_lo, exec_lo, s22
.LBB296_399:                            ;   in Loop: Header=BB296_13 Depth=1
	s_delay_alu instid0(SALU_CYCLE_1)
	s_or_b32 exec_lo, exec_lo, s21
.LBB296_400:                            ;   in Loop: Header=BB296_13 Depth=1
	s_delay_alu instid0(SALU_CYCLE_1)
	s_or_b32 exec_lo, exec_lo, s20
	v_fma_mixlo_f16 v31, v81, v167, 0
	v_fma_mixlo_f16 v7, v81, v166, 0
	;; [unrolled: 1-line block ×48, first 2 shown]
	ds_load_b32 v81, v66
	v_and_b32_e32 v85, 0xffff, v85
	v_and_b32_e32 v87, 0xffff, v87
	;; [unrolled: 1-line block ×7, first 2 shown]
	s_waitcnt lgkmcnt(0)
	v_lshrrev_b32_e32 v167, 16, v81
	v_and_b32_e32 v81, 0xffff, v81
	;;#ASMSTART
	v_cvt_f32_f16 v176, v81;
	;;#ASMEND
	v_and_b32_e32 v81, 0xffff, v83
	;;#ASMSTART
	v_cvt_f32_f16 v167, v167;
	;;#ASMEND
	;;#ASMSTART
	v_cvt_f32_f16 v83, v81;
	;;#ASMEND
	v_and_b32_e32 v81, 0xffff, v166
	;;#ASMSTART
	v_cvt_f32_f16 v166, v81;
	;;#ASMEND
	ds_load_b32 v81, v66 offset:4
	s_waitcnt lgkmcnt(0)
	v_lshrrev_b32_e32 v177, 16, v81
	v_and_b32_e32 v81, 0xffff, v81
	;;#ASMSTART
	v_cvt_f32_f16 v81, v81;
	;;#ASMEND
	;;#ASMSTART
	v_cvt_f32_f16 v177, v177;
	;;#ASMEND
	;;#ASMSTART
	v_cvt_f32_f16 v85, v85;
	;;#ASMEND
	s_delay_alu instid0(VALU_DEP_1) | instskip(SKIP_1) | instid1(VALU_DEP_1)
	v_dual_mul_f32 v81, v81, v85 :: v_dual_and_b32 v84, 0xffff, v84
	;;#ASMSTART
	v_cvt_f32_f16 v84, v84;
	;;#ASMEND
	v_fmac_f32_e32 v81, v176, v83
	s_delay_alu instid0(VALU_DEP_2)
	v_mul_f32_e32 v83, v177, v84
	ds_load_b32 v84, v66 offset:8
	s_waitcnt lgkmcnt(0)
	v_lshrrev_b32_e32 v85, 16, v84
	v_and_b32_e32 v84, 0xffff, v84
	;;#ASMSTART
	v_cvt_f32_f16 v84, v84;
	;;#ASMEND
	;;#ASMSTART
	v_cvt_f32_f16 v85, v85;
	;;#ASMEND
	;; [unrolled: 3-line block ×4, first 2 shown]
	v_fmac_f32_e32 v81, v84, v87
	ds_load_b32 v84, v66 offset:12
	v_fmac_f32_e32 v83, v167, v166
	v_and_b32_e32 v87, 0xffff, v96
	s_delay_alu instid0(VALU_DEP_2)
	v_dual_fmac_f32 v83, v85, v86 :: v_dual_and_b32 v86, 0xffff, v97
	s_waitcnt lgkmcnt(0)
	v_lshrrev_b32_e32 v85, 16, v84
	v_and_b32_e32 v84, 0xffff, v84
	;;#ASMSTART
	v_cvt_f32_f16 v84, v84;
	;;#ASMEND
	;;#ASMSTART
	v_cvt_f32_f16 v85, v85;
	;;#ASMEND
	;;#ASMSTART
	v_cvt_f32_f16 v86, v86;
	;;#ASMEND
	;;#ASMSTART
	v_cvt_f32_f16 v87, v87;
	;;#ASMEND
	v_dual_fmac_f32 v81, v84, v86 :: v_dual_and_b32 v86, 0xffff, v99
	ds_load_b32 v84, v66 offset:16
	v_fmac_f32_e32 v83, v85, v87
	v_and_b32_e32 v87, 0xffff, v98
	s_waitcnt lgkmcnt(0)
	v_lshrrev_b32_e32 v85, 16, v84
	v_and_b32_e32 v84, 0xffff, v84
	;;#ASMSTART
	v_cvt_f32_f16 v84, v84;
	;;#ASMEND
	;;#ASMSTART
	v_cvt_f32_f16 v85, v85;
	;;#ASMEND
	;;#ASMSTART
	v_cvt_f32_f16 v86, v86;
	;;#ASMEND
	;;#ASMSTART
	v_cvt_f32_f16 v87, v87;
	;;#ASMEND
	v_dual_fmac_f32 v81, v84, v86 :: v_dual_and_b32 v86, 0xffff, v101
	ds_load_b32 v84, v66 offset:20
	v_fmac_f32_e32 v83, v85, v87
	v_and_b32_e32 v87, 0xffff, v100
	;; [unrolled: 19-line block ×18, first 2 shown]
	s_waitcnt lgkmcnt(0)
	v_lshrrev_b32_e32 v85, 16, v84
	v_and_b32_e32 v84, 0xffff, v84
	;;#ASMSTART
	v_cvt_f32_f16 v84, v84;
	;;#ASMEND
	;;#ASMSTART
	v_cvt_f32_f16 v85, v85;
	;;#ASMEND
	;;#ASMSTART
	v_cvt_f32_f16 v86, v86;
	;;#ASMEND
	;;#ASMSTART
	v_cvt_f32_f16 v87, v87;
	;;#ASMEND
	v_fmac_f32_e32 v81, v84, v86
	ds_load_b32 v84, v66 offset:88
	v_fmac_f32_e32 v83, v85, v87
	s_waitcnt lgkmcnt(0)
	v_lshrrev_b32_e32 v85, 16, v84
	v_and_b32_e32 v84, 0xffff, v84
	;;#ASMSTART
	v_cvt_f32_f16 v84, v84;
	;;#ASMEND
	;;#ASMSTART
	v_cvt_f32_f16 v85, v85;
	;;#ASMEND
	;; [unrolled: 3-line block ×4, first 2 shown]
	v_fmac_f32_e32 v83, v85, v7
	ds_load_b32 v7, v66 offset:92
	v_fmac_f32_e32 v81, v84, v31
	s_waitcnt lgkmcnt(0)
	v_lshrrev_b32_e32 v31, 16, v7
	v_and_b32_e32 v7, 0xffff, v7
	;;#ASMSTART
	v_cvt_f32_f16 v7, v7;
	;;#ASMEND
	;;#ASMSTART
	v_cvt_f32_f16 v31, v31;
	;;#ASMEND
	;; [unrolled: 3-line block ×4, first 2 shown]
	v_fmac_f32_e32 v83, v31, v32
	v_xor_b32_e32 v31, 2, v54
	v_fmac_f32_e32 v81, v7, v82
	s_delay_alu instid0(VALU_DEP_2) | instskip(NEXT) | instid1(VALU_DEP_2)
	v_cmp_gt_i32_e64 s2, 32, v31
	v_add_f32_e32 v7, v81, v83
	s_delay_alu instid0(VALU_DEP_2) | instskip(NEXT) | instid1(VALU_DEP_1)
	v_cndmask_b32_e64 v31, v54, v31, s2
	v_lshlrev_b32_e32 v31, 2, v31
	ds_bpermute_b32 v31, v31, v7
	s_waitcnt lgkmcnt(0)
	v_add_f32_e32 v7, v7, v31
	v_xor_b32_e32 v31, 1, v54
	s_delay_alu instid0(VALU_DEP_1) | instskip(NEXT) | instid1(VALU_DEP_1)
	v_cmp_gt_i32_e64 s2, 32, v31
	v_cndmask_b32_e64 v31, v54, v31, s2
	s_delay_alu instid0(VALU_DEP_1)
	v_lshlrev_b32_e32 v31, 2, v31
	ds_bpermute_b32 v31, v31, v7
	s_and_saveexec_b32 s20, vcc_lo
	s_cbranch_execz .LBB296_11
; %bb.401:                              ;   in Loop: Header=BB296_13 Depth=1
	s_waitcnt lgkmcnt(0)
	v_add_f32_e32 v7, v7, v31
	v_add_nc_u32_e32 v32, v70, v67
	s_load_b32 s21, s[8:9], 0x0
	s_delay_alu instid0(VALU_DEP_1) | instskip(NEXT) | instid1(VALU_DEP_1)
	v_cvt_f32_i32_e32 v32, v32
	v_mul_f32_e32 v32, v53, v32
	s_delay_alu instid0(VALU_DEP_1) | instskip(SKIP_1) | instid1(VALU_DEP_2)
	v_cndmask_b32_e64 v31, 0, v32, s1
	v_max_f32_e32 v32, v55, v55
	v_fmac_f32_e32 v31, v7, v13
	v_add_nc_u32_e32 v7, v65, v67
	s_delay_alu instid0(VALU_DEP_2) | instskip(NEXT) | instid1(VALU_DEP_2)
	v_max_f32_e32 v32, v32, v31
	v_cmp_lt_i32_e64 s2, v7, v35
	s_waitcnt lgkmcnt(0)
	v_add_nc_u32_e32 v7, s21, v69
	s_delay_alu instid0(VALU_DEP_2)
	v_cndmask_b32_e64 v31, 0, v31, s2
	v_cndmask_b32_e64 v55, v55, v32, s2
	ds_store_b32 v7, v31
	s_branch .LBB296_11
.LBB296_402:
	s_or_b32 exec_lo, exec_lo, s19
.LBB296_403:
	s_delay_alu instid0(SALU_CYCLE_1)
	s_or_b32 exec_lo, exec_lo, s18
	v_xor_b32_e32 v7, 16, v54
	v_xor_b32_e32 v8, 8, v54
	v_lshlrev_b32_e32 v21, 2, v39
	s_waitcnt lgkmcnt(0)
	s_lshr_b32 s8, s17, 16
	v_cmp_gt_i32_e32 vcc_lo, 32, v7
	v_cndmask_b32_e32 v7, v54, v7, vcc_lo
	v_cmp_gt_i32_e32 vcc_lo, 32, v8
	s_delay_alu instid0(VALU_DEP_2)
	v_dual_cndmask_b32 v8, v54, v8 :: v_dual_lshlrev_b32 v9, 2, v7
	v_max_f32_e32 v20, v55, v55
	ds_bpermute_b32 v7, v9, v55
	v_lshlrev_b32_e32 v13, 2, v8
	s_waitcnt lgkmcnt(0)
	v_max_f32_e32 v7, v7, v7
	s_delay_alu instid0(VALU_DEP_1) | instskip(SKIP_1) | instid1(VALU_DEP_1)
	v_max_f32_e32 v7, v20, v7
	v_xor_b32_e32 v20, 4, v54
	v_cmp_gt_i32_e32 vcc_lo, 32, v20
	v_cndmask_b32_e32 v20, v54, v20, vcc_lo
	s_delay_alu instid0(VALU_DEP_1)
	v_lshlrev_b32_e32 v25, 2, v20
	v_and_b32_e32 v20, 31, v33
	ds_bpermute_b32 v8, v13, v7
	v_cmp_eq_u32_e32 vcc_lo, 0, v20
	s_waitcnt lgkmcnt(0)
	v_max_f32_e32 v8, v8, v8
	s_delay_alu instid0(VALU_DEP_1)
	v_max_f32_e32 v7, v7, v8
	ds_bpermute_b32 v8, v25, v7
	s_and_saveexec_b32 s1, vcc_lo
	s_cbranch_execz .LBB296_405
; %bb.404:
	s_waitcnt lgkmcnt(0)
	v_dual_max_f32 v8, v8, v8 :: v_dual_max_f32 v7, v7, v7
	s_delay_alu instid0(VALU_DEP_1)
	v_max_f32_e32 v7, v7, v8
	ds_store_b32 v21, v7 offset:384
.LBB296_405:
	s_or_b32 exec_lo, exec_lo, s1
	v_cmp_gt_u32_e64 s1, 4, v20
	v_dual_mov_b32 v7, 0xff7fffff :: v_dual_lshlrev_b32 v24, 2, v20
	s_waitcnt lgkmcnt(0)
	s_barrier
	buffer_gl0_inv
	s_and_saveexec_b32 s2, s1
	s_cbranch_execz .LBB296_407
; %bb.406:
	ds_load_b32 v7, v24 offset:384
.LBB296_407:
	s_or_b32 exec_lo, exec_lo, s2
	v_xor_b32_e32 v8, 2, v54
	v_xor_b32_e32 v29, 1, v54
	v_subrev_nc_u32_e32 v32, s13, v48
	v_mov_b32_e32 v31, 0
	s_delay_alu instid0(VALU_DEP_4) | instskip(NEXT) | instid1(VALU_DEP_1)
	v_cmp_gt_i32_e64 s2, 32, v8
	v_cndmask_b32_e64 v8, v54, v8, s2
	v_cmp_gt_i32_e64 s2, 32, v29
	s_delay_alu instid0(VALU_DEP_2) | instskip(NEXT) | instid1(VALU_DEP_2)
	v_lshlrev_b32_e32 v28, 2, v8
	v_cndmask_b32_e64 v29, v54, v29, s2
	s_waitcnt lgkmcnt(0)
	ds_bpermute_b32 v8, v28, v7
	v_max_f32_e32 v7, v7, v7
	s_waitcnt lgkmcnt(0)
	v_dual_max_f32 v8, v8, v8 :: v_dual_lshlrev_b32 v29, 2, v29
	s_delay_alu instid0(VALU_DEP_1) | instskip(SKIP_3) | instid1(VALU_DEP_1)
	v_max_f32_e32 v7, v7, v8
	ds_bpermute_b32 v8, v29, v7
	s_waitcnt lgkmcnt(0)
	v_max_f32_e32 v8, v8, v8
	v_max_f32_e32 v7, v7, v8
	v_lshl_add_u32 v8, v32, 3, s16
	ds_bpermute_b32 v7, v31, v7
	v_min_i32_e32 v8, v8, v35
	s_delay_alu instid0(VALU_DEP_1) | instskip(NEXT) | instid1(VALU_DEP_1)
	v_subrev_nc_u32_e32 v8, s16, v8
	v_cmp_lt_i32_e64 s2, v33, v8
	s_delay_alu instid0(VALU_DEP_1)
	s_and_saveexec_b32 s9, s2
	s_cbranch_execz .LBB296_411
; %bb.408:
	s_getpc_b64 s[16:17]
	s_add_u32 s16, s16, llvm.amdgcn.dynlds.offset.table@rel32@lo+4
	s_addc_u32 s17, s17, llvm.amdgcn.dynlds.offset.table@rel32@hi+12
	s_ashr_i32 s7, s6, 31
	v_mov_b32_e32 v31, 0
	s_lshl_b64 s[18:19], s[6:7], 2
	v_mov_b32_e32 v53, v33
	s_add_u32 s16, s18, s16
	s_addc_u32 s17, s19, s17
	s_mov_b32 s7, 0
	s_load_b32 s3, s[16:17], 0x0
	s_waitcnt lgkmcnt(0)
	v_lshl_add_u32 v32, v33, 2, s3
	.p2align	6
.LBB296_409:                            ; =>This Inner Loop Header: Depth=1
	ds_load_b32 v54, v32
	v_add_nc_u32_e32 v53, 0x80, v53
	s_delay_alu instid0(VALU_DEP_1) | instskip(NEXT) | instid1(VALU_DEP_1)
	v_cmp_ge_i32_e64 s3, v53, v8
	s_or_b32 s7, s3, s7
	s_waitcnt lgkmcnt(0)
	v_sub_f32_e32 v54, v54, v7
	s_delay_alu instid0(VALU_DEP_1) | instskip(NEXT) | instid1(VALU_DEP_1)
	v_mul_f32_e32 v54, 0x3fb8aa3b, v54
	v_exp_f32_e32 v54, v54
	ds_store_b32 v32, v54
	v_dual_add_f32 v31, v31, v54 :: v_dual_add_nc_u32 v32, 0x200, v32
	s_and_not1_b32 exec_lo, exec_lo, s7
	s_cbranch_execnz .LBB296_409
; %bb.410:
	s_or_b32 exec_lo, exec_lo, s7
.LBB296_411:
	s_delay_alu instid0(SALU_CYCLE_1)
	s_or_b32 exec_lo, exec_lo, s9
	ds_bpermute_b32 v9, v9, v31
	s_waitcnt lgkmcnt(0)
	v_add_f32_e32 v9, v31, v9
	ds_bpermute_b32 v13, v13, v9
	s_waitcnt lgkmcnt(0)
	v_add_f32_e32 v9, v9, v13
	;; [unrolled: 3-line block ×5, first 2 shown]
	s_and_saveexec_b32 s3, vcc_lo
	s_cbranch_execz .LBB296_413
; %bb.412:
	ds_store_b32 v21, v9 offset:400
.LBB296_413:
	s_or_b32 exec_lo, exec_lo, s3
	s_waitcnt lgkmcnt(0)
	s_barrier
	buffer_gl0_inv
	s_and_saveexec_b32 s3, s1
	s_cbranch_execz .LBB296_415
; %bb.414:
	ds_load_b32 v9, v24 offset:400
.LBB296_415:
	s_or_b32 exec_lo, exec_lo, s3
	s_waitcnt lgkmcnt(0)
	ds_bpermute_b32 v13, v28, v9
	s_waitcnt lgkmcnt(0)
	v_add_f32_e32 v9, v9, v13
	ds_bpermute_b32 v13, v29, v9
	s_waitcnt lgkmcnt(0)
	v_add_f32_e32 v9, v9, v13
	v_mov_b32_e32 v13, 0
	ds_bpermute_b32 v9, v13, v9
	s_and_saveexec_b32 s1, s2
	s_cbranch_execz .LBB296_418
; %bb.416:
	s_waitcnt lgkmcnt(0)
	v_add_f32_e32 v21, 0x358637bd, v9
	s_getpc_b64 s[2:3]
	s_add_u32 s2, s2, llvm.amdgcn.dynlds.offset.table@rel32@lo+4
	s_addc_u32 s3, s3, llvm.amdgcn.dynlds.offset.table@rel32@hi+12
	s_ashr_i32 s7, s6, 31
	s_delay_alu instid0(SALU_CYCLE_1) | instskip(SKIP_4) | instid1(VALU_DEP_1)
	s_lshl_b64 s[16:17], s[6:7], 2
	v_div_scale_f32 v13, null, v21, v21, 1.0
	s_add_u32 s2, s16, s2
	s_addc_u32 s3, s17, s3
	s_load_b32 s2, s[2:3], 0x0
	v_rcp_f32_e32 v24, v13
	s_waitcnt_depctr 0xfff
	v_fma_f32 v25, -v13, v24, 1.0
	s_delay_alu instid0(VALU_DEP_1) | instskip(SKIP_1) | instid1(VALU_DEP_1)
	v_fmac_f32_e32 v24, v25, v24
	v_div_scale_f32 v28, vcc_lo, 1.0, v21, 1.0
	v_mul_f32_e32 v25, v28, v24
	s_delay_alu instid0(VALU_DEP_1) | instskip(NEXT) | instid1(VALU_DEP_1)
	v_fma_f32 v29, -v13, v25, v28
	v_fmac_f32_e32 v25, v29, v24
	s_delay_alu instid0(VALU_DEP_1) | instskip(NEXT) | instid1(VALU_DEP_1)
	v_fma_f32 v13, -v13, v25, v28
	v_div_fmas_f32 v24, v13, v24, v25
	s_waitcnt lgkmcnt(0)
	v_lshl_add_u32 v13, v33, 2, s2
	s_mov_b32 s2, 0
	s_delay_alu instid0(VALU_DEP_2)
	v_div_fixup_f32 v21, v24, v21, 1.0
	v_mov_b32_e32 v24, v33
.LBB296_417:                            ; =>This Inner Loop Header: Depth=1
	ds_load_b32 v25, v13
	s_waitcnt lgkmcnt(0)
	v_dual_mul_f32 v25, v21, v25 :: v_dual_add_nc_u32 v24, 0x80, v24
	s_delay_alu instid0(VALU_DEP_1) | instskip(SKIP_3) | instid1(SALU_CYCLE_1)
	v_cmp_ge_i32_e32 vcc_lo, v24, v8
	ds_store_b32 v13, v25
	v_add_nc_u32_e32 v13, 0x200, v13
	s_or_b32 s2, vcc_lo, s2
	s_and_not1_b32 exec_lo, exec_lo, s2
	s_cbranch_execnz .LBB296_417
.LBB296_418:
	s_or_b32 exec_lo, exec_lo, s1
	v_cmp_ne_u16_e64 s1, s8, 0
	s_waitcnt lgkmcnt(0)
	s_barrier
	buffer_gl0_inv
	s_cmp_lg_u32 s1, 0
	s_addc_u32 s1, s5, 0
	s_mov_b32 s5, exec_lo
	s_mul_i32 s2, s1, s10
	s_delay_alu instid0(SALU_CYCLE_1)
	s_mul_i32 s2, s2, s15
	v_cmpx_eq_u32_e32 0, v33
	s_cbranch_execz .LBB296_420
; %bb.419:
	s_mul_i32 s8, s1, s12
	s_ashr_i32 s15, s14, 31
	s_ashr_i32 s9, s8, 31
	;; [unrolled: 1-line block ×3, first 2 shown]
	s_lshl_b64 s[8:9], s[8:9], 2
	s_lshl_b64 s[12:13], s[14:15], 2
	;; [unrolled: 1-line block ×3, first 2 shown]
	s_add_u32 s3, s12, s8
	s_addc_u32 s7, s13, s9
	s_add_u32 s3, s3, s16
	s_addc_u32 s7, s7, s17
	v_add_co_u32 v2, vcc_lo, s3, v2
	v_add_co_ci_u32_e32 v3, vcc_lo, s7, v3, vcc_lo
	v_add_co_u32 v0, vcc_lo, s3, v0
	v_add_co_ci_u32_e32 v1, vcc_lo, s7, v1, vcc_lo
	flat_store_b32 v[2:3], v7
	flat_store_b32 v[0:1], v9
.LBB296_420:
	s_or_b32 exec_lo, exec_lo, s5
	s_getpc_b64 s[8:9]
	s_add_u32 s8, s8, llvm.amdgcn.dynlds.offset.table@rel32@lo+4
	s_addc_u32 s9, s9, llvm.amdgcn.dynlds.offset.table@rel32@hi+12
	s_ashr_i32 s7, s6, 31
	v_dual_mov_b32 v25, 0 :: v_dual_mov_b32 v24, 0
	s_lshl_b64 s[6:7], s[6:7], 2
	v_dual_mov_b32 v21, 0 :: v_dual_mov_b32 v28, 0
	s_add_u32 s6, s6, s8
	s_addc_u32 s7, s7, s9
	v_mov_b32_e32 v31, 0
	s_load_b32 s10, s[6:7], 0x0
	v_mov_b32_e32 v29, 0
	s_mov_b32 s5, 0
	s_waitcnt lgkmcnt(0)
	v_mov_b32_e32 v0, s10
	s_and_saveexec_b32 s3, s0
	s_cbranch_execz .LBB296_822
; %bb.421:
	v_max_i32_e32 v30, v30, v51
	v_add_co_u32 v7, vcc_lo, v10, v50
	v_lshlrev_b64 v[2:3], 2, v[16:17]
	v_dual_mov_b32 v50, v35 :: v_dual_lshlrev_b32 v9, 3, v20
	s_delay_alu instid0(VALU_DEP_4) | instskip(SKIP_3) | instid1(VALU_DEP_4)
	v_cvt_f32_u32_e32 v0, v30
	v_sub_nc_u32_e32 v10, 0, v30
	v_add_co_ci_u32_e32 v8, vcc_lo, v11, v52, vcc_lo
	v_add_co_u32 v11, vcc_lo, v18, v2
	v_rcp_iflag_f32_e32 v0, v0
	v_dual_mov_b32 v31, 0 :: v_dual_add_nc_u32 v32, -1, v12
	v_add_co_ci_u32_e32 v12, vcc_lo, v19, v3, vcc_lo
	v_add_co_u32 v2, vcc_lo, v7, v9
	v_add_co_ci_u32_e32 v3, vcc_lo, 0, v8, vcc_lo
	s_waitcnt_depctr 0xfff
	v_dual_mov_b32 v1, 0 :: v_dual_mul_f32 v0, 0x4f7ffffe, v0
	v_add_co_u32 v7, vcc_lo, v14, v11
	v_lshl_add_u32 v17, v39, 5, s10
	v_dual_mov_b32 v29, 0 :: v_dual_mov_b32 v28, 0
	s_delay_alu instid0(VALU_DEP_4) | instskip(SKIP_2) | instid1(VALU_DEP_3)
	v_cvt_u32_f32_e32 v0, v0
	v_dual_mov_b32 v24, 0 :: v_dual_mov_b32 v21, 0
	v_add_co_ci_u32_e32 v8, vcc_lo, v15, v12, vcc_lo
	v_mul_lo_u32 v10, v10, v0
	v_mov_b32_e32 v25, 0
	s_mov_b32 s8, -1
	s_mov_b32 s9, 0xffffff
	s_delay_alu instid0(VALU_DEP_2) | instskip(NEXT) | instid1(VALU_DEP_1)
	v_mul_hi_u32 v10, v0, v10
	v_add_nc_u32_e32 v15, v0, v10
	s_branch .LBB296_424
.LBB296_422:                            ;   in Loop: Header=BB296_424 Depth=1
	s_or_b32 exec_lo, exec_lo, s0
	;;#ASMSTART
	v_pk_mul_f16 v12, v69, v12;

	;;#ASMEND
	;;#ASMSTART
	v_pk_mul_f16 v10, v68, v10;

	;;#ASMEND
	;; [unrolled: 4-line block ×4, first 2 shown]
	;;#ASMSTART
	v_pk_add_f16 v10, v12, v10;

	;;#ASMEND
	v_add_f32_e32 v11, v13, v14
	;;#ASMSTART
	v_pk_add_f16 v0, v10, v0;

	;;#ASMEND
	v_add_f32_e32 v10, v80, v81
	;;#ASMSTART
	v_pk_add_f16 v0, v0, v9;

	;;#ASMEND
	v_and_b32_e32 v9, 0xffff, v0
	v_lshrrev_b32_e32 v0, 16, v0
	v_dual_add_f32 v13, v82, v83 :: v_dual_add_f32 v12, v64, v65
	v_add_f32_e32 v28, v28, v10
	;;#ASMSTART
	v_cvt_f32_f16 v9, v9;
	;;#ASMEND
	;;#ASMSTART
	v_cvt_f32_f16 v0, v0;
	;;#ASMEND
	s_delay_alu instid0(VALU_DEP_2) | instskip(SKIP_2) | instid1(VALU_DEP_2)
	v_dual_add_f32 v21, v21, v11 :: v_dual_add_f32 v24, v24, v13
	v_dual_add_f32 v11, v70, v71 :: v_dual_add_f32 v0, v9, v0
	v_add_f32_e32 v31, v31, v12
	v_add_f32_e32 v29, v29, v11
	s_delay_alu instid0(VALU_DEP_3)
	v_add_f32_e32 v25, v25, v0
.LBB296_423:                            ;   in Loop: Header=BB296_424 Depth=1
	s_or_b32 exec_lo, exec_lo, s10
	v_add_nc_u32_e32 v16, 4, v16
	v_add_co_u32 v7, s0, v7, 16
	s_delay_alu instid0(VALU_DEP_1) | instskip(NEXT) | instid1(VALU_DEP_3)
	v_add_co_ci_u32_e64 v8, s0, 0, v8, s0
	v_cmp_ge_i32_e32 vcc_lo, v16, v48
	v_add_nc_u32_e32 v23, 32, v23
	v_add_nc_u32_e32 v17, 0x80, v17
	s_or_b32 s5, vcc_lo, s5
	s_delay_alu instid0(SALU_CYCLE_1)
	s_and_not1_b32 exec_lo, exec_lo, s5
	s_cbranch_execz .LBB296_821
.LBB296_424:                            ; =>This Inner Loop Header: Depth=1
	v_sub_nc_u32_e32 v0, 0, v23
	s_delay_alu instid0(VALU_DEP_1) | instskip(NEXT) | instid1(VALU_DEP_1)
	v_max_i32_e32 v0, v23, v0
	v_mul_hi_u32 v9, v0, v37
	s_delay_alu instid0(VALU_DEP_1) | instskip(NEXT) | instid1(VALU_DEP_1)
	v_mul_lo_u32 v10, v9, v36
	v_sub_nc_u32_e32 v0, v0, v10
	v_add_nc_u32_e32 v10, 1, v9
	s_delay_alu instid0(VALU_DEP_2) | instskip(SKIP_1) | instid1(VALU_DEP_2)
	v_sub_nc_u32_e32 v11, v0, v36
	v_cmp_ge_u32_e32 vcc_lo, v0, v36
	v_dual_cndmask_b32 v9, v9, v10 :: v_dual_cndmask_b32 v0, v0, v11
	v_ashrrev_i32_e32 v10, 31, v23
	s_delay_alu instid0(VALU_DEP_2) | instskip(NEXT) | instid1(VALU_DEP_3)
	v_add_nc_u32_e32 v11, 1, v9
	v_cmp_ge_u32_e32 vcc_lo, v0, v36
	s_delay_alu instid0(VALU_DEP_3) | instskip(NEXT) | instid1(VALU_DEP_3)
	v_xor_b32_e32 v10, v10, v38
	v_cndmask_b32_e32 v0, v9, v11, vcc_lo
	s_delay_alu instid0(VALU_DEP_1) | instskip(NEXT) | instid1(VALU_DEP_1)
	v_xor_b32_e32 v0, v0, v10
	v_sub_nc_u32_e32 v0, v0, v10
	s_delay_alu instid0(VALU_DEP_1) | instskip(SKIP_1) | instid1(VALU_DEP_2)
	v_add_nc_u32_e32 v9, v0, v6
	v_cmp_gt_i32_e64 s0, v0, v49
	v_sub_nc_u32_e32 v10, 0, v9
	s_delay_alu instid0(VALU_DEP_1) | instskip(NEXT) | instid1(VALU_DEP_1)
	v_max_i32_e32 v10, v9, v10
	v_mul_hi_u32 v11, v10, v15
	s_delay_alu instid0(VALU_DEP_1) | instskip(NEXT) | instid1(VALU_DEP_1)
	v_mul_lo_u32 v11, v11, v30
	v_sub_nc_u32_e32 v10, v10, v11
	s_delay_alu instid0(VALU_DEP_1) | instskip(SKIP_1) | instid1(VALU_DEP_2)
	v_sub_nc_u32_e32 v11, v10, v30
	v_cmp_ge_u32_e32 vcc_lo, v10, v30
	v_cndmask_b32_e32 v10, v10, v11, vcc_lo
	v_ashrrev_i32_e32 v9, 31, v9
	s_delay_alu instid0(VALU_DEP_2) | instskip(SKIP_1) | instid1(VALU_DEP_2)
	v_sub_nc_u32_e32 v11, v10, v30
	v_cmp_ge_u32_e32 vcc_lo, v10, v30
	v_cndmask_b32_e32 v10, v10, v11, vcc_lo
	s_delay_alu instid0(VALU_DEP_1) | instskip(NEXT) | instid1(VALU_DEP_1)
	v_xor_b32_e32 v10, v10, v9
	v_sub_nc_u32_e32 v9, v10, v9
	s_delay_alu instid0(VALU_DEP_1) | instskip(SKIP_1) | instid1(SALU_CYCLE_1)
	v_cmp_eq_u32_e32 vcc_lo, 0, v9
	s_or_b32 s0, vcc_lo, s0
	s_and_saveexec_b32 s10, s0
	s_cbranch_execz .LBB296_423
; %bb.425:                              ;   in Loop: Header=BB296_424 Depth=1
	flat_load_b32 v0, v[7:8]
	ds_load_2addr_b64 v[10:13], v17 offset1:1
	ds_load_2addr_b64 v[51:54], v17 offset0:2 offset1:3
	v_mov_b32_e32 v19, 0
	s_mov_b32 s0, exec_lo
	s_waitcnt lgkmcnt(1)
	;;#ASMSTART
	v_cvt_f16_f32 v64, v10;

	;;#ASMEND
	;;#ASMSTART
	v_cvt_f16_f32 v65, v11;

	;;#ASMEND
	;; [unrolled: 4-line block ×4, first 2 shown]
	s_waitcnt lgkmcnt(0)
	;;#ASMSTART
	v_cvt_f16_f32 v69, v51;

	;;#ASMEND
	;;#ASMSTART
	v_cvt_f16_f32 v67, v52;

	;;#ASMEND
	;; [unrolled: 4-line block ×4, first 2 shown]
	v_mov_b32_e32 v51, 0
	s_waitcnt vmcnt(0)
	v_mad_i64_i32 v[9:10], null, v0, v22, v[2:3]
	flat_load_b64 v[11:12], v[9:10]
	flat_load_b32 v18, v[26:27]
	s_waitcnt vmcnt(1) lgkmcnt(1)
	v_and_b32_e32 v0, 0xff, v11
	s_delay_alu instid0(VALU_DEP_1)
	v_cmpx_ne_u16_e32 0, v0
	s_cbranch_execz .LBB296_433
; %bb.426:                              ;   in Loop: Header=BB296_424 Depth=1
	v_bfrev_b32_e32 v19, 1
	s_mov_b32 s12, exec_lo
	v_cmpx_ne_u16_e32 0x80, v0
	s_cbranch_execz .LBB296_432
; %bb.427:                              ;   in Loop: Header=BB296_424 Depth=1
	v_and_b32_e32 v13, 0x7f, v11
	v_mov_b32_e32 v19, 0x7fc02000
	s_mov_b32 s13, exec_lo
	s_delay_alu instid0(VALU_DEP_2)
	v_cmpx_ne_u32_e32 0x7f, v13
	s_cbranch_execz .LBB296_431
; %bb.428:                              ;   in Loop: Header=BB296_424 Depth=1
	v_lshrrev_b32_e32 v0, 3, v13
	v_cmp_gt_u32_e32 vcc_lo, 8, v13
	v_dual_mov_b32 v14, v12 :: v_dual_mov_b32 v13, v11
	s_and_saveexec_b32 s15, vcc_lo
; %bb.429:                              ;   in Loop: Header=BB296_424 Depth=1
	v_and_b32_e32 v0, 7, v11
	s_delay_alu instid0(VALU_DEP_1) | instskip(NEXT) | instid1(VALU_DEP_1)
	v_clz_i32_u32_e32 v0, v0
	v_min_u32_e32 v0, 32, v0
	s_delay_alu instid0(VALU_DEP_1) | instskip(SKIP_1) | instid1(VALU_DEP_2)
	v_subrev_nc_u32_e32 v13, 28, v0
	v_sub_nc_u32_e32 v0, 29, v0
	v_lshlrev_b64 v[13:14], v13, v[11:12]
; %bb.430:                              ;   in Loop: Header=BB296_424 Depth=1
	s_or_b32 exec_lo, exec_lo, s15
	v_lshlrev_b32_e32 v14, 8, v11
	s_delay_alu instid0(VALU_DEP_3) | instskip(NEXT) | instid1(VALU_DEP_3)
	v_lshl_add_u32 v0, v0, 10, 0x2000
	v_lshlrev_b32_e32 v13, 7, v13
	s_delay_alu instid0(VALU_DEP_2) | instskip(NEXT) | instid1(VALU_DEP_1)
	v_and_or_b32 v0, 0x8000, v14, v0
	v_and_or_b32 v0, 0x380, v13, v0
	s_delay_alu instid0(VALU_DEP_1)
	v_cvt_f32_f16_e32 v19, v0
.LBB296_431:                            ;   in Loop: Header=BB296_424 Depth=1
	s_or_b32 exec_lo, exec_lo, s13
.LBB296_432:                            ;   in Loop: Header=BB296_424 Depth=1
	s_delay_alu instid0(SALU_CYCLE_1)
	s_or_b32 exec_lo, exec_lo, s12
.LBB296_433:                            ;   in Loop: Header=BB296_424 Depth=1
	s_delay_alu instid0(SALU_CYCLE_1) | instskip(SKIP_2) | instid1(VALU_DEP_1)
	s_or_b32 exec_lo, exec_lo, s0
	v_lshrrev_b16 v0, 8, v11
	s_mov_b32 s0, exec_lo
	v_cmpx_ne_u16_e32 0, v0
	s_cbranch_execz .LBB296_441
; %bb.434:                              ;   in Loop: Header=BB296_424 Depth=1
	v_bfrev_b32_e32 v51, 1
	s_mov_b32 s12, exec_lo
	v_cmpx_ne_u16_e32 0x80, v0
	s_cbranch_execz .LBB296_440
; %bb.435:                              ;   in Loop: Header=BB296_424 Depth=1
	v_and_b32_e32 v13, 0xffff, v0
	v_mov_b32_e32 v51, 0x7fc02000
	s_mov_b32 s13, exec_lo
	s_delay_alu instid0(VALU_DEP_2) | instskip(NEXT) | instid1(VALU_DEP_1)
	v_and_b32_e32 v52, 0x7f, v13
	v_cmpx_ne_u32_e32 0x7f, v52
	s_cbranch_execz .LBB296_439
; %bb.436:                              ;   in Loop: Header=BB296_424 Depth=1
	v_and_b32_e32 v0, 7, v13
	v_lshrrev_b32_e32 v14, 3, v52
	s_mov_b32 s15, exec_lo
	v_cmpx_gt_u32_e32 8, v52
; %bb.437:                              ;   in Loop: Header=BB296_424 Depth=1
	s_delay_alu instid0(VALU_DEP_3) | instskip(NEXT) | instid1(VALU_DEP_1)
	v_clz_i32_u32_e32 v14, v0
	v_min_u32_e32 v14, 32, v14
	s_delay_alu instid0(VALU_DEP_1) | instskip(SKIP_1) | instid1(VALU_DEP_2)
	v_subrev_nc_u32_e32 v51, 28, v14
	v_sub_nc_u32_e32 v14, 29, v14
	v_lshlrev_b64 v[51:52], v51, v[0:1]
	s_delay_alu instid0(VALU_DEP_1)
	v_and_b32_e32 v0, 7, v51
; %bb.438:                              ;   in Loop: Header=BB296_424 Depth=1
	s_or_b32 exec_lo, exec_lo, s15
	v_lshlrev_b32_e32 v13, 8, v13
	v_lshl_add_u32 v14, v14, 10, 0x2000
	s_delay_alu instid0(VALU_DEP_1) | instskip(NEXT) | instid1(VALU_DEP_1)
	v_and_or_b32 v13, 0x8000, v13, v14
	v_lshl_or_b32 v0, v0, 7, v13
	s_delay_alu instid0(VALU_DEP_1)
	v_cvt_f32_f16_e32 v51, v0
.LBB296_439:                            ;   in Loop: Header=BB296_424 Depth=1
	s_or_b32 exec_lo, exec_lo, s13
.LBB296_440:                            ;   in Loop: Header=BB296_424 Depth=1
	s_delay_alu instid0(SALU_CYCLE_1)
	s_or_b32 exec_lo, exec_lo, s12
.LBB296_441:                            ;   in Loop: Header=BB296_424 Depth=1
	s_delay_alu instid0(SALU_CYCLE_1) | instskip(SKIP_3) | instid1(VALU_DEP_2)
	s_or_b32 exec_lo, exec_lo, s0
	v_lshrrev_b32_e32 v13, 16, v11
	v_mov_b32_e32 v52, 0
	s_mov_b32 s0, exec_lo
	v_dual_mov_b32 v53, 0 :: v_dual_and_b32 v0, 0xff, v13
	s_delay_alu instid0(VALU_DEP_1)
	v_cmpx_ne_u16_e32 0, v0
	s_cbranch_execz .LBB296_449
; %bb.442:                              ;   in Loop: Header=BB296_424 Depth=1
	v_bfrev_b32_e32 v52, 1
	s_mov_b32 s12, exec_lo
	v_cmpx_ne_u16_e32 0x80, v0
	s_cbranch_execz .LBB296_448
; %bb.443:                              ;   in Loop: Header=BB296_424 Depth=1
	v_bfe_u32 v54, v11, 16, 7
	v_mov_b32_e32 v52, 0x7fc02000
	s_mov_b32 s13, exec_lo
	s_delay_alu instid0(VALU_DEP_2)
	v_cmpx_ne_u32_e32 0x7f, v54
	s_cbranch_execz .LBB296_447
; %bb.444:                              ;   in Loop: Header=BB296_424 Depth=1
	v_and_b32_e32 v0, 7, v13
	v_lshrrev_b32_e32 v14, 3, v54
	s_mov_b32 s15, exec_lo
	v_cmpx_gt_u32_e32 8, v54
; %bb.445:                              ;   in Loop: Header=BB296_424 Depth=1
	s_delay_alu instid0(VALU_DEP_3) | instskip(NEXT) | instid1(VALU_DEP_1)
	v_clz_i32_u32_e32 v14, v0
	v_min_u32_e32 v14, 32, v14
	s_delay_alu instid0(VALU_DEP_1) | instskip(SKIP_1) | instid1(VALU_DEP_2)
	v_subrev_nc_u32_e32 v52, 28, v14
	v_sub_nc_u32_e32 v14, 29, v14
	v_lshlrev_b64 v[54:55], v52, v[0:1]
	s_delay_alu instid0(VALU_DEP_1)
	v_and_b32_e32 v0, 7, v54
; %bb.446:                              ;   in Loop: Header=BB296_424 Depth=1
	s_or_b32 exec_lo, exec_lo, s15
	v_lshlrev_b32_e32 v13, 8, v13
	v_lshl_add_u32 v14, v14, 10, 0x2000
	s_delay_alu instid0(VALU_DEP_1) | instskip(NEXT) | instid1(VALU_DEP_1)
	v_and_or_b32 v13, 0x8000, v13, v14
	v_lshl_or_b32 v0, v0, 7, v13
	s_delay_alu instid0(VALU_DEP_1)
	v_cvt_f32_f16_e32 v52, v0
.LBB296_447:                            ;   in Loop: Header=BB296_424 Depth=1
	s_or_b32 exec_lo, exec_lo, s13
.LBB296_448:                            ;   in Loop: Header=BB296_424 Depth=1
	s_delay_alu instid0(SALU_CYCLE_1)
	s_or_b32 exec_lo, exec_lo, s12
.LBB296_449:                            ;   in Loop: Header=BB296_424 Depth=1
	s_delay_alu instid0(SALU_CYCLE_1) | instskip(NEXT) | instid1(SALU_CYCLE_1)
	s_or_b32 exec_lo, exec_lo, s0
	s_mov_b32 s0, exec_lo
	v_cmpx_lt_u32_e32 0xffffff, v11
	s_cbranch_execz .LBB296_457
; %bb.450:                              ;   in Loop: Header=BB296_424 Depth=1
	v_lshrrev_b32_e32 v13, 24, v11
	v_bfrev_b32_e32 v53, 1
	s_mov_b32 s12, exec_lo
	s_delay_alu instid0(VALU_DEP_2)
	v_cmpx_ne_u32_e32 0x80, v13
	s_cbranch_execz .LBB296_456
; %bb.451:                              ;   in Loop: Header=BB296_424 Depth=1
	v_and_b32_e32 v54, 0x7f, v13
	v_mov_b32_e32 v53, 0x7fc02000
	s_mov_b32 s13, exec_lo
	s_delay_alu instid0(VALU_DEP_2)
	v_cmpx_ne_u32_e32 0x7f, v54
	s_cbranch_execz .LBB296_455
; %bb.452:                              ;   in Loop: Header=BB296_424 Depth=1
	v_and_b32_e32 v0, 7, v13
	v_lshrrev_b32_e32 v14, 3, v54
	s_mov_b32 s15, exec_lo
	v_cmpx_gt_u32_e32 8, v54
; %bb.453:                              ;   in Loop: Header=BB296_424 Depth=1
	s_delay_alu instid0(VALU_DEP_3) | instskip(NEXT) | instid1(VALU_DEP_1)
	v_clz_i32_u32_e32 v14, v0
	v_min_u32_e32 v14, 32, v14
	s_delay_alu instid0(VALU_DEP_1) | instskip(SKIP_1) | instid1(VALU_DEP_2)
	v_subrev_nc_u32_e32 v53, 28, v14
	v_sub_nc_u32_e32 v14, 29, v14
	v_lshlrev_b64 v[53:54], v53, v[0:1]
	s_delay_alu instid0(VALU_DEP_1)
	v_and_b32_e32 v0, 7, v53
; %bb.454:                              ;   in Loop: Header=BB296_424 Depth=1
	s_or_b32 exec_lo, exec_lo, s15
	v_lshlrev_b32_e32 v13, 8, v13
	v_lshl_add_u32 v14, v14, 10, 0x2000
	s_delay_alu instid0(VALU_DEP_1) | instskip(NEXT) | instid1(VALU_DEP_1)
	v_and_or_b32 v13, 0x8000, v13, v14
	v_lshl_or_b32 v0, v0, 7, v13
	s_delay_alu instid0(VALU_DEP_1)
	v_cvt_f32_f16_e32 v53, v0
.LBB296_455:                            ;   in Loop: Header=BB296_424 Depth=1
	s_or_b32 exec_lo, exec_lo, s13
.LBB296_456:                            ;   in Loop: Header=BB296_424 Depth=1
	s_delay_alu instid0(SALU_CYCLE_1)
	s_or_b32 exec_lo, exec_lo, s12
.LBB296_457:                            ;   in Loop: Header=BB296_424 Depth=1
	s_delay_alu instid0(SALU_CYCLE_1) | instskip(SKIP_4) | instid1(VALU_DEP_3)
	s_or_b32 exec_lo, exec_lo, s0
	v_dual_mov_b32 v13, 0 :: v_dual_and_b32 v14, 0xff, v12
	v_mov_b32_e32 v0, v12
	v_mov_b32_e32 v54, 0
	s_mov_b32 s0, exec_lo
	v_cmpx_ne_u16_e32 0, v14
	s_cbranch_execz .LBB296_465
; %bb.458:                              ;   in Loop: Header=BB296_424 Depth=1
	v_bfrev_b32_e32 v13, 1
	s_mov_b32 s12, exec_lo
	v_cmpx_ne_u16_e32 0x80, v14
	s_cbranch_execz .LBB296_464
; %bb.459:                              ;   in Loop: Header=BB296_424 Depth=1
	v_and_b32_e32 v14, 0x7f, v12
	v_mov_b32_e32 v13, 0x7fc02000
	s_mov_b32 s13, exec_lo
	s_delay_alu instid0(VALU_DEP_2)
	v_cmpx_ne_u32_e32 0x7f, v14
	s_cbranch_execz .LBB296_463
; %bb.460:                              ;   in Loop: Header=BB296_424 Depth=1
	v_lshrrev_b32_e32 v55, 3, v14
	v_cmp_gt_u32_e32 vcc_lo, 8, v14
	v_dual_mov_b32 v14, v1 :: v_dual_mov_b32 v13, v0
	s_and_saveexec_b32 s15, vcc_lo
; %bb.461:                              ;   in Loop: Header=BB296_424 Depth=1
	v_and_b32_e32 v13, 7, v12
	s_delay_alu instid0(VALU_DEP_1) | instskip(NEXT) | instid1(VALU_DEP_1)
	v_clz_i32_u32_e32 v13, v13
	v_min_u32_e32 v55, 32, v13
	s_delay_alu instid0(VALU_DEP_1) | instskip(SKIP_1) | instid1(VALU_DEP_2)
	v_subrev_nc_u32_e32 v13, 28, v55
	v_sub_nc_u32_e32 v55, 29, v55
	v_lshlrev_b64 v[13:14], v13, v[0:1]
; %bb.462:                              ;   in Loop: Header=BB296_424 Depth=1
	s_or_b32 exec_lo, exec_lo, s15
	v_lshlrev_b32_e32 v14, 8, v12
	s_delay_alu instid0(VALU_DEP_3) | instskip(NEXT) | instid1(VALU_DEP_3)
	v_lshl_add_u32 v55, v55, 10, 0x2000
	v_lshlrev_b32_e32 v13, 7, v13
	s_delay_alu instid0(VALU_DEP_2) | instskip(NEXT) | instid1(VALU_DEP_1)
	v_and_or_b32 v14, 0x8000, v14, v55
	v_and_or_b32 v13, 0x380, v13, v14
	s_delay_alu instid0(VALU_DEP_1)
	v_cvt_f32_f16_e32 v13, v13
.LBB296_463:                            ;   in Loop: Header=BB296_424 Depth=1
	s_or_b32 exec_lo, exec_lo, s13
.LBB296_464:                            ;   in Loop: Header=BB296_424 Depth=1
	s_delay_alu instid0(SALU_CYCLE_1)
	s_or_b32 exec_lo, exec_lo, s12
.LBB296_465:                            ;   in Loop: Header=BB296_424 Depth=1
	s_delay_alu instid0(SALU_CYCLE_1) | instskip(SKIP_2) | instid1(VALU_DEP_1)
	s_or_b32 exec_lo, exec_lo, s0
	v_lshrrev_b16 v0, 8, v0
	s_mov_b32 s0, exec_lo
	v_cmpx_ne_u16_e32 0, v0
	s_cbranch_execz .LBB296_473
; %bb.466:                              ;   in Loop: Header=BB296_424 Depth=1
	v_bfrev_b32_e32 v54, 1
	s_mov_b32 s12, exec_lo
	v_cmpx_ne_u16_e32 0x80, v0
	s_cbranch_execz .LBB296_472
; %bb.467:                              ;   in Loop: Header=BB296_424 Depth=1
	v_and_b32_e32 v14, 0xffff, v0
	v_mov_b32_e32 v54, 0x7fc02000
	s_mov_b32 s13, exec_lo
	s_delay_alu instid0(VALU_DEP_2) | instskip(NEXT) | instid1(VALU_DEP_1)
	v_and_b32_e32 v55, 0x7f, v14
	v_cmpx_ne_u32_e32 0x7f, v55
	s_cbranch_execz .LBB296_471
; %bb.468:                              ;   in Loop: Header=BB296_424 Depth=1
	v_and_b32_e32 v0, 7, v14
	v_lshrrev_b32_e32 v54, 3, v55
	s_mov_b32 s15, exec_lo
	v_cmpx_gt_u32_e32 8, v55
; %bb.469:                              ;   in Loop: Header=BB296_424 Depth=1
	s_delay_alu instid0(VALU_DEP_3) | instskip(NEXT) | instid1(VALU_DEP_1)
	v_clz_i32_u32_e32 v54, v0
	v_min_u32_e32 v54, 32, v54
	s_delay_alu instid0(VALU_DEP_1) | instskip(SKIP_1) | instid1(VALU_DEP_2)
	v_subrev_nc_u32_e32 v55, 28, v54
	v_sub_nc_u32_e32 v54, 29, v54
	v_lshlrev_b64 v[80:81], v55, v[0:1]
	s_delay_alu instid0(VALU_DEP_1)
	v_and_b32_e32 v0, 7, v80
; %bb.470:                              ;   in Loop: Header=BB296_424 Depth=1
	s_or_b32 exec_lo, exec_lo, s15
	v_lshlrev_b32_e32 v14, 8, v14
	v_lshl_add_u32 v54, v54, 10, 0x2000
	s_delay_alu instid0(VALU_DEP_1) | instskip(NEXT) | instid1(VALU_DEP_1)
	v_and_or_b32 v14, 0x8000, v14, v54
	v_lshl_or_b32 v0, v0, 7, v14
	s_delay_alu instid0(VALU_DEP_1)
	v_cvt_f32_f16_e32 v54, v0
.LBB296_471:                            ;   in Loop: Header=BB296_424 Depth=1
	s_or_b32 exec_lo, exec_lo, s13
.LBB296_472:                            ;   in Loop: Header=BB296_424 Depth=1
	s_delay_alu instid0(SALU_CYCLE_1)
	s_or_b32 exec_lo, exec_lo, s12
.LBB296_473:                            ;   in Loop: Header=BB296_424 Depth=1
	s_delay_alu instid0(SALU_CYCLE_1) | instskip(SKIP_3) | instid1(VALU_DEP_2)
	s_or_b32 exec_lo, exec_lo, s0
	v_lshrrev_b32_e32 v80, 16, v12
	v_mov_b32_e32 v14, 0
	s_mov_b32 s0, exec_lo
	v_dual_mov_b32 v55, 0 :: v_dual_and_b32 v0, 0xff, v80
	s_delay_alu instid0(VALU_DEP_1)
	v_cmpx_ne_u16_e32 0, v0
	s_cbranch_execz .LBB296_481
; %bb.474:                              ;   in Loop: Header=BB296_424 Depth=1
	v_bfrev_b32_e32 v14, 1
	s_mov_b32 s12, exec_lo
	v_cmpx_ne_u16_e32 0x80, v0
	s_cbranch_execz .LBB296_480
; %bb.475:                              ;   in Loop: Header=BB296_424 Depth=1
	v_bfe_u32 v81, v12, 16, 7
	v_mov_b32_e32 v14, 0x7fc02000
	s_mov_b32 s13, exec_lo
	s_delay_alu instid0(VALU_DEP_2)
	v_cmpx_ne_u32_e32 0x7f, v81
	s_cbranch_execz .LBB296_479
; %bb.476:                              ;   in Loop: Header=BB296_424 Depth=1
	v_and_b32_e32 v0, 7, v80
	v_lshrrev_b32_e32 v14, 3, v81
	s_mov_b32 s15, exec_lo
	v_cmpx_gt_u32_e32 8, v81
; %bb.477:                              ;   in Loop: Header=BB296_424 Depth=1
	s_delay_alu instid0(VALU_DEP_3) | instskip(NEXT) | instid1(VALU_DEP_1)
	v_clz_i32_u32_e32 v14, v0
	v_min_u32_e32 v14, 32, v14
	s_delay_alu instid0(VALU_DEP_1) | instskip(SKIP_1) | instid1(VALU_DEP_2)
	v_subrev_nc_u32_e32 v81, 28, v14
	v_sub_nc_u32_e32 v14, 29, v14
	v_lshlrev_b64 v[81:82], v81, v[0:1]
	s_delay_alu instid0(VALU_DEP_1)
	v_and_b32_e32 v0, 7, v81
; %bb.478:                              ;   in Loop: Header=BB296_424 Depth=1
	s_or_b32 exec_lo, exec_lo, s15
	v_lshlrev_b32_e32 v80, 8, v80
	v_lshl_add_u32 v14, v14, 10, 0x2000
	s_delay_alu instid0(VALU_DEP_1) | instskip(NEXT) | instid1(VALU_DEP_1)
	v_and_or_b32 v14, 0x8000, v80, v14
	v_lshl_or_b32 v0, v0, 7, v14
	s_delay_alu instid0(VALU_DEP_1)
	v_cvt_f32_f16_e32 v14, v0
.LBB296_479:                            ;   in Loop: Header=BB296_424 Depth=1
	s_or_b32 exec_lo, exec_lo, s13
.LBB296_480:                            ;   in Loop: Header=BB296_424 Depth=1
	s_delay_alu instid0(SALU_CYCLE_1)
	s_or_b32 exec_lo, exec_lo, s12
.LBB296_481:                            ;   in Loop: Header=BB296_424 Depth=1
	s_delay_alu instid0(SALU_CYCLE_1) | instskip(NEXT) | instid1(SALU_CYCLE_1)
	s_or_b32 exec_lo, exec_lo, s0
	s_mov_b32 s0, exec_lo
	v_cmpx_lt_u64_e64 s[8:9], v[11:12]
	s_cbranch_execz .LBB296_489
; %bb.482:                              ;   in Loop: Header=BB296_424 Depth=1
	v_lshrrev_b32_e32 v11, 24, v12
	v_bfrev_b32_e32 v55, 1
	s_mov_b32 s12, exec_lo
	s_delay_alu instid0(VALU_DEP_2)
	v_cmpx_ne_u32_e32 0x80, v11
	s_cbranch_execz .LBB296_488
; %bb.483:                              ;   in Loop: Header=BB296_424 Depth=1
	v_and_b32_e32 v80, 0x7f, v11
	v_mov_b32_e32 v55, 0x7fc02000
	s_mov_b32 s13, exec_lo
	s_delay_alu instid0(VALU_DEP_2)
	v_cmpx_ne_u32_e32 0x7f, v80
	s_cbranch_execz .LBB296_487
; %bb.484:                              ;   in Loop: Header=BB296_424 Depth=1
	v_and_b32_e32 v0, 7, v11
	v_lshrrev_b32_e32 v12, 3, v80
	s_mov_b32 s15, exec_lo
	v_cmpx_gt_u32_e32 8, v80
; %bb.485:                              ;   in Loop: Header=BB296_424 Depth=1
	s_delay_alu instid0(VALU_DEP_3) | instskip(NEXT) | instid1(VALU_DEP_1)
	v_clz_i32_u32_e32 v12, v0
	v_min_u32_e32 v12, 32, v12
	s_delay_alu instid0(VALU_DEP_1) | instskip(SKIP_1) | instid1(VALU_DEP_2)
	v_subrev_nc_u32_e32 v55, 28, v12
	v_sub_nc_u32_e32 v12, 29, v12
	v_lshlrev_b64 v[80:81], v55, v[0:1]
	s_delay_alu instid0(VALU_DEP_1)
	v_and_b32_e32 v0, 7, v80
; %bb.486:                              ;   in Loop: Header=BB296_424 Depth=1
	s_or_b32 exec_lo, exec_lo, s15
	v_lshlrev_b32_e32 v11, 8, v11
	v_lshl_add_u32 v12, v12, 10, 0x2000
	s_delay_alu instid0(VALU_DEP_1) | instskip(NEXT) | instid1(VALU_DEP_1)
	v_and_or_b32 v11, 0x8000, v11, v12
	v_lshl_or_b32 v0, v0, 7, v11
	s_delay_alu instid0(VALU_DEP_1)
	v_cvt_f32_f16_e32 v55, v0
.LBB296_487:                            ;   in Loop: Header=BB296_424 Depth=1
	s_or_b32 exec_lo, exec_lo, s13
.LBB296_488:                            ;   in Loop: Header=BB296_424 Depth=1
	s_delay_alu instid0(SALU_CYCLE_1)
	s_or_b32 exec_lo, exec_lo, s12
.LBB296_489:                            ;   in Loop: Header=BB296_424 Depth=1
	s_delay_alu instid0(SALU_CYCLE_1)
	s_or_b32 exec_lo, exec_lo, s0
	s_waitcnt vmcnt(0) lgkmcnt(0)
	v_fma_mixlo_f16 v12, v18, v51, 0
	v_fma_mixlo_f16 v0, v18, v53, 0
	;; [unrolled: 1-line block ×5, first 2 shown]
	v_lshlrev_b32_e32 v51, 16, v12
	v_fma_mixlo_f16 v12, v18, v19, 0
	v_fma_mixlo_f16 v19, v18, v54, 0
	;; [unrolled: 1-line block ×3, first 2 shown]
	v_lshlrev_b32_e32 v0, 16, v0
	v_and_b32_e32 v11, 0xffff, v11
	v_and_b32_e32 v14, 0xffff, v12
	v_lshlrev_b32_e32 v18, 16, v19
	v_and_b32_e32 v19, 0xffff, v52
	v_lshlrev_b32_e32 v52, 16, v53
	v_and_b32_e32 v53, 0xffff, v13
	v_cmp_eq_u32_e32 vcc_lo, v32, v16
	v_or_b32_e32 v12, v0, v11
	v_or_b32_e32 v14, v51, v14
	;; [unrolled: 1-line block ×4, first 2 shown]
	v_add_nc_u32_e32 v55, 1, v23
	v_or_b32_e32 v54, 3, v23
	v_or_b32_e32 v53, 2, v23
	;; [unrolled: 1-line block ×6, first 2 shown]
	s_and_saveexec_b32 s12, vcc_lo
	s_cbranch_execz .LBB296_491
; %bb.490:                              ;   in Loop: Header=BB296_424 Depth=1
	v_cmp_lt_i32_e64 s0, v23, v35
	v_lshrrev_b32_e32 v80, 16, v14
	v_lshrrev_b32_e32 v81, 16, v12
	;; [unrolled: 1-line block ×4, first 2 shown]
	v_cndmask_b32_e64 v14, 0, v14, s0
	v_cmp_lt_i32_e64 s0, v55, v50
	s_delay_alu instid0(VALU_DEP_1) | instskip(SKIP_1) | instid1(VALU_DEP_2)
	v_cndmask_b32_e64 v80, 0, v80, s0
	v_cmp_lt_i32_e64 s0, v54, v50
	v_perm_b32 v14, v80, v14, 0x5040100
	s_delay_alu instid0(VALU_DEP_2) | instskip(SKIP_1) | instid1(VALU_DEP_1)
	v_cndmask_b32_e64 v81, 0, v81, s0
	v_cmp_lt_i32_e64 s0, v53, v35
	v_cndmask_b32_e64 v12, 0, v12, s0
	v_cmp_lt_i32_e64 s0, v52, v50
	s_delay_alu instid0(VALU_DEP_2) | instskip(NEXT) | instid1(VALU_DEP_2)
	v_perm_b32 v12, v81, v12, 0x5040100
	v_cndmask_b32_e64 v82, 0, v82, s0
	v_cmp_lt_i32_e64 s0, v51, v35
	s_delay_alu instid0(VALU_DEP_1) | instskip(SKIP_1) | instid1(VALU_DEP_2)
	v_cndmask_b32_e64 v0, 0, v0, s0
	v_cmp_lt_i32_e64 s0, v19, v50
	v_perm_b32 v0, v82, v0, 0x5040100
	s_delay_alu instid0(VALU_DEP_2) | instskip(SKIP_1) | instid1(VALU_DEP_1)
	v_cndmask_b32_e64 v11, 0, v11, s0
	v_cmp_lt_i32_e64 s0, v18, v35
	v_cndmask_b32_e64 v13, 0, v13, s0
	s_delay_alu instid0(VALU_DEP_1)
	v_perm_b32 v11, v11, v13, 0x5040100
.LBB296_491:                            ;   in Loop: Header=BB296_424 Depth=1
	s_or_b32 exec_lo, exec_lo, s12
	v_and_b32_e32 v13, 0xffff, v64
	v_and_b32_e32 v64, 0xffff, v68
	v_and_b32_e32 v80, 0xffff, v69
	v_and_b32_e32 v71, 0xffff, v71
	s_mov_b32 s12, exec_lo
	s_delay_alu instid0(VALU_DEP_3) | instskip(NEXT) | instid1(VALU_DEP_3)
	v_lshl_or_b32 v68, v66, 16, v64
	v_lshl_or_b32 v67, v67, 16, v80
	v_mov_b32_e32 v80, 0
	v_lshl_or_b32 v69, v65, 16, v13
	;;#ASMSTART
	v_pk_mul_f16 v13, v69, v14;

	;;#ASMEND
	;;#ASMSTART
	v_pk_mul_f16 v12, v68, v12;

	;;#ASMEND
	;; [unrolled: 4-line block ×3, first 2 shown]
	v_lshl_or_b32 v66, v70, 16, v71
	v_mov_b32_e32 v71, 0
	;;#ASMSTART
	v_pk_mul_f16 v11, v66, v11;

	;;#ASMEND
	;;#ASMSTART
	v_pk_add_f16 v12, v13, v12;

	;;#ASMEND
	;;#ASMSTART
	v_pk_add_f16 v0, v12, v0;
	;; [unrolled: 4-line block ×3, first 2 shown]

	;;#ASMEND
	v_and_b32_e32 v11, 0xffff, v0
	v_lshrrev_b32_e32 v0, 16, v0
	;;#ASMSTART
	v_cvt_f32_f16 v64, v11;
	;;#ASMEND
	;;#ASMSTART
	v_cvt_f32_f16 v65, v0;
	;;#ASMEND
	flat_load_b64 v[11:12], v[9:10] offset:256
	flat_load_b32 v70, v[26:27]
	s_waitcnt vmcnt(1) lgkmcnt(1)
	v_and_b32_e32 v0, 0xff, v11
	s_delay_alu instid0(VALU_DEP_1)
	v_cmpx_ne_u16_e32 0, v0
	s_cbranch_execz .LBB296_499
; %bb.492:                              ;   in Loop: Header=BB296_424 Depth=1
	v_bfrev_b32_e32 v71, 1
	s_mov_b32 s13, exec_lo
	v_cmpx_ne_u16_e32 0x80, v0
	s_cbranch_execz .LBB296_498
; %bb.493:                              ;   in Loop: Header=BB296_424 Depth=1
	v_and_b32_e32 v13, 0x7f, v11
	v_mov_b32_e32 v71, 0x7fc02000
	s_mov_b32 s15, exec_lo
	s_delay_alu instid0(VALU_DEP_2)
	v_cmpx_ne_u32_e32 0x7f, v13
	s_cbranch_execz .LBB296_497
; %bb.494:                              ;   in Loop: Header=BB296_424 Depth=1
	v_lshrrev_b32_e32 v0, 3, v13
	v_cmp_gt_u32_e64 s0, 8, v13
	v_dual_mov_b32 v14, v12 :: v_dual_mov_b32 v13, v11
	s_delay_alu instid0(VALU_DEP_2)
	s_and_saveexec_b32 s16, s0
; %bb.495:                              ;   in Loop: Header=BB296_424 Depth=1
	v_and_b32_e32 v0, 7, v11
	s_delay_alu instid0(VALU_DEP_1) | instskip(NEXT) | instid1(VALU_DEP_1)
	v_clz_i32_u32_e32 v0, v0
	v_min_u32_e32 v0, 32, v0
	s_delay_alu instid0(VALU_DEP_1) | instskip(SKIP_1) | instid1(VALU_DEP_2)
	v_subrev_nc_u32_e32 v13, 28, v0
	v_sub_nc_u32_e32 v0, 29, v0
	v_lshlrev_b64 v[13:14], v13, v[11:12]
; %bb.496:                              ;   in Loop: Header=BB296_424 Depth=1
	s_or_b32 exec_lo, exec_lo, s16
	v_lshlrev_b32_e32 v14, 8, v11
	s_delay_alu instid0(VALU_DEP_3) | instskip(NEXT) | instid1(VALU_DEP_3)
	v_lshl_add_u32 v0, v0, 10, 0x2000
	v_lshlrev_b32_e32 v13, 7, v13
	s_delay_alu instid0(VALU_DEP_2) | instskip(NEXT) | instid1(VALU_DEP_1)
	v_and_or_b32 v0, 0x8000, v14, v0
	v_and_or_b32 v0, 0x380, v13, v0
	s_delay_alu instid0(VALU_DEP_1)
	v_cvt_f32_f16_e32 v71, v0
.LBB296_497:                            ;   in Loop: Header=BB296_424 Depth=1
	s_or_b32 exec_lo, exec_lo, s15
.LBB296_498:                            ;   in Loop: Header=BB296_424 Depth=1
	s_delay_alu instid0(SALU_CYCLE_1)
	s_or_b32 exec_lo, exec_lo, s13
.LBB296_499:                            ;   in Loop: Header=BB296_424 Depth=1
	s_delay_alu instid0(SALU_CYCLE_1) | instskip(SKIP_2) | instid1(VALU_DEP_1)
	s_or_b32 exec_lo, exec_lo, s12
	v_lshrrev_b16 v0, 8, v11
	s_mov_b32 s12, exec_lo
	v_cmpx_ne_u16_e32 0, v0
	s_cbranch_execz .LBB296_507
; %bb.500:                              ;   in Loop: Header=BB296_424 Depth=1
	v_bfrev_b32_e32 v80, 1
	s_mov_b32 s13, exec_lo
	v_cmpx_ne_u16_e32 0x80, v0
	s_cbranch_execz .LBB296_506
; %bb.501:                              ;   in Loop: Header=BB296_424 Depth=1
	v_and_b32_e32 v13, 0xffff, v0
	v_mov_b32_e32 v80, 0x7fc02000
	s_mov_b32 s15, exec_lo
	s_delay_alu instid0(VALU_DEP_2) | instskip(NEXT) | instid1(VALU_DEP_1)
	v_and_b32_e32 v81, 0x7f, v13
	v_cmpx_ne_u32_e32 0x7f, v81
	s_cbranch_execz .LBB296_505
; %bb.502:                              ;   in Loop: Header=BB296_424 Depth=1
	v_and_b32_e32 v0, 7, v13
	v_lshrrev_b32_e32 v14, 3, v81
	s_mov_b32 s16, exec_lo
	v_cmpx_gt_u32_e32 8, v81
; %bb.503:                              ;   in Loop: Header=BB296_424 Depth=1
	s_delay_alu instid0(VALU_DEP_3) | instskip(NEXT) | instid1(VALU_DEP_1)
	v_clz_i32_u32_e32 v14, v0
	v_min_u32_e32 v14, 32, v14
	s_delay_alu instid0(VALU_DEP_1) | instskip(SKIP_1) | instid1(VALU_DEP_2)
	v_subrev_nc_u32_e32 v80, 28, v14
	v_sub_nc_u32_e32 v14, 29, v14
	v_lshlrev_b64 v[80:81], v80, v[0:1]
	s_delay_alu instid0(VALU_DEP_1)
	v_and_b32_e32 v0, 7, v80
; %bb.504:                              ;   in Loop: Header=BB296_424 Depth=1
	s_or_b32 exec_lo, exec_lo, s16
	v_lshlrev_b32_e32 v13, 8, v13
	v_lshl_add_u32 v14, v14, 10, 0x2000
	s_delay_alu instid0(VALU_DEP_1) | instskip(NEXT) | instid1(VALU_DEP_1)
	v_and_or_b32 v13, 0x8000, v13, v14
	v_lshl_or_b32 v0, v0, 7, v13
	s_delay_alu instid0(VALU_DEP_1)
	v_cvt_f32_f16_e32 v80, v0
.LBB296_505:                            ;   in Loop: Header=BB296_424 Depth=1
	s_or_b32 exec_lo, exec_lo, s15
.LBB296_506:                            ;   in Loop: Header=BB296_424 Depth=1
	s_delay_alu instid0(SALU_CYCLE_1)
	s_or_b32 exec_lo, exec_lo, s13
.LBB296_507:                            ;   in Loop: Header=BB296_424 Depth=1
	s_delay_alu instid0(SALU_CYCLE_1) | instskip(SKIP_3) | instid1(VALU_DEP_2)
	s_or_b32 exec_lo, exec_lo, s12
	v_lshrrev_b32_e32 v13, 16, v11
	v_mov_b32_e32 v82, 0
	s_mov_b32 s12, exec_lo
	v_dual_mov_b32 v81, 0 :: v_dual_and_b32 v0, 0xff, v13
	s_delay_alu instid0(VALU_DEP_1)
	v_cmpx_ne_u16_e32 0, v0
	s_cbranch_execz .LBB296_515
; %bb.508:                              ;   in Loop: Header=BB296_424 Depth=1
	v_bfrev_b32_e32 v81, 1
	s_mov_b32 s13, exec_lo
	v_cmpx_ne_u16_e32 0x80, v0
	s_cbranch_execz .LBB296_514
; %bb.509:                              ;   in Loop: Header=BB296_424 Depth=1
	v_bfe_u32 v83, v11, 16, 7
	v_mov_b32_e32 v81, 0x7fc02000
	s_mov_b32 s15, exec_lo
	s_delay_alu instid0(VALU_DEP_2)
	v_cmpx_ne_u32_e32 0x7f, v83
	s_cbranch_execz .LBB296_513
; %bb.510:                              ;   in Loop: Header=BB296_424 Depth=1
	v_and_b32_e32 v0, 7, v13
	v_lshrrev_b32_e32 v14, 3, v83
	s_mov_b32 s16, exec_lo
	v_cmpx_gt_u32_e32 8, v83
; %bb.511:                              ;   in Loop: Header=BB296_424 Depth=1
	s_delay_alu instid0(VALU_DEP_3) | instskip(NEXT) | instid1(VALU_DEP_1)
	v_clz_i32_u32_e32 v14, v0
	v_min_u32_e32 v14, 32, v14
	s_delay_alu instid0(VALU_DEP_1) | instskip(SKIP_1) | instid1(VALU_DEP_2)
	v_subrev_nc_u32_e32 v81, 28, v14
	v_sub_nc_u32_e32 v14, 29, v14
	v_lshlrev_b64 v[83:84], v81, v[0:1]
	s_delay_alu instid0(VALU_DEP_1)
	v_and_b32_e32 v0, 7, v83
; %bb.512:                              ;   in Loop: Header=BB296_424 Depth=1
	s_or_b32 exec_lo, exec_lo, s16
	v_lshlrev_b32_e32 v13, 8, v13
	v_lshl_add_u32 v14, v14, 10, 0x2000
	s_delay_alu instid0(VALU_DEP_1) | instskip(NEXT) | instid1(VALU_DEP_1)
	v_and_or_b32 v13, 0x8000, v13, v14
	v_lshl_or_b32 v0, v0, 7, v13
	s_delay_alu instid0(VALU_DEP_1)
	v_cvt_f32_f16_e32 v81, v0
.LBB296_513:                            ;   in Loop: Header=BB296_424 Depth=1
	s_or_b32 exec_lo, exec_lo, s15
.LBB296_514:                            ;   in Loop: Header=BB296_424 Depth=1
	s_delay_alu instid0(SALU_CYCLE_1)
	s_or_b32 exec_lo, exec_lo, s13
.LBB296_515:                            ;   in Loop: Header=BB296_424 Depth=1
	s_delay_alu instid0(SALU_CYCLE_1) | instskip(NEXT) | instid1(SALU_CYCLE_1)
	s_or_b32 exec_lo, exec_lo, s12
	s_mov_b32 s12, exec_lo
	v_cmpx_lt_u32_e32 0xffffff, v11
	s_cbranch_execz .LBB296_523
; %bb.516:                              ;   in Loop: Header=BB296_424 Depth=1
	v_lshrrev_b32_e32 v13, 24, v11
	v_bfrev_b32_e32 v82, 1
	s_mov_b32 s13, exec_lo
	s_delay_alu instid0(VALU_DEP_2)
	v_cmpx_ne_u32_e32 0x80, v13
	s_cbranch_execz .LBB296_522
; %bb.517:                              ;   in Loop: Header=BB296_424 Depth=1
	v_and_b32_e32 v83, 0x7f, v13
	v_mov_b32_e32 v82, 0x7fc02000
	s_mov_b32 s15, exec_lo
	s_delay_alu instid0(VALU_DEP_2)
	v_cmpx_ne_u32_e32 0x7f, v83
	s_cbranch_execz .LBB296_521
; %bb.518:                              ;   in Loop: Header=BB296_424 Depth=1
	v_and_b32_e32 v0, 7, v13
	v_lshrrev_b32_e32 v14, 3, v83
	s_mov_b32 s16, exec_lo
	v_cmpx_gt_u32_e32 8, v83
; %bb.519:                              ;   in Loop: Header=BB296_424 Depth=1
	s_delay_alu instid0(VALU_DEP_3) | instskip(NEXT) | instid1(VALU_DEP_1)
	v_clz_i32_u32_e32 v14, v0
	v_min_u32_e32 v14, 32, v14
	s_delay_alu instid0(VALU_DEP_1) | instskip(SKIP_1) | instid1(VALU_DEP_2)
	v_subrev_nc_u32_e32 v82, 28, v14
	v_sub_nc_u32_e32 v14, 29, v14
	v_lshlrev_b64 v[82:83], v82, v[0:1]
	s_delay_alu instid0(VALU_DEP_1)
	v_and_b32_e32 v0, 7, v82
; %bb.520:                              ;   in Loop: Header=BB296_424 Depth=1
	s_or_b32 exec_lo, exec_lo, s16
	v_lshlrev_b32_e32 v13, 8, v13
	v_lshl_add_u32 v14, v14, 10, 0x2000
	s_delay_alu instid0(VALU_DEP_1) | instskip(NEXT) | instid1(VALU_DEP_1)
	v_and_or_b32 v13, 0x8000, v13, v14
	v_lshl_or_b32 v0, v0, 7, v13
	s_delay_alu instid0(VALU_DEP_1)
	v_cvt_f32_f16_e32 v82, v0
.LBB296_521:                            ;   in Loop: Header=BB296_424 Depth=1
	s_or_b32 exec_lo, exec_lo, s15
.LBB296_522:                            ;   in Loop: Header=BB296_424 Depth=1
	s_delay_alu instid0(SALU_CYCLE_1)
	s_or_b32 exec_lo, exec_lo, s13
.LBB296_523:                            ;   in Loop: Header=BB296_424 Depth=1
	s_delay_alu instid0(SALU_CYCLE_1) | instskip(SKIP_3) | instid1(VALU_DEP_2)
	s_or_b32 exec_lo, exec_lo, s12
	v_dual_mov_b32 v83, 0 :: v_dual_and_b32 v14, 0xff, v12
	v_dual_mov_b32 v0, v12 :: v_dual_mov_b32 v13, 0
	s_mov_b32 s12, exec_lo
	v_cmpx_ne_u16_e32 0, v14
	s_cbranch_execz .LBB296_531
; %bb.524:                              ;   in Loop: Header=BB296_424 Depth=1
	v_bfrev_b32_e32 v13, 1
	s_mov_b32 s13, exec_lo
	v_cmpx_ne_u16_e32 0x80, v14
	s_cbranch_execz .LBB296_530
; %bb.525:                              ;   in Loop: Header=BB296_424 Depth=1
	v_and_b32_e32 v14, 0x7f, v12
	v_mov_b32_e32 v13, 0x7fc02000
	s_mov_b32 s15, exec_lo
	s_delay_alu instid0(VALU_DEP_2)
	v_cmpx_ne_u32_e32 0x7f, v14
	s_cbranch_execz .LBB296_529
; %bb.526:                              ;   in Loop: Header=BB296_424 Depth=1
	v_lshrrev_b32_e32 v84, 3, v14
	v_cmp_gt_u32_e64 s0, 8, v14
	v_dual_mov_b32 v14, v1 :: v_dual_mov_b32 v13, v0
	s_delay_alu instid0(VALU_DEP_2)
	s_and_saveexec_b32 s16, s0
; %bb.527:                              ;   in Loop: Header=BB296_424 Depth=1
	v_and_b32_e32 v13, 7, v12
	s_delay_alu instid0(VALU_DEP_1) | instskip(NEXT) | instid1(VALU_DEP_1)
	v_clz_i32_u32_e32 v13, v13
	v_min_u32_e32 v84, 32, v13
	s_delay_alu instid0(VALU_DEP_1) | instskip(SKIP_1) | instid1(VALU_DEP_2)
	v_subrev_nc_u32_e32 v13, 28, v84
	v_sub_nc_u32_e32 v84, 29, v84
	v_lshlrev_b64 v[13:14], v13, v[0:1]
; %bb.528:                              ;   in Loop: Header=BB296_424 Depth=1
	s_or_b32 exec_lo, exec_lo, s16
	v_lshlrev_b32_e32 v14, 8, v12
	s_delay_alu instid0(VALU_DEP_3) | instskip(NEXT) | instid1(VALU_DEP_3)
	v_lshl_add_u32 v84, v84, 10, 0x2000
	v_lshlrev_b32_e32 v13, 7, v13
	s_delay_alu instid0(VALU_DEP_2) | instskip(NEXT) | instid1(VALU_DEP_1)
	v_and_or_b32 v14, 0x8000, v14, v84
	v_and_or_b32 v13, 0x380, v13, v14
	s_delay_alu instid0(VALU_DEP_1)
	v_cvt_f32_f16_e32 v13, v13
.LBB296_529:                            ;   in Loop: Header=BB296_424 Depth=1
	s_or_b32 exec_lo, exec_lo, s15
.LBB296_530:                            ;   in Loop: Header=BB296_424 Depth=1
	s_delay_alu instid0(SALU_CYCLE_1)
	s_or_b32 exec_lo, exec_lo, s13
.LBB296_531:                            ;   in Loop: Header=BB296_424 Depth=1
	s_delay_alu instid0(SALU_CYCLE_1) | instskip(SKIP_2) | instid1(VALU_DEP_1)
	s_or_b32 exec_lo, exec_lo, s12
	v_lshrrev_b16 v0, 8, v0
	s_mov_b32 s12, exec_lo
	v_cmpx_ne_u16_e32 0, v0
	s_cbranch_execz .LBB296_539
; %bb.532:                              ;   in Loop: Header=BB296_424 Depth=1
	v_bfrev_b32_e32 v83, 1
	s_mov_b32 s13, exec_lo
	v_cmpx_ne_u16_e32 0x80, v0
	s_cbranch_execz .LBB296_538
; %bb.533:                              ;   in Loop: Header=BB296_424 Depth=1
	v_and_b32_e32 v14, 0xffff, v0
	v_mov_b32_e32 v83, 0x7fc02000
	s_mov_b32 s15, exec_lo
	s_delay_alu instid0(VALU_DEP_2) | instskip(NEXT) | instid1(VALU_DEP_1)
	v_and_b32_e32 v84, 0x7f, v14
	v_cmpx_ne_u32_e32 0x7f, v84
	s_cbranch_execz .LBB296_537
; %bb.534:                              ;   in Loop: Header=BB296_424 Depth=1
	v_and_b32_e32 v0, 7, v14
	v_lshrrev_b32_e32 v83, 3, v84
	s_mov_b32 s16, exec_lo
	v_cmpx_gt_u32_e32 8, v84
; %bb.535:                              ;   in Loop: Header=BB296_424 Depth=1
	s_delay_alu instid0(VALU_DEP_3) | instskip(NEXT) | instid1(VALU_DEP_1)
	v_clz_i32_u32_e32 v83, v0
	v_min_u32_e32 v83, 32, v83
	s_delay_alu instid0(VALU_DEP_1) | instskip(SKIP_1) | instid1(VALU_DEP_2)
	v_subrev_nc_u32_e32 v84, 28, v83
	v_sub_nc_u32_e32 v83, 29, v83
	v_lshlrev_b64 v[84:85], v84, v[0:1]
	s_delay_alu instid0(VALU_DEP_1)
	v_and_b32_e32 v0, 7, v84
; %bb.536:                              ;   in Loop: Header=BB296_424 Depth=1
	s_or_b32 exec_lo, exec_lo, s16
	v_lshlrev_b32_e32 v14, 8, v14
	v_lshl_add_u32 v83, v83, 10, 0x2000
	s_delay_alu instid0(VALU_DEP_1) | instskip(NEXT) | instid1(VALU_DEP_1)
	v_and_or_b32 v14, 0x8000, v14, v83
	v_lshl_or_b32 v0, v0, 7, v14
	s_delay_alu instid0(VALU_DEP_1)
	v_cvt_f32_f16_e32 v83, v0
.LBB296_537:                            ;   in Loop: Header=BB296_424 Depth=1
	s_or_b32 exec_lo, exec_lo, s15
.LBB296_538:                            ;   in Loop: Header=BB296_424 Depth=1
	s_delay_alu instid0(SALU_CYCLE_1)
	s_or_b32 exec_lo, exec_lo, s13
.LBB296_539:                            ;   in Loop: Header=BB296_424 Depth=1
	s_delay_alu instid0(SALU_CYCLE_1) | instskip(SKIP_4) | instid1(VALU_DEP_3)
	s_or_b32 exec_lo, exec_lo, s12
	v_lshrrev_b32_e32 v85, 16, v12
	v_mov_b32_e32 v84, 0
	v_mov_b32_e32 v14, 0
	s_mov_b32 s12, exec_lo
	v_and_b32_e32 v0, 0xff, v85
	s_delay_alu instid0(VALU_DEP_1)
	v_cmpx_ne_u16_e32 0, v0
	s_cbranch_execz .LBB296_547
; %bb.540:                              ;   in Loop: Header=BB296_424 Depth=1
	v_bfrev_b32_e32 v14, 1
	s_mov_b32 s13, exec_lo
	v_cmpx_ne_u16_e32 0x80, v0
	s_cbranch_execz .LBB296_546
; %bb.541:                              ;   in Loop: Header=BB296_424 Depth=1
	v_bfe_u32 v86, v12, 16, 7
	v_mov_b32_e32 v14, 0x7fc02000
	s_mov_b32 s15, exec_lo
	s_delay_alu instid0(VALU_DEP_2)
	v_cmpx_ne_u32_e32 0x7f, v86
	s_cbranch_execz .LBB296_545
; %bb.542:                              ;   in Loop: Header=BB296_424 Depth=1
	v_and_b32_e32 v0, 7, v85
	v_lshrrev_b32_e32 v14, 3, v86
	s_mov_b32 s16, exec_lo
	v_cmpx_gt_u32_e32 8, v86
; %bb.543:                              ;   in Loop: Header=BB296_424 Depth=1
	s_delay_alu instid0(VALU_DEP_3) | instskip(NEXT) | instid1(VALU_DEP_1)
	v_clz_i32_u32_e32 v14, v0
	v_min_u32_e32 v14, 32, v14
	s_delay_alu instid0(VALU_DEP_1) | instskip(SKIP_1) | instid1(VALU_DEP_2)
	v_subrev_nc_u32_e32 v86, 28, v14
	v_sub_nc_u32_e32 v14, 29, v14
	v_lshlrev_b64 v[86:87], v86, v[0:1]
	s_delay_alu instid0(VALU_DEP_1)
	v_and_b32_e32 v0, 7, v86
; %bb.544:                              ;   in Loop: Header=BB296_424 Depth=1
	s_or_b32 exec_lo, exec_lo, s16
	v_lshlrev_b32_e32 v85, 8, v85
	v_lshl_add_u32 v14, v14, 10, 0x2000
	s_delay_alu instid0(VALU_DEP_1) | instskip(NEXT) | instid1(VALU_DEP_1)
	v_and_or_b32 v14, 0x8000, v85, v14
	v_lshl_or_b32 v0, v0, 7, v14
	s_delay_alu instid0(VALU_DEP_1)
	v_cvt_f32_f16_e32 v14, v0
.LBB296_545:                            ;   in Loop: Header=BB296_424 Depth=1
	s_or_b32 exec_lo, exec_lo, s15
.LBB296_546:                            ;   in Loop: Header=BB296_424 Depth=1
	s_delay_alu instid0(SALU_CYCLE_1)
	s_or_b32 exec_lo, exec_lo, s13
.LBB296_547:                            ;   in Loop: Header=BB296_424 Depth=1
	s_delay_alu instid0(SALU_CYCLE_1) | instskip(NEXT) | instid1(SALU_CYCLE_1)
	s_or_b32 exec_lo, exec_lo, s12
	s_mov_b32 s12, exec_lo
	v_cmpx_lt_u64_e64 s[8:9], v[11:12]
	s_cbranch_execz .LBB296_555
; %bb.548:                              ;   in Loop: Header=BB296_424 Depth=1
	v_lshrrev_b32_e32 v11, 24, v12
	v_bfrev_b32_e32 v84, 1
	s_mov_b32 s13, exec_lo
	s_delay_alu instid0(VALU_DEP_2)
	v_cmpx_ne_u32_e32 0x80, v11
	s_cbranch_execz .LBB296_554
; %bb.549:                              ;   in Loop: Header=BB296_424 Depth=1
	v_and_b32_e32 v85, 0x7f, v11
	v_mov_b32_e32 v84, 0x7fc02000
	s_mov_b32 s15, exec_lo
	s_delay_alu instid0(VALU_DEP_2)
	v_cmpx_ne_u32_e32 0x7f, v85
	s_cbranch_execz .LBB296_553
; %bb.550:                              ;   in Loop: Header=BB296_424 Depth=1
	v_and_b32_e32 v0, 7, v11
	v_lshrrev_b32_e32 v12, 3, v85
	s_mov_b32 s16, exec_lo
	v_cmpx_gt_u32_e32 8, v85
; %bb.551:                              ;   in Loop: Header=BB296_424 Depth=1
	s_delay_alu instid0(VALU_DEP_3) | instskip(NEXT) | instid1(VALU_DEP_1)
	v_clz_i32_u32_e32 v12, v0
	v_min_u32_e32 v12, 32, v12
	s_delay_alu instid0(VALU_DEP_1) | instskip(SKIP_1) | instid1(VALU_DEP_2)
	v_subrev_nc_u32_e32 v84, 28, v12
	v_sub_nc_u32_e32 v12, 29, v12
	v_lshlrev_b64 v[84:85], v84, v[0:1]
	s_delay_alu instid0(VALU_DEP_1)
	v_and_b32_e32 v0, 7, v84
; %bb.552:                              ;   in Loop: Header=BB296_424 Depth=1
	s_or_b32 exec_lo, exec_lo, s16
	v_lshlrev_b32_e32 v11, 8, v11
	v_lshl_add_u32 v12, v12, 10, 0x2000
	s_delay_alu instid0(VALU_DEP_1) | instskip(NEXT) | instid1(VALU_DEP_1)
	v_and_or_b32 v11, 0x8000, v11, v12
	v_lshl_or_b32 v0, v0, 7, v11
	s_delay_alu instid0(VALU_DEP_1)
	v_cvt_f32_f16_e32 v84, v0
.LBB296_553:                            ;   in Loop: Header=BB296_424 Depth=1
	s_or_b32 exec_lo, exec_lo, s15
.LBB296_554:                            ;   in Loop: Header=BB296_424 Depth=1
	s_delay_alu instid0(SALU_CYCLE_1)
	s_or_b32 exec_lo, exec_lo, s13
.LBB296_555:                            ;   in Loop: Header=BB296_424 Depth=1
	s_delay_alu instid0(SALU_CYCLE_1)
	s_or_b32 exec_lo, exec_lo, s12
	s_waitcnt vmcnt(0) lgkmcnt(0)
	v_fma_mixlo_f16 v12, v70, v80, 0
	v_fma_mixlo_f16 v0, v70, v82, 0
	;; [unrolled: 1-line block ×5, first 2 shown]
	v_lshlrev_b32_e32 v80, 16, v12
	v_fma_mixlo_f16 v13, v70, v13, 0
	v_fma_mixlo_f16 v82, v70, v84, 0
	;; [unrolled: 1-line block ×3, first 2 shown]
	v_lshlrev_b32_e32 v0, 16, v0
	v_and_b32_e32 v11, 0xffff, v11
	v_and_b32_e32 v14, 0xffff, v71
	v_lshlrev_b32_e32 v70, 16, v81
	v_and_b32_e32 v71, 0xffff, v13
	v_lshlrev_b32_e32 v81, 16, v82
	v_and_b32_e32 v82, 0xffff, v12
	v_or_b32_e32 v13, v0, v11
	v_or_b32_e32 v14, v80, v14
	;; [unrolled: 1-line block ×3, first 2 shown]
	s_delay_alu instid0(VALU_DEP_4)
	v_or_b32_e32 v11, v81, v82
	s_and_saveexec_b32 s12, vcc_lo
	s_cbranch_execz .LBB296_557
; %bb.556:                              ;   in Loop: Header=BB296_424 Depth=1
	v_cmp_lt_i32_e64 s0, v23, v35
	v_lshrrev_b32_e32 v70, 16, v14
	v_lshrrev_b32_e32 v71, 16, v13
	;; [unrolled: 1-line block ×4, first 2 shown]
	v_cndmask_b32_e64 v14, 0, v14, s0
	v_cmp_lt_i32_e64 s0, v55, v50
	s_delay_alu instid0(VALU_DEP_1) | instskip(SKIP_1) | instid1(VALU_DEP_2)
	v_cndmask_b32_e64 v70, 0, v70, s0
	v_cmp_lt_i32_e64 s0, v54, v50
	v_perm_b32 v14, v70, v14, 0x5040100
	s_delay_alu instid0(VALU_DEP_2) | instskip(SKIP_1) | instid1(VALU_DEP_1)
	v_cndmask_b32_e64 v71, 0, v71, s0
	v_cmp_lt_i32_e64 s0, v53, v35
	v_cndmask_b32_e64 v13, 0, v13, s0
	v_cmp_lt_i32_e64 s0, v52, v50
	s_delay_alu instid0(VALU_DEP_2) | instskip(NEXT) | instid1(VALU_DEP_2)
	v_perm_b32 v13, v71, v13, 0x5040100
	v_cndmask_b32_e64 v80, 0, v80, s0
	v_cmp_lt_i32_e64 s0, v51, v35
	s_delay_alu instid0(VALU_DEP_1) | instskip(SKIP_1) | instid1(VALU_DEP_2)
	v_cndmask_b32_e64 v0, 0, v0, s0
	v_cmp_lt_i32_e64 s0, v19, v50
	v_perm_b32 v0, v80, v0, 0x5040100
	s_delay_alu instid0(VALU_DEP_2) | instskip(SKIP_1) | instid1(VALU_DEP_1)
	v_cndmask_b32_e64 v11, 0, v11, s0
	v_cmp_lt_i32_e64 s0, v18, v35
	v_cndmask_b32_e64 v12, 0, v12, s0
	s_delay_alu instid0(VALU_DEP_1)
	v_perm_b32 v11, v11, v12, 0x5040100
.LBB296_557:                            ;   in Loop: Header=BB296_424 Depth=1
	s_or_b32 exec_lo, exec_lo, s12
	;;#ASMSTART
	v_pk_mul_f16 v12, v69, v14;

	;;#ASMEND
	;;#ASMSTART
	v_pk_mul_f16 v13, v68, v13;

	;;#ASMEND
	;; [unrolled: 4-line block ×4, first 2 shown]
	;;#ASMSTART
	v_pk_add_f16 v12, v12, v13;

	;;#ASMEND
	;;#ASMSTART
	v_pk_add_f16 v0, v12, v0;

	;;#ASMEND
	;; [unrolled: 4-line block ×3, first 2 shown]
	v_dual_mov_b32 v82, 0 :: v_dual_and_b32 v11, 0xffff, v0
	v_lshrrev_b32_e32 v0, 16, v0
	;;#ASMSTART
	v_cvt_f32_f16 v70, v11;
	;;#ASMEND
	;;#ASMSTART
	v_cvt_f32_f16 v71, v0;
	;;#ASMEND
	flat_load_b64 v[11:12], v[9:10] offset:512
	flat_load_b32 v80, v[26:27]
	s_mov_b32 s12, exec_lo
	s_waitcnt vmcnt(1) lgkmcnt(1)
	v_dual_mov_b32 v81, 0 :: v_dual_and_b32 v0, 0xff, v11
	s_delay_alu instid0(VALU_DEP_1)
	v_cmpx_ne_u16_e32 0, v0
	s_cbranch_execz .LBB296_565
; %bb.558:                              ;   in Loop: Header=BB296_424 Depth=1
	v_bfrev_b32_e32 v81, 1
	s_mov_b32 s13, exec_lo
	v_cmpx_ne_u16_e32 0x80, v0
	s_cbranch_execz .LBB296_564
; %bb.559:                              ;   in Loop: Header=BB296_424 Depth=1
	v_and_b32_e32 v13, 0x7f, v11
	v_mov_b32_e32 v81, 0x7fc02000
	s_mov_b32 s15, exec_lo
	s_delay_alu instid0(VALU_DEP_2)
	v_cmpx_ne_u32_e32 0x7f, v13
	s_cbranch_execz .LBB296_563
; %bb.560:                              ;   in Loop: Header=BB296_424 Depth=1
	v_lshrrev_b32_e32 v0, 3, v13
	v_cmp_gt_u32_e64 s0, 8, v13
	v_dual_mov_b32 v14, v12 :: v_dual_mov_b32 v13, v11
	s_delay_alu instid0(VALU_DEP_2)
	s_and_saveexec_b32 s16, s0
; %bb.561:                              ;   in Loop: Header=BB296_424 Depth=1
	v_and_b32_e32 v0, 7, v11
	s_delay_alu instid0(VALU_DEP_1) | instskip(NEXT) | instid1(VALU_DEP_1)
	v_clz_i32_u32_e32 v0, v0
	v_min_u32_e32 v0, 32, v0
	s_delay_alu instid0(VALU_DEP_1) | instskip(SKIP_1) | instid1(VALU_DEP_2)
	v_subrev_nc_u32_e32 v13, 28, v0
	v_sub_nc_u32_e32 v0, 29, v0
	v_lshlrev_b64 v[13:14], v13, v[11:12]
; %bb.562:                              ;   in Loop: Header=BB296_424 Depth=1
	s_or_b32 exec_lo, exec_lo, s16
	v_lshlrev_b32_e32 v14, 8, v11
	s_delay_alu instid0(VALU_DEP_3) | instskip(NEXT) | instid1(VALU_DEP_3)
	v_lshl_add_u32 v0, v0, 10, 0x2000
	v_lshlrev_b32_e32 v13, 7, v13
	s_delay_alu instid0(VALU_DEP_2) | instskip(NEXT) | instid1(VALU_DEP_1)
	v_and_or_b32 v0, 0x8000, v14, v0
	v_and_or_b32 v0, 0x380, v13, v0
	s_delay_alu instid0(VALU_DEP_1)
	v_cvt_f32_f16_e32 v81, v0
.LBB296_563:                            ;   in Loop: Header=BB296_424 Depth=1
	s_or_b32 exec_lo, exec_lo, s15
.LBB296_564:                            ;   in Loop: Header=BB296_424 Depth=1
	s_delay_alu instid0(SALU_CYCLE_1)
	s_or_b32 exec_lo, exec_lo, s13
.LBB296_565:                            ;   in Loop: Header=BB296_424 Depth=1
	s_delay_alu instid0(SALU_CYCLE_1) | instskip(SKIP_2) | instid1(VALU_DEP_1)
	s_or_b32 exec_lo, exec_lo, s12
	v_lshrrev_b16 v0, 8, v11
	s_mov_b32 s12, exec_lo
	v_cmpx_ne_u16_e32 0, v0
	s_cbranch_execz .LBB296_573
; %bb.566:                              ;   in Loop: Header=BB296_424 Depth=1
	v_bfrev_b32_e32 v82, 1
	s_mov_b32 s13, exec_lo
	v_cmpx_ne_u16_e32 0x80, v0
	s_cbranch_execz .LBB296_572
; %bb.567:                              ;   in Loop: Header=BB296_424 Depth=1
	v_and_b32_e32 v13, 0xffff, v0
	v_mov_b32_e32 v82, 0x7fc02000
	s_mov_b32 s15, exec_lo
	s_delay_alu instid0(VALU_DEP_2) | instskip(NEXT) | instid1(VALU_DEP_1)
	v_and_b32_e32 v83, 0x7f, v13
	v_cmpx_ne_u32_e32 0x7f, v83
	s_cbranch_execz .LBB296_571
; %bb.568:                              ;   in Loop: Header=BB296_424 Depth=1
	v_and_b32_e32 v0, 7, v13
	v_lshrrev_b32_e32 v14, 3, v83
	s_mov_b32 s16, exec_lo
	v_cmpx_gt_u32_e32 8, v83
; %bb.569:                              ;   in Loop: Header=BB296_424 Depth=1
	s_delay_alu instid0(VALU_DEP_3) | instskip(NEXT) | instid1(VALU_DEP_1)
	v_clz_i32_u32_e32 v14, v0
	v_min_u32_e32 v14, 32, v14
	s_delay_alu instid0(VALU_DEP_1) | instskip(SKIP_1) | instid1(VALU_DEP_2)
	v_subrev_nc_u32_e32 v82, 28, v14
	v_sub_nc_u32_e32 v14, 29, v14
	v_lshlrev_b64 v[82:83], v82, v[0:1]
	s_delay_alu instid0(VALU_DEP_1)
	v_and_b32_e32 v0, 7, v82
; %bb.570:                              ;   in Loop: Header=BB296_424 Depth=1
	s_or_b32 exec_lo, exec_lo, s16
	v_lshlrev_b32_e32 v13, 8, v13
	v_lshl_add_u32 v14, v14, 10, 0x2000
	s_delay_alu instid0(VALU_DEP_1) | instskip(NEXT) | instid1(VALU_DEP_1)
	v_and_or_b32 v13, 0x8000, v13, v14
	v_lshl_or_b32 v0, v0, 7, v13
	s_delay_alu instid0(VALU_DEP_1)
	v_cvt_f32_f16_e32 v82, v0
.LBB296_571:                            ;   in Loop: Header=BB296_424 Depth=1
	s_or_b32 exec_lo, exec_lo, s15
.LBB296_572:                            ;   in Loop: Header=BB296_424 Depth=1
	s_delay_alu instid0(SALU_CYCLE_1)
	s_or_b32 exec_lo, exec_lo, s13
.LBB296_573:                            ;   in Loop: Header=BB296_424 Depth=1
	s_delay_alu instid0(SALU_CYCLE_1) | instskip(SKIP_3) | instid1(VALU_DEP_2)
	s_or_b32 exec_lo, exec_lo, s12
	v_lshrrev_b32_e32 v13, 16, v11
	v_mov_b32_e32 v84, 0
	s_mov_b32 s12, exec_lo
	v_dual_mov_b32 v83, 0 :: v_dual_and_b32 v0, 0xff, v13
	s_delay_alu instid0(VALU_DEP_1)
	v_cmpx_ne_u16_e32 0, v0
	s_cbranch_execz .LBB296_581
; %bb.574:                              ;   in Loop: Header=BB296_424 Depth=1
	v_bfrev_b32_e32 v83, 1
	s_mov_b32 s13, exec_lo
	v_cmpx_ne_u16_e32 0x80, v0
	s_cbranch_execz .LBB296_580
; %bb.575:                              ;   in Loop: Header=BB296_424 Depth=1
	v_bfe_u32 v85, v11, 16, 7
	v_mov_b32_e32 v83, 0x7fc02000
	s_mov_b32 s15, exec_lo
	s_delay_alu instid0(VALU_DEP_2)
	v_cmpx_ne_u32_e32 0x7f, v85
	s_cbranch_execz .LBB296_579
; %bb.576:                              ;   in Loop: Header=BB296_424 Depth=1
	v_and_b32_e32 v0, 7, v13
	v_lshrrev_b32_e32 v14, 3, v85
	s_mov_b32 s16, exec_lo
	v_cmpx_gt_u32_e32 8, v85
; %bb.577:                              ;   in Loop: Header=BB296_424 Depth=1
	s_delay_alu instid0(VALU_DEP_3) | instskip(NEXT) | instid1(VALU_DEP_1)
	v_clz_i32_u32_e32 v14, v0
	v_min_u32_e32 v14, 32, v14
	s_delay_alu instid0(VALU_DEP_1) | instskip(SKIP_1) | instid1(VALU_DEP_2)
	v_subrev_nc_u32_e32 v83, 28, v14
	v_sub_nc_u32_e32 v14, 29, v14
	v_lshlrev_b64 v[85:86], v83, v[0:1]
	s_delay_alu instid0(VALU_DEP_1)
	v_and_b32_e32 v0, 7, v85
; %bb.578:                              ;   in Loop: Header=BB296_424 Depth=1
	s_or_b32 exec_lo, exec_lo, s16
	v_lshlrev_b32_e32 v13, 8, v13
	v_lshl_add_u32 v14, v14, 10, 0x2000
	s_delay_alu instid0(VALU_DEP_1) | instskip(NEXT) | instid1(VALU_DEP_1)
	v_and_or_b32 v13, 0x8000, v13, v14
	v_lshl_or_b32 v0, v0, 7, v13
	s_delay_alu instid0(VALU_DEP_1)
	v_cvt_f32_f16_e32 v83, v0
.LBB296_579:                            ;   in Loop: Header=BB296_424 Depth=1
	s_or_b32 exec_lo, exec_lo, s15
.LBB296_580:                            ;   in Loop: Header=BB296_424 Depth=1
	s_delay_alu instid0(SALU_CYCLE_1)
	s_or_b32 exec_lo, exec_lo, s13
.LBB296_581:                            ;   in Loop: Header=BB296_424 Depth=1
	s_delay_alu instid0(SALU_CYCLE_1) | instskip(NEXT) | instid1(SALU_CYCLE_1)
	s_or_b32 exec_lo, exec_lo, s12
	s_mov_b32 s12, exec_lo
	v_cmpx_lt_u32_e32 0xffffff, v11
	s_cbranch_execz .LBB296_589
; %bb.582:                              ;   in Loop: Header=BB296_424 Depth=1
	v_lshrrev_b32_e32 v13, 24, v11
	v_bfrev_b32_e32 v84, 1
	s_mov_b32 s13, exec_lo
	s_delay_alu instid0(VALU_DEP_2)
	v_cmpx_ne_u32_e32 0x80, v13
	s_cbranch_execz .LBB296_588
; %bb.583:                              ;   in Loop: Header=BB296_424 Depth=1
	v_and_b32_e32 v85, 0x7f, v13
	v_mov_b32_e32 v84, 0x7fc02000
	s_mov_b32 s15, exec_lo
	s_delay_alu instid0(VALU_DEP_2)
	v_cmpx_ne_u32_e32 0x7f, v85
	s_cbranch_execz .LBB296_587
; %bb.584:                              ;   in Loop: Header=BB296_424 Depth=1
	v_and_b32_e32 v0, 7, v13
	v_lshrrev_b32_e32 v14, 3, v85
	s_mov_b32 s16, exec_lo
	v_cmpx_gt_u32_e32 8, v85
; %bb.585:                              ;   in Loop: Header=BB296_424 Depth=1
	s_delay_alu instid0(VALU_DEP_3) | instskip(NEXT) | instid1(VALU_DEP_1)
	v_clz_i32_u32_e32 v14, v0
	v_min_u32_e32 v14, 32, v14
	s_delay_alu instid0(VALU_DEP_1) | instskip(SKIP_1) | instid1(VALU_DEP_2)
	v_subrev_nc_u32_e32 v84, 28, v14
	v_sub_nc_u32_e32 v14, 29, v14
	v_lshlrev_b64 v[84:85], v84, v[0:1]
	s_delay_alu instid0(VALU_DEP_1)
	v_and_b32_e32 v0, 7, v84
; %bb.586:                              ;   in Loop: Header=BB296_424 Depth=1
	s_or_b32 exec_lo, exec_lo, s16
	v_lshlrev_b32_e32 v13, 8, v13
	v_lshl_add_u32 v14, v14, 10, 0x2000
	s_delay_alu instid0(VALU_DEP_1) | instskip(NEXT) | instid1(VALU_DEP_1)
	v_and_or_b32 v13, 0x8000, v13, v14
	v_lshl_or_b32 v0, v0, 7, v13
	s_delay_alu instid0(VALU_DEP_1)
	v_cvt_f32_f16_e32 v84, v0
.LBB296_587:                            ;   in Loop: Header=BB296_424 Depth=1
	s_or_b32 exec_lo, exec_lo, s15
.LBB296_588:                            ;   in Loop: Header=BB296_424 Depth=1
	s_delay_alu instid0(SALU_CYCLE_1)
	s_or_b32 exec_lo, exec_lo, s13
.LBB296_589:                            ;   in Loop: Header=BB296_424 Depth=1
	s_delay_alu instid0(SALU_CYCLE_1) | instskip(SKIP_3) | instid1(VALU_DEP_2)
	s_or_b32 exec_lo, exec_lo, s12
	v_dual_mov_b32 v85, 0 :: v_dual_and_b32 v14, 0xff, v12
	v_dual_mov_b32 v0, v12 :: v_dual_mov_b32 v13, 0
	s_mov_b32 s12, exec_lo
	v_cmpx_ne_u16_e32 0, v14
	s_cbranch_execz .LBB296_597
; %bb.590:                              ;   in Loop: Header=BB296_424 Depth=1
	v_bfrev_b32_e32 v13, 1
	s_mov_b32 s13, exec_lo
	v_cmpx_ne_u16_e32 0x80, v14
	s_cbranch_execz .LBB296_596
; %bb.591:                              ;   in Loop: Header=BB296_424 Depth=1
	v_and_b32_e32 v14, 0x7f, v12
	v_mov_b32_e32 v13, 0x7fc02000
	s_mov_b32 s15, exec_lo
	s_delay_alu instid0(VALU_DEP_2)
	v_cmpx_ne_u32_e32 0x7f, v14
	s_cbranch_execz .LBB296_595
; %bb.592:                              ;   in Loop: Header=BB296_424 Depth=1
	v_lshrrev_b32_e32 v86, 3, v14
	v_cmp_gt_u32_e64 s0, 8, v14
	v_dual_mov_b32 v14, v1 :: v_dual_mov_b32 v13, v0
	s_delay_alu instid0(VALU_DEP_2)
	s_and_saveexec_b32 s16, s0
; %bb.593:                              ;   in Loop: Header=BB296_424 Depth=1
	v_and_b32_e32 v13, 7, v12
	s_delay_alu instid0(VALU_DEP_1) | instskip(NEXT) | instid1(VALU_DEP_1)
	v_clz_i32_u32_e32 v13, v13
	v_min_u32_e32 v86, 32, v13
	s_delay_alu instid0(VALU_DEP_1) | instskip(SKIP_1) | instid1(VALU_DEP_2)
	v_subrev_nc_u32_e32 v13, 28, v86
	v_sub_nc_u32_e32 v86, 29, v86
	v_lshlrev_b64 v[13:14], v13, v[0:1]
; %bb.594:                              ;   in Loop: Header=BB296_424 Depth=1
	s_or_b32 exec_lo, exec_lo, s16
	v_lshlrev_b32_e32 v14, 8, v12
	s_delay_alu instid0(VALU_DEP_3) | instskip(NEXT) | instid1(VALU_DEP_3)
	v_lshl_add_u32 v86, v86, 10, 0x2000
	v_lshlrev_b32_e32 v13, 7, v13
	s_delay_alu instid0(VALU_DEP_2) | instskip(NEXT) | instid1(VALU_DEP_1)
	v_and_or_b32 v14, 0x8000, v14, v86
	v_and_or_b32 v13, 0x380, v13, v14
	s_delay_alu instid0(VALU_DEP_1)
	v_cvt_f32_f16_e32 v13, v13
.LBB296_595:                            ;   in Loop: Header=BB296_424 Depth=1
	s_or_b32 exec_lo, exec_lo, s15
.LBB296_596:                            ;   in Loop: Header=BB296_424 Depth=1
	s_delay_alu instid0(SALU_CYCLE_1)
	s_or_b32 exec_lo, exec_lo, s13
.LBB296_597:                            ;   in Loop: Header=BB296_424 Depth=1
	s_delay_alu instid0(SALU_CYCLE_1) | instskip(SKIP_2) | instid1(VALU_DEP_1)
	s_or_b32 exec_lo, exec_lo, s12
	v_lshrrev_b16 v0, 8, v0
	s_mov_b32 s12, exec_lo
	v_cmpx_ne_u16_e32 0, v0
	s_cbranch_execz .LBB296_605
; %bb.598:                              ;   in Loop: Header=BB296_424 Depth=1
	v_bfrev_b32_e32 v85, 1
	s_mov_b32 s13, exec_lo
	v_cmpx_ne_u16_e32 0x80, v0
	s_cbranch_execz .LBB296_604
; %bb.599:                              ;   in Loop: Header=BB296_424 Depth=1
	v_and_b32_e32 v14, 0xffff, v0
	v_mov_b32_e32 v85, 0x7fc02000
	s_mov_b32 s15, exec_lo
	s_delay_alu instid0(VALU_DEP_2) | instskip(NEXT) | instid1(VALU_DEP_1)
	v_and_b32_e32 v86, 0x7f, v14
	v_cmpx_ne_u32_e32 0x7f, v86
	s_cbranch_execz .LBB296_603
; %bb.600:                              ;   in Loop: Header=BB296_424 Depth=1
	v_and_b32_e32 v0, 7, v14
	v_lshrrev_b32_e32 v85, 3, v86
	s_mov_b32 s16, exec_lo
	v_cmpx_gt_u32_e32 8, v86
; %bb.601:                              ;   in Loop: Header=BB296_424 Depth=1
	s_delay_alu instid0(VALU_DEP_3) | instskip(NEXT) | instid1(VALU_DEP_1)
	v_clz_i32_u32_e32 v85, v0
	v_min_u32_e32 v85, 32, v85
	s_delay_alu instid0(VALU_DEP_1) | instskip(SKIP_1) | instid1(VALU_DEP_2)
	v_subrev_nc_u32_e32 v86, 28, v85
	v_sub_nc_u32_e32 v85, 29, v85
	v_lshlrev_b64 v[86:87], v86, v[0:1]
	s_delay_alu instid0(VALU_DEP_1)
	v_and_b32_e32 v0, 7, v86
; %bb.602:                              ;   in Loop: Header=BB296_424 Depth=1
	s_or_b32 exec_lo, exec_lo, s16
	v_lshlrev_b32_e32 v14, 8, v14
	v_lshl_add_u32 v85, v85, 10, 0x2000
	s_delay_alu instid0(VALU_DEP_1) | instskip(NEXT) | instid1(VALU_DEP_1)
	v_and_or_b32 v14, 0x8000, v14, v85
	v_lshl_or_b32 v0, v0, 7, v14
	s_delay_alu instid0(VALU_DEP_1)
	v_cvt_f32_f16_e32 v85, v0
.LBB296_603:                            ;   in Loop: Header=BB296_424 Depth=1
	s_or_b32 exec_lo, exec_lo, s15
.LBB296_604:                            ;   in Loop: Header=BB296_424 Depth=1
	s_delay_alu instid0(SALU_CYCLE_1)
	s_or_b32 exec_lo, exec_lo, s13
.LBB296_605:                            ;   in Loop: Header=BB296_424 Depth=1
	s_delay_alu instid0(SALU_CYCLE_1) | instskip(SKIP_4) | instid1(VALU_DEP_3)
	s_or_b32 exec_lo, exec_lo, s12
	v_lshrrev_b32_e32 v87, 16, v12
	v_mov_b32_e32 v86, 0
	v_mov_b32_e32 v14, 0
	s_mov_b32 s12, exec_lo
	v_and_b32_e32 v0, 0xff, v87
	s_delay_alu instid0(VALU_DEP_1)
	v_cmpx_ne_u16_e32 0, v0
	s_cbranch_execz .LBB296_613
; %bb.606:                              ;   in Loop: Header=BB296_424 Depth=1
	v_bfrev_b32_e32 v14, 1
	s_mov_b32 s13, exec_lo
	v_cmpx_ne_u16_e32 0x80, v0
	s_cbranch_execz .LBB296_612
; %bb.607:                              ;   in Loop: Header=BB296_424 Depth=1
	v_bfe_u32 v96, v12, 16, 7
	v_mov_b32_e32 v14, 0x7fc02000
	s_mov_b32 s15, exec_lo
	s_delay_alu instid0(VALU_DEP_2)
	v_cmpx_ne_u32_e32 0x7f, v96
	s_cbranch_execz .LBB296_611
; %bb.608:                              ;   in Loop: Header=BB296_424 Depth=1
	v_and_b32_e32 v0, 7, v87
	v_lshrrev_b32_e32 v14, 3, v96
	s_mov_b32 s16, exec_lo
	v_cmpx_gt_u32_e32 8, v96
; %bb.609:                              ;   in Loop: Header=BB296_424 Depth=1
	s_delay_alu instid0(VALU_DEP_3) | instskip(NEXT) | instid1(VALU_DEP_1)
	v_clz_i32_u32_e32 v14, v0
	v_min_u32_e32 v14, 32, v14
	s_delay_alu instid0(VALU_DEP_1) | instskip(SKIP_1) | instid1(VALU_DEP_2)
	v_subrev_nc_u32_e32 v96, 28, v14
	v_sub_nc_u32_e32 v14, 29, v14
	v_lshlrev_b64 v[96:97], v96, v[0:1]
	s_delay_alu instid0(VALU_DEP_1)
	v_and_b32_e32 v0, 7, v96
; %bb.610:                              ;   in Loop: Header=BB296_424 Depth=1
	s_or_b32 exec_lo, exec_lo, s16
	v_lshlrev_b32_e32 v87, 8, v87
	v_lshl_add_u32 v14, v14, 10, 0x2000
	s_delay_alu instid0(VALU_DEP_1) | instskip(NEXT) | instid1(VALU_DEP_1)
	v_and_or_b32 v14, 0x8000, v87, v14
	v_lshl_or_b32 v0, v0, 7, v14
	s_delay_alu instid0(VALU_DEP_1)
	v_cvt_f32_f16_e32 v14, v0
.LBB296_611:                            ;   in Loop: Header=BB296_424 Depth=1
	s_or_b32 exec_lo, exec_lo, s15
.LBB296_612:                            ;   in Loop: Header=BB296_424 Depth=1
	s_delay_alu instid0(SALU_CYCLE_1)
	s_or_b32 exec_lo, exec_lo, s13
.LBB296_613:                            ;   in Loop: Header=BB296_424 Depth=1
	s_delay_alu instid0(SALU_CYCLE_1) | instskip(NEXT) | instid1(SALU_CYCLE_1)
	s_or_b32 exec_lo, exec_lo, s12
	s_mov_b32 s12, exec_lo
	v_cmpx_lt_u64_e64 s[8:9], v[11:12]
	s_cbranch_execz .LBB296_621
; %bb.614:                              ;   in Loop: Header=BB296_424 Depth=1
	v_lshrrev_b32_e32 v11, 24, v12
	v_bfrev_b32_e32 v86, 1
	s_mov_b32 s13, exec_lo
	s_delay_alu instid0(VALU_DEP_2)
	v_cmpx_ne_u32_e32 0x80, v11
	s_cbranch_execz .LBB296_620
; %bb.615:                              ;   in Loop: Header=BB296_424 Depth=1
	v_and_b32_e32 v87, 0x7f, v11
	v_mov_b32_e32 v86, 0x7fc02000
	s_mov_b32 s15, exec_lo
	s_delay_alu instid0(VALU_DEP_2)
	v_cmpx_ne_u32_e32 0x7f, v87
	s_cbranch_execz .LBB296_619
; %bb.616:                              ;   in Loop: Header=BB296_424 Depth=1
	v_and_b32_e32 v0, 7, v11
	v_lshrrev_b32_e32 v12, 3, v87
	s_mov_b32 s16, exec_lo
	v_cmpx_gt_u32_e32 8, v87
; %bb.617:                              ;   in Loop: Header=BB296_424 Depth=1
	s_delay_alu instid0(VALU_DEP_3) | instskip(NEXT) | instid1(VALU_DEP_1)
	v_clz_i32_u32_e32 v12, v0
	v_min_u32_e32 v12, 32, v12
	s_delay_alu instid0(VALU_DEP_1) | instskip(SKIP_1) | instid1(VALU_DEP_2)
	v_subrev_nc_u32_e32 v86, 28, v12
	v_sub_nc_u32_e32 v12, 29, v12
	v_lshlrev_b64 v[86:87], v86, v[0:1]
	s_delay_alu instid0(VALU_DEP_1)
	v_and_b32_e32 v0, 7, v86
; %bb.618:                              ;   in Loop: Header=BB296_424 Depth=1
	s_or_b32 exec_lo, exec_lo, s16
	v_lshlrev_b32_e32 v11, 8, v11
	v_lshl_add_u32 v12, v12, 10, 0x2000
	s_delay_alu instid0(VALU_DEP_1) | instskip(NEXT) | instid1(VALU_DEP_1)
	v_and_or_b32 v11, 0x8000, v11, v12
	v_lshl_or_b32 v0, v0, 7, v11
	s_delay_alu instid0(VALU_DEP_1)
	v_cvt_f32_f16_e32 v86, v0
.LBB296_619:                            ;   in Loop: Header=BB296_424 Depth=1
	s_or_b32 exec_lo, exec_lo, s15
.LBB296_620:                            ;   in Loop: Header=BB296_424 Depth=1
	s_delay_alu instid0(SALU_CYCLE_1)
	s_or_b32 exec_lo, exec_lo, s13
.LBB296_621:                            ;   in Loop: Header=BB296_424 Depth=1
	s_delay_alu instid0(SALU_CYCLE_1)
	s_or_b32 exec_lo, exec_lo, s12
	s_waitcnt vmcnt(0) lgkmcnt(0)
	v_fma_mixlo_f16 v12, v80, v82, 0
	v_fma_mixlo_f16 v0, v80, v84, 0
	;; [unrolled: 1-line block ×5, first 2 shown]
	v_lshlrev_b32_e32 v82, 16, v12
	v_fma_mixlo_f16 v13, v80, v13, 0
	v_fma_mixlo_f16 v84, v80, v86, 0
	;; [unrolled: 1-line block ×3, first 2 shown]
	v_lshlrev_b32_e32 v0, 16, v0
	v_and_b32_e32 v11, 0xffff, v11
	v_and_b32_e32 v14, 0xffff, v81
	v_lshlrev_b32_e32 v80, 16, v83
	v_and_b32_e32 v81, 0xffff, v13
	v_lshlrev_b32_e32 v83, 16, v84
	v_and_b32_e32 v84, 0xffff, v12
	v_or_b32_e32 v13, v0, v11
	v_or_b32_e32 v14, v82, v14
	;; [unrolled: 1-line block ×3, first 2 shown]
	s_delay_alu instid0(VALU_DEP_4)
	v_or_b32_e32 v11, v83, v84
	s_and_saveexec_b32 s12, vcc_lo
	s_cbranch_execz .LBB296_623
; %bb.622:                              ;   in Loop: Header=BB296_424 Depth=1
	v_cmp_lt_i32_e64 s0, v23, v35
	v_lshrrev_b32_e32 v80, 16, v14
	v_lshrrev_b32_e32 v81, 16, v13
	;; [unrolled: 1-line block ×4, first 2 shown]
	v_cndmask_b32_e64 v14, 0, v14, s0
	v_cmp_lt_i32_e64 s0, v55, v50
	s_delay_alu instid0(VALU_DEP_1) | instskip(SKIP_1) | instid1(VALU_DEP_2)
	v_cndmask_b32_e64 v80, 0, v80, s0
	v_cmp_lt_i32_e64 s0, v54, v50
	v_perm_b32 v14, v80, v14, 0x5040100
	s_delay_alu instid0(VALU_DEP_2) | instskip(SKIP_1) | instid1(VALU_DEP_1)
	v_cndmask_b32_e64 v81, 0, v81, s0
	v_cmp_lt_i32_e64 s0, v53, v35
	v_cndmask_b32_e64 v13, 0, v13, s0
	v_cmp_lt_i32_e64 s0, v52, v50
	s_delay_alu instid0(VALU_DEP_2) | instskip(NEXT) | instid1(VALU_DEP_2)
	v_perm_b32 v13, v81, v13, 0x5040100
	v_cndmask_b32_e64 v82, 0, v82, s0
	v_cmp_lt_i32_e64 s0, v51, v35
	s_delay_alu instid0(VALU_DEP_1) | instskip(SKIP_1) | instid1(VALU_DEP_2)
	v_cndmask_b32_e64 v0, 0, v0, s0
	v_cmp_lt_i32_e64 s0, v19, v50
	v_perm_b32 v0, v82, v0, 0x5040100
	s_delay_alu instid0(VALU_DEP_2) | instskip(SKIP_1) | instid1(VALU_DEP_1)
	v_cndmask_b32_e64 v11, 0, v11, s0
	v_cmp_lt_i32_e64 s0, v18, v35
	v_cndmask_b32_e64 v12, 0, v12, s0
	s_delay_alu instid0(VALU_DEP_1)
	v_perm_b32 v11, v11, v12, 0x5040100
.LBB296_623:                            ;   in Loop: Header=BB296_424 Depth=1
	s_or_b32 exec_lo, exec_lo, s12
	;;#ASMSTART
	v_pk_mul_f16 v12, v69, v14;

	;;#ASMEND
	;;#ASMSTART
	v_pk_mul_f16 v13, v68, v13;

	;;#ASMEND
	;; [unrolled: 4-line block ×4, first 2 shown]
	;;#ASMSTART
	v_pk_add_f16 v12, v12, v13;

	;;#ASMEND
	;;#ASMSTART
	v_pk_add_f16 v0, v12, v0;

	;;#ASMEND
	;; [unrolled: 4-line block ×3, first 2 shown]
	v_dual_mov_b32 v84, 0 :: v_dual_and_b32 v11, 0xffff, v0
	v_lshrrev_b32_e32 v0, 16, v0
	;;#ASMSTART
	v_cvt_f32_f16 v80, v11;
	;;#ASMEND
	;;#ASMSTART
	v_cvt_f32_f16 v81, v0;
	;;#ASMEND
	flat_load_b64 v[11:12], v[9:10] offset:768
	flat_load_b32 v82, v[26:27]
	s_mov_b32 s12, exec_lo
	s_waitcnt vmcnt(1) lgkmcnt(1)
	v_dual_mov_b32 v83, 0 :: v_dual_and_b32 v0, 0xff, v11
	s_delay_alu instid0(VALU_DEP_1)
	v_cmpx_ne_u16_e32 0, v0
	s_cbranch_execz .LBB296_631
; %bb.624:                              ;   in Loop: Header=BB296_424 Depth=1
	v_bfrev_b32_e32 v83, 1
	s_mov_b32 s13, exec_lo
	v_cmpx_ne_u16_e32 0x80, v0
	s_cbranch_execz .LBB296_630
; %bb.625:                              ;   in Loop: Header=BB296_424 Depth=1
	v_and_b32_e32 v13, 0x7f, v11
	v_mov_b32_e32 v83, 0x7fc02000
	s_mov_b32 s15, exec_lo
	s_delay_alu instid0(VALU_DEP_2)
	v_cmpx_ne_u32_e32 0x7f, v13
	s_cbranch_execz .LBB296_629
; %bb.626:                              ;   in Loop: Header=BB296_424 Depth=1
	v_lshrrev_b32_e32 v0, 3, v13
	v_cmp_gt_u32_e64 s0, 8, v13
	v_dual_mov_b32 v14, v12 :: v_dual_mov_b32 v13, v11
	s_delay_alu instid0(VALU_DEP_2)
	s_and_saveexec_b32 s16, s0
; %bb.627:                              ;   in Loop: Header=BB296_424 Depth=1
	v_and_b32_e32 v0, 7, v11
	s_delay_alu instid0(VALU_DEP_1) | instskip(NEXT) | instid1(VALU_DEP_1)
	v_clz_i32_u32_e32 v0, v0
	v_min_u32_e32 v0, 32, v0
	s_delay_alu instid0(VALU_DEP_1) | instskip(SKIP_1) | instid1(VALU_DEP_2)
	v_subrev_nc_u32_e32 v13, 28, v0
	v_sub_nc_u32_e32 v0, 29, v0
	v_lshlrev_b64 v[13:14], v13, v[11:12]
; %bb.628:                              ;   in Loop: Header=BB296_424 Depth=1
	s_or_b32 exec_lo, exec_lo, s16
	v_lshlrev_b32_e32 v14, 8, v11
	s_delay_alu instid0(VALU_DEP_3) | instskip(NEXT) | instid1(VALU_DEP_3)
	v_lshl_add_u32 v0, v0, 10, 0x2000
	v_lshlrev_b32_e32 v13, 7, v13
	s_delay_alu instid0(VALU_DEP_2) | instskip(NEXT) | instid1(VALU_DEP_1)
	v_and_or_b32 v0, 0x8000, v14, v0
	v_and_or_b32 v0, 0x380, v13, v0
	s_delay_alu instid0(VALU_DEP_1)
	v_cvt_f32_f16_e32 v83, v0
.LBB296_629:                            ;   in Loop: Header=BB296_424 Depth=1
	s_or_b32 exec_lo, exec_lo, s15
.LBB296_630:                            ;   in Loop: Header=BB296_424 Depth=1
	s_delay_alu instid0(SALU_CYCLE_1)
	s_or_b32 exec_lo, exec_lo, s13
.LBB296_631:                            ;   in Loop: Header=BB296_424 Depth=1
	s_delay_alu instid0(SALU_CYCLE_1) | instskip(SKIP_2) | instid1(VALU_DEP_1)
	s_or_b32 exec_lo, exec_lo, s12
	v_lshrrev_b16 v0, 8, v11
	s_mov_b32 s12, exec_lo
	v_cmpx_ne_u16_e32 0, v0
	s_cbranch_execz .LBB296_639
; %bb.632:                              ;   in Loop: Header=BB296_424 Depth=1
	v_bfrev_b32_e32 v84, 1
	s_mov_b32 s13, exec_lo
	v_cmpx_ne_u16_e32 0x80, v0
	s_cbranch_execz .LBB296_638
; %bb.633:                              ;   in Loop: Header=BB296_424 Depth=1
	v_and_b32_e32 v13, 0xffff, v0
	v_mov_b32_e32 v84, 0x7fc02000
	s_mov_b32 s15, exec_lo
	s_delay_alu instid0(VALU_DEP_2) | instskip(NEXT) | instid1(VALU_DEP_1)
	v_and_b32_e32 v85, 0x7f, v13
	v_cmpx_ne_u32_e32 0x7f, v85
	s_cbranch_execz .LBB296_637
; %bb.634:                              ;   in Loop: Header=BB296_424 Depth=1
	v_and_b32_e32 v0, 7, v13
	v_lshrrev_b32_e32 v14, 3, v85
	s_mov_b32 s16, exec_lo
	v_cmpx_gt_u32_e32 8, v85
; %bb.635:                              ;   in Loop: Header=BB296_424 Depth=1
	s_delay_alu instid0(VALU_DEP_3) | instskip(NEXT) | instid1(VALU_DEP_1)
	v_clz_i32_u32_e32 v14, v0
	v_min_u32_e32 v14, 32, v14
	s_delay_alu instid0(VALU_DEP_1) | instskip(SKIP_1) | instid1(VALU_DEP_2)
	v_subrev_nc_u32_e32 v84, 28, v14
	v_sub_nc_u32_e32 v14, 29, v14
	v_lshlrev_b64 v[84:85], v84, v[0:1]
	s_delay_alu instid0(VALU_DEP_1)
	v_and_b32_e32 v0, 7, v84
; %bb.636:                              ;   in Loop: Header=BB296_424 Depth=1
	s_or_b32 exec_lo, exec_lo, s16
	v_lshlrev_b32_e32 v13, 8, v13
	v_lshl_add_u32 v14, v14, 10, 0x2000
	s_delay_alu instid0(VALU_DEP_1) | instskip(NEXT) | instid1(VALU_DEP_1)
	v_and_or_b32 v13, 0x8000, v13, v14
	v_lshl_or_b32 v0, v0, 7, v13
	s_delay_alu instid0(VALU_DEP_1)
	v_cvt_f32_f16_e32 v84, v0
.LBB296_637:                            ;   in Loop: Header=BB296_424 Depth=1
	s_or_b32 exec_lo, exec_lo, s15
.LBB296_638:                            ;   in Loop: Header=BB296_424 Depth=1
	s_delay_alu instid0(SALU_CYCLE_1)
	s_or_b32 exec_lo, exec_lo, s13
.LBB296_639:                            ;   in Loop: Header=BB296_424 Depth=1
	s_delay_alu instid0(SALU_CYCLE_1) | instskip(SKIP_3) | instid1(VALU_DEP_2)
	s_or_b32 exec_lo, exec_lo, s12
	v_lshrrev_b32_e32 v13, 16, v11
	v_mov_b32_e32 v86, 0
	s_mov_b32 s12, exec_lo
	v_dual_mov_b32 v85, 0 :: v_dual_and_b32 v0, 0xff, v13
	s_delay_alu instid0(VALU_DEP_1)
	v_cmpx_ne_u16_e32 0, v0
	s_cbranch_execz .LBB296_647
; %bb.640:                              ;   in Loop: Header=BB296_424 Depth=1
	v_bfrev_b32_e32 v85, 1
	s_mov_b32 s13, exec_lo
	v_cmpx_ne_u16_e32 0x80, v0
	s_cbranch_execz .LBB296_646
; %bb.641:                              ;   in Loop: Header=BB296_424 Depth=1
	v_bfe_u32 v87, v11, 16, 7
	v_mov_b32_e32 v85, 0x7fc02000
	s_mov_b32 s15, exec_lo
	s_delay_alu instid0(VALU_DEP_2)
	v_cmpx_ne_u32_e32 0x7f, v87
	s_cbranch_execz .LBB296_645
; %bb.642:                              ;   in Loop: Header=BB296_424 Depth=1
	v_and_b32_e32 v0, 7, v13
	v_lshrrev_b32_e32 v14, 3, v87
	s_mov_b32 s16, exec_lo
	v_cmpx_gt_u32_e32 8, v87
; %bb.643:                              ;   in Loop: Header=BB296_424 Depth=1
	s_delay_alu instid0(VALU_DEP_3) | instskip(NEXT) | instid1(VALU_DEP_1)
	v_clz_i32_u32_e32 v14, v0
	v_min_u32_e32 v14, 32, v14
	s_delay_alu instid0(VALU_DEP_1) | instskip(SKIP_1) | instid1(VALU_DEP_2)
	v_subrev_nc_u32_e32 v85, 28, v14
	v_sub_nc_u32_e32 v14, 29, v14
	v_lshlrev_b64 v[96:97], v85, v[0:1]
	s_delay_alu instid0(VALU_DEP_1)
	v_and_b32_e32 v0, 7, v96
; %bb.644:                              ;   in Loop: Header=BB296_424 Depth=1
	s_or_b32 exec_lo, exec_lo, s16
	v_lshlrev_b32_e32 v13, 8, v13
	v_lshl_add_u32 v14, v14, 10, 0x2000
	s_delay_alu instid0(VALU_DEP_1) | instskip(NEXT) | instid1(VALU_DEP_1)
	v_and_or_b32 v13, 0x8000, v13, v14
	v_lshl_or_b32 v0, v0, 7, v13
	s_delay_alu instid0(VALU_DEP_1)
	v_cvt_f32_f16_e32 v85, v0
.LBB296_645:                            ;   in Loop: Header=BB296_424 Depth=1
	s_or_b32 exec_lo, exec_lo, s15
.LBB296_646:                            ;   in Loop: Header=BB296_424 Depth=1
	s_delay_alu instid0(SALU_CYCLE_1)
	s_or_b32 exec_lo, exec_lo, s13
.LBB296_647:                            ;   in Loop: Header=BB296_424 Depth=1
	s_delay_alu instid0(SALU_CYCLE_1) | instskip(NEXT) | instid1(SALU_CYCLE_1)
	s_or_b32 exec_lo, exec_lo, s12
	s_mov_b32 s12, exec_lo
	v_cmpx_lt_u32_e32 0xffffff, v11
	s_cbranch_execz .LBB296_655
; %bb.648:                              ;   in Loop: Header=BB296_424 Depth=1
	v_lshrrev_b32_e32 v13, 24, v11
	v_bfrev_b32_e32 v86, 1
	s_mov_b32 s13, exec_lo
	s_delay_alu instid0(VALU_DEP_2)
	v_cmpx_ne_u32_e32 0x80, v13
	s_cbranch_execz .LBB296_654
; %bb.649:                              ;   in Loop: Header=BB296_424 Depth=1
	v_and_b32_e32 v87, 0x7f, v13
	v_mov_b32_e32 v86, 0x7fc02000
	s_mov_b32 s15, exec_lo
	s_delay_alu instid0(VALU_DEP_2)
	v_cmpx_ne_u32_e32 0x7f, v87
	s_cbranch_execz .LBB296_653
; %bb.650:                              ;   in Loop: Header=BB296_424 Depth=1
	v_and_b32_e32 v0, 7, v13
	v_lshrrev_b32_e32 v14, 3, v87
	s_mov_b32 s16, exec_lo
	v_cmpx_gt_u32_e32 8, v87
; %bb.651:                              ;   in Loop: Header=BB296_424 Depth=1
	s_delay_alu instid0(VALU_DEP_3) | instskip(NEXT) | instid1(VALU_DEP_1)
	v_clz_i32_u32_e32 v14, v0
	v_min_u32_e32 v14, 32, v14
	s_delay_alu instid0(VALU_DEP_1) | instskip(SKIP_1) | instid1(VALU_DEP_2)
	v_subrev_nc_u32_e32 v86, 28, v14
	v_sub_nc_u32_e32 v14, 29, v14
	v_lshlrev_b64 v[86:87], v86, v[0:1]
	s_delay_alu instid0(VALU_DEP_1)
	v_and_b32_e32 v0, 7, v86
; %bb.652:                              ;   in Loop: Header=BB296_424 Depth=1
	s_or_b32 exec_lo, exec_lo, s16
	v_lshlrev_b32_e32 v13, 8, v13
	v_lshl_add_u32 v14, v14, 10, 0x2000
	s_delay_alu instid0(VALU_DEP_1) | instskip(NEXT) | instid1(VALU_DEP_1)
	v_and_or_b32 v13, 0x8000, v13, v14
	v_lshl_or_b32 v0, v0, 7, v13
	s_delay_alu instid0(VALU_DEP_1)
	v_cvt_f32_f16_e32 v86, v0
.LBB296_653:                            ;   in Loop: Header=BB296_424 Depth=1
	s_or_b32 exec_lo, exec_lo, s15
.LBB296_654:                            ;   in Loop: Header=BB296_424 Depth=1
	s_delay_alu instid0(SALU_CYCLE_1)
	s_or_b32 exec_lo, exec_lo, s13
.LBB296_655:                            ;   in Loop: Header=BB296_424 Depth=1
	s_delay_alu instid0(SALU_CYCLE_1) | instskip(SKIP_3) | instid1(VALU_DEP_2)
	s_or_b32 exec_lo, exec_lo, s12
	v_dual_mov_b32 v87, 0 :: v_dual_and_b32 v14, 0xff, v12
	v_dual_mov_b32 v0, v12 :: v_dual_mov_b32 v13, 0
	s_mov_b32 s12, exec_lo
	v_cmpx_ne_u16_e32 0, v14
	s_cbranch_execz .LBB296_663
; %bb.656:                              ;   in Loop: Header=BB296_424 Depth=1
	v_bfrev_b32_e32 v13, 1
	s_mov_b32 s13, exec_lo
	v_cmpx_ne_u16_e32 0x80, v14
	s_cbranch_execz .LBB296_662
; %bb.657:                              ;   in Loop: Header=BB296_424 Depth=1
	v_and_b32_e32 v14, 0x7f, v12
	v_mov_b32_e32 v13, 0x7fc02000
	s_mov_b32 s15, exec_lo
	s_delay_alu instid0(VALU_DEP_2)
	v_cmpx_ne_u32_e32 0x7f, v14
	s_cbranch_execz .LBB296_661
; %bb.658:                              ;   in Loop: Header=BB296_424 Depth=1
	v_lshrrev_b32_e32 v96, 3, v14
	v_cmp_gt_u32_e64 s0, 8, v14
	v_dual_mov_b32 v14, v1 :: v_dual_mov_b32 v13, v0
	s_delay_alu instid0(VALU_DEP_2)
	s_and_saveexec_b32 s16, s0
; %bb.659:                              ;   in Loop: Header=BB296_424 Depth=1
	v_and_b32_e32 v13, 7, v12
	s_delay_alu instid0(VALU_DEP_1) | instskip(NEXT) | instid1(VALU_DEP_1)
	v_clz_i32_u32_e32 v13, v13
	v_min_u32_e32 v96, 32, v13
	s_delay_alu instid0(VALU_DEP_1) | instskip(SKIP_1) | instid1(VALU_DEP_2)
	v_subrev_nc_u32_e32 v13, 28, v96
	v_sub_nc_u32_e32 v96, 29, v96
	v_lshlrev_b64 v[13:14], v13, v[0:1]
; %bb.660:                              ;   in Loop: Header=BB296_424 Depth=1
	s_or_b32 exec_lo, exec_lo, s16
	v_lshlrev_b32_e32 v14, 8, v12
	s_delay_alu instid0(VALU_DEP_3) | instskip(NEXT) | instid1(VALU_DEP_3)
	v_lshl_add_u32 v96, v96, 10, 0x2000
	v_lshlrev_b32_e32 v13, 7, v13
	s_delay_alu instid0(VALU_DEP_2) | instskip(NEXT) | instid1(VALU_DEP_1)
	v_and_or_b32 v14, 0x8000, v14, v96
	v_and_or_b32 v13, 0x380, v13, v14
	s_delay_alu instid0(VALU_DEP_1)
	v_cvt_f32_f16_e32 v13, v13
.LBB296_661:                            ;   in Loop: Header=BB296_424 Depth=1
	s_or_b32 exec_lo, exec_lo, s15
.LBB296_662:                            ;   in Loop: Header=BB296_424 Depth=1
	s_delay_alu instid0(SALU_CYCLE_1)
	s_or_b32 exec_lo, exec_lo, s13
.LBB296_663:                            ;   in Loop: Header=BB296_424 Depth=1
	s_delay_alu instid0(SALU_CYCLE_1) | instskip(SKIP_2) | instid1(VALU_DEP_1)
	s_or_b32 exec_lo, exec_lo, s12
	v_lshrrev_b16 v0, 8, v0
	s_mov_b32 s12, exec_lo
	v_cmpx_ne_u16_e32 0, v0
	s_cbranch_execz .LBB296_671
; %bb.664:                              ;   in Loop: Header=BB296_424 Depth=1
	v_bfrev_b32_e32 v87, 1
	s_mov_b32 s13, exec_lo
	v_cmpx_ne_u16_e32 0x80, v0
	s_cbranch_execz .LBB296_670
; %bb.665:                              ;   in Loop: Header=BB296_424 Depth=1
	v_and_b32_e32 v14, 0xffff, v0
	v_mov_b32_e32 v87, 0x7fc02000
	s_mov_b32 s15, exec_lo
	s_delay_alu instid0(VALU_DEP_2) | instskip(NEXT) | instid1(VALU_DEP_1)
	v_and_b32_e32 v96, 0x7f, v14
	v_cmpx_ne_u32_e32 0x7f, v96
	s_cbranch_execz .LBB296_669
; %bb.666:                              ;   in Loop: Header=BB296_424 Depth=1
	v_and_b32_e32 v0, 7, v14
	v_lshrrev_b32_e32 v87, 3, v96
	s_mov_b32 s16, exec_lo
	v_cmpx_gt_u32_e32 8, v96
; %bb.667:                              ;   in Loop: Header=BB296_424 Depth=1
	s_delay_alu instid0(VALU_DEP_3) | instskip(NEXT) | instid1(VALU_DEP_1)
	v_clz_i32_u32_e32 v87, v0
	v_min_u32_e32 v87, 32, v87
	s_delay_alu instid0(VALU_DEP_1) | instskip(SKIP_1) | instid1(VALU_DEP_2)
	v_subrev_nc_u32_e32 v96, 28, v87
	v_sub_nc_u32_e32 v87, 29, v87
	v_lshlrev_b64 v[96:97], v96, v[0:1]
	s_delay_alu instid0(VALU_DEP_1)
	v_and_b32_e32 v0, 7, v96
; %bb.668:                              ;   in Loop: Header=BB296_424 Depth=1
	s_or_b32 exec_lo, exec_lo, s16
	v_lshlrev_b32_e32 v14, 8, v14
	v_lshl_add_u32 v87, v87, 10, 0x2000
	s_delay_alu instid0(VALU_DEP_1) | instskip(NEXT) | instid1(VALU_DEP_1)
	v_and_or_b32 v14, 0x8000, v14, v87
	v_lshl_or_b32 v0, v0, 7, v14
	s_delay_alu instid0(VALU_DEP_1)
	v_cvt_f32_f16_e32 v87, v0
.LBB296_669:                            ;   in Loop: Header=BB296_424 Depth=1
	s_or_b32 exec_lo, exec_lo, s15
.LBB296_670:                            ;   in Loop: Header=BB296_424 Depth=1
	s_delay_alu instid0(SALU_CYCLE_1)
	s_or_b32 exec_lo, exec_lo, s13
.LBB296_671:                            ;   in Loop: Header=BB296_424 Depth=1
	s_delay_alu instid0(SALU_CYCLE_1) | instskip(SKIP_4) | instid1(VALU_DEP_3)
	s_or_b32 exec_lo, exec_lo, s12
	v_lshrrev_b32_e32 v97, 16, v12
	v_mov_b32_e32 v96, 0
	v_mov_b32_e32 v14, 0
	s_mov_b32 s12, exec_lo
	v_and_b32_e32 v0, 0xff, v97
	s_delay_alu instid0(VALU_DEP_1)
	v_cmpx_ne_u16_e32 0, v0
	s_cbranch_execz .LBB296_679
; %bb.672:                              ;   in Loop: Header=BB296_424 Depth=1
	v_bfrev_b32_e32 v14, 1
	s_mov_b32 s13, exec_lo
	v_cmpx_ne_u16_e32 0x80, v0
	s_cbranch_execz .LBB296_678
; %bb.673:                              ;   in Loop: Header=BB296_424 Depth=1
	v_bfe_u32 v98, v12, 16, 7
	v_mov_b32_e32 v14, 0x7fc02000
	s_mov_b32 s15, exec_lo
	s_delay_alu instid0(VALU_DEP_2)
	v_cmpx_ne_u32_e32 0x7f, v98
	s_cbranch_execz .LBB296_677
; %bb.674:                              ;   in Loop: Header=BB296_424 Depth=1
	v_and_b32_e32 v0, 7, v97
	v_lshrrev_b32_e32 v14, 3, v98
	s_mov_b32 s16, exec_lo
	v_cmpx_gt_u32_e32 8, v98
; %bb.675:                              ;   in Loop: Header=BB296_424 Depth=1
	s_delay_alu instid0(VALU_DEP_3) | instskip(NEXT) | instid1(VALU_DEP_1)
	v_clz_i32_u32_e32 v14, v0
	v_min_u32_e32 v14, 32, v14
	s_delay_alu instid0(VALU_DEP_1) | instskip(SKIP_1) | instid1(VALU_DEP_2)
	v_subrev_nc_u32_e32 v98, 28, v14
	v_sub_nc_u32_e32 v14, 29, v14
	v_lshlrev_b64 v[98:99], v98, v[0:1]
	s_delay_alu instid0(VALU_DEP_1)
	v_and_b32_e32 v0, 7, v98
; %bb.676:                              ;   in Loop: Header=BB296_424 Depth=1
	s_or_b32 exec_lo, exec_lo, s16
	v_lshlrev_b32_e32 v97, 8, v97
	v_lshl_add_u32 v14, v14, 10, 0x2000
	s_delay_alu instid0(VALU_DEP_1) | instskip(NEXT) | instid1(VALU_DEP_1)
	v_and_or_b32 v14, 0x8000, v97, v14
	v_lshl_or_b32 v0, v0, 7, v14
	s_delay_alu instid0(VALU_DEP_1)
	v_cvt_f32_f16_e32 v14, v0
.LBB296_677:                            ;   in Loop: Header=BB296_424 Depth=1
	s_or_b32 exec_lo, exec_lo, s15
.LBB296_678:                            ;   in Loop: Header=BB296_424 Depth=1
	s_delay_alu instid0(SALU_CYCLE_1)
	s_or_b32 exec_lo, exec_lo, s13
.LBB296_679:                            ;   in Loop: Header=BB296_424 Depth=1
	s_delay_alu instid0(SALU_CYCLE_1) | instskip(NEXT) | instid1(SALU_CYCLE_1)
	s_or_b32 exec_lo, exec_lo, s12
	s_mov_b32 s12, exec_lo
	v_cmpx_lt_u64_e64 s[8:9], v[11:12]
	s_cbranch_execz .LBB296_687
; %bb.680:                              ;   in Loop: Header=BB296_424 Depth=1
	v_lshrrev_b32_e32 v11, 24, v12
	v_bfrev_b32_e32 v96, 1
	s_mov_b32 s13, exec_lo
	s_delay_alu instid0(VALU_DEP_2)
	v_cmpx_ne_u32_e32 0x80, v11
	s_cbranch_execz .LBB296_686
; %bb.681:                              ;   in Loop: Header=BB296_424 Depth=1
	v_and_b32_e32 v97, 0x7f, v11
	v_mov_b32_e32 v96, 0x7fc02000
	s_mov_b32 s15, exec_lo
	s_delay_alu instid0(VALU_DEP_2)
	v_cmpx_ne_u32_e32 0x7f, v97
	s_cbranch_execz .LBB296_685
; %bb.682:                              ;   in Loop: Header=BB296_424 Depth=1
	v_and_b32_e32 v0, 7, v11
	v_lshrrev_b32_e32 v12, 3, v97
	s_mov_b32 s16, exec_lo
	v_cmpx_gt_u32_e32 8, v97
; %bb.683:                              ;   in Loop: Header=BB296_424 Depth=1
	s_delay_alu instid0(VALU_DEP_3) | instskip(NEXT) | instid1(VALU_DEP_1)
	v_clz_i32_u32_e32 v12, v0
	v_min_u32_e32 v12, 32, v12
	s_delay_alu instid0(VALU_DEP_1) | instskip(SKIP_1) | instid1(VALU_DEP_2)
	v_subrev_nc_u32_e32 v96, 28, v12
	v_sub_nc_u32_e32 v12, 29, v12
	v_lshlrev_b64 v[96:97], v96, v[0:1]
	s_delay_alu instid0(VALU_DEP_1)
	v_and_b32_e32 v0, 7, v96
; %bb.684:                              ;   in Loop: Header=BB296_424 Depth=1
	s_or_b32 exec_lo, exec_lo, s16
	v_lshlrev_b32_e32 v11, 8, v11
	v_lshl_add_u32 v12, v12, 10, 0x2000
	s_delay_alu instid0(VALU_DEP_1) | instskip(NEXT) | instid1(VALU_DEP_1)
	v_and_or_b32 v11, 0x8000, v11, v12
	v_lshl_or_b32 v0, v0, 7, v11
	s_delay_alu instid0(VALU_DEP_1)
	v_cvt_f32_f16_e32 v96, v0
.LBB296_685:                            ;   in Loop: Header=BB296_424 Depth=1
	s_or_b32 exec_lo, exec_lo, s15
.LBB296_686:                            ;   in Loop: Header=BB296_424 Depth=1
	s_delay_alu instid0(SALU_CYCLE_1)
	s_or_b32 exec_lo, exec_lo, s13
.LBB296_687:                            ;   in Loop: Header=BB296_424 Depth=1
	s_delay_alu instid0(SALU_CYCLE_1)
	s_or_b32 exec_lo, exec_lo, s12
	s_waitcnt vmcnt(0) lgkmcnt(0)
	v_fma_mixlo_f16 v12, v82, v84, 0
	v_fma_mixlo_f16 v0, v82, v86, 0
	;; [unrolled: 1-line block ×5, first 2 shown]
	v_lshlrev_b32_e32 v84, 16, v12
	v_fma_mixlo_f16 v13, v82, v13, 0
	v_fma_mixlo_f16 v86, v82, v96, 0
	;; [unrolled: 1-line block ×3, first 2 shown]
	v_lshlrev_b32_e32 v0, 16, v0
	v_and_b32_e32 v11, 0xffff, v11
	v_and_b32_e32 v14, 0xffff, v83
	v_lshlrev_b32_e32 v82, 16, v85
	v_and_b32_e32 v83, 0xffff, v13
	v_lshlrev_b32_e32 v85, 16, v86
	v_and_b32_e32 v86, 0xffff, v12
	v_or_b32_e32 v13, v0, v11
	v_or_b32_e32 v14, v84, v14
	;; [unrolled: 1-line block ×3, first 2 shown]
	s_delay_alu instid0(VALU_DEP_4)
	v_or_b32_e32 v11, v85, v86
	s_and_saveexec_b32 s12, vcc_lo
	s_cbranch_execz .LBB296_689
; %bb.688:                              ;   in Loop: Header=BB296_424 Depth=1
	v_cmp_lt_i32_e64 s0, v23, v35
	v_lshrrev_b32_e32 v82, 16, v14
	v_lshrrev_b32_e32 v83, 16, v13
	;; [unrolled: 1-line block ×4, first 2 shown]
	v_cndmask_b32_e64 v14, 0, v14, s0
	v_cmp_lt_i32_e64 s0, v55, v50
	s_delay_alu instid0(VALU_DEP_1) | instskip(SKIP_1) | instid1(VALU_DEP_2)
	v_cndmask_b32_e64 v82, 0, v82, s0
	v_cmp_lt_i32_e64 s0, v54, v50
	v_perm_b32 v14, v82, v14, 0x5040100
	s_delay_alu instid0(VALU_DEP_2) | instskip(SKIP_1) | instid1(VALU_DEP_1)
	v_cndmask_b32_e64 v83, 0, v83, s0
	v_cmp_lt_i32_e64 s0, v53, v35
	v_cndmask_b32_e64 v13, 0, v13, s0
	v_cmp_lt_i32_e64 s0, v52, v50
	s_delay_alu instid0(VALU_DEP_2) | instskip(NEXT) | instid1(VALU_DEP_2)
	v_perm_b32 v13, v83, v13, 0x5040100
	v_cndmask_b32_e64 v84, 0, v84, s0
	v_cmp_lt_i32_e64 s0, v51, v35
	s_delay_alu instid0(VALU_DEP_1) | instskip(SKIP_1) | instid1(VALU_DEP_2)
	v_cndmask_b32_e64 v0, 0, v0, s0
	v_cmp_lt_i32_e64 s0, v19, v50
	v_perm_b32 v0, v84, v0, 0x5040100
	s_delay_alu instid0(VALU_DEP_2) | instskip(SKIP_1) | instid1(VALU_DEP_1)
	v_cndmask_b32_e64 v11, 0, v11, s0
	v_cmp_lt_i32_e64 s0, v18, v35
	v_cndmask_b32_e64 v12, 0, v12, s0
	s_delay_alu instid0(VALU_DEP_1)
	v_perm_b32 v11, v11, v12, 0x5040100
.LBB296_689:                            ;   in Loop: Header=BB296_424 Depth=1
	s_or_b32 exec_lo, exec_lo, s12
	;;#ASMSTART
	v_pk_mul_f16 v12, v69, v14;

	;;#ASMEND
	;;#ASMSTART
	v_pk_mul_f16 v13, v68, v13;

	;;#ASMEND
	;; [unrolled: 4-line block ×4, first 2 shown]
	;;#ASMSTART
	v_pk_add_f16 v12, v12, v13;

	;;#ASMEND
	;;#ASMSTART
	v_pk_add_f16 v0, v12, v0;

	;;#ASMEND
	;; [unrolled: 4-line block ×3, first 2 shown]
	v_dual_mov_b32 v86, 0 :: v_dual_and_b32 v11, 0xffff, v0
	v_lshrrev_b32_e32 v0, 16, v0
	;;#ASMSTART
	v_cvt_f32_f16 v82, v11;
	;;#ASMEND
	;;#ASMSTART
	v_cvt_f32_f16 v83, v0;
	;;#ASMEND
	flat_load_b64 v[11:12], v[9:10] offset:1024
	flat_load_b32 v84, v[26:27]
	s_mov_b32 s12, exec_lo
	s_waitcnt vmcnt(1) lgkmcnt(1)
	v_dual_mov_b32 v85, 0 :: v_dual_and_b32 v0, 0xff, v11
	s_delay_alu instid0(VALU_DEP_1)
	v_cmpx_ne_u16_e32 0, v0
	s_cbranch_execz .LBB296_697
; %bb.690:                              ;   in Loop: Header=BB296_424 Depth=1
	v_bfrev_b32_e32 v85, 1
	s_mov_b32 s13, exec_lo
	v_cmpx_ne_u16_e32 0x80, v0
	s_cbranch_execz .LBB296_696
; %bb.691:                              ;   in Loop: Header=BB296_424 Depth=1
	v_and_b32_e32 v13, 0x7f, v11
	v_mov_b32_e32 v85, 0x7fc02000
	s_mov_b32 s15, exec_lo
	s_delay_alu instid0(VALU_DEP_2)
	v_cmpx_ne_u32_e32 0x7f, v13
	s_cbranch_execz .LBB296_695
; %bb.692:                              ;   in Loop: Header=BB296_424 Depth=1
	v_lshrrev_b32_e32 v0, 3, v13
	v_cmp_gt_u32_e64 s0, 8, v13
	v_dual_mov_b32 v14, v12 :: v_dual_mov_b32 v13, v11
	s_delay_alu instid0(VALU_DEP_2)
	s_and_saveexec_b32 s16, s0
; %bb.693:                              ;   in Loop: Header=BB296_424 Depth=1
	v_and_b32_e32 v0, 7, v11
	s_delay_alu instid0(VALU_DEP_1) | instskip(NEXT) | instid1(VALU_DEP_1)
	v_clz_i32_u32_e32 v0, v0
	v_min_u32_e32 v0, 32, v0
	s_delay_alu instid0(VALU_DEP_1) | instskip(SKIP_1) | instid1(VALU_DEP_2)
	v_subrev_nc_u32_e32 v13, 28, v0
	v_sub_nc_u32_e32 v0, 29, v0
	v_lshlrev_b64 v[13:14], v13, v[11:12]
; %bb.694:                              ;   in Loop: Header=BB296_424 Depth=1
	s_or_b32 exec_lo, exec_lo, s16
	v_lshlrev_b32_e32 v14, 8, v11
	s_delay_alu instid0(VALU_DEP_3) | instskip(NEXT) | instid1(VALU_DEP_3)
	v_lshl_add_u32 v0, v0, 10, 0x2000
	v_lshlrev_b32_e32 v13, 7, v13
	s_delay_alu instid0(VALU_DEP_2) | instskip(NEXT) | instid1(VALU_DEP_1)
	v_and_or_b32 v0, 0x8000, v14, v0
	v_and_or_b32 v0, 0x380, v13, v0
	s_delay_alu instid0(VALU_DEP_1)
	v_cvt_f32_f16_e32 v85, v0
.LBB296_695:                            ;   in Loop: Header=BB296_424 Depth=1
	s_or_b32 exec_lo, exec_lo, s15
.LBB296_696:                            ;   in Loop: Header=BB296_424 Depth=1
	s_delay_alu instid0(SALU_CYCLE_1)
	s_or_b32 exec_lo, exec_lo, s13
.LBB296_697:                            ;   in Loop: Header=BB296_424 Depth=1
	s_delay_alu instid0(SALU_CYCLE_1) | instskip(SKIP_2) | instid1(VALU_DEP_1)
	s_or_b32 exec_lo, exec_lo, s12
	v_lshrrev_b16 v0, 8, v11
	s_mov_b32 s12, exec_lo
	v_cmpx_ne_u16_e32 0, v0
	s_cbranch_execz .LBB296_705
; %bb.698:                              ;   in Loop: Header=BB296_424 Depth=1
	v_bfrev_b32_e32 v86, 1
	s_mov_b32 s13, exec_lo
	v_cmpx_ne_u16_e32 0x80, v0
	s_cbranch_execz .LBB296_704
; %bb.699:                              ;   in Loop: Header=BB296_424 Depth=1
	v_and_b32_e32 v13, 0xffff, v0
	v_mov_b32_e32 v86, 0x7fc02000
	s_mov_b32 s15, exec_lo
	s_delay_alu instid0(VALU_DEP_2) | instskip(NEXT) | instid1(VALU_DEP_1)
	v_and_b32_e32 v87, 0x7f, v13
	v_cmpx_ne_u32_e32 0x7f, v87
	s_cbranch_execz .LBB296_703
; %bb.700:                              ;   in Loop: Header=BB296_424 Depth=1
	v_and_b32_e32 v0, 7, v13
	v_lshrrev_b32_e32 v14, 3, v87
	s_mov_b32 s16, exec_lo
	v_cmpx_gt_u32_e32 8, v87
; %bb.701:                              ;   in Loop: Header=BB296_424 Depth=1
	s_delay_alu instid0(VALU_DEP_3) | instskip(NEXT) | instid1(VALU_DEP_1)
	v_clz_i32_u32_e32 v14, v0
	v_min_u32_e32 v14, 32, v14
	s_delay_alu instid0(VALU_DEP_1) | instskip(SKIP_1) | instid1(VALU_DEP_2)
	v_subrev_nc_u32_e32 v86, 28, v14
	v_sub_nc_u32_e32 v14, 29, v14
	v_lshlrev_b64 v[86:87], v86, v[0:1]
	s_delay_alu instid0(VALU_DEP_1)
	v_and_b32_e32 v0, 7, v86
; %bb.702:                              ;   in Loop: Header=BB296_424 Depth=1
	s_or_b32 exec_lo, exec_lo, s16
	v_lshlrev_b32_e32 v13, 8, v13
	v_lshl_add_u32 v14, v14, 10, 0x2000
	s_delay_alu instid0(VALU_DEP_1) | instskip(NEXT) | instid1(VALU_DEP_1)
	v_and_or_b32 v13, 0x8000, v13, v14
	v_lshl_or_b32 v0, v0, 7, v13
	s_delay_alu instid0(VALU_DEP_1)
	v_cvt_f32_f16_e32 v86, v0
.LBB296_703:                            ;   in Loop: Header=BB296_424 Depth=1
	s_or_b32 exec_lo, exec_lo, s15
.LBB296_704:                            ;   in Loop: Header=BB296_424 Depth=1
	s_delay_alu instid0(SALU_CYCLE_1)
	s_or_b32 exec_lo, exec_lo, s13
.LBB296_705:                            ;   in Loop: Header=BB296_424 Depth=1
	s_delay_alu instid0(SALU_CYCLE_1) | instskip(SKIP_3) | instid1(VALU_DEP_2)
	s_or_b32 exec_lo, exec_lo, s12
	v_lshrrev_b32_e32 v13, 16, v11
	v_mov_b32_e32 v96, 0
	s_mov_b32 s12, exec_lo
	v_dual_mov_b32 v87, 0 :: v_dual_and_b32 v0, 0xff, v13
	s_delay_alu instid0(VALU_DEP_1)
	v_cmpx_ne_u16_e32 0, v0
	s_cbranch_execz .LBB296_713
; %bb.706:                              ;   in Loop: Header=BB296_424 Depth=1
	v_bfrev_b32_e32 v87, 1
	s_mov_b32 s13, exec_lo
	v_cmpx_ne_u16_e32 0x80, v0
	s_cbranch_execz .LBB296_712
; %bb.707:                              ;   in Loop: Header=BB296_424 Depth=1
	v_bfe_u32 v97, v11, 16, 7
	v_mov_b32_e32 v87, 0x7fc02000
	s_mov_b32 s15, exec_lo
	s_delay_alu instid0(VALU_DEP_2)
	v_cmpx_ne_u32_e32 0x7f, v97
	s_cbranch_execz .LBB296_711
; %bb.708:                              ;   in Loop: Header=BB296_424 Depth=1
	v_and_b32_e32 v0, 7, v13
	v_lshrrev_b32_e32 v14, 3, v97
	s_mov_b32 s16, exec_lo
	v_cmpx_gt_u32_e32 8, v97
; %bb.709:                              ;   in Loop: Header=BB296_424 Depth=1
	s_delay_alu instid0(VALU_DEP_3) | instskip(NEXT) | instid1(VALU_DEP_1)
	v_clz_i32_u32_e32 v14, v0
	v_min_u32_e32 v14, 32, v14
	s_delay_alu instid0(VALU_DEP_1) | instskip(SKIP_1) | instid1(VALU_DEP_2)
	v_subrev_nc_u32_e32 v87, 28, v14
	v_sub_nc_u32_e32 v14, 29, v14
	v_lshlrev_b64 v[97:98], v87, v[0:1]
	s_delay_alu instid0(VALU_DEP_1)
	v_and_b32_e32 v0, 7, v97
; %bb.710:                              ;   in Loop: Header=BB296_424 Depth=1
	s_or_b32 exec_lo, exec_lo, s16
	v_lshlrev_b32_e32 v13, 8, v13
	v_lshl_add_u32 v14, v14, 10, 0x2000
	s_delay_alu instid0(VALU_DEP_1) | instskip(NEXT) | instid1(VALU_DEP_1)
	v_and_or_b32 v13, 0x8000, v13, v14
	v_lshl_or_b32 v0, v0, 7, v13
	s_delay_alu instid0(VALU_DEP_1)
	v_cvt_f32_f16_e32 v87, v0
.LBB296_711:                            ;   in Loop: Header=BB296_424 Depth=1
	s_or_b32 exec_lo, exec_lo, s15
.LBB296_712:                            ;   in Loop: Header=BB296_424 Depth=1
	s_delay_alu instid0(SALU_CYCLE_1)
	s_or_b32 exec_lo, exec_lo, s13
.LBB296_713:                            ;   in Loop: Header=BB296_424 Depth=1
	s_delay_alu instid0(SALU_CYCLE_1) | instskip(NEXT) | instid1(SALU_CYCLE_1)
	s_or_b32 exec_lo, exec_lo, s12
	s_mov_b32 s12, exec_lo
	v_cmpx_lt_u32_e32 0xffffff, v11
	s_cbranch_execz .LBB296_721
; %bb.714:                              ;   in Loop: Header=BB296_424 Depth=1
	v_lshrrev_b32_e32 v13, 24, v11
	v_bfrev_b32_e32 v96, 1
	s_mov_b32 s13, exec_lo
	s_delay_alu instid0(VALU_DEP_2)
	v_cmpx_ne_u32_e32 0x80, v13
	s_cbranch_execz .LBB296_720
; %bb.715:                              ;   in Loop: Header=BB296_424 Depth=1
	v_and_b32_e32 v97, 0x7f, v13
	v_mov_b32_e32 v96, 0x7fc02000
	s_mov_b32 s15, exec_lo
	s_delay_alu instid0(VALU_DEP_2)
	v_cmpx_ne_u32_e32 0x7f, v97
	s_cbranch_execz .LBB296_719
; %bb.716:                              ;   in Loop: Header=BB296_424 Depth=1
	v_and_b32_e32 v0, 7, v13
	v_lshrrev_b32_e32 v14, 3, v97
	s_mov_b32 s16, exec_lo
	v_cmpx_gt_u32_e32 8, v97
; %bb.717:                              ;   in Loop: Header=BB296_424 Depth=1
	s_delay_alu instid0(VALU_DEP_3) | instskip(NEXT) | instid1(VALU_DEP_1)
	v_clz_i32_u32_e32 v14, v0
	v_min_u32_e32 v14, 32, v14
	s_delay_alu instid0(VALU_DEP_1) | instskip(SKIP_1) | instid1(VALU_DEP_2)
	v_subrev_nc_u32_e32 v96, 28, v14
	v_sub_nc_u32_e32 v14, 29, v14
	v_lshlrev_b64 v[96:97], v96, v[0:1]
	s_delay_alu instid0(VALU_DEP_1)
	v_and_b32_e32 v0, 7, v96
; %bb.718:                              ;   in Loop: Header=BB296_424 Depth=1
	s_or_b32 exec_lo, exec_lo, s16
	v_lshlrev_b32_e32 v13, 8, v13
	v_lshl_add_u32 v14, v14, 10, 0x2000
	s_delay_alu instid0(VALU_DEP_1) | instskip(NEXT) | instid1(VALU_DEP_1)
	v_and_or_b32 v13, 0x8000, v13, v14
	v_lshl_or_b32 v0, v0, 7, v13
	s_delay_alu instid0(VALU_DEP_1)
	v_cvt_f32_f16_e32 v96, v0
.LBB296_719:                            ;   in Loop: Header=BB296_424 Depth=1
	s_or_b32 exec_lo, exec_lo, s15
.LBB296_720:                            ;   in Loop: Header=BB296_424 Depth=1
	s_delay_alu instid0(SALU_CYCLE_1)
	s_or_b32 exec_lo, exec_lo, s13
.LBB296_721:                            ;   in Loop: Header=BB296_424 Depth=1
	s_delay_alu instid0(SALU_CYCLE_1) | instskip(SKIP_3) | instid1(VALU_DEP_2)
	s_or_b32 exec_lo, exec_lo, s12
	v_dual_mov_b32 v97, 0 :: v_dual_and_b32 v14, 0xff, v12
	v_dual_mov_b32 v0, v12 :: v_dual_mov_b32 v13, 0
	s_mov_b32 s12, exec_lo
	v_cmpx_ne_u16_e32 0, v14
	s_cbranch_execz .LBB296_729
; %bb.722:                              ;   in Loop: Header=BB296_424 Depth=1
	v_bfrev_b32_e32 v13, 1
	s_mov_b32 s13, exec_lo
	v_cmpx_ne_u16_e32 0x80, v14
	s_cbranch_execz .LBB296_728
; %bb.723:                              ;   in Loop: Header=BB296_424 Depth=1
	v_and_b32_e32 v14, 0x7f, v12
	v_mov_b32_e32 v13, 0x7fc02000
	s_mov_b32 s15, exec_lo
	s_delay_alu instid0(VALU_DEP_2)
	v_cmpx_ne_u32_e32 0x7f, v14
	s_cbranch_execz .LBB296_727
; %bb.724:                              ;   in Loop: Header=BB296_424 Depth=1
	v_lshrrev_b32_e32 v98, 3, v14
	v_cmp_gt_u32_e64 s0, 8, v14
	v_dual_mov_b32 v14, v1 :: v_dual_mov_b32 v13, v0
	s_delay_alu instid0(VALU_DEP_2)
	s_and_saveexec_b32 s16, s0
; %bb.725:                              ;   in Loop: Header=BB296_424 Depth=1
	v_and_b32_e32 v13, 7, v12
	s_delay_alu instid0(VALU_DEP_1) | instskip(NEXT) | instid1(VALU_DEP_1)
	v_clz_i32_u32_e32 v13, v13
	v_min_u32_e32 v98, 32, v13
	s_delay_alu instid0(VALU_DEP_1) | instskip(SKIP_1) | instid1(VALU_DEP_2)
	v_subrev_nc_u32_e32 v13, 28, v98
	v_sub_nc_u32_e32 v98, 29, v98
	v_lshlrev_b64 v[13:14], v13, v[0:1]
; %bb.726:                              ;   in Loop: Header=BB296_424 Depth=1
	s_or_b32 exec_lo, exec_lo, s16
	v_lshlrev_b32_e32 v14, 8, v12
	s_delay_alu instid0(VALU_DEP_3) | instskip(NEXT) | instid1(VALU_DEP_3)
	v_lshl_add_u32 v98, v98, 10, 0x2000
	v_lshlrev_b32_e32 v13, 7, v13
	s_delay_alu instid0(VALU_DEP_2) | instskip(NEXT) | instid1(VALU_DEP_1)
	v_and_or_b32 v14, 0x8000, v14, v98
	v_and_or_b32 v13, 0x380, v13, v14
	s_delay_alu instid0(VALU_DEP_1)
	v_cvt_f32_f16_e32 v13, v13
.LBB296_727:                            ;   in Loop: Header=BB296_424 Depth=1
	s_or_b32 exec_lo, exec_lo, s15
.LBB296_728:                            ;   in Loop: Header=BB296_424 Depth=1
	s_delay_alu instid0(SALU_CYCLE_1)
	s_or_b32 exec_lo, exec_lo, s13
.LBB296_729:                            ;   in Loop: Header=BB296_424 Depth=1
	s_delay_alu instid0(SALU_CYCLE_1) | instskip(SKIP_2) | instid1(VALU_DEP_1)
	s_or_b32 exec_lo, exec_lo, s12
	v_lshrrev_b16 v0, 8, v0
	s_mov_b32 s12, exec_lo
	v_cmpx_ne_u16_e32 0, v0
	s_cbranch_execz .LBB296_737
; %bb.730:                              ;   in Loop: Header=BB296_424 Depth=1
	v_bfrev_b32_e32 v97, 1
	s_mov_b32 s13, exec_lo
	v_cmpx_ne_u16_e32 0x80, v0
	s_cbranch_execz .LBB296_736
; %bb.731:                              ;   in Loop: Header=BB296_424 Depth=1
	v_and_b32_e32 v14, 0xffff, v0
	v_mov_b32_e32 v97, 0x7fc02000
	s_mov_b32 s15, exec_lo
	s_delay_alu instid0(VALU_DEP_2) | instskip(NEXT) | instid1(VALU_DEP_1)
	v_and_b32_e32 v98, 0x7f, v14
	v_cmpx_ne_u32_e32 0x7f, v98
	s_cbranch_execz .LBB296_735
; %bb.732:                              ;   in Loop: Header=BB296_424 Depth=1
	v_and_b32_e32 v0, 7, v14
	v_lshrrev_b32_e32 v97, 3, v98
	s_mov_b32 s16, exec_lo
	v_cmpx_gt_u32_e32 8, v98
; %bb.733:                              ;   in Loop: Header=BB296_424 Depth=1
	s_delay_alu instid0(VALU_DEP_3) | instskip(NEXT) | instid1(VALU_DEP_1)
	v_clz_i32_u32_e32 v97, v0
	v_min_u32_e32 v97, 32, v97
	s_delay_alu instid0(VALU_DEP_1) | instskip(SKIP_1) | instid1(VALU_DEP_2)
	v_subrev_nc_u32_e32 v98, 28, v97
	v_sub_nc_u32_e32 v97, 29, v97
	v_lshlrev_b64 v[98:99], v98, v[0:1]
	s_delay_alu instid0(VALU_DEP_1)
	v_and_b32_e32 v0, 7, v98
; %bb.734:                              ;   in Loop: Header=BB296_424 Depth=1
	s_or_b32 exec_lo, exec_lo, s16
	v_lshlrev_b32_e32 v14, 8, v14
	v_lshl_add_u32 v97, v97, 10, 0x2000
	s_delay_alu instid0(VALU_DEP_1) | instskip(NEXT) | instid1(VALU_DEP_1)
	v_and_or_b32 v14, 0x8000, v14, v97
	v_lshl_or_b32 v0, v0, 7, v14
	s_delay_alu instid0(VALU_DEP_1)
	v_cvt_f32_f16_e32 v97, v0
.LBB296_735:                            ;   in Loop: Header=BB296_424 Depth=1
	s_or_b32 exec_lo, exec_lo, s15
.LBB296_736:                            ;   in Loop: Header=BB296_424 Depth=1
	s_delay_alu instid0(SALU_CYCLE_1)
	s_or_b32 exec_lo, exec_lo, s13
.LBB296_737:                            ;   in Loop: Header=BB296_424 Depth=1
	s_delay_alu instid0(SALU_CYCLE_1) | instskip(SKIP_4) | instid1(VALU_DEP_3)
	s_or_b32 exec_lo, exec_lo, s12
	v_lshrrev_b32_e32 v99, 16, v12
	v_mov_b32_e32 v98, 0
	v_mov_b32_e32 v14, 0
	s_mov_b32 s12, exec_lo
	v_and_b32_e32 v0, 0xff, v99
	s_delay_alu instid0(VALU_DEP_1)
	v_cmpx_ne_u16_e32 0, v0
	s_cbranch_execz .LBB296_745
; %bb.738:                              ;   in Loop: Header=BB296_424 Depth=1
	v_bfrev_b32_e32 v14, 1
	s_mov_b32 s13, exec_lo
	v_cmpx_ne_u16_e32 0x80, v0
	s_cbranch_execz .LBB296_744
; %bb.739:                              ;   in Loop: Header=BB296_424 Depth=1
	v_bfe_u32 v100, v12, 16, 7
	v_mov_b32_e32 v14, 0x7fc02000
	s_mov_b32 s15, exec_lo
	s_delay_alu instid0(VALU_DEP_2)
	v_cmpx_ne_u32_e32 0x7f, v100
	s_cbranch_execz .LBB296_743
; %bb.740:                              ;   in Loop: Header=BB296_424 Depth=1
	v_and_b32_e32 v0, 7, v99
	v_lshrrev_b32_e32 v14, 3, v100
	s_mov_b32 s16, exec_lo
	v_cmpx_gt_u32_e32 8, v100
; %bb.741:                              ;   in Loop: Header=BB296_424 Depth=1
	s_delay_alu instid0(VALU_DEP_3) | instskip(NEXT) | instid1(VALU_DEP_1)
	v_clz_i32_u32_e32 v14, v0
	v_min_u32_e32 v14, 32, v14
	s_delay_alu instid0(VALU_DEP_1) | instskip(SKIP_1) | instid1(VALU_DEP_2)
	v_subrev_nc_u32_e32 v100, 28, v14
	v_sub_nc_u32_e32 v14, 29, v14
	v_lshlrev_b64 v[100:101], v100, v[0:1]
	s_delay_alu instid0(VALU_DEP_1)
	v_and_b32_e32 v0, 7, v100
; %bb.742:                              ;   in Loop: Header=BB296_424 Depth=1
	s_or_b32 exec_lo, exec_lo, s16
	v_lshlrev_b32_e32 v99, 8, v99
	v_lshl_add_u32 v14, v14, 10, 0x2000
	s_delay_alu instid0(VALU_DEP_1) | instskip(NEXT) | instid1(VALU_DEP_1)
	v_and_or_b32 v14, 0x8000, v99, v14
	v_lshl_or_b32 v0, v0, 7, v14
	s_delay_alu instid0(VALU_DEP_1)
	v_cvt_f32_f16_e32 v14, v0
.LBB296_743:                            ;   in Loop: Header=BB296_424 Depth=1
	s_or_b32 exec_lo, exec_lo, s15
.LBB296_744:                            ;   in Loop: Header=BB296_424 Depth=1
	s_delay_alu instid0(SALU_CYCLE_1)
	s_or_b32 exec_lo, exec_lo, s13
.LBB296_745:                            ;   in Loop: Header=BB296_424 Depth=1
	s_delay_alu instid0(SALU_CYCLE_1) | instskip(NEXT) | instid1(SALU_CYCLE_1)
	s_or_b32 exec_lo, exec_lo, s12
	s_mov_b32 s12, exec_lo
	v_cmpx_lt_u64_e64 s[8:9], v[11:12]
	s_cbranch_execz .LBB296_753
; %bb.746:                              ;   in Loop: Header=BB296_424 Depth=1
	v_lshrrev_b32_e32 v11, 24, v12
	v_bfrev_b32_e32 v98, 1
	s_mov_b32 s13, exec_lo
	s_delay_alu instid0(VALU_DEP_2)
	v_cmpx_ne_u32_e32 0x80, v11
	s_cbranch_execz .LBB296_752
; %bb.747:                              ;   in Loop: Header=BB296_424 Depth=1
	v_and_b32_e32 v99, 0x7f, v11
	v_mov_b32_e32 v98, 0x7fc02000
	s_mov_b32 s15, exec_lo
	s_delay_alu instid0(VALU_DEP_2)
	v_cmpx_ne_u32_e32 0x7f, v99
	s_cbranch_execz .LBB296_751
; %bb.748:                              ;   in Loop: Header=BB296_424 Depth=1
	v_and_b32_e32 v0, 7, v11
	v_lshrrev_b32_e32 v12, 3, v99
	s_mov_b32 s16, exec_lo
	v_cmpx_gt_u32_e32 8, v99
; %bb.749:                              ;   in Loop: Header=BB296_424 Depth=1
	s_delay_alu instid0(VALU_DEP_3) | instskip(NEXT) | instid1(VALU_DEP_1)
	v_clz_i32_u32_e32 v12, v0
	v_min_u32_e32 v12, 32, v12
	s_delay_alu instid0(VALU_DEP_1) | instskip(SKIP_1) | instid1(VALU_DEP_2)
	v_subrev_nc_u32_e32 v98, 28, v12
	v_sub_nc_u32_e32 v12, 29, v12
	v_lshlrev_b64 v[98:99], v98, v[0:1]
	s_delay_alu instid0(VALU_DEP_1)
	v_and_b32_e32 v0, 7, v98
; %bb.750:                              ;   in Loop: Header=BB296_424 Depth=1
	s_or_b32 exec_lo, exec_lo, s16
	v_lshlrev_b32_e32 v11, 8, v11
	v_lshl_add_u32 v12, v12, 10, 0x2000
	s_delay_alu instid0(VALU_DEP_1) | instskip(NEXT) | instid1(VALU_DEP_1)
	v_and_or_b32 v11, 0x8000, v11, v12
	v_lshl_or_b32 v0, v0, 7, v11
	s_delay_alu instid0(VALU_DEP_1)
	v_cvt_f32_f16_e32 v98, v0
.LBB296_751:                            ;   in Loop: Header=BB296_424 Depth=1
	s_or_b32 exec_lo, exec_lo, s15
.LBB296_752:                            ;   in Loop: Header=BB296_424 Depth=1
	s_delay_alu instid0(SALU_CYCLE_1)
	s_or_b32 exec_lo, exec_lo, s13
.LBB296_753:                            ;   in Loop: Header=BB296_424 Depth=1
	s_delay_alu instid0(SALU_CYCLE_1)
	s_or_b32 exec_lo, exec_lo, s12
	s_waitcnt vmcnt(0) lgkmcnt(0)
	v_fma_mixlo_f16 v12, v84, v86, 0
	v_fma_mixlo_f16 v0, v84, v96, 0
	;; [unrolled: 1-line block ×5, first 2 shown]
	v_lshlrev_b32_e32 v86, 16, v12
	v_fma_mixlo_f16 v13, v84, v13, 0
	v_fma_mixlo_f16 v96, v84, v98, 0
	;; [unrolled: 1-line block ×3, first 2 shown]
	v_lshlrev_b32_e32 v0, 16, v0
	v_and_b32_e32 v11, 0xffff, v11
	v_and_b32_e32 v14, 0xffff, v85
	v_lshlrev_b32_e32 v84, 16, v87
	v_and_b32_e32 v85, 0xffff, v13
	v_lshlrev_b32_e32 v87, 16, v96
	v_and_b32_e32 v96, 0xffff, v12
	v_or_b32_e32 v13, v0, v11
	v_or_b32_e32 v14, v86, v14
	;; [unrolled: 1-line block ×3, first 2 shown]
	s_delay_alu instid0(VALU_DEP_4)
	v_or_b32_e32 v11, v87, v96
	s_and_saveexec_b32 s12, vcc_lo
	s_cbranch_execz .LBB296_755
; %bb.754:                              ;   in Loop: Header=BB296_424 Depth=1
	v_cmp_lt_i32_e64 s0, v23, v35
	v_lshrrev_b32_e32 v84, 16, v14
	v_lshrrev_b32_e32 v85, 16, v13
	;; [unrolled: 1-line block ×4, first 2 shown]
	v_cndmask_b32_e64 v14, 0, v14, s0
	v_cmp_lt_i32_e64 s0, v55, v50
	s_delay_alu instid0(VALU_DEP_1) | instskip(SKIP_1) | instid1(VALU_DEP_2)
	v_cndmask_b32_e64 v84, 0, v84, s0
	v_cmp_lt_i32_e64 s0, v54, v50
	v_perm_b32 v14, v84, v14, 0x5040100
	s_delay_alu instid0(VALU_DEP_2) | instskip(SKIP_1) | instid1(VALU_DEP_1)
	v_cndmask_b32_e64 v85, 0, v85, s0
	v_cmp_lt_i32_e64 s0, v53, v35
	v_cndmask_b32_e64 v13, 0, v13, s0
	v_cmp_lt_i32_e64 s0, v52, v50
	s_delay_alu instid0(VALU_DEP_2) | instskip(NEXT) | instid1(VALU_DEP_2)
	v_perm_b32 v13, v85, v13, 0x5040100
	v_cndmask_b32_e64 v86, 0, v86, s0
	v_cmp_lt_i32_e64 s0, v51, v35
	s_delay_alu instid0(VALU_DEP_1) | instskip(SKIP_1) | instid1(VALU_DEP_2)
	v_cndmask_b32_e64 v0, 0, v0, s0
	v_cmp_lt_i32_e64 s0, v19, v50
	v_perm_b32 v0, v86, v0, 0x5040100
	s_delay_alu instid0(VALU_DEP_2) | instskip(SKIP_1) | instid1(VALU_DEP_1)
	v_cndmask_b32_e64 v11, 0, v11, s0
	v_cmp_lt_i32_e64 s0, v18, v35
	v_cndmask_b32_e64 v12, 0, v12, s0
	s_delay_alu instid0(VALU_DEP_1)
	v_perm_b32 v11, v11, v12, 0x5040100
.LBB296_755:                            ;   in Loop: Header=BB296_424 Depth=1
	s_or_b32 exec_lo, exec_lo, s12
	;;#ASMSTART
	v_pk_mul_f16 v12, v69, v14;

	;;#ASMEND
	;;#ASMSTART
	v_pk_mul_f16 v13, v68, v13;

	;;#ASMEND
	;; [unrolled: 4-line block ×4, first 2 shown]
	;;#ASMSTART
	v_pk_add_f16 v12, v12, v13;

	;;#ASMEND
	;;#ASMSTART
	v_pk_add_f16 v0, v12, v0;

	;;#ASMEND
	;; [unrolled: 4-line block ×3, first 2 shown]
	v_dual_mov_b32 v86, 0 :: v_dual_and_b32 v11, 0xffff, v0
	v_lshrrev_b32_e32 v0, 16, v0
	;;#ASMSTART
	v_cvt_f32_f16 v13, v11;
	;;#ASMEND
	;;#ASMSTART
	v_cvt_f32_f16 v14, v0;
	;;#ASMEND
	flat_load_b64 v[9:10], v[9:10] offset:1280
	flat_load_b32 v84, v[26:27]
	s_mov_b32 s12, exec_lo
	s_waitcnt vmcnt(1) lgkmcnt(1)
	v_dual_mov_b32 v85, 0 :: v_dual_and_b32 v0, 0xff, v9
	s_delay_alu instid0(VALU_DEP_1)
	v_cmpx_ne_u16_e32 0, v0
	s_cbranch_execz .LBB296_763
; %bb.756:                              ;   in Loop: Header=BB296_424 Depth=1
	v_bfrev_b32_e32 v85, 1
	s_mov_b32 s13, exec_lo
	v_cmpx_ne_u16_e32 0x80, v0
	s_cbranch_execz .LBB296_762
; %bb.757:                              ;   in Loop: Header=BB296_424 Depth=1
	v_and_b32_e32 v11, 0x7f, v9
	v_mov_b32_e32 v85, 0x7fc02000
	s_mov_b32 s15, exec_lo
	s_delay_alu instid0(VALU_DEP_2)
	v_cmpx_ne_u32_e32 0x7f, v11
	s_cbranch_execz .LBB296_761
; %bb.758:                              ;   in Loop: Header=BB296_424 Depth=1
	v_lshrrev_b32_e32 v0, 3, v11
	v_cmp_gt_u32_e64 s0, 8, v11
	v_dual_mov_b32 v12, v10 :: v_dual_mov_b32 v11, v9
	s_delay_alu instid0(VALU_DEP_2)
	s_and_saveexec_b32 s16, s0
; %bb.759:                              ;   in Loop: Header=BB296_424 Depth=1
	v_and_b32_e32 v0, 7, v9
	s_delay_alu instid0(VALU_DEP_1) | instskip(NEXT) | instid1(VALU_DEP_1)
	v_clz_i32_u32_e32 v0, v0
	v_min_u32_e32 v0, 32, v0
	s_delay_alu instid0(VALU_DEP_1) | instskip(SKIP_1) | instid1(VALU_DEP_2)
	v_subrev_nc_u32_e32 v11, 28, v0
	v_sub_nc_u32_e32 v0, 29, v0
	v_lshlrev_b64 v[11:12], v11, v[9:10]
; %bb.760:                              ;   in Loop: Header=BB296_424 Depth=1
	s_or_b32 exec_lo, exec_lo, s16
	v_lshlrev_b32_e32 v12, 8, v9
	s_delay_alu instid0(VALU_DEP_3) | instskip(NEXT) | instid1(VALU_DEP_3)
	v_lshl_add_u32 v0, v0, 10, 0x2000
	v_lshlrev_b32_e32 v11, 7, v11
	s_delay_alu instid0(VALU_DEP_2) | instskip(NEXT) | instid1(VALU_DEP_1)
	v_and_or_b32 v0, 0x8000, v12, v0
	v_and_or_b32 v0, 0x380, v11, v0
	s_delay_alu instid0(VALU_DEP_1)
	v_cvt_f32_f16_e32 v85, v0
.LBB296_761:                            ;   in Loop: Header=BB296_424 Depth=1
	s_or_b32 exec_lo, exec_lo, s15
.LBB296_762:                            ;   in Loop: Header=BB296_424 Depth=1
	s_delay_alu instid0(SALU_CYCLE_1)
	s_or_b32 exec_lo, exec_lo, s13
.LBB296_763:                            ;   in Loop: Header=BB296_424 Depth=1
	s_delay_alu instid0(SALU_CYCLE_1) | instskip(SKIP_2) | instid1(VALU_DEP_1)
	s_or_b32 exec_lo, exec_lo, s12
	v_lshrrev_b16 v0, 8, v9
	s_mov_b32 s12, exec_lo
	v_cmpx_ne_u16_e32 0, v0
	s_cbranch_execz .LBB296_771
; %bb.764:                              ;   in Loop: Header=BB296_424 Depth=1
	v_bfrev_b32_e32 v86, 1
	s_mov_b32 s13, exec_lo
	v_cmpx_ne_u16_e32 0x80, v0
	s_cbranch_execz .LBB296_770
; %bb.765:                              ;   in Loop: Header=BB296_424 Depth=1
	v_and_b32_e32 v11, 0xffff, v0
	v_mov_b32_e32 v86, 0x7fc02000
	s_mov_b32 s15, exec_lo
	s_delay_alu instid0(VALU_DEP_2) | instskip(NEXT) | instid1(VALU_DEP_1)
	v_and_b32_e32 v87, 0x7f, v11
	v_cmpx_ne_u32_e32 0x7f, v87
	s_cbranch_execz .LBB296_769
; %bb.766:                              ;   in Loop: Header=BB296_424 Depth=1
	v_and_b32_e32 v0, 7, v11
	v_lshrrev_b32_e32 v12, 3, v87
	s_mov_b32 s16, exec_lo
	v_cmpx_gt_u32_e32 8, v87
; %bb.767:                              ;   in Loop: Header=BB296_424 Depth=1
	s_delay_alu instid0(VALU_DEP_3) | instskip(NEXT) | instid1(VALU_DEP_1)
	v_clz_i32_u32_e32 v12, v0
	v_min_u32_e32 v12, 32, v12
	s_delay_alu instid0(VALU_DEP_1) | instskip(SKIP_1) | instid1(VALU_DEP_2)
	v_subrev_nc_u32_e32 v86, 28, v12
	v_sub_nc_u32_e32 v12, 29, v12
	v_lshlrev_b64 v[86:87], v86, v[0:1]
	s_delay_alu instid0(VALU_DEP_1)
	v_and_b32_e32 v0, 7, v86
; %bb.768:                              ;   in Loop: Header=BB296_424 Depth=1
	s_or_b32 exec_lo, exec_lo, s16
	v_lshlrev_b32_e32 v11, 8, v11
	v_lshl_add_u32 v12, v12, 10, 0x2000
	s_delay_alu instid0(VALU_DEP_1) | instskip(NEXT) | instid1(VALU_DEP_1)
	v_and_or_b32 v11, 0x8000, v11, v12
	v_lshl_or_b32 v0, v0, 7, v11
	s_delay_alu instid0(VALU_DEP_1)
	v_cvt_f32_f16_e32 v86, v0
.LBB296_769:                            ;   in Loop: Header=BB296_424 Depth=1
	s_or_b32 exec_lo, exec_lo, s15
.LBB296_770:                            ;   in Loop: Header=BB296_424 Depth=1
	s_delay_alu instid0(SALU_CYCLE_1)
	s_or_b32 exec_lo, exec_lo, s13
.LBB296_771:                            ;   in Loop: Header=BB296_424 Depth=1
	s_delay_alu instid0(SALU_CYCLE_1) | instskip(SKIP_3) | instid1(VALU_DEP_2)
	s_or_b32 exec_lo, exec_lo, s12
	v_lshrrev_b32_e32 v11, 16, v9
	v_mov_b32_e32 v96, 0
	s_mov_b32 s12, exec_lo
	v_dual_mov_b32 v87, 0 :: v_dual_and_b32 v0, 0xff, v11
	s_delay_alu instid0(VALU_DEP_1)
	v_cmpx_ne_u16_e32 0, v0
	s_cbranch_execz .LBB296_779
; %bb.772:                              ;   in Loop: Header=BB296_424 Depth=1
	v_bfrev_b32_e32 v87, 1
	s_mov_b32 s13, exec_lo
	v_cmpx_ne_u16_e32 0x80, v0
	s_cbranch_execz .LBB296_778
; %bb.773:                              ;   in Loop: Header=BB296_424 Depth=1
	v_bfe_u32 v97, v9, 16, 7
	v_mov_b32_e32 v87, 0x7fc02000
	s_mov_b32 s15, exec_lo
	s_delay_alu instid0(VALU_DEP_2)
	v_cmpx_ne_u32_e32 0x7f, v97
	s_cbranch_execz .LBB296_777
; %bb.774:                              ;   in Loop: Header=BB296_424 Depth=1
	v_and_b32_e32 v0, 7, v11
	v_lshrrev_b32_e32 v12, 3, v97
	s_mov_b32 s16, exec_lo
	v_cmpx_gt_u32_e32 8, v97
; %bb.775:                              ;   in Loop: Header=BB296_424 Depth=1
	s_delay_alu instid0(VALU_DEP_3) | instskip(NEXT) | instid1(VALU_DEP_1)
	v_clz_i32_u32_e32 v12, v0
	v_min_u32_e32 v12, 32, v12
	s_delay_alu instid0(VALU_DEP_1) | instskip(SKIP_1) | instid1(VALU_DEP_2)
	v_subrev_nc_u32_e32 v87, 28, v12
	v_sub_nc_u32_e32 v12, 29, v12
	v_lshlrev_b64 v[97:98], v87, v[0:1]
	s_delay_alu instid0(VALU_DEP_1)
	v_and_b32_e32 v0, 7, v97
; %bb.776:                              ;   in Loop: Header=BB296_424 Depth=1
	s_or_b32 exec_lo, exec_lo, s16
	v_lshlrev_b32_e32 v11, 8, v11
	v_lshl_add_u32 v12, v12, 10, 0x2000
	s_delay_alu instid0(VALU_DEP_1) | instskip(NEXT) | instid1(VALU_DEP_1)
	v_and_or_b32 v11, 0x8000, v11, v12
	v_lshl_or_b32 v0, v0, 7, v11
	s_delay_alu instid0(VALU_DEP_1)
	v_cvt_f32_f16_e32 v87, v0
.LBB296_777:                            ;   in Loop: Header=BB296_424 Depth=1
	s_or_b32 exec_lo, exec_lo, s15
.LBB296_778:                            ;   in Loop: Header=BB296_424 Depth=1
	s_delay_alu instid0(SALU_CYCLE_1)
	s_or_b32 exec_lo, exec_lo, s13
.LBB296_779:                            ;   in Loop: Header=BB296_424 Depth=1
	s_delay_alu instid0(SALU_CYCLE_1) | instskip(NEXT) | instid1(SALU_CYCLE_1)
	s_or_b32 exec_lo, exec_lo, s12
	s_mov_b32 s12, exec_lo
	v_cmpx_lt_u32_e32 0xffffff, v9
	s_cbranch_execz .LBB296_787
; %bb.780:                              ;   in Loop: Header=BB296_424 Depth=1
	v_lshrrev_b32_e32 v11, 24, v9
	v_bfrev_b32_e32 v96, 1
	s_mov_b32 s13, exec_lo
	s_delay_alu instid0(VALU_DEP_2)
	v_cmpx_ne_u32_e32 0x80, v11
	s_cbranch_execz .LBB296_786
; %bb.781:                              ;   in Loop: Header=BB296_424 Depth=1
	v_and_b32_e32 v97, 0x7f, v11
	v_mov_b32_e32 v96, 0x7fc02000
	s_mov_b32 s15, exec_lo
	s_delay_alu instid0(VALU_DEP_2)
	v_cmpx_ne_u32_e32 0x7f, v97
	s_cbranch_execz .LBB296_785
; %bb.782:                              ;   in Loop: Header=BB296_424 Depth=1
	v_and_b32_e32 v0, 7, v11
	v_lshrrev_b32_e32 v12, 3, v97
	s_mov_b32 s16, exec_lo
	v_cmpx_gt_u32_e32 8, v97
; %bb.783:                              ;   in Loop: Header=BB296_424 Depth=1
	s_delay_alu instid0(VALU_DEP_3) | instskip(NEXT) | instid1(VALU_DEP_1)
	v_clz_i32_u32_e32 v12, v0
	v_min_u32_e32 v12, 32, v12
	s_delay_alu instid0(VALU_DEP_1) | instskip(SKIP_1) | instid1(VALU_DEP_2)
	v_subrev_nc_u32_e32 v96, 28, v12
	v_sub_nc_u32_e32 v12, 29, v12
	v_lshlrev_b64 v[96:97], v96, v[0:1]
	s_delay_alu instid0(VALU_DEP_1)
	v_and_b32_e32 v0, 7, v96
; %bb.784:                              ;   in Loop: Header=BB296_424 Depth=1
	s_or_b32 exec_lo, exec_lo, s16
	v_lshlrev_b32_e32 v11, 8, v11
	v_lshl_add_u32 v12, v12, 10, 0x2000
	s_delay_alu instid0(VALU_DEP_1) | instskip(NEXT) | instid1(VALU_DEP_1)
	v_and_or_b32 v11, 0x8000, v11, v12
	v_lshl_or_b32 v0, v0, 7, v11
	s_delay_alu instid0(VALU_DEP_1)
	v_cvt_f32_f16_e32 v96, v0
.LBB296_785:                            ;   in Loop: Header=BB296_424 Depth=1
	s_or_b32 exec_lo, exec_lo, s15
.LBB296_786:                            ;   in Loop: Header=BB296_424 Depth=1
	s_delay_alu instid0(SALU_CYCLE_1)
	s_or_b32 exec_lo, exec_lo, s13
.LBB296_787:                            ;   in Loop: Header=BB296_424 Depth=1
	s_delay_alu instid0(SALU_CYCLE_1) | instskip(SKIP_3) | instid1(VALU_DEP_2)
	s_or_b32 exec_lo, exec_lo, s12
	v_dual_mov_b32 v97, 0 :: v_dual_and_b32 v12, 0xff, v10
	v_dual_mov_b32 v0, v10 :: v_dual_mov_b32 v11, 0
	s_mov_b32 s12, exec_lo
	v_cmpx_ne_u16_e32 0, v12
	s_cbranch_execz .LBB296_795
; %bb.788:                              ;   in Loop: Header=BB296_424 Depth=1
	v_bfrev_b32_e32 v11, 1
	s_mov_b32 s13, exec_lo
	v_cmpx_ne_u16_e32 0x80, v12
	s_cbranch_execz .LBB296_794
; %bb.789:                              ;   in Loop: Header=BB296_424 Depth=1
	v_and_b32_e32 v12, 0x7f, v10
	v_mov_b32_e32 v11, 0x7fc02000
	s_mov_b32 s15, exec_lo
	s_delay_alu instid0(VALU_DEP_2)
	v_cmpx_ne_u32_e32 0x7f, v12
	s_cbranch_execz .LBB296_793
; %bb.790:                              ;   in Loop: Header=BB296_424 Depth=1
	v_lshrrev_b32_e32 v98, 3, v12
	v_cmp_gt_u32_e64 s0, 8, v12
	v_dual_mov_b32 v12, v1 :: v_dual_mov_b32 v11, v0
	s_delay_alu instid0(VALU_DEP_2)
	s_and_saveexec_b32 s16, s0
; %bb.791:                              ;   in Loop: Header=BB296_424 Depth=1
	v_and_b32_e32 v11, 7, v10
	s_delay_alu instid0(VALU_DEP_1) | instskip(NEXT) | instid1(VALU_DEP_1)
	v_clz_i32_u32_e32 v11, v11
	v_min_u32_e32 v98, 32, v11
	s_delay_alu instid0(VALU_DEP_1) | instskip(SKIP_1) | instid1(VALU_DEP_2)
	v_subrev_nc_u32_e32 v11, 28, v98
	v_sub_nc_u32_e32 v98, 29, v98
	v_lshlrev_b64 v[11:12], v11, v[0:1]
; %bb.792:                              ;   in Loop: Header=BB296_424 Depth=1
	s_or_b32 exec_lo, exec_lo, s16
	v_lshlrev_b32_e32 v12, 8, v10
	s_delay_alu instid0(VALU_DEP_3) | instskip(NEXT) | instid1(VALU_DEP_3)
	v_lshl_add_u32 v98, v98, 10, 0x2000
	v_lshlrev_b32_e32 v11, 7, v11
	s_delay_alu instid0(VALU_DEP_2) | instskip(NEXT) | instid1(VALU_DEP_1)
	v_and_or_b32 v12, 0x8000, v12, v98
	v_and_or_b32 v11, 0x380, v11, v12
	s_delay_alu instid0(VALU_DEP_1)
	v_cvt_f32_f16_e32 v11, v11
.LBB296_793:                            ;   in Loop: Header=BB296_424 Depth=1
	s_or_b32 exec_lo, exec_lo, s15
.LBB296_794:                            ;   in Loop: Header=BB296_424 Depth=1
	s_delay_alu instid0(SALU_CYCLE_1)
	s_or_b32 exec_lo, exec_lo, s13
.LBB296_795:                            ;   in Loop: Header=BB296_424 Depth=1
	s_delay_alu instid0(SALU_CYCLE_1) | instskip(SKIP_2) | instid1(VALU_DEP_1)
	s_or_b32 exec_lo, exec_lo, s12
	v_lshrrev_b16 v0, 8, v0
	s_mov_b32 s12, exec_lo
	v_cmpx_ne_u16_e32 0, v0
	s_cbranch_execz .LBB296_803
; %bb.796:                              ;   in Loop: Header=BB296_424 Depth=1
	v_bfrev_b32_e32 v97, 1
	s_mov_b32 s13, exec_lo
	v_cmpx_ne_u16_e32 0x80, v0
	s_cbranch_execz .LBB296_802
; %bb.797:                              ;   in Loop: Header=BB296_424 Depth=1
	v_and_b32_e32 v12, 0xffff, v0
	v_mov_b32_e32 v97, 0x7fc02000
	s_mov_b32 s15, exec_lo
	s_delay_alu instid0(VALU_DEP_2) | instskip(NEXT) | instid1(VALU_DEP_1)
	v_and_b32_e32 v98, 0x7f, v12
	v_cmpx_ne_u32_e32 0x7f, v98
	s_cbranch_execz .LBB296_801
; %bb.798:                              ;   in Loop: Header=BB296_424 Depth=1
	v_and_b32_e32 v0, 7, v12
	v_lshrrev_b32_e32 v97, 3, v98
	s_mov_b32 s16, exec_lo
	v_cmpx_gt_u32_e32 8, v98
; %bb.799:                              ;   in Loop: Header=BB296_424 Depth=1
	s_delay_alu instid0(VALU_DEP_3) | instskip(NEXT) | instid1(VALU_DEP_1)
	v_clz_i32_u32_e32 v97, v0
	v_min_u32_e32 v97, 32, v97
	s_delay_alu instid0(VALU_DEP_1) | instskip(SKIP_1) | instid1(VALU_DEP_2)
	v_subrev_nc_u32_e32 v98, 28, v97
	v_sub_nc_u32_e32 v97, 29, v97
	v_lshlrev_b64 v[98:99], v98, v[0:1]
	s_delay_alu instid0(VALU_DEP_1)
	v_and_b32_e32 v0, 7, v98
; %bb.800:                              ;   in Loop: Header=BB296_424 Depth=1
	s_or_b32 exec_lo, exec_lo, s16
	v_lshlrev_b32_e32 v12, 8, v12
	v_lshl_add_u32 v97, v97, 10, 0x2000
	s_delay_alu instid0(VALU_DEP_1) | instskip(NEXT) | instid1(VALU_DEP_1)
	v_and_or_b32 v12, 0x8000, v12, v97
	v_lshl_or_b32 v0, v0, 7, v12
	s_delay_alu instid0(VALU_DEP_1)
	v_cvt_f32_f16_e32 v97, v0
.LBB296_801:                            ;   in Loop: Header=BB296_424 Depth=1
	s_or_b32 exec_lo, exec_lo, s15
.LBB296_802:                            ;   in Loop: Header=BB296_424 Depth=1
	s_delay_alu instid0(SALU_CYCLE_1)
	s_or_b32 exec_lo, exec_lo, s13
.LBB296_803:                            ;   in Loop: Header=BB296_424 Depth=1
	s_delay_alu instid0(SALU_CYCLE_1) | instskip(SKIP_4) | instid1(VALU_DEP_3)
	s_or_b32 exec_lo, exec_lo, s12
	v_lshrrev_b32_e32 v99, 16, v10
	v_mov_b32_e32 v98, 0
	v_mov_b32_e32 v12, 0
	s_mov_b32 s12, exec_lo
	v_and_b32_e32 v0, 0xff, v99
	s_delay_alu instid0(VALU_DEP_1)
	v_cmpx_ne_u16_e32 0, v0
	s_cbranch_execz .LBB296_811
; %bb.804:                              ;   in Loop: Header=BB296_424 Depth=1
	v_bfrev_b32_e32 v12, 1
	s_mov_b32 s13, exec_lo
	v_cmpx_ne_u16_e32 0x80, v0
	s_cbranch_execz .LBB296_810
; %bb.805:                              ;   in Loop: Header=BB296_424 Depth=1
	v_bfe_u32 v100, v10, 16, 7
	v_mov_b32_e32 v12, 0x7fc02000
	s_mov_b32 s15, exec_lo
	s_delay_alu instid0(VALU_DEP_2)
	v_cmpx_ne_u32_e32 0x7f, v100
	s_cbranch_execz .LBB296_809
; %bb.806:                              ;   in Loop: Header=BB296_424 Depth=1
	v_and_b32_e32 v0, 7, v99
	v_lshrrev_b32_e32 v12, 3, v100
	s_mov_b32 s16, exec_lo
	v_cmpx_gt_u32_e32 8, v100
; %bb.807:                              ;   in Loop: Header=BB296_424 Depth=1
	s_delay_alu instid0(VALU_DEP_3) | instskip(NEXT) | instid1(VALU_DEP_1)
	v_clz_i32_u32_e32 v12, v0
	v_min_u32_e32 v12, 32, v12
	s_delay_alu instid0(VALU_DEP_1) | instskip(SKIP_1) | instid1(VALU_DEP_2)
	v_subrev_nc_u32_e32 v100, 28, v12
	v_sub_nc_u32_e32 v12, 29, v12
	v_lshlrev_b64 v[100:101], v100, v[0:1]
	s_delay_alu instid0(VALU_DEP_1)
	v_and_b32_e32 v0, 7, v100
; %bb.808:                              ;   in Loop: Header=BB296_424 Depth=1
	s_or_b32 exec_lo, exec_lo, s16
	v_lshlrev_b32_e32 v99, 8, v99
	v_lshl_add_u32 v12, v12, 10, 0x2000
	s_delay_alu instid0(VALU_DEP_1) | instskip(NEXT) | instid1(VALU_DEP_1)
	v_and_or_b32 v12, 0x8000, v99, v12
	v_lshl_or_b32 v0, v0, 7, v12
	s_delay_alu instid0(VALU_DEP_1)
	v_cvt_f32_f16_e32 v12, v0
.LBB296_809:                            ;   in Loop: Header=BB296_424 Depth=1
	s_or_b32 exec_lo, exec_lo, s15
.LBB296_810:                            ;   in Loop: Header=BB296_424 Depth=1
	s_delay_alu instid0(SALU_CYCLE_1)
	s_or_b32 exec_lo, exec_lo, s13
.LBB296_811:                            ;   in Loop: Header=BB296_424 Depth=1
	s_delay_alu instid0(SALU_CYCLE_1) | instskip(NEXT) | instid1(SALU_CYCLE_1)
	s_or_b32 exec_lo, exec_lo, s12
	s_mov_b32 s12, exec_lo
	v_cmpx_lt_u64_e64 s[8:9], v[9:10]
	s_cbranch_execz .LBB296_819
; %bb.812:                              ;   in Loop: Header=BB296_424 Depth=1
	v_lshrrev_b32_e32 v9, 24, v10
	v_bfrev_b32_e32 v98, 1
	s_mov_b32 s13, exec_lo
	s_delay_alu instid0(VALU_DEP_2)
	v_cmpx_ne_u32_e32 0x80, v9
	s_cbranch_execz .LBB296_818
; %bb.813:                              ;   in Loop: Header=BB296_424 Depth=1
	v_and_b32_e32 v99, 0x7f, v9
	v_mov_b32_e32 v98, 0x7fc02000
	s_mov_b32 s15, exec_lo
	s_delay_alu instid0(VALU_DEP_2)
	v_cmpx_ne_u32_e32 0x7f, v99
	s_cbranch_execz .LBB296_817
; %bb.814:                              ;   in Loop: Header=BB296_424 Depth=1
	v_and_b32_e32 v0, 7, v9
	v_lshrrev_b32_e32 v10, 3, v99
	s_mov_b32 s16, exec_lo
	v_cmpx_gt_u32_e32 8, v99
; %bb.815:                              ;   in Loop: Header=BB296_424 Depth=1
	s_delay_alu instid0(VALU_DEP_3) | instskip(NEXT) | instid1(VALU_DEP_1)
	v_clz_i32_u32_e32 v10, v0
	v_min_u32_e32 v10, 32, v10
	s_delay_alu instid0(VALU_DEP_1) | instskip(SKIP_1) | instid1(VALU_DEP_2)
	v_subrev_nc_u32_e32 v98, 28, v10
	v_sub_nc_u32_e32 v10, 29, v10
	v_lshlrev_b64 v[98:99], v98, v[0:1]
	s_delay_alu instid0(VALU_DEP_1)
	v_and_b32_e32 v0, 7, v98
; %bb.816:                              ;   in Loop: Header=BB296_424 Depth=1
	s_or_b32 exec_lo, exec_lo, s16
	v_lshlrev_b32_e32 v9, 8, v9
	v_lshl_add_u32 v10, v10, 10, 0x2000
	s_delay_alu instid0(VALU_DEP_1) | instskip(NEXT) | instid1(VALU_DEP_1)
	v_and_or_b32 v9, 0x8000, v9, v10
	v_lshl_or_b32 v0, v0, 7, v9
	s_delay_alu instid0(VALU_DEP_1)
	v_cvt_f32_f16_e32 v98, v0
.LBB296_817:                            ;   in Loop: Header=BB296_424 Depth=1
	s_or_b32 exec_lo, exec_lo, s15
.LBB296_818:                            ;   in Loop: Header=BB296_424 Depth=1
	s_delay_alu instid0(SALU_CYCLE_1)
	s_or_b32 exec_lo, exec_lo, s13
.LBB296_819:                            ;   in Loop: Header=BB296_424 Depth=1
	s_delay_alu instid0(SALU_CYCLE_1)
	s_or_b32 exec_lo, exec_lo, s12
	s_waitcnt vmcnt(0) lgkmcnt(0)
	v_fma_mixlo_f16 v10, v84, v86, 0
	v_fma_mixlo_f16 v0, v84, v96, 0
	;; [unrolled: 1-line block ×5, first 2 shown]
	v_lshlrev_b32_e32 v86, 16, v10
	v_fma_mixlo_f16 v10, v84, v85, 0
	v_fma_mixlo_f16 v85, v84, v97, 0
	;; [unrolled: 1-line block ×3, first 2 shown]
	v_lshlrev_b32_e32 v0, 16, v0
	v_and_b32_e32 v9, 0xffff, v9
	v_and_b32_e32 v12, 0xffff, v10
	v_lshlrev_b32_e32 v84, 16, v85
	v_and_b32_e32 v85, 0xffff, v87
	v_lshlrev_b32_e32 v87, 16, v96
	v_and_b32_e32 v96, 0xffff, v11
	v_or_b32_e32 v10, v0, v9
	v_or_b32_e32 v12, v86, v12
	;; [unrolled: 1-line block ×3, first 2 shown]
	s_delay_alu instid0(VALU_DEP_4)
	v_or_b32_e32 v9, v87, v96
	s_and_saveexec_b32 s0, vcc_lo
	s_cbranch_execz .LBB296_422
; %bb.820:                              ;   in Loop: Header=BB296_424 Depth=1
	v_cmp_lt_i32_e32 vcc_lo, v23, v35
	v_lshrrev_b32_e32 v84, 16, v12
	v_lshrrev_b32_e32 v9, 16, v9
	;; [unrolled: 1-line block ×3, first 2 shown]
	v_cndmask_b32_e32 v12, 0, v12, vcc_lo
	v_cmp_lt_i32_e32 vcc_lo, v55, v50
	v_cndmask_b32_e32 v55, 0, v84, vcc_lo
	v_cmp_lt_i32_e32 vcc_lo, v54, v50
	v_lshrrev_b32_e32 v84, 16, v0
	v_cndmask_b32_e32 v54, 0, v85, vcc_lo
	v_cmp_lt_i32_e32 vcc_lo, v53, v35
	v_cndmask_b32_e32 v10, 0, v10, vcc_lo
	v_cmp_lt_i32_e32 vcc_lo, v52, v50
	;; [unrolled: 2-line block ×4, first 2 shown]
	s_delay_alu instid0(VALU_DEP_2)
	v_perm_b32 v0, v52, v0, 0x5040100
	v_cndmask_b32_e32 v9, 0, v9, vcc_lo
	v_cmp_lt_i32_e32 vcc_lo, v18, v35
	v_perm_b32 v12, v55, v12, 0x5040100
	v_cndmask_b32_e32 v11, 0, v11, vcc_lo
	v_perm_b32 v10, v54, v10, 0x5040100
	s_delay_alu instid0(VALU_DEP_2)
	v_perm_b32 v9, v9, v11, 0x5040100
	s_branch .LBB296_422
.LBB296_821:
	s_or_b32 exec_lo, exec_lo, s5
	s_load_b32 s0, s[6:7], 0x0
	s_waitcnt lgkmcnt(0)
	v_mov_b32_e32 v0, s0
.LBB296_822:
	s_or_b32 exec_lo, exec_lo, s3
	v_and_b32_e32 v1, 0x3c0, v33
	s_delay_alu instid0(VALU_DEP_2)
	v_mad_u32_u24 v0, 0x300, v39, v0
	s_mov_b32 s0, exec_lo
	s_waitcnt_vscnt null, 0x0
	s_barrier
	buffer_gl0_inv
	v_cmpx_eq_u32_e32 64, v1
	s_cbranch_execz .LBB296_824
; %bb.823:
	v_add_nc_u32_e32 v1, 0xfffffa00, v0
	v_lshl_or_b32 v2, v33, 2, 0x180
	s_delay_alu instid0(VALU_DEP_2) | instskip(NEXT) | instid1(VALU_DEP_2)
	v_lshl_add_u32 v3, v20, 2, v1
	v_add_nc_u32_e32 v1, v1, v2
	ds_store_2addr_b32 v3, v31, v29 offset1:32
	ds_store_b32 v1, v24
	ds_store_2addr_stride64_b32 v3, v28, v21 offset0:1 offset1:2
	ds_store_b32 v3, v25 offset:640
.LBB296_824:
	s_or_b32 exec_lo, exec_lo, s0
	v_lshl_add_u32 v1, v20, 2, v0
	s_mov_b32 s0, exec_lo
	s_waitcnt lgkmcnt(0)
	s_barrier
	buffer_gl0_inv
	v_cmpx_gt_u32_e32 64, v33
	s_cbranch_execz .LBB296_826
; %bb.825:
	v_or_b32_e32 v2, 0x80, v34
	v_or_b32_e32 v3, 0x180, v34
	;; [unrolled: 1-line block ×3, first 2 shown]
	s_delay_alu instid0(VALU_DEP_3) | instskip(NEXT) | instid1(VALU_DEP_3)
	v_add_nc_u32_e32 v7, v0, v2
	v_add_nc_u32_e32 v8, v0, v3
	s_delay_alu instid0(VALU_DEP_3)
	v_add_nc_u32_e32 v6, v0, v6
	ds_load_2addr_stride64_b32 v[2:3], v1 offset1:1
	ds_load_b32 v9, v1 offset:512
	ds_load_b32 v7, v7
	ds_load_b32 v8, v8
	ds_load_b32 v6, v6
	s_waitcnt lgkmcnt(4)
	v_add_f32_e32 v31, v31, v2
	s_waitcnt lgkmcnt(3)
	v_dual_add_f32 v21, v21, v9 :: v_dual_add_f32 v28, v28, v3
	s_waitcnt lgkmcnt(1)
	v_dual_add_f32 v29, v29, v7 :: v_dual_add_f32 v24, v24, v8
	s_waitcnt lgkmcnt(0)
	v_add_f32_e32 v25, v25, v6
.LBB296_826:
	s_or_b32 exec_lo, exec_lo, s0
	v_and_b32_e32 v2, 0x3e0, v33
	s_mov_b32 s0, exec_lo
	s_barrier
	buffer_gl0_inv
	v_cmpx_eq_u32_e32 32, v2
	s_cbranch_execz .LBB296_828
; %bb.827:
	v_add_nc_u32_e32 v2, 0xfffffd00, v0
	v_or_b32_e32 v3, 0x180, v34
	v_or_b32_e32 v6, 0x280, v34
	s_delay_alu instid0(VALU_DEP_3) | instskip(SKIP_1) | instid1(VALU_DEP_4)
	v_lshl_add_u32 v7, v20, 2, v2
	v_add_nc_u32_e32 v8, v2, v34
	v_add_nc_u32_e32 v3, v2, v3
	s_delay_alu instid0(VALU_DEP_4)
	v_add_nc_u32_e32 v2, v2, v6
	ds_store_b32 v7, v31
	ds_store_b32 v8, v29
	;; [unrolled: 1-line block ×3, first 2 shown]
	ds_store_2addr_stride64_b32 v7, v28, v21 offset0:1 offset1:2
	ds_store_b32 v2, v25
.LBB296_828:
	s_or_b32 exec_lo, exec_lo, s0
	v_cmp_gt_u32_e32 vcc_lo, 32, v33
	s_waitcnt lgkmcnt(0)
	s_barrier
	buffer_gl0_inv
	s_and_saveexec_b32 s0, vcc_lo
	s_cbranch_execz .LBB296_830
; %bb.829:
	v_lshl_add_u32 v6, v33, 2, v0
	ds_load_b32 v7, v1
	ds_load_2addr_b32 v[0:1], v6 offset0:32 offset1:64
	ds_load_2addr_b32 v[2:3], v6 offset0:96 offset1:128
	ds_load_b32 v6, v6 offset:640
	s_waitcnt lgkmcnt(2)
	v_dual_add_f32 v31, v31, v7 :: v_dual_add_f32 v28, v28, v1
	s_waitcnt lgkmcnt(1)
	v_dual_add_f32 v29, v29, v0 :: v_dual_add_f32 v24, v24, v2
	v_add_f32_e32 v21, v21, v3
	s_waitcnt lgkmcnt(0)
	v_add_f32_e32 v25, v25, v6
.LBB296_830:
	s_or_b32 exec_lo, exec_lo, s0
	s_barrier
	buffer_gl0_inv
	s_and_b32 exec_lo, exec_lo, vcc_lo
	s_cbranch_execz .LBB296_832
; %bb.831:
	s_mul_i32 s0, s2, 0xc0
	s_mul_i32 s2, s4, s1
	s_mul_i32 s4, s14, 0xc0
	s_ashr_i32 s3, s2, 31
	s_ashr_i32 s5, s4, 31
	;; [unrolled: 1-line block ×3, first 2 shown]
	s_lshl_b64 s[2:3], s[2:3], 1
	s_lshl_b64 s[4:5], s[4:5], 1
	;; [unrolled: 1-line block ×3, first 2 shown]
	s_add_u32 s2, s4, s2
	s_addc_u32 s3, s5, s3
	s_add_u32 s0, s2, s0
	s_addc_u32 s1, s3, s1
	v_lshlrev_b32_e32 v0, 1, v33
	v_add_co_u32 v1, vcc_lo, s0, v4
	v_add_co_ci_u32_e32 v2, vcc_lo, s1, v5, vcc_lo
	s_delay_alu instid0(VALU_DEP_2) | instskip(NEXT) | instid1(VALU_DEP_2)
	v_add_co_u32 v0, vcc_lo, v1, v0
	v_add_co_ci_u32_e32 v1, vcc_lo, 0, v2, vcc_lo
	;;#ASMSTART
	v_cvt_f16_f32 v2, v31;

	;;#ASMEND
	flat_store_b16 v[0:1], v2
	;;#ASMSTART
	v_cvt_f16_f32 v2, v29;

	;;#ASMEND
	flat_store_b16 v[0:1], v2 offset:64
	;;#ASMSTART
	v_cvt_f16_f32 v2, v28;

	;;#ASMEND
	flat_store_b16 v[0:1], v2 offset:128
	;; [unrolled: 5-line block ×5, first 2 shown]
.LBB296_832:
	s_or_b32 exec_lo, exec_lo, s11
	s_waitcnt vmcnt(0) lgkmcnt(0)
	s_setpc_b64 s[30:31]
.Lfunc_end296:
	.size	_ZN4vllm22paged_attention_kernelIthLi192ELi8ELi128ELNS_18Fp8KVCacheDataTypeE1ELb1ELi512EEEvPfS2_PT_PKS3_PKT0_S9_ifPKiSB_iPKfiiiSD_SD_iiiii, .Lfunc_end296-_ZN4vllm22paged_attention_kernelIthLi192ELi8ELi128ELNS_18Fp8KVCacheDataTypeE1ELb1ELi512EEEvPfS2_PT_PKS3_PKT0_S9_ifPKiSB_iPKfiiiSD_SD_iiiii
                                        ; -- End function
	.section	.AMDGPU.csdata,"",@progbits
; Function info:
; codeLenInByte = 33476
; NumSgprs: 35
; NumVgprs: 179
; ScratchSize: 12
; MemoryBound: 0
	.section	.text._ZN4vllm25paged_attention_v2_kernelIthLi192ELi8ELi128ELNS_18Fp8KVCacheDataTypeE1ELb1ELi512EEEvPfS2_PT_PKS3_PKT0_S9_ifPKiSB_iPKfiiiSD_SD_iiiii,"axG",@progbits,_ZN4vllm25paged_attention_v2_kernelIthLi192ELi8ELi128ELNS_18Fp8KVCacheDataTypeE1ELb1ELi512EEEvPfS2_PT_PKS3_PKT0_S9_ifPKiSB_iPKfiiiSD_SD_iiiii,comdat
	.protected	_ZN4vllm25paged_attention_v2_kernelIthLi192ELi8ELi128ELNS_18Fp8KVCacheDataTypeE1ELb1ELi512EEEvPfS2_PT_PKS3_PKT0_S9_ifPKiSB_iPKfiiiSD_SD_iiiii ; -- Begin function _ZN4vllm25paged_attention_v2_kernelIthLi192ELi8ELi128ELNS_18Fp8KVCacheDataTypeE1ELb1ELi512EEEvPfS2_PT_PKS3_PKT0_S9_ifPKiSB_iPKfiiiSD_SD_iiiii
	.globl	_ZN4vllm25paged_attention_v2_kernelIthLi192ELi8ELi128ELNS_18Fp8KVCacheDataTypeE1ELb1ELi512EEEvPfS2_PT_PKS3_PKT0_S9_ifPKiSB_iPKfiiiSD_SD_iiiii
	.p2align	8
	.type	_ZN4vllm25paged_attention_v2_kernelIthLi192ELi8ELi128ELNS_18Fp8KVCacheDataTypeE1ELb1ELi512EEEvPfS2_PT_PKS3_PKT0_S9_ifPKiSB_iPKfiiiSD_SD_iiiii,@function
_ZN4vllm25paged_attention_v2_kernelIthLi192ELi8ELi128ELNS_18Fp8KVCacheDataTypeE1ELb1ELi512EEEvPfS2_PT_PKS3_PKT0_S9_ifPKiSB_iPKfiiiSD_SD_iiiii: ; @_ZN4vllm25paged_attention_v2_kernelIthLi192ELi8ELi128ELNS_18Fp8KVCacheDataTypeE1ELb1ELi512EEEvPfS2_PT_PKS3_PKT0_S9_ifPKiSB_iPKfiiiSD_SD_iiiii
; %bb.0:
	s_mov_b32 s12, s13
	s_clause 0x7
	s_load_b128 s[4:7], s[0:1], 0x78
	s_load_b32 s8, s[0:1], 0x88
	s_load_b256 s[24:31], s[0:1], 0x0
	s_load_b256 s[36:43], s[0:1], 0x20
	s_load_b64 s[2:3], s[0:1], 0x40
	s_load_b64 s[10:11], s[0:1], 0x50
	s_load_b32 s13, s[0:1], 0x48
	s_load_b256 s[16:23], s[0:1], 0x58
	s_mov_b32 s32, 0
	v_mov_b32_e32 v31, v0
	s_waitcnt lgkmcnt(0)
	v_dual_mov_b32 v1, s7 :: v_dual_mov_b32 v2, s8
	v_dual_mov_b32 v0, s24 :: v_dual_mov_b32 v3, s27
	;; [unrolled: 1-line block ×3, first 2 shown]
	v_mov_b32_e32 v6, s30
	scratch_store_b64 off, v[1:2], s32
	v_dual_mov_b32 v1, s25 :: v_dual_mov_b32 v2, s26
	v_dual_mov_b32 v7, s31 :: v_dual_mov_b32 v8, s36
	;; [unrolled: 1-line block ×13, first 2 shown]
	s_add_u32 s8, s0, 0x90
	s_addc_u32 s9, s1, 0
	s_mov_b32 s13, s14
	s_mov_b32 s14, s15
	s_movk_i32 s15, 0x64
	s_getpc_b64 s[0:1]
	s_add_u32 s0, s0, _ZN4vllm22paged_attention_kernelIthLi192ELi8ELi128ELNS_18Fp8KVCacheDataTypeE1ELb1ELi512EEEvPfS2_PT_PKS3_PKT0_S9_ifPKiSB_iPKfiiiSD_SD_iiiii@rel32@lo+4
	s_addc_u32 s1, s1, _ZN4vllm22paged_attention_kernelIthLi192ELi8ELi128ELNS_18Fp8KVCacheDataTypeE1ELb1ELi512EEEvPfS2_PT_PKS3_PKT0_S9_ifPKiSB_iPKfiiiSD_SD_iiiii@rel32@hi+12
	s_delay_alu instid0(SALU_CYCLE_1)
	s_swappc_b64 s[30:31], s[0:1]
	s_endpgm
	.section	.rodata,"a",@progbits
	.p2align	6, 0x0
	.amdhsa_kernel _ZN4vllm25paged_attention_v2_kernelIthLi192ELi8ELi128ELNS_18Fp8KVCacheDataTypeE1ELb1ELi512EEEvPfS2_PT_PKS3_PKT0_S9_ifPKiSB_iPKfiiiSD_SD_iiiii
		.amdhsa_group_segment_fixed_size 416
		.amdhsa_private_segment_fixed_size 12
		.amdhsa_kernarg_size 400
		.amdhsa_user_sgpr_count 13
		.amdhsa_user_sgpr_dispatch_ptr 0
		.amdhsa_user_sgpr_queue_ptr 0
		.amdhsa_user_sgpr_kernarg_segment_ptr 1
		.amdhsa_user_sgpr_dispatch_id 0
		.amdhsa_user_sgpr_private_segment_size 0
		.amdhsa_wavefront_size32 1
		.amdhsa_uses_dynamic_stack 0
		.amdhsa_enable_private_segment 1
		.amdhsa_system_sgpr_workgroup_id_x 1
		.amdhsa_system_sgpr_workgroup_id_y 1
		.amdhsa_system_sgpr_workgroup_id_z 1
		.amdhsa_system_sgpr_workgroup_info 0
		.amdhsa_system_vgpr_workitem_id 0
		.amdhsa_next_free_vgpr 179
		.amdhsa_next_free_sgpr 44
		.amdhsa_reserve_vcc 1
		.amdhsa_float_round_mode_32 0
		.amdhsa_float_round_mode_16_64 0
		.amdhsa_float_denorm_mode_32 3
		.amdhsa_float_denorm_mode_16_64 3
		.amdhsa_dx10_clamp 1
		.amdhsa_ieee_mode 1
		.amdhsa_fp16_overflow 0
		.amdhsa_workgroup_processor_mode 1
		.amdhsa_memory_ordered 1
		.amdhsa_forward_progress 0
		.amdhsa_shared_vgpr_count 0
		.amdhsa_exception_fp_ieee_invalid_op 0
		.amdhsa_exception_fp_denorm_src 0
		.amdhsa_exception_fp_ieee_div_zero 0
		.amdhsa_exception_fp_ieee_overflow 0
		.amdhsa_exception_fp_ieee_underflow 0
		.amdhsa_exception_fp_ieee_inexact 0
		.amdhsa_exception_int_div_zero 0
	.end_amdhsa_kernel
	.section	.text._ZN4vllm25paged_attention_v2_kernelIthLi192ELi8ELi128ELNS_18Fp8KVCacheDataTypeE1ELb1ELi512EEEvPfS2_PT_PKS3_PKT0_S9_ifPKiSB_iPKfiiiSD_SD_iiiii,"axG",@progbits,_ZN4vllm25paged_attention_v2_kernelIthLi192ELi8ELi128ELNS_18Fp8KVCacheDataTypeE1ELb1ELi512EEEvPfS2_PT_PKS3_PKT0_S9_ifPKiSB_iPKfiiiSD_SD_iiiii,comdat
.Lfunc_end297:
	.size	_ZN4vllm25paged_attention_v2_kernelIthLi192ELi8ELi128ELNS_18Fp8KVCacheDataTypeE1ELb1ELi512EEEvPfS2_PT_PKS3_PKT0_S9_ifPKiSB_iPKfiiiSD_SD_iiiii, .Lfunc_end297-_ZN4vllm25paged_attention_v2_kernelIthLi192ELi8ELi128ELNS_18Fp8KVCacheDataTypeE1ELb1ELi512EEEvPfS2_PT_PKS3_PKT0_S9_ifPKiSB_iPKfiiiSD_SD_iiiii
                                        ; -- End function
	.section	.AMDGPU.csdata,"",@progbits
; Kernel info:
; codeLenInByte = 280
; NumSgprs: 46
; NumVgprs: 179
; ScratchSize: 12
; MemoryBound: 0
; FloatMode: 240
; IeeeMode: 1
; LDSByteSize: 416 bytes/workgroup (compile time only)
; SGPRBlocks: 5
; VGPRBlocks: 22
; NumSGPRsForWavesPerEU: 46
; NumVGPRsForWavesPerEU: 179
; Occupancy: 8
; WaveLimiterHint : 1
; COMPUTE_PGM_RSRC2:SCRATCH_EN: 1
; COMPUTE_PGM_RSRC2:USER_SGPR: 13
; COMPUTE_PGM_RSRC2:TRAP_HANDLER: 0
; COMPUTE_PGM_RSRC2:TGID_X_EN: 1
; COMPUTE_PGM_RSRC2:TGID_Y_EN: 1
; COMPUTE_PGM_RSRC2:TGID_Z_EN: 1
; COMPUTE_PGM_RSRC2:TIDIG_COMP_CNT: 0
	.text
	.p2align	2                               ; -- Begin function _ZN4vllm22paged_attention_kernelIthLi256ELi8ELi128ELNS_18Fp8KVCacheDataTypeE1ELb1ELi512EEEvPfS2_PT_PKS3_PKT0_S9_ifPKiSB_iPKfiiiSD_SD_iiiii
	.type	_ZN4vllm22paged_attention_kernelIthLi256ELi8ELi128ELNS_18Fp8KVCacheDataTypeE1ELb1ELi512EEEvPfS2_PT_PKS3_PKT0_S9_ifPKiSB_iPKfiiiSD_SD_iiiii,@function
_ZN4vllm22paged_attention_kernelIthLi256ELi8ELi128ELNS_18Fp8KVCacheDataTypeE1ELb1ELi512EEEvPfS2_PT_PKS3_PKT0_S9_ifPKiSB_iPKfiiiSD_SD_iiiii: ; @_ZN4vllm22paged_attention_kernelIthLi256ELi8ELi128ELNS_18Fp8KVCacheDataTypeE1ELb1ELi512EEEvPfS2_PT_PKS3_PKT0_S9_ifPKiSB_iPKfiiiSD_SD_iiiii
; %bb.0:
	s_waitcnt vmcnt(0) expcnt(0) lgkmcnt(0)
	s_clause 0xb
	scratch_store_b32 off, v40, s32 offset:52
	; meta instruction
	scratch_store_b32 off, v41, s32 offset:48
	; meta instruction
	;; [unrolled: 2-line block ×11, first 2 shown]
	scratch_store_b32 off, v59, s32 offset:8
	s_mov_b32 s10, s13
	s_ashr_i32 s11, s13, 31
	s_lshl_b32 s16, s14, 9
	s_lshl_b64 s[0:1], s[10:11], 2
	s_mov_b32 s11, exec_lo
	v_add_co_u32 v16, vcc_lo, v16, s0
	v_add_co_ci_u32_e32 v17, vcc_lo, s1, v17, vcc_lo
	flat_load_b32 v35, v[16:17]
	s_clause 0x1
	scratch_load_b32 v32, off, s32 offset:4
	scratch_load_b32 v38, off, s32
	s_waitcnt vmcnt(2) lgkmcnt(0)
	v_cmpx_lt_i32_e64 s16, v35
	s_cbranch_execz .LBB298_1092
; %bb.1:
	v_sub_nc_u32_e32 v16, 0, v12
	s_clause 0x1
	s_load_b32 s0, s[8:9], 0x10
	s_load_b32 s1, s[8:9], 0x0
	s_mov_b32 s6, s15
	v_mov_b32_e32 v53, 0
	v_max_i32_e32 v16, v12, v16
	s_delay_alu instid0(VALU_DEP_1) | instskip(SKIP_1) | instid1(VALU_DEP_2)
	v_cvt_f32_u32_e32 v17, v16
	v_sub_nc_u32_e32 v33, 0, v16
	v_rcp_iflag_f32_e32 v17, v17
	s_waitcnt lgkmcnt(0)
	s_lshr_b32 s0, s0, 16
	s_delay_alu instid0(SALU_CYCLE_1) | instskip(SKIP_3) | instid1(SALU_CYCLE_1)
	s_cmp_lg_u32 s0, 0
	s_waitcnt_depctr 0xfff
	v_mul_f32_e32 v17, 0x4f7ffffe, v17
	s_cselect_b32 s0, -1, 0
	s_cmp_lg_u32 s0, 0
	s_delay_alu instid0(VALU_DEP_1) | instskip(SKIP_3) | instid1(VALU_DEP_1)
	v_cvt_u32_f32_e32 v17, v17
	s_addc_u32 s15, s1, 0
	s_mov_b32 s1, exec_lo
	s_abs_i32 s0, s15
	v_mul_lo_u32 v33, v33, v17
	s_delay_alu instid0(VALU_DEP_1) | instskip(NEXT) | instid1(VALU_DEP_1)
	v_mul_hi_u32 v33, v17, v33
	v_add_nc_u32_e32 v17, v17, v33
	s_delay_alu instid0(VALU_DEP_1) | instskip(NEXT) | instid1(VALU_DEP_1)
	v_mul_hi_u32 v17, s0, v17
	v_mul_lo_u32 v33, v17, v16
	s_delay_alu instid0(VALU_DEP_1) | instskip(SKIP_1) | instid1(VALU_DEP_1)
	v_sub_nc_u32_e32 v33, s0, v33
	s_abs_i32 s0, s12
	v_sub_nc_u32_e32 v36, v33, v16
	v_cmp_ge_u32_e32 vcc_lo, v33, v16
	s_delay_alu instid0(VALU_DEP_2) | instskip(NEXT) | instid1(VALU_DEP_1)
	v_dual_cndmask_b32 v33, v33, v36 :: v_dual_add_nc_u32 v34, 1, v17
	v_cndmask_b32_e32 v17, v17, v34, vcc_lo
	v_xor_b32_e32 v34, s15, v12
	s_delay_alu instid0(VALU_DEP_3) | instskip(NEXT) | instid1(VALU_DEP_3)
	v_cmp_ge_u32_e32 vcc_lo, v33, v16
	v_add_nc_u32_e32 v36, 1, v17
	s_delay_alu instid0(VALU_DEP_3) | instskip(NEXT) | instid1(VALU_DEP_2)
	v_ashrrev_i32_e32 v34, 31, v34
	v_cndmask_b32_e32 v16, v17, v36, vcc_lo
	s_delay_alu instid0(VALU_DEP_1) | instskip(NEXT) | instid1(VALU_DEP_1)
	v_xor_b32_e32 v16, v16, v34
	v_sub_nc_u32_e32 v34, v16, v34
	s_delay_alu instid0(VALU_DEP_1) | instskip(NEXT) | instid1(VALU_DEP_1)
	v_sub_nc_u32_e32 v16, 0, v34
	v_max_i32_e32 v37, v34, v16
	s_delay_alu instid0(VALU_DEP_1) | instskip(SKIP_1) | instid1(VALU_DEP_2)
	v_cvt_f32_u32_e32 v16, v37
	v_sub_nc_u32_e32 v17, 0, v37
	v_rcp_iflag_f32_e32 v16, v16
	s_waitcnt_depctr 0xfff
	v_mul_f32_e32 v16, 0x4f7ffffe, v16
	s_delay_alu instid0(VALU_DEP_1) | instskip(NEXT) | instid1(VALU_DEP_1)
	v_cvt_u32_f32_e32 v16, v16
	v_mul_lo_u32 v17, v17, v16
	s_delay_alu instid0(VALU_DEP_1) | instskip(NEXT) | instid1(VALU_DEP_1)
	v_mul_hi_u32 v17, v16, v17
	v_add_nc_u32_e32 v33, v16, v17
	s_delay_alu instid0(VALU_DEP_1)
	v_mad_u64_u32 v[16:17], null, s0, v33, 0
	v_cmpx_ne_u64_e32 0, v[19:20]
	s_cbranch_execz .LBB298_3
; %bb.2:
	s_ashr_i32 s13, s12, 31
	s_delay_alu instid0(SALU_CYCLE_1) | instskip(NEXT) | instid1(SALU_CYCLE_1)
	s_lshl_b64 s[2:3], s[12:13], 2
	v_add_co_u32 v19, vcc_lo, v19, s2
	v_add_co_ci_u32_e32 v20, vcc_lo, s3, v20, vcc_lo
	flat_load_b32 v53, v[19:20]
.LBB298_3:
	s_or_b32 exec_lo, exec_lo, s1
	v_and_b32_e32 v33, 0x3ff, v31
	v_ashrrev_i32_e32 v16, 31, v34
	s_ashr_i32 s1, s12, 31
	s_lshl_b32 s4, s12, 8
	s_mov_b32 s2, exec_lo
	v_and_b32_e32 v20, 3, v33
	v_lshlrev_b32_e32 v34, 2, v33
	v_cmpx_gt_u32_e32 0x80, v33
	s_cbranch_execz .LBB298_5
; %bb.4:
	v_mul_lo_u32 v48, s10, v21
	s_ashr_i32 s5, s4, 31
	s_delay_alu instid0(SALU_CYCLE_1) | instskip(NEXT) | instid1(VALU_DEP_1)
	s_lshl_b64 s[18:19], s[4:5], 1
	v_ashrrev_i32_e32 v49, 31, v48
	s_delay_alu instid0(VALU_DEP_1) | instskip(NEXT) | instid1(VALU_DEP_1)
	v_lshlrev_b64 v[48:49], 1, v[48:49]
	v_add_co_u32 v6, vcc_lo, v6, v48
	s_delay_alu instid0(VALU_DEP_2) | instskip(NEXT) | instid1(VALU_DEP_2)
	v_add_co_ci_u32_e32 v7, vcc_lo, v7, v49, vcc_lo
	v_add_co_u32 v6, vcc_lo, v6, s18
	s_delay_alu instid0(VALU_DEP_2) | instskip(NEXT) | instid1(VALU_DEP_2)
	v_add_co_ci_u32_e32 v7, vcc_lo, s19, v7, vcc_lo
	v_add_co_u32 v6, vcc_lo, v6, v34
	s_delay_alu instid0(VALU_DEP_2) | instskip(SKIP_2) | instid1(VALU_DEP_1)
	v_add_co_ci_u32_e32 v7, vcc_lo, 0, v7, vcc_lo
	flat_load_b32 v6, v[6:7]
	v_and_b32_e32 v7, 0x3fc, v33
	v_lshl_add_u32 v7, v20, 7, v7
	s_waitcnt vmcnt(0) lgkmcnt(0)
	ds_store_b32 v7, v6
.LBB298_5:
	s_or_b32 exec_lo, exec_lo, s2
	s_waitcnt vmcnt(0)
	v_sub_nc_u32_e32 v6, 0, v38
	v_mul_lo_u32 v7, v17, v37
	v_xor_b32_e32 v48, s1, v16
	s_waitcnt lgkmcnt(0)
	s_waitcnt_vscnt null, 0x0
	s_barrier
	v_max_i32_e32 v36, v38, v6
	buffer_gl0_inv
	v_add_nc_u32_e32 v21, 1, v17
	v_sub_nc_u32_e32 v19, s0, v7
	v_cvt_f32_u32_e32 v6, v36
	v_sub_nc_u32_e32 v7, 0, v36
	s_mov_b32 s0, exec_lo
	s_delay_alu instid0(VALU_DEP_3) | instskip(NEXT) | instid1(VALU_DEP_3)
	v_sub_nc_u32_e32 v31, v19, v37
	v_rcp_iflag_f32_e32 v6, v6
	v_cmp_ge_u32_e32 vcc_lo, v19, v37
	s_delay_alu instid0(VALU_DEP_2) | instskip(SKIP_3) | instid1(VALU_DEP_2)
	v_cndmask_b32_e32 v19, v19, v31, vcc_lo
	s_waitcnt_depctr 0xfff
	v_dual_cndmask_b32 v17, v17, v21 :: v_dual_mul_f32 v6, 0x4f7ffffe, v6
	v_cmp_ge_u32_e32 vcc_lo, v19, v37
	v_add_nc_u32_e32 v21, 1, v17
	s_delay_alu instid0(VALU_DEP_3) | instskip(NEXT) | instid1(VALU_DEP_2)
	v_cvt_u32_f32_e32 v6, v6
	v_cndmask_b32_e32 v16, v17, v21, vcc_lo
	s_delay_alu instid0(VALU_DEP_2) | instskip(SKIP_1) | instid1(VALU_DEP_2)
	v_mul_lo_u32 v39, v7, v6
	v_add_nc_u32_e32 v7, -1, v35
	v_mul_hi_u32 v31, v6, v39
	s_delay_alu instid0(VALU_DEP_2) | instskip(NEXT) | instid1(VALU_DEP_1)
	v_sub_nc_u32_e32 v39, 0, v7
	v_max_i32_e32 v19, v7, v39
	s_delay_alu instid0(VALU_DEP_3) | instskip(SKIP_1) | instid1(VALU_DEP_2)
	v_add_nc_u32_e32 v37, v6, v31
	v_xor_b32_e32 v6, v16, v48
	v_mad_u64_u32 v[16:17], null, v19, v37, 0
	s_delay_alu instid0(VALU_DEP_2)
	v_sub_nc_u32_e32 v16, v6, v48
                                        ; implicit-def: $vgpr6
	v_cmpx_gt_i32_e32 0, v32
	s_xor_b32 s0, exec_lo, s0
; %bb.6:
	s_delay_alu instid0(VALU_DEP_2) | instskip(NEXT) | instid1(VALU_DEP_1)
	v_mad_u64_u32 v[48:49], null, v28, v12, v[16:17]
                                        ; implicit-def: $vgpr28
	v_mul_lo_u32 v6, v48, v32
                                        ; implicit-def: $vgpr32
	s_delay_alu instid0(VALU_DEP_1)
	v_sub_nc_u32_e32 v6, 1, v6
; %bb.7:
	s_or_saveexec_b32 s0, s0
	v_ashrrev_i32_e32 v12, 31, v7
	v_ashrrev_i32_e32 v38, 31, v38
	s_xor_b32 exec_lo, exec_lo, s0
; %bb.8:
	v_mad_u64_u32 v[48:49], null, s15, v28, s[12:13]
	s_delay_alu instid0(VALU_DEP_1)
	v_mad_u64_u32 v[6:7], null, v48, v32, 1
; %bb.9:
	s_or_b32 exec_lo, exec_lo, s0
	v_mul_lo_u32 v7, v17, v36
	v_add_nc_u32_e32 v21, 7, v35
	v_xor_b32_e32 v32, v12, v38
	s_clause 0x1
	s_load_b32 s17, s[8:9], 0x14
	s_load_b32 s5, s[8:9], 0x8
	v_mul_lo_u32 v18, s10, v18
	v_lshrrev_b32_e32 v39, 5, v33
	v_ashrrev_i32_e32 v28, 31, v21
	s_lshl_b32 s13, s14, 6
	v_sub_nc_u32_e32 v7, v19, v7
	v_add_nc_u32_e32 v19, 1, v17
	s_add_i32 s0, s13, 64
	v_lshrrev_b32_e32 v12, 29, v28
	v_mov_b32_e32 v55, 0xff7fffff
	v_sub_nc_u32_e32 v31, v7, v36
	v_cmp_ge_u32_e32 vcc_lo, v7, v36
	v_sub_nc_u32_e32 v51, 0, v30
	v_add_nc_u32_e32 v21, v21, v12
	v_mul_lo_u32 v12, v16, v23
	v_or_b32_e32 v16, s13, v39
	v_cndmask_b32_e32 v17, v17, v19, vcc_lo
	v_cndmask_b32_e32 v7, v7, v31, vcc_lo
	v_ashrrev_i32_e32 v50, 3, v21
	v_lshl_add_u32 v23, v39, 3, s16
	v_mbcnt_lo_u32_b32 v54, -1, 0
	v_add_nc_u32_e32 v19, 1, v17
	v_cmp_ge_u32_e32 vcc_lo, v7, v36
	v_min_i32_e32 v48, s0, v50
	v_ashrrev_i32_e32 v52, 31, v12
	s_delay_alu instid0(VALU_DEP_4) | instskip(SKIP_3) | instid1(VALU_DEP_4)
	v_cndmask_b32_e32 v7, v17, v19, vcc_lo
	v_ashrrev_i32_e32 v19, 31, v18
	v_ashrrev_i32_e32 v17, 31, v16
	v_cmp_lt_i32_e64 s0, v16, v48
	v_xor_b32_e32 v7, v7, v32
	s_delay_alu instid0(VALU_DEP_4) | instskip(NEXT) | instid1(VALU_DEP_2)
	v_lshlrev_b64 v[18:19], 2, v[18:19]
	v_sub_nc_u32_e32 v7, v7, v32
	s_delay_alu instid0(VALU_DEP_1)
	v_sub_nc_u32_e32 v49, v7, v29
	s_and_saveexec_b32 s18, s0
	s_cbranch_execz .LBB298_531
; %bb.10:
	v_max_i32_e32 v64, v30, v51
	s_ashr_i32 s7, s6, 31
	s_getpc_b64 s[2:3]
	s_add_u32 s2, s2, llvm.amdgcn.dynlds.offset.table@rel32@lo+4
	s_addc_u32 s3, s3, llvm.amdgcn.dynlds.offset.table@rel32@hi+12
	s_lshl_b64 s[8:9], s[6:7], 2
	v_add_co_u32 v28, s1, v8, v12
	v_cvt_f32_u32_e32 v7, v64
	v_sub_nc_u32_e32 v31, 0, v64
	s_add_u32 s8, s8, s2
	s_addc_u32 s9, s9, s3
	v_bfe_u32 v65, v33, 2, 3
	v_rcp_iflag_f32_e32 v7, v7
	v_lshlrev_b32_e32 v66, 7, v20
	s_load_b32 s7, s[8:9], 0x0
	v_cmp_eq_u32_e32 vcc_lo, 0, v20
	v_add_co_ci_u32_e64 v29, s1, v9, v52, s1
	v_dual_mov_b32 v8, 0 :: v_dual_lshlrev_b32 v9, 1, v20
	v_lshlrev_b64 v[20:21], 2, v[16:17]
	s_waitcnt_depctr 0xfff
	v_dual_mul_f32 v7, 0x4f7ffffe, v7 :: v_dual_lshlrev_b32 v32, 4, v65
	v_lshlrev_b32_e32 v69, 2, v65
	v_sub_nc_u32_e32 v70, v65, v35
	v_cmp_neq_f32_e64 s1, 0, v53
	v_add_co_u32 v71, s2, v18, v20
	v_cvt_u32_f32_e32 v7, v7
	v_add_co_ci_u32_e64 v80, s2, v19, v21, s2
	v_add_co_u32 v20, s2, v28, v32
	s_delay_alu instid0(VALU_DEP_3)
	v_mul_lo_u32 v31, v31, v7
	v_add_co_ci_u32_e64 v21, s2, 0, v29, s2
	v_add_co_u32 v28, s2, v14, v71
	v_lshl_add_u32 v67, v39, 3, s16
	v_dual_mov_b32 v68, 0xff7fffff :: v_dual_mov_b32 v55, 0xff7fffff
	v_mul_hi_u32 v31, v7, v31
	v_add_nc_u32_e32 v70, 1, v70
	v_add_co_ci_u32_e64 v29, s2, v15, v80, s2
	v_mov_b32_e32 v80, v16
	v_lshl_or_b32 v69, v39, 5, v69
	s_mov_b32 s19, 0
	v_add_nc_u32_e32 v71, v7, v31
	s_branch .LBB298_13
.LBB298_11:                             ;   in Loop: Header=BB298_13 Depth=1
	s_or_b32 exec_lo, exec_lo, s20
.LBB298_12:                             ;   in Loop: Header=BB298_13 Depth=1
	s_delay_alu instid0(SALU_CYCLE_1) | instskip(SKIP_2) | instid1(VALU_DEP_1)
	s_or_b32 exec_lo, exec_lo, s3
	v_add_nc_u32_e32 v80, 4, v80
	v_add_co_u32 v28, s3, v28, 16
	v_add_co_ci_u32_e64 v29, s3, 0, v29, s3
	s_delay_alu instid0(VALU_DEP_3) | instskip(SKIP_2) | instid1(VALU_DEP_3)
	v_cmp_ge_i32_e64 s2, v80, v48
	v_add_nc_u32_e32 v67, 32, v67
	v_add_nc_u32_e32 v69, 0x80, v69
	s_or_b32 s19, s2, s19
	s_delay_alu instid0(SALU_CYCLE_1)
	s_and_not1_b32 exec_lo, exec_lo, s19
	s_cbranch_execz .LBB298_530
.LBB298_13:                             ; =>This Inner Loop Header: Depth=1
	v_sub_nc_u32_e32 v7, 0, v67
	s_delay_alu instid0(VALU_DEP_1) | instskip(SKIP_1) | instid1(VALU_DEP_1)
	v_max_i32_e32 v7, v67, v7
	s_waitcnt lgkmcnt(0)
	v_mul_hi_u32 v31, v7, v37
	s_delay_alu instid0(VALU_DEP_1) | instskip(NEXT) | instid1(VALU_DEP_1)
	v_mul_lo_u32 v32, v31, v36
	v_sub_nc_u32_e32 v7, v7, v32
	v_add_nc_u32_e32 v32, 1, v31
	s_delay_alu instid0(VALU_DEP_2) | instskip(SKIP_1) | instid1(VALU_DEP_1)
	v_sub_nc_u32_e32 v81, v7, v36
	v_cmp_ge_u32_e64 s2, v7, v36
	v_cndmask_b32_e64 v31, v31, v32, s2
	s_delay_alu instid0(VALU_DEP_3) | instskip(SKIP_1) | instid1(VALU_DEP_3)
	v_cndmask_b32_e64 v7, v7, v81, s2
	v_ashrrev_i32_e32 v32, 31, v67
	v_add_nc_u32_e32 v81, 1, v31
	s_delay_alu instid0(VALU_DEP_3) | instskip(NEXT) | instid1(VALU_DEP_3)
	v_cmp_ge_u32_e64 s2, v7, v36
	v_xor_b32_e32 v32, v32, v38
	s_delay_alu instid0(VALU_DEP_2) | instskip(NEXT) | instid1(VALU_DEP_1)
	v_cndmask_b32_e64 v7, v31, v81, s2
	v_xor_b32_e32 v7, v7, v32
	s_delay_alu instid0(VALU_DEP_1) | instskip(NEXT) | instid1(VALU_DEP_1)
	v_sub_nc_u32_e32 v7, v7, v32
	v_add_nc_u32_e32 v31, v7, v6
	v_cmp_le_i32_e64 s3, v7, v49
	s_delay_alu instid0(VALU_DEP_2) | instskip(NEXT) | instid1(VALU_DEP_1)
	v_sub_nc_u32_e32 v32, 0, v31
	v_max_i32_e32 v32, v31, v32
	v_ashrrev_i32_e32 v31, 31, v31
	s_delay_alu instid0(VALU_DEP_2) | instskip(NEXT) | instid1(VALU_DEP_1)
	v_mul_hi_u32 v81, v32, v71
	v_mul_lo_u32 v81, v81, v64
	s_delay_alu instid0(VALU_DEP_1) | instskip(NEXT) | instid1(VALU_DEP_1)
	v_sub_nc_u32_e32 v32, v32, v81
	v_sub_nc_u32_e32 v81, v32, v64
	v_cmp_ge_u32_e64 s2, v32, v64
	s_delay_alu instid0(VALU_DEP_1) | instskip(NEXT) | instid1(VALU_DEP_1)
	v_cndmask_b32_e64 v32, v32, v81, s2
	v_sub_nc_u32_e32 v81, v32, v64
	v_cmp_ge_u32_e64 s2, v32, v64
	s_delay_alu instid0(VALU_DEP_1) | instskip(NEXT) | instid1(VALU_DEP_1)
	v_cndmask_b32_e64 v32, v32, v81, s2
	v_xor_b32_e32 v32, v32, v31
	s_delay_alu instid0(VALU_DEP_1) | instskip(NEXT) | instid1(VALU_DEP_1)
	v_sub_nc_u32_e32 v31, v32, v31
	v_cmp_ne_u32_e64 s2, 0, v31
	s_delay_alu instid0(VALU_DEP_1) | instskip(NEXT) | instid1(SALU_CYCLE_1)
	s_and_b32 s2, s2, s3
	s_and_b32 s20, vcc_lo, s2
	s_delay_alu instid0(SALU_CYCLE_1)
	s_and_saveexec_b32 s3, s20
	s_cbranch_execz .LBB298_15
; %bb.14:                               ;   in Loop: Header=BB298_13 Depth=1
	s_waitcnt lgkmcnt(0)
	v_add_nc_u32_e32 v7, s7, v69
	ds_store_b32 v7, v68
.LBB298_15:                             ;   in Loop: Header=BB298_13 Depth=1
	s_or_b32 exec_lo, exec_lo, s3
	s_xor_b32 s2, s2, -1
	s_delay_alu instid0(SALU_CYCLE_1)
	s_and_saveexec_b32 s3, s2
	s_cbranch_execz .LBB298_12
; %bb.16:                               ;   in Loop: Header=BB298_13 Depth=1
	flat_load_b32 v7, v[28:29]
	v_mov_b32_e32 v82, 0
	s_waitcnt vmcnt(0) lgkmcnt(0)
	v_mad_i64_i32 v[31:32], null, v7, v22, v[20:21]
	s_delay_alu instid0(VALU_DEP_1) | instskip(NEXT) | instid1(VALU_DEP_1)
	v_add_co_u32 v31, s2, v31, v9
	v_add_co_ci_u32_e64 v32, s2, 0, v32, s2
	flat_load_u16 v7, v[31:32]
	flat_load_b32 v81, v[24:25]
	s_waitcnt vmcnt(1) lgkmcnt(1)
	v_and_b32_e32 v83, 0xff, v7
	v_and_b32_e32 v84, 0xffff, v7
	s_delay_alu instid0(VALU_DEP_2) | instskip(SKIP_1) | instid1(VALU_DEP_2)
	v_cmp_ne_u16_e64 s2, 0, v83
	v_mov_b32_e32 v83, 0
	s_and_saveexec_b32 s20, s2
	s_cbranch_execz .LBB298_24
; %bb.17:                               ;   in Loop: Header=BB298_13 Depth=1
	v_and_b32_e32 v7, 0xff, v84
	v_bfrev_b32_e32 v83, 1
	s_mov_b32 s21, exec_lo
	s_delay_alu instid0(VALU_DEP_2)
	v_cmpx_ne_u16_e32 0x80, v7
	s_cbranch_execz .LBB298_23
; %bb.18:                               ;   in Loop: Header=BB298_13 Depth=1
	v_and_b32_e32 v85, 0x7f, v84
	v_mov_b32_e32 v83, 0x7fc02000
	s_mov_b32 s22, exec_lo
	s_delay_alu instid0(VALU_DEP_2)
	v_cmpx_ne_u32_e32 0x7f, v85
	s_cbranch_execz .LBB298_22
; %bb.19:                               ;   in Loop: Header=BB298_13 Depth=1
	v_and_b32_e32 v7, 7, v84
	v_lshrrev_b32_e32 v83, 3, v85
	s_mov_b32 s23, exec_lo
	v_cmpx_gt_u32_e32 8, v85
; %bb.20:                               ;   in Loop: Header=BB298_13 Depth=1
	s_delay_alu instid0(VALU_DEP_3) | instskip(NEXT) | instid1(VALU_DEP_1)
	v_clz_i32_u32_e32 v83, v7
	v_min_u32_e32 v83, 32, v83
	s_delay_alu instid0(VALU_DEP_1) | instskip(SKIP_1) | instid1(VALU_DEP_2)
	v_subrev_nc_u32_e32 v85, 28, v83
	v_sub_nc_u32_e32 v83, 29, v83
	v_lshlrev_b64 v[85:86], v85, v[7:8]
	s_delay_alu instid0(VALU_DEP_1)
	v_and_b32_e32 v7, 7, v85
; %bb.21:                               ;   in Loop: Header=BB298_13 Depth=1
	s_or_b32 exec_lo, exec_lo, s23
	v_lshlrev_b32_e32 v85, 8, v84
	v_lshl_add_u32 v83, v83, 10, 0x2000
	s_delay_alu instid0(VALU_DEP_1) | instskip(NEXT) | instid1(VALU_DEP_1)
	v_and_or_b32 v83, 0x8000, v85, v83
	v_lshl_or_b32 v7, v7, 7, v83
	s_delay_alu instid0(VALU_DEP_1)
	v_cvt_f32_f16_e32 v83, v7
.LBB298_22:                             ;   in Loop: Header=BB298_13 Depth=1
	s_or_b32 exec_lo, exec_lo, s22
.LBB298_23:                             ;   in Loop: Header=BB298_13 Depth=1
	s_delay_alu instid0(SALU_CYCLE_1)
	s_or_b32 exec_lo, exec_lo, s21
.LBB298_24:                             ;   in Loop: Header=BB298_13 Depth=1
	s_delay_alu instid0(SALU_CYCLE_1) | instskip(SKIP_2) | instid1(VALU_DEP_1)
	s_or_b32 exec_lo, exec_lo, s20
	v_lshrrev_b16 v7, 8, v84
	s_mov_b32 s20, exec_lo
	v_cmpx_ne_u16_e32 0, v7
	s_cbranch_execz .LBB298_32
; %bb.25:                               ;   in Loop: Header=BB298_13 Depth=1
	v_bfrev_b32_e32 v82, 1
	s_mov_b32 s21, exec_lo
	v_cmpx_ne_u16_e32 0x80, v7
	s_cbranch_execz .LBB298_31
; %bb.26:                               ;   in Loop: Header=BB298_13 Depth=1
	v_and_b32_e32 v84, 0xffff, v7
	v_mov_b32_e32 v82, 0x7fc02000
	s_mov_b32 s22, exec_lo
	s_delay_alu instid0(VALU_DEP_2) | instskip(NEXT) | instid1(VALU_DEP_1)
	v_and_b32_e32 v85, 0x7f, v84
	v_cmpx_ne_u32_e32 0x7f, v85
	s_cbranch_execz .LBB298_30
; %bb.27:                               ;   in Loop: Header=BB298_13 Depth=1
	v_and_b32_e32 v7, 7, v84
	v_lshrrev_b32_e32 v82, 3, v85
	s_mov_b32 s23, exec_lo
	v_cmpx_gt_u32_e32 8, v85
; %bb.28:                               ;   in Loop: Header=BB298_13 Depth=1
	s_delay_alu instid0(VALU_DEP_3) | instskip(NEXT) | instid1(VALU_DEP_1)
	v_clz_i32_u32_e32 v82, v7
	v_min_u32_e32 v82, 32, v82
	s_delay_alu instid0(VALU_DEP_1) | instskip(SKIP_1) | instid1(VALU_DEP_2)
	v_subrev_nc_u32_e32 v85, 28, v82
	v_sub_nc_u32_e32 v82, 29, v82
	v_lshlrev_b64 v[85:86], v85, v[7:8]
	s_delay_alu instid0(VALU_DEP_1)
	v_and_b32_e32 v7, 7, v85
; %bb.29:                               ;   in Loop: Header=BB298_13 Depth=1
	s_or_b32 exec_lo, exec_lo, s23
	v_lshlrev_b32_e32 v84, 8, v84
	v_lshl_add_u32 v82, v82, 10, 0x2000
	s_delay_alu instid0(VALU_DEP_1) | instskip(NEXT) | instid1(VALU_DEP_1)
	v_and_or_b32 v82, 0x8000, v84, v82
	v_lshl_or_b32 v7, v7, 7, v82
	s_delay_alu instid0(VALU_DEP_1)
	v_cvt_f32_f16_e32 v82, v7
.LBB298_30:                             ;   in Loop: Header=BB298_13 Depth=1
	s_or_b32 exec_lo, exec_lo, s22
.LBB298_31:                             ;   in Loop: Header=BB298_13 Depth=1
	s_delay_alu instid0(SALU_CYCLE_1)
	s_or_b32 exec_lo, exec_lo, s21
.LBB298_32:                             ;   in Loop: Header=BB298_13 Depth=1
	s_delay_alu instid0(SALU_CYCLE_1) | instskip(SKIP_4) | instid1(VALU_DEP_2)
	s_or_b32 exec_lo, exec_lo, s20
	flat_load_u16 v7, v[31:32] offset:8
	s_waitcnt vmcnt(0) lgkmcnt(0)
	v_dual_mov_b32 v84, 0 :: v_dual_and_b32 v85, 0xff, v7
	v_and_b32_e32 v86, 0xffff, v7
	v_cmp_ne_u16_e64 s2, 0, v85
	v_mov_b32_e32 v85, 0
	s_delay_alu instid0(VALU_DEP_2)
	s_and_saveexec_b32 s20, s2
	s_cbranch_execz .LBB298_40
; %bb.33:                               ;   in Loop: Header=BB298_13 Depth=1
	v_and_b32_e32 v7, 0xff, v86
	v_bfrev_b32_e32 v85, 1
	s_mov_b32 s21, exec_lo
	s_delay_alu instid0(VALU_DEP_2)
	v_cmpx_ne_u16_e32 0x80, v7
	s_cbranch_execz .LBB298_39
; %bb.34:                               ;   in Loop: Header=BB298_13 Depth=1
	v_and_b32_e32 v87, 0x7f, v86
	v_mov_b32_e32 v85, 0x7fc02000
	s_mov_b32 s22, exec_lo
	s_delay_alu instid0(VALU_DEP_2)
	v_cmpx_ne_u32_e32 0x7f, v87
	s_cbranch_execz .LBB298_38
; %bb.35:                               ;   in Loop: Header=BB298_13 Depth=1
	v_and_b32_e32 v7, 7, v86
	v_lshrrev_b32_e32 v85, 3, v87
	s_mov_b32 s23, exec_lo
	v_cmpx_gt_u32_e32 8, v87
; %bb.36:                               ;   in Loop: Header=BB298_13 Depth=1
	s_delay_alu instid0(VALU_DEP_3) | instskip(NEXT) | instid1(VALU_DEP_1)
	v_clz_i32_u32_e32 v85, v7
	v_min_u32_e32 v85, 32, v85
	s_delay_alu instid0(VALU_DEP_1) | instskip(SKIP_1) | instid1(VALU_DEP_2)
	v_subrev_nc_u32_e32 v87, 28, v85
	v_sub_nc_u32_e32 v85, 29, v85
	v_lshlrev_b64 v[96:97], v87, v[7:8]
	s_delay_alu instid0(VALU_DEP_1)
	v_and_b32_e32 v7, 7, v96
; %bb.37:                               ;   in Loop: Header=BB298_13 Depth=1
	s_or_b32 exec_lo, exec_lo, s23
	v_lshlrev_b32_e32 v87, 8, v86
	v_lshl_add_u32 v85, v85, 10, 0x2000
	s_delay_alu instid0(VALU_DEP_1) | instskip(NEXT) | instid1(VALU_DEP_1)
	v_and_or_b32 v85, 0x8000, v87, v85
	v_lshl_or_b32 v7, v7, 7, v85
	s_delay_alu instid0(VALU_DEP_1)
	v_cvt_f32_f16_e32 v85, v7
.LBB298_38:                             ;   in Loop: Header=BB298_13 Depth=1
	s_or_b32 exec_lo, exec_lo, s22
.LBB298_39:                             ;   in Loop: Header=BB298_13 Depth=1
	s_delay_alu instid0(SALU_CYCLE_1)
	s_or_b32 exec_lo, exec_lo, s21
.LBB298_40:                             ;   in Loop: Header=BB298_13 Depth=1
	s_delay_alu instid0(SALU_CYCLE_1) | instskip(SKIP_2) | instid1(VALU_DEP_1)
	s_or_b32 exec_lo, exec_lo, s20
	v_lshrrev_b16 v7, 8, v86
	s_mov_b32 s20, exec_lo
	v_cmpx_ne_u16_e32 0, v7
	s_cbranch_execz .LBB298_48
; %bb.41:                               ;   in Loop: Header=BB298_13 Depth=1
	v_bfrev_b32_e32 v84, 1
	s_mov_b32 s21, exec_lo
	v_cmpx_ne_u16_e32 0x80, v7
	s_cbranch_execz .LBB298_47
; %bb.42:                               ;   in Loop: Header=BB298_13 Depth=1
	v_and_b32_e32 v86, 0xffff, v7
	v_mov_b32_e32 v84, 0x7fc02000
	s_mov_b32 s22, exec_lo
	s_delay_alu instid0(VALU_DEP_2) | instskip(NEXT) | instid1(VALU_DEP_1)
	v_and_b32_e32 v87, 0x7f, v86
	v_cmpx_ne_u32_e32 0x7f, v87
	s_cbranch_execz .LBB298_46
; %bb.43:                               ;   in Loop: Header=BB298_13 Depth=1
	v_and_b32_e32 v7, 7, v86
	v_lshrrev_b32_e32 v84, 3, v87
	s_mov_b32 s23, exec_lo
	v_cmpx_gt_u32_e32 8, v87
; %bb.44:                               ;   in Loop: Header=BB298_13 Depth=1
	s_delay_alu instid0(VALU_DEP_3) | instskip(NEXT) | instid1(VALU_DEP_1)
	v_clz_i32_u32_e32 v84, v7
	v_min_u32_e32 v84, 32, v84
	s_delay_alu instid0(VALU_DEP_1) | instskip(SKIP_1) | instid1(VALU_DEP_2)
	v_subrev_nc_u32_e32 v87, 28, v84
	v_sub_nc_u32_e32 v84, 29, v84
	v_lshlrev_b64 v[96:97], v87, v[7:8]
	s_delay_alu instid0(VALU_DEP_1)
	v_and_b32_e32 v7, 7, v96
; %bb.45:                               ;   in Loop: Header=BB298_13 Depth=1
	s_or_b32 exec_lo, exec_lo, s23
	v_lshlrev_b32_e32 v86, 8, v86
	v_lshl_add_u32 v84, v84, 10, 0x2000
	s_delay_alu instid0(VALU_DEP_1) | instskip(NEXT) | instid1(VALU_DEP_1)
	v_and_or_b32 v84, 0x8000, v86, v84
	v_lshl_or_b32 v7, v7, 7, v84
	s_delay_alu instid0(VALU_DEP_1)
	v_cvt_f32_f16_e32 v84, v7
.LBB298_46:                             ;   in Loop: Header=BB298_13 Depth=1
	s_or_b32 exec_lo, exec_lo, s22
.LBB298_47:                             ;   in Loop: Header=BB298_13 Depth=1
	s_delay_alu instid0(SALU_CYCLE_1)
	s_or_b32 exec_lo, exec_lo, s21
.LBB298_48:                             ;   in Loop: Header=BB298_13 Depth=1
	s_delay_alu instid0(SALU_CYCLE_1) | instskip(SKIP_4) | instid1(VALU_DEP_2)
	s_or_b32 exec_lo, exec_lo, s20
	flat_load_u16 v7, v[31:32] offset:128
	s_waitcnt vmcnt(0) lgkmcnt(0)
	v_dual_mov_b32 v86, 0 :: v_dual_and_b32 v87, 0xff, v7
	v_and_b32_e32 v96, 0xffff, v7
	v_cmp_ne_u16_e64 s2, 0, v87
	v_mov_b32_e32 v87, 0
	s_delay_alu instid0(VALU_DEP_2)
	s_and_saveexec_b32 s20, s2
	s_cbranch_execz .LBB298_56
; %bb.49:                               ;   in Loop: Header=BB298_13 Depth=1
	v_and_b32_e32 v7, 0xff, v96
	v_bfrev_b32_e32 v87, 1
	s_mov_b32 s21, exec_lo
	s_delay_alu instid0(VALU_DEP_2)
	v_cmpx_ne_u16_e32 0x80, v7
	s_cbranch_execz .LBB298_55
; %bb.50:                               ;   in Loop: Header=BB298_13 Depth=1
	v_and_b32_e32 v97, 0x7f, v96
	v_mov_b32_e32 v87, 0x7fc02000
	s_mov_b32 s22, exec_lo
	s_delay_alu instid0(VALU_DEP_2)
	v_cmpx_ne_u32_e32 0x7f, v97
	s_cbranch_execz .LBB298_54
; %bb.51:                               ;   in Loop: Header=BB298_13 Depth=1
	v_and_b32_e32 v7, 7, v96
	v_lshrrev_b32_e32 v87, 3, v97
	s_mov_b32 s23, exec_lo
	v_cmpx_gt_u32_e32 8, v97
; %bb.52:                               ;   in Loop: Header=BB298_13 Depth=1
	s_delay_alu instid0(VALU_DEP_3) | instskip(NEXT) | instid1(VALU_DEP_1)
	v_clz_i32_u32_e32 v87, v7
	v_min_u32_e32 v87, 32, v87
	s_delay_alu instid0(VALU_DEP_1) | instskip(SKIP_1) | instid1(VALU_DEP_2)
	v_subrev_nc_u32_e32 v97, 28, v87
	v_sub_nc_u32_e32 v87, 29, v87
	v_lshlrev_b64 v[97:98], v97, v[7:8]
	s_delay_alu instid0(VALU_DEP_1)
	v_and_b32_e32 v7, 7, v97
; %bb.53:                               ;   in Loop: Header=BB298_13 Depth=1
	s_or_b32 exec_lo, exec_lo, s23
	v_lshlrev_b32_e32 v97, 8, v96
	v_lshl_add_u32 v87, v87, 10, 0x2000
	s_delay_alu instid0(VALU_DEP_1) | instskip(NEXT) | instid1(VALU_DEP_1)
	v_and_or_b32 v87, 0x8000, v97, v87
	v_lshl_or_b32 v7, v7, 7, v87
	s_delay_alu instid0(VALU_DEP_1)
	v_cvt_f32_f16_e32 v87, v7
.LBB298_54:                             ;   in Loop: Header=BB298_13 Depth=1
	s_or_b32 exec_lo, exec_lo, s22
.LBB298_55:                             ;   in Loop: Header=BB298_13 Depth=1
	s_delay_alu instid0(SALU_CYCLE_1)
	s_or_b32 exec_lo, exec_lo, s21
.LBB298_56:                             ;   in Loop: Header=BB298_13 Depth=1
	s_delay_alu instid0(SALU_CYCLE_1) | instskip(SKIP_2) | instid1(VALU_DEP_1)
	s_or_b32 exec_lo, exec_lo, s20
	v_lshrrev_b16 v7, 8, v96
	s_mov_b32 s20, exec_lo
	v_cmpx_ne_u16_e32 0, v7
	s_cbranch_execz .LBB298_64
; %bb.57:                               ;   in Loop: Header=BB298_13 Depth=1
	v_bfrev_b32_e32 v86, 1
	s_mov_b32 s21, exec_lo
	v_cmpx_ne_u16_e32 0x80, v7
	s_cbranch_execz .LBB298_63
; %bb.58:                               ;   in Loop: Header=BB298_13 Depth=1
	v_and_b32_e32 v96, 0xffff, v7
	v_mov_b32_e32 v86, 0x7fc02000
	s_mov_b32 s22, exec_lo
	s_delay_alu instid0(VALU_DEP_2) | instskip(NEXT) | instid1(VALU_DEP_1)
	v_and_b32_e32 v97, 0x7f, v96
	v_cmpx_ne_u32_e32 0x7f, v97
	s_cbranch_execz .LBB298_62
; %bb.59:                               ;   in Loop: Header=BB298_13 Depth=1
	v_and_b32_e32 v7, 7, v96
	v_lshrrev_b32_e32 v86, 3, v97
	s_mov_b32 s23, exec_lo
	v_cmpx_gt_u32_e32 8, v97
; %bb.60:                               ;   in Loop: Header=BB298_13 Depth=1
	s_delay_alu instid0(VALU_DEP_3) | instskip(NEXT) | instid1(VALU_DEP_1)
	v_clz_i32_u32_e32 v86, v7
	v_min_u32_e32 v86, 32, v86
	s_delay_alu instid0(VALU_DEP_1) | instskip(SKIP_1) | instid1(VALU_DEP_2)
	v_subrev_nc_u32_e32 v97, 28, v86
	v_sub_nc_u32_e32 v86, 29, v86
	v_lshlrev_b64 v[97:98], v97, v[7:8]
	s_delay_alu instid0(VALU_DEP_1)
	v_and_b32_e32 v7, 7, v97
; %bb.61:                               ;   in Loop: Header=BB298_13 Depth=1
	s_or_b32 exec_lo, exec_lo, s23
	v_lshlrev_b32_e32 v96, 8, v96
	v_lshl_add_u32 v86, v86, 10, 0x2000
	s_delay_alu instid0(VALU_DEP_1) | instskip(NEXT) | instid1(VALU_DEP_1)
	v_and_or_b32 v86, 0x8000, v96, v86
	v_lshl_or_b32 v7, v7, 7, v86
	s_delay_alu instid0(VALU_DEP_1)
	v_cvt_f32_f16_e32 v86, v7
.LBB298_62:                             ;   in Loop: Header=BB298_13 Depth=1
	s_or_b32 exec_lo, exec_lo, s22
.LBB298_63:                             ;   in Loop: Header=BB298_13 Depth=1
	s_delay_alu instid0(SALU_CYCLE_1)
	s_or_b32 exec_lo, exec_lo, s21
.LBB298_64:                             ;   in Loop: Header=BB298_13 Depth=1
	s_delay_alu instid0(SALU_CYCLE_1) | instskip(SKIP_4) | instid1(VALU_DEP_2)
	s_or_b32 exec_lo, exec_lo, s20
	flat_load_u16 v7, v[31:32] offset:136
	s_waitcnt vmcnt(0) lgkmcnt(0)
	v_dual_mov_b32 v96, 0 :: v_dual_and_b32 v97, 0xff, v7
	v_and_b32_e32 v98, 0xffff, v7
	v_cmp_ne_u16_e64 s2, 0, v97
	v_mov_b32_e32 v97, 0
	s_delay_alu instid0(VALU_DEP_2)
	s_and_saveexec_b32 s20, s2
	s_cbranch_execz .LBB298_72
; %bb.65:                               ;   in Loop: Header=BB298_13 Depth=1
	v_and_b32_e32 v7, 0xff, v98
	v_bfrev_b32_e32 v97, 1
	s_mov_b32 s21, exec_lo
	s_delay_alu instid0(VALU_DEP_2)
	v_cmpx_ne_u16_e32 0x80, v7
	s_cbranch_execz .LBB298_71
; %bb.66:                               ;   in Loop: Header=BB298_13 Depth=1
	v_and_b32_e32 v99, 0x7f, v98
	v_mov_b32_e32 v97, 0x7fc02000
	s_mov_b32 s22, exec_lo
	s_delay_alu instid0(VALU_DEP_2)
	v_cmpx_ne_u32_e32 0x7f, v99
	s_cbranch_execz .LBB298_70
; %bb.67:                               ;   in Loop: Header=BB298_13 Depth=1
	v_and_b32_e32 v7, 7, v98
	v_lshrrev_b32_e32 v97, 3, v99
	s_mov_b32 s23, exec_lo
	v_cmpx_gt_u32_e32 8, v99
; %bb.68:                               ;   in Loop: Header=BB298_13 Depth=1
	s_delay_alu instid0(VALU_DEP_3) | instskip(NEXT) | instid1(VALU_DEP_1)
	v_clz_i32_u32_e32 v97, v7
	v_min_u32_e32 v97, 32, v97
	s_delay_alu instid0(VALU_DEP_1) | instskip(SKIP_1) | instid1(VALU_DEP_2)
	v_subrev_nc_u32_e32 v99, 28, v97
	v_sub_nc_u32_e32 v97, 29, v97
	v_lshlrev_b64 v[99:100], v99, v[7:8]
	s_delay_alu instid0(VALU_DEP_1)
	v_and_b32_e32 v7, 7, v99
; %bb.69:                               ;   in Loop: Header=BB298_13 Depth=1
	s_or_b32 exec_lo, exec_lo, s23
	v_lshlrev_b32_e32 v99, 8, v98
	v_lshl_add_u32 v97, v97, 10, 0x2000
	s_delay_alu instid0(VALU_DEP_1) | instskip(NEXT) | instid1(VALU_DEP_1)
	v_and_or_b32 v97, 0x8000, v99, v97
	v_lshl_or_b32 v7, v7, 7, v97
	s_delay_alu instid0(VALU_DEP_1)
	v_cvt_f32_f16_e32 v97, v7
.LBB298_70:                             ;   in Loop: Header=BB298_13 Depth=1
	s_or_b32 exec_lo, exec_lo, s22
.LBB298_71:                             ;   in Loop: Header=BB298_13 Depth=1
	s_delay_alu instid0(SALU_CYCLE_1)
	s_or_b32 exec_lo, exec_lo, s21
.LBB298_72:                             ;   in Loop: Header=BB298_13 Depth=1
	s_delay_alu instid0(SALU_CYCLE_1) | instskip(SKIP_2) | instid1(VALU_DEP_1)
	s_or_b32 exec_lo, exec_lo, s20
	v_lshrrev_b16 v7, 8, v98
	s_mov_b32 s20, exec_lo
	v_cmpx_ne_u16_e32 0, v7
	s_cbranch_execz .LBB298_80
; %bb.73:                               ;   in Loop: Header=BB298_13 Depth=1
	v_bfrev_b32_e32 v96, 1
	s_mov_b32 s21, exec_lo
	v_cmpx_ne_u16_e32 0x80, v7
	s_cbranch_execz .LBB298_79
; %bb.74:                               ;   in Loop: Header=BB298_13 Depth=1
	v_and_b32_e32 v98, 0xffff, v7
	v_mov_b32_e32 v96, 0x7fc02000
	s_mov_b32 s22, exec_lo
	s_delay_alu instid0(VALU_DEP_2) | instskip(NEXT) | instid1(VALU_DEP_1)
	v_and_b32_e32 v99, 0x7f, v98
	v_cmpx_ne_u32_e32 0x7f, v99
	s_cbranch_execz .LBB298_78
; %bb.75:                               ;   in Loop: Header=BB298_13 Depth=1
	v_and_b32_e32 v7, 7, v98
	v_lshrrev_b32_e32 v96, 3, v99
	s_mov_b32 s23, exec_lo
	v_cmpx_gt_u32_e32 8, v99
; %bb.76:                               ;   in Loop: Header=BB298_13 Depth=1
	s_delay_alu instid0(VALU_DEP_3) | instskip(NEXT) | instid1(VALU_DEP_1)
	v_clz_i32_u32_e32 v96, v7
	v_min_u32_e32 v96, 32, v96
	s_delay_alu instid0(VALU_DEP_1) | instskip(SKIP_1) | instid1(VALU_DEP_2)
	v_subrev_nc_u32_e32 v99, 28, v96
	v_sub_nc_u32_e32 v96, 29, v96
	v_lshlrev_b64 v[99:100], v99, v[7:8]
	s_delay_alu instid0(VALU_DEP_1)
	v_and_b32_e32 v7, 7, v99
; %bb.77:                               ;   in Loop: Header=BB298_13 Depth=1
	s_or_b32 exec_lo, exec_lo, s23
	v_lshlrev_b32_e32 v98, 8, v98
	v_lshl_add_u32 v96, v96, 10, 0x2000
	s_delay_alu instid0(VALU_DEP_1) | instskip(NEXT) | instid1(VALU_DEP_1)
	v_and_or_b32 v96, 0x8000, v98, v96
	v_lshl_or_b32 v7, v7, 7, v96
	s_delay_alu instid0(VALU_DEP_1)
	v_cvt_f32_f16_e32 v96, v7
.LBB298_78:                             ;   in Loop: Header=BB298_13 Depth=1
	s_or_b32 exec_lo, exec_lo, s22
.LBB298_79:                             ;   in Loop: Header=BB298_13 Depth=1
	s_delay_alu instid0(SALU_CYCLE_1)
	s_or_b32 exec_lo, exec_lo, s21
.LBB298_80:                             ;   in Loop: Header=BB298_13 Depth=1
	s_delay_alu instid0(SALU_CYCLE_1) | instskip(SKIP_4) | instid1(VALU_DEP_2)
	s_or_b32 exec_lo, exec_lo, s20
	flat_load_u16 v7, v[31:32] offset:256
	s_waitcnt vmcnt(0) lgkmcnt(0)
	v_dual_mov_b32 v98, 0 :: v_dual_and_b32 v99, 0xff, v7
	v_and_b32_e32 v100, 0xffff, v7
	v_cmp_ne_u16_e64 s2, 0, v99
	v_mov_b32_e32 v99, 0
	s_delay_alu instid0(VALU_DEP_2)
	s_and_saveexec_b32 s20, s2
	s_cbranch_execz .LBB298_88
; %bb.81:                               ;   in Loop: Header=BB298_13 Depth=1
	v_and_b32_e32 v7, 0xff, v100
	v_bfrev_b32_e32 v99, 1
	s_mov_b32 s21, exec_lo
	s_delay_alu instid0(VALU_DEP_2)
	v_cmpx_ne_u16_e32 0x80, v7
	s_cbranch_execz .LBB298_87
; %bb.82:                               ;   in Loop: Header=BB298_13 Depth=1
	v_and_b32_e32 v101, 0x7f, v100
	v_mov_b32_e32 v99, 0x7fc02000
	s_mov_b32 s22, exec_lo
	s_delay_alu instid0(VALU_DEP_2)
	v_cmpx_ne_u32_e32 0x7f, v101
	s_cbranch_execz .LBB298_86
; %bb.83:                               ;   in Loop: Header=BB298_13 Depth=1
	v_and_b32_e32 v7, 7, v100
	v_lshrrev_b32_e32 v99, 3, v101
	s_mov_b32 s23, exec_lo
	v_cmpx_gt_u32_e32 8, v101
; %bb.84:                               ;   in Loop: Header=BB298_13 Depth=1
	s_delay_alu instid0(VALU_DEP_3) | instskip(NEXT) | instid1(VALU_DEP_1)
	v_clz_i32_u32_e32 v99, v7
	v_min_u32_e32 v99, 32, v99
	s_delay_alu instid0(VALU_DEP_1) | instskip(SKIP_1) | instid1(VALU_DEP_2)
	v_subrev_nc_u32_e32 v101, 28, v99
	v_sub_nc_u32_e32 v99, 29, v99
	v_lshlrev_b64 v[101:102], v101, v[7:8]
	s_delay_alu instid0(VALU_DEP_1)
	v_and_b32_e32 v7, 7, v101
; %bb.85:                               ;   in Loop: Header=BB298_13 Depth=1
	s_or_b32 exec_lo, exec_lo, s23
	v_lshlrev_b32_e32 v101, 8, v100
	v_lshl_add_u32 v99, v99, 10, 0x2000
	s_delay_alu instid0(VALU_DEP_1) | instskip(NEXT) | instid1(VALU_DEP_1)
	v_and_or_b32 v99, 0x8000, v101, v99
	v_lshl_or_b32 v7, v7, 7, v99
	s_delay_alu instid0(VALU_DEP_1)
	v_cvt_f32_f16_e32 v99, v7
.LBB298_86:                             ;   in Loop: Header=BB298_13 Depth=1
	s_or_b32 exec_lo, exec_lo, s22
.LBB298_87:                             ;   in Loop: Header=BB298_13 Depth=1
	s_delay_alu instid0(SALU_CYCLE_1)
	s_or_b32 exec_lo, exec_lo, s21
.LBB298_88:                             ;   in Loop: Header=BB298_13 Depth=1
	s_delay_alu instid0(SALU_CYCLE_1) | instskip(SKIP_2) | instid1(VALU_DEP_1)
	s_or_b32 exec_lo, exec_lo, s20
	v_lshrrev_b16 v7, 8, v100
	s_mov_b32 s20, exec_lo
	v_cmpx_ne_u16_e32 0, v7
	s_cbranch_execz .LBB298_96
; %bb.89:                               ;   in Loop: Header=BB298_13 Depth=1
	v_bfrev_b32_e32 v98, 1
	s_mov_b32 s21, exec_lo
	v_cmpx_ne_u16_e32 0x80, v7
	s_cbranch_execz .LBB298_95
; %bb.90:                               ;   in Loop: Header=BB298_13 Depth=1
	v_and_b32_e32 v100, 0xffff, v7
	v_mov_b32_e32 v98, 0x7fc02000
	s_mov_b32 s22, exec_lo
	s_delay_alu instid0(VALU_DEP_2) | instskip(NEXT) | instid1(VALU_DEP_1)
	v_and_b32_e32 v101, 0x7f, v100
	v_cmpx_ne_u32_e32 0x7f, v101
	s_cbranch_execz .LBB298_94
; %bb.91:                               ;   in Loop: Header=BB298_13 Depth=1
	v_and_b32_e32 v7, 7, v100
	v_lshrrev_b32_e32 v98, 3, v101
	s_mov_b32 s23, exec_lo
	v_cmpx_gt_u32_e32 8, v101
; %bb.92:                               ;   in Loop: Header=BB298_13 Depth=1
	s_delay_alu instid0(VALU_DEP_3) | instskip(NEXT) | instid1(VALU_DEP_1)
	v_clz_i32_u32_e32 v98, v7
	v_min_u32_e32 v98, 32, v98
	s_delay_alu instid0(VALU_DEP_1) | instskip(SKIP_1) | instid1(VALU_DEP_2)
	v_subrev_nc_u32_e32 v101, 28, v98
	v_sub_nc_u32_e32 v98, 29, v98
	v_lshlrev_b64 v[101:102], v101, v[7:8]
	s_delay_alu instid0(VALU_DEP_1)
	v_and_b32_e32 v7, 7, v101
; %bb.93:                               ;   in Loop: Header=BB298_13 Depth=1
	s_or_b32 exec_lo, exec_lo, s23
	v_lshlrev_b32_e32 v100, 8, v100
	v_lshl_add_u32 v98, v98, 10, 0x2000
	s_delay_alu instid0(VALU_DEP_1) | instskip(NEXT) | instid1(VALU_DEP_1)
	v_and_or_b32 v98, 0x8000, v100, v98
	v_lshl_or_b32 v7, v7, 7, v98
	s_delay_alu instid0(VALU_DEP_1)
	v_cvt_f32_f16_e32 v98, v7
.LBB298_94:                             ;   in Loop: Header=BB298_13 Depth=1
	s_or_b32 exec_lo, exec_lo, s22
.LBB298_95:                             ;   in Loop: Header=BB298_13 Depth=1
	s_delay_alu instid0(SALU_CYCLE_1)
	s_or_b32 exec_lo, exec_lo, s21
.LBB298_96:                             ;   in Loop: Header=BB298_13 Depth=1
	s_delay_alu instid0(SALU_CYCLE_1) | instskip(SKIP_4) | instid1(VALU_DEP_2)
	s_or_b32 exec_lo, exec_lo, s20
	flat_load_u16 v7, v[31:32] offset:264
	s_waitcnt vmcnt(0) lgkmcnt(0)
	v_dual_mov_b32 v100, 0 :: v_dual_and_b32 v101, 0xff, v7
	v_and_b32_e32 v102, 0xffff, v7
	v_cmp_ne_u16_e64 s2, 0, v101
	v_mov_b32_e32 v101, 0
	s_delay_alu instid0(VALU_DEP_2)
	s_and_saveexec_b32 s20, s2
	s_cbranch_execz .LBB298_104
; %bb.97:                               ;   in Loop: Header=BB298_13 Depth=1
	v_and_b32_e32 v7, 0xff, v102
	v_bfrev_b32_e32 v101, 1
	s_mov_b32 s21, exec_lo
	s_delay_alu instid0(VALU_DEP_2)
	v_cmpx_ne_u16_e32 0x80, v7
	s_cbranch_execz .LBB298_103
; %bb.98:                               ;   in Loop: Header=BB298_13 Depth=1
	v_and_b32_e32 v103, 0x7f, v102
	v_mov_b32_e32 v101, 0x7fc02000
	s_mov_b32 s22, exec_lo
	s_delay_alu instid0(VALU_DEP_2)
	v_cmpx_ne_u32_e32 0x7f, v103
	s_cbranch_execz .LBB298_102
; %bb.99:                               ;   in Loop: Header=BB298_13 Depth=1
	v_and_b32_e32 v7, 7, v102
	v_lshrrev_b32_e32 v101, 3, v103
	s_mov_b32 s23, exec_lo
	v_cmpx_gt_u32_e32 8, v103
; %bb.100:                              ;   in Loop: Header=BB298_13 Depth=1
	s_delay_alu instid0(VALU_DEP_3) | instskip(NEXT) | instid1(VALU_DEP_1)
	v_clz_i32_u32_e32 v101, v7
	v_min_u32_e32 v101, 32, v101
	s_delay_alu instid0(VALU_DEP_1) | instskip(SKIP_1) | instid1(VALU_DEP_2)
	v_subrev_nc_u32_e32 v103, 28, v101
	v_sub_nc_u32_e32 v101, 29, v101
	v_lshlrev_b64 v[112:113], v103, v[7:8]
	s_delay_alu instid0(VALU_DEP_1)
	v_and_b32_e32 v7, 7, v112
; %bb.101:                              ;   in Loop: Header=BB298_13 Depth=1
	s_or_b32 exec_lo, exec_lo, s23
	v_lshlrev_b32_e32 v103, 8, v102
	v_lshl_add_u32 v101, v101, 10, 0x2000
	s_delay_alu instid0(VALU_DEP_1) | instskip(NEXT) | instid1(VALU_DEP_1)
	v_and_or_b32 v101, 0x8000, v103, v101
	v_lshl_or_b32 v7, v7, 7, v101
	s_delay_alu instid0(VALU_DEP_1)
	v_cvt_f32_f16_e32 v101, v7
.LBB298_102:                            ;   in Loop: Header=BB298_13 Depth=1
	s_or_b32 exec_lo, exec_lo, s22
.LBB298_103:                            ;   in Loop: Header=BB298_13 Depth=1
	s_delay_alu instid0(SALU_CYCLE_1)
	s_or_b32 exec_lo, exec_lo, s21
.LBB298_104:                            ;   in Loop: Header=BB298_13 Depth=1
	s_delay_alu instid0(SALU_CYCLE_1) | instskip(SKIP_2) | instid1(VALU_DEP_1)
	s_or_b32 exec_lo, exec_lo, s20
	v_lshrrev_b16 v7, 8, v102
	s_mov_b32 s20, exec_lo
	v_cmpx_ne_u16_e32 0, v7
	s_cbranch_execz .LBB298_112
; %bb.105:                              ;   in Loop: Header=BB298_13 Depth=1
	v_bfrev_b32_e32 v100, 1
	s_mov_b32 s21, exec_lo
	v_cmpx_ne_u16_e32 0x80, v7
	s_cbranch_execz .LBB298_111
; %bb.106:                              ;   in Loop: Header=BB298_13 Depth=1
	v_and_b32_e32 v102, 0xffff, v7
	v_mov_b32_e32 v100, 0x7fc02000
	s_mov_b32 s22, exec_lo
	s_delay_alu instid0(VALU_DEP_2) | instskip(NEXT) | instid1(VALU_DEP_1)
	v_and_b32_e32 v103, 0x7f, v102
	v_cmpx_ne_u32_e32 0x7f, v103
	s_cbranch_execz .LBB298_110
; %bb.107:                              ;   in Loop: Header=BB298_13 Depth=1
	v_and_b32_e32 v7, 7, v102
	v_lshrrev_b32_e32 v100, 3, v103
	s_mov_b32 s23, exec_lo
	v_cmpx_gt_u32_e32 8, v103
; %bb.108:                              ;   in Loop: Header=BB298_13 Depth=1
	s_delay_alu instid0(VALU_DEP_3) | instskip(NEXT) | instid1(VALU_DEP_1)
	v_clz_i32_u32_e32 v100, v7
	v_min_u32_e32 v100, 32, v100
	s_delay_alu instid0(VALU_DEP_1) | instskip(SKIP_1) | instid1(VALU_DEP_2)
	v_subrev_nc_u32_e32 v103, 28, v100
	v_sub_nc_u32_e32 v100, 29, v100
	v_lshlrev_b64 v[112:113], v103, v[7:8]
	s_delay_alu instid0(VALU_DEP_1)
	v_and_b32_e32 v7, 7, v112
; %bb.109:                              ;   in Loop: Header=BB298_13 Depth=1
	s_or_b32 exec_lo, exec_lo, s23
	v_lshlrev_b32_e32 v102, 8, v102
	v_lshl_add_u32 v100, v100, 10, 0x2000
	s_delay_alu instid0(VALU_DEP_1) | instskip(NEXT) | instid1(VALU_DEP_1)
	v_and_or_b32 v100, 0x8000, v102, v100
	v_lshl_or_b32 v7, v7, 7, v100
	s_delay_alu instid0(VALU_DEP_1)
	v_cvt_f32_f16_e32 v100, v7
.LBB298_110:                            ;   in Loop: Header=BB298_13 Depth=1
	s_or_b32 exec_lo, exec_lo, s22
.LBB298_111:                            ;   in Loop: Header=BB298_13 Depth=1
	s_delay_alu instid0(SALU_CYCLE_1)
	s_or_b32 exec_lo, exec_lo, s21
.LBB298_112:                            ;   in Loop: Header=BB298_13 Depth=1
	s_delay_alu instid0(SALU_CYCLE_1) | instskip(SKIP_4) | instid1(VALU_DEP_2)
	s_or_b32 exec_lo, exec_lo, s20
	flat_load_u16 v7, v[31:32] offset:384
	s_waitcnt vmcnt(0) lgkmcnt(0)
	v_dual_mov_b32 v102, 0 :: v_dual_and_b32 v103, 0xff, v7
	v_and_b32_e32 v112, 0xffff, v7
	v_cmp_ne_u16_e64 s2, 0, v103
	v_mov_b32_e32 v103, 0
	s_delay_alu instid0(VALU_DEP_2)
	s_and_saveexec_b32 s20, s2
	s_cbranch_execz .LBB298_120
; %bb.113:                              ;   in Loop: Header=BB298_13 Depth=1
	v_and_b32_e32 v7, 0xff, v112
	v_bfrev_b32_e32 v103, 1
	s_mov_b32 s21, exec_lo
	s_delay_alu instid0(VALU_DEP_2)
	v_cmpx_ne_u16_e32 0x80, v7
	s_cbranch_execz .LBB298_119
; %bb.114:                              ;   in Loop: Header=BB298_13 Depth=1
	v_and_b32_e32 v113, 0x7f, v112
	v_mov_b32_e32 v103, 0x7fc02000
	s_mov_b32 s22, exec_lo
	s_delay_alu instid0(VALU_DEP_2)
	v_cmpx_ne_u32_e32 0x7f, v113
	s_cbranch_execz .LBB298_118
; %bb.115:                              ;   in Loop: Header=BB298_13 Depth=1
	v_and_b32_e32 v7, 7, v112
	v_lshrrev_b32_e32 v103, 3, v113
	s_mov_b32 s23, exec_lo
	v_cmpx_gt_u32_e32 8, v113
; %bb.116:                              ;   in Loop: Header=BB298_13 Depth=1
	s_delay_alu instid0(VALU_DEP_3) | instskip(NEXT) | instid1(VALU_DEP_1)
	v_clz_i32_u32_e32 v103, v7
	v_min_u32_e32 v103, 32, v103
	s_delay_alu instid0(VALU_DEP_1) | instskip(SKIP_1) | instid1(VALU_DEP_2)
	v_subrev_nc_u32_e32 v113, 28, v103
	v_sub_nc_u32_e32 v103, 29, v103
	v_lshlrev_b64 v[113:114], v113, v[7:8]
	s_delay_alu instid0(VALU_DEP_1)
	v_and_b32_e32 v7, 7, v113
; %bb.117:                              ;   in Loop: Header=BB298_13 Depth=1
	s_or_b32 exec_lo, exec_lo, s23
	v_lshlrev_b32_e32 v113, 8, v112
	v_lshl_add_u32 v103, v103, 10, 0x2000
	s_delay_alu instid0(VALU_DEP_1) | instskip(NEXT) | instid1(VALU_DEP_1)
	v_and_or_b32 v103, 0x8000, v113, v103
	v_lshl_or_b32 v7, v7, 7, v103
	s_delay_alu instid0(VALU_DEP_1)
	v_cvt_f32_f16_e32 v103, v7
.LBB298_118:                            ;   in Loop: Header=BB298_13 Depth=1
	s_or_b32 exec_lo, exec_lo, s22
.LBB298_119:                            ;   in Loop: Header=BB298_13 Depth=1
	s_delay_alu instid0(SALU_CYCLE_1)
	s_or_b32 exec_lo, exec_lo, s21
.LBB298_120:                            ;   in Loop: Header=BB298_13 Depth=1
	s_delay_alu instid0(SALU_CYCLE_1) | instskip(SKIP_2) | instid1(VALU_DEP_1)
	s_or_b32 exec_lo, exec_lo, s20
	v_lshrrev_b16 v7, 8, v112
	s_mov_b32 s20, exec_lo
	v_cmpx_ne_u16_e32 0, v7
	s_cbranch_execz .LBB298_128
; %bb.121:                              ;   in Loop: Header=BB298_13 Depth=1
	v_bfrev_b32_e32 v102, 1
	s_mov_b32 s21, exec_lo
	v_cmpx_ne_u16_e32 0x80, v7
	s_cbranch_execz .LBB298_127
; %bb.122:                              ;   in Loop: Header=BB298_13 Depth=1
	v_and_b32_e32 v112, 0xffff, v7
	v_mov_b32_e32 v102, 0x7fc02000
	s_mov_b32 s22, exec_lo
	s_delay_alu instid0(VALU_DEP_2) | instskip(NEXT) | instid1(VALU_DEP_1)
	v_and_b32_e32 v113, 0x7f, v112
	v_cmpx_ne_u32_e32 0x7f, v113
	s_cbranch_execz .LBB298_126
; %bb.123:                              ;   in Loop: Header=BB298_13 Depth=1
	v_and_b32_e32 v7, 7, v112
	v_lshrrev_b32_e32 v102, 3, v113
	s_mov_b32 s23, exec_lo
	v_cmpx_gt_u32_e32 8, v113
; %bb.124:                              ;   in Loop: Header=BB298_13 Depth=1
	s_delay_alu instid0(VALU_DEP_3) | instskip(NEXT) | instid1(VALU_DEP_1)
	v_clz_i32_u32_e32 v102, v7
	v_min_u32_e32 v102, 32, v102
	s_delay_alu instid0(VALU_DEP_1) | instskip(SKIP_1) | instid1(VALU_DEP_2)
	v_subrev_nc_u32_e32 v113, 28, v102
	v_sub_nc_u32_e32 v102, 29, v102
	v_lshlrev_b64 v[113:114], v113, v[7:8]
	s_delay_alu instid0(VALU_DEP_1)
	v_and_b32_e32 v7, 7, v113
; %bb.125:                              ;   in Loop: Header=BB298_13 Depth=1
	s_or_b32 exec_lo, exec_lo, s23
	v_lshlrev_b32_e32 v112, 8, v112
	v_lshl_add_u32 v102, v102, 10, 0x2000
	s_delay_alu instid0(VALU_DEP_1) | instskip(NEXT) | instid1(VALU_DEP_1)
	v_and_or_b32 v102, 0x8000, v112, v102
	v_lshl_or_b32 v7, v7, 7, v102
	s_delay_alu instid0(VALU_DEP_1)
	v_cvt_f32_f16_e32 v102, v7
.LBB298_126:                            ;   in Loop: Header=BB298_13 Depth=1
	s_or_b32 exec_lo, exec_lo, s22
.LBB298_127:                            ;   in Loop: Header=BB298_13 Depth=1
	s_delay_alu instid0(SALU_CYCLE_1)
	s_or_b32 exec_lo, exec_lo, s21
.LBB298_128:                            ;   in Loop: Header=BB298_13 Depth=1
	s_delay_alu instid0(SALU_CYCLE_1) | instskip(SKIP_4) | instid1(VALU_DEP_2)
	s_or_b32 exec_lo, exec_lo, s20
	flat_load_u16 v7, v[31:32] offset:392
	s_waitcnt vmcnt(0) lgkmcnt(0)
	v_dual_mov_b32 v112, 0 :: v_dual_and_b32 v113, 0xff, v7
	v_and_b32_e32 v114, 0xffff, v7
	v_cmp_ne_u16_e64 s2, 0, v113
	v_mov_b32_e32 v113, 0
	s_delay_alu instid0(VALU_DEP_2)
	s_and_saveexec_b32 s20, s2
	s_cbranch_execz .LBB298_136
; %bb.129:                              ;   in Loop: Header=BB298_13 Depth=1
	v_and_b32_e32 v7, 0xff, v114
	v_bfrev_b32_e32 v113, 1
	s_mov_b32 s21, exec_lo
	s_delay_alu instid0(VALU_DEP_2)
	v_cmpx_ne_u16_e32 0x80, v7
	s_cbranch_execz .LBB298_135
; %bb.130:                              ;   in Loop: Header=BB298_13 Depth=1
	v_and_b32_e32 v115, 0x7f, v114
	v_mov_b32_e32 v113, 0x7fc02000
	s_mov_b32 s22, exec_lo
	s_delay_alu instid0(VALU_DEP_2)
	v_cmpx_ne_u32_e32 0x7f, v115
	s_cbranch_execz .LBB298_134
; %bb.131:                              ;   in Loop: Header=BB298_13 Depth=1
	v_and_b32_e32 v7, 7, v114
	v_lshrrev_b32_e32 v113, 3, v115
	s_mov_b32 s23, exec_lo
	v_cmpx_gt_u32_e32 8, v115
; %bb.132:                              ;   in Loop: Header=BB298_13 Depth=1
	s_delay_alu instid0(VALU_DEP_3) | instskip(NEXT) | instid1(VALU_DEP_1)
	v_clz_i32_u32_e32 v113, v7
	v_min_u32_e32 v113, 32, v113
	s_delay_alu instid0(VALU_DEP_1) | instskip(SKIP_1) | instid1(VALU_DEP_2)
	v_subrev_nc_u32_e32 v115, 28, v113
	v_sub_nc_u32_e32 v113, 29, v113
	v_lshlrev_b64 v[115:116], v115, v[7:8]
	s_delay_alu instid0(VALU_DEP_1)
	v_and_b32_e32 v7, 7, v115
; %bb.133:                              ;   in Loop: Header=BB298_13 Depth=1
	s_or_b32 exec_lo, exec_lo, s23
	v_lshlrev_b32_e32 v115, 8, v114
	v_lshl_add_u32 v113, v113, 10, 0x2000
	s_delay_alu instid0(VALU_DEP_1) | instskip(NEXT) | instid1(VALU_DEP_1)
	v_and_or_b32 v113, 0x8000, v115, v113
	v_lshl_or_b32 v7, v7, 7, v113
	s_delay_alu instid0(VALU_DEP_1)
	v_cvt_f32_f16_e32 v113, v7
.LBB298_134:                            ;   in Loop: Header=BB298_13 Depth=1
	s_or_b32 exec_lo, exec_lo, s22
.LBB298_135:                            ;   in Loop: Header=BB298_13 Depth=1
	s_delay_alu instid0(SALU_CYCLE_1)
	s_or_b32 exec_lo, exec_lo, s21
.LBB298_136:                            ;   in Loop: Header=BB298_13 Depth=1
	s_delay_alu instid0(SALU_CYCLE_1) | instskip(SKIP_2) | instid1(VALU_DEP_1)
	s_or_b32 exec_lo, exec_lo, s20
	v_lshrrev_b16 v7, 8, v114
	s_mov_b32 s20, exec_lo
	v_cmpx_ne_u16_e32 0, v7
	s_cbranch_execz .LBB298_144
; %bb.137:                              ;   in Loop: Header=BB298_13 Depth=1
	v_bfrev_b32_e32 v112, 1
	s_mov_b32 s21, exec_lo
	v_cmpx_ne_u16_e32 0x80, v7
	s_cbranch_execz .LBB298_143
; %bb.138:                              ;   in Loop: Header=BB298_13 Depth=1
	v_and_b32_e32 v114, 0xffff, v7
	v_mov_b32_e32 v112, 0x7fc02000
	s_mov_b32 s22, exec_lo
	s_delay_alu instid0(VALU_DEP_2) | instskip(NEXT) | instid1(VALU_DEP_1)
	v_and_b32_e32 v115, 0x7f, v114
	v_cmpx_ne_u32_e32 0x7f, v115
	s_cbranch_execz .LBB298_142
; %bb.139:                              ;   in Loop: Header=BB298_13 Depth=1
	v_and_b32_e32 v7, 7, v114
	v_lshrrev_b32_e32 v112, 3, v115
	s_mov_b32 s23, exec_lo
	v_cmpx_gt_u32_e32 8, v115
; %bb.140:                              ;   in Loop: Header=BB298_13 Depth=1
	s_delay_alu instid0(VALU_DEP_3) | instskip(NEXT) | instid1(VALU_DEP_1)
	v_clz_i32_u32_e32 v112, v7
	v_min_u32_e32 v112, 32, v112
	s_delay_alu instid0(VALU_DEP_1) | instskip(SKIP_1) | instid1(VALU_DEP_2)
	v_subrev_nc_u32_e32 v115, 28, v112
	v_sub_nc_u32_e32 v112, 29, v112
	v_lshlrev_b64 v[115:116], v115, v[7:8]
	s_delay_alu instid0(VALU_DEP_1)
	v_and_b32_e32 v7, 7, v115
; %bb.141:                              ;   in Loop: Header=BB298_13 Depth=1
	s_or_b32 exec_lo, exec_lo, s23
	v_lshlrev_b32_e32 v114, 8, v114
	v_lshl_add_u32 v112, v112, 10, 0x2000
	s_delay_alu instid0(VALU_DEP_1) | instskip(NEXT) | instid1(VALU_DEP_1)
	v_and_or_b32 v112, 0x8000, v114, v112
	v_lshl_or_b32 v7, v7, 7, v112
	s_delay_alu instid0(VALU_DEP_1)
	v_cvt_f32_f16_e32 v112, v7
.LBB298_142:                            ;   in Loop: Header=BB298_13 Depth=1
	s_or_b32 exec_lo, exec_lo, s22
.LBB298_143:                            ;   in Loop: Header=BB298_13 Depth=1
	s_delay_alu instid0(SALU_CYCLE_1)
	s_or_b32 exec_lo, exec_lo, s21
.LBB298_144:                            ;   in Loop: Header=BB298_13 Depth=1
	s_delay_alu instid0(SALU_CYCLE_1) | instskip(SKIP_4) | instid1(VALU_DEP_2)
	s_or_b32 exec_lo, exec_lo, s20
	flat_load_u16 v7, v[31:32] offset:512
	s_waitcnt vmcnt(0) lgkmcnt(0)
	v_dual_mov_b32 v114, 0 :: v_dual_and_b32 v115, 0xff, v7
	v_and_b32_e32 v116, 0xffff, v7
	v_cmp_ne_u16_e64 s2, 0, v115
	v_mov_b32_e32 v115, 0
	s_delay_alu instid0(VALU_DEP_2)
	s_and_saveexec_b32 s20, s2
	s_cbranch_execz .LBB298_152
; %bb.145:                              ;   in Loop: Header=BB298_13 Depth=1
	v_and_b32_e32 v7, 0xff, v116
	v_bfrev_b32_e32 v115, 1
	s_mov_b32 s21, exec_lo
	s_delay_alu instid0(VALU_DEP_2)
	v_cmpx_ne_u16_e32 0x80, v7
	s_cbranch_execz .LBB298_151
; %bb.146:                              ;   in Loop: Header=BB298_13 Depth=1
	v_and_b32_e32 v117, 0x7f, v116
	v_mov_b32_e32 v115, 0x7fc02000
	s_mov_b32 s22, exec_lo
	s_delay_alu instid0(VALU_DEP_2)
	v_cmpx_ne_u32_e32 0x7f, v117
	s_cbranch_execz .LBB298_150
; %bb.147:                              ;   in Loop: Header=BB298_13 Depth=1
	v_and_b32_e32 v7, 7, v116
	v_lshrrev_b32_e32 v115, 3, v117
	s_mov_b32 s23, exec_lo
	v_cmpx_gt_u32_e32 8, v117
; %bb.148:                              ;   in Loop: Header=BB298_13 Depth=1
	s_delay_alu instid0(VALU_DEP_3) | instskip(NEXT) | instid1(VALU_DEP_1)
	v_clz_i32_u32_e32 v115, v7
	v_min_u32_e32 v115, 32, v115
	s_delay_alu instid0(VALU_DEP_1) | instskip(SKIP_1) | instid1(VALU_DEP_2)
	v_subrev_nc_u32_e32 v117, 28, v115
	v_sub_nc_u32_e32 v115, 29, v115
	v_lshlrev_b64 v[117:118], v117, v[7:8]
	s_delay_alu instid0(VALU_DEP_1)
	v_and_b32_e32 v7, 7, v117
; %bb.149:                              ;   in Loop: Header=BB298_13 Depth=1
	s_or_b32 exec_lo, exec_lo, s23
	v_lshlrev_b32_e32 v117, 8, v116
	v_lshl_add_u32 v115, v115, 10, 0x2000
	s_delay_alu instid0(VALU_DEP_1) | instskip(NEXT) | instid1(VALU_DEP_1)
	v_and_or_b32 v115, 0x8000, v117, v115
	v_lshl_or_b32 v7, v7, 7, v115
	s_delay_alu instid0(VALU_DEP_1)
	v_cvt_f32_f16_e32 v115, v7
.LBB298_150:                            ;   in Loop: Header=BB298_13 Depth=1
	s_or_b32 exec_lo, exec_lo, s22
.LBB298_151:                            ;   in Loop: Header=BB298_13 Depth=1
	s_delay_alu instid0(SALU_CYCLE_1)
	s_or_b32 exec_lo, exec_lo, s21
.LBB298_152:                            ;   in Loop: Header=BB298_13 Depth=1
	s_delay_alu instid0(SALU_CYCLE_1) | instskip(SKIP_2) | instid1(VALU_DEP_1)
	s_or_b32 exec_lo, exec_lo, s20
	v_lshrrev_b16 v7, 8, v116
	s_mov_b32 s20, exec_lo
	v_cmpx_ne_u16_e32 0, v7
	s_cbranch_execz .LBB298_160
; %bb.153:                              ;   in Loop: Header=BB298_13 Depth=1
	v_bfrev_b32_e32 v114, 1
	s_mov_b32 s21, exec_lo
	v_cmpx_ne_u16_e32 0x80, v7
	s_cbranch_execz .LBB298_159
; %bb.154:                              ;   in Loop: Header=BB298_13 Depth=1
	v_and_b32_e32 v116, 0xffff, v7
	v_mov_b32_e32 v114, 0x7fc02000
	s_mov_b32 s22, exec_lo
	s_delay_alu instid0(VALU_DEP_2) | instskip(NEXT) | instid1(VALU_DEP_1)
	v_and_b32_e32 v117, 0x7f, v116
	v_cmpx_ne_u32_e32 0x7f, v117
	s_cbranch_execz .LBB298_158
; %bb.155:                              ;   in Loop: Header=BB298_13 Depth=1
	v_and_b32_e32 v7, 7, v116
	v_lshrrev_b32_e32 v114, 3, v117
	s_mov_b32 s23, exec_lo
	v_cmpx_gt_u32_e32 8, v117
; %bb.156:                              ;   in Loop: Header=BB298_13 Depth=1
	s_delay_alu instid0(VALU_DEP_3) | instskip(NEXT) | instid1(VALU_DEP_1)
	v_clz_i32_u32_e32 v114, v7
	v_min_u32_e32 v114, 32, v114
	s_delay_alu instid0(VALU_DEP_1) | instskip(SKIP_1) | instid1(VALU_DEP_2)
	v_subrev_nc_u32_e32 v117, 28, v114
	v_sub_nc_u32_e32 v114, 29, v114
	v_lshlrev_b64 v[117:118], v117, v[7:8]
	s_delay_alu instid0(VALU_DEP_1)
	v_and_b32_e32 v7, 7, v117
; %bb.157:                              ;   in Loop: Header=BB298_13 Depth=1
	s_or_b32 exec_lo, exec_lo, s23
	v_lshlrev_b32_e32 v116, 8, v116
	v_lshl_add_u32 v114, v114, 10, 0x2000
	s_delay_alu instid0(VALU_DEP_1) | instskip(NEXT) | instid1(VALU_DEP_1)
	v_and_or_b32 v114, 0x8000, v116, v114
	v_lshl_or_b32 v7, v7, 7, v114
	s_delay_alu instid0(VALU_DEP_1)
	v_cvt_f32_f16_e32 v114, v7
.LBB298_158:                            ;   in Loop: Header=BB298_13 Depth=1
	s_or_b32 exec_lo, exec_lo, s22
.LBB298_159:                            ;   in Loop: Header=BB298_13 Depth=1
	s_delay_alu instid0(SALU_CYCLE_1)
	s_or_b32 exec_lo, exec_lo, s21
.LBB298_160:                            ;   in Loop: Header=BB298_13 Depth=1
	s_delay_alu instid0(SALU_CYCLE_1) | instskip(SKIP_4) | instid1(VALU_DEP_2)
	s_or_b32 exec_lo, exec_lo, s20
	flat_load_u16 v7, v[31:32] offset:520
	s_waitcnt vmcnt(0) lgkmcnt(0)
	v_dual_mov_b32 v116, 0 :: v_dual_and_b32 v117, 0xff, v7
	v_and_b32_e32 v118, 0xffff, v7
	v_cmp_ne_u16_e64 s2, 0, v117
	v_mov_b32_e32 v117, 0
	s_delay_alu instid0(VALU_DEP_2)
	s_and_saveexec_b32 s20, s2
	s_cbranch_execz .LBB298_168
; %bb.161:                              ;   in Loop: Header=BB298_13 Depth=1
	v_and_b32_e32 v7, 0xff, v118
	v_bfrev_b32_e32 v117, 1
	s_mov_b32 s21, exec_lo
	s_delay_alu instid0(VALU_DEP_2)
	v_cmpx_ne_u16_e32 0x80, v7
	s_cbranch_execz .LBB298_167
; %bb.162:                              ;   in Loop: Header=BB298_13 Depth=1
	v_and_b32_e32 v119, 0x7f, v118
	v_mov_b32_e32 v117, 0x7fc02000
	s_mov_b32 s22, exec_lo
	s_delay_alu instid0(VALU_DEP_2)
	v_cmpx_ne_u32_e32 0x7f, v119
	s_cbranch_execz .LBB298_166
; %bb.163:                              ;   in Loop: Header=BB298_13 Depth=1
	v_and_b32_e32 v7, 7, v118
	v_lshrrev_b32_e32 v117, 3, v119
	s_mov_b32 s23, exec_lo
	v_cmpx_gt_u32_e32 8, v119
; %bb.164:                              ;   in Loop: Header=BB298_13 Depth=1
	s_delay_alu instid0(VALU_DEP_3) | instskip(NEXT) | instid1(VALU_DEP_1)
	v_clz_i32_u32_e32 v117, v7
	v_min_u32_e32 v117, 32, v117
	s_delay_alu instid0(VALU_DEP_1) | instskip(SKIP_1) | instid1(VALU_DEP_2)
	v_subrev_nc_u32_e32 v119, 28, v117
	v_sub_nc_u32_e32 v117, 29, v117
	v_lshlrev_b64 v[128:129], v119, v[7:8]
	s_delay_alu instid0(VALU_DEP_1)
	v_and_b32_e32 v7, 7, v128
; %bb.165:                              ;   in Loop: Header=BB298_13 Depth=1
	s_or_b32 exec_lo, exec_lo, s23
	v_lshlrev_b32_e32 v119, 8, v118
	v_lshl_add_u32 v117, v117, 10, 0x2000
	s_delay_alu instid0(VALU_DEP_1) | instskip(NEXT) | instid1(VALU_DEP_1)
	v_and_or_b32 v117, 0x8000, v119, v117
	v_lshl_or_b32 v7, v7, 7, v117
	s_delay_alu instid0(VALU_DEP_1)
	v_cvt_f32_f16_e32 v117, v7
.LBB298_166:                            ;   in Loop: Header=BB298_13 Depth=1
	s_or_b32 exec_lo, exec_lo, s22
.LBB298_167:                            ;   in Loop: Header=BB298_13 Depth=1
	s_delay_alu instid0(SALU_CYCLE_1)
	s_or_b32 exec_lo, exec_lo, s21
.LBB298_168:                            ;   in Loop: Header=BB298_13 Depth=1
	s_delay_alu instid0(SALU_CYCLE_1) | instskip(SKIP_2) | instid1(VALU_DEP_1)
	s_or_b32 exec_lo, exec_lo, s20
	v_lshrrev_b16 v7, 8, v118
	s_mov_b32 s20, exec_lo
	v_cmpx_ne_u16_e32 0, v7
	s_cbranch_execz .LBB298_176
; %bb.169:                              ;   in Loop: Header=BB298_13 Depth=1
	v_bfrev_b32_e32 v116, 1
	s_mov_b32 s21, exec_lo
	v_cmpx_ne_u16_e32 0x80, v7
	s_cbranch_execz .LBB298_175
; %bb.170:                              ;   in Loop: Header=BB298_13 Depth=1
	v_and_b32_e32 v118, 0xffff, v7
	v_mov_b32_e32 v116, 0x7fc02000
	s_mov_b32 s22, exec_lo
	s_delay_alu instid0(VALU_DEP_2) | instskip(NEXT) | instid1(VALU_DEP_1)
	v_and_b32_e32 v119, 0x7f, v118
	v_cmpx_ne_u32_e32 0x7f, v119
	s_cbranch_execz .LBB298_174
; %bb.171:                              ;   in Loop: Header=BB298_13 Depth=1
	v_and_b32_e32 v7, 7, v118
	v_lshrrev_b32_e32 v116, 3, v119
	s_mov_b32 s23, exec_lo
	v_cmpx_gt_u32_e32 8, v119
; %bb.172:                              ;   in Loop: Header=BB298_13 Depth=1
	s_delay_alu instid0(VALU_DEP_3) | instskip(NEXT) | instid1(VALU_DEP_1)
	v_clz_i32_u32_e32 v116, v7
	v_min_u32_e32 v116, 32, v116
	s_delay_alu instid0(VALU_DEP_1) | instskip(SKIP_1) | instid1(VALU_DEP_2)
	v_subrev_nc_u32_e32 v119, 28, v116
	v_sub_nc_u32_e32 v116, 29, v116
	v_lshlrev_b64 v[128:129], v119, v[7:8]
	s_delay_alu instid0(VALU_DEP_1)
	v_and_b32_e32 v7, 7, v128
; %bb.173:                              ;   in Loop: Header=BB298_13 Depth=1
	s_or_b32 exec_lo, exec_lo, s23
	v_lshlrev_b32_e32 v118, 8, v118
	v_lshl_add_u32 v116, v116, 10, 0x2000
	s_delay_alu instid0(VALU_DEP_1) | instskip(NEXT) | instid1(VALU_DEP_1)
	v_and_or_b32 v116, 0x8000, v118, v116
	v_lshl_or_b32 v7, v7, 7, v116
	s_delay_alu instid0(VALU_DEP_1)
	v_cvt_f32_f16_e32 v116, v7
.LBB298_174:                            ;   in Loop: Header=BB298_13 Depth=1
	s_or_b32 exec_lo, exec_lo, s22
.LBB298_175:                            ;   in Loop: Header=BB298_13 Depth=1
	s_delay_alu instid0(SALU_CYCLE_1)
	s_or_b32 exec_lo, exec_lo, s21
.LBB298_176:                            ;   in Loop: Header=BB298_13 Depth=1
	s_delay_alu instid0(SALU_CYCLE_1) | instskip(SKIP_4) | instid1(VALU_DEP_2)
	s_or_b32 exec_lo, exec_lo, s20
	flat_load_u16 v7, v[31:32] offset:640
	s_waitcnt vmcnt(0) lgkmcnt(0)
	v_dual_mov_b32 v118, 0 :: v_dual_and_b32 v119, 0xff, v7
	v_and_b32_e32 v128, 0xffff, v7
	v_cmp_ne_u16_e64 s2, 0, v119
	v_mov_b32_e32 v119, 0
	s_delay_alu instid0(VALU_DEP_2)
	s_and_saveexec_b32 s20, s2
	s_cbranch_execz .LBB298_184
; %bb.177:                              ;   in Loop: Header=BB298_13 Depth=1
	v_and_b32_e32 v7, 0xff, v128
	v_bfrev_b32_e32 v119, 1
	s_mov_b32 s21, exec_lo
	s_delay_alu instid0(VALU_DEP_2)
	v_cmpx_ne_u16_e32 0x80, v7
	s_cbranch_execz .LBB298_183
; %bb.178:                              ;   in Loop: Header=BB298_13 Depth=1
	v_and_b32_e32 v129, 0x7f, v128
	v_mov_b32_e32 v119, 0x7fc02000
	s_mov_b32 s22, exec_lo
	s_delay_alu instid0(VALU_DEP_2)
	v_cmpx_ne_u32_e32 0x7f, v129
	s_cbranch_execz .LBB298_182
; %bb.179:                              ;   in Loop: Header=BB298_13 Depth=1
	v_and_b32_e32 v7, 7, v128
	v_lshrrev_b32_e32 v119, 3, v129
	s_mov_b32 s23, exec_lo
	v_cmpx_gt_u32_e32 8, v129
; %bb.180:                              ;   in Loop: Header=BB298_13 Depth=1
	s_delay_alu instid0(VALU_DEP_3) | instskip(NEXT) | instid1(VALU_DEP_1)
	v_clz_i32_u32_e32 v119, v7
	v_min_u32_e32 v119, 32, v119
	s_delay_alu instid0(VALU_DEP_1) | instskip(SKIP_1) | instid1(VALU_DEP_2)
	v_subrev_nc_u32_e32 v129, 28, v119
	v_sub_nc_u32_e32 v119, 29, v119
	v_lshlrev_b64 v[129:130], v129, v[7:8]
	s_delay_alu instid0(VALU_DEP_1)
	v_and_b32_e32 v7, 7, v129
; %bb.181:                              ;   in Loop: Header=BB298_13 Depth=1
	s_or_b32 exec_lo, exec_lo, s23
	v_lshlrev_b32_e32 v129, 8, v128
	v_lshl_add_u32 v119, v119, 10, 0x2000
	s_delay_alu instid0(VALU_DEP_1) | instskip(NEXT) | instid1(VALU_DEP_1)
	v_and_or_b32 v119, 0x8000, v129, v119
	v_lshl_or_b32 v7, v7, 7, v119
	s_delay_alu instid0(VALU_DEP_1)
	v_cvt_f32_f16_e32 v119, v7
.LBB298_182:                            ;   in Loop: Header=BB298_13 Depth=1
	s_or_b32 exec_lo, exec_lo, s22
.LBB298_183:                            ;   in Loop: Header=BB298_13 Depth=1
	s_delay_alu instid0(SALU_CYCLE_1)
	s_or_b32 exec_lo, exec_lo, s21
.LBB298_184:                            ;   in Loop: Header=BB298_13 Depth=1
	s_delay_alu instid0(SALU_CYCLE_1) | instskip(SKIP_2) | instid1(VALU_DEP_1)
	s_or_b32 exec_lo, exec_lo, s20
	v_lshrrev_b16 v7, 8, v128
	s_mov_b32 s20, exec_lo
	v_cmpx_ne_u16_e32 0, v7
	s_cbranch_execz .LBB298_192
; %bb.185:                              ;   in Loop: Header=BB298_13 Depth=1
	v_bfrev_b32_e32 v118, 1
	s_mov_b32 s21, exec_lo
	v_cmpx_ne_u16_e32 0x80, v7
	s_cbranch_execz .LBB298_191
; %bb.186:                              ;   in Loop: Header=BB298_13 Depth=1
	v_and_b32_e32 v128, 0xffff, v7
	v_mov_b32_e32 v118, 0x7fc02000
	s_mov_b32 s22, exec_lo
	s_delay_alu instid0(VALU_DEP_2) | instskip(NEXT) | instid1(VALU_DEP_1)
	v_and_b32_e32 v129, 0x7f, v128
	v_cmpx_ne_u32_e32 0x7f, v129
	s_cbranch_execz .LBB298_190
; %bb.187:                              ;   in Loop: Header=BB298_13 Depth=1
	v_and_b32_e32 v7, 7, v128
	v_lshrrev_b32_e32 v118, 3, v129
	s_mov_b32 s23, exec_lo
	v_cmpx_gt_u32_e32 8, v129
; %bb.188:                              ;   in Loop: Header=BB298_13 Depth=1
	s_delay_alu instid0(VALU_DEP_3) | instskip(NEXT) | instid1(VALU_DEP_1)
	v_clz_i32_u32_e32 v118, v7
	v_min_u32_e32 v118, 32, v118
	s_delay_alu instid0(VALU_DEP_1) | instskip(SKIP_1) | instid1(VALU_DEP_2)
	v_subrev_nc_u32_e32 v129, 28, v118
	v_sub_nc_u32_e32 v118, 29, v118
	v_lshlrev_b64 v[129:130], v129, v[7:8]
	s_delay_alu instid0(VALU_DEP_1)
	v_and_b32_e32 v7, 7, v129
; %bb.189:                              ;   in Loop: Header=BB298_13 Depth=1
	s_or_b32 exec_lo, exec_lo, s23
	v_lshlrev_b32_e32 v128, 8, v128
	v_lshl_add_u32 v118, v118, 10, 0x2000
	s_delay_alu instid0(VALU_DEP_1) | instskip(NEXT) | instid1(VALU_DEP_1)
	v_and_or_b32 v118, 0x8000, v128, v118
	v_lshl_or_b32 v7, v7, 7, v118
	s_delay_alu instid0(VALU_DEP_1)
	v_cvt_f32_f16_e32 v118, v7
.LBB298_190:                            ;   in Loop: Header=BB298_13 Depth=1
	s_or_b32 exec_lo, exec_lo, s22
.LBB298_191:                            ;   in Loop: Header=BB298_13 Depth=1
	s_delay_alu instid0(SALU_CYCLE_1)
	s_or_b32 exec_lo, exec_lo, s21
.LBB298_192:                            ;   in Loop: Header=BB298_13 Depth=1
	s_delay_alu instid0(SALU_CYCLE_1) | instskip(SKIP_4) | instid1(VALU_DEP_2)
	s_or_b32 exec_lo, exec_lo, s20
	flat_load_u16 v7, v[31:32] offset:648
	s_waitcnt vmcnt(0) lgkmcnt(0)
	v_dual_mov_b32 v128, 0 :: v_dual_and_b32 v129, 0xff, v7
	v_and_b32_e32 v130, 0xffff, v7
	v_cmp_ne_u16_e64 s2, 0, v129
	v_mov_b32_e32 v129, 0
	s_delay_alu instid0(VALU_DEP_2)
	s_and_saveexec_b32 s20, s2
	s_cbranch_execz .LBB298_200
; %bb.193:                              ;   in Loop: Header=BB298_13 Depth=1
	v_and_b32_e32 v7, 0xff, v130
	v_bfrev_b32_e32 v129, 1
	s_mov_b32 s21, exec_lo
	s_delay_alu instid0(VALU_DEP_2)
	v_cmpx_ne_u16_e32 0x80, v7
	s_cbranch_execz .LBB298_199
; %bb.194:                              ;   in Loop: Header=BB298_13 Depth=1
	v_and_b32_e32 v131, 0x7f, v130
	v_mov_b32_e32 v129, 0x7fc02000
	s_mov_b32 s22, exec_lo
	s_delay_alu instid0(VALU_DEP_2)
	v_cmpx_ne_u32_e32 0x7f, v131
	s_cbranch_execz .LBB298_198
; %bb.195:                              ;   in Loop: Header=BB298_13 Depth=1
	v_and_b32_e32 v7, 7, v130
	v_lshrrev_b32_e32 v129, 3, v131
	s_mov_b32 s23, exec_lo
	v_cmpx_gt_u32_e32 8, v131
; %bb.196:                              ;   in Loop: Header=BB298_13 Depth=1
	s_delay_alu instid0(VALU_DEP_3) | instskip(NEXT) | instid1(VALU_DEP_1)
	v_clz_i32_u32_e32 v129, v7
	v_min_u32_e32 v129, 32, v129
	s_delay_alu instid0(VALU_DEP_1) | instskip(SKIP_1) | instid1(VALU_DEP_2)
	v_subrev_nc_u32_e32 v131, 28, v129
	v_sub_nc_u32_e32 v129, 29, v129
	v_lshlrev_b64 v[131:132], v131, v[7:8]
	s_delay_alu instid0(VALU_DEP_1)
	v_and_b32_e32 v7, 7, v131
; %bb.197:                              ;   in Loop: Header=BB298_13 Depth=1
	s_or_b32 exec_lo, exec_lo, s23
	v_lshlrev_b32_e32 v131, 8, v130
	v_lshl_add_u32 v129, v129, 10, 0x2000
	s_delay_alu instid0(VALU_DEP_1) | instskip(NEXT) | instid1(VALU_DEP_1)
	v_and_or_b32 v129, 0x8000, v131, v129
	v_lshl_or_b32 v7, v7, 7, v129
	s_delay_alu instid0(VALU_DEP_1)
	v_cvt_f32_f16_e64 v129, v7
.LBB298_198:                            ;   in Loop: Header=BB298_13 Depth=1
	s_or_b32 exec_lo, exec_lo, s22
.LBB298_199:                            ;   in Loop: Header=BB298_13 Depth=1
	s_delay_alu instid0(SALU_CYCLE_1)
	s_or_b32 exec_lo, exec_lo, s21
.LBB298_200:                            ;   in Loop: Header=BB298_13 Depth=1
	s_delay_alu instid0(SALU_CYCLE_1) | instskip(SKIP_2) | instid1(VALU_DEP_1)
	s_or_b32 exec_lo, exec_lo, s20
	v_lshrrev_b16 v7, 8, v130
	s_mov_b32 s20, exec_lo
	v_cmpx_ne_u16_e32 0, v7
	s_cbranch_execz .LBB298_208
; %bb.201:                              ;   in Loop: Header=BB298_13 Depth=1
	v_bfrev_b32_e32 v128, 1
	s_mov_b32 s21, exec_lo
	v_cmpx_ne_u16_e32 0x80, v7
	s_cbranch_execz .LBB298_207
; %bb.202:                              ;   in Loop: Header=BB298_13 Depth=1
	v_and_b32_e32 v130, 0xffff, v7
	v_mov_b32_e32 v128, 0x7fc02000
	s_mov_b32 s22, exec_lo
	s_delay_alu instid0(VALU_DEP_2) | instskip(NEXT) | instid1(VALU_DEP_1)
	v_and_b32_e32 v131, 0x7f, v130
	v_cmpx_ne_u32_e32 0x7f, v131
	s_cbranch_execz .LBB298_206
; %bb.203:                              ;   in Loop: Header=BB298_13 Depth=1
	v_and_b32_e32 v7, 7, v130
	v_lshrrev_b32_e32 v128, 3, v131
	s_mov_b32 s23, exec_lo
	v_cmpx_gt_u32_e32 8, v131
; %bb.204:                              ;   in Loop: Header=BB298_13 Depth=1
	s_delay_alu instid0(VALU_DEP_3) | instskip(NEXT) | instid1(VALU_DEP_1)
	v_clz_i32_u32_e32 v128, v7
	v_min_u32_e32 v128, 32, v128
	s_delay_alu instid0(VALU_DEP_1) | instskip(SKIP_1) | instid1(VALU_DEP_2)
	v_subrev_nc_u32_e32 v131, 28, v128
	v_sub_nc_u32_e32 v128, 29, v128
	v_lshlrev_b64 v[131:132], v131, v[7:8]
	s_delay_alu instid0(VALU_DEP_1)
	v_and_b32_e32 v7, 7, v131
; %bb.205:                              ;   in Loop: Header=BB298_13 Depth=1
	s_or_b32 exec_lo, exec_lo, s23
	v_lshlrev_b32_e32 v130, 8, v130
	v_lshl_add_u32 v128, v128, 10, 0x2000
	s_delay_alu instid0(VALU_DEP_1) | instskip(NEXT) | instid1(VALU_DEP_1)
	v_and_or_b32 v128, 0x8000, v130, v128
	v_lshl_or_b32 v7, v7, 7, v128
	s_delay_alu instid0(VALU_DEP_1)
	v_cvt_f32_f16_e64 v128, v7
.LBB298_206:                            ;   in Loop: Header=BB298_13 Depth=1
	s_or_b32 exec_lo, exec_lo, s22
.LBB298_207:                            ;   in Loop: Header=BB298_13 Depth=1
	s_delay_alu instid0(SALU_CYCLE_1)
	s_or_b32 exec_lo, exec_lo, s21
.LBB298_208:                            ;   in Loop: Header=BB298_13 Depth=1
	s_delay_alu instid0(SALU_CYCLE_1) | instskip(SKIP_4) | instid1(VALU_DEP_2)
	s_or_b32 exec_lo, exec_lo, s20
	flat_load_u16 v7, v[31:32] offset:768
	s_waitcnt vmcnt(0) lgkmcnt(0)
	v_dual_mov_b32 v130, 0 :: v_dual_and_b32 v131, 0xff, v7
	v_and_b32_e32 v132, 0xffff, v7
	v_cmp_ne_u16_e64 s2, 0, v131
	v_mov_b32_e32 v131, 0
	s_delay_alu instid0(VALU_DEP_2)
	s_and_saveexec_b32 s20, s2
	s_cbranch_execz .LBB298_216
; %bb.209:                              ;   in Loop: Header=BB298_13 Depth=1
	v_and_b32_e32 v7, 0xff, v132
	v_bfrev_b32_e32 v131, 1
	s_mov_b32 s21, exec_lo
	s_delay_alu instid0(VALU_DEP_2)
	v_cmpx_ne_u16_e32 0x80, v7
	s_cbranch_execz .LBB298_215
; %bb.210:                              ;   in Loop: Header=BB298_13 Depth=1
	v_and_b32_e32 v133, 0x7f, v132
	v_mov_b32_e32 v131, 0x7fc02000
	s_mov_b32 s22, exec_lo
	s_delay_alu instid0(VALU_DEP_2)
	v_cmpx_ne_u32_e32 0x7f, v133
	s_cbranch_execz .LBB298_214
; %bb.211:                              ;   in Loop: Header=BB298_13 Depth=1
	v_and_b32_e32 v7, 7, v132
	v_lshrrev_b32_e32 v131, 3, v133
	s_mov_b32 s23, exec_lo
	v_cmpx_gt_u32_e32 8, v133
; %bb.212:                              ;   in Loop: Header=BB298_13 Depth=1
	s_delay_alu instid0(VALU_DEP_3) | instskip(NEXT) | instid1(VALU_DEP_1)
	v_clz_i32_u32_e32 v131, v7
	v_min_u32_e32 v131, 32, v131
	s_delay_alu instid0(VALU_DEP_1) | instskip(SKIP_1) | instid1(VALU_DEP_2)
	v_subrev_nc_u32_e32 v133, 28, v131
	v_sub_nc_u32_e32 v131, 29, v131
	v_lshlrev_b64 v[133:134], v133, v[7:8]
	s_delay_alu instid0(VALU_DEP_1)
	v_and_b32_e32 v7, 7, v133
; %bb.213:                              ;   in Loop: Header=BB298_13 Depth=1
	s_or_b32 exec_lo, exec_lo, s23
	v_lshlrev_b32_e32 v133, 8, v132
	v_lshl_add_u32 v131, v131, 10, 0x2000
	s_delay_alu instid0(VALU_DEP_1) | instskip(NEXT) | instid1(VALU_DEP_1)
	v_and_or_b32 v131, 0x8000, v133, v131
	v_lshl_or_b32 v7, v7, 7, v131
	s_delay_alu instid0(VALU_DEP_1)
	v_cvt_f32_f16_e64 v131, v7
.LBB298_214:                            ;   in Loop: Header=BB298_13 Depth=1
	s_or_b32 exec_lo, exec_lo, s22
.LBB298_215:                            ;   in Loop: Header=BB298_13 Depth=1
	s_delay_alu instid0(SALU_CYCLE_1)
	s_or_b32 exec_lo, exec_lo, s21
.LBB298_216:                            ;   in Loop: Header=BB298_13 Depth=1
	s_delay_alu instid0(SALU_CYCLE_1) | instskip(SKIP_2) | instid1(VALU_DEP_1)
	s_or_b32 exec_lo, exec_lo, s20
	v_lshrrev_b16 v7, 8, v132
	s_mov_b32 s20, exec_lo
	v_cmpx_ne_u16_e32 0, v7
	s_cbranch_execz .LBB298_224
; %bb.217:                              ;   in Loop: Header=BB298_13 Depth=1
	v_bfrev_b32_e32 v130, 1
	s_mov_b32 s21, exec_lo
	v_cmpx_ne_u16_e32 0x80, v7
	s_cbranch_execz .LBB298_223
; %bb.218:                              ;   in Loop: Header=BB298_13 Depth=1
	v_and_b32_e32 v132, 0xffff, v7
	v_mov_b32_e32 v130, 0x7fc02000
	s_mov_b32 s22, exec_lo
	s_delay_alu instid0(VALU_DEP_2) | instskip(NEXT) | instid1(VALU_DEP_1)
	v_and_b32_e32 v133, 0x7f, v132
	v_cmpx_ne_u32_e32 0x7f, v133
	s_cbranch_execz .LBB298_222
; %bb.219:                              ;   in Loop: Header=BB298_13 Depth=1
	v_and_b32_e32 v7, 7, v132
	v_lshrrev_b32_e32 v130, 3, v133
	s_mov_b32 s23, exec_lo
	v_cmpx_gt_u32_e32 8, v133
; %bb.220:                              ;   in Loop: Header=BB298_13 Depth=1
	s_delay_alu instid0(VALU_DEP_3) | instskip(NEXT) | instid1(VALU_DEP_1)
	v_clz_i32_u32_e32 v130, v7
	v_min_u32_e32 v130, 32, v130
	s_delay_alu instid0(VALU_DEP_1) | instskip(SKIP_1) | instid1(VALU_DEP_2)
	v_subrev_nc_u32_e32 v133, 28, v130
	v_sub_nc_u32_e32 v130, 29, v130
	v_lshlrev_b64 v[133:134], v133, v[7:8]
	s_delay_alu instid0(VALU_DEP_1)
	v_and_b32_e32 v7, 7, v133
; %bb.221:                              ;   in Loop: Header=BB298_13 Depth=1
	s_or_b32 exec_lo, exec_lo, s23
	v_lshlrev_b32_e32 v132, 8, v132
	v_lshl_add_u32 v130, v130, 10, 0x2000
	s_delay_alu instid0(VALU_DEP_1) | instskip(NEXT) | instid1(VALU_DEP_1)
	v_and_or_b32 v130, 0x8000, v132, v130
	v_lshl_or_b32 v7, v7, 7, v130
	s_delay_alu instid0(VALU_DEP_1)
	v_cvt_f32_f16_e64 v130, v7
.LBB298_222:                            ;   in Loop: Header=BB298_13 Depth=1
	s_or_b32 exec_lo, exec_lo, s22
.LBB298_223:                            ;   in Loop: Header=BB298_13 Depth=1
	s_delay_alu instid0(SALU_CYCLE_1)
	s_or_b32 exec_lo, exec_lo, s21
.LBB298_224:                            ;   in Loop: Header=BB298_13 Depth=1
	s_delay_alu instid0(SALU_CYCLE_1) | instskip(SKIP_4) | instid1(VALU_DEP_2)
	s_or_b32 exec_lo, exec_lo, s20
	flat_load_u16 v7, v[31:32] offset:776
	s_waitcnt vmcnt(0) lgkmcnt(0)
	v_dual_mov_b32 v132, 0 :: v_dual_and_b32 v133, 0xff, v7
	v_and_b32_e32 v134, 0xffff, v7
	v_cmp_ne_u16_e64 s2, 0, v133
	v_mov_b32_e32 v133, 0
	s_delay_alu instid0(VALU_DEP_2)
	s_and_saveexec_b32 s20, s2
	s_cbranch_execz .LBB298_232
; %bb.225:                              ;   in Loop: Header=BB298_13 Depth=1
	v_and_b32_e32 v7, 0xff, v134
	v_bfrev_b32_e32 v133, 1
	s_mov_b32 s21, exec_lo
	s_delay_alu instid0(VALU_DEP_2)
	v_cmpx_ne_u16_e32 0x80, v7
	s_cbranch_execz .LBB298_231
; %bb.226:                              ;   in Loop: Header=BB298_13 Depth=1
	v_and_b32_e32 v135, 0x7f, v134
	v_mov_b32_e32 v133, 0x7fc02000
	s_mov_b32 s22, exec_lo
	s_delay_alu instid0(VALU_DEP_2)
	v_cmpx_ne_u32_e32 0x7f, v135
	s_cbranch_execz .LBB298_230
; %bb.227:                              ;   in Loop: Header=BB298_13 Depth=1
	v_and_b32_e32 v7, 7, v134
	v_lshrrev_b32_e32 v133, 3, v135
	s_mov_b32 s23, exec_lo
	v_cmpx_gt_u32_e32 8, v135
; %bb.228:                              ;   in Loop: Header=BB298_13 Depth=1
	s_delay_alu instid0(VALU_DEP_3) | instskip(NEXT) | instid1(VALU_DEP_1)
	v_clz_i32_u32_e32 v133, v7
	v_min_u32_e32 v133, 32, v133
	s_delay_alu instid0(VALU_DEP_1) | instskip(SKIP_1) | instid1(VALU_DEP_2)
	v_subrev_nc_u32_e32 v135, 28, v133
	v_sub_nc_u32_e32 v133, 29, v133
	v_lshlrev_b64 v[144:145], v135, v[7:8]
	s_delay_alu instid0(VALU_DEP_1)
	v_and_b32_e32 v7, 7, v144
; %bb.229:                              ;   in Loop: Header=BB298_13 Depth=1
	s_or_b32 exec_lo, exec_lo, s23
	v_lshlrev_b32_e32 v135, 8, v134
	v_lshl_add_u32 v133, v133, 10, 0x2000
	s_delay_alu instid0(VALU_DEP_1) | instskip(NEXT) | instid1(VALU_DEP_1)
	v_and_or_b32 v133, 0x8000, v135, v133
	v_lshl_or_b32 v7, v7, 7, v133
	s_delay_alu instid0(VALU_DEP_1)
	v_cvt_f32_f16_e64 v133, v7
.LBB298_230:                            ;   in Loop: Header=BB298_13 Depth=1
	s_or_b32 exec_lo, exec_lo, s22
.LBB298_231:                            ;   in Loop: Header=BB298_13 Depth=1
	s_delay_alu instid0(SALU_CYCLE_1)
	s_or_b32 exec_lo, exec_lo, s21
.LBB298_232:                            ;   in Loop: Header=BB298_13 Depth=1
	s_delay_alu instid0(SALU_CYCLE_1) | instskip(SKIP_2) | instid1(VALU_DEP_1)
	s_or_b32 exec_lo, exec_lo, s20
	v_lshrrev_b16 v7, 8, v134
	s_mov_b32 s20, exec_lo
	v_cmpx_ne_u16_e32 0, v7
	s_cbranch_execz .LBB298_240
; %bb.233:                              ;   in Loop: Header=BB298_13 Depth=1
	v_bfrev_b32_e32 v132, 1
	s_mov_b32 s21, exec_lo
	v_cmpx_ne_u16_e32 0x80, v7
	s_cbranch_execz .LBB298_239
; %bb.234:                              ;   in Loop: Header=BB298_13 Depth=1
	v_and_b32_e32 v134, 0xffff, v7
	v_mov_b32_e32 v132, 0x7fc02000
	s_mov_b32 s22, exec_lo
	s_delay_alu instid0(VALU_DEP_2) | instskip(NEXT) | instid1(VALU_DEP_1)
	v_and_b32_e32 v135, 0x7f, v134
	v_cmpx_ne_u32_e32 0x7f, v135
	s_cbranch_execz .LBB298_238
; %bb.235:                              ;   in Loop: Header=BB298_13 Depth=1
	v_and_b32_e32 v7, 7, v134
	v_lshrrev_b32_e32 v132, 3, v135
	s_mov_b32 s23, exec_lo
	v_cmpx_gt_u32_e32 8, v135
; %bb.236:                              ;   in Loop: Header=BB298_13 Depth=1
	s_delay_alu instid0(VALU_DEP_3) | instskip(NEXT) | instid1(VALU_DEP_1)
	v_clz_i32_u32_e32 v132, v7
	v_min_u32_e32 v132, 32, v132
	s_delay_alu instid0(VALU_DEP_1) | instskip(SKIP_1) | instid1(VALU_DEP_2)
	v_subrev_nc_u32_e32 v135, 28, v132
	v_sub_nc_u32_e32 v132, 29, v132
	v_lshlrev_b64 v[144:145], v135, v[7:8]
	s_delay_alu instid0(VALU_DEP_1)
	v_and_b32_e32 v7, 7, v144
; %bb.237:                              ;   in Loop: Header=BB298_13 Depth=1
	s_or_b32 exec_lo, exec_lo, s23
	v_lshlrev_b32_e32 v134, 8, v134
	v_lshl_add_u32 v132, v132, 10, 0x2000
	s_delay_alu instid0(VALU_DEP_1) | instskip(NEXT) | instid1(VALU_DEP_1)
	v_and_or_b32 v132, 0x8000, v134, v132
	v_lshl_or_b32 v7, v7, 7, v132
	s_delay_alu instid0(VALU_DEP_1)
	v_cvt_f32_f16_e64 v132, v7
.LBB298_238:                            ;   in Loop: Header=BB298_13 Depth=1
	s_or_b32 exec_lo, exec_lo, s22
.LBB298_239:                            ;   in Loop: Header=BB298_13 Depth=1
	s_delay_alu instid0(SALU_CYCLE_1)
	s_or_b32 exec_lo, exec_lo, s21
.LBB298_240:                            ;   in Loop: Header=BB298_13 Depth=1
	s_delay_alu instid0(SALU_CYCLE_1) | instskip(SKIP_4) | instid1(VALU_DEP_2)
	s_or_b32 exec_lo, exec_lo, s20
	flat_load_u16 v7, v[31:32] offset:896
	s_waitcnt vmcnt(0) lgkmcnt(0)
	v_dual_mov_b32 v134, 0 :: v_dual_and_b32 v135, 0xff, v7
	v_and_b32_e32 v144, 0xffff, v7
	v_cmp_ne_u16_e64 s2, 0, v135
	v_mov_b32_e32 v135, 0
	s_delay_alu instid0(VALU_DEP_2)
	s_and_saveexec_b32 s20, s2
	s_cbranch_execz .LBB298_248
; %bb.241:                              ;   in Loop: Header=BB298_13 Depth=1
	v_and_b32_e32 v7, 0xff, v144
	v_bfrev_b32_e32 v135, 1
	s_mov_b32 s21, exec_lo
	s_delay_alu instid0(VALU_DEP_2)
	v_cmpx_ne_u16_e32 0x80, v7
	s_cbranch_execz .LBB298_247
; %bb.242:                              ;   in Loop: Header=BB298_13 Depth=1
	v_and_b32_e32 v145, 0x7f, v144
	v_mov_b32_e32 v135, 0x7fc02000
	s_mov_b32 s22, exec_lo
	s_delay_alu instid0(VALU_DEP_2)
	v_cmpx_ne_u32_e32 0x7f, v145
	s_cbranch_execz .LBB298_246
; %bb.243:                              ;   in Loop: Header=BB298_13 Depth=1
	v_and_b32_e32 v7, 7, v144
	v_lshrrev_b32_e32 v135, 3, v145
	s_mov_b32 s23, exec_lo
	v_cmpx_gt_u32_e32 8, v145
; %bb.244:                              ;   in Loop: Header=BB298_13 Depth=1
	s_delay_alu instid0(VALU_DEP_3) | instskip(NEXT) | instid1(VALU_DEP_1)
	v_clz_i32_u32_e32 v135, v7
	v_min_u32_e32 v135, 32, v135
	s_delay_alu instid0(VALU_DEP_1) | instskip(SKIP_1) | instid1(VALU_DEP_2)
	v_subrev_nc_u32_e32 v145, 28, v135
	v_sub_nc_u32_e32 v135, 29, v135
	v_lshlrev_b64 v[145:146], v145, v[7:8]
	s_delay_alu instid0(VALU_DEP_1)
	v_and_b32_e32 v7, 7, v145
; %bb.245:                              ;   in Loop: Header=BB298_13 Depth=1
	s_or_b32 exec_lo, exec_lo, s23
	v_lshlrev_b32_e32 v145, 8, v144
	v_lshl_add_u32 v135, v135, 10, 0x2000
	s_delay_alu instid0(VALU_DEP_1) | instskip(NEXT) | instid1(VALU_DEP_1)
	v_and_or_b32 v135, 0x8000, v145, v135
	v_lshl_or_b32 v7, v7, 7, v135
	s_delay_alu instid0(VALU_DEP_1)
	v_cvt_f32_f16_e64 v135, v7
.LBB298_246:                            ;   in Loop: Header=BB298_13 Depth=1
	s_or_b32 exec_lo, exec_lo, s22
.LBB298_247:                            ;   in Loop: Header=BB298_13 Depth=1
	s_delay_alu instid0(SALU_CYCLE_1)
	s_or_b32 exec_lo, exec_lo, s21
.LBB298_248:                            ;   in Loop: Header=BB298_13 Depth=1
	s_delay_alu instid0(SALU_CYCLE_1) | instskip(SKIP_2) | instid1(VALU_DEP_1)
	s_or_b32 exec_lo, exec_lo, s20
	v_lshrrev_b16 v7, 8, v144
	s_mov_b32 s20, exec_lo
	v_cmpx_ne_u16_e32 0, v7
	s_cbranch_execz .LBB298_256
; %bb.249:                              ;   in Loop: Header=BB298_13 Depth=1
	v_bfrev_b32_e32 v134, 1
	s_mov_b32 s21, exec_lo
	v_cmpx_ne_u16_e32 0x80, v7
	s_cbranch_execz .LBB298_255
; %bb.250:                              ;   in Loop: Header=BB298_13 Depth=1
	v_and_b32_e32 v144, 0xffff, v7
	v_mov_b32_e32 v134, 0x7fc02000
	s_mov_b32 s22, exec_lo
	s_delay_alu instid0(VALU_DEP_2) | instskip(NEXT) | instid1(VALU_DEP_1)
	v_and_b32_e32 v145, 0x7f, v144
	v_cmpx_ne_u32_e32 0x7f, v145
	s_cbranch_execz .LBB298_254
; %bb.251:                              ;   in Loop: Header=BB298_13 Depth=1
	v_and_b32_e32 v7, 7, v144
	v_lshrrev_b32_e32 v134, 3, v145
	s_mov_b32 s23, exec_lo
	v_cmpx_gt_u32_e32 8, v145
; %bb.252:                              ;   in Loop: Header=BB298_13 Depth=1
	s_delay_alu instid0(VALU_DEP_3) | instskip(NEXT) | instid1(VALU_DEP_1)
	v_clz_i32_u32_e32 v134, v7
	v_min_u32_e32 v134, 32, v134
	s_delay_alu instid0(VALU_DEP_1) | instskip(SKIP_1) | instid1(VALU_DEP_2)
	v_subrev_nc_u32_e32 v145, 28, v134
	v_sub_nc_u32_e32 v134, 29, v134
	v_lshlrev_b64 v[145:146], v145, v[7:8]
	s_delay_alu instid0(VALU_DEP_1)
	v_and_b32_e32 v7, 7, v145
; %bb.253:                              ;   in Loop: Header=BB298_13 Depth=1
	s_or_b32 exec_lo, exec_lo, s23
	v_lshlrev_b32_e32 v144, 8, v144
	v_lshl_add_u32 v134, v134, 10, 0x2000
	s_delay_alu instid0(VALU_DEP_1) | instskip(NEXT) | instid1(VALU_DEP_1)
	v_and_or_b32 v134, 0x8000, v144, v134
	v_lshl_or_b32 v7, v7, 7, v134
	s_delay_alu instid0(VALU_DEP_1)
	v_cvt_f32_f16_e64 v134, v7
.LBB298_254:                            ;   in Loop: Header=BB298_13 Depth=1
	s_or_b32 exec_lo, exec_lo, s22
.LBB298_255:                            ;   in Loop: Header=BB298_13 Depth=1
	s_delay_alu instid0(SALU_CYCLE_1)
	s_or_b32 exec_lo, exec_lo, s21
.LBB298_256:                            ;   in Loop: Header=BB298_13 Depth=1
	s_delay_alu instid0(SALU_CYCLE_1) | instskip(SKIP_4) | instid1(VALU_DEP_2)
	s_or_b32 exec_lo, exec_lo, s20
	flat_load_u16 v7, v[31:32] offset:904
	s_waitcnt vmcnt(0) lgkmcnt(0)
	v_dual_mov_b32 v144, 0 :: v_dual_and_b32 v145, 0xff, v7
	v_and_b32_e32 v146, 0xffff, v7
	v_cmp_ne_u16_e64 s2, 0, v145
	v_mov_b32_e32 v145, 0
	s_delay_alu instid0(VALU_DEP_2)
	s_and_saveexec_b32 s20, s2
	s_cbranch_execz .LBB298_264
; %bb.257:                              ;   in Loop: Header=BB298_13 Depth=1
	v_and_b32_e32 v7, 0xff, v146
	v_bfrev_b32_e32 v145, 1
	s_mov_b32 s21, exec_lo
	s_delay_alu instid0(VALU_DEP_2)
	v_cmpx_ne_u16_e32 0x80, v7
	s_cbranch_execz .LBB298_263
; %bb.258:                              ;   in Loop: Header=BB298_13 Depth=1
	v_and_b32_e32 v147, 0x7f, v146
	v_mov_b32_e32 v145, 0x7fc02000
	s_mov_b32 s22, exec_lo
	s_delay_alu instid0(VALU_DEP_2)
	v_cmpx_ne_u32_e32 0x7f, v147
	s_cbranch_execz .LBB298_262
; %bb.259:                              ;   in Loop: Header=BB298_13 Depth=1
	v_and_b32_e32 v7, 7, v146
	v_lshrrev_b32_e32 v145, 3, v147
	s_mov_b32 s23, exec_lo
	v_cmpx_gt_u32_e32 8, v147
; %bb.260:                              ;   in Loop: Header=BB298_13 Depth=1
	s_delay_alu instid0(VALU_DEP_3) | instskip(NEXT) | instid1(VALU_DEP_1)
	v_clz_i32_u32_e32 v145, v7
	v_min_u32_e32 v145, 32, v145
	s_delay_alu instid0(VALU_DEP_1) | instskip(SKIP_1) | instid1(VALU_DEP_2)
	v_subrev_nc_u32_e32 v147, 28, v145
	v_sub_nc_u32_e32 v145, 29, v145
	v_lshlrev_b64 v[147:148], v147, v[7:8]
	s_delay_alu instid0(VALU_DEP_1)
	v_and_b32_e32 v7, 7, v147
; %bb.261:                              ;   in Loop: Header=BB298_13 Depth=1
	s_or_b32 exec_lo, exec_lo, s23
	v_lshlrev_b32_e32 v147, 8, v146
	v_lshl_add_u32 v145, v145, 10, 0x2000
	s_delay_alu instid0(VALU_DEP_1) | instskip(NEXT) | instid1(VALU_DEP_1)
	v_and_or_b32 v145, 0x8000, v147, v145
	v_lshl_or_b32 v7, v7, 7, v145
	s_delay_alu instid0(VALU_DEP_1)
	v_cvt_f32_f16_e64 v145, v7
.LBB298_262:                            ;   in Loop: Header=BB298_13 Depth=1
	s_or_b32 exec_lo, exec_lo, s22
.LBB298_263:                            ;   in Loop: Header=BB298_13 Depth=1
	s_delay_alu instid0(SALU_CYCLE_1)
	s_or_b32 exec_lo, exec_lo, s21
.LBB298_264:                            ;   in Loop: Header=BB298_13 Depth=1
	s_delay_alu instid0(SALU_CYCLE_1) | instskip(SKIP_2) | instid1(VALU_DEP_1)
	s_or_b32 exec_lo, exec_lo, s20
	v_lshrrev_b16 v7, 8, v146
	s_mov_b32 s20, exec_lo
	v_cmpx_ne_u16_e32 0, v7
	s_cbranch_execz .LBB298_272
; %bb.265:                              ;   in Loop: Header=BB298_13 Depth=1
	v_bfrev_b32_e32 v144, 1
	s_mov_b32 s21, exec_lo
	v_cmpx_ne_u16_e32 0x80, v7
	s_cbranch_execz .LBB298_271
; %bb.266:                              ;   in Loop: Header=BB298_13 Depth=1
	v_and_b32_e32 v146, 0xffff, v7
	v_mov_b32_e32 v144, 0x7fc02000
	s_mov_b32 s22, exec_lo
	s_delay_alu instid0(VALU_DEP_2) | instskip(NEXT) | instid1(VALU_DEP_1)
	v_and_b32_e32 v147, 0x7f, v146
	v_cmpx_ne_u32_e32 0x7f, v147
	s_cbranch_execz .LBB298_270
; %bb.267:                              ;   in Loop: Header=BB298_13 Depth=1
	v_and_b32_e32 v7, 7, v146
	v_lshrrev_b32_e32 v144, 3, v147
	s_mov_b32 s23, exec_lo
	v_cmpx_gt_u32_e32 8, v147
; %bb.268:                              ;   in Loop: Header=BB298_13 Depth=1
	s_delay_alu instid0(VALU_DEP_3) | instskip(NEXT) | instid1(VALU_DEP_1)
	v_clz_i32_u32_e32 v144, v7
	v_min_u32_e32 v144, 32, v144
	s_delay_alu instid0(VALU_DEP_1) | instskip(SKIP_1) | instid1(VALU_DEP_2)
	v_subrev_nc_u32_e32 v147, 28, v144
	v_sub_nc_u32_e32 v144, 29, v144
	v_lshlrev_b64 v[147:148], v147, v[7:8]
	s_delay_alu instid0(VALU_DEP_1)
	v_and_b32_e32 v7, 7, v147
; %bb.269:                              ;   in Loop: Header=BB298_13 Depth=1
	s_or_b32 exec_lo, exec_lo, s23
	v_lshlrev_b32_e32 v146, 8, v146
	v_lshl_add_u32 v144, v144, 10, 0x2000
	s_delay_alu instid0(VALU_DEP_1) | instskip(NEXT) | instid1(VALU_DEP_1)
	v_and_or_b32 v144, 0x8000, v146, v144
	v_lshl_or_b32 v7, v7, 7, v144
	s_delay_alu instid0(VALU_DEP_1)
	v_cvt_f32_f16_e64 v144, v7
.LBB298_270:                            ;   in Loop: Header=BB298_13 Depth=1
	s_or_b32 exec_lo, exec_lo, s22
.LBB298_271:                            ;   in Loop: Header=BB298_13 Depth=1
	s_delay_alu instid0(SALU_CYCLE_1)
	s_or_b32 exec_lo, exec_lo, s21
.LBB298_272:                            ;   in Loop: Header=BB298_13 Depth=1
	s_delay_alu instid0(SALU_CYCLE_1) | instskip(SKIP_4) | instid1(VALU_DEP_2)
	s_or_b32 exec_lo, exec_lo, s20
	flat_load_u16 v7, v[31:32] offset:1024
	s_waitcnt vmcnt(0) lgkmcnt(0)
	v_dual_mov_b32 v146, 0 :: v_dual_and_b32 v147, 0xff, v7
	v_and_b32_e32 v148, 0xffff, v7
	v_cmp_ne_u16_e64 s2, 0, v147
	v_mov_b32_e32 v147, 0
	s_delay_alu instid0(VALU_DEP_2)
	s_and_saveexec_b32 s20, s2
	s_cbranch_execz .LBB298_280
; %bb.273:                              ;   in Loop: Header=BB298_13 Depth=1
	v_and_b32_e32 v7, 0xff, v148
	v_bfrev_b32_e32 v147, 1
	s_mov_b32 s21, exec_lo
	s_delay_alu instid0(VALU_DEP_2)
	v_cmpx_ne_u16_e32 0x80, v7
	s_cbranch_execz .LBB298_279
; %bb.274:                              ;   in Loop: Header=BB298_13 Depth=1
	v_and_b32_e32 v149, 0x7f, v148
	v_mov_b32_e32 v147, 0x7fc02000
	s_mov_b32 s22, exec_lo
	s_delay_alu instid0(VALU_DEP_2)
	v_cmpx_ne_u32_e32 0x7f, v149
	s_cbranch_execz .LBB298_278
; %bb.275:                              ;   in Loop: Header=BB298_13 Depth=1
	v_and_b32_e32 v7, 7, v148
	v_lshrrev_b32_e32 v147, 3, v149
	s_mov_b32 s23, exec_lo
	v_cmpx_gt_u32_e32 8, v149
; %bb.276:                              ;   in Loop: Header=BB298_13 Depth=1
	s_delay_alu instid0(VALU_DEP_3) | instskip(NEXT) | instid1(VALU_DEP_1)
	v_clz_i32_u32_e32 v147, v7
	v_min_u32_e32 v147, 32, v147
	s_delay_alu instid0(VALU_DEP_1) | instskip(SKIP_1) | instid1(VALU_DEP_2)
	v_subrev_nc_u32_e32 v149, 28, v147
	v_sub_nc_u32_e32 v147, 29, v147
	v_lshlrev_b64 v[149:150], v149, v[7:8]
	s_delay_alu instid0(VALU_DEP_1)
	v_and_b32_e32 v7, 7, v149
; %bb.277:                              ;   in Loop: Header=BB298_13 Depth=1
	s_or_b32 exec_lo, exec_lo, s23
	v_lshlrev_b32_e32 v149, 8, v148
	v_lshl_add_u32 v147, v147, 10, 0x2000
	s_delay_alu instid0(VALU_DEP_1) | instskip(NEXT) | instid1(VALU_DEP_1)
	v_and_or_b32 v147, 0x8000, v149, v147
	v_lshl_or_b32 v7, v7, 7, v147
	s_delay_alu instid0(VALU_DEP_1)
	v_cvt_f32_f16_e64 v147, v7
.LBB298_278:                            ;   in Loop: Header=BB298_13 Depth=1
	s_or_b32 exec_lo, exec_lo, s22
.LBB298_279:                            ;   in Loop: Header=BB298_13 Depth=1
	s_delay_alu instid0(SALU_CYCLE_1)
	s_or_b32 exec_lo, exec_lo, s21
.LBB298_280:                            ;   in Loop: Header=BB298_13 Depth=1
	s_delay_alu instid0(SALU_CYCLE_1) | instskip(SKIP_2) | instid1(VALU_DEP_1)
	s_or_b32 exec_lo, exec_lo, s20
	v_lshrrev_b16 v7, 8, v148
	s_mov_b32 s20, exec_lo
	v_cmpx_ne_u16_e32 0, v7
	s_cbranch_execz .LBB298_288
; %bb.281:                              ;   in Loop: Header=BB298_13 Depth=1
	v_bfrev_b32_e32 v146, 1
	s_mov_b32 s21, exec_lo
	v_cmpx_ne_u16_e32 0x80, v7
	s_cbranch_execz .LBB298_287
; %bb.282:                              ;   in Loop: Header=BB298_13 Depth=1
	v_and_b32_e32 v148, 0xffff, v7
	v_mov_b32_e32 v146, 0x7fc02000
	s_mov_b32 s22, exec_lo
	s_delay_alu instid0(VALU_DEP_2) | instskip(NEXT) | instid1(VALU_DEP_1)
	v_and_b32_e32 v149, 0x7f, v148
	v_cmpx_ne_u32_e32 0x7f, v149
	s_cbranch_execz .LBB298_286
; %bb.283:                              ;   in Loop: Header=BB298_13 Depth=1
	v_and_b32_e32 v7, 7, v148
	v_lshrrev_b32_e32 v146, 3, v149
	s_mov_b32 s23, exec_lo
	v_cmpx_gt_u32_e32 8, v149
; %bb.284:                              ;   in Loop: Header=BB298_13 Depth=1
	s_delay_alu instid0(VALU_DEP_3) | instskip(NEXT) | instid1(VALU_DEP_1)
	v_clz_i32_u32_e32 v146, v7
	v_min_u32_e32 v146, 32, v146
	s_delay_alu instid0(VALU_DEP_1) | instskip(SKIP_1) | instid1(VALU_DEP_2)
	v_subrev_nc_u32_e32 v149, 28, v146
	v_sub_nc_u32_e32 v146, 29, v146
	v_lshlrev_b64 v[149:150], v149, v[7:8]
	s_delay_alu instid0(VALU_DEP_1)
	v_and_b32_e32 v7, 7, v149
; %bb.285:                              ;   in Loop: Header=BB298_13 Depth=1
	s_or_b32 exec_lo, exec_lo, s23
	v_lshlrev_b32_e32 v148, 8, v148
	v_lshl_add_u32 v146, v146, 10, 0x2000
	s_delay_alu instid0(VALU_DEP_1) | instskip(NEXT) | instid1(VALU_DEP_1)
	v_and_or_b32 v146, 0x8000, v148, v146
	v_lshl_or_b32 v7, v7, 7, v146
	s_delay_alu instid0(VALU_DEP_1)
	v_cvt_f32_f16_e64 v146, v7
.LBB298_286:                            ;   in Loop: Header=BB298_13 Depth=1
	s_or_b32 exec_lo, exec_lo, s22
.LBB298_287:                            ;   in Loop: Header=BB298_13 Depth=1
	s_delay_alu instid0(SALU_CYCLE_1)
	s_or_b32 exec_lo, exec_lo, s21
.LBB298_288:                            ;   in Loop: Header=BB298_13 Depth=1
	s_delay_alu instid0(SALU_CYCLE_1) | instskip(SKIP_4) | instid1(VALU_DEP_2)
	s_or_b32 exec_lo, exec_lo, s20
	flat_load_u16 v7, v[31:32] offset:1032
	s_waitcnt vmcnt(0) lgkmcnt(0)
	v_dual_mov_b32 v148, 0 :: v_dual_and_b32 v149, 0xff, v7
	v_and_b32_e32 v150, 0xffff, v7
	v_cmp_ne_u16_e64 s2, 0, v149
	v_mov_b32_e32 v149, 0
	s_delay_alu instid0(VALU_DEP_2)
	s_and_saveexec_b32 s20, s2
	s_cbranch_execz .LBB298_296
; %bb.289:                              ;   in Loop: Header=BB298_13 Depth=1
	v_and_b32_e32 v7, 0xff, v150
	v_bfrev_b32_e32 v149, 1
	s_mov_b32 s21, exec_lo
	s_delay_alu instid0(VALU_DEP_2)
	v_cmpx_ne_u16_e32 0x80, v7
	s_cbranch_execz .LBB298_295
; %bb.290:                              ;   in Loop: Header=BB298_13 Depth=1
	v_and_b32_e32 v151, 0x7f, v150
	v_mov_b32_e32 v149, 0x7fc02000
	s_mov_b32 s22, exec_lo
	s_delay_alu instid0(VALU_DEP_2)
	v_cmpx_ne_u32_e32 0x7f, v151
	s_cbranch_execz .LBB298_294
; %bb.291:                              ;   in Loop: Header=BB298_13 Depth=1
	v_and_b32_e32 v7, 7, v150
	v_lshrrev_b32_e32 v149, 3, v151
	s_mov_b32 s23, exec_lo
	v_cmpx_gt_u32_e32 8, v151
; %bb.292:                              ;   in Loop: Header=BB298_13 Depth=1
	s_delay_alu instid0(VALU_DEP_3) | instskip(NEXT) | instid1(VALU_DEP_1)
	v_clz_i32_u32_e32 v149, v7
	v_min_u32_e32 v149, 32, v149
	s_delay_alu instid0(VALU_DEP_1) | instskip(SKIP_1) | instid1(VALU_DEP_2)
	v_subrev_nc_u32_e32 v151, 28, v149
	v_sub_nc_u32_e32 v149, 29, v149
	v_lshlrev_b64 v[160:161], v151, v[7:8]
	s_delay_alu instid0(VALU_DEP_1)
	v_and_b32_e32 v7, 7, v160
; %bb.293:                              ;   in Loop: Header=BB298_13 Depth=1
	s_or_b32 exec_lo, exec_lo, s23
	v_lshlrev_b32_e32 v151, 8, v150
	v_lshl_add_u32 v149, v149, 10, 0x2000
	s_delay_alu instid0(VALU_DEP_1) | instskip(NEXT) | instid1(VALU_DEP_1)
	v_and_or_b32 v149, 0x8000, v151, v149
	v_lshl_or_b32 v7, v7, 7, v149
	s_delay_alu instid0(VALU_DEP_1)
	v_cvt_f32_f16_e64 v149, v7
.LBB298_294:                            ;   in Loop: Header=BB298_13 Depth=1
	s_or_b32 exec_lo, exec_lo, s22
.LBB298_295:                            ;   in Loop: Header=BB298_13 Depth=1
	s_delay_alu instid0(SALU_CYCLE_1)
	s_or_b32 exec_lo, exec_lo, s21
.LBB298_296:                            ;   in Loop: Header=BB298_13 Depth=1
	s_delay_alu instid0(SALU_CYCLE_1) | instskip(SKIP_2) | instid1(VALU_DEP_1)
	s_or_b32 exec_lo, exec_lo, s20
	v_lshrrev_b16 v7, 8, v150
	s_mov_b32 s20, exec_lo
	v_cmpx_ne_u16_e32 0, v7
	s_cbranch_execz .LBB298_304
; %bb.297:                              ;   in Loop: Header=BB298_13 Depth=1
	v_bfrev_b32_e32 v148, 1
	s_mov_b32 s21, exec_lo
	v_cmpx_ne_u16_e32 0x80, v7
	s_cbranch_execz .LBB298_303
; %bb.298:                              ;   in Loop: Header=BB298_13 Depth=1
	v_and_b32_e32 v150, 0xffff, v7
	v_mov_b32_e32 v148, 0x7fc02000
	s_mov_b32 s22, exec_lo
	s_delay_alu instid0(VALU_DEP_2) | instskip(NEXT) | instid1(VALU_DEP_1)
	v_and_b32_e32 v151, 0x7f, v150
	v_cmpx_ne_u32_e32 0x7f, v151
	s_cbranch_execz .LBB298_302
; %bb.299:                              ;   in Loop: Header=BB298_13 Depth=1
	v_and_b32_e32 v7, 7, v150
	v_lshrrev_b32_e32 v148, 3, v151
	s_mov_b32 s23, exec_lo
	v_cmpx_gt_u32_e32 8, v151
; %bb.300:                              ;   in Loop: Header=BB298_13 Depth=1
	s_delay_alu instid0(VALU_DEP_3) | instskip(NEXT) | instid1(VALU_DEP_1)
	v_clz_i32_u32_e32 v148, v7
	v_min_u32_e32 v148, 32, v148
	s_delay_alu instid0(VALU_DEP_1) | instskip(SKIP_1) | instid1(VALU_DEP_2)
	v_subrev_nc_u32_e32 v151, 28, v148
	v_sub_nc_u32_e32 v148, 29, v148
	v_lshlrev_b64 v[160:161], v151, v[7:8]
	s_delay_alu instid0(VALU_DEP_1)
	v_and_b32_e32 v7, 7, v160
; %bb.301:                              ;   in Loop: Header=BB298_13 Depth=1
	s_or_b32 exec_lo, exec_lo, s23
	v_lshlrev_b32_e32 v150, 8, v150
	v_lshl_add_u32 v148, v148, 10, 0x2000
	s_delay_alu instid0(VALU_DEP_1) | instskip(NEXT) | instid1(VALU_DEP_1)
	v_and_or_b32 v148, 0x8000, v150, v148
	v_lshl_or_b32 v7, v7, 7, v148
	s_delay_alu instid0(VALU_DEP_1)
	v_cvt_f32_f16_e64 v148, v7
.LBB298_302:                            ;   in Loop: Header=BB298_13 Depth=1
	s_or_b32 exec_lo, exec_lo, s22
.LBB298_303:                            ;   in Loop: Header=BB298_13 Depth=1
	s_delay_alu instid0(SALU_CYCLE_1)
	s_or_b32 exec_lo, exec_lo, s21
.LBB298_304:                            ;   in Loop: Header=BB298_13 Depth=1
	s_delay_alu instid0(SALU_CYCLE_1) | instskip(SKIP_4) | instid1(VALU_DEP_2)
	s_or_b32 exec_lo, exec_lo, s20
	flat_load_u16 v7, v[31:32] offset:1152
	s_waitcnt vmcnt(0) lgkmcnt(0)
	v_dual_mov_b32 v150, 0 :: v_dual_and_b32 v151, 0xff, v7
	v_and_b32_e32 v160, 0xffff, v7
	v_cmp_ne_u16_e64 s2, 0, v151
	v_mov_b32_e32 v151, 0
	s_delay_alu instid0(VALU_DEP_2)
	s_and_saveexec_b32 s20, s2
	s_cbranch_execz .LBB298_312
; %bb.305:                              ;   in Loop: Header=BB298_13 Depth=1
	v_and_b32_e32 v7, 0xff, v160
	v_bfrev_b32_e32 v151, 1
	s_mov_b32 s21, exec_lo
	s_delay_alu instid0(VALU_DEP_2)
	v_cmpx_ne_u16_e32 0x80, v7
	s_cbranch_execz .LBB298_311
; %bb.306:                              ;   in Loop: Header=BB298_13 Depth=1
	v_and_b32_e32 v161, 0x7f, v160
	v_mov_b32_e32 v151, 0x7fc02000
	s_mov_b32 s22, exec_lo
	s_delay_alu instid0(VALU_DEP_2)
	v_cmpx_ne_u32_e32 0x7f, v161
	s_cbranch_execz .LBB298_310
; %bb.307:                              ;   in Loop: Header=BB298_13 Depth=1
	v_and_b32_e32 v7, 7, v160
	v_lshrrev_b32_e32 v151, 3, v161
	s_mov_b32 s23, exec_lo
	v_cmpx_gt_u32_e32 8, v161
; %bb.308:                              ;   in Loop: Header=BB298_13 Depth=1
	s_delay_alu instid0(VALU_DEP_3) | instskip(NEXT) | instid1(VALU_DEP_1)
	v_clz_i32_u32_e32 v151, v7
	v_min_u32_e32 v151, 32, v151
	s_delay_alu instid0(VALU_DEP_1) | instskip(SKIP_1) | instid1(VALU_DEP_2)
	v_subrev_nc_u32_e32 v161, 28, v151
	v_sub_nc_u32_e32 v151, 29, v151
	v_lshlrev_b64 v[161:162], v161, v[7:8]
	s_delay_alu instid0(VALU_DEP_1)
	v_and_b32_e32 v7, 7, v161
; %bb.309:                              ;   in Loop: Header=BB298_13 Depth=1
	s_or_b32 exec_lo, exec_lo, s23
	v_lshlrev_b32_e32 v161, 8, v160
	v_lshl_add_u32 v151, v151, 10, 0x2000
	s_delay_alu instid0(VALU_DEP_1) | instskip(NEXT) | instid1(VALU_DEP_1)
	v_and_or_b32 v151, 0x8000, v161, v151
	v_lshl_or_b32 v7, v7, 7, v151
	s_delay_alu instid0(VALU_DEP_1)
	v_cvt_f32_f16_e64 v151, v7
.LBB298_310:                            ;   in Loop: Header=BB298_13 Depth=1
	s_or_b32 exec_lo, exec_lo, s22
.LBB298_311:                            ;   in Loop: Header=BB298_13 Depth=1
	s_delay_alu instid0(SALU_CYCLE_1)
	s_or_b32 exec_lo, exec_lo, s21
.LBB298_312:                            ;   in Loop: Header=BB298_13 Depth=1
	s_delay_alu instid0(SALU_CYCLE_1) | instskip(SKIP_2) | instid1(VALU_DEP_1)
	s_or_b32 exec_lo, exec_lo, s20
	v_lshrrev_b16 v7, 8, v160
	s_mov_b32 s20, exec_lo
	v_cmpx_ne_u16_e32 0, v7
	s_cbranch_execz .LBB298_320
; %bb.313:                              ;   in Loop: Header=BB298_13 Depth=1
	v_bfrev_b32_e32 v150, 1
	s_mov_b32 s21, exec_lo
	v_cmpx_ne_u16_e32 0x80, v7
	s_cbranch_execz .LBB298_319
; %bb.314:                              ;   in Loop: Header=BB298_13 Depth=1
	v_and_b32_e32 v160, 0xffff, v7
	v_mov_b32_e32 v150, 0x7fc02000
	s_mov_b32 s22, exec_lo
	s_delay_alu instid0(VALU_DEP_2) | instskip(NEXT) | instid1(VALU_DEP_1)
	v_and_b32_e32 v161, 0x7f, v160
	v_cmpx_ne_u32_e32 0x7f, v161
	s_cbranch_execz .LBB298_318
; %bb.315:                              ;   in Loop: Header=BB298_13 Depth=1
	v_and_b32_e32 v7, 7, v160
	v_lshrrev_b32_e32 v150, 3, v161
	s_mov_b32 s23, exec_lo
	v_cmpx_gt_u32_e32 8, v161
; %bb.316:                              ;   in Loop: Header=BB298_13 Depth=1
	s_delay_alu instid0(VALU_DEP_3) | instskip(NEXT) | instid1(VALU_DEP_1)
	v_clz_i32_u32_e32 v150, v7
	v_min_u32_e32 v150, 32, v150
	s_delay_alu instid0(VALU_DEP_1) | instskip(SKIP_1) | instid1(VALU_DEP_2)
	v_subrev_nc_u32_e32 v161, 28, v150
	v_sub_nc_u32_e32 v150, 29, v150
	v_lshlrev_b64 v[161:162], v161, v[7:8]
	s_delay_alu instid0(VALU_DEP_1)
	v_and_b32_e32 v7, 7, v161
; %bb.317:                              ;   in Loop: Header=BB298_13 Depth=1
	s_or_b32 exec_lo, exec_lo, s23
	v_lshlrev_b32_e32 v160, 8, v160
	v_lshl_add_u32 v150, v150, 10, 0x2000
	s_delay_alu instid0(VALU_DEP_1) | instskip(NEXT) | instid1(VALU_DEP_1)
	v_and_or_b32 v150, 0x8000, v160, v150
	v_lshl_or_b32 v7, v7, 7, v150
	s_delay_alu instid0(VALU_DEP_1)
	v_cvt_f32_f16_e64 v150, v7
.LBB298_318:                            ;   in Loop: Header=BB298_13 Depth=1
	s_or_b32 exec_lo, exec_lo, s22
.LBB298_319:                            ;   in Loop: Header=BB298_13 Depth=1
	s_delay_alu instid0(SALU_CYCLE_1)
	s_or_b32 exec_lo, exec_lo, s21
.LBB298_320:                            ;   in Loop: Header=BB298_13 Depth=1
	s_delay_alu instid0(SALU_CYCLE_1) | instskip(SKIP_4) | instid1(VALU_DEP_2)
	s_or_b32 exec_lo, exec_lo, s20
	flat_load_u16 v7, v[31:32] offset:1160
	s_waitcnt vmcnt(0) lgkmcnt(0)
	v_dual_mov_b32 v160, 0 :: v_dual_and_b32 v161, 0xff, v7
	v_and_b32_e32 v162, 0xffff, v7
	v_cmp_ne_u16_e64 s2, 0, v161
	v_mov_b32_e32 v161, 0
	s_delay_alu instid0(VALU_DEP_2)
	s_and_saveexec_b32 s20, s2
	s_cbranch_execz .LBB298_328
; %bb.321:                              ;   in Loop: Header=BB298_13 Depth=1
	v_and_b32_e32 v7, 0xff, v162
	v_bfrev_b32_e32 v161, 1
	s_mov_b32 s21, exec_lo
	s_delay_alu instid0(VALU_DEP_2)
	v_cmpx_ne_u16_e32 0x80, v7
	s_cbranch_execz .LBB298_327
; %bb.322:                              ;   in Loop: Header=BB298_13 Depth=1
	v_and_b32_e32 v163, 0x7f, v162
	v_mov_b32_e32 v161, 0x7fc02000
	s_mov_b32 s22, exec_lo
	s_delay_alu instid0(VALU_DEP_2)
	v_cmpx_ne_u32_e32 0x7f, v163
	s_cbranch_execz .LBB298_326
; %bb.323:                              ;   in Loop: Header=BB298_13 Depth=1
	v_and_b32_e32 v7, 7, v162
	v_lshrrev_b32_e32 v161, 3, v163
	s_mov_b32 s23, exec_lo
	v_cmpx_gt_u32_e32 8, v163
; %bb.324:                              ;   in Loop: Header=BB298_13 Depth=1
	s_delay_alu instid0(VALU_DEP_3) | instskip(NEXT) | instid1(VALU_DEP_1)
	v_clz_i32_u32_e32 v161, v7
	v_min_u32_e32 v161, 32, v161
	s_delay_alu instid0(VALU_DEP_1) | instskip(SKIP_1) | instid1(VALU_DEP_2)
	v_subrev_nc_u32_e32 v163, 28, v161
	v_sub_nc_u32_e32 v161, 29, v161
	v_lshlrev_b64 v[163:164], v163, v[7:8]
	s_delay_alu instid0(VALU_DEP_1)
	v_and_b32_e32 v7, 7, v163
; %bb.325:                              ;   in Loop: Header=BB298_13 Depth=1
	s_or_b32 exec_lo, exec_lo, s23
	v_lshlrev_b32_e32 v163, 8, v162
	v_lshl_add_u32 v161, v161, 10, 0x2000
	s_delay_alu instid0(VALU_DEP_1) | instskip(NEXT) | instid1(VALU_DEP_1)
	v_and_or_b32 v161, 0x8000, v163, v161
	v_lshl_or_b32 v7, v7, 7, v161
	s_delay_alu instid0(VALU_DEP_1)
	v_cvt_f32_f16_e64 v161, v7
.LBB298_326:                            ;   in Loop: Header=BB298_13 Depth=1
	s_or_b32 exec_lo, exec_lo, s22
.LBB298_327:                            ;   in Loop: Header=BB298_13 Depth=1
	s_delay_alu instid0(SALU_CYCLE_1)
	s_or_b32 exec_lo, exec_lo, s21
.LBB298_328:                            ;   in Loop: Header=BB298_13 Depth=1
	s_delay_alu instid0(SALU_CYCLE_1) | instskip(SKIP_2) | instid1(VALU_DEP_1)
	s_or_b32 exec_lo, exec_lo, s20
	v_lshrrev_b16 v7, 8, v162
	s_mov_b32 s20, exec_lo
	v_cmpx_ne_u16_e32 0, v7
	s_cbranch_execz .LBB298_336
; %bb.329:                              ;   in Loop: Header=BB298_13 Depth=1
	v_bfrev_b32_e32 v160, 1
	s_mov_b32 s21, exec_lo
	v_cmpx_ne_u16_e32 0x80, v7
	s_cbranch_execz .LBB298_335
; %bb.330:                              ;   in Loop: Header=BB298_13 Depth=1
	v_and_b32_e32 v162, 0xffff, v7
	v_mov_b32_e32 v160, 0x7fc02000
	s_mov_b32 s22, exec_lo
	s_delay_alu instid0(VALU_DEP_2) | instskip(NEXT) | instid1(VALU_DEP_1)
	v_and_b32_e32 v163, 0x7f, v162
	v_cmpx_ne_u32_e32 0x7f, v163
	s_cbranch_execz .LBB298_334
; %bb.331:                              ;   in Loop: Header=BB298_13 Depth=1
	v_and_b32_e32 v7, 7, v162
	v_lshrrev_b32_e32 v160, 3, v163
	s_mov_b32 s23, exec_lo
	v_cmpx_gt_u32_e32 8, v163
; %bb.332:                              ;   in Loop: Header=BB298_13 Depth=1
	s_delay_alu instid0(VALU_DEP_3) | instskip(NEXT) | instid1(VALU_DEP_1)
	v_clz_i32_u32_e32 v160, v7
	v_min_u32_e32 v160, 32, v160
	s_delay_alu instid0(VALU_DEP_1) | instskip(SKIP_1) | instid1(VALU_DEP_2)
	v_subrev_nc_u32_e32 v163, 28, v160
	v_sub_nc_u32_e32 v160, 29, v160
	v_lshlrev_b64 v[163:164], v163, v[7:8]
	s_delay_alu instid0(VALU_DEP_1)
	v_and_b32_e32 v7, 7, v163
; %bb.333:                              ;   in Loop: Header=BB298_13 Depth=1
	s_or_b32 exec_lo, exec_lo, s23
	v_lshlrev_b32_e32 v162, 8, v162
	v_lshl_add_u32 v160, v160, 10, 0x2000
	s_delay_alu instid0(VALU_DEP_1) | instskip(NEXT) | instid1(VALU_DEP_1)
	v_and_or_b32 v160, 0x8000, v162, v160
	v_lshl_or_b32 v7, v7, 7, v160
	s_delay_alu instid0(VALU_DEP_1)
	v_cvt_f32_f16_e64 v160, v7
.LBB298_334:                            ;   in Loop: Header=BB298_13 Depth=1
	s_or_b32 exec_lo, exec_lo, s22
.LBB298_335:                            ;   in Loop: Header=BB298_13 Depth=1
	s_delay_alu instid0(SALU_CYCLE_1)
	s_or_b32 exec_lo, exec_lo, s21
.LBB298_336:                            ;   in Loop: Header=BB298_13 Depth=1
	s_delay_alu instid0(SALU_CYCLE_1) | instskip(SKIP_4) | instid1(VALU_DEP_2)
	s_or_b32 exec_lo, exec_lo, s20
	flat_load_u16 v7, v[31:32] offset:1280
	s_waitcnt vmcnt(0) lgkmcnt(0)
	v_dual_mov_b32 v162, 0 :: v_dual_and_b32 v163, 0xff, v7
	v_and_b32_e32 v164, 0xffff, v7
	v_cmp_ne_u16_e64 s2, 0, v163
	v_mov_b32_e32 v163, 0
	s_delay_alu instid0(VALU_DEP_2)
	s_and_saveexec_b32 s20, s2
	s_cbranch_execz .LBB298_344
; %bb.337:                              ;   in Loop: Header=BB298_13 Depth=1
	v_and_b32_e32 v7, 0xff, v164
	v_bfrev_b32_e32 v163, 1
	s_mov_b32 s21, exec_lo
	s_delay_alu instid0(VALU_DEP_2)
	v_cmpx_ne_u16_e32 0x80, v7
	s_cbranch_execz .LBB298_343
; %bb.338:                              ;   in Loop: Header=BB298_13 Depth=1
	v_and_b32_e32 v165, 0x7f, v164
	v_mov_b32_e32 v163, 0x7fc02000
	s_mov_b32 s22, exec_lo
	s_delay_alu instid0(VALU_DEP_2)
	v_cmpx_ne_u32_e32 0x7f, v165
	s_cbranch_execz .LBB298_342
; %bb.339:                              ;   in Loop: Header=BB298_13 Depth=1
	v_and_b32_e32 v7, 7, v164
	v_lshrrev_b32_e32 v163, 3, v165
	s_mov_b32 s23, exec_lo
	v_cmpx_gt_u32_e32 8, v165
; %bb.340:                              ;   in Loop: Header=BB298_13 Depth=1
	s_delay_alu instid0(VALU_DEP_3) | instskip(NEXT) | instid1(VALU_DEP_1)
	v_clz_i32_u32_e32 v163, v7
	v_min_u32_e32 v163, 32, v163
	s_delay_alu instid0(VALU_DEP_1) | instskip(SKIP_1) | instid1(VALU_DEP_2)
	v_subrev_nc_u32_e32 v165, 28, v163
	v_sub_nc_u32_e32 v163, 29, v163
	v_lshlrev_b64 v[165:166], v165, v[7:8]
	s_delay_alu instid0(VALU_DEP_1)
	v_and_b32_e32 v7, 7, v165
; %bb.341:                              ;   in Loop: Header=BB298_13 Depth=1
	s_or_b32 exec_lo, exec_lo, s23
	v_lshlrev_b32_e32 v165, 8, v164
	v_lshl_add_u32 v163, v163, 10, 0x2000
	s_delay_alu instid0(VALU_DEP_1) | instskip(NEXT) | instid1(VALU_DEP_1)
	v_and_or_b32 v163, 0x8000, v165, v163
	v_lshl_or_b32 v7, v7, 7, v163
	s_delay_alu instid0(VALU_DEP_1)
	v_cvt_f32_f16_e64 v163, v7
.LBB298_342:                            ;   in Loop: Header=BB298_13 Depth=1
	s_or_b32 exec_lo, exec_lo, s22
.LBB298_343:                            ;   in Loop: Header=BB298_13 Depth=1
	s_delay_alu instid0(SALU_CYCLE_1)
	s_or_b32 exec_lo, exec_lo, s21
.LBB298_344:                            ;   in Loop: Header=BB298_13 Depth=1
	s_delay_alu instid0(SALU_CYCLE_1) | instskip(SKIP_2) | instid1(VALU_DEP_1)
	s_or_b32 exec_lo, exec_lo, s20
	v_lshrrev_b16 v7, 8, v164
	s_mov_b32 s20, exec_lo
	v_cmpx_ne_u16_e32 0, v7
	s_cbranch_execz .LBB298_352
; %bb.345:                              ;   in Loop: Header=BB298_13 Depth=1
	v_bfrev_b32_e32 v162, 1
	s_mov_b32 s21, exec_lo
	v_cmpx_ne_u16_e32 0x80, v7
	s_cbranch_execz .LBB298_351
; %bb.346:                              ;   in Loop: Header=BB298_13 Depth=1
	v_and_b32_e32 v164, 0xffff, v7
	v_mov_b32_e32 v162, 0x7fc02000
	s_mov_b32 s22, exec_lo
	s_delay_alu instid0(VALU_DEP_2) | instskip(NEXT) | instid1(VALU_DEP_1)
	v_and_b32_e32 v165, 0x7f, v164
	v_cmpx_ne_u32_e32 0x7f, v165
	s_cbranch_execz .LBB298_350
; %bb.347:                              ;   in Loop: Header=BB298_13 Depth=1
	v_and_b32_e32 v7, 7, v164
	v_lshrrev_b32_e32 v162, 3, v165
	s_mov_b32 s23, exec_lo
	v_cmpx_gt_u32_e32 8, v165
; %bb.348:                              ;   in Loop: Header=BB298_13 Depth=1
	s_delay_alu instid0(VALU_DEP_3) | instskip(NEXT) | instid1(VALU_DEP_1)
	v_clz_i32_u32_e32 v162, v7
	v_min_u32_e32 v162, 32, v162
	s_delay_alu instid0(VALU_DEP_1) | instskip(SKIP_1) | instid1(VALU_DEP_2)
	v_subrev_nc_u32_e32 v165, 28, v162
	v_sub_nc_u32_e32 v162, 29, v162
	v_lshlrev_b64 v[165:166], v165, v[7:8]
	s_delay_alu instid0(VALU_DEP_1)
	v_and_b32_e32 v7, 7, v165
; %bb.349:                              ;   in Loop: Header=BB298_13 Depth=1
	s_or_b32 exec_lo, exec_lo, s23
	v_lshlrev_b32_e32 v164, 8, v164
	v_lshl_add_u32 v162, v162, 10, 0x2000
	s_delay_alu instid0(VALU_DEP_1) | instskip(NEXT) | instid1(VALU_DEP_1)
	v_and_or_b32 v162, 0x8000, v164, v162
	v_lshl_or_b32 v7, v7, 7, v162
	s_delay_alu instid0(VALU_DEP_1)
	v_cvt_f32_f16_e64 v162, v7
.LBB298_350:                            ;   in Loop: Header=BB298_13 Depth=1
	s_or_b32 exec_lo, exec_lo, s22
.LBB298_351:                            ;   in Loop: Header=BB298_13 Depth=1
	s_delay_alu instid0(SALU_CYCLE_1)
	s_or_b32 exec_lo, exec_lo, s21
.LBB298_352:                            ;   in Loop: Header=BB298_13 Depth=1
	s_delay_alu instid0(SALU_CYCLE_1) | instskip(SKIP_4) | instid1(VALU_DEP_2)
	s_or_b32 exec_lo, exec_lo, s20
	flat_load_u16 v7, v[31:32] offset:1288
	s_waitcnt vmcnt(0) lgkmcnt(0)
	v_dual_mov_b32 v164, 0 :: v_dual_and_b32 v165, 0xff, v7
	v_and_b32_e32 v166, 0xffff, v7
	v_cmp_ne_u16_e64 s2, 0, v165
	v_mov_b32_e32 v165, 0
	s_delay_alu instid0(VALU_DEP_2)
	s_and_saveexec_b32 s20, s2
	s_cbranch_execz .LBB298_360
; %bb.353:                              ;   in Loop: Header=BB298_13 Depth=1
	v_and_b32_e32 v7, 0xff, v166
	v_bfrev_b32_e32 v165, 1
	s_mov_b32 s21, exec_lo
	s_delay_alu instid0(VALU_DEP_2)
	v_cmpx_ne_u16_e32 0x80, v7
	s_cbranch_execz .LBB298_359
; %bb.354:                              ;   in Loop: Header=BB298_13 Depth=1
	v_and_b32_e32 v167, 0x7f, v166
	v_mov_b32_e32 v165, 0x7fc02000
	s_mov_b32 s22, exec_lo
	s_delay_alu instid0(VALU_DEP_2)
	v_cmpx_ne_u32_e32 0x7f, v167
	s_cbranch_execz .LBB298_358
; %bb.355:                              ;   in Loop: Header=BB298_13 Depth=1
	v_and_b32_e32 v7, 7, v166
	v_lshrrev_b32_e32 v165, 3, v167
	s_mov_b32 s23, exec_lo
	v_cmpx_gt_u32_e32 8, v167
; %bb.356:                              ;   in Loop: Header=BB298_13 Depth=1
	s_delay_alu instid0(VALU_DEP_3) | instskip(NEXT) | instid1(VALU_DEP_1)
	v_clz_i32_u32_e32 v165, v7
	v_min_u32_e32 v165, 32, v165
	s_delay_alu instid0(VALU_DEP_1) | instskip(SKIP_1) | instid1(VALU_DEP_2)
	v_subrev_nc_u32_e32 v167, 28, v165
	v_sub_nc_u32_e32 v165, 29, v165
	v_lshlrev_b64 v[176:177], v167, v[7:8]
	s_delay_alu instid0(VALU_DEP_1)
	v_and_b32_e32 v7, 7, v176
; %bb.357:                              ;   in Loop: Header=BB298_13 Depth=1
	s_or_b32 exec_lo, exec_lo, s23
	v_lshlrev_b32_e32 v167, 8, v166
	v_lshl_add_u32 v165, v165, 10, 0x2000
	s_delay_alu instid0(VALU_DEP_1) | instskip(NEXT) | instid1(VALU_DEP_1)
	v_and_or_b32 v165, 0x8000, v167, v165
	v_lshl_or_b32 v7, v7, 7, v165
	s_delay_alu instid0(VALU_DEP_1)
	v_cvt_f32_f16_e64 v165, v7
.LBB298_358:                            ;   in Loop: Header=BB298_13 Depth=1
	s_or_b32 exec_lo, exec_lo, s22
.LBB298_359:                            ;   in Loop: Header=BB298_13 Depth=1
	s_delay_alu instid0(SALU_CYCLE_1)
	s_or_b32 exec_lo, exec_lo, s21
.LBB298_360:                            ;   in Loop: Header=BB298_13 Depth=1
	s_delay_alu instid0(SALU_CYCLE_1) | instskip(SKIP_2) | instid1(VALU_DEP_1)
	s_or_b32 exec_lo, exec_lo, s20
	v_lshrrev_b16 v7, 8, v166
	s_mov_b32 s20, exec_lo
	v_cmpx_ne_u16_e32 0, v7
	s_cbranch_execz .LBB298_368
; %bb.361:                              ;   in Loop: Header=BB298_13 Depth=1
	v_bfrev_b32_e32 v164, 1
	s_mov_b32 s21, exec_lo
	v_cmpx_ne_u16_e32 0x80, v7
	s_cbranch_execz .LBB298_367
; %bb.362:                              ;   in Loop: Header=BB298_13 Depth=1
	v_and_b32_e32 v166, 0xffff, v7
	v_mov_b32_e32 v164, 0x7fc02000
	s_mov_b32 s22, exec_lo
	s_delay_alu instid0(VALU_DEP_2) | instskip(NEXT) | instid1(VALU_DEP_1)
	v_and_b32_e32 v167, 0x7f, v166
	v_cmpx_ne_u32_e32 0x7f, v167
	s_cbranch_execz .LBB298_366
; %bb.363:                              ;   in Loop: Header=BB298_13 Depth=1
	v_and_b32_e32 v7, 7, v166
	v_lshrrev_b32_e32 v164, 3, v167
	s_mov_b32 s23, exec_lo
	v_cmpx_gt_u32_e32 8, v167
; %bb.364:                              ;   in Loop: Header=BB298_13 Depth=1
	s_delay_alu instid0(VALU_DEP_3) | instskip(NEXT) | instid1(VALU_DEP_1)
	v_clz_i32_u32_e32 v164, v7
	v_min_u32_e32 v164, 32, v164
	s_delay_alu instid0(VALU_DEP_1) | instskip(SKIP_1) | instid1(VALU_DEP_2)
	v_subrev_nc_u32_e32 v167, 28, v164
	v_sub_nc_u32_e32 v164, 29, v164
	v_lshlrev_b64 v[176:177], v167, v[7:8]
	s_delay_alu instid0(VALU_DEP_1)
	v_and_b32_e32 v7, 7, v176
; %bb.365:                              ;   in Loop: Header=BB298_13 Depth=1
	s_or_b32 exec_lo, exec_lo, s23
	v_lshlrev_b32_e32 v166, 8, v166
	v_lshl_add_u32 v164, v164, 10, 0x2000
	s_delay_alu instid0(VALU_DEP_1) | instskip(NEXT) | instid1(VALU_DEP_1)
	v_and_or_b32 v164, 0x8000, v166, v164
	v_lshl_or_b32 v7, v7, 7, v164
	s_delay_alu instid0(VALU_DEP_1)
	v_cvt_f32_f16_e64 v164, v7
.LBB298_366:                            ;   in Loop: Header=BB298_13 Depth=1
	s_or_b32 exec_lo, exec_lo, s22
.LBB298_367:                            ;   in Loop: Header=BB298_13 Depth=1
	s_delay_alu instid0(SALU_CYCLE_1)
	s_or_b32 exec_lo, exec_lo, s21
.LBB298_368:                            ;   in Loop: Header=BB298_13 Depth=1
	s_delay_alu instid0(SALU_CYCLE_1) | instskip(SKIP_4) | instid1(VALU_DEP_2)
	s_or_b32 exec_lo, exec_lo, s20
	flat_load_u16 v7, v[31:32] offset:1408
	s_waitcnt vmcnt(0) lgkmcnt(0)
	v_dual_mov_b32 v166, 0 :: v_dual_and_b32 v167, 0xff, v7
	v_and_b32_e32 v176, 0xffff, v7
	v_cmp_ne_u16_e64 s2, 0, v167
	v_mov_b32_e32 v167, 0
	s_delay_alu instid0(VALU_DEP_2)
	s_and_saveexec_b32 s20, s2
	s_cbranch_execz .LBB298_376
; %bb.369:                              ;   in Loop: Header=BB298_13 Depth=1
	v_and_b32_e32 v7, 0xff, v176
	v_bfrev_b32_e32 v167, 1
	s_mov_b32 s21, exec_lo
	s_delay_alu instid0(VALU_DEP_2)
	v_cmpx_ne_u16_e32 0x80, v7
	s_cbranch_execz .LBB298_375
; %bb.370:                              ;   in Loop: Header=BB298_13 Depth=1
	v_and_b32_e32 v177, 0x7f, v176
	v_mov_b32_e32 v167, 0x7fc02000
	s_mov_b32 s22, exec_lo
	s_delay_alu instid0(VALU_DEP_2)
	v_cmpx_ne_u32_e32 0x7f, v177
	s_cbranch_execz .LBB298_374
; %bb.371:                              ;   in Loop: Header=BB298_13 Depth=1
	v_and_b32_e32 v7, 7, v176
	v_lshrrev_b32_e32 v167, 3, v177
	s_mov_b32 s23, exec_lo
	v_cmpx_gt_u32_e32 8, v177
; %bb.372:                              ;   in Loop: Header=BB298_13 Depth=1
	s_delay_alu instid0(VALU_DEP_3) | instskip(NEXT) | instid1(VALU_DEP_1)
	v_clz_i32_u32_e32 v167, v7
	v_min_u32_e32 v167, 32, v167
	s_delay_alu instid0(VALU_DEP_1) | instskip(SKIP_1) | instid1(VALU_DEP_2)
	v_subrev_nc_u32_e32 v177, 28, v167
	v_sub_nc_u32_e32 v167, 29, v167
	v_lshlrev_b64 v[177:178], v177, v[7:8]
	s_delay_alu instid0(VALU_DEP_1)
	v_and_b32_e32 v7, 7, v177
; %bb.373:                              ;   in Loop: Header=BB298_13 Depth=1
	s_or_b32 exec_lo, exec_lo, s23
	v_lshlrev_b32_e32 v177, 8, v176
	v_lshl_add_u32 v167, v167, 10, 0x2000
	s_delay_alu instid0(VALU_DEP_1) | instskip(NEXT) | instid1(VALU_DEP_1)
	v_and_or_b32 v167, 0x8000, v177, v167
	v_lshl_or_b32 v7, v7, 7, v167
	s_delay_alu instid0(VALU_DEP_1)
	v_cvt_f32_f16_e64 v167, v7
.LBB298_374:                            ;   in Loop: Header=BB298_13 Depth=1
	s_or_b32 exec_lo, exec_lo, s22
.LBB298_375:                            ;   in Loop: Header=BB298_13 Depth=1
	s_delay_alu instid0(SALU_CYCLE_1)
	s_or_b32 exec_lo, exec_lo, s21
.LBB298_376:                            ;   in Loop: Header=BB298_13 Depth=1
	s_delay_alu instid0(SALU_CYCLE_1) | instskip(SKIP_2) | instid1(VALU_DEP_1)
	s_or_b32 exec_lo, exec_lo, s20
	v_lshrrev_b16 v7, 8, v176
	s_mov_b32 s20, exec_lo
	v_cmpx_ne_u16_e32 0, v7
	s_cbranch_execz .LBB298_384
; %bb.377:                              ;   in Loop: Header=BB298_13 Depth=1
	v_bfrev_b32_e32 v166, 1
	s_mov_b32 s21, exec_lo
	v_cmpx_ne_u16_e32 0x80, v7
	s_cbranch_execz .LBB298_383
; %bb.378:                              ;   in Loop: Header=BB298_13 Depth=1
	v_and_b32_e32 v176, 0xffff, v7
	v_mov_b32_e32 v166, 0x7fc02000
	s_mov_b32 s22, exec_lo
	s_delay_alu instid0(VALU_DEP_2) | instskip(NEXT) | instid1(VALU_DEP_1)
	v_and_b32_e32 v177, 0x7f, v176
	v_cmpx_ne_u32_e32 0x7f, v177
	s_cbranch_execz .LBB298_382
; %bb.379:                              ;   in Loop: Header=BB298_13 Depth=1
	v_and_b32_e32 v7, 7, v176
	v_lshrrev_b32_e32 v166, 3, v177
	s_mov_b32 s23, exec_lo
	v_cmpx_gt_u32_e32 8, v177
; %bb.380:                              ;   in Loop: Header=BB298_13 Depth=1
	s_delay_alu instid0(VALU_DEP_3) | instskip(NEXT) | instid1(VALU_DEP_1)
	v_clz_i32_u32_e32 v166, v7
	v_min_u32_e32 v166, 32, v166
	s_delay_alu instid0(VALU_DEP_1) | instskip(SKIP_1) | instid1(VALU_DEP_2)
	v_subrev_nc_u32_e32 v177, 28, v166
	v_sub_nc_u32_e32 v166, 29, v166
	v_lshlrev_b64 v[177:178], v177, v[7:8]
	s_delay_alu instid0(VALU_DEP_1)
	v_and_b32_e32 v7, 7, v177
; %bb.381:                              ;   in Loop: Header=BB298_13 Depth=1
	s_or_b32 exec_lo, exec_lo, s23
	v_lshlrev_b32_e32 v176, 8, v176
	v_lshl_add_u32 v166, v166, 10, 0x2000
	s_delay_alu instid0(VALU_DEP_1) | instskip(NEXT) | instid1(VALU_DEP_1)
	v_and_or_b32 v166, 0x8000, v176, v166
	v_lshl_or_b32 v7, v7, 7, v166
	s_delay_alu instid0(VALU_DEP_1)
	v_cvt_f32_f16_e64 v166, v7
.LBB298_382:                            ;   in Loop: Header=BB298_13 Depth=1
	s_or_b32 exec_lo, exec_lo, s22
.LBB298_383:                            ;   in Loop: Header=BB298_13 Depth=1
	s_delay_alu instid0(SALU_CYCLE_1)
	s_or_b32 exec_lo, exec_lo, s21
.LBB298_384:                            ;   in Loop: Header=BB298_13 Depth=1
	s_delay_alu instid0(SALU_CYCLE_1) | instskip(SKIP_4) | instid1(VALU_DEP_2)
	s_or_b32 exec_lo, exec_lo, s20
	flat_load_u16 v7, v[31:32] offset:1416
	s_waitcnt vmcnt(0) lgkmcnt(0)
	v_dual_mov_b32 v176, 0 :: v_dual_and_b32 v177, 0xff, v7
	v_and_b32_e32 v178, 0xffff, v7
	v_cmp_ne_u16_e64 s2, 0, v177
	v_mov_b32_e32 v177, 0
	s_delay_alu instid0(VALU_DEP_2)
	s_and_saveexec_b32 s20, s2
	s_cbranch_execz .LBB298_392
; %bb.385:                              ;   in Loop: Header=BB298_13 Depth=1
	v_and_b32_e32 v7, 0xff, v178
	v_bfrev_b32_e32 v177, 1
	s_mov_b32 s21, exec_lo
	s_delay_alu instid0(VALU_DEP_2)
	v_cmpx_ne_u16_e32 0x80, v7
	s_cbranch_execz .LBB298_391
; %bb.386:                              ;   in Loop: Header=BB298_13 Depth=1
	v_and_b32_e32 v179, 0x7f, v178
	v_mov_b32_e32 v177, 0x7fc02000
	s_mov_b32 s22, exec_lo
	s_delay_alu instid0(VALU_DEP_2)
	v_cmpx_ne_u32_e32 0x7f, v179
	s_cbranch_execz .LBB298_390
; %bb.387:                              ;   in Loop: Header=BB298_13 Depth=1
	v_and_b32_e32 v7, 7, v178
	v_lshrrev_b32_e32 v177, 3, v179
	s_mov_b32 s23, exec_lo
	v_cmpx_gt_u32_e32 8, v179
; %bb.388:                              ;   in Loop: Header=BB298_13 Depth=1
	s_delay_alu instid0(VALU_DEP_3) | instskip(NEXT) | instid1(VALU_DEP_1)
	v_clz_i32_u32_e32 v177, v7
	v_min_u32_e32 v177, 32, v177
	s_delay_alu instid0(VALU_DEP_1) | instskip(SKIP_1) | instid1(VALU_DEP_2)
	v_subrev_nc_u32_e32 v179, 28, v177
	v_sub_nc_u32_e32 v177, 29, v177
	v_lshlrev_b64 v[179:180], v179, v[7:8]
	s_delay_alu instid0(VALU_DEP_1)
	v_and_b32_e32 v7, 7, v179
; %bb.389:                              ;   in Loop: Header=BB298_13 Depth=1
	s_or_b32 exec_lo, exec_lo, s23
	v_lshlrev_b32_e32 v179, 8, v178
	v_lshl_add_u32 v177, v177, 10, 0x2000
	s_delay_alu instid0(VALU_DEP_1) | instskip(NEXT) | instid1(VALU_DEP_1)
	v_and_or_b32 v177, 0x8000, v179, v177
	v_lshl_or_b32 v7, v7, 7, v177
	s_delay_alu instid0(VALU_DEP_1)
	v_cvt_f32_f16_e64 v177, v7
.LBB298_390:                            ;   in Loop: Header=BB298_13 Depth=1
	s_or_b32 exec_lo, exec_lo, s22
.LBB298_391:                            ;   in Loop: Header=BB298_13 Depth=1
	s_delay_alu instid0(SALU_CYCLE_1)
	s_or_b32 exec_lo, exec_lo, s21
.LBB298_392:                            ;   in Loop: Header=BB298_13 Depth=1
	s_delay_alu instid0(SALU_CYCLE_1) | instskip(SKIP_2) | instid1(VALU_DEP_1)
	s_or_b32 exec_lo, exec_lo, s20
	v_lshrrev_b16 v7, 8, v178
	s_mov_b32 s20, exec_lo
	v_cmpx_ne_u16_e32 0, v7
	s_cbranch_execz .LBB298_400
; %bb.393:                              ;   in Loop: Header=BB298_13 Depth=1
	v_bfrev_b32_e32 v176, 1
	s_mov_b32 s21, exec_lo
	v_cmpx_ne_u16_e32 0x80, v7
	s_cbranch_execz .LBB298_399
; %bb.394:                              ;   in Loop: Header=BB298_13 Depth=1
	v_and_b32_e32 v178, 0xffff, v7
	v_mov_b32_e32 v176, 0x7fc02000
	s_mov_b32 s22, exec_lo
	s_delay_alu instid0(VALU_DEP_2) | instskip(NEXT) | instid1(VALU_DEP_1)
	v_and_b32_e32 v179, 0x7f, v178
	v_cmpx_ne_u32_e32 0x7f, v179
	s_cbranch_execz .LBB298_398
; %bb.395:                              ;   in Loop: Header=BB298_13 Depth=1
	v_and_b32_e32 v7, 7, v178
	v_lshrrev_b32_e32 v176, 3, v179
	s_mov_b32 s23, exec_lo
	v_cmpx_gt_u32_e32 8, v179
; %bb.396:                              ;   in Loop: Header=BB298_13 Depth=1
	s_delay_alu instid0(VALU_DEP_3) | instskip(NEXT) | instid1(VALU_DEP_1)
	v_clz_i32_u32_e32 v176, v7
	v_min_u32_e32 v176, 32, v176
	s_delay_alu instid0(VALU_DEP_1) | instskip(SKIP_1) | instid1(VALU_DEP_2)
	v_subrev_nc_u32_e32 v179, 28, v176
	v_sub_nc_u32_e32 v176, 29, v176
	v_lshlrev_b64 v[179:180], v179, v[7:8]
	s_delay_alu instid0(VALU_DEP_1)
	v_and_b32_e32 v7, 7, v179
; %bb.397:                              ;   in Loop: Header=BB298_13 Depth=1
	s_or_b32 exec_lo, exec_lo, s23
	v_lshlrev_b32_e32 v178, 8, v178
	v_lshl_add_u32 v176, v176, 10, 0x2000
	s_delay_alu instid0(VALU_DEP_1) | instskip(NEXT) | instid1(VALU_DEP_1)
	v_and_or_b32 v176, 0x8000, v178, v176
	v_lshl_or_b32 v7, v7, 7, v176
	s_delay_alu instid0(VALU_DEP_1)
	v_cvt_f32_f16_e64 v176, v7
.LBB298_398:                            ;   in Loop: Header=BB298_13 Depth=1
	s_or_b32 exec_lo, exec_lo, s22
.LBB298_399:                            ;   in Loop: Header=BB298_13 Depth=1
	s_delay_alu instid0(SALU_CYCLE_1)
	s_or_b32 exec_lo, exec_lo, s21
.LBB298_400:                            ;   in Loop: Header=BB298_13 Depth=1
	s_delay_alu instid0(SALU_CYCLE_1) | instskip(SKIP_4) | instid1(VALU_DEP_2)
	s_or_b32 exec_lo, exec_lo, s20
	flat_load_u16 v7, v[31:32] offset:1536
	s_waitcnt vmcnt(0) lgkmcnt(0)
	v_dual_mov_b32 v178, 0 :: v_dual_and_b32 v179, 0xff, v7
	v_and_b32_e32 v180, 0xffff, v7
	v_cmp_ne_u16_e64 s2, 0, v179
	v_mov_b32_e32 v179, 0
	s_delay_alu instid0(VALU_DEP_2)
	s_and_saveexec_b32 s20, s2
	s_cbranch_execz .LBB298_408
; %bb.401:                              ;   in Loop: Header=BB298_13 Depth=1
	v_and_b32_e32 v7, 0xff, v180
	v_bfrev_b32_e32 v179, 1
	s_mov_b32 s21, exec_lo
	s_delay_alu instid0(VALU_DEP_2)
	v_cmpx_ne_u16_e32 0x80, v7
	s_cbranch_execz .LBB298_407
; %bb.402:                              ;   in Loop: Header=BB298_13 Depth=1
	v_and_b32_e32 v181, 0x7f, v180
	v_mov_b32_e32 v179, 0x7fc02000
	s_mov_b32 s22, exec_lo
	s_delay_alu instid0(VALU_DEP_2)
	v_cmpx_ne_u32_e32 0x7f, v181
	s_cbranch_execz .LBB298_406
; %bb.403:                              ;   in Loop: Header=BB298_13 Depth=1
	v_and_b32_e32 v7, 7, v180
	v_lshrrev_b32_e32 v179, 3, v181
	s_mov_b32 s23, exec_lo
	v_cmpx_gt_u32_e32 8, v181
; %bb.404:                              ;   in Loop: Header=BB298_13 Depth=1
	s_delay_alu instid0(VALU_DEP_3) | instskip(NEXT) | instid1(VALU_DEP_1)
	v_clz_i32_u32_e32 v179, v7
	v_min_u32_e32 v179, 32, v179
	s_delay_alu instid0(VALU_DEP_1) | instskip(SKIP_1) | instid1(VALU_DEP_2)
	v_subrev_nc_u32_e32 v181, 28, v179
	v_sub_nc_u32_e32 v179, 29, v179
	v_lshlrev_b64 v[181:182], v181, v[7:8]
	s_delay_alu instid0(VALU_DEP_1)
	v_and_b32_e32 v7, 7, v181
; %bb.405:                              ;   in Loop: Header=BB298_13 Depth=1
	s_or_b32 exec_lo, exec_lo, s23
	v_lshlrev_b32_e32 v181, 8, v180
	v_lshl_add_u32 v179, v179, 10, 0x2000
	s_delay_alu instid0(VALU_DEP_1) | instskip(NEXT) | instid1(VALU_DEP_1)
	v_and_or_b32 v179, 0x8000, v181, v179
	v_lshl_or_b32 v7, v7, 7, v179
	s_delay_alu instid0(VALU_DEP_1)
	v_cvt_f32_f16_e64 v179, v7
.LBB298_406:                            ;   in Loop: Header=BB298_13 Depth=1
	s_or_b32 exec_lo, exec_lo, s22
.LBB298_407:                            ;   in Loop: Header=BB298_13 Depth=1
	s_delay_alu instid0(SALU_CYCLE_1)
	s_or_b32 exec_lo, exec_lo, s21
.LBB298_408:                            ;   in Loop: Header=BB298_13 Depth=1
	s_delay_alu instid0(SALU_CYCLE_1) | instskip(SKIP_2) | instid1(VALU_DEP_1)
	s_or_b32 exec_lo, exec_lo, s20
	v_lshrrev_b16 v7, 8, v180
	s_mov_b32 s20, exec_lo
	v_cmpx_ne_u16_e32 0, v7
	s_cbranch_execz .LBB298_416
; %bb.409:                              ;   in Loop: Header=BB298_13 Depth=1
	v_bfrev_b32_e32 v178, 1
	s_mov_b32 s21, exec_lo
	v_cmpx_ne_u16_e32 0x80, v7
	s_cbranch_execz .LBB298_415
; %bb.410:                              ;   in Loop: Header=BB298_13 Depth=1
	v_and_b32_e32 v180, 0xffff, v7
	v_mov_b32_e32 v178, 0x7fc02000
	s_mov_b32 s22, exec_lo
	s_delay_alu instid0(VALU_DEP_2) | instskip(NEXT) | instid1(VALU_DEP_1)
	v_and_b32_e32 v181, 0x7f, v180
	v_cmpx_ne_u32_e32 0x7f, v181
	s_cbranch_execz .LBB298_414
; %bb.411:                              ;   in Loop: Header=BB298_13 Depth=1
	v_and_b32_e32 v7, 7, v180
	v_lshrrev_b32_e32 v178, 3, v181
	s_mov_b32 s23, exec_lo
	v_cmpx_gt_u32_e32 8, v181
; %bb.412:                              ;   in Loop: Header=BB298_13 Depth=1
	s_delay_alu instid0(VALU_DEP_3) | instskip(NEXT) | instid1(VALU_DEP_1)
	v_clz_i32_u32_e32 v178, v7
	v_min_u32_e32 v178, 32, v178
	s_delay_alu instid0(VALU_DEP_1) | instskip(SKIP_1) | instid1(VALU_DEP_2)
	v_subrev_nc_u32_e32 v181, 28, v178
	v_sub_nc_u32_e32 v178, 29, v178
	v_lshlrev_b64 v[181:182], v181, v[7:8]
	s_delay_alu instid0(VALU_DEP_1)
	v_and_b32_e32 v7, 7, v181
; %bb.413:                              ;   in Loop: Header=BB298_13 Depth=1
	s_or_b32 exec_lo, exec_lo, s23
	v_lshlrev_b32_e32 v180, 8, v180
	v_lshl_add_u32 v178, v178, 10, 0x2000
	s_delay_alu instid0(VALU_DEP_1) | instskip(NEXT) | instid1(VALU_DEP_1)
	v_and_or_b32 v178, 0x8000, v180, v178
	v_lshl_or_b32 v7, v7, 7, v178
	s_delay_alu instid0(VALU_DEP_1)
	v_cvt_f32_f16_e64 v178, v7
.LBB298_414:                            ;   in Loop: Header=BB298_13 Depth=1
	s_or_b32 exec_lo, exec_lo, s22
.LBB298_415:                            ;   in Loop: Header=BB298_13 Depth=1
	s_delay_alu instid0(SALU_CYCLE_1)
	s_or_b32 exec_lo, exec_lo, s21
.LBB298_416:                            ;   in Loop: Header=BB298_13 Depth=1
	s_delay_alu instid0(SALU_CYCLE_1) | instskip(SKIP_4) | instid1(VALU_DEP_2)
	s_or_b32 exec_lo, exec_lo, s20
	flat_load_u16 v7, v[31:32] offset:1544
	s_waitcnt vmcnt(0) lgkmcnt(0)
	v_dual_mov_b32 v180, 0 :: v_dual_and_b32 v181, 0xff, v7
	v_and_b32_e32 v182, 0xffff, v7
	v_cmp_ne_u16_e64 s2, 0, v181
	v_mov_b32_e32 v181, 0
	s_delay_alu instid0(VALU_DEP_2)
	s_and_saveexec_b32 s20, s2
	s_cbranch_execz .LBB298_424
; %bb.417:                              ;   in Loop: Header=BB298_13 Depth=1
	v_and_b32_e32 v7, 0xff, v182
	v_bfrev_b32_e32 v181, 1
	s_mov_b32 s21, exec_lo
	s_delay_alu instid0(VALU_DEP_2)
	v_cmpx_ne_u16_e32 0x80, v7
	s_cbranch_execz .LBB298_423
; %bb.418:                              ;   in Loop: Header=BB298_13 Depth=1
	v_and_b32_e32 v183, 0x7f, v182
	v_mov_b32_e32 v181, 0x7fc02000
	s_mov_b32 s22, exec_lo
	s_delay_alu instid0(VALU_DEP_2)
	v_cmpx_ne_u32_e32 0x7f, v183
	s_cbranch_execz .LBB298_422
; %bb.419:                              ;   in Loop: Header=BB298_13 Depth=1
	v_and_b32_e32 v7, 7, v182
	v_lshrrev_b32_e32 v181, 3, v183
	s_mov_b32 s23, exec_lo
	v_cmpx_gt_u32_e32 8, v183
; %bb.420:                              ;   in Loop: Header=BB298_13 Depth=1
	s_delay_alu instid0(VALU_DEP_3) | instskip(NEXT) | instid1(VALU_DEP_1)
	v_clz_i32_u32_e32 v181, v7
	v_min_u32_e32 v181, 32, v181
	s_delay_alu instid0(VALU_DEP_1) | instskip(SKIP_1) | instid1(VALU_DEP_2)
	v_subrev_nc_u32_e32 v183, 28, v181
	v_sub_nc_u32_e32 v181, 29, v181
	v_lshlrev_b64 v[40:41], v183, v[7:8]
	s_delay_alu instid0(VALU_DEP_1)
	v_and_b32_e32 v7, 7, v40
; %bb.421:                              ;   in Loop: Header=BB298_13 Depth=1
	s_or_b32 exec_lo, exec_lo, s23
	v_lshlrev_b32_e32 v183, 8, v182
	v_lshl_add_u32 v181, v181, 10, 0x2000
	s_delay_alu instid0(VALU_DEP_1) | instskip(NEXT) | instid1(VALU_DEP_1)
	v_and_or_b32 v181, 0x8000, v183, v181
	v_lshl_or_b32 v7, v7, 7, v181
	s_delay_alu instid0(VALU_DEP_1)
	v_cvt_f32_f16_e64 v181, v7
.LBB298_422:                            ;   in Loop: Header=BB298_13 Depth=1
	s_or_b32 exec_lo, exec_lo, s22
.LBB298_423:                            ;   in Loop: Header=BB298_13 Depth=1
	s_delay_alu instid0(SALU_CYCLE_1)
	s_or_b32 exec_lo, exec_lo, s21
.LBB298_424:                            ;   in Loop: Header=BB298_13 Depth=1
	s_delay_alu instid0(SALU_CYCLE_1) | instskip(SKIP_2) | instid1(VALU_DEP_1)
	s_or_b32 exec_lo, exec_lo, s20
	v_lshrrev_b16 v7, 8, v182
	s_mov_b32 s20, exec_lo
	v_cmpx_ne_u16_e32 0, v7
	s_cbranch_execz .LBB298_432
; %bb.425:                              ;   in Loop: Header=BB298_13 Depth=1
	v_bfrev_b32_e32 v180, 1
	s_mov_b32 s21, exec_lo
	v_cmpx_ne_u16_e32 0x80, v7
	s_cbranch_execz .LBB298_431
; %bb.426:                              ;   in Loop: Header=BB298_13 Depth=1
	v_and_b32_e32 v182, 0xffff, v7
	v_mov_b32_e32 v180, 0x7fc02000
	s_mov_b32 s22, exec_lo
	s_delay_alu instid0(VALU_DEP_2) | instskip(NEXT) | instid1(VALU_DEP_1)
	v_and_b32_e32 v183, 0x7f, v182
	v_cmpx_ne_u32_e32 0x7f, v183
	s_cbranch_execz .LBB298_430
; %bb.427:                              ;   in Loop: Header=BB298_13 Depth=1
	v_and_b32_e32 v7, 7, v182
	v_lshrrev_b32_e32 v180, 3, v183
	s_mov_b32 s23, exec_lo
	v_cmpx_gt_u32_e32 8, v183
; %bb.428:                              ;   in Loop: Header=BB298_13 Depth=1
	s_delay_alu instid0(VALU_DEP_3) | instskip(NEXT) | instid1(VALU_DEP_1)
	v_clz_i32_u32_e32 v180, v7
	v_min_u32_e32 v180, 32, v180
	s_delay_alu instid0(VALU_DEP_1) | instskip(SKIP_1) | instid1(VALU_DEP_2)
	v_subrev_nc_u32_e32 v183, 28, v180
	v_sub_nc_u32_e32 v180, 29, v180
	v_lshlrev_b64 v[40:41], v183, v[7:8]
	s_delay_alu instid0(VALU_DEP_1)
	v_and_b32_e32 v7, 7, v40
; %bb.429:                              ;   in Loop: Header=BB298_13 Depth=1
	s_or_b32 exec_lo, exec_lo, s23
	v_lshlrev_b32_e32 v182, 8, v182
	v_lshl_add_u32 v180, v180, 10, 0x2000
	s_delay_alu instid0(VALU_DEP_1) | instskip(NEXT) | instid1(VALU_DEP_1)
	v_and_or_b32 v180, 0x8000, v182, v180
	v_lshl_or_b32 v7, v7, 7, v180
	s_delay_alu instid0(VALU_DEP_1)
	v_cvt_f32_f16_e64 v180, v7
.LBB298_430:                            ;   in Loop: Header=BB298_13 Depth=1
	s_or_b32 exec_lo, exec_lo, s22
.LBB298_431:                            ;   in Loop: Header=BB298_13 Depth=1
	s_delay_alu instid0(SALU_CYCLE_1)
	s_or_b32 exec_lo, exec_lo, s21
.LBB298_432:                            ;   in Loop: Header=BB298_13 Depth=1
	s_delay_alu instid0(SALU_CYCLE_1) | instskip(SKIP_4) | instid1(VALU_DEP_2)
	s_or_b32 exec_lo, exec_lo, s20
	flat_load_u16 v7, v[31:32] offset:1664
	s_waitcnt vmcnt(0) lgkmcnt(0)
	v_dual_mov_b32 v182, 0 :: v_dual_and_b32 v183, 0xff, v7
	v_and_b32_e32 v40, 0xffff, v7
	v_cmp_ne_u16_e64 s2, 0, v183
	v_mov_b32_e32 v183, 0
	s_delay_alu instid0(VALU_DEP_2)
	s_and_saveexec_b32 s20, s2
	s_cbranch_execz .LBB298_440
; %bb.433:                              ;   in Loop: Header=BB298_13 Depth=1
	v_and_b32_e32 v7, 0xff, v40
	v_bfrev_b32_e32 v183, 1
	s_mov_b32 s21, exec_lo
	s_delay_alu instid0(VALU_DEP_2)
	v_cmpx_ne_u16_e32 0x80, v7
	s_cbranch_execz .LBB298_439
; %bb.434:                              ;   in Loop: Header=BB298_13 Depth=1
	v_and_b32_e32 v41, 0x7f, v40
	v_mov_b32_e32 v183, 0x7fc02000
	s_mov_b32 s22, exec_lo
	s_delay_alu instid0(VALU_DEP_2)
	v_cmpx_ne_u32_e32 0x7f, v41
	s_cbranch_execz .LBB298_438
; %bb.435:                              ;   in Loop: Header=BB298_13 Depth=1
	v_and_b32_e32 v7, 7, v40
	v_lshrrev_b32_e32 v183, 3, v41
	s_mov_b32 s23, exec_lo
	v_cmpx_gt_u32_e32 8, v41
; %bb.436:                              ;   in Loop: Header=BB298_13 Depth=1
	s_delay_alu instid0(VALU_DEP_3) | instskip(NEXT) | instid1(VALU_DEP_1)
	v_clz_i32_u32_e32 v183, v7
	v_min_u32_e32 v183, 32, v183
	s_delay_alu instid0(VALU_DEP_1) | instskip(SKIP_1) | instid1(VALU_DEP_2)
	v_subrev_nc_u32_e32 v41, 28, v183
	v_sub_nc_u32_e32 v183, 29, v183
	v_lshlrev_b64 v[41:42], v41, v[7:8]
	s_delay_alu instid0(VALU_DEP_1)
	v_and_b32_e32 v7, 7, v41
; %bb.437:                              ;   in Loop: Header=BB298_13 Depth=1
	s_or_b32 exec_lo, exec_lo, s23
	v_lshlrev_b32_e32 v41, 8, v40
	v_lshl_add_u32 v183, v183, 10, 0x2000
	s_delay_alu instid0(VALU_DEP_1) | instskip(NEXT) | instid1(VALU_DEP_1)
	v_and_or_b32 v183, 0x8000, v41, v183
	v_lshl_or_b32 v7, v7, 7, v183
	s_delay_alu instid0(VALU_DEP_1)
	v_cvt_f32_f16_e64 v183, v7
.LBB298_438:                            ;   in Loop: Header=BB298_13 Depth=1
	s_or_b32 exec_lo, exec_lo, s22
.LBB298_439:                            ;   in Loop: Header=BB298_13 Depth=1
	s_delay_alu instid0(SALU_CYCLE_1)
	s_or_b32 exec_lo, exec_lo, s21
.LBB298_440:                            ;   in Loop: Header=BB298_13 Depth=1
	s_delay_alu instid0(SALU_CYCLE_1) | instskip(SKIP_2) | instid1(VALU_DEP_1)
	s_or_b32 exec_lo, exec_lo, s20
	v_lshrrev_b16 v7, 8, v40
	s_mov_b32 s20, exec_lo
	v_cmpx_ne_u16_e32 0, v7
	s_cbranch_execz .LBB298_448
; %bb.441:                              ;   in Loop: Header=BB298_13 Depth=1
	v_bfrev_b32_e32 v182, 1
	s_mov_b32 s21, exec_lo
	v_cmpx_ne_u16_e32 0x80, v7
	s_cbranch_execz .LBB298_447
; %bb.442:                              ;   in Loop: Header=BB298_13 Depth=1
	v_and_b32_e32 v40, 0xffff, v7
	v_mov_b32_e32 v182, 0x7fc02000
	s_mov_b32 s22, exec_lo
	s_delay_alu instid0(VALU_DEP_2) | instskip(NEXT) | instid1(VALU_DEP_1)
	v_and_b32_e32 v41, 0x7f, v40
	v_cmpx_ne_u32_e32 0x7f, v41
	s_cbranch_execz .LBB298_446
; %bb.443:                              ;   in Loop: Header=BB298_13 Depth=1
	v_and_b32_e32 v7, 7, v40
	v_lshrrev_b32_e32 v182, 3, v41
	s_mov_b32 s23, exec_lo
	v_cmpx_gt_u32_e32 8, v41
; %bb.444:                              ;   in Loop: Header=BB298_13 Depth=1
	s_delay_alu instid0(VALU_DEP_3) | instskip(NEXT) | instid1(VALU_DEP_1)
	v_clz_i32_u32_e32 v182, v7
	v_min_u32_e32 v182, 32, v182
	s_delay_alu instid0(VALU_DEP_1) | instskip(SKIP_1) | instid1(VALU_DEP_2)
	v_subrev_nc_u32_e32 v41, 28, v182
	v_sub_nc_u32_e32 v182, 29, v182
	v_lshlrev_b64 v[41:42], v41, v[7:8]
	s_delay_alu instid0(VALU_DEP_1)
	v_and_b32_e32 v7, 7, v41
; %bb.445:                              ;   in Loop: Header=BB298_13 Depth=1
	s_or_b32 exec_lo, exec_lo, s23
	v_lshlrev_b32_e32 v40, 8, v40
	v_lshl_add_u32 v182, v182, 10, 0x2000
	s_delay_alu instid0(VALU_DEP_1) | instskip(NEXT) | instid1(VALU_DEP_1)
	v_and_or_b32 v182, 0x8000, v40, v182
	v_lshl_or_b32 v7, v7, 7, v182
	s_delay_alu instid0(VALU_DEP_1)
	v_cvt_f32_f16_e64 v182, v7
.LBB298_446:                            ;   in Loop: Header=BB298_13 Depth=1
	s_or_b32 exec_lo, exec_lo, s22
.LBB298_447:                            ;   in Loop: Header=BB298_13 Depth=1
	s_delay_alu instid0(SALU_CYCLE_1)
	s_or_b32 exec_lo, exec_lo, s21
.LBB298_448:                            ;   in Loop: Header=BB298_13 Depth=1
	s_delay_alu instid0(SALU_CYCLE_1)
	s_or_b32 exec_lo, exec_lo, s20
	flat_load_u16 v7, v[31:32] offset:1672
	v_mov_b32_e32 v43, 0
	s_mov_b32 s20, exec_lo
	v_mov_b32_e32 v44, 0
	s_waitcnt vmcnt(0) lgkmcnt(0)
	v_and_b32_e32 v40, 0xffff, v7
	v_and_b32_e32 v41, 0xff, v7
	s_delay_alu instid0(VALU_DEP_1)
	v_cmpx_ne_u16_e32 0, v41
	s_cbranch_execz .LBB298_456
; %bb.449:                              ;   in Loop: Header=BB298_13 Depth=1
	s_delay_alu instid0(VALU_DEP_3) | instskip(SKIP_2) | instid1(VALU_DEP_2)
	v_and_b32_e32 v7, 0xff, v40
	v_bfrev_b32_e32 v44, 1
	s_mov_b32 s21, exec_lo
	v_cmpx_ne_u16_e32 0x80, v7
	s_cbranch_execz .LBB298_455
; %bb.450:                              ;   in Loop: Header=BB298_13 Depth=1
	v_and_b32_e32 v42, 0x7f, v40
	v_mov_b32_e32 v44, 0x7fc02000
	s_mov_b32 s22, exec_lo
	s_delay_alu instid0(VALU_DEP_2)
	v_cmpx_ne_u32_e32 0x7f, v42
	s_cbranch_execz .LBB298_454
; %bb.451:                              ;   in Loop: Header=BB298_13 Depth=1
	v_and_b32_e32 v7, 7, v40
	v_lshrrev_b32_e32 v41, 3, v42
	s_mov_b32 s23, exec_lo
	v_cmpx_gt_u32_e32 8, v42
; %bb.452:                              ;   in Loop: Header=BB298_13 Depth=1
	s_delay_alu instid0(VALU_DEP_3) | instskip(NEXT) | instid1(VALU_DEP_1)
	v_clz_i32_u32_e32 v41, v7
	v_min_u32_e32 v41, 32, v41
	s_delay_alu instid0(VALU_DEP_1) | instskip(SKIP_1) | instid1(VALU_DEP_2)
	v_subrev_nc_u32_e32 v42, 28, v41
	v_sub_nc_u32_e32 v41, 29, v41
	v_lshlrev_b64 v[44:45], v42, v[7:8]
	s_delay_alu instid0(VALU_DEP_1)
	v_and_b32_e32 v7, 7, v44
; %bb.453:                              ;   in Loop: Header=BB298_13 Depth=1
	s_or_b32 exec_lo, exec_lo, s23
	v_lshlrev_b32_e32 v42, 8, v40
	v_lshl_add_u32 v41, v41, 10, 0x2000
	s_delay_alu instid0(VALU_DEP_1) | instskip(NEXT) | instid1(VALU_DEP_1)
	v_and_or_b32 v41, 0x8000, v42, v41
	v_lshl_or_b32 v7, v7, 7, v41
	s_delay_alu instid0(VALU_DEP_1)
	v_cvt_f32_f16_e32 v44, v7
.LBB298_454:                            ;   in Loop: Header=BB298_13 Depth=1
	s_or_b32 exec_lo, exec_lo, s22
.LBB298_455:                            ;   in Loop: Header=BB298_13 Depth=1
	s_delay_alu instid0(SALU_CYCLE_1)
	s_or_b32 exec_lo, exec_lo, s21
.LBB298_456:                            ;   in Loop: Header=BB298_13 Depth=1
	s_delay_alu instid0(SALU_CYCLE_1) | instskip(SKIP_2) | instid1(VALU_DEP_1)
	s_or_b32 exec_lo, exec_lo, s20
	v_lshrrev_b16 v7, 8, v40
	s_mov_b32 s20, exec_lo
	v_cmpx_ne_u16_e32 0, v7
	s_cbranch_execz .LBB298_464
; %bb.457:                              ;   in Loop: Header=BB298_13 Depth=1
	v_bfrev_b32_e32 v43, 1
	s_mov_b32 s21, exec_lo
	v_cmpx_ne_u16_e32 0x80, v7
	s_cbranch_execz .LBB298_463
; %bb.458:                              ;   in Loop: Header=BB298_13 Depth=1
	v_and_b32_e32 v40, 0xffff, v7
	v_mov_b32_e32 v43, 0x7fc02000
	s_mov_b32 s22, exec_lo
	s_delay_alu instid0(VALU_DEP_2) | instskip(NEXT) | instid1(VALU_DEP_1)
	v_and_b32_e32 v42, 0x7f, v40
	v_cmpx_ne_u32_e32 0x7f, v42
	s_cbranch_execz .LBB298_462
; %bb.459:                              ;   in Loop: Header=BB298_13 Depth=1
	v_and_b32_e32 v7, 7, v40
	v_lshrrev_b32_e32 v41, 3, v42
	s_mov_b32 s23, exec_lo
	v_cmpx_gt_u32_e32 8, v42
; %bb.460:                              ;   in Loop: Header=BB298_13 Depth=1
	s_delay_alu instid0(VALU_DEP_3) | instskip(NEXT) | instid1(VALU_DEP_1)
	v_clz_i32_u32_e32 v41, v7
	v_min_u32_e32 v41, 32, v41
	s_delay_alu instid0(VALU_DEP_1) | instskip(SKIP_1) | instid1(VALU_DEP_2)
	v_subrev_nc_u32_e32 v42, 28, v41
	v_sub_nc_u32_e32 v41, 29, v41
	v_lshlrev_b64 v[42:43], v42, v[7:8]
	s_delay_alu instid0(VALU_DEP_1)
	v_and_b32_e32 v7, 7, v42
; %bb.461:                              ;   in Loop: Header=BB298_13 Depth=1
	s_or_b32 exec_lo, exec_lo, s23
	v_lshlrev_b32_e32 v40, 8, v40
	v_lshl_add_u32 v41, v41, 10, 0x2000
	s_delay_alu instid0(VALU_DEP_1) | instskip(NEXT) | instid1(VALU_DEP_1)
	v_and_or_b32 v40, 0x8000, v40, v41
	v_lshl_or_b32 v7, v7, 7, v40
	s_delay_alu instid0(VALU_DEP_1)
	v_cvt_f32_f16_e32 v43, v7
.LBB298_462:                            ;   in Loop: Header=BB298_13 Depth=1
	s_or_b32 exec_lo, exec_lo, s22
.LBB298_463:                            ;   in Loop: Header=BB298_13 Depth=1
	s_delay_alu instid0(SALU_CYCLE_1)
	s_or_b32 exec_lo, exec_lo, s21
.LBB298_464:                            ;   in Loop: Header=BB298_13 Depth=1
	s_delay_alu instid0(SALU_CYCLE_1) | instskip(SKIP_4) | instid1(VALU_DEP_2)
	s_or_b32 exec_lo, exec_lo, s20
	flat_load_u16 v7, v[31:32] offset:1792
	s_waitcnt vmcnt(0) lgkmcnt(0)
	v_dual_mov_b32 v41, 0 :: v_dual_and_b32 v42, 0xff, v7
	v_and_b32_e32 v40, 0xffff, v7
	v_cmp_ne_u16_e64 s2, 0, v42
	v_mov_b32_e32 v42, 0
	s_delay_alu instid0(VALU_DEP_2)
	s_and_saveexec_b32 s20, s2
	s_cbranch_execz .LBB298_472
; %bb.465:                              ;   in Loop: Header=BB298_13 Depth=1
	v_and_b32_e32 v7, 0xff, v40
	v_bfrev_b32_e32 v42, 1
	s_mov_b32 s21, exec_lo
	s_delay_alu instid0(VALU_DEP_2)
	v_cmpx_ne_u16_e32 0x80, v7
	s_cbranch_execz .LBB298_471
; %bb.466:                              ;   in Loop: Header=BB298_13 Depth=1
	v_and_b32_e32 v45, 0x7f, v40
	v_mov_b32_e32 v42, 0x7fc02000
	s_mov_b32 s22, exec_lo
	s_delay_alu instid0(VALU_DEP_2)
	v_cmpx_ne_u32_e32 0x7f, v45
	s_cbranch_execz .LBB298_470
; %bb.467:                              ;   in Loop: Header=BB298_13 Depth=1
	v_and_b32_e32 v7, 7, v40
	v_lshrrev_b32_e32 v42, 3, v45
	s_mov_b32 s23, exec_lo
	v_cmpx_gt_u32_e32 8, v45
; %bb.468:                              ;   in Loop: Header=BB298_13 Depth=1
	s_delay_alu instid0(VALU_DEP_3) | instskip(NEXT) | instid1(VALU_DEP_1)
	v_clz_i32_u32_e32 v42, v7
	v_min_u32_e32 v42, 32, v42
	s_delay_alu instid0(VALU_DEP_1) | instskip(SKIP_1) | instid1(VALU_DEP_2)
	v_subrev_nc_u32_e32 v45, 28, v42
	v_sub_nc_u32_e32 v42, 29, v42
	v_lshlrev_b64 v[45:46], v45, v[7:8]
	s_delay_alu instid0(VALU_DEP_1)
	v_and_b32_e32 v7, 7, v45
; %bb.469:                              ;   in Loop: Header=BB298_13 Depth=1
	s_or_b32 exec_lo, exec_lo, s23
	v_lshlrev_b32_e32 v45, 8, v40
	v_lshl_add_u32 v42, v42, 10, 0x2000
	s_delay_alu instid0(VALU_DEP_1) | instskip(NEXT) | instid1(VALU_DEP_1)
	v_and_or_b32 v42, 0x8000, v45, v42
	v_lshl_or_b32 v7, v7, 7, v42
	s_delay_alu instid0(VALU_DEP_1)
	v_cvt_f32_f16_e32 v42, v7
.LBB298_470:                            ;   in Loop: Header=BB298_13 Depth=1
	s_or_b32 exec_lo, exec_lo, s22
.LBB298_471:                            ;   in Loop: Header=BB298_13 Depth=1
	s_delay_alu instid0(SALU_CYCLE_1)
	s_or_b32 exec_lo, exec_lo, s21
.LBB298_472:                            ;   in Loop: Header=BB298_13 Depth=1
	s_delay_alu instid0(SALU_CYCLE_1) | instskip(SKIP_2) | instid1(VALU_DEP_1)
	s_or_b32 exec_lo, exec_lo, s20
	v_lshrrev_b16 v7, 8, v40
	s_mov_b32 s20, exec_lo
	v_cmpx_ne_u16_e32 0, v7
	s_cbranch_execz .LBB298_480
; %bb.473:                              ;   in Loop: Header=BB298_13 Depth=1
	v_bfrev_b32_e32 v41, 1
	s_mov_b32 s21, exec_lo
	v_cmpx_ne_u16_e32 0x80, v7
	s_cbranch_execz .LBB298_479
; %bb.474:                              ;   in Loop: Header=BB298_13 Depth=1
	v_and_b32_e32 v40, 0xffff, v7
	v_mov_b32_e32 v41, 0x7fc02000
	s_mov_b32 s22, exec_lo
	s_delay_alu instid0(VALU_DEP_2) | instskip(NEXT) | instid1(VALU_DEP_1)
	v_and_b32_e32 v45, 0x7f, v40
	v_cmpx_ne_u32_e32 0x7f, v45
	s_cbranch_execz .LBB298_478
; %bb.475:                              ;   in Loop: Header=BB298_13 Depth=1
	v_and_b32_e32 v7, 7, v40
	v_lshrrev_b32_e32 v41, 3, v45
	s_mov_b32 s23, exec_lo
	v_cmpx_gt_u32_e32 8, v45
; %bb.476:                              ;   in Loop: Header=BB298_13 Depth=1
	s_delay_alu instid0(VALU_DEP_3) | instskip(NEXT) | instid1(VALU_DEP_1)
	v_clz_i32_u32_e32 v41, v7
	v_min_u32_e32 v41, 32, v41
	s_delay_alu instid0(VALU_DEP_1) | instskip(SKIP_1) | instid1(VALU_DEP_2)
	v_subrev_nc_u32_e32 v45, 28, v41
	v_sub_nc_u32_e32 v41, 29, v41
	v_lshlrev_b64 v[45:46], v45, v[7:8]
	s_delay_alu instid0(VALU_DEP_1)
	v_and_b32_e32 v7, 7, v45
; %bb.477:                              ;   in Loop: Header=BB298_13 Depth=1
	s_or_b32 exec_lo, exec_lo, s23
	v_lshlrev_b32_e32 v40, 8, v40
	v_lshl_add_u32 v41, v41, 10, 0x2000
	s_delay_alu instid0(VALU_DEP_1) | instskip(NEXT) | instid1(VALU_DEP_1)
	v_and_or_b32 v40, 0x8000, v40, v41
	v_lshl_or_b32 v7, v7, 7, v40
	s_delay_alu instid0(VALU_DEP_1)
	v_cvt_f32_f16_e32 v41, v7
.LBB298_478:                            ;   in Loop: Header=BB298_13 Depth=1
	s_or_b32 exec_lo, exec_lo, s22
.LBB298_479:                            ;   in Loop: Header=BB298_13 Depth=1
	s_delay_alu instid0(SALU_CYCLE_1)
	s_or_b32 exec_lo, exec_lo, s21
.LBB298_480:                            ;   in Loop: Header=BB298_13 Depth=1
	s_delay_alu instid0(SALU_CYCLE_1) | instskip(SKIP_4) | instid1(VALU_DEP_2)
	s_or_b32 exec_lo, exec_lo, s20
	flat_load_u16 v7, v[31:32] offset:1800
	s_waitcnt vmcnt(0) lgkmcnt(0)
	v_dual_mov_b32 v45, 0 :: v_dual_and_b32 v40, 0xff, v7
	v_and_b32_e32 v46, 0xffff, v7
	v_cmp_ne_u16_e64 s2, 0, v40
	v_mov_b32_e32 v40, 0
	s_delay_alu instid0(VALU_DEP_2)
	s_and_saveexec_b32 s20, s2
	s_cbranch_execz .LBB298_488
; %bb.481:                              ;   in Loop: Header=BB298_13 Depth=1
	v_and_b32_e32 v7, 0xff, v46
	v_bfrev_b32_e32 v40, 1
	s_mov_b32 s21, exec_lo
	s_delay_alu instid0(VALU_DEP_2)
	v_cmpx_ne_u16_e32 0x80, v7
	s_cbranch_execz .LBB298_487
; %bb.482:                              ;   in Loop: Header=BB298_13 Depth=1
	v_and_b32_e32 v47, 0x7f, v46
	v_mov_b32_e32 v40, 0x7fc02000
	s_mov_b32 s22, exec_lo
	s_delay_alu instid0(VALU_DEP_2)
	v_cmpx_ne_u32_e32 0x7f, v47
	s_cbranch_execz .LBB298_486
; %bb.483:                              ;   in Loop: Header=BB298_13 Depth=1
	v_and_b32_e32 v7, 7, v46
	v_lshrrev_b32_e32 v40, 3, v47
	s_mov_b32 s23, exec_lo
	v_cmpx_gt_u32_e32 8, v47
; %bb.484:                              ;   in Loop: Header=BB298_13 Depth=1
	s_delay_alu instid0(VALU_DEP_3) | instskip(NEXT) | instid1(VALU_DEP_1)
	v_clz_i32_u32_e32 v40, v7
	v_min_u32_e32 v40, 32, v40
	s_delay_alu instid0(VALU_DEP_1) | instskip(SKIP_1) | instid1(VALU_DEP_2)
	v_subrev_nc_u32_e32 v47, 28, v40
	v_sub_nc_u32_e32 v40, 29, v40
	v_lshlrev_b64 v[56:57], v47, v[7:8]
	s_delay_alu instid0(VALU_DEP_1)
	v_and_b32_e32 v7, 7, v56
; %bb.485:                              ;   in Loop: Header=BB298_13 Depth=1
	s_or_b32 exec_lo, exec_lo, s23
	v_lshlrev_b32_e32 v47, 8, v46
	v_lshl_add_u32 v40, v40, 10, 0x2000
	s_delay_alu instid0(VALU_DEP_1) | instskip(NEXT) | instid1(VALU_DEP_1)
	v_and_or_b32 v40, 0x8000, v47, v40
	v_lshl_or_b32 v7, v7, 7, v40
	s_delay_alu instid0(VALU_DEP_1)
	v_cvt_f32_f16_e32 v40, v7
.LBB298_486:                            ;   in Loop: Header=BB298_13 Depth=1
	s_or_b32 exec_lo, exec_lo, s22
.LBB298_487:                            ;   in Loop: Header=BB298_13 Depth=1
	s_delay_alu instid0(SALU_CYCLE_1)
	s_or_b32 exec_lo, exec_lo, s21
.LBB298_488:                            ;   in Loop: Header=BB298_13 Depth=1
	s_delay_alu instid0(SALU_CYCLE_1) | instskip(SKIP_2) | instid1(VALU_DEP_1)
	s_or_b32 exec_lo, exec_lo, s20
	v_lshrrev_b16 v7, 8, v46
	s_mov_b32 s20, exec_lo
	v_cmpx_ne_u16_e32 0, v7
	s_cbranch_execz .LBB298_496
; %bb.489:                              ;   in Loop: Header=BB298_13 Depth=1
	v_bfrev_b32_e32 v45, 1
	s_mov_b32 s21, exec_lo
	v_cmpx_ne_u16_e32 0x80, v7
	s_cbranch_execz .LBB298_495
; %bb.490:                              ;   in Loop: Header=BB298_13 Depth=1
	v_and_b32_e32 v46, 0xffff, v7
	v_mov_b32_e32 v45, 0x7fc02000
	s_mov_b32 s22, exec_lo
	s_delay_alu instid0(VALU_DEP_2) | instskip(NEXT) | instid1(VALU_DEP_1)
	v_and_b32_e32 v47, 0x7f, v46
	v_cmpx_ne_u32_e32 0x7f, v47
	s_cbranch_execz .LBB298_494
; %bb.491:                              ;   in Loop: Header=BB298_13 Depth=1
	v_and_b32_e32 v7, 7, v46
	v_lshrrev_b32_e32 v45, 3, v47
	s_mov_b32 s23, exec_lo
	v_cmpx_gt_u32_e32 8, v47
; %bb.492:                              ;   in Loop: Header=BB298_13 Depth=1
	s_delay_alu instid0(VALU_DEP_3) | instskip(NEXT) | instid1(VALU_DEP_1)
	v_clz_i32_u32_e32 v45, v7
	v_min_u32_e32 v45, 32, v45
	s_delay_alu instid0(VALU_DEP_1) | instskip(SKIP_1) | instid1(VALU_DEP_2)
	v_subrev_nc_u32_e32 v47, 28, v45
	v_sub_nc_u32_e32 v45, 29, v45
	v_lshlrev_b64 v[56:57], v47, v[7:8]
	s_delay_alu instid0(VALU_DEP_1)
	v_and_b32_e32 v7, 7, v56
; %bb.493:                              ;   in Loop: Header=BB298_13 Depth=1
	s_or_b32 exec_lo, exec_lo, s23
	v_lshlrev_b32_e32 v46, 8, v46
	v_lshl_add_u32 v45, v45, 10, 0x2000
	s_delay_alu instid0(VALU_DEP_1) | instskip(NEXT) | instid1(VALU_DEP_1)
	v_and_or_b32 v45, 0x8000, v46, v45
	v_lshl_or_b32 v7, v7, 7, v45
	s_delay_alu instid0(VALU_DEP_1)
	v_cvt_f32_f16_e32 v45, v7
.LBB298_494:                            ;   in Loop: Header=BB298_13 Depth=1
	s_or_b32 exec_lo, exec_lo, s22
.LBB298_495:                            ;   in Loop: Header=BB298_13 Depth=1
	s_delay_alu instid0(SALU_CYCLE_1)
	s_or_b32 exec_lo, exec_lo, s21
.LBB298_496:                            ;   in Loop: Header=BB298_13 Depth=1
	s_delay_alu instid0(SALU_CYCLE_1) | instskip(SKIP_4) | instid1(VALU_DEP_2)
	s_or_b32 exec_lo, exec_lo, s20
	flat_load_u16 v7, v[31:32] offset:1920
	s_waitcnt vmcnt(0) lgkmcnt(0)
	v_dual_mov_b32 v46, 0 :: v_dual_and_b32 v47, 0xff, v7
	v_and_b32_e32 v56, 0xffff, v7
	v_cmp_ne_u16_e64 s2, 0, v47
	v_mov_b32_e32 v47, 0
	s_delay_alu instid0(VALU_DEP_2)
	s_and_saveexec_b32 s20, s2
	s_cbranch_execz .LBB298_504
; %bb.497:                              ;   in Loop: Header=BB298_13 Depth=1
	v_and_b32_e32 v7, 0xff, v56
	v_bfrev_b32_e32 v47, 1
	s_mov_b32 s21, exec_lo
	s_delay_alu instid0(VALU_DEP_2)
	v_cmpx_ne_u16_e32 0x80, v7
	s_cbranch_execz .LBB298_503
; %bb.498:                              ;   in Loop: Header=BB298_13 Depth=1
	v_and_b32_e32 v57, 0x7f, v56
	v_mov_b32_e32 v47, 0x7fc02000
	s_mov_b32 s22, exec_lo
	s_delay_alu instid0(VALU_DEP_2)
	v_cmpx_ne_u32_e32 0x7f, v57
	s_cbranch_execz .LBB298_502
; %bb.499:                              ;   in Loop: Header=BB298_13 Depth=1
	v_and_b32_e32 v7, 7, v56
	v_lshrrev_b32_e32 v47, 3, v57
	s_mov_b32 s23, exec_lo
	v_cmpx_gt_u32_e32 8, v57
; %bb.500:                              ;   in Loop: Header=BB298_13 Depth=1
	s_delay_alu instid0(VALU_DEP_3) | instskip(NEXT) | instid1(VALU_DEP_1)
	v_clz_i32_u32_e32 v47, v7
	v_min_u32_e32 v47, 32, v47
	s_delay_alu instid0(VALU_DEP_1) | instskip(SKIP_1) | instid1(VALU_DEP_2)
	v_subrev_nc_u32_e32 v57, 28, v47
	v_sub_nc_u32_e32 v47, 29, v47
	v_lshlrev_b64 v[57:58], v57, v[7:8]
	s_delay_alu instid0(VALU_DEP_1)
	v_and_b32_e32 v7, 7, v57
; %bb.501:                              ;   in Loop: Header=BB298_13 Depth=1
	s_or_b32 exec_lo, exec_lo, s23
	v_lshlrev_b32_e32 v57, 8, v56
	v_lshl_add_u32 v47, v47, 10, 0x2000
	s_delay_alu instid0(VALU_DEP_1) | instskip(NEXT) | instid1(VALU_DEP_1)
	v_and_or_b32 v47, 0x8000, v57, v47
	v_lshl_or_b32 v7, v7, 7, v47
	s_delay_alu instid0(VALU_DEP_1)
	v_cvt_f32_f16_e32 v47, v7
.LBB298_502:                            ;   in Loop: Header=BB298_13 Depth=1
	s_or_b32 exec_lo, exec_lo, s22
.LBB298_503:                            ;   in Loop: Header=BB298_13 Depth=1
	s_delay_alu instid0(SALU_CYCLE_1)
	s_or_b32 exec_lo, exec_lo, s21
.LBB298_504:                            ;   in Loop: Header=BB298_13 Depth=1
	s_delay_alu instid0(SALU_CYCLE_1) | instskip(SKIP_2) | instid1(VALU_DEP_1)
	s_or_b32 exec_lo, exec_lo, s20
	v_lshrrev_b16 v7, 8, v56
	s_mov_b32 s20, exec_lo
	v_cmpx_ne_u16_e32 0, v7
	s_cbranch_execz .LBB298_512
; %bb.505:                              ;   in Loop: Header=BB298_13 Depth=1
	v_bfrev_b32_e32 v46, 1
	s_mov_b32 s21, exec_lo
	v_cmpx_ne_u16_e32 0x80, v7
	s_cbranch_execz .LBB298_511
; %bb.506:                              ;   in Loop: Header=BB298_13 Depth=1
	v_and_b32_e32 v56, 0xffff, v7
	v_mov_b32_e32 v46, 0x7fc02000
	s_mov_b32 s22, exec_lo
	s_delay_alu instid0(VALU_DEP_2) | instskip(NEXT) | instid1(VALU_DEP_1)
	v_and_b32_e32 v57, 0x7f, v56
	v_cmpx_ne_u32_e32 0x7f, v57
	s_cbranch_execz .LBB298_510
; %bb.507:                              ;   in Loop: Header=BB298_13 Depth=1
	v_and_b32_e32 v7, 7, v56
	v_lshrrev_b32_e32 v46, 3, v57
	s_mov_b32 s23, exec_lo
	v_cmpx_gt_u32_e32 8, v57
; %bb.508:                              ;   in Loop: Header=BB298_13 Depth=1
	s_delay_alu instid0(VALU_DEP_3) | instskip(NEXT) | instid1(VALU_DEP_1)
	v_clz_i32_u32_e32 v46, v7
	v_min_u32_e32 v46, 32, v46
	s_delay_alu instid0(VALU_DEP_1) | instskip(SKIP_1) | instid1(VALU_DEP_2)
	v_subrev_nc_u32_e32 v57, 28, v46
	v_sub_nc_u32_e32 v46, 29, v46
	v_lshlrev_b64 v[57:58], v57, v[7:8]
	s_delay_alu instid0(VALU_DEP_1)
	v_and_b32_e32 v7, 7, v57
; %bb.509:                              ;   in Loop: Header=BB298_13 Depth=1
	s_or_b32 exec_lo, exec_lo, s23
	v_lshlrev_b32_e32 v56, 8, v56
	v_lshl_add_u32 v46, v46, 10, 0x2000
	s_delay_alu instid0(VALU_DEP_1) | instskip(NEXT) | instid1(VALU_DEP_1)
	v_and_or_b32 v46, 0x8000, v56, v46
	v_lshl_or_b32 v7, v7, 7, v46
	s_delay_alu instid0(VALU_DEP_1)
	v_cvt_f32_f16_e32 v46, v7
.LBB298_510:                            ;   in Loop: Header=BB298_13 Depth=1
	s_or_b32 exec_lo, exec_lo, s22
.LBB298_511:                            ;   in Loop: Header=BB298_13 Depth=1
	s_delay_alu instid0(SALU_CYCLE_1)
	s_or_b32 exec_lo, exec_lo, s21
.LBB298_512:                            ;   in Loop: Header=BB298_13 Depth=1
	s_delay_alu instid0(SALU_CYCLE_1)
	s_or_b32 exec_lo, exec_lo, s20
	flat_load_u16 v7, v[31:32] offset:1928
	v_mov_b32_e32 v56, 0
	s_mov_b32 s20, exec_lo
	v_mov_b32_e32 v57, 0
	s_waitcnt vmcnt(0) lgkmcnt(0)
	v_and_b32_e32 v31, 0xffff, v7
	v_and_b32_e32 v32, 0xff, v7
	s_delay_alu instid0(VALU_DEP_1)
	v_cmpx_ne_u16_e32 0, v32
	s_cbranch_execz .LBB298_520
; %bb.513:                              ;   in Loop: Header=BB298_13 Depth=1
	s_delay_alu instid0(VALU_DEP_3) | instskip(SKIP_2) | instid1(VALU_DEP_2)
	v_and_b32_e32 v7, 0xff, v31
	v_bfrev_b32_e32 v57, 1
	s_mov_b32 s21, exec_lo
	v_cmpx_ne_u16_e32 0x80, v7
	s_cbranch_execz .LBB298_519
; %bb.514:                              ;   in Loop: Header=BB298_13 Depth=1
	v_and_b32_e32 v58, 0x7f, v31
	v_mov_b32_e32 v57, 0x7fc02000
	s_mov_b32 s22, exec_lo
	s_delay_alu instid0(VALU_DEP_2)
	v_cmpx_ne_u32_e32 0x7f, v58
	s_cbranch_execz .LBB298_518
; %bb.515:                              ;   in Loop: Header=BB298_13 Depth=1
	v_and_b32_e32 v7, 7, v31
	v_lshrrev_b32_e32 v32, 3, v58
	s_mov_b32 s23, exec_lo
	v_cmpx_gt_u32_e32 8, v58
; %bb.516:                              ;   in Loop: Header=BB298_13 Depth=1
	s_delay_alu instid0(VALU_DEP_3) | instskip(NEXT) | instid1(VALU_DEP_1)
	v_clz_i32_u32_e32 v32, v7
	v_min_u32_e32 v32, 32, v32
	s_delay_alu instid0(VALU_DEP_1) | instskip(SKIP_1) | instid1(VALU_DEP_2)
	v_subrev_nc_u32_e32 v57, 28, v32
	v_sub_nc_u32_e32 v32, 29, v32
	v_lshlrev_b64 v[57:58], v57, v[7:8]
	s_delay_alu instid0(VALU_DEP_1)
	v_and_b32_e32 v7, 7, v57
; %bb.517:                              ;   in Loop: Header=BB298_13 Depth=1
	s_or_b32 exec_lo, exec_lo, s23
	v_lshlrev_b32_e32 v57, 8, v31
	v_lshl_add_u32 v32, v32, 10, 0x2000
	s_delay_alu instid0(VALU_DEP_1) | instskip(NEXT) | instid1(VALU_DEP_1)
	v_and_or_b32 v32, 0x8000, v57, v32
	v_lshl_or_b32 v7, v7, 7, v32
	s_delay_alu instid0(VALU_DEP_1)
	v_cvt_f32_f16_e32 v57, v7
.LBB298_518:                            ;   in Loop: Header=BB298_13 Depth=1
	s_or_b32 exec_lo, exec_lo, s22
.LBB298_519:                            ;   in Loop: Header=BB298_13 Depth=1
	s_delay_alu instid0(SALU_CYCLE_1)
	s_or_b32 exec_lo, exec_lo, s21
.LBB298_520:                            ;   in Loop: Header=BB298_13 Depth=1
	s_delay_alu instid0(SALU_CYCLE_1) | instskip(SKIP_2) | instid1(VALU_DEP_1)
	s_or_b32 exec_lo, exec_lo, s20
	v_lshrrev_b16 v7, 8, v31
	s_mov_b32 s20, exec_lo
	v_cmpx_ne_u16_e32 0, v7
	s_cbranch_execz .LBB298_528
; %bb.521:                              ;   in Loop: Header=BB298_13 Depth=1
	v_bfrev_b32_e32 v56, 1
	s_mov_b32 s21, exec_lo
	v_cmpx_ne_u16_e32 0x80, v7
	s_cbranch_execz .LBB298_527
; %bb.522:                              ;   in Loop: Header=BB298_13 Depth=1
	v_and_b32_e32 v31, 0xffff, v7
	v_mov_b32_e32 v56, 0x7fc02000
	s_mov_b32 s22, exec_lo
	s_delay_alu instid0(VALU_DEP_2) | instskip(NEXT) | instid1(VALU_DEP_1)
	v_and_b32_e32 v58, 0x7f, v31
	v_cmpx_ne_u32_e32 0x7f, v58
	s_cbranch_execz .LBB298_526
; %bb.523:                              ;   in Loop: Header=BB298_13 Depth=1
	v_and_b32_e32 v7, 7, v31
	v_lshrrev_b32_e32 v32, 3, v58
	s_mov_b32 s23, exec_lo
	v_cmpx_gt_u32_e32 8, v58
; %bb.524:                              ;   in Loop: Header=BB298_13 Depth=1
	s_delay_alu instid0(VALU_DEP_3) | instskip(NEXT) | instid1(VALU_DEP_1)
	v_clz_i32_u32_e32 v32, v7
	v_min_u32_e32 v32, 32, v32
	s_delay_alu instid0(VALU_DEP_1) | instskip(SKIP_1) | instid1(VALU_DEP_2)
	v_subrev_nc_u32_e32 v56, 28, v32
	v_sub_nc_u32_e32 v32, 29, v32
	v_lshlrev_b64 v[58:59], v56, v[7:8]
	s_delay_alu instid0(VALU_DEP_1)
	v_and_b32_e32 v7, 7, v58
; %bb.525:                              ;   in Loop: Header=BB298_13 Depth=1
	s_or_b32 exec_lo, exec_lo, s23
	v_lshlrev_b32_e32 v31, 8, v31
	v_lshl_add_u32 v32, v32, 10, 0x2000
	s_delay_alu instid0(VALU_DEP_1) | instskip(NEXT) | instid1(VALU_DEP_1)
	v_and_or_b32 v31, 0x8000, v31, v32
	v_lshl_or_b32 v7, v7, 7, v31
	s_delay_alu instid0(VALU_DEP_1)
	v_cvt_f32_f16_e32 v56, v7
.LBB298_526:                            ;   in Loop: Header=BB298_13 Depth=1
	s_or_b32 exec_lo, exec_lo, s22
.LBB298_527:                            ;   in Loop: Header=BB298_13 Depth=1
	s_delay_alu instid0(SALU_CYCLE_1)
	s_or_b32 exec_lo, exec_lo, s21
.LBB298_528:                            ;   in Loop: Header=BB298_13 Depth=1
	s_delay_alu instid0(SALU_CYCLE_1)
	s_or_b32 exec_lo, exec_lo, s20
	v_fma_mixlo_f16 v7, v81, v46, 0
	ds_load_b32 v46, v66
	v_fma_mixlo_f16 v83, v81, v83, 0
	v_fma_mixlo_f16 v32, v81, v45, 0
	;; [unrolled: 1-line block ×5, first 2 shown]
	v_and_b32_e32 v83, 0xffff, v83
	v_fma_mixlo_f16 v42, v81, v42, 0
	v_fma_mixlo_f16 v41, v81, v41, 0
	;; [unrolled: 1-line block ×13, first 2 shown]
	s_waitcnt lgkmcnt(0)
	v_lshrrev_b32_e32 v47, 16, v46
	v_and_b32_e32 v46, 0xffff, v46
	v_fma_mixlo_f16 v166, v81, v166, 0
	v_fma_mixlo_f16 v165, v81, v165, 0
	;; [unrolled: 1-line block ×45, first 2 shown]
	;;#ASMSTART
	v_cvt_f32_f16 v46, v46;
	;;#ASMEND
	;;#ASMSTART
	v_cvt_f32_f16 v47, v47;
	;;#ASMEND
	;; [unrolled: 3-line block ×3, first 2 shown]
	v_and_b32_e32 v83, 0xffff, v45
	;;#ASMSTART
	v_cvt_f32_f16 v45, v83;
	;;#ASMEND
	ds_load_b32 v83, v66 offset:4
	v_and_b32_e32 v85, 0xffff, v85
	v_and_b32_e32 v86, 0xffff, v86
	;; [unrolled: 1-line block ×7, first 2 shown]
	s_waitcnt lgkmcnt(0)
	v_lshrrev_b32_e32 v57, 16, v83
	v_and_b32_e32 v83, 0xffff, v83
	;;#ASMSTART
	v_cvt_f32_f16 v83, v83;
	;;#ASMEND
	;;#ASMSTART
	v_cvt_f32_f16 v57, v57;
	;;#ASMEND
	;; [unrolled: 3-line block ×3, first 2 shown]
	s_delay_alu instid0(VALU_DEP_1) | instskip(NEXT) | instid1(VALU_DEP_1)
	v_mul_f32_e32 v83, v83, v85
	v_fmac_f32_e32 v83, v46, v56
	v_and_b32_e32 v84, 0xffff, v84
	;;#ASMSTART
	v_cvt_f32_f16 v84, v84;
	;;#ASMEND
	ds_load_b32 v85, v66 offset:8
	v_mul_f32_e32 v84, v57, v84
	s_delay_alu instid0(VALU_DEP_1)
	v_fmac_f32_e32 v84, v47, v45
	s_waitcnt lgkmcnt(0)
	v_lshrrev_b32_e32 v45, 16, v85
	v_and_b32_e32 v85, 0xffff, v85
	;;#ASMSTART
	v_cvt_f32_f16 v85, v85;
	;;#ASMEND
	;;#ASMSTART
	v_cvt_f32_f16 v45, v45;
	;;#ASMEND
	;; [unrolled: 3-line block ×4, first 2 shown]
	v_fmac_f32_e32 v83, v85, v87
	ds_load_b32 v85, v66 offset:12
	v_dual_fmac_f32 v84, v45, v86 :: v_dual_and_b32 v87, 0xffff, v97
	s_waitcnt lgkmcnt(0)
	v_lshrrev_b32_e32 v86, 16, v85
	v_and_b32_e32 v85, 0xffff, v85
	;;#ASMSTART
	v_cvt_f32_f16 v85, v85;
	;;#ASMEND
	;;#ASMSTART
	v_cvt_f32_f16 v86, v86;
	;;#ASMEND
	;;#ASMSTART
	v_cvt_f32_f16 v87, v87;
	;;#ASMEND
	s_delay_alu instid0(VALU_DEP_1)
	v_dual_fmac_f32 v83, v85, v87 :: v_dual_and_b32 v96, 0xffff, v96
	;;#ASMSTART
	v_cvt_f32_f16 v96, v96;
	;;#ASMEND
	ds_load_b32 v85, v66 offset:16
	v_dual_fmac_f32 v84, v86, v96 :: v_dual_and_b32 v87, 0xffff, v99
	s_waitcnt lgkmcnt(0)
	v_lshrrev_b32_e32 v86, 16, v85
	v_and_b32_e32 v85, 0xffff, v85
	;;#ASMSTART
	v_cvt_f32_f16 v85, v85;
	;;#ASMEND
	;;#ASMSTART
	v_cvt_f32_f16 v86, v86;
	;;#ASMEND
	;;#ASMSTART
	v_cvt_f32_f16 v87, v87;
	;;#ASMEND
	s_delay_alu instid0(VALU_DEP_1)
	v_dual_fmac_f32 v83, v85, v87 :: v_dual_and_b32 v96, 0xffff, v98
	;;#ASMSTART
	v_cvt_f32_f16 v96, v96;
	;;#ASMEND
	;; [unrolled: 19-line block ×24, first 2 shown]
	ds_load_b32 v85, v66 offset:108
	v_fmac_f32_e32 v84, v86, v96
	v_and_b32_e32 v87, 0xffff, v44
	v_and_b32_e32 v96, 0xffff, v43
	s_waitcnt lgkmcnt(0)
	v_lshrrev_b32_e32 v86, 16, v85
	v_and_b32_e32 v85, 0xffff, v85
	;;#ASMSTART
	v_cvt_f32_f16 v85, v85;
	;;#ASMEND
	;;#ASMSTART
	v_cvt_f32_f16 v86, v86;
	;;#ASMEND
	;; [unrolled: 3-line block ×4, first 2 shown]
	v_fmac_f32_e32 v83, v85, v87
	ds_load_b32 v85, v66 offset:112
	v_fmac_f32_e32 v84, v86, v96
	v_and_b32_e32 v96, 0xffff, v41
	v_and_b32_e32 v87, 0xffff, v42
	s_waitcnt lgkmcnt(0)
	v_lshrrev_b32_e32 v86, 16, v85
	v_and_b32_e32 v85, 0xffff, v85
	;;#ASMSTART
	v_cvt_f32_f16 v85, v85;
	;;#ASMEND
	;;#ASMSTART
	v_cvt_f32_f16 v86, v86;
	;;#ASMEND
	;; [unrolled: 3-line block ×4, first 2 shown]
	v_fmac_f32_e32 v83, v85, v87
	ds_load_b32 v85, v66 offset:116
	v_fmac_f32_e32 v84, v86, v96
	v_and_b32_e32 v87, 0xffff, v40
	s_waitcnt lgkmcnt(0)
	v_lshrrev_b32_e32 v86, 16, v85
	v_and_b32_e32 v85, 0xffff, v85
	;;#ASMSTART
	v_cvt_f32_f16 v85, v85;
	;;#ASMEND
	;;#ASMSTART
	v_cvt_f32_f16 v86, v86;
	;;#ASMEND
	;; [unrolled: 3-line block ×4, first 2 shown]
	v_fmac_f32_e32 v84, v86, v32
	ds_load_b32 v32, v66 offset:120
	v_fmac_f32_e32 v83, v85, v87
	s_waitcnt lgkmcnt(0)
	v_lshrrev_b32_e32 v85, 16, v32
	v_and_b32_e32 v32, 0xffff, v32
	;;#ASMSTART
	v_cvt_f32_f16 v32, v32;
	;;#ASMEND
	;;#ASMSTART
	v_cvt_f32_f16 v85, v85;
	;;#ASMEND
	;; [unrolled: 3-line block ×4, first 2 shown]
	v_fmac_f32_e32 v84, v85, v7
	ds_load_b32 v7, v66 offset:124
	v_dual_fmac_f32 v83, v32, v31 :: v_dual_and_b32 v32, 0xffff, v82
	s_waitcnt lgkmcnt(0)
	v_lshrrev_b32_e32 v31, 16, v7
	v_and_b32_e32 v7, 0xffff, v7
	;;#ASMSTART
	v_cvt_f32_f16 v7, v7;
	;;#ASMEND
	;;#ASMSTART
	v_cvt_f32_f16 v31, v31;
	;;#ASMEND
	;;#ASMSTART
	v_cvt_f32_f16 v32, v32;
	;;#ASMEND
	;;#ASMSTART
	v_cvt_f32_f16 v81, v81;
	;;#ASMEND
	v_fmac_f32_e32 v84, v31, v81
	v_xor_b32_e32 v31, 2, v54
	v_fmac_f32_e32 v83, v7, v32
	s_delay_alu instid0(VALU_DEP_2) | instskip(NEXT) | instid1(VALU_DEP_2)
	v_cmp_gt_i32_e64 s2, 32, v31
	v_add_f32_e32 v7, v83, v84
	s_delay_alu instid0(VALU_DEP_2) | instskip(NEXT) | instid1(VALU_DEP_1)
	v_cndmask_b32_e64 v31, v54, v31, s2
	v_lshlrev_b32_e32 v31, 2, v31
	ds_bpermute_b32 v31, v31, v7
	s_waitcnt lgkmcnt(0)
	v_add_f32_e32 v7, v7, v31
	v_xor_b32_e32 v31, 1, v54
	s_delay_alu instid0(VALU_DEP_1) | instskip(NEXT) | instid1(VALU_DEP_1)
	v_cmp_gt_i32_e64 s2, 32, v31
	v_cndmask_b32_e64 v31, v54, v31, s2
	s_delay_alu instid0(VALU_DEP_1)
	v_lshlrev_b32_e32 v31, 2, v31
	ds_bpermute_b32 v31, v31, v7
	s_and_saveexec_b32 s20, vcc_lo
	s_cbranch_execz .LBB298_11
; %bb.529:                              ;   in Loop: Header=BB298_13 Depth=1
	s_waitcnt lgkmcnt(0)
	v_add_f32_e32 v7, v7, v31
	v_add_nc_u32_e32 v32, v70, v67
	s_load_b32 s21, s[8:9], 0x0
	s_delay_alu instid0(VALU_DEP_1) | instskip(NEXT) | instid1(VALU_DEP_1)
	v_cvt_f32_i32_e32 v32, v32
	v_mul_f32_e32 v32, v53, v32
	s_delay_alu instid0(VALU_DEP_1) | instskip(SKIP_1) | instid1(VALU_DEP_2)
	v_cndmask_b32_e64 v31, 0, v32, s1
	v_max_f32_e32 v32, v55, v55
	v_fmac_f32_e32 v31, v7, v13
	v_add_nc_u32_e32 v7, v65, v67
	s_delay_alu instid0(VALU_DEP_2) | instskip(NEXT) | instid1(VALU_DEP_2)
	v_max_f32_e32 v32, v32, v31
	v_cmp_lt_i32_e64 s2, v7, v35
	s_waitcnt lgkmcnt(0)
	v_add_nc_u32_e32 v7, s21, v69
	s_delay_alu instid0(VALU_DEP_2)
	v_cndmask_b32_e64 v31, 0, v31, s2
	v_cndmask_b32_e64 v55, v55, v32, s2
	ds_store_b32 v7, v31
	s_branch .LBB298_11
.LBB298_530:
	s_or_b32 exec_lo, exec_lo, s19
.LBB298_531:
	s_delay_alu instid0(SALU_CYCLE_1)
	s_or_b32 exec_lo, exec_lo, s18
	v_xor_b32_e32 v7, 16, v54
	v_xor_b32_e32 v8, 8, v54
	v_lshlrev_b32_e32 v21, 2, v39
	s_waitcnt lgkmcnt(0)
	s_lshr_b32 s8, s17, 16
	v_cmp_gt_i32_e32 vcc_lo, 32, v7
	v_cndmask_b32_e32 v7, v54, v7, vcc_lo
	v_cmp_gt_i32_e32 vcc_lo, 32, v8
	s_delay_alu instid0(VALU_DEP_2)
	v_dual_cndmask_b32 v8, v54, v8 :: v_dual_lshlrev_b32 v9, 2, v7
	v_max_f32_e32 v20, v55, v55
	ds_bpermute_b32 v7, v9, v55
	v_lshlrev_b32_e32 v13, 2, v8
	s_waitcnt lgkmcnt(0)
	v_max_f32_e32 v7, v7, v7
	s_delay_alu instid0(VALU_DEP_1) | instskip(SKIP_1) | instid1(VALU_DEP_1)
	v_max_f32_e32 v7, v20, v7
	v_xor_b32_e32 v20, 4, v54
	v_cmp_gt_i32_e32 vcc_lo, 32, v20
	v_cndmask_b32_e32 v20, v54, v20, vcc_lo
	s_delay_alu instid0(VALU_DEP_1)
	v_lshlrev_b32_e32 v25, 2, v20
	v_and_b32_e32 v20, 31, v33
	ds_bpermute_b32 v8, v13, v7
	v_cmp_eq_u32_e32 vcc_lo, 0, v20
	s_waitcnt lgkmcnt(0)
	v_max_f32_e32 v8, v8, v8
	s_delay_alu instid0(VALU_DEP_1)
	v_max_f32_e32 v7, v7, v8
	ds_bpermute_b32 v8, v25, v7
	s_and_saveexec_b32 s1, vcc_lo
	s_cbranch_execz .LBB298_533
; %bb.532:
	s_waitcnt lgkmcnt(0)
	v_dual_max_f32 v8, v8, v8 :: v_dual_max_f32 v7, v7, v7
	s_delay_alu instid0(VALU_DEP_1)
	v_max_f32_e32 v7, v7, v8
	ds_store_b32 v21, v7 offset:512
.LBB298_533:
	s_or_b32 exec_lo, exec_lo, s1
	v_cmp_gt_u32_e64 s1, 4, v20
	v_dual_mov_b32 v7, 0xff7fffff :: v_dual_lshlrev_b32 v24, 2, v20
	s_waitcnt lgkmcnt(0)
	s_barrier
	buffer_gl0_inv
	s_and_saveexec_b32 s2, s1
	s_cbranch_execz .LBB298_535
; %bb.534:
	ds_load_b32 v7, v24 offset:512
.LBB298_535:
	s_or_b32 exec_lo, exec_lo, s2
	v_xor_b32_e32 v8, 2, v54
	v_xor_b32_e32 v29, 1, v54
	v_subrev_nc_u32_e32 v32, s13, v48
	v_mov_b32_e32 v31, 0
	s_delay_alu instid0(VALU_DEP_4) | instskip(NEXT) | instid1(VALU_DEP_1)
	v_cmp_gt_i32_e64 s2, 32, v8
	v_cndmask_b32_e64 v8, v54, v8, s2
	v_cmp_gt_i32_e64 s2, 32, v29
	s_delay_alu instid0(VALU_DEP_2) | instskip(NEXT) | instid1(VALU_DEP_2)
	v_lshlrev_b32_e32 v28, 2, v8
	v_cndmask_b32_e64 v29, v54, v29, s2
	s_waitcnt lgkmcnt(0)
	ds_bpermute_b32 v8, v28, v7
	v_max_f32_e32 v7, v7, v7
	s_waitcnt lgkmcnt(0)
	v_dual_max_f32 v8, v8, v8 :: v_dual_lshlrev_b32 v29, 2, v29
	s_delay_alu instid0(VALU_DEP_1) | instskip(SKIP_3) | instid1(VALU_DEP_1)
	v_max_f32_e32 v7, v7, v8
	ds_bpermute_b32 v8, v29, v7
	s_waitcnt lgkmcnt(0)
	v_max_f32_e32 v8, v8, v8
	v_max_f32_e32 v7, v7, v8
	v_lshl_add_u32 v8, v32, 3, s16
	ds_bpermute_b32 v7, v31, v7
	v_min_i32_e32 v8, v8, v35
	s_delay_alu instid0(VALU_DEP_1) | instskip(NEXT) | instid1(VALU_DEP_1)
	v_subrev_nc_u32_e32 v8, s16, v8
	v_cmp_lt_i32_e64 s2, v33, v8
	s_delay_alu instid0(VALU_DEP_1)
	s_and_saveexec_b32 s9, s2
	s_cbranch_execz .LBB298_539
; %bb.536:
	s_getpc_b64 s[16:17]
	s_add_u32 s16, s16, llvm.amdgcn.dynlds.offset.table@rel32@lo+4
	s_addc_u32 s17, s17, llvm.amdgcn.dynlds.offset.table@rel32@hi+12
	s_ashr_i32 s7, s6, 31
	v_mov_b32_e32 v31, 0
	s_lshl_b64 s[18:19], s[6:7], 2
	v_mov_b32_e32 v53, v33
	s_add_u32 s16, s18, s16
	s_addc_u32 s17, s19, s17
	s_mov_b32 s7, 0
	s_load_b32 s3, s[16:17], 0x0
	s_waitcnt lgkmcnt(0)
	v_lshl_add_u32 v32, v33, 2, s3
	.p2align	6
.LBB298_537:                            ; =>This Inner Loop Header: Depth=1
	ds_load_b32 v54, v32
	v_add_nc_u32_e32 v53, 0x80, v53
	s_delay_alu instid0(VALU_DEP_1) | instskip(NEXT) | instid1(VALU_DEP_1)
	v_cmp_ge_i32_e64 s3, v53, v8
	s_or_b32 s7, s3, s7
	s_waitcnt lgkmcnt(0)
	v_sub_f32_e32 v54, v54, v7
	s_delay_alu instid0(VALU_DEP_1) | instskip(NEXT) | instid1(VALU_DEP_1)
	v_mul_f32_e32 v54, 0x3fb8aa3b, v54
	v_exp_f32_e32 v54, v54
	ds_store_b32 v32, v54
	v_dual_add_f32 v31, v31, v54 :: v_dual_add_nc_u32 v32, 0x200, v32
	s_and_not1_b32 exec_lo, exec_lo, s7
	s_cbranch_execnz .LBB298_537
; %bb.538:
	s_or_b32 exec_lo, exec_lo, s7
.LBB298_539:
	s_delay_alu instid0(SALU_CYCLE_1)
	s_or_b32 exec_lo, exec_lo, s9
	ds_bpermute_b32 v9, v9, v31
	s_waitcnt lgkmcnt(0)
	v_add_f32_e32 v9, v31, v9
	ds_bpermute_b32 v13, v13, v9
	s_waitcnt lgkmcnt(0)
	v_add_f32_e32 v9, v9, v13
	;; [unrolled: 3-line block ×5, first 2 shown]
	s_and_saveexec_b32 s3, vcc_lo
	s_cbranch_execz .LBB298_541
; %bb.540:
	ds_store_b32 v21, v9 offset:528
.LBB298_541:
	s_or_b32 exec_lo, exec_lo, s3
	s_waitcnt lgkmcnt(0)
	s_barrier
	buffer_gl0_inv
	s_and_saveexec_b32 s3, s1
	s_cbranch_execz .LBB298_543
; %bb.542:
	ds_load_b32 v9, v24 offset:528
.LBB298_543:
	s_or_b32 exec_lo, exec_lo, s3
	s_waitcnt lgkmcnt(0)
	ds_bpermute_b32 v13, v28, v9
	s_waitcnt lgkmcnt(0)
	v_add_f32_e32 v9, v9, v13
	ds_bpermute_b32 v13, v29, v9
	s_waitcnt lgkmcnt(0)
	v_add_f32_e32 v9, v9, v13
	v_mov_b32_e32 v13, 0
	ds_bpermute_b32 v9, v13, v9
	s_and_saveexec_b32 s1, s2
	s_cbranch_execz .LBB298_546
; %bb.544:
	s_waitcnt lgkmcnt(0)
	v_add_f32_e32 v21, 0x358637bd, v9
	s_getpc_b64 s[2:3]
	s_add_u32 s2, s2, llvm.amdgcn.dynlds.offset.table@rel32@lo+4
	s_addc_u32 s3, s3, llvm.amdgcn.dynlds.offset.table@rel32@hi+12
	s_ashr_i32 s7, s6, 31
	s_delay_alu instid0(SALU_CYCLE_1) | instskip(SKIP_4) | instid1(VALU_DEP_1)
	s_lshl_b64 s[16:17], s[6:7], 2
	v_div_scale_f32 v13, null, v21, v21, 1.0
	s_add_u32 s2, s16, s2
	s_addc_u32 s3, s17, s3
	s_load_b32 s2, s[2:3], 0x0
	v_rcp_f32_e32 v24, v13
	s_waitcnt_depctr 0xfff
	v_fma_f32 v25, -v13, v24, 1.0
	s_delay_alu instid0(VALU_DEP_1) | instskip(SKIP_1) | instid1(VALU_DEP_1)
	v_fmac_f32_e32 v24, v25, v24
	v_div_scale_f32 v28, vcc_lo, 1.0, v21, 1.0
	v_mul_f32_e32 v25, v28, v24
	s_delay_alu instid0(VALU_DEP_1) | instskip(NEXT) | instid1(VALU_DEP_1)
	v_fma_f32 v29, -v13, v25, v28
	v_fmac_f32_e32 v25, v29, v24
	s_delay_alu instid0(VALU_DEP_1) | instskip(NEXT) | instid1(VALU_DEP_1)
	v_fma_f32 v13, -v13, v25, v28
	v_div_fmas_f32 v24, v13, v24, v25
	s_waitcnt lgkmcnt(0)
	v_lshl_add_u32 v13, v33, 2, s2
	s_mov_b32 s2, 0
	s_delay_alu instid0(VALU_DEP_2)
	v_div_fixup_f32 v21, v24, v21, 1.0
	v_mov_b32_e32 v24, v33
.LBB298_545:                            ; =>This Inner Loop Header: Depth=1
	ds_load_b32 v25, v13
	s_waitcnt lgkmcnt(0)
	v_dual_mul_f32 v25, v21, v25 :: v_dual_add_nc_u32 v24, 0x80, v24
	s_delay_alu instid0(VALU_DEP_1) | instskip(SKIP_3) | instid1(SALU_CYCLE_1)
	v_cmp_ge_i32_e32 vcc_lo, v24, v8
	ds_store_b32 v13, v25
	v_add_nc_u32_e32 v13, 0x200, v13
	s_or_b32 s2, vcc_lo, s2
	s_and_not1_b32 exec_lo, exec_lo, s2
	s_cbranch_execnz .LBB298_545
.LBB298_546:
	s_or_b32 exec_lo, exec_lo, s1
	v_cmp_ne_u16_e64 s1, s8, 0
	s_waitcnt lgkmcnt(0)
	s_barrier
	buffer_gl0_inv
	s_cmp_lg_u32 s1, 0
	s_addc_u32 s1, s5, 0
	s_mov_b32 s5, exec_lo
	s_mul_i32 s2, s1, s10
	s_delay_alu instid0(SALU_CYCLE_1)
	s_mul_i32 s2, s2, s15
	v_cmpx_eq_u32_e32 0, v33
	s_cbranch_execz .LBB298_548
; %bb.547:
	s_mul_i32 s8, s1, s12
	s_ashr_i32 s15, s14, 31
	s_ashr_i32 s9, s8, 31
	s_ashr_i32 s3, s2, 31
	s_lshl_b64 s[8:9], s[8:9], 2
	s_lshl_b64 s[12:13], s[14:15], 2
	;; [unrolled: 1-line block ×3, first 2 shown]
	s_add_u32 s3, s12, s8
	s_addc_u32 s7, s13, s9
	s_add_u32 s3, s3, s16
	s_addc_u32 s7, s7, s17
	v_add_co_u32 v2, vcc_lo, s3, v2
	v_add_co_ci_u32_e32 v3, vcc_lo, s7, v3, vcc_lo
	v_add_co_u32 v0, vcc_lo, s3, v0
	v_add_co_ci_u32_e32 v1, vcc_lo, s7, v1, vcc_lo
	flat_store_b32 v[2:3], v7
	flat_store_b32 v[0:1], v9
.LBB298_548:
	s_or_b32 exec_lo, exec_lo, s5
	s_getpc_b64 s[8:9]
	s_add_u32 s8, s8, llvm.amdgcn.dynlds.offset.table@rel32@lo+4
	s_addc_u32 s9, s9, llvm.amdgcn.dynlds.offset.table@rel32@hi+12
	s_ashr_i32 s7, s6, 31
	v_dual_mov_b32 v25, 0 :: v_dual_mov_b32 v24, 0
	s_lshl_b64 s[6:7], s[6:7], 2
	v_dual_mov_b32 v21, 0 :: v_dual_mov_b32 v28, 0
	s_add_u32 s6, s6, s8
	s_addc_u32 s7, s7, s9
	v_dual_mov_b32 v29, 0 :: v_dual_mov_b32 v32, 0
	s_load_b32 s10, s[6:7], 0x0
	v_mov_b32_e32 v31, 0
	v_mov_b32_e32 v53, 0
	s_mov_b32 s5, 0
	s_waitcnt lgkmcnt(0)
	v_mov_b32_e32 v0, s10
	s_and_saveexec_b32 s3, s0
	s_cbranch_execz .LBB298_1082
; %bb.549:
	v_max_i32_e32 v30, v30, v51
	v_add_co_u32 v7, vcc_lo, v10, v12
	v_lshlrev_b64 v[2:3], 2, v[16:17]
	v_dual_mov_b32 v32, 0 :: v_dual_lshlrev_b32 v9, 3, v20
	s_delay_alu instid0(VALU_DEP_4) | instskip(SKIP_3) | instid1(VALU_DEP_4)
	v_cvt_f32_u32_e32 v0, v30
	v_sub_nc_u32_e32 v10, 0, v30
	v_add_co_ci_u32_e32 v8, vcc_lo, v11, v52, vcc_lo
	v_add_co_u32 v11, vcc_lo, v18, v2
	v_rcp_iflag_f32_e32 v0, v0
	v_add_co_ci_u32_e32 v12, vcc_lo, v19, v3, vcc_lo
	v_add_co_u32 v2, vcc_lo, v7, v9
	v_add_co_ci_u32_e32 v3, vcc_lo, 0, v8, vcc_lo
	v_add_co_u32 v7, vcc_lo, v14, v11
	s_waitcnt_depctr 0xfff
	v_dual_mov_b32 v51, v35 :: v_dual_mul_f32 v0, 0x4f7ffffe, v0
	v_dual_mov_b32 v1, 0 :: v_dual_add_nc_u32 v50, -1, v50
	v_lshl_add_u32 v17, v39, 5, s10
	v_dual_mov_b32 v53, 0 :: v_dual_mov_b32 v28, 0
	s_delay_alu instid0(VALU_DEP_4) | instskip(SKIP_3) | instid1(VALU_DEP_4)
	v_cvt_u32_f32_e32 v0, v0
	v_dual_mov_b32 v31, 0 :: v_dual_mov_b32 v24, 0
	v_mov_b32_e32 v29, 0
	v_mov_b32_e32 v21, 0
	v_mul_lo_u32 v10, v10, v0
	v_add_co_ci_u32_e32 v8, vcc_lo, v15, v12, vcc_lo
	v_mov_b32_e32 v25, 0
	s_mov_b32 s8, -1
	s_mov_b32 s9, 0xffffff
	s_delay_alu instid0(VALU_DEP_3) | instskip(NEXT) | instid1(VALU_DEP_1)
	v_mul_hi_u32 v10, v0, v10
	v_add_nc_u32_e32 v15, v0, v10
	s_branch .LBB298_552
.LBB298_550:                            ;   in Loop: Header=BB298_552 Depth=1
	s_or_b32 exec_lo, exec_lo, s0
	v_dual_add_f32 v11, v13, v14 :: v_dual_add_f32 v14, v86, v87
	v_add_f32_e32 v13, v96, v97
	;;#ASMSTART
	v_pk_mul_f16 v12, v71, v12;

	;;#ASMEND
	;;#ASMSTART
	v_pk_mul_f16 v10, v70, v10;

	;;#ASMEND
	;; [unrolled: 4-line block ×4, first 2 shown]
	;;#ASMSTART
	v_pk_add_f16 v10, v12, v10;

	;;#ASMEND
	;;#ASMSTART
	v_pk_add_f16 v0, v10, v0;

	;;#ASMEND
	v_add_f32_e32 v10, v82, v83
	;;#ASMSTART
	v_pk_add_f16 v0, v0, v9;

	;;#ASMEND
	v_dual_add_f32 v28, v28, v14 :: v_dual_and_b32 v9, 0xffff, v0
	v_lshrrev_b32_e32 v0, 16, v0
	;;#ASMSTART
	v_cvt_f32_f16 v9, v9;
	;;#ASMEND
	;;#ASMSTART
	v_cvt_f32_f16 v0, v0;
	;;#ASMEND
	v_dual_add_f32 v21, v21, v11 :: v_dual_add_f32 v24, v24, v13
	s_delay_alu instid0(VALU_DEP_2) | instskip(SKIP_2) | instid1(VALU_DEP_3)
	v_dual_add_f32 v11, v84, v85 :: v_dual_add_f32 v0, v9, v0
	v_dual_add_f32 v12, v80, v81 :: v_dual_add_f32 v13, v66, v67
	v_add_f32_e32 v31, v31, v10
	v_add_f32_e32 v29, v29, v11
	s_delay_alu instid0(VALU_DEP_4) | instskip(NEXT) | instid1(VALU_DEP_4)
	v_add_f32_e32 v25, v25, v0
	v_dual_add_f32 v32, v32, v12 :: v_dual_add_f32 v53, v53, v13
.LBB298_551:                            ;   in Loop: Header=BB298_552 Depth=1
	s_or_b32 exec_lo, exec_lo, s10
	v_add_nc_u32_e32 v16, 4, v16
	v_add_co_u32 v7, s0, v7, 16
	s_delay_alu instid0(VALU_DEP_1) | instskip(NEXT) | instid1(VALU_DEP_3)
	v_add_co_ci_u32_e64 v8, s0, 0, v8, s0
	v_cmp_ge_i32_e32 vcc_lo, v16, v48
	v_add_nc_u32_e32 v23, 32, v23
	v_add_nc_u32_e32 v17, 0x80, v17
	s_or_b32 s5, vcc_lo, s5
	s_delay_alu instid0(SALU_CYCLE_1)
	s_and_not1_b32 exec_lo, exec_lo, s5
	s_cbranch_execz .LBB298_1081
.LBB298_552:                            ; =>This Inner Loop Header: Depth=1
	v_sub_nc_u32_e32 v0, 0, v23
	s_delay_alu instid0(VALU_DEP_1) | instskip(NEXT) | instid1(VALU_DEP_1)
	v_max_i32_e32 v0, v23, v0
	v_mul_hi_u32 v9, v0, v37
	s_delay_alu instid0(VALU_DEP_1) | instskip(NEXT) | instid1(VALU_DEP_1)
	v_mul_lo_u32 v10, v9, v36
	v_sub_nc_u32_e32 v0, v0, v10
	v_add_nc_u32_e32 v10, 1, v9
	s_delay_alu instid0(VALU_DEP_2) | instskip(SKIP_1) | instid1(VALU_DEP_2)
	v_sub_nc_u32_e32 v11, v0, v36
	v_cmp_ge_u32_e32 vcc_lo, v0, v36
	v_dual_cndmask_b32 v9, v9, v10 :: v_dual_cndmask_b32 v0, v0, v11
	v_ashrrev_i32_e32 v10, 31, v23
	s_delay_alu instid0(VALU_DEP_2) | instskip(NEXT) | instid1(VALU_DEP_3)
	v_add_nc_u32_e32 v11, 1, v9
	v_cmp_ge_u32_e32 vcc_lo, v0, v36
	s_delay_alu instid0(VALU_DEP_3) | instskip(NEXT) | instid1(VALU_DEP_3)
	v_xor_b32_e32 v10, v10, v38
	v_cndmask_b32_e32 v0, v9, v11, vcc_lo
	s_delay_alu instid0(VALU_DEP_1) | instskip(NEXT) | instid1(VALU_DEP_1)
	v_xor_b32_e32 v0, v0, v10
	v_sub_nc_u32_e32 v0, v0, v10
	s_delay_alu instid0(VALU_DEP_1) | instskip(SKIP_1) | instid1(VALU_DEP_2)
	v_add_nc_u32_e32 v9, v0, v6
	v_cmp_gt_i32_e64 s0, v0, v49
	v_sub_nc_u32_e32 v10, 0, v9
	s_delay_alu instid0(VALU_DEP_1) | instskip(NEXT) | instid1(VALU_DEP_1)
	v_max_i32_e32 v10, v9, v10
	v_mul_hi_u32 v11, v10, v15
	s_delay_alu instid0(VALU_DEP_1) | instskip(NEXT) | instid1(VALU_DEP_1)
	v_mul_lo_u32 v11, v11, v30
	v_sub_nc_u32_e32 v10, v10, v11
	s_delay_alu instid0(VALU_DEP_1) | instskip(SKIP_1) | instid1(VALU_DEP_2)
	v_sub_nc_u32_e32 v11, v10, v30
	v_cmp_ge_u32_e32 vcc_lo, v10, v30
	v_cndmask_b32_e32 v10, v10, v11, vcc_lo
	v_ashrrev_i32_e32 v9, 31, v9
	s_delay_alu instid0(VALU_DEP_2) | instskip(SKIP_1) | instid1(VALU_DEP_2)
	v_sub_nc_u32_e32 v11, v10, v30
	v_cmp_ge_u32_e32 vcc_lo, v10, v30
	v_cndmask_b32_e32 v10, v10, v11, vcc_lo
	s_delay_alu instid0(VALU_DEP_1) | instskip(NEXT) | instid1(VALU_DEP_1)
	v_xor_b32_e32 v10, v10, v9
	v_sub_nc_u32_e32 v9, v10, v9
	s_delay_alu instid0(VALU_DEP_1) | instskip(SKIP_1) | instid1(SALU_CYCLE_1)
	v_cmp_eq_u32_e32 vcc_lo, 0, v9
	s_or_b32 s0, vcc_lo, s0
	s_and_saveexec_b32 s10, s0
	s_cbranch_execz .LBB298_551
; %bb.553:                              ;   in Loop: Header=BB298_552 Depth=1
	flat_load_b32 v0, v[7:8]
	ds_load_2addr_b64 v[10:13], v17 offset1:1
	ds_load_2addr_b64 v[80:83], v17 offset0:2 offset1:3
	v_mov_b32_e32 v52, 0
	s_mov_b32 s0, exec_lo
	s_waitcnt lgkmcnt(1)
	;;#ASMSTART
	v_cvt_f16_f32 v66, v10;

	;;#ASMEND
	;;#ASMSTART
	v_cvt_f16_f32 v67, v11;

	;;#ASMEND
	;;#ASMSTART
	v_cvt_f16_f32 v70, v12;

	;;#ASMEND
	;;#ASMSTART
	v_cvt_f16_f32 v68, v13;

	;;#ASMEND
	s_waitcnt lgkmcnt(0)
	;;#ASMSTART
	v_cvt_f16_f32 v71, v80;

	;;#ASMEND
	;;#ASMSTART
	v_cvt_f16_f32 v69, v81;

	;;#ASMEND
	;; [unrolled: 4-line block ×4, first 2 shown]
	v_mov_b32_e32 v19, 0
	s_waitcnt vmcnt(0)
	v_mad_i64_i32 v[9:10], null, v0, v22, v[2:3]
	flat_load_b64 v[11:12], v[9:10]
	flat_load_b32 v18, v[26:27]
	s_waitcnt vmcnt(1) lgkmcnt(1)
	v_and_b32_e32 v0, 0xff, v11
	s_delay_alu instid0(VALU_DEP_1)
	v_cmpx_ne_u16_e32 0, v0
	s_cbranch_execz .LBB298_561
; %bb.554:                              ;   in Loop: Header=BB298_552 Depth=1
	v_bfrev_b32_e32 v19, 1
	s_mov_b32 s12, exec_lo
	v_cmpx_ne_u16_e32 0x80, v0
	s_cbranch_execz .LBB298_560
; %bb.555:                              ;   in Loop: Header=BB298_552 Depth=1
	v_and_b32_e32 v13, 0x7f, v11
	v_mov_b32_e32 v19, 0x7fc02000
	s_mov_b32 s13, exec_lo
	s_delay_alu instid0(VALU_DEP_2)
	v_cmpx_ne_u32_e32 0x7f, v13
	s_cbranch_execz .LBB298_559
; %bb.556:                              ;   in Loop: Header=BB298_552 Depth=1
	v_lshrrev_b32_e32 v0, 3, v13
	v_cmp_gt_u32_e32 vcc_lo, 8, v13
	v_dual_mov_b32 v14, v12 :: v_dual_mov_b32 v13, v11
	s_and_saveexec_b32 s15, vcc_lo
; %bb.557:                              ;   in Loop: Header=BB298_552 Depth=1
	v_and_b32_e32 v0, 7, v11
	s_delay_alu instid0(VALU_DEP_1) | instskip(NEXT) | instid1(VALU_DEP_1)
	v_clz_i32_u32_e32 v0, v0
	v_min_u32_e32 v0, 32, v0
	s_delay_alu instid0(VALU_DEP_1) | instskip(SKIP_1) | instid1(VALU_DEP_2)
	v_subrev_nc_u32_e32 v13, 28, v0
	v_sub_nc_u32_e32 v0, 29, v0
	v_lshlrev_b64 v[13:14], v13, v[11:12]
; %bb.558:                              ;   in Loop: Header=BB298_552 Depth=1
	s_or_b32 exec_lo, exec_lo, s15
	v_lshlrev_b32_e32 v14, 8, v11
	s_delay_alu instid0(VALU_DEP_3) | instskip(NEXT) | instid1(VALU_DEP_3)
	v_lshl_add_u32 v0, v0, 10, 0x2000
	v_lshlrev_b32_e32 v13, 7, v13
	s_delay_alu instid0(VALU_DEP_2) | instskip(NEXT) | instid1(VALU_DEP_1)
	v_and_or_b32 v0, 0x8000, v14, v0
	v_and_or_b32 v0, 0x380, v13, v0
	s_delay_alu instid0(VALU_DEP_1)
	v_cvt_f32_f16_e32 v19, v0
.LBB298_559:                            ;   in Loop: Header=BB298_552 Depth=1
	s_or_b32 exec_lo, exec_lo, s13
.LBB298_560:                            ;   in Loop: Header=BB298_552 Depth=1
	s_delay_alu instid0(SALU_CYCLE_1)
	s_or_b32 exec_lo, exec_lo, s12
.LBB298_561:                            ;   in Loop: Header=BB298_552 Depth=1
	s_delay_alu instid0(SALU_CYCLE_1) | instskip(SKIP_2) | instid1(VALU_DEP_1)
	s_or_b32 exec_lo, exec_lo, s0
	v_lshrrev_b16 v0, 8, v11
	s_mov_b32 s0, exec_lo
	v_cmpx_ne_u16_e32 0, v0
	s_cbranch_execz .LBB298_569
; %bb.562:                              ;   in Loop: Header=BB298_552 Depth=1
	v_bfrev_b32_e32 v52, 1
	s_mov_b32 s12, exec_lo
	v_cmpx_ne_u16_e32 0x80, v0
	s_cbranch_execz .LBB298_568
; %bb.563:                              ;   in Loop: Header=BB298_552 Depth=1
	v_and_b32_e32 v13, 0xffff, v0
	v_mov_b32_e32 v52, 0x7fc02000
	s_mov_b32 s13, exec_lo
	s_delay_alu instid0(VALU_DEP_2) | instskip(NEXT) | instid1(VALU_DEP_1)
	v_and_b32_e32 v54, 0x7f, v13
	v_cmpx_ne_u32_e32 0x7f, v54
	s_cbranch_execz .LBB298_567
; %bb.564:                              ;   in Loop: Header=BB298_552 Depth=1
	v_and_b32_e32 v0, 7, v13
	v_lshrrev_b32_e32 v14, 3, v54
	s_mov_b32 s15, exec_lo
	v_cmpx_gt_u32_e32 8, v54
; %bb.565:                              ;   in Loop: Header=BB298_552 Depth=1
	s_delay_alu instid0(VALU_DEP_3) | instskip(NEXT) | instid1(VALU_DEP_1)
	v_clz_i32_u32_e32 v14, v0
	v_min_u32_e32 v14, 32, v14
	s_delay_alu instid0(VALU_DEP_1) | instskip(SKIP_1) | instid1(VALU_DEP_2)
	v_subrev_nc_u32_e32 v52, 28, v14
	v_sub_nc_u32_e32 v14, 29, v14
	v_lshlrev_b64 v[54:55], v52, v[0:1]
	s_delay_alu instid0(VALU_DEP_1)
	v_and_b32_e32 v0, 7, v54
; %bb.566:                              ;   in Loop: Header=BB298_552 Depth=1
	s_or_b32 exec_lo, exec_lo, s15
	v_lshlrev_b32_e32 v13, 8, v13
	v_lshl_add_u32 v14, v14, 10, 0x2000
	s_delay_alu instid0(VALU_DEP_1) | instskip(NEXT) | instid1(VALU_DEP_1)
	v_and_or_b32 v13, 0x8000, v13, v14
	v_lshl_or_b32 v0, v0, 7, v13
	s_delay_alu instid0(VALU_DEP_1)
	v_cvt_f32_f16_e32 v52, v0
.LBB298_567:                            ;   in Loop: Header=BB298_552 Depth=1
	s_or_b32 exec_lo, exec_lo, s13
.LBB298_568:                            ;   in Loop: Header=BB298_552 Depth=1
	s_delay_alu instid0(SALU_CYCLE_1)
	s_or_b32 exec_lo, exec_lo, s12
.LBB298_569:                            ;   in Loop: Header=BB298_552 Depth=1
	s_delay_alu instid0(SALU_CYCLE_1) | instskip(SKIP_3) | instid1(VALU_DEP_2)
	s_or_b32 exec_lo, exec_lo, s0
	v_lshrrev_b32_e32 v13, 16, v11
	v_mov_b32_e32 v54, 0
	s_mov_b32 s0, exec_lo
	v_dual_mov_b32 v55, 0 :: v_dual_and_b32 v0, 0xff, v13
	s_delay_alu instid0(VALU_DEP_1)
	v_cmpx_ne_u16_e32 0, v0
	s_cbranch_execz .LBB298_577
; %bb.570:                              ;   in Loop: Header=BB298_552 Depth=1
	v_bfrev_b32_e32 v54, 1
	s_mov_b32 s12, exec_lo
	v_cmpx_ne_u16_e32 0x80, v0
	s_cbranch_execz .LBB298_576
; %bb.571:                              ;   in Loop: Header=BB298_552 Depth=1
	v_bfe_u32 v64, v11, 16, 7
	v_mov_b32_e32 v54, 0x7fc02000
	s_mov_b32 s13, exec_lo
	s_delay_alu instid0(VALU_DEP_2)
	v_cmpx_ne_u32_e32 0x7f, v64
	s_cbranch_execz .LBB298_575
; %bb.572:                              ;   in Loop: Header=BB298_552 Depth=1
	v_and_b32_e32 v0, 7, v13
	v_lshrrev_b32_e32 v14, 3, v64
	s_mov_b32 s15, exec_lo
	v_cmpx_gt_u32_e32 8, v64
; %bb.573:                              ;   in Loop: Header=BB298_552 Depth=1
	s_delay_alu instid0(VALU_DEP_3) | instskip(NEXT) | instid1(VALU_DEP_1)
	v_clz_i32_u32_e32 v14, v0
	v_min_u32_e32 v14, 32, v14
	s_delay_alu instid0(VALU_DEP_1) | instskip(SKIP_1) | instid1(VALU_DEP_2)
	v_subrev_nc_u32_e32 v54, 28, v14
	v_sub_nc_u32_e32 v14, 29, v14
	v_lshlrev_b64 v[64:65], v54, v[0:1]
	s_delay_alu instid0(VALU_DEP_1)
	v_and_b32_e32 v0, 7, v64
; %bb.574:                              ;   in Loop: Header=BB298_552 Depth=1
	s_or_b32 exec_lo, exec_lo, s15
	v_lshlrev_b32_e32 v13, 8, v13
	v_lshl_add_u32 v14, v14, 10, 0x2000
	s_delay_alu instid0(VALU_DEP_1) | instskip(NEXT) | instid1(VALU_DEP_1)
	v_and_or_b32 v13, 0x8000, v13, v14
	v_lshl_or_b32 v0, v0, 7, v13
	s_delay_alu instid0(VALU_DEP_1)
	v_cvt_f32_f16_e32 v54, v0
.LBB298_575:                            ;   in Loop: Header=BB298_552 Depth=1
	s_or_b32 exec_lo, exec_lo, s13
.LBB298_576:                            ;   in Loop: Header=BB298_552 Depth=1
	s_delay_alu instid0(SALU_CYCLE_1)
	s_or_b32 exec_lo, exec_lo, s12
.LBB298_577:                            ;   in Loop: Header=BB298_552 Depth=1
	s_delay_alu instid0(SALU_CYCLE_1) | instskip(NEXT) | instid1(SALU_CYCLE_1)
	s_or_b32 exec_lo, exec_lo, s0
	s_mov_b32 s0, exec_lo
	v_cmpx_lt_u32_e32 0xffffff, v11
	s_cbranch_execz .LBB298_585
; %bb.578:                              ;   in Loop: Header=BB298_552 Depth=1
	v_lshrrev_b32_e32 v13, 24, v11
	v_bfrev_b32_e32 v55, 1
	s_mov_b32 s12, exec_lo
	s_delay_alu instid0(VALU_DEP_2)
	v_cmpx_ne_u32_e32 0x80, v13
	s_cbranch_execz .LBB298_584
; %bb.579:                              ;   in Loop: Header=BB298_552 Depth=1
	v_and_b32_e32 v64, 0x7f, v13
	v_mov_b32_e32 v55, 0x7fc02000
	s_mov_b32 s13, exec_lo
	s_delay_alu instid0(VALU_DEP_2)
	v_cmpx_ne_u32_e32 0x7f, v64
	s_cbranch_execz .LBB298_583
; %bb.580:                              ;   in Loop: Header=BB298_552 Depth=1
	v_and_b32_e32 v0, 7, v13
	v_lshrrev_b32_e32 v14, 3, v64
	s_mov_b32 s15, exec_lo
	v_cmpx_gt_u32_e32 8, v64
; %bb.581:                              ;   in Loop: Header=BB298_552 Depth=1
	s_delay_alu instid0(VALU_DEP_3) | instskip(NEXT) | instid1(VALU_DEP_1)
	v_clz_i32_u32_e32 v14, v0
	v_min_u32_e32 v14, 32, v14
	s_delay_alu instid0(VALU_DEP_1) | instskip(SKIP_1) | instid1(VALU_DEP_2)
	v_subrev_nc_u32_e32 v55, 28, v14
	v_sub_nc_u32_e32 v14, 29, v14
	v_lshlrev_b64 v[64:65], v55, v[0:1]
	s_delay_alu instid0(VALU_DEP_1)
	v_and_b32_e32 v0, 7, v64
; %bb.582:                              ;   in Loop: Header=BB298_552 Depth=1
	s_or_b32 exec_lo, exec_lo, s15
	v_lshlrev_b32_e32 v13, 8, v13
	v_lshl_add_u32 v14, v14, 10, 0x2000
	s_delay_alu instid0(VALU_DEP_1) | instskip(NEXT) | instid1(VALU_DEP_1)
	v_and_or_b32 v13, 0x8000, v13, v14
	v_lshl_or_b32 v0, v0, 7, v13
	s_delay_alu instid0(VALU_DEP_1)
	v_cvt_f32_f16_e32 v55, v0
.LBB298_583:                            ;   in Loop: Header=BB298_552 Depth=1
	s_or_b32 exec_lo, exec_lo, s13
.LBB298_584:                            ;   in Loop: Header=BB298_552 Depth=1
	s_delay_alu instid0(SALU_CYCLE_1)
	s_or_b32 exec_lo, exec_lo, s12
.LBB298_585:                            ;   in Loop: Header=BB298_552 Depth=1
	s_delay_alu instid0(SALU_CYCLE_1) | instskip(SKIP_4) | instid1(VALU_DEP_3)
	s_or_b32 exec_lo, exec_lo, s0
	v_dual_mov_b32 v13, 0 :: v_dual_and_b32 v14, 0xff, v12
	v_mov_b32_e32 v0, v12
	v_mov_b32_e32 v64, 0
	s_mov_b32 s0, exec_lo
	v_cmpx_ne_u16_e32 0, v14
	s_cbranch_execz .LBB298_593
; %bb.586:                              ;   in Loop: Header=BB298_552 Depth=1
	v_bfrev_b32_e32 v13, 1
	s_mov_b32 s12, exec_lo
	v_cmpx_ne_u16_e32 0x80, v14
	s_cbranch_execz .LBB298_592
; %bb.587:                              ;   in Loop: Header=BB298_552 Depth=1
	v_and_b32_e32 v14, 0x7f, v12
	v_mov_b32_e32 v13, 0x7fc02000
	s_mov_b32 s13, exec_lo
	s_delay_alu instid0(VALU_DEP_2)
	v_cmpx_ne_u32_e32 0x7f, v14
	s_cbranch_execz .LBB298_591
; %bb.588:                              ;   in Loop: Header=BB298_552 Depth=1
	v_lshrrev_b32_e32 v65, 3, v14
	v_cmp_gt_u32_e32 vcc_lo, 8, v14
	v_dual_mov_b32 v14, v1 :: v_dual_mov_b32 v13, v0
	s_and_saveexec_b32 s15, vcc_lo
; %bb.589:                              ;   in Loop: Header=BB298_552 Depth=1
	v_and_b32_e32 v13, 7, v12
	s_delay_alu instid0(VALU_DEP_1) | instskip(NEXT) | instid1(VALU_DEP_1)
	v_clz_i32_u32_e32 v13, v13
	v_min_u32_e32 v65, 32, v13
	s_delay_alu instid0(VALU_DEP_1) | instskip(SKIP_1) | instid1(VALU_DEP_2)
	v_subrev_nc_u32_e32 v13, 28, v65
	v_sub_nc_u32_e32 v65, 29, v65
	v_lshlrev_b64 v[13:14], v13, v[0:1]
; %bb.590:                              ;   in Loop: Header=BB298_552 Depth=1
	s_or_b32 exec_lo, exec_lo, s15
	v_lshlrev_b32_e32 v14, 8, v12
	s_delay_alu instid0(VALU_DEP_3) | instskip(NEXT) | instid1(VALU_DEP_3)
	v_lshl_add_u32 v65, v65, 10, 0x2000
	v_lshlrev_b32_e32 v13, 7, v13
	s_delay_alu instid0(VALU_DEP_2) | instskip(NEXT) | instid1(VALU_DEP_1)
	v_and_or_b32 v14, 0x8000, v14, v65
	v_and_or_b32 v13, 0x380, v13, v14
	s_delay_alu instid0(VALU_DEP_1)
	v_cvt_f32_f16_e32 v13, v13
.LBB298_591:                            ;   in Loop: Header=BB298_552 Depth=1
	s_or_b32 exec_lo, exec_lo, s13
.LBB298_592:                            ;   in Loop: Header=BB298_552 Depth=1
	s_delay_alu instid0(SALU_CYCLE_1)
	s_or_b32 exec_lo, exec_lo, s12
.LBB298_593:                            ;   in Loop: Header=BB298_552 Depth=1
	s_delay_alu instid0(SALU_CYCLE_1) | instskip(SKIP_2) | instid1(VALU_DEP_1)
	s_or_b32 exec_lo, exec_lo, s0
	v_lshrrev_b16 v0, 8, v0
	s_mov_b32 s0, exec_lo
	v_cmpx_ne_u16_e32 0, v0
	s_cbranch_execz .LBB298_601
; %bb.594:                              ;   in Loop: Header=BB298_552 Depth=1
	v_bfrev_b32_e32 v64, 1
	s_mov_b32 s12, exec_lo
	v_cmpx_ne_u16_e32 0x80, v0
	s_cbranch_execz .LBB298_600
; %bb.595:                              ;   in Loop: Header=BB298_552 Depth=1
	v_and_b32_e32 v14, 0xffff, v0
	v_mov_b32_e32 v64, 0x7fc02000
	s_mov_b32 s13, exec_lo
	s_delay_alu instid0(VALU_DEP_2) | instskip(NEXT) | instid1(VALU_DEP_1)
	v_and_b32_e32 v65, 0x7f, v14
	v_cmpx_ne_u32_e32 0x7f, v65
	s_cbranch_execz .LBB298_599
; %bb.596:                              ;   in Loop: Header=BB298_552 Depth=1
	v_and_b32_e32 v0, 7, v14
	v_lshrrev_b32_e32 v64, 3, v65
	s_mov_b32 s15, exec_lo
	v_cmpx_gt_u32_e32 8, v65
; %bb.597:                              ;   in Loop: Header=BB298_552 Depth=1
	s_delay_alu instid0(VALU_DEP_3) | instskip(NEXT) | instid1(VALU_DEP_1)
	v_clz_i32_u32_e32 v64, v0
	v_min_u32_e32 v64, 32, v64
	s_delay_alu instid0(VALU_DEP_1) | instskip(SKIP_1) | instid1(VALU_DEP_2)
	v_subrev_nc_u32_e32 v65, 28, v64
	v_sub_nc_u32_e32 v64, 29, v64
	v_lshlrev_b64 v[82:83], v65, v[0:1]
	s_delay_alu instid0(VALU_DEP_1)
	v_and_b32_e32 v0, 7, v82
; %bb.598:                              ;   in Loop: Header=BB298_552 Depth=1
	s_or_b32 exec_lo, exec_lo, s15
	v_lshlrev_b32_e32 v14, 8, v14
	v_lshl_add_u32 v64, v64, 10, 0x2000
	s_delay_alu instid0(VALU_DEP_1) | instskip(NEXT) | instid1(VALU_DEP_1)
	v_and_or_b32 v14, 0x8000, v14, v64
	v_lshl_or_b32 v0, v0, 7, v14
	s_delay_alu instid0(VALU_DEP_1)
	v_cvt_f32_f16_e32 v64, v0
.LBB298_599:                            ;   in Loop: Header=BB298_552 Depth=1
	s_or_b32 exec_lo, exec_lo, s13
.LBB298_600:                            ;   in Loop: Header=BB298_552 Depth=1
	s_delay_alu instid0(SALU_CYCLE_1)
	s_or_b32 exec_lo, exec_lo, s12
.LBB298_601:                            ;   in Loop: Header=BB298_552 Depth=1
	s_delay_alu instid0(SALU_CYCLE_1) | instskip(SKIP_3) | instid1(VALU_DEP_2)
	s_or_b32 exec_lo, exec_lo, s0
	v_lshrrev_b32_e32 v82, 16, v12
	v_mov_b32_e32 v14, 0
	s_mov_b32 s0, exec_lo
	v_dual_mov_b32 v65, 0 :: v_dual_and_b32 v0, 0xff, v82
	s_delay_alu instid0(VALU_DEP_1)
	v_cmpx_ne_u16_e32 0, v0
	s_cbranch_execz .LBB298_609
; %bb.602:                              ;   in Loop: Header=BB298_552 Depth=1
	v_bfrev_b32_e32 v14, 1
	s_mov_b32 s12, exec_lo
	v_cmpx_ne_u16_e32 0x80, v0
	s_cbranch_execz .LBB298_608
; %bb.603:                              ;   in Loop: Header=BB298_552 Depth=1
	v_bfe_u32 v83, v12, 16, 7
	v_mov_b32_e32 v14, 0x7fc02000
	s_mov_b32 s13, exec_lo
	s_delay_alu instid0(VALU_DEP_2)
	v_cmpx_ne_u32_e32 0x7f, v83
	s_cbranch_execz .LBB298_607
; %bb.604:                              ;   in Loop: Header=BB298_552 Depth=1
	v_and_b32_e32 v0, 7, v82
	v_lshrrev_b32_e32 v14, 3, v83
	s_mov_b32 s15, exec_lo
	v_cmpx_gt_u32_e32 8, v83
; %bb.605:                              ;   in Loop: Header=BB298_552 Depth=1
	s_delay_alu instid0(VALU_DEP_3) | instskip(NEXT) | instid1(VALU_DEP_1)
	v_clz_i32_u32_e32 v14, v0
	v_min_u32_e32 v14, 32, v14
	s_delay_alu instid0(VALU_DEP_1) | instskip(SKIP_1) | instid1(VALU_DEP_2)
	v_subrev_nc_u32_e32 v83, 28, v14
	v_sub_nc_u32_e32 v14, 29, v14
	v_lshlrev_b64 v[83:84], v83, v[0:1]
	s_delay_alu instid0(VALU_DEP_1)
	v_and_b32_e32 v0, 7, v83
; %bb.606:                              ;   in Loop: Header=BB298_552 Depth=1
	s_or_b32 exec_lo, exec_lo, s15
	v_lshlrev_b32_e32 v82, 8, v82
	v_lshl_add_u32 v14, v14, 10, 0x2000
	s_delay_alu instid0(VALU_DEP_1) | instskip(NEXT) | instid1(VALU_DEP_1)
	v_and_or_b32 v14, 0x8000, v82, v14
	v_lshl_or_b32 v0, v0, 7, v14
	s_delay_alu instid0(VALU_DEP_1)
	v_cvt_f32_f16_e32 v14, v0
.LBB298_607:                            ;   in Loop: Header=BB298_552 Depth=1
	s_or_b32 exec_lo, exec_lo, s13
.LBB298_608:                            ;   in Loop: Header=BB298_552 Depth=1
	s_delay_alu instid0(SALU_CYCLE_1)
	s_or_b32 exec_lo, exec_lo, s12
.LBB298_609:                            ;   in Loop: Header=BB298_552 Depth=1
	s_delay_alu instid0(SALU_CYCLE_1) | instskip(NEXT) | instid1(SALU_CYCLE_1)
	s_or_b32 exec_lo, exec_lo, s0
	s_mov_b32 s0, exec_lo
	v_cmpx_lt_u64_e64 s[8:9], v[11:12]
	s_cbranch_execz .LBB298_617
; %bb.610:                              ;   in Loop: Header=BB298_552 Depth=1
	v_lshrrev_b32_e32 v11, 24, v12
	v_bfrev_b32_e32 v65, 1
	s_mov_b32 s12, exec_lo
	s_delay_alu instid0(VALU_DEP_2)
	v_cmpx_ne_u32_e32 0x80, v11
	s_cbranch_execz .LBB298_616
; %bb.611:                              ;   in Loop: Header=BB298_552 Depth=1
	v_and_b32_e32 v82, 0x7f, v11
	v_mov_b32_e32 v65, 0x7fc02000
	s_mov_b32 s13, exec_lo
	s_delay_alu instid0(VALU_DEP_2)
	v_cmpx_ne_u32_e32 0x7f, v82
	s_cbranch_execz .LBB298_615
; %bb.612:                              ;   in Loop: Header=BB298_552 Depth=1
	v_and_b32_e32 v0, 7, v11
	v_lshrrev_b32_e32 v12, 3, v82
	s_mov_b32 s15, exec_lo
	v_cmpx_gt_u32_e32 8, v82
; %bb.613:                              ;   in Loop: Header=BB298_552 Depth=1
	s_delay_alu instid0(VALU_DEP_3) | instskip(NEXT) | instid1(VALU_DEP_1)
	v_clz_i32_u32_e32 v12, v0
	v_min_u32_e32 v12, 32, v12
	s_delay_alu instid0(VALU_DEP_1) | instskip(SKIP_1) | instid1(VALU_DEP_2)
	v_subrev_nc_u32_e32 v65, 28, v12
	v_sub_nc_u32_e32 v12, 29, v12
	v_lshlrev_b64 v[82:83], v65, v[0:1]
	s_delay_alu instid0(VALU_DEP_1)
	v_and_b32_e32 v0, 7, v82
; %bb.614:                              ;   in Loop: Header=BB298_552 Depth=1
	s_or_b32 exec_lo, exec_lo, s15
	v_lshlrev_b32_e32 v11, 8, v11
	v_lshl_add_u32 v12, v12, 10, 0x2000
	s_delay_alu instid0(VALU_DEP_1) | instskip(NEXT) | instid1(VALU_DEP_1)
	v_and_or_b32 v11, 0x8000, v11, v12
	v_lshl_or_b32 v0, v0, 7, v11
	s_delay_alu instid0(VALU_DEP_1)
	v_cvt_f32_f16_e32 v65, v0
.LBB298_615:                            ;   in Loop: Header=BB298_552 Depth=1
	s_or_b32 exec_lo, exec_lo, s13
.LBB298_616:                            ;   in Loop: Header=BB298_552 Depth=1
	s_delay_alu instid0(SALU_CYCLE_1)
	s_or_b32 exec_lo, exec_lo, s12
.LBB298_617:                            ;   in Loop: Header=BB298_552 Depth=1
	s_delay_alu instid0(SALU_CYCLE_1)
	s_or_b32 exec_lo, exec_lo, s0
	s_waitcnt vmcnt(0) lgkmcnt(0)
	v_fma_mixlo_f16 v12, v18, v52, 0
	v_fma_mixlo_f16 v0, v18, v55, 0
	;; [unrolled: 1-line block ×5, first 2 shown]
	v_lshlrev_b32_e32 v52, 16, v12
	v_fma_mixlo_f16 v12, v18, v19, 0
	v_fma_mixlo_f16 v19, v18, v64, 0
	;; [unrolled: 1-line block ×3, first 2 shown]
	v_lshlrev_b32_e32 v0, 16, v0
	v_and_b32_e32 v11, 0xffff, v11
	v_and_b32_e32 v14, 0xffff, v12
	v_lshlrev_b32_e32 v18, 16, v19
	v_and_b32_e32 v19, 0xffff, v54
	v_lshlrev_b32_e32 v54, 16, v55
	v_and_b32_e32 v55, 0xffff, v13
	v_cmp_eq_u32_e32 vcc_lo, v50, v16
	v_or_b32_e32 v12, v0, v11
	v_or_b32_e32 v14, v52, v14
	;; [unrolled: 1-line block ×4, first 2 shown]
	v_add_nc_u32_e32 v65, 1, v23
	v_or_b32_e32 v64, 3, v23
	v_or_b32_e32 v55, 2, v23
	;; [unrolled: 1-line block ×6, first 2 shown]
	s_and_saveexec_b32 s12, vcc_lo
	s_cbranch_execz .LBB298_619
; %bb.618:                              ;   in Loop: Header=BB298_552 Depth=1
	v_cmp_lt_i32_e64 s0, v23, v35
	v_lshrrev_b32_e32 v82, 16, v14
	v_lshrrev_b32_e32 v83, 16, v12
	;; [unrolled: 1-line block ×4, first 2 shown]
	v_cndmask_b32_e64 v14, 0, v14, s0
	v_cmp_lt_i32_e64 s0, v65, v51
	s_delay_alu instid0(VALU_DEP_1) | instskip(SKIP_1) | instid1(VALU_DEP_2)
	v_cndmask_b32_e64 v82, 0, v82, s0
	v_cmp_lt_i32_e64 s0, v64, v51
	v_perm_b32 v14, v82, v14, 0x5040100
	s_delay_alu instid0(VALU_DEP_2) | instskip(SKIP_1) | instid1(VALU_DEP_1)
	v_cndmask_b32_e64 v83, 0, v83, s0
	v_cmp_lt_i32_e64 s0, v55, v35
	v_cndmask_b32_e64 v12, 0, v12, s0
	v_cmp_lt_i32_e64 s0, v54, v51
	s_delay_alu instid0(VALU_DEP_2) | instskip(NEXT) | instid1(VALU_DEP_2)
	v_perm_b32 v12, v83, v12, 0x5040100
	v_cndmask_b32_e64 v84, 0, v84, s0
	v_cmp_lt_i32_e64 s0, v52, v35
	s_delay_alu instid0(VALU_DEP_1) | instskip(SKIP_1) | instid1(VALU_DEP_2)
	v_cndmask_b32_e64 v0, 0, v0, s0
	v_cmp_lt_i32_e64 s0, v19, v51
	v_perm_b32 v0, v84, v0, 0x5040100
	s_delay_alu instid0(VALU_DEP_2) | instskip(SKIP_1) | instid1(VALU_DEP_1)
	v_cndmask_b32_e64 v11, 0, v11, s0
	v_cmp_lt_i32_e64 s0, v18, v35
	v_cndmask_b32_e64 v13, 0, v13, s0
	s_delay_alu instid0(VALU_DEP_1)
	v_perm_b32 v11, v11, v13, 0x5040100
.LBB298_619:                            ;   in Loop: Header=BB298_552 Depth=1
	s_or_b32 exec_lo, exec_lo, s12
	v_and_b32_e32 v13, 0xffff, v66
	v_and_b32_e32 v66, 0xffff, v70
	;; [unrolled: 1-line block ×4, first 2 shown]
	s_mov_b32 s12, exec_lo
	s_delay_alu instid0(VALU_DEP_3) | instskip(NEXT) | instid1(VALU_DEP_3)
	v_lshl_or_b32 v70, v68, 16, v66
	v_lshl_or_b32 v69, v69, 16, v82
	v_mov_b32_e32 v82, 0
	v_lshl_or_b32 v71, v67, 16, v13
	;;#ASMSTART
	v_pk_mul_f16 v13, v71, v14;

	;;#ASMEND
	;;#ASMSTART
	v_pk_mul_f16 v12, v70, v12;

	;;#ASMEND
	;; [unrolled: 4-line block ×3, first 2 shown]
	v_lshl_or_b32 v68, v80, 16, v81
	v_mov_b32_e32 v81, 0
	;;#ASMSTART
	v_pk_mul_f16 v11, v68, v11;

	;;#ASMEND
	;;#ASMSTART
	v_pk_add_f16 v12, v13, v12;

	;;#ASMEND
	;;#ASMSTART
	v_pk_add_f16 v0, v12, v0;
	;; [unrolled: 4-line block ×3, first 2 shown]

	;;#ASMEND
	v_and_b32_e32 v11, 0xffff, v0
	v_lshrrev_b32_e32 v0, 16, v0
	;;#ASMSTART
	v_cvt_f32_f16 v66, v11;
	;;#ASMEND
	;;#ASMSTART
	v_cvt_f32_f16 v67, v0;
	;;#ASMEND
	flat_load_b64 v[11:12], v[9:10] offset:256
	flat_load_b32 v80, v[26:27]
	s_waitcnt vmcnt(1) lgkmcnt(1)
	v_and_b32_e32 v0, 0xff, v11
	s_delay_alu instid0(VALU_DEP_1)
	v_cmpx_ne_u16_e32 0, v0
	s_cbranch_execz .LBB298_627
; %bb.620:                              ;   in Loop: Header=BB298_552 Depth=1
	v_bfrev_b32_e32 v81, 1
	s_mov_b32 s13, exec_lo
	v_cmpx_ne_u16_e32 0x80, v0
	s_cbranch_execz .LBB298_626
; %bb.621:                              ;   in Loop: Header=BB298_552 Depth=1
	v_and_b32_e32 v13, 0x7f, v11
	v_mov_b32_e32 v81, 0x7fc02000
	s_mov_b32 s15, exec_lo
	s_delay_alu instid0(VALU_DEP_2)
	v_cmpx_ne_u32_e32 0x7f, v13
	s_cbranch_execz .LBB298_625
; %bb.622:                              ;   in Loop: Header=BB298_552 Depth=1
	v_lshrrev_b32_e32 v0, 3, v13
	v_cmp_gt_u32_e64 s0, 8, v13
	v_dual_mov_b32 v14, v12 :: v_dual_mov_b32 v13, v11
	s_delay_alu instid0(VALU_DEP_2)
	s_and_saveexec_b32 s16, s0
; %bb.623:                              ;   in Loop: Header=BB298_552 Depth=1
	v_and_b32_e32 v0, 7, v11
	s_delay_alu instid0(VALU_DEP_1) | instskip(NEXT) | instid1(VALU_DEP_1)
	v_clz_i32_u32_e32 v0, v0
	v_min_u32_e32 v0, 32, v0
	s_delay_alu instid0(VALU_DEP_1) | instskip(SKIP_1) | instid1(VALU_DEP_2)
	v_subrev_nc_u32_e32 v13, 28, v0
	v_sub_nc_u32_e32 v0, 29, v0
	v_lshlrev_b64 v[13:14], v13, v[11:12]
; %bb.624:                              ;   in Loop: Header=BB298_552 Depth=1
	s_or_b32 exec_lo, exec_lo, s16
	v_lshlrev_b32_e32 v14, 8, v11
	s_delay_alu instid0(VALU_DEP_3) | instskip(NEXT) | instid1(VALU_DEP_3)
	v_lshl_add_u32 v0, v0, 10, 0x2000
	v_lshlrev_b32_e32 v13, 7, v13
	s_delay_alu instid0(VALU_DEP_2) | instskip(NEXT) | instid1(VALU_DEP_1)
	v_and_or_b32 v0, 0x8000, v14, v0
	v_and_or_b32 v0, 0x380, v13, v0
	s_delay_alu instid0(VALU_DEP_1)
	v_cvt_f32_f16_e32 v81, v0
.LBB298_625:                            ;   in Loop: Header=BB298_552 Depth=1
	s_or_b32 exec_lo, exec_lo, s15
.LBB298_626:                            ;   in Loop: Header=BB298_552 Depth=1
	s_delay_alu instid0(SALU_CYCLE_1)
	s_or_b32 exec_lo, exec_lo, s13
.LBB298_627:                            ;   in Loop: Header=BB298_552 Depth=1
	s_delay_alu instid0(SALU_CYCLE_1) | instskip(SKIP_2) | instid1(VALU_DEP_1)
	s_or_b32 exec_lo, exec_lo, s12
	v_lshrrev_b16 v0, 8, v11
	s_mov_b32 s12, exec_lo
	v_cmpx_ne_u16_e32 0, v0
	s_cbranch_execz .LBB298_635
; %bb.628:                              ;   in Loop: Header=BB298_552 Depth=1
	v_bfrev_b32_e32 v82, 1
	s_mov_b32 s13, exec_lo
	v_cmpx_ne_u16_e32 0x80, v0
	s_cbranch_execz .LBB298_634
; %bb.629:                              ;   in Loop: Header=BB298_552 Depth=1
	v_and_b32_e32 v13, 0xffff, v0
	v_mov_b32_e32 v82, 0x7fc02000
	s_mov_b32 s15, exec_lo
	s_delay_alu instid0(VALU_DEP_2) | instskip(NEXT) | instid1(VALU_DEP_1)
	v_and_b32_e32 v83, 0x7f, v13
	v_cmpx_ne_u32_e32 0x7f, v83
	s_cbranch_execz .LBB298_633
; %bb.630:                              ;   in Loop: Header=BB298_552 Depth=1
	v_and_b32_e32 v0, 7, v13
	v_lshrrev_b32_e32 v14, 3, v83
	s_mov_b32 s16, exec_lo
	v_cmpx_gt_u32_e32 8, v83
; %bb.631:                              ;   in Loop: Header=BB298_552 Depth=1
	s_delay_alu instid0(VALU_DEP_3) | instskip(NEXT) | instid1(VALU_DEP_1)
	v_clz_i32_u32_e32 v14, v0
	v_min_u32_e32 v14, 32, v14
	s_delay_alu instid0(VALU_DEP_1) | instskip(SKIP_1) | instid1(VALU_DEP_2)
	v_subrev_nc_u32_e32 v82, 28, v14
	v_sub_nc_u32_e32 v14, 29, v14
	v_lshlrev_b64 v[82:83], v82, v[0:1]
	s_delay_alu instid0(VALU_DEP_1)
	v_and_b32_e32 v0, 7, v82
; %bb.632:                              ;   in Loop: Header=BB298_552 Depth=1
	s_or_b32 exec_lo, exec_lo, s16
	v_lshlrev_b32_e32 v13, 8, v13
	v_lshl_add_u32 v14, v14, 10, 0x2000
	s_delay_alu instid0(VALU_DEP_1) | instskip(NEXT) | instid1(VALU_DEP_1)
	v_and_or_b32 v13, 0x8000, v13, v14
	v_lshl_or_b32 v0, v0, 7, v13
	s_delay_alu instid0(VALU_DEP_1)
	v_cvt_f32_f16_e32 v82, v0
.LBB298_633:                            ;   in Loop: Header=BB298_552 Depth=1
	s_or_b32 exec_lo, exec_lo, s15
.LBB298_634:                            ;   in Loop: Header=BB298_552 Depth=1
	s_delay_alu instid0(SALU_CYCLE_1)
	s_or_b32 exec_lo, exec_lo, s13
.LBB298_635:                            ;   in Loop: Header=BB298_552 Depth=1
	s_delay_alu instid0(SALU_CYCLE_1) | instskip(SKIP_3) | instid1(VALU_DEP_2)
	s_or_b32 exec_lo, exec_lo, s12
	v_lshrrev_b32_e32 v13, 16, v11
	v_mov_b32_e32 v84, 0
	s_mov_b32 s12, exec_lo
	v_dual_mov_b32 v83, 0 :: v_dual_and_b32 v0, 0xff, v13
	s_delay_alu instid0(VALU_DEP_1)
	v_cmpx_ne_u16_e32 0, v0
	s_cbranch_execz .LBB298_643
; %bb.636:                              ;   in Loop: Header=BB298_552 Depth=1
	v_bfrev_b32_e32 v83, 1
	s_mov_b32 s13, exec_lo
	v_cmpx_ne_u16_e32 0x80, v0
	s_cbranch_execz .LBB298_642
; %bb.637:                              ;   in Loop: Header=BB298_552 Depth=1
	v_bfe_u32 v85, v11, 16, 7
	v_mov_b32_e32 v83, 0x7fc02000
	s_mov_b32 s15, exec_lo
	s_delay_alu instid0(VALU_DEP_2)
	v_cmpx_ne_u32_e32 0x7f, v85
	s_cbranch_execz .LBB298_641
; %bb.638:                              ;   in Loop: Header=BB298_552 Depth=1
	v_and_b32_e32 v0, 7, v13
	v_lshrrev_b32_e32 v14, 3, v85
	s_mov_b32 s16, exec_lo
	v_cmpx_gt_u32_e32 8, v85
; %bb.639:                              ;   in Loop: Header=BB298_552 Depth=1
	s_delay_alu instid0(VALU_DEP_3) | instskip(NEXT) | instid1(VALU_DEP_1)
	v_clz_i32_u32_e32 v14, v0
	v_min_u32_e32 v14, 32, v14
	s_delay_alu instid0(VALU_DEP_1) | instskip(SKIP_1) | instid1(VALU_DEP_2)
	v_subrev_nc_u32_e32 v83, 28, v14
	v_sub_nc_u32_e32 v14, 29, v14
	v_lshlrev_b64 v[85:86], v83, v[0:1]
	s_delay_alu instid0(VALU_DEP_1)
	v_and_b32_e32 v0, 7, v85
; %bb.640:                              ;   in Loop: Header=BB298_552 Depth=1
	s_or_b32 exec_lo, exec_lo, s16
	v_lshlrev_b32_e32 v13, 8, v13
	v_lshl_add_u32 v14, v14, 10, 0x2000
	s_delay_alu instid0(VALU_DEP_1) | instskip(NEXT) | instid1(VALU_DEP_1)
	v_and_or_b32 v13, 0x8000, v13, v14
	v_lshl_or_b32 v0, v0, 7, v13
	s_delay_alu instid0(VALU_DEP_1)
	v_cvt_f32_f16_e32 v83, v0
.LBB298_641:                            ;   in Loop: Header=BB298_552 Depth=1
	s_or_b32 exec_lo, exec_lo, s15
.LBB298_642:                            ;   in Loop: Header=BB298_552 Depth=1
	s_delay_alu instid0(SALU_CYCLE_1)
	s_or_b32 exec_lo, exec_lo, s13
.LBB298_643:                            ;   in Loop: Header=BB298_552 Depth=1
	s_delay_alu instid0(SALU_CYCLE_1) | instskip(NEXT) | instid1(SALU_CYCLE_1)
	s_or_b32 exec_lo, exec_lo, s12
	s_mov_b32 s12, exec_lo
	v_cmpx_lt_u32_e32 0xffffff, v11
	s_cbranch_execz .LBB298_651
; %bb.644:                              ;   in Loop: Header=BB298_552 Depth=1
	v_lshrrev_b32_e32 v13, 24, v11
	v_bfrev_b32_e32 v84, 1
	s_mov_b32 s13, exec_lo
	s_delay_alu instid0(VALU_DEP_2)
	v_cmpx_ne_u32_e32 0x80, v13
	s_cbranch_execz .LBB298_650
; %bb.645:                              ;   in Loop: Header=BB298_552 Depth=1
	v_and_b32_e32 v85, 0x7f, v13
	v_mov_b32_e32 v84, 0x7fc02000
	s_mov_b32 s15, exec_lo
	s_delay_alu instid0(VALU_DEP_2)
	v_cmpx_ne_u32_e32 0x7f, v85
	s_cbranch_execz .LBB298_649
; %bb.646:                              ;   in Loop: Header=BB298_552 Depth=1
	v_and_b32_e32 v0, 7, v13
	v_lshrrev_b32_e32 v14, 3, v85
	s_mov_b32 s16, exec_lo
	v_cmpx_gt_u32_e32 8, v85
; %bb.647:                              ;   in Loop: Header=BB298_552 Depth=1
	s_delay_alu instid0(VALU_DEP_3) | instskip(NEXT) | instid1(VALU_DEP_1)
	v_clz_i32_u32_e32 v14, v0
	v_min_u32_e32 v14, 32, v14
	s_delay_alu instid0(VALU_DEP_1) | instskip(SKIP_1) | instid1(VALU_DEP_2)
	v_subrev_nc_u32_e32 v84, 28, v14
	v_sub_nc_u32_e32 v14, 29, v14
	v_lshlrev_b64 v[84:85], v84, v[0:1]
	s_delay_alu instid0(VALU_DEP_1)
	v_and_b32_e32 v0, 7, v84
; %bb.648:                              ;   in Loop: Header=BB298_552 Depth=1
	s_or_b32 exec_lo, exec_lo, s16
	v_lshlrev_b32_e32 v13, 8, v13
	v_lshl_add_u32 v14, v14, 10, 0x2000
	s_delay_alu instid0(VALU_DEP_1) | instskip(NEXT) | instid1(VALU_DEP_1)
	v_and_or_b32 v13, 0x8000, v13, v14
	v_lshl_or_b32 v0, v0, 7, v13
	s_delay_alu instid0(VALU_DEP_1)
	v_cvt_f32_f16_e32 v84, v0
.LBB298_649:                            ;   in Loop: Header=BB298_552 Depth=1
	s_or_b32 exec_lo, exec_lo, s15
.LBB298_650:                            ;   in Loop: Header=BB298_552 Depth=1
	s_delay_alu instid0(SALU_CYCLE_1)
	s_or_b32 exec_lo, exec_lo, s13
.LBB298_651:                            ;   in Loop: Header=BB298_552 Depth=1
	s_delay_alu instid0(SALU_CYCLE_1) | instskip(SKIP_3) | instid1(VALU_DEP_2)
	s_or_b32 exec_lo, exec_lo, s12
	v_dual_mov_b32 v85, 0 :: v_dual_and_b32 v14, 0xff, v12
	v_dual_mov_b32 v0, v12 :: v_dual_mov_b32 v13, 0
	s_mov_b32 s12, exec_lo
	v_cmpx_ne_u16_e32 0, v14
	s_cbranch_execz .LBB298_659
; %bb.652:                              ;   in Loop: Header=BB298_552 Depth=1
	v_bfrev_b32_e32 v13, 1
	s_mov_b32 s13, exec_lo
	v_cmpx_ne_u16_e32 0x80, v14
	s_cbranch_execz .LBB298_658
; %bb.653:                              ;   in Loop: Header=BB298_552 Depth=1
	v_and_b32_e32 v14, 0x7f, v12
	v_mov_b32_e32 v13, 0x7fc02000
	s_mov_b32 s15, exec_lo
	s_delay_alu instid0(VALU_DEP_2)
	v_cmpx_ne_u32_e32 0x7f, v14
	s_cbranch_execz .LBB298_657
; %bb.654:                              ;   in Loop: Header=BB298_552 Depth=1
	v_lshrrev_b32_e32 v86, 3, v14
	v_cmp_gt_u32_e64 s0, 8, v14
	v_dual_mov_b32 v14, v1 :: v_dual_mov_b32 v13, v0
	s_delay_alu instid0(VALU_DEP_2)
	s_and_saveexec_b32 s16, s0
; %bb.655:                              ;   in Loop: Header=BB298_552 Depth=1
	v_and_b32_e32 v13, 7, v12
	s_delay_alu instid0(VALU_DEP_1) | instskip(NEXT) | instid1(VALU_DEP_1)
	v_clz_i32_u32_e32 v13, v13
	v_min_u32_e32 v86, 32, v13
	s_delay_alu instid0(VALU_DEP_1) | instskip(SKIP_1) | instid1(VALU_DEP_2)
	v_subrev_nc_u32_e32 v13, 28, v86
	v_sub_nc_u32_e32 v86, 29, v86
	v_lshlrev_b64 v[13:14], v13, v[0:1]
; %bb.656:                              ;   in Loop: Header=BB298_552 Depth=1
	s_or_b32 exec_lo, exec_lo, s16
	v_lshlrev_b32_e32 v14, 8, v12
	s_delay_alu instid0(VALU_DEP_3) | instskip(NEXT) | instid1(VALU_DEP_3)
	v_lshl_add_u32 v86, v86, 10, 0x2000
	v_lshlrev_b32_e32 v13, 7, v13
	s_delay_alu instid0(VALU_DEP_2) | instskip(NEXT) | instid1(VALU_DEP_1)
	v_and_or_b32 v14, 0x8000, v14, v86
	v_and_or_b32 v13, 0x380, v13, v14
	s_delay_alu instid0(VALU_DEP_1)
	v_cvt_f32_f16_e32 v13, v13
.LBB298_657:                            ;   in Loop: Header=BB298_552 Depth=1
	s_or_b32 exec_lo, exec_lo, s15
.LBB298_658:                            ;   in Loop: Header=BB298_552 Depth=1
	s_delay_alu instid0(SALU_CYCLE_1)
	s_or_b32 exec_lo, exec_lo, s13
.LBB298_659:                            ;   in Loop: Header=BB298_552 Depth=1
	s_delay_alu instid0(SALU_CYCLE_1) | instskip(SKIP_2) | instid1(VALU_DEP_1)
	s_or_b32 exec_lo, exec_lo, s12
	v_lshrrev_b16 v0, 8, v0
	s_mov_b32 s12, exec_lo
	v_cmpx_ne_u16_e32 0, v0
	s_cbranch_execz .LBB298_667
; %bb.660:                              ;   in Loop: Header=BB298_552 Depth=1
	v_bfrev_b32_e32 v85, 1
	s_mov_b32 s13, exec_lo
	v_cmpx_ne_u16_e32 0x80, v0
	s_cbranch_execz .LBB298_666
; %bb.661:                              ;   in Loop: Header=BB298_552 Depth=1
	v_and_b32_e32 v14, 0xffff, v0
	v_mov_b32_e32 v85, 0x7fc02000
	s_mov_b32 s15, exec_lo
	s_delay_alu instid0(VALU_DEP_2) | instskip(NEXT) | instid1(VALU_DEP_1)
	v_and_b32_e32 v86, 0x7f, v14
	v_cmpx_ne_u32_e32 0x7f, v86
	s_cbranch_execz .LBB298_665
; %bb.662:                              ;   in Loop: Header=BB298_552 Depth=1
	v_and_b32_e32 v0, 7, v14
	v_lshrrev_b32_e32 v85, 3, v86
	s_mov_b32 s16, exec_lo
	v_cmpx_gt_u32_e32 8, v86
; %bb.663:                              ;   in Loop: Header=BB298_552 Depth=1
	s_delay_alu instid0(VALU_DEP_3) | instskip(NEXT) | instid1(VALU_DEP_1)
	v_clz_i32_u32_e32 v85, v0
	v_min_u32_e32 v85, 32, v85
	s_delay_alu instid0(VALU_DEP_1) | instskip(SKIP_1) | instid1(VALU_DEP_2)
	v_subrev_nc_u32_e32 v86, 28, v85
	v_sub_nc_u32_e32 v85, 29, v85
	v_lshlrev_b64 v[86:87], v86, v[0:1]
	s_delay_alu instid0(VALU_DEP_1)
	v_and_b32_e32 v0, 7, v86
; %bb.664:                              ;   in Loop: Header=BB298_552 Depth=1
	s_or_b32 exec_lo, exec_lo, s16
	v_lshlrev_b32_e32 v14, 8, v14
	v_lshl_add_u32 v85, v85, 10, 0x2000
	s_delay_alu instid0(VALU_DEP_1) | instskip(NEXT) | instid1(VALU_DEP_1)
	v_and_or_b32 v14, 0x8000, v14, v85
	v_lshl_or_b32 v0, v0, 7, v14
	s_delay_alu instid0(VALU_DEP_1)
	v_cvt_f32_f16_e32 v85, v0
.LBB298_665:                            ;   in Loop: Header=BB298_552 Depth=1
	s_or_b32 exec_lo, exec_lo, s15
.LBB298_666:                            ;   in Loop: Header=BB298_552 Depth=1
	s_delay_alu instid0(SALU_CYCLE_1)
	s_or_b32 exec_lo, exec_lo, s13
.LBB298_667:                            ;   in Loop: Header=BB298_552 Depth=1
	s_delay_alu instid0(SALU_CYCLE_1) | instskip(SKIP_4) | instid1(VALU_DEP_3)
	s_or_b32 exec_lo, exec_lo, s12
	v_lshrrev_b32_e32 v87, 16, v12
	v_mov_b32_e32 v86, 0
	v_mov_b32_e32 v14, 0
	s_mov_b32 s12, exec_lo
	v_and_b32_e32 v0, 0xff, v87
	s_delay_alu instid0(VALU_DEP_1)
	v_cmpx_ne_u16_e32 0, v0
	s_cbranch_execz .LBB298_675
; %bb.668:                              ;   in Loop: Header=BB298_552 Depth=1
	v_bfrev_b32_e32 v14, 1
	s_mov_b32 s13, exec_lo
	v_cmpx_ne_u16_e32 0x80, v0
	s_cbranch_execz .LBB298_674
; %bb.669:                              ;   in Loop: Header=BB298_552 Depth=1
	v_bfe_u32 v96, v12, 16, 7
	v_mov_b32_e32 v14, 0x7fc02000
	s_mov_b32 s15, exec_lo
	s_delay_alu instid0(VALU_DEP_2)
	v_cmpx_ne_u32_e32 0x7f, v96
	s_cbranch_execz .LBB298_673
; %bb.670:                              ;   in Loop: Header=BB298_552 Depth=1
	v_and_b32_e32 v0, 7, v87
	v_lshrrev_b32_e32 v14, 3, v96
	s_mov_b32 s16, exec_lo
	v_cmpx_gt_u32_e32 8, v96
; %bb.671:                              ;   in Loop: Header=BB298_552 Depth=1
	s_delay_alu instid0(VALU_DEP_3) | instskip(NEXT) | instid1(VALU_DEP_1)
	v_clz_i32_u32_e32 v14, v0
	v_min_u32_e32 v14, 32, v14
	s_delay_alu instid0(VALU_DEP_1) | instskip(SKIP_1) | instid1(VALU_DEP_2)
	v_subrev_nc_u32_e32 v96, 28, v14
	v_sub_nc_u32_e32 v14, 29, v14
	v_lshlrev_b64 v[96:97], v96, v[0:1]
	s_delay_alu instid0(VALU_DEP_1)
	v_and_b32_e32 v0, 7, v96
; %bb.672:                              ;   in Loop: Header=BB298_552 Depth=1
	s_or_b32 exec_lo, exec_lo, s16
	v_lshlrev_b32_e32 v87, 8, v87
	v_lshl_add_u32 v14, v14, 10, 0x2000
	s_delay_alu instid0(VALU_DEP_1) | instskip(NEXT) | instid1(VALU_DEP_1)
	v_and_or_b32 v14, 0x8000, v87, v14
	v_lshl_or_b32 v0, v0, 7, v14
	s_delay_alu instid0(VALU_DEP_1)
	v_cvt_f32_f16_e32 v14, v0
.LBB298_673:                            ;   in Loop: Header=BB298_552 Depth=1
	s_or_b32 exec_lo, exec_lo, s15
.LBB298_674:                            ;   in Loop: Header=BB298_552 Depth=1
	s_delay_alu instid0(SALU_CYCLE_1)
	s_or_b32 exec_lo, exec_lo, s13
.LBB298_675:                            ;   in Loop: Header=BB298_552 Depth=1
	s_delay_alu instid0(SALU_CYCLE_1) | instskip(NEXT) | instid1(SALU_CYCLE_1)
	s_or_b32 exec_lo, exec_lo, s12
	s_mov_b32 s12, exec_lo
	v_cmpx_lt_u64_e64 s[8:9], v[11:12]
	s_cbranch_execz .LBB298_683
; %bb.676:                              ;   in Loop: Header=BB298_552 Depth=1
	v_lshrrev_b32_e32 v11, 24, v12
	v_bfrev_b32_e32 v86, 1
	s_mov_b32 s13, exec_lo
	s_delay_alu instid0(VALU_DEP_2)
	v_cmpx_ne_u32_e32 0x80, v11
	s_cbranch_execz .LBB298_682
; %bb.677:                              ;   in Loop: Header=BB298_552 Depth=1
	v_and_b32_e32 v87, 0x7f, v11
	v_mov_b32_e32 v86, 0x7fc02000
	s_mov_b32 s15, exec_lo
	s_delay_alu instid0(VALU_DEP_2)
	v_cmpx_ne_u32_e32 0x7f, v87
	s_cbranch_execz .LBB298_681
; %bb.678:                              ;   in Loop: Header=BB298_552 Depth=1
	v_and_b32_e32 v0, 7, v11
	v_lshrrev_b32_e32 v12, 3, v87
	s_mov_b32 s16, exec_lo
	v_cmpx_gt_u32_e32 8, v87
; %bb.679:                              ;   in Loop: Header=BB298_552 Depth=1
	s_delay_alu instid0(VALU_DEP_3) | instskip(NEXT) | instid1(VALU_DEP_1)
	v_clz_i32_u32_e32 v12, v0
	v_min_u32_e32 v12, 32, v12
	s_delay_alu instid0(VALU_DEP_1) | instskip(SKIP_1) | instid1(VALU_DEP_2)
	v_subrev_nc_u32_e32 v86, 28, v12
	v_sub_nc_u32_e32 v12, 29, v12
	v_lshlrev_b64 v[86:87], v86, v[0:1]
	s_delay_alu instid0(VALU_DEP_1)
	v_and_b32_e32 v0, 7, v86
; %bb.680:                              ;   in Loop: Header=BB298_552 Depth=1
	s_or_b32 exec_lo, exec_lo, s16
	v_lshlrev_b32_e32 v11, 8, v11
	v_lshl_add_u32 v12, v12, 10, 0x2000
	s_delay_alu instid0(VALU_DEP_1) | instskip(NEXT) | instid1(VALU_DEP_1)
	v_and_or_b32 v11, 0x8000, v11, v12
	v_lshl_or_b32 v0, v0, 7, v11
	s_delay_alu instid0(VALU_DEP_1)
	v_cvt_f32_f16_e32 v86, v0
.LBB298_681:                            ;   in Loop: Header=BB298_552 Depth=1
	s_or_b32 exec_lo, exec_lo, s15
.LBB298_682:                            ;   in Loop: Header=BB298_552 Depth=1
	s_delay_alu instid0(SALU_CYCLE_1)
	s_or_b32 exec_lo, exec_lo, s13
.LBB298_683:                            ;   in Loop: Header=BB298_552 Depth=1
	s_delay_alu instid0(SALU_CYCLE_1)
	s_or_b32 exec_lo, exec_lo, s12
	s_waitcnt vmcnt(0) lgkmcnt(0)
	v_fma_mixlo_f16 v12, v80, v82, 0
	v_fma_mixlo_f16 v0, v80, v84, 0
	;; [unrolled: 1-line block ×5, first 2 shown]
	v_lshlrev_b32_e32 v82, 16, v12
	v_fma_mixlo_f16 v13, v80, v13, 0
	v_fma_mixlo_f16 v84, v80, v86, 0
	;; [unrolled: 1-line block ×3, first 2 shown]
	v_lshlrev_b32_e32 v0, 16, v0
	v_and_b32_e32 v11, 0xffff, v11
	v_and_b32_e32 v14, 0xffff, v81
	v_lshlrev_b32_e32 v80, 16, v83
	v_and_b32_e32 v81, 0xffff, v13
	v_lshlrev_b32_e32 v83, 16, v84
	v_and_b32_e32 v84, 0xffff, v12
	v_or_b32_e32 v13, v0, v11
	v_or_b32_e32 v14, v82, v14
	;; [unrolled: 1-line block ×3, first 2 shown]
	s_delay_alu instid0(VALU_DEP_4)
	v_or_b32_e32 v11, v83, v84
	s_and_saveexec_b32 s12, vcc_lo
	s_cbranch_execz .LBB298_685
; %bb.684:                              ;   in Loop: Header=BB298_552 Depth=1
	v_cmp_lt_i32_e64 s0, v23, v35
	v_lshrrev_b32_e32 v80, 16, v14
	v_lshrrev_b32_e32 v81, 16, v13
	;; [unrolled: 1-line block ×4, first 2 shown]
	v_cndmask_b32_e64 v14, 0, v14, s0
	v_cmp_lt_i32_e64 s0, v65, v51
	s_delay_alu instid0(VALU_DEP_1) | instskip(SKIP_1) | instid1(VALU_DEP_2)
	v_cndmask_b32_e64 v80, 0, v80, s0
	v_cmp_lt_i32_e64 s0, v64, v51
	v_perm_b32 v14, v80, v14, 0x5040100
	s_delay_alu instid0(VALU_DEP_2) | instskip(SKIP_1) | instid1(VALU_DEP_1)
	v_cndmask_b32_e64 v81, 0, v81, s0
	v_cmp_lt_i32_e64 s0, v55, v35
	v_cndmask_b32_e64 v13, 0, v13, s0
	v_cmp_lt_i32_e64 s0, v54, v51
	s_delay_alu instid0(VALU_DEP_2) | instskip(NEXT) | instid1(VALU_DEP_2)
	v_perm_b32 v13, v81, v13, 0x5040100
	v_cndmask_b32_e64 v82, 0, v82, s0
	v_cmp_lt_i32_e64 s0, v52, v35
	s_delay_alu instid0(VALU_DEP_1) | instskip(SKIP_1) | instid1(VALU_DEP_2)
	v_cndmask_b32_e64 v0, 0, v0, s0
	v_cmp_lt_i32_e64 s0, v19, v51
	v_perm_b32 v0, v82, v0, 0x5040100
	s_delay_alu instid0(VALU_DEP_2) | instskip(SKIP_1) | instid1(VALU_DEP_1)
	v_cndmask_b32_e64 v11, 0, v11, s0
	v_cmp_lt_i32_e64 s0, v18, v35
	v_cndmask_b32_e64 v12, 0, v12, s0
	s_delay_alu instid0(VALU_DEP_1)
	v_perm_b32 v11, v11, v12, 0x5040100
.LBB298_685:                            ;   in Loop: Header=BB298_552 Depth=1
	s_or_b32 exec_lo, exec_lo, s12
	;;#ASMSTART
	v_pk_mul_f16 v12, v71, v14;

	;;#ASMEND
	;;#ASMSTART
	v_pk_mul_f16 v13, v70, v13;

	;;#ASMEND
	;;#ASMSTART
	v_pk_mul_f16 v0, v69, v0;

	;;#ASMEND
	;;#ASMSTART
	v_pk_mul_f16 v11, v68, v11;

	;;#ASMEND
	;;#ASMSTART
	v_pk_add_f16 v12, v12, v13;

	;;#ASMEND
	;;#ASMSTART
	v_pk_add_f16 v0, v12, v0;

	;;#ASMEND
	;; [unrolled: 4-line block ×3, first 2 shown]
	v_dual_mov_b32 v84, 0 :: v_dual_and_b32 v11, 0xffff, v0
	v_lshrrev_b32_e32 v0, 16, v0
	;;#ASMSTART
	v_cvt_f32_f16 v80, v11;
	;;#ASMEND
	;;#ASMSTART
	v_cvt_f32_f16 v81, v0;
	;;#ASMEND
	flat_load_b64 v[11:12], v[9:10] offset:512
	flat_load_b32 v82, v[26:27]
	s_mov_b32 s12, exec_lo
	s_waitcnt vmcnt(1) lgkmcnt(1)
	v_dual_mov_b32 v83, 0 :: v_dual_and_b32 v0, 0xff, v11
	s_delay_alu instid0(VALU_DEP_1)
	v_cmpx_ne_u16_e32 0, v0
	s_cbranch_execz .LBB298_693
; %bb.686:                              ;   in Loop: Header=BB298_552 Depth=1
	v_bfrev_b32_e32 v83, 1
	s_mov_b32 s13, exec_lo
	v_cmpx_ne_u16_e32 0x80, v0
	s_cbranch_execz .LBB298_692
; %bb.687:                              ;   in Loop: Header=BB298_552 Depth=1
	v_and_b32_e32 v13, 0x7f, v11
	v_mov_b32_e32 v83, 0x7fc02000
	s_mov_b32 s15, exec_lo
	s_delay_alu instid0(VALU_DEP_2)
	v_cmpx_ne_u32_e32 0x7f, v13
	s_cbranch_execz .LBB298_691
; %bb.688:                              ;   in Loop: Header=BB298_552 Depth=1
	v_lshrrev_b32_e32 v0, 3, v13
	v_cmp_gt_u32_e64 s0, 8, v13
	v_dual_mov_b32 v14, v12 :: v_dual_mov_b32 v13, v11
	s_delay_alu instid0(VALU_DEP_2)
	s_and_saveexec_b32 s16, s0
; %bb.689:                              ;   in Loop: Header=BB298_552 Depth=1
	v_and_b32_e32 v0, 7, v11
	s_delay_alu instid0(VALU_DEP_1) | instskip(NEXT) | instid1(VALU_DEP_1)
	v_clz_i32_u32_e32 v0, v0
	v_min_u32_e32 v0, 32, v0
	s_delay_alu instid0(VALU_DEP_1) | instskip(SKIP_1) | instid1(VALU_DEP_2)
	v_subrev_nc_u32_e32 v13, 28, v0
	v_sub_nc_u32_e32 v0, 29, v0
	v_lshlrev_b64 v[13:14], v13, v[11:12]
; %bb.690:                              ;   in Loop: Header=BB298_552 Depth=1
	s_or_b32 exec_lo, exec_lo, s16
	v_lshlrev_b32_e32 v14, 8, v11
	s_delay_alu instid0(VALU_DEP_3) | instskip(NEXT) | instid1(VALU_DEP_3)
	v_lshl_add_u32 v0, v0, 10, 0x2000
	v_lshlrev_b32_e32 v13, 7, v13
	s_delay_alu instid0(VALU_DEP_2) | instskip(NEXT) | instid1(VALU_DEP_1)
	v_and_or_b32 v0, 0x8000, v14, v0
	v_and_or_b32 v0, 0x380, v13, v0
	s_delay_alu instid0(VALU_DEP_1)
	v_cvt_f32_f16_e32 v83, v0
.LBB298_691:                            ;   in Loop: Header=BB298_552 Depth=1
	s_or_b32 exec_lo, exec_lo, s15
.LBB298_692:                            ;   in Loop: Header=BB298_552 Depth=1
	s_delay_alu instid0(SALU_CYCLE_1)
	s_or_b32 exec_lo, exec_lo, s13
.LBB298_693:                            ;   in Loop: Header=BB298_552 Depth=1
	s_delay_alu instid0(SALU_CYCLE_1) | instskip(SKIP_2) | instid1(VALU_DEP_1)
	s_or_b32 exec_lo, exec_lo, s12
	v_lshrrev_b16 v0, 8, v11
	s_mov_b32 s12, exec_lo
	v_cmpx_ne_u16_e32 0, v0
	s_cbranch_execz .LBB298_701
; %bb.694:                              ;   in Loop: Header=BB298_552 Depth=1
	v_bfrev_b32_e32 v84, 1
	s_mov_b32 s13, exec_lo
	v_cmpx_ne_u16_e32 0x80, v0
	s_cbranch_execz .LBB298_700
; %bb.695:                              ;   in Loop: Header=BB298_552 Depth=1
	v_and_b32_e32 v13, 0xffff, v0
	v_mov_b32_e32 v84, 0x7fc02000
	s_mov_b32 s15, exec_lo
	s_delay_alu instid0(VALU_DEP_2) | instskip(NEXT) | instid1(VALU_DEP_1)
	v_and_b32_e32 v85, 0x7f, v13
	v_cmpx_ne_u32_e32 0x7f, v85
	s_cbranch_execz .LBB298_699
; %bb.696:                              ;   in Loop: Header=BB298_552 Depth=1
	v_and_b32_e32 v0, 7, v13
	v_lshrrev_b32_e32 v14, 3, v85
	s_mov_b32 s16, exec_lo
	v_cmpx_gt_u32_e32 8, v85
; %bb.697:                              ;   in Loop: Header=BB298_552 Depth=1
	s_delay_alu instid0(VALU_DEP_3) | instskip(NEXT) | instid1(VALU_DEP_1)
	v_clz_i32_u32_e32 v14, v0
	v_min_u32_e32 v14, 32, v14
	s_delay_alu instid0(VALU_DEP_1) | instskip(SKIP_1) | instid1(VALU_DEP_2)
	v_subrev_nc_u32_e32 v84, 28, v14
	v_sub_nc_u32_e32 v14, 29, v14
	v_lshlrev_b64 v[84:85], v84, v[0:1]
	s_delay_alu instid0(VALU_DEP_1)
	v_and_b32_e32 v0, 7, v84
; %bb.698:                              ;   in Loop: Header=BB298_552 Depth=1
	s_or_b32 exec_lo, exec_lo, s16
	v_lshlrev_b32_e32 v13, 8, v13
	v_lshl_add_u32 v14, v14, 10, 0x2000
	s_delay_alu instid0(VALU_DEP_1) | instskip(NEXT) | instid1(VALU_DEP_1)
	v_and_or_b32 v13, 0x8000, v13, v14
	v_lshl_or_b32 v0, v0, 7, v13
	s_delay_alu instid0(VALU_DEP_1)
	v_cvt_f32_f16_e32 v84, v0
.LBB298_699:                            ;   in Loop: Header=BB298_552 Depth=1
	s_or_b32 exec_lo, exec_lo, s15
.LBB298_700:                            ;   in Loop: Header=BB298_552 Depth=1
	s_delay_alu instid0(SALU_CYCLE_1)
	s_or_b32 exec_lo, exec_lo, s13
.LBB298_701:                            ;   in Loop: Header=BB298_552 Depth=1
	s_delay_alu instid0(SALU_CYCLE_1) | instskip(SKIP_3) | instid1(VALU_DEP_2)
	s_or_b32 exec_lo, exec_lo, s12
	v_lshrrev_b32_e32 v13, 16, v11
	v_mov_b32_e32 v86, 0
	s_mov_b32 s12, exec_lo
	v_dual_mov_b32 v85, 0 :: v_dual_and_b32 v0, 0xff, v13
	s_delay_alu instid0(VALU_DEP_1)
	v_cmpx_ne_u16_e32 0, v0
	s_cbranch_execz .LBB298_709
; %bb.702:                              ;   in Loop: Header=BB298_552 Depth=1
	v_bfrev_b32_e32 v85, 1
	s_mov_b32 s13, exec_lo
	v_cmpx_ne_u16_e32 0x80, v0
	s_cbranch_execz .LBB298_708
; %bb.703:                              ;   in Loop: Header=BB298_552 Depth=1
	v_bfe_u32 v87, v11, 16, 7
	v_mov_b32_e32 v85, 0x7fc02000
	s_mov_b32 s15, exec_lo
	s_delay_alu instid0(VALU_DEP_2)
	v_cmpx_ne_u32_e32 0x7f, v87
	s_cbranch_execz .LBB298_707
; %bb.704:                              ;   in Loop: Header=BB298_552 Depth=1
	v_and_b32_e32 v0, 7, v13
	v_lshrrev_b32_e32 v14, 3, v87
	s_mov_b32 s16, exec_lo
	v_cmpx_gt_u32_e32 8, v87
; %bb.705:                              ;   in Loop: Header=BB298_552 Depth=1
	s_delay_alu instid0(VALU_DEP_3) | instskip(NEXT) | instid1(VALU_DEP_1)
	v_clz_i32_u32_e32 v14, v0
	v_min_u32_e32 v14, 32, v14
	s_delay_alu instid0(VALU_DEP_1) | instskip(SKIP_1) | instid1(VALU_DEP_2)
	v_subrev_nc_u32_e32 v85, 28, v14
	v_sub_nc_u32_e32 v14, 29, v14
	v_lshlrev_b64 v[96:97], v85, v[0:1]
	s_delay_alu instid0(VALU_DEP_1)
	v_and_b32_e32 v0, 7, v96
; %bb.706:                              ;   in Loop: Header=BB298_552 Depth=1
	s_or_b32 exec_lo, exec_lo, s16
	v_lshlrev_b32_e32 v13, 8, v13
	v_lshl_add_u32 v14, v14, 10, 0x2000
	s_delay_alu instid0(VALU_DEP_1) | instskip(NEXT) | instid1(VALU_DEP_1)
	v_and_or_b32 v13, 0x8000, v13, v14
	v_lshl_or_b32 v0, v0, 7, v13
	s_delay_alu instid0(VALU_DEP_1)
	v_cvt_f32_f16_e32 v85, v0
.LBB298_707:                            ;   in Loop: Header=BB298_552 Depth=1
	s_or_b32 exec_lo, exec_lo, s15
.LBB298_708:                            ;   in Loop: Header=BB298_552 Depth=1
	s_delay_alu instid0(SALU_CYCLE_1)
	s_or_b32 exec_lo, exec_lo, s13
.LBB298_709:                            ;   in Loop: Header=BB298_552 Depth=1
	s_delay_alu instid0(SALU_CYCLE_1) | instskip(NEXT) | instid1(SALU_CYCLE_1)
	s_or_b32 exec_lo, exec_lo, s12
	s_mov_b32 s12, exec_lo
	v_cmpx_lt_u32_e32 0xffffff, v11
	s_cbranch_execz .LBB298_717
; %bb.710:                              ;   in Loop: Header=BB298_552 Depth=1
	v_lshrrev_b32_e32 v13, 24, v11
	v_bfrev_b32_e32 v86, 1
	s_mov_b32 s13, exec_lo
	s_delay_alu instid0(VALU_DEP_2)
	v_cmpx_ne_u32_e32 0x80, v13
	s_cbranch_execz .LBB298_716
; %bb.711:                              ;   in Loop: Header=BB298_552 Depth=1
	v_and_b32_e32 v87, 0x7f, v13
	v_mov_b32_e32 v86, 0x7fc02000
	s_mov_b32 s15, exec_lo
	s_delay_alu instid0(VALU_DEP_2)
	v_cmpx_ne_u32_e32 0x7f, v87
	s_cbranch_execz .LBB298_715
; %bb.712:                              ;   in Loop: Header=BB298_552 Depth=1
	v_and_b32_e32 v0, 7, v13
	v_lshrrev_b32_e32 v14, 3, v87
	s_mov_b32 s16, exec_lo
	v_cmpx_gt_u32_e32 8, v87
; %bb.713:                              ;   in Loop: Header=BB298_552 Depth=1
	s_delay_alu instid0(VALU_DEP_3) | instskip(NEXT) | instid1(VALU_DEP_1)
	v_clz_i32_u32_e32 v14, v0
	v_min_u32_e32 v14, 32, v14
	s_delay_alu instid0(VALU_DEP_1) | instskip(SKIP_1) | instid1(VALU_DEP_2)
	v_subrev_nc_u32_e32 v86, 28, v14
	v_sub_nc_u32_e32 v14, 29, v14
	v_lshlrev_b64 v[86:87], v86, v[0:1]
	s_delay_alu instid0(VALU_DEP_1)
	v_and_b32_e32 v0, 7, v86
; %bb.714:                              ;   in Loop: Header=BB298_552 Depth=1
	s_or_b32 exec_lo, exec_lo, s16
	v_lshlrev_b32_e32 v13, 8, v13
	v_lshl_add_u32 v14, v14, 10, 0x2000
	s_delay_alu instid0(VALU_DEP_1) | instskip(NEXT) | instid1(VALU_DEP_1)
	v_and_or_b32 v13, 0x8000, v13, v14
	v_lshl_or_b32 v0, v0, 7, v13
	s_delay_alu instid0(VALU_DEP_1)
	v_cvt_f32_f16_e32 v86, v0
.LBB298_715:                            ;   in Loop: Header=BB298_552 Depth=1
	s_or_b32 exec_lo, exec_lo, s15
.LBB298_716:                            ;   in Loop: Header=BB298_552 Depth=1
	s_delay_alu instid0(SALU_CYCLE_1)
	s_or_b32 exec_lo, exec_lo, s13
.LBB298_717:                            ;   in Loop: Header=BB298_552 Depth=1
	s_delay_alu instid0(SALU_CYCLE_1) | instskip(SKIP_3) | instid1(VALU_DEP_2)
	s_or_b32 exec_lo, exec_lo, s12
	v_dual_mov_b32 v87, 0 :: v_dual_and_b32 v14, 0xff, v12
	v_dual_mov_b32 v0, v12 :: v_dual_mov_b32 v13, 0
	s_mov_b32 s12, exec_lo
	v_cmpx_ne_u16_e32 0, v14
	s_cbranch_execz .LBB298_725
; %bb.718:                              ;   in Loop: Header=BB298_552 Depth=1
	v_bfrev_b32_e32 v13, 1
	s_mov_b32 s13, exec_lo
	v_cmpx_ne_u16_e32 0x80, v14
	s_cbranch_execz .LBB298_724
; %bb.719:                              ;   in Loop: Header=BB298_552 Depth=1
	v_and_b32_e32 v14, 0x7f, v12
	v_mov_b32_e32 v13, 0x7fc02000
	s_mov_b32 s15, exec_lo
	s_delay_alu instid0(VALU_DEP_2)
	v_cmpx_ne_u32_e32 0x7f, v14
	s_cbranch_execz .LBB298_723
; %bb.720:                              ;   in Loop: Header=BB298_552 Depth=1
	v_lshrrev_b32_e32 v96, 3, v14
	v_cmp_gt_u32_e64 s0, 8, v14
	v_dual_mov_b32 v14, v1 :: v_dual_mov_b32 v13, v0
	s_delay_alu instid0(VALU_DEP_2)
	s_and_saveexec_b32 s16, s0
; %bb.721:                              ;   in Loop: Header=BB298_552 Depth=1
	v_and_b32_e32 v13, 7, v12
	s_delay_alu instid0(VALU_DEP_1) | instskip(NEXT) | instid1(VALU_DEP_1)
	v_clz_i32_u32_e32 v13, v13
	v_min_u32_e32 v96, 32, v13
	s_delay_alu instid0(VALU_DEP_1) | instskip(SKIP_1) | instid1(VALU_DEP_2)
	v_subrev_nc_u32_e32 v13, 28, v96
	v_sub_nc_u32_e32 v96, 29, v96
	v_lshlrev_b64 v[13:14], v13, v[0:1]
; %bb.722:                              ;   in Loop: Header=BB298_552 Depth=1
	s_or_b32 exec_lo, exec_lo, s16
	v_lshlrev_b32_e32 v14, 8, v12
	s_delay_alu instid0(VALU_DEP_3) | instskip(NEXT) | instid1(VALU_DEP_3)
	v_lshl_add_u32 v96, v96, 10, 0x2000
	v_lshlrev_b32_e32 v13, 7, v13
	s_delay_alu instid0(VALU_DEP_2) | instskip(NEXT) | instid1(VALU_DEP_1)
	v_and_or_b32 v14, 0x8000, v14, v96
	v_and_or_b32 v13, 0x380, v13, v14
	s_delay_alu instid0(VALU_DEP_1)
	v_cvt_f32_f16_e32 v13, v13
.LBB298_723:                            ;   in Loop: Header=BB298_552 Depth=1
	s_or_b32 exec_lo, exec_lo, s15
.LBB298_724:                            ;   in Loop: Header=BB298_552 Depth=1
	s_delay_alu instid0(SALU_CYCLE_1)
	s_or_b32 exec_lo, exec_lo, s13
.LBB298_725:                            ;   in Loop: Header=BB298_552 Depth=1
	s_delay_alu instid0(SALU_CYCLE_1) | instskip(SKIP_2) | instid1(VALU_DEP_1)
	s_or_b32 exec_lo, exec_lo, s12
	v_lshrrev_b16 v0, 8, v0
	s_mov_b32 s12, exec_lo
	v_cmpx_ne_u16_e32 0, v0
	s_cbranch_execz .LBB298_733
; %bb.726:                              ;   in Loop: Header=BB298_552 Depth=1
	v_bfrev_b32_e32 v87, 1
	s_mov_b32 s13, exec_lo
	v_cmpx_ne_u16_e32 0x80, v0
	s_cbranch_execz .LBB298_732
; %bb.727:                              ;   in Loop: Header=BB298_552 Depth=1
	v_and_b32_e32 v14, 0xffff, v0
	v_mov_b32_e32 v87, 0x7fc02000
	s_mov_b32 s15, exec_lo
	s_delay_alu instid0(VALU_DEP_2) | instskip(NEXT) | instid1(VALU_DEP_1)
	v_and_b32_e32 v96, 0x7f, v14
	v_cmpx_ne_u32_e32 0x7f, v96
	s_cbranch_execz .LBB298_731
; %bb.728:                              ;   in Loop: Header=BB298_552 Depth=1
	v_and_b32_e32 v0, 7, v14
	v_lshrrev_b32_e32 v87, 3, v96
	s_mov_b32 s16, exec_lo
	v_cmpx_gt_u32_e32 8, v96
; %bb.729:                              ;   in Loop: Header=BB298_552 Depth=1
	s_delay_alu instid0(VALU_DEP_3) | instskip(NEXT) | instid1(VALU_DEP_1)
	v_clz_i32_u32_e32 v87, v0
	v_min_u32_e32 v87, 32, v87
	s_delay_alu instid0(VALU_DEP_1) | instskip(SKIP_1) | instid1(VALU_DEP_2)
	v_subrev_nc_u32_e32 v96, 28, v87
	v_sub_nc_u32_e32 v87, 29, v87
	v_lshlrev_b64 v[96:97], v96, v[0:1]
	s_delay_alu instid0(VALU_DEP_1)
	v_and_b32_e32 v0, 7, v96
; %bb.730:                              ;   in Loop: Header=BB298_552 Depth=1
	s_or_b32 exec_lo, exec_lo, s16
	v_lshlrev_b32_e32 v14, 8, v14
	v_lshl_add_u32 v87, v87, 10, 0x2000
	s_delay_alu instid0(VALU_DEP_1) | instskip(NEXT) | instid1(VALU_DEP_1)
	v_and_or_b32 v14, 0x8000, v14, v87
	v_lshl_or_b32 v0, v0, 7, v14
	s_delay_alu instid0(VALU_DEP_1)
	v_cvt_f32_f16_e32 v87, v0
.LBB298_731:                            ;   in Loop: Header=BB298_552 Depth=1
	s_or_b32 exec_lo, exec_lo, s15
.LBB298_732:                            ;   in Loop: Header=BB298_552 Depth=1
	s_delay_alu instid0(SALU_CYCLE_1)
	s_or_b32 exec_lo, exec_lo, s13
.LBB298_733:                            ;   in Loop: Header=BB298_552 Depth=1
	s_delay_alu instid0(SALU_CYCLE_1) | instskip(SKIP_4) | instid1(VALU_DEP_3)
	s_or_b32 exec_lo, exec_lo, s12
	v_lshrrev_b32_e32 v97, 16, v12
	v_mov_b32_e32 v96, 0
	v_mov_b32_e32 v14, 0
	s_mov_b32 s12, exec_lo
	v_and_b32_e32 v0, 0xff, v97
	s_delay_alu instid0(VALU_DEP_1)
	v_cmpx_ne_u16_e32 0, v0
	s_cbranch_execz .LBB298_741
; %bb.734:                              ;   in Loop: Header=BB298_552 Depth=1
	v_bfrev_b32_e32 v14, 1
	s_mov_b32 s13, exec_lo
	v_cmpx_ne_u16_e32 0x80, v0
	s_cbranch_execz .LBB298_740
; %bb.735:                              ;   in Loop: Header=BB298_552 Depth=1
	v_bfe_u32 v98, v12, 16, 7
	v_mov_b32_e32 v14, 0x7fc02000
	s_mov_b32 s15, exec_lo
	s_delay_alu instid0(VALU_DEP_2)
	v_cmpx_ne_u32_e32 0x7f, v98
	s_cbranch_execz .LBB298_739
; %bb.736:                              ;   in Loop: Header=BB298_552 Depth=1
	v_and_b32_e32 v0, 7, v97
	v_lshrrev_b32_e32 v14, 3, v98
	s_mov_b32 s16, exec_lo
	v_cmpx_gt_u32_e32 8, v98
; %bb.737:                              ;   in Loop: Header=BB298_552 Depth=1
	s_delay_alu instid0(VALU_DEP_3) | instskip(NEXT) | instid1(VALU_DEP_1)
	v_clz_i32_u32_e32 v14, v0
	v_min_u32_e32 v14, 32, v14
	s_delay_alu instid0(VALU_DEP_1) | instskip(SKIP_1) | instid1(VALU_DEP_2)
	v_subrev_nc_u32_e32 v98, 28, v14
	v_sub_nc_u32_e32 v14, 29, v14
	v_lshlrev_b64 v[98:99], v98, v[0:1]
	s_delay_alu instid0(VALU_DEP_1)
	v_and_b32_e32 v0, 7, v98
; %bb.738:                              ;   in Loop: Header=BB298_552 Depth=1
	s_or_b32 exec_lo, exec_lo, s16
	v_lshlrev_b32_e32 v97, 8, v97
	v_lshl_add_u32 v14, v14, 10, 0x2000
	s_delay_alu instid0(VALU_DEP_1) | instskip(NEXT) | instid1(VALU_DEP_1)
	v_and_or_b32 v14, 0x8000, v97, v14
	v_lshl_or_b32 v0, v0, 7, v14
	s_delay_alu instid0(VALU_DEP_1)
	v_cvt_f32_f16_e32 v14, v0
.LBB298_739:                            ;   in Loop: Header=BB298_552 Depth=1
	s_or_b32 exec_lo, exec_lo, s15
.LBB298_740:                            ;   in Loop: Header=BB298_552 Depth=1
	s_delay_alu instid0(SALU_CYCLE_1)
	s_or_b32 exec_lo, exec_lo, s13
.LBB298_741:                            ;   in Loop: Header=BB298_552 Depth=1
	s_delay_alu instid0(SALU_CYCLE_1) | instskip(NEXT) | instid1(SALU_CYCLE_1)
	s_or_b32 exec_lo, exec_lo, s12
	s_mov_b32 s12, exec_lo
	v_cmpx_lt_u64_e64 s[8:9], v[11:12]
	s_cbranch_execz .LBB298_749
; %bb.742:                              ;   in Loop: Header=BB298_552 Depth=1
	v_lshrrev_b32_e32 v11, 24, v12
	v_bfrev_b32_e32 v96, 1
	s_mov_b32 s13, exec_lo
	s_delay_alu instid0(VALU_DEP_2)
	v_cmpx_ne_u32_e32 0x80, v11
	s_cbranch_execz .LBB298_748
; %bb.743:                              ;   in Loop: Header=BB298_552 Depth=1
	v_and_b32_e32 v97, 0x7f, v11
	v_mov_b32_e32 v96, 0x7fc02000
	s_mov_b32 s15, exec_lo
	s_delay_alu instid0(VALU_DEP_2)
	v_cmpx_ne_u32_e32 0x7f, v97
	s_cbranch_execz .LBB298_747
; %bb.744:                              ;   in Loop: Header=BB298_552 Depth=1
	v_and_b32_e32 v0, 7, v11
	v_lshrrev_b32_e32 v12, 3, v97
	s_mov_b32 s16, exec_lo
	v_cmpx_gt_u32_e32 8, v97
; %bb.745:                              ;   in Loop: Header=BB298_552 Depth=1
	s_delay_alu instid0(VALU_DEP_3) | instskip(NEXT) | instid1(VALU_DEP_1)
	v_clz_i32_u32_e32 v12, v0
	v_min_u32_e32 v12, 32, v12
	s_delay_alu instid0(VALU_DEP_1) | instskip(SKIP_1) | instid1(VALU_DEP_2)
	v_subrev_nc_u32_e32 v96, 28, v12
	v_sub_nc_u32_e32 v12, 29, v12
	v_lshlrev_b64 v[96:97], v96, v[0:1]
	s_delay_alu instid0(VALU_DEP_1)
	v_and_b32_e32 v0, 7, v96
; %bb.746:                              ;   in Loop: Header=BB298_552 Depth=1
	s_or_b32 exec_lo, exec_lo, s16
	v_lshlrev_b32_e32 v11, 8, v11
	v_lshl_add_u32 v12, v12, 10, 0x2000
	s_delay_alu instid0(VALU_DEP_1) | instskip(NEXT) | instid1(VALU_DEP_1)
	v_and_or_b32 v11, 0x8000, v11, v12
	v_lshl_or_b32 v0, v0, 7, v11
	s_delay_alu instid0(VALU_DEP_1)
	v_cvt_f32_f16_e32 v96, v0
.LBB298_747:                            ;   in Loop: Header=BB298_552 Depth=1
	s_or_b32 exec_lo, exec_lo, s15
.LBB298_748:                            ;   in Loop: Header=BB298_552 Depth=1
	s_delay_alu instid0(SALU_CYCLE_1)
	s_or_b32 exec_lo, exec_lo, s13
.LBB298_749:                            ;   in Loop: Header=BB298_552 Depth=1
	s_delay_alu instid0(SALU_CYCLE_1)
	s_or_b32 exec_lo, exec_lo, s12
	s_waitcnt vmcnt(0) lgkmcnt(0)
	v_fma_mixlo_f16 v12, v82, v84, 0
	v_fma_mixlo_f16 v0, v82, v86, 0
	;; [unrolled: 1-line block ×5, first 2 shown]
	v_lshlrev_b32_e32 v84, 16, v12
	v_fma_mixlo_f16 v13, v82, v13, 0
	v_fma_mixlo_f16 v86, v82, v96, 0
	;; [unrolled: 1-line block ×3, first 2 shown]
	v_lshlrev_b32_e32 v0, 16, v0
	v_and_b32_e32 v11, 0xffff, v11
	v_and_b32_e32 v14, 0xffff, v83
	v_lshlrev_b32_e32 v82, 16, v85
	v_and_b32_e32 v83, 0xffff, v13
	v_lshlrev_b32_e32 v85, 16, v86
	v_and_b32_e32 v86, 0xffff, v12
	v_or_b32_e32 v13, v0, v11
	v_or_b32_e32 v14, v84, v14
	v_or_b32_e32 v0, v82, v83
	s_delay_alu instid0(VALU_DEP_4)
	v_or_b32_e32 v11, v85, v86
	s_and_saveexec_b32 s12, vcc_lo
	s_cbranch_execz .LBB298_751
; %bb.750:                              ;   in Loop: Header=BB298_552 Depth=1
	v_cmp_lt_i32_e64 s0, v23, v35
	v_lshrrev_b32_e32 v82, 16, v14
	v_lshrrev_b32_e32 v83, 16, v13
	;; [unrolled: 1-line block ×4, first 2 shown]
	v_cndmask_b32_e64 v14, 0, v14, s0
	v_cmp_lt_i32_e64 s0, v65, v51
	s_delay_alu instid0(VALU_DEP_1) | instskip(SKIP_1) | instid1(VALU_DEP_2)
	v_cndmask_b32_e64 v82, 0, v82, s0
	v_cmp_lt_i32_e64 s0, v64, v51
	v_perm_b32 v14, v82, v14, 0x5040100
	s_delay_alu instid0(VALU_DEP_2) | instskip(SKIP_1) | instid1(VALU_DEP_1)
	v_cndmask_b32_e64 v83, 0, v83, s0
	v_cmp_lt_i32_e64 s0, v55, v35
	v_cndmask_b32_e64 v13, 0, v13, s0
	v_cmp_lt_i32_e64 s0, v54, v51
	s_delay_alu instid0(VALU_DEP_2) | instskip(NEXT) | instid1(VALU_DEP_2)
	v_perm_b32 v13, v83, v13, 0x5040100
	v_cndmask_b32_e64 v84, 0, v84, s0
	v_cmp_lt_i32_e64 s0, v52, v35
	s_delay_alu instid0(VALU_DEP_1) | instskip(SKIP_1) | instid1(VALU_DEP_2)
	v_cndmask_b32_e64 v0, 0, v0, s0
	v_cmp_lt_i32_e64 s0, v19, v51
	v_perm_b32 v0, v84, v0, 0x5040100
	s_delay_alu instid0(VALU_DEP_2) | instskip(SKIP_1) | instid1(VALU_DEP_1)
	v_cndmask_b32_e64 v11, 0, v11, s0
	v_cmp_lt_i32_e64 s0, v18, v35
	v_cndmask_b32_e64 v12, 0, v12, s0
	s_delay_alu instid0(VALU_DEP_1)
	v_perm_b32 v11, v11, v12, 0x5040100
.LBB298_751:                            ;   in Loop: Header=BB298_552 Depth=1
	s_or_b32 exec_lo, exec_lo, s12
	;;#ASMSTART
	v_pk_mul_f16 v12, v71, v14;

	;;#ASMEND
	;;#ASMSTART
	v_pk_mul_f16 v13, v70, v13;

	;;#ASMEND
	;; [unrolled: 4-line block ×4, first 2 shown]
	;;#ASMSTART
	v_pk_add_f16 v12, v12, v13;

	;;#ASMEND
	;;#ASMSTART
	v_pk_add_f16 v0, v12, v0;

	;;#ASMEND
	;;#ASMSTART
	v_pk_add_f16 v0, v0, v11;

	;;#ASMEND
	v_dual_mov_b32 v86, 0 :: v_dual_and_b32 v11, 0xffff, v0
	v_lshrrev_b32_e32 v0, 16, v0
	;;#ASMSTART
	v_cvt_f32_f16 v82, v11;
	;;#ASMEND
	;;#ASMSTART
	v_cvt_f32_f16 v83, v0;
	;;#ASMEND
	flat_load_b64 v[11:12], v[9:10] offset:768
	flat_load_b32 v84, v[26:27]
	s_mov_b32 s12, exec_lo
	s_waitcnt vmcnt(1) lgkmcnt(1)
	v_dual_mov_b32 v85, 0 :: v_dual_and_b32 v0, 0xff, v11
	s_delay_alu instid0(VALU_DEP_1)
	v_cmpx_ne_u16_e32 0, v0
	s_cbranch_execz .LBB298_759
; %bb.752:                              ;   in Loop: Header=BB298_552 Depth=1
	v_bfrev_b32_e32 v85, 1
	s_mov_b32 s13, exec_lo
	v_cmpx_ne_u16_e32 0x80, v0
	s_cbranch_execz .LBB298_758
; %bb.753:                              ;   in Loop: Header=BB298_552 Depth=1
	v_and_b32_e32 v13, 0x7f, v11
	v_mov_b32_e32 v85, 0x7fc02000
	s_mov_b32 s15, exec_lo
	s_delay_alu instid0(VALU_DEP_2)
	v_cmpx_ne_u32_e32 0x7f, v13
	s_cbranch_execz .LBB298_757
; %bb.754:                              ;   in Loop: Header=BB298_552 Depth=1
	v_lshrrev_b32_e32 v0, 3, v13
	v_cmp_gt_u32_e64 s0, 8, v13
	v_dual_mov_b32 v14, v12 :: v_dual_mov_b32 v13, v11
	s_delay_alu instid0(VALU_DEP_2)
	s_and_saveexec_b32 s16, s0
; %bb.755:                              ;   in Loop: Header=BB298_552 Depth=1
	v_and_b32_e32 v0, 7, v11
	s_delay_alu instid0(VALU_DEP_1) | instskip(NEXT) | instid1(VALU_DEP_1)
	v_clz_i32_u32_e32 v0, v0
	v_min_u32_e32 v0, 32, v0
	s_delay_alu instid0(VALU_DEP_1) | instskip(SKIP_1) | instid1(VALU_DEP_2)
	v_subrev_nc_u32_e32 v13, 28, v0
	v_sub_nc_u32_e32 v0, 29, v0
	v_lshlrev_b64 v[13:14], v13, v[11:12]
; %bb.756:                              ;   in Loop: Header=BB298_552 Depth=1
	s_or_b32 exec_lo, exec_lo, s16
	v_lshlrev_b32_e32 v14, 8, v11
	s_delay_alu instid0(VALU_DEP_3) | instskip(NEXT) | instid1(VALU_DEP_3)
	v_lshl_add_u32 v0, v0, 10, 0x2000
	v_lshlrev_b32_e32 v13, 7, v13
	s_delay_alu instid0(VALU_DEP_2) | instskip(NEXT) | instid1(VALU_DEP_1)
	v_and_or_b32 v0, 0x8000, v14, v0
	v_and_or_b32 v0, 0x380, v13, v0
	s_delay_alu instid0(VALU_DEP_1)
	v_cvt_f32_f16_e32 v85, v0
.LBB298_757:                            ;   in Loop: Header=BB298_552 Depth=1
	s_or_b32 exec_lo, exec_lo, s15
.LBB298_758:                            ;   in Loop: Header=BB298_552 Depth=1
	s_delay_alu instid0(SALU_CYCLE_1)
	s_or_b32 exec_lo, exec_lo, s13
.LBB298_759:                            ;   in Loop: Header=BB298_552 Depth=1
	s_delay_alu instid0(SALU_CYCLE_1) | instskip(SKIP_2) | instid1(VALU_DEP_1)
	s_or_b32 exec_lo, exec_lo, s12
	v_lshrrev_b16 v0, 8, v11
	s_mov_b32 s12, exec_lo
	v_cmpx_ne_u16_e32 0, v0
	s_cbranch_execz .LBB298_767
; %bb.760:                              ;   in Loop: Header=BB298_552 Depth=1
	v_bfrev_b32_e32 v86, 1
	s_mov_b32 s13, exec_lo
	v_cmpx_ne_u16_e32 0x80, v0
	s_cbranch_execz .LBB298_766
; %bb.761:                              ;   in Loop: Header=BB298_552 Depth=1
	v_and_b32_e32 v13, 0xffff, v0
	v_mov_b32_e32 v86, 0x7fc02000
	s_mov_b32 s15, exec_lo
	s_delay_alu instid0(VALU_DEP_2) | instskip(NEXT) | instid1(VALU_DEP_1)
	v_and_b32_e32 v87, 0x7f, v13
	v_cmpx_ne_u32_e32 0x7f, v87
	s_cbranch_execz .LBB298_765
; %bb.762:                              ;   in Loop: Header=BB298_552 Depth=1
	v_and_b32_e32 v0, 7, v13
	v_lshrrev_b32_e32 v14, 3, v87
	s_mov_b32 s16, exec_lo
	v_cmpx_gt_u32_e32 8, v87
; %bb.763:                              ;   in Loop: Header=BB298_552 Depth=1
	s_delay_alu instid0(VALU_DEP_3) | instskip(NEXT) | instid1(VALU_DEP_1)
	v_clz_i32_u32_e32 v14, v0
	v_min_u32_e32 v14, 32, v14
	s_delay_alu instid0(VALU_DEP_1) | instskip(SKIP_1) | instid1(VALU_DEP_2)
	v_subrev_nc_u32_e32 v86, 28, v14
	v_sub_nc_u32_e32 v14, 29, v14
	v_lshlrev_b64 v[86:87], v86, v[0:1]
	s_delay_alu instid0(VALU_DEP_1)
	v_and_b32_e32 v0, 7, v86
; %bb.764:                              ;   in Loop: Header=BB298_552 Depth=1
	s_or_b32 exec_lo, exec_lo, s16
	v_lshlrev_b32_e32 v13, 8, v13
	v_lshl_add_u32 v14, v14, 10, 0x2000
	s_delay_alu instid0(VALU_DEP_1) | instskip(NEXT) | instid1(VALU_DEP_1)
	v_and_or_b32 v13, 0x8000, v13, v14
	v_lshl_or_b32 v0, v0, 7, v13
	s_delay_alu instid0(VALU_DEP_1)
	v_cvt_f32_f16_e32 v86, v0
.LBB298_765:                            ;   in Loop: Header=BB298_552 Depth=1
	s_or_b32 exec_lo, exec_lo, s15
.LBB298_766:                            ;   in Loop: Header=BB298_552 Depth=1
	s_delay_alu instid0(SALU_CYCLE_1)
	s_or_b32 exec_lo, exec_lo, s13
.LBB298_767:                            ;   in Loop: Header=BB298_552 Depth=1
	s_delay_alu instid0(SALU_CYCLE_1) | instskip(SKIP_3) | instid1(VALU_DEP_2)
	s_or_b32 exec_lo, exec_lo, s12
	v_lshrrev_b32_e32 v13, 16, v11
	v_mov_b32_e32 v96, 0
	s_mov_b32 s12, exec_lo
	v_dual_mov_b32 v87, 0 :: v_dual_and_b32 v0, 0xff, v13
	s_delay_alu instid0(VALU_DEP_1)
	v_cmpx_ne_u16_e32 0, v0
	s_cbranch_execz .LBB298_775
; %bb.768:                              ;   in Loop: Header=BB298_552 Depth=1
	v_bfrev_b32_e32 v87, 1
	s_mov_b32 s13, exec_lo
	v_cmpx_ne_u16_e32 0x80, v0
	s_cbranch_execz .LBB298_774
; %bb.769:                              ;   in Loop: Header=BB298_552 Depth=1
	v_bfe_u32 v97, v11, 16, 7
	v_mov_b32_e32 v87, 0x7fc02000
	s_mov_b32 s15, exec_lo
	s_delay_alu instid0(VALU_DEP_2)
	v_cmpx_ne_u32_e32 0x7f, v97
	s_cbranch_execz .LBB298_773
; %bb.770:                              ;   in Loop: Header=BB298_552 Depth=1
	v_and_b32_e32 v0, 7, v13
	v_lshrrev_b32_e32 v14, 3, v97
	s_mov_b32 s16, exec_lo
	v_cmpx_gt_u32_e32 8, v97
; %bb.771:                              ;   in Loop: Header=BB298_552 Depth=1
	s_delay_alu instid0(VALU_DEP_3) | instskip(NEXT) | instid1(VALU_DEP_1)
	v_clz_i32_u32_e32 v14, v0
	v_min_u32_e32 v14, 32, v14
	s_delay_alu instid0(VALU_DEP_1) | instskip(SKIP_1) | instid1(VALU_DEP_2)
	v_subrev_nc_u32_e32 v87, 28, v14
	v_sub_nc_u32_e32 v14, 29, v14
	v_lshlrev_b64 v[97:98], v87, v[0:1]
	s_delay_alu instid0(VALU_DEP_1)
	v_and_b32_e32 v0, 7, v97
; %bb.772:                              ;   in Loop: Header=BB298_552 Depth=1
	s_or_b32 exec_lo, exec_lo, s16
	v_lshlrev_b32_e32 v13, 8, v13
	v_lshl_add_u32 v14, v14, 10, 0x2000
	s_delay_alu instid0(VALU_DEP_1) | instskip(NEXT) | instid1(VALU_DEP_1)
	v_and_or_b32 v13, 0x8000, v13, v14
	v_lshl_or_b32 v0, v0, 7, v13
	s_delay_alu instid0(VALU_DEP_1)
	v_cvt_f32_f16_e32 v87, v0
.LBB298_773:                            ;   in Loop: Header=BB298_552 Depth=1
	s_or_b32 exec_lo, exec_lo, s15
.LBB298_774:                            ;   in Loop: Header=BB298_552 Depth=1
	s_delay_alu instid0(SALU_CYCLE_1)
	s_or_b32 exec_lo, exec_lo, s13
.LBB298_775:                            ;   in Loop: Header=BB298_552 Depth=1
	s_delay_alu instid0(SALU_CYCLE_1) | instskip(NEXT) | instid1(SALU_CYCLE_1)
	s_or_b32 exec_lo, exec_lo, s12
	s_mov_b32 s12, exec_lo
	v_cmpx_lt_u32_e32 0xffffff, v11
	s_cbranch_execz .LBB298_783
; %bb.776:                              ;   in Loop: Header=BB298_552 Depth=1
	v_lshrrev_b32_e32 v13, 24, v11
	v_bfrev_b32_e32 v96, 1
	s_mov_b32 s13, exec_lo
	s_delay_alu instid0(VALU_DEP_2)
	v_cmpx_ne_u32_e32 0x80, v13
	s_cbranch_execz .LBB298_782
; %bb.777:                              ;   in Loop: Header=BB298_552 Depth=1
	v_and_b32_e32 v97, 0x7f, v13
	v_mov_b32_e32 v96, 0x7fc02000
	s_mov_b32 s15, exec_lo
	s_delay_alu instid0(VALU_DEP_2)
	v_cmpx_ne_u32_e32 0x7f, v97
	s_cbranch_execz .LBB298_781
; %bb.778:                              ;   in Loop: Header=BB298_552 Depth=1
	v_and_b32_e32 v0, 7, v13
	v_lshrrev_b32_e32 v14, 3, v97
	s_mov_b32 s16, exec_lo
	v_cmpx_gt_u32_e32 8, v97
; %bb.779:                              ;   in Loop: Header=BB298_552 Depth=1
	s_delay_alu instid0(VALU_DEP_3) | instskip(NEXT) | instid1(VALU_DEP_1)
	v_clz_i32_u32_e32 v14, v0
	v_min_u32_e32 v14, 32, v14
	s_delay_alu instid0(VALU_DEP_1) | instskip(SKIP_1) | instid1(VALU_DEP_2)
	v_subrev_nc_u32_e32 v96, 28, v14
	v_sub_nc_u32_e32 v14, 29, v14
	v_lshlrev_b64 v[96:97], v96, v[0:1]
	s_delay_alu instid0(VALU_DEP_1)
	v_and_b32_e32 v0, 7, v96
; %bb.780:                              ;   in Loop: Header=BB298_552 Depth=1
	s_or_b32 exec_lo, exec_lo, s16
	v_lshlrev_b32_e32 v13, 8, v13
	v_lshl_add_u32 v14, v14, 10, 0x2000
	s_delay_alu instid0(VALU_DEP_1) | instskip(NEXT) | instid1(VALU_DEP_1)
	v_and_or_b32 v13, 0x8000, v13, v14
	v_lshl_or_b32 v0, v0, 7, v13
	s_delay_alu instid0(VALU_DEP_1)
	v_cvt_f32_f16_e32 v96, v0
.LBB298_781:                            ;   in Loop: Header=BB298_552 Depth=1
	s_or_b32 exec_lo, exec_lo, s15
.LBB298_782:                            ;   in Loop: Header=BB298_552 Depth=1
	s_delay_alu instid0(SALU_CYCLE_1)
	s_or_b32 exec_lo, exec_lo, s13
.LBB298_783:                            ;   in Loop: Header=BB298_552 Depth=1
	s_delay_alu instid0(SALU_CYCLE_1) | instskip(SKIP_3) | instid1(VALU_DEP_2)
	s_or_b32 exec_lo, exec_lo, s12
	v_dual_mov_b32 v97, 0 :: v_dual_and_b32 v14, 0xff, v12
	v_dual_mov_b32 v0, v12 :: v_dual_mov_b32 v13, 0
	s_mov_b32 s12, exec_lo
	v_cmpx_ne_u16_e32 0, v14
	s_cbranch_execz .LBB298_791
; %bb.784:                              ;   in Loop: Header=BB298_552 Depth=1
	v_bfrev_b32_e32 v13, 1
	s_mov_b32 s13, exec_lo
	v_cmpx_ne_u16_e32 0x80, v14
	s_cbranch_execz .LBB298_790
; %bb.785:                              ;   in Loop: Header=BB298_552 Depth=1
	v_and_b32_e32 v14, 0x7f, v12
	v_mov_b32_e32 v13, 0x7fc02000
	s_mov_b32 s15, exec_lo
	s_delay_alu instid0(VALU_DEP_2)
	v_cmpx_ne_u32_e32 0x7f, v14
	s_cbranch_execz .LBB298_789
; %bb.786:                              ;   in Loop: Header=BB298_552 Depth=1
	v_lshrrev_b32_e32 v98, 3, v14
	v_cmp_gt_u32_e64 s0, 8, v14
	v_dual_mov_b32 v14, v1 :: v_dual_mov_b32 v13, v0
	s_delay_alu instid0(VALU_DEP_2)
	s_and_saveexec_b32 s16, s0
; %bb.787:                              ;   in Loop: Header=BB298_552 Depth=1
	v_and_b32_e32 v13, 7, v12
	s_delay_alu instid0(VALU_DEP_1) | instskip(NEXT) | instid1(VALU_DEP_1)
	v_clz_i32_u32_e32 v13, v13
	v_min_u32_e32 v98, 32, v13
	s_delay_alu instid0(VALU_DEP_1) | instskip(SKIP_1) | instid1(VALU_DEP_2)
	v_subrev_nc_u32_e32 v13, 28, v98
	v_sub_nc_u32_e32 v98, 29, v98
	v_lshlrev_b64 v[13:14], v13, v[0:1]
; %bb.788:                              ;   in Loop: Header=BB298_552 Depth=1
	s_or_b32 exec_lo, exec_lo, s16
	v_lshlrev_b32_e32 v14, 8, v12
	s_delay_alu instid0(VALU_DEP_3) | instskip(NEXT) | instid1(VALU_DEP_3)
	v_lshl_add_u32 v98, v98, 10, 0x2000
	v_lshlrev_b32_e32 v13, 7, v13
	s_delay_alu instid0(VALU_DEP_2) | instskip(NEXT) | instid1(VALU_DEP_1)
	v_and_or_b32 v14, 0x8000, v14, v98
	v_and_or_b32 v13, 0x380, v13, v14
	s_delay_alu instid0(VALU_DEP_1)
	v_cvt_f32_f16_e32 v13, v13
.LBB298_789:                            ;   in Loop: Header=BB298_552 Depth=1
	s_or_b32 exec_lo, exec_lo, s15
.LBB298_790:                            ;   in Loop: Header=BB298_552 Depth=1
	s_delay_alu instid0(SALU_CYCLE_1)
	s_or_b32 exec_lo, exec_lo, s13
.LBB298_791:                            ;   in Loop: Header=BB298_552 Depth=1
	s_delay_alu instid0(SALU_CYCLE_1) | instskip(SKIP_2) | instid1(VALU_DEP_1)
	s_or_b32 exec_lo, exec_lo, s12
	v_lshrrev_b16 v0, 8, v0
	s_mov_b32 s12, exec_lo
	v_cmpx_ne_u16_e32 0, v0
	s_cbranch_execz .LBB298_799
; %bb.792:                              ;   in Loop: Header=BB298_552 Depth=1
	v_bfrev_b32_e32 v97, 1
	s_mov_b32 s13, exec_lo
	v_cmpx_ne_u16_e32 0x80, v0
	s_cbranch_execz .LBB298_798
; %bb.793:                              ;   in Loop: Header=BB298_552 Depth=1
	v_and_b32_e32 v14, 0xffff, v0
	v_mov_b32_e32 v97, 0x7fc02000
	s_mov_b32 s15, exec_lo
	s_delay_alu instid0(VALU_DEP_2) | instskip(NEXT) | instid1(VALU_DEP_1)
	v_and_b32_e32 v98, 0x7f, v14
	v_cmpx_ne_u32_e32 0x7f, v98
	s_cbranch_execz .LBB298_797
; %bb.794:                              ;   in Loop: Header=BB298_552 Depth=1
	v_and_b32_e32 v0, 7, v14
	v_lshrrev_b32_e32 v97, 3, v98
	s_mov_b32 s16, exec_lo
	v_cmpx_gt_u32_e32 8, v98
; %bb.795:                              ;   in Loop: Header=BB298_552 Depth=1
	s_delay_alu instid0(VALU_DEP_3) | instskip(NEXT) | instid1(VALU_DEP_1)
	v_clz_i32_u32_e32 v97, v0
	v_min_u32_e32 v97, 32, v97
	s_delay_alu instid0(VALU_DEP_1) | instskip(SKIP_1) | instid1(VALU_DEP_2)
	v_subrev_nc_u32_e32 v98, 28, v97
	v_sub_nc_u32_e32 v97, 29, v97
	v_lshlrev_b64 v[98:99], v98, v[0:1]
	s_delay_alu instid0(VALU_DEP_1)
	v_and_b32_e32 v0, 7, v98
; %bb.796:                              ;   in Loop: Header=BB298_552 Depth=1
	s_or_b32 exec_lo, exec_lo, s16
	v_lshlrev_b32_e32 v14, 8, v14
	v_lshl_add_u32 v97, v97, 10, 0x2000
	s_delay_alu instid0(VALU_DEP_1) | instskip(NEXT) | instid1(VALU_DEP_1)
	v_and_or_b32 v14, 0x8000, v14, v97
	v_lshl_or_b32 v0, v0, 7, v14
	s_delay_alu instid0(VALU_DEP_1)
	v_cvt_f32_f16_e32 v97, v0
.LBB298_797:                            ;   in Loop: Header=BB298_552 Depth=1
	s_or_b32 exec_lo, exec_lo, s15
.LBB298_798:                            ;   in Loop: Header=BB298_552 Depth=1
	s_delay_alu instid0(SALU_CYCLE_1)
	s_or_b32 exec_lo, exec_lo, s13
.LBB298_799:                            ;   in Loop: Header=BB298_552 Depth=1
	s_delay_alu instid0(SALU_CYCLE_1) | instskip(SKIP_4) | instid1(VALU_DEP_3)
	s_or_b32 exec_lo, exec_lo, s12
	v_lshrrev_b32_e32 v99, 16, v12
	v_mov_b32_e32 v98, 0
	v_mov_b32_e32 v14, 0
	s_mov_b32 s12, exec_lo
	v_and_b32_e32 v0, 0xff, v99
	s_delay_alu instid0(VALU_DEP_1)
	v_cmpx_ne_u16_e32 0, v0
	s_cbranch_execz .LBB298_807
; %bb.800:                              ;   in Loop: Header=BB298_552 Depth=1
	v_bfrev_b32_e32 v14, 1
	s_mov_b32 s13, exec_lo
	v_cmpx_ne_u16_e32 0x80, v0
	s_cbranch_execz .LBB298_806
; %bb.801:                              ;   in Loop: Header=BB298_552 Depth=1
	v_bfe_u32 v100, v12, 16, 7
	v_mov_b32_e32 v14, 0x7fc02000
	s_mov_b32 s15, exec_lo
	s_delay_alu instid0(VALU_DEP_2)
	v_cmpx_ne_u32_e32 0x7f, v100
	s_cbranch_execz .LBB298_805
; %bb.802:                              ;   in Loop: Header=BB298_552 Depth=1
	v_and_b32_e32 v0, 7, v99
	v_lshrrev_b32_e32 v14, 3, v100
	s_mov_b32 s16, exec_lo
	v_cmpx_gt_u32_e32 8, v100
; %bb.803:                              ;   in Loop: Header=BB298_552 Depth=1
	s_delay_alu instid0(VALU_DEP_3) | instskip(NEXT) | instid1(VALU_DEP_1)
	v_clz_i32_u32_e32 v14, v0
	v_min_u32_e32 v14, 32, v14
	s_delay_alu instid0(VALU_DEP_1) | instskip(SKIP_1) | instid1(VALU_DEP_2)
	v_subrev_nc_u32_e32 v100, 28, v14
	v_sub_nc_u32_e32 v14, 29, v14
	v_lshlrev_b64 v[100:101], v100, v[0:1]
	s_delay_alu instid0(VALU_DEP_1)
	v_and_b32_e32 v0, 7, v100
; %bb.804:                              ;   in Loop: Header=BB298_552 Depth=1
	s_or_b32 exec_lo, exec_lo, s16
	v_lshlrev_b32_e32 v99, 8, v99
	v_lshl_add_u32 v14, v14, 10, 0x2000
	s_delay_alu instid0(VALU_DEP_1) | instskip(NEXT) | instid1(VALU_DEP_1)
	v_and_or_b32 v14, 0x8000, v99, v14
	v_lshl_or_b32 v0, v0, 7, v14
	s_delay_alu instid0(VALU_DEP_1)
	v_cvt_f32_f16_e32 v14, v0
.LBB298_805:                            ;   in Loop: Header=BB298_552 Depth=1
	s_or_b32 exec_lo, exec_lo, s15
.LBB298_806:                            ;   in Loop: Header=BB298_552 Depth=1
	s_delay_alu instid0(SALU_CYCLE_1)
	s_or_b32 exec_lo, exec_lo, s13
.LBB298_807:                            ;   in Loop: Header=BB298_552 Depth=1
	s_delay_alu instid0(SALU_CYCLE_1) | instskip(NEXT) | instid1(SALU_CYCLE_1)
	s_or_b32 exec_lo, exec_lo, s12
	s_mov_b32 s12, exec_lo
	v_cmpx_lt_u64_e64 s[8:9], v[11:12]
	s_cbranch_execz .LBB298_815
; %bb.808:                              ;   in Loop: Header=BB298_552 Depth=1
	v_lshrrev_b32_e32 v11, 24, v12
	v_bfrev_b32_e32 v98, 1
	s_mov_b32 s13, exec_lo
	s_delay_alu instid0(VALU_DEP_2)
	v_cmpx_ne_u32_e32 0x80, v11
	s_cbranch_execz .LBB298_814
; %bb.809:                              ;   in Loop: Header=BB298_552 Depth=1
	v_and_b32_e32 v99, 0x7f, v11
	v_mov_b32_e32 v98, 0x7fc02000
	s_mov_b32 s15, exec_lo
	s_delay_alu instid0(VALU_DEP_2)
	v_cmpx_ne_u32_e32 0x7f, v99
	s_cbranch_execz .LBB298_813
; %bb.810:                              ;   in Loop: Header=BB298_552 Depth=1
	v_and_b32_e32 v0, 7, v11
	v_lshrrev_b32_e32 v12, 3, v99
	s_mov_b32 s16, exec_lo
	v_cmpx_gt_u32_e32 8, v99
; %bb.811:                              ;   in Loop: Header=BB298_552 Depth=1
	s_delay_alu instid0(VALU_DEP_3) | instskip(NEXT) | instid1(VALU_DEP_1)
	v_clz_i32_u32_e32 v12, v0
	v_min_u32_e32 v12, 32, v12
	s_delay_alu instid0(VALU_DEP_1) | instskip(SKIP_1) | instid1(VALU_DEP_2)
	v_subrev_nc_u32_e32 v98, 28, v12
	v_sub_nc_u32_e32 v12, 29, v12
	v_lshlrev_b64 v[98:99], v98, v[0:1]
	s_delay_alu instid0(VALU_DEP_1)
	v_and_b32_e32 v0, 7, v98
; %bb.812:                              ;   in Loop: Header=BB298_552 Depth=1
	s_or_b32 exec_lo, exec_lo, s16
	v_lshlrev_b32_e32 v11, 8, v11
	v_lshl_add_u32 v12, v12, 10, 0x2000
	s_delay_alu instid0(VALU_DEP_1) | instskip(NEXT) | instid1(VALU_DEP_1)
	v_and_or_b32 v11, 0x8000, v11, v12
	v_lshl_or_b32 v0, v0, 7, v11
	s_delay_alu instid0(VALU_DEP_1)
	v_cvt_f32_f16_e32 v98, v0
.LBB298_813:                            ;   in Loop: Header=BB298_552 Depth=1
	s_or_b32 exec_lo, exec_lo, s15
.LBB298_814:                            ;   in Loop: Header=BB298_552 Depth=1
	s_delay_alu instid0(SALU_CYCLE_1)
	s_or_b32 exec_lo, exec_lo, s13
.LBB298_815:                            ;   in Loop: Header=BB298_552 Depth=1
	s_delay_alu instid0(SALU_CYCLE_1)
	s_or_b32 exec_lo, exec_lo, s12
	s_waitcnt vmcnt(0) lgkmcnt(0)
	v_fma_mixlo_f16 v12, v84, v86, 0
	v_fma_mixlo_f16 v0, v84, v96, 0
	;; [unrolled: 1-line block ×5, first 2 shown]
	v_lshlrev_b32_e32 v86, 16, v12
	v_fma_mixlo_f16 v13, v84, v13, 0
	v_fma_mixlo_f16 v96, v84, v98, 0
	;; [unrolled: 1-line block ×3, first 2 shown]
	v_lshlrev_b32_e32 v0, 16, v0
	v_and_b32_e32 v11, 0xffff, v11
	v_and_b32_e32 v14, 0xffff, v85
	v_lshlrev_b32_e32 v84, 16, v87
	v_and_b32_e32 v85, 0xffff, v13
	v_lshlrev_b32_e32 v87, 16, v96
	v_and_b32_e32 v96, 0xffff, v12
	v_or_b32_e32 v13, v0, v11
	v_or_b32_e32 v14, v86, v14
	;; [unrolled: 1-line block ×3, first 2 shown]
	s_delay_alu instid0(VALU_DEP_4)
	v_or_b32_e32 v11, v87, v96
	s_and_saveexec_b32 s12, vcc_lo
	s_cbranch_execz .LBB298_817
; %bb.816:                              ;   in Loop: Header=BB298_552 Depth=1
	v_cmp_lt_i32_e64 s0, v23, v35
	v_lshrrev_b32_e32 v84, 16, v14
	v_lshrrev_b32_e32 v85, 16, v13
	;; [unrolled: 1-line block ×4, first 2 shown]
	v_cndmask_b32_e64 v14, 0, v14, s0
	v_cmp_lt_i32_e64 s0, v65, v51
	s_delay_alu instid0(VALU_DEP_1) | instskip(SKIP_1) | instid1(VALU_DEP_2)
	v_cndmask_b32_e64 v84, 0, v84, s0
	v_cmp_lt_i32_e64 s0, v64, v51
	v_perm_b32 v14, v84, v14, 0x5040100
	s_delay_alu instid0(VALU_DEP_2) | instskip(SKIP_1) | instid1(VALU_DEP_1)
	v_cndmask_b32_e64 v85, 0, v85, s0
	v_cmp_lt_i32_e64 s0, v55, v35
	v_cndmask_b32_e64 v13, 0, v13, s0
	v_cmp_lt_i32_e64 s0, v54, v51
	s_delay_alu instid0(VALU_DEP_2) | instskip(NEXT) | instid1(VALU_DEP_2)
	v_perm_b32 v13, v85, v13, 0x5040100
	v_cndmask_b32_e64 v86, 0, v86, s0
	v_cmp_lt_i32_e64 s0, v52, v35
	s_delay_alu instid0(VALU_DEP_1) | instskip(SKIP_1) | instid1(VALU_DEP_2)
	v_cndmask_b32_e64 v0, 0, v0, s0
	v_cmp_lt_i32_e64 s0, v19, v51
	v_perm_b32 v0, v86, v0, 0x5040100
	s_delay_alu instid0(VALU_DEP_2) | instskip(SKIP_1) | instid1(VALU_DEP_1)
	v_cndmask_b32_e64 v11, 0, v11, s0
	v_cmp_lt_i32_e64 s0, v18, v35
	v_cndmask_b32_e64 v12, 0, v12, s0
	s_delay_alu instid0(VALU_DEP_1)
	v_perm_b32 v11, v11, v12, 0x5040100
.LBB298_817:                            ;   in Loop: Header=BB298_552 Depth=1
	s_or_b32 exec_lo, exec_lo, s12
	;;#ASMSTART
	v_pk_mul_f16 v12, v71, v14;

	;;#ASMEND
	;;#ASMSTART
	v_pk_mul_f16 v13, v70, v13;

	;;#ASMEND
	;; [unrolled: 4-line block ×4, first 2 shown]
	;;#ASMSTART
	v_pk_add_f16 v12, v12, v13;

	;;#ASMEND
	;;#ASMSTART
	v_pk_add_f16 v0, v12, v0;

	;;#ASMEND
	;; [unrolled: 4-line block ×3, first 2 shown]
	v_dual_mov_b32 v96, 0 :: v_dual_and_b32 v11, 0xffff, v0
	v_lshrrev_b32_e32 v0, 16, v0
	;;#ASMSTART
	v_cvt_f32_f16 v84, v11;
	;;#ASMEND
	;;#ASMSTART
	v_cvt_f32_f16 v85, v0;
	;;#ASMEND
	flat_load_b64 v[11:12], v[9:10] offset:1024
	flat_load_b32 v86, v[26:27]
	s_mov_b32 s12, exec_lo
	s_waitcnt vmcnt(1) lgkmcnt(1)
	v_dual_mov_b32 v87, 0 :: v_dual_and_b32 v0, 0xff, v11
	s_delay_alu instid0(VALU_DEP_1)
	v_cmpx_ne_u16_e32 0, v0
	s_cbranch_execz .LBB298_825
; %bb.818:                              ;   in Loop: Header=BB298_552 Depth=1
	v_bfrev_b32_e32 v87, 1
	s_mov_b32 s13, exec_lo
	v_cmpx_ne_u16_e32 0x80, v0
	s_cbranch_execz .LBB298_824
; %bb.819:                              ;   in Loop: Header=BB298_552 Depth=1
	v_and_b32_e32 v13, 0x7f, v11
	v_mov_b32_e32 v87, 0x7fc02000
	s_mov_b32 s15, exec_lo
	s_delay_alu instid0(VALU_DEP_2)
	v_cmpx_ne_u32_e32 0x7f, v13
	s_cbranch_execz .LBB298_823
; %bb.820:                              ;   in Loop: Header=BB298_552 Depth=1
	v_lshrrev_b32_e32 v0, 3, v13
	v_cmp_gt_u32_e64 s0, 8, v13
	v_dual_mov_b32 v14, v12 :: v_dual_mov_b32 v13, v11
	s_delay_alu instid0(VALU_DEP_2)
	s_and_saveexec_b32 s16, s0
; %bb.821:                              ;   in Loop: Header=BB298_552 Depth=1
	v_and_b32_e32 v0, 7, v11
	s_delay_alu instid0(VALU_DEP_1) | instskip(NEXT) | instid1(VALU_DEP_1)
	v_clz_i32_u32_e32 v0, v0
	v_min_u32_e32 v0, 32, v0
	s_delay_alu instid0(VALU_DEP_1) | instskip(SKIP_1) | instid1(VALU_DEP_2)
	v_subrev_nc_u32_e32 v13, 28, v0
	v_sub_nc_u32_e32 v0, 29, v0
	v_lshlrev_b64 v[13:14], v13, v[11:12]
; %bb.822:                              ;   in Loop: Header=BB298_552 Depth=1
	s_or_b32 exec_lo, exec_lo, s16
	v_lshlrev_b32_e32 v14, 8, v11
	s_delay_alu instid0(VALU_DEP_3) | instskip(NEXT) | instid1(VALU_DEP_3)
	v_lshl_add_u32 v0, v0, 10, 0x2000
	v_lshlrev_b32_e32 v13, 7, v13
	s_delay_alu instid0(VALU_DEP_2) | instskip(NEXT) | instid1(VALU_DEP_1)
	v_and_or_b32 v0, 0x8000, v14, v0
	v_and_or_b32 v0, 0x380, v13, v0
	s_delay_alu instid0(VALU_DEP_1)
	v_cvt_f32_f16_e32 v87, v0
.LBB298_823:                            ;   in Loop: Header=BB298_552 Depth=1
	s_or_b32 exec_lo, exec_lo, s15
.LBB298_824:                            ;   in Loop: Header=BB298_552 Depth=1
	s_delay_alu instid0(SALU_CYCLE_1)
	s_or_b32 exec_lo, exec_lo, s13
.LBB298_825:                            ;   in Loop: Header=BB298_552 Depth=1
	s_delay_alu instid0(SALU_CYCLE_1) | instskip(SKIP_2) | instid1(VALU_DEP_1)
	s_or_b32 exec_lo, exec_lo, s12
	v_lshrrev_b16 v0, 8, v11
	s_mov_b32 s12, exec_lo
	v_cmpx_ne_u16_e32 0, v0
	s_cbranch_execz .LBB298_833
; %bb.826:                              ;   in Loop: Header=BB298_552 Depth=1
	v_bfrev_b32_e32 v96, 1
	s_mov_b32 s13, exec_lo
	v_cmpx_ne_u16_e32 0x80, v0
	s_cbranch_execz .LBB298_832
; %bb.827:                              ;   in Loop: Header=BB298_552 Depth=1
	v_and_b32_e32 v13, 0xffff, v0
	v_mov_b32_e32 v96, 0x7fc02000
	s_mov_b32 s15, exec_lo
	s_delay_alu instid0(VALU_DEP_2) | instskip(NEXT) | instid1(VALU_DEP_1)
	v_and_b32_e32 v97, 0x7f, v13
	v_cmpx_ne_u32_e32 0x7f, v97
	s_cbranch_execz .LBB298_831
; %bb.828:                              ;   in Loop: Header=BB298_552 Depth=1
	v_and_b32_e32 v0, 7, v13
	v_lshrrev_b32_e32 v14, 3, v97
	s_mov_b32 s16, exec_lo
	v_cmpx_gt_u32_e32 8, v97
; %bb.829:                              ;   in Loop: Header=BB298_552 Depth=1
	s_delay_alu instid0(VALU_DEP_3) | instskip(NEXT) | instid1(VALU_DEP_1)
	v_clz_i32_u32_e32 v14, v0
	v_min_u32_e32 v14, 32, v14
	s_delay_alu instid0(VALU_DEP_1) | instskip(SKIP_1) | instid1(VALU_DEP_2)
	v_subrev_nc_u32_e32 v96, 28, v14
	v_sub_nc_u32_e32 v14, 29, v14
	v_lshlrev_b64 v[96:97], v96, v[0:1]
	s_delay_alu instid0(VALU_DEP_1)
	v_and_b32_e32 v0, 7, v96
; %bb.830:                              ;   in Loop: Header=BB298_552 Depth=1
	s_or_b32 exec_lo, exec_lo, s16
	v_lshlrev_b32_e32 v13, 8, v13
	v_lshl_add_u32 v14, v14, 10, 0x2000
	s_delay_alu instid0(VALU_DEP_1) | instskip(NEXT) | instid1(VALU_DEP_1)
	v_and_or_b32 v13, 0x8000, v13, v14
	v_lshl_or_b32 v0, v0, 7, v13
	s_delay_alu instid0(VALU_DEP_1)
	v_cvt_f32_f16_e32 v96, v0
.LBB298_831:                            ;   in Loop: Header=BB298_552 Depth=1
	s_or_b32 exec_lo, exec_lo, s15
.LBB298_832:                            ;   in Loop: Header=BB298_552 Depth=1
	s_delay_alu instid0(SALU_CYCLE_1)
	s_or_b32 exec_lo, exec_lo, s13
.LBB298_833:                            ;   in Loop: Header=BB298_552 Depth=1
	s_delay_alu instid0(SALU_CYCLE_1) | instskip(SKIP_3) | instid1(VALU_DEP_2)
	s_or_b32 exec_lo, exec_lo, s12
	v_lshrrev_b32_e32 v13, 16, v11
	v_mov_b32_e32 v98, 0
	s_mov_b32 s12, exec_lo
	v_dual_mov_b32 v97, 0 :: v_dual_and_b32 v0, 0xff, v13
	s_delay_alu instid0(VALU_DEP_1)
	v_cmpx_ne_u16_e32 0, v0
	s_cbranch_execz .LBB298_841
; %bb.834:                              ;   in Loop: Header=BB298_552 Depth=1
	v_bfrev_b32_e32 v97, 1
	s_mov_b32 s13, exec_lo
	v_cmpx_ne_u16_e32 0x80, v0
	s_cbranch_execz .LBB298_840
; %bb.835:                              ;   in Loop: Header=BB298_552 Depth=1
	v_bfe_u32 v99, v11, 16, 7
	v_mov_b32_e32 v97, 0x7fc02000
	s_mov_b32 s15, exec_lo
	s_delay_alu instid0(VALU_DEP_2)
	v_cmpx_ne_u32_e32 0x7f, v99
	s_cbranch_execz .LBB298_839
; %bb.836:                              ;   in Loop: Header=BB298_552 Depth=1
	v_and_b32_e32 v0, 7, v13
	v_lshrrev_b32_e32 v14, 3, v99
	s_mov_b32 s16, exec_lo
	v_cmpx_gt_u32_e32 8, v99
; %bb.837:                              ;   in Loop: Header=BB298_552 Depth=1
	s_delay_alu instid0(VALU_DEP_3) | instskip(NEXT) | instid1(VALU_DEP_1)
	v_clz_i32_u32_e32 v14, v0
	v_min_u32_e32 v14, 32, v14
	s_delay_alu instid0(VALU_DEP_1) | instskip(SKIP_1) | instid1(VALU_DEP_2)
	v_subrev_nc_u32_e32 v97, 28, v14
	v_sub_nc_u32_e32 v14, 29, v14
	v_lshlrev_b64 v[99:100], v97, v[0:1]
	s_delay_alu instid0(VALU_DEP_1)
	v_and_b32_e32 v0, 7, v99
; %bb.838:                              ;   in Loop: Header=BB298_552 Depth=1
	s_or_b32 exec_lo, exec_lo, s16
	v_lshlrev_b32_e32 v13, 8, v13
	v_lshl_add_u32 v14, v14, 10, 0x2000
	s_delay_alu instid0(VALU_DEP_1) | instskip(NEXT) | instid1(VALU_DEP_1)
	v_and_or_b32 v13, 0x8000, v13, v14
	v_lshl_or_b32 v0, v0, 7, v13
	s_delay_alu instid0(VALU_DEP_1)
	v_cvt_f32_f16_e32 v97, v0
.LBB298_839:                            ;   in Loop: Header=BB298_552 Depth=1
	s_or_b32 exec_lo, exec_lo, s15
.LBB298_840:                            ;   in Loop: Header=BB298_552 Depth=1
	s_delay_alu instid0(SALU_CYCLE_1)
	s_or_b32 exec_lo, exec_lo, s13
.LBB298_841:                            ;   in Loop: Header=BB298_552 Depth=1
	s_delay_alu instid0(SALU_CYCLE_1) | instskip(NEXT) | instid1(SALU_CYCLE_1)
	s_or_b32 exec_lo, exec_lo, s12
	s_mov_b32 s12, exec_lo
	v_cmpx_lt_u32_e32 0xffffff, v11
	s_cbranch_execz .LBB298_849
; %bb.842:                              ;   in Loop: Header=BB298_552 Depth=1
	v_lshrrev_b32_e32 v13, 24, v11
	v_bfrev_b32_e32 v98, 1
	s_mov_b32 s13, exec_lo
	s_delay_alu instid0(VALU_DEP_2)
	v_cmpx_ne_u32_e32 0x80, v13
	s_cbranch_execz .LBB298_848
; %bb.843:                              ;   in Loop: Header=BB298_552 Depth=1
	v_and_b32_e32 v99, 0x7f, v13
	v_mov_b32_e32 v98, 0x7fc02000
	s_mov_b32 s15, exec_lo
	s_delay_alu instid0(VALU_DEP_2)
	v_cmpx_ne_u32_e32 0x7f, v99
	s_cbranch_execz .LBB298_847
; %bb.844:                              ;   in Loop: Header=BB298_552 Depth=1
	v_and_b32_e32 v0, 7, v13
	v_lshrrev_b32_e32 v14, 3, v99
	s_mov_b32 s16, exec_lo
	v_cmpx_gt_u32_e32 8, v99
; %bb.845:                              ;   in Loop: Header=BB298_552 Depth=1
	s_delay_alu instid0(VALU_DEP_3) | instskip(NEXT) | instid1(VALU_DEP_1)
	v_clz_i32_u32_e32 v14, v0
	v_min_u32_e32 v14, 32, v14
	s_delay_alu instid0(VALU_DEP_1) | instskip(SKIP_1) | instid1(VALU_DEP_2)
	v_subrev_nc_u32_e32 v98, 28, v14
	v_sub_nc_u32_e32 v14, 29, v14
	v_lshlrev_b64 v[98:99], v98, v[0:1]
	s_delay_alu instid0(VALU_DEP_1)
	v_and_b32_e32 v0, 7, v98
; %bb.846:                              ;   in Loop: Header=BB298_552 Depth=1
	s_or_b32 exec_lo, exec_lo, s16
	v_lshlrev_b32_e32 v13, 8, v13
	v_lshl_add_u32 v14, v14, 10, 0x2000
	s_delay_alu instid0(VALU_DEP_1) | instskip(NEXT) | instid1(VALU_DEP_1)
	v_and_or_b32 v13, 0x8000, v13, v14
	v_lshl_or_b32 v0, v0, 7, v13
	s_delay_alu instid0(VALU_DEP_1)
	v_cvt_f32_f16_e32 v98, v0
.LBB298_847:                            ;   in Loop: Header=BB298_552 Depth=1
	s_or_b32 exec_lo, exec_lo, s15
.LBB298_848:                            ;   in Loop: Header=BB298_552 Depth=1
	s_delay_alu instid0(SALU_CYCLE_1)
	s_or_b32 exec_lo, exec_lo, s13
.LBB298_849:                            ;   in Loop: Header=BB298_552 Depth=1
	s_delay_alu instid0(SALU_CYCLE_1) | instskip(SKIP_3) | instid1(VALU_DEP_2)
	s_or_b32 exec_lo, exec_lo, s12
	v_dual_mov_b32 v99, 0 :: v_dual_and_b32 v14, 0xff, v12
	v_dual_mov_b32 v0, v12 :: v_dual_mov_b32 v13, 0
	s_mov_b32 s12, exec_lo
	v_cmpx_ne_u16_e32 0, v14
	s_cbranch_execz .LBB298_857
; %bb.850:                              ;   in Loop: Header=BB298_552 Depth=1
	v_bfrev_b32_e32 v13, 1
	s_mov_b32 s13, exec_lo
	v_cmpx_ne_u16_e32 0x80, v14
	s_cbranch_execz .LBB298_856
; %bb.851:                              ;   in Loop: Header=BB298_552 Depth=1
	v_and_b32_e32 v14, 0x7f, v12
	v_mov_b32_e32 v13, 0x7fc02000
	s_mov_b32 s15, exec_lo
	s_delay_alu instid0(VALU_DEP_2)
	v_cmpx_ne_u32_e32 0x7f, v14
	s_cbranch_execz .LBB298_855
; %bb.852:                              ;   in Loop: Header=BB298_552 Depth=1
	v_lshrrev_b32_e32 v100, 3, v14
	v_cmp_gt_u32_e64 s0, 8, v14
	v_dual_mov_b32 v14, v1 :: v_dual_mov_b32 v13, v0
	s_delay_alu instid0(VALU_DEP_2)
	s_and_saveexec_b32 s16, s0
; %bb.853:                              ;   in Loop: Header=BB298_552 Depth=1
	v_and_b32_e32 v13, 7, v12
	s_delay_alu instid0(VALU_DEP_1) | instskip(NEXT) | instid1(VALU_DEP_1)
	v_clz_i32_u32_e32 v13, v13
	v_min_u32_e32 v100, 32, v13
	s_delay_alu instid0(VALU_DEP_1) | instskip(SKIP_1) | instid1(VALU_DEP_2)
	v_subrev_nc_u32_e32 v13, 28, v100
	v_sub_nc_u32_e32 v100, 29, v100
	v_lshlrev_b64 v[13:14], v13, v[0:1]
; %bb.854:                              ;   in Loop: Header=BB298_552 Depth=1
	s_or_b32 exec_lo, exec_lo, s16
	v_lshlrev_b32_e32 v14, 8, v12
	s_delay_alu instid0(VALU_DEP_3) | instskip(NEXT) | instid1(VALU_DEP_3)
	v_lshl_add_u32 v100, v100, 10, 0x2000
	v_lshlrev_b32_e32 v13, 7, v13
	s_delay_alu instid0(VALU_DEP_2) | instskip(NEXT) | instid1(VALU_DEP_1)
	v_and_or_b32 v14, 0x8000, v14, v100
	v_and_or_b32 v13, 0x380, v13, v14
	s_delay_alu instid0(VALU_DEP_1)
	v_cvt_f32_f16_e32 v13, v13
.LBB298_855:                            ;   in Loop: Header=BB298_552 Depth=1
	s_or_b32 exec_lo, exec_lo, s15
.LBB298_856:                            ;   in Loop: Header=BB298_552 Depth=1
	s_delay_alu instid0(SALU_CYCLE_1)
	s_or_b32 exec_lo, exec_lo, s13
.LBB298_857:                            ;   in Loop: Header=BB298_552 Depth=1
	s_delay_alu instid0(SALU_CYCLE_1) | instskip(SKIP_2) | instid1(VALU_DEP_1)
	s_or_b32 exec_lo, exec_lo, s12
	v_lshrrev_b16 v0, 8, v0
	s_mov_b32 s12, exec_lo
	v_cmpx_ne_u16_e32 0, v0
	s_cbranch_execz .LBB298_865
; %bb.858:                              ;   in Loop: Header=BB298_552 Depth=1
	v_bfrev_b32_e32 v99, 1
	s_mov_b32 s13, exec_lo
	v_cmpx_ne_u16_e32 0x80, v0
	s_cbranch_execz .LBB298_864
; %bb.859:                              ;   in Loop: Header=BB298_552 Depth=1
	v_and_b32_e32 v14, 0xffff, v0
	v_mov_b32_e32 v99, 0x7fc02000
	s_mov_b32 s15, exec_lo
	s_delay_alu instid0(VALU_DEP_2) | instskip(NEXT) | instid1(VALU_DEP_1)
	v_and_b32_e32 v100, 0x7f, v14
	v_cmpx_ne_u32_e32 0x7f, v100
	s_cbranch_execz .LBB298_863
; %bb.860:                              ;   in Loop: Header=BB298_552 Depth=1
	v_and_b32_e32 v0, 7, v14
	v_lshrrev_b32_e32 v99, 3, v100
	s_mov_b32 s16, exec_lo
	v_cmpx_gt_u32_e32 8, v100
; %bb.861:                              ;   in Loop: Header=BB298_552 Depth=1
	s_delay_alu instid0(VALU_DEP_3) | instskip(NEXT) | instid1(VALU_DEP_1)
	v_clz_i32_u32_e32 v99, v0
	v_min_u32_e32 v99, 32, v99
	s_delay_alu instid0(VALU_DEP_1) | instskip(SKIP_1) | instid1(VALU_DEP_2)
	v_subrev_nc_u32_e32 v100, 28, v99
	v_sub_nc_u32_e32 v99, 29, v99
	v_lshlrev_b64 v[100:101], v100, v[0:1]
	s_delay_alu instid0(VALU_DEP_1)
	v_and_b32_e32 v0, 7, v100
; %bb.862:                              ;   in Loop: Header=BB298_552 Depth=1
	s_or_b32 exec_lo, exec_lo, s16
	v_lshlrev_b32_e32 v14, 8, v14
	v_lshl_add_u32 v99, v99, 10, 0x2000
	s_delay_alu instid0(VALU_DEP_1) | instskip(NEXT) | instid1(VALU_DEP_1)
	v_and_or_b32 v14, 0x8000, v14, v99
	v_lshl_or_b32 v0, v0, 7, v14
	s_delay_alu instid0(VALU_DEP_1)
	v_cvt_f32_f16_e32 v99, v0
.LBB298_863:                            ;   in Loop: Header=BB298_552 Depth=1
	s_or_b32 exec_lo, exec_lo, s15
.LBB298_864:                            ;   in Loop: Header=BB298_552 Depth=1
	s_delay_alu instid0(SALU_CYCLE_1)
	s_or_b32 exec_lo, exec_lo, s13
.LBB298_865:                            ;   in Loop: Header=BB298_552 Depth=1
	s_delay_alu instid0(SALU_CYCLE_1) | instskip(SKIP_4) | instid1(VALU_DEP_3)
	s_or_b32 exec_lo, exec_lo, s12
	v_lshrrev_b32_e32 v101, 16, v12
	v_mov_b32_e32 v100, 0
	v_mov_b32_e32 v14, 0
	s_mov_b32 s12, exec_lo
	v_and_b32_e32 v0, 0xff, v101
	s_delay_alu instid0(VALU_DEP_1)
	v_cmpx_ne_u16_e32 0, v0
	s_cbranch_execz .LBB298_873
; %bb.866:                              ;   in Loop: Header=BB298_552 Depth=1
	v_bfrev_b32_e32 v14, 1
	s_mov_b32 s13, exec_lo
	v_cmpx_ne_u16_e32 0x80, v0
	s_cbranch_execz .LBB298_872
; %bb.867:                              ;   in Loop: Header=BB298_552 Depth=1
	v_bfe_u32 v102, v12, 16, 7
	v_mov_b32_e32 v14, 0x7fc02000
	s_mov_b32 s15, exec_lo
	s_delay_alu instid0(VALU_DEP_2)
	v_cmpx_ne_u32_e32 0x7f, v102
	s_cbranch_execz .LBB298_871
; %bb.868:                              ;   in Loop: Header=BB298_552 Depth=1
	v_and_b32_e32 v0, 7, v101
	v_lshrrev_b32_e32 v14, 3, v102
	s_mov_b32 s16, exec_lo
	v_cmpx_gt_u32_e32 8, v102
; %bb.869:                              ;   in Loop: Header=BB298_552 Depth=1
	s_delay_alu instid0(VALU_DEP_3) | instskip(NEXT) | instid1(VALU_DEP_1)
	v_clz_i32_u32_e32 v14, v0
	v_min_u32_e32 v14, 32, v14
	s_delay_alu instid0(VALU_DEP_1) | instskip(SKIP_1) | instid1(VALU_DEP_2)
	v_subrev_nc_u32_e32 v102, 28, v14
	v_sub_nc_u32_e32 v14, 29, v14
	v_lshlrev_b64 v[102:103], v102, v[0:1]
	s_delay_alu instid0(VALU_DEP_1)
	v_and_b32_e32 v0, 7, v102
; %bb.870:                              ;   in Loop: Header=BB298_552 Depth=1
	s_or_b32 exec_lo, exec_lo, s16
	v_lshlrev_b32_e32 v101, 8, v101
	v_lshl_add_u32 v14, v14, 10, 0x2000
	s_delay_alu instid0(VALU_DEP_1) | instskip(NEXT) | instid1(VALU_DEP_1)
	v_and_or_b32 v14, 0x8000, v101, v14
	v_lshl_or_b32 v0, v0, 7, v14
	s_delay_alu instid0(VALU_DEP_1)
	v_cvt_f32_f16_e32 v14, v0
.LBB298_871:                            ;   in Loop: Header=BB298_552 Depth=1
	s_or_b32 exec_lo, exec_lo, s15
.LBB298_872:                            ;   in Loop: Header=BB298_552 Depth=1
	s_delay_alu instid0(SALU_CYCLE_1)
	s_or_b32 exec_lo, exec_lo, s13
.LBB298_873:                            ;   in Loop: Header=BB298_552 Depth=1
	s_delay_alu instid0(SALU_CYCLE_1) | instskip(NEXT) | instid1(SALU_CYCLE_1)
	s_or_b32 exec_lo, exec_lo, s12
	s_mov_b32 s12, exec_lo
	v_cmpx_lt_u64_e64 s[8:9], v[11:12]
	s_cbranch_execz .LBB298_881
; %bb.874:                              ;   in Loop: Header=BB298_552 Depth=1
	v_lshrrev_b32_e32 v11, 24, v12
	v_bfrev_b32_e32 v100, 1
	s_mov_b32 s13, exec_lo
	s_delay_alu instid0(VALU_DEP_2)
	v_cmpx_ne_u32_e32 0x80, v11
	s_cbranch_execz .LBB298_880
; %bb.875:                              ;   in Loop: Header=BB298_552 Depth=1
	v_and_b32_e32 v101, 0x7f, v11
	v_mov_b32_e32 v100, 0x7fc02000
	s_mov_b32 s15, exec_lo
	s_delay_alu instid0(VALU_DEP_2)
	v_cmpx_ne_u32_e32 0x7f, v101
	s_cbranch_execz .LBB298_879
; %bb.876:                              ;   in Loop: Header=BB298_552 Depth=1
	v_and_b32_e32 v0, 7, v11
	v_lshrrev_b32_e32 v12, 3, v101
	s_mov_b32 s16, exec_lo
	v_cmpx_gt_u32_e32 8, v101
; %bb.877:                              ;   in Loop: Header=BB298_552 Depth=1
	s_delay_alu instid0(VALU_DEP_3) | instskip(NEXT) | instid1(VALU_DEP_1)
	v_clz_i32_u32_e32 v12, v0
	v_min_u32_e32 v12, 32, v12
	s_delay_alu instid0(VALU_DEP_1) | instskip(SKIP_1) | instid1(VALU_DEP_2)
	v_subrev_nc_u32_e32 v100, 28, v12
	v_sub_nc_u32_e32 v12, 29, v12
	v_lshlrev_b64 v[100:101], v100, v[0:1]
	s_delay_alu instid0(VALU_DEP_1)
	v_and_b32_e32 v0, 7, v100
; %bb.878:                              ;   in Loop: Header=BB298_552 Depth=1
	s_or_b32 exec_lo, exec_lo, s16
	v_lshlrev_b32_e32 v11, 8, v11
	v_lshl_add_u32 v12, v12, 10, 0x2000
	s_delay_alu instid0(VALU_DEP_1) | instskip(NEXT) | instid1(VALU_DEP_1)
	v_and_or_b32 v11, 0x8000, v11, v12
	v_lshl_or_b32 v0, v0, 7, v11
	s_delay_alu instid0(VALU_DEP_1)
	v_cvt_f32_f16_e32 v100, v0
.LBB298_879:                            ;   in Loop: Header=BB298_552 Depth=1
	s_or_b32 exec_lo, exec_lo, s15
.LBB298_880:                            ;   in Loop: Header=BB298_552 Depth=1
	s_delay_alu instid0(SALU_CYCLE_1)
	s_or_b32 exec_lo, exec_lo, s13
.LBB298_881:                            ;   in Loop: Header=BB298_552 Depth=1
	s_delay_alu instid0(SALU_CYCLE_1)
	s_or_b32 exec_lo, exec_lo, s12
	s_waitcnt vmcnt(0) lgkmcnt(0)
	v_fma_mixlo_f16 v12, v86, v96, 0
	v_fma_mixlo_f16 v0, v86, v98, 0
	;; [unrolled: 1-line block ×5, first 2 shown]
	v_lshlrev_b32_e32 v96, 16, v12
	v_fma_mixlo_f16 v13, v86, v13, 0
	v_fma_mixlo_f16 v98, v86, v100, 0
	;; [unrolled: 1-line block ×3, first 2 shown]
	v_lshlrev_b32_e32 v0, 16, v0
	v_and_b32_e32 v11, 0xffff, v11
	v_and_b32_e32 v14, 0xffff, v87
	v_lshlrev_b32_e32 v86, 16, v97
	v_and_b32_e32 v87, 0xffff, v13
	v_lshlrev_b32_e32 v97, 16, v98
	v_and_b32_e32 v98, 0xffff, v12
	v_or_b32_e32 v13, v0, v11
	v_or_b32_e32 v14, v96, v14
	;; [unrolled: 1-line block ×3, first 2 shown]
	s_delay_alu instid0(VALU_DEP_4)
	v_or_b32_e32 v11, v97, v98
	s_and_saveexec_b32 s12, vcc_lo
	s_cbranch_execz .LBB298_883
; %bb.882:                              ;   in Loop: Header=BB298_552 Depth=1
	v_cmp_lt_i32_e64 s0, v23, v35
	v_lshrrev_b32_e32 v86, 16, v14
	v_lshrrev_b32_e32 v87, 16, v13
	;; [unrolled: 1-line block ×4, first 2 shown]
	v_cndmask_b32_e64 v14, 0, v14, s0
	v_cmp_lt_i32_e64 s0, v65, v51
	s_delay_alu instid0(VALU_DEP_1) | instskip(SKIP_1) | instid1(VALU_DEP_2)
	v_cndmask_b32_e64 v86, 0, v86, s0
	v_cmp_lt_i32_e64 s0, v64, v51
	v_perm_b32 v14, v86, v14, 0x5040100
	s_delay_alu instid0(VALU_DEP_2) | instskip(SKIP_1) | instid1(VALU_DEP_1)
	v_cndmask_b32_e64 v87, 0, v87, s0
	v_cmp_lt_i32_e64 s0, v55, v35
	v_cndmask_b32_e64 v13, 0, v13, s0
	v_cmp_lt_i32_e64 s0, v54, v51
	s_delay_alu instid0(VALU_DEP_2) | instskip(NEXT) | instid1(VALU_DEP_2)
	v_perm_b32 v13, v87, v13, 0x5040100
	v_cndmask_b32_e64 v96, 0, v96, s0
	v_cmp_lt_i32_e64 s0, v52, v35
	s_delay_alu instid0(VALU_DEP_1) | instskip(SKIP_1) | instid1(VALU_DEP_2)
	v_cndmask_b32_e64 v0, 0, v0, s0
	v_cmp_lt_i32_e64 s0, v19, v51
	v_perm_b32 v0, v96, v0, 0x5040100
	s_delay_alu instid0(VALU_DEP_2) | instskip(SKIP_1) | instid1(VALU_DEP_1)
	v_cndmask_b32_e64 v11, 0, v11, s0
	v_cmp_lt_i32_e64 s0, v18, v35
	v_cndmask_b32_e64 v12, 0, v12, s0
	s_delay_alu instid0(VALU_DEP_1)
	v_perm_b32 v11, v11, v12, 0x5040100
.LBB298_883:                            ;   in Loop: Header=BB298_552 Depth=1
	s_or_b32 exec_lo, exec_lo, s12
	;;#ASMSTART
	v_pk_mul_f16 v12, v71, v14;

	;;#ASMEND
	;;#ASMSTART
	v_pk_mul_f16 v13, v70, v13;

	;;#ASMEND
	;;#ASMSTART
	v_pk_mul_f16 v0, v69, v0;

	;;#ASMEND
	;;#ASMSTART
	v_pk_mul_f16 v11, v68, v11;

	;;#ASMEND
	;;#ASMSTART
	v_pk_add_f16 v12, v12, v13;

	;;#ASMEND
	;;#ASMSTART
	v_pk_add_f16 v0, v12, v0;

	;;#ASMEND
	;; [unrolled: 4-line block ×3, first 2 shown]
	v_dual_mov_b32 v98, 0 :: v_dual_and_b32 v11, 0xffff, v0
	v_lshrrev_b32_e32 v0, 16, v0
	;;#ASMSTART
	v_cvt_f32_f16 v86, v11;
	;;#ASMEND
	;;#ASMSTART
	v_cvt_f32_f16 v87, v0;
	;;#ASMEND
	flat_load_b64 v[11:12], v[9:10] offset:1280
	flat_load_b32 v96, v[26:27]
	s_mov_b32 s12, exec_lo
	s_waitcnt vmcnt(1) lgkmcnt(1)
	v_dual_mov_b32 v97, 0 :: v_dual_and_b32 v0, 0xff, v11
	s_delay_alu instid0(VALU_DEP_1)
	v_cmpx_ne_u16_e32 0, v0
	s_cbranch_execz .LBB298_891
; %bb.884:                              ;   in Loop: Header=BB298_552 Depth=1
	v_bfrev_b32_e32 v97, 1
	s_mov_b32 s13, exec_lo
	v_cmpx_ne_u16_e32 0x80, v0
	s_cbranch_execz .LBB298_890
; %bb.885:                              ;   in Loop: Header=BB298_552 Depth=1
	v_and_b32_e32 v13, 0x7f, v11
	v_mov_b32_e32 v97, 0x7fc02000
	s_mov_b32 s15, exec_lo
	s_delay_alu instid0(VALU_DEP_2)
	v_cmpx_ne_u32_e32 0x7f, v13
	s_cbranch_execz .LBB298_889
; %bb.886:                              ;   in Loop: Header=BB298_552 Depth=1
	v_lshrrev_b32_e32 v0, 3, v13
	v_cmp_gt_u32_e64 s0, 8, v13
	v_dual_mov_b32 v14, v12 :: v_dual_mov_b32 v13, v11
	s_delay_alu instid0(VALU_DEP_2)
	s_and_saveexec_b32 s16, s0
; %bb.887:                              ;   in Loop: Header=BB298_552 Depth=1
	v_and_b32_e32 v0, 7, v11
	s_delay_alu instid0(VALU_DEP_1) | instskip(NEXT) | instid1(VALU_DEP_1)
	v_clz_i32_u32_e32 v0, v0
	v_min_u32_e32 v0, 32, v0
	s_delay_alu instid0(VALU_DEP_1) | instskip(SKIP_1) | instid1(VALU_DEP_2)
	v_subrev_nc_u32_e32 v13, 28, v0
	v_sub_nc_u32_e32 v0, 29, v0
	v_lshlrev_b64 v[13:14], v13, v[11:12]
; %bb.888:                              ;   in Loop: Header=BB298_552 Depth=1
	s_or_b32 exec_lo, exec_lo, s16
	v_lshlrev_b32_e32 v14, 8, v11
	s_delay_alu instid0(VALU_DEP_3) | instskip(NEXT) | instid1(VALU_DEP_3)
	v_lshl_add_u32 v0, v0, 10, 0x2000
	v_lshlrev_b32_e32 v13, 7, v13
	s_delay_alu instid0(VALU_DEP_2) | instskip(NEXT) | instid1(VALU_DEP_1)
	v_and_or_b32 v0, 0x8000, v14, v0
	v_and_or_b32 v0, 0x380, v13, v0
	s_delay_alu instid0(VALU_DEP_1)
	v_cvt_f32_f16_e32 v97, v0
.LBB298_889:                            ;   in Loop: Header=BB298_552 Depth=1
	s_or_b32 exec_lo, exec_lo, s15
.LBB298_890:                            ;   in Loop: Header=BB298_552 Depth=1
	s_delay_alu instid0(SALU_CYCLE_1)
	s_or_b32 exec_lo, exec_lo, s13
.LBB298_891:                            ;   in Loop: Header=BB298_552 Depth=1
	s_delay_alu instid0(SALU_CYCLE_1) | instskip(SKIP_2) | instid1(VALU_DEP_1)
	s_or_b32 exec_lo, exec_lo, s12
	v_lshrrev_b16 v0, 8, v11
	s_mov_b32 s12, exec_lo
	v_cmpx_ne_u16_e32 0, v0
	s_cbranch_execz .LBB298_899
; %bb.892:                              ;   in Loop: Header=BB298_552 Depth=1
	v_bfrev_b32_e32 v98, 1
	s_mov_b32 s13, exec_lo
	v_cmpx_ne_u16_e32 0x80, v0
	s_cbranch_execz .LBB298_898
; %bb.893:                              ;   in Loop: Header=BB298_552 Depth=1
	v_and_b32_e32 v13, 0xffff, v0
	v_mov_b32_e32 v98, 0x7fc02000
	s_mov_b32 s15, exec_lo
	s_delay_alu instid0(VALU_DEP_2) | instskip(NEXT) | instid1(VALU_DEP_1)
	v_and_b32_e32 v99, 0x7f, v13
	v_cmpx_ne_u32_e32 0x7f, v99
	s_cbranch_execz .LBB298_897
; %bb.894:                              ;   in Loop: Header=BB298_552 Depth=1
	v_and_b32_e32 v0, 7, v13
	v_lshrrev_b32_e32 v14, 3, v99
	s_mov_b32 s16, exec_lo
	v_cmpx_gt_u32_e32 8, v99
; %bb.895:                              ;   in Loop: Header=BB298_552 Depth=1
	s_delay_alu instid0(VALU_DEP_3) | instskip(NEXT) | instid1(VALU_DEP_1)
	v_clz_i32_u32_e32 v14, v0
	v_min_u32_e32 v14, 32, v14
	s_delay_alu instid0(VALU_DEP_1) | instskip(SKIP_1) | instid1(VALU_DEP_2)
	v_subrev_nc_u32_e32 v98, 28, v14
	v_sub_nc_u32_e32 v14, 29, v14
	v_lshlrev_b64 v[98:99], v98, v[0:1]
	s_delay_alu instid0(VALU_DEP_1)
	v_and_b32_e32 v0, 7, v98
; %bb.896:                              ;   in Loop: Header=BB298_552 Depth=1
	s_or_b32 exec_lo, exec_lo, s16
	v_lshlrev_b32_e32 v13, 8, v13
	v_lshl_add_u32 v14, v14, 10, 0x2000
	s_delay_alu instid0(VALU_DEP_1) | instskip(NEXT) | instid1(VALU_DEP_1)
	v_and_or_b32 v13, 0x8000, v13, v14
	v_lshl_or_b32 v0, v0, 7, v13
	s_delay_alu instid0(VALU_DEP_1)
	v_cvt_f32_f16_e32 v98, v0
.LBB298_897:                            ;   in Loop: Header=BB298_552 Depth=1
	s_or_b32 exec_lo, exec_lo, s15
.LBB298_898:                            ;   in Loop: Header=BB298_552 Depth=1
	s_delay_alu instid0(SALU_CYCLE_1)
	s_or_b32 exec_lo, exec_lo, s13
.LBB298_899:                            ;   in Loop: Header=BB298_552 Depth=1
	s_delay_alu instid0(SALU_CYCLE_1) | instskip(SKIP_3) | instid1(VALU_DEP_2)
	s_or_b32 exec_lo, exec_lo, s12
	v_lshrrev_b32_e32 v13, 16, v11
	v_mov_b32_e32 v100, 0
	s_mov_b32 s12, exec_lo
	v_dual_mov_b32 v99, 0 :: v_dual_and_b32 v0, 0xff, v13
	s_delay_alu instid0(VALU_DEP_1)
	v_cmpx_ne_u16_e32 0, v0
	s_cbranch_execz .LBB298_907
; %bb.900:                              ;   in Loop: Header=BB298_552 Depth=1
	v_bfrev_b32_e32 v99, 1
	s_mov_b32 s13, exec_lo
	v_cmpx_ne_u16_e32 0x80, v0
	s_cbranch_execz .LBB298_906
; %bb.901:                              ;   in Loop: Header=BB298_552 Depth=1
	v_bfe_u32 v101, v11, 16, 7
	v_mov_b32_e32 v99, 0x7fc02000
	s_mov_b32 s15, exec_lo
	s_delay_alu instid0(VALU_DEP_2)
	v_cmpx_ne_u32_e32 0x7f, v101
	s_cbranch_execz .LBB298_905
; %bb.902:                              ;   in Loop: Header=BB298_552 Depth=1
	v_and_b32_e32 v0, 7, v13
	v_lshrrev_b32_e32 v14, 3, v101
	s_mov_b32 s16, exec_lo
	v_cmpx_gt_u32_e32 8, v101
; %bb.903:                              ;   in Loop: Header=BB298_552 Depth=1
	s_delay_alu instid0(VALU_DEP_3) | instskip(NEXT) | instid1(VALU_DEP_1)
	v_clz_i32_u32_e32 v14, v0
	v_min_u32_e32 v14, 32, v14
	s_delay_alu instid0(VALU_DEP_1) | instskip(SKIP_1) | instid1(VALU_DEP_2)
	v_subrev_nc_u32_e32 v99, 28, v14
	v_sub_nc_u32_e32 v14, 29, v14
	v_lshlrev_b64 v[101:102], v99, v[0:1]
	s_delay_alu instid0(VALU_DEP_1)
	v_and_b32_e32 v0, 7, v101
; %bb.904:                              ;   in Loop: Header=BB298_552 Depth=1
	s_or_b32 exec_lo, exec_lo, s16
	v_lshlrev_b32_e32 v13, 8, v13
	v_lshl_add_u32 v14, v14, 10, 0x2000
	s_delay_alu instid0(VALU_DEP_1) | instskip(NEXT) | instid1(VALU_DEP_1)
	v_and_or_b32 v13, 0x8000, v13, v14
	v_lshl_or_b32 v0, v0, 7, v13
	s_delay_alu instid0(VALU_DEP_1)
	v_cvt_f32_f16_e32 v99, v0
.LBB298_905:                            ;   in Loop: Header=BB298_552 Depth=1
	s_or_b32 exec_lo, exec_lo, s15
.LBB298_906:                            ;   in Loop: Header=BB298_552 Depth=1
	s_delay_alu instid0(SALU_CYCLE_1)
	s_or_b32 exec_lo, exec_lo, s13
.LBB298_907:                            ;   in Loop: Header=BB298_552 Depth=1
	s_delay_alu instid0(SALU_CYCLE_1) | instskip(NEXT) | instid1(SALU_CYCLE_1)
	s_or_b32 exec_lo, exec_lo, s12
	s_mov_b32 s12, exec_lo
	v_cmpx_lt_u32_e32 0xffffff, v11
	s_cbranch_execz .LBB298_915
; %bb.908:                              ;   in Loop: Header=BB298_552 Depth=1
	v_lshrrev_b32_e32 v13, 24, v11
	v_bfrev_b32_e32 v100, 1
	s_mov_b32 s13, exec_lo
	s_delay_alu instid0(VALU_DEP_2)
	v_cmpx_ne_u32_e32 0x80, v13
	s_cbranch_execz .LBB298_914
; %bb.909:                              ;   in Loop: Header=BB298_552 Depth=1
	v_and_b32_e32 v101, 0x7f, v13
	v_mov_b32_e32 v100, 0x7fc02000
	s_mov_b32 s15, exec_lo
	s_delay_alu instid0(VALU_DEP_2)
	v_cmpx_ne_u32_e32 0x7f, v101
	s_cbranch_execz .LBB298_913
; %bb.910:                              ;   in Loop: Header=BB298_552 Depth=1
	v_and_b32_e32 v0, 7, v13
	v_lshrrev_b32_e32 v14, 3, v101
	s_mov_b32 s16, exec_lo
	v_cmpx_gt_u32_e32 8, v101
; %bb.911:                              ;   in Loop: Header=BB298_552 Depth=1
	s_delay_alu instid0(VALU_DEP_3) | instskip(NEXT) | instid1(VALU_DEP_1)
	v_clz_i32_u32_e32 v14, v0
	v_min_u32_e32 v14, 32, v14
	s_delay_alu instid0(VALU_DEP_1) | instskip(SKIP_1) | instid1(VALU_DEP_2)
	v_subrev_nc_u32_e32 v100, 28, v14
	v_sub_nc_u32_e32 v14, 29, v14
	v_lshlrev_b64 v[100:101], v100, v[0:1]
	s_delay_alu instid0(VALU_DEP_1)
	v_and_b32_e32 v0, 7, v100
; %bb.912:                              ;   in Loop: Header=BB298_552 Depth=1
	s_or_b32 exec_lo, exec_lo, s16
	v_lshlrev_b32_e32 v13, 8, v13
	v_lshl_add_u32 v14, v14, 10, 0x2000
	s_delay_alu instid0(VALU_DEP_1) | instskip(NEXT) | instid1(VALU_DEP_1)
	v_and_or_b32 v13, 0x8000, v13, v14
	v_lshl_or_b32 v0, v0, 7, v13
	s_delay_alu instid0(VALU_DEP_1)
	v_cvt_f32_f16_e32 v100, v0
.LBB298_913:                            ;   in Loop: Header=BB298_552 Depth=1
	s_or_b32 exec_lo, exec_lo, s15
.LBB298_914:                            ;   in Loop: Header=BB298_552 Depth=1
	s_delay_alu instid0(SALU_CYCLE_1)
	s_or_b32 exec_lo, exec_lo, s13
.LBB298_915:                            ;   in Loop: Header=BB298_552 Depth=1
	s_delay_alu instid0(SALU_CYCLE_1) | instskip(SKIP_3) | instid1(VALU_DEP_2)
	s_or_b32 exec_lo, exec_lo, s12
	v_dual_mov_b32 v101, 0 :: v_dual_and_b32 v14, 0xff, v12
	v_dual_mov_b32 v0, v12 :: v_dual_mov_b32 v13, 0
	s_mov_b32 s12, exec_lo
	v_cmpx_ne_u16_e32 0, v14
	s_cbranch_execz .LBB298_923
; %bb.916:                              ;   in Loop: Header=BB298_552 Depth=1
	v_bfrev_b32_e32 v13, 1
	s_mov_b32 s13, exec_lo
	v_cmpx_ne_u16_e32 0x80, v14
	s_cbranch_execz .LBB298_922
; %bb.917:                              ;   in Loop: Header=BB298_552 Depth=1
	v_and_b32_e32 v14, 0x7f, v12
	v_mov_b32_e32 v13, 0x7fc02000
	s_mov_b32 s15, exec_lo
	s_delay_alu instid0(VALU_DEP_2)
	v_cmpx_ne_u32_e32 0x7f, v14
	s_cbranch_execz .LBB298_921
; %bb.918:                              ;   in Loop: Header=BB298_552 Depth=1
	v_lshrrev_b32_e32 v102, 3, v14
	v_cmp_gt_u32_e64 s0, 8, v14
	v_dual_mov_b32 v14, v1 :: v_dual_mov_b32 v13, v0
	s_delay_alu instid0(VALU_DEP_2)
	s_and_saveexec_b32 s16, s0
; %bb.919:                              ;   in Loop: Header=BB298_552 Depth=1
	v_and_b32_e32 v13, 7, v12
	s_delay_alu instid0(VALU_DEP_1) | instskip(NEXT) | instid1(VALU_DEP_1)
	v_clz_i32_u32_e32 v13, v13
	v_min_u32_e32 v102, 32, v13
	s_delay_alu instid0(VALU_DEP_1) | instskip(SKIP_1) | instid1(VALU_DEP_2)
	v_subrev_nc_u32_e32 v13, 28, v102
	v_sub_nc_u32_e32 v102, 29, v102
	v_lshlrev_b64 v[13:14], v13, v[0:1]
; %bb.920:                              ;   in Loop: Header=BB298_552 Depth=1
	s_or_b32 exec_lo, exec_lo, s16
	v_lshlrev_b32_e32 v14, 8, v12
	s_delay_alu instid0(VALU_DEP_3) | instskip(NEXT) | instid1(VALU_DEP_3)
	v_lshl_add_u32 v102, v102, 10, 0x2000
	v_lshlrev_b32_e32 v13, 7, v13
	s_delay_alu instid0(VALU_DEP_2) | instskip(NEXT) | instid1(VALU_DEP_1)
	v_and_or_b32 v14, 0x8000, v14, v102
	v_and_or_b32 v13, 0x380, v13, v14
	s_delay_alu instid0(VALU_DEP_1)
	v_cvt_f32_f16_e32 v13, v13
.LBB298_921:                            ;   in Loop: Header=BB298_552 Depth=1
	s_or_b32 exec_lo, exec_lo, s15
.LBB298_922:                            ;   in Loop: Header=BB298_552 Depth=1
	s_delay_alu instid0(SALU_CYCLE_1)
	s_or_b32 exec_lo, exec_lo, s13
.LBB298_923:                            ;   in Loop: Header=BB298_552 Depth=1
	s_delay_alu instid0(SALU_CYCLE_1) | instskip(SKIP_2) | instid1(VALU_DEP_1)
	s_or_b32 exec_lo, exec_lo, s12
	v_lshrrev_b16 v0, 8, v0
	s_mov_b32 s12, exec_lo
	v_cmpx_ne_u16_e32 0, v0
	s_cbranch_execz .LBB298_931
; %bb.924:                              ;   in Loop: Header=BB298_552 Depth=1
	v_bfrev_b32_e32 v101, 1
	s_mov_b32 s13, exec_lo
	v_cmpx_ne_u16_e32 0x80, v0
	s_cbranch_execz .LBB298_930
; %bb.925:                              ;   in Loop: Header=BB298_552 Depth=1
	v_and_b32_e32 v14, 0xffff, v0
	v_mov_b32_e32 v101, 0x7fc02000
	s_mov_b32 s15, exec_lo
	s_delay_alu instid0(VALU_DEP_2) | instskip(NEXT) | instid1(VALU_DEP_1)
	v_and_b32_e32 v102, 0x7f, v14
	v_cmpx_ne_u32_e32 0x7f, v102
	s_cbranch_execz .LBB298_929
; %bb.926:                              ;   in Loop: Header=BB298_552 Depth=1
	v_and_b32_e32 v0, 7, v14
	v_lshrrev_b32_e32 v101, 3, v102
	s_mov_b32 s16, exec_lo
	v_cmpx_gt_u32_e32 8, v102
; %bb.927:                              ;   in Loop: Header=BB298_552 Depth=1
	s_delay_alu instid0(VALU_DEP_3) | instskip(NEXT) | instid1(VALU_DEP_1)
	v_clz_i32_u32_e32 v101, v0
	v_min_u32_e32 v101, 32, v101
	s_delay_alu instid0(VALU_DEP_1) | instskip(SKIP_1) | instid1(VALU_DEP_2)
	v_subrev_nc_u32_e32 v102, 28, v101
	v_sub_nc_u32_e32 v101, 29, v101
	v_lshlrev_b64 v[102:103], v102, v[0:1]
	s_delay_alu instid0(VALU_DEP_1)
	v_and_b32_e32 v0, 7, v102
; %bb.928:                              ;   in Loop: Header=BB298_552 Depth=1
	s_or_b32 exec_lo, exec_lo, s16
	v_lshlrev_b32_e32 v14, 8, v14
	v_lshl_add_u32 v101, v101, 10, 0x2000
	s_delay_alu instid0(VALU_DEP_1) | instskip(NEXT) | instid1(VALU_DEP_1)
	v_and_or_b32 v14, 0x8000, v14, v101
	v_lshl_or_b32 v0, v0, 7, v14
	s_delay_alu instid0(VALU_DEP_1)
	v_cvt_f32_f16_e32 v101, v0
.LBB298_929:                            ;   in Loop: Header=BB298_552 Depth=1
	s_or_b32 exec_lo, exec_lo, s15
.LBB298_930:                            ;   in Loop: Header=BB298_552 Depth=1
	s_delay_alu instid0(SALU_CYCLE_1)
	s_or_b32 exec_lo, exec_lo, s13
.LBB298_931:                            ;   in Loop: Header=BB298_552 Depth=1
	s_delay_alu instid0(SALU_CYCLE_1) | instskip(SKIP_4) | instid1(VALU_DEP_3)
	s_or_b32 exec_lo, exec_lo, s12
	v_lshrrev_b32_e32 v103, 16, v12
	v_mov_b32_e32 v102, 0
	v_mov_b32_e32 v14, 0
	s_mov_b32 s12, exec_lo
	v_and_b32_e32 v0, 0xff, v103
	s_delay_alu instid0(VALU_DEP_1)
	v_cmpx_ne_u16_e32 0, v0
	s_cbranch_execz .LBB298_939
; %bb.932:                              ;   in Loop: Header=BB298_552 Depth=1
	v_bfrev_b32_e32 v14, 1
	s_mov_b32 s13, exec_lo
	v_cmpx_ne_u16_e32 0x80, v0
	s_cbranch_execz .LBB298_938
; %bb.933:                              ;   in Loop: Header=BB298_552 Depth=1
	v_bfe_u32 v112, v12, 16, 7
	v_mov_b32_e32 v14, 0x7fc02000
	s_mov_b32 s15, exec_lo
	s_delay_alu instid0(VALU_DEP_2)
	v_cmpx_ne_u32_e32 0x7f, v112
	s_cbranch_execz .LBB298_937
; %bb.934:                              ;   in Loop: Header=BB298_552 Depth=1
	v_and_b32_e32 v0, 7, v103
	v_lshrrev_b32_e32 v14, 3, v112
	s_mov_b32 s16, exec_lo
	v_cmpx_gt_u32_e32 8, v112
; %bb.935:                              ;   in Loop: Header=BB298_552 Depth=1
	s_delay_alu instid0(VALU_DEP_3) | instskip(NEXT) | instid1(VALU_DEP_1)
	v_clz_i32_u32_e32 v14, v0
	v_min_u32_e32 v14, 32, v14
	s_delay_alu instid0(VALU_DEP_1) | instskip(SKIP_1) | instid1(VALU_DEP_2)
	v_subrev_nc_u32_e32 v112, 28, v14
	v_sub_nc_u32_e32 v14, 29, v14
	v_lshlrev_b64 v[112:113], v112, v[0:1]
	s_delay_alu instid0(VALU_DEP_1)
	v_and_b32_e32 v0, 7, v112
; %bb.936:                              ;   in Loop: Header=BB298_552 Depth=1
	s_or_b32 exec_lo, exec_lo, s16
	v_lshlrev_b32_e32 v103, 8, v103
	v_lshl_add_u32 v14, v14, 10, 0x2000
	s_delay_alu instid0(VALU_DEP_1) | instskip(NEXT) | instid1(VALU_DEP_1)
	v_and_or_b32 v14, 0x8000, v103, v14
	v_lshl_or_b32 v0, v0, 7, v14
	s_delay_alu instid0(VALU_DEP_1)
	v_cvt_f32_f16_e32 v14, v0
.LBB298_937:                            ;   in Loop: Header=BB298_552 Depth=1
	s_or_b32 exec_lo, exec_lo, s15
.LBB298_938:                            ;   in Loop: Header=BB298_552 Depth=1
	s_delay_alu instid0(SALU_CYCLE_1)
	s_or_b32 exec_lo, exec_lo, s13
.LBB298_939:                            ;   in Loop: Header=BB298_552 Depth=1
	s_delay_alu instid0(SALU_CYCLE_1) | instskip(NEXT) | instid1(SALU_CYCLE_1)
	s_or_b32 exec_lo, exec_lo, s12
	s_mov_b32 s12, exec_lo
	v_cmpx_lt_u64_e64 s[8:9], v[11:12]
	s_cbranch_execz .LBB298_947
; %bb.940:                              ;   in Loop: Header=BB298_552 Depth=1
	v_lshrrev_b32_e32 v11, 24, v12
	v_bfrev_b32_e32 v102, 1
	s_mov_b32 s13, exec_lo
	s_delay_alu instid0(VALU_DEP_2)
	v_cmpx_ne_u32_e32 0x80, v11
	s_cbranch_execz .LBB298_946
; %bb.941:                              ;   in Loop: Header=BB298_552 Depth=1
	v_and_b32_e32 v103, 0x7f, v11
	v_mov_b32_e32 v102, 0x7fc02000
	s_mov_b32 s15, exec_lo
	s_delay_alu instid0(VALU_DEP_2)
	v_cmpx_ne_u32_e32 0x7f, v103
	s_cbranch_execz .LBB298_945
; %bb.942:                              ;   in Loop: Header=BB298_552 Depth=1
	v_and_b32_e32 v0, 7, v11
	v_lshrrev_b32_e32 v12, 3, v103
	s_mov_b32 s16, exec_lo
	v_cmpx_gt_u32_e32 8, v103
; %bb.943:                              ;   in Loop: Header=BB298_552 Depth=1
	s_delay_alu instid0(VALU_DEP_3) | instskip(NEXT) | instid1(VALU_DEP_1)
	v_clz_i32_u32_e32 v12, v0
	v_min_u32_e32 v12, 32, v12
	s_delay_alu instid0(VALU_DEP_1) | instskip(SKIP_1) | instid1(VALU_DEP_2)
	v_subrev_nc_u32_e32 v102, 28, v12
	v_sub_nc_u32_e32 v12, 29, v12
	v_lshlrev_b64 v[102:103], v102, v[0:1]
	s_delay_alu instid0(VALU_DEP_1)
	v_and_b32_e32 v0, 7, v102
; %bb.944:                              ;   in Loop: Header=BB298_552 Depth=1
	s_or_b32 exec_lo, exec_lo, s16
	v_lshlrev_b32_e32 v11, 8, v11
	v_lshl_add_u32 v12, v12, 10, 0x2000
	s_delay_alu instid0(VALU_DEP_1) | instskip(NEXT) | instid1(VALU_DEP_1)
	v_and_or_b32 v11, 0x8000, v11, v12
	v_lshl_or_b32 v0, v0, 7, v11
	s_delay_alu instid0(VALU_DEP_1)
	v_cvt_f32_f16_e32 v102, v0
.LBB298_945:                            ;   in Loop: Header=BB298_552 Depth=1
	s_or_b32 exec_lo, exec_lo, s15
.LBB298_946:                            ;   in Loop: Header=BB298_552 Depth=1
	s_delay_alu instid0(SALU_CYCLE_1)
	s_or_b32 exec_lo, exec_lo, s13
.LBB298_947:                            ;   in Loop: Header=BB298_552 Depth=1
	s_delay_alu instid0(SALU_CYCLE_1)
	s_or_b32 exec_lo, exec_lo, s12
	s_waitcnt vmcnt(0) lgkmcnt(0)
	v_fma_mixlo_f16 v12, v96, v98, 0
	v_fma_mixlo_f16 v0, v96, v100, 0
	;; [unrolled: 1-line block ×5, first 2 shown]
	v_lshlrev_b32_e32 v98, 16, v12
	v_fma_mixlo_f16 v13, v96, v13, 0
	v_fma_mixlo_f16 v100, v96, v102, 0
	;; [unrolled: 1-line block ×3, first 2 shown]
	v_lshlrev_b32_e32 v0, 16, v0
	v_and_b32_e32 v11, 0xffff, v11
	v_and_b32_e32 v14, 0xffff, v97
	v_lshlrev_b32_e32 v96, 16, v99
	v_and_b32_e32 v97, 0xffff, v13
	v_lshlrev_b32_e32 v99, 16, v100
	v_and_b32_e32 v100, 0xffff, v12
	v_or_b32_e32 v13, v0, v11
	v_or_b32_e32 v14, v98, v14
	v_or_b32_e32 v0, v96, v97
	s_delay_alu instid0(VALU_DEP_4)
	v_or_b32_e32 v11, v99, v100
	s_and_saveexec_b32 s12, vcc_lo
	s_cbranch_execz .LBB298_949
; %bb.948:                              ;   in Loop: Header=BB298_552 Depth=1
	v_cmp_lt_i32_e64 s0, v23, v35
	v_lshrrev_b32_e32 v96, 16, v14
	v_lshrrev_b32_e32 v97, 16, v13
	;; [unrolled: 1-line block ×4, first 2 shown]
	v_cndmask_b32_e64 v14, 0, v14, s0
	v_cmp_lt_i32_e64 s0, v65, v51
	s_delay_alu instid0(VALU_DEP_1) | instskip(SKIP_1) | instid1(VALU_DEP_2)
	v_cndmask_b32_e64 v96, 0, v96, s0
	v_cmp_lt_i32_e64 s0, v64, v51
	v_perm_b32 v14, v96, v14, 0x5040100
	s_delay_alu instid0(VALU_DEP_2) | instskip(SKIP_1) | instid1(VALU_DEP_1)
	v_cndmask_b32_e64 v97, 0, v97, s0
	v_cmp_lt_i32_e64 s0, v55, v35
	v_cndmask_b32_e64 v13, 0, v13, s0
	v_cmp_lt_i32_e64 s0, v54, v51
	s_delay_alu instid0(VALU_DEP_2) | instskip(NEXT) | instid1(VALU_DEP_2)
	v_perm_b32 v13, v97, v13, 0x5040100
	v_cndmask_b32_e64 v98, 0, v98, s0
	v_cmp_lt_i32_e64 s0, v52, v35
	s_delay_alu instid0(VALU_DEP_1) | instskip(SKIP_1) | instid1(VALU_DEP_2)
	v_cndmask_b32_e64 v0, 0, v0, s0
	v_cmp_lt_i32_e64 s0, v19, v51
	v_perm_b32 v0, v98, v0, 0x5040100
	s_delay_alu instid0(VALU_DEP_2) | instskip(SKIP_1) | instid1(VALU_DEP_1)
	v_cndmask_b32_e64 v11, 0, v11, s0
	v_cmp_lt_i32_e64 s0, v18, v35
	v_cndmask_b32_e64 v12, 0, v12, s0
	s_delay_alu instid0(VALU_DEP_1)
	v_perm_b32 v11, v11, v12, 0x5040100
.LBB298_949:                            ;   in Loop: Header=BB298_552 Depth=1
	s_or_b32 exec_lo, exec_lo, s12
	;;#ASMSTART
	v_pk_mul_f16 v12, v71, v14;

	;;#ASMEND
	;;#ASMSTART
	v_pk_mul_f16 v13, v70, v13;

	;;#ASMEND
	;; [unrolled: 4-line block ×4, first 2 shown]
	;;#ASMSTART
	v_pk_add_f16 v12, v12, v13;

	;;#ASMEND
	;;#ASMSTART
	v_pk_add_f16 v0, v12, v0;

	;;#ASMEND
	;; [unrolled: 4-line block ×3, first 2 shown]
	v_dual_mov_b32 v100, 0 :: v_dual_and_b32 v11, 0xffff, v0
	v_lshrrev_b32_e32 v0, 16, v0
	;;#ASMSTART
	v_cvt_f32_f16 v96, v11;
	;;#ASMEND
	;;#ASMSTART
	v_cvt_f32_f16 v97, v0;
	;;#ASMEND
	flat_load_b64 v[11:12], v[9:10] offset:1536
	flat_load_b32 v98, v[26:27]
	s_mov_b32 s12, exec_lo
	s_waitcnt vmcnt(1) lgkmcnt(1)
	v_dual_mov_b32 v99, 0 :: v_dual_and_b32 v0, 0xff, v11
	s_delay_alu instid0(VALU_DEP_1)
	v_cmpx_ne_u16_e32 0, v0
	s_cbranch_execz .LBB298_957
; %bb.950:                              ;   in Loop: Header=BB298_552 Depth=1
	v_bfrev_b32_e32 v99, 1
	s_mov_b32 s13, exec_lo
	v_cmpx_ne_u16_e32 0x80, v0
	s_cbranch_execz .LBB298_956
; %bb.951:                              ;   in Loop: Header=BB298_552 Depth=1
	v_and_b32_e32 v13, 0x7f, v11
	v_mov_b32_e32 v99, 0x7fc02000
	s_mov_b32 s15, exec_lo
	s_delay_alu instid0(VALU_DEP_2)
	v_cmpx_ne_u32_e32 0x7f, v13
	s_cbranch_execz .LBB298_955
; %bb.952:                              ;   in Loop: Header=BB298_552 Depth=1
	v_lshrrev_b32_e32 v0, 3, v13
	v_cmp_gt_u32_e64 s0, 8, v13
	v_dual_mov_b32 v14, v12 :: v_dual_mov_b32 v13, v11
	s_delay_alu instid0(VALU_DEP_2)
	s_and_saveexec_b32 s16, s0
; %bb.953:                              ;   in Loop: Header=BB298_552 Depth=1
	v_and_b32_e32 v0, 7, v11
	s_delay_alu instid0(VALU_DEP_1) | instskip(NEXT) | instid1(VALU_DEP_1)
	v_clz_i32_u32_e32 v0, v0
	v_min_u32_e32 v0, 32, v0
	s_delay_alu instid0(VALU_DEP_1) | instskip(SKIP_1) | instid1(VALU_DEP_2)
	v_subrev_nc_u32_e32 v13, 28, v0
	v_sub_nc_u32_e32 v0, 29, v0
	v_lshlrev_b64 v[13:14], v13, v[11:12]
; %bb.954:                              ;   in Loop: Header=BB298_552 Depth=1
	s_or_b32 exec_lo, exec_lo, s16
	v_lshlrev_b32_e32 v14, 8, v11
	s_delay_alu instid0(VALU_DEP_3) | instskip(NEXT) | instid1(VALU_DEP_3)
	v_lshl_add_u32 v0, v0, 10, 0x2000
	v_lshlrev_b32_e32 v13, 7, v13
	s_delay_alu instid0(VALU_DEP_2) | instskip(NEXT) | instid1(VALU_DEP_1)
	v_and_or_b32 v0, 0x8000, v14, v0
	v_and_or_b32 v0, 0x380, v13, v0
	s_delay_alu instid0(VALU_DEP_1)
	v_cvt_f32_f16_e32 v99, v0
.LBB298_955:                            ;   in Loop: Header=BB298_552 Depth=1
	s_or_b32 exec_lo, exec_lo, s15
.LBB298_956:                            ;   in Loop: Header=BB298_552 Depth=1
	s_delay_alu instid0(SALU_CYCLE_1)
	s_or_b32 exec_lo, exec_lo, s13
.LBB298_957:                            ;   in Loop: Header=BB298_552 Depth=1
	s_delay_alu instid0(SALU_CYCLE_1) | instskip(SKIP_2) | instid1(VALU_DEP_1)
	s_or_b32 exec_lo, exec_lo, s12
	v_lshrrev_b16 v0, 8, v11
	s_mov_b32 s12, exec_lo
	v_cmpx_ne_u16_e32 0, v0
	s_cbranch_execz .LBB298_965
; %bb.958:                              ;   in Loop: Header=BB298_552 Depth=1
	v_bfrev_b32_e32 v100, 1
	s_mov_b32 s13, exec_lo
	v_cmpx_ne_u16_e32 0x80, v0
	s_cbranch_execz .LBB298_964
; %bb.959:                              ;   in Loop: Header=BB298_552 Depth=1
	v_and_b32_e32 v13, 0xffff, v0
	v_mov_b32_e32 v100, 0x7fc02000
	s_mov_b32 s15, exec_lo
	s_delay_alu instid0(VALU_DEP_2) | instskip(NEXT) | instid1(VALU_DEP_1)
	v_and_b32_e32 v101, 0x7f, v13
	v_cmpx_ne_u32_e32 0x7f, v101
	s_cbranch_execz .LBB298_963
; %bb.960:                              ;   in Loop: Header=BB298_552 Depth=1
	v_and_b32_e32 v0, 7, v13
	v_lshrrev_b32_e32 v14, 3, v101
	s_mov_b32 s16, exec_lo
	v_cmpx_gt_u32_e32 8, v101
; %bb.961:                              ;   in Loop: Header=BB298_552 Depth=1
	s_delay_alu instid0(VALU_DEP_3) | instskip(NEXT) | instid1(VALU_DEP_1)
	v_clz_i32_u32_e32 v14, v0
	v_min_u32_e32 v14, 32, v14
	s_delay_alu instid0(VALU_DEP_1) | instskip(SKIP_1) | instid1(VALU_DEP_2)
	v_subrev_nc_u32_e32 v100, 28, v14
	v_sub_nc_u32_e32 v14, 29, v14
	v_lshlrev_b64 v[100:101], v100, v[0:1]
	s_delay_alu instid0(VALU_DEP_1)
	v_and_b32_e32 v0, 7, v100
; %bb.962:                              ;   in Loop: Header=BB298_552 Depth=1
	s_or_b32 exec_lo, exec_lo, s16
	v_lshlrev_b32_e32 v13, 8, v13
	v_lshl_add_u32 v14, v14, 10, 0x2000
	s_delay_alu instid0(VALU_DEP_1) | instskip(NEXT) | instid1(VALU_DEP_1)
	v_and_or_b32 v13, 0x8000, v13, v14
	v_lshl_or_b32 v0, v0, 7, v13
	s_delay_alu instid0(VALU_DEP_1)
	v_cvt_f32_f16_e32 v100, v0
.LBB298_963:                            ;   in Loop: Header=BB298_552 Depth=1
	s_or_b32 exec_lo, exec_lo, s15
.LBB298_964:                            ;   in Loop: Header=BB298_552 Depth=1
	s_delay_alu instid0(SALU_CYCLE_1)
	s_or_b32 exec_lo, exec_lo, s13
.LBB298_965:                            ;   in Loop: Header=BB298_552 Depth=1
	s_delay_alu instid0(SALU_CYCLE_1) | instskip(SKIP_3) | instid1(VALU_DEP_2)
	s_or_b32 exec_lo, exec_lo, s12
	v_lshrrev_b32_e32 v13, 16, v11
	v_mov_b32_e32 v102, 0
	s_mov_b32 s12, exec_lo
	v_dual_mov_b32 v101, 0 :: v_dual_and_b32 v0, 0xff, v13
	s_delay_alu instid0(VALU_DEP_1)
	v_cmpx_ne_u16_e32 0, v0
	s_cbranch_execz .LBB298_973
; %bb.966:                              ;   in Loop: Header=BB298_552 Depth=1
	v_bfrev_b32_e32 v101, 1
	s_mov_b32 s13, exec_lo
	v_cmpx_ne_u16_e32 0x80, v0
	s_cbranch_execz .LBB298_972
; %bb.967:                              ;   in Loop: Header=BB298_552 Depth=1
	v_bfe_u32 v103, v11, 16, 7
	v_mov_b32_e32 v101, 0x7fc02000
	s_mov_b32 s15, exec_lo
	s_delay_alu instid0(VALU_DEP_2)
	v_cmpx_ne_u32_e32 0x7f, v103
	s_cbranch_execz .LBB298_971
; %bb.968:                              ;   in Loop: Header=BB298_552 Depth=1
	v_and_b32_e32 v0, 7, v13
	v_lshrrev_b32_e32 v14, 3, v103
	s_mov_b32 s16, exec_lo
	v_cmpx_gt_u32_e32 8, v103
; %bb.969:                              ;   in Loop: Header=BB298_552 Depth=1
	s_delay_alu instid0(VALU_DEP_3) | instskip(NEXT) | instid1(VALU_DEP_1)
	v_clz_i32_u32_e32 v14, v0
	v_min_u32_e32 v14, 32, v14
	s_delay_alu instid0(VALU_DEP_1) | instskip(SKIP_1) | instid1(VALU_DEP_2)
	v_subrev_nc_u32_e32 v101, 28, v14
	v_sub_nc_u32_e32 v14, 29, v14
	v_lshlrev_b64 v[112:113], v101, v[0:1]
	s_delay_alu instid0(VALU_DEP_1)
	v_and_b32_e32 v0, 7, v112
; %bb.970:                              ;   in Loop: Header=BB298_552 Depth=1
	s_or_b32 exec_lo, exec_lo, s16
	v_lshlrev_b32_e32 v13, 8, v13
	v_lshl_add_u32 v14, v14, 10, 0x2000
	s_delay_alu instid0(VALU_DEP_1) | instskip(NEXT) | instid1(VALU_DEP_1)
	v_and_or_b32 v13, 0x8000, v13, v14
	v_lshl_or_b32 v0, v0, 7, v13
	s_delay_alu instid0(VALU_DEP_1)
	v_cvt_f32_f16_e32 v101, v0
.LBB298_971:                            ;   in Loop: Header=BB298_552 Depth=1
	s_or_b32 exec_lo, exec_lo, s15
.LBB298_972:                            ;   in Loop: Header=BB298_552 Depth=1
	s_delay_alu instid0(SALU_CYCLE_1)
	s_or_b32 exec_lo, exec_lo, s13
.LBB298_973:                            ;   in Loop: Header=BB298_552 Depth=1
	s_delay_alu instid0(SALU_CYCLE_1) | instskip(NEXT) | instid1(SALU_CYCLE_1)
	s_or_b32 exec_lo, exec_lo, s12
	s_mov_b32 s12, exec_lo
	v_cmpx_lt_u32_e32 0xffffff, v11
	s_cbranch_execz .LBB298_981
; %bb.974:                              ;   in Loop: Header=BB298_552 Depth=1
	v_lshrrev_b32_e32 v13, 24, v11
	v_bfrev_b32_e32 v102, 1
	s_mov_b32 s13, exec_lo
	s_delay_alu instid0(VALU_DEP_2)
	v_cmpx_ne_u32_e32 0x80, v13
	s_cbranch_execz .LBB298_980
; %bb.975:                              ;   in Loop: Header=BB298_552 Depth=1
	v_and_b32_e32 v103, 0x7f, v13
	v_mov_b32_e32 v102, 0x7fc02000
	s_mov_b32 s15, exec_lo
	s_delay_alu instid0(VALU_DEP_2)
	v_cmpx_ne_u32_e32 0x7f, v103
	s_cbranch_execz .LBB298_979
; %bb.976:                              ;   in Loop: Header=BB298_552 Depth=1
	v_and_b32_e32 v0, 7, v13
	v_lshrrev_b32_e32 v14, 3, v103
	s_mov_b32 s16, exec_lo
	v_cmpx_gt_u32_e32 8, v103
; %bb.977:                              ;   in Loop: Header=BB298_552 Depth=1
	s_delay_alu instid0(VALU_DEP_3) | instskip(NEXT) | instid1(VALU_DEP_1)
	v_clz_i32_u32_e32 v14, v0
	v_min_u32_e32 v14, 32, v14
	s_delay_alu instid0(VALU_DEP_1) | instskip(SKIP_1) | instid1(VALU_DEP_2)
	v_subrev_nc_u32_e32 v102, 28, v14
	v_sub_nc_u32_e32 v14, 29, v14
	v_lshlrev_b64 v[102:103], v102, v[0:1]
	s_delay_alu instid0(VALU_DEP_1)
	v_and_b32_e32 v0, 7, v102
; %bb.978:                              ;   in Loop: Header=BB298_552 Depth=1
	s_or_b32 exec_lo, exec_lo, s16
	v_lshlrev_b32_e32 v13, 8, v13
	v_lshl_add_u32 v14, v14, 10, 0x2000
	s_delay_alu instid0(VALU_DEP_1) | instskip(NEXT) | instid1(VALU_DEP_1)
	v_and_or_b32 v13, 0x8000, v13, v14
	v_lshl_or_b32 v0, v0, 7, v13
	s_delay_alu instid0(VALU_DEP_1)
	v_cvt_f32_f16_e32 v102, v0
.LBB298_979:                            ;   in Loop: Header=BB298_552 Depth=1
	s_or_b32 exec_lo, exec_lo, s15
.LBB298_980:                            ;   in Loop: Header=BB298_552 Depth=1
	s_delay_alu instid0(SALU_CYCLE_1)
	s_or_b32 exec_lo, exec_lo, s13
.LBB298_981:                            ;   in Loop: Header=BB298_552 Depth=1
	s_delay_alu instid0(SALU_CYCLE_1) | instskip(SKIP_3) | instid1(VALU_DEP_2)
	s_or_b32 exec_lo, exec_lo, s12
	v_dual_mov_b32 v103, 0 :: v_dual_and_b32 v14, 0xff, v12
	v_dual_mov_b32 v0, v12 :: v_dual_mov_b32 v13, 0
	s_mov_b32 s12, exec_lo
	v_cmpx_ne_u16_e32 0, v14
	s_cbranch_execz .LBB298_989
; %bb.982:                              ;   in Loop: Header=BB298_552 Depth=1
	v_bfrev_b32_e32 v13, 1
	s_mov_b32 s13, exec_lo
	v_cmpx_ne_u16_e32 0x80, v14
	s_cbranch_execz .LBB298_988
; %bb.983:                              ;   in Loop: Header=BB298_552 Depth=1
	v_and_b32_e32 v14, 0x7f, v12
	v_mov_b32_e32 v13, 0x7fc02000
	s_mov_b32 s15, exec_lo
	s_delay_alu instid0(VALU_DEP_2)
	v_cmpx_ne_u32_e32 0x7f, v14
	s_cbranch_execz .LBB298_987
; %bb.984:                              ;   in Loop: Header=BB298_552 Depth=1
	v_lshrrev_b32_e32 v112, 3, v14
	v_cmp_gt_u32_e64 s0, 8, v14
	v_dual_mov_b32 v14, v1 :: v_dual_mov_b32 v13, v0
	s_delay_alu instid0(VALU_DEP_2)
	s_and_saveexec_b32 s16, s0
; %bb.985:                              ;   in Loop: Header=BB298_552 Depth=1
	v_and_b32_e32 v13, 7, v12
	s_delay_alu instid0(VALU_DEP_1) | instskip(NEXT) | instid1(VALU_DEP_1)
	v_clz_i32_u32_e32 v13, v13
	v_min_u32_e32 v112, 32, v13
	s_delay_alu instid0(VALU_DEP_1) | instskip(SKIP_1) | instid1(VALU_DEP_2)
	v_subrev_nc_u32_e32 v13, 28, v112
	v_sub_nc_u32_e32 v112, 29, v112
	v_lshlrev_b64 v[13:14], v13, v[0:1]
; %bb.986:                              ;   in Loop: Header=BB298_552 Depth=1
	s_or_b32 exec_lo, exec_lo, s16
	v_lshlrev_b32_e32 v14, 8, v12
	s_delay_alu instid0(VALU_DEP_3) | instskip(NEXT) | instid1(VALU_DEP_3)
	v_lshl_add_u32 v112, v112, 10, 0x2000
	v_lshlrev_b32_e32 v13, 7, v13
	s_delay_alu instid0(VALU_DEP_2) | instskip(NEXT) | instid1(VALU_DEP_1)
	v_and_or_b32 v14, 0x8000, v14, v112
	v_and_or_b32 v13, 0x380, v13, v14
	s_delay_alu instid0(VALU_DEP_1)
	v_cvt_f32_f16_e32 v13, v13
.LBB298_987:                            ;   in Loop: Header=BB298_552 Depth=1
	s_or_b32 exec_lo, exec_lo, s15
.LBB298_988:                            ;   in Loop: Header=BB298_552 Depth=1
	s_delay_alu instid0(SALU_CYCLE_1)
	s_or_b32 exec_lo, exec_lo, s13
.LBB298_989:                            ;   in Loop: Header=BB298_552 Depth=1
	s_delay_alu instid0(SALU_CYCLE_1) | instskip(SKIP_2) | instid1(VALU_DEP_1)
	s_or_b32 exec_lo, exec_lo, s12
	v_lshrrev_b16 v0, 8, v0
	s_mov_b32 s12, exec_lo
	v_cmpx_ne_u16_e32 0, v0
	s_cbranch_execz .LBB298_997
; %bb.990:                              ;   in Loop: Header=BB298_552 Depth=1
	v_bfrev_b32_e32 v103, 1
	s_mov_b32 s13, exec_lo
	v_cmpx_ne_u16_e32 0x80, v0
	s_cbranch_execz .LBB298_996
; %bb.991:                              ;   in Loop: Header=BB298_552 Depth=1
	v_and_b32_e32 v14, 0xffff, v0
	v_mov_b32_e32 v103, 0x7fc02000
	s_mov_b32 s15, exec_lo
	s_delay_alu instid0(VALU_DEP_2) | instskip(NEXT) | instid1(VALU_DEP_1)
	v_and_b32_e32 v112, 0x7f, v14
	v_cmpx_ne_u32_e32 0x7f, v112
	s_cbranch_execz .LBB298_995
; %bb.992:                              ;   in Loop: Header=BB298_552 Depth=1
	v_and_b32_e32 v0, 7, v14
	v_lshrrev_b32_e32 v103, 3, v112
	s_mov_b32 s16, exec_lo
	v_cmpx_gt_u32_e32 8, v112
; %bb.993:                              ;   in Loop: Header=BB298_552 Depth=1
	s_delay_alu instid0(VALU_DEP_3) | instskip(NEXT) | instid1(VALU_DEP_1)
	v_clz_i32_u32_e32 v103, v0
	v_min_u32_e32 v103, 32, v103
	s_delay_alu instid0(VALU_DEP_1) | instskip(SKIP_1) | instid1(VALU_DEP_2)
	v_subrev_nc_u32_e32 v112, 28, v103
	v_sub_nc_u32_e32 v103, 29, v103
	v_lshlrev_b64 v[112:113], v112, v[0:1]
	s_delay_alu instid0(VALU_DEP_1)
	v_and_b32_e32 v0, 7, v112
; %bb.994:                              ;   in Loop: Header=BB298_552 Depth=1
	s_or_b32 exec_lo, exec_lo, s16
	v_lshlrev_b32_e32 v14, 8, v14
	v_lshl_add_u32 v103, v103, 10, 0x2000
	s_delay_alu instid0(VALU_DEP_1) | instskip(NEXT) | instid1(VALU_DEP_1)
	v_and_or_b32 v14, 0x8000, v14, v103
	v_lshl_or_b32 v0, v0, 7, v14
	s_delay_alu instid0(VALU_DEP_1)
	v_cvt_f32_f16_e32 v103, v0
.LBB298_995:                            ;   in Loop: Header=BB298_552 Depth=1
	s_or_b32 exec_lo, exec_lo, s15
.LBB298_996:                            ;   in Loop: Header=BB298_552 Depth=1
	s_delay_alu instid0(SALU_CYCLE_1)
	s_or_b32 exec_lo, exec_lo, s13
.LBB298_997:                            ;   in Loop: Header=BB298_552 Depth=1
	s_delay_alu instid0(SALU_CYCLE_1) | instskip(SKIP_4) | instid1(VALU_DEP_3)
	s_or_b32 exec_lo, exec_lo, s12
	v_lshrrev_b32_e32 v113, 16, v12
	v_mov_b32_e32 v112, 0
	v_mov_b32_e32 v14, 0
	s_mov_b32 s12, exec_lo
	v_and_b32_e32 v0, 0xff, v113
	s_delay_alu instid0(VALU_DEP_1)
	v_cmpx_ne_u16_e32 0, v0
	s_cbranch_execz .LBB298_1005
; %bb.998:                              ;   in Loop: Header=BB298_552 Depth=1
	v_bfrev_b32_e32 v14, 1
	s_mov_b32 s13, exec_lo
	v_cmpx_ne_u16_e32 0x80, v0
	s_cbranch_execz .LBB298_1004
; %bb.999:                              ;   in Loop: Header=BB298_552 Depth=1
	v_bfe_u32 v114, v12, 16, 7
	v_mov_b32_e32 v14, 0x7fc02000
	s_mov_b32 s15, exec_lo
	s_delay_alu instid0(VALU_DEP_2)
	v_cmpx_ne_u32_e32 0x7f, v114
	s_cbranch_execz .LBB298_1003
; %bb.1000:                             ;   in Loop: Header=BB298_552 Depth=1
	v_and_b32_e32 v0, 7, v113
	v_lshrrev_b32_e32 v14, 3, v114
	s_mov_b32 s16, exec_lo
	v_cmpx_gt_u32_e32 8, v114
; %bb.1001:                             ;   in Loop: Header=BB298_552 Depth=1
	s_delay_alu instid0(VALU_DEP_3) | instskip(NEXT) | instid1(VALU_DEP_1)
	v_clz_i32_u32_e32 v14, v0
	v_min_u32_e32 v14, 32, v14
	s_delay_alu instid0(VALU_DEP_1) | instskip(SKIP_1) | instid1(VALU_DEP_2)
	v_subrev_nc_u32_e32 v114, 28, v14
	v_sub_nc_u32_e32 v14, 29, v14
	v_lshlrev_b64 v[114:115], v114, v[0:1]
	s_delay_alu instid0(VALU_DEP_1)
	v_and_b32_e32 v0, 7, v114
; %bb.1002:                             ;   in Loop: Header=BB298_552 Depth=1
	s_or_b32 exec_lo, exec_lo, s16
	v_lshlrev_b32_e32 v113, 8, v113
	v_lshl_add_u32 v14, v14, 10, 0x2000
	s_delay_alu instid0(VALU_DEP_1) | instskip(NEXT) | instid1(VALU_DEP_1)
	v_and_or_b32 v14, 0x8000, v113, v14
	v_lshl_or_b32 v0, v0, 7, v14
	s_delay_alu instid0(VALU_DEP_1)
	v_cvt_f32_f16_e32 v14, v0
.LBB298_1003:                           ;   in Loop: Header=BB298_552 Depth=1
	s_or_b32 exec_lo, exec_lo, s15
.LBB298_1004:                           ;   in Loop: Header=BB298_552 Depth=1
	s_delay_alu instid0(SALU_CYCLE_1)
	s_or_b32 exec_lo, exec_lo, s13
.LBB298_1005:                           ;   in Loop: Header=BB298_552 Depth=1
	s_delay_alu instid0(SALU_CYCLE_1) | instskip(NEXT) | instid1(SALU_CYCLE_1)
	s_or_b32 exec_lo, exec_lo, s12
	s_mov_b32 s12, exec_lo
	v_cmpx_lt_u64_e64 s[8:9], v[11:12]
	s_cbranch_execz .LBB298_1013
; %bb.1006:                             ;   in Loop: Header=BB298_552 Depth=1
	v_lshrrev_b32_e32 v11, 24, v12
	v_bfrev_b32_e32 v112, 1
	s_mov_b32 s13, exec_lo
	s_delay_alu instid0(VALU_DEP_2)
	v_cmpx_ne_u32_e32 0x80, v11
	s_cbranch_execz .LBB298_1012
; %bb.1007:                             ;   in Loop: Header=BB298_552 Depth=1
	v_and_b32_e32 v113, 0x7f, v11
	v_mov_b32_e32 v112, 0x7fc02000
	s_mov_b32 s15, exec_lo
	s_delay_alu instid0(VALU_DEP_2)
	v_cmpx_ne_u32_e32 0x7f, v113
	s_cbranch_execz .LBB298_1011
; %bb.1008:                             ;   in Loop: Header=BB298_552 Depth=1
	v_and_b32_e32 v0, 7, v11
	v_lshrrev_b32_e32 v12, 3, v113
	s_mov_b32 s16, exec_lo
	v_cmpx_gt_u32_e32 8, v113
; %bb.1009:                             ;   in Loop: Header=BB298_552 Depth=1
	s_delay_alu instid0(VALU_DEP_3) | instskip(NEXT) | instid1(VALU_DEP_1)
	v_clz_i32_u32_e32 v12, v0
	v_min_u32_e32 v12, 32, v12
	s_delay_alu instid0(VALU_DEP_1) | instskip(SKIP_1) | instid1(VALU_DEP_2)
	v_subrev_nc_u32_e32 v112, 28, v12
	v_sub_nc_u32_e32 v12, 29, v12
	v_lshlrev_b64 v[112:113], v112, v[0:1]
	s_delay_alu instid0(VALU_DEP_1)
	v_and_b32_e32 v0, 7, v112
; %bb.1010:                             ;   in Loop: Header=BB298_552 Depth=1
	s_or_b32 exec_lo, exec_lo, s16
	v_lshlrev_b32_e32 v11, 8, v11
	v_lshl_add_u32 v12, v12, 10, 0x2000
	s_delay_alu instid0(VALU_DEP_1) | instskip(NEXT) | instid1(VALU_DEP_1)
	v_and_or_b32 v11, 0x8000, v11, v12
	v_lshl_or_b32 v0, v0, 7, v11
	s_delay_alu instid0(VALU_DEP_1)
	v_cvt_f32_f16_e32 v112, v0
.LBB298_1011:                           ;   in Loop: Header=BB298_552 Depth=1
	s_or_b32 exec_lo, exec_lo, s15
.LBB298_1012:                           ;   in Loop: Header=BB298_552 Depth=1
	s_delay_alu instid0(SALU_CYCLE_1)
	s_or_b32 exec_lo, exec_lo, s13
.LBB298_1013:                           ;   in Loop: Header=BB298_552 Depth=1
	s_delay_alu instid0(SALU_CYCLE_1)
	s_or_b32 exec_lo, exec_lo, s12
	s_waitcnt vmcnt(0) lgkmcnt(0)
	v_fma_mixlo_f16 v12, v98, v100, 0
	v_fma_mixlo_f16 v0, v98, v102, 0
	v_fma_mixlo_f16 v11, v98, v101, 0
	v_fma_mixlo_f16 v99, v98, v99, 0
	v_fma_mixlo_f16 v101, v98, v103, 0
	v_lshlrev_b32_e32 v100, 16, v12
	v_fma_mixlo_f16 v13, v98, v13, 0
	v_fma_mixlo_f16 v102, v98, v112, 0
	;; [unrolled: 1-line block ×3, first 2 shown]
	v_lshlrev_b32_e32 v0, 16, v0
	v_and_b32_e32 v11, 0xffff, v11
	v_and_b32_e32 v14, 0xffff, v99
	v_lshlrev_b32_e32 v98, 16, v101
	v_and_b32_e32 v99, 0xffff, v13
	v_lshlrev_b32_e32 v101, 16, v102
	v_and_b32_e32 v102, 0xffff, v12
	v_or_b32_e32 v13, v0, v11
	v_or_b32_e32 v14, v100, v14
	;; [unrolled: 1-line block ×3, first 2 shown]
	s_delay_alu instid0(VALU_DEP_4)
	v_or_b32_e32 v11, v101, v102
	s_and_saveexec_b32 s12, vcc_lo
	s_cbranch_execz .LBB298_1015
; %bb.1014:                             ;   in Loop: Header=BB298_552 Depth=1
	v_cmp_lt_i32_e64 s0, v23, v35
	v_lshrrev_b32_e32 v98, 16, v14
	v_lshrrev_b32_e32 v99, 16, v13
	v_lshrrev_b32_e32 v100, 16, v0
	v_lshrrev_b32_e32 v11, 16, v11
	v_cndmask_b32_e64 v14, 0, v14, s0
	v_cmp_lt_i32_e64 s0, v65, v51
	s_delay_alu instid0(VALU_DEP_1) | instskip(SKIP_1) | instid1(VALU_DEP_2)
	v_cndmask_b32_e64 v98, 0, v98, s0
	v_cmp_lt_i32_e64 s0, v64, v51
	v_perm_b32 v14, v98, v14, 0x5040100
	s_delay_alu instid0(VALU_DEP_2) | instskip(SKIP_1) | instid1(VALU_DEP_1)
	v_cndmask_b32_e64 v99, 0, v99, s0
	v_cmp_lt_i32_e64 s0, v55, v35
	v_cndmask_b32_e64 v13, 0, v13, s0
	v_cmp_lt_i32_e64 s0, v54, v51
	s_delay_alu instid0(VALU_DEP_2) | instskip(NEXT) | instid1(VALU_DEP_2)
	v_perm_b32 v13, v99, v13, 0x5040100
	v_cndmask_b32_e64 v100, 0, v100, s0
	v_cmp_lt_i32_e64 s0, v52, v35
	s_delay_alu instid0(VALU_DEP_1) | instskip(SKIP_1) | instid1(VALU_DEP_2)
	v_cndmask_b32_e64 v0, 0, v0, s0
	v_cmp_lt_i32_e64 s0, v19, v51
	v_perm_b32 v0, v100, v0, 0x5040100
	s_delay_alu instid0(VALU_DEP_2) | instskip(SKIP_1) | instid1(VALU_DEP_1)
	v_cndmask_b32_e64 v11, 0, v11, s0
	v_cmp_lt_i32_e64 s0, v18, v35
	v_cndmask_b32_e64 v12, 0, v12, s0
	s_delay_alu instid0(VALU_DEP_1)
	v_perm_b32 v11, v11, v12, 0x5040100
.LBB298_1015:                           ;   in Loop: Header=BB298_552 Depth=1
	s_or_b32 exec_lo, exec_lo, s12
	;;#ASMSTART
	v_pk_mul_f16 v12, v71, v14;

	;;#ASMEND
	;;#ASMSTART
	v_pk_mul_f16 v13, v70, v13;

	;;#ASMEND
	;; [unrolled: 4-line block ×4, first 2 shown]
	;;#ASMSTART
	v_pk_add_f16 v12, v12, v13;

	;;#ASMEND
	;;#ASMSTART
	v_pk_add_f16 v0, v12, v0;

	;;#ASMEND
	;; [unrolled: 4-line block ×3, first 2 shown]
	v_dual_mov_b32 v100, 0 :: v_dual_and_b32 v11, 0xffff, v0
	v_lshrrev_b32_e32 v0, 16, v0
	;;#ASMSTART
	v_cvt_f32_f16 v13, v11;
	;;#ASMEND
	;;#ASMSTART
	v_cvt_f32_f16 v14, v0;
	;;#ASMEND
	flat_load_b64 v[9:10], v[9:10] offset:1792
	flat_load_b32 v98, v[26:27]
	s_mov_b32 s12, exec_lo
	s_waitcnt vmcnt(1) lgkmcnt(1)
	v_dual_mov_b32 v99, 0 :: v_dual_and_b32 v0, 0xff, v9
	s_delay_alu instid0(VALU_DEP_1)
	v_cmpx_ne_u16_e32 0, v0
	s_cbranch_execz .LBB298_1023
; %bb.1016:                             ;   in Loop: Header=BB298_552 Depth=1
	v_bfrev_b32_e32 v99, 1
	s_mov_b32 s13, exec_lo
	v_cmpx_ne_u16_e32 0x80, v0
	s_cbranch_execz .LBB298_1022
; %bb.1017:                             ;   in Loop: Header=BB298_552 Depth=1
	v_and_b32_e32 v11, 0x7f, v9
	v_mov_b32_e32 v99, 0x7fc02000
	s_mov_b32 s15, exec_lo
	s_delay_alu instid0(VALU_DEP_2)
	v_cmpx_ne_u32_e32 0x7f, v11
	s_cbranch_execz .LBB298_1021
; %bb.1018:                             ;   in Loop: Header=BB298_552 Depth=1
	v_lshrrev_b32_e32 v0, 3, v11
	v_cmp_gt_u32_e64 s0, 8, v11
	v_dual_mov_b32 v12, v10 :: v_dual_mov_b32 v11, v9
	s_delay_alu instid0(VALU_DEP_2)
	s_and_saveexec_b32 s16, s0
; %bb.1019:                             ;   in Loop: Header=BB298_552 Depth=1
	v_and_b32_e32 v0, 7, v9
	s_delay_alu instid0(VALU_DEP_1) | instskip(NEXT) | instid1(VALU_DEP_1)
	v_clz_i32_u32_e32 v0, v0
	v_min_u32_e32 v0, 32, v0
	s_delay_alu instid0(VALU_DEP_1) | instskip(SKIP_1) | instid1(VALU_DEP_2)
	v_subrev_nc_u32_e32 v11, 28, v0
	v_sub_nc_u32_e32 v0, 29, v0
	v_lshlrev_b64 v[11:12], v11, v[9:10]
; %bb.1020:                             ;   in Loop: Header=BB298_552 Depth=1
	s_or_b32 exec_lo, exec_lo, s16
	v_lshlrev_b32_e32 v12, 8, v9
	s_delay_alu instid0(VALU_DEP_3) | instskip(NEXT) | instid1(VALU_DEP_3)
	v_lshl_add_u32 v0, v0, 10, 0x2000
	v_lshlrev_b32_e32 v11, 7, v11
	s_delay_alu instid0(VALU_DEP_2) | instskip(NEXT) | instid1(VALU_DEP_1)
	v_and_or_b32 v0, 0x8000, v12, v0
	v_and_or_b32 v0, 0x380, v11, v0
	s_delay_alu instid0(VALU_DEP_1)
	v_cvt_f32_f16_e32 v99, v0
.LBB298_1021:                           ;   in Loop: Header=BB298_552 Depth=1
	s_or_b32 exec_lo, exec_lo, s15
.LBB298_1022:                           ;   in Loop: Header=BB298_552 Depth=1
	s_delay_alu instid0(SALU_CYCLE_1)
	s_or_b32 exec_lo, exec_lo, s13
.LBB298_1023:                           ;   in Loop: Header=BB298_552 Depth=1
	s_delay_alu instid0(SALU_CYCLE_1) | instskip(SKIP_2) | instid1(VALU_DEP_1)
	s_or_b32 exec_lo, exec_lo, s12
	v_lshrrev_b16 v0, 8, v9
	s_mov_b32 s12, exec_lo
	v_cmpx_ne_u16_e32 0, v0
	s_cbranch_execz .LBB298_1031
; %bb.1024:                             ;   in Loop: Header=BB298_552 Depth=1
	v_bfrev_b32_e32 v100, 1
	s_mov_b32 s13, exec_lo
	v_cmpx_ne_u16_e32 0x80, v0
	s_cbranch_execz .LBB298_1030
; %bb.1025:                             ;   in Loop: Header=BB298_552 Depth=1
	v_and_b32_e32 v11, 0xffff, v0
	v_mov_b32_e32 v100, 0x7fc02000
	s_mov_b32 s15, exec_lo
	s_delay_alu instid0(VALU_DEP_2) | instskip(NEXT) | instid1(VALU_DEP_1)
	v_and_b32_e32 v101, 0x7f, v11
	v_cmpx_ne_u32_e32 0x7f, v101
	s_cbranch_execz .LBB298_1029
; %bb.1026:                             ;   in Loop: Header=BB298_552 Depth=1
	v_and_b32_e32 v0, 7, v11
	v_lshrrev_b32_e32 v12, 3, v101
	s_mov_b32 s16, exec_lo
	v_cmpx_gt_u32_e32 8, v101
; %bb.1027:                             ;   in Loop: Header=BB298_552 Depth=1
	s_delay_alu instid0(VALU_DEP_3) | instskip(NEXT) | instid1(VALU_DEP_1)
	v_clz_i32_u32_e32 v12, v0
	v_min_u32_e32 v12, 32, v12
	s_delay_alu instid0(VALU_DEP_1) | instskip(SKIP_1) | instid1(VALU_DEP_2)
	v_subrev_nc_u32_e32 v100, 28, v12
	v_sub_nc_u32_e32 v12, 29, v12
	v_lshlrev_b64 v[100:101], v100, v[0:1]
	s_delay_alu instid0(VALU_DEP_1)
	v_and_b32_e32 v0, 7, v100
; %bb.1028:                             ;   in Loop: Header=BB298_552 Depth=1
	s_or_b32 exec_lo, exec_lo, s16
	v_lshlrev_b32_e32 v11, 8, v11
	v_lshl_add_u32 v12, v12, 10, 0x2000
	s_delay_alu instid0(VALU_DEP_1) | instskip(NEXT) | instid1(VALU_DEP_1)
	v_and_or_b32 v11, 0x8000, v11, v12
	v_lshl_or_b32 v0, v0, 7, v11
	s_delay_alu instid0(VALU_DEP_1)
	v_cvt_f32_f16_e32 v100, v0
.LBB298_1029:                           ;   in Loop: Header=BB298_552 Depth=1
	s_or_b32 exec_lo, exec_lo, s15
.LBB298_1030:                           ;   in Loop: Header=BB298_552 Depth=1
	s_delay_alu instid0(SALU_CYCLE_1)
	s_or_b32 exec_lo, exec_lo, s13
.LBB298_1031:                           ;   in Loop: Header=BB298_552 Depth=1
	s_delay_alu instid0(SALU_CYCLE_1) | instskip(SKIP_3) | instid1(VALU_DEP_2)
	s_or_b32 exec_lo, exec_lo, s12
	v_lshrrev_b32_e32 v11, 16, v9
	v_mov_b32_e32 v102, 0
	s_mov_b32 s12, exec_lo
	v_dual_mov_b32 v101, 0 :: v_dual_and_b32 v0, 0xff, v11
	s_delay_alu instid0(VALU_DEP_1)
	v_cmpx_ne_u16_e32 0, v0
	s_cbranch_execz .LBB298_1039
; %bb.1032:                             ;   in Loop: Header=BB298_552 Depth=1
	v_bfrev_b32_e32 v101, 1
	s_mov_b32 s13, exec_lo
	v_cmpx_ne_u16_e32 0x80, v0
	s_cbranch_execz .LBB298_1038
; %bb.1033:                             ;   in Loop: Header=BB298_552 Depth=1
	v_bfe_u32 v103, v9, 16, 7
	v_mov_b32_e32 v101, 0x7fc02000
	s_mov_b32 s15, exec_lo
	s_delay_alu instid0(VALU_DEP_2)
	v_cmpx_ne_u32_e32 0x7f, v103
	s_cbranch_execz .LBB298_1037
; %bb.1034:                             ;   in Loop: Header=BB298_552 Depth=1
	v_and_b32_e32 v0, 7, v11
	v_lshrrev_b32_e32 v12, 3, v103
	s_mov_b32 s16, exec_lo
	v_cmpx_gt_u32_e32 8, v103
; %bb.1035:                             ;   in Loop: Header=BB298_552 Depth=1
	s_delay_alu instid0(VALU_DEP_3) | instskip(NEXT) | instid1(VALU_DEP_1)
	v_clz_i32_u32_e32 v12, v0
	v_min_u32_e32 v12, 32, v12
	s_delay_alu instid0(VALU_DEP_1) | instskip(SKIP_1) | instid1(VALU_DEP_2)
	v_subrev_nc_u32_e32 v101, 28, v12
	v_sub_nc_u32_e32 v12, 29, v12
	v_lshlrev_b64 v[112:113], v101, v[0:1]
	s_delay_alu instid0(VALU_DEP_1)
	v_and_b32_e32 v0, 7, v112
; %bb.1036:                             ;   in Loop: Header=BB298_552 Depth=1
	s_or_b32 exec_lo, exec_lo, s16
	v_lshlrev_b32_e32 v11, 8, v11
	v_lshl_add_u32 v12, v12, 10, 0x2000
	s_delay_alu instid0(VALU_DEP_1) | instskip(NEXT) | instid1(VALU_DEP_1)
	v_and_or_b32 v11, 0x8000, v11, v12
	v_lshl_or_b32 v0, v0, 7, v11
	s_delay_alu instid0(VALU_DEP_1)
	v_cvt_f32_f16_e32 v101, v0
.LBB298_1037:                           ;   in Loop: Header=BB298_552 Depth=1
	s_or_b32 exec_lo, exec_lo, s15
.LBB298_1038:                           ;   in Loop: Header=BB298_552 Depth=1
	s_delay_alu instid0(SALU_CYCLE_1)
	s_or_b32 exec_lo, exec_lo, s13
.LBB298_1039:                           ;   in Loop: Header=BB298_552 Depth=1
	s_delay_alu instid0(SALU_CYCLE_1) | instskip(NEXT) | instid1(SALU_CYCLE_1)
	s_or_b32 exec_lo, exec_lo, s12
	s_mov_b32 s12, exec_lo
	v_cmpx_lt_u32_e32 0xffffff, v9
	s_cbranch_execz .LBB298_1047
; %bb.1040:                             ;   in Loop: Header=BB298_552 Depth=1
	v_lshrrev_b32_e32 v11, 24, v9
	v_bfrev_b32_e32 v102, 1
	s_mov_b32 s13, exec_lo
	s_delay_alu instid0(VALU_DEP_2)
	v_cmpx_ne_u32_e32 0x80, v11
	s_cbranch_execz .LBB298_1046
; %bb.1041:                             ;   in Loop: Header=BB298_552 Depth=1
	v_and_b32_e32 v103, 0x7f, v11
	v_mov_b32_e32 v102, 0x7fc02000
	s_mov_b32 s15, exec_lo
	s_delay_alu instid0(VALU_DEP_2)
	v_cmpx_ne_u32_e32 0x7f, v103
	s_cbranch_execz .LBB298_1045
; %bb.1042:                             ;   in Loop: Header=BB298_552 Depth=1
	v_and_b32_e32 v0, 7, v11
	v_lshrrev_b32_e32 v12, 3, v103
	s_mov_b32 s16, exec_lo
	v_cmpx_gt_u32_e32 8, v103
; %bb.1043:                             ;   in Loop: Header=BB298_552 Depth=1
	s_delay_alu instid0(VALU_DEP_3) | instskip(NEXT) | instid1(VALU_DEP_1)
	v_clz_i32_u32_e32 v12, v0
	v_min_u32_e32 v12, 32, v12
	s_delay_alu instid0(VALU_DEP_1) | instskip(SKIP_1) | instid1(VALU_DEP_2)
	v_subrev_nc_u32_e32 v102, 28, v12
	v_sub_nc_u32_e32 v12, 29, v12
	v_lshlrev_b64 v[102:103], v102, v[0:1]
	s_delay_alu instid0(VALU_DEP_1)
	v_and_b32_e32 v0, 7, v102
; %bb.1044:                             ;   in Loop: Header=BB298_552 Depth=1
	s_or_b32 exec_lo, exec_lo, s16
	v_lshlrev_b32_e32 v11, 8, v11
	v_lshl_add_u32 v12, v12, 10, 0x2000
	s_delay_alu instid0(VALU_DEP_1) | instskip(NEXT) | instid1(VALU_DEP_1)
	v_and_or_b32 v11, 0x8000, v11, v12
	v_lshl_or_b32 v0, v0, 7, v11
	s_delay_alu instid0(VALU_DEP_1)
	v_cvt_f32_f16_e32 v102, v0
.LBB298_1045:                           ;   in Loop: Header=BB298_552 Depth=1
	s_or_b32 exec_lo, exec_lo, s15
.LBB298_1046:                           ;   in Loop: Header=BB298_552 Depth=1
	s_delay_alu instid0(SALU_CYCLE_1)
	s_or_b32 exec_lo, exec_lo, s13
.LBB298_1047:                           ;   in Loop: Header=BB298_552 Depth=1
	s_delay_alu instid0(SALU_CYCLE_1) | instskip(SKIP_3) | instid1(VALU_DEP_2)
	s_or_b32 exec_lo, exec_lo, s12
	v_dual_mov_b32 v103, 0 :: v_dual_and_b32 v12, 0xff, v10
	v_dual_mov_b32 v0, v10 :: v_dual_mov_b32 v11, 0
	s_mov_b32 s12, exec_lo
	v_cmpx_ne_u16_e32 0, v12
	s_cbranch_execz .LBB298_1055
; %bb.1048:                             ;   in Loop: Header=BB298_552 Depth=1
	v_bfrev_b32_e32 v11, 1
	s_mov_b32 s13, exec_lo
	v_cmpx_ne_u16_e32 0x80, v12
	s_cbranch_execz .LBB298_1054
; %bb.1049:                             ;   in Loop: Header=BB298_552 Depth=1
	v_and_b32_e32 v12, 0x7f, v10
	v_mov_b32_e32 v11, 0x7fc02000
	s_mov_b32 s15, exec_lo
	s_delay_alu instid0(VALU_DEP_2)
	v_cmpx_ne_u32_e32 0x7f, v12
	s_cbranch_execz .LBB298_1053
; %bb.1050:                             ;   in Loop: Header=BB298_552 Depth=1
	v_lshrrev_b32_e32 v112, 3, v12
	v_cmp_gt_u32_e64 s0, 8, v12
	v_dual_mov_b32 v12, v1 :: v_dual_mov_b32 v11, v0
	s_delay_alu instid0(VALU_DEP_2)
	s_and_saveexec_b32 s16, s0
; %bb.1051:                             ;   in Loop: Header=BB298_552 Depth=1
	v_and_b32_e32 v11, 7, v10
	s_delay_alu instid0(VALU_DEP_1) | instskip(NEXT) | instid1(VALU_DEP_1)
	v_clz_i32_u32_e32 v11, v11
	v_min_u32_e32 v112, 32, v11
	s_delay_alu instid0(VALU_DEP_1) | instskip(SKIP_1) | instid1(VALU_DEP_2)
	v_subrev_nc_u32_e32 v11, 28, v112
	v_sub_nc_u32_e32 v112, 29, v112
	v_lshlrev_b64 v[11:12], v11, v[0:1]
; %bb.1052:                             ;   in Loop: Header=BB298_552 Depth=1
	s_or_b32 exec_lo, exec_lo, s16
	v_lshlrev_b32_e32 v12, 8, v10
	s_delay_alu instid0(VALU_DEP_3) | instskip(NEXT) | instid1(VALU_DEP_3)
	v_lshl_add_u32 v112, v112, 10, 0x2000
	v_lshlrev_b32_e32 v11, 7, v11
	s_delay_alu instid0(VALU_DEP_2) | instskip(NEXT) | instid1(VALU_DEP_1)
	v_and_or_b32 v12, 0x8000, v12, v112
	v_and_or_b32 v11, 0x380, v11, v12
	s_delay_alu instid0(VALU_DEP_1)
	v_cvt_f32_f16_e32 v11, v11
.LBB298_1053:                           ;   in Loop: Header=BB298_552 Depth=1
	s_or_b32 exec_lo, exec_lo, s15
.LBB298_1054:                           ;   in Loop: Header=BB298_552 Depth=1
	s_delay_alu instid0(SALU_CYCLE_1)
	s_or_b32 exec_lo, exec_lo, s13
.LBB298_1055:                           ;   in Loop: Header=BB298_552 Depth=1
	s_delay_alu instid0(SALU_CYCLE_1) | instskip(SKIP_2) | instid1(VALU_DEP_1)
	s_or_b32 exec_lo, exec_lo, s12
	v_lshrrev_b16 v0, 8, v0
	s_mov_b32 s12, exec_lo
	v_cmpx_ne_u16_e32 0, v0
	s_cbranch_execz .LBB298_1063
; %bb.1056:                             ;   in Loop: Header=BB298_552 Depth=1
	v_bfrev_b32_e32 v103, 1
	s_mov_b32 s13, exec_lo
	v_cmpx_ne_u16_e32 0x80, v0
	s_cbranch_execz .LBB298_1062
; %bb.1057:                             ;   in Loop: Header=BB298_552 Depth=1
	v_and_b32_e32 v12, 0xffff, v0
	v_mov_b32_e32 v103, 0x7fc02000
	s_mov_b32 s15, exec_lo
	s_delay_alu instid0(VALU_DEP_2) | instskip(NEXT) | instid1(VALU_DEP_1)
	v_and_b32_e32 v112, 0x7f, v12
	v_cmpx_ne_u32_e32 0x7f, v112
	s_cbranch_execz .LBB298_1061
; %bb.1058:                             ;   in Loop: Header=BB298_552 Depth=1
	v_and_b32_e32 v0, 7, v12
	v_lshrrev_b32_e32 v103, 3, v112
	s_mov_b32 s16, exec_lo
	v_cmpx_gt_u32_e32 8, v112
; %bb.1059:                             ;   in Loop: Header=BB298_552 Depth=1
	s_delay_alu instid0(VALU_DEP_3) | instskip(NEXT) | instid1(VALU_DEP_1)
	v_clz_i32_u32_e32 v103, v0
	v_min_u32_e32 v103, 32, v103
	s_delay_alu instid0(VALU_DEP_1) | instskip(SKIP_1) | instid1(VALU_DEP_2)
	v_subrev_nc_u32_e32 v112, 28, v103
	v_sub_nc_u32_e32 v103, 29, v103
	v_lshlrev_b64 v[112:113], v112, v[0:1]
	s_delay_alu instid0(VALU_DEP_1)
	v_and_b32_e32 v0, 7, v112
; %bb.1060:                             ;   in Loop: Header=BB298_552 Depth=1
	s_or_b32 exec_lo, exec_lo, s16
	v_lshlrev_b32_e32 v12, 8, v12
	v_lshl_add_u32 v103, v103, 10, 0x2000
	s_delay_alu instid0(VALU_DEP_1) | instskip(NEXT) | instid1(VALU_DEP_1)
	v_and_or_b32 v12, 0x8000, v12, v103
	v_lshl_or_b32 v0, v0, 7, v12
	s_delay_alu instid0(VALU_DEP_1)
	v_cvt_f32_f16_e32 v103, v0
.LBB298_1061:                           ;   in Loop: Header=BB298_552 Depth=1
	s_or_b32 exec_lo, exec_lo, s15
.LBB298_1062:                           ;   in Loop: Header=BB298_552 Depth=1
	s_delay_alu instid0(SALU_CYCLE_1)
	s_or_b32 exec_lo, exec_lo, s13
.LBB298_1063:                           ;   in Loop: Header=BB298_552 Depth=1
	s_delay_alu instid0(SALU_CYCLE_1) | instskip(SKIP_4) | instid1(VALU_DEP_3)
	s_or_b32 exec_lo, exec_lo, s12
	v_lshrrev_b32_e32 v113, 16, v10
	v_mov_b32_e32 v112, 0
	v_mov_b32_e32 v12, 0
	s_mov_b32 s12, exec_lo
	v_and_b32_e32 v0, 0xff, v113
	s_delay_alu instid0(VALU_DEP_1)
	v_cmpx_ne_u16_e32 0, v0
	s_cbranch_execz .LBB298_1071
; %bb.1064:                             ;   in Loop: Header=BB298_552 Depth=1
	v_bfrev_b32_e32 v12, 1
	s_mov_b32 s13, exec_lo
	v_cmpx_ne_u16_e32 0x80, v0
	s_cbranch_execz .LBB298_1070
; %bb.1065:                             ;   in Loop: Header=BB298_552 Depth=1
	v_bfe_u32 v114, v10, 16, 7
	v_mov_b32_e32 v12, 0x7fc02000
	s_mov_b32 s15, exec_lo
	s_delay_alu instid0(VALU_DEP_2)
	v_cmpx_ne_u32_e32 0x7f, v114
	s_cbranch_execz .LBB298_1069
; %bb.1066:                             ;   in Loop: Header=BB298_552 Depth=1
	v_and_b32_e32 v0, 7, v113
	v_lshrrev_b32_e32 v12, 3, v114
	s_mov_b32 s16, exec_lo
	v_cmpx_gt_u32_e32 8, v114
; %bb.1067:                             ;   in Loop: Header=BB298_552 Depth=1
	s_delay_alu instid0(VALU_DEP_3) | instskip(NEXT) | instid1(VALU_DEP_1)
	v_clz_i32_u32_e32 v12, v0
	v_min_u32_e32 v12, 32, v12
	s_delay_alu instid0(VALU_DEP_1) | instskip(SKIP_1) | instid1(VALU_DEP_2)
	v_subrev_nc_u32_e32 v114, 28, v12
	v_sub_nc_u32_e32 v12, 29, v12
	v_lshlrev_b64 v[114:115], v114, v[0:1]
	s_delay_alu instid0(VALU_DEP_1)
	v_and_b32_e32 v0, 7, v114
; %bb.1068:                             ;   in Loop: Header=BB298_552 Depth=1
	s_or_b32 exec_lo, exec_lo, s16
	v_lshlrev_b32_e32 v113, 8, v113
	v_lshl_add_u32 v12, v12, 10, 0x2000
	s_delay_alu instid0(VALU_DEP_1) | instskip(NEXT) | instid1(VALU_DEP_1)
	v_and_or_b32 v12, 0x8000, v113, v12
	v_lshl_or_b32 v0, v0, 7, v12
	s_delay_alu instid0(VALU_DEP_1)
	v_cvt_f32_f16_e32 v12, v0
.LBB298_1069:                           ;   in Loop: Header=BB298_552 Depth=1
	s_or_b32 exec_lo, exec_lo, s15
.LBB298_1070:                           ;   in Loop: Header=BB298_552 Depth=1
	s_delay_alu instid0(SALU_CYCLE_1)
	s_or_b32 exec_lo, exec_lo, s13
.LBB298_1071:                           ;   in Loop: Header=BB298_552 Depth=1
	s_delay_alu instid0(SALU_CYCLE_1) | instskip(NEXT) | instid1(SALU_CYCLE_1)
	s_or_b32 exec_lo, exec_lo, s12
	s_mov_b32 s12, exec_lo
	v_cmpx_lt_u64_e64 s[8:9], v[9:10]
	s_cbranch_execz .LBB298_1079
; %bb.1072:                             ;   in Loop: Header=BB298_552 Depth=1
	v_lshrrev_b32_e32 v9, 24, v10
	v_bfrev_b32_e32 v112, 1
	s_mov_b32 s13, exec_lo
	s_delay_alu instid0(VALU_DEP_2)
	v_cmpx_ne_u32_e32 0x80, v9
	s_cbranch_execz .LBB298_1078
; %bb.1073:                             ;   in Loop: Header=BB298_552 Depth=1
	v_and_b32_e32 v113, 0x7f, v9
	v_mov_b32_e32 v112, 0x7fc02000
	s_mov_b32 s15, exec_lo
	s_delay_alu instid0(VALU_DEP_2)
	v_cmpx_ne_u32_e32 0x7f, v113
	s_cbranch_execz .LBB298_1077
; %bb.1074:                             ;   in Loop: Header=BB298_552 Depth=1
	v_and_b32_e32 v0, 7, v9
	v_lshrrev_b32_e32 v10, 3, v113
	s_mov_b32 s16, exec_lo
	v_cmpx_gt_u32_e32 8, v113
; %bb.1075:                             ;   in Loop: Header=BB298_552 Depth=1
	s_delay_alu instid0(VALU_DEP_3) | instskip(NEXT) | instid1(VALU_DEP_1)
	v_clz_i32_u32_e32 v10, v0
	v_min_u32_e32 v10, 32, v10
	s_delay_alu instid0(VALU_DEP_1) | instskip(SKIP_1) | instid1(VALU_DEP_2)
	v_subrev_nc_u32_e32 v112, 28, v10
	v_sub_nc_u32_e32 v10, 29, v10
	v_lshlrev_b64 v[112:113], v112, v[0:1]
	s_delay_alu instid0(VALU_DEP_1)
	v_and_b32_e32 v0, 7, v112
; %bb.1076:                             ;   in Loop: Header=BB298_552 Depth=1
	s_or_b32 exec_lo, exec_lo, s16
	v_lshlrev_b32_e32 v9, 8, v9
	v_lshl_add_u32 v10, v10, 10, 0x2000
	s_delay_alu instid0(VALU_DEP_1) | instskip(NEXT) | instid1(VALU_DEP_1)
	v_and_or_b32 v9, 0x8000, v9, v10
	v_lshl_or_b32 v0, v0, 7, v9
	s_delay_alu instid0(VALU_DEP_1)
	v_cvt_f32_f16_e32 v112, v0
.LBB298_1077:                           ;   in Loop: Header=BB298_552 Depth=1
	s_or_b32 exec_lo, exec_lo, s15
.LBB298_1078:                           ;   in Loop: Header=BB298_552 Depth=1
	s_delay_alu instid0(SALU_CYCLE_1)
	s_or_b32 exec_lo, exec_lo, s13
.LBB298_1079:                           ;   in Loop: Header=BB298_552 Depth=1
	s_delay_alu instid0(SALU_CYCLE_1)
	s_or_b32 exec_lo, exec_lo, s12
	s_waitcnt vmcnt(0) lgkmcnt(0)
	v_fma_mixlo_f16 v10, v98, v100, 0
	v_fma_mixlo_f16 v0, v98, v102, 0
	v_fma_mixlo_f16 v9, v98, v101, 0
	v_fma_mixlo_f16 v101, v98, v11, 0
	v_fma_mixlo_f16 v102, v98, v112, 0
	v_lshlrev_b32_e32 v100, 16, v10
	v_fma_mixlo_f16 v10, v98, v99, 0
	v_fma_mixlo_f16 v99, v98, v103, 0
	;; [unrolled: 1-line block ×3, first 2 shown]
	v_lshlrev_b32_e32 v0, 16, v0
	v_and_b32_e32 v9, 0xffff, v9
	v_and_b32_e32 v12, 0xffff, v10
	v_lshlrev_b32_e32 v98, 16, v99
	v_and_b32_e32 v99, 0xffff, v101
	v_lshlrev_b32_e32 v101, 16, v102
	v_and_b32_e32 v102, 0xffff, v11
	v_or_b32_e32 v10, v0, v9
	v_or_b32_e32 v12, v100, v12
	;; [unrolled: 1-line block ×3, first 2 shown]
	s_delay_alu instid0(VALU_DEP_4)
	v_or_b32_e32 v9, v101, v102
	s_and_saveexec_b32 s0, vcc_lo
	s_cbranch_execz .LBB298_550
; %bb.1080:                             ;   in Loop: Header=BB298_552 Depth=1
	v_cmp_lt_i32_e32 vcc_lo, v23, v35
	v_lshrrev_b32_e32 v98, 16, v12
	v_lshrrev_b32_e32 v99, 16, v10
	;; [unrolled: 1-line block ×3, first 2 shown]
	v_cndmask_b32_e32 v12, 0, v12, vcc_lo
	v_cmp_lt_i32_e32 vcc_lo, v65, v51
	v_cndmask_b32_e32 v65, 0, v98, vcc_lo
	v_cmp_lt_i32_e32 vcc_lo, v64, v51
	v_lshrrev_b32_e32 v98, 16, v0
	s_delay_alu instid0(VALU_DEP_3)
	v_perm_b32 v12, v65, v12, 0x5040100
	v_cndmask_b32_e32 v64, 0, v99, vcc_lo
	v_cmp_lt_i32_e32 vcc_lo, v55, v35
	v_cndmask_b32_e32 v10, 0, v10, vcc_lo
	v_cmp_lt_i32_e32 vcc_lo, v54, v51
	;; [unrolled: 2-line block ×4, first 2 shown]
	s_delay_alu instid0(VALU_DEP_2) | instskip(SKIP_4) | instid1(VALU_DEP_2)
	v_perm_b32 v0, v54, v0, 0x5040100
	v_cndmask_b32_e32 v9, 0, v9, vcc_lo
	v_cmp_lt_i32_e32 vcc_lo, v18, v35
	v_cndmask_b32_e32 v11, 0, v11, vcc_lo
	v_perm_b32 v10, v64, v10, 0x5040100
	v_perm_b32 v9, v9, v11, 0x5040100
	s_branch .LBB298_550
.LBB298_1081:
	s_or_b32 exec_lo, exec_lo, s5
	s_load_b32 s0, s[6:7], 0x0
	s_waitcnt lgkmcnt(0)
	v_mov_b32_e32 v0, s0
.LBB298_1082:
	s_or_b32 exec_lo, exec_lo, s3
	v_and_b32_e32 v2, 0x3c0, v33
	s_delay_alu instid0(VALU_DEP_2)
	v_lshl_add_u32 v1, v39, 10, v0
	s_mov_b32 s0, exec_lo
	s_waitcnt_vscnt null, 0x0
	s_barrier
	buffer_gl0_inv
	v_cmpx_eq_u32_e32 64, v2
	s_cbranch_execz .LBB298_1084
; %bb.1083:
	v_add_nc_u32_e32 v2, 0xfffff800, v1
	v_or_b32_e32 v3, 0x180, v34
	v_or_b32_e32 v6, 0x380, v34
	s_delay_alu instid0(VALU_DEP_3) | instskip(NEXT) | instid1(VALU_DEP_3)
	v_lshl_add_u32 v7, v20, 2, v2
	v_add_nc_u32_e32 v3, v2, v3
	s_delay_alu instid0(VALU_DEP_3)
	v_add_nc_u32_e32 v2, v2, v6
	ds_store_2addr_b32 v7, v53, v32 offset1:32
	ds_store_b32 v3, v29
	ds_store_2addr_stride64_b32 v7, v31, v28 offset0:1 offset1:2
	ds_store_2addr_b32 v7, v24, v21 offset0:160 offset1:192
	ds_store_b32 v2, v25
.LBB298_1084:
	s_or_b32 exec_lo, exec_lo, s0
	v_lshl_add_u32 v2, v20, 2, v1
	s_mov_b32 s0, exec_lo
	s_waitcnt lgkmcnt(0)
	s_barrier
	buffer_gl0_inv
	v_cmpx_gt_u32_e32 64, v33
	s_cbranch_execz .LBB298_1086
; %bb.1085:
	v_or_b32_e32 v6, 0x180, v34
	v_or_b32_e32 v7, 0x280, v34
	;; [unrolled: 1-line block ×4, first 2 shown]
	s_delay_alu instid0(VALU_DEP_4) | instskip(NEXT) | instid1(VALU_DEP_4)
	v_add_nc_u32_e32 v10, v1, v6
	v_add_nc_u32_e32 v11, v1, v7
	ds_load_2addr_stride64_b32 v[6:7], v2 offset1:1
	v_add_nc_u32_e32 v3, v1, v3
	s_waitcnt lgkmcnt(0)
	v_dual_add_f32 v31, v31, v7 :: v_dual_add_nc_u32 v12, v1, v8
	ds_load_2addr_stride64_b32 v[8:9], v2 offset0:2 offset1:3
	ds_load_b32 v3, v3
	ds_load_b32 v10, v10
	;; [unrolled: 1-line block ×4, first 2 shown]
	s_waitcnt lgkmcnt(4)
	v_dual_add_f32 v53, v53, v6 :: v_dual_add_f32 v28, v28, v8
	s_waitcnt lgkmcnt(3)
	v_dual_add_f32 v32, v32, v3 :: v_dual_add_f32 v21, v21, v9
	;; [unrolled: 2-line block ×3, first 2 shown]
	s_waitcnt lgkmcnt(0)
	v_add_f32_e32 v25, v25, v12
.LBB298_1086:
	s_or_b32 exec_lo, exec_lo, s0
	v_and_b32_e32 v3, 0x3e0, v33
	s_mov_b32 s0, exec_lo
	s_barrier
	buffer_gl0_inv
	v_cmpx_eq_u32_e32 32, v3
	s_cbranch_execz .LBB298_1088
; %bb.1087:
	v_or_b32_e32 v3, 0x180, v34
	v_or_b32_e32 v6, 0x280, v34
	;; [unrolled: 1-line block ×3, first 2 shown]
	v_lshl_add_u32 v7, v20, 2, v0
	v_add_nc_u32_e32 v8, v0, v34
	v_add_nc_u32_e32 v3, v0, v3
	;; [unrolled: 1-line block ×4, first 2 shown]
	ds_store_b32 v7, v53
	ds_store_b32 v8, v32
	;; [unrolled: 1-line block ×4, first 2 shown]
	ds_store_2addr_stride64_b32 v7, v31, v28 offset0:1 offset1:2
	ds_store_b32 v7, v21 offset:768
	ds_store_b32 v0, v25
.LBB298_1088:
	s_or_b32 exec_lo, exec_lo, s0
	v_cmp_gt_u32_e32 vcc_lo, 32, v33
	s_waitcnt lgkmcnt(0)
	s_barrier
	buffer_gl0_inv
	s_and_saveexec_b32 s0, vcc_lo
	s_cbranch_execz .LBB298_1090
; %bb.1089:
	v_lshl_add_u32 v8, v33, 2, v1
	ds_load_b32 v9, v2
	ds_load_2addr_b32 v[0:1], v8 offset0:32 offset1:64
	ds_load_2addr_b32 v[2:3], v8 offset0:96 offset1:128
	;; [unrolled: 1-line block ×3, first 2 shown]
	ds_load_b32 v8, v8 offset:896
	s_waitcnt lgkmcnt(3)
	v_dual_add_f32 v53, v53, v9 :: v_dual_add_f32 v32, v32, v0
	s_waitcnt lgkmcnt(2)
	v_dual_add_f32 v31, v31, v1 :: v_dual_add_f32 v28, v28, v3
	v_add_f32_e32 v29, v29, v2
	s_waitcnt lgkmcnt(1)
	v_dual_add_f32 v24, v24, v6 :: v_dual_add_f32 v21, v21, v7
	s_waitcnt lgkmcnt(0)
	v_add_f32_e32 v25, v25, v8
.LBB298_1090:
	s_or_b32 exec_lo, exec_lo, s0
	s_barrier
	buffer_gl0_inv
	s_and_b32 exec_lo, exec_lo, vcc_lo
	s_cbranch_execz .LBB298_1092
; %bb.1091:
	s_lshl_b32 s0, s2, 8
	s_mul_i32 s2, s4, s1
	s_lshl_b32 s4, s14, 8
	s_ashr_i32 s3, s2, 31
	s_ashr_i32 s5, s4, 31
	;; [unrolled: 1-line block ×3, first 2 shown]
	s_lshl_b64 s[2:3], s[2:3], 1
	s_lshl_b64 s[4:5], s[4:5], 1
	;; [unrolled: 1-line block ×3, first 2 shown]
	s_add_u32 s2, s4, s2
	s_addc_u32 s3, s5, s3
	s_add_u32 s0, s2, s0
	s_addc_u32 s1, s3, s1
	v_lshlrev_b32_e32 v0, 1, v33
	v_add_co_u32 v1, vcc_lo, s0, v4
	v_add_co_ci_u32_e32 v2, vcc_lo, s1, v5, vcc_lo
	s_delay_alu instid0(VALU_DEP_2) | instskip(NEXT) | instid1(VALU_DEP_2)
	v_add_co_u32 v0, vcc_lo, v1, v0
	v_add_co_ci_u32_e32 v1, vcc_lo, 0, v2, vcc_lo
	;;#ASMSTART
	v_cvt_f16_f32 v2, v53;

	;;#ASMEND
	flat_store_b16 v[0:1], v2
	;;#ASMSTART
	v_cvt_f16_f32 v2, v32;

	;;#ASMEND
	flat_store_b16 v[0:1], v2 offset:64
	;;#ASMSTART
	v_cvt_f16_f32 v2, v31;

	;;#ASMEND
	flat_store_b16 v[0:1], v2 offset:128
	;; [unrolled: 5-line block ×7, first 2 shown]
.LBB298_1092:
	s_or_b32 exec_lo, exec_lo, s11
	s_clause 0xb
	scratch_load_b32 v59, off, s32 offset:8
	scratch_load_b32 v58, off, s32 offset:12
	;; [unrolled: 1-line block ×12, first 2 shown]
	s_waitcnt vmcnt(0) lgkmcnt(0)
	s_setpc_b64 s[30:31]
.Lfunc_end298:
	.size	_ZN4vllm22paged_attention_kernelIthLi256ELi8ELi128ELNS_18Fp8KVCacheDataTypeE1ELb1ELi512EEEvPfS2_PT_PKS3_PKT0_S9_ifPKiSB_iPKfiiiSD_SD_iiiii, .Lfunc_end298-_ZN4vllm22paged_attention_kernelIthLi256ELi8ELi128ELNS_18Fp8KVCacheDataTypeE1ELb1ELi512EEEvPfS2_PT_PKS3_PKT0_S9_ifPKiSB_iPKfiiiSD_SD_iiiii
                                        ; -- End function
	.section	.AMDGPU.csdata,"",@progbits
; Function info:
; codeLenInByte = 43444
; NumSgprs: 35
; NumVgprs: 184
; ScratchSize: 60
; MemoryBound: 0
	.section	.text._ZN4vllm25paged_attention_v2_kernelIthLi256ELi8ELi128ELNS_18Fp8KVCacheDataTypeE1ELb1ELi512EEEvPfS2_PT_PKS3_PKT0_S9_ifPKiSB_iPKfiiiSD_SD_iiiii,"axG",@progbits,_ZN4vllm25paged_attention_v2_kernelIthLi256ELi8ELi128ELNS_18Fp8KVCacheDataTypeE1ELb1ELi512EEEvPfS2_PT_PKS3_PKT0_S9_ifPKiSB_iPKfiiiSD_SD_iiiii,comdat
	.protected	_ZN4vllm25paged_attention_v2_kernelIthLi256ELi8ELi128ELNS_18Fp8KVCacheDataTypeE1ELb1ELi512EEEvPfS2_PT_PKS3_PKT0_S9_ifPKiSB_iPKfiiiSD_SD_iiiii ; -- Begin function _ZN4vllm25paged_attention_v2_kernelIthLi256ELi8ELi128ELNS_18Fp8KVCacheDataTypeE1ELb1ELi512EEEvPfS2_PT_PKS3_PKT0_S9_ifPKiSB_iPKfiiiSD_SD_iiiii
	.globl	_ZN4vllm25paged_attention_v2_kernelIthLi256ELi8ELi128ELNS_18Fp8KVCacheDataTypeE1ELb1ELi512EEEvPfS2_PT_PKS3_PKT0_S9_ifPKiSB_iPKfiiiSD_SD_iiiii
	.p2align	8
	.type	_ZN4vllm25paged_attention_v2_kernelIthLi256ELi8ELi128ELNS_18Fp8KVCacheDataTypeE1ELb1ELi512EEEvPfS2_PT_PKS3_PKT0_S9_ifPKiSB_iPKfiiiSD_SD_iiiii,@function
_ZN4vllm25paged_attention_v2_kernelIthLi256ELi8ELi128ELNS_18Fp8KVCacheDataTypeE1ELb1ELi512EEEvPfS2_PT_PKS3_PKT0_S9_ifPKiSB_iPKfiiiSD_SD_iiiii: ; @_ZN4vllm25paged_attention_v2_kernelIthLi256ELi8ELi128ELNS_18Fp8KVCacheDataTypeE1ELb1ELi512EEEvPfS2_PT_PKS3_PKT0_S9_ifPKiSB_iPKfiiiSD_SD_iiiii
; %bb.0:
	s_mov_b32 s12, s13
	s_clause 0x7
	s_load_b128 s[4:7], s[0:1], 0x78
	s_load_b32 s8, s[0:1], 0x88
	s_load_b256 s[24:31], s[0:1], 0x0
	s_load_b256 s[36:43], s[0:1], 0x20
	s_load_b64 s[2:3], s[0:1], 0x40
	s_load_b64 s[10:11], s[0:1], 0x50
	s_load_b32 s13, s[0:1], 0x48
	s_load_b256 s[16:23], s[0:1], 0x58
	s_mov_b32 s32, 0
	v_mov_b32_e32 v31, v0
	s_waitcnt lgkmcnt(0)
	v_dual_mov_b32 v1, s7 :: v_dual_mov_b32 v2, s8
	v_dual_mov_b32 v0, s24 :: v_dual_mov_b32 v3, s27
	;; [unrolled: 1-line block ×3, first 2 shown]
	v_mov_b32_e32 v6, s30
	scratch_store_b64 off, v[1:2], s32
	v_dual_mov_b32 v1, s25 :: v_dual_mov_b32 v2, s26
	v_dual_mov_b32 v7, s31 :: v_dual_mov_b32 v8, s36
	;; [unrolled: 1-line block ×13, first 2 shown]
	s_add_u32 s8, s0, 0x90
	s_addc_u32 s9, s1, 0
	s_mov_b32 s13, s14
	s_mov_b32 s14, s15
	s_movk_i32 s15, 0x6a
	s_getpc_b64 s[0:1]
	s_add_u32 s0, s0, _ZN4vllm22paged_attention_kernelIthLi256ELi8ELi128ELNS_18Fp8KVCacheDataTypeE1ELb1ELi512EEEvPfS2_PT_PKS3_PKT0_S9_ifPKiSB_iPKfiiiSD_SD_iiiii@rel32@lo+4
	s_addc_u32 s1, s1, _ZN4vllm22paged_attention_kernelIthLi256ELi8ELi128ELNS_18Fp8KVCacheDataTypeE1ELb1ELi512EEEvPfS2_PT_PKS3_PKT0_S9_ifPKiSB_iPKfiiiSD_SD_iiiii@rel32@hi+12
	s_delay_alu instid0(SALU_CYCLE_1)
	s_swappc_b64 s[30:31], s[0:1]
	s_endpgm
	.section	.rodata,"a",@progbits
	.p2align	6, 0x0
	.amdhsa_kernel _ZN4vllm25paged_attention_v2_kernelIthLi256ELi8ELi128ELNS_18Fp8KVCacheDataTypeE1ELb1ELi512EEEvPfS2_PT_PKS3_PKT0_S9_ifPKiSB_iPKfiiiSD_SD_iiiii
		.amdhsa_group_segment_fixed_size 544
		.amdhsa_private_segment_fixed_size 60
		.amdhsa_kernarg_size 400
		.amdhsa_user_sgpr_count 13
		.amdhsa_user_sgpr_dispatch_ptr 0
		.amdhsa_user_sgpr_queue_ptr 0
		.amdhsa_user_sgpr_kernarg_segment_ptr 1
		.amdhsa_user_sgpr_dispatch_id 0
		.amdhsa_user_sgpr_private_segment_size 0
		.amdhsa_wavefront_size32 1
		.amdhsa_uses_dynamic_stack 0
		.amdhsa_enable_private_segment 1
		.amdhsa_system_sgpr_workgroup_id_x 1
		.amdhsa_system_sgpr_workgroup_id_y 1
		.amdhsa_system_sgpr_workgroup_id_z 1
		.amdhsa_system_sgpr_workgroup_info 0
		.amdhsa_system_vgpr_workitem_id 0
		.amdhsa_next_free_vgpr 184
		.amdhsa_next_free_sgpr 44
		.amdhsa_reserve_vcc 1
		.amdhsa_float_round_mode_32 0
		.amdhsa_float_round_mode_16_64 0
		.amdhsa_float_denorm_mode_32 3
		.amdhsa_float_denorm_mode_16_64 3
		.amdhsa_dx10_clamp 1
		.amdhsa_ieee_mode 1
		.amdhsa_fp16_overflow 0
		.amdhsa_workgroup_processor_mode 1
		.amdhsa_memory_ordered 1
		.amdhsa_forward_progress 0
		.amdhsa_shared_vgpr_count 0
		.amdhsa_exception_fp_ieee_invalid_op 0
		.amdhsa_exception_fp_denorm_src 0
		.amdhsa_exception_fp_ieee_div_zero 0
		.amdhsa_exception_fp_ieee_overflow 0
		.amdhsa_exception_fp_ieee_underflow 0
		.amdhsa_exception_fp_ieee_inexact 0
		.amdhsa_exception_int_div_zero 0
	.end_amdhsa_kernel
	.section	.text._ZN4vllm25paged_attention_v2_kernelIthLi256ELi8ELi128ELNS_18Fp8KVCacheDataTypeE1ELb1ELi512EEEvPfS2_PT_PKS3_PKT0_S9_ifPKiSB_iPKfiiiSD_SD_iiiii,"axG",@progbits,_ZN4vllm25paged_attention_v2_kernelIthLi256ELi8ELi128ELNS_18Fp8KVCacheDataTypeE1ELb1ELi512EEEvPfS2_PT_PKS3_PKT0_S9_ifPKiSB_iPKfiiiSD_SD_iiiii,comdat
.Lfunc_end299:
	.size	_ZN4vllm25paged_attention_v2_kernelIthLi256ELi8ELi128ELNS_18Fp8KVCacheDataTypeE1ELb1ELi512EEEvPfS2_PT_PKS3_PKT0_S9_ifPKiSB_iPKfiiiSD_SD_iiiii, .Lfunc_end299-_ZN4vllm25paged_attention_v2_kernelIthLi256ELi8ELi128ELNS_18Fp8KVCacheDataTypeE1ELb1ELi512EEEvPfS2_PT_PKS3_PKT0_S9_ifPKiSB_iPKfiiiSD_SD_iiiii
                                        ; -- End function
	.section	.AMDGPU.csdata,"",@progbits
; Kernel info:
; codeLenInByte = 280
; NumSgprs: 46
; NumVgprs: 184
; ScratchSize: 60
; MemoryBound: 0
; FloatMode: 240
; IeeeMode: 1
; LDSByteSize: 544 bytes/workgroup (compile time only)
; SGPRBlocks: 5
; VGPRBlocks: 22
; NumSGPRsForWavesPerEU: 46
; NumVGPRsForWavesPerEU: 184
; Occupancy: 8
; WaveLimiterHint : 1
; COMPUTE_PGM_RSRC2:SCRATCH_EN: 1
; COMPUTE_PGM_RSRC2:USER_SGPR: 13
; COMPUTE_PGM_RSRC2:TRAP_HANDLER: 0
; COMPUTE_PGM_RSRC2:TGID_X_EN: 1
; COMPUTE_PGM_RSRC2:TGID_Y_EN: 1
; COMPUTE_PGM_RSRC2:TGID_Z_EN: 1
; COMPUTE_PGM_RSRC2:TIDIG_COMP_CNT: 0
	.section	.text._ZN4vllm25paged_attention_v2_kernelIthLi32ELi8ELi128ELNS_18Fp8KVCacheDataTypeE1ELb0ELi512EEEvPfS2_PT_PKS3_PKT0_S9_ifPKiSB_iPKfiiiSD_SD_iiiii,"axG",@progbits,_ZN4vllm25paged_attention_v2_kernelIthLi32ELi8ELi128ELNS_18Fp8KVCacheDataTypeE1ELb0ELi512EEEvPfS2_PT_PKS3_PKT0_S9_ifPKiSB_iPKfiiiSD_SD_iiiii,comdat
	.protected	_ZN4vllm25paged_attention_v2_kernelIthLi32ELi8ELi128ELNS_18Fp8KVCacheDataTypeE1ELb0ELi512EEEvPfS2_PT_PKS3_PKT0_S9_ifPKiSB_iPKfiiiSD_SD_iiiii ; -- Begin function _ZN4vllm25paged_attention_v2_kernelIthLi32ELi8ELi128ELNS_18Fp8KVCacheDataTypeE1ELb0ELi512EEEvPfS2_PT_PKS3_PKT0_S9_ifPKiSB_iPKfiiiSD_SD_iiiii
	.globl	_ZN4vllm25paged_attention_v2_kernelIthLi32ELi8ELi128ELNS_18Fp8KVCacheDataTypeE1ELb0ELi512EEEvPfS2_PT_PKS3_PKT0_S9_ifPKiSB_iPKfiiiSD_SD_iiiii
	.p2align	8
	.type	_ZN4vllm25paged_attention_v2_kernelIthLi32ELi8ELi128ELNS_18Fp8KVCacheDataTypeE1ELb0ELi512EEEvPfS2_PT_PKS3_PKT0_S9_ifPKiSB_iPKfiiiSD_SD_iiiii,@function
_ZN4vllm25paged_attention_v2_kernelIthLi32ELi8ELi128ELNS_18Fp8KVCacheDataTypeE1ELb0ELi512EEEvPfS2_PT_PKS3_PKT0_S9_ifPKiSB_iPKfiiiSD_SD_iiiii: ; @_ZN4vllm25paged_attention_v2_kernelIthLi32ELi8ELi128ELNS_18Fp8KVCacheDataTypeE1ELb0ELi512EEEvPfS2_PT_PKS3_PKT0_S9_ifPKiSB_iPKfiiiSD_SD_iiiii
; %bb.0:
	s_load_b64 s[2:3], s[0:1], 0x40
	s_mov_b32 s12, s15
	s_ashr_i32 s15, s14, 31
	s_delay_alu instid0(SALU_CYCLE_1)
	s_lshl_b64 s[4:5], s[14:15], 2
	s_waitcnt lgkmcnt(0)
	s_add_u32 s2, s2, s4
	s_addc_u32 s3, s3, s5
	s_lshl_b32 s33, s12, 9
	s_load_b32 s15, s[2:3], 0x0
	s_waitcnt lgkmcnt(0)
	s_cmp_ge_i32 s33, s15
	s_cbranch_scc1 .LBB300_170
; %bb.1:
	s_mov_b32 s24, s13
	s_clause 0x1
	s_load_b32 s13, s[0:1], 0x90
	s_load_b64 s[34:35], s[0:1], 0x30
	s_waitcnt lgkmcnt(0)
	s_abs_i32 s5, s13
	s_abs_i32 s2, s34
	s_delay_alu instid0(SALU_CYCLE_1) | instskip(SKIP_1) | instid1(VALU_DEP_1)
	v_cvt_f32_u32_e32 v1, s2
	s_sub_i32 s4, 0, s2
	v_rcp_iflag_f32_e32 v1, v1
	s_waitcnt_depctr 0xfff
	v_mul_f32_e32 v1, 0x4f7ffffe, v1
	s_delay_alu instid0(VALU_DEP_1) | instskip(NEXT) | instid1(VALU_DEP_1)
	v_cvt_u32_f32_e32 v1, v1
	v_readfirstlane_b32 s3, v1
	s_delay_alu instid0(VALU_DEP_1) | instskip(NEXT) | instid1(SALU_CYCLE_1)
	s_mul_i32 s4, s4, s3
	s_mul_hi_u32 s4, s3, s4
	s_delay_alu instid0(SALU_CYCLE_1)
	s_add_i32 s3, s3, s4
	s_xor_b32 s4, s13, s34
	s_mul_hi_u32 s3, s5, s3
	s_ashr_i32 s4, s4, 31
	s_mul_i32 s6, s3, s2
	s_mov_b32 s34, 0
	s_sub_i32 s5, s5, s6
	s_add_i32 s6, s3, 1
	s_sub_i32 s7, s5, s2
	s_cmp_ge_u32 s5, s2
	s_cselect_b32 s3, s6, s3
	s_cselect_b32 s5, s7, s5
	s_add_i32 s6, s3, 1
	s_cmp_ge_u32 s5, s2
	s_cselect_b32 s2, s6, s3
	s_delay_alu instid0(SALU_CYCLE_1) | instskip(NEXT) | instid1(SALU_CYCLE_1)
	s_xor_b32 s2, s2, s4
	s_sub_i32 s7, s2, s4
	s_load_b64 s[2:3], s[0:1], 0x50
	s_abs_i32 s4, s7
	s_delay_alu instid0(SALU_CYCLE_1) | instskip(SKIP_1) | instid1(VALU_DEP_1)
	v_cvt_f32_u32_e32 v1, s4
	s_sub_i32 s6, 0, s4
	v_rcp_iflag_f32_e32 v1, v1
	s_waitcnt_depctr 0xfff
	v_mul_f32_e32 v1, 0x4f7ffffe, v1
	s_delay_alu instid0(VALU_DEP_1) | instskip(NEXT) | instid1(VALU_DEP_1)
	v_cvt_u32_f32_e32 v1, v1
	v_readfirstlane_b32 s5, v1
	s_delay_alu instid0(VALU_DEP_1) | instskip(NEXT) | instid1(SALU_CYCLE_1)
	s_mul_i32 s6, s6, s5
	s_mul_hi_u32 s8, s5, s6
	s_abs_i32 s6, s24
	s_add_i32 s5, s5, s8
	s_waitcnt lgkmcnt(0)
	s_cmp_eq_u64 s[2:3], 0
	s_mul_hi_u32 s5, s6, s5
	s_cbranch_scc1 .LBB300_3
; %bb.2:
	s_ashr_i32 s25, s24, 31
	s_delay_alu instid0(SALU_CYCLE_1) | instskip(NEXT) | instid1(SALU_CYCLE_1)
	s_lshl_b64 s[8:9], s[24:25], 2
	s_add_u32 s2, s2, s8
	s_addc_u32 s3, s3, s9
	s_load_b32 s34, s[2:3], 0x0
.LBB300_3:
	s_load_b128 s[8:11], s[0:1], 0x58
	v_and_b32_e32 v3, 3, v0
	s_ashr_i32 s2, s24, 31
	s_ashr_i32 s3, s7, 31
	s_lshl_b32 s20, s24, 5
	s_mov_b32 s7, exec_lo
	v_cmpx_gt_u32_e32 16, v0
	s_cbranch_execz .LBB300_5
; %bb.4:
	s_load_b64 s[16:17], s[0:1], 0x18
	s_waitcnt lgkmcnt(0)
	s_mul_i32 s18, s14, s8
	v_lshlrev_b32_e32 v1, 2, v0
	s_ashr_i32 s19, s18, 31
	v_and_b32_e32 v2, 0x3fc, v0
	s_lshl_b64 s[18:19], s[18:19], 1
	s_delay_alu instid0(VALU_DEP_1) | instskip(SKIP_3) | instid1(SALU_CYCLE_1)
	v_lshl_add_u32 v2, v3, 4, v2
	s_add_u32 s8, s16, s18
	s_addc_u32 s11, s17, s19
	s_ashr_i32 s21, s20, 31
	s_lshl_b64 s[16:17], s[20:21], 1
	s_delay_alu instid0(SALU_CYCLE_1)
	s_add_u32 s16, s8, s16
	s_addc_u32 s17, s11, s17
	global_load_b32 v1, v1, s[16:17]
	s_waitcnt vmcnt(0)
	ds_store_b32 v2, v1
.LBB300_5:
	s_or_b32 exec_lo, exec_lo, s7
	s_add_i32 s7, s15, 7
	s_lshl_b32 s25, s12, 6
	s_waitcnt lgkmcnt(0)
	s_ashr_i32 s8, s7, 31
	s_xor_b32 s2, s2, s3
	s_lshr_b32 s8, s8, 29
	s_add_i32 s3, s25, 64
	s_add_i32 s7, s7, s8
	s_clause 0x1
	s_load_b64 s[26:27], s[0:1], 0x38
	s_load_b32 s8, s[0:1], 0x48
	s_ashr_i32 s21, s7, 3
	s_mul_i32 s7, s5, s4
	s_min_i32 s11, s3, s21
	s_sub_i32 s3, s6, s7
	s_add_i32 s6, s5, 1
	s_sub_i32 s7, s3, s4
	s_cmp_ge_u32 s3, s4
	v_lshrrev_b32_e32 v11, 5, v0
	s_cselect_b32 s5, s6, s5
	s_cselect_b32 s3, s7, s3
	s_add_i32 s6, s5, 1
	s_cmp_ge_u32 s3, s4
	v_or_b32_e32 v1, s25, v11
	s_cselect_b32 s3, s6, s5
	v_mbcnt_lo_u32_b32 v12, -1, 0
	s_xor_b32 s3, s3, s2
	s_mov_b32 s4, exec_lo
	s_sub_i32 s3, s3, s2
	v_cmp_gt_i32_e64 s2, s11, v1
	s_waitcnt lgkmcnt(0)
	s_mul_i32 s28, s14, s8
	s_delay_alu instid0(SALU_CYCLE_1)
	s_ashr_i32 s29, s28, 31
	s_barrier
	buffer_gl0_inv
                                        ; implicit-def: $sgpr37
                                        ; implicit-def: $vgpr13
	v_cmpx_le_i32_e64 s11, v1
	s_xor_b32 s4, exec_lo, s4
; %bb.6:
	v_mbcnt_lo_u32_b32 v12, -1, 0
	v_mov_b32_e32 v13, 32
	s_mov_b32 s37, 0xff7fffff
                                        ; implicit-def: $vgpr3
; %bb.7:
	s_or_saveexec_b32 s36, s4
	s_clause 0x4
	s_load_b128 s[16:19], s[0:1], 0x0
	s_load_b64 s[22:23], s[0:1], 0x10
	s_load_b32 s8, s[0:1], 0x98
	s_load_b64 s[30:31], s[0:1], 0x28
	s_load_b128 s[4:7], s[0:1], 0x68
	v_mov_b32_e32 v14, s37
	v_ashrrev_i32_e32 v2, 31, v1
	s_mul_i32 s10, s3, s10
	s_xor_b32 exec_lo, exec_lo, s36
	s_cbranch_execz .LBB300_77
; %bb.8:
	s_load_b64 s[38:39], s[0:1], 0x20
	v_bfe_u32 v5, v0, 2, 3
	v_dual_mov_b32 v4, 0 :: v_dual_lshlrev_b32 v15, 1, v3
	v_dual_mov_b32 v19, v1 :: v_dual_lshlrev_b32 v16, 4, v3
	s_delay_alu instid0(VALU_DEP_3)
	v_dual_mov_b32 v13, 32 :: v_dual_lshlrev_b32 v6, 2, v5
	v_cmp_eq_u32_e32 vcc_lo, 0, v3
	v_dual_mov_b32 v14, 0xff7fffff :: v_dual_lshlrev_b32 v3, 3, v11
	v_lshlrev_b32_e32 v9, 4, v5
	s_ashr_i32 s1, s10, 31
	v_lshl_or_b32 v6, v11, 5, v6
	v_lshlrev_b64 v[7:8], 2, v[1:2]
	v_add3_u32 v17, s33, v3, v5
	v_cmp_neq_f32_e64 s0, s34, 0
	s_delay_alu instid0(VALU_DEP_4)
	v_add_nc_u32_e32 v18, 0x60, v6
	s_waitcnt lgkmcnt(0)
	s_add_u32 s3, s38, s10
	s_addc_u32 s1, s39, s1
	s_lshl_b64 s[38:39], s[28:29], 2
	v_add_co_u32 v5, s3, s3, v9
	s_sub_i32 s37, 1, s15
	v_add_co_ci_u32_e64 v6, null, s1, 0, s3
	s_add_u32 s1, s26, s38
	s_addc_u32 s3, s27, s39
	v_add_co_u32 v7, s1, s1, v7
	s_delay_alu instid0(VALU_DEP_1)
	v_add_co_ci_u32_e64 v8, s1, s3, v8, s1
	s_mov_b32 s39, s9
	s_mov_b32 s38, 0
	s_branch .LBB300_10
.LBB300_9:                              ;   in Loop: Header=BB300_10 Depth=1
	s_or_b32 exec_lo, exec_lo, s3
	v_add_nc_u32_e32 v19, 4, v19
	v_add_co_u32 v7, s3, v7, 16
	v_add_nc_u32_e32 v17, 32, v17
	v_add_nc_u32_e32 v18, 0x80, v18
	s_delay_alu instid0(VALU_DEP_4) | instskip(SKIP_1) | instid1(VALU_DEP_2)
	v_cmp_le_i32_e64 s1, s11, v19
	v_add_co_ci_u32_e64 v8, s3, 0, v8, s3
	s_or_b32 s38, s1, s38
	s_delay_alu instid0(SALU_CYCLE_1)
	s_and_not1_b32 exec_lo, exec_lo, s38
	s_cbranch_execz .LBB300_76
.LBB300_10:                             ; =>This Inner Loop Header: Depth=1
	global_load_b32 v3, v[7:8], off
	s_waitcnt vmcnt(0) lgkmcnt(0)
	v_mad_i64_i32 v[9:10], null, v3, s39, v[5:6]
	s_delay_alu instid0(VALU_DEP_1) | instskip(NEXT) | instid1(VALU_DEP_1)
	v_add_co_u32 v9, s1, v9, v15
	v_add_co_ci_u32_e64 v10, s1, 0, v10, s1
	global_load_u16 v3, v[9:10], off
	global_load_b32 v20, v4, s[4:5]
	s_waitcnt vmcnt(1)
	v_and_b32_e32 v21, 0xff, v3
	v_and_b32_e32 v22, 0xffff, v3
	s_delay_alu instid0(VALU_DEP_2) | instskip(SKIP_1) | instid1(VALU_DEP_2)
	v_cmp_ne_u16_e64 s1, 0, v21
	v_mov_b32_e32 v21, 0
	s_and_saveexec_b32 s3, s1
	s_cbranch_execz .LBB300_18
; %bb.11:                               ;   in Loop: Header=BB300_10 Depth=1
	v_and_b32_e32 v3, 0xff, v22
	v_bfrev_b32_e32 v21, 1
	s_mov_b32 s40, exec_lo
	s_delay_alu instid0(VALU_DEP_2)
	v_cmpx_ne_u16_e32 0x80, v3
	s_cbranch_execz .LBB300_17
; %bb.12:                               ;   in Loop: Header=BB300_10 Depth=1
	v_and_b32_e32 v23, 0x7f, v22
	v_mov_b32_e32 v21, 0x7fc02000
	s_mov_b32 s41, exec_lo
	s_delay_alu instid0(VALU_DEP_2)
	v_cmpx_ne_u32_e32 0x7f, v23
	s_cbranch_execz .LBB300_16
; %bb.13:                               ;   in Loop: Header=BB300_10 Depth=1
	v_and_b32_e32 v3, 7, v22
	v_lshrrev_b32_e32 v21, 3, v23
	s_mov_b32 s42, exec_lo
	v_cmpx_gt_u32_e32 8, v23
; %bb.14:                               ;   in Loop: Header=BB300_10 Depth=1
	s_delay_alu instid0(VALU_DEP_3) | instskip(NEXT) | instid1(VALU_DEP_1)
	v_clz_i32_u32_e32 v21, v3
	v_min_u32_e32 v21, 32, v21
	s_delay_alu instid0(VALU_DEP_1) | instskip(SKIP_1) | instid1(VALU_DEP_2)
	v_subrev_nc_u32_e32 v23, 28, v21
	v_sub_nc_u32_e32 v21, 29, v21
	v_lshlrev_b64 v[23:24], v23, v[3:4]
	s_delay_alu instid0(VALU_DEP_1)
	v_and_b32_e32 v3, 7, v23
; %bb.15:                               ;   in Loop: Header=BB300_10 Depth=1
	s_or_b32 exec_lo, exec_lo, s42
	v_lshlrev_b32_e32 v23, 8, v22
	v_lshl_add_u32 v21, v21, 10, 0x2000
	s_delay_alu instid0(VALU_DEP_1) | instskip(NEXT) | instid1(VALU_DEP_1)
	v_and_or_b32 v21, 0x8000, v23, v21
	v_lshl_or_b32 v3, v3, 7, v21
	s_delay_alu instid0(VALU_DEP_1)
	v_cvt_f32_f16_e32 v21, v3
.LBB300_16:                             ;   in Loop: Header=BB300_10 Depth=1
	s_or_b32 exec_lo, exec_lo, s41
.LBB300_17:                             ;   in Loop: Header=BB300_10 Depth=1
	s_delay_alu instid0(SALU_CYCLE_1)
	s_or_b32 exec_lo, exec_lo, s40
.LBB300_18:                             ;   in Loop: Header=BB300_10 Depth=1
	s_delay_alu instid0(SALU_CYCLE_1) | instskip(SKIP_3) | instid1(VALU_DEP_2)
	s_or_b32 exec_lo, exec_lo, s3
	v_lshrrev_b16 v3, 8, v22
	v_dual_mov_b32 v22, 0 :: v_dual_mov_b32 v23, 0
	s_mov_b32 s3, exec_lo
	v_cmpx_ne_u16_e32 0, v3
	s_cbranch_execz .LBB300_26
; %bb.19:                               ;   in Loop: Header=BB300_10 Depth=1
	v_bfrev_b32_e32 v23, 1
	s_mov_b32 s40, exec_lo
	v_cmpx_ne_u16_e32 0x80, v3
	s_cbranch_execz .LBB300_25
; %bb.20:                               ;   in Loop: Header=BB300_10 Depth=1
	v_and_b32_e32 v24, 0xffff, v3
	v_mov_b32_e32 v23, 0x7fc02000
	s_mov_b32 s41, exec_lo
	s_delay_alu instid0(VALU_DEP_2) | instskip(NEXT) | instid1(VALU_DEP_1)
	v_and_b32_e32 v25, 0x7f, v24
	v_cmpx_ne_u32_e32 0x7f, v25
	s_cbranch_execz .LBB300_24
; %bb.21:                               ;   in Loop: Header=BB300_10 Depth=1
	v_and_b32_e32 v3, 7, v24
	v_lshrrev_b32_e32 v23, 3, v25
	s_mov_b32 s42, exec_lo
	v_cmpx_gt_u32_e32 8, v25
; %bb.22:                               ;   in Loop: Header=BB300_10 Depth=1
	s_delay_alu instid0(VALU_DEP_3) | instskip(NEXT) | instid1(VALU_DEP_1)
	v_clz_i32_u32_e32 v23, v3
	v_min_u32_e32 v23, 32, v23
	s_delay_alu instid0(VALU_DEP_1) | instskip(SKIP_1) | instid1(VALU_DEP_2)
	v_subrev_nc_u32_e32 v25, 28, v23
	v_sub_nc_u32_e32 v23, 29, v23
	v_lshlrev_b64 v[25:26], v25, v[3:4]
	s_delay_alu instid0(VALU_DEP_1)
	v_and_b32_e32 v3, 7, v25
; %bb.23:                               ;   in Loop: Header=BB300_10 Depth=1
	s_or_b32 exec_lo, exec_lo, s42
	v_lshlrev_b32_e32 v24, 8, v24
	v_lshl_add_u32 v23, v23, 10, 0x2000
	s_delay_alu instid0(VALU_DEP_1) | instskip(NEXT) | instid1(VALU_DEP_1)
	v_and_or_b32 v23, 0x8000, v24, v23
	v_lshl_or_b32 v3, v3, 7, v23
	s_delay_alu instid0(VALU_DEP_1)
	v_cvt_f32_f16_e32 v23, v3
.LBB300_24:                             ;   in Loop: Header=BB300_10 Depth=1
	s_or_b32 exec_lo, exec_lo, s41
.LBB300_25:                             ;   in Loop: Header=BB300_10 Depth=1
	s_delay_alu instid0(SALU_CYCLE_1)
	s_or_b32 exec_lo, exec_lo, s40
.LBB300_26:                             ;   in Loop: Header=BB300_10 Depth=1
	s_delay_alu instid0(SALU_CYCLE_1)
	s_or_b32 exec_lo, exec_lo, s3
	global_load_u16 v3, v[9:10], off offset:8
	s_mov_b32 s3, exec_lo
	s_waitcnt vmcnt(0)
	v_and_b32_e32 v25, 0xff, v3
	v_and_b32_e32 v24, 0xffff, v3
	s_delay_alu instid0(VALU_DEP_2)
	v_cmpx_ne_u16_e32 0, v25
	s_cbranch_execz .LBB300_34
; %bb.27:                               ;   in Loop: Header=BB300_10 Depth=1
	s_delay_alu instid0(VALU_DEP_2) | instskip(SKIP_2) | instid1(VALU_DEP_2)
	v_and_b32_e32 v3, 0xff, v24
	v_bfrev_b32_e32 v22, 1
	s_mov_b32 s40, exec_lo
	v_cmpx_ne_u16_e32 0x80, v3
	s_cbranch_execz .LBB300_33
; %bb.28:                               ;   in Loop: Header=BB300_10 Depth=1
	v_and_b32_e32 v25, 0x7f, v24
	v_mov_b32_e32 v22, 0x7fc02000
	s_mov_b32 s41, exec_lo
	s_delay_alu instid0(VALU_DEP_2)
	v_cmpx_ne_u32_e32 0x7f, v25
	s_cbranch_execz .LBB300_32
; %bb.29:                               ;   in Loop: Header=BB300_10 Depth=1
	v_and_b32_e32 v3, 7, v24
	v_lshrrev_b32_e32 v22, 3, v25
	s_mov_b32 s42, exec_lo
	v_cmpx_gt_u32_e32 8, v25
; %bb.30:                               ;   in Loop: Header=BB300_10 Depth=1
	s_delay_alu instid0(VALU_DEP_3) | instskip(NEXT) | instid1(VALU_DEP_1)
	v_clz_i32_u32_e32 v22, v3
	v_min_u32_e32 v22, 32, v22
	s_delay_alu instid0(VALU_DEP_1) | instskip(SKIP_1) | instid1(VALU_DEP_2)
	v_subrev_nc_u32_e32 v25, 28, v22
	v_sub_nc_u32_e32 v22, 29, v22
	v_lshlrev_b64 v[25:26], v25, v[3:4]
	s_delay_alu instid0(VALU_DEP_1)
	v_and_b32_e32 v3, 7, v25
; %bb.31:                               ;   in Loop: Header=BB300_10 Depth=1
	s_or_b32 exec_lo, exec_lo, s42
	v_lshlrev_b32_e32 v25, 8, v24
	v_lshl_add_u32 v22, v22, 10, 0x2000
	s_delay_alu instid0(VALU_DEP_1) | instskip(NEXT) | instid1(VALU_DEP_1)
	v_and_or_b32 v22, 0x8000, v25, v22
	v_lshl_or_b32 v3, v3, 7, v22
	s_delay_alu instid0(VALU_DEP_1)
	v_cvt_f32_f16_e32 v22, v3
.LBB300_32:                             ;   in Loop: Header=BB300_10 Depth=1
	s_or_b32 exec_lo, exec_lo, s41
.LBB300_33:                             ;   in Loop: Header=BB300_10 Depth=1
	s_delay_alu instid0(SALU_CYCLE_1)
	s_or_b32 exec_lo, exec_lo, s40
.LBB300_34:                             ;   in Loop: Header=BB300_10 Depth=1
	s_delay_alu instid0(SALU_CYCLE_1) | instskip(NEXT) | instid1(VALU_DEP_2)
	s_or_b32 exec_lo, exec_lo, s3
	v_lshrrev_b16 v3, 8, v24
	v_dual_mov_b32 v24, 0 :: v_dual_mov_b32 v25, 0
	s_mov_b32 s3, exec_lo
	s_delay_alu instid0(VALU_DEP_2)
	v_cmpx_ne_u16_e32 0, v3
	s_cbranch_execz .LBB300_42
; %bb.35:                               ;   in Loop: Header=BB300_10 Depth=1
	v_bfrev_b32_e32 v25, 1
	s_mov_b32 s40, exec_lo
	v_cmpx_ne_u16_e32 0x80, v3
	s_cbranch_execz .LBB300_41
; %bb.36:                               ;   in Loop: Header=BB300_10 Depth=1
	v_and_b32_e32 v26, 0xffff, v3
	v_mov_b32_e32 v25, 0x7fc02000
	s_mov_b32 s41, exec_lo
	s_delay_alu instid0(VALU_DEP_2) | instskip(NEXT) | instid1(VALU_DEP_1)
	v_and_b32_e32 v27, 0x7f, v26
	v_cmpx_ne_u32_e32 0x7f, v27
	s_cbranch_execz .LBB300_40
; %bb.37:                               ;   in Loop: Header=BB300_10 Depth=1
	v_and_b32_e32 v3, 7, v26
	v_lshrrev_b32_e32 v25, 3, v27
	s_mov_b32 s42, exec_lo
	v_cmpx_gt_u32_e32 8, v27
; %bb.38:                               ;   in Loop: Header=BB300_10 Depth=1
	s_delay_alu instid0(VALU_DEP_3) | instskip(NEXT) | instid1(VALU_DEP_1)
	v_clz_i32_u32_e32 v25, v3
	v_min_u32_e32 v25, 32, v25
	s_delay_alu instid0(VALU_DEP_1) | instskip(SKIP_1) | instid1(VALU_DEP_2)
	v_subrev_nc_u32_e32 v27, 28, v25
	v_sub_nc_u32_e32 v25, 29, v25
	v_lshlrev_b64 v[27:28], v27, v[3:4]
	s_delay_alu instid0(VALU_DEP_1)
	v_and_b32_e32 v3, 7, v27
; %bb.39:                               ;   in Loop: Header=BB300_10 Depth=1
	s_or_b32 exec_lo, exec_lo, s42
	v_lshlrev_b32_e32 v26, 8, v26
	v_lshl_add_u32 v25, v25, 10, 0x2000
	s_delay_alu instid0(VALU_DEP_1) | instskip(NEXT) | instid1(VALU_DEP_1)
	v_and_or_b32 v25, 0x8000, v26, v25
	v_lshl_or_b32 v3, v3, 7, v25
	s_delay_alu instid0(VALU_DEP_1)
	v_cvt_f32_f16_e32 v25, v3
.LBB300_40:                             ;   in Loop: Header=BB300_10 Depth=1
	s_or_b32 exec_lo, exec_lo, s41
.LBB300_41:                             ;   in Loop: Header=BB300_10 Depth=1
	s_delay_alu instid0(SALU_CYCLE_1)
	s_or_b32 exec_lo, exec_lo, s40
.LBB300_42:                             ;   in Loop: Header=BB300_10 Depth=1
	s_delay_alu instid0(SALU_CYCLE_1)
	s_or_b32 exec_lo, exec_lo, s3
	global_load_u16 v3, v[9:10], off offset:128
	s_mov_b32 s3, exec_lo
	s_waitcnt vmcnt(0)
	v_and_b32_e32 v27, 0xff, v3
	v_and_b32_e32 v26, 0xffff, v3
	s_delay_alu instid0(VALU_DEP_2)
	v_cmpx_ne_u16_e32 0, v27
	s_cbranch_execz .LBB300_50
; %bb.43:                               ;   in Loop: Header=BB300_10 Depth=1
	s_delay_alu instid0(VALU_DEP_2) | instskip(SKIP_2) | instid1(VALU_DEP_2)
	v_and_b32_e32 v3, 0xff, v26
	v_bfrev_b32_e32 v24, 1
	s_mov_b32 s40, exec_lo
	v_cmpx_ne_u16_e32 0x80, v3
	s_cbranch_execz .LBB300_49
; %bb.44:                               ;   in Loop: Header=BB300_10 Depth=1
	v_and_b32_e32 v27, 0x7f, v26
	v_mov_b32_e32 v24, 0x7fc02000
	s_mov_b32 s41, exec_lo
	s_delay_alu instid0(VALU_DEP_2)
	v_cmpx_ne_u32_e32 0x7f, v27
	s_cbranch_execz .LBB300_48
; %bb.45:                               ;   in Loop: Header=BB300_10 Depth=1
	v_and_b32_e32 v3, 7, v26
	v_lshrrev_b32_e32 v24, 3, v27
	s_mov_b32 s42, exec_lo
	v_cmpx_gt_u32_e32 8, v27
; %bb.46:                               ;   in Loop: Header=BB300_10 Depth=1
	s_delay_alu instid0(VALU_DEP_3) | instskip(NEXT) | instid1(VALU_DEP_1)
	v_clz_i32_u32_e32 v24, v3
	v_min_u32_e32 v24, 32, v24
	s_delay_alu instid0(VALU_DEP_1) | instskip(SKIP_1) | instid1(VALU_DEP_2)
	v_subrev_nc_u32_e32 v27, 28, v24
	v_sub_nc_u32_e32 v24, 29, v24
	v_lshlrev_b64 v[27:28], v27, v[3:4]
	s_delay_alu instid0(VALU_DEP_1)
	v_and_b32_e32 v3, 7, v27
; %bb.47:                               ;   in Loop: Header=BB300_10 Depth=1
	s_or_b32 exec_lo, exec_lo, s42
	v_lshlrev_b32_e32 v27, 8, v26
	v_lshl_add_u32 v24, v24, 10, 0x2000
	s_delay_alu instid0(VALU_DEP_1) | instskip(NEXT) | instid1(VALU_DEP_1)
	v_and_or_b32 v24, 0x8000, v27, v24
	v_lshl_or_b32 v3, v3, 7, v24
	s_delay_alu instid0(VALU_DEP_1)
	v_cvt_f32_f16_e32 v24, v3
.LBB300_48:                             ;   in Loop: Header=BB300_10 Depth=1
	s_or_b32 exec_lo, exec_lo, s41
.LBB300_49:                             ;   in Loop: Header=BB300_10 Depth=1
	s_delay_alu instid0(SALU_CYCLE_1)
	s_or_b32 exec_lo, exec_lo, s40
.LBB300_50:                             ;   in Loop: Header=BB300_10 Depth=1
	s_delay_alu instid0(SALU_CYCLE_1) | instskip(NEXT) | instid1(VALU_DEP_2)
	s_or_b32 exec_lo, exec_lo, s3
	v_lshrrev_b16 v3, 8, v26
	v_dual_mov_b32 v26, 0 :: v_dual_mov_b32 v27, 0
	s_mov_b32 s3, exec_lo
	s_delay_alu instid0(VALU_DEP_2)
	v_cmpx_ne_u16_e32 0, v3
	s_cbranch_execz .LBB300_58
; %bb.51:                               ;   in Loop: Header=BB300_10 Depth=1
	v_bfrev_b32_e32 v27, 1
	s_mov_b32 s40, exec_lo
	v_cmpx_ne_u16_e32 0x80, v3
	s_cbranch_execz .LBB300_57
; %bb.52:                               ;   in Loop: Header=BB300_10 Depth=1
	v_and_b32_e32 v28, 0xffff, v3
	v_mov_b32_e32 v27, 0x7fc02000
	s_mov_b32 s41, exec_lo
	s_delay_alu instid0(VALU_DEP_2) | instskip(NEXT) | instid1(VALU_DEP_1)
	v_and_b32_e32 v29, 0x7f, v28
	v_cmpx_ne_u32_e32 0x7f, v29
	s_cbranch_execz .LBB300_56
; %bb.53:                               ;   in Loop: Header=BB300_10 Depth=1
	v_and_b32_e32 v3, 7, v28
	v_lshrrev_b32_e32 v27, 3, v29
	s_mov_b32 s42, exec_lo
	v_cmpx_gt_u32_e32 8, v29
; %bb.54:                               ;   in Loop: Header=BB300_10 Depth=1
	s_delay_alu instid0(VALU_DEP_3) | instskip(NEXT) | instid1(VALU_DEP_1)
	v_clz_i32_u32_e32 v27, v3
	v_min_u32_e32 v27, 32, v27
	s_delay_alu instid0(VALU_DEP_1) | instskip(SKIP_1) | instid1(VALU_DEP_2)
	v_subrev_nc_u32_e32 v29, 28, v27
	v_sub_nc_u32_e32 v27, 29, v27
	v_lshlrev_b64 v[29:30], v29, v[3:4]
	s_delay_alu instid0(VALU_DEP_1)
	v_and_b32_e32 v3, 7, v29
; %bb.55:                               ;   in Loop: Header=BB300_10 Depth=1
	s_or_b32 exec_lo, exec_lo, s42
	v_lshlrev_b32_e32 v28, 8, v28
	v_lshl_add_u32 v27, v27, 10, 0x2000
	s_delay_alu instid0(VALU_DEP_1) | instskip(NEXT) | instid1(VALU_DEP_1)
	v_and_or_b32 v27, 0x8000, v28, v27
	v_lshl_or_b32 v3, v3, 7, v27
	s_delay_alu instid0(VALU_DEP_1)
	v_cvt_f32_f16_e32 v27, v3
.LBB300_56:                             ;   in Loop: Header=BB300_10 Depth=1
	s_or_b32 exec_lo, exec_lo, s41
.LBB300_57:                             ;   in Loop: Header=BB300_10 Depth=1
	s_delay_alu instid0(SALU_CYCLE_1)
	s_or_b32 exec_lo, exec_lo, s40
.LBB300_58:                             ;   in Loop: Header=BB300_10 Depth=1
	s_delay_alu instid0(SALU_CYCLE_1)
	s_or_b32 exec_lo, exec_lo, s3
	global_load_u16 v3, v[9:10], off offset:136
	s_mov_b32 s3, exec_lo
	s_waitcnt vmcnt(0)
	v_and_b32_e32 v10, 0xff, v3
	v_and_b32_e32 v9, 0xffff, v3
	s_delay_alu instid0(VALU_DEP_2)
	v_cmpx_ne_u16_e32 0, v10
	s_cbranch_execz .LBB300_66
; %bb.59:                               ;   in Loop: Header=BB300_10 Depth=1
	s_delay_alu instid0(VALU_DEP_2) | instskip(SKIP_2) | instid1(VALU_DEP_2)
	v_and_b32_e32 v3, 0xff, v9
	v_bfrev_b32_e32 v26, 1
	s_mov_b32 s40, exec_lo
	v_cmpx_ne_u16_e32 0x80, v3
	s_cbranch_execz .LBB300_65
; %bb.60:                               ;   in Loop: Header=BB300_10 Depth=1
	v_and_b32_e32 v28, 0x7f, v9
	v_mov_b32_e32 v26, 0x7fc02000
	s_mov_b32 s41, exec_lo
	s_delay_alu instid0(VALU_DEP_2)
	v_cmpx_ne_u32_e32 0x7f, v28
	s_cbranch_execz .LBB300_64
; %bb.61:                               ;   in Loop: Header=BB300_10 Depth=1
	v_and_b32_e32 v3, 7, v9
	v_lshrrev_b32_e32 v10, 3, v28
	s_mov_b32 s42, exec_lo
	v_cmpx_gt_u32_e32 8, v28
; %bb.62:                               ;   in Loop: Header=BB300_10 Depth=1
	s_delay_alu instid0(VALU_DEP_3) | instskip(NEXT) | instid1(VALU_DEP_1)
	v_clz_i32_u32_e32 v10, v3
	v_min_u32_e32 v10, 32, v10
	s_delay_alu instid0(VALU_DEP_1) | instskip(SKIP_1) | instid1(VALU_DEP_2)
	v_subrev_nc_u32_e32 v26, 28, v10
	v_sub_nc_u32_e32 v10, 29, v10
	v_lshlrev_b64 v[28:29], v26, v[3:4]
	s_delay_alu instid0(VALU_DEP_1)
	v_and_b32_e32 v3, 7, v28
; %bb.63:                               ;   in Loop: Header=BB300_10 Depth=1
	s_or_b32 exec_lo, exec_lo, s42
	v_lshlrev_b32_e32 v26, 8, v9
	v_lshl_add_u32 v10, v10, 10, 0x2000
	s_delay_alu instid0(VALU_DEP_1) | instskip(NEXT) | instid1(VALU_DEP_1)
	v_and_or_b32 v10, 0x8000, v26, v10
	v_lshl_or_b32 v3, v3, 7, v10
	s_delay_alu instid0(VALU_DEP_1)
	v_cvt_f32_f16_e32 v26, v3
.LBB300_64:                             ;   in Loop: Header=BB300_10 Depth=1
	s_or_b32 exec_lo, exec_lo, s41
.LBB300_65:                             ;   in Loop: Header=BB300_10 Depth=1
	s_delay_alu instid0(SALU_CYCLE_1)
	s_or_b32 exec_lo, exec_lo, s40
.LBB300_66:                             ;   in Loop: Header=BB300_10 Depth=1
	s_delay_alu instid0(SALU_CYCLE_1) | instskip(NEXT) | instid1(VALU_DEP_2)
	s_or_b32 exec_lo, exec_lo, s3
	v_lshrrev_b16 v9, 8, v9
	v_mov_b32_e32 v3, 0
	s_mov_b32 s3, exec_lo
	s_delay_alu instid0(VALU_DEP_2)
	v_cmpx_ne_u16_e32 0, v9
	s_cbranch_execz .LBB300_74
; %bb.67:                               ;   in Loop: Header=BB300_10 Depth=1
	v_bfrev_b32_e32 v3, 1
	s_mov_b32 s40, exec_lo
	v_cmpx_ne_u16_e32 0x80, v9
	s_cbranch_execz .LBB300_73
; %bb.68:                               ;   in Loop: Header=BB300_10 Depth=1
	v_and_b32_e32 v9, 0xffff, v9
	v_mov_b32_e32 v3, 0x7fc02000
	s_mov_b32 s41, exec_lo
	s_delay_alu instid0(VALU_DEP_2) | instskip(NEXT) | instid1(VALU_DEP_1)
	v_and_b32_e32 v28, 0x7f, v9
	v_cmpx_ne_u32_e32 0x7f, v28
	s_cbranch_execz .LBB300_72
; %bb.69:                               ;   in Loop: Header=BB300_10 Depth=1
	v_and_b32_e32 v3, 7, v9
	v_lshrrev_b32_e32 v10, 3, v28
	s_mov_b32 s42, exec_lo
	v_cmpx_gt_u32_e32 8, v28
; %bb.70:                               ;   in Loop: Header=BB300_10 Depth=1
	s_delay_alu instid0(VALU_DEP_3) | instskip(NEXT) | instid1(VALU_DEP_1)
	v_clz_i32_u32_e32 v10, v3
	v_min_u32_e32 v10, 32, v10
	s_delay_alu instid0(VALU_DEP_1) | instskip(SKIP_1) | instid1(VALU_DEP_2)
	v_subrev_nc_u32_e32 v28, 28, v10
	v_sub_nc_u32_e32 v10, 29, v10
	v_lshlrev_b64 v[28:29], v28, v[3:4]
	s_delay_alu instid0(VALU_DEP_1)
	v_and_b32_e32 v3, 7, v28
; %bb.71:                               ;   in Loop: Header=BB300_10 Depth=1
	s_or_b32 exec_lo, exec_lo, s42
	v_lshlrev_b32_e32 v9, 8, v9
	v_lshl_add_u32 v10, v10, 10, 0x2000
	s_delay_alu instid0(VALU_DEP_1) | instskip(NEXT) | instid1(VALU_DEP_1)
	v_and_or_b32 v9, 0x8000, v9, v10
	v_lshl_or_b32 v3, v3, 7, v9
	s_delay_alu instid0(VALU_DEP_1)
	v_cvt_f32_f16_e32 v3, v3
.LBB300_72:                             ;   in Loop: Header=BB300_10 Depth=1
	s_or_b32 exec_lo, exec_lo, s41
.LBB300_73:                             ;   in Loop: Header=BB300_10 Depth=1
	s_delay_alu instid0(SALU_CYCLE_1)
	s_or_b32 exec_lo, exec_lo, s40
.LBB300_74:                             ;   in Loop: Header=BB300_10 Depth=1
	s_delay_alu instid0(SALU_CYCLE_1)
	s_or_b32 exec_lo, exec_lo, s3
	ds_load_b32 v9, v16
	v_fma_mixlo_f16 v10, v20, v21, 0
	v_fma_mixlo_f16 v21, v20, v23, 0
	;; [unrolled: 1-line block ×5, first 2 shown]
	v_and_b32_e32 v10, 0xffff, v10
	v_fma_mixlo_f16 v27, v20, v27, 0
	v_and_b32_e32 v22, 0xffff, v22
	v_fma_mixlo_f16 v26, v20, v26, 0
	v_fma_mixlo_f16 v3, v20, v3, 0
	v_and_b32_e32 v24, 0xffff, v24
	v_and_b32_e32 v27, 0xffff, v27
	s_delay_alu instid0(VALU_DEP_4) | instskip(NEXT) | instid1(VALU_DEP_4)
	v_and_b32_e32 v26, 0xffff, v26
	v_and_b32_e32 v3, 0xffff, v3
	s_waitcnt lgkmcnt(0)
	v_and_b32_e32 v23, 0xffff, v9
	v_lshrrev_b32_e32 v9, 16, v9
	;;#ASMSTART
	v_cvt_f32_f16 v23, v23;
	;;#ASMEND
	;;#ASMSTART
	v_cvt_f32_f16 v9, v9;
	;;#ASMEND
	;; [unrolled: 3-line block ×3, first 2 shown]
	v_and_b32_e32 v21, 0xffff, v21
	;;#ASMSTART
	v_cvt_f32_f16 v21, v21;
	;;#ASMEND
	ds_load_b32 v28, v16 offset:4
	s_waitcnt lgkmcnt(0)
	v_and_b32_e32 v29, 0xffff, v28
	v_lshrrev_b32_e32 v28, 16, v28
	;;#ASMSTART
	v_cvt_f32_f16 v29, v29;
	;;#ASMEND
	;;#ASMSTART
	v_cvt_f32_f16 v28, v28;
	;;#ASMEND
	;; [unrolled: 3-line block ×3, first 2 shown]
	v_mul_f32_e32 v20, v29, v22
	s_delay_alu instid0(VALU_DEP_1) | instskip(SKIP_4) | instid1(VALU_DEP_2)
	v_dual_fmac_f32 v20, v23, v10 :: v_dual_and_b32 v25, 0xffff, v25
	;;#ASMSTART
	v_cvt_f32_f16 v25, v25;
	;;#ASMEND
	ds_load_b32 v30, v16 offset:8
	v_mul_f32_e32 v22, v28, v25
	v_xor_b32_e32 v25, 2, v12
	v_fmac_f32_e32 v22, v9, v21
	s_delay_alu instid0(VALU_DEP_2) | instskip(NEXT) | instid1(VALU_DEP_1)
	v_cmp_gt_i32_e64 s1, 32, v25
	v_cndmask_b32_e64 v21, v12, v25, s1
	s_waitcnt lgkmcnt(0)
	v_and_b32_e32 v31, 0xffff, v30
	v_lshrrev_b32_e32 v30, 16, v30
	;;#ASMSTART
	v_cvt_f32_f16 v31, v31;
	;;#ASMEND
	;;#ASMSTART
	v_cvt_f32_f16 v30, v30;
	;;#ASMEND
	;; [unrolled: 3-line block ×4, first 2 shown]
	ds_load_b32 v32, v16 offset:12
	v_fmac_f32_e32 v20, v31, v24
	v_fmac_f32_e32 v22, v30, v27
	s_waitcnt lgkmcnt(0)
	v_lshrrev_b32_e32 v9, 16, v32
	v_and_b32_e32 v10, 0xffff, v32
	;;#ASMSTART
	v_cvt_f32_f16 v10, v10;
	;;#ASMEND
	;;#ASMSTART
	v_cvt_f32_f16 v9, v9;
	;;#ASMEND
	;;#ASMSTART
	v_cvt_f32_f16 v23, v26;
	;;#ASMEND
	;;#ASMSTART
	v_cvt_f32_f16 v3, v3;
	;;#ASMEND
	v_fmac_f32_e32 v20, v10, v23
	v_dual_fmac_f32 v22, v9, v3 :: v_dual_lshlrev_b32 v3, 2, v21
	v_xor_b32_e32 v10, 1, v12
	s_delay_alu instid0(VALU_DEP_2) | instskip(NEXT) | instid1(VALU_DEP_2)
	v_add_f32_e32 v9, v20, v22
	v_cmp_gt_i32_e64 s1, 32, v10
	ds_bpermute_b32 v3, v3, v9
	v_cndmask_b32_e64 v10, v12, v10, s1
	s_waitcnt lgkmcnt(0)
	v_add_f32_e32 v3, v9, v3
	s_delay_alu instid0(VALU_DEP_2)
	v_lshlrev_b32_e32 v9, 2, v10
	ds_bpermute_b32 v9, v9, v3
	s_and_saveexec_b32 s3, vcc_lo
	s_cbranch_execz .LBB300_9
; %bb.75:                               ;   in Loop: Header=BB300_10 Depth=1
	s_waitcnt lgkmcnt(0)
	v_add_f32_e32 v3, v3, v9
	v_add_nc_u32_e32 v10, s37, v17
	v_cmp_gt_i32_e64 s1, s15, v17
	s_delay_alu instid0(VALU_DEP_2) | instskip(NEXT) | instid1(VALU_DEP_1)
	v_cvt_f32_i32_e32 v10, v10
	v_mul_f32_e32 v10, s34, v10
	s_delay_alu instid0(VALU_DEP_1) | instskip(NEXT) | instid1(VALU_DEP_1)
	v_cndmask_b32_e64 v9, 0, v10, s0
	v_dual_max_f32 v10, v14, v14 :: v_dual_fmac_f32 v9, s35, v3
	s_delay_alu instid0(VALU_DEP_1) | instskip(SKIP_1) | instid1(VALU_DEP_2)
	v_max_f32_e32 v3, v10, v9
	v_cndmask_b32_e64 v9, 0, v9, s1
	v_cndmask_b32_e64 v14, v14, v3, s1
	ds_store_b32 v18, v9
	s_branch .LBB300_9
.LBB300_76:
	s_or_b32 exec_lo, exec_lo, s38
.LBB300_77:
	s_delay_alu instid0(SALU_CYCLE_1) | instskip(SKIP_3) | instid1(VALU_DEP_3)
	s_or_b32 exec_lo, exec_lo, s36
	v_xor_b32_e32 v3, 16, v12
	v_xor_b32_e32 v5, 8, v12
	v_dual_max_f32 v7, v14, v14 :: v_dual_and_b32 v10, 31, v0
	v_cmp_lt_i32_e32 vcc_lo, v3, v13
	v_cndmask_b32_e32 v3, v12, v3, vcc_lo
	s_delay_alu instid0(VALU_DEP_4) | instskip(SKIP_1) | instid1(VALU_DEP_1)
	v_cmp_lt_i32_e32 vcc_lo, v5, v13
	v_cndmask_b32_e32 v5, v12, v5, vcc_lo
	v_lshlrev_b32_e32 v6, 2, v5
	s_delay_alu instid0(VALU_DEP_4) | instskip(SKIP_3) | instid1(VALU_DEP_1)
	v_lshlrev_b32_e32 v4, 2, v3
	ds_bpermute_b32 v3, v4, v14
	s_waitcnt lgkmcnt(0)
	v_max_f32_e32 v3, v3, v3
	v_max_f32_e32 v3, v7, v3
	v_xor_b32_e32 v7, 4, v12
	ds_bpermute_b32 v5, v6, v3
	v_cmp_lt_i32_e32 vcc_lo, v7, v13
	v_cndmask_b32_e32 v7, v12, v7, vcc_lo
	v_cmp_eq_u32_e32 vcc_lo, 0, v10
	s_delay_alu instid0(VALU_DEP_2) | instskip(SKIP_3) | instid1(VALU_DEP_1)
	v_lshlrev_b32_e32 v9, 2, v7
	v_lshlrev_b32_e32 v7, 2, v11
	s_waitcnt lgkmcnt(0)
	v_max_f32_e32 v5, v5, v5
	v_max_f32_e32 v3, v3, v5
	ds_bpermute_b32 v5, v9, v3
	s_and_saveexec_b32 s0, vcc_lo
	s_cbranch_execz .LBB300_79
; %bb.78:
	s_waitcnt lgkmcnt(0)
	v_max_f32_e32 v5, v5, v5
	v_max_f32_e32 v3, v3, v3
	s_delay_alu instid0(VALU_DEP_1)
	v_max_f32_e32 v3, v3, v5
	ds_store_b32 v7, v3 offset:64
.LBB300_79:
	s_or_b32 exec_lo, exec_lo, s0
	v_cmp_gt_u32_e64 s0, 4, v10
	v_dual_mov_b32 v3, 0xff7fffff :: v_dual_lshlrev_b32 v8, 2, v10
	s_waitcnt lgkmcnt(0)
	s_barrier
	buffer_gl0_inv
	s_and_saveexec_b32 s1, s0
	s_cbranch_execz .LBB300_81
; %bb.80:
	ds_load_b32 v3, v8 offset:64
.LBB300_81:
	s_or_b32 exec_lo, exec_lo, s1
	v_xor_b32_e32 v5, 2, v12
	v_xor_b32_e32 v15, 1, v12
	s_delay_alu instid0(VALU_DEP_2) | instskip(NEXT) | instid1(VALU_DEP_1)
	v_cmp_lt_i32_e64 s1, v5, v13
	v_cndmask_b32_e64 v5, v12, v5, s1
	s_delay_alu instid0(VALU_DEP_3) | instskip(NEXT) | instid1(VALU_DEP_2)
	v_cmp_lt_i32_e64 s1, v15, v13
	v_lshlrev_b32_e32 v14, 2, v5
	s_delay_alu instid0(VALU_DEP_2)
	v_cndmask_b32_e64 v13, v12, v15, s1
	s_sub_i32 s1, s11, s25
	v_mov_b32_e32 v15, 0
	s_lshl_b32 s1, s1, 3
	s_waitcnt lgkmcnt(0)
	ds_bpermute_b32 v5, v14, v3
	v_max_f32_e32 v3, v3, v3
	v_lshlrev_b32_e32 v13, 2, v13
	s_add_i32 s1, s1, s33
	v_lshlrev_b32_e32 v12, 2, v12
	s_min_i32 s1, s1, s15
	s_delay_alu instid0(SALU_CYCLE_1) | instskip(NEXT) | instid1(SALU_CYCLE_1)
	s_sub_i32 s4, s1, s33
	v_cmp_gt_i32_e64 s1, s4, v0
	s_waitcnt lgkmcnt(0)
	v_dual_max_f32 v5, v5, v5 :: v_dual_and_b32 v12, 0xffffff80, v12
	s_delay_alu instid0(VALU_DEP_1) | instskip(SKIP_3) | instid1(VALU_DEP_1)
	v_max_f32_e32 v3, v3, v5
	ds_bpermute_b32 v5, v13, v3
	s_waitcnt lgkmcnt(0)
	v_max_f32_e32 v5, v5, v5
	v_max_f32_e32 v3, v3, v5
	v_lshl_add_u32 v5, v0, 2, 0x60
	ds_bpermute_b32 v3, v12, v3
	s_and_saveexec_b32 s5, s1
	s_cbranch_execz .LBB300_85
; %bb.82:
	v_lshl_add_u32 v16, v0, 2, 0x60
	v_mov_b32_e32 v15, 0
	v_mov_b32_e32 v17, v0
	s_mov_b32 s25, 0
	.p2align	6
.LBB300_83:                             ; =>This Inner Loop Header: Depth=1
	ds_load_b32 v18, v16
	v_add_nc_u32_e32 v17, 0x80, v17
	s_delay_alu instid0(VALU_DEP_1) | instskip(NEXT) | instid1(VALU_DEP_1)
	v_cmp_le_i32_e64 s3, s4, v17
	s_or_b32 s25, s3, s25
	s_waitcnt lgkmcnt(0)
	v_sub_f32_e32 v18, v18, v3
	s_delay_alu instid0(VALU_DEP_1) | instskip(NEXT) | instid1(VALU_DEP_1)
	v_mul_f32_e32 v18, 0x3fb8aa3b, v18
	v_exp_f32_e32 v18, v18
	ds_store_b32 v16, v18
	v_dual_add_f32 v15, v15, v18 :: v_dual_add_nc_u32 v16, 0x200, v16
	s_and_not1_b32 exec_lo, exec_lo, s25
	s_cbranch_execnz .LBB300_83
; %bb.84:
	s_or_b32 exec_lo, exec_lo, s25
.LBB300_85:
	s_delay_alu instid0(SALU_CYCLE_1)
	s_or_b32 exec_lo, exec_lo, s5
	ds_bpermute_b32 v4, v4, v15
	s_waitcnt lgkmcnt(0)
	v_add_f32_e32 v4, v15, v4
	ds_bpermute_b32 v6, v6, v4
	s_waitcnt lgkmcnt(0)
	v_add_f32_e32 v4, v4, v6
	ds_bpermute_b32 v6, v9, v4
	s_waitcnt lgkmcnt(0)
	v_add_f32_e32 v4, v4, v6
	ds_bpermute_b32 v6, v14, v4
	s_waitcnt lgkmcnt(0)
	v_add_f32_e32 v4, v4, v6
	ds_bpermute_b32 v6, v13, v4
	s_waitcnt lgkmcnt(0)
	v_add_f32_e32 v4, v4, v6
	s_and_saveexec_b32 s3, vcc_lo
	s_cbranch_execz .LBB300_87
; %bb.86:
	ds_store_b32 v7, v4 offset:80
.LBB300_87:
	s_or_b32 exec_lo, exec_lo, s3
	s_waitcnt lgkmcnt(0)
	s_barrier
	buffer_gl0_inv
	s_and_saveexec_b32 s3, s0
	s_cbranch_execz .LBB300_89
; %bb.88:
	ds_load_b32 v4, v8 offset:80
.LBB300_89:
	s_or_b32 exec_lo, exec_lo, s3
	s_waitcnt lgkmcnt(0)
	ds_bpermute_b32 v6, v14, v4
	s_waitcnt lgkmcnt(0)
	v_add_f32_e32 v4, v4, v6
	ds_bpermute_b32 v6, v13, v4
	s_waitcnt lgkmcnt(0)
	v_add_f32_e32 v4, v4, v6
	ds_bpermute_b32 v4, v12, v4
	s_and_saveexec_b32 s0, s1
	s_cbranch_execz .LBB300_92
; %bb.90:
	s_waitcnt lgkmcnt(0)
	v_add_f32_e32 v6, 0x358637bd, v4
	s_mov_b32 s1, 0
	s_delay_alu instid0(VALU_DEP_1) | instskip(SKIP_1) | instid1(VALU_DEP_2)
	v_div_scale_f32 v7, null, v6, v6, 1.0
	v_div_scale_f32 v12, vcc_lo, 1.0, v6, 1.0
	v_rcp_f32_e32 v8, v7
	s_waitcnt_depctr 0xfff
	v_fma_f32 v9, -v7, v8, 1.0
	s_delay_alu instid0(VALU_DEP_1) | instskip(NEXT) | instid1(VALU_DEP_1)
	v_fmac_f32_e32 v8, v9, v8
	v_mul_f32_e32 v9, v12, v8
	s_delay_alu instid0(VALU_DEP_1) | instskip(NEXT) | instid1(VALU_DEP_1)
	v_fma_f32 v13, -v7, v9, v12
	v_fmac_f32_e32 v9, v13, v8
	s_delay_alu instid0(VALU_DEP_1) | instskip(NEXT) | instid1(VALU_DEP_1)
	v_fma_f32 v7, -v7, v9, v12
	v_div_fmas_f32 v7, v7, v8, v9
	s_delay_alu instid0(VALU_DEP_1)
	v_div_fixup_f32 v6, v7, v6, 1.0
	v_mov_b32_e32 v7, v0
.LBB300_91:                             ; =>This Inner Loop Header: Depth=1
	ds_load_b32 v8, v5
	s_waitcnt lgkmcnt(0)
	v_dual_mul_f32 v8, v6, v8 :: v_dual_add_nc_u32 v7, 0x80, v7
	s_delay_alu instid0(VALU_DEP_1) | instskip(SKIP_3) | instid1(SALU_CYCLE_1)
	v_cmp_le_i32_e32 vcc_lo, s4, v7
	ds_store_b32 v5, v8
	v_add_nc_u32_e32 v5, 0x200, v5
	s_or_b32 s1, vcc_lo, s1
	s_and_not1_b32 exec_lo, exec_lo, s1
	s_cbranch_execnz .LBB300_91
.LBB300_92:
	s_or_b32 exec_lo, exec_lo, s0
	s_mul_i32 s0, s8, s14
	s_waitcnt lgkmcnt(0)
	s_mul_i32 s4, s0, s13
	s_mov_b32 s0, exec_lo
	s_barrier
	buffer_gl0_inv
	v_cmpx_eq_u32_e32 0, v0
	s_cbranch_execz .LBB300_94
; %bb.93:
	s_ashr_i32 s5, s4, 31
	s_mul_i32 s24, s8, s24
	s_lshl_b64 s[34:35], s[4:5], 2
	v_mov_b32_e32 v5, 0
	s_add_u32 s1, s18, s34
	s_addc_u32 s3, s19, s35
	s_ashr_i32 s25, s24, 31
	s_delay_alu instid0(SALU_CYCLE_1) | instskip(NEXT) | instid1(SALU_CYCLE_1)
	s_lshl_b64 s[18:19], s[24:25], 2
	s_add_u32 s1, s1, s18
	s_addc_u32 s3, s3, s19
	s_ashr_i32 s13, s12, 31
	s_delay_alu instid0(SALU_CYCLE_1) | instskip(NEXT) | instid1(SALU_CYCLE_1)
	s_lshl_b64 s[24:25], s[12:13], 2
	s_add_u32 s36, s1, s24
	s_addc_u32 s37, s3, s25
	s_add_u32 s1, s16, s34
	s_addc_u32 s3, s17, s35
	s_add_u32 s1, s1, s18
	s_addc_u32 s3, s3, s19
	s_add_u32 s16, s1, s24
	s_addc_u32 s17, s3, s25
	s_clause 0x1
	global_store_b32 v5, v3, s[36:37]
	global_store_b32 v5, v4, s[16:17]
.LBB300_94:
	s_or_b32 exec_lo, exec_lo, s0
	v_mov_b32_e32 v12, 0
	s_and_saveexec_b32 s1, s2
	s_cbranch_execz .LBB300_160
; %bb.95:
	v_dual_mov_b32 v3, 0 :: v_dual_lshlrev_b32 v4, 3, v10
	s_ashr_i32 s0, s10, 31
	s_add_u32 s2, s30, s10
	v_lshlrev_b64 v[6:7], 2, v[1:2]
	s_addc_u32 s0, s31, s0
	v_add_co_u32 v4, s2, s2, v4
	s_lshl_b64 s[16:17], s[28:29], 2
	s_add_i32 s21, s21, -1
	v_add_co_ci_u32_e64 v5, null, s0, 0, s2
	s_add_u32 s0, s26, s16
	s_addc_u32 s5, s27, s17
	v_add_co_u32 v6, vcc_lo, s0, v6
	v_lshl_add_u32 v13, v11, 3, s33
	v_lshl_add_u32 v14, v11, 5, 0x60
	v_add_co_ci_u32_e32 v7, vcc_lo, s5, v7, vcc_lo
	v_mov_b32_e32 v12, 0
	s_mov_b32 s2, -1
	s_mov_b32 s3, 0xffffff
	s_mov_b32 s5, s9
	;; [unrolled: 1-line block ×4, first 2 shown]
	s_branch .LBB300_97
.LBB300_96:                             ;   in Loop: Header=BB300_97 Depth=1
	s_or_b32 exec_lo, exec_lo, s0
	v_and_b32_e32 v15, 0xffff, v15
	v_and_b32_e32 v20, 0xffff, v20
	;; [unrolled: 1-line block ×4, first 2 shown]
	v_add_nc_u32_e32 v1, 4, v1
	v_lshl_or_b32 v15, v16, 16, v15
	v_lshl_or_b32 v16, v17, 16, v20
	;; [unrolled: 1-line block ×3, first 2 shown]
	;;#ASMSTART
	v_pk_mul_f16 v15, v15, v24;

	;;#ASMEND
	;;#ASMSTART
	v_pk_mul_f16 v9, v16, v9;

	;;#ASMEND
	;; [unrolled: 4-line block ×3, first 2 shown]
	v_lshl_or_b32 v18, v19, 16, v22
	;;#ASMSTART
	v_pk_mul_f16 v8, v18, v8;

	;;#ASMEND
	;;#ASMSTART
	v_pk_add_f16 v9, v15, v9;

	;;#ASMEND
	;;#ASMSTART
	v_pk_add_f16 v2, v9, v2;
	;; [unrolled: 4-line block ×3, first 2 shown]

	;;#ASMEND
	v_and_b32_e32 v8, 0xffff, v2
	v_lshrrev_b32_e32 v2, 16, v2
	;;#ASMSTART
	v_cvt_f32_f16 v8, v8;
	;;#ASMEND
	;;#ASMSTART
	v_cvt_f32_f16 v2, v2;
	;;#ASMEND
	s_delay_alu instid0(VALU_DEP_1) | instskip(SKIP_2) | instid1(VALU_DEP_3)
	v_add_f32_e32 v2, v8, v2
	v_cmp_le_i32_e32 vcc_lo, s11, v1
	v_add_co_u32 v6, s0, v6, 16
	v_dual_add_f32 v12, v12, v2 :: v_dual_add_nc_u32 v13, 32, v13
	v_add_nc_u32_e32 v14, 0x80, v14
	v_add_co_ci_u32_e64 v7, s0, 0, v7, s0
	s_or_b32 s9, vcc_lo, s9
	s_delay_alu instid0(SALU_CYCLE_1)
	s_and_not1_b32 exec_lo, exec_lo, s9
	s_cbranch_execz .LBB300_159
.LBB300_97:                             ; =>This Inner Loop Header: Depth=1
	global_load_b32 v2, v[6:7], off
	ds_load_2addr_b64 v[15:18], v14 offset1:1
	ds_load_2addr_b64 v[21:24], v14 offset0:2 offset1:3
	s_mov_b32 s0, exec_lo
	s_waitcnt lgkmcnt(1)
	;;#ASMSTART
	v_cvt_f16_f32 v15, v15;

	;;#ASMEND
	;;#ASMSTART
	v_cvt_f16_f32 v16, v16;

	;;#ASMEND
	;; [unrolled: 4-line block ×4, first 2 shown]
	s_waitcnt lgkmcnt(0)
	;;#ASMSTART
	v_cvt_f16_f32 v21, v21;

	;;#ASMEND
	;;#ASMSTART
	v_cvt_f16_f32 v18, v22;

	;;#ASMEND
	;; [unrolled: 4-line block ×4, first 2 shown]
	v_mov_b32_e32 v24, 0
	s_waitcnt vmcnt(0)
	v_mad_i64_i32 v[8:9], null, v2, s5, v[4:5]
	global_load_b64 v[8:9], v[8:9], off
	global_load_b32 v23, v3, s[6:7]
	s_waitcnt vmcnt(1)
	v_and_b32_e32 v2, 0xff, v8
	s_delay_alu instid0(VALU_DEP_1)
	v_cmpx_ne_u16_e32 0, v2
	s_cbranch_execz .LBB300_103
; %bb.98:                               ;   in Loop: Header=BB300_97 Depth=1
	v_bfrev_b32_e32 v24, 1
	s_mov_b32 s13, exec_lo
	v_cmpx_ne_u16_e32 0x80, v2
	s_cbranch_execz .LBB300_102
; %bb.99:                               ;   in Loop: Header=BB300_97 Depth=1
	v_and_b32_e32 v2, 0x7f, v8
	v_mov_b32_e32 v24, 0x7fc02000
	s_mov_b32 s14, exec_lo
	s_delay_alu instid0(VALU_DEP_2)
	v_cmpx_ne_u32_e32 0x7f, v2
	s_cbranch_execz .LBB300_101
; %bb.100:                              ;   in Loop: Header=BB300_97 Depth=1
	v_and_b32_e32 v24, 7, v8
	v_cmp_gt_u32_e32 vcc_lo, 8, v2
	v_lshrrev_b32_e32 v25, 3, v2
	s_delay_alu instid0(VALU_DEP_3) | instskip(NEXT) | instid1(VALU_DEP_1)
	v_clz_i32_u32_e32 v24, v24
	v_min_u32_e32 v24, 32, v24
	s_delay_alu instid0(VALU_DEP_1) | instskip(SKIP_1) | instid1(VALU_DEP_2)
	v_subrev_nc_u32_e32 v26, 28, v24
	v_sub_nc_u32_e32 v24, 29, v24
	v_cndmask_b32_e32 v2, 0, v26, vcc_lo
	s_delay_alu instid0(VALU_DEP_2) | instskip(NEXT) | instid1(VALU_DEP_2)
	v_cndmask_b32_e32 v26, v25, v24, vcc_lo
	v_lshlrev_b64 v[24:25], v2, v[8:9]
	v_lshlrev_b32_e32 v2, 8, v8
	s_delay_alu instid0(VALU_DEP_3) | instskip(NEXT) | instid1(VALU_DEP_3)
	v_lshl_add_u32 v25, v26, 10, 0x2000
	v_lshlrev_b32_e32 v24, 7, v24
	s_delay_alu instid0(VALU_DEP_2) | instskip(NEXT) | instid1(VALU_DEP_1)
	v_and_or_b32 v2, 0x8000, v2, v25
	v_and_or_b32 v2, 0x380, v24, v2
	s_delay_alu instid0(VALU_DEP_1)
	v_cvt_f32_f16_e32 v24, v2
.LBB300_101:                            ;   in Loop: Header=BB300_97 Depth=1
	s_or_b32 exec_lo, exec_lo, s14
.LBB300_102:                            ;   in Loop: Header=BB300_97 Depth=1
	s_delay_alu instid0(SALU_CYCLE_1)
	s_or_b32 exec_lo, exec_lo, s13
.LBB300_103:                            ;   in Loop: Header=BB300_97 Depth=1
	s_delay_alu instid0(SALU_CYCLE_1) | instskip(SKIP_3) | instid1(VALU_DEP_2)
	s_or_b32 exec_lo, exec_lo, s0
	v_lshrrev_b16 v2, 8, v8
	v_dual_mov_b32 v26, 0 :: v_dual_mov_b32 v25, 0
	s_mov_b32 s0, exec_lo
	v_cmpx_ne_u16_e32 0, v2
	s_cbranch_execz .LBB300_111
; %bb.104:                              ;   in Loop: Header=BB300_97 Depth=1
	v_bfrev_b32_e32 v25, 1
	s_mov_b32 s13, exec_lo
	v_cmpx_ne_u16_e32 0x80, v2
	s_cbranch_execz .LBB300_110
; %bb.105:                              ;   in Loop: Header=BB300_97 Depth=1
	v_and_b32_e32 v27, 0xffff, v2
	v_mov_b32_e32 v25, 0x7fc02000
	s_mov_b32 s14, exec_lo
	s_delay_alu instid0(VALU_DEP_2) | instskip(NEXT) | instid1(VALU_DEP_1)
	v_and_b32_e32 v28, 0x7f, v27
	v_cmpx_ne_u32_e32 0x7f, v28
	s_cbranch_execz .LBB300_109
; %bb.106:                              ;   in Loop: Header=BB300_97 Depth=1
	v_and_b32_e32 v2, 7, v27
	v_lshrrev_b32_e32 v25, 3, v28
	s_mov_b32 s16, exec_lo
	v_cmpx_gt_u32_e32 8, v28
; %bb.107:                              ;   in Loop: Header=BB300_97 Depth=1
	s_delay_alu instid0(VALU_DEP_3) | instskip(NEXT) | instid1(VALU_DEP_1)
	v_clz_i32_u32_e32 v25, v2
	v_min_u32_e32 v25, 32, v25
	s_delay_alu instid0(VALU_DEP_1) | instskip(SKIP_1) | instid1(VALU_DEP_2)
	v_subrev_nc_u32_e32 v28, 28, v25
	v_sub_nc_u32_e32 v25, 29, v25
	v_lshlrev_b64 v[28:29], v28, v[2:3]
	s_delay_alu instid0(VALU_DEP_1)
	v_and_b32_e32 v2, 7, v28
; %bb.108:                              ;   in Loop: Header=BB300_97 Depth=1
	s_or_b32 exec_lo, exec_lo, s16
	v_lshlrev_b32_e32 v27, 8, v27
	v_lshl_add_u32 v25, v25, 10, 0x2000
	s_delay_alu instid0(VALU_DEP_1) | instskip(NEXT) | instid1(VALU_DEP_1)
	v_and_or_b32 v25, 0x8000, v27, v25
	v_lshl_or_b32 v2, v2, 7, v25
	s_delay_alu instid0(VALU_DEP_1)
	v_cvt_f32_f16_e32 v25, v2
.LBB300_109:                            ;   in Loop: Header=BB300_97 Depth=1
	s_or_b32 exec_lo, exec_lo, s14
.LBB300_110:                            ;   in Loop: Header=BB300_97 Depth=1
	s_delay_alu instid0(SALU_CYCLE_1)
	s_or_b32 exec_lo, exec_lo, s13
.LBB300_111:                            ;   in Loop: Header=BB300_97 Depth=1
	s_delay_alu instid0(SALU_CYCLE_1) | instskip(SKIP_2) | instid1(VALU_DEP_1)
	s_or_b32 exec_lo, exec_lo, s0
	v_lshrrev_b32_e32 v27, 16, v8
	s_mov_b32 s0, exec_lo
	v_and_b32_e32 v2, 0xff, v27
	s_delay_alu instid0(VALU_DEP_1)
	v_cmpx_ne_u16_e32 0, v2
	s_cbranch_execz .LBB300_119
; %bb.112:                              ;   in Loop: Header=BB300_97 Depth=1
	v_bfrev_b32_e32 v26, 1
	s_mov_b32 s13, exec_lo
	v_cmpx_ne_u16_e32 0x80, v2
	s_cbranch_execz .LBB300_118
; %bb.113:                              ;   in Loop: Header=BB300_97 Depth=1
	v_bfe_u32 v28, v8, 16, 7
	v_mov_b32_e32 v26, 0x7fc02000
	s_mov_b32 s14, exec_lo
	s_delay_alu instid0(VALU_DEP_2)
	v_cmpx_ne_u32_e32 0x7f, v28
	s_cbranch_execz .LBB300_117
; %bb.114:                              ;   in Loop: Header=BB300_97 Depth=1
	v_and_b32_e32 v2, 7, v27
	v_lshrrev_b32_e32 v26, 3, v28
	s_mov_b32 s16, exec_lo
	v_cmpx_gt_u32_e32 8, v28
; %bb.115:                              ;   in Loop: Header=BB300_97 Depth=1
	s_delay_alu instid0(VALU_DEP_3) | instskip(NEXT) | instid1(VALU_DEP_1)
	v_clz_i32_u32_e32 v26, v2
	v_min_u32_e32 v26, 32, v26
	s_delay_alu instid0(VALU_DEP_1) | instskip(SKIP_1) | instid1(VALU_DEP_2)
	v_subrev_nc_u32_e32 v28, 28, v26
	v_sub_nc_u32_e32 v26, 29, v26
	v_lshlrev_b64 v[28:29], v28, v[2:3]
	s_delay_alu instid0(VALU_DEP_1)
	v_and_b32_e32 v2, 7, v28
; %bb.116:                              ;   in Loop: Header=BB300_97 Depth=1
	s_or_b32 exec_lo, exec_lo, s16
	v_lshlrev_b32_e32 v27, 8, v27
	v_lshl_add_u32 v26, v26, 10, 0x2000
	s_delay_alu instid0(VALU_DEP_1) | instskip(NEXT) | instid1(VALU_DEP_1)
	v_and_or_b32 v26, 0x8000, v27, v26
	v_lshl_or_b32 v2, v2, 7, v26
	s_delay_alu instid0(VALU_DEP_1)
	v_cvt_f32_f16_e32 v26, v2
.LBB300_117:                            ;   in Loop: Header=BB300_97 Depth=1
	s_or_b32 exec_lo, exec_lo, s14
.LBB300_118:                            ;   in Loop: Header=BB300_97 Depth=1
	s_delay_alu instid0(SALU_CYCLE_1)
	s_or_b32 exec_lo, exec_lo, s13
.LBB300_119:                            ;   in Loop: Header=BB300_97 Depth=1
	s_delay_alu instid0(SALU_CYCLE_1)
	s_or_b32 exec_lo, exec_lo, s0
	v_dual_mov_b32 v27, 0 :: v_dual_mov_b32 v28, 0
	s_mov_b32 s0, exec_lo
	v_cmpx_lt_u32_e32 0xffffff, v8
	s_cbranch_execz .LBB300_127
; %bb.120:                              ;   in Loop: Header=BB300_97 Depth=1
	v_lshrrev_b32_e32 v29, 24, v8
	v_bfrev_b32_e32 v28, 1
	s_mov_b32 s13, exec_lo
	s_delay_alu instid0(VALU_DEP_2)
	v_cmpx_ne_u32_e32 0x80, v29
	s_cbranch_execz .LBB300_126
; %bb.121:                              ;   in Loop: Header=BB300_97 Depth=1
	v_and_b32_e32 v30, 0x7f, v29
	v_mov_b32_e32 v28, 0x7fc02000
	s_mov_b32 s14, exec_lo
	s_delay_alu instid0(VALU_DEP_2)
	v_cmpx_ne_u32_e32 0x7f, v30
	s_cbranch_execz .LBB300_125
; %bb.122:                              ;   in Loop: Header=BB300_97 Depth=1
	v_and_b32_e32 v2, 7, v29
	v_lshrrev_b32_e32 v28, 3, v30
	s_mov_b32 s16, exec_lo
	v_cmpx_gt_u32_e32 8, v30
; %bb.123:                              ;   in Loop: Header=BB300_97 Depth=1
	s_delay_alu instid0(VALU_DEP_3) | instskip(NEXT) | instid1(VALU_DEP_1)
	v_clz_i32_u32_e32 v28, v2
	v_min_u32_e32 v28, 32, v28
	s_delay_alu instid0(VALU_DEP_1) | instskip(SKIP_1) | instid1(VALU_DEP_2)
	v_subrev_nc_u32_e32 v30, 28, v28
	v_sub_nc_u32_e32 v28, 29, v28
	v_lshlrev_b64 v[30:31], v30, v[2:3]
	s_delay_alu instid0(VALU_DEP_1)
	v_and_b32_e32 v2, 7, v30
; %bb.124:                              ;   in Loop: Header=BB300_97 Depth=1
	s_or_b32 exec_lo, exec_lo, s16
	v_lshlrev_b32_e32 v29, 8, v29
	v_lshl_add_u32 v28, v28, 10, 0x2000
	s_delay_alu instid0(VALU_DEP_1) | instskip(NEXT) | instid1(VALU_DEP_1)
	v_and_or_b32 v28, 0x8000, v29, v28
	v_lshl_or_b32 v2, v2, 7, v28
	s_delay_alu instid0(VALU_DEP_1)
	v_cvt_f32_f16_e32 v28, v2
.LBB300_125:                            ;   in Loop: Header=BB300_97 Depth=1
	s_or_b32 exec_lo, exec_lo, s14
.LBB300_126:                            ;   in Loop: Header=BB300_97 Depth=1
	s_delay_alu instid0(SALU_CYCLE_1)
	s_or_b32 exec_lo, exec_lo, s13
.LBB300_127:                            ;   in Loop: Header=BB300_97 Depth=1
	s_delay_alu instid0(SALU_CYCLE_1) | instskip(SKIP_2) | instid1(VALU_DEP_1)
	s_or_b32 exec_lo, exec_lo, s0
	v_dual_mov_b32 v2, v9 :: v_dual_and_b32 v29, 0xff, v9
	s_mov_b32 s0, exec_lo
	v_cmpx_ne_u16_e32 0, v29
	s_cbranch_execz .LBB300_133
; %bb.128:                              ;   in Loop: Header=BB300_97 Depth=1
	v_bfrev_b32_e32 v27, 1
	s_mov_b32 s13, exec_lo
	v_cmpx_ne_u16_e32 0x80, v29
	s_cbranch_execz .LBB300_132
; %bb.129:                              ;   in Loop: Header=BB300_97 Depth=1
	v_and_b32_e32 v29, 0x7f, v9
	v_mov_b32_e32 v27, 0x7fc02000
	s_mov_b32 s14, exec_lo
	s_delay_alu instid0(VALU_DEP_2)
	v_cmpx_ne_u32_e32 0x7f, v29
	s_cbranch_execz .LBB300_131
; %bb.130:                              ;   in Loop: Header=BB300_97 Depth=1
	v_and_b32_e32 v27, 7, v9
	v_cmp_gt_u32_e32 vcc_lo, 8, v29
	v_lshrrev_b32_e32 v30, 3, v29
	s_delay_alu instid0(VALU_DEP_3) | instskip(NEXT) | instid1(VALU_DEP_1)
	v_clz_i32_u32_e32 v27, v27
	v_min_u32_e32 v27, 32, v27
	s_delay_alu instid0(VALU_DEP_1) | instskip(SKIP_1) | instid1(VALU_DEP_2)
	v_subrev_nc_u32_e32 v31, 28, v27
	v_sub_nc_u32_e32 v27, 29, v27
	v_cndmask_b32_e32 v29, 0, v31, vcc_lo
	s_delay_alu instid0(VALU_DEP_2) | instskip(NEXT) | instid1(VALU_DEP_2)
	v_cndmask_b32_e32 v27, v30, v27, vcc_lo
	v_lshlrev_b64 v[29:30], v29, v[2:3]
	v_lshlrev_b32_e32 v30, 8, v9
	s_delay_alu instid0(VALU_DEP_3) | instskip(NEXT) | instid1(VALU_DEP_3)
	v_lshl_add_u32 v27, v27, 10, 0x2000
	v_lshlrev_b32_e32 v29, 7, v29
	s_delay_alu instid0(VALU_DEP_2) | instskip(NEXT) | instid1(VALU_DEP_1)
	v_and_or_b32 v27, 0x8000, v30, v27
	v_and_or_b32 v27, 0x380, v29, v27
	s_delay_alu instid0(VALU_DEP_1)
	v_cvt_f32_f16_e32 v27, v27
.LBB300_131:                            ;   in Loop: Header=BB300_97 Depth=1
	s_or_b32 exec_lo, exec_lo, s14
.LBB300_132:                            ;   in Loop: Header=BB300_97 Depth=1
	s_delay_alu instid0(SALU_CYCLE_1)
	s_or_b32 exec_lo, exec_lo, s13
.LBB300_133:                            ;   in Loop: Header=BB300_97 Depth=1
	s_delay_alu instid0(SALU_CYCLE_1) | instskip(SKIP_3) | instid1(VALU_DEP_2)
	s_or_b32 exec_lo, exec_lo, s0
	v_lshrrev_b16 v2, 8, v2
	v_dual_mov_b32 v29, 0 :: v_dual_mov_b32 v30, 0
	s_mov_b32 s0, exec_lo
	v_cmpx_ne_u16_e32 0, v2
	s_cbranch_execz .LBB300_141
; %bb.134:                              ;   in Loop: Header=BB300_97 Depth=1
	v_bfrev_b32_e32 v30, 1
	s_mov_b32 s13, exec_lo
	v_cmpx_ne_u16_e32 0x80, v2
	s_cbranch_execz .LBB300_140
; %bb.135:                              ;   in Loop: Header=BB300_97 Depth=1
	v_and_b32_e32 v31, 0xffff, v2
	v_mov_b32_e32 v30, 0x7fc02000
	s_mov_b32 s14, exec_lo
	s_delay_alu instid0(VALU_DEP_2) | instskip(NEXT) | instid1(VALU_DEP_1)
	v_and_b32_e32 v32, 0x7f, v31
	v_cmpx_ne_u32_e32 0x7f, v32
	s_cbranch_execz .LBB300_139
; %bb.136:                              ;   in Loop: Header=BB300_97 Depth=1
	v_and_b32_e32 v2, 7, v31
	v_lshrrev_b32_e32 v30, 3, v32
	s_mov_b32 s16, exec_lo
	v_cmpx_gt_u32_e32 8, v32
; %bb.137:                              ;   in Loop: Header=BB300_97 Depth=1
	s_delay_alu instid0(VALU_DEP_3) | instskip(NEXT) | instid1(VALU_DEP_1)
	v_clz_i32_u32_e32 v30, v2
	v_min_u32_e32 v30, 32, v30
	s_delay_alu instid0(VALU_DEP_1) | instskip(SKIP_1) | instid1(VALU_DEP_2)
	v_subrev_nc_u32_e32 v32, 28, v30
	v_sub_nc_u32_e32 v30, 29, v30
	v_lshlrev_b64 v[32:33], v32, v[2:3]
	s_delay_alu instid0(VALU_DEP_1)
	v_and_b32_e32 v2, 7, v32
; %bb.138:                              ;   in Loop: Header=BB300_97 Depth=1
	s_or_b32 exec_lo, exec_lo, s16
	v_lshlrev_b32_e32 v31, 8, v31
	v_lshl_add_u32 v30, v30, 10, 0x2000
	s_delay_alu instid0(VALU_DEP_1) | instskip(NEXT) | instid1(VALU_DEP_1)
	v_and_or_b32 v30, 0x8000, v31, v30
	v_lshl_or_b32 v2, v2, 7, v30
	s_delay_alu instid0(VALU_DEP_1)
	v_cvt_f32_f16_e32 v30, v2
.LBB300_139:                            ;   in Loop: Header=BB300_97 Depth=1
	s_or_b32 exec_lo, exec_lo, s14
.LBB300_140:                            ;   in Loop: Header=BB300_97 Depth=1
	s_delay_alu instid0(SALU_CYCLE_1)
	s_or_b32 exec_lo, exec_lo, s13
.LBB300_141:                            ;   in Loop: Header=BB300_97 Depth=1
	s_delay_alu instid0(SALU_CYCLE_1) | instskip(SKIP_2) | instid1(VALU_DEP_1)
	s_or_b32 exec_lo, exec_lo, s0
	v_lshrrev_b32_e32 v31, 16, v9
	s_mov_b32 s0, exec_lo
	v_and_b32_e32 v2, 0xff, v31
	s_delay_alu instid0(VALU_DEP_1)
	v_cmpx_ne_u16_e32 0, v2
	s_cbranch_execz .LBB300_149
; %bb.142:                              ;   in Loop: Header=BB300_97 Depth=1
	v_bfrev_b32_e32 v29, 1
	s_mov_b32 s13, exec_lo
	v_cmpx_ne_u16_e32 0x80, v2
	s_cbranch_execz .LBB300_148
; %bb.143:                              ;   in Loop: Header=BB300_97 Depth=1
	v_bfe_u32 v32, v9, 16, 7
	v_mov_b32_e32 v29, 0x7fc02000
	s_mov_b32 s14, exec_lo
	s_delay_alu instid0(VALU_DEP_2)
	v_cmpx_ne_u32_e32 0x7f, v32
	s_cbranch_execz .LBB300_147
; %bb.144:                              ;   in Loop: Header=BB300_97 Depth=1
	v_and_b32_e32 v2, 7, v31
	v_lshrrev_b32_e32 v29, 3, v32
	s_mov_b32 s16, exec_lo
	v_cmpx_gt_u32_e32 8, v32
; %bb.145:                              ;   in Loop: Header=BB300_97 Depth=1
	s_delay_alu instid0(VALU_DEP_3) | instskip(NEXT) | instid1(VALU_DEP_1)
	v_clz_i32_u32_e32 v29, v2
	v_min_u32_e32 v29, 32, v29
	s_delay_alu instid0(VALU_DEP_1) | instskip(SKIP_1) | instid1(VALU_DEP_2)
	v_subrev_nc_u32_e32 v32, 28, v29
	v_sub_nc_u32_e32 v29, 29, v29
	v_lshlrev_b64 v[32:33], v32, v[2:3]
	s_delay_alu instid0(VALU_DEP_1)
	v_and_b32_e32 v2, 7, v32
; %bb.146:                              ;   in Loop: Header=BB300_97 Depth=1
	s_or_b32 exec_lo, exec_lo, s16
	v_lshlrev_b32_e32 v31, 8, v31
	v_lshl_add_u32 v29, v29, 10, 0x2000
	s_delay_alu instid0(VALU_DEP_1) | instskip(NEXT) | instid1(VALU_DEP_1)
	v_and_or_b32 v29, 0x8000, v31, v29
	v_lshl_or_b32 v2, v2, 7, v29
	s_delay_alu instid0(VALU_DEP_1)
	v_cvt_f32_f16_e32 v29, v2
.LBB300_147:                            ;   in Loop: Header=BB300_97 Depth=1
	s_or_b32 exec_lo, exec_lo, s14
.LBB300_148:                            ;   in Loop: Header=BB300_97 Depth=1
	s_delay_alu instid0(SALU_CYCLE_1)
	s_or_b32 exec_lo, exec_lo, s13
.LBB300_149:                            ;   in Loop: Header=BB300_97 Depth=1
	s_delay_alu instid0(SALU_CYCLE_1)
	s_or_b32 exec_lo, exec_lo, s0
	v_mov_b32_e32 v2, 0
	s_mov_b32 s0, exec_lo
	v_cmpx_lt_u64_e64 s[2:3], v[8:9]
	s_cbranch_execz .LBB300_157
; %bb.150:                              ;   in Loop: Header=BB300_97 Depth=1
	v_lshrrev_b32_e32 v8, 24, v9
	v_bfrev_b32_e32 v2, 1
	s_mov_b32 s13, exec_lo
	s_delay_alu instid0(VALU_DEP_2)
	v_cmpx_ne_u32_e32 0x80, v8
	s_cbranch_execz .LBB300_156
; %bb.151:                              ;   in Loop: Header=BB300_97 Depth=1
	v_and_b32_e32 v31, 0x7f, v8
	v_mov_b32_e32 v2, 0x7fc02000
	s_mov_b32 s14, exec_lo
	s_delay_alu instid0(VALU_DEP_2)
	v_cmpx_ne_u32_e32 0x7f, v31
	s_cbranch_execz .LBB300_155
; %bb.152:                              ;   in Loop: Header=BB300_97 Depth=1
	v_and_b32_e32 v2, 7, v8
	v_lshrrev_b32_e32 v9, 3, v31
	s_mov_b32 s16, exec_lo
	v_cmpx_gt_u32_e32 8, v31
; %bb.153:                              ;   in Loop: Header=BB300_97 Depth=1
	s_delay_alu instid0(VALU_DEP_3) | instskip(NEXT) | instid1(VALU_DEP_1)
	v_clz_i32_u32_e32 v9, v2
	v_min_u32_e32 v9, 32, v9
	s_delay_alu instid0(VALU_DEP_1) | instskip(SKIP_1) | instid1(VALU_DEP_2)
	v_subrev_nc_u32_e32 v31, 28, v9
	v_sub_nc_u32_e32 v9, 29, v9
	v_lshlrev_b64 v[31:32], v31, v[2:3]
	s_delay_alu instid0(VALU_DEP_1)
	v_and_b32_e32 v2, 7, v31
; %bb.154:                              ;   in Loop: Header=BB300_97 Depth=1
	s_or_b32 exec_lo, exec_lo, s16
	v_lshlrev_b32_e32 v8, 8, v8
	v_lshl_add_u32 v9, v9, 10, 0x2000
	s_delay_alu instid0(VALU_DEP_1) | instskip(NEXT) | instid1(VALU_DEP_1)
	v_and_or_b32 v8, 0x8000, v8, v9
	v_lshl_or_b32 v2, v2, 7, v8
	s_delay_alu instid0(VALU_DEP_1)
	v_cvt_f32_f16_e32 v2, v2
.LBB300_155:                            ;   in Loop: Header=BB300_97 Depth=1
	s_or_b32 exec_lo, exec_lo, s14
.LBB300_156:                            ;   in Loop: Header=BB300_97 Depth=1
	s_delay_alu instid0(SALU_CYCLE_1)
	s_or_b32 exec_lo, exec_lo, s13
.LBB300_157:                            ;   in Loop: Header=BB300_97 Depth=1
	s_delay_alu instid0(SALU_CYCLE_1)
	s_or_b32 exec_lo, exec_lo, s0
	s_waitcnt vmcnt(0)
	v_fma_mixlo_f16 v8, v23, v28, 0
	v_fma_mixlo_f16 v9, v23, v26, 0
	;; [unrolled: 1-line block ×8, first 2 shown]
	v_lshlrev_b32_e32 v8, 16, v8
	v_and_b32_e32 v9, 0xffff, v9
	v_lshlrev_b32_e32 v25, 16, v25
	v_and_b32_e32 v24, 0xffff, v24
	;; [unrolled: 2-line block ×4, first 2 shown]
	v_or_b32_e32 v9, v8, v9
	v_or_b32_e32 v24, v25, v24
	;; [unrolled: 1-line block ×3, first 2 shown]
	s_mov_b32 s0, exec_lo
	v_or_b32_e32 v8, v28, v29
	v_cmpx_eq_u32_e64 s21, v1
	s_cbranch_execz .LBB300_96
; %bb.158:                              ;   in Loop: Header=BB300_97 Depth=1
	v_add_nc_u32_e32 v25, 1, v13
	v_lshrrev_b32_e32 v26, 16, v24
	v_or_b32_e32 v27, 3, v13
	v_lshrrev_b32_e32 v29, 16, v2
	v_lshrrev_b32_e32 v28, 16, v9
	v_cmp_gt_i32_e32 vcc_lo, s10, v25
	v_lshrrev_b32_e32 v8, 16, v8
	v_or_b32_e32 v30, 6, v13
	v_cndmask_b32_e32 v25, 0, v26, vcc_lo
	v_cmp_gt_i32_e32 vcc_lo, s15, v13
	v_or_b32_e32 v26, 2, v13
	v_cndmask_b32_e32 v24, 0, v24, vcc_lo
	v_cmp_gt_i32_e32 vcc_lo, s10, v27
	v_cndmask_b32_e32 v27, 0, v28, vcc_lo
	v_or_b32_e32 v28, 5, v13
	v_cmp_gt_i32_e32 vcc_lo, s15, v26
	v_or_b32_e32 v26, 4, v13
	v_cndmask_b32_e32 v9, 0, v9, vcc_lo
	s_delay_alu instid0(VALU_DEP_4)
	v_cmp_gt_i32_e32 vcc_lo, s10, v28
	v_cndmask_b32_e32 v28, 0, v29, vcc_lo
	v_or_b32_e32 v29, 7, v13
	v_cmp_gt_i32_e32 vcc_lo, s15, v26
	v_perm_b32 v24, v25, v24, 0x5040100
	v_cndmask_b32_e32 v2, 0, v2, vcc_lo
	s_delay_alu instid0(VALU_DEP_4) | instskip(NEXT) | instid1(VALU_DEP_2)
	v_cmp_gt_i32_e32 vcc_lo, s10, v29
	v_perm_b32 v2, v28, v2, 0x5040100
	v_cndmask_b32_e32 v8, 0, v8, vcc_lo
	v_cmp_gt_i32_e32 vcc_lo, s15, v30
	v_perm_b32 v9, v27, v9, 0x5040100
	v_cndmask_b32_e32 v23, 0, v23, vcc_lo
	s_delay_alu instid0(VALU_DEP_1)
	v_perm_b32 v8, v8, v23, 0x5040100
	s_branch .LBB300_96
.LBB300_159:
	s_or_b32 exec_lo, exec_lo, s9
.LBB300_160:
	s_delay_alu instid0(SALU_CYCLE_1)
	s_or_b32 exec_lo, exec_lo, s1
	v_and_b32_e32 v2, 0x3c0, v0
	v_lshl_add_u32 v1, v10, 2, 0x60
	s_mov_b32 s0, exec_lo
	s_waitcnt_vscnt null, 0x0
	s_barrier
	buffer_gl0_inv
	v_cmpx_eq_u32_e32 64, v2
	s_cbranch_execz .LBB300_162
; %bb.161:
	v_lshlrev_b32_e32 v2, 7, v11
	s_delay_alu instid0(VALU_DEP_1)
	v_add3_u32 v2, v1, v2, 0xffffff00
	ds_store_b32 v2, v12
.LBB300_162:
	s_or_b32 exec_lo, exec_lo, s0
	v_and_b32_e32 v3, 0x3e0, v0
	s_mov_b32 s0, exec_lo
	s_waitcnt lgkmcnt(0)
	s_barrier
	buffer_gl0_inv
	v_lshl_add_u32 v2, v3, 2, v1
	v_cmpx_gt_u32_e32 64, v0
	s_cbranch_execz .LBB300_164
; %bb.163:
	ds_load_b32 v4, v2
	s_waitcnt lgkmcnt(0)
	v_add_f32_e32 v12, v12, v4
.LBB300_164:
	s_or_b32 exec_lo, exec_lo, s0
	s_delay_alu instid0(SALU_CYCLE_1)
	s_mov_b32 s0, exec_lo
	s_barrier
	buffer_gl0_inv
	v_cmpx_eq_u32_e32 32, v3
	s_cbranch_execz .LBB300_166
; %bb.165:
	ds_store_b32 v1, v12
.LBB300_166:
	s_or_b32 exec_lo, exec_lo, s0
	v_cmp_gt_u32_e32 vcc_lo, 32, v0
	s_waitcnt lgkmcnt(0)
	s_barrier
	buffer_gl0_inv
	s_and_saveexec_b32 s0, vcc_lo
	s_cbranch_execz .LBB300_168
; %bb.167:
	ds_load_b32 v0, v2
	s_waitcnt lgkmcnt(0)
	v_add_f32_e32 v12, v12, v0
.LBB300_168:
	s_or_b32 exec_lo, exec_lo, s0
	s_barrier
	buffer_gl0_inv
	s_and_saveexec_b32 s0, vcc_lo
	s_cbranch_execz .LBB300_170
; %bb.169:
	s_lshl_b32 s0, s4, 5
	s_mul_i32 s2, s8, s20
	s_ashr_i32 s1, s0, 31
	v_lshlrev_b32_e32 v0, 1, v10
	s_lshl_b64 s[0:1], s[0:1], 1
	;;#ASMSTART
	v_cvt_f16_f32 v1, v12;

	;;#ASMEND
	s_add_u32 s4, s22, s0
	s_addc_u32 s5, s23, s1
	s_ashr_i32 s3, s2, 31
	s_delay_alu instid0(SALU_CYCLE_1) | instskip(NEXT) | instid1(SALU_CYCLE_1)
	s_lshl_b64 s[0:1], s[2:3], 1
	s_add_u32 s2, s4, s0
	s_addc_u32 s3, s5, s1
	s_lshl_b32 s0, s12, 5
	s_delay_alu instid0(SALU_CYCLE_1) | instskip(NEXT) | instid1(SALU_CYCLE_1)
	s_ashr_i32 s1, s0, 31
	s_lshl_b64 s[0:1], s[0:1], 1
	s_delay_alu instid0(SALU_CYCLE_1)
	s_add_u32 s0, s2, s0
	s_addc_u32 s1, s3, s1
	global_store_b16 v0, v1, s[0:1]
.LBB300_170:
	s_nop 0
	s_sendmsg sendmsg(MSG_DEALLOC_VGPRS)
	s_endpgm
	.section	.rodata,"a",@progbits
	.p2align	6, 0x0
	.amdhsa_kernel _ZN4vllm25paged_attention_v2_kernelIthLi32ELi8ELi128ELNS_18Fp8KVCacheDataTypeE1ELb0ELi512EEEvPfS2_PT_PKS3_PKT0_S9_ifPKiSB_iPKfiiiSD_SD_iiiii
		.amdhsa_group_segment_fixed_size 96
		.amdhsa_private_segment_fixed_size 0
		.amdhsa_kernarg_size 400
		.amdhsa_user_sgpr_count 13
		.amdhsa_user_sgpr_dispatch_ptr 0
		.amdhsa_user_sgpr_queue_ptr 0
		.amdhsa_user_sgpr_kernarg_segment_ptr 1
		.amdhsa_user_sgpr_dispatch_id 0
		.amdhsa_user_sgpr_private_segment_size 0
		.amdhsa_wavefront_size32 1
		.amdhsa_uses_dynamic_stack 0
		.amdhsa_enable_private_segment 0
		.amdhsa_system_sgpr_workgroup_id_x 1
		.amdhsa_system_sgpr_workgroup_id_y 1
		.amdhsa_system_sgpr_workgroup_id_z 1
		.amdhsa_system_sgpr_workgroup_info 0
		.amdhsa_system_vgpr_workitem_id 0
		.amdhsa_next_free_vgpr 34
		.amdhsa_next_free_sgpr 43
		.amdhsa_reserve_vcc 1
		.amdhsa_float_round_mode_32 0
		.amdhsa_float_round_mode_16_64 0
		.amdhsa_float_denorm_mode_32 3
		.amdhsa_float_denorm_mode_16_64 3
		.amdhsa_dx10_clamp 1
		.amdhsa_ieee_mode 1
		.amdhsa_fp16_overflow 0
		.amdhsa_workgroup_processor_mode 1
		.amdhsa_memory_ordered 1
		.amdhsa_forward_progress 0
		.amdhsa_shared_vgpr_count 0
		.amdhsa_exception_fp_ieee_invalid_op 0
		.amdhsa_exception_fp_denorm_src 0
		.amdhsa_exception_fp_ieee_div_zero 0
		.amdhsa_exception_fp_ieee_overflow 0
		.amdhsa_exception_fp_ieee_underflow 0
		.amdhsa_exception_fp_ieee_inexact 0
		.amdhsa_exception_int_div_zero 0
	.end_amdhsa_kernel
	.section	.text._ZN4vllm25paged_attention_v2_kernelIthLi32ELi8ELi128ELNS_18Fp8KVCacheDataTypeE1ELb0ELi512EEEvPfS2_PT_PKS3_PKT0_S9_ifPKiSB_iPKfiiiSD_SD_iiiii,"axG",@progbits,_ZN4vllm25paged_attention_v2_kernelIthLi32ELi8ELi128ELNS_18Fp8KVCacheDataTypeE1ELb0ELi512EEEvPfS2_PT_PKS3_PKT0_S9_ifPKiSB_iPKfiiiSD_SD_iiiii,comdat
.Lfunc_end300:
	.size	_ZN4vllm25paged_attention_v2_kernelIthLi32ELi8ELi128ELNS_18Fp8KVCacheDataTypeE1ELb0ELi512EEEvPfS2_PT_PKS3_PKT0_S9_ifPKiSB_iPKfiiiSD_SD_iiiii, .Lfunc_end300-_ZN4vllm25paged_attention_v2_kernelIthLi32ELi8ELi128ELNS_18Fp8KVCacheDataTypeE1ELb0ELi512EEEvPfS2_PT_PKS3_PKT0_S9_ifPKiSB_iPKfiiiSD_SD_iiiii
                                        ; -- End function
	.section	.AMDGPU.csdata,"",@progbits
; Kernel info:
; codeLenInByte = 7832
; NumSgprs: 45
; NumVgprs: 34
; ScratchSize: 0
; MemoryBound: 0
; FloatMode: 240
; IeeeMode: 1
; LDSByteSize: 96 bytes/workgroup (compile time only)
; SGPRBlocks: 5
; VGPRBlocks: 4
; NumSGPRsForWavesPerEU: 45
; NumVGPRsForWavesPerEU: 34
; Occupancy: 16
; WaveLimiterHint : 1
; COMPUTE_PGM_RSRC2:SCRATCH_EN: 0
; COMPUTE_PGM_RSRC2:USER_SGPR: 13
; COMPUTE_PGM_RSRC2:TRAP_HANDLER: 0
; COMPUTE_PGM_RSRC2:TGID_X_EN: 1
; COMPUTE_PGM_RSRC2:TGID_Y_EN: 1
; COMPUTE_PGM_RSRC2:TGID_Z_EN: 1
; COMPUTE_PGM_RSRC2:TIDIG_COMP_CNT: 0
	.section	.text._ZN4vllm25paged_attention_v2_kernelIthLi64ELi8ELi128ELNS_18Fp8KVCacheDataTypeE1ELb0ELi512EEEvPfS2_PT_PKS3_PKT0_S9_ifPKiSB_iPKfiiiSD_SD_iiiii,"axG",@progbits,_ZN4vllm25paged_attention_v2_kernelIthLi64ELi8ELi128ELNS_18Fp8KVCacheDataTypeE1ELb0ELi512EEEvPfS2_PT_PKS3_PKT0_S9_ifPKiSB_iPKfiiiSD_SD_iiiii,comdat
	.protected	_ZN4vllm25paged_attention_v2_kernelIthLi64ELi8ELi128ELNS_18Fp8KVCacheDataTypeE1ELb0ELi512EEEvPfS2_PT_PKS3_PKT0_S9_ifPKiSB_iPKfiiiSD_SD_iiiii ; -- Begin function _ZN4vllm25paged_attention_v2_kernelIthLi64ELi8ELi128ELNS_18Fp8KVCacheDataTypeE1ELb0ELi512EEEvPfS2_PT_PKS3_PKT0_S9_ifPKiSB_iPKfiiiSD_SD_iiiii
	.globl	_ZN4vllm25paged_attention_v2_kernelIthLi64ELi8ELi128ELNS_18Fp8KVCacheDataTypeE1ELb0ELi512EEEvPfS2_PT_PKS3_PKT0_S9_ifPKiSB_iPKfiiiSD_SD_iiiii
	.p2align	8
	.type	_ZN4vllm25paged_attention_v2_kernelIthLi64ELi8ELi128ELNS_18Fp8KVCacheDataTypeE1ELb0ELi512EEEvPfS2_PT_PKS3_PKT0_S9_ifPKiSB_iPKfiiiSD_SD_iiiii,@function
_ZN4vllm25paged_attention_v2_kernelIthLi64ELi8ELi128ELNS_18Fp8KVCacheDataTypeE1ELb0ELi512EEEvPfS2_PT_PKS3_PKT0_S9_ifPKiSB_iPKfiiiSD_SD_iiiii: ; @_ZN4vllm25paged_attention_v2_kernelIthLi64ELi8ELi128ELNS_18Fp8KVCacheDataTypeE1ELb0ELi512EEEvPfS2_PT_PKS3_PKT0_S9_ifPKiSB_iPKfiiiSD_SD_iiiii
; %bb.0:
	s_load_b64 s[2:3], s[0:1], 0x40
	s_mov_b32 s24, s15
	s_ashr_i32 s15, s14, 31
	s_delay_alu instid0(SALU_CYCLE_1)
	s_lshl_b64 s[4:5], s[14:15], 2
	s_waitcnt lgkmcnt(0)
	s_add_u32 s2, s2, s4
	s_addc_u32 s3, s3, s5
	s_lshl_b32 s33, s24, 9
	s_load_b32 s15, s[2:3], 0x0
	s_waitcnt lgkmcnt(0)
	s_cmp_ge_i32 s33, s15
	s_cbranch_scc1 .LBB301_296
; %bb.1:
	s_clause 0x1
	s_load_b32 s25, s[0:1], 0x90
	s_load_b64 s[20:21], s[0:1], 0x30
	s_mov_b32 s26, s13
	s_mov_b32 s38, 0
	s_waitcnt lgkmcnt(0)
	s_abs_i32 s5, s25
	s_abs_i32 s2, s20
	s_delay_alu instid0(SALU_CYCLE_1) | instskip(SKIP_1) | instid1(VALU_DEP_1)
	v_cvt_f32_u32_e32 v1, s2
	s_sub_i32 s4, 0, s2
	v_rcp_iflag_f32_e32 v1, v1
	s_waitcnt_depctr 0xfff
	v_mul_f32_e32 v1, 0x4f7ffffe, v1
	s_delay_alu instid0(VALU_DEP_1) | instskip(NEXT) | instid1(VALU_DEP_1)
	v_cvt_u32_f32_e32 v1, v1
	v_readfirstlane_b32 s3, v1
	s_delay_alu instid0(VALU_DEP_1) | instskip(NEXT) | instid1(SALU_CYCLE_1)
	s_mul_i32 s4, s4, s3
	s_mul_hi_u32 s4, s3, s4
	s_delay_alu instid0(SALU_CYCLE_1) | instskip(SKIP_4) | instid1(SALU_CYCLE_1)
	s_add_i32 s3, s3, s4
	s_xor_b32 s4, s25, s20
	s_mul_hi_u32 s3, s5, s3
	s_ashr_i32 s4, s4, 31
	s_mul_i32 s6, s3, s2
	s_sub_i32 s5, s5, s6
	s_add_i32 s6, s3, 1
	s_sub_i32 s7, s5, s2
	s_cmp_ge_u32 s5, s2
	s_cselect_b32 s3, s6, s3
	s_cselect_b32 s5, s7, s5
	s_add_i32 s6, s3, 1
	s_cmp_ge_u32 s5, s2
	s_cselect_b32 s2, s6, s3
	s_abs_i32 s10, s13
	s_xor_b32 s2, s2, s4
	s_delay_alu instid0(SALU_CYCLE_1) | instskip(SKIP_2) | instid1(SALU_CYCLE_1)
	s_sub_i32 s11, s2, s4
	s_load_b64 s[2:3], s[0:1], 0x50
	s_abs_i32 s8, s11
	v_cvt_f32_u32_e32 v1, s8
	s_sub_i32 s5, 0, s8
	s_delay_alu instid0(VALU_DEP_1) | instskip(SKIP_2) | instid1(VALU_DEP_1)
	v_rcp_iflag_f32_e32 v1, v1
	s_waitcnt_depctr 0xfff
	v_mul_f32_e32 v1, 0x4f7ffffe, v1
	v_cvt_u32_f32_e32 v1, v1
	s_delay_alu instid0(VALU_DEP_1) | instskip(NEXT) | instid1(VALU_DEP_1)
	v_readfirstlane_b32 s4, v1
	s_mul_i32 s5, s5, s4
	s_delay_alu instid0(SALU_CYCLE_1) | instskip(NEXT) | instid1(SALU_CYCLE_1)
	s_mul_hi_u32 s5, s4, s5
	s_add_i32 s4, s4, s5
	s_waitcnt lgkmcnt(0)
	s_cmp_eq_u64 s[2:3], 0
	s_mul_hi_u32 s9, s10, s4
	s_cbranch_scc1 .LBB301_3
; %bb.2:
	s_ashr_i32 s27, s26, 31
	s_delay_alu instid0(SALU_CYCLE_1) | instskip(NEXT) | instid1(SALU_CYCLE_1)
	s_lshl_b64 s[4:5], s[26:27], 2
	s_add_u32 s2, s2, s4
	s_addc_u32 s3, s3, s5
	s_load_b32 s38, s[2:3], 0x0
.LBB301_3:
	s_load_b128 s[4:7], s[0:1], 0x58
	v_and_b32_e32 v3, 3, v0
	v_cmp_gt_u32_e64 s2, 32, v0
	s_ashr_i32 s3, s26, 31
	s_waitcnt lgkmcnt(0)
	s_ashr_i32 s7, s11, 31
	s_lshl_b32 s12, s26, 6
	s_and_saveexec_b32 s11, s2
	s_cbranch_execz .LBB301_5
; %bb.4:
	s_load_b64 s[16:17], s[0:1], 0x18
	s_mul_i32 s18, s14, s4
	v_lshlrev_b32_e32 v1, 2, v0
	s_ashr_i32 s19, s18, 31
	v_and_b32_e32 v2, 0x3fc, v0
	s_lshl_b64 s[18:19], s[18:19], 1
	s_delay_alu instid0(VALU_DEP_1) | instskip(SKIP_4) | instid1(SALU_CYCLE_1)
	v_lshl_add_u32 v2, v3, 5, v2
	s_waitcnt lgkmcnt(0)
	s_add_u32 s4, s16, s18
	s_addc_u32 s18, s17, s19
	s_ashr_i32 s13, s12, 31
	s_lshl_b64 s[16:17], s[12:13], 1
	s_delay_alu instid0(SALU_CYCLE_1)
	s_add_u32 s16, s4, s16
	s_addc_u32 s17, s18, s17
	global_load_b32 v1, v1, s[16:17]
	s_waitcnt vmcnt(0)
	ds_store_b32 v2, v1
.LBB301_5:
	s_or_b32 exec_lo, exec_lo, s11
	s_add_i32 s4, s15, 7
	s_lshl_b32 s20, s24, 6
	s_ashr_i32 s11, s4, 31
	s_xor_b32 s3, s3, s7
	s_lshr_b32 s11, s11, 29
	s_add_i32 s7, s20, 64
	s_add_i32 s4, s4, s11
	v_lshrrev_b32_e32 v12, 5, v0
	s_ashr_i32 s36, s4, 3
	s_mul_i32 s4, s9, s8
	s_min_i32 s27, s7, s36
	s_clause 0x1
	s_load_b64 s[28:29], s[0:1], 0x38
	s_load_b32 s7, s[0:1], 0x48
	s_sub_i32 s4, s10, s4
	s_add_i32 s10, s9, 1
	s_sub_i32 s11, s4, s8
	s_cmp_ge_u32 s4, s8
	v_or_b32_e32 v1, s20, v12
	s_cselect_b32 s9, s10, s9
	s_cselect_b32 s4, s11, s4
	s_add_i32 s10, s9, 1
	s_cmp_ge_u32 s4, s8
	v_mbcnt_lo_u32_b32 v11, -1, 0
	s_cselect_b32 s4, s10, s9
	s_waitcnt lgkmcnt(0)
	s_xor_b32 s4, s4, s3
	s_barrier
	s_sub_i32 s37, s4, s3
	v_cmp_gt_i32_e64 s3, s27, v1
	buffer_gl0_inv
                                        ; implicit-def: $sgpr4
                                        ; implicit-def: $vgpr15
	s_mul_i32 s30, s14, s7
	s_mov_b32 s7, exec_lo
	s_ashr_i32 s31, s30, 31
	v_cmpx_le_i32_e64 s27, v1
	s_xor_b32 s7, exec_lo, s7
; %bb.6:
	v_mbcnt_lo_u32_b32 v11, -1, 0
	v_mov_b32_e32 v15, 32
	s_mov_b32 s4, 0xff7fffff
                                        ; implicit-def: $vgpr3
; %bb.7:
	s_or_saveexec_b32 s7, s7
	s_clause 0x4
	s_load_b128 s[16:19], s[0:1], 0x0
	s_load_b64 s[22:23], s[0:1], 0x10
	s_load_b32 s13, s[0:1], 0x98
	s_load_b64 s[34:35], s[0:1], 0x28
	s_load_b128 s[8:11], s[0:1], 0x68
	v_mov_b32_e32 v13, s4
	v_ashrrev_i32_e32 v2, 31, v1
	s_mul_i32 s37, s37, s6
	s_xor_b32 exec_lo, exec_lo, s7
	s_cbranch_execz .LBB301_141
; %bb.8:
	s_load_b64 s[40:41], s[0:1], 0x20
	v_bfe_u32 v5, v0, 2, 3
	v_mov_b32_e32 v4, 0
	v_dual_mov_b32 v15, 32 :: v_dual_lshlrev_b32 v14, 1, v3
	v_dual_mov_b32 v19, v1 :: v_dual_lshlrev_b32 v16, 5, v3
	s_delay_alu instid0(VALU_DEP_4)
	v_dual_mov_b32 v13, 0xff7fffff :: v_dual_lshlrev_b32 v6, 2, v5
	v_cmp_eq_u32_e32 vcc_lo, 0, v3
	v_lshlrev_b32_e32 v3, 3, v12
	v_lshlrev_b32_e32 v9, 4, v5
	s_ashr_i32 s1, s37, 31
	v_lshl_or_b32 v6, v12, 5, v6
	v_lshlrev_b64 v[7:8], 2, v[1:2]
	v_add3_u32 v17, s33, v3, v5
	v_cmp_neq_f32_e64 s0, s38, 0
	s_mov_b32 s39, 0
	v_add_nc_u32_e32 v18, 0xa0, v6
	s_waitcnt lgkmcnt(0)
	s_add_u32 s4, s40, s37
	s_addc_u32 s1, s41, s1
	s_lshl_b64 s[40:41], s[30:31], 2
	v_add_co_u32 v5, s4, s4, v9
	s_sub_i32 s6, 1, s15
	v_add_co_ci_u32_e64 v6, null, s1, 0, s4
	s_add_u32 s1, s28, s40
	s_addc_u32 s4, s29, s41
	v_add_co_u32 v7, s1, s1, v7
	s_delay_alu instid0(VALU_DEP_1)
	v_add_co_ci_u32_e64 v8, s1, s4, v8, s1
	s_mov_b32 s40, s5
	s_branch .LBB301_10
.LBB301_9:                              ;   in Loop: Header=BB301_10 Depth=1
	s_or_b32 exec_lo, exec_lo, s4
	v_add_nc_u32_e32 v19, 4, v19
	v_add_co_u32 v7, s4, v7, 16
	v_add_nc_u32_e32 v17, 32, v17
	v_add_nc_u32_e32 v18, 0x80, v18
	s_delay_alu instid0(VALU_DEP_4) | instskip(SKIP_1) | instid1(VALU_DEP_2)
	v_cmp_le_i32_e64 s1, s27, v19
	v_add_co_ci_u32_e64 v8, s4, 0, v8, s4
	s_or_b32 s39, s1, s39
	s_delay_alu instid0(SALU_CYCLE_1)
	s_and_not1_b32 exec_lo, exec_lo, s39
	s_cbranch_execz .LBB301_140
.LBB301_10:                             ; =>This Inner Loop Header: Depth=1
	global_load_b32 v3, v[7:8], off
	s_waitcnt vmcnt(0) lgkmcnt(0)
	v_mad_i64_i32 v[9:10], null, v3, s40, v[5:6]
	s_delay_alu instid0(VALU_DEP_1) | instskip(NEXT) | instid1(VALU_DEP_1)
	v_add_co_u32 v9, s1, v9, v14
	v_add_co_ci_u32_e64 v10, s1, 0, v10, s1
	global_load_u16 v3, v[9:10], off
	global_load_b32 v20, v4, s[8:9]
	s_waitcnt vmcnt(1)
	v_and_b32_e32 v21, 0xff, v3
	v_and_b32_e32 v22, 0xffff, v3
	s_delay_alu instid0(VALU_DEP_2) | instskip(SKIP_1) | instid1(VALU_DEP_2)
	v_cmp_ne_u16_e64 s1, 0, v21
	v_mov_b32_e32 v21, 0
	s_and_saveexec_b32 s4, s1
	s_cbranch_execz .LBB301_18
; %bb.11:                               ;   in Loop: Header=BB301_10 Depth=1
	v_and_b32_e32 v3, 0xff, v22
	v_bfrev_b32_e32 v21, 1
	s_mov_b32 s41, exec_lo
	s_delay_alu instid0(VALU_DEP_2)
	v_cmpx_ne_u16_e32 0x80, v3
	s_cbranch_execz .LBB301_17
; %bb.12:                               ;   in Loop: Header=BB301_10 Depth=1
	v_and_b32_e32 v23, 0x7f, v22
	v_mov_b32_e32 v21, 0x7fc02000
	s_mov_b32 s42, exec_lo
	s_delay_alu instid0(VALU_DEP_2)
	v_cmpx_ne_u32_e32 0x7f, v23
	s_cbranch_execz .LBB301_16
; %bb.13:                               ;   in Loop: Header=BB301_10 Depth=1
	v_and_b32_e32 v3, 7, v22
	v_lshrrev_b32_e32 v21, 3, v23
	s_mov_b32 s43, exec_lo
	v_cmpx_gt_u32_e32 8, v23
; %bb.14:                               ;   in Loop: Header=BB301_10 Depth=1
	s_delay_alu instid0(VALU_DEP_3) | instskip(NEXT) | instid1(VALU_DEP_1)
	v_clz_i32_u32_e32 v21, v3
	v_min_u32_e32 v21, 32, v21
	s_delay_alu instid0(VALU_DEP_1) | instskip(SKIP_1) | instid1(VALU_DEP_2)
	v_subrev_nc_u32_e32 v23, 28, v21
	v_sub_nc_u32_e32 v21, 29, v21
	v_lshlrev_b64 v[23:24], v23, v[3:4]
	s_delay_alu instid0(VALU_DEP_1)
	v_and_b32_e32 v3, 7, v23
; %bb.15:                               ;   in Loop: Header=BB301_10 Depth=1
	s_or_b32 exec_lo, exec_lo, s43
	v_lshlrev_b32_e32 v23, 8, v22
	v_lshl_add_u32 v21, v21, 10, 0x2000
	s_delay_alu instid0(VALU_DEP_1) | instskip(NEXT) | instid1(VALU_DEP_1)
	v_and_or_b32 v21, 0x8000, v23, v21
	v_lshl_or_b32 v3, v3, 7, v21
	s_delay_alu instid0(VALU_DEP_1)
	v_cvt_f32_f16_e32 v21, v3
.LBB301_16:                             ;   in Loop: Header=BB301_10 Depth=1
	s_or_b32 exec_lo, exec_lo, s42
.LBB301_17:                             ;   in Loop: Header=BB301_10 Depth=1
	s_delay_alu instid0(SALU_CYCLE_1)
	s_or_b32 exec_lo, exec_lo, s41
.LBB301_18:                             ;   in Loop: Header=BB301_10 Depth=1
	s_delay_alu instid0(SALU_CYCLE_1) | instskip(SKIP_3) | instid1(VALU_DEP_2)
	s_or_b32 exec_lo, exec_lo, s4
	v_lshrrev_b16 v3, 8, v22
	v_dual_mov_b32 v22, 0 :: v_dual_mov_b32 v23, 0
	s_mov_b32 s4, exec_lo
	v_cmpx_ne_u16_e32 0, v3
	s_cbranch_execz .LBB301_26
; %bb.19:                               ;   in Loop: Header=BB301_10 Depth=1
	v_bfrev_b32_e32 v23, 1
	s_mov_b32 s41, exec_lo
	v_cmpx_ne_u16_e32 0x80, v3
	s_cbranch_execz .LBB301_25
; %bb.20:                               ;   in Loop: Header=BB301_10 Depth=1
	v_and_b32_e32 v24, 0xffff, v3
	v_mov_b32_e32 v23, 0x7fc02000
	s_mov_b32 s42, exec_lo
	s_delay_alu instid0(VALU_DEP_2) | instskip(NEXT) | instid1(VALU_DEP_1)
	v_and_b32_e32 v25, 0x7f, v24
	v_cmpx_ne_u32_e32 0x7f, v25
	s_cbranch_execz .LBB301_24
; %bb.21:                               ;   in Loop: Header=BB301_10 Depth=1
	v_and_b32_e32 v3, 7, v24
	v_lshrrev_b32_e32 v23, 3, v25
	s_mov_b32 s43, exec_lo
	v_cmpx_gt_u32_e32 8, v25
; %bb.22:                               ;   in Loop: Header=BB301_10 Depth=1
	s_delay_alu instid0(VALU_DEP_3) | instskip(NEXT) | instid1(VALU_DEP_1)
	v_clz_i32_u32_e32 v23, v3
	v_min_u32_e32 v23, 32, v23
	s_delay_alu instid0(VALU_DEP_1) | instskip(SKIP_1) | instid1(VALU_DEP_2)
	v_subrev_nc_u32_e32 v25, 28, v23
	v_sub_nc_u32_e32 v23, 29, v23
	v_lshlrev_b64 v[25:26], v25, v[3:4]
	s_delay_alu instid0(VALU_DEP_1)
	v_and_b32_e32 v3, 7, v25
; %bb.23:                               ;   in Loop: Header=BB301_10 Depth=1
	s_or_b32 exec_lo, exec_lo, s43
	v_lshlrev_b32_e32 v24, 8, v24
	v_lshl_add_u32 v23, v23, 10, 0x2000
	s_delay_alu instid0(VALU_DEP_1) | instskip(NEXT) | instid1(VALU_DEP_1)
	v_and_or_b32 v23, 0x8000, v24, v23
	v_lshl_or_b32 v3, v3, 7, v23
	s_delay_alu instid0(VALU_DEP_1)
	v_cvt_f32_f16_e32 v23, v3
.LBB301_24:                             ;   in Loop: Header=BB301_10 Depth=1
	s_or_b32 exec_lo, exec_lo, s42
.LBB301_25:                             ;   in Loop: Header=BB301_10 Depth=1
	s_delay_alu instid0(SALU_CYCLE_1)
	s_or_b32 exec_lo, exec_lo, s41
.LBB301_26:                             ;   in Loop: Header=BB301_10 Depth=1
	s_delay_alu instid0(SALU_CYCLE_1)
	s_or_b32 exec_lo, exec_lo, s4
	global_load_u16 v3, v[9:10], off offset:8
	s_mov_b32 s4, exec_lo
	s_waitcnt vmcnt(0)
	v_and_b32_e32 v25, 0xff, v3
	v_and_b32_e32 v24, 0xffff, v3
	s_delay_alu instid0(VALU_DEP_2)
	v_cmpx_ne_u16_e32 0, v25
	s_cbranch_execz .LBB301_34
; %bb.27:                               ;   in Loop: Header=BB301_10 Depth=1
	s_delay_alu instid0(VALU_DEP_2) | instskip(SKIP_2) | instid1(VALU_DEP_2)
	v_and_b32_e32 v3, 0xff, v24
	v_bfrev_b32_e32 v22, 1
	s_mov_b32 s41, exec_lo
	v_cmpx_ne_u16_e32 0x80, v3
	s_cbranch_execz .LBB301_33
; %bb.28:                               ;   in Loop: Header=BB301_10 Depth=1
	v_and_b32_e32 v25, 0x7f, v24
	v_mov_b32_e32 v22, 0x7fc02000
	s_mov_b32 s42, exec_lo
	s_delay_alu instid0(VALU_DEP_2)
	v_cmpx_ne_u32_e32 0x7f, v25
	s_cbranch_execz .LBB301_32
; %bb.29:                               ;   in Loop: Header=BB301_10 Depth=1
	v_and_b32_e32 v3, 7, v24
	v_lshrrev_b32_e32 v22, 3, v25
	s_mov_b32 s43, exec_lo
	v_cmpx_gt_u32_e32 8, v25
; %bb.30:                               ;   in Loop: Header=BB301_10 Depth=1
	s_delay_alu instid0(VALU_DEP_3) | instskip(NEXT) | instid1(VALU_DEP_1)
	v_clz_i32_u32_e32 v22, v3
	v_min_u32_e32 v22, 32, v22
	s_delay_alu instid0(VALU_DEP_1) | instskip(SKIP_1) | instid1(VALU_DEP_2)
	v_subrev_nc_u32_e32 v25, 28, v22
	v_sub_nc_u32_e32 v22, 29, v22
	v_lshlrev_b64 v[25:26], v25, v[3:4]
	s_delay_alu instid0(VALU_DEP_1)
	v_and_b32_e32 v3, 7, v25
; %bb.31:                               ;   in Loop: Header=BB301_10 Depth=1
	s_or_b32 exec_lo, exec_lo, s43
	v_lshlrev_b32_e32 v25, 8, v24
	v_lshl_add_u32 v22, v22, 10, 0x2000
	s_delay_alu instid0(VALU_DEP_1) | instskip(NEXT) | instid1(VALU_DEP_1)
	v_and_or_b32 v22, 0x8000, v25, v22
	v_lshl_or_b32 v3, v3, 7, v22
	s_delay_alu instid0(VALU_DEP_1)
	v_cvt_f32_f16_e32 v22, v3
.LBB301_32:                             ;   in Loop: Header=BB301_10 Depth=1
	s_or_b32 exec_lo, exec_lo, s42
.LBB301_33:                             ;   in Loop: Header=BB301_10 Depth=1
	s_delay_alu instid0(SALU_CYCLE_1)
	s_or_b32 exec_lo, exec_lo, s41
.LBB301_34:                             ;   in Loop: Header=BB301_10 Depth=1
	s_delay_alu instid0(SALU_CYCLE_1) | instskip(NEXT) | instid1(VALU_DEP_2)
	s_or_b32 exec_lo, exec_lo, s4
	v_lshrrev_b16 v3, 8, v24
	v_dual_mov_b32 v24, 0 :: v_dual_mov_b32 v25, 0
	s_mov_b32 s4, exec_lo
	s_delay_alu instid0(VALU_DEP_2)
	v_cmpx_ne_u16_e32 0, v3
	s_cbranch_execz .LBB301_42
; %bb.35:                               ;   in Loop: Header=BB301_10 Depth=1
	v_bfrev_b32_e32 v25, 1
	s_mov_b32 s41, exec_lo
	v_cmpx_ne_u16_e32 0x80, v3
	s_cbranch_execz .LBB301_41
; %bb.36:                               ;   in Loop: Header=BB301_10 Depth=1
	v_and_b32_e32 v26, 0xffff, v3
	v_mov_b32_e32 v25, 0x7fc02000
	s_mov_b32 s42, exec_lo
	s_delay_alu instid0(VALU_DEP_2) | instskip(NEXT) | instid1(VALU_DEP_1)
	v_and_b32_e32 v27, 0x7f, v26
	v_cmpx_ne_u32_e32 0x7f, v27
	s_cbranch_execz .LBB301_40
; %bb.37:                               ;   in Loop: Header=BB301_10 Depth=1
	v_and_b32_e32 v3, 7, v26
	v_lshrrev_b32_e32 v25, 3, v27
	s_mov_b32 s43, exec_lo
	v_cmpx_gt_u32_e32 8, v27
; %bb.38:                               ;   in Loop: Header=BB301_10 Depth=1
	s_delay_alu instid0(VALU_DEP_3) | instskip(NEXT) | instid1(VALU_DEP_1)
	v_clz_i32_u32_e32 v25, v3
	v_min_u32_e32 v25, 32, v25
	s_delay_alu instid0(VALU_DEP_1) | instskip(SKIP_1) | instid1(VALU_DEP_2)
	v_subrev_nc_u32_e32 v27, 28, v25
	v_sub_nc_u32_e32 v25, 29, v25
	v_lshlrev_b64 v[27:28], v27, v[3:4]
	s_delay_alu instid0(VALU_DEP_1)
	v_and_b32_e32 v3, 7, v27
; %bb.39:                               ;   in Loop: Header=BB301_10 Depth=1
	s_or_b32 exec_lo, exec_lo, s43
	v_lshlrev_b32_e32 v26, 8, v26
	v_lshl_add_u32 v25, v25, 10, 0x2000
	s_delay_alu instid0(VALU_DEP_1) | instskip(NEXT) | instid1(VALU_DEP_1)
	v_and_or_b32 v25, 0x8000, v26, v25
	v_lshl_or_b32 v3, v3, 7, v25
	s_delay_alu instid0(VALU_DEP_1)
	v_cvt_f32_f16_e32 v25, v3
.LBB301_40:                             ;   in Loop: Header=BB301_10 Depth=1
	s_or_b32 exec_lo, exec_lo, s42
.LBB301_41:                             ;   in Loop: Header=BB301_10 Depth=1
	s_delay_alu instid0(SALU_CYCLE_1)
	s_or_b32 exec_lo, exec_lo, s41
.LBB301_42:                             ;   in Loop: Header=BB301_10 Depth=1
	s_delay_alu instid0(SALU_CYCLE_1)
	s_or_b32 exec_lo, exec_lo, s4
	global_load_u16 v3, v[9:10], off offset:128
	s_mov_b32 s4, exec_lo
	s_waitcnt vmcnt(0)
	v_and_b32_e32 v27, 0xff, v3
	v_and_b32_e32 v26, 0xffff, v3
	s_delay_alu instid0(VALU_DEP_2)
	v_cmpx_ne_u16_e32 0, v27
	s_cbranch_execz .LBB301_50
; %bb.43:                               ;   in Loop: Header=BB301_10 Depth=1
	s_delay_alu instid0(VALU_DEP_2) | instskip(SKIP_2) | instid1(VALU_DEP_2)
	v_and_b32_e32 v3, 0xff, v26
	v_bfrev_b32_e32 v24, 1
	s_mov_b32 s41, exec_lo
	v_cmpx_ne_u16_e32 0x80, v3
	s_cbranch_execz .LBB301_49
; %bb.44:                               ;   in Loop: Header=BB301_10 Depth=1
	v_and_b32_e32 v27, 0x7f, v26
	v_mov_b32_e32 v24, 0x7fc02000
	s_mov_b32 s42, exec_lo
	s_delay_alu instid0(VALU_DEP_2)
	v_cmpx_ne_u32_e32 0x7f, v27
	s_cbranch_execz .LBB301_48
; %bb.45:                               ;   in Loop: Header=BB301_10 Depth=1
	v_and_b32_e32 v3, 7, v26
	v_lshrrev_b32_e32 v24, 3, v27
	s_mov_b32 s43, exec_lo
	v_cmpx_gt_u32_e32 8, v27
; %bb.46:                               ;   in Loop: Header=BB301_10 Depth=1
	s_delay_alu instid0(VALU_DEP_3) | instskip(NEXT) | instid1(VALU_DEP_1)
	v_clz_i32_u32_e32 v24, v3
	v_min_u32_e32 v24, 32, v24
	s_delay_alu instid0(VALU_DEP_1) | instskip(SKIP_1) | instid1(VALU_DEP_2)
	v_subrev_nc_u32_e32 v27, 28, v24
	v_sub_nc_u32_e32 v24, 29, v24
	v_lshlrev_b64 v[27:28], v27, v[3:4]
	s_delay_alu instid0(VALU_DEP_1)
	v_and_b32_e32 v3, 7, v27
; %bb.47:                               ;   in Loop: Header=BB301_10 Depth=1
	s_or_b32 exec_lo, exec_lo, s43
	v_lshlrev_b32_e32 v27, 8, v26
	v_lshl_add_u32 v24, v24, 10, 0x2000
	s_delay_alu instid0(VALU_DEP_1) | instskip(NEXT) | instid1(VALU_DEP_1)
	v_and_or_b32 v24, 0x8000, v27, v24
	v_lshl_or_b32 v3, v3, 7, v24
	s_delay_alu instid0(VALU_DEP_1)
	v_cvt_f32_f16_e32 v24, v3
.LBB301_48:                             ;   in Loop: Header=BB301_10 Depth=1
	s_or_b32 exec_lo, exec_lo, s42
.LBB301_49:                             ;   in Loop: Header=BB301_10 Depth=1
	s_delay_alu instid0(SALU_CYCLE_1)
	s_or_b32 exec_lo, exec_lo, s41
.LBB301_50:                             ;   in Loop: Header=BB301_10 Depth=1
	s_delay_alu instid0(SALU_CYCLE_1) | instskip(NEXT) | instid1(VALU_DEP_2)
	s_or_b32 exec_lo, exec_lo, s4
	v_lshrrev_b16 v3, 8, v26
	v_dual_mov_b32 v26, 0 :: v_dual_mov_b32 v27, 0
	s_mov_b32 s4, exec_lo
	s_delay_alu instid0(VALU_DEP_2)
	v_cmpx_ne_u16_e32 0, v3
	s_cbranch_execz .LBB301_58
; %bb.51:                               ;   in Loop: Header=BB301_10 Depth=1
	v_bfrev_b32_e32 v27, 1
	s_mov_b32 s41, exec_lo
	v_cmpx_ne_u16_e32 0x80, v3
	s_cbranch_execz .LBB301_57
; %bb.52:                               ;   in Loop: Header=BB301_10 Depth=1
	v_and_b32_e32 v28, 0xffff, v3
	v_mov_b32_e32 v27, 0x7fc02000
	s_mov_b32 s42, exec_lo
	s_delay_alu instid0(VALU_DEP_2) | instskip(NEXT) | instid1(VALU_DEP_1)
	v_and_b32_e32 v29, 0x7f, v28
	v_cmpx_ne_u32_e32 0x7f, v29
	s_cbranch_execz .LBB301_56
; %bb.53:                               ;   in Loop: Header=BB301_10 Depth=1
	v_and_b32_e32 v3, 7, v28
	v_lshrrev_b32_e32 v27, 3, v29
	s_mov_b32 s43, exec_lo
	v_cmpx_gt_u32_e32 8, v29
; %bb.54:                               ;   in Loop: Header=BB301_10 Depth=1
	s_delay_alu instid0(VALU_DEP_3) | instskip(NEXT) | instid1(VALU_DEP_1)
	v_clz_i32_u32_e32 v27, v3
	v_min_u32_e32 v27, 32, v27
	s_delay_alu instid0(VALU_DEP_1) | instskip(SKIP_1) | instid1(VALU_DEP_2)
	v_subrev_nc_u32_e32 v29, 28, v27
	v_sub_nc_u32_e32 v27, 29, v27
	v_lshlrev_b64 v[29:30], v29, v[3:4]
	s_delay_alu instid0(VALU_DEP_1)
	v_and_b32_e32 v3, 7, v29
; %bb.55:                               ;   in Loop: Header=BB301_10 Depth=1
	s_or_b32 exec_lo, exec_lo, s43
	v_lshlrev_b32_e32 v28, 8, v28
	v_lshl_add_u32 v27, v27, 10, 0x2000
	s_delay_alu instid0(VALU_DEP_1) | instskip(NEXT) | instid1(VALU_DEP_1)
	v_and_or_b32 v27, 0x8000, v28, v27
	v_lshl_or_b32 v3, v3, 7, v27
	s_delay_alu instid0(VALU_DEP_1)
	v_cvt_f32_f16_e32 v27, v3
.LBB301_56:                             ;   in Loop: Header=BB301_10 Depth=1
	s_or_b32 exec_lo, exec_lo, s42
.LBB301_57:                             ;   in Loop: Header=BB301_10 Depth=1
	s_delay_alu instid0(SALU_CYCLE_1)
	s_or_b32 exec_lo, exec_lo, s41
.LBB301_58:                             ;   in Loop: Header=BB301_10 Depth=1
	s_delay_alu instid0(SALU_CYCLE_1)
	s_or_b32 exec_lo, exec_lo, s4
	global_load_u16 v3, v[9:10], off offset:136
	s_mov_b32 s4, exec_lo
	s_waitcnt vmcnt(0)
	v_and_b32_e32 v29, 0xff, v3
	v_and_b32_e32 v28, 0xffff, v3
	s_delay_alu instid0(VALU_DEP_2)
	v_cmpx_ne_u16_e32 0, v29
	s_cbranch_execz .LBB301_66
; %bb.59:                               ;   in Loop: Header=BB301_10 Depth=1
	s_delay_alu instid0(VALU_DEP_2) | instskip(SKIP_2) | instid1(VALU_DEP_2)
	v_and_b32_e32 v3, 0xff, v28
	v_bfrev_b32_e32 v26, 1
	s_mov_b32 s41, exec_lo
	v_cmpx_ne_u16_e32 0x80, v3
	s_cbranch_execz .LBB301_65
; %bb.60:                               ;   in Loop: Header=BB301_10 Depth=1
	v_and_b32_e32 v29, 0x7f, v28
	v_mov_b32_e32 v26, 0x7fc02000
	s_mov_b32 s42, exec_lo
	s_delay_alu instid0(VALU_DEP_2)
	v_cmpx_ne_u32_e32 0x7f, v29
	s_cbranch_execz .LBB301_64
; %bb.61:                               ;   in Loop: Header=BB301_10 Depth=1
	v_and_b32_e32 v3, 7, v28
	v_lshrrev_b32_e32 v26, 3, v29
	s_mov_b32 s43, exec_lo
	v_cmpx_gt_u32_e32 8, v29
; %bb.62:                               ;   in Loop: Header=BB301_10 Depth=1
	s_delay_alu instid0(VALU_DEP_3) | instskip(NEXT) | instid1(VALU_DEP_1)
	v_clz_i32_u32_e32 v26, v3
	v_min_u32_e32 v26, 32, v26
	s_delay_alu instid0(VALU_DEP_1) | instskip(SKIP_1) | instid1(VALU_DEP_2)
	v_subrev_nc_u32_e32 v29, 28, v26
	v_sub_nc_u32_e32 v26, 29, v26
	v_lshlrev_b64 v[29:30], v29, v[3:4]
	s_delay_alu instid0(VALU_DEP_1)
	v_and_b32_e32 v3, 7, v29
; %bb.63:                               ;   in Loop: Header=BB301_10 Depth=1
	s_or_b32 exec_lo, exec_lo, s43
	v_lshlrev_b32_e32 v29, 8, v28
	v_lshl_add_u32 v26, v26, 10, 0x2000
	s_delay_alu instid0(VALU_DEP_1) | instskip(NEXT) | instid1(VALU_DEP_1)
	v_and_or_b32 v26, 0x8000, v29, v26
	v_lshl_or_b32 v3, v3, 7, v26
	s_delay_alu instid0(VALU_DEP_1)
	v_cvt_f32_f16_e32 v26, v3
.LBB301_64:                             ;   in Loop: Header=BB301_10 Depth=1
	s_or_b32 exec_lo, exec_lo, s42
.LBB301_65:                             ;   in Loop: Header=BB301_10 Depth=1
	s_delay_alu instid0(SALU_CYCLE_1)
	s_or_b32 exec_lo, exec_lo, s41
.LBB301_66:                             ;   in Loop: Header=BB301_10 Depth=1
	s_delay_alu instid0(SALU_CYCLE_1) | instskip(NEXT) | instid1(VALU_DEP_2)
	s_or_b32 exec_lo, exec_lo, s4
	v_lshrrev_b16 v3, 8, v28
	v_dual_mov_b32 v28, 0 :: v_dual_mov_b32 v29, 0
	s_mov_b32 s4, exec_lo
	s_delay_alu instid0(VALU_DEP_2)
	v_cmpx_ne_u16_e32 0, v3
	s_cbranch_execz .LBB301_74
; %bb.67:                               ;   in Loop: Header=BB301_10 Depth=1
	v_bfrev_b32_e32 v29, 1
	s_mov_b32 s41, exec_lo
	v_cmpx_ne_u16_e32 0x80, v3
	s_cbranch_execz .LBB301_73
; %bb.68:                               ;   in Loop: Header=BB301_10 Depth=1
	v_and_b32_e32 v30, 0xffff, v3
	v_mov_b32_e32 v29, 0x7fc02000
	s_mov_b32 s42, exec_lo
	s_delay_alu instid0(VALU_DEP_2) | instskip(NEXT) | instid1(VALU_DEP_1)
	v_and_b32_e32 v31, 0x7f, v30
	v_cmpx_ne_u32_e32 0x7f, v31
	s_cbranch_execz .LBB301_72
; %bb.69:                               ;   in Loop: Header=BB301_10 Depth=1
	v_and_b32_e32 v3, 7, v30
	v_lshrrev_b32_e32 v29, 3, v31
	s_mov_b32 s43, exec_lo
	v_cmpx_gt_u32_e32 8, v31
; %bb.70:                               ;   in Loop: Header=BB301_10 Depth=1
	s_delay_alu instid0(VALU_DEP_3) | instskip(NEXT) | instid1(VALU_DEP_1)
	v_clz_i32_u32_e32 v29, v3
	v_min_u32_e32 v29, 32, v29
	s_delay_alu instid0(VALU_DEP_1) | instskip(SKIP_1) | instid1(VALU_DEP_2)
	v_subrev_nc_u32_e32 v31, 28, v29
	v_sub_nc_u32_e32 v29, 29, v29
	v_lshlrev_b64 v[31:32], v31, v[3:4]
	s_delay_alu instid0(VALU_DEP_1)
	v_and_b32_e32 v3, 7, v31
; %bb.71:                               ;   in Loop: Header=BB301_10 Depth=1
	s_or_b32 exec_lo, exec_lo, s43
	v_lshlrev_b32_e32 v30, 8, v30
	v_lshl_add_u32 v29, v29, 10, 0x2000
	s_delay_alu instid0(VALU_DEP_1) | instskip(NEXT) | instid1(VALU_DEP_1)
	v_and_or_b32 v29, 0x8000, v30, v29
	v_lshl_or_b32 v3, v3, 7, v29
	s_delay_alu instid0(VALU_DEP_1)
	v_cvt_f32_f16_e32 v29, v3
.LBB301_72:                             ;   in Loop: Header=BB301_10 Depth=1
	s_or_b32 exec_lo, exec_lo, s42
.LBB301_73:                             ;   in Loop: Header=BB301_10 Depth=1
	s_delay_alu instid0(SALU_CYCLE_1)
	s_or_b32 exec_lo, exec_lo, s41
.LBB301_74:                             ;   in Loop: Header=BB301_10 Depth=1
	s_delay_alu instid0(SALU_CYCLE_1)
	s_or_b32 exec_lo, exec_lo, s4
	global_load_u16 v3, v[9:10], off offset:256
	s_mov_b32 s4, exec_lo
	s_waitcnt vmcnt(0)
	v_and_b32_e32 v31, 0xff, v3
	v_and_b32_e32 v30, 0xffff, v3
	s_delay_alu instid0(VALU_DEP_2)
	v_cmpx_ne_u16_e32 0, v31
	s_cbranch_execz .LBB301_82
; %bb.75:                               ;   in Loop: Header=BB301_10 Depth=1
	s_delay_alu instid0(VALU_DEP_2) | instskip(SKIP_2) | instid1(VALU_DEP_2)
	v_and_b32_e32 v3, 0xff, v30
	v_bfrev_b32_e32 v28, 1
	s_mov_b32 s41, exec_lo
	v_cmpx_ne_u16_e32 0x80, v3
	s_cbranch_execz .LBB301_81
; %bb.76:                               ;   in Loop: Header=BB301_10 Depth=1
	v_and_b32_e32 v31, 0x7f, v30
	v_mov_b32_e32 v28, 0x7fc02000
	s_mov_b32 s42, exec_lo
	s_delay_alu instid0(VALU_DEP_2)
	v_cmpx_ne_u32_e32 0x7f, v31
	s_cbranch_execz .LBB301_80
; %bb.77:                               ;   in Loop: Header=BB301_10 Depth=1
	v_and_b32_e32 v3, 7, v30
	v_lshrrev_b32_e32 v28, 3, v31
	s_mov_b32 s43, exec_lo
	v_cmpx_gt_u32_e32 8, v31
; %bb.78:                               ;   in Loop: Header=BB301_10 Depth=1
	s_delay_alu instid0(VALU_DEP_3) | instskip(NEXT) | instid1(VALU_DEP_1)
	v_clz_i32_u32_e32 v28, v3
	v_min_u32_e32 v28, 32, v28
	s_delay_alu instid0(VALU_DEP_1) | instskip(SKIP_1) | instid1(VALU_DEP_2)
	v_subrev_nc_u32_e32 v31, 28, v28
	v_sub_nc_u32_e32 v28, 29, v28
	v_lshlrev_b64 v[31:32], v31, v[3:4]
	s_delay_alu instid0(VALU_DEP_1)
	v_and_b32_e32 v3, 7, v31
; %bb.79:                               ;   in Loop: Header=BB301_10 Depth=1
	s_or_b32 exec_lo, exec_lo, s43
	v_lshlrev_b32_e32 v31, 8, v30
	v_lshl_add_u32 v28, v28, 10, 0x2000
	s_delay_alu instid0(VALU_DEP_1) | instskip(NEXT) | instid1(VALU_DEP_1)
	v_and_or_b32 v28, 0x8000, v31, v28
	v_lshl_or_b32 v3, v3, 7, v28
	s_delay_alu instid0(VALU_DEP_1)
	v_cvt_f32_f16_e32 v28, v3
.LBB301_80:                             ;   in Loop: Header=BB301_10 Depth=1
	s_or_b32 exec_lo, exec_lo, s42
.LBB301_81:                             ;   in Loop: Header=BB301_10 Depth=1
	s_delay_alu instid0(SALU_CYCLE_1)
	s_or_b32 exec_lo, exec_lo, s41
.LBB301_82:                             ;   in Loop: Header=BB301_10 Depth=1
	s_delay_alu instid0(SALU_CYCLE_1) | instskip(NEXT) | instid1(VALU_DEP_2)
	s_or_b32 exec_lo, exec_lo, s4
	v_lshrrev_b16 v3, 8, v30
	v_dual_mov_b32 v30, 0 :: v_dual_mov_b32 v31, 0
	s_mov_b32 s4, exec_lo
	s_delay_alu instid0(VALU_DEP_2)
	v_cmpx_ne_u16_e32 0, v3
	s_cbranch_execz .LBB301_90
; %bb.83:                               ;   in Loop: Header=BB301_10 Depth=1
	v_bfrev_b32_e32 v31, 1
	s_mov_b32 s41, exec_lo
	v_cmpx_ne_u16_e32 0x80, v3
	s_cbranch_execz .LBB301_89
; %bb.84:                               ;   in Loop: Header=BB301_10 Depth=1
	v_and_b32_e32 v32, 0xffff, v3
	v_mov_b32_e32 v31, 0x7fc02000
	s_mov_b32 s42, exec_lo
	s_delay_alu instid0(VALU_DEP_2) | instskip(NEXT) | instid1(VALU_DEP_1)
	v_and_b32_e32 v33, 0x7f, v32
	v_cmpx_ne_u32_e32 0x7f, v33
	s_cbranch_execz .LBB301_88
; %bb.85:                               ;   in Loop: Header=BB301_10 Depth=1
	v_and_b32_e32 v3, 7, v32
	v_lshrrev_b32_e32 v31, 3, v33
	s_mov_b32 s43, exec_lo
	v_cmpx_gt_u32_e32 8, v33
; %bb.86:                               ;   in Loop: Header=BB301_10 Depth=1
	s_delay_alu instid0(VALU_DEP_3) | instskip(NEXT) | instid1(VALU_DEP_1)
	v_clz_i32_u32_e32 v31, v3
	v_min_u32_e32 v31, 32, v31
	s_delay_alu instid0(VALU_DEP_1) | instskip(SKIP_1) | instid1(VALU_DEP_2)
	v_subrev_nc_u32_e32 v33, 28, v31
	v_sub_nc_u32_e32 v31, 29, v31
	v_lshlrev_b64 v[33:34], v33, v[3:4]
	s_delay_alu instid0(VALU_DEP_1)
	v_and_b32_e32 v3, 7, v33
; %bb.87:                               ;   in Loop: Header=BB301_10 Depth=1
	s_or_b32 exec_lo, exec_lo, s43
	v_lshlrev_b32_e32 v32, 8, v32
	v_lshl_add_u32 v31, v31, 10, 0x2000
	s_delay_alu instid0(VALU_DEP_1) | instskip(NEXT) | instid1(VALU_DEP_1)
	v_and_or_b32 v31, 0x8000, v32, v31
	v_lshl_or_b32 v3, v3, 7, v31
	s_delay_alu instid0(VALU_DEP_1)
	v_cvt_f32_f16_e32 v31, v3
.LBB301_88:                             ;   in Loop: Header=BB301_10 Depth=1
	s_or_b32 exec_lo, exec_lo, s42
.LBB301_89:                             ;   in Loop: Header=BB301_10 Depth=1
	s_delay_alu instid0(SALU_CYCLE_1)
	s_or_b32 exec_lo, exec_lo, s41
.LBB301_90:                             ;   in Loop: Header=BB301_10 Depth=1
	s_delay_alu instid0(SALU_CYCLE_1)
	s_or_b32 exec_lo, exec_lo, s4
	global_load_u16 v3, v[9:10], off offset:264
	s_mov_b32 s4, exec_lo
	s_waitcnt vmcnt(0)
	v_and_b32_e32 v33, 0xff, v3
	v_and_b32_e32 v32, 0xffff, v3
	s_delay_alu instid0(VALU_DEP_2)
	v_cmpx_ne_u16_e32 0, v33
	s_cbranch_execz .LBB301_98
; %bb.91:                               ;   in Loop: Header=BB301_10 Depth=1
	s_delay_alu instid0(VALU_DEP_2) | instskip(SKIP_2) | instid1(VALU_DEP_2)
	v_and_b32_e32 v3, 0xff, v32
	v_bfrev_b32_e32 v30, 1
	s_mov_b32 s41, exec_lo
	v_cmpx_ne_u16_e32 0x80, v3
	s_cbranch_execz .LBB301_97
; %bb.92:                               ;   in Loop: Header=BB301_10 Depth=1
	v_and_b32_e32 v33, 0x7f, v32
	v_mov_b32_e32 v30, 0x7fc02000
	s_mov_b32 s42, exec_lo
	s_delay_alu instid0(VALU_DEP_2)
	v_cmpx_ne_u32_e32 0x7f, v33
	s_cbranch_execz .LBB301_96
; %bb.93:                               ;   in Loop: Header=BB301_10 Depth=1
	v_and_b32_e32 v3, 7, v32
	v_lshrrev_b32_e32 v30, 3, v33
	s_mov_b32 s43, exec_lo
	v_cmpx_gt_u32_e32 8, v33
; %bb.94:                               ;   in Loop: Header=BB301_10 Depth=1
	s_delay_alu instid0(VALU_DEP_3) | instskip(NEXT) | instid1(VALU_DEP_1)
	v_clz_i32_u32_e32 v30, v3
	v_min_u32_e32 v30, 32, v30
	s_delay_alu instid0(VALU_DEP_1) | instskip(SKIP_1) | instid1(VALU_DEP_2)
	v_subrev_nc_u32_e32 v33, 28, v30
	v_sub_nc_u32_e32 v30, 29, v30
	v_lshlrev_b64 v[33:34], v33, v[3:4]
	s_delay_alu instid0(VALU_DEP_1)
	v_and_b32_e32 v3, 7, v33
; %bb.95:                               ;   in Loop: Header=BB301_10 Depth=1
	s_or_b32 exec_lo, exec_lo, s43
	v_lshlrev_b32_e32 v33, 8, v32
	v_lshl_add_u32 v30, v30, 10, 0x2000
	s_delay_alu instid0(VALU_DEP_1) | instskip(NEXT) | instid1(VALU_DEP_1)
	v_and_or_b32 v30, 0x8000, v33, v30
	v_lshl_or_b32 v3, v3, 7, v30
	s_delay_alu instid0(VALU_DEP_1)
	v_cvt_f32_f16_e32 v30, v3
.LBB301_96:                             ;   in Loop: Header=BB301_10 Depth=1
	s_or_b32 exec_lo, exec_lo, s42
.LBB301_97:                             ;   in Loop: Header=BB301_10 Depth=1
	s_delay_alu instid0(SALU_CYCLE_1)
	s_or_b32 exec_lo, exec_lo, s41
.LBB301_98:                             ;   in Loop: Header=BB301_10 Depth=1
	s_delay_alu instid0(SALU_CYCLE_1) | instskip(NEXT) | instid1(VALU_DEP_2)
	s_or_b32 exec_lo, exec_lo, s4
	v_lshrrev_b16 v3, 8, v32
	v_dual_mov_b32 v32, 0 :: v_dual_mov_b32 v33, 0
	s_mov_b32 s4, exec_lo
	s_delay_alu instid0(VALU_DEP_2)
	v_cmpx_ne_u16_e32 0, v3
	s_cbranch_execz .LBB301_106
; %bb.99:                               ;   in Loop: Header=BB301_10 Depth=1
	v_bfrev_b32_e32 v33, 1
	s_mov_b32 s41, exec_lo
	v_cmpx_ne_u16_e32 0x80, v3
	s_cbranch_execz .LBB301_105
; %bb.100:                              ;   in Loop: Header=BB301_10 Depth=1
	v_and_b32_e32 v34, 0xffff, v3
	v_mov_b32_e32 v33, 0x7fc02000
	s_mov_b32 s42, exec_lo
	s_delay_alu instid0(VALU_DEP_2) | instskip(NEXT) | instid1(VALU_DEP_1)
	v_and_b32_e32 v35, 0x7f, v34
	v_cmpx_ne_u32_e32 0x7f, v35
	s_cbranch_execz .LBB301_104
; %bb.101:                              ;   in Loop: Header=BB301_10 Depth=1
	v_and_b32_e32 v3, 7, v34
	v_lshrrev_b32_e32 v33, 3, v35
	s_mov_b32 s43, exec_lo
	v_cmpx_gt_u32_e32 8, v35
; %bb.102:                              ;   in Loop: Header=BB301_10 Depth=1
	s_delay_alu instid0(VALU_DEP_3) | instskip(NEXT) | instid1(VALU_DEP_1)
	v_clz_i32_u32_e32 v33, v3
	v_min_u32_e32 v33, 32, v33
	s_delay_alu instid0(VALU_DEP_1) | instskip(SKIP_1) | instid1(VALU_DEP_2)
	v_subrev_nc_u32_e32 v35, 28, v33
	v_sub_nc_u32_e32 v33, 29, v33
	v_lshlrev_b64 v[35:36], v35, v[3:4]
	s_delay_alu instid0(VALU_DEP_1)
	v_and_b32_e32 v3, 7, v35
; %bb.103:                              ;   in Loop: Header=BB301_10 Depth=1
	s_or_b32 exec_lo, exec_lo, s43
	v_lshlrev_b32_e32 v34, 8, v34
	v_lshl_add_u32 v33, v33, 10, 0x2000
	s_delay_alu instid0(VALU_DEP_1) | instskip(NEXT) | instid1(VALU_DEP_1)
	v_and_or_b32 v33, 0x8000, v34, v33
	v_lshl_or_b32 v3, v3, 7, v33
	s_delay_alu instid0(VALU_DEP_1)
	v_cvt_f32_f16_e32 v33, v3
.LBB301_104:                            ;   in Loop: Header=BB301_10 Depth=1
	s_or_b32 exec_lo, exec_lo, s42
.LBB301_105:                            ;   in Loop: Header=BB301_10 Depth=1
	s_delay_alu instid0(SALU_CYCLE_1)
	s_or_b32 exec_lo, exec_lo, s41
.LBB301_106:                            ;   in Loop: Header=BB301_10 Depth=1
	s_delay_alu instid0(SALU_CYCLE_1)
	s_or_b32 exec_lo, exec_lo, s4
	global_load_u16 v3, v[9:10], off offset:384
	s_mov_b32 s4, exec_lo
	s_waitcnt vmcnt(0)
	v_and_b32_e32 v35, 0xff, v3
	v_and_b32_e32 v34, 0xffff, v3
	s_delay_alu instid0(VALU_DEP_2)
	v_cmpx_ne_u16_e32 0, v35
	s_cbranch_execz .LBB301_114
; %bb.107:                              ;   in Loop: Header=BB301_10 Depth=1
	s_delay_alu instid0(VALU_DEP_2) | instskip(SKIP_2) | instid1(VALU_DEP_2)
	v_and_b32_e32 v3, 0xff, v34
	v_bfrev_b32_e32 v32, 1
	s_mov_b32 s41, exec_lo
	v_cmpx_ne_u16_e32 0x80, v3
	s_cbranch_execz .LBB301_113
; %bb.108:                              ;   in Loop: Header=BB301_10 Depth=1
	v_and_b32_e32 v35, 0x7f, v34
	v_mov_b32_e32 v32, 0x7fc02000
	s_mov_b32 s42, exec_lo
	s_delay_alu instid0(VALU_DEP_2)
	v_cmpx_ne_u32_e32 0x7f, v35
	s_cbranch_execz .LBB301_112
; %bb.109:                              ;   in Loop: Header=BB301_10 Depth=1
	v_and_b32_e32 v3, 7, v34
	v_lshrrev_b32_e32 v32, 3, v35
	s_mov_b32 s43, exec_lo
	v_cmpx_gt_u32_e32 8, v35
; %bb.110:                              ;   in Loop: Header=BB301_10 Depth=1
	s_delay_alu instid0(VALU_DEP_3) | instskip(NEXT) | instid1(VALU_DEP_1)
	v_clz_i32_u32_e32 v32, v3
	v_min_u32_e32 v32, 32, v32
	s_delay_alu instid0(VALU_DEP_1) | instskip(SKIP_1) | instid1(VALU_DEP_2)
	v_subrev_nc_u32_e32 v35, 28, v32
	v_sub_nc_u32_e32 v32, 29, v32
	v_lshlrev_b64 v[35:36], v35, v[3:4]
	s_delay_alu instid0(VALU_DEP_1)
	v_and_b32_e32 v3, 7, v35
; %bb.111:                              ;   in Loop: Header=BB301_10 Depth=1
	s_or_b32 exec_lo, exec_lo, s43
	v_lshlrev_b32_e32 v35, 8, v34
	v_lshl_add_u32 v32, v32, 10, 0x2000
	s_delay_alu instid0(VALU_DEP_1) | instskip(NEXT) | instid1(VALU_DEP_1)
	v_and_or_b32 v32, 0x8000, v35, v32
	v_lshl_or_b32 v3, v3, 7, v32
	s_delay_alu instid0(VALU_DEP_1)
	v_cvt_f32_f16_e32 v32, v3
.LBB301_112:                            ;   in Loop: Header=BB301_10 Depth=1
	s_or_b32 exec_lo, exec_lo, s42
.LBB301_113:                            ;   in Loop: Header=BB301_10 Depth=1
	s_delay_alu instid0(SALU_CYCLE_1)
	s_or_b32 exec_lo, exec_lo, s41
.LBB301_114:                            ;   in Loop: Header=BB301_10 Depth=1
	s_delay_alu instid0(SALU_CYCLE_1) | instskip(NEXT) | instid1(VALU_DEP_2)
	s_or_b32 exec_lo, exec_lo, s4
	v_lshrrev_b16 v3, 8, v34
	v_dual_mov_b32 v34, 0 :: v_dual_mov_b32 v35, 0
	s_mov_b32 s4, exec_lo
	s_delay_alu instid0(VALU_DEP_2)
	v_cmpx_ne_u16_e32 0, v3
	s_cbranch_execz .LBB301_122
; %bb.115:                              ;   in Loop: Header=BB301_10 Depth=1
	v_bfrev_b32_e32 v35, 1
	s_mov_b32 s41, exec_lo
	v_cmpx_ne_u16_e32 0x80, v3
	s_cbranch_execz .LBB301_121
; %bb.116:                              ;   in Loop: Header=BB301_10 Depth=1
	v_and_b32_e32 v36, 0xffff, v3
	v_mov_b32_e32 v35, 0x7fc02000
	s_mov_b32 s42, exec_lo
	s_delay_alu instid0(VALU_DEP_2) | instskip(NEXT) | instid1(VALU_DEP_1)
	v_and_b32_e32 v37, 0x7f, v36
	v_cmpx_ne_u32_e32 0x7f, v37
	s_cbranch_execz .LBB301_120
; %bb.117:                              ;   in Loop: Header=BB301_10 Depth=1
	v_and_b32_e32 v3, 7, v36
	v_lshrrev_b32_e32 v35, 3, v37
	s_mov_b32 s43, exec_lo
	v_cmpx_gt_u32_e32 8, v37
; %bb.118:                              ;   in Loop: Header=BB301_10 Depth=1
	s_delay_alu instid0(VALU_DEP_3) | instskip(NEXT) | instid1(VALU_DEP_1)
	v_clz_i32_u32_e32 v35, v3
	v_min_u32_e32 v35, 32, v35
	s_delay_alu instid0(VALU_DEP_1) | instskip(SKIP_1) | instid1(VALU_DEP_2)
	v_subrev_nc_u32_e32 v37, 28, v35
	v_sub_nc_u32_e32 v35, 29, v35
	v_lshlrev_b64 v[37:38], v37, v[3:4]
	s_delay_alu instid0(VALU_DEP_1)
	v_and_b32_e32 v3, 7, v37
; %bb.119:                              ;   in Loop: Header=BB301_10 Depth=1
	s_or_b32 exec_lo, exec_lo, s43
	v_lshlrev_b32_e32 v36, 8, v36
	v_lshl_add_u32 v35, v35, 10, 0x2000
	s_delay_alu instid0(VALU_DEP_1) | instskip(NEXT) | instid1(VALU_DEP_1)
	v_and_or_b32 v35, 0x8000, v36, v35
	v_lshl_or_b32 v3, v3, 7, v35
	s_delay_alu instid0(VALU_DEP_1)
	v_cvt_f32_f16_e32 v35, v3
.LBB301_120:                            ;   in Loop: Header=BB301_10 Depth=1
	s_or_b32 exec_lo, exec_lo, s42
.LBB301_121:                            ;   in Loop: Header=BB301_10 Depth=1
	s_delay_alu instid0(SALU_CYCLE_1)
	s_or_b32 exec_lo, exec_lo, s41
.LBB301_122:                            ;   in Loop: Header=BB301_10 Depth=1
	s_delay_alu instid0(SALU_CYCLE_1)
	s_or_b32 exec_lo, exec_lo, s4
	global_load_u16 v3, v[9:10], off offset:392
	s_mov_b32 s4, exec_lo
	s_waitcnt vmcnt(0)
	v_and_b32_e32 v10, 0xff, v3
	v_and_b32_e32 v9, 0xffff, v3
	s_delay_alu instid0(VALU_DEP_2)
	v_cmpx_ne_u16_e32 0, v10
	s_cbranch_execz .LBB301_130
; %bb.123:                              ;   in Loop: Header=BB301_10 Depth=1
	s_delay_alu instid0(VALU_DEP_2) | instskip(SKIP_2) | instid1(VALU_DEP_2)
	v_and_b32_e32 v3, 0xff, v9
	v_bfrev_b32_e32 v34, 1
	s_mov_b32 s41, exec_lo
	v_cmpx_ne_u16_e32 0x80, v3
	s_cbranch_execz .LBB301_129
; %bb.124:                              ;   in Loop: Header=BB301_10 Depth=1
	v_and_b32_e32 v36, 0x7f, v9
	v_mov_b32_e32 v34, 0x7fc02000
	s_mov_b32 s42, exec_lo
	s_delay_alu instid0(VALU_DEP_2)
	v_cmpx_ne_u32_e32 0x7f, v36
	s_cbranch_execz .LBB301_128
; %bb.125:                              ;   in Loop: Header=BB301_10 Depth=1
	v_and_b32_e32 v3, 7, v9
	v_lshrrev_b32_e32 v10, 3, v36
	s_mov_b32 s43, exec_lo
	v_cmpx_gt_u32_e32 8, v36
; %bb.126:                              ;   in Loop: Header=BB301_10 Depth=1
	s_delay_alu instid0(VALU_DEP_3) | instskip(NEXT) | instid1(VALU_DEP_1)
	v_clz_i32_u32_e32 v10, v3
	v_min_u32_e32 v10, 32, v10
	s_delay_alu instid0(VALU_DEP_1) | instskip(SKIP_1) | instid1(VALU_DEP_2)
	v_subrev_nc_u32_e32 v34, 28, v10
	v_sub_nc_u32_e32 v10, 29, v10
	v_lshlrev_b64 v[36:37], v34, v[3:4]
	s_delay_alu instid0(VALU_DEP_1)
	v_and_b32_e32 v3, 7, v36
; %bb.127:                              ;   in Loop: Header=BB301_10 Depth=1
	s_or_b32 exec_lo, exec_lo, s43
	v_lshlrev_b32_e32 v34, 8, v9
	v_lshl_add_u32 v10, v10, 10, 0x2000
	s_delay_alu instid0(VALU_DEP_1) | instskip(NEXT) | instid1(VALU_DEP_1)
	v_and_or_b32 v10, 0x8000, v34, v10
	v_lshl_or_b32 v3, v3, 7, v10
	s_delay_alu instid0(VALU_DEP_1)
	v_cvt_f32_f16_e32 v34, v3
.LBB301_128:                            ;   in Loop: Header=BB301_10 Depth=1
	s_or_b32 exec_lo, exec_lo, s42
.LBB301_129:                            ;   in Loop: Header=BB301_10 Depth=1
	s_delay_alu instid0(SALU_CYCLE_1)
	s_or_b32 exec_lo, exec_lo, s41
.LBB301_130:                            ;   in Loop: Header=BB301_10 Depth=1
	s_delay_alu instid0(SALU_CYCLE_1) | instskip(NEXT) | instid1(VALU_DEP_2)
	s_or_b32 exec_lo, exec_lo, s4
	v_lshrrev_b16 v9, 8, v9
	v_mov_b32_e32 v3, 0
	s_mov_b32 s4, exec_lo
	s_delay_alu instid0(VALU_DEP_2)
	v_cmpx_ne_u16_e32 0, v9
	s_cbranch_execz .LBB301_138
; %bb.131:                              ;   in Loop: Header=BB301_10 Depth=1
	v_bfrev_b32_e32 v3, 1
	s_mov_b32 s41, exec_lo
	v_cmpx_ne_u16_e32 0x80, v9
	s_cbranch_execz .LBB301_137
; %bb.132:                              ;   in Loop: Header=BB301_10 Depth=1
	v_and_b32_e32 v9, 0xffff, v9
	v_mov_b32_e32 v3, 0x7fc02000
	s_mov_b32 s42, exec_lo
	s_delay_alu instid0(VALU_DEP_2) | instskip(NEXT) | instid1(VALU_DEP_1)
	v_and_b32_e32 v36, 0x7f, v9
	v_cmpx_ne_u32_e32 0x7f, v36
	s_cbranch_execz .LBB301_136
; %bb.133:                              ;   in Loop: Header=BB301_10 Depth=1
	v_and_b32_e32 v3, 7, v9
	v_lshrrev_b32_e32 v10, 3, v36
	s_mov_b32 s43, exec_lo
	v_cmpx_gt_u32_e32 8, v36
; %bb.134:                              ;   in Loop: Header=BB301_10 Depth=1
	s_delay_alu instid0(VALU_DEP_3) | instskip(NEXT) | instid1(VALU_DEP_1)
	v_clz_i32_u32_e32 v10, v3
	v_min_u32_e32 v10, 32, v10
	s_delay_alu instid0(VALU_DEP_1) | instskip(SKIP_1) | instid1(VALU_DEP_2)
	v_subrev_nc_u32_e32 v36, 28, v10
	v_sub_nc_u32_e32 v10, 29, v10
	v_lshlrev_b64 v[36:37], v36, v[3:4]
	s_delay_alu instid0(VALU_DEP_1)
	v_and_b32_e32 v3, 7, v36
; %bb.135:                              ;   in Loop: Header=BB301_10 Depth=1
	s_or_b32 exec_lo, exec_lo, s43
	v_lshlrev_b32_e32 v9, 8, v9
	v_lshl_add_u32 v10, v10, 10, 0x2000
	s_delay_alu instid0(VALU_DEP_1) | instskip(NEXT) | instid1(VALU_DEP_1)
	v_and_or_b32 v9, 0x8000, v9, v10
	v_lshl_or_b32 v3, v3, 7, v9
	s_delay_alu instid0(VALU_DEP_1)
	v_cvt_f32_f16_e32 v3, v3
.LBB301_136:                            ;   in Loop: Header=BB301_10 Depth=1
	s_or_b32 exec_lo, exec_lo, s42
.LBB301_137:                            ;   in Loop: Header=BB301_10 Depth=1
	s_delay_alu instid0(SALU_CYCLE_1)
	s_or_b32 exec_lo, exec_lo, s41
.LBB301_138:                            ;   in Loop: Header=BB301_10 Depth=1
	s_delay_alu instid0(SALU_CYCLE_1)
	s_or_b32 exec_lo, exec_lo, s4
	ds_load_b32 v9, v16
	v_fma_mixlo_f16 v10, v20, v21, 0
	v_fma_mixlo_f16 v21, v20, v23, 0
	;; [unrolled: 1-line block ×5, first 2 shown]
	v_and_b32_e32 v10, 0xffff, v10
	v_fma_mixlo_f16 v27, v20, v27, 0
	v_fma_mixlo_f16 v26, v20, v26, 0
	;; [unrolled: 1-line block ×5, first 2 shown]
	v_and_b32_e32 v27, 0xffff, v27
	v_fma_mixlo_f16 v30, v20, v30, 0
	v_and_b32_e32 v29, 0xffff, v29
	v_fma_mixlo_f16 v33, v20, v33, 0
	;; [unrolled: 2-line block ×3, first 2 shown]
	v_fma_mixlo_f16 v35, v20, v35, 0
	v_fma_mixlo_f16 v3, v20, v3, 0
	s_waitcnt lgkmcnt(0)
	v_and_b32_e32 v23, 0xffff, v9
	v_lshrrev_b32_e32 v9, 16, v9
	;;#ASMSTART
	v_cvt_f32_f16 v23, v23;
	;;#ASMEND
	;;#ASMSTART
	v_cvt_f32_f16 v9, v9;
	;;#ASMEND
	;; [unrolled: 3-line block ×3, first 2 shown]
	v_and_b32_e32 v21, 0xffff, v21
	;;#ASMSTART
	v_cvt_f32_f16 v21, v21;
	;;#ASMEND
	ds_load_b32 v36, v16 offset:4
	v_and_b32_e32 v22, 0xffff, v22
	v_and_b32_e32 v33, 0xffff, v33
	;; [unrolled: 1-line block ×4, first 2 shown]
	s_waitcnt lgkmcnt(0)
	v_and_b32_e32 v37, 0xffff, v36
	v_lshrrev_b32_e32 v36, 16, v36
	;;#ASMSTART
	v_cvt_f32_f16 v37, v37;
	;;#ASMEND
	;;#ASMSTART
	v_cvt_f32_f16 v36, v36;
	;;#ASMEND
	;; [unrolled: 3-line block ×3, first 2 shown]
	v_mul_f32_e32 v22, v37, v22
	s_delay_alu instid0(VALU_DEP_1) | instskip(SKIP_3) | instid1(VALU_DEP_1)
	v_dual_fmac_f32 v22, v23, v10 :: v_dual_and_b32 v25, 0xffff, v25
	;;#ASMSTART
	v_cvt_f32_f16 v25, v25;
	;;#ASMEND
	ds_load_b32 v38, v16 offset:8
	v_mul_f32_e32 v25, v36, v25
	v_fmac_f32_e32 v25, v9, v21
	s_waitcnt lgkmcnt(0)
	v_and_b32_e32 v39, 0xffff, v38
	v_lshrrev_b32_e32 v38, 16, v38
	;;#ASMSTART
	v_cvt_f32_f16 v39, v39;
	;;#ASMEND
	;;#ASMSTART
	v_cvt_f32_f16 v38, v38;
	;;#ASMEND
	v_and_b32_e32 v24, 0xffff, v24
	;;#ASMSTART
	v_cvt_f32_f16 v24, v24;
	;;#ASMEND
	;;#ASMSTART
	v_cvt_f32_f16 v27, v27;
	;;#ASMEND
	v_fmac_f32_e32 v25, v38, v27
	ds_load_b32 v40, v16 offset:12
	v_fmac_f32_e32 v22, v39, v24
	v_fma_mixlo_f16 v24, v20, v34, 0
	v_xor_b32_e32 v20, 2, v11
	s_delay_alu instid0(VALU_DEP_2) | instskip(NEXT) | instid1(VALU_DEP_2)
	v_and_b32_e32 v24, 0xffff, v24
	v_cmp_gt_i32_e64 s1, 32, v20
	s_delay_alu instid0(VALU_DEP_1)
	v_cndmask_b32_e64 v20, v11, v20, s1
	s_waitcnt lgkmcnt(0)
	v_and_b32_e32 v41, 0xffff, v40
	v_lshrrev_b32_e32 v40, 16, v40
	;;#ASMSTART
	v_cvt_f32_f16 v41, v41;
	;;#ASMEND
	;;#ASMSTART
	v_cvt_f32_f16 v40, v40;
	;;#ASMEND
	v_and_b32_e32 v26, 0xffff, v26
	;;#ASMSTART
	v_cvt_f32_f16 v26, v26;
	;;#ASMEND
	;;#ASMSTART
	v_cvt_f32_f16 v29, v29;
	;;#ASMEND
	v_fmac_f32_e32 v25, v40, v29
	ds_load_b32 v42, v16 offset:16
	v_fmac_f32_e32 v22, v41, v26
	s_waitcnt lgkmcnt(0)
	v_and_b32_e32 v43, 0xffff, v42
	v_lshrrev_b32_e32 v42, 16, v42
	;;#ASMSTART
	v_cvt_f32_f16 v43, v43;
	;;#ASMEND
	;;#ASMSTART
	v_cvt_f32_f16 v42, v42;
	;;#ASMEND
	v_and_b32_e32 v28, 0xffff, v28
	;;#ASMSTART
	v_cvt_f32_f16 v28, v28;
	;;#ASMEND
	;;#ASMSTART
	v_cvt_f32_f16 v31, v31;
	;;#ASMEND
	v_fmac_f32_e32 v25, v42, v31
	ds_load_b32 v44, v16 offset:20
	v_fmac_f32_e32 v22, v43, v28
	;; [unrolled: 19-line block ×4, first 2 shown]
	s_waitcnt lgkmcnt(0)
	v_lshrrev_b32_e32 v26, 16, v32
	v_and_b32_e32 v27, 0xffff, v32
	;;#ASMSTART
	v_cvt_f32_f16 v9, v27;
	;;#ASMEND
	;;#ASMSTART
	v_cvt_f32_f16 v10, v26;
	;;#ASMEND
	;;#ASMSTART
	v_cvt_f32_f16 v21, v24;
	;;#ASMEND
	;;#ASMSTART
	v_cvt_f32_f16 v3, v3;
	;;#ASMEND
	v_dual_fmac_f32 v22, v9, v21 :: v_dual_fmac_f32 v25, v10, v3
	v_lshlrev_b32_e32 v3, 2, v20
	v_xor_b32_e32 v10, 1, v11
	s_delay_alu instid0(VALU_DEP_3) | instskip(NEXT) | instid1(VALU_DEP_2)
	v_add_f32_e32 v9, v22, v25
	v_cmp_gt_i32_e64 s1, 32, v10
	ds_bpermute_b32 v3, v3, v9
	v_cndmask_b32_e64 v10, v11, v10, s1
	s_waitcnt lgkmcnt(0)
	v_add_f32_e32 v3, v9, v3
	s_delay_alu instid0(VALU_DEP_2)
	v_lshlrev_b32_e32 v9, 2, v10
	ds_bpermute_b32 v9, v9, v3
	s_and_saveexec_b32 s4, vcc_lo
	s_cbranch_execz .LBB301_9
; %bb.139:                              ;   in Loop: Header=BB301_10 Depth=1
	s_waitcnt lgkmcnt(0)
	v_add_f32_e32 v3, v3, v9
	v_add_nc_u32_e32 v10, s6, v17
	v_cmp_gt_i32_e64 s1, s15, v17
	s_delay_alu instid0(VALU_DEP_2) | instskip(NEXT) | instid1(VALU_DEP_1)
	v_cvt_f32_i32_e32 v10, v10
	v_mul_f32_e32 v10, s38, v10
	s_delay_alu instid0(VALU_DEP_1) | instskip(NEXT) | instid1(VALU_DEP_1)
	v_cndmask_b32_e64 v9, 0, v10, s0
	v_dual_max_f32 v10, v13, v13 :: v_dual_fmac_f32 v9, s21, v3
	s_delay_alu instid0(VALU_DEP_1) | instskip(SKIP_1) | instid1(VALU_DEP_2)
	v_max_f32_e32 v3, v10, v9
	v_cndmask_b32_e64 v9, 0, v9, s1
	v_cndmask_b32_e64 v13, v13, v3, s1
	ds_store_b32 v18, v9
	s_branch .LBB301_9
.LBB301_140:
	s_or_b32 exec_lo, exec_lo, s39
.LBB301_141:
	s_delay_alu instid0(SALU_CYCLE_1) | instskip(SKIP_4) | instid1(VALU_DEP_4)
	s_or_b32 exec_lo, exec_lo, s7
	v_xor_b32_e32 v3, 16, v11
	v_xor_b32_e32 v5, 8, v11
	;; [unrolled: 1-line block ×3, first 2 shown]
	v_max_f32_e32 v6, v13, v13
	v_cmp_lt_i32_e32 vcc_lo, v3, v15
	v_cndmask_b32_e32 v3, v11, v3, vcc_lo
	v_cmp_lt_i32_e32 vcc_lo, v5, v15
	s_delay_alu instid0(VALU_DEP_2)
	v_dual_cndmask_b32 v5, v11, v5 :: v_dual_lshlrev_b32 v4, 2, v3
	v_cmp_lt_i32_e32 vcc_lo, v7, v15
	ds_bpermute_b32 v3, v4, v13
	v_lshlrev_b32_e32 v5, 2, v5
	v_cndmask_b32_e32 v7, v11, v7, vcc_lo
	v_and_b32_e32 v13, 31, v0
	s_delay_alu instid0(VALU_DEP_2) | instskip(NEXT) | instid1(VALU_DEP_2)
	v_lshlrev_b32_e32 v7, 2, v7
	v_cmp_eq_u32_e32 vcc_lo, 0, v13
	s_waitcnt lgkmcnt(0)
	v_max_f32_e32 v3, v3, v3
	s_delay_alu instid0(VALU_DEP_1) | instskip(SKIP_3) | instid1(VALU_DEP_1)
	v_max_f32_e32 v3, v6, v3
	ds_bpermute_b32 v6, v5, v3
	s_waitcnt lgkmcnt(0)
	v_max_f32_e32 v6, v6, v6
	v_dual_max_f32 v3, v3, v6 :: v_dual_lshlrev_b32 v6, 2, v12
	ds_bpermute_b32 v8, v7, v3
	s_and_saveexec_b32 s0, vcc_lo
	s_cbranch_execz .LBB301_143
; %bb.142:
	s_waitcnt lgkmcnt(0)
	v_dual_max_f32 v8, v8, v8 :: v_dual_max_f32 v3, v3, v3
	s_delay_alu instid0(VALU_DEP_1)
	v_max_f32_e32 v3, v3, v8
	ds_store_b32 v6, v3 offset:128
.LBB301_143:
	s_or_b32 exec_lo, exec_lo, s0
	v_cmp_gt_u32_e64 s0, 4, v13
	v_dual_mov_b32 v3, 0xff7fffff :: v_dual_lshlrev_b32 v14, 2, v13
	s_waitcnt lgkmcnt(0)
	s_barrier
	buffer_gl0_inv
	s_and_saveexec_b32 s1, s0
	s_cbranch_execz .LBB301_145
; %bb.144:
	ds_load_b32 v3, v14 offset:128
.LBB301_145:
	s_or_b32 exec_lo, exec_lo, s1
	v_xor_b32_e32 v8, 2, v11
	v_xor_b32_e32 v10, 1, v11
	s_delay_alu instid0(VALU_DEP_2) | instskip(NEXT) | instid1(VALU_DEP_1)
	v_cmp_lt_i32_e64 s1, v8, v15
	v_cndmask_b32_e64 v8, v11, v8, s1
	s_delay_alu instid0(VALU_DEP_3) | instskip(NEXT) | instid1(VALU_DEP_2)
	v_cmp_lt_i32_e64 s1, v10, v15
	v_lshlrev_b32_e32 v8, 2, v8
	s_delay_alu instid0(VALU_DEP_2) | instskip(SKIP_2) | instid1(SALU_CYCLE_1)
	v_cndmask_b32_e64 v10, v11, v10, s1
	v_lshlrev_b32_e32 v11, 2, v11
	s_sub_i32 s1, s27, s20
	s_lshl_b32 s1, s1, 3
	s_waitcnt lgkmcnt(0)
	ds_bpermute_b32 v9, v8, v3
	v_max_f32_e32 v3, v3, v3
	s_add_i32 s1, s1, s33
	s_delay_alu instid0(SALU_CYCLE_1) | instskip(NEXT) | instid1(SALU_CYCLE_1)
	s_min_i32 s1, s1, s15
	s_sub_i32 s6, s1, s33
	s_delay_alu instid0(SALU_CYCLE_1) | instskip(SKIP_3) | instid1(VALU_DEP_2)
	v_cmp_gt_i32_e64 s1, s6, v0
	s_waitcnt lgkmcnt(0)
	v_max_f32_e32 v15, v9, v9
	v_lshlrev_b32_e32 v9, 2, v10
	v_max_f32_e32 v3, v3, v15
	v_lshl_add_u32 v15, v0, 2, 0xa0
	ds_bpermute_b32 v10, v9, v3
	s_waitcnt lgkmcnt(0)
	v_max_f32_e32 v10, v10, v10
	s_delay_alu instid0(VALU_DEP_1)
	v_dual_max_f32 v3, v3, v10 :: v_dual_and_b32 v10, 0xffffff80, v11
	v_mov_b32_e32 v11, 0
	ds_bpermute_b32 v3, v10, v3
	s_and_saveexec_b32 s7, s1
	s_cbranch_execz .LBB301_149
; %bb.146:
	v_lshl_add_u32 v16, v0, 2, 0xa0
	v_mov_b32_e32 v11, 0
	v_mov_b32_e32 v17, v0
	s_mov_b32 s8, 0
	.p2align	6
.LBB301_147:                            ; =>This Inner Loop Header: Depth=1
	ds_load_b32 v18, v16
	v_add_nc_u32_e32 v17, 0x80, v17
	s_delay_alu instid0(VALU_DEP_1) | instskip(NEXT) | instid1(VALU_DEP_1)
	v_cmp_le_i32_e64 s4, s6, v17
	s_or_b32 s8, s4, s8
	s_waitcnt lgkmcnt(0)
	v_sub_f32_e32 v18, v18, v3
	s_delay_alu instid0(VALU_DEP_1) | instskip(NEXT) | instid1(VALU_DEP_1)
	v_mul_f32_e32 v18, 0x3fb8aa3b, v18
	v_exp_f32_e32 v18, v18
	ds_store_b32 v16, v18
	v_dual_add_f32 v11, v11, v18 :: v_dual_add_nc_u32 v16, 0x200, v16
	s_and_not1_b32 exec_lo, exec_lo, s8
	s_cbranch_execnz .LBB301_147
; %bb.148:
	s_or_b32 exec_lo, exec_lo, s8
.LBB301_149:
	s_delay_alu instid0(SALU_CYCLE_1)
	s_or_b32 exec_lo, exec_lo, s7
	ds_bpermute_b32 v4, v4, v11
	s_waitcnt lgkmcnt(0)
	v_add_f32_e32 v4, v11, v4
	ds_bpermute_b32 v5, v5, v4
	s_waitcnt lgkmcnt(0)
	v_add_f32_e32 v4, v4, v5
	;; [unrolled: 3-line block ×5, first 2 shown]
	s_and_saveexec_b32 s4, vcc_lo
	s_cbranch_execz .LBB301_151
; %bb.150:
	ds_store_b32 v6, v4 offset:144
.LBB301_151:
	s_or_b32 exec_lo, exec_lo, s4
	s_waitcnt lgkmcnt(0)
	s_barrier
	buffer_gl0_inv
	s_and_saveexec_b32 s4, s0
	s_cbranch_execz .LBB301_153
; %bb.152:
	ds_load_b32 v4, v14 offset:144
.LBB301_153:
	s_or_b32 exec_lo, exec_lo, s4
	s_waitcnt lgkmcnt(0)
	ds_bpermute_b32 v5, v8, v4
	s_waitcnt lgkmcnt(0)
	v_add_f32_e32 v4, v4, v5
	ds_bpermute_b32 v5, v9, v4
	s_waitcnt lgkmcnt(0)
	v_add_f32_e32 v4, v4, v5
	ds_bpermute_b32 v4, v10, v4
	s_and_saveexec_b32 s0, s1
	s_cbranch_execz .LBB301_156
; %bb.154:
	s_waitcnt lgkmcnt(0)
	v_add_f32_e32 v6, 0x358637bd, v4
	s_mov_b32 s1, 0
	s_delay_alu instid0(VALU_DEP_1) | instskip(NEXT) | instid1(VALU_DEP_1)
	v_div_scale_f32 v5, null, v6, v6, 1.0
	v_rcp_f32_e32 v7, v5
	s_waitcnt_depctr 0xfff
	v_fma_f32 v8, -v5, v7, 1.0
	s_delay_alu instid0(VALU_DEP_1) | instskip(SKIP_1) | instid1(VALU_DEP_1)
	v_fmac_f32_e32 v7, v8, v7
	v_div_scale_f32 v9, vcc_lo, 1.0, v6, 1.0
	v_mul_f32_e32 v8, v9, v7
	s_delay_alu instid0(VALU_DEP_1) | instskip(NEXT) | instid1(VALU_DEP_1)
	v_fma_f32 v10, -v5, v8, v9
	v_fmac_f32_e32 v8, v10, v7
	s_delay_alu instid0(VALU_DEP_1) | instskip(NEXT) | instid1(VALU_DEP_1)
	v_fma_f32 v5, -v5, v8, v9
	v_div_fmas_f32 v7, v5, v7, v8
	v_mov_b32_e32 v5, v15
	s_delay_alu instid0(VALU_DEP_2)
	v_div_fixup_f32 v6, v7, v6, 1.0
	v_mov_b32_e32 v7, v0
.LBB301_155:                            ; =>This Inner Loop Header: Depth=1
	ds_load_b32 v8, v5
	s_waitcnt lgkmcnt(0)
	v_dual_mul_f32 v8, v6, v8 :: v_dual_add_nc_u32 v7, 0x80, v7
	s_delay_alu instid0(VALU_DEP_1) | instskip(SKIP_3) | instid1(SALU_CYCLE_1)
	v_cmp_le_i32_e32 vcc_lo, s6, v7
	ds_store_b32 v5, v8
	v_add_nc_u32_e32 v5, 0x200, v5
	s_or_b32 s1, vcc_lo, s1
	s_and_not1_b32 exec_lo, exec_lo, s1
	s_cbranch_execnz .LBB301_155
.LBB301_156:
	s_or_b32 exec_lo, exec_lo, s0
	s_mul_i32 s0, s13, s14
	s_waitcnt lgkmcnt(0)
	s_mul_i32 s6, s0, s25
	s_mov_b32 s0, exec_lo
	s_barrier
	buffer_gl0_inv
	v_cmpx_eq_u32_e32 0, v0
	s_cbranch_execz .LBB301_158
; %bb.157:
	s_ashr_i32 s7, s6, 31
	s_mul_i32 s38, s13, s26
	s_lshl_b64 s[8:9], s[6:7], 2
	v_mov_b32_e32 v5, 0
	s_add_u32 s1, s18, s8
	s_addc_u32 s4, s19, s9
	s_ashr_i32 s39, s38, 31
	s_delay_alu instid0(SALU_CYCLE_1) | instskip(NEXT) | instid1(SALU_CYCLE_1)
	s_lshl_b64 s[18:19], s[38:39], 2
	s_add_u32 s1, s1, s18
	s_addc_u32 s4, s4, s19
	s_ashr_i32 s25, s24, 31
	s_delay_alu instid0(SALU_CYCLE_1) | instskip(NEXT) | instid1(SALU_CYCLE_1)
	s_lshl_b64 s[24:25], s[24:25], 2
	s_add_u32 s38, s1, s24
	s_addc_u32 s39, s4, s25
	s_add_u32 s1, s16, s8
	s_addc_u32 s4, s17, s9
	;; [unrolled: 2-line block ×4, first 2 shown]
	s_clause 0x1
	global_store_b32 v5, v3, s[38:39]
	global_store_b32 v5, v4, s[8:9]
.LBB301_158:
	s_or_b32 exec_lo, exec_lo, s0
	v_dual_mov_b32 v17, 0 :: v_dual_mov_b32 v16, 0
	s_mov_b32 s4, 0
	s_and_saveexec_b32 s1, s3
	s_cbranch_execz .LBB301_286
; %bb.159:
	v_dual_mov_b32 v3, 0 :: v_dual_lshlrev_b32 v4, 3, v13
	s_ashr_i32 s0, s37, 31
	s_add_u32 s3, s34, s37
	v_lshlrev_b64 v[6:7], 2, v[1:2]
	s_addc_u32 s0, s35, s0
	v_add_co_u32 v4, s3, s3, v4
	s_lshl_b64 s[16:17], s[30:31], 2
	s_add_i32 s36, s36, -1
	v_add_co_ci_u32_e64 v5, null, s0, 0, s3
	s_add_u32 s0, s28, s16
	s_addc_u32 s3, s29, s17
	v_add_co_u32 v6, vcc_lo, s0, v6
	v_lshl_add_u32 v18, v12, 3, s33
	v_lshl_add_u32 v19, v12, 5, 0xa0
	v_add_co_ci_u32_e32 v7, vcc_lo, s3, v7, vcc_lo
	v_dual_mov_b32 v16, 0 :: v_dual_mov_b32 v17, 0
	s_mov_b32 s8, -1
	s_mov_b32 s9, 0xffffff
	s_mov_b32 s3, s5
	;; [unrolled: 1-line block ×3, first 2 shown]
	s_branch .LBB301_161
.LBB301_160:                            ;   in Loop: Header=BB301_161 Depth=1
	s_or_b32 exec_lo, exec_lo, s0
	;;#ASMSTART
	v_pk_mul_f16 v9, v29, v32;

	;;#ASMEND
	;;#ASMSTART
	v_pk_mul_f16 v10, v27, v31;

	;;#ASMEND
	;; [unrolled: 4-line block ×4, first 2 shown]
	;;#ASMSTART
	v_pk_add_f16 v9, v9, v10;

	;;#ASMEND
	;;#ASMSTART
	v_pk_add_f16 v2, v9, v2;

	;;#ASMEND
	v_add_f32_e32 v9, v28, v30
	;;#ASMSTART
	v_pk_add_f16 v2, v2, v8;

	;;#ASMEND
	v_and_b32_e32 v8, 0xffff, v2
	v_lshrrev_b32_e32 v2, 16, v2
	v_add_nc_u32_e32 v1, 4, v1
	v_add_f32_e32 v17, v17, v9
	;;#ASMSTART
	v_cvt_f32_f16 v8, v8;
	;;#ASMEND
	;;#ASMSTART
	v_cvt_f32_f16 v2, v2;
	;;#ASMEND
	v_add_f32_e32 v2, v8, v2
	v_cmp_le_i32_e32 vcc_lo, s27, v1
	v_add_co_u32 v6, s0, v6, 16
	v_add_nc_u32_e32 v18, 32, v18
	s_delay_alu instid0(VALU_DEP_4) | instskip(SKIP_2) | instid1(SALU_CYCLE_1)
	v_dual_add_f32 v16, v16, v2 :: v_dual_add_nc_u32 v19, 0x80, v19
	v_add_co_ci_u32_e64 v7, s0, 0, v7, s0
	s_or_b32 s4, vcc_lo, s4
	s_and_not1_b32 exec_lo, exec_lo, s4
	s_cbranch_execz .LBB301_285
.LBB301_161:                            ; =>This Inner Loop Header: Depth=1
	global_load_b32 v2, v[6:7], off
	ds_load_2addr_b64 v[20:23], v19 offset1:1
	ds_load_2addr_b64 v[31:34], v19 offset0:2 offset1:3
	s_mov_b32 s0, exec_lo
	s_waitcnt lgkmcnt(1)
	;;#ASMSTART
	v_cvt_f16_f32 v25, v20;

	;;#ASMEND
	;;#ASMSTART
	v_cvt_f16_f32 v26, v21;

	;;#ASMEND
	;; [unrolled: 4-line block ×4, first 2 shown]
	s_waitcnt lgkmcnt(0)
	;;#ASMSTART
	v_cvt_f16_f32 v31, v31;

	;;#ASMEND
	;;#ASMSTART
	v_cvt_f16_f32 v28, v32;

	;;#ASMEND
	;;#ASMSTART
	v_cvt_f16_f32 v32, v33;

	;;#ASMEND
	;;#ASMSTART
	v_cvt_f16_f32 v30, v34;

	;;#ASMEND
	v_mov_b32_e32 v21, 0
	s_waitcnt vmcnt(0)
	v_mad_i64_i32 v[8:9], null, v2, s3, v[4:5]
	global_load_b64 v[10:11], v[8:9], off
	global_load_b32 v20, v3, s[10:11]
	s_waitcnt vmcnt(1)
	v_and_b32_e32 v2, 0xff, v10
	s_delay_alu instid0(VALU_DEP_1)
	v_cmpx_ne_u16_e32 0, v2
	s_cbranch_execz .LBB301_167
; %bb.162:                              ;   in Loop: Header=BB301_161 Depth=1
	v_bfrev_b32_e32 v21, 1
	s_mov_b32 s7, exec_lo
	v_cmpx_ne_u16_e32 0x80, v2
	s_cbranch_execz .LBB301_166
; %bb.163:                              ;   in Loop: Header=BB301_161 Depth=1
	v_and_b32_e32 v2, 0x7f, v10
	v_mov_b32_e32 v21, 0x7fc02000
	s_mov_b32 s14, exec_lo
	s_delay_alu instid0(VALU_DEP_2)
	v_cmpx_ne_u32_e32 0x7f, v2
	s_cbranch_execz .LBB301_165
; %bb.164:                              ;   in Loop: Header=BB301_161 Depth=1
	v_cmp_gt_u32_e32 vcc_lo, 8, v2
	v_and_b32_e32 v21, 7, v10
	v_lshrrev_b32_e32 v22, 3, v2
	s_delay_alu instid0(VALU_DEP_2) | instskip(NEXT) | instid1(VALU_DEP_1)
	v_clz_i32_u32_e32 v21, v21
	v_min_u32_e32 v21, 32, v21
	s_delay_alu instid0(VALU_DEP_1) | instskip(SKIP_1) | instid1(VALU_DEP_1)
	v_subrev_nc_u32_e32 v23, 28, v21
	v_sub_nc_u32_e32 v21, 29, v21
	v_dual_cndmask_b32 v2, 0, v23 :: v_dual_cndmask_b32 v23, v22, v21
	s_delay_alu instid0(VALU_DEP_1) | instskip(SKIP_1) | instid1(VALU_DEP_3)
	v_lshlrev_b64 v[21:22], v2, v[10:11]
	v_lshlrev_b32_e32 v2, 8, v10
	v_lshl_add_u32 v22, v23, 10, 0x2000
	s_delay_alu instid0(VALU_DEP_3) | instskip(NEXT) | instid1(VALU_DEP_2)
	v_lshlrev_b32_e32 v21, 7, v21
	v_and_or_b32 v2, 0x8000, v2, v22
	s_delay_alu instid0(VALU_DEP_1) | instskip(NEXT) | instid1(VALU_DEP_1)
	v_and_or_b32 v2, 0x380, v21, v2
	v_cvt_f32_f16_e32 v21, v2
.LBB301_165:                            ;   in Loop: Header=BB301_161 Depth=1
	s_or_b32 exec_lo, exec_lo, s14
.LBB301_166:                            ;   in Loop: Header=BB301_161 Depth=1
	s_delay_alu instid0(SALU_CYCLE_1)
	s_or_b32 exec_lo, exec_lo, s7
.LBB301_167:                            ;   in Loop: Header=BB301_161 Depth=1
	s_delay_alu instid0(SALU_CYCLE_1) | instskip(SKIP_3) | instid1(VALU_DEP_2)
	s_or_b32 exec_lo, exec_lo, s0
	v_lshrrev_b16 v2, 8, v10
	v_dual_mov_b32 v23, 0 :: v_dual_mov_b32 v22, 0
	s_mov_b32 s0, exec_lo
	v_cmpx_ne_u16_e32 0, v2
	s_cbranch_execz .LBB301_175
; %bb.168:                              ;   in Loop: Header=BB301_161 Depth=1
	v_bfrev_b32_e32 v22, 1
	s_mov_b32 s7, exec_lo
	v_cmpx_ne_u16_e32 0x80, v2
	s_cbranch_execz .LBB301_174
; %bb.169:                              ;   in Loop: Header=BB301_161 Depth=1
	v_and_b32_e32 v24, 0xffff, v2
	v_mov_b32_e32 v22, 0x7fc02000
	s_mov_b32 s14, exec_lo
	s_delay_alu instid0(VALU_DEP_2) | instskip(NEXT) | instid1(VALU_DEP_1)
	v_and_b32_e32 v33, 0x7f, v24
	v_cmpx_ne_u32_e32 0x7f, v33
	s_cbranch_execz .LBB301_173
; %bb.170:                              ;   in Loop: Header=BB301_161 Depth=1
	v_and_b32_e32 v2, 7, v24
	v_lshrrev_b32_e32 v22, 3, v33
	s_mov_b32 s16, exec_lo
	v_cmpx_gt_u32_e32 8, v33
; %bb.171:                              ;   in Loop: Header=BB301_161 Depth=1
	s_delay_alu instid0(VALU_DEP_3) | instskip(NEXT) | instid1(VALU_DEP_1)
	v_clz_i32_u32_e32 v22, v2
	v_min_u32_e32 v22, 32, v22
	s_delay_alu instid0(VALU_DEP_1) | instskip(SKIP_1) | instid1(VALU_DEP_2)
	v_subrev_nc_u32_e32 v33, 28, v22
	v_sub_nc_u32_e32 v22, 29, v22
	v_lshlrev_b64 v[33:34], v33, v[2:3]
	s_delay_alu instid0(VALU_DEP_1)
	v_and_b32_e32 v2, 7, v33
; %bb.172:                              ;   in Loop: Header=BB301_161 Depth=1
	s_or_b32 exec_lo, exec_lo, s16
	v_lshlrev_b32_e32 v24, 8, v24
	v_lshl_add_u32 v22, v22, 10, 0x2000
	s_delay_alu instid0(VALU_DEP_1) | instskip(NEXT) | instid1(VALU_DEP_1)
	v_and_or_b32 v22, 0x8000, v24, v22
	v_lshl_or_b32 v2, v2, 7, v22
	s_delay_alu instid0(VALU_DEP_1)
	v_cvt_f32_f16_e32 v22, v2
.LBB301_173:                            ;   in Loop: Header=BB301_161 Depth=1
	s_or_b32 exec_lo, exec_lo, s14
.LBB301_174:                            ;   in Loop: Header=BB301_161 Depth=1
	s_delay_alu instid0(SALU_CYCLE_1)
	s_or_b32 exec_lo, exec_lo, s7
.LBB301_175:                            ;   in Loop: Header=BB301_161 Depth=1
	s_delay_alu instid0(SALU_CYCLE_1) | instskip(SKIP_2) | instid1(VALU_DEP_1)
	s_or_b32 exec_lo, exec_lo, s0
	v_lshrrev_b32_e32 v24, 16, v10
	s_mov_b32 s0, exec_lo
	v_and_b32_e32 v2, 0xff, v24
	s_delay_alu instid0(VALU_DEP_1)
	v_cmpx_ne_u16_e32 0, v2
	s_cbranch_execz .LBB301_183
; %bb.176:                              ;   in Loop: Header=BB301_161 Depth=1
	v_bfrev_b32_e32 v23, 1
	s_mov_b32 s7, exec_lo
	v_cmpx_ne_u16_e32 0x80, v2
	s_cbranch_execz .LBB301_182
; %bb.177:                              ;   in Loop: Header=BB301_161 Depth=1
	v_bfe_u32 v33, v10, 16, 7
	v_mov_b32_e32 v23, 0x7fc02000
	s_mov_b32 s14, exec_lo
	s_delay_alu instid0(VALU_DEP_2)
	v_cmpx_ne_u32_e32 0x7f, v33
	s_cbranch_execz .LBB301_181
; %bb.178:                              ;   in Loop: Header=BB301_161 Depth=1
	v_and_b32_e32 v2, 7, v24
	v_lshrrev_b32_e32 v23, 3, v33
	s_mov_b32 s16, exec_lo
	v_cmpx_gt_u32_e32 8, v33
; %bb.179:                              ;   in Loop: Header=BB301_161 Depth=1
	s_delay_alu instid0(VALU_DEP_3) | instskip(NEXT) | instid1(VALU_DEP_1)
	v_clz_i32_u32_e32 v23, v2
	v_min_u32_e32 v23, 32, v23
	s_delay_alu instid0(VALU_DEP_1) | instskip(SKIP_1) | instid1(VALU_DEP_2)
	v_subrev_nc_u32_e32 v33, 28, v23
	v_sub_nc_u32_e32 v23, 29, v23
	v_lshlrev_b64 v[33:34], v33, v[2:3]
	s_delay_alu instid0(VALU_DEP_1)
	v_and_b32_e32 v2, 7, v33
; %bb.180:                              ;   in Loop: Header=BB301_161 Depth=1
	s_or_b32 exec_lo, exec_lo, s16
	v_lshlrev_b32_e32 v24, 8, v24
	v_lshl_add_u32 v23, v23, 10, 0x2000
	s_delay_alu instid0(VALU_DEP_1) | instskip(NEXT) | instid1(VALU_DEP_1)
	v_and_or_b32 v23, 0x8000, v24, v23
	v_lshl_or_b32 v2, v2, 7, v23
	s_delay_alu instid0(VALU_DEP_1)
	v_cvt_f32_f16_e32 v23, v2
.LBB301_181:                            ;   in Loop: Header=BB301_161 Depth=1
	s_or_b32 exec_lo, exec_lo, s14
.LBB301_182:                            ;   in Loop: Header=BB301_161 Depth=1
	s_delay_alu instid0(SALU_CYCLE_1)
	s_or_b32 exec_lo, exec_lo, s7
.LBB301_183:                            ;   in Loop: Header=BB301_161 Depth=1
	s_delay_alu instid0(SALU_CYCLE_1)
	s_or_b32 exec_lo, exec_lo, s0
	v_dual_mov_b32 v24, 0 :: v_dual_mov_b32 v33, 0
	s_mov_b32 s0, exec_lo
	v_cmpx_lt_u32_e32 0xffffff, v10
	s_cbranch_execz .LBB301_191
; %bb.184:                              ;   in Loop: Header=BB301_161 Depth=1
	v_lshrrev_b32_e32 v34, 24, v10
	v_bfrev_b32_e32 v33, 1
	s_mov_b32 s7, exec_lo
	s_delay_alu instid0(VALU_DEP_2)
	v_cmpx_ne_u32_e32 0x80, v34
	s_cbranch_execz .LBB301_190
; %bb.185:                              ;   in Loop: Header=BB301_161 Depth=1
	v_and_b32_e32 v35, 0x7f, v34
	v_mov_b32_e32 v33, 0x7fc02000
	s_mov_b32 s14, exec_lo
	s_delay_alu instid0(VALU_DEP_2)
	v_cmpx_ne_u32_e32 0x7f, v35
	s_cbranch_execz .LBB301_189
; %bb.186:                              ;   in Loop: Header=BB301_161 Depth=1
	v_and_b32_e32 v2, 7, v34
	v_lshrrev_b32_e32 v33, 3, v35
	s_mov_b32 s16, exec_lo
	v_cmpx_gt_u32_e32 8, v35
; %bb.187:                              ;   in Loop: Header=BB301_161 Depth=1
	s_delay_alu instid0(VALU_DEP_3) | instskip(NEXT) | instid1(VALU_DEP_1)
	v_clz_i32_u32_e32 v33, v2
	v_min_u32_e32 v33, 32, v33
	s_delay_alu instid0(VALU_DEP_1) | instskip(SKIP_1) | instid1(VALU_DEP_2)
	v_subrev_nc_u32_e32 v35, 28, v33
	v_sub_nc_u32_e32 v33, 29, v33
	v_lshlrev_b64 v[35:36], v35, v[2:3]
	s_delay_alu instid0(VALU_DEP_1)
	v_and_b32_e32 v2, 7, v35
; %bb.188:                              ;   in Loop: Header=BB301_161 Depth=1
	s_or_b32 exec_lo, exec_lo, s16
	v_lshlrev_b32_e32 v34, 8, v34
	v_lshl_add_u32 v33, v33, 10, 0x2000
	s_delay_alu instid0(VALU_DEP_1) | instskip(NEXT) | instid1(VALU_DEP_1)
	v_and_or_b32 v33, 0x8000, v34, v33
	v_lshl_or_b32 v2, v2, 7, v33
	s_delay_alu instid0(VALU_DEP_1)
	v_cvt_f32_f16_e32 v33, v2
.LBB301_189:                            ;   in Loop: Header=BB301_161 Depth=1
	s_or_b32 exec_lo, exec_lo, s14
.LBB301_190:                            ;   in Loop: Header=BB301_161 Depth=1
	s_delay_alu instid0(SALU_CYCLE_1)
	s_or_b32 exec_lo, exec_lo, s7
.LBB301_191:                            ;   in Loop: Header=BB301_161 Depth=1
	s_delay_alu instid0(SALU_CYCLE_1) | instskip(SKIP_3) | instid1(VALU_DEP_2)
	s_or_b32 exec_lo, exec_lo, s0
	v_and_b32_e32 v34, 0xff, v11
	v_mov_b32_e32 v2, v11
	s_mov_b32 s0, exec_lo
	v_cmpx_ne_u16_e32 0, v34
	s_cbranch_execz .LBB301_197
; %bb.192:                              ;   in Loop: Header=BB301_161 Depth=1
	v_bfrev_b32_e32 v24, 1
	s_mov_b32 s7, exec_lo
	v_cmpx_ne_u16_e32 0x80, v34
	s_cbranch_execz .LBB301_196
; %bb.193:                              ;   in Loop: Header=BB301_161 Depth=1
	v_and_b32_e32 v34, 0x7f, v11
	v_mov_b32_e32 v24, 0x7fc02000
	s_mov_b32 s14, exec_lo
	s_delay_alu instid0(VALU_DEP_2)
	v_cmpx_ne_u32_e32 0x7f, v34
	s_cbranch_execz .LBB301_195
; %bb.194:                              ;   in Loop: Header=BB301_161 Depth=1
	v_and_b32_e32 v24, 7, v11
	v_cmp_gt_u32_e32 vcc_lo, 8, v34
	v_lshrrev_b32_e32 v35, 3, v34
	s_delay_alu instid0(VALU_DEP_3) | instskip(NEXT) | instid1(VALU_DEP_1)
	v_clz_i32_u32_e32 v24, v24
	v_min_u32_e32 v24, 32, v24
	s_delay_alu instid0(VALU_DEP_1) | instskip(SKIP_1) | instid1(VALU_DEP_2)
	v_subrev_nc_u32_e32 v36, 28, v24
	v_sub_nc_u32_e32 v24, 29, v24
	v_cndmask_b32_e32 v34, 0, v36, vcc_lo
	s_delay_alu instid0(VALU_DEP_2) | instskip(NEXT) | instid1(VALU_DEP_2)
	v_cndmask_b32_e32 v24, v35, v24, vcc_lo
	v_lshlrev_b64 v[34:35], v34, v[2:3]
	v_lshlrev_b32_e32 v35, 8, v11
	s_delay_alu instid0(VALU_DEP_3) | instskip(NEXT) | instid1(VALU_DEP_3)
	v_lshl_add_u32 v24, v24, 10, 0x2000
	v_lshlrev_b32_e32 v34, 7, v34
	s_delay_alu instid0(VALU_DEP_2) | instskip(NEXT) | instid1(VALU_DEP_1)
	v_and_or_b32 v24, 0x8000, v35, v24
	v_and_or_b32 v24, 0x380, v34, v24
	s_delay_alu instid0(VALU_DEP_1)
	v_cvt_f32_f16_e32 v24, v24
.LBB301_195:                            ;   in Loop: Header=BB301_161 Depth=1
	s_or_b32 exec_lo, exec_lo, s14
.LBB301_196:                            ;   in Loop: Header=BB301_161 Depth=1
	s_delay_alu instid0(SALU_CYCLE_1)
	s_or_b32 exec_lo, exec_lo, s7
.LBB301_197:                            ;   in Loop: Header=BB301_161 Depth=1
	s_delay_alu instid0(SALU_CYCLE_1) | instskip(SKIP_3) | instid1(VALU_DEP_2)
	s_or_b32 exec_lo, exec_lo, s0
	v_lshrrev_b16 v2, 8, v2
	v_dual_mov_b32 v34, 0 :: v_dual_mov_b32 v35, 0
	s_mov_b32 s0, exec_lo
	v_cmpx_ne_u16_e32 0, v2
	s_cbranch_execz .LBB301_205
; %bb.198:                              ;   in Loop: Header=BB301_161 Depth=1
	v_bfrev_b32_e32 v35, 1
	s_mov_b32 s7, exec_lo
	v_cmpx_ne_u16_e32 0x80, v2
	s_cbranch_execz .LBB301_204
; %bb.199:                              ;   in Loop: Header=BB301_161 Depth=1
	v_and_b32_e32 v36, 0xffff, v2
	v_mov_b32_e32 v35, 0x7fc02000
	s_mov_b32 s14, exec_lo
	s_delay_alu instid0(VALU_DEP_2) | instskip(NEXT) | instid1(VALU_DEP_1)
	v_and_b32_e32 v37, 0x7f, v36
	v_cmpx_ne_u32_e32 0x7f, v37
	s_cbranch_execz .LBB301_203
; %bb.200:                              ;   in Loop: Header=BB301_161 Depth=1
	v_and_b32_e32 v2, 7, v36
	v_lshrrev_b32_e32 v35, 3, v37
	s_mov_b32 s16, exec_lo
	v_cmpx_gt_u32_e32 8, v37
; %bb.201:                              ;   in Loop: Header=BB301_161 Depth=1
	s_delay_alu instid0(VALU_DEP_3) | instskip(NEXT) | instid1(VALU_DEP_1)
	v_clz_i32_u32_e32 v35, v2
	v_min_u32_e32 v35, 32, v35
	s_delay_alu instid0(VALU_DEP_1) | instskip(SKIP_1) | instid1(VALU_DEP_2)
	v_subrev_nc_u32_e32 v37, 28, v35
	v_sub_nc_u32_e32 v35, 29, v35
	v_lshlrev_b64 v[37:38], v37, v[2:3]
	s_delay_alu instid0(VALU_DEP_1)
	v_and_b32_e32 v2, 7, v37
; %bb.202:                              ;   in Loop: Header=BB301_161 Depth=1
	s_or_b32 exec_lo, exec_lo, s16
	v_lshlrev_b32_e32 v36, 8, v36
	v_lshl_add_u32 v35, v35, 10, 0x2000
	s_delay_alu instid0(VALU_DEP_1) | instskip(NEXT) | instid1(VALU_DEP_1)
	v_and_or_b32 v35, 0x8000, v36, v35
	v_lshl_or_b32 v2, v2, 7, v35
	s_delay_alu instid0(VALU_DEP_1)
	v_cvt_f32_f16_e32 v35, v2
.LBB301_203:                            ;   in Loop: Header=BB301_161 Depth=1
	s_or_b32 exec_lo, exec_lo, s14
.LBB301_204:                            ;   in Loop: Header=BB301_161 Depth=1
	s_delay_alu instid0(SALU_CYCLE_1)
	s_or_b32 exec_lo, exec_lo, s7
.LBB301_205:                            ;   in Loop: Header=BB301_161 Depth=1
	s_delay_alu instid0(SALU_CYCLE_1) | instskip(SKIP_2) | instid1(VALU_DEP_1)
	s_or_b32 exec_lo, exec_lo, s0
	v_lshrrev_b32_e32 v36, 16, v11
	s_mov_b32 s0, exec_lo
	v_and_b32_e32 v2, 0xff, v36
	s_delay_alu instid0(VALU_DEP_1)
	v_cmpx_ne_u16_e32 0, v2
	s_cbranch_execz .LBB301_213
; %bb.206:                              ;   in Loop: Header=BB301_161 Depth=1
	v_bfrev_b32_e32 v34, 1
	s_mov_b32 s7, exec_lo
	v_cmpx_ne_u16_e32 0x80, v2
	s_cbranch_execz .LBB301_212
; %bb.207:                              ;   in Loop: Header=BB301_161 Depth=1
	v_bfe_u32 v37, v11, 16, 7
	v_mov_b32_e32 v34, 0x7fc02000
	s_mov_b32 s14, exec_lo
	s_delay_alu instid0(VALU_DEP_2)
	v_cmpx_ne_u32_e32 0x7f, v37
	s_cbranch_execz .LBB301_211
; %bb.208:                              ;   in Loop: Header=BB301_161 Depth=1
	v_and_b32_e32 v2, 7, v36
	v_lshrrev_b32_e32 v34, 3, v37
	s_mov_b32 s16, exec_lo
	v_cmpx_gt_u32_e32 8, v37
; %bb.209:                              ;   in Loop: Header=BB301_161 Depth=1
	s_delay_alu instid0(VALU_DEP_3) | instskip(NEXT) | instid1(VALU_DEP_1)
	v_clz_i32_u32_e32 v34, v2
	v_min_u32_e32 v34, 32, v34
	s_delay_alu instid0(VALU_DEP_1) | instskip(SKIP_1) | instid1(VALU_DEP_2)
	v_subrev_nc_u32_e32 v37, 28, v34
	v_sub_nc_u32_e32 v34, 29, v34
	v_lshlrev_b64 v[37:38], v37, v[2:3]
	s_delay_alu instid0(VALU_DEP_1)
	v_and_b32_e32 v2, 7, v37
; %bb.210:                              ;   in Loop: Header=BB301_161 Depth=1
	s_or_b32 exec_lo, exec_lo, s16
	v_lshlrev_b32_e32 v36, 8, v36
	v_lshl_add_u32 v34, v34, 10, 0x2000
	s_delay_alu instid0(VALU_DEP_1) | instskip(NEXT) | instid1(VALU_DEP_1)
	v_and_or_b32 v34, 0x8000, v36, v34
	v_lshl_or_b32 v2, v2, 7, v34
	s_delay_alu instid0(VALU_DEP_1)
	v_cvt_f32_f16_e32 v34, v2
.LBB301_211:                            ;   in Loop: Header=BB301_161 Depth=1
	s_or_b32 exec_lo, exec_lo, s14
.LBB301_212:                            ;   in Loop: Header=BB301_161 Depth=1
	s_delay_alu instid0(SALU_CYCLE_1)
	s_or_b32 exec_lo, exec_lo, s7
.LBB301_213:                            ;   in Loop: Header=BB301_161 Depth=1
	s_delay_alu instid0(SALU_CYCLE_1)
	s_or_b32 exec_lo, exec_lo, s0
	v_mov_b32_e32 v2, 0
	s_mov_b32 s0, exec_lo
	v_cmpx_lt_u64_e64 s[8:9], v[10:11]
	s_cbranch_execz .LBB301_221
; %bb.214:                              ;   in Loop: Header=BB301_161 Depth=1
	v_lshrrev_b32_e32 v10, 24, v11
	v_bfrev_b32_e32 v2, 1
	s_mov_b32 s7, exec_lo
	s_delay_alu instid0(VALU_DEP_2)
	v_cmpx_ne_u32_e32 0x80, v10
	s_cbranch_execz .LBB301_220
; %bb.215:                              ;   in Loop: Header=BB301_161 Depth=1
	v_and_b32_e32 v36, 0x7f, v10
	v_mov_b32_e32 v2, 0x7fc02000
	s_mov_b32 s14, exec_lo
	s_delay_alu instid0(VALU_DEP_2)
	v_cmpx_ne_u32_e32 0x7f, v36
	s_cbranch_execz .LBB301_219
; %bb.216:                              ;   in Loop: Header=BB301_161 Depth=1
	v_and_b32_e32 v2, 7, v10
	v_lshrrev_b32_e32 v11, 3, v36
	s_mov_b32 s16, exec_lo
	v_cmpx_gt_u32_e32 8, v36
; %bb.217:                              ;   in Loop: Header=BB301_161 Depth=1
	s_delay_alu instid0(VALU_DEP_3) | instskip(NEXT) | instid1(VALU_DEP_1)
	v_clz_i32_u32_e32 v11, v2
	v_min_u32_e32 v11, 32, v11
	s_delay_alu instid0(VALU_DEP_1) | instskip(SKIP_1) | instid1(VALU_DEP_2)
	v_subrev_nc_u32_e32 v36, 28, v11
	v_sub_nc_u32_e32 v11, 29, v11
	v_lshlrev_b64 v[36:37], v36, v[2:3]
	s_delay_alu instid0(VALU_DEP_1)
	v_and_b32_e32 v2, 7, v36
; %bb.218:                              ;   in Loop: Header=BB301_161 Depth=1
	s_or_b32 exec_lo, exec_lo, s16
	v_lshlrev_b32_e32 v10, 8, v10
	v_lshl_add_u32 v11, v11, 10, 0x2000
	s_delay_alu instid0(VALU_DEP_1) | instskip(NEXT) | instid1(VALU_DEP_1)
	v_and_or_b32 v10, 0x8000, v10, v11
	v_lshl_or_b32 v2, v2, 7, v10
	s_delay_alu instid0(VALU_DEP_1)
	v_cvt_f32_f16_e32 v2, v2
.LBB301_219:                            ;   in Loop: Header=BB301_161 Depth=1
	s_or_b32 exec_lo, exec_lo, s14
.LBB301_220:                            ;   in Loop: Header=BB301_161 Depth=1
	s_delay_alu instid0(SALU_CYCLE_1)
	s_or_b32 exec_lo, exec_lo, s7
.LBB301_221:                            ;   in Loop: Header=BB301_161 Depth=1
	s_delay_alu instid0(SALU_CYCLE_1)
	s_or_b32 exec_lo, exec_lo, s0
	s_waitcnt vmcnt(0)
	v_fma_mixlo_f16 v10, v20, v33, 0
	v_fma_mixlo_f16 v11, v20, v23, 0
	v_fma_mixlo_f16 v22, v20, v22, 0
	v_fma_mixlo_f16 v21, v20, v21, 0
	v_fma_mixlo_f16 v23, v20, v35, 0
	v_fma_mixlo_f16 v24, v20, v24, 0
	v_fma_mixlo_f16 v2, v20, v2, 0
	v_fma_mixlo_f16 v35, v20, v34, 0
	v_lshlrev_b32_e32 v10, 16, v10
	v_and_b32_e32 v11, 0xffff, v11
	v_lshlrev_b32_e32 v22, 16, v22
	v_and_b32_e32 v20, 0xffff, v21
	;; [unrolled: 2-line block ×4, first 2 shown]
	v_cmp_eq_u32_e32 vcc_lo, s36, v1
	v_or_b32_e32 v34, v10, v11
	v_or_b32_e32 v36, v22, v20
	v_or_b32_e32 v2, v21, v23
	v_or_b32_e32 v33, v24, v33
	v_add_nc_u32_e32 v24, 1, v18
	v_or_b32_e32 v23, 3, v18
	v_or_b32_e32 v22, 2, v18
	;; [unrolled: 1-line block ×6, first 2 shown]
	s_and_saveexec_b32 s7, vcc_lo
	s_cbranch_execz .LBB301_223
; %bb.222:                              ;   in Loop: Header=BB301_161 Depth=1
	v_cmp_gt_i32_e64 s0, s15, v18
	v_lshrrev_b32_e32 v37, 16, v36
	v_lshrrev_b32_e32 v38, 16, v34
	;; [unrolled: 1-line block ×4, first 2 shown]
	v_cndmask_b32_e64 v36, 0, v36, s0
	v_cmp_gt_i32_e64 s0, s5, v24
	s_delay_alu instid0(VALU_DEP_1) | instskip(SKIP_1) | instid1(VALU_DEP_2)
	v_cndmask_b32_e64 v37, 0, v37, s0
	v_cmp_gt_i32_e64 s0, s5, v23
	v_perm_b32 v36, v37, v36, 0x5040100
	s_delay_alu instid0(VALU_DEP_2) | instskip(SKIP_1) | instid1(VALU_DEP_1)
	v_cndmask_b32_e64 v38, 0, v38, s0
	v_cmp_gt_i32_e64 s0, s15, v22
	v_cndmask_b32_e64 v34, 0, v34, s0
	v_cmp_gt_i32_e64 s0, s5, v21
	s_delay_alu instid0(VALU_DEP_2) | instskip(NEXT) | instid1(VALU_DEP_2)
	v_perm_b32 v34, v38, v34, 0x5040100
	v_cndmask_b32_e64 v39, 0, v39, s0
	v_cmp_gt_i32_e64 s0, s15, v20
	s_delay_alu instid0(VALU_DEP_1) | instskip(SKIP_1) | instid1(VALU_DEP_2)
	v_cndmask_b32_e64 v2, 0, v2, s0
	v_cmp_gt_i32_e64 s0, s5, v11
	v_perm_b32 v2, v39, v2, 0x5040100
	s_delay_alu instid0(VALU_DEP_2) | instskip(SKIP_1) | instid1(VALU_DEP_1)
	v_cndmask_b32_e64 v33, 0, v33, s0
	v_cmp_gt_i32_e64 s0, s15, v10
	v_cndmask_b32_e64 v35, 0, v35, s0
	s_delay_alu instid0(VALU_DEP_1)
	v_perm_b32 v33, v33, v35, 0x5040100
.LBB301_223:                            ;   in Loop: Header=BB301_161 Depth=1
	s_or_b32 exec_lo, exec_lo, s7
	v_and_b32_e32 v25, 0xffff, v25
	v_and_b32_e32 v35, 0xffff, v29
	;; [unrolled: 1-line block ×4, first 2 shown]
	s_mov_b32 s7, exec_lo
	v_lshl_or_b32 v29, v26, 16, v25
	v_lshl_or_b32 v27, v27, 16, v35
	;; [unrolled: 1-line block ×4, first 2 shown]
	;;#ASMSTART
	v_pk_mul_f16 v28, v29, v36;

	;;#ASMEND
	;;#ASMSTART
	v_pk_mul_f16 v30, v27, v34;

	;;#ASMEND
	;; [unrolled: 4-line block ×4, first 2 shown]
	v_mov_b32_e32 v33, 0
	;;#ASMSTART
	v_pk_add_f16 v28, v28, v30;

	;;#ASMEND
	;;#ASMSTART
	v_pk_add_f16 v2, v28, v2;

	;;#ASMEND
	;; [unrolled: 4-line block ×3, first 2 shown]
	v_and_b32_e32 v28, 0xffff, v2
	v_lshrrev_b32_e32 v2, 16, v2
	;;#ASMSTART
	v_cvt_f32_f16 v28, v28;
	;;#ASMEND
	;;#ASMSTART
	v_cvt_f32_f16 v30, v2;
	;;#ASMEND
	global_load_b64 v[8:9], v[8:9], off offset:256
	global_load_b32 v31, v3, s[10:11]
	v_mov_b32_e32 v32, 0
	s_waitcnt vmcnt(1)
	v_and_b32_e32 v2, 0xff, v8
	s_delay_alu instid0(VALU_DEP_1)
	v_cmpx_ne_u16_e32 0, v2
	s_cbranch_execz .LBB301_229
; %bb.224:                              ;   in Loop: Header=BB301_161 Depth=1
	v_bfrev_b32_e32 v32, 1
	s_mov_b32 s14, exec_lo
	v_cmpx_ne_u16_e32 0x80, v2
	s_cbranch_execz .LBB301_228
; %bb.225:                              ;   in Loop: Header=BB301_161 Depth=1
	v_and_b32_e32 v2, 0x7f, v8
	v_mov_b32_e32 v32, 0x7fc02000
	s_mov_b32 s16, exec_lo
	s_delay_alu instid0(VALU_DEP_2)
	v_cmpx_ne_u32_e32 0x7f, v2
	s_cbranch_execz .LBB301_227
; %bb.226:                              ;   in Loop: Header=BB301_161 Depth=1
	v_and_b32_e32 v32, 7, v8
	v_cmp_gt_u32_e64 s0, 8, v2
	v_lshrrev_b32_e32 v34, 3, v2
	s_delay_alu instid0(VALU_DEP_3) | instskip(NEXT) | instid1(VALU_DEP_1)
	v_clz_i32_u32_e32 v32, v32
	v_min_u32_e32 v32, 32, v32
	s_delay_alu instid0(VALU_DEP_1) | instskip(SKIP_1) | instid1(VALU_DEP_2)
	v_subrev_nc_u32_e32 v35, 28, v32
	v_sub_nc_u32_e32 v32, 29, v32
	v_cndmask_b32_e64 v2, 0, v35, s0
	s_delay_alu instid0(VALU_DEP_2) | instskip(NEXT) | instid1(VALU_DEP_2)
	v_cndmask_b32_e64 v32, v34, v32, s0
	v_lshlrev_b64 v[34:35], v2, v[8:9]
	v_lshlrev_b32_e32 v2, 8, v8
	s_delay_alu instid0(VALU_DEP_3) | instskip(NEXT) | instid1(VALU_DEP_3)
	v_lshl_add_u32 v32, v32, 10, 0x2000
	v_lshlrev_b32_e32 v34, 7, v34
	s_delay_alu instid0(VALU_DEP_2) | instskip(NEXT) | instid1(VALU_DEP_1)
	v_and_or_b32 v2, 0x8000, v2, v32
	v_and_or_b32 v2, 0x380, v34, v2
	s_delay_alu instid0(VALU_DEP_1)
	v_cvt_f32_f16_e32 v32, v2
.LBB301_227:                            ;   in Loop: Header=BB301_161 Depth=1
	s_or_b32 exec_lo, exec_lo, s16
.LBB301_228:                            ;   in Loop: Header=BB301_161 Depth=1
	s_delay_alu instid0(SALU_CYCLE_1)
	s_or_b32 exec_lo, exec_lo, s14
.LBB301_229:                            ;   in Loop: Header=BB301_161 Depth=1
	s_delay_alu instid0(SALU_CYCLE_1) | instskip(SKIP_2) | instid1(VALU_DEP_1)
	s_or_b32 exec_lo, exec_lo, s7
	v_lshrrev_b16 v2, 8, v8
	s_mov_b32 s7, exec_lo
	v_cmpx_ne_u16_e32 0, v2
	s_cbranch_execz .LBB301_237
; %bb.230:                              ;   in Loop: Header=BB301_161 Depth=1
	v_bfrev_b32_e32 v33, 1
	s_mov_b32 s14, exec_lo
	v_cmpx_ne_u16_e32 0x80, v2
	s_cbranch_execz .LBB301_236
; %bb.231:                              ;   in Loop: Header=BB301_161 Depth=1
	v_and_b32_e32 v34, 0xffff, v2
	v_mov_b32_e32 v33, 0x7fc02000
	s_mov_b32 s16, exec_lo
	s_delay_alu instid0(VALU_DEP_2) | instskip(NEXT) | instid1(VALU_DEP_1)
	v_and_b32_e32 v35, 0x7f, v34
	v_cmpx_ne_u32_e32 0x7f, v35
	s_cbranch_execz .LBB301_235
; %bb.232:                              ;   in Loop: Header=BB301_161 Depth=1
	v_and_b32_e32 v2, 7, v34
	v_lshrrev_b32_e32 v33, 3, v35
	s_mov_b32 s17, exec_lo
	v_cmpx_gt_u32_e32 8, v35
; %bb.233:                              ;   in Loop: Header=BB301_161 Depth=1
	s_delay_alu instid0(VALU_DEP_3) | instskip(NEXT) | instid1(VALU_DEP_1)
	v_clz_i32_u32_e32 v33, v2
	v_min_u32_e32 v33, 32, v33
	s_delay_alu instid0(VALU_DEP_1) | instskip(SKIP_1) | instid1(VALU_DEP_2)
	v_subrev_nc_u32_e32 v35, 28, v33
	v_sub_nc_u32_e32 v33, 29, v33
	v_lshlrev_b64 v[35:36], v35, v[2:3]
	s_delay_alu instid0(VALU_DEP_1)
	v_and_b32_e32 v2, 7, v35
; %bb.234:                              ;   in Loop: Header=BB301_161 Depth=1
	s_or_b32 exec_lo, exec_lo, s17
	v_lshlrev_b32_e32 v34, 8, v34
	v_lshl_add_u32 v33, v33, 10, 0x2000
	s_delay_alu instid0(VALU_DEP_1) | instskip(NEXT) | instid1(VALU_DEP_1)
	v_and_or_b32 v33, 0x8000, v34, v33
	v_lshl_or_b32 v2, v2, 7, v33
	s_delay_alu instid0(VALU_DEP_1)
	v_cvt_f32_f16_e32 v33, v2
.LBB301_235:                            ;   in Loop: Header=BB301_161 Depth=1
	s_or_b32 exec_lo, exec_lo, s16
.LBB301_236:                            ;   in Loop: Header=BB301_161 Depth=1
	s_delay_alu instid0(SALU_CYCLE_1)
	s_or_b32 exec_lo, exec_lo, s14
.LBB301_237:                            ;   in Loop: Header=BB301_161 Depth=1
	s_delay_alu instid0(SALU_CYCLE_1) | instskip(SKIP_3) | instid1(VALU_DEP_2)
	s_or_b32 exec_lo, exec_lo, s7
	v_lshrrev_b32_e32 v36, 16, v8
	v_mov_b32_e32 v34, 0
	s_mov_b32 s7, exec_lo
	v_dual_mov_b32 v35, 0 :: v_dual_and_b32 v2, 0xff, v36
	s_delay_alu instid0(VALU_DEP_1)
	v_cmpx_ne_u16_e32 0, v2
	s_cbranch_execz .LBB301_245
; %bb.238:                              ;   in Loop: Header=BB301_161 Depth=1
	v_bfrev_b32_e32 v34, 1
	s_mov_b32 s14, exec_lo
	v_cmpx_ne_u16_e32 0x80, v2
	s_cbranch_execz .LBB301_244
; %bb.239:                              ;   in Loop: Header=BB301_161 Depth=1
	v_bfe_u32 v37, v8, 16, 7
	v_mov_b32_e32 v34, 0x7fc02000
	s_mov_b32 s16, exec_lo
	s_delay_alu instid0(VALU_DEP_2)
	v_cmpx_ne_u32_e32 0x7f, v37
	s_cbranch_execz .LBB301_243
; %bb.240:                              ;   in Loop: Header=BB301_161 Depth=1
	v_and_b32_e32 v2, 7, v36
	v_lshrrev_b32_e32 v34, 3, v37
	s_mov_b32 s17, exec_lo
	v_cmpx_gt_u32_e32 8, v37
; %bb.241:                              ;   in Loop: Header=BB301_161 Depth=1
	s_delay_alu instid0(VALU_DEP_3) | instskip(NEXT) | instid1(VALU_DEP_1)
	v_clz_i32_u32_e32 v34, v2
	v_min_u32_e32 v34, 32, v34
	s_delay_alu instid0(VALU_DEP_1) | instskip(SKIP_1) | instid1(VALU_DEP_2)
	v_subrev_nc_u32_e32 v37, 28, v34
	v_sub_nc_u32_e32 v34, 29, v34
	v_lshlrev_b64 v[37:38], v37, v[2:3]
	s_delay_alu instid0(VALU_DEP_1)
	v_and_b32_e32 v2, 7, v37
; %bb.242:                              ;   in Loop: Header=BB301_161 Depth=1
	s_or_b32 exec_lo, exec_lo, s17
	v_lshlrev_b32_e32 v36, 8, v36
	v_lshl_add_u32 v34, v34, 10, 0x2000
	s_delay_alu instid0(VALU_DEP_1) | instskip(NEXT) | instid1(VALU_DEP_1)
	v_and_or_b32 v34, 0x8000, v36, v34
	v_lshl_or_b32 v2, v2, 7, v34
	s_delay_alu instid0(VALU_DEP_1)
	v_cvt_f32_f16_e32 v34, v2
.LBB301_243:                            ;   in Loop: Header=BB301_161 Depth=1
	s_or_b32 exec_lo, exec_lo, s16
.LBB301_244:                            ;   in Loop: Header=BB301_161 Depth=1
	s_delay_alu instid0(SALU_CYCLE_1)
	s_or_b32 exec_lo, exec_lo, s14
.LBB301_245:                            ;   in Loop: Header=BB301_161 Depth=1
	s_delay_alu instid0(SALU_CYCLE_1) | instskip(NEXT) | instid1(SALU_CYCLE_1)
	s_or_b32 exec_lo, exec_lo, s7
	s_mov_b32 s7, exec_lo
	v_cmpx_lt_u32_e32 0xffffff, v8
	s_cbranch_execz .LBB301_253
; %bb.246:                              ;   in Loop: Header=BB301_161 Depth=1
	v_lshrrev_b32_e32 v36, 24, v8
	v_bfrev_b32_e32 v35, 1
	s_mov_b32 s14, exec_lo
	s_delay_alu instid0(VALU_DEP_2)
	v_cmpx_ne_u32_e32 0x80, v36
	s_cbranch_execz .LBB301_252
; %bb.247:                              ;   in Loop: Header=BB301_161 Depth=1
	v_and_b32_e32 v37, 0x7f, v36
	v_mov_b32_e32 v35, 0x7fc02000
	s_mov_b32 s16, exec_lo
	s_delay_alu instid0(VALU_DEP_2)
	v_cmpx_ne_u32_e32 0x7f, v37
	s_cbranch_execz .LBB301_251
; %bb.248:                              ;   in Loop: Header=BB301_161 Depth=1
	v_and_b32_e32 v2, 7, v36
	v_lshrrev_b32_e32 v35, 3, v37
	s_mov_b32 s17, exec_lo
	v_cmpx_gt_u32_e32 8, v37
; %bb.249:                              ;   in Loop: Header=BB301_161 Depth=1
	s_delay_alu instid0(VALU_DEP_3) | instskip(NEXT) | instid1(VALU_DEP_1)
	v_clz_i32_u32_e32 v35, v2
	v_min_u32_e32 v35, 32, v35
	s_delay_alu instid0(VALU_DEP_1) | instskip(SKIP_1) | instid1(VALU_DEP_2)
	v_subrev_nc_u32_e32 v37, 28, v35
	v_sub_nc_u32_e32 v35, 29, v35
	v_lshlrev_b64 v[37:38], v37, v[2:3]
	s_delay_alu instid0(VALU_DEP_1)
	v_and_b32_e32 v2, 7, v37
; %bb.250:                              ;   in Loop: Header=BB301_161 Depth=1
	s_or_b32 exec_lo, exec_lo, s17
	v_lshlrev_b32_e32 v36, 8, v36
	v_lshl_add_u32 v35, v35, 10, 0x2000
	s_delay_alu instid0(VALU_DEP_1) | instskip(NEXT) | instid1(VALU_DEP_1)
	v_and_or_b32 v35, 0x8000, v36, v35
	v_lshl_or_b32 v2, v2, 7, v35
	s_delay_alu instid0(VALU_DEP_1)
	v_cvt_f32_f16_e32 v35, v2
.LBB301_251:                            ;   in Loop: Header=BB301_161 Depth=1
	s_or_b32 exec_lo, exec_lo, s16
.LBB301_252:                            ;   in Loop: Header=BB301_161 Depth=1
	s_delay_alu instid0(SALU_CYCLE_1)
	s_or_b32 exec_lo, exec_lo, s14
.LBB301_253:                            ;   in Loop: Header=BB301_161 Depth=1
	s_delay_alu instid0(SALU_CYCLE_1) | instskip(SKIP_4) | instid1(VALU_DEP_3)
	s_or_b32 exec_lo, exec_lo, s7
	v_dual_mov_b32 v37, 0 :: v_dual_and_b32 v38, 0xff, v9
	v_mov_b32_e32 v2, v9
	v_mov_b32_e32 v36, 0
	s_mov_b32 s7, exec_lo
	v_cmpx_ne_u16_e32 0, v38
	s_cbranch_execz .LBB301_259
; %bb.254:                              ;   in Loop: Header=BB301_161 Depth=1
	v_bfrev_b32_e32 v36, 1
	s_mov_b32 s14, exec_lo
	v_cmpx_ne_u16_e32 0x80, v38
	s_cbranch_execz .LBB301_258
; %bb.255:                              ;   in Loop: Header=BB301_161 Depth=1
	v_and_b32_e32 v38, 0x7f, v9
	v_mov_b32_e32 v36, 0x7fc02000
	s_mov_b32 s16, exec_lo
	s_delay_alu instid0(VALU_DEP_2)
	v_cmpx_ne_u32_e32 0x7f, v38
	s_cbranch_execz .LBB301_257
; %bb.256:                              ;   in Loop: Header=BB301_161 Depth=1
	v_and_b32_e32 v36, 7, v9
	v_cmp_gt_u32_e64 s0, 8, v38
	v_lshrrev_b32_e32 v39, 3, v38
	s_delay_alu instid0(VALU_DEP_3) | instskip(NEXT) | instid1(VALU_DEP_1)
	v_clz_i32_u32_e32 v36, v36
	v_min_u32_e32 v36, 32, v36
	s_delay_alu instid0(VALU_DEP_1) | instskip(SKIP_1) | instid1(VALU_DEP_2)
	v_subrev_nc_u32_e32 v40, 28, v36
	v_sub_nc_u32_e32 v36, 29, v36
	v_cndmask_b32_e64 v38, 0, v40, s0
	s_delay_alu instid0(VALU_DEP_2) | instskip(NEXT) | instid1(VALU_DEP_2)
	v_cndmask_b32_e64 v36, v39, v36, s0
	v_lshlrev_b64 v[38:39], v38, v[2:3]
	v_lshlrev_b32_e32 v39, 8, v9
	s_delay_alu instid0(VALU_DEP_3) | instskip(NEXT) | instid1(VALU_DEP_3)
	v_lshl_add_u32 v36, v36, 10, 0x2000
	v_lshlrev_b32_e32 v38, 7, v38
	s_delay_alu instid0(VALU_DEP_2) | instskip(NEXT) | instid1(VALU_DEP_1)
	v_and_or_b32 v36, 0x8000, v39, v36
	v_and_or_b32 v36, 0x380, v38, v36
	s_delay_alu instid0(VALU_DEP_1)
	v_cvt_f32_f16_e32 v36, v36
.LBB301_257:                            ;   in Loop: Header=BB301_161 Depth=1
	s_or_b32 exec_lo, exec_lo, s16
.LBB301_258:                            ;   in Loop: Header=BB301_161 Depth=1
	s_delay_alu instid0(SALU_CYCLE_1)
	s_or_b32 exec_lo, exec_lo, s14
.LBB301_259:                            ;   in Loop: Header=BB301_161 Depth=1
	s_delay_alu instid0(SALU_CYCLE_1) | instskip(SKIP_2) | instid1(VALU_DEP_1)
	s_or_b32 exec_lo, exec_lo, s7
	v_lshrrev_b16 v2, 8, v2
	s_mov_b32 s7, exec_lo
	v_cmpx_ne_u16_e32 0, v2
	s_cbranch_execz .LBB301_267
; %bb.260:                              ;   in Loop: Header=BB301_161 Depth=1
	v_bfrev_b32_e32 v37, 1
	s_mov_b32 s14, exec_lo
	v_cmpx_ne_u16_e32 0x80, v2
	s_cbranch_execz .LBB301_266
; %bb.261:                              ;   in Loop: Header=BB301_161 Depth=1
	v_and_b32_e32 v38, 0xffff, v2
	v_mov_b32_e32 v37, 0x7fc02000
	s_mov_b32 s16, exec_lo
	s_delay_alu instid0(VALU_DEP_2) | instskip(NEXT) | instid1(VALU_DEP_1)
	v_and_b32_e32 v39, 0x7f, v38
	v_cmpx_ne_u32_e32 0x7f, v39
	s_cbranch_execz .LBB301_265
; %bb.262:                              ;   in Loop: Header=BB301_161 Depth=1
	v_and_b32_e32 v2, 7, v38
	v_lshrrev_b32_e32 v37, 3, v39
	s_mov_b32 s17, exec_lo
	v_cmpx_gt_u32_e32 8, v39
; %bb.263:                              ;   in Loop: Header=BB301_161 Depth=1
	s_delay_alu instid0(VALU_DEP_3) | instskip(NEXT) | instid1(VALU_DEP_1)
	v_clz_i32_u32_e32 v37, v2
	v_min_u32_e32 v37, 32, v37
	s_delay_alu instid0(VALU_DEP_1) | instskip(SKIP_1) | instid1(VALU_DEP_2)
	v_subrev_nc_u32_e32 v39, 28, v37
	v_sub_nc_u32_e32 v37, 29, v37
	v_lshlrev_b64 v[39:40], v39, v[2:3]
	s_delay_alu instid0(VALU_DEP_1)
	v_and_b32_e32 v2, 7, v39
; %bb.264:                              ;   in Loop: Header=BB301_161 Depth=1
	s_or_b32 exec_lo, exec_lo, s17
	v_lshlrev_b32_e32 v38, 8, v38
	v_lshl_add_u32 v37, v37, 10, 0x2000
	s_delay_alu instid0(VALU_DEP_1) | instskip(NEXT) | instid1(VALU_DEP_1)
	v_and_or_b32 v37, 0x8000, v38, v37
	v_lshl_or_b32 v2, v2, 7, v37
	s_delay_alu instid0(VALU_DEP_1)
	v_cvt_f32_f16_e32 v37, v2
.LBB301_265:                            ;   in Loop: Header=BB301_161 Depth=1
	s_or_b32 exec_lo, exec_lo, s16
.LBB301_266:                            ;   in Loop: Header=BB301_161 Depth=1
	s_delay_alu instid0(SALU_CYCLE_1)
	s_or_b32 exec_lo, exec_lo, s14
.LBB301_267:                            ;   in Loop: Header=BB301_161 Depth=1
	s_delay_alu instid0(SALU_CYCLE_1) | instskip(SKIP_3) | instid1(VALU_DEP_2)
	s_or_b32 exec_lo, exec_lo, s7
	v_lshrrev_b32_e32 v40, 16, v9
	v_mov_b32_e32 v38, 0
	s_mov_b32 s7, exec_lo
	v_dual_mov_b32 v39, 0 :: v_dual_and_b32 v2, 0xff, v40
	s_delay_alu instid0(VALU_DEP_1)
	v_cmpx_ne_u16_e32 0, v2
	s_cbranch_execz .LBB301_275
; %bb.268:                              ;   in Loop: Header=BB301_161 Depth=1
	v_bfrev_b32_e32 v38, 1
	s_mov_b32 s14, exec_lo
	v_cmpx_ne_u16_e32 0x80, v2
	s_cbranch_execz .LBB301_274
; %bb.269:                              ;   in Loop: Header=BB301_161 Depth=1
	v_bfe_u32 v41, v9, 16, 7
	v_mov_b32_e32 v38, 0x7fc02000
	s_mov_b32 s16, exec_lo
	s_delay_alu instid0(VALU_DEP_2)
	v_cmpx_ne_u32_e32 0x7f, v41
	s_cbranch_execz .LBB301_273
; %bb.270:                              ;   in Loop: Header=BB301_161 Depth=1
	v_and_b32_e32 v2, 7, v40
	v_lshrrev_b32_e32 v38, 3, v41
	s_mov_b32 s17, exec_lo
	v_cmpx_gt_u32_e32 8, v41
; %bb.271:                              ;   in Loop: Header=BB301_161 Depth=1
	s_delay_alu instid0(VALU_DEP_3) | instskip(NEXT) | instid1(VALU_DEP_1)
	v_clz_i32_u32_e32 v38, v2
	v_min_u32_e32 v38, 32, v38
	s_delay_alu instid0(VALU_DEP_1) | instskip(SKIP_1) | instid1(VALU_DEP_2)
	v_subrev_nc_u32_e32 v41, 28, v38
	v_sub_nc_u32_e32 v38, 29, v38
	v_lshlrev_b64 v[41:42], v41, v[2:3]
	s_delay_alu instid0(VALU_DEP_1)
	v_and_b32_e32 v2, 7, v41
; %bb.272:                              ;   in Loop: Header=BB301_161 Depth=1
	s_or_b32 exec_lo, exec_lo, s17
	v_lshlrev_b32_e32 v40, 8, v40
	v_lshl_add_u32 v38, v38, 10, 0x2000
	s_delay_alu instid0(VALU_DEP_1) | instskip(NEXT) | instid1(VALU_DEP_1)
	v_and_or_b32 v38, 0x8000, v40, v38
	v_lshl_or_b32 v2, v2, 7, v38
	s_delay_alu instid0(VALU_DEP_1)
	v_cvt_f32_f16_e32 v38, v2
.LBB301_273:                            ;   in Loop: Header=BB301_161 Depth=1
	s_or_b32 exec_lo, exec_lo, s16
.LBB301_274:                            ;   in Loop: Header=BB301_161 Depth=1
	s_delay_alu instid0(SALU_CYCLE_1)
	s_or_b32 exec_lo, exec_lo, s14
.LBB301_275:                            ;   in Loop: Header=BB301_161 Depth=1
	s_delay_alu instid0(SALU_CYCLE_1) | instskip(NEXT) | instid1(SALU_CYCLE_1)
	s_or_b32 exec_lo, exec_lo, s7
	s_mov_b32 s7, exec_lo
	v_cmpx_lt_u64_e64 s[8:9], v[8:9]
	s_cbranch_execz .LBB301_283
; %bb.276:                              ;   in Loop: Header=BB301_161 Depth=1
	v_lshrrev_b32_e32 v8, 24, v9
	v_bfrev_b32_e32 v39, 1
	s_mov_b32 s14, exec_lo
	s_delay_alu instid0(VALU_DEP_2)
	v_cmpx_ne_u32_e32 0x80, v8
	s_cbranch_execz .LBB301_282
; %bb.277:                              ;   in Loop: Header=BB301_161 Depth=1
	v_and_b32_e32 v40, 0x7f, v8
	v_mov_b32_e32 v39, 0x7fc02000
	s_mov_b32 s16, exec_lo
	s_delay_alu instid0(VALU_DEP_2)
	v_cmpx_ne_u32_e32 0x7f, v40
	s_cbranch_execz .LBB301_281
; %bb.278:                              ;   in Loop: Header=BB301_161 Depth=1
	v_and_b32_e32 v2, 7, v8
	v_lshrrev_b32_e32 v9, 3, v40
	s_mov_b32 s17, exec_lo
	v_cmpx_gt_u32_e32 8, v40
; %bb.279:                              ;   in Loop: Header=BB301_161 Depth=1
	s_delay_alu instid0(VALU_DEP_3) | instskip(NEXT) | instid1(VALU_DEP_1)
	v_clz_i32_u32_e32 v9, v2
	v_min_u32_e32 v9, 32, v9
	s_delay_alu instid0(VALU_DEP_1) | instskip(SKIP_1) | instid1(VALU_DEP_2)
	v_subrev_nc_u32_e32 v39, 28, v9
	v_sub_nc_u32_e32 v9, 29, v9
	v_lshlrev_b64 v[39:40], v39, v[2:3]
	s_delay_alu instid0(VALU_DEP_1)
	v_and_b32_e32 v2, 7, v39
; %bb.280:                              ;   in Loop: Header=BB301_161 Depth=1
	s_or_b32 exec_lo, exec_lo, s17
	v_lshlrev_b32_e32 v8, 8, v8
	v_lshl_add_u32 v9, v9, 10, 0x2000
	s_delay_alu instid0(VALU_DEP_1) | instskip(NEXT) | instid1(VALU_DEP_1)
	v_and_or_b32 v8, 0x8000, v8, v9
	v_lshl_or_b32 v2, v2, 7, v8
	s_delay_alu instid0(VALU_DEP_1)
	v_cvt_f32_f16_e32 v39, v2
.LBB301_281:                            ;   in Loop: Header=BB301_161 Depth=1
	s_or_b32 exec_lo, exec_lo, s16
.LBB301_282:                            ;   in Loop: Header=BB301_161 Depth=1
	s_delay_alu instid0(SALU_CYCLE_1)
	s_or_b32 exec_lo, exec_lo, s14
.LBB301_283:                            ;   in Loop: Header=BB301_161 Depth=1
	s_delay_alu instid0(SALU_CYCLE_1)
	s_or_b32 exec_lo, exec_lo, s7
	s_waitcnt vmcnt(0)
	v_fma_mixlo_f16 v9, v31, v33, 0
	v_fma_mixlo_f16 v2, v31, v35, 0
	;; [unrolled: 1-line block ×5, first 2 shown]
	v_lshlrev_b32_e32 v33, 16, v9
	v_fma_mixlo_f16 v35, v31, v36, 0
	v_fma_mixlo_f16 v36, v31, v39, 0
	;; [unrolled: 1-line block ×3, first 2 shown]
	v_lshlrev_b32_e32 v2, 16, v2
	v_and_b32_e32 v8, 0xffff, v8
	v_and_b32_e32 v32, 0xffff, v32
	v_lshlrev_b32_e32 v34, 16, v34
	v_and_b32_e32 v35, 0xffff, v35
	v_lshlrev_b32_e32 v36, 16, v36
	v_and_b32_e32 v37, 0xffff, v9
	v_or_b32_e32 v31, v2, v8
	v_or_b32_e32 v32, v33, v32
	;; [unrolled: 1-line block ×3, first 2 shown]
	s_delay_alu instid0(VALU_DEP_4)
	v_or_b32_e32 v8, v36, v37
	s_and_saveexec_b32 s0, vcc_lo
	s_cbranch_execz .LBB301_160
; %bb.284:                              ;   in Loop: Header=BB301_161 Depth=1
	v_cmp_gt_i32_e32 vcc_lo, s15, v18
	v_lshrrev_b32_e32 v33, 16, v32
	v_lshrrev_b32_e32 v34, 16, v31
	;; [unrolled: 1-line block ×3, first 2 shown]
	v_cndmask_b32_e32 v32, 0, v32, vcc_lo
	v_cmp_gt_i32_e32 vcc_lo, s5, v24
	v_cndmask_b32_e32 v24, 0, v33, vcc_lo
	v_cmp_gt_i32_e32 vcc_lo, s5, v23
	v_lshrrev_b32_e32 v33, 16, v2
	v_cndmask_b32_e32 v23, 0, v34, vcc_lo
	v_cmp_gt_i32_e32 vcc_lo, s15, v22
	v_perm_b32 v32, v24, v32, 0x5040100
	v_cndmask_b32_e32 v22, 0, v31, vcc_lo
	v_cmp_gt_i32_e32 vcc_lo, s5, v21
	v_cndmask_b32_e32 v21, 0, v33, vcc_lo
	v_cmp_gt_i32_e32 vcc_lo, s15, v20
	s_delay_alu instid0(VALU_DEP_4)
	v_perm_b32 v31, v23, v22, 0x5040100
	v_cndmask_b32_e32 v2, 0, v2, vcc_lo
	v_cmp_gt_i32_e32 vcc_lo, s5, v11
	v_cndmask_b32_e32 v8, 0, v8, vcc_lo
	v_cmp_gt_i32_e32 vcc_lo, s15, v10
	v_cndmask_b32_e32 v9, 0, v9, vcc_lo
	v_perm_b32 v2, v21, v2, 0x5040100
	s_delay_alu instid0(VALU_DEP_2)
	v_perm_b32 v8, v8, v9, 0x5040100
	s_branch .LBB301_160
.LBB301_285:
	s_or_b32 exec_lo, exec_lo, s4
.LBB301_286:
	s_delay_alu instid0(SALU_CYCLE_1)
	s_or_b32 exec_lo, exec_lo, s1
	v_and_b32_e32 v2, 0x3c0, v0
	v_lshl_add_u32 v1, v12, 8, 0xa0
	s_mov_b32 s0, exec_lo
	s_waitcnt_vscnt null, 0x0
	s_barrier
	buffer_gl0_inv
	v_cmpx_eq_u32_e32 64, v2
	s_cbranch_execz .LBB301_288
; %bb.287:
	v_add3_u32 v2, v1, v14, 0xfffffe00
	ds_store_2addr_b32 v2, v17, v16 offset1:32
.LBB301_288:
	s_or_b32 exec_lo, exec_lo, s0
	v_lshl_add_u32 v2, v13, 2, v1
	s_mov_b32 s0, exec_lo
	s_waitcnt lgkmcnt(0)
	s_barrier
	buffer_gl0_inv
	v_cmpx_gt_u32_e32 64, v0
	s_cbranch_execz .LBB301_290
; %bb.289:
	v_lshl_or_b32 v3, v0, 2, 0x80
	s_delay_alu instid0(VALU_DEP_1)
	v_add_nc_u32_e32 v3, v1, v3
	ds_load_b32 v4, v2
	ds_load_b32 v3, v3
	s_waitcnt lgkmcnt(0)
	v_dual_add_f32 v17, v17, v4 :: v_dual_add_f32 v16, v16, v3
.LBB301_290:
	s_or_b32 exec_lo, exec_lo, s0
	v_and_b32_e32 v3, 0x3e0, v0
	s_mov_b32 s0, exec_lo
	s_barrier
	buffer_gl0_inv
	v_cmpx_eq_u32_e32 32, v3
	s_cbranch_execz .LBB301_292
; %bb.291:
	v_lshl_add_u32 v3, v13, 2, 0xa0
	ds_store_b32 v3, v17
	ds_store_b32 v15, v16
.LBB301_292:
	s_or_b32 exec_lo, exec_lo, s0
	s_waitcnt lgkmcnt(0)
	s_barrier
	buffer_gl0_inv
	s_and_saveexec_b32 s0, s2
	s_cbranch_execz .LBB301_294
; %bb.293:
	v_lshl_add_u32 v1, v0, 2, v1
	ds_load_b32 v2, v2
	ds_load_b32 v1, v1 offset:128
	s_waitcnt lgkmcnt(0)
	v_dual_add_f32 v17, v17, v2 :: v_dual_add_f32 v16, v16, v1
.LBB301_294:
	s_or_b32 exec_lo, exec_lo, s0
	s_barrier
	buffer_gl0_inv
	s_and_saveexec_b32 s0, s2
	s_cbranch_execz .LBB301_296
; %bb.295:
	s_lshl_b32 s0, s6, 6
	s_mul_i32 s2, s13, s12
	s_ashr_i32 s1, s0, 31
	v_lshlrev_b32_e32 v0, 1, v0
	s_lshl_b64 s[0:1], s[0:1], 1
	;;#ASMSTART
	v_cvt_f16_f32 v1, v17;

	;;#ASMEND
	s_add_u32 s4, s22, s0
	s_addc_u32 s5, s23, s1
	s_ashr_i32 s3, s2, 31
	s_delay_alu instid0(SALU_CYCLE_1) | instskip(NEXT) | instid1(SALU_CYCLE_1)
	s_lshl_b64 s[0:1], s[2:3], 1
	s_add_u32 s2, s4, s0
	s_addc_u32 s3, s5, s1
	s_ashr_i32 s21, s20, 31
	s_delay_alu instid0(SALU_CYCLE_1) | instskip(NEXT) | instid1(SALU_CYCLE_1)
	s_lshl_b64 s[0:1], s[20:21], 1
	s_add_u32 s0, s2, s0
	s_addc_u32 s1, s3, s1
	global_store_b16 v0, v1, s[0:1]
	;;#ASMSTART
	v_cvt_f16_f32 v1, v16;

	;;#ASMEND
	global_store_b16 v0, v1, s[0:1] offset:64
.LBB301_296:
	s_nop 0
	s_sendmsg sendmsg(MSG_DEALLOC_VGPRS)
	s_endpgm
	.section	.rodata,"a",@progbits
	.p2align	6, 0x0
	.amdhsa_kernel _ZN4vllm25paged_attention_v2_kernelIthLi64ELi8ELi128ELNS_18Fp8KVCacheDataTypeE1ELb0ELi512EEEvPfS2_PT_PKS3_PKT0_S9_ifPKiSB_iPKfiiiSD_SD_iiiii
		.amdhsa_group_segment_fixed_size 160
		.amdhsa_private_segment_fixed_size 0
		.amdhsa_kernarg_size 400
		.amdhsa_user_sgpr_count 13
		.amdhsa_user_sgpr_dispatch_ptr 0
		.amdhsa_user_sgpr_queue_ptr 0
		.amdhsa_user_sgpr_kernarg_segment_ptr 1
		.amdhsa_user_sgpr_dispatch_id 0
		.amdhsa_user_sgpr_private_segment_size 0
		.amdhsa_wavefront_size32 1
		.amdhsa_uses_dynamic_stack 0
		.amdhsa_enable_private_segment 0
		.amdhsa_system_sgpr_workgroup_id_x 1
		.amdhsa_system_sgpr_workgroup_id_y 1
		.amdhsa_system_sgpr_workgroup_id_z 1
		.amdhsa_system_sgpr_workgroup_info 0
		.amdhsa_system_vgpr_workitem_id 0
		.amdhsa_next_free_vgpr 47
		.amdhsa_next_free_sgpr 44
		.amdhsa_reserve_vcc 1
		.amdhsa_float_round_mode_32 0
		.amdhsa_float_round_mode_16_64 0
		.amdhsa_float_denorm_mode_32 3
		.amdhsa_float_denorm_mode_16_64 3
		.amdhsa_dx10_clamp 1
		.amdhsa_ieee_mode 1
		.amdhsa_fp16_overflow 0
		.amdhsa_workgroup_processor_mode 1
		.amdhsa_memory_ordered 1
		.amdhsa_forward_progress 0
		.amdhsa_shared_vgpr_count 0
		.amdhsa_exception_fp_ieee_invalid_op 0
		.amdhsa_exception_fp_denorm_src 0
		.amdhsa_exception_fp_ieee_div_zero 0
		.amdhsa_exception_fp_ieee_overflow 0
		.amdhsa_exception_fp_ieee_underflow 0
		.amdhsa_exception_fp_ieee_inexact 0
		.amdhsa_exception_int_div_zero 0
	.end_amdhsa_kernel
	.section	.text._ZN4vllm25paged_attention_v2_kernelIthLi64ELi8ELi128ELNS_18Fp8KVCacheDataTypeE1ELb0ELi512EEEvPfS2_PT_PKS3_PKT0_S9_ifPKiSB_iPKfiiiSD_SD_iiiii,"axG",@progbits,_ZN4vllm25paged_attention_v2_kernelIthLi64ELi8ELi128ELNS_18Fp8KVCacheDataTypeE1ELb0ELi512EEEvPfS2_PT_PKS3_PKT0_S9_ifPKiSB_iPKfiiiSD_SD_iiiii,comdat
.Lfunc_end301:
	.size	_ZN4vllm25paged_attention_v2_kernelIthLi64ELi8ELi128ELNS_18Fp8KVCacheDataTypeE1ELb0ELi512EEEvPfS2_PT_PKS3_PKT0_S9_ifPKiSB_iPKfiiiSD_SD_iiiii, .Lfunc_end301-_ZN4vllm25paged_attention_v2_kernelIthLi64ELi8ELi128ELNS_18Fp8KVCacheDataTypeE1ELb0ELi512EEEvPfS2_PT_PKS3_PKT0_S9_ifPKiSB_iPKfiiiSD_SD_iiiii
                                        ; -- End function
	.section	.AMDGPU.csdata,"",@progbits
; Kernel info:
; codeLenInByte = 12672
; NumSgprs: 46
; NumVgprs: 47
; ScratchSize: 0
; MemoryBound: 0
; FloatMode: 240
; IeeeMode: 1
; LDSByteSize: 160 bytes/workgroup (compile time only)
; SGPRBlocks: 5
; VGPRBlocks: 5
; NumSGPRsForWavesPerEU: 46
; NumVGPRsForWavesPerEU: 47
; Occupancy: 16
; WaveLimiterHint : 1
; COMPUTE_PGM_RSRC2:SCRATCH_EN: 0
; COMPUTE_PGM_RSRC2:USER_SGPR: 13
; COMPUTE_PGM_RSRC2:TRAP_HANDLER: 0
; COMPUTE_PGM_RSRC2:TGID_X_EN: 1
; COMPUTE_PGM_RSRC2:TGID_Y_EN: 1
; COMPUTE_PGM_RSRC2:TGID_Z_EN: 1
; COMPUTE_PGM_RSRC2:TIDIG_COMP_CNT: 0
	.section	.text._ZN4vllm25paged_attention_v2_kernelIthLi80ELi8ELi128ELNS_18Fp8KVCacheDataTypeE1ELb0ELi512EEEvPfS2_PT_PKS3_PKT0_S9_ifPKiSB_iPKfiiiSD_SD_iiiii,"axG",@progbits,_ZN4vllm25paged_attention_v2_kernelIthLi80ELi8ELi128ELNS_18Fp8KVCacheDataTypeE1ELb0ELi512EEEvPfS2_PT_PKS3_PKT0_S9_ifPKiSB_iPKfiiiSD_SD_iiiii,comdat
	.protected	_ZN4vllm25paged_attention_v2_kernelIthLi80ELi8ELi128ELNS_18Fp8KVCacheDataTypeE1ELb0ELi512EEEvPfS2_PT_PKS3_PKT0_S9_ifPKiSB_iPKfiiiSD_SD_iiiii ; -- Begin function _ZN4vllm25paged_attention_v2_kernelIthLi80ELi8ELi128ELNS_18Fp8KVCacheDataTypeE1ELb0ELi512EEEvPfS2_PT_PKS3_PKT0_S9_ifPKiSB_iPKfiiiSD_SD_iiiii
	.globl	_ZN4vllm25paged_attention_v2_kernelIthLi80ELi8ELi128ELNS_18Fp8KVCacheDataTypeE1ELb0ELi512EEEvPfS2_PT_PKS3_PKT0_S9_ifPKiSB_iPKfiiiSD_SD_iiiii
	.p2align	8
	.type	_ZN4vllm25paged_attention_v2_kernelIthLi80ELi8ELi128ELNS_18Fp8KVCacheDataTypeE1ELb0ELi512EEEvPfS2_PT_PKS3_PKT0_S9_ifPKiSB_iPKfiiiSD_SD_iiiii,@function
_ZN4vllm25paged_attention_v2_kernelIthLi80ELi8ELi128ELNS_18Fp8KVCacheDataTypeE1ELb0ELi512EEEvPfS2_PT_PKS3_PKT0_S9_ifPKiSB_iPKfiiiSD_SD_iiiii: ; @_ZN4vllm25paged_attention_v2_kernelIthLi80ELi8ELi128ELNS_18Fp8KVCacheDataTypeE1ELb0ELi512EEEvPfS2_PT_PKS3_PKT0_S9_ifPKiSB_iPKfiiiSD_SD_iiiii
; %bb.0:
	s_load_b64 s[2:3], s[0:1], 0x40
	s_mov_b32 s20, s15
	s_ashr_i32 s15, s14, 31
	s_delay_alu instid0(SALU_CYCLE_1)
	s_lshl_b64 s[4:5], s[14:15], 2
	s_waitcnt lgkmcnt(0)
	s_add_u32 s2, s2, s4
	s_addc_u32 s3, s3, s5
	s_lshl_b32 s33, s20, 9
	s_load_b32 s15, s[2:3], 0x0
	s_waitcnt lgkmcnt(0)
	s_cmp_ge_i32 s33, s15
	s_cbranch_scc1 .LBB302_399
; %bb.1:
	s_mov_b32 s26, s13
	s_clause 0x1
	s_load_b32 s21, s[0:1], 0x90
	s_load_b64 s[12:13], s[0:1], 0x30
	s_waitcnt lgkmcnt(0)
	s_abs_i32 s5, s21
	s_abs_i32 s2, s12
	s_delay_alu instid0(SALU_CYCLE_1) | instskip(SKIP_1) | instid1(VALU_DEP_1)
	v_cvt_f32_u32_e32 v1, s2
	s_sub_i32 s4, 0, s2
	v_rcp_iflag_f32_e32 v1, v1
	s_waitcnt_depctr 0xfff
	v_mul_f32_e32 v1, 0x4f7ffffe, v1
	s_delay_alu instid0(VALU_DEP_1) | instskip(NEXT) | instid1(VALU_DEP_1)
	v_cvt_u32_f32_e32 v1, v1
	v_readfirstlane_b32 s3, v1
	s_delay_alu instid0(VALU_DEP_1) | instskip(NEXT) | instid1(SALU_CYCLE_1)
	s_mul_i32 s4, s4, s3
	s_mul_hi_u32 s4, s3, s4
	s_delay_alu instid0(SALU_CYCLE_1)
	s_add_i32 s3, s3, s4
	s_xor_b32 s4, s21, s12
	s_mul_hi_u32 s3, s5, s3
	s_ashr_i32 s4, s4, 31
	s_mul_i32 s6, s3, s2
	s_mov_b32 s12, 0
	s_sub_i32 s5, s5, s6
	s_add_i32 s6, s3, 1
	s_sub_i32 s7, s5, s2
	s_cmp_ge_u32 s5, s2
	s_cselect_b32 s3, s6, s3
	s_cselect_b32 s5, s7, s5
	s_add_i32 s6, s3, 1
	s_cmp_ge_u32 s5, s2
	s_cselect_b32 s2, s6, s3
	s_delay_alu instid0(SALU_CYCLE_1) | instskip(NEXT) | instid1(SALU_CYCLE_1)
	s_xor_b32 s2, s2, s4
	s_sub_i32 s7, s2, s4
	s_load_b64 s[2:3], s[0:1], 0x50
	s_abs_i32 s4, s7
	s_delay_alu instid0(SALU_CYCLE_1) | instskip(SKIP_1) | instid1(VALU_DEP_1)
	v_cvt_f32_u32_e32 v1, s4
	s_sub_i32 s6, 0, s4
	v_rcp_iflag_f32_e32 v1, v1
	s_waitcnt_depctr 0xfff
	v_mul_f32_e32 v1, 0x4f7ffffe, v1
	s_delay_alu instid0(VALU_DEP_1) | instskip(NEXT) | instid1(VALU_DEP_1)
	v_cvt_u32_f32_e32 v1, v1
	v_readfirstlane_b32 s5, v1
	s_delay_alu instid0(VALU_DEP_1) | instskip(NEXT) | instid1(SALU_CYCLE_1)
	s_mul_i32 s6, s6, s5
	s_mul_hi_u32 s8, s5, s6
	s_abs_i32 s6, s26
	s_add_i32 s5, s5, s8
	s_waitcnt lgkmcnt(0)
	s_cmp_eq_u64 s[2:3], 0
	s_mul_hi_u32 s5, s6, s5
	s_cbranch_scc1 .LBB302_3
; %bb.2:
	s_ashr_i32 s27, s26, 31
	s_delay_alu instid0(SALU_CYCLE_1) | instskip(NEXT) | instid1(SALU_CYCLE_1)
	s_lshl_b64 s[8:9], s[26:27], 2
	s_add_u32 s2, s2, s8
	s_addc_u32 s3, s3, s9
	s_load_b32 s12, s[2:3], 0x0
.LBB302_3:
	s_load_b128 s[8:11], s[0:1], 0x58
	v_and_b32_e32 v1, 3, v0
	s_ashr_i32 s2, s26, 31
	s_ashr_i32 s3, s7, 31
	s_mul_i32 s22, s26, 0x50
	s_mov_b32 s7, exec_lo
	v_cmpx_gt_u32_e32 40, v0
	s_cbranch_execz .LBB302_5
; %bb.4:
	s_load_b64 s[16:17], s[0:1], 0x18
	s_waitcnt lgkmcnt(0)
	s_mul_i32 s18, s14, s8
	v_lshlrev_b32_e32 v2, 2, v0
	s_ashr_i32 s19, s18, 31
	v_and_b32_e32 v3, 0x3fc, v0
	s_lshl_b64 s[18:19], s[18:19], 1
	s_delay_alu instid0(VALU_DEP_1) | instskip(SKIP_3) | instid1(SALU_CYCLE_1)
	v_mad_u32_u24 v3, v1, 40, v3
	s_add_u32 s8, s16, s18
	s_addc_u32 s11, s17, s19
	s_ashr_i32 s23, s22, 31
	s_lshl_b64 s[16:17], s[22:23], 1
	s_delay_alu instid0(SALU_CYCLE_1)
	s_add_u32 s16, s8, s16
	s_addc_u32 s17, s11, s17
	global_load_b32 v2, v2, s[16:17]
	s_waitcnt vmcnt(0)
	ds_store_b32 v3, v2
.LBB302_5:
	s_or_b32 exec_lo, exec_lo, s7
	s_add_i32 s7, s15, 7
	s_waitcnt lgkmcnt(0)
	s_lshl_b32 s11, s20, 6
	s_ashr_i32 s8, s7, 31
	s_xor_b32 s2, s2, s3
	s_lshr_b32 s8, s8, 29
	s_add_i32 s3, s11, 64
	s_add_i32 s7, s7, s8
	s_clause 0x1
	s_load_b64 s[28:29], s[0:1], 0x38
	s_load_b32 s8, s[0:1], 0x48
	s_ashr_i32 s27, s7, 3
	s_mul_i32 s7, s5, s4
	s_min_i32 s23, s3, s27
	s_sub_i32 s3, s6, s7
	s_add_i32 s6, s5, 1
	s_sub_i32 s7, s3, s4
	s_cmp_ge_u32 s3, s4
	v_lshrrev_b32_e32 v15, 5, v0
	s_cselect_b32 s5, s6, s5
	s_cselect_b32 s3, s7, s3
	s_add_i32 s6, s5, 1
	s_cmp_ge_u32 s3, s4
	v_or_b32_e32 v4, s11, v15
	s_cselect_b32 s3, s6, s5
	v_mbcnt_lo_u32_b32 v3, -1, 0
	s_xor_b32 s3, s3, s2
	s_mov_b32 s4, exec_lo
	s_sub_i32 s3, s3, s2
	v_cmp_gt_i32_e64 s2, s23, v4
	s_waitcnt lgkmcnt(0)
	s_mul_i32 s30, s14, s8
	s_delay_alu instid0(SALU_CYCLE_1)
	s_ashr_i32 s31, s30, 31
	s_barrier
	buffer_gl0_inv
                                        ; implicit-def: $sgpr37
                                        ; implicit-def: $vgpr12
	v_cmpx_le_i32_e64 s23, v4
	s_xor_b32 s4, exec_lo, s4
; %bb.6:
	v_mbcnt_lo_u32_b32 v3, -1, 0
	v_mov_b32_e32 v12, 32
	s_mov_b32 s37, 0xff7fffff
                                        ; implicit-def: $vgpr1
; %bb.7:
	s_or_saveexec_b32 s36, s4
	s_clause 0x4
	s_load_b128 s[16:19], s[0:1], 0x0
	s_load_b64 s[24:25], s[0:1], 0x10
	s_load_b32 s8, s[0:1], 0x98
	s_load_b64 s[34:35], s[0:1], 0x28
	s_load_b128 s[4:7], s[0:1], 0x68
	v_mov_b32_e32 v13, s37
	v_ashrrev_i32_e32 v5, 31, v4
	s_mul_i32 s10, s3, s10
	s_xor_b32 exec_lo, exec_lo, s36
	s_cbranch_execz .LBB302_173
; %bb.8:
	s_load_b64 s[38:39], s[0:1], 0x20
	v_bfe_u32 v6, v0, 2, 3
	v_mov_b32_e32 v2, 0
	v_dual_mov_b32 v13, 0xff7fffff :: v_dual_lshlrev_b32 v14, 1, v1
	v_mul_u32_u24_e32 v16, 40, v1
	s_delay_alu instid0(VALU_DEP_4)
	v_lshlrev_b32_e32 v7, 2, v6
	v_cmp_eq_u32_e32 vcc_lo, 0, v1
	v_dual_mov_b32 v12, 32 :: v_dual_lshlrev_b32 v1, 3, v15
	v_dual_mov_b32 v19, v4 :: v_dual_lshlrev_b32 v10, 4, v6
	s_ashr_i32 s1, s10, 31
	v_lshl_or_b32 v7, v15, 5, v7
	v_lshlrev_b64 v[8:9], 2, v[4:5]
	v_add3_u32 v17, s33, v1, v6
	v_cmp_neq_f32_e64 s0, s12, 0
	s_delay_alu instid0(VALU_DEP_4)
	v_add_nc_u32_e32 v18, 0xc0, v7
	s_waitcnt lgkmcnt(0)
	s_add_u32 s3, s38, s10
	s_addc_u32 s1, s39, s1
	s_lshl_b64 s[38:39], s[30:31], 2
	v_add_co_u32 v6, s3, s3, v10
	s_sub_i32 s37, 1, s15
	v_add_co_ci_u32_e64 v7, null, s1, 0, s3
	s_add_u32 s1, s28, s38
	s_addc_u32 s3, s29, s39
	v_add_co_u32 v8, s1, s1, v8
	s_delay_alu instid0(VALU_DEP_1)
	v_add_co_ci_u32_e64 v9, s1, s3, v9, s1
	s_mov_b32 s39, s9
	s_mov_b32 s38, 0
	s_branch .LBB302_10
.LBB302_9:                              ;   in Loop: Header=BB302_10 Depth=1
	s_or_b32 exec_lo, exec_lo, s3
	v_add_nc_u32_e32 v19, 4, v19
	v_add_co_u32 v8, s3, v8, 16
	v_add_nc_u32_e32 v17, 32, v17
	v_add_nc_u32_e32 v18, 0x80, v18
	s_delay_alu instid0(VALU_DEP_4) | instskip(SKIP_1) | instid1(VALU_DEP_2)
	v_cmp_le_i32_e64 s1, s23, v19
	v_add_co_ci_u32_e64 v9, s3, 0, v9, s3
	s_or_b32 s38, s1, s38
	s_delay_alu instid0(SALU_CYCLE_1)
	s_and_not1_b32 exec_lo, exec_lo, s38
	s_cbranch_execz .LBB302_172
.LBB302_10:                             ; =>This Inner Loop Header: Depth=1
	global_load_b32 v1, v[8:9], off
	s_waitcnt vmcnt(0) lgkmcnt(0)
	v_mad_i64_i32 v[10:11], null, v1, s39, v[6:7]
	s_delay_alu instid0(VALU_DEP_1) | instskip(NEXT) | instid1(VALU_DEP_1)
	v_add_co_u32 v10, s1, v10, v14
	v_add_co_ci_u32_e64 v11, s1, 0, v11, s1
	global_load_u16 v1, v[10:11], off
	global_load_b32 v20, v2, s[4:5]
	s_waitcnt vmcnt(1)
	v_and_b32_e32 v21, 0xff, v1
	v_and_b32_e32 v22, 0xffff, v1
	s_delay_alu instid0(VALU_DEP_2) | instskip(SKIP_1) | instid1(VALU_DEP_2)
	v_cmp_ne_u16_e64 s1, 0, v21
	v_mov_b32_e32 v21, 0
	s_and_saveexec_b32 s3, s1
	s_cbranch_execz .LBB302_18
; %bb.11:                               ;   in Loop: Header=BB302_10 Depth=1
	v_and_b32_e32 v1, 0xff, v22
	v_bfrev_b32_e32 v21, 1
	s_mov_b32 s40, exec_lo
	s_delay_alu instid0(VALU_DEP_2)
	v_cmpx_ne_u16_e32 0x80, v1
	s_cbranch_execz .LBB302_17
; %bb.12:                               ;   in Loop: Header=BB302_10 Depth=1
	v_and_b32_e32 v23, 0x7f, v22
	v_mov_b32_e32 v21, 0x7fc02000
	s_mov_b32 s41, exec_lo
	s_delay_alu instid0(VALU_DEP_2)
	v_cmpx_ne_u32_e32 0x7f, v23
	s_cbranch_execz .LBB302_16
; %bb.13:                               ;   in Loop: Header=BB302_10 Depth=1
	v_and_b32_e32 v1, 7, v22
	v_lshrrev_b32_e32 v21, 3, v23
	s_mov_b32 s42, exec_lo
	v_cmpx_gt_u32_e32 8, v23
; %bb.14:                               ;   in Loop: Header=BB302_10 Depth=1
	s_delay_alu instid0(VALU_DEP_3) | instskip(NEXT) | instid1(VALU_DEP_1)
	v_clz_i32_u32_e32 v21, v1
	v_min_u32_e32 v21, 32, v21
	s_delay_alu instid0(VALU_DEP_1) | instskip(SKIP_1) | instid1(VALU_DEP_2)
	v_subrev_nc_u32_e32 v23, 28, v21
	v_sub_nc_u32_e32 v21, 29, v21
	v_lshlrev_b64 v[23:24], v23, v[1:2]
	s_delay_alu instid0(VALU_DEP_1)
	v_and_b32_e32 v1, 7, v23
; %bb.15:                               ;   in Loop: Header=BB302_10 Depth=1
	s_or_b32 exec_lo, exec_lo, s42
	v_lshlrev_b32_e32 v23, 8, v22
	v_lshl_add_u32 v21, v21, 10, 0x2000
	s_delay_alu instid0(VALU_DEP_1) | instskip(NEXT) | instid1(VALU_DEP_1)
	v_and_or_b32 v21, 0x8000, v23, v21
	v_lshl_or_b32 v1, v1, 7, v21
	s_delay_alu instid0(VALU_DEP_1)
	v_cvt_f32_f16_e32 v21, v1
.LBB302_16:                             ;   in Loop: Header=BB302_10 Depth=1
	s_or_b32 exec_lo, exec_lo, s41
.LBB302_17:                             ;   in Loop: Header=BB302_10 Depth=1
	s_delay_alu instid0(SALU_CYCLE_1)
	s_or_b32 exec_lo, exec_lo, s40
.LBB302_18:                             ;   in Loop: Header=BB302_10 Depth=1
	s_delay_alu instid0(SALU_CYCLE_1) | instskip(SKIP_3) | instid1(VALU_DEP_2)
	s_or_b32 exec_lo, exec_lo, s3
	v_lshrrev_b16 v1, 8, v22
	v_dual_mov_b32 v22, 0 :: v_dual_mov_b32 v23, 0
	s_mov_b32 s3, exec_lo
	v_cmpx_ne_u16_e32 0, v1
	s_cbranch_execz .LBB302_26
; %bb.19:                               ;   in Loop: Header=BB302_10 Depth=1
	v_bfrev_b32_e32 v23, 1
	s_mov_b32 s40, exec_lo
	v_cmpx_ne_u16_e32 0x80, v1
	s_cbranch_execz .LBB302_25
; %bb.20:                               ;   in Loop: Header=BB302_10 Depth=1
	v_and_b32_e32 v24, 0xffff, v1
	v_mov_b32_e32 v23, 0x7fc02000
	s_mov_b32 s41, exec_lo
	s_delay_alu instid0(VALU_DEP_2) | instskip(NEXT) | instid1(VALU_DEP_1)
	v_and_b32_e32 v25, 0x7f, v24
	v_cmpx_ne_u32_e32 0x7f, v25
	s_cbranch_execz .LBB302_24
; %bb.21:                               ;   in Loop: Header=BB302_10 Depth=1
	v_and_b32_e32 v1, 7, v24
	v_lshrrev_b32_e32 v23, 3, v25
	s_mov_b32 s42, exec_lo
	v_cmpx_gt_u32_e32 8, v25
; %bb.22:                               ;   in Loop: Header=BB302_10 Depth=1
	s_delay_alu instid0(VALU_DEP_3) | instskip(NEXT) | instid1(VALU_DEP_1)
	v_clz_i32_u32_e32 v23, v1
	v_min_u32_e32 v23, 32, v23
	s_delay_alu instid0(VALU_DEP_1) | instskip(SKIP_1) | instid1(VALU_DEP_2)
	v_subrev_nc_u32_e32 v25, 28, v23
	v_sub_nc_u32_e32 v23, 29, v23
	v_lshlrev_b64 v[25:26], v25, v[1:2]
	s_delay_alu instid0(VALU_DEP_1)
	v_and_b32_e32 v1, 7, v25
; %bb.23:                               ;   in Loop: Header=BB302_10 Depth=1
	s_or_b32 exec_lo, exec_lo, s42
	v_lshlrev_b32_e32 v24, 8, v24
	v_lshl_add_u32 v23, v23, 10, 0x2000
	s_delay_alu instid0(VALU_DEP_1) | instskip(NEXT) | instid1(VALU_DEP_1)
	v_and_or_b32 v23, 0x8000, v24, v23
	v_lshl_or_b32 v1, v1, 7, v23
	s_delay_alu instid0(VALU_DEP_1)
	v_cvt_f32_f16_e32 v23, v1
.LBB302_24:                             ;   in Loop: Header=BB302_10 Depth=1
	s_or_b32 exec_lo, exec_lo, s41
.LBB302_25:                             ;   in Loop: Header=BB302_10 Depth=1
	s_delay_alu instid0(SALU_CYCLE_1)
	s_or_b32 exec_lo, exec_lo, s40
.LBB302_26:                             ;   in Loop: Header=BB302_10 Depth=1
	s_delay_alu instid0(SALU_CYCLE_1)
	s_or_b32 exec_lo, exec_lo, s3
	global_load_u16 v1, v[10:11], off offset:8
	s_mov_b32 s3, exec_lo
	s_waitcnt vmcnt(0)
	v_and_b32_e32 v25, 0xff, v1
	v_and_b32_e32 v24, 0xffff, v1
	s_delay_alu instid0(VALU_DEP_2)
	v_cmpx_ne_u16_e32 0, v25
	s_cbranch_execz .LBB302_34
; %bb.27:                               ;   in Loop: Header=BB302_10 Depth=1
	s_delay_alu instid0(VALU_DEP_2) | instskip(SKIP_2) | instid1(VALU_DEP_2)
	v_and_b32_e32 v1, 0xff, v24
	v_bfrev_b32_e32 v22, 1
	s_mov_b32 s40, exec_lo
	v_cmpx_ne_u16_e32 0x80, v1
	s_cbranch_execz .LBB302_33
; %bb.28:                               ;   in Loop: Header=BB302_10 Depth=1
	v_and_b32_e32 v25, 0x7f, v24
	v_mov_b32_e32 v22, 0x7fc02000
	s_mov_b32 s41, exec_lo
	s_delay_alu instid0(VALU_DEP_2)
	v_cmpx_ne_u32_e32 0x7f, v25
	s_cbranch_execz .LBB302_32
; %bb.29:                               ;   in Loop: Header=BB302_10 Depth=1
	v_and_b32_e32 v1, 7, v24
	v_lshrrev_b32_e32 v22, 3, v25
	s_mov_b32 s42, exec_lo
	v_cmpx_gt_u32_e32 8, v25
; %bb.30:                               ;   in Loop: Header=BB302_10 Depth=1
	s_delay_alu instid0(VALU_DEP_3) | instskip(NEXT) | instid1(VALU_DEP_1)
	v_clz_i32_u32_e32 v22, v1
	v_min_u32_e32 v22, 32, v22
	s_delay_alu instid0(VALU_DEP_1) | instskip(SKIP_1) | instid1(VALU_DEP_2)
	v_subrev_nc_u32_e32 v25, 28, v22
	v_sub_nc_u32_e32 v22, 29, v22
	v_lshlrev_b64 v[25:26], v25, v[1:2]
	s_delay_alu instid0(VALU_DEP_1)
	v_and_b32_e32 v1, 7, v25
; %bb.31:                               ;   in Loop: Header=BB302_10 Depth=1
	s_or_b32 exec_lo, exec_lo, s42
	v_lshlrev_b32_e32 v25, 8, v24
	v_lshl_add_u32 v22, v22, 10, 0x2000
	s_delay_alu instid0(VALU_DEP_1) | instskip(NEXT) | instid1(VALU_DEP_1)
	v_and_or_b32 v22, 0x8000, v25, v22
	v_lshl_or_b32 v1, v1, 7, v22
	s_delay_alu instid0(VALU_DEP_1)
	v_cvt_f32_f16_e32 v22, v1
.LBB302_32:                             ;   in Loop: Header=BB302_10 Depth=1
	s_or_b32 exec_lo, exec_lo, s41
.LBB302_33:                             ;   in Loop: Header=BB302_10 Depth=1
	s_delay_alu instid0(SALU_CYCLE_1)
	s_or_b32 exec_lo, exec_lo, s40
.LBB302_34:                             ;   in Loop: Header=BB302_10 Depth=1
	s_delay_alu instid0(SALU_CYCLE_1) | instskip(NEXT) | instid1(VALU_DEP_2)
	s_or_b32 exec_lo, exec_lo, s3
	v_lshrrev_b16 v1, 8, v24
	v_dual_mov_b32 v24, 0 :: v_dual_mov_b32 v25, 0
	s_mov_b32 s3, exec_lo
	s_delay_alu instid0(VALU_DEP_2)
	v_cmpx_ne_u16_e32 0, v1
	s_cbranch_execz .LBB302_42
; %bb.35:                               ;   in Loop: Header=BB302_10 Depth=1
	v_bfrev_b32_e32 v25, 1
	s_mov_b32 s40, exec_lo
	v_cmpx_ne_u16_e32 0x80, v1
	s_cbranch_execz .LBB302_41
; %bb.36:                               ;   in Loop: Header=BB302_10 Depth=1
	v_and_b32_e32 v26, 0xffff, v1
	v_mov_b32_e32 v25, 0x7fc02000
	s_mov_b32 s41, exec_lo
	s_delay_alu instid0(VALU_DEP_2) | instskip(NEXT) | instid1(VALU_DEP_1)
	v_and_b32_e32 v27, 0x7f, v26
	v_cmpx_ne_u32_e32 0x7f, v27
	s_cbranch_execz .LBB302_40
; %bb.37:                               ;   in Loop: Header=BB302_10 Depth=1
	v_and_b32_e32 v1, 7, v26
	v_lshrrev_b32_e32 v25, 3, v27
	s_mov_b32 s42, exec_lo
	v_cmpx_gt_u32_e32 8, v27
; %bb.38:                               ;   in Loop: Header=BB302_10 Depth=1
	s_delay_alu instid0(VALU_DEP_3) | instskip(NEXT) | instid1(VALU_DEP_1)
	v_clz_i32_u32_e32 v25, v1
	v_min_u32_e32 v25, 32, v25
	s_delay_alu instid0(VALU_DEP_1) | instskip(SKIP_1) | instid1(VALU_DEP_2)
	v_subrev_nc_u32_e32 v27, 28, v25
	v_sub_nc_u32_e32 v25, 29, v25
	v_lshlrev_b64 v[27:28], v27, v[1:2]
	s_delay_alu instid0(VALU_DEP_1)
	v_and_b32_e32 v1, 7, v27
; %bb.39:                               ;   in Loop: Header=BB302_10 Depth=1
	s_or_b32 exec_lo, exec_lo, s42
	v_lshlrev_b32_e32 v26, 8, v26
	v_lshl_add_u32 v25, v25, 10, 0x2000
	s_delay_alu instid0(VALU_DEP_1) | instskip(NEXT) | instid1(VALU_DEP_1)
	v_and_or_b32 v25, 0x8000, v26, v25
	v_lshl_or_b32 v1, v1, 7, v25
	s_delay_alu instid0(VALU_DEP_1)
	v_cvt_f32_f16_e32 v25, v1
.LBB302_40:                             ;   in Loop: Header=BB302_10 Depth=1
	s_or_b32 exec_lo, exec_lo, s41
.LBB302_41:                             ;   in Loop: Header=BB302_10 Depth=1
	s_delay_alu instid0(SALU_CYCLE_1)
	s_or_b32 exec_lo, exec_lo, s40
.LBB302_42:                             ;   in Loop: Header=BB302_10 Depth=1
	s_delay_alu instid0(SALU_CYCLE_1)
	s_or_b32 exec_lo, exec_lo, s3
	global_load_u16 v1, v[10:11], off offset:128
	s_mov_b32 s3, exec_lo
	s_waitcnt vmcnt(0)
	v_and_b32_e32 v27, 0xff, v1
	v_and_b32_e32 v26, 0xffff, v1
	s_delay_alu instid0(VALU_DEP_2)
	v_cmpx_ne_u16_e32 0, v27
	s_cbranch_execz .LBB302_50
; %bb.43:                               ;   in Loop: Header=BB302_10 Depth=1
	s_delay_alu instid0(VALU_DEP_2) | instskip(SKIP_2) | instid1(VALU_DEP_2)
	v_and_b32_e32 v1, 0xff, v26
	v_bfrev_b32_e32 v24, 1
	s_mov_b32 s40, exec_lo
	v_cmpx_ne_u16_e32 0x80, v1
	s_cbranch_execz .LBB302_49
; %bb.44:                               ;   in Loop: Header=BB302_10 Depth=1
	v_and_b32_e32 v27, 0x7f, v26
	v_mov_b32_e32 v24, 0x7fc02000
	s_mov_b32 s41, exec_lo
	s_delay_alu instid0(VALU_DEP_2)
	v_cmpx_ne_u32_e32 0x7f, v27
	s_cbranch_execz .LBB302_48
; %bb.45:                               ;   in Loop: Header=BB302_10 Depth=1
	v_and_b32_e32 v1, 7, v26
	v_lshrrev_b32_e32 v24, 3, v27
	s_mov_b32 s42, exec_lo
	v_cmpx_gt_u32_e32 8, v27
; %bb.46:                               ;   in Loop: Header=BB302_10 Depth=1
	s_delay_alu instid0(VALU_DEP_3) | instskip(NEXT) | instid1(VALU_DEP_1)
	v_clz_i32_u32_e32 v24, v1
	v_min_u32_e32 v24, 32, v24
	s_delay_alu instid0(VALU_DEP_1) | instskip(SKIP_1) | instid1(VALU_DEP_2)
	v_subrev_nc_u32_e32 v27, 28, v24
	v_sub_nc_u32_e32 v24, 29, v24
	v_lshlrev_b64 v[27:28], v27, v[1:2]
	s_delay_alu instid0(VALU_DEP_1)
	v_and_b32_e32 v1, 7, v27
; %bb.47:                               ;   in Loop: Header=BB302_10 Depth=1
	s_or_b32 exec_lo, exec_lo, s42
	v_lshlrev_b32_e32 v27, 8, v26
	v_lshl_add_u32 v24, v24, 10, 0x2000
	s_delay_alu instid0(VALU_DEP_1) | instskip(NEXT) | instid1(VALU_DEP_1)
	v_and_or_b32 v24, 0x8000, v27, v24
	v_lshl_or_b32 v1, v1, 7, v24
	s_delay_alu instid0(VALU_DEP_1)
	v_cvt_f32_f16_e32 v24, v1
.LBB302_48:                             ;   in Loop: Header=BB302_10 Depth=1
	s_or_b32 exec_lo, exec_lo, s41
.LBB302_49:                             ;   in Loop: Header=BB302_10 Depth=1
	s_delay_alu instid0(SALU_CYCLE_1)
	s_or_b32 exec_lo, exec_lo, s40
.LBB302_50:                             ;   in Loop: Header=BB302_10 Depth=1
	s_delay_alu instid0(SALU_CYCLE_1) | instskip(NEXT) | instid1(VALU_DEP_2)
	s_or_b32 exec_lo, exec_lo, s3
	v_lshrrev_b16 v1, 8, v26
	v_dual_mov_b32 v26, 0 :: v_dual_mov_b32 v27, 0
	s_mov_b32 s3, exec_lo
	s_delay_alu instid0(VALU_DEP_2)
	v_cmpx_ne_u16_e32 0, v1
	s_cbranch_execz .LBB302_58
; %bb.51:                               ;   in Loop: Header=BB302_10 Depth=1
	v_bfrev_b32_e32 v27, 1
	s_mov_b32 s40, exec_lo
	v_cmpx_ne_u16_e32 0x80, v1
	s_cbranch_execz .LBB302_57
; %bb.52:                               ;   in Loop: Header=BB302_10 Depth=1
	v_and_b32_e32 v28, 0xffff, v1
	v_mov_b32_e32 v27, 0x7fc02000
	s_mov_b32 s41, exec_lo
	s_delay_alu instid0(VALU_DEP_2) | instskip(NEXT) | instid1(VALU_DEP_1)
	v_and_b32_e32 v29, 0x7f, v28
	v_cmpx_ne_u32_e32 0x7f, v29
	s_cbranch_execz .LBB302_56
; %bb.53:                               ;   in Loop: Header=BB302_10 Depth=1
	v_and_b32_e32 v1, 7, v28
	v_lshrrev_b32_e32 v27, 3, v29
	s_mov_b32 s42, exec_lo
	v_cmpx_gt_u32_e32 8, v29
; %bb.54:                               ;   in Loop: Header=BB302_10 Depth=1
	s_delay_alu instid0(VALU_DEP_3) | instskip(NEXT) | instid1(VALU_DEP_1)
	v_clz_i32_u32_e32 v27, v1
	v_min_u32_e32 v27, 32, v27
	s_delay_alu instid0(VALU_DEP_1) | instskip(SKIP_1) | instid1(VALU_DEP_2)
	v_subrev_nc_u32_e32 v29, 28, v27
	v_sub_nc_u32_e32 v27, 29, v27
	v_lshlrev_b64 v[29:30], v29, v[1:2]
	s_delay_alu instid0(VALU_DEP_1)
	v_and_b32_e32 v1, 7, v29
; %bb.55:                               ;   in Loop: Header=BB302_10 Depth=1
	s_or_b32 exec_lo, exec_lo, s42
	v_lshlrev_b32_e32 v28, 8, v28
	v_lshl_add_u32 v27, v27, 10, 0x2000
	s_delay_alu instid0(VALU_DEP_1) | instskip(NEXT) | instid1(VALU_DEP_1)
	v_and_or_b32 v27, 0x8000, v28, v27
	v_lshl_or_b32 v1, v1, 7, v27
	s_delay_alu instid0(VALU_DEP_1)
	v_cvt_f32_f16_e32 v27, v1
.LBB302_56:                             ;   in Loop: Header=BB302_10 Depth=1
	s_or_b32 exec_lo, exec_lo, s41
.LBB302_57:                             ;   in Loop: Header=BB302_10 Depth=1
	s_delay_alu instid0(SALU_CYCLE_1)
	s_or_b32 exec_lo, exec_lo, s40
.LBB302_58:                             ;   in Loop: Header=BB302_10 Depth=1
	s_delay_alu instid0(SALU_CYCLE_1)
	s_or_b32 exec_lo, exec_lo, s3
	global_load_u16 v1, v[10:11], off offset:136
	s_mov_b32 s3, exec_lo
	s_waitcnt vmcnt(0)
	v_and_b32_e32 v29, 0xff, v1
	v_and_b32_e32 v28, 0xffff, v1
	s_delay_alu instid0(VALU_DEP_2)
	v_cmpx_ne_u16_e32 0, v29
	s_cbranch_execz .LBB302_66
; %bb.59:                               ;   in Loop: Header=BB302_10 Depth=1
	s_delay_alu instid0(VALU_DEP_2) | instskip(SKIP_2) | instid1(VALU_DEP_2)
	v_and_b32_e32 v1, 0xff, v28
	v_bfrev_b32_e32 v26, 1
	s_mov_b32 s40, exec_lo
	v_cmpx_ne_u16_e32 0x80, v1
	s_cbranch_execz .LBB302_65
; %bb.60:                               ;   in Loop: Header=BB302_10 Depth=1
	v_and_b32_e32 v29, 0x7f, v28
	v_mov_b32_e32 v26, 0x7fc02000
	s_mov_b32 s41, exec_lo
	s_delay_alu instid0(VALU_DEP_2)
	v_cmpx_ne_u32_e32 0x7f, v29
	s_cbranch_execz .LBB302_64
; %bb.61:                               ;   in Loop: Header=BB302_10 Depth=1
	v_and_b32_e32 v1, 7, v28
	v_lshrrev_b32_e32 v26, 3, v29
	s_mov_b32 s42, exec_lo
	v_cmpx_gt_u32_e32 8, v29
; %bb.62:                               ;   in Loop: Header=BB302_10 Depth=1
	s_delay_alu instid0(VALU_DEP_3) | instskip(NEXT) | instid1(VALU_DEP_1)
	v_clz_i32_u32_e32 v26, v1
	v_min_u32_e32 v26, 32, v26
	s_delay_alu instid0(VALU_DEP_1) | instskip(SKIP_1) | instid1(VALU_DEP_2)
	v_subrev_nc_u32_e32 v29, 28, v26
	v_sub_nc_u32_e32 v26, 29, v26
	v_lshlrev_b64 v[29:30], v29, v[1:2]
	s_delay_alu instid0(VALU_DEP_1)
	v_and_b32_e32 v1, 7, v29
; %bb.63:                               ;   in Loop: Header=BB302_10 Depth=1
	s_or_b32 exec_lo, exec_lo, s42
	v_lshlrev_b32_e32 v29, 8, v28
	v_lshl_add_u32 v26, v26, 10, 0x2000
	s_delay_alu instid0(VALU_DEP_1) | instskip(NEXT) | instid1(VALU_DEP_1)
	v_and_or_b32 v26, 0x8000, v29, v26
	v_lshl_or_b32 v1, v1, 7, v26
	s_delay_alu instid0(VALU_DEP_1)
	v_cvt_f32_f16_e32 v26, v1
.LBB302_64:                             ;   in Loop: Header=BB302_10 Depth=1
	s_or_b32 exec_lo, exec_lo, s41
.LBB302_65:                             ;   in Loop: Header=BB302_10 Depth=1
	s_delay_alu instid0(SALU_CYCLE_1)
	s_or_b32 exec_lo, exec_lo, s40
.LBB302_66:                             ;   in Loop: Header=BB302_10 Depth=1
	s_delay_alu instid0(SALU_CYCLE_1) | instskip(NEXT) | instid1(VALU_DEP_2)
	s_or_b32 exec_lo, exec_lo, s3
	v_lshrrev_b16 v1, 8, v28
	v_dual_mov_b32 v28, 0 :: v_dual_mov_b32 v29, 0
	s_mov_b32 s3, exec_lo
	s_delay_alu instid0(VALU_DEP_2)
	v_cmpx_ne_u16_e32 0, v1
	s_cbranch_execz .LBB302_74
; %bb.67:                               ;   in Loop: Header=BB302_10 Depth=1
	v_bfrev_b32_e32 v29, 1
	s_mov_b32 s40, exec_lo
	v_cmpx_ne_u16_e32 0x80, v1
	s_cbranch_execz .LBB302_73
; %bb.68:                               ;   in Loop: Header=BB302_10 Depth=1
	v_and_b32_e32 v30, 0xffff, v1
	v_mov_b32_e32 v29, 0x7fc02000
	s_mov_b32 s41, exec_lo
	s_delay_alu instid0(VALU_DEP_2) | instskip(NEXT) | instid1(VALU_DEP_1)
	v_and_b32_e32 v31, 0x7f, v30
	v_cmpx_ne_u32_e32 0x7f, v31
	s_cbranch_execz .LBB302_72
; %bb.69:                               ;   in Loop: Header=BB302_10 Depth=1
	v_and_b32_e32 v1, 7, v30
	v_lshrrev_b32_e32 v29, 3, v31
	s_mov_b32 s42, exec_lo
	v_cmpx_gt_u32_e32 8, v31
; %bb.70:                               ;   in Loop: Header=BB302_10 Depth=1
	s_delay_alu instid0(VALU_DEP_3) | instskip(NEXT) | instid1(VALU_DEP_1)
	v_clz_i32_u32_e32 v29, v1
	v_min_u32_e32 v29, 32, v29
	s_delay_alu instid0(VALU_DEP_1) | instskip(SKIP_1) | instid1(VALU_DEP_2)
	v_subrev_nc_u32_e32 v31, 28, v29
	v_sub_nc_u32_e32 v29, 29, v29
	v_lshlrev_b64 v[31:32], v31, v[1:2]
	s_delay_alu instid0(VALU_DEP_1)
	v_and_b32_e32 v1, 7, v31
; %bb.71:                               ;   in Loop: Header=BB302_10 Depth=1
	s_or_b32 exec_lo, exec_lo, s42
	v_lshlrev_b32_e32 v30, 8, v30
	v_lshl_add_u32 v29, v29, 10, 0x2000
	s_delay_alu instid0(VALU_DEP_1) | instskip(NEXT) | instid1(VALU_DEP_1)
	v_and_or_b32 v29, 0x8000, v30, v29
	v_lshl_or_b32 v1, v1, 7, v29
	s_delay_alu instid0(VALU_DEP_1)
	v_cvt_f32_f16_e32 v29, v1
.LBB302_72:                             ;   in Loop: Header=BB302_10 Depth=1
	s_or_b32 exec_lo, exec_lo, s41
.LBB302_73:                             ;   in Loop: Header=BB302_10 Depth=1
	s_delay_alu instid0(SALU_CYCLE_1)
	s_or_b32 exec_lo, exec_lo, s40
.LBB302_74:                             ;   in Loop: Header=BB302_10 Depth=1
	s_delay_alu instid0(SALU_CYCLE_1)
	s_or_b32 exec_lo, exec_lo, s3
	global_load_u16 v1, v[10:11], off offset:256
	s_mov_b32 s3, exec_lo
	s_waitcnt vmcnt(0)
	v_and_b32_e32 v31, 0xff, v1
	v_and_b32_e32 v30, 0xffff, v1
	s_delay_alu instid0(VALU_DEP_2)
	v_cmpx_ne_u16_e32 0, v31
	s_cbranch_execz .LBB302_82
; %bb.75:                               ;   in Loop: Header=BB302_10 Depth=1
	s_delay_alu instid0(VALU_DEP_2) | instskip(SKIP_2) | instid1(VALU_DEP_2)
	v_and_b32_e32 v1, 0xff, v30
	v_bfrev_b32_e32 v28, 1
	s_mov_b32 s40, exec_lo
	v_cmpx_ne_u16_e32 0x80, v1
	s_cbranch_execz .LBB302_81
; %bb.76:                               ;   in Loop: Header=BB302_10 Depth=1
	v_and_b32_e32 v31, 0x7f, v30
	v_mov_b32_e32 v28, 0x7fc02000
	s_mov_b32 s41, exec_lo
	s_delay_alu instid0(VALU_DEP_2)
	v_cmpx_ne_u32_e32 0x7f, v31
	s_cbranch_execz .LBB302_80
; %bb.77:                               ;   in Loop: Header=BB302_10 Depth=1
	v_and_b32_e32 v1, 7, v30
	v_lshrrev_b32_e32 v28, 3, v31
	s_mov_b32 s42, exec_lo
	v_cmpx_gt_u32_e32 8, v31
; %bb.78:                               ;   in Loop: Header=BB302_10 Depth=1
	s_delay_alu instid0(VALU_DEP_3) | instskip(NEXT) | instid1(VALU_DEP_1)
	v_clz_i32_u32_e32 v28, v1
	v_min_u32_e32 v28, 32, v28
	s_delay_alu instid0(VALU_DEP_1) | instskip(SKIP_1) | instid1(VALU_DEP_2)
	v_subrev_nc_u32_e32 v31, 28, v28
	v_sub_nc_u32_e32 v28, 29, v28
	v_lshlrev_b64 v[31:32], v31, v[1:2]
	s_delay_alu instid0(VALU_DEP_1)
	v_and_b32_e32 v1, 7, v31
; %bb.79:                               ;   in Loop: Header=BB302_10 Depth=1
	s_or_b32 exec_lo, exec_lo, s42
	v_lshlrev_b32_e32 v31, 8, v30
	v_lshl_add_u32 v28, v28, 10, 0x2000
	s_delay_alu instid0(VALU_DEP_1) | instskip(NEXT) | instid1(VALU_DEP_1)
	v_and_or_b32 v28, 0x8000, v31, v28
	v_lshl_or_b32 v1, v1, 7, v28
	s_delay_alu instid0(VALU_DEP_1)
	v_cvt_f32_f16_e32 v28, v1
.LBB302_80:                             ;   in Loop: Header=BB302_10 Depth=1
	s_or_b32 exec_lo, exec_lo, s41
.LBB302_81:                             ;   in Loop: Header=BB302_10 Depth=1
	s_delay_alu instid0(SALU_CYCLE_1)
	s_or_b32 exec_lo, exec_lo, s40
.LBB302_82:                             ;   in Loop: Header=BB302_10 Depth=1
	s_delay_alu instid0(SALU_CYCLE_1) | instskip(NEXT) | instid1(VALU_DEP_2)
	s_or_b32 exec_lo, exec_lo, s3
	v_lshrrev_b16 v1, 8, v30
	v_dual_mov_b32 v30, 0 :: v_dual_mov_b32 v31, 0
	s_mov_b32 s3, exec_lo
	s_delay_alu instid0(VALU_DEP_2)
	v_cmpx_ne_u16_e32 0, v1
	s_cbranch_execz .LBB302_90
; %bb.83:                               ;   in Loop: Header=BB302_10 Depth=1
	v_bfrev_b32_e32 v31, 1
	s_mov_b32 s40, exec_lo
	v_cmpx_ne_u16_e32 0x80, v1
	s_cbranch_execz .LBB302_89
; %bb.84:                               ;   in Loop: Header=BB302_10 Depth=1
	v_and_b32_e32 v32, 0xffff, v1
	v_mov_b32_e32 v31, 0x7fc02000
	s_mov_b32 s41, exec_lo
	s_delay_alu instid0(VALU_DEP_2) | instskip(NEXT) | instid1(VALU_DEP_1)
	v_and_b32_e32 v33, 0x7f, v32
	v_cmpx_ne_u32_e32 0x7f, v33
	s_cbranch_execz .LBB302_88
; %bb.85:                               ;   in Loop: Header=BB302_10 Depth=1
	v_and_b32_e32 v1, 7, v32
	v_lshrrev_b32_e32 v31, 3, v33
	s_mov_b32 s42, exec_lo
	v_cmpx_gt_u32_e32 8, v33
; %bb.86:                               ;   in Loop: Header=BB302_10 Depth=1
	s_delay_alu instid0(VALU_DEP_3) | instskip(NEXT) | instid1(VALU_DEP_1)
	v_clz_i32_u32_e32 v31, v1
	v_min_u32_e32 v31, 32, v31
	s_delay_alu instid0(VALU_DEP_1) | instskip(SKIP_1) | instid1(VALU_DEP_2)
	v_subrev_nc_u32_e32 v33, 28, v31
	v_sub_nc_u32_e32 v31, 29, v31
	v_lshlrev_b64 v[33:34], v33, v[1:2]
	s_delay_alu instid0(VALU_DEP_1)
	v_and_b32_e32 v1, 7, v33
; %bb.87:                               ;   in Loop: Header=BB302_10 Depth=1
	s_or_b32 exec_lo, exec_lo, s42
	v_lshlrev_b32_e32 v32, 8, v32
	v_lshl_add_u32 v31, v31, 10, 0x2000
	s_delay_alu instid0(VALU_DEP_1) | instskip(NEXT) | instid1(VALU_DEP_1)
	v_and_or_b32 v31, 0x8000, v32, v31
	v_lshl_or_b32 v1, v1, 7, v31
	s_delay_alu instid0(VALU_DEP_1)
	v_cvt_f32_f16_e32 v31, v1
.LBB302_88:                             ;   in Loop: Header=BB302_10 Depth=1
	s_or_b32 exec_lo, exec_lo, s41
.LBB302_89:                             ;   in Loop: Header=BB302_10 Depth=1
	s_delay_alu instid0(SALU_CYCLE_1)
	s_or_b32 exec_lo, exec_lo, s40
.LBB302_90:                             ;   in Loop: Header=BB302_10 Depth=1
	s_delay_alu instid0(SALU_CYCLE_1)
	s_or_b32 exec_lo, exec_lo, s3
	global_load_u16 v1, v[10:11], off offset:264
	s_mov_b32 s3, exec_lo
	s_waitcnt vmcnt(0)
	v_and_b32_e32 v33, 0xff, v1
	v_and_b32_e32 v32, 0xffff, v1
	s_delay_alu instid0(VALU_DEP_2)
	v_cmpx_ne_u16_e32 0, v33
	s_cbranch_execz .LBB302_98
; %bb.91:                               ;   in Loop: Header=BB302_10 Depth=1
	s_delay_alu instid0(VALU_DEP_2) | instskip(SKIP_2) | instid1(VALU_DEP_2)
	v_and_b32_e32 v1, 0xff, v32
	v_bfrev_b32_e32 v30, 1
	s_mov_b32 s40, exec_lo
	v_cmpx_ne_u16_e32 0x80, v1
	s_cbranch_execz .LBB302_97
; %bb.92:                               ;   in Loop: Header=BB302_10 Depth=1
	v_and_b32_e32 v33, 0x7f, v32
	v_mov_b32_e32 v30, 0x7fc02000
	s_mov_b32 s41, exec_lo
	s_delay_alu instid0(VALU_DEP_2)
	v_cmpx_ne_u32_e32 0x7f, v33
	s_cbranch_execz .LBB302_96
; %bb.93:                               ;   in Loop: Header=BB302_10 Depth=1
	v_and_b32_e32 v1, 7, v32
	v_lshrrev_b32_e32 v30, 3, v33
	s_mov_b32 s42, exec_lo
	v_cmpx_gt_u32_e32 8, v33
; %bb.94:                               ;   in Loop: Header=BB302_10 Depth=1
	s_delay_alu instid0(VALU_DEP_3) | instskip(NEXT) | instid1(VALU_DEP_1)
	v_clz_i32_u32_e32 v30, v1
	v_min_u32_e32 v30, 32, v30
	s_delay_alu instid0(VALU_DEP_1) | instskip(SKIP_1) | instid1(VALU_DEP_2)
	v_subrev_nc_u32_e32 v33, 28, v30
	v_sub_nc_u32_e32 v30, 29, v30
	v_lshlrev_b64 v[33:34], v33, v[1:2]
	s_delay_alu instid0(VALU_DEP_1)
	v_and_b32_e32 v1, 7, v33
; %bb.95:                               ;   in Loop: Header=BB302_10 Depth=1
	s_or_b32 exec_lo, exec_lo, s42
	v_lshlrev_b32_e32 v33, 8, v32
	v_lshl_add_u32 v30, v30, 10, 0x2000
	s_delay_alu instid0(VALU_DEP_1) | instskip(NEXT) | instid1(VALU_DEP_1)
	v_and_or_b32 v30, 0x8000, v33, v30
	v_lshl_or_b32 v1, v1, 7, v30
	s_delay_alu instid0(VALU_DEP_1)
	v_cvt_f32_f16_e32 v30, v1
.LBB302_96:                             ;   in Loop: Header=BB302_10 Depth=1
	s_or_b32 exec_lo, exec_lo, s41
.LBB302_97:                             ;   in Loop: Header=BB302_10 Depth=1
	s_delay_alu instid0(SALU_CYCLE_1)
	s_or_b32 exec_lo, exec_lo, s40
.LBB302_98:                             ;   in Loop: Header=BB302_10 Depth=1
	s_delay_alu instid0(SALU_CYCLE_1) | instskip(NEXT) | instid1(VALU_DEP_2)
	s_or_b32 exec_lo, exec_lo, s3
	v_lshrrev_b16 v1, 8, v32
	v_dual_mov_b32 v32, 0 :: v_dual_mov_b32 v33, 0
	s_mov_b32 s3, exec_lo
	s_delay_alu instid0(VALU_DEP_2)
	v_cmpx_ne_u16_e32 0, v1
	s_cbranch_execz .LBB302_106
; %bb.99:                               ;   in Loop: Header=BB302_10 Depth=1
	v_bfrev_b32_e32 v33, 1
	s_mov_b32 s40, exec_lo
	v_cmpx_ne_u16_e32 0x80, v1
	s_cbranch_execz .LBB302_105
; %bb.100:                              ;   in Loop: Header=BB302_10 Depth=1
	v_and_b32_e32 v34, 0xffff, v1
	v_mov_b32_e32 v33, 0x7fc02000
	s_mov_b32 s41, exec_lo
	s_delay_alu instid0(VALU_DEP_2) | instskip(NEXT) | instid1(VALU_DEP_1)
	v_and_b32_e32 v35, 0x7f, v34
	v_cmpx_ne_u32_e32 0x7f, v35
	s_cbranch_execz .LBB302_104
; %bb.101:                              ;   in Loop: Header=BB302_10 Depth=1
	v_and_b32_e32 v1, 7, v34
	v_lshrrev_b32_e32 v33, 3, v35
	s_mov_b32 s42, exec_lo
	v_cmpx_gt_u32_e32 8, v35
; %bb.102:                              ;   in Loop: Header=BB302_10 Depth=1
	s_delay_alu instid0(VALU_DEP_3) | instskip(NEXT) | instid1(VALU_DEP_1)
	v_clz_i32_u32_e32 v33, v1
	v_min_u32_e32 v33, 32, v33
	s_delay_alu instid0(VALU_DEP_1) | instskip(SKIP_1) | instid1(VALU_DEP_2)
	v_subrev_nc_u32_e32 v35, 28, v33
	v_sub_nc_u32_e32 v33, 29, v33
	v_lshlrev_b64 v[35:36], v35, v[1:2]
	s_delay_alu instid0(VALU_DEP_1)
	v_and_b32_e32 v1, 7, v35
; %bb.103:                              ;   in Loop: Header=BB302_10 Depth=1
	s_or_b32 exec_lo, exec_lo, s42
	v_lshlrev_b32_e32 v34, 8, v34
	v_lshl_add_u32 v33, v33, 10, 0x2000
	s_delay_alu instid0(VALU_DEP_1) | instskip(NEXT) | instid1(VALU_DEP_1)
	v_and_or_b32 v33, 0x8000, v34, v33
	v_lshl_or_b32 v1, v1, 7, v33
	s_delay_alu instid0(VALU_DEP_1)
	v_cvt_f32_f16_e32 v33, v1
.LBB302_104:                            ;   in Loop: Header=BB302_10 Depth=1
	s_or_b32 exec_lo, exec_lo, s41
.LBB302_105:                            ;   in Loop: Header=BB302_10 Depth=1
	s_delay_alu instid0(SALU_CYCLE_1)
	s_or_b32 exec_lo, exec_lo, s40
.LBB302_106:                            ;   in Loop: Header=BB302_10 Depth=1
	s_delay_alu instid0(SALU_CYCLE_1)
	s_or_b32 exec_lo, exec_lo, s3
	global_load_u16 v1, v[10:11], off offset:384
	s_mov_b32 s3, exec_lo
	s_waitcnt vmcnt(0)
	v_and_b32_e32 v35, 0xff, v1
	v_and_b32_e32 v34, 0xffff, v1
	s_delay_alu instid0(VALU_DEP_2)
	v_cmpx_ne_u16_e32 0, v35
	s_cbranch_execz .LBB302_114
; %bb.107:                              ;   in Loop: Header=BB302_10 Depth=1
	s_delay_alu instid0(VALU_DEP_2) | instskip(SKIP_2) | instid1(VALU_DEP_2)
	v_and_b32_e32 v1, 0xff, v34
	v_bfrev_b32_e32 v32, 1
	s_mov_b32 s40, exec_lo
	v_cmpx_ne_u16_e32 0x80, v1
	s_cbranch_execz .LBB302_113
; %bb.108:                              ;   in Loop: Header=BB302_10 Depth=1
	v_and_b32_e32 v35, 0x7f, v34
	v_mov_b32_e32 v32, 0x7fc02000
	s_mov_b32 s41, exec_lo
	s_delay_alu instid0(VALU_DEP_2)
	v_cmpx_ne_u32_e32 0x7f, v35
	s_cbranch_execz .LBB302_112
; %bb.109:                              ;   in Loop: Header=BB302_10 Depth=1
	v_and_b32_e32 v1, 7, v34
	v_lshrrev_b32_e32 v32, 3, v35
	s_mov_b32 s42, exec_lo
	v_cmpx_gt_u32_e32 8, v35
; %bb.110:                              ;   in Loop: Header=BB302_10 Depth=1
	s_delay_alu instid0(VALU_DEP_3) | instskip(NEXT) | instid1(VALU_DEP_1)
	v_clz_i32_u32_e32 v32, v1
	v_min_u32_e32 v32, 32, v32
	s_delay_alu instid0(VALU_DEP_1) | instskip(SKIP_1) | instid1(VALU_DEP_2)
	v_subrev_nc_u32_e32 v35, 28, v32
	v_sub_nc_u32_e32 v32, 29, v32
	v_lshlrev_b64 v[35:36], v35, v[1:2]
	s_delay_alu instid0(VALU_DEP_1)
	v_and_b32_e32 v1, 7, v35
; %bb.111:                              ;   in Loop: Header=BB302_10 Depth=1
	s_or_b32 exec_lo, exec_lo, s42
	v_lshlrev_b32_e32 v35, 8, v34
	v_lshl_add_u32 v32, v32, 10, 0x2000
	s_delay_alu instid0(VALU_DEP_1) | instskip(NEXT) | instid1(VALU_DEP_1)
	v_and_or_b32 v32, 0x8000, v35, v32
	v_lshl_or_b32 v1, v1, 7, v32
	s_delay_alu instid0(VALU_DEP_1)
	v_cvt_f32_f16_e32 v32, v1
.LBB302_112:                            ;   in Loop: Header=BB302_10 Depth=1
	s_or_b32 exec_lo, exec_lo, s41
.LBB302_113:                            ;   in Loop: Header=BB302_10 Depth=1
	s_delay_alu instid0(SALU_CYCLE_1)
	s_or_b32 exec_lo, exec_lo, s40
.LBB302_114:                            ;   in Loop: Header=BB302_10 Depth=1
	s_delay_alu instid0(SALU_CYCLE_1) | instskip(NEXT) | instid1(VALU_DEP_2)
	s_or_b32 exec_lo, exec_lo, s3
	v_lshrrev_b16 v1, 8, v34
	v_dual_mov_b32 v34, 0 :: v_dual_mov_b32 v35, 0
	s_mov_b32 s3, exec_lo
	s_delay_alu instid0(VALU_DEP_2)
	v_cmpx_ne_u16_e32 0, v1
	s_cbranch_execz .LBB302_122
; %bb.115:                              ;   in Loop: Header=BB302_10 Depth=1
	v_bfrev_b32_e32 v35, 1
	s_mov_b32 s40, exec_lo
	v_cmpx_ne_u16_e32 0x80, v1
	s_cbranch_execz .LBB302_121
; %bb.116:                              ;   in Loop: Header=BB302_10 Depth=1
	v_and_b32_e32 v36, 0xffff, v1
	v_mov_b32_e32 v35, 0x7fc02000
	s_mov_b32 s41, exec_lo
	s_delay_alu instid0(VALU_DEP_2) | instskip(NEXT) | instid1(VALU_DEP_1)
	v_and_b32_e32 v37, 0x7f, v36
	v_cmpx_ne_u32_e32 0x7f, v37
	s_cbranch_execz .LBB302_120
; %bb.117:                              ;   in Loop: Header=BB302_10 Depth=1
	v_and_b32_e32 v1, 7, v36
	v_lshrrev_b32_e32 v35, 3, v37
	s_mov_b32 s42, exec_lo
	v_cmpx_gt_u32_e32 8, v37
; %bb.118:                              ;   in Loop: Header=BB302_10 Depth=1
	s_delay_alu instid0(VALU_DEP_3) | instskip(NEXT) | instid1(VALU_DEP_1)
	v_clz_i32_u32_e32 v35, v1
	v_min_u32_e32 v35, 32, v35
	s_delay_alu instid0(VALU_DEP_1) | instskip(SKIP_1) | instid1(VALU_DEP_2)
	v_subrev_nc_u32_e32 v37, 28, v35
	v_sub_nc_u32_e32 v35, 29, v35
	v_lshlrev_b64 v[37:38], v37, v[1:2]
	s_delay_alu instid0(VALU_DEP_1)
	v_and_b32_e32 v1, 7, v37
; %bb.119:                              ;   in Loop: Header=BB302_10 Depth=1
	s_or_b32 exec_lo, exec_lo, s42
	v_lshlrev_b32_e32 v36, 8, v36
	v_lshl_add_u32 v35, v35, 10, 0x2000
	s_delay_alu instid0(VALU_DEP_1) | instskip(NEXT) | instid1(VALU_DEP_1)
	v_and_or_b32 v35, 0x8000, v36, v35
	v_lshl_or_b32 v1, v1, 7, v35
	s_delay_alu instid0(VALU_DEP_1)
	v_cvt_f32_f16_e32 v35, v1
.LBB302_120:                            ;   in Loop: Header=BB302_10 Depth=1
	s_or_b32 exec_lo, exec_lo, s41
.LBB302_121:                            ;   in Loop: Header=BB302_10 Depth=1
	s_delay_alu instid0(SALU_CYCLE_1)
	s_or_b32 exec_lo, exec_lo, s40
.LBB302_122:                            ;   in Loop: Header=BB302_10 Depth=1
	s_delay_alu instid0(SALU_CYCLE_1)
	s_or_b32 exec_lo, exec_lo, s3
	global_load_u16 v1, v[10:11], off offset:392
	s_mov_b32 s3, exec_lo
	s_waitcnt vmcnt(0)
	v_and_b32_e32 v37, 0xff, v1
	v_and_b32_e32 v36, 0xffff, v1
	s_delay_alu instid0(VALU_DEP_2)
	v_cmpx_ne_u16_e32 0, v37
	s_cbranch_execz .LBB302_130
; %bb.123:                              ;   in Loop: Header=BB302_10 Depth=1
	s_delay_alu instid0(VALU_DEP_2) | instskip(SKIP_2) | instid1(VALU_DEP_2)
	v_and_b32_e32 v1, 0xff, v36
	v_bfrev_b32_e32 v34, 1
	s_mov_b32 s40, exec_lo
	v_cmpx_ne_u16_e32 0x80, v1
	s_cbranch_execz .LBB302_129
; %bb.124:                              ;   in Loop: Header=BB302_10 Depth=1
	v_and_b32_e32 v37, 0x7f, v36
	v_mov_b32_e32 v34, 0x7fc02000
	s_mov_b32 s41, exec_lo
	s_delay_alu instid0(VALU_DEP_2)
	v_cmpx_ne_u32_e32 0x7f, v37
	s_cbranch_execz .LBB302_128
; %bb.125:                              ;   in Loop: Header=BB302_10 Depth=1
	v_and_b32_e32 v1, 7, v36
	v_lshrrev_b32_e32 v34, 3, v37
	s_mov_b32 s42, exec_lo
	v_cmpx_gt_u32_e32 8, v37
; %bb.126:                              ;   in Loop: Header=BB302_10 Depth=1
	s_delay_alu instid0(VALU_DEP_3) | instskip(NEXT) | instid1(VALU_DEP_1)
	v_clz_i32_u32_e32 v34, v1
	v_min_u32_e32 v34, 32, v34
	s_delay_alu instid0(VALU_DEP_1) | instskip(SKIP_1) | instid1(VALU_DEP_2)
	v_subrev_nc_u32_e32 v37, 28, v34
	v_sub_nc_u32_e32 v34, 29, v34
	v_lshlrev_b64 v[37:38], v37, v[1:2]
	s_delay_alu instid0(VALU_DEP_1)
	v_and_b32_e32 v1, 7, v37
; %bb.127:                              ;   in Loop: Header=BB302_10 Depth=1
	s_or_b32 exec_lo, exec_lo, s42
	v_lshlrev_b32_e32 v37, 8, v36
	v_lshl_add_u32 v34, v34, 10, 0x2000
	s_delay_alu instid0(VALU_DEP_1) | instskip(NEXT) | instid1(VALU_DEP_1)
	v_and_or_b32 v34, 0x8000, v37, v34
	v_lshl_or_b32 v1, v1, 7, v34
	s_delay_alu instid0(VALU_DEP_1)
	v_cvt_f32_f16_e32 v34, v1
.LBB302_128:                            ;   in Loop: Header=BB302_10 Depth=1
	s_or_b32 exec_lo, exec_lo, s41
.LBB302_129:                            ;   in Loop: Header=BB302_10 Depth=1
	s_delay_alu instid0(SALU_CYCLE_1)
	s_or_b32 exec_lo, exec_lo, s40
.LBB302_130:                            ;   in Loop: Header=BB302_10 Depth=1
	s_delay_alu instid0(SALU_CYCLE_1) | instskip(NEXT) | instid1(VALU_DEP_2)
	s_or_b32 exec_lo, exec_lo, s3
	v_lshrrev_b16 v1, 8, v36
	v_dual_mov_b32 v36, 0 :: v_dual_mov_b32 v37, 0
	s_mov_b32 s3, exec_lo
	s_delay_alu instid0(VALU_DEP_2)
	v_cmpx_ne_u16_e32 0, v1
	s_cbranch_execz .LBB302_138
; %bb.131:                              ;   in Loop: Header=BB302_10 Depth=1
	v_bfrev_b32_e32 v37, 1
	s_mov_b32 s40, exec_lo
	v_cmpx_ne_u16_e32 0x80, v1
	s_cbranch_execz .LBB302_137
; %bb.132:                              ;   in Loop: Header=BB302_10 Depth=1
	v_and_b32_e32 v38, 0xffff, v1
	v_mov_b32_e32 v37, 0x7fc02000
	s_mov_b32 s41, exec_lo
	s_delay_alu instid0(VALU_DEP_2) | instskip(NEXT) | instid1(VALU_DEP_1)
	v_and_b32_e32 v39, 0x7f, v38
	v_cmpx_ne_u32_e32 0x7f, v39
	s_cbranch_execz .LBB302_136
; %bb.133:                              ;   in Loop: Header=BB302_10 Depth=1
	v_and_b32_e32 v1, 7, v38
	v_lshrrev_b32_e32 v37, 3, v39
	s_mov_b32 s42, exec_lo
	v_cmpx_gt_u32_e32 8, v39
; %bb.134:                              ;   in Loop: Header=BB302_10 Depth=1
	s_delay_alu instid0(VALU_DEP_3) | instskip(NEXT) | instid1(VALU_DEP_1)
	v_clz_i32_u32_e32 v37, v1
	v_min_u32_e32 v37, 32, v37
	s_delay_alu instid0(VALU_DEP_1) | instskip(SKIP_1) | instid1(VALU_DEP_2)
	v_subrev_nc_u32_e32 v39, 28, v37
	v_sub_nc_u32_e32 v37, 29, v37
	v_lshlrev_b64 v[39:40], v39, v[1:2]
	s_delay_alu instid0(VALU_DEP_1)
	v_and_b32_e32 v1, 7, v39
; %bb.135:                              ;   in Loop: Header=BB302_10 Depth=1
	s_or_b32 exec_lo, exec_lo, s42
	v_lshlrev_b32_e32 v38, 8, v38
	v_lshl_add_u32 v37, v37, 10, 0x2000
	s_delay_alu instid0(VALU_DEP_1) | instskip(NEXT) | instid1(VALU_DEP_1)
	v_and_or_b32 v37, 0x8000, v38, v37
	v_lshl_or_b32 v1, v1, 7, v37
	s_delay_alu instid0(VALU_DEP_1)
	v_cvt_f32_f16_e32 v37, v1
.LBB302_136:                            ;   in Loop: Header=BB302_10 Depth=1
	s_or_b32 exec_lo, exec_lo, s41
.LBB302_137:                            ;   in Loop: Header=BB302_10 Depth=1
	s_delay_alu instid0(SALU_CYCLE_1)
	s_or_b32 exec_lo, exec_lo, s40
.LBB302_138:                            ;   in Loop: Header=BB302_10 Depth=1
	s_delay_alu instid0(SALU_CYCLE_1)
	s_or_b32 exec_lo, exec_lo, s3
	global_load_u16 v1, v[10:11], off offset:512
	s_mov_b32 s3, exec_lo
	s_waitcnt vmcnt(0)
	v_and_b32_e32 v39, 0xff, v1
	v_and_b32_e32 v38, 0xffff, v1
	s_delay_alu instid0(VALU_DEP_2)
	v_cmpx_ne_u16_e32 0, v39
	s_cbranch_execz .LBB302_146
; %bb.139:                              ;   in Loop: Header=BB302_10 Depth=1
	s_delay_alu instid0(VALU_DEP_2) | instskip(SKIP_2) | instid1(VALU_DEP_2)
	v_and_b32_e32 v1, 0xff, v38
	v_bfrev_b32_e32 v36, 1
	s_mov_b32 s40, exec_lo
	v_cmpx_ne_u16_e32 0x80, v1
	s_cbranch_execz .LBB302_145
; %bb.140:                              ;   in Loop: Header=BB302_10 Depth=1
	v_and_b32_e32 v39, 0x7f, v38
	v_mov_b32_e32 v36, 0x7fc02000
	s_mov_b32 s41, exec_lo
	s_delay_alu instid0(VALU_DEP_2)
	v_cmpx_ne_u32_e32 0x7f, v39
	s_cbranch_execz .LBB302_144
; %bb.141:                              ;   in Loop: Header=BB302_10 Depth=1
	v_and_b32_e32 v1, 7, v38
	v_lshrrev_b32_e32 v36, 3, v39
	s_mov_b32 s42, exec_lo
	v_cmpx_gt_u32_e32 8, v39
; %bb.142:                              ;   in Loop: Header=BB302_10 Depth=1
	s_delay_alu instid0(VALU_DEP_3) | instskip(NEXT) | instid1(VALU_DEP_1)
	v_clz_i32_u32_e32 v36, v1
	v_min_u32_e32 v36, 32, v36
	s_delay_alu instid0(VALU_DEP_1) | instskip(SKIP_1) | instid1(VALU_DEP_2)
	v_subrev_nc_u32_e32 v39, 28, v36
	v_sub_nc_u32_e32 v36, 29, v36
	v_lshlrev_b64 v[39:40], v39, v[1:2]
	s_delay_alu instid0(VALU_DEP_1)
	v_and_b32_e32 v1, 7, v39
; %bb.143:                              ;   in Loop: Header=BB302_10 Depth=1
	s_or_b32 exec_lo, exec_lo, s42
	v_lshlrev_b32_e32 v39, 8, v38
	v_lshl_add_u32 v36, v36, 10, 0x2000
	s_delay_alu instid0(VALU_DEP_1) | instskip(NEXT) | instid1(VALU_DEP_1)
	v_and_or_b32 v36, 0x8000, v39, v36
	v_lshl_or_b32 v1, v1, 7, v36
	s_delay_alu instid0(VALU_DEP_1)
	v_cvt_f32_f16_e32 v36, v1
.LBB302_144:                            ;   in Loop: Header=BB302_10 Depth=1
	s_or_b32 exec_lo, exec_lo, s41
.LBB302_145:                            ;   in Loop: Header=BB302_10 Depth=1
	s_delay_alu instid0(SALU_CYCLE_1)
	s_or_b32 exec_lo, exec_lo, s40
.LBB302_146:                            ;   in Loop: Header=BB302_10 Depth=1
	s_delay_alu instid0(SALU_CYCLE_1) | instskip(NEXT) | instid1(VALU_DEP_2)
	s_or_b32 exec_lo, exec_lo, s3
	v_lshrrev_b16 v1, 8, v38
	v_dual_mov_b32 v38, 0 :: v_dual_mov_b32 v39, 0
	s_mov_b32 s3, exec_lo
	s_delay_alu instid0(VALU_DEP_2)
	v_cmpx_ne_u16_e32 0, v1
	s_cbranch_execz .LBB302_154
; %bb.147:                              ;   in Loop: Header=BB302_10 Depth=1
	v_bfrev_b32_e32 v39, 1
	s_mov_b32 s40, exec_lo
	v_cmpx_ne_u16_e32 0x80, v1
	s_cbranch_execz .LBB302_153
; %bb.148:                              ;   in Loop: Header=BB302_10 Depth=1
	v_and_b32_e32 v40, 0xffff, v1
	v_mov_b32_e32 v39, 0x7fc02000
	s_mov_b32 s41, exec_lo
	s_delay_alu instid0(VALU_DEP_2) | instskip(NEXT) | instid1(VALU_DEP_1)
	v_and_b32_e32 v41, 0x7f, v40
	v_cmpx_ne_u32_e32 0x7f, v41
	s_cbranch_execz .LBB302_152
; %bb.149:                              ;   in Loop: Header=BB302_10 Depth=1
	v_and_b32_e32 v1, 7, v40
	v_lshrrev_b32_e32 v39, 3, v41
	s_mov_b32 s42, exec_lo
	v_cmpx_gt_u32_e32 8, v41
; %bb.150:                              ;   in Loop: Header=BB302_10 Depth=1
	s_delay_alu instid0(VALU_DEP_3) | instskip(NEXT) | instid1(VALU_DEP_1)
	v_clz_i32_u32_e32 v39, v1
	v_min_u32_e32 v39, 32, v39
	s_delay_alu instid0(VALU_DEP_1) | instskip(SKIP_1) | instid1(VALU_DEP_2)
	v_subrev_nc_u32_e32 v41, 28, v39
	v_sub_nc_u32_e32 v39, 29, v39
	v_lshlrev_b64 v[41:42], v41, v[1:2]
	s_delay_alu instid0(VALU_DEP_1)
	v_and_b32_e32 v1, 7, v41
; %bb.151:                              ;   in Loop: Header=BB302_10 Depth=1
	s_or_b32 exec_lo, exec_lo, s42
	v_lshlrev_b32_e32 v40, 8, v40
	v_lshl_add_u32 v39, v39, 10, 0x2000
	s_delay_alu instid0(VALU_DEP_1) | instskip(NEXT) | instid1(VALU_DEP_1)
	v_and_or_b32 v39, 0x8000, v40, v39
	v_lshl_or_b32 v1, v1, 7, v39
	s_delay_alu instid0(VALU_DEP_1)
	v_cvt_f32_f16_e32 v39, v1
.LBB302_152:                            ;   in Loop: Header=BB302_10 Depth=1
	s_or_b32 exec_lo, exec_lo, s41
.LBB302_153:                            ;   in Loop: Header=BB302_10 Depth=1
	s_delay_alu instid0(SALU_CYCLE_1)
	s_or_b32 exec_lo, exec_lo, s40
.LBB302_154:                            ;   in Loop: Header=BB302_10 Depth=1
	s_delay_alu instid0(SALU_CYCLE_1)
	s_or_b32 exec_lo, exec_lo, s3
	global_load_u16 v1, v[10:11], off offset:520
	s_mov_b32 s3, exec_lo
	s_waitcnt vmcnt(0)
	v_and_b32_e32 v11, 0xff, v1
	v_and_b32_e32 v10, 0xffff, v1
	s_delay_alu instid0(VALU_DEP_2)
	v_cmpx_ne_u16_e32 0, v11
	s_cbranch_execz .LBB302_162
; %bb.155:                              ;   in Loop: Header=BB302_10 Depth=1
	s_delay_alu instid0(VALU_DEP_2) | instskip(SKIP_2) | instid1(VALU_DEP_2)
	v_and_b32_e32 v1, 0xff, v10
	v_bfrev_b32_e32 v38, 1
	s_mov_b32 s40, exec_lo
	v_cmpx_ne_u16_e32 0x80, v1
	s_cbranch_execz .LBB302_161
; %bb.156:                              ;   in Loop: Header=BB302_10 Depth=1
	v_and_b32_e32 v40, 0x7f, v10
	v_mov_b32_e32 v38, 0x7fc02000
	s_mov_b32 s41, exec_lo
	s_delay_alu instid0(VALU_DEP_2)
	v_cmpx_ne_u32_e32 0x7f, v40
	s_cbranch_execz .LBB302_160
; %bb.157:                              ;   in Loop: Header=BB302_10 Depth=1
	v_and_b32_e32 v1, 7, v10
	v_lshrrev_b32_e32 v11, 3, v40
	s_mov_b32 s42, exec_lo
	v_cmpx_gt_u32_e32 8, v40
; %bb.158:                              ;   in Loop: Header=BB302_10 Depth=1
	s_delay_alu instid0(VALU_DEP_3) | instskip(NEXT) | instid1(VALU_DEP_1)
	v_clz_i32_u32_e32 v11, v1
	v_min_u32_e32 v11, 32, v11
	s_delay_alu instid0(VALU_DEP_1) | instskip(SKIP_1) | instid1(VALU_DEP_2)
	v_subrev_nc_u32_e32 v38, 28, v11
	v_sub_nc_u32_e32 v11, 29, v11
	v_lshlrev_b64 v[40:41], v38, v[1:2]
	s_delay_alu instid0(VALU_DEP_1)
	v_and_b32_e32 v1, 7, v40
; %bb.159:                              ;   in Loop: Header=BB302_10 Depth=1
	s_or_b32 exec_lo, exec_lo, s42
	v_lshlrev_b32_e32 v38, 8, v10
	v_lshl_add_u32 v11, v11, 10, 0x2000
	s_delay_alu instid0(VALU_DEP_1) | instskip(NEXT) | instid1(VALU_DEP_1)
	v_and_or_b32 v11, 0x8000, v38, v11
	v_lshl_or_b32 v1, v1, 7, v11
	s_delay_alu instid0(VALU_DEP_1)
	v_cvt_f32_f16_e32 v38, v1
.LBB302_160:                            ;   in Loop: Header=BB302_10 Depth=1
	s_or_b32 exec_lo, exec_lo, s41
.LBB302_161:                            ;   in Loop: Header=BB302_10 Depth=1
	s_delay_alu instid0(SALU_CYCLE_1)
	s_or_b32 exec_lo, exec_lo, s40
.LBB302_162:                            ;   in Loop: Header=BB302_10 Depth=1
	s_delay_alu instid0(SALU_CYCLE_1) | instskip(NEXT) | instid1(VALU_DEP_2)
	s_or_b32 exec_lo, exec_lo, s3
	v_lshrrev_b16 v10, 8, v10
	v_mov_b32_e32 v1, 0
	s_mov_b32 s3, exec_lo
	s_delay_alu instid0(VALU_DEP_2)
	v_cmpx_ne_u16_e32 0, v10
	s_cbranch_execz .LBB302_170
; %bb.163:                              ;   in Loop: Header=BB302_10 Depth=1
	v_bfrev_b32_e32 v1, 1
	s_mov_b32 s40, exec_lo
	v_cmpx_ne_u16_e32 0x80, v10
	s_cbranch_execz .LBB302_169
; %bb.164:                              ;   in Loop: Header=BB302_10 Depth=1
	v_and_b32_e32 v10, 0xffff, v10
	v_mov_b32_e32 v1, 0x7fc02000
	s_mov_b32 s41, exec_lo
	s_delay_alu instid0(VALU_DEP_2) | instskip(NEXT) | instid1(VALU_DEP_1)
	v_and_b32_e32 v40, 0x7f, v10
	v_cmpx_ne_u32_e32 0x7f, v40
	s_cbranch_execz .LBB302_168
; %bb.165:                              ;   in Loop: Header=BB302_10 Depth=1
	v_and_b32_e32 v1, 7, v10
	v_lshrrev_b32_e32 v11, 3, v40
	s_mov_b32 s42, exec_lo
	v_cmpx_gt_u32_e32 8, v40
; %bb.166:                              ;   in Loop: Header=BB302_10 Depth=1
	s_delay_alu instid0(VALU_DEP_3) | instskip(NEXT) | instid1(VALU_DEP_1)
	v_clz_i32_u32_e32 v11, v1
	v_min_u32_e32 v11, 32, v11
	s_delay_alu instid0(VALU_DEP_1) | instskip(SKIP_1) | instid1(VALU_DEP_2)
	v_subrev_nc_u32_e32 v40, 28, v11
	v_sub_nc_u32_e32 v11, 29, v11
	v_lshlrev_b64 v[40:41], v40, v[1:2]
	s_delay_alu instid0(VALU_DEP_1)
	v_and_b32_e32 v1, 7, v40
; %bb.167:                              ;   in Loop: Header=BB302_10 Depth=1
	s_or_b32 exec_lo, exec_lo, s42
	v_lshlrev_b32_e32 v10, 8, v10
	v_lshl_add_u32 v11, v11, 10, 0x2000
	s_delay_alu instid0(VALU_DEP_1) | instskip(NEXT) | instid1(VALU_DEP_1)
	v_and_or_b32 v10, 0x8000, v10, v11
	v_lshl_or_b32 v1, v1, 7, v10
	s_delay_alu instid0(VALU_DEP_1)
	v_cvt_f32_f16_e32 v1, v1
.LBB302_168:                            ;   in Loop: Header=BB302_10 Depth=1
	s_or_b32 exec_lo, exec_lo, s41
.LBB302_169:                            ;   in Loop: Header=BB302_10 Depth=1
	s_delay_alu instid0(SALU_CYCLE_1)
	s_or_b32 exec_lo, exec_lo, s40
.LBB302_170:                            ;   in Loop: Header=BB302_10 Depth=1
	s_delay_alu instid0(SALU_CYCLE_1)
	s_or_b32 exec_lo, exec_lo, s3
	ds_load_b32 v10, v16
	v_fma_mixlo_f16 v11, v20, v21, 0
	v_fma_mixlo_f16 v21, v20, v23, 0
	;; [unrolled: 1-line block ×5, first 2 shown]
	v_and_b32_e32 v11, 0xffff, v11
	v_fma_mixlo_f16 v27, v20, v27, 0
	v_fma_mixlo_f16 v26, v20, v26, 0
	v_and_b32_e32 v25, 0xffff, v25
	v_fma_mixlo_f16 v29, v20, v29, 0
	v_fma_mixlo_f16 v28, v20, v28, 0
	;; [unrolled: 3-line block ×4, first 2 shown]
	v_and_b32_e32 v31, 0xffff, v31
	v_fma_mixlo_f16 v35, v20, v35, 0
	s_waitcnt lgkmcnt(0)
	v_and_b32_e32 v23, 0xffff, v10
	v_lshrrev_b32_e32 v10, 16, v10
	;;#ASMSTART
	v_cvt_f32_f16 v23, v23;
	;;#ASMEND
	;;#ASMSTART
	v_cvt_f32_f16 v10, v10;
	;;#ASMEND
	;; [unrolled: 3-line block ×3, first 2 shown]
	v_and_b32_e32 v21, 0xffff, v21
	;;#ASMSTART
	v_cvt_f32_f16 v21, v21;
	;;#ASMEND
	ds_load_b32 v40, v16 offset:4
	v_and_b32_e32 v33, 0xffff, v33
	v_and_b32_e32 v35, 0xffff, v35
	v_fma_mixlo_f16 v34, v20, v34, 0
	v_fma_mixlo_f16 v37, v20, v37, 0
	;; [unrolled: 1-line block ×4, first 2 shown]
	s_delay_alu instid0(VALU_DEP_3) | instskip(NEXT) | instid1(VALU_DEP_2)
	v_and_b32_e32 v37, 0xffff, v37
	v_and_b32_e32 v1, 0xffff, v1
	s_waitcnt lgkmcnt(0)
	v_and_b32_e32 v41, 0xffff, v40
	v_lshrrev_b32_e32 v40, 16, v40
	;;#ASMSTART
	v_cvt_f32_f16 v41, v41;
	;;#ASMEND
	;;#ASMSTART
	v_cvt_f32_f16 v40, v40;
	;;#ASMEND
	v_and_b32_e32 v22, 0xffff, v22
	;;#ASMSTART
	v_cvt_f32_f16 v22, v22;
	;;#ASMEND
	;;#ASMSTART
	v_cvt_f32_f16 v25, v25;
	;;#ASMEND
	v_mul_f32_e32 v25, v40, v25
	ds_load_b32 v42, v16 offset:8
	v_and_b32_e32 v24, 0xffff, v24
	v_dual_mul_f32 v22, v41, v22 :: v_dual_fmac_f32 v25, v10, v21
	v_fma_mixlo_f16 v10, v20, v39, 0
	s_delay_alu instid0(VALU_DEP_2)
	v_dual_fmac_f32 v22, v23, v11 :: v_dual_and_b32 v11, 0xffff, v36
	s_waitcnt lgkmcnt(0)
	v_and_b32_e32 v43, 0xffff, v42
	v_lshrrev_b32_e32 v42, 16, v42
	;;#ASMSTART
	v_cvt_f32_f16 v43, v43;
	;;#ASMEND
	;;#ASMSTART
	v_cvt_f32_f16 v42, v42;
	;;#ASMEND
	;; [unrolled: 3-line block ×4, first 2 shown]
	ds_load_b32 v44, v16 offset:12
	v_dual_fmac_f32 v25, v42, v27 :: v_dual_and_b32 v26, 0xffff, v26
	v_fmac_f32_e32 v22, v43, v24
	s_waitcnt lgkmcnt(0)
	v_and_b32_e32 v45, 0xffff, v44
	v_lshrrev_b32_e32 v44, 16, v44
	;;#ASMSTART
	v_cvt_f32_f16 v45, v45;
	;;#ASMEND
	;;#ASMSTART
	v_cvt_f32_f16 v44, v44;
	;;#ASMEND
	;; [unrolled: 3-line block ×4, first 2 shown]
	ds_load_b32 v46, v16 offset:16
	v_dual_fmac_f32 v25, v44, v29 :: v_dual_and_b32 v28, 0xffff, v28
	v_fmac_f32_e32 v22, v45, v26
	v_fma_mixlo_f16 v26, v20, v38, 0
	v_xor_b32_e32 v20, 2, v3
	s_delay_alu instid0(VALU_DEP_1) | instskip(NEXT) | instid1(VALU_DEP_1)
	v_cmp_gt_i32_e64 s1, 32, v20
	v_cndmask_b32_e64 v20, v3, v20, s1
	s_waitcnt lgkmcnt(0)
	v_and_b32_e32 v47, 0xffff, v46
	v_lshrrev_b32_e32 v46, 16, v46
	;;#ASMSTART
	v_cvt_f32_f16 v47, v47;
	;;#ASMEND
	;;#ASMSTART
	v_cvt_f32_f16 v46, v46;
	;;#ASMEND
	;;#ASMSTART
	v_cvt_f32_f16 v28, v28;
	;;#ASMEND
	;;#ASMSTART
	v_cvt_f32_f16 v31, v31;
	;;#ASMEND
	ds_load_b32 v48, v16 offset:20
	v_dual_fmac_f32 v25, v46, v31 :: v_dual_and_b32 v30, 0xffff, v30
	v_fmac_f32_e32 v22, v47, v28
	s_waitcnt lgkmcnt(0)
	v_and_b32_e32 v49, 0xffff, v48
	v_lshrrev_b32_e32 v48, 16, v48
	;;#ASMSTART
	v_cvt_f32_f16 v49, v49;
	;;#ASMEND
	;;#ASMSTART
	v_cvt_f32_f16 v48, v48;
	;;#ASMEND
	;;#ASMSTART
	v_cvt_f32_f16 v30, v30;
	;;#ASMEND
	;;#ASMSTART
	v_cvt_f32_f16 v33, v33;
	;;#ASMEND
	ds_load_b32 v50, v16 offset:24
	v_dual_fmac_f32 v25, v48, v33 :: v_dual_and_b32 v32, 0xffff, v32
	v_fmac_f32_e32 v22, v49, v30
	s_waitcnt lgkmcnt(0)
	v_and_b32_e32 v51, 0xffff, v50
	v_lshrrev_b32_e32 v50, 16, v50
	;;#ASMSTART
	v_cvt_f32_f16 v51, v51;
	;;#ASMEND
	;;#ASMSTART
	v_cvt_f32_f16 v50, v50;
	;;#ASMEND
	;;#ASMSTART
	v_cvt_f32_f16 v32, v32;
	;;#ASMEND
	;;#ASMSTART
	v_cvt_f32_f16 v35, v35;
	;;#ASMEND
	ds_load_b32 v52, v16 offset:28
	v_dual_fmac_f32 v25, v50, v35 :: v_dual_and_b32 v34, 0xffff, v34
	v_fmac_f32_e32 v22, v51, v32
	s_waitcnt lgkmcnt(0)
	v_and_b32_e32 v53, 0xffff, v52
	v_lshrrev_b32_e32 v52, 16, v52
	;;#ASMSTART
	v_cvt_f32_f16 v53, v53;
	;;#ASMEND
	;;#ASMSTART
	v_cvt_f32_f16 v52, v52;
	;;#ASMEND
	;;#ASMSTART
	v_cvt_f32_f16 v34, v34;
	;;#ASMEND
	;;#ASMSTART
	v_cvt_f32_f16 v37, v37;
	;;#ASMEND
	ds_load_b32 v54, v16 offset:32
	v_dual_fmac_f32 v25, v52, v37 :: v_dual_and_b32 v10, 0xffff, v10
	v_fmac_f32_e32 v22, v53, v34
	s_waitcnt lgkmcnt(0)
	v_and_b32_e32 v21, 0xffff, v54
	v_lshrrev_b32_e32 v23, 16, v54
	;;#ASMSTART
	v_cvt_f32_f16 v21, v21;
	;;#ASMEND
	;;#ASMSTART
	v_cvt_f32_f16 v23, v23;
	;;#ASMEND
	;; [unrolled: 3-line block ×4, first 2 shown]
	ds_load_b32 v24, v16 offset:36
	v_dual_fmac_f32 v22, v21, v11 :: v_dual_fmac_f32 v25, v23, v10
	s_waitcnt lgkmcnt(0)
	v_lshrrev_b32_e32 v27, 16, v24
	v_and_b32_e32 v24, 0xffff, v24
	;;#ASMSTART
	v_cvt_f32_f16 v10, v24;
	;;#ASMEND
	;;#ASMSTART
	v_cvt_f32_f16 v11, v27;
	;;#ASMEND
	v_and_b32_e32 v26, 0xffff, v26
	;;#ASMSTART
	v_cvt_f32_f16 v21, v26;
	;;#ASMEND
	;;#ASMSTART
	v_cvt_f32_f16 v1, v1;
	;;#ASMEND
	v_fmac_f32_e32 v25, v11, v1
	v_dual_fmac_f32 v22, v10, v21 :: v_dual_lshlrev_b32 v1, 2, v20
	v_xor_b32_e32 v11, 1, v3
	s_delay_alu instid0(VALU_DEP_2) | instskip(NEXT) | instid1(VALU_DEP_2)
	v_add_f32_e32 v10, v22, v25
	v_cmp_gt_i32_e64 s1, 32, v11
	ds_bpermute_b32 v1, v1, v10
	v_cndmask_b32_e64 v11, v3, v11, s1
	s_waitcnt lgkmcnt(0)
	s_delay_alu instid0(VALU_DEP_1)
	v_dual_add_f32 v1, v10, v1 :: v_dual_lshlrev_b32 v10, 2, v11
	ds_bpermute_b32 v10, v10, v1
	s_and_saveexec_b32 s3, vcc_lo
	s_cbranch_execz .LBB302_9
; %bb.171:                              ;   in Loop: Header=BB302_10 Depth=1
	v_add_nc_u32_e32 v11, s37, v17
	s_waitcnt lgkmcnt(0)
	v_add_f32_e32 v1, v1, v10
	v_cmp_gt_i32_e64 s1, s15, v17
	s_delay_alu instid0(VALU_DEP_3) | instskip(NEXT) | instid1(VALU_DEP_1)
	v_cvt_f32_i32_e32 v11, v11
	v_mul_f32_e32 v11, s12, v11
	s_delay_alu instid0(VALU_DEP_1) | instskip(SKIP_1) | instid1(VALU_DEP_2)
	v_cndmask_b32_e64 v10, 0, v11, s0
	v_max_f32_e32 v11, v13, v13
	v_fmac_f32_e32 v10, s13, v1
	s_delay_alu instid0(VALU_DEP_1) | instskip(SKIP_1) | instid1(VALU_DEP_2)
	v_max_f32_e32 v1, v11, v10
	v_cndmask_b32_e64 v10, 0, v10, s1
	v_cndmask_b32_e64 v13, v13, v1, s1
	ds_store_b32 v18, v10
	s_branch .LBB302_9
.LBB302_172:
	s_or_b32 exec_lo, exec_lo, s38
.LBB302_173:
	s_delay_alu instid0(SALU_CYCLE_1) | instskip(SKIP_4) | instid1(VALU_DEP_4)
	s_or_b32 exec_lo, exec_lo, s36
	v_xor_b32_e32 v1, 16, v3
	v_xor_b32_e32 v6, 8, v3
	;; [unrolled: 1-line block ×3, first 2 shown]
	v_and_b32_e32 v16, 31, v0
	v_cmp_lt_i32_e32 vcc_lo, v1, v12
	v_cndmask_b32_e32 v1, v3, v1, vcc_lo
	v_cmp_lt_i32_e32 vcc_lo, v6, v12
	v_dual_max_f32 v7, v13, v13 :: v_dual_cndmask_b32 v6, v3, v6
	v_cmp_lt_i32_e32 vcc_lo, v8, v12
	s_delay_alu instid0(VALU_DEP_2)
	v_lshlrev_b32_e32 v6, 2, v6
	v_lshlrev_b32_e32 v2, 2, v1
	v_cndmask_b32_e32 v8, v3, v8, vcc_lo
	v_cmp_eq_u32_e32 vcc_lo, 0, v16
	ds_bpermute_b32 v1, v2, v13
	s_waitcnt lgkmcnt(0)
	v_dual_max_f32 v1, v1, v1 :: v_dual_lshlrev_b32 v8, 2, v8
	s_delay_alu instid0(VALU_DEP_1) | instskip(SKIP_3) | instid1(VALU_DEP_1)
	v_max_f32_e32 v1, v7, v1
	ds_bpermute_b32 v7, v6, v1
	s_waitcnt lgkmcnt(0)
	v_max_f32_e32 v7, v7, v7
	v_max_f32_e32 v1, v1, v7
	v_lshlrev_b32_e32 v7, 2, v15
	ds_bpermute_b32 v9, v8, v1
	s_and_saveexec_b32 s0, vcc_lo
	s_cbranch_execz .LBB302_175
; %bb.174:
	s_waitcnt lgkmcnt(0)
	v_max_f32_e32 v9, v9, v9
	v_max_f32_e32 v1, v1, v1
	s_delay_alu instid0(VALU_DEP_1)
	v_max_f32_e32 v1, v1, v9
	ds_store_b32 v7, v1 offset:160
.LBB302_175:
	s_or_b32 exec_lo, exec_lo, s0
	v_cmp_gt_u32_e64 s0, 4, v16
	v_mov_b32_e32 v1, 0xff7fffff
	v_lshlrev_b32_e32 v17, 2, v16
	s_waitcnt lgkmcnt(0)
	s_barrier
	buffer_gl0_inv
	s_and_saveexec_b32 s1, s0
	s_cbranch_execz .LBB302_177
; %bb.176:
	ds_load_b32 v1, v17 offset:160
.LBB302_177:
	s_or_b32 exec_lo, exec_lo, s1
	v_xor_b32_e32 v9, 2, v3
	v_xor_b32_e32 v11, 1, v3
	s_delay_alu instid0(VALU_DEP_2) | instskip(NEXT) | instid1(VALU_DEP_1)
	v_cmp_lt_i32_e64 s1, v9, v12
	v_cndmask_b32_e64 v9, v3, v9, s1
	s_delay_alu instid0(VALU_DEP_3) | instskip(NEXT) | instid1(VALU_DEP_2)
	v_cmp_lt_i32_e64 s1, v11, v12
	v_lshlrev_b32_e32 v9, 2, v9
	s_delay_alu instid0(VALU_DEP_2) | instskip(SKIP_2) | instid1(SALU_CYCLE_1)
	v_cndmask_b32_e64 v11, v3, v11, s1
	v_lshlrev_b32_e32 v3, 2, v3
	s_sub_i32 s1, s23, s11
	s_lshl_b32 s1, s1, 3
	s_waitcnt lgkmcnt(0)
	ds_bpermute_b32 v10, v9, v1
	v_max_f32_e32 v1, v1, v1
	s_add_i32 s1, s1, s33
	s_delay_alu instid0(SALU_CYCLE_1) | instskip(NEXT) | instid1(SALU_CYCLE_1)
	s_min_i32 s1, s1, s15
	s_sub_i32 s4, s1, s33
	s_delay_alu instid0(SALU_CYCLE_1) | instskip(SKIP_2) | instid1(VALU_DEP_1)
	v_cmp_gt_i32_e64 s1, s4, v0
	s_waitcnt lgkmcnt(0)
	v_max_f32_e32 v12, v10, v10
	v_dual_max_f32 v1, v1, v12 :: v_dual_lshlrev_b32 v10, 2, v11
	v_mov_b32_e32 v12, 0
	ds_bpermute_b32 v11, v10, v1
	s_waitcnt lgkmcnt(0)
	v_max_f32_e32 v11, v11, v11
	s_delay_alu instid0(VALU_DEP_1)
	v_max_f32_e32 v1, v1, v11
	v_and_b32_e32 v11, 0xffffff80, v3
	v_lshl_add_u32 v3, v0, 2, 0xc0
	ds_bpermute_b32 v1, v11, v1
	s_and_saveexec_b32 s5, s1
	s_cbranch_execz .LBB302_181
; %bb.178:
	v_lshl_add_u32 v13, v0, 2, 0xc0
	v_mov_b32_e32 v12, 0
	v_mov_b32_e32 v14, v0
	s_mov_b32 s11, 0
	.p2align	6
.LBB302_179:                            ; =>This Inner Loop Header: Depth=1
	ds_load_b32 v18, v13
	v_add_nc_u32_e32 v14, 0x80, v14
	s_delay_alu instid0(VALU_DEP_1) | instskip(NEXT) | instid1(VALU_DEP_1)
	v_cmp_le_i32_e64 s3, s4, v14
	s_or_b32 s11, s3, s11
	s_waitcnt lgkmcnt(0)
	v_sub_f32_e32 v18, v18, v1
	s_delay_alu instid0(VALU_DEP_1) | instskip(NEXT) | instid1(VALU_DEP_1)
	v_mul_f32_e32 v18, 0x3fb8aa3b, v18
	v_exp_f32_e32 v18, v18
	ds_store_b32 v13, v18
	v_dual_add_f32 v12, v12, v18 :: v_dual_add_nc_u32 v13, 0x200, v13
	s_and_not1_b32 exec_lo, exec_lo, s11
	s_cbranch_execnz .LBB302_179
; %bb.180:
	s_or_b32 exec_lo, exec_lo, s11
.LBB302_181:
	s_delay_alu instid0(SALU_CYCLE_1)
	s_or_b32 exec_lo, exec_lo, s5
	ds_bpermute_b32 v2, v2, v12
	s_waitcnt lgkmcnt(0)
	v_add_f32_e32 v2, v12, v2
	ds_bpermute_b32 v6, v6, v2
	s_waitcnt lgkmcnt(0)
	v_add_f32_e32 v2, v2, v6
	;; [unrolled: 3-line block ×5, first 2 shown]
	s_and_saveexec_b32 s3, vcc_lo
	s_cbranch_execz .LBB302_183
; %bb.182:
	ds_store_b32 v7, v2 offset:176
.LBB302_183:
	s_or_b32 exec_lo, exec_lo, s3
	s_waitcnt lgkmcnt(0)
	s_barrier
	buffer_gl0_inv
	s_and_saveexec_b32 s3, s0
	s_cbranch_execz .LBB302_185
; %bb.184:
	ds_load_b32 v2, v17 offset:176
.LBB302_185:
	s_or_b32 exec_lo, exec_lo, s3
	s_waitcnt lgkmcnt(0)
	ds_bpermute_b32 v6, v9, v2
	s_waitcnt lgkmcnt(0)
	v_add_f32_e32 v2, v2, v6
	ds_bpermute_b32 v6, v10, v2
	s_waitcnt lgkmcnt(0)
	v_add_f32_e32 v2, v2, v6
	ds_bpermute_b32 v2, v11, v2
	s_and_saveexec_b32 s0, s1
	s_cbranch_execz .LBB302_188
; %bb.186:
	s_waitcnt lgkmcnt(0)
	v_add_f32_e32 v6, 0x358637bd, v2
	s_mov_b32 s1, 0
	s_delay_alu instid0(VALU_DEP_1) | instskip(SKIP_1) | instid1(VALU_DEP_2)
	v_div_scale_f32 v7, null, v6, v6, 1.0
	v_div_scale_f32 v10, vcc_lo, 1.0, v6, 1.0
	v_rcp_f32_e32 v8, v7
	s_waitcnt_depctr 0xfff
	v_fma_f32 v9, -v7, v8, 1.0
	s_delay_alu instid0(VALU_DEP_1) | instskip(NEXT) | instid1(VALU_DEP_1)
	v_fmac_f32_e32 v8, v9, v8
	v_mul_f32_e32 v9, v10, v8
	s_delay_alu instid0(VALU_DEP_1) | instskip(NEXT) | instid1(VALU_DEP_1)
	v_fma_f32 v11, -v7, v9, v10
	v_fmac_f32_e32 v9, v11, v8
	s_delay_alu instid0(VALU_DEP_1) | instskip(NEXT) | instid1(VALU_DEP_1)
	v_fma_f32 v7, -v7, v9, v10
	v_div_fmas_f32 v7, v7, v8, v9
	s_delay_alu instid0(VALU_DEP_1)
	v_div_fixup_f32 v6, v7, v6, 1.0
	v_mov_b32_e32 v7, v0
.LBB302_187:                            ; =>This Inner Loop Header: Depth=1
	ds_load_b32 v8, v3
	s_waitcnt lgkmcnt(0)
	v_dual_mul_f32 v8, v6, v8 :: v_dual_add_nc_u32 v7, 0x80, v7
	s_delay_alu instid0(VALU_DEP_1) | instskip(SKIP_3) | instid1(SALU_CYCLE_1)
	v_cmp_le_i32_e32 vcc_lo, s4, v7
	ds_store_b32 v3, v8
	v_add_nc_u32_e32 v3, 0x200, v3
	s_or_b32 s1, vcc_lo, s1
	s_and_not1_b32 exec_lo, exec_lo, s1
	s_cbranch_execnz .LBB302_187
.LBB302_188:
	s_or_b32 exec_lo, exec_lo, s0
	s_mul_i32 s0, s8, s14
	s_mov_b32 s12, 0
	s_mul_i32 s4, s0, s21
	s_mov_b32 s0, exec_lo
	s_waitcnt lgkmcnt(0)
	s_barrier
	buffer_gl0_inv
	v_cmpx_eq_u32_e32 0, v0
	s_cbranch_execz .LBB302_190
; %bb.189:
	s_ashr_i32 s5, s4, 31
	s_mul_i32 s38, s8, s26
	s_lshl_b64 s[36:37], s[4:5], 2
	v_mov_b32_e32 v3, 0
	s_add_u32 s1, s18, s36
	s_addc_u32 s3, s19, s37
	s_ashr_i32 s39, s38, 31
	s_delay_alu instid0(SALU_CYCLE_1) | instskip(NEXT) | instid1(SALU_CYCLE_1)
	s_lshl_b64 s[18:19], s[38:39], 2
	s_add_u32 s1, s1, s18
	s_addc_u32 s3, s3, s19
	s_ashr_i32 s21, s20, 31
	s_delay_alu instid0(SALU_CYCLE_1) | instskip(NEXT) | instid1(SALU_CYCLE_1)
	s_lshl_b64 s[38:39], s[20:21], 2
	s_add_u32 s40, s1, s38
	s_addc_u32 s41, s3, s39
	s_add_u32 s1, s16, s36
	s_addc_u32 s3, s17, s37
	;; [unrolled: 2-line block ×4, first 2 shown]
	s_clause 0x1
	global_store_b32 v3, v1, s[40:41]
	global_store_b32 v3, v2, s[16:17]
.LBB302_190:
	s_or_b32 exec_lo, exec_lo, s0
	s_mov_b32 s13, s12
	s_mov_b32 s14, s12
	v_dual_mov_b32 v1, s12 :: v_dual_mov_b32 v2, s13
	v_mov_b32_e32 v3, s14
	v_or_b32_e32 v18, 64, v16
	s_and_saveexec_b32 s5, s2
	s_cbranch_execz .LBB302_382
; %bb.191:
	s_ashr_i32 s0, s10, 31
	v_lshlrev_b64 v[1:2], 2, v[4:5]
	s_add_u32 s2, s34, s10
	s_addc_u32 s3, s35, s0
	s_lshl_b64 s[0:1], s[30:31], 2
	s_add_i32 s27, s27, -1
	s_add_u32 s0, s28, s0
	s_addc_u32 s1, s29, s1
	v_add_co_u32 v7, s0, s0, v1
	s_mov_b32 s13, s12
	s_mov_b32 s14, s12
	v_lshlrev_b32_e32 v20, 3, v18
	v_add_co_ci_u32_e64 v8, s0, s1, v2, s0
	v_mov_b32_e32 v1, s12
	v_dual_mov_b32 v6, 0 :: v_dual_lshlrev_b32 v19, 3, v16
	v_cmp_gt_u32_e32 vcc_lo, 0x50, v18
	v_lshl_add_u32 v21, v15, 3, s33
	v_lshl_add_u32 v22, v15, 5, 0xc0
	v_dual_mov_b32 v2, s13 :: v_dual_mov_b32 v3, s14
	s_mov_b32 s10, -1
	s_mov_b32 s11, 0xffffff
	s_mov_b32 s13, s15
	s_branch .LBB302_194
.LBB302_192:                            ;   in Loop: Header=BB302_194 Depth=1
	s_or_b32 exec_lo, exec_lo, s1
	;;#ASMSTART
	v_pk_mul_f16 v10, v24, v12;

	;;#ASMEND
	;;#ASMSTART
	v_pk_mul_f16 v11, v23, v11;

	;;#ASMEND
	;; [unrolled: 4-line block ×4, first 2 shown]
	;;#ASMSTART
	v_pk_add_f16 v10, v10, v11;

	;;#ASMEND
	;;#ASMSTART
	v_pk_add_f16 v5, v10, v5;

	;;#ASMEND
	;; [unrolled: 4-line block ×3, first 2 shown]
	v_and_b32_e32 v9, 0xffff, v5
	v_lshrrev_b32_e32 v5, 16, v5
	;;#ASMSTART
	v_cvt_f32_f16 v9, v9;
	;;#ASMEND
	;;#ASMSTART
	v_cvt_f32_f16 v5, v5;
	;;#ASMEND
	s_delay_alu instid0(VALU_DEP_1) | instskip(NEXT) | instid1(VALU_DEP_1)
	v_add_f32_e32 v5, v9, v5
	v_add_f32_e32 v3, v3, v5
.LBB302_193:                            ;   in Loop: Header=BB302_194 Depth=1
	s_or_b32 exec_lo, exec_lo, s14
	v_add_nc_u32_e32 v4, 4, v4
	v_add_co_u32 v7, s1, v7, 16
	v_add_nc_u32_e32 v21, 32, v21
	v_add_nc_u32_e32 v22, 0x80, v22
	s_delay_alu instid0(VALU_DEP_4) | instskip(SKIP_1) | instid1(VALU_DEP_2)
	v_cmp_le_i32_e64 s0, s23, v4
	v_add_co_ci_u32_e64 v8, s1, 0, v8, s1
	s_or_b32 s12, s0, s12
	s_delay_alu instid0(SALU_CYCLE_1)
	s_and_not1_b32 exec_lo, exec_lo, s12
	s_cbranch_execz .LBB302_381
.LBB302_194:                            ; =>This Inner Loop Header: Depth=1
	global_load_b32 v5, v[7:8], off
	ds_load_2addr_b64 v[11:14], v22 offset1:1
	ds_load_2addr_b64 v[29:32], v22 offset0:2 offset1:3
	s_mov_b32 s1, exec_lo
	s_waitcnt lgkmcnt(1)
	;;#ASMSTART
	v_cvt_f16_f32 v24, v11;

	;;#ASMEND
	;;#ASMSTART
	v_cvt_f16_f32 v23, v12;

	;;#ASMEND
	;; [unrolled: 4-line block ×4, first 2 shown]
	s_waitcnt lgkmcnt(0)
	;;#ASMSTART
	v_cvt_f16_f32 v29, v29;

	;;#ASMEND
	;;#ASMSTART
	v_cvt_f16_f32 v26, v30;

	;;#ASMEND
	;; [unrolled: 4-line block ×4, first 2 shown]
	v_mov_b32_e32 v32, 0
	s_waitcnt vmcnt(0)
	v_mad_i64_i32 v[9:10], null, v5, s9, s[2:3]
	s_delay_alu instid0(VALU_DEP_1) | instskip(NEXT) | instid1(VALU_DEP_1)
	v_add_co_u32 v11, s0, v9, v19
	v_add_co_ci_u32_e64 v12, s0, 0, v10, s0
	global_load_b64 v[13:14], v[11:12], off
	global_load_b32 v31, v6, s[6:7]
	s_waitcnt vmcnt(1)
	v_and_b32_e32 v5, 0xff, v13
	s_delay_alu instid0(VALU_DEP_1)
	v_cmpx_ne_u16_e32 0, v5
	s_cbranch_execz .LBB302_200
; %bb.195:                              ;   in Loop: Header=BB302_194 Depth=1
	v_bfrev_b32_e32 v32, 1
	s_mov_b32 s14, exec_lo
	v_cmpx_ne_u16_e32 0x80, v5
	s_cbranch_execz .LBB302_199
; %bb.196:                              ;   in Loop: Header=BB302_194 Depth=1
	v_and_b32_e32 v5, 0x7f, v13
	v_mov_b32_e32 v32, 0x7fc02000
	s_mov_b32 s16, exec_lo
	s_delay_alu instid0(VALU_DEP_2)
	v_cmpx_ne_u32_e32 0x7f, v5
	s_cbranch_execz .LBB302_198
; %bb.197:                              ;   in Loop: Header=BB302_194 Depth=1
	v_and_b32_e32 v32, 7, v13
	v_cmp_gt_u32_e64 s0, 8, v5
	v_lshrrev_b32_e32 v33, 3, v5
	s_delay_alu instid0(VALU_DEP_3) | instskip(NEXT) | instid1(VALU_DEP_1)
	v_clz_i32_u32_e32 v32, v32
	v_min_u32_e32 v32, 32, v32
	s_delay_alu instid0(VALU_DEP_1) | instskip(SKIP_1) | instid1(VALU_DEP_2)
	v_subrev_nc_u32_e32 v34, 28, v32
	v_sub_nc_u32_e32 v32, 29, v32
	v_cndmask_b32_e64 v5, 0, v34, s0
	s_delay_alu instid0(VALU_DEP_2) | instskip(NEXT) | instid1(VALU_DEP_2)
	v_cndmask_b32_e64 v34, v33, v32, s0
	v_lshlrev_b64 v[32:33], v5, v[13:14]
	v_lshlrev_b32_e32 v5, 8, v13
	s_delay_alu instid0(VALU_DEP_3) | instskip(NEXT) | instid1(VALU_DEP_3)
	v_lshl_add_u32 v33, v34, 10, 0x2000
	v_lshlrev_b32_e32 v32, 7, v32
	s_delay_alu instid0(VALU_DEP_2) | instskip(NEXT) | instid1(VALU_DEP_1)
	v_and_or_b32 v5, 0x8000, v5, v33
	v_and_or_b32 v5, 0x380, v32, v5
	s_delay_alu instid0(VALU_DEP_1)
	v_cvt_f32_f16_e32 v32, v5
.LBB302_198:                            ;   in Loop: Header=BB302_194 Depth=1
	s_or_b32 exec_lo, exec_lo, s16
.LBB302_199:                            ;   in Loop: Header=BB302_194 Depth=1
	s_delay_alu instid0(SALU_CYCLE_1)
	s_or_b32 exec_lo, exec_lo, s14
.LBB302_200:                            ;   in Loop: Header=BB302_194 Depth=1
	s_delay_alu instid0(SALU_CYCLE_1) | instskip(SKIP_3) | instid1(VALU_DEP_2)
	s_or_b32 exec_lo, exec_lo, s1
	v_lshrrev_b16 v5, 8, v13
	v_dual_mov_b32 v34, 0 :: v_dual_mov_b32 v33, 0
	s_mov_b32 s1, exec_lo
	v_cmpx_ne_u16_e32 0, v5
	s_cbranch_execz .LBB302_208
; %bb.201:                              ;   in Loop: Header=BB302_194 Depth=1
	v_bfrev_b32_e32 v33, 1
	s_mov_b32 s14, exec_lo
	v_cmpx_ne_u16_e32 0x80, v5
	s_cbranch_execz .LBB302_207
; %bb.202:                              ;   in Loop: Header=BB302_194 Depth=1
	v_and_b32_e32 v35, 0xffff, v5
	v_mov_b32_e32 v33, 0x7fc02000
	s_mov_b32 s16, exec_lo
	s_delay_alu instid0(VALU_DEP_2) | instskip(NEXT) | instid1(VALU_DEP_1)
	v_and_b32_e32 v36, 0x7f, v35
	v_cmpx_ne_u32_e32 0x7f, v36
	s_cbranch_execz .LBB302_206
; %bb.203:                              ;   in Loop: Header=BB302_194 Depth=1
	v_and_b32_e32 v5, 7, v35
	v_lshrrev_b32_e32 v33, 3, v36
	s_mov_b32 s17, exec_lo
	v_cmpx_gt_u32_e32 8, v36
; %bb.204:                              ;   in Loop: Header=BB302_194 Depth=1
	s_delay_alu instid0(VALU_DEP_3) | instskip(NEXT) | instid1(VALU_DEP_1)
	v_clz_i32_u32_e32 v33, v5
	v_min_u32_e32 v33, 32, v33
	s_delay_alu instid0(VALU_DEP_1) | instskip(SKIP_1) | instid1(VALU_DEP_2)
	v_subrev_nc_u32_e32 v36, 28, v33
	v_sub_nc_u32_e32 v33, 29, v33
	v_lshlrev_b64 v[36:37], v36, v[5:6]
	s_delay_alu instid0(VALU_DEP_1)
	v_and_b32_e32 v5, 7, v36
; %bb.205:                              ;   in Loop: Header=BB302_194 Depth=1
	s_or_b32 exec_lo, exec_lo, s17
	v_lshlrev_b32_e32 v35, 8, v35
	v_lshl_add_u32 v33, v33, 10, 0x2000
	s_delay_alu instid0(VALU_DEP_1) | instskip(NEXT) | instid1(VALU_DEP_1)
	v_and_or_b32 v33, 0x8000, v35, v33
	v_lshl_or_b32 v5, v5, 7, v33
	s_delay_alu instid0(VALU_DEP_1)
	v_cvt_f32_f16_e32 v33, v5
.LBB302_206:                            ;   in Loop: Header=BB302_194 Depth=1
	s_or_b32 exec_lo, exec_lo, s16
.LBB302_207:                            ;   in Loop: Header=BB302_194 Depth=1
	s_delay_alu instid0(SALU_CYCLE_1)
	s_or_b32 exec_lo, exec_lo, s14
.LBB302_208:                            ;   in Loop: Header=BB302_194 Depth=1
	s_delay_alu instid0(SALU_CYCLE_1) | instskip(SKIP_2) | instid1(VALU_DEP_1)
	s_or_b32 exec_lo, exec_lo, s1
	v_lshrrev_b32_e32 v35, 16, v13
	s_mov_b32 s1, exec_lo
	v_and_b32_e32 v5, 0xff, v35
	s_delay_alu instid0(VALU_DEP_1)
	v_cmpx_ne_u16_e32 0, v5
	s_cbranch_execz .LBB302_216
; %bb.209:                              ;   in Loop: Header=BB302_194 Depth=1
	v_bfrev_b32_e32 v34, 1
	s_mov_b32 s14, exec_lo
	v_cmpx_ne_u16_e32 0x80, v5
	s_cbranch_execz .LBB302_215
; %bb.210:                              ;   in Loop: Header=BB302_194 Depth=1
	v_bfe_u32 v36, v13, 16, 7
	v_mov_b32_e32 v34, 0x7fc02000
	s_mov_b32 s16, exec_lo
	s_delay_alu instid0(VALU_DEP_2)
	v_cmpx_ne_u32_e32 0x7f, v36
	s_cbranch_execz .LBB302_214
; %bb.211:                              ;   in Loop: Header=BB302_194 Depth=1
	v_and_b32_e32 v5, 7, v35
	v_lshrrev_b32_e32 v34, 3, v36
	s_mov_b32 s17, exec_lo
	v_cmpx_gt_u32_e32 8, v36
; %bb.212:                              ;   in Loop: Header=BB302_194 Depth=1
	s_delay_alu instid0(VALU_DEP_3) | instskip(NEXT) | instid1(VALU_DEP_1)
	v_clz_i32_u32_e32 v34, v5
	v_min_u32_e32 v34, 32, v34
	s_delay_alu instid0(VALU_DEP_1) | instskip(SKIP_1) | instid1(VALU_DEP_2)
	v_subrev_nc_u32_e32 v36, 28, v34
	v_sub_nc_u32_e32 v34, 29, v34
	v_lshlrev_b64 v[36:37], v36, v[5:6]
	s_delay_alu instid0(VALU_DEP_1)
	v_and_b32_e32 v5, 7, v36
; %bb.213:                              ;   in Loop: Header=BB302_194 Depth=1
	s_or_b32 exec_lo, exec_lo, s17
	v_lshlrev_b32_e32 v35, 8, v35
	v_lshl_add_u32 v34, v34, 10, 0x2000
	s_delay_alu instid0(VALU_DEP_1) | instskip(NEXT) | instid1(VALU_DEP_1)
	v_and_or_b32 v34, 0x8000, v35, v34
	v_lshl_or_b32 v5, v5, 7, v34
	s_delay_alu instid0(VALU_DEP_1)
	v_cvt_f32_f16_e32 v34, v5
.LBB302_214:                            ;   in Loop: Header=BB302_194 Depth=1
	s_or_b32 exec_lo, exec_lo, s16
.LBB302_215:                            ;   in Loop: Header=BB302_194 Depth=1
	s_delay_alu instid0(SALU_CYCLE_1)
	s_or_b32 exec_lo, exec_lo, s14
.LBB302_216:                            ;   in Loop: Header=BB302_194 Depth=1
	s_delay_alu instid0(SALU_CYCLE_1)
	s_or_b32 exec_lo, exec_lo, s1
	v_dual_mov_b32 v35, 0 :: v_dual_mov_b32 v36, 0
	s_mov_b32 s1, exec_lo
	v_cmpx_lt_u32_e32 0xffffff, v13
	s_cbranch_execz .LBB302_224
; %bb.217:                              ;   in Loop: Header=BB302_194 Depth=1
	v_lshrrev_b32_e32 v37, 24, v13
	v_bfrev_b32_e32 v36, 1
	s_mov_b32 s14, exec_lo
	s_delay_alu instid0(VALU_DEP_2)
	v_cmpx_ne_u32_e32 0x80, v37
	s_cbranch_execz .LBB302_223
; %bb.218:                              ;   in Loop: Header=BB302_194 Depth=1
	v_and_b32_e32 v38, 0x7f, v37
	v_mov_b32_e32 v36, 0x7fc02000
	s_mov_b32 s16, exec_lo
	s_delay_alu instid0(VALU_DEP_2)
	v_cmpx_ne_u32_e32 0x7f, v38
	s_cbranch_execz .LBB302_222
; %bb.219:                              ;   in Loop: Header=BB302_194 Depth=1
	v_and_b32_e32 v5, 7, v37
	v_lshrrev_b32_e32 v36, 3, v38
	s_mov_b32 s17, exec_lo
	v_cmpx_gt_u32_e32 8, v38
; %bb.220:                              ;   in Loop: Header=BB302_194 Depth=1
	s_delay_alu instid0(VALU_DEP_3) | instskip(NEXT) | instid1(VALU_DEP_1)
	v_clz_i32_u32_e32 v36, v5
	v_min_u32_e32 v36, 32, v36
	s_delay_alu instid0(VALU_DEP_1) | instskip(SKIP_1) | instid1(VALU_DEP_2)
	v_subrev_nc_u32_e32 v38, 28, v36
	v_sub_nc_u32_e32 v36, 29, v36
	v_lshlrev_b64 v[38:39], v38, v[5:6]
	s_delay_alu instid0(VALU_DEP_1)
	v_and_b32_e32 v5, 7, v38
; %bb.221:                              ;   in Loop: Header=BB302_194 Depth=1
	s_or_b32 exec_lo, exec_lo, s17
	v_lshlrev_b32_e32 v37, 8, v37
	v_lshl_add_u32 v36, v36, 10, 0x2000
	s_delay_alu instid0(VALU_DEP_1) | instskip(NEXT) | instid1(VALU_DEP_1)
	v_and_or_b32 v36, 0x8000, v37, v36
	v_lshl_or_b32 v5, v5, 7, v36
	s_delay_alu instid0(VALU_DEP_1)
	v_cvt_f32_f16_e32 v36, v5
.LBB302_222:                            ;   in Loop: Header=BB302_194 Depth=1
	s_or_b32 exec_lo, exec_lo, s16
.LBB302_223:                            ;   in Loop: Header=BB302_194 Depth=1
	s_delay_alu instid0(SALU_CYCLE_1)
	s_or_b32 exec_lo, exec_lo, s14
.LBB302_224:                            ;   in Loop: Header=BB302_194 Depth=1
	s_delay_alu instid0(SALU_CYCLE_1) | instskip(SKIP_3) | instid1(VALU_DEP_2)
	s_or_b32 exec_lo, exec_lo, s1
	v_and_b32_e32 v37, 0xff, v14
	v_mov_b32_e32 v5, v14
	s_mov_b32 s1, exec_lo
	v_cmpx_ne_u16_e32 0, v37
	s_cbranch_execz .LBB302_230
; %bb.225:                              ;   in Loop: Header=BB302_194 Depth=1
	v_bfrev_b32_e32 v35, 1
	s_mov_b32 s14, exec_lo
	v_cmpx_ne_u16_e32 0x80, v37
	s_cbranch_execz .LBB302_229
; %bb.226:                              ;   in Loop: Header=BB302_194 Depth=1
	v_and_b32_e32 v37, 0x7f, v14
	v_mov_b32_e32 v35, 0x7fc02000
	s_mov_b32 s16, exec_lo
	s_delay_alu instid0(VALU_DEP_2)
	v_cmpx_ne_u32_e32 0x7f, v37
	s_cbranch_execz .LBB302_228
; %bb.227:                              ;   in Loop: Header=BB302_194 Depth=1
	v_and_b32_e32 v35, 7, v14
	v_cmp_gt_u32_e64 s0, 8, v37
	v_lshrrev_b32_e32 v38, 3, v37
	s_delay_alu instid0(VALU_DEP_3) | instskip(NEXT) | instid1(VALU_DEP_1)
	v_clz_i32_u32_e32 v35, v35
	v_min_u32_e32 v35, 32, v35
	s_delay_alu instid0(VALU_DEP_1) | instskip(SKIP_1) | instid1(VALU_DEP_2)
	v_subrev_nc_u32_e32 v39, 28, v35
	v_sub_nc_u32_e32 v35, 29, v35
	v_cndmask_b32_e64 v37, 0, v39, s0
	s_delay_alu instid0(VALU_DEP_2) | instskip(NEXT) | instid1(VALU_DEP_2)
	v_cndmask_b32_e64 v35, v38, v35, s0
	v_lshlrev_b64 v[37:38], v37, v[5:6]
	v_lshlrev_b32_e32 v38, 8, v14
	s_delay_alu instid0(VALU_DEP_3) | instskip(NEXT) | instid1(VALU_DEP_3)
	v_lshl_add_u32 v35, v35, 10, 0x2000
	v_lshlrev_b32_e32 v37, 7, v37
	s_delay_alu instid0(VALU_DEP_2) | instskip(NEXT) | instid1(VALU_DEP_1)
	v_and_or_b32 v35, 0x8000, v38, v35
	v_and_or_b32 v35, 0x380, v37, v35
	s_delay_alu instid0(VALU_DEP_1)
	v_cvt_f32_f16_e32 v35, v35
.LBB302_228:                            ;   in Loop: Header=BB302_194 Depth=1
	s_or_b32 exec_lo, exec_lo, s16
.LBB302_229:                            ;   in Loop: Header=BB302_194 Depth=1
	s_delay_alu instid0(SALU_CYCLE_1)
	s_or_b32 exec_lo, exec_lo, s14
.LBB302_230:                            ;   in Loop: Header=BB302_194 Depth=1
	s_delay_alu instid0(SALU_CYCLE_1) | instskip(SKIP_3) | instid1(VALU_DEP_2)
	s_or_b32 exec_lo, exec_lo, s1
	v_lshrrev_b16 v5, 8, v5
	v_dual_mov_b32 v37, 0 :: v_dual_mov_b32 v38, 0
	s_mov_b32 s1, exec_lo
	v_cmpx_ne_u16_e32 0, v5
	s_cbranch_execz .LBB302_238
; %bb.231:                              ;   in Loop: Header=BB302_194 Depth=1
	v_bfrev_b32_e32 v38, 1
	s_mov_b32 s14, exec_lo
	v_cmpx_ne_u16_e32 0x80, v5
	s_cbranch_execz .LBB302_237
; %bb.232:                              ;   in Loop: Header=BB302_194 Depth=1
	v_and_b32_e32 v39, 0xffff, v5
	v_mov_b32_e32 v38, 0x7fc02000
	s_mov_b32 s16, exec_lo
	s_delay_alu instid0(VALU_DEP_2) | instskip(NEXT) | instid1(VALU_DEP_1)
	v_and_b32_e32 v40, 0x7f, v39
	v_cmpx_ne_u32_e32 0x7f, v40
	s_cbranch_execz .LBB302_236
; %bb.233:                              ;   in Loop: Header=BB302_194 Depth=1
	v_and_b32_e32 v5, 7, v39
	v_lshrrev_b32_e32 v38, 3, v40
	s_mov_b32 s17, exec_lo
	v_cmpx_gt_u32_e32 8, v40
; %bb.234:                              ;   in Loop: Header=BB302_194 Depth=1
	s_delay_alu instid0(VALU_DEP_3) | instskip(NEXT) | instid1(VALU_DEP_1)
	v_clz_i32_u32_e32 v38, v5
	v_min_u32_e32 v38, 32, v38
	s_delay_alu instid0(VALU_DEP_1) | instskip(SKIP_1) | instid1(VALU_DEP_2)
	v_subrev_nc_u32_e32 v40, 28, v38
	v_sub_nc_u32_e32 v38, 29, v38
	v_lshlrev_b64 v[40:41], v40, v[5:6]
	s_delay_alu instid0(VALU_DEP_1)
	v_and_b32_e32 v5, 7, v40
; %bb.235:                              ;   in Loop: Header=BB302_194 Depth=1
	s_or_b32 exec_lo, exec_lo, s17
	v_lshlrev_b32_e32 v39, 8, v39
	v_lshl_add_u32 v38, v38, 10, 0x2000
	s_delay_alu instid0(VALU_DEP_1) | instskip(NEXT) | instid1(VALU_DEP_1)
	v_and_or_b32 v38, 0x8000, v39, v38
	v_lshl_or_b32 v5, v5, 7, v38
	s_delay_alu instid0(VALU_DEP_1)
	v_cvt_f32_f16_e32 v38, v5
.LBB302_236:                            ;   in Loop: Header=BB302_194 Depth=1
	s_or_b32 exec_lo, exec_lo, s16
.LBB302_237:                            ;   in Loop: Header=BB302_194 Depth=1
	s_delay_alu instid0(SALU_CYCLE_1)
	s_or_b32 exec_lo, exec_lo, s14
.LBB302_238:                            ;   in Loop: Header=BB302_194 Depth=1
	s_delay_alu instid0(SALU_CYCLE_1) | instskip(SKIP_2) | instid1(VALU_DEP_1)
	s_or_b32 exec_lo, exec_lo, s1
	v_lshrrev_b32_e32 v39, 16, v14
	s_mov_b32 s1, exec_lo
	v_and_b32_e32 v5, 0xff, v39
	s_delay_alu instid0(VALU_DEP_1)
	v_cmpx_ne_u16_e32 0, v5
	s_cbranch_execz .LBB302_246
; %bb.239:                              ;   in Loop: Header=BB302_194 Depth=1
	v_bfrev_b32_e32 v37, 1
	s_mov_b32 s14, exec_lo
	v_cmpx_ne_u16_e32 0x80, v5
	s_cbranch_execz .LBB302_245
; %bb.240:                              ;   in Loop: Header=BB302_194 Depth=1
	v_bfe_u32 v40, v14, 16, 7
	v_mov_b32_e32 v37, 0x7fc02000
	s_mov_b32 s16, exec_lo
	s_delay_alu instid0(VALU_DEP_2)
	v_cmpx_ne_u32_e32 0x7f, v40
	s_cbranch_execz .LBB302_244
; %bb.241:                              ;   in Loop: Header=BB302_194 Depth=1
	v_and_b32_e32 v5, 7, v39
	v_lshrrev_b32_e32 v37, 3, v40
	s_mov_b32 s17, exec_lo
	v_cmpx_gt_u32_e32 8, v40
; %bb.242:                              ;   in Loop: Header=BB302_194 Depth=1
	s_delay_alu instid0(VALU_DEP_3) | instskip(NEXT) | instid1(VALU_DEP_1)
	v_clz_i32_u32_e32 v37, v5
	v_min_u32_e32 v37, 32, v37
	s_delay_alu instid0(VALU_DEP_1) | instskip(SKIP_1) | instid1(VALU_DEP_2)
	v_subrev_nc_u32_e32 v40, 28, v37
	v_sub_nc_u32_e32 v37, 29, v37
	v_lshlrev_b64 v[40:41], v40, v[5:6]
	s_delay_alu instid0(VALU_DEP_1)
	v_and_b32_e32 v5, 7, v40
; %bb.243:                              ;   in Loop: Header=BB302_194 Depth=1
	s_or_b32 exec_lo, exec_lo, s17
	v_lshlrev_b32_e32 v39, 8, v39
	v_lshl_add_u32 v37, v37, 10, 0x2000
	s_delay_alu instid0(VALU_DEP_1) | instskip(NEXT) | instid1(VALU_DEP_1)
	v_and_or_b32 v37, 0x8000, v39, v37
	v_lshl_or_b32 v5, v5, 7, v37
	s_delay_alu instid0(VALU_DEP_1)
	v_cvt_f32_f16_e32 v37, v5
.LBB302_244:                            ;   in Loop: Header=BB302_194 Depth=1
	s_or_b32 exec_lo, exec_lo, s16
.LBB302_245:                            ;   in Loop: Header=BB302_194 Depth=1
	s_delay_alu instid0(SALU_CYCLE_1)
	s_or_b32 exec_lo, exec_lo, s14
.LBB302_246:                            ;   in Loop: Header=BB302_194 Depth=1
	s_delay_alu instid0(SALU_CYCLE_1)
	s_or_b32 exec_lo, exec_lo, s1
	v_mov_b32_e32 v5, 0
	s_mov_b32 s1, exec_lo
	v_cmpx_lt_u64_e64 s[10:11], v[13:14]
	s_cbranch_execz .LBB302_254
; %bb.247:                              ;   in Loop: Header=BB302_194 Depth=1
	v_lshrrev_b32_e32 v13, 24, v14
	v_bfrev_b32_e32 v5, 1
	s_mov_b32 s14, exec_lo
	s_delay_alu instid0(VALU_DEP_2)
	v_cmpx_ne_u32_e32 0x80, v13
	s_cbranch_execz .LBB302_253
; %bb.248:                              ;   in Loop: Header=BB302_194 Depth=1
	v_and_b32_e32 v39, 0x7f, v13
	v_mov_b32_e32 v5, 0x7fc02000
	s_mov_b32 s16, exec_lo
	s_delay_alu instid0(VALU_DEP_2)
	v_cmpx_ne_u32_e32 0x7f, v39
	s_cbranch_execz .LBB302_252
; %bb.249:                              ;   in Loop: Header=BB302_194 Depth=1
	v_and_b32_e32 v5, 7, v13
	v_lshrrev_b32_e32 v14, 3, v39
	s_mov_b32 s17, exec_lo
	v_cmpx_gt_u32_e32 8, v39
; %bb.250:                              ;   in Loop: Header=BB302_194 Depth=1
	s_delay_alu instid0(VALU_DEP_3) | instskip(NEXT) | instid1(VALU_DEP_1)
	v_clz_i32_u32_e32 v14, v5
	v_min_u32_e32 v14, 32, v14
	s_delay_alu instid0(VALU_DEP_1) | instskip(SKIP_1) | instid1(VALU_DEP_2)
	v_subrev_nc_u32_e32 v39, 28, v14
	v_sub_nc_u32_e32 v14, 29, v14
	v_lshlrev_b64 v[39:40], v39, v[5:6]
	s_delay_alu instid0(VALU_DEP_1)
	v_and_b32_e32 v5, 7, v39
; %bb.251:                              ;   in Loop: Header=BB302_194 Depth=1
	s_or_b32 exec_lo, exec_lo, s17
	v_lshlrev_b32_e32 v13, 8, v13
	v_lshl_add_u32 v14, v14, 10, 0x2000
	s_delay_alu instid0(VALU_DEP_1) | instskip(NEXT) | instid1(VALU_DEP_1)
	v_and_or_b32 v13, 0x8000, v13, v14
	v_lshl_or_b32 v5, v5, 7, v13
	s_delay_alu instid0(VALU_DEP_1)
	v_cvt_f32_f16_e32 v5, v5
.LBB302_252:                            ;   in Loop: Header=BB302_194 Depth=1
	s_or_b32 exec_lo, exec_lo, s16
.LBB302_253:                            ;   in Loop: Header=BB302_194 Depth=1
	s_delay_alu instid0(SALU_CYCLE_1)
	s_or_b32 exec_lo, exec_lo, s14
.LBB302_254:                            ;   in Loop: Header=BB302_194 Depth=1
	s_delay_alu instid0(SALU_CYCLE_1)
	s_or_b32 exec_lo, exec_lo, s1
	s_waitcnt vmcnt(0)
	v_fma_mixlo_f16 v13, v31, v36, 0
	v_fma_mixlo_f16 v14, v31, v34, 0
	;; [unrolled: 1-line block ×5, first 2 shown]
	v_lshlrev_b32_e32 v34, 16, v13
	v_fma_mixlo_f16 v35, v31, v35, 0
	v_fma_mixlo_f16 v5, v31, v5, 0
	;; [unrolled: 1-line block ×3, first 2 shown]
	v_and_b32_e32 v14, 0xffff, v14
	v_lshlrev_b32_e32 v33, 16, v33
	v_and_b32_e32 v31, 0xffff, v32
	v_lshlrev_b32_e32 v36, 16, v36
	;; [unrolled: 2-line block ×3, first 2 shown]
	v_and_b32_e32 v38, 0xffff, v13
	v_cmp_eq_u32_e64 s0, s27, v4
	v_or_b32_e32 v32, v34, v14
	v_or_b32_e32 v33, v33, v31
	;; [unrolled: 1-line block ×4, first 2 shown]
	s_and_saveexec_b32 s14, s0
	s_cbranch_execz .LBB302_256
; %bb.255:                              ;   in Loop: Header=BB302_194 Depth=1
	v_add_nc_u32_e32 v14, 1, v21
	v_lshrrev_b32_e32 v34, 16, v33
	v_or_b32_e32 v35, 3, v21
	v_lshrrev_b32_e32 v36, 16, v32
	v_lshrrev_b32_e32 v37, 16, v5
	v_cmp_gt_i32_e64 s1, s13, v14
	v_lshrrev_b32_e32 v31, 16, v31
	v_or_b32_e32 v38, 6, v21
	s_delay_alu instid0(VALU_DEP_3) | instskip(SKIP_2) | instid1(VALU_DEP_2)
	v_cndmask_b32_e64 v14, 0, v34, s1
	v_cmp_gt_i32_e64 s1, s15, v21
	v_or_b32_e32 v34, 2, v21
	v_cndmask_b32_e64 v33, 0, v33, s1
	v_cmp_gt_i32_e64 s1, s13, v35
	s_delay_alu instid0(VALU_DEP_2) | instskip(NEXT) | instid1(VALU_DEP_2)
	v_perm_b32 v33, v14, v33, 0x5040100
	v_cndmask_b32_e64 v35, 0, v36, s1
	v_or_b32_e32 v36, 5, v21
	v_cmp_gt_i32_e64 s1, s15, v34
	v_or_b32_e32 v34, 4, v21
	s_delay_alu instid0(VALU_DEP_2) | instskip(NEXT) | instid1(VALU_DEP_4)
	v_cndmask_b32_e64 v32, 0, v32, s1
	v_cmp_gt_i32_e64 s1, s13, v36
	s_delay_alu instid0(VALU_DEP_2) | instskip(NEXT) | instid1(VALU_DEP_2)
	v_perm_b32 v32, v35, v32, 0x5040100
	v_cndmask_b32_e64 v36, 0, v37, s1
	v_or_b32_e32 v37, 7, v21
	v_cmp_gt_i32_e64 s1, s15, v34
	s_delay_alu instid0(VALU_DEP_1) | instskip(NEXT) | instid1(VALU_DEP_3)
	v_cndmask_b32_e64 v5, 0, v5, s1
	v_cmp_gt_i32_e64 s1, s13, v37
	s_delay_alu instid0(VALU_DEP_2) | instskip(NEXT) | instid1(VALU_DEP_2)
	v_perm_b32 v5, v36, v5, 0x5040100
	v_cndmask_b32_e64 v31, 0, v31, s1
	v_cmp_gt_i32_e64 s1, s15, v38
	s_delay_alu instid0(VALU_DEP_1) | instskip(NEXT) | instid1(VALU_DEP_1)
	v_cndmask_b32_e64 v13, 0, v13, s1
	v_perm_b32 v31, v31, v13, 0x5040100
.LBB302_256:                            ;   in Loop: Header=BB302_194 Depth=1
	s_or_b32 exec_lo, exec_lo, s14
	v_and_b32_e32 v13, 0xffff, v24
	v_and_b32_e32 v14, 0xffff, v28
	;; [unrolled: 1-line block ×4, first 2 shown]
	s_mov_b32 s14, exec_lo
	v_lshl_or_b32 v24, v23, 16, v13
	s_delay_alu instid0(VALU_DEP_2)
	v_lshl_or_b32 v13, v27, 16, v29
	v_mov_b32_e32 v29, 0
	v_lshl_or_b32 v23, v25, 16, v14
	v_lshl_or_b32 v14, v26, 16, v28
	;;#ASMSTART
	v_pk_mul_f16 v25, v24, v33;

	;;#ASMEND
	;;#ASMSTART
	v_pk_mul_f16 v26, v23, v32;

	;;#ASMEND
	;; [unrolled: 4-line block ×4, first 2 shown]
	;;#ASMSTART
	v_pk_add_f16 v25, v25, v26;

	;;#ASMEND
	;;#ASMSTART
	v_pk_add_f16 v5, v25, v5;

	;;#ASMEND
	;; [unrolled: 4-line block ×3, first 2 shown]
	v_and_b32_e32 v25, 0xffff, v5
	v_lshrrev_b32_e32 v5, 16, v5
	;;#ASMSTART
	v_cvt_f32_f16 v25, v25;
	;;#ASMEND
	;;#ASMSTART
	v_cvt_f32_f16 v26, v5;
	;;#ASMEND
	global_load_b64 v[11:12], v[11:12], off offset:256
	global_load_b32 v27, v6, s[6:7]
	s_waitcnt vmcnt(1)
	v_dual_mov_b32 v28, 0 :: v_dual_and_b32 v5, 0xff, v11
	s_delay_alu instid0(VALU_DEP_1)
	v_cmpx_ne_u16_e32 0, v5
	s_cbranch_execz .LBB302_262
; %bb.257:                              ;   in Loop: Header=BB302_194 Depth=1
	v_bfrev_b32_e32 v28, 1
	s_mov_b32 s16, exec_lo
	v_cmpx_ne_u16_e32 0x80, v5
	s_cbranch_execz .LBB302_261
; %bb.258:                              ;   in Loop: Header=BB302_194 Depth=1
	v_and_b32_e32 v5, 0x7f, v11
	v_mov_b32_e32 v28, 0x7fc02000
	s_mov_b32 s17, exec_lo
	s_delay_alu instid0(VALU_DEP_2)
	v_cmpx_ne_u32_e32 0x7f, v5
	s_cbranch_execz .LBB302_260
; %bb.259:                              ;   in Loop: Header=BB302_194 Depth=1
	v_and_b32_e32 v28, 7, v11
	v_cmp_gt_u32_e64 s1, 8, v5
	v_lshrrev_b32_e32 v30, 3, v5
	s_delay_alu instid0(VALU_DEP_3) | instskip(NEXT) | instid1(VALU_DEP_1)
	v_clz_i32_u32_e32 v28, v28
	v_min_u32_e32 v28, 32, v28
	s_delay_alu instid0(VALU_DEP_1) | instskip(SKIP_1) | instid1(VALU_DEP_2)
	v_subrev_nc_u32_e32 v31, 28, v28
	v_sub_nc_u32_e32 v28, 29, v28
	v_cndmask_b32_e64 v5, 0, v31, s1
	s_delay_alu instid0(VALU_DEP_2) | instskip(NEXT) | instid1(VALU_DEP_2)
	v_cndmask_b32_e64 v28, v30, v28, s1
	v_lshlrev_b64 v[30:31], v5, v[11:12]
	v_lshlrev_b32_e32 v5, 8, v11
	s_delay_alu instid0(VALU_DEP_3) | instskip(NEXT) | instid1(VALU_DEP_3)
	v_lshl_add_u32 v28, v28, 10, 0x2000
	v_lshlrev_b32_e32 v30, 7, v30
	s_delay_alu instid0(VALU_DEP_2) | instskip(NEXT) | instid1(VALU_DEP_1)
	v_and_or_b32 v5, 0x8000, v5, v28
	v_and_or_b32 v5, 0x380, v30, v5
	s_delay_alu instid0(VALU_DEP_1)
	v_cvt_f32_f16_e32 v28, v5
.LBB302_260:                            ;   in Loop: Header=BB302_194 Depth=1
	s_or_b32 exec_lo, exec_lo, s17
.LBB302_261:                            ;   in Loop: Header=BB302_194 Depth=1
	s_delay_alu instid0(SALU_CYCLE_1)
	s_or_b32 exec_lo, exec_lo, s16
.LBB302_262:                            ;   in Loop: Header=BB302_194 Depth=1
	s_delay_alu instid0(SALU_CYCLE_1) | instskip(SKIP_2) | instid1(VALU_DEP_1)
	s_or_b32 exec_lo, exec_lo, s14
	v_lshrrev_b16 v5, 8, v11
	s_mov_b32 s14, exec_lo
	v_cmpx_ne_u16_e32 0, v5
	s_cbranch_execz .LBB302_270
; %bb.263:                              ;   in Loop: Header=BB302_194 Depth=1
	v_bfrev_b32_e32 v29, 1
	s_mov_b32 s16, exec_lo
	v_cmpx_ne_u16_e32 0x80, v5
	s_cbranch_execz .LBB302_269
; %bb.264:                              ;   in Loop: Header=BB302_194 Depth=1
	v_and_b32_e32 v30, 0xffff, v5
	v_mov_b32_e32 v29, 0x7fc02000
	s_mov_b32 s17, exec_lo
	s_delay_alu instid0(VALU_DEP_2) | instskip(NEXT) | instid1(VALU_DEP_1)
	v_and_b32_e32 v31, 0x7f, v30
	v_cmpx_ne_u32_e32 0x7f, v31
	s_cbranch_execz .LBB302_268
; %bb.265:                              ;   in Loop: Header=BB302_194 Depth=1
	v_and_b32_e32 v5, 7, v30
	v_lshrrev_b32_e32 v29, 3, v31
	s_mov_b32 s18, exec_lo
	v_cmpx_gt_u32_e32 8, v31
; %bb.266:                              ;   in Loop: Header=BB302_194 Depth=1
	s_delay_alu instid0(VALU_DEP_3) | instskip(NEXT) | instid1(VALU_DEP_1)
	v_clz_i32_u32_e32 v29, v5
	v_min_u32_e32 v29, 32, v29
	s_delay_alu instid0(VALU_DEP_1) | instskip(SKIP_1) | instid1(VALU_DEP_2)
	v_subrev_nc_u32_e32 v31, 28, v29
	v_sub_nc_u32_e32 v29, 29, v29
	v_lshlrev_b64 v[31:32], v31, v[5:6]
	s_delay_alu instid0(VALU_DEP_1)
	v_and_b32_e32 v5, 7, v31
; %bb.267:                              ;   in Loop: Header=BB302_194 Depth=1
	s_or_b32 exec_lo, exec_lo, s18
	v_lshlrev_b32_e32 v30, 8, v30
	v_lshl_add_u32 v29, v29, 10, 0x2000
	s_delay_alu instid0(VALU_DEP_1) | instskip(NEXT) | instid1(VALU_DEP_1)
	v_and_or_b32 v29, 0x8000, v30, v29
	v_lshl_or_b32 v5, v5, 7, v29
	s_delay_alu instid0(VALU_DEP_1)
	v_cvt_f32_f16_e32 v29, v5
.LBB302_268:                            ;   in Loop: Header=BB302_194 Depth=1
	s_or_b32 exec_lo, exec_lo, s17
.LBB302_269:                            ;   in Loop: Header=BB302_194 Depth=1
	s_delay_alu instid0(SALU_CYCLE_1)
	s_or_b32 exec_lo, exec_lo, s16
.LBB302_270:                            ;   in Loop: Header=BB302_194 Depth=1
	s_delay_alu instid0(SALU_CYCLE_1) | instskip(SKIP_3) | instid1(VALU_DEP_2)
	s_or_b32 exec_lo, exec_lo, s14
	v_lshrrev_b32_e32 v32, 16, v11
	v_mov_b32_e32 v31, 0
	s_mov_b32 s14, exec_lo
	v_dual_mov_b32 v30, 0 :: v_dual_and_b32 v5, 0xff, v32
	s_delay_alu instid0(VALU_DEP_1)
	v_cmpx_ne_u16_e32 0, v5
	s_cbranch_execz .LBB302_278
; %bb.271:                              ;   in Loop: Header=BB302_194 Depth=1
	v_bfrev_b32_e32 v30, 1
	s_mov_b32 s16, exec_lo
	v_cmpx_ne_u16_e32 0x80, v5
	s_cbranch_execz .LBB302_277
; %bb.272:                              ;   in Loop: Header=BB302_194 Depth=1
	v_bfe_u32 v33, v11, 16, 7
	v_mov_b32_e32 v30, 0x7fc02000
	s_mov_b32 s17, exec_lo
	s_delay_alu instid0(VALU_DEP_2)
	v_cmpx_ne_u32_e32 0x7f, v33
	s_cbranch_execz .LBB302_276
; %bb.273:                              ;   in Loop: Header=BB302_194 Depth=1
	v_and_b32_e32 v5, 7, v32
	v_lshrrev_b32_e32 v30, 3, v33
	s_mov_b32 s18, exec_lo
	v_cmpx_gt_u32_e32 8, v33
; %bb.274:                              ;   in Loop: Header=BB302_194 Depth=1
	s_delay_alu instid0(VALU_DEP_3) | instskip(NEXT) | instid1(VALU_DEP_1)
	v_clz_i32_u32_e32 v30, v5
	v_min_u32_e32 v30, 32, v30
	s_delay_alu instid0(VALU_DEP_1) | instskip(SKIP_1) | instid1(VALU_DEP_2)
	v_subrev_nc_u32_e32 v33, 28, v30
	v_sub_nc_u32_e32 v30, 29, v30
	v_lshlrev_b64 v[33:34], v33, v[5:6]
	s_delay_alu instid0(VALU_DEP_1)
	v_and_b32_e32 v5, 7, v33
; %bb.275:                              ;   in Loop: Header=BB302_194 Depth=1
	s_or_b32 exec_lo, exec_lo, s18
	v_lshlrev_b32_e32 v32, 8, v32
	v_lshl_add_u32 v30, v30, 10, 0x2000
	s_delay_alu instid0(VALU_DEP_1) | instskip(NEXT) | instid1(VALU_DEP_1)
	v_and_or_b32 v30, 0x8000, v32, v30
	v_lshl_or_b32 v5, v5, 7, v30
	s_delay_alu instid0(VALU_DEP_1)
	v_cvt_f32_f16_e32 v30, v5
.LBB302_276:                            ;   in Loop: Header=BB302_194 Depth=1
	s_or_b32 exec_lo, exec_lo, s17
.LBB302_277:                            ;   in Loop: Header=BB302_194 Depth=1
	s_delay_alu instid0(SALU_CYCLE_1)
	s_or_b32 exec_lo, exec_lo, s16
.LBB302_278:                            ;   in Loop: Header=BB302_194 Depth=1
	s_delay_alu instid0(SALU_CYCLE_1) | instskip(NEXT) | instid1(SALU_CYCLE_1)
	s_or_b32 exec_lo, exec_lo, s14
	s_mov_b32 s14, exec_lo
	v_cmpx_lt_u32_e32 0xffffff, v11
	s_cbranch_execz .LBB302_286
; %bb.279:                              ;   in Loop: Header=BB302_194 Depth=1
	v_lshrrev_b32_e32 v32, 24, v11
	v_bfrev_b32_e32 v31, 1
	s_mov_b32 s16, exec_lo
	s_delay_alu instid0(VALU_DEP_2)
	v_cmpx_ne_u32_e32 0x80, v32
	s_cbranch_execz .LBB302_285
; %bb.280:                              ;   in Loop: Header=BB302_194 Depth=1
	v_and_b32_e32 v33, 0x7f, v32
	v_mov_b32_e32 v31, 0x7fc02000
	s_mov_b32 s17, exec_lo
	s_delay_alu instid0(VALU_DEP_2)
	v_cmpx_ne_u32_e32 0x7f, v33
	s_cbranch_execz .LBB302_284
; %bb.281:                              ;   in Loop: Header=BB302_194 Depth=1
	v_and_b32_e32 v5, 7, v32
	v_lshrrev_b32_e32 v31, 3, v33
	s_mov_b32 s18, exec_lo
	v_cmpx_gt_u32_e32 8, v33
; %bb.282:                              ;   in Loop: Header=BB302_194 Depth=1
	s_delay_alu instid0(VALU_DEP_3) | instskip(NEXT) | instid1(VALU_DEP_1)
	v_clz_i32_u32_e32 v31, v5
	v_min_u32_e32 v31, 32, v31
	s_delay_alu instid0(VALU_DEP_1) | instskip(SKIP_1) | instid1(VALU_DEP_2)
	v_subrev_nc_u32_e32 v33, 28, v31
	v_sub_nc_u32_e32 v31, 29, v31
	v_lshlrev_b64 v[33:34], v33, v[5:6]
	s_delay_alu instid0(VALU_DEP_1)
	v_and_b32_e32 v5, 7, v33
; %bb.283:                              ;   in Loop: Header=BB302_194 Depth=1
	s_or_b32 exec_lo, exec_lo, s18
	v_lshlrev_b32_e32 v32, 8, v32
	v_lshl_add_u32 v31, v31, 10, 0x2000
	s_delay_alu instid0(VALU_DEP_1) | instskip(NEXT) | instid1(VALU_DEP_1)
	v_and_or_b32 v31, 0x8000, v32, v31
	v_lshl_or_b32 v5, v5, 7, v31
	s_delay_alu instid0(VALU_DEP_1)
	v_cvt_f32_f16_e32 v31, v5
.LBB302_284:                            ;   in Loop: Header=BB302_194 Depth=1
	s_or_b32 exec_lo, exec_lo, s17
.LBB302_285:                            ;   in Loop: Header=BB302_194 Depth=1
	s_delay_alu instid0(SALU_CYCLE_1)
	s_or_b32 exec_lo, exec_lo, s16
.LBB302_286:                            ;   in Loop: Header=BB302_194 Depth=1
	s_delay_alu instid0(SALU_CYCLE_1) | instskip(SKIP_3) | instid1(VALU_DEP_2)
	s_or_b32 exec_lo, exec_lo, s14
	v_dual_mov_b32 v5, v12 :: v_dual_and_b32 v34, 0xff, v12
	v_dual_mov_b32 v33, 0 :: v_dual_mov_b32 v32, 0
	s_mov_b32 s14, exec_lo
	v_cmpx_ne_u16_e32 0, v34
	s_cbranch_execz .LBB302_292
; %bb.287:                              ;   in Loop: Header=BB302_194 Depth=1
	v_bfrev_b32_e32 v32, 1
	s_mov_b32 s16, exec_lo
	v_cmpx_ne_u16_e32 0x80, v34
	s_cbranch_execz .LBB302_291
; %bb.288:                              ;   in Loop: Header=BB302_194 Depth=1
	v_and_b32_e32 v34, 0x7f, v12
	v_mov_b32_e32 v32, 0x7fc02000
	s_mov_b32 s17, exec_lo
	s_delay_alu instid0(VALU_DEP_2)
	v_cmpx_ne_u32_e32 0x7f, v34
	s_cbranch_execz .LBB302_290
; %bb.289:                              ;   in Loop: Header=BB302_194 Depth=1
	v_and_b32_e32 v32, 7, v12
	v_cmp_gt_u32_e64 s1, 8, v34
	v_lshrrev_b32_e32 v35, 3, v34
	s_delay_alu instid0(VALU_DEP_3) | instskip(NEXT) | instid1(VALU_DEP_1)
	v_clz_i32_u32_e32 v32, v32
	v_min_u32_e32 v32, 32, v32
	s_delay_alu instid0(VALU_DEP_1) | instskip(SKIP_1) | instid1(VALU_DEP_2)
	v_subrev_nc_u32_e32 v36, 28, v32
	v_sub_nc_u32_e32 v32, 29, v32
	v_cndmask_b32_e64 v34, 0, v36, s1
	s_delay_alu instid0(VALU_DEP_2) | instskip(NEXT) | instid1(VALU_DEP_2)
	v_cndmask_b32_e64 v32, v35, v32, s1
	v_lshlrev_b64 v[34:35], v34, v[5:6]
	v_lshlrev_b32_e32 v35, 8, v12
	s_delay_alu instid0(VALU_DEP_3) | instskip(NEXT) | instid1(VALU_DEP_3)
	v_lshl_add_u32 v32, v32, 10, 0x2000
	v_lshlrev_b32_e32 v34, 7, v34
	s_delay_alu instid0(VALU_DEP_2) | instskip(NEXT) | instid1(VALU_DEP_1)
	v_and_or_b32 v32, 0x8000, v35, v32
	v_and_or_b32 v32, 0x380, v34, v32
	s_delay_alu instid0(VALU_DEP_1)
	v_cvt_f32_f16_e32 v32, v32
.LBB302_290:                            ;   in Loop: Header=BB302_194 Depth=1
	s_or_b32 exec_lo, exec_lo, s17
.LBB302_291:                            ;   in Loop: Header=BB302_194 Depth=1
	s_delay_alu instid0(SALU_CYCLE_1)
	s_or_b32 exec_lo, exec_lo, s16
.LBB302_292:                            ;   in Loop: Header=BB302_194 Depth=1
	s_delay_alu instid0(SALU_CYCLE_1) | instskip(SKIP_2) | instid1(VALU_DEP_1)
	s_or_b32 exec_lo, exec_lo, s14
	v_lshrrev_b16 v5, 8, v5
	s_mov_b32 s14, exec_lo
	v_cmpx_ne_u16_e32 0, v5
	s_cbranch_execz .LBB302_300
; %bb.293:                              ;   in Loop: Header=BB302_194 Depth=1
	v_bfrev_b32_e32 v33, 1
	s_mov_b32 s16, exec_lo
	v_cmpx_ne_u16_e32 0x80, v5
	s_cbranch_execz .LBB302_299
; %bb.294:                              ;   in Loop: Header=BB302_194 Depth=1
	v_and_b32_e32 v34, 0xffff, v5
	v_mov_b32_e32 v33, 0x7fc02000
	s_mov_b32 s17, exec_lo
	s_delay_alu instid0(VALU_DEP_2) | instskip(NEXT) | instid1(VALU_DEP_1)
	v_and_b32_e32 v35, 0x7f, v34
	v_cmpx_ne_u32_e32 0x7f, v35
	s_cbranch_execz .LBB302_298
; %bb.295:                              ;   in Loop: Header=BB302_194 Depth=1
	v_and_b32_e32 v5, 7, v34
	v_lshrrev_b32_e32 v33, 3, v35
	s_mov_b32 s18, exec_lo
	v_cmpx_gt_u32_e32 8, v35
; %bb.296:                              ;   in Loop: Header=BB302_194 Depth=1
	s_delay_alu instid0(VALU_DEP_3) | instskip(NEXT) | instid1(VALU_DEP_1)
	v_clz_i32_u32_e32 v33, v5
	v_min_u32_e32 v33, 32, v33
	s_delay_alu instid0(VALU_DEP_1) | instskip(SKIP_1) | instid1(VALU_DEP_2)
	v_subrev_nc_u32_e32 v35, 28, v33
	v_sub_nc_u32_e32 v33, 29, v33
	v_lshlrev_b64 v[35:36], v35, v[5:6]
	s_delay_alu instid0(VALU_DEP_1)
	v_and_b32_e32 v5, 7, v35
; %bb.297:                              ;   in Loop: Header=BB302_194 Depth=1
	s_or_b32 exec_lo, exec_lo, s18
	v_lshlrev_b32_e32 v34, 8, v34
	v_lshl_add_u32 v33, v33, 10, 0x2000
	s_delay_alu instid0(VALU_DEP_1) | instskip(NEXT) | instid1(VALU_DEP_1)
	v_and_or_b32 v33, 0x8000, v34, v33
	v_lshl_or_b32 v5, v5, 7, v33
	s_delay_alu instid0(VALU_DEP_1)
	v_cvt_f32_f16_e32 v33, v5
.LBB302_298:                            ;   in Loop: Header=BB302_194 Depth=1
	s_or_b32 exec_lo, exec_lo, s17
.LBB302_299:                            ;   in Loop: Header=BB302_194 Depth=1
	s_delay_alu instid0(SALU_CYCLE_1)
	s_or_b32 exec_lo, exec_lo, s16
.LBB302_300:                            ;   in Loop: Header=BB302_194 Depth=1
	s_delay_alu instid0(SALU_CYCLE_1) | instskip(SKIP_3) | instid1(VALU_DEP_2)
	s_or_b32 exec_lo, exec_lo, s14
	v_lshrrev_b32_e32 v36, 16, v12
	v_mov_b32_e32 v35, 0
	s_mov_b32 s14, exec_lo
	v_dual_mov_b32 v34, 0 :: v_dual_and_b32 v5, 0xff, v36
	s_delay_alu instid0(VALU_DEP_1)
	v_cmpx_ne_u16_e32 0, v5
	s_cbranch_execz .LBB302_308
; %bb.301:                              ;   in Loop: Header=BB302_194 Depth=1
	v_bfrev_b32_e32 v34, 1
	s_mov_b32 s16, exec_lo
	v_cmpx_ne_u16_e32 0x80, v5
	s_cbranch_execz .LBB302_307
; %bb.302:                              ;   in Loop: Header=BB302_194 Depth=1
	v_bfe_u32 v37, v12, 16, 7
	v_mov_b32_e32 v34, 0x7fc02000
	s_mov_b32 s17, exec_lo
	s_delay_alu instid0(VALU_DEP_2)
	v_cmpx_ne_u32_e32 0x7f, v37
	s_cbranch_execz .LBB302_306
; %bb.303:                              ;   in Loop: Header=BB302_194 Depth=1
	v_and_b32_e32 v5, 7, v36
	v_lshrrev_b32_e32 v34, 3, v37
	s_mov_b32 s18, exec_lo
	v_cmpx_gt_u32_e32 8, v37
; %bb.304:                              ;   in Loop: Header=BB302_194 Depth=1
	s_delay_alu instid0(VALU_DEP_3) | instskip(NEXT) | instid1(VALU_DEP_1)
	v_clz_i32_u32_e32 v34, v5
	v_min_u32_e32 v34, 32, v34
	s_delay_alu instid0(VALU_DEP_1) | instskip(SKIP_1) | instid1(VALU_DEP_2)
	v_subrev_nc_u32_e32 v37, 28, v34
	v_sub_nc_u32_e32 v34, 29, v34
	v_lshlrev_b64 v[37:38], v37, v[5:6]
	s_delay_alu instid0(VALU_DEP_1)
	v_and_b32_e32 v5, 7, v37
; %bb.305:                              ;   in Loop: Header=BB302_194 Depth=1
	s_or_b32 exec_lo, exec_lo, s18
	v_lshlrev_b32_e32 v36, 8, v36
	v_lshl_add_u32 v34, v34, 10, 0x2000
	s_delay_alu instid0(VALU_DEP_1) | instskip(NEXT) | instid1(VALU_DEP_1)
	v_and_or_b32 v34, 0x8000, v36, v34
	v_lshl_or_b32 v5, v5, 7, v34
	s_delay_alu instid0(VALU_DEP_1)
	v_cvt_f32_f16_e32 v34, v5
.LBB302_306:                            ;   in Loop: Header=BB302_194 Depth=1
	s_or_b32 exec_lo, exec_lo, s17
.LBB302_307:                            ;   in Loop: Header=BB302_194 Depth=1
	s_delay_alu instid0(SALU_CYCLE_1)
	s_or_b32 exec_lo, exec_lo, s16
.LBB302_308:                            ;   in Loop: Header=BB302_194 Depth=1
	s_delay_alu instid0(SALU_CYCLE_1) | instskip(NEXT) | instid1(SALU_CYCLE_1)
	s_or_b32 exec_lo, exec_lo, s14
	s_mov_b32 s14, exec_lo
	v_cmpx_lt_u64_e64 s[10:11], v[11:12]
	s_cbranch_execz .LBB302_316
; %bb.309:                              ;   in Loop: Header=BB302_194 Depth=1
	v_lshrrev_b32_e32 v11, 24, v12
	v_bfrev_b32_e32 v35, 1
	s_mov_b32 s16, exec_lo
	s_delay_alu instid0(VALU_DEP_2)
	v_cmpx_ne_u32_e32 0x80, v11
	s_cbranch_execz .LBB302_315
; %bb.310:                              ;   in Loop: Header=BB302_194 Depth=1
	v_and_b32_e32 v36, 0x7f, v11
	v_mov_b32_e32 v35, 0x7fc02000
	s_mov_b32 s17, exec_lo
	s_delay_alu instid0(VALU_DEP_2)
	v_cmpx_ne_u32_e32 0x7f, v36
	s_cbranch_execz .LBB302_314
; %bb.311:                              ;   in Loop: Header=BB302_194 Depth=1
	v_and_b32_e32 v5, 7, v11
	v_lshrrev_b32_e32 v12, 3, v36
	s_mov_b32 s18, exec_lo
	v_cmpx_gt_u32_e32 8, v36
; %bb.312:                              ;   in Loop: Header=BB302_194 Depth=1
	s_delay_alu instid0(VALU_DEP_3) | instskip(NEXT) | instid1(VALU_DEP_1)
	v_clz_i32_u32_e32 v12, v5
	v_min_u32_e32 v12, 32, v12
	s_delay_alu instid0(VALU_DEP_1) | instskip(SKIP_1) | instid1(VALU_DEP_2)
	v_subrev_nc_u32_e32 v35, 28, v12
	v_sub_nc_u32_e32 v12, 29, v12
	v_lshlrev_b64 v[35:36], v35, v[5:6]
	s_delay_alu instid0(VALU_DEP_1)
	v_and_b32_e32 v5, 7, v35
; %bb.313:                              ;   in Loop: Header=BB302_194 Depth=1
	s_or_b32 exec_lo, exec_lo, s18
	v_lshlrev_b32_e32 v11, 8, v11
	v_lshl_add_u32 v12, v12, 10, 0x2000
	s_delay_alu instid0(VALU_DEP_1) | instskip(NEXT) | instid1(VALU_DEP_1)
	v_and_or_b32 v11, 0x8000, v11, v12
	v_lshl_or_b32 v5, v5, 7, v11
	s_delay_alu instid0(VALU_DEP_1)
	v_cvt_f32_f16_e32 v35, v5
.LBB302_314:                            ;   in Loop: Header=BB302_194 Depth=1
	s_or_b32 exec_lo, exec_lo, s17
.LBB302_315:                            ;   in Loop: Header=BB302_194 Depth=1
	s_delay_alu instid0(SALU_CYCLE_1)
	s_or_b32 exec_lo, exec_lo, s16
.LBB302_316:                            ;   in Loop: Header=BB302_194 Depth=1
	s_delay_alu instid0(SALU_CYCLE_1)
	s_or_b32 exec_lo, exec_lo, s14
	s_waitcnt vmcnt(0)
	v_fma_mixlo_f16 v12, v27, v29, 0
	v_fma_mixlo_f16 v5, v27, v31, 0
	;; [unrolled: 1-line block ×5, first 2 shown]
	v_lshlrev_b32_e32 v29, 16, v12
	v_fma_mixlo_f16 v31, v27, v32, 0
	v_fma_mixlo_f16 v32, v27, v35, 0
	;; [unrolled: 1-line block ×3, first 2 shown]
	v_lshlrev_b32_e32 v5, 16, v5
	v_and_b32_e32 v11, 0xffff, v11
	v_and_b32_e32 v28, 0xffff, v28
	v_lshlrev_b32_e32 v30, 16, v30
	v_and_b32_e32 v31, 0xffff, v31
	v_lshlrev_b32_e32 v32, 16, v32
	v_and_b32_e32 v33, 0xffff, v12
	v_or_b32_e32 v27, v5, v11
	v_or_b32_e32 v28, v29, v28
	;; [unrolled: 1-line block ×3, first 2 shown]
	s_delay_alu instid0(VALU_DEP_4)
	v_or_b32_e32 v11, v32, v33
	s_and_saveexec_b32 s14, s0
	s_cbranch_execz .LBB302_318
; %bb.317:                              ;   in Loop: Header=BB302_194 Depth=1
	v_add_nc_u32_e32 v29, 1, v21
	v_lshrrev_b32_e32 v30, 16, v28
	v_or_b32_e32 v31, 3, v21
	v_lshrrev_b32_e32 v32, 16, v27
	v_lshrrev_b32_e32 v33, 16, v5
	v_cmp_gt_i32_e64 s1, s13, v29
	v_lshrrev_b32_e32 v11, 16, v11
	v_or_b32_e32 v34, 6, v21
	s_delay_alu instid0(VALU_DEP_3) | instskip(SKIP_2) | instid1(VALU_DEP_2)
	v_cndmask_b32_e64 v29, 0, v30, s1
	v_cmp_gt_i32_e64 s1, s15, v21
	v_or_b32_e32 v30, 2, v21
	v_cndmask_b32_e64 v28, 0, v28, s1
	v_cmp_gt_i32_e64 s1, s13, v31
	s_delay_alu instid0(VALU_DEP_2) | instskip(NEXT) | instid1(VALU_DEP_2)
	v_perm_b32 v28, v29, v28, 0x5040100
	v_cndmask_b32_e64 v31, 0, v32, s1
	v_or_b32_e32 v32, 5, v21
	v_cmp_gt_i32_e64 s1, s15, v30
	v_or_b32_e32 v30, 4, v21
	s_delay_alu instid0(VALU_DEP_2) | instskip(NEXT) | instid1(VALU_DEP_4)
	v_cndmask_b32_e64 v27, 0, v27, s1
	v_cmp_gt_i32_e64 s1, s13, v32
	s_delay_alu instid0(VALU_DEP_2) | instskip(NEXT) | instid1(VALU_DEP_2)
	v_perm_b32 v27, v31, v27, 0x5040100
	v_cndmask_b32_e64 v32, 0, v33, s1
	v_or_b32_e32 v33, 7, v21
	v_cmp_gt_i32_e64 s1, s15, v30
	s_delay_alu instid0(VALU_DEP_1) | instskip(NEXT) | instid1(VALU_DEP_3)
	v_cndmask_b32_e64 v5, 0, v5, s1
	v_cmp_gt_i32_e64 s1, s13, v33
	s_delay_alu instid0(VALU_DEP_2) | instskip(NEXT) | instid1(VALU_DEP_2)
	v_perm_b32 v5, v32, v5, 0x5040100
	v_cndmask_b32_e64 v11, 0, v11, s1
	v_cmp_gt_i32_e64 s1, s15, v34
	s_delay_alu instid0(VALU_DEP_1) | instskip(NEXT) | instid1(VALU_DEP_1)
	v_cndmask_b32_e64 v12, 0, v12, s1
	v_perm_b32 v11, v11, v12, 0x5040100
.LBB302_318:                            ;   in Loop: Header=BB302_194 Depth=1
	s_or_b32 exec_lo, exec_lo, s14
	;;#ASMSTART
	v_pk_mul_f16 v12, v24, v28;

	;;#ASMEND
	;;#ASMSTART
	v_pk_mul_f16 v27, v23, v27;

	;;#ASMEND
	;; [unrolled: 4-line block ×4, first 2 shown]
	;;#ASMSTART
	v_pk_add_f16 v12, v12, v27;

	;;#ASMEND
	;;#ASMSTART
	v_pk_add_f16 v5, v12, v5;

	;;#ASMEND
	;; [unrolled: 4-line block ×3, first 2 shown]
	v_dual_add_f32 v12, v25, v26 :: v_dual_and_b32 v11, 0xffff, v5
	v_lshrrev_b32_e32 v5, 16, v5
	;;#ASMSTART
	v_cvt_f32_f16 v11, v11;
	;;#ASMEND
	;;#ASMSTART
	v_cvt_f32_f16 v5, v5;
	;;#ASMEND
	s_delay_alu instid0(VALU_DEP_1) | instskip(NEXT) | instid1(VALU_DEP_1)
	v_add_f32_e32 v5, v11, v5
	v_dual_add_f32 v1, v1, v12 :: v_dual_add_f32 v2, v2, v5
	s_and_saveexec_b32 s14, vcc_lo
	s_cbranch_execz .LBB302_193
; %bb.319:                              ;   in Loop: Header=BB302_194 Depth=1
	v_add_co_u32 v9, s1, v9, v20
	s_delay_alu instid0(VALU_DEP_1)
	v_add_co_ci_u32_e64 v10, s1, 0, v10, s1
	v_mov_b32_e32 v25, 0
	s_mov_b32 s16, exec_lo
	global_load_b64 v[9:10], v[9:10], off
	global_load_b32 v11, v6, s[6:7]
	s_waitcnt vmcnt(1)
	v_dual_mov_b32 v12, 0 :: v_dual_and_b32 v5, 0xff, v9
	s_delay_alu instid0(VALU_DEP_1)
	v_cmpx_ne_u16_e32 0, v5
	s_cbranch_execz .LBB302_325
; %bb.320:                              ;   in Loop: Header=BB302_194 Depth=1
	v_bfrev_b32_e32 v12, 1
	s_mov_b32 s17, exec_lo
	v_cmpx_ne_u16_e32 0x80, v5
	s_cbranch_execz .LBB302_324
; %bb.321:                              ;   in Loop: Header=BB302_194 Depth=1
	v_and_b32_e32 v5, 0x7f, v9
	v_mov_b32_e32 v12, 0x7fc02000
	s_mov_b32 s18, exec_lo
	s_delay_alu instid0(VALU_DEP_2)
	v_cmpx_ne_u32_e32 0x7f, v5
	s_cbranch_execz .LBB302_323
; %bb.322:                              ;   in Loop: Header=BB302_194 Depth=1
	v_and_b32_e32 v12, 7, v9
	v_cmp_gt_u32_e64 s1, 8, v5
	v_lshrrev_b32_e32 v26, 3, v5
	s_delay_alu instid0(VALU_DEP_3) | instskip(NEXT) | instid1(VALU_DEP_1)
	v_clz_i32_u32_e32 v12, v12
	v_min_u32_e32 v12, 32, v12
	s_delay_alu instid0(VALU_DEP_1) | instskip(SKIP_1) | instid1(VALU_DEP_2)
	v_subrev_nc_u32_e32 v27, 28, v12
	v_sub_nc_u32_e32 v12, 29, v12
	v_cndmask_b32_e64 v5, 0, v27, s1
	s_delay_alu instid0(VALU_DEP_2) | instskip(NEXT) | instid1(VALU_DEP_2)
	v_cndmask_b32_e64 v12, v26, v12, s1
	v_lshlrev_b64 v[26:27], v5, v[9:10]
	v_lshlrev_b32_e32 v5, 8, v9
	s_delay_alu instid0(VALU_DEP_3) | instskip(NEXT) | instid1(VALU_DEP_3)
	v_lshl_add_u32 v12, v12, 10, 0x2000
	v_lshlrev_b32_e32 v26, 7, v26
	s_delay_alu instid0(VALU_DEP_2) | instskip(NEXT) | instid1(VALU_DEP_1)
	v_and_or_b32 v5, 0x8000, v5, v12
	v_and_or_b32 v5, 0x380, v26, v5
	s_delay_alu instid0(VALU_DEP_1)
	v_cvt_f32_f16_e32 v12, v5
.LBB302_323:                            ;   in Loop: Header=BB302_194 Depth=1
	s_or_b32 exec_lo, exec_lo, s18
.LBB302_324:                            ;   in Loop: Header=BB302_194 Depth=1
	s_delay_alu instid0(SALU_CYCLE_1)
	s_or_b32 exec_lo, exec_lo, s17
.LBB302_325:                            ;   in Loop: Header=BB302_194 Depth=1
	s_delay_alu instid0(SALU_CYCLE_1) | instskip(SKIP_2) | instid1(VALU_DEP_1)
	s_or_b32 exec_lo, exec_lo, s16
	v_lshrrev_b16 v5, 8, v9
	s_mov_b32 s16, exec_lo
	v_cmpx_ne_u16_e32 0, v5
	s_cbranch_execz .LBB302_333
; %bb.326:                              ;   in Loop: Header=BB302_194 Depth=1
	v_bfrev_b32_e32 v25, 1
	s_mov_b32 s17, exec_lo
	v_cmpx_ne_u16_e32 0x80, v5
	s_cbranch_execz .LBB302_332
; %bb.327:                              ;   in Loop: Header=BB302_194 Depth=1
	v_and_b32_e32 v26, 0xffff, v5
	v_mov_b32_e32 v25, 0x7fc02000
	s_mov_b32 s18, exec_lo
	s_delay_alu instid0(VALU_DEP_2) | instskip(NEXT) | instid1(VALU_DEP_1)
	v_and_b32_e32 v27, 0x7f, v26
	v_cmpx_ne_u32_e32 0x7f, v27
	s_cbranch_execz .LBB302_331
; %bb.328:                              ;   in Loop: Header=BB302_194 Depth=1
	v_and_b32_e32 v5, 7, v26
	v_lshrrev_b32_e32 v25, 3, v27
	s_mov_b32 s19, exec_lo
	v_cmpx_gt_u32_e32 8, v27
; %bb.329:                              ;   in Loop: Header=BB302_194 Depth=1
	s_delay_alu instid0(VALU_DEP_3) | instskip(NEXT) | instid1(VALU_DEP_1)
	v_clz_i32_u32_e32 v25, v5
	v_min_u32_e32 v25, 32, v25
	s_delay_alu instid0(VALU_DEP_1) | instskip(SKIP_1) | instid1(VALU_DEP_2)
	v_subrev_nc_u32_e32 v27, 28, v25
	v_sub_nc_u32_e32 v25, 29, v25
	v_lshlrev_b64 v[27:28], v27, v[5:6]
	s_delay_alu instid0(VALU_DEP_1)
	v_and_b32_e32 v5, 7, v27
; %bb.330:                              ;   in Loop: Header=BB302_194 Depth=1
	s_or_b32 exec_lo, exec_lo, s19
	v_lshlrev_b32_e32 v26, 8, v26
	v_lshl_add_u32 v25, v25, 10, 0x2000
	s_delay_alu instid0(VALU_DEP_1) | instskip(NEXT) | instid1(VALU_DEP_1)
	v_and_or_b32 v25, 0x8000, v26, v25
	v_lshl_or_b32 v5, v5, 7, v25
	s_delay_alu instid0(VALU_DEP_1)
	v_cvt_f32_f16_e32 v25, v5
.LBB302_331:                            ;   in Loop: Header=BB302_194 Depth=1
	s_or_b32 exec_lo, exec_lo, s18
.LBB302_332:                            ;   in Loop: Header=BB302_194 Depth=1
	s_delay_alu instid0(SALU_CYCLE_1)
	s_or_b32 exec_lo, exec_lo, s17
.LBB302_333:                            ;   in Loop: Header=BB302_194 Depth=1
	s_delay_alu instid0(SALU_CYCLE_1) | instskip(SKIP_3) | instid1(VALU_DEP_2)
	s_or_b32 exec_lo, exec_lo, s16
	v_lshrrev_b32_e32 v28, 16, v9
	v_mov_b32_e32 v27, 0
	s_mov_b32 s16, exec_lo
	v_dual_mov_b32 v26, 0 :: v_dual_and_b32 v5, 0xff, v28
	s_delay_alu instid0(VALU_DEP_1)
	v_cmpx_ne_u16_e32 0, v5
	s_cbranch_execz .LBB302_341
; %bb.334:                              ;   in Loop: Header=BB302_194 Depth=1
	v_bfrev_b32_e32 v26, 1
	s_mov_b32 s17, exec_lo
	v_cmpx_ne_u16_e32 0x80, v5
	s_cbranch_execz .LBB302_340
; %bb.335:                              ;   in Loop: Header=BB302_194 Depth=1
	v_bfe_u32 v29, v9, 16, 7
	v_mov_b32_e32 v26, 0x7fc02000
	s_mov_b32 s18, exec_lo
	s_delay_alu instid0(VALU_DEP_2)
	v_cmpx_ne_u32_e32 0x7f, v29
	s_cbranch_execz .LBB302_339
; %bb.336:                              ;   in Loop: Header=BB302_194 Depth=1
	v_and_b32_e32 v5, 7, v28
	v_lshrrev_b32_e32 v26, 3, v29
	s_mov_b32 s19, exec_lo
	v_cmpx_gt_u32_e32 8, v29
; %bb.337:                              ;   in Loop: Header=BB302_194 Depth=1
	s_delay_alu instid0(VALU_DEP_3) | instskip(NEXT) | instid1(VALU_DEP_1)
	v_clz_i32_u32_e32 v26, v5
	v_min_u32_e32 v26, 32, v26
	s_delay_alu instid0(VALU_DEP_1) | instskip(SKIP_1) | instid1(VALU_DEP_2)
	v_subrev_nc_u32_e32 v29, 28, v26
	v_sub_nc_u32_e32 v26, 29, v26
	v_lshlrev_b64 v[29:30], v29, v[5:6]
	s_delay_alu instid0(VALU_DEP_1)
	v_and_b32_e32 v5, 7, v29
; %bb.338:                              ;   in Loop: Header=BB302_194 Depth=1
	s_or_b32 exec_lo, exec_lo, s19
	v_lshlrev_b32_e32 v28, 8, v28
	v_lshl_add_u32 v26, v26, 10, 0x2000
	s_delay_alu instid0(VALU_DEP_1) | instskip(NEXT) | instid1(VALU_DEP_1)
	v_and_or_b32 v26, 0x8000, v28, v26
	v_lshl_or_b32 v5, v5, 7, v26
	s_delay_alu instid0(VALU_DEP_1)
	v_cvt_f32_f16_e32 v26, v5
.LBB302_339:                            ;   in Loop: Header=BB302_194 Depth=1
	s_or_b32 exec_lo, exec_lo, s18
.LBB302_340:                            ;   in Loop: Header=BB302_194 Depth=1
	s_delay_alu instid0(SALU_CYCLE_1)
	s_or_b32 exec_lo, exec_lo, s17
.LBB302_341:                            ;   in Loop: Header=BB302_194 Depth=1
	s_delay_alu instid0(SALU_CYCLE_1) | instskip(NEXT) | instid1(SALU_CYCLE_1)
	s_or_b32 exec_lo, exec_lo, s16
	s_mov_b32 s16, exec_lo
	v_cmpx_lt_u32_e32 0xffffff, v9
	s_cbranch_execz .LBB302_349
; %bb.342:                              ;   in Loop: Header=BB302_194 Depth=1
	v_lshrrev_b32_e32 v28, 24, v9
	v_bfrev_b32_e32 v27, 1
	s_mov_b32 s17, exec_lo
	s_delay_alu instid0(VALU_DEP_2)
	v_cmpx_ne_u32_e32 0x80, v28
	s_cbranch_execz .LBB302_348
; %bb.343:                              ;   in Loop: Header=BB302_194 Depth=1
	v_and_b32_e32 v29, 0x7f, v28
	v_mov_b32_e32 v27, 0x7fc02000
	s_mov_b32 s18, exec_lo
	s_delay_alu instid0(VALU_DEP_2)
	v_cmpx_ne_u32_e32 0x7f, v29
	s_cbranch_execz .LBB302_347
; %bb.344:                              ;   in Loop: Header=BB302_194 Depth=1
	v_and_b32_e32 v5, 7, v28
	v_lshrrev_b32_e32 v27, 3, v29
	s_mov_b32 s19, exec_lo
	v_cmpx_gt_u32_e32 8, v29
; %bb.345:                              ;   in Loop: Header=BB302_194 Depth=1
	s_delay_alu instid0(VALU_DEP_3) | instskip(NEXT) | instid1(VALU_DEP_1)
	v_clz_i32_u32_e32 v27, v5
	v_min_u32_e32 v27, 32, v27
	s_delay_alu instid0(VALU_DEP_1) | instskip(SKIP_1) | instid1(VALU_DEP_2)
	v_subrev_nc_u32_e32 v29, 28, v27
	v_sub_nc_u32_e32 v27, 29, v27
	v_lshlrev_b64 v[29:30], v29, v[5:6]
	s_delay_alu instid0(VALU_DEP_1)
	v_and_b32_e32 v5, 7, v29
; %bb.346:                              ;   in Loop: Header=BB302_194 Depth=1
	s_or_b32 exec_lo, exec_lo, s19
	v_lshlrev_b32_e32 v28, 8, v28
	v_lshl_add_u32 v27, v27, 10, 0x2000
	s_delay_alu instid0(VALU_DEP_1) | instskip(NEXT) | instid1(VALU_DEP_1)
	v_and_or_b32 v27, 0x8000, v28, v27
	v_lshl_or_b32 v5, v5, 7, v27
	s_delay_alu instid0(VALU_DEP_1)
	v_cvt_f32_f16_e32 v27, v5
.LBB302_347:                            ;   in Loop: Header=BB302_194 Depth=1
	s_or_b32 exec_lo, exec_lo, s18
.LBB302_348:                            ;   in Loop: Header=BB302_194 Depth=1
	s_delay_alu instid0(SALU_CYCLE_1)
	s_or_b32 exec_lo, exec_lo, s17
.LBB302_349:                            ;   in Loop: Header=BB302_194 Depth=1
	s_delay_alu instid0(SALU_CYCLE_1) | instskip(SKIP_3) | instid1(VALU_DEP_2)
	s_or_b32 exec_lo, exec_lo, s16
	v_dual_mov_b32 v5, v10 :: v_dual_and_b32 v30, 0xff, v10
	v_dual_mov_b32 v29, 0 :: v_dual_mov_b32 v28, 0
	s_mov_b32 s16, exec_lo
	v_cmpx_ne_u16_e32 0, v30
	s_cbranch_execz .LBB302_355
; %bb.350:                              ;   in Loop: Header=BB302_194 Depth=1
	v_bfrev_b32_e32 v28, 1
	s_mov_b32 s17, exec_lo
	v_cmpx_ne_u16_e32 0x80, v30
	s_cbranch_execz .LBB302_354
; %bb.351:                              ;   in Loop: Header=BB302_194 Depth=1
	v_and_b32_e32 v30, 0x7f, v10
	v_mov_b32_e32 v28, 0x7fc02000
	s_mov_b32 s18, exec_lo
	s_delay_alu instid0(VALU_DEP_2)
	v_cmpx_ne_u32_e32 0x7f, v30
	s_cbranch_execz .LBB302_353
; %bb.352:                              ;   in Loop: Header=BB302_194 Depth=1
	v_and_b32_e32 v28, 7, v10
	v_cmp_gt_u32_e64 s1, 8, v30
	v_lshrrev_b32_e32 v31, 3, v30
	s_delay_alu instid0(VALU_DEP_3) | instskip(NEXT) | instid1(VALU_DEP_1)
	v_clz_i32_u32_e32 v28, v28
	v_min_u32_e32 v28, 32, v28
	s_delay_alu instid0(VALU_DEP_1) | instskip(SKIP_1) | instid1(VALU_DEP_2)
	v_subrev_nc_u32_e32 v32, 28, v28
	v_sub_nc_u32_e32 v28, 29, v28
	v_cndmask_b32_e64 v30, 0, v32, s1
	s_delay_alu instid0(VALU_DEP_2) | instskip(NEXT) | instid1(VALU_DEP_2)
	v_cndmask_b32_e64 v28, v31, v28, s1
	v_lshlrev_b64 v[30:31], v30, v[5:6]
	v_lshlrev_b32_e32 v31, 8, v10
	s_delay_alu instid0(VALU_DEP_3) | instskip(NEXT) | instid1(VALU_DEP_3)
	v_lshl_add_u32 v28, v28, 10, 0x2000
	v_lshlrev_b32_e32 v30, 7, v30
	s_delay_alu instid0(VALU_DEP_2) | instskip(NEXT) | instid1(VALU_DEP_1)
	v_and_or_b32 v28, 0x8000, v31, v28
	v_and_or_b32 v28, 0x380, v30, v28
	s_delay_alu instid0(VALU_DEP_1)
	v_cvt_f32_f16_e32 v28, v28
.LBB302_353:                            ;   in Loop: Header=BB302_194 Depth=1
	s_or_b32 exec_lo, exec_lo, s18
.LBB302_354:                            ;   in Loop: Header=BB302_194 Depth=1
	s_delay_alu instid0(SALU_CYCLE_1)
	s_or_b32 exec_lo, exec_lo, s17
.LBB302_355:                            ;   in Loop: Header=BB302_194 Depth=1
	s_delay_alu instid0(SALU_CYCLE_1) | instskip(SKIP_2) | instid1(VALU_DEP_1)
	s_or_b32 exec_lo, exec_lo, s16
	v_lshrrev_b16 v5, 8, v5
	s_mov_b32 s16, exec_lo
	v_cmpx_ne_u16_e32 0, v5
	s_cbranch_execz .LBB302_363
; %bb.356:                              ;   in Loop: Header=BB302_194 Depth=1
	v_bfrev_b32_e32 v29, 1
	s_mov_b32 s17, exec_lo
	v_cmpx_ne_u16_e32 0x80, v5
	s_cbranch_execz .LBB302_362
; %bb.357:                              ;   in Loop: Header=BB302_194 Depth=1
	v_and_b32_e32 v30, 0xffff, v5
	v_mov_b32_e32 v29, 0x7fc02000
	s_mov_b32 s18, exec_lo
	s_delay_alu instid0(VALU_DEP_2) | instskip(NEXT) | instid1(VALU_DEP_1)
	v_and_b32_e32 v31, 0x7f, v30
	v_cmpx_ne_u32_e32 0x7f, v31
	s_cbranch_execz .LBB302_361
; %bb.358:                              ;   in Loop: Header=BB302_194 Depth=1
	v_and_b32_e32 v5, 7, v30
	v_lshrrev_b32_e32 v29, 3, v31
	s_mov_b32 s19, exec_lo
	v_cmpx_gt_u32_e32 8, v31
; %bb.359:                              ;   in Loop: Header=BB302_194 Depth=1
	s_delay_alu instid0(VALU_DEP_3) | instskip(NEXT) | instid1(VALU_DEP_1)
	v_clz_i32_u32_e32 v29, v5
	v_min_u32_e32 v29, 32, v29
	s_delay_alu instid0(VALU_DEP_1) | instskip(SKIP_1) | instid1(VALU_DEP_2)
	v_subrev_nc_u32_e32 v31, 28, v29
	v_sub_nc_u32_e32 v29, 29, v29
	v_lshlrev_b64 v[31:32], v31, v[5:6]
	s_delay_alu instid0(VALU_DEP_1)
	v_and_b32_e32 v5, 7, v31
; %bb.360:                              ;   in Loop: Header=BB302_194 Depth=1
	s_or_b32 exec_lo, exec_lo, s19
	v_lshlrev_b32_e32 v30, 8, v30
	v_lshl_add_u32 v29, v29, 10, 0x2000
	s_delay_alu instid0(VALU_DEP_1) | instskip(NEXT) | instid1(VALU_DEP_1)
	v_and_or_b32 v29, 0x8000, v30, v29
	v_lshl_or_b32 v5, v5, 7, v29
	s_delay_alu instid0(VALU_DEP_1)
	v_cvt_f32_f16_e32 v29, v5
.LBB302_361:                            ;   in Loop: Header=BB302_194 Depth=1
	s_or_b32 exec_lo, exec_lo, s18
.LBB302_362:                            ;   in Loop: Header=BB302_194 Depth=1
	s_delay_alu instid0(SALU_CYCLE_1)
	s_or_b32 exec_lo, exec_lo, s17
.LBB302_363:                            ;   in Loop: Header=BB302_194 Depth=1
	s_delay_alu instid0(SALU_CYCLE_1) | instskip(SKIP_3) | instid1(VALU_DEP_2)
	s_or_b32 exec_lo, exec_lo, s16
	v_lshrrev_b32_e32 v32, 16, v10
	v_mov_b32_e32 v31, 0
	s_mov_b32 s16, exec_lo
	v_dual_mov_b32 v30, 0 :: v_dual_and_b32 v5, 0xff, v32
	s_delay_alu instid0(VALU_DEP_1)
	v_cmpx_ne_u16_e32 0, v5
	s_cbranch_execz .LBB302_371
; %bb.364:                              ;   in Loop: Header=BB302_194 Depth=1
	v_bfrev_b32_e32 v30, 1
	s_mov_b32 s17, exec_lo
	v_cmpx_ne_u16_e32 0x80, v5
	s_cbranch_execz .LBB302_370
; %bb.365:                              ;   in Loop: Header=BB302_194 Depth=1
	v_bfe_u32 v33, v10, 16, 7
	v_mov_b32_e32 v30, 0x7fc02000
	s_mov_b32 s18, exec_lo
	s_delay_alu instid0(VALU_DEP_2)
	v_cmpx_ne_u32_e32 0x7f, v33
	s_cbranch_execz .LBB302_369
; %bb.366:                              ;   in Loop: Header=BB302_194 Depth=1
	v_and_b32_e32 v5, 7, v32
	v_lshrrev_b32_e32 v30, 3, v33
	s_mov_b32 s19, exec_lo
	v_cmpx_gt_u32_e32 8, v33
; %bb.367:                              ;   in Loop: Header=BB302_194 Depth=1
	s_delay_alu instid0(VALU_DEP_3) | instskip(NEXT) | instid1(VALU_DEP_1)
	v_clz_i32_u32_e32 v30, v5
	v_min_u32_e32 v30, 32, v30
	s_delay_alu instid0(VALU_DEP_1) | instskip(SKIP_1) | instid1(VALU_DEP_2)
	v_subrev_nc_u32_e32 v33, 28, v30
	v_sub_nc_u32_e32 v30, 29, v30
	v_lshlrev_b64 v[33:34], v33, v[5:6]
	s_delay_alu instid0(VALU_DEP_1)
	v_and_b32_e32 v5, 7, v33
; %bb.368:                              ;   in Loop: Header=BB302_194 Depth=1
	s_or_b32 exec_lo, exec_lo, s19
	v_lshlrev_b32_e32 v32, 8, v32
	v_lshl_add_u32 v30, v30, 10, 0x2000
	s_delay_alu instid0(VALU_DEP_1) | instskip(NEXT) | instid1(VALU_DEP_1)
	v_and_or_b32 v30, 0x8000, v32, v30
	v_lshl_or_b32 v5, v5, 7, v30
	s_delay_alu instid0(VALU_DEP_1)
	v_cvt_f32_f16_e32 v30, v5
.LBB302_369:                            ;   in Loop: Header=BB302_194 Depth=1
	s_or_b32 exec_lo, exec_lo, s18
.LBB302_370:                            ;   in Loop: Header=BB302_194 Depth=1
	s_delay_alu instid0(SALU_CYCLE_1)
	s_or_b32 exec_lo, exec_lo, s17
.LBB302_371:                            ;   in Loop: Header=BB302_194 Depth=1
	s_delay_alu instid0(SALU_CYCLE_1) | instskip(NEXT) | instid1(SALU_CYCLE_1)
	s_or_b32 exec_lo, exec_lo, s16
	s_mov_b32 s16, exec_lo
	v_cmpx_lt_u64_e64 s[10:11], v[9:10]
	s_cbranch_execz .LBB302_379
; %bb.372:                              ;   in Loop: Header=BB302_194 Depth=1
	v_lshrrev_b32_e32 v9, 24, v10
	v_bfrev_b32_e32 v31, 1
	s_mov_b32 s17, exec_lo
	s_delay_alu instid0(VALU_DEP_2)
	v_cmpx_ne_u32_e32 0x80, v9
	s_cbranch_execz .LBB302_378
; %bb.373:                              ;   in Loop: Header=BB302_194 Depth=1
	v_and_b32_e32 v32, 0x7f, v9
	v_mov_b32_e32 v31, 0x7fc02000
	s_mov_b32 s18, exec_lo
	s_delay_alu instid0(VALU_DEP_2)
	v_cmpx_ne_u32_e32 0x7f, v32
	s_cbranch_execz .LBB302_377
; %bb.374:                              ;   in Loop: Header=BB302_194 Depth=1
	v_and_b32_e32 v5, 7, v9
	v_lshrrev_b32_e32 v10, 3, v32
	s_mov_b32 s19, exec_lo
	v_cmpx_gt_u32_e32 8, v32
; %bb.375:                              ;   in Loop: Header=BB302_194 Depth=1
	s_delay_alu instid0(VALU_DEP_3) | instskip(NEXT) | instid1(VALU_DEP_1)
	v_clz_i32_u32_e32 v10, v5
	v_min_u32_e32 v10, 32, v10
	s_delay_alu instid0(VALU_DEP_1) | instskip(SKIP_1) | instid1(VALU_DEP_2)
	v_subrev_nc_u32_e32 v31, 28, v10
	v_sub_nc_u32_e32 v10, 29, v10
	v_lshlrev_b64 v[31:32], v31, v[5:6]
	s_delay_alu instid0(VALU_DEP_1)
	v_and_b32_e32 v5, 7, v31
; %bb.376:                              ;   in Loop: Header=BB302_194 Depth=1
	s_or_b32 exec_lo, exec_lo, s19
	v_lshlrev_b32_e32 v9, 8, v9
	v_lshl_add_u32 v10, v10, 10, 0x2000
	s_delay_alu instid0(VALU_DEP_1) | instskip(NEXT) | instid1(VALU_DEP_1)
	v_and_or_b32 v9, 0x8000, v9, v10
	v_lshl_or_b32 v5, v5, 7, v9
	s_delay_alu instid0(VALU_DEP_1)
	v_cvt_f32_f16_e32 v31, v5
.LBB302_377:                            ;   in Loop: Header=BB302_194 Depth=1
	s_or_b32 exec_lo, exec_lo, s18
.LBB302_378:                            ;   in Loop: Header=BB302_194 Depth=1
	s_delay_alu instid0(SALU_CYCLE_1)
	s_or_b32 exec_lo, exec_lo, s17
.LBB302_379:                            ;   in Loop: Header=BB302_194 Depth=1
	s_delay_alu instid0(SALU_CYCLE_1)
	s_or_b32 exec_lo, exec_lo, s16
	s_waitcnt vmcnt(0)
	v_fma_mixlo_f16 v10, v11, v25, 0
	v_fma_mixlo_f16 v5, v11, v27, 0
	;; [unrolled: 1-line block ×5, first 2 shown]
	v_lshlrev_b32_e32 v25, 16, v10
	v_fma_mixlo_f16 v27, v11, v28, 0
	v_fma_mixlo_f16 v28, v11, v31, 0
	;; [unrolled: 1-line block ×3, first 2 shown]
	v_lshlrev_b32_e32 v5, 16, v5
	v_and_b32_e32 v9, 0xffff, v9
	v_and_b32_e32 v12, 0xffff, v12
	v_lshlrev_b32_e32 v26, 16, v26
	v_and_b32_e32 v27, 0xffff, v27
	v_lshlrev_b32_e32 v28, 16, v28
	v_and_b32_e32 v29, 0xffff, v10
	v_or_b32_e32 v11, v5, v9
	v_or_b32_e32 v12, v25, v12
	;; [unrolled: 1-line block ×3, first 2 shown]
	s_delay_alu instid0(VALU_DEP_4)
	v_or_b32_e32 v9, v28, v29
	s_and_saveexec_b32 s1, s0
	s_cbranch_execz .LBB302_192
; %bb.380:                              ;   in Loop: Header=BB302_194 Depth=1
	v_add_nc_u32_e32 v25, 1, v21
	v_lshrrev_b32_e32 v26, 16, v12
	v_or_b32_e32 v27, 3, v21
	v_lshrrev_b32_e32 v28, 16, v11
	v_lshrrev_b32_e32 v29, 16, v5
	v_cmp_gt_i32_e64 s0, s13, v25
	v_lshrrev_b32_e32 v9, 16, v9
	v_or_b32_e32 v30, 6, v21
	s_delay_alu instid0(VALU_DEP_3) | instskip(SKIP_2) | instid1(VALU_DEP_2)
	v_cndmask_b32_e64 v25, 0, v26, s0
	v_cmp_gt_i32_e64 s0, s15, v21
	v_or_b32_e32 v26, 2, v21
	v_cndmask_b32_e64 v12, 0, v12, s0
	v_cmp_gt_i32_e64 s0, s13, v27
	s_delay_alu instid0(VALU_DEP_2) | instskip(NEXT) | instid1(VALU_DEP_2)
	v_perm_b32 v12, v25, v12, 0x5040100
	v_cndmask_b32_e64 v27, 0, v28, s0
	v_or_b32_e32 v28, 5, v21
	v_cmp_gt_i32_e64 s0, s15, v26
	v_or_b32_e32 v26, 4, v21
	s_delay_alu instid0(VALU_DEP_2) | instskip(NEXT) | instid1(VALU_DEP_4)
	v_cndmask_b32_e64 v11, 0, v11, s0
	v_cmp_gt_i32_e64 s0, s13, v28
	s_delay_alu instid0(VALU_DEP_2) | instskip(NEXT) | instid1(VALU_DEP_2)
	v_perm_b32 v11, v27, v11, 0x5040100
	v_cndmask_b32_e64 v28, 0, v29, s0
	v_or_b32_e32 v29, 7, v21
	v_cmp_gt_i32_e64 s0, s15, v26
	s_delay_alu instid0(VALU_DEP_1) | instskip(NEXT) | instid1(VALU_DEP_3)
	v_cndmask_b32_e64 v5, 0, v5, s0
	v_cmp_gt_i32_e64 s0, s13, v29
	s_delay_alu instid0(VALU_DEP_2) | instskip(NEXT) | instid1(VALU_DEP_2)
	v_perm_b32 v5, v28, v5, 0x5040100
	v_cndmask_b32_e64 v9, 0, v9, s0
	v_cmp_gt_i32_e64 s0, s15, v30
	s_delay_alu instid0(VALU_DEP_1) | instskip(NEXT) | instid1(VALU_DEP_1)
	v_cndmask_b32_e64 v10, 0, v10, s0
	v_perm_b32 v9, v9, v10, 0x5040100
	s_branch .LBB302_192
.LBB302_381:
	s_or_b32 exec_lo, exec_lo, s12
.LBB302_382:
	s_delay_alu instid0(SALU_CYCLE_1)
	s_or_b32 exec_lo, exec_lo, s5
	s_movk_i32 s0, 0x140
	v_and_b32_e32 v5, 0x3c0, v0
	v_mad_u32_u24 v4, v15, s0, 0xc0
	s_mov_b32 s0, exec_lo
	s_waitcnt_vscnt null, 0x0
	s_barrier
	buffer_gl0_inv
	v_cmpx_eq_u32_e32 64, v5
	s_cbranch_execz .LBB302_385
; %bb.383:
	v_add3_u32 v5, v4, v17, 0xfffffd80
	v_cmp_gt_u32_e32 vcc_lo, 0x50, v18
	ds_store_2addr_b32 v5, v1, v2 offset1:32
	s_and_b32 exec_lo, exec_lo, vcc_lo
	s_cbranch_execz .LBB302_385
; %bb.384:
	ds_store_b32 v5, v3 offset:256
.LBB302_385:
	s_or_b32 exec_lo, exec_lo, s0
	v_lshl_add_u32 v5, v16, 2, v4
	s_mov_b32 s0, exec_lo
	s_waitcnt lgkmcnt(0)
	s_barrier
	buffer_gl0_inv
	v_cmpx_gt_u32_e32 64, v0
	s_cbranch_execz .LBB302_389
; %bb.386:
	v_lshl_or_b32 v6, v0, 2, 0x80
	s_mov_b32 s1, exec_lo
	s_delay_alu instid0(VALU_DEP_1)
	v_add_nc_u32_e32 v6, v4, v6
	ds_load_b32 v7, v5
	ds_load_b32 v6, v6
	s_waitcnt lgkmcnt(0)
	v_dual_add_f32 v1, v1, v7 :: v_dual_add_f32 v2, v2, v6
	v_cmpx_gt_u32_e32 0x50, v18
	s_cbranch_execz .LBB302_388
; %bb.387:
	ds_load_b32 v6, v5 offset:256
	s_waitcnt lgkmcnt(0)
	v_add_f32_e32 v3, v3, v6
.LBB302_388:
	s_or_b32 exec_lo, exec_lo, s1
.LBB302_389:
	s_delay_alu instid0(SALU_CYCLE_1)
	s_or_b32 exec_lo, exec_lo, s0
	v_and_b32_e32 v6, 0x3e0, v0
	s_mov_b32 s0, exec_lo
	s_barrier
	buffer_gl0_inv
	v_cmpx_eq_u32_e32 32, v6
	s_cbranch_execz .LBB302_392
; %bb.390:
	v_add_nc_u32_e32 v7, 0xfffffec0, v4
	v_cmp_gt_u32_e32 vcc_lo, 0x50, v18
	s_delay_alu instid0(VALU_DEP_2)
	v_lshl_add_u32 v6, v16, 2, v7
	v_lshl_add_u32 v7, v0, 2, v7
	ds_store_b32 v6, v1
	ds_store_b32 v7, v2
	s_and_b32 exec_lo, exec_lo, vcc_lo
	s_cbranch_execz .LBB302_392
; %bb.391:
	ds_store_b32 v6, v3 offset:256
.LBB302_392:
	s_or_b32 exec_lo, exec_lo, s0
	v_cmp_gt_u32_e32 vcc_lo, 32, v0
	v_or_b32_e32 v6, 64, v0
	s_waitcnt lgkmcnt(0)
	s_barrier
	buffer_gl0_inv
	s_and_saveexec_b32 s1, vcc_lo
	s_cbranch_execz .LBB302_396
; %bb.393:
	v_lshl_add_u32 v4, v0, 2, v4
	s_mov_b32 s2, exec_lo
	ds_load_b32 v5, v5
	ds_load_b32 v7, v4 offset:128
	s_waitcnt lgkmcnt(0)
	v_dual_add_f32 v1, v1, v5 :: v_dual_add_f32 v2, v2, v7
	v_cmpx_gt_u32_e32 0x50, v6
	s_cbranch_execz .LBB302_395
; %bb.394:
	ds_load_b32 v4, v4 offset:256
	s_waitcnt lgkmcnt(0)
	v_add_f32_e32 v3, v3, v4
.LBB302_395:
	s_or_b32 exec_lo, exec_lo, s2
.LBB302_396:
	s_delay_alu instid0(SALU_CYCLE_1)
	s_or_b32 exec_lo, exec_lo, s1
	s_barrier
	buffer_gl0_inv
	s_and_saveexec_b32 s0, vcc_lo
	s_cbranch_execz .LBB302_399
; %bb.397:
	s_mul_i32 s0, s4, 0x50
	s_mul_i32 s2, s8, s22
	s_ashr_i32 s1, s0, 31
	v_lshlrev_b32_e32 v0, 1, v0
	s_lshl_b64 s[0:1], s[0:1], 1
	v_cmp_gt_u32_e32 vcc_lo, 0x50, v6
	s_add_u32 s4, s24, s0
	s_addc_u32 s5, s25, s1
	s_ashr_i32 s3, s2, 31
	;;#ASMSTART
	v_cvt_f16_f32 v1, v1;

	;;#ASMEND
	s_lshl_b64 s[0:1], s[2:3], 1
	s_mul_i32 s2, s20, 0x50
	s_add_u32 s4, s4, s0
	s_addc_u32 s5, s5, s1
	s_ashr_i32 s3, s2, 31
	s_delay_alu instid0(SALU_CYCLE_1) | instskip(NEXT) | instid1(SALU_CYCLE_1)
	s_lshl_b64 s[0:1], s[2:3], 1
	s_add_u32 s0, s4, s0
	s_addc_u32 s1, s5, s1
	global_store_b16 v0, v1, s[0:1]
	;;#ASMSTART
	v_cvt_f16_f32 v1, v2;

	;;#ASMEND
	global_store_b16 v0, v1, s[0:1] offset:64
	s_and_b32 exec_lo, exec_lo, vcc_lo
	s_cbranch_execz .LBB302_399
; %bb.398:
	v_add_co_u32 v0, s0, s0, v0
	s_delay_alu instid0(VALU_DEP_1)
	v_add_co_ci_u32_e64 v1, null, s1, 0, s0
	;;#ASMSTART
	v_cvt_f16_f32 v2, v3;

	;;#ASMEND
	global_store_b16 v[0:1], v2, off offset:128
.LBB302_399:
	s_nop 0
	s_sendmsg sendmsg(MSG_DEALLOC_VGPRS)
	s_endpgm
	.section	.rodata,"a",@progbits
	.p2align	6, 0x0
	.amdhsa_kernel _ZN4vllm25paged_attention_v2_kernelIthLi80ELi8ELi128ELNS_18Fp8KVCacheDataTypeE1ELb0ELi512EEEvPfS2_PT_PKS3_PKT0_S9_ifPKiSB_iPKfiiiSD_SD_iiiii
		.amdhsa_group_segment_fixed_size 192
		.amdhsa_private_segment_fixed_size 0
		.amdhsa_kernarg_size 400
		.amdhsa_user_sgpr_count 13
		.amdhsa_user_sgpr_dispatch_ptr 0
		.amdhsa_user_sgpr_queue_ptr 0
		.amdhsa_user_sgpr_kernarg_segment_ptr 1
		.amdhsa_user_sgpr_dispatch_id 0
		.amdhsa_user_sgpr_private_segment_size 0
		.amdhsa_wavefront_size32 1
		.amdhsa_uses_dynamic_stack 0
		.amdhsa_enable_private_segment 0
		.amdhsa_system_sgpr_workgroup_id_x 1
		.amdhsa_system_sgpr_workgroup_id_y 1
		.amdhsa_system_sgpr_workgroup_id_z 1
		.amdhsa_system_sgpr_workgroup_info 0
		.amdhsa_system_vgpr_workitem_id 0
		.amdhsa_next_free_vgpr 55
		.amdhsa_next_free_sgpr 43
		.amdhsa_reserve_vcc 1
		.amdhsa_float_round_mode_32 0
		.amdhsa_float_round_mode_16_64 0
		.amdhsa_float_denorm_mode_32 3
		.amdhsa_float_denorm_mode_16_64 3
		.amdhsa_dx10_clamp 1
		.amdhsa_ieee_mode 1
		.amdhsa_fp16_overflow 0
		.amdhsa_workgroup_processor_mode 1
		.amdhsa_memory_ordered 1
		.amdhsa_forward_progress 0
		.amdhsa_shared_vgpr_count 0
		.amdhsa_exception_fp_ieee_invalid_op 0
		.amdhsa_exception_fp_denorm_src 0
		.amdhsa_exception_fp_ieee_div_zero 0
		.amdhsa_exception_fp_ieee_overflow 0
		.amdhsa_exception_fp_ieee_underflow 0
		.amdhsa_exception_fp_ieee_inexact 0
		.amdhsa_exception_int_div_zero 0
	.end_amdhsa_kernel
	.section	.text._ZN4vllm25paged_attention_v2_kernelIthLi80ELi8ELi128ELNS_18Fp8KVCacheDataTypeE1ELb0ELi512EEEvPfS2_PT_PKS3_PKT0_S9_ifPKiSB_iPKfiiiSD_SD_iiiii,"axG",@progbits,_ZN4vllm25paged_attention_v2_kernelIthLi80ELi8ELi128ELNS_18Fp8KVCacheDataTypeE1ELb0ELi512EEEvPfS2_PT_PKS3_PKT0_S9_ifPKiSB_iPKfiiiSD_SD_iiiii,comdat
.Lfunc_end302:
	.size	_ZN4vllm25paged_attention_v2_kernelIthLi80ELi8ELi128ELNS_18Fp8KVCacheDataTypeE1ELb0ELi512EEEvPfS2_PT_PKS3_PKT0_S9_ifPKiSB_iPKfiiiSD_SD_iiiii, .Lfunc_end302-_ZN4vllm25paged_attention_v2_kernelIthLi80ELi8ELi128ELNS_18Fp8KVCacheDataTypeE1ELb0ELi512EEEvPfS2_PT_PKS3_PKT0_S9_ifPKiSB_iPKfiiiSD_SD_iiiii
                                        ; -- End function
	.section	.AMDGPU.csdata,"",@progbits
; Kernel info:
; codeLenInByte = 16728
; NumSgprs: 45
; NumVgprs: 55
; ScratchSize: 0
; MemoryBound: 0
; FloatMode: 240
; IeeeMode: 1
; LDSByteSize: 192 bytes/workgroup (compile time only)
; SGPRBlocks: 5
; VGPRBlocks: 6
; NumSGPRsForWavesPerEU: 45
; NumVGPRsForWavesPerEU: 55
; Occupancy: 16
; WaveLimiterHint : 1
; COMPUTE_PGM_RSRC2:SCRATCH_EN: 0
; COMPUTE_PGM_RSRC2:USER_SGPR: 13
; COMPUTE_PGM_RSRC2:TRAP_HANDLER: 0
; COMPUTE_PGM_RSRC2:TGID_X_EN: 1
; COMPUTE_PGM_RSRC2:TGID_Y_EN: 1
; COMPUTE_PGM_RSRC2:TGID_Z_EN: 1
; COMPUTE_PGM_RSRC2:TIDIG_COMP_CNT: 0
	.section	.text._ZN4vllm25paged_attention_v2_kernelIthLi96ELi8ELi128ELNS_18Fp8KVCacheDataTypeE1ELb0ELi512EEEvPfS2_PT_PKS3_PKT0_S9_ifPKiSB_iPKfiiiSD_SD_iiiii,"axG",@progbits,_ZN4vllm25paged_attention_v2_kernelIthLi96ELi8ELi128ELNS_18Fp8KVCacheDataTypeE1ELb0ELi512EEEvPfS2_PT_PKS3_PKT0_S9_ifPKiSB_iPKfiiiSD_SD_iiiii,comdat
	.protected	_ZN4vllm25paged_attention_v2_kernelIthLi96ELi8ELi128ELNS_18Fp8KVCacheDataTypeE1ELb0ELi512EEEvPfS2_PT_PKS3_PKT0_S9_ifPKiSB_iPKfiiiSD_SD_iiiii ; -- Begin function _ZN4vllm25paged_attention_v2_kernelIthLi96ELi8ELi128ELNS_18Fp8KVCacheDataTypeE1ELb0ELi512EEEvPfS2_PT_PKS3_PKT0_S9_ifPKiSB_iPKfiiiSD_SD_iiiii
	.globl	_ZN4vllm25paged_attention_v2_kernelIthLi96ELi8ELi128ELNS_18Fp8KVCacheDataTypeE1ELb0ELi512EEEvPfS2_PT_PKS3_PKT0_S9_ifPKiSB_iPKfiiiSD_SD_iiiii
	.p2align	8
	.type	_ZN4vllm25paged_attention_v2_kernelIthLi96ELi8ELi128ELNS_18Fp8KVCacheDataTypeE1ELb0ELi512EEEvPfS2_PT_PKS3_PKT0_S9_ifPKiSB_iPKfiiiSD_SD_iiiii,@function
_ZN4vllm25paged_attention_v2_kernelIthLi96ELi8ELi128ELNS_18Fp8KVCacheDataTypeE1ELb0ELi512EEEvPfS2_PT_PKS3_PKT0_S9_ifPKiSB_iPKfiiiSD_SD_iiiii: ; @_ZN4vllm25paged_attention_v2_kernelIthLi96ELi8ELi128ELNS_18Fp8KVCacheDataTypeE1ELb0ELi512EEEvPfS2_PT_PKS3_PKT0_S9_ifPKiSB_iPKfiiiSD_SD_iiiii
; %bb.0:
	s_load_b64 s[2:3], s[0:1], 0x40
	s_mov_b32 s12, s15
	s_ashr_i32 s15, s14, 31
	s_delay_alu instid0(SALU_CYCLE_1)
	s_lshl_b64 s[4:5], s[14:15], 2
	s_waitcnt lgkmcnt(0)
	s_add_u32 s2, s2, s4
	s_addc_u32 s3, s3, s5
	s_lshl_b32 s33, s12, 9
	s_load_b32 s15, s[2:3], 0x0
	s_waitcnt lgkmcnt(0)
	s_cmp_ge_i32 s33, s15
	s_cbranch_scc1 .LBB303_422
; %bb.1:
	s_mov_b32 s24, s13
	s_clause 0x1
	s_load_b32 s13, s[0:1], 0x90
	s_load_b64 s[34:35], s[0:1], 0x30
	s_waitcnt lgkmcnt(0)
	s_abs_i32 s5, s13
	s_abs_i32 s2, s34
	s_delay_alu instid0(SALU_CYCLE_1) | instskip(SKIP_1) | instid1(VALU_DEP_1)
	v_cvt_f32_u32_e32 v1, s2
	s_sub_i32 s4, 0, s2
	v_rcp_iflag_f32_e32 v1, v1
	s_waitcnt_depctr 0xfff
	v_mul_f32_e32 v1, 0x4f7ffffe, v1
	s_delay_alu instid0(VALU_DEP_1) | instskip(NEXT) | instid1(VALU_DEP_1)
	v_cvt_u32_f32_e32 v1, v1
	v_readfirstlane_b32 s3, v1
	s_delay_alu instid0(VALU_DEP_1) | instskip(NEXT) | instid1(SALU_CYCLE_1)
	s_mul_i32 s4, s4, s3
	s_mul_hi_u32 s4, s3, s4
	s_delay_alu instid0(SALU_CYCLE_1)
	s_add_i32 s3, s3, s4
	s_xor_b32 s4, s13, s34
	s_mul_hi_u32 s3, s5, s3
	s_ashr_i32 s4, s4, 31
	s_mul_i32 s6, s3, s2
	s_mov_b32 s34, 0
	s_sub_i32 s5, s5, s6
	s_add_i32 s6, s3, 1
	s_sub_i32 s7, s5, s2
	s_cmp_ge_u32 s5, s2
	s_cselect_b32 s3, s6, s3
	s_cselect_b32 s5, s7, s5
	s_add_i32 s6, s3, 1
	s_cmp_ge_u32 s5, s2
	s_cselect_b32 s2, s6, s3
	s_delay_alu instid0(SALU_CYCLE_1) | instskip(NEXT) | instid1(SALU_CYCLE_1)
	s_xor_b32 s2, s2, s4
	s_sub_i32 s7, s2, s4
	s_load_b64 s[2:3], s[0:1], 0x50
	s_abs_i32 s4, s7
	s_delay_alu instid0(SALU_CYCLE_1) | instskip(SKIP_1) | instid1(VALU_DEP_1)
	v_cvt_f32_u32_e32 v1, s4
	s_sub_i32 s6, 0, s4
	v_rcp_iflag_f32_e32 v1, v1
	s_waitcnt_depctr 0xfff
	v_mul_f32_e32 v1, 0x4f7ffffe, v1
	s_delay_alu instid0(VALU_DEP_1) | instskip(NEXT) | instid1(VALU_DEP_1)
	v_cvt_u32_f32_e32 v1, v1
	v_readfirstlane_b32 s5, v1
	s_delay_alu instid0(VALU_DEP_1) | instskip(NEXT) | instid1(SALU_CYCLE_1)
	s_mul_i32 s6, s6, s5
	s_mul_hi_u32 s8, s5, s6
	s_abs_i32 s6, s24
	s_add_i32 s5, s5, s8
	s_waitcnt lgkmcnt(0)
	s_cmp_eq_u64 s[2:3], 0
	s_mul_hi_u32 s5, s6, s5
	s_cbranch_scc1 .LBB303_3
; %bb.2:
	s_ashr_i32 s25, s24, 31
	s_delay_alu instid0(SALU_CYCLE_1) | instskip(NEXT) | instid1(SALU_CYCLE_1)
	s_lshl_b64 s[8:9], s[24:25], 2
	s_add_u32 s2, s2, s8
	s_addc_u32 s3, s3, s9
	s_load_b32 s34, s[2:3], 0x0
.LBB303_3:
	s_load_b128 s[8:11], s[0:1], 0x58
	v_and_b32_e32 v3, 3, v0
	s_ashr_i32 s2, s24, 31
	s_ashr_i32 s3, s7, 31
	s_mul_i32 s20, s24, 0x60
	s_mov_b32 s7, exec_lo
	v_cmpx_gt_u32_e32 48, v0
	s_cbranch_execz .LBB303_5
; %bb.4:
	s_load_b64 s[16:17], s[0:1], 0x18
	s_waitcnt lgkmcnt(0)
	s_mul_i32 s18, s14, s8
	v_lshlrev_b32_e32 v1, 2, v0
	s_ashr_i32 s19, s18, 31
	v_and_b32_e32 v2, 0x3fc, v0
	s_lshl_b64 s[18:19], s[18:19], 1
	s_delay_alu instid0(VALU_DEP_1) | instskip(SKIP_3) | instid1(SALU_CYCLE_1)
	v_mad_u32_u24 v2, v3, 48, v2
	s_add_u32 s8, s16, s18
	s_addc_u32 s11, s17, s19
	s_ashr_i32 s21, s20, 31
	s_lshl_b64 s[16:17], s[20:21], 1
	s_delay_alu instid0(SALU_CYCLE_1)
	s_add_u32 s16, s8, s16
	s_addc_u32 s17, s11, s17
	global_load_b32 v1, v1, s[16:17]
	s_waitcnt vmcnt(0)
	ds_store_b32 v2, v1
.LBB303_5:
	s_or_b32 exec_lo, exec_lo, s7
	s_add_i32 s7, s15, 7
	s_lshl_b32 s25, s12, 6
	s_waitcnt lgkmcnt(0)
	s_ashr_i32 s8, s7, 31
	s_xor_b32 s2, s2, s3
	s_lshr_b32 s8, s8, 29
	s_add_i32 s3, s25, 64
	s_add_i32 s7, s7, s8
	s_clause 0x1
	s_load_b64 s[26:27], s[0:1], 0x38
	s_load_b32 s8, s[0:1], 0x48
	s_ashr_i32 s21, s7, 3
	s_mul_i32 s7, s5, s4
	s_min_i32 s11, s3, s21
	s_sub_i32 s3, s6, s7
	s_add_i32 s6, s5, 1
	s_sub_i32 s7, s3, s4
	s_cmp_ge_u32 s3, s4
	v_lshrrev_b32_e32 v12, 5, v0
	s_cselect_b32 s5, s6, s5
	s_cselect_b32 s3, s7, s3
	s_add_i32 s6, s5, 1
	s_cmp_ge_u32 s3, s4
	v_or_b32_e32 v1, s25, v12
	s_cselect_b32 s3, s6, s5
	v_mbcnt_lo_u32_b32 v11, -1, 0
	s_xor_b32 s3, s3, s2
	s_mov_b32 s4, exec_lo
	s_sub_i32 s3, s3, s2
	v_cmp_gt_i32_e64 s2, s11, v1
	s_waitcnt lgkmcnt(0)
	s_mul_i32 s28, s14, s8
	s_delay_alu instid0(SALU_CYCLE_1)
	s_ashr_i32 s29, s28, 31
	s_barrier
	buffer_gl0_inv
                                        ; implicit-def: $sgpr37
                                        ; implicit-def: $vgpr15
	v_cmpx_le_i32_e64 s11, v1
	s_xor_b32 s4, exec_lo, s4
; %bb.6:
	v_mbcnt_lo_u32_b32 v11, -1, 0
	v_mov_b32_e32 v15, 32
	s_mov_b32 s37, 0xff7fffff
                                        ; implicit-def: $vgpr3
; %bb.7:
	s_or_saveexec_b32 s36, s4
	s_clause 0x4
	s_load_b128 s[16:19], s[0:1], 0x0
	s_load_b64 s[22:23], s[0:1], 0x10
	s_load_b32 s8, s[0:1], 0x98
	s_load_b64 s[30:31], s[0:1], 0x28
	s_load_b128 s[4:7], s[0:1], 0x68
	v_mov_b32_e32 v13, s37
	v_ashrrev_i32_e32 v2, 31, v1
	s_mul_i32 s10, s3, s10
	s_xor_b32 exec_lo, exec_lo, s36
	s_cbranch_execz .LBB303_205
; %bb.8:
	s_load_b64 s[38:39], s[0:1], 0x20
	v_bfe_u32 v5, v0, 2, 3
	v_mov_b32_e32 v4, 0
	v_dual_mov_b32 v15, 32 :: v_dual_lshlrev_b32 v14, 1, v3
	v_mul_u32_u24_e32 v16, 48, v3
	s_delay_alu instid0(VALU_DEP_4)
	v_dual_mov_b32 v13, 0xff7fffff :: v_dual_lshlrev_b32 v6, 2, v5
	v_cmp_eq_u32_e32 vcc_lo, 0, v3
	v_lshlrev_b32_e32 v3, 3, v12
	v_lshlrev_b32_e32 v9, 4, v5
	s_ashr_i32 s1, s10, 31
	v_lshl_or_b32 v6, v12, 5, v6
	v_lshlrev_b64 v[7:8], 2, v[1:2]
	v_add3_u32 v17, s33, v3, v5
	v_cmp_neq_f32_e64 s0, s34, 0
	s_delay_alu instid0(VALU_DEP_4)
	v_dual_mov_b32 v19, v1 :: v_dual_add_nc_u32 v18, 0xe0, v6
	s_waitcnt lgkmcnt(0)
	s_add_u32 s3, s38, s10
	s_addc_u32 s1, s39, s1
	s_lshl_b64 s[38:39], s[28:29], 2
	v_add_co_u32 v5, s3, s3, v9
	s_sub_i32 s37, 1, s15
	v_add_co_ci_u32_e64 v6, null, s1, 0, s3
	s_add_u32 s1, s26, s38
	s_addc_u32 s3, s27, s39
	v_add_co_u32 v7, s1, s1, v7
	s_delay_alu instid0(VALU_DEP_1)
	v_add_co_ci_u32_e64 v8, s1, s3, v8, s1
	s_mov_b32 s39, s9
	s_mov_b32 s38, 0
	s_branch .LBB303_10
.LBB303_9:                              ;   in Loop: Header=BB303_10 Depth=1
	s_or_b32 exec_lo, exec_lo, s3
	v_add_nc_u32_e32 v19, 4, v19
	v_add_co_u32 v7, s3, v7, 16
	v_add_nc_u32_e32 v17, 32, v17
	v_add_nc_u32_e32 v18, 0x80, v18
	s_delay_alu instid0(VALU_DEP_4) | instskip(SKIP_1) | instid1(VALU_DEP_2)
	v_cmp_le_i32_e64 s1, s11, v19
	v_add_co_ci_u32_e64 v8, s3, 0, v8, s3
	s_or_b32 s38, s1, s38
	s_delay_alu instid0(SALU_CYCLE_1)
	s_and_not1_b32 exec_lo, exec_lo, s38
	s_cbranch_execz .LBB303_204
.LBB303_10:                             ; =>This Inner Loop Header: Depth=1
	global_load_b32 v3, v[7:8], off
	s_waitcnt vmcnt(0) lgkmcnt(0)
	v_mad_i64_i32 v[9:10], null, v3, s39, v[5:6]
	s_delay_alu instid0(VALU_DEP_1) | instskip(NEXT) | instid1(VALU_DEP_1)
	v_add_co_u32 v9, s1, v9, v14
	v_add_co_ci_u32_e64 v10, s1, 0, v10, s1
	global_load_u16 v3, v[9:10], off
	global_load_b32 v20, v4, s[4:5]
	s_waitcnt vmcnt(1)
	v_and_b32_e32 v21, 0xff, v3
	v_and_b32_e32 v22, 0xffff, v3
	s_delay_alu instid0(VALU_DEP_2) | instskip(SKIP_1) | instid1(VALU_DEP_2)
	v_cmp_ne_u16_e64 s1, 0, v21
	v_mov_b32_e32 v21, 0
	s_and_saveexec_b32 s3, s1
	s_cbranch_execz .LBB303_18
; %bb.11:                               ;   in Loop: Header=BB303_10 Depth=1
	v_and_b32_e32 v3, 0xff, v22
	v_bfrev_b32_e32 v21, 1
	s_mov_b32 s40, exec_lo
	s_delay_alu instid0(VALU_DEP_2)
	v_cmpx_ne_u16_e32 0x80, v3
	s_cbranch_execz .LBB303_17
; %bb.12:                               ;   in Loop: Header=BB303_10 Depth=1
	v_and_b32_e32 v23, 0x7f, v22
	v_mov_b32_e32 v21, 0x7fc02000
	s_mov_b32 s41, exec_lo
	s_delay_alu instid0(VALU_DEP_2)
	v_cmpx_ne_u32_e32 0x7f, v23
	s_cbranch_execz .LBB303_16
; %bb.13:                               ;   in Loop: Header=BB303_10 Depth=1
	v_and_b32_e32 v3, 7, v22
	v_lshrrev_b32_e32 v21, 3, v23
	s_mov_b32 s42, exec_lo
	v_cmpx_gt_u32_e32 8, v23
; %bb.14:                               ;   in Loop: Header=BB303_10 Depth=1
	s_delay_alu instid0(VALU_DEP_3) | instskip(NEXT) | instid1(VALU_DEP_1)
	v_clz_i32_u32_e32 v21, v3
	v_min_u32_e32 v21, 32, v21
	s_delay_alu instid0(VALU_DEP_1) | instskip(SKIP_1) | instid1(VALU_DEP_2)
	v_subrev_nc_u32_e32 v23, 28, v21
	v_sub_nc_u32_e32 v21, 29, v21
	v_lshlrev_b64 v[23:24], v23, v[3:4]
	s_delay_alu instid0(VALU_DEP_1)
	v_and_b32_e32 v3, 7, v23
; %bb.15:                               ;   in Loop: Header=BB303_10 Depth=1
	s_or_b32 exec_lo, exec_lo, s42
	v_lshlrev_b32_e32 v23, 8, v22
	v_lshl_add_u32 v21, v21, 10, 0x2000
	s_delay_alu instid0(VALU_DEP_1) | instskip(NEXT) | instid1(VALU_DEP_1)
	v_and_or_b32 v21, 0x8000, v23, v21
	v_lshl_or_b32 v3, v3, 7, v21
	s_delay_alu instid0(VALU_DEP_1)
	v_cvt_f32_f16_e32 v21, v3
.LBB303_16:                             ;   in Loop: Header=BB303_10 Depth=1
	s_or_b32 exec_lo, exec_lo, s41
.LBB303_17:                             ;   in Loop: Header=BB303_10 Depth=1
	s_delay_alu instid0(SALU_CYCLE_1)
	s_or_b32 exec_lo, exec_lo, s40
.LBB303_18:                             ;   in Loop: Header=BB303_10 Depth=1
	s_delay_alu instid0(SALU_CYCLE_1) | instskip(SKIP_3) | instid1(VALU_DEP_2)
	s_or_b32 exec_lo, exec_lo, s3
	v_lshrrev_b16 v3, 8, v22
	v_dual_mov_b32 v22, 0 :: v_dual_mov_b32 v23, 0
	s_mov_b32 s3, exec_lo
	v_cmpx_ne_u16_e32 0, v3
	s_cbranch_execz .LBB303_26
; %bb.19:                               ;   in Loop: Header=BB303_10 Depth=1
	v_bfrev_b32_e32 v23, 1
	s_mov_b32 s40, exec_lo
	v_cmpx_ne_u16_e32 0x80, v3
	s_cbranch_execz .LBB303_25
; %bb.20:                               ;   in Loop: Header=BB303_10 Depth=1
	v_and_b32_e32 v24, 0xffff, v3
	v_mov_b32_e32 v23, 0x7fc02000
	s_mov_b32 s41, exec_lo
	s_delay_alu instid0(VALU_DEP_2) | instskip(NEXT) | instid1(VALU_DEP_1)
	v_and_b32_e32 v25, 0x7f, v24
	v_cmpx_ne_u32_e32 0x7f, v25
	s_cbranch_execz .LBB303_24
; %bb.21:                               ;   in Loop: Header=BB303_10 Depth=1
	v_and_b32_e32 v3, 7, v24
	v_lshrrev_b32_e32 v23, 3, v25
	s_mov_b32 s42, exec_lo
	v_cmpx_gt_u32_e32 8, v25
; %bb.22:                               ;   in Loop: Header=BB303_10 Depth=1
	s_delay_alu instid0(VALU_DEP_3) | instskip(NEXT) | instid1(VALU_DEP_1)
	v_clz_i32_u32_e32 v23, v3
	v_min_u32_e32 v23, 32, v23
	s_delay_alu instid0(VALU_DEP_1) | instskip(SKIP_1) | instid1(VALU_DEP_2)
	v_subrev_nc_u32_e32 v25, 28, v23
	v_sub_nc_u32_e32 v23, 29, v23
	v_lshlrev_b64 v[25:26], v25, v[3:4]
	s_delay_alu instid0(VALU_DEP_1)
	v_and_b32_e32 v3, 7, v25
; %bb.23:                               ;   in Loop: Header=BB303_10 Depth=1
	s_or_b32 exec_lo, exec_lo, s42
	v_lshlrev_b32_e32 v24, 8, v24
	v_lshl_add_u32 v23, v23, 10, 0x2000
	s_delay_alu instid0(VALU_DEP_1) | instskip(NEXT) | instid1(VALU_DEP_1)
	v_and_or_b32 v23, 0x8000, v24, v23
	v_lshl_or_b32 v3, v3, 7, v23
	s_delay_alu instid0(VALU_DEP_1)
	v_cvt_f32_f16_e32 v23, v3
.LBB303_24:                             ;   in Loop: Header=BB303_10 Depth=1
	s_or_b32 exec_lo, exec_lo, s41
.LBB303_25:                             ;   in Loop: Header=BB303_10 Depth=1
	s_delay_alu instid0(SALU_CYCLE_1)
	s_or_b32 exec_lo, exec_lo, s40
.LBB303_26:                             ;   in Loop: Header=BB303_10 Depth=1
	s_delay_alu instid0(SALU_CYCLE_1)
	s_or_b32 exec_lo, exec_lo, s3
	global_load_u16 v3, v[9:10], off offset:8
	s_mov_b32 s3, exec_lo
	s_waitcnt vmcnt(0)
	v_and_b32_e32 v25, 0xff, v3
	v_and_b32_e32 v24, 0xffff, v3
	s_delay_alu instid0(VALU_DEP_2)
	v_cmpx_ne_u16_e32 0, v25
	s_cbranch_execz .LBB303_34
; %bb.27:                               ;   in Loop: Header=BB303_10 Depth=1
	s_delay_alu instid0(VALU_DEP_2) | instskip(SKIP_2) | instid1(VALU_DEP_2)
	v_and_b32_e32 v3, 0xff, v24
	v_bfrev_b32_e32 v22, 1
	s_mov_b32 s40, exec_lo
	v_cmpx_ne_u16_e32 0x80, v3
	s_cbranch_execz .LBB303_33
; %bb.28:                               ;   in Loop: Header=BB303_10 Depth=1
	v_and_b32_e32 v25, 0x7f, v24
	v_mov_b32_e32 v22, 0x7fc02000
	s_mov_b32 s41, exec_lo
	s_delay_alu instid0(VALU_DEP_2)
	v_cmpx_ne_u32_e32 0x7f, v25
	s_cbranch_execz .LBB303_32
; %bb.29:                               ;   in Loop: Header=BB303_10 Depth=1
	v_and_b32_e32 v3, 7, v24
	v_lshrrev_b32_e32 v22, 3, v25
	s_mov_b32 s42, exec_lo
	v_cmpx_gt_u32_e32 8, v25
; %bb.30:                               ;   in Loop: Header=BB303_10 Depth=1
	s_delay_alu instid0(VALU_DEP_3) | instskip(NEXT) | instid1(VALU_DEP_1)
	v_clz_i32_u32_e32 v22, v3
	v_min_u32_e32 v22, 32, v22
	s_delay_alu instid0(VALU_DEP_1) | instskip(SKIP_1) | instid1(VALU_DEP_2)
	v_subrev_nc_u32_e32 v25, 28, v22
	v_sub_nc_u32_e32 v22, 29, v22
	v_lshlrev_b64 v[25:26], v25, v[3:4]
	s_delay_alu instid0(VALU_DEP_1)
	v_and_b32_e32 v3, 7, v25
; %bb.31:                               ;   in Loop: Header=BB303_10 Depth=1
	s_or_b32 exec_lo, exec_lo, s42
	v_lshlrev_b32_e32 v25, 8, v24
	v_lshl_add_u32 v22, v22, 10, 0x2000
	s_delay_alu instid0(VALU_DEP_1) | instskip(NEXT) | instid1(VALU_DEP_1)
	v_and_or_b32 v22, 0x8000, v25, v22
	v_lshl_or_b32 v3, v3, 7, v22
	s_delay_alu instid0(VALU_DEP_1)
	v_cvt_f32_f16_e32 v22, v3
.LBB303_32:                             ;   in Loop: Header=BB303_10 Depth=1
	s_or_b32 exec_lo, exec_lo, s41
.LBB303_33:                             ;   in Loop: Header=BB303_10 Depth=1
	s_delay_alu instid0(SALU_CYCLE_1)
	s_or_b32 exec_lo, exec_lo, s40
.LBB303_34:                             ;   in Loop: Header=BB303_10 Depth=1
	s_delay_alu instid0(SALU_CYCLE_1) | instskip(NEXT) | instid1(VALU_DEP_2)
	s_or_b32 exec_lo, exec_lo, s3
	v_lshrrev_b16 v3, 8, v24
	v_dual_mov_b32 v24, 0 :: v_dual_mov_b32 v25, 0
	s_mov_b32 s3, exec_lo
	s_delay_alu instid0(VALU_DEP_2)
	v_cmpx_ne_u16_e32 0, v3
	s_cbranch_execz .LBB303_42
; %bb.35:                               ;   in Loop: Header=BB303_10 Depth=1
	v_bfrev_b32_e32 v25, 1
	s_mov_b32 s40, exec_lo
	v_cmpx_ne_u16_e32 0x80, v3
	s_cbranch_execz .LBB303_41
; %bb.36:                               ;   in Loop: Header=BB303_10 Depth=1
	v_and_b32_e32 v26, 0xffff, v3
	v_mov_b32_e32 v25, 0x7fc02000
	s_mov_b32 s41, exec_lo
	s_delay_alu instid0(VALU_DEP_2) | instskip(NEXT) | instid1(VALU_DEP_1)
	v_and_b32_e32 v27, 0x7f, v26
	v_cmpx_ne_u32_e32 0x7f, v27
	s_cbranch_execz .LBB303_40
; %bb.37:                               ;   in Loop: Header=BB303_10 Depth=1
	v_and_b32_e32 v3, 7, v26
	v_lshrrev_b32_e32 v25, 3, v27
	s_mov_b32 s42, exec_lo
	v_cmpx_gt_u32_e32 8, v27
; %bb.38:                               ;   in Loop: Header=BB303_10 Depth=1
	s_delay_alu instid0(VALU_DEP_3) | instskip(NEXT) | instid1(VALU_DEP_1)
	v_clz_i32_u32_e32 v25, v3
	v_min_u32_e32 v25, 32, v25
	s_delay_alu instid0(VALU_DEP_1) | instskip(SKIP_1) | instid1(VALU_DEP_2)
	v_subrev_nc_u32_e32 v27, 28, v25
	v_sub_nc_u32_e32 v25, 29, v25
	v_lshlrev_b64 v[27:28], v27, v[3:4]
	s_delay_alu instid0(VALU_DEP_1)
	v_and_b32_e32 v3, 7, v27
; %bb.39:                               ;   in Loop: Header=BB303_10 Depth=1
	s_or_b32 exec_lo, exec_lo, s42
	v_lshlrev_b32_e32 v26, 8, v26
	v_lshl_add_u32 v25, v25, 10, 0x2000
	s_delay_alu instid0(VALU_DEP_1) | instskip(NEXT) | instid1(VALU_DEP_1)
	v_and_or_b32 v25, 0x8000, v26, v25
	v_lshl_or_b32 v3, v3, 7, v25
	s_delay_alu instid0(VALU_DEP_1)
	v_cvt_f32_f16_e32 v25, v3
.LBB303_40:                             ;   in Loop: Header=BB303_10 Depth=1
	s_or_b32 exec_lo, exec_lo, s41
.LBB303_41:                             ;   in Loop: Header=BB303_10 Depth=1
	s_delay_alu instid0(SALU_CYCLE_1)
	s_or_b32 exec_lo, exec_lo, s40
.LBB303_42:                             ;   in Loop: Header=BB303_10 Depth=1
	s_delay_alu instid0(SALU_CYCLE_1)
	s_or_b32 exec_lo, exec_lo, s3
	global_load_u16 v3, v[9:10], off offset:128
	s_mov_b32 s3, exec_lo
	s_waitcnt vmcnt(0)
	v_and_b32_e32 v27, 0xff, v3
	v_and_b32_e32 v26, 0xffff, v3
	s_delay_alu instid0(VALU_DEP_2)
	v_cmpx_ne_u16_e32 0, v27
	s_cbranch_execz .LBB303_50
; %bb.43:                               ;   in Loop: Header=BB303_10 Depth=1
	s_delay_alu instid0(VALU_DEP_2) | instskip(SKIP_2) | instid1(VALU_DEP_2)
	v_and_b32_e32 v3, 0xff, v26
	v_bfrev_b32_e32 v24, 1
	s_mov_b32 s40, exec_lo
	v_cmpx_ne_u16_e32 0x80, v3
	s_cbranch_execz .LBB303_49
; %bb.44:                               ;   in Loop: Header=BB303_10 Depth=1
	v_and_b32_e32 v27, 0x7f, v26
	v_mov_b32_e32 v24, 0x7fc02000
	s_mov_b32 s41, exec_lo
	s_delay_alu instid0(VALU_DEP_2)
	v_cmpx_ne_u32_e32 0x7f, v27
	s_cbranch_execz .LBB303_48
; %bb.45:                               ;   in Loop: Header=BB303_10 Depth=1
	v_and_b32_e32 v3, 7, v26
	v_lshrrev_b32_e32 v24, 3, v27
	s_mov_b32 s42, exec_lo
	v_cmpx_gt_u32_e32 8, v27
; %bb.46:                               ;   in Loop: Header=BB303_10 Depth=1
	s_delay_alu instid0(VALU_DEP_3) | instskip(NEXT) | instid1(VALU_DEP_1)
	v_clz_i32_u32_e32 v24, v3
	v_min_u32_e32 v24, 32, v24
	s_delay_alu instid0(VALU_DEP_1) | instskip(SKIP_1) | instid1(VALU_DEP_2)
	v_subrev_nc_u32_e32 v27, 28, v24
	v_sub_nc_u32_e32 v24, 29, v24
	v_lshlrev_b64 v[27:28], v27, v[3:4]
	s_delay_alu instid0(VALU_DEP_1)
	v_and_b32_e32 v3, 7, v27
; %bb.47:                               ;   in Loop: Header=BB303_10 Depth=1
	s_or_b32 exec_lo, exec_lo, s42
	v_lshlrev_b32_e32 v27, 8, v26
	v_lshl_add_u32 v24, v24, 10, 0x2000
	s_delay_alu instid0(VALU_DEP_1) | instskip(NEXT) | instid1(VALU_DEP_1)
	v_and_or_b32 v24, 0x8000, v27, v24
	v_lshl_or_b32 v3, v3, 7, v24
	s_delay_alu instid0(VALU_DEP_1)
	v_cvt_f32_f16_e32 v24, v3
.LBB303_48:                             ;   in Loop: Header=BB303_10 Depth=1
	s_or_b32 exec_lo, exec_lo, s41
.LBB303_49:                             ;   in Loop: Header=BB303_10 Depth=1
	s_delay_alu instid0(SALU_CYCLE_1)
	s_or_b32 exec_lo, exec_lo, s40
.LBB303_50:                             ;   in Loop: Header=BB303_10 Depth=1
	s_delay_alu instid0(SALU_CYCLE_1) | instskip(NEXT) | instid1(VALU_DEP_2)
	s_or_b32 exec_lo, exec_lo, s3
	v_lshrrev_b16 v3, 8, v26
	v_dual_mov_b32 v26, 0 :: v_dual_mov_b32 v27, 0
	s_mov_b32 s3, exec_lo
	s_delay_alu instid0(VALU_DEP_2)
	v_cmpx_ne_u16_e32 0, v3
	s_cbranch_execz .LBB303_58
; %bb.51:                               ;   in Loop: Header=BB303_10 Depth=1
	v_bfrev_b32_e32 v27, 1
	s_mov_b32 s40, exec_lo
	v_cmpx_ne_u16_e32 0x80, v3
	s_cbranch_execz .LBB303_57
; %bb.52:                               ;   in Loop: Header=BB303_10 Depth=1
	v_and_b32_e32 v28, 0xffff, v3
	v_mov_b32_e32 v27, 0x7fc02000
	s_mov_b32 s41, exec_lo
	s_delay_alu instid0(VALU_DEP_2) | instskip(NEXT) | instid1(VALU_DEP_1)
	v_and_b32_e32 v29, 0x7f, v28
	v_cmpx_ne_u32_e32 0x7f, v29
	s_cbranch_execz .LBB303_56
; %bb.53:                               ;   in Loop: Header=BB303_10 Depth=1
	v_and_b32_e32 v3, 7, v28
	v_lshrrev_b32_e32 v27, 3, v29
	s_mov_b32 s42, exec_lo
	v_cmpx_gt_u32_e32 8, v29
; %bb.54:                               ;   in Loop: Header=BB303_10 Depth=1
	s_delay_alu instid0(VALU_DEP_3) | instskip(NEXT) | instid1(VALU_DEP_1)
	v_clz_i32_u32_e32 v27, v3
	v_min_u32_e32 v27, 32, v27
	s_delay_alu instid0(VALU_DEP_1) | instskip(SKIP_1) | instid1(VALU_DEP_2)
	v_subrev_nc_u32_e32 v29, 28, v27
	v_sub_nc_u32_e32 v27, 29, v27
	v_lshlrev_b64 v[29:30], v29, v[3:4]
	s_delay_alu instid0(VALU_DEP_1)
	v_and_b32_e32 v3, 7, v29
; %bb.55:                               ;   in Loop: Header=BB303_10 Depth=1
	s_or_b32 exec_lo, exec_lo, s42
	v_lshlrev_b32_e32 v28, 8, v28
	v_lshl_add_u32 v27, v27, 10, 0x2000
	s_delay_alu instid0(VALU_DEP_1) | instskip(NEXT) | instid1(VALU_DEP_1)
	v_and_or_b32 v27, 0x8000, v28, v27
	v_lshl_or_b32 v3, v3, 7, v27
	s_delay_alu instid0(VALU_DEP_1)
	v_cvt_f32_f16_e32 v27, v3
.LBB303_56:                             ;   in Loop: Header=BB303_10 Depth=1
	s_or_b32 exec_lo, exec_lo, s41
.LBB303_57:                             ;   in Loop: Header=BB303_10 Depth=1
	s_delay_alu instid0(SALU_CYCLE_1)
	s_or_b32 exec_lo, exec_lo, s40
.LBB303_58:                             ;   in Loop: Header=BB303_10 Depth=1
	s_delay_alu instid0(SALU_CYCLE_1)
	s_or_b32 exec_lo, exec_lo, s3
	global_load_u16 v3, v[9:10], off offset:136
	s_mov_b32 s3, exec_lo
	s_waitcnt vmcnt(0)
	v_and_b32_e32 v29, 0xff, v3
	v_and_b32_e32 v28, 0xffff, v3
	s_delay_alu instid0(VALU_DEP_2)
	v_cmpx_ne_u16_e32 0, v29
	s_cbranch_execz .LBB303_66
; %bb.59:                               ;   in Loop: Header=BB303_10 Depth=1
	s_delay_alu instid0(VALU_DEP_2) | instskip(SKIP_2) | instid1(VALU_DEP_2)
	v_and_b32_e32 v3, 0xff, v28
	v_bfrev_b32_e32 v26, 1
	s_mov_b32 s40, exec_lo
	v_cmpx_ne_u16_e32 0x80, v3
	s_cbranch_execz .LBB303_65
; %bb.60:                               ;   in Loop: Header=BB303_10 Depth=1
	v_and_b32_e32 v29, 0x7f, v28
	v_mov_b32_e32 v26, 0x7fc02000
	s_mov_b32 s41, exec_lo
	s_delay_alu instid0(VALU_DEP_2)
	v_cmpx_ne_u32_e32 0x7f, v29
	s_cbranch_execz .LBB303_64
; %bb.61:                               ;   in Loop: Header=BB303_10 Depth=1
	v_and_b32_e32 v3, 7, v28
	v_lshrrev_b32_e32 v26, 3, v29
	s_mov_b32 s42, exec_lo
	v_cmpx_gt_u32_e32 8, v29
; %bb.62:                               ;   in Loop: Header=BB303_10 Depth=1
	s_delay_alu instid0(VALU_DEP_3) | instskip(NEXT) | instid1(VALU_DEP_1)
	v_clz_i32_u32_e32 v26, v3
	v_min_u32_e32 v26, 32, v26
	s_delay_alu instid0(VALU_DEP_1) | instskip(SKIP_1) | instid1(VALU_DEP_2)
	v_subrev_nc_u32_e32 v29, 28, v26
	v_sub_nc_u32_e32 v26, 29, v26
	v_lshlrev_b64 v[29:30], v29, v[3:4]
	s_delay_alu instid0(VALU_DEP_1)
	v_and_b32_e32 v3, 7, v29
; %bb.63:                               ;   in Loop: Header=BB303_10 Depth=1
	s_or_b32 exec_lo, exec_lo, s42
	v_lshlrev_b32_e32 v29, 8, v28
	v_lshl_add_u32 v26, v26, 10, 0x2000
	s_delay_alu instid0(VALU_DEP_1) | instskip(NEXT) | instid1(VALU_DEP_1)
	v_and_or_b32 v26, 0x8000, v29, v26
	v_lshl_or_b32 v3, v3, 7, v26
	s_delay_alu instid0(VALU_DEP_1)
	v_cvt_f32_f16_e32 v26, v3
.LBB303_64:                             ;   in Loop: Header=BB303_10 Depth=1
	s_or_b32 exec_lo, exec_lo, s41
.LBB303_65:                             ;   in Loop: Header=BB303_10 Depth=1
	s_delay_alu instid0(SALU_CYCLE_1)
	s_or_b32 exec_lo, exec_lo, s40
.LBB303_66:                             ;   in Loop: Header=BB303_10 Depth=1
	s_delay_alu instid0(SALU_CYCLE_1) | instskip(NEXT) | instid1(VALU_DEP_2)
	s_or_b32 exec_lo, exec_lo, s3
	v_lshrrev_b16 v3, 8, v28
	v_dual_mov_b32 v28, 0 :: v_dual_mov_b32 v29, 0
	s_mov_b32 s3, exec_lo
	s_delay_alu instid0(VALU_DEP_2)
	v_cmpx_ne_u16_e32 0, v3
	s_cbranch_execz .LBB303_74
; %bb.67:                               ;   in Loop: Header=BB303_10 Depth=1
	v_bfrev_b32_e32 v29, 1
	s_mov_b32 s40, exec_lo
	v_cmpx_ne_u16_e32 0x80, v3
	s_cbranch_execz .LBB303_73
; %bb.68:                               ;   in Loop: Header=BB303_10 Depth=1
	v_and_b32_e32 v30, 0xffff, v3
	v_mov_b32_e32 v29, 0x7fc02000
	s_mov_b32 s41, exec_lo
	s_delay_alu instid0(VALU_DEP_2) | instskip(NEXT) | instid1(VALU_DEP_1)
	v_and_b32_e32 v31, 0x7f, v30
	v_cmpx_ne_u32_e32 0x7f, v31
	s_cbranch_execz .LBB303_72
; %bb.69:                               ;   in Loop: Header=BB303_10 Depth=1
	v_and_b32_e32 v3, 7, v30
	v_lshrrev_b32_e32 v29, 3, v31
	s_mov_b32 s42, exec_lo
	v_cmpx_gt_u32_e32 8, v31
; %bb.70:                               ;   in Loop: Header=BB303_10 Depth=1
	s_delay_alu instid0(VALU_DEP_3) | instskip(NEXT) | instid1(VALU_DEP_1)
	v_clz_i32_u32_e32 v29, v3
	v_min_u32_e32 v29, 32, v29
	s_delay_alu instid0(VALU_DEP_1) | instskip(SKIP_1) | instid1(VALU_DEP_2)
	v_subrev_nc_u32_e32 v31, 28, v29
	v_sub_nc_u32_e32 v29, 29, v29
	v_lshlrev_b64 v[31:32], v31, v[3:4]
	s_delay_alu instid0(VALU_DEP_1)
	v_and_b32_e32 v3, 7, v31
; %bb.71:                               ;   in Loop: Header=BB303_10 Depth=1
	s_or_b32 exec_lo, exec_lo, s42
	v_lshlrev_b32_e32 v30, 8, v30
	v_lshl_add_u32 v29, v29, 10, 0x2000
	s_delay_alu instid0(VALU_DEP_1) | instskip(NEXT) | instid1(VALU_DEP_1)
	v_and_or_b32 v29, 0x8000, v30, v29
	v_lshl_or_b32 v3, v3, 7, v29
	s_delay_alu instid0(VALU_DEP_1)
	v_cvt_f32_f16_e32 v29, v3
.LBB303_72:                             ;   in Loop: Header=BB303_10 Depth=1
	s_or_b32 exec_lo, exec_lo, s41
.LBB303_73:                             ;   in Loop: Header=BB303_10 Depth=1
	s_delay_alu instid0(SALU_CYCLE_1)
	s_or_b32 exec_lo, exec_lo, s40
.LBB303_74:                             ;   in Loop: Header=BB303_10 Depth=1
	s_delay_alu instid0(SALU_CYCLE_1)
	s_or_b32 exec_lo, exec_lo, s3
	global_load_u16 v3, v[9:10], off offset:256
	s_mov_b32 s3, exec_lo
	s_waitcnt vmcnt(0)
	v_and_b32_e32 v31, 0xff, v3
	v_and_b32_e32 v30, 0xffff, v3
	s_delay_alu instid0(VALU_DEP_2)
	v_cmpx_ne_u16_e32 0, v31
	s_cbranch_execz .LBB303_82
; %bb.75:                               ;   in Loop: Header=BB303_10 Depth=1
	s_delay_alu instid0(VALU_DEP_2) | instskip(SKIP_2) | instid1(VALU_DEP_2)
	v_and_b32_e32 v3, 0xff, v30
	v_bfrev_b32_e32 v28, 1
	s_mov_b32 s40, exec_lo
	v_cmpx_ne_u16_e32 0x80, v3
	s_cbranch_execz .LBB303_81
; %bb.76:                               ;   in Loop: Header=BB303_10 Depth=1
	v_and_b32_e32 v31, 0x7f, v30
	v_mov_b32_e32 v28, 0x7fc02000
	s_mov_b32 s41, exec_lo
	s_delay_alu instid0(VALU_DEP_2)
	v_cmpx_ne_u32_e32 0x7f, v31
	s_cbranch_execz .LBB303_80
; %bb.77:                               ;   in Loop: Header=BB303_10 Depth=1
	v_and_b32_e32 v3, 7, v30
	v_lshrrev_b32_e32 v28, 3, v31
	s_mov_b32 s42, exec_lo
	v_cmpx_gt_u32_e32 8, v31
; %bb.78:                               ;   in Loop: Header=BB303_10 Depth=1
	s_delay_alu instid0(VALU_DEP_3) | instskip(NEXT) | instid1(VALU_DEP_1)
	v_clz_i32_u32_e32 v28, v3
	v_min_u32_e32 v28, 32, v28
	s_delay_alu instid0(VALU_DEP_1) | instskip(SKIP_1) | instid1(VALU_DEP_2)
	v_subrev_nc_u32_e32 v31, 28, v28
	v_sub_nc_u32_e32 v28, 29, v28
	v_lshlrev_b64 v[31:32], v31, v[3:4]
	s_delay_alu instid0(VALU_DEP_1)
	v_and_b32_e32 v3, 7, v31
; %bb.79:                               ;   in Loop: Header=BB303_10 Depth=1
	s_or_b32 exec_lo, exec_lo, s42
	v_lshlrev_b32_e32 v31, 8, v30
	v_lshl_add_u32 v28, v28, 10, 0x2000
	s_delay_alu instid0(VALU_DEP_1) | instskip(NEXT) | instid1(VALU_DEP_1)
	v_and_or_b32 v28, 0x8000, v31, v28
	v_lshl_or_b32 v3, v3, 7, v28
	s_delay_alu instid0(VALU_DEP_1)
	v_cvt_f32_f16_e32 v28, v3
.LBB303_80:                             ;   in Loop: Header=BB303_10 Depth=1
	s_or_b32 exec_lo, exec_lo, s41
.LBB303_81:                             ;   in Loop: Header=BB303_10 Depth=1
	s_delay_alu instid0(SALU_CYCLE_1)
	s_or_b32 exec_lo, exec_lo, s40
.LBB303_82:                             ;   in Loop: Header=BB303_10 Depth=1
	s_delay_alu instid0(SALU_CYCLE_1) | instskip(NEXT) | instid1(VALU_DEP_2)
	s_or_b32 exec_lo, exec_lo, s3
	v_lshrrev_b16 v3, 8, v30
	v_dual_mov_b32 v30, 0 :: v_dual_mov_b32 v31, 0
	s_mov_b32 s3, exec_lo
	s_delay_alu instid0(VALU_DEP_2)
	v_cmpx_ne_u16_e32 0, v3
	s_cbranch_execz .LBB303_90
; %bb.83:                               ;   in Loop: Header=BB303_10 Depth=1
	v_bfrev_b32_e32 v31, 1
	s_mov_b32 s40, exec_lo
	v_cmpx_ne_u16_e32 0x80, v3
	s_cbranch_execz .LBB303_89
; %bb.84:                               ;   in Loop: Header=BB303_10 Depth=1
	v_and_b32_e32 v32, 0xffff, v3
	v_mov_b32_e32 v31, 0x7fc02000
	s_mov_b32 s41, exec_lo
	s_delay_alu instid0(VALU_DEP_2) | instskip(NEXT) | instid1(VALU_DEP_1)
	v_and_b32_e32 v33, 0x7f, v32
	v_cmpx_ne_u32_e32 0x7f, v33
	s_cbranch_execz .LBB303_88
; %bb.85:                               ;   in Loop: Header=BB303_10 Depth=1
	v_and_b32_e32 v3, 7, v32
	v_lshrrev_b32_e32 v31, 3, v33
	s_mov_b32 s42, exec_lo
	v_cmpx_gt_u32_e32 8, v33
; %bb.86:                               ;   in Loop: Header=BB303_10 Depth=1
	s_delay_alu instid0(VALU_DEP_3) | instskip(NEXT) | instid1(VALU_DEP_1)
	v_clz_i32_u32_e32 v31, v3
	v_min_u32_e32 v31, 32, v31
	s_delay_alu instid0(VALU_DEP_1) | instskip(SKIP_1) | instid1(VALU_DEP_2)
	v_subrev_nc_u32_e32 v33, 28, v31
	v_sub_nc_u32_e32 v31, 29, v31
	v_lshlrev_b64 v[33:34], v33, v[3:4]
	s_delay_alu instid0(VALU_DEP_1)
	v_and_b32_e32 v3, 7, v33
; %bb.87:                               ;   in Loop: Header=BB303_10 Depth=1
	s_or_b32 exec_lo, exec_lo, s42
	v_lshlrev_b32_e32 v32, 8, v32
	v_lshl_add_u32 v31, v31, 10, 0x2000
	s_delay_alu instid0(VALU_DEP_1) | instskip(NEXT) | instid1(VALU_DEP_1)
	v_and_or_b32 v31, 0x8000, v32, v31
	v_lshl_or_b32 v3, v3, 7, v31
	s_delay_alu instid0(VALU_DEP_1)
	v_cvt_f32_f16_e32 v31, v3
.LBB303_88:                             ;   in Loop: Header=BB303_10 Depth=1
	s_or_b32 exec_lo, exec_lo, s41
.LBB303_89:                             ;   in Loop: Header=BB303_10 Depth=1
	s_delay_alu instid0(SALU_CYCLE_1)
	s_or_b32 exec_lo, exec_lo, s40
.LBB303_90:                             ;   in Loop: Header=BB303_10 Depth=1
	s_delay_alu instid0(SALU_CYCLE_1)
	s_or_b32 exec_lo, exec_lo, s3
	global_load_u16 v3, v[9:10], off offset:264
	s_mov_b32 s3, exec_lo
	s_waitcnt vmcnt(0)
	v_and_b32_e32 v33, 0xff, v3
	v_and_b32_e32 v32, 0xffff, v3
	s_delay_alu instid0(VALU_DEP_2)
	v_cmpx_ne_u16_e32 0, v33
	s_cbranch_execz .LBB303_98
; %bb.91:                               ;   in Loop: Header=BB303_10 Depth=1
	s_delay_alu instid0(VALU_DEP_2) | instskip(SKIP_2) | instid1(VALU_DEP_2)
	v_and_b32_e32 v3, 0xff, v32
	v_bfrev_b32_e32 v30, 1
	s_mov_b32 s40, exec_lo
	v_cmpx_ne_u16_e32 0x80, v3
	s_cbranch_execz .LBB303_97
; %bb.92:                               ;   in Loop: Header=BB303_10 Depth=1
	v_and_b32_e32 v33, 0x7f, v32
	v_mov_b32_e32 v30, 0x7fc02000
	s_mov_b32 s41, exec_lo
	s_delay_alu instid0(VALU_DEP_2)
	v_cmpx_ne_u32_e32 0x7f, v33
	s_cbranch_execz .LBB303_96
; %bb.93:                               ;   in Loop: Header=BB303_10 Depth=1
	v_and_b32_e32 v3, 7, v32
	v_lshrrev_b32_e32 v30, 3, v33
	s_mov_b32 s42, exec_lo
	v_cmpx_gt_u32_e32 8, v33
; %bb.94:                               ;   in Loop: Header=BB303_10 Depth=1
	s_delay_alu instid0(VALU_DEP_3) | instskip(NEXT) | instid1(VALU_DEP_1)
	v_clz_i32_u32_e32 v30, v3
	v_min_u32_e32 v30, 32, v30
	s_delay_alu instid0(VALU_DEP_1) | instskip(SKIP_1) | instid1(VALU_DEP_2)
	v_subrev_nc_u32_e32 v33, 28, v30
	v_sub_nc_u32_e32 v30, 29, v30
	v_lshlrev_b64 v[33:34], v33, v[3:4]
	s_delay_alu instid0(VALU_DEP_1)
	v_and_b32_e32 v3, 7, v33
; %bb.95:                               ;   in Loop: Header=BB303_10 Depth=1
	s_or_b32 exec_lo, exec_lo, s42
	v_lshlrev_b32_e32 v33, 8, v32
	v_lshl_add_u32 v30, v30, 10, 0x2000
	s_delay_alu instid0(VALU_DEP_1) | instskip(NEXT) | instid1(VALU_DEP_1)
	v_and_or_b32 v30, 0x8000, v33, v30
	v_lshl_or_b32 v3, v3, 7, v30
	s_delay_alu instid0(VALU_DEP_1)
	v_cvt_f32_f16_e32 v30, v3
.LBB303_96:                             ;   in Loop: Header=BB303_10 Depth=1
	s_or_b32 exec_lo, exec_lo, s41
.LBB303_97:                             ;   in Loop: Header=BB303_10 Depth=1
	s_delay_alu instid0(SALU_CYCLE_1)
	s_or_b32 exec_lo, exec_lo, s40
.LBB303_98:                             ;   in Loop: Header=BB303_10 Depth=1
	s_delay_alu instid0(SALU_CYCLE_1) | instskip(NEXT) | instid1(VALU_DEP_2)
	s_or_b32 exec_lo, exec_lo, s3
	v_lshrrev_b16 v3, 8, v32
	v_dual_mov_b32 v32, 0 :: v_dual_mov_b32 v33, 0
	s_mov_b32 s3, exec_lo
	s_delay_alu instid0(VALU_DEP_2)
	v_cmpx_ne_u16_e32 0, v3
	s_cbranch_execz .LBB303_106
; %bb.99:                               ;   in Loop: Header=BB303_10 Depth=1
	v_bfrev_b32_e32 v33, 1
	s_mov_b32 s40, exec_lo
	v_cmpx_ne_u16_e32 0x80, v3
	s_cbranch_execz .LBB303_105
; %bb.100:                              ;   in Loop: Header=BB303_10 Depth=1
	v_and_b32_e32 v34, 0xffff, v3
	v_mov_b32_e32 v33, 0x7fc02000
	s_mov_b32 s41, exec_lo
	s_delay_alu instid0(VALU_DEP_2) | instskip(NEXT) | instid1(VALU_DEP_1)
	v_and_b32_e32 v35, 0x7f, v34
	v_cmpx_ne_u32_e32 0x7f, v35
	s_cbranch_execz .LBB303_104
; %bb.101:                              ;   in Loop: Header=BB303_10 Depth=1
	v_and_b32_e32 v3, 7, v34
	v_lshrrev_b32_e32 v33, 3, v35
	s_mov_b32 s42, exec_lo
	v_cmpx_gt_u32_e32 8, v35
; %bb.102:                              ;   in Loop: Header=BB303_10 Depth=1
	s_delay_alu instid0(VALU_DEP_3) | instskip(NEXT) | instid1(VALU_DEP_1)
	v_clz_i32_u32_e32 v33, v3
	v_min_u32_e32 v33, 32, v33
	s_delay_alu instid0(VALU_DEP_1) | instskip(SKIP_1) | instid1(VALU_DEP_2)
	v_subrev_nc_u32_e32 v35, 28, v33
	v_sub_nc_u32_e32 v33, 29, v33
	v_lshlrev_b64 v[35:36], v35, v[3:4]
	s_delay_alu instid0(VALU_DEP_1)
	v_and_b32_e32 v3, 7, v35
; %bb.103:                              ;   in Loop: Header=BB303_10 Depth=1
	s_or_b32 exec_lo, exec_lo, s42
	v_lshlrev_b32_e32 v34, 8, v34
	v_lshl_add_u32 v33, v33, 10, 0x2000
	s_delay_alu instid0(VALU_DEP_1) | instskip(NEXT) | instid1(VALU_DEP_1)
	v_and_or_b32 v33, 0x8000, v34, v33
	v_lshl_or_b32 v3, v3, 7, v33
	s_delay_alu instid0(VALU_DEP_1)
	v_cvt_f32_f16_e32 v33, v3
.LBB303_104:                            ;   in Loop: Header=BB303_10 Depth=1
	s_or_b32 exec_lo, exec_lo, s41
.LBB303_105:                            ;   in Loop: Header=BB303_10 Depth=1
	s_delay_alu instid0(SALU_CYCLE_1)
	s_or_b32 exec_lo, exec_lo, s40
.LBB303_106:                            ;   in Loop: Header=BB303_10 Depth=1
	s_delay_alu instid0(SALU_CYCLE_1)
	s_or_b32 exec_lo, exec_lo, s3
	global_load_u16 v3, v[9:10], off offset:384
	s_mov_b32 s3, exec_lo
	s_waitcnt vmcnt(0)
	v_and_b32_e32 v35, 0xff, v3
	v_and_b32_e32 v34, 0xffff, v3
	s_delay_alu instid0(VALU_DEP_2)
	v_cmpx_ne_u16_e32 0, v35
	s_cbranch_execz .LBB303_114
; %bb.107:                              ;   in Loop: Header=BB303_10 Depth=1
	s_delay_alu instid0(VALU_DEP_2) | instskip(SKIP_2) | instid1(VALU_DEP_2)
	v_and_b32_e32 v3, 0xff, v34
	v_bfrev_b32_e32 v32, 1
	s_mov_b32 s40, exec_lo
	v_cmpx_ne_u16_e32 0x80, v3
	s_cbranch_execz .LBB303_113
; %bb.108:                              ;   in Loop: Header=BB303_10 Depth=1
	v_and_b32_e32 v35, 0x7f, v34
	v_mov_b32_e32 v32, 0x7fc02000
	s_mov_b32 s41, exec_lo
	s_delay_alu instid0(VALU_DEP_2)
	v_cmpx_ne_u32_e32 0x7f, v35
	s_cbranch_execz .LBB303_112
; %bb.109:                              ;   in Loop: Header=BB303_10 Depth=1
	v_and_b32_e32 v3, 7, v34
	v_lshrrev_b32_e32 v32, 3, v35
	s_mov_b32 s42, exec_lo
	v_cmpx_gt_u32_e32 8, v35
; %bb.110:                              ;   in Loop: Header=BB303_10 Depth=1
	s_delay_alu instid0(VALU_DEP_3) | instskip(NEXT) | instid1(VALU_DEP_1)
	v_clz_i32_u32_e32 v32, v3
	v_min_u32_e32 v32, 32, v32
	s_delay_alu instid0(VALU_DEP_1) | instskip(SKIP_1) | instid1(VALU_DEP_2)
	v_subrev_nc_u32_e32 v35, 28, v32
	v_sub_nc_u32_e32 v32, 29, v32
	v_lshlrev_b64 v[35:36], v35, v[3:4]
	s_delay_alu instid0(VALU_DEP_1)
	v_and_b32_e32 v3, 7, v35
; %bb.111:                              ;   in Loop: Header=BB303_10 Depth=1
	s_or_b32 exec_lo, exec_lo, s42
	v_lshlrev_b32_e32 v35, 8, v34
	v_lshl_add_u32 v32, v32, 10, 0x2000
	s_delay_alu instid0(VALU_DEP_1) | instskip(NEXT) | instid1(VALU_DEP_1)
	v_and_or_b32 v32, 0x8000, v35, v32
	v_lshl_or_b32 v3, v3, 7, v32
	s_delay_alu instid0(VALU_DEP_1)
	v_cvt_f32_f16_e32 v32, v3
.LBB303_112:                            ;   in Loop: Header=BB303_10 Depth=1
	s_or_b32 exec_lo, exec_lo, s41
.LBB303_113:                            ;   in Loop: Header=BB303_10 Depth=1
	s_delay_alu instid0(SALU_CYCLE_1)
	s_or_b32 exec_lo, exec_lo, s40
.LBB303_114:                            ;   in Loop: Header=BB303_10 Depth=1
	s_delay_alu instid0(SALU_CYCLE_1) | instskip(NEXT) | instid1(VALU_DEP_2)
	s_or_b32 exec_lo, exec_lo, s3
	v_lshrrev_b16 v3, 8, v34
	v_dual_mov_b32 v34, 0 :: v_dual_mov_b32 v35, 0
	s_mov_b32 s3, exec_lo
	s_delay_alu instid0(VALU_DEP_2)
	v_cmpx_ne_u16_e32 0, v3
	s_cbranch_execz .LBB303_122
; %bb.115:                              ;   in Loop: Header=BB303_10 Depth=1
	v_bfrev_b32_e32 v35, 1
	s_mov_b32 s40, exec_lo
	v_cmpx_ne_u16_e32 0x80, v3
	s_cbranch_execz .LBB303_121
; %bb.116:                              ;   in Loop: Header=BB303_10 Depth=1
	v_and_b32_e32 v36, 0xffff, v3
	v_mov_b32_e32 v35, 0x7fc02000
	s_mov_b32 s41, exec_lo
	s_delay_alu instid0(VALU_DEP_2) | instskip(NEXT) | instid1(VALU_DEP_1)
	v_and_b32_e32 v37, 0x7f, v36
	v_cmpx_ne_u32_e32 0x7f, v37
	s_cbranch_execz .LBB303_120
; %bb.117:                              ;   in Loop: Header=BB303_10 Depth=1
	v_and_b32_e32 v3, 7, v36
	v_lshrrev_b32_e32 v35, 3, v37
	s_mov_b32 s42, exec_lo
	v_cmpx_gt_u32_e32 8, v37
; %bb.118:                              ;   in Loop: Header=BB303_10 Depth=1
	s_delay_alu instid0(VALU_DEP_3) | instskip(NEXT) | instid1(VALU_DEP_1)
	v_clz_i32_u32_e32 v35, v3
	v_min_u32_e32 v35, 32, v35
	s_delay_alu instid0(VALU_DEP_1) | instskip(SKIP_1) | instid1(VALU_DEP_2)
	v_subrev_nc_u32_e32 v37, 28, v35
	v_sub_nc_u32_e32 v35, 29, v35
	v_lshlrev_b64 v[37:38], v37, v[3:4]
	s_delay_alu instid0(VALU_DEP_1)
	v_and_b32_e32 v3, 7, v37
; %bb.119:                              ;   in Loop: Header=BB303_10 Depth=1
	s_or_b32 exec_lo, exec_lo, s42
	v_lshlrev_b32_e32 v36, 8, v36
	v_lshl_add_u32 v35, v35, 10, 0x2000
	s_delay_alu instid0(VALU_DEP_1) | instskip(NEXT) | instid1(VALU_DEP_1)
	v_and_or_b32 v35, 0x8000, v36, v35
	v_lshl_or_b32 v3, v3, 7, v35
	s_delay_alu instid0(VALU_DEP_1)
	v_cvt_f32_f16_e32 v35, v3
.LBB303_120:                            ;   in Loop: Header=BB303_10 Depth=1
	s_or_b32 exec_lo, exec_lo, s41
.LBB303_121:                            ;   in Loop: Header=BB303_10 Depth=1
	s_delay_alu instid0(SALU_CYCLE_1)
	s_or_b32 exec_lo, exec_lo, s40
.LBB303_122:                            ;   in Loop: Header=BB303_10 Depth=1
	s_delay_alu instid0(SALU_CYCLE_1)
	s_or_b32 exec_lo, exec_lo, s3
	global_load_u16 v3, v[9:10], off offset:392
	s_mov_b32 s3, exec_lo
	s_waitcnt vmcnt(0)
	v_and_b32_e32 v37, 0xff, v3
	v_and_b32_e32 v36, 0xffff, v3
	s_delay_alu instid0(VALU_DEP_2)
	v_cmpx_ne_u16_e32 0, v37
	s_cbranch_execz .LBB303_130
; %bb.123:                              ;   in Loop: Header=BB303_10 Depth=1
	s_delay_alu instid0(VALU_DEP_2) | instskip(SKIP_2) | instid1(VALU_DEP_2)
	v_and_b32_e32 v3, 0xff, v36
	v_bfrev_b32_e32 v34, 1
	s_mov_b32 s40, exec_lo
	v_cmpx_ne_u16_e32 0x80, v3
	s_cbranch_execz .LBB303_129
; %bb.124:                              ;   in Loop: Header=BB303_10 Depth=1
	v_and_b32_e32 v37, 0x7f, v36
	v_mov_b32_e32 v34, 0x7fc02000
	s_mov_b32 s41, exec_lo
	s_delay_alu instid0(VALU_DEP_2)
	v_cmpx_ne_u32_e32 0x7f, v37
	s_cbranch_execz .LBB303_128
; %bb.125:                              ;   in Loop: Header=BB303_10 Depth=1
	v_and_b32_e32 v3, 7, v36
	v_lshrrev_b32_e32 v34, 3, v37
	s_mov_b32 s42, exec_lo
	v_cmpx_gt_u32_e32 8, v37
; %bb.126:                              ;   in Loop: Header=BB303_10 Depth=1
	s_delay_alu instid0(VALU_DEP_3) | instskip(NEXT) | instid1(VALU_DEP_1)
	v_clz_i32_u32_e32 v34, v3
	v_min_u32_e32 v34, 32, v34
	s_delay_alu instid0(VALU_DEP_1) | instskip(SKIP_1) | instid1(VALU_DEP_2)
	v_subrev_nc_u32_e32 v37, 28, v34
	v_sub_nc_u32_e32 v34, 29, v34
	v_lshlrev_b64 v[37:38], v37, v[3:4]
	s_delay_alu instid0(VALU_DEP_1)
	v_and_b32_e32 v3, 7, v37
; %bb.127:                              ;   in Loop: Header=BB303_10 Depth=1
	s_or_b32 exec_lo, exec_lo, s42
	v_lshlrev_b32_e32 v37, 8, v36
	v_lshl_add_u32 v34, v34, 10, 0x2000
	s_delay_alu instid0(VALU_DEP_1) | instskip(NEXT) | instid1(VALU_DEP_1)
	v_and_or_b32 v34, 0x8000, v37, v34
	v_lshl_or_b32 v3, v3, 7, v34
	s_delay_alu instid0(VALU_DEP_1)
	v_cvt_f32_f16_e32 v34, v3
.LBB303_128:                            ;   in Loop: Header=BB303_10 Depth=1
	s_or_b32 exec_lo, exec_lo, s41
.LBB303_129:                            ;   in Loop: Header=BB303_10 Depth=1
	s_delay_alu instid0(SALU_CYCLE_1)
	s_or_b32 exec_lo, exec_lo, s40
.LBB303_130:                            ;   in Loop: Header=BB303_10 Depth=1
	s_delay_alu instid0(SALU_CYCLE_1) | instskip(NEXT) | instid1(VALU_DEP_2)
	s_or_b32 exec_lo, exec_lo, s3
	v_lshrrev_b16 v3, 8, v36
	v_dual_mov_b32 v36, 0 :: v_dual_mov_b32 v37, 0
	s_mov_b32 s3, exec_lo
	s_delay_alu instid0(VALU_DEP_2)
	v_cmpx_ne_u16_e32 0, v3
	s_cbranch_execz .LBB303_138
; %bb.131:                              ;   in Loop: Header=BB303_10 Depth=1
	v_bfrev_b32_e32 v37, 1
	s_mov_b32 s40, exec_lo
	v_cmpx_ne_u16_e32 0x80, v3
	s_cbranch_execz .LBB303_137
; %bb.132:                              ;   in Loop: Header=BB303_10 Depth=1
	v_and_b32_e32 v38, 0xffff, v3
	v_mov_b32_e32 v37, 0x7fc02000
	s_mov_b32 s41, exec_lo
	s_delay_alu instid0(VALU_DEP_2) | instskip(NEXT) | instid1(VALU_DEP_1)
	v_and_b32_e32 v39, 0x7f, v38
	v_cmpx_ne_u32_e32 0x7f, v39
	s_cbranch_execz .LBB303_136
; %bb.133:                              ;   in Loop: Header=BB303_10 Depth=1
	v_and_b32_e32 v3, 7, v38
	v_lshrrev_b32_e32 v37, 3, v39
	s_mov_b32 s42, exec_lo
	v_cmpx_gt_u32_e32 8, v39
; %bb.134:                              ;   in Loop: Header=BB303_10 Depth=1
	s_delay_alu instid0(VALU_DEP_3) | instskip(NEXT) | instid1(VALU_DEP_1)
	v_clz_i32_u32_e32 v37, v3
	v_min_u32_e32 v37, 32, v37
	s_delay_alu instid0(VALU_DEP_1) | instskip(SKIP_1) | instid1(VALU_DEP_2)
	v_subrev_nc_u32_e32 v39, 28, v37
	v_sub_nc_u32_e32 v37, 29, v37
	v_lshlrev_b64 v[39:40], v39, v[3:4]
	s_delay_alu instid0(VALU_DEP_1)
	v_and_b32_e32 v3, 7, v39
; %bb.135:                              ;   in Loop: Header=BB303_10 Depth=1
	s_or_b32 exec_lo, exec_lo, s42
	v_lshlrev_b32_e32 v38, 8, v38
	v_lshl_add_u32 v37, v37, 10, 0x2000
	s_delay_alu instid0(VALU_DEP_1) | instskip(NEXT) | instid1(VALU_DEP_1)
	v_and_or_b32 v37, 0x8000, v38, v37
	v_lshl_or_b32 v3, v3, 7, v37
	s_delay_alu instid0(VALU_DEP_1)
	v_cvt_f32_f16_e32 v37, v3
.LBB303_136:                            ;   in Loop: Header=BB303_10 Depth=1
	s_or_b32 exec_lo, exec_lo, s41
.LBB303_137:                            ;   in Loop: Header=BB303_10 Depth=1
	s_delay_alu instid0(SALU_CYCLE_1)
	s_or_b32 exec_lo, exec_lo, s40
.LBB303_138:                            ;   in Loop: Header=BB303_10 Depth=1
	s_delay_alu instid0(SALU_CYCLE_1)
	s_or_b32 exec_lo, exec_lo, s3
	global_load_u16 v3, v[9:10], off offset:512
	s_mov_b32 s3, exec_lo
	s_waitcnt vmcnt(0)
	v_and_b32_e32 v39, 0xff, v3
	v_and_b32_e32 v38, 0xffff, v3
	s_delay_alu instid0(VALU_DEP_2)
	v_cmpx_ne_u16_e32 0, v39
	s_cbranch_execz .LBB303_146
; %bb.139:                              ;   in Loop: Header=BB303_10 Depth=1
	s_delay_alu instid0(VALU_DEP_2) | instskip(SKIP_2) | instid1(VALU_DEP_2)
	v_and_b32_e32 v3, 0xff, v38
	v_bfrev_b32_e32 v36, 1
	s_mov_b32 s40, exec_lo
	v_cmpx_ne_u16_e32 0x80, v3
	s_cbranch_execz .LBB303_145
; %bb.140:                              ;   in Loop: Header=BB303_10 Depth=1
	v_and_b32_e32 v39, 0x7f, v38
	v_mov_b32_e32 v36, 0x7fc02000
	s_mov_b32 s41, exec_lo
	s_delay_alu instid0(VALU_DEP_2)
	v_cmpx_ne_u32_e32 0x7f, v39
	s_cbranch_execz .LBB303_144
; %bb.141:                              ;   in Loop: Header=BB303_10 Depth=1
	v_and_b32_e32 v3, 7, v38
	v_lshrrev_b32_e32 v36, 3, v39
	s_mov_b32 s42, exec_lo
	v_cmpx_gt_u32_e32 8, v39
; %bb.142:                              ;   in Loop: Header=BB303_10 Depth=1
	s_delay_alu instid0(VALU_DEP_3) | instskip(NEXT) | instid1(VALU_DEP_1)
	v_clz_i32_u32_e32 v36, v3
	v_min_u32_e32 v36, 32, v36
	s_delay_alu instid0(VALU_DEP_1) | instskip(SKIP_1) | instid1(VALU_DEP_2)
	v_subrev_nc_u32_e32 v39, 28, v36
	v_sub_nc_u32_e32 v36, 29, v36
	v_lshlrev_b64 v[39:40], v39, v[3:4]
	s_delay_alu instid0(VALU_DEP_1)
	v_and_b32_e32 v3, 7, v39
; %bb.143:                              ;   in Loop: Header=BB303_10 Depth=1
	s_or_b32 exec_lo, exec_lo, s42
	v_lshlrev_b32_e32 v39, 8, v38
	v_lshl_add_u32 v36, v36, 10, 0x2000
	s_delay_alu instid0(VALU_DEP_1) | instskip(NEXT) | instid1(VALU_DEP_1)
	v_and_or_b32 v36, 0x8000, v39, v36
	v_lshl_or_b32 v3, v3, 7, v36
	s_delay_alu instid0(VALU_DEP_1)
	v_cvt_f32_f16_e32 v36, v3
.LBB303_144:                            ;   in Loop: Header=BB303_10 Depth=1
	s_or_b32 exec_lo, exec_lo, s41
.LBB303_145:                            ;   in Loop: Header=BB303_10 Depth=1
	s_delay_alu instid0(SALU_CYCLE_1)
	s_or_b32 exec_lo, exec_lo, s40
.LBB303_146:                            ;   in Loop: Header=BB303_10 Depth=1
	s_delay_alu instid0(SALU_CYCLE_1) | instskip(NEXT) | instid1(VALU_DEP_2)
	s_or_b32 exec_lo, exec_lo, s3
	v_lshrrev_b16 v3, 8, v38
	v_dual_mov_b32 v38, 0 :: v_dual_mov_b32 v39, 0
	s_mov_b32 s3, exec_lo
	s_delay_alu instid0(VALU_DEP_2)
	v_cmpx_ne_u16_e32 0, v3
	s_cbranch_execz .LBB303_154
; %bb.147:                              ;   in Loop: Header=BB303_10 Depth=1
	v_bfrev_b32_e32 v39, 1
	s_mov_b32 s40, exec_lo
	v_cmpx_ne_u16_e32 0x80, v3
	s_cbranch_execz .LBB303_153
; %bb.148:                              ;   in Loop: Header=BB303_10 Depth=1
	v_and_b32_e32 v40, 0xffff, v3
	v_mov_b32_e32 v39, 0x7fc02000
	s_mov_b32 s41, exec_lo
	s_delay_alu instid0(VALU_DEP_2) | instskip(NEXT) | instid1(VALU_DEP_1)
	v_and_b32_e32 v41, 0x7f, v40
	v_cmpx_ne_u32_e32 0x7f, v41
	s_cbranch_execz .LBB303_152
; %bb.149:                              ;   in Loop: Header=BB303_10 Depth=1
	v_and_b32_e32 v3, 7, v40
	v_lshrrev_b32_e32 v39, 3, v41
	s_mov_b32 s42, exec_lo
	v_cmpx_gt_u32_e32 8, v41
; %bb.150:                              ;   in Loop: Header=BB303_10 Depth=1
	s_delay_alu instid0(VALU_DEP_3) | instskip(NEXT) | instid1(VALU_DEP_1)
	v_clz_i32_u32_e32 v39, v3
	v_min_u32_e32 v39, 32, v39
	s_delay_alu instid0(VALU_DEP_1) | instskip(SKIP_1) | instid1(VALU_DEP_2)
	v_subrev_nc_u32_e32 v41, 28, v39
	v_sub_nc_u32_e32 v39, 29, v39
	v_lshlrev_b64 v[41:42], v41, v[3:4]
	s_delay_alu instid0(VALU_DEP_1)
	v_and_b32_e32 v3, 7, v41
; %bb.151:                              ;   in Loop: Header=BB303_10 Depth=1
	s_or_b32 exec_lo, exec_lo, s42
	v_lshlrev_b32_e32 v40, 8, v40
	v_lshl_add_u32 v39, v39, 10, 0x2000
	s_delay_alu instid0(VALU_DEP_1) | instskip(NEXT) | instid1(VALU_DEP_1)
	v_and_or_b32 v39, 0x8000, v40, v39
	v_lshl_or_b32 v3, v3, 7, v39
	s_delay_alu instid0(VALU_DEP_1)
	v_cvt_f32_f16_e32 v39, v3
.LBB303_152:                            ;   in Loop: Header=BB303_10 Depth=1
	s_or_b32 exec_lo, exec_lo, s41
.LBB303_153:                            ;   in Loop: Header=BB303_10 Depth=1
	s_delay_alu instid0(SALU_CYCLE_1)
	s_or_b32 exec_lo, exec_lo, s40
.LBB303_154:                            ;   in Loop: Header=BB303_10 Depth=1
	s_delay_alu instid0(SALU_CYCLE_1)
	s_or_b32 exec_lo, exec_lo, s3
	global_load_u16 v3, v[9:10], off offset:520
	s_mov_b32 s3, exec_lo
	s_waitcnt vmcnt(0)
	v_and_b32_e32 v41, 0xff, v3
	v_and_b32_e32 v40, 0xffff, v3
	s_delay_alu instid0(VALU_DEP_2)
	v_cmpx_ne_u16_e32 0, v41
	s_cbranch_execz .LBB303_162
; %bb.155:                              ;   in Loop: Header=BB303_10 Depth=1
	s_delay_alu instid0(VALU_DEP_2) | instskip(SKIP_2) | instid1(VALU_DEP_2)
	v_and_b32_e32 v3, 0xff, v40
	v_bfrev_b32_e32 v38, 1
	s_mov_b32 s40, exec_lo
	v_cmpx_ne_u16_e32 0x80, v3
	s_cbranch_execz .LBB303_161
; %bb.156:                              ;   in Loop: Header=BB303_10 Depth=1
	v_and_b32_e32 v41, 0x7f, v40
	v_mov_b32_e32 v38, 0x7fc02000
	s_mov_b32 s41, exec_lo
	s_delay_alu instid0(VALU_DEP_2)
	v_cmpx_ne_u32_e32 0x7f, v41
	s_cbranch_execz .LBB303_160
; %bb.157:                              ;   in Loop: Header=BB303_10 Depth=1
	v_and_b32_e32 v3, 7, v40
	v_lshrrev_b32_e32 v38, 3, v41
	s_mov_b32 s42, exec_lo
	v_cmpx_gt_u32_e32 8, v41
; %bb.158:                              ;   in Loop: Header=BB303_10 Depth=1
	s_delay_alu instid0(VALU_DEP_3) | instskip(NEXT) | instid1(VALU_DEP_1)
	v_clz_i32_u32_e32 v38, v3
	v_min_u32_e32 v38, 32, v38
	s_delay_alu instid0(VALU_DEP_1) | instskip(SKIP_1) | instid1(VALU_DEP_2)
	v_subrev_nc_u32_e32 v41, 28, v38
	v_sub_nc_u32_e32 v38, 29, v38
	v_lshlrev_b64 v[41:42], v41, v[3:4]
	s_delay_alu instid0(VALU_DEP_1)
	v_and_b32_e32 v3, 7, v41
; %bb.159:                              ;   in Loop: Header=BB303_10 Depth=1
	s_or_b32 exec_lo, exec_lo, s42
	v_lshlrev_b32_e32 v41, 8, v40
	v_lshl_add_u32 v38, v38, 10, 0x2000
	s_delay_alu instid0(VALU_DEP_1) | instskip(NEXT) | instid1(VALU_DEP_1)
	v_and_or_b32 v38, 0x8000, v41, v38
	v_lshl_or_b32 v3, v3, 7, v38
	s_delay_alu instid0(VALU_DEP_1)
	v_cvt_f32_f16_e32 v38, v3
.LBB303_160:                            ;   in Loop: Header=BB303_10 Depth=1
	s_or_b32 exec_lo, exec_lo, s41
.LBB303_161:                            ;   in Loop: Header=BB303_10 Depth=1
	s_delay_alu instid0(SALU_CYCLE_1)
	s_or_b32 exec_lo, exec_lo, s40
.LBB303_162:                            ;   in Loop: Header=BB303_10 Depth=1
	s_delay_alu instid0(SALU_CYCLE_1) | instskip(NEXT) | instid1(VALU_DEP_2)
	s_or_b32 exec_lo, exec_lo, s3
	v_lshrrev_b16 v3, 8, v40
	v_dual_mov_b32 v40, 0 :: v_dual_mov_b32 v41, 0
	s_mov_b32 s3, exec_lo
	s_delay_alu instid0(VALU_DEP_2)
	v_cmpx_ne_u16_e32 0, v3
	s_cbranch_execz .LBB303_170
; %bb.163:                              ;   in Loop: Header=BB303_10 Depth=1
	v_bfrev_b32_e32 v41, 1
	s_mov_b32 s40, exec_lo
	v_cmpx_ne_u16_e32 0x80, v3
	s_cbranch_execz .LBB303_169
; %bb.164:                              ;   in Loop: Header=BB303_10 Depth=1
	v_and_b32_e32 v42, 0xffff, v3
	v_mov_b32_e32 v41, 0x7fc02000
	s_mov_b32 s41, exec_lo
	s_delay_alu instid0(VALU_DEP_2) | instskip(NEXT) | instid1(VALU_DEP_1)
	v_and_b32_e32 v43, 0x7f, v42
	v_cmpx_ne_u32_e32 0x7f, v43
	s_cbranch_execz .LBB303_168
; %bb.165:                              ;   in Loop: Header=BB303_10 Depth=1
	v_and_b32_e32 v3, 7, v42
	v_lshrrev_b32_e32 v41, 3, v43
	s_mov_b32 s42, exec_lo
	v_cmpx_gt_u32_e32 8, v43
; %bb.166:                              ;   in Loop: Header=BB303_10 Depth=1
	s_delay_alu instid0(VALU_DEP_3) | instskip(NEXT) | instid1(VALU_DEP_1)
	v_clz_i32_u32_e32 v41, v3
	v_min_u32_e32 v41, 32, v41
	s_delay_alu instid0(VALU_DEP_1) | instskip(SKIP_1) | instid1(VALU_DEP_2)
	v_subrev_nc_u32_e32 v43, 28, v41
	v_sub_nc_u32_e32 v41, 29, v41
	v_lshlrev_b64 v[43:44], v43, v[3:4]
	s_delay_alu instid0(VALU_DEP_1)
	v_and_b32_e32 v3, 7, v43
; %bb.167:                              ;   in Loop: Header=BB303_10 Depth=1
	s_or_b32 exec_lo, exec_lo, s42
	v_lshlrev_b32_e32 v42, 8, v42
	v_lshl_add_u32 v41, v41, 10, 0x2000
	s_delay_alu instid0(VALU_DEP_1) | instskip(NEXT) | instid1(VALU_DEP_1)
	v_and_or_b32 v41, 0x8000, v42, v41
	v_lshl_or_b32 v3, v3, 7, v41
	s_delay_alu instid0(VALU_DEP_1)
	v_cvt_f32_f16_e32 v41, v3
.LBB303_168:                            ;   in Loop: Header=BB303_10 Depth=1
	s_or_b32 exec_lo, exec_lo, s41
.LBB303_169:                            ;   in Loop: Header=BB303_10 Depth=1
	s_delay_alu instid0(SALU_CYCLE_1)
	s_or_b32 exec_lo, exec_lo, s40
.LBB303_170:                            ;   in Loop: Header=BB303_10 Depth=1
	s_delay_alu instid0(SALU_CYCLE_1)
	s_or_b32 exec_lo, exec_lo, s3
	global_load_u16 v3, v[9:10], off offset:640
	s_mov_b32 s3, exec_lo
	s_waitcnt vmcnt(0)
	v_and_b32_e32 v43, 0xff, v3
	v_and_b32_e32 v42, 0xffff, v3
	s_delay_alu instid0(VALU_DEP_2)
	v_cmpx_ne_u16_e32 0, v43
	s_cbranch_execz .LBB303_178
; %bb.171:                              ;   in Loop: Header=BB303_10 Depth=1
	s_delay_alu instid0(VALU_DEP_2) | instskip(SKIP_2) | instid1(VALU_DEP_2)
	v_and_b32_e32 v3, 0xff, v42
	v_bfrev_b32_e32 v40, 1
	s_mov_b32 s40, exec_lo
	v_cmpx_ne_u16_e32 0x80, v3
	s_cbranch_execz .LBB303_177
; %bb.172:                              ;   in Loop: Header=BB303_10 Depth=1
	v_and_b32_e32 v43, 0x7f, v42
	v_mov_b32_e32 v40, 0x7fc02000
	s_mov_b32 s41, exec_lo
	s_delay_alu instid0(VALU_DEP_2)
	v_cmpx_ne_u32_e32 0x7f, v43
	s_cbranch_execz .LBB303_176
; %bb.173:                              ;   in Loop: Header=BB303_10 Depth=1
	v_and_b32_e32 v3, 7, v42
	v_lshrrev_b32_e32 v40, 3, v43
	s_mov_b32 s42, exec_lo
	v_cmpx_gt_u32_e32 8, v43
; %bb.174:                              ;   in Loop: Header=BB303_10 Depth=1
	s_delay_alu instid0(VALU_DEP_3) | instskip(NEXT) | instid1(VALU_DEP_1)
	v_clz_i32_u32_e32 v40, v3
	v_min_u32_e32 v40, 32, v40
	s_delay_alu instid0(VALU_DEP_1) | instskip(SKIP_1) | instid1(VALU_DEP_2)
	v_subrev_nc_u32_e32 v43, 28, v40
	v_sub_nc_u32_e32 v40, 29, v40
	v_lshlrev_b64 v[43:44], v43, v[3:4]
	s_delay_alu instid0(VALU_DEP_1)
	v_and_b32_e32 v3, 7, v43
; %bb.175:                              ;   in Loop: Header=BB303_10 Depth=1
	s_or_b32 exec_lo, exec_lo, s42
	v_lshlrev_b32_e32 v43, 8, v42
	v_lshl_add_u32 v40, v40, 10, 0x2000
	s_delay_alu instid0(VALU_DEP_1) | instskip(NEXT) | instid1(VALU_DEP_1)
	v_and_or_b32 v40, 0x8000, v43, v40
	v_lshl_or_b32 v3, v3, 7, v40
	s_delay_alu instid0(VALU_DEP_1)
	v_cvt_f32_f16_e32 v40, v3
.LBB303_176:                            ;   in Loop: Header=BB303_10 Depth=1
	s_or_b32 exec_lo, exec_lo, s41
.LBB303_177:                            ;   in Loop: Header=BB303_10 Depth=1
	s_delay_alu instid0(SALU_CYCLE_1)
	s_or_b32 exec_lo, exec_lo, s40
.LBB303_178:                            ;   in Loop: Header=BB303_10 Depth=1
	s_delay_alu instid0(SALU_CYCLE_1) | instskip(NEXT) | instid1(VALU_DEP_2)
	s_or_b32 exec_lo, exec_lo, s3
	v_lshrrev_b16 v3, 8, v42
	v_dual_mov_b32 v42, 0 :: v_dual_mov_b32 v43, 0
	s_mov_b32 s3, exec_lo
	s_delay_alu instid0(VALU_DEP_2)
	v_cmpx_ne_u16_e32 0, v3
	s_cbranch_execz .LBB303_186
; %bb.179:                              ;   in Loop: Header=BB303_10 Depth=1
	v_bfrev_b32_e32 v43, 1
	s_mov_b32 s40, exec_lo
	v_cmpx_ne_u16_e32 0x80, v3
	s_cbranch_execz .LBB303_185
; %bb.180:                              ;   in Loop: Header=BB303_10 Depth=1
	v_and_b32_e32 v44, 0xffff, v3
	v_mov_b32_e32 v43, 0x7fc02000
	s_mov_b32 s41, exec_lo
	s_delay_alu instid0(VALU_DEP_2) | instskip(NEXT) | instid1(VALU_DEP_1)
	v_and_b32_e32 v45, 0x7f, v44
	v_cmpx_ne_u32_e32 0x7f, v45
	s_cbranch_execz .LBB303_184
; %bb.181:                              ;   in Loop: Header=BB303_10 Depth=1
	v_and_b32_e32 v3, 7, v44
	v_lshrrev_b32_e32 v43, 3, v45
	s_mov_b32 s42, exec_lo
	v_cmpx_gt_u32_e32 8, v45
; %bb.182:                              ;   in Loop: Header=BB303_10 Depth=1
	s_delay_alu instid0(VALU_DEP_3) | instskip(NEXT) | instid1(VALU_DEP_1)
	v_clz_i32_u32_e32 v43, v3
	v_min_u32_e32 v43, 32, v43
	s_delay_alu instid0(VALU_DEP_1) | instskip(SKIP_1) | instid1(VALU_DEP_2)
	v_subrev_nc_u32_e32 v45, 28, v43
	v_sub_nc_u32_e32 v43, 29, v43
	v_lshlrev_b64 v[45:46], v45, v[3:4]
	s_delay_alu instid0(VALU_DEP_1)
	v_and_b32_e32 v3, 7, v45
; %bb.183:                              ;   in Loop: Header=BB303_10 Depth=1
	s_or_b32 exec_lo, exec_lo, s42
	v_lshlrev_b32_e32 v44, 8, v44
	v_lshl_add_u32 v43, v43, 10, 0x2000
	s_delay_alu instid0(VALU_DEP_1) | instskip(NEXT) | instid1(VALU_DEP_1)
	v_and_or_b32 v43, 0x8000, v44, v43
	v_lshl_or_b32 v3, v3, 7, v43
	s_delay_alu instid0(VALU_DEP_1)
	v_cvt_f32_f16_e32 v43, v3
.LBB303_184:                            ;   in Loop: Header=BB303_10 Depth=1
	s_or_b32 exec_lo, exec_lo, s41
.LBB303_185:                            ;   in Loop: Header=BB303_10 Depth=1
	s_delay_alu instid0(SALU_CYCLE_1)
	s_or_b32 exec_lo, exec_lo, s40
.LBB303_186:                            ;   in Loop: Header=BB303_10 Depth=1
	s_delay_alu instid0(SALU_CYCLE_1)
	s_or_b32 exec_lo, exec_lo, s3
	global_load_u16 v3, v[9:10], off offset:648
	s_mov_b32 s3, exec_lo
	s_waitcnt vmcnt(0)
	v_and_b32_e32 v10, 0xff, v3
	v_and_b32_e32 v9, 0xffff, v3
	s_delay_alu instid0(VALU_DEP_2)
	v_cmpx_ne_u16_e32 0, v10
	s_cbranch_execz .LBB303_194
; %bb.187:                              ;   in Loop: Header=BB303_10 Depth=1
	s_delay_alu instid0(VALU_DEP_2) | instskip(SKIP_2) | instid1(VALU_DEP_2)
	v_and_b32_e32 v3, 0xff, v9
	v_bfrev_b32_e32 v42, 1
	s_mov_b32 s40, exec_lo
	v_cmpx_ne_u16_e32 0x80, v3
	s_cbranch_execz .LBB303_193
; %bb.188:                              ;   in Loop: Header=BB303_10 Depth=1
	v_and_b32_e32 v44, 0x7f, v9
	v_mov_b32_e32 v42, 0x7fc02000
	s_mov_b32 s41, exec_lo
	s_delay_alu instid0(VALU_DEP_2)
	v_cmpx_ne_u32_e32 0x7f, v44
	s_cbranch_execz .LBB303_192
; %bb.189:                              ;   in Loop: Header=BB303_10 Depth=1
	v_and_b32_e32 v3, 7, v9
	v_lshrrev_b32_e32 v10, 3, v44
	s_mov_b32 s42, exec_lo
	v_cmpx_gt_u32_e32 8, v44
; %bb.190:                              ;   in Loop: Header=BB303_10 Depth=1
	s_delay_alu instid0(VALU_DEP_3) | instskip(NEXT) | instid1(VALU_DEP_1)
	v_clz_i32_u32_e32 v10, v3
	v_min_u32_e32 v10, 32, v10
	s_delay_alu instid0(VALU_DEP_1) | instskip(SKIP_1) | instid1(VALU_DEP_2)
	v_subrev_nc_u32_e32 v42, 28, v10
	v_sub_nc_u32_e32 v10, 29, v10
	v_lshlrev_b64 v[44:45], v42, v[3:4]
	s_delay_alu instid0(VALU_DEP_1)
	v_and_b32_e32 v3, 7, v44
; %bb.191:                              ;   in Loop: Header=BB303_10 Depth=1
	s_or_b32 exec_lo, exec_lo, s42
	v_lshlrev_b32_e32 v42, 8, v9
	v_lshl_add_u32 v10, v10, 10, 0x2000
	s_delay_alu instid0(VALU_DEP_1) | instskip(NEXT) | instid1(VALU_DEP_1)
	v_and_or_b32 v10, 0x8000, v42, v10
	v_lshl_or_b32 v3, v3, 7, v10
	s_delay_alu instid0(VALU_DEP_1)
	v_cvt_f32_f16_e32 v42, v3
.LBB303_192:                            ;   in Loop: Header=BB303_10 Depth=1
	s_or_b32 exec_lo, exec_lo, s41
.LBB303_193:                            ;   in Loop: Header=BB303_10 Depth=1
	s_delay_alu instid0(SALU_CYCLE_1)
	s_or_b32 exec_lo, exec_lo, s40
.LBB303_194:                            ;   in Loop: Header=BB303_10 Depth=1
	s_delay_alu instid0(SALU_CYCLE_1) | instskip(NEXT) | instid1(VALU_DEP_2)
	s_or_b32 exec_lo, exec_lo, s3
	v_lshrrev_b16 v9, 8, v9
	v_mov_b32_e32 v3, 0
	s_mov_b32 s3, exec_lo
	s_delay_alu instid0(VALU_DEP_2)
	v_cmpx_ne_u16_e32 0, v9
	s_cbranch_execz .LBB303_202
; %bb.195:                              ;   in Loop: Header=BB303_10 Depth=1
	v_bfrev_b32_e32 v3, 1
	s_mov_b32 s40, exec_lo
	v_cmpx_ne_u16_e32 0x80, v9
	s_cbranch_execz .LBB303_201
; %bb.196:                              ;   in Loop: Header=BB303_10 Depth=1
	v_and_b32_e32 v9, 0xffff, v9
	v_mov_b32_e32 v3, 0x7fc02000
	s_mov_b32 s41, exec_lo
	s_delay_alu instid0(VALU_DEP_2) | instskip(NEXT) | instid1(VALU_DEP_1)
	v_and_b32_e32 v44, 0x7f, v9
	v_cmpx_ne_u32_e32 0x7f, v44
	s_cbranch_execz .LBB303_200
; %bb.197:                              ;   in Loop: Header=BB303_10 Depth=1
	v_and_b32_e32 v3, 7, v9
	v_lshrrev_b32_e32 v10, 3, v44
	s_mov_b32 s42, exec_lo
	v_cmpx_gt_u32_e32 8, v44
; %bb.198:                              ;   in Loop: Header=BB303_10 Depth=1
	s_delay_alu instid0(VALU_DEP_3) | instskip(NEXT) | instid1(VALU_DEP_1)
	v_clz_i32_u32_e32 v10, v3
	v_min_u32_e32 v10, 32, v10
	s_delay_alu instid0(VALU_DEP_1) | instskip(SKIP_1) | instid1(VALU_DEP_2)
	v_subrev_nc_u32_e32 v44, 28, v10
	v_sub_nc_u32_e32 v10, 29, v10
	v_lshlrev_b64 v[44:45], v44, v[3:4]
	s_delay_alu instid0(VALU_DEP_1)
	v_and_b32_e32 v3, 7, v44
; %bb.199:                              ;   in Loop: Header=BB303_10 Depth=1
	s_or_b32 exec_lo, exec_lo, s42
	v_lshlrev_b32_e32 v9, 8, v9
	v_lshl_add_u32 v10, v10, 10, 0x2000
	s_delay_alu instid0(VALU_DEP_1) | instskip(NEXT) | instid1(VALU_DEP_1)
	v_and_or_b32 v9, 0x8000, v9, v10
	v_lshl_or_b32 v3, v3, 7, v9
	s_delay_alu instid0(VALU_DEP_1)
	v_cvt_f32_f16_e32 v3, v3
.LBB303_200:                            ;   in Loop: Header=BB303_10 Depth=1
	s_or_b32 exec_lo, exec_lo, s41
.LBB303_201:                            ;   in Loop: Header=BB303_10 Depth=1
	s_delay_alu instid0(SALU_CYCLE_1)
	s_or_b32 exec_lo, exec_lo, s40
.LBB303_202:                            ;   in Loop: Header=BB303_10 Depth=1
	s_delay_alu instid0(SALU_CYCLE_1)
	s_or_b32 exec_lo, exec_lo, s3
	ds_load_b32 v9, v16
	v_fma_mixlo_f16 v10, v20, v21, 0
	v_fma_mixlo_f16 v21, v20, v23, 0
	;; [unrolled: 1-line block ×5, first 2 shown]
	v_and_b32_e32 v10, 0xffff, v10
	v_fma_mixlo_f16 v27, v20, v27, 0
	v_fma_mixlo_f16 v26, v20, v26, 0
	;; [unrolled: 1-line block ×5, first 2 shown]
	v_and_b32_e32 v27, 0xffff, v27
	v_fma_mixlo_f16 v30, v20, v30, 0
	v_and_b32_e32 v29, 0xffff, v29
	v_fma_mixlo_f16 v33, v20, v33, 0
	;; [unrolled: 2-line block ×3, first 2 shown]
	v_fma_mixlo_f16 v35, v20, v35, 0
	v_fma_mixlo_f16 v34, v20, v34, 0
	s_waitcnt lgkmcnt(0)
	v_and_b32_e32 v23, 0xffff, v9
	v_lshrrev_b32_e32 v9, 16, v9
	;;#ASMSTART
	v_cvt_f32_f16 v23, v23;
	;;#ASMEND
	;;#ASMSTART
	v_cvt_f32_f16 v9, v9;
	;;#ASMEND
	;; [unrolled: 3-line block ×3, first 2 shown]
	v_and_b32_e32 v21, 0xffff, v21
	;;#ASMSTART
	v_cvt_f32_f16 v21, v21;
	;;#ASMEND
	ds_load_b32 v44, v16 offset:4
	v_and_b32_e32 v22, 0xffff, v22
	v_and_b32_e32 v33, 0xffff, v33
	;; [unrolled: 1-line block ×3, first 2 shown]
	v_fma_mixlo_f16 v37, v20, v37, 0
	v_fma_mixlo_f16 v36, v20, v36, 0
	;; [unrolled: 1-line block ×5, first 2 shown]
	v_and_b32_e32 v37, 0xffff, v37
	v_fma_mixlo_f16 v3, v20, v3, 0
	v_and_b32_e32 v39, 0xffff, v39
	s_delay_alu instid0(VALU_DEP_4) | instskip(NEXT) | instid1(VALU_DEP_3)
	v_and_b32_e32 v41, 0xffff, v41
	v_and_b32_e32 v3, 0xffff, v3
	s_waitcnt lgkmcnt(0)
	v_and_b32_e32 v45, 0xffff, v44
	v_lshrrev_b32_e32 v44, 16, v44
	;;#ASMSTART
	v_cvt_f32_f16 v45, v45;
	;;#ASMEND
	;;#ASMSTART
	v_cvt_f32_f16 v44, v44;
	;;#ASMEND
	;; [unrolled: 3-line block ×3, first 2 shown]
	v_mul_f32_e32 v22, v45, v22
	s_delay_alu instid0(VALU_DEP_1) | instskip(SKIP_4) | instid1(VALU_DEP_2)
	v_dual_fmac_f32 v22, v23, v10 :: v_dual_and_b32 v25, 0xffff, v25
	;;#ASMSTART
	v_cvt_f32_f16 v25, v25;
	;;#ASMEND
	ds_load_b32 v46, v16 offset:8
	v_mul_f32_e32 v25, v44, v25
	v_fma_mixlo_f16 v10, v20, v43, 0
	v_fmac_f32_e32 v25, v9, v21
	v_fma_mixlo_f16 v9, v20, v40, 0
	s_delay_alu instid0(VALU_DEP_3) | instskip(NEXT) | instid1(VALU_DEP_2)
	v_and_b32_e32 v10, 0xffff, v10
	v_and_b32_e32 v9, 0xffff, v9
	s_waitcnt lgkmcnt(0)
	v_and_b32_e32 v47, 0xffff, v46
	v_lshrrev_b32_e32 v46, 16, v46
	;;#ASMSTART
	v_cvt_f32_f16 v47, v47;
	;;#ASMEND
	;;#ASMSTART
	v_cvt_f32_f16 v46, v46;
	;;#ASMEND
	v_and_b32_e32 v24, 0xffff, v24
	;;#ASMSTART
	v_cvt_f32_f16 v24, v24;
	;;#ASMEND
	;;#ASMSTART
	v_cvt_f32_f16 v27, v27;
	;;#ASMEND
	v_fmac_f32_e32 v25, v46, v27
	ds_load_b32 v48, v16 offset:12
	v_fmac_f32_e32 v22, v47, v24
	s_waitcnt lgkmcnt(0)
	v_and_b32_e32 v49, 0xffff, v48
	v_lshrrev_b32_e32 v48, 16, v48
	;;#ASMSTART
	v_cvt_f32_f16 v49, v49;
	;;#ASMEND
	;;#ASMSTART
	v_cvt_f32_f16 v48, v48;
	;;#ASMEND
	v_and_b32_e32 v26, 0xffff, v26
	;;#ASMSTART
	v_cvt_f32_f16 v26, v26;
	;;#ASMEND
	;;#ASMSTART
	v_cvt_f32_f16 v29, v29;
	;;#ASMEND
	v_fmac_f32_e32 v25, v48, v29
	ds_load_b32 v50, v16 offset:16
	v_fmac_f32_e32 v22, v49, v26
	v_fma_mixlo_f16 v26, v20, v42, 0
	v_xor_b32_e32 v20, 2, v11
	s_delay_alu instid0(VALU_DEP_1) | instskip(NEXT) | instid1(VALU_DEP_1)
	v_cmp_gt_i32_e64 s1, 32, v20
	v_cndmask_b32_e64 v20, v11, v20, s1
	s_waitcnt lgkmcnt(0)
	v_and_b32_e32 v51, 0xffff, v50
	v_lshrrev_b32_e32 v50, 16, v50
	;;#ASMSTART
	v_cvt_f32_f16 v51, v51;
	;;#ASMEND
	;;#ASMSTART
	v_cvt_f32_f16 v50, v50;
	;;#ASMEND
	v_and_b32_e32 v28, 0xffff, v28
	;;#ASMSTART
	v_cvt_f32_f16 v28, v28;
	;;#ASMEND
	;;#ASMSTART
	v_cvt_f32_f16 v31, v31;
	;;#ASMEND
	v_fmac_f32_e32 v25, v50, v31
	ds_load_b32 v52, v16 offset:20
	v_fmac_f32_e32 v22, v51, v28
	s_waitcnt lgkmcnt(0)
	v_and_b32_e32 v53, 0xffff, v52
	v_lshrrev_b32_e32 v52, 16, v52
	;;#ASMSTART
	v_cvt_f32_f16 v53, v53;
	;;#ASMEND
	;;#ASMSTART
	v_cvt_f32_f16 v52, v52;
	;;#ASMEND
	v_and_b32_e32 v30, 0xffff, v30
	;;#ASMSTART
	v_cvt_f32_f16 v30, v30;
	;;#ASMEND
	;;#ASMSTART
	v_cvt_f32_f16 v33, v33;
	;;#ASMEND
	v_fmac_f32_e32 v25, v52, v33
	ds_load_b32 v54, v16 offset:24
	v_fmac_f32_e32 v22, v53, v30
	;; [unrolled: 19-line block ×5, first 2 shown]
	s_waitcnt lgkmcnt(0)
	v_and_b32_e32 v61, 0xffff, v60
	v_lshrrev_b32_e32 v60, 16, v60
	;;#ASMSTART
	v_cvt_f32_f16 v44, v61;
	;;#ASMEND
	;;#ASMSTART
	v_cvt_f32_f16 v45, v60;
	;;#ASMEND
	v_and_b32_e32 v38, 0xffff, v38
	;;#ASMSTART
	v_cvt_f32_f16 v38, v38;
	;;#ASMEND
	;;#ASMSTART
	v_cvt_f32_f16 v41, v41;
	;;#ASMEND
	v_fmac_f32_e32 v25, v45, v41
	ds_load_b32 v60, v16 offset:40
	s_waitcnt lgkmcnt(0)
	v_dual_fmac_f32 v22, v44, v38 :: v_dual_and_b32 v21, 0xffff, v60
	v_lshrrev_b32_e32 v23, 16, v60
	;;#ASMSTART
	v_cvt_f32_f16 v21, v21;
	;;#ASMEND
	;;#ASMSTART
	v_cvt_f32_f16 v23, v23;
	;;#ASMEND
	;; [unrolled: 3-line block ×4, first 2 shown]
	ds_load_b32 v24, v16 offset:44
	v_dual_fmac_f32 v22, v21, v9 :: v_dual_fmac_f32 v25, v23, v10
	s_waitcnt lgkmcnt(0)
	v_lshrrev_b32_e32 v27, 16, v24
	v_and_b32_e32 v24, 0xffff, v24
	;;#ASMSTART
	v_cvt_f32_f16 v9, v24;
	;;#ASMEND
	;;#ASMSTART
	v_cvt_f32_f16 v10, v27;
	;;#ASMEND
	v_and_b32_e32 v26, 0xffff, v26
	;;#ASMSTART
	v_cvt_f32_f16 v21, v26;
	;;#ASMEND
	;;#ASMSTART
	v_cvt_f32_f16 v3, v3;
	;;#ASMEND
	v_dual_fmac_f32 v25, v10, v3 :: v_dual_fmac_f32 v22, v9, v21
	v_lshlrev_b32_e32 v3, 2, v20
	v_xor_b32_e32 v10, 1, v11
	s_delay_alu instid0(VALU_DEP_3) | instskip(NEXT) | instid1(VALU_DEP_2)
	v_add_f32_e32 v9, v22, v25
	v_cmp_gt_i32_e64 s1, 32, v10
	ds_bpermute_b32 v3, v3, v9
	v_cndmask_b32_e64 v10, v11, v10, s1
	s_waitcnt lgkmcnt(0)
	v_add_f32_e32 v3, v9, v3
	s_delay_alu instid0(VALU_DEP_2)
	v_lshlrev_b32_e32 v9, 2, v10
	ds_bpermute_b32 v9, v9, v3
	s_and_saveexec_b32 s3, vcc_lo
	s_cbranch_execz .LBB303_9
; %bb.203:                              ;   in Loop: Header=BB303_10 Depth=1
	s_waitcnt lgkmcnt(0)
	v_add_f32_e32 v3, v3, v9
	v_add_nc_u32_e32 v10, s37, v17
	v_cmp_gt_i32_e64 s1, s15, v17
	s_delay_alu instid0(VALU_DEP_2) | instskip(NEXT) | instid1(VALU_DEP_1)
	v_cvt_f32_i32_e32 v10, v10
	v_mul_f32_e32 v10, s34, v10
	s_delay_alu instid0(VALU_DEP_1) | instskip(NEXT) | instid1(VALU_DEP_1)
	v_cndmask_b32_e64 v9, 0, v10, s0
	v_dual_max_f32 v10, v13, v13 :: v_dual_fmac_f32 v9, s35, v3
	s_delay_alu instid0(VALU_DEP_1) | instskip(SKIP_1) | instid1(VALU_DEP_2)
	v_max_f32_e32 v3, v10, v9
	v_cndmask_b32_e64 v9, 0, v9, s1
	v_cndmask_b32_e64 v13, v13, v3, s1
	ds_store_b32 v18, v9
	s_branch .LBB303_9
.LBB303_204:
	s_or_b32 exec_lo, exec_lo, s38
.LBB303_205:
	s_delay_alu instid0(SALU_CYCLE_1) | instskip(SKIP_3) | instid1(VALU_DEP_3)
	s_or_b32 exec_lo, exec_lo, s36
	v_xor_b32_e32 v3, 16, v11
	v_xor_b32_e32 v5, 8, v11
	v_max_f32_e32 v7, v13, v13
	v_cmp_lt_i32_e32 vcc_lo, v3, v15
	v_cndmask_b32_e32 v3, v11, v3, vcc_lo
	s_delay_alu instid0(VALU_DEP_4) | instskip(SKIP_1) | instid1(VALU_DEP_1)
	v_cmp_lt_i32_e32 vcc_lo, v5, v15
	v_cndmask_b32_e32 v5, v11, v5, vcc_lo
	v_lshlrev_b32_e32 v6, 2, v5
	s_delay_alu instid0(VALU_DEP_4) | instskip(SKIP_4) | instid1(VALU_DEP_1)
	v_lshlrev_b32_e32 v4, 2, v3
	ds_bpermute_b32 v3, v4, v13
	v_and_b32_e32 v13, 31, v0
	s_waitcnt lgkmcnt(0)
	v_max_f32_e32 v3, v3, v3
	v_max_f32_e32 v3, v7, v3
	v_xor_b32_e32 v7, 4, v11
	ds_bpermute_b32 v5, v6, v3
	v_cmp_lt_i32_e32 vcc_lo, v7, v15
	v_cndmask_b32_e32 v7, v11, v7, vcc_lo
	v_cmp_eq_u32_e32 vcc_lo, 0, v13
	s_delay_alu instid0(VALU_DEP_2) | instskip(SKIP_3) | instid1(VALU_DEP_1)
	v_lshlrev_b32_e32 v8, 2, v7
	v_lshlrev_b32_e32 v7, 2, v12
	s_waitcnt lgkmcnt(0)
	v_max_f32_e32 v5, v5, v5
	v_max_f32_e32 v3, v3, v5
	ds_bpermute_b32 v5, v8, v3
	s_and_saveexec_b32 s0, vcc_lo
	s_cbranch_execz .LBB303_207
; %bb.206:
	s_waitcnt lgkmcnt(0)
	v_max_f32_e32 v5, v5, v5
	v_max_f32_e32 v3, v3, v3
	s_delay_alu instid0(VALU_DEP_1)
	v_max_f32_e32 v3, v3, v5
	ds_store_b32 v7, v3 offset:192
.LBB303_207:
	s_or_b32 exec_lo, exec_lo, s0
	v_cmp_gt_u32_e64 s0, 4, v13
	v_dual_mov_b32 v3, 0xff7fffff :: v_dual_lshlrev_b32 v14, 2, v13
	s_waitcnt lgkmcnt(0)
	s_barrier
	buffer_gl0_inv
	s_and_saveexec_b32 s1, s0
	s_cbranch_execz .LBB303_209
; %bb.208:
	ds_load_b32 v3, v14 offset:192
.LBB303_209:
	s_or_b32 exec_lo, exec_lo, s1
	v_xor_b32_e32 v5, 2, v11
	v_xor_b32_e32 v10, 1, v11
	s_delay_alu instid0(VALU_DEP_2) | instskip(NEXT) | instid1(VALU_DEP_1)
	v_cmp_lt_i32_e64 s1, v5, v15
	v_cndmask_b32_e64 v5, v11, v5, s1
	s_delay_alu instid0(VALU_DEP_3) | instskip(SKIP_1) | instid1(VALU_DEP_3)
	v_cmp_lt_i32_e64 s1, v10, v15
	v_mov_b32_e32 v15, 0
	v_lshlrev_b32_e32 v9, 2, v5
	s_delay_alu instid0(VALU_DEP_3) | instskip(SKIP_2) | instid1(SALU_CYCLE_1)
	v_cndmask_b32_e64 v10, v11, v10, s1
	v_lshlrev_b32_e32 v11, 2, v11
	s_sub_i32 s1, s11, s25
	s_lshl_b32 s1, s1, 3
	s_waitcnt lgkmcnt(0)
	ds_bpermute_b32 v5, v9, v3
	v_dual_max_f32 v3, v3, v3 :: v_dual_lshlrev_b32 v10, 2, v10
	v_and_b32_e32 v11, 0xffffff80, v11
	s_add_i32 s1, s1, s33
	s_delay_alu instid0(SALU_CYCLE_1) | instskip(NEXT) | instid1(SALU_CYCLE_1)
	s_min_i32 s1, s1, s15
	s_sub_i32 s4, s1, s33
	s_delay_alu instid0(SALU_CYCLE_1) | instskip(SKIP_2) | instid1(VALU_DEP_1)
	v_cmp_gt_i32_e64 s1, s4, v0
	s_waitcnt lgkmcnt(0)
	v_max_f32_e32 v5, v5, v5
	v_max_f32_e32 v3, v3, v5
	ds_bpermute_b32 v5, v10, v3
	s_waitcnt lgkmcnt(0)
	v_max_f32_e32 v5, v5, v5
	s_delay_alu instid0(VALU_DEP_1)
	v_max_f32_e32 v3, v3, v5
	v_lshl_add_u32 v5, v0, 2, 0xe0
	ds_bpermute_b32 v3, v11, v3
	s_and_saveexec_b32 s5, s1
	s_cbranch_execz .LBB303_213
; %bb.210:
	v_lshl_add_u32 v16, v0, 2, 0xe0
	v_mov_b32_e32 v15, 0
	v_mov_b32_e32 v17, v0
	s_mov_b32 s25, 0
	.p2align	6
.LBB303_211:                            ; =>This Inner Loop Header: Depth=1
	ds_load_b32 v18, v16
	v_add_nc_u32_e32 v17, 0x80, v17
	s_delay_alu instid0(VALU_DEP_1) | instskip(NEXT) | instid1(VALU_DEP_1)
	v_cmp_le_i32_e64 s3, s4, v17
	s_or_b32 s25, s3, s25
	s_waitcnt lgkmcnt(0)
	v_sub_f32_e32 v18, v18, v3
	s_delay_alu instid0(VALU_DEP_1) | instskip(NEXT) | instid1(VALU_DEP_1)
	v_mul_f32_e32 v18, 0x3fb8aa3b, v18
	v_exp_f32_e32 v18, v18
	ds_store_b32 v16, v18
	v_dual_add_f32 v15, v15, v18 :: v_dual_add_nc_u32 v16, 0x200, v16
	s_and_not1_b32 exec_lo, exec_lo, s25
	s_cbranch_execnz .LBB303_211
; %bb.212:
	s_or_b32 exec_lo, exec_lo, s25
.LBB303_213:
	s_delay_alu instid0(SALU_CYCLE_1)
	s_or_b32 exec_lo, exec_lo, s5
	ds_bpermute_b32 v4, v4, v15
	s_waitcnt lgkmcnt(0)
	v_add_f32_e32 v4, v15, v4
	ds_bpermute_b32 v6, v6, v4
	s_waitcnt lgkmcnt(0)
	v_add_f32_e32 v4, v4, v6
	;; [unrolled: 3-line block ×5, first 2 shown]
	s_and_saveexec_b32 s3, vcc_lo
	s_cbranch_execz .LBB303_215
; %bb.214:
	ds_store_b32 v7, v4 offset:208
.LBB303_215:
	s_or_b32 exec_lo, exec_lo, s3
	s_waitcnt lgkmcnt(0)
	s_barrier
	buffer_gl0_inv
	s_and_saveexec_b32 s3, s0
	s_cbranch_execz .LBB303_217
; %bb.216:
	ds_load_b32 v4, v14 offset:208
.LBB303_217:
	s_or_b32 exec_lo, exec_lo, s3
	s_waitcnt lgkmcnt(0)
	ds_bpermute_b32 v6, v9, v4
	s_waitcnt lgkmcnt(0)
	v_add_f32_e32 v4, v4, v6
	ds_bpermute_b32 v6, v10, v4
	s_waitcnt lgkmcnt(0)
	v_add_f32_e32 v4, v4, v6
	ds_bpermute_b32 v4, v11, v4
	s_and_saveexec_b32 s0, s1
	s_cbranch_execz .LBB303_220
; %bb.218:
	s_waitcnt lgkmcnt(0)
	v_add_f32_e32 v6, 0x358637bd, v4
	s_mov_b32 s1, 0
	s_delay_alu instid0(VALU_DEP_1) | instskip(SKIP_1) | instid1(VALU_DEP_2)
	v_div_scale_f32 v7, null, v6, v6, 1.0
	v_div_scale_f32 v10, vcc_lo, 1.0, v6, 1.0
	v_rcp_f32_e32 v8, v7
	s_waitcnt_depctr 0xfff
	v_fma_f32 v9, -v7, v8, 1.0
	s_delay_alu instid0(VALU_DEP_1) | instskip(NEXT) | instid1(VALU_DEP_1)
	v_fmac_f32_e32 v8, v9, v8
	v_mul_f32_e32 v9, v10, v8
	s_delay_alu instid0(VALU_DEP_1) | instskip(NEXT) | instid1(VALU_DEP_1)
	v_fma_f32 v11, -v7, v9, v10
	v_fmac_f32_e32 v9, v11, v8
	s_delay_alu instid0(VALU_DEP_1) | instskip(NEXT) | instid1(VALU_DEP_1)
	v_fma_f32 v7, -v7, v9, v10
	v_div_fmas_f32 v7, v7, v8, v9
	s_delay_alu instid0(VALU_DEP_1)
	v_div_fixup_f32 v6, v7, v6, 1.0
	v_mov_b32_e32 v7, v0
.LBB303_219:                            ; =>This Inner Loop Header: Depth=1
	ds_load_b32 v8, v5
	s_waitcnt lgkmcnt(0)
	v_dual_mul_f32 v8, v6, v8 :: v_dual_add_nc_u32 v7, 0x80, v7
	s_delay_alu instid0(VALU_DEP_1) | instskip(SKIP_3) | instid1(SALU_CYCLE_1)
	v_cmp_le_i32_e32 vcc_lo, s4, v7
	ds_store_b32 v5, v8
	v_add_nc_u32_e32 v5, 0x200, v5
	s_or_b32 s1, vcc_lo, s1
	s_and_not1_b32 exec_lo, exec_lo, s1
	s_cbranch_execnz .LBB303_219
.LBB303_220:
	s_or_b32 exec_lo, exec_lo, s0
	s_mul_i32 s0, s8, s14
	s_waitcnt lgkmcnt(0)
	s_mul_i32 s4, s0, s13
	s_mov_b32 s0, exec_lo
	s_barrier
	buffer_gl0_inv
	v_cmpx_eq_u32_e32 0, v0
	s_cbranch_execz .LBB303_222
; %bb.221:
	s_ashr_i32 s5, s4, 31
	s_mul_i32 s24, s8, s24
	s_lshl_b64 s[34:35], s[4:5], 2
	v_mov_b32_e32 v5, 0
	s_add_u32 s1, s18, s34
	s_addc_u32 s3, s19, s35
	s_ashr_i32 s25, s24, 31
	s_delay_alu instid0(SALU_CYCLE_1) | instskip(NEXT) | instid1(SALU_CYCLE_1)
	s_lshl_b64 s[18:19], s[24:25], 2
	s_add_u32 s1, s1, s18
	s_addc_u32 s3, s3, s19
	s_ashr_i32 s13, s12, 31
	s_delay_alu instid0(SALU_CYCLE_1) | instskip(NEXT) | instid1(SALU_CYCLE_1)
	s_lshl_b64 s[24:25], s[12:13], 2
	s_add_u32 s36, s1, s24
	s_addc_u32 s37, s3, s25
	s_add_u32 s1, s16, s34
	s_addc_u32 s3, s17, s35
	;; [unrolled: 2-line block ×4, first 2 shown]
	s_clause 0x1
	global_store_b32 v5, v3, s[36:37]
	global_store_b32 v5, v4, s[16:17]
.LBB303_222:
	s_or_b32 exec_lo, exec_lo, s0
	v_dual_mov_b32 v16, 0 :: v_dual_mov_b32 v17, 0
	v_mov_b32_e32 v15, 0
	s_mov_b32 s5, 0
	s_and_saveexec_b32 s1, s2
	s_cbranch_execz .LBB303_412
; %bb.223:
	v_dual_mov_b32 v3, 0 :: v_dual_lshlrev_b32 v4, 3, v13
	s_ashr_i32 s0, s10, 31
	s_add_u32 s10, s30, s10
	v_lshlrev_b64 v[6:7], 2, v[1:2]
	s_addc_u32 s0, s31, s0
	v_add_co_u32 v4, s10, s10, v4
	s_lshl_b64 s[16:17], s[28:29], 2
	s_add_i32 s21, s21, -1
	v_add_co_ci_u32_e64 v5, null, s0, 0, s10
	s_add_u32 s0, s26, s16
	s_addc_u32 s10, s27, s17
	v_add_co_u32 v6, vcc_lo, s0, v6
	v_lshl_add_u32 v18, v12, 3, s33
	v_lshl_add_u32 v19, v12, 5, 0xe0
	v_add_co_ci_u32_e32 v7, vcc_lo, s10, v7, vcc_lo
	v_dual_mov_b32 v15, 0 :: v_dual_mov_b32 v16, 0
	v_mov_b32_e32 v17, 0
	s_mov_b32 s2, -1
	s_mov_b32 s3, 0xffffff
	s_mov_b32 s10, s15
	s_branch .LBB303_225
.LBB303_224:                            ;   in Loop: Header=BB303_225 Depth=1
	s_or_b32 exec_lo, exec_lo, s0
	;;#ASMSTART
	v_pk_mul_f16 v9, v30, v34;

	;;#ASMEND
	;;#ASMSTART
	v_pk_mul_f16 v20, v29, v33;

	;;#ASMEND
	;; [unrolled: 4-line block ×4, first 2 shown]
	;;#ASMSTART
	v_pk_add_f16 v9, v9, v20;

	;;#ASMEND
	;;#ASMSTART
	v_pk_add_f16 v2, v9, v2;

	;;#ASMEND
	;;#ASMSTART
	v_pk_add_f16 v2, v2, v8;

	;;#ASMEND
	v_dual_add_f32 v9, v31, v32 :: v_dual_and_b32 v8, 0xffff, v2
	v_lshrrev_b32_e32 v2, 16, v2
	;;#ASMSTART
	v_cvt_f32_f16 v8, v8;
	;;#ASMEND
	;;#ASMSTART
	v_cvt_f32_f16 v2, v2;
	;;#ASMEND
	s_delay_alu instid0(VALU_DEP_1) | instskip(SKIP_2) | instid1(VALU_DEP_3)
	v_dual_add_f32 v2, v8, v2 :: v_dual_add_nc_u32 v1, 4, v1
	v_dual_add_f32 v10, v10, v11 :: v_dual_add_f32 v15, v15, v9
	v_add_co_u32 v6, s0, v6, 16
	v_cmp_le_i32_e32 vcc_lo, s11, v1
	s_delay_alu instid0(VALU_DEP_3) | instskip(SKIP_4) | instid1(SALU_CYCLE_1)
	v_add_f32_e32 v17, v17, v10
	v_dual_add_f32 v16, v16, v2 :: v_dual_add_nc_u32 v19, 0x80, v19
	v_add_nc_u32_e32 v18, 32, v18
	v_add_co_ci_u32_e64 v7, s0, 0, v7, s0
	s_or_b32 s5, vcc_lo, s5
	s_and_not1_b32 exec_lo, exec_lo, s5
	s_cbranch_execz .LBB303_411
.LBB303_225:                            ; =>This Inner Loop Header: Depth=1
	global_load_b32 v2, v[6:7], off
	ds_load_2addr_b64 v[20:23], v19 offset1:1
	ds_load_2addr_b64 v[33:36], v19 offset0:2 offset1:3
	s_mov_b32 s0, exec_lo
	s_waitcnt lgkmcnt(1)
	;;#ASMSTART
	v_cvt_f16_f32 v27, v20;

	;;#ASMEND
	;;#ASMSTART
	v_cvt_f16_f32 v28, v21;

	;;#ASMEND
	;;#ASMSTART
	v_cvt_f16_f32 v30, v22;

	;;#ASMEND
	;;#ASMSTART
	v_cvt_f16_f32 v29, v23;

	;;#ASMEND
	s_waitcnt lgkmcnt(0)
	;;#ASMSTART
	v_cvt_f16_f32 v33, v33;

	;;#ASMEND
	;;#ASMSTART
	v_cvt_f16_f32 v31, v34;

	;;#ASMEND
	;; [unrolled: 4-line block ×4, first 2 shown]
	v_mov_b32_e32 v21, 0
	s_waitcnt vmcnt(0)
	v_mad_i64_i32 v[8:9], null, v2, s9, v[4:5]
	global_load_b64 v[10:11], v[8:9], off
	global_load_b32 v20, v3, s[6:7]
	s_waitcnt vmcnt(1)
	v_and_b32_e32 v2, 0xff, v10
	s_delay_alu instid0(VALU_DEP_1)
	v_cmpx_ne_u16_e32 0, v2
	s_cbranch_execz .LBB303_231
; %bb.226:                              ;   in Loop: Header=BB303_225 Depth=1
	v_bfrev_b32_e32 v21, 1
	s_mov_b32 s13, exec_lo
	v_cmpx_ne_u16_e32 0x80, v2
	s_cbranch_execz .LBB303_230
; %bb.227:                              ;   in Loop: Header=BB303_225 Depth=1
	v_and_b32_e32 v2, 0x7f, v10
	v_mov_b32_e32 v21, 0x7fc02000
	s_mov_b32 s14, exec_lo
	s_delay_alu instid0(VALU_DEP_2)
	v_cmpx_ne_u32_e32 0x7f, v2
	s_cbranch_execz .LBB303_229
; %bb.228:                              ;   in Loop: Header=BB303_225 Depth=1
	v_cmp_gt_u32_e32 vcc_lo, 8, v2
	v_and_b32_e32 v21, 7, v10
	v_lshrrev_b32_e32 v22, 3, v2
	s_delay_alu instid0(VALU_DEP_2) | instskip(NEXT) | instid1(VALU_DEP_1)
	v_clz_i32_u32_e32 v21, v21
	v_min_u32_e32 v21, 32, v21
	s_delay_alu instid0(VALU_DEP_1) | instskip(SKIP_1) | instid1(VALU_DEP_1)
	v_subrev_nc_u32_e32 v23, 28, v21
	v_sub_nc_u32_e32 v21, 29, v21
	v_dual_cndmask_b32 v2, 0, v23 :: v_dual_cndmask_b32 v23, v22, v21
	s_delay_alu instid0(VALU_DEP_1) | instskip(SKIP_1) | instid1(VALU_DEP_3)
	v_lshlrev_b64 v[21:22], v2, v[10:11]
	v_lshlrev_b32_e32 v2, 8, v10
	v_lshl_add_u32 v22, v23, 10, 0x2000
	s_delay_alu instid0(VALU_DEP_3) | instskip(NEXT) | instid1(VALU_DEP_2)
	v_lshlrev_b32_e32 v21, 7, v21
	v_and_or_b32 v2, 0x8000, v2, v22
	s_delay_alu instid0(VALU_DEP_1) | instskip(NEXT) | instid1(VALU_DEP_1)
	v_and_or_b32 v2, 0x380, v21, v2
	v_cvt_f32_f16_e32 v21, v2
.LBB303_229:                            ;   in Loop: Header=BB303_225 Depth=1
	s_or_b32 exec_lo, exec_lo, s14
.LBB303_230:                            ;   in Loop: Header=BB303_225 Depth=1
	s_delay_alu instid0(SALU_CYCLE_1)
	s_or_b32 exec_lo, exec_lo, s13
.LBB303_231:                            ;   in Loop: Header=BB303_225 Depth=1
	s_delay_alu instid0(SALU_CYCLE_1) | instskip(SKIP_3) | instid1(VALU_DEP_2)
	s_or_b32 exec_lo, exec_lo, s0
	v_lshrrev_b16 v2, 8, v10
	v_dual_mov_b32 v23, 0 :: v_dual_mov_b32 v22, 0
	s_mov_b32 s0, exec_lo
	v_cmpx_ne_u16_e32 0, v2
	s_cbranch_execz .LBB303_239
; %bb.232:                              ;   in Loop: Header=BB303_225 Depth=1
	v_bfrev_b32_e32 v22, 1
	s_mov_b32 s13, exec_lo
	v_cmpx_ne_u16_e32 0x80, v2
	s_cbranch_execz .LBB303_238
; %bb.233:                              ;   in Loop: Header=BB303_225 Depth=1
	v_and_b32_e32 v24, 0xffff, v2
	v_mov_b32_e32 v22, 0x7fc02000
	s_mov_b32 s14, exec_lo
	s_delay_alu instid0(VALU_DEP_2) | instskip(NEXT) | instid1(VALU_DEP_1)
	v_and_b32_e32 v25, 0x7f, v24
	v_cmpx_ne_u32_e32 0x7f, v25
	s_cbranch_execz .LBB303_237
; %bb.234:                              ;   in Loop: Header=BB303_225 Depth=1
	v_and_b32_e32 v2, 7, v24
	v_lshrrev_b32_e32 v22, 3, v25
	s_mov_b32 s16, exec_lo
	v_cmpx_gt_u32_e32 8, v25
; %bb.235:                              ;   in Loop: Header=BB303_225 Depth=1
	s_delay_alu instid0(VALU_DEP_3) | instskip(NEXT) | instid1(VALU_DEP_1)
	v_clz_i32_u32_e32 v22, v2
	v_min_u32_e32 v22, 32, v22
	s_delay_alu instid0(VALU_DEP_1) | instskip(SKIP_1) | instid1(VALU_DEP_2)
	v_subrev_nc_u32_e32 v25, 28, v22
	v_sub_nc_u32_e32 v22, 29, v22
	v_lshlrev_b64 v[25:26], v25, v[2:3]
	s_delay_alu instid0(VALU_DEP_1)
	v_and_b32_e32 v2, 7, v25
; %bb.236:                              ;   in Loop: Header=BB303_225 Depth=1
	s_or_b32 exec_lo, exec_lo, s16
	v_lshlrev_b32_e32 v24, 8, v24
	v_lshl_add_u32 v22, v22, 10, 0x2000
	s_delay_alu instid0(VALU_DEP_1) | instskip(NEXT) | instid1(VALU_DEP_1)
	v_and_or_b32 v22, 0x8000, v24, v22
	v_lshl_or_b32 v2, v2, 7, v22
	s_delay_alu instid0(VALU_DEP_1)
	v_cvt_f32_f16_e32 v22, v2
.LBB303_237:                            ;   in Loop: Header=BB303_225 Depth=1
	s_or_b32 exec_lo, exec_lo, s14
.LBB303_238:                            ;   in Loop: Header=BB303_225 Depth=1
	s_delay_alu instid0(SALU_CYCLE_1)
	s_or_b32 exec_lo, exec_lo, s13
.LBB303_239:                            ;   in Loop: Header=BB303_225 Depth=1
	s_delay_alu instid0(SALU_CYCLE_1) | instskip(SKIP_2) | instid1(VALU_DEP_1)
	s_or_b32 exec_lo, exec_lo, s0
	v_lshrrev_b32_e32 v24, 16, v10
	s_mov_b32 s0, exec_lo
	v_and_b32_e32 v2, 0xff, v24
	s_delay_alu instid0(VALU_DEP_1)
	v_cmpx_ne_u16_e32 0, v2
	s_cbranch_execz .LBB303_247
; %bb.240:                              ;   in Loop: Header=BB303_225 Depth=1
	v_bfrev_b32_e32 v23, 1
	s_mov_b32 s13, exec_lo
	v_cmpx_ne_u16_e32 0x80, v2
	s_cbranch_execz .LBB303_246
; %bb.241:                              ;   in Loop: Header=BB303_225 Depth=1
	v_bfe_u32 v25, v10, 16, 7
	v_mov_b32_e32 v23, 0x7fc02000
	s_mov_b32 s14, exec_lo
	s_delay_alu instid0(VALU_DEP_2)
	v_cmpx_ne_u32_e32 0x7f, v25
	s_cbranch_execz .LBB303_245
; %bb.242:                              ;   in Loop: Header=BB303_225 Depth=1
	v_and_b32_e32 v2, 7, v24
	v_lshrrev_b32_e32 v23, 3, v25
	s_mov_b32 s16, exec_lo
	v_cmpx_gt_u32_e32 8, v25
; %bb.243:                              ;   in Loop: Header=BB303_225 Depth=1
	s_delay_alu instid0(VALU_DEP_3) | instskip(NEXT) | instid1(VALU_DEP_1)
	v_clz_i32_u32_e32 v23, v2
	v_min_u32_e32 v23, 32, v23
	s_delay_alu instid0(VALU_DEP_1) | instskip(SKIP_1) | instid1(VALU_DEP_2)
	v_subrev_nc_u32_e32 v25, 28, v23
	v_sub_nc_u32_e32 v23, 29, v23
	v_lshlrev_b64 v[25:26], v25, v[2:3]
	s_delay_alu instid0(VALU_DEP_1)
	v_and_b32_e32 v2, 7, v25
; %bb.244:                              ;   in Loop: Header=BB303_225 Depth=1
	s_or_b32 exec_lo, exec_lo, s16
	v_lshlrev_b32_e32 v24, 8, v24
	v_lshl_add_u32 v23, v23, 10, 0x2000
	s_delay_alu instid0(VALU_DEP_1) | instskip(NEXT) | instid1(VALU_DEP_1)
	v_and_or_b32 v23, 0x8000, v24, v23
	v_lshl_or_b32 v2, v2, 7, v23
	s_delay_alu instid0(VALU_DEP_1)
	v_cvt_f32_f16_e32 v23, v2
.LBB303_245:                            ;   in Loop: Header=BB303_225 Depth=1
	s_or_b32 exec_lo, exec_lo, s14
.LBB303_246:                            ;   in Loop: Header=BB303_225 Depth=1
	s_delay_alu instid0(SALU_CYCLE_1)
	s_or_b32 exec_lo, exec_lo, s13
.LBB303_247:                            ;   in Loop: Header=BB303_225 Depth=1
	s_delay_alu instid0(SALU_CYCLE_1)
	s_or_b32 exec_lo, exec_lo, s0
	v_dual_mov_b32 v24, 0 :: v_dual_mov_b32 v25, 0
	s_mov_b32 s0, exec_lo
	v_cmpx_lt_u32_e32 0xffffff, v10
	s_cbranch_execz .LBB303_255
; %bb.248:                              ;   in Loop: Header=BB303_225 Depth=1
	v_lshrrev_b32_e32 v26, 24, v10
	v_bfrev_b32_e32 v25, 1
	s_mov_b32 s13, exec_lo
	s_delay_alu instid0(VALU_DEP_2)
	v_cmpx_ne_u32_e32 0x80, v26
	s_cbranch_execz .LBB303_254
; %bb.249:                              ;   in Loop: Header=BB303_225 Depth=1
	v_and_b32_e32 v35, 0x7f, v26
	v_mov_b32_e32 v25, 0x7fc02000
	s_mov_b32 s14, exec_lo
	s_delay_alu instid0(VALU_DEP_2)
	v_cmpx_ne_u32_e32 0x7f, v35
	s_cbranch_execz .LBB303_253
; %bb.250:                              ;   in Loop: Header=BB303_225 Depth=1
	v_and_b32_e32 v2, 7, v26
	v_lshrrev_b32_e32 v25, 3, v35
	s_mov_b32 s16, exec_lo
	v_cmpx_gt_u32_e32 8, v35
; %bb.251:                              ;   in Loop: Header=BB303_225 Depth=1
	s_delay_alu instid0(VALU_DEP_3) | instskip(NEXT) | instid1(VALU_DEP_1)
	v_clz_i32_u32_e32 v25, v2
	v_min_u32_e32 v25, 32, v25
	s_delay_alu instid0(VALU_DEP_1) | instskip(SKIP_1) | instid1(VALU_DEP_2)
	v_subrev_nc_u32_e32 v35, 28, v25
	v_sub_nc_u32_e32 v25, 29, v25
	v_lshlrev_b64 v[35:36], v35, v[2:3]
	s_delay_alu instid0(VALU_DEP_1)
	v_and_b32_e32 v2, 7, v35
; %bb.252:                              ;   in Loop: Header=BB303_225 Depth=1
	s_or_b32 exec_lo, exec_lo, s16
	v_lshlrev_b32_e32 v26, 8, v26
	v_lshl_add_u32 v25, v25, 10, 0x2000
	s_delay_alu instid0(VALU_DEP_1) | instskip(NEXT) | instid1(VALU_DEP_1)
	v_and_or_b32 v25, 0x8000, v26, v25
	v_lshl_or_b32 v2, v2, 7, v25
	s_delay_alu instid0(VALU_DEP_1)
	v_cvt_f32_f16_e32 v25, v2
.LBB303_253:                            ;   in Loop: Header=BB303_225 Depth=1
	s_or_b32 exec_lo, exec_lo, s14
.LBB303_254:                            ;   in Loop: Header=BB303_225 Depth=1
	s_delay_alu instid0(SALU_CYCLE_1)
	s_or_b32 exec_lo, exec_lo, s13
.LBB303_255:                            ;   in Loop: Header=BB303_225 Depth=1
	s_delay_alu instid0(SALU_CYCLE_1) | instskip(SKIP_3) | instid1(VALU_DEP_2)
	s_or_b32 exec_lo, exec_lo, s0
	v_and_b32_e32 v26, 0xff, v11
	v_mov_b32_e32 v2, v11
	s_mov_b32 s0, exec_lo
	v_cmpx_ne_u16_e32 0, v26
	s_cbranch_execz .LBB303_261
; %bb.256:                              ;   in Loop: Header=BB303_225 Depth=1
	v_bfrev_b32_e32 v24, 1
	s_mov_b32 s13, exec_lo
	v_cmpx_ne_u16_e32 0x80, v26
	s_cbranch_execz .LBB303_260
; %bb.257:                              ;   in Loop: Header=BB303_225 Depth=1
	v_and_b32_e32 v26, 0x7f, v11
	v_mov_b32_e32 v24, 0x7fc02000
	s_mov_b32 s14, exec_lo
	s_delay_alu instid0(VALU_DEP_2)
	v_cmpx_ne_u32_e32 0x7f, v26
	s_cbranch_execz .LBB303_259
; %bb.258:                              ;   in Loop: Header=BB303_225 Depth=1
	v_and_b32_e32 v24, 7, v11
	v_cmp_gt_u32_e32 vcc_lo, 8, v26
	v_lshrrev_b32_e32 v35, 3, v26
	s_delay_alu instid0(VALU_DEP_3) | instskip(NEXT) | instid1(VALU_DEP_1)
	v_clz_i32_u32_e32 v24, v24
	v_min_u32_e32 v24, 32, v24
	s_delay_alu instid0(VALU_DEP_1) | instskip(SKIP_1) | instid1(VALU_DEP_2)
	v_subrev_nc_u32_e32 v36, 28, v24
	v_sub_nc_u32_e32 v24, 29, v24
	v_cndmask_b32_e32 v26, 0, v36, vcc_lo
	s_delay_alu instid0(VALU_DEP_2) | instskip(NEXT) | instid1(VALU_DEP_2)
	v_cndmask_b32_e32 v24, v35, v24, vcc_lo
	v_lshlrev_b64 v[35:36], v26, v[2:3]
	v_lshlrev_b32_e32 v26, 8, v11
	s_delay_alu instid0(VALU_DEP_3) | instskip(NEXT) | instid1(VALU_DEP_3)
	v_lshl_add_u32 v24, v24, 10, 0x2000
	v_lshlrev_b32_e32 v35, 7, v35
	s_delay_alu instid0(VALU_DEP_2) | instskip(NEXT) | instid1(VALU_DEP_1)
	v_and_or_b32 v24, 0x8000, v26, v24
	v_and_or_b32 v24, 0x380, v35, v24
	s_delay_alu instid0(VALU_DEP_1)
	v_cvt_f32_f16_e32 v24, v24
.LBB303_259:                            ;   in Loop: Header=BB303_225 Depth=1
	s_or_b32 exec_lo, exec_lo, s14
.LBB303_260:                            ;   in Loop: Header=BB303_225 Depth=1
	s_delay_alu instid0(SALU_CYCLE_1)
	s_or_b32 exec_lo, exec_lo, s13
.LBB303_261:                            ;   in Loop: Header=BB303_225 Depth=1
	s_delay_alu instid0(SALU_CYCLE_1) | instskip(SKIP_3) | instid1(VALU_DEP_2)
	s_or_b32 exec_lo, exec_lo, s0
	v_lshrrev_b16 v2, 8, v2
	v_dual_mov_b32 v26, 0 :: v_dual_mov_b32 v35, 0
	s_mov_b32 s0, exec_lo
	v_cmpx_ne_u16_e32 0, v2
	s_cbranch_execz .LBB303_269
; %bb.262:                              ;   in Loop: Header=BB303_225 Depth=1
	v_bfrev_b32_e32 v35, 1
	s_mov_b32 s13, exec_lo
	v_cmpx_ne_u16_e32 0x80, v2
	s_cbranch_execz .LBB303_268
; %bb.263:                              ;   in Loop: Header=BB303_225 Depth=1
	v_and_b32_e32 v36, 0xffff, v2
	v_mov_b32_e32 v35, 0x7fc02000
	s_mov_b32 s14, exec_lo
	s_delay_alu instid0(VALU_DEP_2) | instskip(NEXT) | instid1(VALU_DEP_1)
	v_and_b32_e32 v37, 0x7f, v36
	v_cmpx_ne_u32_e32 0x7f, v37
	s_cbranch_execz .LBB303_267
; %bb.264:                              ;   in Loop: Header=BB303_225 Depth=1
	v_and_b32_e32 v2, 7, v36
	v_lshrrev_b32_e32 v35, 3, v37
	s_mov_b32 s16, exec_lo
	v_cmpx_gt_u32_e32 8, v37
; %bb.265:                              ;   in Loop: Header=BB303_225 Depth=1
	s_delay_alu instid0(VALU_DEP_3) | instskip(NEXT) | instid1(VALU_DEP_1)
	v_clz_i32_u32_e32 v35, v2
	v_min_u32_e32 v35, 32, v35
	s_delay_alu instid0(VALU_DEP_1) | instskip(SKIP_1) | instid1(VALU_DEP_2)
	v_subrev_nc_u32_e32 v37, 28, v35
	v_sub_nc_u32_e32 v35, 29, v35
	v_lshlrev_b64 v[37:38], v37, v[2:3]
	s_delay_alu instid0(VALU_DEP_1)
	v_and_b32_e32 v2, 7, v37
; %bb.266:                              ;   in Loop: Header=BB303_225 Depth=1
	s_or_b32 exec_lo, exec_lo, s16
	v_lshlrev_b32_e32 v36, 8, v36
	v_lshl_add_u32 v35, v35, 10, 0x2000
	s_delay_alu instid0(VALU_DEP_1) | instskip(NEXT) | instid1(VALU_DEP_1)
	v_and_or_b32 v35, 0x8000, v36, v35
	v_lshl_or_b32 v2, v2, 7, v35
	s_delay_alu instid0(VALU_DEP_1)
	v_cvt_f32_f16_e32 v35, v2
.LBB303_267:                            ;   in Loop: Header=BB303_225 Depth=1
	s_or_b32 exec_lo, exec_lo, s14
.LBB303_268:                            ;   in Loop: Header=BB303_225 Depth=1
	s_delay_alu instid0(SALU_CYCLE_1)
	s_or_b32 exec_lo, exec_lo, s13
.LBB303_269:                            ;   in Loop: Header=BB303_225 Depth=1
	s_delay_alu instid0(SALU_CYCLE_1) | instskip(SKIP_2) | instid1(VALU_DEP_1)
	s_or_b32 exec_lo, exec_lo, s0
	v_lshrrev_b32_e32 v36, 16, v11
	s_mov_b32 s0, exec_lo
	v_and_b32_e32 v2, 0xff, v36
	s_delay_alu instid0(VALU_DEP_1)
	v_cmpx_ne_u16_e32 0, v2
	s_cbranch_execz .LBB303_277
; %bb.270:                              ;   in Loop: Header=BB303_225 Depth=1
	v_bfrev_b32_e32 v26, 1
	s_mov_b32 s13, exec_lo
	v_cmpx_ne_u16_e32 0x80, v2
	s_cbranch_execz .LBB303_276
; %bb.271:                              ;   in Loop: Header=BB303_225 Depth=1
	v_bfe_u32 v37, v11, 16, 7
	v_mov_b32_e32 v26, 0x7fc02000
	s_mov_b32 s14, exec_lo
	s_delay_alu instid0(VALU_DEP_2)
	v_cmpx_ne_u32_e32 0x7f, v37
	s_cbranch_execz .LBB303_275
; %bb.272:                              ;   in Loop: Header=BB303_225 Depth=1
	v_and_b32_e32 v2, 7, v36
	v_lshrrev_b32_e32 v26, 3, v37
	s_mov_b32 s16, exec_lo
	v_cmpx_gt_u32_e32 8, v37
; %bb.273:                              ;   in Loop: Header=BB303_225 Depth=1
	s_delay_alu instid0(VALU_DEP_3) | instskip(NEXT) | instid1(VALU_DEP_1)
	v_clz_i32_u32_e32 v26, v2
	v_min_u32_e32 v26, 32, v26
	s_delay_alu instid0(VALU_DEP_1) | instskip(SKIP_1) | instid1(VALU_DEP_2)
	v_subrev_nc_u32_e32 v37, 28, v26
	v_sub_nc_u32_e32 v26, 29, v26
	v_lshlrev_b64 v[37:38], v37, v[2:3]
	s_delay_alu instid0(VALU_DEP_1)
	v_and_b32_e32 v2, 7, v37
; %bb.274:                              ;   in Loop: Header=BB303_225 Depth=1
	s_or_b32 exec_lo, exec_lo, s16
	v_lshlrev_b32_e32 v36, 8, v36
	v_lshl_add_u32 v26, v26, 10, 0x2000
	s_delay_alu instid0(VALU_DEP_1) | instskip(NEXT) | instid1(VALU_DEP_1)
	v_and_or_b32 v26, 0x8000, v36, v26
	v_lshl_or_b32 v2, v2, 7, v26
	s_delay_alu instid0(VALU_DEP_1)
	v_cvt_f32_f16_e32 v26, v2
.LBB303_275:                            ;   in Loop: Header=BB303_225 Depth=1
	s_or_b32 exec_lo, exec_lo, s14
.LBB303_276:                            ;   in Loop: Header=BB303_225 Depth=1
	s_delay_alu instid0(SALU_CYCLE_1)
	s_or_b32 exec_lo, exec_lo, s13
.LBB303_277:                            ;   in Loop: Header=BB303_225 Depth=1
	s_delay_alu instid0(SALU_CYCLE_1)
	s_or_b32 exec_lo, exec_lo, s0
	v_mov_b32_e32 v2, 0
	s_mov_b32 s0, exec_lo
	v_cmpx_lt_u64_e64 s[2:3], v[10:11]
	s_cbranch_execz .LBB303_285
; %bb.278:                              ;   in Loop: Header=BB303_225 Depth=1
	v_lshrrev_b32_e32 v10, 24, v11
	v_bfrev_b32_e32 v2, 1
	s_mov_b32 s13, exec_lo
	s_delay_alu instid0(VALU_DEP_2)
	v_cmpx_ne_u32_e32 0x80, v10
	s_cbranch_execz .LBB303_284
; %bb.279:                              ;   in Loop: Header=BB303_225 Depth=1
	v_and_b32_e32 v36, 0x7f, v10
	v_mov_b32_e32 v2, 0x7fc02000
	s_mov_b32 s14, exec_lo
	s_delay_alu instid0(VALU_DEP_2)
	v_cmpx_ne_u32_e32 0x7f, v36
	s_cbranch_execz .LBB303_283
; %bb.280:                              ;   in Loop: Header=BB303_225 Depth=1
	v_and_b32_e32 v2, 7, v10
	v_lshrrev_b32_e32 v11, 3, v36
	s_mov_b32 s16, exec_lo
	v_cmpx_gt_u32_e32 8, v36
; %bb.281:                              ;   in Loop: Header=BB303_225 Depth=1
	s_delay_alu instid0(VALU_DEP_3) | instskip(NEXT) | instid1(VALU_DEP_1)
	v_clz_i32_u32_e32 v11, v2
	v_min_u32_e32 v11, 32, v11
	s_delay_alu instid0(VALU_DEP_1) | instskip(SKIP_1) | instid1(VALU_DEP_2)
	v_subrev_nc_u32_e32 v36, 28, v11
	v_sub_nc_u32_e32 v11, 29, v11
	v_lshlrev_b64 v[36:37], v36, v[2:3]
	s_delay_alu instid0(VALU_DEP_1)
	v_and_b32_e32 v2, 7, v36
; %bb.282:                              ;   in Loop: Header=BB303_225 Depth=1
	s_or_b32 exec_lo, exec_lo, s16
	v_lshlrev_b32_e32 v10, 8, v10
	v_lshl_add_u32 v11, v11, 10, 0x2000
	s_delay_alu instid0(VALU_DEP_1) | instskip(NEXT) | instid1(VALU_DEP_1)
	v_and_or_b32 v10, 0x8000, v10, v11
	v_lshl_or_b32 v2, v2, 7, v10
	s_delay_alu instid0(VALU_DEP_1)
	v_cvt_f32_f16_e32 v2, v2
.LBB303_283:                            ;   in Loop: Header=BB303_225 Depth=1
	s_or_b32 exec_lo, exec_lo, s14
.LBB303_284:                            ;   in Loop: Header=BB303_225 Depth=1
	s_delay_alu instid0(SALU_CYCLE_1)
	s_or_b32 exec_lo, exec_lo, s13
.LBB303_285:                            ;   in Loop: Header=BB303_225 Depth=1
	s_delay_alu instid0(SALU_CYCLE_1)
	s_or_b32 exec_lo, exec_lo, s0
	s_waitcnt vmcnt(0)
	v_fma_mixlo_f16 v10, v20, v25, 0
	v_fma_mixlo_f16 v11, v20, v23, 0
	;; [unrolled: 1-line block ×8, first 2 shown]
	v_lshlrev_b32_e32 v10, 16, v10
	v_and_b32_e32 v11, 0xffff, v11
	v_lshlrev_b32_e32 v22, 16, v22
	v_and_b32_e32 v20, 0xffff, v21
	;; [unrolled: 2-line block ×4, first 2 shown]
	v_cmp_eq_u32_e32 vcc_lo, s21, v1
	v_or_b32_e32 v11, v10, v11
	v_or_b32_e32 v36, v22, v20
	;; [unrolled: 1-line block ×4, first 2 shown]
	v_add_nc_u32_e32 v26, 1, v18
	v_or_b32_e32 v25, 3, v18
	v_or_b32_e32 v24, 2, v18
	;; [unrolled: 1-line block ×6, first 2 shown]
	s_and_saveexec_b32 s13, vcc_lo
	s_cbranch_execz .LBB303_287
; %bb.286:                              ;   in Loop: Header=BB303_225 Depth=1
	v_cmp_gt_i32_e64 s0, s15, v18
	v_lshrrev_b32_e32 v37, 16, v36
	v_lshrrev_b32_e32 v38, 16, v11
	;; [unrolled: 1-line block ×4, first 2 shown]
	v_cndmask_b32_e64 v36, 0, v36, s0
	v_cmp_gt_i32_e64 s0, s10, v26
	s_delay_alu instid0(VALU_DEP_1) | instskip(SKIP_1) | instid1(VALU_DEP_2)
	v_cndmask_b32_e64 v37, 0, v37, s0
	v_cmp_gt_i32_e64 s0, s10, v25
	v_perm_b32 v36, v37, v36, 0x5040100
	s_delay_alu instid0(VALU_DEP_2) | instskip(SKIP_1) | instid1(VALU_DEP_1)
	v_cndmask_b32_e64 v38, 0, v38, s0
	v_cmp_gt_i32_e64 s0, s15, v24
	v_cndmask_b32_e64 v11, 0, v11, s0
	v_cmp_gt_i32_e64 s0, s10, v23
	s_delay_alu instid0(VALU_DEP_2) | instskip(NEXT) | instid1(VALU_DEP_2)
	v_perm_b32 v11, v38, v11, 0x5040100
	v_cndmask_b32_e64 v39, 0, v39, s0
	v_cmp_gt_i32_e64 s0, s15, v22
	s_delay_alu instid0(VALU_DEP_1) | instskip(SKIP_1) | instid1(VALU_DEP_2)
	v_cndmask_b32_e64 v2, 0, v2, s0
	v_cmp_gt_i32_e64 s0, s10, v21
	v_perm_b32 v2, v39, v2, 0x5040100
	s_delay_alu instid0(VALU_DEP_2) | instskip(SKIP_1) | instid1(VALU_DEP_1)
	v_cndmask_b32_e64 v10, 0, v10, s0
	v_cmp_gt_i32_e64 s0, s15, v20
	v_cndmask_b32_e64 v35, 0, v35, s0
	s_delay_alu instid0(VALU_DEP_1)
	v_perm_b32 v10, v10, v35, 0x5040100
.LBB303_287:                            ;   in Loop: Header=BB303_225 Depth=1
	s_or_b32 exec_lo, exec_lo, s13
	v_and_b32_e32 v27, 0xffff, v27
	v_and_b32_e32 v35, 0xffff, v30
	;; [unrolled: 1-line block ×4, first 2 shown]
	s_mov_b32 s13, exec_lo
	v_lshl_or_b32 v30, v28, 16, v27
	v_lshl_or_b32 v29, v29, 16, v35
	v_mov_b32_e32 v35, 0
	v_lshl_or_b32 v28, v31, 16, v33
	;;#ASMSTART
	v_pk_mul_f16 v31, v30, v36;

	;;#ASMEND
	;;#ASMSTART
	v_pk_mul_f16 v11, v29, v11;

	;;#ASMEND
	;; [unrolled: 4-line block ×3, first 2 shown]
	v_lshl_or_b32 v27, v32, 16, v34
	;;#ASMSTART
	v_pk_mul_f16 v10, v27, v10;

	;;#ASMEND
	;;#ASMSTART
	v_pk_add_f16 v11, v31, v11;

	;;#ASMEND
	;;#ASMSTART
	v_pk_add_f16 v2, v11, v2;
	;; [unrolled: 4-line block ×3, first 2 shown]

	;;#ASMEND
	v_and_b32_e32 v10, 0xffff, v2
	v_lshrrev_b32_e32 v2, 16, v2
	;;#ASMSTART
	v_cvt_f32_f16 v31, v10;
	;;#ASMEND
	;;#ASMSTART
	v_cvt_f32_f16 v32, v2;
	;;#ASMEND
	global_load_b64 v[10:11], v[8:9], off offset:256
	global_load_b32 v33, v3, s[6:7]
	v_mov_b32_e32 v34, 0
	s_waitcnt vmcnt(1)
	v_and_b32_e32 v2, 0xff, v10
	s_delay_alu instid0(VALU_DEP_1)
	v_cmpx_ne_u16_e32 0, v2
	s_cbranch_execz .LBB303_293
; %bb.288:                              ;   in Loop: Header=BB303_225 Depth=1
	v_bfrev_b32_e32 v34, 1
	s_mov_b32 s14, exec_lo
	v_cmpx_ne_u16_e32 0x80, v2
	s_cbranch_execz .LBB303_292
; %bb.289:                              ;   in Loop: Header=BB303_225 Depth=1
	v_and_b32_e32 v2, 0x7f, v10
	v_mov_b32_e32 v34, 0x7fc02000
	s_mov_b32 s16, exec_lo
	s_delay_alu instid0(VALU_DEP_2)
	v_cmpx_ne_u32_e32 0x7f, v2
	s_cbranch_execz .LBB303_291
; %bb.290:                              ;   in Loop: Header=BB303_225 Depth=1
	v_and_b32_e32 v34, 7, v10
	v_cmp_gt_u32_e64 s0, 8, v2
	v_lshrrev_b32_e32 v36, 3, v2
	s_delay_alu instid0(VALU_DEP_3) | instskip(NEXT) | instid1(VALU_DEP_1)
	v_clz_i32_u32_e32 v34, v34
	v_min_u32_e32 v34, 32, v34
	s_delay_alu instid0(VALU_DEP_1) | instskip(SKIP_1) | instid1(VALU_DEP_2)
	v_subrev_nc_u32_e32 v37, 28, v34
	v_sub_nc_u32_e32 v34, 29, v34
	v_cndmask_b32_e64 v2, 0, v37, s0
	s_delay_alu instid0(VALU_DEP_2) | instskip(NEXT) | instid1(VALU_DEP_2)
	v_cndmask_b32_e64 v34, v36, v34, s0
	v_lshlrev_b64 v[36:37], v2, v[10:11]
	v_lshlrev_b32_e32 v2, 8, v10
	s_delay_alu instid0(VALU_DEP_3) | instskip(NEXT) | instid1(VALU_DEP_3)
	v_lshl_add_u32 v34, v34, 10, 0x2000
	v_lshlrev_b32_e32 v36, 7, v36
	s_delay_alu instid0(VALU_DEP_2) | instskip(NEXT) | instid1(VALU_DEP_1)
	v_and_or_b32 v2, 0x8000, v2, v34
	v_and_or_b32 v2, 0x380, v36, v2
	s_delay_alu instid0(VALU_DEP_1)
	v_cvt_f32_f16_e32 v34, v2
.LBB303_291:                            ;   in Loop: Header=BB303_225 Depth=1
	s_or_b32 exec_lo, exec_lo, s16
.LBB303_292:                            ;   in Loop: Header=BB303_225 Depth=1
	s_delay_alu instid0(SALU_CYCLE_1)
	s_or_b32 exec_lo, exec_lo, s14
.LBB303_293:                            ;   in Loop: Header=BB303_225 Depth=1
	s_delay_alu instid0(SALU_CYCLE_1) | instskip(SKIP_2) | instid1(VALU_DEP_1)
	s_or_b32 exec_lo, exec_lo, s13
	v_lshrrev_b16 v2, 8, v10
	s_mov_b32 s13, exec_lo
	v_cmpx_ne_u16_e32 0, v2
	s_cbranch_execz .LBB303_301
; %bb.294:                              ;   in Loop: Header=BB303_225 Depth=1
	v_bfrev_b32_e32 v35, 1
	s_mov_b32 s14, exec_lo
	v_cmpx_ne_u16_e32 0x80, v2
	s_cbranch_execz .LBB303_300
; %bb.295:                              ;   in Loop: Header=BB303_225 Depth=1
	v_and_b32_e32 v36, 0xffff, v2
	v_mov_b32_e32 v35, 0x7fc02000
	s_mov_b32 s16, exec_lo
	s_delay_alu instid0(VALU_DEP_2) | instskip(NEXT) | instid1(VALU_DEP_1)
	v_and_b32_e32 v37, 0x7f, v36
	v_cmpx_ne_u32_e32 0x7f, v37
	s_cbranch_execz .LBB303_299
; %bb.296:                              ;   in Loop: Header=BB303_225 Depth=1
	v_and_b32_e32 v2, 7, v36
	v_lshrrev_b32_e32 v35, 3, v37
	s_mov_b32 s17, exec_lo
	v_cmpx_gt_u32_e32 8, v37
; %bb.297:                              ;   in Loop: Header=BB303_225 Depth=1
	s_delay_alu instid0(VALU_DEP_3) | instskip(NEXT) | instid1(VALU_DEP_1)
	v_clz_i32_u32_e32 v35, v2
	v_min_u32_e32 v35, 32, v35
	s_delay_alu instid0(VALU_DEP_1) | instskip(SKIP_1) | instid1(VALU_DEP_2)
	v_subrev_nc_u32_e32 v37, 28, v35
	v_sub_nc_u32_e32 v35, 29, v35
	v_lshlrev_b64 v[37:38], v37, v[2:3]
	s_delay_alu instid0(VALU_DEP_1)
	v_and_b32_e32 v2, 7, v37
; %bb.298:                              ;   in Loop: Header=BB303_225 Depth=1
	s_or_b32 exec_lo, exec_lo, s17
	v_lshlrev_b32_e32 v36, 8, v36
	v_lshl_add_u32 v35, v35, 10, 0x2000
	s_delay_alu instid0(VALU_DEP_1) | instskip(NEXT) | instid1(VALU_DEP_1)
	v_and_or_b32 v35, 0x8000, v36, v35
	v_lshl_or_b32 v2, v2, 7, v35
	s_delay_alu instid0(VALU_DEP_1)
	v_cvt_f32_f16_e32 v35, v2
.LBB303_299:                            ;   in Loop: Header=BB303_225 Depth=1
	s_or_b32 exec_lo, exec_lo, s16
.LBB303_300:                            ;   in Loop: Header=BB303_225 Depth=1
	s_delay_alu instid0(SALU_CYCLE_1)
	s_or_b32 exec_lo, exec_lo, s14
.LBB303_301:                            ;   in Loop: Header=BB303_225 Depth=1
	s_delay_alu instid0(SALU_CYCLE_1) | instskip(SKIP_3) | instid1(VALU_DEP_2)
	s_or_b32 exec_lo, exec_lo, s13
	v_lshrrev_b32_e32 v38, 16, v10
	v_mov_b32_e32 v36, 0
	s_mov_b32 s13, exec_lo
	v_dual_mov_b32 v37, 0 :: v_dual_and_b32 v2, 0xff, v38
	s_delay_alu instid0(VALU_DEP_1)
	v_cmpx_ne_u16_e32 0, v2
	s_cbranch_execz .LBB303_309
; %bb.302:                              ;   in Loop: Header=BB303_225 Depth=1
	v_bfrev_b32_e32 v36, 1
	s_mov_b32 s14, exec_lo
	v_cmpx_ne_u16_e32 0x80, v2
	s_cbranch_execz .LBB303_308
; %bb.303:                              ;   in Loop: Header=BB303_225 Depth=1
	v_bfe_u32 v39, v10, 16, 7
	v_mov_b32_e32 v36, 0x7fc02000
	s_mov_b32 s16, exec_lo
	s_delay_alu instid0(VALU_DEP_2)
	v_cmpx_ne_u32_e32 0x7f, v39
	s_cbranch_execz .LBB303_307
; %bb.304:                              ;   in Loop: Header=BB303_225 Depth=1
	v_and_b32_e32 v2, 7, v38
	v_lshrrev_b32_e32 v36, 3, v39
	s_mov_b32 s17, exec_lo
	v_cmpx_gt_u32_e32 8, v39
; %bb.305:                              ;   in Loop: Header=BB303_225 Depth=1
	s_delay_alu instid0(VALU_DEP_3) | instskip(NEXT) | instid1(VALU_DEP_1)
	v_clz_i32_u32_e32 v36, v2
	v_min_u32_e32 v36, 32, v36
	s_delay_alu instid0(VALU_DEP_1) | instskip(SKIP_1) | instid1(VALU_DEP_2)
	v_subrev_nc_u32_e32 v39, 28, v36
	v_sub_nc_u32_e32 v36, 29, v36
	v_lshlrev_b64 v[39:40], v39, v[2:3]
	s_delay_alu instid0(VALU_DEP_1)
	v_and_b32_e32 v2, 7, v39
; %bb.306:                              ;   in Loop: Header=BB303_225 Depth=1
	s_or_b32 exec_lo, exec_lo, s17
	v_lshlrev_b32_e32 v38, 8, v38
	v_lshl_add_u32 v36, v36, 10, 0x2000
	s_delay_alu instid0(VALU_DEP_1) | instskip(NEXT) | instid1(VALU_DEP_1)
	v_and_or_b32 v36, 0x8000, v38, v36
	v_lshl_or_b32 v2, v2, 7, v36
	s_delay_alu instid0(VALU_DEP_1)
	v_cvt_f32_f16_e32 v36, v2
.LBB303_307:                            ;   in Loop: Header=BB303_225 Depth=1
	s_or_b32 exec_lo, exec_lo, s16
.LBB303_308:                            ;   in Loop: Header=BB303_225 Depth=1
	s_delay_alu instid0(SALU_CYCLE_1)
	s_or_b32 exec_lo, exec_lo, s14
.LBB303_309:                            ;   in Loop: Header=BB303_225 Depth=1
	s_delay_alu instid0(SALU_CYCLE_1) | instskip(NEXT) | instid1(SALU_CYCLE_1)
	s_or_b32 exec_lo, exec_lo, s13
	s_mov_b32 s13, exec_lo
	v_cmpx_lt_u32_e32 0xffffff, v10
	s_cbranch_execz .LBB303_317
; %bb.310:                              ;   in Loop: Header=BB303_225 Depth=1
	v_lshrrev_b32_e32 v38, 24, v10
	v_bfrev_b32_e32 v37, 1
	s_mov_b32 s14, exec_lo
	s_delay_alu instid0(VALU_DEP_2)
	v_cmpx_ne_u32_e32 0x80, v38
	s_cbranch_execz .LBB303_316
; %bb.311:                              ;   in Loop: Header=BB303_225 Depth=1
	v_and_b32_e32 v39, 0x7f, v38
	v_mov_b32_e32 v37, 0x7fc02000
	s_mov_b32 s16, exec_lo
	s_delay_alu instid0(VALU_DEP_2)
	v_cmpx_ne_u32_e32 0x7f, v39
	s_cbranch_execz .LBB303_315
; %bb.312:                              ;   in Loop: Header=BB303_225 Depth=1
	v_and_b32_e32 v2, 7, v38
	v_lshrrev_b32_e32 v37, 3, v39
	s_mov_b32 s17, exec_lo
	v_cmpx_gt_u32_e32 8, v39
; %bb.313:                              ;   in Loop: Header=BB303_225 Depth=1
	s_delay_alu instid0(VALU_DEP_3) | instskip(NEXT) | instid1(VALU_DEP_1)
	v_clz_i32_u32_e32 v37, v2
	v_min_u32_e32 v37, 32, v37
	s_delay_alu instid0(VALU_DEP_1) | instskip(SKIP_1) | instid1(VALU_DEP_2)
	v_subrev_nc_u32_e32 v39, 28, v37
	v_sub_nc_u32_e32 v37, 29, v37
	v_lshlrev_b64 v[39:40], v39, v[2:3]
	s_delay_alu instid0(VALU_DEP_1)
	v_and_b32_e32 v2, 7, v39
; %bb.314:                              ;   in Loop: Header=BB303_225 Depth=1
	s_or_b32 exec_lo, exec_lo, s17
	v_lshlrev_b32_e32 v38, 8, v38
	v_lshl_add_u32 v37, v37, 10, 0x2000
	s_delay_alu instid0(VALU_DEP_1) | instskip(NEXT) | instid1(VALU_DEP_1)
	v_and_or_b32 v37, 0x8000, v38, v37
	v_lshl_or_b32 v2, v2, 7, v37
	s_delay_alu instid0(VALU_DEP_1)
	v_cvt_f32_f16_e32 v37, v2
.LBB303_315:                            ;   in Loop: Header=BB303_225 Depth=1
	s_or_b32 exec_lo, exec_lo, s16
.LBB303_316:                            ;   in Loop: Header=BB303_225 Depth=1
	s_delay_alu instid0(SALU_CYCLE_1)
	s_or_b32 exec_lo, exec_lo, s14
.LBB303_317:                            ;   in Loop: Header=BB303_225 Depth=1
	s_delay_alu instid0(SALU_CYCLE_1) | instskip(SKIP_4) | instid1(VALU_DEP_3)
	s_or_b32 exec_lo, exec_lo, s13
	v_dual_mov_b32 v39, 0 :: v_dual_and_b32 v40, 0xff, v11
	v_mov_b32_e32 v2, v11
	v_mov_b32_e32 v38, 0
	s_mov_b32 s13, exec_lo
	v_cmpx_ne_u16_e32 0, v40
	s_cbranch_execz .LBB303_323
; %bb.318:                              ;   in Loop: Header=BB303_225 Depth=1
	v_bfrev_b32_e32 v38, 1
	s_mov_b32 s14, exec_lo
	v_cmpx_ne_u16_e32 0x80, v40
	s_cbranch_execz .LBB303_322
; %bb.319:                              ;   in Loop: Header=BB303_225 Depth=1
	v_and_b32_e32 v40, 0x7f, v11
	v_mov_b32_e32 v38, 0x7fc02000
	s_mov_b32 s16, exec_lo
	s_delay_alu instid0(VALU_DEP_2)
	v_cmpx_ne_u32_e32 0x7f, v40
	s_cbranch_execz .LBB303_321
; %bb.320:                              ;   in Loop: Header=BB303_225 Depth=1
	v_and_b32_e32 v38, 7, v11
	v_cmp_gt_u32_e64 s0, 8, v40
	v_lshrrev_b32_e32 v41, 3, v40
	s_delay_alu instid0(VALU_DEP_3) | instskip(NEXT) | instid1(VALU_DEP_1)
	v_clz_i32_u32_e32 v38, v38
	v_min_u32_e32 v38, 32, v38
	s_delay_alu instid0(VALU_DEP_1) | instskip(SKIP_1) | instid1(VALU_DEP_2)
	v_subrev_nc_u32_e32 v42, 28, v38
	v_sub_nc_u32_e32 v38, 29, v38
	v_cndmask_b32_e64 v40, 0, v42, s0
	s_delay_alu instid0(VALU_DEP_2) | instskip(NEXT) | instid1(VALU_DEP_2)
	v_cndmask_b32_e64 v38, v41, v38, s0
	v_lshlrev_b64 v[40:41], v40, v[2:3]
	v_lshlrev_b32_e32 v41, 8, v11
	s_delay_alu instid0(VALU_DEP_3) | instskip(NEXT) | instid1(VALU_DEP_3)
	v_lshl_add_u32 v38, v38, 10, 0x2000
	v_lshlrev_b32_e32 v40, 7, v40
	s_delay_alu instid0(VALU_DEP_2) | instskip(NEXT) | instid1(VALU_DEP_1)
	v_and_or_b32 v38, 0x8000, v41, v38
	v_and_or_b32 v38, 0x380, v40, v38
	s_delay_alu instid0(VALU_DEP_1)
	v_cvt_f32_f16_e32 v38, v38
.LBB303_321:                            ;   in Loop: Header=BB303_225 Depth=1
	s_or_b32 exec_lo, exec_lo, s16
.LBB303_322:                            ;   in Loop: Header=BB303_225 Depth=1
	s_delay_alu instid0(SALU_CYCLE_1)
	s_or_b32 exec_lo, exec_lo, s14
.LBB303_323:                            ;   in Loop: Header=BB303_225 Depth=1
	s_delay_alu instid0(SALU_CYCLE_1) | instskip(SKIP_2) | instid1(VALU_DEP_1)
	s_or_b32 exec_lo, exec_lo, s13
	v_lshrrev_b16 v2, 8, v2
	s_mov_b32 s13, exec_lo
	v_cmpx_ne_u16_e32 0, v2
	s_cbranch_execz .LBB303_331
; %bb.324:                              ;   in Loop: Header=BB303_225 Depth=1
	v_bfrev_b32_e32 v39, 1
	s_mov_b32 s14, exec_lo
	v_cmpx_ne_u16_e32 0x80, v2
	s_cbranch_execz .LBB303_330
; %bb.325:                              ;   in Loop: Header=BB303_225 Depth=1
	v_and_b32_e32 v40, 0xffff, v2
	v_mov_b32_e32 v39, 0x7fc02000
	s_mov_b32 s16, exec_lo
	s_delay_alu instid0(VALU_DEP_2) | instskip(NEXT) | instid1(VALU_DEP_1)
	v_and_b32_e32 v41, 0x7f, v40
	v_cmpx_ne_u32_e32 0x7f, v41
	s_cbranch_execz .LBB303_329
; %bb.326:                              ;   in Loop: Header=BB303_225 Depth=1
	v_and_b32_e32 v2, 7, v40
	v_lshrrev_b32_e32 v39, 3, v41
	s_mov_b32 s17, exec_lo
	v_cmpx_gt_u32_e32 8, v41
; %bb.327:                              ;   in Loop: Header=BB303_225 Depth=1
	s_delay_alu instid0(VALU_DEP_3) | instskip(NEXT) | instid1(VALU_DEP_1)
	v_clz_i32_u32_e32 v39, v2
	v_min_u32_e32 v39, 32, v39
	s_delay_alu instid0(VALU_DEP_1) | instskip(SKIP_1) | instid1(VALU_DEP_2)
	v_subrev_nc_u32_e32 v41, 28, v39
	v_sub_nc_u32_e32 v39, 29, v39
	v_lshlrev_b64 v[41:42], v41, v[2:3]
	s_delay_alu instid0(VALU_DEP_1)
	v_and_b32_e32 v2, 7, v41
; %bb.328:                              ;   in Loop: Header=BB303_225 Depth=1
	s_or_b32 exec_lo, exec_lo, s17
	v_lshlrev_b32_e32 v40, 8, v40
	v_lshl_add_u32 v39, v39, 10, 0x2000
	s_delay_alu instid0(VALU_DEP_1) | instskip(NEXT) | instid1(VALU_DEP_1)
	v_and_or_b32 v39, 0x8000, v40, v39
	v_lshl_or_b32 v2, v2, 7, v39
	s_delay_alu instid0(VALU_DEP_1)
	v_cvt_f32_f16_e32 v39, v2
.LBB303_329:                            ;   in Loop: Header=BB303_225 Depth=1
	s_or_b32 exec_lo, exec_lo, s16
.LBB303_330:                            ;   in Loop: Header=BB303_225 Depth=1
	s_delay_alu instid0(SALU_CYCLE_1)
	s_or_b32 exec_lo, exec_lo, s14
.LBB303_331:                            ;   in Loop: Header=BB303_225 Depth=1
	s_delay_alu instid0(SALU_CYCLE_1) | instskip(SKIP_3) | instid1(VALU_DEP_2)
	s_or_b32 exec_lo, exec_lo, s13
	v_lshrrev_b32_e32 v42, 16, v11
	v_mov_b32_e32 v40, 0
	s_mov_b32 s13, exec_lo
	v_dual_mov_b32 v41, 0 :: v_dual_and_b32 v2, 0xff, v42
	s_delay_alu instid0(VALU_DEP_1)
	v_cmpx_ne_u16_e32 0, v2
	s_cbranch_execz .LBB303_339
; %bb.332:                              ;   in Loop: Header=BB303_225 Depth=1
	v_bfrev_b32_e32 v40, 1
	s_mov_b32 s14, exec_lo
	v_cmpx_ne_u16_e32 0x80, v2
	s_cbranch_execz .LBB303_338
; %bb.333:                              ;   in Loop: Header=BB303_225 Depth=1
	v_bfe_u32 v43, v11, 16, 7
	v_mov_b32_e32 v40, 0x7fc02000
	s_mov_b32 s16, exec_lo
	s_delay_alu instid0(VALU_DEP_2)
	v_cmpx_ne_u32_e32 0x7f, v43
	s_cbranch_execz .LBB303_337
; %bb.334:                              ;   in Loop: Header=BB303_225 Depth=1
	v_and_b32_e32 v2, 7, v42
	v_lshrrev_b32_e32 v40, 3, v43
	s_mov_b32 s17, exec_lo
	v_cmpx_gt_u32_e32 8, v43
; %bb.335:                              ;   in Loop: Header=BB303_225 Depth=1
	s_delay_alu instid0(VALU_DEP_3) | instskip(NEXT) | instid1(VALU_DEP_1)
	v_clz_i32_u32_e32 v40, v2
	v_min_u32_e32 v40, 32, v40
	s_delay_alu instid0(VALU_DEP_1) | instskip(SKIP_1) | instid1(VALU_DEP_2)
	v_subrev_nc_u32_e32 v43, 28, v40
	v_sub_nc_u32_e32 v40, 29, v40
	v_lshlrev_b64 v[43:44], v43, v[2:3]
	s_delay_alu instid0(VALU_DEP_1)
	v_and_b32_e32 v2, 7, v43
; %bb.336:                              ;   in Loop: Header=BB303_225 Depth=1
	s_or_b32 exec_lo, exec_lo, s17
	v_lshlrev_b32_e32 v42, 8, v42
	v_lshl_add_u32 v40, v40, 10, 0x2000
	s_delay_alu instid0(VALU_DEP_1) | instskip(NEXT) | instid1(VALU_DEP_1)
	v_and_or_b32 v40, 0x8000, v42, v40
	v_lshl_or_b32 v2, v2, 7, v40
	s_delay_alu instid0(VALU_DEP_1)
	v_cvt_f32_f16_e32 v40, v2
.LBB303_337:                            ;   in Loop: Header=BB303_225 Depth=1
	s_or_b32 exec_lo, exec_lo, s16
.LBB303_338:                            ;   in Loop: Header=BB303_225 Depth=1
	s_delay_alu instid0(SALU_CYCLE_1)
	s_or_b32 exec_lo, exec_lo, s14
.LBB303_339:                            ;   in Loop: Header=BB303_225 Depth=1
	s_delay_alu instid0(SALU_CYCLE_1) | instskip(NEXT) | instid1(SALU_CYCLE_1)
	s_or_b32 exec_lo, exec_lo, s13
	s_mov_b32 s13, exec_lo
	v_cmpx_lt_u64_e64 s[2:3], v[10:11]
	s_cbranch_execz .LBB303_347
; %bb.340:                              ;   in Loop: Header=BB303_225 Depth=1
	v_lshrrev_b32_e32 v10, 24, v11
	v_bfrev_b32_e32 v41, 1
	s_mov_b32 s14, exec_lo
	s_delay_alu instid0(VALU_DEP_2)
	v_cmpx_ne_u32_e32 0x80, v10
	s_cbranch_execz .LBB303_346
; %bb.341:                              ;   in Loop: Header=BB303_225 Depth=1
	v_and_b32_e32 v42, 0x7f, v10
	v_mov_b32_e32 v41, 0x7fc02000
	s_mov_b32 s16, exec_lo
	s_delay_alu instid0(VALU_DEP_2)
	v_cmpx_ne_u32_e32 0x7f, v42
	s_cbranch_execz .LBB303_345
; %bb.342:                              ;   in Loop: Header=BB303_225 Depth=1
	v_and_b32_e32 v2, 7, v10
	v_lshrrev_b32_e32 v11, 3, v42
	s_mov_b32 s17, exec_lo
	v_cmpx_gt_u32_e32 8, v42
; %bb.343:                              ;   in Loop: Header=BB303_225 Depth=1
	s_delay_alu instid0(VALU_DEP_3) | instskip(NEXT) | instid1(VALU_DEP_1)
	v_clz_i32_u32_e32 v11, v2
	v_min_u32_e32 v11, 32, v11
	s_delay_alu instid0(VALU_DEP_1) | instskip(SKIP_1) | instid1(VALU_DEP_2)
	v_subrev_nc_u32_e32 v41, 28, v11
	v_sub_nc_u32_e32 v11, 29, v11
	v_lshlrev_b64 v[41:42], v41, v[2:3]
	s_delay_alu instid0(VALU_DEP_1)
	v_and_b32_e32 v2, 7, v41
; %bb.344:                              ;   in Loop: Header=BB303_225 Depth=1
	s_or_b32 exec_lo, exec_lo, s17
	v_lshlrev_b32_e32 v10, 8, v10
	v_lshl_add_u32 v11, v11, 10, 0x2000
	s_delay_alu instid0(VALU_DEP_1) | instskip(NEXT) | instid1(VALU_DEP_1)
	v_and_or_b32 v10, 0x8000, v10, v11
	v_lshl_or_b32 v2, v2, 7, v10
	s_delay_alu instid0(VALU_DEP_1)
	v_cvt_f32_f16_e32 v41, v2
.LBB303_345:                            ;   in Loop: Header=BB303_225 Depth=1
	s_or_b32 exec_lo, exec_lo, s16
.LBB303_346:                            ;   in Loop: Header=BB303_225 Depth=1
	s_delay_alu instid0(SALU_CYCLE_1)
	s_or_b32 exec_lo, exec_lo, s14
.LBB303_347:                            ;   in Loop: Header=BB303_225 Depth=1
	s_delay_alu instid0(SALU_CYCLE_1)
	s_or_b32 exec_lo, exec_lo, s13
	s_waitcnt vmcnt(0)
	v_fma_mixlo_f16 v11, v33, v35, 0
	v_fma_mixlo_f16 v2, v33, v37, 0
	;; [unrolled: 1-line block ×5, first 2 shown]
	v_lshlrev_b32_e32 v35, 16, v11
	v_fma_mixlo_f16 v37, v33, v38, 0
	v_fma_mixlo_f16 v38, v33, v41, 0
	;; [unrolled: 1-line block ×3, first 2 shown]
	v_lshlrev_b32_e32 v2, 16, v2
	v_and_b32_e32 v10, 0xffff, v10
	v_and_b32_e32 v34, 0xffff, v34
	v_lshlrev_b32_e32 v36, 16, v36
	v_and_b32_e32 v37, 0xffff, v37
	v_lshlrev_b32_e32 v38, 16, v38
	v_and_b32_e32 v39, 0xffff, v11
	v_or_b32_e32 v33, v2, v10
	v_or_b32_e32 v34, v35, v34
	;; [unrolled: 1-line block ×3, first 2 shown]
	s_delay_alu instid0(VALU_DEP_4)
	v_or_b32_e32 v10, v38, v39
	s_and_saveexec_b32 s13, vcc_lo
	s_cbranch_execz .LBB303_349
; %bb.348:                              ;   in Loop: Header=BB303_225 Depth=1
	v_cmp_gt_i32_e64 s0, s15, v18
	v_lshrrev_b32_e32 v35, 16, v34
	v_lshrrev_b32_e32 v36, 16, v33
	;; [unrolled: 1-line block ×4, first 2 shown]
	v_cndmask_b32_e64 v34, 0, v34, s0
	v_cmp_gt_i32_e64 s0, s10, v26
	s_delay_alu instid0(VALU_DEP_1) | instskip(SKIP_1) | instid1(VALU_DEP_2)
	v_cndmask_b32_e64 v35, 0, v35, s0
	v_cmp_gt_i32_e64 s0, s10, v25
	v_perm_b32 v34, v35, v34, 0x5040100
	s_delay_alu instid0(VALU_DEP_2) | instskip(SKIP_1) | instid1(VALU_DEP_1)
	v_cndmask_b32_e64 v36, 0, v36, s0
	v_cmp_gt_i32_e64 s0, s15, v24
	v_cndmask_b32_e64 v33, 0, v33, s0
	v_cmp_gt_i32_e64 s0, s10, v23
	s_delay_alu instid0(VALU_DEP_2) | instskip(NEXT) | instid1(VALU_DEP_2)
	v_perm_b32 v33, v36, v33, 0x5040100
	v_cndmask_b32_e64 v37, 0, v37, s0
	v_cmp_gt_i32_e64 s0, s15, v22
	s_delay_alu instid0(VALU_DEP_1) | instskip(SKIP_1) | instid1(VALU_DEP_2)
	v_cndmask_b32_e64 v2, 0, v2, s0
	v_cmp_gt_i32_e64 s0, s10, v21
	v_perm_b32 v2, v37, v2, 0x5040100
	s_delay_alu instid0(VALU_DEP_2) | instskip(SKIP_1) | instid1(VALU_DEP_1)
	v_cndmask_b32_e64 v10, 0, v10, s0
	v_cmp_gt_i32_e64 s0, s15, v20
	v_cndmask_b32_e64 v11, 0, v11, s0
	s_delay_alu instid0(VALU_DEP_1)
	v_perm_b32 v10, v10, v11, 0x5040100
.LBB303_349:                            ;   in Loop: Header=BB303_225 Depth=1
	s_or_b32 exec_lo, exec_lo, s13
	;;#ASMSTART
	v_pk_mul_f16 v11, v30, v34;

	;;#ASMEND
	;;#ASMSTART
	v_pk_mul_f16 v33, v29, v33;

	;;#ASMEND
	;; [unrolled: 4-line block ×4, first 2 shown]
	;;#ASMSTART
	v_pk_add_f16 v11, v11, v33;

	;;#ASMEND
	;;#ASMSTART
	v_pk_add_f16 v2, v11, v2;

	;;#ASMEND
	;;#ASMSTART
	v_pk_add_f16 v2, v2, v10;

	;;#ASMEND
	v_dual_mov_b32 v35, 0 :: v_dual_and_b32 v10, 0xffff, v2
	v_lshrrev_b32_e32 v2, 16, v2
	;;#ASMSTART
	v_cvt_f32_f16 v10, v10;
	;;#ASMEND
	;;#ASMSTART
	v_cvt_f32_f16 v11, v2;
	;;#ASMEND
	global_load_b64 v[8:9], v[8:9], off offset:512
	global_load_b32 v33, v3, s[6:7]
	v_mov_b32_e32 v34, 0
	s_mov_b32 s13, exec_lo
	s_waitcnt vmcnt(1)
	v_and_b32_e32 v2, 0xff, v8
	s_delay_alu instid0(VALU_DEP_1)
	v_cmpx_ne_u16_e32 0, v2
	s_cbranch_execz .LBB303_355
; %bb.350:                              ;   in Loop: Header=BB303_225 Depth=1
	v_bfrev_b32_e32 v34, 1
	s_mov_b32 s14, exec_lo
	v_cmpx_ne_u16_e32 0x80, v2
	s_cbranch_execz .LBB303_354
; %bb.351:                              ;   in Loop: Header=BB303_225 Depth=1
	v_and_b32_e32 v2, 0x7f, v8
	v_mov_b32_e32 v34, 0x7fc02000
	s_mov_b32 s16, exec_lo
	s_delay_alu instid0(VALU_DEP_2)
	v_cmpx_ne_u32_e32 0x7f, v2
	s_cbranch_execz .LBB303_353
; %bb.352:                              ;   in Loop: Header=BB303_225 Depth=1
	v_and_b32_e32 v34, 7, v8
	v_cmp_gt_u32_e64 s0, 8, v2
	v_lshrrev_b32_e32 v36, 3, v2
	s_delay_alu instid0(VALU_DEP_3) | instskip(NEXT) | instid1(VALU_DEP_1)
	v_clz_i32_u32_e32 v34, v34
	v_min_u32_e32 v34, 32, v34
	s_delay_alu instid0(VALU_DEP_1) | instskip(SKIP_1) | instid1(VALU_DEP_2)
	v_subrev_nc_u32_e32 v37, 28, v34
	v_sub_nc_u32_e32 v34, 29, v34
	v_cndmask_b32_e64 v2, 0, v37, s0
	s_delay_alu instid0(VALU_DEP_2) | instskip(NEXT) | instid1(VALU_DEP_2)
	v_cndmask_b32_e64 v34, v36, v34, s0
	v_lshlrev_b64 v[36:37], v2, v[8:9]
	v_lshlrev_b32_e32 v2, 8, v8
	s_delay_alu instid0(VALU_DEP_3) | instskip(NEXT) | instid1(VALU_DEP_3)
	v_lshl_add_u32 v34, v34, 10, 0x2000
	v_lshlrev_b32_e32 v36, 7, v36
	s_delay_alu instid0(VALU_DEP_2) | instskip(NEXT) | instid1(VALU_DEP_1)
	v_and_or_b32 v2, 0x8000, v2, v34
	v_and_or_b32 v2, 0x380, v36, v2
	s_delay_alu instid0(VALU_DEP_1)
	v_cvt_f32_f16_e32 v34, v2
.LBB303_353:                            ;   in Loop: Header=BB303_225 Depth=1
	s_or_b32 exec_lo, exec_lo, s16
.LBB303_354:                            ;   in Loop: Header=BB303_225 Depth=1
	s_delay_alu instid0(SALU_CYCLE_1)
	s_or_b32 exec_lo, exec_lo, s14
.LBB303_355:                            ;   in Loop: Header=BB303_225 Depth=1
	s_delay_alu instid0(SALU_CYCLE_1) | instskip(SKIP_2) | instid1(VALU_DEP_1)
	s_or_b32 exec_lo, exec_lo, s13
	v_lshrrev_b16 v2, 8, v8
	s_mov_b32 s13, exec_lo
	v_cmpx_ne_u16_e32 0, v2
	s_cbranch_execz .LBB303_363
; %bb.356:                              ;   in Loop: Header=BB303_225 Depth=1
	v_bfrev_b32_e32 v35, 1
	s_mov_b32 s14, exec_lo
	v_cmpx_ne_u16_e32 0x80, v2
	s_cbranch_execz .LBB303_362
; %bb.357:                              ;   in Loop: Header=BB303_225 Depth=1
	v_and_b32_e32 v36, 0xffff, v2
	v_mov_b32_e32 v35, 0x7fc02000
	s_mov_b32 s16, exec_lo
	s_delay_alu instid0(VALU_DEP_2) | instskip(NEXT) | instid1(VALU_DEP_1)
	v_and_b32_e32 v37, 0x7f, v36
	v_cmpx_ne_u32_e32 0x7f, v37
	s_cbranch_execz .LBB303_361
; %bb.358:                              ;   in Loop: Header=BB303_225 Depth=1
	v_and_b32_e32 v2, 7, v36
	v_lshrrev_b32_e32 v35, 3, v37
	s_mov_b32 s17, exec_lo
	v_cmpx_gt_u32_e32 8, v37
; %bb.359:                              ;   in Loop: Header=BB303_225 Depth=1
	s_delay_alu instid0(VALU_DEP_3) | instskip(NEXT) | instid1(VALU_DEP_1)
	v_clz_i32_u32_e32 v35, v2
	v_min_u32_e32 v35, 32, v35
	s_delay_alu instid0(VALU_DEP_1) | instskip(SKIP_1) | instid1(VALU_DEP_2)
	v_subrev_nc_u32_e32 v37, 28, v35
	v_sub_nc_u32_e32 v35, 29, v35
	v_lshlrev_b64 v[37:38], v37, v[2:3]
	s_delay_alu instid0(VALU_DEP_1)
	v_and_b32_e32 v2, 7, v37
; %bb.360:                              ;   in Loop: Header=BB303_225 Depth=1
	s_or_b32 exec_lo, exec_lo, s17
	v_lshlrev_b32_e32 v36, 8, v36
	v_lshl_add_u32 v35, v35, 10, 0x2000
	s_delay_alu instid0(VALU_DEP_1) | instskip(NEXT) | instid1(VALU_DEP_1)
	v_and_or_b32 v35, 0x8000, v36, v35
	v_lshl_or_b32 v2, v2, 7, v35
	s_delay_alu instid0(VALU_DEP_1)
	v_cvt_f32_f16_e32 v35, v2
.LBB303_361:                            ;   in Loop: Header=BB303_225 Depth=1
	s_or_b32 exec_lo, exec_lo, s16
.LBB303_362:                            ;   in Loop: Header=BB303_225 Depth=1
	s_delay_alu instid0(SALU_CYCLE_1)
	s_or_b32 exec_lo, exec_lo, s14
.LBB303_363:                            ;   in Loop: Header=BB303_225 Depth=1
	s_delay_alu instid0(SALU_CYCLE_1) | instskip(SKIP_3) | instid1(VALU_DEP_2)
	s_or_b32 exec_lo, exec_lo, s13
	v_lshrrev_b32_e32 v38, 16, v8
	v_mov_b32_e32 v36, 0
	s_mov_b32 s13, exec_lo
	v_dual_mov_b32 v37, 0 :: v_dual_and_b32 v2, 0xff, v38
	s_delay_alu instid0(VALU_DEP_1)
	v_cmpx_ne_u16_e32 0, v2
	s_cbranch_execz .LBB303_371
; %bb.364:                              ;   in Loop: Header=BB303_225 Depth=1
	v_bfrev_b32_e32 v36, 1
	s_mov_b32 s14, exec_lo
	v_cmpx_ne_u16_e32 0x80, v2
	s_cbranch_execz .LBB303_370
; %bb.365:                              ;   in Loop: Header=BB303_225 Depth=1
	v_bfe_u32 v39, v8, 16, 7
	v_mov_b32_e32 v36, 0x7fc02000
	s_mov_b32 s16, exec_lo
	s_delay_alu instid0(VALU_DEP_2)
	v_cmpx_ne_u32_e32 0x7f, v39
	s_cbranch_execz .LBB303_369
; %bb.366:                              ;   in Loop: Header=BB303_225 Depth=1
	v_and_b32_e32 v2, 7, v38
	v_lshrrev_b32_e32 v36, 3, v39
	s_mov_b32 s17, exec_lo
	v_cmpx_gt_u32_e32 8, v39
; %bb.367:                              ;   in Loop: Header=BB303_225 Depth=1
	s_delay_alu instid0(VALU_DEP_3) | instskip(NEXT) | instid1(VALU_DEP_1)
	v_clz_i32_u32_e32 v36, v2
	v_min_u32_e32 v36, 32, v36
	s_delay_alu instid0(VALU_DEP_1) | instskip(SKIP_1) | instid1(VALU_DEP_2)
	v_subrev_nc_u32_e32 v39, 28, v36
	v_sub_nc_u32_e32 v36, 29, v36
	v_lshlrev_b64 v[39:40], v39, v[2:3]
	s_delay_alu instid0(VALU_DEP_1)
	v_and_b32_e32 v2, 7, v39
; %bb.368:                              ;   in Loop: Header=BB303_225 Depth=1
	s_or_b32 exec_lo, exec_lo, s17
	v_lshlrev_b32_e32 v38, 8, v38
	v_lshl_add_u32 v36, v36, 10, 0x2000
	s_delay_alu instid0(VALU_DEP_1) | instskip(NEXT) | instid1(VALU_DEP_1)
	v_and_or_b32 v36, 0x8000, v38, v36
	v_lshl_or_b32 v2, v2, 7, v36
	s_delay_alu instid0(VALU_DEP_1)
	v_cvt_f32_f16_e32 v36, v2
.LBB303_369:                            ;   in Loop: Header=BB303_225 Depth=1
	s_or_b32 exec_lo, exec_lo, s16
.LBB303_370:                            ;   in Loop: Header=BB303_225 Depth=1
	s_delay_alu instid0(SALU_CYCLE_1)
	s_or_b32 exec_lo, exec_lo, s14
.LBB303_371:                            ;   in Loop: Header=BB303_225 Depth=1
	s_delay_alu instid0(SALU_CYCLE_1) | instskip(NEXT) | instid1(SALU_CYCLE_1)
	s_or_b32 exec_lo, exec_lo, s13
	s_mov_b32 s13, exec_lo
	v_cmpx_lt_u32_e32 0xffffff, v8
	s_cbranch_execz .LBB303_379
; %bb.372:                              ;   in Loop: Header=BB303_225 Depth=1
	v_lshrrev_b32_e32 v38, 24, v8
	v_bfrev_b32_e32 v37, 1
	s_mov_b32 s14, exec_lo
	s_delay_alu instid0(VALU_DEP_2)
	v_cmpx_ne_u32_e32 0x80, v38
	s_cbranch_execz .LBB303_378
; %bb.373:                              ;   in Loop: Header=BB303_225 Depth=1
	v_and_b32_e32 v39, 0x7f, v38
	v_mov_b32_e32 v37, 0x7fc02000
	s_mov_b32 s16, exec_lo
	s_delay_alu instid0(VALU_DEP_2)
	v_cmpx_ne_u32_e32 0x7f, v39
	s_cbranch_execz .LBB303_377
; %bb.374:                              ;   in Loop: Header=BB303_225 Depth=1
	v_and_b32_e32 v2, 7, v38
	v_lshrrev_b32_e32 v37, 3, v39
	s_mov_b32 s17, exec_lo
	v_cmpx_gt_u32_e32 8, v39
; %bb.375:                              ;   in Loop: Header=BB303_225 Depth=1
	s_delay_alu instid0(VALU_DEP_3) | instskip(NEXT) | instid1(VALU_DEP_1)
	v_clz_i32_u32_e32 v37, v2
	v_min_u32_e32 v37, 32, v37
	s_delay_alu instid0(VALU_DEP_1) | instskip(SKIP_1) | instid1(VALU_DEP_2)
	v_subrev_nc_u32_e32 v39, 28, v37
	v_sub_nc_u32_e32 v37, 29, v37
	v_lshlrev_b64 v[39:40], v39, v[2:3]
	s_delay_alu instid0(VALU_DEP_1)
	v_and_b32_e32 v2, 7, v39
; %bb.376:                              ;   in Loop: Header=BB303_225 Depth=1
	s_or_b32 exec_lo, exec_lo, s17
	v_lshlrev_b32_e32 v38, 8, v38
	v_lshl_add_u32 v37, v37, 10, 0x2000
	s_delay_alu instid0(VALU_DEP_1) | instskip(NEXT) | instid1(VALU_DEP_1)
	v_and_or_b32 v37, 0x8000, v38, v37
	v_lshl_or_b32 v2, v2, 7, v37
	s_delay_alu instid0(VALU_DEP_1)
	v_cvt_f32_f16_e32 v37, v2
.LBB303_377:                            ;   in Loop: Header=BB303_225 Depth=1
	s_or_b32 exec_lo, exec_lo, s16
.LBB303_378:                            ;   in Loop: Header=BB303_225 Depth=1
	s_delay_alu instid0(SALU_CYCLE_1)
	s_or_b32 exec_lo, exec_lo, s14
.LBB303_379:                            ;   in Loop: Header=BB303_225 Depth=1
	s_delay_alu instid0(SALU_CYCLE_1) | instskip(SKIP_4) | instid1(VALU_DEP_3)
	s_or_b32 exec_lo, exec_lo, s13
	v_dual_mov_b32 v39, 0 :: v_dual_and_b32 v40, 0xff, v9
	v_mov_b32_e32 v2, v9
	v_mov_b32_e32 v38, 0
	s_mov_b32 s13, exec_lo
	v_cmpx_ne_u16_e32 0, v40
	s_cbranch_execz .LBB303_385
; %bb.380:                              ;   in Loop: Header=BB303_225 Depth=1
	v_bfrev_b32_e32 v38, 1
	s_mov_b32 s14, exec_lo
	v_cmpx_ne_u16_e32 0x80, v40
	s_cbranch_execz .LBB303_384
; %bb.381:                              ;   in Loop: Header=BB303_225 Depth=1
	v_and_b32_e32 v40, 0x7f, v9
	v_mov_b32_e32 v38, 0x7fc02000
	s_mov_b32 s16, exec_lo
	s_delay_alu instid0(VALU_DEP_2)
	v_cmpx_ne_u32_e32 0x7f, v40
	s_cbranch_execz .LBB303_383
; %bb.382:                              ;   in Loop: Header=BB303_225 Depth=1
	v_and_b32_e32 v38, 7, v9
	v_cmp_gt_u32_e64 s0, 8, v40
	v_lshrrev_b32_e32 v41, 3, v40
	s_delay_alu instid0(VALU_DEP_3) | instskip(NEXT) | instid1(VALU_DEP_1)
	v_clz_i32_u32_e32 v38, v38
	v_min_u32_e32 v38, 32, v38
	s_delay_alu instid0(VALU_DEP_1) | instskip(SKIP_1) | instid1(VALU_DEP_2)
	v_subrev_nc_u32_e32 v42, 28, v38
	v_sub_nc_u32_e32 v38, 29, v38
	v_cndmask_b32_e64 v40, 0, v42, s0
	s_delay_alu instid0(VALU_DEP_2) | instskip(NEXT) | instid1(VALU_DEP_2)
	v_cndmask_b32_e64 v38, v41, v38, s0
	v_lshlrev_b64 v[40:41], v40, v[2:3]
	v_lshlrev_b32_e32 v41, 8, v9
	s_delay_alu instid0(VALU_DEP_3) | instskip(NEXT) | instid1(VALU_DEP_3)
	v_lshl_add_u32 v38, v38, 10, 0x2000
	v_lshlrev_b32_e32 v40, 7, v40
	s_delay_alu instid0(VALU_DEP_2) | instskip(NEXT) | instid1(VALU_DEP_1)
	v_and_or_b32 v38, 0x8000, v41, v38
	v_and_or_b32 v38, 0x380, v40, v38
	s_delay_alu instid0(VALU_DEP_1)
	v_cvt_f32_f16_e32 v38, v38
.LBB303_383:                            ;   in Loop: Header=BB303_225 Depth=1
	s_or_b32 exec_lo, exec_lo, s16
.LBB303_384:                            ;   in Loop: Header=BB303_225 Depth=1
	s_delay_alu instid0(SALU_CYCLE_1)
	s_or_b32 exec_lo, exec_lo, s14
.LBB303_385:                            ;   in Loop: Header=BB303_225 Depth=1
	s_delay_alu instid0(SALU_CYCLE_1) | instskip(SKIP_2) | instid1(VALU_DEP_1)
	s_or_b32 exec_lo, exec_lo, s13
	v_lshrrev_b16 v2, 8, v2
	s_mov_b32 s13, exec_lo
	v_cmpx_ne_u16_e32 0, v2
	s_cbranch_execz .LBB303_393
; %bb.386:                              ;   in Loop: Header=BB303_225 Depth=1
	v_bfrev_b32_e32 v39, 1
	s_mov_b32 s14, exec_lo
	v_cmpx_ne_u16_e32 0x80, v2
	s_cbranch_execz .LBB303_392
; %bb.387:                              ;   in Loop: Header=BB303_225 Depth=1
	v_and_b32_e32 v40, 0xffff, v2
	v_mov_b32_e32 v39, 0x7fc02000
	s_mov_b32 s16, exec_lo
	s_delay_alu instid0(VALU_DEP_2) | instskip(NEXT) | instid1(VALU_DEP_1)
	v_and_b32_e32 v41, 0x7f, v40
	v_cmpx_ne_u32_e32 0x7f, v41
	s_cbranch_execz .LBB303_391
; %bb.388:                              ;   in Loop: Header=BB303_225 Depth=1
	v_and_b32_e32 v2, 7, v40
	v_lshrrev_b32_e32 v39, 3, v41
	s_mov_b32 s17, exec_lo
	v_cmpx_gt_u32_e32 8, v41
; %bb.389:                              ;   in Loop: Header=BB303_225 Depth=1
	s_delay_alu instid0(VALU_DEP_3) | instskip(NEXT) | instid1(VALU_DEP_1)
	v_clz_i32_u32_e32 v39, v2
	v_min_u32_e32 v39, 32, v39
	s_delay_alu instid0(VALU_DEP_1) | instskip(SKIP_1) | instid1(VALU_DEP_2)
	v_subrev_nc_u32_e32 v41, 28, v39
	v_sub_nc_u32_e32 v39, 29, v39
	v_lshlrev_b64 v[41:42], v41, v[2:3]
	s_delay_alu instid0(VALU_DEP_1)
	v_and_b32_e32 v2, 7, v41
; %bb.390:                              ;   in Loop: Header=BB303_225 Depth=1
	s_or_b32 exec_lo, exec_lo, s17
	v_lshlrev_b32_e32 v40, 8, v40
	v_lshl_add_u32 v39, v39, 10, 0x2000
	s_delay_alu instid0(VALU_DEP_1) | instskip(NEXT) | instid1(VALU_DEP_1)
	v_and_or_b32 v39, 0x8000, v40, v39
	v_lshl_or_b32 v2, v2, 7, v39
	s_delay_alu instid0(VALU_DEP_1)
	v_cvt_f32_f16_e32 v39, v2
.LBB303_391:                            ;   in Loop: Header=BB303_225 Depth=1
	s_or_b32 exec_lo, exec_lo, s16
.LBB303_392:                            ;   in Loop: Header=BB303_225 Depth=1
	s_delay_alu instid0(SALU_CYCLE_1)
	s_or_b32 exec_lo, exec_lo, s14
.LBB303_393:                            ;   in Loop: Header=BB303_225 Depth=1
	s_delay_alu instid0(SALU_CYCLE_1) | instskip(SKIP_3) | instid1(VALU_DEP_2)
	s_or_b32 exec_lo, exec_lo, s13
	v_lshrrev_b32_e32 v42, 16, v9
	v_mov_b32_e32 v40, 0
	s_mov_b32 s13, exec_lo
	v_dual_mov_b32 v41, 0 :: v_dual_and_b32 v2, 0xff, v42
	s_delay_alu instid0(VALU_DEP_1)
	v_cmpx_ne_u16_e32 0, v2
	s_cbranch_execz .LBB303_401
; %bb.394:                              ;   in Loop: Header=BB303_225 Depth=1
	v_bfrev_b32_e32 v40, 1
	s_mov_b32 s14, exec_lo
	v_cmpx_ne_u16_e32 0x80, v2
	s_cbranch_execz .LBB303_400
; %bb.395:                              ;   in Loop: Header=BB303_225 Depth=1
	v_bfe_u32 v43, v9, 16, 7
	v_mov_b32_e32 v40, 0x7fc02000
	s_mov_b32 s16, exec_lo
	s_delay_alu instid0(VALU_DEP_2)
	v_cmpx_ne_u32_e32 0x7f, v43
	s_cbranch_execz .LBB303_399
; %bb.396:                              ;   in Loop: Header=BB303_225 Depth=1
	v_and_b32_e32 v2, 7, v42
	v_lshrrev_b32_e32 v40, 3, v43
	s_mov_b32 s17, exec_lo
	v_cmpx_gt_u32_e32 8, v43
; %bb.397:                              ;   in Loop: Header=BB303_225 Depth=1
	s_delay_alu instid0(VALU_DEP_3) | instskip(NEXT) | instid1(VALU_DEP_1)
	v_clz_i32_u32_e32 v40, v2
	v_min_u32_e32 v40, 32, v40
	s_delay_alu instid0(VALU_DEP_1) | instskip(SKIP_1) | instid1(VALU_DEP_2)
	v_subrev_nc_u32_e32 v43, 28, v40
	v_sub_nc_u32_e32 v40, 29, v40
	v_lshlrev_b64 v[43:44], v43, v[2:3]
	s_delay_alu instid0(VALU_DEP_1)
	v_and_b32_e32 v2, 7, v43
; %bb.398:                              ;   in Loop: Header=BB303_225 Depth=1
	s_or_b32 exec_lo, exec_lo, s17
	v_lshlrev_b32_e32 v42, 8, v42
	v_lshl_add_u32 v40, v40, 10, 0x2000
	s_delay_alu instid0(VALU_DEP_1) | instskip(NEXT) | instid1(VALU_DEP_1)
	v_and_or_b32 v40, 0x8000, v42, v40
	v_lshl_or_b32 v2, v2, 7, v40
	s_delay_alu instid0(VALU_DEP_1)
	v_cvt_f32_f16_e32 v40, v2
.LBB303_399:                            ;   in Loop: Header=BB303_225 Depth=1
	s_or_b32 exec_lo, exec_lo, s16
.LBB303_400:                            ;   in Loop: Header=BB303_225 Depth=1
	s_delay_alu instid0(SALU_CYCLE_1)
	s_or_b32 exec_lo, exec_lo, s14
.LBB303_401:                            ;   in Loop: Header=BB303_225 Depth=1
	s_delay_alu instid0(SALU_CYCLE_1) | instskip(NEXT) | instid1(SALU_CYCLE_1)
	s_or_b32 exec_lo, exec_lo, s13
	s_mov_b32 s13, exec_lo
	v_cmpx_lt_u64_e64 s[2:3], v[8:9]
	s_cbranch_execz .LBB303_409
; %bb.402:                              ;   in Loop: Header=BB303_225 Depth=1
	v_lshrrev_b32_e32 v8, 24, v9
	v_bfrev_b32_e32 v41, 1
	s_mov_b32 s14, exec_lo
	s_delay_alu instid0(VALU_DEP_2)
	v_cmpx_ne_u32_e32 0x80, v8
	s_cbranch_execz .LBB303_408
; %bb.403:                              ;   in Loop: Header=BB303_225 Depth=1
	v_and_b32_e32 v42, 0x7f, v8
	v_mov_b32_e32 v41, 0x7fc02000
	s_mov_b32 s16, exec_lo
	s_delay_alu instid0(VALU_DEP_2)
	v_cmpx_ne_u32_e32 0x7f, v42
	s_cbranch_execz .LBB303_407
; %bb.404:                              ;   in Loop: Header=BB303_225 Depth=1
	v_and_b32_e32 v2, 7, v8
	v_lshrrev_b32_e32 v9, 3, v42
	s_mov_b32 s17, exec_lo
	v_cmpx_gt_u32_e32 8, v42
; %bb.405:                              ;   in Loop: Header=BB303_225 Depth=1
	s_delay_alu instid0(VALU_DEP_3) | instskip(NEXT) | instid1(VALU_DEP_1)
	v_clz_i32_u32_e32 v9, v2
	v_min_u32_e32 v9, 32, v9
	s_delay_alu instid0(VALU_DEP_1) | instskip(SKIP_1) | instid1(VALU_DEP_2)
	v_subrev_nc_u32_e32 v41, 28, v9
	v_sub_nc_u32_e32 v9, 29, v9
	v_lshlrev_b64 v[41:42], v41, v[2:3]
	s_delay_alu instid0(VALU_DEP_1)
	v_and_b32_e32 v2, 7, v41
; %bb.406:                              ;   in Loop: Header=BB303_225 Depth=1
	s_or_b32 exec_lo, exec_lo, s17
	v_lshlrev_b32_e32 v8, 8, v8
	v_lshl_add_u32 v9, v9, 10, 0x2000
	s_delay_alu instid0(VALU_DEP_1) | instskip(NEXT) | instid1(VALU_DEP_1)
	v_and_or_b32 v8, 0x8000, v8, v9
	v_lshl_or_b32 v2, v2, 7, v8
	s_delay_alu instid0(VALU_DEP_1)
	v_cvt_f32_f16_e32 v41, v2
.LBB303_407:                            ;   in Loop: Header=BB303_225 Depth=1
	s_or_b32 exec_lo, exec_lo, s16
.LBB303_408:                            ;   in Loop: Header=BB303_225 Depth=1
	s_delay_alu instid0(SALU_CYCLE_1)
	s_or_b32 exec_lo, exec_lo, s14
.LBB303_409:                            ;   in Loop: Header=BB303_225 Depth=1
	s_delay_alu instid0(SALU_CYCLE_1)
	s_or_b32 exec_lo, exec_lo, s13
	s_waitcnt vmcnt(0)
	v_fma_mixlo_f16 v9, v33, v35, 0
	v_fma_mixlo_f16 v2, v33, v37, 0
	;; [unrolled: 1-line block ×5, first 2 shown]
	v_lshlrev_b32_e32 v35, 16, v9
	v_fma_mixlo_f16 v37, v33, v38, 0
	v_fma_mixlo_f16 v38, v33, v41, 0
	;; [unrolled: 1-line block ×3, first 2 shown]
	v_lshlrev_b32_e32 v2, 16, v2
	v_and_b32_e32 v8, 0xffff, v8
	v_and_b32_e32 v34, 0xffff, v34
	v_lshlrev_b32_e32 v36, 16, v36
	v_and_b32_e32 v37, 0xffff, v37
	v_lshlrev_b32_e32 v38, 16, v38
	v_and_b32_e32 v39, 0xffff, v9
	v_or_b32_e32 v33, v2, v8
	v_or_b32_e32 v34, v35, v34
	;; [unrolled: 1-line block ×3, first 2 shown]
	s_delay_alu instid0(VALU_DEP_4)
	v_or_b32_e32 v8, v38, v39
	s_and_saveexec_b32 s0, vcc_lo
	s_cbranch_execz .LBB303_224
; %bb.410:                              ;   in Loop: Header=BB303_225 Depth=1
	v_cmp_gt_i32_e32 vcc_lo, s15, v18
	v_lshrrev_b32_e32 v35, 16, v34
	v_lshrrev_b32_e32 v36, 16, v33
	v_lshrrev_b32_e32 v8, 16, v8
	v_cndmask_b32_e32 v34, 0, v34, vcc_lo
	v_cmp_gt_i32_e32 vcc_lo, s10, v26
	v_cndmask_b32_e32 v26, 0, v35, vcc_lo
	v_cmp_gt_i32_e32 vcc_lo, s10, v25
	v_lshrrev_b32_e32 v35, 16, v2
	v_cndmask_b32_e32 v25, 0, v36, vcc_lo
	v_cmp_gt_i32_e32 vcc_lo, s15, v24
	v_cndmask_b32_e32 v24, 0, v33, vcc_lo
	v_cmp_gt_i32_e32 vcc_lo, s10, v23
	;; [unrolled: 2-line block ×3, first 2 shown]
	s_delay_alu instid0(VALU_DEP_4) | instskip(SKIP_2) | instid1(VALU_DEP_2)
	v_perm_b32 v33, v25, v24, 0x5040100
	v_cndmask_b32_e32 v2, 0, v2, vcc_lo
	v_cmp_gt_i32_e32 vcc_lo, s10, v21
	v_perm_b32 v2, v23, v2, 0x5040100
	v_cndmask_b32_e32 v8, 0, v8, vcc_lo
	v_cmp_gt_i32_e32 vcc_lo, s15, v20
	v_cndmask_b32_e32 v9, 0, v9, vcc_lo
	v_perm_b32 v34, v26, v34, 0x5040100
	s_delay_alu instid0(VALU_DEP_2)
	v_perm_b32 v8, v8, v9, 0x5040100
	s_branch .LBB303_224
.LBB303_411:
	s_or_b32 exec_lo, exec_lo, s5
.LBB303_412:
	s_delay_alu instid0(SALU_CYCLE_1)
	s_or_b32 exec_lo, exec_lo, s1
	s_movk_i32 s0, 0x180
	v_and_b32_e32 v2, 0x3c0, v0
	v_mad_u32_u24 v1, v12, s0, 0xe0
	s_mov_b32 s0, exec_lo
	s_waitcnt_vscnt null, 0x0
	s_barrier
	buffer_gl0_inv
	v_cmpx_eq_u32_e32 64, v2
	s_cbranch_execz .LBB303_414
; %bb.413:
	v_add3_u32 v2, v1, v14, 0xfffffd00
	ds_store_2addr_b32 v2, v15, v17 offset1:32
	ds_store_b32 v2, v16 offset:256
.LBB303_414:
	s_or_b32 exec_lo, exec_lo, s0
	v_lshl_add_u32 v2, v13, 2, v1
	s_mov_b32 s0, exec_lo
	s_waitcnt lgkmcnt(0)
	s_barrier
	buffer_gl0_inv
	v_cmpx_gt_u32_e32 64, v0
	s_cbranch_execz .LBB303_416
; %bb.415:
	v_lshl_or_b32 v3, v0, 2, 0x80
	s_delay_alu instid0(VALU_DEP_1)
	v_add_nc_u32_e32 v5, v1, v3
	ds_load_2addr_stride64_b32 v[3:4], v2 offset1:1
	ds_load_b32 v5, v5
	s_waitcnt lgkmcnt(1)
	v_dual_add_f32 v16, v16, v4 :: v_dual_add_f32 v15, v15, v3
	s_waitcnt lgkmcnt(0)
	v_add_f32_e32 v17, v17, v5
.LBB303_416:
	s_or_b32 exec_lo, exec_lo, s0
	v_and_b32_e32 v3, 0x3e0, v0
	s_mov_b32 s0, exec_lo
	s_barrier
	buffer_gl0_inv
	v_cmpx_eq_u32_e32 32, v3
	s_cbranch_execz .LBB303_418
; %bb.417:
	v_add_nc_u32_e32 v3, 0xfffffe80, v1
	s_delay_alu instid0(VALU_DEP_1)
	v_lshl_add_u32 v4, v13, 2, v3
	v_lshl_add_u32 v3, v0, 2, v3
	ds_store_b32 v4, v15
	ds_store_b32 v3, v17
	ds_store_b32 v4, v16 offset:256
.LBB303_418:
	s_or_b32 exec_lo, exec_lo, s0
	v_cmp_gt_u32_e32 vcc_lo, 32, v0
	s_waitcnt lgkmcnt(0)
	s_barrier
	buffer_gl0_inv
	s_and_saveexec_b32 s0, vcc_lo
	s_cbranch_execz .LBB303_420
; %bb.419:
	v_lshl_add_u32 v1, v0, 2, v1
	ds_load_b32 v3, v2
	ds_load_2addr_b32 v[1:2], v1 offset0:32 offset1:64
	s_waitcnt lgkmcnt(0)
	v_dual_add_f32 v15, v15, v3 :: v_dual_add_f32 v16, v16, v2
	v_add_f32_e32 v17, v17, v1
.LBB303_420:
	s_or_b32 exec_lo, exec_lo, s0
	s_barrier
	buffer_gl0_inv
	s_and_saveexec_b32 s0, vcc_lo
	s_cbranch_execz .LBB303_422
; %bb.421:
	s_mul_i32 s0, s4, 0x60
	s_mul_i32 s2, s8, s20
	s_ashr_i32 s1, s0, 31
	v_lshlrev_b32_e32 v0, 1, v0
	s_lshl_b64 s[0:1], s[0:1], 1
	;;#ASMSTART
	v_cvt_f16_f32 v1, v15;

	;;#ASMEND
	s_add_u32 s4, s22, s0
	s_addc_u32 s5, s23, s1
	s_ashr_i32 s3, s2, 31
	s_delay_alu instid0(SALU_CYCLE_1) | instskip(SKIP_4) | instid1(SALU_CYCLE_1)
	s_lshl_b64 s[0:1], s[2:3], 1
	s_mul_i32 s2, s12, 0x60
	s_add_u32 s4, s4, s0
	s_addc_u32 s5, s5, s1
	s_ashr_i32 s3, s2, 31
	s_lshl_b64 s[0:1], s[2:3], 1
	s_delay_alu instid0(SALU_CYCLE_1)
	s_add_u32 s0, s4, s0
	s_addc_u32 s1, s5, s1
	global_store_b16 v0, v1, s[0:1]
	;;#ASMSTART
	v_cvt_f16_f32 v1, v17;

	;;#ASMEND
	global_store_b16 v0, v1, s[0:1] offset:64
	;;#ASMSTART
	v_cvt_f16_f32 v1, v16;

	;;#ASMEND
	global_store_b16 v0, v1, s[0:1] offset:128
.LBB303_422:
	s_nop 0
	s_sendmsg sendmsg(MSG_DEALLOC_VGPRS)
	s_endpgm
	.section	.rodata,"a",@progbits
	.p2align	6, 0x0
	.amdhsa_kernel _ZN4vllm25paged_attention_v2_kernelIthLi96ELi8ELi128ELNS_18Fp8KVCacheDataTypeE1ELb0ELi512EEEvPfS2_PT_PKS3_PKT0_S9_ifPKiSB_iPKfiiiSD_SD_iiiii
		.amdhsa_group_segment_fixed_size 224
		.amdhsa_private_segment_fixed_size 0
		.amdhsa_kernarg_size 400
		.amdhsa_user_sgpr_count 13
		.amdhsa_user_sgpr_dispatch_ptr 0
		.amdhsa_user_sgpr_queue_ptr 0
		.amdhsa_user_sgpr_kernarg_segment_ptr 1
		.amdhsa_user_sgpr_dispatch_id 0
		.amdhsa_user_sgpr_private_segment_size 0
		.amdhsa_wavefront_size32 1
		.amdhsa_uses_dynamic_stack 0
		.amdhsa_enable_private_segment 0
		.amdhsa_system_sgpr_workgroup_id_x 1
		.amdhsa_system_sgpr_workgroup_id_y 1
		.amdhsa_system_sgpr_workgroup_id_z 1
		.amdhsa_system_sgpr_workgroup_info 0
		.amdhsa_system_vgpr_workitem_id 0
		.amdhsa_next_free_vgpr 62
		.amdhsa_next_free_sgpr 43
		.amdhsa_reserve_vcc 1
		.amdhsa_float_round_mode_32 0
		.amdhsa_float_round_mode_16_64 0
		.amdhsa_float_denorm_mode_32 3
		.amdhsa_float_denorm_mode_16_64 3
		.amdhsa_dx10_clamp 1
		.amdhsa_ieee_mode 1
		.amdhsa_fp16_overflow 0
		.amdhsa_workgroup_processor_mode 1
		.amdhsa_memory_ordered 1
		.amdhsa_forward_progress 0
		.amdhsa_shared_vgpr_count 0
		.amdhsa_exception_fp_ieee_invalid_op 0
		.amdhsa_exception_fp_denorm_src 0
		.amdhsa_exception_fp_ieee_div_zero 0
		.amdhsa_exception_fp_ieee_overflow 0
		.amdhsa_exception_fp_ieee_underflow 0
		.amdhsa_exception_fp_ieee_inexact 0
		.amdhsa_exception_int_div_zero 0
	.end_amdhsa_kernel
	.section	.text._ZN4vllm25paged_attention_v2_kernelIthLi96ELi8ELi128ELNS_18Fp8KVCacheDataTypeE1ELb0ELi512EEEvPfS2_PT_PKS3_PKT0_S9_ifPKiSB_iPKfiiiSD_SD_iiiii,"axG",@progbits,_ZN4vllm25paged_attention_v2_kernelIthLi96ELi8ELi128ELNS_18Fp8KVCacheDataTypeE1ELb0ELi512EEEvPfS2_PT_PKS3_PKT0_S9_ifPKiSB_iPKfiiiSD_SD_iiiii,comdat
.Lfunc_end303:
	.size	_ZN4vllm25paged_attention_v2_kernelIthLi96ELi8ELi128ELNS_18Fp8KVCacheDataTypeE1ELb0ELi512EEEvPfS2_PT_PKS3_PKT0_S9_ifPKiSB_iPKfiiiSD_SD_iiiii, .Lfunc_end303-_ZN4vllm25paged_attention_v2_kernelIthLi96ELi8ELi128ELNS_18Fp8KVCacheDataTypeE1ELb0ELi512EEEvPfS2_PT_PKS3_PKT0_S9_ifPKiSB_iPKfiiiSD_SD_iiiii
                                        ; -- End function
	.section	.AMDGPU.csdata,"",@progbits
; Kernel info:
; codeLenInByte = 17548
; NumSgprs: 45
; NumVgprs: 62
; ScratchSize: 0
; MemoryBound: 0
; FloatMode: 240
; IeeeMode: 1
; LDSByteSize: 224 bytes/workgroup (compile time only)
; SGPRBlocks: 5
; VGPRBlocks: 7
; NumSGPRsForWavesPerEU: 45
; NumVGPRsForWavesPerEU: 62
; Occupancy: 16
; WaveLimiterHint : 1
; COMPUTE_PGM_RSRC2:SCRATCH_EN: 0
; COMPUTE_PGM_RSRC2:USER_SGPR: 13
; COMPUTE_PGM_RSRC2:TRAP_HANDLER: 0
; COMPUTE_PGM_RSRC2:TGID_X_EN: 1
; COMPUTE_PGM_RSRC2:TGID_Y_EN: 1
; COMPUTE_PGM_RSRC2:TGID_Z_EN: 1
; COMPUTE_PGM_RSRC2:TIDIG_COMP_CNT: 0
	.section	.text._ZN4vllm25paged_attention_v2_kernelIthLi112ELi8ELi128ELNS_18Fp8KVCacheDataTypeE1ELb0ELi512EEEvPfS2_PT_PKS3_PKT0_S9_ifPKiSB_iPKfiiiSD_SD_iiiii,"axG",@progbits,_ZN4vllm25paged_attention_v2_kernelIthLi112ELi8ELi128ELNS_18Fp8KVCacheDataTypeE1ELb0ELi512EEEvPfS2_PT_PKS3_PKT0_S9_ifPKiSB_iPKfiiiSD_SD_iiiii,comdat
	.protected	_ZN4vllm25paged_attention_v2_kernelIthLi112ELi8ELi128ELNS_18Fp8KVCacheDataTypeE1ELb0ELi512EEEvPfS2_PT_PKS3_PKT0_S9_ifPKiSB_iPKfiiiSD_SD_iiiii ; -- Begin function _ZN4vllm25paged_attention_v2_kernelIthLi112ELi8ELi128ELNS_18Fp8KVCacheDataTypeE1ELb0ELi512EEEvPfS2_PT_PKS3_PKT0_S9_ifPKiSB_iPKfiiiSD_SD_iiiii
	.globl	_ZN4vllm25paged_attention_v2_kernelIthLi112ELi8ELi128ELNS_18Fp8KVCacheDataTypeE1ELb0ELi512EEEvPfS2_PT_PKS3_PKT0_S9_ifPKiSB_iPKfiiiSD_SD_iiiii
	.p2align	8
	.type	_ZN4vllm25paged_attention_v2_kernelIthLi112ELi8ELi128ELNS_18Fp8KVCacheDataTypeE1ELb0ELi512EEEvPfS2_PT_PKS3_PKT0_S9_ifPKiSB_iPKfiiiSD_SD_iiiii,@function
_ZN4vllm25paged_attention_v2_kernelIthLi112ELi8ELi128ELNS_18Fp8KVCacheDataTypeE1ELb0ELi512EEEvPfS2_PT_PKS3_PKT0_S9_ifPKiSB_iPKfiiiSD_SD_iiiii: ; @_ZN4vllm25paged_attention_v2_kernelIthLi112ELi8ELi128ELNS_18Fp8KVCacheDataTypeE1ELb0ELi512EEEvPfS2_PT_PKS3_PKT0_S9_ifPKiSB_iPKfiiiSD_SD_iiiii
; %bb.0:
	s_load_b64 s[2:3], s[0:1], 0x40
	s_mov_b32 s20, s15
	s_ashr_i32 s15, s14, 31
	s_delay_alu instid0(SALU_CYCLE_1)
	s_lshl_b64 s[4:5], s[14:15], 2
	s_waitcnt lgkmcnt(0)
	s_add_u32 s2, s2, s4
	s_addc_u32 s3, s3, s5
	s_lshl_b32 s36, s20, 9
	s_load_b32 s33, s[2:3], 0x0
	s_waitcnt lgkmcnt(0)
	s_cmp_ge_i32 s36, s33
	s_cbranch_scc1 .LBB304_525
; %bb.1:
	s_mov_b32 s26, s13
	s_clause 0x1
	s_load_b32 s15, s[0:1], 0x90
	s_load_b64 s[12:13], s[0:1], 0x30
	s_waitcnt lgkmcnt(0)
	s_abs_i32 s5, s15
	s_abs_i32 s2, s12
	s_delay_alu instid0(SALU_CYCLE_1) | instskip(SKIP_1) | instid1(VALU_DEP_1)
	v_cvt_f32_u32_e32 v1, s2
	s_sub_i32 s4, 0, s2
	v_rcp_iflag_f32_e32 v1, v1
	s_waitcnt_depctr 0xfff
	v_mul_f32_e32 v1, 0x4f7ffffe, v1
	s_delay_alu instid0(VALU_DEP_1) | instskip(NEXT) | instid1(VALU_DEP_1)
	v_cvt_u32_f32_e32 v1, v1
	v_readfirstlane_b32 s3, v1
	s_delay_alu instid0(VALU_DEP_1) | instskip(NEXT) | instid1(SALU_CYCLE_1)
	s_mul_i32 s4, s4, s3
	s_mul_hi_u32 s4, s3, s4
	s_delay_alu instid0(SALU_CYCLE_1)
	s_add_i32 s3, s3, s4
	s_xor_b32 s4, s15, s12
	s_mul_hi_u32 s3, s5, s3
	s_ashr_i32 s4, s4, 31
	s_mul_i32 s6, s3, s2
	s_mov_b32 s12, 0
	s_sub_i32 s5, s5, s6
	s_add_i32 s6, s3, 1
	s_sub_i32 s7, s5, s2
	s_cmp_ge_u32 s5, s2
	s_cselect_b32 s3, s6, s3
	s_cselect_b32 s5, s7, s5
	s_add_i32 s6, s3, 1
	s_cmp_ge_u32 s5, s2
	s_cselect_b32 s2, s6, s3
	s_delay_alu instid0(SALU_CYCLE_1) | instskip(NEXT) | instid1(SALU_CYCLE_1)
	s_xor_b32 s2, s2, s4
	s_sub_i32 s7, s2, s4
	s_load_b64 s[2:3], s[0:1], 0x50
	s_abs_i32 s4, s7
	s_delay_alu instid0(SALU_CYCLE_1) | instskip(SKIP_1) | instid1(VALU_DEP_1)
	v_cvt_f32_u32_e32 v1, s4
	s_sub_i32 s6, 0, s4
	v_rcp_iflag_f32_e32 v1, v1
	s_waitcnt_depctr 0xfff
	v_mul_f32_e32 v1, 0x4f7ffffe, v1
	s_delay_alu instid0(VALU_DEP_1) | instskip(NEXT) | instid1(VALU_DEP_1)
	v_cvt_u32_f32_e32 v1, v1
	v_readfirstlane_b32 s5, v1
	s_delay_alu instid0(VALU_DEP_1) | instskip(NEXT) | instid1(SALU_CYCLE_1)
	s_mul_i32 s6, s6, s5
	s_mul_hi_u32 s8, s5, s6
	s_abs_i32 s6, s26
	s_add_i32 s5, s5, s8
	s_waitcnt lgkmcnt(0)
	s_cmp_eq_u64 s[2:3], 0
	s_mul_hi_u32 s5, s6, s5
	s_cbranch_scc1 .LBB304_3
; %bb.2:
	s_ashr_i32 s27, s26, 31
	s_delay_alu instid0(SALU_CYCLE_1) | instskip(NEXT) | instid1(SALU_CYCLE_1)
	s_lshl_b64 s[8:9], s[26:27], 2
	s_add_u32 s2, s2, s8
	s_addc_u32 s3, s3, s9
	s_load_b32 s12, s[2:3], 0x0
.LBB304_3:
	s_load_b128 s[8:11], s[0:1], 0x58
	v_and_b32_e32 v1, 3, v0
	s_ashr_i32 s2, s26, 31
	s_ashr_i32 s3, s7, 31
	s_mul_i32 s22, s26, 0x70
	s_mov_b32 s7, exec_lo
	v_cmpx_gt_u32_e32 56, v0
	s_cbranch_execz .LBB304_5
; %bb.4:
	s_load_b64 s[16:17], s[0:1], 0x18
	s_waitcnt lgkmcnt(0)
	s_mul_i32 s18, s14, s8
	v_lshlrev_b32_e32 v2, 2, v0
	s_ashr_i32 s19, s18, 31
	v_and_b32_e32 v3, 0x3fc, v0
	s_lshl_b64 s[18:19], s[18:19], 1
	s_delay_alu instid0(VALU_DEP_1) | instskip(SKIP_3) | instid1(SALU_CYCLE_1)
	v_mad_u32_u24 v3, v1, 56, v3
	s_add_u32 s8, s16, s18
	s_addc_u32 s11, s17, s19
	s_ashr_i32 s23, s22, 31
	s_lshl_b64 s[16:17], s[22:23], 1
	s_delay_alu instid0(SALU_CYCLE_1)
	s_add_u32 s16, s8, s16
	s_addc_u32 s17, s11, s17
	global_load_b32 v2, v2, s[16:17]
	s_waitcnt vmcnt(0)
	ds_store_b32 v3, v2
.LBB304_5:
	s_or_b32 exec_lo, exec_lo, s7
	s_add_i32 s7, s33, 7
	s_waitcnt lgkmcnt(0)
	s_lshl_b32 s11, s20, 6
	s_ashr_i32 s8, s7, 31
	s_xor_b32 s2, s2, s3
	s_lshr_b32 s8, s8, 29
	s_add_i32 s3, s11, 64
	s_add_i32 s7, s7, s8
	s_clause 0x1
	s_load_b64 s[28:29], s[0:1], 0x38
	s_load_b32 s8, s[0:1], 0x48
	s_ashr_i32 s27, s7, 3
	s_mul_i32 s7, s5, s4
	s_min_i32 s23, s3, s27
	s_sub_i32 s3, s6, s7
	s_add_i32 s6, s5, 1
	s_sub_i32 s7, s3, s4
	s_cmp_ge_u32 s3, s4
	v_lshrrev_b32_e32 v16, 5, v0
	s_cselect_b32 s5, s6, s5
	s_cselect_b32 s3, s7, s3
	s_add_i32 s6, s5, 1
	s_cmp_ge_u32 s3, s4
	v_or_b32_e32 v5, s11, v16
	s_cselect_b32 s3, s6, s5
	v_mbcnt_lo_u32_b32 v11, -1, 0
	s_xor_b32 s3, s3, s2
	s_mov_b32 s4, exec_lo
	s_sub_i32 s3, s3, s2
	v_cmp_gt_i32_e64 s2, s23, v5
	s_waitcnt lgkmcnt(0)
	s_mul_i32 s30, s14, s8
	s_delay_alu instid0(SALU_CYCLE_1)
	s_ashr_i32 s31, s30, 31
	s_barrier
	buffer_gl0_inv
                                        ; implicit-def: $sgpr37
                                        ; implicit-def: $vgpr12
	v_cmpx_le_i32_e64 s23, v5
	s_xor_b32 s4, exec_lo, s4
; %bb.6:
	v_mbcnt_lo_u32_b32 v11, -1, 0
	v_mov_b32_e32 v12, 32
	s_mov_b32 s37, 0xff7fffff
                                        ; implicit-def: $vgpr1
; %bb.7:
	s_or_saveexec_b32 s21, s4
	s_clause 0x4
	s_load_b128 s[16:19], s[0:1], 0x0
	s_load_b64 s[24:25], s[0:1], 0x10
	s_load_b32 s8, s[0:1], 0x98
	s_load_b64 s[34:35], s[0:1], 0x28
	s_load_b128 s[4:7], s[0:1], 0x68
	v_mov_b32_e32 v13, s37
	v_ashrrev_i32_e32 v6, 31, v5
	s_mul_i32 s10, s3, s10
	s_xor_b32 exec_lo, exec_lo, s21
	s_cbranch_execz .LBB304_237
; %bb.8:
	s_load_b64 s[38:39], s[0:1], 0x20
	v_bfe_u32 v3, v0, 2, 3
	v_mov_b32_e32 v2, 0
	v_dual_mov_b32 v19, v5 :: v_dual_lshlrev_b32 v14, 1, v1
	v_mul_u32_u24_e32 v15, 56, v1
	s_delay_alu instid0(VALU_DEP_4)
	v_dual_mov_b32 v13, 0xff7fffff :: v_dual_lshlrev_b32 v4, 2, v3
	v_cmp_eq_u32_e32 vcc_lo, 0, v1
	v_lshlrev_b32_e32 v1, 3, v16
	v_dual_mov_b32 v12, 32 :: v_dual_lshlrev_b32 v9, 4, v3
	s_ashr_i32 s1, s10, 31
	v_lshl_or_b32 v4, v16, 5, v4
	v_lshlrev_b64 v[7:8], 2, v[5:6]
	v_add3_u32 v17, s36, v1, v3
	v_cmp_neq_f32_e64 s0, s12, 0
	s_delay_alu instid0(VALU_DEP_4)
	v_add_nc_u32_e32 v18, 0x100, v4
	s_waitcnt lgkmcnt(0)
	s_add_u32 s3, s38, s10
	s_addc_u32 s1, s39, s1
	s_lshl_b64 s[38:39], s[30:31], 2
	v_add_co_u32 v3, s3, s3, v9
	s_sub_i32 s37, 1, s33
	v_add_co_ci_u32_e64 v4, null, s1, 0, s3
	s_add_u32 s1, s28, s38
	s_addc_u32 s3, s29, s39
	v_add_co_u32 v7, s1, s1, v7
	s_delay_alu instid0(VALU_DEP_1)
	v_add_co_ci_u32_e64 v8, s1, s3, v8, s1
	s_mov_b32 s39, s9
	s_mov_b32 s38, 0
	s_branch .LBB304_10
.LBB304_9:                              ;   in Loop: Header=BB304_10 Depth=1
	s_or_b32 exec_lo, exec_lo, s3
	v_add_nc_u32_e32 v19, 4, v19
	v_add_co_u32 v7, s3, v7, 16
	v_add_nc_u32_e32 v17, 32, v17
	v_add_nc_u32_e32 v18, 0x80, v18
	s_delay_alu instid0(VALU_DEP_4) | instskip(SKIP_1) | instid1(VALU_DEP_2)
	v_cmp_le_i32_e64 s1, s23, v19
	v_add_co_ci_u32_e64 v8, s3, 0, v8, s3
	s_or_b32 s38, s1, s38
	s_delay_alu instid0(SALU_CYCLE_1)
	s_and_not1_b32 exec_lo, exec_lo, s38
	s_cbranch_execz .LBB304_236
.LBB304_10:                             ; =>This Inner Loop Header: Depth=1
	global_load_b32 v1, v[7:8], off
	s_waitcnt vmcnt(0) lgkmcnt(0)
	v_mad_i64_i32 v[9:10], null, v1, s39, v[3:4]
	s_delay_alu instid0(VALU_DEP_1) | instskip(NEXT) | instid1(VALU_DEP_1)
	v_add_co_u32 v9, s1, v9, v14
	v_add_co_ci_u32_e64 v10, s1, 0, v10, s1
	global_load_u16 v1, v[9:10], off
	global_load_b32 v20, v2, s[4:5]
	s_waitcnt vmcnt(1)
	v_and_b32_e32 v21, 0xff, v1
	v_and_b32_e32 v22, 0xffff, v1
	s_delay_alu instid0(VALU_DEP_2) | instskip(SKIP_1) | instid1(VALU_DEP_2)
	v_cmp_ne_u16_e64 s1, 0, v21
	v_mov_b32_e32 v21, 0
	s_and_saveexec_b32 s3, s1
	s_cbranch_execz .LBB304_18
; %bb.11:                               ;   in Loop: Header=BB304_10 Depth=1
	v_and_b32_e32 v1, 0xff, v22
	v_bfrev_b32_e32 v21, 1
	s_mov_b32 s40, exec_lo
	s_delay_alu instid0(VALU_DEP_2)
	v_cmpx_ne_u16_e32 0x80, v1
	s_cbranch_execz .LBB304_17
; %bb.12:                               ;   in Loop: Header=BB304_10 Depth=1
	v_and_b32_e32 v23, 0x7f, v22
	v_mov_b32_e32 v21, 0x7fc02000
	s_mov_b32 s41, exec_lo
	s_delay_alu instid0(VALU_DEP_2)
	v_cmpx_ne_u32_e32 0x7f, v23
	s_cbranch_execz .LBB304_16
; %bb.13:                               ;   in Loop: Header=BB304_10 Depth=1
	v_and_b32_e32 v1, 7, v22
	v_lshrrev_b32_e32 v21, 3, v23
	s_mov_b32 s42, exec_lo
	v_cmpx_gt_u32_e32 8, v23
; %bb.14:                               ;   in Loop: Header=BB304_10 Depth=1
	s_delay_alu instid0(VALU_DEP_3) | instskip(NEXT) | instid1(VALU_DEP_1)
	v_clz_i32_u32_e32 v21, v1
	v_min_u32_e32 v21, 32, v21
	s_delay_alu instid0(VALU_DEP_1) | instskip(SKIP_1) | instid1(VALU_DEP_2)
	v_subrev_nc_u32_e32 v23, 28, v21
	v_sub_nc_u32_e32 v21, 29, v21
	v_lshlrev_b64 v[23:24], v23, v[1:2]
	s_delay_alu instid0(VALU_DEP_1)
	v_and_b32_e32 v1, 7, v23
; %bb.15:                               ;   in Loop: Header=BB304_10 Depth=1
	s_or_b32 exec_lo, exec_lo, s42
	v_lshlrev_b32_e32 v23, 8, v22
	v_lshl_add_u32 v21, v21, 10, 0x2000
	s_delay_alu instid0(VALU_DEP_1) | instskip(NEXT) | instid1(VALU_DEP_1)
	v_and_or_b32 v21, 0x8000, v23, v21
	v_lshl_or_b32 v1, v1, 7, v21
	s_delay_alu instid0(VALU_DEP_1)
	v_cvt_f32_f16_e32 v21, v1
.LBB304_16:                             ;   in Loop: Header=BB304_10 Depth=1
	s_or_b32 exec_lo, exec_lo, s41
.LBB304_17:                             ;   in Loop: Header=BB304_10 Depth=1
	s_delay_alu instid0(SALU_CYCLE_1)
	s_or_b32 exec_lo, exec_lo, s40
.LBB304_18:                             ;   in Loop: Header=BB304_10 Depth=1
	s_delay_alu instid0(SALU_CYCLE_1) | instskip(SKIP_3) | instid1(VALU_DEP_2)
	s_or_b32 exec_lo, exec_lo, s3
	v_lshrrev_b16 v1, 8, v22
	v_dual_mov_b32 v22, 0 :: v_dual_mov_b32 v23, 0
	s_mov_b32 s3, exec_lo
	v_cmpx_ne_u16_e32 0, v1
	s_cbranch_execz .LBB304_26
; %bb.19:                               ;   in Loop: Header=BB304_10 Depth=1
	v_bfrev_b32_e32 v23, 1
	s_mov_b32 s40, exec_lo
	v_cmpx_ne_u16_e32 0x80, v1
	s_cbranch_execz .LBB304_25
; %bb.20:                               ;   in Loop: Header=BB304_10 Depth=1
	v_and_b32_e32 v24, 0xffff, v1
	v_mov_b32_e32 v23, 0x7fc02000
	s_mov_b32 s41, exec_lo
	s_delay_alu instid0(VALU_DEP_2) | instskip(NEXT) | instid1(VALU_DEP_1)
	v_and_b32_e32 v25, 0x7f, v24
	v_cmpx_ne_u32_e32 0x7f, v25
	s_cbranch_execz .LBB304_24
; %bb.21:                               ;   in Loop: Header=BB304_10 Depth=1
	v_and_b32_e32 v1, 7, v24
	v_lshrrev_b32_e32 v23, 3, v25
	s_mov_b32 s42, exec_lo
	v_cmpx_gt_u32_e32 8, v25
; %bb.22:                               ;   in Loop: Header=BB304_10 Depth=1
	s_delay_alu instid0(VALU_DEP_3) | instskip(NEXT) | instid1(VALU_DEP_1)
	v_clz_i32_u32_e32 v23, v1
	v_min_u32_e32 v23, 32, v23
	s_delay_alu instid0(VALU_DEP_1) | instskip(SKIP_1) | instid1(VALU_DEP_2)
	v_subrev_nc_u32_e32 v25, 28, v23
	v_sub_nc_u32_e32 v23, 29, v23
	v_lshlrev_b64 v[25:26], v25, v[1:2]
	s_delay_alu instid0(VALU_DEP_1)
	v_and_b32_e32 v1, 7, v25
; %bb.23:                               ;   in Loop: Header=BB304_10 Depth=1
	s_or_b32 exec_lo, exec_lo, s42
	v_lshlrev_b32_e32 v24, 8, v24
	v_lshl_add_u32 v23, v23, 10, 0x2000
	s_delay_alu instid0(VALU_DEP_1) | instskip(NEXT) | instid1(VALU_DEP_1)
	v_and_or_b32 v23, 0x8000, v24, v23
	v_lshl_or_b32 v1, v1, 7, v23
	s_delay_alu instid0(VALU_DEP_1)
	v_cvt_f32_f16_e32 v23, v1
.LBB304_24:                             ;   in Loop: Header=BB304_10 Depth=1
	s_or_b32 exec_lo, exec_lo, s41
.LBB304_25:                             ;   in Loop: Header=BB304_10 Depth=1
	s_delay_alu instid0(SALU_CYCLE_1)
	s_or_b32 exec_lo, exec_lo, s40
.LBB304_26:                             ;   in Loop: Header=BB304_10 Depth=1
	s_delay_alu instid0(SALU_CYCLE_1)
	s_or_b32 exec_lo, exec_lo, s3
	global_load_u16 v1, v[9:10], off offset:8
	s_mov_b32 s3, exec_lo
	s_waitcnt vmcnt(0)
	v_and_b32_e32 v25, 0xff, v1
	v_and_b32_e32 v24, 0xffff, v1
	s_delay_alu instid0(VALU_DEP_2)
	v_cmpx_ne_u16_e32 0, v25
	s_cbranch_execz .LBB304_34
; %bb.27:                               ;   in Loop: Header=BB304_10 Depth=1
	s_delay_alu instid0(VALU_DEP_2) | instskip(SKIP_2) | instid1(VALU_DEP_2)
	v_and_b32_e32 v1, 0xff, v24
	v_bfrev_b32_e32 v22, 1
	s_mov_b32 s40, exec_lo
	v_cmpx_ne_u16_e32 0x80, v1
	s_cbranch_execz .LBB304_33
; %bb.28:                               ;   in Loop: Header=BB304_10 Depth=1
	v_and_b32_e32 v25, 0x7f, v24
	v_mov_b32_e32 v22, 0x7fc02000
	s_mov_b32 s41, exec_lo
	s_delay_alu instid0(VALU_DEP_2)
	v_cmpx_ne_u32_e32 0x7f, v25
	s_cbranch_execz .LBB304_32
; %bb.29:                               ;   in Loop: Header=BB304_10 Depth=1
	v_and_b32_e32 v1, 7, v24
	v_lshrrev_b32_e32 v22, 3, v25
	s_mov_b32 s42, exec_lo
	v_cmpx_gt_u32_e32 8, v25
; %bb.30:                               ;   in Loop: Header=BB304_10 Depth=1
	s_delay_alu instid0(VALU_DEP_3) | instskip(NEXT) | instid1(VALU_DEP_1)
	v_clz_i32_u32_e32 v22, v1
	v_min_u32_e32 v22, 32, v22
	s_delay_alu instid0(VALU_DEP_1) | instskip(SKIP_1) | instid1(VALU_DEP_2)
	v_subrev_nc_u32_e32 v25, 28, v22
	v_sub_nc_u32_e32 v22, 29, v22
	v_lshlrev_b64 v[25:26], v25, v[1:2]
	s_delay_alu instid0(VALU_DEP_1)
	v_and_b32_e32 v1, 7, v25
; %bb.31:                               ;   in Loop: Header=BB304_10 Depth=1
	s_or_b32 exec_lo, exec_lo, s42
	v_lshlrev_b32_e32 v25, 8, v24
	v_lshl_add_u32 v22, v22, 10, 0x2000
	s_delay_alu instid0(VALU_DEP_1) | instskip(NEXT) | instid1(VALU_DEP_1)
	v_and_or_b32 v22, 0x8000, v25, v22
	v_lshl_or_b32 v1, v1, 7, v22
	s_delay_alu instid0(VALU_DEP_1)
	v_cvt_f32_f16_e32 v22, v1
.LBB304_32:                             ;   in Loop: Header=BB304_10 Depth=1
	s_or_b32 exec_lo, exec_lo, s41
.LBB304_33:                             ;   in Loop: Header=BB304_10 Depth=1
	s_delay_alu instid0(SALU_CYCLE_1)
	s_or_b32 exec_lo, exec_lo, s40
.LBB304_34:                             ;   in Loop: Header=BB304_10 Depth=1
	s_delay_alu instid0(SALU_CYCLE_1) | instskip(NEXT) | instid1(VALU_DEP_2)
	s_or_b32 exec_lo, exec_lo, s3
	v_lshrrev_b16 v1, 8, v24
	v_dual_mov_b32 v24, 0 :: v_dual_mov_b32 v25, 0
	s_mov_b32 s3, exec_lo
	s_delay_alu instid0(VALU_DEP_2)
	v_cmpx_ne_u16_e32 0, v1
	s_cbranch_execz .LBB304_42
; %bb.35:                               ;   in Loop: Header=BB304_10 Depth=1
	v_bfrev_b32_e32 v25, 1
	s_mov_b32 s40, exec_lo
	v_cmpx_ne_u16_e32 0x80, v1
	s_cbranch_execz .LBB304_41
; %bb.36:                               ;   in Loop: Header=BB304_10 Depth=1
	v_and_b32_e32 v26, 0xffff, v1
	v_mov_b32_e32 v25, 0x7fc02000
	s_mov_b32 s41, exec_lo
	s_delay_alu instid0(VALU_DEP_2) | instskip(NEXT) | instid1(VALU_DEP_1)
	v_and_b32_e32 v27, 0x7f, v26
	v_cmpx_ne_u32_e32 0x7f, v27
	s_cbranch_execz .LBB304_40
; %bb.37:                               ;   in Loop: Header=BB304_10 Depth=1
	v_and_b32_e32 v1, 7, v26
	v_lshrrev_b32_e32 v25, 3, v27
	s_mov_b32 s42, exec_lo
	v_cmpx_gt_u32_e32 8, v27
; %bb.38:                               ;   in Loop: Header=BB304_10 Depth=1
	s_delay_alu instid0(VALU_DEP_3) | instskip(NEXT) | instid1(VALU_DEP_1)
	v_clz_i32_u32_e32 v25, v1
	v_min_u32_e32 v25, 32, v25
	s_delay_alu instid0(VALU_DEP_1) | instskip(SKIP_1) | instid1(VALU_DEP_2)
	v_subrev_nc_u32_e32 v27, 28, v25
	v_sub_nc_u32_e32 v25, 29, v25
	v_lshlrev_b64 v[27:28], v27, v[1:2]
	s_delay_alu instid0(VALU_DEP_1)
	v_and_b32_e32 v1, 7, v27
; %bb.39:                               ;   in Loop: Header=BB304_10 Depth=1
	s_or_b32 exec_lo, exec_lo, s42
	v_lshlrev_b32_e32 v26, 8, v26
	v_lshl_add_u32 v25, v25, 10, 0x2000
	s_delay_alu instid0(VALU_DEP_1) | instskip(NEXT) | instid1(VALU_DEP_1)
	v_and_or_b32 v25, 0x8000, v26, v25
	v_lshl_or_b32 v1, v1, 7, v25
	s_delay_alu instid0(VALU_DEP_1)
	v_cvt_f32_f16_e32 v25, v1
.LBB304_40:                             ;   in Loop: Header=BB304_10 Depth=1
	s_or_b32 exec_lo, exec_lo, s41
.LBB304_41:                             ;   in Loop: Header=BB304_10 Depth=1
	s_delay_alu instid0(SALU_CYCLE_1)
	s_or_b32 exec_lo, exec_lo, s40
.LBB304_42:                             ;   in Loop: Header=BB304_10 Depth=1
	s_delay_alu instid0(SALU_CYCLE_1)
	s_or_b32 exec_lo, exec_lo, s3
	global_load_u16 v1, v[9:10], off offset:128
	s_mov_b32 s3, exec_lo
	s_waitcnt vmcnt(0)
	v_and_b32_e32 v27, 0xff, v1
	v_and_b32_e32 v26, 0xffff, v1
	s_delay_alu instid0(VALU_DEP_2)
	v_cmpx_ne_u16_e32 0, v27
	s_cbranch_execz .LBB304_50
; %bb.43:                               ;   in Loop: Header=BB304_10 Depth=1
	s_delay_alu instid0(VALU_DEP_2) | instskip(SKIP_2) | instid1(VALU_DEP_2)
	v_and_b32_e32 v1, 0xff, v26
	v_bfrev_b32_e32 v24, 1
	s_mov_b32 s40, exec_lo
	v_cmpx_ne_u16_e32 0x80, v1
	s_cbranch_execz .LBB304_49
; %bb.44:                               ;   in Loop: Header=BB304_10 Depth=1
	v_and_b32_e32 v27, 0x7f, v26
	v_mov_b32_e32 v24, 0x7fc02000
	s_mov_b32 s41, exec_lo
	s_delay_alu instid0(VALU_DEP_2)
	v_cmpx_ne_u32_e32 0x7f, v27
	s_cbranch_execz .LBB304_48
; %bb.45:                               ;   in Loop: Header=BB304_10 Depth=1
	v_and_b32_e32 v1, 7, v26
	v_lshrrev_b32_e32 v24, 3, v27
	s_mov_b32 s42, exec_lo
	v_cmpx_gt_u32_e32 8, v27
; %bb.46:                               ;   in Loop: Header=BB304_10 Depth=1
	s_delay_alu instid0(VALU_DEP_3) | instskip(NEXT) | instid1(VALU_DEP_1)
	v_clz_i32_u32_e32 v24, v1
	v_min_u32_e32 v24, 32, v24
	s_delay_alu instid0(VALU_DEP_1) | instskip(SKIP_1) | instid1(VALU_DEP_2)
	v_subrev_nc_u32_e32 v27, 28, v24
	v_sub_nc_u32_e32 v24, 29, v24
	v_lshlrev_b64 v[27:28], v27, v[1:2]
	s_delay_alu instid0(VALU_DEP_1)
	v_and_b32_e32 v1, 7, v27
; %bb.47:                               ;   in Loop: Header=BB304_10 Depth=1
	s_or_b32 exec_lo, exec_lo, s42
	v_lshlrev_b32_e32 v27, 8, v26
	v_lshl_add_u32 v24, v24, 10, 0x2000
	s_delay_alu instid0(VALU_DEP_1) | instskip(NEXT) | instid1(VALU_DEP_1)
	v_and_or_b32 v24, 0x8000, v27, v24
	v_lshl_or_b32 v1, v1, 7, v24
	s_delay_alu instid0(VALU_DEP_1)
	v_cvt_f32_f16_e32 v24, v1
.LBB304_48:                             ;   in Loop: Header=BB304_10 Depth=1
	s_or_b32 exec_lo, exec_lo, s41
.LBB304_49:                             ;   in Loop: Header=BB304_10 Depth=1
	s_delay_alu instid0(SALU_CYCLE_1)
	s_or_b32 exec_lo, exec_lo, s40
.LBB304_50:                             ;   in Loop: Header=BB304_10 Depth=1
	s_delay_alu instid0(SALU_CYCLE_1) | instskip(NEXT) | instid1(VALU_DEP_2)
	s_or_b32 exec_lo, exec_lo, s3
	v_lshrrev_b16 v1, 8, v26
	v_dual_mov_b32 v26, 0 :: v_dual_mov_b32 v27, 0
	s_mov_b32 s3, exec_lo
	s_delay_alu instid0(VALU_DEP_2)
	v_cmpx_ne_u16_e32 0, v1
	s_cbranch_execz .LBB304_58
; %bb.51:                               ;   in Loop: Header=BB304_10 Depth=1
	v_bfrev_b32_e32 v27, 1
	s_mov_b32 s40, exec_lo
	v_cmpx_ne_u16_e32 0x80, v1
	s_cbranch_execz .LBB304_57
; %bb.52:                               ;   in Loop: Header=BB304_10 Depth=1
	v_and_b32_e32 v28, 0xffff, v1
	v_mov_b32_e32 v27, 0x7fc02000
	s_mov_b32 s41, exec_lo
	s_delay_alu instid0(VALU_DEP_2) | instskip(NEXT) | instid1(VALU_DEP_1)
	v_and_b32_e32 v29, 0x7f, v28
	v_cmpx_ne_u32_e32 0x7f, v29
	s_cbranch_execz .LBB304_56
; %bb.53:                               ;   in Loop: Header=BB304_10 Depth=1
	v_and_b32_e32 v1, 7, v28
	v_lshrrev_b32_e32 v27, 3, v29
	s_mov_b32 s42, exec_lo
	v_cmpx_gt_u32_e32 8, v29
; %bb.54:                               ;   in Loop: Header=BB304_10 Depth=1
	s_delay_alu instid0(VALU_DEP_3) | instskip(NEXT) | instid1(VALU_DEP_1)
	v_clz_i32_u32_e32 v27, v1
	v_min_u32_e32 v27, 32, v27
	s_delay_alu instid0(VALU_DEP_1) | instskip(SKIP_1) | instid1(VALU_DEP_2)
	v_subrev_nc_u32_e32 v29, 28, v27
	v_sub_nc_u32_e32 v27, 29, v27
	v_lshlrev_b64 v[29:30], v29, v[1:2]
	s_delay_alu instid0(VALU_DEP_1)
	v_and_b32_e32 v1, 7, v29
; %bb.55:                               ;   in Loop: Header=BB304_10 Depth=1
	s_or_b32 exec_lo, exec_lo, s42
	v_lshlrev_b32_e32 v28, 8, v28
	v_lshl_add_u32 v27, v27, 10, 0x2000
	s_delay_alu instid0(VALU_DEP_1) | instskip(NEXT) | instid1(VALU_DEP_1)
	v_and_or_b32 v27, 0x8000, v28, v27
	v_lshl_or_b32 v1, v1, 7, v27
	s_delay_alu instid0(VALU_DEP_1)
	v_cvt_f32_f16_e32 v27, v1
.LBB304_56:                             ;   in Loop: Header=BB304_10 Depth=1
	s_or_b32 exec_lo, exec_lo, s41
.LBB304_57:                             ;   in Loop: Header=BB304_10 Depth=1
	s_delay_alu instid0(SALU_CYCLE_1)
	s_or_b32 exec_lo, exec_lo, s40
.LBB304_58:                             ;   in Loop: Header=BB304_10 Depth=1
	s_delay_alu instid0(SALU_CYCLE_1)
	s_or_b32 exec_lo, exec_lo, s3
	global_load_u16 v1, v[9:10], off offset:136
	s_mov_b32 s3, exec_lo
	s_waitcnt vmcnt(0)
	v_and_b32_e32 v29, 0xff, v1
	v_and_b32_e32 v28, 0xffff, v1
	s_delay_alu instid0(VALU_DEP_2)
	v_cmpx_ne_u16_e32 0, v29
	s_cbranch_execz .LBB304_66
; %bb.59:                               ;   in Loop: Header=BB304_10 Depth=1
	s_delay_alu instid0(VALU_DEP_2) | instskip(SKIP_2) | instid1(VALU_DEP_2)
	v_and_b32_e32 v1, 0xff, v28
	v_bfrev_b32_e32 v26, 1
	s_mov_b32 s40, exec_lo
	v_cmpx_ne_u16_e32 0x80, v1
	s_cbranch_execz .LBB304_65
; %bb.60:                               ;   in Loop: Header=BB304_10 Depth=1
	v_and_b32_e32 v29, 0x7f, v28
	v_mov_b32_e32 v26, 0x7fc02000
	s_mov_b32 s41, exec_lo
	s_delay_alu instid0(VALU_DEP_2)
	v_cmpx_ne_u32_e32 0x7f, v29
	s_cbranch_execz .LBB304_64
; %bb.61:                               ;   in Loop: Header=BB304_10 Depth=1
	v_and_b32_e32 v1, 7, v28
	v_lshrrev_b32_e32 v26, 3, v29
	s_mov_b32 s42, exec_lo
	v_cmpx_gt_u32_e32 8, v29
; %bb.62:                               ;   in Loop: Header=BB304_10 Depth=1
	s_delay_alu instid0(VALU_DEP_3) | instskip(NEXT) | instid1(VALU_DEP_1)
	v_clz_i32_u32_e32 v26, v1
	v_min_u32_e32 v26, 32, v26
	s_delay_alu instid0(VALU_DEP_1) | instskip(SKIP_1) | instid1(VALU_DEP_2)
	v_subrev_nc_u32_e32 v29, 28, v26
	v_sub_nc_u32_e32 v26, 29, v26
	v_lshlrev_b64 v[29:30], v29, v[1:2]
	s_delay_alu instid0(VALU_DEP_1)
	v_and_b32_e32 v1, 7, v29
; %bb.63:                               ;   in Loop: Header=BB304_10 Depth=1
	s_or_b32 exec_lo, exec_lo, s42
	v_lshlrev_b32_e32 v29, 8, v28
	v_lshl_add_u32 v26, v26, 10, 0x2000
	s_delay_alu instid0(VALU_DEP_1) | instskip(NEXT) | instid1(VALU_DEP_1)
	v_and_or_b32 v26, 0x8000, v29, v26
	v_lshl_or_b32 v1, v1, 7, v26
	s_delay_alu instid0(VALU_DEP_1)
	v_cvt_f32_f16_e32 v26, v1
.LBB304_64:                             ;   in Loop: Header=BB304_10 Depth=1
	s_or_b32 exec_lo, exec_lo, s41
.LBB304_65:                             ;   in Loop: Header=BB304_10 Depth=1
	s_delay_alu instid0(SALU_CYCLE_1)
	s_or_b32 exec_lo, exec_lo, s40
.LBB304_66:                             ;   in Loop: Header=BB304_10 Depth=1
	s_delay_alu instid0(SALU_CYCLE_1) | instskip(NEXT) | instid1(VALU_DEP_2)
	s_or_b32 exec_lo, exec_lo, s3
	v_lshrrev_b16 v1, 8, v28
	v_dual_mov_b32 v28, 0 :: v_dual_mov_b32 v29, 0
	s_mov_b32 s3, exec_lo
	s_delay_alu instid0(VALU_DEP_2)
	v_cmpx_ne_u16_e32 0, v1
	s_cbranch_execz .LBB304_74
; %bb.67:                               ;   in Loop: Header=BB304_10 Depth=1
	v_bfrev_b32_e32 v29, 1
	s_mov_b32 s40, exec_lo
	v_cmpx_ne_u16_e32 0x80, v1
	s_cbranch_execz .LBB304_73
; %bb.68:                               ;   in Loop: Header=BB304_10 Depth=1
	v_and_b32_e32 v30, 0xffff, v1
	v_mov_b32_e32 v29, 0x7fc02000
	s_mov_b32 s41, exec_lo
	s_delay_alu instid0(VALU_DEP_2) | instskip(NEXT) | instid1(VALU_DEP_1)
	v_and_b32_e32 v31, 0x7f, v30
	v_cmpx_ne_u32_e32 0x7f, v31
	s_cbranch_execz .LBB304_72
; %bb.69:                               ;   in Loop: Header=BB304_10 Depth=1
	v_and_b32_e32 v1, 7, v30
	v_lshrrev_b32_e32 v29, 3, v31
	s_mov_b32 s42, exec_lo
	v_cmpx_gt_u32_e32 8, v31
; %bb.70:                               ;   in Loop: Header=BB304_10 Depth=1
	s_delay_alu instid0(VALU_DEP_3) | instskip(NEXT) | instid1(VALU_DEP_1)
	v_clz_i32_u32_e32 v29, v1
	v_min_u32_e32 v29, 32, v29
	s_delay_alu instid0(VALU_DEP_1) | instskip(SKIP_1) | instid1(VALU_DEP_2)
	v_subrev_nc_u32_e32 v31, 28, v29
	v_sub_nc_u32_e32 v29, 29, v29
	v_lshlrev_b64 v[31:32], v31, v[1:2]
	s_delay_alu instid0(VALU_DEP_1)
	v_and_b32_e32 v1, 7, v31
; %bb.71:                               ;   in Loop: Header=BB304_10 Depth=1
	s_or_b32 exec_lo, exec_lo, s42
	v_lshlrev_b32_e32 v30, 8, v30
	v_lshl_add_u32 v29, v29, 10, 0x2000
	s_delay_alu instid0(VALU_DEP_1) | instskip(NEXT) | instid1(VALU_DEP_1)
	v_and_or_b32 v29, 0x8000, v30, v29
	v_lshl_or_b32 v1, v1, 7, v29
	s_delay_alu instid0(VALU_DEP_1)
	v_cvt_f32_f16_e32 v29, v1
.LBB304_72:                             ;   in Loop: Header=BB304_10 Depth=1
	s_or_b32 exec_lo, exec_lo, s41
.LBB304_73:                             ;   in Loop: Header=BB304_10 Depth=1
	s_delay_alu instid0(SALU_CYCLE_1)
	s_or_b32 exec_lo, exec_lo, s40
.LBB304_74:                             ;   in Loop: Header=BB304_10 Depth=1
	s_delay_alu instid0(SALU_CYCLE_1)
	s_or_b32 exec_lo, exec_lo, s3
	global_load_u16 v1, v[9:10], off offset:256
	s_mov_b32 s3, exec_lo
	s_waitcnt vmcnt(0)
	v_and_b32_e32 v31, 0xff, v1
	v_and_b32_e32 v30, 0xffff, v1
	s_delay_alu instid0(VALU_DEP_2)
	v_cmpx_ne_u16_e32 0, v31
	s_cbranch_execz .LBB304_82
; %bb.75:                               ;   in Loop: Header=BB304_10 Depth=1
	s_delay_alu instid0(VALU_DEP_2) | instskip(SKIP_2) | instid1(VALU_DEP_2)
	v_and_b32_e32 v1, 0xff, v30
	v_bfrev_b32_e32 v28, 1
	s_mov_b32 s40, exec_lo
	v_cmpx_ne_u16_e32 0x80, v1
	s_cbranch_execz .LBB304_81
; %bb.76:                               ;   in Loop: Header=BB304_10 Depth=1
	v_and_b32_e32 v31, 0x7f, v30
	v_mov_b32_e32 v28, 0x7fc02000
	s_mov_b32 s41, exec_lo
	s_delay_alu instid0(VALU_DEP_2)
	v_cmpx_ne_u32_e32 0x7f, v31
	s_cbranch_execz .LBB304_80
; %bb.77:                               ;   in Loop: Header=BB304_10 Depth=1
	v_and_b32_e32 v1, 7, v30
	v_lshrrev_b32_e32 v28, 3, v31
	s_mov_b32 s42, exec_lo
	v_cmpx_gt_u32_e32 8, v31
; %bb.78:                               ;   in Loop: Header=BB304_10 Depth=1
	s_delay_alu instid0(VALU_DEP_3) | instskip(NEXT) | instid1(VALU_DEP_1)
	v_clz_i32_u32_e32 v28, v1
	v_min_u32_e32 v28, 32, v28
	s_delay_alu instid0(VALU_DEP_1) | instskip(SKIP_1) | instid1(VALU_DEP_2)
	v_subrev_nc_u32_e32 v31, 28, v28
	v_sub_nc_u32_e32 v28, 29, v28
	v_lshlrev_b64 v[31:32], v31, v[1:2]
	s_delay_alu instid0(VALU_DEP_1)
	v_and_b32_e32 v1, 7, v31
; %bb.79:                               ;   in Loop: Header=BB304_10 Depth=1
	s_or_b32 exec_lo, exec_lo, s42
	v_lshlrev_b32_e32 v31, 8, v30
	v_lshl_add_u32 v28, v28, 10, 0x2000
	s_delay_alu instid0(VALU_DEP_1) | instskip(NEXT) | instid1(VALU_DEP_1)
	v_and_or_b32 v28, 0x8000, v31, v28
	v_lshl_or_b32 v1, v1, 7, v28
	s_delay_alu instid0(VALU_DEP_1)
	v_cvt_f32_f16_e32 v28, v1
.LBB304_80:                             ;   in Loop: Header=BB304_10 Depth=1
	s_or_b32 exec_lo, exec_lo, s41
.LBB304_81:                             ;   in Loop: Header=BB304_10 Depth=1
	s_delay_alu instid0(SALU_CYCLE_1)
	s_or_b32 exec_lo, exec_lo, s40
.LBB304_82:                             ;   in Loop: Header=BB304_10 Depth=1
	s_delay_alu instid0(SALU_CYCLE_1) | instskip(NEXT) | instid1(VALU_DEP_2)
	s_or_b32 exec_lo, exec_lo, s3
	v_lshrrev_b16 v1, 8, v30
	v_dual_mov_b32 v30, 0 :: v_dual_mov_b32 v31, 0
	s_mov_b32 s3, exec_lo
	s_delay_alu instid0(VALU_DEP_2)
	v_cmpx_ne_u16_e32 0, v1
	s_cbranch_execz .LBB304_90
; %bb.83:                               ;   in Loop: Header=BB304_10 Depth=1
	v_bfrev_b32_e32 v31, 1
	s_mov_b32 s40, exec_lo
	v_cmpx_ne_u16_e32 0x80, v1
	s_cbranch_execz .LBB304_89
; %bb.84:                               ;   in Loop: Header=BB304_10 Depth=1
	v_and_b32_e32 v32, 0xffff, v1
	v_mov_b32_e32 v31, 0x7fc02000
	s_mov_b32 s41, exec_lo
	s_delay_alu instid0(VALU_DEP_2) | instskip(NEXT) | instid1(VALU_DEP_1)
	v_and_b32_e32 v33, 0x7f, v32
	v_cmpx_ne_u32_e32 0x7f, v33
	s_cbranch_execz .LBB304_88
; %bb.85:                               ;   in Loop: Header=BB304_10 Depth=1
	v_and_b32_e32 v1, 7, v32
	v_lshrrev_b32_e32 v31, 3, v33
	s_mov_b32 s42, exec_lo
	v_cmpx_gt_u32_e32 8, v33
; %bb.86:                               ;   in Loop: Header=BB304_10 Depth=1
	s_delay_alu instid0(VALU_DEP_3) | instskip(NEXT) | instid1(VALU_DEP_1)
	v_clz_i32_u32_e32 v31, v1
	v_min_u32_e32 v31, 32, v31
	s_delay_alu instid0(VALU_DEP_1) | instskip(SKIP_1) | instid1(VALU_DEP_2)
	v_subrev_nc_u32_e32 v33, 28, v31
	v_sub_nc_u32_e32 v31, 29, v31
	v_lshlrev_b64 v[33:34], v33, v[1:2]
	s_delay_alu instid0(VALU_DEP_1)
	v_and_b32_e32 v1, 7, v33
; %bb.87:                               ;   in Loop: Header=BB304_10 Depth=1
	s_or_b32 exec_lo, exec_lo, s42
	v_lshlrev_b32_e32 v32, 8, v32
	v_lshl_add_u32 v31, v31, 10, 0x2000
	s_delay_alu instid0(VALU_DEP_1) | instskip(NEXT) | instid1(VALU_DEP_1)
	v_and_or_b32 v31, 0x8000, v32, v31
	v_lshl_or_b32 v1, v1, 7, v31
	s_delay_alu instid0(VALU_DEP_1)
	v_cvt_f32_f16_e32 v31, v1
.LBB304_88:                             ;   in Loop: Header=BB304_10 Depth=1
	s_or_b32 exec_lo, exec_lo, s41
.LBB304_89:                             ;   in Loop: Header=BB304_10 Depth=1
	s_delay_alu instid0(SALU_CYCLE_1)
	s_or_b32 exec_lo, exec_lo, s40
.LBB304_90:                             ;   in Loop: Header=BB304_10 Depth=1
	s_delay_alu instid0(SALU_CYCLE_1)
	s_or_b32 exec_lo, exec_lo, s3
	global_load_u16 v1, v[9:10], off offset:264
	s_mov_b32 s3, exec_lo
	s_waitcnt vmcnt(0)
	v_and_b32_e32 v33, 0xff, v1
	v_and_b32_e32 v32, 0xffff, v1
	s_delay_alu instid0(VALU_DEP_2)
	v_cmpx_ne_u16_e32 0, v33
	s_cbranch_execz .LBB304_98
; %bb.91:                               ;   in Loop: Header=BB304_10 Depth=1
	s_delay_alu instid0(VALU_DEP_2) | instskip(SKIP_2) | instid1(VALU_DEP_2)
	v_and_b32_e32 v1, 0xff, v32
	v_bfrev_b32_e32 v30, 1
	s_mov_b32 s40, exec_lo
	v_cmpx_ne_u16_e32 0x80, v1
	s_cbranch_execz .LBB304_97
; %bb.92:                               ;   in Loop: Header=BB304_10 Depth=1
	v_and_b32_e32 v33, 0x7f, v32
	v_mov_b32_e32 v30, 0x7fc02000
	s_mov_b32 s41, exec_lo
	s_delay_alu instid0(VALU_DEP_2)
	v_cmpx_ne_u32_e32 0x7f, v33
	s_cbranch_execz .LBB304_96
; %bb.93:                               ;   in Loop: Header=BB304_10 Depth=1
	v_and_b32_e32 v1, 7, v32
	v_lshrrev_b32_e32 v30, 3, v33
	s_mov_b32 s42, exec_lo
	v_cmpx_gt_u32_e32 8, v33
; %bb.94:                               ;   in Loop: Header=BB304_10 Depth=1
	s_delay_alu instid0(VALU_DEP_3) | instskip(NEXT) | instid1(VALU_DEP_1)
	v_clz_i32_u32_e32 v30, v1
	v_min_u32_e32 v30, 32, v30
	s_delay_alu instid0(VALU_DEP_1) | instskip(SKIP_1) | instid1(VALU_DEP_2)
	v_subrev_nc_u32_e32 v33, 28, v30
	v_sub_nc_u32_e32 v30, 29, v30
	v_lshlrev_b64 v[33:34], v33, v[1:2]
	s_delay_alu instid0(VALU_DEP_1)
	v_and_b32_e32 v1, 7, v33
; %bb.95:                               ;   in Loop: Header=BB304_10 Depth=1
	s_or_b32 exec_lo, exec_lo, s42
	v_lshlrev_b32_e32 v33, 8, v32
	v_lshl_add_u32 v30, v30, 10, 0x2000
	s_delay_alu instid0(VALU_DEP_1) | instskip(NEXT) | instid1(VALU_DEP_1)
	v_and_or_b32 v30, 0x8000, v33, v30
	v_lshl_or_b32 v1, v1, 7, v30
	s_delay_alu instid0(VALU_DEP_1)
	v_cvt_f32_f16_e32 v30, v1
.LBB304_96:                             ;   in Loop: Header=BB304_10 Depth=1
	s_or_b32 exec_lo, exec_lo, s41
.LBB304_97:                             ;   in Loop: Header=BB304_10 Depth=1
	s_delay_alu instid0(SALU_CYCLE_1)
	s_or_b32 exec_lo, exec_lo, s40
.LBB304_98:                             ;   in Loop: Header=BB304_10 Depth=1
	s_delay_alu instid0(SALU_CYCLE_1) | instskip(NEXT) | instid1(VALU_DEP_2)
	s_or_b32 exec_lo, exec_lo, s3
	v_lshrrev_b16 v1, 8, v32
	v_dual_mov_b32 v32, 0 :: v_dual_mov_b32 v33, 0
	s_mov_b32 s3, exec_lo
	s_delay_alu instid0(VALU_DEP_2)
	v_cmpx_ne_u16_e32 0, v1
	s_cbranch_execz .LBB304_106
; %bb.99:                               ;   in Loop: Header=BB304_10 Depth=1
	v_bfrev_b32_e32 v33, 1
	s_mov_b32 s40, exec_lo
	v_cmpx_ne_u16_e32 0x80, v1
	s_cbranch_execz .LBB304_105
; %bb.100:                              ;   in Loop: Header=BB304_10 Depth=1
	v_and_b32_e32 v34, 0xffff, v1
	v_mov_b32_e32 v33, 0x7fc02000
	s_mov_b32 s41, exec_lo
	s_delay_alu instid0(VALU_DEP_2) | instskip(NEXT) | instid1(VALU_DEP_1)
	v_and_b32_e32 v35, 0x7f, v34
	v_cmpx_ne_u32_e32 0x7f, v35
	s_cbranch_execz .LBB304_104
; %bb.101:                              ;   in Loop: Header=BB304_10 Depth=1
	v_and_b32_e32 v1, 7, v34
	v_lshrrev_b32_e32 v33, 3, v35
	s_mov_b32 s42, exec_lo
	v_cmpx_gt_u32_e32 8, v35
; %bb.102:                              ;   in Loop: Header=BB304_10 Depth=1
	s_delay_alu instid0(VALU_DEP_3) | instskip(NEXT) | instid1(VALU_DEP_1)
	v_clz_i32_u32_e32 v33, v1
	v_min_u32_e32 v33, 32, v33
	s_delay_alu instid0(VALU_DEP_1) | instskip(SKIP_1) | instid1(VALU_DEP_2)
	v_subrev_nc_u32_e32 v35, 28, v33
	v_sub_nc_u32_e32 v33, 29, v33
	v_lshlrev_b64 v[35:36], v35, v[1:2]
	s_delay_alu instid0(VALU_DEP_1)
	v_and_b32_e32 v1, 7, v35
; %bb.103:                              ;   in Loop: Header=BB304_10 Depth=1
	s_or_b32 exec_lo, exec_lo, s42
	v_lshlrev_b32_e32 v34, 8, v34
	v_lshl_add_u32 v33, v33, 10, 0x2000
	s_delay_alu instid0(VALU_DEP_1) | instskip(NEXT) | instid1(VALU_DEP_1)
	v_and_or_b32 v33, 0x8000, v34, v33
	v_lshl_or_b32 v1, v1, 7, v33
	s_delay_alu instid0(VALU_DEP_1)
	v_cvt_f32_f16_e32 v33, v1
.LBB304_104:                            ;   in Loop: Header=BB304_10 Depth=1
	s_or_b32 exec_lo, exec_lo, s41
.LBB304_105:                            ;   in Loop: Header=BB304_10 Depth=1
	s_delay_alu instid0(SALU_CYCLE_1)
	s_or_b32 exec_lo, exec_lo, s40
.LBB304_106:                            ;   in Loop: Header=BB304_10 Depth=1
	s_delay_alu instid0(SALU_CYCLE_1)
	s_or_b32 exec_lo, exec_lo, s3
	global_load_u16 v1, v[9:10], off offset:384
	s_mov_b32 s3, exec_lo
	s_waitcnt vmcnt(0)
	v_and_b32_e32 v35, 0xff, v1
	v_and_b32_e32 v34, 0xffff, v1
	s_delay_alu instid0(VALU_DEP_2)
	v_cmpx_ne_u16_e32 0, v35
	s_cbranch_execz .LBB304_114
; %bb.107:                              ;   in Loop: Header=BB304_10 Depth=1
	s_delay_alu instid0(VALU_DEP_2) | instskip(SKIP_2) | instid1(VALU_DEP_2)
	v_and_b32_e32 v1, 0xff, v34
	v_bfrev_b32_e32 v32, 1
	s_mov_b32 s40, exec_lo
	v_cmpx_ne_u16_e32 0x80, v1
	s_cbranch_execz .LBB304_113
; %bb.108:                              ;   in Loop: Header=BB304_10 Depth=1
	v_and_b32_e32 v35, 0x7f, v34
	v_mov_b32_e32 v32, 0x7fc02000
	s_mov_b32 s41, exec_lo
	s_delay_alu instid0(VALU_DEP_2)
	v_cmpx_ne_u32_e32 0x7f, v35
	s_cbranch_execz .LBB304_112
; %bb.109:                              ;   in Loop: Header=BB304_10 Depth=1
	v_and_b32_e32 v1, 7, v34
	v_lshrrev_b32_e32 v32, 3, v35
	s_mov_b32 s42, exec_lo
	v_cmpx_gt_u32_e32 8, v35
; %bb.110:                              ;   in Loop: Header=BB304_10 Depth=1
	s_delay_alu instid0(VALU_DEP_3) | instskip(NEXT) | instid1(VALU_DEP_1)
	v_clz_i32_u32_e32 v32, v1
	v_min_u32_e32 v32, 32, v32
	s_delay_alu instid0(VALU_DEP_1) | instskip(SKIP_1) | instid1(VALU_DEP_2)
	v_subrev_nc_u32_e32 v35, 28, v32
	v_sub_nc_u32_e32 v32, 29, v32
	v_lshlrev_b64 v[35:36], v35, v[1:2]
	s_delay_alu instid0(VALU_DEP_1)
	v_and_b32_e32 v1, 7, v35
; %bb.111:                              ;   in Loop: Header=BB304_10 Depth=1
	s_or_b32 exec_lo, exec_lo, s42
	v_lshlrev_b32_e32 v35, 8, v34
	v_lshl_add_u32 v32, v32, 10, 0x2000
	s_delay_alu instid0(VALU_DEP_1) | instskip(NEXT) | instid1(VALU_DEP_1)
	v_and_or_b32 v32, 0x8000, v35, v32
	v_lshl_or_b32 v1, v1, 7, v32
	s_delay_alu instid0(VALU_DEP_1)
	v_cvt_f32_f16_e32 v32, v1
.LBB304_112:                            ;   in Loop: Header=BB304_10 Depth=1
	s_or_b32 exec_lo, exec_lo, s41
.LBB304_113:                            ;   in Loop: Header=BB304_10 Depth=1
	s_delay_alu instid0(SALU_CYCLE_1)
	s_or_b32 exec_lo, exec_lo, s40
.LBB304_114:                            ;   in Loop: Header=BB304_10 Depth=1
	s_delay_alu instid0(SALU_CYCLE_1) | instskip(NEXT) | instid1(VALU_DEP_2)
	s_or_b32 exec_lo, exec_lo, s3
	v_lshrrev_b16 v1, 8, v34
	v_dual_mov_b32 v34, 0 :: v_dual_mov_b32 v35, 0
	s_mov_b32 s3, exec_lo
	s_delay_alu instid0(VALU_DEP_2)
	v_cmpx_ne_u16_e32 0, v1
	s_cbranch_execz .LBB304_122
; %bb.115:                              ;   in Loop: Header=BB304_10 Depth=1
	v_bfrev_b32_e32 v35, 1
	s_mov_b32 s40, exec_lo
	v_cmpx_ne_u16_e32 0x80, v1
	s_cbranch_execz .LBB304_121
; %bb.116:                              ;   in Loop: Header=BB304_10 Depth=1
	v_and_b32_e32 v36, 0xffff, v1
	v_mov_b32_e32 v35, 0x7fc02000
	s_mov_b32 s41, exec_lo
	s_delay_alu instid0(VALU_DEP_2) | instskip(NEXT) | instid1(VALU_DEP_1)
	v_and_b32_e32 v37, 0x7f, v36
	v_cmpx_ne_u32_e32 0x7f, v37
	s_cbranch_execz .LBB304_120
; %bb.117:                              ;   in Loop: Header=BB304_10 Depth=1
	v_and_b32_e32 v1, 7, v36
	v_lshrrev_b32_e32 v35, 3, v37
	s_mov_b32 s42, exec_lo
	v_cmpx_gt_u32_e32 8, v37
; %bb.118:                              ;   in Loop: Header=BB304_10 Depth=1
	s_delay_alu instid0(VALU_DEP_3) | instskip(NEXT) | instid1(VALU_DEP_1)
	v_clz_i32_u32_e32 v35, v1
	v_min_u32_e32 v35, 32, v35
	s_delay_alu instid0(VALU_DEP_1) | instskip(SKIP_1) | instid1(VALU_DEP_2)
	v_subrev_nc_u32_e32 v37, 28, v35
	v_sub_nc_u32_e32 v35, 29, v35
	v_lshlrev_b64 v[37:38], v37, v[1:2]
	s_delay_alu instid0(VALU_DEP_1)
	v_and_b32_e32 v1, 7, v37
; %bb.119:                              ;   in Loop: Header=BB304_10 Depth=1
	s_or_b32 exec_lo, exec_lo, s42
	v_lshlrev_b32_e32 v36, 8, v36
	v_lshl_add_u32 v35, v35, 10, 0x2000
	s_delay_alu instid0(VALU_DEP_1) | instskip(NEXT) | instid1(VALU_DEP_1)
	v_and_or_b32 v35, 0x8000, v36, v35
	v_lshl_or_b32 v1, v1, 7, v35
	s_delay_alu instid0(VALU_DEP_1)
	v_cvt_f32_f16_e32 v35, v1
.LBB304_120:                            ;   in Loop: Header=BB304_10 Depth=1
	s_or_b32 exec_lo, exec_lo, s41
.LBB304_121:                            ;   in Loop: Header=BB304_10 Depth=1
	s_delay_alu instid0(SALU_CYCLE_1)
	s_or_b32 exec_lo, exec_lo, s40
.LBB304_122:                            ;   in Loop: Header=BB304_10 Depth=1
	s_delay_alu instid0(SALU_CYCLE_1)
	s_or_b32 exec_lo, exec_lo, s3
	global_load_u16 v1, v[9:10], off offset:392
	s_mov_b32 s3, exec_lo
	s_waitcnt vmcnt(0)
	v_and_b32_e32 v37, 0xff, v1
	v_and_b32_e32 v36, 0xffff, v1
	s_delay_alu instid0(VALU_DEP_2)
	v_cmpx_ne_u16_e32 0, v37
	s_cbranch_execz .LBB304_130
; %bb.123:                              ;   in Loop: Header=BB304_10 Depth=1
	s_delay_alu instid0(VALU_DEP_2) | instskip(SKIP_2) | instid1(VALU_DEP_2)
	v_and_b32_e32 v1, 0xff, v36
	v_bfrev_b32_e32 v34, 1
	s_mov_b32 s40, exec_lo
	v_cmpx_ne_u16_e32 0x80, v1
	s_cbranch_execz .LBB304_129
; %bb.124:                              ;   in Loop: Header=BB304_10 Depth=1
	v_and_b32_e32 v37, 0x7f, v36
	v_mov_b32_e32 v34, 0x7fc02000
	s_mov_b32 s41, exec_lo
	s_delay_alu instid0(VALU_DEP_2)
	v_cmpx_ne_u32_e32 0x7f, v37
	s_cbranch_execz .LBB304_128
; %bb.125:                              ;   in Loop: Header=BB304_10 Depth=1
	v_and_b32_e32 v1, 7, v36
	v_lshrrev_b32_e32 v34, 3, v37
	s_mov_b32 s42, exec_lo
	v_cmpx_gt_u32_e32 8, v37
; %bb.126:                              ;   in Loop: Header=BB304_10 Depth=1
	s_delay_alu instid0(VALU_DEP_3) | instskip(NEXT) | instid1(VALU_DEP_1)
	v_clz_i32_u32_e32 v34, v1
	v_min_u32_e32 v34, 32, v34
	s_delay_alu instid0(VALU_DEP_1) | instskip(SKIP_1) | instid1(VALU_DEP_2)
	v_subrev_nc_u32_e32 v37, 28, v34
	v_sub_nc_u32_e32 v34, 29, v34
	v_lshlrev_b64 v[37:38], v37, v[1:2]
	s_delay_alu instid0(VALU_DEP_1)
	v_and_b32_e32 v1, 7, v37
; %bb.127:                              ;   in Loop: Header=BB304_10 Depth=1
	s_or_b32 exec_lo, exec_lo, s42
	v_lshlrev_b32_e32 v37, 8, v36
	v_lshl_add_u32 v34, v34, 10, 0x2000
	s_delay_alu instid0(VALU_DEP_1) | instskip(NEXT) | instid1(VALU_DEP_1)
	v_and_or_b32 v34, 0x8000, v37, v34
	v_lshl_or_b32 v1, v1, 7, v34
	s_delay_alu instid0(VALU_DEP_1)
	v_cvt_f32_f16_e32 v34, v1
.LBB304_128:                            ;   in Loop: Header=BB304_10 Depth=1
	s_or_b32 exec_lo, exec_lo, s41
.LBB304_129:                            ;   in Loop: Header=BB304_10 Depth=1
	s_delay_alu instid0(SALU_CYCLE_1)
	s_or_b32 exec_lo, exec_lo, s40
.LBB304_130:                            ;   in Loop: Header=BB304_10 Depth=1
	s_delay_alu instid0(SALU_CYCLE_1) | instskip(NEXT) | instid1(VALU_DEP_2)
	s_or_b32 exec_lo, exec_lo, s3
	v_lshrrev_b16 v1, 8, v36
	v_dual_mov_b32 v36, 0 :: v_dual_mov_b32 v37, 0
	s_mov_b32 s3, exec_lo
	s_delay_alu instid0(VALU_DEP_2)
	v_cmpx_ne_u16_e32 0, v1
	s_cbranch_execz .LBB304_138
; %bb.131:                              ;   in Loop: Header=BB304_10 Depth=1
	v_bfrev_b32_e32 v37, 1
	s_mov_b32 s40, exec_lo
	v_cmpx_ne_u16_e32 0x80, v1
	s_cbranch_execz .LBB304_137
; %bb.132:                              ;   in Loop: Header=BB304_10 Depth=1
	v_and_b32_e32 v38, 0xffff, v1
	v_mov_b32_e32 v37, 0x7fc02000
	s_mov_b32 s41, exec_lo
	s_delay_alu instid0(VALU_DEP_2) | instskip(NEXT) | instid1(VALU_DEP_1)
	v_and_b32_e32 v39, 0x7f, v38
	v_cmpx_ne_u32_e32 0x7f, v39
	s_cbranch_execz .LBB304_136
; %bb.133:                              ;   in Loop: Header=BB304_10 Depth=1
	v_and_b32_e32 v1, 7, v38
	v_lshrrev_b32_e32 v37, 3, v39
	s_mov_b32 s42, exec_lo
	v_cmpx_gt_u32_e32 8, v39
; %bb.134:                              ;   in Loop: Header=BB304_10 Depth=1
	s_delay_alu instid0(VALU_DEP_3) | instskip(NEXT) | instid1(VALU_DEP_1)
	v_clz_i32_u32_e32 v37, v1
	v_min_u32_e32 v37, 32, v37
	s_delay_alu instid0(VALU_DEP_1) | instskip(SKIP_1) | instid1(VALU_DEP_2)
	v_subrev_nc_u32_e32 v39, 28, v37
	v_sub_nc_u32_e32 v37, 29, v37
	v_lshlrev_b64 v[39:40], v39, v[1:2]
	s_delay_alu instid0(VALU_DEP_1)
	v_and_b32_e32 v1, 7, v39
; %bb.135:                              ;   in Loop: Header=BB304_10 Depth=1
	s_or_b32 exec_lo, exec_lo, s42
	v_lshlrev_b32_e32 v38, 8, v38
	v_lshl_add_u32 v37, v37, 10, 0x2000
	s_delay_alu instid0(VALU_DEP_1) | instskip(NEXT) | instid1(VALU_DEP_1)
	v_and_or_b32 v37, 0x8000, v38, v37
	v_lshl_or_b32 v1, v1, 7, v37
	s_delay_alu instid0(VALU_DEP_1)
	v_cvt_f32_f16_e32 v37, v1
.LBB304_136:                            ;   in Loop: Header=BB304_10 Depth=1
	s_or_b32 exec_lo, exec_lo, s41
.LBB304_137:                            ;   in Loop: Header=BB304_10 Depth=1
	s_delay_alu instid0(SALU_CYCLE_1)
	s_or_b32 exec_lo, exec_lo, s40
.LBB304_138:                            ;   in Loop: Header=BB304_10 Depth=1
	s_delay_alu instid0(SALU_CYCLE_1)
	s_or_b32 exec_lo, exec_lo, s3
	global_load_u16 v1, v[9:10], off offset:512
	s_mov_b32 s3, exec_lo
	s_waitcnt vmcnt(0)
	v_and_b32_e32 v39, 0xff, v1
	v_and_b32_e32 v38, 0xffff, v1
	s_delay_alu instid0(VALU_DEP_2)
	v_cmpx_ne_u16_e32 0, v39
	s_cbranch_execz .LBB304_146
; %bb.139:                              ;   in Loop: Header=BB304_10 Depth=1
	s_delay_alu instid0(VALU_DEP_2) | instskip(SKIP_2) | instid1(VALU_DEP_2)
	v_and_b32_e32 v1, 0xff, v38
	v_bfrev_b32_e32 v36, 1
	s_mov_b32 s40, exec_lo
	v_cmpx_ne_u16_e32 0x80, v1
	s_cbranch_execz .LBB304_145
; %bb.140:                              ;   in Loop: Header=BB304_10 Depth=1
	v_and_b32_e32 v39, 0x7f, v38
	v_mov_b32_e32 v36, 0x7fc02000
	s_mov_b32 s41, exec_lo
	s_delay_alu instid0(VALU_DEP_2)
	v_cmpx_ne_u32_e32 0x7f, v39
	s_cbranch_execz .LBB304_144
; %bb.141:                              ;   in Loop: Header=BB304_10 Depth=1
	v_and_b32_e32 v1, 7, v38
	v_lshrrev_b32_e32 v36, 3, v39
	s_mov_b32 s42, exec_lo
	v_cmpx_gt_u32_e32 8, v39
; %bb.142:                              ;   in Loop: Header=BB304_10 Depth=1
	s_delay_alu instid0(VALU_DEP_3) | instskip(NEXT) | instid1(VALU_DEP_1)
	v_clz_i32_u32_e32 v36, v1
	v_min_u32_e32 v36, 32, v36
	s_delay_alu instid0(VALU_DEP_1) | instskip(SKIP_1) | instid1(VALU_DEP_2)
	v_subrev_nc_u32_e32 v39, 28, v36
	v_sub_nc_u32_e32 v36, 29, v36
	v_lshlrev_b64 v[39:40], v39, v[1:2]
	s_delay_alu instid0(VALU_DEP_1)
	v_and_b32_e32 v1, 7, v39
; %bb.143:                              ;   in Loop: Header=BB304_10 Depth=1
	s_or_b32 exec_lo, exec_lo, s42
	v_lshlrev_b32_e32 v39, 8, v38
	v_lshl_add_u32 v36, v36, 10, 0x2000
	s_delay_alu instid0(VALU_DEP_1) | instskip(NEXT) | instid1(VALU_DEP_1)
	v_and_or_b32 v36, 0x8000, v39, v36
	v_lshl_or_b32 v1, v1, 7, v36
	s_delay_alu instid0(VALU_DEP_1)
	v_cvt_f32_f16_e32 v36, v1
.LBB304_144:                            ;   in Loop: Header=BB304_10 Depth=1
	s_or_b32 exec_lo, exec_lo, s41
.LBB304_145:                            ;   in Loop: Header=BB304_10 Depth=1
	s_delay_alu instid0(SALU_CYCLE_1)
	s_or_b32 exec_lo, exec_lo, s40
.LBB304_146:                            ;   in Loop: Header=BB304_10 Depth=1
	s_delay_alu instid0(SALU_CYCLE_1) | instskip(NEXT) | instid1(VALU_DEP_2)
	s_or_b32 exec_lo, exec_lo, s3
	v_lshrrev_b16 v1, 8, v38
	v_dual_mov_b32 v38, 0 :: v_dual_mov_b32 v39, 0
	s_mov_b32 s3, exec_lo
	s_delay_alu instid0(VALU_DEP_2)
	v_cmpx_ne_u16_e32 0, v1
	s_cbranch_execz .LBB304_154
; %bb.147:                              ;   in Loop: Header=BB304_10 Depth=1
	v_bfrev_b32_e32 v39, 1
	s_mov_b32 s40, exec_lo
	v_cmpx_ne_u16_e32 0x80, v1
	s_cbranch_execz .LBB304_153
; %bb.148:                              ;   in Loop: Header=BB304_10 Depth=1
	v_and_b32_e32 v40, 0xffff, v1
	v_mov_b32_e32 v39, 0x7fc02000
	s_mov_b32 s41, exec_lo
	s_delay_alu instid0(VALU_DEP_2) | instskip(NEXT) | instid1(VALU_DEP_1)
	v_and_b32_e32 v41, 0x7f, v40
	v_cmpx_ne_u32_e32 0x7f, v41
	s_cbranch_execz .LBB304_152
; %bb.149:                              ;   in Loop: Header=BB304_10 Depth=1
	v_and_b32_e32 v1, 7, v40
	v_lshrrev_b32_e32 v39, 3, v41
	s_mov_b32 s42, exec_lo
	v_cmpx_gt_u32_e32 8, v41
; %bb.150:                              ;   in Loop: Header=BB304_10 Depth=1
	s_delay_alu instid0(VALU_DEP_3) | instskip(NEXT) | instid1(VALU_DEP_1)
	v_clz_i32_u32_e32 v39, v1
	v_min_u32_e32 v39, 32, v39
	s_delay_alu instid0(VALU_DEP_1) | instskip(SKIP_1) | instid1(VALU_DEP_2)
	v_subrev_nc_u32_e32 v41, 28, v39
	v_sub_nc_u32_e32 v39, 29, v39
	v_lshlrev_b64 v[41:42], v41, v[1:2]
	s_delay_alu instid0(VALU_DEP_1)
	v_and_b32_e32 v1, 7, v41
; %bb.151:                              ;   in Loop: Header=BB304_10 Depth=1
	s_or_b32 exec_lo, exec_lo, s42
	v_lshlrev_b32_e32 v40, 8, v40
	v_lshl_add_u32 v39, v39, 10, 0x2000
	s_delay_alu instid0(VALU_DEP_1) | instskip(NEXT) | instid1(VALU_DEP_1)
	v_and_or_b32 v39, 0x8000, v40, v39
	v_lshl_or_b32 v1, v1, 7, v39
	s_delay_alu instid0(VALU_DEP_1)
	v_cvt_f32_f16_e32 v39, v1
.LBB304_152:                            ;   in Loop: Header=BB304_10 Depth=1
	s_or_b32 exec_lo, exec_lo, s41
.LBB304_153:                            ;   in Loop: Header=BB304_10 Depth=1
	s_delay_alu instid0(SALU_CYCLE_1)
	s_or_b32 exec_lo, exec_lo, s40
.LBB304_154:                            ;   in Loop: Header=BB304_10 Depth=1
	s_delay_alu instid0(SALU_CYCLE_1)
	s_or_b32 exec_lo, exec_lo, s3
	global_load_u16 v1, v[9:10], off offset:520
	s_mov_b32 s3, exec_lo
	s_waitcnt vmcnt(0)
	v_and_b32_e32 v41, 0xff, v1
	v_and_b32_e32 v40, 0xffff, v1
	s_delay_alu instid0(VALU_DEP_2)
	v_cmpx_ne_u16_e32 0, v41
	s_cbranch_execz .LBB304_162
; %bb.155:                              ;   in Loop: Header=BB304_10 Depth=1
	s_delay_alu instid0(VALU_DEP_2) | instskip(SKIP_2) | instid1(VALU_DEP_2)
	v_and_b32_e32 v1, 0xff, v40
	v_bfrev_b32_e32 v38, 1
	s_mov_b32 s40, exec_lo
	v_cmpx_ne_u16_e32 0x80, v1
	s_cbranch_execz .LBB304_161
; %bb.156:                              ;   in Loop: Header=BB304_10 Depth=1
	v_and_b32_e32 v41, 0x7f, v40
	v_mov_b32_e32 v38, 0x7fc02000
	s_mov_b32 s41, exec_lo
	s_delay_alu instid0(VALU_DEP_2)
	v_cmpx_ne_u32_e32 0x7f, v41
	s_cbranch_execz .LBB304_160
; %bb.157:                              ;   in Loop: Header=BB304_10 Depth=1
	v_and_b32_e32 v1, 7, v40
	v_lshrrev_b32_e32 v38, 3, v41
	s_mov_b32 s42, exec_lo
	v_cmpx_gt_u32_e32 8, v41
; %bb.158:                              ;   in Loop: Header=BB304_10 Depth=1
	s_delay_alu instid0(VALU_DEP_3) | instskip(NEXT) | instid1(VALU_DEP_1)
	v_clz_i32_u32_e32 v38, v1
	v_min_u32_e32 v38, 32, v38
	s_delay_alu instid0(VALU_DEP_1) | instskip(SKIP_1) | instid1(VALU_DEP_2)
	v_subrev_nc_u32_e32 v41, 28, v38
	v_sub_nc_u32_e32 v38, 29, v38
	v_lshlrev_b64 v[41:42], v41, v[1:2]
	s_delay_alu instid0(VALU_DEP_1)
	v_and_b32_e32 v1, 7, v41
; %bb.159:                              ;   in Loop: Header=BB304_10 Depth=1
	s_or_b32 exec_lo, exec_lo, s42
	v_lshlrev_b32_e32 v41, 8, v40
	v_lshl_add_u32 v38, v38, 10, 0x2000
	s_delay_alu instid0(VALU_DEP_1) | instskip(NEXT) | instid1(VALU_DEP_1)
	v_and_or_b32 v38, 0x8000, v41, v38
	v_lshl_or_b32 v1, v1, 7, v38
	s_delay_alu instid0(VALU_DEP_1)
	v_cvt_f32_f16_e32 v38, v1
.LBB304_160:                            ;   in Loop: Header=BB304_10 Depth=1
	s_or_b32 exec_lo, exec_lo, s41
.LBB304_161:                            ;   in Loop: Header=BB304_10 Depth=1
	s_delay_alu instid0(SALU_CYCLE_1)
	s_or_b32 exec_lo, exec_lo, s40
.LBB304_162:                            ;   in Loop: Header=BB304_10 Depth=1
	s_delay_alu instid0(SALU_CYCLE_1) | instskip(NEXT) | instid1(VALU_DEP_2)
	s_or_b32 exec_lo, exec_lo, s3
	v_lshrrev_b16 v1, 8, v40
	v_dual_mov_b32 v40, 0 :: v_dual_mov_b32 v41, 0
	s_mov_b32 s3, exec_lo
	s_delay_alu instid0(VALU_DEP_2)
	v_cmpx_ne_u16_e32 0, v1
	s_cbranch_execz .LBB304_170
; %bb.163:                              ;   in Loop: Header=BB304_10 Depth=1
	v_bfrev_b32_e32 v41, 1
	s_mov_b32 s40, exec_lo
	v_cmpx_ne_u16_e32 0x80, v1
	s_cbranch_execz .LBB304_169
; %bb.164:                              ;   in Loop: Header=BB304_10 Depth=1
	v_and_b32_e32 v42, 0xffff, v1
	v_mov_b32_e32 v41, 0x7fc02000
	s_mov_b32 s41, exec_lo
	s_delay_alu instid0(VALU_DEP_2) | instskip(NEXT) | instid1(VALU_DEP_1)
	v_and_b32_e32 v43, 0x7f, v42
	v_cmpx_ne_u32_e32 0x7f, v43
	s_cbranch_execz .LBB304_168
; %bb.165:                              ;   in Loop: Header=BB304_10 Depth=1
	v_and_b32_e32 v1, 7, v42
	v_lshrrev_b32_e32 v41, 3, v43
	s_mov_b32 s42, exec_lo
	v_cmpx_gt_u32_e32 8, v43
; %bb.166:                              ;   in Loop: Header=BB304_10 Depth=1
	s_delay_alu instid0(VALU_DEP_3) | instskip(NEXT) | instid1(VALU_DEP_1)
	v_clz_i32_u32_e32 v41, v1
	v_min_u32_e32 v41, 32, v41
	s_delay_alu instid0(VALU_DEP_1) | instskip(SKIP_1) | instid1(VALU_DEP_2)
	v_subrev_nc_u32_e32 v43, 28, v41
	v_sub_nc_u32_e32 v41, 29, v41
	v_lshlrev_b64 v[43:44], v43, v[1:2]
	s_delay_alu instid0(VALU_DEP_1)
	v_and_b32_e32 v1, 7, v43
; %bb.167:                              ;   in Loop: Header=BB304_10 Depth=1
	s_or_b32 exec_lo, exec_lo, s42
	v_lshlrev_b32_e32 v42, 8, v42
	v_lshl_add_u32 v41, v41, 10, 0x2000
	s_delay_alu instid0(VALU_DEP_1) | instskip(NEXT) | instid1(VALU_DEP_1)
	v_and_or_b32 v41, 0x8000, v42, v41
	v_lshl_or_b32 v1, v1, 7, v41
	s_delay_alu instid0(VALU_DEP_1)
	v_cvt_f32_f16_e32 v41, v1
.LBB304_168:                            ;   in Loop: Header=BB304_10 Depth=1
	s_or_b32 exec_lo, exec_lo, s41
.LBB304_169:                            ;   in Loop: Header=BB304_10 Depth=1
	s_delay_alu instid0(SALU_CYCLE_1)
	s_or_b32 exec_lo, exec_lo, s40
.LBB304_170:                            ;   in Loop: Header=BB304_10 Depth=1
	s_delay_alu instid0(SALU_CYCLE_1)
	s_or_b32 exec_lo, exec_lo, s3
	global_load_u16 v1, v[9:10], off offset:640
	s_mov_b32 s3, exec_lo
	s_waitcnt vmcnt(0)
	v_and_b32_e32 v43, 0xff, v1
	v_and_b32_e32 v42, 0xffff, v1
	s_delay_alu instid0(VALU_DEP_2)
	v_cmpx_ne_u16_e32 0, v43
	s_cbranch_execz .LBB304_178
; %bb.171:                              ;   in Loop: Header=BB304_10 Depth=1
	s_delay_alu instid0(VALU_DEP_2) | instskip(SKIP_2) | instid1(VALU_DEP_2)
	v_and_b32_e32 v1, 0xff, v42
	v_bfrev_b32_e32 v40, 1
	s_mov_b32 s40, exec_lo
	v_cmpx_ne_u16_e32 0x80, v1
	s_cbranch_execz .LBB304_177
; %bb.172:                              ;   in Loop: Header=BB304_10 Depth=1
	v_and_b32_e32 v43, 0x7f, v42
	v_mov_b32_e32 v40, 0x7fc02000
	s_mov_b32 s41, exec_lo
	s_delay_alu instid0(VALU_DEP_2)
	v_cmpx_ne_u32_e32 0x7f, v43
	s_cbranch_execz .LBB304_176
; %bb.173:                              ;   in Loop: Header=BB304_10 Depth=1
	v_and_b32_e32 v1, 7, v42
	v_lshrrev_b32_e32 v40, 3, v43
	s_mov_b32 s42, exec_lo
	v_cmpx_gt_u32_e32 8, v43
; %bb.174:                              ;   in Loop: Header=BB304_10 Depth=1
	s_delay_alu instid0(VALU_DEP_3) | instskip(NEXT) | instid1(VALU_DEP_1)
	v_clz_i32_u32_e32 v40, v1
	v_min_u32_e32 v40, 32, v40
	s_delay_alu instid0(VALU_DEP_1) | instskip(SKIP_1) | instid1(VALU_DEP_2)
	v_subrev_nc_u32_e32 v43, 28, v40
	v_sub_nc_u32_e32 v40, 29, v40
	v_lshlrev_b64 v[43:44], v43, v[1:2]
	s_delay_alu instid0(VALU_DEP_1)
	v_and_b32_e32 v1, 7, v43
; %bb.175:                              ;   in Loop: Header=BB304_10 Depth=1
	s_or_b32 exec_lo, exec_lo, s42
	v_lshlrev_b32_e32 v43, 8, v42
	v_lshl_add_u32 v40, v40, 10, 0x2000
	s_delay_alu instid0(VALU_DEP_1) | instskip(NEXT) | instid1(VALU_DEP_1)
	v_and_or_b32 v40, 0x8000, v43, v40
	v_lshl_or_b32 v1, v1, 7, v40
	s_delay_alu instid0(VALU_DEP_1)
	v_cvt_f32_f16_e32 v40, v1
.LBB304_176:                            ;   in Loop: Header=BB304_10 Depth=1
	s_or_b32 exec_lo, exec_lo, s41
.LBB304_177:                            ;   in Loop: Header=BB304_10 Depth=1
	s_delay_alu instid0(SALU_CYCLE_1)
	s_or_b32 exec_lo, exec_lo, s40
.LBB304_178:                            ;   in Loop: Header=BB304_10 Depth=1
	s_delay_alu instid0(SALU_CYCLE_1) | instskip(NEXT) | instid1(VALU_DEP_2)
	s_or_b32 exec_lo, exec_lo, s3
	v_lshrrev_b16 v1, 8, v42
	v_dual_mov_b32 v42, 0 :: v_dual_mov_b32 v43, 0
	s_mov_b32 s3, exec_lo
	s_delay_alu instid0(VALU_DEP_2)
	v_cmpx_ne_u16_e32 0, v1
	s_cbranch_execz .LBB304_186
; %bb.179:                              ;   in Loop: Header=BB304_10 Depth=1
	v_bfrev_b32_e32 v43, 1
	s_mov_b32 s40, exec_lo
	v_cmpx_ne_u16_e32 0x80, v1
	s_cbranch_execz .LBB304_185
; %bb.180:                              ;   in Loop: Header=BB304_10 Depth=1
	v_and_b32_e32 v44, 0xffff, v1
	v_mov_b32_e32 v43, 0x7fc02000
	s_mov_b32 s41, exec_lo
	s_delay_alu instid0(VALU_DEP_2) | instskip(NEXT) | instid1(VALU_DEP_1)
	v_and_b32_e32 v45, 0x7f, v44
	v_cmpx_ne_u32_e32 0x7f, v45
	s_cbranch_execz .LBB304_184
; %bb.181:                              ;   in Loop: Header=BB304_10 Depth=1
	v_and_b32_e32 v1, 7, v44
	v_lshrrev_b32_e32 v43, 3, v45
	s_mov_b32 s42, exec_lo
	v_cmpx_gt_u32_e32 8, v45
; %bb.182:                              ;   in Loop: Header=BB304_10 Depth=1
	s_delay_alu instid0(VALU_DEP_3) | instskip(NEXT) | instid1(VALU_DEP_1)
	v_clz_i32_u32_e32 v43, v1
	v_min_u32_e32 v43, 32, v43
	s_delay_alu instid0(VALU_DEP_1) | instskip(SKIP_1) | instid1(VALU_DEP_2)
	v_subrev_nc_u32_e32 v45, 28, v43
	v_sub_nc_u32_e32 v43, 29, v43
	v_lshlrev_b64 v[45:46], v45, v[1:2]
	s_delay_alu instid0(VALU_DEP_1)
	v_and_b32_e32 v1, 7, v45
; %bb.183:                              ;   in Loop: Header=BB304_10 Depth=1
	s_or_b32 exec_lo, exec_lo, s42
	v_lshlrev_b32_e32 v44, 8, v44
	v_lshl_add_u32 v43, v43, 10, 0x2000
	s_delay_alu instid0(VALU_DEP_1) | instskip(NEXT) | instid1(VALU_DEP_1)
	v_and_or_b32 v43, 0x8000, v44, v43
	v_lshl_or_b32 v1, v1, 7, v43
	s_delay_alu instid0(VALU_DEP_1)
	v_cvt_f32_f16_e32 v43, v1
.LBB304_184:                            ;   in Loop: Header=BB304_10 Depth=1
	s_or_b32 exec_lo, exec_lo, s41
.LBB304_185:                            ;   in Loop: Header=BB304_10 Depth=1
	s_delay_alu instid0(SALU_CYCLE_1)
	s_or_b32 exec_lo, exec_lo, s40
.LBB304_186:                            ;   in Loop: Header=BB304_10 Depth=1
	s_delay_alu instid0(SALU_CYCLE_1)
	s_or_b32 exec_lo, exec_lo, s3
	global_load_u16 v1, v[9:10], off offset:648
	s_mov_b32 s3, exec_lo
	s_waitcnt vmcnt(0)
	v_and_b32_e32 v45, 0xff, v1
	v_and_b32_e32 v44, 0xffff, v1
	s_delay_alu instid0(VALU_DEP_2)
	v_cmpx_ne_u16_e32 0, v45
	s_cbranch_execz .LBB304_194
; %bb.187:                              ;   in Loop: Header=BB304_10 Depth=1
	s_delay_alu instid0(VALU_DEP_2) | instskip(SKIP_2) | instid1(VALU_DEP_2)
	v_and_b32_e32 v1, 0xff, v44
	v_bfrev_b32_e32 v42, 1
	s_mov_b32 s40, exec_lo
	v_cmpx_ne_u16_e32 0x80, v1
	s_cbranch_execz .LBB304_193
; %bb.188:                              ;   in Loop: Header=BB304_10 Depth=1
	v_and_b32_e32 v45, 0x7f, v44
	v_mov_b32_e32 v42, 0x7fc02000
	s_mov_b32 s41, exec_lo
	s_delay_alu instid0(VALU_DEP_2)
	v_cmpx_ne_u32_e32 0x7f, v45
	s_cbranch_execz .LBB304_192
; %bb.189:                              ;   in Loop: Header=BB304_10 Depth=1
	v_and_b32_e32 v1, 7, v44
	v_lshrrev_b32_e32 v42, 3, v45
	s_mov_b32 s42, exec_lo
	v_cmpx_gt_u32_e32 8, v45
; %bb.190:                              ;   in Loop: Header=BB304_10 Depth=1
	s_delay_alu instid0(VALU_DEP_3) | instskip(NEXT) | instid1(VALU_DEP_1)
	v_clz_i32_u32_e32 v42, v1
	v_min_u32_e32 v42, 32, v42
	s_delay_alu instid0(VALU_DEP_1) | instskip(SKIP_1) | instid1(VALU_DEP_2)
	v_subrev_nc_u32_e32 v45, 28, v42
	v_sub_nc_u32_e32 v42, 29, v42
	v_lshlrev_b64 v[45:46], v45, v[1:2]
	s_delay_alu instid0(VALU_DEP_1)
	v_and_b32_e32 v1, 7, v45
; %bb.191:                              ;   in Loop: Header=BB304_10 Depth=1
	s_or_b32 exec_lo, exec_lo, s42
	v_lshlrev_b32_e32 v45, 8, v44
	v_lshl_add_u32 v42, v42, 10, 0x2000
	s_delay_alu instid0(VALU_DEP_1) | instskip(NEXT) | instid1(VALU_DEP_1)
	v_and_or_b32 v42, 0x8000, v45, v42
	v_lshl_or_b32 v1, v1, 7, v42
	s_delay_alu instid0(VALU_DEP_1)
	v_cvt_f32_f16_e32 v42, v1
.LBB304_192:                            ;   in Loop: Header=BB304_10 Depth=1
	s_or_b32 exec_lo, exec_lo, s41
.LBB304_193:                            ;   in Loop: Header=BB304_10 Depth=1
	s_delay_alu instid0(SALU_CYCLE_1)
	s_or_b32 exec_lo, exec_lo, s40
.LBB304_194:                            ;   in Loop: Header=BB304_10 Depth=1
	s_delay_alu instid0(SALU_CYCLE_1) | instskip(NEXT) | instid1(VALU_DEP_2)
	s_or_b32 exec_lo, exec_lo, s3
	v_lshrrev_b16 v1, 8, v44
	v_dual_mov_b32 v44, 0 :: v_dual_mov_b32 v45, 0
	s_mov_b32 s3, exec_lo
	s_delay_alu instid0(VALU_DEP_2)
	v_cmpx_ne_u16_e32 0, v1
	s_cbranch_execz .LBB304_202
; %bb.195:                              ;   in Loop: Header=BB304_10 Depth=1
	v_bfrev_b32_e32 v45, 1
	s_mov_b32 s40, exec_lo
	v_cmpx_ne_u16_e32 0x80, v1
	s_cbranch_execz .LBB304_201
; %bb.196:                              ;   in Loop: Header=BB304_10 Depth=1
	v_and_b32_e32 v46, 0xffff, v1
	v_mov_b32_e32 v45, 0x7fc02000
	s_mov_b32 s41, exec_lo
	s_delay_alu instid0(VALU_DEP_2) | instskip(NEXT) | instid1(VALU_DEP_1)
	v_and_b32_e32 v47, 0x7f, v46
	v_cmpx_ne_u32_e32 0x7f, v47
	s_cbranch_execz .LBB304_200
; %bb.197:                              ;   in Loop: Header=BB304_10 Depth=1
	v_and_b32_e32 v1, 7, v46
	v_lshrrev_b32_e32 v45, 3, v47
	s_mov_b32 s42, exec_lo
	v_cmpx_gt_u32_e32 8, v47
; %bb.198:                              ;   in Loop: Header=BB304_10 Depth=1
	s_delay_alu instid0(VALU_DEP_3) | instskip(NEXT) | instid1(VALU_DEP_1)
	v_clz_i32_u32_e32 v45, v1
	v_min_u32_e32 v45, 32, v45
	s_delay_alu instid0(VALU_DEP_1) | instskip(SKIP_1) | instid1(VALU_DEP_2)
	v_subrev_nc_u32_e32 v47, 28, v45
	v_sub_nc_u32_e32 v45, 29, v45
	v_lshlrev_b64 v[47:48], v47, v[1:2]
	s_delay_alu instid0(VALU_DEP_1)
	v_and_b32_e32 v1, 7, v47
; %bb.199:                              ;   in Loop: Header=BB304_10 Depth=1
	s_or_b32 exec_lo, exec_lo, s42
	v_lshlrev_b32_e32 v46, 8, v46
	v_lshl_add_u32 v45, v45, 10, 0x2000
	s_delay_alu instid0(VALU_DEP_1) | instskip(NEXT) | instid1(VALU_DEP_1)
	v_and_or_b32 v45, 0x8000, v46, v45
	v_lshl_or_b32 v1, v1, 7, v45
	s_delay_alu instid0(VALU_DEP_1)
	v_cvt_f32_f16_e32 v45, v1
.LBB304_200:                            ;   in Loop: Header=BB304_10 Depth=1
	s_or_b32 exec_lo, exec_lo, s41
.LBB304_201:                            ;   in Loop: Header=BB304_10 Depth=1
	s_delay_alu instid0(SALU_CYCLE_1)
	s_or_b32 exec_lo, exec_lo, s40
.LBB304_202:                            ;   in Loop: Header=BB304_10 Depth=1
	s_delay_alu instid0(SALU_CYCLE_1)
	s_or_b32 exec_lo, exec_lo, s3
	global_load_u16 v1, v[9:10], off offset:768
	s_mov_b32 s3, exec_lo
	s_waitcnt vmcnt(0)
	v_and_b32_e32 v47, 0xff, v1
	v_and_b32_e32 v46, 0xffff, v1
	s_delay_alu instid0(VALU_DEP_2)
	v_cmpx_ne_u16_e32 0, v47
	s_cbranch_execz .LBB304_210
; %bb.203:                              ;   in Loop: Header=BB304_10 Depth=1
	s_delay_alu instid0(VALU_DEP_2) | instskip(SKIP_2) | instid1(VALU_DEP_2)
	v_and_b32_e32 v1, 0xff, v46
	v_bfrev_b32_e32 v44, 1
	s_mov_b32 s40, exec_lo
	v_cmpx_ne_u16_e32 0x80, v1
	s_cbranch_execz .LBB304_209
; %bb.204:                              ;   in Loop: Header=BB304_10 Depth=1
	v_and_b32_e32 v47, 0x7f, v46
	v_mov_b32_e32 v44, 0x7fc02000
	s_mov_b32 s41, exec_lo
	s_delay_alu instid0(VALU_DEP_2)
	v_cmpx_ne_u32_e32 0x7f, v47
	s_cbranch_execz .LBB304_208
; %bb.205:                              ;   in Loop: Header=BB304_10 Depth=1
	v_and_b32_e32 v1, 7, v46
	v_lshrrev_b32_e32 v44, 3, v47
	s_mov_b32 s42, exec_lo
	v_cmpx_gt_u32_e32 8, v47
; %bb.206:                              ;   in Loop: Header=BB304_10 Depth=1
	s_delay_alu instid0(VALU_DEP_3) | instskip(NEXT) | instid1(VALU_DEP_1)
	v_clz_i32_u32_e32 v44, v1
	v_min_u32_e32 v44, 32, v44
	s_delay_alu instid0(VALU_DEP_1) | instskip(SKIP_1) | instid1(VALU_DEP_2)
	v_subrev_nc_u32_e32 v47, 28, v44
	v_sub_nc_u32_e32 v44, 29, v44
	v_lshlrev_b64 v[47:48], v47, v[1:2]
	s_delay_alu instid0(VALU_DEP_1)
	v_and_b32_e32 v1, 7, v47
; %bb.207:                              ;   in Loop: Header=BB304_10 Depth=1
	s_or_b32 exec_lo, exec_lo, s42
	v_lshlrev_b32_e32 v47, 8, v46
	v_lshl_add_u32 v44, v44, 10, 0x2000
	s_delay_alu instid0(VALU_DEP_1) | instskip(NEXT) | instid1(VALU_DEP_1)
	v_and_or_b32 v44, 0x8000, v47, v44
	v_lshl_or_b32 v1, v1, 7, v44
	s_delay_alu instid0(VALU_DEP_1)
	v_cvt_f32_f16_e32 v44, v1
.LBB304_208:                            ;   in Loop: Header=BB304_10 Depth=1
	s_or_b32 exec_lo, exec_lo, s41
.LBB304_209:                            ;   in Loop: Header=BB304_10 Depth=1
	s_delay_alu instid0(SALU_CYCLE_1)
	s_or_b32 exec_lo, exec_lo, s40
.LBB304_210:                            ;   in Loop: Header=BB304_10 Depth=1
	s_delay_alu instid0(SALU_CYCLE_1) | instskip(NEXT) | instid1(VALU_DEP_2)
	s_or_b32 exec_lo, exec_lo, s3
	v_lshrrev_b16 v1, 8, v46
	v_dual_mov_b32 v46, 0 :: v_dual_mov_b32 v47, 0
	s_mov_b32 s3, exec_lo
	s_delay_alu instid0(VALU_DEP_2)
	v_cmpx_ne_u16_e32 0, v1
	s_cbranch_execz .LBB304_218
; %bb.211:                              ;   in Loop: Header=BB304_10 Depth=1
	v_bfrev_b32_e32 v47, 1
	s_mov_b32 s40, exec_lo
	v_cmpx_ne_u16_e32 0x80, v1
	s_cbranch_execz .LBB304_217
; %bb.212:                              ;   in Loop: Header=BB304_10 Depth=1
	v_and_b32_e32 v48, 0xffff, v1
	v_mov_b32_e32 v47, 0x7fc02000
	s_mov_b32 s41, exec_lo
	s_delay_alu instid0(VALU_DEP_2) | instskip(NEXT) | instid1(VALU_DEP_1)
	v_and_b32_e32 v49, 0x7f, v48
	v_cmpx_ne_u32_e32 0x7f, v49
	s_cbranch_execz .LBB304_216
; %bb.213:                              ;   in Loop: Header=BB304_10 Depth=1
	v_and_b32_e32 v1, 7, v48
	v_lshrrev_b32_e32 v47, 3, v49
	s_mov_b32 s42, exec_lo
	v_cmpx_gt_u32_e32 8, v49
; %bb.214:                              ;   in Loop: Header=BB304_10 Depth=1
	s_delay_alu instid0(VALU_DEP_3) | instskip(NEXT) | instid1(VALU_DEP_1)
	v_clz_i32_u32_e32 v47, v1
	v_min_u32_e32 v47, 32, v47
	s_delay_alu instid0(VALU_DEP_1) | instskip(SKIP_1) | instid1(VALU_DEP_2)
	v_subrev_nc_u32_e32 v49, 28, v47
	v_sub_nc_u32_e32 v47, 29, v47
	v_lshlrev_b64 v[49:50], v49, v[1:2]
	s_delay_alu instid0(VALU_DEP_1)
	v_and_b32_e32 v1, 7, v49
; %bb.215:                              ;   in Loop: Header=BB304_10 Depth=1
	s_or_b32 exec_lo, exec_lo, s42
	v_lshlrev_b32_e32 v48, 8, v48
	v_lshl_add_u32 v47, v47, 10, 0x2000
	s_delay_alu instid0(VALU_DEP_1) | instskip(NEXT) | instid1(VALU_DEP_1)
	v_and_or_b32 v47, 0x8000, v48, v47
	v_lshl_or_b32 v1, v1, 7, v47
	s_delay_alu instid0(VALU_DEP_1)
	v_cvt_f32_f16_e32 v47, v1
.LBB304_216:                            ;   in Loop: Header=BB304_10 Depth=1
	s_or_b32 exec_lo, exec_lo, s41
.LBB304_217:                            ;   in Loop: Header=BB304_10 Depth=1
	s_delay_alu instid0(SALU_CYCLE_1)
	s_or_b32 exec_lo, exec_lo, s40
.LBB304_218:                            ;   in Loop: Header=BB304_10 Depth=1
	s_delay_alu instid0(SALU_CYCLE_1)
	s_or_b32 exec_lo, exec_lo, s3
	global_load_u16 v1, v[9:10], off offset:776
	s_mov_b32 s3, exec_lo
	s_waitcnt vmcnt(0)
	v_and_b32_e32 v10, 0xff, v1
	v_and_b32_e32 v9, 0xffff, v1
	s_delay_alu instid0(VALU_DEP_2)
	v_cmpx_ne_u16_e32 0, v10
	s_cbranch_execz .LBB304_226
; %bb.219:                              ;   in Loop: Header=BB304_10 Depth=1
	s_delay_alu instid0(VALU_DEP_2) | instskip(SKIP_2) | instid1(VALU_DEP_2)
	v_and_b32_e32 v1, 0xff, v9
	v_bfrev_b32_e32 v46, 1
	s_mov_b32 s40, exec_lo
	v_cmpx_ne_u16_e32 0x80, v1
	s_cbranch_execz .LBB304_225
; %bb.220:                              ;   in Loop: Header=BB304_10 Depth=1
	v_and_b32_e32 v48, 0x7f, v9
	v_mov_b32_e32 v46, 0x7fc02000
	s_mov_b32 s41, exec_lo
	s_delay_alu instid0(VALU_DEP_2)
	v_cmpx_ne_u32_e32 0x7f, v48
	s_cbranch_execz .LBB304_224
; %bb.221:                              ;   in Loop: Header=BB304_10 Depth=1
	v_and_b32_e32 v1, 7, v9
	v_lshrrev_b32_e32 v10, 3, v48
	s_mov_b32 s42, exec_lo
	v_cmpx_gt_u32_e32 8, v48
; %bb.222:                              ;   in Loop: Header=BB304_10 Depth=1
	s_delay_alu instid0(VALU_DEP_3) | instskip(NEXT) | instid1(VALU_DEP_1)
	v_clz_i32_u32_e32 v10, v1
	v_min_u32_e32 v10, 32, v10
	s_delay_alu instid0(VALU_DEP_1) | instskip(SKIP_1) | instid1(VALU_DEP_2)
	v_subrev_nc_u32_e32 v46, 28, v10
	v_sub_nc_u32_e32 v10, 29, v10
	v_lshlrev_b64 v[48:49], v46, v[1:2]
	s_delay_alu instid0(VALU_DEP_1)
	v_and_b32_e32 v1, 7, v48
; %bb.223:                              ;   in Loop: Header=BB304_10 Depth=1
	s_or_b32 exec_lo, exec_lo, s42
	v_lshlrev_b32_e32 v46, 8, v9
	v_lshl_add_u32 v10, v10, 10, 0x2000
	s_delay_alu instid0(VALU_DEP_1) | instskip(NEXT) | instid1(VALU_DEP_1)
	v_and_or_b32 v10, 0x8000, v46, v10
	v_lshl_or_b32 v1, v1, 7, v10
	s_delay_alu instid0(VALU_DEP_1)
	v_cvt_f32_f16_e32 v46, v1
.LBB304_224:                            ;   in Loop: Header=BB304_10 Depth=1
	s_or_b32 exec_lo, exec_lo, s41
.LBB304_225:                            ;   in Loop: Header=BB304_10 Depth=1
	s_delay_alu instid0(SALU_CYCLE_1)
	s_or_b32 exec_lo, exec_lo, s40
.LBB304_226:                            ;   in Loop: Header=BB304_10 Depth=1
	s_delay_alu instid0(SALU_CYCLE_1) | instskip(NEXT) | instid1(VALU_DEP_2)
	s_or_b32 exec_lo, exec_lo, s3
	v_lshrrev_b16 v9, 8, v9
	v_mov_b32_e32 v1, 0
	s_mov_b32 s3, exec_lo
	s_delay_alu instid0(VALU_DEP_2)
	v_cmpx_ne_u16_e32 0, v9
	s_cbranch_execz .LBB304_234
; %bb.227:                              ;   in Loop: Header=BB304_10 Depth=1
	v_bfrev_b32_e32 v1, 1
	s_mov_b32 s40, exec_lo
	v_cmpx_ne_u16_e32 0x80, v9
	s_cbranch_execz .LBB304_233
; %bb.228:                              ;   in Loop: Header=BB304_10 Depth=1
	v_and_b32_e32 v9, 0xffff, v9
	v_mov_b32_e32 v1, 0x7fc02000
	s_mov_b32 s41, exec_lo
	s_delay_alu instid0(VALU_DEP_2) | instskip(NEXT) | instid1(VALU_DEP_1)
	v_and_b32_e32 v48, 0x7f, v9
	v_cmpx_ne_u32_e32 0x7f, v48
	s_cbranch_execz .LBB304_232
; %bb.229:                              ;   in Loop: Header=BB304_10 Depth=1
	v_and_b32_e32 v1, 7, v9
	v_lshrrev_b32_e32 v10, 3, v48
	s_mov_b32 s42, exec_lo
	v_cmpx_gt_u32_e32 8, v48
; %bb.230:                              ;   in Loop: Header=BB304_10 Depth=1
	s_delay_alu instid0(VALU_DEP_3) | instskip(NEXT) | instid1(VALU_DEP_1)
	v_clz_i32_u32_e32 v10, v1
	v_min_u32_e32 v10, 32, v10
	s_delay_alu instid0(VALU_DEP_1) | instskip(SKIP_1) | instid1(VALU_DEP_2)
	v_subrev_nc_u32_e32 v48, 28, v10
	v_sub_nc_u32_e32 v10, 29, v10
	v_lshlrev_b64 v[48:49], v48, v[1:2]
	s_delay_alu instid0(VALU_DEP_1)
	v_and_b32_e32 v1, 7, v48
; %bb.231:                              ;   in Loop: Header=BB304_10 Depth=1
	s_or_b32 exec_lo, exec_lo, s42
	v_lshlrev_b32_e32 v9, 8, v9
	v_lshl_add_u32 v10, v10, 10, 0x2000
	s_delay_alu instid0(VALU_DEP_1) | instskip(NEXT) | instid1(VALU_DEP_1)
	v_and_or_b32 v9, 0x8000, v9, v10
	v_lshl_or_b32 v1, v1, 7, v9
	s_delay_alu instid0(VALU_DEP_1)
	v_cvt_f32_f16_e32 v1, v1
.LBB304_232:                            ;   in Loop: Header=BB304_10 Depth=1
	s_or_b32 exec_lo, exec_lo, s41
.LBB304_233:                            ;   in Loop: Header=BB304_10 Depth=1
	s_delay_alu instid0(SALU_CYCLE_1)
	s_or_b32 exec_lo, exec_lo, s40
.LBB304_234:                            ;   in Loop: Header=BB304_10 Depth=1
	s_delay_alu instid0(SALU_CYCLE_1)
	s_or_b32 exec_lo, exec_lo, s3
	ds_load_b32 v9, v15
	v_fma_mixlo_f16 v10, v20, v21, 0
	v_fma_mixlo_f16 v21, v20, v23, 0
	;; [unrolled: 1-line block ×5, first 2 shown]
	v_and_b32_e32 v10, 0xffff, v10
	v_fma_mixlo_f16 v27, v20, v27, 0
	v_fma_mixlo_f16 v26, v20, v26, 0
	;; [unrolled: 1-line block ×5, first 2 shown]
	v_and_b32_e32 v27, 0xffff, v27
	v_fma_mixlo_f16 v30, v20, v30, 0
	v_and_b32_e32 v29, 0xffff, v29
	v_fma_mixlo_f16 v33, v20, v33, 0
	;; [unrolled: 2-line block ×3, first 2 shown]
	v_fma_mixlo_f16 v35, v20, v35, 0
	v_fma_mixlo_f16 v34, v20, v34, 0
	s_waitcnt lgkmcnt(0)
	v_and_b32_e32 v23, 0xffff, v9
	v_lshrrev_b32_e32 v9, 16, v9
	;;#ASMSTART
	v_cvt_f32_f16 v23, v23;
	;;#ASMEND
	;;#ASMSTART
	v_cvt_f32_f16 v9, v9;
	;;#ASMEND
	;;#ASMSTART
	v_cvt_f32_f16 v10, v10;
	;;#ASMEND
	v_and_b32_e32 v21, 0xffff, v21
	;;#ASMSTART
	v_cvt_f32_f16 v21, v21;
	;;#ASMEND
	ds_load_b32 v48, v15 offset:4
	v_and_b32_e32 v22, 0xffff, v22
	v_and_b32_e32 v33, 0xffff, v33
	v_and_b32_e32 v35, 0xffff, v35
	v_fma_mixlo_f16 v37, v20, v37, 0
	v_fma_mixlo_f16 v36, v20, v36, 0
	;; [unrolled: 1-line block ×5, first 2 shown]
	v_and_b32_e32 v37, 0xffff, v37
	v_fma_mixlo_f16 v40, v20, v40, 0
	v_and_b32_e32 v39, 0xffff, v39
	v_fma_mixlo_f16 v43, v20, v43, 0
	;; [unrolled: 2-line block ×3, first 2 shown]
	v_fma_mixlo_f16 v42, v20, v42, 0
	v_fma_mixlo_f16 v1, v20, v1, 0
	v_and_b32_e32 v43, 0xffff, v43
	s_waitcnt lgkmcnt(0)
	v_and_b32_e32 v49, 0xffff, v48
	v_lshrrev_b32_e32 v48, 16, v48
	;;#ASMSTART
	v_cvt_f32_f16 v49, v49;
	;;#ASMEND
	;;#ASMSTART
	v_cvt_f32_f16 v48, v48;
	;;#ASMEND
	;; [unrolled: 3-line block ×3, first 2 shown]
	v_dual_mul_f32 v22, v49, v22 :: v_dual_and_b32 v1, 0xffff, v1
	s_delay_alu instid0(VALU_DEP_1) | instskip(SKIP_3) | instid1(VALU_DEP_1)
	v_dual_fmac_f32 v22, v23, v10 :: v_dual_and_b32 v25, 0xffff, v25
	;;#ASMSTART
	v_cvt_f32_f16 v25, v25;
	;;#ASMEND
	ds_load_b32 v50, v15 offset:8
	v_mul_f32_e32 v25, v48, v25
	v_fmac_f32_e32 v25, v9, v21
	v_and_b32_e32 v21, 0xffff, v45
	s_waitcnt lgkmcnt(0)
	v_and_b32_e32 v51, 0xffff, v50
	v_lshrrev_b32_e32 v50, 16, v50
	;;#ASMSTART
	v_cvt_f32_f16 v51, v51;
	;;#ASMEND
	;;#ASMSTART
	v_cvt_f32_f16 v50, v50;
	;;#ASMEND
	v_and_b32_e32 v24, 0xffff, v24
	;;#ASMSTART
	v_cvt_f32_f16 v24, v24;
	;;#ASMEND
	;;#ASMSTART
	v_cvt_f32_f16 v27, v27;
	;;#ASMEND
	v_fmac_f32_e32 v25, v50, v27
	ds_load_b32 v52, v15 offset:12
	v_fmac_f32_e32 v22, v51, v24
	v_fma_mixlo_f16 v27, v20, v47, 0
	s_delay_alu instid0(VALU_DEP_1)
	v_and_b32_e32 v27, 0xffff, v27
	s_waitcnt lgkmcnt(0)
	v_and_b32_e32 v53, 0xffff, v52
	v_lshrrev_b32_e32 v52, 16, v52
	;;#ASMSTART
	v_cvt_f32_f16 v53, v53;
	;;#ASMEND
	;;#ASMSTART
	v_cvt_f32_f16 v52, v52;
	;;#ASMEND
	v_and_b32_e32 v26, 0xffff, v26
	;;#ASMSTART
	v_cvt_f32_f16 v26, v26;
	;;#ASMEND
	;;#ASMSTART
	v_cvt_f32_f16 v29, v29;
	;;#ASMEND
	v_fmac_f32_e32 v25, v52, v29
	ds_load_b32 v54, v15 offset:16
	v_fmac_f32_e32 v22, v53, v26
	v_fma_mixlo_f16 v26, v20, v44, 0
	s_waitcnt lgkmcnt(0)
	v_and_b32_e32 v55, 0xffff, v54
	v_lshrrev_b32_e32 v54, 16, v54
	;;#ASMSTART
	v_cvt_f32_f16 v55, v55;
	;;#ASMEND
	;;#ASMSTART
	v_cvt_f32_f16 v54, v54;
	;;#ASMEND
	v_and_b32_e32 v28, 0xffff, v28
	;;#ASMSTART
	v_cvt_f32_f16 v28, v28;
	;;#ASMEND
	;;#ASMSTART
	v_cvt_f32_f16 v31, v31;
	;;#ASMEND
	v_fmac_f32_e32 v25, v54, v31
	ds_load_b32 v56, v15 offset:20
	v_fmac_f32_e32 v22, v55, v28
	s_waitcnt lgkmcnt(0)
	v_and_b32_e32 v57, 0xffff, v56
	v_lshrrev_b32_e32 v56, 16, v56
	;;#ASMSTART
	v_cvt_f32_f16 v57, v57;
	;;#ASMEND
	;;#ASMSTART
	v_cvt_f32_f16 v56, v56;
	;;#ASMEND
	v_and_b32_e32 v30, 0xffff, v30
	;;#ASMSTART
	v_cvt_f32_f16 v30, v30;
	;;#ASMEND
	;;#ASMSTART
	v_cvt_f32_f16 v33, v33;
	;;#ASMEND
	v_fmac_f32_e32 v25, v56, v33
	ds_load_b32 v58, v15 offset:24
	v_fmac_f32_e32 v22, v57, v30
	v_fma_mixlo_f16 v30, v20, v46, 0
	v_xor_b32_e32 v20, 2, v11
	s_delay_alu instid0(VALU_DEP_2) | instskip(NEXT) | instid1(VALU_DEP_2)
	v_and_b32_e32 v30, 0xffff, v30
	v_cmp_gt_i32_e64 s1, 32, v20
	s_delay_alu instid0(VALU_DEP_1)
	v_cndmask_b32_e64 v20, v11, v20, s1
	s_waitcnt lgkmcnt(0)
	v_and_b32_e32 v59, 0xffff, v58
	v_lshrrev_b32_e32 v58, 16, v58
	;;#ASMSTART
	v_cvt_f32_f16 v59, v59;
	;;#ASMEND
	;;#ASMSTART
	v_cvt_f32_f16 v58, v58;
	;;#ASMEND
	v_and_b32_e32 v32, 0xffff, v32
	;;#ASMSTART
	v_cvt_f32_f16 v32, v32;
	;;#ASMEND
	;;#ASMSTART
	v_cvt_f32_f16 v35, v35;
	;;#ASMEND
	v_fmac_f32_e32 v25, v58, v35
	ds_load_b32 v60, v15 offset:28
	v_fmac_f32_e32 v22, v59, v32
	s_waitcnt lgkmcnt(0)
	v_and_b32_e32 v61, 0xffff, v60
	v_lshrrev_b32_e32 v60, 16, v60
	;;#ASMSTART
	v_cvt_f32_f16 v61, v61;
	;;#ASMEND
	;;#ASMSTART
	v_cvt_f32_f16 v60, v60;
	;;#ASMEND
	v_and_b32_e32 v34, 0xffff, v34
	;;#ASMSTART
	v_cvt_f32_f16 v34, v34;
	;;#ASMEND
	;;#ASMSTART
	v_cvt_f32_f16 v37, v37;
	;;#ASMEND
	v_fmac_f32_e32 v25, v60, v37
	ds_load_b32 v62, v15 offset:32
	v_fmac_f32_e32 v22, v61, v34
	;; [unrolled: 19-line block ×7, first 2 shown]
	s_waitcnt lgkmcnt(0)
	v_lshrrev_b32_e32 v9, 16, v29
	v_and_b32_e32 v10, 0xffff, v29
	;;#ASMSTART
	v_cvt_f32_f16 v10, v10;
	;;#ASMEND
	;;#ASMSTART
	v_cvt_f32_f16 v9, v9;
	;;#ASMEND
	;; [unrolled: 3-line block ×4, first 2 shown]
	v_fmac_f32_e32 v22, v10, v21
	v_fmac_f32_e32 v25, v9, v1
	v_lshlrev_b32_e32 v1, 2, v20
	v_xor_b32_e32 v10, 1, v11
	s_delay_alu instid0(VALU_DEP_3) | instskip(NEXT) | instid1(VALU_DEP_2)
	v_add_f32_e32 v9, v22, v25
	v_cmp_gt_i32_e64 s1, 32, v10
	ds_bpermute_b32 v1, v1, v9
	v_cndmask_b32_e64 v10, v11, v10, s1
	s_waitcnt lgkmcnt(0)
	v_add_f32_e32 v1, v9, v1
	s_delay_alu instid0(VALU_DEP_2)
	v_lshlrev_b32_e32 v9, 2, v10
	ds_bpermute_b32 v9, v9, v1
	s_and_saveexec_b32 s3, vcc_lo
	s_cbranch_execz .LBB304_9
; %bb.235:                              ;   in Loop: Header=BB304_10 Depth=1
	v_add_nc_u32_e32 v10, s37, v17
	v_cmp_gt_i32_e64 s1, s33, v17
	s_waitcnt lgkmcnt(0)
	v_add_f32_e32 v1, v1, v9
	s_delay_alu instid0(VALU_DEP_3) | instskip(NEXT) | instid1(VALU_DEP_1)
	v_cvt_f32_i32_e32 v10, v10
	v_mul_f32_e32 v10, s12, v10
	s_delay_alu instid0(VALU_DEP_1) | instskip(SKIP_1) | instid1(VALU_DEP_2)
	v_cndmask_b32_e64 v9, 0, v10, s0
	v_max_f32_e32 v10, v13, v13
	v_fmac_f32_e32 v9, s13, v1
	s_delay_alu instid0(VALU_DEP_1) | instskip(SKIP_1) | instid1(VALU_DEP_2)
	v_max_f32_e32 v1, v10, v9
	v_cndmask_b32_e64 v9, 0, v9, s1
	v_cndmask_b32_e64 v13, v13, v1, s1
	ds_store_b32 v18, v9
	s_branch .LBB304_9
.LBB304_236:
	s_or_b32 exec_lo, exec_lo, s38
.LBB304_237:
	s_delay_alu instid0(SALU_CYCLE_1) | instskip(SKIP_4) | instid1(VALU_DEP_4)
	s_or_b32 exec_lo, exec_lo, s21
	v_xor_b32_e32 v1, 16, v11
	v_xor_b32_e32 v3, 8, v11
	v_max_f32_e32 v7, v13, v13
	v_and_b32_e32 v17, 31, v0
	v_cmp_lt_i32_e32 vcc_lo, v1, v12
	v_cndmask_b32_e32 v1, v11, v1, vcc_lo
	v_cmp_lt_i32_e32 vcc_lo, v3, v12
	v_cndmask_b32_e32 v3, v11, v3, vcc_lo
	s_delay_alu instid0(VALU_DEP_1) | instskip(NEXT) | instid1(VALU_DEP_4)
	v_lshlrev_b32_e32 v4, 2, v3
	v_lshlrev_b32_e32 v2, 2, v1
	ds_bpermute_b32 v1, v2, v13
	s_waitcnt lgkmcnt(0)
	v_max_f32_e32 v1, v1, v1
	s_delay_alu instid0(VALU_DEP_1)
	v_max_f32_e32 v1, v7, v1
	v_xor_b32_e32 v7, 4, v11
	ds_bpermute_b32 v3, v4, v1
	v_cmp_lt_i32_e32 vcc_lo, v7, v12
	v_cndmask_b32_e32 v7, v11, v7, vcc_lo
	v_cmp_eq_u32_e32 vcc_lo, 0, v17
	s_delay_alu instid0(VALU_DEP_2) | instskip(SKIP_3) | instid1(VALU_DEP_1)
	v_lshlrev_b32_e32 v9, 2, v7
	v_lshlrev_b32_e32 v7, 2, v16
	s_waitcnt lgkmcnt(0)
	v_max_f32_e32 v3, v3, v3
	v_max_f32_e32 v1, v1, v3
	ds_bpermute_b32 v3, v9, v1
	s_and_saveexec_b32 s0, vcc_lo
	s_cbranch_execz .LBB304_239
; %bb.238:
	s_waitcnt lgkmcnt(0)
	v_max_f32_e32 v3, v3, v3
	v_max_f32_e32 v1, v1, v1
	s_delay_alu instid0(VALU_DEP_1)
	v_max_f32_e32 v1, v1, v3
	ds_store_b32 v7, v1 offset:224
.LBB304_239:
	s_or_b32 exec_lo, exec_lo, s0
	v_cmp_gt_u32_e64 s0, 4, v17
	v_dual_mov_b32 v1, 0xff7fffff :: v_dual_lshlrev_b32 v8, 2, v17
	s_waitcnt lgkmcnt(0)
	s_barrier
	buffer_gl0_inv
	s_and_saveexec_b32 s1, s0
	s_cbranch_execz .LBB304_241
; %bb.240:
	ds_load_b32 v1, v8 offset:224
.LBB304_241:
	s_or_b32 exec_lo, exec_lo, s1
	v_xor_b32_e32 v3, 2, v11
	v_xor_b32_e32 v13, 1, v11
	s_delay_alu instid0(VALU_DEP_2) | instskip(NEXT) | instid1(VALU_DEP_1)
	v_cmp_lt_i32_e64 s1, v3, v12
	v_cndmask_b32_e64 v3, v11, v3, s1
	s_delay_alu instid0(VALU_DEP_3) | instskip(NEXT) | instid1(VALU_DEP_2)
	v_cmp_lt_i32_e64 s1, v13, v12
	v_lshlrev_b32_e32 v10, 2, v3
	s_delay_alu instid0(VALU_DEP_2)
	v_cndmask_b32_e64 v12, v11, v13, s1
	v_lshlrev_b32_e32 v11, 2, v11
	s_sub_i32 s1, s23, s11
	v_mov_b32_e32 v13, 0
	s_waitcnt lgkmcnt(0)
	ds_bpermute_b32 v3, v10, v1
	v_max_f32_e32 v1, v1, v1
	v_and_b32_e32 v11, 0xffffff80, v11
	s_lshl_b32 s1, s1, 3
	v_lshlrev_b32_e32 v12, 2, v12
	s_add_i32 s1, s1, s36
	s_delay_alu instid0(SALU_CYCLE_1) | instskip(NEXT) | instid1(SALU_CYCLE_1)
	s_min_i32 s1, s1, s33
	s_sub_i32 s4, s1, s36
	s_delay_alu instid0(SALU_CYCLE_1) | instskip(SKIP_2) | instid1(VALU_DEP_1)
	v_cmp_gt_i32_e64 s1, s4, v0
	s_waitcnt lgkmcnt(0)
	v_max_f32_e32 v3, v3, v3
	v_max_f32_e32 v1, v1, v3
	ds_bpermute_b32 v3, v12, v1
	s_waitcnt lgkmcnt(0)
	v_max_f32_e32 v3, v3, v3
	s_delay_alu instid0(VALU_DEP_1)
	v_max_f32_e32 v1, v1, v3
	v_lshl_add_u32 v3, v0, 2, 0x100
	ds_bpermute_b32 v1, v11, v1
	s_and_saveexec_b32 s5, s1
	s_cbranch_execz .LBB304_245
; %bb.242:
	v_lshl_add_u32 v14, v0, 2, 0x100
	v_mov_b32_e32 v13, 0
	v_mov_b32_e32 v15, v0
	s_mov_b32 s11, 0
	.p2align	6
.LBB304_243:                            ; =>This Inner Loop Header: Depth=1
	ds_load_b32 v18, v14
	v_add_nc_u32_e32 v15, 0x80, v15
	s_delay_alu instid0(VALU_DEP_1) | instskip(NEXT) | instid1(VALU_DEP_1)
	v_cmp_le_i32_e64 s3, s4, v15
	s_or_b32 s11, s3, s11
	s_waitcnt lgkmcnt(0)
	v_sub_f32_e32 v18, v18, v1
	s_delay_alu instid0(VALU_DEP_1) | instskip(NEXT) | instid1(VALU_DEP_1)
	v_mul_f32_e32 v18, 0x3fb8aa3b, v18
	v_exp_f32_e32 v18, v18
	ds_store_b32 v14, v18
	v_add_f32_e32 v13, v13, v18
	v_add_nc_u32_e32 v14, 0x200, v14
	s_and_not1_b32 exec_lo, exec_lo, s11
	s_cbranch_execnz .LBB304_243
; %bb.244:
	s_or_b32 exec_lo, exec_lo, s11
.LBB304_245:
	s_delay_alu instid0(SALU_CYCLE_1)
	s_or_b32 exec_lo, exec_lo, s5
	ds_bpermute_b32 v2, v2, v13
	s_waitcnt lgkmcnt(0)
	v_add_f32_e32 v2, v13, v2
	ds_bpermute_b32 v4, v4, v2
	s_waitcnt lgkmcnt(0)
	v_add_f32_e32 v2, v2, v4
	;; [unrolled: 3-line block ×5, first 2 shown]
	s_and_saveexec_b32 s3, vcc_lo
	s_cbranch_execz .LBB304_247
; %bb.246:
	ds_store_b32 v7, v2 offset:240
.LBB304_247:
	s_or_b32 exec_lo, exec_lo, s3
	s_waitcnt lgkmcnt(0)
	s_barrier
	buffer_gl0_inv
	s_and_saveexec_b32 s3, s0
	s_cbranch_execz .LBB304_249
; %bb.248:
	ds_load_b32 v2, v8 offset:240
.LBB304_249:
	s_or_b32 exec_lo, exec_lo, s3
	s_waitcnt lgkmcnt(0)
	ds_bpermute_b32 v4, v10, v2
	s_waitcnt lgkmcnt(0)
	v_add_f32_e32 v2, v2, v4
	ds_bpermute_b32 v4, v12, v2
	s_waitcnt lgkmcnt(0)
	v_add_f32_e32 v2, v2, v4
	ds_bpermute_b32 v2, v11, v2
	s_and_saveexec_b32 s0, s1
	s_cbranch_execz .LBB304_252
; %bb.250:
	s_waitcnt lgkmcnt(0)
	v_add_f32_e32 v4, 0x358637bd, v2
	s_mov_b32 s1, 0
	s_delay_alu instid0(VALU_DEP_1) | instskip(SKIP_1) | instid1(VALU_DEP_2)
	v_div_scale_f32 v7, null, v4, v4, 1.0
	v_div_scale_f32 v10, vcc_lo, 1.0, v4, 1.0
	v_rcp_f32_e32 v8, v7
	s_waitcnt_depctr 0xfff
	v_fma_f32 v9, -v7, v8, 1.0
	s_delay_alu instid0(VALU_DEP_1) | instskip(NEXT) | instid1(VALU_DEP_1)
	v_fmac_f32_e32 v8, v9, v8
	v_mul_f32_e32 v9, v10, v8
	s_delay_alu instid0(VALU_DEP_1) | instskip(NEXT) | instid1(VALU_DEP_1)
	v_fma_f32 v11, -v7, v9, v10
	v_fmac_f32_e32 v9, v11, v8
	s_delay_alu instid0(VALU_DEP_1) | instskip(NEXT) | instid1(VALU_DEP_1)
	v_fma_f32 v7, -v7, v9, v10
	v_div_fmas_f32 v7, v7, v8, v9
	s_delay_alu instid0(VALU_DEP_1)
	v_div_fixup_f32 v4, v7, v4, 1.0
	v_mov_b32_e32 v7, v0
.LBB304_251:                            ; =>This Inner Loop Header: Depth=1
	ds_load_b32 v8, v3
	s_waitcnt lgkmcnt(0)
	v_dual_mul_f32 v8, v4, v8 :: v_dual_add_nc_u32 v7, 0x80, v7
	s_delay_alu instid0(VALU_DEP_1) | instskip(SKIP_3) | instid1(SALU_CYCLE_1)
	v_cmp_le_i32_e32 vcc_lo, s4, v7
	ds_store_b32 v3, v8
	v_add_nc_u32_e32 v3, 0x200, v3
	s_or_b32 s1, vcc_lo, s1
	s_and_not1_b32 exec_lo, exec_lo, s1
	s_cbranch_execnz .LBB304_251
.LBB304_252:
	s_or_b32 exec_lo, exec_lo, s0
	s_mul_i32 s0, s8, s14
	s_mov_b32 s12, 0
	s_mul_i32 s4, s0, s15
	s_mov_b32 s0, exec_lo
	s_waitcnt lgkmcnt(0)
	s_barrier
	buffer_gl0_inv
	v_cmpx_eq_u32_e32 0, v0
	s_cbranch_execz .LBB304_254
; %bb.253:
	s_ashr_i32 s5, s4, 31
	s_mul_i32 s38, s8, s26
	s_lshl_b64 s[14:15], s[4:5], 2
	v_mov_b32_e32 v3, 0
	s_add_u32 s1, s18, s14
	s_addc_u32 s3, s19, s15
	s_ashr_i32 s39, s38, 31
	s_delay_alu instid0(SALU_CYCLE_1) | instskip(NEXT) | instid1(SALU_CYCLE_1)
	s_lshl_b64 s[18:19], s[38:39], 2
	s_add_u32 s1, s1, s18
	s_addc_u32 s3, s3, s19
	s_ashr_i32 s21, s20, 31
	s_delay_alu instid0(SALU_CYCLE_1) | instskip(NEXT) | instid1(SALU_CYCLE_1)
	s_lshl_b64 s[38:39], s[20:21], 2
	s_add_u32 s40, s1, s38
	s_addc_u32 s41, s3, s39
	s_add_u32 s1, s16, s14
	s_addc_u32 s3, s17, s15
	;; [unrolled: 2-line block ×4, first 2 shown]
	s_clause 0x1
	global_store_b32 v3, v1, s[40:41]
	global_store_b32 v3, v2, s[14:15]
.LBB304_254:
	s_or_b32 exec_lo, exec_lo, s0
	s_mov_b32 s13, s12
	s_mov_b32 s14, s12
	;; [unrolled: 1-line block ×3, first 2 shown]
	v_dual_mov_b32 v1, s12 :: v_dual_mov_b32 v2, s13
	v_dual_mov_b32 v3, s14 :: v_dual_mov_b32 v4, s15
	s_and_saveexec_b32 s5, s2
	s_cbranch_execz .LBB304_508
; %bb.255:
	v_or_b32_e32 v1, 0x60, v17
	s_ashr_i32 s0, s10, 31
	s_mov_b32 s13, s12
	s_mov_b32 s14, s12
	;; [unrolled: 1-line block ×3, first 2 shown]
	v_cmp_gt_u32_e32 vcc_lo, 0x70, v1
	v_lshlrev_b32_e32 v19, 3, v1
	v_lshlrev_b64 v[1:2], 2, v[5:6]
	s_add_u32 s2, s34, s10
	s_addc_u32 s3, s35, s0
	s_lshl_b64 s[0:1], s[30:31], 2
	s_add_i32 s27, s27, -1
	s_add_u32 s0, s28, s0
	s_addc_u32 s1, s29, s1
	v_add_co_u32 v8, s0, s0, v1
	s_delay_alu instid0(VALU_DEP_1)
	v_add_co_ci_u32_e64 v9, s0, s1, v2, s0
	v_dual_mov_b32 v1, s12 :: v_dual_mov_b32 v4, s15
	v_dual_mov_b32 v7, 0 :: v_dual_lshlrev_b32 v18, 3, v17
	v_lshl_add_u32 v20, v16, 3, s36
	v_lshl_add_u32 v21, v16, 5, 0x100
	v_dual_mov_b32 v2, s13 :: v_dual_mov_b32 v3, s14
	s_mov_b32 s10, -1
	s_mov_b32 s11, 0xffffff
	s_mov_b32 s13, s33
	s_branch .LBB304_258
.LBB304_256:                            ;   in Loop: Header=BB304_258 Depth=1
	s_or_b32 exec_lo, exec_lo, s1
	;;#ASMSTART
	v_pk_mul_f16 v11, v25, v13;

	;;#ASMEND
	;;#ASMSTART
	v_pk_mul_f16 v12, v24, v12;

	;;#ASMEND
	;; [unrolled: 4-line block ×4, first 2 shown]
	;;#ASMSTART
	v_pk_add_f16 v11, v11, v12;

	;;#ASMEND
	;;#ASMSTART
	v_pk_add_f16 v6, v11, v6;

	;;#ASMEND
	;; [unrolled: 4-line block ×3, first 2 shown]
	v_and_b32_e32 v10, 0xffff, v6
	v_lshrrev_b32_e32 v6, 16, v6
	;;#ASMSTART
	v_cvt_f32_f16 v10, v10;
	;;#ASMEND
	;;#ASMSTART
	v_cvt_f32_f16 v6, v6;
	;;#ASMEND
	s_delay_alu instid0(VALU_DEP_1) | instskip(NEXT) | instid1(VALU_DEP_1)
	v_add_f32_e32 v6, v10, v6
	v_add_f32_e32 v4, v4, v6
.LBB304_257:                            ;   in Loop: Header=BB304_258 Depth=1
	s_or_b32 exec_lo, exec_lo, s14
	v_add_nc_u32_e32 v5, 4, v5
	v_add_co_u32 v8, s1, v8, 16
	v_add_nc_u32_e32 v20, 32, v20
	v_add_nc_u32_e32 v21, 0x80, v21
	s_delay_alu instid0(VALU_DEP_4) | instskip(SKIP_1) | instid1(VALU_DEP_2)
	v_cmp_le_i32_e64 s0, s23, v5
	v_add_co_ci_u32_e64 v9, s1, 0, v9, s1
	s_or_b32 s12, s0, s12
	s_delay_alu instid0(SALU_CYCLE_1)
	s_and_not1_b32 exec_lo, exec_lo, s12
	s_cbranch_execz .LBB304_507
.LBB304_258:                            ; =>This Inner Loop Header: Depth=1
	global_load_b32 v6, v[8:9], off
	ds_load_2addr_b64 v[12:15], v21 offset1:1
	ds_load_2addr_b64 v[28:31], v21 offset0:2 offset1:3
	s_mov_b32 s1, exec_lo
	s_waitcnt lgkmcnt(1)
	;;#ASMSTART
	v_cvt_f16_f32 v24, v12;

	;;#ASMEND
	;;#ASMSTART
	v_cvt_f16_f32 v22, v13;

	;;#ASMEND
	;; [unrolled: 4-line block ×4, first 2 shown]
	s_waitcnt lgkmcnt(0)
	;;#ASMSTART
	v_cvt_f16_f32 v28, v28;

	;;#ASMEND
	;;#ASMSTART
	v_cvt_f16_f32 v26, v29;

	;;#ASMEND
	;; [unrolled: 4-line block ×4, first 2 shown]
	v_mov_b32_e32 v31, 0
	s_waitcnt vmcnt(0)
	v_mad_i64_i32 v[10:11], null, v6, s9, s[2:3]
	s_delay_alu instid0(VALU_DEP_1) | instskip(NEXT) | instid1(VALU_DEP_1)
	v_add_co_u32 v12, s0, v10, v18
	v_add_co_ci_u32_e64 v13, s0, 0, v11, s0
	global_load_b64 v[14:15], v[12:13], off
	global_load_b32 v30, v7, s[6:7]
	s_waitcnt vmcnt(1)
	v_and_b32_e32 v6, 0xff, v14
	s_delay_alu instid0(VALU_DEP_1)
	v_cmpx_ne_u16_e32 0, v6
	s_cbranch_execz .LBB304_264
; %bb.259:                              ;   in Loop: Header=BB304_258 Depth=1
	v_bfrev_b32_e32 v31, 1
	s_mov_b32 s14, exec_lo
	v_cmpx_ne_u16_e32 0x80, v6
	s_cbranch_execz .LBB304_263
; %bb.260:                              ;   in Loop: Header=BB304_258 Depth=1
	v_and_b32_e32 v6, 0x7f, v14
	v_mov_b32_e32 v31, 0x7fc02000
	s_mov_b32 s15, exec_lo
	s_delay_alu instid0(VALU_DEP_2)
	v_cmpx_ne_u32_e32 0x7f, v6
	s_cbranch_execz .LBB304_262
; %bb.261:                              ;   in Loop: Header=BB304_258 Depth=1
	v_and_b32_e32 v31, 7, v14
	v_cmp_gt_u32_e64 s0, 8, v6
	v_lshrrev_b32_e32 v32, 3, v6
	s_delay_alu instid0(VALU_DEP_3) | instskip(NEXT) | instid1(VALU_DEP_1)
	v_clz_i32_u32_e32 v31, v31
	v_min_u32_e32 v31, 32, v31
	s_delay_alu instid0(VALU_DEP_1) | instskip(SKIP_1) | instid1(VALU_DEP_2)
	v_subrev_nc_u32_e32 v33, 28, v31
	v_sub_nc_u32_e32 v31, 29, v31
	v_cndmask_b32_e64 v6, 0, v33, s0
	s_delay_alu instid0(VALU_DEP_2) | instskip(NEXT) | instid1(VALU_DEP_2)
	v_cndmask_b32_e64 v33, v32, v31, s0
	v_lshlrev_b64 v[31:32], v6, v[14:15]
	v_lshlrev_b32_e32 v6, 8, v14
	s_delay_alu instid0(VALU_DEP_3) | instskip(NEXT) | instid1(VALU_DEP_3)
	v_lshl_add_u32 v32, v33, 10, 0x2000
	v_lshlrev_b32_e32 v31, 7, v31
	s_delay_alu instid0(VALU_DEP_2) | instskip(NEXT) | instid1(VALU_DEP_1)
	v_and_or_b32 v6, 0x8000, v6, v32
	v_and_or_b32 v6, 0x380, v31, v6
	s_delay_alu instid0(VALU_DEP_1)
	v_cvt_f32_f16_e32 v31, v6
.LBB304_262:                            ;   in Loop: Header=BB304_258 Depth=1
	s_or_b32 exec_lo, exec_lo, s15
.LBB304_263:                            ;   in Loop: Header=BB304_258 Depth=1
	s_delay_alu instid0(SALU_CYCLE_1)
	s_or_b32 exec_lo, exec_lo, s14
.LBB304_264:                            ;   in Loop: Header=BB304_258 Depth=1
	s_delay_alu instid0(SALU_CYCLE_1) | instskip(SKIP_3) | instid1(VALU_DEP_2)
	s_or_b32 exec_lo, exec_lo, s1
	v_lshrrev_b16 v6, 8, v14
	v_dual_mov_b32 v33, 0 :: v_dual_mov_b32 v32, 0
	s_mov_b32 s1, exec_lo
	v_cmpx_ne_u16_e32 0, v6
	s_cbranch_execz .LBB304_272
; %bb.265:                              ;   in Loop: Header=BB304_258 Depth=1
	v_bfrev_b32_e32 v32, 1
	s_mov_b32 s14, exec_lo
	v_cmpx_ne_u16_e32 0x80, v6
	s_cbranch_execz .LBB304_271
; %bb.266:                              ;   in Loop: Header=BB304_258 Depth=1
	v_and_b32_e32 v34, 0xffff, v6
	v_mov_b32_e32 v32, 0x7fc02000
	s_mov_b32 s15, exec_lo
	s_delay_alu instid0(VALU_DEP_2) | instskip(NEXT) | instid1(VALU_DEP_1)
	v_and_b32_e32 v35, 0x7f, v34
	v_cmpx_ne_u32_e32 0x7f, v35
	s_cbranch_execz .LBB304_270
; %bb.267:                              ;   in Loop: Header=BB304_258 Depth=1
	v_and_b32_e32 v6, 7, v34
	v_lshrrev_b32_e32 v32, 3, v35
	s_mov_b32 s16, exec_lo
	v_cmpx_gt_u32_e32 8, v35
; %bb.268:                              ;   in Loop: Header=BB304_258 Depth=1
	s_delay_alu instid0(VALU_DEP_3) | instskip(NEXT) | instid1(VALU_DEP_1)
	v_clz_i32_u32_e32 v32, v6
	v_min_u32_e32 v32, 32, v32
	s_delay_alu instid0(VALU_DEP_1) | instskip(SKIP_1) | instid1(VALU_DEP_2)
	v_subrev_nc_u32_e32 v35, 28, v32
	v_sub_nc_u32_e32 v32, 29, v32
	v_lshlrev_b64 v[35:36], v35, v[6:7]
	s_delay_alu instid0(VALU_DEP_1)
	v_and_b32_e32 v6, 7, v35
; %bb.269:                              ;   in Loop: Header=BB304_258 Depth=1
	s_or_b32 exec_lo, exec_lo, s16
	v_lshlrev_b32_e32 v34, 8, v34
	v_lshl_add_u32 v32, v32, 10, 0x2000
	s_delay_alu instid0(VALU_DEP_1) | instskip(NEXT) | instid1(VALU_DEP_1)
	v_and_or_b32 v32, 0x8000, v34, v32
	v_lshl_or_b32 v6, v6, 7, v32
	s_delay_alu instid0(VALU_DEP_1)
	v_cvt_f32_f16_e32 v32, v6
.LBB304_270:                            ;   in Loop: Header=BB304_258 Depth=1
	s_or_b32 exec_lo, exec_lo, s15
.LBB304_271:                            ;   in Loop: Header=BB304_258 Depth=1
	s_delay_alu instid0(SALU_CYCLE_1)
	s_or_b32 exec_lo, exec_lo, s14
.LBB304_272:                            ;   in Loop: Header=BB304_258 Depth=1
	s_delay_alu instid0(SALU_CYCLE_1) | instskip(SKIP_2) | instid1(VALU_DEP_1)
	s_or_b32 exec_lo, exec_lo, s1
	v_lshrrev_b32_e32 v34, 16, v14
	s_mov_b32 s1, exec_lo
	v_and_b32_e32 v6, 0xff, v34
	s_delay_alu instid0(VALU_DEP_1)
	v_cmpx_ne_u16_e32 0, v6
	s_cbranch_execz .LBB304_280
; %bb.273:                              ;   in Loop: Header=BB304_258 Depth=1
	v_bfrev_b32_e32 v33, 1
	s_mov_b32 s14, exec_lo
	v_cmpx_ne_u16_e32 0x80, v6
	s_cbranch_execz .LBB304_279
; %bb.274:                              ;   in Loop: Header=BB304_258 Depth=1
	v_bfe_u32 v35, v14, 16, 7
	v_mov_b32_e32 v33, 0x7fc02000
	s_mov_b32 s15, exec_lo
	s_delay_alu instid0(VALU_DEP_2)
	v_cmpx_ne_u32_e32 0x7f, v35
	s_cbranch_execz .LBB304_278
; %bb.275:                              ;   in Loop: Header=BB304_258 Depth=1
	v_and_b32_e32 v6, 7, v34
	v_lshrrev_b32_e32 v33, 3, v35
	s_mov_b32 s16, exec_lo
	v_cmpx_gt_u32_e32 8, v35
; %bb.276:                              ;   in Loop: Header=BB304_258 Depth=1
	s_delay_alu instid0(VALU_DEP_3) | instskip(NEXT) | instid1(VALU_DEP_1)
	v_clz_i32_u32_e32 v33, v6
	v_min_u32_e32 v33, 32, v33
	s_delay_alu instid0(VALU_DEP_1) | instskip(SKIP_1) | instid1(VALU_DEP_2)
	v_subrev_nc_u32_e32 v35, 28, v33
	v_sub_nc_u32_e32 v33, 29, v33
	v_lshlrev_b64 v[35:36], v35, v[6:7]
	s_delay_alu instid0(VALU_DEP_1)
	v_and_b32_e32 v6, 7, v35
; %bb.277:                              ;   in Loop: Header=BB304_258 Depth=1
	s_or_b32 exec_lo, exec_lo, s16
	v_lshlrev_b32_e32 v34, 8, v34
	v_lshl_add_u32 v33, v33, 10, 0x2000
	s_delay_alu instid0(VALU_DEP_1) | instskip(NEXT) | instid1(VALU_DEP_1)
	v_and_or_b32 v33, 0x8000, v34, v33
	v_lshl_or_b32 v6, v6, 7, v33
	s_delay_alu instid0(VALU_DEP_1)
	v_cvt_f32_f16_e32 v33, v6
.LBB304_278:                            ;   in Loop: Header=BB304_258 Depth=1
	s_or_b32 exec_lo, exec_lo, s15
.LBB304_279:                            ;   in Loop: Header=BB304_258 Depth=1
	s_delay_alu instid0(SALU_CYCLE_1)
	s_or_b32 exec_lo, exec_lo, s14
.LBB304_280:                            ;   in Loop: Header=BB304_258 Depth=1
	s_delay_alu instid0(SALU_CYCLE_1)
	s_or_b32 exec_lo, exec_lo, s1
	v_dual_mov_b32 v34, 0 :: v_dual_mov_b32 v35, 0
	s_mov_b32 s1, exec_lo
	v_cmpx_lt_u32_e32 0xffffff, v14
	s_cbranch_execz .LBB304_288
; %bb.281:                              ;   in Loop: Header=BB304_258 Depth=1
	v_lshrrev_b32_e32 v36, 24, v14
	v_bfrev_b32_e32 v35, 1
	s_mov_b32 s14, exec_lo
	s_delay_alu instid0(VALU_DEP_2)
	v_cmpx_ne_u32_e32 0x80, v36
	s_cbranch_execz .LBB304_287
; %bb.282:                              ;   in Loop: Header=BB304_258 Depth=1
	v_and_b32_e32 v37, 0x7f, v36
	v_mov_b32_e32 v35, 0x7fc02000
	s_mov_b32 s15, exec_lo
	s_delay_alu instid0(VALU_DEP_2)
	v_cmpx_ne_u32_e32 0x7f, v37
	s_cbranch_execz .LBB304_286
; %bb.283:                              ;   in Loop: Header=BB304_258 Depth=1
	v_and_b32_e32 v6, 7, v36
	v_lshrrev_b32_e32 v35, 3, v37
	s_mov_b32 s16, exec_lo
	v_cmpx_gt_u32_e32 8, v37
; %bb.284:                              ;   in Loop: Header=BB304_258 Depth=1
	s_delay_alu instid0(VALU_DEP_3) | instskip(NEXT) | instid1(VALU_DEP_1)
	v_clz_i32_u32_e32 v35, v6
	v_min_u32_e32 v35, 32, v35
	s_delay_alu instid0(VALU_DEP_1) | instskip(SKIP_1) | instid1(VALU_DEP_2)
	v_subrev_nc_u32_e32 v37, 28, v35
	v_sub_nc_u32_e32 v35, 29, v35
	v_lshlrev_b64 v[37:38], v37, v[6:7]
	s_delay_alu instid0(VALU_DEP_1)
	v_and_b32_e32 v6, 7, v37
; %bb.285:                              ;   in Loop: Header=BB304_258 Depth=1
	s_or_b32 exec_lo, exec_lo, s16
	v_lshlrev_b32_e32 v36, 8, v36
	v_lshl_add_u32 v35, v35, 10, 0x2000
	s_delay_alu instid0(VALU_DEP_1) | instskip(NEXT) | instid1(VALU_DEP_1)
	v_and_or_b32 v35, 0x8000, v36, v35
	v_lshl_or_b32 v6, v6, 7, v35
	s_delay_alu instid0(VALU_DEP_1)
	v_cvt_f32_f16_e32 v35, v6
.LBB304_286:                            ;   in Loop: Header=BB304_258 Depth=1
	s_or_b32 exec_lo, exec_lo, s15
.LBB304_287:                            ;   in Loop: Header=BB304_258 Depth=1
	s_delay_alu instid0(SALU_CYCLE_1)
	s_or_b32 exec_lo, exec_lo, s14
.LBB304_288:                            ;   in Loop: Header=BB304_258 Depth=1
	s_delay_alu instid0(SALU_CYCLE_1) | instskip(SKIP_3) | instid1(VALU_DEP_2)
	s_or_b32 exec_lo, exec_lo, s1
	v_and_b32_e32 v36, 0xff, v15
	v_mov_b32_e32 v6, v15
	s_mov_b32 s1, exec_lo
	v_cmpx_ne_u16_e32 0, v36
	s_cbranch_execz .LBB304_294
; %bb.289:                              ;   in Loop: Header=BB304_258 Depth=1
	v_bfrev_b32_e32 v34, 1
	s_mov_b32 s14, exec_lo
	v_cmpx_ne_u16_e32 0x80, v36
	s_cbranch_execz .LBB304_293
; %bb.290:                              ;   in Loop: Header=BB304_258 Depth=1
	v_and_b32_e32 v36, 0x7f, v15
	v_mov_b32_e32 v34, 0x7fc02000
	s_mov_b32 s15, exec_lo
	s_delay_alu instid0(VALU_DEP_2)
	v_cmpx_ne_u32_e32 0x7f, v36
	s_cbranch_execz .LBB304_292
; %bb.291:                              ;   in Loop: Header=BB304_258 Depth=1
	v_and_b32_e32 v34, 7, v15
	v_cmp_gt_u32_e64 s0, 8, v36
	v_lshrrev_b32_e32 v37, 3, v36
	s_delay_alu instid0(VALU_DEP_3) | instskip(NEXT) | instid1(VALU_DEP_1)
	v_clz_i32_u32_e32 v34, v34
	v_min_u32_e32 v34, 32, v34
	s_delay_alu instid0(VALU_DEP_1) | instskip(SKIP_1) | instid1(VALU_DEP_2)
	v_subrev_nc_u32_e32 v38, 28, v34
	v_sub_nc_u32_e32 v34, 29, v34
	v_cndmask_b32_e64 v36, 0, v38, s0
	s_delay_alu instid0(VALU_DEP_2) | instskip(NEXT) | instid1(VALU_DEP_2)
	v_cndmask_b32_e64 v34, v37, v34, s0
	v_lshlrev_b64 v[36:37], v36, v[6:7]
	v_lshlrev_b32_e32 v37, 8, v15
	s_delay_alu instid0(VALU_DEP_3) | instskip(NEXT) | instid1(VALU_DEP_3)
	v_lshl_add_u32 v34, v34, 10, 0x2000
	v_lshlrev_b32_e32 v36, 7, v36
	s_delay_alu instid0(VALU_DEP_2) | instskip(NEXT) | instid1(VALU_DEP_1)
	v_and_or_b32 v34, 0x8000, v37, v34
	v_and_or_b32 v34, 0x380, v36, v34
	s_delay_alu instid0(VALU_DEP_1)
	v_cvt_f32_f16_e32 v34, v34
.LBB304_292:                            ;   in Loop: Header=BB304_258 Depth=1
	s_or_b32 exec_lo, exec_lo, s15
.LBB304_293:                            ;   in Loop: Header=BB304_258 Depth=1
	s_delay_alu instid0(SALU_CYCLE_1)
	s_or_b32 exec_lo, exec_lo, s14
.LBB304_294:                            ;   in Loop: Header=BB304_258 Depth=1
	s_delay_alu instid0(SALU_CYCLE_1) | instskip(SKIP_3) | instid1(VALU_DEP_2)
	s_or_b32 exec_lo, exec_lo, s1
	v_lshrrev_b16 v6, 8, v6
	v_dual_mov_b32 v36, 0 :: v_dual_mov_b32 v37, 0
	s_mov_b32 s1, exec_lo
	v_cmpx_ne_u16_e32 0, v6
	s_cbranch_execz .LBB304_302
; %bb.295:                              ;   in Loop: Header=BB304_258 Depth=1
	v_bfrev_b32_e32 v37, 1
	s_mov_b32 s14, exec_lo
	v_cmpx_ne_u16_e32 0x80, v6
	s_cbranch_execz .LBB304_301
; %bb.296:                              ;   in Loop: Header=BB304_258 Depth=1
	v_and_b32_e32 v38, 0xffff, v6
	v_mov_b32_e32 v37, 0x7fc02000
	s_mov_b32 s15, exec_lo
	s_delay_alu instid0(VALU_DEP_2) | instskip(NEXT) | instid1(VALU_DEP_1)
	v_and_b32_e32 v39, 0x7f, v38
	v_cmpx_ne_u32_e32 0x7f, v39
	s_cbranch_execz .LBB304_300
; %bb.297:                              ;   in Loop: Header=BB304_258 Depth=1
	v_and_b32_e32 v6, 7, v38
	v_lshrrev_b32_e32 v37, 3, v39
	s_mov_b32 s16, exec_lo
	v_cmpx_gt_u32_e32 8, v39
; %bb.298:                              ;   in Loop: Header=BB304_258 Depth=1
	s_delay_alu instid0(VALU_DEP_3) | instskip(NEXT) | instid1(VALU_DEP_1)
	v_clz_i32_u32_e32 v37, v6
	v_min_u32_e32 v37, 32, v37
	s_delay_alu instid0(VALU_DEP_1) | instskip(SKIP_1) | instid1(VALU_DEP_2)
	v_subrev_nc_u32_e32 v39, 28, v37
	v_sub_nc_u32_e32 v37, 29, v37
	v_lshlrev_b64 v[39:40], v39, v[6:7]
	s_delay_alu instid0(VALU_DEP_1)
	v_and_b32_e32 v6, 7, v39
; %bb.299:                              ;   in Loop: Header=BB304_258 Depth=1
	s_or_b32 exec_lo, exec_lo, s16
	v_lshlrev_b32_e32 v38, 8, v38
	v_lshl_add_u32 v37, v37, 10, 0x2000
	s_delay_alu instid0(VALU_DEP_1) | instskip(NEXT) | instid1(VALU_DEP_1)
	v_and_or_b32 v37, 0x8000, v38, v37
	v_lshl_or_b32 v6, v6, 7, v37
	s_delay_alu instid0(VALU_DEP_1)
	v_cvt_f32_f16_e32 v37, v6
.LBB304_300:                            ;   in Loop: Header=BB304_258 Depth=1
	s_or_b32 exec_lo, exec_lo, s15
.LBB304_301:                            ;   in Loop: Header=BB304_258 Depth=1
	s_delay_alu instid0(SALU_CYCLE_1)
	s_or_b32 exec_lo, exec_lo, s14
.LBB304_302:                            ;   in Loop: Header=BB304_258 Depth=1
	s_delay_alu instid0(SALU_CYCLE_1) | instskip(SKIP_2) | instid1(VALU_DEP_1)
	s_or_b32 exec_lo, exec_lo, s1
	v_lshrrev_b32_e32 v38, 16, v15
	s_mov_b32 s1, exec_lo
	v_and_b32_e32 v6, 0xff, v38
	s_delay_alu instid0(VALU_DEP_1)
	v_cmpx_ne_u16_e32 0, v6
	s_cbranch_execz .LBB304_310
; %bb.303:                              ;   in Loop: Header=BB304_258 Depth=1
	v_bfrev_b32_e32 v36, 1
	s_mov_b32 s14, exec_lo
	v_cmpx_ne_u16_e32 0x80, v6
	s_cbranch_execz .LBB304_309
; %bb.304:                              ;   in Loop: Header=BB304_258 Depth=1
	v_bfe_u32 v39, v15, 16, 7
	v_mov_b32_e32 v36, 0x7fc02000
	s_mov_b32 s15, exec_lo
	s_delay_alu instid0(VALU_DEP_2)
	v_cmpx_ne_u32_e32 0x7f, v39
	s_cbranch_execz .LBB304_308
; %bb.305:                              ;   in Loop: Header=BB304_258 Depth=1
	v_and_b32_e32 v6, 7, v38
	v_lshrrev_b32_e32 v36, 3, v39
	s_mov_b32 s16, exec_lo
	v_cmpx_gt_u32_e32 8, v39
; %bb.306:                              ;   in Loop: Header=BB304_258 Depth=1
	s_delay_alu instid0(VALU_DEP_3) | instskip(NEXT) | instid1(VALU_DEP_1)
	v_clz_i32_u32_e32 v36, v6
	v_min_u32_e32 v36, 32, v36
	s_delay_alu instid0(VALU_DEP_1) | instskip(SKIP_1) | instid1(VALU_DEP_2)
	v_subrev_nc_u32_e32 v39, 28, v36
	v_sub_nc_u32_e32 v36, 29, v36
	v_lshlrev_b64 v[39:40], v39, v[6:7]
	s_delay_alu instid0(VALU_DEP_1)
	v_and_b32_e32 v6, 7, v39
; %bb.307:                              ;   in Loop: Header=BB304_258 Depth=1
	s_or_b32 exec_lo, exec_lo, s16
	v_lshlrev_b32_e32 v38, 8, v38
	v_lshl_add_u32 v36, v36, 10, 0x2000
	s_delay_alu instid0(VALU_DEP_1) | instskip(NEXT) | instid1(VALU_DEP_1)
	v_and_or_b32 v36, 0x8000, v38, v36
	v_lshl_or_b32 v6, v6, 7, v36
	s_delay_alu instid0(VALU_DEP_1)
	v_cvt_f32_f16_e32 v36, v6
.LBB304_308:                            ;   in Loop: Header=BB304_258 Depth=1
	s_or_b32 exec_lo, exec_lo, s15
.LBB304_309:                            ;   in Loop: Header=BB304_258 Depth=1
	s_delay_alu instid0(SALU_CYCLE_1)
	s_or_b32 exec_lo, exec_lo, s14
.LBB304_310:                            ;   in Loop: Header=BB304_258 Depth=1
	s_delay_alu instid0(SALU_CYCLE_1)
	s_or_b32 exec_lo, exec_lo, s1
	v_mov_b32_e32 v6, 0
	s_mov_b32 s1, exec_lo
	v_cmpx_lt_u64_e64 s[10:11], v[14:15]
	s_cbranch_execz .LBB304_318
; %bb.311:                              ;   in Loop: Header=BB304_258 Depth=1
	v_lshrrev_b32_e32 v14, 24, v15
	v_bfrev_b32_e32 v6, 1
	s_mov_b32 s14, exec_lo
	s_delay_alu instid0(VALU_DEP_2)
	v_cmpx_ne_u32_e32 0x80, v14
	s_cbranch_execz .LBB304_317
; %bb.312:                              ;   in Loop: Header=BB304_258 Depth=1
	v_and_b32_e32 v38, 0x7f, v14
	v_mov_b32_e32 v6, 0x7fc02000
	s_mov_b32 s15, exec_lo
	s_delay_alu instid0(VALU_DEP_2)
	v_cmpx_ne_u32_e32 0x7f, v38
	s_cbranch_execz .LBB304_316
; %bb.313:                              ;   in Loop: Header=BB304_258 Depth=1
	v_and_b32_e32 v6, 7, v14
	v_lshrrev_b32_e32 v15, 3, v38
	s_mov_b32 s16, exec_lo
	v_cmpx_gt_u32_e32 8, v38
; %bb.314:                              ;   in Loop: Header=BB304_258 Depth=1
	s_delay_alu instid0(VALU_DEP_3) | instskip(NEXT) | instid1(VALU_DEP_1)
	v_clz_i32_u32_e32 v15, v6
	v_min_u32_e32 v15, 32, v15
	s_delay_alu instid0(VALU_DEP_1) | instskip(SKIP_1) | instid1(VALU_DEP_2)
	v_subrev_nc_u32_e32 v38, 28, v15
	v_sub_nc_u32_e32 v15, 29, v15
	v_lshlrev_b64 v[38:39], v38, v[6:7]
	s_delay_alu instid0(VALU_DEP_1)
	v_and_b32_e32 v6, 7, v38
; %bb.315:                              ;   in Loop: Header=BB304_258 Depth=1
	s_or_b32 exec_lo, exec_lo, s16
	v_lshlrev_b32_e32 v14, 8, v14
	v_lshl_add_u32 v15, v15, 10, 0x2000
	s_delay_alu instid0(VALU_DEP_1) | instskip(NEXT) | instid1(VALU_DEP_1)
	v_and_or_b32 v14, 0x8000, v14, v15
	v_lshl_or_b32 v6, v6, 7, v14
	s_delay_alu instid0(VALU_DEP_1)
	v_cvt_f32_f16_e32 v6, v6
.LBB304_316:                            ;   in Loop: Header=BB304_258 Depth=1
	s_or_b32 exec_lo, exec_lo, s15
.LBB304_317:                            ;   in Loop: Header=BB304_258 Depth=1
	s_delay_alu instid0(SALU_CYCLE_1)
	s_or_b32 exec_lo, exec_lo, s14
.LBB304_318:                            ;   in Loop: Header=BB304_258 Depth=1
	s_delay_alu instid0(SALU_CYCLE_1)
	s_or_b32 exec_lo, exec_lo, s1
	s_waitcnt vmcnt(0)
	v_fma_mixlo_f16 v14, v30, v35, 0
	v_fma_mixlo_f16 v15, v30, v33, 0
	;; [unrolled: 1-line block ×8, first 2 shown]
	v_lshlrev_b32_e32 v14, 16, v14
	v_and_b32_e32 v15, 0xffff, v15
	v_lshlrev_b32_e32 v32, 16, v32
	v_and_b32_e32 v31, 0xffff, v31
	;; [unrolled: 2-line block ×4, first 2 shown]
	v_cmp_eq_u32_e64 s0, s27, v5
	v_or_b32_e32 v15, v14, v15
	v_or_b32_e32 v31, v32, v31
	;; [unrolled: 1-line block ×4, first 2 shown]
	s_and_saveexec_b32 s14, s0
	s_cbranch_execz .LBB304_320
; %bb.319:                              ;   in Loop: Header=BB304_258 Depth=1
	v_add_nc_u32_e32 v32, 1, v20
	v_lshrrev_b32_e32 v33, 16, v31
	v_or_b32_e32 v34, 3, v20
	v_lshrrev_b32_e32 v35, 16, v15
	v_lshrrev_b32_e32 v36, 16, v6
	v_cmp_gt_i32_e64 s1, s13, v32
	v_lshrrev_b32_e32 v14, 16, v14
	v_or_b32_e32 v37, 6, v20
	s_delay_alu instid0(VALU_DEP_3) | instskip(SKIP_2) | instid1(VALU_DEP_2)
	v_cndmask_b32_e64 v32, 0, v33, s1
	v_cmp_gt_i32_e64 s1, s33, v20
	v_or_b32_e32 v33, 2, v20
	v_cndmask_b32_e64 v31, 0, v31, s1
	v_cmp_gt_i32_e64 s1, s13, v34
	s_delay_alu instid0(VALU_DEP_2) | instskip(NEXT) | instid1(VALU_DEP_2)
	v_perm_b32 v31, v32, v31, 0x5040100
	v_cndmask_b32_e64 v34, 0, v35, s1
	v_or_b32_e32 v35, 5, v20
	v_cmp_gt_i32_e64 s1, s33, v33
	v_or_b32_e32 v33, 4, v20
	s_delay_alu instid0(VALU_DEP_2) | instskip(NEXT) | instid1(VALU_DEP_4)
	v_cndmask_b32_e64 v15, 0, v15, s1
	v_cmp_gt_i32_e64 s1, s13, v35
	s_delay_alu instid0(VALU_DEP_2) | instskip(NEXT) | instid1(VALU_DEP_2)
	v_perm_b32 v15, v34, v15, 0x5040100
	v_cndmask_b32_e64 v35, 0, v36, s1
	v_or_b32_e32 v36, 7, v20
	v_cmp_gt_i32_e64 s1, s33, v33
	s_delay_alu instid0(VALU_DEP_1) | instskip(NEXT) | instid1(VALU_DEP_3)
	v_cndmask_b32_e64 v6, 0, v6, s1
	v_cmp_gt_i32_e64 s1, s13, v36
	s_delay_alu instid0(VALU_DEP_2) | instskip(NEXT) | instid1(VALU_DEP_2)
	v_perm_b32 v6, v35, v6, 0x5040100
	v_cndmask_b32_e64 v14, 0, v14, s1
	v_cmp_gt_i32_e64 s1, s33, v37
	s_delay_alu instid0(VALU_DEP_1) | instskip(NEXT) | instid1(VALU_DEP_1)
	v_cndmask_b32_e64 v30, 0, v30, s1
	v_perm_b32 v14, v14, v30, 0x5040100
.LBB304_320:                            ;   in Loop: Header=BB304_258 Depth=1
	s_or_b32 exec_lo, exec_lo, s14
	v_and_b32_e32 v24, 0xffff, v24
	v_and_b32_e32 v30, 0xffff, v25
	v_and_b32_e32 v28, 0xffff, v28
	v_and_b32_e32 v29, 0xffff, v29
	s_mov_b32 s14, exec_lo
	v_lshl_or_b32 v25, v22, 16, v24
	v_lshl_or_b32 v24, v23, 16, v30
	v_mov_b32_e32 v30, 0
	v_lshl_or_b32 v23, v26, 16, v28
	;;#ASMSTART
	v_pk_mul_f16 v26, v25, v31;

	;;#ASMEND
	;;#ASMSTART
	v_pk_mul_f16 v15, v24, v15;

	;;#ASMEND
	;; [unrolled: 4-line block ×3, first 2 shown]
	v_lshl_or_b32 v22, v27, 16, v29
	;;#ASMSTART
	v_pk_mul_f16 v14, v22, v14;

	;;#ASMEND
	;;#ASMSTART
	v_pk_add_f16 v15, v26, v15;

	;;#ASMEND
	;;#ASMSTART
	v_pk_add_f16 v6, v15, v6;
	;; [unrolled: 4-line block ×3, first 2 shown]

	;;#ASMEND
	v_and_b32_e32 v14, 0xffff, v6
	v_lshrrev_b32_e32 v6, 16, v6
	;;#ASMSTART
	v_cvt_f32_f16 v26, v14;
	;;#ASMEND
	;;#ASMSTART
	v_cvt_f32_f16 v27, v6;
	;;#ASMEND
	global_load_b64 v[14:15], v[12:13], off offset:256
	global_load_b32 v28, v7, s[6:7]
	s_waitcnt vmcnt(1)
	v_dual_mov_b32 v29, 0 :: v_dual_and_b32 v6, 0xff, v14
	s_delay_alu instid0(VALU_DEP_1)
	v_cmpx_ne_u16_e32 0, v6
	s_cbranch_execz .LBB304_326
; %bb.321:                              ;   in Loop: Header=BB304_258 Depth=1
	v_bfrev_b32_e32 v29, 1
	s_mov_b32 s15, exec_lo
	v_cmpx_ne_u16_e32 0x80, v6
	s_cbranch_execz .LBB304_325
; %bb.322:                              ;   in Loop: Header=BB304_258 Depth=1
	v_and_b32_e32 v6, 0x7f, v14
	v_mov_b32_e32 v29, 0x7fc02000
	s_mov_b32 s16, exec_lo
	s_delay_alu instid0(VALU_DEP_2)
	v_cmpx_ne_u32_e32 0x7f, v6
	s_cbranch_execz .LBB304_324
; %bb.323:                              ;   in Loop: Header=BB304_258 Depth=1
	v_and_b32_e32 v29, 7, v14
	v_cmp_gt_u32_e64 s1, 8, v6
	v_lshrrev_b32_e32 v31, 3, v6
	s_delay_alu instid0(VALU_DEP_3) | instskip(NEXT) | instid1(VALU_DEP_1)
	v_clz_i32_u32_e32 v29, v29
	v_min_u32_e32 v29, 32, v29
	s_delay_alu instid0(VALU_DEP_1) | instskip(SKIP_1) | instid1(VALU_DEP_2)
	v_subrev_nc_u32_e32 v32, 28, v29
	v_sub_nc_u32_e32 v29, 29, v29
	v_cndmask_b32_e64 v6, 0, v32, s1
	s_delay_alu instid0(VALU_DEP_2) | instskip(NEXT) | instid1(VALU_DEP_2)
	v_cndmask_b32_e64 v29, v31, v29, s1
	v_lshlrev_b64 v[31:32], v6, v[14:15]
	v_lshlrev_b32_e32 v6, 8, v14
	s_delay_alu instid0(VALU_DEP_3) | instskip(NEXT) | instid1(VALU_DEP_3)
	v_lshl_add_u32 v29, v29, 10, 0x2000
	v_lshlrev_b32_e32 v31, 7, v31
	s_delay_alu instid0(VALU_DEP_2) | instskip(NEXT) | instid1(VALU_DEP_1)
	v_and_or_b32 v6, 0x8000, v6, v29
	v_and_or_b32 v6, 0x380, v31, v6
	s_delay_alu instid0(VALU_DEP_1)
	v_cvt_f32_f16_e32 v29, v6
.LBB304_324:                            ;   in Loop: Header=BB304_258 Depth=1
	s_or_b32 exec_lo, exec_lo, s16
.LBB304_325:                            ;   in Loop: Header=BB304_258 Depth=1
	s_delay_alu instid0(SALU_CYCLE_1)
	s_or_b32 exec_lo, exec_lo, s15
.LBB304_326:                            ;   in Loop: Header=BB304_258 Depth=1
	s_delay_alu instid0(SALU_CYCLE_1) | instskip(SKIP_2) | instid1(VALU_DEP_1)
	s_or_b32 exec_lo, exec_lo, s14
	v_lshrrev_b16 v6, 8, v14
	s_mov_b32 s14, exec_lo
	v_cmpx_ne_u16_e32 0, v6
	s_cbranch_execz .LBB304_334
; %bb.327:                              ;   in Loop: Header=BB304_258 Depth=1
	v_bfrev_b32_e32 v30, 1
	s_mov_b32 s15, exec_lo
	v_cmpx_ne_u16_e32 0x80, v6
	s_cbranch_execz .LBB304_333
; %bb.328:                              ;   in Loop: Header=BB304_258 Depth=1
	v_and_b32_e32 v31, 0xffff, v6
	v_mov_b32_e32 v30, 0x7fc02000
	s_mov_b32 s16, exec_lo
	s_delay_alu instid0(VALU_DEP_2) | instskip(NEXT) | instid1(VALU_DEP_1)
	v_and_b32_e32 v32, 0x7f, v31
	v_cmpx_ne_u32_e32 0x7f, v32
	s_cbranch_execz .LBB304_332
; %bb.329:                              ;   in Loop: Header=BB304_258 Depth=1
	v_and_b32_e32 v6, 7, v31
	v_lshrrev_b32_e32 v30, 3, v32
	s_mov_b32 s17, exec_lo
	v_cmpx_gt_u32_e32 8, v32
; %bb.330:                              ;   in Loop: Header=BB304_258 Depth=1
	s_delay_alu instid0(VALU_DEP_3) | instskip(NEXT) | instid1(VALU_DEP_1)
	v_clz_i32_u32_e32 v30, v6
	v_min_u32_e32 v30, 32, v30
	s_delay_alu instid0(VALU_DEP_1) | instskip(SKIP_1) | instid1(VALU_DEP_2)
	v_subrev_nc_u32_e32 v32, 28, v30
	v_sub_nc_u32_e32 v30, 29, v30
	v_lshlrev_b64 v[32:33], v32, v[6:7]
	s_delay_alu instid0(VALU_DEP_1)
	v_and_b32_e32 v6, 7, v32
; %bb.331:                              ;   in Loop: Header=BB304_258 Depth=1
	s_or_b32 exec_lo, exec_lo, s17
	v_lshlrev_b32_e32 v31, 8, v31
	v_lshl_add_u32 v30, v30, 10, 0x2000
	s_delay_alu instid0(VALU_DEP_1) | instskip(NEXT) | instid1(VALU_DEP_1)
	v_and_or_b32 v30, 0x8000, v31, v30
	v_lshl_or_b32 v6, v6, 7, v30
	s_delay_alu instid0(VALU_DEP_1)
	v_cvt_f32_f16_e32 v30, v6
.LBB304_332:                            ;   in Loop: Header=BB304_258 Depth=1
	s_or_b32 exec_lo, exec_lo, s16
.LBB304_333:                            ;   in Loop: Header=BB304_258 Depth=1
	s_delay_alu instid0(SALU_CYCLE_1)
	s_or_b32 exec_lo, exec_lo, s15
.LBB304_334:                            ;   in Loop: Header=BB304_258 Depth=1
	s_delay_alu instid0(SALU_CYCLE_1) | instskip(SKIP_3) | instid1(VALU_DEP_2)
	s_or_b32 exec_lo, exec_lo, s14
	v_lshrrev_b32_e32 v33, 16, v14
	v_mov_b32_e32 v32, 0
	s_mov_b32 s14, exec_lo
	v_dual_mov_b32 v31, 0 :: v_dual_and_b32 v6, 0xff, v33
	s_delay_alu instid0(VALU_DEP_1)
	v_cmpx_ne_u16_e32 0, v6
	s_cbranch_execz .LBB304_342
; %bb.335:                              ;   in Loop: Header=BB304_258 Depth=1
	v_bfrev_b32_e32 v31, 1
	s_mov_b32 s15, exec_lo
	v_cmpx_ne_u16_e32 0x80, v6
	s_cbranch_execz .LBB304_341
; %bb.336:                              ;   in Loop: Header=BB304_258 Depth=1
	v_bfe_u32 v34, v14, 16, 7
	v_mov_b32_e32 v31, 0x7fc02000
	s_mov_b32 s16, exec_lo
	s_delay_alu instid0(VALU_DEP_2)
	v_cmpx_ne_u32_e32 0x7f, v34
	s_cbranch_execz .LBB304_340
; %bb.337:                              ;   in Loop: Header=BB304_258 Depth=1
	v_and_b32_e32 v6, 7, v33
	v_lshrrev_b32_e32 v31, 3, v34
	s_mov_b32 s17, exec_lo
	v_cmpx_gt_u32_e32 8, v34
; %bb.338:                              ;   in Loop: Header=BB304_258 Depth=1
	s_delay_alu instid0(VALU_DEP_3) | instskip(NEXT) | instid1(VALU_DEP_1)
	v_clz_i32_u32_e32 v31, v6
	v_min_u32_e32 v31, 32, v31
	s_delay_alu instid0(VALU_DEP_1) | instskip(SKIP_1) | instid1(VALU_DEP_2)
	v_subrev_nc_u32_e32 v34, 28, v31
	v_sub_nc_u32_e32 v31, 29, v31
	v_lshlrev_b64 v[34:35], v34, v[6:7]
	s_delay_alu instid0(VALU_DEP_1)
	v_and_b32_e32 v6, 7, v34
; %bb.339:                              ;   in Loop: Header=BB304_258 Depth=1
	s_or_b32 exec_lo, exec_lo, s17
	v_lshlrev_b32_e32 v33, 8, v33
	v_lshl_add_u32 v31, v31, 10, 0x2000
	s_delay_alu instid0(VALU_DEP_1) | instskip(NEXT) | instid1(VALU_DEP_1)
	v_and_or_b32 v31, 0x8000, v33, v31
	v_lshl_or_b32 v6, v6, 7, v31
	s_delay_alu instid0(VALU_DEP_1)
	v_cvt_f32_f16_e32 v31, v6
.LBB304_340:                            ;   in Loop: Header=BB304_258 Depth=1
	s_or_b32 exec_lo, exec_lo, s16
.LBB304_341:                            ;   in Loop: Header=BB304_258 Depth=1
	s_delay_alu instid0(SALU_CYCLE_1)
	s_or_b32 exec_lo, exec_lo, s15
.LBB304_342:                            ;   in Loop: Header=BB304_258 Depth=1
	s_delay_alu instid0(SALU_CYCLE_1) | instskip(NEXT) | instid1(SALU_CYCLE_1)
	s_or_b32 exec_lo, exec_lo, s14
	s_mov_b32 s14, exec_lo
	v_cmpx_lt_u32_e32 0xffffff, v14
	s_cbranch_execz .LBB304_350
; %bb.343:                              ;   in Loop: Header=BB304_258 Depth=1
	v_lshrrev_b32_e32 v33, 24, v14
	v_bfrev_b32_e32 v32, 1
	s_mov_b32 s15, exec_lo
	s_delay_alu instid0(VALU_DEP_2)
	v_cmpx_ne_u32_e32 0x80, v33
	s_cbranch_execz .LBB304_349
; %bb.344:                              ;   in Loop: Header=BB304_258 Depth=1
	v_and_b32_e32 v34, 0x7f, v33
	v_mov_b32_e32 v32, 0x7fc02000
	s_mov_b32 s16, exec_lo
	s_delay_alu instid0(VALU_DEP_2)
	v_cmpx_ne_u32_e32 0x7f, v34
	s_cbranch_execz .LBB304_348
; %bb.345:                              ;   in Loop: Header=BB304_258 Depth=1
	v_and_b32_e32 v6, 7, v33
	v_lshrrev_b32_e32 v32, 3, v34
	s_mov_b32 s17, exec_lo
	v_cmpx_gt_u32_e32 8, v34
; %bb.346:                              ;   in Loop: Header=BB304_258 Depth=1
	s_delay_alu instid0(VALU_DEP_3) | instskip(NEXT) | instid1(VALU_DEP_1)
	v_clz_i32_u32_e32 v32, v6
	v_min_u32_e32 v32, 32, v32
	s_delay_alu instid0(VALU_DEP_1) | instskip(SKIP_1) | instid1(VALU_DEP_2)
	v_subrev_nc_u32_e32 v34, 28, v32
	v_sub_nc_u32_e32 v32, 29, v32
	v_lshlrev_b64 v[34:35], v34, v[6:7]
	s_delay_alu instid0(VALU_DEP_1)
	v_and_b32_e32 v6, 7, v34
; %bb.347:                              ;   in Loop: Header=BB304_258 Depth=1
	s_or_b32 exec_lo, exec_lo, s17
	v_lshlrev_b32_e32 v33, 8, v33
	v_lshl_add_u32 v32, v32, 10, 0x2000
	s_delay_alu instid0(VALU_DEP_1) | instskip(NEXT) | instid1(VALU_DEP_1)
	v_and_or_b32 v32, 0x8000, v33, v32
	v_lshl_or_b32 v6, v6, 7, v32
	s_delay_alu instid0(VALU_DEP_1)
	v_cvt_f32_f16_e32 v32, v6
.LBB304_348:                            ;   in Loop: Header=BB304_258 Depth=1
	s_or_b32 exec_lo, exec_lo, s16
.LBB304_349:                            ;   in Loop: Header=BB304_258 Depth=1
	s_delay_alu instid0(SALU_CYCLE_1)
	s_or_b32 exec_lo, exec_lo, s15
.LBB304_350:                            ;   in Loop: Header=BB304_258 Depth=1
	s_delay_alu instid0(SALU_CYCLE_1) | instskip(SKIP_3) | instid1(VALU_DEP_2)
	s_or_b32 exec_lo, exec_lo, s14
	v_dual_mov_b32 v6, v15 :: v_dual_and_b32 v35, 0xff, v15
	v_dual_mov_b32 v34, 0 :: v_dual_mov_b32 v33, 0
	s_mov_b32 s14, exec_lo
	v_cmpx_ne_u16_e32 0, v35
	s_cbranch_execz .LBB304_356
; %bb.351:                              ;   in Loop: Header=BB304_258 Depth=1
	v_bfrev_b32_e32 v33, 1
	s_mov_b32 s15, exec_lo
	v_cmpx_ne_u16_e32 0x80, v35
	s_cbranch_execz .LBB304_355
; %bb.352:                              ;   in Loop: Header=BB304_258 Depth=1
	v_and_b32_e32 v35, 0x7f, v15
	v_mov_b32_e32 v33, 0x7fc02000
	s_mov_b32 s16, exec_lo
	s_delay_alu instid0(VALU_DEP_2)
	v_cmpx_ne_u32_e32 0x7f, v35
	s_cbranch_execz .LBB304_354
; %bb.353:                              ;   in Loop: Header=BB304_258 Depth=1
	v_and_b32_e32 v33, 7, v15
	v_cmp_gt_u32_e64 s1, 8, v35
	v_lshrrev_b32_e32 v36, 3, v35
	s_delay_alu instid0(VALU_DEP_3) | instskip(NEXT) | instid1(VALU_DEP_1)
	v_clz_i32_u32_e32 v33, v33
	v_min_u32_e32 v33, 32, v33
	s_delay_alu instid0(VALU_DEP_1) | instskip(SKIP_1) | instid1(VALU_DEP_2)
	v_subrev_nc_u32_e32 v37, 28, v33
	v_sub_nc_u32_e32 v33, 29, v33
	v_cndmask_b32_e64 v35, 0, v37, s1
	s_delay_alu instid0(VALU_DEP_2) | instskip(NEXT) | instid1(VALU_DEP_2)
	v_cndmask_b32_e64 v33, v36, v33, s1
	v_lshlrev_b64 v[35:36], v35, v[6:7]
	v_lshlrev_b32_e32 v36, 8, v15
	s_delay_alu instid0(VALU_DEP_3) | instskip(NEXT) | instid1(VALU_DEP_3)
	v_lshl_add_u32 v33, v33, 10, 0x2000
	v_lshlrev_b32_e32 v35, 7, v35
	s_delay_alu instid0(VALU_DEP_2) | instskip(NEXT) | instid1(VALU_DEP_1)
	v_and_or_b32 v33, 0x8000, v36, v33
	v_and_or_b32 v33, 0x380, v35, v33
	s_delay_alu instid0(VALU_DEP_1)
	v_cvt_f32_f16_e32 v33, v33
.LBB304_354:                            ;   in Loop: Header=BB304_258 Depth=1
	s_or_b32 exec_lo, exec_lo, s16
.LBB304_355:                            ;   in Loop: Header=BB304_258 Depth=1
	s_delay_alu instid0(SALU_CYCLE_1)
	s_or_b32 exec_lo, exec_lo, s15
.LBB304_356:                            ;   in Loop: Header=BB304_258 Depth=1
	s_delay_alu instid0(SALU_CYCLE_1) | instskip(SKIP_2) | instid1(VALU_DEP_1)
	s_or_b32 exec_lo, exec_lo, s14
	v_lshrrev_b16 v6, 8, v6
	s_mov_b32 s14, exec_lo
	v_cmpx_ne_u16_e32 0, v6
	s_cbranch_execz .LBB304_364
; %bb.357:                              ;   in Loop: Header=BB304_258 Depth=1
	v_bfrev_b32_e32 v34, 1
	s_mov_b32 s15, exec_lo
	v_cmpx_ne_u16_e32 0x80, v6
	s_cbranch_execz .LBB304_363
; %bb.358:                              ;   in Loop: Header=BB304_258 Depth=1
	v_and_b32_e32 v35, 0xffff, v6
	v_mov_b32_e32 v34, 0x7fc02000
	s_mov_b32 s16, exec_lo
	s_delay_alu instid0(VALU_DEP_2) | instskip(NEXT) | instid1(VALU_DEP_1)
	v_and_b32_e32 v36, 0x7f, v35
	v_cmpx_ne_u32_e32 0x7f, v36
	s_cbranch_execz .LBB304_362
; %bb.359:                              ;   in Loop: Header=BB304_258 Depth=1
	v_and_b32_e32 v6, 7, v35
	v_lshrrev_b32_e32 v34, 3, v36
	s_mov_b32 s17, exec_lo
	v_cmpx_gt_u32_e32 8, v36
; %bb.360:                              ;   in Loop: Header=BB304_258 Depth=1
	s_delay_alu instid0(VALU_DEP_3) | instskip(NEXT) | instid1(VALU_DEP_1)
	v_clz_i32_u32_e32 v34, v6
	v_min_u32_e32 v34, 32, v34
	s_delay_alu instid0(VALU_DEP_1) | instskip(SKIP_1) | instid1(VALU_DEP_2)
	v_subrev_nc_u32_e32 v36, 28, v34
	v_sub_nc_u32_e32 v34, 29, v34
	v_lshlrev_b64 v[36:37], v36, v[6:7]
	s_delay_alu instid0(VALU_DEP_1)
	v_and_b32_e32 v6, 7, v36
; %bb.361:                              ;   in Loop: Header=BB304_258 Depth=1
	s_or_b32 exec_lo, exec_lo, s17
	v_lshlrev_b32_e32 v35, 8, v35
	v_lshl_add_u32 v34, v34, 10, 0x2000
	s_delay_alu instid0(VALU_DEP_1) | instskip(NEXT) | instid1(VALU_DEP_1)
	v_and_or_b32 v34, 0x8000, v35, v34
	v_lshl_or_b32 v6, v6, 7, v34
	s_delay_alu instid0(VALU_DEP_1)
	v_cvt_f32_f16_e32 v34, v6
.LBB304_362:                            ;   in Loop: Header=BB304_258 Depth=1
	s_or_b32 exec_lo, exec_lo, s16
.LBB304_363:                            ;   in Loop: Header=BB304_258 Depth=1
	s_delay_alu instid0(SALU_CYCLE_1)
	s_or_b32 exec_lo, exec_lo, s15
.LBB304_364:                            ;   in Loop: Header=BB304_258 Depth=1
	s_delay_alu instid0(SALU_CYCLE_1) | instskip(SKIP_3) | instid1(VALU_DEP_2)
	s_or_b32 exec_lo, exec_lo, s14
	v_lshrrev_b32_e32 v37, 16, v15
	v_mov_b32_e32 v36, 0
	s_mov_b32 s14, exec_lo
	v_dual_mov_b32 v35, 0 :: v_dual_and_b32 v6, 0xff, v37
	s_delay_alu instid0(VALU_DEP_1)
	v_cmpx_ne_u16_e32 0, v6
	s_cbranch_execz .LBB304_372
; %bb.365:                              ;   in Loop: Header=BB304_258 Depth=1
	v_bfrev_b32_e32 v35, 1
	s_mov_b32 s15, exec_lo
	v_cmpx_ne_u16_e32 0x80, v6
	s_cbranch_execz .LBB304_371
; %bb.366:                              ;   in Loop: Header=BB304_258 Depth=1
	v_bfe_u32 v38, v15, 16, 7
	v_mov_b32_e32 v35, 0x7fc02000
	s_mov_b32 s16, exec_lo
	s_delay_alu instid0(VALU_DEP_2)
	v_cmpx_ne_u32_e32 0x7f, v38
	s_cbranch_execz .LBB304_370
; %bb.367:                              ;   in Loop: Header=BB304_258 Depth=1
	v_and_b32_e32 v6, 7, v37
	v_lshrrev_b32_e32 v35, 3, v38
	s_mov_b32 s17, exec_lo
	v_cmpx_gt_u32_e32 8, v38
; %bb.368:                              ;   in Loop: Header=BB304_258 Depth=1
	s_delay_alu instid0(VALU_DEP_3) | instskip(NEXT) | instid1(VALU_DEP_1)
	v_clz_i32_u32_e32 v35, v6
	v_min_u32_e32 v35, 32, v35
	s_delay_alu instid0(VALU_DEP_1) | instskip(SKIP_1) | instid1(VALU_DEP_2)
	v_subrev_nc_u32_e32 v38, 28, v35
	v_sub_nc_u32_e32 v35, 29, v35
	v_lshlrev_b64 v[38:39], v38, v[6:7]
	s_delay_alu instid0(VALU_DEP_1)
	v_and_b32_e32 v6, 7, v38
; %bb.369:                              ;   in Loop: Header=BB304_258 Depth=1
	s_or_b32 exec_lo, exec_lo, s17
	v_lshlrev_b32_e32 v37, 8, v37
	v_lshl_add_u32 v35, v35, 10, 0x2000
	s_delay_alu instid0(VALU_DEP_1) | instskip(NEXT) | instid1(VALU_DEP_1)
	v_and_or_b32 v35, 0x8000, v37, v35
	v_lshl_or_b32 v6, v6, 7, v35
	s_delay_alu instid0(VALU_DEP_1)
	v_cvt_f32_f16_e32 v35, v6
.LBB304_370:                            ;   in Loop: Header=BB304_258 Depth=1
	s_or_b32 exec_lo, exec_lo, s16
.LBB304_371:                            ;   in Loop: Header=BB304_258 Depth=1
	s_delay_alu instid0(SALU_CYCLE_1)
	s_or_b32 exec_lo, exec_lo, s15
.LBB304_372:                            ;   in Loop: Header=BB304_258 Depth=1
	s_delay_alu instid0(SALU_CYCLE_1) | instskip(NEXT) | instid1(SALU_CYCLE_1)
	s_or_b32 exec_lo, exec_lo, s14
	s_mov_b32 s14, exec_lo
	v_cmpx_lt_u64_e64 s[10:11], v[14:15]
	s_cbranch_execz .LBB304_380
; %bb.373:                              ;   in Loop: Header=BB304_258 Depth=1
	v_lshrrev_b32_e32 v14, 24, v15
	v_bfrev_b32_e32 v36, 1
	s_mov_b32 s15, exec_lo
	s_delay_alu instid0(VALU_DEP_2)
	v_cmpx_ne_u32_e32 0x80, v14
	s_cbranch_execz .LBB304_379
; %bb.374:                              ;   in Loop: Header=BB304_258 Depth=1
	v_and_b32_e32 v37, 0x7f, v14
	v_mov_b32_e32 v36, 0x7fc02000
	s_mov_b32 s16, exec_lo
	s_delay_alu instid0(VALU_DEP_2)
	v_cmpx_ne_u32_e32 0x7f, v37
	s_cbranch_execz .LBB304_378
; %bb.375:                              ;   in Loop: Header=BB304_258 Depth=1
	v_and_b32_e32 v6, 7, v14
	v_lshrrev_b32_e32 v15, 3, v37
	s_mov_b32 s17, exec_lo
	v_cmpx_gt_u32_e32 8, v37
; %bb.376:                              ;   in Loop: Header=BB304_258 Depth=1
	s_delay_alu instid0(VALU_DEP_3) | instskip(NEXT) | instid1(VALU_DEP_1)
	v_clz_i32_u32_e32 v15, v6
	v_min_u32_e32 v15, 32, v15
	s_delay_alu instid0(VALU_DEP_1) | instskip(SKIP_1) | instid1(VALU_DEP_2)
	v_subrev_nc_u32_e32 v36, 28, v15
	v_sub_nc_u32_e32 v15, 29, v15
	v_lshlrev_b64 v[36:37], v36, v[6:7]
	s_delay_alu instid0(VALU_DEP_1)
	v_and_b32_e32 v6, 7, v36
; %bb.377:                              ;   in Loop: Header=BB304_258 Depth=1
	s_or_b32 exec_lo, exec_lo, s17
	v_lshlrev_b32_e32 v14, 8, v14
	v_lshl_add_u32 v15, v15, 10, 0x2000
	s_delay_alu instid0(VALU_DEP_1) | instskip(NEXT) | instid1(VALU_DEP_1)
	v_and_or_b32 v14, 0x8000, v14, v15
	v_lshl_or_b32 v6, v6, 7, v14
	s_delay_alu instid0(VALU_DEP_1)
	v_cvt_f32_f16_e32 v36, v6
.LBB304_378:                            ;   in Loop: Header=BB304_258 Depth=1
	s_or_b32 exec_lo, exec_lo, s16
.LBB304_379:                            ;   in Loop: Header=BB304_258 Depth=1
	s_delay_alu instid0(SALU_CYCLE_1)
	s_or_b32 exec_lo, exec_lo, s15
.LBB304_380:                            ;   in Loop: Header=BB304_258 Depth=1
	s_delay_alu instid0(SALU_CYCLE_1)
	s_or_b32 exec_lo, exec_lo, s14
	s_waitcnt vmcnt(0)
	v_fma_mixlo_f16 v15, v28, v30, 0
	v_fma_mixlo_f16 v6, v28, v32, 0
	;; [unrolled: 1-line block ×5, first 2 shown]
	v_lshlrev_b32_e32 v30, 16, v15
	v_fma_mixlo_f16 v32, v28, v33, 0
	v_fma_mixlo_f16 v33, v28, v36, 0
	;; [unrolled: 1-line block ×3, first 2 shown]
	v_lshlrev_b32_e32 v6, 16, v6
	v_and_b32_e32 v14, 0xffff, v14
	v_and_b32_e32 v29, 0xffff, v29
	v_lshlrev_b32_e32 v31, 16, v31
	v_and_b32_e32 v32, 0xffff, v32
	v_lshlrev_b32_e32 v33, 16, v33
	v_and_b32_e32 v34, 0xffff, v15
	v_or_b32_e32 v28, v6, v14
	v_or_b32_e32 v29, v30, v29
	v_or_b32_e32 v6, v31, v32
	s_delay_alu instid0(VALU_DEP_4)
	v_or_b32_e32 v14, v33, v34
	s_and_saveexec_b32 s14, s0
	s_cbranch_execz .LBB304_382
; %bb.381:                              ;   in Loop: Header=BB304_258 Depth=1
	v_add_nc_u32_e32 v30, 1, v20
	v_lshrrev_b32_e32 v31, 16, v29
	v_or_b32_e32 v32, 3, v20
	v_lshrrev_b32_e32 v33, 16, v28
	v_lshrrev_b32_e32 v34, 16, v6
	v_cmp_gt_i32_e64 s1, s13, v30
	v_lshrrev_b32_e32 v14, 16, v14
	v_or_b32_e32 v35, 6, v20
	s_delay_alu instid0(VALU_DEP_3) | instskip(SKIP_2) | instid1(VALU_DEP_2)
	v_cndmask_b32_e64 v30, 0, v31, s1
	v_cmp_gt_i32_e64 s1, s33, v20
	v_or_b32_e32 v31, 2, v20
	v_cndmask_b32_e64 v29, 0, v29, s1
	v_cmp_gt_i32_e64 s1, s13, v32
	s_delay_alu instid0(VALU_DEP_2) | instskip(NEXT) | instid1(VALU_DEP_2)
	v_perm_b32 v29, v30, v29, 0x5040100
	v_cndmask_b32_e64 v32, 0, v33, s1
	v_or_b32_e32 v33, 5, v20
	v_cmp_gt_i32_e64 s1, s33, v31
	v_or_b32_e32 v31, 4, v20
	s_delay_alu instid0(VALU_DEP_2) | instskip(NEXT) | instid1(VALU_DEP_4)
	v_cndmask_b32_e64 v28, 0, v28, s1
	v_cmp_gt_i32_e64 s1, s13, v33
	s_delay_alu instid0(VALU_DEP_2) | instskip(NEXT) | instid1(VALU_DEP_2)
	v_perm_b32 v28, v32, v28, 0x5040100
	v_cndmask_b32_e64 v33, 0, v34, s1
	v_or_b32_e32 v34, 7, v20
	v_cmp_gt_i32_e64 s1, s33, v31
	s_delay_alu instid0(VALU_DEP_1) | instskip(NEXT) | instid1(VALU_DEP_3)
	v_cndmask_b32_e64 v6, 0, v6, s1
	v_cmp_gt_i32_e64 s1, s13, v34
	s_delay_alu instid0(VALU_DEP_2) | instskip(NEXT) | instid1(VALU_DEP_2)
	v_perm_b32 v6, v33, v6, 0x5040100
	v_cndmask_b32_e64 v14, 0, v14, s1
	v_cmp_gt_i32_e64 s1, s33, v35
	s_delay_alu instid0(VALU_DEP_1) | instskip(NEXT) | instid1(VALU_DEP_1)
	v_cndmask_b32_e64 v15, 0, v15, s1
	v_perm_b32 v14, v14, v15, 0x5040100
.LBB304_382:                            ;   in Loop: Header=BB304_258 Depth=1
	s_or_b32 exec_lo, exec_lo, s14
	;;#ASMSTART
	v_pk_mul_f16 v15, v25, v29;

	;;#ASMEND
	;;#ASMSTART
	v_pk_mul_f16 v28, v24, v28;

	;;#ASMEND
	;;#ASMSTART
	v_pk_mul_f16 v6, v23, v6;

	;;#ASMEND
	;;#ASMSTART
	v_pk_mul_f16 v14, v22, v14;

	;;#ASMEND
	;;#ASMSTART
	v_pk_add_f16 v15, v15, v28;

	;;#ASMEND
	;;#ASMSTART
	v_pk_add_f16 v6, v15, v6;

	;;#ASMEND
	;; [unrolled: 4-line block ×3, first 2 shown]
	v_dual_mov_b32 v29, 0 :: v_dual_and_b32 v14, 0xffff, v6
	v_lshrrev_b32_e32 v6, 16, v6
	;;#ASMSTART
	v_cvt_f32_f16 v14, v14;
	;;#ASMEND
	;;#ASMSTART
	v_cvt_f32_f16 v15, v6;
	;;#ASMEND
	global_load_b64 v[12:13], v[12:13], off offset:512
	global_load_b32 v28, v7, s[6:7]
	v_mov_b32_e32 v30, 0
	s_mov_b32 s14, exec_lo
	s_waitcnt vmcnt(1)
	v_and_b32_e32 v6, 0xff, v12
	s_delay_alu instid0(VALU_DEP_1)
	v_cmpx_ne_u16_e32 0, v6
	s_cbranch_execz .LBB304_388
; %bb.383:                              ;   in Loop: Header=BB304_258 Depth=1
	v_bfrev_b32_e32 v29, 1
	s_mov_b32 s15, exec_lo
	v_cmpx_ne_u16_e32 0x80, v6
	s_cbranch_execz .LBB304_387
; %bb.384:                              ;   in Loop: Header=BB304_258 Depth=1
	v_and_b32_e32 v6, 0x7f, v12
	v_mov_b32_e32 v29, 0x7fc02000
	s_mov_b32 s16, exec_lo
	s_delay_alu instid0(VALU_DEP_2)
	v_cmpx_ne_u32_e32 0x7f, v6
	s_cbranch_execz .LBB304_386
; %bb.385:                              ;   in Loop: Header=BB304_258 Depth=1
	v_and_b32_e32 v29, 7, v12
	v_cmp_gt_u32_e64 s1, 8, v6
	v_lshrrev_b32_e32 v31, 3, v6
	s_delay_alu instid0(VALU_DEP_3) | instskip(NEXT) | instid1(VALU_DEP_1)
	v_clz_i32_u32_e32 v29, v29
	v_min_u32_e32 v29, 32, v29
	s_delay_alu instid0(VALU_DEP_1) | instskip(SKIP_1) | instid1(VALU_DEP_2)
	v_subrev_nc_u32_e32 v32, 28, v29
	v_sub_nc_u32_e32 v29, 29, v29
	v_cndmask_b32_e64 v6, 0, v32, s1
	s_delay_alu instid0(VALU_DEP_2) | instskip(NEXT) | instid1(VALU_DEP_2)
	v_cndmask_b32_e64 v29, v31, v29, s1
	v_lshlrev_b64 v[31:32], v6, v[12:13]
	v_lshlrev_b32_e32 v6, 8, v12
	s_delay_alu instid0(VALU_DEP_3) | instskip(NEXT) | instid1(VALU_DEP_3)
	v_lshl_add_u32 v29, v29, 10, 0x2000
	v_lshlrev_b32_e32 v31, 7, v31
	s_delay_alu instid0(VALU_DEP_2) | instskip(NEXT) | instid1(VALU_DEP_1)
	v_and_or_b32 v6, 0x8000, v6, v29
	v_and_or_b32 v6, 0x380, v31, v6
	s_delay_alu instid0(VALU_DEP_1)
	v_cvt_f32_f16_e32 v29, v6
.LBB304_386:                            ;   in Loop: Header=BB304_258 Depth=1
	s_or_b32 exec_lo, exec_lo, s16
.LBB304_387:                            ;   in Loop: Header=BB304_258 Depth=1
	s_delay_alu instid0(SALU_CYCLE_1)
	s_or_b32 exec_lo, exec_lo, s15
.LBB304_388:                            ;   in Loop: Header=BB304_258 Depth=1
	s_delay_alu instid0(SALU_CYCLE_1) | instskip(SKIP_2) | instid1(VALU_DEP_1)
	s_or_b32 exec_lo, exec_lo, s14
	v_lshrrev_b16 v6, 8, v12
	s_mov_b32 s14, exec_lo
	v_cmpx_ne_u16_e32 0, v6
	s_cbranch_execz .LBB304_396
; %bb.389:                              ;   in Loop: Header=BB304_258 Depth=1
	v_bfrev_b32_e32 v30, 1
	s_mov_b32 s15, exec_lo
	v_cmpx_ne_u16_e32 0x80, v6
	s_cbranch_execz .LBB304_395
; %bb.390:                              ;   in Loop: Header=BB304_258 Depth=1
	v_and_b32_e32 v31, 0xffff, v6
	v_mov_b32_e32 v30, 0x7fc02000
	s_mov_b32 s16, exec_lo
	s_delay_alu instid0(VALU_DEP_2) | instskip(NEXT) | instid1(VALU_DEP_1)
	v_and_b32_e32 v32, 0x7f, v31
	v_cmpx_ne_u32_e32 0x7f, v32
	s_cbranch_execz .LBB304_394
; %bb.391:                              ;   in Loop: Header=BB304_258 Depth=1
	v_and_b32_e32 v6, 7, v31
	v_lshrrev_b32_e32 v30, 3, v32
	s_mov_b32 s17, exec_lo
	v_cmpx_gt_u32_e32 8, v32
; %bb.392:                              ;   in Loop: Header=BB304_258 Depth=1
	s_delay_alu instid0(VALU_DEP_3) | instskip(NEXT) | instid1(VALU_DEP_1)
	v_clz_i32_u32_e32 v30, v6
	v_min_u32_e32 v30, 32, v30
	s_delay_alu instid0(VALU_DEP_1) | instskip(SKIP_1) | instid1(VALU_DEP_2)
	v_subrev_nc_u32_e32 v32, 28, v30
	v_sub_nc_u32_e32 v30, 29, v30
	v_lshlrev_b64 v[32:33], v32, v[6:7]
	s_delay_alu instid0(VALU_DEP_1)
	v_and_b32_e32 v6, 7, v32
; %bb.393:                              ;   in Loop: Header=BB304_258 Depth=1
	s_or_b32 exec_lo, exec_lo, s17
	v_lshlrev_b32_e32 v31, 8, v31
	v_lshl_add_u32 v30, v30, 10, 0x2000
	s_delay_alu instid0(VALU_DEP_1) | instskip(NEXT) | instid1(VALU_DEP_1)
	v_and_or_b32 v30, 0x8000, v31, v30
	v_lshl_or_b32 v6, v6, 7, v30
	s_delay_alu instid0(VALU_DEP_1)
	v_cvt_f32_f16_e32 v30, v6
.LBB304_394:                            ;   in Loop: Header=BB304_258 Depth=1
	s_or_b32 exec_lo, exec_lo, s16
.LBB304_395:                            ;   in Loop: Header=BB304_258 Depth=1
	s_delay_alu instid0(SALU_CYCLE_1)
	s_or_b32 exec_lo, exec_lo, s15
.LBB304_396:                            ;   in Loop: Header=BB304_258 Depth=1
	s_delay_alu instid0(SALU_CYCLE_1) | instskip(SKIP_3) | instid1(VALU_DEP_2)
	s_or_b32 exec_lo, exec_lo, s14
	v_lshrrev_b32_e32 v33, 16, v12
	v_mov_b32_e32 v32, 0
	s_mov_b32 s14, exec_lo
	v_dual_mov_b32 v31, 0 :: v_dual_and_b32 v6, 0xff, v33
	s_delay_alu instid0(VALU_DEP_1)
	v_cmpx_ne_u16_e32 0, v6
	s_cbranch_execz .LBB304_404
; %bb.397:                              ;   in Loop: Header=BB304_258 Depth=1
	v_bfrev_b32_e32 v31, 1
	s_mov_b32 s15, exec_lo
	v_cmpx_ne_u16_e32 0x80, v6
	s_cbranch_execz .LBB304_403
; %bb.398:                              ;   in Loop: Header=BB304_258 Depth=1
	v_bfe_u32 v34, v12, 16, 7
	v_mov_b32_e32 v31, 0x7fc02000
	s_mov_b32 s16, exec_lo
	s_delay_alu instid0(VALU_DEP_2)
	v_cmpx_ne_u32_e32 0x7f, v34
	s_cbranch_execz .LBB304_402
; %bb.399:                              ;   in Loop: Header=BB304_258 Depth=1
	v_and_b32_e32 v6, 7, v33
	v_lshrrev_b32_e32 v31, 3, v34
	s_mov_b32 s17, exec_lo
	v_cmpx_gt_u32_e32 8, v34
; %bb.400:                              ;   in Loop: Header=BB304_258 Depth=1
	s_delay_alu instid0(VALU_DEP_3) | instskip(NEXT) | instid1(VALU_DEP_1)
	v_clz_i32_u32_e32 v31, v6
	v_min_u32_e32 v31, 32, v31
	s_delay_alu instid0(VALU_DEP_1) | instskip(SKIP_1) | instid1(VALU_DEP_2)
	v_subrev_nc_u32_e32 v34, 28, v31
	v_sub_nc_u32_e32 v31, 29, v31
	v_lshlrev_b64 v[34:35], v34, v[6:7]
	s_delay_alu instid0(VALU_DEP_1)
	v_and_b32_e32 v6, 7, v34
; %bb.401:                              ;   in Loop: Header=BB304_258 Depth=1
	s_or_b32 exec_lo, exec_lo, s17
	v_lshlrev_b32_e32 v33, 8, v33
	v_lshl_add_u32 v31, v31, 10, 0x2000
	s_delay_alu instid0(VALU_DEP_1) | instskip(NEXT) | instid1(VALU_DEP_1)
	v_and_or_b32 v31, 0x8000, v33, v31
	v_lshl_or_b32 v6, v6, 7, v31
	s_delay_alu instid0(VALU_DEP_1)
	v_cvt_f32_f16_e32 v31, v6
.LBB304_402:                            ;   in Loop: Header=BB304_258 Depth=1
	s_or_b32 exec_lo, exec_lo, s16
.LBB304_403:                            ;   in Loop: Header=BB304_258 Depth=1
	s_delay_alu instid0(SALU_CYCLE_1)
	s_or_b32 exec_lo, exec_lo, s15
.LBB304_404:                            ;   in Loop: Header=BB304_258 Depth=1
	s_delay_alu instid0(SALU_CYCLE_1) | instskip(NEXT) | instid1(SALU_CYCLE_1)
	s_or_b32 exec_lo, exec_lo, s14
	s_mov_b32 s14, exec_lo
	v_cmpx_lt_u32_e32 0xffffff, v12
	s_cbranch_execz .LBB304_412
; %bb.405:                              ;   in Loop: Header=BB304_258 Depth=1
	v_lshrrev_b32_e32 v33, 24, v12
	v_bfrev_b32_e32 v32, 1
	s_mov_b32 s15, exec_lo
	s_delay_alu instid0(VALU_DEP_2)
	v_cmpx_ne_u32_e32 0x80, v33
	s_cbranch_execz .LBB304_411
; %bb.406:                              ;   in Loop: Header=BB304_258 Depth=1
	v_and_b32_e32 v34, 0x7f, v33
	v_mov_b32_e32 v32, 0x7fc02000
	s_mov_b32 s16, exec_lo
	s_delay_alu instid0(VALU_DEP_2)
	v_cmpx_ne_u32_e32 0x7f, v34
	s_cbranch_execz .LBB304_410
; %bb.407:                              ;   in Loop: Header=BB304_258 Depth=1
	v_and_b32_e32 v6, 7, v33
	v_lshrrev_b32_e32 v32, 3, v34
	s_mov_b32 s17, exec_lo
	v_cmpx_gt_u32_e32 8, v34
; %bb.408:                              ;   in Loop: Header=BB304_258 Depth=1
	s_delay_alu instid0(VALU_DEP_3) | instskip(NEXT) | instid1(VALU_DEP_1)
	v_clz_i32_u32_e32 v32, v6
	v_min_u32_e32 v32, 32, v32
	s_delay_alu instid0(VALU_DEP_1) | instskip(SKIP_1) | instid1(VALU_DEP_2)
	v_subrev_nc_u32_e32 v34, 28, v32
	v_sub_nc_u32_e32 v32, 29, v32
	v_lshlrev_b64 v[34:35], v34, v[6:7]
	s_delay_alu instid0(VALU_DEP_1)
	v_and_b32_e32 v6, 7, v34
; %bb.409:                              ;   in Loop: Header=BB304_258 Depth=1
	s_or_b32 exec_lo, exec_lo, s17
	v_lshlrev_b32_e32 v33, 8, v33
	v_lshl_add_u32 v32, v32, 10, 0x2000
	s_delay_alu instid0(VALU_DEP_1) | instskip(NEXT) | instid1(VALU_DEP_1)
	v_and_or_b32 v32, 0x8000, v33, v32
	v_lshl_or_b32 v6, v6, 7, v32
	s_delay_alu instid0(VALU_DEP_1)
	v_cvt_f32_f16_e32 v32, v6
.LBB304_410:                            ;   in Loop: Header=BB304_258 Depth=1
	s_or_b32 exec_lo, exec_lo, s16
.LBB304_411:                            ;   in Loop: Header=BB304_258 Depth=1
	s_delay_alu instid0(SALU_CYCLE_1)
	s_or_b32 exec_lo, exec_lo, s15
.LBB304_412:                            ;   in Loop: Header=BB304_258 Depth=1
	s_delay_alu instid0(SALU_CYCLE_1) | instskip(SKIP_3) | instid1(VALU_DEP_2)
	s_or_b32 exec_lo, exec_lo, s14
	v_dual_mov_b32 v6, v13 :: v_dual_and_b32 v35, 0xff, v13
	v_dual_mov_b32 v34, 0 :: v_dual_mov_b32 v33, 0
	s_mov_b32 s14, exec_lo
	v_cmpx_ne_u16_e32 0, v35
	s_cbranch_execz .LBB304_418
; %bb.413:                              ;   in Loop: Header=BB304_258 Depth=1
	v_bfrev_b32_e32 v33, 1
	s_mov_b32 s15, exec_lo
	v_cmpx_ne_u16_e32 0x80, v35
	s_cbranch_execz .LBB304_417
; %bb.414:                              ;   in Loop: Header=BB304_258 Depth=1
	v_and_b32_e32 v35, 0x7f, v13
	v_mov_b32_e32 v33, 0x7fc02000
	s_mov_b32 s16, exec_lo
	s_delay_alu instid0(VALU_DEP_2)
	v_cmpx_ne_u32_e32 0x7f, v35
	s_cbranch_execz .LBB304_416
; %bb.415:                              ;   in Loop: Header=BB304_258 Depth=1
	v_and_b32_e32 v33, 7, v13
	v_cmp_gt_u32_e64 s1, 8, v35
	v_lshrrev_b32_e32 v36, 3, v35
	s_delay_alu instid0(VALU_DEP_3) | instskip(NEXT) | instid1(VALU_DEP_1)
	v_clz_i32_u32_e32 v33, v33
	v_min_u32_e32 v33, 32, v33
	s_delay_alu instid0(VALU_DEP_1) | instskip(SKIP_1) | instid1(VALU_DEP_2)
	v_subrev_nc_u32_e32 v37, 28, v33
	v_sub_nc_u32_e32 v33, 29, v33
	v_cndmask_b32_e64 v35, 0, v37, s1
	s_delay_alu instid0(VALU_DEP_2) | instskip(NEXT) | instid1(VALU_DEP_2)
	v_cndmask_b32_e64 v33, v36, v33, s1
	v_lshlrev_b64 v[35:36], v35, v[6:7]
	v_lshlrev_b32_e32 v36, 8, v13
	s_delay_alu instid0(VALU_DEP_3) | instskip(NEXT) | instid1(VALU_DEP_3)
	v_lshl_add_u32 v33, v33, 10, 0x2000
	v_lshlrev_b32_e32 v35, 7, v35
	s_delay_alu instid0(VALU_DEP_2) | instskip(NEXT) | instid1(VALU_DEP_1)
	v_and_or_b32 v33, 0x8000, v36, v33
	v_and_or_b32 v33, 0x380, v35, v33
	s_delay_alu instid0(VALU_DEP_1)
	v_cvt_f32_f16_e32 v33, v33
.LBB304_416:                            ;   in Loop: Header=BB304_258 Depth=1
	s_or_b32 exec_lo, exec_lo, s16
.LBB304_417:                            ;   in Loop: Header=BB304_258 Depth=1
	s_delay_alu instid0(SALU_CYCLE_1)
	s_or_b32 exec_lo, exec_lo, s15
.LBB304_418:                            ;   in Loop: Header=BB304_258 Depth=1
	s_delay_alu instid0(SALU_CYCLE_1) | instskip(SKIP_2) | instid1(VALU_DEP_1)
	s_or_b32 exec_lo, exec_lo, s14
	v_lshrrev_b16 v6, 8, v6
	s_mov_b32 s14, exec_lo
	v_cmpx_ne_u16_e32 0, v6
	s_cbranch_execz .LBB304_426
; %bb.419:                              ;   in Loop: Header=BB304_258 Depth=1
	v_bfrev_b32_e32 v34, 1
	s_mov_b32 s15, exec_lo
	v_cmpx_ne_u16_e32 0x80, v6
	s_cbranch_execz .LBB304_425
; %bb.420:                              ;   in Loop: Header=BB304_258 Depth=1
	v_and_b32_e32 v35, 0xffff, v6
	v_mov_b32_e32 v34, 0x7fc02000
	s_mov_b32 s16, exec_lo
	s_delay_alu instid0(VALU_DEP_2) | instskip(NEXT) | instid1(VALU_DEP_1)
	v_and_b32_e32 v36, 0x7f, v35
	v_cmpx_ne_u32_e32 0x7f, v36
	s_cbranch_execz .LBB304_424
; %bb.421:                              ;   in Loop: Header=BB304_258 Depth=1
	v_and_b32_e32 v6, 7, v35
	v_lshrrev_b32_e32 v34, 3, v36
	s_mov_b32 s17, exec_lo
	v_cmpx_gt_u32_e32 8, v36
; %bb.422:                              ;   in Loop: Header=BB304_258 Depth=1
	s_delay_alu instid0(VALU_DEP_3) | instskip(NEXT) | instid1(VALU_DEP_1)
	v_clz_i32_u32_e32 v34, v6
	v_min_u32_e32 v34, 32, v34
	s_delay_alu instid0(VALU_DEP_1) | instskip(SKIP_1) | instid1(VALU_DEP_2)
	v_subrev_nc_u32_e32 v36, 28, v34
	v_sub_nc_u32_e32 v34, 29, v34
	v_lshlrev_b64 v[36:37], v36, v[6:7]
	s_delay_alu instid0(VALU_DEP_1)
	v_and_b32_e32 v6, 7, v36
; %bb.423:                              ;   in Loop: Header=BB304_258 Depth=1
	s_or_b32 exec_lo, exec_lo, s17
	v_lshlrev_b32_e32 v35, 8, v35
	v_lshl_add_u32 v34, v34, 10, 0x2000
	s_delay_alu instid0(VALU_DEP_1) | instskip(NEXT) | instid1(VALU_DEP_1)
	v_and_or_b32 v34, 0x8000, v35, v34
	v_lshl_or_b32 v6, v6, 7, v34
	s_delay_alu instid0(VALU_DEP_1)
	v_cvt_f32_f16_e32 v34, v6
.LBB304_424:                            ;   in Loop: Header=BB304_258 Depth=1
	s_or_b32 exec_lo, exec_lo, s16
.LBB304_425:                            ;   in Loop: Header=BB304_258 Depth=1
	s_delay_alu instid0(SALU_CYCLE_1)
	s_or_b32 exec_lo, exec_lo, s15
.LBB304_426:                            ;   in Loop: Header=BB304_258 Depth=1
	s_delay_alu instid0(SALU_CYCLE_1) | instskip(SKIP_3) | instid1(VALU_DEP_2)
	s_or_b32 exec_lo, exec_lo, s14
	v_lshrrev_b32_e32 v37, 16, v13
	v_mov_b32_e32 v36, 0
	s_mov_b32 s14, exec_lo
	v_dual_mov_b32 v35, 0 :: v_dual_and_b32 v6, 0xff, v37
	s_delay_alu instid0(VALU_DEP_1)
	v_cmpx_ne_u16_e32 0, v6
	s_cbranch_execz .LBB304_434
; %bb.427:                              ;   in Loop: Header=BB304_258 Depth=1
	v_bfrev_b32_e32 v35, 1
	s_mov_b32 s15, exec_lo
	v_cmpx_ne_u16_e32 0x80, v6
	s_cbranch_execz .LBB304_433
; %bb.428:                              ;   in Loop: Header=BB304_258 Depth=1
	v_bfe_u32 v38, v13, 16, 7
	v_mov_b32_e32 v35, 0x7fc02000
	s_mov_b32 s16, exec_lo
	s_delay_alu instid0(VALU_DEP_2)
	v_cmpx_ne_u32_e32 0x7f, v38
	s_cbranch_execz .LBB304_432
; %bb.429:                              ;   in Loop: Header=BB304_258 Depth=1
	v_and_b32_e32 v6, 7, v37
	v_lshrrev_b32_e32 v35, 3, v38
	s_mov_b32 s17, exec_lo
	v_cmpx_gt_u32_e32 8, v38
; %bb.430:                              ;   in Loop: Header=BB304_258 Depth=1
	s_delay_alu instid0(VALU_DEP_3) | instskip(NEXT) | instid1(VALU_DEP_1)
	v_clz_i32_u32_e32 v35, v6
	v_min_u32_e32 v35, 32, v35
	s_delay_alu instid0(VALU_DEP_1) | instskip(SKIP_1) | instid1(VALU_DEP_2)
	v_subrev_nc_u32_e32 v38, 28, v35
	v_sub_nc_u32_e32 v35, 29, v35
	v_lshlrev_b64 v[38:39], v38, v[6:7]
	s_delay_alu instid0(VALU_DEP_1)
	v_and_b32_e32 v6, 7, v38
; %bb.431:                              ;   in Loop: Header=BB304_258 Depth=1
	s_or_b32 exec_lo, exec_lo, s17
	v_lshlrev_b32_e32 v37, 8, v37
	v_lshl_add_u32 v35, v35, 10, 0x2000
	s_delay_alu instid0(VALU_DEP_1) | instskip(NEXT) | instid1(VALU_DEP_1)
	v_and_or_b32 v35, 0x8000, v37, v35
	v_lshl_or_b32 v6, v6, 7, v35
	s_delay_alu instid0(VALU_DEP_1)
	v_cvt_f32_f16_e32 v35, v6
.LBB304_432:                            ;   in Loop: Header=BB304_258 Depth=1
	s_or_b32 exec_lo, exec_lo, s16
.LBB304_433:                            ;   in Loop: Header=BB304_258 Depth=1
	s_delay_alu instid0(SALU_CYCLE_1)
	s_or_b32 exec_lo, exec_lo, s15
.LBB304_434:                            ;   in Loop: Header=BB304_258 Depth=1
	s_delay_alu instid0(SALU_CYCLE_1) | instskip(NEXT) | instid1(SALU_CYCLE_1)
	s_or_b32 exec_lo, exec_lo, s14
	s_mov_b32 s14, exec_lo
	v_cmpx_lt_u64_e64 s[10:11], v[12:13]
	s_cbranch_execz .LBB304_442
; %bb.435:                              ;   in Loop: Header=BB304_258 Depth=1
	v_lshrrev_b32_e32 v12, 24, v13
	v_bfrev_b32_e32 v36, 1
	s_mov_b32 s15, exec_lo
	s_delay_alu instid0(VALU_DEP_2)
	v_cmpx_ne_u32_e32 0x80, v12
	s_cbranch_execz .LBB304_441
; %bb.436:                              ;   in Loop: Header=BB304_258 Depth=1
	v_and_b32_e32 v37, 0x7f, v12
	v_mov_b32_e32 v36, 0x7fc02000
	s_mov_b32 s16, exec_lo
	s_delay_alu instid0(VALU_DEP_2)
	v_cmpx_ne_u32_e32 0x7f, v37
	s_cbranch_execz .LBB304_440
; %bb.437:                              ;   in Loop: Header=BB304_258 Depth=1
	v_and_b32_e32 v6, 7, v12
	v_lshrrev_b32_e32 v13, 3, v37
	s_mov_b32 s17, exec_lo
	v_cmpx_gt_u32_e32 8, v37
; %bb.438:                              ;   in Loop: Header=BB304_258 Depth=1
	s_delay_alu instid0(VALU_DEP_3) | instskip(NEXT) | instid1(VALU_DEP_1)
	v_clz_i32_u32_e32 v13, v6
	v_min_u32_e32 v13, 32, v13
	s_delay_alu instid0(VALU_DEP_1) | instskip(SKIP_1) | instid1(VALU_DEP_2)
	v_subrev_nc_u32_e32 v36, 28, v13
	v_sub_nc_u32_e32 v13, 29, v13
	v_lshlrev_b64 v[36:37], v36, v[6:7]
	s_delay_alu instid0(VALU_DEP_1)
	v_and_b32_e32 v6, 7, v36
; %bb.439:                              ;   in Loop: Header=BB304_258 Depth=1
	s_or_b32 exec_lo, exec_lo, s17
	v_lshlrev_b32_e32 v12, 8, v12
	v_lshl_add_u32 v13, v13, 10, 0x2000
	s_delay_alu instid0(VALU_DEP_1) | instskip(NEXT) | instid1(VALU_DEP_1)
	v_and_or_b32 v12, 0x8000, v12, v13
	v_lshl_or_b32 v6, v6, 7, v12
	s_delay_alu instid0(VALU_DEP_1)
	v_cvt_f32_f16_e32 v36, v6
.LBB304_440:                            ;   in Loop: Header=BB304_258 Depth=1
	s_or_b32 exec_lo, exec_lo, s16
.LBB304_441:                            ;   in Loop: Header=BB304_258 Depth=1
	s_delay_alu instid0(SALU_CYCLE_1)
	s_or_b32 exec_lo, exec_lo, s15
.LBB304_442:                            ;   in Loop: Header=BB304_258 Depth=1
	s_delay_alu instid0(SALU_CYCLE_1)
	s_or_b32 exec_lo, exec_lo, s14
	s_waitcnt vmcnt(0)
	v_fma_mixlo_f16 v13, v28, v30, 0
	v_fma_mixlo_f16 v6, v28, v32, 0
	;; [unrolled: 1-line block ×5, first 2 shown]
	v_lshlrev_b32_e32 v30, 16, v13
	v_fma_mixlo_f16 v13, v28, v29, 0
	v_fma_mixlo_f16 v29, v28, v34, 0
	;; [unrolled: 1-line block ×3, first 2 shown]
	v_lshlrev_b32_e32 v6, 16, v6
	v_and_b32_e32 v12, 0xffff, v12
	v_and_b32_e32 v33, 0xffff, v13
	v_lshlrev_b32_e32 v34, 16, v29
	v_and_b32_e32 v31, 0xffff, v31
	v_lshlrev_b32_e32 v32, 16, v32
	v_and_b32_e32 v35, 0xffff, v28
	v_or_b32_e32 v13, v6, v12
	v_or_b32_e32 v29, v30, v33
	;; [unrolled: 1-line block ×3, first 2 shown]
	s_delay_alu instid0(VALU_DEP_4)
	v_or_b32_e32 v12, v32, v35
	s_and_saveexec_b32 s14, s0
	s_cbranch_execz .LBB304_444
; %bb.443:                              ;   in Loop: Header=BB304_258 Depth=1
	v_add_nc_u32_e32 v30, 1, v20
	v_lshrrev_b32_e32 v31, 16, v29
	v_or_b32_e32 v32, 3, v20
	v_lshrrev_b32_e32 v33, 16, v13
	v_lshrrev_b32_e32 v34, 16, v6
	v_cmp_gt_i32_e64 s1, s13, v30
	v_lshrrev_b32_e32 v12, 16, v12
	v_or_b32_e32 v35, 6, v20
	s_delay_alu instid0(VALU_DEP_3) | instskip(SKIP_2) | instid1(VALU_DEP_2)
	v_cndmask_b32_e64 v30, 0, v31, s1
	v_cmp_gt_i32_e64 s1, s33, v20
	v_or_b32_e32 v31, 2, v20
	v_cndmask_b32_e64 v29, 0, v29, s1
	v_cmp_gt_i32_e64 s1, s13, v32
	s_delay_alu instid0(VALU_DEP_2) | instskip(NEXT) | instid1(VALU_DEP_2)
	v_perm_b32 v29, v30, v29, 0x5040100
	v_cndmask_b32_e64 v32, 0, v33, s1
	v_or_b32_e32 v33, 5, v20
	v_cmp_gt_i32_e64 s1, s33, v31
	v_or_b32_e32 v31, 4, v20
	s_delay_alu instid0(VALU_DEP_2) | instskip(NEXT) | instid1(VALU_DEP_4)
	v_cndmask_b32_e64 v13, 0, v13, s1
	v_cmp_gt_i32_e64 s1, s13, v33
	s_delay_alu instid0(VALU_DEP_2) | instskip(NEXT) | instid1(VALU_DEP_2)
	v_perm_b32 v13, v32, v13, 0x5040100
	v_cndmask_b32_e64 v33, 0, v34, s1
	v_or_b32_e32 v34, 7, v20
	v_cmp_gt_i32_e64 s1, s33, v31
	s_delay_alu instid0(VALU_DEP_1) | instskip(NEXT) | instid1(VALU_DEP_3)
	v_cndmask_b32_e64 v6, 0, v6, s1
	v_cmp_gt_i32_e64 s1, s13, v34
	s_delay_alu instid0(VALU_DEP_2) | instskip(NEXT) | instid1(VALU_DEP_2)
	v_perm_b32 v6, v33, v6, 0x5040100
	v_cndmask_b32_e64 v12, 0, v12, s1
	v_cmp_gt_i32_e64 s1, s33, v35
	s_delay_alu instid0(VALU_DEP_1) | instskip(NEXT) | instid1(VALU_DEP_1)
	v_cndmask_b32_e64 v28, 0, v28, s1
	v_perm_b32 v12, v12, v28, 0x5040100
.LBB304_444:                            ;   in Loop: Header=BB304_258 Depth=1
	s_or_b32 exec_lo, exec_lo, s14
	;;#ASMSTART
	v_pk_mul_f16 v28, v25, v29;

	;;#ASMEND
	;;#ASMSTART
	v_pk_mul_f16 v13, v24, v13;

	;;#ASMEND
	;; [unrolled: 4-line block ×4, first 2 shown]
	;;#ASMSTART
	v_pk_add_f16 v13, v28, v13;

	;;#ASMEND
	;;#ASMSTART
	v_pk_add_f16 v6, v13, v6;

	;;#ASMEND
	;; [unrolled: 4-line block ×3, first 2 shown]
	v_dual_add_f32 v13, v26, v27 :: v_dual_and_b32 v12, 0xffff, v6
	v_lshrrev_b32_e32 v6, 16, v6
	;;#ASMSTART
	v_cvt_f32_f16 v12, v12;
	;;#ASMEND
	;;#ASMSTART
	v_cvt_f32_f16 v6, v6;
	;;#ASMEND
	s_delay_alu instid0(VALU_DEP_2) | instskip(NEXT) | instid1(VALU_DEP_2)
	v_dual_add_f32 v14, v14, v15 :: v_dual_add_f32 v1, v1, v13
	v_add_f32_e32 v6, v12, v6
	s_delay_alu instid0(VALU_DEP_2) | instskip(NEXT) | instid1(VALU_DEP_2)
	v_add_f32_e32 v2, v2, v14
	v_add_f32_e32 v3, v3, v6
	s_and_saveexec_b32 s14, vcc_lo
	s_cbranch_execz .LBB304_257
; %bb.445:                              ;   in Loop: Header=BB304_258 Depth=1
	v_add_co_u32 v10, s1, v10, v19
	s_delay_alu instid0(VALU_DEP_1)
	v_add_co_ci_u32_e64 v11, s1, 0, v11, s1
	v_mov_b32_e32 v14, 0
	s_mov_b32 s15, exec_lo
	global_load_b64 v[10:11], v[10:11], off
	global_load_b32 v12, v7, s[6:7]
	s_waitcnt vmcnt(1)
	v_dual_mov_b32 v13, 0 :: v_dual_and_b32 v6, 0xff, v10
	s_delay_alu instid0(VALU_DEP_1)
	v_cmpx_ne_u16_e32 0, v6
	s_cbranch_execz .LBB304_451
; %bb.446:                              ;   in Loop: Header=BB304_258 Depth=1
	v_bfrev_b32_e32 v13, 1
	s_mov_b32 s16, exec_lo
	v_cmpx_ne_u16_e32 0x80, v6
	s_cbranch_execz .LBB304_450
; %bb.447:                              ;   in Loop: Header=BB304_258 Depth=1
	v_and_b32_e32 v6, 0x7f, v10
	v_mov_b32_e32 v13, 0x7fc02000
	s_mov_b32 s17, exec_lo
	s_delay_alu instid0(VALU_DEP_2)
	v_cmpx_ne_u32_e32 0x7f, v6
	s_cbranch_execz .LBB304_449
; %bb.448:                              ;   in Loop: Header=BB304_258 Depth=1
	v_and_b32_e32 v13, 7, v10
	v_cmp_gt_u32_e64 s1, 8, v6
	v_lshrrev_b32_e32 v15, 3, v6
	s_delay_alu instid0(VALU_DEP_3) | instskip(NEXT) | instid1(VALU_DEP_1)
	v_clz_i32_u32_e32 v13, v13
	v_min_u32_e32 v13, 32, v13
	s_delay_alu instid0(VALU_DEP_1) | instskip(SKIP_1) | instid1(VALU_DEP_2)
	v_subrev_nc_u32_e32 v26, 28, v13
	v_sub_nc_u32_e32 v13, 29, v13
	v_cndmask_b32_e64 v6, 0, v26, s1
	s_delay_alu instid0(VALU_DEP_2) | instskip(NEXT) | instid1(VALU_DEP_2)
	v_cndmask_b32_e64 v13, v15, v13, s1
	v_lshlrev_b64 v[26:27], v6, v[10:11]
	v_lshlrev_b32_e32 v6, 8, v10
	s_delay_alu instid0(VALU_DEP_3) | instskip(NEXT) | instid1(VALU_DEP_3)
	v_lshl_add_u32 v13, v13, 10, 0x2000
	v_lshlrev_b32_e32 v15, 7, v26
	s_delay_alu instid0(VALU_DEP_2) | instskip(NEXT) | instid1(VALU_DEP_1)
	v_and_or_b32 v6, 0x8000, v6, v13
	v_and_or_b32 v6, 0x380, v15, v6
	s_delay_alu instid0(VALU_DEP_1)
	v_cvt_f32_f16_e32 v13, v6
.LBB304_449:                            ;   in Loop: Header=BB304_258 Depth=1
	s_or_b32 exec_lo, exec_lo, s17
.LBB304_450:                            ;   in Loop: Header=BB304_258 Depth=1
	s_delay_alu instid0(SALU_CYCLE_1)
	s_or_b32 exec_lo, exec_lo, s16
.LBB304_451:                            ;   in Loop: Header=BB304_258 Depth=1
	s_delay_alu instid0(SALU_CYCLE_1) | instskip(SKIP_2) | instid1(VALU_DEP_1)
	s_or_b32 exec_lo, exec_lo, s15
	v_lshrrev_b16 v6, 8, v10
	s_mov_b32 s15, exec_lo
	v_cmpx_ne_u16_e32 0, v6
	s_cbranch_execz .LBB304_459
; %bb.452:                              ;   in Loop: Header=BB304_258 Depth=1
	v_bfrev_b32_e32 v14, 1
	s_mov_b32 s16, exec_lo
	v_cmpx_ne_u16_e32 0x80, v6
	s_cbranch_execz .LBB304_458
; %bb.453:                              ;   in Loop: Header=BB304_258 Depth=1
	v_and_b32_e32 v15, 0xffff, v6
	v_mov_b32_e32 v14, 0x7fc02000
	s_mov_b32 s17, exec_lo
	s_delay_alu instid0(VALU_DEP_2) | instskip(NEXT) | instid1(VALU_DEP_1)
	v_and_b32_e32 v26, 0x7f, v15
	v_cmpx_ne_u32_e32 0x7f, v26
	s_cbranch_execz .LBB304_457
; %bb.454:                              ;   in Loop: Header=BB304_258 Depth=1
	v_and_b32_e32 v6, 7, v15
	v_lshrrev_b32_e32 v14, 3, v26
	s_mov_b32 s18, exec_lo
	v_cmpx_gt_u32_e32 8, v26
; %bb.455:                              ;   in Loop: Header=BB304_258 Depth=1
	s_delay_alu instid0(VALU_DEP_3) | instskip(NEXT) | instid1(VALU_DEP_1)
	v_clz_i32_u32_e32 v14, v6
	v_min_u32_e32 v14, 32, v14
	s_delay_alu instid0(VALU_DEP_1) | instskip(SKIP_1) | instid1(VALU_DEP_2)
	v_subrev_nc_u32_e32 v26, 28, v14
	v_sub_nc_u32_e32 v14, 29, v14
	v_lshlrev_b64 v[26:27], v26, v[6:7]
	s_delay_alu instid0(VALU_DEP_1)
	v_and_b32_e32 v6, 7, v26
; %bb.456:                              ;   in Loop: Header=BB304_258 Depth=1
	s_or_b32 exec_lo, exec_lo, s18
	v_lshlrev_b32_e32 v15, 8, v15
	v_lshl_add_u32 v14, v14, 10, 0x2000
	s_delay_alu instid0(VALU_DEP_1) | instskip(NEXT) | instid1(VALU_DEP_1)
	v_and_or_b32 v14, 0x8000, v15, v14
	v_lshl_or_b32 v6, v6, 7, v14
	s_delay_alu instid0(VALU_DEP_1)
	v_cvt_f32_f16_e32 v14, v6
.LBB304_457:                            ;   in Loop: Header=BB304_258 Depth=1
	s_or_b32 exec_lo, exec_lo, s17
.LBB304_458:                            ;   in Loop: Header=BB304_258 Depth=1
	s_delay_alu instid0(SALU_CYCLE_1)
	s_or_b32 exec_lo, exec_lo, s16
.LBB304_459:                            ;   in Loop: Header=BB304_258 Depth=1
	s_delay_alu instid0(SALU_CYCLE_1) | instskip(SKIP_3) | instid1(VALU_DEP_2)
	s_or_b32 exec_lo, exec_lo, s15
	v_lshrrev_b32_e32 v27, 16, v10
	v_mov_b32_e32 v26, 0
	s_mov_b32 s15, exec_lo
	v_dual_mov_b32 v15, 0 :: v_dual_and_b32 v6, 0xff, v27
	s_delay_alu instid0(VALU_DEP_1)
	v_cmpx_ne_u16_e32 0, v6
	s_cbranch_execz .LBB304_467
; %bb.460:                              ;   in Loop: Header=BB304_258 Depth=1
	v_bfrev_b32_e32 v15, 1
	s_mov_b32 s16, exec_lo
	v_cmpx_ne_u16_e32 0x80, v6
	s_cbranch_execz .LBB304_466
; %bb.461:                              ;   in Loop: Header=BB304_258 Depth=1
	v_bfe_u32 v28, v10, 16, 7
	v_mov_b32_e32 v15, 0x7fc02000
	s_mov_b32 s17, exec_lo
	s_delay_alu instid0(VALU_DEP_2)
	v_cmpx_ne_u32_e32 0x7f, v28
	s_cbranch_execz .LBB304_465
; %bb.462:                              ;   in Loop: Header=BB304_258 Depth=1
	v_and_b32_e32 v6, 7, v27
	v_lshrrev_b32_e32 v15, 3, v28
	s_mov_b32 s18, exec_lo
	v_cmpx_gt_u32_e32 8, v28
; %bb.463:                              ;   in Loop: Header=BB304_258 Depth=1
	s_delay_alu instid0(VALU_DEP_3) | instskip(NEXT) | instid1(VALU_DEP_1)
	v_clz_i32_u32_e32 v15, v6
	v_min_u32_e32 v15, 32, v15
	s_delay_alu instid0(VALU_DEP_1) | instskip(SKIP_1) | instid1(VALU_DEP_2)
	v_subrev_nc_u32_e32 v28, 28, v15
	v_sub_nc_u32_e32 v15, 29, v15
	v_lshlrev_b64 v[28:29], v28, v[6:7]
	s_delay_alu instid0(VALU_DEP_1)
	v_and_b32_e32 v6, 7, v28
; %bb.464:                              ;   in Loop: Header=BB304_258 Depth=1
	s_or_b32 exec_lo, exec_lo, s18
	v_lshlrev_b32_e32 v27, 8, v27
	v_lshl_add_u32 v15, v15, 10, 0x2000
	s_delay_alu instid0(VALU_DEP_1) | instskip(NEXT) | instid1(VALU_DEP_1)
	v_and_or_b32 v15, 0x8000, v27, v15
	v_lshl_or_b32 v6, v6, 7, v15
	s_delay_alu instid0(VALU_DEP_1)
	v_cvt_f32_f16_e32 v15, v6
.LBB304_465:                            ;   in Loop: Header=BB304_258 Depth=1
	s_or_b32 exec_lo, exec_lo, s17
.LBB304_466:                            ;   in Loop: Header=BB304_258 Depth=1
	s_delay_alu instid0(SALU_CYCLE_1)
	s_or_b32 exec_lo, exec_lo, s16
.LBB304_467:                            ;   in Loop: Header=BB304_258 Depth=1
	s_delay_alu instid0(SALU_CYCLE_1) | instskip(NEXT) | instid1(SALU_CYCLE_1)
	s_or_b32 exec_lo, exec_lo, s15
	s_mov_b32 s15, exec_lo
	v_cmpx_lt_u32_e32 0xffffff, v10
	s_cbranch_execz .LBB304_475
; %bb.468:                              ;   in Loop: Header=BB304_258 Depth=1
	v_lshrrev_b32_e32 v27, 24, v10
	v_bfrev_b32_e32 v26, 1
	s_mov_b32 s16, exec_lo
	s_delay_alu instid0(VALU_DEP_2)
	v_cmpx_ne_u32_e32 0x80, v27
	s_cbranch_execz .LBB304_474
; %bb.469:                              ;   in Loop: Header=BB304_258 Depth=1
	v_and_b32_e32 v28, 0x7f, v27
	v_mov_b32_e32 v26, 0x7fc02000
	s_mov_b32 s17, exec_lo
	s_delay_alu instid0(VALU_DEP_2)
	v_cmpx_ne_u32_e32 0x7f, v28
	s_cbranch_execz .LBB304_473
; %bb.470:                              ;   in Loop: Header=BB304_258 Depth=1
	v_and_b32_e32 v6, 7, v27
	v_lshrrev_b32_e32 v26, 3, v28
	s_mov_b32 s18, exec_lo
	v_cmpx_gt_u32_e32 8, v28
; %bb.471:                              ;   in Loop: Header=BB304_258 Depth=1
	s_delay_alu instid0(VALU_DEP_3) | instskip(NEXT) | instid1(VALU_DEP_1)
	v_clz_i32_u32_e32 v26, v6
	v_min_u32_e32 v26, 32, v26
	s_delay_alu instid0(VALU_DEP_1) | instskip(SKIP_1) | instid1(VALU_DEP_2)
	v_subrev_nc_u32_e32 v28, 28, v26
	v_sub_nc_u32_e32 v26, 29, v26
	v_lshlrev_b64 v[28:29], v28, v[6:7]
	s_delay_alu instid0(VALU_DEP_1)
	v_and_b32_e32 v6, 7, v28
; %bb.472:                              ;   in Loop: Header=BB304_258 Depth=1
	s_or_b32 exec_lo, exec_lo, s18
	v_lshlrev_b32_e32 v27, 8, v27
	v_lshl_add_u32 v26, v26, 10, 0x2000
	s_delay_alu instid0(VALU_DEP_1) | instskip(NEXT) | instid1(VALU_DEP_1)
	v_and_or_b32 v26, 0x8000, v27, v26
	v_lshl_or_b32 v6, v6, 7, v26
	s_delay_alu instid0(VALU_DEP_1)
	v_cvt_f32_f16_e32 v26, v6
.LBB304_473:                            ;   in Loop: Header=BB304_258 Depth=1
	s_or_b32 exec_lo, exec_lo, s17
.LBB304_474:                            ;   in Loop: Header=BB304_258 Depth=1
	s_delay_alu instid0(SALU_CYCLE_1)
	s_or_b32 exec_lo, exec_lo, s16
.LBB304_475:                            ;   in Loop: Header=BB304_258 Depth=1
	s_delay_alu instid0(SALU_CYCLE_1) | instskip(SKIP_3) | instid1(VALU_DEP_2)
	s_or_b32 exec_lo, exec_lo, s15
	v_dual_mov_b32 v6, v11 :: v_dual_and_b32 v29, 0xff, v11
	v_dual_mov_b32 v28, 0 :: v_dual_mov_b32 v27, 0
	s_mov_b32 s15, exec_lo
	v_cmpx_ne_u16_e32 0, v29
	s_cbranch_execz .LBB304_481
; %bb.476:                              ;   in Loop: Header=BB304_258 Depth=1
	v_bfrev_b32_e32 v27, 1
	s_mov_b32 s16, exec_lo
	v_cmpx_ne_u16_e32 0x80, v29
	s_cbranch_execz .LBB304_480
; %bb.477:                              ;   in Loop: Header=BB304_258 Depth=1
	v_and_b32_e32 v29, 0x7f, v11
	v_mov_b32_e32 v27, 0x7fc02000
	s_mov_b32 s17, exec_lo
	s_delay_alu instid0(VALU_DEP_2)
	v_cmpx_ne_u32_e32 0x7f, v29
	s_cbranch_execz .LBB304_479
; %bb.478:                              ;   in Loop: Header=BB304_258 Depth=1
	v_and_b32_e32 v27, 7, v11
	v_cmp_gt_u32_e64 s1, 8, v29
	v_lshrrev_b32_e32 v30, 3, v29
	s_delay_alu instid0(VALU_DEP_3) | instskip(NEXT) | instid1(VALU_DEP_1)
	v_clz_i32_u32_e32 v27, v27
	v_min_u32_e32 v27, 32, v27
	s_delay_alu instid0(VALU_DEP_1) | instskip(SKIP_1) | instid1(VALU_DEP_2)
	v_subrev_nc_u32_e32 v31, 28, v27
	v_sub_nc_u32_e32 v27, 29, v27
	v_cndmask_b32_e64 v29, 0, v31, s1
	s_delay_alu instid0(VALU_DEP_2) | instskip(NEXT) | instid1(VALU_DEP_2)
	v_cndmask_b32_e64 v27, v30, v27, s1
	v_lshlrev_b64 v[29:30], v29, v[6:7]
	v_lshlrev_b32_e32 v30, 8, v11
	s_delay_alu instid0(VALU_DEP_3) | instskip(NEXT) | instid1(VALU_DEP_3)
	v_lshl_add_u32 v27, v27, 10, 0x2000
	v_lshlrev_b32_e32 v29, 7, v29
	s_delay_alu instid0(VALU_DEP_2) | instskip(NEXT) | instid1(VALU_DEP_1)
	v_and_or_b32 v27, 0x8000, v30, v27
	v_and_or_b32 v27, 0x380, v29, v27
	s_delay_alu instid0(VALU_DEP_1)
	v_cvt_f32_f16_e32 v27, v27
.LBB304_479:                            ;   in Loop: Header=BB304_258 Depth=1
	s_or_b32 exec_lo, exec_lo, s17
.LBB304_480:                            ;   in Loop: Header=BB304_258 Depth=1
	s_delay_alu instid0(SALU_CYCLE_1)
	s_or_b32 exec_lo, exec_lo, s16
.LBB304_481:                            ;   in Loop: Header=BB304_258 Depth=1
	s_delay_alu instid0(SALU_CYCLE_1) | instskip(SKIP_2) | instid1(VALU_DEP_1)
	s_or_b32 exec_lo, exec_lo, s15
	v_lshrrev_b16 v6, 8, v6
	s_mov_b32 s15, exec_lo
	v_cmpx_ne_u16_e32 0, v6
	s_cbranch_execz .LBB304_489
; %bb.482:                              ;   in Loop: Header=BB304_258 Depth=1
	v_bfrev_b32_e32 v28, 1
	s_mov_b32 s16, exec_lo
	v_cmpx_ne_u16_e32 0x80, v6
	s_cbranch_execz .LBB304_488
; %bb.483:                              ;   in Loop: Header=BB304_258 Depth=1
	v_and_b32_e32 v29, 0xffff, v6
	v_mov_b32_e32 v28, 0x7fc02000
	s_mov_b32 s17, exec_lo
	s_delay_alu instid0(VALU_DEP_2) | instskip(NEXT) | instid1(VALU_DEP_1)
	v_and_b32_e32 v30, 0x7f, v29
	v_cmpx_ne_u32_e32 0x7f, v30
	s_cbranch_execz .LBB304_487
; %bb.484:                              ;   in Loop: Header=BB304_258 Depth=1
	v_and_b32_e32 v6, 7, v29
	v_lshrrev_b32_e32 v28, 3, v30
	s_mov_b32 s18, exec_lo
	v_cmpx_gt_u32_e32 8, v30
; %bb.485:                              ;   in Loop: Header=BB304_258 Depth=1
	s_delay_alu instid0(VALU_DEP_3) | instskip(NEXT) | instid1(VALU_DEP_1)
	v_clz_i32_u32_e32 v28, v6
	v_min_u32_e32 v28, 32, v28
	s_delay_alu instid0(VALU_DEP_1) | instskip(SKIP_1) | instid1(VALU_DEP_2)
	v_subrev_nc_u32_e32 v30, 28, v28
	v_sub_nc_u32_e32 v28, 29, v28
	v_lshlrev_b64 v[30:31], v30, v[6:7]
	s_delay_alu instid0(VALU_DEP_1)
	v_and_b32_e32 v6, 7, v30
; %bb.486:                              ;   in Loop: Header=BB304_258 Depth=1
	s_or_b32 exec_lo, exec_lo, s18
	v_lshlrev_b32_e32 v29, 8, v29
	v_lshl_add_u32 v28, v28, 10, 0x2000
	s_delay_alu instid0(VALU_DEP_1) | instskip(NEXT) | instid1(VALU_DEP_1)
	v_and_or_b32 v28, 0x8000, v29, v28
	v_lshl_or_b32 v6, v6, 7, v28
	s_delay_alu instid0(VALU_DEP_1)
	v_cvt_f32_f16_e32 v28, v6
.LBB304_487:                            ;   in Loop: Header=BB304_258 Depth=1
	s_or_b32 exec_lo, exec_lo, s17
.LBB304_488:                            ;   in Loop: Header=BB304_258 Depth=1
	s_delay_alu instid0(SALU_CYCLE_1)
	s_or_b32 exec_lo, exec_lo, s16
.LBB304_489:                            ;   in Loop: Header=BB304_258 Depth=1
	s_delay_alu instid0(SALU_CYCLE_1) | instskip(SKIP_3) | instid1(VALU_DEP_2)
	s_or_b32 exec_lo, exec_lo, s15
	v_lshrrev_b32_e32 v31, 16, v11
	v_mov_b32_e32 v30, 0
	s_mov_b32 s15, exec_lo
	v_dual_mov_b32 v29, 0 :: v_dual_and_b32 v6, 0xff, v31
	s_delay_alu instid0(VALU_DEP_1)
	v_cmpx_ne_u16_e32 0, v6
	s_cbranch_execz .LBB304_497
; %bb.490:                              ;   in Loop: Header=BB304_258 Depth=1
	v_bfrev_b32_e32 v29, 1
	s_mov_b32 s16, exec_lo
	v_cmpx_ne_u16_e32 0x80, v6
	s_cbranch_execz .LBB304_496
; %bb.491:                              ;   in Loop: Header=BB304_258 Depth=1
	v_bfe_u32 v32, v11, 16, 7
	v_mov_b32_e32 v29, 0x7fc02000
	s_mov_b32 s17, exec_lo
	s_delay_alu instid0(VALU_DEP_2)
	v_cmpx_ne_u32_e32 0x7f, v32
	s_cbranch_execz .LBB304_495
; %bb.492:                              ;   in Loop: Header=BB304_258 Depth=1
	v_and_b32_e32 v6, 7, v31
	v_lshrrev_b32_e32 v29, 3, v32
	s_mov_b32 s18, exec_lo
	v_cmpx_gt_u32_e32 8, v32
; %bb.493:                              ;   in Loop: Header=BB304_258 Depth=1
	s_delay_alu instid0(VALU_DEP_3) | instskip(NEXT) | instid1(VALU_DEP_1)
	v_clz_i32_u32_e32 v29, v6
	v_min_u32_e32 v29, 32, v29
	s_delay_alu instid0(VALU_DEP_1) | instskip(SKIP_1) | instid1(VALU_DEP_2)
	v_subrev_nc_u32_e32 v32, 28, v29
	v_sub_nc_u32_e32 v29, 29, v29
	v_lshlrev_b64 v[32:33], v32, v[6:7]
	s_delay_alu instid0(VALU_DEP_1)
	v_and_b32_e32 v6, 7, v32
; %bb.494:                              ;   in Loop: Header=BB304_258 Depth=1
	s_or_b32 exec_lo, exec_lo, s18
	v_lshlrev_b32_e32 v31, 8, v31
	v_lshl_add_u32 v29, v29, 10, 0x2000
	s_delay_alu instid0(VALU_DEP_1) | instskip(NEXT) | instid1(VALU_DEP_1)
	v_and_or_b32 v29, 0x8000, v31, v29
	v_lshl_or_b32 v6, v6, 7, v29
	s_delay_alu instid0(VALU_DEP_1)
	v_cvt_f32_f16_e32 v29, v6
.LBB304_495:                            ;   in Loop: Header=BB304_258 Depth=1
	s_or_b32 exec_lo, exec_lo, s17
.LBB304_496:                            ;   in Loop: Header=BB304_258 Depth=1
	s_delay_alu instid0(SALU_CYCLE_1)
	s_or_b32 exec_lo, exec_lo, s16
.LBB304_497:                            ;   in Loop: Header=BB304_258 Depth=1
	s_delay_alu instid0(SALU_CYCLE_1) | instskip(NEXT) | instid1(SALU_CYCLE_1)
	s_or_b32 exec_lo, exec_lo, s15
	s_mov_b32 s15, exec_lo
	v_cmpx_lt_u64_e64 s[10:11], v[10:11]
	s_cbranch_execz .LBB304_505
; %bb.498:                              ;   in Loop: Header=BB304_258 Depth=1
	v_lshrrev_b32_e32 v10, 24, v11
	v_bfrev_b32_e32 v30, 1
	s_mov_b32 s16, exec_lo
	s_delay_alu instid0(VALU_DEP_2)
	v_cmpx_ne_u32_e32 0x80, v10
	s_cbranch_execz .LBB304_504
; %bb.499:                              ;   in Loop: Header=BB304_258 Depth=1
	v_and_b32_e32 v31, 0x7f, v10
	v_mov_b32_e32 v30, 0x7fc02000
	s_mov_b32 s17, exec_lo
	s_delay_alu instid0(VALU_DEP_2)
	v_cmpx_ne_u32_e32 0x7f, v31
	s_cbranch_execz .LBB304_503
; %bb.500:                              ;   in Loop: Header=BB304_258 Depth=1
	v_and_b32_e32 v6, 7, v10
	v_lshrrev_b32_e32 v11, 3, v31
	s_mov_b32 s18, exec_lo
	v_cmpx_gt_u32_e32 8, v31
; %bb.501:                              ;   in Loop: Header=BB304_258 Depth=1
	s_delay_alu instid0(VALU_DEP_3) | instskip(NEXT) | instid1(VALU_DEP_1)
	v_clz_i32_u32_e32 v11, v6
	v_min_u32_e32 v11, 32, v11
	s_delay_alu instid0(VALU_DEP_1) | instskip(SKIP_1) | instid1(VALU_DEP_2)
	v_subrev_nc_u32_e32 v30, 28, v11
	v_sub_nc_u32_e32 v11, 29, v11
	v_lshlrev_b64 v[30:31], v30, v[6:7]
	s_delay_alu instid0(VALU_DEP_1)
	v_and_b32_e32 v6, 7, v30
; %bb.502:                              ;   in Loop: Header=BB304_258 Depth=1
	s_or_b32 exec_lo, exec_lo, s18
	v_lshlrev_b32_e32 v10, 8, v10
	v_lshl_add_u32 v11, v11, 10, 0x2000
	s_delay_alu instid0(VALU_DEP_1) | instskip(NEXT) | instid1(VALU_DEP_1)
	v_and_or_b32 v10, 0x8000, v10, v11
	v_lshl_or_b32 v6, v6, 7, v10
	s_delay_alu instid0(VALU_DEP_1)
	v_cvt_f32_f16_e32 v30, v6
.LBB304_503:                            ;   in Loop: Header=BB304_258 Depth=1
	s_or_b32 exec_lo, exec_lo, s17
.LBB304_504:                            ;   in Loop: Header=BB304_258 Depth=1
	s_delay_alu instid0(SALU_CYCLE_1)
	s_or_b32 exec_lo, exec_lo, s16
.LBB304_505:                            ;   in Loop: Header=BB304_258 Depth=1
	s_delay_alu instid0(SALU_CYCLE_1)
	s_or_b32 exec_lo, exec_lo, s15
	s_waitcnt vmcnt(0)
	v_fma_mixlo_f16 v11, v12, v14, 0
	v_fma_mixlo_f16 v6, v12, v26, 0
	;; [unrolled: 1-line block ×5, first 2 shown]
	v_lshlrev_b32_e32 v14, 16, v11
	v_fma_mixlo_f16 v26, v12, v27, 0
	v_fma_mixlo_f16 v27, v12, v30, 0
	v_fma_mixlo_f16 v11, v12, v29, 0
	v_lshlrev_b32_e32 v6, 16, v6
	v_and_b32_e32 v10, 0xffff, v10
	v_and_b32_e32 v13, 0xffff, v13
	v_lshlrev_b32_e32 v15, 16, v15
	v_and_b32_e32 v26, 0xffff, v26
	v_lshlrev_b32_e32 v27, 16, v27
	v_and_b32_e32 v28, 0xffff, v11
	v_or_b32_e32 v12, v6, v10
	v_or_b32_e32 v13, v14, v13
	;; [unrolled: 1-line block ×3, first 2 shown]
	s_delay_alu instid0(VALU_DEP_4)
	v_or_b32_e32 v10, v27, v28
	s_and_saveexec_b32 s1, s0
	s_cbranch_execz .LBB304_256
; %bb.506:                              ;   in Loop: Header=BB304_258 Depth=1
	v_add_nc_u32_e32 v14, 1, v20
	v_lshrrev_b32_e32 v15, 16, v13
	v_or_b32_e32 v26, 3, v20
	v_lshrrev_b32_e32 v27, 16, v12
	v_lshrrev_b32_e32 v28, 16, v6
	v_cmp_gt_i32_e64 s0, s13, v14
	v_lshrrev_b32_e32 v10, 16, v10
	v_or_b32_e32 v29, 6, v20
	s_delay_alu instid0(VALU_DEP_3) | instskip(SKIP_2) | instid1(VALU_DEP_2)
	v_cndmask_b32_e64 v14, 0, v15, s0
	v_cmp_gt_i32_e64 s0, s33, v20
	v_or_b32_e32 v15, 2, v20
	v_cndmask_b32_e64 v13, 0, v13, s0
	v_cmp_gt_i32_e64 s0, s13, v26
	s_delay_alu instid0(VALU_DEP_2) | instskip(NEXT) | instid1(VALU_DEP_2)
	v_perm_b32 v13, v14, v13, 0x5040100
	v_cndmask_b32_e64 v26, 0, v27, s0
	v_or_b32_e32 v27, 5, v20
	v_cmp_gt_i32_e64 s0, s33, v15
	v_or_b32_e32 v15, 4, v20
	s_delay_alu instid0(VALU_DEP_2) | instskip(NEXT) | instid1(VALU_DEP_4)
	v_cndmask_b32_e64 v12, 0, v12, s0
	v_cmp_gt_i32_e64 s0, s13, v27
	s_delay_alu instid0(VALU_DEP_2) | instskip(NEXT) | instid1(VALU_DEP_2)
	v_perm_b32 v12, v26, v12, 0x5040100
	v_cndmask_b32_e64 v27, 0, v28, s0
	v_or_b32_e32 v28, 7, v20
	v_cmp_gt_i32_e64 s0, s33, v15
	s_delay_alu instid0(VALU_DEP_1) | instskip(NEXT) | instid1(VALU_DEP_3)
	v_cndmask_b32_e64 v6, 0, v6, s0
	v_cmp_gt_i32_e64 s0, s13, v28
	s_delay_alu instid0(VALU_DEP_2) | instskip(NEXT) | instid1(VALU_DEP_2)
	v_perm_b32 v6, v27, v6, 0x5040100
	v_cndmask_b32_e64 v10, 0, v10, s0
	v_cmp_gt_i32_e64 s0, s33, v29
	s_delay_alu instid0(VALU_DEP_1) | instskip(NEXT) | instid1(VALU_DEP_1)
	v_cndmask_b32_e64 v11, 0, v11, s0
	v_perm_b32 v10, v10, v11, 0x5040100
	s_branch .LBB304_256
.LBB304_507:
	s_or_b32 exec_lo, exec_lo, s12
.LBB304_508:
	s_delay_alu instid0(SALU_CYCLE_1)
	s_or_b32 exec_lo, exec_lo, s5
	v_and_b32_e32 v5, 0x3c0, v0
	s_movk_i32 s0, 0x1c0
	s_waitcnt_vscnt null, 0x0
	v_mad_u32_u24 v6, v16, s0, 0x100
	s_barrier
	v_cmp_eq_u32_e32 vcc_lo, 64, v5
	v_or_b32_e32 v5, 0x60, v0
	buffer_gl0_inv
	s_and_saveexec_b32 s0, vcc_lo
	s_cbranch_execz .LBB304_511
; %bb.509:
	v_add_nc_u32_e32 v7, 0xfffffc80, v6
	v_cmp_gt_u32_e32 vcc_lo, 0x70, v5
	s_delay_alu instid0(VALU_DEP_2)
	v_lshl_add_u32 v8, v17, 2, v7
	ds_store_2addr_b32 v8, v1, v2 offset1:32
	ds_store_b32 v8, v3 offset:256
	s_and_b32 exec_lo, exec_lo, vcc_lo
	s_cbranch_execz .LBB304_511
; %bb.510:
	v_lshl_add_u32 v7, v5, 2, v7
	ds_store_b32 v7, v4
.LBB304_511:
	s_or_b32 exec_lo, exec_lo, s0
	v_lshl_add_u32 v7, v17, 2, v6
	s_mov_b32 s0, exec_lo
	s_waitcnt lgkmcnt(0)
	s_barrier
	buffer_gl0_inv
	v_cmpx_gt_u32_e32 64, v0
	s_cbranch_execz .LBB304_515
; %bb.512:
	v_lshl_or_b32 v8, v0, 2, 0x80
	s_mov_b32 s1, exec_lo
	s_delay_alu instid0(VALU_DEP_1)
	v_add_nc_u32_e32 v10, v6, v8
	ds_load_2addr_stride64_b32 v[8:9], v7 offset1:1
	ds_load_b32 v10, v10
	s_waitcnt lgkmcnt(1)
	v_add_f32_e32 v3, v3, v9
	s_waitcnt lgkmcnt(0)
	v_dual_add_f32 v1, v1, v8 :: v_dual_add_f32 v2, v2, v10
	v_cmpx_gt_u32_e32 0x70, v5
	s_cbranch_execz .LBB304_514
; %bb.513:
	v_lshl_add_u32 v8, v5, 2, v6
	ds_load_b32 v8, v8
	s_waitcnt lgkmcnt(0)
	v_add_f32_e32 v4, v4, v8
.LBB304_514:
	s_or_b32 exec_lo, exec_lo, s1
.LBB304_515:
	s_delay_alu instid0(SALU_CYCLE_1)
	s_or_b32 exec_lo, exec_lo, s0
	v_and_b32_e32 v8, 0x3e0, v0
	s_mov_b32 s0, exec_lo
	s_barrier
	buffer_gl0_inv
	v_cmpx_eq_u32_e32 32, v8
	s_cbranch_execz .LBB304_518
; %bb.516:
	v_add_nc_u32_e32 v8, 0xfffffe40, v6
	v_cmp_gt_u32_e32 vcc_lo, 0x70, v5
	s_delay_alu instid0(VALU_DEP_2)
	v_lshl_add_u32 v9, v17, 2, v8
	v_lshl_add_u32 v10, v0, 2, v8
	ds_store_b32 v9, v1
	ds_store_b32 v10, v2
	ds_store_b32 v9, v3 offset:256
	s_and_b32 exec_lo, exec_lo, vcc_lo
	s_cbranch_execz .LBB304_518
; %bb.517:
	v_lshl_add_u32 v8, v5, 2, v8
	ds_store_b32 v8, v4
.LBB304_518:
	s_or_b32 exec_lo, exec_lo, s0
	v_cmp_gt_u32_e32 vcc_lo, 32, v0
	s_waitcnt lgkmcnt(0)
	s_barrier
	buffer_gl0_inv
	s_and_saveexec_b32 s1, vcc_lo
	s_cbranch_execz .LBB304_522
; %bb.519:
	v_lshl_add_u32 v6, v0, 2, v6
	s_mov_b32 s2, exec_lo
	ds_load_b32 v9, v7
	ds_load_2addr_b32 v[7:8], v6 offset0:32 offset1:64
	s_waitcnt lgkmcnt(0)
	v_dual_add_f32 v1, v1, v9 :: v_dual_add_f32 v2, v2, v7
	v_add_f32_e32 v3, v3, v8
	v_cmpx_gt_u32_e32 0x70, v5
	s_cbranch_execz .LBB304_521
; %bb.520:
	ds_load_b32 v6, v6 offset:384
	s_waitcnt lgkmcnt(0)
	v_add_f32_e32 v4, v4, v6
.LBB304_521:
	s_or_b32 exec_lo, exec_lo, s2
.LBB304_522:
	s_delay_alu instid0(SALU_CYCLE_1)
	s_or_b32 exec_lo, exec_lo, s1
	s_barrier
	buffer_gl0_inv
	s_and_saveexec_b32 s0, vcc_lo
	s_cbranch_execz .LBB304_525
; %bb.523:
	s_mul_i32 s0, s4, 0x70
	s_mul_i32 s2, s8, s22
	s_ashr_i32 s1, s0, 31
	v_lshlrev_b32_e32 v0, 1, v0
	s_lshl_b64 s[0:1], s[0:1], 1
	v_cmp_gt_u32_e32 vcc_lo, 0x70, v5
	s_add_u32 s4, s24, s0
	s_addc_u32 s5, s25, s1
	s_ashr_i32 s3, s2, 31
	;;#ASMSTART
	v_cvt_f16_f32 v1, v1;

	;;#ASMEND
	s_lshl_b64 s[0:1], s[2:3], 1
	s_mul_i32 s2, s20, 0x70
	s_add_u32 s4, s4, s0
	s_addc_u32 s5, s5, s1
	s_ashr_i32 s3, s2, 31
	s_delay_alu instid0(SALU_CYCLE_1) | instskip(NEXT) | instid1(SALU_CYCLE_1)
	s_lshl_b64 s[0:1], s[2:3], 1
	s_add_u32 s0, s4, s0
	s_addc_u32 s1, s5, s1
	global_store_b16 v0, v1, s[0:1]
	;;#ASMSTART
	v_cvt_f16_f32 v1, v2;

	;;#ASMEND
	global_store_b16 v0, v1, s[0:1] offset:64
	;;#ASMSTART
	v_cvt_f16_f32 v1, v3;

	;;#ASMEND
	global_store_b16 v0, v1, s[0:1] offset:128
	s_and_b32 exec_lo, exec_lo, vcc_lo
	s_cbranch_execz .LBB304_525
; %bb.524:
	v_add_co_u32 v0, s0, s0, v0
	s_delay_alu instid0(VALU_DEP_1)
	v_add_co_ci_u32_e64 v1, null, s1, 0, s0
	;;#ASMSTART
	v_cvt_f16_f32 v2, v4;

	;;#ASMEND
	global_store_b16 v[0:1], v2, off offset:192
.LBB304_525:
	s_nop 0
	s_sendmsg sendmsg(MSG_DEALLOC_VGPRS)
	s_endpgm
	.section	.rodata,"a",@progbits
	.p2align	6, 0x0
	.amdhsa_kernel _ZN4vllm25paged_attention_v2_kernelIthLi112ELi8ELi128ELNS_18Fp8KVCacheDataTypeE1ELb0ELi512EEEvPfS2_PT_PKS3_PKT0_S9_ifPKiSB_iPKfiiiSD_SD_iiiii
		.amdhsa_group_segment_fixed_size 256
		.amdhsa_private_segment_fixed_size 0
		.amdhsa_kernarg_size 400
		.amdhsa_user_sgpr_count 13
		.amdhsa_user_sgpr_dispatch_ptr 0
		.amdhsa_user_sgpr_queue_ptr 0
		.amdhsa_user_sgpr_kernarg_segment_ptr 1
		.amdhsa_user_sgpr_dispatch_id 0
		.amdhsa_user_sgpr_private_segment_size 0
		.amdhsa_wavefront_size32 1
		.amdhsa_uses_dynamic_stack 0
		.amdhsa_enable_private_segment 0
		.amdhsa_system_sgpr_workgroup_id_x 1
		.amdhsa_system_sgpr_workgroup_id_y 1
		.amdhsa_system_sgpr_workgroup_id_z 1
		.amdhsa_system_sgpr_workgroup_info 0
		.amdhsa_system_vgpr_workitem_id 0
		.amdhsa_next_free_vgpr 69
		.amdhsa_next_free_sgpr 43
		.amdhsa_reserve_vcc 1
		.amdhsa_float_round_mode_32 0
		.amdhsa_float_round_mode_16_64 0
		.amdhsa_float_denorm_mode_32 3
		.amdhsa_float_denorm_mode_16_64 3
		.amdhsa_dx10_clamp 1
		.amdhsa_ieee_mode 1
		.amdhsa_fp16_overflow 0
		.amdhsa_workgroup_processor_mode 1
		.amdhsa_memory_ordered 1
		.amdhsa_forward_progress 0
		.amdhsa_shared_vgpr_count 0
		.amdhsa_exception_fp_ieee_invalid_op 0
		.amdhsa_exception_fp_denorm_src 0
		.amdhsa_exception_fp_ieee_div_zero 0
		.amdhsa_exception_fp_ieee_overflow 0
		.amdhsa_exception_fp_ieee_underflow 0
		.amdhsa_exception_fp_ieee_inexact 0
		.amdhsa_exception_int_div_zero 0
	.end_amdhsa_kernel
	.section	.text._ZN4vllm25paged_attention_v2_kernelIthLi112ELi8ELi128ELNS_18Fp8KVCacheDataTypeE1ELb0ELi512EEEvPfS2_PT_PKS3_PKT0_S9_ifPKiSB_iPKfiiiSD_SD_iiiii,"axG",@progbits,_ZN4vllm25paged_attention_v2_kernelIthLi112ELi8ELi128ELNS_18Fp8KVCacheDataTypeE1ELb0ELi512EEEvPfS2_PT_PKS3_PKT0_S9_ifPKiSB_iPKfiiiSD_SD_iiiii,comdat
.Lfunc_end304:
	.size	_ZN4vllm25paged_attention_v2_kernelIthLi112ELi8ELi128ELNS_18Fp8KVCacheDataTypeE1ELb0ELi512EEEvPfS2_PT_PKS3_PKT0_S9_ifPKiSB_iPKfiiiSD_SD_iiiii, .Lfunc_end304-_ZN4vllm25paged_attention_v2_kernelIthLi112ELi8ELi128ELNS_18Fp8KVCacheDataTypeE1ELb0ELi512EEEvPfS2_PT_PKS3_PKT0_S9_ifPKiSB_iPKfiiiSD_SD_iiiii
                                        ; -- End function
	.section	.AMDGPU.csdata,"",@progbits
; Kernel info:
; codeLenInByte = 21652
; NumSgprs: 45
; NumVgprs: 69
; ScratchSize: 0
; MemoryBound: 0
; FloatMode: 240
; IeeeMode: 1
; LDSByteSize: 256 bytes/workgroup (compile time only)
; SGPRBlocks: 5
; VGPRBlocks: 8
; NumSGPRsForWavesPerEU: 45
; NumVGPRsForWavesPerEU: 69
; Occupancy: 16
; WaveLimiterHint : 1
; COMPUTE_PGM_RSRC2:SCRATCH_EN: 0
; COMPUTE_PGM_RSRC2:USER_SGPR: 13
; COMPUTE_PGM_RSRC2:TRAP_HANDLER: 0
; COMPUTE_PGM_RSRC2:TGID_X_EN: 1
; COMPUTE_PGM_RSRC2:TGID_Y_EN: 1
; COMPUTE_PGM_RSRC2:TGID_Z_EN: 1
; COMPUTE_PGM_RSRC2:TIDIG_COMP_CNT: 0
	.section	.text._ZN4vllm25paged_attention_v2_kernelIthLi120ELi8ELi128ELNS_18Fp8KVCacheDataTypeE1ELb0ELi512EEEvPfS2_PT_PKS3_PKT0_S9_ifPKiSB_iPKfiiiSD_SD_iiiii,"axG",@progbits,_ZN4vllm25paged_attention_v2_kernelIthLi120ELi8ELi128ELNS_18Fp8KVCacheDataTypeE1ELb0ELi512EEEvPfS2_PT_PKS3_PKT0_S9_ifPKiSB_iPKfiiiSD_SD_iiiii,comdat
	.protected	_ZN4vllm25paged_attention_v2_kernelIthLi120ELi8ELi128ELNS_18Fp8KVCacheDataTypeE1ELb0ELi512EEEvPfS2_PT_PKS3_PKT0_S9_ifPKiSB_iPKfiiiSD_SD_iiiii ; -- Begin function _ZN4vllm25paged_attention_v2_kernelIthLi120ELi8ELi128ELNS_18Fp8KVCacheDataTypeE1ELb0ELi512EEEvPfS2_PT_PKS3_PKT0_S9_ifPKiSB_iPKfiiiSD_SD_iiiii
	.globl	_ZN4vllm25paged_attention_v2_kernelIthLi120ELi8ELi128ELNS_18Fp8KVCacheDataTypeE1ELb0ELi512EEEvPfS2_PT_PKS3_PKT0_S9_ifPKiSB_iPKfiiiSD_SD_iiiii
	.p2align	8
	.type	_ZN4vllm25paged_attention_v2_kernelIthLi120ELi8ELi128ELNS_18Fp8KVCacheDataTypeE1ELb0ELi512EEEvPfS2_PT_PKS3_PKT0_S9_ifPKiSB_iPKfiiiSD_SD_iiiii,@function
_ZN4vllm25paged_attention_v2_kernelIthLi120ELi8ELi128ELNS_18Fp8KVCacheDataTypeE1ELb0ELi512EEEvPfS2_PT_PKS3_PKT0_S9_ifPKiSB_iPKfiiiSD_SD_iiiii: ; @_ZN4vllm25paged_attention_v2_kernelIthLi120ELi8ELi128ELNS_18Fp8KVCacheDataTypeE1ELb0ELi512EEEvPfS2_PT_PKS3_PKT0_S9_ifPKiSB_iPKfiiiSD_SD_iiiii
; %bb.0:
	s_load_b64 s[2:3], s[0:1], 0x40
	s_mov_b32 s20, s15
	s_ashr_i32 s15, s14, 31
	s_delay_alu instid0(SALU_CYCLE_1)
	s_lshl_b64 s[4:5], s[14:15], 2
	s_waitcnt lgkmcnt(0)
	s_add_u32 s2, s2, s4
	s_addc_u32 s3, s3, s5
	s_lshl_b32 s36, s20, 9
	s_load_b32 s33, s[2:3], 0x0
	s_waitcnt lgkmcnt(0)
	s_cmp_ge_i32 s36, s33
	s_cbranch_scc1 .LBB305_541
; %bb.1:
	s_mov_b32 s26, s13
	s_clause 0x1
	s_load_b32 s15, s[0:1], 0x90
	s_load_b64 s[12:13], s[0:1], 0x30
	s_waitcnt lgkmcnt(0)
	s_abs_i32 s5, s15
	s_abs_i32 s2, s12
	s_delay_alu instid0(SALU_CYCLE_1) | instskip(SKIP_1) | instid1(VALU_DEP_1)
	v_cvt_f32_u32_e32 v1, s2
	s_sub_i32 s4, 0, s2
	v_rcp_iflag_f32_e32 v1, v1
	s_waitcnt_depctr 0xfff
	v_mul_f32_e32 v1, 0x4f7ffffe, v1
	s_delay_alu instid0(VALU_DEP_1) | instskip(NEXT) | instid1(VALU_DEP_1)
	v_cvt_u32_f32_e32 v1, v1
	v_readfirstlane_b32 s3, v1
	s_delay_alu instid0(VALU_DEP_1) | instskip(NEXT) | instid1(SALU_CYCLE_1)
	s_mul_i32 s4, s4, s3
	s_mul_hi_u32 s4, s3, s4
	s_delay_alu instid0(SALU_CYCLE_1)
	s_add_i32 s3, s3, s4
	s_xor_b32 s4, s15, s12
	s_mul_hi_u32 s3, s5, s3
	s_ashr_i32 s4, s4, 31
	s_mul_i32 s6, s3, s2
	s_mov_b32 s12, 0
	s_sub_i32 s5, s5, s6
	s_add_i32 s6, s3, 1
	s_sub_i32 s7, s5, s2
	s_cmp_ge_u32 s5, s2
	s_cselect_b32 s3, s6, s3
	s_cselect_b32 s5, s7, s5
	s_add_i32 s6, s3, 1
	s_cmp_ge_u32 s5, s2
	s_cselect_b32 s2, s6, s3
	s_delay_alu instid0(SALU_CYCLE_1) | instskip(NEXT) | instid1(SALU_CYCLE_1)
	s_xor_b32 s2, s2, s4
	s_sub_i32 s7, s2, s4
	s_load_b64 s[2:3], s[0:1], 0x50
	s_abs_i32 s4, s7
	s_delay_alu instid0(SALU_CYCLE_1) | instskip(SKIP_1) | instid1(VALU_DEP_1)
	v_cvt_f32_u32_e32 v1, s4
	s_sub_i32 s6, 0, s4
	v_rcp_iflag_f32_e32 v1, v1
	s_waitcnt_depctr 0xfff
	v_mul_f32_e32 v1, 0x4f7ffffe, v1
	s_delay_alu instid0(VALU_DEP_1) | instskip(NEXT) | instid1(VALU_DEP_1)
	v_cvt_u32_f32_e32 v1, v1
	v_readfirstlane_b32 s5, v1
	s_delay_alu instid0(VALU_DEP_1) | instskip(NEXT) | instid1(SALU_CYCLE_1)
	s_mul_i32 s6, s6, s5
	s_mul_hi_u32 s8, s5, s6
	s_abs_i32 s6, s26
	s_add_i32 s5, s5, s8
	s_waitcnt lgkmcnt(0)
	s_cmp_eq_u64 s[2:3], 0
	s_mul_hi_u32 s5, s6, s5
	s_cbranch_scc1 .LBB305_3
; %bb.2:
	s_ashr_i32 s27, s26, 31
	s_delay_alu instid0(SALU_CYCLE_1) | instskip(NEXT) | instid1(SALU_CYCLE_1)
	s_lshl_b64 s[8:9], s[26:27], 2
	s_add_u32 s2, s2, s8
	s_addc_u32 s3, s3, s9
	s_load_b32 s12, s[2:3], 0x0
.LBB305_3:
	s_load_b128 s[8:11], s[0:1], 0x58
	v_and_b32_e32 v1, 3, v0
	s_ashr_i32 s2, s26, 31
	s_ashr_i32 s3, s7, 31
	s_mul_i32 s22, s26, 0x78
	s_mov_b32 s7, exec_lo
	v_cmpx_gt_u32_e32 60, v0
	s_cbranch_execz .LBB305_5
; %bb.4:
	s_load_b64 s[16:17], s[0:1], 0x18
	s_waitcnt lgkmcnt(0)
	s_mul_i32 s18, s14, s8
	v_lshlrev_b32_e32 v2, 2, v0
	s_ashr_i32 s19, s18, 31
	v_and_b32_e32 v3, 0x3fc, v0
	s_lshl_b64 s[18:19], s[18:19], 1
	s_delay_alu instid0(VALU_DEP_1) | instskip(SKIP_3) | instid1(SALU_CYCLE_1)
	v_mad_u32_u24 v3, v1, 60, v3
	s_add_u32 s8, s16, s18
	s_addc_u32 s11, s17, s19
	s_ashr_i32 s23, s22, 31
	s_lshl_b64 s[16:17], s[22:23], 1
	s_delay_alu instid0(SALU_CYCLE_1)
	s_add_u32 s16, s8, s16
	s_addc_u32 s17, s11, s17
	global_load_b32 v2, v2, s[16:17]
	s_waitcnt vmcnt(0)
	ds_store_b32 v3, v2
.LBB305_5:
	s_or_b32 exec_lo, exec_lo, s7
	s_add_i32 s7, s33, 7
	s_waitcnt lgkmcnt(0)
	s_lshl_b32 s11, s20, 6
	s_ashr_i32 s8, s7, 31
	s_xor_b32 s2, s2, s3
	s_lshr_b32 s8, s8, 29
	s_add_i32 s3, s11, 64
	s_add_i32 s7, s7, s8
	s_clause 0x1
	s_load_b64 s[28:29], s[0:1], 0x38
	s_load_b32 s8, s[0:1], 0x48
	s_ashr_i32 s27, s7, 3
	s_mul_i32 s7, s5, s4
	s_min_i32 s23, s3, s27
	s_sub_i32 s3, s6, s7
	s_add_i32 s6, s5, 1
	s_sub_i32 s7, s3, s4
	s_cmp_ge_u32 s3, s4
	v_lshrrev_b32_e32 v16, 5, v0
	s_cselect_b32 s5, s6, s5
	s_cselect_b32 s3, s7, s3
	s_add_i32 s6, s5, 1
	s_cmp_ge_u32 s3, s4
	v_or_b32_e32 v5, s11, v16
	s_cselect_b32 s3, s6, s5
	v_mbcnt_lo_u32_b32 v11, -1, 0
	s_xor_b32 s3, s3, s2
	s_mov_b32 s4, exec_lo
	s_sub_i32 s3, s3, s2
	v_cmp_gt_i32_e64 s2, s23, v5
	s_waitcnt lgkmcnt(0)
	s_mul_i32 s30, s14, s8
	s_delay_alu instid0(SALU_CYCLE_1)
	s_ashr_i32 s31, s30, 31
	s_barrier
	buffer_gl0_inv
                                        ; implicit-def: $sgpr37
                                        ; implicit-def: $vgpr12
	v_cmpx_le_i32_e64 s23, v5
	s_xor_b32 s4, exec_lo, s4
; %bb.6:
	v_mbcnt_lo_u32_b32 v11, -1, 0
	v_mov_b32_e32 v12, 32
	s_mov_b32 s37, 0xff7fffff
                                        ; implicit-def: $vgpr1
; %bb.7:
	s_or_saveexec_b32 s21, s4
	s_clause 0x4
	s_load_b128 s[16:19], s[0:1], 0x0
	s_load_b64 s[24:25], s[0:1], 0x10
	s_load_b32 s8, s[0:1], 0x98
	s_load_b64 s[34:35], s[0:1], 0x28
	s_load_b128 s[4:7], s[0:1], 0x68
	v_mov_b32_e32 v13, s37
	v_ashrrev_i32_e32 v6, 31, v5
	s_mul_i32 s10, s3, s10
	s_xor_b32 exec_lo, exec_lo, s21
	s_cbranch_execz .LBB305_253
; %bb.8:
	s_load_b64 s[38:39], s[0:1], 0x20
	v_bfe_u32 v3, v0, 2, 3
	v_mov_b32_e32 v2, 0
	v_dual_mov_b32 v19, v5 :: v_dual_lshlrev_b32 v14, 1, v1
	v_mul_u32_u24_e32 v15, 60, v1
	s_delay_alu instid0(VALU_DEP_4)
	v_dual_mov_b32 v13, 0xff7fffff :: v_dual_lshlrev_b32 v4, 2, v3
	v_cmp_eq_u32_e32 vcc_lo, 0, v1
	v_lshlrev_b32_e32 v1, 3, v16
	v_dual_mov_b32 v12, 32 :: v_dual_lshlrev_b32 v9, 4, v3
	s_ashr_i32 s1, s10, 31
	v_lshl_or_b32 v4, v16, 5, v4
	v_lshlrev_b64 v[7:8], 2, v[5:6]
	v_add3_u32 v17, s36, v1, v3
	v_cmp_neq_f32_e64 s0, s12, 0
	s_delay_alu instid0(VALU_DEP_4)
	v_add_nc_u32_e32 v18, 0x110, v4
	s_waitcnt lgkmcnt(0)
	s_add_u32 s3, s38, s10
	s_addc_u32 s1, s39, s1
	s_lshl_b64 s[38:39], s[30:31], 2
	v_add_co_u32 v3, s3, s3, v9
	s_sub_i32 s37, 1, s33
	v_add_co_ci_u32_e64 v4, null, s1, 0, s3
	s_add_u32 s1, s28, s38
	s_addc_u32 s3, s29, s39
	v_add_co_u32 v7, s1, s1, v7
	s_delay_alu instid0(VALU_DEP_1)
	v_add_co_ci_u32_e64 v8, s1, s3, v8, s1
	s_mov_b32 s39, s9
	s_mov_b32 s38, 0
	s_branch .LBB305_10
.LBB305_9:                              ;   in Loop: Header=BB305_10 Depth=1
	s_or_b32 exec_lo, exec_lo, s3
	v_add_nc_u32_e32 v19, 4, v19
	v_add_co_u32 v7, s3, v7, 16
	v_add_nc_u32_e32 v17, 32, v17
	v_add_nc_u32_e32 v18, 0x80, v18
	s_delay_alu instid0(VALU_DEP_4) | instskip(SKIP_1) | instid1(VALU_DEP_2)
	v_cmp_le_i32_e64 s1, s23, v19
	v_add_co_ci_u32_e64 v8, s3, 0, v8, s3
	s_or_b32 s38, s1, s38
	s_delay_alu instid0(SALU_CYCLE_1)
	s_and_not1_b32 exec_lo, exec_lo, s38
	s_cbranch_execz .LBB305_252
.LBB305_10:                             ; =>This Inner Loop Header: Depth=1
	global_load_b32 v1, v[7:8], off
	s_waitcnt vmcnt(0) lgkmcnt(0)
	v_mad_i64_i32 v[9:10], null, v1, s39, v[3:4]
	s_delay_alu instid0(VALU_DEP_1) | instskip(NEXT) | instid1(VALU_DEP_1)
	v_add_co_u32 v9, s1, v9, v14
	v_add_co_ci_u32_e64 v10, s1, 0, v10, s1
	global_load_u16 v1, v[9:10], off
	global_load_b32 v20, v2, s[4:5]
	s_waitcnt vmcnt(1)
	v_and_b32_e32 v21, 0xff, v1
	v_and_b32_e32 v22, 0xffff, v1
	s_delay_alu instid0(VALU_DEP_2) | instskip(SKIP_1) | instid1(VALU_DEP_2)
	v_cmp_ne_u16_e64 s1, 0, v21
	v_mov_b32_e32 v21, 0
	s_and_saveexec_b32 s3, s1
	s_cbranch_execz .LBB305_18
; %bb.11:                               ;   in Loop: Header=BB305_10 Depth=1
	v_and_b32_e32 v1, 0xff, v22
	v_bfrev_b32_e32 v21, 1
	s_mov_b32 s40, exec_lo
	s_delay_alu instid0(VALU_DEP_2)
	v_cmpx_ne_u16_e32 0x80, v1
	s_cbranch_execz .LBB305_17
; %bb.12:                               ;   in Loop: Header=BB305_10 Depth=1
	v_and_b32_e32 v23, 0x7f, v22
	v_mov_b32_e32 v21, 0x7fc02000
	s_mov_b32 s41, exec_lo
	s_delay_alu instid0(VALU_DEP_2)
	v_cmpx_ne_u32_e32 0x7f, v23
	s_cbranch_execz .LBB305_16
; %bb.13:                               ;   in Loop: Header=BB305_10 Depth=1
	v_and_b32_e32 v1, 7, v22
	v_lshrrev_b32_e32 v21, 3, v23
	s_mov_b32 s42, exec_lo
	v_cmpx_gt_u32_e32 8, v23
; %bb.14:                               ;   in Loop: Header=BB305_10 Depth=1
	s_delay_alu instid0(VALU_DEP_3) | instskip(NEXT) | instid1(VALU_DEP_1)
	v_clz_i32_u32_e32 v21, v1
	v_min_u32_e32 v21, 32, v21
	s_delay_alu instid0(VALU_DEP_1) | instskip(SKIP_1) | instid1(VALU_DEP_2)
	v_subrev_nc_u32_e32 v23, 28, v21
	v_sub_nc_u32_e32 v21, 29, v21
	v_lshlrev_b64 v[23:24], v23, v[1:2]
	s_delay_alu instid0(VALU_DEP_1)
	v_and_b32_e32 v1, 7, v23
; %bb.15:                               ;   in Loop: Header=BB305_10 Depth=1
	s_or_b32 exec_lo, exec_lo, s42
	v_lshlrev_b32_e32 v23, 8, v22
	v_lshl_add_u32 v21, v21, 10, 0x2000
	s_delay_alu instid0(VALU_DEP_1) | instskip(NEXT) | instid1(VALU_DEP_1)
	v_and_or_b32 v21, 0x8000, v23, v21
	v_lshl_or_b32 v1, v1, 7, v21
	s_delay_alu instid0(VALU_DEP_1)
	v_cvt_f32_f16_e32 v21, v1
.LBB305_16:                             ;   in Loop: Header=BB305_10 Depth=1
	s_or_b32 exec_lo, exec_lo, s41
.LBB305_17:                             ;   in Loop: Header=BB305_10 Depth=1
	s_delay_alu instid0(SALU_CYCLE_1)
	s_or_b32 exec_lo, exec_lo, s40
.LBB305_18:                             ;   in Loop: Header=BB305_10 Depth=1
	s_delay_alu instid0(SALU_CYCLE_1) | instskip(SKIP_3) | instid1(VALU_DEP_2)
	s_or_b32 exec_lo, exec_lo, s3
	v_lshrrev_b16 v1, 8, v22
	v_dual_mov_b32 v22, 0 :: v_dual_mov_b32 v23, 0
	s_mov_b32 s3, exec_lo
	v_cmpx_ne_u16_e32 0, v1
	s_cbranch_execz .LBB305_26
; %bb.19:                               ;   in Loop: Header=BB305_10 Depth=1
	v_bfrev_b32_e32 v23, 1
	s_mov_b32 s40, exec_lo
	v_cmpx_ne_u16_e32 0x80, v1
	s_cbranch_execz .LBB305_25
; %bb.20:                               ;   in Loop: Header=BB305_10 Depth=1
	v_and_b32_e32 v24, 0xffff, v1
	v_mov_b32_e32 v23, 0x7fc02000
	s_mov_b32 s41, exec_lo
	s_delay_alu instid0(VALU_DEP_2) | instskip(NEXT) | instid1(VALU_DEP_1)
	v_and_b32_e32 v25, 0x7f, v24
	v_cmpx_ne_u32_e32 0x7f, v25
	s_cbranch_execz .LBB305_24
; %bb.21:                               ;   in Loop: Header=BB305_10 Depth=1
	v_and_b32_e32 v1, 7, v24
	v_lshrrev_b32_e32 v23, 3, v25
	s_mov_b32 s42, exec_lo
	v_cmpx_gt_u32_e32 8, v25
; %bb.22:                               ;   in Loop: Header=BB305_10 Depth=1
	s_delay_alu instid0(VALU_DEP_3) | instskip(NEXT) | instid1(VALU_DEP_1)
	v_clz_i32_u32_e32 v23, v1
	v_min_u32_e32 v23, 32, v23
	s_delay_alu instid0(VALU_DEP_1) | instskip(SKIP_1) | instid1(VALU_DEP_2)
	v_subrev_nc_u32_e32 v25, 28, v23
	v_sub_nc_u32_e32 v23, 29, v23
	v_lshlrev_b64 v[25:26], v25, v[1:2]
	s_delay_alu instid0(VALU_DEP_1)
	v_and_b32_e32 v1, 7, v25
; %bb.23:                               ;   in Loop: Header=BB305_10 Depth=1
	s_or_b32 exec_lo, exec_lo, s42
	v_lshlrev_b32_e32 v24, 8, v24
	v_lshl_add_u32 v23, v23, 10, 0x2000
	s_delay_alu instid0(VALU_DEP_1) | instskip(NEXT) | instid1(VALU_DEP_1)
	v_and_or_b32 v23, 0x8000, v24, v23
	v_lshl_or_b32 v1, v1, 7, v23
	s_delay_alu instid0(VALU_DEP_1)
	v_cvt_f32_f16_e32 v23, v1
.LBB305_24:                             ;   in Loop: Header=BB305_10 Depth=1
	s_or_b32 exec_lo, exec_lo, s41
.LBB305_25:                             ;   in Loop: Header=BB305_10 Depth=1
	s_delay_alu instid0(SALU_CYCLE_1)
	s_or_b32 exec_lo, exec_lo, s40
.LBB305_26:                             ;   in Loop: Header=BB305_10 Depth=1
	s_delay_alu instid0(SALU_CYCLE_1)
	s_or_b32 exec_lo, exec_lo, s3
	global_load_u16 v1, v[9:10], off offset:8
	s_mov_b32 s3, exec_lo
	s_waitcnt vmcnt(0)
	v_and_b32_e32 v25, 0xff, v1
	v_and_b32_e32 v24, 0xffff, v1
	s_delay_alu instid0(VALU_DEP_2)
	v_cmpx_ne_u16_e32 0, v25
	s_cbranch_execz .LBB305_34
; %bb.27:                               ;   in Loop: Header=BB305_10 Depth=1
	s_delay_alu instid0(VALU_DEP_2) | instskip(SKIP_2) | instid1(VALU_DEP_2)
	v_and_b32_e32 v1, 0xff, v24
	v_bfrev_b32_e32 v22, 1
	s_mov_b32 s40, exec_lo
	v_cmpx_ne_u16_e32 0x80, v1
	s_cbranch_execz .LBB305_33
; %bb.28:                               ;   in Loop: Header=BB305_10 Depth=1
	v_and_b32_e32 v25, 0x7f, v24
	v_mov_b32_e32 v22, 0x7fc02000
	s_mov_b32 s41, exec_lo
	s_delay_alu instid0(VALU_DEP_2)
	v_cmpx_ne_u32_e32 0x7f, v25
	s_cbranch_execz .LBB305_32
; %bb.29:                               ;   in Loop: Header=BB305_10 Depth=1
	v_and_b32_e32 v1, 7, v24
	v_lshrrev_b32_e32 v22, 3, v25
	s_mov_b32 s42, exec_lo
	v_cmpx_gt_u32_e32 8, v25
; %bb.30:                               ;   in Loop: Header=BB305_10 Depth=1
	s_delay_alu instid0(VALU_DEP_3) | instskip(NEXT) | instid1(VALU_DEP_1)
	v_clz_i32_u32_e32 v22, v1
	v_min_u32_e32 v22, 32, v22
	s_delay_alu instid0(VALU_DEP_1) | instskip(SKIP_1) | instid1(VALU_DEP_2)
	v_subrev_nc_u32_e32 v25, 28, v22
	v_sub_nc_u32_e32 v22, 29, v22
	v_lshlrev_b64 v[25:26], v25, v[1:2]
	s_delay_alu instid0(VALU_DEP_1)
	v_and_b32_e32 v1, 7, v25
; %bb.31:                               ;   in Loop: Header=BB305_10 Depth=1
	s_or_b32 exec_lo, exec_lo, s42
	v_lshlrev_b32_e32 v25, 8, v24
	v_lshl_add_u32 v22, v22, 10, 0x2000
	s_delay_alu instid0(VALU_DEP_1) | instskip(NEXT) | instid1(VALU_DEP_1)
	v_and_or_b32 v22, 0x8000, v25, v22
	v_lshl_or_b32 v1, v1, 7, v22
	s_delay_alu instid0(VALU_DEP_1)
	v_cvt_f32_f16_e32 v22, v1
.LBB305_32:                             ;   in Loop: Header=BB305_10 Depth=1
	s_or_b32 exec_lo, exec_lo, s41
.LBB305_33:                             ;   in Loop: Header=BB305_10 Depth=1
	s_delay_alu instid0(SALU_CYCLE_1)
	s_or_b32 exec_lo, exec_lo, s40
.LBB305_34:                             ;   in Loop: Header=BB305_10 Depth=1
	s_delay_alu instid0(SALU_CYCLE_1) | instskip(NEXT) | instid1(VALU_DEP_2)
	s_or_b32 exec_lo, exec_lo, s3
	v_lshrrev_b16 v1, 8, v24
	v_dual_mov_b32 v24, 0 :: v_dual_mov_b32 v25, 0
	s_mov_b32 s3, exec_lo
	s_delay_alu instid0(VALU_DEP_2)
	v_cmpx_ne_u16_e32 0, v1
	s_cbranch_execz .LBB305_42
; %bb.35:                               ;   in Loop: Header=BB305_10 Depth=1
	v_bfrev_b32_e32 v25, 1
	s_mov_b32 s40, exec_lo
	v_cmpx_ne_u16_e32 0x80, v1
	s_cbranch_execz .LBB305_41
; %bb.36:                               ;   in Loop: Header=BB305_10 Depth=1
	v_and_b32_e32 v26, 0xffff, v1
	v_mov_b32_e32 v25, 0x7fc02000
	s_mov_b32 s41, exec_lo
	s_delay_alu instid0(VALU_DEP_2) | instskip(NEXT) | instid1(VALU_DEP_1)
	v_and_b32_e32 v27, 0x7f, v26
	v_cmpx_ne_u32_e32 0x7f, v27
	s_cbranch_execz .LBB305_40
; %bb.37:                               ;   in Loop: Header=BB305_10 Depth=1
	v_and_b32_e32 v1, 7, v26
	v_lshrrev_b32_e32 v25, 3, v27
	s_mov_b32 s42, exec_lo
	v_cmpx_gt_u32_e32 8, v27
; %bb.38:                               ;   in Loop: Header=BB305_10 Depth=1
	s_delay_alu instid0(VALU_DEP_3) | instskip(NEXT) | instid1(VALU_DEP_1)
	v_clz_i32_u32_e32 v25, v1
	v_min_u32_e32 v25, 32, v25
	s_delay_alu instid0(VALU_DEP_1) | instskip(SKIP_1) | instid1(VALU_DEP_2)
	v_subrev_nc_u32_e32 v27, 28, v25
	v_sub_nc_u32_e32 v25, 29, v25
	v_lshlrev_b64 v[27:28], v27, v[1:2]
	s_delay_alu instid0(VALU_DEP_1)
	v_and_b32_e32 v1, 7, v27
; %bb.39:                               ;   in Loop: Header=BB305_10 Depth=1
	s_or_b32 exec_lo, exec_lo, s42
	v_lshlrev_b32_e32 v26, 8, v26
	v_lshl_add_u32 v25, v25, 10, 0x2000
	s_delay_alu instid0(VALU_DEP_1) | instskip(NEXT) | instid1(VALU_DEP_1)
	v_and_or_b32 v25, 0x8000, v26, v25
	v_lshl_or_b32 v1, v1, 7, v25
	s_delay_alu instid0(VALU_DEP_1)
	v_cvt_f32_f16_e32 v25, v1
.LBB305_40:                             ;   in Loop: Header=BB305_10 Depth=1
	s_or_b32 exec_lo, exec_lo, s41
.LBB305_41:                             ;   in Loop: Header=BB305_10 Depth=1
	s_delay_alu instid0(SALU_CYCLE_1)
	s_or_b32 exec_lo, exec_lo, s40
.LBB305_42:                             ;   in Loop: Header=BB305_10 Depth=1
	s_delay_alu instid0(SALU_CYCLE_1)
	s_or_b32 exec_lo, exec_lo, s3
	global_load_u16 v1, v[9:10], off offset:128
	s_mov_b32 s3, exec_lo
	s_waitcnt vmcnt(0)
	v_and_b32_e32 v27, 0xff, v1
	v_and_b32_e32 v26, 0xffff, v1
	s_delay_alu instid0(VALU_DEP_2)
	v_cmpx_ne_u16_e32 0, v27
	s_cbranch_execz .LBB305_50
; %bb.43:                               ;   in Loop: Header=BB305_10 Depth=1
	s_delay_alu instid0(VALU_DEP_2) | instskip(SKIP_2) | instid1(VALU_DEP_2)
	v_and_b32_e32 v1, 0xff, v26
	v_bfrev_b32_e32 v24, 1
	s_mov_b32 s40, exec_lo
	v_cmpx_ne_u16_e32 0x80, v1
	s_cbranch_execz .LBB305_49
; %bb.44:                               ;   in Loop: Header=BB305_10 Depth=1
	v_and_b32_e32 v27, 0x7f, v26
	v_mov_b32_e32 v24, 0x7fc02000
	s_mov_b32 s41, exec_lo
	s_delay_alu instid0(VALU_DEP_2)
	v_cmpx_ne_u32_e32 0x7f, v27
	s_cbranch_execz .LBB305_48
; %bb.45:                               ;   in Loop: Header=BB305_10 Depth=1
	v_and_b32_e32 v1, 7, v26
	v_lshrrev_b32_e32 v24, 3, v27
	s_mov_b32 s42, exec_lo
	v_cmpx_gt_u32_e32 8, v27
; %bb.46:                               ;   in Loop: Header=BB305_10 Depth=1
	s_delay_alu instid0(VALU_DEP_3) | instskip(NEXT) | instid1(VALU_DEP_1)
	v_clz_i32_u32_e32 v24, v1
	v_min_u32_e32 v24, 32, v24
	s_delay_alu instid0(VALU_DEP_1) | instskip(SKIP_1) | instid1(VALU_DEP_2)
	v_subrev_nc_u32_e32 v27, 28, v24
	v_sub_nc_u32_e32 v24, 29, v24
	v_lshlrev_b64 v[27:28], v27, v[1:2]
	s_delay_alu instid0(VALU_DEP_1)
	v_and_b32_e32 v1, 7, v27
; %bb.47:                               ;   in Loop: Header=BB305_10 Depth=1
	s_or_b32 exec_lo, exec_lo, s42
	v_lshlrev_b32_e32 v27, 8, v26
	v_lshl_add_u32 v24, v24, 10, 0x2000
	s_delay_alu instid0(VALU_DEP_1) | instskip(NEXT) | instid1(VALU_DEP_1)
	v_and_or_b32 v24, 0x8000, v27, v24
	v_lshl_or_b32 v1, v1, 7, v24
	s_delay_alu instid0(VALU_DEP_1)
	v_cvt_f32_f16_e32 v24, v1
.LBB305_48:                             ;   in Loop: Header=BB305_10 Depth=1
	s_or_b32 exec_lo, exec_lo, s41
.LBB305_49:                             ;   in Loop: Header=BB305_10 Depth=1
	s_delay_alu instid0(SALU_CYCLE_1)
	s_or_b32 exec_lo, exec_lo, s40
.LBB305_50:                             ;   in Loop: Header=BB305_10 Depth=1
	s_delay_alu instid0(SALU_CYCLE_1) | instskip(NEXT) | instid1(VALU_DEP_2)
	s_or_b32 exec_lo, exec_lo, s3
	v_lshrrev_b16 v1, 8, v26
	v_dual_mov_b32 v26, 0 :: v_dual_mov_b32 v27, 0
	s_mov_b32 s3, exec_lo
	s_delay_alu instid0(VALU_DEP_2)
	v_cmpx_ne_u16_e32 0, v1
	s_cbranch_execz .LBB305_58
; %bb.51:                               ;   in Loop: Header=BB305_10 Depth=1
	v_bfrev_b32_e32 v27, 1
	s_mov_b32 s40, exec_lo
	v_cmpx_ne_u16_e32 0x80, v1
	s_cbranch_execz .LBB305_57
; %bb.52:                               ;   in Loop: Header=BB305_10 Depth=1
	v_and_b32_e32 v28, 0xffff, v1
	v_mov_b32_e32 v27, 0x7fc02000
	s_mov_b32 s41, exec_lo
	s_delay_alu instid0(VALU_DEP_2) | instskip(NEXT) | instid1(VALU_DEP_1)
	v_and_b32_e32 v29, 0x7f, v28
	v_cmpx_ne_u32_e32 0x7f, v29
	s_cbranch_execz .LBB305_56
; %bb.53:                               ;   in Loop: Header=BB305_10 Depth=1
	v_and_b32_e32 v1, 7, v28
	v_lshrrev_b32_e32 v27, 3, v29
	s_mov_b32 s42, exec_lo
	v_cmpx_gt_u32_e32 8, v29
; %bb.54:                               ;   in Loop: Header=BB305_10 Depth=1
	s_delay_alu instid0(VALU_DEP_3) | instskip(NEXT) | instid1(VALU_DEP_1)
	v_clz_i32_u32_e32 v27, v1
	v_min_u32_e32 v27, 32, v27
	s_delay_alu instid0(VALU_DEP_1) | instskip(SKIP_1) | instid1(VALU_DEP_2)
	v_subrev_nc_u32_e32 v29, 28, v27
	v_sub_nc_u32_e32 v27, 29, v27
	v_lshlrev_b64 v[29:30], v29, v[1:2]
	s_delay_alu instid0(VALU_DEP_1)
	v_and_b32_e32 v1, 7, v29
; %bb.55:                               ;   in Loop: Header=BB305_10 Depth=1
	s_or_b32 exec_lo, exec_lo, s42
	v_lshlrev_b32_e32 v28, 8, v28
	v_lshl_add_u32 v27, v27, 10, 0x2000
	s_delay_alu instid0(VALU_DEP_1) | instskip(NEXT) | instid1(VALU_DEP_1)
	v_and_or_b32 v27, 0x8000, v28, v27
	v_lshl_or_b32 v1, v1, 7, v27
	s_delay_alu instid0(VALU_DEP_1)
	v_cvt_f32_f16_e32 v27, v1
.LBB305_56:                             ;   in Loop: Header=BB305_10 Depth=1
	s_or_b32 exec_lo, exec_lo, s41
.LBB305_57:                             ;   in Loop: Header=BB305_10 Depth=1
	s_delay_alu instid0(SALU_CYCLE_1)
	s_or_b32 exec_lo, exec_lo, s40
.LBB305_58:                             ;   in Loop: Header=BB305_10 Depth=1
	s_delay_alu instid0(SALU_CYCLE_1)
	s_or_b32 exec_lo, exec_lo, s3
	global_load_u16 v1, v[9:10], off offset:136
	s_mov_b32 s3, exec_lo
	s_waitcnt vmcnt(0)
	v_and_b32_e32 v29, 0xff, v1
	v_and_b32_e32 v28, 0xffff, v1
	s_delay_alu instid0(VALU_DEP_2)
	v_cmpx_ne_u16_e32 0, v29
	s_cbranch_execz .LBB305_66
; %bb.59:                               ;   in Loop: Header=BB305_10 Depth=1
	s_delay_alu instid0(VALU_DEP_2) | instskip(SKIP_2) | instid1(VALU_DEP_2)
	v_and_b32_e32 v1, 0xff, v28
	v_bfrev_b32_e32 v26, 1
	s_mov_b32 s40, exec_lo
	v_cmpx_ne_u16_e32 0x80, v1
	s_cbranch_execz .LBB305_65
; %bb.60:                               ;   in Loop: Header=BB305_10 Depth=1
	v_and_b32_e32 v29, 0x7f, v28
	v_mov_b32_e32 v26, 0x7fc02000
	s_mov_b32 s41, exec_lo
	s_delay_alu instid0(VALU_DEP_2)
	v_cmpx_ne_u32_e32 0x7f, v29
	s_cbranch_execz .LBB305_64
; %bb.61:                               ;   in Loop: Header=BB305_10 Depth=1
	v_and_b32_e32 v1, 7, v28
	v_lshrrev_b32_e32 v26, 3, v29
	s_mov_b32 s42, exec_lo
	v_cmpx_gt_u32_e32 8, v29
; %bb.62:                               ;   in Loop: Header=BB305_10 Depth=1
	s_delay_alu instid0(VALU_DEP_3) | instskip(NEXT) | instid1(VALU_DEP_1)
	v_clz_i32_u32_e32 v26, v1
	v_min_u32_e32 v26, 32, v26
	s_delay_alu instid0(VALU_DEP_1) | instskip(SKIP_1) | instid1(VALU_DEP_2)
	v_subrev_nc_u32_e32 v29, 28, v26
	v_sub_nc_u32_e32 v26, 29, v26
	v_lshlrev_b64 v[29:30], v29, v[1:2]
	s_delay_alu instid0(VALU_DEP_1)
	v_and_b32_e32 v1, 7, v29
; %bb.63:                               ;   in Loop: Header=BB305_10 Depth=1
	s_or_b32 exec_lo, exec_lo, s42
	v_lshlrev_b32_e32 v29, 8, v28
	v_lshl_add_u32 v26, v26, 10, 0x2000
	s_delay_alu instid0(VALU_DEP_1) | instskip(NEXT) | instid1(VALU_DEP_1)
	v_and_or_b32 v26, 0x8000, v29, v26
	v_lshl_or_b32 v1, v1, 7, v26
	s_delay_alu instid0(VALU_DEP_1)
	v_cvt_f32_f16_e32 v26, v1
.LBB305_64:                             ;   in Loop: Header=BB305_10 Depth=1
	s_or_b32 exec_lo, exec_lo, s41
.LBB305_65:                             ;   in Loop: Header=BB305_10 Depth=1
	s_delay_alu instid0(SALU_CYCLE_1)
	s_or_b32 exec_lo, exec_lo, s40
.LBB305_66:                             ;   in Loop: Header=BB305_10 Depth=1
	s_delay_alu instid0(SALU_CYCLE_1) | instskip(NEXT) | instid1(VALU_DEP_2)
	s_or_b32 exec_lo, exec_lo, s3
	v_lshrrev_b16 v1, 8, v28
	v_dual_mov_b32 v28, 0 :: v_dual_mov_b32 v29, 0
	s_mov_b32 s3, exec_lo
	s_delay_alu instid0(VALU_DEP_2)
	v_cmpx_ne_u16_e32 0, v1
	s_cbranch_execz .LBB305_74
; %bb.67:                               ;   in Loop: Header=BB305_10 Depth=1
	v_bfrev_b32_e32 v29, 1
	s_mov_b32 s40, exec_lo
	v_cmpx_ne_u16_e32 0x80, v1
	s_cbranch_execz .LBB305_73
; %bb.68:                               ;   in Loop: Header=BB305_10 Depth=1
	v_and_b32_e32 v30, 0xffff, v1
	v_mov_b32_e32 v29, 0x7fc02000
	s_mov_b32 s41, exec_lo
	s_delay_alu instid0(VALU_DEP_2) | instskip(NEXT) | instid1(VALU_DEP_1)
	v_and_b32_e32 v31, 0x7f, v30
	v_cmpx_ne_u32_e32 0x7f, v31
	s_cbranch_execz .LBB305_72
; %bb.69:                               ;   in Loop: Header=BB305_10 Depth=1
	v_and_b32_e32 v1, 7, v30
	v_lshrrev_b32_e32 v29, 3, v31
	s_mov_b32 s42, exec_lo
	v_cmpx_gt_u32_e32 8, v31
; %bb.70:                               ;   in Loop: Header=BB305_10 Depth=1
	s_delay_alu instid0(VALU_DEP_3) | instskip(NEXT) | instid1(VALU_DEP_1)
	v_clz_i32_u32_e32 v29, v1
	v_min_u32_e32 v29, 32, v29
	s_delay_alu instid0(VALU_DEP_1) | instskip(SKIP_1) | instid1(VALU_DEP_2)
	v_subrev_nc_u32_e32 v31, 28, v29
	v_sub_nc_u32_e32 v29, 29, v29
	v_lshlrev_b64 v[31:32], v31, v[1:2]
	s_delay_alu instid0(VALU_DEP_1)
	v_and_b32_e32 v1, 7, v31
; %bb.71:                               ;   in Loop: Header=BB305_10 Depth=1
	s_or_b32 exec_lo, exec_lo, s42
	v_lshlrev_b32_e32 v30, 8, v30
	v_lshl_add_u32 v29, v29, 10, 0x2000
	s_delay_alu instid0(VALU_DEP_1) | instskip(NEXT) | instid1(VALU_DEP_1)
	v_and_or_b32 v29, 0x8000, v30, v29
	v_lshl_or_b32 v1, v1, 7, v29
	s_delay_alu instid0(VALU_DEP_1)
	v_cvt_f32_f16_e32 v29, v1
.LBB305_72:                             ;   in Loop: Header=BB305_10 Depth=1
	s_or_b32 exec_lo, exec_lo, s41
.LBB305_73:                             ;   in Loop: Header=BB305_10 Depth=1
	s_delay_alu instid0(SALU_CYCLE_1)
	s_or_b32 exec_lo, exec_lo, s40
.LBB305_74:                             ;   in Loop: Header=BB305_10 Depth=1
	s_delay_alu instid0(SALU_CYCLE_1)
	s_or_b32 exec_lo, exec_lo, s3
	global_load_u16 v1, v[9:10], off offset:256
	s_mov_b32 s3, exec_lo
	s_waitcnt vmcnt(0)
	v_and_b32_e32 v31, 0xff, v1
	v_and_b32_e32 v30, 0xffff, v1
	s_delay_alu instid0(VALU_DEP_2)
	v_cmpx_ne_u16_e32 0, v31
	s_cbranch_execz .LBB305_82
; %bb.75:                               ;   in Loop: Header=BB305_10 Depth=1
	s_delay_alu instid0(VALU_DEP_2) | instskip(SKIP_2) | instid1(VALU_DEP_2)
	v_and_b32_e32 v1, 0xff, v30
	v_bfrev_b32_e32 v28, 1
	s_mov_b32 s40, exec_lo
	v_cmpx_ne_u16_e32 0x80, v1
	s_cbranch_execz .LBB305_81
; %bb.76:                               ;   in Loop: Header=BB305_10 Depth=1
	v_and_b32_e32 v31, 0x7f, v30
	v_mov_b32_e32 v28, 0x7fc02000
	s_mov_b32 s41, exec_lo
	s_delay_alu instid0(VALU_DEP_2)
	v_cmpx_ne_u32_e32 0x7f, v31
	s_cbranch_execz .LBB305_80
; %bb.77:                               ;   in Loop: Header=BB305_10 Depth=1
	v_and_b32_e32 v1, 7, v30
	v_lshrrev_b32_e32 v28, 3, v31
	s_mov_b32 s42, exec_lo
	v_cmpx_gt_u32_e32 8, v31
; %bb.78:                               ;   in Loop: Header=BB305_10 Depth=1
	s_delay_alu instid0(VALU_DEP_3) | instskip(NEXT) | instid1(VALU_DEP_1)
	v_clz_i32_u32_e32 v28, v1
	v_min_u32_e32 v28, 32, v28
	s_delay_alu instid0(VALU_DEP_1) | instskip(SKIP_1) | instid1(VALU_DEP_2)
	v_subrev_nc_u32_e32 v31, 28, v28
	v_sub_nc_u32_e32 v28, 29, v28
	v_lshlrev_b64 v[31:32], v31, v[1:2]
	s_delay_alu instid0(VALU_DEP_1)
	v_and_b32_e32 v1, 7, v31
; %bb.79:                               ;   in Loop: Header=BB305_10 Depth=1
	s_or_b32 exec_lo, exec_lo, s42
	v_lshlrev_b32_e32 v31, 8, v30
	v_lshl_add_u32 v28, v28, 10, 0x2000
	s_delay_alu instid0(VALU_DEP_1) | instskip(NEXT) | instid1(VALU_DEP_1)
	v_and_or_b32 v28, 0x8000, v31, v28
	v_lshl_or_b32 v1, v1, 7, v28
	s_delay_alu instid0(VALU_DEP_1)
	v_cvt_f32_f16_e32 v28, v1
.LBB305_80:                             ;   in Loop: Header=BB305_10 Depth=1
	s_or_b32 exec_lo, exec_lo, s41
.LBB305_81:                             ;   in Loop: Header=BB305_10 Depth=1
	s_delay_alu instid0(SALU_CYCLE_1)
	s_or_b32 exec_lo, exec_lo, s40
.LBB305_82:                             ;   in Loop: Header=BB305_10 Depth=1
	s_delay_alu instid0(SALU_CYCLE_1) | instskip(NEXT) | instid1(VALU_DEP_2)
	s_or_b32 exec_lo, exec_lo, s3
	v_lshrrev_b16 v1, 8, v30
	v_dual_mov_b32 v30, 0 :: v_dual_mov_b32 v31, 0
	s_mov_b32 s3, exec_lo
	s_delay_alu instid0(VALU_DEP_2)
	v_cmpx_ne_u16_e32 0, v1
	s_cbranch_execz .LBB305_90
; %bb.83:                               ;   in Loop: Header=BB305_10 Depth=1
	v_bfrev_b32_e32 v31, 1
	s_mov_b32 s40, exec_lo
	v_cmpx_ne_u16_e32 0x80, v1
	s_cbranch_execz .LBB305_89
; %bb.84:                               ;   in Loop: Header=BB305_10 Depth=1
	v_and_b32_e32 v32, 0xffff, v1
	v_mov_b32_e32 v31, 0x7fc02000
	s_mov_b32 s41, exec_lo
	s_delay_alu instid0(VALU_DEP_2) | instskip(NEXT) | instid1(VALU_DEP_1)
	v_and_b32_e32 v33, 0x7f, v32
	v_cmpx_ne_u32_e32 0x7f, v33
	s_cbranch_execz .LBB305_88
; %bb.85:                               ;   in Loop: Header=BB305_10 Depth=1
	v_and_b32_e32 v1, 7, v32
	v_lshrrev_b32_e32 v31, 3, v33
	s_mov_b32 s42, exec_lo
	v_cmpx_gt_u32_e32 8, v33
; %bb.86:                               ;   in Loop: Header=BB305_10 Depth=1
	s_delay_alu instid0(VALU_DEP_3) | instskip(NEXT) | instid1(VALU_DEP_1)
	v_clz_i32_u32_e32 v31, v1
	v_min_u32_e32 v31, 32, v31
	s_delay_alu instid0(VALU_DEP_1) | instskip(SKIP_1) | instid1(VALU_DEP_2)
	v_subrev_nc_u32_e32 v33, 28, v31
	v_sub_nc_u32_e32 v31, 29, v31
	v_lshlrev_b64 v[33:34], v33, v[1:2]
	s_delay_alu instid0(VALU_DEP_1)
	v_and_b32_e32 v1, 7, v33
; %bb.87:                               ;   in Loop: Header=BB305_10 Depth=1
	s_or_b32 exec_lo, exec_lo, s42
	v_lshlrev_b32_e32 v32, 8, v32
	v_lshl_add_u32 v31, v31, 10, 0x2000
	s_delay_alu instid0(VALU_DEP_1) | instskip(NEXT) | instid1(VALU_DEP_1)
	v_and_or_b32 v31, 0x8000, v32, v31
	v_lshl_or_b32 v1, v1, 7, v31
	s_delay_alu instid0(VALU_DEP_1)
	v_cvt_f32_f16_e32 v31, v1
.LBB305_88:                             ;   in Loop: Header=BB305_10 Depth=1
	s_or_b32 exec_lo, exec_lo, s41
.LBB305_89:                             ;   in Loop: Header=BB305_10 Depth=1
	s_delay_alu instid0(SALU_CYCLE_1)
	s_or_b32 exec_lo, exec_lo, s40
.LBB305_90:                             ;   in Loop: Header=BB305_10 Depth=1
	s_delay_alu instid0(SALU_CYCLE_1)
	s_or_b32 exec_lo, exec_lo, s3
	global_load_u16 v1, v[9:10], off offset:264
	s_mov_b32 s3, exec_lo
	s_waitcnt vmcnt(0)
	v_and_b32_e32 v33, 0xff, v1
	v_and_b32_e32 v32, 0xffff, v1
	s_delay_alu instid0(VALU_DEP_2)
	v_cmpx_ne_u16_e32 0, v33
	s_cbranch_execz .LBB305_98
; %bb.91:                               ;   in Loop: Header=BB305_10 Depth=1
	s_delay_alu instid0(VALU_DEP_2) | instskip(SKIP_2) | instid1(VALU_DEP_2)
	v_and_b32_e32 v1, 0xff, v32
	v_bfrev_b32_e32 v30, 1
	s_mov_b32 s40, exec_lo
	v_cmpx_ne_u16_e32 0x80, v1
	s_cbranch_execz .LBB305_97
; %bb.92:                               ;   in Loop: Header=BB305_10 Depth=1
	v_and_b32_e32 v33, 0x7f, v32
	v_mov_b32_e32 v30, 0x7fc02000
	s_mov_b32 s41, exec_lo
	s_delay_alu instid0(VALU_DEP_2)
	v_cmpx_ne_u32_e32 0x7f, v33
	s_cbranch_execz .LBB305_96
; %bb.93:                               ;   in Loop: Header=BB305_10 Depth=1
	v_and_b32_e32 v1, 7, v32
	v_lshrrev_b32_e32 v30, 3, v33
	s_mov_b32 s42, exec_lo
	v_cmpx_gt_u32_e32 8, v33
; %bb.94:                               ;   in Loop: Header=BB305_10 Depth=1
	s_delay_alu instid0(VALU_DEP_3) | instskip(NEXT) | instid1(VALU_DEP_1)
	v_clz_i32_u32_e32 v30, v1
	v_min_u32_e32 v30, 32, v30
	s_delay_alu instid0(VALU_DEP_1) | instskip(SKIP_1) | instid1(VALU_DEP_2)
	v_subrev_nc_u32_e32 v33, 28, v30
	v_sub_nc_u32_e32 v30, 29, v30
	v_lshlrev_b64 v[33:34], v33, v[1:2]
	s_delay_alu instid0(VALU_DEP_1)
	v_and_b32_e32 v1, 7, v33
; %bb.95:                               ;   in Loop: Header=BB305_10 Depth=1
	s_or_b32 exec_lo, exec_lo, s42
	v_lshlrev_b32_e32 v33, 8, v32
	v_lshl_add_u32 v30, v30, 10, 0x2000
	s_delay_alu instid0(VALU_DEP_1) | instskip(NEXT) | instid1(VALU_DEP_1)
	v_and_or_b32 v30, 0x8000, v33, v30
	v_lshl_or_b32 v1, v1, 7, v30
	s_delay_alu instid0(VALU_DEP_1)
	v_cvt_f32_f16_e32 v30, v1
.LBB305_96:                             ;   in Loop: Header=BB305_10 Depth=1
	s_or_b32 exec_lo, exec_lo, s41
.LBB305_97:                             ;   in Loop: Header=BB305_10 Depth=1
	s_delay_alu instid0(SALU_CYCLE_1)
	s_or_b32 exec_lo, exec_lo, s40
.LBB305_98:                             ;   in Loop: Header=BB305_10 Depth=1
	s_delay_alu instid0(SALU_CYCLE_1) | instskip(NEXT) | instid1(VALU_DEP_2)
	s_or_b32 exec_lo, exec_lo, s3
	v_lshrrev_b16 v1, 8, v32
	v_dual_mov_b32 v32, 0 :: v_dual_mov_b32 v33, 0
	s_mov_b32 s3, exec_lo
	s_delay_alu instid0(VALU_DEP_2)
	v_cmpx_ne_u16_e32 0, v1
	s_cbranch_execz .LBB305_106
; %bb.99:                               ;   in Loop: Header=BB305_10 Depth=1
	v_bfrev_b32_e32 v33, 1
	s_mov_b32 s40, exec_lo
	v_cmpx_ne_u16_e32 0x80, v1
	s_cbranch_execz .LBB305_105
; %bb.100:                              ;   in Loop: Header=BB305_10 Depth=1
	v_and_b32_e32 v34, 0xffff, v1
	v_mov_b32_e32 v33, 0x7fc02000
	s_mov_b32 s41, exec_lo
	s_delay_alu instid0(VALU_DEP_2) | instskip(NEXT) | instid1(VALU_DEP_1)
	v_and_b32_e32 v35, 0x7f, v34
	v_cmpx_ne_u32_e32 0x7f, v35
	s_cbranch_execz .LBB305_104
; %bb.101:                              ;   in Loop: Header=BB305_10 Depth=1
	v_and_b32_e32 v1, 7, v34
	v_lshrrev_b32_e32 v33, 3, v35
	s_mov_b32 s42, exec_lo
	v_cmpx_gt_u32_e32 8, v35
; %bb.102:                              ;   in Loop: Header=BB305_10 Depth=1
	s_delay_alu instid0(VALU_DEP_3) | instskip(NEXT) | instid1(VALU_DEP_1)
	v_clz_i32_u32_e32 v33, v1
	v_min_u32_e32 v33, 32, v33
	s_delay_alu instid0(VALU_DEP_1) | instskip(SKIP_1) | instid1(VALU_DEP_2)
	v_subrev_nc_u32_e32 v35, 28, v33
	v_sub_nc_u32_e32 v33, 29, v33
	v_lshlrev_b64 v[35:36], v35, v[1:2]
	s_delay_alu instid0(VALU_DEP_1)
	v_and_b32_e32 v1, 7, v35
; %bb.103:                              ;   in Loop: Header=BB305_10 Depth=1
	s_or_b32 exec_lo, exec_lo, s42
	v_lshlrev_b32_e32 v34, 8, v34
	v_lshl_add_u32 v33, v33, 10, 0x2000
	s_delay_alu instid0(VALU_DEP_1) | instskip(NEXT) | instid1(VALU_DEP_1)
	v_and_or_b32 v33, 0x8000, v34, v33
	v_lshl_or_b32 v1, v1, 7, v33
	s_delay_alu instid0(VALU_DEP_1)
	v_cvt_f32_f16_e32 v33, v1
.LBB305_104:                            ;   in Loop: Header=BB305_10 Depth=1
	s_or_b32 exec_lo, exec_lo, s41
.LBB305_105:                            ;   in Loop: Header=BB305_10 Depth=1
	s_delay_alu instid0(SALU_CYCLE_1)
	s_or_b32 exec_lo, exec_lo, s40
.LBB305_106:                            ;   in Loop: Header=BB305_10 Depth=1
	s_delay_alu instid0(SALU_CYCLE_1)
	s_or_b32 exec_lo, exec_lo, s3
	global_load_u16 v1, v[9:10], off offset:384
	s_mov_b32 s3, exec_lo
	s_waitcnt vmcnt(0)
	v_and_b32_e32 v35, 0xff, v1
	v_and_b32_e32 v34, 0xffff, v1
	s_delay_alu instid0(VALU_DEP_2)
	v_cmpx_ne_u16_e32 0, v35
	s_cbranch_execz .LBB305_114
; %bb.107:                              ;   in Loop: Header=BB305_10 Depth=1
	s_delay_alu instid0(VALU_DEP_2) | instskip(SKIP_2) | instid1(VALU_DEP_2)
	v_and_b32_e32 v1, 0xff, v34
	v_bfrev_b32_e32 v32, 1
	s_mov_b32 s40, exec_lo
	v_cmpx_ne_u16_e32 0x80, v1
	s_cbranch_execz .LBB305_113
; %bb.108:                              ;   in Loop: Header=BB305_10 Depth=1
	v_and_b32_e32 v35, 0x7f, v34
	v_mov_b32_e32 v32, 0x7fc02000
	s_mov_b32 s41, exec_lo
	s_delay_alu instid0(VALU_DEP_2)
	v_cmpx_ne_u32_e32 0x7f, v35
	s_cbranch_execz .LBB305_112
; %bb.109:                              ;   in Loop: Header=BB305_10 Depth=1
	v_and_b32_e32 v1, 7, v34
	v_lshrrev_b32_e32 v32, 3, v35
	s_mov_b32 s42, exec_lo
	v_cmpx_gt_u32_e32 8, v35
; %bb.110:                              ;   in Loop: Header=BB305_10 Depth=1
	s_delay_alu instid0(VALU_DEP_3) | instskip(NEXT) | instid1(VALU_DEP_1)
	v_clz_i32_u32_e32 v32, v1
	v_min_u32_e32 v32, 32, v32
	s_delay_alu instid0(VALU_DEP_1) | instskip(SKIP_1) | instid1(VALU_DEP_2)
	v_subrev_nc_u32_e32 v35, 28, v32
	v_sub_nc_u32_e32 v32, 29, v32
	v_lshlrev_b64 v[35:36], v35, v[1:2]
	s_delay_alu instid0(VALU_DEP_1)
	v_and_b32_e32 v1, 7, v35
; %bb.111:                              ;   in Loop: Header=BB305_10 Depth=1
	s_or_b32 exec_lo, exec_lo, s42
	v_lshlrev_b32_e32 v35, 8, v34
	v_lshl_add_u32 v32, v32, 10, 0x2000
	s_delay_alu instid0(VALU_DEP_1) | instskip(NEXT) | instid1(VALU_DEP_1)
	v_and_or_b32 v32, 0x8000, v35, v32
	v_lshl_or_b32 v1, v1, 7, v32
	s_delay_alu instid0(VALU_DEP_1)
	v_cvt_f32_f16_e32 v32, v1
.LBB305_112:                            ;   in Loop: Header=BB305_10 Depth=1
	s_or_b32 exec_lo, exec_lo, s41
.LBB305_113:                            ;   in Loop: Header=BB305_10 Depth=1
	s_delay_alu instid0(SALU_CYCLE_1)
	s_or_b32 exec_lo, exec_lo, s40
.LBB305_114:                            ;   in Loop: Header=BB305_10 Depth=1
	s_delay_alu instid0(SALU_CYCLE_1) | instskip(NEXT) | instid1(VALU_DEP_2)
	s_or_b32 exec_lo, exec_lo, s3
	v_lshrrev_b16 v1, 8, v34
	v_dual_mov_b32 v34, 0 :: v_dual_mov_b32 v35, 0
	s_mov_b32 s3, exec_lo
	s_delay_alu instid0(VALU_DEP_2)
	v_cmpx_ne_u16_e32 0, v1
	s_cbranch_execz .LBB305_122
; %bb.115:                              ;   in Loop: Header=BB305_10 Depth=1
	v_bfrev_b32_e32 v35, 1
	s_mov_b32 s40, exec_lo
	v_cmpx_ne_u16_e32 0x80, v1
	s_cbranch_execz .LBB305_121
; %bb.116:                              ;   in Loop: Header=BB305_10 Depth=1
	v_and_b32_e32 v36, 0xffff, v1
	v_mov_b32_e32 v35, 0x7fc02000
	s_mov_b32 s41, exec_lo
	s_delay_alu instid0(VALU_DEP_2) | instskip(NEXT) | instid1(VALU_DEP_1)
	v_and_b32_e32 v37, 0x7f, v36
	v_cmpx_ne_u32_e32 0x7f, v37
	s_cbranch_execz .LBB305_120
; %bb.117:                              ;   in Loop: Header=BB305_10 Depth=1
	v_and_b32_e32 v1, 7, v36
	v_lshrrev_b32_e32 v35, 3, v37
	s_mov_b32 s42, exec_lo
	v_cmpx_gt_u32_e32 8, v37
; %bb.118:                              ;   in Loop: Header=BB305_10 Depth=1
	s_delay_alu instid0(VALU_DEP_3) | instskip(NEXT) | instid1(VALU_DEP_1)
	v_clz_i32_u32_e32 v35, v1
	v_min_u32_e32 v35, 32, v35
	s_delay_alu instid0(VALU_DEP_1) | instskip(SKIP_1) | instid1(VALU_DEP_2)
	v_subrev_nc_u32_e32 v37, 28, v35
	v_sub_nc_u32_e32 v35, 29, v35
	v_lshlrev_b64 v[37:38], v37, v[1:2]
	s_delay_alu instid0(VALU_DEP_1)
	v_and_b32_e32 v1, 7, v37
; %bb.119:                              ;   in Loop: Header=BB305_10 Depth=1
	s_or_b32 exec_lo, exec_lo, s42
	v_lshlrev_b32_e32 v36, 8, v36
	v_lshl_add_u32 v35, v35, 10, 0x2000
	s_delay_alu instid0(VALU_DEP_1) | instskip(NEXT) | instid1(VALU_DEP_1)
	v_and_or_b32 v35, 0x8000, v36, v35
	v_lshl_or_b32 v1, v1, 7, v35
	s_delay_alu instid0(VALU_DEP_1)
	v_cvt_f32_f16_e32 v35, v1
.LBB305_120:                            ;   in Loop: Header=BB305_10 Depth=1
	s_or_b32 exec_lo, exec_lo, s41
.LBB305_121:                            ;   in Loop: Header=BB305_10 Depth=1
	s_delay_alu instid0(SALU_CYCLE_1)
	s_or_b32 exec_lo, exec_lo, s40
.LBB305_122:                            ;   in Loop: Header=BB305_10 Depth=1
	s_delay_alu instid0(SALU_CYCLE_1)
	s_or_b32 exec_lo, exec_lo, s3
	global_load_u16 v1, v[9:10], off offset:392
	s_mov_b32 s3, exec_lo
	s_waitcnt vmcnt(0)
	v_and_b32_e32 v37, 0xff, v1
	v_and_b32_e32 v36, 0xffff, v1
	s_delay_alu instid0(VALU_DEP_2)
	v_cmpx_ne_u16_e32 0, v37
	s_cbranch_execz .LBB305_130
; %bb.123:                              ;   in Loop: Header=BB305_10 Depth=1
	s_delay_alu instid0(VALU_DEP_2) | instskip(SKIP_2) | instid1(VALU_DEP_2)
	v_and_b32_e32 v1, 0xff, v36
	v_bfrev_b32_e32 v34, 1
	s_mov_b32 s40, exec_lo
	v_cmpx_ne_u16_e32 0x80, v1
	s_cbranch_execz .LBB305_129
; %bb.124:                              ;   in Loop: Header=BB305_10 Depth=1
	v_and_b32_e32 v37, 0x7f, v36
	v_mov_b32_e32 v34, 0x7fc02000
	s_mov_b32 s41, exec_lo
	s_delay_alu instid0(VALU_DEP_2)
	v_cmpx_ne_u32_e32 0x7f, v37
	s_cbranch_execz .LBB305_128
; %bb.125:                              ;   in Loop: Header=BB305_10 Depth=1
	v_and_b32_e32 v1, 7, v36
	v_lshrrev_b32_e32 v34, 3, v37
	s_mov_b32 s42, exec_lo
	v_cmpx_gt_u32_e32 8, v37
; %bb.126:                              ;   in Loop: Header=BB305_10 Depth=1
	s_delay_alu instid0(VALU_DEP_3) | instskip(NEXT) | instid1(VALU_DEP_1)
	v_clz_i32_u32_e32 v34, v1
	v_min_u32_e32 v34, 32, v34
	s_delay_alu instid0(VALU_DEP_1) | instskip(SKIP_1) | instid1(VALU_DEP_2)
	v_subrev_nc_u32_e32 v37, 28, v34
	v_sub_nc_u32_e32 v34, 29, v34
	v_lshlrev_b64 v[37:38], v37, v[1:2]
	s_delay_alu instid0(VALU_DEP_1)
	v_and_b32_e32 v1, 7, v37
; %bb.127:                              ;   in Loop: Header=BB305_10 Depth=1
	s_or_b32 exec_lo, exec_lo, s42
	v_lshlrev_b32_e32 v37, 8, v36
	v_lshl_add_u32 v34, v34, 10, 0x2000
	s_delay_alu instid0(VALU_DEP_1) | instskip(NEXT) | instid1(VALU_DEP_1)
	v_and_or_b32 v34, 0x8000, v37, v34
	v_lshl_or_b32 v1, v1, 7, v34
	s_delay_alu instid0(VALU_DEP_1)
	v_cvt_f32_f16_e32 v34, v1
.LBB305_128:                            ;   in Loop: Header=BB305_10 Depth=1
	s_or_b32 exec_lo, exec_lo, s41
.LBB305_129:                            ;   in Loop: Header=BB305_10 Depth=1
	s_delay_alu instid0(SALU_CYCLE_1)
	s_or_b32 exec_lo, exec_lo, s40
.LBB305_130:                            ;   in Loop: Header=BB305_10 Depth=1
	s_delay_alu instid0(SALU_CYCLE_1) | instskip(NEXT) | instid1(VALU_DEP_2)
	s_or_b32 exec_lo, exec_lo, s3
	v_lshrrev_b16 v1, 8, v36
	v_dual_mov_b32 v36, 0 :: v_dual_mov_b32 v37, 0
	s_mov_b32 s3, exec_lo
	s_delay_alu instid0(VALU_DEP_2)
	v_cmpx_ne_u16_e32 0, v1
	s_cbranch_execz .LBB305_138
; %bb.131:                              ;   in Loop: Header=BB305_10 Depth=1
	v_bfrev_b32_e32 v37, 1
	s_mov_b32 s40, exec_lo
	v_cmpx_ne_u16_e32 0x80, v1
	s_cbranch_execz .LBB305_137
; %bb.132:                              ;   in Loop: Header=BB305_10 Depth=1
	v_and_b32_e32 v38, 0xffff, v1
	v_mov_b32_e32 v37, 0x7fc02000
	s_mov_b32 s41, exec_lo
	s_delay_alu instid0(VALU_DEP_2) | instskip(NEXT) | instid1(VALU_DEP_1)
	v_and_b32_e32 v39, 0x7f, v38
	v_cmpx_ne_u32_e32 0x7f, v39
	s_cbranch_execz .LBB305_136
; %bb.133:                              ;   in Loop: Header=BB305_10 Depth=1
	v_and_b32_e32 v1, 7, v38
	v_lshrrev_b32_e32 v37, 3, v39
	s_mov_b32 s42, exec_lo
	v_cmpx_gt_u32_e32 8, v39
; %bb.134:                              ;   in Loop: Header=BB305_10 Depth=1
	s_delay_alu instid0(VALU_DEP_3) | instskip(NEXT) | instid1(VALU_DEP_1)
	v_clz_i32_u32_e32 v37, v1
	v_min_u32_e32 v37, 32, v37
	s_delay_alu instid0(VALU_DEP_1) | instskip(SKIP_1) | instid1(VALU_DEP_2)
	v_subrev_nc_u32_e32 v39, 28, v37
	v_sub_nc_u32_e32 v37, 29, v37
	v_lshlrev_b64 v[39:40], v39, v[1:2]
	s_delay_alu instid0(VALU_DEP_1)
	v_and_b32_e32 v1, 7, v39
; %bb.135:                              ;   in Loop: Header=BB305_10 Depth=1
	s_or_b32 exec_lo, exec_lo, s42
	v_lshlrev_b32_e32 v38, 8, v38
	v_lshl_add_u32 v37, v37, 10, 0x2000
	s_delay_alu instid0(VALU_DEP_1) | instskip(NEXT) | instid1(VALU_DEP_1)
	v_and_or_b32 v37, 0x8000, v38, v37
	v_lshl_or_b32 v1, v1, 7, v37
	s_delay_alu instid0(VALU_DEP_1)
	v_cvt_f32_f16_e32 v37, v1
.LBB305_136:                            ;   in Loop: Header=BB305_10 Depth=1
	s_or_b32 exec_lo, exec_lo, s41
.LBB305_137:                            ;   in Loop: Header=BB305_10 Depth=1
	s_delay_alu instid0(SALU_CYCLE_1)
	s_or_b32 exec_lo, exec_lo, s40
.LBB305_138:                            ;   in Loop: Header=BB305_10 Depth=1
	s_delay_alu instid0(SALU_CYCLE_1)
	s_or_b32 exec_lo, exec_lo, s3
	global_load_u16 v1, v[9:10], off offset:512
	s_mov_b32 s3, exec_lo
	s_waitcnt vmcnt(0)
	v_and_b32_e32 v39, 0xff, v1
	v_and_b32_e32 v38, 0xffff, v1
	s_delay_alu instid0(VALU_DEP_2)
	v_cmpx_ne_u16_e32 0, v39
	s_cbranch_execz .LBB305_146
; %bb.139:                              ;   in Loop: Header=BB305_10 Depth=1
	s_delay_alu instid0(VALU_DEP_2) | instskip(SKIP_2) | instid1(VALU_DEP_2)
	v_and_b32_e32 v1, 0xff, v38
	v_bfrev_b32_e32 v36, 1
	s_mov_b32 s40, exec_lo
	v_cmpx_ne_u16_e32 0x80, v1
	s_cbranch_execz .LBB305_145
; %bb.140:                              ;   in Loop: Header=BB305_10 Depth=1
	v_and_b32_e32 v39, 0x7f, v38
	v_mov_b32_e32 v36, 0x7fc02000
	s_mov_b32 s41, exec_lo
	s_delay_alu instid0(VALU_DEP_2)
	v_cmpx_ne_u32_e32 0x7f, v39
	s_cbranch_execz .LBB305_144
; %bb.141:                              ;   in Loop: Header=BB305_10 Depth=1
	v_and_b32_e32 v1, 7, v38
	v_lshrrev_b32_e32 v36, 3, v39
	s_mov_b32 s42, exec_lo
	v_cmpx_gt_u32_e32 8, v39
; %bb.142:                              ;   in Loop: Header=BB305_10 Depth=1
	s_delay_alu instid0(VALU_DEP_3) | instskip(NEXT) | instid1(VALU_DEP_1)
	v_clz_i32_u32_e32 v36, v1
	v_min_u32_e32 v36, 32, v36
	s_delay_alu instid0(VALU_DEP_1) | instskip(SKIP_1) | instid1(VALU_DEP_2)
	v_subrev_nc_u32_e32 v39, 28, v36
	v_sub_nc_u32_e32 v36, 29, v36
	v_lshlrev_b64 v[39:40], v39, v[1:2]
	s_delay_alu instid0(VALU_DEP_1)
	v_and_b32_e32 v1, 7, v39
; %bb.143:                              ;   in Loop: Header=BB305_10 Depth=1
	s_or_b32 exec_lo, exec_lo, s42
	v_lshlrev_b32_e32 v39, 8, v38
	v_lshl_add_u32 v36, v36, 10, 0x2000
	s_delay_alu instid0(VALU_DEP_1) | instskip(NEXT) | instid1(VALU_DEP_1)
	v_and_or_b32 v36, 0x8000, v39, v36
	v_lshl_or_b32 v1, v1, 7, v36
	s_delay_alu instid0(VALU_DEP_1)
	v_cvt_f32_f16_e32 v36, v1
.LBB305_144:                            ;   in Loop: Header=BB305_10 Depth=1
	s_or_b32 exec_lo, exec_lo, s41
.LBB305_145:                            ;   in Loop: Header=BB305_10 Depth=1
	s_delay_alu instid0(SALU_CYCLE_1)
	s_or_b32 exec_lo, exec_lo, s40
.LBB305_146:                            ;   in Loop: Header=BB305_10 Depth=1
	s_delay_alu instid0(SALU_CYCLE_1) | instskip(NEXT) | instid1(VALU_DEP_2)
	s_or_b32 exec_lo, exec_lo, s3
	v_lshrrev_b16 v1, 8, v38
	v_dual_mov_b32 v38, 0 :: v_dual_mov_b32 v39, 0
	s_mov_b32 s3, exec_lo
	s_delay_alu instid0(VALU_DEP_2)
	v_cmpx_ne_u16_e32 0, v1
	s_cbranch_execz .LBB305_154
; %bb.147:                              ;   in Loop: Header=BB305_10 Depth=1
	v_bfrev_b32_e32 v39, 1
	s_mov_b32 s40, exec_lo
	v_cmpx_ne_u16_e32 0x80, v1
	s_cbranch_execz .LBB305_153
; %bb.148:                              ;   in Loop: Header=BB305_10 Depth=1
	v_and_b32_e32 v40, 0xffff, v1
	v_mov_b32_e32 v39, 0x7fc02000
	s_mov_b32 s41, exec_lo
	s_delay_alu instid0(VALU_DEP_2) | instskip(NEXT) | instid1(VALU_DEP_1)
	v_and_b32_e32 v41, 0x7f, v40
	v_cmpx_ne_u32_e32 0x7f, v41
	s_cbranch_execz .LBB305_152
; %bb.149:                              ;   in Loop: Header=BB305_10 Depth=1
	v_and_b32_e32 v1, 7, v40
	v_lshrrev_b32_e32 v39, 3, v41
	s_mov_b32 s42, exec_lo
	v_cmpx_gt_u32_e32 8, v41
; %bb.150:                              ;   in Loop: Header=BB305_10 Depth=1
	s_delay_alu instid0(VALU_DEP_3) | instskip(NEXT) | instid1(VALU_DEP_1)
	v_clz_i32_u32_e32 v39, v1
	v_min_u32_e32 v39, 32, v39
	s_delay_alu instid0(VALU_DEP_1) | instskip(SKIP_1) | instid1(VALU_DEP_2)
	v_subrev_nc_u32_e32 v41, 28, v39
	v_sub_nc_u32_e32 v39, 29, v39
	v_lshlrev_b64 v[41:42], v41, v[1:2]
	s_delay_alu instid0(VALU_DEP_1)
	v_and_b32_e32 v1, 7, v41
; %bb.151:                              ;   in Loop: Header=BB305_10 Depth=1
	s_or_b32 exec_lo, exec_lo, s42
	v_lshlrev_b32_e32 v40, 8, v40
	v_lshl_add_u32 v39, v39, 10, 0x2000
	s_delay_alu instid0(VALU_DEP_1) | instskip(NEXT) | instid1(VALU_DEP_1)
	v_and_or_b32 v39, 0x8000, v40, v39
	v_lshl_or_b32 v1, v1, 7, v39
	s_delay_alu instid0(VALU_DEP_1)
	v_cvt_f32_f16_e32 v39, v1
.LBB305_152:                            ;   in Loop: Header=BB305_10 Depth=1
	s_or_b32 exec_lo, exec_lo, s41
.LBB305_153:                            ;   in Loop: Header=BB305_10 Depth=1
	s_delay_alu instid0(SALU_CYCLE_1)
	s_or_b32 exec_lo, exec_lo, s40
.LBB305_154:                            ;   in Loop: Header=BB305_10 Depth=1
	s_delay_alu instid0(SALU_CYCLE_1)
	s_or_b32 exec_lo, exec_lo, s3
	global_load_u16 v1, v[9:10], off offset:520
	s_mov_b32 s3, exec_lo
	s_waitcnt vmcnt(0)
	v_and_b32_e32 v41, 0xff, v1
	v_and_b32_e32 v40, 0xffff, v1
	s_delay_alu instid0(VALU_DEP_2)
	v_cmpx_ne_u16_e32 0, v41
	s_cbranch_execz .LBB305_162
; %bb.155:                              ;   in Loop: Header=BB305_10 Depth=1
	s_delay_alu instid0(VALU_DEP_2) | instskip(SKIP_2) | instid1(VALU_DEP_2)
	v_and_b32_e32 v1, 0xff, v40
	v_bfrev_b32_e32 v38, 1
	s_mov_b32 s40, exec_lo
	v_cmpx_ne_u16_e32 0x80, v1
	s_cbranch_execz .LBB305_161
; %bb.156:                              ;   in Loop: Header=BB305_10 Depth=1
	v_and_b32_e32 v41, 0x7f, v40
	v_mov_b32_e32 v38, 0x7fc02000
	s_mov_b32 s41, exec_lo
	s_delay_alu instid0(VALU_DEP_2)
	v_cmpx_ne_u32_e32 0x7f, v41
	s_cbranch_execz .LBB305_160
; %bb.157:                              ;   in Loop: Header=BB305_10 Depth=1
	v_and_b32_e32 v1, 7, v40
	v_lshrrev_b32_e32 v38, 3, v41
	s_mov_b32 s42, exec_lo
	v_cmpx_gt_u32_e32 8, v41
; %bb.158:                              ;   in Loop: Header=BB305_10 Depth=1
	s_delay_alu instid0(VALU_DEP_3) | instskip(NEXT) | instid1(VALU_DEP_1)
	v_clz_i32_u32_e32 v38, v1
	v_min_u32_e32 v38, 32, v38
	s_delay_alu instid0(VALU_DEP_1) | instskip(SKIP_1) | instid1(VALU_DEP_2)
	v_subrev_nc_u32_e32 v41, 28, v38
	v_sub_nc_u32_e32 v38, 29, v38
	v_lshlrev_b64 v[41:42], v41, v[1:2]
	s_delay_alu instid0(VALU_DEP_1)
	v_and_b32_e32 v1, 7, v41
; %bb.159:                              ;   in Loop: Header=BB305_10 Depth=1
	s_or_b32 exec_lo, exec_lo, s42
	v_lshlrev_b32_e32 v41, 8, v40
	v_lshl_add_u32 v38, v38, 10, 0x2000
	s_delay_alu instid0(VALU_DEP_1) | instskip(NEXT) | instid1(VALU_DEP_1)
	v_and_or_b32 v38, 0x8000, v41, v38
	v_lshl_or_b32 v1, v1, 7, v38
	s_delay_alu instid0(VALU_DEP_1)
	v_cvt_f32_f16_e32 v38, v1
.LBB305_160:                            ;   in Loop: Header=BB305_10 Depth=1
	s_or_b32 exec_lo, exec_lo, s41
.LBB305_161:                            ;   in Loop: Header=BB305_10 Depth=1
	s_delay_alu instid0(SALU_CYCLE_1)
	s_or_b32 exec_lo, exec_lo, s40
.LBB305_162:                            ;   in Loop: Header=BB305_10 Depth=1
	s_delay_alu instid0(SALU_CYCLE_1) | instskip(NEXT) | instid1(VALU_DEP_2)
	s_or_b32 exec_lo, exec_lo, s3
	v_lshrrev_b16 v1, 8, v40
	v_dual_mov_b32 v40, 0 :: v_dual_mov_b32 v41, 0
	s_mov_b32 s3, exec_lo
	s_delay_alu instid0(VALU_DEP_2)
	v_cmpx_ne_u16_e32 0, v1
	s_cbranch_execz .LBB305_170
; %bb.163:                              ;   in Loop: Header=BB305_10 Depth=1
	v_bfrev_b32_e32 v41, 1
	s_mov_b32 s40, exec_lo
	v_cmpx_ne_u16_e32 0x80, v1
	s_cbranch_execz .LBB305_169
; %bb.164:                              ;   in Loop: Header=BB305_10 Depth=1
	v_and_b32_e32 v42, 0xffff, v1
	v_mov_b32_e32 v41, 0x7fc02000
	s_mov_b32 s41, exec_lo
	s_delay_alu instid0(VALU_DEP_2) | instskip(NEXT) | instid1(VALU_DEP_1)
	v_and_b32_e32 v43, 0x7f, v42
	v_cmpx_ne_u32_e32 0x7f, v43
	s_cbranch_execz .LBB305_168
; %bb.165:                              ;   in Loop: Header=BB305_10 Depth=1
	v_and_b32_e32 v1, 7, v42
	v_lshrrev_b32_e32 v41, 3, v43
	s_mov_b32 s42, exec_lo
	v_cmpx_gt_u32_e32 8, v43
; %bb.166:                              ;   in Loop: Header=BB305_10 Depth=1
	s_delay_alu instid0(VALU_DEP_3) | instskip(NEXT) | instid1(VALU_DEP_1)
	v_clz_i32_u32_e32 v41, v1
	v_min_u32_e32 v41, 32, v41
	s_delay_alu instid0(VALU_DEP_1) | instskip(SKIP_1) | instid1(VALU_DEP_2)
	v_subrev_nc_u32_e32 v43, 28, v41
	v_sub_nc_u32_e32 v41, 29, v41
	v_lshlrev_b64 v[43:44], v43, v[1:2]
	s_delay_alu instid0(VALU_DEP_1)
	v_and_b32_e32 v1, 7, v43
; %bb.167:                              ;   in Loop: Header=BB305_10 Depth=1
	s_or_b32 exec_lo, exec_lo, s42
	v_lshlrev_b32_e32 v42, 8, v42
	v_lshl_add_u32 v41, v41, 10, 0x2000
	s_delay_alu instid0(VALU_DEP_1) | instskip(NEXT) | instid1(VALU_DEP_1)
	v_and_or_b32 v41, 0x8000, v42, v41
	v_lshl_or_b32 v1, v1, 7, v41
	s_delay_alu instid0(VALU_DEP_1)
	v_cvt_f32_f16_e32 v41, v1
.LBB305_168:                            ;   in Loop: Header=BB305_10 Depth=1
	s_or_b32 exec_lo, exec_lo, s41
.LBB305_169:                            ;   in Loop: Header=BB305_10 Depth=1
	s_delay_alu instid0(SALU_CYCLE_1)
	s_or_b32 exec_lo, exec_lo, s40
.LBB305_170:                            ;   in Loop: Header=BB305_10 Depth=1
	s_delay_alu instid0(SALU_CYCLE_1)
	s_or_b32 exec_lo, exec_lo, s3
	global_load_u16 v1, v[9:10], off offset:640
	s_mov_b32 s3, exec_lo
	s_waitcnt vmcnt(0)
	v_and_b32_e32 v43, 0xff, v1
	v_and_b32_e32 v42, 0xffff, v1
	s_delay_alu instid0(VALU_DEP_2)
	v_cmpx_ne_u16_e32 0, v43
	s_cbranch_execz .LBB305_178
; %bb.171:                              ;   in Loop: Header=BB305_10 Depth=1
	s_delay_alu instid0(VALU_DEP_2) | instskip(SKIP_2) | instid1(VALU_DEP_2)
	v_and_b32_e32 v1, 0xff, v42
	v_bfrev_b32_e32 v40, 1
	s_mov_b32 s40, exec_lo
	v_cmpx_ne_u16_e32 0x80, v1
	s_cbranch_execz .LBB305_177
; %bb.172:                              ;   in Loop: Header=BB305_10 Depth=1
	v_and_b32_e32 v43, 0x7f, v42
	v_mov_b32_e32 v40, 0x7fc02000
	s_mov_b32 s41, exec_lo
	s_delay_alu instid0(VALU_DEP_2)
	v_cmpx_ne_u32_e32 0x7f, v43
	s_cbranch_execz .LBB305_176
; %bb.173:                              ;   in Loop: Header=BB305_10 Depth=1
	v_and_b32_e32 v1, 7, v42
	v_lshrrev_b32_e32 v40, 3, v43
	s_mov_b32 s42, exec_lo
	v_cmpx_gt_u32_e32 8, v43
; %bb.174:                              ;   in Loop: Header=BB305_10 Depth=1
	s_delay_alu instid0(VALU_DEP_3) | instskip(NEXT) | instid1(VALU_DEP_1)
	v_clz_i32_u32_e32 v40, v1
	v_min_u32_e32 v40, 32, v40
	s_delay_alu instid0(VALU_DEP_1) | instskip(SKIP_1) | instid1(VALU_DEP_2)
	v_subrev_nc_u32_e32 v43, 28, v40
	v_sub_nc_u32_e32 v40, 29, v40
	v_lshlrev_b64 v[43:44], v43, v[1:2]
	s_delay_alu instid0(VALU_DEP_1)
	v_and_b32_e32 v1, 7, v43
; %bb.175:                              ;   in Loop: Header=BB305_10 Depth=1
	s_or_b32 exec_lo, exec_lo, s42
	v_lshlrev_b32_e32 v43, 8, v42
	v_lshl_add_u32 v40, v40, 10, 0x2000
	s_delay_alu instid0(VALU_DEP_1) | instskip(NEXT) | instid1(VALU_DEP_1)
	v_and_or_b32 v40, 0x8000, v43, v40
	v_lshl_or_b32 v1, v1, 7, v40
	s_delay_alu instid0(VALU_DEP_1)
	v_cvt_f32_f16_e32 v40, v1
.LBB305_176:                            ;   in Loop: Header=BB305_10 Depth=1
	s_or_b32 exec_lo, exec_lo, s41
.LBB305_177:                            ;   in Loop: Header=BB305_10 Depth=1
	s_delay_alu instid0(SALU_CYCLE_1)
	s_or_b32 exec_lo, exec_lo, s40
.LBB305_178:                            ;   in Loop: Header=BB305_10 Depth=1
	s_delay_alu instid0(SALU_CYCLE_1) | instskip(NEXT) | instid1(VALU_DEP_2)
	s_or_b32 exec_lo, exec_lo, s3
	v_lshrrev_b16 v1, 8, v42
	v_dual_mov_b32 v42, 0 :: v_dual_mov_b32 v43, 0
	s_mov_b32 s3, exec_lo
	s_delay_alu instid0(VALU_DEP_2)
	v_cmpx_ne_u16_e32 0, v1
	s_cbranch_execz .LBB305_186
; %bb.179:                              ;   in Loop: Header=BB305_10 Depth=1
	v_bfrev_b32_e32 v43, 1
	s_mov_b32 s40, exec_lo
	v_cmpx_ne_u16_e32 0x80, v1
	s_cbranch_execz .LBB305_185
; %bb.180:                              ;   in Loop: Header=BB305_10 Depth=1
	v_and_b32_e32 v44, 0xffff, v1
	v_mov_b32_e32 v43, 0x7fc02000
	s_mov_b32 s41, exec_lo
	s_delay_alu instid0(VALU_DEP_2) | instskip(NEXT) | instid1(VALU_DEP_1)
	v_and_b32_e32 v45, 0x7f, v44
	v_cmpx_ne_u32_e32 0x7f, v45
	s_cbranch_execz .LBB305_184
; %bb.181:                              ;   in Loop: Header=BB305_10 Depth=1
	v_and_b32_e32 v1, 7, v44
	v_lshrrev_b32_e32 v43, 3, v45
	s_mov_b32 s42, exec_lo
	v_cmpx_gt_u32_e32 8, v45
; %bb.182:                              ;   in Loop: Header=BB305_10 Depth=1
	s_delay_alu instid0(VALU_DEP_3) | instskip(NEXT) | instid1(VALU_DEP_1)
	v_clz_i32_u32_e32 v43, v1
	v_min_u32_e32 v43, 32, v43
	s_delay_alu instid0(VALU_DEP_1) | instskip(SKIP_1) | instid1(VALU_DEP_2)
	v_subrev_nc_u32_e32 v45, 28, v43
	v_sub_nc_u32_e32 v43, 29, v43
	v_lshlrev_b64 v[45:46], v45, v[1:2]
	s_delay_alu instid0(VALU_DEP_1)
	v_and_b32_e32 v1, 7, v45
; %bb.183:                              ;   in Loop: Header=BB305_10 Depth=1
	s_or_b32 exec_lo, exec_lo, s42
	v_lshlrev_b32_e32 v44, 8, v44
	v_lshl_add_u32 v43, v43, 10, 0x2000
	s_delay_alu instid0(VALU_DEP_1) | instskip(NEXT) | instid1(VALU_DEP_1)
	v_and_or_b32 v43, 0x8000, v44, v43
	v_lshl_or_b32 v1, v1, 7, v43
	s_delay_alu instid0(VALU_DEP_1)
	v_cvt_f32_f16_e32 v43, v1
.LBB305_184:                            ;   in Loop: Header=BB305_10 Depth=1
	s_or_b32 exec_lo, exec_lo, s41
.LBB305_185:                            ;   in Loop: Header=BB305_10 Depth=1
	s_delay_alu instid0(SALU_CYCLE_1)
	s_or_b32 exec_lo, exec_lo, s40
.LBB305_186:                            ;   in Loop: Header=BB305_10 Depth=1
	s_delay_alu instid0(SALU_CYCLE_1)
	s_or_b32 exec_lo, exec_lo, s3
	global_load_u16 v1, v[9:10], off offset:648
	s_mov_b32 s3, exec_lo
	s_waitcnt vmcnt(0)
	v_and_b32_e32 v45, 0xff, v1
	v_and_b32_e32 v44, 0xffff, v1
	s_delay_alu instid0(VALU_DEP_2)
	v_cmpx_ne_u16_e32 0, v45
	s_cbranch_execz .LBB305_194
; %bb.187:                              ;   in Loop: Header=BB305_10 Depth=1
	s_delay_alu instid0(VALU_DEP_2) | instskip(SKIP_2) | instid1(VALU_DEP_2)
	v_and_b32_e32 v1, 0xff, v44
	v_bfrev_b32_e32 v42, 1
	s_mov_b32 s40, exec_lo
	v_cmpx_ne_u16_e32 0x80, v1
	s_cbranch_execz .LBB305_193
; %bb.188:                              ;   in Loop: Header=BB305_10 Depth=1
	v_and_b32_e32 v45, 0x7f, v44
	v_mov_b32_e32 v42, 0x7fc02000
	s_mov_b32 s41, exec_lo
	s_delay_alu instid0(VALU_DEP_2)
	v_cmpx_ne_u32_e32 0x7f, v45
	s_cbranch_execz .LBB305_192
; %bb.189:                              ;   in Loop: Header=BB305_10 Depth=1
	v_and_b32_e32 v1, 7, v44
	v_lshrrev_b32_e32 v42, 3, v45
	s_mov_b32 s42, exec_lo
	v_cmpx_gt_u32_e32 8, v45
; %bb.190:                              ;   in Loop: Header=BB305_10 Depth=1
	s_delay_alu instid0(VALU_DEP_3) | instskip(NEXT) | instid1(VALU_DEP_1)
	v_clz_i32_u32_e32 v42, v1
	v_min_u32_e32 v42, 32, v42
	s_delay_alu instid0(VALU_DEP_1) | instskip(SKIP_1) | instid1(VALU_DEP_2)
	v_subrev_nc_u32_e32 v45, 28, v42
	v_sub_nc_u32_e32 v42, 29, v42
	v_lshlrev_b64 v[45:46], v45, v[1:2]
	s_delay_alu instid0(VALU_DEP_1)
	v_and_b32_e32 v1, 7, v45
; %bb.191:                              ;   in Loop: Header=BB305_10 Depth=1
	s_or_b32 exec_lo, exec_lo, s42
	v_lshlrev_b32_e32 v45, 8, v44
	v_lshl_add_u32 v42, v42, 10, 0x2000
	s_delay_alu instid0(VALU_DEP_1) | instskip(NEXT) | instid1(VALU_DEP_1)
	v_and_or_b32 v42, 0x8000, v45, v42
	v_lshl_or_b32 v1, v1, 7, v42
	s_delay_alu instid0(VALU_DEP_1)
	v_cvt_f32_f16_e32 v42, v1
.LBB305_192:                            ;   in Loop: Header=BB305_10 Depth=1
	s_or_b32 exec_lo, exec_lo, s41
.LBB305_193:                            ;   in Loop: Header=BB305_10 Depth=1
	s_delay_alu instid0(SALU_CYCLE_1)
	s_or_b32 exec_lo, exec_lo, s40
.LBB305_194:                            ;   in Loop: Header=BB305_10 Depth=1
	s_delay_alu instid0(SALU_CYCLE_1) | instskip(NEXT) | instid1(VALU_DEP_2)
	s_or_b32 exec_lo, exec_lo, s3
	v_lshrrev_b16 v1, 8, v44
	v_dual_mov_b32 v44, 0 :: v_dual_mov_b32 v45, 0
	s_mov_b32 s3, exec_lo
	s_delay_alu instid0(VALU_DEP_2)
	v_cmpx_ne_u16_e32 0, v1
	s_cbranch_execz .LBB305_202
; %bb.195:                              ;   in Loop: Header=BB305_10 Depth=1
	v_bfrev_b32_e32 v45, 1
	s_mov_b32 s40, exec_lo
	v_cmpx_ne_u16_e32 0x80, v1
	s_cbranch_execz .LBB305_201
; %bb.196:                              ;   in Loop: Header=BB305_10 Depth=1
	v_and_b32_e32 v46, 0xffff, v1
	v_mov_b32_e32 v45, 0x7fc02000
	s_mov_b32 s41, exec_lo
	s_delay_alu instid0(VALU_DEP_2) | instskip(NEXT) | instid1(VALU_DEP_1)
	v_and_b32_e32 v47, 0x7f, v46
	v_cmpx_ne_u32_e32 0x7f, v47
	s_cbranch_execz .LBB305_200
; %bb.197:                              ;   in Loop: Header=BB305_10 Depth=1
	v_and_b32_e32 v1, 7, v46
	v_lshrrev_b32_e32 v45, 3, v47
	s_mov_b32 s42, exec_lo
	v_cmpx_gt_u32_e32 8, v47
; %bb.198:                              ;   in Loop: Header=BB305_10 Depth=1
	s_delay_alu instid0(VALU_DEP_3) | instskip(NEXT) | instid1(VALU_DEP_1)
	v_clz_i32_u32_e32 v45, v1
	v_min_u32_e32 v45, 32, v45
	s_delay_alu instid0(VALU_DEP_1) | instskip(SKIP_1) | instid1(VALU_DEP_2)
	v_subrev_nc_u32_e32 v47, 28, v45
	v_sub_nc_u32_e32 v45, 29, v45
	v_lshlrev_b64 v[47:48], v47, v[1:2]
	s_delay_alu instid0(VALU_DEP_1)
	v_and_b32_e32 v1, 7, v47
; %bb.199:                              ;   in Loop: Header=BB305_10 Depth=1
	s_or_b32 exec_lo, exec_lo, s42
	v_lshlrev_b32_e32 v46, 8, v46
	v_lshl_add_u32 v45, v45, 10, 0x2000
	s_delay_alu instid0(VALU_DEP_1) | instskip(NEXT) | instid1(VALU_DEP_1)
	v_and_or_b32 v45, 0x8000, v46, v45
	v_lshl_or_b32 v1, v1, 7, v45
	s_delay_alu instid0(VALU_DEP_1)
	v_cvt_f32_f16_e32 v45, v1
.LBB305_200:                            ;   in Loop: Header=BB305_10 Depth=1
	s_or_b32 exec_lo, exec_lo, s41
.LBB305_201:                            ;   in Loop: Header=BB305_10 Depth=1
	s_delay_alu instid0(SALU_CYCLE_1)
	s_or_b32 exec_lo, exec_lo, s40
.LBB305_202:                            ;   in Loop: Header=BB305_10 Depth=1
	s_delay_alu instid0(SALU_CYCLE_1)
	s_or_b32 exec_lo, exec_lo, s3
	global_load_u16 v1, v[9:10], off offset:768
	s_mov_b32 s3, exec_lo
	s_waitcnt vmcnt(0)
	v_and_b32_e32 v47, 0xff, v1
	v_and_b32_e32 v46, 0xffff, v1
	s_delay_alu instid0(VALU_DEP_2)
	v_cmpx_ne_u16_e32 0, v47
	s_cbranch_execz .LBB305_210
; %bb.203:                              ;   in Loop: Header=BB305_10 Depth=1
	s_delay_alu instid0(VALU_DEP_2) | instskip(SKIP_2) | instid1(VALU_DEP_2)
	v_and_b32_e32 v1, 0xff, v46
	v_bfrev_b32_e32 v44, 1
	s_mov_b32 s40, exec_lo
	v_cmpx_ne_u16_e32 0x80, v1
	s_cbranch_execz .LBB305_209
; %bb.204:                              ;   in Loop: Header=BB305_10 Depth=1
	v_and_b32_e32 v47, 0x7f, v46
	v_mov_b32_e32 v44, 0x7fc02000
	s_mov_b32 s41, exec_lo
	s_delay_alu instid0(VALU_DEP_2)
	v_cmpx_ne_u32_e32 0x7f, v47
	s_cbranch_execz .LBB305_208
; %bb.205:                              ;   in Loop: Header=BB305_10 Depth=1
	v_and_b32_e32 v1, 7, v46
	v_lshrrev_b32_e32 v44, 3, v47
	s_mov_b32 s42, exec_lo
	v_cmpx_gt_u32_e32 8, v47
; %bb.206:                              ;   in Loop: Header=BB305_10 Depth=1
	s_delay_alu instid0(VALU_DEP_3) | instskip(NEXT) | instid1(VALU_DEP_1)
	v_clz_i32_u32_e32 v44, v1
	v_min_u32_e32 v44, 32, v44
	s_delay_alu instid0(VALU_DEP_1) | instskip(SKIP_1) | instid1(VALU_DEP_2)
	v_subrev_nc_u32_e32 v47, 28, v44
	v_sub_nc_u32_e32 v44, 29, v44
	v_lshlrev_b64 v[47:48], v47, v[1:2]
	s_delay_alu instid0(VALU_DEP_1)
	v_and_b32_e32 v1, 7, v47
; %bb.207:                              ;   in Loop: Header=BB305_10 Depth=1
	s_or_b32 exec_lo, exec_lo, s42
	v_lshlrev_b32_e32 v47, 8, v46
	v_lshl_add_u32 v44, v44, 10, 0x2000
	s_delay_alu instid0(VALU_DEP_1) | instskip(NEXT) | instid1(VALU_DEP_1)
	v_and_or_b32 v44, 0x8000, v47, v44
	v_lshl_or_b32 v1, v1, 7, v44
	s_delay_alu instid0(VALU_DEP_1)
	v_cvt_f32_f16_e32 v44, v1
.LBB305_208:                            ;   in Loop: Header=BB305_10 Depth=1
	s_or_b32 exec_lo, exec_lo, s41
.LBB305_209:                            ;   in Loop: Header=BB305_10 Depth=1
	s_delay_alu instid0(SALU_CYCLE_1)
	s_or_b32 exec_lo, exec_lo, s40
.LBB305_210:                            ;   in Loop: Header=BB305_10 Depth=1
	s_delay_alu instid0(SALU_CYCLE_1) | instskip(NEXT) | instid1(VALU_DEP_2)
	s_or_b32 exec_lo, exec_lo, s3
	v_lshrrev_b16 v1, 8, v46
	v_dual_mov_b32 v46, 0 :: v_dual_mov_b32 v47, 0
	s_mov_b32 s3, exec_lo
	s_delay_alu instid0(VALU_DEP_2)
	v_cmpx_ne_u16_e32 0, v1
	s_cbranch_execz .LBB305_218
; %bb.211:                              ;   in Loop: Header=BB305_10 Depth=1
	v_bfrev_b32_e32 v47, 1
	s_mov_b32 s40, exec_lo
	v_cmpx_ne_u16_e32 0x80, v1
	s_cbranch_execz .LBB305_217
; %bb.212:                              ;   in Loop: Header=BB305_10 Depth=1
	v_and_b32_e32 v48, 0xffff, v1
	v_mov_b32_e32 v47, 0x7fc02000
	s_mov_b32 s41, exec_lo
	s_delay_alu instid0(VALU_DEP_2) | instskip(NEXT) | instid1(VALU_DEP_1)
	v_and_b32_e32 v49, 0x7f, v48
	v_cmpx_ne_u32_e32 0x7f, v49
	s_cbranch_execz .LBB305_216
; %bb.213:                              ;   in Loop: Header=BB305_10 Depth=1
	v_and_b32_e32 v1, 7, v48
	v_lshrrev_b32_e32 v47, 3, v49
	s_mov_b32 s42, exec_lo
	v_cmpx_gt_u32_e32 8, v49
; %bb.214:                              ;   in Loop: Header=BB305_10 Depth=1
	s_delay_alu instid0(VALU_DEP_3) | instskip(NEXT) | instid1(VALU_DEP_1)
	v_clz_i32_u32_e32 v47, v1
	v_min_u32_e32 v47, 32, v47
	s_delay_alu instid0(VALU_DEP_1) | instskip(SKIP_1) | instid1(VALU_DEP_2)
	v_subrev_nc_u32_e32 v49, 28, v47
	v_sub_nc_u32_e32 v47, 29, v47
	v_lshlrev_b64 v[49:50], v49, v[1:2]
	s_delay_alu instid0(VALU_DEP_1)
	v_and_b32_e32 v1, 7, v49
; %bb.215:                              ;   in Loop: Header=BB305_10 Depth=1
	s_or_b32 exec_lo, exec_lo, s42
	v_lshlrev_b32_e32 v48, 8, v48
	v_lshl_add_u32 v47, v47, 10, 0x2000
	s_delay_alu instid0(VALU_DEP_1) | instskip(NEXT) | instid1(VALU_DEP_1)
	v_and_or_b32 v47, 0x8000, v48, v47
	v_lshl_or_b32 v1, v1, 7, v47
	s_delay_alu instid0(VALU_DEP_1)
	v_cvt_f32_f16_e32 v47, v1
.LBB305_216:                            ;   in Loop: Header=BB305_10 Depth=1
	s_or_b32 exec_lo, exec_lo, s41
.LBB305_217:                            ;   in Loop: Header=BB305_10 Depth=1
	s_delay_alu instid0(SALU_CYCLE_1)
	s_or_b32 exec_lo, exec_lo, s40
.LBB305_218:                            ;   in Loop: Header=BB305_10 Depth=1
	s_delay_alu instid0(SALU_CYCLE_1)
	s_or_b32 exec_lo, exec_lo, s3
	global_load_u16 v1, v[9:10], off offset:776
	s_mov_b32 s3, exec_lo
	s_waitcnt vmcnt(0)
	v_and_b32_e32 v49, 0xff, v1
	v_and_b32_e32 v48, 0xffff, v1
	s_delay_alu instid0(VALU_DEP_2)
	v_cmpx_ne_u16_e32 0, v49
	s_cbranch_execz .LBB305_226
; %bb.219:                              ;   in Loop: Header=BB305_10 Depth=1
	s_delay_alu instid0(VALU_DEP_2) | instskip(SKIP_2) | instid1(VALU_DEP_2)
	v_and_b32_e32 v1, 0xff, v48
	v_bfrev_b32_e32 v46, 1
	s_mov_b32 s40, exec_lo
	v_cmpx_ne_u16_e32 0x80, v1
	s_cbranch_execz .LBB305_225
; %bb.220:                              ;   in Loop: Header=BB305_10 Depth=1
	v_and_b32_e32 v49, 0x7f, v48
	v_mov_b32_e32 v46, 0x7fc02000
	s_mov_b32 s41, exec_lo
	s_delay_alu instid0(VALU_DEP_2)
	v_cmpx_ne_u32_e32 0x7f, v49
	s_cbranch_execz .LBB305_224
; %bb.221:                              ;   in Loop: Header=BB305_10 Depth=1
	v_and_b32_e32 v1, 7, v48
	v_lshrrev_b32_e32 v46, 3, v49
	s_mov_b32 s42, exec_lo
	v_cmpx_gt_u32_e32 8, v49
; %bb.222:                              ;   in Loop: Header=BB305_10 Depth=1
	s_delay_alu instid0(VALU_DEP_3) | instskip(NEXT) | instid1(VALU_DEP_1)
	v_clz_i32_u32_e32 v46, v1
	v_min_u32_e32 v46, 32, v46
	s_delay_alu instid0(VALU_DEP_1) | instskip(SKIP_1) | instid1(VALU_DEP_2)
	v_subrev_nc_u32_e32 v49, 28, v46
	v_sub_nc_u32_e32 v46, 29, v46
	v_lshlrev_b64 v[49:50], v49, v[1:2]
	s_delay_alu instid0(VALU_DEP_1)
	v_and_b32_e32 v1, 7, v49
; %bb.223:                              ;   in Loop: Header=BB305_10 Depth=1
	s_or_b32 exec_lo, exec_lo, s42
	v_lshlrev_b32_e32 v49, 8, v48
	v_lshl_add_u32 v46, v46, 10, 0x2000
	s_delay_alu instid0(VALU_DEP_1) | instskip(NEXT) | instid1(VALU_DEP_1)
	v_and_or_b32 v46, 0x8000, v49, v46
	v_lshl_or_b32 v1, v1, 7, v46
	s_delay_alu instid0(VALU_DEP_1)
	v_cvt_f32_f16_e32 v46, v1
.LBB305_224:                            ;   in Loop: Header=BB305_10 Depth=1
	s_or_b32 exec_lo, exec_lo, s41
.LBB305_225:                            ;   in Loop: Header=BB305_10 Depth=1
	s_delay_alu instid0(SALU_CYCLE_1)
	s_or_b32 exec_lo, exec_lo, s40
.LBB305_226:                            ;   in Loop: Header=BB305_10 Depth=1
	s_delay_alu instid0(SALU_CYCLE_1) | instskip(NEXT) | instid1(VALU_DEP_2)
	s_or_b32 exec_lo, exec_lo, s3
	v_lshrrev_b16 v1, 8, v48
	v_dual_mov_b32 v48, 0 :: v_dual_mov_b32 v49, 0
	s_mov_b32 s3, exec_lo
	s_delay_alu instid0(VALU_DEP_2)
	v_cmpx_ne_u16_e32 0, v1
	s_cbranch_execz .LBB305_234
; %bb.227:                              ;   in Loop: Header=BB305_10 Depth=1
	v_bfrev_b32_e32 v49, 1
	s_mov_b32 s40, exec_lo
	v_cmpx_ne_u16_e32 0x80, v1
	s_cbranch_execz .LBB305_233
; %bb.228:                              ;   in Loop: Header=BB305_10 Depth=1
	v_and_b32_e32 v50, 0xffff, v1
	v_mov_b32_e32 v49, 0x7fc02000
	s_mov_b32 s41, exec_lo
	s_delay_alu instid0(VALU_DEP_2) | instskip(NEXT) | instid1(VALU_DEP_1)
	v_and_b32_e32 v51, 0x7f, v50
	v_cmpx_ne_u32_e32 0x7f, v51
	s_cbranch_execz .LBB305_232
; %bb.229:                              ;   in Loop: Header=BB305_10 Depth=1
	v_and_b32_e32 v1, 7, v50
	v_lshrrev_b32_e32 v49, 3, v51
	s_mov_b32 s42, exec_lo
	v_cmpx_gt_u32_e32 8, v51
; %bb.230:                              ;   in Loop: Header=BB305_10 Depth=1
	s_delay_alu instid0(VALU_DEP_3) | instskip(NEXT) | instid1(VALU_DEP_1)
	v_clz_i32_u32_e32 v49, v1
	v_min_u32_e32 v49, 32, v49
	s_delay_alu instid0(VALU_DEP_1) | instskip(SKIP_1) | instid1(VALU_DEP_2)
	v_subrev_nc_u32_e32 v51, 28, v49
	v_sub_nc_u32_e32 v49, 29, v49
	v_lshlrev_b64 v[51:52], v51, v[1:2]
	s_delay_alu instid0(VALU_DEP_1)
	v_and_b32_e32 v1, 7, v51
; %bb.231:                              ;   in Loop: Header=BB305_10 Depth=1
	s_or_b32 exec_lo, exec_lo, s42
	v_lshlrev_b32_e32 v50, 8, v50
	v_lshl_add_u32 v49, v49, 10, 0x2000
	s_delay_alu instid0(VALU_DEP_1) | instskip(NEXT) | instid1(VALU_DEP_1)
	v_and_or_b32 v49, 0x8000, v50, v49
	v_lshl_or_b32 v1, v1, 7, v49
	s_delay_alu instid0(VALU_DEP_1)
	v_cvt_f32_f16_e32 v49, v1
.LBB305_232:                            ;   in Loop: Header=BB305_10 Depth=1
	s_or_b32 exec_lo, exec_lo, s41
.LBB305_233:                            ;   in Loop: Header=BB305_10 Depth=1
	s_delay_alu instid0(SALU_CYCLE_1)
	s_or_b32 exec_lo, exec_lo, s40
.LBB305_234:                            ;   in Loop: Header=BB305_10 Depth=1
	s_delay_alu instid0(SALU_CYCLE_1)
	s_or_b32 exec_lo, exec_lo, s3
	global_load_u16 v1, v[9:10], off offset:896
	s_mov_b32 s3, exec_lo
	s_waitcnt vmcnt(0)
	v_and_b32_e32 v10, 0xff, v1
	v_and_b32_e32 v9, 0xffff, v1
	s_delay_alu instid0(VALU_DEP_2)
	v_cmpx_ne_u16_e32 0, v10
	s_cbranch_execz .LBB305_242
; %bb.235:                              ;   in Loop: Header=BB305_10 Depth=1
	s_delay_alu instid0(VALU_DEP_2) | instskip(SKIP_2) | instid1(VALU_DEP_2)
	v_and_b32_e32 v1, 0xff, v9
	v_bfrev_b32_e32 v48, 1
	s_mov_b32 s40, exec_lo
	v_cmpx_ne_u16_e32 0x80, v1
	s_cbranch_execz .LBB305_241
; %bb.236:                              ;   in Loop: Header=BB305_10 Depth=1
	v_and_b32_e32 v50, 0x7f, v9
	v_mov_b32_e32 v48, 0x7fc02000
	s_mov_b32 s41, exec_lo
	s_delay_alu instid0(VALU_DEP_2)
	v_cmpx_ne_u32_e32 0x7f, v50
	s_cbranch_execz .LBB305_240
; %bb.237:                              ;   in Loop: Header=BB305_10 Depth=1
	v_and_b32_e32 v1, 7, v9
	v_lshrrev_b32_e32 v10, 3, v50
	s_mov_b32 s42, exec_lo
	v_cmpx_gt_u32_e32 8, v50
; %bb.238:                              ;   in Loop: Header=BB305_10 Depth=1
	s_delay_alu instid0(VALU_DEP_3) | instskip(NEXT) | instid1(VALU_DEP_1)
	v_clz_i32_u32_e32 v10, v1
	v_min_u32_e32 v10, 32, v10
	s_delay_alu instid0(VALU_DEP_1) | instskip(SKIP_1) | instid1(VALU_DEP_2)
	v_subrev_nc_u32_e32 v48, 28, v10
	v_sub_nc_u32_e32 v10, 29, v10
	v_lshlrev_b64 v[50:51], v48, v[1:2]
	s_delay_alu instid0(VALU_DEP_1)
	v_and_b32_e32 v1, 7, v50
; %bb.239:                              ;   in Loop: Header=BB305_10 Depth=1
	s_or_b32 exec_lo, exec_lo, s42
	v_lshlrev_b32_e32 v48, 8, v9
	v_lshl_add_u32 v10, v10, 10, 0x2000
	s_delay_alu instid0(VALU_DEP_1) | instskip(NEXT) | instid1(VALU_DEP_1)
	v_and_or_b32 v10, 0x8000, v48, v10
	v_lshl_or_b32 v1, v1, 7, v10
	s_delay_alu instid0(VALU_DEP_1)
	v_cvt_f32_f16_e32 v48, v1
.LBB305_240:                            ;   in Loop: Header=BB305_10 Depth=1
	s_or_b32 exec_lo, exec_lo, s41
.LBB305_241:                            ;   in Loop: Header=BB305_10 Depth=1
	s_delay_alu instid0(SALU_CYCLE_1)
	s_or_b32 exec_lo, exec_lo, s40
.LBB305_242:                            ;   in Loop: Header=BB305_10 Depth=1
	s_delay_alu instid0(SALU_CYCLE_1) | instskip(NEXT) | instid1(VALU_DEP_2)
	s_or_b32 exec_lo, exec_lo, s3
	v_lshrrev_b16 v9, 8, v9
	v_mov_b32_e32 v1, 0
	s_mov_b32 s3, exec_lo
	s_delay_alu instid0(VALU_DEP_2)
	v_cmpx_ne_u16_e32 0, v9
	s_cbranch_execz .LBB305_250
; %bb.243:                              ;   in Loop: Header=BB305_10 Depth=1
	v_bfrev_b32_e32 v1, 1
	s_mov_b32 s40, exec_lo
	v_cmpx_ne_u16_e32 0x80, v9
	s_cbranch_execz .LBB305_249
; %bb.244:                              ;   in Loop: Header=BB305_10 Depth=1
	v_and_b32_e32 v9, 0xffff, v9
	v_mov_b32_e32 v1, 0x7fc02000
	s_mov_b32 s41, exec_lo
	s_delay_alu instid0(VALU_DEP_2) | instskip(NEXT) | instid1(VALU_DEP_1)
	v_and_b32_e32 v50, 0x7f, v9
	v_cmpx_ne_u32_e32 0x7f, v50
	s_cbranch_execz .LBB305_248
; %bb.245:                              ;   in Loop: Header=BB305_10 Depth=1
	v_and_b32_e32 v1, 7, v9
	v_lshrrev_b32_e32 v10, 3, v50
	s_mov_b32 s42, exec_lo
	v_cmpx_gt_u32_e32 8, v50
; %bb.246:                              ;   in Loop: Header=BB305_10 Depth=1
	s_delay_alu instid0(VALU_DEP_3) | instskip(NEXT) | instid1(VALU_DEP_1)
	v_clz_i32_u32_e32 v10, v1
	v_min_u32_e32 v10, 32, v10
	s_delay_alu instid0(VALU_DEP_1) | instskip(SKIP_1) | instid1(VALU_DEP_2)
	v_subrev_nc_u32_e32 v50, 28, v10
	v_sub_nc_u32_e32 v10, 29, v10
	v_lshlrev_b64 v[50:51], v50, v[1:2]
	s_delay_alu instid0(VALU_DEP_1)
	v_and_b32_e32 v1, 7, v50
; %bb.247:                              ;   in Loop: Header=BB305_10 Depth=1
	s_or_b32 exec_lo, exec_lo, s42
	v_lshlrev_b32_e32 v9, 8, v9
	v_lshl_add_u32 v10, v10, 10, 0x2000
	s_delay_alu instid0(VALU_DEP_1) | instskip(NEXT) | instid1(VALU_DEP_1)
	v_and_or_b32 v9, 0x8000, v9, v10
	v_lshl_or_b32 v1, v1, 7, v9
	s_delay_alu instid0(VALU_DEP_1)
	v_cvt_f32_f16_e32 v1, v1
.LBB305_248:                            ;   in Loop: Header=BB305_10 Depth=1
	s_or_b32 exec_lo, exec_lo, s41
.LBB305_249:                            ;   in Loop: Header=BB305_10 Depth=1
	s_delay_alu instid0(SALU_CYCLE_1)
	s_or_b32 exec_lo, exec_lo, s40
.LBB305_250:                            ;   in Loop: Header=BB305_10 Depth=1
	s_delay_alu instid0(SALU_CYCLE_1)
	s_or_b32 exec_lo, exec_lo, s3
	ds_load_b32 v9, v15
	v_fma_mixlo_f16 v10, v20, v21, 0
	v_fma_mixlo_f16 v21, v20, v23, 0
	;; [unrolled: 1-line block ×5, first 2 shown]
	v_and_b32_e32 v10, 0xffff, v10
	v_fma_mixlo_f16 v27, v20, v27, 0
	v_fma_mixlo_f16 v26, v20, v26, 0
	v_and_b32_e32 v25, 0xffff, v25
	v_fma_mixlo_f16 v29, v20, v29, 0
	v_fma_mixlo_f16 v28, v20, v28, 0
	;; [unrolled: 3-line block ×4, first 2 shown]
	v_and_b32_e32 v31, 0xffff, v31
	v_fma_mixlo_f16 v35, v20, v35, 0
	s_waitcnt lgkmcnt(0)
	v_and_b32_e32 v23, 0xffff, v9
	v_lshrrev_b32_e32 v9, 16, v9
	;;#ASMSTART
	v_cvt_f32_f16 v23, v23;
	;;#ASMEND
	;;#ASMSTART
	v_cvt_f32_f16 v9, v9;
	;;#ASMEND
	;;#ASMSTART
	v_cvt_f32_f16 v10, v10;
	;;#ASMEND
	v_and_b32_e32 v21, 0xffff, v21
	;;#ASMSTART
	v_cvt_f32_f16 v21, v21;
	;;#ASMEND
	ds_load_b32 v50, v15 offset:4
	v_and_b32_e32 v22, 0xffff, v22
	v_and_b32_e32 v33, 0xffff, v33
	;; [unrolled: 1-line block ×3, first 2 shown]
	v_fma_mixlo_f16 v34, v20, v34, 0
	v_fma_mixlo_f16 v37, v20, v37, 0
	;; [unrolled: 1-line block ×6, first 2 shown]
	v_and_b32_e32 v37, 0xffff, v37
	v_fma_mixlo_f16 v40, v20, v40, 0
	v_and_b32_e32 v39, 0xffff, v39
	v_fma_mixlo_f16 v43, v20, v43, 0
	;; [unrolled: 2-line block ×3, first 2 shown]
	v_fma_mixlo_f16 v45, v20, v45, 0
	v_fma_mixlo_f16 v44, v20, v44, 0
	v_and_b32_e32 v43, 0xffff, v43
	v_fma_mixlo_f16 v1, v20, v1, 0
	s_waitcnt lgkmcnt(0)
	v_and_b32_e32 v51, 0xffff, v50
	v_lshrrev_b32_e32 v50, 16, v50
	;;#ASMSTART
	v_cvt_f32_f16 v51, v51;
	;;#ASMEND
	;;#ASMSTART
	v_cvt_f32_f16 v50, v50;
	;;#ASMEND
	;; [unrolled: 3-line block ×4, first 2 shown]
	ds_load_b32 v52, v15 offset:8
	v_dual_mul_f32 v25, v50, v25 :: v_dual_mul_f32 v22, v51, v22
	v_and_b32_e32 v45, 0xffff, v45
	v_and_b32_e32 v1, 0xffff, v1
	s_delay_alu instid0(VALU_DEP_3) | instskip(SKIP_1) | instid1(VALU_DEP_1)
	v_dual_fmac_f32 v25, v9, v21 :: v_dual_fmac_f32 v22, v23, v10
	v_fma_mixlo_f16 v9, v20, v47, 0
	v_and_b32_e32 v9, 0xffff, v9
	s_waitcnt lgkmcnt(0)
	v_and_b32_e32 v53, 0xffff, v52
	v_lshrrev_b32_e32 v52, 16, v52
	;;#ASMSTART
	v_cvt_f32_f16 v53, v53;
	;;#ASMEND
	;;#ASMSTART
	v_cvt_f32_f16 v52, v52;
	;;#ASMEND
	v_and_b32_e32 v24, 0xffff, v24
	;;#ASMSTART
	v_cvt_f32_f16 v24, v24;
	;;#ASMEND
	;;#ASMSTART
	v_cvt_f32_f16 v27, v27;
	;;#ASMEND
	v_fmac_f32_e32 v25, v52, v27
	ds_load_b32 v54, v15 offset:12
	v_fmac_f32_e32 v22, v53, v24
	v_fma_mixlo_f16 v27, v20, v49, 0
	s_delay_alu instid0(VALU_DEP_1)
	v_and_b32_e32 v27, 0xffff, v27
	s_waitcnt lgkmcnt(0)
	v_and_b32_e32 v55, 0xffff, v54
	v_lshrrev_b32_e32 v54, 16, v54
	;;#ASMSTART
	v_cvt_f32_f16 v55, v55;
	;;#ASMEND
	;;#ASMSTART
	v_cvt_f32_f16 v54, v54;
	;;#ASMEND
	v_and_b32_e32 v26, 0xffff, v26
	;;#ASMSTART
	v_cvt_f32_f16 v26, v26;
	;;#ASMEND
	;;#ASMSTART
	v_cvt_f32_f16 v29, v29;
	;;#ASMEND
	v_fmac_f32_e32 v25, v54, v29
	ds_load_b32 v56, v15 offset:16
	v_fmac_f32_e32 v22, v55, v26
	v_fma_mixlo_f16 v26, v20, v46, 0
	s_waitcnt lgkmcnt(0)
	v_and_b32_e32 v57, 0xffff, v56
	v_lshrrev_b32_e32 v56, 16, v56
	;;#ASMSTART
	v_cvt_f32_f16 v57, v57;
	;;#ASMEND
	;;#ASMSTART
	v_cvt_f32_f16 v56, v56;
	;;#ASMEND
	v_and_b32_e32 v28, 0xffff, v28
	;;#ASMSTART
	v_cvt_f32_f16 v28, v28;
	;;#ASMEND
	;;#ASMSTART
	v_cvt_f32_f16 v31, v31;
	;;#ASMEND
	v_fmac_f32_e32 v25, v56, v31
	ds_load_b32 v58, v15 offset:20
	s_waitcnt lgkmcnt(0)
	v_dual_fmac_f32 v22, v57, v28 :: v_dual_and_b32 v59, 0xffff, v58
	v_lshrrev_b32_e32 v58, 16, v58
	;;#ASMSTART
	v_cvt_f32_f16 v59, v59;
	;;#ASMEND
	;;#ASMSTART
	v_cvt_f32_f16 v58, v58;
	;;#ASMEND
	v_and_b32_e32 v30, 0xffff, v30
	;;#ASMSTART
	v_cvt_f32_f16 v30, v30;
	;;#ASMEND
	;;#ASMSTART
	v_cvt_f32_f16 v33, v33;
	;;#ASMEND
	v_fmac_f32_e32 v25, v58, v33
	ds_load_b32 v60, v15 offset:24
	v_fmac_f32_e32 v22, v59, v30
	v_fma_mixlo_f16 v30, v20, v48, 0
	v_xor_b32_e32 v20, 2, v11
	s_delay_alu instid0(VALU_DEP_2) | instskip(NEXT) | instid1(VALU_DEP_2)
	v_and_b32_e32 v30, 0xffff, v30
	v_cmp_gt_i32_e64 s1, 32, v20
	s_delay_alu instid0(VALU_DEP_1)
	v_cndmask_b32_e64 v20, v11, v20, s1
	s_waitcnt lgkmcnt(0)
	v_and_b32_e32 v61, 0xffff, v60
	v_lshrrev_b32_e32 v60, 16, v60
	;;#ASMSTART
	v_cvt_f32_f16 v61, v61;
	;;#ASMEND
	;;#ASMSTART
	v_cvt_f32_f16 v60, v60;
	;;#ASMEND
	v_and_b32_e32 v32, 0xffff, v32
	;;#ASMSTART
	v_cvt_f32_f16 v32, v32;
	;;#ASMEND
	;;#ASMSTART
	v_cvt_f32_f16 v35, v35;
	;;#ASMEND
	v_fmac_f32_e32 v25, v60, v35
	ds_load_b32 v62, v15 offset:28
	s_waitcnt lgkmcnt(0)
	v_dual_fmac_f32 v22, v61, v32 :: v_dual_and_b32 v63, 0xffff, v62
	v_lshrrev_b32_e32 v62, 16, v62
	;;#ASMSTART
	v_cvt_f32_f16 v63, v63;
	;;#ASMEND
	;;#ASMSTART
	v_cvt_f32_f16 v62, v62;
	;;#ASMEND
	v_and_b32_e32 v34, 0xffff, v34
	;;#ASMSTART
	v_cvt_f32_f16 v34, v34;
	;;#ASMEND
	;;#ASMSTART
	v_cvt_f32_f16 v37, v37;
	;;#ASMEND
	v_fmac_f32_e32 v25, v62, v37
	ds_load_b32 v64, v15 offset:32
	s_waitcnt lgkmcnt(0)
	v_dual_fmac_f32 v22, v63, v34 :: v_dual_and_b32 v65, 0xffff, v64
	;; [unrolled: 18-line block ×6, first 2 shown]
	v_lshrrev_b32_e32 v23, 16, v72
	;;#ASMSTART
	v_cvt_f32_f16 v21, v21;
	;;#ASMEND
	;;#ASMSTART
	v_cvt_f32_f16 v23, v23;
	;;#ASMEND
	v_and_b32_e32 v10, 0xffff, v44
	;;#ASMSTART
	v_cvt_f32_f16 v10, v10;
	;;#ASMEND
	;;#ASMSTART
	v_cvt_f32_f16 v9, v9;
	;;#ASMEND
	v_fmac_f32_e32 v25, v23, v9
	ds_load_b32 v24, v15 offset:52
	v_fmac_f32_e32 v22, v21, v10
	s_waitcnt lgkmcnt(0)
	v_and_b32_e32 v28, 0xffff, v24
	v_lshrrev_b32_e32 v24, 16, v24
	;;#ASMSTART
	v_cvt_f32_f16 v28, v28;
	;;#ASMEND
	;;#ASMSTART
	v_cvt_f32_f16 v24, v24;
	;;#ASMEND
	v_and_b32_e32 v26, 0xffff, v26
	;;#ASMSTART
	v_cvt_f32_f16 v26, v26;
	;;#ASMEND
	;;#ASMSTART
	v_cvt_f32_f16 v27, v27;
	;;#ASMEND
	v_fmac_f32_e32 v25, v24, v27
	ds_load_b32 v29, v15 offset:56
	v_fmac_f32_e32 v22, v28, v26
	s_waitcnt lgkmcnt(0)
	v_lshrrev_b32_e32 v9, 16, v29
	v_and_b32_e32 v10, 0xffff, v29
	;;#ASMSTART
	v_cvt_f32_f16 v10, v10;
	;;#ASMEND
	;;#ASMSTART
	v_cvt_f32_f16 v9, v9;
	;;#ASMEND
	;; [unrolled: 3-line block ×4, first 2 shown]
	v_fmac_f32_e32 v22, v10, v21
	v_fmac_f32_e32 v25, v9, v1
	v_lshlrev_b32_e32 v1, 2, v20
	v_xor_b32_e32 v10, 1, v11
	s_delay_alu instid0(VALU_DEP_3) | instskip(NEXT) | instid1(VALU_DEP_2)
	v_add_f32_e32 v9, v22, v25
	v_cmp_gt_i32_e64 s1, 32, v10
	ds_bpermute_b32 v1, v1, v9
	v_cndmask_b32_e64 v10, v11, v10, s1
	s_waitcnt lgkmcnt(0)
	v_add_f32_e32 v1, v9, v1
	s_delay_alu instid0(VALU_DEP_2)
	v_lshlrev_b32_e32 v9, 2, v10
	ds_bpermute_b32 v9, v9, v1
	s_and_saveexec_b32 s3, vcc_lo
	s_cbranch_execz .LBB305_9
; %bb.251:                              ;   in Loop: Header=BB305_10 Depth=1
	v_add_nc_u32_e32 v10, s37, v17
	v_cmp_gt_i32_e64 s1, s33, v17
	s_waitcnt lgkmcnt(0)
	v_add_f32_e32 v1, v1, v9
	s_delay_alu instid0(VALU_DEP_3) | instskip(NEXT) | instid1(VALU_DEP_1)
	v_cvt_f32_i32_e32 v10, v10
	v_mul_f32_e32 v10, s12, v10
	s_delay_alu instid0(VALU_DEP_1) | instskip(SKIP_1) | instid1(VALU_DEP_2)
	v_cndmask_b32_e64 v9, 0, v10, s0
	v_max_f32_e32 v10, v13, v13
	v_fmac_f32_e32 v9, s13, v1
	s_delay_alu instid0(VALU_DEP_1) | instskip(SKIP_1) | instid1(VALU_DEP_2)
	v_max_f32_e32 v1, v10, v9
	v_cndmask_b32_e64 v9, 0, v9, s1
	v_cndmask_b32_e64 v13, v13, v1, s1
	ds_store_b32 v18, v9
	s_branch .LBB305_9
.LBB305_252:
	s_or_b32 exec_lo, exec_lo, s38
.LBB305_253:
	s_delay_alu instid0(SALU_CYCLE_1) | instskip(SKIP_4) | instid1(VALU_DEP_4)
	s_or_b32 exec_lo, exec_lo, s21
	v_xor_b32_e32 v1, 16, v11
	v_xor_b32_e32 v3, 8, v11
	v_max_f32_e32 v7, v13, v13
	v_and_b32_e32 v17, 31, v0
	v_cmp_lt_i32_e32 vcc_lo, v1, v12
	v_cndmask_b32_e32 v1, v11, v1, vcc_lo
	v_cmp_lt_i32_e32 vcc_lo, v3, v12
	v_cndmask_b32_e32 v3, v11, v3, vcc_lo
	s_delay_alu instid0(VALU_DEP_1) | instskip(NEXT) | instid1(VALU_DEP_4)
	v_lshlrev_b32_e32 v4, 2, v3
	v_lshlrev_b32_e32 v2, 2, v1
	ds_bpermute_b32 v1, v2, v13
	s_waitcnt lgkmcnt(0)
	v_max_f32_e32 v1, v1, v1
	s_delay_alu instid0(VALU_DEP_1)
	v_max_f32_e32 v1, v7, v1
	v_xor_b32_e32 v7, 4, v11
	ds_bpermute_b32 v3, v4, v1
	v_cmp_lt_i32_e32 vcc_lo, v7, v12
	v_cndmask_b32_e32 v7, v11, v7, vcc_lo
	v_cmp_eq_u32_e32 vcc_lo, 0, v17
	s_delay_alu instid0(VALU_DEP_2) | instskip(SKIP_3) | instid1(VALU_DEP_1)
	v_lshlrev_b32_e32 v9, 2, v7
	v_lshlrev_b32_e32 v7, 2, v16
	s_waitcnt lgkmcnt(0)
	v_max_f32_e32 v3, v3, v3
	v_max_f32_e32 v1, v1, v3
	ds_bpermute_b32 v3, v9, v1
	s_and_saveexec_b32 s0, vcc_lo
	s_cbranch_execz .LBB305_255
; %bb.254:
	s_waitcnt lgkmcnt(0)
	v_max_f32_e32 v3, v3, v3
	v_max_f32_e32 v1, v1, v1
	s_delay_alu instid0(VALU_DEP_1)
	v_max_f32_e32 v1, v1, v3
	ds_store_b32 v7, v1 offset:240
.LBB305_255:
	s_or_b32 exec_lo, exec_lo, s0
	v_cmp_gt_u32_e64 s0, 4, v17
	v_dual_mov_b32 v1, 0xff7fffff :: v_dual_lshlrev_b32 v8, 2, v17
	s_waitcnt lgkmcnt(0)
	s_barrier
	buffer_gl0_inv
	s_and_saveexec_b32 s1, s0
	s_cbranch_execz .LBB305_257
; %bb.256:
	ds_load_b32 v1, v8 offset:240
.LBB305_257:
	s_or_b32 exec_lo, exec_lo, s1
	v_xor_b32_e32 v3, 2, v11
	v_xor_b32_e32 v13, 1, v11
	s_delay_alu instid0(VALU_DEP_2) | instskip(NEXT) | instid1(VALU_DEP_1)
	v_cmp_lt_i32_e64 s1, v3, v12
	v_cndmask_b32_e64 v3, v11, v3, s1
	s_delay_alu instid0(VALU_DEP_3) | instskip(NEXT) | instid1(VALU_DEP_2)
	v_cmp_lt_i32_e64 s1, v13, v12
	v_lshlrev_b32_e32 v10, 2, v3
	s_delay_alu instid0(VALU_DEP_2)
	v_cndmask_b32_e64 v12, v11, v13, s1
	v_lshlrev_b32_e32 v11, 2, v11
	s_sub_i32 s1, s23, s11
	v_mov_b32_e32 v13, 0
	s_waitcnt lgkmcnt(0)
	ds_bpermute_b32 v3, v10, v1
	v_max_f32_e32 v1, v1, v1
	v_and_b32_e32 v11, 0xffffff80, v11
	s_lshl_b32 s1, s1, 3
	v_lshlrev_b32_e32 v12, 2, v12
	s_add_i32 s1, s1, s36
	s_delay_alu instid0(SALU_CYCLE_1) | instskip(NEXT) | instid1(SALU_CYCLE_1)
	s_min_i32 s1, s1, s33
	s_sub_i32 s4, s1, s36
	s_delay_alu instid0(SALU_CYCLE_1) | instskip(SKIP_2) | instid1(VALU_DEP_1)
	v_cmp_gt_i32_e64 s1, s4, v0
	s_waitcnt lgkmcnt(0)
	v_max_f32_e32 v3, v3, v3
	v_max_f32_e32 v1, v1, v3
	ds_bpermute_b32 v3, v12, v1
	s_waitcnt lgkmcnt(0)
	v_max_f32_e32 v3, v3, v3
	s_delay_alu instid0(VALU_DEP_1)
	v_max_f32_e32 v1, v1, v3
	v_lshl_add_u32 v3, v0, 2, 0x110
	ds_bpermute_b32 v1, v11, v1
	s_and_saveexec_b32 s5, s1
	s_cbranch_execz .LBB305_261
; %bb.258:
	v_lshl_add_u32 v14, v0, 2, 0x110
	v_mov_b32_e32 v13, 0
	v_mov_b32_e32 v15, v0
	s_mov_b32 s11, 0
	.p2align	6
.LBB305_259:                            ; =>This Inner Loop Header: Depth=1
	ds_load_b32 v18, v14
	v_add_nc_u32_e32 v15, 0x80, v15
	s_delay_alu instid0(VALU_DEP_1) | instskip(NEXT) | instid1(VALU_DEP_1)
	v_cmp_le_i32_e64 s3, s4, v15
	s_or_b32 s11, s3, s11
	s_waitcnt lgkmcnt(0)
	v_sub_f32_e32 v18, v18, v1
	s_delay_alu instid0(VALU_DEP_1) | instskip(NEXT) | instid1(VALU_DEP_1)
	v_mul_f32_e32 v18, 0x3fb8aa3b, v18
	v_exp_f32_e32 v18, v18
	ds_store_b32 v14, v18
	v_add_f32_e32 v13, v13, v18
	v_add_nc_u32_e32 v14, 0x200, v14
	s_and_not1_b32 exec_lo, exec_lo, s11
	s_cbranch_execnz .LBB305_259
; %bb.260:
	s_or_b32 exec_lo, exec_lo, s11
.LBB305_261:
	s_delay_alu instid0(SALU_CYCLE_1)
	s_or_b32 exec_lo, exec_lo, s5
	ds_bpermute_b32 v2, v2, v13
	s_waitcnt lgkmcnt(0)
	v_add_f32_e32 v2, v13, v2
	ds_bpermute_b32 v4, v4, v2
	s_waitcnt lgkmcnt(0)
	v_add_f32_e32 v2, v2, v4
	;; [unrolled: 3-line block ×5, first 2 shown]
	s_and_saveexec_b32 s3, vcc_lo
	s_cbranch_execz .LBB305_263
; %bb.262:
	ds_store_b32 v7, v2 offset:256
.LBB305_263:
	s_or_b32 exec_lo, exec_lo, s3
	s_waitcnt lgkmcnt(0)
	s_barrier
	buffer_gl0_inv
	s_and_saveexec_b32 s3, s0
	s_cbranch_execz .LBB305_265
; %bb.264:
	ds_load_b32 v2, v8 offset:256
.LBB305_265:
	s_or_b32 exec_lo, exec_lo, s3
	s_waitcnt lgkmcnt(0)
	ds_bpermute_b32 v4, v10, v2
	s_waitcnt lgkmcnt(0)
	v_add_f32_e32 v2, v2, v4
	ds_bpermute_b32 v4, v12, v2
	s_waitcnt lgkmcnt(0)
	v_add_f32_e32 v2, v2, v4
	ds_bpermute_b32 v2, v11, v2
	s_and_saveexec_b32 s0, s1
	s_cbranch_execz .LBB305_268
; %bb.266:
	s_waitcnt lgkmcnt(0)
	v_add_f32_e32 v4, 0x358637bd, v2
	s_mov_b32 s1, 0
	s_delay_alu instid0(VALU_DEP_1) | instskip(SKIP_1) | instid1(VALU_DEP_2)
	v_div_scale_f32 v7, null, v4, v4, 1.0
	v_div_scale_f32 v10, vcc_lo, 1.0, v4, 1.0
	v_rcp_f32_e32 v8, v7
	s_waitcnt_depctr 0xfff
	v_fma_f32 v9, -v7, v8, 1.0
	s_delay_alu instid0(VALU_DEP_1) | instskip(NEXT) | instid1(VALU_DEP_1)
	v_fmac_f32_e32 v8, v9, v8
	v_mul_f32_e32 v9, v10, v8
	s_delay_alu instid0(VALU_DEP_1) | instskip(NEXT) | instid1(VALU_DEP_1)
	v_fma_f32 v11, -v7, v9, v10
	v_fmac_f32_e32 v9, v11, v8
	s_delay_alu instid0(VALU_DEP_1) | instskip(NEXT) | instid1(VALU_DEP_1)
	v_fma_f32 v7, -v7, v9, v10
	v_div_fmas_f32 v7, v7, v8, v9
	s_delay_alu instid0(VALU_DEP_1)
	v_div_fixup_f32 v4, v7, v4, 1.0
	v_mov_b32_e32 v7, v0
.LBB305_267:                            ; =>This Inner Loop Header: Depth=1
	ds_load_b32 v8, v3
	s_waitcnt lgkmcnt(0)
	v_dual_mul_f32 v8, v4, v8 :: v_dual_add_nc_u32 v7, 0x80, v7
	s_delay_alu instid0(VALU_DEP_1) | instskip(SKIP_3) | instid1(SALU_CYCLE_1)
	v_cmp_le_i32_e32 vcc_lo, s4, v7
	ds_store_b32 v3, v8
	v_add_nc_u32_e32 v3, 0x200, v3
	s_or_b32 s1, vcc_lo, s1
	s_and_not1_b32 exec_lo, exec_lo, s1
	s_cbranch_execnz .LBB305_267
.LBB305_268:
	s_or_b32 exec_lo, exec_lo, s0
	s_mul_i32 s0, s8, s14
	s_mov_b32 s12, 0
	s_mul_i32 s4, s0, s15
	s_mov_b32 s0, exec_lo
	s_waitcnt lgkmcnt(0)
	s_barrier
	buffer_gl0_inv
	v_cmpx_eq_u32_e32 0, v0
	s_cbranch_execz .LBB305_270
; %bb.269:
	s_ashr_i32 s5, s4, 31
	s_mul_i32 s38, s8, s26
	s_lshl_b64 s[14:15], s[4:5], 2
	v_mov_b32_e32 v3, 0
	s_add_u32 s1, s18, s14
	s_addc_u32 s3, s19, s15
	s_ashr_i32 s39, s38, 31
	s_delay_alu instid0(SALU_CYCLE_1) | instskip(NEXT) | instid1(SALU_CYCLE_1)
	s_lshl_b64 s[18:19], s[38:39], 2
	s_add_u32 s1, s1, s18
	s_addc_u32 s3, s3, s19
	s_ashr_i32 s21, s20, 31
	s_delay_alu instid0(SALU_CYCLE_1) | instskip(NEXT) | instid1(SALU_CYCLE_1)
	s_lshl_b64 s[38:39], s[20:21], 2
	s_add_u32 s40, s1, s38
	s_addc_u32 s41, s3, s39
	s_add_u32 s1, s16, s14
	s_addc_u32 s3, s17, s15
	;; [unrolled: 2-line block ×4, first 2 shown]
	s_clause 0x1
	global_store_b32 v3, v1, s[40:41]
	global_store_b32 v3, v2, s[14:15]
.LBB305_270:
	s_or_b32 exec_lo, exec_lo, s0
	s_mov_b32 s13, s12
	s_mov_b32 s14, s12
	;; [unrolled: 1-line block ×3, first 2 shown]
	v_dual_mov_b32 v1, s12 :: v_dual_mov_b32 v2, s13
	v_dual_mov_b32 v3, s14 :: v_dual_mov_b32 v4, s15
	s_and_saveexec_b32 s5, s2
	s_cbranch_execz .LBB305_524
; %bb.271:
	v_or_b32_e32 v1, 0x60, v17
	s_ashr_i32 s0, s10, 31
	s_mov_b32 s13, s12
	s_mov_b32 s14, s12
	;; [unrolled: 1-line block ×3, first 2 shown]
	v_cmp_gt_u32_e32 vcc_lo, 0x78, v1
	v_lshlrev_b32_e32 v19, 3, v1
	v_lshlrev_b64 v[1:2], 2, v[5:6]
	s_add_u32 s2, s34, s10
	s_addc_u32 s3, s35, s0
	s_lshl_b64 s[0:1], s[30:31], 2
	s_add_i32 s27, s27, -1
	s_add_u32 s0, s28, s0
	s_addc_u32 s1, s29, s1
	v_add_co_u32 v8, s0, s0, v1
	s_delay_alu instid0(VALU_DEP_1)
	v_add_co_ci_u32_e64 v9, s0, s1, v2, s0
	v_dual_mov_b32 v1, s12 :: v_dual_mov_b32 v4, s15
	v_dual_mov_b32 v7, 0 :: v_dual_lshlrev_b32 v18, 3, v17
	v_lshl_add_u32 v20, v16, 3, s36
	v_lshl_add_u32 v21, v16, 5, 0x110
	v_dual_mov_b32 v2, s13 :: v_dual_mov_b32 v3, s14
	s_mov_b32 s10, -1
	s_mov_b32 s11, 0xffffff
	s_mov_b32 s13, s33
	s_branch .LBB305_274
.LBB305_272:                            ;   in Loop: Header=BB305_274 Depth=1
	s_or_b32 exec_lo, exec_lo, s1
	;;#ASMSTART
	v_pk_mul_f16 v11, v25, v13;

	;;#ASMEND
	;;#ASMSTART
	v_pk_mul_f16 v12, v24, v12;

	;;#ASMEND
	;; [unrolled: 4-line block ×4, first 2 shown]
	;;#ASMSTART
	v_pk_add_f16 v11, v11, v12;

	;;#ASMEND
	;;#ASMSTART
	v_pk_add_f16 v6, v11, v6;

	;;#ASMEND
	;; [unrolled: 4-line block ×3, first 2 shown]
	v_and_b32_e32 v10, 0xffff, v6
	v_lshrrev_b32_e32 v6, 16, v6
	;;#ASMSTART
	v_cvt_f32_f16 v10, v10;
	;;#ASMEND
	;;#ASMSTART
	v_cvt_f32_f16 v6, v6;
	;;#ASMEND
	s_delay_alu instid0(VALU_DEP_1) | instskip(NEXT) | instid1(VALU_DEP_1)
	v_add_f32_e32 v6, v10, v6
	v_add_f32_e32 v4, v4, v6
.LBB305_273:                            ;   in Loop: Header=BB305_274 Depth=1
	s_or_b32 exec_lo, exec_lo, s14
	v_add_nc_u32_e32 v5, 4, v5
	v_add_co_u32 v8, s1, v8, 16
	v_add_nc_u32_e32 v20, 32, v20
	v_add_nc_u32_e32 v21, 0x80, v21
	s_delay_alu instid0(VALU_DEP_4) | instskip(SKIP_1) | instid1(VALU_DEP_2)
	v_cmp_le_i32_e64 s0, s23, v5
	v_add_co_ci_u32_e64 v9, s1, 0, v9, s1
	s_or_b32 s12, s0, s12
	s_delay_alu instid0(SALU_CYCLE_1)
	s_and_not1_b32 exec_lo, exec_lo, s12
	s_cbranch_execz .LBB305_523
.LBB305_274:                            ; =>This Inner Loop Header: Depth=1
	global_load_b32 v6, v[8:9], off
	ds_load_2addr_b64 v[12:15], v21 offset1:1
	ds_load_2addr_b64 v[28:31], v21 offset0:2 offset1:3
	s_mov_b32 s1, exec_lo
	s_waitcnt lgkmcnt(1)
	;;#ASMSTART
	v_cvt_f16_f32 v24, v12;

	;;#ASMEND
	;;#ASMSTART
	v_cvt_f16_f32 v22, v13;

	;;#ASMEND
	;; [unrolled: 4-line block ×4, first 2 shown]
	s_waitcnt lgkmcnt(0)
	;;#ASMSTART
	v_cvt_f16_f32 v28, v28;

	;;#ASMEND
	;;#ASMSTART
	v_cvt_f16_f32 v26, v29;

	;;#ASMEND
	;;#ASMSTART
	v_cvt_f16_f32 v29, v30;

	;;#ASMEND
	;;#ASMSTART
	v_cvt_f16_f32 v27, v31;

	;;#ASMEND
	v_mov_b32_e32 v31, 0
	s_waitcnt vmcnt(0)
	v_mad_i64_i32 v[10:11], null, v6, s9, s[2:3]
	s_delay_alu instid0(VALU_DEP_1) | instskip(NEXT) | instid1(VALU_DEP_1)
	v_add_co_u32 v12, s0, v10, v18
	v_add_co_ci_u32_e64 v13, s0, 0, v11, s0
	global_load_b64 v[14:15], v[12:13], off
	global_load_b32 v30, v7, s[6:7]
	s_waitcnt vmcnt(1)
	v_and_b32_e32 v6, 0xff, v14
	s_delay_alu instid0(VALU_DEP_1)
	v_cmpx_ne_u16_e32 0, v6
	s_cbranch_execz .LBB305_280
; %bb.275:                              ;   in Loop: Header=BB305_274 Depth=1
	v_bfrev_b32_e32 v31, 1
	s_mov_b32 s14, exec_lo
	v_cmpx_ne_u16_e32 0x80, v6
	s_cbranch_execz .LBB305_279
; %bb.276:                              ;   in Loop: Header=BB305_274 Depth=1
	v_and_b32_e32 v6, 0x7f, v14
	v_mov_b32_e32 v31, 0x7fc02000
	s_mov_b32 s15, exec_lo
	s_delay_alu instid0(VALU_DEP_2)
	v_cmpx_ne_u32_e32 0x7f, v6
	s_cbranch_execz .LBB305_278
; %bb.277:                              ;   in Loop: Header=BB305_274 Depth=1
	v_and_b32_e32 v31, 7, v14
	v_cmp_gt_u32_e64 s0, 8, v6
	v_lshrrev_b32_e32 v32, 3, v6
	s_delay_alu instid0(VALU_DEP_3) | instskip(NEXT) | instid1(VALU_DEP_1)
	v_clz_i32_u32_e32 v31, v31
	v_min_u32_e32 v31, 32, v31
	s_delay_alu instid0(VALU_DEP_1) | instskip(SKIP_1) | instid1(VALU_DEP_2)
	v_subrev_nc_u32_e32 v33, 28, v31
	v_sub_nc_u32_e32 v31, 29, v31
	v_cndmask_b32_e64 v6, 0, v33, s0
	s_delay_alu instid0(VALU_DEP_2) | instskip(NEXT) | instid1(VALU_DEP_2)
	v_cndmask_b32_e64 v33, v32, v31, s0
	v_lshlrev_b64 v[31:32], v6, v[14:15]
	v_lshlrev_b32_e32 v6, 8, v14
	s_delay_alu instid0(VALU_DEP_3) | instskip(NEXT) | instid1(VALU_DEP_3)
	v_lshl_add_u32 v32, v33, 10, 0x2000
	v_lshlrev_b32_e32 v31, 7, v31
	s_delay_alu instid0(VALU_DEP_2) | instskip(NEXT) | instid1(VALU_DEP_1)
	v_and_or_b32 v6, 0x8000, v6, v32
	v_and_or_b32 v6, 0x380, v31, v6
	s_delay_alu instid0(VALU_DEP_1)
	v_cvt_f32_f16_e32 v31, v6
.LBB305_278:                            ;   in Loop: Header=BB305_274 Depth=1
	s_or_b32 exec_lo, exec_lo, s15
.LBB305_279:                            ;   in Loop: Header=BB305_274 Depth=1
	s_delay_alu instid0(SALU_CYCLE_1)
	s_or_b32 exec_lo, exec_lo, s14
.LBB305_280:                            ;   in Loop: Header=BB305_274 Depth=1
	s_delay_alu instid0(SALU_CYCLE_1) | instskip(SKIP_3) | instid1(VALU_DEP_2)
	s_or_b32 exec_lo, exec_lo, s1
	v_lshrrev_b16 v6, 8, v14
	v_dual_mov_b32 v33, 0 :: v_dual_mov_b32 v32, 0
	s_mov_b32 s1, exec_lo
	v_cmpx_ne_u16_e32 0, v6
	s_cbranch_execz .LBB305_288
; %bb.281:                              ;   in Loop: Header=BB305_274 Depth=1
	v_bfrev_b32_e32 v32, 1
	s_mov_b32 s14, exec_lo
	v_cmpx_ne_u16_e32 0x80, v6
	s_cbranch_execz .LBB305_287
; %bb.282:                              ;   in Loop: Header=BB305_274 Depth=1
	v_and_b32_e32 v34, 0xffff, v6
	v_mov_b32_e32 v32, 0x7fc02000
	s_mov_b32 s15, exec_lo
	s_delay_alu instid0(VALU_DEP_2) | instskip(NEXT) | instid1(VALU_DEP_1)
	v_and_b32_e32 v35, 0x7f, v34
	v_cmpx_ne_u32_e32 0x7f, v35
	s_cbranch_execz .LBB305_286
; %bb.283:                              ;   in Loop: Header=BB305_274 Depth=1
	v_and_b32_e32 v6, 7, v34
	v_lshrrev_b32_e32 v32, 3, v35
	s_mov_b32 s16, exec_lo
	v_cmpx_gt_u32_e32 8, v35
; %bb.284:                              ;   in Loop: Header=BB305_274 Depth=1
	s_delay_alu instid0(VALU_DEP_3) | instskip(NEXT) | instid1(VALU_DEP_1)
	v_clz_i32_u32_e32 v32, v6
	v_min_u32_e32 v32, 32, v32
	s_delay_alu instid0(VALU_DEP_1) | instskip(SKIP_1) | instid1(VALU_DEP_2)
	v_subrev_nc_u32_e32 v35, 28, v32
	v_sub_nc_u32_e32 v32, 29, v32
	v_lshlrev_b64 v[35:36], v35, v[6:7]
	s_delay_alu instid0(VALU_DEP_1)
	v_and_b32_e32 v6, 7, v35
; %bb.285:                              ;   in Loop: Header=BB305_274 Depth=1
	s_or_b32 exec_lo, exec_lo, s16
	v_lshlrev_b32_e32 v34, 8, v34
	v_lshl_add_u32 v32, v32, 10, 0x2000
	s_delay_alu instid0(VALU_DEP_1) | instskip(NEXT) | instid1(VALU_DEP_1)
	v_and_or_b32 v32, 0x8000, v34, v32
	v_lshl_or_b32 v6, v6, 7, v32
	s_delay_alu instid0(VALU_DEP_1)
	v_cvt_f32_f16_e32 v32, v6
.LBB305_286:                            ;   in Loop: Header=BB305_274 Depth=1
	s_or_b32 exec_lo, exec_lo, s15
.LBB305_287:                            ;   in Loop: Header=BB305_274 Depth=1
	s_delay_alu instid0(SALU_CYCLE_1)
	s_or_b32 exec_lo, exec_lo, s14
.LBB305_288:                            ;   in Loop: Header=BB305_274 Depth=1
	s_delay_alu instid0(SALU_CYCLE_1) | instskip(SKIP_2) | instid1(VALU_DEP_1)
	s_or_b32 exec_lo, exec_lo, s1
	v_lshrrev_b32_e32 v34, 16, v14
	s_mov_b32 s1, exec_lo
	v_and_b32_e32 v6, 0xff, v34
	s_delay_alu instid0(VALU_DEP_1)
	v_cmpx_ne_u16_e32 0, v6
	s_cbranch_execz .LBB305_296
; %bb.289:                              ;   in Loop: Header=BB305_274 Depth=1
	v_bfrev_b32_e32 v33, 1
	s_mov_b32 s14, exec_lo
	v_cmpx_ne_u16_e32 0x80, v6
	s_cbranch_execz .LBB305_295
; %bb.290:                              ;   in Loop: Header=BB305_274 Depth=1
	v_bfe_u32 v35, v14, 16, 7
	v_mov_b32_e32 v33, 0x7fc02000
	s_mov_b32 s15, exec_lo
	s_delay_alu instid0(VALU_DEP_2)
	v_cmpx_ne_u32_e32 0x7f, v35
	s_cbranch_execz .LBB305_294
; %bb.291:                              ;   in Loop: Header=BB305_274 Depth=1
	v_and_b32_e32 v6, 7, v34
	v_lshrrev_b32_e32 v33, 3, v35
	s_mov_b32 s16, exec_lo
	v_cmpx_gt_u32_e32 8, v35
; %bb.292:                              ;   in Loop: Header=BB305_274 Depth=1
	s_delay_alu instid0(VALU_DEP_3) | instskip(NEXT) | instid1(VALU_DEP_1)
	v_clz_i32_u32_e32 v33, v6
	v_min_u32_e32 v33, 32, v33
	s_delay_alu instid0(VALU_DEP_1) | instskip(SKIP_1) | instid1(VALU_DEP_2)
	v_subrev_nc_u32_e32 v35, 28, v33
	v_sub_nc_u32_e32 v33, 29, v33
	v_lshlrev_b64 v[35:36], v35, v[6:7]
	s_delay_alu instid0(VALU_DEP_1)
	v_and_b32_e32 v6, 7, v35
; %bb.293:                              ;   in Loop: Header=BB305_274 Depth=1
	s_or_b32 exec_lo, exec_lo, s16
	v_lshlrev_b32_e32 v34, 8, v34
	v_lshl_add_u32 v33, v33, 10, 0x2000
	s_delay_alu instid0(VALU_DEP_1) | instskip(NEXT) | instid1(VALU_DEP_1)
	v_and_or_b32 v33, 0x8000, v34, v33
	v_lshl_or_b32 v6, v6, 7, v33
	s_delay_alu instid0(VALU_DEP_1)
	v_cvt_f32_f16_e32 v33, v6
.LBB305_294:                            ;   in Loop: Header=BB305_274 Depth=1
	s_or_b32 exec_lo, exec_lo, s15
.LBB305_295:                            ;   in Loop: Header=BB305_274 Depth=1
	s_delay_alu instid0(SALU_CYCLE_1)
	s_or_b32 exec_lo, exec_lo, s14
.LBB305_296:                            ;   in Loop: Header=BB305_274 Depth=1
	s_delay_alu instid0(SALU_CYCLE_1)
	s_or_b32 exec_lo, exec_lo, s1
	v_dual_mov_b32 v34, 0 :: v_dual_mov_b32 v35, 0
	s_mov_b32 s1, exec_lo
	v_cmpx_lt_u32_e32 0xffffff, v14
	s_cbranch_execz .LBB305_304
; %bb.297:                              ;   in Loop: Header=BB305_274 Depth=1
	v_lshrrev_b32_e32 v36, 24, v14
	v_bfrev_b32_e32 v35, 1
	s_mov_b32 s14, exec_lo
	s_delay_alu instid0(VALU_DEP_2)
	v_cmpx_ne_u32_e32 0x80, v36
	s_cbranch_execz .LBB305_303
; %bb.298:                              ;   in Loop: Header=BB305_274 Depth=1
	v_and_b32_e32 v37, 0x7f, v36
	v_mov_b32_e32 v35, 0x7fc02000
	s_mov_b32 s15, exec_lo
	s_delay_alu instid0(VALU_DEP_2)
	v_cmpx_ne_u32_e32 0x7f, v37
	s_cbranch_execz .LBB305_302
; %bb.299:                              ;   in Loop: Header=BB305_274 Depth=1
	v_and_b32_e32 v6, 7, v36
	v_lshrrev_b32_e32 v35, 3, v37
	s_mov_b32 s16, exec_lo
	v_cmpx_gt_u32_e32 8, v37
; %bb.300:                              ;   in Loop: Header=BB305_274 Depth=1
	s_delay_alu instid0(VALU_DEP_3) | instskip(NEXT) | instid1(VALU_DEP_1)
	v_clz_i32_u32_e32 v35, v6
	v_min_u32_e32 v35, 32, v35
	s_delay_alu instid0(VALU_DEP_1) | instskip(SKIP_1) | instid1(VALU_DEP_2)
	v_subrev_nc_u32_e32 v37, 28, v35
	v_sub_nc_u32_e32 v35, 29, v35
	v_lshlrev_b64 v[37:38], v37, v[6:7]
	s_delay_alu instid0(VALU_DEP_1)
	v_and_b32_e32 v6, 7, v37
; %bb.301:                              ;   in Loop: Header=BB305_274 Depth=1
	s_or_b32 exec_lo, exec_lo, s16
	v_lshlrev_b32_e32 v36, 8, v36
	v_lshl_add_u32 v35, v35, 10, 0x2000
	s_delay_alu instid0(VALU_DEP_1) | instskip(NEXT) | instid1(VALU_DEP_1)
	v_and_or_b32 v35, 0x8000, v36, v35
	v_lshl_or_b32 v6, v6, 7, v35
	s_delay_alu instid0(VALU_DEP_1)
	v_cvt_f32_f16_e32 v35, v6
.LBB305_302:                            ;   in Loop: Header=BB305_274 Depth=1
	s_or_b32 exec_lo, exec_lo, s15
.LBB305_303:                            ;   in Loop: Header=BB305_274 Depth=1
	s_delay_alu instid0(SALU_CYCLE_1)
	s_or_b32 exec_lo, exec_lo, s14
.LBB305_304:                            ;   in Loop: Header=BB305_274 Depth=1
	s_delay_alu instid0(SALU_CYCLE_1) | instskip(SKIP_3) | instid1(VALU_DEP_2)
	s_or_b32 exec_lo, exec_lo, s1
	v_and_b32_e32 v36, 0xff, v15
	v_mov_b32_e32 v6, v15
	s_mov_b32 s1, exec_lo
	v_cmpx_ne_u16_e32 0, v36
	s_cbranch_execz .LBB305_310
; %bb.305:                              ;   in Loop: Header=BB305_274 Depth=1
	v_bfrev_b32_e32 v34, 1
	s_mov_b32 s14, exec_lo
	v_cmpx_ne_u16_e32 0x80, v36
	s_cbranch_execz .LBB305_309
; %bb.306:                              ;   in Loop: Header=BB305_274 Depth=1
	v_and_b32_e32 v36, 0x7f, v15
	v_mov_b32_e32 v34, 0x7fc02000
	s_mov_b32 s15, exec_lo
	s_delay_alu instid0(VALU_DEP_2)
	v_cmpx_ne_u32_e32 0x7f, v36
	s_cbranch_execz .LBB305_308
; %bb.307:                              ;   in Loop: Header=BB305_274 Depth=1
	v_and_b32_e32 v34, 7, v15
	v_cmp_gt_u32_e64 s0, 8, v36
	v_lshrrev_b32_e32 v37, 3, v36
	s_delay_alu instid0(VALU_DEP_3) | instskip(NEXT) | instid1(VALU_DEP_1)
	v_clz_i32_u32_e32 v34, v34
	v_min_u32_e32 v34, 32, v34
	s_delay_alu instid0(VALU_DEP_1) | instskip(SKIP_1) | instid1(VALU_DEP_2)
	v_subrev_nc_u32_e32 v38, 28, v34
	v_sub_nc_u32_e32 v34, 29, v34
	v_cndmask_b32_e64 v36, 0, v38, s0
	s_delay_alu instid0(VALU_DEP_2) | instskip(NEXT) | instid1(VALU_DEP_2)
	v_cndmask_b32_e64 v34, v37, v34, s0
	v_lshlrev_b64 v[36:37], v36, v[6:7]
	v_lshlrev_b32_e32 v37, 8, v15
	s_delay_alu instid0(VALU_DEP_3) | instskip(NEXT) | instid1(VALU_DEP_3)
	v_lshl_add_u32 v34, v34, 10, 0x2000
	v_lshlrev_b32_e32 v36, 7, v36
	s_delay_alu instid0(VALU_DEP_2) | instskip(NEXT) | instid1(VALU_DEP_1)
	v_and_or_b32 v34, 0x8000, v37, v34
	v_and_or_b32 v34, 0x380, v36, v34
	s_delay_alu instid0(VALU_DEP_1)
	v_cvt_f32_f16_e32 v34, v34
.LBB305_308:                            ;   in Loop: Header=BB305_274 Depth=1
	s_or_b32 exec_lo, exec_lo, s15
.LBB305_309:                            ;   in Loop: Header=BB305_274 Depth=1
	s_delay_alu instid0(SALU_CYCLE_1)
	s_or_b32 exec_lo, exec_lo, s14
.LBB305_310:                            ;   in Loop: Header=BB305_274 Depth=1
	s_delay_alu instid0(SALU_CYCLE_1) | instskip(SKIP_3) | instid1(VALU_DEP_2)
	s_or_b32 exec_lo, exec_lo, s1
	v_lshrrev_b16 v6, 8, v6
	v_dual_mov_b32 v36, 0 :: v_dual_mov_b32 v37, 0
	s_mov_b32 s1, exec_lo
	v_cmpx_ne_u16_e32 0, v6
	s_cbranch_execz .LBB305_318
; %bb.311:                              ;   in Loop: Header=BB305_274 Depth=1
	v_bfrev_b32_e32 v37, 1
	s_mov_b32 s14, exec_lo
	v_cmpx_ne_u16_e32 0x80, v6
	s_cbranch_execz .LBB305_317
; %bb.312:                              ;   in Loop: Header=BB305_274 Depth=1
	v_and_b32_e32 v38, 0xffff, v6
	v_mov_b32_e32 v37, 0x7fc02000
	s_mov_b32 s15, exec_lo
	s_delay_alu instid0(VALU_DEP_2) | instskip(NEXT) | instid1(VALU_DEP_1)
	v_and_b32_e32 v39, 0x7f, v38
	v_cmpx_ne_u32_e32 0x7f, v39
	s_cbranch_execz .LBB305_316
; %bb.313:                              ;   in Loop: Header=BB305_274 Depth=1
	v_and_b32_e32 v6, 7, v38
	v_lshrrev_b32_e32 v37, 3, v39
	s_mov_b32 s16, exec_lo
	v_cmpx_gt_u32_e32 8, v39
; %bb.314:                              ;   in Loop: Header=BB305_274 Depth=1
	s_delay_alu instid0(VALU_DEP_3) | instskip(NEXT) | instid1(VALU_DEP_1)
	v_clz_i32_u32_e32 v37, v6
	v_min_u32_e32 v37, 32, v37
	s_delay_alu instid0(VALU_DEP_1) | instskip(SKIP_1) | instid1(VALU_DEP_2)
	v_subrev_nc_u32_e32 v39, 28, v37
	v_sub_nc_u32_e32 v37, 29, v37
	v_lshlrev_b64 v[39:40], v39, v[6:7]
	s_delay_alu instid0(VALU_DEP_1)
	v_and_b32_e32 v6, 7, v39
; %bb.315:                              ;   in Loop: Header=BB305_274 Depth=1
	s_or_b32 exec_lo, exec_lo, s16
	v_lshlrev_b32_e32 v38, 8, v38
	v_lshl_add_u32 v37, v37, 10, 0x2000
	s_delay_alu instid0(VALU_DEP_1) | instskip(NEXT) | instid1(VALU_DEP_1)
	v_and_or_b32 v37, 0x8000, v38, v37
	v_lshl_or_b32 v6, v6, 7, v37
	s_delay_alu instid0(VALU_DEP_1)
	v_cvt_f32_f16_e32 v37, v6
.LBB305_316:                            ;   in Loop: Header=BB305_274 Depth=1
	s_or_b32 exec_lo, exec_lo, s15
.LBB305_317:                            ;   in Loop: Header=BB305_274 Depth=1
	s_delay_alu instid0(SALU_CYCLE_1)
	s_or_b32 exec_lo, exec_lo, s14
.LBB305_318:                            ;   in Loop: Header=BB305_274 Depth=1
	s_delay_alu instid0(SALU_CYCLE_1) | instskip(SKIP_2) | instid1(VALU_DEP_1)
	s_or_b32 exec_lo, exec_lo, s1
	v_lshrrev_b32_e32 v38, 16, v15
	s_mov_b32 s1, exec_lo
	v_and_b32_e32 v6, 0xff, v38
	s_delay_alu instid0(VALU_DEP_1)
	v_cmpx_ne_u16_e32 0, v6
	s_cbranch_execz .LBB305_326
; %bb.319:                              ;   in Loop: Header=BB305_274 Depth=1
	v_bfrev_b32_e32 v36, 1
	s_mov_b32 s14, exec_lo
	v_cmpx_ne_u16_e32 0x80, v6
	s_cbranch_execz .LBB305_325
; %bb.320:                              ;   in Loop: Header=BB305_274 Depth=1
	v_bfe_u32 v39, v15, 16, 7
	v_mov_b32_e32 v36, 0x7fc02000
	s_mov_b32 s15, exec_lo
	s_delay_alu instid0(VALU_DEP_2)
	v_cmpx_ne_u32_e32 0x7f, v39
	s_cbranch_execz .LBB305_324
; %bb.321:                              ;   in Loop: Header=BB305_274 Depth=1
	v_and_b32_e32 v6, 7, v38
	v_lshrrev_b32_e32 v36, 3, v39
	s_mov_b32 s16, exec_lo
	v_cmpx_gt_u32_e32 8, v39
; %bb.322:                              ;   in Loop: Header=BB305_274 Depth=1
	s_delay_alu instid0(VALU_DEP_3) | instskip(NEXT) | instid1(VALU_DEP_1)
	v_clz_i32_u32_e32 v36, v6
	v_min_u32_e32 v36, 32, v36
	s_delay_alu instid0(VALU_DEP_1) | instskip(SKIP_1) | instid1(VALU_DEP_2)
	v_subrev_nc_u32_e32 v39, 28, v36
	v_sub_nc_u32_e32 v36, 29, v36
	v_lshlrev_b64 v[39:40], v39, v[6:7]
	s_delay_alu instid0(VALU_DEP_1)
	v_and_b32_e32 v6, 7, v39
; %bb.323:                              ;   in Loop: Header=BB305_274 Depth=1
	s_or_b32 exec_lo, exec_lo, s16
	v_lshlrev_b32_e32 v38, 8, v38
	v_lshl_add_u32 v36, v36, 10, 0x2000
	s_delay_alu instid0(VALU_DEP_1) | instskip(NEXT) | instid1(VALU_DEP_1)
	v_and_or_b32 v36, 0x8000, v38, v36
	v_lshl_or_b32 v6, v6, 7, v36
	s_delay_alu instid0(VALU_DEP_1)
	v_cvt_f32_f16_e32 v36, v6
.LBB305_324:                            ;   in Loop: Header=BB305_274 Depth=1
	s_or_b32 exec_lo, exec_lo, s15
.LBB305_325:                            ;   in Loop: Header=BB305_274 Depth=1
	s_delay_alu instid0(SALU_CYCLE_1)
	s_or_b32 exec_lo, exec_lo, s14
.LBB305_326:                            ;   in Loop: Header=BB305_274 Depth=1
	s_delay_alu instid0(SALU_CYCLE_1)
	s_or_b32 exec_lo, exec_lo, s1
	v_mov_b32_e32 v6, 0
	s_mov_b32 s1, exec_lo
	v_cmpx_lt_u64_e64 s[10:11], v[14:15]
	s_cbranch_execz .LBB305_334
; %bb.327:                              ;   in Loop: Header=BB305_274 Depth=1
	v_lshrrev_b32_e32 v14, 24, v15
	v_bfrev_b32_e32 v6, 1
	s_mov_b32 s14, exec_lo
	s_delay_alu instid0(VALU_DEP_2)
	v_cmpx_ne_u32_e32 0x80, v14
	s_cbranch_execz .LBB305_333
; %bb.328:                              ;   in Loop: Header=BB305_274 Depth=1
	v_and_b32_e32 v38, 0x7f, v14
	v_mov_b32_e32 v6, 0x7fc02000
	s_mov_b32 s15, exec_lo
	s_delay_alu instid0(VALU_DEP_2)
	v_cmpx_ne_u32_e32 0x7f, v38
	s_cbranch_execz .LBB305_332
; %bb.329:                              ;   in Loop: Header=BB305_274 Depth=1
	v_and_b32_e32 v6, 7, v14
	v_lshrrev_b32_e32 v15, 3, v38
	s_mov_b32 s16, exec_lo
	v_cmpx_gt_u32_e32 8, v38
; %bb.330:                              ;   in Loop: Header=BB305_274 Depth=1
	s_delay_alu instid0(VALU_DEP_3) | instskip(NEXT) | instid1(VALU_DEP_1)
	v_clz_i32_u32_e32 v15, v6
	v_min_u32_e32 v15, 32, v15
	s_delay_alu instid0(VALU_DEP_1) | instskip(SKIP_1) | instid1(VALU_DEP_2)
	v_subrev_nc_u32_e32 v38, 28, v15
	v_sub_nc_u32_e32 v15, 29, v15
	v_lshlrev_b64 v[38:39], v38, v[6:7]
	s_delay_alu instid0(VALU_DEP_1)
	v_and_b32_e32 v6, 7, v38
; %bb.331:                              ;   in Loop: Header=BB305_274 Depth=1
	s_or_b32 exec_lo, exec_lo, s16
	v_lshlrev_b32_e32 v14, 8, v14
	v_lshl_add_u32 v15, v15, 10, 0x2000
	s_delay_alu instid0(VALU_DEP_1) | instskip(NEXT) | instid1(VALU_DEP_1)
	v_and_or_b32 v14, 0x8000, v14, v15
	v_lshl_or_b32 v6, v6, 7, v14
	s_delay_alu instid0(VALU_DEP_1)
	v_cvt_f32_f16_e32 v6, v6
.LBB305_332:                            ;   in Loop: Header=BB305_274 Depth=1
	s_or_b32 exec_lo, exec_lo, s15
.LBB305_333:                            ;   in Loop: Header=BB305_274 Depth=1
	s_delay_alu instid0(SALU_CYCLE_1)
	s_or_b32 exec_lo, exec_lo, s14
.LBB305_334:                            ;   in Loop: Header=BB305_274 Depth=1
	s_delay_alu instid0(SALU_CYCLE_1)
	s_or_b32 exec_lo, exec_lo, s1
	s_waitcnt vmcnt(0)
	v_fma_mixlo_f16 v14, v30, v35, 0
	v_fma_mixlo_f16 v15, v30, v33, 0
	;; [unrolled: 1-line block ×8, first 2 shown]
	v_lshlrev_b32_e32 v14, 16, v14
	v_and_b32_e32 v15, 0xffff, v15
	v_lshlrev_b32_e32 v32, 16, v32
	v_and_b32_e32 v31, 0xffff, v31
	;; [unrolled: 2-line block ×4, first 2 shown]
	v_cmp_eq_u32_e64 s0, s27, v5
	v_or_b32_e32 v15, v14, v15
	v_or_b32_e32 v31, v32, v31
	;; [unrolled: 1-line block ×4, first 2 shown]
	s_and_saveexec_b32 s14, s0
	s_cbranch_execz .LBB305_336
; %bb.335:                              ;   in Loop: Header=BB305_274 Depth=1
	v_add_nc_u32_e32 v32, 1, v20
	v_lshrrev_b32_e32 v33, 16, v31
	v_or_b32_e32 v34, 3, v20
	v_lshrrev_b32_e32 v35, 16, v15
	v_lshrrev_b32_e32 v36, 16, v6
	v_cmp_gt_i32_e64 s1, s13, v32
	v_lshrrev_b32_e32 v14, 16, v14
	v_or_b32_e32 v37, 6, v20
	s_delay_alu instid0(VALU_DEP_3) | instskip(SKIP_2) | instid1(VALU_DEP_2)
	v_cndmask_b32_e64 v32, 0, v33, s1
	v_cmp_gt_i32_e64 s1, s33, v20
	v_or_b32_e32 v33, 2, v20
	v_cndmask_b32_e64 v31, 0, v31, s1
	v_cmp_gt_i32_e64 s1, s13, v34
	s_delay_alu instid0(VALU_DEP_2) | instskip(NEXT) | instid1(VALU_DEP_2)
	v_perm_b32 v31, v32, v31, 0x5040100
	v_cndmask_b32_e64 v34, 0, v35, s1
	v_or_b32_e32 v35, 5, v20
	v_cmp_gt_i32_e64 s1, s33, v33
	v_or_b32_e32 v33, 4, v20
	s_delay_alu instid0(VALU_DEP_2) | instskip(NEXT) | instid1(VALU_DEP_4)
	v_cndmask_b32_e64 v15, 0, v15, s1
	v_cmp_gt_i32_e64 s1, s13, v35
	s_delay_alu instid0(VALU_DEP_2) | instskip(NEXT) | instid1(VALU_DEP_2)
	v_perm_b32 v15, v34, v15, 0x5040100
	v_cndmask_b32_e64 v35, 0, v36, s1
	v_or_b32_e32 v36, 7, v20
	v_cmp_gt_i32_e64 s1, s33, v33
	s_delay_alu instid0(VALU_DEP_1) | instskip(NEXT) | instid1(VALU_DEP_3)
	v_cndmask_b32_e64 v6, 0, v6, s1
	v_cmp_gt_i32_e64 s1, s13, v36
	s_delay_alu instid0(VALU_DEP_2) | instskip(NEXT) | instid1(VALU_DEP_2)
	v_perm_b32 v6, v35, v6, 0x5040100
	v_cndmask_b32_e64 v14, 0, v14, s1
	v_cmp_gt_i32_e64 s1, s33, v37
	s_delay_alu instid0(VALU_DEP_1) | instskip(NEXT) | instid1(VALU_DEP_1)
	v_cndmask_b32_e64 v30, 0, v30, s1
	v_perm_b32 v14, v14, v30, 0x5040100
.LBB305_336:                            ;   in Loop: Header=BB305_274 Depth=1
	s_or_b32 exec_lo, exec_lo, s14
	v_and_b32_e32 v24, 0xffff, v24
	v_and_b32_e32 v30, 0xffff, v25
	;; [unrolled: 1-line block ×4, first 2 shown]
	s_mov_b32 s14, exec_lo
	v_lshl_or_b32 v25, v22, 16, v24
	v_lshl_or_b32 v24, v23, 16, v30
	v_mov_b32_e32 v30, 0
	v_lshl_or_b32 v23, v26, 16, v28
	;;#ASMSTART
	v_pk_mul_f16 v26, v25, v31;

	;;#ASMEND
	;;#ASMSTART
	v_pk_mul_f16 v15, v24, v15;

	;;#ASMEND
	;; [unrolled: 4-line block ×3, first 2 shown]
	v_lshl_or_b32 v22, v27, 16, v29
	;;#ASMSTART
	v_pk_mul_f16 v14, v22, v14;

	;;#ASMEND
	;;#ASMSTART
	v_pk_add_f16 v15, v26, v15;

	;;#ASMEND
	;;#ASMSTART
	v_pk_add_f16 v6, v15, v6;
	;; [unrolled: 4-line block ×3, first 2 shown]

	;;#ASMEND
	v_and_b32_e32 v14, 0xffff, v6
	v_lshrrev_b32_e32 v6, 16, v6
	;;#ASMSTART
	v_cvt_f32_f16 v26, v14;
	;;#ASMEND
	;;#ASMSTART
	v_cvt_f32_f16 v27, v6;
	;;#ASMEND
	global_load_b64 v[14:15], v[12:13], off offset:256
	global_load_b32 v28, v7, s[6:7]
	s_waitcnt vmcnt(1)
	v_dual_mov_b32 v29, 0 :: v_dual_and_b32 v6, 0xff, v14
	s_delay_alu instid0(VALU_DEP_1)
	v_cmpx_ne_u16_e32 0, v6
	s_cbranch_execz .LBB305_342
; %bb.337:                              ;   in Loop: Header=BB305_274 Depth=1
	v_bfrev_b32_e32 v29, 1
	s_mov_b32 s15, exec_lo
	v_cmpx_ne_u16_e32 0x80, v6
	s_cbranch_execz .LBB305_341
; %bb.338:                              ;   in Loop: Header=BB305_274 Depth=1
	v_and_b32_e32 v6, 0x7f, v14
	v_mov_b32_e32 v29, 0x7fc02000
	s_mov_b32 s16, exec_lo
	s_delay_alu instid0(VALU_DEP_2)
	v_cmpx_ne_u32_e32 0x7f, v6
	s_cbranch_execz .LBB305_340
; %bb.339:                              ;   in Loop: Header=BB305_274 Depth=1
	v_and_b32_e32 v29, 7, v14
	v_cmp_gt_u32_e64 s1, 8, v6
	v_lshrrev_b32_e32 v31, 3, v6
	s_delay_alu instid0(VALU_DEP_3) | instskip(NEXT) | instid1(VALU_DEP_1)
	v_clz_i32_u32_e32 v29, v29
	v_min_u32_e32 v29, 32, v29
	s_delay_alu instid0(VALU_DEP_1) | instskip(SKIP_1) | instid1(VALU_DEP_2)
	v_subrev_nc_u32_e32 v32, 28, v29
	v_sub_nc_u32_e32 v29, 29, v29
	v_cndmask_b32_e64 v6, 0, v32, s1
	s_delay_alu instid0(VALU_DEP_2) | instskip(NEXT) | instid1(VALU_DEP_2)
	v_cndmask_b32_e64 v29, v31, v29, s1
	v_lshlrev_b64 v[31:32], v6, v[14:15]
	v_lshlrev_b32_e32 v6, 8, v14
	s_delay_alu instid0(VALU_DEP_3) | instskip(NEXT) | instid1(VALU_DEP_3)
	v_lshl_add_u32 v29, v29, 10, 0x2000
	v_lshlrev_b32_e32 v31, 7, v31
	s_delay_alu instid0(VALU_DEP_2) | instskip(NEXT) | instid1(VALU_DEP_1)
	v_and_or_b32 v6, 0x8000, v6, v29
	v_and_or_b32 v6, 0x380, v31, v6
	s_delay_alu instid0(VALU_DEP_1)
	v_cvt_f32_f16_e32 v29, v6
.LBB305_340:                            ;   in Loop: Header=BB305_274 Depth=1
	s_or_b32 exec_lo, exec_lo, s16
.LBB305_341:                            ;   in Loop: Header=BB305_274 Depth=1
	s_delay_alu instid0(SALU_CYCLE_1)
	s_or_b32 exec_lo, exec_lo, s15
.LBB305_342:                            ;   in Loop: Header=BB305_274 Depth=1
	s_delay_alu instid0(SALU_CYCLE_1) | instskip(SKIP_2) | instid1(VALU_DEP_1)
	s_or_b32 exec_lo, exec_lo, s14
	v_lshrrev_b16 v6, 8, v14
	s_mov_b32 s14, exec_lo
	v_cmpx_ne_u16_e32 0, v6
	s_cbranch_execz .LBB305_350
; %bb.343:                              ;   in Loop: Header=BB305_274 Depth=1
	v_bfrev_b32_e32 v30, 1
	s_mov_b32 s15, exec_lo
	v_cmpx_ne_u16_e32 0x80, v6
	s_cbranch_execz .LBB305_349
; %bb.344:                              ;   in Loop: Header=BB305_274 Depth=1
	v_and_b32_e32 v31, 0xffff, v6
	v_mov_b32_e32 v30, 0x7fc02000
	s_mov_b32 s16, exec_lo
	s_delay_alu instid0(VALU_DEP_2) | instskip(NEXT) | instid1(VALU_DEP_1)
	v_and_b32_e32 v32, 0x7f, v31
	v_cmpx_ne_u32_e32 0x7f, v32
	s_cbranch_execz .LBB305_348
; %bb.345:                              ;   in Loop: Header=BB305_274 Depth=1
	v_and_b32_e32 v6, 7, v31
	v_lshrrev_b32_e32 v30, 3, v32
	s_mov_b32 s17, exec_lo
	v_cmpx_gt_u32_e32 8, v32
; %bb.346:                              ;   in Loop: Header=BB305_274 Depth=1
	s_delay_alu instid0(VALU_DEP_3) | instskip(NEXT) | instid1(VALU_DEP_1)
	v_clz_i32_u32_e32 v30, v6
	v_min_u32_e32 v30, 32, v30
	s_delay_alu instid0(VALU_DEP_1) | instskip(SKIP_1) | instid1(VALU_DEP_2)
	v_subrev_nc_u32_e32 v32, 28, v30
	v_sub_nc_u32_e32 v30, 29, v30
	v_lshlrev_b64 v[32:33], v32, v[6:7]
	s_delay_alu instid0(VALU_DEP_1)
	v_and_b32_e32 v6, 7, v32
; %bb.347:                              ;   in Loop: Header=BB305_274 Depth=1
	s_or_b32 exec_lo, exec_lo, s17
	v_lshlrev_b32_e32 v31, 8, v31
	v_lshl_add_u32 v30, v30, 10, 0x2000
	s_delay_alu instid0(VALU_DEP_1) | instskip(NEXT) | instid1(VALU_DEP_1)
	v_and_or_b32 v30, 0x8000, v31, v30
	v_lshl_or_b32 v6, v6, 7, v30
	s_delay_alu instid0(VALU_DEP_1)
	v_cvt_f32_f16_e32 v30, v6
.LBB305_348:                            ;   in Loop: Header=BB305_274 Depth=1
	s_or_b32 exec_lo, exec_lo, s16
.LBB305_349:                            ;   in Loop: Header=BB305_274 Depth=1
	s_delay_alu instid0(SALU_CYCLE_1)
	s_or_b32 exec_lo, exec_lo, s15
.LBB305_350:                            ;   in Loop: Header=BB305_274 Depth=1
	s_delay_alu instid0(SALU_CYCLE_1) | instskip(SKIP_3) | instid1(VALU_DEP_2)
	s_or_b32 exec_lo, exec_lo, s14
	v_lshrrev_b32_e32 v33, 16, v14
	v_mov_b32_e32 v32, 0
	s_mov_b32 s14, exec_lo
	v_dual_mov_b32 v31, 0 :: v_dual_and_b32 v6, 0xff, v33
	s_delay_alu instid0(VALU_DEP_1)
	v_cmpx_ne_u16_e32 0, v6
	s_cbranch_execz .LBB305_358
; %bb.351:                              ;   in Loop: Header=BB305_274 Depth=1
	v_bfrev_b32_e32 v31, 1
	s_mov_b32 s15, exec_lo
	v_cmpx_ne_u16_e32 0x80, v6
	s_cbranch_execz .LBB305_357
; %bb.352:                              ;   in Loop: Header=BB305_274 Depth=1
	v_bfe_u32 v34, v14, 16, 7
	v_mov_b32_e32 v31, 0x7fc02000
	s_mov_b32 s16, exec_lo
	s_delay_alu instid0(VALU_DEP_2)
	v_cmpx_ne_u32_e32 0x7f, v34
	s_cbranch_execz .LBB305_356
; %bb.353:                              ;   in Loop: Header=BB305_274 Depth=1
	v_and_b32_e32 v6, 7, v33
	v_lshrrev_b32_e32 v31, 3, v34
	s_mov_b32 s17, exec_lo
	v_cmpx_gt_u32_e32 8, v34
; %bb.354:                              ;   in Loop: Header=BB305_274 Depth=1
	s_delay_alu instid0(VALU_DEP_3) | instskip(NEXT) | instid1(VALU_DEP_1)
	v_clz_i32_u32_e32 v31, v6
	v_min_u32_e32 v31, 32, v31
	s_delay_alu instid0(VALU_DEP_1) | instskip(SKIP_1) | instid1(VALU_DEP_2)
	v_subrev_nc_u32_e32 v34, 28, v31
	v_sub_nc_u32_e32 v31, 29, v31
	v_lshlrev_b64 v[34:35], v34, v[6:7]
	s_delay_alu instid0(VALU_DEP_1)
	v_and_b32_e32 v6, 7, v34
; %bb.355:                              ;   in Loop: Header=BB305_274 Depth=1
	s_or_b32 exec_lo, exec_lo, s17
	v_lshlrev_b32_e32 v33, 8, v33
	v_lshl_add_u32 v31, v31, 10, 0x2000
	s_delay_alu instid0(VALU_DEP_1) | instskip(NEXT) | instid1(VALU_DEP_1)
	v_and_or_b32 v31, 0x8000, v33, v31
	v_lshl_or_b32 v6, v6, 7, v31
	s_delay_alu instid0(VALU_DEP_1)
	v_cvt_f32_f16_e32 v31, v6
.LBB305_356:                            ;   in Loop: Header=BB305_274 Depth=1
	s_or_b32 exec_lo, exec_lo, s16
.LBB305_357:                            ;   in Loop: Header=BB305_274 Depth=1
	s_delay_alu instid0(SALU_CYCLE_1)
	s_or_b32 exec_lo, exec_lo, s15
.LBB305_358:                            ;   in Loop: Header=BB305_274 Depth=1
	s_delay_alu instid0(SALU_CYCLE_1) | instskip(NEXT) | instid1(SALU_CYCLE_1)
	s_or_b32 exec_lo, exec_lo, s14
	s_mov_b32 s14, exec_lo
	v_cmpx_lt_u32_e32 0xffffff, v14
	s_cbranch_execz .LBB305_366
; %bb.359:                              ;   in Loop: Header=BB305_274 Depth=1
	v_lshrrev_b32_e32 v33, 24, v14
	v_bfrev_b32_e32 v32, 1
	s_mov_b32 s15, exec_lo
	s_delay_alu instid0(VALU_DEP_2)
	v_cmpx_ne_u32_e32 0x80, v33
	s_cbranch_execz .LBB305_365
; %bb.360:                              ;   in Loop: Header=BB305_274 Depth=1
	v_and_b32_e32 v34, 0x7f, v33
	v_mov_b32_e32 v32, 0x7fc02000
	s_mov_b32 s16, exec_lo
	s_delay_alu instid0(VALU_DEP_2)
	v_cmpx_ne_u32_e32 0x7f, v34
	s_cbranch_execz .LBB305_364
; %bb.361:                              ;   in Loop: Header=BB305_274 Depth=1
	v_and_b32_e32 v6, 7, v33
	v_lshrrev_b32_e32 v32, 3, v34
	s_mov_b32 s17, exec_lo
	v_cmpx_gt_u32_e32 8, v34
; %bb.362:                              ;   in Loop: Header=BB305_274 Depth=1
	s_delay_alu instid0(VALU_DEP_3) | instskip(NEXT) | instid1(VALU_DEP_1)
	v_clz_i32_u32_e32 v32, v6
	v_min_u32_e32 v32, 32, v32
	s_delay_alu instid0(VALU_DEP_1) | instskip(SKIP_1) | instid1(VALU_DEP_2)
	v_subrev_nc_u32_e32 v34, 28, v32
	v_sub_nc_u32_e32 v32, 29, v32
	v_lshlrev_b64 v[34:35], v34, v[6:7]
	s_delay_alu instid0(VALU_DEP_1)
	v_and_b32_e32 v6, 7, v34
; %bb.363:                              ;   in Loop: Header=BB305_274 Depth=1
	s_or_b32 exec_lo, exec_lo, s17
	v_lshlrev_b32_e32 v33, 8, v33
	v_lshl_add_u32 v32, v32, 10, 0x2000
	s_delay_alu instid0(VALU_DEP_1) | instskip(NEXT) | instid1(VALU_DEP_1)
	v_and_or_b32 v32, 0x8000, v33, v32
	v_lshl_or_b32 v6, v6, 7, v32
	s_delay_alu instid0(VALU_DEP_1)
	v_cvt_f32_f16_e32 v32, v6
.LBB305_364:                            ;   in Loop: Header=BB305_274 Depth=1
	s_or_b32 exec_lo, exec_lo, s16
.LBB305_365:                            ;   in Loop: Header=BB305_274 Depth=1
	s_delay_alu instid0(SALU_CYCLE_1)
	s_or_b32 exec_lo, exec_lo, s15
.LBB305_366:                            ;   in Loop: Header=BB305_274 Depth=1
	s_delay_alu instid0(SALU_CYCLE_1) | instskip(SKIP_3) | instid1(VALU_DEP_2)
	s_or_b32 exec_lo, exec_lo, s14
	v_dual_mov_b32 v6, v15 :: v_dual_and_b32 v35, 0xff, v15
	v_dual_mov_b32 v34, 0 :: v_dual_mov_b32 v33, 0
	s_mov_b32 s14, exec_lo
	v_cmpx_ne_u16_e32 0, v35
	s_cbranch_execz .LBB305_372
; %bb.367:                              ;   in Loop: Header=BB305_274 Depth=1
	v_bfrev_b32_e32 v33, 1
	s_mov_b32 s15, exec_lo
	v_cmpx_ne_u16_e32 0x80, v35
	s_cbranch_execz .LBB305_371
; %bb.368:                              ;   in Loop: Header=BB305_274 Depth=1
	v_and_b32_e32 v35, 0x7f, v15
	v_mov_b32_e32 v33, 0x7fc02000
	s_mov_b32 s16, exec_lo
	s_delay_alu instid0(VALU_DEP_2)
	v_cmpx_ne_u32_e32 0x7f, v35
	s_cbranch_execz .LBB305_370
; %bb.369:                              ;   in Loop: Header=BB305_274 Depth=1
	v_and_b32_e32 v33, 7, v15
	v_cmp_gt_u32_e64 s1, 8, v35
	v_lshrrev_b32_e32 v36, 3, v35
	s_delay_alu instid0(VALU_DEP_3) | instskip(NEXT) | instid1(VALU_DEP_1)
	v_clz_i32_u32_e32 v33, v33
	v_min_u32_e32 v33, 32, v33
	s_delay_alu instid0(VALU_DEP_1) | instskip(SKIP_1) | instid1(VALU_DEP_2)
	v_subrev_nc_u32_e32 v37, 28, v33
	v_sub_nc_u32_e32 v33, 29, v33
	v_cndmask_b32_e64 v35, 0, v37, s1
	s_delay_alu instid0(VALU_DEP_2) | instskip(NEXT) | instid1(VALU_DEP_2)
	v_cndmask_b32_e64 v33, v36, v33, s1
	v_lshlrev_b64 v[35:36], v35, v[6:7]
	v_lshlrev_b32_e32 v36, 8, v15
	s_delay_alu instid0(VALU_DEP_3) | instskip(NEXT) | instid1(VALU_DEP_3)
	v_lshl_add_u32 v33, v33, 10, 0x2000
	v_lshlrev_b32_e32 v35, 7, v35
	s_delay_alu instid0(VALU_DEP_2) | instskip(NEXT) | instid1(VALU_DEP_1)
	v_and_or_b32 v33, 0x8000, v36, v33
	v_and_or_b32 v33, 0x380, v35, v33
	s_delay_alu instid0(VALU_DEP_1)
	v_cvt_f32_f16_e32 v33, v33
.LBB305_370:                            ;   in Loop: Header=BB305_274 Depth=1
	s_or_b32 exec_lo, exec_lo, s16
.LBB305_371:                            ;   in Loop: Header=BB305_274 Depth=1
	s_delay_alu instid0(SALU_CYCLE_1)
	s_or_b32 exec_lo, exec_lo, s15
.LBB305_372:                            ;   in Loop: Header=BB305_274 Depth=1
	s_delay_alu instid0(SALU_CYCLE_1) | instskip(SKIP_2) | instid1(VALU_DEP_1)
	s_or_b32 exec_lo, exec_lo, s14
	v_lshrrev_b16 v6, 8, v6
	s_mov_b32 s14, exec_lo
	v_cmpx_ne_u16_e32 0, v6
	s_cbranch_execz .LBB305_380
; %bb.373:                              ;   in Loop: Header=BB305_274 Depth=1
	v_bfrev_b32_e32 v34, 1
	s_mov_b32 s15, exec_lo
	v_cmpx_ne_u16_e32 0x80, v6
	s_cbranch_execz .LBB305_379
; %bb.374:                              ;   in Loop: Header=BB305_274 Depth=1
	v_and_b32_e32 v35, 0xffff, v6
	v_mov_b32_e32 v34, 0x7fc02000
	s_mov_b32 s16, exec_lo
	s_delay_alu instid0(VALU_DEP_2) | instskip(NEXT) | instid1(VALU_DEP_1)
	v_and_b32_e32 v36, 0x7f, v35
	v_cmpx_ne_u32_e32 0x7f, v36
	s_cbranch_execz .LBB305_378
; %bb.375:                              ;   in Loop: Header=BB305_274 Depth=1
	v_and_b32_e32 v6, 7, v35
	v_lshrrev_b32_e32 v34, 3, v36
	s_mov_b32 s17, exec_lo
	v_cmpx_gt_u32_e32 8, v36
; %bb.376:                              ;   in Loop: Header=BB305_274 Depth=1
	s_delay_alu instid0(VALU_DEP_3) | instskip(NEXT) | instid1(VALU_DEP_1)
	v_clz_i32_u32_e32 v34, v6
	v_min_u32_e32 v34, 32, v34
	s_delay_alu instid0(VALU_DEP_1) | instskip(SKIP_1) | instid1(VALU_DEP_2)
	v_subrev_nc_u32_e32 v36, 28, v34
	v_sub_nc_u32_e32 v34, 29, v34
	v_lshlrev_b64 v[36:37], v36, v[6:7]
	s_delay_alu instid0(VALU_DEP_1)
	v_and_b32_e32 v6, 7, v36
; %bb.377:                              ;   in Loop: Header=BB305_274 Depth=1
	s_or_b32 exec_lo, exec_lo, s17
	v_lshlrev_b32_e32 v35, 8, v35
	v_lshl_add_u32 v34, v34, 10, 0x2000
	s_delay_alu instid0(VALU_DEP_1) | instskip(NEXT) | instid1(VALU_DEP_1)
	v_and_or_b32 v34, 0x8000, v35, v34
	v_lshl_or_b32 v6, v6, 7, v34
	s_delay_alu instid0(VALU_DEP_1)
	v_cvt_f32_f16_e32 v34, v6
.LBB305_378:                            ;   in Loop: Header=BB305_274 Depth=1
	s_or_b32 exec_lo, exec_lo, s16
.LBB305_379:                            ;   in Loop: Header=BB305_274 Depth=1
	s_delay_alu instid0(SALU_CYCLE_1)
	s_or_b32 exec_lo, exec_lo, s15
.LBB305_380:                            ;   in Loop: Header=BB305_274 Depth=1
	s_delay_alu instid0(SALU_CYCLE_1) | instskip(SKIP_3) | instid1(VALU_DEP_2)
	s_or_b32 exec_lo, exec_lo, s14
	v_lshrrev_b32_e32 v37, 16, v15
	v_mov_b32_e32 v36, 0
	s_mov_b32 s14, exec_lo
	v_dual_mov_b32 v35, 0 :: v_dual_and_b32 v6, 0xff, v37
	s_delay_alu instid0(VALU_DEP_1)
	v_cmpx_ne_u16_e32 0, v6
	s_cbranch_execz .LBB305_388
; %bb.381:                              ;   in Loop: Header=BB305_274 Depth=1
	v_bfrev_b32_e32 v35, 1
	s_mov_b32 s15, exec_lo
	v_cmpx_ne_u16_e32 0x80, v6
	s_cbranch_execz .LBB305_387
; %bb.382:                              ;   in Loop: Header=BB305_274 Depth=1
	v_bfe_u32 v38, v15, 16, 7
	v_mov_b32_e32 v35, 0x7fc02000
	s_mov_b32 s16, exec_lo
	s_delay_alu instid0(VALU_DEP_2)
	v_cmpx_ne_u32_e32 0x7f, v38
	s_cbranch_execz .LBB305_386
; %bb.383:                              ;   in Loop: Header=BB305_274 Depth=1
	v_and_b32_e32 v6, 7, v37
	v_lshrrev_b32_e32 v35, 3, v38
	s_mov_b32 s17, exec_lo
	v_cmpx_gt_u32_e32 8, v38
; %bb.384:                              ;   in Loop: Header=BB305_274 Depth=1
	s_delay_alu instid0(VALU_DEP_3) | instskip(NEXT) | instid1(VALU_DEP_1)
	v_clz_i32_u32_e32 v35, v6
	v_min_u32_e32 v35, 32, v35
	s_delay_alu instid0(VALU_DEP_1) | instskip(SKIP_1) | instid1(VALU_DEP_2)
	v_subrev_nc_u32_e32 v38, 28, v35
	v_sub_nc_u32_e32 v35, 29, v35
	v_lshlrev_b64 v[38:39], v38, v[6:7]
	s_delay_alu instid0(VALU_DEP_1)
	v_and_b32_e32 v6, 7, v38
; %bb.385:                              ;   in Loop: Header=BB305_274 Depth=1
	s_or_b32 exec_lo, exec_lo, s17
	v_lshlrev_b32_e32 v37, 8, v37
	v_lshl_add_u32 v35, v35, 10, 0x2000
	s_delay_alu instid0(VALU_DEP_1) | instskip(NEXT) | instid1(VALU_DEP_1)
	v_and_or_b32 v35, 0x8000, v37, v35
	v_lshl_or_b32 v6, v6, 7, v35
	s_delay_alu instid0(VALU_DEP_1)
	v_cvt_f32_f16_e32 v35, v6
.LBB305_386:                            ;   in Loop: Header=BB305_274 Depth=1
	s_or_b32 exec_lo, exec_lo, s16
.LBB305_387:                            ;   in Loop: Header=BB305_274 Depth=1
	s_delay_alu instid0(SALU_CYCLE_1)
	s_or_b32 exec_lo, exec_lo, s15
.LBB305_388:                            ;   in Loop: Header=BB305_274 Depth=1
	s_delay_alu instid0(SALU_CYCLE_1) | instskip(NEXT) | instid1(SALU_CYCLE_1)
	s_or_b32 exec_lo, exec_lo, s14
	s_mov_b32 s14, exec_lo
	v_cmpx_lt_u64_e64 s[10:11], v[14:15]
	s_cbranch_execz .LBB305_396
; %bb.389:                              ;   in Loop: Header=BB305_274 Depth=1
	v_lshrrev_b32_e32 v14, 24, v15
	v_bfrev_b32_e32 v36, 1
	s_mov_b32 s15, exec_lo
	s_delay_alu instid0(VALU_DEP_2)
	v_cmpx_ne_u32_e32 0x80, v14
	s_cbranch_execz .LBB305_395
; %bb.390:                              ;   in Loop: Header=BB305_274 Depth=1
	v_and_b32_e32 v37, 0x7f, v14
	v_mov_b32_e32 v36, 0x7fc02000
	s_mov_b32 s16, exec_lo
	s_delay_alu instid0(VALU_DEP_2)
	v_cmpx_ne_u32_e32 0x7f, v37
	s_cbranch_execz .LBB305_394
; %bb.391:                              ;   in Loop: Header=BB305_274 Depth=1
	v_and_b32_e32 v6, 7, v14
	v_lshrrev_b32_e32 v15, 3, v37
	s_mov_b32 s17, exec_lo
	v_cmpx_gt_u32_e32 8, v37
; %bb.392:                              ;   in Loop: Header=BB305_274 Depth=1
	s_delay_alu instid0(VALU_DEP_3) | instskip(NEXT) | instid1(VALU_DEP_1)
	v_clz_i32_u32_e32 v15, v6
	v_min_u32_e32 v15, 32, v15
	s_delay_alu instid0(VALU_DEP_1) | instskip(SKIP_1) | instid1(VALU_DEP_2)
	v_subrev_nc_u32_e32 v36, 28, v15
	v_sub_nc_u32_e32 v15, 29, v15
	v_lshlrev_b64 v[36:37], v36, v[6:7]
	s_delay_alu instid0(VALU_DEP_1)
	v_and_b32_e32 v6, 7, v36
; %bb.393:                              ;   in Loop: Header=BB305_274 Depth=1
	s_or_b32 exec_lo, exec_lo, s17
	v_lshlrev_b32_e32 v14, 8, v14
	v_lshl_add_u32 v15, v15, 10, 0x2000
	s_delay_alu instid0(VALU_DEP_1) | instskip(NEXT) | instid1(VALU_DEP_1)
	v_and_or_b32 v14, 0x8000, v14, v15
	v_lshl_or_b32 v6, v6, 7, v14
	s_delay_alu instid0(VALU_DEP_1)
	v_cvt_f32_f16_e32 v36, v6
.LBB305_394:                            ;   in Loop: Header=BB305_274 Depth=1
	s_or_b32 exec_lo, exec_lo, s16
.LBB305_395:                            ;   in Loop: Header=BB305_274 Depth=1
	s_delay_alu instid0(SALU_CYCLE_1)
	s_or_b32 exec_lo, exec_lo, s15
.LBB305_396:                            ;   in Loop: Header=BB305_274 Depth=1
	s_delay_alu instid0(SALU_CYCLE_1)
	s_or_b32 exec_lo, exec_lo, s14
	s_waitcnt vmcnt(0)
	v_fma_mixlo_f16 v15, v28, v30, 0
	v_fma_mixlo_f16 v6, v28, v32, 0
	;; [unrolled: 1-line block ×5, first 2 shown]
	v_lshlrev_b32_e32 v30, 16, v15
	v_fma_mixlo_f16 v32, v28, v33, 0
	v_fma_mixlo_f16 v33, v28, v36, 0
	;; [unrolled: 1-line block ×3, first 2 shown]
	v_lshlrev_b32_e32 v6, 16, v6
	v_and_b32_e32 v14, 0xffff, v14
	v_and_b32_e32 v29, 0xffff, v29
	v_lshlrev_b32_e32 v31, 16, v31
	v_and_b32_e32 v32, 0xffff, v32
	v_lshlrev_b32_e32 v33, 16, v33
	v_and_b32_e32 v34, 0xffff, v15
	v_or_b32_e32 v28, v6, v14
	v_or_b32_e32 v29, v30, v29
	;; [unrolled: 1-line block ×3, first 2 shown]
	s_delay_alu instid0(VALU_DEP_4)
	v_or_b32_e32 v14, v33, v34
	s_and_saveexec_b32 s14, s0
	s_cbranch_execz .LBB305_398
; %bb.397:                              ;   in Loop: Header=BB305_274 Depth=1
	v_add_nc_u32_e32 v30, 1, v20
	v_lshrrev_b32_e32 v31, 16, v29
	v_or_b32_e32 v32, 3, v20
	v_lshrrev_b32_e32 v33, 16, v28
	v_lshrrev_b32_e32 v34, 16, v6
	v_cmp_gt_i32_e64 s1, s13, v30
	v_lshrrev_b32_e32 v14, 16, v14
	v_or_b32_e32 v35, 6, v20
	s_delay_alu instid0(VALU_DEP_3) | instskip(SKIP_2) | instid1(VALU_DEP_2)
	v_cndmask_b32_e64 v30, 0, v31, s1
	v_cmp_gt_i32_e64 s1, s33, v20
	v_or_b32_e32 v31, 2, v20
	v_cndmask_b32_e64 v29, 0, v29, s1
	v_cmp_gt_i32_e64 s1, s13, v32
	s_delay_alu instid0(VALU_DEP_2) | instskip(NEXT) | instid1(VALU_DEP_2)
	v_perm_b32 v29, v30, v29, 0x5040100
	v_cndmask_b32_e64 v32, 0, v33, s1
	v_or_b32_e32 v33, 5, v20
	v_cmp_gt_i32_e64 s1, s33, v31
	v_or_b32_e32 v31, 4, v20
	s_delay_alu instid0(VALU_DEP_2) | instskip(NEXT) | instid1(VALU_DEP_4)
	v_cndmask_b32_e64 v28, 0, v28, s1
	v_cmp_gt_i32_e64 s1, s13, v33
	s_delay_alu instid0(VALU_DEP_2) | instskip(NEXT) | instid1(VALU_DEP_2)
	v_perm_b32 v28, v32, v28, 0x5040100
	v_cndmask_b32_e64 v33, 0, v34, s1
	v_or_b32_e32 v34, 7, v20
	v_cmp_gt_i32_e64 s1, s33, v31
	s_delay_alu instid0(VALU_DEP_1) | instskip(NEXT) | instid1(VALU_DEP_3)
	v_cndmask_b32_e64 v6, 0, v6, s1
	v_cmp_gt_i32_e64 s1, s13, v34
	s_delay_alu instid0(VALU_DEP_2) | instskip(NEXT) | instid1(VALU_DEP_2)
	v_perm_b32 v6, v33, v6, 0x5040100
	v_cndmask_b32_e64 v14, 0, v14, s1
	v_cmp_gt_i32_e64 s1, s33, v35
	s_delay_alu instid0(VALU_DEP_1) | instskip(NEXT) | instid1(VALU_DEP_1)
	v_cndmask_b32_e64 v15, 0, v15, s1
	v_perm_b32 v14, v14, v15, 0x5040100
.LBB305_398:                            ;   in Loop: Header=BB305_274 Depth=1
	s_or_b32 exec_lo, exec_lo, s14
	;;#ASMSTART
	v_pk_mul_f16 v15, v25, v29;

	;;#ASMEND
	;;#ASMSTART
	v_pk_mul_f16 v28, v24, v28;

	;;#ASMEND
	;; [unrolled: 4-line block ×4, first 2 shown]
	;;#ASMSTART
	v_pk_add_f16 v15, v15, v28;

	;;#ASMEND
	;;#ASMSTART
	v_pk_add_f16 v6, v15, v6;

	;;#ASMEND
	;; [unrolled: 4-line block ×3, first 2 shown]
	v_dual_mov_b32 v29, 0 :: v_dual_and_b32 v14, 0xffff, v6
	v_lshrrev_b32_e32 v6, 16, v6
	;;#ASMSTART
	v_cvt_f32_f16 v14, v14;
	;;#ASMEND
	;;#ASMSTART
	v_cvt_f32_f16 v15, v6;
	;;#ASMEND
	global_load_b64 v[12:13], v[12:13], off offset:512
	global_load_b32 v28, v7, s[6:7]
	v_mov_b32_e32 v30, 0
	s_mov_b32 s14, exec_lo
	s_waitcnt vmcnt(1)
	v_and_b32_e32 v6, 0xff, v12
	s_delay_alu instid0(VALU_DEP_1)
	v_cmpx_ne_u16_e32 0, v6
	s_cbranch_execz .LBB305_404
; %bb.399:                              ;   in Loop: Header=BB305_274 Depth=1
	v_bfrev_b32_e32 v29, 1
	s_mov_b32 s15, exec_lo
	v_cmpx_ne_u16_e32 0x80, v6
	s_cbranch_execz .LBB305_403
; %bb.400:                              ;   in Loop: Header=BB305_274 Depth=1
	v_and_b32_e32 v6, 0x7f, v12
	v_mov_b32_e32 v29, 0x7fc02000
	s_mov_b32 s16, exec_lo
	s_delay_alu instid0(VALU_DEP_2)
	v_cmpx_ne_u32_e32 0x7f, v6
	s_cbranch_execz .LBB305_402
; %bb.401:                              ;   in Loop: Header=BB305_274 Depth=1
	v_and_b32_e32 v29, 7, v12
	v_cmp_gt_u32_e64 s1, 8, v6
	v_lshrrev_b32_e32 v31, 3, v6
	s_delay_alu instid0(VALU_DEP_3) | instskip(NEXT) | instid1(VALU_DEP_1)
	v_clz_i32_u32_e32 v29, v29
	v_min_u32_e32 v29, 32, v29
	s_delay_alu instid0(VALU_DEP_1) | instskip(SKIP_1) | instid1(VALU_DEP_2)
	v_subrev_nc_u32_e32 v32, 28, v29
	v_sub_nc_u32_e32 v29, 29, v29
	v_cndmask_b32_e64 v6, 0, v32, s1
	s_delay_alu instid0(VALU_DEP_2) | instskip(NEXT) | instid1(VALU_DEP_2)
	v_cndmask_b32_e64 v29, v31, v29, s1
	v_lshlrev_b64 v[31:32], v6, v[12:13]
	v_lshlrev_b32_e32 v6, 8, v12
	s_delay_alu instid0(VALU_DEP_3) | instskip(NEXT) | instid1(VALU_DEP_3)
	v_lshl_add_u32 v29, v29, 10, 0x2000
	v_lshlrev_b32_e32 v31, 7, v31
	s_delay_alu instid0(VALU_DEP_2) | instskip(NEXT) | instid1(VALU_DEP_1)
	v_and_or_b32 v6, 0x8000, v6, v29
	v_and_or_b32 v6, 0x380, v31, v6
	s_delay_alu instid0(VALU_DEP_1)
	v_cvt_f32_f16_e32 v29, v6
.LBB305_402:                            ;   in Loop: Header=BB305_274 Depth=1
	s_or_b32 exec_lo, exec_lo, s16
.LBB305_403:                            ;   in Loop: Header=BB305_274 Depth=1
	s_delay_alu instid0(SALU_CYCLE_1)
	s_or_b32 exec_lo, exec_lo, s15
.LBB305_404:                            ;   in Loop: Header=BB305_274 Depth=1
	s_delay_alu instid0(SALU_CYCLE_1) | instskip(SKIP_2) | instid1(VALU_DEP_1)
	s_or_b32 exec_lo, exec_lo, s14
	v_lshrrev_b16 v6, 8, v12
	s_mov_b32 s14, exec_lo
	v_cmpx_ne_u16_e32 0, v6
	s_cbranch_execz .LBB305_412
; %bb.405:                              ;   in Loop: Header=BB305_274 Depth=1
	v_bfrev_b32_e32 v30, 1
	s_mov_b32 s15, exec_lo
	v_cmpx_ne_u16_e32 0x80, v6
	s_cbranch_execz .LBB305_411
; %bb.406:                              ;   in Loop: Header=BB305_274 Depth=1
	v_and_b32_e32 v31, 0xffff, v6
	v_mov_b32_e32 v30, 0x7fc02000
	s_mov_b32 s16, exec_lo
	s_delay_alu instid0(VALU_DEP_2) | instskip(NEXT) | instid1(VALU_DEP_1)
	v_and_b32_e32 v32, 0x7f, v31
	v_cmpx_ne_u32_e32 0x7f, v32
	s_cbranch_execz .LBB305_410
; %bb.407:                              ;   in Loop: Header=BB305_274 Depth=1
	v_and_b32_e32 v6, 7, v31
	v_lshrrev_b32_e32 v30, 3, v32
	s_mov_b32 s17, exec_lo
	v_cmpx_gt_u32_e32 8, v32
; %bb.408:                              ;   in Loop: Header=BB305_274 Depth=1
	s_delay_alu instid0(VALU_DEP_3) | instskip(NEXT) | instid1(VALU_DEP_1)
	v_clz_i32_u32_e32 v30, v6
	v_min_u32_e32 v30, 32, v30
	s_delay_alu instid0(VALU_DEP_1) | instskip(SKIP_1) | instid1(VALU_DEP_2)
	v_subrev_nc_u32_e32 v32, 28, v30
	v_sub_nc_u32_e32 v30, 29, v30
	v_lshlrev_b64 v[32:33], v32, v[6:7]
	s_delay_alu instid0(VALU_DEP_1)
	v_and_b32_e32 v6, 7, v32
; %bb.409:                              ;   in Loop: Header=BB305_274 Depth=1
	s_or_b32 exec_lo, exec_lo, s17
	v_lshlrev_b32_e32 v31, 8, v31
	v_lshl_add_u32 v30, v30, 10, 0x2000
	s_delay_alu instid0(VALU_DEP_1) | instskip(NEXT) | instid1(VALU_DEP_1)
	v_and_or_b32 v30, 0x8000, v31, v30
	v_lshl_or_b32 v6, v6, 7, v30
	s_delay_alu instid0(VALU_DEP_1)
	v_cvt_f32_f16_e32 v30, v6
.LBB305_410:                            ;   in Loop: Header=BB305_274 Depth=1
	s_or_b32 exec_lo, exec_lo, s16
.LBB305_411:                            ;   in Loop: Header=BB305_274 Depth=1
	s_delay_alu instid0(SALU_CYCLE_1)
	s_or_b32 exec_lo, exec_lo, s15
.LBB305_412:                            ;   in Loop: Header=BB305_274 Depth=1
	s_delay_alu instid0(SALU_CYCLE_1) | instskip(SKIP_3) | instid1(VALU_DEP_2)
	s_or_b32 exec_lo, exec_lo, s14
	v_lshrrev_b32_e32 v33, 16, v12
	v_mov_b32_e32 v32, 0
	s_mov_b32 s14, exec_lo
	v_dual_mov_b32 v31, 0 :: v_dual_and_b32 v6, 0xff, v33
	s_delay_alu instid0(VALU_DEP_1)
	v_cmpx_ne_u16_e32 0, v6
	s_cbranch_execz .LBB305_420
; %bb.413:                              ;   in Loop: Header=BB305_274 Depth=1
	v_bfrev_b32_e32 v31, 1
	s_mov_b32 s15, exec_lo
	v_cmpx_ne_u16_e32 0x80, v6
	s_cbranch_execz .LBB305_419
; %bb.414:                              ;   in Loop: Header=BB305_274 Depth=1
	v_bfe_u32 v34, v12, 16, 7
	v_mov_b32_e32 v31, 0x7fc02000
	s_mov_b32 s16, exec_lo
	s_delay_alu instid0(VALU_DEP_2)
	v_cmpx_ne_u32_e32 0x7f, v34
	s_cbranch_execz .LBB305_418
; %bb.415:                              ;   in Loop: Header=BB305_274 Depth=1
	v_and_b32_e32 v6, 7, v33
	v_lshrrev_b32_e32 v31, 3, v34
	s_mov_b32 s17, exec_lo
	v_cmpx_gt_u32_e32 8, v34
; %bb.416:                              ;   in Loop: Header=BB305_274 Depth=1
	s_delay_alu instid0(VALU_DEP_3) | instskip(NEXT) | instid1(VALU_DEP_1)
	v_clz_i32_u32_e32 v31, v6
	v_min_u32_e32 v31, 32, v31
	s_delay_alu instid0(VALU_DEP_1) | instskip(SKIP_1) | instid1(VALU_DEP_2)
	v_subrev_nc_u32_e32 v34, 28, v31
	v_sub_nc_u32_e32 v31, 29, v31
	v_lshlrev_b64 v[34:35], v34, v[6:7]
	s_delay_alu instid0(VALU_DEP_1)
	v_and_b32_e32 v6, 7, v34
; %bb.417:                              ;   in Loop: Header=BB305_274 Depth=1
	s_or_b32 exec_lo, exec_lo, s17
	v_lshlrev_b32_e32 v33, 8, v33
	v_lshl_add_u32 v31, v31, 10, 0x2000
	s_delay_alu instid0(VALU_DEP_1) | instskip(NEXT) | instid1(VALU_DEP_1)
	v_and_or_b32 v31, 0x8000, v33, v31
	v_lshl_or_b32 v6, v6, 7, v31
	s_delay_alu instid0(VALU_DEP_1)
	v_cvt_f32_f16_e32 v31, v6
.LBB305_418:                            ;   in Loop: Header=BB305_274 Depth=1
	s_or_b32 exec_lo, exec_lo, s16
.LBB305_419:                            ;   in Loop: Header=BB305_274 Depth=1
	s_delay_alu instid0(SALU_CYCLE_1)
	s_or_b32 exec_lo, exec_lo, s15
.LBB305_420:                            ;   in Loop: Header=BB305_274 Depth=1
	s_delay_alu instid0(SALU_CYCLE_1) | instskip(NEXT) | instid1(SALU_CYCLE_1)
	s_or_b32 exec_lo, exec_lo, s14
	s_mov_b32 s14, exec_lo
	v_cmpx_lt_u32_e32 0xffffff, v12
	s_cbranch_execz .LBB305_428
; %bb.421:                              ;   in Loop: Header=BB305_274 Depth=1
	v_lshrrev_b32_e32 v33, 24, v12
	v_bfrev_b32_e32 v32, 1
	s_mov_b32 s15, exec_lo
	s_delay_alu instid0(VALU_DEP_2)
	v_cmpx_ne_u32_e32 0x80, v33
	s_cbranch_execz .LBB305_427
; %bb.422:                              ;   in Loop: Header=BB305_274 Depth=1
	v_and_b32_e32 v34, 0x7f, v33
	v_mov_b32_e32 v32, 0x7fc02000
	s_mov_b32 s16, exec_lo
	s_delay_alu instid0(VALU_DEP_2)
	v_cmpx_ne_u32_e32 0x7f, v34
	s_cbranch_execz .LBB305_426
; %bb.423:                              ;   in Loop: Header=BB305_274 Depth=1
	v_and_b32_e32 v6, 7, v33
	v_lshrrev_b32_e32 v32, 3, v34
	s_mov_b32 s17, exec_lo
	v_cmpx_gt_u32_e32 8, v34
; %bb.424:                              ;   in Loop: Header=BB305_274 Depth=1
	s_delay_alu instid0(VALU_DEP_3) | instskip(NEXT) | instid1(VALU_DEP_1)
	v_clz_i32_u32_e32 v32, v6
	v_min_u32_e32 v32, 32, v32
	s_delay_alu instid0(VALU_DEP_1) | instskip(SKIP_1) | instid1(VALU_DEP_2)
	v_subrev_nc_u32_e32 v34, 28, v32
	v_sub_nc_u32_e32 v32, 29, v32
	v_lshlrev_b64 v[34:35], v34, v[6:7]
	s_delay_alu instid0(VALU_DEP_1)
	v_and_b32_e32 v6, 7, v34
; %bb.425:                              ;   in Loop: Header=BB305_274 Depth=1
	s_or_b32 exec_lo, exec_lo, s17
	v_lshlrev_b32_e32 v33, 8, v33
	v_lshl_add_u32 v32, v32, 10, 0x2000
	s_delay_alu instid0(VALU_DEP_1) | instskip(NEXT) | instid1(VALU_DEP_1)
	v_and_or_b32 v32, 0x8000, v33, v32
	v_lshl_or_b32 v6, v6, 7, v32
	s_delay_alu instid0(VALU_DEP_1)
	v_cvt_f32_f16_e32 v32, v6
.LBB305_426:                            ;   in Loop: Header=BB305_274 Depth=1
	s_or_b32 exec_lo, exec_lo, s16
.LBB305_427:                            ;   in Loop: Header=BB305_274 Depth=1
	s_delay_alu instid0(SALU_CYCLE_1)
	s_or_b32 exec_lo, exec_lo, s15
.LBB305_428:                            ;   in Loop: Header=BB305_274 Depth=1
	s_delay_alu instid0(SALU_CYCLE_1) | instskip(SKIP_3) | instid1(VALU_DEP_2)
	s_or_b32 exec_lo, exec_lo, s14
	v_dual_mov_b32 v6, v13 :: v_dual_and_b32 v35, 0xff, v13
	v_dual_mov_b32 v34, 0 :: v_dual_mov_b32 v33, 0
	s_mov_b32 s14, exec_lo
	v_cmpx_ne_u16_e32 0, v35
	s_cbranch_execz .LBB305_434
; %bb.429:                              ;   in Loop: Header=BB305_274 Depth=1
	v_bfrev_b32_e32 v33, 1
	s_mov_b32 s15, exec_lo
	v_cmpx_ne_u16_e32 0x80, v35
	s_cbranch_execz .LBB305_433
; %bb.430:                              ;   in Loop: Header=BB305_274 Depth=1
	v_and_b32_e32 v35, 0x7f, v13
	v_mov_b32_e32 v33, 0x7fc02000
	s_mov_b32 s16, exec_lo
	s_delay_alu instid0(VALU_DEP_2)
	v_cmpx_ne_u32_e32 0x7f, v35
	s_cbranch_execz .LBB305_432
; %bb.431:                              ;   in Loop: Header=BB305_274 Depth=1
	v_and_b32_e32 v33, 7, v13
	v_cmp_gt_u32_e64 s1, 8, v35
	v_lshrrev_b32_e32 v36, 3, v35
	s_delay_alu instid0(VALU_DEP_3) | instskip(NEXT) | instid1(VALU_DEP_1)
	v_clz_i32_u32_e32 v33, v33
	v_min_u32_e32 v33, 32, v33
	s_delay_alu instid0(VALU_DEP_1) | instskip(SKIP_1) | instid1(VALU_DEP_2)
	v_subrev_nc_u32_e32 v37, 28, v33
	v_sub_nc_u32_e32 v33, 29, v33
	v_cndmask_b32_e64 v35, 0, v37, s1
	s_delay_alu instid0(VALU_DEP_2) | instskip(NEXT) | instid1(VALU_DEP_2)
	v_cndmask_b32_e64 v33, v36, v33, s1
	v_lshlrev_b64 v[35:36], v35, v[6:7]
	v_lshlrev_b32_e32 v36, 8, v13
	s_delay_alu instid0(VALU_DEP_3) | instskip(NEXT) | instid1(VALU_DEP_3)
	v_lshl_add_u32 v33, v33, 10, 0x2000
	v_lshlrev_b32_e32 v35, 7, v35
	s_delay_alu instid0(VALU_DEP_2) | instskip(NEXT) | instid1(VALU_DEP_1)
	v_and_or_b32 v33, 0x8000, v36, v33
	v_and_or_b32 v33, 0x380, v35, v33
	s_delay_alu instid0(VALU_DEP_1)
	v_cvt_f32_f16_e32 v33, v33
.LBB305_432:                            ;   in Loop: Header=BB305_274 Depth=1
	s_or_b32 exec_lo, exec_lo, s16
.LBB305_433:                            ;   in Loop: Header=BB305_274 Depth=1
	s_delay_alu instid0(SALU_CYCLE_1)
	s_or_b32 exec_lo, exec_lo, s15
.LBB305_434:                            ;   in Loop: Header=BB305_274 Depth=1
	s_delay_alu instid0(SALU_CYCLE_1) | instskip(SKIP_2) | instid1(VALU_DEP_1)
	s_or_b32 exec_lo, exec_lo, s14
	v_lshrrev_b16 v6, 8, v6
	s_mov_b32 s14, exec_lo
	v_cmpx_ne_u16_e32 0, v6
	s_cbranch_execz .LBB305_442
; %bb.435:                              ;   in Loop: Header=BB305_274 Depth=1
	v_bfrev_b32_e32 v34, 1
	s_mov_b32 s15, exec_lo
	v_cmpx_ne_u16_e32 0x80, v6
	s_cbranch_execz .LBB305_441
; %bb.436:                              ;   in Loop: Header=BB305_274 Depth=1
	v_and_b32_e32 v35, 0xffff, v6
	v_mov_b32_e32 v34, 0x7fc02000
	s_mov_b32 s16, exec_lo
	s_delay_alu instid0(VALU_DEP_2) | instskip(NEXT) | instid1(VALU_DEP_1)
	v_and_b32_e32 v36, 0x7f, v35
	v_cmpx_ne_u32_e32 0x7f, v36
	s_cbranch_execz .LBB305_440
; %bb.437:                              ;   in Loop: Header=BB305_274 Depth=1
	v_and_b32_e32 v6, 7, v35
	v_lshrrev_b32_e32 v34, 3, v36
	s_mov_b32 s17, exec_lo
	v_cmpx_gt_u32_e32 8, v36
; %bb.438:                              ;   in Loop: Header=BB305_274 Depth=1
	s_delay_alu instid0(VALU_DEP_3) | instskip(NEXT) | instid1(VALU_DEP_1)
	v_clz_i32_u32_e32 v34, v6
	v_min_u32_e32 v34, 32, v34
	s_delay_alu instid0(VALU_DEP_1) | instskip(SKIP_1) | instid1(VALU_DEP_2)
	v_subrev_nc_u32_e32 v36, 28, v34
	v_sub_nc_u32_e32 v34, 29, v34
	v_lshlrev_b64 v[36:37], v36, v[6:7]
	s_delay_alu instid0(VALU_DEP_1)
	v_and_b32_e32 v6, 7, v36
; %bb.439:                              ;   in Loop: Header=BB305_274 Depth=1
	s_or_b32 exec_lo, exec_lo, s17
	v_lshlrev_b32_e32 v35, 8, v35
	v_lshl_add_u32 v34, v34, 10, 0x2000
	s_delay_alu instid0(VALU_DEP_1) | instskip(NEXT) | instid1(VALU_DEP_1)
	v_and_or_b32 v34, 0x8000, v35, v34
	v_lshl_or_b32 v6, v6, 7, v34
	s_delay_alu instid0(VALU_DEP_1)
	v_cvt_f32_f16_e32 v34, v6
.LBB305_440:                            ;   in Loop: Header=BB305_274 Depth=1
	s_or_b32 exec_lo, exec_lo, s16
.LBB305_441:                            ;   in Loop: Header=BB305_274 Depth=1
	s_delay_alu instid0(SALU_CYCLE_1)
	s_or_b32 exec_lo, exec_lo, s15
.LBB305_442:                            ;   in Loop: Header=BB305_274 Depth=1
	s_delay_alu instid0(SALU_CYCLE_1) | instskip(SKIP_3) | instid1(VALU_DEP_2)
	s_or_b32 exec_lo, exec_lo, s14
	v_lshrrev_b32_e32 v37, 16, v13
	v_mov_b32_e32 v36, 0
	s_mov_b32 s14, exec_lo
	v_dual_mov_b32 v35, 0 :: v_dual_and_b32 v6, 0xff, v37
	s_delay_alu instid0(VALU_DEP_1)
	v_cmpx_ne_u16_e32 0, v6
	s_cbranch_execz .LBB305_450
; %bb.443:                              ;   in Loop: Header=BB305_274 Depth=1
	v_bfrev_b32_e32 v35, 1
	s_mov_b32 s15, exec_lo
	v_cmpx_ne_u16_e32 0x80, v6
	s_cbranch_execz .LBB305_449
; %bb.444:                              ;   in Loop: Header=BB305_274 Depth=1
	v_bfe_u32 v38, v13, 16, 7
	v_mov_b32_e32 v35, 0x7fc02000
	s_mov_b32 s16, exec_lo
	s_delay_alu instid0(VALU_DEP_2)
	v_cmpx_ne_u32_e32 0x7f, v38
	s_cbranch_execz .LBB305_448
; %bb.445:                              ;   in Loop: Header=BB305_274 Depth=1
	v_and_b32_e32 v6, 7, v37
	v_lshrrev_b32_e32 v35, 3, v38
	s_mov_b32 s17, exec_lo
	v_cmpx_gt_u32_e32 8, v38
; %bb.446:                              ;   in Loop: Header=BB305_274 Depth=1
	s_delay_alu instid0(VALU_DEP_3) | instskip(NEXT) | instid1(VALU_DEP_1)
	v_clz_i32_u32_e32 v35, v6
	v_min_u32_e32 v35, 32, v35
	s_delay_alu instid0(VALU_DEP_1) | instskip(SKIP_1) | instid1(VALU_DEP_2)
	v_subrev_nc_u32_e32 v38, 28, v35
	v_sub_nc_u32_e32 v35, 29, v35
	v_lshlrev_b64 v[38:39], v38, v[6:7]
	s_delay_alu instid0(VALU_DEP_1)
	v_and_b32_e32 v6, 7, v38
; %bb.447:                              ;   in Loop: Header=BB305_274 Depth=1
	s_or_b32 exec_lo, exec_lo, s17
	v_lshlrev_b32_e32 v37, 8, v37
	v_lshl_add_u32 v35, v35, 10, 0x2000
	s_delay_alu instid0(VALU_DEP_1) | instskip(NEXT) | instid1(VALU_DEP_1)
	v_and_or_b32 v35, 0x8000, v37, v35
	v_lshl_or_b32 v6, v6, 7, v35
	s_delay_alu instid0(VALU_DEP_1)
	v_cvt_f32_f16_e32 v35, v6
.LBB305_448:                            ;   in Loop: Header=BB305_274 Depth=1
	s_or_b32 exec_lo, exec_lo, s16
.LBB305_449:                            ;   in Loop: Header=BB305_274 Depth=1
	s_delay_alu instid0(SALU_CYCLE_1)
	s_or_b32 exec_lo, exec_lo, s15
.LBB305_450:                            ;   in Loop: Header=BB305_274 Depth=1
	s_delay_alu instid0(SALU_CYCLE_1) | instskip(NEXT) | instid1(SALU_CYCLE_1)
	s_or_b32 exec_lo, exec_lo, s14
	s_mov_b32 s14, exec_lo
	v_cmpx_lt_u64_e64 s[10:11], v[12:13]
	s_cbranch_execz .LBB305_458
; %bb.451:                              ;   in Loop: Header=BB305_274 Depth=1
	v_lshrrev_b32_e32 v12, 24, v13
	v_bfrev_b32_e32 v36, 1
	s_mov_b32 s15, exec_lo
	s_delay_alu instid0(VALU_DEP_2)
	v_cmpx_ne_u32_e32 0x80, v12
	s_cbranch_execz .LBB305_457
; %bb.452:                              ;   in Loop: Header=BB305_274 Depth=1
	v_and_b32_e32 v37, 0x7f, v12
	v_mov_b32_e32 v36, 0x7fc02000
	s_mov_b32 s16, exec_lo
	s_delay_alu instid0(VALU_DEP_2)
	v_cmpx_ne_u32_e32 0x7f, v37
	s_cbranch_execz .LBB305_456
; %bb.453:                              ;   in Loop: Header=BB305_274 Depth=1
	v_and_b32_e32 v6, 7, v12
	v_lshrrev_b32_e32 v13, 3, v37
	s_mov_b32 s17, exec_lo
	v_cmpx_gt_u32_e32 8, v37
; %bb.454:                              ;   in Loop: Header=BB305_274 Depth=1
	s_delay_alu instid0(VALU_DEP_3) | instskip(NEXT) | instid1(VALU_DEP_1)
	v_clz_i32_u32_e32 v13, v6
	v_min_u32_e32 v13, 32, v13
	s_delay_alu instid0(VALU_DEP_1) | instskip(SKIP_1) | instid1(VALU_DEP_2)
	v_subrev_nc_u32_e32 v36, 28, v13
	v_sub_nc_u32_e32 v13, 29, v13
	v_lshlrev_b64 v[36:37], v36, v[6:7]
	s_delay_alu instid0(VALU_DEP_1)
	v_and_b32_e32 v6, 7, v36
; %bb.455:                              ;   in Loop: Header=BB305_274 Depth=1
	s_or_b32 exec_lo, exec_lo, s17
	v_lshlrev_b32_e32 v12, 8, v12
	v_lshl_add_u32 v13, v13, 10, 0x2000
	s_delay_alu instid0(VALU_DEP_1) | instskip(NEXT) | instid1(VALU_DEP_1)
	v_and_or_b32 v12, 0x8000, v12, v13
	v_lshl_or_b32 v6, v6, 7, v12
	s_delay_alu instid0(VALU_DEP_1)
	v_cvt_f32_f16_e32 v36, v6
.LBB305_456:                            ;   in Loop: Header=BB305_274 Depth=1
	s_or_b32 exec_lo, exec_lo, s16
.LBB305_457:                            ;   in Loop: Header=BB305_274 Depth=1
	s_delay_alu instid0(SALU_CYCLE_1)
	s_or_b32 exec_lo, exec_lo, s15
.LBB305_458:                            ;   in Loop: Header=BB305_274 Depth=1
	s_delay_alu instid0(SALU_CYCLE_1)
	s_or_b32 exec_lo, exec_lo, s14
	s_waitcnt vmcnt(0)
	v_fma_mixlo_f16 v13, v28, v30, 0
	v_fma_mixlo_f16 v6, v28, v32, 0
	;; [unrolled: 1-line block ×5, first 2 shown]
	v_lshlrev_b32_e32 v30, 16, v13
	v_fma_mixlo_f16 v13, v28, v29, 0
	v_fma_mixlo_f16 v29, v28, v34, 0
	;; [unrolled: 1-line block ×3, first 2 shown]
	v_lshlrev_b32_e32 v6, 16, v6
	v_and_b32_e32 v12, 0xffff, v12
	v_and_b32_e32 v33, 0xffff, v13
	v_lshlrev_b32_e32 v34, 16, v29
	v_and_b32_e32 v31, 0xffff, v31
	v_lshlrev_b32_e32 v32, 16, v32
	v_and_b32_e32 v35, 0xffff, v28
	v_or_b32_e32 v13, v6, v12
	v_or_b32_e32 v29, v30, v33
	;; [unrolled: 1-line block ×3, first 2 shown]
	s_delay_alu instid0(VALU_DEP_4)
	v_or_b32_e32 v12, v32, v35
	s_and_saveexec_b32 s14, s0
	s_cbranch_execz .LBB305_460
; %bb.459:                              ;   in Loop: Header=BB305_274 Depth=1
	v_add_nc_u32_e32 v30, 1, v20
	v_lshrrev_b32_e32 v31, 16, v29
	v_or_b32_e32 v32, 3, v20
	v_lshrrev_b32_e32 v33, 16, v13
	v_lshrrev_b32_e32 v34, 16, v6
	v_cmp_gt_i32_e64 s1, s13, v30
	v_lshrrev_b32_e32 v12, 16, v12
	v_or_b32_e32 v35, 6, v20
	s_delay_alu instid0(VALU_DEP_3) | instskip(SKIP_2) | instid1(VALU_DEP_2)
	v_cndmask_b32_e64 v30, 0, v31, s1
	v_cmp_gt_i32_e64 s1, s33, v20
	v_or_b32_e32 v31, 2, v20
	v_cndmask_b32_e64 v29, 0, v29, s1
	v_cmp_gt_i32_e64 s1, s13, v32
	s_delay_alu instid0(VALU_DEP_2) | instskip(NEXT) | instid1(VALU_DEP_2)
	v_perm_b32 v29, v30, v29, 0x5040100
	v_cndmask_b32_e64 v32, 0, v33, s1
	v_or_b32_e32 v33, 5, v20
	v_cmp_gt_i32_e64 s1, s33, v31
	v_or_b32_e32 v31, 4, v20
	s_delay_alu instid0(VALU_DEP_2) | instskip(NEXT) | instid1(VALU_DEP_4)
	v_cndmask_b32_e64 v13, 0, v13, s1
	v_cmp_gt_i32_e64 s1, s13, v33
	s_delay_alu instid0(VALU_DEP_2) | instskip(NEXT) | instid1(VALU_DEP_2)
	v_perm_b32 v13, v32, v13, 0x5040100
	v_cndmask_b32_e64 v33, 0, v34, s1
	v_or_b32_e32 v34, 7, v20
	v_cmp_gt_i32_e64 s1, s33, v31
	s_delay_alu instid0(VALU_DEP_1) | instskip(NEXT) | instid1(VALU_DEP_3)
	v_cndmask_b32_e64 v6, 0, v6, s1
	v_cmp_gt_i32_e64 s1, s13, v34
	s_delay_alu instid0(VALU_DEP_2) | instskip(NEXT) | instid1(VALU_DEP_2)
	v_perm_b32 v6, v33, v6, 0x5040100
	v_cndmask_b32_e64 v12, 0, v12, s1
	v_cmp_gt_i32_e64 s1, s33, v35
	s_delay_alu instid0(VALU_DEP_1) | instskip(NEXT) | instid1(VALU_DEP_1)
	v_cndmask_b32_e64 v28, 0, v28, s1
	v_perm_b32 v12, v12, v28, 0x5040100
.LBB305_460:                            ;   in Loop: Header=BB305_274 Depth=1
	s_or_b32 exec_lo, exec_lo, s14
	;;#ASMSTART
	v_pk_mul_f16 v28, v25, v29;

	;;#ASMEND
	;;#ASMSTART
	v_pk_mul_f16 v13, v24, v13;

	;;#ASMEND
	;; [unrolled: 4-line block ×4, first 2 shown]
	;;#ASMSTART
	v_pk_add_f16 v13, v28, v13;

	;;#ASMEND
	;;#ASMSTART
	v_pk_add_f16 v6, v13, v6;

	;;#ASMEND
	;; [unrolled: 4-line block ×3, first 2 shown]
	v_dual_add_f32 v13, v26, v27 :: v_dual_and_b32 v12, 0xffff, v6
	v_lshrrev_b32_e32 v6, 16, v6
	;;#ASMSTART
	v_cvt_f32_f16 v12, v12;
	;;#ASMEND
	;;#ASMSTART
	v_cvt_f32_f16 v6, v6;
	;;#ASMEND
	s_delay_alu instid0(VALU_DEP_2) | instskip(NEXT) | instid1(VALU_DEP_2)
	v_dual_add_f32 v14, v14, v15 :: v_dual_add_f32 v1, v1, v13
	v_add_f32_e32 v6, v12, v6
	s_delay_alu instid0(VALU_DEP_2) | instskip(NEXT) | instid1(VALU_DEP_2)
	v_add_f32_e32 v2, v2, v14
	v_add_f32_e32 v3, v3, v6
	s_and_saveexec_b32 s14, vcc_lo
	s_cbranch_execz .LBB305_273
; %bb.461:                              ;   in Loop: Header=BB305_274 Depth=1
	v_add_co_u32 v10, s1, v10, v19
	s_delay_alu instid0(VALU_DEP_1)
	v_add_co_ci_u32_e64 v11, s1, 0, v11, s1
	v_mov_b32_e32 v14, 0
	s_mov_b32 s15, exec_lo
	global_load_b64 v[10:11], v[10:11], off
	global_load_b32 v12, v7, s[6:7]
	s_waitcnt vmcnt(1)
	v_dual_mov_b32 v13, 0 :: v_dual_and_b32 v6, 0xff, v10
	s_delay_alu instid0(VALU_DEP_1)
	v_cmpx_ne_u16_e32 0, v6
	s_cbranch_execz .LBB305_467
; %bb.462:                              ;   in Loop: Header=BB305_274 Depth=1
	v_bfrev_b32_e32 v13, 1
	s_mov_b32 s16, exec_lo
	v_cmpx_ne_u16_e32 0x80, v6
	s_cbranch_execz .LBB305_466
; %bb.463:                              ;   in Loop: Header=BB305_274 Depth=1
	v_and_b32_e32 v6, 0x7f, v10
	v_mov_b32_e32 v13, 0x7fc02000
	s_mov_b32 s17, exec_lo
	s_delay_alu instid0(VALU_DEP_2)
	v_cmpx_ne_u32_e32 0x7f, v6
	s_cbranch_execz .LBB305_465
; %bb.464:                              ;   in Loop: Header=BB305_274 Depth=1
	v_and_b32_e32 v13, 7, v10
	v_cmp_gt_u32_e64 s1, 8, v6
	v_lshrrev_b32_e32 v15, 3, v6
	s_delay_alu instid0(VALU_DEP_3) | instskip(NEXT) | instid1(VALU_DEP_1)
	v_clz_i32_u32_e32 v13, v13
	v_min_u32_e32 v13, 32, v13
	s_delay_alu instid0(VALU_DEP_1) | instskip(SKIP_1) | instid1(VALU_DEP_2)
	v_subrev_nc_u32_e32 v26, 28, v13
	v_sub_nc_u32_e32 v13, 29, v13
	v_cndmask_b32_e64 v6, 0, v26, s1
	s_delay_alu instid0(VALU_DEP_2) | instskip(NEXT) | instid1(VALU_DEP_2)
	v_cndmask_b32_e64 v13, v15, v13, s1
	v_lshlrev_b64 v[26:27], v6, v[10:11]
	v_lshlrev_b32_e32 v6, 8, v10
	s_delay_alu instid0(VALU_DEP_3) | instskip(NEXT) | instid1(VALU_DEP_3)
	v_lshl_add_u32 v13, v13, 10, 0x2000
	v_lshlrev_b32_e32 v15, 7, v26
	s_delay_alu instid0(VALU_DEP_2) | instskip(NEXT) | instid1(VALU_DEP_1)
	v_and_or_b32 v6, 0x8000, v6, v13
	v_and_or_b32 v6, 0x380, v15, v6
	s_delay_alu instid0(VALU_DEP_1)
	v_cvt_f32_f16_e32 v13, v6
.LBB305_465:                            ;   in Loop: Header=BB305_274 Depth=1
	s_or_b32 exec_lo, exec_lo, s17
.LBB305_466:                            ;   in Loop: Header=BB305_274 Depth=1
	s_delay_alu instid0(SALU_CYCLE_1)
	s_or_b32 exec_lo, exec_lo, s16
.LBB305_467:                            ;   in Loop: Header=BB305_274 Depth=1
	s_delay_alu instid0(SALU_CYCLE_1) | instskip(SKIP_2) | instid1(VALU_DEP_1)
	s_or_b32 exec_lo, exec_lo, s15
	v_lshrrev_b16 v6, 8, v10
	s_mov_b32 s15, exec_lo
	v_cmpx_ne_u16_e32 0, v6
	s_cbranch_execz .LBB305_475
; %bb.468:                              ;   in Loop: Header=BB305_274 Depth=1
	v_bfrev_b32_e32 v14, 1
	s_mov_b32 s16, exec_lo
	v_cmpx_ne_u16_e32 0x80, v6
	s_cbranch_execz .LBB305_474
; %bb.469:                              ;   in Loop: Header=BB305_274 Depth=1
	v_and_b32_e32 v15, 0xffff, v6
	v_mov_b32_e32 v14, 0x7fc02000
	s_mov_b32 s17, exec_lo
	s_delay_alu instid0(VALU_DEP_2) | instskip(NEXT) | instid1(VALU_DEP_1)
	v_and_b32_e32 v26, 0x7f, v15
	v_cmpx_ne_u32_e32 0x7f, v26
	s_cbranch_execz .LBB305_473
; %bb.470:                              ;   in Loop: Header=BB305_274 Depth=1
	v_and_b32_e32 v6, 7, v15
	v_lshrrev_b32_e32 v14, 3, v26
	s_mov_b32 s18, exec_lo
	v_cmpx_gt_u32_e32 8, v26
; %bb.471:                              ;   in Loop: Header=BB305_274 Depth=1
	s_delay_alu instid0(VALU_DEP_3) | instskip(NEXT) | instid1(VALU_DEP_1)
	v_clz_i32_u32_e32 v14, v6
	v_min_u32_e32 v14, 32, v14
	s_delay_alu instid0(VALU_DEP_1) | instskip(SKIP_1) | instid1(VALU_DEP_2)
	v_subrev_nc_u32_e32 v26, 28, v14
	v_sub_nc_u32_e32 v14, 29, v14
	v_lshlrev_b64 v[26:27], v26, v[6:7]
	s_delay_alu instid0(VALU_DEP_1)
	v_and_b32_e32 v6, 7, v26
; %bb.472:                              ;   in Loop: Header=BB305_274 Depth=1
	s_or_b32 exec_lo, exec_lo, s18
	v_lshlrev_b32_e32 v15, 8, v15
	v_lshl_add_u32 v14, v14, 10, 0x2000
	s_delay_alu instid0(VALU_DEP_1) | instskip(NEXT) | instid1(VALU_DEP_1)
	v_and_or_b32 v14, 0x8000, v15, v14
	v_lshl_or_b32 v6, v6, 7, v14
	s_delay_alu instid0(VALU_DEP_1)
	v_cvt_f32_f16_e32 v14, v6
.LBB305_473:                            ;   in Loop: Header=BB305_274 Depth=1
	s_or_b32 exec_lo, exec_lo, s17
.LBB305_474:                            ;   in Loop: Header=BB305_274 Depth=1
	s_delay_alu instid0(SALU_CYCLE_1)
	s_or_b32 exec_lo, exec_lo, s16
.LBB305_475:                            ;   in Loop: Header=BB305_274 Depth=1
	s_delay_alu instid0(SALU_CYCLE_1) | instskip(SKIP_3) | instid1(VALU_DEP_2)
	s_or_b32 exec_lo, exec_lo, s15
	v_lshrrev_b32_e32 v27, 16, v10
	v_mov_b32_e32 v26, 0
	s_mov_b32 s15, exec_lo
	v_dual_mov_b32 v15, 0 :: v_dual_and_b32 v6, 0xff, v27
	s_delay_alu instid0(VALU_DEP_1)
	v_cmpx_ne_u16_e32 0, v6
	s_cbranch_execz .LBB305_483
; %bb.476:                              ;   in Loop: Header=BB305_274 Depth=1
	v_bfrev_b32_e32 v15, 1
	s_mov_b32 s16, exec_lo
	v_cmpx_ne_u16_e32 0x80, v6
	s_cbranch_execz .LBB305_482
; %bb.477:                              ;   in Loop: Header=BB305_274 Depth=1
	v_bfe_u32 v28, v10, 16, 7
	v_mov_b32_e32 v15, 0x7fc02000
	s_mov_b32 s17, exec_lo
	s_delay_alu instid0(VALU_DEP_2)
	v_cmpx_ne_u32_e32 0x7f, v28
	s_cbranch_execz .LBB305_481
; %bb.478:                              ;   in Loop: Header=BB305_274 Depth=1
	v_and_b32_e32 v6, 7, v27
	v_lshrrev_b32_e32 v15, 3, v28
	s_mov_b32 s18, exec_lo
	v_cmpx_gt_u32_e32 8, v28
; %bb.479:                              ;   in Loop: Header=BB305_274 Depth=1
	s_delay_alu instid0(VALU_DEP_3) | instskip(NEXT) | instid1(VALU_DEP_1)
	v_clz_i32_u32_e32 v15, v6
	v_min_u32_e32 v15, 32, v15
	s_delay_alu instid0(VALU_DEP_1) | instskip(SKIP_1) | instid1(VALU_DEP_2)
	v_subrev_nc_u32_e32 v28, 28, v15
	v_sub_nc_u32_e32 v15, 29, v15
	v_lshlrev_b64 v[28:29], v28, v[6:7]
	s_delay_alu instid0(VALU_DEP_1)
	v_and_b32_e32 v6, 7, v28
; %bb.480:                              ;   in Loop: Header=BB305_274 Depth=1
	s_or_b32 exec_lo, exec_lo, s18
	v_lshlrev_b32_e32 v27, 8, v27
	v_lshl_add_u32 v15, v15, 10, 0x2000
	s_delay_alu instid0(VALU_DEP_1) | instskip(NEXT) | instid1(VALU_DEP_1)
	v_and_or_b32 v15, 0x8000, v27, v15
	v_lshl_or_b32 v6, v6, 7, v15
	s_delay_alu instid0(VALU_DEP_1)
	v_cvt_f32_f16_e32 v15, v6
.LBB305_481:                            ;   in Loop: Header=BB305_274 Depth=1
	s_or_b32 exec_lo, exec_lo, s17
.LBB305_482:                            ;   in Loop: Header=BB305_274 Depth=1
	s_delay_alu instid0(SALU_CYCLE_1)
	s_or_b32 exec_lo, exec_lo, s16
.LBB305_483:                            ;   in Loop: Header=BB305_274 Depth=1
	s_delay_alu instid0(SALU_CYCLE_1) | instskip(NEXT) | instid1(SALU_CYCLE_1)
	s_or_b32 exec_lo, exec_lo, s15
	s_mov_b32 s15, exec_lo
	v_cmpx_lt_u32_e32 0xffffff, v10
	s_cbranch_execz .LBB305_491
; %bb.484:                              ;   in Loop: Header=BB305_274 Depth=1
	v_lshrrev_b32_e32 v27, 24, v10
	v_bfrev_b32_e32 v26, 1
	s_mov_b32 s16, exec_lo
	s_delay_alu instid0(VALU_DEP_2)
	v_cmpx_ne_u32_e32 0x80, v27
	s_cbranch_execz .LBB305_490
; %bb.485:                              ;   in Loop: Header=BB305_274 Depth=1
	v_and_b32_e32 v28, 0x7f, v27
	v_mov_b32_e32 v26, 0x7fc02000
	s_mov_b32 s17, exec_lo
	s_delay_alu instid0(VALU_DEP_2)
	v_cmpx_ne_u32_e32 0x7f, v28
	s_cbranch_execz .LBB305_489
; %bb.486:                              ;   in Loop: Header=BB305_274 Depth=1
	v_and_b32_e32 v6, 7, v27
	v_lshrrev_b32_e32 v26, 3, v28
	s_mov_b32 s18, exec_lo
	v_cmpx_gt_u32_e32 8, v28
; %bb.487:                              ;   in Loop: Header=BB305_274 Depth=1
	s_delay_alu instid0(VALU_DEP_3) | instskip(NEXT) | instid1(VALU_DEP_1)
	v_clz_i32_u32_e32 v26, v6
	v_min_u32_e32 v26, 32, v26
	s_delay_alu instid0(VALU_DEP_1) | instskip(SKIP_1) | instid1(VALU_DEP_2)
	v_subrev_nc_u32_e32 v28, 28, v26
	v_sub_nc_u32_e32 v26, 29, v26
	v_lshlrev_b64 v[28:29], v28, v[6:7]
	s_delay_alu instid0(VALU_DEP_1)
	v_and_b32_e32 v6, 7, v28
; %bb.488:                              ;   in Loop: Header=BB305_274 Depth=1
	s_or_b32 exec_lo, exec_lo, s18
	v_lshlrev_b32_e32 v27, 8, v27
	v_lshl_add_u32 v26, v26, 10, 0x2000
	s_delay_alu instid0(VALU_DEP_1) | instskip(NEXT) | instid1(VALU_DEP_1)
	v_and_or_b32 v26, 0x8000, v27, v26
	v_lshl_or_b32 v6, v6, 7, v26
	s_delay_alu instid0(VALU_DEP_1)
	v_cvt_f32_f16_e32 v26, v6
.LBB305_489:                            ;   in Loop: Header=BB305_274 Depth=1
	s_or_b32 exec_lo, exec_lo, s17
.LBB305_490:                            ;   in Loop: Header=BB305_274 Depth=1
	s_delay_alu instid0(SALU_CYCLE_1)
	s_or_b32 exec_lo, exec_lo, s16
.LBB305_491:                            ;   in Loop: Header=BB305_274 Depth=1
	s_delay_alu instid0(SALU_CYCLE_1) | instskip(SKIP_3) | instid1(VALU_DEP_2)
	s_or_b32 exec_lo, exec_lo, s15
	v_dual_mov_b32 v6, v11 :: v_dual_and_b32 v29, 0xff, v11
	v_dual_mov_b32 v28, 0 :: v_dual_mov_b32 v27, 0
	s_mov_b32 s15, exec_lo
	v_cmpx_ne_u16_e32 0, v29
	s_cbranch_execz .LBB305_497
; %bb.492:                              ;   in Loop: Header=BB305_274 Depth=1
	v_bfrev_b32_e32 v27, 1
	s_mov_b32 s16, exec_lo
	v_cmpx_ne_u16_e32 0x80, v29
	s_cbranch_execz .LBB305_496
; %bb.493:                              ;   in Loop: Header=BB305_274 Depth=1
	v_and_b32_e32 v29, 0x7f, v11
	v_mov_b32_e32 v27, 0x7fc02000
	s_mov_b32 s17, exec_lo
	s_delay_alu instid0(VALU_DEP_2)
	v_cmpx_ne_u32_e32 0x7f, v29
	s_cbranch_execz .LBB305_495
; %bb.494:                              ;   in Loop: Header=BB305_274 Depth=1
	v_and_b32_e32 v27, 7, v11
	v_cmp_gt_u32_e64 s1, 8, v29
	v_lshrrev_b32_e32 v30, 3, v29
	s_delay_alu instid0(VALU_DEP_3) | instskip(NEXT) | instid1(VALU_DEP_1)
	v_clz_i32_u32_e32 v27, v27
	v_min_u32_e32 v27, 32, v27
	s_delay_alu instid0(VALU_DEP_1) | instskip(SKIP_1) | instid1(VALU_DEP_2)
	v_subrev_nc_u32_e32 v31, 28, v27
	v_sub_nc_u32_e32 v27, 29, v27
	v_cndmask_b32_e64 v29, 0, v31, s1
	s_delay_alu instid0(VALU_DEP_2) | instskip(NEXT) | instid1(VALU_DEP_2)
	v_cndmask_b32_e64 v27, v30, v27, s1
	v_lshlrev_b64 v[29:30], v29, v[6:7]
	v_lshlrev_b32_e32 v30, 8, v11
	s_delay_alu instid0(VALU_DEP_3) | instskip(NEXT) | instid1(VALU_DEP_3)
	v_lshl_add_u32 v27, v27, 10, 0x2000
	v_lshlrev_b32_e32 v29, 7, v29
	s_delay_alu instid0(VALU_DEP_2) | instskip(NEXT) | instid1(VALU_DEP_1)
	v_and_or_b32 v27, 0x8000, v30, v27
	v_and_or_b32 v27, 0x380, v29, v27
	s_delay_alu instid0(VALU_DEP_1)
	v_cvt_f32_f16_e32 v27, v27
.LBB305_495:                            ;   in Loop: Header=BB305_274 Depth=1
	s_or_b32 exec_lo, exec_lo, s17
.LBB305_496:                            ;   in Loop: Header=BB305_274 Depth=1
	s_delay_alu instid0(SALU_CYCLE_1)
	s_or_b32 exec_lo, exec_lo, s16
.LBB305_497:                            ;   in Loop: Header=BB305_274 Depth=1
	s_delay_alu instid0(SALU_CYCLE_1) | instskip(SKIP_2) | instid1(VALU_DEP_1)
	s_or_b32 exec_lo, exec_lo, s15
	v_lshrrev_b16 v6, 8, v6
	s_mov_b32 s15, exec_lo
	v_cmpx_ne_u16_e32 0, v6
	s_cbranch_execz .LBB305_505
; %bb.498:                              ;   in Loop: Header=BB305_274 Depth=1
	v_bfrev_b32_e32 v28, 1
	s_mov_b32 s16, exec_lo
	v_cmpx_ne_u16_e32 0x80, v6
	s_cbranch_execz .LBB305_504
; %bb.499:                              ;   in Loop: Header=BB305_274 Depth=1
	v_and_b32_e32 v29, 0xffff, v6
	v_mov_b32_e32 v28, 0x7fc02000
	s_mov_b32 s17, exec_lo
	s_delay_alu instid0(VALU_DEP_2) | instskip(NEXT) | instid1(VALU_DEP_1)
	v_and_b32_e32 v30, 0x7f, v29
	v_cmpx_ne_u32_e32 0x7f, v30
	s_cbranch_execz .LBB305_503
; %bb.500:                              ;   in Loop: Header=BB305_274 Depth=1
	v_and_b32_e32 v6, 7, v29
	v_lshrrev_b32_e32 v28, 3, v30
	s_mov_b32 s18, exec_lo
	v_cmpx_gt_u32_e32 8, v30
; %bb.501:                              ;   in Loop: Header=BB305_274 Depth=1
	s_delay_alu instid0(VALU_DEP_3) | instskip(NEXT) | instid1(VALU_DEP_1)
	v_clz_i32_u32_e32 v28, v6
	v_min_u32_e32 v28, 32, v28
	s_delay_alu instid0(VALU_DEP_1) | instskip(SKIP_1) | instid1(VALU_DEP_2)
	v_subrev_nc_u32_e32 v30, 28, v28
	v_sub_nc_u32_e32 v28, 29, v28
	v_lshlrev_b64 v[30:31], v30, v[6:7]
	s_delay_alu instid0(VALU_DEP_1)
	v_and_b32_e32 v6, 7, v30
; %bb.502:                              ;   in Loop: Header=BB305_274 Depth=1
	s_or_b32 exec_lo, exec_lo, s18
	v_lshlrev_b32_e32 v29, 8, v29
	v_lshl_add_u32 v28, v28, 10, 0x2000
	s_delay_alu instid0(VALU_DEP_1) | instskip(NEXT) | instid1(VALU_DEP_1)
	v_and_or_b32 v28, 0x8000, v29, v28
	v_lshl_or_b32 v6, v6, 7, v28
	s_delay_alu instid0(VALU_DEP_1)
	v_cvt_f32_f16_e32 v28, v6
.LBB305_503:                            ;   in Loop: Header=BB305_274 Depth=1
	s_or_b32 exec_lo, exec_lo, s17
.LBB305_504:                            ;   in Loop: Header=BB305_274 Depth=1
	s_delay_alu instid0(SALU_CYCLE_1)
	s_or_b32 exec_lo, exec_lo, s16
.LBB305_505:                            ;   in Loop: Header=BB305_274 Depth=1
	s_delay_alu instid0(SALU_CYCLE_1) | instskip(SKIP_3) | instid1(VALU_DEP_2)
	s_or_b32 exec_lo, exec_lo, s15
	v_lshrrev_b32_e32 v31, 16, v11
	v_mov_b32_e32 v30, 0
	s_mov_b32 s15, exec_lo
	v_dual_mov_b32 v29, 0 :: v_dual_and_b32 v6, 0xff, v31
	s_delay_alu instid0(VALU_DEP_1)
	v_cmpx_ne_u16_e32 0, v6
	s_cbranch_execz .LBB305_513
; %bb.506:                              ;   in Loop: Header=BB305_274 Depth=1
	v_bfrev_b32_e32 v29, 1
	s_mov_b32 s16, exec_lo
	v_cmpx_ne_u16_e32 0x80, v6
	s_cbranch_execz .LBB305_512
; %bb.507:                              ;   in Loop: Header=BB305_274 Depth=1
	v_bfe_u32 v32, v11, 16, 7
	v_mov_b32_e32 v29, 0x7fc02000
	s_mov_b32 s17, exec_lo
	s_delay_alu instid0(VALU_DEP_2)
	v_cmpx_ne_u32_e32 0x7f, v32
	s_cbranch_execz .LBB305_511
; %bb.508:                              ;   in Loop: Header=BB305_274 Depth=1
	v_and_b32_e32 v6, 7, v31
	v_lshrrev_b32_e32 v29, 3, v32
	s_mov_b32 s18, exec_lo
	v_cmpx_gt_u32_e32 8, v32
; %bb.509:                              ;   in Loop: Header=BB305_274 Depth=1
	s_delay_alu instid0(VALU_DEP_3) | instskip(NEXT) | instid1(VALU_DEP_1)
	v_clz_i32_u32_e32 v29, v6
	v_min_u32_e32 v29, 32, v29
	s_delay_alu instid0(VALU_DEP_1) | instskip(SKIP_1) | instid1(VALU_DEP_2)
	v_subrev_nc_u32_e32 v32, 28, v29
	v_sub_nc_u32_e32 v29, 29, v29
	v_lshlrev_b64 v[32:33], v32, v[6:7]
	s_delay_alu instid0(VALU_DEP_1)
	v_and_b32_e32 v6, 7, v32
; %bb.510:                              ;   in Loop: Header=BB305_274 Depth=1
	s_or_b32 exec_lo, exec_lo, s18
	v_lshlrev_b32_e32 v31, 8, v31
	v_lshl_add_u32 v29, v29, 10, 0x2000
	s_delay_alu instid0(VALU_DEP_1) | instskip(NEXT) | instid1(VALU_DEP_1)
	v_and_or_b32 v29, 0x8000, v31, v29
	v_lshl_or_b32 v6, v6, 7, v29
	s_delay_alu instid0(VALU_DEP_1)
	v_cvt_f32_f16_e32 v29, v6
.LBB305_511:                            ;   in Loop: Header=BB305_274 Depth=1
	s_or_b32 exec_lo, exec_lo, s17
.LBB305_512:                            ;   in Loop: Header=BB305_274 Depth=1
	s_delay_alu instid0(SALU_CYCLE_1)
	s_or_b32 exec_lo, exec_lo, s16
.LBB305_513:                            ;   in Loop: Header=BB305_274 Depth=1
	s_delay_alu instid0(SALU_CYCLE_1) | instskip(NEXT) | instid1(SALU_CYCLE_1)
	s_or_b32 exec_lo, exec_lo, s15
	s_mov_b32 s15, exec_lo
	v_cmpx_lt_u64_e64 s[10:11], v[10:11]
	s_cbranch_execz .LBB305_521
; %bb.514:                              ;   in Loop: Header=BB305_274 Depth=1
	v_lshrrev_b32_e32 v10, 24, v11
	v_bfrev_b32_e32 v30, 1
	s_mov_b32 s16, exec_lo
	s_delay_alu instid0(VALU_DEP_2)
	v_cmpx_ne_u32_e32 0x80, v10
	s_cbranch_execz .LBB305_520
; %bb.515:                              ;   in Loop: Header=BB305_274 Depth=1
	v_and_b32_e32 v31, 0x7f, v10
	v_mov_b32_e32 v30, 0x7fc02000
	s_mov_b32 s17, exec_lo
	s_delay_alu instid0(VALU_DEP_2)
	v_cmpx_ne_u32_e32 0x7f, v31
	s_cbranch_execz .LBB305_519
; %bb.516:                              ;   in Loop: Header=BB305_274 Depth=1
	v_and_b32_e32 v6, 7, v10
	v_lshrrev_b32_e32 v11, 3, v31
	s_mov_b32 s18, exec_lo
	v_cmpx_gt_u32_e32 8, v31
; %bb.517:                              ;   in Loop: Header=BB305_274 Depth=1
	s_delay_alu instid0(VALU_DEP_3) | instskip(NEXT) | instid1(VALU_DEP_1)
	v_clz_i32_u32_e32 v11, v6
	v_min_u32_e32 v11, 32, v11
	s_delay_alu instid0(VALU_DEP_1) | instskip(SKIP_1) | instid1(VALU_DEP_2)
	v_subrev_nc_u32_e32 v30, 28, v11
	v_sub_nc_u32_e32 v11, 29, v11
	v_lshlrev_b64 v[30:31], v30, v[6:7]
	s_delay_alu instid0(VALU_DEP_1)
	v_and_b32_e32 v6, 7, v30
; %bb.518:                              ;   in Loop: Header=BB305_274 Depth=1
	s_or_b32 exec_lo, exec_lo, s18
	v_lshlrev_b32_e32 v10, 8, v10
	v_lshl_add_u32 v11, v11, 10, 0x2000
	s_delay_alu instid0(VALU_DEP_1) | instskip(NEXT) | instid1(VALU_DEP_1)
	v_and_or_b32 v10, 0x8000, v10, v11
	v_lshl_or_b32 v6, v6, 7, v10
	s_delay_alu instid0(VALU_DEP_1)
	v_cvt_f32_f16_e32 v30, v6
.LBB305_519:                            ;   in Loop: Header=BB305_274 Depth=1
	s_or_b32 exec_lo, exec_lo, s17
.LBB305_520:                            ;   in Loop: Header=BB305_274 Depth=1
	s_delay_alu instid0(SALU_CYCLE_1)
	s_or_b32 exec_lo, exec_lo, s16
.LBB305_521:                            ;   in Loop: Header=BB305_274 Depth=1
	s_delay_alu instid0(SALU_CYCLE_1)
	s_or_b32 exec_lo, exec_lo, s15
	s_waitcnt vmcnt(0)
	v_fma_mixlo_f16 v11, v12, v14, 0
	v_fma_mixlo_f16 v6, v12, v26, 0
	;; [unrolled: 1-line block ×5, first 2 shown]
	v_lshlrev_b32_e32 v14, 16, v11
	v_fma_mixlo_f16 v26, v12, v27, 0
	v_fma_mixlo_f16 v27, v12, v30, 0
	;; [unrolled: 1-line block ×3, first 2 shown]
	v_lshlrev_b32_e32 v6, 16, v6
	v_and_b32_e32 v10, 0xffff, v10
	v_and_b32_e32 v13, 0xffff, v13
	v_lshlrev_b32_e32 v15, 16, v15
	v_and_b32_e32 v26, 0xffff, v26
	v_lshlrev_b32_e32 v27, 16, v27
	v_and_b32_e32 v28, 0xffff, v11
	v_or_b32_e32 v12, v6, v10
	v_or_b32_e32 v13, v14, v13
	;; [unrolled: 1-line block ×3, first 2 shown]
	s_delay_alu instid0(VALU_DEP_4)
	v_or_b32_e32 v10, v27, v28
	s_and_saveexec_b32 s1, s0
	s_cbranch_execz .LBB305_272
; %bb.522:                              ;   in Loop: Header=BB305_274 Depth=1
	v_add_nc_u32_e32 v14, 1, v20
	v_lshrrev_b32_e32 v15, 16, v13
	v_or_b32_e32 v26, 3, v20
	v_lshrrev_b32_e32 v27, 16, v12
	v_lshrrev_b32_e32 v28, 16, v6
	v_cmp_gt_i32_e64 s0, s13, v14
	v_lshrrev_b32_e32 v10, 16, v10
	v_or_b32_e32 v29, 6, v20
	s_delay_alu instid0(VALU_DEP_3) | instskip(SKIP_2) | instid1(VALU_DEP_2)
	v_cndmask_b32_e64 v14, 0, v15, s0
	v_cmp_gt_i32_e64 s0, s33, v20
	v_or_b32_e32 v15, 2, v20
	v_cndmask_b32_e64 v13, 0, v13, s0
	v_cmp_gt_i32_e64 s0, s13, v26
	s_delay_alu instid0(VALU_DEP_2) | instskip(NEXT) | instid1(VALU_DEP_2)
	v_perm_b32 v13, v14, v13, 0x5040100
	v_cndmask_b32_e64 v26, 0, v27, s0
	v_or_b32_e32 v27, 5, v20
	v_cmp_gt_i32_e64 s0, s33, v15
	v_or_b32_e32 v15, 4, v20
	s_delay_alu instid0(VALU_DEP_2) | instskip(NEXT) | instid1(VALU_DEP_4)
	v_cndmask_b32_e64 v12, 0, v12, s0
	v_cmp_gt_i32_e64 s0, s13, v27
	s_delay_alu instid0(VALU_DEP_2) | instskip(NEXT) | instid1(VALU_DEP_2)
	v_perm_b32 v12, v26, v12, 0x5040100
	v_cndmask_b32_e64 v27, 0, v28, s0
	v_or_b32_e32 v28, 7, v20
	v_cmp_gt_i32_e64 s0, s33, v15
	s_delay_alu instid0(VALU_DEP_1) | instskip(NEXT) | instid1(VALU_DEP_3)
	v_cndmask_b32_e64 v6, 0, v6, s0
	v_cmp_gt_i32_e64 s0, s13, v28
	s_delay_alu instid0(VALU_DEP_2) | instskip(NEXT) | instid1(VALU_DEP_2)
	v_perm_b32 v6, v27, v6, 0x5040100
	v_cndmask_b32_e64 v10, 0, v10, s0
	v_cmp_gt_i32_e64 s0, s33, v29
	s_delay_alu instid0(VALU_DEP_1) | instskip(NEXT) | instid1(VALU_DEP_1)
	v_cndmask_b32_e64 v11, 0, v11, s0
	v_perm_b32 v10, v10, v11, 0x5040100
	s_branch .LBB305_272
.LBB305_523:
	s_or_b32 exec_lo, exec_lo, s12
.LBB305_524:
	s_delay_alu instid0(SALU_CYCLE_1)
	s_or_b32 exec_lo, exec_lo, s5
	v_and_b32_e32 v5, 0x3c0, v0
	s_movk_i32 s0, 0x1e0
	s_waitcnt_vscnt null, 0x0
	v_mad_u32_u24 v6, v16, s0, 0x110
	s_barrier
	v_cmp_eq_u32_e32 vcc_lo, 64, v5
	v_or_b32_e32 v5, 0x60, v0
	buffer_gl0_inv
	s_and_saveexec_b32 s0, vcc_lo
	s_cbranch_execz .LBB305_527
; %bb.525:
	v_add_nc_u32_e32 v7, 0xfffffc40, v6
	v_cmp_gt_u32_e32 vcc_lo, 0x78, v5
	s_delay_alu instid0(VALU_DEP_2)
	v_lshl_add_u32 v8, v17, 2, v7
	ds_store_2addr_b32 v8, v1, v2 offset1:32
	ds_store_b32 v8, v3 offset:256
	s_and_b32 exec_lo, exec_lo, vcc_lo
	s_cbranch_execz .LBB305_527
; %bb.526:
	v_lshl_add_u32 v7, v5, 2, v7
	ds_store_b32 v7, v4
.LBB305_527:
	s_or_b32 exec_lo, exec_lo, s0
	v_lshl_add_u32 v7, v17, 2, v6
	s_mov_b32 s0, exec_lo
	s_waitcnt lgkmcnt(0)
	s_barrier
	buffer_gl0_inv
	v_cmpx_gt_u32_e32 64, v0
	s_cbranch_execz .LBB305_531
; %bb.528:
	v_lshl_or_b32 v8, v0, 2, 0x80
	s_mov_b32 s1, exec_lo
	s_delay_alu instid0(VALU_DEP_1)
	v_add_nc_u32_e32 v10, v6, v8
	ds_load_2addr_stride64_b32 v[8:9], v7 offset1:1
	ds_load_b32 v10, v10
	s_waitcnt lgkmcnt(1)
	v_add_f32_e32 v3, v3, v9
	s_waitcnt lgkmcnt(0)
	v_dual_add_f32 v1, v1, v8 :: v_dual_add_f32 v2, v2, v10
	v_cmpx_gt_u32_e32 0x78, v5
	s_cbranch_execz .LBB305_530
; %bb.529:
	v_lshl_add_u32 v8, v5, 2, v6
	ds_load_b32 v8, v8
	s_waitcnt lgkmcnt(0)
	v_add_f32_e32 v4, v4, v8
.LBB305_530:
	s_or_b32 exec_lo, exec_lo, s1
.LBB305_531:
	s_delay_alu instid0(SALU_CYCLE_1)
	s_or_b32 exec_lo, exec_lo, s0
	v_and_b32_e32 v8, 0x3e0, v0
	s_mov_b32 s0, exec_lo
	s_barrier
	buffer_gl0_inv
	v_cmpx_eq_u32_e32 32, v8
	s_cbranch_execz .LBB305_534
; %bb.532:
	v_add_nc_u32_e32 v8, 0xfffffe20, v6
	v_cmp_gt_u32_e32 vcc_lo, 0x78, v5
	s_delay_alu instid0(VALU_DEP_2)
	v_lshl_add_u32 v9, v17, 2, v8
	v_lshl_add_u32 v10, v0, 2, v8
	ds_store_b32 v9, v1
	ds_store_b32 v10, v2
	ds_store_b32 v9, v3 offset:256
	s_and_b32 exec_lo, exec_lo, vcc_lo
	s_cbranch_execz .LBB305_534
; %bb.533:
	v_lshl_add_u32 v8, v5, 2, v8
	ds_store_b32 v8, v4
.LBB305_534:
	s_or_b32 exec_lo, exec_lo, s0
	v_cmp_gt_u32_e32 vcc_lo, 32, v0
	s_waitcnt lgkmcnt(0)
	s_barrier
	buffer_gl0_inv
	s_and_saveexec_b32 s1, vcc_lo
	s_cbranch_execz .LBB305_538
; %bb.535:
	v_lshl_add_u32 v6, v0, 2, v6
	s_mov_b32 s2, exec_lo
	ds_load_b32 v9, v7
	ds_load_2addr_b32 v[7:8], v6 offset0:32 offset1:64
	s_waitcnt lgkmcnt(0)
	v_dual_add_f32 v1, v1, v9 :: v_dual_add_f32 v2, v2, v7
	v_add_f32_e32 v3, v3, v8
	v_cmpx_gt_u32_e32 0x78, v5
	s_cbranch_execz .LBB305_537
; %bb.536:
	ds_load_b32 v6, v6 offset:384
	s_waitcnt lgkmcnt(0)
	v_add_f32_e32 v4, v4, v6
.LBB305_537:
	s_or_b32 exec_lo, exec_lo, s2
.LBB305_538:
	s_delay_alu instid0(SALU_CYCLE_1)
	s_or_b32 exec_lo, exec_lo, s1
	s_barrier
	buffer_gl0_inv
	s_and_saveexec_b32 s0, vcc_lo
	s_cbranch_execz .LBB305_541
; %bb.539:
	s_mul_i32 s0, s4, 0x78
	s_mul_i32 s2, s8, s22
	s_ashr_i32 s1, s0, 31
	v_lshlrev_b32_e32 v0, 1, v0
	s_lshl_b64 s[0:1], s[0:1], 1
	v_cmp_gt_u32_e32 vcc_lo, 0x78, v5
	s_add_u32 s4, s24, s0
	s_addc_u32 s5, s25, s1
	s_ashr_i32 s3, s2, 31
	;;#ASMSTART
	v_cvt_f16_f32 v1, v1;

	;;#ASMEND
	s_lshl_b64 s[0:1], s[2:3], 1
	s_mul_i32 s2, s20, 0x78
	s_add_u32 s4, s4, s0
	s_addc_u32 s5, s5, s1
	s_ashr_i32 s3, s2, 31
	s_delay_alu instid0(SALU_CYCLE_1) | instskip(NEXT) | instid1(SALU_CYCLE_1)
	s_lshl_b64 s[0:1], s[2:3], 1
	s_add_u32 s0, s4, s0
	s_addc_u32 s1, s5, s1
	global_store_b16 v0, v1, s[0:1]
	;;#ASMSTART
	v_cvt_f16_f32 v1, v2;

	;;#ASMEND
	global_store_b16 v0, v1, s[0:1] offset:64
	;;#ASMSTART
	v_cvt_f16_f32 v1, v3;

	;;#ASMEND
	global_store_b16 v0, v1, s[0:1] offset:128
	s_and_b32 exec_lo, exec_lo, vcc_lo
	s_cbranch_execz .LBB305_541
; %bb.540:
	v_add_co_u32 v0, s0, s0, v0
	s_delay_alu instid0(VALU_DEP_1)
	v_add_co_ci_u32_e64 v1, null, s1, 0, s0
	;;#ASMSTART
	v_cvt_f16_f32 v2, v4;

	;;#ASMEND
	global_store_b16 v[0:1], v2, off offset:192
.LBB305_541:
	s_nop 0
	s_sendmsg sendmsg(MSG_DEALLOC_VGPRS)
	s_endpgm
	.section	.rodata,"a",@progbits
	.p2align	6, 0x0
	.amdhsa_kernel _ZN4vllm25paged_attention_v2_kernelIthLi120ELi8ELi128ELNS_18Fp8KVCacheDataTypeE1ELb0ELi512EEEvPfS2_PT_PKS3_PKT0_S9_ifPKiSB_iPKfiiiSD_SD_iiiii
		.amdhsa_group_segment_fixed_size 272
		.amdhsa_private_segment_fixed_size 0
		.amdhsa_kernarg_size 400
		.amdhsa_user_sgpr_count 13
		.amdhsa_user_sgpr_dispatch_ptr 0
		.amdhsa_user_sgpr_queue_ptr 0
		.amdhsa_user_sgpr_kernarg_segment_ptr 1
		.amdhsa_user_sgpr_dispatch_id 0
		.amdhsa_user_sgpr_private_segment_size 0
		.amdhsa_wavefront_size32 1
		.amdhsa_uses_dynamic_stack 0
		.amdhsa_enable_private_segment 0
		.amdhsa_system_sgpr_workgroup_id_x 1
		.amdhsa_system_sgpr_workgroup_id_y 1
		.amdhsa_system_sgpr_workgroup_id_z 1
		.amdhsa_system_sgpr_workgroup_info 0
		.amdhsa_system_vgpr_workitem_id 0
		.amdhsa_next_free_vgpr 73
		.amdhsa_next_free_sgpr 43
		.amdhsa_reserve_vcc 1
		.amdhsa_float_round_mode_32 0
		.amdhsa_float_round_mode_16_64 0
		.amdhsa_float_denorm_mode_32 3
		.amdhsa_float_denorm_mode_16_64 3
		.amdhsa_dx10_clamp 1
		.amdhsa_ieee_mode 1
		.amdhsa_fp16_overflow 0
		.amdhsa_workgroup_processor_mode 1
		.amdhsa_memory_ordered 1
		.amdhsa_forward_progress 0
		.amdhsa_shared_vgpr_count 0
		.amdhsa_exception_fp_ieee_invalid_op 0
		.amdhsa_exception_fp_denorm_src 0
		.amdhsa_exception_fp_ieee_div_zero 0
		.amdhsa_exception_fp_ieee_overflow 0
		.amdhsa_exception_fp_ieee_underflow 0
		.amdhsa_exception_fp_ieee_inexact 0
		.amdhsa_exception_int_div_zero 0
	.end_amdhsa_kernel
	.section	.text._ZN4vllm25paged_attention_v2_kernelIthLi120ELi8ELi128ELNS_18Fp8KVCacheDataTypeE1ELb0ELi512EEEvPfS2_PT_PKS3_PKT0_S9_ifPKiSB_iPKfiiiSD_SD_iiiii,"axG",@progbits,_ZN4vllm25paged_attention_v2_kernelIthLi120ELi8ELi128ELNS_18Fp8KVCacheDataTypeE1ELb0ELi512EEEvPfS2_PT_PKS3_PKT0_S9_ifPKiSB_iPKfiiiSD_SD_iiiii,comdat
.Lfunc_end305:
	.size	_ZN4vllm25paged_attention_v2_kernelIthLi120ELi8ELi128ELNS_18Fp8KVCacheDataTypeE1ELb0ELi512EEEvPfS2_PT_PKS3_PKT0_S9_ifPKiSB_iPKfiiiSD_SD_iiiii, .Lfunc_end305-_ZN4vllm25paged_attention_v2_kernelIthLi120ELi8ELi128ELNS_18Fp8KVCacheDataTypeE1ELb0ELi512EEEvPfS2_PT_PKS3_PKT0_S9_ifPKiSB_iPKfiiiSD_SD_iiiii
                                        ; -- End function
	.section	.AMDGPU.csdata,"",@progbits
; Kernel info:
; codeLenInByte = 22260
; NumSgprs: 45
; NumVgprs: 73
; ScratchSize: 0
; MemoryBound: 0
; FloatMode: 240
; IeeeMode: 1
; LDSByteSize: 272 bytes/workgroup (compile time only)
; SGPRBlocks: 5
; VGPRBlocks: 9
; NumSGPRsForWavesPerEU: 45
; NumVGPRsForWavesPerEU: 73
; Occupancy: 16
; WaveLimiterHint : 1
; COMPUTE_PGM_RSRC2:SCRATCH_EN: 0
; COMPUTE_PGM_RSRC2:USER_SGPR: 13
; COMPUTE_PGM_RSRC2:TRAP_HANDLER: 0
; COMPUTE_PGM_RSRC2:TGID_X_EN: 1
; COMPUTE_PGM_RSRC2:TGID_Y_EN: 1
; COMPUTE_PGM_RSRC2:TGID_Z_EN: 1
; COMPUTE_PGM_RSRC2:TIDIG_COMP_CNT: 0
	.section	.text._ZN4vllm25paged_attention_v2_kernelIthLi128ELi8ELi128ELNS_18Fp8KVCacheDataTypeE1ELb0ELi512EEEvPfS2_PT_PKS3_PKT0_S9_ifPKiSB_iPKfiiiSD_SD_iiiii,"axG",@progbits,_ZN4vllm25paged_attention_v2_kernelIthLi128ELi8ELi128ELNS_18Fp8KVCacheDataTypeE1ELb0ELi512EEEvPfS2_PT_PKS3_PKT0_S9_ifPKiSB_iPKfiiiSD_SD_iiiii,comdat
	.protected	_ZN4vllm25paged_attention_v2_kernelIthLi128ELi8ELi128ELNS_18Fp8KVCacheDataTypeE1ELb0ELi512EEEvPfS2_PT_PKS3_PKT0_S9_ifPKiSB_iPKfiiiSD_SD_iiiii ; -- Begin function _ZN4vllm25paged_attention_v2_kernelIthLi128ELi8ELi128ELNS_18Fp8KVCacheDataTypeE1ELb0ELi512EEEvPfS2_PT_PKS3_PKT0_S9_ifPKiSB_iPKfiiiSD_SD_iiiii
	.globl	_ZN4vllm25paged_attention_v2_kernelIthLi128ELi8ELi128ELNS_18Fp8KVCacheDataTypeE1ELb0ELi512EEEvPfS2_PT_PKS3_PKT0_S9_ifPKiSB_iPKfiiiSD_SD_iiiii
	.p2align	8
	.type	_ZN4vllm25paged_attention_v2_kernelIthLi128ELi8ELi128ELNS_18Fp8KVCacheDataTypeE1ELb0ELi512EEEvPfS2_PT_PKS3_PKT0_S9_ifPKiSB_iPKfiiiSD_SD_iiiii,@function
_ZN4vllm25paged_attention_v2_kernelIthLi128ELi8ELi128ELNS_18Fp8KVCacheDataTypeE1ELb0ELi512EEEvPfS2_PT_PKS3_PKT0_S9_ifPKiSB_iPKfiiiSD_SD_iiiii: ; @_ZN4vllm25paged_attention_v2_kernelIthLi128ELi8ELi128ELNS_18Fp8KVCacheDataTypeE1ELb0ELi512EEEvPfS2_PT_PKS3_PKT0_S9_ifPKiSB_iPKfiiiSD_SD_iiiii
; %bb.0:
	s_load_b64 s[2:3], s[0:1], 0x40
	s_mov_b32 s12, s15
	s_ashr_i32 s15, s14, 31
	s_delay_alu instid0(SALU_CYCLE_1)
	s_lshl_b64 s[4:5], s[14:15], 2
	s_waitcnt lgkmcnt(0)
	s_add_u32 s2, s2, s4
	s_addc_u32 s3, s3, s5
	s_lshl_b32 s33, s12, 9
	s_load_b32 s15, s[2:3], 0x0
	s_waitcnt lgkmcnt(0)
	s_cmp_ge_i32 s33, s15
	s_cbranch_scc1 .LBB306_548
; %bb.1:
	s_mov_b32 s24, s13
	s_clause 0x1
	s_load_b32 s13, s[0:1], 0x90
	s_load_b64 s[34:35], s[0:1], 0x30
	s_mov_b32 s37, 0
	s_waitcnt lgkmcnt(0)
	s_abs_i32 s5, s13
	s_abs_i32 s2, s34
	s_delay_alu instid0(SALU_CYCLE_1) | instskip(SKIP_1) | instid1(VALU_DEP_1)
	v_cvt_f32_u32_e32 v1, s2
	s_sub_i32 s4, 0, s2
	v_rcp_iflag_f32_e32 v1, v1
	s_waitcnt_depctr 0xfff
	v_mul_f32_e32 v1, 0x4f7ffffe, v1
	s_delay_alu instid0(VALU_DEP_1) | instskip(NEXT) | instid1(VALU_DEP_1)
	v_cvt_u32_f32_e32 v1, v1
	v_readfirstlane_b32 s3, v1
	s_delay_alu instid0(VALU_DEP_1) | instskip(NEXT) | instid1(SALU_CYCLE_1)
	s_mul_i32 s4, s4, s3
	s_mul_hi_u32 s4, s3, s4
	s_delay_alu instid0(SALU_CYCLE_1) | instskip(SKIP_4) | instid1(SALU_CYCLE_1)
	s_add_i32 s3, s3, s4
	s_xor_b32 s4, s13, s34
	s_mul_hi_u32 s3, s5, s3
	s_ashr_i32 s4, s4, 31
	s_mul_i32 s6, s3, s2
	s_sub_i32 s5, s5, s6
	s_add_i32 s6, s3, 1
	s_sub_i32 s7, s5, s2
	s_cmp_ge_u32 s5, s2
	s_cselect_b32 s3, s6, s3
	s_cselect_b32 s5, s7, s5
	s_add_i32 s6, s3, 1
	s_cmp_ge_u32 s5, s2
	s_cselect_b32 s2, s6, s3
	s_abs_i32 s10, s24
	s_xor_b32 s2, s2, s4
	s_delay_alu instid0(SALU_CYCLE_1) | instskip(SKIP_2) | instid1(SALU_CYCLE_1)
	s_sub_i32 s11, s2, s4
	s_load_b64 s[2:3], s[0:1], 0x50
	s_abs_i32 s8, s11
	v_cvt_f32_u32_e32 v1, s8
	s_sub_i32 s5, 0, s8
	s_delay_alu instid0(VALU_DEP_1) | instskip(SKIP_2) | instid1(VALU_DEP_1)
	v_rcp_iflag_f32_e32 v1, v1
	s_waitcnt_depctr 0xfff
	v_mul_f32_e32 v1, 0x4f7ffffe, v1
	v_cvt_u32_f32_e32 v1, v1
	s_delay_alu instid0(VALU_DEP_1) | instskip(NEXT) | instid1(VALU_DEP_1)
	v_readfirstlane_b32 s4, v1
	s_mul_i32 s5, s5, s4
	s_delay_alu instid0(SALU_CYCLE_1) | instskip(NEXT) | instid1(SALU_CYCLE_1)
	s_mul_hi_u32 s5, s4, s5
	s_add_i32 s4, s4, s5
	s_waitcnt lgkmcnt(0)
	s_cmp_eq_u64 s[2:3], 0
	s_mul_hi_u32 s9, s10, s4
	s_cbranch_scc1 .LBB306_3
; %bb.2:
	s_ashr_i32 s25, s24, 31
	s_delay_alu instid0(SALU_CYCLE_1) | instskip(NEXT) | instid1(SALU_CYCLE_1)
	s_lshl_b64 s[4:5], s[24:25], 2
	s_add_u32 s2, s2, s4
	s_addc_u32 s3, s3, s5
	s_load_b32 s37, s[2:3], 0x0
.LBB306_3:
	s_load_b128 s[4:7], s[0:1], 0x58
	v_and_b32_e32 v3, 3, v0
	v_cmp_gt_u32_e64 s2, 64, v0
	v_lshlrev_b32_e32 v12, 2, v0
	s_ashr_i32 s3, s24, 31
	s_ashr_i32 s11, s11, 31
	s_lshl_b32 s20, s24, 7
	s_waitcnt lgkmcnt(0)
	s_and_saveexec_b32 s7, s2
	s_cbranch_execz .LBB306_5
; %bb.4:
	s_load_b64 s[16:17], s[0:1], 0x18
	s_mul_i32 s18, s14, s4
	v_and_b32_e32 v2, 0x3fc, v0
	s_ashr_i32 s19, s18, 31
	s_delay_alu instid0(SALU_CYCLE_1) | instskip(NEXT) | instid1(VALU_DEP_1)
	s_lshl_b64 s[18:19], s[18:19], 1
	v_lshl_add_u32 v2, v3, 6, v2
	s_waitcnt lgkmcnt(0)
	s_add_u32 s4, s16, s18
	s_addc_u32 s18, s17, s19
	s_ashr_i32 s21, s20, 31
	s_delay_alu instid0(SALU_CYCLE_1) | instskip(NEXT) | instid1(SALU_CYCLE_1)
	s_lshl_b64 s[16:17], s[20:21], 1
	s_add_u32 s16, s4, s16
	s_addc_u32 s17, s18, s17
	global_load_b32 v1, v12, s[16:17]
	s_waitcnt vmcnt(0)
	ds_store_b32 v2, v1
.LBB306_5:
	s_or_b32 exec_lo, exec_lo, s7
	s_add_i32 s4, s15, 7
	s_lshl_b32 s7, s12, 6
	s_ashr_i32 s16, s4, 31
	s_xor_b32 s3, s3, s11
	s_lshr_b32 s16, s16, 29
	s_add_i32 s11, s7, 64
	s_add_i32 s4, s4, s16
	v_lshrrev_b32_e32 v13, 5, v0
	s_ashr_i32 s34, s4, 3
	s_mul_i32 s4, s9, s8
	s_min_i32 s25, s11, s34
	s_clause 0x1
	s_load_b64 s[26:27], s[0:1], 0x38
	s_load_b32 s11, s[0:1], 0x48
	s_sub_i32 s4, s10, s4
	s_add_i32 s10, s9, 1
	s_sub_i32 s16, s4, s8
	s_cmp_ge_u32 s4, s8
	v_or_b32_e32 v1, s7, v13
	s_cselect_b32 s9, s10, s9
	s_cselect_b32 s4, s16, s4
	s_add_i32 s10, s9, 1
	s_cmp_ge_u32 s4, s8
	v_mbcnt_lo_u32_b32 v11, -1, 0
	s_cselect_b32 s4, s10, s9
	s_mov_b32 s8, exec_lo
	s_xor_b32 s4, s4, s3
	s_waitcnt lgkmcnt(0)
	s_sub_i32 s36, s4, s3
	v_cmp_gt_i32_e64 s3, s25, v1
	s_barrier
	buffer_gl0_inv
                                        ; implicit-def: $sgpr4
                                        ; implicit-def: $vgpr15
	s_mul_i32 s28, s14, s11
	s_delay_alu instid0(SALU_CYCLE_1)
	s_ashr_i32 s29, s28, 31
	v_cmpx_le_i32_e64 s25, v1
	s_xor_b32 s8, exec_lo, s8
; %bb.6:
	v_mbcnt_lo_u32_b32 v11, -1, 0
	v_mov_b32_e32 v15, 32
	s_mov_b32 s4, 0xff7fffff
                                        ; implicit-def: $vgpr3
; %bb.7:
	s_or_saveexec_b32 s38, s8
	s_clause 0x4
	s_load_b128 s[16:19], s[0:1], 0x0
	s_load_b64 s[22:23], s[0:1], 0x10
	s_load_b32 s21, s[0:1], 0x98
	s_load_b64 s[30:31], s[0:1], 0x28
	s_load_b128 s[8:11], s[0:1], 0x68
	v_mov_b32_e32 v14, s4
	v_ashrrev_i32_e32 v2, 31, v1
	s_mul_i32 s36, s36, s6
	s_xor_b32 exec_lo, exec_lo, s38
	s_cbranch_execz .LBB306_269
; %bb.8:
	s_load_b64 s[40:41], s[0:1], 0x20
	v_bfe_u32 v5, v0, 2, 3
	v_dual_mov_b32 v4, 0 :: v_dual_lshlrev_b32 v17, 6, v3
	v_lshlrev_b32_e32 v16, 1, v3
	v_cmp_eq_u32_e32 vcc_lo, 0, v3
	s_delay_alu instid0(VALU_DEP_4) | instskip(SKIP_3) | instid1(VALU_DEP_3)
	v_dual_mov_b32 v15, 32 :: v_dual_lshlrev_b32 v6, 2, v5
	v_dual_mov_b32 v14, 0xff7fffff :: v_dual_lshlrev_b32 v3, 3, v13
	;; [unrolled: 1-line block ×3, first 2 shown]
	s_ashr_i32 s1, s36, 31
	v_lshl_or_b32 v6, v13, 5, v6
	v_lshlrev_b64 v[7:8], 2, v[1:2]
	v_add3_u32 v18, s33, v3, v5
	v_cmp_neq_f32_e64 s0, s37, 0
	s_mov_b32 s39, 0
	v_add_nc_u32_e32 v19, 0x120, v6
	s_waitcnt lgkmcnt(0)
	s_add_u32 s4, s40, s36
	s_addc_u32 s1, s41, s1
	s_lshl_b64 s[40:41], s[28:29], 2
	v_add_co_u32 v5, s4, s4, v9
	s_sub_i32 s6, 1, s15
	v_add_co_ci_u32_e64 v6, null, s1, 0, s4
	s_add_u32 s1, s26, s40
	s_addc_u32 s4, s27, s41
	v_add_co_u32 v7, s1, s1, v7
	s_delay_alu instid0(VALU_DEP_1)
	v_add_co_ci_u32_e64 v8, s1, s4, v8, s1
	s_mov_b32 s40, s5
	s_branch .LBB306_10
.LBB306_9:                              ;   in Loop: Header=BB306_10 Depth=1
	s_or_b32 exec_lo, exec_lo, s4
	v_add_nc_u32_e32 v20, 4, v20
	v_add_co_u32 v7, s4, v7, 16
	v_add_nc_u32_e32 v18, 32, v18
	v_add_nc_u32_e32 v19, 0x80, v19
	s_delay_alu instid0(VALU_DEP_4) | instskip(SKIP_1) | instid1(VALU_DEP_2)
	v_cmp_le_i32_e64 s1, s25, v20
	v_add_co_ci_u32_e64 v8, s4, 0, v8, s4
	s_or_b32 s39, s1, s39
	s_delay_alu instid0(SALU_CYCLE_1)
	s_and_not1_b32 exec_lo, exec_lo, s39
	s_cbranch_execz .LBB306_268
.LBB306_10:                             ; =>This Inner Loop Header: Depth=1
	global_load_b32 v3, v[7:8], off
	s_waitcnt vmcnt(0) lgkmcnt(0)
	v_mad_i64_i32 v[9:10], null, v3, s40, v[5:6]
	s_delay_alu instid0(VALU_DEP_1) | instskip(NEXT) | instid1(VALU_DEP_1)
	v_add_co_u32 v9, s1, v9, v16
	v_add_co_ci_u32_e64 v10, s1, 0, v10, s1
	global_load_u16 v3, v[9:10], off
	global_load_b32 v21, v4, s[8:9]
	s_waitcnt vmcnt(1)
	v_and_b32_e32 v22, 0xff, v3
	v_and_b32_e32 v23, 0xffff, v3
	s_delay_alu instid0(VALU_DEP_2) | instskip(SKIP_1) | instid1(VALU_DEP_2)
	v_cmp_ne_u16_e64 s1, 0, v22
	v_mov_b32_e32 v22, 0
	s_and_saveexec_b32 s4, s1
	s_cbranch_execz .LBB306_18
; %bb.11:                               ;   in Loop: Header=BB306_10 Depth=1
	v_and_b32_e32 v3, 0xff, v23
	v_bfrev_b32_e32 v22, 1
	s_mov_b32 s41, exec_lo
	s_delay_alu instid0(VALU_DEP_2)
	v_cmpx_ne_u16_e32 0x80, v3
	s_cbranch_execz .LBB306_17
; %bb.12:                               ;   in Loop: Header=BB306_10 Depth=1
	v_and_b32_e32 v24, 0x7f, v23
	v_mov_b32_e32 v22, 0x7fc02000
	s_mov_b32 s42, exec_lo
	s_delay_alu instid0(VALU_DEP_2)
	v_cmpx_ne_u32_e32 0x7f, v24
	s_cbranch_execz .LBB306_16
; %bb.13:                               ;   in Loop: Header=BB306_10 Depth=1
	v_and_b32_e32 v3, 7, v23
	v_lshrrev_b32_e32 v22, 3, v24
	s_mov_b32 s43, exec_lo
	v_cmpx_gt_u32_e32 8, v24
; %bb.14:                               ;   in Loop: Header=BB306_10 Depth=1
	s_delay_alu instid0(VALU_DEP_3) | instskip(NEXT) | instid1(VALU_DEP_1)
	v_clz_i32_u32_e32 v22, v3
	v_min_u32_e32 v22, 32, v22
	s_delay_alu instid0(VALU_DEP_1) | instskip(SKIP_1) | instid1(VALU_DEP_2)
	v_subrev_nc_u32_e32 v24, 28, v22
	v_sub_nc_u32_e32 v22, 29, v22
	v_lshlrev_b64 v[24:25], v24, v[3:4]
	s_delay_alu instid0(VALU_DEP_1)
	v_and_b32_e32 v3, 7, v24
; %bb.15:                               ;   in Loop: Header=BB306_10 Depth=1
	s_or_b32 exec_lo, exec_lo, s43
	v_lshlrev_b32_e32 v24, 8, v23
	v_lshl_add_u32 v22, v22, 10, 0x2000
	s_delay_alu instid0(VALU_DEP_1) | instskip(NEXT) | instid1(VALU_DEP_1)
	v_and_or_b32 v22, 0x8000, v24, v22
	v_lshl_or_b32 v3, v3, 7, v22
	s_delay_alu instid0(VALU_DEP_1)
	v_cvt_f32_f16_e32 v22, v3
.LBB306_16:                             ;   in Loop: Header=BB306_10 Depth=1
	s_or_b32 exec_lo, exec_lo, s42
.LBB306_17:                             ;   in Loop: Header=BB306_10 Depth=1
	s_delay_alu instid0(SALU_CYCLE_1)
	s_or_b32 exec_lo, exec_lo, s41
.LBB306_18:                             ;   in Loop: Header=BB306_10 Depth=1
	s_delay_alu instid0(SALU_CYCLE_1) | instskip(SKIP_3) | instid1(VALU_DEP_2)
	s_or_b32 exec_lo, exec_lo, s4
	v_lshrrev_b16 v3, 8, v23
	v_dual_mov_b32 v23, 0 :: v_dual_mov_b32 v24, 0
	s_mov_b32 s4, exec_lo
	v_cmpx_ne_u16_e32 0, v3
	s_cbranch_execz .LBB306_26
; %bb.19:                               ;   in Loop: Header=BB306_10 Depth=1
	v_bfrev_b32_e32 v24, 1
	s_mov_b32 s41, exec_lo
	v_cmpx_ne_u16_e32 0x80, v3
	s_cbranch_execz .LBB306_25
; %bb.20:                               ;   in Loop: Header=BB306_10 Depth=1
	v_and_b32_e32 v25, 0xffff, v3
	v_mov_b32_e32 v24, 0x7fc02000
	s_mov_b32 s42, exec_lo
	s_delay_alu instid0(VALU_DEP_2) | instskip(NEXT) | instid1(VALU_DEP_1)
	v_and_b32_e32 v26, 0x7f, v25
	v_cmpx_ne_u32_e32 0x7f, v26
	s_cbranch_execz .LBB306_24
; %bb.21:                               ;   in Loop: Header=BB306_10 Depth=1
	v_and_b32_e32 v3, 7, v25
	v_lshrrev_b32_e32 v24, 3, v26
	s_mov_b32 s43, exec_lo
	v_cmpx_gt_u32_e32 8, v26
; %bb.22:                               ;   in Loop: Header=BB306_10 Depth=1
	s_delay_alu instid0(VALU_DEP_3) | instskip(NEXT) | instid1(VALU_DEP_1)
	v_clz_i32_u32_e32 v24, v3
	v_min_u32_e32 v24, 32, v24
	s_delay_alu instid0(VALU_DEP_1) | instskip(SKIP_1) | instid1(VALU_DEP_2)
	v_subrev_nc_u32_e32 v26, 28, v24
	v_sub_nc_u32_e32 v24, 29, v24
	v_lshlrev_b64 v[26:27], v26, v[3:4]
	s_delay_alu instid0(VALU_DEP_1)
	v_and_b32_e32 v3, 7, v26
; %bb.23:                               ;   in Loop: Header=BB306_10 Depth=1
	s_or_b32 exec_lo, exec_lo, s43
	v_lshlrev_b32_e32 v25, 8, v25
	v_lshl_add_u32 v24, v24, 10, 0x2000
	s_delay_alu instid0(VALU_DEP_1) | instskip(NEXT) | instid1(VALU_DEP_1)
	v_and_or_b32 v24, 0x8000, v25, v24
	v_lshl_or_b32 v3, v3, 7, v24
	s_delay_alu instid0(VALU_DEP_1)
	v_cvt_f32_f16_e32 v24, v3
.LBB306_24:                             ;   in Loop: Header=BB306_10 Depth=1
	s_or_b32 exec_lo, exec_lo, s42
.LBB306_25:                             ;   in Loop: Header=BB306_10 Depth=1
	s_delay_alu instid0(SALU_CYCLE_1)
	s_or_b32 exec_lo, exec_lo, s41
.LBB306_26:                             ;   in Loop: Header=BB306_10 Depth=1
	s_delay_alu instid0(SALU_CYCLE_1)
	s_or_b32 exec_lo, exec_lo, s4
	global_load_u16 v3, v[9:10], off offset:8
	s_mov_b32 s4, exec_lo
	s_waitcnt vmcnt(0)
	v_and_b32_e32 v26, 0xff, v3
	v_and_b32_e32 v25, 0xffff, v3
	s_delay_alu instid0(VALU_DEP_2)
	v_cmpx_ne_u16_e32 0, v26
	s_cbranch_execz .LBB306_34
; %bb.27:                               ;   in Loop: Header=BB306_10 Depth=1
	s_delay_alu instid0(VALU_DEP_2) | instskip(SKIP_2) | instid1(VALU_DEP_2)
	v_and_b32_e32 v3, 0xff, v25
	v_bfrev_b32_e32 v23, 1
	s_mov_b32 s41, exec_lo
	v_cmpx_ne_u16_e32 0x80, v3
	s_cbranch_execz .LBB306_33
; %bb.28:                               ;   in Loop: Header=BB306_10 Depth=1
	v_and_b32_e32 v26, 0x7f, v25
	v_mov_b32_e32 v23, 0x7fc02000
	s_mov_b32 s42, exec_lo
	s_delay_alu instid0(VALU_DEP_2)
	v_cmpx_ne_u32_e32 0x7f, v26
	s_cbranch_execz .LBB306_32
; %bb.29:                               ;   in Loop: Header=BB306_10 Depth=1
	v_and_b32_e32 v3, 7, v25
	v_lshrrev_b32_e32 v23, 3, v26
	s_mov_b32 s43, exec_lo
	v_cmpx_gt_u32_e32 8, v26
; %bb.30:                               ;   in Loop: Header=BB306_10 Depth=1
	s_delay_alu instid0(VALU_DEP_3) | instskip(NEXT) | instid1(VALU_DEP_1)
	v_clz_i32_u32_e32 v23, v3
	v_min_u32_e32 v23, 32, v23
	s_delay_alu instid0(VALU_DEP_1) | instskip(SKIP_1) | instid1(VALU_DEP_2)
	v_subrev_nc_u32_e32 v26, 28, v23
	v_sub_nc_u32_e32 v23, 29, v23
	v_lshlrev_b64 v[26:27], v26, v[3:4]
	s_delay_alu instid0(VALU_DEP_1)
	v_and_b32_e32 v3, 7, v26
; %bb.31:                               ;   in Loop: Header=BB306_10 Depth=1
	s_or_b32 exec_lo, exec_lo, s43
	v_lshlrev_b32_e32 v26, 8, v25
	v_lshl_add_u32 v23, v23, 10, 0x2000
	s_delay_alu instid0(VALU_DEP_1) | instskip(NEXT) | instid1(VALU_DEP_1)
	v_and_or_b32 v23, 0x8000, v26, v23
	v_lshl_or_b32 v3, v3, 7, v23
	s_delay_alu instid0(VALU_DEP_1)
	v_cvt_f32_f16_e32 v23, v3
.LBB306_32:                             ;   in Loop: Header=BB306_10 Depth=1
	s_or_b32 exec_lo, exec_lo, s42
.LBB306_33:                             ;   in Loop: Header=BB306_10 Depth=1
	s_delay_alu instid0(SALU_CYCLE_1)
	s_or_b32 exec_lo, exec_lo, s41
.LBB306_34:                             ;   in Loop: Header=BB306_10 Depth=1
	s_delay_alu instid0(SALU_CYCLE_1) | instskip(NEXT) | instid1(VALU_DEP_2)
	s_or_b32 exec_lo, exec_lo, s4
	v_lshrrev_b16 v3, 8, v25
	v_dual_mov_b32 v25, 0 :: v_dual_mov_b32 v26, 0
	s_mov_b32 s4, exec_lo
	s_delay_alu instid0(VALU_DEP_2)
	v_cmpx_ne_u16_e32 0, v3
	s_cbranch_execz .LBB306_42
; %bb.35:                               ;   in Loop: Header=BB306_10 Depth=1
	v_bfrev_b32_e32 v26, 1
	s_mov_b32 s41, exec_lo
	v_cmpx_ne_u16_e32 0x80, v3
	s_cbranch_execz .LBB306_41
; %bb.36:                               ;   in Loop: Header=BB306_10 Depth=1
	v_and_b32_e32 v27, 0xffff, v3
	v_mov_b32_e32 v26, 0x7fc02000
	s_mov_b32 s42, exec_lo
	s_delay_alu instid0(VALU_DEP_2) | instskip(NEXT) | instid1(VALU_DEP_1)
	v_and_b32_e32 v28, 0x7f, v27
	v_cmpx_ne_u32_e32 0x7f, v28
	s_cbranch_execz .LBB306_40
; %bb.37:                               ;   in Loop: Header=BB306_10 Depth=1
	v_and_b32_e32 v3, 7, v27
	v_lshrrev_b32_e32 v26, 3, v28
	s_mov_b32 s43, exec_lo
	v_cmpx_gt_u32_e32 8, v28
; %bb.38:                               ;   in Loop: Header=BB306_10 Depth=1
	s_delay_alu instid0(VALU_DEP_3) | instskip(NEXT) | instid1(VALU_DEP_1)
	v_clz_i32_u32_e32 v26, v3
	v_min_u32_e32 v26, 32, v26
	s_delay_alu instid0(VALU_DEP_1) | instskip(SKIP_1) | instid1(VALU_DEP_2)
	v_subrev_nc_u32_e32 v28, 28, v26
	v_sub_nc_u32_e32 v26, 29, v26
	v_lshlrev_b64 v[28:29], v28, v[3:4]
	s_delay_alu instid0(VALU_DEP_1)
	v_and_b32_e32 v3, 7, v28
; %bb.39:                               ;   in Loop: Header=BB306_10 Depth=1
	s_or_b32 exec_lo, exec_lo, s43
	v_lshlrev_b32_e32 v27, 8, v27
	v_lshl_add_u32 v26, v26, 10, 0x2000
	s_delay_alu instid0(VALU_DEP_1) | instskip(NEXT) | instid1(VALU_DEP_1)
	v_and_or_b32 v26, 0x8000, v27, v26
	v_lshl_or_b32 v3, v3, 7, v26
	s_delay_alu instid0(VALU_DEP_1)
	v_cvt_f32_f16_e32 v26, v3
.LBB306_40:                             ;   in Loop: Header=BB306_10 Depth=1
	s_or_b32 exec_lo, exec_lo, s42
.LBB306_41:                             ;   in Loop: Header=BB306_10 Depth=1
	s_delay_alu instid0(SALU_CYCLE_1)
	s_or_b32 exec_lo, exec_lo, s41
.LBB306_42:                             ;   in Loop: Header=BB306_10 Depth=1
	s_delay_alu instid0(SALU_CYCLE_1)
	s_or_b32 exec_lo, exec_lo, s4
	global_load_u16 v3, v[9:10], off offset:128
	s_mov_b32 s4, exec_lo
	s_waitcnt vmcnt(0)
	v_and_b32_e32 v28, 0xff, v3
	v_and_b32_e32 v27, 0xffff, v3
	s_delay_alu instid0(VALU_DEP_2)
	v_cmpx_ne_u16_e32 0, v28
	s_cbranch_execz .LBB306_50
; %bb.43:                               ;   in Loop: Header=BB306_10 Depth=1
	s_delay_alu instid0(VALU_DEP_2) | instskip(SKIP_2) | instid1(VALU_DEP_2)
	v_and_b32_e32 v3, 0xff, v27
	v_bfrev_b32_e32 v25, 1
	s_mov_b32 s41, exec_lo
	v_cmpx_ne_u16_e32 0x80, v3
	s_cbranch_execz .LBB306_49
; %bb.44:                               ;   in Loop: Header=BB306_10 Depth=1
	v_and_b32_e32 v28, 0x7f, v27
	v_mov_b32_e32 v25, 0x7fc02000
	s_mov_b32 s42, exec_lo
	s_delay_alu instid0(VALU_DEP_2)
	v_cmpx_ne_u32_e32 0x7f, v28
	s_cbranch_execz .LBB306_48
; %bb.45:                               ;   in Loop: Header=BB306_10 Depth=1
	v_and_b32_e32 v3, 7, v27
	v_lshrrev_b32_e32 v25, 3, v28
	s_mov_b32 s43, exec_lo
	v_cmpx_gt_u32_e32 8, v28
; %bb.46:                               ;   in Loop: Header=BB306_10 Depth=1
	s_delay_alu instid0(VALU_DEP_3) | instskip(NEXT) | instid1(VALU_DEP_1)
	v_clz_i32_u32_e32 v25, v3
	v_min_u32_e32 v25, 32, v25
	s_delay_alu instid0(VALU_DEP_1) | instskip(SKIP_1) | instid1(VALU_DEP_2)
	v_subrev_nc_u32_e32 v28, 28, v25
	v_sub_nc_u32_e32 v25, 29, v25
	v_lshlrev_b64 v[28:29], v28, v[3:4]
	s_delay_alu instid0(VALU_DEP_1)
	v_and_b32_e32 v3, 7, v28
; %bb.47:                               ;   in Loop: Header=BB306_10 Depth=1
	s_or_b32 exec_lo, exec_lo, s43
	v_lshlrev_b32_e32 v28, 8, v27
	v_lshl_add_u32 v25, v25, 10, 0x2000
	s_delay_alu instid0(VALU_DEP_1) | instskip(NEXT) | instid1(VALU_DEP_1)
	v_and_or_b32 v25, 0x8000, v28, v25
	v_lshl_or_b32 v3, v3, 7, v25
	s_delay_alu instid0(VALU_DEP_1)
	v_cvt_f32_f16_e32 v25, v3
.LBB306_48:                             ;   in Loop: Header=BB306_10 Depth=1
	s_or_b32 exec_lo, exec_lo, s42
.LBB306_49:                             ;   in Loop: Header=BB306_10 Depth=1
	s_delay_alu instid0(SALU_CYCLE_1)
	s_or_b32 exec_lo, exec_lo, s41
.LBB306_50:                             ;   in Loop: Header=BB306_10 Depth=1
	s_delay_alu instid0(SALU_CYCLE_1) | instskip(NEXT) | instid1(VALU_DEP_2)
	s_or_b32 exec_lo, exec_lo, s4
	v_lshrrev_b16 v3, 8, v27
	v_dual_mov_b32 v27, 0 :: v_dual_mov_b32 v28, 0
	s_mov_b32 s4, exec_lo
	s_delay_alu instid0(VALU_DEP_2)
	v_cmpx_ne_u16_e32 0, v3
	s_cbranch_execz .LBB306_58
; %bb.51:                               ;   in Loop: Header=BB306_10 Depth=1
	v_bfrev_b32_e32 v28, 1
	s_mov_b32 s41, exec_lo
	v_cmpx_ne_u16_e32 0x80, v3
	s_cbranch_execz .LBB306_57
; %bb.52:                               ;   in Loop: Header=BB306_10 Depth=1
	v_and_b32_e32 v29, 0xffff, v3
	v_mov_b32_e32 v28, 0x7fc02000
	s_mov_b32 s42, exec_lo
	s_delay_alu instid0(VALU_DEP_2) | instskip(NEXT) | instid1(VALU_DEP_1)
	v_and_b32_e32 v30, 0x7f, v29
	v_cmpx_ne_u32_e32 0x7f, v30
	s_cbranch_execz .LBB306_56
; %bb.53:                               ;   in Loop: Header=BB306_10 Depth=1
	v_and_b32_e32 v3, 7, v29
	v_lshrrev_b32_e32 v28, 3, v30
	s_mov_b32 s43, exec_lo
	v_cmpx_gt_u32_e32 8, v30
; %bb.54:                               ;   in Loop: Header=BB306_10 Depth=1
	s_delay_alu instid0(VALU_DEP_3) | instskip(NEXT) | instid1(VALU_DEP_1)
	v_clz_i32_u32_e32 v28, v3
	v_min_u32_e32 v28, 32, v28
	s_delay_alu instid0(VALU_DEP_1) | instskip(SKIP_1) | instid1(VALU_DEP_2)
	v_subrev_nc_u32_e32 v30, 28, v28
	v_sub_nc_u32_e32 v28, 29, v28
	v_lshlrev_b64 v[30:31], v30, v[3:4]
	s_delay_alu instid0(VALU_DEP_1)
	v_and_b32_e32 v3, 7, v30
; %bb.55:                               ;   in Loop: Header=BB306_10 Depth=1
	s_or_b32 exec_lo, exec_lo, s43
	v_lshlrev_b32_e32 v29, 8, v29
	v_lshl_add_u32 v28, v28, 10, 0x2000
	s_delay_alu instid0(VALU_DEP_1) | instskip(NEXT) | instid1(VALU_DEP_1)
	v_and_or_b32 v28, 0x8000, v29, v28
	v_lshl_or_b32 v3, v3, 7, v28
	s_delay_alu instid0(VALU_DEP_1)
	v_cvt_f32_f16_e32 v28, v3
.LBB306_56:                             ;   in Loop: Header=BB306_10 Depth=1
	s_or_b32 exec_lo, exec_lo, s42
.LBB306_57:                             ;   in Loop: Header=BB306_10 Depth=1
	s_delay_alu instid0(SALU_CYCLE_1)
	s_or_b32 exec_lo, exec_lo, s41
.LBB306_58:                             ;   in Loop: Header=BB306_10 Depth=1
	s_delay_alu instid0(SALU_CYCLE_1)
	s_or_b32 exec_lo, exec_lo, s4
	global_load_u16 v3, v[9:10], off offset:136
	s_mov_b32 s4, exec_lo
	s_waitcnt vmcnt(0)
	v_and_b32_e32 v30, 0xff, v3
	v_and_b32_e32 v29, 0xffff, v3
	s_delay_alu instid0(VALU_DEP_2)
	v_cmpx_ne_u16_e32 0, v30
	s_cbranch_execz .LBB306_66
; %bb.59:                               ;   in Loop: Header=BB306_10 Depth=1
	s_delay_alu instid0(VALU_DEP_2) | instskip(SKIP_2) | instid1(VALU_DEP_2)
	v_and_b32_e32 v3, 0xff, v29
	v_bfrev_b32_e32 v27, 1
	s_mov_b32 s41, exec_lo
	v_cmpx_ne_u16_e32 0x80, v3
	s_cbranch_execz .LBB306_65
; %bb.60:                               ;   in Loop: Header=BB306_10 Depth=1
	v_and_b32_e32 v30, 0x7f, v29
	v_mov_b32_e32 v27, 0x7fc02000
	s_mov_b32 s42, exec_lo
	s_delay_alu instid0(VALU_DEP_2)
	v_cmpx_ne_u32_e32 0x7f, v30
	s_cbranch_execz .LBB306_64
; %bb.61:                               ;   in Loop: Header=BB306_10 Depth=1
	v_and_b32_e32 v3, 7, v29
	v_lshrrev_b32_e32 v27, 3, v30
	s_mov_b32 s43, exec_lo
	v_cmpx_gt_u32_e32 8, v30
; %bb.62:                               ;   in Loop: Header=BB306_10 Depth=1
	s_delay_alu instid0(VALU_DEP_3) | instskip(NEXT) | instid1(VALU_DEP_1)
	v_clz_i32_u32_e32 v27, v3
	v_min_u32_e32 v27, 32, v27
	s_delay_alu instid0(VALU_DEP_1) | instskip(SKIP_1) | instid1(VALU_DEP_2)
	v_subrev_nc_u32_e32 v30, 28, v27
	v_sub_nc_u32_e32 v27, 29, v27
	v_lshlrev_b64 v[30:31], v30, v[3:4]
	s_delay_alu instid0(VALU_DEP_1)
	v_and_b32_e32 v3, 7, v30
; %bb.63:                               ;   in Loop: Header=BB306_10 Depth=1
	s_or_b32 exec_lo, exec_lo, s43
	v_lshlrev_b32_e32 v30, 8, v29
	v_lshl_add_u32 v27, v27, 10, 0x2000
	s_delay_alu instid0(VALU_DEP_1) | instskip(NEXT) | instid1(VALU_DEP_1)
	v_and_or_b32 v27, 0x8000, v30, v27
	v_lshl_or_b32 v3, v3, 7, v27
	s_delay_alu instid0(VALU_DEP_1)
	v_cvt_f32_f16_e32 v27, v3
.LBB306_64:                             ;   in Loop: Header=BB306_10 Depth=1
	s_or_b32 exec_lo, exec_lo, s42
.LBB306_65:                             ;   in Loop: Header=BB306_10 Depth=1
	s_delay_alu instid0(SALU_CYCLE_1)
	s_or_b32 exec_lo, exec_lo, s41
.LBB306_66:                             ;   in Loop: Header=BB306_10 Depth=1
	s_delay_alu instid0(SALU_CYCLE_1) | instskip(NEXT) | instid1(VALU_DEP_2)
	s_or_b32 exec_lo, exec_lo, s4
	v_lshrrev_b16 v3, 8, v29
	v_dual_mov_b32 v29, 0 :: v_dual_mov_b32 v30, 0
	s_mov_b32 s4, exec_lo
	s_delay_alu instid0(VALU_DEP_2)
	v_cmpx_ne_u16_e32 0, v3
	s_cbranch_execz .LBB306_74
; %bb.67:                               ;   in Loop: Header=BB306_10 Depth=1
	v_bfrev_b32_e32 v30, 1
	s_mov_b32 s41, exec_lo
	v_cmpx_ne_u16_e32 0x80, v3
	s_cbranch_execz .LBB306_73
; %bb.68:                               ;   in Loop: Header=BB306_10 Depth=1
	v_and_b32_e32 v31, 0xffff, v3
	v_mov_b32_e32 v30, 0x7fc02000
	s_mov_b32 s42, exec_lo
	s_delay_alu instid0(VALU_DEP_2) | instskip(NEXT) | instid1(VALU_DEP_1)
	v_and_b32_e32 v32, 0x7f, v31
	v_cmpx_ne_u32_e32 0x7f, v32
	s_cbranch_execz .LBB306_72
; %bb.69:                               ;   in Loop: Header=BB306_10 Depth=1
	v_and_b32_e32 v3, 7, v31
	v_lshrrev_b32_e32 v30, 3, v32
	s_mov_b32 s43, exec_lo
	v_cmpx_gt_u32_e32 8, v32
; %bb.70:                               ;   in Loop: Header=BB306_10 Depth=1
	s_delay_alu instid0(VALU_DEP_3) | instskip(NEXT) | instid1(VALU_DEP_1)
	v_clz_i32_u32_e32 v30, v3
	v_min_u32_e32 v30, 32, v30
	s_delay_alu instid0(VALU_DEP_1) | instskip(SKIP_1) | instid1(VALU_DEP_2)
	v_subrev_nc_u32_e32 v32, 28, v30
	v_sub_nc_u32_e32 v30, 29, v30
	v_lshlrev_b64 v[32:33], v32, v[3:4]
	s_delay_alu instid0(VALU_DEP_1)
	v_and_b32_e32 v3, 7, v32
; %bb.71:                               ;   in Loop: Header=BB306_10 Depth=1
	s_or_b32 exec_lo, exec_lo, s43
	v_lshlrev_b32_e32 v31, 8, v31
	v_lshl_add_u32 v30, v30, 10, 0x2000
	s_delay_alu instid0(VALU_DEP_1) | instskip(NEXT) | instid1(VALU_DEP_1)
	v_and_or_b32 v30, 0x8000, v31, v30
	v_lshl_or_b32 v3, v3, 7, v30
	s_delay_alu instid0(VALU_DEP_1)
	v_cvt_f32_f16_e32 v30, v3
.LBB306_72:                             ;   in Loop: Header=BB306_10 Depth=1
	s_or_b32 exec_lo, exec_lo, s42
.LBB306_73:                             ;   in Loop: Header=BB306_10 Depth=1
	s_delay_alu instid0(SALU_CYCLE_1)
	s_or_b32 exec_lo, exec_lo, s41
.LBB306_74:                             ;   in Loop: Header=BB306_10 Depth=1
	s_delay_alu instid0(SALU_CYCLE_1)
	s_or_b32 exec_lo, exec_lo, s4
	global_load_u16 v3, v[9:10], off offset:256
	s_mov_b32 s4, exec_lo
	s_waitcnt vmcnt(0)
	v_and_b32_e32 v32, 0xff, v3
	v_and_b32_e32 v31, 0xffff, v3
	s_delay_alu instid0(VALU_DEP_2)
	v_cmpx_ne_u16_e32 0, v32
	s_cbranch_execz .LBB306_82
; %bb.75:                               ;   in Loop: Header=BB306_10 Depth=1
	s_delay_alu instid0(VALU_DEP_2) | instskip(SKIP_2) | instid1(VALU_DEP_2)
	v_and_b32_e32 v3, 0xff, v31
	v_bfrev_b32_e32 v29, 1
	s_mov_b32 s41, exec_lo
	v_cmpx_ne_u16_e32 0x80, v3
	s_cbranch_execz .LBB306_81
; %bb.76:                               ;   in Loop: Header=BB306_10 Depth=1
	v_and_b32_e32 v32, 0x7f, v31
	v_mov_b32_e32 v29, 0x7fc02000
	s_mov_b32 s42, exec_lo
	s_delay_alu instid0(VALU_DEP_2)
	v_cmpx_ne_u32_e32 0x7f, v32
	s_cbranch_execz .LBB306_80
; %bb.77:                               ;   in Loop: Header=BB306_10 Depth=1
	v_and_b32_e32 v3, 7, v31
	v_lshrrev_b32_e32 v29, 3, v32
	s_mov_b32 s43, exec_lo
	v_cmpx_gt_u32_e32 8, v32
; %bb.78:                               ;   in Loop: Header=BB306_10 Depth=1
	s_delay_alu instid0(VALU_DEP_3) | instskip(NEXT) | instid1(VALU_DEP_1)
	v_clz_i32_u32_e32 v29, v3
	v_min_u32_e32 v29, 32, v29
	s_delay_alu instid0(VALU_DEP_1) | instskip(SKIP_1) | instid1(VALU_DEP_2)
	v_subrev_nc_u32_e32 v32, 28, v29
	v_sub_nc_u32_e32 v29, 29, v29
	v_lshlrev_b64 v[32:33], v32, v[3:4]
	s_delay_alu instid0(VALU_DEP_1)
	v_and_b32_e32 v3, 7, v32
; %bb.79:                               ;   in Loop: Header=BB306_10 Depth=1
	s_or_b32 exec_lo, exec_lo, s43
	v_lshlrev_b32_e32 v32, 8, v31
	v_lshl_add_u32 v29, v29, 10, 0x2000
	s_delay_alu instid0(VALU_DEP_1) | instskip(NEXT) | instid1(VALU_DEP_1)
	v_and_or_b32 v29, 0x8000, v32, v29
	v_lshl_or_b32 v3, v3, 7, v29
	s_delay_alu instid0(VALU_DEP_1)
	v_cvt_f32_f16_e32 v29, v3
.LBB306_80:                             ;   in Loop: Header=BB306_10 Depth=1
	s_or_b32 exec_lo, exec_lo, s42
.LBB306_81:                             ;   in Loop: Header=BB306_10 Depth=1
	s_delay_alu instid0(SALU_CYCLE_1)
	s_or_b32 exec_lo, exec_lo, s41
.LBB306_82:                             ;   in Loop: Header=BB306_10 Depth=1
	s_delay_alu instid0(SALU_CYCLE_1) | instskip(NEXT) | instid1(VALU_DEP_2)
	s_or_b32 exec_lo, exec_lo, s4
	v_lshrrev_b16 v3, 8, v31
	v_dual_mov_b32 v31, 0 :: v_dual_mov_b32 v32, 0
	s_mov_b32 s4, exec_lo
	s_delay_alu instid0(VALU_DEP_2)
	v_cmpx_ne_u16_e32 0, v3
	s_cbranch_execz .LBB306_90
; %bb.83:                               ;   in Loop: Header=BB306_10 Depth=1
	v_bfrev_b32_e32 v32, 1
	s_mov_b32 s41, exec_lo
	v_cmpx_ne_u16_e32 0x80, v3
	s_cbranch_execz .LBB306_89
; %bb.84:                               ;   in Loop: Header=BB306_10 Depth=1
	v_and_b32_e32 v33, 0xffff, v3
	v_mov_b32_e32 v32, 0x7fc02000
	s_mov_b32 s42, exec_lo
	s_delay_alu instid0(VALU_DEP_2) | instskip(NEXT) | instid1(VALU_DEP_1)
	v_and_b32_e32 v34, 0x7f, v33
	v_cmpx_ne_u32_e32 0x7f, v34
	s_cbranch_execz .LBB306_88
; %bb.85:                               ;   in Loop: Header=BB306_10 Depth=1
	v_and_b32_e32 v3, 7, v33
	v_lshrrev_b32_e32 v32, 3, v34
	s_mov_b32 s43, exec_lo
	v_cmpx_gt_u32_e32 8, v34
; %bb.86:                               ;   in Loop: Header=BB306_10 Depth=1
	s_delay_alu instid0(VALU_DEP_3) | instskip(NEXT) | instid1(VALU_DEP_1)
	v_clz_i32_u32_e32 v32, v3
	v_min_u32_e32 v32, 32, v32
	s_delay_alu instid0(VALU_DEP_1) | instskip(SKIP_1) | instid1(VALU_DEP_2)
	v_subrev_nc_u32_e32 v34, 28, v32
	v_sub_nc_u32_e32 v32, 29, v32
	v_lshlrev_b64 v[34:35], v34, v[3:4]
	s_delay_alu instid0(VALU_DEP_1)
	v_and_b32_e32 v3, 7, v34
; %bb.87:                               ;   in Loop: Header=BB306_10 Depth=1
	s_or_b32 exec_lo, exec_lo, s43
	v_lshlrev_b32_e32 v33, 8, v33
	v_lshl_add_u32 v32, v32, 10, 0x2000
	s_delay_alu instid0(VALU_DEP_1) | instskip(NEXT) | instid1(VALU_DEP_1)
	v_and_or_b32 v32, 0x8000, v33, v32
	v_lshl_or_b32 v3, v3, 7, v32
	s_delay_alu instid0(VALU_DEP_1)
	v_cvt_f32_f16_e32 v32, v3
.LBB306_88:                             ;   in Loop: Header=BB306_10 Depth=1
	s_or_b32 exec_lo, exec_lo, s42
.LBB306_89:                             ;   in Loop: Header=BB306_10 Depth=1
	s_delay_alu instid0(SALU_CYCLE_1)
	s_or_b32 exec_lo, exec_lo, s41
.LBB306_90:                             ;   in Loop: Header=BB306_10 Depth=1
	s_delay_alu instid0(SALU_CYCLE_1)
	s_or_b32 exec_lo, exec_lo, s4
	global_load_u16 v3, v[9:10], off offset:264
	s_mov_b32 s4, exec_lo
	s_waitcnt vmcnt(0)
	v_and_b32_e32 v34, 0xff, v3
	v_and_b32_e32 v33, 0xffff, v3
	s_delay_alu instid0(VALU_DEP_2)
	v_cmpx_ne_u16_e32 0, v34
	s_cbranch_execz .LBB306_98
; %bb.91:                               ;   in Loop: Header=BB306_10 Depth=1
	s_delay_alu instid0(VALU_DEP_2) | instskip(SKIP_2) | instid1(VALU_DEP_2)
	v_and_b32_e32 v3, 0xff, v33
	v_bfrev_b32_e32 v31, 1
	s_mov_b32 s41, exec_lo
	v_cmpx_ne_u16_e32 0x80, v3
	s_cbranch_execz .LBB306_97
; %bb.92:                               ;   in Loop: Header=BB306_10 Depth=1
	v_and_b32_e32 v34, 0x7f, v33
	v_mov_b32_e32 v31, 0x7fc02000
	s_mov_b32 s42, exec_lo
	s_delay_alu instid0(VALU_DEP_2)
	v_cmpx_ne_u32_e32 0x7f, v34
	s_cbranch_execz .LBB306_96
; %bb.93:                               ;   in Loop: Header=BB306_10 Depth=1
	v_and_b32_e32 v3, 7, v33
	v_lshrrev_b32_e32 v31, 3, v34
	s_mov_b32 s43, exec_lo
	v_cmpx_gt_u32_e32 8, v34
; %bb.94:                               ;   in Loop: Header=BB306_10 Depth=1
	s_delay_alu instid0(VALU_DEP_3) | instskip(NEXT) | instid1(VALU_DEP_1)
	v_clz_i32_u32_e32 v31, v3
	v_min_u32_e32 v31, 32, v31
	s_delay_alu instid0(VALU_DEP_1) | instskip(SKIP_1) | instid1(VALU_DEP_2)
	v_subrev_nc_u32_e32 v34, 28, v31
	v_sub_nc_u32_e32 v31, 29, v31
	v_lshlrev_b64 v[34:35], v34, v[3:4]
	s_delay_alu instid0(VALU_DEP_1)
	v_and_b32_e32 v3, 7, v34
; %bb.95:                               ;   in Loop: Header=BB306_10 Depth=1
	s_or_b32 exec_lo, exec_lo, s43
	v_lshlrev_b32_e32 v34, 8, v33
	v_lshl_add_u32 v31, v31, 10, 0x2000
	s_delay_alu instid0(VALU_DEP_1) | instskip(NEXT) | instid1(VALU_DEP_1)
	v_and_or_b32 v31, 0x8000, v34, v31
	v_lshl_or_b32 v3, v3, 7, v31
	s_delay_alu instid0(VALU_DEP_1)
	v_cvt_f32_f16_e32 v31, v3
.LBB306_96:                             ;   in Loop: Header=BB306_10 Depth=1
	s_or_b32 exec_lo, exec_lo, s42
.LBB306_97:                             ;   in Loop: Header=BB306_10 Depth=1
	s_delay_alu instid0(SALU_CYCLE_1)
	s_or_b32 exec_lo, exec_lo, s41
.LBB306_98:                             ;   in Loop: Header=BB306_10 Depth=1
	s_delay_alu instid0(SALU_CYCLE_1) | instskip(NEXT) | instid1(VALU_DEP_2)
	s_or_b32 exec_lo, exec_lo, s4
	v_lshrrev_b16 v3, 8, v33
	v_dual_mov_b32 v33, 0 :: v_dual_mov_b32 v34, 0
	s_mov_b32 s4, exec_lo
	s_delay_alu instid0(VALU_DEP_2)
	v_cmpx_ne_u16_e32 0, v3
	s_cbranch_execz .LBB306_106
; %bb.99:                               ;   in Loop: Header=BB306_10 Depth=1
	v_bfrev_b32_e32 v34, 1
	s_mov_b32 s41, exec_lo
	v_cmpx_ne_u16_e32 0x80, v3
	s_cbranch_execz .LBB306_105
; %bb.100:                              ;   in Loop: Header=BB306_10 Depth=1
	v_and_b32_e32 v35, 0xffff, v3
	v_mov_b32_e32 v34, 0x7fc02000
	s_mov_b32 s42, exec_lo
	s_delay_alu instid0(VALU_DEP_2) | instskip(NEXT) | instid1(VALU_DEP_1)
	v_and_b32_e32 v36, 0x7f, v35
	v_cmpx_ne_u32_e32 0x7f, v36
	s_cbranch_execz .LBB306_104
; %bb.101:                              ;   in Loop: Header=BB306_10 Depth=1
	v_and_b32_e32 v3, 7, v35
	v_lshrrev_b32_e32 v34, 3, v36
	s_mov_b32 s43, exec_lo
	v_cmpx_gt_u32_e32 8, v36
; %bb.102:                              ;   in Loop: Header=BB306_10 Depth=1
	s_delay_alu instid0(VALU_DEP_3) | instskip(NEXT) | instid1(VALU_DEP_1)
	v_clz_i32_u32_e32 v34, v3
	v_min_u32_e32 v34, 32, v34
	s_delay_alu instid0(VALU_DEP_1) | instskip(SKIP_1) | instid1(VALU_DEP_2)
	v_subrev_nc_u32_e32 v36, 28, v34
	v_sub_nc_u32_e32 v34, 29, v34
	v_lshlrev_b64 v[36:37], v36, v[3:4]
	s_delay_alu instid0(VALU_DEP_1)
	v_and_b32_e32 v3, 7, v36
; %bb.103:                              ;   in Loop: Header=BB306_10 Depth=1
	s_or_b32 exec_lo, exec_lo, s43
	v_lshlrev_b32_e32 v35, 8, v35
	v_lshl_add_u32 v34, v34, 10, 0x2000
	s_delay_alu instid0(VALU_DEP_1) | instskip(NEXT) | instid1(VALU_DEP_1)
	v_and_or_b32 v34, 0x8000, v35, v34
	v_lshl_or_b32 v3, v3, 7, v34
	s_delay_alu instid0(VALU_DEP_1)
	v_cvt_f32_f16_e32 v34, v3
.LBB306_104:                            ;   in Loop: Header=BB306_10 Depth=1
	s_or_b32 exec_lo, exec_lo, s42
.LBB306_105:                            ;   in Loop: Header=BB306_10 Depth=1
	s_delay_alu instid0(SALU_CYCLE_1)
	s_or_b32 exec_lo, exec_lo, s41
.LBB306_106:                            ;   in Loop: Header=BB306_10 Depth=1
	s_delay_alu instid0(SALU_CYCLE_1)
	s_or_b32 exec_lo, exec_lo, s4
	global_load_u16 v3, v[9:10], off offset:384
	s_mov_b32 s4, exec_lo
	s_waitcnt vmcnt(0)
	v_and_b32_e32 v36, 0xff, v3
	v_and_b32_e32 v35, 0xffff, v3
	s_delay_alu instid0(VALU_DEP_2)
	v_cmpx_ne_u16_e32 0, v36
	s_cbranch_execz .LBB306_114
; %bb.107:                              ;   in Loop: Header=BB306_10 Depth=1
	s_delay_alu instid0(VALU_DEP_2) | instskip(SKIP_2) | instid1(VALU_DEP_2)
	v_and_b32_e32 v3, 0xff, v35
	v_bfrev_b32_e32 v33, 1
	s_mov_b32 s41, exec_lo
	v_cmpx_ne_u16_e32 0x80, v3
	s_cbranch_execz .LBB306_113
; %bb.108:                              ;   in Loop: Header=BB306_10 Depth=1
	v_and_b32_e32 v36, 0x7f, v35
	v_mov_b32_e32 v33, 0x7fc02000
	s_mov_b32 s42, exec_lo
	s_delay_alu instid0(VALU_DEP_2)
	v_cmpx_ne_u32_e32 0x7f, v36
	s_cbranch_execz .LBB306_112
; %bb.109:                              ;   in Loop: Header=BB306_10 Depth=1
	v_and_b32_e32 v3, 7, v35
	v_lshrrev_b32_e32 v33, 3, v36
	s_mov_b32 s43, exec_lo
	v_cmpx_gt_u32_e32 8, v36
; %bb.110:                              ;   in Loop: Header=BB306_10 Depth=1
	s_delay_alu instid0(VALU_DEP_3) | instskip(NEXT) | instid1(VALU_DEP_1)
	v_clz_i32_u32_e32 v33, v3
	v_min_u32_e32 v33, 32, v33
	s_delay_alu instid0(VALU_DEP_1) | instskip(SKIP_1) | instid1(VALU_DEP_2)
	v_subrev_nc_u32_e32 v36, 28, v33
	v_sub_nc_u32_e32 v33, 29, v33
	v_lshlrev_b64 v[36:37], v36, v[3:4]
	s_delay_alu instid0(VALU_DEP_1)
	v_and_b32_e32 v3, 7, v36
; %bb.111:                              ;   in Loop: Header=BB306_10 Depth=1
	s_or_b32 exec_lo, exec_lo, s43
	v_lshlrev_b32_e32 v36, 8, v35
	v_lshl_add_u32 v33, v33, 10, 0x2000
	s_delay_alu instid0(VALU_DEP_1) | instskip(NEXT) | instid1(VALU_DEP_1)
	v_and_or_b32 v33, 0x8000, v36, v33
	v_lshl_or_b32 v3, v3, 7, v33
	s_delay_alu instid0(VALU_DEP_1)
	v_cvt_f32_f16_e32 v33, v3
.LBB306_112:                            ;   in Loop: Header=BB306_10 Depth=1
	s_or_b32 exec_lo, exec_lo, s42
.LBB306_113:                            ;   in Loop: Header=BB306_10 Depth=1
	s_delay_alu instid0(SALU_CYCLE_1)
	s_or_b32 exec_lo, exec_lo, s41
.LBB306_114:                            ;   in Loop: Header=BB306_10 Depth=1
	s_delay_alu instid0(SALU_CYCLE_1) | instskip(NEXT) | instid1(VALU_DEP_2)
	s_or_b32 exec_lo, exec_lo, s4
	v_lshrrev_b16 v3, 8, v35
	v_dual_mov_b32 v35, 0 :: v_dual_mov_b32 v36, 0
	s_mov_b32 s4, exec_lo
	s_delay_alu instid0(VALU_DEP_2)
	v_cmpx_ne_u16_e32 0, v3
	s_cbranch_execz .LBB306_122
; %bb.115:                              ;   in Loop: Header=BB306_10 Depth=1
	v_bfrev_b32_e32 v36, 1
	s_mov_b32 s41, exec_lo
	v_cmpx_ne_u16_e32 0x80, v3
	s_cbranch_execz .LBB306_121
; %bb.116:                              ;   in Loop: Header=BB306_10 Depth=1
	v_and_b32_e32 v37, 0xffff, v3
	v_mov_b32_e32 v36, 0x7fc02000
	s_mov_b32 s42, exec_lo
	s_delay_alu instid0(VALU_DEP_2) | instskip(NEXT) | instid1(VALU_DEP_1)
	v_and_b32_e32 v38, 0x7f, v37
	v_cmpx_ne_u32_e32 0x7f, v38
	s_cbranch_execz .LBB306_120
; %bb.117:                              ;   in Loop: Header=BB306_10 Depth=1
	v_and_b32_e32 v3, 7, v37
	v_lshrrev_b32_e32 v36, 3, v38
	s_mov_b32 s43, exec_lo
	v_cmpx_gt_u32_e32 8, v38
; %bb.118:                              ;   in Loop: Header=BB306_10 Depth=1
	s_delay_alu instid0(VALU_DEP_3) | instskip(NEXT) | instid1(VALU_DEP_1)
	v_clz_i32_u32_e32 v36, v3
	v_min_u32_e32 v36, 32, v36
	s_delay_alu instid0(VALU_DEP_1) | instskip(SKIP_1) | instid1(VALU_DEP_2)
	v_subrev_nc_u32_e32 v38, 28, v36
	v_sub_nc_u32_e32 v36, 29, v36
	v_lshlrev_b64 v[38:39], v38, v[3:4]
	s_delay_alu instid0(VALU_DEP_1)
	v_and_b32_e32 v3, 7, v38
; %bb.119:                              ;   in Loop: Header=BB306_10 Depth=1
	s_or_b32 exec_lo, exec_lo, s43
	v_lshlrev_b32_e32 v37, 8, v37
	v_lshl_add_u32 v36, v36, 10, 0x2000
	s_delay_alu instid0(VALU_DEP_1) | instskip(NEXT) | instid1(VALU_DEP_1)
	v_and_or_b32 v36, 0x8000, v37, v36
	v_lshl_or_b32 v3, v3, 7, v36
	s_delay_alu instid0(VALU_DEP_1)
	v_cvt_f32_f16_e32 v36, v3
.LBB306_120:                            ;   in Loop: Header=BB306_10 Depth=1
	s_or_b32 exec_lo, exec_lo, s42
.LBB306_121:                            ;   in Loop: Header=BB306_10 Depth=1
	s_delay_alu instid0(SALU_CYCLE_1)
	s_or_b32 exec_lo, exec_lo, s41
.LBB306_122:                            ;   in Loop: Header=BB306_10 Depth=1
	s_delay_alu instid0(SALU_CYCLE_1)
	s_or_b32 exec_lo, exec_lo, s4
	global_load_u16 v3, v[9:10], off offset:392
	s_mov_b32 s4, exec_lo
	s_waitcnt vmcnt(0)
	v_and_b32_e32 v38, 0xff, v3
	v_and_b32_e32 v37, 0xffff, v3
	s_delay_alu instid0(VALU_DEP_2)
	v_cmpx_ne_u16_e32 0, v38
	s_cbranch_execz .LBB306_130
; %bb.123:                              ;   in Loop: Header=BB306_10 Depth=1
	s_delay_alu instid0(VALU_DEP_2) | instskip(SKIP_2) | instid1(VALU_DEP_2)
	v_and_b32_e32 v3, 0xff, v37
	v_bfrev_b32_e32 v35, 1
	s_mov_b32 s41, exec_lo
	v_cmpx_ne_u16_e32 0x80, v3
	s_cbranch_execz .LBB306_129
; %bb.124:                              ;   in Loop: Header=BB306_10 Depth=1
	v_and_b32_e32 v38, 0x7f, v37
	v_mov_b32_e32 v35, 0x7fc02000
	s_mov_b32 s42, exec_lo
	s_delay_alu instid0(VALU_DEP_2)
	v_cmpx_ne_u32_e32 0x7f, v38
	s_cbranch_execz .LBB306_128
; %bb.125:                              ;   in Loop: Header=BB306_10 Depth=1
	v_and_b32_e32 v3, 7, v37
	v_lshrrev_b32_e32 v35, 3, v38
	s_mov_b32 s43, exec_lo
	v_cmpx_gt_u32_e32 8, v38
; %bb.126:                              ;   in Loop: Header=BB306_10 Depth=1
	s_delay_alu instid0(VALU_DEP_3) | instskip(NEXT) | instid1(VALU_DEP_1)
	v_clz_i32_u32_e32 v35, v3
	v_min_u32_e32 v35, 32, v35
	s_delay_alu instid0(VALU_DEP_1) | instskip(SKIP_1) | instid1(VALU_DEP_2)
	v_subrev_nc_u32_e32 v38, 28, v35
	v_sub_nc_u32_e32 v35, 29, v35
	v_lshlrev_b64 v[38:39], v38, v[3:4]
	s_delay_alu instid0(VALU_DEP_1)
	v_and_b32_e32 v3, 7, v38
; %bb.127:                              ;   in Loop: Header=BB306_10 Depth=1
	s_or_b32 exec_lo, exec_lo, s43
	v_lshlrev_b32_e32 v38, 8, v37
	v_lshl_add_u32 v35, v35, 10, 0x2000
	s_delay_alu instid0(VALU_DEP_1) | instskip(NEXT) | instid1(VALU_DEP_1)
	v_and_or_b32 v35, 0x8000, v38, v35
	v_lshl_or_b32 v3, v3, 7, v35
	s_delay_alu instid0(VALU_DEP_1)
	v_cvt_f32_f16_e32 v35, v3
.LBB306_128:                            ;   in Loop: Header=BB306_10 Depth=1
	s_or_b32 exec_lo, exec_lo, s42
.LBB306_129:                            ;   in Loop: Header=BB306_10 Depth=1
	s_delay_alu instid0(SALU_CYCLE_1)
	s_or_b32 exec_lo, exec_lo, s41
.LBB306_130:                            ;   in Loop: Header=BB306_10 Depth=1
	s_delay_alu instid0(SALU_CYCLE_1) | instskip(NEXT) | instid1(VALU_DEP_2)
	s_or_b32 exec_lo, exec_lo, s4
	v_lshrrev_b16 v3, 8, v37
	v_dual_mov_b32 v37, 0 :: v_dual_mov_b32 v38, 0
	s_mov_b32 s4, exec_lo
	s_delay_alu instid0(VALU_DEP_2)
	v_cmpx_ne_u16_e32 0, v3
	s_cbranch_execz .LBB306_138
; %bb.131:                              ;   in Loop: Header=BB306_10 Depth=1
	v_bfrev_b32_e32 v38, 1
	s_mov_b32 s41, exec_lo
	v_cmpx_ne_u16_e32 0x80, v3
	s_cbranch_execz .LBB306_137
; %bb.132:                              ;   in Loop: Header=BB306_10 Depth=1
	v_and_b32_e32 v39, 0xffff, v3
	v_mov_b32_e32 v38, 0x7fc02000
	s_mov_b32 s42, exec_lo
	s_delay_alu instid0(VALU_DEP_2) | instskip(NEXT) | instid1(VALU_DEP_1)
	v_and_b32_e32 v40, 0x7f, v39
	v_cmpx_ne_u32_e32 0x7f, v40
	s_cbranch_execz .LBB306_136
; %bb.133:                              ;   in Loop: Header=BB306_10 Depth=1
	v_and_b32_e32 v3, 7, v39
	v_lshrrev_b32_e32 v38, 3, v40
	s_mov_b32 s43, exec_lo
	v_cmpx_gt_u32_e32 8, v40
; %bb.134:                              ;   in Loop: Header=BB306_10 Depth=1
	s_delay_alu instid0(VALU_DEP_3) | instskip(NEXT) | instid1(VALU_DEP_1)
	v_clz_i32_u32_e32 v38, v3
	v_min_u32_e32 v38, 32, v38
	s_delay_alu instid0(VALU_DEP_1) | instskip(SKIP_1) | instid1(VALU_DEP_2)
	v_subrev_nc_u32_e32 v40, 28, v38
	v_sub_nc_u32_e32 v38, 29, v38
	v_lshlrev_b64 v[40:41], v40, v[3:4]
	s_delay_alu instid0(VALU_DEP_1)
	v_and_b32_e32 v3, 7, v40
; %bb.135:                              ;   in Loop: Header=BB306_10 Depth=1
	s_or_b32 exec_lo, exec_lo, s43
	v_lshlrev_b32_e32 v39, 8, v39
	v_lshl_add_u32 v38, v38, 10, 0x2000
	s_delay_alu instid0(VALU_DEP_1) | instskip(NEXT) | instid1(VALU_DEP_1)
	v_and_or_b32 v38, 0x8000, v39, v38
	v_lshl_or_b32 v3, v3, 7, v38
	s_delay_alu instid0(VALU_DEP_1)
	v_cvt_f32_f16_e32 v38, v3
.LBB306_136:                            ;   in Loop: Header=BB306_10 Depth=1
	s_or_b32 exec_lo, exec_lo, s42
.LBB306_137:                            ;   in Loop: Header=BB306_10 Depth=1
	s_delay_alu instid0(SALU_CYCLE_1)
	s_or_b32 exec_lo, exec_lo, s41
.LBB306_138:                            ;   in Loop: Header=BB306_10 Depth=1
	s_delay_alu instid0(SALU_CYCLE_1)
	s_or_b32 exec_lo, exec_lo, s4
	global_load_u16 v3, v[9:10], off offset:512
	s_mov_b32 s4, exec_lo
	s_waitcnt vmcnt(0)
	v_and_b32_e32 v40, 0xff, v3
	v_and_b32_e32 v39, 0xffff, v3
	s_delay_alu instid0(VALU_DEP_2)
	v_cmpx_ne_u16_e32 0, v40
	s_cbranch_execz .LBB306_146
; %bb.139:                              ;   in Loop: Header=BB306_10 Depth=1
	s_delay_alu instid0(VALU_DEP_2) | instskip(SKIP_2) | instid1(VALU_DEP_2)
	v_and_b32_e32 v3, 0xff, v39
	v_bfrev_b32_e32 v37, 1
	s_mov_b32 s41, exec_lo
	v_cmpx_ne_u16_e32 0x80, v3
	s_cbranch_execz .LBB306_145
; %bb.140:                              ;   in Loop: Header=BB306_10 Depth=1
	v_and_b32_e32 v40, 0x7f, v39
	v_mov_b32_e32 v37, 0x7fc02000
	s_mov_b32 s42, exec_lo
	s_delay_alu instid0(VALU_DEP_2)
	v_cmpx_ne_u32_e32 0x7f, v40
	s_cbranch_execz .LBB306_144
; %bb.141:                              ;   in Loop: Header=BB306_10 Depth=1
	v_and_b32_e32 v3, 7, v39
	v_lshrrev_b32_e32 v37, 3, v40
	s_mov_b32 s43, exec_lo
	v_cmpx_gt_u32_e32 8, v40
; %bb.142:                              ;   in Loop: Header=BB306_10 Depth=1
	s_delay_alu instid0(VALU_DEP_3) | instskip(NEXT) | instid1(VALU_DEP_1)
	v_clz_i32_u32_e32 v37, v3
	v_min_u32_e32 v37, 32, v37
	s_delay_alu instid0(VALU_DEP_1) | instskip(SKIP_1) | instid1(VALU_DEP_2)
	v_subrev_nc_u32_e32 v40, 28, v37
	v_sub_nc_u32_e32 v37, 29, v37
	v_lshlrev_b64 v[40:41], v40, v[3:4]
	s_delay_alu instid0(VALU_DEP_1)
	v_and_b32_e32 v3, 7, v40
; %bb.143:                              ;   in Loop: Header=BB306_10 Depth=1
	s_or_b32 exec_lo, exec_lo, s43
	v_lshlrev_b32_e32 v40, 8, v39
	v_lshl_add_u32 v37, v37, 10, 0x2000
	s_delay_alu instid0(VALU_DEP_1) | instskip(NEXT) | instid1(VALU_DEP_1)
	v_and_or_b32 v37, 0x8000, v40, v37
	v_lshl_or_b32 v3, v3, 7, v37
	s_delay_alu instid0(VALU_DEP_1)
	v_cvt_f32_f16_e32 v37, v3
.LBB306_144:                            ;   in Loop: Header=BB306_10 Depth=1
	s_or_b32 exec_lo, exec_lo, s42
.LBB306_145:                            ;   in Loop: Header=BB306_10 Depth=1
	s_delay_alu instid0(SALU_CYCLE_1)
	s_or_b32 exec_lo, exec_lo, s41
.LBB306_146:                            ;   in Loop: Header=BB306_10 Depth=1
	s_delay_alu instid0(SALU_CYCLE_1) | instskip(NEXT) | instid1(VALU_DEP_2)
	s_or_b32 exec_lo, exec_lo, s4
	v_lshrrev_b16 v3, 8, v39
	v_dual_mov_b32 v39, 0 :: v_dual_mov_b32 v40, 0
	s_mov_b32 s4, exec_lo
	s_delay_alu instid0(VALU_DEP_2)
	v_cmpx_ne_u16_e32 0, v3
	s_cbranch_execz .LBB306_154
; %bb.147:                              ;   in Loop: Header=BB306_10 Depth=1
	v_bfrev_b32_e32 v40, 1
	s_mov_b32 s41, exec_lo
	v_cmpx_ne_u16_e32 0x80, v3
	s_cbranch_execz .LBB306_153
; %bb.148:                              ;   in Loop: Header=BB306_10 Depth=1
	v_and_b32_e32 v41, 0xffff, v3
	v_mov_b32_e32 v40, 0x7fc02000
	s_mov_b32 s42, exec_lo
	s_delay_alu instid0(VALU_DEP_2) | instskip(NEXT) | instid1(VALU_DEP_1)
	v_and_b32_e32 v42, 0x7f, v41
	v_cmpx_ne_u32_e32 0x7f, v42
	s_cbranch_execz .LBB306_152
; %bb.149:                              ;   in Loop: Header=BB306_10 Depth=1
	v_and_b32_e32 v3, 7, v41
	v_lshrrev_b32_e32 v40, 3, v42
	s_mov_b32 s43, exec_lo
	v_cmpx_gt_u32_e32 8, v42
; %bb.150:                              ;   in Loop: Header=BB306_10 Depth=1
	s_delay_alu instid0(VALU_DEP_3) | instskip(NEXT) | instid1(VALU_DEP_1)
	v_clz_i32_u32_e32 v40, v3
	v_min_u32_e32 v40, 32, v40
	s_delay_alu instid0(VALU_DEP_1) | instskip(SKIP_1) | instid1(VALU_DEP_2)
	v_subrev_nc_u32_e32 v42, 28, v40
	v_sub_nc_u32_e32 v40, 29, v40
	v_lshlrev_b64 v[42:43], v42, v[3:4]
	s_delay_alu instid0(VALU_DEP_1)
	v_and_b32_e32 v3, 7, v42
; %bb.151:                              ;   in Loop: Header=BB306_10 Depth=1
	s_or_b32 exec_lo, exec_lo, s43
	v_lshlrev_b32_e32 v41, 8, v41
	v_lshl_add_u32 v40, v40, 10, 0x2000
	s_delay_alu instid0(VALU_DEP_1) | instskip(NEXT) | instid1(VALU_DEP_1)
	v_and_or_b32 v40, 0x8000, v41, v40
	v_lshl_or_b32 v3, v3, 7, v40
	s_delay_alu instid0(VALU_DEP_1)
	v_cvt_f32_f16_e32 v40, v3
.LBB306_152:                            ;   in Loop: Header=BB306_10 Depth=1
	s_or_b32 exec_lo, exec_lo, s42
.LBB306_153:                            ;   in Loop: Header=BB306_10 Depth=1
	s_delay_alu instid0(SALU_CYCLE_1)
	s_or_b32 exec_lo, exec_lo, s41
.LBB306_154:                            ;   in Loop: Header=BB306_10 Depth=1
	s_delay_alu instid0(SALU_CYCLE_1)
	s_or_b32 exec_lo, exec_lo, s4
	global_load_u16 v3, v[9:10], off offset:520
	s_mov_b32 s4, exec_lo
	s_waitcnt vmcnt(0)
	v_and_b32_e32 v42, 0xff, v3
	v_and_b32_e32 v41, 0xffff, v3
	s_delay_alu instid0(VALU_DEP_2)
	v_cmpx_ne_u16_e32 0, v42
	s_cbranch_execz .LBB306_162
; %bb.155:                              ;   in Loop: Header=BB306_10 Depth=1
	s_delay_alu instid0(VALU_DEP_2) | instskip(SKIP_2) | instid1(VALU_DEP_2)
	v_and_b32_e32 v3, 0xff, v41
	v_bfrev_b32_e32 v39, 1
	s_mov_b32 s41, exec_lo
	v_cmpx_ne_u16_e32 0x80, v3
	s_cbranch_execz .LBB306_161
; %bb.156:                              ;   in Loop: Header=BB306_10 Depth=1
	v_and_b32_e32 v42, 0x7f, v41
	v_mov_b32_e32 v39, 0x7fc02000
	s_mov_b32 s42, exec_lo
	s_delay_alu instid0(VALU_DEP_2)
	v_cmpx_ne_u32_e32 0x7f, v42
	s_cbranch_execz .LBB306_160
; %bb.157:                              ;   in Loop: Header=BB306_10 Depth=1
	v_and_b32_e32 v3, 7, v41
	v_lshrrev_b32_e32 v39, 3, v42
	s_mov_b32 s43, exec_lo
	v_cmpx_gt_u32_e32 8, v42
; %bb.158:                              ;   in Loop: Header=BB306_10 Depth=1
	s_delay_alu instid0(VALU_DEP_3) | instskip(NEXT) | instid1(VALU_DEP_1)
	v_clz_i32_u32_e32 v39, v3
	v_min_u32_e32 v39, 32, v39
	s_delay_alu instid0(VALU_DEP_1) | instskip(SKIP_1) | instid1(VALU_DEP_2)
	v_subrev_nc_u32_e32 v42, 28, v39
	v_sub_nc_u32_e32 v39, 29, v39
	v_lshlrev_b64 v[42:43], v42, v[3:4]
	s_delay_alu instid0(VALU_DEP_1)
	v_and_b32_e32 v3, 7, v42
; %bb.159:                              ;   in Loop: Header=BB306_10 Depth=1
	s_or_b32 exec_lo, exec_lo, s43
	v_lshlrev_b32_e32 v42, 8, v41
	v_lshl_add_u32 v39, v39, 10, 0x2000
	s_delay_alu instid0(VALU_DEP_1) | instskip(NEXT) | instid1(VALU_DEP_1)
	v_and_or_b32 v39, 0x8000, v42, v39
	v_lshl_or_b32 v3, v3, 7, v39
	s_delay_alu instid0(VALU_DEP_1)
	v_cvt_f32_f16_e32 v39, v3
.LBB306_160:                            ;   in Loop: Header=BB306_10 Depth=1
	s_or_b32 exec_lo, exec_lo, s42
.LBB306_161:                            ;   in Loop: Header=BB306_10 Depth=1
	s_delay_alu instid0(SALU_CYCLE_1)
	s_or_b32 exec_lo, exec_lo, s41
.LBB306_162:                            ;   in Loop: Header=BB306_10 Depth=1
	s_delay_alu instid0(SALU_CYCLE_1) | instskip(NEXT) | instid1(VALU_DEP_2)
	s_or_b32 exec_lo, exec_lo, s4
	v_lshrrev_b16 v3, 8, v41
	v_dual_mov_b32 v41, 0 :: v_dual_mov_b32 v42, 0
	s_mov_b32 s4, exec_lo
	s_delay_alu instid0(VALU_DEP_2)
	v_cmpx_ne_u16_e32 0, v3
	s_cbranch_execz .LBB306_170
; %bb.163:                              ;   in Loop: Header=BB306_10 Depth=1
	v_bfrev_b32_e32 v42, 1
	s_mov_b32 s41, exec_lo
	v_cmpx_ne_u16_e32 0x80, v3
	s_cbranch_execz .LBB306_169
; %bb.164:                              ;   in Loop: Header=BB306_10 Depth=1
	v_and_b32_e32 v43, 0xffff, v3
	v_mov_b32_e32 v42, 0x7fc02000
	s_mov_b32 s42, exec_lo
	s_delay_alu instid0(VALU_DEP_2) | instskip(NEXT) | instid1(VALU_DEP_1)
	v_and_b32_e32 v44, 0x7f, v43
	v_cmpx_ne_u32_e32 0x7f, v44
	s_cbranch_execz .LBB306_168
; %bb.165:                              ;   in Loop: Header=BB306_10 Depth=1
	v_and_b32_e32 v3, 7, v43
	v_lshrrev_b32_e32 v42, 3, v44
	s_mov_b32 s43, exec_lo
	v_cmpx_gt_u32_e32 8, v44
; %bb.166:                              ;   in Loop: Header=BB306_10 Depth=1
	s_delay_alu instid0(VALU_DEP_3) | instskip(NEXT) | instid1(VALU_DEP_1)
	v_clz_i32_u32_e32 v42, v3
	v_min_u32_e32 v42, 32, v42
	s_delay_alu instid0(VALU_DEP_1) | instskip(SKIP_1) | instid1(VALU_DEP_2)
	v_subrev_nc_u32_e32 v44, 28, v42
	v_sub_nc_u32_e32 v42, 29, v42
	v_lshlrev_b64 v[44:45], v44, v[3:4]
	s_delay_alu instid0(VALU_DEP_1)
	v_and_b32_e32 v3, 7, v44
; %bb.167:                              ;   in Loop: Header=BB306_10 Depth=1
	s_or_b32 exec_lo, exec_lo, s43
	v_lshlrev_b32_e32 v43, 8, v43
	v_lshl_add_u32 v42, v42, 10, 0x2000
	s_delay_alu instid0(VALU_DEP_1) | instskip(NEXT) | instid1(VALU_DEP_1)
	v_and_or_b32 v42, 0x8000, v43, v42
	v_lshl_or_b32 v3, v3, 7, v42
	s_delay_alu instid0(VALU_DEP_1)
	v_cvt_f32_f16_e32 v42, v3
.LBB306_168:                            ;   in Loop: Header=BB306_10 Depth=1
	s_or_b32 exec_lo, exec_lo, s42
.LBB306_169:                            ;   in Loop: Header=BB306_10 Depth=1
	s_delay_alu instid0(SALU_CYCLE_1)
	s_or_b32 exec_lo, exec_lo, s41
.LBB306_170:                            ;   in Loop: Header=BB306_10 Depth=1
	s_delay_alu instid0(SALU_CYCLE_1)
	s_or_b32 exec_lo, exec_lo, s4
	global_load_u16 v3, v[9:10], off offset:640
	s_mov_b32 s4, exec_lo
	s_waitcnt vmcnt(0)
	v_and_b32_e32 v44, 0xff, v3
	v_and_b32_e32 v43, 0xffff, v3
	s_delay_alu instid0(VALU_DEP_2)
	v_cmpx_ne_u16_e32 0, v44
	s_cbranch_execz .LBB306_178
; %bb.171:                              ;   in Loop: Header=BB306_10 Depth=1
	s_delay_alu instid0(VALU_DEP_2) | instskip(SKIP_2) | instid1(VALU_DEP_2)
	v_and_b32_e32 v3, 0xff, v43
	v_bfrev_b32_e32 v41, 1
	s_mov_b32 s41, exec_lo
	v_cmpx_ne_u16_e32 0x80, v3
	s_cbranch_execz .LBB306_177
; %bb.172:                              ;   in Loop: Header=BB306_10 Depth=1
	v_and_b32_e32 v44, 0x7f, v43
	v_mov_b32_e32 v41, 0x7fc02000
	s_mov_b32 s42, exec_lo
	s_delay_alu instid0(VALU_DEP_2)
	v_cmpx_ne_u32_e32 0x7f, v44
	s_cbranch_execz .LBB306_176
; %bb.173:                              ;   in Loop: Header=BB306_10 Depth=1
	v_and_b32_e32 v3, 7, v43
	v_lshrrev_b32_e32 v41, 3, v44
	s_mov_b32 s43, exec_lo
	v_cmpx_gt_u32_e32 8, v44
; %bb.174:                              ;   in Loop: Header=BB306_10 Depth=1
	s_delay_alu instid0(VALU_DEP_3) | instskip(NEXT) | instid1(VALU_DEP_1)
	v_clz_i32_u32_e32 v41, v3
	v_min_u32_e32 v41, 32, v41
	s_delay_alu instid0(VALU_DEP_1) | instskip(SKIP_1) | instid1(VALU_DEP_2)
	v_subrev_nc_u32_e32 v44, 28, v41
	v_sub_nc_u32_e32 v41, 29, v41
	v_lshlrev_b64 v[44:45], v44, v[3:4]
	s_delay_alu instid0(VALU_DEP_1)
	v_and_b32_e32 v3, 7, v44
; %bb.175:                              ;   in Loop: Header=BB306_10 Depth=1
	s_or_b32 exec_lo, exec_lo, s43
	v_lshlrev_b32_e32 v44, 8, v43
	v_lshl_add_u32 v41, v41, 10, 0x2000
	s_delay_alu instid0(VALU_DEP_1) | instskip(NEXT) | instid1(VALU_DEP_1)
	v_and_or_b32 v41, 0x8000, v44, v41
	v_lshl_or_b32 v3, v3, 7, v41
	s_delay_alu instid0(VALU_DEP_1)
	v_cvt_f32_f16_e32 v41, v3
.LBB306_176:                            ;   in Loop: Header=BB306_10 Depth=1
	s_or_b32 exec_lo, exec_lo, s42
.LBB306_177:                            ;   in Loop: Header=BB306_10 Depth=1
	s_delay_alu instid0(SALU_CYCLE_1)
	s_or_b32 exec_lo, exec_lo, s41
.LBB306_178:                            ;   in Loop: Header=BB306_10 Depth=1
	s_delay_alu instid0(SALU_CYCLE_1) | instskip(NEXT) | instid1(VALU_DEP_2)
	s_or_b32 exec_lo, exec_lo, s4
	v_lshrrev_b16 v3, 8, v43
	v_dual_mov_b32 v43, 0 :: v_dual_mov_b32 v44, 0
	s_mov_b32 s4, exec_lo
	s_delay_alu instid0(VALU_DEP_2)
	v_cmpx_ne_u16_e32 0, v3
	s_cbranch_execz .LBB306_186
; %bb.179:                              ;   in Loop: Header=BB306_10 Depth=1
	v_bfrev_b32_e32 v44, 1
	s_mov_b32 s41, exec_lo
	v_cmpx_ne_u16_e32 0x80, v3
	s_cbranch_execz .LBB306_185
; %bb.180:                              ;   in Loop: Header=BB306_10 Depth=1
	v_and_b32_e32 v45, 0xffff, v3
	v_mov_b32_e32 v44, 0x7fc02000
	s_mov_b32 s42, exec_lo
	s_delay_alu instid0(VALU_DEP_2) | instskip(NEXT) | instid1(VALU_DEP_1)
	v_and_b32_e32 v46, 0x7f, v45
	v_cmpx_ne_u32_e32 0x7f, v46
	s_cbranch_execz .LBB306_184
; %bb.181:                              ;   in Loop: Header=BB306_10 Depth=1
	v_and_b32_e32 v3, 7, v45
	v_lshrrev_b32_e32 v44, 3, v46
	s_mov_b32 s43, exec_lo
	v_cmpx_gt_u32_e32 8, v46
; %bb.182:                              ;   in Loop: Header=BB306_10 Depth=1
	s_delay_alu instid0(VALU_DEP_3) | instskip(NEXT) | instid1(VALU_DEP_1)
	v_clz_i32_u32_e32 v44, v3
	v_min_u32_e32 v44, 32, v44
	s_delay_alu instid0(VALU_DEP_1) | instskip(SKIP_1) | instid1(VALU_DEP_2)
	v_subrev_nc_u32_e32 v46, 28, v44
	v_sub_nc_u32_e32 v44, 29, v44
	v_lshlrev_b64 v[46:47], v46, v[3:4]
	s_delay_alu instid0(VALU_DEP_1)
	v_and_b32_e32 v3, 7, v46
; %bb.183:                              ;   in Loop: Header=BB306_10 Depth=1
	s_or_b32 exec_lo, exec_lo, s43
	v_lshlrev_b32_e32 v45, 8, v45
	v_lshl_add_u32 v44, v44, 10, 0x2000
	s_delay_alu instid0(VALU_DEP_1) | instskip(NEXT) | instid1(VALU_DEP_1)
	v_and_or_b32 v44, 0x8000, v45, v44
	v_lshl_or_b32 v3, v3, 7, v44
	s_delay_alu instid0(VALU_DEP_1)
	v_cvt_f32_f16_e32 v44, v3
.LBB306_184:                            ;   in Loop: Header=BB306_10 Depth=1
	s_or_b32 exec_lo, exec_lo, s42
.LBB306_185:                            ;   in Loop: Header=BB306_10 Depth=1
	s_delay_alu instid0(SALU_CYCLE_1)
	s_or_b32 exec_lo, exec_lo, s41
.LBB306_186:                            ;   in Loop: Header=BB306_10 Depth=1
	s_delay_alu instid0(SALU_CYCLE_1)
	s_or_b32 exec_lo, exec_lo, s4
	global_load_u16 v3, v[9:10], off offset:648
	s_mov_b32 s4, exec_lo
	s_waitcnt vmcnt(0)
	v_and_b32_e32 v46, 0xff, v3
	v_and_b32_e32 v45, 0xffff, v3
	s_delay_alu instid0(VALU_DEP_2)
	v_cmpx_ne_u16_e32 0, v46
	s_cbranch_execz .LBB306_194
; %bb.187:                              ;   in Loop: Header=BB306_10 Depth=1
	s_delay_alu instid0(VALU_DEP_2) | instskip(SKIP_2) | instid1(VALU_DEP_2)
	v_and_b32_e32 v3, 0xff, v45
	v_bfrev_b32_e32 v43, 1
	s_mov_b32 s41, exec_lo
	v_cmpx_ne_u16_e32 0x80, v3
	s_cbranch_execz .LBB306_193
; %bb.188:                              ;   in Loop: Header=BB306_10 Depth=1
	v_and_b32_e32 v46, 0x7f, v45
	v_mov_b32_e32 v43, 0x7fc02000
	s_mov_b32 s42, exec_lo
	s_delay_alu instid0(VALU_DEP_2)
	v_cmpx_ne_u32_e32 0x7f, v46
	s_cbranch_execz .LBB306_192
; %bb.189:                              ;   in Loop: Header=BB306_10 Depth=1
	v_and_b32_e32 v3, 7, v45
	v_lshrrev_b32_e32 v43, 3, v46
	s_mov_b32 s43, exec_lo
	v_cmpx_gt_u32_e32 8, v46
; %bb.190:                              ;   in Loop: Header=BB306_10 Depth=1
	s_delay_alu instid0(VALU_DEP_3) | instskip(NEXT) | instid1(VALU_DEP_1)
	v_clz_i32_u32_e32 v43, v3
	v_min_u32_e32 v43, 32, v43
	s_delay_alu instid0(VALU_DEP_1) | instskip(SKIP_1) | instid1(VALU_DEP_2)
	v_subrev_nc_u32_e32 v46, 28, v43
	v_sub_nc_u32_e32 v43, 29, v43
	v_lshlrev_b64 v[46:47], v46, v[3:4]
	s_delay_alu instid0(VALU_DEP_1)
	v_and_b32_e32 v3, 7, v46
; %bb.191:                              ;   in Loop: Header=BB306_10 Depth=1
	s_or_b32 exec_lo, exec_lo, s43
	v_lshlrev_b32_e32 v46, 8, v45
	v_lshl_add_u32 v43, v43, 10, 0x2000
	s_delay_alu instid0(VALU_DEP_1) | instskip(NEXT) | instid1(VALU_DEP_1)
	v_and_or_b32 v43, 0x8000, v46, v43
	v_lshl_or_b32 v3, v3, 7, v43
	s_delay_alu instid0(VALU_DEP_1)
	v_cvt_f32_f16_e32 v43, v3
.LBB306_192:                            ;   in Loop: Header=BB306_10 Depth=1
	s_or_b32 exec_lo, exec_lo, s42
.LBB306_193:                            ;   in Loop: Header=BB306_10 Depth=1
	s_delay_alu instid0(SALU_CYCLE_1)
	s_or_b32 exec_lo, exec_lo, s41
.LBB306_194:                            ;   in Loop: Header=BB306_10 Depth=1
	s_delay_alu instid0(SALU_CYCLE_1) | instskip(NEXT) | instid1(VALU_DEP_2)
	s_or_b32 exec_lo, exec_lo, s4
	v_lshrrev_b16 v3, 8, v45
	v_dual_mov_b32 v45, 0 :: v_dual_mov_b32 v46, 0
	s_mov_b32 s4, exec_lo
	s_delay_alu instid0(VALU_DEP_2)
	v_cmpx_ne_u16_e32 0, v3
	s_cbranch_execz .LBB306_202
; %bb.195:                              ;   in Loop: Header=BB306_10 Depth=1
	v_bfrev_b32_e32 v46, 1
	s_mov_b32 s41, exec_lo
	v_cmpx_ne_u16_e32 0x80, v3
	s_cbranch_execz .LBB306_201
; %bb.196:                              ;   in Loop: Header=BB306_10 Depth=1
	v_and_b32_e32 v47, 0xffff, v3
	v_mov_b32_e32 v46, 0x7fc02000
	s_mov_b32 s42, exec_lo
	s_delay_alu instid0(VALU_DEP_2) | instskip(NEXT) | instid1(VALU_DEP_1)
	v_and_b32_e32 v48, 0x7f, v47
	v_cmpx_ne_u32_e32 0x7f, v48
	s_cbranch_execz .LBB306_200
; %bb.197:                              ;   in Loop: Header=BB306_10 Depth=1
	v_and_b32_e32 v3, 7, v47
	v_lshrrev_b32_e32 v46, 3, v48
	s_mov_b32 s43, exec_lo
	v_cmpx_gt_u32_e32 8, v48
; %bb.198:                              ;   in Loop: Header=BB306_10 Depth=1
	s_delay_alu instid0(VALU_DEP_3) | instskip(NEXT) | instid1(VALU_DEP_1)
	v_clz_i32_u32_e32 v46, v3
	v_min_u32_e32 v46, 32, v46
	s_delay_alu instid0(VALU_DEP_1) | instskip(SKIP_1) | instid1(VALU_DEP_2)
	v_subrev_nc_u32_e32 v48, 28, v46
	v_sub_nc_u32_e32 v46, 29, v46
	v_lshlrev_b64 v[48:49], v48, v[3:4]
	s_delay_alu instid0(VALU_DEP_1)
	v_and_b32_e32 v3, 7, v48
; %bb.199:                              ;   in Loop: Header=BB306_10 Depth=1
	s_or_b32 exec_lo, exec_lo, s43
	v_lshlrev_b32_e32 v47, 8, v47
	v_lshl_add_u32 v46, v46, 10, 0x2000
	s_delay_alu instid0(VALU_DEP_1) | instskip(NEXT) | instid1(VALU_DEP_1)
	v_and_or_b32 v46, 0x8000, v47, v46
	v_lshl_or_b32 v3, v3, 7, v46
	s_delay_alu instid0(VALU_DEP_1)
	v_cvt_f32_f16_e32 v46, v3
.LBB306_200:                            ;   in Loop: Header=BB306_10 Depth=1
	s_or_b32 exec_lo, exec_lo, s42
.LBB306_201:                            ;   in Loop: Header=BB306_10 Depth=1
	s_delay_alu instid0(SALU_CYCLE_1)
	s_or_b32 exec_lo, exec_lo, s41
.LBB306_202:                            ;   in Loop: Header=BB306_10 Depth=1
	s_delay_alu instid0(SALU_CYCLE_1)
	s_or_b32 exec_lo, exec_lo, s4
	global_load_u16 v3, v[9:10], off offset:768
	s_mov_b32 s4, exec_lo
	s_waitcnt vmcnt(0)
	v_and_b32_e32 v48, 0xff, v3
	v_and_b32_e32 v47, 0xffff, v3
	s_delay_alu instid0(VALU_DEP_2)
	v_cmpx_ne_u16_e32 0, v48
	s_cbranch_execz .LBB306_210
; %bb.203:                              ;   in Loop: Header=BB306_10 Depth=1
	s_delay_alu instid0(VALU_DEP_2) | instskip(SKIP_2) | instid1(VALU_DEP_2)
	v_and_b32_e32 v3, 0xff, v47
	v_bfrev_b32_e32 v45, 1
	s_mov_b32 s41, exec_lo
	v_cmpx_ne_u16_e32 0x80, v3
	s_cbranch_execz .LBB306_209
; %bb.204:                              ;   in Loop: Header=BB306_10 Depth=1
	v_and_b32_e32 v48, 0x7f, v47
	v_mov_b32_e32 v45, 0x7fc02000
	s_mov_b32 s42, exec_lo
	s_delay_alu instid0(VALU_DEP_2)
	v_cmpx_ne_u32_e32 0x7f, v48
	s_cbranch_execz .LBB306_208
; %bb.205:                              ;   in Loop: Header=BB306_10 Depth=1
	v_and_b32_e32 v3, 7, v47
	v_lshrrev_b32_e32 v45, 3, v48
	s_mov_b32 s43, exec_lo
	v_cmpx_gt_u32_e32 8, v48
; %bb.206:                              ;   in Loop: Header=BB306_10 Depth=1
	s_delay_alu instid0(VALU_DEP_3) | instskip(NEXT) | instid1(VALU_DEP_1)
	v_clz_i32_u32_e32 v45, v3
	v_min_u32_e32 v45, 32, v45
	s_delay_alu instid0(VALU_DEP_1) | instskip(SKIP_1) | instid1(VALU_DEP_2)
	v_subrev_nc_u32_e32 v48, 28, v45
	v_sub_nc_u32_e32 v45, 29, v45
	v_lshlrev_b64 v[48:49], v48, v[3:4]
	s_delay_alu instid0(VALU_DEP_1)
	v_and_b32_e32 v3, 7, v48
; %bb.207:                              ;   in Loop: Header=BB306_10 Depth=1
	s_or_b32 exec_lo, exec_lo, s43
	v_lshlrev_b32_e32 v48, 8, v47
	v_lshl_add_u32 v45, v45, 10, 0x2000
	s_delay_alu instid0(VALU_DEP_1) | instskip(NEXT) | instid1(VALU_DEP_1)
	v_and_or_b32 v45, 0x8000, v48, v45
	v_lshl_or_b32 v3, v3, 7, v45
	s_delay_alu instid0(VALU_DEP_1)
	v_cvt_f32_f16_e32 v45, v3
.LBB306_208:                            ;   in Loop: Header=BB306_10 Depth=1
	s_or_b32 exec_lo, exec_lo, s42
.LBB306_209:                            ;   in Loop: Header=BB306_10 Depth=1
	s_delay_alu instid0(SALU_CYCLE_1)
	s_or_b32 exec_lo, exec_lo, s41
.LBB306_210:                            ;   in Loop: Header=BB306_10 Depth=1
	s_delay_alu instid0(SALU_CYCLE_1) | instskip(NEXT) | instid1(VALU_DEP_2)
	s_or_b32 exec_lo, exec_lo, s4
	v_lshrrev_b16 v3, 8, v47
	v_dual_mov_b32 v47, 0 :: v_dual_mov_b32 v48, 0
	s_mov_b32 s4, exec_lo
	s_delay_alu instid0(VALU_DEP_2)
	v_cmpx_ne_u16_e32 0, v3
	s_cbranch_execz .LBB306_218
; %bb.211:                              ;   in Loop: Header=BB306_10 Depth=1
	v_bfrev_b32_e32 v48, 1
	s_mov_b32 s41, exec_lo
	v_cmpx_ne_u16_e32 0x80, v3
	s_cbranch_execz .LBB306_217
; %bb.212:                              ;   in Loop: Header=BB306_10 Depth=1
	v_and_b32_e32 v49, 0xffff, v3
	v_mov_b32_e32 v48, 0x7fc02000
	s_mov_b32 s42, exec_lo
	s_delay_alu instid0(VALU_DEP_2) | instskip(NEXT) | instid1(VALU_DEP_1)
	v_and_b32_e32 v50, 0x7f, v49
	v_cmpx_ne_u32_e32 0x7f, v50
	s_cbranch_execz .LBB306_216
; %bb.213:                              ;   in Loop: Header=BB306_10 Depth=1
	v_and_b32_e32 v3, 7, v49
	v_lshrrev_b32_e32 v48, 3, v50
	s_mov_b32 s43, exec_lo
	v_cmpx_gt_u32_e32 8, v50
; %bb.214:                              ;   in Loop: Header=BB306_10 Depth=1
	s_delay_alu instid0(VALU_DEP_3) | instskip(NEXT) | instid1(VALU_DEP_1)
	v_clz_i32_u32_e32 v48, v3
	v_min_u32_e32 v48, 32, v48
	s_delay_alu instid0(VALU_DEP_1) | instskip(SKIP_1) | instid1(VALU_DEP_2)
	v_subrev_nc_u32_e32 v50, 28, v48
	v_sub_nc_u32_e32 v48, 29, v48
	v_lshlrev_b64 v[50:51], v50, v[3:4]
	s_delay_alu instid0(VALU_DEP_1)
	v_and_b32_e32 v3, 7, v50
; %bb.215:                              ;   in Loop: Header=BB306_10 Depth=1
	s_or_b32 exec_lo, exec_lo, s43
	v_lshlrev_b32_e32 v49, 8, v49
	v_lshl_add_u32 v48, v48, 10, 0x2000
	s_delay_alu instid0(VALU_DEP_1) | instskip(NEXT) | instid1(VALU_DEP_1)
	v_and_or_b32 v48, 0x8000, v49, v48
	v_lshl_or_b32 v3, v3, 7, v48
	s_delay_alu instid0(VALU_DEP_1)
	v_cvt_f32_f16_e32 v48, v3
.LBB306_216:                            ;   in Loop: Header=BB306_10 Depth=1
	s_or_b32 exec_lo, exec_lo, s42
.LBB306_217:                            ;   in Loop: Header=BB306_10 Depth=1
	s_delay_alu instid0(SALU_CYCLE_1)
	s_or_b32 exec_lo, exec_lo, s41
.LBB306_218:                            ;   in Loop: Header=BB306_10 Depth=1
	s_delay_alu instid0(SALU_CYCLE_1)
	s_or_b32 exec_lo, exec_lo, s4
	global_load_u16 v3, v[9:10], off offset:776
	s_mov_b32 s4, exec_lo
	s_waitcnt vmcnt(0)
	v_and_b32_e32 v50, 0xff, v3
	v_and_b32_e32 v49, 0xffff, v3
	s_delay_alu instid0(VALU_DEP_2)
	v_cmpx_ne_u16_e32 0, v50
	s_cbranch_execz .LBB306_226
; %bb.219:                              ;   in Loop: Header=BB306_10 Depth=1
	s_delay_alu instid0(VALU_DEP_2) | instskip(SKIP_2) | instid1(VALU_DEP_2)
	v_and_b32_e32 v3, 0xff, v49
	v_bfrev_b32_e32 v47, 1
	s_mov_b32 s41, exec_lo
	v_cmpx_ne_u16_e32 0x80, v3
	s_cbranch_execz .LBB306_225
; %bb.220:                              ;   in Loop: Header=BB306_10 Depth=1
	v_and_b32_e32 v50, 0x7f, v49
	v_mov_b32_e32 v47, 0x7fc02000
	s_mov_b32 s42, exec_lo
	s_delay_alu instid0(VALU_DEP_2)
	v_cmpx_ne_u32_e32 0x7f, v50
	s_cbranch_execz .LBB306_224
; %bb.221:                              ;   in Loop: Header=BB306_10 Depth=1
	v_and_b32_e32 v3, 7, v49
	v_lshrrev_b32_e32 v47, 3, v50
	s_mov_b32 s43, exec_lo
	v_cmpx_gt_u32_e32 8, v50
; %bb.222:                              ;   in Loop: Header=BB306_10 Depth=1
	s_delay_alu instid0(VALU_DEP_3) | instskip(NEXT) | instid1(VALU_DEP_1)
	v_clz_i32_u32_e32 v47, v3
	v_min_u32_e32 v47, 32, v47
	s_delay_alu instid0(VALU_DEP_1) | instskip(SKIP_1) | instid1(VALU_DEP_2)
	v_subrev_nc_u32_e32 v50, 28, v47
	v_sub_nc_u32_e32 v47, 29, v47
	v_lshlrev_b64 v[50:51], v50, v[3:4]
	s_delay_alu instid0(VALU_DEP_1)
	v_and_b32_e32 v3, 7, v50
; %bb.223:                              ;   in Loop: Header=BB306_10 Depth=1
	s_or_b32 exec_lo, exec_lo, s43
	v_lshlrev_b32_e32 v50, 8, v49
	v_lshl_add_u32 v47, v47, 10, 0x2000
	s_delay_alu instid0(VALU_DEP_1) | instskip(NEXT) | instid1(VALU_DEP_1)
	v_and_or_b32 v47, 0x8000, v50, v47
	v_lshl_or_b32 v3, v3, 7, v47
	s_delay_alu instid0(VALU_DEP_1)
	v_cvt_f32_f16_e32 v47, v3
.LBB306_224:                            ;   in Loop: Header=BB306_10 Depth=1
	s_or_b32 exec_lo, exec_lo, s42
.LBB306_225:                            ;   in Loop: Header=BB306_10 Depth=1
	s_delay_alu instid0(SALU_CYCLE_1)
	s_or_b32 exec_lo, exec_lo, s41
.LBB306_226:                            ;   in Loop: Header=BB306_10 Depth=1
	s_delay_alu instid0(SALU_CYCLE_1) | instskip(NEXT) | instid1(VALU_DEP_2)
	s_or_b32 exec_lo, exec_lo, s4
	v_lshrrev_b16 v3, 8, v49
	v_dual_mov_b32 v49, 0 :: v_dual_mov_b32 v50, 0
	s_mov_b32 s4, exec_lo
	s_delay_alu instid0(VALU_DEP_2)
	v_cmpx_ne_u16_e32 0, v3
	s_cbranch_execz .LBB306_234
; %bb.227:                              ;   in Loop: Header=BB306_10 Depth=1
	v_bfrev_b32_e32 v50, 1
	s_mov_b32 s41, exec_lo
	v_cmpx_ne_u16_e32 0x80, v3
	s_cbranch_execz .LBB306_233
; %bb.228:                              ;   in Loop: Header=BB306_10 Depth=1
	v_and_b32_e32 v51, 0xffff, v3
	v_mov_b32_e32 v50, 0x7fc02000
	s_mov_b32 s42, exec_lo
	s_delay_alu instid0(VALU_DEP_2) | instskip(NEXT) | instid1(VALU_DEP_1)
	v_and_b32_e32 v52, 0x7f, v51
	v_cmpx_ne_u32_e32 0x7f, v52
	s_cbranch_execz .LBB306_232
; %bb.229:                              ;   in Loop: Header=BB306_10 Depth=1
	v_and_b32_e32 v3, 7, v51
	v_lshrrev_b32_e32 v50, 3, v52
	s_mov_b32 s43, exec_lo
	v_cmpx_gt_u32_e32 8, v52
; %bb.230:                              ;   in Loop: Header=BB306_10 Depth=1
	s_delay_alu instid0(VALU_DEP_3) | instskip(NEXT) | instid1(VALU_DEP_1)
	v_clz_i32_u32_e32 v50, v3
	v_min_u32_e32 v50, 32, v50
	s_delay_alu instid0(VALU_DEP_1) | instskip(SKIP_1) | instid1(VALU_DEP_2)
	v_subrev_nc_u32_e32 v52, 28, v50
	v_sub_nc_u32_e32 v50, 29, v50
	v_lshlrev_b64 v[52:53], v52, v[3:4]
	s_delay_alu instid0(VALU_DEP_1)
	v_and_b32_e32 v3, 7, v52
; %bb.231:                              ;   in Loop: Header=BB306_10 Depth=1
	s_or_b32 exec_lo, exec_lo, s43
	v_lshlrev_b32_e32 v51, 8, v51
	v_lshl_add_u32 v50, v50, 10, 0x2000
	s_delay_alu instid0(VALU_DEP_1) | instskip(NEXT) | instid1(VALU_DEP_1)
	v_and_or_b32 v50, 0x8000, v51, v50
	v_lshl_or_b32 v3, v3, 7, v50
	s_delay_alu instid0(VALU_DEP_1)
	v_cvt_f32_f16_e32 v50, v3
.LBB306_232:                            ;   in Loop: Header=BB306_10 Depth=1
	s_or_b32 exec_lo, exec_lo, s42
.LBB306_233:                            ;   in Loop: Header=BB306_10 Depth=1
	s_delay_alu instid0(SALU_CYCLE_1)
	s_or_b32 exec_lo, exec_lo, s41
.LBB306_234:                            ;   in Loop: Header=BB306_10 Depth=1
	s_delay_alu instid0(SALU_CYCLE_1)
	s_or_b32 exec_lo, exec_lo, s4
	global_load_u16 v3, v[9:10], off offset:896
	s_mov_b32 s4, exec_lo
	s_waitcnt vmcnt(0)
	v_and_b32_e32 v52, 0xff, v3
	v_and_b32_e32 v51, 0xffff, v3
	s_delay_alu instid0(VALU_DEP_2)
	v_cmpx_ne_u16_e32 0, v52
	s_cbranch_execz .LBB306_242
; %bb.235:                              ;   in Loop: Header=BB306_10 Depth=1
	s_delay_alu instid0(VALU_DEP_2) | instskip(SKIP_2) | instid1(VALU_DEP_2)
	v_and_b32_e32 v3, 0xff, v51
	v_bfrev_b32_e32 v49, 1
	s_mov_b32 s41, exec_lo
	v_cmpx_ne_u16_e32 0x80, v3
	s_cbranch_execz .LBB306_241
; %bb.236:                              ;   in Loop: Header=BB306_10 Depth=1
	v_and_b32_e32 v52, 0x7f, v51
	v_mov_b32_e32 v49, 0x7fc02000
	s_mov_b32 s42, exec_lo
	s_delay_alu instid0(VALU_DEP_2)
	v_cmpx_ne_u32_e32 0x7f, v52
	s_cbranch_execz .LBB306_240
; %bb.237:                              ;   in Loop: Header=BB306_10 Depth=1
	v_and_b32_e32 v3, 7, v51
	v_lshrrev_b32_e32 v49, 3, v52
	s_mov_b32 s43, exec_lo
	v_cmpx_gt_u32_e32 8, v52
; %bb.238:                              ;   in Loop: Header=BB306_10 Depth=1
	s_delay_alu instid0(VALU_DEP_3) | instskip(NEXT) | instid1(VALU_DEP_1)
	v_clz_i32_u32_e32 v49, v3
	v_min_u32_e32 v49, 32, v49
	s_delay_alu instid0(VALU_DEP_1) | instskip(SKIP_1) | instid1(VALU_DEP_2)
	v_subrev_nc_u32_e32 v52, 28, v49
	v_sub_nc_u32_e32 v49, 29, v49
	v_lshlrev_b64 v[52:53], v52, v[3:4]
	s_delay_alu instid0(VALU_DEP_1)
	v_and_b32_e32 v3, 7, v52
; %bb.239:                              ;   in Loop: Header=BB306_10 Depth=1
	s_or_b32 exec_lo, exec_lo, s43
	v_lshlrev_b32_e32 v52, 8, v51
	v_lshl_add_u32 v49, v49, 10, 0x2000
	s_delay_alu instid0(VALU_DEP_1) | instskip(NEXT) | instid1(VALU_DEP_1)
	v_and_or_b32 v49, 0x8000, v52, v49
	v_lshl_or_b32 v3, v3, 7, v49
	s_delay_alu instid0(VALU_DEP_1)
	v_cvt_f32_f16_e32 v49, v3
.LBB306_240:                            ;   in Loop: Header=BB306_10 Depth=1
	s_or_b32 exec_lo, exec_lo, s42
.LBB306_241:                            ;   in Loop: Header=BB306_10 Depth=1
	s_delay_alu instid0(SALU_CYCLE_1)
	s_or_b32 exec_lo, exec_lo, s41
.LBB306_242:                            ;   in Loop: Header=BB306_10 Depth=1
	s_delay_alu instid0(SALU_CYCLE_1) | instskip(NEXT) | instid1(VALU_DEP_2)
	s_or_b32 exec_lo, exec_lo, s4
	v_lshrrev_b16 v3, 8, v51
	v_dual_mov_b32 v51, 0 :: v_dual_mov_b32 v52, 0
	s_mov_b32 s4, exec_lo
	s_delay_alu instid0(VALU_DEP_2)
	v_cmpx_ne_u16_e32 0, v3
	s_cbranch_execz .LBB306_250
; %bb.243:                              ;   in Loop: Header=BB306_10 Depth=1
	v_bfrev_b32_e32 v52, 1
	s_mov_b32 s41, exec_lo
	v_cmpx_ne_u16_e32 0x80, v3
	s_cbranch_execz .LBB306_249
; %bb.244:                              ;   in Loop: Header=BB306_10 Depth=1
	v_and_b32_e32 v53, 0xffff, v3
	v_mov_b32_e32 v52, 0x7fc02000
	s_mov_b32 s42, exec_lo
	s_delay_alu instid0(VALU_DEP_2) | instskip(NEXT) | instid1(VALU_DEP_1)
	v_and_b32_e32 v54, 0x7f, v53
	v_cmpx_ne_u32_e32 0x7f, v54
	s_cbranch_execz .LBB306_248
; %bb.245:                              ;   in Loop: Header=BB306_10 Depth=1
	v_and_b32_e32 v3, 7, v53
	v_lshrrev_b32_e32 v52, 3, v54
	s_mov_b32 s43, exec_lo
	v_cmpx_gt_u32_e32 8, v54
; %bb.246:                              ;   in Loop: Header=BB306_10 Depth=1
	s_delay_alu instid0(VALU_DEP_3) | instskip(NEXT) | instid1(VALU_DEP_1)
	v_clz_i32_u32_e32 v52, v3
	v_min_u32_e32 v52, 32, v52
	s_delay_alu instid0(VALU_DEP_1) | instskip(SKIP_1) | instid1(VALU_DEP_2)
	v_subrev_nc_u32_e32 v54, 28, v52
	v_sub_nc_u32_e32 v52, 29, v52
	v_lshlrev_b64 v[54:55], v54, v[3:4]
	s_delay_alu instid0(VALU_DEP_1)
	v_and_b32_e32 v3, 7, v54
; %bb.247:                              ;   in Loop: Header=BB306_10 Depth=1
	s_or_b32 exec_lo, exec_lo, s43
	v_lshlrev_b32_e32 v53, 8, v53
	v_lshl_add_u32 v52, v52, 10, 0x2000
	s_delay_alu instid0(VALU_DEP_1) | instskip(NEXT) | instid1(VALU_DEP_1)
	v_and_or_b32 v52, 0x8000, v53, v52
	v_lshl_or_b32 v3, v3, 7, v52
	s_delay_alu instid0(VALU_DEP_1)
	v_cvt_f32_f16_e32 v52, v3
.LBB306_248:                            ;   in Loop: Header=BB306_10 Depth=1
	s_or_b32 exec_lo, exec_lo, s42
.LBB306_249:                            ;   in Loop: Header=BB306_10 Depth=1
	s_delay_alu instid0(SALU_CYCLE_1)
	s_or_b32 exec_lo, exec_lo, s41
.LBB306_250:                            ;   in Loop: Header=BB306_10 Depth=1
	s_delay_alu instid0(SALU_CYCLE_1)
	s_or_b32 exec_lo, exec_lo, s4
	global_load_u16 v3, v[9:10], off offset:904
	s_mov_b32 s4, exec_lo
	s_waitcnt vmcnt(0)
	v_and_b32_e32 v10, 0xff, v3
	v_and_b32_e32 v9, 0xffff, v3
	s_delay_alu instid0(VALU_DEP_2)
	v_cmpx_ne_u16_e32 0, v10
	s_cbranch_execz .LBB306_258
; %bb.251:                              ;   in Loop: Header=BB306_10 Depth=1
	s_delay_alu instid0(VALU_DEP_2) | instskip(SKIP_2) | instid1(VALU_DEP_2)
	v_and_b32_e32 v3, 0xff, v9
	v_bfrev_b32_e32 v51, 1
	s_mov_b32 s41, exec_lo
	v_cmpx_ne_u16_e32 0x80, v3
	s_cbranch_execz .LBB306_257
; %bb.252:                              ;   in Loop: Header=BB306_10 Depth=1
	v_and_b32_e32 v53, 0x7f, v9
	v_mov_b32_e32 v51, 0x7fc02000
	s_mov_b32 s42, exec_lo
	s_delay_alu instid0(VALU_DEP_2)
	v_cmpx_ne_u32_e32 0x7f, v53
	s_cbranch_execz .LBB306_256
; %bb.253:                              ;   in Loop: Header=BB306_10 Depth=1
	v_and_b32_e32 v3, 7, v9
	v_lshrrev_b32_e32 v10, 3, v53
	s_mov_b32 s43, exec_lo
	v_cmpx_gt_u32_e32 8, v53
; %bb.254:                              ;   in Loop: Header=BB306_10 Depth=1
	s_delay_alu instid0(VALU_DEP_3) | instskip(NEXT) | instid1(VALU_DEP_1)
	v_clz_i32_u32_e32 v10, v3
	v_min_u32_e32 v10, 32, v10
	s_delay_alu instid0(VALU_DEP_1) | instskip(SKIP_1) | instid1(VALU_DEP_2)
	v_subrev_nc_u32_e32 v51, 28, v10
	v_sub_nc_u32_e32 v10, 29, v10
	v_lshlrev_b64 v[53:54], v51, v[3:4]
	s_delay_alu instid0(VALU_DEP_1)
	v_and_b32_e32 v3, 7, v53
; %bb.255:                              ;   in Loop: Header=BB306_10 Depth=1
	s_or_b32 exec_lo, exec_lo, s43
	v_lshlrev_b32_e32 v51, 8, v9
	v_lshl_add_u32 v10, v10, 10, 0x2000
	s_delay_alu instid0(VALU_DEP_1) | instskip(NEXT) | instid1(VALU_DEP_1)
	v_and_or_b32 v10, 0x8000, v51, v10
	v_lshl_or_b32 v3, v3, 7, v10
	s_delay_alu instid0(VALU_DEP_1)
	v_cvt_f32_f16_e32 v51, v3
.LBB306_256:                            ;   in Loop: Header=BB306_10 Depth=1
	s_or_b32 exec_lo, exec_lo, s42
.LBB306_257:                            ;   in Loop: Header=BB306_10 Depth=1
	s_delay_alu instid0(SALU_CYCLE_1)
	s_or_b32 exec_lo, exec_lo, s41
.LBB306_258:                            ;   in Loop: Header=BB306_10 Depth=1
	s_delay_alu instid0(SALU_CYCLE_1) | instskip(NEXT) | instid1(VALU_DEP_2)
	s_or_b32 exec_lo, exec_lo, s4
	v_lshrrev_b16 v9, 8, v9
	v_mov_b32_e32 v3, 0
	s_mov_b32 s4, exec_lo
	s_delay_alu instid0(VALU_DEP_2)
	v_cmpx_ne_u16_e32 0, v9
	s_cbranch_execz .LBB306_266
; %bb.259:                              ;   in Loop: Header=BB306_10 Depth=1
	v_bfrev_b32_e32 v3, 1
	s_mov_b32 s41, exec_lo
	v_cmpx_ne_u16_e32 0x80, v9
	s_cbranch_execz .LBB306_265
; %bb.260:                              ;   in Loop: Header=BB306_10 Depth=1
	v_and_b32_e32 v9, 0xffff, v9
	v_mov_b32_e32 v3, 0x7fc02000
	s_mov_b32 s42, exec_lo
	s_delay_alu instid0(VALU_DEP_2) | instskip(NEXT) | instid1(VALU_DEP_1)
	v_and_b32_e32 v53, 0x7f, v9
	v_cmpx_ne_u32_e32 0x7f, v53
	s_cbranch_execz .LBB306_264
; %bb.261:                              ;   in Loop: Header=BB306_10 Depth=1
	v_and_b32_e32 v3, 7, v9
	v_lshrrev_b32_e32 v10, 3, v53
	s_mov_b32 s43, exec_lo
	v_cmpx_gt_u32_e32 8, v53
; %bb.262:                              ;   in Loop: Header=BB306_10 Depth=1
	s_delay_alu instid0(VALU_DEP_3) | instskip(NEXT) | instid1(VALU_DEP_1)
	v_clz_i32_u32_e32 v10, v3
	v_min_u32_e32 v10, 32, v10
	s_delay_alu instid0(VALU_DEP_1) | instskip(SKIP_1) | instid1(VALU_DEP_2)
	v_subrev_nc_u32_e32 v53, 28, v10
	v_sub_nc_u32_e32 v10, 29, v10
	v_lshlrev_b64 v[53:54], v53, v[3:4]
	s_delay_alu instid0(VALU_DEP_1)
	v_and_b32_e32 v3, 7, v53
; %bb.263:                              ;   in Loop: Header=BB306_10 Depth=1
	s_or_b32 exec_lo, exec_lo, s43
	v_lshlrev_b32_e32 v9, 8, v9
	v_lshl_add_u32 v10, v10, 10, 0x2000
	s_delay_alu instid0(VALU_DEP_1) | instskip(NEXT) | instid1(VALU_DEP_1)
	v_and_or_b32 v9, 0x8000, v9, v10
	v_lshl_or_b32 v3, v3, 7, v9
	s_delay_alu instid0(VALU_DEP_1)
	v_cvt_f32_f16_e32 v3, v3
.LBB306_264:                            ;   in Loop: Header=BB306_10 Depth=1
	s_or_b32 exec_lo, exec_lo, s42
.LBB306_265:                            ;   in Loop: Header=BB306_10 Depth=1
	s_delay_alu instid0(SALU_CYCLE_1)
	s_or_b32 exec_lo, exec_lo, s41
.LBB306_266:                            ;   in Loop: Header=BB306_10 Depth=1
	s_delay_alu instid0(SALU_CYCLE_1)
	s_or_b32 exec_lo, exec_lo, s4
	ds_load_b32 v9, v17
	v_fma_mixlo_f16 v10, v21, v22, 0
	v_fma_mixlo_f16 v22, v21, v24, 0
	;; [unrolled: 1-line block ×5, first 2 shown]
	v_and_b32_e32 v10, 0xffff, v10
	v_and_b32_e32 v22, 0xffff, v22
	v_fma_mixlo_f16 v28, v21, v28, 0
	v_and_b32_e32 v26, 0xffff, v26
	v_fma_mixlo_f16 v27, v21, v27, 0
	v_fma_mixlo_f16 v30, v21, v30, 0
	v_fma_mixlo_f16 v29, v21, v29, 0
	v_and_b32_e32 v28, 0xffff, v28
	v_fma_mixlo_f16 v32, v21, v32, 0
	v_fma_mixlo_f16 v31, v21, v31, 0
	v_and_b32_e32 v30, 0xffff, v30
	v_fma_mixlo_f16 v34, v21, v34, 0
	v_fma_mixlo_f16 v33, v21, v33, 0
	v_and_b32_e32 v32, 0xffff, v32
	s_waitcnt lgkmcnt(0)
	v_and_b32_e32 v24, 0xffff, v9
	v_lshrrev_b32_e32 v9, 16, v9
	;;#ASMSTART
	v_cvt_f32_f16 v24, v24;
	;;#ASMEND
	;;#ASMSTART
	v_cvt_f32_f16 v9, v9;
	;;#ASMEND
	;; [unrolled: 3-line block ×4, first 2 shown]
	ds_load_b32 v53, v17 offset:4
	v_and_b32_e32 v34, 0xffff, v34
	v_fma_mixlo_f16 v36, v21, v36, 0
	v_fma_mixlo_f16 v35, v21, v35, 0
	v_fma_mixlo_f16 v38, v21, v38, 0
	v_fma_mixlo_f16 v37, v21, v37, 0
	v_fma_mixlo_f16 v40, v21, v40, 0
	v_and_b32_e32 v36, 0xffff, v36
	v_fma_mixlo_f16 v39, v21, v39, 0
	v_and_b32_e32 v38, 0xffff, v38
	v_fma_mixlo_f16 v42, v21, v42, 0
	;; [unrolled: 2-line block ×3, first 2 shown]
	v_fma_mixlo_f16 v44, v21, v44, 0
	v_fma_mixlo_f16 v43, v21, v43, 0
	v_and_b32_e32 v42, 0xffff, v42
	v_fma_mixlo_f16 v46, v21, v46, 0
	v_fma_mixlo_f16 v45, v21, v45, 0
	v_and_b32_e32 v44, 0xffff, v44
	v_fma_mixlo_f16 v48, v21, v48, 0
	s_waitcnt lgkmcnt(0)
	v_and_b32_e32 v54, 0xffff, v53
	v_lshrrev_b32_e32 v53, 16, v53
	;;#ASMSTART
	v_cvt_f32_f16 v54, v54;
	;;#ASMEND
	;;#ASMSTART
	v_cvt_f32_f16 v53, v53;
	;;#ASMEND
	v_and_b32_e32 v23, 0xffff, v23
	;;#ASMSTART
	v_cvt_f32_f16 v23, v23;
	;;#ASMEND
	;;#ASMSTART
	v_cvt_f32_f16 v26, v26;
	;;#ASMEND
	v_mul_f32_e32 v26, v53, v26
	ds_load_b32 v55, v17 offset:8
	v_and_b32_e32 v25, 0xffff, v25
	v_dual_mul_f32 v23, v54, v23 :: v_dual_and_b32 v46, 0xffff, v46
	v_fmac_f32_e32 v26, v9, v22
	v_and_b32_e32 v48, 0xffff, v48
	v_fma_mixlo_f16 v9, v21, v47, 0
	v_fma_mixlo_f16 v3, v21, v3, 0
	v_fmac_f32_e32 v23, v24, v10
	v_fma_mixlo_f16 v10, v21, v50, 0
	s_delay_alu instid0(VALU_DEP_3) | instskip(NEXT) | instid1(VALU_DEP_2)
	v_and_b32_e32 v3, 0xffff, v3
	v_and_b32_e32 v10, 0xffff, v10
	s_waitcnt lgkmcnt(0)
	v_and_b32_e32 v56, 0xffff, v55
	v_lshrrev_b32_e32 v55, 16, v55
	;;#ASMSTART
	v_cvt_f32_f16 v56, v56;
	;;#ASMEND
	;;#ASMSTART
	v_cvt_f32_f16 v55, v55;
	;;#ASMEND
	;; [unrolled: 3-line block ×4, first 2 shown]
	ds_load_b32 v57, v17 offset:12
	v_dual_fmac_f32 v26, v55, v28 :: v_dual_and_b32 v27, 0xffff, v27
	v_fmac_f32_e32 v23, v56, v25
	v_fma_mixlo_f16 v28, v21, v52, 0
	s_delay_alu instid0(VALU_DEP_1)
	v_and_b32_e32 v28, 0xffff, v28
	s_waitcnt lgkmcnt(0)
	v_and_b32_e32 v58, 0xffff, v57
	v_lshrrev_b32_e32 v57, 16, v57
	;;#ASMSTART
	v_cvt_f32_f16 v58, v58;
	;;#ASMEND
	;;#ASMSTART
	v_cvt_f32_f16 v57, v57;
	;;#ASMEND
	;; [unrolled: 3-line block ×4, first 2 shown]
	ds_load_b32 v59, v17 offset:16
	v_dual_fmac_f32 v26, v57, v30 :: v_dual_and_b32 v29, 0xffff, v29
	v_fmac_f32_e32 v23, v58, v27
	v_fma_mixlo_f16 v27, v21, v49, 0
	s_waitcnt lgkmcnt(0)
	v_and_b32_e32 v60, 0xffff, v59
	v_lshrrev_b32_e32 v59, 16, v59
	;;#ASMSTART
	v_cvt_f32_f16 v60, v60;
	;;#ASMEND
	;;#ASMSTART
	v_cvt_f32_f16 v59, v59;
	;;#ASMEND
	;; [unrolled: 3-line block ×4, first 2 shown]
	ds_load_b32 v61, v17 offset:20
	v_dual_fmac_f32 v26, v59, v32 :: v_dual_and_b32 v31, 0xffff, v31
	v_fmac_f32_e32 v23, v60, v29
	s_waitcnt lgkmcnt(0)
	v_and_b32_e32 v62, 0xffff, v61
	v_lshrrev_b32_e32 v61, 16, v61
	;;#ASMSTART
	v_cvt_f32_f16 v62, v62;
	;;#ASMEND
	;;#ASMSTART
	v_cvt_f32_f16 v61, v61;
	;;#ASMEND
	;; [unrolled: 3-line block ×4, first 2 shown]
	ds_load_b32 v63, v17 offset:24
	v_dual_fmac_f32 v26, v61, v34 :: v_dual_and_b32 v33, 0xffff, v33
	v_fmac_f32_e32 v23, v62, v31
	v_fma_mixlo_f16 v31, v21, v51, 0
	v_xor_b32_e32 v21, 2, v11
	s_delay_alu instid0(VALU_DEP_2) | instskip(NEXT) | instid1(VALU_DEP_2)
	v_and_b32_e32 v31, 0xffff, v31
	v_cmp_gt_i32_e64 s1, 32, v21
	s_delay_alu instid0(VALU_DEP_1)
	v_cndmask_b32_e64 v21, v11, v21, s1
	s_waitcnt lgkmcnt(0)
	v_and_b32_e32 v64, 0xffff, v63
	v_lshrrev_b32_e32 v63, 16, v63
	;;#ASMSTART
	v_cvt_f32_f16 v64, v64;
	;;#ASMEND
	;;#ASMSTART
	v_cvt_f32_f16 v63, v63;
	;;#ASMEND
	;;#ASMSTART
	v_cvt_f32_f16 v33, v33;
	;;#ASMEND
	;;#ASMSTART
	v_cvt_f32_f16 v36, v36;
	;;#ASMEND
	ds_load_b32 v65, v17 offset:28
	v_dual_fmac_f32 v26, v63, v36 :: v_dual_and_b32 v35, 0xffff, v35
	v_fmac_f32_e32 v23, v64, v33
	s_waitcnt lgkmcnt(0)
	v_and_b32_e32 v66, 0xffff, v65
	v_lshrrev_b32_e32 v65, 16, v65
	;;#ASMSTART
	v_cvt_f32_f16 v66, v66;
	;;#ASMEND
	;;#ASMSTART
	v_cvt_f32_f16 v65, v65;
	;;#ASMEND
	;;#ASMSTART
	v_cvt_f32_f16 v35, v35;
	;;#ASMEND
	;;#ASMSTART
	v_cvt_f32_f16 v38, v38;
	;;#ASMEND
	ds_load_b32 v67, v17 offset:32
	v_dual_fmac_f32 v26, v65, v38 :: v_dual_and_b32 v37, 0xffff, v37
	v_fmac_f32_e32 v23, v66, v35
	;; [unrolled: 18-line block ×8, first 2 shown]
	s_waitcnt lgkmcnt(0)
	v_and_b32_e32 v29, 0xffff, v25
	v_lshrrev_b32_e32 v25, 16, v25
	;;#ASMSTART
	v_cvt_f32_f16 v29, v29;
	;;#ASMEND
	;;#ASMSTART
	v_cvt_f32_f16 v25, v25;
	;;#ASMEND
	;; [unrolled: 3-line block ×4, first 2 shown]
	v_fmac_f32_e32 v26, v25, v28
	ds_load_b32 v30, v17 offset:60
	v_fmac_f32_e32 v23, v29, v27
	s_waitcnt lgkmcnt(0)
	v_lshrrev_b32_e32 v9, 16, v30
	v_and_b32_e32 v10, 0xffff, v30
	;;#ASMSTART
	v_cvt_f32_f16 v10, v10;
	;;#ASMEND
	;;#ASMSTART
	v_cvt_f32_f16 v9, v9;
	;;#ASMEND
	;; [unrolled: 3-line block ×4, first 2 shown]
	v_dual_fmac_f32 v23, v10, v22 :: v_dual_fmac_f32 v26, v9, v3
	v_lshlrev_b32_e32 v3, 2, v21
	v_xor_b32_e32 v10, 1, v11
	s_delay_alu instid0(VALU_DEP_3) | instskip(NEXT) | instid1(VALU_DEP_2)
	v_add_f32_e32 v9, v23, v26
	v_cmp_gt_i32_e64 s1, 32, v10
	ds_bpermute_b32 v3, v3, v9
	v_cndmask_b32_e64 v10, v11, v10, s1
	s_waitcnt lgkmcnt(0)
	v_add_f32_e32 v3, v9, v3
	s_delay_alu instid0(VALU_DEP_2)
	v_lshlrev_b32_e32 v9, 2, v10
	ds_bpermute_b32 v9, v9, v3
	s_and_saveexec_b32 s4, vcc_lo
	s_cbranch_execz .LBB306_9
; %bb.267:                              ;   in Loop: Header=BB306_10 Depth=1
	s_waitcnt lgkmcnt(0)
	v_dual_add_f32 v3, v3, v9 :: v_dual_add_nc_u32 v10, s6, v18
	v_cmp_gt_i32_e64 s1, s15, v18
	s_delay_alu instid0(VALU_DEP_2) | instskip(NEXT) | instid1(VALU_DEP_1)
	v_cvt_f32_i32_e32 v10, v10
	v_mul_f32_e32 v10, s37, v10
	s_delay_alu instid0(VALU_DEP_1) | instskip(NEXT) | instid1(VALU_DEP_1)
	v_cndmask_b32_e64 v9, 0, v10, s0
	v_dual_max_f32 v10, v14, v14 :: v_dual_fmac_f32 v9, s35, v3
	s_delay_alu instid0(VALU_DEP_1) | instskip(SKIP_1) | instid1(VALU_DEP_2)
	v_max_f32_e32 v3, v10, v9
	v_cndmask_b32_e64 v9, 0, v9, s1
	v_cndmask_b32_e64 v14, v14, v3, s1
	ds_store_b32 v19, v9
	s_branch .LBB306_9
.LBB306_268:
	s_or_b32 exec_lo, exec_lo, s39
.LBB306_269:
	s_delay_alu instid0(SALU_CYCLE_1) | instskip(SKIP_3) | instid1(VALU_DEP_3)
	s_or_b32 exec_lo, exec_lo, s38
	v_xor_b32_e32 v3, 16, v11
	v_xor_b32_e32 v5, 8, v11
	v_max_f32_e32 v7, v14, v14
	v_cmp_lt_i32_e32 vcc_lo, v3, v15
	v_cndmask_b32_e32 v3, v11, v3, vcc_lo
	s_delay_alu instid0(VALU_DEP_4) | instskip(SKIP_1) | instid1(VALU_DEP_1)
	v_cmp_lt_i32_e32 vcc_lo, v5, v15
	v_cndmask_b32_e32 v5, v11, v5, vcc_lo
	v_lshlrev_b32_e32 v6, 2, v5
	s_delay_alu instid0(VALU_DEP_4) | instskip(SKIP_3) | instid1(VALU_DEP_1)
	v_lshlrev_b32_e32 v4, 2, v3
	ds_bpermute_b32 v3, v4, v14
	s_waitcnt lgkmcnt(0)
	v_dual_max_f32 v3, v3, v3 :: v_dual_and_b32 v14, 31, v0
	v_max_f32_e32 v3, v7, v3
	v_xor_b32_e32 v7, 4, v11
	ds_bpermute_b32 v5, v6, v3
	v_cmp_lt_i32_e32 vcc_lo, v7, v15
	v_cndmask_b32_e32 v7, v11, v7, vcc_lo
	v_cmp_eq_u32_e32 vcc_lo, 0, v14
	s_delay_alu instid0(VALU_DEP_2) | instskip(SKIP_3) | instid1(VALU_DEP_1)
	v_lshlrev_b32_e32 v9, 2, v7
	v_lshlrev_b32_e32 v7, 2, v13
	s_waitcnt lgkmcnt(0)
	v_max_f32_e32 v5, v5, v5
	v_max_f32_e32 v3, v3, v5
	ds_bpermute_b32 v5, v9, v3
	s_and_saveexec_b32 s0, vcc_lo
	s_cbranch_execz .LBB306_271
; %bb.270:
	s_waitcnt lgkmcnt(0)
	v_max_f32_e32 v5, v5, v5
	v_max_f32_e32 v3, v3, v3
	s_delay_alu instid0(VALU_DEP_1)
	v_max_f32_e32 v3, v3, v5
	ds_store_b32 v7, v3 offset:256
.LBB306_271:
	s_or_b32 exec_lo, exec_lo, s0
	v_cmp_gt_u32_e64 s0, 4, v14
	v_dual_mov_b32 v3, 0xff7fffff :: v_dual_lshlrev_b32 v8, 2, v14
	s_waitcnt lgkmcnt(0)
	s_barrier
	buffer_gl0_inv
	s_and_saveexec_b32 s1, s0
	s_cbranch_execz .LBB306_273
; %bb.272:
	ds_load_b32 v3, v8 offset:256
.LBB306_273:
	s_or_b32 exec_lo, exec_lo, s1
	v_xor_b32_e32 v5, 2, v11
	v_xor_b32_e32 v16, 1, v11
	s_delay_alu instid0(VALU_DEP_2) | instskip(NEXT) | instid1(VALU_DEP_1)
	v_cmp_lt_i32_e64 s1, v5, v15
	v_cndmask_b32_e64 v5, v11, v5, s1
	s_delay_alu instid0(VALU_DEP_3) | instskip(NEXT) | instid1(VALU_DEP_2)
	v_cmp_lt_i32_e64 s1, v16, v15
	v_lshlrev_b32_e32 v10, 2, v5
	s_delay_alu instid0(VALU_DEP_2)
	v_cndmask_b32_e64 v15, v11, v16, s1
	v_lshlrev_b32_e32 v11, 2, v11
	s_sub_i32 s1, s25, s7
	v_mov_b32_e32 v16, 0
	s_waitcnt lgkmcnt(0)
	ds_bpermute_b32 v5, v10, v3
	v_max_f32_e32 v3, v3, v3
	v_lshlrev_b32_e32 v15, 2, v15
	v_and_b32_e32 v11, 0xffffff80, v11
	s_lshl_b32 s1, s1, 3
	s_delay_alu instid0(SALU_CYCLE_1) | instskip(NEXT) | instid1(SALU_CYCLE_1)
	s_add_i32 s1, s1, s33
	s_min_i32 s1, s1, s15
	s_delay_alu instid0(SALU_CYCLE_1) | instskip(NEXT) | instid1(SALU_CYCLE_1)
	s_sub_i32 s6, s1, s33
	v_cmp_gt_i32_e64 s1, s6, v0
	s_waitcnt lgkmcnt(0)
	v_max_f32_e32 v5, v5, v5
	s_delay_alu instid0(VALU_DEP_1) | instskip(SKIP_3) | instid1(VALU_DEP_1)
	v_max_f32_e32 v3, v3, v5
	ds_bpermute_b32 v5, v15, v3
	s_waitcnt lgkmcnt(0)
	v_max_f32_e32 v5, v5, v5
	v_max_f32_e32 v3, v3, v5
	v_lshl_add_u32 v5, v0, 2, 0x120
	ds_bpermute_b32 v3, v11, v3
	s_and_saveexec_b32 s7, s1
	s_cbranch_execz .LBB306_277
; %bb.274:
	v_lshl_add_u32 v17, v0, 2, 0x120
	v_mov_b32_e32 v16, 0
	v_mov_b32_e32 v18, v0
	s_mov_b32 s8, 0
	.p2align	6
.LBB306_275:                            ; =>This Inner Loop Header: Depth=1
	ds_load_b32 v19, v17
	v_add_nc_u32_e32 v18, 0x80, v18
	s_delay_alu instid0(VALU_DEP_1) | instskip(NEXT) | instid1(VALU_DEP_1)
	v_cmp_le_i32_e64 s4, s6, v18
	s_or_b32 s8, s4, s8
	s_waitcnt lgkmcnt(0)
	v_sub_f32_e32 v19, v19, v3
	s_delay_alu instid0(VALU_DEP_1) | instskip(NEXT) | instid1(VALU_DEP_1)
	v_mul_f32_e32 v19, 0x3fb8aa3b, v19
	v_exp_f32_e32 v19, v19
	ds_store_b32 v17, v19
	v_dual_add_f32 v16, v16, v19 :: v_dual_add_nc_u32 v17, 0x200, v17
	s_and_not1_b32 exec_lo, exec_lo, s8
	s_cbranch_execnz .LBB306_275
; %bb.276:
	s_or_b32 exec_lo, exec_lo, s8
.LBB306_277:
	s_delay_alu instid0(SALU_CYCLE_1)
	s_or_b32 exec_lo, exec_lo, s7
	ds_bpermute_b32 v4, v4, v16
	s_waitcnt lgkmcnt(0)
	v_add_f32_e32 v4, v16, v4
	ds_bpermute_b32 v6, v6, v4
	s_waitcnt lgkmcnt(0)
	v_add_f32_e32 v4, v4, v6
	;; [unrolled: 3-line block ×5, first 2 shown]
	s_and_saveexec_b32 s4, vcc_lo
	s_cbranch_execz .LBB306_279
; %bb.278:
	ds_store_b32 v7, v4 offset:272
.LBB306_279:
	s_or_b32 exec_lo, exec_lo, s4
	s_waitcnt lgkmcnt(0)
	s_barrier
	buffer_gl0_inv
	s_and_saveexec_b32 s4, s0
	s_cbranch_execz .LBB306_281
; %bb.280:
	ds_load_b32 v4, v8 offset:272
.LBB306_281:
	s_or_b32 exec_lo, exec_lo, s4
	s_waitcnt lgkmcnt(0)
	ds_bpermute_b32 v6, v10, v4
	s_waitcnt lgkmcnt(0)
	v_add_f32_e32 v4, v4, v6
	ds_bpermute_b32 v6, v15, v4
	s_waitcnt lgkmcnt(0)
	v_add_f32_e32 v4, v4, v6
	ds_bpermute_b32 v4, v11, v4
	s_and_saveexec_b32 s0, s1
	s_cbranch_execz .LBB306_284
; %bb.282:
	s_waitcnt lgkmcnt(0)
	v_add_f32_e32 v6, 0x358637bd, v4
	s_mov_b32 s1, 0
	s_delay_alu instid0(VALU_DEP_1) | instskip(SKIP_1) | instid1(VALU_DEP_2)
	v_div_scale_f32 v7, null, v6, v6, 1.0
	v_div_scale_f32 v10, vcc_lo, 1.0, v6, 1.0
	v_rcp_f32_e32 v8, v7
	s_waitcnt_depctr 0xfff
	v_fma_f32 v9, -v7, v8, 1.0
	s_delay_alu instid0(VALU_DEP_1) | instskip(NEXT) | instid1(VALU_DEP_1)
	v_fmac_f32_e32 v8, v9, v8
	v_mul_f32_e32 v9, v10, v8
	s_delay_alu instid0(VALU_DEP_1) | instskip(NEXT) | instid1(VALU_DEP_1)
	v_fma_f32 v11, -v7, v9, v10
	v_fmac_f32_e32 v9, v11, v8
	s_delay_alu instid0(VALU_DEP_1) | instskip(NEXT) | instid1(VALU_DEP_1)
	v_fma_f32 v7, -v7, v9, v10
	v_div_fmas_f32 v7, v7, v8, v9
	s_delay_alu instid0(VALU_DEP_1)
	v_div_fixup_f32 v6, v7, v6, 1.0
	v_mov_b32_e32 v7, v0
.LBB306_283:                            ; =>This Inner Loop Header: Depth=1
	ds_load_b32 v8, v5
	s_waitcnt lgkmcnt(0)
	v_dual_mul_f32 v8, v6, v8 :: v_dual_add_nc_u32 v7, 0x80, v7
	s_delay_alu instid0(VALU_DEP_1) | instskip(SKIP_3) | instid1(SALU_CYCLE_1)
	v_cmp_le_i32_e32 vcc_lo, s6, v7
	ds_store_b32 v5, v8
	v_add_nc_u32_e32 v5, 0x200, v5
	s_or_b32 s1, vcc_lo, s1
	s_and_not1_b32 exec_lo, exec_lo, s1
	s_cbranch_execnz .LBB306_283
.LBB306_284:
	s_or_b32 exec_lo, exec_lo, s0
	s_mul_i32 s0, s21, s14
	s_waitcnt lgkmcnt(0)
	s_mul_i32 s6, s0, s13
	s_mov_b32 s0, exec_lo
	s_barrier
	buffer_gl0_inv
	v_cmpx_eq_u32_e32 0, v0
	s_cbranch_execz .LBB306_286
; %bb.285:
	s_ashr_i32 s7, s6, 31
	s_mul_i32 s38, s21, s24
	s_lshl_b64 s[8:9], s[6:7], 2
	v_mov_b32_e32 v5, 0
	s_add_u32 s1, s18, s8
	s_addc_u32 s4, s19, s9
	s_ashr_i32 s39, s38, 31
	s_delay_alu instid0(SALU_CYCLE_1) | instskip(NEXT) | instid1(SALU_CYCLE_1)
	s_lshl_b64 s[18:19], s[38:39], 2
	s_add_u32 s1, s1, s18
	s_addc_u32 s4, s4, s19
	s_ashr_i32 s13, s12, 31
	s_delay_alu instid0(SALU_CYCLE_1) | instskip(NEXT) | instid1(SALU_CYCLE_1)
	s_lshl_b64 s[38:39], s[12:13], 2
	s_add_u32 s40, s1, s38
	s_addc_u32 s41, s4, s39
	s_add_u32 s1, s16, s8
	s_addc_u32 s4, s17, s9
	;; [unrolled: 2-line block ×4, first 2 shown]
	s_clause 0x1
	global_store_b32 v5, v3, s[40:41]
	global_store_b32 v5, v4, s[8:9]
.LBB306_286:
	s_or_b32 exec_lo, exec_lo, s0
	v_dual_mov_b32 v15, 0 :: v_dual_mov_b32 v18, 0
	v_dual_mov_b32 v17, 0 :: v_dual_mov_b32 v16, 0
	s_mov_b32 s4, 0
	s_and_saveexec_b32 s1, s3
	s_cbranch_execz .LBB306_538
; %bb.287:
	v_dual_mov_b32 v3, 0 :: v_dual_lshlrev_b32 v4, 3, v14
	s_ashr_i32 s0, s36, 31
	s_add_u32 s3, s30, s36
	v_lshlrev_b64 v[6:7], 2, v[1:2]
	s_addc_u32 s0, s31, s0
	v_add_co_u32 v4, s3, s3, v4
	s_lshl_b64 s[16:17], s[28:29], 2
	s_add_i32 s34, s34, -1
	v_add_co_ci_u32_e64 v5, null, s0, 0, s3
	s_add_u32 s0, s26, s16
	s_addc_u32 s3, s27, s17
	v_add_co_u32 v6, vcc_lo, s0, v6
	v_lshl_add_u32 v19, v13, 3, s33
	v_lshl_add_u32 v20, v13, 5, 0x120
	v_add_co_ci_u32_e32 v7, vcc_lo, s3, v7, vcc_lo
	v_dual_mov_b32 v16, 0 :: v_dual_mov_b32 v17, 0
	v_dual_mov_b32 v18, 0 :: v_dual_mov_b32 v15, 0
	s_mov_b32 s8, -1
	s_mov_b32 s9, 0xffffff
	s_mov_b32 s3, s5
	;; [unrolled: 1-line block ×3, first 2 shown]
	s_branch .LBB306_289
.LBB306_288:                            ;   in Loop: Header=BB306_289 Depth=1
	s_or_b32 exec_lo, exec_lo, s0
	;;#ASMSTART
	v_pk_mul_f16 v21, v31, v37;

	;;#ASMEND
	;;#ASMSTART
	v_pk_mul_f16 v9, v30, v9;

	;;#ASMEND
	;; [unrolled: 4-line block ×4, first 2 shown]
	;;#ASMSTART
	v_pk_add_f16 v9, v21, v9;

	;;#ASMEND
	;;#ASMSTART
	v_pk_add_f16 v2, v9, v2;

	;;#ASMEND
	;; [unrolled: 4-line block ×3, first 2 shown]
	v_dual_add_f32 v9, v32, v33 :: v_dual_and_b32 v8, 0xffff, v2
	v_lshrrev_b32_e32 v2, 16, v2
	v_dual_add_f32 v10, v10, v11 :: v_dual_add_nc_u32 v1, 4, v1
	;;#ASMSTART
	v_cvt_f32_f16 v8, v8;
	;;#ASMEND
	;;#ASMSTART
	v_cvt_f32_f16 v2, v2;
	;;#ASMEND
	s_delay_alu instid0(VALU_DEP_2) | instskip(NEXT) | instid1(VALU_DEP_2)
	v_dual_add_f32 v21, v34, v35 :: v_dual_add_f32 v2, v8, v2
	v_cmp_le_i32_e32 vcc_lo, s25, v1
	v_add_co_u32 v6, s0, v6, 16
	v_dual_add_f32 v16, v16, v9 :: v_dual_add_f32 v17, v17, v10
	s_delay_alu instid0(VALU_DEP_4) | instskip(SKIP_4) | instid1(SALU_CYCLE_1)
	v_dual_add_f32 v18, v18, v21 :: v_dual_add_f32 v15, v15, v2
	v_add_nc_u32_e32 v19, 32, v19
	v_add_nc_u32_e32 v20, 0x80, v20
	v_add_co_ci_u32_e64 v7, s0, 0, v7, s0
	s_or_b32 s4, vcc_lo, s4
	s_and_not1_b32 exec_lo, exec_lo, s4
	s_cbranch_execz .LBB306_537
.LBB306_289:                            ; =>This Inner Loop Header: Depth=1
	global_load_b32 v2, v[6:7], off
	ds_load_2addr_b64 v[21:24], v20 offset1:1
	ds_load_2addr_b64 v[34:37], v20 offset0:2 offset1:3
	s_mov_b32 s0, exec_lo
	s_waitcnt lgkmcnt(1)
	;;#ASMSTART
	v_cvt_f16_f32 v28, v21;

	;;#ASMEND
	;;#ASMSTART
	v_cvt_f16_f32 v29, v22;

	;;#ASMEND
	;; [unrolled: 4-line block ×4, first 2 shown]
	s_waitcnt lgkmcnt(0)
	;;#ASMSTART
	v_cvt_f16_f32 v34, v34;

	;;#ASMEND
	;;#ASMSTART
	v_cvt_f16_f32 v32, v35;

	;;#ASMEND
	;; [unrolled: 4-line block ×4, first 2 shown]
	v_mov_b32_e32 v22, 0
	s_waitcnt vmcnt(0)
	v_mad_i64_i32 v[8:9], null, v2, s3, v[4:5]
	global_load_b64 v[10:11], v[8:9], off
	global_load_b32 v21, v3, s[10:11]
	s_waitcnt vmcnt(1)
	v_and_b32_e32 v2, 0xff, v10
	s_delay_alu instid0(VALU_DEP_1)
	v_cmpx_ne_u16_e32 0, v2
	s_cbranch_execz .LBB306_295
; %bb.290:                              ;   in Loop: Header=BB306_289 Depth=1
	v_bfrev_b32_e32 v22, 1
	s_mov_b32 s7, exec_lo
	v_cmpx_ne_u16_e32 0x80, v2
	s_cbranch_execz .LBB306_294
; %bb.291:                              ;   in Loop: Header=BB306_289 Depth=1
	v_and_b32_e32 v2, 0x7f, v10
	v_mov_b32_e32 v22, 0x7fc02000
	s_mov_b32 s13, exec_lo
	s_delay_alu instid0(VALU_DEP_2)
	v_cmpx_ne_u32_e32 0x7f, v2
	s_cbranch_execz .LBB306_293
; %bb.292:                              ;   in Loop: Header=BB306_289 Depth=1
	v_and_b32_e32 v22, 7, v10
	v_cmp_gt_u32_e32 vcc_lo, 8, v2
	v_lshrrev_b32_e32 v23, 3, v2
	s_delay_alu instid0(VALU_DEP_3) | instskip(NEXT) | instid1(VALU_DEP_1)
	v_clz_i32_u32_e32 v22, v22
	v_min_u32_e32 v22, 32, v22
	s_delay_alu instid0(VALU_DEP_1) | instskip(SKIP_1) | instid1(VALU_DEP_2)
	v_subrev_nc_u32_e32 v24, 28, v22
	v_sub_nc_u32_e32 v22, 29, v22
	v_cndmask_b32_e32 v2, 0, v24, vcc_lo
	s_delay_alu instid0(VALU_DEP_2) | instskip(NEXT) | instid1(VALU_DEP_2)
	v_cndmask_b32_e32 v24, v23, v22, vcc_lo
	v_lshlrev_b64 v[22:23], v2, v[10:11]
	v_lshlrev_b32_e32 v2, 8, v10
	s_delay_alu instid0(VALU_DEP_3) | instskip(NEXT) | instid1(VALU_DEP_3)
	v_lshl_add_u32 v23, v24, 10, 0x2000
	v_lshlrev_b32_e32 v22, 7, v22
	s_delay_alu instid0(VALU_DEP_2) | instskip(NEXT) | instid1(VALU_DEP_1)
	v_and_or_b32 v2, 0x8000, v2, v23
	v_and_or_b32 v2, 0x380, v22, v2
	s_delay_alu instid0(VALU_DEP_1)
	v_cvt_f32_f16_e32 v22, v2
.LBB306_293:                            ;   in Loop: Header=BB306_289 Depth=1
	s_or_b32 exec_lo, exec_lo, s13
.LBB306_294:                            ;   in Loop: Header=BB306_289 Depth=1
	s_delay_alu instid0(SALU_CYCLE_1)
	s_or_b32 exec_lo, exec_lo, s7
.LBB306_295:                            ;   in Loop: Header=BB306_289 Depth=1
	s_delay_alu instid0(SALU_CYCLE_1) | instskip(SKIP_3) | instid1(VALU_DEP_2)
	s_or_b32 exec_lo, exec_lo, s0
	v_lshrrev_b16 v2, 8, v10
	v_dual_mov_b32 v24, 0 :: v_dual_mov_b32 v23, 0
	s_mov_b32 s0, exec_lo
	v_cmpx_ne_u16_e32 0, v2
	s_cbranch_execz .LBB306_303
; %bb.296:                              ;   in Loop: Header=BB306_289 Depth=1
	v_bfrev_b32_e32 v23, 1
	s_mov_b32 s7, exec_lo
	v_cmpx_ne_u16_e32 0x80, v2
	s_cbranch_execz .LBB306_302
; %bb.297:                              ;   in Loop: Header=BB306_289 Depth=1
	v_and_b32_e32 v25, 0xffff, v2
	v_mov_b32_e32 v23, 0x7fc02000
	s_mov_b32 s13, exec_lo
	s_delay_alu instid0(VALU_DEP_2) | instskip(NEXT) | instid1(VALU_DEP_1)
	v_and_b32_e32 v26, 0x7f, v25
	v_cmpx_ne_u32_e32 0x7f, v26
	s_cbranch_execz .LBB306_301
; %bb.298:                              ;   in Loop: Header=BB306_289 Depth=1
	v_and_b32_e32 v2, 7, v25
	v_lshrrev_b32_e32 v23, 3, v26
	s_mov_b32 s14, exec_lo
	v_cmpx_gt_u32_e32 8, v26
; %bb.299:                              ;   in Loop: Header=BB306_289 Depth=1
	s_delay_alu instid0(VALU_DEP_3) | instskip(NEXT) | instid1(VALU_DEP_1)
	v_clz_i32_u32_e32 v23, v2
	v_min_u32_e32 v23, 32, v23
	s_delay_alu instid0(VALU_DEP_1) | instskip(SKIP_1) | instid1(VALU_DEP_2)
	v_subrev_nc_u32_e32 v26, 28, v23
	v_sub_nc_u32_e32 v23, 29, v23
	v_lshlrev_b64 v[26:27], v26, v[2:3]
	s_delay_alu instid0(VALU_DEP_1)
	v_and_b32_e32 v2, 7, v26
; %bb.300:                              ;   in Loop: Header=BB306_289 Depth=1
	s_or_b32 exec_lo, exec_lo, s14
	v_lshlrev_b32_e32 v25, 8, v25
	v_lshl_add_u32 v23, v23, 10, 0x2000
	s_delay_alu instid0(VALU_DEP_1) | instskip(NEXT) | instid1(VALU_DEP_1)
	v_and_or_b32 v23, 0x8000, v25, v23
	v_lshl_or_b32 v2, v2, 7, v23
	s_delay_alu instid0(VALU_DEP_1)
	v_cvt_f32_f16_e32 v23, v2
.LBB306_301:                            ;   in Loop: Header=BB306_289 Depth=1
	s_or_b32 exec_lo, exec_lo, s13
.LBB306_302:                            ;   in Loop: Header=BB306_289 Depth=1
	s_delay_alu instid0(SALU_CYCLE_1)
	s_or_b32 exec_lo, exec_lo, s7
.LBB306_303:                            ;   in Loop: Header=BB306_289 Depth=1
	s_delay_alu instid0(SALU_CYCLE_1) | instskip(SKIP_2) | instid1(VALU_DEP_1)
	s_or_b32 exec_lo, exec_lo, s0
	v_lshrrev_b32_e32 v25, 16, v10
	s_mov_b32 s0, exec_lo
	v_and_b32_e32 v2, 0xff, v25
	s_delay_alu instid0(VALU_DEP_1)
	v_cmpx_ne_u16_e32 0, v2
	s_cbranch_execz .LBB306_311
; %bb.304:                              ;   in Loop: Header=BB306_289 Depth=1
	v_bfrev_b32_e32 v24, 1
	s_mov_b32 s7, exec_lo
	v_cmpx_ne_u16_e32 0x80, v2
	s_cbranch_execz .LBB306_310
; %bb.305:                              ;   in Loop: Header=BB306_289 Depth=1
	v_bfe_u32 v26, v10, 16, 7
	v_mov_b32_e32 v24, 0x7fc02000
	s_mov_b32 s13, exec_lo
	s_delay_alu instid0(VALU_DEP_2)
	v_cmpx_ne_u32_e32 0x7f, v26
	s_cbranch_execz .LBB306_309
; %bb.306:                              ;   in Loop: Header=BB306_289 Depth=1
	v_and_b32_e32 v2, 7, v25
	v_lshrrev_b32_e32 v24, 3, v26
	s_mov_b32 s14, exec_lo
	v_cmpx_gt_u32_e32 8, v26
; %bb.307:                              ;   in Loop: Header=BB306_289 Depth=1
	s_delay_alu instid0(VALU_DEP_3) | instskip(NEXT) | instid1(VALU_DEP_1)
	v_clz_i32_u32_e32 v24, v2
	v_min_u32_e32 v24, 32, v24
	s_delay_alu instid0(VALU_DEP_1) | instskip(SKIP_1) | instid1(VALU_DEP_2)
	v_subrev_nc_u32_e32 v26, 28, v24
	v_sub_nc_u32_e32 v24, 29, v24
	v_lshlrev_b64 v[26:27], v26, v[2:3]
	s_delay_alu instid0(VALU_DEP_1)
	v_and_b32_e32 v2, 7, v26
; %bb.308:                              ;   in Loop: Header=BB306_289 Depth=1
	s_or_b32 exec_lo, exec_lo, s14
	v_lshlrev_b32_e32 v25, 8, v25
	v_lshl_add_u32 v24, v24, 10, 0x2000
	s_delay_alu instid0(VALU_DEP_1) | instskip(NEXT) | instid1(VALU_DEP_1)
	v_and_or_b32 v24, 0x8000, v25, v24
	v_lshl_or_b32 v2, v2, 7, v24
	s_delay_alu instid0(VALU_DEP_1)
	v_cvt_f32_f16_e32 v24, v2
.LBB306_309:                            ;   in Loop: Header=BB306_289 Depth=1
	s_or_b32 exec_lo, exec_lo, s13
.LBB306_310:                            ;   in Loop: Header=BB306_289 Depth=1
	s_delay_alu instid0(SALU_CYCLE_1)
	s_or_b32 exec_lo, exec_lo, s7
.LBB306_311:                            ;   in Loop: Header=BB306_289 Depth=1
	s_delay_alu instid0(SALU_CYCLE_1)
	s_or_b32 exec_lo, exec_lo, s0
	v_dual_mov_b32 v25, 0 :: v_dual_mov_b32 v26, 0
	s_mov_b32 s0, exec_lo
	v_cmpx_lt_u32_e32 0xffffff, v10
	s_cbranch_execz .LBB306_319
; %bb.312:                              ;   in Loop: Header=BB306_289 Depth=1
	v_lshrrev_b32_e32 v27, 24, v10
	v_bfrev_b32_e32 v26, 1
	s_mov_b32 s7, exec_lo
	s_delay_alu instid0(VALU_DEP_2)
	v_cmpx_ne_u32_e32 0x80, v27
	s_cbranch_execz .LBB306_318
; %bb.313:                              ;   in Loop: Header=BB306_289 Depth=1
	v_and_b32_e32 v36, 0x7f, v27
	v_mov_b32_e32 v26, 0x7fc02000
	s_mov_b32 s13, exec_lo
	s_delay_alu instid0(VALU_DEP_2)
	v_cmpx_ne_u32_e32 0x7f, v36
	s_cbranch_execz .LBB306_317
; %bb.314:                              ;   in Loop: Header=BB306_289 Depth=1
	v_and_b32_e32 v2, 7, v27
	v_lshrrev_b32_e32 v26, 3, v36
	s_mov_b32 s14, exec_lo
	v_cmpx_gt_u32_e32 8, v36
; %bb.315:                              ;   in Loop: Header=BB306_289 Depth=1
	s_delay_alu instid0(VALU_DEP_3) | instskip(NEXT) | instid1(VALU_DEP_1)
	v_clz_i32_u32_e32 v26, v2
	v_min_u32_e32 v26, 32, v26
	s_delay_alu instid0(VALU_DEP_1) | instskip(SKIP_1) | instid1(VALU_DEP_2)
	v_subrev_nc_u32_e32 v36, 28, v26
	v_sub_nc_u32_e32 v26, 29, v26
	v_lshlrev_b64 v[36:37], v36, v[2:3]
	s_delay_alu instid0(VALU_DEP_1)
	v_and_b32_e32 v2, 7, v36
; %bb.316:                              ;   in Loop: Header=BB306_289 Depth=1
	s_or_b32 exec_lo, exec_lo, s14
	v_lshlrev_b32_e32 v27, 8, v27
	v_lshl_add_u32 v26, v26, 10, 0x2000
	s_delay_alu instid0(VALU_DEP_1) | instskip(NEXT) | instid1(VALU_DEP_1)
	v_and_or_b32 v26, 0x8000, v27, v26
	v_lshl_or_b32 v2, v2, 7, v26
	s_delay_alu instid0(VALU_DEP_1)
	v_cvt_f32_f16_e32 v26, v2
.LBB306_317:                            ;   in Loop: Header=BB306_289 Depth=1
	s_or_b32 exec_lo, exec_lo, s13
.LBB306_318:                            ;   in Loop: Header=BB306_289 Depth=1
	s_delay_alu instid0(SALU_CYCLE_1)
	s_or_b32 exec_lo, exec_lo, s7
.LBB306_319:                            ;   in Loop: Header=BB306_289 Depth=1
	s_delay_alu instid0(SALU_CYCLE_1) | instskip(SKIP_2) | instid1(VALU_DEP_1)
	s_or_b32 exec_lo, exec_lo, s0
	v_dual_mov_b32 v2, v11 :: v_dual_and_b32 v27, 0xff, v11
	s_mov_b32 s0, exec_lo
	v_cmpx_ne_u16_e32 0, v27
	s_cbranch_execz .LBB306_325
; %bb.320:                              ;   in Loop: Header=BB306_289 Depth=1
	v_bfrev_b32_e32 v25, 1
	s_mov_b32 s7, exec_lo
	v_cmpx_ne_u16_e32 0x80, v27
	s_cbranch_execz .LBB306_324
; %bb.321:                              ;   in Loop: Header=BB306_289 Depth=1
	v_and_b32_e32 v27, 0x7f, v11
	v_mov_b32_e32 v25, 0x7fc02000
	s_mov_b32 s13, exec_lo
	s_delay_alu instid0(VALU_DEP_2)
	v_cmpx_ne_u32_e32 0x7f, v27
	s_cbranch_execz .LBB306_323
; %bb.322:                              ;   in Loop: Header=BB306_289 Depth=1
	v_and_b32_e32 v25, 7, v11
	v_cmp_gt_u32_e32 vcc_lo, 8, v27
	v_lshrrev_b32_e32 v36, 3, v27
	s_delay_alu instid0(VALU_DEP_3) | instskip(NEXT) | instid1(VALU_DEP_1)
	v_clz_i32_u32_e32 v25, v25
	v_min_u32_e32 v25, 32, v25
	s_delay_alu instid0(VALU_DEP_1) | instskip(SKIP_1) | instid1(VALU_DEP_2)
	v_subrev_nc_u32_e32 v37, 28, v25
	v_sub_nc_u32_e32 v25, 29, v25
	v_cndmask_b32_e32 v27, 0, v37, vcc_lo
	s_delay_alu instid0(VALU_DEP_2) | instskip(NEXT) | instid1(VALU_DEP_2)
	v_cndmask_b32_e32 v25, v36, v25, vcc_lo
	v_lshlrev_b64 v[36:37], v27, v[2:3]
	v_lshlrev_b32_e32 v27, 8, v11
	s_delay_alu instid0(VALU_DEP_3) | instskip(NEXT) | instid1(VALU_DEP_3)
	v_lshl_add_u32 v25, v25, 10, 0x2000
	v_lshlrev_b32_e32 v36, 7, v36
	s_delay_alu instid0(VALU_DEP_2) | instskip(NEXT) | instid1(VALU_DEP_1)
	v_and_or_b32 v25, 0x8000, v27, v25
	v_and_or_b32 v25, 0x380, v36, v25
	s_delay_alu instid0(VALU_DEP_1)
	v_cvt_f32_f16_e32 v25, v25
.LBB306_323:                            ;   in Loop: Header=BB306_289 Depth=1
	s_or_b32 exec_lo, exec_lo, s13
.LBB306_324:                            ;   in Loop: Header=BB306_289 Depth=1
	s_delay_alu instid0(SALU_CYCLE_1)
	s_or_b32 exec_lo, exec_lo, s7
.LBB306_325:                            ;   in Loop: Header=BB306_289 Depth=1
	s_delay_alu instid0(SALU_CYCLE_1) | instskip(SKIP_3) | instid1(VALU_DEP_2)
	s_or_b32 exec_lo, exec_lo, s0
	v_lshrrev_b16 v2, 8, v2
	v_dual_mov_b32 v27, 0 :: v_dual_mov_b32 v36, 0
	s_mov_b32 s0, exec_lo
	v_cmpx_ne_u16_e32 0, v2
	s_cbranch_execz .LBB306_333
; %bb.326:                              ;   in Loop: Header=BB306_289 Depth=1
	v_bfrev_b32_e32 v36, 1
	s_mov_b32 s7, exec_lo
	v_cmpx_ne_u16_e32 0x80, v2
	s_cbranch_execz .LBB306_332
; %bb.327:                              ;   in Loop: Header=BB306_289 Depth=1
	v_and_b32_e32 v37, 0xffff, v2
	v_mov_b32_e32 v36, 0x7fc02000
	s_mov_b32 s13, exec_lo
	s_delay_alu instid0(VALU_DEP_2) | instskip(NEXT) | instid1(VALU_DEP_1)
	v_and_b32_e32 v38, 0x7f, v37
	v_cmpx_ne_u32_e32 0x7f, v38
	s_cbranch_execz .LBB306_331
; %bb.328:                              ;   in Loop: Header=BB306_289 Depth=1
	v_and_b32_e32 v2, 7, v37
	v_lshrrev_b32_e32 v36, 3, v38
	s_mov_b32 s14, exec_lo
	v_cmpx_gt_u32_e32 8, v38
; %bb.329:                              ;   in Loop: Header=BB306_289 Depth=1
	s_delay_alu instid0(VALU_DEP_3) | instskip(NEXT) | instid1(VALU_DEP_1)
	v_clz_i32_u32_e32 v36, v2
	v_min_u32_e32 v36, 32, v36
	s_delay_alu instid0(VALU_DEP_1) | instskip(SKIP_1) | instid1(VALU_DEP_2)
	v_subrev_nc_u32_e32 v38, 28, v36
	v_sub_nc_u32_e32 v36, 29, v36
	v_lshlrev_b64 v[38:39], v38, v[2:3]
	s_delay_alu instid0(VALU_DEP_1)
	v_and_b32_e32 v2, 7, v38
; %bb.330:                              ;   in Loop: Header=BB306_289 Depth=1
	s_or_b32 exec_lo, exec_lo, s14
	v_lshlrev_b32_e32 v37, 8, v37
	v_lshl_add_u32 v36, v36, 10, 0x2000
	s_delay_alu instid0(VALU_DEP_1) | instskip(NEXT) | instid1(VALU_DEP_1)
	v_and_or_b32 v36, 0x8000, v37, v36
	v_lshl_or_b32 v2, v2, 7, v36
	s_delay_alu instid0(VALU_DEP_1)
	v_cvt_f32_f16_e32 v36, v2
.LBB306_331:                            ;   in Loop: Header=BB306_289 Depth=1
	s_or_b32 exec_lo, exec_lo, s13
.LBB306_332:                            ;   in Loop: Header=BB306_289 Depth=1
	s_delay_alu instid0(SALU_CYCLE_1)
	s_or_b32 exec_lo, exec_lo, s7
.LBB306_333:                            ;   in Loop: Header=BB306_289 Depth=1
	s_delay_alu instid0(SALU_CYCLE_1) | instskip(SKIP_2) | instid1(VALU_DEP_1)
	s_or_b32 exec_lo, exec_lo, s0
	v_lshrrev_b32_e32 v37, 16, v11
	s_mov_b32 s0, exec_lo
	v_and_b32_e32 v2, 0xff, v37
	s_delay_alu instid0(VALU_DEP_1)
	v_cmpx_ne_u16_e32 0, v2
	s_cbranch_execz .LBB306_341
; %bb.334:                              ;   in Loop: Header=BB306_289 Depth=1
	v_bfrev_b32_e32 v27, 1
	s_mov_b32 s7, exec_lo
	v_cmpx_ne_u16_e32 0x80, v2
	s_cbranch_execz .LBB306_340
; %bb.335:                              ;   in Loop: Header=BB306_289 Depth=1
	v_bfe_u32 v38, v11, 16, 7
	v_mov_b32_e32 v27, 0x7fc02000
	s_mov_b32 s13, exec_lo
	s_delay_alu instid0(VALU_DEP_2)
	v_cmpx_ne_u32_e32 0x7f, v38
	s_cbranch_execz .LBB306_339
; %bb.336:                              ;   in Loop: Header=BB306_289 Depth=1
	v_and_b32_e32 v2, 7, v37
	v_lshrrev_b32_e32 v27, 3, v38
	s_mov_b32 s14, exec_lo
	v_cmpx_gt_u32_e32 8, v38
; %bb.337:                              ;   in Loop: Header=BB306_289 Depth=1
	s_delay_alu instid0(VALU_DEP_3) | instskip(NEXT) | instid1(VALU_DEP_1)
	v_clz_i32_u32_e32 v27, v2
	v_min_u32_e32 v27, 32, v27
	s_delay_alu instid0(VALU_DEP_1) | instskip(SKIP_1) | instid1(VALU_DEP_2)
	v_subrev_nc_u32_e32 v38, 28, v27
	v_sub_nc_u32_e32 v27, 29, v27
	v_lshlrev_b64 v[38:39], v38, v[2:3]
	s_delay_alu instid0(VALU_DEP_1)
	v_and_b32_e32 v2, 7, v38
; %bb.338:                              ;   in Loop: Header=BB306_289 Depth=1
	s_or_b32 exec_lo, exec_lo, s14
	v_lshlrev_b32_e32 v37, 8, v37
	v_lshl_add_u32 v27, v27, 10, 0x2000
	s_delay_alu instid0(VALU_DEP_1) | instskip(NEXT) | instid1(VALU_DEP_1)
	v_and_or_b32 v27, 0x8000, v37, v27
	v_lshl_or_b32 v2, v2, 7, v27
	s_delay_alu instid0(VALU_DEP_1)
	v_cvt_f32_f16_e32 v27, v2
.LBB306_339:                            ;   in Loop: Header=BB306_289 Depth=1
	s_or_b32 exec_lo, exec_lo, s13
.LBB306_340:                            ;   in Loop: Header=BB306_289 Depth=1
	s_delay_alu instid0(SALU_CYCLE_1)
	s_or_b32 exec_lo, exec_lo, s7
.LBB306_341:                            ;   in Loop: Header=BB306_289 Depth=1
	s_delay_alu instid0(SALU_CYCLE_1)
	s_or_b32 exec_lo, exec_lo, s0
	v_mov_b32_e32 v2, 0
	s_mov_b32 s0, exec_lo
	v_cmpx_lt_u64_e64 s[8:9], v[10:11]
	s_cbranch_execz .LBB306_349
; %bb.342:                              ;   in Loop: Header=BB306_289 Depth=1
	v_lshrrev_b32_e32 v10, 24, v11
	v_bfrev_b32_e32 v2, 1
	s_mov_b32 s7, exec_lo
	s_delay_alu instid0(VALU_DEP_2)
	v_cmpx_ne_u32_e32 0x80, v10
	s_cbranch_execz .LBB306_348
; %bb.343:                              ;   in Loop: Header=BB306_289 Depth=1
	v_and_b32_e32 v37, 0x7f, v10
	v_mov_b32_e32 v2, 0x7fc02000
	s_mov_b32 s13, exec_lo
	s_delay_alu instid0(VALU_DEP_2)
	v_cmpx_ne_u32_e32 0x7f, v37
	s_cbranch_execz .LBB306_347
; %bb.344:                              ;   in Loop: Header=BB306_289 Depth=1
	v_and_b32_e32 v2, 7, v10
	v_lshrrev_b32_e32 v11, 3, v37
	s_mov_b32 s14, exec_lo
	v_cmpx_gt_u32_e32 8, v37
; %bb.345:                              ;   in Loop: Header=BB306_289 Depth=1
	s_delay_alu instid0(VALU_DEP_3) | instskip(NEXT) | instid1(VALU_DEP_1)
	v_clz_i32_u32_e32 v11, v2
	v_min_u32_e32 v11, 32, v11
	s_delay_alu instid0(VALU_DEP_1) | instskip(SKIP_1) | instid1(VALU_DEP_2)
	v_subrev_nc_u32_e32 v37, 28, v11
	v_sub_nc_u32_e32 v11, 29, v11
	v_lshlrev_b64 v[37:38], v37, v[2:3]
	s_delay_alu instid0(VALU_DEP_1)
	v_and_b32_e32 v2, 7, v37
; %bb.346:                              ;   in Loop: Header=BB306_289 Depth=1
	s_or_b32 exec_lo, exec_lo, s14
	v_lshlrev_b32_e32 v10, 8, v10
	v_lshl_add_u32 v11, v11, 10, 0x2000
	s_delay_alu instid0(VALU_DEP_1) | instskip(NEXT) | instid1(VALU_DEP_1)
	v_and_or_b32 v10, 0x8000, v10, v11
	v_lshl_or_b32 v2, v2, 7, v10
	s_delay_alu instid0(VALU_DEP_1)
	v_cvt_f32_f16_e32 v2, v2
.LBB306_347:                            ;   in Loop: Header=BB306_289 Depth=1
	s_or_b32 exec_lo, exec_lo, s13
.LBB306_348:                            ;   in Loop: Header=BB306_289 Depth=1
	s_delay_alu instid0(SALU_CYCLE_1)
	s_or_b32 exec_lo, exec_lo, s7
.LBB306_349:                            ;   in Loop: Header=BB306_289 Depth=1
	s_delay_alu instid0(SALU_CYCLE_1)
	s_or_b32 exec_lo, exec_lo, s0
	s_waitcnt vmcnt(0)
	v_fma_mixlo_f16 v10, v21, v26, 0
	v_fma_mixlo_f16 v11, v21, v24, 0
	;; [unrolled: 1-line block ×8, first 2 shown]
	v_lshlrev_b32_e32 v10, 16, v10
	v_and_b32_e32 v11, 0xffff, v11
	v_lshlrev_b32_e32 v23, 16, v23
	v_and_b32_e32 v21, 0xffff, v22
	;; [unrolled: 2-line block ×4, first 2 shown]
	v_cmp_eq_u32_e32 vcc_lo, s34, v1
	v_or_b32_e32 v11, v10, v11
	v_or_b32_e32 v37, v23, v21
	;; [unrolled: 1-line block ×4, first 2 shown]
	v_add_nc_u32_e32 v27, 1, v19
	v_or_b32_e32 v26, 3, v19
	v_or_b32_e32 v25, 2, v19
	;; [unrolled: 1-line block ×6, first 2 shown]
	s_and_saveexec_b32 s7, vcc_lo
	s_cbranch_execz .LBB306_351
; %bb.350:                              ;   in Loop: Header=BB306_289 Depth=1
	v_cmp_gt_i32_e64 s0, s15, v19
	v_lshrrev_b32_e32 v38, 16, v37
	v_lshrrev_b32_e32 v39, 16, v11
	;; [unrolled: 1-line block ×4, first 2 shown]
	v_cndmask_b32_e64 v37, 0, v37, s0
	v_cmp_gt_i32_e64 s0, s5, v27
	s_delay_alu instid0(VALU_DEP_1) | instskip(SKIP_1) | instid1(VALU_DEP_2)
	v_cndmask_b32_e64 v38, 0, v38, s0
	v_cmp_gt_i32_e64 s0, s5, v26
	v_perm_b32 v37, v38, v37, 0x5040100
	s_delay_alu instid0(VALU_DEP_2) | instskip(SKIP_1) | instid1(VALU_DEP_1)
	v_cndmask_b32_e64 v39, 0, v39, s0
	v_cmp_gt_i32_e64 s0, s15, v25
	v_cndmask_b32_e64 v11, 0, v11, s0
	v_cmp_gt_i32_e64 s0, s5, v24
	s_delay_alu instid0(VALU_DEP_2) | instskip(NEXT) | instid1(VALU_DEP_2)
	v_perm_b32 v11, v39, v11, 0x5040100
	v_cndmask_b32_e64 v40, 0, v40, s0
	v_cmp_gt_i32_e64 s0, s15, v23
	s_delay_alu instid0(VALU_DEP_1) | instskip(SKIP_1) | instid1(VALU_DEP_2)
	v_cndmask_b32_e64 v2, 0, v2, s0
	v_cmp_gt_i32_e64 s0, s5, v22
	v_perm_b32 v2, v40, v2, 0x5040100
	s_delay_alu instid0(VALU_DEP_2) | instskip(SKIP_1) | instid1(VALU_DEP_1)
	v_cndmask_b32_e64 v10, 0, v10, s0
	v_cmp_gt_i32_e64 s0, s15, v21
	v_cndmask_b32_e64 v36, 0, v36, s0
	s_delay_alu instid0(VALU_DEP_1)
	v_perm_b32 v10, v10, v36, 0x5040100
.LBB306_351:                            ;   in Loop: Header=BB306_289 Depth=1
	s_or_b32 exec_lo, exec_lo, s7
	v_and_b32_e32 v28, 0xffff, v28
	v_and_b32_e32 v36, 0xffff, v31
	;; [unrolled: 1-line block ×4, first 2 shown]
	s_mov_b32 s7, exec_lo
	v_lshl_or_b32 v31, v29, 16, v28
	v_lshl_or_b32 v30, v30, 16, v36
	v_mov_b32_e32 v36, 0
	v_lshl_or_b32 v29, v32, 16, v34
	;;#ASMSTART
	v_pk_mul_f16 v32, v31, v37;

	;;#ASMEND
	;;#ASMSTART
	v_pk_mul_f16 v11, v30, v11;

	;;#ASMEND
	;;#ASMSTART
	v_pk_mul_f16 v2, v29, v2;

	;;#ASMEND
	v_lshl_or_b32 v28, v33, 16, v35
	;;#ASMSTART
	v_pk_mul_f16 v10, v28, v10;

	;;#ASMEND
	;;#ASMSTART
	v_pk_add_f16 v11, v32, v11;

	;;#ASMEND
	;;#ASMSTART
	v_pk_add_f16 v2, v11, v2;
	;; [unrolled: 4-line block ×3, first 2 shown]

	;;#ASMEND
	v_and_b32_e32 v10, 0xffff, v2
	v_lshrrev_b32_e32 v2, 16, v2
	;;#ASMSTART
	v_cvt_f32_f16 v32, v10;
	;;#ASMEND
	;;#ASMSTART
	v_cvt_f32_f16 v33, v2;
	;;#ASMEND
	global_load_b64 v[10:11], v[8:9], off offset:256
	global_load_b32 v34, v3, s[10:11]
	s_waitcnt vmcnt(1)
	v_dual_mov_b32 v35, 0 :: v_dual_and_b32 v2, 0xff, v10
	s_delay_alu instid0(VALU_DEP_1)
	v_cmpx_ne_u16_e32 0, v2
	s_cbranch_execz .LBB306_357
; %bb.352:                              ;   in Loop: Header=BB306_289 Depth=1
	v_bfrev_b32_e32 v35, 1
	s_mov_b32 s13, exec_lo
	v_cmpx_ne_u16_e32 0x80, v2
	s_cbranch_execz .LBB306_356
; %bb.353:                              ;   in Loop: Header=BB306_289 Depth=1
	v_and_b32_e32 v2, 0x7f, v10
	v_mov_b32_e32 v35, 0x7fc02000
	s_mov_b32 s14, exec_lo
	s_delay_alu instid0(VALU_DEP_2)
	v_cmpx_ne_u32_e32 0x7f, v2
	s_cbranch_execz .LBB306_355
; %bb.354:                              ;   in Loop: Header=BB306_289 Depth=1
	v_and_b32_e32 v35, 7, v10
	v_cmp_gt_u32_e64 s0, 8, v2
	v_lshrrev_b32_e32 v37, 3, v2
	s_delay_alu instid0(VALU_DEP_3) | instskip(NEXT) | instid1(VALU_DEP_1)
	v_clz_i32_u32_e32 v35, v35
	v_min_u32_e32 v35, 32, v35
	s_delay_alu instid0(VALU_DEP_1) | instskip(SKIP_1) | instid1(VALU_DEP_2)
	v_subrev_nc_u32_e32 v38, 28, v35
	v_sub_nc_u32_e32 v35, 29, v35
	v_cndmask_b32_e64 v2, 0, v38, s0
	s_delay_alu instid0(VALU_DEP_2) | instskip(NEXT) | instid1(VALU_DEP_2)
	v_cndmask_b32_e64 v35, v37, v35, s0
	v_lshlrev_b64 v[37:38], v2, v[10:11]
	v_lshlrev_b32_e32 v2, 8, v10
	s_delay_alu instid0(VALU_DEP_3) | instskip(NEXT) | instid1(VALU_DEP_3)
	v_lshl_add_u32 v35, v35, 10, 0x2000
	v_lshlrev_b32_e32 v37, 7, v37
	s_delay_alu instid0(VALU_DEP_2) | instskip(NEXT) | instid1(VALU_DEP_1)
	v_and_or_b32 v2, 0x8000, v2, v35
	v_and_or_b32 v2, 0x380, v37, v2
	s_delay_alu instid0(VALU_DEP_1)
	v_cvt_f32_f16_e32 v35, v2
.LBB306_355:                            ;   in Loop: Header=BB306_289 Depth=1
	s_or_b32 exec_lo, exec_lo, s14
.LBB306_356:                            ;   in Loop: Header=BB306_289 Depth=1
	s_delay_alu instid0(SALU_CYCLE_1)
	s_or_b32 exec_lo, exec_lo, s13
.LBB306_357:                            ;   in Loop: Header=BB306_289 Depth=1
	s_delay_alu instid0(SALU_CYCLE_1) | instskip(SKIP_2) | instid1(VALU_DEP_1)
	s_or_b32 exec_lo, exec_lo, s7
	v_lshrrev_b16 v2, 8, v10
	s_mov_b32 s7, exec_lo
	v_cmpx_ne_u16_e32 0, v2
	s_cbranch_execz .LBB306_365
; %bb.358:                              ;   in Loop: Header=BB306_289 Depth=1
	v_bfrev_b32_e32 v36, 1
	s_mov_b32 s13, exec_lo
	v_cmpx_ne_u16_e32 0x80, v2
	s_cbranch_execz .LBB306_364
; %bb.359:                              ;   in Loop: Header=BB306_289 Depth=1
	v_and_b32_e32 v37, 0xffff, v2
	v_mov_b32_e32 v36, 0x7fc02000
	s_mov_b32 s14, exec_lo
	s_delay_alu instid0(VALU_DEP_2) | instskip(NEXT) | instid1(VALU_DEP_1)
	v_and_b32_e32 v38, 0x7f, v37
	v_cmpx_ne_u32_e32 0x7f, v38
	s_cbranch_execz .LBB306_363
; %bb.360:                              ;   in Loop: Header=BB306_289 Depth=1
	v_and_b32_e32 v2, 7, v37
	v_lshrrev_b32_e32 v36, 3, v38
	s_mov_b32 s16, exec_lo
	v_cmpx_gt_u32_e32 8, v38
; %bb.361:                              ;   in Loop: Header=BB306_289 Depth=1
	s_delay_alu instid0(VALU_DEP_3) | instskip(NEXT) | instid1(VALU_DEP_1)
	v_clz_i32_u32_e32 v36, v2
	v_min_u32_e32 v36, 32, v36
	s_delay_alu instid0(VALU_DEP_1) | instskip(SKIP_1) | instid1(VALU_DEP_2)
	v_subrev_nc_u32_e32 v38, 28, v36
	v_sub_nc_u32_e32 v36, 29, v36
	v_lshlrev_b64 v[38:39], v38, v[2:3]
	s_delay_alu instid0(VALU_DEP_1)
	v_and_b32_e32 v2, 7, v38
; %bb.362:                              ;   in Loop: Header=BB306_289 Depth=1
	s_or_b32 exec_lo, exec_lo, s16
	v_lshlrev_b32_e32 v37, 8, v37
	v_lshl_add_u32 v36, v36, 10, 0x2000
	s_delay_alu instid0(VALU_DEP_1) | instskip(NEXT) | instid1(VALU_DEP_1)
	v_and_or_b32 v36, 0x8000, v37, v36
	v_lshl_or_b32 v2, v2, 7, v36
	s_delay_alu instid0(VALU_DEP_1)
	v_cvt_f32_f16_e32 v36, v2
.LBB306_363:                            ;   in Loop: Header=BB306_289 Depth=1
	s_or_b32 exec_lo, exec_lo, s14
.LBB306_364:                            ;   in Loop: Header=BB306_289 Depth=1
	s_delay_alu instid0(SALU_CYCLE_1)
	s_or_b32 exec_lo, exec_lo, s13
.LBB306_365:                            ;   in Loop: Header=BB306_289 Depth=1
	s_delay_alu instid0(SALU_CYCLE_1) | instskip(SKIP_3) | instid1(VALU_DEP_2)
	s_or_b32 exec_lo, exec_lo, s7
	v_lshrrev_b32_e32 v39, 16, v10
	v_mov_b32_e32 v38, 0
	s_mov_b32 s7, exec_lo
	v_dual_mov_b32 v37, 0 :: v_dual_and_b32 v2, 0xff, v39
	s_delay_alu instid0(VALU_DEP_1)
	v_cmpx_ne_u16_e32 0, v2
	s_cbranch_execz .LBB306_373
; %bb.366:                              ;   in Loop: Header=BB306_289 Depth=1
	v_bfrev_b32_e32 v37, 1
	s_mov_b32 s13, exec_lo
	v_cmpx_ne_u16_e32 0x80, v2
	s_cbranch_execz .LBB306_372
; %bb.367:                              ;   in Loop: Header=BB306_289 Depth=1
	v_bfe_u32 v40, v10, 16, 7
	v_mov_b32_e32 v37, 0x7fc02000
	s_mov_b32 s14, exec_lo
	s_delay_alu instid0(VALU_DEP_2)
	v_cmpx_ne_u32_e32 0x7f, v40
	s_cbranch_execz .LBB306_371
; %bb.368:                              ;   in Loop: Header=BB306_289 Depth=1
	v_and_b32_e32 v2, 7, v39
	v_lshrrev_b32_e32 v37, 3, v40
	s_mov_b32 s16, exec_lo
	v_cmpx_gt_u32_e32 8, v40
; %bb.369:                              ;   in Loop: Header=BB306_289 Depth=1
	s_delay_alu instid0(VALU_DEP_3) | instskip(NEXT) | instid1(VALU_DEP_1)
	v_clz_i32_u32_e32 v37, v2
	v_min_u32_e32 v37, 32, v37
	s_delay_alu instid0(VALU_DEP_1) | instskip(SKIP_1) | instid1(VALU_DEP_2)
	v_subrev_nc_u32_e32 v40, 28, v37
	v_sub_nc_u32_e32 v37, 29, v37
	v_lshlrev_b64 v[40:41], v40, v[2:3]
	s_delay_alu instid0(VALU_DEP_1)
	v_and_b32_e32 v2, 7, v40
; %bb.370:                              ;   in Loop: Header=BB306_289 Depth=1
	s_or_b32 exec_lo, exec_lo, s16
	v_lshlrev_b32_e32 v39, 8, v39
	v_lshl_add_u32 v37, v37, 10, 0x2000
	s_delay_alu instid0(VALU_DEP_1) | instskip(NEXT) | instid1(VALU_DEP_1)
	v_and_or_b32 v37, 0x8000, v39, v37
	v_lshl_or_b32 v2, v2, 7, v37
	s_delay_alu instid0(VALU_DEP_1)
	v_cvt_f32_f16_e32 v37, v2
.LBB306_371:                            ;   in Loop: Header=BB306_289 Depth=1
	s_or_b32 exec_lo, exec_lo, s14
.LBB306_372:                            ;   in Loop: Header=BB306_289 Depth=1
	s_delay_alu instid0(SALU_CYCLE_1)
	s_or_b32 exec_lo, exec_lo, s13
.LBB306_373:                            ;   in Loop: Header=BB306_289 Depth=1
	s_delay_alu instid0(SALU_CYCLE_1) | instskip(NEXT) | instid1(SALU_CYCLE_1)
	s_or_b32 exec_lo, exec_lo, s7
	s_mov_b32 s7, exec_lo
	v_cmpx_lt_u32_e32 0xffffff, v10
	s_cbranch_execz .LBB306_381
; %bb.374:                              ;   in Loop: Header=BB306_289 Depth=1
	v_lshrrev_b32_e32 v39, 24, v10
	v_bfrev_b32_e32 v38, 1
	s_mov_b32 s13, exec_lo
	s_delay_alu instid0(VALU_DEP_2)
	v_cmpx_ne_u32_e32 0x80, v39
	s_cbranch_execz .LBB306_380
; %bb.375:                              ;   in Loop: Header=BB306_289 Depth=1
	v_and_b32_e32 v40, 0x7f, v39
	v_mov_b32_e32 v38, 0x7fc02000
	s_mov_b32 s14, exec_lo
	s_delay_alu instid0(VALU_DEP_2)
	v_cmpx_ne_u32_e32 0x7f, v40
	s_cbranch_execz .LBB306_379
; %bb.376:                              ;   in Loop: Header=BB306_289 Depth=1
	v_and_b32_e32 v2, 7, v39
	v_lshrrev_b32_e32 v38, 3, v40
	s_mov_b32 s16, exec_lo
	v_cmpx_gt_u32_e32 8, v40
; %bb.377:                              ;   in Loop: Header=BB306_289 Depth=1
	s_delay_alu instid0(VALU_DEP_3) | instskip(NEXT) | instid1(VALU_DEP_1)
	v_clz_i32_u32_e32 v38, v2
	v_min_u32_e32 v38, 32, v38
	s_delay_alu instid0(VALU_DEP_1) | instskip(SKIP_1) | instid1(VALU_DEP_2)
	v_subrev_nc_u32_e32 v40, 28, v38
	v_sub_nc_u32_e32 v38, 29, v38
	v_lshlrev_b64 v[40:41], v40, v[2:3]
	s_delay_alu instid0(VALU_DEP_1)
	v_and_b32_e32 v2, 7, v40
; %bb.378:                              ;   in Loop: Header=BB306_289 Depth=1
	s_or_b32 exec_lo, exec_lo, s16
	v_lshlrev_b32_e32 v39, 8, v39
	v_lshl_add_u32 v38, v38, 10, 0x2000
	s_delay_alu instid0(VALU_DEP_1) | instskip(NEXT) | instid1(VALU_DEP_1)
	v_and_or_b32 v38, 0x8000, v39, v38
	v_lshl_or_b32 v2, v2, 7, v38
	s_delay_alu instid0(VALU_DEP_1)
	v_cvt_f32_f16_e32 v38, v2
.LBB306_379:                            ;   in Loop: Header=BB306_289 Depth=1
	s_or_b32 exec_lo, exec_lo, s14
.LBB306_380:                            ;   in Loop: Header=BB306_289 Depth=1
	s_delay_alu instid0(SALU_CYCLE_1)
	s_or_b32 exec_lo, exec_lo, s13
.LBB306_381:                            ;   in Loop: Header=BB306_289 Depth=1
	s_delay_alu instid0(SALU_CYCLE_1) | instskip(SKIP_3) | instid1(VALU_DEP_2)
	s_or_b32 exec_lo, exec_lo, s7
	v_dual_mov_b32 v2, v11 :: v_dual_and_b32 v41, 0xff, v11
	v_dual_mov_b32 v40, 0 :: v_dual_mov_b32 v39, 0
	s_mov_b32 s7, exec_lo
	v_cmpx_ne_u16_e32 0, v41
	s_cbranch_execz .LBB306_387
; %bb.382:                              ;   in Loop: Header=BB306_289 Depth=1
	v_bfrev_b32_e32 v39, 1
	s_mov_b32 s13, exec_lo
	v_cmpx_ne_u16_e32 0x80, v41
	s_cbranch_execz .LBB306_386
; %bb.383:                              ;   in Loop: Header=BB306_289 Depth=1
	v_and_b32_e32 v41, 0x7f, v11
	v_mov_b32_e32 v39, 0x7fc02000
	s_mov_b32 s14, exec_lo
	s_delay_alu instid0(VALU_DEP_2)
	v_cmpx_ne_u32_e32 0x7f, v41
	s_cbranch_execz .LBB306_385
; %bb.384:                              ;   in Loop: Header=BB306_289 Depth=1
	v_and_b32_e32 v39, 7, v11
	v_cmp_gt_u32_e64 s0, 8, v41
	v_lshrrev_b32_e32 v42, 3, v41
	s_delay_alu instid0(VALU_DEP_3) | instskip(NEXT) | instid1(VALU_DEP_1)
	v_clz_i32_u32_e32 v39, v39
	v_min_u32_e32 v39, 32, v39
	s_delay_alu instid0(VALU_DEP_1) | instskip(SKIP_1) | instid1(VALU_DEP_2)
	v_subrev_nc_u32_e32 v43, 28, v39
	v_sub_nc_u32_e32 v39, 29, v39
	v_cndmask_b32_e64 v41, 0, v43, s0
	s_delay_alu instid0(VALU_DEP_2) | instskip(NEXT) | instid1(VALU_DEP_2)
	v_cndmask_b32_e64 v39, v42, v39, s0
	v_lshlrev_b64 v[41:42], v41, v[2:3]
	v_lshlrev_b32_e32 v42, 8, v11
	s_delay_alu instid0(VALU_DEP_3) | instskip(NEXT) | instid1(VALU_DEP_3)
	v_lshl_add_u32 v39, v39, 10, 0x2000
	v_lshlrev_b32_e32 v41, 7, v41
	s_delay_alu instid0(VALU_DEP_2) | instskip(NEXT) | instid1(VALU_DEP_1)
	v_and_or_b32 v39, 0x8000, v42, v39
	v_and_or_b32 v39, 0x380, v41, v39
	s_delay_alu instid0(VALU_DEP_1)
	v_cvt_f32_f16_e32 v39, v39
.LBB306_385:                            ;   in Loop: Header=BB306_289 Depth=1
	s_or_b32 exec_lo, exec_lo, s14
.LBB306_386:                            ;   in Loop: Header=BB306_289 Depth=1
	s_delay_alu instid0(SALU_CYCLE_1)
	s_or_b32 exec_lo, exec_lo, s13
.LBB306_387:                            ;   in Loop: Header=BB306_289 Depth=1
	s_delay_alu instid0(SALU_CYCLE_1) | instskip(SKIP_2) | instid1(VALU_DEP_1)
	s_or_b32 exec_lo, exec_lo, s7
	v_lshrrev_b16 v2, 8, v2
	s_mov_b32 s7, exec_lo
	v_cmpx_ne_u16_e32 0, v2
	s_cbranch_execz .LBB306_395
; %bb.388:                              ;   in Loop: Header=BB306_289 Depth=1
	v_bfrev_b32_e32 v40, 1
	s_mov_b32 s13, exec_lo
	v_cmpx_ne_u16_e32 0x80, v2
	s_cbranch_execz .LBB306_394
; %bb.389:                              ;   in Loop: Header=BB306_289 Depth=1
	v_and_b32_e32 v41, 0xffff, v2
	v_mov_b32_e32 v40, 0x7fc02000
	s_mov_b32 s14, exec_lo
	s_delay_alu instid0(VALU_DEP_2) | instskip(NEXT) | instid1(VALU_DEP_1)
	v_and_b32_e32 v42, 0x7f, v41
	v_cmpx_ne_u32_e32 0x7f, v42
	s_cbranch_execz .LBB306_393
; %bb.390:                              ;   in Loop: Header=BB306_289 Depth=1
	v_and_b32_e32 v2, 7, v41
	v_lshrrev_b32_e32 v40, 3, v42
	s_mov_b32 s16, exec_lo
	v_cmpx_gt_u32_e32 8, v42
; %bb.391:                              ;   in Loop: Header=BB306_289 Depth=1
	s_delay_alu instid0(VALU_DEP_3) | instskip(NEXT) | instid1(VALU_DEP_1)
	v_clz_i32_u32_e32 v40, v2
	v_min_u32_e32 v40, 32, v40
	s_delay_alu instid0(VALU_DEP_1) | instskip(SKIP_1) | instid1(VALU_DEP_2)
	v_subrev_nc_u32_e32 v42, 28, v40
	v_sub_nc_u32_e32 v40, 29, v40
	v_lshlrev_b64 v[42:43], v42, v[2:3]
	s_delay_alu instid0(VALU_DEP_1)
	v_and_b32_e32 v2, 7, v42
; %bb.392:                              ;   in Loop: Header=BB306_289 Depth=1
	s_or_b32 exec_lo, exec_lo, s16
	v_lshlrev_b32_e32 v41, 8, v41
	v_lshl_add_u32 v40, v40, 10, 0x2000
	s_delay_alu instid0(VALU_DEP_1) | instskip(NEXT) | instid1(VALU_DEP_1)
	v_and_or_b32 v40, 0x8000, v41, v40
	v_lshl_or_b32 v2, v2, 7, v40
	s_delay_alu instid0(VALU_DEP_1)
	v_cvt_f32_f16_e32 v40, v2
.LBB306_393:                            ;   in Loop: Header=BB306_289 Depth=1
	s_or_b32 exec_lo, exec_lo, s14
.LBB306_394:                            ;   in Loop: Header=BB306_289 Depth=1
	s_delay_alu instid0(SALU_CYCLE_1)
	s_or_b32 exec_lo, exec_lo, s13
.LBB306_395:                            ;   in Loop: Header=BB306_289 Depth=1
	s_delay_alu instid0(SALU_CYCLE_1) | instskip(SKIP_3) | instid1(VALU_DEP_2)
	s_or_b32 exec_lo, exec_lo, s7
	v_lshrrev_b32_e32 v43, 16, v11
	v_mov_b32_e32 v42, 0
	s_mov_b32 s7, exec_lo
	v_dual_mov_b32 v41, 0 :: v_dual_and_b32 v2, 0xff, v43
	s_delay_alu instid0(VALU_DEP_1)
	v_cmpx_ne_u16_e32 0, v2
	s_cbranch_execz .LBB306_403
; %bb.396:                              ;   in Loop: Header=BB306_289 Depth=1
	v_bfrev_b32_e32 v41, 1
	s_mov_b32 s13, exec_lo
	v_cmpx_ne_u16_e32 0x80, v2
	s_cbranch_execz .LBB306_402
; %bb.397:                              ;   in Loop: Header=BB306_289 Depth=1
	v_bfe_u32 v44, v11, 16, 7
	v_mov_b32_e32 v41, 0x7fc02000
	s_mov_b32 s14, exec_lo
	s_delay_alu instid0(VALU_DEP_2)
	v_cmpx_ne_u32_e32 0x7f, v44
	s_cbranch_execz .LBB306_401
; %bb.398:                              ;   in Loop: Header=BB306_289 Depth=1
	v_and_b32_e32 v2, 7, v43
	v_lshrrev_b32_e32 v41, 3, v44
	s_mov_b32 s16, exec_lo
	v_cmpx_gt_u32_e32 8, v44
; %bb.399:                              ;   in Loop: Header=BB306_289 Depth=1
	s_delay_alu instid0(VALU_DEP_3) | instskip(NEXT) | instid1(VALU_DEP_1)
	v_clz_i32_u32_e32 v41, v2
	v_min_u32_e32 v41, 32, v41
	s_delay_alu instid0(VALU_DEP_1) | instskip(SKIP_1) | instid1(VALU_DEP_2)
	v_subrev_nc_u32_e32 v44, 28, v41
	v_sub_nc_u32_e32 v41, 29, v41
	v_lshlrev_b64 v[44:45], v44, v[2:3]
	s_delay_alu instid0(VALU_DEP_1)
	v_and_b32_e32 v2, 7, v44
; %bb.400:                              ;   in Loop: Header=BB306_289 Depth=1
	s_or_b32 exec_lo, exec_lo, s16
	v_lshlrev_b32_e32 v43, 8, v43
	v_lshl_add_u32 v41, v41, 10, 0x2000
	s_delay_alu instid0(VALU_DEP_1) | instskip(NEXT) | instid1(VALU_DEP_1)
	v_and_or_b32 v41, 0x8000, v43, v41
	v_lshl_or_b32 v2, v2, 7, v41
	s_delay_alu instid0(VALU_DEP_1)
	v_cvt_f32_f16_e32 v41, v2
.LBB306_401:                            ;   in Loop: Header=BB306_289 Depth=1
	s_or_b32 exec_lo, exec_lo, s14
.LBB306_402:                            ;   in Loop: Header=BB306_289 Depth=1
	s_delay_alu instid0(SALU_CYCLE_1)
	s_or_b32 exec_lo, exec_lo, s13
.LBB306_403:                            ;   in Loop: Header=BB306_289 Depth=1
	s_delay_alu instid0(SALU_CYCLE_1) | instskip(NEXT) | instid1(SALU_CYCLE_1)
	s_or_b32 exec_lo, exec_lo, s7
	s_mov_b32 s7, exec_lo
	v_cmpx_lt_u64_e64 s[8:9], v[10:11]
	s_cbranch_execz .LBB306_411
; %bb.404:                              ;   in Loop: Header=BB306_289 Depth=1
	v_lshrrev_b32_e32 v10, 24, v11
	v_bfrev_b32_e32 v42, 1
	s_mov_b32 s13, exec_lo
	s_delay_alu instid0(VALU_DEP_2)
	v_cmpx_ne_u32_e32 0x80, v10
	s_cbranch_execz .LBB306_410
; %bb.405:                              ;   in Loop: Header=BB306_289 Depth=1
	v_and_b32_e32 v43, 0x7f, v10
	v_mov_b32_e32 v42, 0x7fc02000
	s_mov_b32 s14, exec_lo
	s_delay_alu instid0(VALU_DEP_2)
	v_cmpx_ne_u32_e32 0x7f, v43
	s_cbranch_execz .LBB306_409
; %bb.406:                              ;   in Loop: Header=BB306_289 Depth=1
	v_and_b32_e32 v2, 7, v10
	v_lshrrev_b32_e32 v11, 3, v43
	s_mov_b32 s16, exec_lo
	v_cmpx_gt_u32_e32 8, v43
; %bb.407:                              ;   in Loop: Header=BB306_289 Depth=1
	s_delay_alu instid0(VALU_DEP_3) | instskip(NEXT) | instid1(VALU_DEP_1)
	v_clz_i32_u32_e32 v11, v2
	v_min_u32_e32 v11, 32, v11
	s_delay_alu instid0(VALU_DEP_1) | instskip(SKIP_1) | instid1(VALU_DEP_2)
	v_subrev_nc_u32_e32 v42, 28, v11
	v_sub_nc_u32_e32 v11, 29, v11
	v_lshlrev_b64 v[42:43], v42, v[2:3]
	s_delay_alu instid0(VALU_DEP_1)
	v_and_b32_e32 v2, 7, v42
; %bb.408:                              ;   in Loop: Header=BB306_289 Depth=1
	s_or_b32 exec_lo, exec_lo, s16
	v_lshlrev_b32_e32 v10, 8, v10
	v_lshl_add_u32 v11, v11, 10, 0x2000
	s_delay_alu instid0(VALU_DEP_1) | instskip(NEXT) | instid1(VALU_DEP_1)
	v_and_or_b32 v10, 0x8000, v10, v11
	v_lshl_or_b32 v2, v2, 7, v10
	s_delay_alu instid0(VALU_DEP_1)
	v_cvt_f32_f16_e32 v42, v2
.LBB306_409:                            ;   in Loop: Header=BB306_289 Depth=1
	s_or_b32 exec_lo, exec_lo, s14
.LBB306_410:                            ;   in Loop: Header=BB306_289 Depth=1
	s_delay_alu instid0(SALU_CYCLE_1)
	s_or_b32 exec_lo, exec_lo, s13
.LBB306_411:                            ;   in Loop: Header=BB306_289 Depth=1
	s_delay_alu instid0(SALU_CYCLE_1)
	s_or_b32 exec_lo, exec_lo, s7
	s_waitcnt vmcnt(0)
	v_fma_mixlo_f16 v11, v34, v36, 0
	v_fma_mixlo_f16 v2, v34, v38, 0
	;; [unrolled: 1-line block ×5, first 2 shown]
	v_lshlrev_b32_e32 v36, 16, v11
	v_fma_mixlo_f16 v38, v34, v39, 0
	v_fma_mixlo_f16 v39, v34, v42, 0
	;; [unrolled: 1-line block ×3, first 2 shown]
	v_lshlrev_b32_e32 v2, 16, v2
	v_and_b32_e32 v10, 0xffff, v10
	v_and_b32_e32 v35, 0xffff, v35
	v_lshlrev_b32_e32 v37, 16, v37
	v_and_b32_e32 v38, 0xffff, v38
	v_lshlrev_b32_e32 v39, 16, v39
	v_and_b32_e32 v40, 0xffff, v11
	v_or_b32_e32 v34, v2, v10
	v_or_b32_e32 v35, v36, v35
	;; [unrolled: 1-line block ×3, first 2 shown]
	s_delay_alu instid0(VALU_DEP_4)
	v_or_b32_e32 v10, v39, v40
	s_and_saveexec_b32 s7, vcc_lo
	s_cbranch_execz .LBB306_413
; %bb.412:                              ;   in Loop: Header=BB306_289 Depth=1
	v_cmp_gt_i32_e64 s0, s15, v19
	v_lshrrev_b32_e32 v36, 16, v35
	v_lshrrev_b32_e32 v37, 16, v34
	;; [unrolled: 1-line block ×4, first 2 shown]
	v_cndmask_b32_e64 v35, 0, v35, s0
	v_cmp_gt_i32_e64 s0, s5, v27
	s_delay_alu instid0(VALU_DEP_1) | instskip(SKIP_1) | instid1(VALU_DEP_2)
	v_cndmask_b32_e64 v36, 0, v36, s0
	v_cmp_gt_i32_e64 s0, s5, v26
	v_perm_b32 v35, v36, v35, 0x5040100
	s_delay_alu instid0(VALU_DEP_2) | instskip(SKIP_1) | instid1(VALU_DEP_1)
	v_cndmask_b32_e64 v37, 0, v37, s0
	v_cmp_gt_i32_e64 s0, s15, v25
	v_cndmask_b32_e64 v34, 0, v34, s0
	v_cmp_gt_i32_e64 s0, s5, v24
	s_delay_alu instid0(VALU_DEP_2) | instskip(NEXT) | instid1(VALU_DEP_2)
	v_perm_b32 v34, v37, v34, 0x5040100
	v_cndmask_b32_e64 v38, 0, v38, s0
	v_cmp_gt_i32_e64 s0, s15, v23
	s_delay_alu instid0(VALU_DEP_1) | instskip(SKIP_1) | instid1(VALU_DEP_2)
	v_cndmask_b32_e64 v2, 0, v2, s0
	v_cmp_gt_i32_e64 s0, s5, v22
	v_perm_b32 v2, v38, v2, 0x5040100
	s_delay_alu instid0(VALU_DEP_2) | instskip(SKIP_1) | instid1(VALU_DEP_1)
	v_cndmask_b32_e64 v10, 0, v10, s0
	v_cmp_gt_i32_e64 s0, s15, v21
	v_cndmask_b32_e64 v11, 0, v11, s0
	s_delay_alu instid0(VALU_DEP_1)
	v_perm_b32 v10, v10, v11, 0x5040100
.LBB306_413:                            ;   in Loop: Header=BB306_289 Depth=1
	s_or_b32 exec_lo, exec_lo, s7
	;;#ASMSTART
	v_pk_mul_f16 v11, v31, v35;

	;;#ASMEND
	;;#ASMSTART
	v_pk_mul_f16 v34, v30, v34;

	;;#ASMEND
	;;#ASMSTART
	v_pk_mul_f16 v2, v29, v2;

	;;#ASMEND
	;;#ASMSTART
	v_pk_mul_f16 v10, v28, v10;

	;;#ASMEND
	;;#ASMSTART
	v_pk_add_f16 v11, v11, v34;

	;;#ASMEND
	;;#ASMSTART
	v_pk_add_f16 v2, v11, v2;

	;;#ASMEND
	;; [unrolled: 4-line block ×3, first 2 shown]
	v_dual_mov_b32 v37, 0 :: v_dual_and_b32 v10, 0xffff, v2
	v_lshrrev_b32_e32 v2, 16, v2
	;;#ASMSTART
	v_cvt_f32_f16 v34, v10;
	;;#ASMEND
	;;#ASMSTART
	v_cvt_f32_f16 v35, v2;
	;;#ASMEND
	global_load_b64 v[10:11], v[8:9], off offset:512
	global_load_b32 v36, v3, s[10:11]
	v_mov_b32_e32 v38, 0
	s_mov_b32 s7, exec_lo
	s_waitcnt vmcnt(1)
	v_and_b32_e32 v2, 0xff, v10
	s_delay_alu instid0(VALU_DEP_1)
	v_cmpx_ne_u16_e32 0, v2
	s_cbranch_execz .LBB306_419
; %bb.414:                              ;   in Loop: Header=BB306_289 Depth=1
	v_bfrev_b32_e32 v37, 1
	s_mov_b32 s13, exec_lo
	v_cmpx_ne_u16_e32 0x80, v2
	s_cbranch_execz .LBB306_418
; %bb.415:                              ;   in Loop: Header=BB306_289 Depth=1
	v_and_b32_e32 v2, 0x7f, v10
	v_mov_b32_e32 v37, 0x7fc02000
	s_mov_b32 s14, exec_lo
	s_delay_alu instid0(VALU_DEP_2)
	v_cmpx_ne_u32_e32 0x7f, v2
	s_cbranch_execz .LBB306_417
; %bb.416:                              ;   in Loop: Header=BB306_289 Depth=1
	v_and_b32_e32 v37, 7, v10
	v_cmp_gt_u32_e64 s0, 8, v2
	v_lshrrev_b32_e32 v39, 3, v2
	s_delay_alu instid0(VALU_DEP_3) | instskip(NEXT) | instid1(VALU_DEP_1)
	v_clz_i32_u32_e32 v37, v37
	v_min_u32_e32 v37, 32, v37
	s_delay_alu instid0(VALU_DEP_1) | instskip(SKIP_1) | instid1(VALU_DEP_2)
	v_subrev_nc_u32_e32 v40, 28, v37
	v_sub_nc_u32_e32 v37, 29, v37
	v_cndmask_b32_e64 v2, 0, v40, s0
	s_delay_alu instid0(VALU_DEP_2) | instskip(NEXT) | instid1(VALU_DEP_2)
	v_cndmask_b32_e64 v37, v39, v37, s0
	v_lshlrev_b64 v[39:40], v2, v[10:11]
	v_lshlrev_b32_e32 v2, 8, v10
	s_delay_alu instid0(VALU_DEP_3) | instskip(NEXT) | instid1(VALU_DEP_3)
	v_lshl_add_u32 v37, v37, 10, 0x2000
	v_lshlrev_b32_e32 v39, 7, v39
	s_delay_alu instid0(VALU_DEP_2) | instskip(NEXT) | instid1(VALU_DEP_1)
	v_and_or_b32 v2, 0x8000, v2, v37
	v_and_or_b32 v2, 0x380, v39, v2
	s_delay_alu instid0(VALU_DEP_1)
	v_cvt_f32_f16_e32 v37, v2
.LBB306_417:                            ;   in Loop: Header=BB306_289 Depth=1
	s_or_b32 exec_lo, exec_lo, s14
.LBB306_418:                            ;   in Loop: Header=BB306_289 Depth=1
	s_delay_alu instid0(SALU_CYCLE_1)
	s_or_b32 exec_lo, exec_lo, s13
.LBB306_419:                            ;   in Loop: Header=BB306_289 Depth=1
	s_delay_alu instid0(SALU_CYCLE_1) | instskip(SKIP_2) | instid1(VALU_DEP_1)
	s_or_b32 exec_lo, exec_lo, s7
	v_lshrrev_b16 v2, 8, v10
	s_mov_b32 s7, exec_lo
	v_cmpx_ne_u16_e32 0, v2
	s_cbranch_execz .LBB306_427
; %bb.420:                              ;   in Loop: Header=BB306_289 Depth=1
	v_bfrev_b32_e32 v38, 1
	s_mov_b32 s13, exec_lo
	v_cmpx_ne_u16_e32 0x80, v2
	s_cbranch_execz .LBB306_426
; %bb.421:                              ;   in Loop: Header=BB306_289 Depth=1
	v_and_b32_e32 v39, 0xffff, v2
	v_mov_b32_e32 v38, 0x7fc02000
	s_mov_b32 s14, exec_lo
	s_delay_alu instid0(VALU_DEP_2) | instskip(NEXT) | instid1(VALU_DEP_1)
	v_and_b32_e32 v40, 0x7f, v39
	v_cmpx_ne_u32_e32 0x7f, v40
	s_cbranch_execz .LBB306_425
; %bb.422:                              ;   in Loop: Header=BB306_289 Depth=1
	v_and_b32_e32 v2, 7, v39
	v_lshrrev_b32_e32 v38, 3, v40
	s_mov_b32 s16, exec_lo
	v_cmpx_gt_u32_e32 8, v40
; %bb.423:                              ;   in Loop: Header=BB306_289 Depth=1
	s_delay_alu instid0(VALU_DEP_3) | instskip(NEXT) | instid1(VALU_DEP_1)
	v_clz_i32_u32_e32 v38, v2
	v_min_u32_e32 v38, 32, v38
	s_delay_alu instid0(VALU_DEP_1) | instskip(SKIP_1) | instid1(VALU_DEP_2)
	v_subrev_nc_u32_e32 v40, 28, v38
	v_sub_nc_u32_e32 v38, 29, v38
	v_lshlrev_b64 v[40:41], v40, v[2:3]
	s_delay_alu instid0(VALU_DEP_1)
	v_and_b32_e32 v2, 7, v40
; %bb.424:                              ;   in Loop: Header=BB306_289 Depth=1
	s_or_b32 exec_lo, exec_lo, s16
	v_lshlrev_b32_e32 v39, 8, v39
	v_lshl_add_u32 v38, v38, 10, 0x2000
	s_delay_alu instid0(VALU_DEP_1) | instskip(NEXT) | instid1(VALU_DEP_1)
	v_and_or_b32 v38, 0x8000, v39, v38
	v_lshl_or_b32 v2, v2, 7, v38
	s_delay_alu instid0(VALU_DEP_1)
	v_cvt_f32_f16_e32 v38, v2
.LBB306_425:                            ;   in Loop: Header=BB306_289 Depth=1
	s_or_b32 exec_lo, exec_lo, s14
.LBB306_426:                            ;   in Loop: Header=BB306_289 Depth=1
	s_delay_alu instid0(SALU_CYCLE_1)
	s_or_b32 exec_lo, exec_lo, s13
.LBB306_427:                            ;   in Loop: Header=BB306_289 Depth=1
	s_delay_alu instid0(SALU_CYCLE_1) | instskip(SKIP_3) | instid1(VALU_DEP_2)
	s_or_b32 exec_lo, exec_lo, s7
	v_lshrrev_b32_e32 v41, 16, v10
	v_mov_b32_e32 v40, 0
	s_mov_b32 s7, exec_lo
	v_dual_mov_b32 v39, 0 :: v_dual_and_b32 v2, 0xff, v41
	s_delay_alu instid0(VALU_DEP_1)
	v_cmpx_ne_u16_e32 0, v2
	s_cbranch_execz .LBB306_435
; %bb.428:                              ;   in Loop: Header=BB306_289 Depth=1
	v_bfrev_b32_e32 v39, 1
	s_mov_b32 s13, exec_lo
	v_cmpx_ne_u16_e32 0x80, v2
	s_cbranch_execz .LBB306_434
; %bb.429:                              ;   in Loop: Header=BB306_289 Depth=1
	v_bfe_u32 v42, v10, 16, 7
	v_mov_b32_e32 v39, 0x7fc02000
	s_mov_b32 s14, exec_lo
	s_delay_alu instid0(VALU_DEP_2)
	v_cmpx_ne_u32_e32 0x7f, v42
	s_cbranch_execz .LBB306_433
; %bb.430:                              ;   in Loop: Header=BB306_289 Depth=1
	v_and_b32_e32 v2, 7, v41
	v_lshrrev_b32_e32 v39, 3, v42
	s_mov_b32 s16, exec_lo
	v_cmpx_gt_u32_e32 8, v42
; %bb.431:                              ;   in Loop: Header=BB306_289 Depth=1
	s_delay_alu instid0(VALU_DEP_3) | instskip(NEXT) | instid1(VALU_DEP_1)
	v_clz_i32_u32_e32 v39, v2
	v_min_u32_e32 v39, 32, v39
	s_delay_alu instid0(VALU_DEP_1) | instskip(SKIP_1) | instid1(VALU_DEP_2)
	v_subrev_nc_u32_e32 v42, 28, v39
	v_sub_nc_u32_e32 v39, 29, v39
	v_lshlrev_b64 v[42:43], v42, v[2:3]
	s_delay_alu instid0(VALU_DEP_1)
	v_and_b32_e32 v2, 7, v42
; %bb.432:                              ;   in Loop: Header=BB306_289 Depth=1
	s_or_b32 exec_lo, exec_lo, s16
	v_lshlrev_b32_e32 v41, 8, v41
	v_lshl_add_u32 v39, v39, 10, 0x2000
	s_delay_alu instid0(VALU_DEP_1) | instskip(NEXT) | instid1(VALU_DEP_1)
	v_and_or_b32 v39, 0x8000, v41, v39
	v_lshl_or_b32 v2, v2, 7, v39
	s_delay_alu instid0(VALU_DEP_1)
	v_cvt_f32_f16_e32 v39, v2
.LBB306_433:                            ;   in Loop: Header=BB306_289 Depth=1
	s_or_b32 exec_lo, exec_lo, s14
.LBB306_434:                            ;   in Loop: Header=BB306_289 Depth=1
	s_delay_alu instid0(SALU_CYCLE_1)
	s_or_b32 exec_lo, exec_lo, s13
.LBB306_435:                            ;   in Loop: Header=BB306_289 Depth=1
	s_delay_alu instid0(SALU_CYCLE_1) | instskip(NEXT) | instid1(SALU_CYCLE_1)
	s_or_b32 exec_lo, exec_lo, s7
	s_mov_b32 s7, exec_lo
	v_cmpx_lt_u32_e32 0xffffff, v10
	s_cbranch_execz .LBB306_443
; %bb.436:                              ;   in Loop: Header=BB306_289 Depth=1
	v_lshrrev_b32_e32 v41, 24, v10
	v_bfrev_b32_e32 v40, 1
	s_mov_b32 s13, exec_lo
	s_delay_alu instid0(VALU_DEP_2)
	v_cmpx_ne_u32_e32 0x80, v41
	s_cbranch_execz .LBB306_442
; %bb.437:                              ;   in Loop: Header=BB306_289 Depth=1
	v_and_b32_e32 v42, 0x7f, v41
	v_mov_b32_e32 v40, 0x7fc02000
	s_mov_b32 s14, exec_lo
	s_delay_alu instid0(VALU_DEP_2)
	v_cmpx_ne_u32_e32 0x7f, v42
	s_cbranch_execz .LBB306_441
; %bb.438:                              ;   in Loop: Header=BB306_289 Depth=1
	v_and_b32_e32 v2, 7, v41
	v_lshrrev_b32_e32 v40, 3, v42
	s_mov_b32 s16, exec_lo
	v_cmpx_gt_u32_e32 8, v42
; %bb.439:                              ;   in Loop: Header=BB306_289 Depth=1
	s_delay_alu instid0(VALU_DEP_3) | instskip(NEXT) | instid1(VALU_DEP_1)
	v_clz_i32_u32_e32 v40, v2
	v_min_u32_e32 v40, 32, v40
	s_delay_alu instid0(VALU_DEP_1) | instskip(SKIP_1) | instid1(VALU_DEP_2)
	v_subrev_nc_u32_e32 v42, 28, v40
	v_sub_nc_u32_e32 v40, 29, v40
	v_lshlrev_b64 v[42:43], v42, v[2:3]
	s_delay_alu instid0(VALU_DEP_1)
	v_and_b32_e32 v2, 7, v42
; %bb.440:                              ;   in Loop: Header=BB306_289 Depth=1
	s_or_b32 exec_lo, exec_lo, s16
	v_lshlrev_b32_e32 v41, 8, v41
	v_lshl_add_u32 v40, v40, 10, 0x2000
	s_delay_alu instid0(VALU_DEP_1) | instskip(NEXT) | instid1(VALU_DEP_1)
	v_and_or_b32 v40, 0x8000, v41, v40
	v_lshl_or_b32 v2, v2, 7, v40
	s_delay_alu instid0(VALU_DEP_1)
	v_cvt_f32_f16_e32 v40, v2
.LBB306_441:                            ;   in Loop: Header=BB306_289 Depth=1
	s_or_b32 exec_lo, exec_lo, s14
.LBB306_442:                            ;   in Loop: Header=BB306_289 Depth=1
	s_delay_alu instid0(SALU_CYCLE_1)
	s_or_b32 exec_lo, exec_lo, s13
.LBB306_443:                            ;   in Loop: Header=BB306_289 Depth=1
	s_delay_alu instid0(SALU_CYCLE_1) | instskip(SKIP_3) | instid1(VALU_DEP_2)
	s_or_b32 exec_lo, exec_lo, s7
	v_dual_mov_b32 v2, v11 :: v_dual_and_b32 v43, 0xff, v11
	v_dual_mov_b32 v42, 0 :: v_dual_mov_b32 v41, 0
	s_mov_b32 s7, exec_lo
	v_cmpx_ne_u16_e32 0, v43
	s_cbranch_execz .LBB306_449
; %bb.444:                              ;   in Loop: Header=BB306_289 Depth=1
	v_bfrev_b32_e32 v41, 1
	s_mov_b32 s13, exec_lo
	v_cmpx_ne_u16_e32 0x80, v43
	s_cbranch_execz .LBB306_448
; %bb.445:                              ;   in Loop: Header=BB306_289 Depth=1
	v_and_b32_e32 v43, 0x7f, v11
	v_mov_b32_e32 v41, 0x7fc02000
	s_mov_b32 s14, exec_lo
	s_delay_alu instid0(VALU_DEP_2)
	v_cmpx_ne_u32_e32 0x7f, v43
	s_cbranch_execz .LBB306_447
; %bb.446:                              ;   in Loop: Header=BB306_289 Depth=1
	v_and_b32_e32 v41, 7, v11
	v_cmp_gt_u32_e64 s0, 8, v43
	v_lshrrev_b32_e32 v44, 3, v43
	s_delay_alu instid0(VALU_DEP_3) | instskip(NEXT) | instid1(VALU_DEP_1)
	v_clz_i32_u32_e32 v41, v41
	v_min_u32_e32 v41, 32, v41
	s_delay_alu instid0(VALU_DEP_1) | instskip(SKIP_1) | instid1(VALU_DEP_2)
	v_subrev_nc_u32_e32 v45, 28, v41
	v_sub_nc_u32_e32 v41, 29, v41
	v_cndmask_b32_e64 v43, 0, v45, s0
	s_delay_alu instid0(VALU_DEP_2) | instskip(NEXT) | instid1(VALU_DEP_2)
	v_cndmask_b32_e64 v41, v44, v41, s0
	v_lshlrev_b64 v[43:44], v43, v[2:3]
	v_lshlrev_b32_e32 v44, 8, v11
	s_delay_alu instid0(VALU_DEP_3) | instskip(NEXT) | instid1(VALU_DEP_3)
	v_lshl_add_u32 v41, v41, 10, 0x2000
	v_lshlrev_b32_e32 v43, 7, v43
	s_delay_alu instid0(VALU_DEP_2) | instskip(NEXT) | instid1(VALU_DEP_1)
	v_and_or_b32 v41, 0x8000, v44, v41
	v_and_or_b32 v41, 0x380, v43, v41
	s_delay_alu instid0(VALU_DEP_1)
	v_cvt_f32_f16_e32 v41, v41
.LBB306_447:                            ;   in Loop: Header=BB306_289 Depth=1
	s_or_b32 exec_lo, exec_lo, s14
.LBB306_448:                            ;   in Loop: Header=BB306_289 Depth=1
	s_delay_alu instid0(SALU_CYCLE_1)
	s_or_b32 exec_lo, exec_lo, s13
.LBB306_449:                            ;   in Loop: Header=BB306_289 Depth=1
	s_delay_alu instid0(SALU_CYCLE_1) | instskip(SKIP_2) | instid1(VALU_DEP_1)
	s_or_b32 exec_lo, exec_lo, s7
	v_lshrrev_b16 v2, 8, v2
	s_mov_b32 s7, exec_lo
	v_cmpx_ne_u16_e32 0, v2
	s_cbranch_execz .LBB306_457
; %bb.450:                              ;   in Loop: Header=BB306_289 Depth=1
	v_bfrev_b32_e32 v42, 1
	s_mov_b32 s13, exec_lo
	v_cmpx_ne_u16_e32 0x80, v2
	s_cbranch_execz .LBB306_456
; %bb.451:                              ;   in Loop: Header=BB306_289 Depth=1
	v_and_b32_e32 v43, 0xffff, v2
	v_mov_b32_e32 v42, 0x7fc02000
	s_mov_b32 s14, exec_lo
	s_delay_alu instid0(VALU_DEP_2) | instskip(NEXT) | instid1(VALU_DEP_1)
	v_and_b32_e32 v44, 0x7f, v43
	v_cmpx_ne_u32_e32 0x7f, v44
	s_cbranch_execz .LBB306_455
; %bb.452:                              ;   in Loop: Header=BB306_289 Depth=1
	v_and_b32_e32 v2, 7, v43
	v_lshrrev_b32_e32 v42, 3, v44
	s_mov_b32 s16, exec_lo
	v_cmpx_gt_u32_e32 8, v44
; %bb.453:                              ;   in Loop: Header=BB306_289 Depth=1
	s_delay_alu instid0(VALU_DEP_3) | instskip(NEXT) | instid1(VALU_DEP_1)
	v_clz_i32_u32_e32 v42, v2
	v_min_u32_e32 v42, 32, v42
	s_delay_alu instid0(VALU_DEP_1) | instskip(SKIP_1) | instid1(VALU_DEP_2)
	v_subrev_nc_u32_e32 v44, 28, v42
	v_sub_nc_u32_e32 v42, 29, v42
	v_lshlrev_b64 v[44:45], v44, v[2:3]
	s_delay_alu instid0(VALU_DEP_1)
	v_and_b32_e32 v2, 7, v44
; %bb.454:                              ;   in Loop: Header=BB306_289 Depth=1
	s_or_b32 exec_lo, exec_lo, s16
	v_lshlrev_b32_e32 v43, 8, v43
	v_lshl_add_u32 v42, v42, 10, 0x2000
	s_delay_alu instid0(VALU_DEP_1) | instskip(NEXT) | instid1(VALU_DEP_1)
	v_and_or_b32 v42, 0x8000, v43, v42
	v_lshl_or_b32 v2, v2, 7, v42
	s_delay_alu instid0(VALU_DEP_1)
	v_cvt_f32_f16_e32 v42, v2
.LBB306_455:                            ;   in Loop: Header=BB306_289 Depth=1
	s_or_b32 exec_lo, exec_lo, s14
.LBB306_456:                            ;   in Loop: Header=BB306_289 Depth=1
	s_delay_alu instid0(SALU_CYCLE_1)
	s_or_b32 exec_lo, exec_lo, s13
.LBB306_457:                            ;   in Loop: Header=BB306_289 Depth=1
	s_delay_alu instid0(SALU_CYCLE_1) | instskip(SKIP_3) | instid1(VALU_DEP_2)
	s_or_b32 exec_lo, exec_lo, s7
	v_lshrrev_b32_e32 v45, 16, v11
	v_mov_b32_e32 v44, 0
	s_mov_b32 s7, exec_lo
	v_dual_mov_b32 v43, 0 :: v_dual_and_b32 v2, 0xff, v45
	s_delay_alu instid0(VALU_DEP_1)
	v_cmpx_ne_u16_e32 0, v2
	s_cbranch_execz .LBB306_465
; %bb.458:                              ;   in Loop: Header=BB306_289 Depth=1
	v_bfrev_b32_e32 v43, 1
	s_mov_b32 s13, exec_lo
	v_cmpx_ne_u16_e32 0x80, v2
	s_cbranch_execz .LBB306_464
; %bb.459:                              ;   in Loop: Header=BB306_289 Depth=1
	v_bfe_u32 v46, v11, 16, 7
	v_mov_b32_e32 v43, 0x7fc02000
	s_mov_b32 s14, exec_lo
	s_delay_alu instid0(VALU_DEP_2)
	v_cmpx_ne_u32_e32 0x7f, v46
	s_cbranch_execz .LBB306_463
; %bb.460:                              ;   in Loop: Header=BB306_289 Depth=1
	v_and_b32_e32 v2, 7, v45
	v_lshrrev_b32_e32 v43, 3, v46
	s_mov_b32 s16, exec_lo
	v_cmpx_gt_u32_e32 8, v46
; %bb.461:                              ;   in Loop: Header=BB306_289 Depth=1
	s_delay_alu instid0(VALU_DEP_3) | instskip(NEXT) | instid1(VALU_DEP_1)
	v_clz_i32_u32_e32 v43, v2
	v_min_u32_e32 v43, 32, v43
	s_delay_alu instid0(VALU_DEP_1) | instskip(SKIP_1) | instid1(VALU_DEP_2)
	v_subrev_nc_u32_e32 v46, 28, v43
	v_sub_nc_u32_e32 v43, 29, v43
	v_lshlrev_b64 v[46:47], v46, v[2:3]
	s_delay_alu instid0(VALU_DEP_1)
	v_and_b32_e32 v2, 7, v46
; %bb.462:                              ;   in Loop: Header=BB306_289 Depth=1
	s_or_b32 exec_lo, exec_lo, s16
	v_lshlrev_b32_e32 v45, 8, v45
	v_lshl_add_u32 v43, v43, 10, 0x2000
	s_delay_alu instid0(VALU_DEP_1) | instskip(NEXT) | instid1(VALU_DEP_1)
	v_and_or_b32 v43, 0x8000, v45, v43
	v_lshl_or_b32 v2, v2, 7, v43
	s_delay_alu instid0(VALU_DEP_1)
	v_cvt_f32_f16_e32 v43, v2
.LBB306_463:                            ;   in Loop: Header=BB306_289 Depth=1
	s_or_b32 exec_lo, exec_lo, s14
.LBB306_464:                            ;   in Loop: Header=BB306_289 Depth=1
	s_delay_alu instid0(SALU_CYCLE_1)
	s_or_b32 exec_lo, exec_lo, s13
.LBB306_465:                            ;   in Loop: Header=BB306_289 Depth=1
	s_delay_alu instid0(SALU_CYCLE_1) | instskip(NEXT) | instid1(SALU_CYCLE_1)
	s_or_b32 exec_lo, exec_lo, s7
	s_mov_b32 s7, exec_lo
	v_cmpx_lt_u64_e64 s[8:9], v[10:11]
	s_cbranch_execz .LBB306_473
; %bb.466:                              ;   in Loop: Header=BB306_289 Depth=1
	v_lshrrev_b32_e32 v10, 24, v11
	v_bfrev_b32_e32 v44, 1
	s_mov_b32 s13, exec_lo
	s_delay_alu instid0(VALU_DEP_2)
	v_cmpx_ne_u32_e32 0x80, v10
	s_cbranch_execz .LBB306_472
; %bb.467:                              ;   in Loop: Header=BB306_289 Depth=1
	v_and_b32_e32 v45, 0x7f, v10
	v_mov_b32_e32 v44, 0x7fc02000
	s_mov_b32 s14, exec_lo
	s_delay_alu instid0(VALU_DEP_2)
	v_cmpx_ne_u32_e32 0x7f, v45
	s_cbranch_execz .LBB306_471
; %bb.468:                              ;   in Loop: Header=BB306_289 Depth=1
	v_and_b32_e32 v2, 7, v10
	v_lshrrev_b32_e32 v11, 3, v45
	s_mov_b32 s16, exec_lo
	v_cmpx_gt_u32_e32 8, v45
; %bb.469:                              ;   in Loop: Header=BB306_289 Depth=1
	s_delay_alu instid0(VALU_DEP_3) | instskip(NEXT) | instid1(VALU_DEP_1)
	v_clz_i32_u32_e32 v11, v2
	v_min_u32_e32 v11, 32, v11
	s_delay_alu instid0(VALU_DEP_1) | instskip(SKIP_1) | instid1(VALU_DEP_2)
	v_subrev_nc_u32_e32 v44, 28, v11
	v_sub_nc_u32_e32 v11, 29, v11
	v_lshlrev_b64 v[44:45], v44, v[2:3]
	s_delay_alu instid0(VALU_DEP_1)
	v_and_b32_e32 v2, 7, v44
; %bb.470:                              ;   in Loop: Header=BB306_289 Depth=1
	s_or_b32 exec_lo, exec_lo, s16
	v_lshlrev_b32_e32 v10, 8, v10
	v_lshl_add_u32 v11, v11, 10, 0x2000
	s_delay_alu instid0(VALU_DEP_1) | instskip(NEXT) | instid1(VALU_DEP_1)
	v_and_or_b32 v10, 0x8000, v10, v11
	v_lshl_or_b32 v2, v2, 7, v10
	s_delay_alu instid0(VALU_DEP_1)
	v_cvt_f32_f16_e32 v44, v2
.LBB306_471:                            ;   in Loop: Header=BB306_289 Depth=1
	s_or_b32 exec_lo, exec_lo, s14
.LBB306_472:                            ;   in Loop: Header=BB306_289 Depth=1
	s_delay_alu instid0(SALU_CYCLE_1)
	s_or_b32 exec_lo, exec_lo, s13
.LBB306_473:                            ;   in Loop: Header=BB306_289 Depth=1
	s_delay_alu instid0(SALU_CYCLE_1)
	s_or_b32 exec_lo, exec_lo, s7
	s_waitcnt vmcnt(0)
	v_fma_mixlo_f16 v11, v36, v38, 0
	v_fma_mixlo_f16 v2, v36, v40, 0
	;; [unrolled: 1-line block ×5, first 2 shown]
	v_lshlrev_b32_e32 v38, 16, v11
	v_fma_mixlo_f16 v40, v36, v41, 0
	v_fma_mixlo_f16 v41, v36, v44, 0
	;; [unrolled: 1-line block ×3, first 2 shown]
	v_lshlrev_b32_e32 v2, 16, v2
	v_and_b32_e32 v10, 0xffff, v10
	v_and_b32_e32 v37, 0xffff, v37
	v_lshlrev_b32_e32 v39, 16, v39
	v_and_b32_e32 v40, 0xffff, v40
	v_lshlrev_b32_e32 v41, 16, v41
	v_and_b32_e32 v42, 0xffff, v11
	v_or_b32_e32 v36, v2, v10
	v_or_b32_e32 v37, v38, v37
	;; [unrolled: 1-line block ×3, first 2 shown]
	s_delay_alu instid0(VALU_DEP_4)
	v_or_b32_e32 v10, v41, v42
	s_and_saveexec_b32 s7, vcc_lo
	s_cbranch_execz .LBB306_475
; %bb.474:                              ;   in Loop: Header=BB306_289 Depth=1
	v_cmp_gt_i32_e64 s0, s15, v19
	v_lshrrev_b32_e32 v38, 16, v37
	v_lshrrev_b32_e32 v39, 16, v36
	;; [unrolled: 1-line block ×4, first 2 shown]
	v_cndmask_b32_e64 v37, 0, v37, s0
	v_cmp_gt_i32_e64 s0, s5, v27
	s_delay_alu instid0(VALU_DEP_1) | instskip(SKIP_1) | instid1(VALU_DEP_2)
	v_cndmask_b32_e64 v38, 0, v38, s0
	v_cmp_gt_i32_e64 s0, s5, v26
	v_perm_b32 v37, v38, v37, 0x5040100
	s_delay_alu instid0(VALU_DEP_2) | instskip(SKIP_1) | instid1(VALU_DEP_1)
	v_cndmask_b32_e64 v39, 0, v39, s0
	v_cmp_gt_i32_e64 s0, s15, v25
	v_cndmask_b32_e64 v36, 0, v36, s0
	v_cmp_gt_i32_e64 s0, s5, v24
	s_delay_alu instid0(VALU_DEP_2) | instskip(NEXT) | instid1(VALU_DEP_2)
	v_perm_b32 v36, v39, v36, 0x5040100
	v_cndmask_b32_e64 v40, 0, v40, s0
	v_cmp_gt_i32_e64 s0, s15, v23
	s_delay_alu instid0(VALU_DEP_1) | instskip(SKIP_1) | instid1(VALU_DEP_2)
	v_cndmask_b32_e64 v2, 0, v2, s0
	v_cmp_gt_i32_e64 s0, s5, v22
	v_perm_b32 v2, v40, v2, 0x5040100
	s_delay_alu instid0(VALU_DEP_2) | instskip(SKIP_1) | instid1(VALU_DEP_1)
	v_cndmask_b32_e64 v10, 0, v10, s0
	v_cmp_gt_i32_e64 s0, s15, v21
	v_cndmask_b32_e64 v11, 0, v11, s0
	s_delay_alu instid0(VALU_DEP_1)
	v_perm_b32 v10, v10, v11, 0x5040100
.LBB306_475:                            ;   in Loop: Header=BB306_289 Depth=1
	s_or_b32 exec_lo, exec_lo, s7
	;;#ASMSTART
	v_pk_mul_f16 v11, v31, v37;

	;;#ASMEND
	;;#ASMSTART
	v_pk_mul_f16 v36, v30, v36;

	;;#ASMEND
	;; [unrolled: 4-line block ×4, first 2 shown]
	;;#ASMSTART
	v_pk_add_f16 v11, v11, v36;

	;;#ASMEND
	;;#ASMSTART
	v_pk_add_f16 v2, v11, v2;

	;;#ASMEND
	;; [unrolled: 4-line block ×3, first 2 shown]
	v_dual_mov_b32 v37, 0 :: v_dual_and_b32 v10, 0xffff, v2
	v_lshrrev_b32_e32 v2, 16, v2
	;;#ASMSTART
	v_cvt_f32_f16 v10, v10;
	;;#ASMEND
	;;#ASMSTART
	v_cvt_f32_f16 v11, v2;
	;;#ASMEND
	global_load_b64 v[8:9], v[8:9], off offset:768
	global_load_b32 v36, v3, s[10:11]
	v_mov_b32_e32 v38, 0
	s_mov_b32 s7, exec_lo
	s_waitcnt vmcnt(1)
	v_and_b32_e32 v2, 0xff, v8
	s_delay_alu instid0(VALU_DEP_1)
	v_cmpx_ne_u16_e32 0, v2
	s_cbranch_execz .LBB306_481
; %bb.476:                              ;   in Loop: Header=BB306_289 Depth=1
	v_bfrev_b32_e32 v37, 1
	s_mov_b32 s13, exec_lo
	v_cmpx_ne_u16_e32 0x80, v2
	s_cbranch_execz .LBB306_480
; %bb.477:                              ;   in Loop: Header=BB306_289 Depth=1
	v_and_b32_e32 v2, 0x7f, v8
	v_mov_b32_e32 v37, 0x7fc02000
	s_mov_b32 s14, exec_lo
	s_delay_alu instid0(VALU_DEP_2)
	v_cmpx_ne_u32_e32 0x7f, v2
	s_cbranch_execz .LBB306_479
; %bb.478:                              ;   in Loop: Header=BB306_289 Depth=1
	v_and_b32_e32 v37, 7, v8
	v_cmp_gt_u32_e64 s0, 8, v2
	v_lshrrev_b32_e32 v39, 3, v2
	s_delay_alu instid0(VALU_DEP_3) | instskip(NEXT) | instid1(VALU_DEP_1)
	v_clz_i32_u32_e32 v37, v37
	v_min_u32_e32 v37, 32, v37
	s_delay_alu instid0(VALU_DEP_1) | instskip(SKIP_1) | instid1(VALU_DEP_2)
	v_subrev_nc_u32_e32 v40, 28, v37
	v_sub_nc_u32_e32 v37, 29, v37
	v_cndmask_b32_e64 v2, 0, v40, s0
	s_delay_alu instid0(VALU_DEP_2) | instskip(NEXT) | instid1(VALU_DEP_2)
	v_cndmask_b32_e64 v37, v39, v37, s0
	v_lshlrev_b64 v[39:40], v2, v[8:9]
	v_lshlrev_b32_e32 v2, 8, v8
	s_delay_alu instid0(VALU_DEP_3) | instskip(NEXT) | instid1(VALU_DEP_3)
	v_lshl_add_u32 v37, v37, 10, 0x2000
	v_lshlrev_b32_e32 v39, 7, v39
	s_delay_alu instid0(VALU_DEP_2) | instskip(NEXT) | instid1(VALU_DEP_1)
	v_and_or_b32 v2, 0x8000, v2, v37
	v_and_or_b32 v2, 0x380, v39, v2
	s_delay_alu instid0(VALU_DEP_1)
	v_cvt_f32_f16_e32 v37, v2
.LBB306_479:                            ;   in Loop: Header=BB306_289 Depth=1
	s_or_b32 exec_lo, exec_lo, s14
.LBB306_480:                            ;   in Loop: Header=BB306_289 Depth=1
	s_delay_alu instid0(SALU_CYCLE_1)
	s_or_b32 exec_lo, exec_lo, s13
.LBB306_481:                            ;   in Loop: Header=BB306_289 Depth=1
	s_delay_alu instid0(SALU_CYCLE_1) | instskip(SKIP_2) | instid1(VALU_DEP_1)
	s_or_b32 exec_lo, exec_lo, s7
	v_lshrrev_b16 v2, 8, v8
	s_mov_b32 s7, exec_lo
	v_cmpx_ne_u16_e32 0, v2
	s_cbranch_execz .LBB306_489
; %bb.482:                              ;   in Loop: Header=BB306_289 Depth=1
	v_bfrev_b32_e32 v38, 1
	s_mov_b32 s13, exec_lo
	v_cmpx_ne_u16_e32 0x80, v2
	s_cbranch_execz .LBB306_488
; %bb.483:                              ;   in Loop: Header=BB306_289 Depth=1
	v_and_b32_e32 v39, 0xffff, v2
	v_mov_b32_e32 v38, 0x7fc02000
	s_mov_b32 s14, exec_lo
	s_delay_alu instid0(VALU_DEP_2) | instskip(NEXT) | instid1(VALU_DEP_1)
	v_and_b32_e32 v40, 0x7f, v39
	v_cmpx_ne_u32_e32 0x7f, v40
	s_cbranch_execz .LBB306_487
; %bb.484:                              ;   in Loop: Header=BB306_289 Depth=1
	v_and_b32_e32 v2, 7, v39
	v_lshrrev_b32_e32 v38, 3, v40
	s_mov_b32 s16, exec_lo
	v_cmpx_gt_u32_e32 8, v40
; %bb.485:                              ;   in Loop: Header=BB306_289 Depth=1
	s_delay_alu instid0(VALU_DEP_3) | instskip(NEXT) | instid1(VALU_DEP_1)
	v_clz_i32_u32_e32 v38, v2
	v_min_u32_e32 v38, 32, v38
	s_delay_alu instid0(VALU_DEP_1) | instskip(SKIP_1) | instid1(VALU_DEP_2)
	v_subrev_nc_u32_e32 v40, 28, v38
	v_sub_nc_u32_e32 v38, 29, v38
	v_lshlrev_b64 v[40:41], v40, v[2:3]
	s_delay_alu instid0(VALU_DEP_1)
	v_and_b32_e32 v2, 7, v40
; %bb.486:                              ;   in Loop: Header=BB306_289 Depth=1
	s_or_b32 exec_lo, exec_lo, s16
	v_lshlrev_b32_e32 v39, 8, v39
	v_lshl_add_u32 v38, v38, 10, 0x2000
	s_delay_alu instid0(VALU_DEP_1) | instskip(NEXT) | instid1(VALU_DEP_1)
	v_and_or_b32 v38, 0x8000, v39, v38
	v_lshl_or_b32 v2, v2, 7, v38
	s_delay_alu instid0(VALU_DEP_1)
	v_cvt_f32_f16_e32 v38, v2
.LBB306_487:                            ;   in Loop: Header=BB306_289 Depth=1
	s_or_b32 exec_lo, exec_lo, s14
.LBB306_488:                            ;   in Loop: Header=BB306_289 Depth=1
	s_delay_alu instid0(SALU_CYCLE_1)
	s_or_b32 exec_lo, exec_lo, s13
.LBB306_489:                            ;   in Loop: Header=BB306_289 Depth=1
	s_delay_alu instid0(SALU_CYCLE_1) | instskip(SKIP_3) | instid1(VALU_DEP_2)
	s_or_b32 exec_lo, exec_lo, s7
	v_lshrrev_b32_e32 v41, 16, v8
	v_mov_b32_e32 v40, 0
	s_mov_b32 s7, exec_lo
	v_dual_mov_b32 v39, 0 :: v_dual_and_b32 v2, 0xff, v41
	s_delay_alu instid0(VALU_DEP_1)
	v_cmpx_ne_u16_e32 0, v2
	s_cbranch_execz .LBB306_497
; %bb.490:                              ;   in Loop: Header=BB306_289 Depth=1
	v_bfrev_b32_e32 v39, 1
	s_mov_b32 s13, exec_lo
	v_cmpx_ne_u16_e32 0x80, v2
	s_cbranch_execz .LBB306_496
; %bb.491:                              ;   in Loop: Header=BB306_289 Depth=1
	v_bfe_u32 v42, v8, 16, 7
	v_mov_b32_e32 v39, 0x7fc02000
	s_mov_b32 s14, exec_lo
	s_delay_alu instid0(VALU_DEP_2)
	v_cmpx_ne_u32_e32 0x7f, v42
	s_cbranch_execz .LBB306_495
; %bb.492:                              ;   in Loop: Header=BB306_289 Depth=1
	v_and_b32_e32 v2, 7, v41
	v_lshrrev_b32_e32 v39, 3, v42
	s_mov_b32 s16, exec_lo
	v_cmpx_gt_u32_e32 8, v42
; %bb.493:                              ;   in Loop: Header=BB306_289 Depth=1
	s_delay_alu instid0(VALU_DEP_3) | instskip(NEXT) | instid1(VALU_DEP_1)
	v_clz_i32_u32_e32 v39, v2
	v_min_u32_e32 v39, 32, v39
	s_delay_alu instid0(VALU_DEP_1) | instskip(SKIP_1) | instid1(VALU_DEP_2)
	v_subrev_nc_u32_e32 v42, 28, v39
	v_sub_nc_u32_e32 v39, 29, v39
	v_lshlrev_b64 v[42:43], v42, v[2:3]
	s_delay_alu instid0(VALU_DEP_1)
	v_and_b32_e32 v2, 7, v42
; %bb.494:                              ;   in Loop: Header=BB306_289 Depth=1
	s_or_b32 exec_lo, exec_lo, s16
	v_lshlrev_b32_e32 v41, 8, v41
	v_lshl_add_u32 v39, v39, 10, 0x2000
	s_delay_alu instid0(VALU_DEP_1) | instskip(NEXT) | instid1(VALU_DEP_1)
	v_and_or_b32 v39, 0x8000, v41, v39
	v_lshl_or_b32 v2, v2, 7, v39
	s_delay_alu instid0(VALU_DEP_1)
	v_cvt_f32_f16_e32 v39, v2
.LBB306_495:                            ;   in Loop: Header=BB306_289 Depth=1
	s_or_b32 exec_lo, exec_lo, s14
.LBB306_496:                            ;   in Loop: Header=BB306_289 Depth=1
	s_delay_alu instid0(SALU_CYCLE_1)
	s_or_b32 exec_lo, exec_lo, s13
.LBB306_497:                            ;   in Loop: Header=BB306_289 Depth=1
	s_delay_alu instid0(SALU_CYCLE_1) | instskip(NEXT) | instid1(SALU_CYCLE_1)
	s_or_b32 exec_lo, exec_lo, s7
	s_mov_b32 s7, exec_lo
	v_cmpx_lt_u32_e32 0xffffff, v8
	s_cbranch_execz .LBB306_505
; %bb.498:                              ;   in Loop: Header=BB306_289 Depth=1
	v_lshrrev_b32_e32 v41, 24, v8
	v_bfrev_b32_e32 v40, 1
	s_mov_b32 s13, exec_lo
	s_delay_alu instid0(VALU_DEP_2)
	v_cmpx_ne_u32_e32 0x80, v41
	s_cbranch_execz .LBB306_504
; %bb.499:                              ;   in Loop: Header=BB306_289 Depth=1
	v_and_b32_e32 v42, 0x7f, v41
	v_mov_b32_e32 v40, 0x7fc02000
	s_mov_b32 s14, exec_lo
	s_delay_alu instid0(VALU_DEP_2)
	v_cmpx_ne_u32_e32 0x7f, v42
	s_cbranch_execz .LBB306_503
; %bb.500:                              ;   in Loop: Header=BB306_289 Depth=1
	v_and_b32_e32 v2, 7, v41
	v_lshrrev_b32_e32 v40, 3, v42
	s_mov_b32 s16, exec_lo
	v_cmpx_gt_u32_e32 8, v42
; %bb.501:                              ;   in Loop: Header=BB306_289 Depth=1
	s_delay_alu instid0(VALU_DEP_3) | instskip(NEXT) | instid1(VALU_DEP_1)
	v_clz_i32_u32_e32 v40, v2
	v_min_u32_e32 v40, 32, v40
	s_delay_alu instid0(VALU_DEP_1) | instskip(SKIP_1) | instid1(VALU_DEP_2)
	v_subrev_nc_u32_e32 v42, 28, v40
	v_sub_nc_u32_e32 v40, 29, v40
	v_lshlrev_b64 v[42:43], v42, v[2:3]
	s_delay_alu instid0(VALU_DEP_1)
	v_and_b32_e32 v2, 7, v42
; %bb.502:                              ;   in Loop: Header=BB306_289 Depth=1
	s_or_b32 exec_lo, exec_lo, s16
	v_lshlrev_b32_e32 v41, 8, v41
	v_lshl_add_u32 v40, v40, 10, 0x2000
	s_delay_alu instid0(VALU_DEP_1) | instskip(NEXT) | instid1(VALU_DEP_1)
	v_and_or_b32 v40, 0x8000, v41, v40
	v_lshl_or_b32 v2, v2, 7, v40
	s_delay_alu instid0(VALU_DEP_1)
	v_cvt_f32_f16_e32 v40, v2
.LBB306_503:                            ;   in Loop: Header=BB306_289 Depth=1
	s_or_b32 exec_lo, exec_lo, s14
.LBB306_504:                            ;   in Loop: Header=BB306_289 Depth=1
	s_delay_alu instid0(SALU_CYCLE_1)
	s_or_b32 exec_lo, exec_lo, s13
.LBB306_505:                            ;   in Loop: Header=BB306_289 Depth=1
	s_delay_alu instid0(SALU_CYCLE_1) | instskip(SKIP_3) | instid1(VALU_DEP_2)
	s_or_b32 exec_lo, exec_lo, s7
	v_dual_mov_b32 v2, v9 :: v_dual_and_b32 v43, 0xff, v9
	v_dual_mov_b32 v42, 0 :: v_dual_mov_b32 v41, 0
	s_mov_b32 s7, exec_lo
	v_cmpx_ne_u16_e32 0, v43
	s_cbranch_execz .LBB306_511
; %bb.506:                              ;   in Loop: Header=BB306_289 Depth=1
	v_bfrev_b32_e32 v41, 1
	s_mov_b32 s13, exec_lo
	v_cmpx_ne_u16_e32 0x80, v43
	s_cbranch_execz .LBB306_510
; %bb.507:                              ;   in Loop: Header=BB306_289 Depth=1
	v_and_b32_e32 v43, 0x7f, v9
	v_mov_b32_e32 v41, 0x7fc02000
	s_mov_b32 s14, exec_lo
	s_delay_alu instid0(VALU_DEP_2)
	v_cmpx_ne_u32_e32 0x7f, v43
	s_cbranch_execz .LBB306_509
; %bb.508:                              ;   in Loop: Header=BB306_289 Depth=1
	v_and_b32_e32 v41, 7, v9
	v_cmp_gt_u32_e64 s0, 8, v43
	v_lshrrev_b32_e32 v44, 3, v43
	s_delay_alu instid0(VALU_DEP_3) | instskip(NEXT) | instid1(VALU_DEP_1)
	v_clz_i32_u32_e32 v41, v41
	v_min_u32_e32 v41, 32, v41
	s_delay_alu instid0(VALU_DEP_1) | instskip(SKIP_1) | instid1(VALU_DEP_2)
	v_subrev_nc_u32_e32 v45, 28, v41
	v_sub_nc_u32_e32 v41, 29, v41
	v_cndmask_b32_e64 v43, 0, v45, s0
	s_delay_alu instid0(VALU_DEP_2) | instskip(NEXT) | instid1(VALU_DEP_2)
	v_cndmask_b32_e64 v41, v44, v41, s0
	v_lshlrev_b64 v[43:44], v43, v[2:3]
	v_lshlrev_b32_e32 v44, 8, v9
	s_delay_alu instid0(VALU_DEP_3) | instskip(NEXT) | instid1(VALU_DEP_3)
	v_lshl_add_u32 v41, v41, 10, 0x2000
	v_lshlrev_b32_e32 v43, 7, v43
	s_delay_alu instid0(VALU_DEP_2) | instskip(NEXT) | instid1(VALU_DEP_1)
	v_and_or_b32 v41, 0x8000, v44, v41
	v_and_or_b32 v41, 0x380, v43, v41
	s_delay_alu instid0(VALU_DEP_1)
	v_cvt_f32_f16_e32 v41, v41
.LBB306_509:                            ;   in Loop: Header=BB306_289 Depth=1
	s_or_b32 exec_lo, exec_lo, s14
.LBB306_510:                            ;   in Loop: Header=BB306_289 Depth=1
	s_delay_alu instid0(SALU_CYCLE_1)
	s_or_b32 exec_lo, exec_lo, s13
.LBB306_511:                            ;   in Loop: Header=BB306_289 Depth=1
	s_delay_alu instid0(SALU_CYCLE_1) | instskip(SKIP_2) | instid1(VALU_DEP_1)
	s_or_b32 exec_lo, exec_lo, s7
	v_lshrrev_b16 v2, 8, v2
	s_mov_b32 s7, exec_lo
	v_cmpx_ne_u16_e32 0, v2
	s_cbranch_execz .LBB306_519
; %bb.512:                              ;   in Loop: Header=BB306_289 Depth=1
	v_bfrev_b32_e32 v42, 1
	s_mov_b32 s13, exec_lo
	v_cmpx_ne_u16_e32 0x80, v2
	s_cbranch_execz .LBB306_518
; %bb.513:                              ;   in Loop: Header=BB306_289 Depth=1
	v_and_b32_e32 v43, 0xffff, v2
	v_mov_b32_e32 v42, 0x7fc02000
	s_mov_b32 s14, exec_lo
	s_delay_alu instid0(VALU_DEP_2) | instskip(NEXT) | instid1(VALU_DEP_1)
	v_and_b32_e32 v44, 0x7f, v43
	v_cmpx_ne_u32_e32 0x7f, v44
	s_cbranch_execz .LBB306_517
; %bb.514:                              ;   in Loop: Header=BB306_289 Depth=1
	v_and_b32_e32 v2, 7, v43
	v_lshrrev_b32_e32 v42, 3, v44
	s_mov_b32 s16, exec_lo
	v_cmpx_gt_u32_e32 8, v44
; %bb.515:                              ;   in Loop: Header=BB306_289 Depth=1
	s_delay_alu instid0(VALU_DEP_3) | instskip(NEXT) | instid1(VALU_DEP_1)
	v_clz_i32_u32_e32 v42, v2
	v_min_u32_e32 v42, 32, v42
	s_delay_alu instid0(VALU_DEP_1) | instskip(SKIP_1) | instid1(VALU_DEP_2)
	v_subrev_nc_u32_e32 v44, 28, v42
	v_sub_nc_u32_e32 v42, 29, v42
	v_lshlrev_b64 v[44:45], v44, v[2:3]
	s_delay_alu instid0(VALU_DEP_1)
	v_and_b32_e32 v2, 7, v44
; %bb.516:                              ;   in Loop: Header=BB306_289 Depth=1
	s_or_b32 exec_lo, exec_lo, s16
	v_lshlrev_b32_e32 v43, 8, v43
	v_lshl_add_u32 v42, v42, 10, 0x2000
	s_delay_alu instid0(VALU_DEP_1) | instskip(NEXT) | instid1(VALU_DEP_1)
	v_and_or_b32 v42, 0x8000, v43, v42
	v_lshl_or_b32 v2, v2, 7, v42
	s_delay_alu instid0(VALU_DEP_1)
	v_cvt_f32_f16_e32 v42, v2
.LBB306_517:                            ;   in Loop: Header=BB306_289 Depth=1
	s_or_b32 exec_lo, exec_lo, s14
.LBB306_518:                            ;   in Loop: Header=BB306_289 Depth=1
	s_delay_alu instid0(SALU_CYCLE_1)
	s_or_b32 exec_lo, exec_lo, s13
.LBB306_519:                            ;   in Loop: Header=BB306_289 Depth=1
	s_delay_alu instid0(SALU_CYCLE_1) | instskip(SKIP_3) | instid1(VALU_DEP_2)
	s_or_b32 exec_lo, exec_lo, s7
	v_lshrrev_b32_e32 v45, 16, v9
	v_mov_b32_e32 v44, 0
	s_mov_b32 s7, exec_lo
	v_dual_mov_b32 v43, 0 :: v_dual_and_b32 v2, 0xff, v45
	s_delay_alu instid0(VALU_DEP_1)
	v_cmpx_ne_u16_e32 0, v2
	s_cbranch_execz .LBB306_527
; %bb.520:                              ;   in Loop: Header=BB306_289 Depth=1
	v_bfrev_b32_e32 v43, 1
	s_mov_b32 s13, exec_lo
	v_cmpx_ne_u16_e32 0x80, v2
	s_cbranch_execz .LBB306_526
; %bb.521:                              ;   in Loop: Header=BB306_289 Depth=1
	v_bfe_u32 v46, v9, 16, 7
	v_mov_b32_e32 v43, 0x7fc02000
	s_mov_b32 s14, exec_lo
	s_delay_alu instid0(VALU_DEP_2)
	v_cmpx_ne_u32_e32 0x7f, v46
	s_cbranch_execz .LBB306_525
; %bb.522:                              ;   in Loop: Header=BB306_289 Depth=1
	v_and_b32_e32 v2, 7, v45
	v_lshrrev_b32_e32 v43, 3, v46
	s_mov_b32 s16, exec_lo
	v_cmpx_gt_u32_e32 8, v46
; %bb.523:                              ;   in Loop: Header=BB306_289 Depth=1
	s_delay_alu instid0(VALU_DEP_3) | instskip(NEXT) | instid1(VALU_DEP_1)
	v_clz_i32_u32_e32 v43, v2
	v_min_u32_e32 v43, 32, v43
	s_delay_alu instid0(VALU_DEP_1) | instskip(SKIP_1) | instid1(VALU_DEP_2)
	v_subrev_nc_u32_e32 v46, 28, v43
	v_sub_nc_u32_e32 v43, 29, v43
	v_lshlrev_b64 v[46:47], v46, v[2:3]
	s_delay_alu instid0(VALU_DEP_1)
	v_and_b32_e32 v2, 7, v46
; %bb.524:                              ;   in Loop: Header=BB306_289 Depth=1
	s_or_b32 exec_lo, exec_lo, s16
	v_lshlrev_b32_e32 v45, 8, v45
	v_lshl_add_u32 v43, v43, 10, 0x2000
	s_delay_alu instid0(VALU_DEP_1) | instskip(NEXT) | instid1(VALU_DEP_1)
	v_and_or_b32 v43, 0x8000, v45, v43
	v_lshl_or_b32 v2, v2, 7, v43
	s_delay_alu instid0(VALU_DEP_1)
	v_cvt_f32_f16_e32 v43, v2
.LBB306_525:                            ;   in Loop: Header=BB306_289 Depth=1
	s_or_b32 exec_lo, exec_lo, s14
.LBB306_526:                            ;   in Loop: Header=BB306_289 Depth=1
	s_delay_alu instid0(SALU_CYCLE_1)
	s_or_b32 exec_lo, exec_lo, s13
.LBB306_527:                            ;   in Loop: Header=BB306_289 Depth=1
	s_delay_alu instid0(SALU_CYCLE_1) | instskip(NEXT) | instid1(SALU_CYCLE_1)
	s_or_b32 exec_lo, exec_lo, s7
	s_mov_b32 s7, exec_lo
	v_cmpx_lt_u64_e64 s[8:9], v[8:9]
	s_cbranch_execz .LBB306_535
; %bb.528:                              ;   in Loop: Header=BB306_289 Depth=1
	v_lshrrev_b32_e32 v8, 24, v9
	v_bfrev_b32_e32 v44, 1
	s_mov_b32 s13, exec_lo
	s_delay_alu instid0(VALU_DEP_2)
	v_cmpx_ne_u32_e32 0x80, v8
	s_cbranch_execz .LBB306_534
; %bb.529:                              ;   in Loop: Header=BB306_289 Depth=1
	v_and_b32_e32 v45, 0x7f, v8
	v_mov_b32_e32 v44, 0x7fc02000
	s_mov_b32 s14, exec_lo
	s_delay_alu instid0(VALU_DEP_2)
	v_cmpx_ne_u32_e32 0x7f, v45
	s_cbranch_execz .LBB306_533
; %bb.530:                              ;   in Loop: Header=BB306_289 Depth=1
	v_and_b32_e32 v2, 7, v8
	v_lshrrev_b32_e32 v9, 3, v45
	s_mov_b32 s16, exec_lo
	v_cmpx_gt_u32_e32 8, v45
; %bb.531:                              ;   in Loop: Header=BB306_289 Depth=1
	s_delay_alu instid0(VALU_DEP_3) | instskip(NEXT) | instid1(VALU_DEP_1)
	v_clz_i32_u32_e32 v9, v2
	v_min_u32_e32 v9, 32, v9
	s_delay_alu instid0(VALU_DEP_1) | instskip(SKIP_1) | instid1(VALU_DEP_2)
	v_subrev_nc_u32_e32 v44, 28, v9
	v_sub_nc_u32_e32 v9, 29, v9
	v_lshlrev_b64 v[44:45], v44, v[2:3]
	s_delay_alu instid0(VALU_DEP_1)
	v_and_b32_e32 v2, 7, v44
; %bb.532:                              ;   in Loop: Header=BB306_289 Depth=1
	s_or_b32 exec_lo, exec_lo, s16
	v_lshlrev_b32_e32 v8, 8, v8
	v_lshl_add_u32 v9, v9, 10, 0x2000
	s_delay_alu instid0(VALU_DEP_1) | instskip(NEXT) | instid1(VALU_DEP_1)
	v_and_or_b32 v8, 0x8000, v8, v9
	v_lshl_or_b32 v2, v2, 7, v8
	s_delay_alu instid0(VALU_DEP_1)
	v_cvt_f32_f16_e32 v44, v2
.LBB306_533:                            ;   in Loop: Header=BB306_289 Depth=1
	s_or_b32 exec_lo, exec_lo, s14
.LBB306_534:                            ;   in Loop: Header=BB306_289 Depth=1
	s_delay_alu instid0(SALU_CYCLE_1)
	s_or_b32 exec_lo, exec_lo, s13
.LBB306_535:                            ;   in Loop: Header=BB306_289 Depth=1
	s_delay_alu instid0(SALU_CYCLE_1)
	s_or_b32 exec_lo, exec_lo, s7
	s_waitcnt vmcnt(0)
	v_fma_mixlo_f16 v9, v36, v38, 0
	v_fma_mixlo_f16 v2, v36, v40, 0
	;; [unrolled: 1-line block ×5, first 2 shown]
	v_lshlrev_b32_e32 v38, 16, v9
	v_fma_mixlo_f16 v9, v36, v37, 0
	v_fma_mixlo_f16 v37, v36, v42, 0
	;; [unrolled: 1-line block ×3, first 2 shown]
	v_lshlrev_b32_e32 v2, 16, v2
	v_and_b32_e32 v8, 0xffff, v8
	v_and_b32_e32 v41, 0xffff, v9
	v_lshlrev_b32_e32 v42, 16, v37
	v_and_b32_e32 v39, 0xffff, v39
	v_lshlrev_b32_e32 v40, 16, v40
	v_and_b32_e32 v43, 0xffff, v36
	v_or_b32_e32 v9, v2, v8
	v_or_b32_e32 v37, v38, v41
	;; [unrolled: 1-line block ×3, first 2 shown]
	s_delay_alu instid0(VALU_DEP_4)
	v_or_b32_e32 v8, v40, v43
	s_and_saveexec_b32 s0, vcc_lo
	s_cbranch_execz .LBB306_288
; %bb.536:                              ;   in Loop: Header=BB306_289 Depth=1
	v_cmp_gt_i32_e32 vcc_lo, s15, v19
	v_lshrrev_b32_e32 v38, 16, v37
	v_lshrrev_b32_e32 v39, 16, v9
	;; [unrolled: 1-line block ×3, first 2 shown]
	v_cndmask_b32_e32 v37, 0, v37, vcc_lo
	v_cmp_gt_i32_e32 vcc_lo, s5, v27
	v_cndmask_b32_e32 v27, 0, v38, vcc_lo
	v_cmp_gt_i32_e32 vcc_lo, s5, v26
	v_lshrrev_b32_e32 v38, 16, v2
	v_cndmask_b32_e32 v26, 0, v39, vcc_lo
	v_cmp_gt_i32_e32 vcc_lo, s15, v25
	v_cndmask_b32_e32 v9, 0, v9, vcc_lo
	v_cmp_gt_i32_e32 vcc_lo, s5, v24
	;; [unrolled: 2-line block ×3, first 2 shown]
	s_delay_alu instid0(VALU_DEP_4)
	v_perm_b32 v9, v26, v9, 0x5040100
	v_cndmask_b32_e32 v2, 0, v2, vcc_lo
	v_cmp_gt_i32_e32 vcc_lo, s5, v22
	v_cndmask_b32_e32 v8, 0, v8, vcc_lo
	v_cmp_gt_i32_e32 vcc_lo, s15, v21
	v_perm_b32 v37, v27, v37, 0x5040100
	v_cndmask_b32_e32 v21, 0, v36, vcc_lo
	v_perm_b32 v2, v24, v2, 0x5040100
	s_delay_alu instid0(VALU_DEP_2)
	v_perm_b32 v8, v8, v21, 0x5040100
	s_branch .LBB306_288
.LBB306_537:
	s_or_b32 exec_lo, exec_lo, s4
.LBB306_538:
	s_delay_alu instid0(SALU_CYCLE_1)
	s_or_b32 exec_lo, exec_lo, s1
	v_and_b32_e32 v2, 0x3c0, v0
	v_lshl_add_u32 v1, v13, 9, 0x120
	s_mov_b32 s0, exec_lo
	s_waitcnt_vscnt null, 0x0
	s_barrier
	buffer_gl0_inv
	v_cmpx_eq_u32_e32 64, v2
	s_cbranch_execz .LBB306_540
; %bb.539:
	v_add_nc_u32_e32 v2, 0xfffffc00, v1
	v_lshl_or_b32 v3, v0, 2, 0x180
	s_delay_alu instid0(VALU_DEP_2) | instskip(NEXT) | instid1(VALU_DEP_2)
	v_lshl_add_u32 v4, v14, 2, v2
	v_add_nc_u32_e32 v2, v2, v3
	ds_store_2addr_b32 v4, v16, v18 offset1:32
	ds_store_b32 v4, v17 offset:256
	ds_store_b32 v2, v15
.LBB306_540:
	s_or_b32 exec_lo, exec_lo, s0
	v_lshl_add_u32 v2, v14, 2, v1
	s_waitcnt lgkmcnt(0)
	s_barrier
	buffer_gl0_inv
	s_and_saveexec_b32 s0, s2
	s_cbranch_execz .LBB306_542
; %bb.541:
	v_or_b32_e32 v3, 0x80, v12
	v_or_b32_e32 v4, 0x180, v12
	s_delay_alu instid0(VALU_DEP_2) | instskip(NEXT) | instid1(VALU_DEP_2)
	v_add_nc_u32_e32 v5, v1, v3
	v_add_nc_u32_e32 v6, v1, v4
	ds_load_2addr_stride64_b32 v[3:4], v2 offset1:1
	ds_load_b32 v5, v5
	ds_load_b32 v6, v6
	s_waitcnt lgkmcnt(2)
	v_dual_add_f32 v16, v16, v3 :: v_dual_add_f32 v17, v17, v4
	s_waitcnt lgkmcnt(0)
	v_dual_add_f32 v18, v18, v5 :: v_dual_add_f32 v15, v15, v6
.LBB306_542:
	s_or_b32 exec_lo, exec_lo, s0
	v_and_b32_e32 v3, 0x3e0, v0
	s_mov_b32 s0, exec_lo
	s_barrier
	buffer_gl0_inv
	v_cmpx_eq_u32_e32 32, v3
	s_cbranch_execz .LBB306_544
; %bb.543:
	v_or_b32_e32 v3, 0x180, v12
	v_lshl_add_u32 v4, v14, 2, 0x120
	v_add_nc_u32_e32 v5, 0x120, v12
	s_delay_alu instid0(VALU_DEP_3)
	v_add_nc_u32_e32 v3, 0x120, v3
	ds_store_b32 v4, v16
	ds_store_b32 v5, v18
	ds_store_b32 v4, v17 offset:256
	ds_store_b32 v3, v15
.LBB306_544:
	s_or_b32 exec_lo, exec_lo, s0
	v_cmp_gt_u32_e32 vcc_lo, 32, v0
	s_waitcnt lgkmcnt(0)
	s_barrier
	buffer_gl0_inv
	s_and_saveexec_b32 s0, vcc_lo
	s_cbranch_execz .LBB306_546
; %bb.545:
	v_lshl_add_u32 v3, v0, 2, v1
	ds_load_b32 v4, v2
	ds_load_2addr_b32 v[1:2], v3 offset0:32 offset1:64
	ds_load_b32 v3, v3 offset:384
	s_waitcnt lgkmcnt(1)
	v_dual_add_f32 v16, v16, v4 :: v_dual_add_f32 v17, v17, v2
	s_waitcnt lgkmcnt(0)
	v_dual_add_f32 v18, v18, v1 :: v_dual_add_f32 v15, v15, v3
.LBB306_546:
	s_or_b32 exec_lo, exec_lo, s0
	s_barrier
	buffer_gl0_inv
	s_and_saveexec_b32 s0, vcc_lo
	s_cbranch_execz .LBB306_548
; %bb.547:
	s_lshl_b32 s0, s6, 7
	s_mul_i32 s2, s21, s20
	s_ashr_i32 s1, s0, 31
	v_lshlrev_b32_e32 v0, 1, v0
	s_lshl_b64 s[0:1], s[0:1], 1
	;;#ASMSTART
	v_cvt_f16_f32 v1, v16;

	;;#ASMEND
	s_add_u32 s4, s22, s0
	s_addc_u32 s5, s23, s1
	s_ashr_i32 s3, s2, 31
	s_delay_alu instid0(SALU_CYCLE_1) | instskip(NEXT) | instid1(SALU_CYCLE_1)
	s_lshl_b64 s[0:1], s[2:3], 1
	s_add_u32 s2, s4, s0
	s_addc_u32 s3, s5, s1
	s_lshl_b32 s0, s12, 7
	s_delay_alu instid0(SALU_CYCLE_1) | instskip(NEXT) | instid1(SALU_CYCLE_1)
	s_ashr_i32 s1, s0, 31
	s_lshl_b64 s[0:1], s[0:1], 1
	s_delay_alu instid0(SALU_CYCLE_1)
	s_add_u32 s0, s2, s0
	s_addc_u32 s1, s3, s1
	global_store_b16 v0, v1, s[0:1]
	;;#ASMSTART
	v_cvt_f16_f32 v1, v18;

	;;#ASMEND
	global_store_b16 v0, v1, s[0:1] offset:64
	;;#ASMSTART
	v_cvt_f16_f32 v1, v17;

	;;#ASMEND
	global_store_b16 v0, v1, s[0:1] offset:128
	;; [unrolled: 5-line block ×3, first 2 shown]
.LBB306_548:
	s_nop 0
	s_sendmsg sendmsg(MSG_DEALLOC_VGPRS)
	s_endpgm
	.section	.rodata,"a",@progbits
	.p2align	6, 0x0
	.amdhsa_kernel _ZN4vllm25paged_attention_v2_kernelIthLi128ELi8ELi128ELNS_18Fp8KVCacheDataTypeE1ELb0ELi512EEEvPfS2_PT_PKS3_PKT0_S9_ifPKiSB_iPKfiiiSD_SD_iiiii
		.amdhsa_group_segment_fixed_size 288
		.amdhsa_private_segment_fixed_size 0
		.amdhsa_kernarg_size 400
		.amdhsa_user_sgpr_count 13
		.amdhsa_user_sgpr_dispatch_ptr 0
		.amdhsa_user_sgpr_queue_ptr 0
		.amdhsa_user_sgpr_kernarg_segment_ptr 1
		.amdhsa_user_sgpr_dispatch_id 0
		.amdhsa_user_sgpr_private_segment_size 0
		.amdhsa_wavefront_size32 1
		.amdhsa_uses_dynamic_stack 0
		.amdhsa_enable_private_segment 0
		.amdhsa_system_sgpr_workgroup_id_x 1
		.amdhsa_system_sgpr_workgroup_id_y 1
		.amdhsa_system_sgpr_workgroup_id_z 1
		.amdhsa_system_sgpr_workgroup_info 0
		.amdhsa_system_vgpr_workitem_id 0
		.amdhsa_next_free_vgpr 78
		.amdhsa_next_free_sgpr 44
		.amdhsa_reserve_vcc 1
		.amdhsa_float_round_mode_32 0
		.amdhsa_float_round_mode_16_64 0
		.amdhsa_float_denorm_mode_32 3
		.amdhsa_float_denorm_mode_16_64 3
		.amdhsa_dx10_clamp 1
		.amdhsa_ieee_mode 1
		.amdhsa_fp16_overflow 0
		.amdhsa_workgroup_processor_mode 1
		.amdhsa_memory_ordered 1
		.amdhsa_forward_progress 0
		.amdhsa_shared_vgpr_count 0
		.amdhsa_exception_fp_ieee_invalid_op 0
		.amdhsa_exception_fp_denorm_src 0
		.amdhsa_exception_fp_ieee_div_zero 0
		.amdhsa_exception_fp_ieee_overflow 0
		.amdhsa_exception_fp_ieee_underflow 0
		.amdhsa_exception_fp_ieee_inexact 0
		.amdhsa_exception_int_div_zero 0
	.end_amdhsa_kernel
	.section	.text._ZN4vllm25paged_attention_v2_kernelIthLi128ELi8ELi128ELNS_18Fp8KVCacheDataTypeE1ELb0ELi512EEEvPfS2_PT_PKS3_PKT0_S9_ifPKiSB_iPKfiiiSD_SD_iiiii,"axG",@progbits,_ZN4vllm25paged_attention_v2_kernelIthLi128ELi8ELi128ELNS_18Fp8KVCacheDataTypeE1ELb0ELi512EEEvPfS2_PT_PKS3_PKT0_S9_ifPKiSB_iPKfiiiSD_SD_iiiii,comdat
.Lfunc_end306:
	.size	_ZN4vllm25paged_attention_v2_kernelIthLi128ELi8ELi128ELNS_18Fp8KVCacheDataTypeE1ELb0ELi512EEEvPfS2_PT_PKS3_PKT0_S9_ifPKiSB_iPKfiiiSD_SD_iiiii, .Lfunc_end306-_ZN4vllm25paged_attention_v2_kernelIthLi128ELi8ELi128ELNS_18Fp8KVCacheDataTypeE1ELb0ELi512EEEvPfS2_PT_PKS3_PKT0_S9_ifPKiSB_iPKfiiiSD_SD_iiiii
                                        ; -- End function
	.section	.AMDGPU.csdata,"",@progbits
; Kernel info:
; codeLenInByte = 22432
; NumSgprs: 46
; NumVgprs: 78
; ScratchSize: 0
; MemoryBound: 0
; FloatMode: 240
; IeeeMode: 1
; LDSByteSize: 288 bytes/workgroup (compile time only)
; SGPRBlocks: 5
; VGPRBlocks: 9
; NumSGPRsForWavesPerEU: 46
; NumVGPRsForWavesPerEU: 78
; Occupancy: 16
; WaveLimiterHint : 1
; COMPUTE_PGM_RSRC2:SCRATCH_EN: 0
; COMPUTE_PGM_RSRC2:USER_SGPR: 13
; COMPUTE_PGM_RSRC2:TRAP_HANDLER: 0
; COMPUTE_PGM_RSRC2:TGID_X_EN: 1
; COMPUTE_PGM_RSRC2:TGID_Y_EN: 1
; COMPUTE_PGM_RSRC2:TGID_Z_EN: 1
; COMPUTE_PGM_RSRC2:TIDIG_COMP_CNT: 0
	.text
	.p2align	2                               ; -- Begin function _ZN4vllm22paged_attention_kernelIthLi192ELi8ELi128ELNS_18Fp8KVCacheDataTypeE1ELb0ELi512EEEvPfS2_PT_PKS3_PKT0_S9_ifPKiSB_iPKfiiiSD_SD_iiiii
	.type	_ZN4vllm22paged_attention_kernelIthLi192ELi8ELi128ELNS_18Fp8KVCacheDataTypeE1ELb0ELi512EEEvPfS2_PT_PKS3_PKT0_S9_ifPKiSB_iPKfiiiSD_SD_iiiii,@function
_ZN4vllm22paged_attention_kernelIthLi192ELi8ELi128ELNS_18Fp8KVCacheDataTypeE1ELb0ELi512EEEvPfS2_PT_PKS3_PKT0_S9_ifPKiSB_iPKfiiiSD_SD_iiiii: ; @_ZN4vllm22paged_attention_kernelIthLi192ELi8ELi128ELNS_18Fp8KVCacheDataTypeE1ELb0ELi512EEEvPfS2_PT_PKS3_PKT0_S9_ifPKiSB_iPKfiiiSD_SD_iiiii
; %bb.0:
	s_waitcnt vmcnt(0) expcnt(0) lgkmcnt(0)
	s_mov_b32 s10, s13
	s_ashr_i32 s11, s13, 31
	s_lshl_b32 s16, s14, 9
	s_lshl_b64 s[0:1], s[10:11], 2
	s_mov_b32 s11, exec_lo
	v_add_co_u32 v16, vcc_lo, v16, s0
	v_add_co_ci_u32_e32 v17, vcc_lo, s1, v17, vcc_lo
	flat_load_b32 v32, v[16:17]
	s_waitcnt vmcnt(0) lgkmcnt(0)
	v_cmpx_lt_i32_e64 s16, v32
	s_cbranch_execz .LBB307_826
; %bb.1:
	v_sub_nc_u32_e32 v16, 0, v12
	s_clause 0x1
	s_load_b32 s0, s[8:9], 0x10
	s_load_b32 s1, s[8:9], 0x0
	s_mov_b32 s6, s15
	v_mov_b32_e32 v37, 0
	v_max_i32_e32 v16, v12, v16
	s_delay_alu instid0(VALU_DEP_1) | instskip(SKIP_1) | instid1(VALU_DEP_2)
	v_cvt_f32_u32_e32 v17, v16
	v_sub_nc_u32_e32 v28, 0, v16
	v_rcp_iflag_f32_e32 v17, v17
	s_waitcnt lgkmcnt(0)
	s_lshr_b32 s0, s0, 16
	s_delay_alu instid0(SALU_CYCLE_1) | instskip(SKIP_3) | instid1(SALU_CYCLE_1)
	s_cmp_lg_u32 s0, 0
	s_waitcnt_depctr 0xfff
	v_mul_f32_e32 v17, 0x4f7ffffe, v17
	s_cselect_b32 s0, -1, 0
	s_cmp_lg_u32 s0, 0
	s_delay_alu instid0(VALU_DEP_1)
	v_cvt_u32_f32_e32 v17, v17
	s_addc_u32 s15, s1, 0
	s_mov_b32 s1, exec_lo
	s_abs_i32 s0, s15
	v_xor_b32_e32 v12, s15, v12
	v_mul_lo_u32 v28, v28, v17
	s_delay_alu instid0(VALU_DEP_2) | instskip(NEXT) | instid1(VALU_DEP_2)
	v_ashrrev_i32_e32 v12, 31, v12
	v_mul_hi_u32 v28, v17, v28
	s_delay_alu instid0(VALU_DEP_1) | instskip(NEXT) | instid1(VALU_DEP_1)
	v_add_nc_u32_e32 v17, v17, v28
	v_mul_hi_u32 v17, s0, v17
	s_delay_alu instid0(VALU_DEP_1) | instskip(SKIP_1) | instid1(VALU_DEP_2)
	v_mul_lo_u32 v28, v17, v16
	v_add_nc_u32_e32 v29, 1, v17
	v_sub_nc_u32_e32 v28, s0, v28
	s_abs_i32 s0, s12
	s_delay_alu instid0(VALU_DEP_1) | instskip(SKIP_1) | instid1(VALU_DEP_2)
	v_sub_nc_u32_e32 v30, v28, v16
	v_cmp_ge_u32_e32 vcc_lo, v28, v16
	v_dual_cndmask_b32 v17, v17, v29 :: v_dual_cndmask_b32 v28, v28, v30
	s_delay_alu instid0(VALU_DEP_1) | instskip(NEXT) | instid1(VALU_DEP_2)
	v_add_nc_u32_e32 v29, 1, v17
	v_cmp_ge_u32_e32 vcc_lo, v28, v16
	s_delay_alu instid0(VALU_DEP_2) | instskip(NEXT) | instid1(VALU_DEP_1)
	v_cndmask_b32_e32 v16, v17, v29, vcc_lo
	v_xor_b32_e32 v16, v16, v12
	s_delay_alu instid0(VALU_DEP_1) | instskip(NEXT) | instid1(VALU_DEP_1)
	v_sub_nc_u32_e32 v12, v16, v12
	v_sub_nc_u32_e32 v16, 0, v12
	s_delay_alu instid0(VALU_DEP_1) | instskip(NEXT) | instid1(VALU_DEP_1)
	v_max_i32_e32 v28, v12, v16
	v_cvt_f32_u32_e32 v16, v28
	v_sub_nc_u32_e32 v17, 0, v28
	s_delay_alu instid0(VALU_DEP_2) | instskip(SKIP_2) | instid1(VALU_DEP_1)
	v_rcp_iflag_f32_e32 v16, v16
	s_waitcnt_depctr 0xfff
	v_mul_f32_e32 v16, 0x4f7ffffe, v16
	v_cvt_u32_f32_e32 v16, v16
	s_delay_alu instid0(VALU_DEP_1) | instskip(NEXT) | instid1(VALU_DEP_1)
	v_mul_lo_u32 v17, v17, v16
	v_mul_hi_u32 v17, v16, v17
	s_delay_alu instid0(VALU_DEP_1) | instskip(NEXT) | instid1(VALU_DEP_1)
	v_add_nc_u32_e32 v29, v16, v17
	v_mad_u64_u32 v[16:17], null, s0, v29, 0
	v_cmpx_ne_u64_e32 0, v[19:20]
	s_cbranch_execz .LBB307_3
; %bb.2:
	s_ashr_i32 s13, s12, 31
	s_delay_alu instid0(SALU_CYCLE_1) | instskip(NEXT) | instid1(SALU_CYCLE_1)
	s_lshl_b64 s[2:3], s[12:13], 2
	v_add_co_u32 v19, vcc_lo, v19, s2
	v_add_co_ci_u32_e32 v20, vcc_lo, s3, v20, vcc_lo
	flat_load_b32 v37, v[19:20]
.LBB307_3:
	s_or_b32 exec_lo, exec_lo, s1
	v_and_b32_e32 v30, 0x3ff, v31
	v_ashrrev_i32_e32 v12, 31, v12
	s_ashr_i32 s1, s12, 31
	s_mul_i32 s4, s12, 0xc0
	s_mov_b32 s2, exec_lo
	v_and_b32_e32 v20, 3, v30
	v_lshlrev_b32_e32 v31, 2, v30
	v_cmpx_gt_u32_e32 0x60, v30
	s_cbranch_execz .LBB307_5
; %bb.4:
	v_mul_lo_u32 v33, s10, v21
	s_ashr_i32 s5, s4, 31
	s_delay_alu instid0(SALU_CYCLE_1) | instskip(NEXT) | instid1(VALU_DEP_1)
	s_lshl_b64 s[18:19], s[4:5], 1
	v_ashrrev_i32_e32 v34, 31, v33
	s_delay_alu instid0(VALU_DEP_1) | instskip(NEXT) | instid1(VALU_DEP_1)
	v_lshlrev_b64 v[33:34], 1, v[33:34]
	v_add_co_u32 v6, vcc_lo, v6, v33
	s_delay_alu instid0(VALU_DEP_2) | instskip(NEXT) | instid1(VALU_DEP_2)
	v_add_co_ci_u32_e32 v7, vcc_lo, v7, v34, vcc_lo
	v_add_co_u32 v6, vcc_lo, v6, s18
	s_delay_alu instid0(VALU_DEP_2) | instskip(NEXT) | instid1(VALU_DEP_2)
	v_add_co_ci_u32_e32 v7, vcc_lo, s19, v7, vcc_lo
	v_add_co_u32 v6, vcc_lo, v6, v31
	s_delay_alu instid0(VALU_DEP_2) | instskip(SKIP_2) | instid1(VALU_DEP_1)
	v_add_co_ci_u32_e32 v7, vcc_lo, 0, v7, vcc_lo
	flat_load_b32 v6, v[6:7]
	v_and_b32_e32 v7, 0x3fc, v30
	v_mad_u32_u24 v7, 0x60, v20, v7
	s_waitcnt vmcnt(0) lgkmcnt(0)
	ds_store_b32 v7, v6
.LBB307_5:
	s_or_b32 exec_lo, exec_lo, s2
	v_mul_lo_u32 v6, v17, v28
	v_add_nc_u32_e32 v19, 1, v17
	v_lshrrev_b32_e32 v33, 5, v30
	s_lshl_b32 s13, s14, 6
	v_mbcnt_lo_u32_b32 v36, -1, 0
	s_waitcnt vmcnt(0) lgkmcnt(0)
	s_waitcnt_vscnt null, 0x0
	s_barrier
	buffer_gl0_inv
	v_sub_nc_u32_e32 v6, s0, v6
	s_add_i32 s0, s13, 64
                                        ; implicit-def: $vgpr38
	s_delay_alu instid0(VALU_DEP_1) | instskip(SKIP_1) | instid1(VALU_DEP_2)
	v_sub_nc_u32_e32 v21, v6, v28
	v_cmp_ge_u32_e32 vcc_lo, v6, v28
	v_dual_cndmask_b32 v6, v6, v21 :: v_dual_add_nc_u32 v7, 7, v32
	s_delay_alu instid0(VALU_DEP_1) | instskip(SKIP_2) | instid1(VALU_DEP_4)
	v_ashrrev_i32_e32 v16, 31, v7
	v_cndmask_b32_e32 v17, v17, v19, vcc_lo
	v_xor_b32_e32 v21, s1, v12
                                        ; implicit-def: $sgpr1
	v_cmp_ge_u32_e32 vcc_lo, v6, v28
	s_delay_alu instid0(VALU_DEP_4) | instskip(NEXT) | instid1(VALU_DEP_4)
	v_lshrrev_b32_e32 v16, 29, v16
	v_add_nc_u32_e32 v19, 1, v17
	v_or_b32_e32 v6, s13, v33
	s_delay_alu instid0(VALU_DEP_3) | instskip(SKIP_1) | instid1(VALU_DEP_2)
	v_add_nc_u32_e32 v7, v7, v16
	v_mul_lo_u32 v16, s10, v18
	v_ashrrev_i32_e32 v12, 3, v7
	v_cndmask_b32_e32 v7, v17, v19, vcc_lo
	s_delay_alu instid0(VALU_DEP_3) | instskip(NEXT) | instid1(VALU_DEP_3)
	v_ashrrev_i32_e32 v17, 31, v16
	v_min_i32_e32 v34, s0, v12
	s_delay_alu instid0(VALU_DEP_3) | instskip(NEXT) | instid1(VALU_DEP_2)
	v_xor_b32_e32 v7, v7, v21
	v_cmp_ge_i32_e64 s0, v6, v34
	s_delay_alu instid0(VALU_DEP_2) | instskip(NEXT) | instid1(VALU_DEP_2)
	v_sub_nc_u32_e32 v7, v7, v21
	s_and_saveexec_b32 s2, s0
	s_delay_alu instid0(SALU_CYCLE_1)
	s_xor_b32 s2, exec_lo, s2
; %bb.6:
	v_mbcnt_lo_u32_b32 v36, -1, 0
	v_mov_b32_e32 v38, 32
	s_mov_b32 s1, 0xff7fffff
                                        ; implicit-def: $vgpr37
                                        ; implicit-def: $vgpr13
                                        ; implicit-def: $vgpr24
                                        ; implicit-def: $vgpr8
                                        ; implicit-def: $vgpr9
                                        ; implicit-def: $vgpr20
; %bb.7:
	s_or_saveexec_b32 s17, s2
	s_clause 0x1
	s_load_b32 s18, s[8:9], 0x14
	s_load_b32 s5, s[8:9], 0x8
	v_mul_lo_u32 v23, v7, v23
	v_lshlrev_b64 v[16:17], 2, v[16:17]
	v_mov_b32_e32 v39, s1
	v_ashrrev_i32_e32 v7, 31, v6
	s_delay_alu instid0(VALU_DEP_4)
	v_ashrrev_i32_e32 v35, 31, v23
	s_xor_b32 exec_lo, exec_lo, s17
	s_cbranch_execz .LBB307_397
; %bb.8:
	v_bfe_u32 v28, v30, 2, 3
	v_add_co_u32 v8, vcc_lo, v8, v23
	v_add_co_ci_u32_e32 v19, vcc_lo, v9, v35, vcc_lo
	s_delay_alu instid0(VALU_DEP_3) | instskip(SKIP_2) | instid1(VALU_DEP_3)
	v_dual_mov_b32 v9, 0 :: v_dual_lshlrev_b32 v18, 4, v28
	v_dual_mov_b32 v39, 0xff7fffff :: v_dual_lshlrev_b32 v48, 1, v20
	v_mul_u32_u24_e32 v49, 0x60, v20
	v_add_co_u32 v18, vcc_lo, v8, v18
	v_add_co_ci_u32_e32 v19, vcc_lo, 0, v19, vcc_lo
	v_cmp_eq_u32_e32 vcc_lo, 0, v20
	v_lshlrev_b64 v[20:21], 2, v[6:7]
	v_lshlrev_b32_e32 v29, 3, v33
	v_dual_mov_b32 v53, v6 :: v_dual_lshlrev_b32 v38, 2, v28
	s_ashr_i32 s7, s6, 31
	v_cmp_neq_f32_e64 s1, 0, v37
	s_delay_alu instid0(VALU_DEP_4) | instskip(NEXT) | instid1(VALU_DEP_1)
	v_add_co_u32 v8, s2, v16, v20
	v_add_co_ci_u32_e64 v21, s2, v17, v21, s2
	s_lshl_b64 s[8:9], s[6:7], 2
	s_delay_alu instid0(VALU_DEP_2) | instskip(NEXT) | instid1(VALU_DEP_1)
	v_add_co_u32 v20, s2, v14, v8
	v_add_co_ci_u32_e64 v21, s2, v15, v21, s2
	v_sub_nc_u32_e32 v50, 1, v32
	v_lshl_or_b32 v52, v33, 5, v38
	v_mov_b32_e32 v38, 32
	v_add3_u32 v51, s16, v29, v28
	s_getpc_b64 s[20:21]
	s_add_u32 s20, s20, llvm.amdgcn.dynlds.offset.table@rel32@lo+4
	s_addc_u32 s21, s21, llvm.amdgcn.dynlds.offset.table@rel32@hi+12
	s_add_u32 s8, s8, s20
	s_mov_b32 s7, 0
	s_addc_u32 s9, s9, s21
	s_branch .LBB307_10
.LBB307_9:                              ;   in Loop: Header=BB307_10 Depth=1
	s_or_b32 exec_lo, exec_lo, s3
	v_add_nc_u32_e32 v53, 4, v53
	v_add_co_u32 v20, s3, v20, 16
	s_delay_alu instid0(VALU_DEP_1) | instskip(NEXT) | instid1(VALU_DEP_3)
	v_add_co_ci_u32_e64 v21, s3, 0, v21, s3
	v_cmp_ge_i32_e64 s2, v53, v34
	v_add_nc_u32_e32 v51, 32, v51
	v_add_nc_u32_e32 v52, 0x80, v52
	s_delay_alu instid0(VALU_DEP_3) | instskip(NEXT) | instid1(SALU_CYCLE_1)
	s_or_b32 s7, s2, s7
	s_and_not1_b32 exec_lo, exec_lo, s7
	s_cbranch_execz .LBB307_396
.LBB307_10:                             ; =>This Inner Loop Header: Depth=1
	flat_load_b32 v8, v[20:21]
	s_waitcnt vmcnt(0) lgkmcnt(0)
	v_mad_i64_i32 v[28:29], null, v8, v22, v[18:19]
	s_delay_alu instid0(VALU_DEP_1) | instskip(NEXT) | instid1(VALU_DEP_1)
	v_add_co_u32 v28, s2, v28, v48
	v_add_co_ci_u32_e64 v29, s2, 0, v29, s2
	flat_load_u16 v8, v[28:29]
	flat_load_b32 v54, v[24:25]
	s_waitcnt vmcnt(1) lgkmcnt(1)
	v_and_b32_e32 v55, 0xff, v8
	v_and_b32_e32 v64, 0xffff, v8
	s_delay_alu instid0(VALU_DEP_2) | instskip(SKIP_1) | instid1(VALU_DEP_2)
	v_cmp_ne_u16_e64 s2, 0, v55
	v_mov_b32_e32 v55, 0
	s_and_saveexec_b32 s3, s2
	s_cbranch_execz .LBB307_18
; %bb.11:                               ;   in Loop: Header=BB307_10 Depth=1
	v_and_b32_e32 v8, 0xff, v64
	v_bfrev_b32_e32 v55, 1
	s_mov_b32 s19, exec_lo
	s_delay_alu instid0(VALU_DEP_2)
	v_cmpx_ne_u16_e32 0x80, v8
	s_cbranch_execz .LBB307_17
; %bb.12:                               ;   in Loop: Header=BB307_10 Depth=1
	v_and_b32_e32 v65, 0x7f, v64
	v_mov_b32_e32 v55, 0x7fc02000
	s_mov_b32 s20, exec_lo
	s_delay_alu instid0(VALU_DEP_2)
	v_cmpx_ne_u32_e32 0x7f, v65
	s_cbranch_execz .LBB307_16
; %bb.13:                               ;   in Loop: Header=BB307_10 Depth=1
	v_and_b32_e32 v8, 7, v64
	v_lshrrev_b32_e32 v55, 3, v65
	s_mov_b32 s21, exec_lo
	v_cmpx_gt_u32_e32 8, v65
; %bb.14:                               ;   in Loop: Header=BB307_10 Depth=1
	s_delay_alu instid0(VALU_DEP_3) | instskip(NEXT) | instid1(VALU_DEP_1)
	v_clz_i32_u32_e32 v55, v8
	v_min_u32_e32 v55, 32, v55
	s_delay_alu instid0(VALU_DEP_1) | instskip(SKIP_1) | instid1(VALU_DEP_2)
	v_subrev_nc_u32_e32 v65, 28, v55
	v_sub_nc_u32_e32 v55, 29, v55
	v_lshlrev_b64 v[65:66], v65, v[8:9]
	s_delay_alu instid0(VALU_DEP_1)
	v_and_b32_e32 v8, 7, v65
; %bb.15:                               ;   in Loop: Header=BB307_10 Depth=1
	s_or_b32 exec_lo, exec_lo, s21
	v_lshlrev_b32_e32 v65, 8, v64
	v_lshl_add_u32 v55, v55, 10, 0x2000
	s_delay_alu instid0(VALU_DEP_1) | instskip(NEXT) | instid1(VALU_DEP_1)
	v_and_or_b32 v55, 0x8000, v65, v55
	v_lshl_or_b32 v8, v8, 7, v55
	s_delay_alu instid0(VALU_DEP_1)
	v_cvt_f32_f16_e32 v55, v8
.LBB307_16:                             ;   in Loop: Header=BB307_10 Depth=1
	s_or_b32 exec_lo, exec_lo, s20
.LBB307_17:                             ;   in Loop: Header=BB307_10 Depth=1
	s_delay_alu instid0(SALU_CYCLE_1)
	s_or_b32 exec_lo, exec_lo, s19
.LBB307_18:                             ;   in Loop: Header=BB307_10 Depth=1
	s_delay_alu instid0(SALU_CYCLE_1) | instskip(SKIP_3) | instid1(VALU_DEP_2)
	s_or_b32 exec_lo, exec_lo, s3
	v_lshrrev_b16 v8, 8, v64
	v_dual_mov_b32 v65, 0 :: v_dual_mov_b32 v64, 0
	s_mov_b32 s3, exec_lo
	v_cmpx_ne_u16_e32 0, v8
	s_cbranch_execz .LBB307_26
; %bb.19:                               ;   in Loop: Header=BB307_10 Depth=1
	v_bfrev_b32_e32 v64, 1
	s_mov_b32 s19, exec_lo
	v_cmpx_ne_u16_e32 0x80, v8
	s_cbranch_execz .LBB307_25
; %bb.20:                               ;   in Loop: Header=BB307_10 Depth=1
	v_and_b32_e32 v66, 0xffff, v8
	v_mov_b32_e32 v64, 0x7fc02000
	s_mov_b32 s20, exec_lo
	s_delay_alu instid0(VALU_DEP_2) | instskip(NEXT) | instid1(VALU_DEP_1)
	v_and_b32_e32 v67, 0x7f, v66
	v_cmpx_ne_u32_e32 0x7f, v67
	s_cbranch_execz .LBB307_24
; %bb.21:                               ;   in Loop: Header=BB307_10 Depth=1
	v_and_b32_e32 v8, 7, v66
	v_lshrrev_b32_e32 v64, 3, v67
	s_mov_b32 s21, exec_lo
	v_cmpx_gt_u32_e32 8, v67
; %bb.22:                               ;   in Loop: Header=BB307_10 Depth=1
	s_delay_alu instid0(VALU_DEP_3) | instskip(NEXT) | instid1(VALU_DEP_1)
	v_clz_i32_u32_e32 v64, v8
	v_min_u32_e32 v64, 32, v64
	s_delay_alu instid0(VALU_DEP_1) | instskip(SKIP_1) | instid1(VALU_DEP_2)
	v_subrev_nc_u32_e32 v67, 28, v64
	v_sub_nc_u32_e32 v64, 29, v64
	v_lshlrev_b64 v[67:68], v67, v[8:9]
	s_delay_alu instid0(VALU_DEP_1)
	v_and_b32_e32 v8, 7, v67
; %bb.23:                               ;   in Loop: Header=BB307_10 Depth=1
	s_or_b32 exec_lo, exec_lo, s21
	v_lshlrev_b32_e32 v66, 8, v66
	v_lshl_add_u32 v64, v64, 10, 0x2000
	s_delay_alu instid0(VALU_DEP_1) | instskip(NEXT) | instid1(VALU_DEP_1)
	v_and_or_b32 v64, 0x8000, v66, v64
	v_lshl_or_b32 v8, v8, 7, v64
	s_delay_alu instid0(VALU_DEP_1)
	v_cvt_f32_f16_e32 v64, v8
.LBB307_24:                             ;   in Loop: Header=BB307_10 Depth=1
	s_or_b32 exec_lo, exec_lo, s20
.LBB307_25:                             ;   in Loop: Header=BB307_10 Depth=1
	s_delay_alu instid0(SALU_CYCLE_1)
	s_or_b32 exec_lo, exec_lo, s19
.LBB307_26:                             ;   in Loop: Header=BB307_10 Depth=1
	s_delay_alu instid0(SALU_CYCLE_1)
	s_or_b32 exec_lo, exec_lo, s3
	flat_load_u16 v8, v[28:29] offset:8
	s_mov_b32 s3, exec_lo
	s_waitcnt vmcnt(0) lgkmcnt(0)
	v_and_b32_e32 v67, 0xff, v8
	v_and_b32_e32 v66, 0xffff, v8
	s_delay_alu instid0(VALU_DEP_2)
	v_cmpx_ne_u16_e32 0, v67
	s_cbranch_execz .LBB307_34
; %bb.27:                               ;   in Loop: Header=BB307_10 Depth=1
	s_delay_alu instid0(VALU_DEP_2) | instskip(SKIP_2) | instid1(VALU_DEP_2)
	v_and_b32_e32 v8, 0xff, v66
	v_bfrev_b32_e32 v65, 1
	s_mov_b32 s19, exec_lo
	v_cmpx_ne_u16_e32 0x80, v8
	s_cbranch_execz .LBB307_33
; %bb.28:                               ;   in Loop: Header=BB307_10 Depth=1
	v_and_b32_e32 v67, 0x7f, v66
	v_mov_b32_e32 v65, 0x7fc02000
	s_mov_b32 s20, exec_lo
	s_delay_alu instid0(VALU_DEP_2)
	v_cmpx_ne_u32_e32 0x7f, v67
	s_cbranch_execz .LBB307_32
; %bb.29:                               ;   in Loop: Header=BB307_10 Depth=1
	v_and_b32_e32 v8, 7, v66
	v_lshrrev_b32_e32 v65, 3, v67
	s_mov_b32 s21, exec_lo
	v_cmpx_gt_u32_e32 8, v67
; %bb.30:                               ;   in Loop: Header=BB307_10 Depth=1
	s_delay_alu instid0(VALU_DEP_3) | instskip(NEXT) | instid1(VALU_DEP_1)
	v_clz_i32_u32_e32 v65, v8
	v_min_u32_e32 v65, 32, v65
	s_delay_alu instid0(VALU_DEP_1) | instskip(SKIP_1) | instid1(VALU_DEP_2)
	v_subrev_nc_u32_e32 v67, 28, v65
	v_sub_nc_u32_e32 v65, 29, v65
	v_lshlrev_b64 v[67:68], v67, v[8:9]
	s_delay_alu instid0(VALU_DEP_1)
	v_and_b32_e32 v8, 7, v67
; %bb.31:                               ;   in Loop: Header=BB307_10 Depth=1
	s_or_b32 exec_lo, exec_lo, s21
	v_lshlrev_b32_e32 v67, 8, v66
	v_lshl_add_u32 v65, v65, 10, 0x2000
	s_delay_alu instid0(VALU_DEP_1) | instskip(NEXT) | instid1(VALU_DEP_1)
	v_and_or_b32 v65, 0x8000, v67, v65
	v_lshl_or_b32 v8, v8, 7, v65
	s_delay_alu instid0(VALU_DEP_1)
	v_cvt_f32_f16_e32 v65, v8
.LBB307_32:                             ;   in Loop: Header=BB307_10 Depth=1
	s_or_b32 exec_lo, exec_lo, s20
.LBB307_33:                             ;   in Loop: Header=BB307_10 Depth=1
	s_delay_alu instid0(SALU_CYCLE_1)
	s_or_b32 exec_lo, exec_lo, s19
.LBB307_34:                             ;   in Loop: Header=BB307_10 Depth=1
	s_delay_alu instid0(SALU_CYCLE_1) | instskip(NEXT) | instid1(VALU_DEP_2)
	s_or_b32 exec_lo, exec_lo, s3
	v_lshrrev_b16 v8, 8, v66
	v_dual_mov_b32 v67, 0 :: v_dual_mov_b32 v66, 0
	s_mov_b32 s3, exec_lo
	s_delay_alu instid0(VALU_DEP_2)
	v_cmpx_ne_u16_e32 0, v8
	s_cbranch_execz .LBB307_42
; %bb.35:                               ;   in Loop: Header=BB307_10 Depth=1
	v_bfrev_b32_e32 v66, 1
	s_mov_b32 s19, exec_lo
	v_cmpx_ne_u16_e32 0x80, v8
	s_cbranch_execz .LBB307_41
; %bb.36:                               ;   in Loop: Header=BB307_10 Depth=1
	v_and_b32_e32 v68, 0xffff, v8
	v_mov_b32_e32 v66, 0x7fc02000
	s_mov_b32 s20, exec_lo
	s_delay_alu instid0(VALU_DEP_2) | instskip(NEXT) | instid1(VALU_DEP_1)
	v_and_b32_e32 v69, 0x7f, v68
	v_cmpx_ne_u32_e32 0x7f, v69
	s_cbranch_execz .LBB307_40
; %bb.37:                               ;   in Loop: Header=BB307_10 Depth=1
	v_and_b32_e32 v8, 7, v68
	v_lshrrev_b32_e32 v66, 3, v69
	s_mov_b32 s21, exec_lo
	v_cmpx_gt_u32_e32 8, v69
; %bb.38:                               ;   in Loop: Header=BB307_10 Depth=1
	s_delay_alu instid0(VALU_DEP_3) | instskip(NEXT) | instid1(VALU_DEP_1)
	v_clz_i32_u32_e32 v66, v8
	v_min_u32_e32 v66, 32, v66
	s_delay_alu instid0(VALU_DEP_1) | instskip(SKIP_1) | instid1(VALU_DEP_2)
	v_subrev_nc_u32_e32 v69, 28, v66
	v_sub_nc_u32_e32 v66, 29, v66
	v_lshlrev_b64 v[69:70], v69, v[8:9]
	s_delay_alu instid0(VALU_DEP_1)
	v_and_b32_e32 v8, 7, v69
; %bb.39:                               ;   in Loop: Header=BB307_10 Depth=1
	s_or_b32 exec_lo, exec_lo, s21
	v_lshlrev_b32_e32 v68, 8, v68
	v_lshl_add_u32 v66, v66, 10, 0x2000
	s_delay_alu instid0(VALU_DEP_1) | instskip(NEXT) | instid1(VALU_DEP_1)
	v_and_or_b32 v66, 0x8000, v68, v66
	v_lshl_or_b32 v8, v8, 7, v66
	s_delay_alu instid0(VALU_DEP_1)
	v_cvt_f32_f16_e32 v66, v8
.LBB307_40:                             ;   in Loop: Header=BB307_10 Depth=1
	s_or_b32 exec_lo, exec_lo, s20
.LBB307_41:                             ;   in Loop: Header=BB307_10 Depth=1
	s_delay_alu instid0(SALU_CYCLE_1)
	s_or_b32 exec_lo, exec_lo, s19
.LBB307_42:                             ;   in Loop: Header=BB307_10 Depth=1
	s_delay_alu instid0(SALU_CYCLE_1)
	s_or_b32 exec_lo, exec_lo, s3
	flat_load_u16 v8, v[28:29] offset:128
	s_mov_b32 s3, exec_lo
	s_waitcnt vmcnt(0) lgkmcnt(0)
	v_and_b32_e32 v69, 0xff, v8
	v_and_b32_e32 v68, 0xffff, v8
	s_delay_alu instid0(VALU_DEP_2)
	v_cmpx_ne_u16_e32 0, v69
	s_cbranch_execz .LBB307_50
; %bb.43:                               ;   in Loop: Header=BB307_10 Depth=1
	s_delay_alu instid0(VALU_DEP_2) | instskip(SKIP_2) | instid1(VALU_DEP_2)
	v_and_b32_e32 v8, 0xff, v68
	v_bfrev_b32_e32 v67, 1
	s_mov_b32 s19, exec_lo
	v_cmpx_ne_u16_e32 0x80, v8
	s_cbranch_execz .LBB307_49
; %bb.44:                               ;   in Loop: Header=BB307_10 Depth=1
	v_and_b32_e32 v69, 0x7f, v68
	v_mov_b32_e32 v67, 0x7fc02000
	s_mov_b32 s20, exec_lo
	s_delay_alu instid0(VALU_DEP_2)
	v_cmpx_ne_u32_e32 0x7f, v69
	s_cbranch_execz .LBB307_48
; %bb.45:                               ;   in Loop: Header=BB307_10 Depth=1
	v_and_b32_e32 v8, 7, v68
	v_lshrrev_b32_e32 v67, 3, v69
	s_mov_b32 s21, exec_lo
	v_cmpx_gt_u32_e32 8, v69
; %bb.46:                               ;   in Loop: Header=BB307_10 Depth=1
	s_delay_alu instid0(VALU_DEP_3) | instskip(NEXT) | instid1(VALU_DEP_1)
	v_clz_i32_u32_e32 v67, v8
	v_min_u32_e32 v67, 32, v67
	s_delay_alu instid0(VALU_DEP_1) | instskip(SKIP_1) | instid1(VALU_DEP_2)
	v_subrev_nc_u32_e32 v69, 28, v67
	v_sub_nc_u32_e32 v67, 29, v67
	v_lshlrev_b64 v[69:70], v69, v[8:9]
	s_delay_alu instid0(VALU_DEP_1)
	v_and_b32_e32 v8, 7, v69
; %bb.47:                               ;   in Loop: Header=BB307_10 Depth=1
	s_or_b32 exec_lo, exec_lo, s21
	v_lshlrev_b32_e32 v69, 8, v68
	v_lshl_add_u32 v67, v67, 10, 0x2000
	s_delay_alu instid0(VALU_DEP_1) | instskip(NEXT) | instid1(VALU_DEP_1)
	v_and_or_b32 v67, 0x8000, v69, v67
	v_lshl_or_b32 v8, v8, 7, v67
	s_delay_alu instid0(VALU_DEP_1)
	v_cvt_f32_f16_e32 v67, v8
.LBB307_48:                             ;   in Loop: Header=BB307_10 Depth=1
	s_or_b32 exec_lo, exec_lo, s20
.LBB307_49:                             ;   in Loop: Header=BB307_10 Depth=1
	s_delay_alu instid0(SALU_CYCLE_1)
	s_or_b32 exec_lo, exec_lo, s19
.LBB307_50:                             ;   in Loop: Header=BB307_10 Depth=1
	s_delay_alu instid0(SALU_CYCLE_1) | instskip(NEXT) | instid1(VALU_DEP_2)
	s_or_b32 exec_lo, exec_lo, s3
	v_lshrrev_b16 v8, 8, v68
	v_dual_mov_b32 v69, 0 :: v_dual_mov_b32 v68, 0
	s_mov_b32 s3, exec_lo
	s_delay_alu instid0(VALU_DEP_2)
	v_cmpx_ne_u16_e32 0, v8
	s_cbranch_execz .LBB307_58
; %bb.51:                               ;   in Loop: Header=BB307_10 Depth=1
	v_bfrev_b32_e32 v68, 1
	s_mov_b32 s19, exec_lo
	v_cmpx_ne_u16_e32 0x80, v8
	s_cbranch_execz .LBB307_57
; %bb.52:                               ;   in Loop: Header=BB307_10 Depth=1
	v_and_b32_e32 v70, 0xffff, v8
	v_mov_b32_e32 v68, 0x7fc02000
	s_mov_b32 s20, exec_lo
	s_delay_alu instid0(VALU_DEP_2) | instskip(NEXT) | instid1(VALU_DEP_1)
	v_and_b32_e32 v71, 0x7f, v70
	v_cmpx_ne_u32_e32 0x7f, v71
	s_cbranch_execz .LBB307_56
; %bb.53:                               ;   in Loop: Header=BB307_10 Depth=1
	v_and_b32_e32 v8, 7, v70
	v_lshrrev_b32_e32 v68, 3, v71
	s_mov_b32 s21, exec_lo
	v_cmpx_gt_u32_e32 8, v71
; %bb.54:                               ;   in Loop: Header=BB307_10 Depth=1
	s_delay_alu instid0(VALU_DEP_3) | instskip(NEXT) | instid1(VALU_DEP_1)
	v_clz_i32_u32_e32 v68, v8
	v_min_u32_e32 v68, 32, v68
	s_delay_alu instid0(VALU_DEP_1) | instskip(SKIP_1) | instid1(VALU_DEP_2)
	v_subrev_nc_u32_e32 v71, 28, v68
	v_sub_nc_u32_e32 v68, 29, v68
	v_lshlrev_b64 v[80:81], v71, v[8:9]
	s_delay_alu instid0(VALU_DEP_1)
	v_and_b32_e32 v8, 7, v80
; %bb.55:                               ;   in Loop: Header=BB307_10 Depth=1
	s_or_b32 exec_lo, exec_lo, s21
	v_lshlrev_b32_e32 v70, 8, v70
	v_lshl_add_u32 v68, v68, 10, 0x2000
	s_delay_alu instid0(VALU_DEP_1) | instskip(NEXT) | instid1(VALU_DEP_1)
	v_and_or_b32 v68, 0x8000, v70, v68
	v_lshl_or_b32 v8, v8, 7, v68
	s_delay_alu instid0(VALU_DEP_1)
	v_cvt_f32_f16_e32 v68, v8
.LBB307_56:                             ;   in Loop: Header=BB307_10 Depth=1
	s_or_b32 exec_lo, exec_lo, s20
.LBB307_57:                             ;   in Loop: Header=BB307_10 Depth=1
	s_delay_alu instid0(SALU_CYCLE_1)
	s_or_b32 exec_lo, exec_lo, s19
.LBB307_58:                             ;   in Loop: Header=BB307_10 Depth=1
	s_delay_alu instid0(SALU_CYCLE_1)
	s_or_b32 exec_lo, exec_lo, s3
	flat_load_u16 v8, v[28:29] offset:136
	s_mov_b32 s3, exec_lo
	s_waitcnt vmcnt(0) lgkmcnt(0)
	v_and_b32_e32 v71, 0xff, v8
	v_and_b32_e32 v70, 0xffff, v8
	s_delay_alu instid0(VALU_DEP_2)
	v_cmpx_ne_u16_e32 0, v71
	s_cbranch_execz .LBB307_66
; %bb.59:                               ;   in Loop: Header=BB307_10 Depth=1
	s_delay_alu instid0(VALU_DEP_2) | instskip(SKIP_2) | instid1(VALU_DEP_2)
	v_and_b32_e32 v8, 0xff, v70
	v_bfrev_b32_e32 v69, 1
	s_mov_b32 s19, exec_lo
	v_cmpx_ne_u16_e32 0x80, v8
	s_cbranch_execz .LBB307_65
; %bb.60:                               ;   in Loop: Header=BB307_10 Depth=1
	v_and_b32_e32 v71, 0x7f, v70
	v_mov_b32_e32 v69, 0x7fc02000
	s_mov_b32 s20, exec_lo
	s_delay_alu instid0(VALU_DEP_2)
	v_cmpx_ne_u32_e32 0x7f, v71
	s_cbranch_execz .LBB307_64
; %bb.61:                               ;   in Loop: Header=BB307_10 Depth=1
	v_and_b32_e32 v8, 7, v70
	v_lshrrev_b32_e32 v69, 3, v71
	s_mov_b32 s21, exec_lo
	v_cmpx_gt_u32_e32 8, v71
; %bb.62:                               ;   in Loop: Header=BB307_10 Depth=1
	s_delay_alu instid0(VALU_DEP_3) | instskip(NEXT) | instid1(VALU_DEP_1)
	v_clz_i32_u32_e32 v69, v8
	v_min_u32_e32 v69, 32, v69
	s_delay_alu instid0(VALU_DEP_1) | instskip(SKIP_1) | instid1(VALU_DEP_2)
	v_subrev_nc_u32_e32 v71, 28, v69
	v_sub_nc_u32_e32 v69, 29, v69
	v_lshlrev_b64 v[80:81], v71, v[8:9]
	s_delay_alu instid0(VALU_DEP_1)
	v_and_b32_e32 v8, 7, v80
; %bb.63:                               ;   in Loop: Header=BB307_10 Depth=1
	s_or_b32 exec_lo, exec_lo, s21
	v_lshlrev_b32_e32 v71, 8, v70
	v_lshl_add_u32 v69, v69, 10, 0x2000
	s_delay_alu instid0(VALU_DEP_1) | instskip(NEXT) | instid1(VALU_DEP_1)
	v_and_or_b32 v69, 0x8000, v71, v69
	v_lshl_or_b32 v8, v8, 7, v69
	s_delay_alu instid0(VALU_DEP_1)
	v_cvt_f32_f16_e32 v69, v8
.LBB307_64:                             ;   in Loop: Header=BB307_10 Depth=1
	s_or_b32 exec_lo, exec_lo, s20
.LBB307_65:                             ;   in Loop: Header=BB307_10 Depth=1
	s_delay_alu instid0(SALU_CYCLE_1)
	s_or_b32 exec_lo, exec_lo, s19
.LBB307_66:                             ;   in Loop: Header=BB307_10 Depth=1
	s_delay_alu instid0(SALU_CYCLE_1) | instskip(NEXT) | instid1(VALU_DEP_2)
	s_or_b32 exec_lo, exec_lo, s3
	v_lshrrev_b16 v8, 8, v70
	v_dual_mov_b32 v71, 0 :: v_dual_mov_b32 v70, 0
	s_mov_b32 s3, exec_lo
	s_delay_alu instid0(VALU_DEP_2)
	v_cmpx_ne_u16_e32 0, v8
	s_cbranch_execz .LBB307_74
; %bb.67:                               ;   in Loop: Header=BB307_10 Depth=1
	v_bfrev_b32_e32 v70, 1
	s_mov_b32 s19, exec_lo
	v_cmpx_ne_u16_e32 0x80, v8
	s_cbranch_execz .LBB307_73
; %bb.68:                               ;   in Loop: Header=BB307_10 Depth=1
	v_and_b32_e32 v80, 0xffff, v8
	v_mov_b32_e32 v70, 0x7fc02000
	s_mov_b32 s20, exec_lo
	s_delay_alu instid0(VALU_DEP_2) | instskip(NEXT) | instid1(VALU_DEP_1)
	v_and_b32_e32 v81, 0x7f, v80
	v_cmpx_ne_u32_e32 0x7f, v81
	s_cbranch_execz .LBB307_72
; %bb.69:                               ;   in Loop: Header=BB307_10 Depth=1
	v_and_b32_e32 v8, 7, v80
	v_lshrrev_b32_e32 v70, 3, v81
	s_mov_b32 s21, exec_lo
	v_cmpx_gt_u32_e32 8, v81
; %bb.70:                               ;   in Loop: Header=BB307_10 Depth=1
	s_delay_alu instid0(VALU_DEP_3) | instskip(NEXT) | instid1(VALU_DEP_1)
	v_clz_i32_u32_e32 v70, v8
	v_min_u32_e32 v70, 32, v70
	s_delay_alu instid0(VALU_DEP_1) | instskip(SKIP_1) | instid1(VALU_DEP_2)
	v_subrev_nc_u32_e32 v81, 28, v70
	v_sub_nc_u32_e32 v70, 29, v70
	v_lshlrev_b64 v[81:82], v81, v[8:9]
	s_delay_alu instid0(VALU_DEP_1)
	v_and_b32_e32 v8, 7, v81
; %bb.71:                               ;   in Loop: Header=BB307_10 Depth=1
	s_or_b32 exec_lo, exec_lo, s21
	v_lshlrev_b32_e32 v80, 8, v80
	v_lshl_add_u32 v70, v70, 10, 0x2000
	s_delay_alu instid0(VALU_DEP_1) | instskip(NEXT) | instid1(VALU_DEP_1)
	v_and_or_b32 v70, 0x8000, v80, v70
	v_lshl_or_b32 v8, v8, 7, v70
	s_delay_alu instid0(VALU_DEP_1)
	v_cvt_f32_f16_e32 v70, v8
.LBB307_72:                             ;   in Loop: Header=BB307_10 Depth=1
	s_or_b32 exec_lo, exec_lo, s20
.LBB307_73:                             ;   in Loop: Header=BB307_10 Depth=1
	s_delay_alu instid0(SALU_CYCLE_1)
	s_or_b32 exec_lo, exec_lo, s19
.LBB307_74:                             ;   in Loop: Header=BB307_10 Depth=1
	s_delay_alu instid0(SALU_CYCLE_1)
	s_or_b32 exec_lo, exec_lo, s3
	flat_load_u16 v8, v[28:29] offset:256
	s_mov_b32 s3, exec_lo
	s_waitcnt vmcnt(0) lgkmcnt(0)
	v_and_b32_e32 v81, 0xff, v8
	v_and_b32_e32 v80, 0xffff, v8
	s_delay_alu instid0(VALU_DEP_2)
	v_cmpx_ne_u16_e32 0, v81
	s_cbranch_execz .LBB307_82
; %bb.75:                               ;   in Loop: Header=BB307_10 Depth=1
	s_delay_alu instid0(VALU_DEP_2) | instskip(SKIP_2) | instid1(VALU_DEP_2)
	v_and_b32_e32 v8, 0xff, v80
	v_bfrev_b32_e32 v71, 1
	s_mov_b32 s19, exec_lo
	v_cmpx_ne_u16_e32 0x80, v8
	s_cbranch_execz .LBB307_81
; %bb.76:                               ;   in Loop: Header=BB307_10 Depth=1
	v_and_b32_e32 v81, 0x7f, v80
	v_mov_b32_e32 v71, 0x7fc02000
	s_mov_b32 s20, exec_lo
	s_delay_alu instid0(VALU_DEP_2)
	v_cmpx_ne_u32_e32 0x7f, v81
	s_cbranch_execz .LBB307_80
; %bb.77:                               ;   in Loop: Header=BB307_10 Depth=1
	v_and_b32_e32 v8, 7, v80
	v_lshrrev_b32_e32 v71, 3, v81
	s_mov_b32 s21, exec_lo
	v_cmpx_gt_u32_e32 8, v81
; %bb.78:                               ;   in Loop: Header=BB307_10 Depth=1
	s_delay_alu instid0(VALU_DEP_3) | instskip(NEXT) | instid1(VALU_DEP_1)
	v_clz_i32_u32_e32 v71, v8
	v_min_u32_e32 v71, 32, v71
	s_delay_alu instid0(VALU_DEP_1) | instskip(SKIP_1) | instid1(VALU_DEP_2)
	v_subrev_nc_u32_e32 v81, 28, v71
	v_sub_nc_u32_e32 v71, 29, v71
	v_lshlrev_b64 v[81:82], v81, v[8:9]
	s_delay_alu instid0(VALU_DEP_1)
	v_and_b32_e32 v8, 7, v81
; %bb.79:                               ;   in Loop: Header=BB307_10 Depth=1
	s_or_b32 exec_lo, exec_lo, s21
	v_lshlrev_b32_e32 v81, 8, v80
	v_lshl_add_u32 v71, v71, 10, 0x2000
	s_delay_alu instid0(VALU_DEP_1) | instskip(NEXT) | instid1(VALU_DEP_1)
	v_and_or_b32 v71, 0x8000, v81, v71
	v_lshl_or_b32 v8, v8, 7, v71
	s_delay_alu instid0(VALU_DEP_1)
	v_cvt_f32_f16_e32 v71, v8
.LBB307_80:                             ;   in Loop: Header=BB307_10 Depth=1
	s_or_b32 exec_lo, exec_lo, s20
.LBB307_81:                             ;   in Loop: Header=BB307_10 Depth=1
	s_delay_alu instid0(SALU_CYCLE_1)
	s_or_b32 exec_lo, exec_lo, s19
.LBB307_82:                             ;   in Loop: Header=BB307_10 Depth=1
	s_delay_alu instid0(SALU_CYCLE_1) | instskip(NEXT) | instid1(VALU_DEP_2)
	s_or_b32 exec_lo, exec_lo, s3
	v_lshrrev_b16 v8, 8, v80
	v_dual_mov_b32 v81, 0 :: v_dual_mov_b32 v80, 0
	s_mov_b32 s3, exec_lo
	s_delay_alu instid0(VALU_DEP_2)
	v_cmpx_ne_u16_e32 0, v8
	s_cbranch_execz .LBB307_90
; %bb.83:                               ;   in Loop: Header=BB307_10 Depth=1
	v_bfrev_b32_e32 v80, 1
	s_mov_b32 s19, exec_lo
	v_cmpx_ne_u16_e32 0x80, v8
	s_cbranch_execz .LBB307_89
; %bb.84:                               ;   in Loop: Header=BB307_10 Depth=1
	v_and_b32_e32 v82, 0xffff, v8
	v_mov_b32_e32 v80, 0x7fc02000
	s_mov_b32 s20, exec_lo
	s_delay_alu instid0(VALU_DEP_2) | instskip(NEXT) | instid1(VALU_DEP_1)
	v_and_b32_e32 v83, 0x7f, v82
	v_cmpx_ne_u32_e32 0x7f, v83
	s_cbranch_execz .LBB307_88
; %bb.85:                               ;   in Loop: Header=BB307_10 Depth=1
	v_and_b32_e32 v8, 7, v82
	v_lshrrev_b32_e32 v80, 3, v83
	s_mov_b32 s21, exec_lo
	v_cmpx_gt_u32_e32 8, v83
; %bb.86:                               ;   in Loop: Header=BB307_10 Depth=1
	s_delay_alu instid0(VALU_DEP_3) | instskip(NEXT) | instid1(VALU_DEP_1)
	v_clz_i32_u32_e32 v80, v8
	v_min_u32_e32 v80, 32, v80
	s_delay_alu instid0(VALU_DEP_1) | instskip(SKIP_1) | instid1(VALU_DEP_2)
	v_subrev_nc_u32_e32 v83, 28, v80
	v_sub_nc_u32_e32 v80, 29, v80
	v_lshlrev_b64 v[83:84], v83, v[8:9]
	s_delay_alu instid0(VALU_DEP_1)
	v_and_b32_e32 v8, 7, v83
; %bb.87:                               ;   in Loop: Header=BB307_10 Depth=1
	s_or_b32 exec_lo, exec_lo, s21
	v_lshlrev_b32_e32 v82, 8, v82
	v_lshl_add_u32 v80, v80, 10, 0x2000
	s_delay_alu instid0(VALU_DEP_1) | instskip(NEXT) | instid1(VALU_DEP_1)
	v_and_or_b32 v80, 0x8000, v82, v80
	v_lshl_or_b32 v8, v8, 7, v80
	s_delay_alu instid0(VALU_DEP_1)
	v_cvt_f32_f16_e32 v80, v8
.LBB307_88:                             ;   in Loop: Header=BB307_10 Depth=1
	s_or_b32 exec_lo, exec_lo, s20
.LBB307_89:                             ;   in Loop: Header=BB307_10 Depth=1
	s_delay_alu instid0(SALU_CYCLE_1)
	s_or_b32 exec_lo, exec_lo, s19
.LBB307_90:                             ;   in Loop: Header=BB307_10 Depth=1
	s_delay_alu instid0(SALU_CYCLE_1)
	s_or_b32 exec_lo, exec_lo, s3
	flat_load_u16 v8, v[28:29] offset:264
	s_mov_b32 s3, exec_lo
	s_waitcnt vmcnt(0) lgkmcnt(0)
	v_and_b32_e32 v83, 0xff, v8
	v_and_b32_e32 v82, 0xffff, v8
	s_delay_alu instid0(VALU_DEP_2)
	v_cmpx_ne_u16_e32 0, v83
	s_cbranch_execz .LBB307_98
; %bb.91:                               ;   in Loop: Header=BB307_10 Depth=1
	s_delay_alu instid0(VALU_DEP_2) | instskip(SKIP_2) | instid1(VALU_DEP_2)
	v_and_b32_e32 v8, 0xff, v82
	v_bfrev_b32_e32 v81, 1
	s_mov_b32 s19, exec_lo
	v_cmpx_ne_u16_e32 0x80, v8
	s_cbranch_execz .LBB307_97
; %bb.92:                               ;   in Loop: Header=BB307_10 Depth=1
	v_and_b32_e32 v83, 0x7f, v82
	v_mov_b32_e32 v81, 0x7fc02000
	s_mov_b32 s20, exec_lo
	s_delay_alu instid0(VALU_DEP_2)
	v_cmpx_ne_u32_e32 0x7f, v83
	s_cbranch_execz .LBB307_96
; %bb.93:                               ;   in Loop: Header=BB307_10 Depth=1
	v_and_b32_e32 v8, 7, v82
	v_lshrrev_b32_e32 v81, 3, v83
	s_mov_b32 s21, exec_lo
	v_cmpx_gt_u32_e32 8, v83
; %bb.94:                               ;   in Loop: Header=BB307_10 Depth=1
	s_delay_alu instid0(VALU_DEP_3) | instskip(NEXT) | instid1(VALU_DEP_1)
	v_clz_i32_u32_e32 v81, v8
	v_min_u32_e32 v81, 32, v81
	s_delay_alu instid0(VALU_DEP_1) | instskip(SKIP_1) | instid1(VALU_DEP_2)
	v_subrev_nc_u32_e32 v83, 28, v81
	v_sub_nc_u32_e32 v81, 29, v81
	v_lshlrev_b64 v[83:84], v83, v[8:9]
	s_delay_alu instid0(VALU_DEP_1)
	v_and_b32_e32 v8, 7, v83
; %bb.95:                               ;   in Loop: Header=BB307_10 Depth=1
	s_or_b32 exec_lo, exec_lo, s21
	v_lshlrev_b32_e32 v83, 8, v82
	v_lshl_add_u32 v81, v81, 10, 0x2000
	s_delay_alu instid0(VALU_DEP_1) | instskip(NEXT) | instid1(VALU_DEP_1)
	v_and_or_b32 v81, 0x8000, v83, v81
	v_lshl_or_b32 v8, v8, 7, v81
	s_delay_alu instid0(VALU_DEP_1)
	v_cvt_f32_f16_e32 v81, v8
.LBB307_96:                             ;   in Loop: Header=BB307_10 Depth=1
	s_or_b32 exec_lo, exec_lo, s20
.LBB307_97:                             ;   in Loop: Header=BB307_10 Depth=1
	s_delay_alu instid0(SALU_CYCLE_1)
	s_or_b32 exec_lo, exec_lo, s19
.LBB307_98:                             ;   in Loop: Header=BB307_10 Depth=1
	s_delay_alu instid0(SALU_CYCLE_1) | instskip(NEXT) | instid1(VALU_DEP_2)
	s_or_b32 exec_lo, exec_lo, s3
	v_lshrrev_b16 v8, 8, v82
	v_dual_mov_b32 v83, 0 :: v_dual_mov_b32 v82, 0
	s_mov_b32 s3, exec_lo
	s_delay_alu instid0(VALU_DEP_2)
	v_cmpx_ne_u16_e32 0, v8
	s_cbranch_execz .LBB307_106
; %bb.99:                               ;   in Loop: Header=BB307_10 Depth=1
	v_bfrev_b32_e32 v82, 1
	s_mov_b32 s19, exec_lo
	v_cmpx_ne_u16_e32 0x80, v8
	s_cbranch_execz .LBB307_105
; %bb.100:                              ;   in Loop: Header=BB307_10 Depth=1
	v_and_b32_e32 v84, 0xffff, v8
	v_mov_b32_e32 v82, 0x7fc02000
	s_mov_b32 s20, exec_lo
	s_delay_alu instid0(VALU_DEP_2) | instskip(NEXT) | instid1(VALU_DEP_1)
	v_and_b32_e32 v85, 0x7f, v84
	v_cmpx_ne_u32_e32 0x7f, v85
	s_cbranch_execz .LBB307_104
; %bb.101:                              ;   in Loop: Header=BB307_10 Depth=1
	v_and_b32_e32 v8, 7, v84
	v_lshrrev_b32_e32 v82, 3, v85
	s_mov_b32 s21, exec_lo
	v_cmpx_gt_u32_e32 8, v85
; %bb.102:                              ;   in Loop: Header=BB307_10 Depth=1
	s_delay_alu instid0(VALU_DEP_3) | instskip(NEXT) | instid1(VALU_DEP_1)
	v_clz_i32_u32_e32 v82, v8
	v_min_u32_e32 v82, 32, v82
	s_delay_alu instid0(VALU_DEP_1) | instskip(SKIP_1) | instid1(VALU_DEP_2)
	v_subrev_nc_u32_e32 v85, 28, v82
	v_sub_nc_u32_e32 v82, 29, v82
	v_lshlrev_b64 v[85:86], v85, v[8:9]
	s_delay_alu instid0(VALU_DEP_1)
	v_and_b32_e32 v8, 7, v85
; %bb.103:                              ;   in Loop: Header=BB307_10 Depth=1
	s_or_b32 exec_lo, exec_lo, s21
	v_lshlrev_b32_e32 v84, 8, v84
	v_lshl_add_u32 v82, v82, 10, 0x2000
	s_delay_alu instid0(VALU_DEP_1) | instskip(NEXT) | instid1(VALU_DEP_1)
	v_and_or_b32 v82, 0x8000, v84, v82
	v_lshl_or_b32 v8, v8, 7, v82
	s_delay_alu instid0(VALU_DEP_1)
	v_cvt_f32_f16_e32 v82, v8
.LBB307_104:                            ;   in Loop: Header=BB307_10 Depth=1
	s_or_b32 exec_lo, exec_lo, s20
.LBB307_105:                            ;   in Loop: Header=BB307_10 Depth=1
	s_delay_alu instid0(SALU_CYCLE_1)
	s_or_b32 exec_lo, exec_lo, s19
.LBB307_106:                            ;   in Loop: Header=BB307_10 Depth=1
	s_delay_alu instid0(SALU_CYCLE_1)
	s_or_b32 exec_lo, exec_lo, s3
	flat_load_u16 v8, v[28:29] offset:384
	s_mov_b32 s3, exec_lo
	s_waitcnt vmcnt(0) lgkmcnt(0)
	v_and_b32_e32 v85, 0xff, v8
	v_and_b32_e32 v84, 0xffff, v8
	s_delay_alu instid0(VALU_DEP_2)
	v_cmpx_ne_u16_e32 0, v85
	s_cbranch_execz .LBB307_114
; %bb.107:                              ;   in Loop: Header=BB307_10 Depth=1
	s_delay_alu instid0(VALU_DEP_2) | instskip(SKIP_2) | instid1(VALU_DEP_2)
	v_and_b32_e32 v8, 0xff, v84
	v_bfrev_b32_e32 v83, 1
	s_mov_b32 s19, exec_lo
	v_cmpx_ne_u16_e32 0x80, v8
	s_cbranch_execz .LBB307_113
; %bb.108:                              ;   in Loop: Header=BB307_10 Depth=1
	v_and_b32_e32 v85, 0x7f, v84
	v_mov_b32_e32 v83, 0x7fc02000
	s_mov_b32 s20, exec_lo
	s_delay_alu instid0(VALU_DEP_2)
	v_cmpx_ne_u32_e32 0x7f, v85
	s_cbranch_execz .LBB307_112
; %bb.109:                              ;   in Loop: Header=BB307_10 Depth=1
	v_and_b32_e32 v8, 7, v84
	v_lshrrev_b32_e32 v83, 3, v85
	s_mov_b32 s21, exec_lo
	v_cmpx_gt_u32_e32 8, v85
; %bb.110:                              ;   in Loop: Header=BB307_10 Depth=1
	s_delay_alu instid0(VALU_DEP_3) | instskip(NEXT) | instid1(VALU_DEP_1)
	v_clz_i32_u32_e32 v83, v8
	v_min_u32_e32 v83, 32, v83
	s_delay_alu instid0(VALU_DEP_1) | instskip(SKIP_1) | instid1(VALU_DEP_2)
	v_subrev_nc_u32_e32 v85, 28, v83
	v_sub_nc_u32_e32 v83, 29, v83
	v_lshlrev_b64 v[85:86], v85, v[8:9]
	s_delay_alu instid0(VALU_DEP_1)
	v_and_b32_e32 v8, 7, v85
; %bb.111:                              ;   in Loop: Header=BB307_10 Depth=1
	s_or_b32 exec_lo, exec_lo, s21
	v_lshlrev_b32_e32 v85, 8, v84
	v_lshl_add_u32 v83, v83, 10, 0x2000
	s_delay_alu instid0(VALU_DEP_1) | instskip(NEXT) | instid1(VALU_DEP_1)
	v_and_or_b32 v83, 0x8000, v85, v83
	v_lshl_or_b32 v8, v8, 7, v83
	s_delay_alu instid0(VALU_DEP_1)
	v_cvt_f32_f16_e32 v83, v8
.LBB307_112:                            ;   in Loop: Header=BB307_10 Depth=1
	s_or_b32 exec_lo, exec_lo, s20
.LBB307_113:                            ;   in Loop: Header=BB307_10 Depth=1
	s_delay_alu instid0(SALU_CYCLE_1)
	s_or_b32 exec_lo, exec_lo, s19
.LBB307_114:                            ;   in Loop: Header=BB307_10 Depth=1
	s_delay_alu instid0(SALU_CYCLE_1) | instskip(NEXT) | instid1(VALU_DEP_2)
	s_or_b32 exec_lo, exec_lo, s3
	v_lshrrev_b16 v8, 8, v84
	v_dual_mov_b32 v85, 0 :: v_dual_mov_b32 v84, 0
	s_mov_b32 s3, exec_lo
	s_delay_alu instid0(VALU_DEP_2)
	v_cmpx_ne_u16_e32 0, v8
	s_cbranch_execz .LBB307_122
; %bb.115:                              ;   in Loop: Header=BB307_10 Depth=1
	v_bfrev_b32_e32 v84, 1
	s_mov_b32 s19, exec_lo
	v_cmpx_ne_u16_e32 0x80, v8
	s_cbranch_execz .LBB307_121
; %bb.116:                              ;   in Loop: Header=BB307_10 Depth=1
	v_and_b32_e32 v86, 0xffff, v8
	v_mov_b32_e32 v84, 0x7fc02000
	s_mov_b32 s20, exec_lo
	s_delay_alu instid0(VALU_DEP_2) | instskip(NEXT) | instid1(VALU_DEP_1)
	v_and_b32_e32 v87, 0x7f, v86
	v_cmpx_ne_u32_e32 0x7f, v87
	s_cbranch_execz .LBB307_120
; %bb.117:                              ;   in Loop: Header=BB307_10 Depth=1
	v_and_b32_e32 v8, 7, v86
	v_lshrrev_b32_e32 v84, 3, v87
	s_mov_b32 s21, exec_lo
	v_cmpx_gt_u32_e32 8, v87
; %bb.118:                              ;   in Loop: Header=BB307_10 Depth=1
	s_delay_alu instid0(VALU_DEP_3) | instskip(NEXT) | instid1(VALU_DEP_1)
	v_clz_i32_u32_e32 v84, v8
	v_min_u32_e32 v84, 32, v84
	s_delay_alu instid0(VALU_DEP_1) | instskip(SKIP_1) | instid1(VALU_DEP_2)
	v_subrev_nc_u32_e32 v87, 28, v84
	v_sub_nc_u32_e32 v84, 29, v84
	v_lshlrev_b64 v[96:97], v87, v[8:9]
	s_delay_alu instid0(VALU_DEP_1)
	v_and_b32_e32 v8, 7, v96
; %bb.119:                              ;   in Loop: Header=BB307_10 Depth=1
	s_or_b32 exec_lo, exec_lo, s21
	v_lshlrev_b32_e32 v86, 8, v86
	v_lshl_add_u32 v84, v84, 10, 0x2000
	s_delay_alu instid0(VALU_DEP_1) | instskip(NEXT) | instid1(VALU_DEP_1)
	v_and_or_b32 v84, 0x8000, v86, v84
	v_lshl_or_b32 v8, v8, 7, v84
	s_delay_alu instid0(VALU_DEP_1)
	v_cvt_f32_f16_e32 v84, v8
.LBB307_120:                            ;   in Loop: Header=BB307_10 Depth=1
	s_or_b32 exec_lo, exec_lo, s20
.LBB307_121:                            ;   in Loop: Header=BB307_10 Depth=1
	s_delay_alu instid0(SALU_CYCLE_1)
	s_or_b32 exec_lo, exec_lo, s19
.LBB307_122:                            ;   in Loop: Header=BB307_10 Depth=1
	s_delay_alu instid0(SALU_CYCLE_1)
	s_or_b32 exec_lo, exec_lo, s3
	flat_load_u16 v8, v[28:29] offset:392
	s_mov_b32 s3, exec_lo
	s_waitcnt vmcnt(0) lgkmcnt(0)
	v_and_b32_e32 v87, 0xff, v8
	v_and_b32_e32 v86, 0xffff, v8
	s_delay_alu instid0(VALU_DEP_2)
	v_cmpx_ne_u16_e32 0, v87
	s_cbranch_execz .LBB307_130
; %bb.123:                              ;   in Loop: Header=BB307_10 Depth=1
	s_delay_alu instid0(VALU_DEP_2) | instskip(SKIP_2) | instid1(VALU_DEP_2)
	v_and_b32_e32 v8, 0xff, v86
	v_bfrev_b32_e32 v85, 1
	s_mov_b32 s19, exec_lo
	v_cmpx_ne_u16_e32 0x80, v8
	s_cbranch_execz .LBB307_129
; %bb.124:                              ;   in Loop: Header=BB307_10 Depth=1
	v_and_b32_e32 v87, 0x7f, v86
	v_mov_b32_e32 v85, 0x7fc02000
	s_mov_b32 s20, exec_lo
	s_delay_alu instid0(VALU_DEP_2)
	v_cmpx_ne_u32_e32 0x7f, v87
	s_cbranch_execz .LBB307_128
; %bb.125:                              ;   in Loop: Header=BB307_10 Depth=1
	v_and_b32_e32 v8, 7, v86
	v_lshrrev_b32_e32 v85, 3, v87
	s_mov_b32 s21, exec_lo
	v_cmpx_gt_u32_e32 8, v87
; %bb.126:                              ;   in Loop: Header=BB307_10 Depth=1
	s_delay_alu instid0(VALU_DEP_3) | instskip(NEXT) | instid1(VALU_DEP_1)
	v_clz_i32_u32_e32 v85, v8
	v_min_u32_e32 v85, 32, v85
	s_delay_alu instid0(VALU_DEP_1) | instskip(SKIP_1) | instid1(VALU_DEP_2)
	v_subrev_nc_u32_e32 v87, 28, v85
	v_sub_nc_u32_e32 v85, 29, v85
	v_lshlrev_b64 v[96:97], v87, v[8:9]
	s_delay_alu instid0(VALU_DEP_1)
	v_and_b32_e32 v8, 7, v96
; %bb.127:                              ;   in Loop: Header=BB307_10 Depth=1
	s_or_b32 exec_lo, exec_lo, s21
	v_lshlrev_b32_e32 v87, 8, v86
	v_lshl_add_u32 v85, v85, 10, 0x2000
	s_delay_alu instid0(VALU_DEP_1) | instskip(NEXT) | instid1(VALU_DEP_1)
	v_and_or_b32 v85, 0x8000, v87, v85
	v_lshl_or_b32 v8, v8, 7, v85
	s_delay_alu instid0(VALU_DEP_1)
	v_cvt_f32_f16_e32 v85, v8
.LBB307_128:                            ;   in Loop: Header=BB307_10 Depth=1
	s_or_b32 exec_lo, exec_lo, s20
.LBB307_129:                            ;   in Loop: Header=BB307_10 Depth=1
	s_delay_alu instid0(SALU_CYCLE_1)
	s_or_b32 exec_lo, exec_lo, s19
.LBB307_130:                            ;   in Loop: Header=BB307_10 Depth=1
	s_delay_alu instid0(SALU_CYCLE_1) | instskip(NEXT) | instid1(VALU_DEP_2)
	s_or_b32 exec_lo, exec_lo, s3
	v_lshrrev_b16 v8, 8, v86
	v_dual_mov_b32 v87, 0 :: v_dual_mov_b32 v86, 0
	s_mov_b32 s3, exec_lo
	s_delay_alu instid0(VALU_DEP_2)
	v_cmpx_ne_u16_e32 0, v8
	s_cbranch_execz .LBB307_138
; %bb.131:                              ;   in Loop: Header=BB307_10 Depth=1
	v_bfrev_b32_e32 v86, 1
	s_mov_b32 s19, exec_lo
	v_cmpx_ne_u16_e32 0x80, v8
	s_cbranch_execz .LBB307_137
; %bb.132:                              ;   in Loop: Header=BB307_10 Depth=1
	v_and_b32_e32 v96, 0xffff, v8
	v_mov_b32_e32 v86, 0x7fc02000
	s_mov_b32 s20, exec_lo
	s_delay_alu instid0(VALU_DEP_2) | instskip(NEXT) | instid1(VALU_DEP_1)
	v_and_b32_e32 v97, 0x7f, v96
	v_cmpx_ne_u32_e32 0x7f, v97
	s_cbranch_execz .LBB307_136
; %bb.133:                              ;   in Loop: Header=BB307_10 Depth=1
	v_and_b32_e32 v8, 7, v96
	v_lshrrev_b32_e32 v86, 3, v97
	s_mov_b32 s21, exec_lo
	v_cmpx_gt_u32_e32 8, v97
; %bb.134:                              ;   in Loop: Header=BB307_10 Depth=1
	s_delay_alu instid0(VALU_DEP_3) | instskip(NEXT) | instid1(VALU_DEP_1)
	v_clz_i32_u32_e32 v86, v8
	v_min_u32_e32 v86, 32, v86
	s_delay_alu instid0(VALU_DEP_1) | instskip(SKIP_1) | instid1(VALU_DEP_2)
	v_subrev_nc_u32_e32 v97, 28, v86
	v_sub_nc_u32_e32 v86, 29, v86
	v_lshlrev_b64 v[97:98], v97, v[8:9]
	s_delay_alu instid0(VALU_DEP_1)
	v_and_b32_e32 v8, 7, v97
; %bb.135:                              ;   in Loop: Header=BB307_10 Depth=1
	s_or_b32 exec_lo, exec_lo, s21
	v_lshlrev_b32_e32 v96, 8, v96
	v_lshl_add_u32 v86, v86, 10, 0x2000
	s_delay_alu instid0(VALU_DEP_1) | instskip(NEXT) | instid1(VALU_DEP_1)
	v_and_or_b32 v86, 0x8000, v96, v86
	v_lshl_or_b32 v8, v8, 7, v86
	s_delay_alu instid0(VALU_DEP_1)
	v_cvt_f32_f16_e32 v86, v8
.LBB307_136:                            ;   in Loop: Header=BB307_10 Depth=1
	s_or_b32 exec_lo, exec_lo, s20
.LBB307_137:                            ;   in Loop: Header=BB307_10 Depth=1
	s_delay_alu instid0(SALU_CYCLE_1)
	s_or_b32 exec_lo, exec_lo, s19
.LBB307_138:                            ;   in Loop: Header=BB307_10 Depth=1
	s_delay_alu instid0(SALU_CYCLE_1)
	s_or_b32 exec_lo, exec_lo, s3
	flat_load_u16 v8, v[28:29] offset:512
	s_mov_b32 s3, exec_lo
	s_waitcnt vmcnt(0) lgkmcnt(0)
	v_and_b32_e32 v97, 0xff, v8
	v_and_b32_e32 v96, 0xffff, v8
	s_delay_alu instid0(VALU_DEP_2)
	v_cmpx_ne_u16_e32 0, v97
	s_cbranch_execz .LBB307_146
; %bb.139:                              ;   in Loop: Header=BB307_10 Depth=1
	s_delay_alu instid0(VALU_DEP_2) | instskip(SKIP_2) | instid1(VALU_DEP_2)
	v_and_b32_e32 v8, 0xff, v96
	v_bfrev_b32_e32 v87, 1
	s_mov_b32 s19, exec_lo
	v_cmpx_ne_u16_e32 0x80, v8
	s_cbranch_execz .LBB307_145
; %bb.140:                              ;   in Loop: Header=BB307_10 Depth=1
	v_and_b32_e32 v97, 0x7f, v96
	v_mov_b32_e32 v87, 0x7fc02000
	s_mov_b32 s20, exec_lo
	s_delay_alu instid0(VALU_DEP_2)
	v_cmpx_ne_u32_e32 0x7f, v97
	s_cbranch_execz .LBB307_144
; %bb.141:                              ;   in Loop: Header=BB307_10 Depth=1
	v_and_b32_e32 v8, 7, v96
	v_lshrrev_b32_e32 v87, 3, v97
	s_mov_b32 s21, exec_lo
	v_cmpx_gt_u32_e32 8, v97
; %bb.142:                              ;   in Loop: Header=BB307_10 Depth=1
	s_delay_alu instid0(VALU_DEP_3) | instskip(NEXT) | instid1(VALU_DEP_1)
	v_clz_i32_u32_e32 v87, v8
	v_min_u32_e32 v87, 32, v87
	s_delay_alu instid0(VALU_DEP_1) | instskip(SKIP_1) | instid1(VALU_DEP_2)
	v_subrev_nc_u32_e32 v97, 28, v87
	v_sub_nc_u32_e32 v87, 29, v87
	v_lshlrev_b64 v[97:98], v97, v[8:9]
	s_delay_alu instid0(VALU_DEP_1)
	v_and_b32_e32 v8, 7, v97
; %bb.143:                              ;   in Loop: Header=BB307_10 Depth=1
	s_or_b32 exec_lo, exec_lo, s21
	v_lshlrev_b32_e32 v97, 8, v96
	v_lshl_add_u32 v87, v87, 10, 0x2000
	s_delay_alu instid0(VALU_DEP_1) | instskip(NEXT) | instid1(VALU_DEP_1)
	v_and_or_b32 v87, 0x8000, v97, v87
	v_lshl_or_b32 v8, v8, 7, v87
	s_delay_alu instid0(VALU_DEP_1)
	v_cvt_f32_f16_e32 v87, v8
.LBB307_144:                            ;   in Loop: Header=BB307_10 Depth=1
	s_or_b32 exec_lo, exec_lo, s20
.LBB307_145:                            ;   in Loop: Header=BB307_10 Depth=1
	s_delay_alu instid0(SALU_CYCLE_1)
	s_or_b32 exec_lo, exec_lo, s19
.LBB307_146:                            ;   in Loop: Header=BB307_10 Depth=1
	s_delay_alu instid0(SALU_CYCLE_1) | instskip(NEXT) | instid1(VALU_DEP_2)
	s_or_b32 exec_lo, exec_lo, s3
	v_lshrrev_b16 v8, 8, v96
	v_dual_mov_b32 v97, 0 :: v_dual_mov_b32 v96, 0
	s_mov_b32 s3, exec_lo
	s_delay_alu instid0(VALU_DEP_2)
	v_cmpx_ne_u16_e32 0, v8
	s_cbranch_execz .LBB307_154
; %bb.147:                              ;   in Loop: Header=BB307_10 Depth=1
	v_bfrev_b32_e32 v96, 1
	s_mov_b32 s19, exec_lo
	v_cmpx_ne_u16_e32 0x80, v8
	s_cbranch_execz .LBB307_153
; %bb.148:                              ;   in Loop: Header=BB307_10 Depth=1
	v_and_b32_e32 v98, 0xffff, v8
	v_mov_b32_e32 v96, 0x7fc02000
	s_mov_b32 s20, exec_lo
	s_delay_alu instid0(VALU_DEP_2) | instskip(NEXT) | instid1(VALU_DEP_1)
	v_and_b32_e32 v99, 0x7f, v98
	v_cmpx_ne_u32_e32 0x7f, v99
	s_cbranch_execz .LBB307_152
; %bb.149:                              ;   in Loop: Header=BB307_10 Depth=1
	v_and_b32_e32 v8, 7, v98
	v_lshrrev_b32_e32 v96, 3, v99
	s_mov_b32 s21, exec_lo
	v_cmpx_gt_u32_e32 8, v99
; %bb.150:                              ;   in Loop: Header=BB307_10 Depth=1
	s_delay_alu instid0(VALU_DEP_3) | instskip(NEXT) | instid1(VALU_DEP_1)
	v_clz_i32_u32_e32 v96, v8
	v_min_u32_e32 v96, 32, v96
	s_delay_alu instid0(VALU_DEP_1) | instskip(SKIP_1) | instid1(VALU_DEP_2)
	v_subrev_nc_u32_e32 v99, 28, v96
	v_sub_nc_u32_e32 v96, 29, v96
	v_lshlrev_b64 v[99:100], v99, v[8:9]
	s_delay_alu instid0(VALU_DEP_1)
	v_and_b32_e32 v8, 7, v99
; %bb.151:                              ;   in Loop: Header=BB307_10 Depth=1
	s_or_b32 exec_lo, exec_lo, s21
	v_lshlrev_b32_e32 v98, 8, v98
	v_lshl_add_u32 v96, v96, 10, 0x2000
	s_delay_alu instid0(VALU_DEP_1) | instskip(NEXT) | instid1(VALU_DEP_1)
	v_and_or_b32 v96, 0x8000, v98, v96
	v_lshl_or_b32 v8, v8, 7, v96
	s_delay_alu instid0(VALU_DEP_1)
	v_cvt_f32_f16_e32 v96, v8
.LBB307_152:                            ;   in Loop: Header=BB307_10 Depth=1
	s_or_b32 exec_lo, exec_lo, s20
.LBB307_153:                            ;   in Loop: Header=BB307_10 Depth=1
	s_delay_alu instid0(SALU_CYCLE_1)
	s_or_b32 exec_lo, exec_lo, s19
.LBB307_154:                            ;   in Loop: Header=BB307_10 Depth=1
	s_delay_alu instid0(SALU_CYCLE_1)
	s_or_b32 exec_lo, exec_lo, s3
	flat_load_u16 v8, v[28:29] offset:520
	s_mov_b32 s3, exec_lo
	s_waitcnt vmcnt(0) lgkmcnt(0)
	v_and_b32_e32 v99, 0xff, v8
	v_and_b32_e32 v98, 0xffff, v8
	s_delay_alu instid0(VALU_DEP_2)
	v_cmpx_ne_u16_e32 0, v99
	s_cbranch_execz .LBB307_162
; %bb.155:                              ;   in Loop: Header=BB307_10 Depth=1
	s_delay_alu instid0(VALU_DEP_2) | instskip(SKIP_2) | instid1(VALU_DEP_2)
	v_and_b32_e32 v8, 0xff, v98
	v_bfrev_b32_e32 v97, 1
	s_mov_b32 s19, exec_lo
	v_cmpx_ne_u16_e32 0x80, v8
	s_cbranch_execz .LBB307_161
; %bb.156:                              ;   in Loop: Header=BB307_10 Depth=1
	v_and_b32_e32 v99, 0x7f, v98
	v_mov_b32_e32 v97, 0x7fc02000
	s_mov_b32 s20, exec_lo
	s_delay_alu instid0(VALU_DEP_2)
	v_cmpx_ne_u32_e32 0x7f, v99
	s_cbranch_execz .LBB307_160
; %bb.157:                              ;   in Loop: Header=BB307_10 Depth=1
	v_and_b32_e32 v8, 7, v98
	v_lshrrev_b32_e32 v97, 3, v99
	s_mov_b32 s21, exec_lo
	v_cmpx_gt_u32_e32 8, v99
; %bb.158:                              ;   in Loop: Header=BB307_10 Depth=1
	s_delay_alu instid0(VALU_DEP_3) | instskip(NEXT) | instid1(VALU_DEP_1)
	v_clz_i32_u32_e32 v97, v8
	v_min_u32_e32 v97, 32, v97
	s_delay_alu instid0(VALU_DEP_1) | instskip(SKIP_1) | instid1(VALU_DEP_2)
	v_subrev_nc_u32_e32 v99, 28, v97
	v_sub_nc_u32_e32 v97, 29, v97
	v_lshlrev_b64 v[99:100], v99, v[8:9]
	s_delay_alu instid0(VALU_DEP_1)
	v_and_b32_e32 v8, 7, v99
; %bb.159:                              ;   in Loop: Header=BB307_10 Depth=1
	s_or_b32 exec_lo, exec_lo, s21
	v_lshlrev_b32_e32 v99, 8, v98
	v_lshl_add_u32 v97, v97, 10, 0x2000
	s_delay_alu instid0(VALU_DEP_1) | instskip(NEXT) | instid1(VALU_DEP_1)
	v_and_or_b32 v97, 0x8000, v99, v97
	v_lshl_or_b32 v8, v8, 7, v97
	s_delay_alu instid0(VALU_DEP_1)
	v_cvt_f32_f16_e32 v97, v8
.LBB307_160:                            ;   in Loop: Header=BB307_10 Depth=1
	s_or_b32 exec_lo, exec_lo, s20
.LBB307_161:                            ;   in Loop: Header=BB307_10 Depth=1
	s_delay_alu instid0(SALU_CYCLE_1)
	s_or_b32 exec_lo, exec_lo, s19
.LBB307_162:                            ;   in Loop: Header=BB307_10 Depth=1
	s_delay_alu instid0(SALU_CYCLE_1) | instskip(NEXT) | instid1(VALU_DEP_2)
	s_or_b32 exec_lo, exec_lo, s3
	v_lshrrev_b16 v8, 8, v98
	v_dual_mov_b32 v99, 0 :: v_dual_mov_b32 v98, 0
	s_mov_b32 s3, exec_lo
	s_delay_alu instid0(VALU_DEP_2)
	v_cmpx_ne_u16_e32 0, v8
	s_cbranch_execz .LBB307_170
; %bb.163:                              ;   in Loop: Header=BB307_10 Depth=1
	v_bfrev_b32_e32 v98, 1
	s_mov_b32 s19, exec_lo
	v_cmpx_ne_u16_e32 0x80, v8
	s_cbranch_execz .LBB307_169
; %bb.164:                              ;   in Loop: Header=BB307_10 Depth=1
	v_and_b32_e32 v100, 0xffff, v8
	v_mov_b32_e32 v98, 0x7fc02000
	s_mov_b32 s20, exec_lo
	s_delay_alu instid0(VALU_DEP_2) | instskip(NEXT) | instid1(VALU_DEP_1)
	v_and_b32_e32 v101, 0x7f, v100
	v_cmpx_ne_u32_e32 0x7f, v101
	s_cbranch_execz .LBB307_168
; %bb.165:                              ;   in Loop: Header=BB307_10 Depth=1
	v_and_b32_e32 v8, 7, v100
	v_lshrrev_b32_e32 v98, 3, v101
	s_mov_b32 s21, exec_lo
	v_cmpx_gt_u32_e32 8, v101
; %bb.166:                              ;   in Loop: Header=BB307_10 Depth=1
	s_delay_alu instid0(VALU_DEP_3) | instskip(NEXT) | instid1(VALU_DEP_1)
	v_clz_i32_u32_e32 v98, v8
	v_min_u32_e32 v98, 32, v98
	s_delay_alu instid0(VALU_DEP_1) | instskip(SKIP_1) | instid1(VALU_DEP_2)
	v_subrev_nc_u32_e32 v101, 28, v98
	v_sub_nc_u32_e32 v98, 29, v98
	v_lshlrev_b64 v[101:102], v101, v[8:9]
	s_delay_alu instid0(VALU_DEP_1)
	v_and_b32_e32 v8, 7, v101
; %bb.167:                              ;   in Loop: Header=BB307_10 Depth=1
	s_or_b32 exec_lo, exec_lo, s21
	v_lshlrev_b32_e32 v100, 8, v100
	v_lshl_add_u32 v98, v98, 10, 0x2000
	s_delay_alu instid0(VALU_DEP_1) | instskip(NEXT) | instid1(VALU_DEP_1)
	v_and_or_b32 v98, 0x8000, v100, v98
	v_lshl_or_b32 v8, v8, 7, v98
	s_delay_alu instid0(VALU_DEP_1)
	v_cvt_f32_f16_e32 v98, v8
.LBB307_168:                            ;   in Loop: Header=BB307_10 Depth=1
	s_or_b32 exec_lo, exec_lo, s20
.LBB307_169:                            ;   in Loop: Header=BB307_10 Depth=1
	s_delay_alu instid0(SALU_CYCLE_1)
	s_or_b32 exec_lo, exec_lo, s19
.LBB307_170:                            ;   in Loop: Header=BB307_10 Depth=1
	s_delay_alu instid0(SALU_CYCLE_1)
	s_or_b32 exec_lo, exec_lo, s3
	flat_load_u16 v8, v[28:29] offset:640
	s_mov_b32 s3, exec_lo
	s_waitcnt vmcnt(0) lgkmcnt(0)
	v_and_b32_e32 v101, 0xff, v8
	v_and_b32_e32 v100, 0xffff, v8
	s_delay_alu instid0(VALU_DEP_2)
	v_cmpx_ne_u16_e32 0, v101
	s_cbranch_execz .LBB307_178
; %bb.171:                              ;   in Loop: Header=BB307_10 Depth=1
	s_delay_alu instid0(VALU_DEP_2) | instskip(SKIP_2) | instid1(VALU_DEP_2)
	v_and_b32_e32 v8, 0xff, v100
	v_bfrev_b32_e32 v99, 1
	s_mov_b32 s19, exec_lo
	v_cmpx_ne_u16_e32 0x80, v8
	s_cbranch_execz .LBB307_177
; %bb.172:                              ;   in Loop: Header=BB307_10 Depth=1
	v_and_b32_e32 v101, 0x7f, v100
	v_mov_b32_e32 v99, 0x7fc02000
	s_mov_b32 s20, exec_lo
	s_delay_alu instid0(VALU_DEP_2)
	v_cmpx_ne_u32_e32 0x7f, v101
	s_cbranch_execz .LBB307_176
; %bb.173:                              ;   in Loop: Header=BB307_10 Depth=1
	v_and_b32_e32 v8, 7, v100
	v_lshrrev_b32_e32 v99, 3, v101
	s_mov_b32 s21, exec_lo
	v_cmpx_gt_u32_e32 8, v101
; %bb.174:                              ;   in Loop: Header=BB307_10 Depth=1
	s_delay_alu instid0(VALU_DEP_3) | instskip(NEXT) | instid1(VALU_DEP_1)
	v_clz_i32_u32_e32 v99, v8
	v_min_u32_e32 v99, 32, v99
	s_delay_alu instid0(VALU_DEP_1) | instskip(SKIP_1) | instid1(VALU_DEP_2)
	v_subrev_nc_u32_e32 v101, 28, v99
	v_sub_nc_u32_e32 v99, 29, v99
	v_lshlrev_b64 v[101:102], v101, v[8:9]
	s_delay_alu instid0(VALU_DEP_1)
	v_and_b32_e32 v8, 7, v101
; %bb.175:                              ;   in Loop: Header=BB307_10 Depth=1
	s_or_b32 exec_lo, exec_lo, s21
	v_lshlrev_b32_e32 v101, 8, v100
	v_lshl_add_u32 v99, v99, 10, 0x2000
	s_delay_alu instid0(VALU_DEP_1) | instskip(NEXT) | instid1(VALU_DEP_1)
	v_and_or_b32 v99, 0x8000, v101, v99
	v_lshl_or_b32 v8, v8, 7, v99
	s_delay_alu instid0(VALU_DEP_1)
	v_cvt_f32_f16_e32 v99, v8
.LBB307_176:                            ;   in Loop: Header=BB307_10 Depth=1
	s_or_b32 exec_lo, exec_lo, s20
.LBB307_177:                            ;   in Loop: Header=BB307_10 Depth=1
	s_delay_alu instid0(SALU_CYCLE_1)
	s_or_b32 exec_lo, exec_lo, s19
.LBB307_178:                            ;   in Loop: Header=BB307_10 Depth=1
	s_delay_alu instid0(SALU_CYCLE_1) | instskip(NEXT) | instid1(VALU_DEP_2)
	s_or_b32 exec_lo, exec_lo, s3
	v_lshrrev_b16 v8, 8, v100
	v_dual_mov_b32 v101, 0 :: v_dual_mov_b32 v100, 0
	s_mov_b32 s3, exec_lo
	s_delay_alu instid0(VALU_DEP_2)
	v_cmpx_ne_u16_e32 0, v8
	s_cbranch_execz .LBB307_186
; %bb.179:                              ;   in Loop: Header=BB307_10 Depth=1
	v_bfrev_b32_e32 v100, 1
	s_mov_b32 s19, exec_lo
	v_cmpx_ne_u16_e32 0x80, v8
	s_cbranch_execz .LBB307_185
; %bb.180:                              ;   in Loop: Header=BB307_10 Depth=1
	v_and_b32_e32 v102, 0xffff, v8
	v_mov_b32_e32 v100, 0x7fc02000
	s_mov_b32 s20, exec_lo
	s_delay_alu instid0(VALU_DEP_2) | instskip(NEXT) | instid1(VALU_DEP_1)
	v_and_b32_e32 v103, 0x7f, v102
	v_cmpx_ne_u32_e32 0x7f, v103
	s_cbranch_execz .LBB307_184
; %bb.181:                              ;   in Loop: Header=BB307_10 Depth=1
	v_and_b32_e32 v8, 7, v102
	v_lshrrev_b32_e32 v100, 3, v103
	s_mov_b32 s21, exec_lo
	v_cmpx_gt_u32_e32 8, v103
; %bb.182:                              ;   in Loop: Header=BB307_10 Depth=1
	s_delay_alu instid0(VALU_DEP_3) | instskip(NEXT) | instid1(VALU_DEP_1)
	v_clz_i32_u32_e32 v100, v8
	v_min_u32_e32 v100, 32, v100
	s_delay_alu instid0(VALU_DEP_1) | instskip(SKIP_1) | instid1(VALU_DEP_2)
	v_subrev_nc_u32_e32 v103, 28, v100
	v_sub_nc_u32_e32 v100, 29, v100
	v_lshlrev_b64 v[112:113], v103, v[8:9]
	s_delay_alu instid0(VALU_DEP_1)
	v_and_b32_e32 v8, 7, v112
; %bb.183:                              ;   in Loop: Header=BB307_10 Depth=1
	s_or_b32 exec_lo, exec_lo, s21
	v_lshlrev_b32_e32 v102, 8, v102
	v_lshl_add_u32 v100, v100, 10, 0x2000
	s_delay_alu instid0(VALU_DEP_1) | instskip(NEXT) | instid1(VALU_DEP_1)
	v_and_or_b32 v100, 0x8000, v102, v100
	v_lshl_or_b32 v8, v8, 7, v100
	s_delay_alu instid0(VALU_DEP_1)
	v_cvt_f32_f16_e32 v100, v8
.LBB307_184:                            ;   in Loop: Header=BB307_10 Depth=1
	s_or_b32 exec_lo, exec_lo, s20
.LBB307_185:                            ;   in Loop: Header=BB307_10 Depth=1
	s_delay_alu instid0(SALU_CYCLE_1)
	s_or_b32 exec_lo, exec_lo, s19
.LBB307_186:                            ;   in Loop: Header=BB307_10 Depth=1
	s_delay_alu instid0(SALU_CYCLE_1)
	s_or_b32 exec_lo, exec_lo, s3
	flat_load_u16 v8, v[28:29] offset:648
	s_mov_b32 s3, exec_lo
	s_waitcnt vmcnt(0) lgkmcnt(0)
	v_and_b32_e32 v103, 0xff, v8
	v_and_b32_e32 v102, 0xffff, v8
	s_delay_alu instid0(VALU_DEP_2)
	v_cmpx_ne_u16_e32 0, v103
	s_cbranch_execz .LBB307_194
; %bb.187:                              ;   in Loop: Header=BB307_10 Depth=1
	s_delay_alu instid0(VALU_DEP_2) | instskip(SKIP_2) | instid1(VALU_DEP_2)
	v_and_b32_e32 v8, 0xff, v102
	v_bfrev_b32_e32 v101, 1
	s_mov_b32 s19, exec_lo
	v_cmpx_ne_u16_e32 0x80, v8
	s_cbranch_execz .LBB307_193
; %bb.188:                              ;   in Loop: Header=BB307_10 Depth=1
	v_and_b32_e32 v103, 0x7f, v102
	v_mov_b32_e32 v101, 0x7fc02000
	s_mov_b32 s20, exec_lo
	s_delay_alu instid0(VALU_DEP_2)
	v_cmpx_ne_u32_e32 0x7f, v103
	s_cbranch_execz .LBB307_192
; %bb.189:                              ;   in Loop: Header=BB307_10 Depth=1
	v_and_b32_e32 v8, 7, v102
	v_lshrrev_b32_e32 v101, 3, v103
	s_mov_b32 s21, exec_lo
	v_cmpx_gt_u32_e32 8, v103
; %bb.190:                              ;   in Loop: Header=BB307_10 Depth=1
	s_delay_alu instid0(VALU_DEP_3) | instskip(NEXT) | instid1(VALU_DEP_1)
	v_clz_i32_u32_e32 v101, v8
	v_min_u32_e32 v101, 32, v101
	s_delay_alu instid0(VALU_DEP_1) | instskip(SKIP_1) | instid1(VALU_DEP_2)
	v_subrev_nc_u32_e32 v103, 28, v101
	v_sub_nc_u32_e32 v101, 29, v101
	v_lshlrev_b64 v[112:113], v103, v[8:9]
	s_delay_alu instid0(VALU_DEP_1)
	v_and_b32_e32 v8, 7, v112
; %bb.191:                              ;   in Loop: Header=BB307_10 Depth=1
	s_or_b32 exec_lo, exec_lo, s21
	v_lshlrev_b32_e32 v103, 8, v102
	v_lshl_add_u32 v101, v101, 10, 0x2000
	s_delay_alu instid0(VALU_DEP_1) | instskip(NEXT) | instid1(VALU_DEP_1)
	v_and_or_b32 v101, 0x8000, v103, v101
	v_lshl_or_b32 v8, v8, 7, v101
	s_delay_alu instid0(VALU_DEP_1)
	v_cvt_f32_f16_e32 v101, v8
.LBB307_192:                            ;   in Loop: Header=BB307_10 Depth=1
	s_or_b32 exec_lo, exec_lo, s20
.LBB307_193:                            ;   in Loop: Header=BB307_10 Depth=1
	s_delay_alu instid0(SALU_CYCLE_1)
	s_or_b32 exec_lo, exec_lo, s19
.LBB307_194:                            ;   in Loop: Header=BB307_10 Depth=1
	s_delay_alu instid0(SALU_CYCLE_1) | instskip(NEXT) | instid1(VALU_DEP_2)
	s_or_b32 exec_lo, exec_lo, s3
	v_lshrrev_b16 v8, 8, v102
	v_dual_mov_b32 v103, 0 :: v_dual_mov_b32 v102, 0
	s_mov_b32 s3, exec_lo
	s_delay_alu instid0(VALU_DEP_2)
	v_cmpx_ne_u16_e32 0, v8
	s_cbranch_execz .LBB307_202
; %bb.195:                              ;   in Loop: Header=BB307_10 Depth=1
	v_bfrev_b32_e32 v102, 1
	s_mov_b32 s19, exec_lo
	v_cmpx_ne_u16_e32 0x80, v8
	s_cbranch_execz .LBB307_201
; %bb.196:                              ;   in Loop: Header=BB307_10 Depth=1
	v_and_b32_e32 v112, 0xffff, v8
	v_mov_b32_e32 v102, 0x7fc02000
	s_mov_b32 s20, exec_lo
	s_delay_alu instid0(VALU_DEP_2) | instskip(NEXT) | instid1(VALU_DEP_1)
	v_and_b32_e32 v113, 0x7f, v112
	v_cmpx_ne_u32_e32 0x7f, v113
	s_cbranch_execz .LBB307_200
; %bb.197:                              ;   in Loop: Header=BB307_10 Depth=1
	v_and_b32_e32 v8, 7, v112
	v_lshrrev_b32_e32 v102, 3, v113
	s_mov_b32 s21, exec_lo
	v_cmpx_gt_u32_e32 8, v113
; %bb.198:                              ;   in Loop: Header=BB307_10 Depth=1
	s_delay_alu instid0(VALU_DEP_3) | instskip(NEXT) | instid1(VALU_DEP_1)
	v_clz_i32_u32_e32 v102, v8
	v_min_u32_e32 v102, 32, v102
	s_delay_alu instid0(VALU_DEP_1) | instskip(SKIP_1) | instid1(VALU_DEP_2)
	v_subrev_nc_u32_e32 v113, 28, v102
	v_sub_nc_u32_e32 v102, 29, v102
	v_lshlrev_b64 v[113:114], v113, v[8:9]
	s_delay_alu instid0(VALU_DEP_1)
	v_and_b32_e32 v8, 7, v113
; %bb.199:                              ;   in Loop: Header=BB307_10 Depth=1
	s_or_b32 exec_lo, exec_lo, s21
	v_lshlrev_b32_e32 v112, 8, v112
	v_lshl_add_u32 v102, v102, 10, 0x2000
	s_delay_alu instid0(VALU_DEP_1) | instskip(NEXT) | instid1(VALU_DEP_1)
	v_and_or_b32 v102, 0x8000, v112, v102
	v_lshl_or_b32 v8, v8, 7, v102
	s_delay_alu instid0(VALU_DEP_1)
	v_cvt_f32_f16_e32 v102, v8
.LBB307_200:                            ;   in Loop: Header=BB307_10 Depth=1
	s_or_b32 exec_lo, exec_lo, s20
.LBB307_201:                            ;   in Loop: Header=BB307_10 Depth=1
	s_delay_alu instid0(SALU_CYCLE_1)
	s_or_b32 exec_lo, exec_lo, s19
.LBB307_202:                            ;   in Loop: Header=BB307_10 Depth=1
	s_delay_alu instid0(SALU_CYCLE_1)
	s_or_b32 exec_lo, exec_lo, s3
	flat_load_u16 v8, v[28:29] offset:768
	s_mov_b32 s3, exec_lo
	s_waitcnt vmcnt(0) lgkmcnt(0)
	v_and_b32_e32 v113, 0xff, v8
	v_and_b32_e32 v112, 0xffff, v8
	s_delay_alu instid0(VALU_DEP_2)
	v_cmpx_ne_u16_e32 0, v113
	s_cbranch_execz .LBB307_210
; %bb.203:                              ;   in Loop: Header=BB307_10 Depth=1
	s_delay_alu instid0(VALU_DEP_2) | instskip(SKIP_2) | instid1(VALU_DEP_2)
	v_and_b32_e32 v8, 0xff, v112
	v_bfrev_b32_e32 v103, 1
	s_mov_b32 s19, exec_lo
	v_cmpx_ne_u16_e32 0x80, v8
	s_cbranch_execz .LBB307_209
; %bb.204:                              ;   in Loop: Header=BB307_10 Depth=1
	v_and_b32_e32 v113, 0x7f, v112
	v_mov_b32_e32 v103, 0x7fc02000
	s_mov_b32 s20, exec_lo
	s_delay_alu instid0(VALU_DEP_2)
	v_cmpx_ne_u32_e32 0x7f, v113
	s_cbranch_execz .LBB307_208
; %bb.205:                              ;   in Loop: Header=BB307_10 Depth=1
	v_and_b32_e32 v8, 7, v112
	v_lshrrev_b32_e32 v103, 3, v113
	s_mov_b32 s21, exec_lo
	v_cmpx_gt_u32_e32 8, v113
; %bb.206:                              ;   in Loop: Header=BB307_10 Depth=1
	s_delay_alu instid0(VALU_DEP_3) | instskip(NEXT) | instid1(VALU_DEP_1)
	v_clz_i32_u32_e32 v103, v8
	v_min_u32_e32 v103, 32, v103
	s_delay_alu instid0(VALU_DEP_1) | instskip(SKIP_1) | instid1(VALU_DEP_2)
	v_subrev_nc_u32_e32 v113, 28, v103
	v_sub_nc_u32_e32 v103, 29, v103
	v_lshlrev_b64 v[113:114], v113, v[8:9]
	s_delay_alu instid0(VALU_DEP_1)
	v_and_b32_e32 v8, 7, v113
; %bb.207:                              ;   in Loop: Header=BB307_10 Depth=1
	s_or_b32 exec_lo, exec_lo, s21
	v_lshlrev_b32_e32 v113, 8, v112
	v_lshl_add_u32 v103, v103, 10, 0x2000
	s_delay_alu instid0(VALU_DEP_1) | instskip(NEXT) | instid1(VALU_DEP_1)
	v_and_or_b32 v103, 0x8000, v113, v103
	v_lshl_or_b32 v8, v8, 7, v103
	s_delay_alu instid0(VALU_DEP_1)
	v_cvt_f32_f16_e32 v103, v8
.LBB307_208:                            ;   in Loop: Header=BB307_10 Depth=1
	s_or_b32 exec_lo, exec_lo, s20
.LBB307_209:                            ;   in Loop: Header=BB307_10 Depth=1
	s_delay_alu instid0(SALU_CYCLE_1)
	s_or_b32 exec_lo, exec_lo, s19
.LBB307_210:                            ;   in Loop: Header=BB307_10 Depth=1
	s_delay_alu instid0(SALU_CYCLE_1) | instskip(NEXT) | instid1(VALU_DEP_2)
	s_or_b32 exec_lo, exec_lo, s3
	v_lshrrev_b16 v8, 8, v112
	v_dual_mov_b32 v113, 0 :: v_dual_mov_b32 v112, 0
	s_mov_b32 s3, exec_lo
	s_delay_alu instid0(VALU_DEP_2)
	v_cmpx_ne_u16_e32 0, v8
	s_cbranch_execz .LBB307_218
; %bb.211:                              ;   in Loop: Header=BB307_10 Depth=1
	v_bfrev_b32_e32 v112, 1
	s_mov_b32 s19, exec_lo
	v_cmpx_ne_u16_e32 0x80, v8
	s_cbranch_execz .LBB307_217
; %bb.212:                              ;   in Loop: Header=BB307_10 Depth=1
	v_and_b32_e32 v114, 0xffff, v8
	v_mov_b32_e32 v112, 0x7fc02000
	s_mov_b32 s20, exec_lo
	s_delay_alu instid0(VALU_DEP_2) | instskip(NEXT) | instid1(VALU_DEP_1)
	v_and_b32_e32 v115, 0x7f, v114
	v_cmpx_ne_u32_e32 0x7f, v115
	s_cbranch_execz .LBB307_216
; %bb.213:                              ;   in Loop: Header=BB307_10 Depth=1
	v_and_b32_e32 v8, 7, v114
	v_lshrrev_b32_e32 v112, 3, v115
	s_mov_b32 s21, exec_lo
	v_cmpx_gt_u32_e32 8, v115
; %bb.214:                              ;   in Loop: Header=BB307_10 Depth=1
	s_delay_alu instid0(VALU_DEP_3) | instskip(NEXT) | instid1(VALU_DEP_1)
	v_clz_i32_u32_e32 v112, v8
	v_min_u32_e32 v112, 32, v112
	s_delay_alu instid0(VALU_DEP_1) | instskip(SKIP_1) | instid1(VALU_DEP_2)
	v_subrev_nc_u32_e32 v115, 28, v112
	v_sub_nc_u32_e32 v112, 29, v112
	v_lshlrev_b64 v[115:116], v115, v[8:9]
	s_delay_alu instid0(VALU_DEP_1)
	v_and_b32_e32 v8, 7, v115
; %bb.215:                              ;   in Loop: Header=BB307_10 Depth=1
	s_or_b32 exec_lo, exec_lo, s21
	v_lshlrev_b32_e32 v114, 8, v114
	v_lshl_add_u32 v112, v112, 10, 0x2000
	s_delay_alu instid0(VALU_DEP_1) | instskip(NEXT) | instid1(VALU_DEP_1)
	v_and_or_b32 v112, 0x8000, v114, v112
	v_lshl_or_b32 v8, v8, 7, v112
	s_delay_alu instid0(VALU_DEP_1)
	v_cvt_f32_f16_e32 v112, v8
.LBB307_216:                            ;   in Loop: Header=BB307_10 Depth=1
	s_or_b32 exec_lo, exec_lo, s20
.LBB307_217:                            ;   in Loop: Header=BB307_10 Depth=1
	s_delay_alu instid0(SALU_CYCLE_1)
	s_or_b32 exec_lo, exec_lo, s19
.LBB307_218:                            ;   in Loop: Header=BB307_10 Depth=1
	s_delay_alu instid0(SALU_CYCLE_1)
	s_or_b32 exec_lo, exec_lo, s3
	flat_load_u16 v8, v[28:29] offset:776
	s_mov_b32 s3, exec_lo
	s_waitcnt vmcnt(0) lgkmcnt(0)
	v_and_b32_e32 v115, 0xff, v8
	v_and_b32_e32 v114, 0xffff, v8
	s_delay_alu instid0(VALU_DEP_2)
	v_cmpx_ne_u16_e32 0, v115
	s_cbranch_execz .LBB307_226
; %bb.219:                              ;   in Loop: Header=BB307_10 Depth=1
	s_delay_alu instid0(VALU_DEP_2) | instskip(SKIP_2) | instid1(VALU_DEP_2)
	v_and_b32_e32 v8, 0xff, v114
	v_bfrev_b32_e32 v113, 1
	s_mov_b32 s19, exec_lo
	v_cmpx_ne_u16_e32 0x80, v8
	s_cbranch_execz .LBB307_225
; %bb.220:                              ;   in Loop: Header=BB307_10 Depth=1
	v_and_b32_e32 v115, 0x7f, v114
	v_mov_b32_e32 v113, 0x7fc02000
	s_mov_b32 s20, exec_lo
	s_delay_alu instid0(VALU_DEP_2)
	v_cmpx_ne_u32_e32 0x7f, v115
	s_cbranch_execz .LBB307_224
; %bb.221:                              ;   in Loop: Header=BB307_10 Depth=1
	v_and_b32_e32 v8, 7, v114
	v_lshrrev_b32_e32 v113, 3, v115
	s_mov_b32 s21, exec_lo
	v_cmpx_gt_u32_e32 8, v115
; %bb.222:                              ;   in Loop: Header=BB307_10 Depth=1
	s_delay_alu instid0(VALU_DEP_3) | instskip(NEXT) | instid1(VALU_DEP_1)
	v_clz_i32_u32_e32 v113, v8
	v_min_u32_e32 v113, 32, v113
	s_delay_alu instid0(VALU_DEP_1) | instskip(SKIP_1) | instid1(VALU_DEP_2)
	v_subrev_nc_u32_e32 v115, 28, v113
	v_sub_nc_u32_e32 v113, 29, v113
	v_lshlrev_b64 v[115:116], v115, v[8:9]
	s_delay_alu instid0(VALU_DEP_1)
	v_and_b32_e32 v8, 7, v115
; %bb.223:                              ;   in Loop: Header=BB307_10 Depth=1
	s_or_b32 exec_lo, exec_lo, s21
	v_lshlrev_b32_e32 v115, 8, v114
	v_lshl_add_u32 v113, v113, 10, 0x2000
	s_delay_alu instid0(VALU_DEP_1) | instskip(NEXT) | instid1(VALU_DEP_1)
	v_and_or_b32 v113, 0x8000, v115, v113
	v_lshl_or_b32 v8, v8, 7, v113
	s_delay_alu instid0(VALU_DEP_1)
	v_cvt_f32_f16_e32 v113, v8
.LBB307_224:                            ;   in Loop: Header=BB307_10 Depth=1
	s_or_b32 exec_lo, exec_lo, s20
.LBB307_225:                            ;   in Loop: Header=BB307_10 Depth=1
	s_delay_alu instid0(SALU_CYCLE_1)
	s_or_b32 exec_lo, exec_lo, s19
.LBB307_226:                            ;   in Loop: Header=BB307_10 Depth=1
	s_delay_alu instid0(SALU_CYCLE_1) | instskip(NEXT) | instid1(VALU_DEP_2)
	s_or_b32 exec_lo, exec_lo, s3
	v_lshrrev_b16 v8, 8, v114
	v_dual_mov_b32 v115, 0 :: v_dual_mov_b32 v114, 0
	s_mov_b32 s3, exec_lo
	s_delay_alu instid0(VALU_DEP_2)
	v_cmpx_ne_u16_e32 0, v8
	s_cbranch_execz .LBB307_234
; %bb.227:                              ;   in Loop: Header=BB307_10 Depth=1
	v_bfrev_b32_e32 v114, 1
	s_mov_b32 s19, exec_lo
	v_cmpx_ne_u16_e32 0x80, v8
	s_cbranch_execz .LBB307_233
; %bb.228:                              ;   in Loop: Header=BB307_10 Depth=1
	v_and_b32_e32 v116, 0xffff, v8
	v_mov_b32_e32 v114, 0x7fc02000
	s_mov_b32 s20, exec_lo
	s_delay_alu instid0(VALU_DEP_2) | instskip(NEXT) | instid1(VALU_DEP_1)
	v_and_b32_e32 v117, 0x7f, v116
	v_cmpx_ne_u32_e32 0x7f, v117
	s_cbranch_execz .LBB307_232
; %bb.229:                              ;   in Loop: Header=BB307_10 Depth=1
	v_and_b32_e32 v8, 7, v116
	v_lshrrev_b32_e32 v114, 3, v117
	s_mov_b32 s21, exec_lo
	v_cmpx_gt_u32_e32 8, v117
; %bb.230:                              ;   in Loop: Header=BB307_10 Depth=1
	s_delay_alu instid0(VALU_DEP_3) | instskip(NEXT) | instid1(VALU_DEP_1)
	v_clz_i32_u32_e32 v114, v8
	v_min_u32_e32 v114, 32, v114
	s_delay_alu instid0(VALU_DEP_1) | instskip(SKIP_1) | instid1(VALU_DEP_2)
	v_subrev_nc_u32_e32 v117, 28, v114
	v_sub_nc_u32_e32 v114, 29, v114
	v_lshlrev_b64 v[117:118], v117, v[8:9]
	s_delay_alu instid0(VALU_DEP_1)
	v_and_b32_e32 v8, 7, v117
; %bb.231:                              ;   in Loop: Header=BB307_10 Depth=1
	s_or_b32 exec_lo, exec_lo, s21
	v_lshlrev_b32_e32 v116, 8, v116
	v_lshl_add_u32 v114, v114, 10, 0x2000
	s_delay_alu instid0(VALU_DEP_1) | instskip(NEXT) | instid1(VALU_DEP_1)
	v_and_or_b32 v114, 0x8000, v116, v114
	v_lshl_or_b32 v8, v8, 7, v114
	s_delay_alu instid0(VALU_DEP_1)
	v_cvt_f32_f16_e32 v114, v8
.LBB307_232:                            ;   in Loop: Header=BB307_10 Depth=1
	s_or_b32 exec_lo, exec_lo, s20
.LBB307_233:                            ;   in Loop: Header=BB307_10 Depth=1
	s_delay_alu instid0(SALU_CYCLE_1)
	s_or_b32 exec_lo, exec_lo, s19
.LBB307_234:                            ;   in Loop: Header=BB307_10 Depth=1
	s_delay_alu instid0(SALU_CYCLE_1)
	s_or_b32 exec_lo, exec_lo, s3
	flat_load_u16 v8, v[28:29] offset:896
	s_mov_b32 s3, exec_lo
	s_waitcnt vmcnt(0) lgkmcnt(0)
	v_and_b32_e32 v117, 0xff, v8
	v_and_b32_e32 v116, 0xffff, v8
	s_delay_alu instid0(VALU_DEP_2)
	v_cmpx_ne_u16_e32 0, v117
	s_cbranch_execz .LBB307_242
; %bb.235:                              ;   in Loop: Header=BB307_10 Depth=1
	s_delay_alu instid0(VALU_DEP_2) | instskip(SKIP_2) | instid1(VALU_DEP_2)
	v_and_b32_e32 v8, 0xff, v116
	v_bfrev_b32_e32 v115, 1
	s_mov_b32 s19, exec_lo
	v_cmpx_ne_u16_e32 0x80, v8
	s_cbranch_execz .LBB307_241
; %bb.236:                              ;   in Loop: Header=BB307_10 Depth=1
	v_and_b32_e32 v117, 0x7f, v116
	v_mov_b32_e32 v115, 0x7fc02000
	s_mov_b32 s20, exec_lo
	s_delay_alu instid0(VALU_DEP_2)
	v_cmpx_ne_u32_e32 0x7f, v117
	s_cbranch_execz .LBB307_240
; %bb.237:                              ;   in Loop: Header=BB307_10 Depth=1
	v_and_b32_e32 v8, 7, v116
	v_lshrrev_b32_e32 v115, 3, v117
	s_mov_b32 s21, exec_lo
	v_cmpx_gt_u32_e32 8, v117
; %bb.238:                              ;   in Loop: Header=BB307_10 Depth=1
	s_delay_alu instid0(VALU_DEP_3) | instskip(NEXT) | instid1(VALU_DEP_1)
	v_clz_i32_u32_e32 v115, v8
	v_min_u32_e32 v115, 32, v115
	s_delay_alu instid0(VALU_DEP_1) | instskip(SKIP_1) | instid1(VALU_DEP_2)
	v_subrev_nc_u32_e32 v117, 28, v115
	v_sub_nc_u32_e32 v115, 29, v115
	v_lshlrev_b64 v[117:118], v117, v[8:9]
	s_delay_alu instid0(VALU_DEP_1)
	v_and_b32_e32 v8, 7, v117
; %bb.239:                              ;   in Loop: Header=BB307_10 Depth=1
	s_or_b32 exec_lo, exec_lo, s21
	v_lshlrev_b32_e32 v117, 8, v116
	v_lshl_add_u32 v115, v115, 10, 0x2000
	s_delay_alu instid0(VALU_DEP_1) | instskip(NEXT) | instid1(VALU_DEP_1)
	v_and_or_b32 v115, 0x8000, v117, v115
	v_lshl_or_b32 v8, v8, 7, v115
	s_delay_alu instid0(VALU_DEP_1)
	v_cvt_f32_f16_e32 v115, v8
.LBB307_240:                            ;   in Loop: Header=BB307_10 Depth=1
	s_or_b32 exec_lo, exec_lo, s20
.LBB307_241:                            ;   in Loop: Header=BB307_10 Depth=1
	s_delay_alu instid0(SALU_CYCLE_1)
	s_or_b32 exec_lo, exec_lo, s19
.LBB307_242:                            ;   in Loop: Header=BB307_10 Depth=1
	s_delay_alu instid0(SALU_CYCLE_1) | instskip(NEXT) | instid1(VALU_DEP_2)
	s_or_b32 exec_lo, exec_lo, s3
	v_lshrrev_b16 v8, 8, v116
	v_dual_mov_b32 v117, 0 :: v_dual_mov_b32 v116, 0
	s_mov_b32 s3, exec_lo
	s_delay_alu instid0(VALU_DEP_2)
	v_cmpx_ne_u16_e32 0, v8
	s_cbranch_execz .LBB307_250
; %bb.243:                              ;   in Loop: Header=BB307_10 Depth=1
	v_bfrev_b32_e32 v116, 1
	s_mov_b32 s19, exec_lo
	v_cmpx_ne_u16_e32 0x80, v8
	s_cbranch_execz .LBB307_249
; %bb.244:                              ;   in Loop: Header=BB307_10 Depth=1
	v_and_b32_e32 v118, 0xffff, v8
	v_mov_b32_e32 v116, 0x7fc02000
	s_mov_b32 s20, exec_lo
	s_delay_alu instid0(VALU_DEP_2) | instskip(NEXT) | instid1(VALU_DEP_1)
	v_and_b32_e32 v119, 0x7f, v118
	v_cmpx_ne_u32_e32 0x7f, v119
	s_cbranch_execz .LBB307_248
; %bb.245:                              ;   in Loop: Header=BB307_10 Depth=1
	v_and_b32_e32 v8, 7, v118
	v_lshrrev_b32_e32 v116, 3, v119
	s_mov_b32 s21, exec_lo
	v_cmpx_gt_u32_e32 8, v119
; %bb.246:                              ;   in Loop: Header=BB307_10 Depth=1
	s_delay_alu instid0(VALU_DEP_3) | instskip(NEXT) | instid1(VALU_DEP_1)
	v_clz_i32_u32_e32 v116, v8
	v_min_u32_e32 v116, 32, v116
	s_delay_alu instid0(VALU_DEP_1) | instskip(SKIP_1) | instid1(VALU_DEP_2)
	v_subrev_nc_u32_e32 v119, 28, v116
	v_sub_nc_u32_e32 v116, 29, v116
	v_lshlrev_b64 v[128:129], v119, v[8:9]
	s_delay_alu instid0(VALU_DEP_1)
	v_and_b32_e32 v8, 7, v128
; %bb.247:                              ;   in Loop: Header=BB307_10 Depth=1
	s_or_b32 exec_lo, exec_lo, s21
	v_lshlrev_b32_e32 v118, 8, v118
	v_lshl_add_u32 v116, v116, 10, 0x2000
	s_delay_alu instid0(VALU_DEP_1) | instskip(NEXT) | instid1(VALU_DEP_1)
	v_and_or_b32 v116, 0x8000, v118, v116
	v_lshl_or_b32 v8, v8, 7, v116
	s_delay_alu instid0(VALU_DEP_1)
	v_cvt_f32_f16_e32 v116, v8
.LBB307_248:                            ;   in Loop: Header=BB307_10 Depth=1
	s_or_b32 exec_lo, exec_lo, s20
.LBB307_249:                            ;   in Loop: Header=BB307_10 Depth=1
	s_delay_alu instid0(SALU_CYCLE_1)
	s_or_b32 exec_lo, exec_lo, s19
.LBB307_250:                            ;   in Loop: Header=BB307_10 Depth=1
	s_delay_alu instid0(SALU_CYCLE_1)
	s_or_b32 exec_lo, exec_lo, s3
	flat_load_u16 v8, v[28:29] offset:904
	s_mov_b32 s3, exec_lo
	s_waitcnt vmcnt(0) lgkmcnt(0)
	v_and_b32_e32 v119, 0xff, v8
	v_and_b32_e32 v118, 0xffff, v8
	s_delay_alu instid0(VALU_DEP_2)
	v_cmpx_ne_u16_e32 0, v119
	s_cbranch_execz .LBB307_258
; %bb.251:                              ;   in Loop: Header=BB307_10 Depth=1
	s_delay_alu instid0(VALU_DEP_2) | instskip(SKIP_2) | instid1(VALU_DEP_2)
	v_and_b32_e32 v8, 0xff, v118
	v_bfrev_b32_e32 v117, 1
	s_mov_b32 s19, exec_lo
	v_cmpx_ne_u16_e32 0x80, v8
	s_cbranch_execz .LBB307_257
; %bb.252:                              ;   in Loop: Header=BB307_10 Depth=1
	v_and_b32_e32 v119, 0x7f, v118
	v_mov_b32_e32 v117, 0x7fc02000
	s_mov_b32 s20, exec_lo
	s_delay_alu instid0(VALU_DEP_2)
	v_cmpx_ne_u32_e32 0x7f, v119
	s_cbranch_execz .LBB307_256
; %bb.253:                              ;   in Loop: Header=BB307_10 Depth=1
	v_and_b32_e32 v8, 7, v118
	v_lshrrev_b32_e32 v117, 3, v119
	s_mov_b32 s21, exec_lo
	v_cmpx_gt_u32_e32 8, v119
; %bb.254:                              ;   in Loop: Header=BB307_10 Depth=1
	s_delay_alu instid0(VALU_DEP_3) | instskip(NEXT) | instid1(VALU_DEP_1)
	v_clz_i32_u32_e32 v117, v8
	v_min_u32_e32 v117, 32, v117
	s_delay_alu instid0(VALU_DEP_1) | instskip(SKIP_1) | instid1(VALU_DEP_2)
	v_subrev_nc_u32_e32 v119, 28, v117
	v_sub_nc_u32_e32 v117, 29, v117
	v_lshlrev_b64 v[128:129], v119, v[8:9]
	s_delay_alu instid0(VALU_DEP_1)
	v_and_b32_e32 v8, 7, v128
; %bb.255:                              ;   in Loop: Header=BB307_10 Depth=1
	s_or_b32 exec_lo, exec_lo, s21
	v_lshlrev_b32_e32 v119, 8, v118
	v_lshl_add_u32 v117, v117, 10, 0x2000
	s_delay_alu instid0(VALU_DEP_1) | instskip(NEXT) | instid1(VALU_DEP_1)
	v_and_or_b32 v117, 0x8000, v119, v117
	v_lshl_or_b32 v8, v8, 7, v117
	s_delay_alu instid0(VALU_DEP_1)
	v_cvt_f32_f16_e32 v117, v8
.LBB307_256:                            ;   in Loop: Header=BB307_10 Depth=1
	s_or_b32 exec_lo, exec_lo, s20
.LBB307_257:                            ;   in Loop: Header=BB307_10 Depth=1
	s_delay_alu instid0(SALU_CYCLE_1)
	s_or_b32 exec_lo, exec_lo, s19
.LBB307_258:                            ;   in Loop: Header=BB307_10 Depth=1
	s_delay_alu instid0(SALU_CYCLE_1) | instskip(NEXT) | instid1(VALU_DEP_2)
	s_or_b32 exec_lo, exec_lo, s3
	v_lshrrev_b16 v8, 8, v118
	v_dual_mov_b32 v119, 0 :: v_dual_mov_b32 v118, 0
	s_mov_b32 s3, exec_lo
	s_delay_alu instid0(VALU_DEP_2)
	v_cmpx_ne_u16_e32 0, v8
	s_cbranch_execz .LBB307_266
; %bb.259:                              ;   in Loop: Header=BB307_10 Depth=1
	v_bfrev_b32_e32 v118, 1
	s_mov_b32 s19, exec_lo
	v_cmpx_ne_u16_e32 0x80, v8
	s_cbranch_execz .LBB307_265
; %bb.260:                              ;   in Loop: Header=BB307_10 Depth=1
	v_and_b32_e32 v128, 0xffff, v8
	v_mov_b32_e32 v118, 0x7fc02000
	s_mov_b32 s20, exec_lo
	s_delay_alu instid0(VALU_DEP_2) | instskip(NEXT) | instid1(VALU_DEP_1)
	v_and_b32_e32 v129, 0x7f, v128
	v_cmpx_ne_u32_e32 0x7f, v129
	s_cbranch_execz .LBB307_264
; %bb.261:                              ;   in Loop: Header=BB307_10 Depth=1
	v_and_b32_e32 v8, 7, v128
	v_lshrrev_b32_e32 v118, 3, v129
	s_mov_b32 s21, exec_lo
	v_cmpx_gt_u32_e32 8, v129
; %bb.262:                              ;   in Loop: Header=BB307_10 Depth=1
	s_delay_alu instid0(VALU_DEP_3) | instskip(NEXT) | instid1(VALU_DEP_1)
	v_clz_i32_u32_e32 v118, v8
	v_min_u32_e32 v118, 32, v118
	s_delay_alu instid0(VALU_DEP_1) | instskip(SKIP_1) | instid1(VALU_DEP_2)
	v_subrev_nc_u32_e32 v129, 28, v118
	v_sub_nc_u32_e32 v118, 29, v118
	v_lshlrev_b64 v[129:130], v129, v[8:9]
	s_delay_alu instid0(VALU_DEP_1)
	v_and_b32_e32 v8, 7, v129
; %bb.263:                              ;   in Loop: Header=BB307_10 Depth=1
	s_or_b32 exec_lo, exec_lo, s21
	v_lshlrev_b32_e32 v128, 8, v128
	v_lshl_add_u32 v118, v118, 10, 0x2000
	s_delay_alu instid0(VALU_DEP_1) | instskip(NEXT) | instid1(VALU_DEP_1)
	v_and_or_b32 v118, 0x8000, v128, v118
	v_lshl_or_b32 v8, v8, 7, v118
	s_delay_alu instid0(VALU_DEP_1)
	v_cvt_f32_f16_e32 v118, v8
.LBB307_264:                            ;   in Loop: Header=BB307_10 Depth=1
	s_or_b32 exec_lo, exec_lo, s20
.LBB307_265:                            ;   in Loop: Header=BB307_10 Depth=1
	s_delay_alu instid0(SALU_CYCLE_1)
	s_or_b32 exec_lo, exec_lo, s19
.LBB307_266:                            ;   in Loop: Header=BB307_10 Depth=1
	s_delay_alu instid0(SALU_CYCLE_1)
	s_or_b32 exec_lo, exec_lo, s3
	flat_load_u16 v8, v[28:29] offset:1024
	s_mov_b32 s3, exec_lo
	s_waitcnt vmcnt(0) lgkmcnt(0)
	v_and_b32_e32 v129, 0xff, v8
	v_and_b32_e32 v128, 0xffff, v8
	s_delay_alu instid0(VALU_DEP_2)
	v_cmpx_ne_u16_e64 0, v129
	s_cbranch_execz .LBB307_274
; %bb.267:                              ;   in Loop: Header=BB307_10 Depth=1
	s_delay_alu instid0(VALU_DEP_2) | instskip(SKIP_2) | instid1(VALU_DEP_2)
	v_and_b32_e32 v8, 0xff, v128
	v_bfrev_b32_e32 v119, 1
	s_mov_b32 s19, exec_lo
	v_cmpx_ne_u16_e32 0x80, v8
	s_cbranch_execz .LBB307_273
; %bb.268:                              ;   in Loop: Header=BB307_10 Depth=1
	v_and_b32_e32 v129, 0x7f, v128
	v_mov_b32_e32 v119, 0x7fc02000
	s_mov_b32 s20, exec_lo
	s_delay_alu instid0(VALU_DEP_2)
	v_cmpx_ne_u32_e32 0x7f, v129
	s_cbranch_execz .LBB307_272
; %bb.269:                              ;   in Loop: Header=BB307_10 Depth=1
	v_and_b32_e32 v8, 7, v128
	v_lshrrev_b32_e32 v119, 3, v129
	s_mov_b32 s21, exec_lo
	v_cmpx_gt_u32_e32 8, v129
; %bb.270:                              ;   in Loop: Header=BB307_10 Depth=1
	s_delay_alu instid0(VALU_DEP_3) | instskip(NEXT) | instid1(VALU_DEP_1)
	v_clz_i32_u32_e32 v119, v8
	v_min_u32_e32 v119, 32, v119
	s_delay_alu instid0(VALU_DEP_1) | instskip(SKIP_1) | instid1(VALU_DEP_2)
	v_subrev_nc_u32_e32 v129, 28, v119
	v_sub_nc_u32_e32 v119, 29, v119
	v_lshlrev_b64 v[129:130], v129, v[8:9]
	s_delay_alu instid0(VALU_DEP_1)
	v_and_b32_e32 v8, 7, v129
; %bb.271:                              ;   in Loop: Header=BB307_10 Depth=1
	s_or_b32 exec_lo, exec_lo, s21
	v_lshlrev_b32_e32 v129, 8, v128
	v_lshl_add_u32 v119, v119, 10, 0x2000
	s_delay_alu instid0(VALU_DEP_1) | instskip(NEXT) | instid1(VALU_DEP_1)
	v_and_or_b32 v119, 0x8000, v129, v119
	v_lshl_or_b32 v8, v8, 7, v119
	s_delay_alu instid0(VALU_DEP_1)
	v_cvt_f32_f16_e32 v119, v8
.LBB307_272:                            ;   in Loop: Header=BB307_10 Depth=1
	s_or_b32 exec_lo, exec_lo, s20
.LBB307_273:                            ;   in Loop: Header=BB307_10 Depth=1
	s_delay_alu instid0(SALU_CYCLE_1)
	s_or_b32 exec_lo, exec_lo, s19
.LBB307_274:                            ;   in Loop: Header=BB307_10 Depth=1
	s_delay_alu instid0(SALU_CYCLE_1) | instskip(NEXT) | instid1(VALU_DEP_2)
	s_or_b32 exec_lo, exec_lo, s3
	v_lshrrev_b16 v8, 8, v128
	v_dual_mov_b32 v129, 0 :: v_dual_mov_b32 v128, 0
	s_mov_b32 s3, exec_lo
	s_delay_alu instid0(VALU_DEP_2)
	v_cmpx_ne_u16_e32 0, v8
	s_cbranch_execz .LBB307_282
; %bb.275:                              ;   in Loop: Header=BB307_10 Depth=1
	v_bfrev_b32_e32 v128, 1
	s_mov_b32 s19, exec_lo
	v_cmpx_ne_u16_e32 0x80, v8
	s_cbranch_execz .LBB307_281
; %bb.276:                              ;   in Loop: Header=BB307_10 Depth=1
	v_and_b32_e32 v130, 0xffff, v8
	v_mov_b32_e32 v128, 0x7fc02000
	s_mov_b32 s20, exec_lo
	s_delay_alu instid0(VALU_DEP_2) | instskip(NEXT) | instid1(VALU_DEP_1)
	v_and_b32_e32 v131, 0x7f, v130
	v_cmpx_ne_u32_e32 0x7f, v131
	s_cbranch_execz .LBB307_280
; %bb.277:                              ;   in Loop: Header=BB307_10 Depth=1
	v_and_b32_e32 v8, 7, v130
	v_lshrrev_b32_e32 v128, 3, v131
	s_mov_b32 s21, exec_lo
	v_cmpx_gt_u32_e32 8, v131
; %bb.278:                              ;   in Loop: Header=BB307_10 Depth=1
	s_delay_alu instid0(VALU_DEP_3) | instskip(NEXT) | instid1(VALU_DEP_1)
	v_clz_i32_u32_e32 v128, v8
	v_min_u32_e32 v128, 32, v128
	s_delay_alu instid0(VALU_DEP_1) | instskip(SKIP_1) | instid1(VALU_DEP_2)
	v_subrev_nc_u32_e32 v131, 28, v128
	v_sub_nc_u32_e32 v128, 29, v128
	v_lshlrev_b64 v[131:132], v131, v[8:9]
	s_delay_alu instid0(VALU_DEP_1)
	v_and_b32_e32 v8, 7, v131
; %bb.279:                              ;   in Loop: Header=BB307_10 Depth=1
	s_or_b32 exec_lo, exec_lo, s21
	v_lshlrev_b32_e32 v130, 8, v130
	v_lshl_add_u32 v128, v128, 10, 0x2000
	s_delay_alu instid0(VALU_DEP_1) | instskip(NEXT) | instid1(VALU_DEP_1)
	v_and_or_b32 v128, 0x8000, v130, v128
	v_lshl_or_b32 v8, v8, 7, v128
	s_delay_alu instid0(VALU_DEP_1)
	v_cvt_f32_f16_e64 v128, v8
.LBB307_280:                            ;   in Loop: Header=BB307_10 Depth=1
	s_or_b32 exec_lo, exec_lo, s20
.LBB307_281:                            ;   in Loop: Header=BB307_10 Depth=1
	s_delay_alu instid0(SALU_CYCLE_1)
	s_or_b32 exec_lo, exec_lo, s19
.LBB307_282:                            ;   in Loop: Header=BB307_10 Depth=1
	s_delay_alu instid0(SALU_CYCLE_1)
	s_or_b32 exec_lo, exec_lo, s3
	flat_load_u16 v8, v[28:29] offset:1032
	s_mov_b32 s3, exec_lo
	s_waitcnt vmcnt(0) lgkmcnt(0)
	v_and_b32_e32 v131, 0xff, v8
	v_and_b32_e32 v130, 0xffff, v8
	s_delay_alu instid0(VALU_DEP_2)
	v_cmpx_ne_u16_e64 0, v131
	s_cbranch_execz .LBB307_290
; %bb.283:                              ;   in Loop: Header=BB307_10 Depth=1
	s_delay_alu instid0(VALU_DEP_2) | instskip(SKIP_2) | instid1(VALU_DEP_2)
	v_and_b32_e32 v8, 0xff, v130
	v_bfrev_b32_e32 v129, 1
	s_mov_b32 s19, exec_lo
	v_cmpx_ne_u16_e32 0x80, v8
	s_cbranch_execz .LBB307_289
; %bb.284:                              ;   in Loop: Header=BB307_10 Depth=1
	v_and_b32_e32 v131, 0x7f, v130
	v_mov_b32_e32 v129, 0x7fc02000
	s_mov_b32 s20, exec_lo
	s_delay_alu instid0(VALU_DEP_2)
	v_cmpx_ne_u32_e32 0x7f, v131
	s_cbranch_execz .LBB307_288
; %bb.285:                              ;   in Loop: Header=BB307_10 Depth=1
	v_and_b32_e32 v8, 7, v130
	v_lshrrev_b32_e32 v129, 3, v131
	s_mov_b32 s21, exec_lo
	v_cmpx_gt_u32_e32 8, v131
; %bb.286:                              ;   in Loop: Header=BB307_10 Depth=1
	s_delay_alu instid0(VALU_DEP_3) | instskip(NEXT) | instid1(VALU_DEP_1)
	v_clz_i32_u32_e32 v129, v8
	v_min_u32_e32 v129, 32, v129
	s_delay_alu instid0(VALU_DEP_1) | instskip(SKIP_1) | instid1(VALU_DEP_2)
	v_subrev_nc_u32_e32 v131, 28, v129
	v_sub_nc_u32_e32 v129, 29, v129
	v_lshlrev_b64 v[131:132], v131, v[8:9]
	s_delay_alu instid0(VALU_DEP_1)
	v_and_b32_e32 v8, 7, v131
; %bb.287:                              ;   in Loop: Header=BB307_10 Depth=1
	s_or_b32 exec_lo, exec_lo, s21
	v_lshlrev_b32_e32 v131, 8, v130
	v_lshl_add_u32 v129, v129, 10, 0x2000
	s_delay_alu instid0(VALU_DEP_1) | instskip(NEXT) | instid1(VALU_DEP_1)
	v_and_or_b32 v129, 0x8000, v131, v129
	v_lshl_or_b32 v8, v8, 7, v129
	s_delay_alu instid0(VALU_DEP_1)
	v_cvt_f32_f16_e64 v129, v8
.LBB307_288:                            ;   in Loop: Header=BB307_10 Depth=1
	s_or_b32 exec_lo, exec_lo, s20
.LBB307_289:                            ;   in Loop: Header=BB307_10 Depth=1
	s_delay_alu instid0(SALU_CYCLE_1)
	s_or_b32 exec_lo, exec_lo, s19
.LBB307_290:                            ;   in Loop: Header=BB307_10 Depth=1
	s_delay_alu instid0(SALU_CYCLE_1) | instskip(NEXT) | instid1(VALU_DEP_2)
	s_or_b32 exec_lo, exec_lo, s3
	v_lshrrev_b16 v8, 8, v130
	v_dual_mov_b32 v131, 0 :: v_dual_mov_b32 v130, 0
	s_mov_b32 s3, exec_lo
	s_delay_alu instid0(VALU_DEP_2)
	v_cmpx_ne_u16_e32 0, v8
	s_cbranch_execz .LBB307_298
; %bb.291:                              ;   in Loop: Header=BB307_10 Depth=1
	v_bfrev_b32_e32 v130, 1
	s_mov_b32 s19, exec_lo
	v_cmpx_ne_u16_e32 0x80, v8
	s_cbranch_execz .LBB307_297
; %bb.292:                              ;   in Loop: Header=BB307_10 Depth=1
	v_and_b32_e32 v132, 0xffff, v8
	v_mov_b32_e32 v130, 0x7fc02000
	s_mov_b32 s20, exec_lo
	s_delay_alu instid0(VALU_DEP_2) | instskip(NEXT) | instid1(VALU_DEP_1)
	v_and_b32_e32 v133, 0x7f, v132
	v_cmpx_ne_u32_e32 0x7f, v133
	s_cbranch_execz .LBB307_296
; %bb.293:                              ;   in Loop: Header=BB307_10 Depth=1
	v_and_b32_e32 v8, 7, v132
	v_lshrrev_b32_e32 v130, 3, v133
	s_mov_b32 s21, exec_lo
	v_cmpx_gt_u32_e32 8, v133
; %bb.294:                              ;   in Loop: Header=BB307_10 Depth=1
	s_delay_alu instid0(VALU_DEP_3) | instskip(NEXT) | instid1(VALU_DEP_1)
	v_clz_i32_u32_e32 v130, v8
	v_min_u32_e32 v130, 32, v130
	s_delay_alu instid0(VALU_DEP_1) | instskip(SKIP_1) | instid1(VALU_DEP_2)
	v_subrev_nc_u32_e32 v133, 28, v130
	v_sub_nc_u32_e32 v130, 29, v130
	v_lshlrev_b64 v[133:134], v133, v[8:9]
	s_delay_alu instid0(VALU_DEP_1)
	v_and_b32_e32 v8, 7, v133
; %bb.295:                              ;   in Loop: Header=BB307_10 Depth=1
	s_or_b32 exec_lo, exec_lo, s21
	v_lshlrev_b32_e32 v132, 8, v132
	v_lshl_add_u32 v130, v130, 10, 0x2000
	s_delay_alu instid0(VALU_DEP_1) | instskip(NEXT) | instid1(VALU_DEP_1)
	v_and_or_b32 v130, 0x8000, v132, v130
	v_lshl_or_b32 v8, v8, 7, v130
	s_delay_alu instid0(VALU_DEP_1)
	v_cvt_f32_f16_e64 v130, v8
.LBB307_296:                            ;   in Loop: Header=BB307_10 Depth=1
	s_or_b32 exec_lo, exec_lo, s20
.LBB307_297:                            ;   in Loop: Header=BB307_10 Depth=1
	s_delay_alu instid0(SALU_CYCLE_1)
	s_or_b32 exec_lo, exec_lo, s19
.LBB307_298:                            ;   in Loop: Header=BB307_10 Depth=1
	s_delay_alu instid0(SALU_CYCLE_1)
	s_or_b32 exec_lo, exec_lo, s3
	flat_load_u16 v8, v[28:29] offset:1152
	s_mov_b32 s3, exec_lo
	s_waitcnt vmcnt(0) lgkmcnt(0)
	v_and_b32_e32 v133, 0xff, v8
	v_and_b32_e32 v132, 0xffff, v8
	s_delay_alu instid0(VALU_DEP_2)
	v_cmpx_ne_u16_e64 0, v133
	s_cbranch_execz .LBB307_306
; %bb.299:                              ;   in Loop: Header=BB307_10 Depth=1
	s_delay_alu instid0(VALU_DEP_2) | instskip(SKIP_2) | instid1(VALU_DEP_2)
	v_and_b32_e32 v8, 0xff, v132
	v_bfrev_b32_e32 v131, 1
	s_mov_b32 s19, exec_lo
	v_cmpx_ne_u16_e32 0x80, v8
	s_cbranch_execz .LBB307_305
; %bb.300:                              ;   in Loop: Header=BB307_10 Depth=1
	v_and_b32_e32 v133, 0x7f, v132
	v_mov_b32_e32 v131, 0x7fc02000
	s_mov_b32 s20, exec_lo
	s_delay_alu instid0(VALU_DEP_2)
	v_cmpx_ne_u32_e32 0x7f, v133
	s_cbranch_execz .LBB307_304
; %bb.301:                              ;   in Loop: Header=BB307_10 Depth=1
	v_and_b32_e32 v8, 7, v132
	v_lshrrev_b32_e32 v131, 3, v133
	s_mov_b32 s21, exec_lo
	v_cmpx_gt_u32_e32 8, v133
; %bb.302:                              ;   in Loop: Header=BB307_10 Depth=1
	s_delay_alu instid0(VALU_DEP_3) | instskip(NEXT) | instid1(VALU_DEP_1)
	v_clz_i32_u32_e32 v131, v8
	v_min_u32_e32 v131, 32, v131
	s_delay_alu instid0(VALU_DEP_1) | instskip(SKIP_1) | instid1(VALU_DEP_2)
	v_subrev_nc_u32_e32 v133, 28, v131
	v_sub_nc_u32_e32 v131, 29, v131
	v_lshlrev_b64 v[133:134], v133, v[8:9]
	s_delay_alu instid0(VALU_DEP_1)
	v_and_b32_e32 v8, 7, v133
; %bb.303:                              ;   in Loop: Header=BB307_10 Depth=1
	s_or_b32 exec_lo, exec_lo, s21
	v_lshlrev_b32_e32 v133, 8, v132
	v_lshl_add_u32 v131, v131, 10, 0x2000
	s_delay_alu instid0(VALU_DEP_1) | instskip(NEXT) | instid1(VALU_DEP_1)
	v_and_or_b32 v131, 0x8000, v133, v131
	v_lshl_or_b32 v8, v8, 7, v131
	s_delay_alu instid0(VALU_DEP_1)
	v_cvt_f32_f16_e64 v131, v8
.LBB307_304:                            ;   in Loop: Header=BB307_10 Depth=1
	s_or_b32 exec_lo, exec_lo, s20
.LBB307_305:                            ;   in Loop: Header=BB307_10 Depth=1
	s_delay_alu instid0(SALU_CYCLE_1)
	s_or_b32 exec_lo, exec_lo, s19
.LBB307_306:                            ;   in Loop: Header=BB307_10 Depth=1
	s_delay_alu instid0(SALU_CYCLE_1) | instskip(NEXT) | instid1(VALU_DEP_2)
	s_or_b32 exec_lo, exec_lo, s3
	v_lshrrev_b16 v8, 8, v132
	v_dual_mov_b32 v133, 0 :: v_dual_mov_b32 v132, 0
	s_mov_b32 s3, exec_lo
	s_delay_alu instid0(VALU_DEP_2)
	v_cmpx_ne_u16_e32 0, v8
	s_cbranch_execz .LBB307_314
; %bb.307:                              ;   in Loop: Header=BB307_10 Depth=1
	v_bfrev_b32_e32 v132, 1
	s_mov_b32 s19, exec_lo
	v_cmpx_ne_u16_e32 0x80, v8
	s_cbranch_execz .LBB307_313
; %bb.308:                              ;   in Loop: Header=BB307_10 Depth=1
	v_and_b32_e32 v134, 0xffff, v8
	v_mov_b32_e32 v132, 0x7fc02000
	s_mov_b32 s20, exec_lo
	s_delay_alu instid0(VALU_DEP_2) | instskip(NEXT) | instid1(VALU_DEP_1)
	v_and_b32_e32 v135, 0x7f, v134
	v_cmpx_ne_u32_e32 0x7f, v135
	s_cbranch_execz .LBB307_312
; %bb.309:                              ;   in Loop: Header=BB307_10 Depth=1
	v_and_b32_e32 v8, 7, v134
	v_lshrrev_b32_e32 v132, 3, v135
	s_mov_b32 s21, exec_lo
	v_cmpx_gt_u32_e32 8, v135
; %bb.310:                              ;   in Loop: Header=BB307_10 Depth=1
	s_delay_alu instid0(VALU_DEP_3) | instskip(NEXT) | instid1(VALU_DEP_1)
	v_clz_i32_u32_e32 v132, v8
	v_min_u32_e32 v132, 32, v132
	s_delay_alu instid0(VALU_DEP_1) | instskip(SKIP_1) | instid1(VALU_DEP_2)
	v_subrev_nc_u32_e32 v135, 28, v132
	v_sub_nc_u32_e32 v132, 29, v132
	v_lshlrev_b64 v[144:145], v135, v[8:9]
	s_delay_alu instid0(VALU_DEP_1)
	v_and_b32_e32 v8, 7, v144
; %bb.311:                              ;   in Loop: Header=BB307_10 Depth=1
	s_or_b32 exec_lo, exec_lo, s21
	v_lshlrev_b32_e32 v134, 8, v134
	v_lshl_add_u32 v132, v132, 10, 0x2000
	s_delay_alu instid0(VALU_DEP_1) | instskip(NEXT) | instid1(VALU_DEP_1)
	v_and_or_b32 v132, 0x8000, v134, v132
	v_lshl_or_b32 v8, v8, 7, v132
	s_delay_alu instid0(VALU_DEP_1)
	v_cvt_f32_f16_e64 v132, v8
.LBB307_312:                            ;   in Loop: Header=BB307_10 Depth=1
	s_or_b32 exec_lo, exec_lo, s20
.LBB307_313:                            ;   in Loop: Header=BB307_10 Depth=1
	s_delay_alu instid0(SALU_CYCLE_1)
	s_or_b32 exec_lo, exec_lo, s19
.LBB307_314:                            ;   in Loop: Header=BB307_10 Depth=1
	s_delay_alu instid0(SALU_CYCLE_1)
	s_or_b32 exec_lo, exec_lo, s3
	flat_load_u16 v8, v[28:29] offset:1160
	s_mov_b32 s3, exec_lo
	s_waitcnt vmcnt(0) lgkmcnt(0)
	v_and_b32_e32 v135, 0xff, v8
	v_and_b32_e32 v134, 0xffff, v8
	s_delay_alu instid0(VALU_DEP_2)
	v_cmpx_ne_u16_e64 0, v135
	s_cbranch_execz .LBB307_322
; %bb.315:                              ;   in Loop: Header=BB307_10 Depth=1
	s_delay_alu instid0(VALU_DEP_2) | instskip(SKIP_2) | instid1(VALU_DEP_2)
	v_and_b32_e32 v8, 0xff, v134
	v_bfrev_b32_e32 v133, 1
	s_mov_b32 s19, exec_lo
	v_cmpx_ne_u16_e32 0x80, v8
	s_cbranch_execz .LBB307_321
; %bb.316:                              ;   in Loop: Header=BB307_10 Depth=1
	v_and_b32_e32 v135, 0x7f, v134
	v_mov_b32_e32 v133, 0x7fc02000
	s_mov_b32 s20, exec_lo
	s_delay_alu instid0(VALU_DEP_2)
	v_cmpx_ne_u32_e32 0x7f, v135
	s_cbranch_execz .LBB307_320
; %bb.317:                              ;   in Loop: Header=BB307_10 Depth=1
	v_and_b32_e32 v8, 7, v134
	v_lshrrev_b32_e32 v133, 3, v135
	s_mov_b32 s21, exec_lo
	v_cmpx_gt_u32_e32 8, v135
; %bb.318:                              ;   in Loop: Header=BB307_10 Depth=1
	s_delay_alu instid0(VALU_DEP_3) | instskip(NEXT) | instid1(VALU_DEP_1)
	v_clz_i32_u32_e32 v133, v8
	v_min_u32_e32 v133, 32, v133
	s_delay_alu instid0(VALU_DEP_1) | instskip(SKIP_1) | instid1(VALU_DEP_2)
	v_subrev_nc_u32_e32 v135, 28, v133
	v_sub_nc_u32_e32 v133, 29, v133
	v_lshlrev_b64 v[144:145], v135, v[8:9]
	s_delay_alu instid0(VALU_DEP_1)
	v_and_b32_e32 v8, 7, v144
; %bb.319:                              ;   in Loop: Header=BB307_10 Depth=1
	s_or_b32 exec_lo, exec_lo, s21
	v_lshlrev_b32_e32 v135, 8, v134
	v_lshl_add_u32 v133, v133, 10, 0x2000
	s_delay_alu instid0(VALU_DEP_1) | instskip(NEXT) | instid1(VALU_DEP_1)
	v_and_or_b32 v133, 0x8000, v135, v133
	v_lshl_or_b32 v8, v8, 7, v133
	s_delay_alu instid0(VALU_DEP_1)
	v_cvt_f32_f16_e64 v133, v8
.LBB307_320:                            ;   in Loop: Header=BB307_10 Depth=1
	s_or_b32 exec_lo, exec_lo, s20
.LBB307_321:                            ;   in Loop: Header=BB307_10 Depth=1
	s_delay_alu instid0(SALU_CYCLE_1)
	s_or_b32 exec_lo, exec_lo, s19
.LBB307_322:                            ;   in Loop: Header=BB307_10 Depth=1
	s_delay_alu instid0(SALU_CYCLE_1) | instskip(NEXT) | instid1(VALU_DEP_2)
	s_or_b32 exec_lo, exec_lo, s3
	v_lshrrev_b16 v8, 8, v134
	v_dual_mov_b32 v135, 0 :: v_dual_mov_b32 v134, 0
	s_mov_b32 s3, exec_lo
	s_delay_alu instid0(VALU_DEP_2)
	v_cmpx_ne_u16_e32 0, v8
	s_cbranch_execz .LBB307_330
; %bb.323:                              ;   in Loop: Header=BB307_10 Depth=1
	v_bfrev_b32_e32 v134, 1
	s_mov_b32 s19, exec_lo
	v_cmpx_ne_u16_e32 0x80, v8
	s_cbranch_execz .LBB307_329
; %bb.324:                              ;   in Loop: Header=BB307_10 Depth=1
	v_and_b32_e32 v144, 0xffff, v8
	v_mov_b32_e32 v134, 0x7fc02000
	s_mov_b32 s20, exec_lo
	s_delay_alu instid0(VALU_DEP_2) | instskip(NEXT) | instid1(VALU_DEP_1)
	v_and_b32_e32 v145, 0x7f, v144
	v_cmpx_ne_u32_e32 0x7f, v145
	s_cbranch_execz .LBB307_328
; %bb.325:                              ;   in Loop: Header=BB307_10 Depth=1
	v_and_b32_e32 v8, 7, v144
	v_lshrrev_b32_e32 v134, 3, v145
	s_mov_b32 s21, exec_lo
	v_cmpx_gt_u32_e32 8, v145
; %bb.326:                              ;   in Loop: Header=BB307_10 Depth=1
	s_delay_alu instid0(VALU_DEP_3) | instskip(NEXT) | instid1(VALU_DEP_1)
	v_clz_i32_u32_e32 v134, v8
	v_min_u32_e32 v134, 32, v134
	s_delay_alu instid0(VALU_DEP_1) | instskip(SKIP_1) | instid1(VALU_DEP_2)
	v_subrev_nc_u32_e32 v145, 28, v134
	v_sub_nc_u32_e32 v134, 29, v134
	v_lshlrev_b64 v[145:146], v145, v[8:9]
	s_delay_alu instid0(VALU_DEP_1)
	v_and_b32_e32 v8, 7, v145
; %bb.327:                              ;   in Loop: Header=BB307_10 Depth=1
	s_or_b32 exec_lo, exec_lo, s21
	v_lshlrev_b32_e32 v144, 8, v144
	v_lshl_add_u32 v134, v134, 10, 0x2000
	s_delay_alu instid0(VALU_DEP_1) | instskip(NEXT) | instid1(VALU_DEP_1)
	v_and_or_b32 v134, 0x8000, v144, v134
	v_lshl_or_b32 v8, v8, 7, v134
	s_delay_alu instid0(VALU_DEP_1)
	v_cvt_f32_f16_e64 v134, v8
.LBB307_328:                            ;   in Loop: Header=BB307_10 Depth=1
	s_or_b32 exec_lo, exec_lo, s20
.LBB307_329:                            ;   in Loop: Header=BB307_10 Depth=1
	s_delay_alu instid0(SALU_CYCLE_1)
	s_or_b32 exec_lo, exec_lo, s19
.LBB307_330:                            ;   in Loop: Header=BB307_10 Depth=1
	s_delay_alu instid0(SALU_CYCLE_1)
	s_or_b32 exec_lo, exec_lo, s3
	flat_load_u16 v8, v[28:29] offset:1280
	s_mov_b32 s3, exec_lo
	s_waitcnt vmcnt(0) lgkmcnt(0)
	v_and_b32_e32 v145, 0xff, v8
	v_and_b32_e32 v144, 0xffff, v8
	s_delay_alu instid0(VALU_DEP_2)
	v_cmpx_ne_u16_e64 0, v145
	s_cbranch_execz .LBB307_338
; %bb.331:                              ;   in Loop: Header=BB307_10 Depth=1
	s_delay_alu instid0(VALU_DEP_2) | instskip(SKIP_2) | instid1(VALU_DEP_2)
	v_and_b32_e32 v8, 0xff, v144
	v_bfrev_b32_e32 v135, 1
	s_mov_b32 s19, exec_lo
	v_cmpx_ne_u16_e32 0x80, v8
	s_cbranch_execz .LBB307_337
; %bb.332:                              ;   in Loop: Header=BB307_10 Depth=1
	v_and_b32_e32 v145, 0x7f, v144
	v_mov_b32_e32 v135, 0x7fc02000
	s_mov_b32 s20, exec_lo
	s_delay_alu instid0(VALU_DEP_2)
	v_cmpx_ne_u32_e32 0x7f, v145
	s_cbranch_execz .LBB307_336
; %bb.333:                              ;   in Loop: Header=BB307_10 Depth=1
	v_and_b32_e32 v8, 7, v144
	v_lshrrev_b32_e32 v135, 3, v145
	s_mov_b32 s21, exec_lo
	v_cmpx_gt_u32_e32 8, v145
; %bb.334:                              ;   in Loop: Header=BB307_10 Depth=1
	s_delay_alu instid0(VALU_DEP_3) | instskip(NEXT) | instid1(VALU_DEP_1)
	v_clz_i32_u32_e32 v135, v8
	v_min_u32_e32 v135, 32, v135
	s_delay_alu instid0(VALU_DEP_1) | instskip(SKIP_1) | instid1(VALU_DEP_2)
	v_subrev_nc_u32_e32 v145, 28, v135
	v_sub_nc_u32_e32 v135, 29, v135
	v_lshlrev_b64 v[145:146], v145, v[8:9]
	s_delay_alu instid0(VALU_DEP_1)
	v_and_b32_e32 v8, 7, v145
; %bb.335:                              ;   in Loop: Header=BB307_10 Depth=1
	s_or_b32 exec_lo, exec_lo, s21
	v_lshlrev_b32_e32 v145, 8, v144
	v_lshl_add_u32 v135, v135, 10, 0x2000
	s_delay_alu instid0(VALU_DEP_1) | instskip(NEXT) | instid1(VALU_DEP_1)
	v_and_or_b32 v135, 0x8000, v145, v135
	v_lshl_or_b32 v8, v8, 7, v135
	s_delay_alu instid0(VALU_DEP_1)
	v_cvt_f32_f16_e64 v135, v8
.LBB307_336:                            ;   in Loop: Header=BB307_10 Depth=1
	s_or_b32 exec_lo, exec_lo, s20
.LBB307_337:                            ;   in Loop: Header=BB307_10 Depth=1
	s_delay_alu instid0(SALU_CYCLE_1)
	s_or_b32 exec_lo, exec_lo, s19
.LBB307_338:                            ;   in Loop: Header=BB307_10 Depth=1
	s_delay_alu instid0(SALU_CYCLE_1) | instskip(NEXT) | instid1(VALU_DEP_2)
	s_or_b32 exec_lo, exec_lo, s3
	v_lshrrev_b16 v8, 8, v144
	v_dual_mov_b32 v144, 0 :: v_dual_mov_b32 v147, 0
	s_mov_b32 s3, exec_lo
	s_delay_alu instid0(VALU_DEP_2)
	v_cmpx_ne_u16_e32 0, v8
	s_cbranch_execz .LBB307_346
; %bb.339:                              ;   in Loop: Header=BB307_10 Depth=1
	v_bfrev_b32_e32 v147, 1
	s_mov_b32 s19, exec_lo
	v_cmpx_ne_u16_e32 0x80, v8
	s_cbranch_execz .LBB307_345
; %bb.340:                              ;   in Loop: Header=BB307_10 Depth=1
	v_and_b32_e32 v145, 0xffff, v8
	v_mov_b32_e32 v147, 0x7fc02000
	s_mov_b32 s20, exec_lo
	s_delay_alu instid0(VALU_DEP_2) | instskip(NEXT) | instid1(VALU_DEP_1)
	v_and_b32_e32 v148, 0x7f, v145
	v_cmpx_ne_u32_e32 0x7f, v148
	s_cbranch_execz .LBB307_344
; %bb.341:                              ;   in Loop: Header=BB307_10 Depth=1
	v_and_b32_e32 v8, 7, v145
	v_lshrrev_b32_e32 v146, 3, v148
	s_mov_b32 s21, exec_lo
	v_cmpx_gt_u32_e32 8, v148
; %bb.342:                              ;   in Loop: Header=BB307_10 Depth=1
	s_delay_alu instid0(VALU_DEP_3) | instskip(NEXT) | instid1(VALU_DEP_1)
	v_clz_i32_u32_e32 v146, v8
	v_min_u32_e32 v146, 32, v146
	s_delay_alu instid0(VALU_DEP_1) | instskip(SKIP_1) | instid1(VALU_DEP_2)
	v_subrev_nc_u32_e32 v147, 28, v146
	v_sub_nc_u32_e32 v146, 29, v146
	v_lshlrev_b64 v[147:148], v147, v[8:9]
	s_delay_alu instid0(VALU_DEP_1)
	v_and_b32_e32 v8, 7, v147
; %bb.343:                              ;   in Loop: Header=BB307_10 Depth=1
	s_or_b32 exec_lo, exec_lo, s21
	v_lshlrev_b32_e32 v145, 8, v145
	v_lshl_add_u32 v146, v146, 10, 0x2000
	s_delay_alu instid0(VALU_DEP_1) | instskip(NEXT) | instid1(VALU_DEP_1)
	v_and_or_b32 v145, 0x8000, v145, v146
	v_lshl_or_b32 v8, v8, 7, v145
	s_delay_alu instid0(VALU_DEP_1)
	v_cvt_f32_f16_e64 v147, v8
.LBB307_344:                            ;   in Loop: Header=BB307_10 Depth=1
	s_or_b32 exec_lo, exec_lo, s20
.LBB307_345:                            ;   in Loop: Header=BB307_10 Depth=1
	s_delay_alu instid0(SALU_CYCLE_1)
	s_or_b32 exec_lo, exec_lo, s19
.LBB307_346:                            ;   in Loop: Header=BB307_10 Depth=1
	s_delay_alu instid0(SALU_CYCLE_1)
	s_or_b32 exec_lo, exec_lo, s3
	flat_load_u16 v8, v[28:29] offset:1288
	s_mov_b32 s3, exec_lo
	s_waitcnt vmcnt(0) lgkmcnt(0)
	v_and_b32_e32 v146, 0xff, v8
	v_and_b32_e32 v145, 0xffff, v8
	s_delay_alu instid0(VALU_DEP_2)
	v_cmpx_ne_u16_e64 0, v146
	s_cbranch_execz .LBB307_354
; %bb.347:                              ;   in Loop: Header=BB307_10 Depth=1
	s_delay_alu instid0(VALU_DEP_2) | instskip(SKIP_2) | instid1(VALU_DEP_2)
	v_and_b32_e32 v8, 0xff, v145
	v_bfrev_b32_e32 v144, 1
	s_mov_b32 s19, exec_lo
	v_cmpx_ne_u16_e32 0x80, v8
	s_cbranch_execz .LBB307_353
; %bb.348:                              ;   in Loop: Header=BB307_10 Depth=1
	v_and_b32_e32 v146, 0x7f, v145
	v_mov_b32_e32 v144, 0x7fc02000
	s_mov_b32 s20, exec_lo
	s_delay_alu instid0(VALU_DEP_2)
	v_cmpx_ne_u32_e32 0x7f, v146
	s_cbranch_execz .LBB307_352
; %bb.349:                              ;   in Loop: Header=BB307_10 Depth=1
	v_and_b32_e32 v8, 7, v145
	v_lshrrev_b32_e32 v144, 3, v146
	s_mov_b32 s21, exec_lo
	v_cmpx_gt_u32_e32 8, v146
; %bb.350:                              ;   in Loop: Header=BB307_10 Depth=1
	s_delay_alu instid0(VALU_DEP_3) | instskip(NEXT) | instid1(VALU_DEP_1)
	v_clz_i32_u32_e32 v144, v8
	v_min_u32_e32 v144, 32, v144
	s_delay_alu instid0(VALU_DEP_1) | instskip(SKIP_1) | instid1(VALU_DEP_2)
	v_subrev_nc_u32_e32 v146, 28, v144
	v_sub_nc_u32_e32 v144, 29, v144
	v_lshlrev_b64 v[148:149], v146, v[8:9]
	s_delay_alu instid0(VALU_DEP_1)
	v_and_b32_e32 v8, 7, v148
; %bb.351:                              ;   in Loop: Header=BB307_10 Depth=1
	s_or_b32 exec_lo, exec_lo, s21
	v_lshlrev_b32_e32 v146, 8, v145
	v_lshl_add_u32 v144, v144, 10, 0x2000
	s_delay_alu instid0(VALU_DEP_1) | instskip(NEXT) | instid1(VALU_DEP_1)
	v_and_or_b32 v144, 0x8000, v146, v144
	v_lshl_or_b32 v8, v8, 7, v144
	s_delay_alu instid0(VALU_DEP_1)
	v_cvt_f32_f16_e64 v144, v8
.LBB307_352:                            ;   in Loop: Header=BB307_10 Depth=1
	s_or_b32 exec_lo, exec_lo, s20
.LBB307_353:                            ;   in Loop: Header=BB307_10 Depth=1
	s_delay_alu instid0(SALU_CYCLE_1)
	s_or_b32 exec_lo, exec_lo, s19
.LBB307_354:                            ;   in Loop: Header=BB307_10 Depth=1
	s_delay_alu instid0(SALU_CYCLE_1) | instskip(NEXT) | instid1(VALU_DEP_2)
	s_or_b32 exec_lo, exec_lo, s3
	v_lshrrev_b16 v8, 8, v145
	v_dual_mov_b32 v145, 0 :: v_dual_mov_b32 v146, 0
	s_mov_b32 s3, exec_lo
	s_delay_alu instid0(VALU_DEP_2)
	v_cmpx_ne_u16_e32 0, v8
	s_cbranch_execz .LBB307_362
; %bb.355:                              ;   in Loop: Header=BB307_10 Depth=1
	v_bfrev_b32_e32 v146, 1
	s_mov_b32 s19, exec_lo
	v_cmpx_ne_u16_e32 0x80, v8
	s_cbranch_execz .LBB307_361
; %bb.356:                              ;   in Loop: Header=BB307_10 Depth=1
	v_and_b32_e32 v148, 0xffff, v8
	v_mov_b32_e32 v146, 0x7fc02000
	s_mov_b32 s20, exec_lo
	s_delay_alu instid0(VALU_DEP_2) | instskip(NEXT) | instid1(VALU_DEP_1)
	v_and_b32_e32 v149, 0x7f, v148
	v_cmpx_ne_u32_e32 0x7f, v149
	s_cbranch_execz .LBB307_360
; %bb.357:                              ;   in Loop: Header=BB307_10 Depth=1
	v_and_b32_e32 v8, 7, v148
	v_lshrrev_b32_e32 v146, 3, v149
	s_mov_b32 s21, exec_lo
	v_cmpx_gt_u32_e32 8, v149
; %bb.358:                              ;   in Loop: Header=BB307_10 Depth=1
	s_delay_alu instid0(VALU_DEP_3) | instskip(NEXT) | instid1(VALU_DEP_1)
	v_clz_i32_u32_e32 v146, v8
	v_min_u32_e32 v146, 32, v146
	s_delay_alu instid0(VALU_DEP_1) | instskip(SKIP_1) | instid1(VALU_DEP_2)
	v_subrev_nc_u32_e32 v149, 28, v146
	v_sub_nc_u32_e32 v146, 29, v146
	v_lshlrev_b64 v[149:150], v149, v[8:9]
	s_delay_alu instid0(VALU_DEP_1)
	v_and_b32_e32 v8, 7, v149
; %bb.359:                              ;   in Loop: Header=BB307_10 Depth=1
	s_or_b32 exec_lo, exec_lo, s21
	v_lshlrev_b32_e32 v148, 8, v148
	v_lshl_add_u32 v146, v146, 10, 0x2000
	s_delay_alu instid0(VALU_DEP_1) | instskip(NEXT) | instid1(VALU_DEP_1)
	v_and_or_b32 v146, 0x8000, v148, v146
	v_lshl_or_b32 v8, v8, 7, v146
	s_delay_alu instid0(VALU_DEP_1)
	v_cvt_f32_f16_e64 v146, v8
.LBB307_360:                            ;   in Loop: Header=BB307_10 Depth=1
	s_or_b32 exec_lo, exec_lo, s20
.LBB307_361:                            ;   in Loop: Header=BB307_10 Depth=1
	s_delay_alu instid0(SALU_CYCLE_1)
	s_or_b32 exec_lo, exec_lo, s19
.LBB307_362:                            ;   in Loop: Header=BB307_10 Depth=1
	s_delay_alu instid0(SALU_CYCLE_1)
	s_or_b32 exec_lo, exec_lo, s3
	flat_load_u16 v8, v[28:29] offset:1408
	s_mov_b32 s3, exec_lo
	s_waitcnt vmcnt(0) lgkmcnt(0)
	v_and_b32_e32 v149, 0xff, v8
	v_and_b32_e32 v148, 0xffff, v8
	s_delay_alu instid0(VALU_DEP_2)
	v_cmpx_ne_u16_e64 0, v149
	s_cbranch_execz .LBB307_370
; %bb.363:                              ;   in Loop: Header=BB307_10 Depth=1
	s_delay_alu instid0(VALU_DEP_2) | instskip(SKIP_2) | instid1(VALU_DEP_2)
	v_and_b32_e32 v8, 0xff, v148
	v_bfrev_b32_e32 v145, 1
	s_mov_b32 s19, exec_lo
	v_cmpx_ne_u16_e32 0x80, v8
	s_cbranch_execz .LBB307_369
; %bb.364:                              ;   in Loop: Header=BB307_10 Depth=1
	v_and_b32_e32 v149, 0x7f, v148
	v_mov_b32_e32 v145, 0x7fc02000
	s_mov_b32 s20, exec_lo
	s_delay_alu instid0(VALU_DEP_2)
	v_cmpx_ne_u32_e32 0x7f, v149
	s_cbranch_execz .LBB307_368
; %bb.365:                              ;   in Loop: Header=BB307_10 Depth=1
	v_and_b32_e32 v8, 7, v148
	v_lshrrev_b32_e32 v145, 3, v149
	s_mov_b32 s21, exec_lo
	v_cmpx_gt_u32_e32 8, v149
; %bb.366:                              ;   in Loop: Header=BB307_10 Depth=1
	s_delay_alu instid0(VALU_DEP_3) | instskip(NEXT) | instid1(VALU_DEP_1)
	v_clz_i32_u32_e32 v145, v8
	v_min_u32_e32 v145, 32, v145
	s_delay_alu instid0(VALU_DEP_1) | instskip(SKIP_1) | instid1(VALU_DEP_2)
	v_subrev_nc_u32_e32 v149, 28, v145
	v_sub_nc_u32_e32 v145, 29, v145
	v_lshlrev_b64 v[149:150], v149, v[8:9]
	s_delay_alu instid0(VALU_DEP_1)
	v_and_b32_e32 v8, 7, v149
; %bb.367:                              ;   in Loop: Header=BB307_10 Depth=1
	s_or_b32 exec_lo, exec_lo, s21
	v_lshlrev_b32_e32 v149, 8, v148
	v_lshl_add_u32 v145, v145, 10, 0x2000
	s_delay_alu instid0(VALU_DEP_1) | instskip(NEXT) | instid1(VALU_DEP_1)
	v_and_or_b32 v145, 0x8000, v149, v145
	v_lshl_or_b32 v8, v8, 7, v145
	s_delay_alu instid0(VALU_DEP_1)
	v_cvt_f32_f16_e64 v145, v8
.LBB307_368:                            ;   in Loop: Header=BB307_10 Depth=1
	s_or_b32 exec_lo, exec_lo, s20
.LBB307_369:                            ;   in Loop: Header=BB307_10 Depth=1
	s_delay_alu instid0(SALU_CYCLE_1)
	s_or_b32 exec_lo, exec_lo, s19
.LBB307_370:                            ;   in Loop: Header=BB307_10 Depth=1
	s_delay_alu instid0(SALU_CYCLE_1) | instskip(NEXT) | instid1(VALU_DEP_2)
	s_or_b32 exec_lo, exec_lo, s3
	v_lshrrev_b16 v8, 8, v148
	v_dual_mov_b32 v148, 0 :: v_dual_mov_b32 v149, 0
	s_mov_b32 s3, exec_lo
	s_delay_alu instid0(VALU_DEP_2)
	v_cmpx_ne_u16_e32 0, v8
	s_cbranch_execz .LBB307_378
; %bb.371:                              ;   in Loop: Header=BB307_10 Depth=1
	v_bfrev_b32_e32 v149, 1
	s_mov_b32 s19, exec_lo
	v_cmpx_ne_u16_e32 0x80, v8
	s_cbranch_execz .LBB307_377
; %bb.372:                              ;   in Loop: Header=BB307_10 Depth=1
	v_and_b32_e32 v150, 0xffff, v8
	v_mov_b32_e32 v149, 0x7fc02000
	s_mov_b32 s20, exec_lo
	s_delay_alu instid0(VALU_DEP_2) | instskip(NEXT) | instid1(VALU_DEP_1)
	v_and_b32_e32 v151, 0x7f, v150
	v_cmpx_ne_u32_e32 0x7f, v151
	s_cbranch_execz .LBB307_376
; %bb.373:                              ;   in Loop: Header=BB307_10 Depth=1
	v_and_b32_e32 v8, 7, v150
	v_lshrrev_b32_e32 v149, 3, v151
	s_mov_b32 s21, exec_lo
	v_cmpx_gt_u32_e32 8, v151
; %bb.374:                              ;   in Loop: Header=BB307_10 Depth=1
	s_delay_alu instid0(VALU_DEP_3) | instskip(NEXT) | instid1(VALU_DEP_1)
	v_clz_i32_u32_e32 v149, v8
	v_min_u32_e32 v149, 32, v149
	s_delay_alu instid0(VALU_DEP_1) | instskip(SKIP_1) | instid1(VALU_DEP_2)
	v_subrev_nc_u32_e32 v151, 28, v149
	v_sub_nc_u32_e32 v149, 29, v149
	v_lshlrev_b64 v[160:161], v151, v[8:9]
	s_delay_alu instid0(VALU_DEP_1)
	v_and_b32_e32 v8, 7, v160
; %bb.375:                              ;   in Loop: Header=BB307_10 Depth=1
	s_or_b32 exec_lo, exec_lo, s21
	v_lshlrev_b32_e32 v150, 8, v150
	v_lshl_add_u32 v149, v149, 10, 0x2000
	s_delay_alu instid0(VALU_DEP_1) | instskip(NEXT) | instid1(VALU_DEP_1)
	v_and_or_b32 v149, 0x8000, v150, v149
	v_lshl_or_b32 v8, v8, 7, v149
	s_delay_alu instid0(VALU_DEP_1)
	v_cvt_f32_f16_e64 v149, v8
.LBB307_376:                            ;   in Loop: Header=BB307_10 Depth=1
	s_or_b32 exec_lo, exec_lo, s20
.LBB307_377:                            ;   in Loop: Header=BB307_10 Depth=1
	s_delay_alu instid0(SALU_CYCLE_1)
	s_or_b32 exec_lo, exec_lo, s19
.LBB307_378:                            ;   in Loop: Header=BB307_10 Depth=1
	s_delay_alu instid0(SALU_CYCLE_1)
	s_or_b32 exec_lo, exec_lo, s3
	flat_load_u16 v8, v[28:29] offset:1416
	s_mov_b32 s3, exec_lo
	s_waitcnt vmcnt(0) lgkmcnt(0)
	v_and_b32_e32 v29, 0xff, v8
	v_and_b32_e32 v28, 0xffff, v8
	s_delay_alu instid0(VALU_DEP_2)
	v_cmpx_ne_u16_e32 0, v29
	s_cbranch_execz .LBB307_386
; %bb.379:                              ;   in Loop: Header=BB307_10 Depth=1
	s_delay_alu instid0(VALU_DEP_2) | instskip(SKIP_2) | instid1(VALU_DEP_2)
	v_and_b32_e32 v8, 0xff, v28
	v_bfrev_b32_e32 v148, 1
	s_mov_b32 s19, exec_lo
	v_cmpx_ne_u16_e32 0x80, v8
	s_cbranch_execz .LBB307_385
; %bb.380:                              ;   in Loop: Header=BB307_10 Depth=1
	v_and_b32_e32 v150, 0x7f, v28
	v_mov_b32_e32 v148, 0x7fc02000
	s_mov_b32 s20, exec_lo
	s_delay_alu instid0(VALU_DEP_2)
	v_cmpx_ne_u32_e32 0x7f, v150
	s_cbranch_execz .LBB307_384
; %bb.381:                              ;   in Loop: Header=BB307_10 Depth=1
	v_and_b32_e32 v8, 7, v28
	v_lshrrev_b32_e32 v29, 3, v150
	s_mov_b32 s21, exec_lo
	v_cmpx_gt_u32_e32 8, v150
; %bb.382:                              ;   in Loop: Header=BB307_10 Depth=1
	s_delay_alu instid0(VALU_DEP_3) | instskip(NEXT) | instid1(VALU_DEP_1)
	v_clz_i32_u32_e32 v29, v8
	v_min_u32_e32 v29, 32, v29
	s_delay_alu instid0(VALU_DEP_1) | instskip(SKIP_1) | instid1(VALU_DEP_2)
	v_subrev_nc_u32_e32 v148, 28, v29
	v_sub_nc_u32_e32 v29, 29, v29
	v_lshlrev_b64 v[150:151], v148, v[8:9]
	s_delay_alu instid0(VALU_DEP_1)
	v_and_b32_e32 v8, 7, v150
; %bb.383:                              ;   in Loop: Header=BB307_10 Depth=1
	s_or_b32 exec_lo, exec_lo, s21
	v_lshlrev_b32_e32 v148, 8, v28
	v_lshl_add_u32 v29, v29, 10, 0x2000
	s_delay_alu instid0(VALU_DEP_1) | instskip(NEXT) | instid1(VALU_DEP_1)
	v_and_or_b32 v29, 0x8000, v148, v29
	v_lshl_or_b32 v8, v8, 7, v29
	s_delay_alu instid0(VALU_DEP_1)
	v_cvt_f32_f16_e64 v148, v8
.LBB307_384:                            ;   in Loop: Header=BB307_10 Depth=1
	s_or_b32 exec_lo, exec_lo, s20
.LBB307_385:                            ;   in Loop: Header=BB307_10 Depth=1
	s_delay_alu instid0(SALU_CYCLE_1)
	s_or_b32 exec_lo, exec_lo, s19
.LBB307_386:                            ;   in Loop: Header=BB307_10 Depth=1
	s_delay_alu instid0(SALU_CYCLE_1) | instskip(NEXT) | instid1(VALU_DEP_2)
	s_or_b32 exec_lo, exec_lo, s3
	v_lshrrev_b16 v8, 8, v28
	v_mov_b32_e32 v29, 0
	s_mov_b32 s3, exec_lo
	s_delay_alu instid0(VALU_DEP_2)
	v_cmpx_ne_u16_e32 0, v8
	s_cbranch_execz .LBB307_394
; %bb.387:                              ;   in Loop: Header=BB307_10 Depth=1
	v_bfrev_b32_e32 v29, 1
	s_mov_b32 s19, exec_lo
	v_cmpx_ne_u16_e32 0x80, v8
	s_cbranch_execz .LBB307_393
; %bb.388:                              ;   in Loop: Header=BB307_10 Depth=1
	v_and_b32_e32 v28, 0xffff, v8
	v_mov_b32_e32 v29, 0x7fc02000
	s_mov_b32 s20, exec_lo
	s_delay_alu instid0(VALU_DEP_2) | instskip(NEXT) | instid1(VALU_DEP_1)
	v_and_b32_e32 v150, 0x7f, v28
	v_cmpx_ne_u32_e32 0x7f, v150
	s_cbranch_execz .LBB307_392
; %bb.389:                              ;   in Loop: Header=BB307_10 Depth=1
	v_and_b32_e32 v8, 7, v28
	v_lshrrev_b32_e32 v29, 3, v150
	s_mov_b32 s21, exec_lo
	v_cmpx_gt_u32_e32 8, v150
; %bb.390:                              ;   in Loop: Header=BB307_10 Depth=1
	s_delay_alu instid0(VALU_DEP_3) | instskip(NEXT) | instid1(VALU_DEP_1)
	v_clz_i32_u32_e32 v29, v8
	v_min_u32_e32 v29, 32, v29
	s_delay_alu instid0(VALU_DEP_1) | instskip(SKIP_1) | instid1(VALU_DEP_2)
	v_subrev_nc_u32_e32 v150, 28, v29
	v_sub_nc_u32_e32 v29, 29, v29
	v_lshlrev_b64 v[150:151], v150, v[8:9]
	s_delay_alu instid0(VALU_DEP_1)
	v_and_b32_e32 v8, 7, v150
; %bb.391:                              ;   in Loop: Header=BB307_10 Depth=1
	s_or_b32 exec_lo, exec_lo, s21
	v_lshlrev_b32_e32 v28, 8, v28
	v_lshl_add_u32 v29, v29, 10, 0x2000
	s_delay_alu instid0(VALU_DEP_1) | instskip(NEXT) | instid1(VALU_DEP_1)
	v_and_or_b32 v28, 0x8000, v28, v29
	v_lshl_or_b32 v8, v8, 7, v28
	s_delay_alu instid0(VALU_DEP_1)
	v_cvt_f32_f16_e32 v29, v8
.LBB307_392:                            ;   in Loop: Header=BB307_10 Depth=1
	s_or_b32 exec_lo, exec_lo, s20
.LBB307_393:                            ;   in Loop: Header=BB307_10 Depth=1
	s_delay_alu instid0(SALU_CYCLE_1)
	s_or_b32 exec_lo, exec_lo, s19
.LBB307_394:                            ;   in Loop: Header=BB307_10 Depth=1
	s_delay_alu instid0(SALU_CYCLE_1)
	s_or_b32 exec_lo, exec_lo, s3
	v_fma_mixlo_f16 v28, v54, v145, 0
	v_fma_mixlo_f16 v8, v54, v149, 0
	;; [unrolled: 1-line block ×48, first 2 shown]
	ds_load_b32 v54, v49
	v_and_b32_e32 v66, 0xffff, v66
	v_and_b32_e32 v67, 0xffff, v67
	;; [unrolled: 1-line block ×7, first 2 shown]
	s_waitcnt lgkmcnt(0)
	v_lshrrev_b32_e32 v148, 16, v54
	v_and_b32_e32 v54, 0xffff, v54
	;;#ASMSTART
	v_cvt_f32_f16 v149, v54;
	;;#ASMEND
	v_and_b32_e32 v54, 0xffff, v112
	;;#ASMSTART
	v_cvt_f32_f16 v148, v148;
	;;#ASMEND
	;;#ASMSTART
	v_cvt_f32_f16 v112, v54;
	;;#ASMEND
	v_and_b32_e32 v54, 0xffff, v64
	;;#ASMSTART
	v_cvt_f32_f16 v150, v54;
	;;#ASMEND
	ds_load_b32 v54, v49 offset:4
	v_and_b32_e32 v65, 0xffff, v65
	s_waitcnt lgkmcnt(0)
	v_lshrrev_b32_e32 v64, 16, v54
	v_and_b32_e32 v54, 0xffff, v54
	;;#ASMSTART
	v_cvt_f32_f16 v54, v54;
	;;#ASMEND
	;;#ASMSTART
	v_cvt_f32_f16 v64, v64;
	;;#ASMEND
	;; [unrolled: 3-line block ×4, first 2 shown]
	v_mul_f32_e32 v54, v54, v65
	ds_load_b32 v65, v49 offset:8
	v_mul_f32_e32 v64, v64, v66
	v_fmac_f32_e32 v54, v149, v112
	s_waitcnt lgkmcnt(0)
	v_lshrrev_b32_e32 v66, 16, v65
	v_and_b32_e32 v65, 0xffff, v65
	;;#ASMSTART
	v_cvt_f32_f16 v65, v65;
	;;#ASMEND
	;;#ASMSTART
	v_cvt_f32_f16 v66, v66;
	;;#ASMEND
	;; [unrolled: 3-line block ×4, first 2 shown]
	v_dual_fmac_f32 v54, v65, v67 :: v_dual_and_b32 v67, 0xffff, v69
	ds_load_b32 v65, v49 offset:12
	v_fmac_f32_e32 v64, v148, v150
	s_delay_alu instid0(VALU_DEP_1)
	v_fmac_f32_e32 v64, v66, v68
	v_and_b32_e32 v68, 0xffff, v70
	s_waitcnt lgkmcnt(0)
	v_lshrrev_b32_e32 v66, 16, v65
	v_and_b32_e32 v65, 0xffff, v65
	;;#ASMSTART
	v_cvt_f32_f16 v65, v65;
	;;#ASMEND
	;;#ASMSTART
	v_cvt_f32_f16 v66, v66;
	;;#ASMEND
	;;#ASMSTART
	v_cvt_f32_f16 v67, v67;
	;;#ASMEND
	;;#ASMSTART
	v_cvt_f32_f16 v68, v68;
	;;#ASMEND
	v_fmac_f32_e32 v54, v65, v67
	ds_load_b32 v65, v49 offset:16
	v_dual_fmac_f32 v64, v66, v68 :: v_dual_and_b32 v67, 0xffff, v71
	v_and_b32_e32 v68, 0xffff, v80
	s_waitcnt lgkmcnt(0)
	v_lshrrev_b32_e32 v66, 16, v65
	v_and_b32_e32 v65, 0xffff, v65
	;;#ASMSTART
	v_cvt_f32_f16 v65, v65;
	;;#ASMEND
	;;#ASMSTART
	v_cvt_f32_f16 v66, v66;
	;;#ASMEND
	;;#ASMSTART
	v_cvt_f32_f16 v67, v67;
	;;#ASMEND
	;;#ASMSTART
	v_cvt_f32_f16 v68, v68;
	;;#ASMEND
	v_dual_fmac_f32 v54, v65, v67 :: v_dual_and_b32 v67, 0xffff, v81
	ds_load_b32 v65, v49 offset:20
	v_fmac_f32_e32 v64, v66, v68
	v_and_b32_e32 v68, 0xffff, v82
	s_waitcnt lgkmcnt(0)
	v_lshrrev_b32_e32 v66, 16, v65
	v_and_b32_e32 v65, 0xffff, v65
	;;#ASMSTART
	v_cvt_f32_f16 v65, v65;
	;;#ASMEND
	;;#ASMSTART
	v_cvt_f32_f16 v66, v66;
	;;#ASMEND
	;;#ASMSTART
	v_cvt_f32_f16 v67, v67;
	;;#ASMEND
	;;#ASMSTART
	v_cvt_f32_f16 v68, v68;
	;;#ASMEND
	v_fmac_f32_e32 v54, v65, v67
	ds_load_b32 v65, v49 offset:24
	v_dual_fmac_f32 v64, v66, v68 :: v_dual_and_b32 v67, 0xffff, v83
	v_and_b32_e32 v68, 0xffff, v84
	s_waitcnt lgkmcnt(0)
	v_lshrrev_b32_e32 v66, 16, v65
	v_and_b32_e32 v65, 0xffff, v65
	;;#ASMSTART
	v_cvt_f32_f16 v65, v65;
	;;#ASMEND
	;;#ASMSTART
	v_cvt_f32_f16 v66, v66;
	;;#ASMEND
	;;#ASMSTART
	v_cvt_f32_f16 v67, v67;
	;;#ASMEND
	;;#ASMSTART
	v_cvt_f32_f16 v68, v68;
	;;#ASMEND
	v_dual_fmac_f32 v54, v65, v67 :: v_dual_and_b32 v67, 0xffff, v85
	ds_load_b32 v65, v49 offset:28
	;; [unrolled: 38-line block ×4, first 2 shown]
	v_fmac_f32_e32 v64, v66, v68
	v_and_b32_e32 v68, 0xffff, v102
	s_waitcnt lgkmcnt(0)
	v_lshrrev_b32_e32 v66, 16, v65
	v_and_b32_e32 v65, 0xffff, v65
	;;#ASMSTART
	v_cvt_f32_f16 v65, v65;
	;;#ASMEND
	;;#ASMSTART
	v_cvt_f32_f16 v66, v66;
	;;#ASMEND
	;;#ASMSTART
	v_cvt_f32_f16 v67, v67;
	;;#ASMEND
	;;#ASMSTART
	v_cvt_f32_f16 v68, v68;
	;;#ASMEND
	v_dual_fmac_f32 v54, v65, v67 :: v_dual_and_b32 v67, 0xffff, v114
	ds_load_b32 v65, v49 offset:48
	v_fmac_f32_e32 v64, v66, v68
	v_and_b32_e32 v68, 0xffff, v103
	s_waitcnt lgkmcnt(0)
	v_lshrrev_b32_e32 v66, 16, v65
	v_and_b32_e32 v65, 0xffff, v65
	;;#ASMSTART
	v_cvt_f32_f16 v65, v65;
	;;#ASMEND
	;;#ASMSTART
	v_cvt_f32_f16 v66, v66;
	;;#ASMEND
	;;#ASMSTART
	v_cvt_f32_f16 v67, v67;
	;;#ASMEND
	;;#ASMSTART
	v_cvt_f32_f16 v68, v68;
	;;#ASMEND
	v_dual_fmac_f32 v54, v65, v67 :: v_dual_and_b32 v67, 0xffff, v116
	ds_load_b32 v65, v49 offset:52
	;; [unrolled: 19-line block ×7, first 2 shown]
	v_fmac_f32_e32 v64, v66, v68
	v_and_b32_e32 v68, 0xffff, v131
	s_waitcnt lgkmcnt(0)
	v_lshrrev_b32_e32 v66, 16, v65
	v_and_b32_e32 v65, 0xffff, v65
	;;#ASMSTART
	v_cvt_f32_f16 v65, v65;
	;;#ASMEND
	;;#ASMSTART
	v_cvt_f32_f16 v66, v66;
	;;#ASMEND
	;; [unrolled: 3-line block ×4, first 2 shown]
	v_fmac_f32_e32 v54, v65, v67
	ds_load_b32 v65, v49 offset:76
	v_dual_fmac_f32 v64, v66, v68 :: v_dual_and_b32 v67, 0xffff, v147
	v_and_b32_e32 v68, 0xffff, v133
	s_waitcnt lgkmcnt(0)
	v_lshrrev_b32_e32 v66, 16, v65
	v_and_b32_e32 v65, 0xffff, v65
	;;#ASMSTART
	v_cvt_f32_f16 v65, v65;
	;;#ASMEND
	;;#ASMSTART
	v_cvt_f32_f16 v66, v66;
	;;#ASMEND
	;; [unrolled: 3-line block ×4, first 2 shown]
	v_dual_fmac_f32 v54, v65, v67 :: v_dual_and_b32 v67, 0xffff, v146
	ds_load_b32 v65, v49 offset:80
	v_fmac_f32_e32 v64, v66, v68
	v_and_b32_e32 v68, 0xffff, v135
	s_waitcnt lgkmcnt(0)
	v_lshrrev_b32_e32 v66, 16, v65
	v_and_b32_e32 v65, 0xffff, v65
	;;#ASMSTART
	v_cvt_f32_f16 v65, v65;
	;;#ASMEND
	;;#ASMSTART
	v_cvt_f32_f16 v66, v66;
	;;#ASMEND
	;; [unrolled: 3-line block ×4, first 2 shown]
	v_dual_fmac_f32 v54, v65, v67 :: v_dual_and_b32 v67, 0xffff, v145
	ds_load_b32 v65, v49 offset:84
	v_fmac_f32_e32 v64, v66, v68
	v_and_b32_e32 v68, 0xffff, v144
	s_waitcnt lgkmcnt(0)
	v_lshrrev_b32_e32 v66, 16, v65
	v_and_b32_e32 v65, 0xffff, v65
	;;#ASMSTART
	v_cvt_f32_f16 v65, v65;
	;;#ASMEND
	;;#ASMSTART
	v_cvt_f32_f16 v66, v66;
	;;#ASMEND
	;; [unrolled: 3-line block ×4, first 2 shown]
	v_fmac_f32_e32 v54, v65, v67
	ds_load_b32 v65, v49 offset:88
	v_fmac_f32_e32 v64, v66, v68
	s_waitcnt lgkmcnt(0)
	v_lshrrev_b32_e32 v66, 16, v65
	v_and_b32_e32 v65, 0xffff, v65
	;;#ASMSTART
	v_cvt_f32_f16 v65, v65;
	;;#ASMEND
	;;#ASMSTART
	v_cvt_f32_f16 v66, v66;
	;;#ASMEND
	;; [unrolled: 3-line block ×4, first 2 shown]
	v_fmac_f32_e32 v64, v66, v8
	ds_load_b32 v8, v49 offset:92
	v_fmac_f32_e32 v54, v65, v28
	s_waitcnt lgkmcnt(0)
	v_lshrrev_b32_e32 v28, 16, v8
	v_and_b32_e32 v8, 0xffff, v8
	;;#ASMSTART
	v_cvt_f32_f16 v8, v8;
	;;#ASMEND
	;;#ASMSTART
	v_cvt_f32_f16 v28, v28;
	;;#ASMEND
	;; [unrolled: 3-line block ×4, first 2 shown]
	v_fmac_f32_e32 v64, v28, v29
	v_xor_b32_e32 v28, 2, v36
	v_fmac_f32_e32 v54, v8, v55
	s_delay_alu instid0(VALU_DEP_2) | instskip(NEXT) | instid1(VALU_DEP_2)
	v_cmp_gt_i32_e64 s2, 32, v28
	v_add_f32_e32 v8, v54, v64
	s_delay_alu instid0(VALU_DEP_2) | instskip(NEXT) | instid1(VALU_DEP_1)
	v_cndmask_b32_e64 v28, v36, v28, s2
	v_lshlrev_b32_e32 v28, 2, v28
	ds_bpermute_b32 v28, v28, v8
	s_waitcnt lgkmcnt(0)
	v_add_f32_e32 v8, v8, v28
	v_xor_b32_e32 v28, 1, v36
	s_delay_alu instid0(VALU_DEP_1) | instskip(NEXT) | instid1(VALU_DEP_1)
	v_cmp_gt_i32_e64 s2, 32, v28
	v_cndmask_b32_e64 v28, v36, v28, s2
	s_delay_alu instid0(VALU_DEP_1)
	v_lshlrev_b32_e32 v28, 2, v28
	ds_bpermute_b32 v28, v28, v8
	s_and_saveexec_b32 s3, vcc_lo
	s_cbranch_execz .LBB307_9
; %bb.395:                              ;   in Loop: Header=BB307_10 Depth=1
	s_waitcnt lgkmcnt(0)
	v_dual_add_f32 v8, v8, v28 :: v_dual_add_nc_u32 v29, v50, v51
	s_load_b32 s19, s[8:9], 0x0
	v_cmp_lt_i32_e64 s2, v51, v32
	s_delay_alu instid0(VALU_DEP_2) | instskip(NEXT) | instid1(VALU_DEP_1)
	v_cvt_f32_i32_e32 v29, v29
	v_mul_f32_e32 v29, v37, v29
	s_delay_alu instid0(VALU_DEP_1) | instskip(NEXT) | instid1(VALU_DEP_1)
	v_cndmask_b32_e64 v28, 0, v29, s1
	v_dual_max_f32 v29, v39, v39 :: v_dual_fmac_f32 v28, v8, v13
	s_delay_alu instid0(VALU_DEP_1) | instskip(SKIP_3) | instid1(VALU_DEP_3)
	v_max_f32_e32 v8, v29, v28
	s_waitcnt lgkmcnt(0)
	v_add_nc_u32_e32 v29, s19, v52
	v_cndmask_b32_e64 v28, 0, v28, s2
	v_cndmask_b32_e64 v39, v39, v8, s2
	ds_store_b32 v29, v28
	s_branch .LBB307_9
.LBB307_396:
	s_or_b32 exec_lo, exec_lo, s7
.LBB307_397:
	s_delay_alu instid0(SALU_CYCLE_1)
	s_or_b32 exec_lo, exec_lo, s17
	v_xor_b32_e32 v8, 16, v36
	v_xor_b32_e32 v9, 8, v36
	v_lshlrev_b32_e32 v20, 2, v33
	s_waitcnt lgkmcnt(0)
	s_lshr_b32 s8, s18, 16
	v_max_f32_e32 v18, v39, v39
	v_cmp_lt_i32_e32 vcc_lo, v8, v38
	v_cndmask_b32_e32 v8, v36, v8, vcc_lo
	v_cmp_lt_i32_e32 vcc_lo, v9, v38
	v_cndmask_b32_e32 v9, v36, v9, vcc_lo
	s_delay_alu instid0(VALU_DEP_1) | instskip(NEXT) | instid1(VALU_DEP_4)
	v_lshlrev_b32_e32 v19, 2, v9
	v_lshlrev_b32_e32 v13, 2, v8
	ds_bpermute_b32 v8, v13, v39
	s_waitcnt lgkmcnt(0)
	v_max_f32_e32 v8, v8, v8
	s_delay_alu instid0(VALU_DEP_1) | instskip(SKIP_4) | instid1(VALU_DEP_1)
	v_max_f32_e32 v8, v18, v8
	v_xor_b32_e32 v18, 4, v36
	ds_bpermute_b32 v9, v19, v8
	v_cmp_lt_i32_e32 vcc_lo, v18, v38
	v_cndmask_b32_e32 v18, v36, v18, vcc_lo
	v_lshlrev_b32_e32 v24, 2, v18
	v_and_b32_e32 v18, 31, v30
	s_delay_alu instid0(VALU_DEP_1) | instskip(SKIP_2) | instid1(VALU_DEP_1)
	v_cmp_eq_u32_e32 vcc_lo, 0, v18
	s_waitcnt lgkmcnt(0)
	v_max_f32_e32 v9, v9, v9
	v_max_f32_e32 v8, v8, v9
	ds_bpermute_b32 v9, v24, v8
	s_and_saveexec_b32 s1, vcc_lo
	s_cbranch_execz .LBB307_399
; %bb.398:
	s_waitcnt lgkmcnt(0)
	v_dual_max_f32 v9, v9, v9 :: v_dual_max_f32 v8, v8, v8
	s_delay_alu instid0(VALU_DEP_1)
	v_max_f32_e32 v8, v8, v9
	ds_store_b32 v20, v8 offset:384
.LBB307_399:
	s_or_b32 exec_lo, exec_lo, s1
	v_cmp_gt_u32_e64 s1, 4, v18
	v_dual_mov_b32 v8, 0xff7fffff :: v_dual_lshlrev_b32 v21, 2, v18
	s_waitcnt lgkmcnt(0)
	s_barrier
	buffer_gl0_inv
	s_and_saveexec_b32 s2, s1
	s_cbranch_execz .LBB307_401
; %bb.400:
	ds_load_b32 v8, v21 offset:384
.LBB307_401:
	s_or_b32 exec_lo, exec_lo, s2
	v_xor_b32_e32 v9, 2, v36
	v_xor_b32_e32 v28, 1, v36
	v_lshlrev_b32_e32 v29, 2, v36
	s_delay_alu instid0(VALU_DEP_3) | instskip(NEXT) | instid1(VALU_DEP_2)
	v_cmp_lt_i32_e64 s2, v9, v38
	v_and_b32_e32 v29, 0xffffff80, v29
	s_delay_alu instid0(VALU_DEP_2) | instskip(SKIP_1) | instid1(VALU_DEP_2)
	v_cndmask_b32_e64 v9, v36, v9, s2
	v_cmp_lt_i32_e64 s2, v28, v38
	v_lshlrev_b32_e32 v25, 2, v9
	s_delay_alu instid0(VALU_DEP_2)
	v_cndmask_b32_e64 v28, v36, v28, s2
	v_subrev_nc_u32_e32 v36, s13, v34
	s_waitcnt lgkmcnt(0)
	ds_bpermute_b32 v9, v25, v8
	v_max_f32_e32 v8, v8, v8
	s_waitcnt lgkmcnt(0)
	v_dual_max_f32 v9, v9, v9 :: v_dual_lshlrev_b32 v28, 2, v28
	s_delay_alu instid0(VALU_DEP_1) | instskip(SKIP_3) | instid1(VALU_DEP_1)
	v_max_f32_e32 v8, v8, v9
	ds_bpermute_b32 v9, v28, v8
	s_waitcnt lgkmcnt(0)
	v_max_f32_e32 v9, v9, v9
	v_max_f32_e32 v8, v8, v9
	v_lshl_add_u32 v9, v36, 3, s16
	v_mov_b32_e32 v36, 0
	ds_bpermute_b32 v8, v29, v8
	v_min_i32_e32 v9, v9, v32
	s_delay_alu instid0(VALU_DEP_1) | instskip(NEXT) | instid1(VALU_DEP_1)
	v_subrev_nc_u32_e32 v9, s16, v9
	v_cmp_lt_i32_e64 s2, v30, v9
	s_delay_alu instid0(VALU_DEP_1)
	s_and_saveexec_b32 s9, s2
	s_cbranch_execz .LBB307_405
; %bb.402:
	s_getpc_b64 s[18:19]
	s_add_u32 s18, s18, llvm.amdgcn.dynlds.offset.table@rel32@lo+4
	s_addc_u32 s19, s19, llvm.amdgcn.dynlds.offset.table@rel32@hi+12
	s_ashr_i32 s7, s6, 31
	v_mov_b32_e32 v36, 0
	s_lshl_b64 s[20:21], s[6:7], 2
	v_mov_b32_e32 v38, v30
	s_add_u32 s18, s20, s18
	s_addc_u32 s19, s21, s19
	s_mov_b32 s7, 0
	s_load_b32 s3, s[18:19], 0x0
	s_waitcnt lgkmcnt(0)
	v_lshl_add_u32 v37, v30, 2, s3
	.p2align	6
.LBB307_403:                            ; =>This Inner Loop Header: Depth=1
	ds_load_b32 v39, v37
	v_add_nc_u32_e32 v38, 0x80, v38
	s_delay_alu instid0(VALU_DEP_1) | instskip(NEXT) | instid1(VALU_DEP_1)
	v_cmp_ge_i32_e64 s3, v38, v9
	s_or_b32 s7, s3, s7
	s_waitcnt lgkmcnt(0)
	v_sub_f32_e32 v39, v39, v8
	s_delay_alu instid0(VALU_DEP_1) | instskip(NEXT) | instid1(VALU_DEP_1)
	v_mul_f32_e32 v39, 0x3fb8aa3b, v39
	v_exp_f32_e32 v39, v39
	ds_store_b32 v37, v39
	v_dual_add_f32 v36, v36, v39 :: v_dual_add_nc_u32 v37, 0x200, v37
	s_and_not1_b32 exec_lo, exec_lo, s7
	s_cbranch_execnz .LBB307_403
; %bb.404:
	s_or_b32 exec_lo, exec_lo, s7
.LBB307_405:
	s_delay_alu instid0(SALU_CYCLE_1)
	s_or_b32 exec_lo, exec_lo, s9
	ds_bpermute_b32 v13, v13, v36
	s_waitcnt lgkmcnt(0)
	v_add_f32_e32 v13, v36, v13
	ds_bpermute_b32 v19, v19, v13
	s_waitcnt lgkmcnt(0)
	v_add_f32_e32 v13, v13, v19
	;; [unrolled: 3-line block ×5, first 2 shown]
	s_and_saveexec_b32 s3, vcc_lo
	s_cbranch_execz .LBB307_407
; %bb.406:
	ds_store_b32 v20, v13 offset:400
.LBB307_407:
	s_or_b32 exec_lo, exec_lo, s3
	s_waitcnt lgkmcnt(0)
	s_barrier
	buffer_gl0_inv
	s_and_saveexec_b32 s3, s1
	s_cbranch_execz .LBB307_409
; %bb.408:
	ds_load_b32 v13, v21 offset:400
.LBB307_409:
	s_or_b32 exec_lo, exec_lo, s3
	s_waitcnt lgkmcnt(0)
	ds_bpermute_b32 v19, v25, v13
	s_waitcnt lgkmcnt(0)
	v_add_f32_e32 v13, v13, v19
	ds_bpermute_b32 v19, v28, v13
	s_waitcnt lgkmcnt(0)
	v_add_f32_e32 v13, v13, v19
	ds_bpermute_b32 v13, v29, v13
	s_and_saveexec_b32 s1, s2
	s_cbranch_execz .LBB307_412
; %bb.410:
	s_waitcnt lgkmcnt(0)
	v_add_f32_e32 v20, 0x358637bd, v13
	s_getpc_b64 s[2:3]
	s_add_u32 s2, s2, llvm.amdgcn.dynlds.offset.table@rel32@lo+4
	s_addc_u32 s3, s3, llvm.amdgcn.dynlds.offset.table@rel32@hi+12
	s_ashr_i32 s7, s6, 31
	s_delay_alu instid0(SALU_CYCLE_1) | instskip(SKIP_3) | instid1(VALU_DEP_2)
	s_lshl_b64 s[18:19], s[6:7], 2
	v_div_scale_f32 v19, null, v20, v20, 1.0
	v_div_scale_f32 v25, vcc_lo, 1.0, v20, 1.0
	s_add_u32 s2, s18, s2
	v_rcp_f32_e32 v21, v19
	s_addc_u32 s3, s19, s3
	s_load_b32 s2, s[2:3], 0x0
	s_waitcnt_depctr 0xfff
	v_fma_f32 v24, -v19, v21, 1.0
	s_delay_alu instid0(VALU_DEP_1) | instskip(NEXT) | instid1(VALU_DEP_1)
	v_fmac_f32_e32 v21, v24, v21
	v_mul_f32_e32 v24, v25, v21
	s_delay_alu instid0(VALU_DEP_1) | instskip(NEXT) | instid1(VALU_DEP_1)
	v_fma_f32 v28, -v19, v24, v25
	v_fmac_f32_e32 v24, v28, v21
	s_delay_alu instid0(VALU_DEP_1) | instskip(NEXT) | instid1(VALU_DEP_1)
	v_fma_f32 v19, -v19, v24, v25
	v_div_fmas_f32 v21, v19, v21, v24
	s_waitcnt lgkmcnt(0)
	v_lshl_add_u32 v19, v30, 2, s2
	s_mov_b32 s2, 0
	s_delay_alu instid0(VALU_DEP_2)
	v_div_fixup_f32 v20, v21, v20, 1.0
	v_mov_b32_e32 v21, v30
.LBB307_411:                            ; =>This Inner Loop Header: Depth=1
	ds_load_b32 v24, v19
	s_waitcnt lgkmcnt(0)
	v_dual_mul_f32 v24, v20, v24 :: v_dual_add_nc_u32 v21, 0x80, v21
	s_delay_alu instid0(VALU_DEP_1) | instskip(SKIP_3) | instid1(SALU_CYCLE_1)
	v_cmp_ge_i32_e32 vcc_lo, v21, v9
	ds_store_b32 v19, v24
	v_add_nc_u32_e32 v19, 0x200, v19
	s_or_b32 s2, vcc_lo, s2
	s_and_not1_b32 exec_lo, exec_lo, s2
	s_cbranch_execnz .LBB307_411
.LBB307_412:
	s_or_b32 exec_lo, exec_lo, s1
	v_cmp_ne_u16_e64 s1, s8, 0
	s_waitcnt lgkmcnt(0)
	s_barrier
	buffer_gl0_inv
	s_cmp_lg_u32 s1, 0
	s_addc_u32 s1, s5, 0
	s_mov_b32 s5, exec_lo
	s_mul_i32 s2, s1, s10
	s_delay_alu instid0(SALU_CYCLE_1)
	s_mul_i32 s2, s2, s15
	v_cmpx_eq_u32_e32 0, v30
	s_cbranch_execz .LBB307_414
; %bb.413:
	s_mul_i32 s8, s1, s12
	s_ashr_i32 s15, s14, 31
	s_ashr_i32 s9, s8, 31
	;; [unrolled: 1-line block ×3, first 2 shown]
	s_lshl_b64 s[8:9], s[8:9], 2
	s_lshl_b64 s[12:13], s[14:15], 2
	;; [unrolled: 1-line block ×3, first 2 shown]
	s_add_u32 s3, s12, s8
	s_addc_u32 s7, s13, s9
	s_add_u32 s3, s3, s18
	s_addc_u32 s7, s7, s19
	v_add_co_u32 v2, vcc_lo, s3, v2
	v_add_co_ci_u32_e32 v3, vcc_lo, s7, v3, vcc_lo
	v_add_co_u32 v0, vcc_lo, s3, v0
	v_add_co_ci_u32_e32 v1, vcc_lo, s7, v1, vcc_lo
	flat_store_b32 v[2:3], v8
	flat_store_b32 v[0:1], v13
.LBB307_414:
	s_or_b32 exec_lo, exec_lo, s5
                                        ; implicit-def: $sgpr5
	s_and_saveexec_b32 s3, s0
	s_delay_alu instid0(SALU_CYCLE_1)
	s_xor_b32 s0, exec_lo, s3
; %bb.415:
	s_ashr_i32 s7, s6, 31
	s_mov_b32 s5, 0
                                        ; implicit-def: $vgpr32
                                        ; implicit-def: $vgpr12
                                        ; implicit-def: $vgpr34
                                        ; implicit-def: $vgpr6
                                        ; implicit-def: $vgpr10
                                        ; implicit-def: $vgpr11
                                        ; implicit-def: $vgpr14
                                        ; implicit-def: $vgpr15
                                        ; implicit-def: $vgpr22
                                        ; implicit-def: $vgpr26_vgpr27
                                        ; implicit-def: $vgpr23
                                        ; implicit-def: $vgpr35
                                        ; implicit-def: $vgpr16_vgpr17
; %bb.416:
	s_or_saveexec_b32 s3, s0
	v_dual_mov_b32 v19, s5 :: v_dual_mov_b32 v0, s6
	v_dual_mov_b32 v1, s7 :: v_dual_mov_b32 v20, s5
	;; [unrolled: 1-line block ×4, first 2 shown]
	s_xor_b32 exec_lo, exec_lo, s3
	s_cbranch_execz .LBB307_816
; %bb.417:
	s_getpc_b64 s[8:9]
	s_add_u32 s8, s8, llvm.amdgcn.dynlds.offset.table@rel32@lo+4
	s_addc_u32 s9, s9, llvm.amdgcn.dynlds.offset.table@rel32@hi+12
	s_ashr_i32 s7, s6, 31
	v_lshlrev_b64 v[2:3], 2, v[6:7]
	s_lshl_b64 s[12:13], s[6:7], 2
	v_add_co_u32 v0, vcc_lo, v10, v23
	s_add_u32 s8, s12, s8
	s_addc_u32 s9, s13, s9
	v_dual_mov_b32 v28, 0 :: v_dual_lshlrev_b32 v9, 3, v18
	s_load_b32 s0, s[8:9], 0x0
	v_add_co_ci_u32_e32 v8, vcc_lo, v11, v35, vcc_lo
	v_add_co_u32 v7, vcc_lo, v16, v2
	v_add_co_ci_u32_e32 v10, vcc_lo, v17, v3, vcc_lo
	v_add_co_u32 v2, vcc_lo, v0, v9
	s_delay_alu instid0(VALU_DEP_4) | instskip(NEXT) | instid1(VALU_DEP_4)
	v_add_co_ci_u32_e32 v3, vcc_lo, 0, v8, vcc_lo
	v_add_co_u32 v7, vcc_lo, v14, v7
	v_dual_mov_b32 v24, 0 :: v_dual_add_nc_u32 v23, -1, v12
	v_dual_mov_b32 v1, 0 :: v_dual_mov_b32 v20, 0
	v_mov_b32_e32 v29, v32
	v_add_co_ci_u32_e32 v8, vcc_lo, v15, v10, vcc_lo
	v_lshl_add_u32 v15, v33, 3, s16
	s_waitcnt lgkmcnt(0)
	v_lshl_add_u32 v16, v33, 5, s0
	v_mov_b32_e32 v21, 0
	v_mov_b32_e32 v25, 0
	;; [unrolled: 1-line block ×3, first 2 shown]
	s_mov_b32 s8, -1
	s_mov_b32 s9, 0xffffff
	s_mov_b32 s5, 0
	s_branch .LBB307_419
.LBB307_418:                            ;   in Loop: Header=BB307_419 Depth=1
	s_or_b32 exec_lo, exec_lo, s0
	;;#ASMSTART
	v_pk_mul_f16 v12, v52, v12;

	;;#ASMEND
	;;#ASMSTART
	v_pk_mul_f16 v10, v51, v10;

	;;#ASMEND
	;; [unrolled: 4-line block ×4, first 2 shown]
	;;#ASMSTART
	v_pk_add_f16 v10, v12, v10;

	;;#ASMEND
	v_add_f32_e32 v17, v55, v64
	;;#ASMSTART
	v_pk_add_f16 v0, v10, v0;

	;;#ASMEND
	v_add_f32_e32 v10, v65, v66
	v_add_f32_e32 v11, v53, v54
	;;#ASMSTART
	v_pk_add_f16 v0, v0, v9;

	;;#ASMEND
	v_dual_add_f32 v28, v28, v17 :: v_dual_and_b32 v9, 0xffff, v0
	v_add_f32_e32 v12, v13, v14
	s_delay_alu instid0(VALU_DEP_3) | instskip(SKIP_4) | instid1(VALU_DEP_2)
	v_dual_add_f32 v21, v21, v11 :: v_dual_add_nc_u32 v6, 4, v6
	v_lshrrev_b32_e32 v0, 16, v0
	;;#ASMSTART
	v_cvt_f32_f16 v9, v9;
	;;#ASMEND
	;;#ASMSTART
	v_cvt_f32_f16 v0, v0;
	;;#ASMEND
	v_add_f32_e32 v11, v67, v68
	v_dual_add_f32 v0, v9, v0 :: v_dual_add_nc_u32 v15, 32, v15
	v_cmp_ge_i32_e32 vcc_lo, v6, v34
	v_add_co_u32 v7, s0, v7, 16
	s_delay_alu instid0(VALU_DEP_4)
	v_dual_add_f32 v25, v25, v10 :: v_dual_add_f32 v24, v24, v11
	v_add_f32_e32 v20, v20, v12
	v_add_f32_e32 v19, v19, v0
	v_add_co_ci_u32_e64 v8, s0, 0, v8, s0
	v_add_nc_u32_e32 v16, 0x80, v16
	s_or_b32 s5, vcc_lo, s5
	s_delay_alu instid0(SALU_CYCLE_1)
	s_and_not1_b32 exec_lo, exec_lo, s5
	s_cbranch_execz .LBB307_815
.LBB307_419:                            ; =>This Inner Loop Header: Depth=1
	flat_load_b32 v0, v[7:8]
	ds_load_2addr_b64 v[10:13], v16 offset1:1
	ds_load_2addr_b64 v[35:38], v16 offset0:2 offset1:3
	s_mov_b32 s0, exec_lo
	s_waitcnt lgkmcnt(1)
	;;#ASMSTART
	v_cvt_f16_f32 v49, v10;

	;;#ASMEND
	;;#ASMSTART
	v_cvt_f16_f32 v50, v11;

	;;#ASMEND
	;; [unrolled: 4-line block ×4, first 2 shown]
	s_waitcnt lgkmcnt(0)
	;;#ASMSTART
	v_cvt_f16_f32 v55, v35;

	;;#ASMEND
	;;#ASMSTART
	v_cvt_f16_f32 v53, v36;

	;;#ASMEND
	;; [unrolled: 4-line block ×4, first 2 shown]
	v_mov_b32_e32 v35, 0
	s_waitcnt vmcnt(0)
	v_mad_i64_i32 v[9:10], null, v0, v22, v[2:3]
	flat_load_b64 v[11:12], v[9:10]
	flat_load_b32 v17, v[26:27]
	s_waitcnt vmcnt(1) lgkmcnt(1)
	v_and_b32_e32 v0, 0xff, v11
	s_delay_alu instid0(VALU_DEP_1)
	v_cmpx_ne_u16_e32 0, v0
	s_cbranch_execz .LBB307_427
; %bb.420:                              ;   in Loop: Header=BB307_419 Depth=1
	v_bfrev_b32_e32 v35, 1
	s_mov_b32 s10, exec_lo
	v_cmpx_ne_u16_e32 0x80, v0
	s_cbranch_execz .LBB307_426
; %bb.421:                              ;   in Loop: Header=BB307_419 Depth=1
	v_and_b32_e32 v13, 0x7f, v11
	v_mov_b32_e32 v35, 0x7fc02000
	s_mov_b32 s12, exec_lo
	s_delay_alu instid0(VALU_DEP_2)
	v_cmpx_ne_u32_e32 0x7f, v13
	s_cbranch_execz .LBB307_425
; %bb.422:                              ;   in Loop: Header=BB307_419 Depth=1
	v_lshrrev_b32_e32 v0, 3, v13
	v_cmp_gt_u32_e32 vcc_lo, 8, v13
	v_dual_mov_b32 v14, v12 :: v_dual_mov_b32 v13, v11
	s_and_saveexec_b32 s13, vcc_lo
; %bb.423:                              ;   in Loop: Header=BB307_419 Depth=1
	v_and_b32_e32 v0, 7, v11
	s_delay_alu instid0(VALU_DEP_1) | instskip(NEXT) | instid1(VALU_DEP_1)
	v_clz_i32_u32_e32 v0, v0
	v_min_u32_e32 v0, 32, v0
	s_delay_alu instid0(VALU_DEP_1) | instskip(SKIP_1) | instid1(VALU_DEP_2)
	v_subrev_nc_u32_e32 v13, 28, v0
	v_sub_nc_u32_e32 v0, 29, v0
	v_lshlrev_b64 v[13:14], v13, v[11:12]
; %bb.424:                              ;   in Loop: Header=BB307_419 Depth=1
	s_or_b32 exec_lo, exec_lo, s13
	v_lshlrev_b32_e32 v14, 8, v11
	s_delay_alu instid0(VALU_DEP_3) | instskip(NEXT) | instid1(VALU_DEP_3)
	v_lshl_add_u32 v0, v0, 10, 0x2000
	v_lshlrev_b32_e32 v13, 7, v13
	s_delay_alu instid0(VALU_DEP_2) | instskip(NEXT) | instid1(VALU_DEP_1)
	v_and_or_b32 v0, 0x8000, v14, v0
	v_and_or_b32 v0, 0x380, v13, v0
	s_delay_alu instid0(VALU_DEP_1)
	v_cvt_f32_f16_e32 v35, v0
.LBB307_425:                            ;   in Loop: Header=BB307_419 Depth=1
	s_or_b32 exec_lo, exec_lo, s12
.LBB307_426:                            ;   in Loop: Header=BB307_419 Depth=1
	s_delay_alu instid0(SALU_CYCLE_1)
	s_or_b32 exec_lo, exec_lo, s10
.LBB307_427:                            ;   in Loop: Header=BB307_419 Depth=1
	s_delay_alu instid0(SALU_CYCLE_1) | instskip(SKIP_3) | instid1(VALU_DEP_2)
	s_or_b32 exec_lo, exec_lo, s0
	v_lshrrev_b16 v0, 8, v11
	v_dual_mov_b32 v37, 0 :: v_dual_mov_b32 v36, 0
	s_mov_b32 s0, exec_lo
	v_cmpx_ne_u16_e32 0, v0
	s_cbranch_execz .LBB307_435
; %bb.428:                              ;   in Loop: Header=BB307_419 Depth=1
	v_bfrev_b32_e32 v36, 1
	s_mov_b32 s10, exec_lo
	v_cmpx_ne_u16_e32 0x80, v0
	s_cbranch_execz .LBB307_434
; %bb.429:                              ;   in Loop: Header=BB307_419 Depth=1
	v_and_b32_e32 v13, 0xffff, v0
	v_mov_b32_e32 v36, 0x7fc02000
	s_mov_b32 s12, exec_lo
	s_delay_alu instid0(VALU_DEP_2) | instskip(NEXT) | instid1(VALU_DEP_1)
	v_and_b32_e32 v38, 0x7f, v13
	v_cmpx_ne_u32_e32 0x7f, v38
	s_cbranch_execz .LBB307_433
; %bb.430:                              ;   in Loop: Header=BB307_419 Depth=1
	v_and_b32_e32 v0, 7, v13
	v_lshrrev_b32_e32 v14, 3, v38
	s_mov_b32 s13, exec_lo
	v_cmpx_gt_u32_e32 8, v38
; %bb.431:                              ;   in Loop: Header=BB307_419 Depth=1
	s_delay_alu instid0(VALU_DEP_3) | instskip(NEXT) | instid1(VALU_DEP_1)
	v_clz_i32_u32_e32 v14, v0
	v_min_u32_e32 v14, 32, v14
	s_delay_alu instid0(VALU_DEP_1) | instskip(SKIP_1) | instid1(VALU_DEP_2)
	v_subrev_nc_u32_e32 v36, 28, v14
	v_sub_nc_u32_e32 v14, 29, v14
	v_lshlrev_b64 v[38:39], v36, v[0:1]
	s_delay_alu instid0(VALU_DEP_1)
	v_and_b32_e32 v0, 7, v38
; %bb.432:                              ;   in Loop: Header=BB307_419 Depth=1
	s_or_b32 exec_lo, exec_lo, s13
	v_lshlrev_b32_e32 v13, 8, v13
	v_lshl_add_u32 v14, v14, 10, 0x2000
	s_delay_alu instid0(VALU_DEP_1) | instskip(NEXT) | instid1(VALU_DEP_1)
	v_and_or_b32 v13, 0x8000, v13, v14
	v_lshl_or_b32 v0, v0, 7, v13
	s_delay_alu instid0(VALU_DEP_1)
	v_cvt_f32_f16_e32 v36, v0
.LBB307_433:                            ;   in Loop: Header=BB307_419 Depth=1
	s_or_b32 exec_lo, exec_lo, s12
.LBB307_434:                            ;   in Loop: Header=BB307_419 Depth=1
	s_delay_alu instid0(SALU_CYCLE_1)
	s_or_b32 exec_lo, exec_lo, s10
.LBB307_435:                            ;   in Loop: Header=BB307_419 Depth=1
	s_delay_alu instid0(SALU_CYCLE_1) | instskip(SKIP_2) | instid1(VALU_DEP_1)
	s_or_b32 exec_lo, exec_lo, s0
	v_lshrrev_b32_e32 v13, 16, v11
	s_mov_b32 s0, exec_lo
	v_and_b32_e32 v0, 0xff, v13
	s_delay_alu instid0(VALU_DEP_1)
	v_cmpx_ne_u16_e32 0, v0
	s_cbranch_execz .LBB307_443
; %bb.436:                              ;   in Loop: Header=BB307_419 Depth=1
	v_bfrev_b32_e32 v37, 1
	s_mov_b32 s10, exec_lo
	v_cmpx_ne_u16_e32 0x80, v0
	s_cbranch_execz .LBB307_442
; %bb.437:                              ;   in Loop: Header=BB307_419 Depth=1
	v_bfe_u32 v38, v11, 16, 7
	v_mov_b32_e32 v37, 0x7fc02000
	s_mov_b32 s12, exec_lo
	s_delay_alu instid0(VALU_DEP_2)
	v_cmpx_ne_u32_e32 0x7f, v38
	s_cbranch_execz .LBB307_441
; %bb.438:                              ;   in Loop: Header=BB307_419 Depth=1
	v_and_b32_e32 v0, 7, v13
	v_lshrrev_b32_e32 v14, 3, v38
	s_mov_b32 s13, exec_lo
	v_cmpx_gt_u32_e32 8, v38
; %bb.439:                              ;   in Loop: Header=BB307_419 Depth=1
	s_delay_alu instid0(VALU_DEP_3) | instskip(NEXT) | instid1(VALU_DEP_1)
	v_clz_i32_u32_e32 v14, v0
	v_min_u32_e32 v14, 32, v14
	s_delay_alu instid0(VALU_DEP_1) | instskip(SKIP_1) | instid1(VALU_DEP_2)
	v_subrev_nc_u32_e32 v37, 28, v14
	v_sub_nc_u32_e32 v14, 29, v14
	v_lshlrev_b64 v[37:38], v37, v[0:1]
	s_delay_alu instid0(VALU_DEP_1)
	v_and_b32_e32 v0, 7, v37
; %bb.440:                              ;   in Loop: Header=BB307_419 Depth=1
	s_or_b32 exec_lo, exec_lo, s13
	v_lshlrev_b32_e32 v13, 8, v13
	v_lshl_add_u32 v14, v14, 10, 0x2000
	s_delay_alu instid0(VALU_DEP_1) | instskip(NEXT) | instid1(VALU_DEP_1)
	v_and_or_b32 v13, 0x8000, v13, v14
	v_lshl_or_b32 v0, v0, 7, v13
	s_delay_alu instid0(VALU_DEP_1)
	v_cvt_f32_f16_e32 v37, v0
.LBB307_441:                            ;   in Loop: Header=BB307_419 Depth=1
	s_or_b32 exec_lo, exec_lo, s12
.LBB307_442:                            ;   in Loop: Header=BB307_419 Depth=1
	s_delay_alu instid0(SALU_CYCLE_1)
	s_or_b32 exec_lo, exec_lo, s10
.LBB307_443:                            ;   in Loop: Header=BB307_419 Depth=1
	s_delay_alu instid0(SALU_CYCLE_1)
	s_or_b32 exec_lo, exec_lo, s0
	v_dual_mov_b32 v13, 0 :: v_dual_mov_b32 v38, 0
	s_mov_b32 s0, exec_lo
	v_cmpx_lt_u32_e32 0xffffff, v11
	s_cbranch_execz .LBB307_451
; %bb.444:                              ;   in Loop: Header=BB307_419 Depth=1
	v_lshrrev_b32_e32 v14, 24, v11
	v_bfrev_b32_e32 v38, 1
	s_mov_b32 s10, exec_lo
	s_delay_alu instid0(VALU_DEP_2)
	v_cmpx_ne_u32_e32 0x80, v14
	s_cbranch_execz .LBB307_450
; %bb.445:                              ;   in Loop: Header=BB307_419 Depth=1
	v_and_b32_e32 v39, 0x7f, v14
	v_mov_b32_e32 v38, 0x7fc02000
	s_mov_b32 s12, exec_lo
	s_delay_alu instid0(VALU_DEP_2)
	v_cmpx_ne_u32_e32 0x7f, v39
	s_cbranch_execz .LBB307_449
; %bb.446:                              ;   in Loop: Header=BB307_419 Depth=1
	v_and_b32_e32 v0, 7, v14
	v_lshrrev_b32_e32 v38, 3, v39
	s_mov_b32 s13, exec_lo
	v_cmpx_gt_u32_e32 8, v39
; %bb.447:                              ;   in Loop: Header=BB307_419 Depth=1
	s_delay_alu instid0(VALU_DEP_3) | instskip(NEXT) | instid1(VALU_DEP_1)
	v_clz_i32_u32_e32 v38, v0
	v_min_u32_e32 v38, 32, v38
	s_delay_alu instid0(VALU_DEP_1) | instskip(SKIP_1) | instid1(VALU_DEP_2)
	v_subrev_nc_u32_e32 v39, 28, v38
	v_sub_nc_u32_e32 v38, 29, v38
	v_lshlrev_b64 v[65:66], v39, v[0:1]
	s_delay_alu instid0(VALU_DEP_1)
	v_and_b32_e32 v0, 7, v65
; %bb.448:                              ;   in Loop: Header=BB307_419 Depth=1
	s_or_b32 exec_lo, exec_lo, s13
	v_lshlrev_b32_e32 v14, 8, v14
	v_lshl_add_u32 v38, v38, 10, 0x2000
	s_delay_alu instid0(VALU_DEP_1) | instskip(NEXT) | instid1(VALU_DEP_1)
	v_and_or_b32 v14, 0x8000, v14, v38
	v_lshl_or_b32 v0, v0, 7, v14
	s_delay_alu instid0(VALU_DEP_1)
	v_cvt_f32_f16_e32 v38, v0
.LBB307_449:                            ;   in Loop: Header=BB307_419 Depth=1
	s_or_b32 exec_lo, exec_lo, s12
.LBB307_450:                            ;   in Loop: Header=BB307_419 Depth=1
	s_delay_alu instid0(SALU_CYCLE_1)
	s_or_b32 exec_lo, exec_lo, s10
.LBB307_451:                            ;   in Loop: Header=BB307_419 Depth=1
	s_delay_alu instid0(SALU_CYCLE_1) | instskip(SKIP_3) | instid1(VALU_DEP_2)
	s_or_b32 exec_lo, exec_lo, s0
	v_and_b32_e32 v14, 0xff, v12
	v_mov_b32_e32 v0, v12
	s_mov_b32 s0, exec_lo
	v_cmpx_ne_u16_e32 0, v14
	s_cbranch_execz .LBB307_459
; %bb.452:                              ;   in Loop: Header=BB307_419 Depth=1
	v_bfrev_b32_e32 v13, 1
	s_mov_b32 s10, exec_lo
	v_cmpx_ne_u16_e32 0x80, v14
	s_cbranch_execz .LBB307_458
; %bb.453:                              ;   in Loop: Header=BB307_419 Depth=1
	v_and_b32_e32 v14, 0x7f, v12
	v_mov_b32_e32 v13, 0x7fc02000
	s_mov_b32 s12, exec_lo
	s_delay_alu instid0(VALU_DEP_2)
	v_cmpx_ne_u32_e32 0x7f, v14
	s_cbranch_execz .LBB307_457
; %bb.454:                              ;   in Loop: Header=BB307_419 Depth=1
	v_lshrrev_b32_e32 v39, 3, v14
	v_cmp_gt_u32_e32 vcc_lo, 8, v14
	v_dual_mov_b32 v14, v1 :: v_dual_mov_b32 v13, v0
	s_and_saveexec_b32 s13, vcc_lo
; %bb.455:                              ;   in Loop: Header=BB307_419 Depth=1
	v_and_b32_e32 v13, 7, v12
	s_delay_alu instid0(VALU_DEP_1) | instskip(NEXT) | instid1(VALU_DEP_1)
	v_clz_i32_u32_e32 v13, v13
	v_min_u32_e32 v39, 32, v13
	s_delay_alu instid0(VALU_DEP_1) | instskip(SKIP_1) | instid1(VALU_DEP_2)
	v_subrev_nc_u32_e32 v13, 28, v39
	v_sub_nc_u32_e32 v39, 29, v39
	v_lshlrev_b64 v[13:14], v13, v[0:1]
; %bb.456:                              ;   in Loop: Header=BB307_419 Depth=1
	s_or_b32 exec_lo, exec_lo, s13
	v_lshlrev_b32_e32 v14, 8, v12
	s_delay_alu instid0(VALU_DEP_3) | instskip(NEXT) | instid1(VALU_DEP_3)
	v_lshl_add_u32 v39, v39, 10, 0x2000
	v_lshlrev_b32_e32 v13, 7, v13
	s_delay_alu instid0(VALU_DEP_2) | instskip(NEXT) | instid1(VALU_DEP_1)
	v_and_or_b32 v14, 0x8000, v14, v39
	v_and_or_b32 v13, 0x380, v13, v14
	s_delay_alu instid0(VALU_DEP_1)
	v_cvt_f32_f16_e32 v13, v13
.LBB307_457:                            ;   in Loop: Header=BB307_419 Depth=1
	s_or_b32 exec_lo, exec_lo, s12
.LBB307_458:                            ;   in Loop: Header=BB307_419 Depth=1
	s_delay_alu instid0(SALU_CYCLE_1)
	s_or_b32 exec_lo, exec_lo, s10
.LBB307_459:                            ;   in Loop: Header=BB307_419 Depth=1
	s_delay_alu instid0(SALU_CYCLE_1) | instskip(SKIP_3) | instid1(VALU_DEP_2)
	s_or_b32 exec_lo, exec_lo, s0
	v_lshrrev_b16 v0, 8, v0
	v_dual_mov_b32 v14, 0 :: v_dual_mov_b32 v39, 0
	s_mov_b32 s0, exec_lo
	v_cmpx_ne_u16_e32 0, v0
	s_cbranch_execz .LBB307_467
; %bb.460:                              ;   in Loop: Header=BB307_419 Depth=1
	v_bfrev_b32_e32 v39, 1
	s_mov_b32 s10, exec_lo
	v_cmpx_ne_u16_e32 0x80, v0
	s_cbranch_execz .LBB307_466
; %bb.461:                              ;   in Loop: Header=BB307_419 Depth=1
	v_and_b32_e32 v48, 0xffff, v0
	v_mov_b32_e32 v39, 0x7fc02000
	s_mov_b32 s12, exec_lo
	s_delay_alu instid0(VALU_DEP_2) | instskip(NEXT) | instid1(VALU_DEP_1)
	v_and_b32_e32 v65, 0x7f, v48
	v_cmpx_ne_u32_e32 0x7f, v65
	s_cbranch_execz .LBB307_465
; %bb.462:                              ;   in Loop: Header=BB307_419 Depth=1
	v_and_b32_e32 v0, 7, v48
	v_lshrrev_b32_e32 v39, 3, v65
	s_mov_b32 s13, exec_lo
	v_cmpx_gt_u32_e32 8, v65
; %bb.463:                              ;   in Loop: Header=BB307_419 Depth=1
	s_delay_alu instid0(VALU_DEP_3) | instskip(NEXT) | instid1(VALU_DEP_1)
	v_clz_i32_u32_e32 v39, v0
	v_min_u32_e32 v39, 32, v39
	s_delay_alu instid0(VALU_DEP_1) | instskip(SKIP_1) | instid1(VALU_DEP_2)
	v_subrev_nc_u32_e32 v65, 28, v39
	v_sub_nc_u32_e32 v39, 29, v39
	v_lshlrev_b64 v[65:66], v65, v[0:1]
	s_delay_alu instid0(VALU_DEP_1)
	v_and_b32_e32 v0, 7, v65
; %bb.464:                              ;   in Loop: Header=BB307_419 Depth=1
	s_or_b32 exec_lo, exec_lo, s13
	v_lshlrev_b32_e32 v48, 8, v48
	v_lshl_add_u32 v39, v39, 10, 0x2000
	s_delay_alu instid0(VALU_DEP_1) | instskip(NEXT) | instid1(VALU_DEP_1)
	v_and_or_b32 v39, 0x8000, v48, v39
	v_lshl_or_b32 v0, v0, 7, v39
	s_delay_alu instid0(VALU_DEP_1)
	v_cvt_f32_f16_e32 v39, v0
.LBB307_465:                            ;   in Loop: Header=BB307_419 Depth=1
	s_or_b32 exec_lo, exec_lo, s12
.LBB307_466:                            ;   in Loop: Header=BB307_419 Depth=1
	s_delay_alu instid0(SALU_CYCLE_1)
	s_or_b32 exec_lo, exec_lo, s10
.LBB307_467:                            ;   in Loop: Header=BB307_419 Depth=1
	s_delay_alu instid0(SALU_CYCLE_1) | instskip(SKIP_2) | instid1(VALU_DEP_1)
	s_or_b32 exec_lo, exec_lo, s0
	v_lshrrev_b32_e32 v48, 16, v12
	s_mov_b32 s0, exec_lo
	v_and_b32_e32 v0, 0xff, v48
	s_delay_alu instid0(VALU_DEP_1)
	v_cmpx_ne_u16_e32 0, v0
	s_cbranch_execz .LBB307_475
; %bb.468:                              ;   in Loop: Header=BB307_419 Depth=1
	v_bfrev_b32_e32 v14, 1
	s_mov_b32 s10, exec_lo
	v_cmpx_ne_u16_e32 0x80, v0
	s_cbranch_execz .LBB307_474
; %bb.469:                              ;   in Loop: Header=BB307_419 Depth=1
	v_bfe_u32 v65, v12, 16, 7
	v_mov_b32_e32 v14, 0x7fc02000
	s_mov_b32 s12, exec_lo
	s_delay_alu instid0(VALU_DEP_2)
	v_cmpx_ne_u32_e32 0x7f, v65
	s_cbranch_execz .LBB307_473
; %bb.470:                              ;   in Loop: Header=BB307_419 Depth=1
	v_and_b32_e32 v0, 7, v48
	v_lshrrev_b32_e32 v14, 3, v65
	s_mov_b32 s13, exec_lo
	v_cmpx_gt_u32_e32 8, v65
; %bb.471:                              ;   in Loop: Header=BB307_419 Depth=1
	s_delay_alu instid0(VALU_DEP_3) | instskip(NEXT) | instid1(VALU_DEP_1)
	v_clz_i32_u32_e32 v14, v0
	v_min_u32_e32 v14, 32, v14
	s_delay_alu instid0(VALU_DEP_1) | instskip(SKIP_1) | instid1(VALU_DEP_2)
	v_subrev_nc_u32_e32 v65, 28, v14
	v_sub_nc_u32_e32 v14, 29, v14
	v_lshlrev_b64 v[65:66], v65, v[0:1]
	s_delay_alu instid0(VALU_DEP_1)
	v_and_b32_e32 v0, 7, v65
; %bb.472:                              ;   in Loop: Header=BB307_419 Depth=1
	s_or_b32 exec_lo, exec_lo, s13
	v_lshlrev_b32_e32 v48, 8, v48
	v_lshl_add_u32 v14, v14, 10, 0x2000
	s_delay_alu instid0(VALU_DEP_1) | instskip(NEXT) | instid1(VALU_DEP_1)
	v_and_or_b32 v14, 0x8000, v48, v14
	v_lshl_or_b32 v0, v0, 7, v14
	s_delay_alu instid0(VALU_DEP_1)
	v_cvt_f32_f16_e32 v14, v0
.LBB307_473:                            ;   in Loop: Header=BB307_419 Depth=1
	s_or_b32 exec_lo, exec_lo, s12
.LBB307_474:                            ;   in Loop: Header=BB307_419 Depth=1
	s_delay_alu instid0(SALU_CYCLE_1)
	s_or_b32 exec_lo, exec_lo, s10
.LBB307_475:                            ;   in Loop: Header=BB307_419 Depth=1
	s_delay_alu instid0(SALU_CYCLE_1)
	s_or_b32 exec_lo, exec_lo, s0
	v_mov_b32_e32 v0, 0
	s_mov_b32 s0, exec_lo
	v_cmpx_lt_u64_e64 s[8:9], v[11:12]
	s_cbranch_execz .LBB307_483
; %bb.476:                              ;   in Loop: Header=BB307_419 Depth=1
	v_lshrrev_b32_e32 v11, 24, v12
	v_bfrev_b32_e32 v0, 1
	s_mov_b32 s10, exec_lo
	s_delay_alu instid0(VALU_DEP_2)
	v_cmpx_ne_u32_e32 0x80, v11
	s_cbranch_execz .LBB307_482
; %bb.477:                              ;   in Loop: Header=BB307_419 Depth=1
	v_and_b32_e32 v48, 0x7f, v11
	v_mov_b32_e32 v0, 0x7fc02000
	s_mov_b32 s12, exec_lo
	s_delay_alu instid0(VALU_DEP_2)
	v_cmpx_ne_u32_e32 0x7f, v48
	s_cbranch_execz .LBB307_481
; %bb.478:                              ;   in Loop: Header=BB307_419 Depth=1
	v_and_b32_e32 v0, 7, v11
	v_lshrrev_b32_e32 v12, 3, v48
	s_mov_b32 s13, exec_lo
	v_cmpx_gt_u32_e32 8, v48
; %bb.479:                              ;   in Loop: Header=BB307_419 Depth=1
	s_delay_alu instid0(VALU_DEP_3) | instskip(NEXT) | instid1(VALU_DEP_1)
	v_clz_i32_u32_e32 v12, v0
	v_min_u32_e32 v12, 32, v12
	s_delay_alu instid0(VALU_DEP_1) | instskip(SKIP_1) | instid1(VALU_DEP_2)
	v_subrev_nc_u32_e32 v48, 28, v12
	v_sub_nc_u32_e32 v12, 29, v12
	v_lshlrev_b64 v[65:66], v48, v[0:1]
	s_delay_alu instid0(VALU_DEP_1)
	v_and_b32_e32 v0, 7, v65
; %bb.480:                              ;   in Loop: Header=BB307_419 Depth=1
	s_or_b32 exec_lo, exec_lo, s13
	v_lshlrev_b32_e32 v11, 8, v11
	v_lshl_add_u32 v12, v12, 10, 0x2000
	s_delay_alu instid0(VALU_DEP_1) | instskip(NEXT) | instid1(VALU_DEP_1)
	v_and_or_b32 v11, 0x8000, v11, v12
	v_lshl_or_b32 v0, v0, 7, v11
	s_delay_alu instid0(VALU_DEP_1)
	v_cvt_f32_f16_e32 v0, v0
.LBB307_481:                            ;   in Loop: Header=BB307_419 Depth=1
	s_or_b32 exec_lo, exec_lo, s12
.LBB307_482:                            ;   in Loop: Header=BB307_419 Depth=1
	s_delay_alu instid0(SALU_CYCLE_1)
	s_or_b32 exec_lo, exec_lo, s10
.LBB307_483:                            ;   in Loop: Header=BB307_419 Depth=1
	s_delay_alu instid0(SALU_CYCLE_1)
	s_or_b32 exec_lo, exec_lo, s0
	s_waitcnt vmcnt(0) lgkmcnt(0)
	v_fma_mixlo_f16 v11, v17, v38, 0
	v_fma_mixlo_f16 v12, v17, v37, 0
	;; [unrolled: 1-line block ×8, first 2 shown]
	v_lshlrev_b32_e32 v11, 16, v11
	v_and_b32_e32 v12, 0xffff, v12
	v_lshlrev_b32_e32 v36, 16, v36
	v_and_b32_e32 v14, 0xffff, v35
	v_lshlrev_b32_e32 v17, 16, v37
	v_and_b32_e32 v35, 0xffff, v38
	v_lshlrev_b32_e32 v37, 16, v0
	v_and_b32_e32 v38, 0xffff, v13
	v_cmp_eq_u32_e32 vcc_lo, v23, v6
	v_or_b32_e32 v12, v11, v12
	v_or_b32_e32 v14, v36, v14
	;; [unrolled: 1-line block ×4, first 2 shown]
	v_add_nc_u32_e32 v48, 1, v15
	v_or_b32_e32 v39, 3, v15
	v_or_b32_e32 v38, 2, v15
	;; [unrolled: 1-line block ×6, first 2 shown]
	s_and_saveexec_b32 s10, vcc_lo
	s_cbranch_execz .LBB307_485
; %bb.484:                              ;   in Loop: Header=BB307_419 Depth=1
	v_cmp_lt_i32_e64 s0, v15, v32
	v_lshrrev_b32_e32 v65, 16, v14
	v_lshrrev_b32_e32 v66, 16, v12
	;; [unrolled: 1-line block ×4, first 2 shown]
	v_cndmask_b32_e64 v14, 0, v14, s0
	v_cmp_lt_i32_e64 s0, v48, v29
	s_delay_alu instid0(VALU_DEP_1) | instskip(SKIP_1) | instid1(VALU_DEP_2)
	v_cndmask_b32_e64 v65, 0, v65, s0
	v_cmp_lt_i32_e64 s0, v39, v29
	v_perm_b32 v14, v65, v14, 0x5040100
	s_delay_alu instid0(VALU_DEP_2) | instskip(SKIP_1) | instid1(VALU_DEP_1)
	v_cndmask_b32_e64 v66, 0, v66, s0
	v_cmp_lt_i32_e64 s0, v38, v32
	v_cndmask_b32_e64 v12, 0, v12, s0
	v_cmp_lt_i32_e64 s0, v37, v29
	s_delay_alu instid0(VALU_DEP_2) | instskip(NEXT) | instid1(VALU_DEP_2)
	v_perm_b32 v12, v66, v12, 0x5040100
	v_cndmask_b32_e64 v67, 0, v67, s0
	v_cmp_lt_i32_e64 s0, v36, v32
	s_delay_alu instid0(VALU_DEP_1) | instskip(SKIP_1) | instid1(VALU_DEP_2)
	v_cndmask_b32_e64 v0, 0, v0, s0
	v_cmp_lt_i32_e64 s0, v35, v29
	v_perm_b32 v0, v67, v0, 0x5040100
	s_delay_alu instid0(VALU_DEP_2) | instskip(SKIP_1) | instid1(VALU_DEP_1)
	v_cndmask_b32_e64 v11, 0, v11, s0
	v_cmp_lt_i32_e64 s0, v17, v32
	v_cndmask_b32_e64 v13, 0, v13, s0
	s_delay_alu instid0(VALU_DEP_1)
	v_perm_b32 v11, v11, v13, 0x5040100
.LBB307_485:                            ;   in Loop: Header=BB307_419 Depth=1
	s_or_b32 exec_lo, exec_lo, s10
	v_and_b32_e32 v13, 0xffff, v49
	v_and_b32_e32 v49, 0xffff, v52
	;; [unrolled: 1-line block ×3, first 2 shown]
	v_dual_mov_b32 v65, 0 :: v_dual_and_b32 v64, 0xffff, v64
	s_mov_b32 s10, exec_lo
	s_delay_alu instid0(VALU_DEP_3) | instskip(NEXT) | instid1(VALU_DEP_2)
	v_lshl_or_b32 v51, v51, 16, v49
	v_lshl_or_b32 v49, v54, 16, v64
	v_mov_b32_e32 v64, 0
	v_lshl_or_b32 v52, v50, 16, v13
	v_lshl_or_b32 v50, v53, 16, v55
	;;#ASMSTART
	v_pk_mul_f16 v13, v52, v14;

	;;#ASMEND
	;;#ASMSTART
	v_pk_mul_f16 v12, v51, v12;

	;;#ASMEND
	;; [unrolled: 4-line block ×4, first 2 shown]
	;;#ASMSTART
	v_pk_add_f16 v12, v13, v12;

	;;#ASMEND
	;;#ASMSTART
	v_pk_add_f16 v0, v12, v0;

	;;#ASMEND
	;; [unrolled: 4-line block ×3, first 2 shown]
	v_and_b32_e32 v11, 0xffff, v0
	v_lshrrev_b32_e32 v0, 16, v0
	;;#ASMSTART
	v_cvt_f32_f16 v53, v11;
	;;#ASMEND
	;;#ASMSTART
	v_cvt_f32_f16 v54, v0;
	;;#ASMEND
	flat_load_b64 v[11:12], v[9:10] offset:256
	flat_load_b32 v55, v[26:27]
	s_waitcnt vmcnt(1) lgkmcnt(1)
	v_and_b32_e32 v0, 0xff, v11
	s_delay_alu instid0(VALU_DEP_1)
	v_cmpx_ne_u16_e32 0, v0
	s_cbranch_execz .LBB307_493
; %bb.486:                              ;   in Loop: Header=BB307_419 Depth=1
	v_bfrev_b32_e32 v64, 1
	s_mov_b32 s12, exec_lo
	v_cmpx_ne_u16_e32 0x80, v0
	s_cbranch_execz .LBB307_492
; %bb.487:                              ;   in Loop: Header=BB307_419 Depth=1
	v_and_b32_e32 v13, 0x7f, v11
	v_mov_b32_e32 v64, 0x7fc02000
	s_mov_b32 s13, exec_lo
	s_delay_alu instid0(VALU_DEP_2)
	v_cmpx_ne_u32_e32 0x7f, v13
	s_cbranch_execz .LBB307_491
; %bb.488:                              ;   in Loop: Header=BB307_419 Depth=1
	v_lshrrev_b32_e32 v0, 3, v13
	v_cmp_gt_u32_e64 s0, 8, v13
	v_dual_mov_b32 v14, v12 :: v_dual_mov_b32 v13, v11
	s_delay_alu instid0(VALU_DEP_2)
	s_and_saveexec_b32 s15, s0
; %bb.489:                              ;   in Loop: Header=BB307_419 Depth=1
	v_and_b32_e32 v0, 7, v11
	s_delay_alu instid0(VALU_DEP_1) | instskip(NEXT) | instid1(VALU_DEP_1)
	v_clz_i32_u32_e32 v0, v0
	v_min_u32_e32 v0, 32, v0
	s_delay_alu instid0(VALU_DEP_1) | instskip(SKIP_1) | instid1(VALU_DEP_2)
	v_subrev_nc_u32_e32 v13, 28, v0
	v_sub_nc_u32_e32 v0, 29, v0
	v_lshlrev_b64 v[13:14], v13, v[11:12]
; %bb.490:                              ;   in Loop: Header=BB307_419 Depth=1
	s_or_b32 exec_lo, exec_lo, s15
	v_lshlrev_b32_e32 v14, 8, v11
	s_delay_alu instid0(VALU_DEP_3) | instskip(NEXT) | instid1(VALU_DEP_3)
	v_lshl_add_u32 v0, v0, 10, 0x2000
	v_lshlrev_b32_e32 v13, 7, v13
	s_delay_alu instid0(VALU_DEP_2) | instskip(NEXT) | instid1(VALU_DEP_1)
	v_and_or_b32 v0, 0x8000, v14, v0
	v_and_or_b32 v0, 0x380, v13, v0
	s_delay_alu instid0(VALU_DEP_1)
	v_cvt_f32_f16_e32 v64, v0
.LBB307_491:                            ;   in Loop: Header=BB307_419 Depth=1
	s_or_b32 exec_lo, exec_lo, s13
.LBB307_492:                            ;   in Loop: Header=BB307_419 Depth=1
	s_delay_alu instid0(SALU_CYCLE_1)
	s_or_b32 exec_lo, exec_lo, s12
.LBB307_493:                            ;   in Loop: Header=BB307_419 Depth=1
	s_delay_alu instid0(SALU_CYCLE_1) | instskip(SKIP_2) | instid1(VALU_DEP_1)
	s_or_b32 exec_lo, exec_lo, s10
	v_lshrrev_b16 v0, 8, v11
	s_mov_b32 s10, exec_lo
	v_cmpx_ne_u16_e32 0, v0
	s_cbranch_execz .LBB307_501
; %bb.494:                              ;   in Loop: Header=BB307_419 Depth=1
	v_bfrev_b32_e32 v65, 1
	s_mov_b32 s12, exec_lo
	v_cmpx_ne_u16_e32 0x80, v0
	s_cbranch_execz .LBB307_500
; %bb.495:                              ;   in Loop: Header=BB307_419 Depth=1
	v_and_b32_e32 v13, 0xffff, v0
	v_mov_b32_e32 v65, 0x7fc02000
	s_mov_b32 s13, exec_lo
	s_delay_alu instid0(VALU_DEP_2) | instskip(NEXT) | instid1(VALU_DEP_1)
	v_and_b32_e32 v66, 0x7f, v13
	v_cmpx_ne_u32_e32 0x7f, v66
	s_cbranch_execz .LBB307_499
; %bb.496:                              ;   in Loop: Header=BB307_419 Depth=1
	v_and_b32_e32 v0, 7, v13
	v_lshrrev_b32_e32 v14, 3, v66
	s_mov_b32 s15, exec_lo
	v_cmpx_gt_u32_e32 8, v66
; %bb.497:                              ;   in Loop: Header=BB307_419 Depth=1
	s_delay_alu instid0(VALU_DEP_3) | instskip(NEXT) | instid1(VALU_DEP_1)
	v_clz_i32_u32_e32 v14, v0
	v_min_u32_e32 v14, 32, v14
	s_delay_alu instid0(VALU_DEP_1) | instskip(SKIP_1) | instid1(VALU_DEP_2)
	v_subrev_nc_u32_e32 v65, 28, v14
	v_sub_nc_u32_e32 v14, 29, v14
	v_lshlrev_b64 v[65:66], v65, v[0:1]
	s_delay_alu instid0(VALU_DEP_1)
	v_and_b32_e32 v0, 7, v65
; %bb.498:                              ;   in Loop: Header=BB307_419 Depth=1
	s_or_b32 exec_lo, exec_lo, s15
	v_lshlrev_b32_e32 v13, 8, v13
	v_lshl_add_u32 v14, v14, 10, 0x2000
	s_delay_alu instid0(VALU_DEP_1) | instskip(NEXT) | instid1(VALU_DEP_1)
	v_and_or_b32 v13, 0x8000, v13, v14
	v_lshl_or_b32 v0, v0, 7, v13
	s_delay_alu instid0(VALU_DEP_1)
	v_cvt_f32_f16_e32 v65, v0
.LBB307_499:                            ;   in Loop: Header=BB307_419 Depth=1
	s_or_b32 exec_lo, exec_lo, s13
.LBB307_500:                            ;   in Loop: Header=BB307_419 Depth=1
	s_delay_alu instid0(SALU_CYCLE_1)
	s_or_b32 exec_lo, exec_lo, s12
.LBB307_501:                            ;   in Loop: Header=BB307_419 Depth=1
	s_delay_alu instid0(SALU_CYCLE_1) | instskip(SKIP_3) | instid1(VALU_DEP_2)
	s_or_b32 exec_lo, exec_lo, s10
	v_lshrrev_b32_e32 v13, 16, v11
	v_mov_b32_e32 v66, 0
	s_mov_b32 s10, exec_lo
	v_dual_mov_b32 v67, 0 :: v_dual_and_b32 v0, 0xff, v13
	s_delay_alu instid0(VALU_DEP_1)
	v_cmpx_ne_u16_e32 0, v0
	s_cbranch_execz .LBB307_509
; %bb.502:                              ;   in Loop: Header=BB307_419 Depth=1
	v_bfrev_b32_e32 v66, 1
	s_mov_b32 s12, exec_lo
	v_cmpx_ne_u16_e32 0x80, v0
	s_cbranch_execz .LBB307_508
; %bb.503:                              ;   in Loop: Header=BB307_419 Depth=1
	v_bfe_u32 v68, v11, 16, 7
	v_mov_b32_e32 v66, 0x7fc02000
	s_mov_b32 s13, exec_lo
	s_delay_alu instid0(VALU_DEP_2)
	v_cmpx_ne_u32_e32 0x7f, v68
	s_cbranch_execz .LBB307_507
; %bb.504:                              ;   in Loop: Header=BB307_419 Depth=1
	v_and_b32_e32 v0, 7, v13
	v_lshrrev_b32_e32 v14, 3, v68
	s_mov_b32 s15, exec_lo
	v_cmpx_gt_u32_e32 8, v68
; %bb.505:                              ;   in Loop: Header=BB307_419 Depth=1
	s_delay_alu instid0(VALU_DEP_3) | instskip(NEXT) | instid1(VALU_DEP_1)
	v_clz_i32_u32_e32 v14, v0
	v_min_u32_e32 v14, 32, v14
	s_delay_alu instid0(VALU_DEP_1) | instskip(SKIP_1) | instid1(VALU_DEP_2)
	v_subrev_nc_u32_e32 v66, 28, v14
	v_sub_nc_u32_e32 v14, 29, v14
	v_lshlrev_b64 v[68:69], v66, v[0:1]
	s_delay_alu instid0(VALU_DEP_1)
	v_and_b32_e32 v0, 7, v68
; %bb.506:                              ;   in Loop: Header=BB307_419 Depth=1
	s_or_b32 exec_lo, exec_lo, s15
	v_lshlrev_b32_e32 v13, 8, v13
	v_lshl_add_u32 v14, v14, 10, 0x2000
	s_delay_alu instid0(VALU_DEP_1) | instskip(NEXT) | instid1(VALU_DEP_1)
	v_and_or_b32 v13, 0x8000, v13, v14
	v_lshl_or_b32 v0, v0, 7, v13
	s_delay_alu instid0(VALU_DEP_1)
	v_cvt_f32_f16_e32 v66, v0
.LBB307_507:                            ;   in Loop: Header=BB307_419 Depth=1
	s_or_b32 exec_lo, exec_lo, s13
.LBB307_508:                            ;   in Loop: Header=BB307_419 Depth=1
	s_delay_alu instid0(SALU_CYCLE_1)
	s_or_b32 exec_lo, exec_lo, s12
.LBB307_509:                            ;   in Loop: Header=BB307_419 Depth=1
	s_delay_alu instid0(SALU_CYCLE_1) | instskip(NEXT) | instid1(SALU_CYCLE_1)
	s_or_b32 exec_lo, exec_lo, s10
	s_mov_b32 s10, exec_lo
	v_cmpx_lt_u32_e32 0xffffff, v11
	s_cbranch_execz .LBB307_517
; %bb.510:                              ;   in Loop: Header=BB307_419 Depth=1
	v_lshrrev_b32_e32 v13, 24, v11
	v_bfrev_b32_e32 v67, 1
	s_mov_b32 s12, exec_lo
	s_delay_alu instid0(VALU_DEP_2)
	v_cmpx_ne_u32_e32 0x80, v13
	s_cbranch_execz .LBB307_516
; %bb.511:                              ;   in Loop: Header=BB307_419 Depth=1
	v_and_b32_e32 v68, 0x7f, v13
	v_mov_b32_e32 v67, 0x7fc02000
	s_mov_b32 s13, exec_lo
	s_delay_alu instid0(VALU_DEP_2)
	v_cmpx_ne_u32_e32 0x7f, v68
	s_cbranch_execz .LBB307_515
; %bb.512:                              ;   in Loop: Header=BB307_419 Depth=1
	v_and_b32_e32 v0, 7, v13
	v_lshrrev_b32_e32 v14, 3, v68
	s_mov_b32 s15, exec_lo
	v_cmpx_gt_u32_e32 8, v68
; %bb.513:                              ;   in Loop: Header=BB307_419 Depth=1
	s_delay_alu instid0(VALU_DEP_3) | instskip(NEXT) | instid1(VALU_DEP_1)
	v_clz_i32_u32_e32 v14, v0
	v_min_u32_e32 v14, 32, v14
	s_delay_alu instid0(VALU_DEP_1) | instskip(SKIP_1) | instid1(VALU_DEP_2)
	v_subrev_nc_u32_e32 v67, 28, v14
	v_sub_nc_u32_e32 v14, 29, v14
	v_lshlrev_b64 v[67:68], v67, v[0:1]
	s_delay_alu instid0(VALU_DEP_1)
	v_and_b32_e32 v0, 7, v67
; %bb.514:                              ;   in Loop: Header=BB307_419 Depth=1
	s_or_b32 exec_lo, exec_lo, s15
	v_lshlrev_b32_e32 v13, 8, v13
	v_lshl_add_u32 v14, v14, 10, 0x2000
	s_delay_alu instid0(VALU_DEP_1) | instskip(NEXT) | instid1(VALU_DEP_1)
	v_and_or_b32 v13, 0x8000, v13, v14
	v_lshl_or_b32 v0, v0, 7, v13
	s_delay_alu instid0(VALU_DEP_1)
	v_cvt_f32_f16_e32 v67, v0
.LBB307_515:                            ;   in Loop: Header=BB307_419 Depth=1
	s_or_b32 exec_lo, exec_lo, s13
.LBB307_516:                            ;   in Loop: Header=BB307_419 Depth=1
	s_delay_alu instid0(SALU_CYCLE_1)
	s_or_b32 exec_lo, exec_lo, s12
.LBB307_517:                            ;   in Loop: Header=BB307_419 Depth=1
	s_delay_alu instid0(SALU_CYCLE_1) | instskip(SKIP_4) | instid1(VALU_DEP_3)
	s_or_b32 exec_lo, exec_lo, s10
	v_dual_mov_b32 v13, 0 :: v_dual_and_b32 v14, 0xff, v12
	v_mov_b32_e32 v0, v12
	v_mov_b32_e32 v68, 0
	s_mov_b32 s10, exec_lo
	v_cmpx_ne_u16_e32 0, v14
	s_cbranch_execz .LBB307_525
; %bb.518:                              ;   in Loop: Header=BB307_419 Depth=1
	v_bfrev_b32_e32 v13, 1
	s_mov_b32 s12, exec_lo
	v_cmpx_ne_u16_e32 0x80, v14
	s_cbranch_execz .LBB307_524
; %bb.519:                              ;   in Loop: Header=BB307_419 Depth=1
	v_and_b32_e32 v14, 0x7f, v12
	v_mov_b32_e32 v13, 0x7fc02000
	s_mov_b32 s13, exec_lo
	s_delay_alu instid0(VALU_DEP_2)
	v_cmpx_ne_u32_e32 0x7f, v14
	s_cbranch_execz .LBB307_523
; %bb.520:                              ;   in Loop: Header=BB307_419 Depth=1
	v_lshrrev_b32_e32 v69, 3, v14
	v_cmp_gt_u32_e64 s0, 8, v14
	v_dual_mov_b32 v14, v1 :: v_dual_mov_b32 v13, v0
	s_delay_alu instid0(VALU_DEP_2)
	s_and_saveexec_b32 s15, s0
; %bb.521:                              ;   in Loop: Header=BB307_419 Depth=1
	v_and_b32_e32 v13, 7, v12
	s_delay_alu instid0(VALU_DEP_1) | instskip(NEXT) | instid1(VALU_DEP_1)
	v_clz_i32_u32_e32 v13, v13
	v_min_u32_e32 v69, 32, v13
	s_delay_alu instid0(VALU_DEP_1) | instskip(SKIP_1) | instid1(VALU_DEP_2)
	v_subrev_nc_u32_e32 v13, 28, v69
	v_sub_nc_u32_e32 v69, 29, v69
	v_lshlrev_b64 v[13:14], v13, v[0:1]
; %bb.522:                              ;   in Loop: Header=BB307_419 Depth=1
	s_or_b32 exec_lo, exec_lo, s15
	v_lshlrev_b32_e32 v14, 8, v12
	s_delay_alu instid0(VALU_DEP_3) | instskip(NEXT) | instid1(VALU_DEP_3)
	v_lshl_add_u32 v69, v69, 10, 0x2000
	v_lshlrev_b32_e32 v13, 7, v13
	s_delay_alu instid0(VALU_DEP_2) | instskip(NEXT) | instid1(VALU_DEP_1)
	v_and_or_b32 v14, 0x8000, v14, v69
	v_and_or_b32 v13, 0x380, v13, v14
	s_delay_alu instid0(VALU_DEP_1)
	v_cvt_f32_f16_e32 v13, v13
.LBB307_523:                            ;   in Loop: Header=BB307_419 Depth=1
	s_or_b32 exec_lo, exec_lo, s13
.LBB307_524:                            ;   in Loop: Header=BB307_419 Depth=1
	s_delay_alu instid0(SALU_CYCLE_1)
	s_or_b32 exec_lo, exec_lo, s12
.LBB307_525:                            ;   in Loop: Header=BB307_419 Depth=1
	s_delay_alu instid0(SALU_CYCLE_1) | instskip(SKIP_2) | instid1(VALU_DEP_1)
	s_or_b32 exec_lo, exec_lo, s10
	v_lshrrev_b16 v0, 8, v0
	s_mov_b32 s10, exec_lo
	v_cmpx_ne_u16_e32 0, v0
	s_cbranch_execz .LBB307_533
; %bb.526:                              ;   in Loop: Header=BB307_419 Depth=1
	v_bfrev_b32_e32 v68, 1
	s_mov_b32 s12, exec_lo
	v_cmpx_ne_u16_e32 0x80, v0
	s_cbranch_execz .LBB307_532
; %bb.527:                              ;   in Loop: Header=BB307_419 Depth=1
	v_and_b32_e32 v14, 0xffff, v0
	v_mov_b32_e32 v68, 0x7fc02000
	s_mov_b32 s13, exec_lo
	s_delay_alu instid0(VALU_DEP_2) | instskip(NEXT) | instid1(VALU_DEP_1)
	v_and_b32_e32 v69, 0x7f, v14
	v_cmpx_ne_u32_e32 0x7f, v69
	s_cbranch_execz .LBB307_531
; %bb.528:                              ;   in Loop: Header=BB307_419 Depth=1
	v_and_b32_e32 v0, 7, v14
	v_lshrrev_b32_e32 v68, 3, v69
	s_mov_b32 s15, exec_lo
	v_cmpx_gt_u32_e32 8, v69
; %bb.529:                              ;   in Loop: Header=BB307_419 Depth=1
	s_delay_alu instid0(VALU_DEP_3) | instskip(NEXT) | instid1(VALU_DEP_1)
	v_clz_i32_u32_e32 v68, v0
	v_min_u32_e32 v68, 32, v68
	s_delay_alu instid0(VALU_DEP_1) | instskip(SKIP_1) | instid1(VALU_DEP_2)
	v_subrev_nc_u32_e32 v69, 28, v68
	v_sub_nc_u32_e32 v68, 29, v68
	v_lshlrev_b64 v[69:70], v69, v[0:1]
	s_delay_alu instid0(VALU_DEP_1)
	v_and_b32_e32 v0, 7, v69
; %bb.530:                              ;   in Loop: Header=BB307_419 Depth=1
	s_or_b32 exec_lo, exec_lo, s15
	v_lshlrev_b32_e32 v14, 8, v14
	v_lshl_add_u32 v68, v68, 10, 0x2000
	s_delay_alu instid0(VALU_DEP_1) | instskip(NEXT) | instid1(VALU_DEP_1)
	v_and_or_b32 v14, 0x8000, v14, v68
	v_lshl_or_b32 v0, v0, 7, v14
	s_delay_alu instid0(VALU_DEP_1)
	v_cvt_f32_f16_e32 v68, v0
.LBB307_531:                            ;   in Loop: Header=BB307_419 Depth=1
	s_or_b32 exec_lo, exec_lo, s13
.LBB307_532:                            ;   in Loop: Header=BB307_419 Depth=1
	s_delay_alu instid0(SALU_CYCLE_1)
	s_or_b32 exec_lo, exec_lo, s12
.LBB307_533:                            ;   in Loop: Header=BB307_419 Depth=1
	s_delay_alu instid0(SALU_CYCLE_1) | instskip(SKIP_3) | instid1(VALU_DEP_2)
	s_or_b32 exec_lo, exec_lo, s10
	v_lshrrev_b32_e32 v70, 16, v12
	v_mov_b32_e32 v14, 0
	s_mov_b32 s10, exec_lo
	v_dual_mov_b32 v69, 0 :: v_dual_and_b32 v0, 0xff, v70
	s_delay_alu instid0(VALU_DEP_1)
	v_cmpx_ne_u16_e32 0, v0
	s_cbranch_execz .LBB307_541
; %bb.534:                              ;   in Loop: Header=BB307_419 Depth=1
	v_bfrev_b32_e32 v14, 1
	s_mov_b32 s12, exec_lo
	v_cmpx_ne_u16_e32 0x80, v0
	s_cbranch_execz .LBB307_540
; %bb.535:                              ;   in Loop: Header=BB307_419 Depth=1
	v_bfe_u32 v71, v12, 16, 7
	v_mov_b32_e32 v14, 0x7fc02000
	s_mov_b32 s13, exec_lo
	s_delay_alu instid0(VALU_DEP_2)
	v_cmpx_ne_u32_e32 0x7f, v71
	s_cbranch_execz .LBB307_539
; %bb.536:                              ;   in Loop: Header=BB307_419 Depth=1
	v_and_b32_e32 v0, 7, v70
	v_lshrrev_b32_e32 v14, 3, v71
	s_mov_b32 s15, exec_lo
	v_cmpx_gt_u32_e32 8, v71
; %bb.537:                              ;   in Loop: Header=BB307_419 Depth=1
	s_delay_alu instid0(VALU_DEP_3) | instskip(NEXT) | instid1(VALU_DEP_1)
	v_clz_i32_u32_e32 v14, v0
	v_min_u32_e32 v14, 32, v14
	s_delay_alu instid0(VALU_DEP_1) | instskip(SKIP_1) | instid1(VALU_DEP_2)
	v_subrev_nc_u32_e32 v71, 28, v14
	v_sub_nc_u32_e32 v14, 29, v14
	v_lshlrev_b64 v[80:81], v71, v[0:1]
	s_delay_alu instid0(VALU_DEP_1)
	v_and_b32_e32 v0, 7, v80
; %bb.538:                              ;   in Loop: Header=BB307_419 Depth=1
	s_or_b32 exec_lo, exec_lo, s15
	v_lshlrev_b32_e32 v70, 8, v70
	v_lshl_add_u32 v14, v14, 10, 0x2000
	s_delay_alu instid0(VALU_DEP_1) | instskip(NEXT) | instid1(VALU_DEP_1)
	v_and_or_b32 v14, 0x8000, v70, v14
	v_lshl_or_b32 v0, v0, 7, v14
	s_delay_alu instid0(VALU_DEP_1)
	v_cvt_f32_f16_e32 v14, v0
.LBB307_539:                            ;   in Loop: Header=BB307_419 Depth=1
	s_or_b32 exec_lo, exec_lo, s13
.LBB307_540:                            ;   in Loop: Header=BB307_419 Depth=1
	s_delay_alu instid0(SALU_CYCLE_1)
	s_or_b32 exec_lo, exec_lo, s12
.LBB307_541:                            ;   in Loop: Header=BB307_419 Depth=1
	s_delay_alu instid0(SALU_CYCLE_1) | instskip(NEXT) | instid1(SALU_CYCLE_1)
	s_or_b32 exec_lo, exec_lo, s10
	s_mov_b32 s10, exec_lo
	v_cmpx_lt_u64_e64 s[8:9], v[11:12]
	s_cbranch_execz .LBB307_549
; %bb.542:                              ;   in Loop: Header=BB307_419 Depth=1
	v_lshrrev_b32_e32 v11, 24, v12
	v_bfrev_b32_e32 v69, 1
	s_mov_b32 s12, exec_lo
	s_delay_alu instid0(VALU_DEP_2)
	v_cmpx_ne_u32_e32 0x80, v11
	s_cbranch_execz .LBB307_548
; %bb.543:                              ;   in Loop: Header=BB307_419 Depth=1
	v_and_b32_e32 v70, 0x7f, v11
	v_mov_b32_e32 v69, 0x7fc02000
	s_mov_b32 s13, exec_lo
	s_delay_alu instid0(VALU_DEP_2)
	v_cmpx_ne_u32_e32 0x7f, v70
	s_cbranch_execz .LBB307_547
; %bb.544:                              ;   in Loop: Header=BB307_419 Depth=1
	v_and_b32_e32 v0, 7, v11
	v_lshrrev_b32_e32 v12, 3, v70
	s_mov_b32 s15, exec_lo
	v_cmpx_gt_u32_e32 8, v70
; %bb.545:                              ;   in Loop: Header=BB307_419 Depth=1
	s_delay_alu instid0(VALU_DEP_3) | instskip(NEXT) | instid1(VALU_DEP_1)
	v_clz_i32_u32_e32 v12, v0
	v_min_u32_e32 v12, 32, v12
	s_delay_alu instid0(VALU_DEP_1) | instskip(SKIP_1) | instid1(VALU_DEP_2)
	v_subrev_nc_u32_e32 v69, 28, v12
	v_sub_nc_u32_e32 v12, 29, v12
	v_lshlrev_b64 v[69:70], v69, v[0:1]
	s_delay_alu instid0(VALU_DEP_1)
	v_and_b32_e32 v0, 7, v69
; %bb.546:                              ;   in Loop: Header=BB307_419 Depth=1
	s_or_b32 exec_lo, exec_lo, s15
	v_lshlrev_b32_e32 v11, 8, v11
	v_lshl_add_u32 v12, v12, 10, 0x2000
	s_delay_alu instid0(VALU_DEP_1) | instskip(NEXT) | instid1(VALU_DEP_1)
	v_and_or_b32 v11, 0x8000, v11, v12
	v_lshl_or_b32 v0, v0, 7, v11
	s_delay_alu instid0(VALU_DEP_1)
	v_cvt_f32_f16_e32 v69, v0
.LBB307_547:                            ;   in Loop: Header=BB307_419 Depth=1
	s_or_b32 exec_lo, exec_lo, s13
.LBB307_548:                            ;   in Loop: Header=BB307_419 Depth=1
	s_delay_alu instid0(SALU_CYCLE_1)
	s_or_b32 exec_lo, exec_lo, s12
.LBB307_549:                            ;   in Loop: Header=BB307_419 Depth=1
	s_delay_alu instid0(SALU_CYCLE_1)
	s_or_b32 exec_lo, exec_lo, s10
	s_waitcnt vmcnt(0) lgkmcnt(0)
	v_fma_mixlo_f16 v12, v55, v65, 0
	v_fma_mixlo_f16 v0, v55, v67, 0
	;; [unrolled: 1-line block ×5, first 2 shown]
	v_lshlrev_b32_e32 v65, 16, v12
	v_fma_mixlo_f16 v13, v55, v13, 0
	v_fma_mixlo_f16 v67, v55, v69, 0
	;; [unrolled: 1-line block ×3, first 2 shown]
	v_lshlrev_b32_e32 v0, 16, v0
	v_and_b32_e32 v11, 0xffff, v11
	v_and_b32_e32 v14, 0xffff, v64
	v_lshlrev_b32_e32 v55, 16, v66
	v_and_b32_e32 v64, 0xffff, v13
	v_lshlrev_b32_e32 v66, 16, v67
	v_and_b32_e32 v67, 0xffff, v12
	v_or_b32_e32 v13, v0, v11
	v_or_b32_e32 v14, v65, v14
	;; [unrolled: 1-line block ×3, first 2 shown]
	s_delay_alu instid0(VALU_DEP_4)
	v_or_b32_e32 v11, v66, v67
	s_and_saveexec_b32 s10, vcc_lo
	s_cbranch_execz .LBB307_551
; %bb.550:                              ;   in Loop: Header=BB307_419 Depth=1
	v_cmp_lt_i32_e64 s0, v15, v32
	v_lshrrev_b32_e32 v55, 16, v14
	v_lshrrev_b32_e32 v64, 16, v13
	;; [unrolled: 1-line block ×4, first 2 shown]
	v_cndmask_b32_e64 v14, 0, v14, s0
	v_cmp_lt_i32_e64 s0, v48, v29
	s_delay_alu instid0(VALU_DEP_1) | instskip(SKIP_1) | instid1(VALU_DEP_2)
	v_cndmask_b32_e64 v55, 0, v55, s0
	v_cmp_lt_i32_e64 s0, v39, v29
	v_perm_b32 v14, v55, v14, 0x5040100
	s_delay_alu instid0(VALU_DEP_2) | instskip(SKIP_1) | instid1(VALU_DEP_1)
	v_cndmask_b32_e64 v64, 0, v64, s0
	v_cmp_lt_i32_e64 s0, v38, v32
	v_cndmask_b32_e64 v13, 0, v13, s0
	v_cmp_lt_i32_e64 s0, v37, v29
	s_delay_alu instid0(VALU_DEP_2) | instskip(NEXT) | instid1(VALU_DEP_2)
	v_perm_b32 v13, v64, v13, 0x5040100
	v_cndmask_b32_e64 v65, 0, v65, s0
	v_cmp_lt_i32_e64 s0, v36, v32
	s_delay_alu instid0(VALU_DEP_1) | instskip(SKIP_1) | instid1(VALU_DEP_2)
	v_cndmask_b32_e64 v0, 0, v0, s0
	v_cmp_lt_i32_e64 s0, v35, v29
	v_perm_b32 v0, v65, v0, 0x5040100
	s_delay_alu instid0(VALU_DEP_2) | instskip(SKIP_1) | instid1(VALU_DEP_1)
	v_cndmask_b32_e64 v11, 0, v11, s0
	v_cmp_lt_i32_e64 s0, v17, v32
	v_cndmask_b32_e64 v12, 0, v12, s0
	s_delay_alu instid0(VALU_DEP_1)
	v_perm_b32 v11, v11, v12, 0x5040100
.LBB307_551:                            ;   in Loop: Header=BB307_419 Depth=1
	s_or_b32 exec_lo, exec_lo, s10
	;;#ASMSTART
	v_pk_mul_f16 v12, v52, v14;

	;;#ASMEND
	;;#ASMSTART
	v_pk_mul_f16 v13, v51, v13;

	;;#ASMEND
	;; [unrolled: 4-line block ×4, first 2 shown]
	;;#ASMSTART
	v_pk_add_f16 v12, v12, v13;

	;;#ASMEND
	;;#ASMSTART
	v_pk_add_f16 v0, v12, v0;

	;;#ASMEND
	;; [unrolled: 4-line block ×3, first 2 shown]
	v_dual_mov_b32 v66, 0 :: v_dual_and_b32 v11, 0xffff, v0
	v_lshrrev_b32_e32 v0, 16, v0
	;;#ASMSTART
	v_cvt_f32_f16 v55, v11;
	;;#ASMEND
	;;#ASMSTART
	v_cvt_f32_f16 v64, v0;
	;;#ASMEND
	flat_load_b64 v[11:12], v[9:10] offset:512
	flat_load_b32 v65, v[26:27]
	s_mov_b32 s10, exec_lo
	s_waitcnt vmcnt(1) lgkmcnt(1)
	v_dual_mov_b32 v67, 0 :: v_dual_and_b32 v0, 0xff, v11
	s_delay_alu instid0(VALU_DEP_1)
	v_cmpx_ne_u16_e32 0, v0
	s_cbranch_execz .LBB307_559
; %bb.552:                              ;   in Loop: Header=BB307_419 Depth=1
	v_bfrev_b32_e32 v66, 1
	s_mov_b32 s12, exec_lo
	v_cmpx_ne_u16_e32 0x80, v0
	s_cbranch_execz .LBB307_558
; %bb.553:                              ;   in Loop: Header=BB307_419 Depth=1
	v_and_b32_e32 v13, 0x7f, v11
	v_mov_b32_e32 v66, 0x7fc02000
	s_mov_b32 s13, exec_lo
	s_delay_alu instid0(VALU_DEP_2)
	v_cmpx_ne_u32_e32 0x7f, v13
	s_cbranch_execz .LBB307_557
; %bb.554:                              ;   in Loop: Header=BB307_419 Depth=1
	v_lshrrev_b32_e32 v0, 3, v13
	v_cmp_gt_u32_e64 s0, 8, v13
	v_dual_mov_b32 v14, v12 :: v_dual_mov_b32 v13, v11
	s_delay_alu instid0(VALU_DEP_2)
	s_and_saveexec_b32 s15, s0
; %bb.555:                              ;   in Loop: Header=BB307_419 Depth=1
	v_and_b32_e32 v0, 7, v11
	s_delay_alu instid0(VALU_DEP_1) | instskip(NEXT) | instid1(VALU_DEP_1)
	v_clz_i32_u32_e32 v0, v0
	v_min_u32_e32 v0, 32, v0
	s_delay_alu instid0(VALU_DEP_1) | instskip(SKIP_1) | instid1(VALU_DEP_2)
	v_subrev_nc_u32_e32 v13, 28, v0
	v_sub_nc_u32_e32 v0, 29, v0
	v_lshlrev_b64 v[13:14], v13, v[11:12]
; %bb.556:                              ;   in Loop: Header=BB307_419 Depth=1
	s_or_b32 exec_lo, exec_lo, s15
	v_lshlrev_b32_e32 v14, 8, v11
	s_delay_alu instid0(VALU_DEP_3) | instskip(NEXT) | instid1(VALU_DEP_3)
	v_lshl_add_u32 v0, v0, 10, 0x2000
	v_lshlrev_b32_e32 v13, 7, v13
	s_delay_alu instid0(VALU_DEP_2) | instskip(NEXT) | instid1(VALU_DEP_1)
	v_and_or_b32 v0, 0x8000, v14, v0
	v_and_or_b32 v0, 0x380, v13, v0
	s_delay_alu instid0(VALU_DEP_1)
	v_cvt_f32_f16_e32 v66, v0
.LBB307_557:                            ;   in Loop: Header=BB307_419 Depth=1
	s_or_b32 exec_lo, exec_lo, s13
.LBB307_558:                            ;   in Loop: Header=BB307_419 Depth=1
	s_delay_alu instid0(SALU_CYCLE_1)
	s_or_b32 exec_lo, exec_lo, s12
.LBB307_559:                            ;   in Loop: Header=BB307_419 Depth=1
	s_delay_alu instid0(SALU_CYCLE_1) | instskip(SKIP_2) | instid1(VALU_DEP_1)
	s_or_b32 exec_lo, exec_lo, s10
	v_lshrrev_b16 v0, 8, v11
	s_mov_b32 s10, exec_lo
	v_cmpx_ne_u16_e32 0, v0
	s_cbranch_execz .LBB307_567
; %bb.560:                              ;   in Loop: Header=BB307_419 Depth=1
	v_bfrev_b32_e32 v67, 1
	s_mov_b32 s12, exec_lo
	v_cmpx_ne_u16_e32 0x80, v0
	s_cbranch_execz .LBB307_566
; %bb.561:                              ;   in Loop: Header=BB307_419 Depth=1
	v_and_b32_e32 v13, 0xffff, v0
	v_mov_b32_e32 v67, 0x7fc02000
	s_mov_b32 s13, exec_lo
	s_delay_alu instid0(VALU_DEP_2) | instskip(NEXT) | instid1(VALU_DEP_1)
	v_and_b32_e32 v68, 0x7f, v13
	v_cmpx_ne_u32_e32 0x7f, v68
	s_cbranch_execz .LBB307_565
; %bb.562:                              ;   in Loop: Header=BB307_419 Depth=1
	v_and_b32_e32 v0, 7, v13
	v_lshrrev_b32_e32 v14, 3, v68
	s_mov_b32 s15, exec_lo
	v_cmpx_gt_u32_e32 8, v68
; %bb.563:                              ;   in Loop: Header=BB307_419 Depth=1
	s_delay_alu instid0(VALU_DEP_3) | instskip(NEXT) | instid1(VALU_DEP_1)
	v_clz_i32_u32_e32 v14, v0
	v_min_u32_e32 v14, 32, v14
	s_delay_alu instid0(VALU_DEP_1) | instskip(SKIP_1) | instid1(VALU_DEP_2)
	v_subrev_nc_u32_e32 v67, 28, v14
	v_sub_nc_u32_e32 v14, 29, v14
	v_lshlrev_b64 v[67:68], v67, v[0:1]
	s_delay_alu instid0(VALU_DEP_1)
	v_and_b32_e32 v0, 7, v67
; %bb.564:                              ;   in Loop: Header=BB307_419 Depth=1
	s_or_b32 exec_lo, exec_lo, s15
	v_lshlrev_b32_e32 v13, 8, v13
	v_lshl_add_u32 v14, v14, 10, 0x2000
	s_delay_alu instid0(VALU_DEP_1) | instskip(NEXT) | instid1(VALU_DEP_1)
	v_and_or_b32 v13, 0x8000, v13, v14
	v_lshl_or_b32 v0, v0, 7, v13
	s_delay_alu instid0(VALU_DEP_1)
	v_cvt_f32_f16_e32 v67, v0
.LBB307_565:                            ;   in Loop: Header=BB307_419 Depth=1
	s_or_b32 exec_lo, exec_lo, s13
.LBB307_566:                            ;   in Loop: Header=BB307_419 Depth=1
	s_delay_alu instid0(SALU_CYCLE_1)
	s_or_b32 exec_lo, exec_lo, s12
.LBB307_567:                            ;   in Loop: Header=BB307_419 Depth=1
	s_delay_alu instid0(SALU_CYCLE_1) | instskip(SKIP_3) | instid1(VALU_DEP_2)
	s_or_b32 exec_lo, exec_lo, s10
	v_lshrrev_b32_e32 v13, 16, v11
	v_mov_b32_e32 v68, 0
	s_mov_b32 s10, exec_lo
	v_dual_mov_b32 v69, 0 :: v_dual_and_b32 v0, 0xff, v13
	s_delay_alu instid0(VALU_DEP_1)
	v_cmpx_ne_u16_e32 0, v0
	s_cbranch_execz .LBB307_575
; %bb.568:                              ;   in Loop: Header=BB307_419 Depth=1
	v_bfrev_b32_e32 v68, 1
	s_mov_b32 s12, exec_lo
	v_cmpx_ne_u16_e32 0x80, v0
	s_cbranch_execz .LBB307_574
; %bb.569:                              ;   in Loop: Header=BB307_419 Depth=1
	v_bfe_u32 v70, v11, 16, 7
	v_mov_b32_e32 v68, 0x7fc02000
	s_mov_b32 s13, exec_lo
	s_delay_alu instid0(VALU_DEP_2)
	v_cmpx_ne_u32_e32 0x7f, v70
	s_cbranch_execz .LBB307_573
; %bb.570:                              ;   in Loop: Header=BB307_419 Depth=1
	v_and_b32_e32 v0, 7, v13
	v_lshrrev_b32_e32 v14, 3, v70
	s_mov_b32 s15, exec_lo
	v_cmpx_gt_u32_e32 8, v70
; %bb.571:                              ;   in Loop: Header=BB307_419 Depth=1
	s_delay_alu instid0(VALU_DEP_3) | instskip(NEXT) | instid1(VALU_DEP_1)
	v_clz_i32_u32_e32 v14, v0
	v_min_u32_e32 v14, 32, v14
	s_delay_alu instid0(VALU_DEP_1) | instskip(SKIP_1) | instid1(VALU_DEP_2)
	v_subrev_nc_u32_e32 v68, 28, v14
	v_sub_nc_u32_e32 v14, 29, v14
	v_lshlrev_b64 v[70:71], v68, v[0:1]
	s_delay_alu instid0(VALU_DEP_1)
	v_and_b32_e32 v0, 7, v70
; %bb.572:                              ;   in Loop: Header=BB307_419 Depth=1
	s_or_b32 exec_lo, exec_lo, s15
	v_lshlrev_b32_e32 v13, 8, v13
	v_lshl_add_u32 v14, v14, 10, 0x2000
	s_delay_alu instid0(VALU_DEP_1) | instskip(NEXT) | instid1(VALU_DEP_1)
	v_and_or_b32 v13, 0x8000, v13, v14
	v_lshl_or_b32 v0, v0, 7, v13
	s_delay_alu instid0(VALU_DEP_1)
	v_cvt_f32_f16_e32 v68, v0
.LBB307_573:                            ;   in Loop: Header=BB307_419 Depth=1
	s_or_b32 exec_lo, exec_lo, s13
.LBB307_574:                            ;   in Loop: Header=BB307_419 Depth=1
	s_delay_alu instid0(SALU_CYCLE_1)
	s_or_b32 exec_lo, exec_lo, s12
.LBB307_575:                            ;   in Loop: Header=BB307_419 Depth=1
	s_delay_alu instid0(SALU_CYCLE_1) | instskip(NEXT) | instid1(SALU_CYCLE_1)
	s_or_b32 exec_lo, exec_lo, s10
	s_mov_b32 s10, exec_lo
	v_cmpx_lt_u32_e32 0xffffff, v11
	s_cbranch_execz .LBB307_583
; %bb.576:                              ;   in Loop: Header=BB307_419 Depth=1
	v_lshrrev_b32_e32 v13, 24, v11
	v_bfrev_b32_e32 v69, 1
	s_mov_b32 s12, exec_lo
	s_delay_alu instid0(VALU_DEP_2)
	v_cmpx_ne_u32_e32 0x80, v13
	s_cbranch_execz .LBB307_582
; %bb.577:                              ;   in Loop: Header=BB307_419 Depth=1
	v_and_b32_e32 v70, 0x7f, v13
	v_mov_b32_e32 v69, 0x7fc02000
	s_mov_b32 s13, exec_lo
	s_delay_alu instid0(VALU_DEP_2)
	v_cmpx_ne_u32_e32 0x7f, v70
	s_cbranch_execz .LBB307_581
; %bb.578:                              ;   in Loop: Header=BB307_419 Depth=1
	v_and_b32_e32 v0, 7, v13
	v_lshrrev_b32_e32 v14, 3, v70
	s_mov_b32 s15, exec_lo
	v_cmpx_gt_u32_e32 8, v70
; %bb.579:                              ;   in Loop: Header=BB307_419 Depth=1
	s_delay_alu instid0(VALU_DEP_3) | instskip(NEXT) | instid1(VALU_DEP_1)
	v_clz_i32_u32_e32 v14, v0
	v_min_u32_e32 v14, 32, v14
	s_delay_alu instid0(VALU_DEP_1) | instskip(SKIP_1) | instid1(VALU_DEP_2)
	v_subrev_nc_u32_e32 v69, 28, v14
	v_sub_nc_u32_e32 v14, 29, v14
	v_lshlrev_b64 v[69:70], v69, v[0:1]
	s_delay_alu instid0(VALU_DEP_1)
	v_and_b32_e32 v0, 7, v69
; %bb.580:                              ;   in Loop: Header=BB307_419 Depth=1
	s_or_b32 exec_lo, exec_lo, s15
	v_lshlrev_b32_e32 v13, 8, v13
	v_lshl_add_u32 v14, v14, 10, 0x2000
	s_delay_alu instid0(VALU_DEP_1) | instskip(NEXT) | instid1(VALU_DEP_1)
	v_and_or_b32 v13, 0x8000, v13, v14
	v_lshl_or_b32 v0, v0, 7, v13
	s_delay_alu instid0(VALU_DEP_1)
	v_cvt_f32_f16_e32 v69, v0
.LBB307_581:                            ;   in Loop: Header=BB307_419 Depth=1
	s_or_b32 exec_lo, exec_lo, s13
.LBB307_582:                            ;   in Loop: Header=BB307_419 Depth=1
	s_delay_alu instid0(SALU_CYCLE_1)
	s_or_b32 exec_lo, exec_lo, s12
.LBB307_583:                            ;   in Loop: Header=BB307_419 Depth=1
	s_delay_alu instid0(SALU_CYCLE_1) | instskip(SKIP_4) | instid1(VALU_DEP_3)
	s_or_b32 exec_lo, exec_lo, s10
	v_dual_mov_b32 v13, 0 :: v_dual_and_b32 v14, 0xff, v12
	v_mov_b32_e32 v0, v12
	v_mov_b32_e32 v70, 0
	s_mov_b32 s10, exec_lo
	v_cmpx_ne_u16_e32 0, v14
	s_cbranch_execz .LBB307_591
; %bb.584:                              ;   in Loop: Header=BB307_419 Depth=1
	v_bfrev_b32_e32 v13, 1
	s_mov_b32 s12, exec_lo
	v_cmpx_ne_u16_e32 0x80, v14
	s_cbranch_execz .LBB307_590
; %bb.585:                              ;   in Loop: Header=BB307_419 Depth=1
	v_and_b32_e32 v14, 0x7f, v12
	v_mov_b32_e32 v13, 0x7fc02000
	s_mov_b32 s13, exec_lo
	s_delay_alu instid0(VALU_DEP_2)
	v_cmpx_ne_u32_e32 0x7f, v14
	s_cbranch_execz .LBB307_589
; %bb.586:                              ;   in Loop: Header=BB307_419 Depth=1
	v_lshrrev_b32_e32 v71, 3, v14
	v_cmp_gt_u32_e64 s0, 8, v14
	v_dual_mov_b32 v14, v1 :: v_dual_mov_b32 v13, v0
	s_delay_alu instid0(VALU_DEP_2)
	s_and_saveexec_b32 s15, s0
; %bb.587:                              ;   in Loop: Header=BB307_419 Depth=1
	v_and_b32_e32 v13, 7, v12
	s_delay_alu instid0(VALU_DEP_1) | instskip(NEXT) | instid1(VALU_DEP_1)
	v_clz_i32_u32_e32 v13, v13
	v_min_u32_e32 v71, 32, v13
	s_delay_alu instid0(VALU_DEP_1) | instskip(SKIP_1) | instid1(VALU_DEP_2)
	v_subrev_nc_u32_e32 v13, 28, v71
	v_sub_nc_u32_e32 v71, 29, v71
	v_lshlrev_b64 v[13:14], v13, v[0:1]
; %bb.588:                              ;   in Loop: Header=BB307_419 Depth=1
	s_or_b32 exec_lo, exec_lo, s15
	v_lshlrev_b32_e32 v14, 8, v12
	s_delay_alu instid0(VALU_DEP_3) | instskip(NEXT) | instid1(VALU_DEP_3)
	v_lshl_add_u32 v71, v71, 10, 0x2000
	v_lshlrev_b32_e32 v13, 7, v13
	s_delay_alu instid0(VALU_DEP_2) | instskip(NEXT) | instid1(VALU_DEP_1)
	v_and_or_b32 v14, 0x8000, v14, v71
	v_and_or_b32 v13, 0x380, v13, v14
	s_delay_alu instid0(VALU_DEP_1)
	v_cvt_f32_f16_e32 v13, v13
.LBB307_589:                            ;   in Loop: Header=BB307_419 Depth=1
	s_or_b32 exec_lo, exec_lo, s13
.LBB307_590:                            ;   in Loop: Header=BB307_419 Depth=1
	s_delay_alu instid0(SALU_CYCLE_1)
	s_or_b32 exec_lo, exec_lo, s12
.LBB307_591:                            ;   in Loop: Header=BB307_419 Depth=1
	s_delay_alu instid0(SALU_CYCLE_1) | instskip(SKIP_2) | instid1(VALU_DEP_1)
	s_or_b32 exec_lo, exec_lo, s10
	v_lshrrev_b16 v0, 8, v0
	s_mov_b32 s10, exec_lo
	v_cmpx_ne_u16_e32 0, v0
	s_cbranch_execz .LBB307_599
; %bb.592:                              ;   in Loop: Header=BB307_419 Depth=1
	v_bfrev_b32_e32 v70, 1
	s_mov_b32 s12, exec_lo
	v_cmpx_ne_u16_e32 0x80, v0
	s_cbranch_execz .LBB307_598
; %bb.593:                              ;   in Loop: Header=BB307_419 Depth=1
	v_and_b32_e32 v14, 0xffff, v0
	v_mov_b32_e32 v70, 0x7fc02000
	s_mov_b32 s13, exec_lo
	s_delay_alu instid0(VALU_DEP_2) | instskip(NEXT) | instid1(VALU_DEP_1)
	v_and_b32_e32 v71, 0x7f, v14
	v_cmpx_ne_u32_e32 0x7f, v71
	s_cbranch_execz .LBB307_597
; %bb.594:                              ;   in Loop: Header=BB307_419 Depth=1
	v_and_b32_e32 v0, 7, v14
	v_lshrrev_b32_e32 v70, 3, v71
	s_mov_b32 s15, exec_lo
	v_cmpx_gt_u32_e32 8, v71
; %bb.595:                              ;   in Loop: Header=BB307_419 Depth=1
	s_delay_alu instid0(VALU_DEP_3) | instskip(NEXT) | instid1(VALU_DEP_1)
	v_clz_i32_u32_e32 v70, v0
	v_min_u32_e32 v70, 32, v70
	s_delay_alu instid0(VALU_DEP_1) | instskip(SKIP_1) | instid1(VALU_DEP_2)
	v_subrev_nc_u32_e32 v71, 28, v70
	v_sub_nc_u32_e32 v70, 29, v70
	v_lshlrev_b64 v[80:81], v71, v[0:1]
	s_delay_alu instid0(VALU_DEP_1)
	v_and_b32_e32 v0, 7, v80
; %bb.596:                              ;   in Loop: Header=BB307_419 Depth=1
	s_or_b32 exec_lo, exec_lo, s15
	v_lshlrev_b32_e32 v14, 8, v14
	v_lshl_add_u32 v70, v70, 10, 0x2000
	s_delay_alu instid0(VALU_DEP_1) | instskip(NEXT) | instid1(VALU_DEP_1)
	v_and_or_b32 v14, 0x8000, v14, v70
	v_lshl_or_b32 v0, v0, 7, v14
	s_delay_alu instid0(VALU_DEP_1)
	v_cvt_f32_f16_e32 v70, v0
.LBB307_597:                            ;   in Loop: Header=BB307_419 Depth=1
	s_or_b32 exec_lo, exec_lo, s13
.LBB307_598:                            ;   in Loop: Header=BB307_419 Depth=1
	s_delay_alu instid0(SALU_CYCLE_1)
	s_or_b32 exec_lo, exec_lo, s12
.LBB307_599:                            ;   in Loop: Header=BB307_419 Depth=1
	s_delay_alu instid0(SALU_CYCLE_1) | instskip(SKIP_3) | instid1(VALU_DEP_2)
	s_or_b32 exec_lo, exec_lo, s10
	v_lshrrev_b32_e32 v80, 16, v12
	v_mov_b32_e32 v14, 0
	s_mov_b32 s10, exec_lo
	v_dual_mov_b32 v71, 0 :: v_dual_and_b32 v0, 0xff, v80
	s_delay_alu instid0(VALU_DEP_1)
	v_cmpx_ne_u16_e32 0, v0
	s_cbranch_execz .LBB307_607
; %bb.600:                              ;   in Loop: Header=BB307_419 Depth=1
	v_bfrev_b32_e32 v14, 1
	s_mov_b32 s12, exec_lo
	v_cmpx_ne_u16_e32 0x80, v0
	s_cbranch_execz .LBB307_606
; %bb.601:                              ;   in Loop: Header=BB307_419 Depth=1
	v_bfe_u32 v81, v12, 16, 7
	v_mov_b32_e32 v14, 0x7fc02000
	s_mov_b32 s13, exec_lo
	s_delay_alu instid0(VALU_DEP_2)
	v_cmpx_ne_u32_e32 0x7f, v81
	s_cbranch_execz .LBB307_605
; %bb.602:                              ;   in Loop: Header=BB307_419 Depth=1
	v_and_b32_e32 v0, 7, v80
	v_lshrrev_b32_e32 v14, 3, v81
	s_mov_b32 s15, exec_lo
	v_cmpx_gt_u32_e32 8, v81
; %bb.603:                              ;   in Loop: Header=BB307_419 Depth=1
	s_delay_alu instid0(VALU_DEP_3) | instskip(NEXT) | instid1(VALU_DEP_1)
	v_clz_i32_u32_e32 v14, v0
	v_min_u32_e32 v14, 32, v14
	s_delay_alu instid0(VALU_DEP_1) | instskip(SKIP_1) | instid1(VALU_DEP_2)
	v_subrev_nc_u32_e32 v81, 28, v14
	v_sub_nc_u32_e32 v14, 29, v14
	v_lshlrev_b64 v[81:82], v81, v[0:1]
	s_delay_alu instid0(VALU_DEP_1)
	v_and_b32_e32 v0, 7, v81
; %bb.604:                              ;   in Loop: Header=BB307_419 Depth=1
	s_or_b32 exec_lo, exec_lo, s15
	v_lshlrev_b32_e32 v80, 8, v80
	v_lshl_add_u32 v14, v14, 10, 0x2000
	s_delay_alu instid0(VALU_DEP_1) | instskip(NEXT) | instid1(VALU_DEP_1)
	v_and_or_b32 v14, 0x8000, v80, v14
	v_lshl_or_b32 v0, v0, 7, v14
	s_delay_alu instid0(VALU_DEP_1)
	v_cvt_f32_f16_e32 v14, v0
.LBB307_605:                            ;   in Loop: Header=BB307_419 Depth=1
	s_or_b32 exec_lo, exec_lo, s13
.LBB307_606:                            ;   in Loop: Header=BB307_419 Depth=1
	s_delay_alu instid0(SALU_CYCLE_1)
	s_or_b32 exec_lo, exec_lo, s12
.LBB307_607:                            ;   in Loop: Header=BB307_419 Depth=1
	s_delay_alu instid0(SALU_CYCLE_1) | instskip(NEXT) | instid1(SALU_CYCLE_1)
	s_or_b32 exec_lo, exec_lo, s10
	s_mov_b32 s10, exec_lo
	v_cmpx_lt_u64_e64 s[8:9], v[11:12]
	s_cbranch_execz .LBB307_615
; %bb.608:                              ;   in Loop: Header=BB307_419 Depth=1
	v_lshrrev_b32_e32 v11, 24, v12
	v_bfrev_b32_e32 v71, 1
	s_mov_b32 s12, exec_lo
	s_delay_alu instid0(VALU_DEP_2)
	v_cmpx_ne_u32_e32 0x80, v11
	s_cbranch_execz .LBB307_614
; %bb.609:                              ;   in Loop: Header=BB307_419 Depth=1
	v_and_b32_e32 v80, 0x7f, v11
	v_mov_b32_e32 v71, 0x7fc02000
	s_mov_b32 s13, exec_lo
	s_delay_alu instid0(VALU_DEP_2)
	v_cmpx_ne_u32_e32 0x7f, v80
	s_cbranch_execz .LBB307_613
; %bb.610:                              ;   in Loop: Header=BB307_419 Depth=1
	v_and_b32_e32 v0, 7, v11
	v_lshrrev_b32_e32 v12, 3, v80
	s_mov_b32 s15, exec_lo
	v_cmpx_gt_u32_e32 8, v80
; %bb.611:                              ;   in Loop: Header=BB307_419 Depth=1
	s_delay_alu instid0(VALU_DEP_3) | instskip(NEXT) | instid1(VALU_DEP_1)
	v_clz_i32_u32_e32 v12, v0
	v_min_u32_e32 v12, 32, v12
	s_delay_alu instid0(VALU_DEP_1) | instskip(SKIP_1) | instid1(VALU_DEP_2)
	v_subrev_nc_u32_e32 v71, 28, v12
	v_sub_nc_u32_e32 v12, 29, v12
	v_lshlrev_b64 v[80:81], v71, v[0:1]
	s_delay_alu instid0(VALU_DEP_1)
	v_and_b32_e32 v0, 7, v80
; %bb.612:                              ;   in Loop: Header=BB307_419 Depth=1
	s_or_b32 exec_lo, exec_lo, s15
	v_lshlrev_b32_e32 v11, 8, v11
	v_lshl_add_u32 v12, v12, 10, 0x2000
	s_delay_alu instid0(VALU_DEP_1) | instskip(NEXT) | instid1(VALU_DEP_1)
	v_and_or_b32 v11, 0x8000, v11, v12
	v_lshl_or_b32 v0, v0, 7, v11
	s_delay_alu instid0(VALU_DEP_1)
	v_cvt_f32_f16_e32 v71, v0
.LBB307_613:                            ;   in Loop: Header=BB307_419 Depth=1
	s_or_b32 exec_lo, exec_lo, s13
.LBB307_614:                            ;   in Loop: Header=BB307_419 Depth=1
	s_delay_alu instid0(SALU_CYCLE_1)
	s_or_b32 exec_lo, exec_lo, s12
.LBB307_615:                            ;   in Loop: Header=BB307_419 Depth=1
	s_delay_alu instid0(SALU_CYCLE_1)
	s_or_b32 exec_lo, exec_lo, s10
	s_waitcnt vmcnt(0) lgkmcnt(0)
	v_fma_mixlo_f16 v12, v65, v67, 0
	v_fma_mixlo_f16 v0, v65, v69, 0
	;; [unrolled: 1-line block ×5, first 2 shown]
	v_lshlrev_b32_e32 v67, 16, v12
	v_fma_mixlo_f16 v13, v65, v13, 0
	v_fma_mixlo_f16 v69, v65, v71, 0
	;; [unrolled: 1-line block ×3, first 2 shown]
	v_lshlrev_b32_e32 v0, 16, v0
	v_and_b32_e32 v11, 0xffff, v11
	v_and_b32_e32 v14, 0xffff, v66
	v_lshlrev_b32_e32 v65, 16, v68
	v_and_b32_e32 v66, 0xffff, v13
	v_lshlrev_b32_e32 v68, 16, v69
	v_and_b32_e32 v69, 0xffff, v12
	v_or_b32_e32 v13, v0, v11
	v_or_b32_e32 v14, v67, v14
	;; [unrolled: 1-line block ×3, first 2 shown]
	s_delay_alu instid0(VALU_DEP_4)
	v_or_b32_e32 v11, v68, v69
	s_and_saveexec_b32 s10, vcc_lo
	s_cbranch_execz .LBB307_617
; %bb.616:                              ;   in Loop: Header=BB307_419 Depth=1
	v_cmp_lt_i32_e64 s0, v15, v32
	v_lshrrev_b32_e32 v65, 16, v14
	v_lshrrev_b32_e32 v66, 16, v13
	;; [unrolled: 1-line block ×4, first 2 shown]
	v_cndmask_b32_e64 v14, 0, v14, s0
	v_cmp_lt_i32_e64 s0, v48, v29
	s_delay_alu instid0(VALU_DEP_1) | instskip(SKIP_1) | instid1(VALU_DEP_2)
	v_cndmask_b32_e64 v65, 0, v65, s0
	v_cmp_lt_i32_e64 s0, v39, v29
	v_perm_b32 v14, v65, v14, 0x5040100
	s_delay_alu instid0(VALU_DEP_2) | instskip(SKIP_1) | instid1(VALU_DEP_1)
	v_cndmask_b32_e64 v66, 0, v66, s0
	v_cmp_lt_i32_e64 s0, v38, v32
	v_cndmask_b32_e64 v13, 0, v13, s0
	v_cmp_lt_i32_e64 s0, v37, v29
	s_delay_alu instid0(VALU_DEP_2) | instskip(NEXT) | instid1(VALU_DEP_2)
	v_perm_b32 v13, v66, v13, 0x5040100
	v_cndmask_b32_e64 v67, 0, v67, s0
	v_cmp_lt_i32_e64 s0, v36, v32
	s_delay_alu instid0(VALU_DEP_1) | instskip(SKIP_1) | instid1(VALU_DEP_2)
	v_cndmask_b32_e64 v0, 0, v0, s0
	v_cmp_lt_i32_e64 s0, v35, v29
	v_perm_b32 v0, v67, v0, 0x5040100
	s_delay_alu instid0(VALU_DEP_2) | instskip(SKIP_1) | instid1(VALU_DEP_1)
	v_cndmask_b32_e64 v11, 0, v11, s0
	v_cmp_lt_i32_e64 s0, v17, v32
	v_cndmask_b32_e64 v12, 0, v12, s0
	s_delay_alu instid0(VALU_DEP_1)
	v_perm_b32 v11, v11, v12, 0x5040100
.LBB307_617:                            ;   in Loop: Header=BB307_419 Depth=1
	s_or_b32 exec_lo, exec_lo, s10
	;;#ASMSTART
	v_pk_mul_f16 v12, v52, v14;

	;;#ASMEND
	;;#ASMSTART
	v_pk_mul_f16 v13, v51, v13;

	;;#ASMEND
	;; [unrolled: 4-line block ×4, first 2 shown]
	;;#ASMSTART
	v_pk_add_f16 v12, v12, v13;

	;;#ASMEND
	;;#ASMSTART
	v_pk_add_f16 v0, v12, v0;

	;;#ASMEND
	;; [unrolled: 4-line block ×3, first 2 shown]
	v_dual_mov_b32 v68, 0 :: v_dual_and_b32 v11, 0xffff, v0
	v_lshrrev_b32_e32 v0, 16, v0
	;;#ASMSTART
	v_cvt_f32_f16 v65, v11;
	;;#ASMEND
	;;#ASMSTART
	v_cvt_f32_f16 v66, v0;
	;;#ASMEND
	flat_load_b64 v[11:12], v[9:10] offset:768
	flat_load_b32 v67, v[26:27]
	s_mov_b32 s10, exec_lo
	s_waitcnt vmcnt(1) lgkmcnt(1)
	v_dual_mov_b32 v69, 0 :: v_dual_and_b32 v0, 0xff, v11
	s_delay_alu instid0(VALU_DEP_1)
	v_cmpx_ne_u16_e32 0, v0
	s_cbranch_execz .LBB307_625
; %bb.618:                              ;   in Loop: Header=BB307_419 Depth=1
	v_bfrev_b32_e32 v68, 1
	s_mov_b32 s12, exec_lo
	v_cmpx_ne_u16_e32 0x80, v0
	s_cbranch_execz .LBB307_624
; %bb.619:                              ;   in Loop: Header=BB307_419 Depth=1
	v_and_b32_e32 v13, 0x7f, v11
	v_mov_b32_e32 v68, 0x7fc02000
	s_mov_b32 s13, exec_lo
	s_delay_alu instid0(VALU_DEP_2)
	v_cmpx_ne_u32_e32 0x7f, v13
	s_cbranch_execz .LBB307_623
; %bb.620:                              ;   in Loop: Header=BB307_419 Depth=1
	v_lshrrev_b32_e32 v0, 3, v13
	v_cmp_gt_u32_e64 s0, 8, v13
	v_dual_mov_b32 v14, v12 :: v_dual_mov_b32 v13, v11
	s_delay_alu instid0(VALU_DEP_2)
	s_and_saveexec_b32 s15, s0
; %bb.621:                              ;   in Loop: Header=BB307_419 Depth=1
	v_and_b32_e32 v0, 7, v11
	s_delay_alu instid0(VALU_DEP_1) | instskip(NEXT) | instid1(VALU_DEP_1)
	v_clz_i32_u32_e32 v0, v0
	v_min_u32_e32 v0, 32, v0
	s_delay_alu instid0(VALU_DEP_1) | instskip(SKIP_1) | instid1(VALU_DEP_2)
	v_subrev_nc_u32_e32 v13, 28, v0
	v_sub_nc_u32_e32 v0, 29, v0
	v_lshlrev_b64 v[13:14], v13, v[11:12]
; %bb.622:                              ;   in Loop: Header=BB307_419 Depth=1
	s_or_b32 exec_lo, exec_lo, s15
	v_lshlrev_b32_e32 v14, 8, v11
	s_delay_alu instid0(VALU_DEP_3) | instskip(NEXT) | instid1(VALU_DEP_3)
	v_lshl_add_u32 v0, v0, 10, 0x2000
	v_lshlrev_b32_e32 v13, 7, v13
	s_delay_alu instid0(VALU_DEP_2) | instskip(NEXT) | instid1(VALU_DEP_1)
	v_and_or_b32 v0, 0x8000, v14, v0
	v_and_or_b32 v0, 0x380, v13, v0
	s_delay_alu instid0(VALU_DEP_1)
	v_cvt_f32_f16_e32 v68, v0
.LBB307_623:                            ;   in Loop: Header=BB307_419 Depth=1
	s_or_b32 exec_lo, exec_lo, s13
.LBB307_624:                            ;   in Loop: Header=BB307_419 Depth=1
	s_delay_alu instid0(SALU_CYCLE_1)
	s_or_b32 exec_lo, exec_lo, s12
.LBB307_625:                            ;   in Loop: Header=BB307_419 Depth=1
	s_delay_alu instid0(SALU_CYCLE_1) | instskip(SKIP_2) | instid1(VALU_DEP_1)
	s_or_b32 exec_lo, exec_lo, s10
	v_lshrrev_b16 v0, 8, v11
	s_mov_b32 s10, exec_lo
	v_cmpx_ne_u16_e32 0, v0
	s_cbranch_execz .LBB307_633
; %bb.626:                              ;   in Loop: Header=BB307_419 Depth=1
	v_bfrev_b32_e32 v69, 1
	s_mov_b32 s12, exec_lo
	v_cmpx_ne_u16_e32 0x80, v0
	s_cbranch_execz .LBB307_632
; %bb.627:                              ;   in Loop: Header=BB307_419 Depth=1
	v_and_b32_e32 v13, 0xffff, v0
	v_mov_b32_e32 v69, 0x7fc02000
	s_mov_b32 s13, exec_lo
	s_delay_alu instid0(VALU_DEP_2) | instskip(NEXT) | instid1(VALU_DEP_1)
	v_and_b32_e32 v70, 0x7f, v13
	v_cmpx_ne_u32_e32 0x7f, v70
	s_cbranch_execz .LBB307_631
; %bb.628:                              ;   in Loop: Header=BB307_419 Depth=1
	v_and_b32_e32 v0, 7, v13
	v_lshrrev_b32_e32 v14, 3, v70
	s_mov_b32 s15, exec_lo
	v_cmpx_gt_u32_e32 8, v70
; %bb.629:                              ;   in Loop: Header=BB307_419 Depth=1
	s_delay_alu instid0(VALU_DEP_3) | instskip(NEXT) | instid1(VALU_DEP_1)
	v_clz_i32_u32_e32 v14, v0
	v_min_u32_e32 v14, 32, v14
	s_delay_alu instid0(VALU_DEP_1) | instskip(SKIP_1) | instid1(VALU_DEP_2)
	v_subrev_nc_u32_e32 v69, 28, v14
	v_sub_nc_u32_e32 v14, 29, v14
	v_lshlrev_b64 v[69:70], v69, v[0:1]
	s_delay_alu instid0(VALU_DEP_1)
	v_and_b32_e32 v0, 7, v69
; %bb.630:                              ;   in Loop: Header=BB307_419 Depth=1
	s_or_b32 exec_lo, exec_lo, s15
	v_lshlrev_b32_e32 v13, 8, v13
	v_lshl_add_u32 v14, v14, 10, 0x2000
	s_delay_alu instid0(VALU_DEP_1) | instskip(NEXT) | instid1(VALU_DEP_1)
	v_and_or_b32 v13, 0x8000, v13, v14
	v_lshl_or_b32 v0, v0, 7, v13
	s_delay_alu instid0(VALU_DEP_1)
	v_cvt_f32_f16_e32 v69, v0
.LBB307_631:                            ;   in Loop: Header=BB307_419 Depth=1
	s_or_b32 exec_lo, exec_lo, s13
.LBB307_632:                            ;   in Loop: Header=BB307_419 Depth=1
	s_delay_alu instid0(SALU_CYCLE_1)
	s_or_b32 exec_lo, exec_lo, s12
.LBB307_633:                            ;   in Loop: Header=BB307_419 Depth=1
	s_delay_alu instid0(SALU_CYCLE_1) | instskip(SKIP_3) | instid1(VALU_DEP_2)
	s_or_b32 exec_lo, exec_lo, s10
	v_lshrrev_b32_e32 v13, 16, v11
	v_mov_b32_e32 v70, 0
	s_mov_b32 s10, exec_lo
	v_dual_mov_b32 v71, 0 :: v_dual_and_b32 v0, 0xff, v13
	s_delay_alu instid0(VALU_DEP_1)
	v_cmpx_ne_u16_e32 0, v0
	s_cbranch_execz .LBB307_641
; %bb.634:                              ;   in Loop: Header=BB307_419 Depth=1
	v_bfrev_b32_e32 v70, 1
	s_mov_b32 s12, exec_lo
	v_cmpx_ne_u16_e32 0x80, v0
	s_cbranch_execz .LBB307_640
; %bb.635:                              ;   in Loop: Header=BB307_419 Depth=1
	v_bfe_u32 v80, v11, 16, 7
	v_mov_b32_e32 v70, 0x7fc02000
	s_mov_b32 s13, exec_lo
	s_delay_alu instid0(VALU_DEP_2)
	v_cmpx_ne_u32_e32 0x7f, v80
	s_cbranch_execz .LBB307_639
; %bb.636:                              ;   in Loop: Header=BB307_419 Depth=1
	v_and_b32_e32 v0, 7, v13
	v_lshrrev_b32_e32 v14, 3, v80
	s_mov_b32 s15, exec_lo
	v_cmpx_gt_u32_e32 8, v80
; %bb.637:                              ;   in Loop: Header=BB307_419 Depth=1
	s_delay_alu instid0(VALU_DEP_3) | instskip(NEXT) | instid1(VALU_DEP_1)
	v_clz_i32_u32_e32 v14, v0
	v_min_u32_e32 v14, 32, v14
	s_delay_alu instid0(VALU_DEP_1) | instskip(SKIP_1) | instid1(VALU_DEP_2)
	v_subrev_nc_u32_e32 v70, 28, v14
	v_sub_nc_u32_e32 v14, 29, v14
	v_lshlrev_b64 v[80:81], v70, v[0:1]
	s_delay_alu instid0(VALU_DEP_1)
	v_and_b32_e32 v0, 7, v80
; %bb.638:                              ;   in Loop: Header=BB307_419 Depth=1
	s_or_b32 exec_lo, exec_lo, s15
	v_lshlrev_b32_e32 v13, 8, v13
	v_lshl_add_u32 v14, v14, 10, 0x2000
	s_delay_alu instid0(VALU_DEP_1) | instskip(NEXT) | instid1(VALU_DEP_1)
	v_and_or_b32 v13, 0x8000, v13, v14
	v_lshl_or_b32 v0, v0, 7, v13
	s_delay_alu instid0(VALU_DEP_1)
	v_cvt_f32_f16_e32 v70, v0
.LBB307_639:                            ;   in Loop: Header=BB307_419 Depth=1
	s_or_b32 exec_lo, exec_lo, s13
.LBB307_640:                            ;   in Loop: Header=BB307_419 Depth=1
	s_delay_alu instid0(SALU_CYCLE_1)
	s_or_b32 exec_lo, exec_lo, s12
.LBB307_641:                            ;   in Loop: Header=BB307_419 Depth=1
	s_delay_alu instid0(SALU_CYCLE_1) | instskip(NEXT) | instid1(SALU_CYCLE_1)
	s_or_b32 exec_lo, exec_lo, s10
	s_mov_b32 s10, exec_lo
	v_cmpx_lt_u32_e32 0xffffff, v11
	s_cbranch_execz .LBB307_649
; %bb.642:                              ;   in Loop: Header=BB307_419 Depth=1
	v_lshrrev_b32_e32 v13, 24, v11
	v_bfrev_b32_e32 v71, 1
	s_mov_b32 s12, exec_lo
	s_delay_alu instid0(VALU_DEP_2)
	v_cmpx_ne_u32_e32 0x80, v13
	s_cbranch_execz .LBB307_648
; %bb.643:                              ;   in Loop: Header=BB307_419 Depth=1
	v_and_b32_e32 v80, 0x7f, v13
	v_mov_b32_e32 v71, 0x7fc02000
	s_mov_b32 s13, exec_lo
	s_delay_alu instid0(VALU_DEP_2)
	v_cmpx_ne_u32_e32 0x7f, v80
	s_cbranch_execz .LBB307_647
; %bb.644:                              ;   in Loop: Header=BB307_419 Depth=1
	v_and_b32_e32 v0, 7, v13
	v_lshrrev_b32_e32 v14, 3, v80
	s_mov_b32 s15, exec_lo
	v_cmpx_gt_u32_e32 8, v80
; %bb.645:                              ;   in Loop: Header=BB307_419 Depth=1
	s_delay_alu instid0(VALU_DEP_3) | instskip(NEXT) | instid1(VALU_DEP_1)
	v_clz_i32_u32_e32 v14, v0
	v_min_u32_e32 v14, 32, v14
	s_delay_alu instid0(VALU_DEP_1) | instskip(SKIP_1) | instid1(VALU_DEP_2)
	v_subrev_nc_u32_e32 v71, 28, v14
	v_sub_nc_u32_e32 v14, 29, v14
	v_lshlrev_b64 v[80:81], v71, v[0:1]
	s_delay_alu instid0(VALU_DEP_1)
	v_and_b32_e32 v0, 7, v80
; %bb.646:                              ;   in Loop: Header=BB307_419 Depth=1
	s_or_b32 exec_lo, exec_lo, s15
	v_lshlrev_b32_e32 v13, 8, v13
	v_lshl_add_u32 v14, v14, 10, 0x2000
	s_delay_alu instid0(VALU_DEP_1) | instskip(NEXT) | instid1(VALU_DEP_1)
	v_and_or_b32 v13, 0x8000, v13, v14
	v_lshl_or_b32 v0, v0, 7, v13
	s_delay_alu instid0(VALU_DEP_1)
	v_cvt_f32_f16_e32 v71, v0
.LBB307_647:                            ;   in Loop: Header=BB307_419 Depth=1
	s_or_b32 exec_lo, exec_lo, s13
.LBB307_648:                            ;   in Loop: Header=BB307_419 Depth=1
	s_delay_alu instid0(SALU_CYCLE_1)
	s_or_b32 exec_lo, exec_lo, s12
.LBB307_649:                            ;   in Loop: Header=BB307_419 Depth=1
	s_delay_alu instid0(SALU_CYCLE_1) | instskip(SKIP_4) | instid1(VALU_DEP_3)
	s_or_b32 exec_lo, exec_lo, s10
	v_dual_mov_b32 v13, 0 :: v_dual_and_b32 v14, 0xff, v12
	v_mov_b32_e32 v0, v12
	v_mov_b32_e32 v80, 0
	s_mov_b32 s10, exec_lo
	v_cmpx_ne_u16_e32 0, v14
	s_cbranch_execz .LBB307_657
; %bb.650:                              ;   in Loop: Header=BB307_419 Depth=1
	v_bfrev_b32_e32 v13, 1
	s_mov_b32 s12, exec_lo
	v_cmpx_ne_u16_e32 0x80, v14
	s_cbranch_execz .LBB307_656
; %bb.651:                              ;   in Loop: Header=BB307_419 Depth=1
	v_and_b32_e32 v14, 0x7f, v12
	v_mov_b32_e32 v13, 0x7fc02000
	s_mov_b32 s13, exec_lo
	s_delay_alu instid0(VALU_DEP_2)
	v_cmpx_ne_u32_e32 0x7f, v14
	s_cbranch_execz .LBB307_655
; %bb.652:                              ;   in Loop: Header=BB307_419 Depth=1
	v_lshrrev_b32_e32 v81, 3, v14
	v_cmp_gt_u32_e64 s0, 8, v14
	v_dual_mov_b32 v14, v1 :: v_dual_mov_b32 v13, v0
	s_delay_alu instid0(VALU_DEP_2)
	s_and_saveexec_b32 s15, s0
; %bb.653:                              ;   in Loop: Header=BB307_419 Depth=1
	v_and_b32_e32 v13, 7, v12
	s_delay_alu instid0(VALU_DEP_1) | instskip(NEXT) | instid1(VALU_DEP_1)
	v_clz_i32_u32_e32 v13, v13
	v_min_u32_e32 v81, 32, v13
	s_delay_alu instid0(VALU_DEP_1) | instskip(SKIP_1) | instid1(VALU_DEP_2)
	v_subrev_nc_u32_e32 v13, 28, v81
	v_sub_nc_u32_e32 v81, 29, v81
	v_lshlrev_b64 v[13:14], v13, v[0:1]
; %bb.654:                              ;   in Loop: Header=BB307_419 Depth=1
	s_or_b32 exec_lo, exec_lo, s15
	v_lshlrev_b32_e32 v14, 8, v12
	s_delay_alu instid0(VALU_DEP_3) | instskip(NEXT) | instid1(VALU_DEP_3)
	v_lshl_add_u32 v81, v81, 10, 0x2000
	v_lshlrev_b32_e32 v13, 7, v13
	s_delay_alu instid0(VALU_DEP_2) | instskip(NEXT) | instid1(VALU_DEP_1)
	v_and_or_b32 v14, 0x8000, v14, v81
	v_and_or_b32 v13, 0x380, v13, v14
	s_delay_alu instid0(VALU_DEP_1)
	v_cvt_f32_f16_e32 v13, v13
.LBB307_655:                            ;   in Loop: Header=BB307_419 Depth=1
	s_or_b32 exec_lo, exec_lo, s13
.LBB307_656:                            ;   in Loop: Header=BB307_419 Depth=1
	s_delay_alu instid0(SALU_CYCLE_1)
	s_or_b32 exec_lo, exec_lo, s12
.LBB307_657:                            ;   in Loop: Header=BB307_419 Depth=1
	s_delay_alu instid0(SALU_CYCLE_1) | instskip(SKIP_2) | instid1(VALU_DEP_1)
	s_or_b32 exec_lo, exec_lo, s10
	v_lshrrev_b16 v0, 8, v0
	s_mov_b32 s10, exec_lo
	v_cmpx_ne_u16_e32 0, v0
	s_cbranch_execz .LBB307_665
; %bb.658:                              ;   in Loop: Header=BB307_419 Depth=1
	v_bfrev_b32_e32 v80, 1
	s_mov_b32 s12, exec_lo
	v_cmpx_ne_u16_e32 0x80, v0
	s_cbranch_execz .LBB307_664
; %bb.659:                              ;   in Loop: Header=BB307_419 Depth=1
	v_and_b32_e32 v14, 0xffff, v0
	v_mov_b32_e32 v80, 0x7fc02000
	s_mov_b32 s13, exec_lo
	s_delay_alu instid0(VALU_DEP_2) | instskip(NEXT) | instid1(VALU_DEP_1)
	v_and_b32_e32 v81, 0x7f, v14
	v_cmpx_ne_u32_e32 0x7f, v81
	s_cbranch_execz .LBB307_663
; %bb.660:                              ;   in Loop: Header=BB307_419 Depth=1
	v_and_b32_e32 v0, 7, v14
	v_lshrrev_b32_e32 v80, 3, v81
	s_mov_b32 s15, exec_lo
	v_cmpx_gt_u32_e32 8, v81
; %bb.661:                              ;   in Loop: Header=BB307_419 Depth=1
	s_delay_alu instid0(VALU_DEP_3) | instskip(NEXT) | instid1(VALU_DEP_1)
	v_clz_i32_u32_e32 v80, v0
	v_min_u32_e32 v80, 32, v80
	s_delay_alu instid0(VALU_DEP_1) | instskip(SKIP_1) | instid1(VALU_DEP_2)
	v_subrev_nc_u32_e32 v81, 28, v80
	v_sub_nc_u32_e32 v80, 29, v80
	v_lshlrev_b64 v[81:82], v81, v[0:1]
	s_delay_alu instid0(VALU_DEP_1)
	v_and_b32_e32 v0, 7, v81
; %bb.662:                              ;   in Loop: Header=BB307_419 Depth=1
	s_or_b32 exec_lo, exec_lo, s15
	v_lshlrev_b32_e32 v14, 8, v14
	v_lshl_add_u32 v80, v80, 10, 0x2000
	s_delay_alu instid0(VALU_DEP_1) | instskip(NEXT) | instid1(VALU_DEP_1)
	v_and_or_b32 v14, 0x8000, v14, v80
	v_lshl_or_b32 v0, v0, 7, v14
	s_delay_alu instid0(VALU_DEP_1)
	v_cvt_f32_f16_e32 v80, v0
.LBB307_663:                            ;   in Loop: Header=BB307_419 Depth=1
	s_or_b32 exec_lo, exec_lo, s13
.LBB307_664:                            ;   in Loop: Header=BB307_419 Depth=1
	s_delay_alu instid0(SALU_CYCLE_1)
	s_or_b32 exec_lo, exec_lo, s12
.LBB307_665:                            ;   in Loop: Header=BB307_419 Depth=1
	s_delay_alu instid0(SALU_CYCLE_1) | instskip(SKIP_3) | instid1(VALU_DEP_2)
	s_or_b32 exec_lo, exec_lo, s10
	v_lshrrev_b32_e32 v82, 16, v12
	v_mov_b32_e32 v14, 0
	s_mov_b32 s10, exec_lo
	v_dual_mov_b32 v81, 0 :: v_dual_and_b32 v0, 0xff, v82
	s_delay_alu instid0(VALU_DEP_1)
	v_cmpx_ne_u16_e32 0, v0
	s_cbranch_execz .LBB307_673
; %bb.666:                              ;   in Loop: Header=BB307_419 Depth=1
	v_bfrev_b32_e32 v14, 1
	s_mov_b32 s12, exec_lo
	v_cmpx_ne_u16_e32 0x80, v0
	s_cbranch_execz .LBB307_672
; %bb.667:                              ;   in Loop: Header=BB307_419 Depth=1
	v_bfe_u32 v83, v12, 16, 7
	v_mov_b32_e32 v14, 0x7fc02000
	s_mov_b32 s13, exec_lo
	s_delay_alu instid0(VALU_DEP_2)
	v_cmpx_ne_u32_e32 0x7f, v83
	s_cbranch_execz .LBB307_671
; %bb.668:                              ;   in Loop: Header=BB307_419 Depth=1
	v_and_b32_e32 v0, 7, v82
	v_lshrrev_b32_e32 v14, 3, v83
	s_mov_b32 s15, exec_lo
	v_cmpx_gt_u32_e32 8, v83
; %bb.669:                              ;   in Loop: Header=BB307_419 Depth=1
	s_delay_alu instid0(VALU_DEP_3) | instskip(NEXT) | instid1(VALU_DEP_1)
	v_clz_i32_u32_e32 v14, v0
	v_min_u32_e32 v14, 32, v14
	s_delay_alu instid0(VALU_DEP_1) | instskip(SKIP_1) | instid1(VALU_DEP_2)
	v_subrev_nc_u32_e32 v83, 28, v14
	v_sub_nc_u32_e32 v14, 29, v14
	v_lshlrev_b64 v[83:84], v83, v[0:1]
	s_delay_alu instid0(VALU_DEP_1)
	v_and_b32_e32 v0, 7, v83
; %bb.670:                              ;   in Loop: Header=BB307_419 Depth=1
	s_or_b32 exec_lo, exec_lo, s15
	v_lshlrev_b32_e32 v82, 8, v82
	v_lshl_add_u32 v14, v14, 10, 0x2000
	s_delay_alu instid0(VALU_DEP_1) | instskip(NEXT) | instid1(VALU_DEP_1)
	v_and_or_b32 v14, 0x8000, v82, v14
	v_lshl_or_b32 v0, v0, 7, v14
	s_delay_alu instid0(VALU_DEP_1)
	v_cvt_f32_f16_e32 v14, v0
.LBB307_671:                            ;   in Loop: Header=BB307_419 Depth=1
	s_or_b32 exec_lo, exec_lo, s13
.LBB307_672:                            ;   in Loop: Header=BB307_419 Depth=1
	s_delay_alu instid0(SALU_CYCLE_1)
	s_or_b32 exec_lo, exec_lo, s12
.LBB307_673:                            ;   in Loop: Header=BB307_419 Depth=1
	s_delay_alu instid0(SALU_CYCLE_1) | instskip(NEXT) | instid1(SALU_CYCLE_1)
	s_or_b32 exec_lo, exec_lo, s10
	s_mov_b32 s10, exec_lo
	v_cmpx_lt_u64_e64 s[8:9], v[11:12]
	s_cbranch_execz .LBB307_681
; %bb.674:                              ;   in Loop: Header=BB307_419 Depth=1
	v_lshrrev_b32_e32 v11, 24, v12
	v_bfrev_b32_e32 v81, 1
	s_mov_b32 s12, exec_lo
	s_delay_alu instid0(VALU_DEP_2)
	v_cmpx_ne_u32_e32 0x80, v11
	s_cbranch_execz .LBB307_680
; %bb.675:                              ;   in Loop: Header=BB307_419 Depth=1
	v_and_b32_e32 v82, 0x7f, v11
	v_mov_b32_e32 v81, 0x7fc02000
	s_mov_b32 s13, exec_lo
	s_delay_alu instid0(VALU_DEP_2)
	v_cmpx_ne_u32_e32 0x7f, v82
	s_cbranch_execz .LBB307_679
; %bb.676:                              ;   in Loop: Header=BB307_419 Depth=1
	v_and_b32_e32 v0, 7, v11
	v_lshrrev_b32_e32 v12, 3, v82
	s_mov_b32 s15, exec_lo
	v_cmpx_gt_u32_e32 8, v82
; %bb.677:                              ;   in Loop: Header=BB307_419 Depth=1
	s_delay_alu instid0(VALU_DEP_3) | instskip(NEXT) | instid1(VALU_DEP_1)
	v_clz_i32_u32_e32 v12, v0
	v_min_u32_e32 v12, 32, v12
	s_delay_alu instid0(VALU_DEP_1) | instskip(SKIP_1) | instid1(VALU_DEP_2)
	v_subrev_nc_u32_e32 v81, 28, v12
	v_sub_nc_u32_e32 v12, 29, v12
	v_lshlrev_b64 v[81:82], v81, v[0:1]
	s_delay_alu instid0(VALU_DEP_1)
	v_and_b32_e32 v0, 7, v81
; %bb.678:                              ;   in Loop: Header=BB307_419 Depth=1
	s_or_b32 exec_lo, exec_lo, s15
	v_lshlrev_b32_e32 v11, 8, v11
	v_lshl_add_u32 v12, v12, 10, 0x2000
	s_delay_alu instid0(VALU_DEP_1) | instskip(NEXT) | instid1(VALU_DEP_1)
	v_and_or_b32 v11, 0x8000, v11, v12
	v_lshl_or_b32 v0, v0, 7, v11
	s_delay_alu instid0(VALU_DEP_1)
	v_cvt_f32_f16_e32 v81, v0
.LBB307_679:                            ;   in Loop: Header=BB307_419 Depth=1
	s_or_b32 exec_lo, exec_lo, s13
.LBB307_680:                            ;   in Loop: Header=BB307_419 Depth=1
	s_delay_alu instid0(SALU_CYCLE_1)
	s_or_b32 exec_lo, exec_lo, s12
.LBB307_681:                            ;   in Loop: Header=BB307_419 Depth=1
	s_delay_alu instid0(SALU_CYCLE_1)
	s_or_b32 exec_lo, exec_lo, s10
	s_waitcnt vmcnt(0) lgkmcnt(0)
	v_fma_mixlo_f16 v12, v67, v69, 0
	v_fma_mixlo_f16 v0, v67, v71, 0
	;; [unrolled: 1-line block ×5, first 2 shown]
	v_lshlrev_b32_e32 v69, 16, v12
	v_fma_mixlo_f16 v13, v67, v13, 0
	v_fma_mixlo_f16 v71, v67, v81, 0
	;; [unrolled: 1-line block ×3, first 2 shown]
	v_lshlrev_b32_e32 v0, 16, v0
	v_and_b32_e32 v11, 0xffff, v11
	v_and_b32_e32 v14, 0xffff, v68
	v_lshlrev_b32_e32 v67, 16, v70
	v_and_b32_e32 v68, 0xffff, v13
	v_lshlrev_b32_e32 v70, 16, v71
	v_and_b32_e32 v71, 0xffff, v12
	v_or_b32_e32 v13, v0, v11
	v_or_b32_e32 v14, v69, v14
	;; [unrolled: 1-line block ×3, first 2 shown]
	s_delay_alu instid0(VALU_DEP_4)
	v_or_b32_e32 v11, v70, v71
	s_and_saveexec_b32 s10, vcc_lo
	s_cbranch_execz .LBB307_683
; %bb.682:                              ;   in Loop: Header=BB307_419 Depth=1
	v_cmp_lt_i32_e64 s0, v15, v32
	v_lshrrev_b32_e32 v67, 16, v14
	v_lshrrev_b32_e32 v68, 16, v13
	;; [unrolled: 1-line block ×4, first 2 shown]
	v_cndmask_b32_e64 v14, 0, v14, s0
	v_cmp_lt_i32_e64 s0, v48, v29
	s_delay_alu instid0(VALU_DEP_1) | instskip(SKIP_1) | instid1(VALU_DEP_2)
	v_cndmask_b32_e64 v67, 0, v67, s0
	v_cmp_lt_i32_e64 s0, v39, v29
	v_perm_b32 v14, v67, v14, 0x5040100
	s_delay_alu instid0(VALU_DEP_2) | instskip(SKIP_1) | instid1(VALU_DEP_1)
	v_cndmask_b32_e64 v68, 0, v68, s0
	v_cmp_lt_i32_e64 s0, v38, v32
	v_cndmask_b32_e64 v13, 0, v13, s0
	v_cmp_lt_i32_e64 s0, v37, v29
	s_delay_alu instid0(VALU_DEP_2) | instskip(NEXT) | instid1(VALU_DEP_2)
	v_perm_b32 v13, v68, v13, 0x5040100
	v_cndmask_b32_e64 v69, 0, v69, s0
	v_cmp_lt_i32_e64 s0, v36, v32
	s_delay_alu instid0(VALU_DEP_1) | instskip(SKIP_1) | instid1(VALU_DEP_2)
	v_cndmask_b32_e64 v0, 0, v0, s0
	v_cmp_lt_i32_e64 s0, v35, v29
	v_perm_b32 v0, v69, v0, 0x5040100
	s_delay_alu instid0(VALU_DEP_2) | instskip(SKIP_1) | instid1(VALU_DEP_1)
	v_cndmask_b32_e64 v11, 0, v11, s0
	v_cmp_lt_i32_e64 s0, v17, v32
	v_cndmask_b32_e64 v12, 0, v12, s0
	s_delay_alu instid0(VALU_DEP_1)
	v_perm_b32 v11, v11, v12, 0x5040100
.LBB307_683:                            ;   in Loop: Header=BB307_419 Depth=1
	s_or_b32 exec_lo, exec_lo, s10
	;;#ASMSTART
	v_pk_mul_f16 v12, v52, v14;

	;;#ASMEND
	;;#ASMSTART
	v_pk_mul_f16 v13, v51, v13;

	;;#ASMEND
	;; [unrolled: 4-line block ×4, first 2 shown]
	;;#ASMSTART
	v_pk_add_f16 v12, v12, v13;

	;;#ASMEND
	;;#ASMSTART
	v_pk_add_f16 v0, v12, v0;

	;;#ASMEND
	;; [unrolled: 4-line block ×3, first 2 shown]
	v_dual_mov_b32 v70, 0 :: v_dual_and_b32 v11, 0xffff, v0
	v_lshrrev_b32_e32 v0, 16, v0
	;;#ASMSTART
	v_cvt_f32_f16 v67, v11;
	;;#ASMEND
	;;#ASMSTART
	v_cvt_f32_f16 v68, v0;
	;;#ASMEND
	flat_load_b64 v[11:12], v[9:10] offset:1024
	flat_load_b32 v69, v[26:27]
	s_mov_b32 s10, exec_lo
	s_waitcnt vmcnt(1) lgkmcnt(1)
	v_dual_mov_b32 v71, 0 :: v_dual_and_b32 v0, 0xff, v11
	s_delay_alu instid0(VALU_DEP_1)
	v_cmpx_ne_u16_e32 0, v0
	s_cbranch_execz .LBB307_691
; %bb.684:                              ;   in Loop: Header=BB307_419 Depth=1
	v_bfrev_b32_e32 v70, 1
	s_mov_b32 s12, exec_lo
	v_cmpx_ne_u16_e32 0x80, v0
	s_cbranch_execz .LBB307_690
; %bb.685:                              ;   in Loop: Header=BB307_419 Depth=1
	v_and_b32_e32 v13, 0x7f, v11
	v_mov_b32_e32 v70, 0x7fc02000
	s_mov_b32 s13, exec_lo
	s_delay_alu instid0(VALU_DEP_2)
	v_cmpx_ne_u32_e32 0x7f, v13
	s_cbranch_execz .LBB307_689
; %bb.686:                              ;   in Loop: Header=BB307_419 Depth=1
	v_lshrrev_b32_e32 v0, 3, v13
	v_cmp_gt_u32_e64 s0, 8, v13
	v_dual_mov_b32 v14, v12 :: v_dual_mov_b32 v13, v11
	s_delay_alu instid0(VALU_DEP_2)
	s_and_saveexec_b32 s15, s0
; %bb.687:                              ;   in Loop: Header=BB307_419 Depth=1
	v_and_b32_e32 v0, 7, v11
	s_delay_alu instid0(VALU_DEP_1) | instskip(NEXT) | instid1(VALU_DEP_1)
	v_clz_i32_u32_e32 v0, v0
	v_min_u32_e32 v0, 32, v0
	s_delay_alu instid0(VALU_DEP_1) | instskip(SKIP_1) | instid1(VALU_DEP_2)
	v_subrev_nc_u32_e32 v13, 28, v0
	v_sub_nc_u32_e32 v0, 29, v0
	v_lshlrev_b64 v[13:14], v13, v[11:12]
; %bb.688:                              ;   in Loop: Header=BB307_419 Depth=1
	s_or_b32 exec_lo, exec_lo, s15
	v_lshlrev_b32_e32 v14, 8, v11
	s_delay_alu instid0(VALU_DEP_3) | instskip(NEXT) | instid1(VALU_DEP_3)
	v_lshl_add_u32 v0, v0, 10, 0x2000
	v_lshlrev_b32_e32 v13, 7, v13
	s_delay_alu instid0(VALU_DEP_2) | instskip(NEXT) | instid1(VALU_DEP_1)
	v_and_or_b32 v0, 0x8000, v14, v0
	v_and_or_b32 v0, 0x380, v13, v0
	s_delay_alu instid0(VALU_DEP_1)
	v_cvt_f32_f16_e32 v70, v0
.LBB307_689:                            ;   in Loop: Header=BB307_419 Depth=1
	s_or_b32 exec_lo, exec_lo, s13
.LBB307_690:                            ;   in Loop: Header=BB307_419 Depth=1
	s_delay_alu instid0(SALU_CYCLE_1)
	s_or_b32 exec_lo, exec_lo, s12
.LBB307_691:                            ;   in Loop: Header=BB307_419 Depth=1
	s_delay_alu instid0(SALU_CYCLE_1) | instskip(SKIP_2) | instid1(VALU_DEP_1)
	s_or_b32 exec_lo, exec_lo, s10
	v_lshrrev_b16 v0, 8, v11
	s_mov_b32 s10, exec_lo
	v_cmpx_ne_u16_e32 0, v0
	s_cbranch_execz .LBB307_699
; %bb.692:                              ;   in Loop: Header=BB307_419 Depth=1
	v_bfrev_b32_e32 v71, 1
	s_mov_b32 s12, exec_lo
	v_cmpx_ne_u16_e32 0x80, v0
	s_cbranch_execz .LBB307_698
; %bb.693:                              ;   in Loop: Header=BB307_419 Depth=1
	v_and_b32_e32 v13, 0xffff, v0
	v_mov_b32_e32 v71, 0x7fc02000
	s_mov_b32 s13, exec_lo
	s_delay_alu instid0(VALU_DEP_2) | instskip(NEXT) | instid1(VALU_DEP_1)
	v_and_b32_e32 v80, 0x7f, v13
	v_cmpx_ne_u32_e32 0x7f, v80
	s_cbranch_execz .LBB307_697
; %bb.694:                              ;   in Loop: Header=BB307_419 Depth=1
	v_and_b32_e32 v0, 7, v13
	v_lshrrev_b32_e32 v14, 3, v80
	s_mov_b32 s15, exec_lo
	v_cmpx_gt_u32_e32 8, v80
; %bb.695:                              ;   in Loop: Header=BB307_419 Depth=1
	s_delay_alu instid0(VALU_DEP_3) | instskip(NEXT) | instid1(VALU_DEP_1)
	v_clz_i32_u32_e32 v14, v0
	v_min_u32_e32 v14, 32, v14
	s_delay_alu instid0(VALU_DEP_1) | instskip(SKIP_1) | instid1(VALU_DEP_2)
	v_subrev_nc_u32_e32 v71, 28, v14
	v_sub_nc_u32_e32 v14, 29, v14
	v_lshlrev_b64 v[80:81], v71, v[0:1]
	s_delay_alu instid0(VALU_DEP_1)
	v_and_b32_e32 v0, 7, v80
; %bb.696:                              ;   in Loop: Header=BB307_419 Depth=1
	s_or_b32 exec_lo, exec_lo, s15
	v_lshlrev_b32_e32 v13, 8, v13
	v_lshl_add_u32 v14, v14, 10, 0x2000
	s_delay_alu instid0(VALU_DEP_1) | instskip(NEXT) | instid1(VALU_DEP_1)
	v_and_or_b32 v13, 0x8000, v13, v14
	v_lshl_or_b32 v0, v0, 7, v13
	s_delay_alu instid0(VALU_DEP_1)
	v_cvt_f32_f16_e32 v71, v0
.LBB307_697:                            ;   in Loop: Header=BB307_419 Depth=1
	s_or_b32 exec_lo, exec_lo, s13
.LBB307_698:                            ;   in Loop: Header=BB307_419 Depth=1
	s_delay_alu instid0(SALU_CYCLE_1)
	s_or_b32 exec_lo, exec_lo, s12
.LBB307_699:                            ;   in Loop: Header=BB307_419 Depth=1
	s_delay_alu instid0(SALU_CYCLE_1) | instskip(SKIP_3) | instid1(VALU_DEP_2)
	s_or_b32 exec_lo, exec_lo, s10
	v_lshrrev_b32_e32 v13, 16, v11
	v_mov_b32_e32 v80, 0
	s_mov_b32 s10, exec_lo
	v_dual_mov_b32 v81, 0 :: v_dual_and_b32 v0, 0xff, v13
	s_delay_alu instid0(VALU_DEP_1)
	v_cmpx_ne_u16_e32 0, v0
	s_cbranch_execz .LBB307_707
; %bb.700:                              ;   in Loop: Header=BB307_419 Depth=1
	v_bfrev_b32_e32 v80, 1
	s_mov_b32 s12, exec_lo
	v_cmpx_ne_u16_e32 0x80, v0
	s_cbranch_execz .LBB307_706
; %bb.701:                              ;   in Loop: Header=BB307_419 Depth=1
	v_bfe_u32 v82, v11, 16, 7
	v_mov_b32_e32 v80, 0x7fc02000
	s_mov_b32 s13, exec_lo
	s_delay_alu instid0(VALU_DEP_2)
	v_cmpx_ne_u32_e32 0x7f, v82
	s_cbranch_execz .LBB307_705
; %bb.702:                              ;   in Loop: Header=BB307_419 Depth=1
	v_and_b32_e32 v0, 7, v13
	v_lshrrev_b32_e32 v14, 3, v82
	s_mov_b32 s15, exec_lo
	v_cmpx_gt_u32_e32 8, v82
; %bb.703:                              ;   in Loop: Header=BB307_419 Depth=1
	s_delay_alu instid0(VALU_DEP_3) | instskip(NEXT) | instid1(VALU_DEP_1)
	v_clz_i32_u32_e32 v14, v0
	v_min_u32_e32 v14, 32, v14
	s_delay_alu instid0(VALU_DEP_1) | instskip(SKIP_1) | instid1(VALU_DEP_2)
	v_subrev_nc_u32_e32 v80, 28, v14
	v_sub_nc_u32_e32 v14, 29, v14
	v_lshlrev_b64 v[82:83], v80, v[0:1]
	s_delay_alu instid0(VALU_DEP_1)
	v_and_b32_e32 v0, 7, v82
; %bb.704:                              ;   in Loop: Header=BB307_419 Depth=1
	s_or_b32 exec_lo, exec_lo, s15
	v_lshlrev_b32_e32 v13, 8, v13
	v_lshl_add_u32 v14, v14, 10, 0x2000
	s_delay_alu instid0(VALU_DEP_1) | instskip(NEXT) | instid1(VALU_DEP_1)
	v_and_or_b32 v13, 0x8000, v13, v14
	v_lshl_or_b32 v0, v0, 7, v13
	s_delay_alu instid0(VALU_DEP_1)
	v_cvt_f32_f16_e32 v80, v0
.LBB307_705:                            ;   in Loop: Header=BB307_419 Depth=1
	s_or_b32 exec_lo, exec_lo, s13
.LBB307_706:                            ;   in Loop: Header=BB307_419 Depth=1
	s_delay_alu instid0(SALU_CYCLE_1)
	s_or_b32 exec_lo, exec_lo, s12
.LBB307_707:                            ;   in Loop: Header=BB307_419 Depth=1
	s_delay_alu instid0(SALU_CYCLE_1) | instskip(NEXT) | instid1(SALU_CYCLE_1)
	s_or_b32 exec_lo, exec_lo, s10
	s_mov_b32 s10, exec_lo
	v_cmpx_lt_u32_e32 0xffffff, v11
	s_cbranch_execz .LBB307_715
; %bb.708:                              ;   in Loop: Header=BB307_419 Depth=1
	v_lshrrev_b32_e32 v13, 24, v11
	v_bfrev_b32_e32 v81, 1
	s_mov_b32 s12, exec_lo
	s_delay_alu instid0(VALU_DEP_2)
	v_cmpx_ne_u32_e32 0x80, v13
	s_cbranch_execz .LBB307_714
; %bb.709:                              ;   in Loop: Header=BB307_419 Depth=1
	v_and_b32_e32 v82, 0x7f, v13
	v_mov_b32_e32 v81, 0x7fc02000
	s_mov_b32 s13, exec_lo
	s_delay_alu instid0(VALU_DEP_2)
	v_cmpx_ne_u32_e32 0x7f, v82
	s_cbranch_execz .LBB307_713
; %bb.710:                              ;   in Loop: Header=BB307_419 Depth=1
	v_and_b32_e32 v0, 7, v13
	v_lshrrev_b32_e32 v14, 3, v82
	s_mov_b32 s15, exec_lo
	v_cmpx_gt_u32_e32 8, v82
; %bb.711:                              ;   in Loop: Header=BB307_419 Depth=1
	s_delay_alu instid0(VALU_DEP_3) | instskip(NEXT) | instid1(VALU_DEP_1)
	v_clz_i32_u32_e32 v14, v0
	v_min_u32_e32 v14, 32, v14
	s_delay_alu instid0(VALU_DEP_1) | instskip(SKIP_1) | instid1(VALU_DEP_2)
	v_subrev_nc_u32_e32 v81, 28, v14
	v_sub_nc_u32_e32 v14, 29, v14
	v_lshlrev_b64 v[81:82], v81, v[0:1]
	s_delay_alu instid0(VALU_DEP_1)
	v_and_b32_e32 v0, 7, v81
; %bb.712:                              ;   in Loop: Header=BB307_419 Depth=1
	s_or_b32 exec_lo, exec_lo, s15
	v_lshlrev_b32_e32 v13, 8, v13
	v_lshl_add_u32 v14, v14, 10, 0x2000
	s_delay_alu instid0(VALU_DEP_1) | instskip(NEXT) | instid1(VALU_DEP_1)
	v_and_or_b32 v13, 0x8000, v13, v14
	v_lshl_or_b32 v0, v0, 7, v13
	s_delay_alu instid0(VALU_DEP_1)
	v_cvt_f32_f16_e32 v81, v0
.LBB307_713:                            ;   in Loop: Header=BB307_419 Depth=1
	s_or_b32 exec_lo, exec_lo, s13
.LBB307_714:                            ;   in Loop: Header=BB307_419 Depth=1
	s_delay_alu instid0(SALU_CYCLE_1)
	s_or_b32 exec_lo, exec_lo, s12
.LBB307_715:                            ;   in Loop: Header=BB307_419 Depth=1
	s_delay_alu instid0(SALU_CYCLE_1) | instskip(SKIP_4) | instid1(VALU_DEP_3)
	s_or_b32 exec_lo, exec_lo, s10
	v_dual_mov_b32 v13, 0 :: v_dual_and_b32 v14, 0xff, v12
	v_mov_b32_e32 v0, v12
	v_mov_b32_e32 v82, 0
	s_mov_b32 s10, exec_lo
	v_cmpx_ne_u16_e32 0, v14
	s_cbranch_execz .LBB307_723
; %bb.716:                              ;   in Loop: Header=BB307_419 Depth=1
	v_bfrev_b32_e32 v13, 1
	s_mov_b32 s12, exec_lo
	v_cmpx_ne_u16_e32 0x80, v14
	s_cbranch_execz .LBB307_722
; %bb.717:                              ;   in Loop: Header=BB307_419 Depth=1
	v_and_b32_e32 v14, 0x7f, v12
	v_mov_b32_e32 v13, 0x7fc02000
	s_mov_b32 s13, exec_lo
	s_delay_alu instid0(VALU_DEP_2)
	v_cmpx_ne_u32_e32 0x7f, v14
	s_cbranch_execz .LBB307_721
; %bb.718:                              ;   in Loop: Header=BB307_419 Depth=1
	v_lshrrev_b32_e32 v83, 3, v14
	v_cmp_gt_u32_e64 s0, 8, v14
	v_dual_mov_b32 v14, v1 :: v_dual_mov_b32 v13, v0
	s_delay_alu instid0(VALU_DEP_2)
	s_and_saveexec_b32 s15, s0
; %bb.719:                              ;   in Loop: Header=BB307_419 Depth=1
	v_and_b32_e32 v13, 7, v12
	s_delay_alu instid0(VALU_DEP_1) | instskip(NEXT) | instid1(VALU_DEP_1)
	v_clz_i32_u32_e32 v13, v13
	v_min_u32_e32 v83, 32, v13
	s_delay_alu instid0(VALU_DEP_1) | instskip(SKIP_1) | instid1(VALU_DEP_2)
	v_subrev_nc_u32_e32 v13, 28, v83
	v_sub_nc_u32_e32 v83, 29, v83
	v_lshlrev_b64 v[13:14], v13, v[0:1]
; %bb.720:                              ;   in Loop: Header=BB307_419 Depth=1
	s_or_b32 exec_lo, exec_lo, s15
	v_lshlrev_b32_e32 v14, 8, v12
	s_delay_alu instid0(VALU_DEP_3) | instskip(NEXT) | instid1(VALU_DEP_3)
	v_lshl_add_u32 v83, v83, 10, 0x2000
	v_lshlrev_b32_e32 v13, 7, v13
	s_delay_alu instid0(VALU_DEP_2) | instskip(NEXT) | instid1(VALU_DEP_1)
	v_and_or_b32 v14, 0x8000, v14, v83
	v_and_or_b32 v13, 0x380, v13, v14
	s_delay_alu instid0(VALU_DEP_1)
	v_cvt_f32_f16_e32 v13, v13
.LBB307_721:                            ;   in Loop: Header=BB307_419 Depth=1
	s_or_b32 exec_lo, exec_lo, s13
.LBB307_722:                            ;   in Loop: Header=BB307_419 Depth=1
	s_delay_alu instid0(SALU_CYCLE_1)
	s_or_b32 exec_lo, exec_lo, s12
.LBB307_723:                            ;   in Loop: Header=BB307_419 Depth=1
	s_delay_alu instid0(SALU_CYCLE_1) | instskip(SKIP_2) | instid1(VALU_DEP_1)
	s_or_b32 exec_lo, exec_lo, s10
	v_lshrrev_b16 v0, 8, v0
	s_mov_b32 s10, exec_lo
	v_cmpx_ne_u16_e32 0, v0
	s_cbranch_execz .LBB307_731
; %bb.724:                              ;   in Loop: Header=BB307_419 Depth=1
	v_bfrev_b32_e32 v82, 1
	s_mov_b32 s12, exec_lo
	v_cmpx_ne_u16_e32 0x80, v0
	s_cbranch_execz .LBB307_730
; %bb.725:                              ;   in Loop: Header=BB307_419 Depth=1
	v_and_b32_e32 v14, 0xffff, v0
	v_mov_b32_e32 v82, 0x7fc02000
	s_mov_b32 s13, exec_lo
	s_delay_alu instid0(VALU_DEP_2) | instskip(NEXT) | instid1(VALU_DEP_1)
	v_and_b32_e32 v83, 0x7f, v14
	v_cmpx_ne_u32_e32 0x7f, v83
	s_cbranch_execz .LBB307_729
; %bb.726:                              ;   in Loop: Header=BB307_419 Depth=1
	v_and_b32_e32 v0, 7, v14
	v_lshrrev_b32_e32 v82, 3, v83
	s_mov_b32 s15, exec_lo
	v_cmpx_gt_u32_e32 8, v83
; %bb.727:                              ;   in Loop: Header=BB307_419 Depth=1
	s_delay_alu instid0(VALU_DEP_3) | instskip(NEXT) | instid1(VALU_DEP_1)
	v_clz_i32_u32_e32 v82, v0
	v_min_u32_e32 v82, 32, v82
	s_delay_alu instid0(VALU_DEP_1) | instskip(SKIP_1) | instid1(VALU_DEP_2)
	v_subrev_nc_u32_e32 v83, 28, v82
	v_sub_nc_u32_e32 v82, 29, v82
	v_lshlrev_b64 v[83:84], v83, v[0:1]
	s_delay_alu instid0(VALU_DEP_1)
	v_and_b32_e32 v0, 7, v83
; %bb.728:                              ;   in Loop: Header=BB307_419 Depth=1
	s_or_b32 exec_lo, exec_lo, s15
	v_lshlrev_b32_e32 v14, 8, v14
	v_lshl_add_u32 v82, v82, 10, 0x2000
	s_delay_alu instid0(VALU_DEP_1) | instskip(NEXT) | instid1(VALU_DEP_1)
	v_and_or_b32 v14, 0x8000, v14, v82
	v_lshl_or_b32 v0, v0, 7, v14
	s_delay_alu instid0(VALU_DEP_1)
	v_cvt_f32_f16_e32 v82, v0
.LBB307_729:                            ;   in Loop: Header=BB307_419 Depth=1
	s_or_b32 exec_lo, exec_lo, s13
.LBB307_730:                            ;   in Loop: Header=BB307_419 Depth=1
	s_delay_alu instid0(SALU_CYCLE_1)
	s_or_b32 exec_lo, exec_lo, s12
.LBB307_731:                            ;   in Loop: Header=BB307_419 Depth=1
	s_delay_alu instid0(SALU_CYCLE_1) | instskip(SKIP_3) | instid1(VALU_DEP_2)
	s_or_b32 exec_lo, exec_lo, s10
	v_lshrrev_b32_e32 v84, 16, v12
	v_mov_b32_e32 v14, 0
	s_mov_b32 s10, exec_lo
	v_dual_mov_b32 v83, 0 :: v_dual_and_b32 v0, 0xff, v84
	s_delay_alu instid0(VALU_DEP_1)
	v_cmpx_ne_u16_e32 0, v0
	s_cbranch_execz .LBB307_739
; %bb.732:                              ;   in Loop: Header=BB307_419 Depth=1
	v_bfrev_b32_e32 v14, 1
	s_mov_b32 s12, exec_lo
	v_cmpx_ne_u16_e32 0x80, v0
	s_cbranch_execz .LBB307_738
; %bb.733:                              ;   in Loop: Header=BB307_419 Depth=1
	v_bfe_u32 v85, v12, 16, 7
	v_mov_b32_e32 v14, 0x7fc02000
	s_mov_b32 s13, exec_lo
	s_delay_alu instid0(VALU_DEP_2)
	v_cmpx_ne_u32_e32 0x7f, v85
	s_cbranch_execz .LBB307_737
; %bb.734:                              ;   in Loop: Header=BB307_419 Depth=1
	v_and_b32_e32 v0, 7, v84
	v_lshrrev_b32_e32 v14, 3, v85
	s_mov_b32 s15, exec_lo
	v_cmpx_gt_u32_e32 8, v85
; %bb.735:                              ;   in Loop: Header=BB307_419 Depth=1
	s_delay_alu instid0(VALU_DEP_3) | instskip(NEXT) | instid1(VALU_DEP_1)
	v_clz_i32_u32_e32 v14, v0
	v_min_u32_e32 v14, 32, v14
	s_delay_alu instid0(VALU_DEP_1) | instskip(SKIP_1) | instid1(VALU_DEP_2)
	v_subrev_nc_u32_e32 v85, 28, v14
	v_sub_nc_u32_e32 v14, 29, v14
	v_lshlrev_b64 v[85:86], v85, v[0:1]
	s_delay_alu instid0(VALU_DEP_1)
	v_and_b32_e32 v0, 7, v85
; %bb.736:                              ;   in Loop: Header=BB307_419 Depth=1
	s_or_b32 exec_lo, exec_lo, s15
	v_lshlrev_b32_e32 v84, 8, v84
	v_lshl_add_u32 v14, v14, 10, 0x2000
	s_delay_alu instid0(VALU_DEP_1) | instskip(NEXT) | instid1(VALU_DEP_1)
	v_and_or_b32 v14, 0x8000, v84, v14
	v_lshl_or_b32 v0, v0, 7, v14
	s_delay_alu instid0(VALU_DEP_1)
	v_cvt_f32_f16_e32 v14, v0
.LBB307_737:                            ;   in Loop: Header=BB307_419 Depth=1
	s_or_b32 exec_lo, exec_lo, s13
.LBB307_738:                            ;   in Loop: Header=BB307_419 Depth=1
	s_delay_alu instid0(SALU_CYCLE_1)
	s_or_b32 exec_lo, exec_lo, s12
.LBB307_739:                            ;   in Loop: Header=BB307_419 Depth=1
	s_delay_alu instid0(SALU_CYCLE_1) | instskip(NEXT) | instid1(SALU_CYCLE_1)
	s_or_b32 exec_lo, exec_lo, s10
	s_mov_b32 s10, exec_lo
	v_cmpx_lt_u64_e64 s[8:9], v[11:12]
	s_cbranch_execz .LBB307_747
; %bb.740:                              ;   in Loop: Header=BB307_419 Depth=1
	v_lshrrev_b32_e32 v11, 24, v12
	v_bfrev_b32_e32 v83, 1
	s_mov_b32 s12, exec_lo
	s_delay_alu instid0(VALU_DEP_2)
	v_cmpx_ne_u32_e32 0x80, v11
	s_cbranch_execz .LBB307_746
; %bb.741:                              ;   in Loop: Header=BB307_419 Depth=1
	v_and_b32_e32 v84, 0x7f, v11
	v_mov_b32_e32 v83, 0x7fc02000
	s_mov_b32 s13, exec_lo
	s_delay_alu instid0(VALU_DEP_2)
	v_cmpx_ne_u32_e32 0x7f, v84
	s_cbranch_execz .LBB307_745
; %bb.742:                              ;   in Loop: Header=BB307_419 Depth=1
	v_and_b32_e32 v0, 7, v11
	v_lshrrev_b32_e32 v12, 3, v84
	s_mov_b32 s15, exec_lo
	v_cmpx_gt_u32_e32 8, v84
; %bb.743:                              ;   in Loop: Header=BB307_419 Depth=1
	s_delay_alu instid0(VALU_DEP_3) | instskip(NEXT) | instid1(VALU_DEP_1)
	v_clz_i32_u32_e32 v12, v0
	v_min_u32_e32 v12, 32, v12
	s_delay_alu instid0(VALU_DEP_1) | instskip(SKIP_1) | instid1(VALU_DEP_2)
	v_subrev_nc_u32_e32 v83, 28, v12
	v_sub_nc_u32_e32 v12, 29, v12
	v_lshlrev_b64 v[83:84], v83, v[0:1]
	s_delay_alu instid0(VALU_DEP_1)
	v_and_b32_e32 v0, 7, v83
; %bb.744:                              ;   in Loop: Header=BB307_419 Depth=1
	s_or_b32 exec_lo, exec_lo, s15
	v_lshlrev_b32_e32 v11, 8, v11
	v_lshl_add_u32 v12, v12, 10, 0x2000
	s_delay_alu instid0(VALU_DEP_1) | instskip(NEXT) | instid1(VALU_DEP_1)
	v_and_or_b32 v11, 0x8000, v11, v12
	v_lshl_or_b32 v0, v0, 7, v11
	s_delay_alu instid0(VALU_DEP_1)
	v_cvt_f32_f16_e32 v83, v0
.LBB307_745:                            ;   in Loop: Header=BB307_419 Depth=1
	s_or_b32 exec_lo, exec_lo, s13
.LBB307_746:                            ;   in Loop: Header=BB307_419 Depth=1
	s_delay_alu instid0(SALU_CYCLE_1)
	s_or_b32 exec_lo, exec_lo, s12
.LBB307_747:                            ;   in Loop: Header=BB307_419 Depth=1
	s_delay_alu instid0(SALU_CYCLE_1)
	s_or_b32 exec_lo, exec_lo, s10
	s_waitcnt vmcnt(0) lgkmcnt(0)
	v_fma_mixlo_f16 v12, v69, v71, 0
	v_fma_mixlo_f16 v0, v69, v81, 0
	;; [unrolled: 1-line block ×5, first 2 shown]
	v_lshlrev_b32_e32 v71, 16, v12
	v_fma_mixlo_f16 v13, v69, v13, 0
	v_fma_mixlo_f16 v81, v69, v83, 0
	;; [unrolled: 1-line block ×3, first 2 shown]
	v_lshlrev_b32_e32 v0, 16, v0
	v_and_b32_e32 v11, 0xffff, v11
	v_and_b32_e32 v14, 0xffff, v70
	v_lshlrev_b32_e32 v69, 16, v80
	v_and_b32_e32 v70, 0xffff, v13
	v_lshlrev_b32_e32 v80, 16, v81
	v_and_b32_e32 v81, 0xffff, v12
	v_or_b32_e32 v13, v0, v11
	v_or_b32_e32 v14, v71, v14
	;; [unrolled: 1-line block ×3, first 2 shown]
	s_delay_alu instid0(VALU_DEP_4)
	v_or_b32_e32 v11, v80, v81
	s_and_saveexec_b32 s10, vcc_lo
	s_cbranch_execz .LBB307_749
; %bb.748:                              ;   in Loop: Header=BB307_419 Depth=1
	v_cmp_lt_i32_e64 s0, v15, v32
	v_lshrrev_b32_e32 v69, 16, v14
	v_lshrrev_b32_e32 v70, 16, v13
	;; [unrolled: 1-line block ×4, first 2 shown]
	v_cndmask_b32_e64 v14, 0, v14, s0
	v_cmp_lt_i32_e64 s0, v48, v29
	s_delay_alu instid0(VALU_DEP_1) | instskip(SKIP_1) | instid1(VALU_DEP_2)
	v_cndmask_b32_e64 v69, 0, v69, s0
	v_cmp_lt_i32_e64 s0, v39, v29
	v_perm_b32 v14, v69, v14, 0x5040100
	s_delay_alu instid0(VALU_DEP_2) | instskip(SKIP_1) | instid1(VALU_DEP_1)
	v_cndmask_b32_e64 v70, 0, v70, s0
	v_cmp_lt_i32_e64 s0, v38, v32
	v_cndmask_b32_e64 v13, 0, v13, s0
	v_cmp_lt_i32_e64 s0, v37, v29
	s_delay_alu instid0(VALU_DEP_2) | instskip(NEXT) | instid1(VALU_DEP_2)
	v_perm_b32 v13, v70, v13, 0x5040100
	v_cndmask_b32_e64 v71, 0, v71, s0
	v_cmp_lt_i32_e64 s0, v36, v32
	s_delay_alu instid0(VALU_DEP_1) | instskip(SKIP_1) | instid1(VALU_DEP_2)
	v_cndmask_b32_e64 v0, 0, v0, s0
	v_cmp_lt_i32_e64 s0, v35, v29
	v_perm_b32 v0, v71, v0, 0x5040100
	s_delay_alu instid0(VALU_DEP_2) | instskip(SKIP_1) | instid1(VALU_DEP_1)
	v_cndmask_b32_e64 v11, 0, v11, s0
	v_cmp_lt_i32_e64 s0, v17, v32
	v_cndmask_b32_e64 v12, 0, v12, s0
	s_delay_alu instid0(VALU_DEP_1)
	v_perm_b32 v11, v11, v12, 0x5040100
.LBB307_749:                            ;   in Loop: Header=BB307_419 Depth=1
	s_or_b32 exec_lo, exec_lo, s10
	;;#ASMSTART
	v_pk_mul_f16 v12, v52, v14;

	;;#ASMEND
	;;#ASMSTART
	v_pk_mul_f16 v13, v51, v13;

	;;#ASMEND
	;; [unrolled: 4-line block ×4, first 2 shown]
	;;#ASMSTART
	v_pk_add_f16 v12, v12, v13;

	;;#ASMEND
	;;#ASMSTART
	v_pk_add_f16 v0, v12, v0;

	;;#ASMEND
	;; [unrolled: 4-line block ×3, first 2 shown]
	v_dual_mov_b32 v70, 0 :: v_dual_and_b32 v11, 0xffff, v0
	v_lshrrev_b32_e32 v0, 16, v0
	;;#ASMSTART
	v_cvt_f32_f16 v13, v11;
	;;#ASMEND
	;;#ASMSTART
	v_cvt_f32_f16 v14, v0;
	;;#ASMEND
	flat_load_b64 v[9:10], v[9:10] offset:1280
	flat_load_b32 v69, v[26:27]
	s_mov_b32 s10, exec_lo
	s_waitcnt vmcnt(1) lgkmcnt(1)
	v_dual_mov_b32 v71, 0 :: v_dual_and_b32 v0, 0xff, v9
	s_delay_alu instid0(VALU_DEP_1)
	v_cmpx_ne_u16_e32 0, v0
	s_cbranch_execz .LBB307_757
; %bb.750:                              ;   in Loop: Header=BB307_419 Depth=1
	v_bfrev_b32_e32 v70, 1
	s_mov_b32 s12, exec_lo
	v_cmpx_ne_u16_e32 0x80, v0
	s_cbranch_execz .LBB307_756
; %bb.751:                              ;   in Loop: Header=BB307_419 Depth=1
	v_and_b32_e32 v11, 0x7f, v9
	v_mov_b32_e32 v70, 0x7fc02000
	s_mov_b32 s13, exec_lo
	s_delay_alu instid0(VALU_DEP_2)
	v_cmpx_ne_u32_e32 0x7f, v11
	s_cbranch_execz .LBB307_755
; %bb.752:                              ;   in Loop: Header=BB307_419 Depth=1
	v_lshrrev_b32_e32 v0, 3, v11
	v_cmp_gt_u32_e64 s0, 8, v11
	v_dual_mov_b32 v12, v10 :: v_dual_mov_b32 v11, v9
	s_delay_alu instid0(VALU_DEP_2)
	s_and_saveexec_b32 s15, s0
; %bb.753:                              ;   in Loop: Header=BB307_419 Depth=1
	v_and_b32_e32 v0, 7, v9
	s_delay_alu instid0(VALU_DEP_1) | instskip(NEXT) | instid1(VALU_DEP_1)
	v_clz_i32_u32_e32 v0, v0
	v_min_u32_e32 v0, 32, v0
	s_delay_alu instid0(VALU_DEP_1) | instskip(SKIP_1) | instid1(VALU_DEP_2)
	v_subrev_nc_u32_e32 v11, 28, v0
	v_sub_nc_u32_e32 v0, 29, v0
	v_lshlrev_b64 v[11:12], v11, v[9:10]
; %bb.754:                              ;   in Loop: Header=BB307_419 Depth=1
	s_or_b32 exec_lo, exec_lo, s15
	v_lshlrev_b32_e32 v12, 8, v9
	s_delay_alu instid0(VALU_DEP_3) | instskip(NEXT) | instid1(VALU_DEP_3)
	v_lshl_add_u32 v0, v0, 10, 0x2000
	v_lshlrev_b32_e32 v11, 7, v11
	s_delay_alu instid0(VALU_DEP_2) | instskip(NEXT) | instid1(VALU_DEP_1)
	v_and_or_b32 v0, 0x8000, v12, v0
	v_and_or_b32 v0, 0x380, v11, v0
	s_delay_alu instid0(VALU_DEP_1)
	v_cvt_f32_f16_e32 v70, v0
.LBB307_755:                            ;   in Loop: Header=BB307_419 Depth=1
	s_or_b32 exec_lo, exec_lo, s13
.LBB307_756:                            ;   in Loop: Header=BB307_419 Depth=1
	s_delay_alu instid0(SALU_CYCLE_1)
	s_or_b32 exec_lo, exec_lo, s12
.LBB307_757:                            ;   in Loop: Header=BB307_419 Depth=1
	s_delay_alu instid0(SALU_CYCLE_1) | instskip(SKIP_2) | instid1(VALU_DEP_1)
	s_or_b32 exec_lo, exec_lo, s10
	v_lshrrev_b16 v0, 8, v9
	s_mov_b32 s10, exec_lo
	v_cmpx_ne_u16_e32 0, v0
	s_cbranch_execz .LBB307_765
; %bb.758:                              ;   in Loop: Header=BB307_419 Depth=1
	v_bfrev_b32_e32 v71, 1
	s_mov_b32 s12, exec_lo
	v_cmpx_ne_u16_e32 0x80, v0
	s_cbranch_execz .LBB307_764
; %bb.759:                              ;   in Loop: Header=BB307_419 Depth=1
	v_and_b32_e32 v11, 0xffff, v0
	v_mov_b32_e32 v71, 0x7fc02000
	s_mov_b32 s13, exec_lo
	s_delay_alu instid0(VALU_DEP_2) | instskip(NEXT) | instid1(VALU_DEP_1)
	v_and_b32_e32 v80, 0x7f, v11
	v_cmpx_ne_u32_e32 0x7f, v80
	s_cbranch_execz .LBB307_763
; %bb.760:                              ;   in Loop: Header=BB307_419 Depth=1
	v_and_b32_e32 v0, 7, v11
	v_lshrrev_b32_e32 v12, 3, v80
	s_mov_b32 s15, exec_lo
	v_cmpx_gt_u32_e32 8, v80
; %bb.761:                              ;   in Loop: Header=BB307_419 Depth=1
	s_delay_alu instid0(VALU_DEP_3) | instskip(NEXT) | instid1(VALU_DEP_1)
	v_clz_i32_u32_e32 v12, v0
	v_min_u32_e32 v12, 32, v12
	s_delay_alu instid0(VALU_DEP_1) | instskip(SKIP_1) | instid1(VALU_DEP_2)
	v_subrev_nc_u32_e32 v71, 28, v12
	v_sub_nc_u32_e32 v12, 29, v12
	v_lshlrev_b64 v[80:81], v71, v[0:1]
	s_delay_alu instid0(VALU_DEP_1)
	v_and_b32_e32 v0, 7, v80
; %bb.762:                              ;   in Loop: Header=BB307_419 Depth=1
	s_or_b32 exec_lo, exec_lo, s15
	v_lshlrev_b32_e32 v11, 8, v11
	v_lshl_add_u32 v12, v12, 10, 0x2000
	s_delay_alu instid0(VALU_DEP_1) | instskip(NEXT) | instid1(VALU_DEP_1)
	v_and_or_b32 v11, 0x8000, v11, v12
	v_lshl_or_b32 v0, v0, 7, v11
	s_delay_alu instid0(VALU_DEP_1)
	v_cvt_f32_f16_e32 v71, v0
.LBB307_763:                            ;   in Loop: Header=BB307_419 Depth=1
	s_or_b32 exec_lo, exec_lo, s13
.LBB307_764:                            ;   in Loop: Header=BB307_419 Depth=1
	s_delay_alu instid0(SALU_CYCLE_1)
	s_or_b32 exec_lo, exec_lo, s12
.LBB307_765:                            ;   in Loop: Header=BB307_419 Depth=1
	s_delay_alu instid0(SALU_CYCLE_1) | instskip(SKIP_3) | instid1(VALU_DEP_2)
	s_or_b32 exec_lo, exec_lo, s10
	v_lshrrev_b32_e32 v11, 16, v9
	v_mov_b32_e32 v80, 0
	s_mov_b32 s10, exec_lo
	v_dual_mov_b32 v81, 0 :: v_dual_and_b32 v0, 0xff, v11
	s_delay_alu instid0(VALU_DEP_1)
	v_cmpx_ne_u16_e32 0, v0
	s_cbranch_execz .LBB307_773
; %bb.766:                              ;   in Loop: Header=BB307_419 Depth=1
	v_bfrev_b32_e32 v80, 1
	s_mov_b32 s12, exec_lo
	v_cmpx_ne_u16_e32 0x80, v0
	s_cbranch_execz .LBB307_772
; %bb.767:                              ;   in Loop: Header=BB307_419 Depth=1
	v_bfe_u32 v82, v9, 16, 7
	v_mov_b32_e32 v80, 0x7fc02000
	s_mov_b32 s13, exec_lo
	s_delay_alu instid0(VALU_DEP_2)
	v_cmpx_ne_u32_e32 0x7f, v82
	s_cbranch_execz .LBB307_771
; %bb.768:                              ;   in Loop: Header=BB307_419 Depth=1
	v_and_b32_e32 v0, 7, v11
	v_lshrrev_b32_e32 v12, 3, v82
	s_mov_b32 s15, exec_lo
	v_cmpx_gt_u32_e32 8, v82
; %bb.769:                              ;   in Loop: Header=BB307_419 Depth=1
	s_delay_alu instid0(VALU_DEP_3) | instskip(NEXT) | instid1(VALU_DEP_1)
	v_clz_i32_u32_e32 v12, v0
	v_min_u32_e32 v12, 32, v12
	s_delay_alu instid0(VALU_DEP_1) | instskip(SKIP_1) | instid1(VALU_DEP_2)
	v_subrev_nc_u32_e32 v80, 28, v12
	v_sub_nc_u32_e32 v12, 29, v12
	v_lshlrev_b64 v[82:83], v80, v[0:1]
	s_delay_alu instid0(VALU_DEP_1)
	v_and_b32_e32 v0, 7, v82
; %bb.770:                              ;   in Loop: Header=BB307_419 Depth=1
	s_or_b32 exec_lo, exec_lo, s15
	v_lshlrev_b32_e32 v11, 8, v11
	v_lshl_add_u32 v12, v12, 10, 0x2000
	s_delay_alu instid0(VALU_DEP_1) | instskip(NEXT) | instid1(VALU_DEP_1)
	v_and_or_b32 v11, 0x8000, v11, v12
	v_lshl_or_b32 v0, v0, 7, v11
	s_delay_alu instid0(VALU_DEP_1)
	v_cvt_f32_f16_e32 v80, v0
.LBB307_771:                            ;   in Loop: Header=BB307_419 Depth=1
	s_or_b32 exec_lo, exec_lo, s13
.LBB307_772:                            ;   in Loop: Header=BB307_419 Depth=1
	s_delay_alu instid0(SALU_CYCLE_1)
	s_or_b32 exec_lo, exec_lo, s12
.LBB307_773:                            ;   in Loop: Header=BB307_419 Depth=1
	s_delay_alu instid0(SALU_CYCLE_1) | instskip(NEXT) | instid1(SALU_CYCLE_1)
	s_or_b32 exec_lo, exec_lo, s10
	s_mov_b32 s10, exec_lo
	v_cmpx_lt_u32_e32 0xffffff, v9
	s_cbranch_execz .LBB307_781
; %bb.774:                              ;   in Loop: Header=BB307_419 Depth=1
	v_lshrrev_b32_e32 v11, 24, v9
	v_bfrev_b32_e32 v81, 1
	s_mov_b32 s12, exec_lo
	s_delay_alu instid0(VALU_DEP_2)
	v_cmpx_ne_u32_e32 0x80, v11
	s_cbranch_execz .LBB307_780
; %bb.775:                              ;   in Loop: Header=BB307_419 Depth=1
	v_and_b32_e32 v82, 0x7f, v11
	v_mov_b32_e32 v81, 0x7fc02000
	s_mov_b32 s13, exec_lo
	s_delay_alu instid0(VALU_DEP_2)
	v_cmpx_ne_u32_e32 0x7f, v82
	s_cbranch_execz .LBB307_779
; %bb.776:                              ;   in Loop: Header=BB307_419 Depth=1
	v_and_b32_e32 v0, 7, v11
	v_lshrrev_b32_e32 v12, 3, v82
	s_mov_b32 s15, exec_lo
	v_cmpx_gt_u32_e32 8, v82
; %bb.777:                              ;   in Loop: Header=BB307_419 Depth=1
	s_delay_alu instid0(VALU_DEP_3) | instskip(NEXT) | instid1(VALU_DEP_1)
	v_clz_i32_u32_e32 v12, v0
	v_min_u32_e32 v12, 32, v12
	s_delay_alu instid0(VALU_DEP_1) | instskip(SKIP_1) | instid1(VALU_DEP_2)
	v_subrev_nc_u32_e32 v81, 28, v12
	v_sub_nc_u32_e32 v12, 29, v12
	v_lshlrev_b64 v[81:82], v81, v[0:1]
	s_delay_alu instid0(VALU_DEP_1)
	v_and_b32_e32 v0, 7, v81
; %bb.778:                              ;   in Loop: Header=BB307_419 Depth=1
	s_or_b32 exec_lo, exec_lo, s15
	v_lshlrev_b32_e32 v11, 8, v11
	v_lshl_add_u32 v12, v12, 10, 0x2000
	s_delay_alu instid0(VALU_DEP_1) | instskip(NEXT) | instid1(VALU_DEP_1)
	v_and_or_b32 v11, 0x8000, v11, v12
	v_lshl_or_b32 v0, v0, 7, v11
	s_delay_alu instid0(VALU_DEP_1)
	v_cvt_f32_f16_e32 v81, v0
.LBB307_779:                            ;   in Loop: Header=BB307_419 Depth=1
	s_or_b32 exec_lo, exec_lo, s13
.LBB307_780:                            ;   in Loop: Header=BB307_419 Depth=1
	s_delay_alu instid0(SALU_CYCLE_1)
	s_or_b32 exec_lo, exec_lo, s12
.LBB307_781:                            ;   in Loop: Header=BB307_419 Depth=1
	s_delay_alu instid0(SALU_CYCLE_1) | instskip(SKIP_4) | instid1(VALU_DEP_3)
	s_or_b32 exec_lo, exec_lo, s10
	v_dual_mov_b32 v11, 0 :: v_dual_and_b32 v12, 0xff, v10
	v_mov_b32_e32 v0, v10
	v_mov_b32_e32 v82, 0
	s_mov_b32 s10, exec_lo
	v_cmpx_ne_u16_e32 0, v12
	s_cbranch_execz .LBB307_789
; %bb.782:                              ;   in Loop: Header=BB307_419 Depth=1
	v_bfrev_b32_e32 v11, 1
	s_mov_b32 s12, exec_lo
	v_cmpx_ne_u16_e32 0x80, v12
	s_cbranch_execz .LBB307_788
; %bb.783:                              ;   in Loop: Header=BB307_419 Depth=1
	v_and_b32_e32 v12, 0x7f, v10
	v_mov_b32_e32 v11, 0x7fc02000
	s_mov_b32 s13, exec_lo
	s_delay_alu instid0(VALU_DEP_2)
	v_cmpx_ne_u32_e32 0x7f, v12
	s_cbranch_execz .LBB307_787
; %bb.784:                              ;   in Loop: Header=BB307_419 Depth=1
	v_lshrrev_b32_e32 v83, 3, v12
	v_cmp_gt_u32_e64 s0, 8, v12
	v_dual_mov_b32 v12, v1 :: v_dual_mov_b32 v11, v0
	s_delay_alu instid0(VALU_DEP_2)
	s_and_saveexec_b32 s15, s0
; %bb.785:                              ;   in Loop: Header=BB307_419 Depth=1
	v_and_b32_e32 v11, 7, v10
	s_delay_alu instid0(VALU_DEP_1) | instskip(NEXT) | instid1(VALU_DEP_1)
	v_clz_i32_u32_e32 v11, v11
	v_min_u32_e32 v83, 32, v11
	s_delay_alu instid0(VALU_DEP_1) | instskip(SKIP_1) | instid1(VALU_DEP_2)
	v_subrev_nc_u32_e32 v11, 28, v83
	v_sub_nc_u32_e32 v83, 29, v83
	v_lshlrev_b64 v[11:12], v11, v[0:1]
; %bb.786:                              ;   in Loop: Header=BB307_419 Depth=1
	s_or_b32 exec_lo, exec_lo, s15
	v_lshlrev_b32_e32 v12, 8, v10
	s_delay_alu instid0(VALU_DEP_3) | instskip(NEXT) | instid1(VALU_DEP_3)
	v_lshl_add_u32 v83, v83, 10, 0x2000
	v_lshlrev_b32_e32 v11, 7, v11
	s_delay_alu instid0(VALU_DEP_2) | instskip(NEXT) | instid1(VALU_DEP_1)
	v_and_or_b32 v12, 0x8000, v12, v83
	v_and_or_b32 v11, 0x380, v11, v12
	s_delay_alu instid0(VALU_DEP_1)
	v_cvt_f32_f16_e32 v11, v11
.LBB307_787:                            ;   in Loop: Header=BB307_419 Depth=1
	s_or_b32 exec_lo, exec_lo, s13
.LBB307_788:                            ;   in Loop: Header=BB307_419 Depth=1
	s_delay_alu instid0(SALU_CYCLE_1)
	s_or_b32 exec_lo, exec_lo, s12
.LBB307_789:                            ;   in Loop: Header=BB307_419 Depth=1
	s_delay_alu instid0(SALU_CYCLE_1) | instskip(SKIP_2) | instid1(VALU_DEP_1)
	s_or_b32 exec_lo, exec_lo, s10
	v_lshrrev_b16 v0, 8, v0
	s_mov_b32 s10, exec_lo
	v_cmpx_ne_u16_e32 0, v0
	s_cbranch_execz .LBB307_797
; %bb.790:                              ;   in Loop: Header=BB307_419 Depth=1
	v_bfrev_b32_e32 v82, 1
	s_mov_b32 s12, exec_lo
	v_cmpx_ne_u16_e32 0x80, v0
	s_cbranch_execz .LBB307_796
; %bb.791:                              ;   in Loop: Header=BB307_419 Depth=1
	v_and_b32_e32 v12, 0xffff, v0
	v_mov_b32_e32 v82, 0x7fc02000
	s_mov_b32 s13, exec_lo
	s_delay_alu instid0(VALU_DEP_2) | instskip(NEXT) | instid1(VALU_DEP_1)
	v_and_b32_e32 v83, 0x7f, v12
	v_cmpx_ne_u32_e32 0x7f, v83
	s_cbranch_execz .LBB307_795
; %bb.792:                              ;   in Loop: Header=BB307_419 Depth=1
	v_and_b32_e32 v0, 7, v12
	v_lshrrev_b32_e32 v82, 3, v83
	s_mov_b32 s15, exec_lo
	v_cmpx_gt_u32_e32 8, v83
; %bb.793:                              ;   in Loop: Header=BB307_419 Depth=1
	s_delay_alu instid0(VALU_DEP_3) | instskip(NEXT) | instid1(VALU_DEP_1)
	v_clz_i32_u32_e32 v82, v0
	v_min_u32_e32 v82, 32, v82
	s_delay_alu instid0(VALU_DEP_1) | instskip(SKIP_1) | instid1(VALU_DEP_2)
	v_subrev_nc_u32_e32 v83, 28, v82
	v_sub_nc_u32_e32 v82, 29, v82
	v_lshlrev_b64 v[83:84], v83, v[0:1]
	s_delay_alu instid0(VALU_DEP_1)
	v_and_b32_e32 v0, 7, v83
; %bb.794:                              ;   in Loop: Header=BB307_419 Depth=1
	s_or_b32 exec_lo, exec_lo, s15
	v_lshlrev_b32_e32 v12, 8, v12
	v_lshl_add_u32 v82, v82, 10, 0x2000
	s_delay_alu instid0(VALU_DEP_1) | instskip(NEXT) | instid1(VALU_DEP_1)
	v_and_or_b32 v12, 0x8000, v12, v82
	v_lshl_or_b32 v0, v0, 7, v12
	s_delay_alu instid0(VALU_DEP_1)
	v_cvt_f32_f16_e32 v82, v0
.LBB307_795:                            ;   in Loop: Header=BB307_419 Depth=1
	s_or_b32 exec_lo, exec_lo, s13
.LBB307_796:                            ;   in Loop: Header=BB307_419 Depth=1
	s_delay_alu instid0(SALU_CYCLE_1)
	s_or_b32 exec_lo, exec_lo, s12
.LBB307_797:                            ;   in Loop: Header=BB307_419 Depth=1
	s_delay_alu instid0(SALU_CYCLE_1) | instskip(SKIP_3) | instid1(VALU_DEP_2)
	s_or_b32 exec_lo, exec_lo, s10
	v_lshrrev_b32_e32 v84, 16, v10
	v_mov_b32_e32 v12, 0
	s_mov_b32 s10, exec_lo
	v_dual_mov_b32 v83, 0 :: v_dual_and_b32 v0, 0xff, v84
	s_delay_alu instid0(VALU_DEP_1)
	v_cmpx_ne_u16_e32 0, v0
	s_cbranch_execz .LBB307_805
; %bb.798:                              ;   in Loop: Header=BB307_419 Depth=1
	v_bfrev_b32_e32 v12, 1
	s_mov_b32 s12, exec_lo
	v_cmpx_ne_u16_e32 0x80, v0
	s_cbranch_execz .LBB307_804
; %bb.799:                              ;   in Loop: Header=BB307_419 Depth=1
	v_bfe_u32 v85, v10, 16, 7
	v_mov_b32_e32 v12, 0x7fc02000
	s_mov_b32 s13, exec_lo
	s_delay_alu instid0(VALU_DEP_2)
	v_cmpx_ne_u32_e32 0x7f, v85
	s_cbranch_execz .LBB307_803
; %bb.800:                              ;   in Loop: Header=BB307_419 Depth=1
	v_and_b32_e32 v0, 7, v84
	v_lshrrev_b32_e32 v12, 3, v85
	s_mov_b32 s15, exec_lo
	v_cmpx_gt_u32_e32 8, v85
; %bb.801:                              ;   in Loop: Header=BB307_419 Depth=1
	s_delay_alu instid0(VALU_DEP_3) | instskip(NEXT) | instid1(VALU_DEP_1)
	v_clz_i32_u32_e32 v12, v0
	v_min_u32_e32 v12, 32, v12
	s_delay_alu instid0(VALU_DEP_1) | instskip(SKIP_1) | instid1(VALU_DEP_2)
	v_subrev_nc_u32_e32 v85, 28, v12
	v_sub_nc_u32_e32 v12, 29, v12
	v_lshlrev_b64 v[85:86], v85, v[0:1]
	s_delay_alu instid0(VALU_DEP_1)
	v_and_b32_e32 v0, 7, v85
; %bb.802:                              ;   in Loop: Header=BB307_419 Depth=1
	s_or_b32 exec_lo, exec_lo, s15
	v_lshlrev_b32_e32 v84, 8, v84
	v_lshl_add_u32 v12, v12, 10, 0x2000
	s_delay_alu instid0(VALU_DEP_1) | instskip(NEXT) | instid1(VALU_DEP_1)
	v_and_or_b32 v12, 0x8000, v84, v12
	v_lshl_or_b32 v0, v0, 7, v12
	s_delay_alu instid0(VALU_DEP_1)
	v_cvt_f32_f16_e32 v12, v0
.LBB307_803:                            ;   in Loop: Header=BB307_419 Depth=1
	s_or_b32 exec_lo, exec_lo, s13
.LBB307_804:                            ;   in Loop: Header=BB307_419 Depth=1
	s_delay_alu instid0(SALU_CYCLE_1)
	s_or_b32 exec_lo, exec_lo, s12
.LBB307_805:                            ;   in Loop: Header=BB307_419 Depth=1
	s_delay_alu instid0(SALU_CYCLE_1) | instskip(NEXT) | instid1(SALU_CYCLE_1)
	s_or_b32 exec_lo, exec_lo, s10
	s_mov_b32 s10, exec_lo
	v_cmpx_lt_u64_e64 s[8:9], v[9:10]
	s_cbranch_execz .LBB307_813
; %bb.806:                              ;   in Loop: Header=BB307_419 Depth=1
	v_lshrrev_b32_e32 v9, 24, v10
	v_bfrev_b32_e32 v83, 1
	s_mov_b32 s12, exec_lo
	s_delay_alu instid0(VALU_DEP_2)
	v_cmpx_ne_u32_e32 0x80, v9
	s_cbranch_execz .LBB307_812
; %bb.807:                              ;   in Loop: Header=BB307_419 Depth=1
	v_and_b32_e32 v84, 0x7f, v9
	v_mov_b32_e32 v83, 0x7fc02000
	s_mov_b32 s13, exec_lo
	s_delay_alu instid0(VALU_DEP_2)
	v_cmpx_ne_u32_e32 0x7f, v84
	s_cbranch_execz .LBB307_811
; %bb.808:                              ;   in Loop: Header=BB307_419 Depth=1
	v_and_b32_e32 v0, 7, v9
	v_lshrrev_b32_e32 v10, 3, v84
	s_mov_b32 s15, exec_lo
	v_cmpx_gt_u32_e32 8, v84
; %bb.809:                              ;   in Loop: Header=BB307_419 Depth=1
	s_delay_alu instid0(VALU_DEP_3) | instskip(NEXT) | instid1(VALU_DEP_1)
	v_clz_i32_u32_e32 v10, v0
	v_min_u32_e32 v10, 32, v10
	s_delay_alu instid0(VALU_DEP_1) | instskip(SKIP_1) | instid1(VALU_DEP_2)
	v_subrev_nc_u32_e32 v83, 28, v10
	v_sub_nc_u32_e32 v10, 29, v10
	v_lshlrev_b64 v[83:84], v83, v[0:1]
	s_delay_alu instid0(VALU_DEP_1)
	v_and_b32_e32 v0, 7, v83
; %bb.810:                              ;   in Loop: Header=BB307_419 Depth=1
	s_or_b32 exec_lo, exec_lo, s15
	v_lshlrev_b32_e32 v9, 8, v9
	v_lshl_add_u32 v10, v10, 10, 0x2000
	s_delay_alu instid0(VALU_DEP_1) | instskip(NEXT) | instid1(VALU_DEP_1)
	v_and_or_b32 v9, 0x8000, v9, v10
	v_lshl_or_b32 v0, v0, 7, v9
	s_delay_alu instid0(VALU_DEP_1)
	v_cvt_f32_f16_e32 v83, v0
.LBB307_811:                            ;   in Loop: Header=BB307_419 Depth=1
	s_or_b32 exec_lo, exec_lo, s13
.LBB307_812:                            ;   in Loop: Header=BB307_419 Depth=1
	s_delay_alu instid0(SALU_CYCLE_1)
	s_or_b32 exec_lo, exec_lo, s12
.LBB307_813:                            ;   in Loop: Header=BB307_419 Depth=1
	s_delay_alu instid0(SALU_CYCLE_1)
	s_or_b32 exec_lo, exec_lo, s10
	s_waitcnt vmcnt(0) lgkmcnt(0)
	v_fma_mixlo_f16 v10, v69, v71, 0
	v_fma_mixlo_f16 v0, v69, v81, 0
	;; [unrolled: 1-line block ×5, first 2 shown]
	v_lshlrev_b32_e32 v71, 16, v10
	v_fma_mixlo_f16 v10, v69, v70, 0
	v_fma_mixlo_f16 v70, v69, v82, 0
	;; [unrolled: 1-line block ×3, first 2 shown]
	v_lshlrev_b32_e32 v0, 16, v0
	v_and_b32_e32 v9, 0xffff, v9
	v_and_b32_e32 v12, 0xffff, v10
	v_lshlrev_b32_e32 v69, 16, v70
	v_and_b32_e32 v70, 0xffff, v80
	v_lshlrev_b32_e32 v80, 16, v81
	v_and_b32_e32 v81, 0xffff, v11
	v_or_b32_e32 v10, v0, v9
	v_or_b32_e32 v12, v71, v12
	;; [unrolled: 1-line block ×3, first 2 shown]
	s_delay_alu instid0(VALU_DEP_4)
	v_or_b32_e32 v9, v80, v81
	s_and_saveexec_b32 s0, vcc_lo
	s_cbranch_execz .LBB307_418
; %bb.814:                              ;   in Loop: Header=BB307_419 Depth=1
	v_cmp_lt_i32_e32 vcc_lo, v15, v32
	v_lshrrev_b32_e32 v69, 16, v12
	v_lshrrev_b32_e32 v70, 16, v10
	;; [unrolled: 1-line block ×3, first 2 shown]
	v_cndmask_b32_e32 v12, 0, v12, vcc_lo
	v_cmp_lt_i32_e32 vcc_lo, v48, v29
	v_cndmask_b32_e32 v48, 0, v69, vcc_lo
	v_cmp_lt_i32_e32 vcc_lo, v39, v29
	v_lshrrev_b32_e32 v69, 16, v0
	v_cndmask_b32_e32 v39, 0, v70, vcc_lo
	v_cmp_lt_i32_e32 vcc_lo, v38, v32
	v_cndmask_b32_e32 v10, 0, v10, vcc_lo
	v_cmp_lt_i32_e32 vcc_lo, v37, v29
	;; [unrolled: 2-line block ×3, first 2 shown]
	s_delay_alu instid0(VALU_DEP_4) | instskip(SKIP_4) | instid1(VALU_DEP_4)
	v_perm_b32 v10, v39, v10, 0x5040100
	v_cndmask_b32_e32 v0, 0, v0, vcc_lo
	v_cmp_lt_i32_e32 vcc_lo, v35, v29
	v_cndmask_b32_e32 v9, 0, v9, vcc_lo
	v_cmp_lt_i32_e32 vcc_lo, v17, v32
	v_perm_b32 v0, v37, v0, 0x5040100
	v_cndmask_b32_e32 v11, 0, v11, vcc_lo
	v_perm_b32 v12, v48, v12, 0x5040100
	s_delay_alu instid0(VALU_DEP_2)
	v_perm_b32 v9, v9, v11, 0x5040100
	s_branch .LBB307_418
.LBB307_815:
	s_or_b32 exec_lo, exec_lo, s5
	v_dual_mov_b32 v0, s6 :: v_dual_mov_b32 v1, s7
.LBB307_816:
	s_or_b32 exec_lo, exec_lo, s3
	s_delay_alu instid0(VALU_DEP_1)
	v_lshlrev_b64 v[0:1], 2, v[0:1]
	s_getpc_b64 s[6:7]
	s_add_u32 s6, s6, llvm.amdgcn.dynlds.offset.table@rel32@lo+4
	s_addc_u32 s7, s7, llvm.amdgcn.dynlds.offset.table@rel32@hi+12
	s_waitcnt lgkmcnt(0)
	s_waitcnt_vscnt null, 0x0
	s_barrier
	buffer_gl0_inv
	s_mov_b32 s0, exec_lo
	v_add_co_u32 v0, vcc_lo, v0, s6
	v_add_co_ci_u32_e32 v1, vcc_lo, s7, v1, vcc_lo
	global_load_b32 v0, v[0:1], off
	v_and_b32_e32 v1, 0x3c0, v30
	s_waitcnt vmcnt(0)
	v_mad_u32_u24 v0, 0x300, v33, v0
	s_delay_alu instid0(VALU_DEP_2)
	v_cmpx_eq_u32_e32 64, v1
	s_cbranch_execz .LBB307_818
; %bb.817:
	s_delay_alu instid0(VALU_DEP_2) | instskip(SKIP_1) | instid1(VALU_DEP_2)
	v_add_nc_u32_e32 v1, 0xfffffa00, v0
	v_lshl_or_b32 v2, v30, 2, 0x180
	v_lshl_add_u32 v3, v18, 2, v1
	s_delay_alu instid0(VALU_DEP_2)
	v_add_nc_u32_e32 v1, v1, v2
	ds_store_2addr_b32 v3, v21, v28 offset1:32
	ds_store_b32 v1, v24
	ds_store_2addr_stride64_b32 v3, v25, v20 offset0:1 offset1:2
	ds_store_b32 v3, v19 offset:640
.LBB307_818:
	s_or_b32 exec_lo, exec_lo, s0
	s_delay_alu instid0(VALU_DEP_2)
	v_lshl_add_u32 v1, v18, 2, v0
	s_mov_b32 s0, exec_lo
	s_waitcnt lgkmcnt(0)
	s_barrier
	buffer_gl0_inv
	v_cmpx_gt_u32_e32 64, v30
	s_cbranch_execz .LBB307_820
; %bb.819:
	v_or_b32_e32 v2, 0x80, v31
	v_or_b32_e32 v3, 0x180, v31
	;; [unrolled: 1-line block ×3, first 2 shown]
	s_delay_alu instid0(VALU_DEP_3) | instskip(NEXT) | instid1(VALU_DEP_3)
	v_add_nc_u32_e32 v7, v0, v2
	v_add_nc_u32_e32 v8, v0, v3
	s_delay_alu instid0(VALU_DEP_3)
	v_add_nc_u32_e32 v6, v0, v6
	ds_load_2addr_stride64_b32 v[2:3], v1 offset1:1
	ds_load_b32 v9, v1 offset:512
	ds_load_b32 v7, v7
	ds_load_b32 v8, v8
	;; [unrolled: 1-line block ×3, first 2 shown]
	s_waitcnt lgkmcnt(4)
	v_add_f32_e32 v25, v25, v3
	s_waitcnt lgkmcnt(3)
	v_dual_add_f32 v21, v21, v2 :: v_dual_add_f32 v20, v20, v9
	s_waitcnt lgkmcnt(0)
	v_dual_add_f32 v28, v28, v7 :: v_dual_add_f32 v19, v19, v6
	v_add_f32_e32 v24, v24, v8
.LBB307_820:
	s_or_b32 exec_lo, exec_lo, s0
	v_and_b32_e32 v2, 0x3e0, v30
	s_mov_b32 s0, exec_lo
	s_barrier
	buffer_gl0_inv
	v_cmpx_eq_u32_e32 32, v2
	s_cbranch_execz .LBB307_822
; %bb.821:
	v_add_nc_u32_e32 v2, 0xfffffd00, v0
	v_or_b32_e32 v3, 0x180, v31
	v_or_b32_e32 v6, 0x280, v31
	s_delay_alu instid0(VALU_DEP_3) | instskip(SKIP_1) | instid1(VALU_DEP_4)
	v_lshl_add_u32 v7, v18, 2, v2
	v_add_nc_u32_e32 v8, v2, v31
	v_add_nc_u32_e32 v3, v2, v3
	s_delay_alu instid0(VALU_DEP_4)
	v_add_nc_u32_e32 v2, v2, v6
	ds_store_b32 v7, v21
	ds_store_b32 v8, v28
	;; [unrolled: 1-line block ×3, first 2 shown]
	ds_store_2addr_stride64_b32 v7, v25, v20 offset0:1 offset1:2
	ds_store_b32 v2, v19
.LBB307_822:
	s_or_b32 exec_lo, exec_lo, s0
	v_cmp_gt_u32_e32 vcc_lo, 32, v30
	s_waitcnt lgkmcnt(0)
	s_barrier
	buffer_gl0_inv
	s_and_saveexec_b32 s0, vcc_lo
	s_cbranch_execz .LBB307_824
; %bb.823:
	v_lshl_add_u32 v6, v30, 2, v0
	ds_load_b32 v7, v1
	ds_load_2addr_b32 v[0:1], v6 offset0:32 offset1:64
	ds_load_2addr_b32 v[2:3], v6 offset0:96 offset1:128
	ds_load_b32 v6, v6 offset:640
	s_waitcnt lgkmcnt(2)
	v_dual_add_f32 v21, v21, v7 :: v_dual_add_f32 v28, v28, v0
	s_waitcnt lgkmcnt(1)
	v_dual_add_f32 v25, v25, v1 :: v_dual_add_f32 v24, v24, v2
	;; [unrolled: 2-line block ×3, first 2 shown]
.LBB307_824:
	s_or_b32 exec_lo, exec_lo, s0
	s_barrier
	buffer_gl0_inv
	s_and_b32 exec_lo, exec_lo, vcc_lo
	s_cbranch_execz .LBB307_826
; %bb.825:
	s_mul_i32 s0, s2, 0xc0
	s_mul_i32 s2, s4, s1
	s_mul_i32 s4, s14, 0xc0
	s_ashr_i32 s3, s2, 31
	s_ashr_i32 s5, s4, 31
	;; [unrolled: 1-line block ×3, first 2 shown]
	s_lshl_b64 s[2:3], s[2:3], 1
	s_lshl_b64 s[4:5], s[4:5], 1
	;; [unrolled: 1-line block ×3, first 2 shown]
	s_add_u32 s2, s4, s2
	s_addc_u32 s3, s5, s3
	s_add_u32 s0, s2, s0
	s_addc_u32 s1, s3, s1
	v_lshlrev_b32_e32 v0, 1, v30
	v_add_co_u32 v1, vcc_lo, s0, v4
	v_add_co_ci_u32_e32 v2, vcc_lo, s1, v5, vcc_lo
	s_delay_alu instid0(VALU_DEP_2) | instskip(NEXT) | instid1(VALU_DEP_2)
	v_add_co_u32 v0, vcc_lo, v1, v0
	v_add_co_ci_u32_e32 v1, vcc_lo, 0, v2, vcc_lo
	;;#ASMSTART
	v_cvt_f16_f32 v2, v21;

	;;#ASMEND
	flat_store_b16 v[0:1], v2
	;;#ASMSTART
	v_cvt_f16_f32 v2, v28;

	;;#ASMEND
	flat_store_b16 v[0:1], v2 offset:64
	;;#ASMSTART
	v_cvt_f16_f32 v2, v25;

	;;#ASMEND
	flat_store_b16 v[0:1], v2 offset:128
	;;#ASMSTART
	v_cvt_f16_f32 v2, v24;

	;;#ASMEND
	flat_store_b16 v[0:1], v2 offset:192
	;;#ASMSTART
	v_cvt_f16_f32 v2, v20;

	;;#ASMEND
	flat_store_b16 v[0:1], v2 offset:256
	;;#ASMSTART
	v_cvt_f16_f32 v2, v19;

	;;#ASMEND
	flat_store_b16 v[0:1], v2 offset:320
.LBB307_826:
	s_or_b32 exec_lo, exec_lo, s11
	s_waitcnt lgkmcnt(0)
	s_setpc_b64 s[30:31]
.Lfunc_end307:
	.size	_ZN4vllm22paged_attention_kernelIthLi192ELi8ELi128ELNS_18Fp8KVCacheDataTypeE1ELb0ELi512EEEvPfS2_PT_PKS3_PKT0_S9_ifPKiSB_iPKfiiiSD_SD_iiiii, .Lfunc_end307-_ZN4vllm22paged_attention_kernelIthLi192ELi8ELi128ELNS_18Fp8KVCacheDataTypeE1ELb0ELi512EEEvPfS2_PT_PKS3_PKT0_S9_ifPKiSB_iPKfiiiSD_SD_iiiii
                                        ; -- End function
	.section	.AMDGPU.csdata,"",@progbits
; Function info:
; codeLenInByte = 32636
; NumSgprs: 34
; NumVgprs: 162
; ScratchSize: 0
; MemoryBound: 0
	.section	.text._ZN4vllm25paged_attention_v2_kernelIthLi192ELi8ELi128ELNS_18Fp8KVCacheDataTypeE1ELb0ELi512EEEvPfS2_PT_PKS3_PKT0_S9_ifPKiSB_iPKfiiiSD_SD_iiiii,"axG",@progbits,_ZN4vllm25paged_attention_v2_kernelIthLi192ELi8ELi128ELNS_18Fp8KVCacheDataTypeE1ELb0ELi512EEEvPfS2_PT_PKS3_PKT0_S9_ifPKiSB_iPKfiiiSD_SD_iiiii,comdat
	.protected	_ZN4vllm25paged_attention_v2_kernelIthLi192ELi8ELi128ELNS_18Fp8KVCacheDataTypeE1ELb0ELi512EEEvPfS2_PT_PKS3_PKT0_S9_ifPKiSB_iPKfiiiSD_SD_iiiii ; -- Begin function _ZN4vllm25paged_attention_v2_kernelIthLi192ELi8ELi128ELNS_18Fp8KVCacheDataTypeE1ELb0ELi512EEEvPfS2_PT_PKS3_PKT0_S9_ifPKiSB_iPKfiiiSD_SD_iiiii
	.globl	_ZN4vllm25paged_attention_v2_kernelIthLi192ELi8ELi128ELNS_18Fp8KVCacheDataTypeE1ELb0ELi512EEEvPfS2_PT_PKS3_PKT0_S9_ifPKiSB_iPKfiiiSD_SD_iiiii
	.p2align	8
	.type	_ZN4vllm25paged_attention_v2_kernelIthLi192ELi8ELi128ELNS_18Fp8KVCacheDataTypeE1ELb0ELi512EEEvPfS2_PT_PKS3_PKT0_S9_ifPKiSB_iPKfiiiSD_SD_iiiii,@function
_ZN4vllm25paged_attention_v2_kernelIthLi192ELi8ELi128ELNS_18Fp8KVCacheDataTypeE1ELb0ELi512EEEvPfS2_PT_PKS3_PKT0_S9_ifPKiSB_iPKfiiiSD_SD_iiiii: ; @_ZN4vllm25paged_attention_v2_kernelIthLi192ELi8ELi128ELNS_18Fp8KVCacheDataTypeE1ELb0ELi512EEEvPfS2_PT_PKS3_PKT0_S9_ifPKiSB_iPKfiiiSD_SD_iiiii
; %bb.0:
	s_clause 0x5
	s_load_b256 s[24:31], s[0:1], 0x0
	s_load_b256 s[16:23], s[0:1], 0x20
	s_load_b64 s[2:3], s[0:1], 0x40
	s_load_b64 s[4:5], s[0:1], 0x50
	s_load_b32 s6, s[0:1], 0x48
	s_load_b256 s[36:43], s[0:1], 0x58
	v_mov_b32_e32 v31, v0
	s_add_u32 s8, s0, 0x90
	s_mov_b32 s12, s13
	s_addc_u32 s9, s1, 0
	s_mov_b32 s13, s14
	s_mov_b32 s14, s15
	s_movk_i32 s15, 0x63
	s_mov_b32 s32, 0
	s_getpc_b64 s[0:1]
	s_add_u32 s0, s0, _ZN4vllm22paged_attention_kernelIthLi192ELi8ELi128ELNS_18Fp8KVCacheDataTypeE1ELb0ELi512EEEvPfS2_PT_PKS3_PKT0_S9_ifPKiSB_iPKfiiiSD_SD_iiiii@rel32@lo+4
	s_addc_u32 s1, s1, _ZN4vllm22paged_attention_kernelIthLi192ELi8ELi128ELNS_18Fp8KVCacheDataTypeE1ELb0ELi512EEEvPfS2_PT_PKS3_PKT0_S9_ifPKiSB_iPKfiiiSD_SD_iiiii@rel32@hi+12
	s_waitcnt lgkmcnt(0)
	v_dual_mov_b32 v0, s24 :: v_dual_mov_b32 v1, s25
	v_dual_mov_b32 v2, s26 :: v_dual_mov_b32 v3, s27
	;; [unrolled: 1-line block ×14, first 2 shown]
	s_swappc_b64 s[30:31], s[0:1]
	s_endpgm
	.section	.rodata,"a",@progbits
	.p2align	6, 0x0
	.amdhsa_kernel _ZN4vllm25paged_attention_v2_kernelIthLi192ELi8ELi128ELNS_18Fp8KVCacheDataTypeE1ELb0ELi512EEEvPfS2_PT_PKS3_PKT0_S9_ifPKiSB_iPKfiiiSD_SD_iiiii
		.amdhsa_group_segment_fixed_size 416
		.amdhsa_private_segment_fixed_size 0
		.amdhsa_kernarg_size 400
		.amdhsa_user_sgpr_count 13
		.amdhsa_user_sgpr_dispatch_ptr 0
		.amdhsa_user_sgpr_queue_ptr 0
		.amdhsa_user_sgpr_kernarg_segment_ptr 1
		.amdhsa_user_sgpr_dispatch_id 0
		.amdhsa_user_sgpr_private_segment_size 0
		.amdhsa_wavefront_size32 1
		.amdhsa_uses_dynamic_stack 0
		.amdhsa_enable_private_segment 0
		.amdhsa_system_sgpr_workgroup_id_x 1
		.amdhsa_system_sgpr_workgroup_id_y 1
		.amdhsa_system_sgpr_workgroup_id_z 1
		.amdhsa_system_sgpr_workgroup_info 0
		.amdhsa_system_vgpr_workitem_id 0
		.amdhsa_next_free_vgpr 162
		.amdhsa_next_free_sgpr 44
		.amdhsa_reserve_vcc 1
		.amdhsa_float_round_mode_32 0
		.amdhsa_float_round_mode_16_64 0
		.amdhsa_float_denorm_mode_32 3
		.amdhsa_float_denorm_mode_16_64 3
		.amdhsa_dx10_clamp 1
		.amdhsa_ieee_mode 1
		.amdhsa_fp16_overflow 0
		.amdhsa_workgroup_processor_mode 1
		.amdhsa_memory_ordered 1
		.amdhsa_forward_progress 0
		.amdhsa_shared_vgpr_count 0
		.amdhsa_exception_fp_ieee_invalid_op 0
		.amdhsa_exception_fp_denorm_src 0
		.amdhsa_exception_fp_ieee_div_zero 0
		.amdhsa_exception_fp_ieee_overflow 0
		.amdhsa_exception_fp_ieee_underflow 0
		.amdhsa_exception_fp_ieee_inexact 0
		.amdhsa_exception_int_div_zero 0
	.end_amdhsa_kernel
	.section	.text._ZN4vllm25paged_attention_v2_kernelIthLi192ELi8ELi128ELNS_18Fp8KVCacheDataTypeE1ELb0ELi512EEEvPfS2_PT_PKS3_PKT0_S9_ifPKiSB_iPKfiiiSD_SD_iiiii,"axG",@progbits,_ZN4vllm25paged_attention_v2_kernelIthLi192ELi8ELi128ELNS_18Fp8KVCacheDataTypeE1ELb0ELi512EEEvPfS2_PT_PKS3_PKT0_S9_ifPKiSB_iPKfiiiSD_SD_iiiii,comdat
.Lfunc_end308:
	.size	_ZN4vllm25paged_attention_v2_kernelIthLi192ELi8ELi128ELNS_18Fp8KVCacheDataTypeE1ELb0ELi512EEEvPfS2_PT_PKS3_PKT0_S9_ifPKiSB_iPKfiiiSD_SD_iiiii, .Lfunc_end308-_ZN4vllm25paged_attention_v2_kernelIthLi192ELi8ELi128ELNS_18Fp8KVCacheDataTypeE1ELb0ELi512EEEvPfS2_PT_PKS3_PKT0_S9_ifPKiSB_iPKfiiiSD_SD_iiiii
                                        ; -- End function
	.section	.AMDGPU.csdata,"",@progbits
; Kernel info:
; codeLenInByte = 232
; NumSgprs: 46
; NumVgprs: 162
; ScratchSize: 0
; MemoryBound: 0
; FloatMode: 240
; IeeeMode: 1
; LDSByteSize: 416 bytes/workgroup (compile time only)
; SGPRBlocks: 5
; VGPRBlocks: 20
; NumSGPRsForWavesPerEU: 46
; NumVGPRsForWavesPerEU: 162
; Occupancy: 9
; WaveLimiterHint : 1
; COMPUTE_PGM_RSRC2:SCRATCH_EN: 0
; COMPUTE_PGM_RSRC2:USER_SGPR: 13
; COMPUTE_PGM_RSRC2:TRAP_HANDLER: 0
; COMPUTE_PGM_RSRC2:TGID_X_EN: 1
; COMPUTE_PGM_RSRC2:TGID_Y_EN: 1
; COMPUTE_PGM_RSRC2:TGID_Z_EN: 1
; COMPUTE_PGM_RSRC2:TIDIG_COMP_CNT: 0
	.text
	.p2align	2                               ; -- Begin function _ZN4vllm22paged_attention_kernelIthLi256ELi8ELi128ELNS_18Fp8KVCacheDataTypeE1ELb0ELi512EEEvPfS2_PT_PKS3_PKT0_S9_ifPKiSB_iPKfiiiSD_SD_iiiii
	.type	_ZN4vllm22paged_attention_kernelIthLi256ELi8ELi128ELNS_18Fp8KVCacheDataTypeE1ELb0ELi512EEEvPfS2_PT_PKS3_PKT0_S9_ifPKiSB_iPKfiiiSD_SD_iiiii,@function
_ZN4vllm22paged_attention_kernelIthLi256ELi8ELi128ELNS_18Fp8KVCacheDataTypeE1ELb0ELi512EEEvPfS2_PT_PKS3_PKT0_S9_ifPKiSB_iPKfiiiSD_SD_iiiii: ; @_ZN4vllm22paged_attention_kernelIthLi256ELi8ELi128ELNS_18Fp8KVCacheDataTypeE1ELb0ELi512EEEvPfS2_PT_PKS3_PKT0_S9_ifPKiSB_iPKfiiiSD_SD_iiiii
; %bb.0:
	s_waitcnt vmcnt(0) expcnt(0) lgkmcnt(0)
	s_clause 0x1
	scratch_store_b32 off, v40, s32 offset:4
	; meta instruction
	scratch_store_b32 off, v41, s32
	s_mov_b32 s10, s13
	s_ashr_i32 s11, s13, 31
	s_lshl_b32 s16, s14, 9
	s_lshl_b64 s[0:1], s[10:11], 2
	s_mov_b32 s11, exec_lo
	v_add_co_u32 v16, vcc_lo, v16, s0
	v_add_co_ci_u32_e32 v17, vcc_lo, s1, v17, vcc_lo
	flat_load_b32 v32, v[16:17]
	s_waitcnt vmcnt(0) lgkmcnt(0)
	v_cmpx_lt_i32_e64 s16, v32
	s_cbranch_execz .LBB309_1086
; %bb.1:
	v_sub_nc_u32_e32 v16, 0, v12
	s_clause 0x1
	s_load_b32 s0, s[8:9], 0x10
	s_load_b32 s1, s[8:9], 0x0
	s_mov_b32 s6, s15
	v_mov_b32_e32 v37, 0
	v_max_i32_e32 v16, v12, v16
	s_delay_alu instid0(VALU_DEP_1) | instskip(SKIP_1) | instid1(VALU_DEP_2)
	v_cvt_f32_u32_e32 v17, v16
	v_sub_nc_u32_e32 v28, 0, v16
	v_rcp_iflag_f32_e32 v17, v17
	s_waitcnt lgkmcnt(0)
	s_lshr_b32 s0, s0, 16
	s_delay_alu instid0(SALU_CYCLE_1) | instskip(SKIP_3) | instid1(SALU_CYCLE_1)
	s_cmp_lg_u32 s0, 0
	s_waitcnt_depctr 0xfff
	v_mul_f32_e32 v17, 0x4f7ffffe, v17
	s_cselect_b32 s0, -1, 0
	s_cmp_lg_u32 s0, 0
	s_delay_alu instid0(VALU_DEP_1)
	v_cvt_u32_f32_e32 v17, v17
	s_addc_u32 s15, s1, 0
	s_mov_b32 s1, exec_lo
	s_abs_i32 s0, s15
	v_xor_b32_e32 v12, s15, v12
	v_mul_lo_u32 v28, v28, v17
	s_delay_alu instid0(VALU_DEP_2) | instskip(NEXT) | instid1(VALU_DEP_2)
	v_ashrrev_i32_e32 v12, 31, v12
	v_mul_hi_u32 v28, v17, v28
	s_delay_alu instid0(VALU_DEP_1) | instskip(NEXT) | instid1(VALU_DEP_1)
	v_add_nc_u32_e32 v17, v17, v28
	v_mul_hi_u32 v17, s0, v17
	s_delay_alu instid0(VALU_DEP_1) | instskip(SKIP_1) | instid1(VALU_DEP_2)
	v_mul_lo_u32 v28, v17, v16
	v_add_nc_u32_e32 v29, 1, v17
	v_sub_nc_u32_e32 v28, s0, v28
	s_abs_i32 s0, s12
	s_delay_alu instid0(VALU_DEP_1) | instskip(SKIP_1) | instid1(VALU_DEP_2)
	v_sub_nc_u32_e32 v30, v28, v16
	v_cmp_ge_u32_e32 vcc_lo, v28, v16
	v_dual_cndmask_b32 v17, v17, v29 :: v_dual_cndmask_b32 v28, v28, v30
	s_delay_alu instid0(VALU_DEP_1) | instskip(NEXT) | instid1(VALU_DEP_2)
	v_add_nc_u32_e32 v29, 1, v17
	v_cmp_ge_u32_e32 vcc_lo, v28, v16
	s_delay_alu instid0(VALU_DEP_2) | instskip(NEXT) | instid1(VALU_DEP_1)
	v_cndmask_b32_e32 v16, v17, v29, vcc_lo
	v_xor_b32_e32 v16, v16, v12
	s_delay_alu instid0(VALU_DEP_1) | instskip(NEXT) | instid1(VALU_DEP_1)
	v_sub_nc_u32_e32 v12, v16, v12
	v_sub_nc_u32_e32 v16, 0, v12
	s_delay_alu instid0(VALU_DEP_1) | instskip(NEXT) | instid1(VALU_DEP_1)
	v_max_i32_e32 v28, v12, v16
	v_cvt_f32_u32_e32 v16, v28
	v_sub_nc_u32_e32 v17, 0, v28
	s_delay_alu instid0(VALU_DEP_2) | instskip(SKIP_2) | instid1(VALU_DEP_1)
	v_rcp_iflag_f32_e32 v16, v16
	s_waitcnt_depctr 0xfff
	v_mul_f32_e32 v16, 0x4f7ffffe, v16
	v_cvt_u32_f32_e32 v16, v16
	s_delay_alu instid0(VALU_DEP_1) | instskip(NEXT) | instid1(VALU_DEP_1)
	v_mul_lo_u32 v17, v17, v16
	v_mul_hi_u32 v17, v16, v17
	s_delay_alu instid0(VALU_DEP_1) | instskip(NEXT) | instid1(VALU_DEP_1)
	v_add_nc_u32_e32 v29, v16, v17
	v_mad_u64_u32 v[16:17], null, s0, v29, 0
	v_cmpx_ne_u64_e32 0, v[19:20]
	s_cbranch_execz .LBB309_3
; %bb.2:
	s_ashr_i32 s13, s12, 31
	s_delay_alu instid0(SALU_CYCLE_1) | instskip(NEXT) | instid1(SALU_CYCLE_1)
	s_lshl_b64 s[2:3], s[12:13], 2
	v_add_co_u32 v19, vcc_lo, v19, s2
	v_add_co_ci_u32_e32 v20, vcc_lo, s3, v20, vcc_lo
	flat_load_b32 v37, v[19:20]
.LBB309_3:
	s_or_b32 exec_lo, exec_lo, s1
	v_and_b32_e32 v30, 0x3ff, v31
	v_ashrrev_i32_e32 v12, 31, v12
	s_ashr_i32 s1, s12, 31
	s_lshl_b32 s4, s12, 8
	s_mov_b32 s2, exec_lo
	v_and_b32_e32 v20, 3, v30
	v_lshlrev_b32_e32 v31, 2, v30
	v_cmpx_gt_u32_e32 0x80, v30
	s_cbranch_execz .LBB309_5
; %bb.4:
	v_mul_lo_u32 v33, s10, v21
	s_ashr_i32 s5, s4, 31
	s_delay_alu instid0(SALU_CYCLE_1) | instskip(NEXT) | instid1(VALU_DEP_1)
	s_lshl_b64 s[18:19], s[4:5], 1
	v_ashrrev_i32_e32 v34, 31, v33
	s_delay_alu instid0(VALU_DEP_1) | instskip(NEXT) | instid1(VALU_DEP_1)
	v_lshlrev_b64 v[33:34], 1, v[33:34]
	v_add_co_u32 v6, vcc_lo, v6, v33
	s_delay_alu instid0(VALU_DEP_2) | instskip(NEXT) | instid1(VALU_DEP_2)
	v_add_co_ci_u32_e32 v7, vcc_lo, v7, v34, vcc_lo
	v_add_co_u32 v6, vcc_lo, v6, s18
	s_delay_alu instid0(VALU_DEP_2) | instskip(NEXT) | instid1(VALU_DEP_2)
	v_add_co_ci_u32_e32 v7, vcc_lo, s19, v7, vcc_lo
	v_add_co_u32 v6, vcc_lo, v6, v31
	s_delay_alu instid0(VALU_DEP_2) | instskip(SKIP_2) | instid1(VALU_DEP_1)
	v_add_co_ci_u32_e32 v7, vcc_lo, 0, v7, vcc_lo
	flat_load_b32 v6, v[6:7]
	v_and_b32_e32 v7, 0x3fc, v30
	v_lshl_add_u32 v7, v20, 7, v7
	s_waitcnt vmcnt(0) lgkmcnt(0)
	ds_store_b32 v7, v6
.LBB309_5:
	s_or_b32 exec_lo, exec_lo, s2
	v_mul_lo_u32 v6, v17, v28
	v_add_nc_u32_e32 v19, 1, v17
	v_lshrrev_b32_e32 v33, 5, v30
	s_lshl_b32 s13, s14, 6
	v_mbcnt_lo_u32_b32 v36, -1, 0
	s_waitcnt vmcnt(0) lgkmcnt(0)
	s_waitcnt_vscnt null, 0x0
	s_barrier
	buffer_gl0_inv
	v_sub_nc_u32_e32 v6, s0, v6
	s_add_i32 s0, s13, 64
                                        ; implicit-def: $vgpr38
	s_delay_alu instid0(VALU_DEP_1) | instskip(SKIP_1) | instid1(VALU_DEP_2)
	v_sub_nc_u32_e32 v21, v6, v28
	v_cmp_ge_u32_e32 vcc_lo, v6, v28
	v_dual_cndmask_b32 v6, v6, v21 :: v_dual_add_nc_u32 v7, 7, v32
	s_delay_alu instid0(VALU_DEP_1) | instskip(SKIP_2) | instid1(VALU_DEP_4)
	v_ashrrev_i32_e32 v16, 31, v7
	v_cndmask_b32_e32 v17, v17, v19, vcc_lo
	v_xor_b32_e32 v21, s1, v12
                                        ; implicit-def: $sgpr1
	v_cmp_ge_u32_e32 vcc_lo, v6, v28
	s_delay_alu instid0(VALU_DEP_4) | instskip(NEXT) | instid1(VALU_DEP_4)
	v_lshrrev_b32_e32 v16, 29, v16
	v_add_nc_u32_e32 v19, 1, v17
	v_or_b32_e32 v6, s13, v33
	s_delay_alu instid0(VALU_DEP_3) | instskip(SKIP_1) | instid1(VALU_DEP_2)
	v_add_nc_u32_e32 v7, v7, v16
	v_mul_lo_u32 v16, s10, v18
	v_ashrrev_i32_e32 v12, 3, v7
	v_cndmask_b32_e32 v7, v17, v19, vcc_lo
	s_delay_alu instid0(VALU_DEP_3) | instskip(NEXT) | instid1(VALU_DEP_3)
	v_ashrrev_i32_e32 v17, 31, v16
	v_min_i32_e32 v34, s0, v12
	s_delay_alu instid0(VALU_DEP_3) | instskip(NEXT) | instid1(VALU_DEP_2)
	v_xor_b32_e32 v7, v7, v21
	v_cmp_ge_i32_e64 s0, v6, v34
	s_delay_alu instid0(VALU_DEP_2) | instskip(NEXT) | instid1(VALU_DEP_2)
	v_sub_nc_u32_e32 v7, v7, v21
	s_and_saveexec_b32 s2, s0
	s_delay_alu instid0(SALU_CYCLE_1)
	s_xor_b32 s2, exec_lo, s2
; %bb.6:
	v_mbcnt_lo_u32_b32 v36, -1, 0
	v_mov_b32_e32 v38, 32
	s_mov_b32 s1, 0xff7fffff
                                        ; implicit-def: $vgpr37
                                        ; implicit-def: $vgpr13
                                        ; implicit-def: $vgpr24
                                        ; implicit-def: $vgpr8
                                        ; implicit-def: $vgpr9
                                        ; implicit-def: $vgpr20
; %bb.7:
	s_or_saveexec_b32 s17, s2
	s_clause 0x1
	s_load_b32 s18, s[8:9], 0x14
	s_load_b32 s5, s[8:9], 0x8
	v_mul_lo_u32 v23, v7, v23
	v_lshlrev_b64 v[16:17], 2, v[16:17]
	v_mov_b32_e32 v39, s1
	v_ashrrev_i32_e32 v7, 31, v6
	s_delay_alu instid0(VALU_DEP_4)
	v_ashrrev_i32_e32 v35, 31, v23
	s_xor_b32 exec_lo, exec_lo, s17
	s_cbranch_execz .LBB309_525
; %bb.8:
	v_bfe_u32 v28, v30, 2, 3
	v_add_co_u32 v8, vcc_lo, v8, v23
	v_add_co_ci_u32_e32 v19, vcc_lo, v9, v35, vcc_lo
	s_delay_alu instid0(VALU_DEP_3) | instskip(SKIP_2) | instid1(VALU_DEP_3)
	v_dual_mov_b32 v9, 0 :: v_dual_lshlrev_b32 v18, 4, v28
	v_dual_mov_b32 v39, 0xff7fffff :: v_dual_lshlrev_b32 v48, 1, v20
	v_lshlrev_b32_e32 v49, 7, v20
	v_add_co_u32 v18, vcc_lo, v8, v18
	v_add_co_ci_u32_e32 v19, vcc_lo, 0, v19, vcc_lo
	v_cmp_eq_u32_e32 vcc_lo, 0, v20
	v_lshlrev_b64 v[20:21], 2, v[6:7]
	v_lshlrev_b32_e32 v29, 3, v33
	v_dual_mov_b32 v53, v6 :: v_dual_lshlrev_b32 v38, 2, v28
	s_ashr_i32 s7, s6, 31
	v_cmp_neq_f32_e64 s1, 0, v37
	s_delay_alu instid0(VALU_DEP_4) | instskip(NEXT) | instid1(VALU_DEP_1)
	v_add_co_u32 v8, s2, v16, v20
	v_add_co_ci_u32_e64 v21, s2, v17, v21, s2
	s_lshl_b64 s[8:9], s[6:7], 2
	s_delay_alu instid0(VALU_DEP_2) | instskip(NEXT) | instid1(VALU_DEP_1)
	v_add_co_u32 v20, s2, v14, v8
	v_add_co_ci_u32_e64 v21, s2, v15, v21, s2
	v_sub_nc_u32_e32 v50, 1, v32
	v_add3_u32 v51, s16, v29, v28
	v_lshl_or_b32 v52, v33, 5, v38
	v_mov_b32_e32 v38, 32
	s_getpc_b64 s[20:21]
	s_add_u32 s20, s20, llvm.amdgcn.dynlds.offset.table@rel32@lo+4
	s_addc_u32 s21, s21, llvm.amdgcn.dynlds.offset.table@rel32@hi+12
	s_add_u32 s8, s8, s20
	s_mov_b32 s7, 0
	s_addc_u32 s9, s9, s21
	s_branch .LBB309_10
.LBB309_9:                              ;   in Loop: Header=BB309_10 Depth=1
	s_or_b32 exec_lo, exec_lo, s3
	v_add_nc_u32_e32 v53, 4, v53
	v_add_co_u32 v20, s3, v20, 16
	s_delay_alu instid0(VALU_DEP_1) | instskip(NEXT) | instid1(VALU_DEP_3)
	v_add_co_ci_u32_e64 v21, s3, 0, v21, s3
	v_cmp_ge_i32_e64 s2, v53, v34
	v_add_nc_u32_e32 v51, 32, v51
	v_add_nc_u32_e32 v52, 0x80, v52
	s_delay_alu instid0(VALU_DEP_3) | instskip(NEXT) | instid1(SALU_CYCLE_1)
	s_or_b32 s7, s2, s7
	s_and_not1_b32 exec_lo, exec_lo, s7
	s_cbranch_execz .LBB309_524
.LBB309_10:                             ; =>This Inner Loop Header: Depth=1
	flat_load_b32 v8, v[20:21]
	s_waitcnt vmcnt(0) lgkmcnt(0)
	v_mad_i64_i32 v[28:29], null, v8, v22, v[18:19]
	s_delay_alu instid0(VALU_DEP_1) | instskip(NEXT) | instid1(VALU_DEP_1)
	v_add_co_u32 v28, s2, v28, v48
	v_add_co_ci_u32_e64 v29, s2, 0, v29, s2
	flat_load_u16 v8, v[28:29]
	flat_load_b32 v54, v[24:25]
	s_waitcnt vmcnt(1) lgkmcnt(1)
	v_and_b32_e32 v55, 0xff, v8
	v_and_b32_e32 v64, 0xffff, v8
	s_delay_alu instid0(VALU_DEP_2) | instskip(SKIP_1) | instid1(VALU_DEP_2)
	v_cmp_ne_u16_e64 s2, 0, v55
	v_mov_b32_e32 v55, 0
	s_and_saveexec_b32 s3, s2
	s_cbranch_execz .LBB309_18
; %bb.11:                               ;   in Loop: Header=BB309_10 Depth=1
	v_and_b32_e32 v8, 0xff, v64
	v_bfrev_b32_e32 v55, 1
	s_mov_b32 s19, exec_lo
	s_delay_alu instid0(VALU_DEP_2)
	v_cmpx_ne_u16_e32 0x80, v8
	s_cbranch_execz .LBB309_17
; %bb.12:                               ;   in Loop: Header=BB309_10 Depth=1
	v_and_b32_e32 v65, 0x7f, v64
	v_mov_b32_e32 v55, 0x7fc02000
	s_mov_b32 s20, exec_lo
	s_delay_alu instid0(VALU_DEP_2)
	v_cmpx_ne_u32_e32 0x7f, v65
	s_cbranch_execz .LBB309_16
; %bb.13:                               ;   in Loop: Header=BB309_10 Depth=1
	v_and_b32_e32 v8, 7, v64
	v_lshrrev_b32_e32 v55, 3, v65
	s_mov_b32 s21, exec_lo
	v_cmpx_gt_u32_e32 8, v65
; %bb.14:                               ;   in Loop: Header=BB309_10 Depth=1
	s_delay_alu instid0(VALU_DEP_3) | instskip(NEXT) | instid1(VALU_DEP_1)
	v_clz_i32_u32_e32 v55, v8
	v_min_u32_e32 v55, 32, v55
	s_delay_alu instid0(VALU_DEP_1) | instskip(SKIP_1) | instid1(VALU_DEP_2)
	v_subrev_nc_u32_e32 v65, 28, v55
	v_sub_nc_u32_e32 v55, 29, v55
	v_lshlrev_b64 v[65:66], v65, v[8:9]
	s_delay_alu instid0(VALU_DEP_1)
	v_and_b32_e32 v8, 7, v65
; %bb.15:                               ;   in Loop: Header=BB309_10 Depth=1
	s_or_b32 exec_lo, exec_lo, s21
	v_lshlrev_b32_e32 v65, 8, v64
	v_lshl_add_u32 v55, v55, 10, 0x2000
	s_delay_alu instid0(VALU_DEP_1) | instskip(NEXT) | instid1(VALU_DEP_1)
	v_and_or_b32 v55, 0x8000, v65, v55
	v_lshl_or_b32 v8, v8, 7, v55
	s_delay_alu instid0(VALU_DEP_1)
	v_cvt_f32_f16_e32 v55, v8
.LBB309_16:                             ;   in Loop: Header=BB309_10 Depth=1
	s_or_b32 exec_lo, exec_lo, s20
.LBB309_17:                             ;   in Loop: Header=BB309_10 Depth=1
	s_delay_alu instid0(SALU_CYCLE_1)
	s_or_b32 exec_lo, exec_lo, s19
.LBB309_18:                             ;   in Loop: Header=BB309_10 Depth=1
	s_delay_alu instid0(SALU_CYCLE_1) | instskip(SKIP_3) | instid1(VALU_DEP_2)
	s_or_b32 exec_lo, exec_lo, s3
	v_lshrrev_b16 v8, 8, v64
	v_dual_mov_b32 v65, 0 :: v_dual_mov_b32 v64, 0
	s_mov_b32 s3, exec_lo
	v_cmpx_ne_u16_e32 0, v8
	s_cbranch_execz .LBB309_26
; %bb.19:                               ;   in Loop: Header=BB309_10 Depth=1
	v_bfrev_b32_e32 v64, 1
	s_mov_b32 s19, exec_lo
	v_cmpx_ne_u16_e32 0x80, v8
	s_cbranch_execz .LBB309_25
; %bb.20:                               ;   in Loop: Header=BB309_10 Depth=1
	v_and_b32_e32 v66, 0xffff, v8
	v_mov_b32_e32 v64, 0x7fc02000
	s_mov_b32 s20, exec_lo
	s_delay_alu instid0(VALU_DEP_2) | instskip(NEXT) | instid1(VALU_DEP_1)
	v_and_b32_e32 v67, 0x7f, v66
	v_cmpx_ne_u32_e32 0x7f, v67
	s_cbranch_execz .LBB309_24
; %bb.21:                               ;   in Loop: Header=BB309_10 Depth=1
	v_and_b32_e32 v8, 7, v66
	v_lshrrev_b32_e32 v64, 3, v67
	s_mov_b32 s21, exec_lo
	v_cmpx_gt_u32_e32 8, v67
; %bb.22:                               ;   in Loop: Header=BB309_10 Depth=1
	s_delay_alu instid0(VALU_DEP_3) | instskip(NEXT) | instid1(VALU_DEP_1)
	v_clz_i32_u32_e32 v64, v8
	v_min_u32_e32 v64, 32, v64
	s_delay_alu instid0(VALU_DEP_1) | instskip(SKIP_1) | instid1(VALU_DEP_2)
	v_subrev_nc_u32_e32 v67, 28, v64
	v_sub_nc_u32_e32 v64, 29, v64
	v_lshlrev_b64 v[67:68], v67, v[8:9]
	s_delay_alu instid0(VALU_DEP_1)
	v_and_b32_e32 v8, 7, v67
; %bb.23:                               ;   in Loop: Header=BB309_10 Depth=1
	s_or_b32 exec_lo, exec_lo, s21
	v_lshlrev_b32_e32 v66, 8, v66
	v_lshl_add_u32 v64, v64, 10, 0x2000
	s_delay_alu instid0(VALU_DEP_1) | instskip(NEXT) | instid1(VALU_DEP_1)
	v_and_or_b32 v64, 0x8000, v66, v64
	v_lshl_or_b32 v8, v8, 7, v64
	s_delay_alu instid0(VALU_DEP_1)
	v_cvt_f32_f16_e32 v64, v8
.LBB309_24:                             ;   in Loop: Header=BB309_10 Depth=1
	s_or_b32 exec_lo, exec_lo, s20
.LBB309_25:                             ;   in Loop: Header=BB309_10 Depth=1
	s_delay_alu instid0(SALU_CYCLE_1)
	s_or_b32 exec_lo, exec_lo, s19
.LBB309_26:                             ;   in Loop: Header=BB309_10 Depth=1
	s_delay_alu instid0(SALU_CYCLE_1)
	s_or_b32 exec_lo, exec_lo, s3
	flat_load_u16 v8, v[28:29] offset:8
	s_mov_b32 s3, exec_lo
	s_waitcnt vmcnt(0) lgkmcnt(0)
	v_and_b32_e32 v67, 0xff, v8
	v_and_b32_e32 v66, 0xffff, v8
	s_delay_alu instid0(VALU_DEP_2)
	v_cmpx_ne_u16_e32 0, v67
	s_cbranch_execz .LBB309_34
; %bb.27:                               ;   in Loop: Header=BB309_10 Depth=1
	s_delay_alu instid0(VALU_DEP_2) | instskip(SKIP_2) | instid1(VALU_DEP_2)
	v_and_b32_e32 v8, 0xff, v66
	v_bfrev_b32_e32 v65, 1
	s_mov_b32 s19, exec_lo
	v_cmpx_ne_u16_e32 0x80, v8
	s_cbranch_execz .LBB309_33
; %bb.28:                               ;   in Loop: Header=BB309_10 Depth=1
	v_and_b32_e32 v67, 0x7f, v66
	v_mov_b32_e32 v65, 0x7fc02000
	s_mov_b32 s20, exec_lo
	s_delay_alu instid0(VALU_DEP_2)
	v_cmpx_ne_u32_e32 0x7f, v67
	s_cbranch_execz .LBB309_32
; %bb.29:                               ;   in Loop: Header=BB309_10 Depth=1
	v_and_b32_e32 v8, 7, v66
	v_lshrrev_b32_e32 v65, 3, v67
	s_mov_b32 s21, exec_lo
	v_cmpx_gt_u32_e32 8, v67
; %bb.30:                               ;   in Loop: Header=BB309_10 Depth=1
	s_delay_alu instid0(VALU_DEP_3) | instskip(NEXT) | instid1(VALU_DEP_1)
	v_clz_i32_u32_e32 v65, v8
	v_min_u32_e32 v65, 32, v65
	s_delay_alu instid0(VALU_DEP_1) | instskip(SKIP_1) | instid1(VALU_DEP_2)
	v_subrev_nc_u32_e32 v67, 28, v65
	v_sub_nc_u32_e32 v65, 29, v65
	v_lshlrev_b64 v[67:68], v67, v[8:9]
	s_delay_alu instid0(VALU_DEP_1)
	v_and_b32_e32 v8, 7, v67
; %bb.31:                               ;   in Loop: Header=BB309_10 Depth=1
	s_or_b32 exec_lo, exec_lo, s21
	v_lshlrev_b32_e32 v67, 8, v66
	v_lshl_add_u32 v65, v65, 10, 0x2000
	s_delay_alu instid0(VALU_DEP_1) | instskip(NEXT) | instid1(VALU_DEP_1)
	v_and_or_b32 v65, 0x8000, v67, v65
	v_lshl_or_b32 v8, v8, 7, v65
	s_delay_alu instid0(VALU_DEP_1)
	v_cvt_f32_f16_e32 v65, v8
.LBB309_32:                             ;   in Loop: Header=BB309_10 Depth=1
	s_or_b32 exec_lo, exec_lo, s20
.LBB309_33:                             ;   in Loop: Header=BB309_10 Depth=1
	s_delay_alu instid0(SALU_CYCLE_1)
	s_or_b32 exec_lo, exec_lo, s19
.LBB309_34:                             ;   in Loop: Header=BB309_10 Depth=1
	s_delay_alu instid0(SALU_CYCLE_1) | instskip(NEXT) | instid1(VALU_DEP_2)
	s_or_b32 exec_lo, exec_lo, s3
	v_lshrrev_b16 v8, 8, v66
	v_dual_mov_b32 v67, 0 :: v_dual_mov_b32 v66, 0
	s_mov_b32 s3, exec_lo
	s_delay_alu instid0(VALU_DEP_2)
	v_cmpx_ne_u16_e32 0, v8
	s_cbranch_execz .LBB309_42
; %bb.35:                               ;   in Loop: Header=BB309_10 Depth=1
	v_bfrev_b32_e32 v66, 1
	s_mov_b32 s19, exec_lo
	v_cmpx_ne_u16_e32 0x80, v8
	s_cbranch_execz .LBB309_41
; %bb.36:                               ;   in Loop: Header=BB309_10 Depth=1
	v_and_b32_e32 v68, 0xffff, v8
	v_mov_b32_e32 v66, 0x7fc02000
	s_mov_b32 s20, exec_lo
	s_delay_alu instid0(VALU_DEP_2) | instskip(NEXT) | instid1(VALU_DEP_1)
	v_and_b32_e32 v69, 0x7f, v68
	v_cmpx_ne_u32_e32 0x7f, v69
	s_cbranch_execz .LBB309_40
; %bb.37:                               ;   in Loop: Header=BB309_10 Depth=1
	v_and_b32_e32 v8, 7, v68
	v_lshrrev_b32_e32 v66, 3, v69
	s_mov_b32 s21, exec_lo
	v_cmpx_gt_u32_e32 8, v69
; %bb.38:                               ;   in Loop: Header=BB309_10 Depth=1
	s_delay_alu instid0(VALU_DEP_3) | instskip(NEXT) | instid1(VALU_DEP_1)
	v_clz_i32_u32_e32 v66, v8
	v_min_u32_e32 v66, 32, v66
	s_delay_alu instid0(VALU_DEP_1) | instskip(SKIP_1) | instid1(VALU_DEP_2)
	v_subrev_nc_u32_e32 v69, 28, v66
	v_sub_nc_u32_e32 v66, 29, v66
	v_lshlrev_b64 v[69:70], v69, v[8:9]
	s_delay_alu instid0(VALU_DEP_1)
	v_and_b32_e32 v8, 7, v69
; %bb.39:                               ;   in Loop: Header=BB309_10 Depth=1
	s_or_b32 exec_lo, exec_lo, s21
	v_lshlrev_b32_e32 v68, 8, v68
	v_lshl_add_u32 v66, v66, 10, 0x2000
	s_delay_alu instid0(VALU_DEP_1) | instskip(NEXT) | instid1(VALU_DEP_1)
	v_and_or_b32 v66, 0x8000, v68, v66
	v_lshl_or_b32 v8, v8, 7, v66
	s_delay_alu instid0(VALU_DEP_1)
	v_cvt_f32_f16_e32 v66, v8
.LBB309_40:                             ;   in Loop: Header=BB309_10 Depth=1
	s_or_b32 exec_lo, exec_lo, s20
.LBB309_41:                             ;   in Loop: Header=BB309_10 Depth=1
	s_delay_alu instid0(SALU_CYCLE_1)
	s_or_b32 exec_lo, exec_lo, s19
.LBB309_42:                             ;   in Loop: Header=BB309_10 Depth=1
	s_delay_alu instid0(SALU_CYCLE_1)
	s_or_b32 exec_lo, exec_lo, s3
	flat_load_u16 v8, v[28:29] offset:128
	s_mov_b32 s3, exec_lo
	s_waitcnt vmcnt(0) lgkmcnt(0)
	v_and_b32_e32 v69, 0xff, v8
	v_and_b32_e32 v68, 0xffff, v8
	s_delay_alu instid0(VALU_DEP_2)
	v_cmpx_ne_u16_e32 0, v69
	s_cbranch_execz .LBB309_50
; %bb.43:                               ;   in Loop: Header=BB309_10 Depth=1
	s_delay_alu instid0(VALU_DEP_2) | instskip(SKIP_2) | instid1(VALU_DEP_2)
	v_and_b32_e32 v8, 0xff, v68
	v_bfrev_b32_e32 v67, 1
	s_mov_b32 s19, exec_lo
	v_cmpx_ne_u16_e32 0x80, v8
	s_cbranch_execz .LBB309_49
; %bb.44:                               ;   in Loop: Header=BB309_10 Depth=1
	v_and_b32_e32 v69, 0x7f, v68
	v_mov_b32_e32 v67, 0x7fc02000
	s_mov_b32 s20, exec_lo
	s_delay_alu instid0(VALU_DEP_2)
	v_cmpx_ne_u32_e32 0x7f, v69
	s_cbranch_execz .LBB309_48
; %bb.45:                               ;   in Loop: Header=BB309_10 Depth=1
	v_and_b32_e32 v8, 7, v68
	v_lshrrev_b32_e32 v67, 3, v69
	s_mov_b32 s21, exec_lo
	v_cmpx_gt_u32_e32 8, v69
; %bb.46:                               ;   in Loop: Header=BB309_10 Depth=1
	s_delay_alu instid0(VALU_DEP_3) | instskip(NEXT) | instid1(VALU_DEP_1)
	v_clz_i32_u32_e32 v67, v8
	v_min_u32_e32 v67, 32, v67
	s_delay_alu instid0(VALU_DEP_1) | instskip(SKIP_1) | instid1(VALU_DEP_2)
	v_subrev_nc_u32_e32 v69, 28, v67
	v_sub_nc_u32_e32 v67, 29, v67
	v_lshlrev_b64 v[69:70], v69, v[8:9]
	s_delay_alu instid0(VALU_DEP_1)
	v_and_b32_e32 v8, 7, v69
; %bb.47:                               ;   in Loop: Header=BB309_10 Depth=1
	s_or_b32 exec_lo, exec_lo, s21
	v_lshlrev_b32_e32 v69, 8, v68
	v_lshl_add_u32 v67, v67, 10, 0x2000
	s_delay_alu instid0(VALU_DEP_1) | instskip(NEXT) | instid1(VALU_DEP_1)
	v_and_or_b32 v67, 0x8000, v69, v67
	v_lshl_or_b32 v8, v8, 7, v67
	s_delay_alu instid0(VALU_DEP_1)
	v_cvt_f32_f16_e32 v67, v8
.LBB309_48:                             ;   in Loop: Header=BB309_10 Depth=1
	s_or_b32 exec_lo, exec_lo, s20
.LBB309_49:                             ;   in Loop: Header=BB309_10 Depth=1
	s_delay_alu instid0(SALU_CYCLE_1)
	s_or_b32 exec_lo, exec_lo, s19
.LBB309_50:                             ;   in Loop: Header=BB309_10 Depth=1
	s_delay_alu instid0(SALU_CYCLE_1) | instskip(NEXT) | instid1(VALU_DEP_2)
	s_or_b32 exec_lo, exec_lo, s3
	v_lshrrev_b16 v8, 8, v68
	v_dual_mov_b32 v69, 0 :: v_dual_mov_b32 v68, 0
	s_mov_b32 s3, exec_lo
	s_delay_alu instid0(VALU_DEP_2)
	v_cmpx_ne_u16_e32 0, v8
	s_cbranch_execz .LBB309_58
; %bb.51:                               ;   in Loop: Header=BB309_10 Depth=1
	v_bfrev_b32_e32 v68, 1
	s_mov_b32 s19, exec_lo
	v_cmpx_ne_u16_e32 0x80, v8
	s_cbranch_execz .LBB309_57
; %bb.52:                               ;   in Loop: Header=BB309_10 Depth=1
	v_and_b32_e32 v70, 0xffff, v8
	v_mov_b32_e32 v68, 0x7fc02000
	s_mov_b32 s20, exec_lo
	s_delay_alu instid0(VALU_DEP_2) | instskip(NEXT) | instid1(VALU_DEP_1)
	v_and_b32_e32 v71, 0x7f, v70
	v_cmpx_ne_u32_e32 0x7f, v71
	s_cbranch_execz .LBB309_56
; %bb.53:                               ;   in Loop: Header=BB309_10 Depth=1
	v_and_b32_e32 v8, 7, v70
	v_lshrrev_b32_e32 v68, 3, v71
	s_mov_b32 s21, exec_lo
	v_cmpx_gt_u32_e32 8, v71
; %bb.54:                               ;   in Loop: Header=BB309_10 Depth=1
	s_delay_alu instid0(VALU_DEP_3) | instskip(NEXT) | instid1(VALU_DEP_1)
	v_clz_i32_u32_e32 v68, v8
	v_min_u32_e32 v68, 32, v68
	s_delay_alu instid0(VALU_DEP_1) | instskip(SKIP_1) | instid1(VALU_DEP_2)
	v_subrev_nc_u32_e32 v71, 28, v68
	v_sub_nc_u32_e32 v68, 29, v68
	v_lshlrev_b64 v[80:81], v71, v[8:9]
	s_delay_alu instid0(VALU_DEP_1)
	v_and_b32_e32 v8, 7, v80
; %bb.55:                               ;   in Loop: Header=BB309_10 Depth=1
	s_or_b32 exec_lo, exec_lo, s21
	v_lshlrev_b32_e32 v70, 8, v70
	v_lshl_add_u32 v68, v68, 10, 0x2000
	s_delay_alu instid0(VALU_DEP_1) | instskip(NEXT) | instid1(VALU_DEP_1)
	v_and_or_b32 v68, 0x8000, v70, v68
	v_lshl_or_b32 v8, v8, 7, v68
	s_delay_alu instid0(VALU_DEP_1)
	v_cvt_f32_f16_e32 v68, v8
.LBB309_56:                             ;   in Loop: Header=BB309_10 Depth=1
	s_or_b32 exec_lo, exec_lo, s20
.LBB309_57:                             ;   in Loop: Header=BB309_10 Depth=1
	s_delay_alu instid0(SALU_CYCLE_1)
	s_or_b32 exec_lo, exec_lo, s19
.LBB309_58:                             ;   in Loop: Header=BB309_10 Depth=1
	s_delay_alu instid0(SALU_CYCLE_1)
	s_or_b32 exec_lo, exec_lo, s3
	flat_load_u16 v8, v[28:29] offset:136
	s_mov_b32 s3, exec_lo
	s_waitcnt vmcnt(0) lgkmcnt(0)
	v_and_b32_e32 v71, 0xff, v8
	v_and_b32_e32 v70, 0xffff, v8
	s_delay_alu instid0(VALU_DEP_2)
	v_cmpx_ne_u16_e32 0, v71
	s_cbranch_execz .LBB309_66
; %bb.59:                               ;   in Loop: Header=BB309_10 Depth=1
	s_delay_alu instid0(VALU_DEP_2) | instskip(SKIP_2) | instid1(VALU_DEP_2)
	v_and_b32_e32 v8, 0xff, v70
	v_bfrev_b32_e32 v69, 1
	s_mov_b32 s19, exec_lo
	v_cmpx_ne_u16_e32 0x80, v8
	s_cbranch_execz .LBB309_65
; %bb.60:                               ;   in Loop: Header=BB309_10 Depth=1
	v_and_b32_e32 v71, 0x7f, v70
	v_mov_b32_e32 v69, 0x7fc02000
	s_mov_b32 s20, exec_lo
	s_delay_alu instid0(VALU_DEP_2)
	v_cmpx_ne_u32_e32 0x7f, v71
	s_cbranch_execz .LBB309_64
; %bb.61:                               ;   in Loop: Header=BB309_10 Depth=1
	v_and_b32_e32 v8, 7, v70
	v_lshrrev_b32_e32 v69, 3, v71
	s_mov_b32 s21, exec_lo
	v_cmpx_gt_u32_e32 8, v71
; %bb.62:                               ;   in Loop: Header=BB309_10 Depth=1
	s_delay_alu instid0(VALU_DEP_3) | instskip(NEXT) | instid1(VALU_DEP_1)
	v_clz_i32_u32_e32 v69, v8
	v_min_u32_e32 v69, 32, v69
	s_delay_alu instid0(VALU_DEP_1) | instskip(SKIP_1) | instid1(VALU_DEP_2)
	v_subrev_nc_u32_e32 v71, 28, v69
	v_sub_nc_u32_e32 v69, 29, v69
	v_lshlrev_b64 v[80:81], v71, v[8:9]
	s_delay_alu instid0(VALU_DEP_1)
	v_and_b32_e32 v8, 7, v80
; %bb.63:                               ;   in Loop: Header=BB309_10 Depth=1
	s_or_b32 exec_lo, exec_lo, s21
	v_lshlrev_b32_e32 v71, 8, v70
	v_lshl_add_u32 v69, v69, 10, 0x2000
	s_delay_alu instid0(VALU_DEP_1) | instskip(NEXT) | instid1(VALU_DEP_1)
	v_and_or_b32 v69, 0x8000, v71, v69
	v_lshl_or_b32 v8, v8, 7, v69
	s_delay_alu instid0(VALU_DEP_1)
	v_cvt_f32_f16_e32 v69, v8
.LBB309_64:                             ;   in Loop: Header=BB309_10 Depth=1
	s_or_b32 exec_lo, exec_lo, s20
.LBB309_65:                             ;   in Loop: Header=BB309_10 Depth=1
	s_delay_alu instid0(SALU_CYCLE_1)
	s_or_b32 exec_lo, exec_lo, s19
.LBB309_66:                             ;   in Loop: Header=BB309_10 Depth=1
	s_delay_alu instid0(SALU_CYCLE_1) | instskip(NEXT) | instid1(VALU_DEP_2)
	s_or_b32 exec_lo, exec_lo, s3
	v_lshrrev_b16 v8, 8, v70
	v_dual_mov_b32 v71, 0 :: v_dual_mov_b32 v70, 0
	s_mov_b32 s3, exec_lo
	s_delay_alu instid0(VALU_DEP_2)
	v_cmpx_ne_u16_e32 0, v8
	s_cbranch_execz .LBB309_74
; %bb.67:                               ;   in Loop: Header=BB309_10 Depth=1
	v_bfrev_b32_e32 v70, 1
	s_mov_b32 s19, exec_lo
	v_cmpx_ne_u16_e32 0x80, v8
	s_cbranch_execz .LBB309_73
; %bb.68:                               ;   in Loop: Header=BB309_10 Depth=1
	v_and_b32_e32 v80, 0xffff, v8
	v_mov_b32_e32 v70, 0x7fc02000
	s_mov_b32 s20, exec_lo
	s_delay_alu instid0(VALU_DEP_2) | instskip(NEXT) | instid1(VALU_DEP_1)
	v_and_b32_e32 v81, 0x7f, v80
	v_cmpx_ne_u32_e32 0x7f, v81
	s_cbranch_execz .LBB309_72
; %bb.69:                               ;   in Loop: Header=BB309_10 Depth=1
	v_and_b32_e32 v8, 7, v80
	v_lshrrev_b32_e32 v70, 3, v81
	s_mov_b32 s21, exec_lo
	v_cmpx_gt_u32_e32 8, v81
; %bb.70:                               ;   in Loop: Header=BB309_10 Depth=1
	s_delay_alu instid0(VALU_DEP_3) | instskip(NEXT) | instid1(VALU_DEP_1)
	v_clz_i32_u32_e32 v70, v8
	v_min_u32_e32 v70, 32, v70
	s_delay_alu instid0(VALU_DEP_1) | instskip(SKIP_1) | instid1(VALU_DEP_2)
	v_subrev_nc_u32_e32 v81, 28, v70
	v_sub_nc_u32_e32 v70, 29, v70
	v_lshlrev_b64 v[81:82], v81, v[8:9]
	s_delay_alu instid0(VALU_DEP_1)
	v_and_b32_e32 v8, 7, v81
; %bb.71:                               ;   in Loop: Header=BB309_10 Depth=1
	s_or_b32 exec_lo, exec_lo, s21
	v_lshlrev_b32_e32 v80, 8, v80
	v_lshl_add_u32 v70, v70, 10, 0x2000
	s_delay_alu instid0(VALU_DEP_1) | instskip(NEXT) | instid1(VALU_DEP_1)
	v_and_or_b32 v70, 0x8000, v80, v70
	v_lshl_or_b32 v8, v8, 7, v70
	s_delay_alu instid0(VALU_DEP_1)
	v_cvt_f32_f16_e32 v70, v8
.LBB309_72:                             ;   in Loop: Header=BB309_10 Depth=1
	s_or_b32 exec_lo, exec_lo, s20
.LBB309_73:                             ;   in Loop: Header=BB309_10 Depth=1
	s_delay_alu instid0(SALU_CYCLE_1)
	s_or_b32 exec_lo, exec_lo, s19
.LBB309_74:                             ;   in Loop: Header=BB309_10 Depth=1
	s_delay_alu instid0(SALU_CYCLE_1)
	s_or_b32 exec_lo, exec_lo, s3
	flat_load_u16 v8, v[28:29] offset:256
	s_mov_b32 s3, exec_lo
	s_waitcnt vmcnt(0) lgkmcnt(0)
	v_and_b32_e32 v81, 0xff, v8
	v_and_b32_e32 v80, 0xffff, v8
	s_delay_alu instid0(VALU_DEP_2)
	v_cmpx_ne_u16_e32 0, v81
	s_cbranch_execz .LBB309_82
; %bb.75:                               ;   in Loop: Header=BB309_10 Depth=1
	s_delay_alu instid0(VALU_DEP_2) | instskip(SKIP_2) | instid1(VALU_DEP_2)
	v_and_b32_e32 v8, 0xff, v80
	v_bfrev_b32_e32 v71, 1
	s_mov_b32 s19, exec_lo
	v_cmpx_ne_u16_e32 0x80, v8
	s_cbranch_execz .LBB309_81
; %bb.76:                               ;   in Loop: Header=BB309_10 Depth=1
	v_and_b32_e32 v81, 0x7f, v80
	v_mov_b32_e32 v71, 0x7fc02000
	s_mov_b32 s20, exec_lo
	s_delay_alu instid0(VALU_DEP_2)
	v_cmpx_ne_u32_e32 0x7f, v81
	s_cbranch_execz .LBB309_80
; %bb.77:                               ;   in Loop: Header=BB309_10 Depth=1
	v_and_b32_e32 v8, 7, v80
	v_lshrrev_b32_e32 v71, 3, v81
	s_mov_b32 s21, exec_lo
	v_cmpx_gt_u32_e32 8, v81
; %bb.78:                               ;   in Loop: Header=BB309_10 Depth=1
	s_delay_alu instid0(VALU_DEP_3) | instskip(NEXT) | instid1(VALU_DEP_1)
	v_clz_i32_u32_e32 v71, v8
	v_min_u32_e32 v71, 32, v71
	s_delay_alu instid0(VALU_DEP_1) | instskip(SKIP_1) | instid1(VALU_DEP_2)
	v_subrev_nc_u32_e32 v81, 28, v71
	v_sub_nc_u32_e32 v71, 29, v71
	v_lshlrev_b64 v[81:82], v81, v[8:9]
	s_delay_alu instid0(VALU_DEP_1)
	v_and_b32_e32 v8, 7, v81
; %bb.79:                               ;   in Loop: Header=BB309_10 Depth=1
	s_or_b32 exec_lo, exec_lo, s21
	v_lshlrev_b32_e32 v81, 8, v80
	v_lshl_add_u32 v71, v71, 10, 0x2000
	s_delay_alu instid0(VALU_DEP_1) | instskip(NEXT) | instid1(VALU_DEP_1)
	v_and_or_b32 v71, 0x8000, v81, v71
	v_lshl_or_b32 v8, v8, 7, v71
	s_delay_alu instid0(VALU_DEP_1)
	v_cvt_f32_f16_e32 v71, v8
.LBB309_80:                             ;   in Loop: Header=BB309_10 Depth=1
	s_or_b32 exec_lo, exec_lo, s20
.LBB309_81:                             ;   in Loop: Header=BB309_10 Depth=1
	s_delay_alu instid0(SALU_CYCLE_1)
	s_or_b32 exec_lo, exec_lo, s19
.LBB309_82:                             ;   in Loop: Header=BB309_10 Depth=1
	s_delay_alu instid0(SALU_CYCLE_1) | instskip(NEXT) | instid1(VALU_DEP_2)
	s_or_b32 exec_lo, exec_lo, s3
	v_lshrrev_b16 v8, 8, v80
	v_dual_mov_b32 v81, 0 :: v_dual_mov_b32 v80, 0
	s_mov_b32 s3, exec_lo
	s_delay_alu instid0(VALU_DEP_2)
	v_cmpx_ne_u16_e32 0, v8
	s_cbranch_execz .LBB309_90
; %bb.83:                               ;   in Loop: Header=BB309_10 Depth=1
	v_bfrev_b32_e32 v80, 1
	s_mov_b32 s19, exec_lo
	v_cmpx_ne_u16_e32 0x80, v8
	s_cbranch_execz .LBB309_89
; %bb.84:                               ;   in Loop: Header=BB309_10 Depth=1
	v_and_b32_e32 v82, 0xffff, v8
	v_mov_b32_e32 v80, 0x7fc02000
	s_mov_b32 s20, exec_lo
	s_delay_alu instid0(VALU_DEP_2) | instskip(NEXT) | instid1(VALU_DEP_1)
	v_and_b32_e32 v83, 0x7f, v82
	v_cmpx_ne_u32_e32 0x7f, v83
	s_cbranch_execz .LBB309_88
; %bb.85:                               ;   in Loop: Header=BB309_10 Depth=1
	v_and_b32_e32 v8, 7, v82
	v_lshrrev_b32_e32 v80, 3, v83
	s_mov_b32 s21, exec_lo
	v_cmpx_gt_u32_e32 8, v83
; %bb.86:                               ;   in Loop: Header=BB309_10 Depth=1
	s_delay_alu instid0(VALU_DEP_3) | instskip(NEXT) | instid1(VALU_DEP_1)
	v_clz_i32_u32_e32 v80, v8
	v_min_u32_e32 v80, 32, v80
	s_delay_alu instid0(VALU_DEP_1) | instskip(SKIP_1) | instid1(VALU_DEP_2)
	v_subrev_nc_u32_e32 v83, 28, v80
	v_sub_nc_u32_e32 v80, 29, v80
	v_lshlrev_b64 v[83:84], v83, v[8:9]
	s_delay_alu instid0(VALU_DEP_1)
	v_and_b32_e32 v8, 7, v83
; %bb.87:                               ;   in Loop: Header=BB309_10 Depth=1
	s_or_b32 exec_lo, exec_lo, s21
	v_lshlrev_b32_e32 v82, 8, v82
	v_lshl_add_u32 v80, v80, 10, 0x2000
	s_delay_alu instid0(VALU_DEP_1) | instskip(NEXT) | instid1(VALU_DEP_1)
	v_and_or_b32 v80, 0x8000, v82, v80
	v_lshl_or_b32 v8, v8, 7, v80
	s_delay_alu instid0(VALU_DEP_1)
	v_cvt_f32_f16_e32 v80, v8
.LBB309_88:                             ;   in Loop: Header=BB309_10 Depth=1
	s_or_b32 exec_lo, exec_lo, s20
.LBB309_89:                             ;   in Loop: Header=BB309_10 Depth=1
	s_delay_alu instid0(SALU_CYCLE_1)
	s_or_b32 exec_lo, exec_lo, s19
.LBB309_90:                             ;   in Loop: Header=BB309_10 Depth=1
	s_delay_alu instid0(SALU_CYCLE_1)
	s_or_b32 exec_lo, exec_lo, s3
	flat_load_u16 v8, v[28:29] offset:264
	s_mov_b32 s3, exec_lo
	s_waitcnt vmcnt(0) lgkmcnt(0)
	v_and_b32_e32 v83, 0xff, v8
	v_and_b32_e32 v82, 0xffff, v8
	s_delay_alu instid0(VALU_DEP_2)
	v_cmpx_ne_u16_e32 0, v83
	s_cbranch_execz .LBB309_98
; %bb.91:                               ;   in Loop: Header=BB309_10 Depth=1
	s_delay_alu instid0(VALU_DEP_2) | instskip(SKIP_2) | instid1(VALU_DEP_2)
	v_and_b32_e32 v8, 0xff, v82
	v_bfrev_b32_e32 v81, 1
	s_mov_b32 s19, exec_lo
	v_cmpx_ne_u16_e32 0x80, v8
	s_cbranch_execz .LBB309_97
; %bb.92:                               ;   in Loop: Header=BB309_10 Depth=1
	v_and_b32_e32 v83, 0x7f, v82
	v_mov_b32_e32 v81, 0x7fc02000
	s_mov_b32 s20, exec_lo
	s_delay_alu instid0(VALU_DEP_2)
	v_cmpx_ne_u32_e32 0x7f, v83
	s_cbranch_execz .LBB309_96
; %bb.93:                               ;   in Loop: Header=BB309_10 Depth=1
	v_and_b32_e32 v8, 7, v82
	v_lshrrev_b32_e32 v81, 3, v83
	s_mov_b32 s21, exec_lo
	v_cmpx_gt_u32_e32 8, v83
; %bb.94:                               ;   in Loop: Header=BB309_10 Depth=1
	s_delay_alu instid0(VALU_DEP_3) | instskip(NEXT) | instid1(VALU_DEP_1)
	v_clz_i32_u32_e32 v81, v8
	v_min_u32_e32 v81, 32, v81
	s_delay_alu instid0(VALU_DEP_1) | instskip(SKIP_1) | instid1(VALU_DEP_2)
	v_subrev_nc_u32_e32 v83, 28, v81
	v_sub_nc_u32_e32 v81, 29, v81
	v_lshlrev_b64 v[83:84], v83, v[8:9]
	s_delay_alu instid0(VALU_DEP_1)
	v_and_b32_e32 v8, 7, v83
; %bb.95:                               ;   in Loop: Header=BB309_10 Depth=1
	s_or_b32 exec_lo, exec_lo, s21
	v_lshlrev_b32_e32 v83, 8, v82
	v_lshl_add_u32 v81, v81, 10, 0x2000
	s_delay_alu instid0(VALU_DEP_1) | instskip(NEXT) | instid1(VALU_DEP_1)
	v_and_or_b32 v81, 0x8000, v83, v81
	v_lshl_or_b32 v8, v8, 7, v81
	s_delay_alu instid0(VALU_DEP_1)
	v_cvt_f32_f16_e32 v81, v8
.LBB309_96:                             ;   in Loop: Header=BB309_10 Depth=1
	s_or_b32 exec_lo, exec_lo, s20
.LBB309_97:                             ;   in Loop: Header=BB309_10 Depth=1
	s_delay_alu instid0(SALU_CYCLE_1)
	s_or_b32 exec_lo, exec_lo, s19
.LBB309_98:                             ;   in Loop: Header=BB309_10 Depth=1
	s_delay_alu instid0(SALU_CYCLE_1) | instskip(NEXT) | instid1(VALU_DEP_2)
	s_or_b32 exec_lo, exec_lo, s3
	v_lshrrev_b16 v8, 8, v82
	v_dual_mov_b32 v83, 0 :: v_dual_mov_b32 v82, 0
	s_mov_b32 s3, exec_lo
	s_delay_alu instid0(VALU_DEP_2)
	v_cmpx_ne_u16_e32 0, v8
	s_cbranch_execz .LBB309_106
; %bb.99:                               ;   in Loop: Header=BB309_10 Depth=1
	v_bfrev_b32_e32 v82, 1
	s_mov_b32 s19, exec_lo
	v_cmpx_ne_u16_e32 0x80, v8
	s_cbranch_execz .LBB309_105
; %bb.100:                              ;   in Loop: Header=BB309_10 Depth=1
	v_and_b32_e32 v84, 0xffff, v8
	v_mov_b32_e32 v82, 0x7fc02000
	s_mov_b32 s20, exec_lo
	s_delay_alu instid0(VALU_DEP_2) | instskip(NEXT) | instid1(VALU_DEP_1)
	v_and_b32_e32 v85, 0x7f, v84
	v_cmpx_ne_u32_e32 0x7f, v85
	s_cbranch_execz .LBB309_104
; %bb.101:                              ;   in Loop: Header=BB309_10 Depth=1
	v_and_b32_e32 v8, 7, v84
	v_lshrrev_b32_e32 v82, 3, v85
	s_mov_b32 s21, exec_lo
	v_cmpx_gt_u32_e32 8, v85
; %bb.102:                              ;   in Loop: Header=BB309_10 Depth=1
	s_delay_alu instid0(VALU_DEP_3) | instskip(NEXT) | instid1(VALU_DEP_1)
	v_clz_i32_u32_e32 v82, v8
	v_min_u32_e32 v82, 32, v82
	s_delay_alu instid0(VALU_DEP_1) | instskip(SKIP_1) | instid1(VALU_DEP_2)
	v_subrev_nc_u32_e32 v85, 28, v82
	v_sub_nc_u32_e32 v82, 29, v82
	v_lshlrev_b64 v[85:86], v85, v[8:9]
	s_delay_alu instid0(VALU_DEP_1)
	v_and_b32_e32 v8, 7, v85
; %bb.103:                              ;   in Loop: Header=BB309_10 Depth=1
	s_or_b32 exec_lo, exec_lo, s21
	v_lshlrev_b32_e32 v84, 8, v84
	v_lshl_add_u32 v82, v82, 10, 0x2000
	s_delay_alu instid0(VALU_DEP_1) | instskip(NEXT) | instid1(VALU_DEP_1)
	v_and_or_b32 v82, 0x8000, v84, v82
	v_lshl_or_b32 v8, v8, 7, v82
	s_delay_alu instid0(VALU_DEP_1)
	v_cvt_f32_f16_e32 v82, v8
.LBB309_104:                            ;   in Loop: Header=BB309_10 Depth=1
	s_or_b32 exec_lo, exec_lo, s20
.LBB309_105:                            ;   in Loop: Header=BB309_10 Depth=1
	s_delay_alu instid0(SALU_CYCLE_1)
	s_or_b32 exec_lo, exec_lo, s19
.LBB309_106:                            ;   in Loop: Header=BB309_10 Depth=1
	s_delay_alu instid0(SALU_CYCLE_1)
	s_or_b32 exec_lo, exec_lo, s3
	flat_load_u16 v8, v[28:29] offset:384
	s_mov_b32 s3, exec_lo
	s_waitcnt vmcnt(0) lgkmcnt(0)
	v_and_b32_e32 v85, 0xff, v8
	v_and_b32_e32 v84, 0xffff, v8
	s_delay_alu instid0(VALU_DEP_2)
	v_cmpx_ne_u16_e32 0, v85
	s_cbranch_execz .LBB309_114
; %bb.107:                              ;   in Loop: Header=BB309_10 Depth=1
	s_delay_alu instid0(VALU_DEP_2) | instskip(SKIP_2) | instid1(VALU_DEP_2)
	v_and_b32_e32 v8, 0xff, v84
	v_bfrev_b32_e32 v83, 1
	s_mov_b32 s19, exec_lo
	v_cmpx_ne_u16_e32 0x80, v8
	s_cbranch_execz .LBB309_113
; %bb.108:                              ;   in Loop: Header=BB309_10 Depth=1
	v_and_b32_e32 v85, 0x7f, v84
	v_mov_b32_e32 v83, 0x7fc02000
	s_mov_b32 s20, exec_lo
	s_delay_alu instid0(VALU_DEP_2)
	v_cmpx_ne_u32_e32 0x7f, v85
	s_cbranch_execz .LBB309_112
; %bb.109:                              ;   in Loop: Header=BB309_10 Depth=1
	v_and_b32_e32 v8, 7, v84
	v_lshrrev_b32_e32 v83, 3, v85
	s_mov_b32 s21, exec_lo
	v_cmpx_gt_u32_e32 8, v85
; %bb.110:                              ;   in Loop: Header=BB309_10 Depth=1
	s_delay_alu instid0(VALU_DEP_3) | instskip(NEXT) | instid1(VALU_DEP_1)
	v_clz_i32_u32_e32 v83, v8
	v_min_u32_e32 v83, 32, v83
	s_delay_alu instid0(VALU_DEP_1) | instskip(SKIP_1) | instid1(VALU_DEP_2)
	v_subrev_nc_u32_e32 v85, 28, v83
	v_sub_nc_u32_e32 v83, 29, v83
	v_lshlrev_b64 v[85:86], v85, v[8:9]
	s_delay_alu instid0(VALU_DEP_1)
	v_and_b32_e32 v8, 7, v85
; %bb.111:                              ;   in Loop: Header=BB309_10 Depth=1
	s_or_b32 exec_lo, exec_lo, s21
	v_lshlrev_b32_e32 v85, 8, v84
	v_lshl_add_u32 v83, v83, 10, 0x2000
	s_delay_alu instid0(VALU_DEP_1) | instskip(NEXT) | instid1(VALU_DEP_1)
	v_and_or_b32 v83, 0x8000, v85, v83
	v_lshl_or_b32 v8, v8, 7, v83
	s_delay_alu instid0(VALU_DEP_1)
	v_cvt_f32_f16_e32 v83, v8
.LBB309_112:                            ;   in Loop: Header=BB309_10 Depth=1
	s_or_b32 exec_lo, exec_lo, s20
.LBB309_113:                            ;   in Loop: Header=BB309_10 Depth=1
	s_delay_alu instid0(SALU_CYCLE_1)
	s_or_b32 exec_lo, exec_lo, s19
.LBB309_114:                            ;   in Loop: Header=BB309_10 Depth=1
	s_delay_alu instid0(SALU_CYCLE_1) | instskip(NEXT) | instid1(VALU_DEP_2)
	s_or_b32 exec_lo, exec_lo, s3
	v_lshrrev_b16 v8, 8, v84
	v_dual_mov_b32 v85, 0 :: v_dual_mov_b32 v84, 0
	s_mov_b32 s3, exec_lo
	s_delay_alu instid0(VALU_DEP_2)
	v_cmpx_ne_u16_e32 0, v8
	s_cbranch_execz .LBB309_122
; %bb.115:                              ;   in Loop: Header=BB309_10 Depth=1
	v_bfrev_b32_e32 v84, 1
	s_mov_b32 s19, exec_lo
	v_cmpx_ne_u16_e32 0x80, v8
	s_cbranch_execz .LBB309_121
; %bb.116:                              ;   in Loop: Header=BB309_10 Depth=1
	v_and_b32_e32 v86, 0xffff, v8
	v_mov_b32_e32 v84, 0x7fc02000
	s_mov_b32 s20, exec_lo
	s_delay_alu instid0(VALU_DEP_2) | instskip(NEXT) | instid1(VALU_DEP_1)
	v_and_b32_e32 v87, 0x7f, v86
	v_cmpx_ne_u32_e32 0x7f, v87
	s_cbranch_execz .LBB309_120
; %bb.117:                              ;   in Loop: Header=BB309_10 Depth=1
	v_and_b32_e32 v8, 7, v86
	v_lshrrev_b32_e32 v84, 3, v87
	s_mov_b32 s21, exec_lo
	v_cmpx_gt_u32_e32 8, v87
; %bb.118:                              ;   in Loop: Header=BB309_10 Depth=1
	s_delay_alu instid0(VALU_DEP_3) | instskip(NEXT) | instid1(VALU_DEP_1)
	v_clz_i32_u32_e32 v84, v8
	v_min_u32_e32 v84, 32, v84
	s_delay_alu instid0(VALU_DEP_1) | instskip(SKIP_1) | instid1(VALU_DEP_2)
	v_subrev_nc_u32_e32 v87, 28, v84
	v_sub_nc_u32_e32 v84, 29, v84
	v_lshlrev_b64 v[96:97], v87, v[8:9]
	s_delay_alu instid0(VALU_DEP_1)
	v_and_b32_e32 v8, 7, v96
; %bb.119:                              ;   in Loop: Header=BB309_10 Depth=1
	s_or_b32 exec_lo, exec_lo, s21
	v_lshlrev_b32_e32 v86, 8, v86
	v_lshl_add_u32 v84, v84, 10, 0x2000
	s_delay_alu instid0(VALU_DEP_1) | instskip(NEXT) | instid1(VALU_DEP_1)
	v_and_or_b32 v84, 0x8000, v86, v84
	v_lshl_or_b32 v8, v8, 7, v84
	s_delay_alu instid0(VALU_DEP_1)
	v_cvt_f32_f16_e32 v84, v8
.LBB309_120:                            ;   in Loop: Header=BB309_10 Depth=1
	s_or_b32 exec_lo, exec_lo, s20
.LBB309_121:                            ;   in Loop: Header=BB309_10 Depth=1
	s_delay_alu instid0(SALU_CYCLE_1)
	s_or_b32 exec_lo, exec_lo, s19
.LBB309_122:                            ;   in Loop: Header=BB309_10 Depth=1
	s_delay_alu instid0(SALU_CYCLE_1)
	s_or_b32 exec_lo, exec_lo, s3
	flat_load_u16 v8, v[28:29] offset:392
	s_mov_b32 s3, exec_lo
	s_waitcnt vmcnt(0) lgkmcnt(0)
	v_and_b32_e32 v87, 0xff, v8
	v_and_b32_e32 v86, 0xffff, v8
	s_delay_alu instid0(VALU_DEP_2)
	v_cmpx_ne_u16_e32 0, v87
	s_cbranch_execz .LBB309_130
; %bb.123:                              ;   in Loop: Header=BB309_10 Depth=1
	s_delay_alu instid0(VALU_DEP_2) | instskip(SKIP_2) | instid1(VALU_DEP_2)
	v_and_b32_e32 v8, 0xff, v86
	v_bfrev_b32_e32 v85, 1
	s_mov_b32 s19, exec_lo
	v_cmpx_ne_u16_e32 0x80, v8
	s_cbranch_execz .LBB309_129
; %bb.124:                              ;   in Loop: Header=BB309_10 Depth=1
	v_and_b32_e32 v87, 0x7f, v86
	v_mov_b32_e32 v85, 0x7fc02000
	s_mov_b32 s20, exec_lo
	s_delay_alu instid0(VALU_DEP_2)
	v_cmpx_ne_u32_e32 0x7f, v87
	s_cbranch_execz .LBB309_128
; %bb.125:                              ;   in Loop: Header=BB309_10 Depth=1
	v_and_b32_e32 v8, 7, v86
	v_lshrrev_b32_e32 v85, 3, v87
	s_mov_b32 s21, exec_lo
	v_cmpx_gt_u32_e32 8, v87
; %bb.126:                              ;   in Loop: Header=BB309_10 Depth=1
	s_delay_alu instid0(VALU_DEP_3) | instskip(NEXT) | instid1(VALU_DEP_1)
	v_clz_i32_u32_e32 v85, v8
	v_min_u32_e32 v85, 32, v85
	s_delay_alu instid0(VALU_DEP_1) | instskip(SKIP_1) | instid1(VALU_DEP_2)
	v_subrev_nc_u32_e32 v87, 28, v85
	v_sub_nc_u32_e32 v85, 29, v85
	v_lshlrev_b64 v[96:97], v87, v[8:9]
	s_delay_alu instid0(VALU_DEP_1)
	v_and_b32_e32 v8, 7, v96
; %bb.127:                              ;   in Loop: Header=BB309_10 Depth=1
	s_or_b32 exec_lo, exec_lo, s21
	v_lshlrev_b32_e32 v87, 8, v86
	v_lshl_add_u32 v85, v85, 10, 0x2000
	s_delay_alu instid0(VALU_DEP_1) | instskip(NEXT) | instid1(VALU_DEP_1)
	v_and_or_b32 v85, 0x8000, v87, v85
	v_lshl_or_b32 v8, v8, 7, v85
	s_delay_alu instid0(VALU_DEP_1)
	v_cvt_f32_f16_e32 v85, v8
.LBB309_128:                            ;   in Loop: Header=BB309_10 Depth=1
	s_or_b32 exec_lo, exec_lo, s20
.LBB309_129:                            ;   in Loop: Header=BB309_10 Depth=1
	s_delay_alu instid0(SALU_CYCLE_1)
	s_or_b32 exec_lo, exec_lo, s19
.LBB309_130:                            ;   in Loop: Header=BB309_10 Depth=1
	s_delay_alu instid0(SALU_CYCLE_1) | instskip(NEXT) | instid1(VALU_DEP_2)
	s_or_b32 exec_lo, exec_lo, s3
	v_lshrrev_b16 v8, 8, v86
	v_dual_mov_b32 v87, 0 :: v_dual_mov_b32 v86, 0
	s_mov_b32 s3, exec_lo
	s_delay_alu instid0(VALU_DEP_2)
	v_cmpx_ne_u16_e32 0, v8
	s_cbranch_execz .LBB309_138
; %bb.131:                              ;   in Loop: Header=BB309_10 Depth=1
	v_bfrev_b32_e32 v86, 1
	s_mov_b32 s19, exec_lo
	v_cmpx_ne_u16_e32 0x80, v8
	s_cbranch_execz .LBB309_137
; %bb.132:                              ;   in Loop: Header=BB309_10 Depth=1
	v_and_b32_e32 v96, 0xffff, v8
	v_mov_b32_e32 v86, 0x7fc02000
	s_mov_b32 s20, exec_lo
	s_delay_alu instid0(VALU_DEP_2) | instskip(NEXT) | instid1(VALU_DEP_1)
	v_and_b32_e32 v97, 0x7f, v96
	v_cmpx_ne_u32_e32 0x7f, v97
	s_cbranch_execz .LBB309_136
; %bb.133:                              ;   in Loop: Header=BB309_10 Depth=1
	v_and_b32_e32 v8, 7, v96
	v_lshrrev_b32_e32 v86, 3, v97
	s_mov_b32 s21, exec_lo
	v_cmpx_gt_u32_e32 8, v97
; %bb.134:                              ;   in Loop: Header=BB309_10 Depth=1
	s_delay_alu instid0(VALU_DEP_3) | instskip(NEXT) | instid1(VALU_DEP_1)
	v_clz_i32_u32_e32 v86, v8
	v_min_u32_e32 v86, 32, v86
	s_delay_alu instid0(VALU_DEP_1) | instskip(SKIP_1) | instid1(VALU_DEP_2)
	v_subrev_nc_u32_e32 v97, 28, v86
	v_sub_nc_u32_e32 v86, 29, v86
	v_lshlrev_b64 v[97:98], v97, v[8:9]
	s_delay_alu instid0(VALU_DEP_1)
	v_and_b32_e32 v8, 7, v97
; %bb.135:                              ;   in Loop: Header=BB309_10 Depth=1
	s_or_b32 exec_lo, exec_lo, s21
	v_lshlrev_b32_e32 v96, 8, v96
	v_lshl_add_u32 v86, v86, 10, 0x2000
	s_delay_alu instid0(VALU_DEP_1) | instskip(NEXT) | instid1(VALU_DEP_1)
	v_and_or_b32 v86, 0x8000, v96, v86
	v_lshl_or_b32 v8, v8, 7, v86
	s_delay_alu instid0(VALU_DEP_1)
	v_cvt_f32_f16_e32 v86, v8
.LBB309_136:                            ;   in Loop: Header=BB309_10 Depth=1
	s_or_b32 exec_lo, exec_lo, s20
.LBB309_137:                            ;   in Loop: Header=BB309_10 Depth=1
	s_delay_alu instid0(SALU_CYCLE_1)
	s_or_b32 exec_lo, exec_lo, s19
.LBB309_138:                            ;   in Loop: Header=BB309_10 Depth=1
	s_delay_alu instid0(SALU_CYCLE_1)
	s_or_b32 exec_lo, exec_lo, s3
	flat_load_u16 v8, v[28:29] offset:512
	s_mov_b32 s3, exec_lo
	s_waitcnt vmcnt(0) lgkmcnt(0)
	v_and_b32_e32 v97, 0xff, v8
	v_and_b32_e32 v96, 0xffff, v8
	s_delay_alu instid0(VALU_DEP_2)
	v_cmpx_ne_u16_e32 0, v97
	s_cbranch_execz .LBB309_146
; %bb.139:                              ;   in Loop: Header=BB309_10 Depth=1
	s_delay_alu instid0(VALU_DEP_2) | instskip(SKIP_2) | instid1(VALU_DEP_2)
	v_and_b32_e32 v8, 0xff, v96
	v_bfrev_b32_e32 v87, 1
	s_mov_b32 s19, exec_lo
	v_cmpx_ne_u16_e32 0x80, v8
	s_cbranch_execz .LBB309_145
; %bb.140:                              ;   in Loop: Header=BB309_10 Depth=1
	v_and_b32_e32 v97, 0x7f, v96
	v_mov_b32_e32 v87, 0x7fc02000
	s_mov_b32 s20, exec_lo
	s_delay_alu instid0(VALU_DEP_2)
	v_cmpx_ne_u32_e32 0x7f, v97
	s_cbranch_execz .LBB309_144
; %bb.141:                              ;   in Loop: Header=BB309_10 Depth=1
	v_and_b32_e32 v8, 7, v96
	v_lshrrev_b32_e32 v87, 3, v97
	s_mov_b32 s21, exec_lo
	v_cmpx_gt_u32_e32 8, v97
; %bb.142:                              ;   in Loop: Header=BB309_10 Depth=1
	s_delay_alu instid0(VALU_DEP_3) | instskip(NEXT) | instid1(VALU_DEP_1)
	v_clz_i32_u32_e32 v87, v8
	v_min_u32_e32 v87, 32, v87
	s_delay_alu instid0(VALU_DEP_1) | instskip(SKIP_1) | instid1(VALU_DEP_2)
	v_subrev_nc_u32_e32 v97, 28, v87
	v_sub_nc_u32_e32 v87, 29, v87
	v_lshlrev_b64 v[97:98], v97, v[8:9]
	s_delay_alu instid0(VALU_DEP_1)
	v_and_b32_e32 v8, 7, v97
; %bb.143:                              ;   in Loop: Header=BB309_10 Depth=1
	s_or_b32 exec_lo, exec_lo, s21
	v_lshlrev_b32_e32 v97, 8, v96
	v_lshl_add_u32 v87, v87, 10, 0x2000
	s_delay_alu instid0(VALU_DEP_1) | instskip(NEXT) | instid1(VALU_DEP_1)
	v_and_or_b32 v87, 0x8000, v97, v87
	v_lshl_or_b32 v8, v8, 7, v87
	s_delay_alu instid0(VALU_DEP_1)
	v_cvt_f32_f16_e32 v87, v8
.LBB309_144:                            ;   in Loop: Header=BB309_10 Depth=1
	s_or_b32 exec_lo, exec_lo, s20
.LBB309_145:                            ;   in Loop: Header=BB309_10 Depth=1
	s_delay_alu instid0(SALU_CYCLE_1)
	s_or_b32 exec_lo, exec_lo, s19
.LBB309_146:                            ;   in Loop: Header=BB309_10 Depth=1
	s_delay_alu instid0(SALU_CYCLE_1) | instskip(NEXT) | instid1(VALU_DEP_2)
	s_or_b32 exec_lo, exec_lo, s3
	v_lshrrev_b16 v8, 8, v96
	v_dual_mov_b32 v97, 0 :: v_dual_mov_b32 v96, 0
	s_mov_b32 s3, exec_lo
	s_delay_alu instid0(VALU_DEP_2)
	v_cmpx_ne_u16_e32 0, v8
	s_cbranch_execz .LBB309_154
; %bb.147:                              ;   in Loop: Header=BB309_10 Depth=1
	v_bfrev_b32_e32 v96, 1
	s_mov_b32 s19, exec_lo
	v_cmpx_ne_u16_e32 0x80, v8
	s_cbranch_execz .LBB309_153
; %bb.148:                              ;   in Loop: Header=BB309_10 Depth=1
	v_and_b32_e32 v98, 0xffff, v8
	v_mov_b32_e32 v96, 0x7fc02000
	s_mov_b32 s20, exec_lo
	s_delay_alu instid0(VALU_DEP_2) | instskip(NEXT) | instid1(VALU_DEP_1)
	v_and_b32_e32 v99, 0x7f, v98
	v_cmpx_ne_u32_e32 0x7f, v99
	s_cbranch_execz .LBB309_152
; %bb.149:                              ;   in Loop: Header=BB309_10 Depth=1
	v_and_b32_e32 v8, 7, v98
	v_lshrrev_b32_e32 v96, 3, v99
	s_mov_b32 s21, exec_lo
	v_cmpx_gt_u32_e32 8, v99
; %bb.150:                              ;   in Loop: Header=BB309_10 Depth=1
	s_delay_alu instid0(VALU_DEP_3) | instskip(NEXT) | instid1(VALU_DEP_1)
	v_clz_i32_u32_e32 v96, v8
	v_min_u32_e32 v96, 32, v96
	s_delay_alu instid0(VALU_DEP_1) | instskip(SKIP_1) | instid1(VALU_DEP_2)
	v_subrev_nc_u32_e32 v99, 28, v96
	v_sub_nc_u32_e32 v96, 29, v96
	v_lshlrev_b64 v[99:100], v99, v[8:9]
	s_delay_alu instid0(VALU_DEP_1)
	v_and_b32_e32 v8, 7, v99
; %bb.151:                              ;   in Loop: Header=BB309_10 Depth=1
	s_or_b32 exec_lo, exec_lo, s21
	v_lshlrev_b32_e32 v98, 8, v98
	v_lshl_add_u32 v96, v96, 10, 0x2000
	s_delay_alu instid0(VALU_DEP_1) | instskip(NEXT) | instid1(VALU_DEP_1)
	v_and_or_b32 v96, 0x8000, v98, v96
	v_lshl_or_b32 v8, v8, 7, v96
	s_delay_alu instid0(VALU_DEP_1)
	v_cvt_f32_f16_e32 v96, v8
.LBB309_152:                            ;   in Loop: Header=BB309_10 Depth=1
	s_or_b32 exec_lo, exec_lo, s20
.LBB309_153:                            ;   in Loop: Header=BB309_10 Depth=1
	s_delay_alu instid0(SALU_CYCLE_1)
	s_or_b32 exec_lo, exec_lo, s19
.LBB309_154:                            ;   in Loop: Header=BB309_10 Depth=1
	s_delay_alu instid0(SALU_CYCLE_1)
	s_or_b32 exec_lo, exec_lo, s3
	flat_load_u16 v8, v[28:29] offset:520
	s_mov_b32 s3, exec_lo
	s_waitcnt vmcnt(0) lgkmcnt(0)
	v_and_b32_e32 v99, 0xff, v8
	v_and_b32_e32 v98, 0xffff, v8
	s_delay_alu instid0(VALU_DEP_2)
	v_cmpx_ne_u16_e32 0, v99
	s_cbranch_execz .LBB309_162
; %bb.155:                              ;   in Loop: Header=BB309_10 Depth=1
	s_delay_alu instid0(VALU_DEP_2) | instskip(SKIP_2) | instid1(VALU_DEP_2)
	v_and_b32_e32 v8, 0xff, v98
	v_bfrev_b32_e32 v97, 1
	s_mov_b32 s19, exec_lo
	v_cmpx_ne_u16_e32 0x80, v8
	s_cbranch_execz .LBB309_161
; %bb.156:                              ;   in Loop: Header=BB309_10 Depth=1
	v_and_b32_e32 v99, 0x7f, v98
	v_mov_b32_e32 v97, 0x7fc02000
	s_mov_b32 s20, exec_lo
	s_delay_alu instid0(VALU_DEP_2)
	v_cmpx_ne_u32_e32 0x7f, v99
	s_cbranch_execz .LBB309_160
; %bb.157:                              ;   in Loop: Header=BB309_10 Depth=1
	v_and_b32_e32 v8, 7, v98
	v_lshrrev_b32_e32 v97, 3, v99
	s_mov_b32 s21, exec_lo
	v_cmpx_gt_u32_e32 8, v99
; %bb.158:                              ;   in Loop: Header=BB309_10 Depth=1
	s_delay_alu instid0(VALU_DEP_3) | instskip(NEXT) | instid1(VALU_DEP_1)
	v_clz_i32_u32_e32 v97, v8
	v_min_u32_e32 v97, 32, v97
	s_delay_alu instid0(VALU_DEP_1) | instskip(SKIP_1) | instid1(VALU_DEP_2)
	v_subrev_nc_u32_e32 v99, 28, v97
	v_sub_nc_u32_e32 v97, 29, v97
	v_lshlrev_b64 v[99:100], v99, v[8:9]
	s_delay_alu instid0(VALU_DEP_1)
	v_and_b32_e32 v8, 7, v99
; %bb.159:                              ;   in Loop: Header=BB309_10 Depth=1
	s_or_b32 exec_lo, exec_lo, s21
	v_lshlrev_b32_e32 v99, 8, v98
	v_lshl_add_u32 v97, v97, 10, 0x2000
	s_delay_alu instid0(VALU_DEP_1) | instskip(NEXT) | instid1(VALU_DEP_1)
	v_and_or_b32 v97, 0x8000, v99, v97
	v_lshl_or_b32 v8, v8, 7, v97
	s_delay_alu instid0(VALU_DEP_1)
	v_cvt_f32_f16_e32 v97, v8
.LBB309_160:                            ;   in Loop: Header=BB309_10 Depth=1
	s_or_b32 exec_lo, exec_lo, s20
.LBB309_161:                            ;   in Loop: Header=BB309_10 Depth=1
	s_delay_alu instid0(SALU_CYCLE_1)
	s_or_b32 exec_lo, exec_lo, s19
.LBB309_162:                            ;   in Loop: Header=BB309_10 Depth=1
	s_delay_alu instid0(SALU_CYCLE_1) | instskip(NEXT) | instid1(VALU_DEP_2)
	s_or_b32 exec_lo, exec_lo, s3
	v_lshrrev_b16 v8, 8, v98
	v_dual_mov_b32 v99, 0 :: v_dual_mov_b32 v98, 0
	s_mov_b32 s3, exec_lo
	s_delay_alu instid0(VALU_DEP_2)
	v_cmpx_ne_u16_e32 0, v8
	s_cbranch_execz .LBB309_170
; %bb.163:                              ;   in Loop: Header=BB309_10 Depth=1
	v_bfrev_b32_e32 v98, 1
	s_mov_b32 s19, exec_lo
	v_cmpx_ne_u16_e32 0x80, v8
	s_cbranch_execz .LBB309_169
; %bb.164:                              ;   in Loop: Header=BB309_10 Depth=1
	v_and_b32_e32 v100, 0xffff, v8
	v_mov_b32_e32 v98, 0x7fc02000
	s_mov_b32 s20, exec_lo
	s_delay_alu instid0(VALU_DEP_2) | instskip(NEXT) | instid1(VALU_DEP_1)
	v_and_b32_e32 v101, 0x7f, v100
	v_cmpx_ne_u32_e32 0x7f, v101
	s_cbranch_execz .LBB309_168
; %bb.165:                              ;   in Loop: Header=BB309_10 Depth=1
	v_and_b32_e32 v8, 7, v100
	v_lshrrev_b32_e32 v98, 3, v101
	s_mov_b32 s21, exec_lo
	v_cmpx_gt_u32_e32 8, v101
; %bb.166:                              ;   in Loop: Header=BB309_10 Depth=1
	s_delay_alu instid0(VALU_DEP_3) | instskip(NEXT) | instid1(VALU_DEP_1)
	v_clz_i32_u32_e32 v98, v8
	v_min_u32_e32 v98, 32, v98
	s_delay_alu instid0(VALU_DEP_1) | instskip(SKIP_1) | instid1(VALU_DEP_2)
	v_subrev_nc_u32_e32 v101, 28, v98
	v_sub_nc_u32_e32 v98, 29, v98
	v_lshlrev_b64 v[101:102], v101, v[8:9]
	s_delay_alu instid0(VALU_DEP_1)
	v_and_b32_e32 v8, 7, v101
; %bb.167:                              ;   in Loop: Header=BB309_10 Depth=1
	s_or_b32 exec_lo, exec_lo, s21
	v_lshlrev_b32_e32 v100, 8, v100
	v_lshl_add_u32 v98, v98, 10, 0x2000
	s_delay_alu instid0(VALU_DEP_1) | instskip(NEXT) | instid1(VALU_DEP_1)
	v_and_or_b32 v98, 0x8000, v100, v98
	v_lshl_or_b32 v8, v8, 7, v98
	s_delay_alu instid0(VALU_DEP_1)
	v_cvt_f32_f16_e32 v98, v8
.LBB309_168:                            ;   in Loop: Header=BB309_10 Depth=1
	s_or_b32 exec_lo, exec_lo, s20
.LBB309_169:                            ;   in Loop: Header=BB309_10 Depth=1
	s_delay_alu instid0(SALU_CYCLE_1)
	s_or_b32 exec_lo, exec_lo, s19
.LBB309_170:                            ;   in Loop: Header=BB309_10 Depth=1
	s_delay_alu instid0(SALU_CYCLE_1)
	s_or_b32 exec_lo, exec_lo, s3
	flat_load_u16 v8, v[28:29] offset:640
	s_mov_b32 s3, exec_lo
	s_waitcnt vmcnt(0) lgkmcnt(0)
	v_and_b32_e32 v101, 0xff, v8
	v_and_b32_e32 v100, 0xffff, v8
	s_delay_alu instid0(VALU_DEP_2)
	v_cmpx_ne_u16_e32 0, v101
	s_cbranch_execz .LBB309_178
; %bb.171:                              ;   in Loop: Header=BB309_10 Depth=1
	s_delay_alu instid0(VALU_DEP_2) | instskip(SKIP_2) | instid1(VALU_DEP_2)
	v_and_b32_e32 v8, 0xff, v100
	v_bfrev_b32_e32 v99, 1
	s_mov_b32 s19, exec_lo
	v_cmpx_ne_u16_e32 0x80, v8
	s_cbranch_execz .LBB309_177
; %bb.172:                              ;   in Loop: Header=BB309_10 Depth=1
	v_and_b32_e32 v101, 0x7f, v100
	v_mov_b32_e32 v99, 0x7fc02000
	s_mov_b32 s20, exec_lo
	s_delay_alu instid0(VALU_DEP_2)
	v_cmpx_ne_u32_e32 0x7f, v101
	s_cbranch_execz .LBB309_176
; %bb.173:                              ;   in Loop: Header=BB309_10 Depth=1
	v_and_b32_e32 v8, 7, v100
	v_lshrrev_b32_e32 v99, 3, v101
	s_mov_b32 s21, exec_lo
	v_cmpx_gt_u32_e32 8, v101
; %bb.174:                              ;   in Loop: Header=BB309_10 Depth=1
	s_delay_alu instid0(VALU_DEP_3) | instskip(NEXT) | instid1(VALU_DEP_1)
	v_clz_i32_u32_e32 v99, v8
	v_min_u32_e32 v99, 32, v99
	s_delay_alu instid0(VALU_DEP_1) | instskip(SKIP_1) | instid1(VALU_DEP_2)
	v_subrev_nc_u32_e32 v101, 28, v99
	v_sub_nc_u32_e32 v99, 29, v99
	v_lshlrev_b64 v[101:102], v101, v[8:9]
	s_delay_alu instid0(VALU_DEP_1)
	v_and_b32_e32 v8, 7, v101
; %bb.175:                              ;   in Loop: Header=BB309_10 Depth=1
	s_or_b32 exec_lo, exec_lo, s21
	v_lshlrev_b32_e32 v101, 8, v100
	v_lshl_add_u32 v99, v99, 10, 0x2000
	s_delay_alu instid0(VALU_DEP_1) | instskip(NEXT) | instid1(VALU_DEP_1)
	v_and_or_b32 v99, 0x8000, v101, v99
	v_lshl_or_b32 v8, v8, 7, v99
	s_delay_alu instid0(VALU_DEP_1)
	v_cvt_f32_f16_e32 v99, v8
.LBB309_176:                            ;   in Loop: Header=BB309_10 Depth=1
	s_or_b32 exec_lo, exec_lo, s20
.LBB309_177:                            ;   in Loop: Header=BB309_10 Depth=1
	s_delay_alu instid0(SALU_CYCLE_1)
	s_or_b32 exec_lo, exec_lo, s19
.LBB309_178:                            ;   in Loop: Header=BB309_10 Depth=1
	s_delay_alu instid0(SALU_CYCLE_1) | instskip(NEXT) | instid1(VALU_DEP_2)
	s_or_b32 exec_lo, exec_lo, s3
	v_lshrrev_b16 v8, 8, v100
	v_dual_mov_b32 v101, 0 :: v_dual_mov_b32 v100, 0
	s_mov_b32 s3, exec_lo
	s_delay_alu instid0(VALU_DEP_2)
	v_cmpx_ne_u16_e32 0, v8
	s_cbranch_execz .LBB309_186
; %bb.179:                              ;   in Loop: Header=BB309_10 Depth=1
	v_bfrev_b32_e32 v100, 1
	s_mov_b32 s19, exec_lo
	v_cmpx_ne_u16_e32 0x80, v8
	s_cbranch_execz .LBB309_185
; %bb.180:                              ;   in Loop: Header=BB309_10 Depth=1
	v_and_b32_e32 v102, 0xffff, v8
	v_mov_b32_e32 v100, 0x7fc02000
	s_mov_b32 s20, exec_lo
	s_delay_alu instid0(VALU_DEP_2) | instskip(NEXT) | instid1(VALU_DEP_1)
	v_and_b32_e32 v103, 0x7f, v102
	v_cmpx_ne_u32_e32 0x7f, v103
	s_cbranch_execz .LBB309_184
; %bb.181:                              ;   in Loop: Header=BB309_10 Depth=1
	v_and_b32_e32 v8, 7, v102
	v_lshrrev_b32_e32 v100, 3, v103
	s_mov_b32 s21, exec_lo
	v_cmpx_gt_u32_e32 8, v103
; %bb.182:                              ;   in Loop: Header=BB309_10 Depth=1
	s_delay_alu instid0(VALU_DEP_3) | instskip(NEXT) | instid1(VALU_DEP_1)
	v_clz_i32_u32_e32 v100, v8
	v_min_u32_e32 v100, 32, v100
	s_delay_alu instid0(VALU_DEP_1) | instskip(SKIP_1) | instid1(VALU_DEP_2)
	v_subrev_nc_u32_e32 v103, 28, v100
	v_sub_nc_u32_e32 v100, 29, v100
	v_lshlrev_b64 v[112:113], v103, v[8:9]
	s_delay_alu instid0(VALU_DEP_1)
	v_and_b32_e32 v8, 7, v112
; %bb.183:                              ;   in Loop: Header=BB309_10 Depth=1
	s_or_b32 exec_lo, exec_lo, s21
	v_lshlrev_b32_e32 v102, 8, v102
	v_lshl_add_u32 v100, v100, 10, 0x2000
	s_delay_alu instid0(VALU_DEP_1) | instskip(NEXT) | instid1(VALU_DEP_1)
	v_and_or_b32 v100, 0x8000, v102, v100
	v_lshl_or_b32 v8, v8, 7, v100
	s_delay_alu instid0(VALU_DEP_1)
	v_cvt_f32_f16_e32 v100, v8
.LBB309_184:                            ;   in Loop: Header=BB309_10 Depth=1
	s_or_b32 exec_lo, exec_lo, s20
.LBB309_185:                            ;   in Loop: Header=BB309_10 Depth=1
	s_delay_alu instid0(SALU_CYCLE_1)
	s_or_b32 exec_lo, exec_lo, s19
.LBB309_186:                            ;   in Loop: Header=BB309_10 Depth=1
	s_delay_alu instid0(SALU_CYCLE_1)
	s_or_b32 exec_lo, exec_lo, s3
	flat_load_u16 v8, v[28:29] offset:648
	s_mov_b32 s3, exec_lo
	s_waitcnt vmcnt(0) lgkmcnt(0)
	v_and_b32_e32 v103, 0xff, v8
	v_and_b32_e32 v102, 0xffff, v8
	s_delay_alu instid0(VALU_DEP_2)
	v_cmpx_ne_u16_e32 0, v103
	s_cbranch_execz .LBB309_194
; %bb.187:                              ;   in Loop: Header=BB309_10 Depth=1
	s_delay_alu instid0(VALU_DEP_2) | instskip(SKIP_2) | instid1(VALU_DEP_2)
	v_and_b32_e32 v8, 0xff, v102
	v_bfrev_b32_e32 v101, 1
	s_mov_b32 s19, exec_lo
	v_cmpx_ne_u16_e32 0x80, v8
	s_cbranch_execz .LBB309_193
; %bb.188:                              ;   in Loop: Header=BB309_10 Depth=1
	v_and_b32_e32 v103, 0x7f, v102
	v_mov_b32_e32 v101, 0x7fc02000
	s_mov_b32 s20, exec_lo
	s_delay_alu instid0(VALU_DEP_2)
	v_cmpx_ne_u32_e32 0x7f, v103
	s_cbranch_execz .LBB309_192
; %bb.189:                              ;   in Loop: Header=BB309_10 Depth=1
	v_and_b32_e32 v8, 7, v102
	v_lshrrev_b32_e32 v101, 3, v103
	s_mov_b32 s21, exec_lo
	v_cmpx_gt_u32_e32 8, v103
; %bb.190:                              ;   in Loop: Header=BB309_10 Depth=1
	s_delay_alu instid0(VALU_DEP_3) | instskip(NEXT) | instid1(VALU_DEP_1)
	v_clz_i32_u32_e32 v101, v8
	v_min_u32_e32 v101, 32, v101
	s_delay_alu instid0(VALU_DEP_1) | instskip(SKIP_1) | instid1(VALU_DEP_2)
	v_subrev_nc_u32_e32 v103, 28, v101
	v_sub_nc_u32_e32 v101, 29, v101
	v_lshlrev_b64 v[112:113], v103, v[8:9]
	s_delay_alu instid0(VALU_DEP_1)
	v_and_b32_e32 v8, 7, v112
; %bb.191:                              ;   in Loop: Header=BB309_10 Depth=1
	s_or_b32 exec_lo, exec_lo, s21
	v_lshlrev_b32_e32 v103, 8, v102
	v_lshl_add_u32 v101, v101, 10, 0x2000
	s_delay_alu instid0(VALU_DEP_1) | instskip(NEXT) | instid1(VALU_DEP_1)
	v_and_or_b32 v101, 0x8000, v103, v101
	v_lshl_or_b32 v8, v8, 7, v101
	s_delay_alu instid0(VALU_DEP_1)
	v_cvt_f32_f16_e32 v101, v8
.LBB309_192:                            ;   in Loop: Header=BB309_10 Depth=1
	s_or_b32 exec_lo, exec_lo, s20
.LBB309_193:                            ;   in Loop: Header=BB309_10 Depth=1
	s_delay_alu instid0(SALU_CYCLE_1)
	s_or_b32 exec_lo, exec_lo, s19
.LBB309_194:                            ;   in Loop: Header=BB309_10 Depth=1
	s_delay_alu instid0(SALU_CYCLE_1) | instskip(NEXT) | instid1(VALU_DEP_2)
	s_or_b32 exec_lo, exec_lo, s3
	v_lshrrev_b16 v8, 8, v102
	v_dual_mov_b32 v103, 0 :: v_dual_mov_b32 v102, 0
	s_mov_b32 s3, exec_lo
	s_delay_alu instid0(VALU_DEP_2)
	v_cmpx_ne_u16_e32 0, v8
	s_cbranch_execz .LBB309_202
; %bb.195:                              ;   in Loop: Header=BB309_10 Depth=1
	v_bfrev_b32_e32 v102, 1
	s_mov_b32 s19, exec_lo
	v_cmpx_ne_u16_e32 0x80, v8
	s_cbranch_execz .LBB309_201
; %bb.196:                              ;   in Loop: Header=BB309_10 Depth=1
	v_and_b32_e32 v112, 0xffff, v8
	v_mov_b32_e32 v102, 0x7fc02000
	s_mov_b32 s20, exec_lo
	s_delay_alu instid0(VALU_DEP_2) | instskip(NEXT) | instid1(VALU_DEP_1)
	v_and_b32_e32 v113, 0x7f, v112
	v_cmpx_ne_u32_e32 0x7f, v113
	s_cbranch_execz .LBB309_200
; %bb.197:                              ;   in Loop: Header=BB309_10 Depth=1
	v_and_b32_e32 v8, 7, v112
	v_lshrrev_b32_e32 v102, 3, v113
	s_mov_b32 s21, exec_lo
	v_cmpx_gt_u32_e32 8, v113
; %bb.198:                              ;   in Loop: Header=BB309_10 Depth=1
	s_delay_alu instid0(VALU_DEP_3) | instskip(NEXT) | instid1(VALU_DEP_1)
	v_clz_i32_u32_e32 v102, v8
	v_min_u32_e32 v102, 32, v102
	s_delay_alu instid0(VALU_DEP_1) | instskip(SKIP_1) | instid1(VALU_DEP_2)
	v_subrev_nc_u32_e32 v113, 28, v102
	v_sub_nc_u32_e32 v102, 29, v102
	v_lshlrev_b64 v[113:114], v113, v[8:9]
	s_delay_alu instid0(VALU_DEP_1)
	v_and_b32_e32 v8, 7, v113
; %bb.199:                              ;   in Loop: Header=BB309_10 Depth=1
	s_or_b32 exec_lo, exec_lo, s21
	v_lshlrev_b32_e32 v112, 8, v112
	v_lshl_add_u32 v102, v102, 10, 0x2000
	s_delay_alu instid0(VALU_DEP_1) | instskip(NEXT) | instid1(VALU_DEP_1)
	v_and_or_b32 v102, 0x8000, v112, v102
	v_lshl_or_b32 v8, v8, 7, v102
	s_delay_alu instid0(VALU_DEP_1)
	v_cvt_f32_f16_e32 v102, v8
.LBB309_200:                            ;   in Loop: Header=BB309_10 Depth=1
	s_or_b32 exec_lo, exec_lo, s20
.LBB309_201:                            ;   in Loop: Header=BB309_10 Depth=1
	s_delay_alu instid0(SALU_CYCLE_1)
	s_or_b32 exec_lo, exec_lo, s19
.LBB309_202:                            ;   in Loop: Header=BB309_10 Depth=1
	s_delay_alu instid0(SALU_CYCLE_1)
	s_or_b32 exec_lo, exec_lo, s3
	flat_load_u16 v8, v[28:29] offset:768
	s_mov_b32 s3, exec_lo
	s_waitcnt vmcnt(0) lgkmcnt(0)
	v_and_b32_e32 v113, 0xff, v8
	v_and_b32_e32 v112, 0xffff, v8
	s_delay_alu instid0(VALU_DEP_2)
	v_cmpx_ne_u16_e32 0, v113
	s_cbranch_execz .LBB309_210
; %bb.203:                              ;   in Loop: Header=BB309_10 Depth=1
	s_delay_alu instid0(VALU_DEP_2) | instskip(SKIP_2) | instid1(VALU_DEP_2)
	v_and_b32_e32 v8, 0xff, v112
	v_bfrev_b32_e32 v103, 1
	s_mov_b32 s19, exec_lo
	v_cmpx_ne_u16_e32 0x80, v8
	s_cbranch_execz .LBB309_209
; %bb.204:                              ;   in Loop: Header=BB309_10 Depth=1
	v_and_b32_e32 v113, 0x7f, v112
	v_mov_b32_e32 v103, 0x7fc02000
	s_mov_b32 s20, exec_lo
	s_delay_alu instid0(VALU_DEP_2)
	v_cmpx_ne_u32_e32 0x7f, v113
	s_cbranch_execz .LBB309_208
; %bb.205:                              ;   in Loop: Header=BB309_10 Depth=1
	v_and_b32_e32 v8, 7, v112
	v_lshrrev_b32_e32 v103, 3, v113
	s_mov_b32 s21, exec_lo
	v_cmpx_gt_u32_e32 8, v113
; %bb.206:                              ;   in Loop: Header=BB309_10 Depth=1
	s_delay_alu instid0(VALU_DEP_3) | instskip(NEXT) | instid1(VALU_DEP_1)
	v_clz_i32_u32_e32 v103, v8
	v_min_u32_e32 v103, 32, v103
	s_delay_alu instid0(VALU_DEP_1) | instskip(SKIP_1) | instid1(VALU_DEP_2)
	v_subrev_nc_u32_e32 v113, 28, v103
	v_sub_nc_u32_e32 v103, 29, v103
	v_lshlrev_b64 v[113:114], v113, v[8:9]
	s_delay_alu instid0(VALU_DEP_1)
	v_and_b32_e32 v8, 7, v113
; %bb.207:                              ;   in Loop: Header=BB309_10 Depth=1
	s_or_b32 exec_lo, exec_lo, s21
	v_lshlrev_b32_e32 v113, 8, v112
	v_lshl_add_u32 v103, v103, 10, 0x2000
	s_delay_alu instid0(VALU_DEP_1) | instskip(NEXT) | instid1(VALU_DEP_1)
	v_and_or_b32 v103, 0x8000, v113, v103
	v_lshl_or_b32 v8, v8, 7, v103
	s_delay_alu instid0(VALU_DEP_1)
	v_cvt_f32_f16_e32 v103, v8
.LBB309_208:                            ;   in Loop: Header=BB309_10 Depth=1
	s_or_b32 exec_lo, exec_lo, s20
.LBB309_209:                            ;   in Loop: Header=BB309_10 Depth=1
	s_delay_alu instid0(SALU_CYCLE_1)
	s_or_b32 exec_lo, exec_lo, s19
.LBB309_210:                            ;   in Loop: Header=BB309_10 Depth=1
	s_delay_alu instid0(SALU_CYCLE_1) | instskip(NEXT) | instid1(VALU_DEP_2)
	s_or_b32 exec_lo, exec_lo, s3
	v_lshrrev_b16 v8, 8, v112
	v_dual_mov_b32 v113, 0 :: v_dual_mov_b32 v112, 0
	s_mov_b32 s3, exec_lo
	s_delay_alu instid0(VALU_DEP_2)
	v_cmpx_ne_u16_e32 0, v8
	s_cbranch_execz .LBB309_218
; %bb.211:                              ;   in Loop: Header=BB309_10 Depth=1
	v_bfrev_b32_e32 v112, 1
	s_mov_b32 s19, exec_lo
	v_cmpx_ne_u16_e32 0x80, v8
	s_cbranch_execz .LBB309_217
; %bb.212:                              ;   in Loop: Header=BB309_10 Depth=1
	v_and_b32_e32 v114, 0xffff, v8
	v_mov_b32_e32 v112, 0x7fc02000
	s_mov_b32 s20, exec_lo
	s_delay_alu instid0(VALU_DEP_2) | instskip(NEXT) | instid1(VALU_DEP_1)
	v_and_b32_e32 v115, 0x7f, v114
	v_cmpx_ne_u32_e32 0x7f, v115
	s_cbranch_execz .LBB309_216
; %bb.213:                              ;   in Loop: Header=BB309_10 Depth=1
	v_and_b32_e32 v8, 7, v114
	v_lshrrev_b32_e32 v112, 3, v115
	s_mov_b32 s21, exec_lo
	v_cmpx_gt_u32_e32 8, v115
; %bb.214:                              ;   in Loop: Header=BB309_10 Depth=1
	s_delay_alu instid0(VALU_DEP_3) | instskip(NEXT) | instid1(VALU_DEP_1)
	v_clz_i32_u32_e32 v112, v8
	v_min_u32_e32 v112, 32, v112
	s_delay_alu instid0(VALU_DEP_1) | instskip(SKIP_1) | instid1(VALU_DEP_2)
	v_subrev_nc_u32_e32 v115, 28, v112
	v_sub_nc_u32_e32 v112, 29, v112
	v_lshlrev_b64 v[115:116], v115, v[8:9]
	s_delay_alu instid0(VALU_DEP_1)
	v_and_b32_e32 v8, 7, v115
; %bb.215:                              ;   in Loop: Header=BB309_10 Depth=1
	s_or_b32 exec_lo, exec_lo, s21
	v_lshlrev_b32_e32 v114, 8, v114
	v_lshl_add_u32 v112, v112, 10, 0x2000
	s_delay_alu instid0(VALU_DEP_1) | instskip(NEXT) | instid1(VALU_DEP_1)
	v_and_or_b32 v112, 0x8000, v114, v112
	v_lshl_or_b32 v8, v8, 7, v112
	s_delay_alu instid0(VALU_DEP_1)
	v_cvt_f32_f16_e32 v112, v8
.LBB309_216:                            ;   in Loop: Header=BB309_10 Depth=1
	s_or_b32 exec_lo, exec_lo, s20
.LBB309_217:                            ;   in Loop: Header=BB309_10 Depth=1
	s_delay_alu instid0(SALU_CYCLE_1)
	s_or_b32 exec_lo, exec_lo, s19
.LBB309_218:                            ;   in Loop: Header=BB309_10 Depth=1
	s_delay_alu instid0(SALU_CYCLE_1)
	s_or_b32 exec_lo, exec_lo, s3
	flat_load_u16 v8, v[28:29] offset:776
	s_mov_b32 s3, exec_lo
	s_waitcnt vmcnt(0) lgkmcnt(0)
	v_and_b32_e32 v115, 0xff, v8
	v_and_b32_e32 v114, 0xffff, v8
	s_delay_alu instid0(VALU_DEP_2)
	v_cmpx_ne_u16_e32 0, v115
	s_cbranch_execz .LBB309_226
; %bb.219:                              ;   in Loop: Header=BB309_10 Depth=1
	s_delay_alu instid0(VALU_DEP_2) | instskip(SKIP_2) | instid1(VALU_DEP_2)
	v_and_b32_e32 v8, 0xff, v114
	v_bfrev_b32_e32 v113, 1
	s_mov_b32 s19, exec_lo
	v_cmpx_ne_u16_e32 0x80, v8
	s_cbranch_execz .LBB309_225
; %bb.220:                              ;   in Loop: Header=BB309_10 Depth=1
	v_and_b32_e32 v115, 0x7f, v114
	v_mov_b32_e32 v113, 0x7fc02000
	s_mov_b32 s20, exec_lo
	s_delay_alu instid0(VALU_DEP_2)
	v_cmpx_ne_u32_e32 0x7f, v115
	s_cbranch_execz .LBB309_224
; %bb.221:                              ;   in Loop: Header=BB309_10 Depth=1
	v_and_b32_e32 v8, 7, v114
	v_lshrrev_b32_e32 v113, 3, v115
	s_mov_b32 s21, exec_lo
	v_cmpx_gt_u32_e32 8, v115
; %bb.222:                              ;   in Loop: Header=BB309_10 Depth=1
	s_delay_alu instid0(VALU_DEP_3) | instskip(NEXT) | instid1(VALU_DEP_1)
	v_clz_i32_u32_e32 v113, v8
	v_min_u32_e32 v113, 32, v113
	s_delay_alu instid0(VALU_DEP_1) | instskip(SKIP_1) | instid1(VALU_DEP_2)
	v_subrev_nc_u32_e32 v115, 28, v113
	v_sub_nc_u32_e32 v113, 29, v113
	v_lshlrev_b64 v[115:116], v115, v[8:9]
	s_delay_alu instid0(VALU_DEP_1)
	v_and_b32_e32 v8, 7, v115
; %bb.223:                              ;   in Loop: Header=BB309_10 Depth=1
	s_or_b32 exec_lo, exec_lo, s21
	v_lshlrev_b32_e32 v115, 8, v114
	v_lshl_add_u32 v113, v113, 10, 0x2000
	s_delay_alu instid0(VALU_DEP_1) | instskip(NEXT) | instid1(VALU_DEP_1)
	v_and_or_b32 v113, 0x8000, v115, v113
	v_lshl_or_b32 v8, v8, 7, v113
	s_delay_alu instid0(VALU_DEP_1)
	v_cvt_f32_f16_e32 v113, v8
.LBB309_224:                            ;   in Loop: Header=BB309_10 Depth=1
	s_or_b32 exec_lo, exec_lo, s20
.LBB309_225:                            ;   in Loop: Header=BB309_10 Depth=1
	s_delay_alu instid0(SALU_CYCLE_1)
	s_or_b32 exec_lo, exec_lo, s19
.LBB309_226:                            ;   in Loop: Header=BB309_10 Depth=1
	s_delay_alu instid0(SALU_CYCLE_1) | instskip(NEXT) | instid1(VALU_DEP_2)
	s_or_b32 exec_lo, exec_lo, s3
	v_lshrrev_b16 v8, 8, v114
	v_dual_mov_b32 v115, 0 :: v_dual_mov_b32 v114, 0
	s_mov_b32 s3, exec_lo
	s_delay_alu instid0(VALU_DEP_2)
	v_cmpx_ne_u16_e32 0, v8
	s_cbranch_execz .LBB309_234
; %bb.227:                              ;   in Loop: Header=BB309_10 Depth=1
	v_bfrev_b32_e32 v114, 1
	s_mov_b32 s19, exec_lo
	v_cmpx_ne_u16_e32 0x80, v8
	s_cbranch_execz .LBB309_233
; %bb.228:                              ;   in Loop: Header=BB309_10 Depth=1
	v_and_b32_e32 v116, 0xffff, v8
	v_mov_b32_e32 v114, 0x7fc02000
	s_mov_b32 s20, exec_lo
	s_delay_alu instid0(VALU_DEP_2) | instskip(NEXT) | instid1(VALU_DEP_1)
	v_and_b32_e32 v117, 0x7f, v116
	v_cmpx_ne_u32_e32 0x7f, v117
	s_cbranch_execz .LBB309_232
; %bb.229:                              ;   in Loop: Header=BB309_10 Depth=1
	v_and_b32_e32 v8, 7, v116
	v_lshrrev_b32_e32 v114, 3, v117
	s_mov_b32 s21, exec_lo
	v_cmpx_gt_u32_e32 8, v117
; %bb.230:                              ;   in Loop: Header=BB309_10 Depth=1
	s_delay_alu instid0(VALU_DEP_3) | instskip(NEXT) | instid1(VALU_DEP_1)
	v_clz_i32_u32_e32 v114, v8
	v_min_u32_e32 v114, 32, v114
	s_delay_alu instid0(VALU_DEP_1) | instskip(SKIP_1) | instid1(VALU_DEP_2)
	v_subrev_nc_u32_e32 v117, 28, v114
	v_sub_nc_u32_e32 v114, 29, v114
	v_lshlrev_b64 v[117:118], v117, v[8:9]
	s_delay_alu instid0(VALU_DEP_1)
	v_and_b32_e32 v8, 7, v117
; %bb.231:                              ;   in Loop: Header=BB309_10 Depth=1
	s_or_b32 exec_lo, exec_lo, s21
	v_lshlrev_b32_e32 v116, 8, v116
	v_lshl_add_u32 v114, v114, 10, 0x2000
	s_delay_alu instid0(VALU_DEP_1) | instskip(NEXT) | instid1(VALU_DEP_1)
	v_and_or_b32 v114, 0x8000, v116, v114
	v_lshl_or_b32 v8, v8, 7, v114
	s_delay_alu instid0(VALU_DEP_1)
	v_cvt_f32_f16_e32 v114, v8
.LBB309_232:                            ;   in Loop: Header=BB309_10 Depth=1
	s_or_b32 exec_lo, exec_lo, s20
.LBB309_233:                            ;   in Loop: Header=BB309_10 Depth=1
	s_delay_alu instid0(SALU_CYCLE_1)
	s_or_b32 exec_lo, exec_lo, s19
.LBB309_234:                            ;   in Loop: Header=BB309_10 Depth=1
	s_delay_alu instid0(SALU_CYCLE_1)
	s_or_b32 exec_lo, exec_lo, s3
	flat_load_u16 v8, v[28:29] offset:896
	s_mov_b32 s3, exec_lo
	s_waitcnt vmcnt(0) lgkmcnt(0)
	v_and_b32_e32 v117, 0xff, v8
	v_and_b32_e32 v116, 0xffff, v8
	s_delay_alu instid0(VALU_DEP_2)
	v_cmpx_ne_u16_e32 0, v117
	s_cbranch_execz .LBB309_242
; %bb.235:                              ;   in Loop: Header=BB309_10 Depth=1
	s_delay_alu instid0(VALU_DEP_2) | instskip(SKIP_2) | instid1(VALU_DEP_2)
	v_and_b32_e32 v8, 0xff, v116
	v_bfrev_b32_e32 v115, 1
	s_mov_b32 s19, exec_lo
	v_cmpx_ne_u16_e32 0x80, v8
	s_cbranch_execz .LBB309_241
; %bb.236:                              ;   in Loop: Header=BB309_10 Depth=1
	v_and_b32_e32 v117, 0x7f, v116
	v_mov_b32_e32 v115, 0x7fc02000
	s_mov_b32 s20, exec_lo
	s_delay_alu instid0(VALU_DEP_2)
	v_cmpx_ne_u32_e32 0x7f, v117
	s_cbranch_execz .LBB309_240
; %bb.237:                              ;   in Loop: Header=BB309_10 Depth=1
	v_and_b32_e32 v8, 7, v116
	v_lshrrev_b32_e32 v115, 3, v117
	s_mov_b32 s21, exec_lo
	v_cmpx_gt_u32_e32 8, v117
; %bb.238:                              ;   in Loop: Header=BB309_10 Depth=1
	s_delay_alu instid0(VALU_DEP_3) | instskip(NEXT) | instid1(VALU_DEP_1)
	v_clz_i32_u32_e32 v115, v8
	v_min_u32_e32 v115, 32, v115
	s_delay_alu instid0(VALU_DEP_1) | instskip(SKIP_1) | instid1(VALU_DEP_2)
	v_subrev_nc_u32_e32 v117, 28, v115
	v_sub_nc_u32_e32 v115, 29, v115
	v_lshlrev_b64 v[117:118], v117, v[8:9]
	s_delay_alu instid0(VALU_DEP_1)
	v_and_b32_e32 v8, 7, v117
; %bb.239:                              ;   in Loop: Header=BB309_10 Depth=1
	s_or_b32 exec_lo, exec_lo, s21
	v_lshlrev_b32_e32 v117, 8, v116
	v_lshl_add_u32 v115, v115, 10, 0x2000
	s_delay_alu instid0(VALU_DEP_1) | instskip(NEXT) | instid1(VALU_DEP_1)
	v_and_or_b32 v115, 0x8000, v117, v115
	v_lshl_or_b32 v8, v8, 7, v115
	s_delay_alu instid0(VALU_DEP_1)
	v_cvt_f32_f16_e32 v115, v8
.LBB309_240:                            ;   in Loop: Header=BB309_10 Depth=1
	s_or_b32 exec_lo, exec_lo, s20
.LBB309_241:                            ;   in Loop: Header=BB309_10 Depth=1
	s_delay_alu instid0(SALU_CYCLE_1)
	s_or_b32 exec_lo, exec_lo, s19
.LBB309_242:                            ;   in Loop: Header=BB309_10 Depth=1
	s_delay_alu instid0(SALU_CYCLE_1) | instskip(NEXT) | instid1(VALU_DEP_2)
	s_or_b32 exec_lo, exec_lo, s3
	v_lshrrev_b16 v8, 8, v116
	v_dual_mov_b32 v117, 0 :: v_dual_mov_b32 v116, 0
	s_mov_b32 s3, exec_lo
	s_delay_alu instid0(VALU_DEP_2)
	v_cmpx_ne_u16_e32 0, v8
	s_cbranch_execz .LBB309_250
; %bb.243:                              ;   in Loop: Header=BB309_10 Depth=1
	v_bfrev_b32_e32 v116, 1
	s_mov_b32 s19, exec_lo
	v_cmpx_ne_u16_e32 0x80, v8
	s_cbranch_execz .LBB309_249
; %bb.244:                              ;   in Loop: Header=BB309_10 Depth=1
	v_and_b32_e32 v118, 0xffff, v8
	v_mov_b32_e32 v116, 0x7fc02000
	s_mov_b32 s20, exec_lo
	s_delay_alu instid0(VALU_DEP_2) | instskip(NEXT) | instid1(VALU_DEP_1)
	v_and_b32_e32 v119, 0x7f, v118
	v_cmpx_ne_u32_e32 0x7f, v119
	s_cbranch_execz .LBB309_248
; %bb.245:                              ;   in Loop: Header=BB309_10 Depth=1
	v_and_b32_e32 v8, 7, v118
	v_lshrrev_b32_e32 v116, 3, v119
	s_mov_b32 s21, exec_lo
	v_cmpx_gt_u32_e32 8, v119
; %bb.246:                              ;   in Loop: Header=BB309_10 Depth=1
	s_delay_alu instid0(VALU_DEP_3) | instskip(NEXT) | instid1(VALU_DEP_1)
	v_clz_i32_u32_e32 v116, v8
	v_min_u32_e32 v116, 32, v116
	s_delay_alu instid0(VALU_DEP_1) | instskip(SKIP_1) | instid1(VALU_DEP_2)
	v_subrev_nc_u32_e32 v119, 28, v116
	v_sub_nc_u32_e32 v116, 29, v116
	v_lshlrev_b64 v[128:129], v119, v[8:9]
	s_delay_alu instid0(VALU_DEP_1)
	v_and_b32_e32 v8, 7, v128
; %bb.247:                              ;   in Loop: Header=BB309_10 Depth=1
	s_or_b32 exec_lo, exec_lo, s21
	v_lshlrev_b32_e32 v118, 8, v118
	v_lshl_add_u32 v116, v116, 10, 0x2000
	s_delay_alu instid0(VALU_DEP_1) | instskip(NEXT) | instid1(VALU_DEP_1)
	v_and_or_b32 v116, 0x8000, v118, v116
	v_lshl_or_b32 v8, v8, 7, v116
	s_delay_alu instid0(VALU_DEP_1)
	v_cvt_f32_f16_e32 v116, v8
.LBB309_248:                            ;   in Loop: Header=BB309_10 Depth=1
	s_or_b32 exec_lo, exec_lo, s20
.LBB309_249:                            ;   in Loop: Header=BB309_10 Depth=1
	s_delay_alu instid0(SALU_CYCLE_1)
	s_or_b32 exec_lo, exec_lo, s19
.LBB309_250:                            ;   in Loop: Header=BB309_10 Depth=1
	s_delay_alu instid0(SALU_CYCLE_1)
	s_or_b32 exec_lo, exec_lo, s3
	flat_load_u16 v8, v[28:29] offset:904
	s_mov_b32 s3, exec_lo
	s_waitcnt vmcnt(0) lgkmcnt(0)
	v_and_b32_e32 v119, 0xff, v8
	v_and_b32_e32 v118, 0xffff, v8
	s_delay_alu instid0(VALU_DEP_2)
	v_cmpx_ne_u16_e32 0, v119
	s_cbranch_execz .LBB309_258
; %bb.251:                              ;   in Loop: Header=BB309_10 Depth=1
	s_delay_alu instid0(VALU_DEP_2) | instskip(SKIP_2) | instid1(VALU_DEP_2)
	v_and_b32_e32 v8, 0xff, v118
	v_bfrev_b32_e32 v117, 1
	s_mov_b32 s19, exec_lo
	v_cmpx_ne_u16_e32 0x80, v8
	s_cbranch_execz .LBB309_257
; %bb.252:                              ;   in Loop: Header=BB309_10 Depth=1
	v_and_b32_e32 v119, 0x7f, v118
	v_mov_b32_e32 v117, 0x7fc02000
	s_mov_b32 s20, exec_lo
	s_delay_alu instid0(VALU_DEP_2)
	v_cmpx_ne_u32_e32 0x7f, v119
	s_cbranch_execz .LBB309_256
; %bb.253:                              ;   in Loop: Header=BB309_10 Depth=1
	v_and_b32_e32 v8, 7, v118
	v_lshrrev_b32_e32 v117, 3, v119
	s_mov_b32 s21, exec_lo
	v_cmpx_gt_u32_e32 8, v119
; %bb.254:                              ;   in Loop: Header=BB309_10 Depth=1
	s_delay_alu instid0(VALU_DEP_3) | instskip(NEXT) | instid1(VALU_DEP_1)
	v_clz_i32_u32_e32 v117, v8
	v_min_u32_e32 v117, 32, v117
	s_delay_alu instid0(VALU_DEP_1) | instskip(SKIP_1) | instid1(VALU_DEP_2)
	v_subrev_nc_u32_e32 v119, 28, v117
	v_sub_nc_u32_e32 v117, 29, v117
	v_lshlrev_b64 v[128:129], v119, v[8:9]
	s_delay_alu instid0(VALU_DEP_1)
	v_and_b32_e32 v8, 7, v128
; %bb.255:                              ;   in Loop: Header=BB309_10 Depth=1
	s_or_b32 exec_lo, exec_lo, s21
	v_lshlrev_b32_e32 v119, 8, v118
	v_lshl_add_u32 v117, v117, 10, 0x2000
	s_delay_alu instid0(VALU_DEP_1) | instskip(NEXT) | instid1(VALU_DEP_1)
	v_and_or_b32 v117, 0x8000, v119, v117
	v_lshl_or_b32 v8, v8, 7, v117
	s_delay_alu instid0(VALU_DEP_1)
	v_cvt_f32_f16_e32 v117, v8
.LBB309_256:                            ;   in Loop: Header=BB309_10 Depth=1
	s_or_b32 exec_lo, exec_lo, s20
.LBB309_257:                            ;   in Loop: Header=BB309_10 Depth=1
	s_delay_alu instid0(SALU_CYCLE_1)
	s_or_b32 exec_lo, exec_lo, s19
.LBB309_258:                            ;   in Loop: Header=BB309_10 Depth=1
	s_delay_alu instid0(SALU_CYCLE_1) | instskip(NEXT) | instid1(VALU_DEP_2)
	s_or_b32 exec_lo, exec_lo, s3
	v_lshrrev_b16 v8, 8, v118
	v_dual_mov_b32 v119, 0 :: v_dual_mov_b32 v118, 0
	s_mov_b32 s3, exec_lo
	s_delay_alu instid0(VALU_DEP_2)
	v_cmpx_ne_u16_e32 0, v8
	s_cbranch_execz .LBB309_266
; %bb.259:                              ;   in Loop: Header=BB309_10 Depth=1
	v_bfrev_b32_e32 v118, 1
	s_mov_b32 s19, exec_lo
	v_cmpx_ne_u16_e32 0x80, v8
	s_cbranch_execz .LBB309_265
; %bb.260:                              ;   in Loop: Header=BB309_10 Depth=1
	v_and_b32_e32 v128, 0xffff, v8
	v_mov_b32_e32 v118, 0x7fc02000
	s_mov_b32 s20, exec_lo
	s_delay_alu instid0(VALU_DEP_2) | instskip(NEXT) | instid1(VALU_DEP_1)
	v_and_b32_e32 v129, 0x7f, v128
	v_cmpx_ne_u32_e32 0x7f, v129
	s_cbranch_execz .LBB309_264
; %bb.261:                              ;   in Loop: Header=BB309_10 Depth=1
	v_and_b32_e32 v8, 7, v128
	v_lshrrev_b32_e32 v118, 3, v129
	s_mov_b32 s21, exec_lo
	v_cmpx_gt_u32_e32 8, v129
; %bb.262:                              ;   in Loop: Header=BB309_10 Depth=1
	s_delay_alu instid0(VALU_DEP_3) | instskip(NEXT) | instid1(VALU_DEP_1)
	v_clz_i32_u32_e32 v118, v8
	v_min_u32_e32 v118, 32, v118
	s_delay_alu instid0(VALU_DEP_1) | instskip(SKIP_1) | instid1(VALU_DEP_2)
	v_subrev_nc_u32_e32 v129, 28, v118
	v_sub_nc_u32_e32 v118, 29, v118
	v_lshlrev_b64 v[129:130], v129, v[8:9]
	s_delay_alu instid0(VALU_DEP_1)
	v_and_b32_e32 v8, 7, v129
; %bb.263:                              ;   in Loop: Header=BB309_10 Depth=1
	s_or_b32 exec_lo, exec_lo, s21
	v_lshlrev_b32_e32 v128, 8, v128
	v_lshl_add_u32 v118, v118, 10, 0x2000
	s_delay_alu instid0(VALU_DEP_1) | instskip(NEXT) | instid1(VALU_DEP_1)
	v_and_or_b32 v118, 0x8000, v128, v118
	v_lshl_or_b32 v8, v8, 7, v118
	s_delay_alu instid0(VALU_DEP_1)
	v_cvt_f32_f16_e32 v118, v8
.LBB309_264:                            ;   in Loop: Header=BB309_10 Depth=1
	s_or_b32 exec_lo, exec_lo, s20
.LBB309_265:                            ;   in Loop: Header=BB309_10 Depth=1
	s_delay_alu instid0(SALU_CYCLE_1)
	s_or_b32 exec_lo, exec_lo, s19
.LBB309_266:                            ;   in Loop: Header=BB309_10 Depth=1
	s_delay_alu instid0(SALU_CYCLE_1)
	s_or_b32 exec_lo, exec_lo, s3
	flat_load_u16 v8, v[28:29] offset:1024
	s_mov_b32 s3, exec_lo
	s_waitcnt vmcnt(0) lgkmcnt(0)
	v_and_b32_e32 v129, 0xff, v8
	v_and_b32_e32 v128, 0xffff, v8
	s_delay_alu instid0(VALU_DEP_2)
	v_cmpx_ne_u16_e64 0, v129
	s_cbranch_execz .LBB309_274
; %bb.267:                              ;   in Loop: Header=BB309_10 Depth=1
	s_delay_alu instid0(VALU_DEP_2) | instskip(SKIP_2) | instid1(VALU_DEP_2)
	v_and_b32_e32 v8, 0xff, v128
	v_bfrev_b32_e32 v119, 1
	s_mov_b32 s19, exec_lo
	v_cmpx_ne_u16_e32 0x80, v8
	s_cbranch_execz .LBB309_273
; %bb.268:                              ;   in Loop: Header=BB309_10 Depth=1
	v_and_b32_e32 v129, 0x7f, v128
	v_mov_b32_e32 v119, 0x7fc02000
	s_mov_b32 s20, exec_lo
	s_delay_alu instid0(VALU_DEP_2)
	v_cmpx_ne_u32_e32 0x7f, v129
	s_cbranch_execz .LBB309_272
; %bb.269:                              ;   in Loop: Header=BB309_10 Depth=1
	v_and_b32_e32 v8, 7, v128
	v_lshrrev_b32_e32 v119, 3, v129
	s_mov_b32 s21, exec_lo
	v_cmpx_gt_u32_e32 8, v129
; %bb.270:                              ;   in Loop: Header=BB309_10 Depth=1
	s_delay_alu instid0(VALU_DEP_3) | instskip(NEXT) | instid1(VALU_DEP_1)
	v_clz_i32_u32_e32 v119, v8
	v_min_u32_e32 v119, 32, v119
	s_delay_alu instid0(VALU_DEP_1) | instskip(SKIP_1) | instid1(VALU_DEP_2)
	v_subrev_nc_u32_e32 v129, 28, v119
	v_sub_nc_u32_e32 v119, 29, v119
	v_lshlrev_b64 v[129:130], v129, v[8:9]
	s_delay_alu instid0(VALU_DEP_1)
	v_and_b32_e32 v8, 7, v129
; %bb.271:                              ;   in Loop: Header=BB309_10 Depth=1
	s_or_b32 exec_lo, exec_lo, s21
	v_lshlrev_b32_e32 v129, 8, v128
	v_lshl_add_u32 v119, v119, 10, 0x2000
	s_delay_alu instid0(VALU_DEP_1) | instskip(NEXT) | instid1(VALU_DEP_1)
	v_and_or_b32 v119, 0x8000, v129, v119
	v_lshl_or_b32 v8, v8, 7, v119
	s_delay_alu instid0(VALU_DEP_1)
	v_cvt_f32_f16_e32 v119, v8
.LBB309_272:                            ;   in Loop: Header=BB309_10 Depth=1
	s_or_b32 exec_lo, exec_lo, s20
.LBB309_273:                            ;   in Loop: Header=BB309_10 Depth=1
	s_delay_alu instid0(SALU_CYCLE_1)
	s_or_b32 exec_lo, exec_lo, s19
.LBB309_274:                            ;   in Loop: Header=BB309_10 Depth=1
	s_delay_alu instid0(SALU_CYCLE_1) | instskip(NEXT) | instid1(VALU_DEP_2)
	s_or_b32 exec_lo, exec_lo, s3
	v_lshrrev_b16 v8, 8, v128
	v_dual_mov_b32 v129, 0 :: v_dual_mov_b32 v128, 0
	s_mov_b32 s3, exec_lo
	s_delay_alu instid0(VALU_DEP_2)
	v_cmpx_ne_u16_e32 0, v8
	s_cbranch_execz .LBB309_282
; %bb.275:                              ;   in Loop: Header=BB309_10 Depth=1
	v_bfrev_b32_e32 v128, 1
	s_mov_b32 s19, exec_lo
	v_cmpx_ne_u16_e32 0x80, v8
	s_cbranch_execz .LBB309_281
; %bb.276:                              ;   in Loop: Header=BB309_10 Depth=1
	v_and_b32_e32 v130, 0xffff, v8
	v_mov_b32_e32 v128, 0x7fc02000
	s_mov_b32 s20, exec_lo
	s_delay_alu instid0(VALU_DEP_2) | instskip(NEXT) | instid1(VALU_DEP_1)
	v_and_b32_e32 v131, 0x7f, v130
	v_cmpx_ne_u32_e32 0x7f, v131
	s_cbranch_execz .LBB309_280
; %bb.277:                              ;   in Loop: Header=BB309_10 Depth=1
	v_and_b32_e32 v8, 7, v130
	v_lshrrev_b32_e32 v128, 3, v131
	s_mov_b32 s21, exec_lo
	v_cmpx_gt_u32_e32 8, v131
; %bb.278:                              ;   in Loop: Header=BB309_10 Depth=1
	s_delay_alu instid0(VALU_DEP_3) | instskip(NEXT) | instid1(VALU_DEP_1)
	v_clz_i32_u32_e32 v128, v8
	v_min_u32_e32 v128, 32, v128
	s_delay_alu instid0(VALU_DEP_1) | instskip(SKIP_1) | instid1(VALU_DEP_2)
	v_subrev_nc_u32_e32 v131, 28, v128
	v_sub_nc_u32_e32 v128, 29, v128
	v_lshlrev_b64 v[131:132], v131, v[8:9]
	s_delay_alu instid0(VALU_DEP_1)
	v_and_b32_e32 v8, 7, v131
; %bb.279:                              ;   in Loop: Header=BB309_10 Depth=1
	s_or_b32 exec_lo, exec_lo, s21
	v_lshlrev_b32_e32 v130, 8, v130
	v_lshl_add_u32 v128, v128, 10, 0x2000
	s_delay_alu instid0(VALU_DEP_1) | instskip(NEXT) | instid1(VALU_DEP_1)
	v_and_or_b32 v128, 0x8000, v130, v128
	v_lshl_or_b32 v8, v8, 7, v128
	s_delay_alu instid0(VALU_DEP_1)
	v_cvt_f32_f16_e64 v128, v8
.LBB309_280:                            ;   in Loop: Header=BB309_10 Depth=1
	s_or_b32 exec_lo, exec_lo, s20
.LBB309_281:                            ;   in Loop: Header=BB309_10 Depth=1
	s_delay_alu instid0(SALU_CYCLE_1)
	s_or_b32 exec_lo, exec_lo, s19
.LBB309_282:                            ;   in Loop: Header=BB309_10 Depth=1
	s_delay_alu instid0(SALU_CYCLE_1)
	s_or_b32 exec_lo, exec_lo, s3
	flat_load_u16 v8, v[28:29] offset:1032
	s_mov_b32 s3, exec_lo
	s_waitcnt vmcnt(0) lgkmcnt(0)
	v_and_b32_e32 v131, 0xff, v8
	v_and_b32_e32 v130, 0xffff, v8
	s_delay_alu instid0(VALU_DEP_2)
	v_cmpx_ne_u16_e64 0, v131
	s_cbranch_execz .LBB309_290
; %bb.283:                              ;   in Loop: Header=BB309_10 Depth=1
	s_delay_alu instid0(VALU_DEP_2) | instskip(SKIP_2) | instid1(VALU_DEP_2)
	v_and_b32_e32 v8, 0xff, v130
	v_bfrev_b32_e32 v129, 1
	s_mov_b32 s19, exec_lo
	v_cmpx_ne_u16_e32 0x80, v8
	s_cbranch_execz .LBB309_289
; %bb.284:                              ;   in Loop: Header=BB309_10 Depth=1
	v_and_b32_e32 v131, 0x7f, v130
	v_mov_b32_e32 v129, 0x7fc02000
	s_mov_b32 s20, exec_lo
	s_delay_alu instid0(VALU_DEP_2)
	v_cmpx_ne_u32_e32 0x7f, v131
	s_cbranch_execz .LBB309_288
; %bb.285:                              ;   in Loop: Header=BB309_10 Depth=1
	v_and_b32_e32 v8, 7, v130
	v_lshrrev_b32_e32 v129, 3, v131
	s_mov_b32 s21, exec_lo
	v_cmpx_gt_u32_e32 8, v131
; %bb.286:                              ;   in Loop: Header=BB309_10 Depth=1
	s_delay_alu instid0(VALU_DEP_3) | instskip(NEXT) | instid1(VALU_DEP_1)
	v_clz_i32_u32_e32 v129, v8
	v_min_u32_e32 v129, 32, v129
	s_delay_alu instid0(VALU_DEP_1) | instskip(SKIP_1) | instid1(VALU_DEP_2)
	v_subrev_nc_u32_e32 v131, 28, v129
	v_sub_nc_u32_e32 v129, 29, v129
	v_lshlrev_b64 v[131:132], v131, v[8:9]
	s_delay_alu instid0(VALU_DEP_1)
	v_and_b32_e32 v8, 7, v131
; %bb.287:                              ;   in Loop: Header=BB309_10 Depth=1
	s_or_b32 exec_lo, exec_lo, s21
	v_lshlrev_b32_e32 v131, 8, v130
	v_lshl_add_u32 v129, v129, 10, 0x2000
	s_delay_alu instid0(VALU_DEP_1) | instskip(NEXT) | instid1(VALU_DEP_1)
	v_and_or_b32 v129, 0x8000, v131, v129
	v_lshl_or_b32 v8, v8, 7, v129
	s_delay_alu instid0(VALU_DEP_1)
	v_cvt_f32_f16_e64 v129, v8
.LBB309_288:                            ;   in Loop: Header=BB309_10 Depth=1
	s_or_b32 exec_lo, exec_lo, s20
.LBB309_289:                            ;   in Loop: Header=BB309_10 Depth=1
	s_delay_alu instid0(SALU_CYCLE_1)
	s_or_b32 exec_lo, exec_lo, s19
.LBB309_290:                            ;   in Loop: Header=BB309_10 Depth=1
	s_delay_alu instid0(SALU_CYCLE_1) | instskip(NEXT) | instid1(VALU_DEP_2)
	s_or_b32 exec_lo, exec_lo, s3
	v_lshrrev_b16 v8, 8, v130
	v_dual_mov_b32 v131, 0 :: v_dual_mov_b32 v130, 0
	s_mov_b32 s3, exec_lo
	s_delay_alu instid0(VALU_DEP_2)
	v_cmpx_ne_u16_e32 0, v8
	s_cbranch_execz .LBB309_298
; %bb.291:                              ;   in Loop: Header=BB309_10 Depth=1
	v_bfrev_b32_e32 v130, 1
	s_mov_b32 s19, exec_lo
	v_cmpx_ne_u16_e32 0x80, v8
	s_cbranch_execz .LBB309_297
; %bb.292:                              ;   in Loop: Header=BB309_10 Depth=1
	v_and_b32_e32 v132, 0xffff, v8
	v_mov_b32_e32 v130, 0x7fc02000
	s_mov_b32 s20, exec_lo
	s_delay_alu instid0(VALU_DEP_2) | instskip(NEXT) | instid1(VALU_DEP_1)
	v_and_b32_e32 v133, 0x7f, v132
	v_cmpx_ne_u32_e32 0x7f, v133
	s_cbranch_execz .LBB309_296
; %bb.293:                              ;   in Loop: Header=BB309_10 Depth=1
	v_and_b32_e32 v8, 7, v132
	v_lshrrev_b32_e32 v130, 3, v133
	s_mov_b32 s21, exec_lo
	v_cmpx_gt_u32_e32 8, v133
; %bb.294:                              ;   in Loop: Header=BB309_10 Depth=1
	s_delay_alu instid0(VALU_DEP_3) | instskip(NEXT) | instid1(VALU_DEP_1)
	v_clz_i32_u32_e32 v130, v8
	v_min_u32_e32 v130, 32, v130
	s_delay_alu instid0(VALU_DEP_1) | instskip(SKIP_1) | instid1(VALU_DEP_2)
	v_subrev_nc_u32_e32 v133, 28, v130
	v_sub_nc_u32_e32 v130, 29, v130
	v_lshlrev_b64 v[133:134], v133, v[8:9]
	s_delay_alu instid0(VALU_DEP_1)
	v_and_b32_e32 v8, 7, v133
; %bb.295:                              ;   in Loop: Header=BB309_10 Depth=1
	s_or_b32 exec_lo, exec_lo, s21
	v_lshlrev_b32_e32 v132, 8, v132
	v_lshl_add_u32 v130, v130, 10, 0x2000
	s_delay_alu instid0(VALU_DEP_1) | instskip(NEXT) | instid1(VALU_DEP_1)
	v_and_or_b32 v130, 0x8000, v132, v130
	v_lshl_or_b32 v8, v8, 7, v130
	s_delay_alu instid0(VALU_DEP_1)
	v_cvt_f32_f16_e64 v130, v8
.LBB309_296:                            ;   in Loop: Header=BB309_10 Depth=1
	s_or_b32 exec_lo, exec_lo, s20
.LBB309_297:                            ;   in Loop: Header=BB309_10 Depth=1
	s_delay_alu instid0(SALU_CYCLE_1)
	s_or_b32 exec_lo, exec_lo, s19
.LBB309_298:                            ;   in Loop: Header=BB309_10 Depth=1
	s_delay_alu instid0(SALU_CYCLE_1)
	s_or_b32 exec_lo, exec_lo, s3
	flat_load_u16 v8, v[28:29] offset:1152
	s_mov_b32 s3, exec_lo
	s_waitcnt vmcnt(0) lgkmcnt(0)
	v_and_b32_e32 v133, 0xff, v8
	v_and_b32_e32 v132, 0xffff, v8
	s_delay_alu instid0(VALU_DEP_2)
	v_cmpx_ne_u16_e64 0, v133
	s_cbranch_execz .LBB309_306
; %bb.299:                              ;   in Loop: Header=BB309_10 Depth=1
	s_delay_alu instid0(VALU_DEP_2) | instskip(SKIP_2) | instid1(VALU_DEP_2)
	v_and_b32_e32 v8, 0xff, v132
	v_bfrev_b32_e32 v131, 1
	s_mov_b32 s19, exec_lo
	v_cmpx_ne_u16_e32 0x80, v8
	s_cbranch_execz .LBB309_305
; %bb.300:                              ;   in Loop: Header=BB309_10 Depth=1
	v_and_b32_e32 v133, 0x7f, v132
	v_mov_b32_e32 v131, 0x7fc02000
	s_mov_b32 s20, exec_lo
	s_delay_alu instid0(VALU_DEP_2)
	v_cmpx_ne_u32_e32 0x7f, v133
	s_cbranch_execz .LBB309_304
; %bb.301:                              ;   in Loop: Header=BB309_10 Depth=1
	v_and_b32_e32 v8, 7, v132
	v_lshrrev_b32_e32 v131, 3, v133
	s_mov_b32 s21, exec_lo
	v_cmpx_gt_u32_e32 8, v133
; %bb.302:                              ;   in Loop: Header=BB309_10 Depth=1
	s_delay_alu instid0(VALU_DEP_3) | instskip(NEXT) | instid1(VALU_DEP_1)
	v_clz_i32_u32_e32 v131, v8
	v_min_u32_e32 v131, 32, v131
	s_delay_alu instid0(VALU_DEP_1) | instskip(SKIP_1) | instid1(VALU_DEP_2)
	v_subrev_nc_u32_e32 v133, 28, v131
	v_sub_nc_u32_e32 v131, 29, v131
	v_lshlrev_b64 v[133:134], v133, v[8:9]
	s_delay_alu instid0(VALU_DEP_1)
	v_and_b32_e32 v8, 7, v133
; %bb.303:                              ;   in Loop: Header=BB309_10 Depth=1
	s_or_b32 exec_lo, exec_lo, s21
	v_lshlrev_b32_e32 v133, 8, v132
	v_lshl_add_u32 v131, v131, 10, 0x2000
	s_delay_alu instid0(VALU_DEP_1) | instskip(NEXT) | instid1(VALU_DEP_1)
	v_and_or_b32 v131, 0x8000, v133, v131
	v_lshl_or_b32 v8, v8, 7, v131
	s_delay_alu instid0(VALU_DEP_1)
	v_cvt_f32_f16_e64 v131, v8
.LBB309_304:                            ;   in Loop: Header=BB309_10 Depth=1
	s_or_b32 exec_lo, exec_lo, s20
.LBB309_305:                            ;   in Loop: Header=BB309_10 Depth=1
	s_delay_alu instid0(SALU_CYCLE_1)
	s_or_b32 exec_lo, exec_lo, s19
.LBB309_306:                            ;   in Loop: Header=BB309_10 Depth=1
	s_delay_alu instid0(SALU_CYCLE_1) | instskip(NEXT) | instid1(VALU_DEP_2)
	s_or_b32 exec_lo, exec_lo, s3
	v_lshrrev_b16 v8, 8, v132
	v_dual_mov_b32 v133, 0 :: v_dual_mov_b32 v132, 0
	s_mov_b32 s3, exec_lo
	s_delay_alu instid0(VALU_DEP_2)
	v_cmpx_ne_u16_e32 0, v8
	s_cbranch_execz .LBB309_314
; %bb.307:                              ;   in Loop: Header=BB309_10 Depth=1
	v_bfrev_b32_e32 v132, 1
	s_mov_b32 s19, exec_lo
	v_cmpx_ne_u16_e32 0x80, v8
	s_cbranch_execz .LBB309_313
; %bb.308:                              ;   in Loop: Header=BB309_10 Depth=1
	v_and_b32_e32 v134, 0xffff, v8
	v_mov_b32_e32 v132, 0x7fc02000
	s_mov_b32 s20, exec_lo
	s_delay_alu instid0(VALU_DEP_2) | instskip(NEXT) | instid1(VALU_DEP_1)
	v_and_b32_e32 v135, 0x7f, v134
	v_cmpx_ne_u32_e32 0x7f, v135
	s_cbranch_execz .LBB309_312
; %bb.309:                              ;   in Loop: Header=BB309_10 Depth=1
	v_and_b32_e32 v8, 7, v134
	v_lshrrev_b32_e32 v132, 3, v135
	s_mov_b32 s21, exec_lo
	v_cmpx_gt_u32_e32 8, v135
; %bb.310:                              ;   in Loop: Header=BB309_10 Depth=1
	s_delay_alu instid0(VALU_DEP_3) | instskip(NEXT) | instid1(VALU_DEP_1)
	v_clz_i32_u32_e32 v132, v8
	v_min_u32_e32 v132, 32, v132
	s_delay_alu instid0(VALU_DEP_1) | instskip(SKIP_1) | instid1(VALU_DEP_2)
	v_subrev_nc_u32_e32 v135, 28, v132
	v_sub_nc_u32_e32 v132, 29, v132
	v_lshlrev_b64 v[144:145], v135, v[8:9]
	s_delay_alu instid0(VALU_DEP_1)
	v_and_b32_e32 v8, 7, v144
; %bb.311:                              ;   in Loop: Header=BB309_10 Depth=1
	s_or_b32 exec_lo, exec_lo, s21
	v_lshlrev_b32_e32 v134, 8, v134
	v_lshl_add_u32 v132, v132, 10, 0x2000
	s_delay_alu instid0(VALU_DEP_1) | instskip(NEXT) | instid1(VALU_DEP_1)
	v_and_or_b32 v132, 0x8000, v134, v132
	v_lshl_or_b32 v8, v8, 7, v132
	s_delay_alu instid0(VALU_DEP_1)
	v_cvt_f32_f16_e64 v132, v8
.LBB309_312:                            ;   in Loop: Header=BB309_10 Depth=1
	s_or_b32 exec_lo, exec_lo, s20
.LBB309_313:                            ;   in Loop: Header=BB309_10 Depth=1
	s_delay_alu instid0(SALU_CYCLE_1)
	s_or_b32 exec_lo, exec_lo, s19
.LBB309_314:                            ;   in Loop: Header=BB309_10 Depth=1
	s_delay_alu instid0(SALU_CYCLE_1)
	s_or_b32 exec_lo, exec_lo, s3
	flat_load_u16 v8, v[28:29] offset:1160
	s_mov_b32 s3, exec_lo
	s_waitcnt vmcnt(0) lgkmcnt(0)
	v_and_b32_e32 v135, 0xff, v8
	v_and_b32_e32 v134, 0xffff, v8
	s_delay_alu instid0(VALU_DEP_2)
	v_cmpx_ne_u16_e64 0, v135
	s_cbranch_execz .LBB309_322
; %bb.315:                              ;   in Loop: Header=BB309_10 Depth=1
	s_delay_alu instid0(VALU_DEP_2) | instskip(SKIP_2) | instid1(VALU_DEP_2)
	v_and_b32_e32 v8, 0xff, v134
	v_bfrev_b32_e32 v133, 1
	s_mov_b32 s19, exec_lo
	v_cmpx_ne_u16_e32 0x80, v8
	s_cbranch_execz .LBB309_321
; %bb.316:                              ;   in Loop: Header=BB309_10 Depth=1
	v_and_b32_e32 v135, 0x7f, v134
	v_mov_b32_e32 v133, 0x7fc02000
	s_mov_b32 s20, exec_lo
	s_delay_alu instid0(VALU_DEP_2)
	v_cmpx_ne_u32_e32 0x7f, v135
	s_cbranch_execz .LBB309_320
; %bb.317:                              ;   in Loop: Header=BB309_10 Depth=1
	v_and_b32_e32 v8, 7, v134
	v_lshrrev_b32_e32 v133, 3, v135
	s_mov_b32 s21, exec_lo
	v_cmpx_gt_u32_e32 8, v135
; %bb.318:                              ;   in Loop: Header=BB309_10 Depth=1
	s_delay_alu instid0(VALU_DEP_3) | instskip(NEXT) | instid1(VALU_DEP_1)
	v_clz_i32_u32_e32 v133, v8
	v_min_u32_e32 v133, 32, v133
	s_delay_alu instid0(VALU_DEP_1) | instskip(SKIP_1) | instid1(VALU_DEP_2)
	v_subrev_nc_u32_e32 v135, 28, v133
	v_sub_nc_u32_e32 v133, 29, v133
	v_lshlrev_b64 v[144:145], v135, v[8:9]
	s_delay_alu instid0(VALU_DEP_1)
	v_and_b32_e32 v8, 7, v144
; %bb.319:                              ;   in Loop: Header=BB309_10 Depth=1
	s_or_b32 exec_lo, exec_lo, s21
	v_lshlrev_b32_e32 v135, 8, v134
	v_lshl_add_u32 v133, v133, 10, 0x2000
	s_delay_alu instid0(VALU_DEP_1) | instskip(NEXT) | instid1(VALU_DEP_1)
	v_and_or_b32 v133, 0x8000, v135, v133
	v_lshl_or_b32 v8, v8, 7, v133
	s_delay_alu instid0(VALU_DEP_1)
	v_cvt_f32_f16_e64 v133, v8
.LBB309_320:                            ;   in Loop: Header=BB309_10 Depth=1
	s_or_b32 exec_lo, exec_lo, s20
.LBB309_321:                            ;   in Loop: Header=BB309_10 Depth=1
	s_delay_alu instid0(SALU_CYCLE_1)
	s_or_b32 exec_lo, exec_lo, s19
.LBB309_322:                            ;   in Loop: Header=BB309_10 Depth=1
	s_delay_alu instid0(SALU_CYCLE_1) | instskip(NEXT) | instid1(VALU_DEP_2)
	s_or_b32 exec_lo, exec_lo, s3
	v_lshrrev_b16 v8, 8, v134
	v_dual_mov_b32 v135, 0 :: v_dual_mov_b32 v134, 0
	s_mov_b32 s3, exec_lo
	s_delay_alu instid0(VALU_DEP_2)
	v_cmpx_ne_u16_e32 0, v8
	s_cbranch_execz .LBB309_330
; %bb.323:                              ;   in Loop: Header=BB309_10 Depth=1
	v_bfrev_b32_e32 v134, 1
	s_mov_b32 s19, exec_lo
	v_cmpx_ne_u16_e32 0x80, v8
	s_cbranch_execz .LBB309_329
; %bb.324:                              ;   in Loop: Header=BB309_10 Depth=1
	v_and_b32_e32 v144, 0xffff, v8
	v_mov_b32_e32 v134, 0x7fc02000
	s_mov_b32 s20, exec_lo
	s_delay_alu instid0(VALU_DEP_2) | instskip(NEXT) | instid1(VALU_DEP_1)
	v_and_b32_e32 v145, 0x7f, v144
	v_cmpx_ne_u32_e32 0x7f, v145
	s_cbranch_execz .LBB309_328
; %bb.325:                              ;   in Loop: Header=BB309_10 Depth=1
	v_and_b32_e32 v8, 7, v144
	v_lshrrev_b32_e32 v134, 3, v145
	s_mov_b32 s21, exec_lo
	v_cmpx_gt_u32_e32 8, v145
; %bb.326:                              ;   in Loop: Header=BB309_10 Depth=1
	s_delay_alu instid0(VALU_DEP_3) | instskip(NEXT) | instid1(VALU_DEP_1)
	v_clz_i32_u32_e32 v134, v8
	v_min_u32_e32 v134, 32, v134
	s_delay_alu instid0(VALU_DEP_1) | instskip(SKIP_1) | instid1(VALU_DEP_2)
	v_subrev_nc_u32_e32 v145, 28, v134
	v_sub_nc_u32_e32 v134, 29, v134
	v_lshlrev_b64 v[145:146], v145, v[8:9]
	s_delay_alu instid0(VALU_DEP_1)
	v_and_b32_e32 v8, 7, v145
; %bb.327:                              ;   in Loop: Header=BB309_10 Depth=1
	s_or_b32 exec_lo, exec_lo, s21
	v_lshlrev_b32_e32 v144, 8, v144
	v_lshl_add_u32 v134, v134, 10, 0x2000
	s_delay_alu instid0(VALU_DEP_1) | instskip(NEXT) | instid1(VALU_DEP_1)
	v_and_or_b32 v134, 0x8000, v144, v134
	v_lshl_or_b32 v8, v8, 7, v134
	s_delay_alu instid0(VALU_DEP_1)
	v_cvt_f32_f16_e64 v134, v8
.LBB309_328:                            ;   in Loop: Header=BB309_10 Depth=1
	s_or_b32 exec_lo, exec_lo, s20
.LBB309_329:                            ;   in Loop: Header=BB309_10 Depth=1
	s_delay_alu instid0(SALU_CYCLE_1)
	s_or_b32 exec_lo, exec_lo, s19
.LBB309_330:                            ;   in Loop: Header=BB309_10 Depth=1
	s_delay_alu instid0(SALU_CYCLE_1)
	s_or_b32 exec_lo, exec_lo, s3
	flat_load_u16 v8, v[28:29] offset:1280
	s_mov_b32 s3, exec_lo
	s_waitcnt vmcnt(0) lgkmcnt(0)
	v_and_b32_e32 v145, 0xff, v8
	v_and_b32_e32 v144, 0xffff, v8
	s_delay_alu instid0(VALU_DEP_2)
	v_cmpx_ne_u16_e64 0, v145
	s_cbranch_execz .LBB309_338
; %bb.331:                              ;   in Loop: Header=BB309_10 Depth=1
	s_delay_alu instid0(VALU_DEP_2) | instskip(SKIP_2) | instid1(VALU_DEP_2)
	v_and_b32_e32 v8, 0xff, v144
	v_bfrev_b32_e32 v135, 1
	s_mov_b32 s19, exec_lo
	v_cmpx_ne_u16_e32 0x80, v8
	s_cbranch_execz .LBB309_337
; %bb.332:                              ;   in Loop: Header=BB309_10 Depth=1
	v_and_b32_e32 v145, 0x7f, v144
	v_mov_b32_e32 v135, 0x7fc02000
	s_mov_b32 s20, exec_lo
	s_delay_alu instid0(VALU_DEP_2)
	v_cmpx_ne_u32_e32 0x7f, v145
	s_cbranch_execz .LBB309_336
; %bb.333:                              ;   in Loop: Header=BB309_10 Depth=1
	v_and_b32_e32 v8, 7, v144
	v_lshrrev_b32_e32 v135, 3, v145
	s_mov_b32 s21, exec_lo
	v_cmpx_gt_u32_e32 8, v145
; %bb.334:                              ;   in Loop: Header=BB309_10 Depth=1
	s_delay_alu instid0(VALU_DEP_3) | instskip(NEXT) | instid1(VALU_DEP_1)
	v_clz_i32_u32_e32 v135, v8
	v_min_u32_e32 v135, 32, v135
	s_delay_alu instid0(VALU_DEP_1) | instskip(SKIP_1) | instid1(VALU_DEP_2)
	v_subrev_nc_u32_e32 v145, 28, v135
	v_sub_nc_u32_e32 v135, 29, v135
	v_lshlrev_b64 v[145:146], v145, v[8:9]
	s_delay_alu instid0(VALU_DEP_1)
	v_and_b32_e32 v8, 7, v145
; %bb.335:                              ;   in Loop: Header=BB309_10 Depth=1
	s_or_b32 exec_lo, exec_lo, s21
	v_lshlrev_b32_e32 v145, 8, v144
	v_lshl_add_u32 v135, v135, 10, 0x2000
	s_delay_alu instid0(VALU_DEP_1) | instskip(NEXT) | instid1(VALU_DEP_1)
	v_and_or_b32 v135, 0x8000, v145, v135
	v_lshl_or_b32 v8, v8, 7, v135
	s_delay_alu instid0(VALU_DEP_1)
	v_cvt_f32_f16_e64 v135, v8
.LBB309_336:                            ;   in Loop: Header=BB309_10 Depth=1
	s_or_b32 exec_lo, exec_lo, s20
.LBB309_337:                            ;   in Loop: Header=BB309_10 Depth=1
	s_delay_alu instid0(SALU_CYCLE_1)
	s_or_b32 exec_lo, exec_lo, s19
.LBB309_338:                            ;   in Loop: Header=BB309_10 Depth=1
	s_delay_alu instid0(SALU_CYCLE_1) | instskip(NEXT) | instid1(VALU_DEP_2)
	s_or_b32 exec_lo, exec_lo, s3
	v_lshrrev_b16 v8, 8, v144
	v_dual_mov_b32 v145, 0 :: v_dual_mov_b32 v144, 0
	s_mov_b32 s3, exec_lo
	s_delay_alu instid0(VALU_DEP_2)
	v_cmpx_ne_u16_e32 0, v8
	s_cbranch_execz .LBB309_346
; %bb.339:                              ;   in Loop: Header=BB309_10 Depth=1
	v_bfrev_b32_e32 v144, 1
	s_mov_b32 s19, exec_lo
	v_cmpx_ne_u16_e32 0x80, v8
	s_cbranch_execz .LBB309_345
; %bb.340:                              ;   in Loop: Header=BB309_10 Depth=1
	v_and_b32_e32 v146, 0xffff, v8
	v_mov_b32_e32 v144, 0x7fc02000
	s_mov_b32 s20, exec_lo
	s_delay_alu instid0(VALU_DEP_2) | instskip(NEXT) | instid1(VALU_DEP_1)
	v_and_b32_e32 v147, 0x7f, v146
	v_cmpx_ne_u32_e32 0x7f, v147
	s_cbranch_execz .LBB309_344
; %bb.341:                              ;   in Loop: Header=BB309_10 Depth=1
	v_and_b32_e32 v8, 7, v146
	v_lshrrev_b32_e32 v144, 3, v147
	s_mov_b32 s21, exec_lo
	v_cmpx_gt_u32_e32 8, v147
; %bb.342:                              ;   in Loop: Header=BB309_10 Depth=1
	s_delay_alu instid0(VALU_DEP_3) | instskip(NEXT) | instid1(VALU_DEP_1)
	v_clz_i32_u32_e32 v144, v8
	v_min_u32_e32 v144, 32, v144
	s_delay_alu instid0(VALU_DEP_1) | instskip(SKIP_1) | instid1(VALU_DEP_2)
	v_subrev_nc_u32_e32 v147, 28, v144
	v_sub_nc_u32_e32 v144, 29, v144
	v_lshlrev_b64 v[147:148], v147, v[8:9]
	s_delay_alu instid0(VALU_DEP_1)
	v_and_b32_e32 v8, 7, v147
; %bb.343:                              ;   in Loop: Header=BB309_10 Depth=1
	s_or_b32 exec_lo, exec_lo, s21
	v_lshlrev_b32_e32 v146, 8, v146
	v_lshl_add_u32 v144, v144, 10, 0x2000
	s_delay_alu instid0(VALU_DEP_1) | instskip(NEXT) | instid1(VALU_DEP_1)
	v_and_or_b32 v144, 0x8000, v146, v144
	v_lshl_or_b32 v8, v8, 7, v144
	s_delay_alu instid0(VALU_DEP_1)
	v_cvt_f32_f16_e64 v144, v8
.LBB309_344:                            ;   in Loop: Header=BB309_10 Depth=1
	s_or_b32 exec_lo, exec_lo, s20
.LBB309_345:                            ;   in Loop: Header=BB309_10 Depth=1
	s_delay_alu instid0(SALU_CYCLE_1)
	s_or_b32 exec_lo, exec_lo, s19
.LBB309_346:                            ;   in Loop: Header=BB309_10 Depth=1
	s_delay_alu instid0(SALU_CYCLE_1)
	s_or_b32 exec_lo, exec_lo, s3
	flat_load_u16 v8, v[28:29] offset:1288
	s_mov_b32 s3, exec_lo
	s_waitcnt vmcnt(0) lgkmcnt(0)
	v_and_b32_e32 v147, 0xff, v8
	v_and_b32_e32 v146, 0xffff, v8
	s_delay_alu instid0(VALU_DEP_2)
	v_cmpx_ne_u16_e64 0, v147
	s_cbranch_execz .LBB309_354
; %bb.347:                              ;   in Loop: Header=BB309_10 Depth=1
	s_delay_alu instid0(VALU_DEP_2) | instskip(SKIP_2) | instid1(VALU_DEP_2)
	v_and_b32_e32 v8, 0xff, v146
	v_bfrev_b32_e32 v145, 1
	s_mov_b32 s19, exec_lo
	v_cmpx_ne_u16_e32 0x80, v8
	s_cbranch_execz .LBB309_353
; %bb.348:                              ;   in Loop: Header=BB309_10 Depth=1
	v_and_b32_e32 v147, 0x7f, v146
	v_mov_b32_e32 v145, 0x7fc02000
	s_mov_b32 s20, exec_lo
	s_delay_alu instid0(VALU_DEP_2)
	v_cmpx_ne_u32_e32 0x7f, v147
	s_cbranch_execz .LBB309_352
; %bb.349:                              ;   in Loop: Header=BB309_10 Depth=1
	v_and_b32_e32 v8, 7, v146
	v_lshrrev_b32_e32 v145, 3, v147
	s_mov_b32 s21, exec_lo
	v_cmpx_gt_u32_e32 8, v147
; %bb.350:                              ;   in Loop: Header=BB309_10 Depth=1
	s_delay_alu instid0(VALU_DEP_3) | instskip(NEXT) | instid1(VALU_DEP_1)
	v_clz_i32_u32_e32 v145, v8
	v_min_u32_e32 v145, 32, v145
	s_delay_alu instid0(VALU_DEP_1) | instskip(SKIP_1) | instid1(VALU_DEP_2)
	v_subrev_nc_u32_e32 v147, 28, v145
	v_sub_nc_u32_e32 v145, 29, v145
	v_lshlrev_b64 v[147:148], v147, v[8:9]
	s_delay_alu instid0(VALU_DEP_1)
	v_and_b32_e32 v8, 7, v147
; %bb.351:                              ;   in Loop: Header=BB309_10 Depth=1
	s_or_b32 exec_lo, exec_lo, s21
	v_lshlrev_b32_e32 v147, 8, v146
	v_lshl_add_u32 v145, v145, 10, 0x2000
	s_delay_alu instid0(VALU_DEP_1) | instskip(NEXT) | instid1(VALU_DEP_1)
	v_and_or_b32 v145, 0x8000, v147, v145
	v_lshl_or_b32 v8, v8, 7, v145
	s_delay_alu instid0(VALU_DEP_1)
	v_cvt_f32_f16_e64 v145, v8
.LBB309_352:                            ;   in Loop: Header=BB309_10 Depth=1
	s_or_b32 exec_lo, exec_lo, s20
.LBB309_353:                            ;   in Loop: Header=BB309_10 Depth=1
	s_delay_alu instid0(SALU_CYCLE_1)
	s_or_b32 exec_lo, exec_lo, s19
.LBB309_354:                            ;   in Loop: Header=BB309_10 Depth=1
	s_delay_alu instid0(SALU_CYCLE_1) | instskip(NEXT) | instid1(VALU_DEP_2)
	s_or_b32 exec_lo, exec_lo, s3
	v_lshrrev_b16 v8, 8, v146
	v_dual_mov_b32 v147, 0 :: v_dual_mov_b32 v146, 0
	s_mov_b32 s3, exec_lo
	s_delay_alu instid0(VALU_DEP_2)
	v_cmpx_ne_u16_e32 0, v8
	s_cbranch_execz .LBB309_362
; %bb.355:                              ;   in Loop: Header=BB309_10 Depth=1
	v_bfrev_b32_e32 v146, 1
	s_mov_b32 s19, exec_lo
	v_cmpx_ne_u16_e32 0x80, v8
	s_cbranch_execz .LBB309_361
; %bb.356:                              ;   in Loop: Header=BB309_10 Depth=1
	v_and_b32_e32 v148, 0xffff, v8
	v_mov_b32_e32 v146, 0x7fc02000
	s_mov_b32 s20, exec_lo
	s_delay_alu instid0(VALU_DEP_2) | instskip(NEXT) | instid1(VALU_DEP_1)
	v_and_b32_e32 v149, 0x7f, v148
	v_cmpx_ne_u32_e32 0x7f, v149
	s_cbranch_execz .LBB309_360
; %bb.357:                              ;   in Loop: Header=BB309_10 Depth=1
	v_and_b32_e32 v8, 7, v148
	v_lshrrev_b32_e32 v146, 3, v149
	s_mov_b32 s21, exec_lo
	v_cmpx_gt_u32_e32 8, v149
; %bb.358:                              ;   in Loop: Header=BB309_10 Depth=1
	s_delay_alu instid0(VALU_DEP_3) | instskip(NEXT) | instid1(VALU_DEP_1)
	v_clz_i32_u32_e32 v146, v8
	v_min_u32_e32 v146, 32, v146
	s_delay_alu instid0(VALU_DEP_1) | instskip(SKIP_1) | instid1(VALU_DEP_2)
	v_subrev_nc_u32_e32 v149, 28, v146
	v_sub_nc_u32_e32 v146, 29, v146
	v_lshlrev_b64 v[149:150], v149, v[8:9]
	s_delay_alu instid0(VALU_DEP_1)
	v_and_b32_e32 v8, 7, v149
; %bb.359:                              ;   in Loop: Header=BB309_10 Depth=1
	s_or_b32 exec_lo, exec_lo, s21
	v_lshlrev_b32_e32 v148, 8, v148
	v_lshl_add_u32 v146, v146, 10, 0x2000
	s_delay_alu instid0(VALU_DEP_1) | instskip(NEXT) | instid1(VALU_DEP_1)
	v_and_or_b32 v146, 0x8000, v148, v146
	v_lshl_or_b32 v8, v8, 7, v146
	s_delay_alu instid0(VALU_DEP_1)
	v_cvt_f32_f16_e64 v146, v8
.LBB309_360:                            ;   in Loop: Header=BB309_10 Depth=1
	s_or_b32 exec_lo, exec_lo, s20
.LBB309_361:                            ;   in Loop: Header=BB309_10 Depth=1
	s_delay_alu instid0(SALU_CYCLE_1)
	s_or_b32 exec_lo, exec_lo, s19
.LBB309_362:                            ;   in Loop: Header=BB309_10 Depth=1
	s_delay_alu instid0(SALU_CYCLE_1)
	s_or_b32 exec_lo, exec_lo, s3
	flat_load_u16 v8, v[28:29] offset:1408
	s_mov_b32 s3, exec_lo
	s_waitcnt vmcnt(0) lgkmcnt(0)
	v_and_b32_e32 v149, 0xff, v8
	v_and_b32_e32 v148, 0xffff, v8
	s_delay_alu instid0(VALU_DEP_2)
	v_cmpx_ne_u16_e64 0, v149
	s_cbranch_execz .LBB309_370
; %bb.363:                              ;   in Loop: Header=BB309_10 Depth=1
	s_delay_alu instid0(VALU_DEP_2) | instskip(SKIP_2) | instid1(VALU_DEP_2)
	v_and_b32_e32 v8, 0xff, v148
	v_bfrev_b32_e32 v147, 1
	s_mov_b32 s19, exec_lo
	v_cmpx_ne_u16_e32 0x80, v8
	s_cbranch_execz .LBB309_369
; %bb.364:                              ;   in Loop: Header=BB309_10 Depth=1
	v_and_b32_e32 v149, 0x7f, v148
	v_mov_b32_e32 v147, 0x7fc02000
	s_mov_b32 s20, exec_lo
	s_delay_alu instid0(VALU_DEP_2)
	v_cmpx_ne_u32_e32 0x7f, v149
	s_cbranch_execz .LBB309_368
; %bb.365:                              ;   in Loop: Header=BB309_10 Depth=1
	v_and_b32_e32 v8, 7, v148
	v_lshrrev_b32_e32 v147, 3, v149
	s_mov_b32 s21, exec_lo
	v_cmpx_gt_u32_e32 8, v149
; %bb.366:                              ;   in Loop: Header=BB309_10 Depth=1
	s_delay_alu instid0(VALU_DEP_3) | instskip(NEXT) | instid1(VALU_DEP_1)
	v_clz_i32_u32_e32 v147, v8
	v_min_u32_e32 v147, 32, v147
	s_delay_alu instid0(VALU_DEP_1) | instskip(SKIP_1) | instid1(VALU_DEP_2)
	v_subrev_nc_u32_e32 v149, 28, v147
	v_sub_nc_u32_e32 v147, 29, v147
	v_lshlrev_b64 v[149:150], v149, v[8:9]
	s_delay_alu instid0(VALU_DEP_1)
	v_and_b32_e32 v8, 7, v149
; %bb.367:                              ;   in Loop: Header=BB309_10 Depth=1
	s_or_b32 exec_lo, exec_lo, s21
	v_lshlrev_b32_e32 v149, 8, v148
	v_lshl_add_u32 v147, v147, 10, 0x2000
	s_delay_alu instid0(VALU_DEP_1) | instskip(NEXT) | instid1(VALU_DEP_1)
	v_and_or_b32 v147, 0x8000, v149, v147
	v_lshl_or_b32 v8, v8, 7, v147
	s_delay_alu instid0(VALU_DEP_1)
	v_cvt_f32_f16_e64 v147, v8
.LBB309_368:                            ;   in Loop: Header=BB309_10 Depth=1
	s_or_b32 exec_lo, exec_lo, s20
.LBB309_369:                            ;   in Loop: Header=BB309_10 Depth=1
	s_delay_alu instid0(SALU_CYCLE_1)
	s_or_b32 exec_lo, exec_lo, s19
.LBB309_370:                            ;   in Loop: Header=BB309_10 Depth=1
	s_delay_alu instid0(SALU_CYCLE_1) | instskip(NEXT) | instid1(VALU_DEP_2)
	s_or_b32 exec_lo, exec_lo, s3
	v_lshrrev_b16 v8, 8, v148
	v_dual_mov_b32 v149, 0 :: v_dual_mov_b32 v148, 0
	s_mov_b32 s3, exec_lo
	s_delay_alu instid0(VALU_DEP_2)
	v_cmpx_ne_u16_e32 0, v8
	s_cbranch_execz .LBB309_378
; %bb.371:                              ;   in Loop: Header=BB309_10 Depth=1
	v_bfrev_b32_e32 v148, 1
	s_mov_b32 s19, exec_lo
	v_cmpx_ne_u16_e32 0x80, v8
	s_cbranch_execz .LBB309_377
; %bb.372:                              ;   in Loop: Header=BB309_10 Depth=1
	v_and_b32_e32 v150, 0xffff, v8
	v_mov_b32_e32 v148, 0x7fc02000
	s_mov_b32 s20, exec_lo
	s_delay_alu instid0(VALU_DEP_2) | instskip(NEXT) | instid1(VALU_DEP_1)
	v_and_b32_e32 v151, 0x7f, v150
	v_cmpx_ne_u32_e32 0x7f, v151
	s_cbranch_execz .LBB309_376
; %bb.373:                              ;   in Loop: Header=BB309_10 Depth=1
	v_and_b32_e32 v8, 7, v150
	v_lshrrev_b32_e32 v148, 3, v151
	s_mov_b32 s21, exec_lo
	v_cmpx_gt_u32_e32 8, v151
; %bb.374:                              ;   in Loop: Header=BB309_10 Depth=1
	s_delay_alu instid0(VALU_DEP_3) | instskip(NEXT) | instid1(VALU_DEP_1)
	v_clz_i32_u32_e32 v148, v8
	v_min_u32_e32 v148, 32, v148
	s_delay_alu instid0(VALU_DEP_1) | instskip(SKIP_1) | instid1(VALU_DEP_2)
	v_subrev_nc_u32_e32 v151, 28, v148
	v_sub_nc_u32_e32 v148, 29, v148
	v_lshlrev_b64 v[160:161], v151, v[8:9]
	s_delay_alu instid0(VALU_DEP_1)
	v_and_b32_e32 v8, 7, v160
; %bb.375:                              ;   in Loop: Header=BB309_10 Depth=1
	s_or_b32 exec_lo, exec_lo, s21
	v_lshlrev_b32_e32 v150, 8, v150
	v_lshl_add_u32 v148, v148, 10, 0x2000
	s_delay_alu instid0(VALU_DEP_1) | instskip(NEXT) | instid1(VALU_DEP_1)
	v_and_or_b32 v148, 0x8000, v150, v148
	v_lshl_or_b32 v8, v8, 7, v148
	s_delay_alu instid0(VALU_DEP_1)
	v_cvt_f32_f16_e64 v148, v8
.LBB309_376:                            ;   in Loop: Header=BB309_10 Depth=1
	s_or_b32 exec_lo, exec_lo, s20
.LBB309_377:                            ;   in Loop: Header=BB309_10 Depth=1
	s_delay_alu instid0(SALU_CYCLE_1)
	s_or_b32 exec_lo, exec_lo, s19
.LBB309_378:                            ;   in Loop: Header=BB309_10 Depth=1
	s_delay_alu instid0(SALU_CYCLE_1)
	s_or_b32 exec_lo, exec_lo, s3
	flat_load_u16 v8, v[28:29] offset:1416
	s_mov_b32 s3, exec_lo
	s_waitcnt vmcnt(0) lgkmcnt(0)
	v_and_b32_e32 v151, 0xff, v8
	v_and_b32_e32 v150, 0xffff, v8
	s_delay_alu instid0(VALU_DEP_2)
	v_cmpx_ne_u16_e64 0, v151
	s_cbranch_execz .LBB309_386
; %bb.379:                              ;   in Loop: Header=BB309_10 Depth=1
	s_delay_alu instid0(VALU_DEP_2) | instskip(SKIP_2) | instid1(VALU_DEP_2)
	v_and_b32_e32 v8, 0xff, v150
	v_bfrev_b32_e32 v149, 1
	s_mov_b32 s19, exec_lo
	v_cmpx_ne_u16_e32 0x80, v8
	s_cbranch_execz .LBB309_385
; %bb.380:                              ;   in Loop: Header=BB309_10 Depth=1
	v_and_b32_e32 v151, 0x7f, v150
	v_mov_b32_e32 v149, 0x7fc02000
	s_mov_b32 s20, exec_lo
	s_delay_alu instid0(VALU_DEP_2)
	v_cmpx_ne_u32_e32 0x7f, v151
	s_cbranch_execz .LBB309_384
; %bb.381:                              ;   in Loop: Header=BB309_10 Depth=1
	v_and_b32_e32 v8, 7, v150
	v_lshrrev_b32_e32 v149, 3, v151
	s_mov_b32 s21, exec_lo
	v_cmpx_gt_u32_e32 8, v151
; %bb.382:                              ;   in Loop: Header=BB309_10 Depth=1
	s_delay_alu instid0(VALU_DEP_3) | instskip(NEXT) | instid1(VALU_DEP_1)
	v_clz_i32_u32_e32 v149, v8
	v_min_u32_e32 v149, 32, v149
	s_delay_alu instid0(VALU_DEP_1) | instskip(SKIP_1) | instid1(VALU_DEP_2)
	v_subrev_nc_u32_e32 v151, 28, v149
	v_sub_nc_u32_e32 v149, 29, v149
	v_lshlrev_b64 v[160:161], v151, v[8:9]
	s_delay_alu instid0(VALU_DEP_1)
	v_and_b32_e32 v8, 7, v160
; %bb.383:                              ;   in Loop: Header=BB309_10 Depth=1
	s_or_b32 exec_lo, exec_lo, s21
	v_lshlrev_b32_e32 v151, 8, v150
	v_lshl_add_u32 v149, v149, 10, 0x2000
	s_delay_alu instid0(VALU_DEP_1) | instskip(NEXT) | instid1(VALU_DEP_1)
	v_and_or_b32 v149, 0x8000, v151, v149
	v_lshl_or_b32 v8, v8, 7, v149
	s_delay_alu instid0(VALU_DEP_1)
	v_cvt_f32_f16_e64 v149, v8
.LBB309_384:                            ;   in Loop: Header=BB309_10 Depth=1
	s_or_b32 exec_lo, exec_lo, s20
.LBB309_385:                            ;   in Loop: Header=BB309_10 Depth=1
	s_delay_alu instid0(SALU_CYCLE_1)
	s_or_b32 exec_lo, exec_lo, s19
.LBB309_386:                            ;   in Loop: Header=BB309_10 Depth=1
	s_delay_alu instid0(SALU_CYCLE_1) | instskip(NEXT) | instid1(VALU_DEP_2)
	s_or_b32 exec_lo, exec_lo, s3
	v_lshrrev_b16 v8, 8, v150
	v_dual_mov_b32 v161, 0 :: v_dual_mov_b32 v160, 0
	s_mov_b32 s3, exec_lo
	s_delay_alu instid0(VALU_DEP_2)
	v_cmpx_ne_u16_e32 0, v8
	s_cbranch_execz .LBB309_394
; %bb.387:                              ;   in Loop: Header=BB309_10 Depth=1
	v_bfrev_b32_e32 v160, 1
	s_mov_b32 s19, exec_lo
	v_cmpx_ne_u16_e32 0x80, v8
	s_cbranch_execz .LBB309_393
; %bb.388:                              ;   in Loop: Header=BB309_10 Depth=1
	v_and_b32_e32 v150, 0xffff, v8
	v_mov_b32_e32 v160, 0x7fc02000
	s_mov_b32 s20, exec_lo
	s_delay_alu instid0(VALU_DEP_2) | instskip(NEXT) | instid1(VALU_DEP_1)
	v_and_b32_e32 v162, 0x7f, v150
	v_cmpx_ne_u32_e32 0x7f, v162
	s_cbranch_execz .LBB309_392
; %bb.389:                              ;   in Loop: Header=BB309_10 Depth=1
	v_and_b32_e32 v8, 7, v150
	v_lshrrev_b32_e32 v151, 3, v162
	s_mov_b32 s21, exec_lo
	v_cmpx_gt_u32_e32 8, v162
; %bb.390:                              ;   in Loop: Header=BB309_10 Depth=1
	s_delay_alu instid0(VALU_DEP_3) | instskip(NEXT) | instid1(VALU_DEP_1)
	v_clz_i32_u32_e32 v151, v8
	v_min_u32_e32 v151, 32, v151
	s_delay_alu instid0(VALU_DEP_1) | instskip(SKIP_1) | instid1(VALU_DEP_2)
	v_subrev_nc_u32_e32 v160, 28, v151
	v_sub_nc_u32_e32 v151, 29, v151
	v_lshlrev_b64 v[162:163], v160, v[8:9]
	s_delay_alu instid0(VALU_DEP_1)
	v_and_b32_e32 v8, 7, v162
; %bb.391:                              ;   in Loop: Header=BB309_10 Depth=1
	s_or_b32 exec_lo, exec_lo, s21
	v_lshlrev_b32_e32 v150, 8, v150
	v_lshl_add_u32 v151, v151, 10, 0x2000
	s_delay_alu instid0(VALU_DEP_1) | instskip(NEXT) | instid1(VALU_DEP_1)
	v_and_or_b32 v150, 0x8000, v150, v151
	v_lshl_or_b32 v8, v8, 7, v150
	s_delay_alu instid0(VALU_DEP_1)
	v_cvt_f32_f16_e64 v160, v8
.LBB309_392:                            ;   in Loop: Header=BB309_10 Depth=1
	s_or_b32 exec_lo, exec_lo, s20
.LBB309_393:                            ;   in Loop: Header=BB309_10 Depth=1
	s_delay_alu instid0(SALU_CYCLE_1)
	s_or_b32 exec_lo, exec_lo, s19
.LBB309_394:                            ;   in Loop: Header=BB309_10 Depth=1
	s_delay_alu instid0(SALU_CYCLE_1)
	s_or_b32 exec_lo, exec_lo, s3
	flat_load_u16 v8, v[28:29] offset:1536
	s_mov_b32 s3, exec_lo
	s_waitcnt vmcnt(0) lgkmcnt(0)
	v_and_b32_e32 v151, 0xff, v8
	v_and_b32_e32 v150, 0xffff, v8
	s_delay_alu instid0(VALU_DEP_2)
	v_cmpx_ne_u16_e64 0, v151
	s_cbranch_execz .LBB309_402
; %bb.395:                              ;   in Loop: Header=BB309_10 Depth=1
	s_delay_alu instid0(VALU_DEP_2) | instskip(SKIP_2) | instid1(VALU_DEP_2)
	v_and_b32_e32 v8, 0xff, v150
	v_bfrev_b32_e32 v161, 1
	s_mov_b32 s19, exec_lo
	v_cmpx_ne_u16_e32 0x80, v8
	s_cbranch_execz .LBB309_401
; %bb.396:                              ;   in Loop: Header=BB309_10 Depth=1
	v_and_b32_e32 v162, 0x7f, v150
	v_mov_b32_e32 v161, 0x7fc02000
	s_mov_b32 s20, exec_lo
	s_delay_alu instid0(VALU_DEP_2)
	v_cmpx_ne_u32_e32 0x7f, v162
	s_cbranch_execz .LBB309_400
; %bb.397:                              ;   in Loop: Header=BB309_10 Depth=1
	v_and_b32_e32 v8, 7, v150
	v_lshrrev_b32_e32 v151, 3, v162
	s_mov_b32 s21, exec_lo
	v_cmpx_gt_u32_e32 8, v162
; %bb.398:                              ;   in Loop: Header=BB309_10 Depth=1
	s_delay_alu instid0(VALU_DEP_3) | instskip(NEXT) | instid1(VALU_DEP_1)
	v_clz_i32_u32_e32 v151, v8
	v_min_u32_e32 v151, 32, v151
	s_delay_alu instid0(VALU_DEP_1) | instskip(SKIP_1) | instid1(VALU_DEP_2)
	v_subrev_nc_u32_e32 v161, 28, v151
	v_sub_nc_u32_e32 v151, 29, v151
	v_lshlrev_b64 v[161:162], v161, v[8:9]
	s_delay_alu instid0(VALU_DEP_1)
	v_and_b32_e32 v8, 7, v161
; %bb.399:                              ;   in Loop: Header=BB309_10 Depth=1
	s_or_b32 exec_lo, exec_lo, s21
	v_lshlrev_b32_e32 v161, 8, v150
	v_lshl_add_u32 v151, v151, 10, 0x2000
	s_delay_alu instid0(VALU_DEP_1) | instskip(NEXT) | instid1(VALU_DEP_1)
	v_and_or_b32 v151, 0x8000, v161, v151
	v_lshl_or_b32 v8, v8, 7, v151
	s_delay_alu instid0(VALU_DEP_1)
	v_cvt_f32_f16_e64 v161, v8
.LBB309_400:                            ;   in Loop: Header=BB309_10 Depth=1
	s_or_b32 exec_lo, exec_lo, s20
.LBB309_401:                            ;   in Loop: Header=BB309_10 Depth=1
	s_delay_alu instid0(SALU_CYCLE_1)
	s_or_b32 exec_lo, exec_lo, s19
.LBB309_402:                            ;   in Loop: Header=BB309_10 Depth=1
	s_delay_alu instid0(SALU_CYCLE_1) | instskip(NEXT) | instid1(VALU_DEP_2)
	s_or_b32 exec_lo, exec_lo, s3
	v_lshrrev_b16 v8, 8, v150
	v_dual_mov_b32 v177, 0 :: v_dual_mov_b32 v176, 0
	s_mov_b32 s3, exec_lo
	s_delay_alu instid0(VALU_DEP_2)
	v_cmpx_ne_u16_e32 0, v8
	s_cbranch_execz .LBB309_410
; %bb.403:                              ;   in Loop: Header=BB309_10 Depth=1
	v_bfrev_b32_e32 v176, 1
	s_mov_b32 s19, exec_lo
	v_cmpx_ne_u16_e32 0x80, v8
	s_cbranch_execz .LBB309_409
; %bb.404:                              ;   in Loop: Header=BB309_10 Depth=1
	v_and_b32_e32 v150, 0xffff, v8
	v_mov_b32_e32 v176, 0x7fc02000
	s_mov_b32 s20, exec_lo
	s_delay_alu instid0(VALU_DEP_2) | instskip(NEXT) | instid1(VALU_DEP_1)
	v_and_b32_e32 v162, 0x7f, v150
	v_cmpx_ne_u32_e32 0x7f, v162
	s_cbranch_execz .LBB309_408
; %bb.405:                              ;   in Loop: Header=BB309_10 Depth=1
	v_and_b32_e32 v8, 7, v150
	v_lshrrev_b32_e32 v151, 3, v162
	s_mov_b32 s21, exec_lo
	v_cmpx_gt_u32_e32 8, v162
; %bb.406:                              ;   in Loop: Header=BB309_10 Depth=1
	s_delay_alu instid0(VALU_DEP_3) | instskip(NEXT) | instid1(VALU_DEP_1)
	v_clz_i32_u32_e32 v151, v8
	v_min_u32_e32 v151, 32, v151
	s_delay_alu instid0(VALU_DEP_1) | instskip(SKIP_1) | instid1(VALU_DEP_2)
	v_subrev_nc_u32_e32 v162, 28, v151
	v_sub_nc_u32_e32 v151, 29, v151
	v_lshlrev_b64 v[162:163], v162, v[8:9]
	s_delay_alu instid0(VALU_DEP_1)
	v_and_b32_e32 v8, 7, v162
; %bb.407:                              ;   in Loop: Header=BB309_10 Depth=1
	s_or_b32 exec_lo, exec_lo, s21
	v_lshlrev_b32_e32 v150, 8, v150
	v_lshl_add_u32 v151, v151, 10, 0x2000
	s_delay_alu instid0(VALU_DEP_1) | instskip(NEXT) | instid1(VALU_DEP_1)
	v_and_or_b32 v150, 0x8000, v150, v151
	v_lshl_or_b32 v8, v8, 7, v150
	s_delay_alu instid0(VALU_DEP_1)
	v_cvt_f32_f16_e64 v176, v8
.LBB309_408:                            ;   in Loop: Header=BB309_10 Depth=1
	s_or_b32 exec_lo, exec_lo, s20
.LBB309_409:                            ;   in Loop: Header=BB309_10 Depth=1
	s_delay_alu instid0(SALU_CYCLE_1)
	s_or_b32 exec_lo, exec_lo, s19
.LBB309_410:                            ;   in Loop: Header=BB309_10 Depth=1
	s_delay_alu instid0(SALU_CYCLE_1)
	s_or_b32 exec_lo, exec_lo, s3
	flat_load_u16 v8, v[28:29] offset:1544
	s_mov_b32 s3, exec_lo
	s_waitcnt vmcnt(0) lgkmcnt(0)
	v_and_b32_e32 v151, 0xff, v8
	v_and_b32_e32 v150, 0xffff, v8
	s_delay_alu instid0(VALU_DEP_2)
	v_cmpx_ne_u16_e64 0, v151
	s_cbranch_execz .LBB309_418
; %bb.411:                              ;   in Loop: Header=BB309_10 Depth=1
	s_delay_alu instid0(VALU_DEP_2) | instskip(SKIP_2) | instid1(VALU_DEP_2)
	v_and_b32_e32 v8, 0xff, v150
	v_bfrev_b32_e32 v177, 1
	s_mov_b32 s19, exec_lo
	v_cmpx_ne_u16_e32 0x80, v8
	s_cbranch_execz .LBB309_417
; %bb.412:                              ;   in Loop: Header=BB309_10 Depth=1
	v_and_b32_e32 v162, 0x7f, v150
	v_mov_b32_e32 v177, 0x7fc02000
	s_mov_b32 s20, exec_lo
	s_delay_alu instid0(VALU_DEP_2)
	v_cmpx_ne_u32_e32 0x7f, v162
	s_cbranch_execz .LBB309_416
; %bb.413:                              ;   in Loop: Header=BB309_10 Depth=1
	v_and_b32_e32 v8, 7, v150
	v_lshrrev_b32_e32 v151, 3, v162
	s_mov_b32 s21, exec_lo
	v_cmpx_gt_u32_e32 8, v162
; %bb.414:                              ;   in Loop: Header=BB309_10 Depth=1
	s_delay_alu instid0(VALU_DEP_3) | instskip(NEXT) | instid1(VALU_DEP_1)
	v_clz_i32_u32_e32 v151, v8
	v_min_u32_e32 v151, 32, v151
	s_delay_alu instid0(VALU_DEP_1) | instskip(SKIP_1) | instid1(VALU_DEP_2)
	v_subrev_nc_u32_e32 v162, 28, v151
	v_sub_nc_u32_e32 v151, 29, v151
	v_lshlrev_b64 v[162:163], v162, v[8:9]
	s_delay_alu instid0(VALU_DEP_1)
	v_and_b32_e32 v8, 7, v162
; %bb.415:                              ;   in Loop: Header=BB309_10 Depth=1
	s_or_b32 exec_lo, exec_lo, s21
	v_lshlrev_b32_e32 v162, 8, v150
	v_lshl_add_u32 v151, v151, 10, 0x2000
	s_delay_alu instid0(VALU_DEP_1) | instskip(NEXT) | instid1(VALU_DEP_1)
	v_and_or_b32 v151, 0x8000, v162, v151
	v_lshl_or_b32 v8, v8, 7, v151
	s_delay_alu instid0(VALU_DEP_1)
	v_cvt_f32_f16_e64 v177, v8
.LBB309_416:                            ;   in Loop: Header=BB309_10 Depth=1
	s_or_b32 exec_lo, exec_lo, s20
.LBB309_417:                            ;   in Loop: Header=BB309_10 Depth=1
	s_delay_alu instid0(SALU_CYCLE_1)
	s_or_b32 exec_lo, exec_lo, s19
.LBB309_418:                            ;   in Loop: Header=BB309_10 Depth=1
	s_delay_alu instid0(SALU_CYCLE_1) | instskip(NEXT) | instid1(VALU_DEP_2)
	s_or_b32 exec_lo, exec_lo, s3
	v_lshrrev_b16 v8, 8, v150
	v_dual_mov_b32 v166, 0 :: v_dual_mov_b32 v179, 0
	s_mov_b32 s3, exec_lo
	s_delay_alu instid0(VALU_DEP_2)
	v_cmpx_ne_u16_e32 0, v8
	s_cbranch_execz .LBB309_426
; %bb.419:                              ;   in Loop: Header=BB309_10 Depth=1
	v_bfrev_b32_e32 v179, 1
	s_mov_b32 s19, exec_lo
	v_cmpx_ne_u16_e32 0x80, v8
	s_cbranch_execz .LBB309_425
; %bb.420:                              ;   in Loop: Header=BB309_10 Depth=1
	v_and_b32_e32 v150, 0xffff, v8
	v_mov_b32_e32 v179, 0x7fc02000
	s_mov_b32 s20, exec_lo
	s_delay_alu instid0(VALU_DEP_2) | instskip(NEXT) | instid1(VALU_DEP_1)
	v_and_b32_e32 v162, 0x7f, v150
	v_cmpx_ne_u32_e32 0x7f, v162
	s_cbranch_execz .LBB309_424
; %bb.421:                              ;   in Loop: Header=BB309_10 Depth=1
	v_and_b32_e32 v8, 7, v150
	v_lshrrev_b32_e32 v151, 3, v162
	s_mov_b32 s21, exec_lo
	v_cmpx_gt_u32_e32 8, v162
; %bb.422:                              ;   in Loop: Header=BB309_10 Depth=1
	s_delay_alu instid0(VALU_DEP_3) | instskip(NEXT) | instid1(VALU_DEP_1)
	v_clz_i32_u32_e32 v151, v8
	v_min_u32_e32 v151, 32, v151
	s_delay_alu instid0(VALU_DEP_1) | instskip(SKIP_1) | instid1(VALU_DEP_2)
	v_subrev_nc_u32_e32 v162, 28, v151
	v_sub_nc_u32_e32 v151, 29, v151
	v_lshlrev_b64 v[162:163], v162, v[8:9]
	s_delay_alu instid0(VALU_DEP_1)
	v_and_b32_e32 v8, 7, v162
; %bb.423:                              ;   in Loop: Header=BB309_10 Depth=1
	s_or_b32 exec_lo, exec_lo, s21
	v_lshlrev_b32_e32 v150, 8, v150
	v_lshl_add_u32 v151, v151, 10, 0x2000
	s_delay_alu instid0(VALU_DEP_1) | instskip(NEXT) | instid1(VALU_DEP_1)
	v_and_or_b32 v150, 0x8000, v150, v151
	v_lshl_or_b32 v8, v8, 7, v150
	s_delay_alu instid0(VALU_DEP_1)
	v_cvt_f32_f16_e64 v179, v8
.LBB309_424:                            ;   in Loop: Header=BB309_10 Depth=1
	s_or_b32 exec_lo, exec_lo, s20
.LBB309_425:                            ;   in Loop: Header=BB309_10 Depth=1
	s_delay_alu instid0(SALU_CYCLE_1)
	s_or_b32 exec_lo, exec_lo, s19
.LBB309_426:                            ;   in Loop: Header=BB309_10 Depth=1
	s_delay_alu instid0(SALU_CYCLE_1)
	s_or_b32 exec_lo, exec_lo, s3
	flat_load_u16 v8, v[28:29] offset:1664
	s_mov_b32 s3, exec_lo
	s_waitcnt vmcnt(0) lgkmcnt(0)
	v_and_b32_e32 v151, 0xff, v8
	v_and_b32_e32 v150, 0xffff, v8
	s_delay_alu instid0(VALU_DEP_2)
	v_cmpx_ne_u16_e64 0, v151
	s_cbranch_execz .LBB309_434
; %bb.427:                              ;   in Loop: Header=BB309_10 Depth=1
	s_delay_alu instid0(VALU_DEP_2) | instskip(SKIP_2) | instid1(VALU_DEP_2)
	v_and_b32_e32 v8, 0xff, v150
	v_bfrev_b32_e32 v166, 1
	s_mov_b32 s19, exec_lo
	v_cmpx_ne_u16_e32 0x80, v8
	s_cbranch_execz .LBB309_433
; %bb.428:                              ;   in Loop: Header=BB309_10 Depth=1
	v_and_b32_e32 v162, 0x7f, v150
	v_mov_b32_e32 v166, 0x7fc02000
	s_mov_b32 s20, exec_lo
	s_delay_alu instid0(VALU_DEP_2)
	v_cmpx_ne_u32_e32 0x7f, v162
	s_cbranch_execz .LBB309_432
; %bb.429:                              ;   in Loop: Header=BB309_10 Depth=1
	v_and_b32_e32 v8, 7, v150
	v_lshrrev_b32_e32 v151, 3, v162
	s_mov_b32 s21, exec_lo
	v_cmpx_gt_u32_e32 8, v162
; %bb.430:                              ;   in Loop: Header=BB309_10 Depth=1
	s_delay_alu instid0(VALU_DEP_3) | instskip(NEXT) | instid1(VALU_DEP_1)
	v_clz_i32_u32_e32 v151, v8
	v_min_u32_e32 v151, 32, v151
	s_delay_alu instid0(VALU_DEP_1) | instskip(SKIP_1) | instid1(VALU_DEP_2)
	v_subrev_nc_u32_e32 v162, 28, v151
	v_sub_nc_u32_e32 v151, 29, v151
	v_lshlrev_b64 v[162:163], v162, v[8:9]
	s_delay_alu instid0(VALU_DEP_1)
	v_and_b32_e32 v8, 7, v162
; %bb.431:                              ;   in Loop: Header=BB309_10 Depth=1
	s_or_b32 exec_lo, exec_lo, s21
	v_lshlrev_b32_e32 v162, 8, v150
	v_lshl_add_u32 v151, v151, 10, 0x2000
	s_delay_alu instid0(VALU_DEP_1) | instskip(NEXT) | instid1(VALU_DEP_1)
	v_and_or_b32 v151, 0x8000, v162, v151
	v_lshl_or_b32 v8, v8, 7, v151
	s_delay_alu instid0(VALU_DEP_1)
	v_cvt_f32_f16_e64 v166, v8
.LBB309_432:                            ;   in Loop: Header=BB309_10 Depth=1
	s_or_b32 exec_lo, exec_lo, s20
.LBB309_433:                            ;   in Loop: Header=BB309_10 Depth=1
	s_delay_alu instid0(SALU_CYCLE_1)
	s_or_b32 exec_lo, exec_lo, s19
.LBB309_434:                            ;   in Loop: Header=BB309_10 Depth=1
	s_delay_alu instid0(SALU_CYCLE_1) | instskip(NEXT) | instid1(VALU_DEP_2)
	s_or_b32 exec_lo, exec_lo, s3
	v_lshrrev_b16 v8, 8, v150
	v_mov_b32_e32 v164, 0
	v_mov_b32_e32 v178, 0
	s_mov_b32 s3, exec_lo
	s_delay_alu instid0(VALU_DEP_3)
	v_cmpx_ne_u16_e32 0, v8
	s_cbranch_execz .LBB309_442
; %bb.435:                              ;   in Loop: Header=BB309_10 Depth=1
	v_bfrev_b32_e32 v178, 1
	s_mov_b32 s19, exec_lo
	v_cmpx_ne_u16_e32 0x80, v8
	s_cbranch_execz .LBB309_441
; %bb.436:                              ;   in Loop: Header=BB309_10 Depth=1
	v_and_b32_e32 v150, 0xffff, v8
	v_mov_b32_e32 v178, 0x7fc02000
	s_mov_b32 s20, exec_lo
	s_delay_alu instid0(VALU_DEP_2) | instskip(NEXT) | instid1(VALU_DEP_1)
	v_and_b32_e32 v162, 0x7f, v150
	v_cmpx_ne_u32_e32 0x7f, v162
	s_cbranch_execz .LBB309_440
; %bb.437:                              ;   in Loop: Header=BB309_10 Depth=1
	v_and_b32_e32 v8, 7, v150
	v_lshrrev_b32_e32 v151, 3, v162
	s_mov_b32 s21, exec_lo
	v_cmpx_gt_u32_e32 8, v162
; %bb.438:                              ;   in Loop: Header=BB309_10 Depth=1
	s_delay_alu instid0(VALU_DEP_3) | instskip(NEXT) | instid1(VALU_DEP_1)
	v_clz_i32_u32_e32 v151, v8
	v_min_u32_e32 v151, 32, v151
	s_delay_alu instid0(VALU_DEP_1) | instskip(SKIP_1) | instid1(VALU_DEP_2)
	v_subrev_nc_u32_e32 v162, 28, v151
	v_sub_nc_u32_e32 v151, 29, v151
	v_lshlrev_b64 v[162:163], v162, v[8:9]
	s_delay_alu instid0(VALU_DEP_1)
	v_and_b32_e32 v8, 7, v162
; %bb.439:                              ;   in Loop: Header=BB309_10 Depth=1
	s_or_b32 exec_lo, exec_lo, s21
	v_lshlrev_b32_e32 v150, 8, v150
	v_lshl_add_u32 v151, v151, 10, 0x2000
	s_delay_alu instid0(VALU_DEP_1) | instskip(NEXT) | instid1(VALU_DEP_1)
	v_and_or_b32 v150, 0x8000, v150, v151
	v_lshl_or_b32 v8, v8, 7, v150
	s_delay_alu instid0(VALU_DEP_1)
	v_cvt_f32_f16_e64 v178, v8
.LBB309_440:                            ;   in Loop: Header=BB309_10 Depth=1
	s_or_b32 exec_lo, exec_lo, s20
.LBB309_441:                            ;   in Loop: Header=BB309_10 Depth=1
	s_delay_alu instid0(SALU_CYCLE_1)
	s_or_b32 exec_lo, exec_lo, s19
.LBB309_442:                            ;   in Loop: Header=BB309_10 Depth=1
	s_delay_alu instid0(SALU_CYCLE_1)
	s_or_b32 exec_lo, exec_lo, s3
	flat_load_u16 v8, v[28:29] offset:1672
	s_mov_b32 s3, exec_lo
	s_waitcnt vmcnt(0) lgkmcnt(0)
	v_and_b32_e32 v151, 0xff, v8
	v_and_b32_e32 v150, 0xffff, v8
	s_delay_alu instid0(VALU_DEP_2)
	v_cmpx_ne_u16_e64 0, v151
	s_cbranch_execz .LBB309_450
; %bb.443:                              ;   in Loop: Header=BB309_10 Depth=1
	s_delay_alu instid0(VALU_DEP_2) | instskip(SKIP_2) | instid1(VALU_DEP_2)
	v_and_b32_e32 v8, 0xff, v150
	v_bfrev_b32_e32 v164, 1
	s_mov_b32 s19, exec_lo
	v_cmpx_ne_u16_e32 0x80, v8
	s_cbranch_execz .LBB309_449
; %bb.444:                              ;   in Loop: Header=BB309_10 Depth=1
	v_and_b32_e32 v162, 0x7f, v150
	v_mov_b32_e32 v164, 0x7fc02000
	s_mov_b32 s20, exec_lo
	s_delay_alu instid0(VALU_DEP_2)
	v_cmpx_ne_u32_e32 0x7f, v162
	s_cbranch_execz .LBB309_448
; %bb.445:                              ;   in Loop: Header=BB309_10 Depth=1
	v_and_b32_e32 v8, 7, v150
	v_lshrrev_b32_e32 v151, 3, v162
	s_mov_b32 s21, exec_lo
	v_cmpx_gt_u32_e32 8, v162
; %bb.446:                              ;   in Loop: Header=BB309_10 Depth=1
	s_delay_alu instid0(VALU_DEP_3) | instskip(NEXT) | instid1(VALU_DEP_1)
	v_clz_i32_u32_e32 v151, v8
	v_min_u32_e32 v151, 32, v151
	s_delay_alu instid0(VALU_DEP_1) | instskip(SKIP_1) | instid1(VALU_DEP_2)
	v_subrev_nc_u32_e32 v162, 28, v151
	v_sub_nc_u32_e32 v151, 29, v151
	v_lshlrev_b64 v[162:163], v162, v[8:9]
	s_delay_alu instid0(VALU_DEP_1)
	v_and_b32_e32 v8, 7, v162
; %bb.447:                              ;   in Loop: Header=BB309_10 Depth=1
	s_or_b32 exec_lo, exec_lo, s21
	v_lshlrev_b32_e32 v162, 8, v150
	v_lshl_add_u32 v151, v151, 10, 0x2000
	s_delay_alu instid0(VALU_DEP_1) | instskip(NEXT) | instid1(VALU_DEP_1)
	v_and_or_b32 v151, 0x8000, v162, v151
	v_lshl_or_b32 v8, v8, 7, v151
	s_delay_alu instid0(VALU_DEP_1)
	v_cvt_f32_f16_e64 v164, v8
.LBB309_448:                            ;   in Loop: Header=BB309_10 Depth=1
	s_or_b32 exec_lo, exec_lo, s20
.LBB309_449:                            ;   in Loop: Header=BB309_10 Depth=1
	s_delay_alu instid0(SALU_CYCLE_1)
	s_or_b32 exec_lo, exec_lo, s19
.LBB309_450:                            ;   in Loop: Header=BB309_10 Depth=1
	s_delay_alu instid0(SALU_CYCLE_1) | instskip(NEXT) | instid1(VALU_DEP_2)
	s_or_b32 exec_lo, exec_lo, s3
	v_lshrrev_b16 v8, 8, v150
	v_dual_mov_b32 v162, 0 :: v_dual_mov_b32 v167, 0
	s_mov_b32 s3, exec_lo
	s_delay_alu instid0(VALU_DEP_2)
	v_cmpx_ne_u16_e32 0, v8
	s_cbranch_execz .LBB309_458
; %bb.451:                              ;   in Loop: Header=BB309_10 Depth=1
	v_bfrev_b32_e32 v167, 1
	s_mov_b32 s19, exec_lo
	v_cmpx_ne_u16_e32 0x80, v8
	s_cbranch_execz .LBB309_457
; %bb.452:                              ;   in Loop: Header=BB309_10 Depth=1
	v_and_b32_e32 v150, 0xffff, v8
	v_mov_b32_e32 v167, 0x7fc02000
	s_mov_b32 s20, exec_lo
	s_delay_alu instid0(VALU_DEP_2) | instskip(NEXT) | instid1(VALU_DEP_1)
	v_and_b32_e32 v163, 0x7f, v150
	v_cmpx_ne_u32_e32 0x7f, v163
	s_cbranch_execz .LBB309_456
; %bb.453:                              ;   in Loop: Header=BB309_10 Depth=1
	v_and_b32_e32 v8, 7, v150
	v_lshrrev_b32_e32 v151, 3, v163
	s_mov_b32 s21, exec_lo
	v_cmpx_gt_u32_e32 8, v163
; %bb.454:                              ;   in Loop: Header=BB309_10 Depth=1
	s_delay_alu instid0(VALU_DEP_3) | instskip(NEXT) | instid1(VALU_DEP_1)
	v_clz_i32_u32_e32 v151, v8
	v_min_u32_e32 v151, 32, v151
	s_delay_alu instid0(VALU_DEP_1) | instskip(SKIP_1) | instid1(VALU_DEP_2)
	v_subrev_nc_u32_e32 v163, 28, v151
	v_sub_nc_u32_e32 v151, 29, v151
	v_lshlrev_b64 v[180:181], v163, v[8:9]
	s_delay_alu instid0(VALU_DEP_1)
	v_and_b32_e32 v8, 7, v180
; %bb.455:                              ;   in Loop: Header=BB309_10 Depth=1
	s_or_b32 exec_lo, exec_lo, s21
	v_lshlrev_b32_e32 v150, 8, v150
	v_lshl_add_u32 v151, v151, 10, 0x2000
	s_delay_alu instid0(VALU_DEP_1) | instskip(NEXT) | instid1(VALU_DEP_1)
	v_and_or_b32 v150, 0x8000, v150, v151
	v_lshl_or_b32 v8, v8, 7, v150
	s_delay_alu instid0(VALU_DEP_1)
	v_cvt_f32_f16_e64 v167, v8
.LBB309_456:                            ;   in Loop: Header=BB309_10 Depth=1
	s_or_b32 exec_lo, exec_lo, s20
.LBB309_457:                            ;   in Loop: Header=BB309_10 Depth=1
	s_delay_alu instid0(SALU_CYCLE_1)
	s_or_b32 exec_lo, exec_lo, s19
.LBB309_458:                            ;   in Loop: Header=BB309_10 Depth=1
	s_delay_alu instid0(SALU_CYCLE_1)
	s_or_b32 exec_lo, exec_lo, s3
	flat_load_u16 v8, v[28:29] offset:1792
	s_mov_b32 s3, exec_lo
	s_waitcnt vmcnt(0) lgkmcnt(0)
	v_and_b32_e32 v151, 0xff, v8
	v_and_b32_e32 v150, 0xffff, v8
	s_delay_alu instid0(VALU_DEP_2)
	v_cmpx_ne_u16_e64 0, v151
	s_cbranch_execz .LBB309_466
; %bb.459:                              ;   in Loop: Header=BB309_10 Depth=1
	s_delay_alu instid0(VALU_DEP_2) | instskip(SKIP_2) | instid1(VALU_DEP_2)
	v_and_b32_e32 v8, 0xff, v150
	v_bfrev_b32_e32 v162, 1
	s_mov_b32 s19, exec_lo
	v_cmpx_ne_u16_e32 0x80, v8
	s_cbranch_execz .LBB309_465
; %bb.460:                              ;   in Loop: Header=BB309_10 Depth=1
	v_and_b32_e32 v163, 0x7f, v150
	v_mov_b32_e32 v162, 0x7fc02000
	s_mov_b32 s20, exec_lo
	s_delay_alu instid0(VALU_DEP_2)
	v_cmpx_ne_u32_e32 0x7f, v163
	s_cbranch_execz .LBB309_464
; %bb.461:                              ;   in Loop: Header=BB309_10 Depth=1
	v_and_b32_e32 v8, 7, v150
	v_lshrrev_b32_e32 v151, 3, v163
	s_mov_b32 s21, exec_lo
	v_cmpx_gt_u32_e32 8, v163
; %bb.462:                              ;   in Loop: Header=BB309_10 Depth=1
	s_delay_alu instid0(VALU_DEP_3) | instskip(NEXT) | instid1(VALU_DEP_1)
	v_clz_i32_u32_e32 v151, v8
	v_min_u32_e32 v151, 32, v151
	s_delay_alu instid0(VALU_DEP_1) | instskip(SKIP_1) | instid1(VALU_DEP_2)
	v_subrev_nc_u32_e32 v162, 28, v151
	v_sub_nc_u32_e32 v151, 29, v151
	v_lshlrev_b64 v[162:163], v162, v[8:9]
	s_delay_alu instid0(VALU_DEP_1)
	v_and_b32_e32 v8, 7, v162
; %bb.463:                              ;   in Loop: Header=BB309_10 Depth=1
	s_or_b32 exec_lo, exec_lo, s21
	v_lshlrev_b32_e32 v162, 8, v150
	v_lshl_add_u32 v151, v151, 10, 0x2000
	s_delay_alu instid0(VALU_DEP_1) | instskip(NEXT) | instid1(VALU_DEP_1)
	v_and_or_b32 v151, 0x8000, v162, v151
	v_lshl_or_b32 v8, v8, 7, v151
	s_delay_alu instid0(VALU_DEP_1)
	v_cvt_f32_f16_e64 v162, v8
.LBB309_464:                            ;   in Loop: Header=BB309_10 Depth=1
	s_or_b32 exec_lo, exec_lo, s20
.LBB309_465:                            ;   in Loop: Header=BB309_10 Depth=1
	s_delay_alu instid0(SALU_CYCLE_1)
	s_or_b32 exec_lo, exec_lo, s19
.LBB309_466:                            ;   in Loop: Header=BB309_10 Depth=1
	s_delay_alu instid0(SALU_CYCLE_1) | instskip(NEXT) | instid1(VALU_DEP_2)
	s_or_b32 exec_lo, exec_lo, s3
	v_lshrrev_b16 v8, 8, v150
	v_dual_mov_b32 v150, 0 :: v_dual_mov_b32 v165, 0
	s_mov_b32 s3, exec_lo
	s_delay_alu instid0(VALU_DEP_2)
	v_cmpx_ne_u16_e32 0, v8
	s_cbranch_execz .LBB309_474
; %bb.467:                              ;   in Loop: Header=BB309_10 Depth=1
	v_bfrev_b32_e32 v165, 1
	s_mov_b32 s19, exec_lo
	v_cmpx_ne_u16_e32 0x80, v8
	s_cbranch_execz .LBB309_473
; %bb.468:                              ;   in Loop: Header=BB309_10 Depth=1
	v_and_b32_e32 v151, 0xffff, v8
	v_mov_b32_e32 v165, 0x7fc02000
	s_mov_b32 s20, exec_lo
	s_delay_alu instid0(VALU_DEP_2) | instskip(NEXT) | instid1(VALU_DEP_1)
	v_and_b32_e32 v180, 0x7f, v151
	v_cmpx_ne_u32_e32 0x7f, v180
	s_cbranch_execz .LBB309_472
; %bb.469:                              ;   in Loop: Header=BB309_10 Depth=1
	v_and_b32_e32 v8, 7, v151
	v_lshrrev_b32_e32 v163, 3, v180
	s_mov_b32 s21, exec_lo
	v_cmpx_gt_u32_e32 8, v180
; %bb.470:                              ;   in Loop: Header=BB309_10 Depth=1
	s_delay_alu instid0(VALU_DEP_3) | instskip(NEXT) | instid1(VALU_DEP_1)
	v_clz_i32_u32_e32 v163, v8
	v_min_u32_e32 v163, 32, v163
	s_delay_alu instid0(VALU_DEP_1) | instskip(SKIP_1) | instid1(VALU_DEP_2)
	v_subrev_nc_u32_e32 v165, 28, v163
	v_sub_nc_u32_e32 v163, 29, v163
	v_lshlrev_b64 v[180:181], v165, v[8:9]
	s_delay_alu instid0(VALU_DEP_1)
	v_and_b32_e32 v8, 7, v180
; %bb.471:                              ;   in Loop: Header=BB309_10 Depth=1
	s_or_b32 exec_lo, exec_lo, s21
	v_lshlrev_b32_e32 v151, 8, v151
	v_lshl_add_u32 v163, v163, 10, 0x2000
	s_delay_alu instid0(VALU_DEP_1) | instskip(NEXT) | instid1(VALU_DEP_1)
	v_and_or_b32 v151, 0x8000, v151, v163
	v_lshl_or_b32 v8, v8, 7, v151
	s_delay_alu instid0(VALU_DEP_1)
	v_cvt_f32_f16_e64 v165, v8
.LBB309_472:                            ;   in Loop: Header=BB309_10 Depth=1
	s_or_b32 exec_lo, exec_lo, s20
.LBB309_473:                            ;   in Loop: Header=BB309_10 Depth=1
	s_delay_alu instid0(SALU_CYCLE_1)
	s_or_b32 exec_lo, exec_lo, s19
.LBB309_474:                            ;   in Loop: Header=BB309_10 Depth=1
	s_delay_alu instid0(SALU_CYCLE_1)
	s_or_b32 exec_lo, exec_lo, s3
	flat_load_u16 v8, v[28:29] offset:1800
	s_mov_b32 s3, exec_lo
	s_waitcnt vmcnt(0) lgkmcnt(0)
	v_and_b32_e32 v163, 0xff, v8
	v_and_b32_e32 v151, 0xffff, v8
	s_delay_alu instid0(VALU_DEP_2)
	v_cmpx_ne_u16_e64 0, v163
	s_cbranch_execz .LBB309_482
; %bb.475:                              ;   in Loop: Header=BB309_10 Depth=1
	s_delay_alu instid0(VALU_DEP_2) | instskip(SKIP_2) | instid1(VALU_DEP_2)
	v_and_b32_e32 v8, 0xff, v151
	v_bfrev_b32_e32 v150, 1
	s_mov_b32 s19, exec_lo
	v_cmpx_ne_u16_e32 0x80, v8
	s_cbranch_execz .LBB309_481
; %bb.476:                              ;   in Loop: Header=BB309_10 Depth=1
	v_and_b32_e32 v163, 0x7f, v151
	v_mov_b32_e32 v150, 0x7fc02000
	s_mov_b32 s20, exec_lo
	s_delay_alu instid0(VALU_DEP_2)
	v_cmpx_ne_u32_e32 0x7f, v163
	s_cbranch_execz .LBB309_480
; %bb.477:                              ;   in Loop: Header=BB309_10 Depth=1
	v_and_b32_e32 v8, 7, v151
	v_lshrrev_b32_e32 v150, 3, v163
	s_mov_b32 s21, exec_lo
	v_cmpx_gt_u32_e32 8, v163
; %bb.478:                              ;   in Loop: Header=BB309_10 Depth=1
	s_delay_alu instid0(VALU_DEP_3) | instskip(NEXT) | instid1(VALU_DEP_1)
	v_clz_i32_u32_e32 v150, v8
	v_min_u32_e32 v150, 32, v150
	s_delay_alu instid0(VALU_DEP_1) | instskip(SKIP_1) | instid1(VALU_DEP_2)
	v_subrev_nc_u32_e32 v163, 28, v150
	v_sub_nc_u32_e32 v150, 29, v150
	v_lshlrev_b64 v[180:181], v163, v[8:9]
	s_delay_alu instid0(VALU_DEP_1)
	v_and_b32_e32 v8, 7, v180
; %bb.479:                              ;   in Loop: Header=BB309_10 Depth=1
	s_or_b32 exec_lo, exec_lo, s21
	v_lshlrev_b32_e32 v163, 8, v151
	v_lshl_add_u32 v150, v150, 10, 0x2000
	s_delay_alu instid0(VALU_DEP_1) | instskip(NEXT) | instid1(VALU_DEP_1)
	v_and_or_b32 v150, 0x8000, v163, v150
	v_lshl_or_b32 v8, v8, 7, v150
	s_delay_alu instid0(VALU_DEP_1)
	v_cvt_f32_f16_e64 v150, v8
.LBB309_480:                            ;   in Loop: Header=BB309_10 Depth=1
	s_or_b32 exec_lo, exec_lo, s20
.LBB309_481:                            ;   in Loop: Header=BB309_10 Depth=1
	s_delay_alu instid0(SALU_CYCLE_1)
	s_or_b32 exec_lo, exec_lo, s19
.LBB309_482:                            ;   in Loop: Header=BB309_10 Depth=1
	s_delay_alu instid0(SALU_CYCLE_1) | instskip(NEXT) | instid1(VALU_DEP_2)
	s_or_b32 exec_lo, exec_lo, s3
	v_lshrrev_b16 v8, 8, v151
	v_mov_b32_e32 v151, 0
	v_mov_b32_e32 v163, 0
	s_mov_b32 s3, exec_lo
	s_delay_alu instid0(VALU_DEP_3)
	v_cmpx_ne_u16_e32 0, v8
	s_cbranch_execz .LBB309_490
; %bb.483:                              ;   in Loop: Header=BB309_10 Depth=1
	v_bfrev_b32_e32 v163, 1
	s_mov_b32 s19, exec_lo
	v_cmpx_ne_u16_e32 0x80, v8
	s_cbranch_execz .LBB309_489
; %bb.484:                              ;   in Loop: Header=BB309_10 Depth=1
	v_and_b32_e32 v180, 0xffff, v8
	v_mov_b32_e32 v163, 0x7fc02000
	s_mov_b32 s20, exec_lo
	s_delay_alu instid0(VALU_DEP_2) | instskip(NEXT) | instid1(VALU_DEP_1)
	v_and_b32_e32 v181, 0x7f, v180
	v_cmpx_ne_u32_e32 0x7f, v181
	s_cbranch_execz .LBB309_488
; %bb.485:                              ;   in Loop: Header=BB309_10 Depth=1
	v_and_b32_e32 v8, 7, v180
	v_lshrrev_b32_e32 v163, 3, v181
	s_mov_b32 s21, exec_lo
	v_cmpx_gt_u32_e32 8, v181
; %bb.486:                              ;   in Loop: Header=BB309_10 Depth=1
	s_delay_alu instid0(VALU_DEP_3) | instskip(NEXT) | instid1(VALU_DEP_1)
	v_clz_i32_u32_e32 v163, v8
	v_min_u32_e32 v163, 32, v163
	s_delay_alu instid0(VALU_DEP_1) | instskip(SKIP_1) | instid1(VALU_DEP_2)
	v_subrev_nc_u32_e32 v181, 28, v163
	v_sub_nc_u32_e32 v163, 29, v163
	v_lshlrev_b64 v[181:182], v181, v[8:9]
	s_delay_alu instid0(VALU_DEP_1)
	v_and_b32_e32 v8, 7, v181
; %bb.487:                              ;   in Loop: Header=BB309_10 Depth=1
	s_or_b32 exec_lo, exec_lo, s21
	v_lshlrev_b32_e32 v180, 8, v180
	v_lshl_add_u32 v163, v163, 10, 0x2000
	s_delay_alu instid0(VALU_DEP_1) | instskip(NEXT) | instid1(VALU_DEP_1)
	v_and_or_b32 v163, 0x8000, v180, v163
	v_lshl_or_b32 v8, v8, 7, v163
	s_delay_alu instid0(VALU_DEP_1)
	v_cvt_f32_f16_e64 v163, v8
.LBB309_488:                            ;   in Loop: Header=BB309_10 Depth=1
	s_or_b32 exec_lo, exec_lo, s20
.LBB309_489:                            ;   in Loop: Header=BB309_10 Depth=1
	s_delay_alu instid0(SALU_CYCLE_1)
	s_or_b32 exec_lo, exec_lo, s19
.LBB309_490:                            ;   in Loop: Header=BB309_10 Depth=1
	s_delay_alu instid0(SALU_CYCLE_1)
	s_or_b32 exec_lo, exec_lo, s3
	flat_load_u16 v8, v[28:29] offset:1920
	s_mov_b32 s3, exec_lo
	s_waitcnt vmcnt(0) lgkmcnt(0)
	v_and_b32_e32 v181, 0xff, v8
	v_and_b32_e32 v180, 0xffff, v8
	s_delay_alu instid0(VALU_DEP_2)
	v_cmpx_ne_u16_e64 0, v181
	s_cbranch_execz .LBB309_498
; %bb.491:                              ;   in Loop: Header=BB309_10 Depth=1
	s_delay_alu instid0(VALU_DEP_2) | instskip(SKIP_2) | instid1(VALU_DEP_2)
	v_and_b32_e32 v8, 0xff, v180
	v_bfrev_b32_e32 v151, 1
	s_mov_b32 s19, exec_lo
	v_cmpx_ne_u16_e32 0x80, v8
	s_cbranch_execz .LBB309_497
; %bb.492:                              ;   in Loop: Header=BB309_10 Depth=1
	v_and_b32_e32 v181, 0x7f, v180
	v_mov_b32_e32 v151, 0x7fc02000
	s_mov_b32 s20, exec_lo
	s_delay_alu instid0(VALU_DEP_2)
	v_cmpx_ne_u32_e32 0x7f, v181
	s_cbranch_execz .LBB309_496
; %bb.493:                              ;   in Loop: Header=BB309_10 Depth=1
	v_and_b32_e32 v8, 7, v180
	v_lshrrev_b32_e32 v151, 3, v181
	s_mov_b32 s21, exec_lo
	v_cmpx_gt_u32_e32 8, v181
; %bb.494:                              ;   in Loop: Header=BB309_10 Depth=1
	s_delay_alu instid0(VALU_DEP_3) | instskip(NEXT) | instid1(VALU_DEP_1)
	v_clz_i32_u32_e32 v151, v8
	v_min_u32_e32 v151, 32, v151
	s_delay_alu instid0(VALU_DEP_1) | instskip(SKIP_1) | instid1(VALU_DEP_2)
	v_subrev_nc_u32_e32 v181, 28, v151
	v_sub_nc_u32_e32 v151, 29, v151
	v_lshlrev_b64 v[181:182], v181, v[8:9]
	s_delay_alu instid0(VALU_DEP_1)
	v_and_b32_e32 v8, 7, v181
; %bb.495:                              ;   in Loop: Header=BB309_10 Depth=1
	s_or_b32 exec_lo, exec_lo, s21
	v_lshlrev_b32_e32 v181, 8, v180
	v_lshl_add_u32 v151, v151, 10, 0x2000
	s_delay_alu instid0(VALU_DEP_1) | instskip(NEXT) | instid1(VALU_DEP_1)
	v_and_or_b32 v151, 0x8000, v181, v151
	v_lshl_or_b32 v8, v8, 7, v151
	s_delay_alu instid0(VALU_DEP_1)
	v_cvt_f32_f16_e64 v151, v8
.LBB309_496:                            ;   in Loop: Header=BB309_10 Depth=1
	s_or_b32 exec_lo, exec_lo, s20
.LBB309_497:                            ;   in Loop: Header=BB309_10 Depth=1
	s_delay_alu instid0(SALU_CYCLE_1)
	s_or_b32 exec_lo, exec_lo, s19
.LBB309_498:                            ;   in Loop: Header=BB309_10 Depth=1
	s_delay_alu instid0(SALU_CYCLE_1) | instskip(NEXT) | instid1(VALU_DEP_2)
	s_or_b32 exec_lo, exec_lo, s3
	v_lshrrev_b16 v8, 8, v180
	v_dual_mov_b32 v180, 0 :: v_dual_mov_b32 v181, 0
	s_mov_b32 s3, exec_lo
	s_delay_alu instid0(VALU_DEP_2)
	v_cmpx_ne_u16_e32 0, v8
	s_cbranch_execz .LBB309_506
; %bb.499:                              ;   in Loop: Header=BB309_10 Depth=1
	v_bfrev_b32_e32 v181, 1
	s_mov_b32 s19, exec_lo
	v_cmpx_ne_u16_e32 0x80, v8
	s_cbranch_execz .LBB309_505
; %bb.500:                              ;   in Loop: Header=BB309_10 Depth=1
	v_and_b32_e32 v182, 0xffff, v8
	v_mov_b32_e32 v181, 0x7fc02000
	s_mov_b32 s20, exec_lo
	s_delay_alu instid0(VALU_DEP_2) | instskip(NEXT) | instid1(VALU_DEP_1)
	v_and_b32_e32 v183, 0x7f, v182
	v_cmpx_ne_u32_e32 0x7f, v183
	s_cbranch_execz .LBB309_504
; %bb.501:                              ;   in Loop: Header=BB309_10 Depth=1
	v_and_b32_e32 v8, 7, v182
	v_lshrrev_b32_e32 v181, 3, v183
	s_mov_b32 s21, exec_lo
	v_cmpx_gt_u32_e32 8, v183
; %bb.502:                              ;   in Loop: Header=BB309_10 Depth=1
	s_delay_alu instid0(VALU_DEP_3) | instskip(NEXT) | instid1(VALU_DEP_1)
	v_clz_i32_u32_e32 v181, v8
	v_min_u32_e32 v181, 32, v181
	s_delay_alu instid0(VALU_DEP_1) | instskip(SKIP_1) | instid1(VALU_DEP_2)
	v_subrev_nc_u32_e32 v183, 28, v181
	v_sub_nc_u32_e32 v181, 29, v181
	v_lshlrev_b64 v[40:41], v183, v[8:9]
	s_delay_alu instid0(VALU_DEP_1)
	v_and_b32_e32 v8, 7, v40
; %bb.503:                              ;   in Loop: Header=BB309_10 Depth=1
	s_or_b32 exec_lo, exec_lo, s21
	v_lshlrev_b32_e32 v182, 8, v182
	v_lshl_add_u32 v181, v181, 10, 0x2000
	s_delay_alu instid0(VALU_DEP_1) | instskip(NEXT) | instid1(VALU_DEP_1)
	v_and_or_b32 v181, 0x8000, v182, v181
	v_lshl_or_b32 v8, v8, 7, v181
	s_delay_alu instid0(VALU_DEP_1)
	v_cvt_f32_f16_e64 v181, v8
.LBB309_504:                            ;   in Loop: Header=BB309_10 Depth=1
	s_or_b32 exec_lo, exec_lo, s20
.LBB309_505:                            ;   in Loop: Header=BB309_10 Depth=1
	s_delay_alu instid0(SALU_CYCLE_1)
	s_or_b32 exec_lo, exec_lo, s19
.LBB309_506:                            ;   in Loop: Header=BB309_10 Depth=1
	s_delay_alu instid0(SALU_CYCLE_1)
	s_or_b32 exec_lo, exec_lo, s3
	flat_load_u16 v8, v[28:29] offset:1928
	s_mov_b32 s3, exec_lo
	s_waitcnt vmcnt(0) lgkmcnt(0)
	v_and_b32_e32 v29, 0xff, v8
	v_and_b32_e32 v28, 0xffff, v8
	s_delay_alu instid0(VALU_DEP_2)
	v_cmpx_ne_u16_e32 0, v29
	s_cbranch_execz .LBB309_514
; %bb.507:                              ;   in Loop: Header=BB309_10 Depth=1
	s_delay_alu instid0(VALU_DEP_2) | instskip(SKIP_2) | instid1(VALU_DEP_2)
	v_and_b32_e32 v8, 0xff, v28
	v_bfrev_b32_e32 v180, 1
	s_mov_b32 s19, exec_lo
	v_cmpx_ne_u16_e32 0x80, v8
	s_cbranch_execz .LBB309_513
; %bb.508:                              ;   in Loop: Header=BB309_10 Depth=1
	v_and_b32_e32 v182, 0x7f, v28
	v_mov_b32_e32 v180, 0x7fc02000
	s_mov_b32 s20, exec_lo
	s_delay_alu instid0(VALU_DEP_2)
	v_cmpx_ne_u32_e32 0x7f, v182
	s_cbranch_execz .LBB309_512
; %bb.509:                              ;   in Loop: Header=BB309_10 Depth=1
	v_and_b32_e32 v8, 7, v28
	v_lshrrev_b32_e32 v29, 3, v182
	s_mov_b32 s21, exec_lo
	v_cmpx_gt_u32_e32 8, v182
; %bb.510:                              ;   in Loop: Header=BB309_10 Depth=1
	s_delay_alu instid0(VALU_DEP_3) | instskip(NEXT) | instid1(VALU_DEP_1)
	v_clz_i32_u32_e32 v29, v8
	v_min_u32_e32 v29, 32, v29
	s_delay_alu instid0(VALU_DEP_1) | instskip(SKIP_1) | instid1(VALU_DEP_2)
	v_subrev_nc_u32_e32 v180, 28, v29
	v_sub_nc_u32_e32 v29, 29, v29
	v_lshlrev_b64 v[182:183], v180, v[8:9]
	s_delay_alu instid0(VALU_DEP_1)
	v_and_b32_e32 v8, 7, v182
; %bb.511:                              ;   in Loop: Header=BB309_10 Depth=1
	s_or_b32 exec_lo, exec_lo, s21
	v_lshlrev_b32_e32 v180, 8, v28
	v_lshl_add_u32 v29, v29, 10, 0x2000
	s_delay_alu instid0(VALU_DEP_1) | instskip(NEXT) | instid1(VALU_DEP_1)
	v_and_or_b32 v29, 0x8000, v180, v29
	v_lshl_or_b32 v8, v8, 7, v29
	s_delay_alu instid0(VALU_DEP_1)
	v_cvt_f32_f16_e64 v180, v8
.LBB309_512:                            ;   in Loop: Header=BB309_10 Depth=1
	s_or_b32 exec_lo, exec_lo, s20
.LBB309_513:                            ;   in Loop: Header=BB309_10 Depth=1
	s_delay_alu instid0(SALU_CYCLE_1)
	s_or_b32 exec_lo, exec_lo, s19
.LBB309_514:                            ;   in Loop: Header=BB309_10 Depth=1
	s_delay_alu instid0(SALU_CYCLE_1) | instskip(NEXT) | instid1(VALU_DEP_2)
	s_or_b32 exec_lo, exec_lo, s3
	v_lshrrev_b16 v8, 8, v28
	v_mov_b32_e32 v29, 0
	s_mov_b32 s3, exec_lo
	s_delay_alu instid0(VALU_DEP_2)
	v_cmpx_ne_u16_e32 0, v8
	s_cbranch_execz .LBB309_522
; %bb.515:                              ;   in Loop: Header=BB309_10 Depth=1
	v_bfrev_b32_e32 v29, 1
	s_mov_b32 s19, exec_lo
	v_cmpx_ne_u16_e32 0x80, v8
	s_cbranch_execz .LBB309_521
; %bb.516:                              ;   in Loop: Header=BB309_10 Depth=1
	v_and_b32_e32 v28, 0xffff, v8
	v_mov_b32_e32 v29, 0x7fc02000
	s_mov_b32 s20, exec_lo
	s_delay_alu instid0(VALU_DEP_2) | instskip(NEXT) | instid1(VALU_DEP_1)
	v_and_b32_e32 v182, 0x7f, v28
	v_cmpx_ne_u32_e32 0x7f, v182
	s_cbranch_execz .LBB309_520
; %bb.517:                              ;   in Loop: Header=BB309_10 Depth=1
	v_and_b32_e32 v8, 7, v28
	v_lshrrev_b32_e32 v29, 3, v182
	s_mov_b32 s21, exec_lo
	v_cmpx_gt_u32_e32 8, v182
; %bb.518:                              ;   in Loop: Header=BB309_10 Depth=1
	s_delay_alu instid0(VALU_DEP_3) | instskip(NEXT) | instid1(VALU_DEP_1)
	v_clz_i32_u32_e32 v29, v8
	v_min_u32_e32 v29, 32, v29
	s_delay_alu instid0(VALU_DEP_1) | instskip(SKIP_1) | instid1(VALU_DEP_2)
	v_subrev_nc_u32_e32 v182, 28, v29
	v_sub_nc_u32_e32 v29, 29, v29
	v_lshlrev_b64 v[182:183], v182, v[8:9]
	s_delay_alu instid0(VALU_DEP_1)
	v_and_b32_e32 v8, 7, v182
; %bb.519:                              ;   in Loop: Header=BB309_10 Depth=1
	s_or_b32 exec_lo, exec_lo, s21
	v_lshlrev_b32_e32 v28, 8, v28
	v_lshl_add_u32 v29, v29, 10, 0x2000
	s_delay_alu instid0(VALU_DEP_1) | instskip(NEXT) | instid1(VALU_DEP_1)
	v_and_or_b32 v28, 0x8000, v28, v29
	v_lshl_or_b32 v8, v8, 7, v28
	s_delay_alu instid0(VALU_DEP_1)
	v_cvt_f32_f16_e32 v29, v8
.LBB309_520:                            ;   in Loop: Header=BB309_10 Depth=1
	s_or_b32 exec_lo, exec_lo, s20
.LBB309_521:                            ;   in Loop: Header=BB309_10 Depth=1
	s_delay_alu instid0(SALU_CYCLE_1)
	s_or_b32 exec_lo, exec_lo, s19
.LBB309_522:                            ;   in Loop: Header=BB309_10 Depth=1
	s_delay_alu instid0(SALU_CYCLE_1)
	s_or_b32 exec_lo, exec_lo, s3
	v_fma_mixlo_f16 v28, v54, v151, 0
	v_fma_mixlo_f16 v8, v54, v181, 0
	v_fma_mixlo_f16 v151, v54, v150, 0
	v_fma_mixlo_f16 v150, v54, v163, 0
	v_fma_mixlo_f16 v163, v54, v162, 0
	v_fma_mixlo_f16 v162, v54, v165, 0
	v_fma_mixlo_f16 v165, v54, v164, 0
	v_fma_mixlo_f16 v164, v54, v167, 0
	v_fma_mixlo_f16 v167, v54, v166, 0
	v_fma_mixlo_f16 v166, v54, v178, 0
	v_fma_mixlo_f16 v178, v54, v177, 0
	v_fma_mixlo_f16 v177, v54, v179, 0
	v_fma_mixlo_f16 v179, v54, v161, 0
	v_fma_mixlo_f16 v161, v54, v176, 0
	v_fma_mixlo_f16 v176, v54, v149, 0
	v_fma_mixlo_f16 v149, v54, v160, 0
	v_fma_mixlo_f16 v160, v54, v147, 0
	v_fma_mixlo_f16 v147, v54, v148, 0
	v_fma_mixlo_f16 v148, v54, v145, 0
	v_fma_mixlo_f16 v145, v54, v146, 0
	v_fma_mixlo_f16 v146, v54, v135, 0
	v_fma_mixlo_f16 v135, v54, v144, 0
	v_fma_mixlo_f16 v144, v54, v133, 0
	v_fma_mixlo_f16 v133, v54, v134, 0
	v_fma_mixlo_f16 v134, v54, v131, 0
	v_fma_mixlo_f16 v131, v54, v132, 0
	v_fma_mixlo_f16 v132, v54, v129, 0
	v_fma_mixlo_f16 v129, v54, v130, 0
	v_fma_mixlo_f16 v130, v54, v119, 0
	v_fma_mixlo_f16 v119, v54, v128, 0
	v_fma_mixlo_f16 v128, v54, v117, 0
	v_fma_mixlo_f16 v117, v54, v118, 0
	v_fma_mixlo_f16 v118, v54, v115, 0
	v_fma_mixlo_f16 v115, v54, v116, 0
	v_fma_mixlo_f16 v116, v54, v113, 0
	v_fma_mixlo_f16 v113, v54, v114, 0
	v_fma_mixlo_f16 v114, v54, v103, 0
	v_fma_mixlo_f16 v103, v54, v112, 0
	v_fma_mixlo_f16 v112, v54, v101, 0
	v_fma_mixlo_f16 v101, v54, v102, 0
	v_fma_mixlo_f16 v102, v54, v99, 0
	v_fma_mixlo_f16 v99, v54, v100, 0
	v_fma_mixlo_f16 v100, v54, v97, 0
	v_fma_mixlo_f16 v97, v54, v98, 0
	v_fma_mixlo_f16 v98, v54, v87, 0
	v_fma_mixlo_f16 v87, v54, v96, 0
	v_fma_mixlo_f16 v96, v54, v85, 0
	v_fma_mixlo_f16 v85, v54, v86, 0
	v_fma_mixlo_f16 v86, v54, v83, 0
	v_fma_mixlo_f16 v83, v54, v84, 0
	v_fma_mixlo_f16 v81, v54, v81, 0
	v_fma_mixlo_f16 v82, v54, v82, 0
	v_fma_mixlo_f16 v71, v54, v71, 0
	v_fma_mixlo_f16 v80, v54, v80, 0
	v_fma_mixlo_f16 v69, v54, v69, 0
	v_fma_mixlo_f16 v70, v54, v70, 0
	v_fma_mixlo_f16 v67, v54, v67, 0
	v_fma_mixlo_f16 v68, v54, v68, 0
	v_fma_mixlo_f16 v65, v54, v65, 0
	v_fma_mixlo_f16 v66, v54, v66, 0
	v_fma_mixlo_f16 v84, v54, v55, 0
	v_fma_mixlo_f16 v64, v54, v64, 0
	v_fma_mixlo_f16 v55, v54, v180, 0
	v_fma_mixlo_f16 v29, v54, v29, 0
	ds_load_b32 v54, v49
	v_and_b32_e32 v66, 0xffff, v66
	v_and_b32_e32 v67, 0xffff, v67
	;; [unrolled: 1-line block ×7, first 2 shown]
	s_waitcnt lgkmcnt(0)
	v_lshrrev_b32_e32 v180, 16, v54
	v_and_b32_e32 v54, 0xffff, v54
	;;#ASMSTART
	v_cvt_f32_f16 v181, v54;
	;;#ASMEND
	v_and_b32_e32 v54, 0xffff, v84
	;;#ASMSTART
	v_cvt_f32_f16 v180, v180;
	;;#ASMEND
	;;#ASMSTART
	v_cvt_f32_f16 v84, v54;
	;;#ASMEND
	v_and_b32_e32 v54, 0xffff, v64
	;;#ASMSTART
	v_cvt_f32_f16 v182, v54;
	;;#ASMEND
	ds_load_b32 v54, v49 offset:4
	v_and_b32_e32 v65, 0xffff, v65
	s_waitcnt lgkmcnt(0)
	v_lshrrev_b32_e32 v64, 16, v54
	v_and_b32_e32 v54, 0xffff, v54
	;;#ASMSTART
	v_cvt_f32_f16 v54, v54;
	;;#ASMEND
	;;#ASMSTART
	v_cvt_f32_f16 v64, v64;
	;;#ASMEND
	;; [unrolled: 3-line block ×4, first 2 shown]
	v_mul_f32_e32 v54, v54, v65
	ds_load_b32 v65, v49 offset:8
	v_mul_f32_e32 v64, v64, v66
	v_fmac_f32_e32 v54, v181, v84
	s_waitcnt lgkmcnt(0)
	v_lshrrev_b32_e32 v66, 16, v65
	v_and_b32_e32 v65, 0xffff, v65
	;;#ASMSTART
	v_cvt_f32_f16 v65, v65;
	;;#ASMEND
	;;#ASMSTART
	v_cvt_f32_f16 v66, v66;
	;;#ASMEND
	;; [unrolled: 3-line block ×4, first 2 shown]
	v_dual_fmac_f32 v54, v65, v67 :: v_dual_and_b32 v67, 0xffff, v69
	ds_load_b32 v65, v49 offset:12
	v_fmac_f32_e32 v64, v180, v182
	s_delay_alu instid0(VALU_DEP_1)
	v_fmac_f32_e32 v64, v66, v68
	v_and_b32_e32 v68, 0xffff, v70
	s_waitcnt lgkmcnt(0)
	v_lshrrev_b32_e32 v66, 16, v65
	v_and_b32_e32 v65, 0xffff, v65
	;;#ASMSTART
	v_cvt_f32_f16 v65, v65;
	;;#ASMEND
	;;#ASMSTART
	v_cvt_f32_f16 v66, v66;
	;;#ASMEND
	;; [unrolled: 3-line block ×4, first 2 shown]
	v_fmac_f32_e32 v54, v65, v67
	ds_load_b32 v65, v49 offset:16
	v_dual_fmac_f32 v64, v66, v68 :: v_dual_and_b32 v67, 0xffff, v71
	v_and_b32_e32 v68, 0xffff, v80
	s_waitcnt lgkmcnt(0)
	v_lshrrev_b32_e32 v66, 16, v65
	v_and_b32_e32 v65, 0xffff, v65
	;;#ASMSTART
	v_cvt_f32_f16 v65, v65;
	;;#ASMEND
	;;#ASMSTART
	v_cvt_f32_f16 v66, v66;
	;;#ASMEND
	;;#ASMSTART
	v_cvt_f32_f16 v67, v67;
	;;#ASMEND
	;;#ASMSTART
	v_cvt_f32_f16 v68, v68;
	;;#ASMEND
	v_dual_fmac_f32 v54, v65, v67 :: v_dual_and_b32 v67, 0xffff, v81
	ds_load_b32 v65, v49 offset:20
	v_fmac_f32_e32 v64, v66, v68
	v_and_b32_e32 v68, 0xffff, v82
	s_waitcnt lgkmcnt(0)
	v_lshrrev_b32_e32 v66, 16, v65
	v_and_b32_e32 v65, 0xffff, v65
	;;#ASMSTART
	v_cvt_f32_f16 v65, v65;
	;;#ASMEND
	;;#ASMSTART
	v_cvt_f32_f16 v66, v66;
	;;#ASMEND
	;;#ASMSTART
	v_cvt_f32_f16 v67, v67;
	;;#ASMEND
	;;#ASMSTART
	v_cvt_f32_f16 v68, v68;
	;;#ASMEND
	v_dual_fmac_f32 v54, v65, v67 :: v_dual_and_b32 v67, 0xffff, v86
	ds_load_b32 v65, v49 offset:24
	v_fmac_f32_e32 v64, v66, v68
	;; [unrolled: 19-line block ×19, first 2 shown]
	v_and_b32_e32 v68, 0xffff, v149
	s_waitcnt lgkmcnt(0)
	v_lshrrev_b32_e32 v66, 16, v65
	v_and_b32_e32 v65, 0xffff, v65
	;;#ASMSTART
	v_cvt_f32_f16 v65, v65;
	;;#ASMEND
	;;#ASMSTART
	v_cvt_f32_f16 v66, v66;
	;;#ASMEND
	;; [unrolled: 3-line block ×4, first 2 shown]
	v_fmac_f32_e32 v54, v65, v67
	ds_load_b32 v65, v49 offset:96
	v_dual_fmac_f32 v64, v66, v68 :: v_dual_and_b32 v67, 0xffff, v179
	v_and_b32_e32 v68, 0xffff, v161
	s_waitcnt lgkmcnt(0)
	v_lshrrev_b32_e32 v66, 16, v65
	v_and_b32_e32 v65, 0xffff, v65
	;;#ASMSTART
	v_cvt_f32_f16 v65, v65;
	;;#ASMEND
	;;#ASMSTART
	v_cvt_f32_f16 v66, v66;
	;;#ASMEND
	;; [unrolled: 3-line block ×4, first 2 shown]
	v_dual_fmac_f32 v54, v65, v67 :: v_dual_and_b32 v67, 0xffff, v178
	ds_load_b32 v65, v49 offset:100
	v_fmac_f32_e32 v64, v66, v68
	v_and_b32_e32 v68, 0xffff, v177
	s_waitcnt lgkmcnt(0)
	v_lshrrev_b32_e32 v66, 16, v65
	v_and_b32_e32 v65, 0xffff, v65
	;;#ASMSTART
	v_cvt_f32_f16 v65, v65;
	;;#ASMEND
	;;#ASMSTART
	v_cvt_f32_f16 v66, v66;
	;;#ASMEND
	;; [unrolled: 3-line block ×4, first 2 shown]
	v_fmac_f32_e32 v54, v65, v67
	ds_load_b32 v65, v49 offset:104
	v_dual_fmac_f32 v64, v66, v68 :: v_dual_and_b32 v67, 0xffff, v167
	v_and_b32_e32 v68, 0xffff, v166
	s_waitcnt lgkmcnt(0)
	v_lshrrev_b32_e32 v66, 16, v65
	v_and_b32_e32 v65, 0xffff, v65
	;;#ASMSTART
	v_cvt_f32_f16 v65, v65;
	;;#ASMEND
	;;#ASMSTART
	v_cvt_f32_f16 v66, v66;
	;;#ASMEND
	;; [unrolled: 3-line block ×4, first 2 shown]
	v_dual_fmac_f32 v54, v65, v67 :: v_dual_and_b32 v67, 0xffff, v165
	ds_load_b32 v65, v49 offset:108
	v_fmac_f32_e32 v64, v66, v68
	v_and_b32_e32 v68, 0xffff, v164
	s_waitcnt lgkmcnt(0)
	v_lshrrev_b32_e32 v66, 16, v65
	v_and_b32_e32 v65, 0xffff, v65
	;;#ASMSTART
	v_cvt_f32_f16 v65, v65;
	;;#ASMEND
	;;#ASMSTART
	v_cvt_f32_f16 v66, v66;
	;;#ASMEND
	;; [unrolled: 3-line block ×4, first 2 shown]
	v_fmac_f32_e32 v54, v65, v67
	ds_load_b32 v65, v49 offset:112
	v_dual_fmac_f32 v64, v66, v68 :: v_dual_and_b32 v67, 0xffff, v163
	v_and_b32_e32 v68, 0xffff, v162
	s_waitcnt lgkmcnt(0)
	v_lshrrev_b32_e32 v66, 16, v65
	v_and_b32_e32 v65, 0xffff, v65
	;;#ASMSTART
	v_cvt_f32_f16 v65, v65;
	;;#ASMEND
	;;#ASMSTART
	v_cvt_f32_f16 v66, v66;
	;;#ASMEND
	;; [unrolled: 3-line block ×4, first 2 shown]
	v_fmac_f32_e32 v54, v65, v67
	ds_load_b32 v65, v49 offset:116
	v_dual_fmac_f32 v64, v66, v68 :: v_dual_and_b32 v67, 0xffff, v151
	v_and_b32_e32 v68, 0xffff, v150
	s_waitcnt lgkmcnt(0)
	v_lshrrev_b32_e32 v66, 16, v65
	v_and_b32_e32 v65, 0xffff, v65
	;;#ASMSTART
	v_cvt_f32_f16 v65, v65;
	;;#ASMEND
	;;#ASMSTART
	v_cvt_f32_f16 v66, v66;
	;;#ASMEND
	;; [unrolled: 3-line block ×4, first 2 shown]
	v_fmac_f32_e32 v54, v65, v67
	ds_load_b32 v65, v49 offset:120
	v_fmac_f32_e32 v64, v66, v68
	s_waitcnt lgkmcnt(0)
	v_lshrrev_b32_e32 v66, 16, v65
	v_and_b32_e32 v65, 0xffff, v65
	;;#ASMSTART
	v_cvt_f32_f16 v65, v65;
	;;#ASMEND
	;;#ASMSTART
	v_cvt_f32_f16 v66, v66;
	;;#ASMEND
	;; [unrolled: 3-line block ×4, first 2 shown]
	v_fmac_f32_e32 v64, v66, v8
	ds_load_b32 v8, v49 offset:124
	v_fmac_f32_e32 v54, v65, v28
	s_waitcnt lgkmcnt(0)
	v_lshrrev_b32_e32 v28, 16, v8
	v_and_b32_e32 v8, 0xffff, v8
	;;#ASMSTART
	v_cvt_f32_f16 v8, v8;
	;;#ASMEND
	;;#ASMSTART
	v_cvt_f32_f16 v28, v28;
	;;#ASMEND
	;; [unrolled: 3-line block ×4, first 2 shown]
	v_fmac_f32_e32 v64, v28, v29
	v_xor_b32_e32 v28, 2, v36
	v_fmac_f32_e32 v54, v8, v55
	s_delay_alu instid0(VALU_DEP_2) | instskip(NEXT) | instid1(VALU_DEP_2)
	v_cmp_gt_i32_e64 s2, 32, v28
	v_add_f32_e32 v8, v54, v64
	s_delay_alu instid0(VALU_DEP_2) | instskip(NEXT) | instid1(VALU_DEP_1)
	v_cndmask_b32_e64 v28, v36, v28, s2
	v_lshlrev_b32_e32 v28, 2, v28
	ds_bpermute_b32 v28, v28, v8
	s_waitcnt lgkmcnt(0)
	v_add_f32_e32 v8, v8, v28
	v_xor_b32_e32 v28, 1, v36
	s_delay_alu instid0(VALU_DEP_1) | instskip(NEXT) | instid1(VALU_DEP_1)
	v_cmp_gt_i32_e64 s2, 32, v28
	v_cndmask_b32_e64 v28, v36, v28, s2
	s_delay_alu instid0(VALU_DEP_1)
	v_lshlrev_b32_e32 v28, 2, v28
	ds_bpermute_b32 v28, v28, v8
	s_and_saveexec_b32 s3, vcc_lo
	s_cbranch_execz .LBB309_9
; %bb.523:                              ;   in Loop: Header=BB309_10 Depth=1
	s_waitcnt lgkmcnt(0)
	v_dual_add_f32 v8, v8, v28 :: v_dual_add_nc_u32 v29, v50, v51
	s_load_b32 s19, s[8:9], 0x0
	v_cmp_lt_i32_e64 s2, v51, v32
	s_delay_alu instid0(VALU_DEP_2) | instskip(NEXT) | instid1(VALU_DEP_1)
	v_cvt_f32_i32_e32 v29, v29
	v_mul_f32_e32 v29, v37, v29
	s_delay_alu instid0(VALU_DEP_1) | instskip(NEXT) | instid1(VALU_DEP_1)
	v_cndmask_b32_e64 v28, 0, v29, s1
	v_dual_max_f32 v29, v39, v39 :: v_dual_fmac_f32 v28, v8, v13
	s_delay_alu instid0(VALU_DEP_1) | instskip(SKIP_3) | instid1(VALU_DEP_3)
	v_max_f32_e32 v8, v29, v28
	s_waitcnt lgkmcnt(0)
	v_add_nc_u32_e32 v29, s19, v52
	v_cndmask_b32_e64 v28, 0, v28, s2
	v_cndmask_b32_e64 v39, v39, v8, s2
	ds_store_b32 v29, v28
	s_branch .LBB309_9
.LBB309_524:
	s_or_b32 exec_lo, exec_lo, s7
.LBB309_525:
	s_delay_alu instid0(SALU_CYCLE_1)
	s_or_b32 exec_lo, exec_lo, s17
	v_xor_b32_e32 v8, 16, v36
	v_xor_b32_e32 v9, 8, v36
	v_lshlrev_b32_e32 v20, 2, v33
	s_waitcnt lgkmcnt(0)
	s_lshr_b32 s8, s18, 16
	v_max_f32_e32 v18, v39, v39
	v_cmp_lt_i32_e32 vcc_lo, v8, v38
	v_cndmask_b32_e32 v8, v36, v8, vcc_lo
	v_cmp_lt_i32_e32 vcc_lo, v9, v38
	v_cndmask_b32_e32 v9, v36, v9, vcc_lo
	s_delay_alu instid0(VALU_DEP_1) | instskip(NEXT) | instid1(VALU_DEP_4)
	v_lshlrev_b32_e32 v19, 2, v9
	v_lshlrev_b32_e32 v13, 2, v8
	ds_bpermute_b32 v8, v13, v39
	s_waitcnt lgkmcnt(0)
	v_max_f32_e32 v8, v8, v8
	s_delay_alu instid0(VALU_DEP_1) | instskip(SKIP_4) | instid1(VALU_DEP_1)
	v_max_f32_e32 v8, v18, v8
	v_xor_b32_e32 v18, 4, v36
	ds_bpermute_b32 v9, v19, v8
	v_cmp_lt_i32_e32 vcc_lo, v18, v38
	v_cndmask_b32_e32 v18, v36, v18, vcc_lo
	v_lshlrev_b32_e32 v24, 2, v18
	v_and_b32_e32 v18, 31, v30
	s_delay_alu instid0(VALU_DEP_1) | instskip(SKIP_2) | instid1(VALU_DEP_1)
	v_cmp_eq_u32_e32 vcc_lo, 0, v18
	s_waitcnt lgkmcnt(0)
	v_max_f32_e32 v9, v9, v9
	v_max_f32_e32 v8, v8, v9
	ds_bpermute_b32 v9, v24, v8
	s_and_saveexec_b32 s1, vcc_lo
	s_cbranch_execz .LBB309_527
; %bb.526:
	s_waitcnt lgkmcnt(0)
	v_dual_max_f32 v9, v9, v9 :: v_dual_max_f32 v8, v8, v8
	s_delay_alu instid0(VALU_DEP_1)
	v_max_f32_e32 v8, v8, v9
	ds_store_b32 v20, v8 offset:512
.LBB309_527:
	s_or_b32 exec_lo, exec_lo, s1
	v_cmp_gt_u32_e64 s1, 4, v18
	v_dual_mov_b32 v8, 0xff7fffff :: v_dual_lshlrev_b32 v21, 2, v18
	s_waitcnt lgkmcnt(0)
	s_barrier
	buffer_gl0_inv
	s_and_saveexec_b32 s2, s1
	s_cbranch_execz .LBB309_529
; %bb.528:
	ds_load_b32 v8, v21 offset:512
.LBB309_529:
	s_or_b32 exec_lo, exec_lo, s2
	v_xor_b32_e32 v9, 2, v36
	v_xor_b32_e32 v28, 1, v36
	v_lshlrev_b32_e32 v29, 2, v36
	s_delay_alu instid0(VALU_DEP_3) | instskip(NEXT) | instid1(VALU_DEP_2)
	v_cmp_lt_i32_e64 s2, v9, v38
	v_and_b32_e32 v29, 0xffffff80, v29
	s_delay_alu instid0(VALU_DEP_2) | instskip(SKIP_1) | instid1(VALU_DEP_2)
	v_cndmask_b32_e64 v9, v36, v9, s2
	v_cmp_lt_i32_e64 s2, v28, v38
	v_lshlrev_b32_e32 v25, 2, v9
	s_delay_alu instid0(VALU_DEP_2)
	v_cndmask_b32_e64 v28, v36, v28, s2
	v_subrev_nc_u32_e32 v36, s13, v34
	s_waitcnt lgkmcnt(0)
	ds_bpermute_b32 v9, v25, v8
	v_max_f32_e32 v8, v8, v8
	s_waitcnt lgkmcnt(0)
	v_dual_max_f32 v9, v9, v9 :: v_dual_lshlrev_b32 v28, 2, v28
	s_delay_alu instid0(VALU_DEP_1) | instskip(SKIP_3) | instid1(VALU_DEP_1)
	v_max_f32_e32 v8, v8, v9
	ds_bpermute_b32 v9, v28, v8
	s_waitcnt lgkmcnt(0)
	v_max_f32_e32 v9, v9, v9
	v_max_f32_e32 v8, v8, v9
	v_lshl_add_u32 v9, v36, 3, s16
	v_mov_b32_e32 v36, 0
	ds_bpermute_b32 v8, v29, v8
	v_min_i32_e32 v9, v9, v32
	s_delay_alu instid0(VALU_DEP_1) | instskip(NEXT) | instid1(VALU_DEP_1)
	v_subrev_nc_u32_e32 v9, s16, v9
	v_cmp_lt_i32_e64 s2, v30, v9
	s_delay_alu instid0(VALU_DEP_1)
	s_and_saveexec_b32 s9, s2
	s_cbranch_execz .LBB309_533
; %bb.530:
	s_getpc_b64 s[18:19]
	s_add_u32 s18, s18, llvm.amdgcn.dynlds.offset.table@rel32@lo+4
	s_addc_u32 s19, s19, llvm.amdgcn.dynlds.offset.table@rel32@hi+12
	s_ashr_i32 s7, s6, 31
	v_mov_b32_e32 v36, 0
	s_lshl_b64 s[20:21], s[6:7], 2
	v_mov_b32_e32 v38, v30
	s_add_u32 s18, s20, s18
	s_addc_u32 s19, s21, s19
	s_mov_b32 s7, 0
	s_load_b32 s3, s[18:19], 0x0
	s_waitcnt lgkmcnt(0)
	v_lshl_add_u32 v37, v30, 2, s3
	.p2align	6
.LBB309_531:                            ; =>This Inner Loop Header: Depth=1
	ds_load_b32 v39, v37
	v_add_nc_u32_e32 v38, 0x80, v38
	s_delay_alu instid0(VALU_DEP_1) | instskip(NEXT) | instid1(VALU_DEP_1)
	v_cmp_ge_i32_e64 s3, v38, v9
	s_or_b32 s7, s3, s7
	s_waitcnt lgkmcnt(0)
	v_sub_f32_e32 v39, v39, v8
	s_delay_alu instid0(VALU_DEP_1) | instskip(NEXT) | instid1(VALU_DEP_1)
	v_mul_f32_e32 v39, 0x3fb8aa3b, v39
	v_exp_f32_e32 v39, v39
	ds_store_b32 v37, v39
	v_dual_add_f32 v36, v36, v39 :: v_dual_add_nc_u32 v37, 0x200, v37
	s_and_not1_b32 exec_lo, exec_lo, s7
	s_cbranch_execnz .LBB309_531
; %bb.532:
	s_or_b32 exec_lo, exec_lo, s7
.LBB309_533:
	s_delay_alu instid0(SALU_CYCLE_1)
	s_or_b32 exec_lo, exec_lo, s9
	ds_bpermute_b32 v13, v13, v36
	s_waitcnt lgkmcnt(0)
	v_add_f32_e32 v13, v36, v13
	ds_bpermute_b32 v19, v19, v13
	s_waitcnt lgkmcnt(0)
	v_add_f32_e32 v13, v13, v19
	;; [unrolled: 3-line block ×5, first 2 shown]
	s_and_saveexec_b32 s3, vcc_lo
	s_cbranch_execz .LBB309_535
; %bb.534:
	ds_store_b32 v20, v13 offset:528
.LBB309_535:
	s_or_b32 exec_lo, exec_lo, s3
	s_waitcnt lgkmcnt(0)
	s_barrier
	buffer_gl0_inv
	s_and_saveexec_b32 s3, s1
	s_cbranch_execz .LBB309_537
; %bb.536:
	ds_load_b32 v13, v21 offset:528
.LBB309_537:
	s_or_b32 exec_lo, exec_lo, s3
	s_waitcnt lgkmcnt(0)
	ds_bpermute_b32 v19, v25, v13
	s_waitcnt lgkmcnt(0)
	v_add_f32_e32 v13, v13, v19
	ds_bpermute_b32 v19, v28, v13
	s_waitcnt lgkmcnt(0)
	v_add_f32_e32 v13, v13, v19
	ds_bpermute_b32 v13, v29, v13
	s_and_saveexec_b32 s1, s2
	s_cbranch_execz .LBB309_540
; %bb.538:
	s_waitcnt lgkmcnt(0)
	v_add_f32_e32 v20, 0x358637bd, v13
	s_getpc_b64 s[2:3]
	s_add_u32 s2, s2, llvm.amdgcn.dynlds.offset.table@rel32@lo+4
	s_addc_u32 s3, s3, llvm.amdgcn.dynlds.offset.table@rel32@hi+12
	s_ashr_i32 s7, s6, 31
	s_delay_alu instid0(SALU_CYCLE_1) | instskip(SKIP_3) | instid1(VALU_DEP_2)
	s_lshl_b64 s[18:19], s[6:7], 2
	v_div_scale_f32 v19, null, v20, v20, 1.0
	v_div_scale_f32 v25, vcc_lo, 1.0, v20, 1.0
	s_add_u32 s2, s18, s2
	v_rcp_f32_e32 v21, v19
	s_addc_u32 s3, s19, s3
	s_load_b32 s2, s[2:3], 0x0
	s_waitcnt_depctr 0xfff
	v_fma_f32 v24, -v19, v21, 1.0
	s_delay_alu instid0(VALU_DEP_1) | instskip(NEXT) | instid1(VALU_DEP_1)
	v_fmac_f32_e32 v21, v24, v21
	v_mul_f32_e32 v24, v25, v21
	s_delay_alu instid0(VALU_DEP_1) | instskip(NEXT) | instid1(VALU_DEP_1)
	v_fma_f32 v28, -v19, v24, v25
	v_fmac_f32_e32 v24, v28, v21
	s_delay_alu instid0(VALU_DEP_1) | instskip(NEXT) | instid1(VALU_DEP_1)
	v_fma_f32 v19, -v19, v24, v25
	v_div_fmas_f32 v21, v19, v21, v24
	s_waitcnt lgkmcnt(0)
	v_lshl_add_u32 v19, v30, 2, s2
	s_mov_b32 s2, 0
	s_delay_alu instid0(VALU_DEP_2)
	v_div_fixup_f32 v20, v21, v20, 1.0
	v_mov_b32_e32 v21, v30
.LBB309_539:                            ; =>This Inner Loop Header: Depth=1
	ds_load_b32 v24, v19
	s_waitcnt lgkmcnt(0)
	v_dual_mul_f32 v24, v20, v24 :: v_dual_add_nc_u32 v21, 0x80, v21
	s_delay_alu instid0(VALU_DEP_1) | instskip(SKIP_3) | instid1(SALU_CYCLE_1)
	v_cmp_ge_i32_e32 vcc_lo, v21, v9
	ds_store_b32 v19, v24
	v_add_nc_u32_e32 v19, 0x200, v19
	s_or_b32 s2, vcc_lo, s2
	s_and_not1_b32 exec_lo, exec_lo, s2
	s_cbranch_execnz .LBB309_539
.LBB309_540:
	s_or_b32 exec_lo, exec_lo, s1
	v_cmp_ne_u16_e64 s1, s8, 0
	s_waitcnt lgkmcnt(0)
	s_barrier
	buffer_gl0_inv
	s_cmp_lg_u32 s1, 0
	s_addc_u32 s1, s5, 0
	s_mov_b32 s5, exec_lo
	s_mul_i32 s2, s1, s10
	s_delay_alu instid0(SALU_CYCLE_1)
	s_mul_i32 s2, s2, s15
	v_cmpx_eq_u32_e32 0, v30
	s_cbranch_execz .LBB309_542
; %bb.541:
	s_mul_i32 s8, s1, s12
	s_ashr_i32 s15, s14, 31
	s_ashr_i32 s9, s8, 31
	;; [unrolled: 1-line block ×3, first 2 shown]
	s_lshl_b64 s[8:9], s[8:9], 2
	s_lshl_b64 s[12:13], s[14:15], 2
	;; [unrolled: 1-line block ×3, first 2 shown]
	s_add_u32 s3, s12, s8
	s_addc_u32 s7, s13, s9
	s_add_u32 s3, s3, s18
	s_addc_u32 s7, s7, s19
	v_add_co_u32 v2, vcc_lo, s3, v2
	v_add_co_ci_u32_e32 v3, vcc_lo, s7, v3, vcc_lo
	v_add_co_u32 v0, vcc_lo, s3, v0
	v_add_co_ci_u32_e32 v1, vcc_lo, s7, v1, vcc_lo
	flat_store_b32 v[2:3], v8
	flat_store_b32 v[0:1], v13
.LBB309_542:
	s_or_b32 exec_lo, exec_lo, s5
                                        ; implicit-def: $sgpr5
	s_and_saveexec_b32 s3, s0
	s_delay_alu instid0(SALU_CYCLE_1)
	s_xor_b32 s0, exec_lo, s3
; %bb.543:
	s_ashr_i32 s7, s6, 31
	s_mov_b32 s5, 0
                                        ; implicit-def: $vgpr32
                                        ; implicit-def: $vgpr12
                                        ; implicit-def: $vgpr34
                                        ; implicit-def: $vgpr6
                                        ; implicit-def: $vgpr10
                                        ; implicit-def: $vgpr11
                                        ; implicit-def: $vgpr14
                                        ; implicit-def: $vgpr15
                                        ; implicit-def: $vgpr22
                                        ; implicit-def: $vgpr26_vgpr27
                                        ; implicit-def: $vgpr23
                                        ; implicit-def: $vgpr35
                                        ; implicit-def: $vgpr16_vgpr17
; %bb.544:
	s_or_saveexec_b32 s3, s0
	v_dual_mov_b32 v19, s5 :: v_dual_mov_b32 v0, s6
	v_dual_mov_b32 v1, s7 :: v_dual_mov_b32 v20, s5
	;; [unrolled: 1-line block ×5, first 2 shown]
	s_xor_b32 exec_lo, exec_lo, s3
	s_cbranch_execz .LBB309_1076
; %bb.545:
	s_getpc_b64 s[8:9]
	s_add_u32 s8, s8, llvm.amdgcn.dynlds.offset.table@rel32@lo+4
	s_addc_u32 s9, s9, llvm.amdgcn.dynlds.offset.table@rel32@hi+12
	s_ashr_i32 s7, s6, 31
	v_lshlrev_b64 v[2:3], 2, v[6:7]
	s_lshl_b64 s[12:13], s[6:7], 2
	v_add_co_u32 v0, vcc_lo, v10, v23
	s_add_u32 s8, s12, s8
	s_addc_u32 s9, s13, s9
	v_dual_mov_b32 v36, 0 :: v_dual_lshlrev_b32 v9, 3, v18
	s_load_b32 s0, s[8:9], 0x0
	v_add_co_ci_u32_e32 v8, vcc_lo, v11, v35, vcc_lo
	v_add_co_u32 v7, vcc_lo, v16, v2
	v_add_co_ci_u32_e32 v10, vcc_lo, v17, v3, vcc_lo
	v_add_co_u32 v2, vcc_lo, v0, v9
	s_delay_alu instid0(VALU_DEP_4) | instskip(NEXT) | instid1(VALU_DEP_4)
	v_add_co_ci_u32_e32 v3, vcc_lo, 0, v8, vcc_lo
	v_add_co_u32 v7, vcc_lo, v14, v7
	v_dual_mov_b32 v28, 0 :: v_dual_add_nc_u32 v23, -1, v12
	v_dual_mov_b32 v1, 0 :: v_dual_mov_b32 v24, 0
	v_dual_mov_b32 v35, v32 :: v_dual_mov_b32 v20, 0
	v_add_co_ci_u32_e32 v8, vcc_lo, v15, v10, vcc_lo
	v_lshl_add_u32 v15, v33, 3, s16
	s_waitcnt lgkmcnt(0)
	v_lshl_add_u32 v16, v33, 5, s0
	v_mov_b32_e32 v25, 0
	v_mov_b32_e32 v29, 0
	;; [unrolled: 1-line block ×4, first 2 shown]
	s_mov_b32 s8, -1
	s_mov_b32 s9, 0xffffff
	s_mov_b32 s5, 0
	s_branch .LBB309_547
.LBB309_546:                            ;   in Loop: Header=BB309_547 Depth=1
	s_or_b32 exec_lo, exec_lo, s0
	v_dual_add_f32 v11, v55, v64 :: v_dual_add_f32 v38, v69, v70
	v_add_f32_e32 v17, v65, v66
	v_add_co_u32 v7, s0, v7, 16
	s_delay_alu instid0(VALU_DEP_3)
	v_dual_add_f32 v25, v25, v11 :: v_dual_add_f32 v28, v28, v38
	;;#ASMSTART
	v_pk_mul_f16 v11, v54, v12;

	;;#ASMEND
	;;#ASMSTART
	v_pk_mul_f16 v10, v53, v10;

	;;#ASMEND
	;; [unrolled: 4-line block ×4, first 2 shown]
	;;#ASMSTART
	v_pk_add_f16 v10, v11, v10;

	;;#ASMEND
	;;#ASMSTART
	v_pk_add_f16 v0, v10, v0;

	;;#ASMEND
	v_add_f32_e32 v10, v71, v80
	v_dual_add_f32 v37, v67, v68 :: v_dual_add_f32 v36, v36, v17
	;;#ASMSTART
	v_pk_add_f16 v0, v0, v9;

	;;#ASMEND
	v_dual_add_f32 v12, v13, v14 :: v_dual_and_b32 v9, 0xffff, v0
	s_delay_alu instid0(VALU_DEP_2) | instskip(SKIP_4) | instid1(VALU_DEP_2)
	v_dual_add_f32 v29, v29, v37 :: v_dual_add_nc_u32 v6, 4, v6
	v_lshrrev_b32_e32 v0, 16, v0
	;;#ASMSTART
	v_cvt_f32_f16 v9, v9;
	;;#ASMEND
	;;#ASMSTART
	v_cvt_f32_f16 v0, v0;
	;;#ASMEND
	v_dual_add_f32 v11, v81, v82 :: v_dual_add_f32 v20, v20, v12
	v_dual_add_f32 v0, v9, v0 :: v_dual_add_nc_u32 v15, 32, v15
	v_cmp_ge_i32_e32 vcc_lo, v6, v34
	s_delay_alu instid0(VALU_DEP_3) | instskip(NEXT) | instid1(VALU_DEP_3)
	v_dual_add_f32 v24, v24, v10 :: v_dual_add_f32 v21, v21, v11
	v_add_f32_e32 v19, v19, v0
	v_add_co_ci_u32_e64 v8, s0, 0, v8, s0
	v_add_nc_u32_e32 v16, 0x80, v16
	s_or_b32 s5, vcc_lo, s5
	s_delay_alu instid0(SALU_CYCLE_1)
	s_and_not1_b32 exec_lo, exec_lo, s5
	s_cbranch_execz .LBB309_1075
.LBB309_547:                            ; =>This Inner Loop Header: Depth=1
	flat_load_b32 v0, v[7:8]
	ds_load_2addr_b64 v[10:13], v16 offset1:1
	ds_load_2addr_b64 v[65:68], v16 offset0:2 offset1:3
	s_mov_b32 s0, exec_lo
	s_waitcnt lgkmcnt(1)
	;;#ASMSTART
	v_cvt_f16_f32 v51, v10;

	;;#ASMEND
	;;#ASMSTART
	v_cvt_f16_f32 v52, v11;

	;;#ASMEND
	;; [unrolled: 4-line block ×4, first 2 shown]
	s_waitcnt lgkmcnt(0)
	;;#ASMSTART
	v_cvt_f16_f32 v65, v65;

	;;#ASMEND
	;;#ASMSTART
	v_cvt_f16_f32 v55, v66;

	;;#ASMEND
	;; [unrolled: 4-line block ×4, first 2 shown]
	v_mov_b32_e32 v37, 0
	s_waitcnt vmcnt(0)
	v_mad_i64_i32 v[9:10], null, v0, v22, v[2:3]
	flat_load_b64 v[11:12], v[9:10]
	flat_load_b32 v17, v[26:27]
	s_waitcnt vmcnt(1) lgkmcnt(1)
	v_and_b32_e32 v0, 0xff, v11
	s_delay_alu instid0(VALU_DEP_1)
	v_cmpx_ne_u16_e32 0, v0
	s_cbranch_execz .LBB309_555
; %bb.548:                              ;   in Loop: Header=BB309_547 Depth=1
	v_bfrev_b32_e32 v37, 1
	s_mov_b32 s10, exec_lo
	v_cmpx_ne_u16_e32 0x80, v0
	s_cbranch_execz .LBB309_554
; %bb.549:                              ;   in Loop: Header=BB309_547 Depth=1
	v_and_b32_e32 v13, 0x7f, v11
	v_mov_b32_e32 v37, 0x7fc02000
	s_mov_b32 s12, exec_lo
	s_delay_alu instid0(VALU_DEP_2)
	v_cmpx_ne_u32_e32 0x7f, v13
	s_cbranch_execz .LBB309_553
; %bb.550:                              ;   in Loop: Header=BB309_547 Depth=1
	v_lshrrev_b32_e32 v0, 3, v13
	v_cmp_gt_u32_e32 vcc_lo, 8, v13
	v_dual_mov_b32 v14, v12 :: v_dual_mov_b32 v13, v11
	s_and_saveexec_b32 s13, vcc_lo
; %bb.551:                              ;   in Loop: Header=BB309_547 Depth=1
	v_and_b32_e32 v0, 7, v11
	s_delay_alu instid0(VALU_DEP_1) | instskip(NEXT) | instid1(VALU_DEP_1)
	v_clz_i32_u32_e32 v0, v0
	v_min_u32_e32 v0, 32, v0
	s_delay_alu instid0(VALU_DEP_1) | instskip(SKIP_1) | instid1(VALU_DEP_2)
	v_subrev_nc_u32_e32 v13, 28, v0
	v_sub_nc_u32_e32 v0, 29, v0
	v_lshlrev_b64 v[13:14], v13, v[11:12]
; %bb.552:                              ;   in Loop: Header=BB309_547 Depth=1
	s_or_b32 exec_lo, exec_lo, s13
	v_lshlrev_b32_e32 v14, 8, v11
	s_delay_alu instid0(VALU_DEP_3) | instskip(NEXT) | instid1(VALU_DEP_3)
	v_lshl_add_u32 v0, v0, 10, 0x2000
	v_lshlrev_b32_e32 v13, 7, v13
	s_delay_alu instid0(VALU_DEP_2) | instskip(NEXT) | instid1(VALU_DEP_1)
	v_and_or_b32 v0, 0x8000, v14, v0
	v_and_or_b32 v0, 0x380, v13, v0
	s_delay_alu instid0(VALU_DEP_1)
	v_cvt_f32_f16_e32 v37, v0
.LBB309_553:                            ;   in Loop: Header=BB309_547 Depth=1
	s_or_b32 exec_lo, exec_lo, s12
.LBB309_554:                            ;   in Loop: Header=BB309_547 Depth=1
	s_delay_alu instid0(SALU_CYCLE_1)
	s_or_b32 exec_lo, exec_lo, s10
.LBB309_555:                            ;   in Loop: Header=BB309_547 Depth=1
	s_delay_alu instid0(SALU_CYCLE_1) | instskip(SKIP_3) | instid1(VALU_DEP_2)
	s_or_b32 exec_lo, exec_lo, s0
	v_lshrrev_b16 v0, 8, v11
	v_dual_mov_b32 v39, 0 :: v_dual_mov_b32 v38, 0
	s_mov_b32 s0, exec_lo
	v_cmpx_ne_u16_e32 0, v0
	s_cbranch_execz .LBB309_563
; %bb.556:                              ;   in Loop: Header=BB309_547 Depth=1
	v_bfrev_b32_e32 v38, 1
	s_mov_b32 s10, exec_lo
	v_cmpx_ne_u16_e32 0x80, v0
	s_cbranch_execz .LBB309_562
; %bb.557:                              ;   in Loop: Header=BB309_547 Depth=1
	v_and_b32_e32 v13, 0xffff, v0
	v_mov_b32_e32 v38, 0x7fc02000
	s_mov_b32 s12, exec_lo
	s_delay_alu instid0(VALU_DEP_2) | instskip(NEXT) | instid1(VALU_DEP_1)
	v_and_b32_e32 v48, 0x7f, v13
	v_cmpx_ne_u32_e32 0x7f, v48
	s_cbranch_execz .LBB309_561
; %bb.558:                              ;   in Loop: Header=BB309_547 Depth=1
	v_and_b32_e32 v0, 7, v13
	v_lshrrev_b32_e32 v14, 3, v48
	s_mov_b32 s13, exec_lo
	v_cmpx_gt_u32_e32 8, v48
; %bb.559:                              ;   in Loop: Header=BB309_547 Depth=1
	s_delay_alu instid0(VALU_DEP_3) | instskip(NEXT) | instid1(VALU_DEP_1)
	v_clz_i32_u32_e32 v14, v0
	v_min_u32_e32 v14, 32, v14
	s_delay_alu instid0(VALU_DEP_1) | instskip(SKIP_1) | instid1(VALU_DEP_2)
	v_subrev_nc_u32_e32 v38, 28, v14
	v_sub_nc_u32_e32 v14, 29, v14
	v_lshlrev_b64 v[48:49], v38, v[0:1]
	s_delay_alu instid0(VALU_DEP_1)
	v_and_b32_e32 v0, 7, v48
; %bb.560:                              ;   in Loop: Header=BB309_547 Depth=1
	s_or_b32 exec_lo, exec_lo, s13
	v_lshlrev_b32_e32 v13, 8, v13
	v_lshl_add_u32 v14, v14, 10, 0x2000
	s_delay_alu instid0(VALU_DEP_1) | instskip(NEXT) | instid1(VALU_DEP_1)
	v_and_or_b32 v13, 0x8000, v13, v14
	v_lshl_or_b32 v0, v0, 7, v13
	s_delay_alu instid0(VALU_DEP_1)
	v_cvt_f32_f16_e32 v38, v0
.LBB309_561:                            ;   in Loop: Header=BB309_547 Depth=1
	s_or_b32 exec_lo, exec_lo, s12
.LBB309_562:                            ;   in Loop: Header=BB309_547 Depth=1
	s_delay_alu instid0(SALU_CYCLE_1)
	s_or_b32 exec_lo, exec_lo, s10
.LBB309_563:                            ;   in Loop: Header=BB309_547 Depth=1
	s_delay_alu instid0(SALU_CYCLE_1) | instskip(SKIP_2) | instid1(VALU_DEP_1)
	s_or_b32 exec_lo, exec_lo, s0
	v_lshrrev_b32_e32 v13, 16, v11
	s_mov_b32 s0, exec_lo
	v_and_b32_e32 v0, 0xff, v13
	s_delay_alu instid0(VALU_DEP_1)
	v_cmpx_ne_u16_e32 0, v0
	s_cbranch_execz .LBB309_571
; %bb.564:                              ;   in Loop: Header=BB309_547 Depth=1
	v_bfrev_b32_e32 v39, 1
	s_mov_b32 s10, exec_lo
	v_cmpx_ne_u16_e32 0x80, v0
	s_cbranch_execz .LBB309_570
; %bb.565:                              ;   in Loop: Header=BB309_547 Depth=1
	v_bfe_u32 v48, v11, 16, 7
	v_mov_b32_e32 v39, 0x7fc02000
	s_mov_b32 s12, exec_lo
	s_delay_alu instid0(VALU_DEP_2)
	v_cmpx_ne_u32_e32 0x7f, v48
	s_cbranch_execz .LBB309_569
; %bb.566:                              ;   in Loop: Header=BB309_547 Depth=1
	v_and_b32_e32 v0, 7, v13
	v_lshrrev_b32_e32 v14, 3, v48
	s_mov_b32 s13, exec_lo
	v_cmpx_gt_u32_e32 8, v48
; %bb.567:                              ;   in Loop: Header=BB309_547 Depth=1
	s_delay_alu instid0(VALU_DEP_3) | instskip(NEXT) | instid1(VALU_DEP_1)
	v_clz_i32_u32_e32 v14, v0
	v_min_u32_e32 v14, 32, v14
	s_delay_alu instid0(VALU_DEP_1) | instskip(SKIP_1) | instid1(VALU_DEP_2)
	v_subrev_nc_u32_e32 v39, 28, v14
	v_sub_nc_u32_e32 v14, 29, v14
	v_lshlrev_b64 v[48:49], v39, v[0:1]
	s_delay_alu instid0(VALU_DEP_1)
	v_and_b32_e32 v0, 7, v48
; %bb.568:                              ;   in Loop: Header=BB309_547 Depth=1
	s_or_b32 exec_lo, exec_lo, s13
	v_lshlrev_b32_e32 v13, 8, v13
	v_lshl_add_u32 v14, v14, 10, 0x2000
	s_delay_alu instid0(VALU_DEP_1) | instskip(NEXT) | instid1(VALU_DEP_1)
	v_and_or_b32 v13, 0x8000, v13, v14
	v_lshl_or_b32 v0, v0, 7, v13
	s_delay_alu instid0(VALU_DEP_1)
	v_cvt_f32_f16_e32 v39, v0
.LBB309_569:                            ;   in Loop: Header=BB309_547 Depth=1
	s_or_b32 exec_lo, exec_lo, s12
.LBB309_570:                            ;   in Loop: Header=BB309_547 Depth=1
	s_delay_alu instid0(SALU_CYCLE_1)
	s_or_b32 exec_lo, exec_lo, s10
.LBB309_571:                            ;   in Loop: Header=BB309_547 Depth=1
	s_delay_alu instid0(SALU_CYCLE_1)
	s_or_b32 exec_lo, exec_lo, s0
	v_dual_mov_b32 v13, 0 :: v_dual_mov_b32 v48, 0
	s_mov_b32 s0, exec_lo
	v_cmpx_lt_u32_e32 0xffffff, v11
	s_cbranch_execz .LBB309_579
; %bb.572:                              ;   in Loop: Header=BB309_547 Depth=1
	v_lshrrev_b32_e32 v14, 24, v11
	v_bfrev_b32_e32 v48, 1
	s_mov_b32 s10, exec_lo
	s_delay_alu instid0(VALU_DEP_2)
	v_cmpx_ne_u32_e32 0x80, v14
	s_cbranch_execz .LBB309_578
; %bb.573:                              ;   in Loop: Header=BB309_547 Depth=1
	v_and_b32_e32 v49, 0x7f, v14
	v_mov_b32_e32 v48, 0x7fc02000
	s_mov_b32 s12, exec_lo
	s_delay_alu instid0(VALU_DEP_2)
	v_cmpx_ne_u32_e32 0x7f, v49
	s_cbranch_execz .LBB309_577
; %bb.574:                              ;   in Loop: Header=BB309_547 Depth=1
	v_and_b32_e32 v0, 7, v14
	v_lshrrev_b32_e32 v48, 3, v49
	s_mov_b32 s13, exec_lo
	v_cmpx_gt_u32_e32 8, v49
; %bb.575:                              ;   in Loop: Header=BB309_547 Depth=1
	s_delay_alu instid0(VALU_DEP_3) | instskip(NEXT) | instid1(VALU_DEP_1)
	v_clz_i32_u32_e32 v48, v0
	v_min_u32_e32 v48, 32, v48
	s_delay_alu instid0(VALU_DEP_1) | instskip(SKIP_1) | instid1(VALU_DEP_2)
	v_subrev_nc_u32_e32 v49, 28, v48
	v_sub_nc_u32_e32 v48, 29, v48
	v_lshlrev_b64 v[49:50], v49, v[0:1]
	s_delay_alu instid0(VALU_DEP_1)
	v_and_b32_e32 v0, 7, v49
; %bb.576:                              ;   in Loop: Header=BB309_547 Depth=1
	s_or_b32 exec_lo, exec_lo, s13
	v_lshlrev_b32_e32 v14, 8, v14
	v_lshl_add_u32 v48, v48, 10, 0x2000
	s_delay_alu instid0(VALU_DEP_1) | instskip(NEXT) | instid1(VALU_DEP_1)
	v_and_or_b32 v14, 0x8000, v14, v48
	v_lshl_or_b32 v0, v0, 7, v14
	s_delay_alu instid0(VALU_DEP_1)
	v_cvt_f32_f16_e32 v48, v0
.LBB309_577:                            ;   in Loop: Header=BB309_547 Depth=1
	s_or_b32 exec_lo, exec_lo, s12
.LBB309_578:                            ;   in Loop: Header=BB309_547 Depth=1
	s_delay_alu instid0(SALU_CYCLE_1)
	s_or_b32 exec_lo, exec_lo, s10
.LBB309_579:                            ;   in Loop: Header=BB309_547 Depth=1
	s_delay_alu instid0(SALU_CYCLE_1) | instskip(SKIP_3) | instid1(VALU_DEP_2)
	s_or_b32 exec_lo, exec_lo, s0
	v_and_b32_e32 v14, 0xff, v12
	v_mov_b32_e32 v0, v12
	s_mov_b32 s0, exec_lo
	v_cmpx_ne_u16_e32 0, v14
	s_cbranch_execz .LBB309_587
; %bb.580:                              ;   in Loop: Header=BB309_547 Depth=1
	v_bfrev_b32_e32 v13, 1
	s_mov_b32 s10, exec_lo
	v_cmpx_ne_u16_e32 0x80, v14
	s_cbranch_execz .LBB309_586
; %bb.581:                              ;   in Loop: Header=BB309_547 Depth=1
	v_and_b32_e32 v14, 0x7f, v12
	v_mov_b32_e32 v13, 0x7fc02000
	s_mov_b32 s12, exec_lo
	s_delay_alu instid0(VALU_DEP_2)
	v_cmpx_ne_u32_e32 0x7f, v14
	s_cbranch_execz .LBB309_585
; %bb.582:                              ;   in Loop: Header=BB309_547 Depth=1
	v_lshrrev_b32_e32 v49, 3, v14
	v_cmp_gt_u32_e32 vcc_lo, 8, v14
	v_dual_mov_b32 v14, v1 :: v_dual_mov_b32 v13, v0
	s_and_saveexec_b32 s13, vcc_lo
; %bb.583:                              ;   in Loop: Header=BB309_547 Depth=1
	v_and_b32_e32 v13, 7, v12
	s_delay_alu instid0(VALU_DEP_1) | instskip(NEXT) | instid1(VALU_DEP_1)
	v_clz_i32_u32_e32 v13, v13
	v_min_u32_e32 v49, 32, v13
	s_delay_alu instid0(VALU_DEP_1) | instskip(SKIP_1) | instid1(VALU_DEP_2)
	v_subrev_nc_u32_e32 v13, 28, v49
	v_sub_nc_u32_e32 v49, 29, v49
	v_lshlrev_b64 v[13:14], v13, v[0:1]
; %bb.584:                              ;   in Loop: Header=BB309_547 Depth=1
	s_or_b32 exec_lo, exec_lo, s13
	v_lshlrev_b32_e32 v14, 8, v12
	s_delay_alu instid0(VALU_DEP_3) | instskip(NEXT) | instid1(VALU_DEP_3)
	v_lshl_add_u32 v49, v49, 10, 0x2000
	v_lshlrev_b32_e32 v13, 7, v13
	s_delay_alu instid0(VALU_DEP_2) | instskip(NEXT) | instid1(VALU_DEP_1)
	v_and_or_b32 v14, 0x8000, v14, v49
	v_and_or_b32 v13, 0x380, v13, v14
	s_delay_alu instid0(VALU_DEP_1)
	v_cvt_f32_f16_e32 v13, v13
.LBB309_585:                            ;   in Loop: Header=BB309_547 Depth=1
	s_or_b32 exec_lo, exec_lo, s12
.LBB309_586:                            ;   in Loop: Header=BB309_547 Depth=1
	s_delay_alu instid0(SALU_CYCLE_1)
	s_or_b32 exec_lo, exec_lo, s10
.LBB309_587:                            ;   in Loop: Header=BB309_547 Depth=1
	s_delay_alu instid0(SALU_CYCLE_1) | instskip(SKIP_3) | instid1(VALU_DEP_2)
	s_or_b32 exec_lo, exec_lo, s0
	v_lshrrev_b16 v0, 8, v0
	v_dual_mov_b32 v14, 0 :: v_dual_mov_b32 v49, 0
	s_mov_b32 s0, exec_lo
	v_cmpx_ne_u16_e32 0, v0
	s_cbranch_execz .LBB309_595
; %bb.588:                              ;   in Loop: Header=BB309_547 Depth=1
	v_bfrev_b32_e32 v49, 1
	s_mov_b32 s10, exec_lo
	v_cmpx_ne_u16_e32 0x80, v0
	s_cbranch_execz .LBB309_594
; %bb.589:                              ;   in Loop: Header=BB309_547 Depth=1
	v_and_b32_e32 v50, 0xffff, v0
	v_mov_b32_e32 v49, 0x7fc02000
	s_mov_b32 s12, exec_lo
	s_delay_alu instid0(VALU_DEP_2) | instskip(NEXT) | instid1(VALU_DEP_1)
	v_and_b32_e32 v67, 0x7f, v50
	v_cmpx_ne_u32_e32 0x7f, v67
	s_cbranch_execz .LBB309_593
; %bb.590:                              ;   in Loop: Header=BB309_547 Depth=1
	v_and_b32_e32 v0, 7, v50
	v_lshrrev_b32_e32 v49, 3, v67
	s_mov_b32 s13, exec_lo
	v_cmpx_gt_u32_e32 8, v67
; %bb.591:                              ;   in Loop: Header=BB309_547 Depth=1
	s_delay_alu instid0(VALU_DEP_3) | instskip(NEXT) | instid1(VALU_DEP_1)
	v_clz_i32_u32_e32 v49, v0
	v_min_u32_e32 v49, 32, v49
	s_delay_alu instid0(VALU_DEP_1) | instskip(SKIP_1) | instid1(VALU_DEP_2)
	v_subrev_nc_u32_e32 v67, 28, v49
	v_sub_nc_u32_e32 v49, 29, v49
	v_lshlrev_b64 v[67:68], v67, v[0:1]
	s_delay_alu instid0(VALU_DEP_1)
	v_and_b32_e32 v0, 7, v67
; %bb.592:                              ;   in Loop: Header=BB309_547 Depth=1
	s_or_b32 exec_lo, exec_lo, s13
	v_lshlrev_b32_e32 v50, 8, v50
	v_lshl_add_u32 v49, v49, 10, 0x2000
	s_delay_alu instid0(VALU_DEP_1) | instskip(NEXT) | instid1(VALU_DEP_1)
	v_and_or_b32 v49, 0x8000, v50, v49
	v_lshl_or_b32 v0, v0, 7, v49
	s_delay_alu instid0(VALU_DEP_1)
	v_cvt_f32_f16_e32 v49, v0
.LBB309_593:                            ;   in Loop: Header=BB309_547 Depth=1
	s_or_b32 exec_lo, exec_lo, s12
.LBB309_594:                            ;   in Loop: Header=BB309_547 Depth=1
	s_delay_alu instid0(SALU_CYCLE_1)
	s_or_b32 exec_lo, exec_lo, s10
.LBB309_595:                            ;   in Loop: Header=BB309_547 Depth=1
	s_delay_alu instid0(SALU_CYCLE_1) | instskip(SKIP_2) | instid1(VALU_DEP_1)
	s_or_b32 exec_lo, exec_lo, s0
	v_lshrrev_b32_e32 v50, 16, v12
	s_mov_b32 s0, exec_lo
	v_and_b32_e32 v0, 0xff, v50
	s_delay_alu instid0(VALU_DEP_1)
	v_cmpx_ne_u16_e32 0, v0
	s_cbranch_execz .LBB309_603
; %bb.596:                              ;   in Loop: Header=BB309_547 Depth=1
	v_bfrev_b32_e32 v14, 1
	s_mov_b32 s10, exec_lo
	v_cmpx_ne_u16_e32 0x80, v0
	s_cbranch_execz .LBB309_602
; %bb.597:                              ;   in Loop: Header=BB309_547 Depth=1
	v_bfe_u32 v67, v12, 16, 7
	v_mov_b32_e32 v14, 0x7fc02000
	s_mov_b32 s12, exec_lo
	s_delay_alu instid0(VALU_DEP_2)
	v_cmpx_ne_u32_e32 0x7f, v67
	s_cbranch_execz .LBB309_601
; %bb.598:                              ;   in Loop: Header=BB309_547 Depth=1
	v_and_b32_e32 v0, 7, v50
	v_lshrrev_b32_e32 v14, 3, v67
	s_mov_b32 s13, exec_lo
	v_cmpx_gt_u32_e32 8, v67
; %bb.599:                              ;   in Loop: Header=BB309_547 Depth=1
	s_delay_alu instid0(VALU_DEP_3) | instskip(NEXT) | instid1(VALU_DEP_1)
	v_clz_i32_u32_e32 v14, v0
	v_min_u32_e32 v14, 32, v14
	s_delay_alu instid0(VALU_DEP_1) | instskip(SKIP_1) | instid1(VALU_DEP_2)
	v_subrev_nc_u32_e32 v67, 28, v14
	v_sub_nc_u32_e32 v14, 29, v14
	v_lshlrev_b64 v[67:68], v67, v[0:1]
	s_delay_alu instid0(VALU_DEP_1)
	v_and_b32_e32 v0, 7, v67
; %bb.600:                              ;   in Loop: Header=BB309_547 Depth=1
	s_or_b32 exec_lo, exec_lo, s13
	v_lshlrev_b32_e32 v50, 8, v50
	v_lshl_add_u32 v14, v14, 10, 0x2000
	s_delay_alu instid0(VALU_DEP_1) | instskip(NEXT) | instid1(VALU_DEP_1)
	v_and_or_b32 v14, 0x8000, v50, v14
	v_lshl_or_b32 v0, v0, 7, v14
	s_delay_alu instid0(VALU_DEP_1)
	v_cvt_f32_f16_e32 v14, v0
.LBB309_601:                            ;   in Loop: Header=BB309_547 Depth=1
	s_or_b32 exec_lo, exec_lo, s12
.LBB309_602:                            ;   in Loop: Header=BB309_547 Depth=1
	s_delay_alu instid0(SALU_CYCLE_1)
	s_or_b32 exec_lo, exec_lo, s10
.LBB309_603:                            ;   in Loop: Header=BB309_547 Depth=1
	s_delay_alu instid0(SALU_CYCLE_1)
	s_or_b32 exec_lo, exec_lo, s0
	v_mov_b32_e32 v0, 0
	s_mov_b32 s0, exec_lo
	v_cmpx_lt_u64_e64 s[8:9], v[11:12]
	s_cbranch_execz .LBB309_611
; %bb.604:                              ;   in Loop: Header=BB309_547 Depth=1
	v_lshrrev_b32_e32 v11, 24, v12
	v_bfrev_b32_e32 v0, 1
	s_mov_b32 s10, exec_lo
	s_delay_alu instid0(VALU_DEP_2)
	v_cmpx_ne_u32_e32 0x80, v11
	s_cbranch_execz .LBB309_610
; %bb.605:                              ;   in Loop: Header=BB309_547 Depth=1
	v_and_b32_e32 v50, 0x7f, v11
	v_mov_b32_e32 v0, 0x7fc02000
	s_mov_b32 s12, exec_lo
	s_delay_alu instid0(VALU_DEP_2)
	v_cmpx_ne_u32_e32 0x7f, v50
	s_cbranch_execz .LBB309_609
; %bb.606:                              ;   in Loop: Header=BB309_547 Depth=1
	v_and_b32_e32 v0, 7, v11
	v_lshrrev_b32_e32 v12, 3, v50
	s_mov_b32 s13, exec_lo
	v_cmpx_gt_u32_e32 8, v50
; %bb.607:                              ;   in Loop: Header=BB309_547 Depth=1
	s_delay_alu instid0(VALU_DEP_3) | instskip(NEXT) | instid1(VALU_DEP_1)
	v_clz_i32_u32_e32 v12, v0
	v_min_u32_e32 v12, 32, v12
	s_delay_alu instid0(VALU_DEP_1) | instskip(SKIP_1) | instid1(VALU_DEP_2)
	v_subrev_nc_u32_e32 v50, 28, v12
	v_sub_nc_u32_e32 v12, 29, v12
	v_lshlrev_b64 v[67:68], v50, v[0:1]
	s_delay_alu instid0(VALU_DEP_1)
	v_and_b32_e32 v0, 7, v67
; %bb.608:                              ;   in Loop: Header=BB309_547 Depth=1
	s_or_b32 exec_lo, exec_lo, s13
	v_lshlrev_b32_e32 v11, 8, v11
	v_lshl_add_u32 v12, v12, 10, 0x2000
	s_delay_alu instid0(VALU_DEP_1) | instskip(NEXT) | instid1(VALU_DEP_1)
	v_and_or_b32 v11, 0x8000, v11, v12
	v_lshl_or_b32 v0, v0, 7, v11
	s_delay_alu instid0(VALU_DEP_1)
	v_cvt_f32_f16_e32 v0, v0
.LBB309_609:                            ;   in Loop: Header=BB309_547 Depth=1
	s_or_b32 exec_lo, exec_lo, s12
.LBB309_610:                            ;   in Loop: Header=BB309_547 Depth=1
	s_delay_alu instid0(SALU_CYCLE_1)
	s_or_b32 exec_lo, exec_lo, s10
.LBB309_611:                            ;   in Loop: Header=BB309_547 Depth=1
	s_delay_alu instid0(SALU_CYCLE_1)
	s_or_b32 exec_lo, exec_lo, s0
	s_waitcnt vmcnt(0) lgkmcnt(0)
	v_fma_mixlo_f16 v11, v17, v48, 0
	v_fma_mixlo_f16 v12, v17, v39, 0
	;; [unrolled: 1-line block ×8, first 2 shown]
	v_lshlrev_b32_e32 v11, 16, v11
	v_and_b32_e32 v12, 0xffff, v12
	v_lshlrev_b32_e32 v38, 16, v38
	v_and_b32_e32 v14, 0xffff, v37
	;; [unrolled: 2-line block ×4, first 2 shown]
	v_cmp_eq_u32_e32 vcc_lo, v23, v6
	v_or_b32_e32 v12, v11, v12
	v_or_b32_e32 v14, v38, v14
	;; [unrolled: 1-line block ×4, first 2 shown]
	v_add_nc_u32_e32 v50, 1, v15
	v_or_b32_e32 v49, 3, v15
	v_or_b32_e32 v48, 2, v15
	;; [unrolled: 1-line block ×6, first 2 shown]
	s_and_saveexec_b32 s10, vcc_lo
	s_cbranch_execz .LBB309_613
; %bb.612:                              ;   in Loop: Header=BB309_547 Depth=1
	v_cmp_lt_i32_e64 s0, v15, v32
	v_lshrrev_b32_e32 v67, 16, v14
	v_lshrrev_b32_e32 v68, 16, v12
	;; [unrolled: 1-line block ×4, first 2 shown]
	v_cndmask_b32_e64 v14, 0, v14, s0
	v_cmp_lt_i32_e64 s0, v50, v35
	s_delay_alu instid0(VALU_DEP_1) | instskip(SKIP_1) | instid1(VALU_DEP_2)
	v_cndmask_b32_e64 v67, 0, v67, s0
	v_cmp_lt_i32_e64 s0, v49, v35
	v_perm_b32 v14, v67, v14, 0x5040100
	s_delay_alu instid0(VALU_DEP_2) | instskip(SKIP_1) | instid1(VALU_DEP_1)
	v_cndmask_b32_e64 v68, 0, v68, s0
	v_cmp_lt_i32_e64 s0, v48, v32
	v_cndmask_b32_e64 v12, 0, v12, s0
	v_cmp_lt_i32_e64 s0, v39, v35
	s_delay_alu instid0(VALU_DEP_2) | instskip(NEXT) | instid1(VALU_DEP_2)
	v_perm_b32 v12, v68, v12, 0x5040100
	v_cndmask_b32_e64 v69, 0, v69, s0
	v_cmp_lt_i32_e64 s0, v38, v32
	s_delay_alu instid0(VALU_DEP_1) | instskip(SKIP_1) | instid1(VALU_DEP_2)
	v_cndmask_b32_e64 v0, 0, v0, s0
	v_cmp_lt_i32_e64 s0, v37, v35
	v_perm_b32 v0, v69, v0, 0x5040100
	s_delay_alu instid0(VALU_DEP_2) | instskip(SKIP_1) | instid1(VALU_DEP_1)
	v_cndmask_b32_e64 v11, 0, v11, s0
	v_cmp_lt_i32_e64 s0, v17, v32
	v_cndmask_b32_e64 v13, 0, v13, s0
	s_delay_alu instid0(VALU_DEP_1)
	v_perm_b32 v11, v11, v13, 0x5040100
.LBB309_613:                            ;   in Loop: Header=BB309_547 Depth=1
	s_or_b32 exec_lo, exec_lo, s10
	v_and_b32_e32 v13, 0xffff, v51
	v_and_b32_e32 v51, 0xffff, v54
	;; [unrolled: 1-line block ×3, first 2 shown]
	v_dual_mov_b32 v67, 0 :: v_dual_and_b32 v66, 0xffff, v66
	s_mov_b32 s10, exec_lo
	s_delay_alu instid0(VALU_DEP_3) | instskip(NEXT) | instid1(VALU_DEP_2)
	v_lshl_or_b32 v53, v53, 16, v51
	v_lshl_or_b32 v51, v64, 16, v66
	v_mov_b32_e32 v66, 0
	v_lshl_or_b32 v54, v52, 16, v13
	v_lshl_or_b32 v52, v55, 16, v65
	;;#ASMSTART
	v_pk_mul_f16 v13, v54, v14;

	;;#ASMEND
	;;#ASMSTART
	v_pk_mul_f16 v12, v53, v12;

	;;#ASMEND
	;; [unrolled: 4-line block ×4, first 2 shown]
	;;#ASMSTART
	v_pk_add_f16 v12, v13, v12;

	;;#ASMEND
	;;#ASMSTART
	v_pk_add_f16 v0, v12, v0;

	;;#ASMEND
	;; [unrolled: 4-line block ×3, first 2 shown]
	v_and_b32_e32 v11, 0xffff, v0
	v_lshrrev_b32_e32 v0, 16, v0
	;;#ASMSTART
	v_cvt_f32_f16 v55, v11;
	;;#ASMEND
	;;#ASMSTART
	v_cvt_f32_f16 v64, v0;
	;;#ASMEND
	flat_load_b64 v[11:12], v[9:10] offset:256
	flat_load_b32 v65, v[26:27]
	s_waitcnt vmcnt(1) lgkmcnt(1)
	v_and_b32_e32 v0, 0xff, v11
	s_delay_alu instid0(VALU_DEP_1)
	v_cmpx_ne_u16_e32 0, v0
	s_cbranch_execz .LBB309_621
; %bb.614:                              ;   in Loop: Header=BB309_547 Depth=1
	v_bfrev_b32_e32 v66, 1
	s_mov_b32 s12, exec_lo
	v_cmpx_ne_u16_e32 0x80, v0
	s_cbranch_execz .LBB309_620
; %bb.615:                              ;   in Loop: Header=BB309_547 Depth=1
	v_and_b32_e32 v13, 0x7f, v11
	v_mov_b32_e32 v66, 0x7fc02000
	s_mov_b32 s13, exec_lo
	s_delay_alu instid0(VALU_DEP_2)
	v_cmpx_ne_u32_e32 0x7f, v13
	s_cbranch_execz .LBB309_619
; %bb.616:                              ;   in Loop: Header=BB309_547 Depth=1
	v_lshrrev_b32_e32 v0, 3, v13
	v_cmp_gt_u32_e64 s0, 8, v13
	v_dual_mov_b32 v14, v12 :: v_dual_mov_b32 v13, v11
	s_delay_alu instid0(VALU_DEP_2)
	s_and_saveexec_b32 s15, s0
; %bb.617:                              ;   in Loop: Header=BB309_547 Depth=1
	v_and_b32_e32 v0, 7, v11
	s_delay_alu instid0(VALU_DEP_1) | instskip(NEXT) | instid1(VALU_DEP_1)
	v_clz_i32_u32_e32 v0, v0
	v_min_u32_e32 v0, 32, v0
	s_delay_alu instid0(VALU_DEP_1) | instskip(SKIP_1) | instid1(VALU_DEP_2)
	v_subrev_nc_u32_e32 v13, 28, v0
	v_sub_nc_u32_e32 v0, 29, v0
	v_lshlrev_b64 v[13:14], v13, v[11:12]
; %bb.618:                              ;   in Loop: Header=BB309_547 Depth=1
	s_or_b32 exec_lo, exec_lo, s15
	v_lshlrev_b32_e32 v14, 8, v11
	s_delay_alu instid0(VALU_DEP_3) | instskip(NEXT) | instid1(VALU_DEP_3)
	v_lshl_add_u32 v0, v0, 10, 0x2000
	v_lshlrev_b32_e32 v13, 7, v13
	s_delay_alu instid0(VALU_DEP_2) | instskip(NEXT) | instid1(VALU_DEP_1)
	v_and_or_b32 v0, 0x8000, v14, v0
	v_and_or_b32 v0, 0x380, v13, v0
	s_delay_alu instid0(VALU_DEP_1)
	v_cvt_f32_f16_e32 v66, v0
.LBB309_619:                            ;   in Loop: Header=BB309_547 Depth=1
	s_or_b32 exec_lo, exec_lo, s13
.LBB309_620:                            ;   in Loop: Header=BB309_547 Depth=1
	s_delay_alu instid0(SALU_CYCLE_1)
	s_or_b32 exec_lo, exec_lo, s12
.LBB309_621:                            ;   in Loop: Header=BB309_547 Depth=1
	s_delay_alu instid0(SALU_CYCLE_1) | instskip(SKIP_2) | instid1(VALU_DEP_1)
	s_or_b32 exec_lo, exec_lo, s10
	v_lshrrev_b16 v0, 8, v11
	s_mov_b32 s10, exec_lo
	v_cmpx_ne_u16_e32 0, v0
	s_cbranch_execz .LBB309_629
; %bb.622:                              ;   in Loop: Header=BB309_547 Depth=1
	v_bfrev_b32_e32 v67, 1
	s_mov_b32 s12, exec_lo
	v_cmpx_ne_u16_e32 0x80, v0
	s_cbranch_execz .LBB309_628
; %bb.623:                              ;   in Loop: Header=BB309_547 Depth=1
	v_and_b32_e32 v13, 0xffff, v0
	v_mov_b32_e32 v67, 0x7fc02000
	s_mov_b32 s13, exec_lo
	s_delay_alu instid0(VALU_DEP_2) | instskip(NEXT) | instid1(VALU_DEP_1)
	v_and_b32_e32 v68, 0x7f, v13
	v_cmpx_ne_u32_e32 0x7f, v68
	s_cbranch_execz .LBB309_627
; %bb.624:                              ;   in Loop: Header=BB309_547 Depth=1
	v_and_b32_e32 v0, 7, v13
	v_lshrrev_b32_e32 v14, 3, v68
	s_mov_b32 s15, exec_lo
	v_cmpx_gt_u32_e32 8, v68
; %bb.625:                              ;   in Loop: Header=BB309_547 Depth=1
	s_delay_alu instid0(VALU_DEP_3) | instskip(NEXT) | instid1(VALU_DEP_1)
	v_clz_i32_u32_e32 v14, v0
	v_min_u32_e32 v14, 32, v14
	s_delay_alu instid0(VALU_DEP_1) | instskip(SKIP_1) | instid1(VALU_DEP_2)
	v_subrev_nc_u32_e32 v67, 28, v14
	v_sub_nc_u32_e32 v14, 29, v14
	v_lshlrev_b64 v[67:68], v67, v[0:1]
	s_delay_alu instid0(VALU_DEP_1)
	v_and_b32_e32 v0, 7, v67
; %bb.626:                              ;   in Loop: Header=BB309_547 Depth=1
	s_or_b32 exec_lo, exec_lo, s15
	v_lshlrev_b32_e32 v13, 8, v13
	v_lshl_add_u32 v14, v14, 10, 0x2000
	s_delay_alu instid0(VALU_DEP_1) | instskip(NEXT) | instid1(VALU_DEP_1)
	v_and_or_b32 v13, 0x8000, v13, v14
	v_lshl_or_b32 v0, v0, 7, v13
	s_delay_alu instid0(VALU_DEP_1)
	v_cvt_f32_f16_e32 v67, v0
.LBB309_627:                            ;   in Loop: Header=BB309_547 Depth=1
	s_or_b32 exec_lo, exec_lo, s13
.LBB309_628:                            ;   in Loop: Header=BB309_547 Depth=1
	s_delay_alu instid0(SALU_CYCLE_1)
	s_or_b32 exec_lo, exec_lo, s12
.LBB309_629:                            ;   in Loop: Header=BB309_547 Depth=1
	s_delay_alu instid0(SALU_CYCLE_1) | instskip(SKIP_3) | instid1(VALU_DEP_2)
	s_or_b32 exec_lo, exec_lo, s10
	v_lshrrev_b32_e32 v13, 16, v11
	v_mov_b32_e32 v68, 0
	s_mov_b32 s10, exec_lo
	v_dual_mov_b32 v69, 0 :: v_dual_and_b32 v0, 0xff, v13
	s_delay_alu instid0(VALU_DEP_1)
	v_cmpx_ne_u16_e32 0, v0
	s_cbranch_execz .LBB309_637
; %bb.630:                              ;   in Loop: Header=BB309_547 Depth=1
	v_bfrev_b32_e32 v68, 1
	s_mov_b32 s12, exec_lo
	v_cmpx_ne_u16_e32 0x80, v0
	s_cbranch_execz .LBB309_636
; %bb.631:                              ;   in Loop: Header=BB309_547 Depth=1
	v_bfe_u32 v70, v11, 16, 7
	v_mov_b32_e32 v68, 0x7fc02000
	s_mov_b32 s13, exec_lo
	s_delay_alu instid0(VALU_DEP_2)
	v_cmpx_ne_u32_e32 0x7f, v70
	s_cbranch_execz .LBB309_635
; %bb.632:                              ;   in Loop: Header=BB309_547 Depth=1
	v_and_b32_e32 v0, 7, v13
	v_lshrrev_b32_e32 v14, 3, v70
	s_mov_b32 s15, exec_lo
	v_cmpx_gt_u32_e32 8, v70
; %bb.633:                              ;   in Loop: Header=BB309_547 Depth=1
	s_delay_alu instid0(VALU_DEP_3) | instskip(NEXT) | instid1(VALU_DEP_1)
	v_clz_i32_u32_e32 v14, v0
	v_min_u32_e32 v14, 32, v14
	s_delay_alu instid0(VALU_DEP_1) | instskip(SKIP_1) | instid1(VALU_DEP_2)
	v_subrev_nc_u32_e32 v68, 28, v14
	v_sub_nc_u32_e32 v14, 29, v14
	v_lshlrev_b64 v[70:71], v68, v[0:1]
	s_delay_alu instid0(VALU_DEP_1)
	v_and_b32_e32 v0, 7, v70
; %bb.634:                              ;   in Loop: Header=BB309_547 Depth=1
	s_or_b32 exec_lo, exec_lo, s15
	v_lshlrev_b32_e32 v13, 8, v13
	v_lshl_add_u32 v14, v14, 10, 0x2000
	s_delay_alu instid0(VALU_DEP_1) | instskip(NEXT) | instid1(VALU_DEP_1)
	v_and_or_b32 v13, 0x8000, v13, v14
	v_lshl_or_b32 v0, v0, 7, v13
	s_delay_alu instid0(VALU_DEP_1)
	v_cvt_f32_f16_e32 v68, v0
.LBB309_635:                            ;   in Loop: Header=BB309_547 Depth=1
	s_or_b32 exec_lo, exec_lo, s13
.LBB309_636:                            ;   in Loop: Header=BB309_547 Depth=1
	s_delay_alu instid0(SALU_CYCLE_1)
	s_or_b32 exec_lo, exec_lo, s12
.LBB309_637:                            ;   in Loop: Header=BB309_547 Depth=1
	s_delay_alu instid0(SALU_CYCLE_1) | instskip(NEXT) | instid1(SALU_CYCLE_1)
	s_or_b32 exec_lo, exec_lo, s10
	s_mov_b32 s10, exec_lo
	v_cmpx_lt_u32_e32 0xffffff, v11
	s_cbranch_execz .LBB309_645
; %bb.638:                              ;   in Loop: Header=BB309_547 Depth=1
	v_lshrrev_b32_e32 v13, 24, v11
	v_bfrev_b32_e32 v69, 1
	s_mov_b32 s12, exec_lo
	s_delay_alu instid0(VALU_DEP_2)
	v_cmpx_ne_u32_e32 0x80, v13
	s_cbranch_execz .LBB309_644
; %bb.639:                              ;   in Loop: Header=BB309_547 Depth=1
	v_and_b32_e32 v70, 0x7f, v13
	v_mov_b32_e32 v69, 0x7fc02000
	s_mov_b32 s13, exec_lo
	s_delay_alu instid0(VALU_DEP_2)
	v_cmpx_ne_u32_e32 0x7f, v70
	s_cbranch_execz .LBB309_643
; %bb.640:                              ;   in Loop: Header=BB309_547 Depth=1
	v_and_b32_e32 v0, 7, v13
	v_lshrrev_b32_e32 v14, 3, v70
	s_mov_b32 s15, exec_lo
	v_cmpx_gt_u32_e32 8, v70
; %bb.641:                              ;   in Loop: Header=BB309_547 Depth=1
	s_delay_alu instid0(VALU_DEP_3) | instskip(NEXT) | instid1(VALU_DEP_1)
	v_clz_i32_u32_e32 v14, v0
	v_min_u32_e32 v14, 32, v14
	s_delay_alu instid0(VALU_DEP_1) | instskip(SKIP_1) | instid1(VALU_DEP_2)
	v_subrev_nc_u32_e32 v69, 28, v14
	v_sub_nc_u32_e32 v14, 29, v14
	v_lshlrev_b64 v[69:70], v69, v[0:1]
	s_delay_alu instid0(VALU_DEP_1)
	v_and_b32_e32 v0, 7, v69
; %bb.642:                              ;   in Loop: Header=BB309_547 Depth=1
	s_or_b32 exec_lo, exec_lo, s15
	v_lshlrev_b32_e32 v13, 8, v13
	v_lshl_add_u32 v14, v14, 10, 0x2000
	s_delay_alu instid0(VALU_DEP_1) | instskip(NEXT) | instid1(VALU_DEP_1)
	v_and_or_b32 v13, 0x8000, v13, v14
	v_lshl_or_b32 v0, v0, 7, v13
	s_delay_alu instid0(VALU_DEP_1)
	v_cvt_f32_f16_e32 v69, v0
.LBB309_643:                            ;   in Loop: Header=BB309_547 Depth=1
	s_or_b32 exec_lo, exec_lo, s13
.LBB309_644:                            ;   in Loop: Header=BB309_547 Depth=1
	s_delay_alu instid0(SALU_CYCLE_1)
	s_or_b32 exec_lo, exec_lo, s12
.LBB309_645:                            ;   in Loop: Header=BB309_547 Depth=1
	s_delay_alu instid0(SALU_CYCLE_1) | instskip(SKIP_4) | instid1(VALU_DEP_3)
	s_or_b32 exec_lo, exec_lo, s10
	v_dual_mov_b32 v13, 0 :: v_dual_and_b32 v14, 0xff, v12
	v_mov_b32_e32 v0, v12
	v_mov_b32_e32 v70, 0
	s_mov_b32 s10, exec_lo
	v_cmpx_ne_u16_e32 0, v14
	s_cbranch_execz .LBB309_653
; %bb.646:                              ;   in Loop: Header=BB309_547 Depth=1
	v_bfrev_b32_e32 v13, 1
	s_mov_b32 s12, exec_lo
	v_cmpx_ne_u16_e32 0x80, v14
	s_cbranch_execz .LBB309_652
; %bb.647:                              ;   in Loop: Header=BB309_547 Depth=1
	v_and_b32_e32 v14, 0x7f, v12
	v_mov_b32_e32 v13, 0x7fc02000
	s_mov_b32 s13, exec_lo
	s_delay_alu instid0(VALU_DEP_2)
	v_cmpx_ne_u32_e32 0x7f, v14
	s_cbranch_execz .LBB309_651
; %bb.648:                              ;   in Loop: Header=BB309_547 Depth=1
	v_lshrrev_b32_e32 v71, 3, v14
	v_cmp_gt_u32_e64 s0, 8, v14
	v_dual_mov_b32 v14, v1 :: v_dual_mov_b32 v13, v0
	s_delay_alu instid0(VALU_DEP_2)
	s_and_saveexec_b32 s15, s0
; %bb.649:                              ;   in Loop: Header=BB309_547 Depth=1
	v_and_b32_e32 v13, 7, v12
	s_delay_alu instid0(VALU_DEP_1) | instskip(NEXT) | instid1(VALU_DEP_1)
	v_clz_i32_u32_e32 v13, v13
	v_min_u32_e32 v71, 32, v13
	s_delay_alu instid0(VALU_DEP_1) | instskip(SKIP_1) | instid1(VALU_DEP_2)
	v_subrev_nc_u32_e32 v13, 28, v71
	v_sub_nc_u32_e32 v71, 29, v71
	v_lshlrev_b64 v[13:14], v13, v[0:1]
; %bb.650:                              ;   in Loop: Header=BB309_547 Depth=1
	s_or_b32 exec_lo, exec_lo, s15
	v_lshlrev_b32_e32 v14, 8, v12
	s_delay_alu instid0(VALU_DEP_3) | instskip(NEXT) | instid1(VALU_DEP_3)
	v_lshl_add_u32 v71, v71, 10, 0x2000
	v_lshlrev_b32_e32 v13, 7, v13
	s_delay_alu instid0(VALU_DEP_2) | instskip(NEXT) | instid1(VALU_DEP_1)
	v_and_or_b32 v14, 0x8000, v14, v71
	v_and_or_b32 v13, 0x380, v13, v14
	s_delay_alu instid0(VALU_DEP_1)
	v_cvt_f32_f16_e32 v13, v13
.LBB309_651:                            ;   in Loop: Header=BB309_547 Depth=1
	s_or_b32 exec_lo, exec_lo, s13
.LBB309_652:                            ;   in Loop: Header=BB309_547 Depth=1
	s_delay_alu instid0(SALU_CYCLE_1)
	s_or_b32 exec_lo, exec_lo, s12
.LBB309_653:                            ;   in Loop: Header=BB309_547 Depth=1
	s_delay_alu instid0(SALU_CYCLE_1) | instskip(SKIP_2) | instid1(VALU_DEP_1)
	s_or_b32 exec_lo, exec_lo, s10
	v_lshrrev_b16 v0, 8, v0
	s_mov_b32 s10, exec_lo
	v_cmpx_ne_u16_e32 0, v0
	s_cbranch_execz .LBB309_661
; %bb.654:                              ;   in Loop: Header=BB309_547 Depth=1
	v_bfrev_b32_e32 v70, 1
	s_mov_b32 s12, exec_lo
	v_cmpx_ne_u16_e32 0x80, v0
	s_cbranch_execz .LBB309_660
; %bb.655:                              ;   in Loop: Header=BB309_547 Depth=1
	v_and_b32_e32 v14, 0xffff, v0
	v_mov_b32_e32 v70, 0x7fc02000
	s_mov_b32 s13, exec_lo
	s_delay_alu instid0(VALU_DEP_2) | instskip(NEXT) | instid1(VALU_DEP_1)
	v_and_b32_e32 v71, 0x7f, v14
	v_cmpx_ne_u32_e32 0x7f, v71
	s_cbranch_execz .LBB309_659
; %bb.656:                              ;   in Loop: Header=BB309_547 Depth=1
	v_and_b32_e32 v0, 7, v14
	v_lshrrev_b32_e32 v70, 3, v71
	s_mov_b32 s15, exec_lo
	v_cmpx_gt_u32_e32 8, v71
; %bb.657:                              ;   in Loop: Header=BB309_547 Depth=1
	s_delay_alu instid0(VALU_DEP_3) | instskip(NEXT) | instid1(VALU_DEP_1)
	v_clz_i32_u32_e32 v70, v0
	v_min_u32_e32 v70, 32, v70
	s_delay_alu instid0(VALU_DEP_1) | instskip(SKIP_1) | instid1(VALU_DEP_2)
	v_subrev_nc_u32_e32 v71, 28, v70
	v_sub_nc_u32_e32 v70, 29, v70
	v_lshlrev_b64 v[80:81], v71, v[0:1]
	s_delay_alu instid0(VALU_DEP_1)
	v_and_b32_e32 v0, 7, v80
; %bb.658:                              ;   in Loop: Header=BB309_547 Depth=1
	s_or_b32 exec_lo, exec_lo, s15
	v_lshlrev_b32_e32 v14, 8, v14
	v_lshl_add_u32 v70, v70, 10, 0x2000
	s_delay_alu instid0(VALU_DEP_1) | instskip(NEXT) | instid1(VALU_DEP_1)
	v_and_or_b32 v14, 0x8000, v14, v70
	v_lshl_or_b32 v0, v0, 7, v14
	s_delay_alu instid0(VALU_DEP_1)
	v_cvt_f32_f16_e32 v70, v0
.LBB309_659:                            ;   in Loop: Header=BB309_547 Depth=1
	s_or_b32 exec_lo, exec_lo, s13
.LBB309_660:                            ;   in Loop: Header=BB309_547 Depth=1
	s_delay_alu instid0(SALU_CYCLE_1)
	s_or_b32 exec_lo, exec_lo, s12
.LBB309_661:                            ;   in Loop: Header=BB309_547 Depth=1
	s_delay_alu instid0(SALU_CYCLE_1) | instskip(SKIP_3) | instid1(VALU_DEP_2)
	s_or_b32 exec_lo, exec_lo, s10
	v_lshrrev_b32_e32 v80, 16, v12
	v_mov_b32_e32 v14, 0
	s_mov_b32 s10, exec_lo
	v_dual_mov_b32 v71, 0 :: v_dual_and_b32 v0, 0xff, v80
	s_delay_alu instid0(VALU_DEP_1)
	v_cmpx_ne_u16_e32 0, v0
	s_cbranch_execz .LBB309_669
; %bb.662:                              ;   in Loop: Header=BB309_547 Depth=1
	v_bfrev_b32_e32 v14, 1
	s_mov_b32 s12, exec_lo
	v_cmpx_ne_u16_e32 0x80, v0
	s_cbranch_execz .LBB309_668
; %bb.663:                              ;   in Loop: Header=BB309_547 Depth=1
	v_bfe_u32 v81, v12, 16, 7
	v_mov_b32_e32 v14, 0x7fc02000
	s_mov_b32 s13, exec_lo
	s_delay_alu instid0(VALU_DEP_2)
	v_cmpx_ne_u32_e32 0x7f, v81
	s_cbranch_execz .LBB309_667
; %bb.664:                              ;   in Loop: Header=BB309_547 Depth=1
	v_and_b32_e32 v0, 7, v80
	v_lshrrev_b32_e32 v14, 3, v81
	s_mov_b32 s15, exec_lo
	v_cmpx_gt_u32_e32 8, v81
; %bb.665:                              ;   in Loop: Header=BB309_547 Depth=1
	s_delay_alu instid0(VALU_DEP_3) | instskip(NEXT) | instid1(VALU_DEP_1)
	v_clz_i32_u32_e32 v14, v0
	v_min_u32_e32 v14, 32, v14
	s_delay_alu instid0(VALU_DEP_1) | instskip(SKIP_1) | instid1(VALU_DEP_2)
	v_subrev_nc_u32_e32 v81, 28, v14
	v_sub_nc_u32_e32 v14, 29, v14
	v_lshlrev_b64 v[81:82], v81, v[0:1]
	s_delay_alu instid0(VALU_DEP_1)
	v_and_b32_e32 v0, 7, v81
; %bb.666:                              ;   in Loop: Header=BB309_547 Depth=1
	s_or_b32 exec_lo, exec_lo, s15
	v_lshlrev_b32_e32 v80, 8, v80
	v_lshl_add_u32 v14, v14, 10, 0x2000
	s_delay_alu instid0(VALU_DEP_1) | instskip(NEXT) | instid1(VALU_DEP_1)
	v_and_or_b32 v14, 0x8000, v80, v14
	v_lshl_or_b32 v0, v0, 7, v14
	s_delay_alu instid0(VALU_DEP_1)
	v_cvt_f32_f16_e32 v14, v0
.LBB309_667:                            ;   in Loop: Header=BB309_547 Depth=1
	s_or_b32 exec_lo, exec_lo, s13
.LBB309_668:                            ;   in Loop: Header=BB309_547 Depth=1
	s_delay_alu instid0(SALU_CYCLE_1)
	s_or_b32 exec_lo, exec_lo, s12
.LBB309_669:                            ;   in Loop: Header=BB309_547 Depth=1
	s_delay_alu instid0(SALU_CYCLE_1) | instskip(NEXT) | instid1(SALU_CYCLE_1)
	s_or_b32 exec_lo, exec_lo, s10
	s_mov_b32 s10, exec_lo
	v_cmpx_lt_u64_e64 s[8:9], v[11:12]
	s_cbranch_execz .LBB309_677
; %bb.670:                              ;   in Loop: Header=BB309_547 Depth=1
	v_lshrrev_b32_e32 v11, 24, v12
	v_bfrev_b32_e32 v71, 1
	s_mov_b32 s12, exec_lo
	s_delay_alu instid0(VALU_DEP_2)
	v_cmpx_ne_u32_e32 0x80, v11
	s_cbranch_execz .LBB309_676
; %bb.671:                              ;   in Loop: Header=BB309_547 Depth=1
	v_and_b32_e32 v80, 0x7f, v11
	v_mov_b32_e32 v71, 0x7fc02000
	s_mov_b32 s13, exec_lo
	s_delay_alu instid0(VALU_DEP_2)
	v_cmpx_ne_u32_e32 0x7f, v80
	s_cbranch_execz .LBB309_675
; %bb.672:                              ;   in Loop: Header=BB309_547 Depth=1
	v_and_b32_e32 v0, 7, v11
	v_lshrrev_b32_e32 v12, 3, v80
	s_mov_b32 s15, exec_lo
	v_cmpx_gt_u32_e32 8, v80
; %bb.673:                              ;   in Loop: Header=BB309_547 Depth=1
	s_delay_alu instid0(VALU_DEP_3) | instskip(NEXT) | instid1(VALU_DEP_1)
	v_clz_i32_u32_e32 v12, v0
	v_min_u32_e32 v12, 32, v12
	s_delay_alu instid0(VALU_DEP_1) | instskip(SKIP_1) | instid1(VALU_DEP_2)
	v_subrev_nc_u32_e32 v71, 28, v12
	v_sub_nc_u32_e32 v12, 29, v12
	v_lshlrev_b64 v[80:81], v71, v[0:1]
	s_delay_alu instid0(VALU_DEP_1)
	v_and_b32_e32 v0, 7, v80
; %bb.674:                              ;   in Loop: Header=BB309_547 Depth=1
	s_or_b32 exec_lo, exec_lo, s15
	v_lshlrev_b32_e32 v11, 8, v11
	v_lshl_add_u32 v12, v12, 10, 0x2000
	s_delay_alu instid0(VALU_DEP_1) | instskip(NEXT) | instid1(VALU_DEP_1)
	v_and_or_b32 v11, 0x8000, v11, v12
	v_lshl_or_b32 v0, v0, 7, v11
	s_delay_alu instid0(VALU_DEP_1)
	v_cvt_f32_f16_e32 v71, v0
.LBB309_675:                            ;   in Loop: Header=BB309_547 Depth=1
	s_or_b32 exec_lo, exec_lo, s13
.LBB309_676:                            ;   in Loop: Header=BB309_547 Depth=1
	s_delay_alu instid0(SALU_CYCLE_1)
	s_or_b32 exec_lo, exec_lo, s12
.LBB309_677:                            ;   in Loop: Header=BB309_547 Depth=1
	s_delay_alu instid0(SALU_CYCLE_1)
	s_or_b32 exec_lo, exec_lo, s10
	s_waitcnt vmcnt(0) lgkmcnt(0)
	v_fma_mixlo_f16 v12, v65, v67, 0
	v_fma_mixlo_f16 v0, v65, v69, 0
	;; [unrolled: 1-line block ×5, first 2 shown]
	v_lshlrev_b32_e32 v67, 16, v12
	v_fma_mixlo_f16 v13, v65, v13, 0
	v_fma_mixlo_f16 v69, v65, v71, 0
	;; [unrolled: 1-line block ×3, first 2 shown]
	v_lshlrev_b32_e32 v0, 16, v0
	v_and_b32_e32 v11, 0xffff, v11
	v_and_b32_e32 v14, 0xffff, v66
	v_lshlrev_b32_e32 v65, 16, v68
	v_and_b32_e32 v66, 0xffff, v13
	v_lshlrev_b32_e32 v68, 16, v69
	v_and_b32_e32 v69, 0xffff, v12
	v_or_b32_e32 v13, v0, v11
	v_or_b32_e32 v14, v67, v14
	;; [unrolled: 1-line block ×3, first 2 shown]
	s_delay_alu instid0(VALU_DEP_4)
	v_or_b32_e32 v11, v68, v69
	s_and_saveexec_b32 s10, vcc_lo
	s_cbranch_execz .LBB309_679
; %bb.678:                              ;   in Loop: Header=BB309_547 Depth=1
	v_cmp_lt_i32_e64 s0, v15, v32
	v_lshrrev_b32_e32 v65, 16, v14
	v_lshrrev_b32_e32 v66, 16, v13
	;; [unrolled: 1-line block ×4, first 2 shown]
	v_cndmask_b32_e64 v14, 0, v14, s0
	v_cmp_lt_i32_e64 s0, v50, v35
	s_delay_alu instid0(VALU_DEP_1) | instskip(SKIP_1) | instid1(VALU_DEP_2)
	v_cndmask_b32_e64 v65, 0, v65, s0
	v_cmp_lt_i32_e64 s0, v49, v35
	v_perm_b32 v14, v65, v14, 0x5040100
	s_delay_alu instid0(VALU_DEP_2) | instskip(SKIP_1) | instid1(VALU_DEP_1)
	v_cndmask_b32_e64 v66, 0, v66, s0
	v_cmp_lt_i32_e64 s0, v48, v32
	v_cndmask_b32_e64 v13, 0, v13, s0
	v_cmp_lt_i32_e64 s0, v39, v35
	s_delay_alu instid0(VALU_DEP_2) | instskip(NEXT) | instid1(VALU_DEP_2)
	v_perm_b32 v13, v66, v13, 0x5040100
	v_cndmask_b32_e64 v67, 0, v67, s0
	v_cmp_lt_i32_e64 s0, v38, v32
	s_delay_alu instid0(VALU_DEP_1) | instskip(SKIP_1) | instid1(VALU_DEP_2)
	v_cndmask_b32_e64 v0, 0, v0, s0
	v_cmp_lt_i32_e64 s0, v37, v35
	v_perm_b32 v0, v67, v0, 0x5040100
	s_delay_alu instid0(VALU_DEP_2) | instskip(SKIP_1) | instid1(VALU_DEP_1)
	v_cndmask_b32_e64 v11, 0, v11, s0
	v_cmp_lt_i32_e64 s0, v17, v32
	v_cndmask_b32_e64 v12, 0, v12, s0
	s_delay_alu instid0(VALU_DEP_1)
	v_perm_b32 v11, v11, v12, 0x5040100
.LBB309_679:                            ;   in Loop: Header=BB309_547 Depth=1
	s_or_b32 exec_lo, exec_lo, s10
	;;#ASMSTART
	v_pk_mul_f16 v12, v54, v14;

	;;#ASMEND
	;;#ASMSTART
	v_pk_mul_f16 v13, v53, v13;

	;;#ASMEND
	;; [unrolled: 4-line block ×4, first 2 shown]
	;;#ASMSTART
	v_pk_add_f16 v12, v12, v13;

	;;#ASMEND
	;;#ASMSTART
	v_pk_add_f16 v0, v12, v0;

	;;#ASMEND
	;; [unrolled: 4-line block ×3, first 2 shown]
	v_dual_mov_b32 v68, 0 :: v_dual_and_b32 v11, 0xffff, v0
	v_lshrrev_b32_e32 v0, 16, v0
	;;#ASMSTART
	v_cvt_f32_f16 v65, v11;
	;;#ASMEND
	;;#ASMSTART
	v_cvt_f32_f16 v66, v0;
	;;#ASMEND
	flat_load_b64 v[11:12], v[9:10] offset:512
	flat_load_b32 v67, v[26:27]
	s_mov_b32 s10, exec_lo
	s_waitcnt vmcnt(1) lgkmcnt(1)
	v_dual_mov_b32 v69, 0 :: v_dual_and_b32 v0, 0xff, v11
	s_delay_alu instid0(VALU_DEP_1)
	v_cmpx_ne_u16_e32 0, v0
	s_cbranch_execz .LBB309_687
; %bb.680:                              ;   in Loop: Header=BB309_547 Depth=1
	v_bfrev_b32_e32 v68, 1
	s_mov_b32 s12, exec_lo
	v_cmpx_ne_u16_e32 0x80, v0
	s_cbranch_execz .LBB309_686
; %bb.681:                              ;   in Loop: Header=BB309_547 Depth=1
	v_and_b32_e32 v13, 0x7f, v11
	v_mov_b32_e32 v68, 0x7fc02000
	s_mov_b32 s13, exec_lo
	s_delay_alu instid0(VALU_DEP_2)
	v_cmpx_ne_u32_e32 0x7f, v13
	s_cbranch_execz .LBB309_685
; %bb.682:                              ;   in Loop: Header=BB309_547 Depth=1
	v_lshrrev_b32_e32 v0, 3, v13
	v_cmp_gt_u32_e64 s0, 8, v13
	v_dual_mov_b32 v14, v12 :: v_dual_mov_b32 v13, v11
	s_delay_alu instid0(VALU_DEP_2)
	s_and_saveexec_b32 s15, s0
; %bb.683:                              ;   in Loop: Header=BB309_547 Depth=1
	v_and_b32_e32 v0, 7, v11
	s_delay_alu instid0(VALU_DEP_1) | instskip(NEXT) | instid1(VALU_DEP_1)
	v_clz_i32_u32_e32 v0, v0
	v_min_u32_e32 v0, 32, v0
	s_delay_alu instid0(VALU_DEP_1) | instskip(SKIP_1) | instid1(VALU_DEP_2)
	v_subrev_nc_u32_e32 v13, 28, v0
	v_sub_nc_u32_e32 v0, 29, v0
	v_lshlrev_b64 v[13:14], v13, v[11:12]
; %bb.684:                              ;   in Loop: Header=BB309_547 Depth=1
	s_or_b32 exec_lo, exec_lo, s15
	v_lshlrev_b32_e32 v14, 8, v11
	s_delay_alu instid0(VALU_DEP_3) | instskip(NEXT) | instid1(VALU_DEP_3)
	v_lshl_add_u32 v0, v0, 10, 0x2000
	v_lshlrev_b32_e32 v13, 7, v13
	s_delay_alu instid0(VALU_DEP_2) | instskip(NEXT) | instid1(VALU_DEP_1)
	v_and_or_b32 v0, 0x8000, v14, v0
	v_and_or_b32 v0, 0x380, v13, v0
	s_delay_alu instid0(VALU_DEP_1)
	v_cvt_f32_f16_e32 v68, v0
.LBB309_685:                            ;   in Loop: Header=BB309_547 Depth=1
	s_or_b32 exec_lo, exec_lo, s13
.LBB309_686:                            ;   in Loop: Header=BB309_547 Depth=1
	s_delay_alu instid0(SALU_CYCLE_1)
	s_or_b32 exec_lo, exec_lo, s12
.LBB309_687:                            ;   in Loop: Header=BB309_547 Depth=1
	s_delay_alu instid0(SALU_CYCLE_1) | instskip(SKIP_2) | instid1(VALU_DEP_1)
	s_or_b32 exec_lo, exec_lo, s10
	v_lshrrev_b16 v0, 8, v11
	s_mov_b32 s10, exec_lo
	v_cmpx_ne_u16_e32 0, v0
	s_cbranch_execz .LBB309_695
; %bb.688:                              ;   in Loop: Header=BB309_547 Depth=1
	v_bfrev_b32_e32 v69, 1
	s_mov_b32 s12, exec_lo
	v_cmpx_ne_u16_e32 0x80, v0
	s_cbranch_execz .LBB309_694
; %bb.689:                              ;   in Loop: Header=BB309_547 Depth=1
	v_and_b32_e32 v13, 0xffff, v0
	v_mov_b32_e32 v69, 0x7fc02000
	s_mov_b32 s13, exec_lo
	s_delay_alu instid0(VALU_DEP_2) | instskip(NEXT) | instid1(VALU_DEP_1)
	v_and_b32_e32 v70, 0x7f, v13
	v_cmpx_ne_u32_e32 0x7f, v70
	s_cbranch_execz .LBB309_693
; %bb.690:                              ;   in Loop: Header=BB309_547 Depth=1
	v_and_b32_e32 v0, 7, v13
	v_lshrrev_b32_e32 v14, 3, v70
	s_mov_b32 s15, exec_lo
	v_cmpx_gt_u32_e32 8, v70
; %bb.691:                              ;   in Loop: Header=BB309_547 Depth=1
	s_delay_alu instid0(VALU_DEP_3) | instskip(NEXT) | instid1(VALU_DEP_1)
	v_clz_i32_u32_e32 v14, v0
	v_min_u32_e32 v14, 32, v14
	s_delay_alu instid0(VALU_DEP_1) | instskip(SKIP_1) | instid1(VALU_DEP_2)
	v_subrev_nc_u32_e32 v69, 28, v14
	v_sub_nc_u32_e32 v14, 29, v14
	v_lshlrev_b64 v[69:70], v69, v[0:1]
	s_delay_alu instid0(VALU_DEP_1)
	v_and_b32_e32 v0, 7, v69
; %bb.692:                              ;   in Loop: Header=BB309_547 Depth=1
	s_or_b32 exec_lo, exec_lo, s15
	v_lshlrev_b32_e32 v13, 8, v13
	v_lshl_add_u32 v14, v14, 10, 0x2000
	s_delay_alu instid0(VALU_DEP_1) | instskip(NEXT) | instid1(VALU_DEP_1)
	v_and_or_b32 v13, 0x8000, v13, v14
	v_lshl_or_b32 v0, v0, 7, v13
	s_delay_alu instid0(VALU_DEP_1)
	v_cvt_f32_f16_e32 v69, v0
.LBB309_693:                            ;   in Loop: Header=BB309_547 Depth=1
	s_or_b32 exec_lo, exec_lo, s13
.LBB309_694:                            ;   in Loop: Header=BB309_547 Depth=1
	s_delay_alu instid0(SALU_CYCLE_1)
	s_or_b32 exec_lo, exec_lo, s12
.LBB309_695:                            ;   in Loop: Header=BB309_547 Depth=1
	s_delay_alu instid0(SALU_CYCLE_1) | instskip(SKIP_3) | instid1(VALU_DEP_2)
	s_or_b32 exec_lo, exec_lo, s10
	v_lshrrev_b32_e32 v13, 16, v11
	v_mov_b32_e32 v70, 0
	s_mov_b32 s10, exec_lo
	v_dual_mov_b32 v71, 0 :: v_dual_and_b32 v0, 0xff, v13
	s_delay_alu instid0(VALU_DEP_1)
	v_cmpx_ne_u16_e32 0, v0
	s_cbranch_execz .LBB309_703
; %bb.696:                              ;   in Loop: Header=BB309_547 Depth=1
	v_bfrev_b32_e32 v70, 1
	s_mov_b32 s12, exec_lo
	v_cmpx_ne_u16_e32 0x80, v0
	s_cbranch_execz .LBB309_702
; %bb.697:                              ;   in Loop: Header=BB309_547 Depth=1
	v_bfe_u32 v80, v11, 16, 7
	v_mov_b32_e32 v70, 0x7fc02000
	s_mov_b32 s13, exec_lo
	s_delay_alu instid0(VALU_DEP_2)
	v_cmpx_ne_u32_e32 0x7f, v80
	s_cbranch_execz .LBB309_701
; %bb.698:                              ;   in Loop: Header=BB309_547 Depth=1
	v_and_b32_e32 v0, 7, v13
	v_lshrrev_b32_e32 v14, 3, v80
	s_mov_b32 s15, exec_lo
	v_cmpx_gt_u32_e32 8, v80
; %bb.699:                              ;   in Loop: Header=BB309_547 Depth=1
	s_delay_alu instid0(VALU_DEP_3) | instskip(NEXT) | instid1(VALU_DEP_1)
	v_clz_i32_u32_e32 v14, v0
	v_min_u32_e32 v14, 32, v14
	s_delay_alu instid0(VALU_DEP_1) | instskip(SKIP_1) | instid1(VALU_DEP_2)
	v_subrev_nc_u32_e32 v70, 28, v14
	v_sub_nc_u32_e32 v14, 29, v14
	v_lshlrev_b64 v[80:81], v70, v[0:1]
	s_delay_alu instid0(VALU_DEP_1)
	v_and_b32_e32 v0, 7, v80
; %bb.700:                              ;   in Loop: Header=BB309_547 Depth=1
	s_or_b32 exec_lo, exec_lo, s15
	v_lshlrev_b32_e32 v13, 8, v13
	v_lshl_add_u32 v14, v14, 10, 0x2000
	s_delay_alu instid0(VALU_DEP_1) | instskip(NEXT) | instid1(VALU_DEP_1)
	v_and_or_b32 v13, 0x8000, v13, v14
	v_lshl_or_b32 v0, v0, 7, v13
	s_delay_alu instid0(VALU_DEP_1)
	v_cvt_f32_f16_e32 v70, v0
.LBB309_701:                            ;   in Loop: Header=BB309_547 Depth=1
	s_or_b32 exec_lo, exec_lo, s13
.LBB309_702:                            ;   in Loop: Header=BB309_547 Depth=1
	s_delay_alu instid0(SALU_CYCLE_1)
	s_or_b32 exec_lo, exec_lo, s12
.LBB309_703:                            ;   in Loop: Header=BB309_547 Depth=1
	s_delay_alu instid0(SALU_CYCLE_1) | instskip(NEXT) | instid1(SALU_CYCLE_1)
	s_or_b32 exec_lo, exec_lo, s10
	s_mov_b32 s10, exec_lo
	v_cmpx_lt_u32_e32 0xffffff, v11
	s_cbranch_execz .LBB309_711
; %bb.704:                              ;   in Loop: Header=BB309_547 Depth=1
	v_lshrrev_b32_e32 v13, 24, v11
	v_bfrev_b32_e32 v71, 1
	s_mov_b32 s12, exec_lo
	s_delay_alu instid0(VALU_DEP_2)
	v_cmpx_ne_u32_e32 0x80, v13
	s_cbranch_execz .LBB309_710
; %bb.705:                              ;   in Loop: Header=BB309_547 Depth=1
	v_and_b32_e32 v80, 0x7f, v13
	v_mov_b32_e32 v71, 0x7fc02000
	s_mov_b32 s13, exec_lo
	s_delay_alu instid0(VALU_DEP_2)
	v_cmpx_ne_u32_e32 0x7f, v80
	s_cbranch_execz .LBB309_709
; %bb.706:                              ;   in Loop: Header=BB309_547 Depth=1
	v_and_b32_e32 v0, 7, v13
	v_lshrrev_b32_e32 v14, 3, v80
	s_mov_b32 s15, exec_lo
	v_cmpx_gt_u32_e32 8, v80
; %bb.707:                              ;   in Loop: Header=BB309_547 Depth=1
	s_delay_alu instid0(VALU_DEP_3) | instskip(NEXT) | instid1(VALU_DEP_1)
	v_clz_i32_u32_e32 v14, v0
	v_min_u32_e32 v14, 32, v14
	s_delay_alu instid0(VALU_DEP_1) | instskip(SKIP_1) | instid1(VALU_DEP_2)
	v_subrev_nc_u32_e32 v71, 28, v14
	v_sub_nc_u32_e32 v14, 29, v14
	v_lshlrev_b64 v[80:81], v71, v[0:1]
	s_delay_alu instid0(VALU_DEP_1)
	v_and_b32_e32 v0, 7, v80
; %bb.708:                              ;   in Loop: Header=BB309_547 Depth=1
	s_or_b32 exec_lo, exec_lo, s15
	v_lshlrev_b32_e32 v13, 8, v13
	v_lshl_add_u32 v14, v14, 10, 0x2000
	s_delay_alu instid0(VALU_DEP_1) | instskip(NEXT) | instid1(VALU_DEP_1)
	v_and_or_b32 v13, 0x8000, v13, v14
	v_lshl_or_b32 v0, v0, 7, v13
	s_delay_alu instid0(VALU_DEP_1)
	v_cvt_f32_f16_e32 v71, v0
.LBB309_709:                            ;   in Loop: Header=BB309_547 Depth=1
	s_or_b32 exec_lo, exec_lo, s13
.LBB309_710:                            ;   in Loop: Header=BB309_547 Depth=1
	s_delay_alu instid0(SALU_CYCLE_1)
	s_or_b32 exec_lo, exec_lo, s12
.LBB309_711:                            ;   in Loop: Header=BB309_547 Depth=1
	s_delay_alu instid0(SALU_CYCLE_1) | instskip(SKIP_4) | instid1(VALU_DEP_3)
	s_or_b32 exec_lo, exec_lo, s10
	v_dual_mov_b32 v13, 0 :: v_dual_and_b32 v14, 0xff, v12
	v_mov_b32_e32 v0, v12
	v_mov_b32_e32 v80, 0
	s_mov_b32 s10, exec_lo
	v_cmpx_ne_u16_e32 0, v14
	s_cbranch_execz .LBB309_719
; %bb.712:                              ;   in Loop: Header=BB309_547 Depth=1
	v_bfrev_b32_e32 v13, 1
	s_mov_b32 s12, exec_lo
	v_cmpx_ne_u16_e32 0x80, v14
	s_cbranch_execz .LBB309_718
; %bb.713:                              ;   in Loop: Header=BB309_547 Depth=1
	v_and_b32_e32 v14, 0x7f, v12
	v_mov_b32_e32 v13, 0x7fc02000
	s_mov_b32 s13, exec_lo
	s_delay_alu instid0(VALU_DEP_2)
	v_cmpx_ne_u32_e32 0x7f, v14
	s_cbranch_execz .LBB309_717
; %bb.714:                              ;   in Loop: Header=BB309_547 Depth=1
	v_lshrrev_b32_e32 v81, 3, v14
	v_cmp_gt_u32_e64 s0, 8, v14
	v_dual_mov_b32 v14, v1 :: v_dual_mov_b32 v13, v0
	s_delay_alu instid0(VALU_DEP_2)
	s_and_saveexec_b32 s15, s0
; %bb.715:                              ;   in Loop: Header=BB309_547 Depth=1
	v_and_b32_e32 v13, 7, v12
	s_delay_alu instid0(VALU_DEP_1) | instskip(NEXT) | instid1(VALU_DEP_1)
	v_clz_i32_u32_e32 v13, v13
	v_min_u32_e32 v81, 32, v13
	s_delay_alu instid0(VALU_DEP_1) | instskip(SKIP_1) | instid1(VALU_DEP_2)
	v_subrev_nc_u32_e32 v13, 28, v81
	v_sub_nc_u32_e32 v81, 29, v81
	v_lshlrev_b64 v[13:14], v13, v[0:1]
; %bb.716:                              ;   in Loop: Header=BB309_547 Depth=1
	s_or_b32 exec_lo, exec_lo, s15
	v_lshlrev_b32_e32 v14, 8, v12
	s_delay_alu instid0(VALU_DEP_3) | instskip(NEXT) | instid1(VALU_DEP_3)
	v_lshl_add_u32 v81, v81, 10, 0x2000
	v_lshlrev_b32_e32 v13, 7, v13
	s_delay_alu instid0(VALU_DEP_2) | instskip(NEXT) | instid1(VALU_DEP_1)
	v_and_or_b32 v14, 0x8000, v14, v81
	v_and_or_b32 v13, 0x380, v13, v14
	s_delay_alu instid0(VALU_DEP_1)
	v_cvt_f32_f16_e32 v13, v13
.LBB309_717:                            ;   in Loop: Header=BB309_547 Depth=1
	s_or_b32 exec_lo, exec_lo, s13
.LBB309_718:                            ;   in Loop: Header=BB309_547 Depth=1
	s_delay_alu instid0(SALU_CYCLE_1)
	s_or_b32 exec_lo, exec_lo, s12
.LBB309_719:                            ;   in Loop: Header=BB309_547 Depth=1
	s_delay_alu instid0(SALU_CYCLE_1) | instskip(SKIP_2) | instid1(VALU_DEP_1)
	s_or_b32 exec_lo, exec_lo, s10
	v_lshrrev_b16 v0, 8, v0
	s_mov_b32 s10, exec_lo
	v_cmpx_ne_u16_e32 0, v0
	s_cbranch_execz .LBB309_727
; %bb.720:                              ;   in Loop: Header=BB309_547 Depth=1
	v_bfrev_b32_e32 v80, 1
	s_mov_b32 s12, exec_lo
	v_cmpx_ne_u16_e32 0x80, v0
	s_cbranch_execz .LBB309_726
; %bb.721:                              ;   in Loop: Header=BB309_547 Depth=1
	v_and_b32_e32 v14, 0xffff, v0
	v_mov_b32_e32 v80, 0x7fc02000
	s_mov_b32 s13, exec_lo
	s_delay_alu instid0(VALU_DEP_2) | instskip(NEXT) | instid1(VALU_DEP_1)
	v_and_b32_e32 v81, 0x7f, v14
	v_cmpx_ne_u32_e32 0x7f, v81
	s_cbranch_execz .LBB309_725
; %bb.722:                              ;   in Loop: Header=BB309_547 Depth=1
	v_and_b32_e32 v0, 7, v14
	v_lshrrev_b32_e32 v80, 3, v81
	s_mov_b32 s15, exec_lo
	v_cmpx_gt_u32_e32 8, v81
; %bb.723:                              ;   in Loop: Header=BB309_547 Depth=1
	s_delay_alu instid0(VALU_DEP_3) | instskip(NEXT) | instid1(VALU_DEP_1)
	v_clz_i32_u32_e32 v80, v0
	v_min_u32_e32 v80, 32, v80
	s_delay_alu instid0(VALU_DEP_1) | instskip(SKIP_1) | instid1(VALU_DEP_2)
	v_subrev_nc_u32_e32 v81, 28, v80
	v_sub_nc_u32_e32 v80, 29, v80
	v_lshlrev_b64 v[81:82], v81, v[0:1]
	s_delay_alu instid0(VALU_DEP_1)
	v_and_b32_e32 v0, 7, v81
; %bb.724:                              ;   in Loop: Header=BB309_547 Depth=1
	s_or_b32 exec_lo, exec_lo, s15
	v_lshlrev_b32_e32 v14, 8, v14
	v_lshl_add_u32 v80, v80, 10, 0x2000
	s_delay_alu instid0(VALU_DEP_1) | instskip(NEXT) | instid1(VALU_DEP_1)
	v_and_or_b32 v14, 0x8000, v14, v80
	v_lshl_or_b32 v0, v0, 7, v14
	s_delay_alu instid0(VALU_DEP_1)
	v_cvt_f32_f16_e32 v80, v0
.LBB309_725:                            ;   in Loop: Header=BB309_547 Depth=1
	s_or_b32 exec_lo, exec_lo, s13
.LBB309_726:                            ;   in Loop: Header=BB309_547 Depth=1
	s_delay_alu instid0(SALU_CYCLE_1)
	s_or_b32 exec_lo, exec_lo, s12
.LBB309_727:                            ;   in Loop: Header=BB309_547 Depth=1
	s_delay_alu instid0(SALU_CYCLE_1) | instskip(SKIP_3) | instid1(VALU_DEP_2)
	s_or_b32 exec_lo, exec_lo, s10
	v_lshrrev_b32_e32 v82, 16, v12
	v_mov_b32_e32 v14, 0
	s_mov_b32 s10, exec_lo
	v_dual_mov_b32 v81, 0 :: v_dual_and_b32 v0, 0xff, v82
	s_delay_alu instid0(VALU_DEP_1)
	v_cmpx_ne_u16_e32 0, v0
	s_cbranch_execz .LBB309_735
; %bb.728:                              ;   in Loop: Header=BB309_547 Depth=1
	v_bfrev_b32_e32 v14, 1
	s_mov_b32 s12, exec_lo
	v_cmpx_ne_u16_e32 0x80, v0
	s_cbranch_execz .LBB309_734
; %bb.729:                              ;   in Loop: Header=BB309_547 Depth=1
	v_bfe_u32 v83, v12, 16, 7
	v_mov_b32_e32 v14, 0x7fc02000
	s_mov_b32 s13, exec_lo
	s_delay_alu instid0(VALU_DEP_2)
	v_cmpx_ne_u32_e32 0x7f, v83
	s_cbranch_execz .LBB309_733
; %bb.730:                              ;   in Loop: Header=BB309_547 Depth=1
	v_and_b32_e32 v0, 7, v82
	v_lshrrev_b32_e32 v14, 3, v83
	s_mov_b32 s15, exec_lo
	v_cmpx_gt_u32_e32 8, v83
; %bb.731:                              ;   in Loop: Header=BB309_547 Depth=1
	s_delay_alu instid0(VALU_DEP_3) | instskip(NEXT) | instid1(VALU_DEP_1)
	v_clz_i32_u32_e32 v14, v0
	v_min_u32_e32 v14, 32, v14
	s_delay_alu instid0(VALU_DEP_1) | instskip(SKIP_1) | instid1(VALU_DEP_2)
	v_subrev_nc_u32_e32 v83, 28, v14
	v_sub_nc_u32_e32 v14, 29, v14
	v_lshlrev_b64 v[83:84], v83, v[0:1]
	s_delay_alu instid0(VALU_DEP_1)
	v_and_b32_e32 v0, 7, v83
; %bb.732:                              ;   in Loop: Header=BB309_547 Depth=1
	s_or_b32 exec_lo, exec_lo, s15
	v_lshlrev_b32_e32 v82, 8, v82
	v_lshl_add_u32 v14, v14, 10, 0x2000
	s_delay_alu instid0(VALU_DEP_1) | instskip(NEXT) | instid1(VALU_DEP_1)
	v_and_or_b32 v14, 0x8000, v82, v14
	v_lshl_or_b32 v0, v0, 7, v14
	s_delay_alu instid0(VALU_DEP_1)
	v_cvt_f32_f16_e32 v14, v0
.LBB309_733:                            ;   in Loop: Header=BB309_547 Depth=1
	s_or_b32 exec_lo, exec_lo, s13
.LBB309_734:                            ;   in Loop: Header=BB309_547 Depth=1
	s_delay_alu instid0(SALU_CYCLE_1)
	s_or_b32 exec_lo, exec_lo, s12
.LBB309_735:                            ;   in Loop: Header=BB309_547 Depth=1
	s_delay_alu instid0(SALU_CYCLE_1) | instskip(NEXT) | instid1(SALU_CYCLE_1)
	s_or_b32 exec_lo, exec_lo, s10
	s_mov_b32 s10, exec_lo
	v_cmpx_lt_u64_e64 s[8:9], v[11:12]
	s_cbranch_execz .LBB309_743
; %bb.736:                              ;   in Loop: Header=BB309_547 Depth=1
	v_lshrrev_b32_e32 v11, 24, v12
	v_bfrev_b32_e32 v81, 1
	s_mov_b32 s12, exec_lo
	s_delay_alu instid0(VALU_DEP_2)
	v_cmpx_ne_u32_e32 0x80, v11
	s_cbranch_execz .LBB309_742
; %bb.737:                              ;   in Loop: Header=BB309_547 Depth=1
	v_and_b32_e32 v82, 0x7f, v11
	v_mov_b32_e32 v81, 0x7fc02000
	s_mov_b32 s13, exec_lo
	s_delay_alu instid0(VALU_DEP_2)
	v_cmpx_ne_u32_e32 0x7f, v82
	s_cbranch_execz .LBB309_741
; %bb.738:                              ;   in Loop: Header=BB309_547 Depth=1
	v_and_b32_e32 v0, 7, v11
	v_lshrrev_b32_e32 v12, 3, v82
	s_mov_b32 s15, exec_lo
	v_cmpx_gt_u32_e32 8, v82
; %bb.739:                              ;   in Loop: Header=BB309_547 Depth=1
	s_delay_alu instid0(VALU_DEP_3) | instskip(NEXT) | instid1(VALU_DEP_1)
	v_clz_i32_u32_e32 v12, v0
	v_min_u32_e32 v12, 32, v12
	s_delay_alu instid0(VALU_DEP_1) | instskip(SKIP_1) | instid1(VALU_DEP_2)
	v_subrev_nc_u32_e32 v81, 28, v12
	v_sub_nc_u32_e32 v12, 29, v12
	v_lshlrev_b64 v[81:82], v81, v[0:1]
	s_delay_alu instid0(VALU_DEP_1)
	v_and_b32_e32 v0, 7, v81
; %bb.740:                              ;   in Loop: Header=BB309_547 Depth=1
	s_or_b32 exec_lo, exec_lo, s15
	v_lshlrev_b32_e32 v11, 8, v11
	v_lshl_add_u32 v12, v12, 10, 0x2000
	s_delay_alu instid0(VALU_DEP_1) | instskip(NEXT) | instid1(VALU_DEP_1)
	v_and_or_b32 v11, 0x8000, v11, v12
	v_lshl_or_b32 v0, v0, 7, v11
	s_delay_alu instid0(VALU_DEP_1)
	v_cvt_f32_f16_e32 v81, v0
.LBB309_741:                            ;   in Loop: Header=BB309_547 Depth=1
	s_or_b32 exec_lo, exec_lo, s13
.LBB309_742:                            ;   in Loop: Header=BB309_547 Depth=1
	s_delay_alu instid0(SALU_CYCLE_1)
	s_or_b32 exec_lo, exec_lo, s12
.LBB309_743:                            ;   in Loop: Header=BB309_547 Depth=1
	s_delay_alu instid0(SALU_CYCLE_1)
	s_or_b32 exec_lo, exec_lo, s10
	s_waitcnt vmcnt(0) lgkmcnt(0)
	v_fma_mixlo_f16 v12, v67, v69, 0
	v_fma_mixlo_f16 v0, v67, v71, 0
	;; [unrolled: 1-line block ×5, first 2 shown]
	v_lshlrev_b32_e32 v69, 16, v12
	v_fma_mixlo_f16 v13, v67, v13, 0
	v_fma_mixlo_f16 v71, v67, v81, 0
	v_fma_mixlo_f16 v12, v67, v14, 0
	v_lshlrev_b32_e32 v0, 16, v0
	v_and_b32_e32 v11, 0xffff, v11
	v_and_b32_e32 v14, 0xffff, v68
	v_lshlrev_b32_e32 v67, 16, v70
	v_and_b32_e32 v68, 0xffff, v13
	v_lshlrev_b32_e32 v70, 16, v71
	v_and_b32_e32 v71, 0xffff, v12
	v_or_b32_e32 v13, v0, v11
	v_or_b32_e32 v14, v69, v14
	;; [unrolled: 1-line block ×3, first 2 shown]
	s_delay_alu instid0(VALU_DEP_4)
	v_or_b32_e32 v11, v70, v71
	s_and_saveexec_b32 s10, vcc_lo
	s_cbranch_execz .LBB309_745
; %bb.744:                              ;   in Loop: Header=BB309_547 Depth=1
	v_cmp_lt_i32_e64 s0, v15, v32
	v_lshrrev_b32_e32 v67, 16, v14
	v_lshrrev_b32_e32 v68, 16, v13
	;; [unrolled: 1-line block ×4, first 2 shown]
	v_cndmask_b32_e64 v14, 0, v14, s0
	v_cmp_lt_i32_e64 s0, v50, v35
	s_delay_alu instid0(VALU_DEP_1) | instskip(SKIP_1) | instid1(VALU_DEP_2)
	v_cndmask_b32_e64 v67, 0, v67, s0
	v_cmp_lt_i32_e64 s0, v49, v35
	v_perm_b32 v14, v67, v14, 0x5040100
	s_delay_alu instid0(VALU_DEP_2) | instskip(SKIP_1) | instid1(VALU_DEP_1)
	v_cndmask_b32_e64 v68, 0, v68, s0
	v_cmp_lt_i32_e64 s0, v48, v32
	v_cndmask_b32_e64 v13, 0, v13, s0
	v_cmp_lt_i32_e64 s0, v39, v35
	s_delay_alu instid0(VALU_DEP_2) | instskip(NEXT) | instid1(VALU_DEP_2)
	v_perm_b32 v13, v68, v13, 0x5040100
	v_cndmask_b32_e64 v69, 0, v69, s0
	v_cmp_lt_i32_e64 s0, v38, v32
	s_delay_alu instid0(VALU_DEP_1) | instskip(SKIP_1) | instid1(VALU_DEP_2)
	v_cndmask_b32_e64 v0, 0, v0, s0
	v_cmp_lt_i32_e64 s0, v37, v35
	v_perm_b32 v0, v69, v0, 0x5040100
	s_delay_alu instid0(VALU_DEP_2) | instskip(SKIP_1) | instid1(VALU_DEP_1)
	v_cndmask_b32_e64 v11, 0, v11, s0
	v_cmp_lt_i32_e64 s0, v17, v32
	v_cndmask_b32_e64 v12, 0, v12, s0
	s_delay_alu instid0(VALU_DEP_1)
	v_perm_b32 v11, v11, v12, 0x5040100
.LBB309_745:                            ;   in Loop: Header=BB309_547 Depth=1
	s_or_b32 exec_lo, exec_lo, s10
	;;#ASMSTART
	v_pk_mul_f16 v12, v54, v14;

	;;#ASMEND
	;;#ASMSTART
	v_pk_mul_f16 v13, v53, v13;

	;;#ASMEND
	;; [unrolled: 4-line block ×4, first 2 shown]
	;;#ASMSTART
	v_pk_add_f16 v12, v12, v13;

	;;#ASMEND
	;;#ASMSTART
	v_pk_add_f16 v0, v12, v0;

	;;#ASMEND
	;; [unrolled: 4-line block ×3, first 2 shown]
	v_dual_mov_b32 v70, 0 :: v_dual_and_b32 v11, 0xffff, v0
	v_lshrrev_b32_e32 v0, 16, v0
	;;#ASMSTART
	v_cvt_f32_f16 v67, v11;
	;;#ASMEND
	;;#ASMSTART
	v_cvt_f32_f16 v68, v0;
	;;#ASMEND
	flat_load_b64 v[11:12], v[9:10] offset:768
	flat_load_b32 v69, v[26:27]
	s_mov_b32 s10, exec_lo
	s_waitcnt vmcnt(1) lgkmcnt(1)
	v_dual_mov_b32 v71, 0 :: v_dual_and_b32 v0, 0xff, v11
	s_delay_alu instid0(VALU_DEP_1)
	v_cmpx_ne_u16_e32 0, v0
	s_cbranch_execz .LBB309_753
; %bb.746:                              ;   in Loop: Header=BB309_547 Depth=1
	v_bfrev_b32_e32 v70, 1
	s_mov_b32 s12, exec_lo
	v_cmpx_ne_u16_e32 0x80, v0
	s_cbranch_execz .LBB309_752
; %bb.747:                              ;   in Loop: Header=BB309_547 Depth=1
	v_and_b32_e32 v13, 0x7f, v11
	v_mov_b32_e32 v70, 0x7fc02000
	s_mov_b32 s13, exec_lo
	s_delay_alu instid0(VALU_DEP_2)
	v_cmpx_ne_u32_e32 0x7f, v13
	s_cbranch_execz .LBB309_751
; %bb.748:                              ;   in Loop: Header=BB309_547 Depth=1
	v_lshrrev_b32_e32 v0, 3, v13
	v_cmp_gt_u32_e64 s0, 8, v13
	v_dual_mov_b32 v14, v12 :: v_dual_mov_b32 v13, v11
	s_delay_alu instid0(VALU_DEP_2)
	s_and_saveexec_b32 s15, s0
; %bb.749:                              ;   in Loop: Header=BB309_547 Depth=1
	v_and_b32_e32 v0, 7, v11
	s_delay_alu instid0(VALU_DEP_1) | instskip(NEXT) | instid1(VALU_DEP_1)
	v_clz_i32_u32_e32 v0, v0
	v_min_u32_e32 v0, 32, v0
	s_delay_alu instid0(VALU_DEP_1) | instskip(SKIP_1) | instid1(VALU_DEP_2)
	v_subrev_nc_u32_e32 v13, 28, v0
	v_sub_nc_u32_e32 v0, 29, v0
	v_lshlrev_b64 v[13:14], v13, v[11:12]
; %bb.750:                              ;   in Loop: Header=BB309_547 Depth=1
	s_or_b32 exec_lo, exec_lo, s15
	v_lshlrev_b32_e32 v14, 8, v11
	s_delay_alu instid0(VALU_DEP_3) | instskip(NEXT) | instid1(VALU_DEP_3)
	v_lshl_add_u32 v0, v0, 10, 0x2000
	v_lshlrev_b32_e32 v13, 7, v13
	s_delay_alu instid0(VALU_DEP_2) | instskip(NEXT) | instid1(VALU_DEP_1)
	v_and_or_b32 v0, 0x8000, v14, v0
	v_and_or_b32 v0, 0x380, v13, v0
	s_delay_alu instid0(VALU_DEP_1)
	v_cvt_f32_f16_e32 v70, v0
.LBB309_751:                            ;   in Loop: Header=BB309_547 Depth=1
	s_or_b32 exec_lo, exec_lo, s13
.LBB309_752:                            ;   in Loop: Header=BB309_547 Depth=1
	s_delay_alu instid0(SALU_CYCLE_1)
	s_or_b32 exec_lo, exec_lo, s12
.LBB309_753:                            ;   in Loop: Header=BB309_547 Depth=1
	s_delay_alu instid0(SALU_CYCLE_1) | instskip(SKIP_2) | instid1(VALU_DEP_1)
	s_or_b32 exec_lo, exec_lo, s10
	v_lshrrev_b16 v0, 8, v11
	s_mov_b32 s10, exec_lo
	v_cmpx_ne_u16_e32 0, v0
	s_cbranch_execz .LBB309_761
; %bb.754:                              ;   in Loop: Header=BB309_547 Depth=1
	v_bfrev_b32_e32 v71, 1
	s_mov_b32 s12, exec_lo
	v_cmpx_ne_u16_e32 0x80, v0
	s_cbranch_execz .LBB309_760
; %bb.755:                              ;   in Loop: Header=BB309_547 Depth=1
	v_and_b32_e32 v13, 0xffff, v0
	v_mov_b32_e32 v71, 0x7fc02000
	s_mov_b32 s13, exec_lo
	s_delay_alu instid0(VALU_DEP_2) | instskip(NEXT) | instid1(VALU_DEP_1)
	v_and_b32_e32 v80, 0x7f, v13
	v_cmpx_ne_u32_e32 0x7f, v80
	s_cbranch_execz .LBB309_759
; %bb.756:                              ;   in Loop: Header=BB309_547 Depth=1
	v_and_b32_e32 v0, 7, v13
	v_lshrrev_b32_e32 v14, 3, v80
	s_mov_b32 s15, exec_lo
	v_cmpx_gt_u32_e32 8, v80
; %bb.757:                              ;   in Loop: Header=BB309_547 Depth=1
	s_delay_alu instid0(VALU_DEP_3) | instskip(NEXT) | instid1(VALU_DEP_1)
	v_clz_i32_u32_e32 v14, v0
	v_min_u32_e32 v14, 32, v14
	s_delay_alu instid0(VALU_DEP_1) | instskip(SKIP_1) | instid1(VALU_DEP_2)
	v_subrev_nc_u32_e32 v71, 28, v14
	v_sub_nc_u32_e32 v14, 29, v14
	v_lshlrev_b64 v[80:81], v71, v[0:1]
	s_delay_alu instid0(VALU_DEP_1)
	v_and_b32_e32 v0, 7, v80
; %bb.758:                              ;   in Loop: Header=BB309_547 Depth=1
	s_or_b32 exec_lo, exec_lo, s15
	v_lshlrev_b32_e32 v13, 8, v13
	v_lshl_add_u32 v14, v14, 10, 0x2000
	s_delay_alu instid0(VALU_DEP_1) | instskip(NEXT) | instid1(VALU_DEP_1)
	v_and_or_b32 v13, 0x8000, v13, v14
	v_lshl_or_b32 v0, v0, 7, v13
	s_delay_alu instid0(VALU_DEP_1)
	v_cvt_f32_f16_e32 v71, v0
.LBB309_759:                            ;   in Loop: Header=BB309_547 Depth=1
	s_or_b32 exec_lo, exec_lo, s13
.LBB309_760:                            ;   in Loop: Header=BB309_547 Depth=1
	s_delay_alu instid0(SALU_CYCLE_1)
	s_or_b32 exec_lo, exec_lo, s12
.LBB309_761:                            ;   in Loop: Header=BB309_547 Depth=1
	s_delay_alu instid0(SALU_CYCLE_1) | instskip(SKIP_3) | instid1(VALU_DEP_2)
	s_or_b32 exec_lo, exec_lo, s10
	v_lshrrev_b32_e32 v13, 16, v11
	v_mov_b32_e32 v80, 0
	s_mov_b32 s10, exec_lo
	v_dual_mov_b32 v81, 0 :: v_dual_and_b32 v0, 0xff, v13
	s_delay_alu instid0(VALU_DEP_1)
	v_cmpx_ne_u16_e32 0, v0
	s_cbranch_execz .LBB309_769
; %bb.762:                              ;   in Loop: Header=BB309_547 Depth=1
	v_bfrev_b32_e32 v80, 1
	s_mov_b32 s12, exec_lo
	v_cmpx_ne_u16_e32 0x80, v0
	s_cbranch_execz .LBB309_768
; %bb.763:                              ;   in Loop: Header=BB309_547 Depth=1
	v_bfe_u32 v82, v11, 16, 7
	v_mov_b32_e32 v80, 0x7fc02000
	s_mov_b32 s13, exec_lo
	s_delay_alu instid0(VALU_DEP_2)
	v_cmpx_ne_u32_e32 0x7f, v82
	s_cbranch_execz .LBB309_767
; %bb.764:                              ;   in Loop: Header=BB309_547 Depth=1
	v_and_b32_e32 v0, 7, v13
	v_lshrrev_b32_e32 v14, 3, v82
	s_mov_b32 s15, exec_lo
	v_cmpx_gt_u32_e32 8, v82
; %bb.765:                              ;   in Loop: Header=BB309_547 Depth=1
	s_delay_alu instid0(VALU_DEP_3) | instskip(NEXT) | instid1(VALU_DEP_1)
	v_clz_i32_u32_e32 v14, v0
	v_min_u32_e32 v14, 32, v14
	s_delay_alu instid0(VALU_DEP_1) | instskip(SKIP_1) | instid1(VALU_DEP_2)
	v_subrev_nc_u32_e32 v80, 28, v14
	v_sub_nc_u32_e32 v14, 29, v14
	v_lshlrev_b64 v[82:83], v80, v[0:1]
	s_delay_alu instid0(VALU_DEP_1)
	v_and_b32_e32 v0, 7, v82
; %bb.766:                              ;   in Loop: Header=BB309_547 Depth=1
	s_or_b32 exec_lo, exec_lo, s15
	v_lshlrev_b32_e32 v13, 8, v13
	v_lshl_add_u32 v14, v14, 10, 0x2000
	s_delay_alu instid0(VALU_DEP_1) | instskip(NEXT) | instid1(VALU_DEP_1)
	v_and_or_b32 v13, 0x8000, v13, v14
	v_lshl_or_b32 v0, v0, 7, v13
	s_delay_alu instid0(VALU_DEP_1)
	v_cvt_f32_f16_e32 v80, v0
.LBB309_767:                            ;   in Loop: Header=BB309_547 Depth=1
	s_or_b32 exec_lo, exec_lo, s13
.LBB309_768:                            ;   in Loop: Header=BB309_547 Depth=1
	s_delay_alu instid0(SALU_CYCLE_1)
	s_or_b32 exec_lo, exec_lo, s12
.LBB309_769:                            ;   in Loop: Header=BB309_547 Depth=1
	s_delay_alu instid0(SALU_CYCLE_1) | instskip(NEXT) | instid1(SALU_CYCLE_1)
	s_or_b32 exec_lo, exec_lo, s10
	s_mov_b32 s10, exec_lo
	v_cmpx_lt_u32_e32 0xffffff, v11
	s_cbranch_execz .LBB309_777
; %bb.770:                              ;   in Loop: Header=BB309_547 Depth=1
	v_lshrrev_b32_e32 v13, 24, v11
	v_bfrev_b32_e32 v81, 1
	s_mov_b32 s12, exec_lo
	s_delay_alu instid0(VALU_DEP_2)
	v_cmpx_ne_u32_e32 0x80, v13
	s_cbranch_execz .LBB309_776
; %bb.771:                              ;   in Loop: Header=BB309_547 Depth=1
	v_and_b32_e32 v82, 0x7f, v13
	v_mov_b32_e32 v81, 0x7fc02000
	s_mov_b32 s13, exec_lo
	s_delay_alu instid0(VALU_DEP_2)
	v_cmpx_ne_u32_e32 0x7f, v82
	s_cbranch_execz .LBB309_775
; %bb.772:                              ;   in Loop: Header=BB309_547 Depth=1
	v_and_b32_e32 v0, 7, v13
	v_lshrrev_b32_e32 v14, 3, v82
	s_mov_b32 s15, exec_lo
	v_cmpx_gt_u32_e32 8, v82
; %bb.773:                              ;   in Loop: Header=BB309_547 Depth=1
	s_delay_alu instid0(VALU_DEP_3) | instskip(NEXT) | instid1(VALU_DEP_1)
	v_clz_i32_u32_e32 v14, v0
	v_min_u32_e32 v14, 32, v14
	s_delay_alu instid0(VALU_DEP_1) | instskip(SKIP_1) | instid1(VALU_DEP_2)
	v_subrev_nc_u32_e32 v81, 28, v14
	v_sub_nc_u32_e32 v14, 29, v14
	v_lshlrev_b64 v[81:82], v81, v[0:1]
	s_delay_alu instid0(VALU_DEP_1)
	v_and_b32_e32 v0, 7, v81
; %bb.774:                              ;   in Loop: Header=BB309_547 Depth=1
	s_or_b32 exec_lo, exec_lo, s15
	v_lshlrev_b32_e32 v13, 8, v13
	v_lshl_add_u32 v14, v14, 10, 0x2000
	s_delay_alu instid0(VALU_DEP_1) | instskip(NEXT) | instid1(VALU_DEP_1)
	v_and_or_b32 v13, 0x8000, v13, v14
	v_lshl_or_b32 v0, v0, 7, v13
	s_delay_alu instid0(VALU_DEP_1)
	v_cvt_f32_f16_e32 v81, v0
.LBB309_775:                            ;   in Loop: Header=BB309_547 Depth=1
	s_or_b32 exec_lo, exec_lo, s13
.LBB309_776:                            ;   in Loop: Header=BB309_547 Depth=1
	s_delay_alu instid0(SALU_CYCLE_1)
	s_or_b32 exec_lo, exec_lo, s12
.LBB309_777:                            ;   in Loop: Header=BB309_547 Depth=1
	s_delay_alu instid0(SALU_CYCLE_1) | instskip(SKIP_4) | instid1(VALU_DEP_3)
	s_or_b32 exec_lo, exec_lo, s10
	v_dual_mov_b32 v13, 0 :: v_dual_and_b32 v14, 0xff, v12
	v_mov_b32_e32 v0, v12
	v_mov_b32_e32 v82, 0
	s_mov_b32 s10, exec_lo
	v_cmpx_ne_u16_e32 0, v14
	s_cbranch_execz .LBB309_785
; %bb.778:                              ;   in Loop: Header=BB309_547 Depth=1
	v_bfrev_b32_e32 v13, 1
	s_mov_b32 s12, exec_lo
	v_cmpx_ne_u16_e32 0x80, v14
	s_cbranch_execz .LBB309_784
; %bb.779:                              ;   in Loop: Header=BB309_547 Depth=1
	v_and_b32_e32 v14, 0x7f, v12
	v_mov_b32_e32 v13, 0x7fc02000
	s_mov_b32 s13, exec_lo
	s_delay_alu instid0(VALU_DEP_2)
	v_cmpx_ne_u32_e32 0x7f, v14
	s_cbranch_execz .LBB309_783
; %bb.780:                              ;   in Loop: Header=BB309_547 Depth=1
	v_lshrrev_b32_e32 v83, 3, v14
	v_cmp_gt_u32_e64 s0, 8, v14
	v_dual_mov_b32 v14, v1 :: v_dual_mov_b32 v13, v0
	s_delay_alu instid0(VALU_DEP_2)
	s_and_saveexec_b32 s15, s0
; %bb.781:                              ;   in Loop: Header=BB309_547 Depth=1
	v_and_b32_e32 v13, 7, v12
	s_delay_alu instid0(VALU_DEP_1) | instskip(NEXT) | instid1(VALU_DEP_1)
	v_clz_i32_u32_e32 v13, v13
	v_min_u32_e32 v83, 32, v13
	s_delay_alu instid0(VALU_DEP_1) | instskip(SKIP_1) | instid1(VALU_DEP_2)
	v_subrev_nc_u32_e32 v13, 28, v83
	v_sub_nc_u32_e32 v83, 29, v83
	v_lshlrev_b64 v[13:14], v13, v[0:1]
; %bb.782:                              ;   in Loop: Header=BB309_547 Depth=1
	s_or_b32 exec_lo, exec_lo, s15
	v_lshlrev_b32_e32 v14, 8, v12
	s_delay_alu instid0(VALU_DEP_3) | instskip(NEXT) | instid1(VALU_DEP_3)
	v_lshl_add_u32 v83, v83, 10, 0x2000
	v_lshlrev_b32_e32 v13, 7, v13
	s_delay_alu instid0(VALU_DEP_2) | instskip(NEXT) | instid1(VALU_DEP_1)
	v_and_or_b32 v14, 0x8000, v14, v83
	v_and_or_b32 v13, 0x380, v13, v14
	s_delay_alu instid0(VALU_DEP_1)
	v_cvt_f32_f16_e32 v13, v13
.LBB309_783:                            ;   in Loop: Header=BB309_547 Depth=1
	s_or_b32 exec_lo, exec_lo, s13
.LBB309_784:                            ;   in Loop: Header=BB309_547 Depth=1
	s_delay_alu instid0(SALU_CYCLE_1)
	s_or_b32 exec_lo, exec_lo, s12
.LBB309_785:                            ;   in Loop: Header=BB309_547 Depth=1
	s_delay_alu instid0(SALU_CYCLE_1) | instskip(SKIP_2) | instid1(VALU_DEP_1)
	s_or_b32 exec_lo, exec_lo, s10
	v_lshrrev_b16 v0, 8, v0
	s_mov_b32 s10, exec_lo
	v_cmpx_ne_u16_e32 0, v0
	s_cbranch_execz .LBB309_793
; %bb.786:                              ;   in Loop: Header=BB309_547 Depth=1
	v_bfrev_b32_e32 v82, 1
	s_mov_b32 s12, exec_lo
	v_cmpx_ne_u16_e32 0x80, v0
	s_cbranch_execz .LBB309_792
; %bb.787:                              ;   in Loop: Header=BB309_547 Depth=1
	v_and_b32_e32 v14, 0xffff, v0
	v_mov_b32_e32 v82, 0x7fc02000
	s_mov_b32 s13, exec_lo
	s_delay_alu instid0(VALU_DEP_2) | instskip(NEXT) | instid1(VALU_DEP_1)
	v_and_b32_e32 v83, 0x7f, v14
	v_cmpx_ne_u32_e32 0x7f, v83
	s_cbranch_execz .LBB309_791
; %bb.788:                              ;   in Loop: Header=BB309_547 Depth=1
	v_and_b32_e32 v0, 7, v14
	v_lshrrev_b32_e32 v82, 3, v83
	s_mov_b32 s15, exec_lo
	v_cmpx_gt_u32_e32 8, v83
; %bb.789:                              ;   in Loop: Header=BB309_547 Depth=1
	s_delay_alu instid0(VALU_DEP_3) | instskip(NEXT) | instid1(VALU_DEP_1)
	v_clz_i32_u32_e32 v82, v0
	v_min_u32_e32 v82, 32, v82
	s_delay_alu instid0(VALU_DEP_1) | instskip(SKIP_1) | instid1(VALU_DEP_2)
	v_subrev_nc_u32_e32 v83, 28, v82
	v_sub_nc_u32_e32 v82, 29, v82
	v_lshlrev_b64 v[83:84], v83, v[0:1]
	s_delay_alu instid0(VALU_DEP_1)
	v_and_b32_e32 v0, 7, v83
; %bb.790:                              ;   in Loop: Header=BB309_547 Depth=1
	s_or_b32 exec_lo, exec_lo, s15
	v_lshlrev_b32_e32 v14, 8, v14
	v_lshl_add_u32 v82, v82, 10, 0x2000
	s_delay_alu instid0(VALU_DEP_1) | instskip(NEXT) | instid1(VALU_DEP_1)
	v_and_or_b32 v14, 0x8000, v14, v82
	v_lshl_or_b32 v0, v0, 7, v14
	s_delay_alu instid0(VALU_DEP_1)
	v_cvt_f32_f16_e32 v82, v0
.LBB309_791:                            ;   in Loop: Header=BB309_547 Depth=1
	s_or_b32 exec_lo, exec_lo, s13
.LBB309_792:                            ;   in Loop: Header=BB309_547 Depth=1
	s_delay_alu instid0(SALU_CYCLE_1)
	s_or_b32 exec_lo, exec_lo, s12
.LBB309_793:                            ;   in Loop: Header=BB309_547 Depth=1
	s_delay_alu instid0(SALU_CYCLE_1) | instskip(SKIP_3) | instid1(VALU_DEP_2)
	s_or_b32 exec_lo, exec_lo, s10
	v_lshrrev_b32_e32 v84, 16, v12
	v_mov_b32_e32 v14, 0
	s_mov_b32 s10, exec_lo
	v_dual_mov_b32 v83, 0 :: v_dual_and_b32 v0, 0xff, v84
	s_delay_alu instid0(VALU_DEP_1)
	v_cmpx_ne_u16_e32 0, v0
	s_cbranch_execz .LBB309_801
; %bb.794:                              ;   in Loop: Header=BB309_547 Depth=1
	v_bfrev_b32_e32 v14, 1
	s_mov_b32 s12, exec_lo
	v_cmpx_ne_u16_e32 0x80, v0
	s_cbranch_execz .LBB309_800
; %bb.795:                              ;   in Loop: Header=BB309_547 Depth=1
	v_bfe_u32 v85, v12, 16, 7
	v_mov_b32_e32 v14, 0x7fc02000
	s_mov_b32 s13, exec_lo
	s_delay_alu instid0(VALU_DEP_2)
	v_cmpx_ne_u32_e32 0x7f, v85
	s_cbranch_execz .LBB309_799
; %bb.796:                              ;   in Loop: Header=BB309_547 Depth=1
	v_and_b32_e32 v0, 7, v84
	v_lshrrev_b32_e32 v14, 3, v85
	s_mov_b32 s15, exec_lo
	v_cmpx_gt_u32_e32 8, v85
; %bb.797:                              ;   in Loop: Header=BB309_547 Depth=1
	s_delay_alu instid0(VALU_DEP_3) | instskip(NEXT) | instid1(VALU_DEP_1)
	v_clz_i32_u32_e32 v14, v0
	v_min_u32_e32 v14, 32, v14
	s_delay_alu instid0(VALU_DEP_1) | instskip(SKIP_1) | instid1(VALU_DEP_2)
	v_subrev_nc_u32_e32 v85, 28, v14
	v_sub_nc_u32_e32 v14, 29, v14
	v_lshlrev_b64 v[85:86], v85, v[0:1]
	s_delay_alu instid0(VALU_DEP_1)
	v_and_b32_e32 v0, 7, v85
; %bb.798:                              ;   in Loop: Header=BB309_547 Depth=1
	s_or_b32 exec_lo, exec_lo, s15
	v_lshlrev_b32_e32 v84, 8, v84
	v_lshl_add_u32 v14, v14, 10, 0x2000
	s_delay_alu instid0(VALU_DEP_1) | instskip(NEXT) | instid1(VALU_DEP_1)
	v_and_or_b32 v14, 0x8000, v84, v14
	v_lshl_or_b32 v0, v0, 7, v14
	s_delay_alu instid0(VALU_DEP_1)
	v_cvt_f32_f16_e32 v14, v0
.LBB309_799:                            ;   in Loop: Header=BB309_547 Depth=1
	s_or_b32 exec_lo, exec_lo, s13
.LBB309_800:                            ;   in Loop: Header=BB309_547 Depth=1
	s_delay_alu instid0(SALU_CYCLE_1)
	s_or_b32 exec_lo, exec_lo, s12
.LBB309_801:                            ;   in Loop: Header=BB309_547 Depth=1
	s_delay_alu instid0(SALU_CYCLE_1) | instskip(NEXT) | instid1(SALU_CYCLE_1)
	s_or_b32 exec_lo, exec_lo, s10
	s_mov_b32 s10, exec_lo
	v_cmpx_lt_u64_e64 s[8:9], v[11:12]
	s_cbranch_execz .LBB309_809
; %bb.802:                              ;   in Loop: Header=BB309_547 Depth=1
	v_lshrrev_b32_e32 v11, 24, v12
	v_bfrev_b32_e32 v83, 1
	s_mov_b32 s12, exec_lo
	s_delay_alu instid0(VALU_DEP_2)
	v_cmpx_ne_u32_e32 0x80, v11
	s_cbranch_execz .LBB309_808
; %bb.803:                              ;   in Loop: Header=BB309_547 Depth=1
	v_and_b32_e32 v84, 0x7f, v11
	v_mov_b32_e32 v83, 0x7fc02000
	s_mov_b32 s13, exec_lo
	s_delay_alu instid0(VALU_DEP_2)
	v_cmpx_ne_u32_e32 0x7f, v84
	s_cbranch_execz .LBB309_807
; %bb.804:                              ;   in Loop: Header=BB309_547 Depth=1
	v_and_b32_e32 v0, 7, v11
	v_lshrrev_b32_e32 v12, 3, v84
	s_mov_b32 s15, exec_lo
	v_cmpx_gt_u32_e32 8, v84
; %bb.805:                              ;   in Loop: Header=BB309_547 Depth=1
	s_delay_alu instid0(VALU_DEP_3) | instskip(NEXT) | instid1(VALU_DEP_1)
	v_clz_i32_u32_e32 v12, v0
	v_min_u32_e32 v12, 32, v12
	s_delay_alu instid0(VALU_DEP_1) | instskip(SKIP_1) | instid1(VALU_DEP_2)
	v_subrev_nc_u32_e32 v83, 28, v12
	v_sub_nc_u32_e32 v12, 29, v12
	v_lshlrev_b64 v[83:84], v83, v[0:1]
	s_delay_alu instid0(VALU_DEP_1)
	v_and_b32_e32 v0, 7, v83
; %bb.806:                              ;   in Loop: Header=BB309_547 Depth=1
	s_or_b32 exec_lo, exec_lo, s15
	v_lshlrev_b32_e32 v11, 8, v11
	v_lshl_add_u32 v12, v12, 10, 0x2000
	s_delay_alu instid0(VALU_DEP_1) | instskip(NEXT) | instid1(VALU_DEP_1)
	v_and_or_b32 v11, 0x8000, v11, v12
	v_lshl_or_b32 v0, v0, 7, v11
	s_delay_alu instid0(VALU_DEP_1)
	v_cvt_f32_f16_e32 v83, v0
.LBB309_807:                            ;   in Loop: Header=BB309_547 Depth=1
	s_or_b32 exec_lo, exec_lo, s13
.LBB309_808:                            ;   in Loop: Header=BB309_547 Depth=1
	s_delay_alu instid0(SALU_CYCLE_1)
	s_or_b32 exec_lo, exec_lo, s12
.LBB309_809:                            ;   in Loop: Header=BB309_547 Depth=1
	s_delay_alu instid0(SALU_CYCLE_1)
	s_or_b32 exec_lo, exec_lo, s10
	s_waitcnt vmcnt(0) lgkmcnt(0)
	v_fma_mixlo_f16 v12, v69, v71, 0
	v_fma_mixlo_f16 v0, v69, v81, 0
	v_fma_mixlo_f16 v11, v69, v80, 0
	v_fma_mixlo_f16 v70, v69, v70, 0
	v_fma_mixlo_f16 v80, v69, v82, 0
	v_lshlrev_b32_e32 v71, 16, v12
	v_fma_mixlo_f16 v13, v69, v13, 0
	v_fma_mixlo_f16 v81, v69, v83, 0
	;; [unrolled: 1-line block ×3, first 2 shown]
	v_lshlrev_b32_e32 v0, 16, v0
	v_and_b32_e32 v11, 0xffff, v11
	v_and_b32_e32 v14, 0xffff, v70
	v_lshlrev_b32_e32 v69, 16, v80
	v_and_b32_e32 v70, 0xffff, v13
	v_lshlrev_b32_e32 v80, 16, v81
	v_and_b32_e32 v81, 0xffff, v12
	v_or_b32_e32 v13, v0, v11
	v_or_b32_e32 v14, v71, v14
	;; [unrolled: 1-line block ×3, first 2 shown]
	s_delay_alu instid0(VALU_DEP_4)
	v_or_b32_e32 v11, v80, v81
	s_and_saveexec_b32 s10, vcc_lo
	s_cbranch_execz .LBB309_811
; %bb.810:                              ;   in Loop: Header=BB309_547 Depth=1
	v_cmp_lt_i32_e64 s0, v15, v32
	v_lshrrev_b32_e32 v69, 16, v14
	v_lshrrev_b32_e32 v70, 16, v13
	;; [unrolled: 1-line block ×4, first 2 shown]
	v_cndmask_b32_e64 v14, 0, v14, s0
	v_cmp_lt_i32_e64 s0, v50, v35
	s_delay_alu instid0(VALU_DEP_1) | instskip(SKIP_1) | instid1(VALU_DEP_2)
	v_cndmask_b32_e64 v69, 0, v69, s0
	v_cmp_lt_i32_e64 s0, v49, v35
	v_perm_b32 v14, v69, v14, 0x5040100
	s_delay_alu instid0(VALU_DEP_2) | instskip(SKIP_1) | instid1(VALU_DEP_1)
	v_cndmask_b32_e64 v70, 0, v70, s0
	v_cmp_lt_i32_e64 s0, v48, v32
	v_cndmask_b32_e64 v13, 0, v13, s0
	v_cmp_lt_i32_e64 s0, v39, v35
	s_delay_alu instid0(VALU_DEP_2) | instskip(NEXT) | instid1(VALU_DEP_2)
	v_perm_b32 v13, v70, v13, 0x5040100
	v_cndmask_b32_e64 v71, 0, v71, s0
	v_cmp_lt_i32_e64 s0, v38, v32
	s_delay_alu instid0(VALU_DEP_1) | instskip(SKIP_1) | instid1(VALU_DEP_2)
	v_cndmask_b32_e64 v0, 0, v0, s0
	v_cmp_lt_i32_e64 s0, v37, v35
	v_perm_b32 v0, v71, v0, 0x5040100
	s_delay_alu instid0(VALU_DEP_2) | instskip(SKIP_1) | instid1(VALU_DEP_1)
	v_cndmask_b32_e64 v11, 0, v11, s0
	v_cmp_lt_i32_e64 s0, v17, v32
	v_cndmask_b32_e64 v12, 0, v12, s0
	s_delay_alu instid0(VALU_DEP_1)
	v_perm_b32 v11, v11, v12, 0x5040100
.LBB309_811:                            ;   in Loop: Header=BB309_547 Depth=1
	s_or_b32 exec_lo, exec_lo, s10
	;;#ASMSTART
	v_pk_mul_f16 v12, v54, v14;

	;;#ASMEND
	;;#ASMSTART
	v_pk_mul_f16 v13, v53, v13;

	;;#ASMEND
	;; [unrolled: 4-line block ×4, first 2 shown]
	;;#ASMSTART
	v_pk_add_f16 v12, v12, v13;

	;;#ASMEND
	;;#ASMSTART
	v_pk_add_f16 v0, v12, v0;

	;;#ASMEND
	;; [unrolled: 4-line block ×3, first 2 shown]
	v_dual_mov_b32 v80, 0 :: v_dual_and_b32 v11, 0xffff, v0
	v_lshrrev_b32_e32 v0, 16, v0
	;;#ASMSTART
	v_cvt_f32_f16 v69, v11;
	;;#ASMEND
	;;#ASMSTART
	v_cvt_f32_f16 v70, v0;
	;;#ASMEND
	flat_load_b64 v[11:12], v[9:10] offset:1024
	flat_load_b32 v71, v[26:27]
	s_mov_b32 s10, exec_lo
	s_waitcnt vmcnt(1) lgkmcnt(1)
	v_dual_mov_b32 v81, 0 :: v_dual_and_b32 v0, 0xff, v11
	s_delay_alu instid0(VALU_DEP_1)
	v_cmpx_ne_u16_e32 0, v0
	s_cbranch_execz .LBB309_819
; %bb.812:                              ;   in Loop: Header=BB309_547 Depth=1
	v_bfrev_b32_e32 v80, 1
	s_mov_b32 s12, exec_lo
	v_cmpx_ne_u16_e32 0x80, v0
	s_cbranch_execz .LBB309_818
; %bb.813:                              ;   in Loop: Header=BB309_547 Depth=1
	v_and_b32_e32 v13, 0x7f, v11
	v_mov_b32_e32 v80, 0x7fc02000
	s_mov_b32 s13, exec_lo
	s_delay_alu instid0(VALU_DEP_2)
	v_cmpx_ne_u32_e32 0x7f, v13
	s_cbranch_execz .LBB309_817
; %bb.814:                              ;   in Loop: Header=BB309_547 Depth=1
	v_lshrrev_b32_e32 v0, 3, v13
	v_cmp_gt_u32_e64 s0, 8, v13
	v_dual_mov_b32 v14, v12 :: v_dual_mov_b32 v13, v11
	s_delay_alu instid0(VALU_DEP_2)
	s_and_saveexec_b32 s15, s0
; %bb.815:                              ;   in Loop: Header=BB309_547 Depth=1
	v_and_b32_e32 v0, 7, v11
	s_delay_alu instid0(VALU_DEP_1) | instskip(NEXT) | instid1(VALU_DEP_1)
	v_clz_i32_u32_e32 v0, v0
	v_min_u32_e32 v0, 32, v0
	s_delay_alu instid0(VALU_DEP_1) | instskip(SKIP_1) | instid1(VALU_DEP_2)
	v_subrev_nc_u32_e32 v13, 28, v0
	v_sub_nc_u32_e32 v0, 29, v0
	v_lshlrev_b64 v[13:14], v13, v[11:12]
; %bb.816:                              ;   in Loop: Header=BB309_547 Depth=1
	s_or_b32 exec_lo, exec_lo, s15
	v_lshlrev_b32_e32 v14, 8, v11
	s_delay_alu instid0(VALU_DEP_3) | instskip(NEXT) | instid1(VALU_DEP_3)
	v_lshl_add_u32 v0, v0, 10, 0x2000
	v_lshlrev_b32_e32 v13, 7, v13
	s_delay_alu instid0(VALU_DEP_2) | instskip(NEXT) | instid1(VALU_DEP_1)
	v_and_or_b32 v0, 0x8000, v14, v0
	v_and_or_b32 v0, 0x380, v13, v0
	s_delay_alu instid0(VALU_DEP_1)
	v_cvt_f32_f16_e32 v80, v0
.LBB309_817:                            ;   in Loop: Header=BB309_547 Depth=1
	s_or_b32 exec_lo, exec_lo, s13
.LBB309_818:                            ;   in Loop: Header=BB309_547 Depth=1
	s_delay_alu instid0(SALU_CYCLE_1)
	s_or_b32 exec_lo, exec_lo, s12
.LBB309_819:                            ;   in Loop: Header=BB309_547 Depth=1
	s_delay_alu instid0(SALU_CYCLE_1) | instskip(SKIP_2) | instid1(VALU_DEP_1)
	s_or_b32 exec_lo, exec_lo, s10
	v_lshrrev_b16 v0, 8, v11
	s_mov_b32 s10, exec_lo
	v_cmpx_ne_u16_e32 0, v0
	s_cbranch_execz .LBB309_827
; %bb.820:                              ;   in Loop: Header=BB309_547 Depth=1
	v_bfrev_b32_e32 v81, 1
	s_mov_b32 s12, exec_lo
	v_cmpx_ne_u16_e32 0x80, v0
	s_cbranch_execz .LBB309_826
; %bb.821:                              ;   in Loop: Header=BB309_547 Depth=1
	v_and_b32_e32 v13, 0xffff, v0
	v_mov_b32_e32 v81, 0x7fc02000
	s_mov_b32 s13, exec_lo
	s_delay_alu instid0(VALU_DEP_2) | instskip(NEXT) | instid1(VALU_DEP_1)
	v_and_b32_e32 v82, 0x7f, v13
	v_cmpx_ne_u32_e32 0x7f, v82
	s_cbranch_execz .LBB309_825
; %bb.822:                              ;   in Loop: Header=BB309_547 Depth=1
	v_and_b32_e32 v0, 7, v13
	v_lshrrev_b32_e32 v14, 3, v82
	s_mov_b32 s15, exec_lo
	v_cmpx_gt_u32_e32 8, v82
; %bb.823:                              ;   in Loop: Header=BB309_547 Depth=1
	s_delay_alu instid0(VALU_DEP_3) | instskip(NEXT) | instid1(VALU_DEP_1)
	v_clz_i32_u32_e32 v14, v0
	v_min_u32_e32 v14, 32, v14
	s_delay_alu instid0(VALU_DEP_1) | instskip(SKIP_1) | instid1(VALU_DEP_2)
	v_subrev_nc_u32_e32 v81, 28, v14
	v_sub_nc_u32_e32 v14, 29, v14
	v_lshlrev_b64 v[81:82], v81, v[0:1]
	s_delay_alu instid0(VALU_DEP_1)
	v_and_b32_e32 v0, 7, v81
; %bb.824:                              ;   in Loop: Header=BB309_547 Depth=1
	s_or_b32 exec_lo, exec_lo, s15
	v_lshlrev_b32_e32 v13, 8, v13
	v_lshl_add_u32 v14, v14, 10, 0x2000
	s_delay_alu instid0(VALU_DEP_1) | instskip(NEXT) | instid1(VALU_DEP_1)
	v_and_or_b32 v13, 0x8000, v13, v14
	v_lshl_or_b32 v0, v0, 7, v13
	s_delay_alu instid0(VALU_DEP_1)
	v_cvt_f32_f16_e32 v81, v0
.LBB309_825:                            ;   in Loop: Header=BB309_547 Depth=1
	s_or_b32 exec_lo, exec_lo, s13
.LBB309_826:                            ;   in Loop: Header=BB309_547 Depth=1
	s_delay_alu instid0(SALU_CYCLE_1)
	s_or_b32 exec_lo, exec_lo, s12
.LBB309_827:                            ;   in Loop: Header=BB309_547 Depth=1
	s_delay_alu instid0(SALU_CYCLE_1) | instskip(SKIP_3) | instid1(VALU_DEP_2)
	s_or_b32 exec_lo, exec_lo, s10
	v_lshrrev_b32_e32 v13, 16, v11
	v_mov_b32_e32 v82, 0
	s_mov_b32 s10, exec_lo
	v_dual_mov_b32 v83, 0 :: v_dual_and_b32 v0, 0xff, v13
	s_delay_alu instid0(VALU_DEP_1)
	v_cmpx_ne_u16_e32 0, v0
	s_cbranch_execz .LBB309_835
; %bb.828:                              ;   in Loop: Header=BB309_547 Depth=1
	v_bfrev_b32_e32 v82, 1
	s_mov_b32 s12, exec_lo
	v_cmpx_ne_u16_e32 0x80, v0
	s_cbranch_execz .LBB309_834
; %bb.829:                              ;   in Loop: Header=BB309_547 Depth=1
	v_bfe_u32 v84, v11, 16, 7
	v_mov_b32_e32 v82, 0x7fc02000
	s_mov_b32 s13, exec_lo
	s_delay_alu instid0(VALU_DEP_2)
	v_cmpx_ne_u32_e32 0x7f, v84
	s_cbranch_execz .LBB309_833
; %bb.830:                              ;   in Loop: Header=BB309_547 Depth=1
	v_and_b32_e32 v0, 7, v13
	v_lshrrev_b32_e32 v14, 3, v84
	s_mov_b32 s15, exec_lo
	v_cmpx_gt_u32_e32 8, v84
; %bb.831:                              ;   in Loop: Header=BB309_547 Depth=1
	s_delay_alu instid0(VALU_DEP_3) | instskip(NEXT) | instid1(VALU_DEP_1)
	v_clz_i32_u32_e32 v14, v0
	v_min_u32_e32 v14, 32, v14
	s_delay_alu instid0(VALU_DEP_1) | instskip(SKIP_1) | instid1(VALU_DEP_2)
	v_subrev_nc_u32_e32 v82, 28, v14
	v_sub_nc_u32_e32 v14, 29, v14
	v_lshlrev_b64 v[84:85], v82, v[0:1]
	s_delay_alu instid0(VALU_DEP_1)
	v_and_b32_e32 v0, 7, v84
; %bb.832:                              ;   in Loop: Header=BB309_547 Depth=1
	s_or_b32 exec_lo, exec_lo, s15
	v_lshlrev_b32_e32 v13, 8, v13
	v_lshl_add_u32 v14, v14, 10, 0x2000
	s_delay_alu instid0(VALU_DEP_1) | instskip(NEXT) | instid1(VALU_DEP_1)
	v_and_or_b32 v13, 0x8000, v13, v14
	v_lshl_or_b32 v0, v0, 7, v13
	s_delay_alu instid0(VALU_DEP_1)
	v_cvt_f32_f16_e32 v82, v0
.LBB309_833:                            ;   in Loop: Header=BB309_547 Depth=1
	s_or_b32 exec_lo, exec_lo, s13
.LBB309_834:                            ;   in Loop: Header=BB309_547 Depth=1
	s_delay_alu instid0(SALU_CYCLE_1)
	s_or_b32 exec_lo, exec_lo, s12
.LBB309_835:                            ;   in Loop: Header=BB309_547 Depth=1
	s_delay_alu instid0(SALU_CYCLE_1) | instskip(NEXT) | instid1(SALU_CYCLE_1)
	s_or_b32 exec_lo, exec_lo, s10
	s_mov_b32 s10, exec_lo
	v_cmpx_lt_u32_e32 0xffffff, v11
	s_cbranch_execz .LBB309_843
; %bb.836:                              ;   in Loop: Header=BB309_547 Depth=1
	v_lshrrev_b32_e32 v13, 24, v11
	v_bfrev_b32_e32 v83, 1
	s_mov_b32 s12, exec_lo
	s_delay_alu instid0(VALU_DEP_2)
	v_cmpx_ne_u32_e32 0x80, v13
	s_cbranch_execz .LBB309_842
; %bb.837:                              ;   in Loop: Header=BB309_547 Depth=1
	v_and_b32_e32 v84, 0x7f, v13
	v_mov_b32_e32 v83, 0x7fc02000
	s_mov_b32 s13, exec_lo
	s_delay_alu instid0(VALU_DEP_2)
	v_cmpx_ne_u32_e32 0x7f, v84
	s_cbranch_execz .LBB309_841
; %bb.838:                              ;   in Loop: Header=BB309_547 Depth=1
	v_and_b32_e32 v0, 7, v13
	v_lshrrev_b32_e32 v14, 3, v84
	s_mov_b32 s15, exec_lo
	v_cmpx_gt_u32_e32 8, v84
; %bb.839:                              ;   in Loop: Header=BB309_547 Depth=1
	s_delay_alu instid0(VALU_DEP_3) | instskip(NEXT) | instid1(VALU_DEP_1)
	v_clz_i32_u32_e32 v14, v0
	v_min_u32_e32 v14, 32, v14
	s_delay_alu instid0(VALU_DEP_1) | instskip(SKIP_1) | instid1(VALU_DEP_2)
	v_subrev_nc_u32_e32 v83, 28, v14
	v_sub_nc_u32_e32 v14, 29, v14
	v_lshlrev_b64 v[83:84], v83, v[0:1]
	s_delay_alu instid0(VALU_DEP_1)
	v_and_b32_e32 v0, 7, v83
; %bb.840:                              ;   in Loop: Header=BB309_547 Depth=1
	s_or_b32 exec_lo, exec_lo, s15
	v_lshlrev_b32_e32 v13, 8, v13
	v_lshl_add_u32 v14, v14, 10, 0x2000
	s_delay_alu instid0(VALU_DEP_1) | instskip(NEXT) | instid1(VALU_DEP_1)
	v_and_or_b32 v13, 0x8000, v13, v14
	v_lshl_or_b32 v0, v0, 7, v13
	s_delay_alu instid0(VALU_DEP_1)
	v_cvt_f32_f16_e32 v83, v0
.LBB309_841:                            ;   in Loop: Header=BB309_547 Depth=1
	s_or_b32 exec_lo, exec_lo, s13
.LBB309_842:                            ;   in Loop: Header=BB309_547 Depth=1
	s_delay_alu instid0(SALU_CYCLE_1)
	s_or_b32 exec_lo, exec_lo, s12
.LBB309_843:                            ;   in Loop: Header=BB309_547 Depth=1
	s_delay_alu instid0(SALU_CYCLE_1) | instskip(SKIP_4) | instid1(VALU_DEP_3)
	s_or_b32 exec_lo, exec_lo, s10
	v_dual_mov_b32 v13, 0 :: v_dual_and_b32 v14, 0xff, v12
	v_mov_b32_e32 v0, v12
	v_mov_b32_e32 v84, 0
	s_mov_b32 s10, exec_lo
	v_cmpx_ne_u16_e32 0, v14
	s_cbranch_execz .LBB309_851
; %bb.844:                              ;   in Loop: Header=BB309_547 Depth=1
	v_bfrev_b32_e32 v13, 1
	s_mov_b32 s12, exec_lo
	v_cmpx_ne_u16_e32 0x80, v14
	s_cbranch_execz .LBB309_850
; %bb.845:                              ;   in Loop: Header=BB309_547 Depth=1
	v_and_b32_e32 v14, 0x7f, v12
	v_mov_b32_e32 v13, 0x7fc02000
	s_mov_b32 s13, exec_lo
	s_delay_alu instid0(VALU_DEP_2)
	v_cmpx_ne_u32_e32 0x7f, v14
	s_cbranch_execz .LBB309_849
; %bb.846:                              ;   in Loop: Header=BB309_547 Depth=1
	v_lshrrev_b32_e32 v85, 3, v14
	v_cmp_gt_u32_e64 s0, 8, v14
	v_dual_mov_b32 v14, v1 :: v_dual_mov_b32 v13, v0
	s_delay_alu instid0(VALU_DEP_2)
	s_and_saveexec_b32 s15, s0
; %bb.847:                              ;   in Loop: Header=BB309_547 Depth=1
	v_and_b32_e32 v13, 7, v12
	s_delay_alu instid0(VALU_DEP_1) | instskip(NEXT) | instid1(VALU_DEP_1)
	v_clz_i32_u32_e32 v13, v13
	v_min_u32_e32 v85, 32, v13
	s_delay_alu instid0(VALU_DEP_1) | instskip(SKIP_1) | instid1(VALU_DEP_2)
	v_subrev_nc_u32_e32 v13, 28, v85
	v_sub_nc_u32_e32 v85, 29, v85
	v_lshlrev_b64 v[13:14], v13, v[0:1]
; %bb.848:                              ;   in Loop: Header=BB309_547 Depth=1
	s_or_b32 exec_lo, exec_lo, s15
	v_lshlrev_b32_e32 v14, 8, v12
	s_delay_alu instid0(VALU_DEP_3) | instskip(NEXT) | instid1(VALU_DEP_3)
	v_lshl_add_u32 v85, v85, 10, 0x2000
	v_lshlrev_b32_e32 v13, 7, v13
	s_delay_alu instid0(VALU_DEP_2) | instskip(NEXT) | instid1(VALU_DEP_1)
	v_and_or_b32 v14, 0x8000, v14, v85
	v_and_or_b32 v13, 0x380, v13, v14
	s_delay_alu instid0(VALU_DEP_1)
	v_cvt_f32_f16_e32 v13, v13
.LBB309_849:                            ;   in Loop: Header=BB309_547 Depth=1
	s_or_b32 exec_lo, exec_lo, s13
.LBB309_850:                            ;   in Loop: Header=BB309_547 Depth=1
	s_delay_alu instid0(SALU_CYCLE_1)
	s_or_b32 exec_lo, exec_lo, s12
.LBB309_851:                            ;   in Loop: Header=BB309_547 Depth=1
	s_delay_alu instid0(SALU_CYCLE_1) | instskip(SKIP_2) | instid1(VALU_DEP_1)
	s_or_b32 exec_lo, exec_lo, s10
	v_lshrrev_b16 v0, 8, v0
	s_mov_b32 s10, exec_lo
	v_cmpx_ne_u16_e32 0, v0
	s_cbranch_execz .LBB309_859
; %bb.852:                              ;   in Loop: Header=BB309_547 Depth=1
	v_bfrev_b32_e32 v84, 1
	s_mov_b32 s12, exec_lo
	v_cmpx_ne_u16_e32 0x80, v0
	s_cbranch_execz .LBB309_858
; %bb.853:                              ;   in Loop: Header=BB309_547 Depth=1
	v_and_b32_e32 v14, 0xffff, v0
	v_mov_b32_e32 v84, 0x7fc02000
	s_mov_b32 s13, exec_lo
	s_delay_alu instid0(VALU_DEP_2) | instskip(NEXT) | instid1(VALU_DEP_1)
	v_and_b32_e32 v85, 0x7f, v14
	v_cmpx_ne_u32_e32 0x7f, v85
	s_cbranch_execz .LBB309_857
; %bb.854:                              ;   in Loop: Header=BB309_547 Depth=1
	v_and_b32_e32 v0, 7, v14
	v_lshrrev_b32_e32 v84, 3, v85
	s_mov_b32 s15, exec_lo
	v_cmpx_gt_u32_e32 8, v85
; %bb.855:                              ;   in Loop: Header=BB309_547 Depth=1
	s_delay_alu instid0(VALU_DEP_3) | instskip(NEXT) | instid1(VALU_DEP_1)
	v_clz_i32_u32_e32 v84, v0
	v_min_u32_e32 v84, 32, v84
	s_delay_alu instid0(VALU_DEP_1) | instskip(SKIP_1) | instid1(VALU_DEP_2)
	v_subrev_nc_u32_e32 v85, 28, v84
	v_sub_nc_u32_e32 v84, 29, v84
	v_lshlrev_b64 v[85:86], v85, v[0:1]
	s_delay_alu instid0(VALU_DEP_1)
	v_and_b32_e32 v0, 7, v85
; %bb.856:                              ;   in Loop: Header=BB309_547 Depth=1
	s_or_b32 exec_lo, exec_lo, s15
	v_lshlrev_b32_e32 v14, 8, v14
	v_lshl_add_u32 v84, v84, 10, 0x2000
	s_delay_alu instid0(VALU_DEP_1) | instskip(NEXT) | instid1(VALU_DEP_1)
	v_and_or_b32 v14, 0x8000, v14, v84
	v_lshl_or_b32 v0, v0, 7, v14
	s_delay_alu instid0(VALU_DEP_1)
	v_cvt_f32_f16_e32 v84, v0
.LBB309_857:                            ;   in Loop: Header=BB309_547 Depth=1
	s_or_b32 exec_lo, exec_lo, s13
.LBB309_858:                            ;   in Loop: Header=BB309_547 Depth=1
	s_delay_alu instid0(SALU_CYCLE_1)
	s_or_b32 exec_lo, exec_lo, s12
.LBB309_859:                            ;   in Loop: Header=BB309_547 Depth=1
	s_delay_alu instid0(SALU_CYCLE_1) | instskip(SKIP_3) | instid1(VALU_DEP_2)
	s_or_b32 exec_lo, exec_lo, s10
	v_lshrrev_b32_e32 v86, 16, v12
	v_mov_b32_e32 v14, 0
	s_mov_b32 s10, exec_lo
	v_dual_mov_b32 v85, 0 :: v_dual_and_b32 v0, 0xff, v86
	s_delay_alu instid0(VALU_DEP_1)
	v_cmpx_ne_u16_e32 0, v0
	s_cbranch_execz .LBB309_867
; %bb.860:                              ;   in Loop: Header=BB309_547 Depth=1
	v_bfrev_b32_e32 v14, 1
	s_mov_b32 s12, exec_lo
	v_cmpx_ne_u16_e32 0x80, v0
	s_cbranch_execz .LBB309_866
; %bb.861:                              ;   in Loop: Header=BB309_547 Depth=1
	v_bfe_u32 v87, v12, 16, 7
	v_mov_b32_e32 v14, 0x7fc02000
	s_mov_b32 s13, exec_lo
	s_delay_alu instid0(VALU_DEP_2)
	v_cmpx_ne_u32_e32 0x7f, v87
	s_cbranch_execz .LBB309_865
; %bb.862:                              ;   in Loop: Header=BB309_547 Depth=1
	v_and_b32_e32 v0, 7, v86
	v_lshrrev_b32_e32 v14, 3, v87
	s_mov_b32 s15, exec_lo
	v_cmpx_gt_u32_e32 8, v87
; %bb.863:                              ;   in Loop: Header=BB309_547 Depth=1
	s_delay_alu instid0(VALU_DEP_3) | instskip(NEXT) | instid1(VALU_DEP_1)
	v_clz_i32_u32_e32 v14, v0
	v_min_u32_e32 v14, 32, v14
	s_delay_alu instid0(VALU_DEP_1) | instskip(SKIP_1) | instid1(VALU_DEP_2)
	v_subrev_nc_u32_e32 v87, 28, v14
	v_sub_nc_u32_e32 v14, 29, v14
	v_lshlrev_b64 v[96:97], v87, v[0:1]
	s_delay_alu instid0(VALU_DEP_1)
	v_and_b32_e32 v0, 7, v96
; %bb.864:                              ;   in Loop: Header=BB309_547 Depth=1
	s_or_b32 exec_lo, exec_lo, s15
	v_lshlrev_b32_e32 v86, 8, v86
	v_lshl_add_u32 v14, v14, 10, 0x2000
	s_delay_alu instid0(VALU_DEP_1) | instskip(NEXT) | instid1(VALU_DEP_1)
	v_and_or_b32 v14, 0x8000, v86, v14
	v_lshl_or_b32 v0, v0, 7, v14
	s_delay_alu instid0(VALU_DEP_1)
	v_cvt_f32_f16_e32 v14, v0
.LBB309_865:                            ;   in Loop: Header=BB309_547 Depth=1
	s_or_b32 exec_lo, exec_lo, s13
.LBB309_866:                            ;   in Loop: Header=BB309_547 Depth=1
	s_delay_alu instid0(SALU_CYCLE_1)
	s_or_b32 exec_lo, exec_lo, s12
.LBB309_867:                            ;   in Loop: Header=BB309_547 Depth=1
	s_delay_alu instid0(SALU_CYCLE_1) | instskip(NEXT) | instid1(SALU_CYCLE_1)
	s_or_b32 exec_lo, exec_lo, s10
	s_mov_b32 s10, exec_lo
	v_cmpx_lt_u64_e64 s[8:9], v[11:12]
	s_cbranch_execz .LBB309_875
; %bb.868:                              ;   in Loop: Header=BB309_547 Depth=1
	v_lshrrev_b32_e32 v11, 24, v12
	v_bfrev_b32_e32 v85, 1
	s_mov_b32 s12, exec_lo
	s_delay_alu instid0(VALU_DEP_2)
	v_cmpx_ne_u32_e32 0x80, v11
	s_cbranch_execz .LBB309_874
; %bb.869:                              ;   in Loop: Header=BB309_547 Depth=1
	v_and_b32_e32 v86, 0x7f, v11
	v_mov_b32_e32 v85, 0x7fc02000
	s_mov_b32 s13, exec_lo
	s_delay_alu instid0(VALU_DEP_2)
	v_cmpx_ne_u32_e32 0x7f, v86
	s_cbranch_execz .LBB309_873
; %bb.870:                              ;   in Loop: Header=BB309_547 Depth=1
	v_and_b32_e32 v0, 7, v11
	v_lshrrev_b32_e32 v12, 3, v86
	s_mov_b32 s15, exec_lo
	v_cmpx_gt_u32_e32 8, v86
; %bb.871:                              ;   in Loop: Header=BB309_547 Depth=1
	s_delay_alu instid0(VALU_DEP_3) | instskip(NEXT) | instid1(VALU_DEP_1)
	v_clz_i32_u32_e32 v12, v0
	v_min_u32_e32 v12, 32, v12
	s_delay_alu instid0(VALU_DEP_1) | instskip(SKIP_1) | instid1(VALU_DEP_2)
	v_subrev_nc_u32_e32 v85, 28, v12
	v_sub_nc_u32_e32 v12, 29, v12
	v_lshlrev_b64 v[85:86], v85, v[0:1]
	s_delay_alu instid0(VALU_DEP_1)
	v_and_b32_e32 v0, 7, v85
; %bb.872:                              ;   in Loop: Header=BB309_547 Depth=1
	s_or_b32 exec_lo, exec_lo, s15
	v_lshlrev_b32_e32 v11, 8, v11
	v_lshl_add_u32 v12, v12, 10, 0x2000
	s_delay_alu instid0(VALU_DEP_1) | instskip(NEXT) | instid1(VALU_DEP_1)
	v_and_or_b32 v11, 0x8000, v11, v12
	v_lshl_or_b32 v0, v0, 7, v11
	s_delay_alu instid0(VALU_DEP_1)
	v_cvt_f32_f16_e32 v85, v0
.LBB309_873:                            ;   in Loop: Header=BB309_547 Depth=1
	s_or_b32 exec_lo, exec_lo, s13
.LBB309_874:                            ;   in Loop: Header=BB309_547 Depth=1
	s_delay_alu instid0(SALU_CYCLE_1)
	s_or_b32 exec_lo, exec_lo, s12
.LBB309_875:                            ;   in Loop: Header=BB309_547 Depth=1
	s_delay_alu instid0(SALU_CYCLE_1)
	s_or_b32 exec_lo, exec_lo, s10
	s_waitcnt vmcnt(0) lgkmcnt(0)
	v_fma_mixlo_f16 v12, v71, v81, 0
	v_fma_mixlo_f16 v0, v71, v83, 0
	;; [unrolled: 1-line block ×5, first 2 shown]
	v_lshlrev_b32_e32 v81, 16, v12
	v_fma_mixlo_f16 v13, v71, v13, 0
	v_fma_mixlo_f16 v83, v71, v85, 0
	;; [unrolled: 1-line block ×3, first 2 shown]
	v_lshlrev_b32_e32 v0, 16, v0
	v_and_b32_e32 v11, 0xffff, v11
	v_and_b32_e32 v14, 0xffff, v80
	v_lshlrev_b32_e32 v71, 16, v82
	v_and_b32_e32 v80, 0xffff, v13
	v_lshlrev_b32_e32 v82, 16, v83
	v_and_b32_e32 v83, 0xffff, v12
	v_or_b32_e32 v13, v0, v11
	v_or_b32_e32 v14, v81, v14
	;; [unrolled: 1-line block ×3, first 2 shown]
	s_delay_alu instid0(VALU_DEP_4)
	v_or_b32_e32 v11, v82, v83
	s_and_saveexec_b32 s10, vcc_lo
	s_cbranch_execz .LBB309_877
; %bb.876:                              ;   in Loop: Header=BB309_547 Depth=1
	v_cmp_lt_i32_e64 s0, v15, v32
	v_lshrrev_b32_e32 v71, 16, v14
	v_lshrrev_b32_e32 v80, 16, v13
	;; [unrolled: 1-line block ×4, first 2 shown]
	v_cndmask_b32_e64 v14, 0, v14, s0
	v_cmp_lt_i32_e64 s0, v50, v35
	s_delay_alu instid0(VALU_DEP_1) | instskip(SKIP_1) | instid1(VALU_DEP_2)
	v_cndmask_b32_e64 v71, 0, v71, s0
	v_cmp_lt_i32_e64 s0, v49, v35
	v_perm_b32 v14, v71, v14, 0x5040100
	s_delay_alu instid0(VALU_DEP_2) | instskip(SKIP_1) | instid1(VALU_DEP_1)
	v_cndmask_b32_e64 v80, 0, v80, s0
	v_cmp_lt_i32_e64 s0, v48, v32
	v_cndmask_b32_e64 v13, 0, v13, s0
	v_cmp_lt_i32_e64 s0, v39, v35
	s_delay_alu instid0(VALU_DEP_2) | instskip(NEXT) | instid1(VALU_DEP_2)
	v_perm_b32 v13, v80, v13, 0x5040100
	v_cndmask_b32_e64 v81, 0, v81, s0
	v_cmp_lt_i32_e64 s0, v38, v32
	s_delay_alu instid0(VALU_DEP_1) | instskip(SKIP_1) | instid1(VALU_DEP_2)
	v_cndmask_b32_e64 v0, 0, v0, s0
	v_cmp_lt_i32_e64 s0, v37, v35
	v_perm_b32 v0, v81, v0, 0x5040100
	s_delay_alu instid0(VALU_DEP_2) | instskip(SKIP_1) | instid1(VALU_DEP_1)
	v_cndmask_b32_e64 v11, 0, v11, s0
	v_cmp_lt_i32_e64 s0, v17, v32
	v_cndmask_b32_e64 v12, 0, v12, s0
	s_delay_alu instid0(VALU_DEP_1)
	v_perm_b32 v11, v11, v12, 0x5040100
.LBB309_877:                            ;   in Loop: Header=BB309_547 Depth=1
	s_or_b32 exec_lo, exec_lo, s10
	;;#ASMSTART
	v_pk_mul_f16 v12, v54, v14;

	;;#ASMEND
	;;#ASMSTART
	v_pk_mul_f16 v13, v53, v13;

	;;#ASMEND
	;; [unrolled: 4-line block ×4, first 2 shown]
	;;#ASMSTART
	v_pk_add_f16 v12, v12, v13;

	;;#ASMEND
	;;#ASMSTART
	v_pk_add_f16 v0, v12, v0;

	;;#ASMEND
	;; [unrolled: 4-line block ×3, first 2 shown]
	v_dual_mov_b32 v82, 0 :: v_dual_and_b32 v11, 0xffff, v0
	v_lshrrev_b32_e32 v0, 16, v0
	;;#ASMSTART
	v_cvt_f32_f16 v71, v11;
	;;#ASMEND
	;;#ASMSTART
	v_cvt_f32_f16 v80, v0;
	;;#ASMEND
	flat_load_b64 v[11:12], v[9:10] offset:1280
	flat_load_b32 v81, v[26:27]
	s_mov_b32 s10, exec_lo
	s_waitcnt vmcnt(1) lgkmcnt(1)
	v_dual_mov_b32 v83, 0 :: v_dual_and_b32 v0, 0xff, v11
	s_delay_alu instid0(VALU_DEP_1)
	v_cmpx_ne_u16_e32 0, v0
	s_cbranch_execz .LBB309_885
; %bb.878:                              ;   in Loop: Header=BB309_547 Depth=1
	v_bfrev_b32_e32 v82, 1
	s_mov_b32 s12, exec_lo
	v_cmpx_ne_u16_e32 0x80, v0
	s_cbranch_execz .LBB309_884
; %bb.879:                              ;   in Loop: Header=BB309_547 Depth=1
	v_and_b32_e32 v13, 0x7f, v11
	v_mov_b32_e32 v82, 0x7fc02000
	s_mov_b32 s13, exec_lo
	s_delay_alu instid0(VALU_DEP_2)
	v_cmpx_ne_u32_e32 0x7f, v13
	s_cbranch_execz .LBB309_883
; %bb.880:                              ;   in Loop: Header=BB309_547 Depth=1
	v_lshrrev_b32_e32 v0, 3, v13
	v_cmp_gt_u32_e64 s0, 8, v13
	v_dual_mov_b32 v14, v12 :: v_dual_mov_b32 v13, v11
	s_delay_alu instid0(VALU_DEP_2)
	s_and_saveexec_b32 s15, s0
; %bb.881:                              ;   in Loop: Header=BB309_547 Depth=1
	v_and_b32_e32 v0, 7, v11
	s_delay_alu instid0(VALU_DEP_1) | instskip(NEXT) | instid1(VALU_DEP_1)
	v_clz_i32_u32_e32 v0, v0
	v_min_u32_e32 v0, 32, v0
	s_delay_alu instid0(VALU_DEP_1) | instskip(SKIP_1) | instid1(VALU_DEP_2)
	v_subrev_nc_u32_e32 v13, 28, v0
	v_sub_nc_u32_e32 v0, 29, v0
	v_lshlrev_b64 v[13:14], v13, v[11:12]
; %bb.882:                              ;   in Loop: Header=BB309_547 Depth=1
	s_or_b32 exec_lo, exec_lo, s15
	v_lshlrev_b32_e32 v14, 8, v11
	s_delay_alu instid0(VALU_DEP_3) | instskip(NEXT) | instid1(VALU_DEP_3)
	v_lshl_add_u32 v0, v0, 10, 0x2000
	v_lshlrev_b32_e32 v13, 7, v13
	s_delay_alu instid0(VALU_DEP_2) | instskip(NEXT) | instid1(VALU_DEP_1)
	v_and_or_b32 v0, 0x8000, v14, v0
	v_and_or_b32 v0, 0x380, v13, v0
	s_delay_alu instid0(VALU_DEP_1)
	v_cvt_f32_f16_e32 v82, v0
.LBB309_883:                            ;   in Loop: Header=BB309_547 Depth=1
	s_or_b32 exec_lo, exec_lo, s13
.LBB309_884:                            ;   in Loop: Header=BB309_547 Depth=1
	s_delay_alu instid0(SALU_CYCLE_1)
	s_or_b32 exec_lo, exec_lo, s12
.LBB309_885:                            ;   in Loop: Header=BB309_547 Depth=1
	s_delay_alu instid0(SALU_CYCLE_1) | instskip(SKIP_2) | instid1(VALU_DEP_1)
	s_or_b32 exec_lo, exec_lo, s10
	v_lshrrev_b16 v0, 8, v11
	s_mov_b32 s10, exec_lo
	v_cmpx_ne_u16_e32 0, v0
	s_cbranch_execz .LBB309_893
; %bb.886:                              ;   in Loop: Header=BB309_547 Depth=1
	v_bfrev_b32_e32 v83, 1
	s_mov_b32 s12, exec_lo
	v_cmpx_ne_u16_e32 0x80, v0
	s_cbranch_execz .LBB309_892
; %bb.887:                              ;   in Loop: Header=BB309_547 Depth=1
	v_and_b32_e32 v13, 0xffff, v0
	v_mov_b32_e32 v83, 0x7fc02000
	s_mov_b32 s13, exec_lo
	s_delay_alu instid0(VALU_DEP_2) | instskip(NEXT) | instid1(VALU_DEP_1)
	v_and_b32_e32 v84, 0x7f, v13
	v_cmpx_ne_u32_e32 0x7f, v84
	s_cbranch_execz .LBB309_891
; %bb.888:                              ;   in Loop: Header=BB309_547 Depth=1
	v_and_b32_e32 v0, 7, v13
	v_lshrrev_b32_e32 v14, 3, v84
	s_mov_b32 s15, exec_lo
	v_cmpx_gt_u32_e32 8, v84
; %bb.889:                              ;   in Loop: Header=BB309_547 Depth=1
	s_delay_alu instid0(VALU_DEP_3) | instskip(NEXT) | instid1(VALU_DEP_1)
	v_clz_i32_u32_e32 v14, v0
	v_min_u32_e32 v14, 32, v14
	s_delay_alu instid0(VALU_DEP_1) | instskip(SKIP_1) | instid1(VALU_DEP_2)
	v_subrev_nc_u32_e32 v83, 28, v14
	v_sub_nc_u32_e32 v14, 29, v14
	v_lshlrev_b64 v[83:84], v83, v[0:1]
	s_delay_alu instid0(VALU_DEP_1)
	v_and_b32_e32 v0, 7, v83
; %bb.890:                              ;   in Loop: Header=BB309_547 Depth=1
	s_or_b32 exec_lo, exec_lo, s15
	v_lshlrev_b32_e32 v13, 8, v13
	v_lshl_add_u32 v14, v14, 10, 0x2000
	s_delay_alu instid0(VALU_DEP_1) | instskip(NEXT) | instid1(VALU_DEP_1)
	v_and_or_b32 v13, 0x8000, v13, v14
	v_lshl_or_b32 v0, v0, 7, v13
	s_delay_alu instid0(VALU_DEP_1)
	v_cvt_f32_f16_e32 v83, v0
.LBB309_891:                            ;   in Loop: Header=BB309_547 Depth=1
	s_or_b32 exec_lo, exec_lo, s13
.LBB309_892:                            ;   in Loop: Header=BB309_547 Depth=1
	s_delay_alu instid0(SALU_CYCLE_1)
	s_or_b32 exec_lo, exec_lo, s12
.LBB309_893:                            ;   in Loop: Header=BB309_547 Depth=1
	s_delay_alu instid0(SALU_CYCLE_1) | instskip(SKIP_3) | instid1(VALU_DEP_2)
	s_or_b32 exec_lo, exec_lo, s10
	v_lshrrev_b32_e32 v13, 16, v11
	v_mov_b32_e32 v84, 0
	s_mov_b32 s10, exec_lo
	v_dual_mov_b32 v85, 0 :: v_dual_and_b32 v0, 0xff, v13
	s_delay_alu instid0(VALU_DEP_1)
	v_cmpx_ne_u16_e32 0, v0
	s_cbranch_execz .LBB309_901
; %bb.894:                              ;   in Loop: Header=BB309_547 Depth=1
	v_bfrev_b32_e32 v84, 1
	s_mov_b32 s12, exec_lo
	v_cmpx_ne_u16_e32 0x80, v0
	s_cbranch_execz .LBB309_900
; %bb.895:                              ;   in Loop: Header=BB309_547 Depth=1
	v_bfe_u32 v86, v11, 16, 7
	v_mov_b32_e32 v84, 0x7fc02000
	s_mov_b32 s13, exec_lo
	s_delay_alu instid0(VALU_DEP_2)
	v_cmpx_ne_u32_e32 0x7f, v86
	s_cbranch_execz .LBB309_899
; %bb.896:                              ;   in Loop: Header=BB309_547 Depth=1
	v_and_b32_e32 v0, 7, v13
	v_lshrrev_b32_e32 v14, 3, v86
	s_mov_b32 s15, exec_lo
	v_cmpx_gt_u32_e32 8, v86
; %bb.897:                              ;   in Loop: Header=BB309_547 Depth=1
	s_delay_alu instid0(VALU_DEP_3) | instskip(NEXT) | instid1(VALU_DEP_1)
	v_clz_i32_u32_e32 v14, v0
	v_min_u32_e32 v14, 32, v14
	s_delay_alu instid0(VALU_DEP_1) | instskip(SKIP_1) | instid1(VALU_DEP_2)
	v_subrev_nc_u32_e32 v84, 28, v14
	v_sub_nc_u32_e32 v14, 29, v14
	v_lshlrev_b64 v[86:87], v84, v[0:1]
	s_delay_alu instid0(VALU_DEP_1)
	v_and_b32_e32 v0, 7, v86
; %bb.898:                              ;   in Loop: Header=BB309_547 Depth=1
	s_or_b32 exec_lo, exec_lo, s15
	v_lshlrev_b32_e32 v13, 8, v13
	v_lshl_add_u32 v14, v14, 10, 0x2000
	s_delay_alu instid0(VALU_DEP_1) | instskip(NEXT) | instid1(VALU_DEP_1)
	v_and_or_b32 v13, 0x8000, v13, v14
	v_lshl_or_b32 v0, v0, 7, v13
	s_delay_alu instid0(VALU_DEP_1)
	v_cvt_f32_f16_e32 v84, v0
.LBB309_899:                            ;   in Loop: Header=BB309_547 Depth=1
	s_or_b32 exec_lo, exec_lo, s13
.LBB309_900:                            ;   in Loop: Header=BB309_547 Depth=1
	s_delay_alu instid0(SALU_CYCLE_1)
	s_or_b32 exec_lo, exec_lo, s12
.LBB309_901:                            ;   in Loop: Header=BB309_547 Depth=1
	s_delay_alu instid0(SALU_CYCLE_1) | instskip(NEXT) | instid1(SALU_CYCLE_1)
	s_or_b32 exec_lo, exec_lo, s10
	s_mov_b32 s10, exec_lo
	v_cmpx_lt_u32_e32 0xffffff, v11
	s_cbranch_execz .LBB309_909
; %bb.902:                              ;   in Loop: Header=BB309_547 Depth=1
	v_lshrrev_b32_e32 v13, 24, v11
	v_bfrev_b32_e32 v85, 1
	s_mov_b32 s12, exec_lo
	s_delay_alu instid0(VALU_DEP_2)
	v_cmpx_ne_u32_e32 0x80, v13
	s_cbranch_execz .LBB309_908
; %bb.903:                              ;   in Loop: Header=BB309_547 Depth=1
	v_and_b32_e32 v86, 0x7f, v13
	v_mov_b32_e32 v85, 0x7fc02000
	s_mov_b32 s13, exec_lo
	s_delay_alu instid0(VALU_DEP_2)
	v_cmpx_ne_u32_e32 0x7f, v86
	s_cbranch_execz .LBB309_907
; %bb.904:                              ;   in Loop: Header=BB309_547 Depth=1
	v_and_b32_e32 v0, 7, v13
	v_lshrrev_b32_e32 v14, 3, v86
	s_mov_b32 s15, exec_lo
	v_cmpx_gt_u32_e32 8, v86
; %bb.905:                              ;   in Loop: Header=BB309_547 Depth=1
	s_delay_alu instid0(VALU_DEP_3) | instskip(NEXT) | instid1(VALU_DEP_1)
	v_clz_i32_u32_e32 v14, v0
	v_min_u32_e32 v14, 32, v14
	s_delay_alu instid0(VALU_DEP_1) | instskip(SKIP_1) | instid1(VALU_DEP_2)
	v_subrev_nc_u32_e32 v85, 28, v14
	v_sub_nc_u32_e32 v14, 29, v14
	v_lshlrev_b64 v[85:86], v85, v[0:1]
	s_delay_alu instid0(VALU_DEP_1)
	v_and_b32_e32 v0, 7, v85
; %bb.906:                              ;   in Loop: Header=BB309_547 Depth=1
	s_or_b32 exec_lo, exec_lo, s15
	v_lshlrev_b32_e32 v13, 8, v13
	v_lshl_add_u32 v14, v14, 10, 0x2000
	s_delay_alu instid0(VALU_DEP_1) | instskip(NEXT) | instid1(VALU_DEP_1)
	v_and_or_b32 v13, 0x8000, v13, v14
	v_lshl_or_b32 v0, v0, 7, v13
	s_delay_alu instid0(VALU_DEP_1)
	v_cvt_f32_f16_e32 v85, v0
.LBB309_907:                            ;   in Loop: Header=BB309_547 Depth=1
	s_or_b32 exec_lo, exec_lo, s13
.LBB309_908:                            ;   in Loop: Header=BB309_547 Depth=1
	s_delay_alu instid0(SALU_CYCLE_1)
	s_or_b32 exec_lo, exec_lo, s12
.LBB309_909:                            ;   in Loop: Header=BB309_547 Depth=1
	s_delay_alu instid0(SALU_CYCLE_1) | instskip(SKIP_4) | instid1(VALU_DEP_3)
	s_or_b32 exec_lo, exec_lo, s10
	v_dual_mov_b32 v13, 0 :: v_dual_and_b32 v14, 0xff, v12
	v_mov_b32_e32 v0, v12
	v_mov_b32_e32 v86, 0
	s_mov_b32 s10, exec_lo
	v_cmpx_ne_u16_e32 0, v14
	s_cbranch_execz .LBB309_917
; %bb.910:                              ;   in Loop: Header=BB309_547 Depth=1
	v_bfrev_b32_e32 v13, 1
	s_mov_b32 s12, exec_lo
	v_cmpx_ne_u16_e32 0x80, v14
	s_cbranch_execz .LBB309_916
; %bb.911:                              ;   in Loop: Header=BB309_547 Depth=1
	v_and_b32_e32 v14, 0x7f, v12
	v_mov_b32_e32 v13, 0x7fc02000
	s_mov_b32 s13, exec_lo
	s_delay_alu instid0(VALU_DEP_2)
	v_cmpx_ne_u32_e32 0x7f, v14
	s_cbranch_execz .LBB309_915
; %bb.912:                              ;   in Loop: Header=BB309_547 Depth=1
	v_lshrrev_b32_e32 v87, 3, v14
	v_cmp_gt_u32_e64 s0, 8, v14
	v_dual_mov_b32 v14, v1 :: v_dual_mov_b32 v13, v0
	s_delay_alu instid0(VALU_DEP_2)
	s_and_saveexec_b32 s15, s0
; %bb.913:                              ;   in Loop: Header=BB309_547 Depth=1
	v_and_b32_e32 v13, 7, v12
	s_delay_alu instid0(VALU_DEP_1) | instskip(NEXT) | instid1(VALU_DEP_1)
	v_clz_i32_u32_e32 v13, v13
	v_min_u32_e32 v87, 32, v13
	s_delay_alu instid0(VALU_DEP_1) | instskip(SKIP_1) | instid1(VALU_DEP_2)
	v_subrev_nc_u32_e32 v13, 28, v87
	v_sub_nc_u32_e32 v87, 29, v87
	v_lshlrev_b64 v[13:14], v13, v[0:1]
; %bb.914:                              ;   in Loop: Header=BB309_547 Depth=1
	s_or_b32 exec_lo, exec_lo, s15
	v_lshlrev_b32_e32 v14, 8, v12
	s_delay_alu instid0(VALU_DEP_3) | instskip(NEXT) | instid1(VALU_DEP_3)
	v_lshl_add_u32 v87, v87, 10, 0x2000
	v_lshlrev_b32_e32 v13, 7, v13
	s_delay_alu instid0(VALU_DEP_2) | instskip(NEXT) | instid1(VALU_DEP_1)
	v_and_or_b32 v14, 0x8000, v14, v87
	v_and_or_b32 v13, 0x380, v13, v14
	s_delay_alu instid0(VALU_DEP_1)
	v_cvt_f32_f16_e32 v13, v13
.LBB309_915:                            ;   in Loop: Header=BB309_547 Depth=1
	s_or_b32 exec_lo, exec_lo, s13
.LBB309_916:                            ;   in Loop: Header=BB309_547 Depth=1
	s_delay_alu instid0(SALU_CYCLE_1)
	s_or_b32 exec_lo, exec_lo, s12
.LBB309_917:                            ;   in Loop: Header=BB309_547 Depth=1
	s_delay_alu instid0(SALU_CYCLE_1) | instskip(SKIP_2) | instid1(VALU_DEP_1)
	s_or_b32 exec_lo, exec_lo, s10
	v_lshrrev_b16 v0, 8, v0
	s_mov_b32 s10, exec_lo
	v_cmpx_ne_u16_e32 0, v0
	s_cbranch_execz .LBB309_925
; %bb.918:                              ;   in Loop: Header=BB309_547 Depth=1
	v_bfrev_b32_e32 v86, 1
	s_mov_b32 s12, exec_lo
	v_cmpx_ne_u16_e32 0x80, v0
	s_cbranch_execz .LBB309_924
; %bb.919:                              ;   in Loop: Header=BB309_547 Depth=1
	v_and_b32_e32 v14, 0xffff, v0
	v_mov_b32_e32 v86, 0x7fc02000
	s_mov_b32 s13, exec_lo
	s_delay_alu instid0(VALU_DEP_2) | instskip(NEXT) | instid1(VALU_DEP_1)
	v_and_b32_e32 v87, 0x7f, v14
	v_cmpx_ne_u32_e32 0x7f, v87
	s_cbranch_execz .LBB309_923
; %bb.920:                              ;   in Loop: Header=BB309_547 Depth=1
	v_and_b32_e32 v0, 7, v14
	v_lshrrev_b32_e32 v86, 3, v87
	s_mov_b32 s15, exec_lo
	v_cmpx_gt_u32_e32 8, v87
; %bb.921:                              ;   in Loop: Header=BB309_547 Depth=1
	s_delay_alu instid0(VALU_DEP_3) | instskip(NEXT) | instid1(VALU_DEP_1)
	v_clz_i32_u32_e32 v86, v0
	v_min_u32_e32 v86, 32, v86
	s_delay_alu instid0(VALU_DEP_1) | instskip(SKIP_1) | instid1(VALU_DEP_2)
	v_subrev_nc_u32_e32 v87, 28, v86
	v_sub_nc_u32_e32 v86, 29, v86
	v_lshlrev_b64 v[96:97], v87, v[0:1]
	s_delay_alu instid0(VALU_DEP_1)
	v_and_b32_e32 v0, 7, v96
; %bb.922:                              ;   in Loop: Header=BB309_547 Depth=1
	s_or_b32 exec_lo, exec_lo, s15
	v_lshlrev_b32_e32 v14, 8, v14
	v_lshl_add_u32 v86, v86, 10, 0x2000
	s_delay_alu instid0(VALU_DEP_1) | instskip(NEXT) | instid1(VALU_DEP_1)
	v_and_or_b32 v14, 0x8000, v14, v86
	v_lshl_or_b32 v0, v0, 7, v14
	s_delay_alu instid0(VALU_DEP_1)
	v_cvt_f32_f16_e32 v86, v0
.LBB309_923:                            ;   in Loop: Header=BB309_547 Depth=1
	s_or_b32 exec_lo, exec_lo, s13
.LBB309_924:                            ;   in Loop: Header=BB309_547 Depth=1
	s_delay_alu instid0(SALU_CYCLE_1)
	s_or_b32 exec_lo, exec_lo, s12
.LBB309_925:                            ;   in Loop: Header=BB309_547 Depth=1
	s_delay_alu instid0(SALU_CYCLE_1) | instskip(SKIP_3) | instid1(VALU_DEP_2)
	s_or_b32 exec_lo, exec_lo, s10
	v_lshrrev_b32_e32 v96, 16, v12
	v_mov_b32_e32 v14, 0
	s_mov_b32 s10, exec_lo
	v_dual_mov_b32 v87, 0 :: v_dual_and_b32 v0, 0xff, v96
	s_delay_alu instid0(VALU_DEP_1)
	v_cmpx_ne_u16_e32 0, v0
	s_cbranch_execz .LBB309_933
; %bb.926:                              ;   in Loop: Header=BB309_547 Depth=1
	v_bfrev_b32_e32 v14, 1
	s_mov_b32 s12, exec_lo
	v_cmpx_ne_u16_e32 0x80, v0
	s_cbranch_execz .LBB309_932
; %bb.927:                              ;   in Loop: Header=BB309_547 Depth=1
	v_bfe_u32 v97, v12, 16, 7
	v_mov_b32_e32 v14, 0x7fc02000
	s_mov_b32 s13, exec_lo
	s_delay_alu instid0(VALU_DEP_2)
	v_cmpx_ne_u32_e32 0x7f, v97
	s_cbranch_execz .LBB309_931
; %bb.928:                              ;   in Loop: Header=BB309_547 Depth=1
	v_and_b32_e32 v0, 7, v96
	v_lshrrev_b32_e32 v14, 3, v97
	s_mov_b32 s15, exec_lo
	v_cmpx_gt_u32_e32 8, v97
; %bb.929:                              ;   in Loop: Header=BB309_547 Depth=1
	s_delay_alu instid0(VALU_DEP_3) | instskip(NEXT) | instid1(VALU_DEP_1)
	v_clz_i32_u32_e32 v14, v0
	v_min_u32_e32 v14, 32, v14
	s_delay_alu instid0(VALU_DEP_1) | instskip(SKIP_1) | instid1(VALU_DEP_2)
	v_subrev_nc_u32_e32 v97, 28, v14
	v_sub_nc_u32_e32 v14, 29, v14
	v_lshlrev_b64 v[97:98], v97, v[0:1]
	s_delay_alu instid0(VALU_DEP_1)
	v_and_b32_e32 v0, 7, v97
; %bb.930:                              ;   in Loop: Header=BB309_547 Depth=1
	s_or_b32 exec_lo, exec_lo, s15
	v_lshlrev_b32_e32 v96, 8, v96
	v_lshl_add_u32 v14, v14, 10, 0x2000
	s_delay_alu instid0(VALU_DEP_1) | instskip(NEXT) | instid1(VALU_DEP_1)
	v_and_or_b32 v14, 0x8000, v96, v14
	v_lshl_or_b32 v0, v0, 7, v14
	s_delay_alu instid0(VALU_DEP_1)
	v_cvt_f32_f16_e32 v14, v0
.LBB309_931:                            ;   in Loop: Header=BB309_547 Depth=1
	s_or_b32 exec_lo, exec_lo, s13
.LBB309_932:                            ;   in Loop: Header=BB309_547 Depth=1
	s_delay_alu instid0(SALU_CYCLE_1)
	s_or_b32 exec_lo, exec_lo, s12
.LBB309_933:                            ;   in Loop: Header=BB309_547 Depth=1
	s_delay_alu instid0(SALU_CYCLE_1) | instskip(NEXT) | instid1(SALU_CYCLE_1)
	s_or_b32 exec_lo, exec_lo, s10
	s_mov_b32 s10, exec_lo
	v_cmpx_lt_u64_e64 s[8:9], v[11:12]
	s_cbranch_execz .LBB309_941
; %bb.934:                              ;   in Loop: Header=BB309_547 Depth=1
	v_lshrrev_b32_e32 v11, 24, v12
	v_bfrev_b32_e32 v87, 1
	s_mov_b32 s12, exec_lo
	s_delay_alu instid0(VALU_DEP_2)
	v_cmpx_ne_u32_e32 0x80, v11
	s_cbranch_execz .LBB309_940
; %bb.935:                              ;   in Loop: Header=BB309_547 Depth=1
	v_and_b32_e32 v96, 0x7f, v11
	v_mov_b32_e32 v87, 0x7fc02000
	s_mov_b32 s13, exec_lo
	s_delay_alu instid0(VALU_DEP_2)
	v_cmpx_ne_u32_e32 0x7f, v96
	s_cbranch_execz .LBB309_939
; %bb.936:                              ;   in Loop: Header=BB309_547 Depth=1
	v_and_b32_e32 v0, 7, v11
	v_lshrrev_b32_e32 v12, 3, v96
	s_mov_b32 s15, exec_lo
	v_cmpx_gt_u32_e32 8, v96
; %bb.937:                              ;   in Loop: Header=BB309_547 Depth=1
	s_delay_alu instid0(VALU_DEP_3) | instskip(NEXT) | instid1(VALU_DEP_1)
	v_clz_i32_u32_e32 v12, v0
	v_min_u32_e32 v12, 32, v12
	s_delay_alu instid0(VALU_DEP_1) | instskip(SKIP_1) | instid1(VALU_DEP_2)
	v_subrev_nc_u32_e32 v87, 28, v12
	v_sub_nc_u32_e32 v12, 29, v12
	v_lshlrev_b64 v[96:97], v87, v[0:1]
	s_delay_alu instid0(VALU_DEP_1)
	v_and_b32_e32 v0, 7, v96
; %bb.938:                              ;   in Loop: Header=BB309_547 Depth=1
	s_or_b32 exec_lo, exec_lo, s15
	v_lshlrev_b32_e32 v11, 8, v11
	v_lshl_add_u32 v12, v12, 10, 0x2000
	s_delay_alu instid0(VALU_DEP_1) | instskip(NEXT) | instid1(VALU_DEP_1)
	v_and_or_b32 v11, 0x8000, v11, v12
	v_lshl_or_b32 v0, v0, 7, v11
	s_delay_alu instid0(VALU_DEP_1)
	v_cvt_f32_f16_e32 v87, v0
.LBB309_939:                            ;   in Loop: Header=BB309_547 Depth=1
	s_or_b32 exec_lo, exec_lo, s13
.LBB309_940:                            ;   in Loop: Header=BB309_547 Depth=1
	s_delay_alu instid0(SALU_CYCLE_1)
	s_or_b32 exec_lo, exec_lo, s12
.LBB309_941:                            ;   in Loop: Header=BB309_547 Depth=1
	s_delay_alu instid0(SALU_CYCLE_1)
	s_or_b32 exec_lo, exec_lo, s10
	s_waitcnt vmcnt(0) lgkmcnt(0)
	v_fma_mixlo_f16 v12, v81, v83, 0
	v_fma_mixlo_f16 v0, v81, v85, 0
	;; [unrolled: 1-line block ×5, first 2 shown]
	v_lshlrev_b32_e32 v83, 16, v12
	v_fma_mixlo_f16 v13, v81, v13, 0
	v_fma_mixlo_f16 v85, v81, v87, 0
	;; [unrolled: 1-line block ×3, first 2 shown]
	v_lshlrev_b32_e32 v0, 16, v0
	v_and_b32_e32 v11, 0xffff, v11
	v_and_b32_e32 v14, 0xffff, v82
	v_lshlrev_b32_e32 v81, 16, v84
	v_and_b32_e32 v82, 0xffff, v13
	v_lshlrev_b32_e32 v84, 16, v85
	v_and_b32_e32 v85, 0xffff, v12
	v_or_b32_e32 v13, v0, v11
	v_or_b32_e32 v14, v83, v14
	;; [unrolled: 1-line block ×3, first 2 shown]
	s_delay_alu instid0(VALU_DEP_4)
	v_or_b32_e32 v11, v84, v85
	s_and_saveexec_b32 s10, vcc_lo
	s_cbranch_execz .LBB309_943
; %bb.942:                              ;   in Loop: Header=BB309_547 Depth=1
	v_cmp_lt_i32_e64 s0, v15, v32
	v_lshrrev_b32_e32 v81, 16, v14
	v_lshrrev_b32_e32 v82, 16, v13
	;; [unrolled: 1-line block ×4, first 2 shown]
	v_cndmask_b32_e64 v14, 0, v14, s0
	v_cmp_lt_i32_e64 s0, v50, v35
	s_delay_alu instid0(VALU_DEP_1) | instskip(SKIP_1) | instid1(VALU_DEP_2)
	v_cndmask_b32_e64 v81, 0, v81, s0
	v_cmp_lt_i32_e64 s0, v49, v35
	v_perm_b32 v14, v81, v14, 0x5040100
	s_delay_alu instid0(VALU_DEP_2) | instskip(SKIP_1) | instid1(VALU_DEP_1)
	v_cndmask_b32_e64 v82, 0, v82, s0
	v_cmp_lt_i32_e64 s0, v48, v32
	v_cndmask_b32_e64 v13, 0, v13, s0
	v_cmp_lt_i32_e64 s0, v39, v35
	s_delay_alu instid0(VALU_DEP_2) | instskip(NEXT) | instid1(VALU_DEP_2)
	v_perm_b32 v13, v82, v13, 0x5040100
	v_cndmask_b32_e64 v83, 0, v83, s0
	v_cmp_lt_i32_e64 s0, v38, v32
	s_delay_alu instid0(VALU_DEP_1) | instskip(SKIP_1) | instid1(VALU_DEP_2)
	v_cndmask_b32_e64 v0, 0, v0, s0
	v_cmp_lt_i32_e64 s0, v37, v35
	v_perm_b32 v0, v83, v0, 0x5040100
	s_delay_alu instid0(VALU_DEP_2) | instskip(SKIP_1) | instid1(VALU_DEP_1)
	v_cndmask_b32_e64 v11, 0, v11, s0
	v_cmp_lt_i32_e64 s0, v17, v32
	v_cndmask_b32_e64 v12, 0, v12, s0
	s_delay_alu instid0(VALU_DEP_1)
	v_perm_b32 v11, v11, v12, 0x5040100
.LBB309_943:                            ;   in Loop: Header=BB309_547 Depth=1
	s_or_b32 exec_lo, exec_lo, s10
	;;#ASMSTART
	v_pk_mul_f16 v12, v54, v14;

	;;#ASMEND
	;;#ASMSTART
	v_pk_mul_f16 v13, v53, v13;

	;;#ASMEND
	;; [unrolled: 4-line block ×4, first 2 shown]
	;;#ASMSTART
	v_pk_add_f16 v12, v12, v13;

	;;#ASMEND
	;;#ASMSTART
	v_pk_add_f16 v0, v12, v0;

	;;#ASMEND
	;; [unrolled: 4-line block ×3, first 2 shown]
	v_dual_mov_b32 v84, 0 :: v_dual_and_b32 v11, 0xffff, v0
	v_lshrrev_b32_e32 v0, 16, v0
	;;#ASMSTART
	v_cvt_f32_f16 v81, v11;
	;;#ASMEND
	;;#ASMSTART
	v_cvt_f32_f16 v82, v0;
	;;#ASMEND
	flat_load_b64 v[11:12], v[9:10] offset:1536
	flat_load_b32 v83, v[26:27]
	s_mov_b32 s10, exec_lo
	s_waitcnt vmcnt(1) lgkmcnt(1)
	v_dual_mov_b32 v85, 0 :: v_dual_and_b32 v0, 0xff, v11
	s_delay_alu instid0(VALU_DEP_1)
	v_cmpx_ne_u16_e32 0, v0
	s_cbranch_execz .LBB309_951
; %bb.944:                              ;   in Loop: Header=BB309_547 Depth=1
	v_bfrev_b32_e32 v84, 1
	s_mov_b32 s12, exec_lo
	v_cmpx_ne_u16_e32 0x80, v0
	s_cbranch_execz .LBB309_950
; %bb.945:                              ;   in Loop: Header=BB309_547 Depth=1
	v_and_b32_e32 v13, 0x7f, v11
	v_mov_b32_e32 v84, 0x7fc02000
	s_mov_b32 s13, exec_lo
	s_delay_alu instid0(VALU_DEP_2)
	v_cmpx_ne_u32_e32 0x7f, v13
	s_cbranch_execz .LBB309_949
; %bb.946:                              ;   in Loop: Header=BB309_547 Depth=1
	v_lshrrev_b32_e32 v0, 3, v13
	v_cmp_gt_u32_e64 s0, 8, v13
	v_dual_mov_b32 v14, v12 :: v_dual_mov_b32 v13, v11
	s_delay_alu instid0(VALU_DEP_2)
	s_and_saveexec_b32 s15, s0
; %bb.947:                              ;   in Loop: Header=BB309_547 Depth=1
	v_and_b32_e32 v0, 7, v11
	s_delay_alu instid0(VALU_DEP_1) | instskip(NEXT) | instid1(VALU_DEP_1)
	v_clz_i32_u32_e32 v0, v0
	v_min_u32_e32 v0, 32, v0
	s_delay_alu instid0(VALU_DEP_1) | instskip(SKIP_1) | instid1(VALU_DEP_2)
	v_subrev_nc_u32_e32 v13, 28, v0
	v_sub_nc_u32_e32 v0, 29, v0
	v_lshlrev_b64 v[13:14], v13, v[11:12]
; %bb.948:                              ;   in Loop: Header=BB309_547 Depth=1
	s_or_b32 exec_lo, exec_lo, s15
	v_lshlrev_b32_e32 v14, 8, v11
	s_delay_alu instid0(VALU_DEP_3) | instskip(NEXT) | instid1(VALU_DEP_3)
	v_lshl_add_u32 v0, v0, 10, 0x2000
	v_lshlrev_b32_e32 v13, 7, v13
	s_delay_alu instid0(VALU_DEP_2) | instskip(NEXT) | instid1(VALU_DEP_1)
	v_and_or_b32 v0, 0x8000, v14, v0
	v_and_or_b32 v0, 0x380, v13, v0
	s_delay_alu instid0(VALU_DEP_1)
	v_cvt_f32_f16_e32 v84, v0
.LBB309_949:                            ;   in Loop: Header=BB309_547 Depth=1
	s_or_b32 exec_lo, exec_lo, s13
.LBB309_950:                            ;   in Loop: Header=BB309_547 Depth=1
	s_delay_alu instid0(SALU_CYCLE_1)
	s_or_b32 exec_lo, exec_lo, s12
.LBB309_951:                            ;   in Loop: Header=BB309_547 Depth=1
	s_delay_alu instid0(SALU_CYCLE_1) | instskip(SKIP_2) | instid1(VALU_DEP_1)
	s_or_b32 exec_lo, exec_lo, s10
	v_lshrrev_b16 v0, 8, v11
	s_mov_b32 s10, exec_lo
	v_cmpx_ne_u16_e32 0, v0
	s_cbranch_execz .LBB309_959
; %bb.952:                              ;   in Loop: Header=BB309_547 Depth=1
	v_bfrev_b32_e32 v85, 1
	s_mov_b32 s12, exec_lo
	v_cmpx_ne_u16_e32 0x80, v0
	s_cbranch_execz .LBB309_958
; %bb.953:                              ;   in Loop: Header=BB309_547 Depth=1
	v_and_b32_e32 v13, 0xffff, v0
	v_mov_b32_e32 v85, 0x7fc02000
	s_mov_b32 s13, exec_lo
	s_delay_alu instid0(VALU_DEP_2) | instskip(NEXT) | instid1(VALU_DEP_1)
	v_and_b32_e32 v86, 0x7f, v13
	v_cmpx_ne_u32_e32 0x7f, v86
	s_cbranch_execz .LBB309_957
; %bb.954:                              ;   in Loop: Header=BB309_547 Depth=1
	v_and_b32_e32 v0, 7, v13
	v_lshrrev_b32_e32 v14, 3, v86
	s_mov_b32 s15, exec_lo
	v_cmpx_gt_u32_e32 8, v86
; %bb.955:                              ;   in Loop: Header=BB309_547 Depth=1
	s_delay_alu instid0(VALU_DEP_3) | instskip(NEXT) | instid1(VALU_DEP_1)
	v_clz_i32_u32_e32 v14, v0
	v_min_u32_e32 v14, 32, v14
	s_delay_alu instid0(VALU_DEP_1) | instskip(SKIP_1) | instid1(VALU_DEP_2)
	v_subrev_nc_u32_e32 v85, 28, v14
	v_sub_nc_u32_e32 v14, 29, v14
	v_lshlrev_b64 v[85:86], v85, v[0:1]
	s_delay_alu instid0(VALU_DEP_1)
	v_and_b32_e32 v0, 7, v85
; %bb.956:                              ;   in Loop: Header=BB309_547 Depth=1
	s_or_b32 exec_lo, exec_lo, s15
	v_lshlrev_b32_e32 v13, 8, v13
	v_lshl_add_u32 v14, v14, 10, 0x2000
	s_delay_alu instid0(VALU_DEP_1) | instskip(NEXT) | instid1(VALU_DEP_1)
	v_and_or_b32 v13, 0x8000, v13, v14
	v_lshl_or_b32 v0, v0, 7, v13
	s_delay_alu instid0(VALU_DEP_1)
	v_cvt_f32_f16_e32 v85, v0
.LBB309_957:                            ;   in Loop: Header=BB309_547 Depth=1
	s_or_b32 exec_lo, exec_lo, s13
.LBB309_958:                            ;   in Loop: Header=BB309_547 Depth=1
	s_delay_alu instid0(SALU_CYCLE_1)
	s_or_b32 exec_lo, exec_lo, s12
.LBB309_959:                            ;   in Loop: Header=BB309_547 Depth=1
	s_delay_alu instid0(SALU_CYCLE_1) | instskip(SKIP_3) | instid1(VALU_DEP_2)
	s_or_b32 exec_lo, exec_lo, s10
	v_lshrrev_b32_e32 v13, 16, v11
	v_mov_b32_e32 v86, 0
	s_mov_b32 s10, exec_lo
	v_dual_mov_b32 v87, 0 :: v_dual_and_b32 v0, 0xff, v13
	s_delay_alu instid0(VALU_DEP_1)
	v_cmpx_ne_u16_e32 0, v0
	s_cbranch_execz .LBB309_967
; %bb.960:                              ;   in Loop: Header=BB309_547 Depth=1
	v_bfrev_b32_e32 v86, 1
	s_mov_b32 s12, exec_lo
	v_cmpx_ne_u16_e32 0x80, v0
	s_cbranch_execz .LBB309_966
; %bb.961:                              ;   in Loop: Header=BB309_547 Depth=1
	v_bfe_u32 v96, v11, 16, 7
	v_mov_b32_e32 v86, 0x7fc02000
	s_mov_b32 s13, exec_lo
	s_delay_alu instid0(VALU_DEP_2)
	v_cmpx_ne_u32_e32 0x7f, v96
	s_cbranch_execz .LBB309_965
; %bb.962:                              ;   in Loop: Header=BB309_547 Depth=1
	v_and_b32_e32 v0, 7, v13
	v_lshrrev_b32_e32 v14, 3, v96
	s_mov_b32 s15, exec_lo
	v_cmpx_gt_u32_e32 8, v96
; %bb.963:                              ;   in Loop: Header=BB309_547 Depth=1
	s_delay_alu instid0(VALU_DEP_3) | instskip(NEXT) | instid1(VALU_DEP_1)
	v_clz_i32_u32_e32 v14, v0
	v_min_u32_e32 v14, 32, v14
	s_delay_alu instid0(VALU_DEP_1) | instskip(SKIP_1) | instid1(VALU_DEP_2)
	v_subrev_nc_u32_e32 v86, 28, v14
	v_sub_nc_u32_e32 v14, 29, v14
	v_lshlrev_b64 v[96:97], v86, v[0:1]
	s_delay_alu instid0(VALU_DEP_1)
	v_and_b32_e32 v0, 7, v96
; %bb.964:                              ;   in Loop: Header=BB309_547 Depth=1
	s_or_b32 exec_lo, exec_lo, s15
	v_lshlrev_b32_e32 v13, 8, v13
	v_lshl_add_u32 v14, v14, 10, 0x2000
	s_delay_alu instid0(VALU_DEP_1) | instskip(NEXT) | instid1(VALU_DEP_1)
	v_and_or_b32 v13, 0x8000, v13, v14
	v_lshl_or_b32 v0, v0, 7, v13
	s_delay_alu instid0(VALU_DEP_1)
	v_cvt_f32_f16_e32 v86, v0
.LBB309_965:                            ;   in Loop: Header=BB309_547 Depth=1
	s_or_b32 exec_lo, exec_lo, s13
.LBB309_966:                            ;   in Loop: Header=BB309_547 Depth=1
	s_delay_alu instid0(SALU_CYCLE_1)
	s_or_b32 exec_lo, exec_lo, s12
.LBB309_967:                            ;   in Loop: Header=BB309_547 Depth=1
	s_delay_alu instid0(SALU_CYCLE_1) | instskip(NEXT) | instid1(SALU_CYCLE_1)
	s_or_b32 exec_lo, exec_lo, s10
	s_mov_b32 s10, exec_lo
	v_cmpx_lt_u32_e32 0xffffff, v11
	s_cbranch_execz .LBB309_975
; %bb.968:                              ;   in Loop: Header=BB309_547 Depth=1
	v_lshrrev_b32_e32 v13, 24, v11
	v_bfrev_b32_e32 v87, 1
	s_mov_b32 s12, exec_lo
	s_delay_alu instid0(VALU_DEP_2)
	v_cmpx_ne_u32_e32 0x80, v13
	s_cbranch_execz .LBB309_974
; %bb.969:                              ;   in Loop: Header=BB309_547 Depth=1
	v_and_b32_e32 v96, 0x7f, v13
	v_mov_b32_e32 v87, 0x7fc02000
	s_mov_b32 s13, exec_lo
	s_delay_alu instid0(VALU_DEP_2)
	v_cmpx_ne_u32_e32 0x7f, v96
	s_cbranch_execz .LBB309_973
; %bb.970:                              ;   in Loop: Header=BB309_547 Depth=1
	v_and_b32_e32 v0, 7, v13
	v_lshrrev_b32_e32 v14, 3, v96
	s_mov_b32 s15, exec_lo
	v_cmpx_gt_u32_e32 8, v96
; %bb.971:                              ;   in Loop: Header=BB309_547 Depth=1
	s_delay_alu instid0(VALU_DEP_3) | instskip(NEXT) | instid1(VALU_DEP_1)
	v_clz_i32_u32_e32 v14, v0
	v_min_u32_e32 v14, 32, v14
	s_delay_alu instid0(VALU_DEP_1) | instskip(SKIP_1) | instid1(VALU_DEP_2)
	v_subrev_nc_u32_e32 v87, 28, v14
	v_sub_nc_u32_e32 v14, 29, v14
	v_lshlrev_b64 v[96:97], v87, v[0:1]
	s_delay_alu instid0(VALU_DEP_1)
	v_and_b32_e32 v0, 7, v96
; %bb.972:                              ;   in Loop: Header=BB309_547 Depth=1
	s_or_b32 exec_lo, exec_lo, s15
	v_lshlrev_b32_e32 v13, 8, v13
	v_lshl_add_u32 v14, v14, 10, 0x2000
	s_delay_alu instid0(VALU_DEP_1) | instskip(NEXT) | instid1(VALU_DEP_1)
	v_and_or_b32 v13, 0x8000, v13, v14
	v_lshl_or_b32 v0, v0, 7, v13
	s_delay_alu instid0(VALU_DEP_1)
	v_cvt_f32_f16_e32 v87, v0
.LBB309_973:                            ;   in Loop: Header=BB309_547 Depth=1
	s_or_b32 exec_lo, exec_lo, s13
.LBB309_974:                            ;   in Loop: Header=BB309_547 Depth=1
	s_delay_alu instid0(SALU_CYCLE_1)
	s_or_b32 exec_lo, exec_lo, s12
.LBB309_975:                            ;   in Loop: Header=BB309_547 Depth=1
	s_delay_alu instid0(SALU_CYCLE_1) | instskip(SKIP_4) | instid1(VALU_DEP_3)
	s_or_b32 exec_lo, exec_lo, s10
	v_dual_mov_b32 v13, 0 :: v_dual_and_b32 v14, 0xff, v12
	v_mov_b32_e32 v0, v12
	v_mov_b32_e32 v96, 0
	s_mov_b32 s10, exec_lo
	v_cmpx_ne_u16_e32 0, v14
	s_cbranch_execz .LBB309_983
; %bb.976:                              ;   in Loop: Header=BB309_547 Depth=1
	v_bfrev_b32_e32 v13, 1
	s_mov_b32 s12, exec_lo
	v_cmpx_ne_u16_e32 0x80, v14
	s_cbranch_execz .LBB309_982
; %bb.977:                              ;   in Loop: Header=BB309_547 Depth=1
	v_and_b32_e32 v14, 0x7f, v12
	v_mov_b32_e32 v13, 0x7fc02000
	s_mov_b32 s13, exec_lo
	s_delay_alu instid0(VALU_DEP_2)
	v_cmpx_ne_u32_e32 0x7f, v14
	s_cbranch_execz .LBB309_981
; %bb.978:                              ;   in Loop: Header=BB309_547 Depth=1
	v_lshrrev_b32_e32 v97, 3, v14
	v_cmp_gt_u32_e64 s0, 8, v14
	v_dual_mov_b32 v14, v1 :: v_dual_mov_b32 v13, v0
	s_delay_alu instid0(VALU_DEP_2)
	s_and_saveexec_b32 s15, s0
; %bb.979:                              ;   in Loop: Header=BB309_547 Depth=1
	v_and_b32_e32 v13, 7, v12
	s_delay_alu instid0(VALU_DEP_1) | instskip(NEXT) | instid1(VALU_DEP_1)
	v_clz_i32_u32_e32 v13, v13
	v_min_u32_e32 v97, 32, v13
	s_delay_alu instid0(VALU_DEP_1) | instskip(SKIP_1) | instid1(VALU_DEP_2)
	v_subrev_nc_u32_e32 v13, 28, v97
	v_sub_nc_u32_e32 v97, 29, v97
	v_lshlrev_b64 v[13:14], v13, v[0:1]
; %bb.980:                              ;   in Loop: Header=BB309_547 Depth=1
	s_or_b32 exec_lo, exec_lo, s15
	v_lshlrev_b32_e32 v14, 8, v12
	s_delay_alu instid0(VALU_DEP_3) | instskip(NEXT) | instid1(VALU_DEP_3)
	v_lshl_add_u32 v97, v97, 10, 0x2000
	v_lshlrev_b32_e32 v13, 7, v13
	s_delay_alu instid0(VALU_DEP_2) | instskip(NEXT) | instid1(VALU_DEP_1)
	v_and_or_b32 v14, 0x8000, v14, v97
	v_and_or_b32 v13, 0x380, v13, v14
	s_delay_alu instid0(VALU_DEP_1)
	v_cvt_f32_f16_e32 v13, v13
.LBB309_981:                            ;   in Loop: Header=BB309_547 Depth=1
	s_or_b32 exec_lo, exec_lo, s13
.LBB309_982:                            ;   in Loop: Header=BB309_547 Depth=1
	s_delay_alu instid0(SALU_CYCLE_1)
	s_or_b32 exec_lo, exec_lo, s12
.LBB309_983:                            ;   in Loop: Header=BB309_547 Depth=1
	s_delay_alu instid0(SALU_CYCLE_1) | instskip(SKIP_2) | instid1(VALU_DEP_1)
	s_or_b32 exec_lo, exec_lo, s10
	v_lshrrev_b16 v0, 8, v0
	s_mov_b32 s10, exec_lo
	v_cmpx_ne_u16_e32 0, v0
	s_cbranch_execz .LBB309_991
; %bb.984:                              ;   in Loop: Header=BB309_547 Depth=1
	v_bfrev_b32_e32 v96, 1
	s_mov_b32 s12, exec_lo
	v_cmpx_ne_u16_e32 0x80, v0
	s_cbranch_execz .LBB309_990
; %bb.985:                              ;   in Loop: Header=BB309_547 Depth=1
	v_and_b32_e32 v14, 0xffff, v0
	v_mov_b32_e32 v96, 0x7fc02000
	s_mov_b32 s13, exec_lo
	s_delay_alu instid0(VALU_DEP_2) | instskip(NEXT) | instid1(VALU_DEP_1)
	v_and_b32_e32 v97, 0x7f, v14
	v_cmpx_ne_u32_e32 0x7f, v97
	s_cbranch_execz .LBB309_989
; %bb.986:                              ;   in Loop: Header=BB309_547 Depth=1
	v_and_b32_e32 v0, 7, v14
	v_lshrrev_b32_e32 v96, 3, v97
	s_mov_b32 s15, exec_lo
	v_cmpx_gt_u32_e32 8, v97
; %bb.987:                              ;   in Loop: Header=BB309_547 Depth=1
	s_delay_alu instid0(VALU_DEP_3) | instskip(NEXT) | instid1(VALU_DEP_1)
	v_clz_i32_u32_e32 v96, v0
	v_min_u32_e32 v96, 32, v96
	s_delay_alu instid0(VALU_DEP_1) | instskip(SKIP_1) | instid1(VALU_DEP_2)
	v_subrev_nc_u32_e32 v97, 28, v96
	v_sub_nc_u32_e32 v96, 29, v96
	v_lshlrev_b64 v[97:98], v97, v[0:1]
	s_delay_alu instid0(VALU_DEP_1)
	v_and_b32_e32 v0, 7, v97
; %bb.988:                              ;   in Loop: Header=BB309_547 Depth=1
	s_or_b32 exec_lo, exec_lo, s15
	v_lshlrev_b32_e32 v14, 8, v14
	v_lshl_add_u32 v96, v96, 10, 0x2000
	s_delay_alu instid0(VALU_DEP_1) | instskip(NEXT) | instid1(VALU_DEP_1)
	v_and_or_b32 v14, 0x8000, v14, v96
	v_lshl_or_b32 v0, v0, 7, v14
	s_delay_alu instid0(VALU_DEP_1)
	v_cvt_f32_f16_e32 v96, v0
.LBB309_989:                            ;   in Loop: Header=BB309_547 Depth=1
	s_or_b32 exec_lo, exec_lo, s13
.LBB309_990:                            ;   in Loop: Header=BB309_547 Depth=1
	s_delay_alu instid0(SALU_CYCLE_1)
	s_or_b32 exec_lo, exec_lo, s12
.LBB309_991:                            ;   in Loop: Header=BB309_547 Depth=1
	s_delay_alu instid0(SALU_CYCLE_1) | instskip(SKIP_3) | instid1(VALU_DEP_2)
	s_or_b32 exec_lo, exec_lo, s10
	v_lshrrev_b32_e32 v98, 16, v12
	v_mov_b32_e32 v14, 0
	s_mov_b32 s10, exec_lo
	v_dual_mov_b32 v97, 0 :: v_dual_and_b32 v0, 0xff, v98
	s_delay_alu instid0(VALU_DEP_1)
	v_cmpx_ne_u16_e32 0, v0
	s_cbranch_execz .LBB309_999
; %bb.992:                              ;   in Loop: Header=BB309_547 Depth=1
	v_bfrev_b32_e32 v14, 1
	s_mov_b32 s12, exec_lo
	v_cmpx_ne_u16_e32 0x80, v0
	s_cbranch_execz .LBB309_998
; %bb.993:                              ;   in Loop: Header=BB309_547 Depth=1
	v_bfe_u32 v99, v12, 16, 7
	v_mov_b32_e32 v14, 0x7fc02000
	s_mov_b32 s13, exec_lo
	s_delay_alu instid0(VALU_DEP_2)
	v_cmpx_ne_u32_e32 0x7f, v99
	s_cbranch_execz .LBB309_997
; %bb.994:                              ;   in Loop: Header=BB309_547 Depth=1
	v_and_b32_e32 v0, 7, v98
	v_lshrrev_b32_e32 v14, 3, v99
	s_mov_b32 s15, exec_lo
	v_cmpx_gt_u32_e32 8, v99
; %bb.995:                              ;   in Loop: Header=BB309_547 Depth=1
	s_delay_alu instid0(VALU_DEP_3) | instskip(NEXT) | instid1(VALU_DEP_1)
	v_clz_i32_u32_e32 v14, v0
	v_min_u32_e32 v14, 32, v14
	s_delay_alu instid0(VALU_DEP_1) | instskip(SKIP_1) | instid1(VALU_DEP_2)
	v_subrev_nc_u32_e32 v99, 28, v14
	v_sub_nc_u32_e32 v14, 29, v14
	v_lshlrev_b64 v[99:100], v99, v[0:1]
	s_delay_alu instid0(VALU_DEP_1)
	v_and_b32_e32 v0, 7, v99
; %bb.996:                              ;   in Loop: Header=BB309_547 Depth=1
	s_or_b32 exec_lo, exec_lo, s15
	v_lshlrev_b32_e32 v98, 8, v98
	v_lshl_add_u32 v14, v14, 10, 0x2000
	s_delay_alu instid0(VALU_DEP_1) | instskip(NEXT) | instid1(VALU_DEP_1)
	v_and_or_b32 v14, 0x8000, v98, v14
	v_lshl_or_b32 v0, v0, 7, v14
	s_delay_alu instid0(VALU_DEP_1)
	v_cvt_f32_f16_e32 v14, v0
.LBB309_997:                            ;   in Loop: Header=BB309_547 Depth=1
	s_or_b32 exec_lo, exec_lo, s13
.LBB309_998:                            ;   in Loop: Header=BB309_547 Depth=1
	s_delay_alu instid0(SALU_CYCLE_1)
	s_or_b32 exec_lo, exec_lo, s12
.LBB309_999:                            ;   in Loop: Header=BB309_547 Depth=1
	s_delay_alu instid0(SALU_CYCLE_1) | instskip(NEXT) | instid1(SALU_CYCLE_1)
	s_or_b32 exec_lo, exec_lo, s10
	s_mov_b32 s10, exec_lo
	v_cmpx_lt_u64_e64 s[8:9], v[11:12]
	s_cbranch_execz .LBB309_1007
; %bb.1000:                             ;   in Loop: Header=BB309_547 Depth=1
	v_lshrrev_b32_e32 v11, 24, v12
	v_bfrev_b32_e32 v97, 1
	s_mov_b32 s12, exec_lo
	s_delay_alu instid0(VALU_DEP_2)
	v_cmpx_ne_u32_e32 0x80, v11
	s_cbranch_execz .LBB309_1006
; %bb.1001:                             ;   in Loop: Header=BB309_547 Depth=1
	v_and_b32_e32 v98, 0x7f, v11
	v_mov_b32_e32 v97, 0x7fc02000
	s_mov_b32 s13, exec_lo
	s_delay_alu instid0(VALU_DEP_2)
	v_cmpx_ne_u32_e32 0x7f, v98
	s_cbranch_execz .LBB309_1005
; %bb.1002:                             ;   in Loop: Header=BB309_547 Depth=1
	v_and_b32_e32 v0, 7, v11
	v_lshrrev_b32_e32 v12, 3, v98
	s_mov_b32 s15, exec_lo
	v_cmpx_gt_u32_e32 8, v98
; %bb.1003:                             ;   in Loop: Header=BB309_547 Depth=1
	s_delay_alu instid0(VALU_DEP_3) | instskip(NEXT) | instid1(VALU_DEP_1)
	v_clz_i32_u32_e32 v12, v0
	v_min_u32_e32 v12, 32, v12
	s_delay_alu instid0(VALU_DEP_1) | instskip(SKIP_1) | instid1(VALU_DEP_2)
	v_subrev_nc_u32_e32 v97, 28, v12
	v_sub_nc_u32_e32 v12, 29, v12
	v_lshlrev_b64 v[97:98], v97, v[0:1]
	s_delay_alu instid0(VALU_DEP_1)
	v_and_b32_e32 v0, 7, v97
; %bb.1004:                             ;   in Loop: Header=BB309_547 Depth=1
	s_or_b32 exec_lo, exec_lo, s15
	v_lshlrev_b32_e32 v11, 8, v11
	v_lshl_add_u32 v12, v12, 10, 0x2000
	s_delay_alu instid0(VALU_DEP_1) | instskip(NEXT) | instid1(VALU_DEP_1)
	v_and_or_b32 v11, 0x8000, v11, v12
	v_lshl_or_b32 v0, v0, 7, v11
	s_delay_alu instid0(VALU_DEP_1)
	v_cvt_f32_f16_e32 v97, v0
.LBB309_1005:                           ;   in Loop: Header=BB309_547 Depth=1
	s_or_b32 exec_lo, exec_lo, s13
.LBB309_1006:                           ;   in Loop: Header=BB309_547 Depth=1
	s_delay_alu instid0(SALU_CYCLE_1)
	s_or_b32 exec_lo, exec_lo, s12
.LBB309_1007:                           ;   in Loop: Header=BB309_547 Depth=1
	s_delay_alu instid0(SALU_CYCLE_1)
	s_or_b32 exec_lo, exec_lo, s10
	s_waitcnt vmcnt(0) lgkmcnt(0)
	v_fma_mixlo_f16 v12, v83, v85, 0
	v_fma_mixlo_f16 v0, v83, v87, 0
	;; [unrolled: 1-line block ×5, first 2 shown]
	v_lshlrev_b32_e32 v85, 16, v12
	v_fma_mixlo_f16 v13, v83, v13, 0
	v_fma_mixlo_f16 v87, v83, v97, 0
	;; [unrolled: 1-line block ×3, first 2 shown]
	v_lshlrev_b32_e32 v0, 16, v0
	v_and_b32_e32 v11, 0xffff, v11
	v_and_b32_e32 v14, 0xffff, v84
	v_lshlrev_b32_e32 v83, 16, v86
	v_and_b32_e32 v84, 0xffff, v13
	v_lshlrev_b32_e32 v86, 16, v87
	v_and_b32_e32 v87, 0xffff, v12
	v_or_b32_e32 v13, v0, v11
	v_or_b32_e32 v14, v85, v14
	;; [unrolled: 1-line block ×3, first 2 shown]
	s_delay_alu instid0(VALU_DEP_4)
	v_or_b32_e32 v11, v86, v87
	s_and_saveexec_b32 s10, vcc_lo
	s_cbranch_execz .LBB309_1009
; %bb.1008:                             ;   in Loop: Header=BB309_547 Depth=1
	v_cmp_lt_i32_e64 s0, v15, v32
	v_lshrrev_b32_e32 v83, 16, v14
	v_lshrrev_b32_e32 v84, 16, v13
	;; [unrolled: 1-line block ×4, first 2 shown]
	v_cndmask_b32_e64 v14, 0, v14, s0
	v_cmp_lt_i32_e64 s0, v50, v35
	s_delay_alu instid0(VALU_DEP_1) | instskip(SKIP_1) | instid1(VALU_DEP_2)
	v_cndmask_b32_e64 v83, 0, v83, s0
	v_cmp_lt_i32_e64 s0, v49, v35
	v_perm_b32 v14, v83, v14, 0x5040100
	s_delay_alu instid0(VALU_DEP_2) | instskip(SKIP_1) | instid1(VALU_DEP_1)
	v_cndmask_b32_e64 v84, 0, v84, s0
	v_cmp_lt_i32_e64 s0, v48, v32
	v_cndmask_b32_e64 v13, 0, v13, s0
	v_cmp_lt_i32_e64 s0, v39, v35
	s_delay_alu instid0(VALU_DEP_2) | instskip(NEXT) | instid1(VALU_DEP_2)
	v_perm_b32 v13, v84, v13, 0x5040100
	v_cndmask_b32_e64 v85, 0, v85, s0
	v_cmp_lt_i32_e64 s0, v38, v32
	s_delay_alu instid0(VALU_DEP_1) | instskip(SKIP_1) | instid1(VALU_DEP_2)
	v_cndmask_b32_e64 v0, 0, v0, s0
	v_cmp_lt_i32_e64 s0, v37, v35
	v_perm_b32 v0, v85, v0, 0x5040100
	s_delay_alu instid0(VALU_DEP_2) | instskip(SKIP_1) | instid1(VALU_DEP_1)
	v_cndmask_b32_e64 v11, 0, v11, s0
	v_cmp_lt_i32_e64 s0, v17, v32
	v_cndmask_b32_e64 v12, 0, v12, s0
	s_delay_alu instid0(VALU_DEP_1)
	v_perm_b32 v11, v11, v12, 0x5040100
.LBB309_1009:                           ;   in Loop: Header=BB309_547 Depth=1
	s_or_b32 exec_lo, exec_lo, s10
	;;#ASMSTART
	v_pk_mul_f16 v12, v54, v14;

	;;#ASMEND
	;;#ASMSTART
	v_pk_mul_f16 v13, v53, v13;

	;;#ASMEND
	;; [unrolled: 4-line block ×4, first 2 shown]
	;;#ASMSTART
	v_pk_add_f16 v12, v12, v13;

	;;#ASMEND
	;;#ASMSTART
	v_pk_add_f16 v0, v12, v0;

	;;#ASMEND
	;; [unrolled: 4-line block ×3, first 2 shown]
	v_dual_mov_b32 v84, 0 :: v_dual_and_b32 v11, 0xffff, v0
	v_lshrrev_b32_e32 v0, 16, v0
	;;#ASMSTART
	v_cvt_f32_f16 v13, v11;
	;;#ASMEND
	;;#ASMSTART
	v_cvt_f32_f16 v14, v0;
	;;#ASMEND
	flat_load_b64 v[9:10], v[9:10] offset:1792
	flat_load_b32 v83, v[26:27]
	s_mov_b32 s10, exec_lo
	s_waitcnt vmcnt(1) lgkmcnt(1)
	v_dual_mov_b32 v85, 0 :: v_dual_and_b32 v0, 0xff, v9
	s_delay_alu instid0(VALU_DEP_1)
	v_cmpx_ne_u16_e32 0, v0
	s_cbranch_execz .LBB309_1017
; %bb.1010:                             ;   in Loop: Header=BB309_547 Depth=1
	v_bfrev_b32_e32 v84, 1
	s_mov_b32 s12, exec_lo
	v_cmpx_ne_u16_e32 0x80, v0
	s_cbranch_execz .LBB309_1016
; %bb.1011:                             ;   in Loop: Header=BB309_547 Depth=1
	v_and_b32_e32 v11, 0x7f, v9
	v_mov_b32_e32 v84, 0x7fc02000
	s_mov_b32 s13, exec_lo
	s_delay_alu instid0(VALU_DEP_2)
	v_cmpx_ne_u32_e32 0x7f, v11
	s_cbranch_execz .LBB309_1015
; %bb.1012:                             ;   in Loop: Header=BB309_547 Depth=1
	v_lshrrev_b32_e32 v0, 3, v11
	v_cmp_gt_u32_e64 s0, 8, v11
	v_dual_mov_b32 v12, v10 :: v_dual_mov_b32 v11, v9
	s_delay_alu instid0(VALU_DEP_2)
	s_and_saveexec_b32 s15, s0
; %bb.1013:                             ;   in Loop: Header=BB309_547 Depth=1
	v_and_b32_e32 v0, 7, v9
	s_delay_alu instid0(VALU_DEP_1) | instskip(NEXT) | instid1(VALU_DEP_1)
	v_clz_i32_u32_e32 v0, v0
	v_min_u32_e32 v0, 32, v0
	s_delay_alu instid0(VALU_DEP_1) | instskip(SKIP_1) | instid1(VALU_DEP_2)
	v_subrev_nc_u32_e32 v11, 28, v0
	v_sub_nc_u32_e32 v0, 29, v0
	v_lshlrev_b64 v[11:12], v11, v[9:10]
; %bb.1014:                             ;   in Loop: Header=BB309_547 Depth=1
	s_or_b32 exec_lo, exec_lo, s15
	v_lshlrev_b32_e32 v12, 8, v9
	s_delay_alu instid0(VALU_DEP_3) | instskip(NEXT) | instid1(VALU_DEP_3)
	v_lshl_add_u32 v0, v0, 10, 0x2000
	v_lshlrev_b32_e32 v11, 7, v11
	s_delay_alu instid0(VALU_DEP_2) | instskip(NEXT) | instid1(VALU_DEP_1)
	v_and_or_b32 v0, 0x8000, v12, v0
	v_and_or_b32 v0, 0x380, v11, v0
	s_delay_alu instid0(VALU_DEP_1)
	v_cvt_f32_f16_e32 v84, v0
.LBB309_1015:                           ;   in Loop: Header=BB309_547 Depth=1
	s_or_b32 exec_lo, exec_lo, s13
.LBB309_1016:                           ;   in Loop: Header=BB309_547 Depth=1
	s_delay_alu instid0(SALU_CYCLE_1)
	s_or_b32 exec_lo, exec_lo, s12
.LBB309_1017:                           ;   in Loop: Header=BB309_547 Depth=1
	s_delay_alu instid0(SALU_CYCLE_1) | instskip(SKIP_2) | instid1(VALU_DEP_1)
	s_or_b32 exec_lo, exec_lo, s10
	v_lshrrev_b16 v0, 8, v9
	s_mov_b32 s10, exec_lo
	v_cmpx_ne_u16_e32 0, v0
	s_cbranch_execz .LBB309_1025
; %bb.1018:                             ;   in Loop: Header=BB309_547 Depth=1
	v_bfrev_b32_e32 v85, 1
	s_mov_b32 s12, exec_lo
	v_cmpx_ne_u16_e32 0x80, v0
	s_cbranch_execz .LBB309_1024
; %bb.1019:                             ;   in Loop: Header=BB309_547 Depth=1
	v_and_b32_e32 v11, 0xffff, v0
	v_mov_b32_e32 v85, 0x7fc02000
	s_mov_b32 s13, exec_lo
	s_delay_alu instid0(VALU_DEP_2) | instskip(NEXT) | instid1(VALU_DEP_1)
	v_and_b32_e32 v86, 0x7f, v11
	v_cmpx_ne_u32_e32 0x7f, v86
	s_cbranch_execz .LBB309_1023
; %bb.1020:                             ;   in Loop: Header=BB309_547 Depth=1
	v_and_b32_e32 v0, 7, v11
	v_lshrrev_b32_e32 v12, 3, v86
	s_mov_b32 s15, exec_lo
	v_cmpx_gt_u32_e32 8, v86
; %bb.1021:                             ;   in Loop: Header=BB309_547 Depth=1
	s_delay_alu instid0(VALU_DEP_3) | instskip(NEXT) | instid1(VALU_DEP_1)
	v_clz_i32_u32_e32 v12, v0
	v_min_u32_e32 v12, 32, v12
	s_delay_alu instid0(VALU_DEP_1) | instskip(SKIP_1) | instid1(VALU_DEP_2)
	v_subrev_nc_u32_e32 v85, 28, v12
	v_sub_nc_u32_e32 v12, 29, v12
	v_lshlrev_b64 v[85:86], v85, v[0:1]
	s_delay_alu instid0(VALU_DEP_1)
	v_and_b32_e32 v0, 7, v85
; %bb.1022:                             ;   in Loop: Header=BB309_547 Depth=1
	s_or_b32 exec_lo, exec_lo, s15
	v_lshlrev_b32_e32 v11, 8, v11
	v_lshl_add_u32 v12, v12, 10, 0x2000
	s_delay_alu instid0(VALU_DEP_1) | instskip(NEXT) | instid1(VALU_DEP_1)
	v_and_or_b32 v11, 0x8000, v11, v12
	v_lshl_or_b32 v0, v0, 7, v11
	s_delay_alu instid0(VALU_DEP_1)
	v_cvt_f32_f16_e32 v85, v0
.LBB309_1023:                           ;   in Loop: Header=BB309_547 Depth=1
	s_or_b32 exec_lo, exec_lo, s13
.LBB309_1024:                           ;   in Loop: Header=BB309_547 Depth=1
	s_delay_alu instid0(SALU_CYCLE_1)
	s_or_b32 exec_lo, exec_lo, s12
.LBB309_1025:                           ;   in Loop: Header=BB309_547 Depth=1
	s_delay_alu instid0(SALU_CYCLE_1) | instskip(SKIP_3) | instid1(VALU_DEP_2)
	s_or_b32 exec_lo, exec_lo, s10
	v_lshrrev_b32_e32 v11, 16, v9
	v_mov_b32_e32 v86, 0
	s_mov_b32 s10, exec_lo
	v_dual_mov_b32 v87, 0 :: v_dual_and_b32 v0, 0xff, v11
	s_delay_alu instid0(VALU_DEP_1)
	v_cmpx_ne_u16_e32 0, v0
	s_cbranch_execz .LBB309_1033
; %bb.1026:                             ;   in Loop: Header=BB309_547 Depth=1
	v_bfrev_b32_e32 v86, 1
	s_mov_b32 s12, exec_lo
	v_cmpx_ne_u16_e32 0x80, v0
	s_cbranch_execz .LBB309_1032
; %bb.1027:                             ;   in Loop: Header=BB309_547 Depth=1
	v_bfe_u32 v96, v9, 16, 7
	v_mov_b32_e32 v86, 0x7fc02000
	s_mov_b32 s13, exec_lo
	s_delay_alu instid0(VALU_DEP_2)
	v_cmpx_ne_u32_e32 0x7f, v96
	s_cbranch_execz .LBB309_1031
; %bb.1028:                             ;   in Loop: Header=BB309_547 Depth=1
	v_and_b32_e32 v0, 7, v11
	v_lshrrev_b32_e32 v12, 3, v96
	s_mov_b32 s15, exec_lo
	v_cmpx_gt_u32_e32 8, v96
; %bb.1029:                             ;   in Loop: Header=BB309_547 Depth=1
	s_delay_alu instid0(VALU_DEP_3) | instskip(NEXT) | instid1(VALU_DEP_1)
	v_clz_i32_u32_e32 v12, v0
	v_min_u32_e32 v12, 32, v12
	s_delay_alu instid0(VALU_DEP_1) | instskip(SKIP_1) | instid1(VALU_DEP_2)
	v_subrev_nc_u32_e32 v86, 28, v12
	v_sub_nc_u32_e32 v12, 29, v12
	v_lshlrev_b64 v[96:97], v86, v[0:1]
	s_delay_alu instid0(VALU_DEP_1)
	v_and_b32_e32 v0, 7, v96
; %bb.1030:                             ;   in Loop: Header=BB309_547 Depth=1
	s_or_b32 exec_lo, exec_lo, s15
	v_lshlrev_b32_e32 v11, 8, v11
	v_lshl_add_u32 v12, v12, 10, 0x2000
	s_delay_alu instid0(VALU_DEP_1) | instskip(NEXT) | instid1(VALU_DEP_1)
	v_and_or_b32 v11, 0x8000, v11, v12
	v_lshl_or_b32 v0, v0, 7, v11
	s_delay_alu instid0(VALU_DEP_1)
	v_cvt_f32_f16_e32 v86, v0
.LBB309_1031:                           ;   in Loop: Header=BB309_547 Depth=1
	s_or_b32 exec_lo, exec_lo, s13
.LBB309_1032:                           ;   in Loop: Header=BB309_547 Depth=1
	s_delay_alu instid0(SALU_CYCLE_1)
	s_or_b32 exec_lo, exec_lo, s12
.LBB309_1033:                           ;   in Loop: Header=BB309_547 Depth=1
	s_delay_alu instid0(SALU_CYCLE_1) | instskip(NEXT) | instid1(SALU_CYCLE_1)
	s_or_b32 exec_lo, exec_lo, s10
	s_mov_b32 s10, exec_lo
	v_cmpx_lt_u32_e32 0xffffff, v9
	s_cbranch_execz .LBB309_1041
; %bb.1034:                             ;   in Loop: Header=BB309_547 Depth=1
	v_lshrrev_b32_e32 v11, 24, v9
	v_bfrev_b32_e32 v87, 1
	s_mov_b32 s12, exec_lo
	s_delay_alu instid0(VALU_DEP_2)
	v_cmpx_ne_u32_e32 0x80, v11
	s_cbranch_execz .LBB309_1040
; %bb.1035:                             ;   in Loop: Header=BB309_547 Depth=1
	v_and_b32_e32 v96, 0x7f, v11
	v_mov_b32_e32 v87, 0x7fc02000
	s_mov_b32 s13, exec_lo
	s_delay_alu instid0(VALU_DEP_2)
	v_cmpx_ne_u32_e32 0x7f, v96
	s_cbranch_execz .LBB309_1039
; %bb.1036:                             ;   in Loop: Header=BB309_547 Depth=1
	v_and_b32_e32 v0, 7, v11
	v_lshrrev_b32_e32 v12, 3, v96
	s_mov_b32 s15, exec_lo
	v_cmpx_gt_u32_e32 8, v96
; %bb.1037:                             ;   in Loop: Header=BB309_547 Depth=1
	s_delay_alu instid0(VALU_DEP_3) | instskip(NEXT) | instid1(VALU_DEP_1)
	v_clz_i32_u32_e32 v12, v0
	v_min_u32_e32 v12, 32, v12
	s_delay_alu instid0(VALU_DEP_1) | instskip(SKIP_1) | instid1(VALU_DEP_2)
	v_subrev_nc_u32_e32 v87, 28, v12
	v_sub_nc_u32_e32 v12, 29, v12
	v_lshlrev_b64 v[96:97], v87, v[0:1]
	s_delay_alu instid0(VALU_DEP_1)
	v_and_b32_e32 v0, 7, v96
; %bb.1038:                             ;   in Loop: Header=BB309_547 Depth=1
	s_or_b32 exec_lo, exec_lo, s15
	v_lshlrev_b32_e32 v11, 8, v11
	v_lshl_add_u32 v12, v12, 10, 0x2000
	s_delay_alu instid0(VALU_DEP_1) | instskip(NEXT) | instid1(VALU_DEP_1)
	v_and_or_b32 v11, 0x8000, v11, v12
	v_lshl_or_b32 v0, v0, 7, v11
	s_delay_alu instid0(VALU_DEP_1)
	v_cvt_f32_f16_e32 v87, v0
.LBB309_1039:                           ;   in Loop: Header=BB309_547 Depth=1
	s_or_b32 exec_lo, exec_lo, s13
.LBB309_1040:                           ;   in Loop: Header=BB309_547 Depth=1
	s_delay_alu instid0(SALU_CYCLE_1)
	s_or_b32 exec_lo, exec_lo, s12
.LBB309_1041:                           ;   in Loop: Header=BB309_547 Depth=1
	s_delay_alu instid0(SALU_CYCLE_1) | instskip(SKIP_4) | instid1(VALU_DEP_3)
	s_or_b32 exec_lo, exec_lo, s10
	v_dual_mov_b32 v11, 0 :: v_dual_and_b32 v12, 0xff, v10
	v_mov_b32_e32 v0, v10
	v_mov_b32_e32 v96, 0
	s_mov_b32 s10, exec_lo
	v_cmpx_ne_u16_e32 0, v12
	s_cbranch_execz .LBB309_1049
; %bb.1042:                             ;   in Loop: Header=BB309_547 Depth=1
	v_bfrev_b32_e32 v11, 1
	s_mov_b32 s12, exec_lo
	v_cmpx_ne_u16_e32 0x80, v12
	s_cbranch_execz .LBB309_1048
; %bb.1043:                             ;   in Loop: Header=BB309_547 Depth=1
	v_and_b32_e32 v12, 0x7f, v10
	v_mov_b32_e32 v11, 0x7fc02000
	s_mov_b32 s13, exec_lo
	s_delay_alu instid0(VALU_DEP_2)
	v_cmpx_ne_u32_e32 0x7f, v12
	s_cbranch_execz .LBB309_1047
; %bb.1044:                             ;   in Loop: Header=BB309_547 Depth=1
	v_lshrrev_b32_e32 v97, 3, v12
	v_cmp_gt_u32_e64 s0, 8, v12
	v_dual_mov_b32 v12, v1 :: v_dual_mov_b32 v11, v0
	s_delay_alu instid0(VALU_DEP_2)
	s_and_saveexec_b32 s15, s0
; %bb.1045:                             ;   in Loop: Header=BB309_547 Depth=1
	v_and_b32_e32 v11, 7, v10
	s_delay_alu instid0(VALU_DEP_1) | instskip(NEXT) | instid1(VALU_DEP_1)
	v_clz_i32_u32_e32 v11, v11
	v_min_u32_e32 v97, 32, v11
	s_delay_alu instid0(VALU_DEP_1) | instskip(SKIP_1) | instid1(VALU_DEP_2)
	v_subrev_nc_u32_e32 v11, 28, v97
	v_sub_nc_u32_e32 v97, 29, v97
	v_lshlrev_b64 v[11:12], v11, v[0:1]
; %bb.1046:                             ;   in Loop: Header=BB309_547 Depth=1
	s_or_b32 exec_lo, exec_lo, s15
	v_lshlrev_b32_e32 v12, 8, v10
	s_delay_alu instid0(VALU_DEP_3) | instskip(NEXT) | instid1(VALU_DEP_3)
	v_lshl_add_u32 v97, v97, 10, 0x2000
	v_lshlrev_b32_e32 v11, 7, v11
	s_delay_alu instid0(VALU_DEP_2) | instskip(NEXT) | instid1(VALU_DEP_1)
	v_and_or_b32 v12, 0x8000, v12, v97
	v_and_or_b32 v11, 0x380, v11, v12
	s_delay_alu instid0(VALU_DEP_1)
	v_cvt_f32_f16_e32 v11, v11
.LBB309_1047:                           ;   in Loop: Header=BB309_547 Depth=1
	s_or_b32 exec_lo, exec_lo, s13
.LBB309_1048:                           ;   in Loop: Header=BB309_547 Depth=1
	s_delay_alu instid0(SALU_CYCLE_1)
	s_or_b32 exec_lo, exec_lo, s12
.LBB309_1049:                           ;   in Loop: Header=BB309_547 Depth=1
	s_delay_alu instid0(SALU_CYCLE_1) | instskip(SKIP_2) | instid1(VALU_DEP_1)
	s_or_b32 exec_lo, exec_lo, s10
	v_lshrrev_b16 v0, 8, v0
	s_mov_b32 s10, exec_lo
	v_cmpx_ne_u16_e32 0, v0
	s_cbranch_execz .LBB309_1057
; %bb.1050:                             ;   in Loop: Header=BB309_547 Depth=1
	v_bfrev_b32_e32 v96, 1
	s_mov_b32 s12, exec_lo
	v_cmpx_ne_u16_e32 0x80, v0
	s_cbranch_execz .LBB309_1056
; %bb.1051:                             ;   in Loop: Header=BB309_547 Depth=1
	v_and_b32_e32 v12, 0xffff, v0
	v_mov_b32_e32 v96, 0x7fc02000
	s_mov_b32 s13, exec_lo
	s_delay_alu instid0(VALU_DEP_2) | instskip(NEXT) | instid1(VALU_DEP_1)
	v_and_b32_e32 v97, 0x7f, v12
	v_cmpx_ne_u32_e32 0x7f, v97
	s_cbranch_execz .LBB309_1055
; %bb.1052:                             ;   in Loop: Header=BB309_547 Depth=1
	v_and_b32_e32 v0, 7, v12
	v_lshrrev_b32_e32 v96, 3, v97
	s_mov_b32 s15, exec_lo
	v_cmpx_gt_u32_e32 8, v97
; %bb.1053:                             ;   in Loop: Header=BB309_547 Depth=1
	s_delay_alu instid0(VALU_DEP_3) | instskip(NEXT) | instid1(VALU_DEP_1)
	v_clz_i32_u32_e32 v96, v0
	v_min_u32_e32 v96, 32, v96
	s_delay_alu instid0(VALU_DEP_1) | instskip(SKIP_1) | instid1(VALU_DEP_2)
	v_subrev_nc_u32_e32 v97, 28, v96
	v_sub_nc_u32_e32 v96, 29, v96
	v_lshlrev_b64 v[97:98], v97, v[0:1]
	s_delay_alu instid0(VALU_DEP_1)
	v_and_b32_e32 v0, 7, v97
; %bb.1054:                             ;   in Loop: Header=BB309_547 Depth=1
	s_or_b32 exec_lo, exec_lo, s15
	v_lshlrev_b32_e32 v12, 8, v12
	v_lshl_add_u32 v96, v96, 10, 0x2000
	s_delay_alu instid0(VALU_DEP_1) | instskip(NEXT) | instid1(VALU_DEP_1)
	v_and_or_b32 v12, 0x8000, v12, v96
	v_lshl_or_b32 v0, v0, 7, v12
	s_delay_alu instid0(VALU_DEP_1)
	v_cvt_f32_f16_e32 v96, v0
.LBB309_1055:                           ;   in Loop: Header=BB309_547 Depth=1
	s_or_b32 exec_lo, exec_lo, s13
.LBB309_1056:                           ;   in Loop: Header=BB309_547 Depth=1
	s_delay_alu instid0(SALU_CYCLE_1)
	s_or_b32 exec_lo, exec_lo, s12
.LBB309_1057:                           ;   in Loop: Header=BB309_547 Depth=1
	s_delay_alu instid0(SALU_CYCLE_1) | instskip(SKIP_3) | instid1(VALU_DEP_2)
	s_or_b32 exec_lo, exec_lo, s10
	v_lshrrev_b32_e32 v98, 16, v10
	v_mov_b32_e32 v12, 0
	s_mov_b32 s10, exec_lo
	v_dual_mov_b32 v97, 0 :: v_dual_and_b32 v0, 0xff, v98
	s_delay_alu instid0(VALU_DEP_1)
	v_cmpx_ne_u16_e32 0, v0
	s_cbranch_execz .LBB309_1065
; %bb.1058:                             ;   in Loop: Header=BB309_547 Depth=1
	v_bfrev_b32_e32 v12, 1
	s_mov_b32 s12, exec_lo
	v_cmpx_ne_u16_e32 0x80, v0
	s_cbranch_execz .LBB309_1064
; %bb.1059:                             ;   in Loop: Header=BB309_547 Depth=1
	v_bfe_u32 v99, v10, 16, 7
	v_mov_b32_e32 v12, 0x7fc02000
	s_mov_b32 s13, exec_lo
	s_delay_alu instid0(VALU_DEP_2)
	v_cmpx_ne_u32_e32 0x7f, v99
	s_cbranch_execz .LBB309_1063
; %bb.1060:                             ;   in Loop: Header=BB309_547 Depth=1
	v_and_b32_e32 v0, 7, v98
	v_lshrrev_b32_e32 v12, 3, v99
	s_mov_b32 s15, exec_lo
	v_cmpx_gt_u32_e32 8, v99
; %bb.1061:                             ;   in Loop: Header=BB309_547 Depth=1
	s_delay_alu instid0(VALU_DEP_3) | instskip(NEXT) | instid1(VALU_DEP_1)
	v_clz_i32_u32_e32 v12, v0
	v_min_u32_e32 v12, 32, v12
	s_delay_alu instid0(VALU_DEP_1) | instskip(SKIP_1) | instid1(VALU_DEP_2)
	v_subrev_nc_u32_e32 v99, 28, v12
	v_sub_nc_u32_e32 v12, 29, v12
	v_lshlrev_b64 v[99:100], v99, v[0:1]
	s_delay_alu instid0(VALU_DEP_1)
	v_and_b32_e32 v0, 7, v99
; %bb.1062:                             ;   in Loop: Header=BB309_547 Depth=1
	s_or_b32 exec_lo, exec_lo, s15
	v_lshlrev_b32_e32 v98, 8, v98
	v_lshl_add_u32 v12, v12, 10, 0x2000
	s_delay_alu instid0(VALU_DEP_1) | instskip(NEXT) | instid1(VALU_DEP_1)
	v_and_or_b32 v12, 0x8000, v98, v12
	v_lshl_or_b32 v0, v0, 7, v12
	s_delay_alu instid0(VALU_DEP_1)
	v_cvt_f32_f16_e32 v12, v0
.LBB309_1063:                           ;   in Loop: Header=BB309_547 Depth=1
	s_or_b32 exec_lo, exec_lo, s13
.LBB309_1064:                           ;   in Loop: Header=BB309_547 Depth=1
	s_delay_alu instid0(SALU_CYCLE_1)
	s_or_b32 exec_lo, exec_lo, s12
.LBB309_1065:                           ;   in Loop: Header=BB309_547 Depth=1
	s_delay_alu instid0(SALU_CYCLE_1) | instskip(NEXT) | instid1(SALU_CYCLE_1)
	s_or_b32 exec_lo, exec_lo, s10
	s_mov_b32 s10, exec_lo
	v_cmpx_lt_u64_e64 s[8:9], v[9:10]
	s_cbranch_execz .LBB309_1073
; %bb.1066:                             ;   in Loop: Header=BB309_547 Depth=1
	v_lshrrev_b32_e32 v9, 24, v10
	v_bfrev_b32_e32 v97, 1
	s_mov_b32 s12, exec_lo
	s_delay_alu instid0(VALU_DEP_2)
	v_cmpx_ne_u32_e32 0x80, v9
	s_cbranch_execz .LBB309_1072
; %bb.1067:                             ;   in Loop: Header=BB309_547 Depth=1
	v_and_b32_e32 v98, 0x7f, v9
	v_mov_b32_e32 v97, 0x7fc02000
	s_mov_b32 s13, exec_lo
	s_delay_alu instid0(VALU_DEP_2)
	v_cmpx_ne_u32_e32 0x7f, v98
	s_cbranch_execz .LBB309_1071
; %bb.1068:                             ;   in Loop: Header=BB309_547 Depth=1
	v_and_b32_e32 v0, 7, v9
	v_lshrrev_b32_e32 v10, 3, v98
	s_mov_b32 s15, exec_lo
	v_cmpx_gt_u32_e32 8, v98
; %bb.1069:                             ;   in Loop: Header=BB309_547 Depth=1
	s_delay_alu instid0(VALU_DEP_3) | instskip(NEXT) | instid1(VALU_DEP_1)
	v_clz_i32_u32_e32 v10, v0
	v_min_u32_e32 v10, 32, v10
	s_delay_alu instid0(VALU_DEP_1) | instskip(SKIP_1) | instid1(VALU_DEP_2)
	v_subrev_nc_u32_e32 v97, 28, v10
	v_sub_nc_u32_e32 v10, 29, v10
	v_lshlrev_b64 v[97:98], v97, v[0:1]
	s_delay_alu instid0(VALU_DEP_1)
	v_and_b32_e32 v0, 7, v97
; %bb.1070:                             ;   in Loop: Header=BB309_547 Depth=1
	s_or_b32 exec_lo, exec_lo, s15
	v_lshlrev_b32_e32 v9, 8, v9
	v_lshl_add_u32 v10, v10, 10, 0x2000
	s_delay_alu instid0(VALU_DEP_1) | instskip(NEXT) | instid1(VALU_DEP_1)
	v_and_or_b32 v9, 0x8000, v9, v10
	v_lshl_or_b32 v0, v0, 7, v9
	s_delay_alu instid0(VALU_DEP_1)
	v_cvt_f32_f16_e32 v97, v0
.LBB309_1071:                           ;   in Loop: Header=BB309_547 Depth=1
	s_or_b32 exec_lo, exec_lo, s13
.LBB309_1072:                           ;   in Loop: Header=BB309_547 Depth=1
	s_delay_alu instid0(SALU_CYCLE_1)
	s_or_b32 exec_lo, exec_lo, s12
.LBB309_1073:                           ;   in Loop: Header=BB309_547 Depth=1
	s_delay_alu instid0(SALU_CYCLE_1)
	s_or_b32 exec_lo, exec_lo, s10
	s_waitcnt vmcnt(0) lgkmcnt(0)
	v_fma_mixlo_f16 v10, v83, v85, 0
	v_fma_mixlo_f16 v0, v83, v87, 0
	;; [unrolled: 1-line block ×5, first 2 shown]
	v_lshlrev_b32_e32 v85, 16, v10
	v_fma_mixlo_f16 v10, v83, v84, 0
	v_fma_mixlo_f16 v84, v83, v96, 0
	;; [unrolled: 1-line block ×3, first 2 shown]
	v_lshlrev_b32_e32 v0, 16, v0
	v_and_b32_e32 v9, 0xffff, v9
	v_and_b32_e32 v12, 0xffff, v10
	v_lshlrev_b32_e32 v83, 16, v84
	v_and_b32_e32 v84, 0xffff, v86
	v_lshlrev_b32_e32 v86, 16, v87
	v_and_b32_e32 v87, 0xffff, v11
	v_or_b32_e32 v10, v0, v9
	v_or_b32_e32 v12, v85, v12
	v_or_b32_e32 v0, v83, v84
	s_delay_alu instid0(VALU_DEP_4)
	v_or_b32_e32 v9, v86, v87
	s_and_saveexec_b32 s0, vcc_lo
	s_cbranch_execz .LBB309_546
; %bb.1074:                             ;   in Loop: Header=BB309_547 Depth=1
	v_cmp_lt_i32_e32 vcc_lo, v15, v32
	v_lshrrev_b32_e32 v83, 16, v12
	v_lshrrev_b32_e32 v84, 16, v10
	;; [unrolled: 1-line block ×3, first 2 shown]
	v_cndmask_b32_e32 v12, 0, v12, vcc_lo
	v_cmp_lt_i32_e32 vcc_lo, v50, v35
	v_cndmask_b32_e32 v50, 0, v83, vcc_lo
	v_cmp_lt_i32_e32 vcc_lo, v49, v35
	v_lshrrev_b32_e32 v83, 16, v0
	v_cndmask_b32_e32 v49, 0, v84, vcc_lo
	v_cmp_lt_i32_e32 vcc_lo, v48, v32
	v_cndmask_b32_e32 v10, 0, v10, vcc_lo
	v_cmp_lt_i32_e32 vcc_lo, v39, v35
	;; [unrolled: 2-line block ×3, first 2 shown]
	v_perm_b32 v12, v50, v12, 0x5040100
	v_cndmask_b32_e32 v0, 0, v0, vcc_lo
	v_cmp_lt_i32_e32 vcc_lo, v37, v35
	v_cndmask_b32_e32 v9, 0, v9, vcc_lo
	v_cmp_lt_i32_e32 vcc_lo, v17, v32
	v_perm_b32 v10, v49, v10, 0x5040100
	v_cndmask_b32_e32 v11, 0, v11, vcc_lo
	v_perm_b32 v0, v39, v0, 0x5040100
	s_delay_alu instid0(VALU_DEP_2)
	v_perm_b32 v9, v9, v11, 0x5040100
	s_branch .LBB309_546
.LBB309_1075:
	s_or_b32 exec_lo, exec_lo, s5
	v_dual_mov_b32 v0, s6 :: v_dual_mov_b32 v1, s7
.LBB309_1076:
	s_or_b32 exec_lo, exec_lo, s3
	s_delay_alu instid0(VALU_DEP_1)
	v_lshlrev_b64 v[0:1], 2, v[0:1]
	s_getpc_b64 s[6:7]
	s_add_u32 s6, s6, llvm.amdgcn.dynlds.offset.table@rel32@lo+4
	s_addc_u32 s7, s7, llvm.amdgcn.dynlds.offset.table@rel32@hi+12
	s_waitcnt lgkmcnt(0)
	s_waitcnt_vscnt null, 0x0
	s_barrier
	buffer_gl0_inv
	v_and_b32_e32 v2, 0x3c0, v30
	v_add_co_u32 v0, vcc_lo, v0, s6
	v_add_co_ci_u32_e32 v1, vcc_lo, s7, v1, vcc_lo
	s_mov_b32 s0, exec_lo
	global_load_b32 v1, v[0:1], off
	s_waitcnt vmcnt(0)
	v_lshl_add_u32 v0, v33, 10, v1
	v_cmpx_eq_u32_e32 64, v2
	s_cbranch_execz .LBB309_1078
; %bb.1077:
	s_delay_alu instid0(VALU_DEP_2) | instskip(SKIP_2) | instid1(VALU_DEP_3)
	v_add_nc_u32_e32 v2, 0xfffff800, v0
	v_or_b32_e32 v3, 0x180, v31
	v_or_b32_e32 v6, 0x380, v31
	v_lshl_add_u32 v7, v18, 2, v2
	s_delay_alu instid0(VALU_DEP_3) | instskip(NEXT) | instid1(VALU_DEP_3)
	v_add_nc_u32_e32 v3, v2, v3
	v_add_nc_u32_e32 v2, v2, v6
	ds_store_2addr_b32 v7, v25, v36 offset1:32
	ds_store_b32 v3, v28
	ds_store_2addr_stride64_b32 v7, v29, v24 offset0:1 offset1:2
	ds_store_2addr_b32 v7, v21, v20 offset0:160 offset1:192
	ds_store_b32 v2, v19
.LBB309_1078:
	s_or_b32 exec_lo, exec_lo, s0
	s_delay_alu instid0(VALU_DEP_2)
	v_lshl_add_u32 v2, v18, 2, v0
	s_mov_b32 s0, exec_lo
	s_waitcnt lgkmcnt(0)
	s_barrier
	buffer_gl0_inv
	v_cmpx_gt_u32_e32 64, v30
	s_cbranch_execz .LBB309_1080
; %bb.1079:
	v_or_b32_e32 v6, 0x180, v31
	v_or_b32_e32 v7, 0x280, v31
	;; [unrolled: 1-line block ×4, first 2 shown]
	s_delay_alu instid0(VALU_DEP_4) | instskip(NEXT) | instid1(VALU_DEP_4)
	v_add_nc_u32_e32 v10, v0, v6
	v_add_nc_u32_e32 v11, v0, v7
	ds_load_2addr_stride64_b32 v[6:7], v2 offset1:1
	v_add_nc_u32_e32 v3, v0, v3
	s_waitcnt lgkmcnt(0)
	v_dual_add_f32 v25, v25, v6 :: v_dual_add_nc_u32 v12, v0, v8
	v_add_f32_e32 v29, v29, v7
	ds_load_2addr_stride64_b32 v[8:9], v2 offset0:2 offset1:3
	ds_load_b32 v3, v3
	ds_load_b32 v10, v10
	;; [unrolled: 1-line block ×4, first 2 shown]
	s_waitcnt lgkmcnt(4)
	v_add_f32_e32 v24, v24, v8
	v_add_f32_e32 v20, v20, v9
	s_waitcnt lgkmcnt(3)
	v_add_f32_e32 v36, v36, v3
	s_waitcnt lgkmcnt(0)
	v_dual_add_f32 v28, v28, v10 :: v_dual_add_f32 v19, v19, v12
	v_add_f32_e32 v21, v21, v11
.LBB309_1080:
	s_or_b32 exec_lo, exec_lo, s0
	v_and_b32_e32 v3, 0x3e0, v30
	s_mov_b32 s0, exec_lo
	s_barrier
	buffer_gl0_inv
	v_cmpx_eq_u32_e32 32, v3
	s_cbranch_execz .LBB309_1082
; %bb.1081:
	v_or_b32_e32 v3, 0x180, v31
	v_or_b32_e32 v6, 0x280, v31
	;; [unrolled: 1-line block ×3, first 2 shown]
	v_lshl_add_u32 v7, v18, 2, v1
	v_add_nc_u32_e32 v8, v1, v31
	v_add_nc_u32_e32 v3, v1, v3
	;; [unrolled: 1-line block ×4, first 2 shown]
	ds_store_b32 v7, v25
	ds_store_b32 v8, v36
	ds_store_b32 v3, v28
	ds_store_b32 v6, v21
	ds_store_2addr_stride64_b32 v7, v29, v24 offset0:1 offset1:2
	ds_store_b32 v7, v20 offset:768
	ds_store_b32 v1, v19
.LBB309_1082:
	s_or_b32 exec_lo, exec_lo, s0
	v_cmp_gt_u32_e32 vcc_lo, 32, v30
	s_waitcnt lgkmcnt(0)
	s_barrier
	buffer_gl0_inv
	s_and_saveexec_b32 s0, vcc_lo
	s_cbranch_execz .LBB309_1084
; %bb.1083:
	v_lshl_add_u32 v8, v30, 2, v0
	ds_load_b32 v9, v2
	ds_load_2addr_b32 v[0:1], v8 offset0:32 offset1:64
	ds_load_2addr_b32 v[2:3], v8 offset0:96 offset1:128
	;; [unrolled: 1-line block ×3, first 2 shown]
	ds_load_b32 v8, v8 offset:896
	s_waitcnt lgkmcnt(3)
	v_dual_add_f32 v25, v25, v9 :: v_dual_add_f32 v36, v36, v0
	s_waitcnt lgkmcnt(2)
	v_dual_add_f32 v29, v29, v1 :: v_dual_add_f32 v28, v28, v2
	;; [unrolled: 2-line block ×4, first 2 shown]
.LBB309_1084:
	s_or_b32 exec_lo, exec_lo, s0
	s_barrier
	buffer_gl0_inv
	s_and_b32 exec_lo, exec_lo, vcc_lo
	s_cbranch_execz .LBB309_1086
; %bb.1085:
	s_lshl_b32 s0, s2, 8
	s_mul_i32 s2, s4, s1
	s_lshl_b32 s4, s14, 8
	s_ashr_i32 s3, s2, 31
	s_ashr_i32 s5, s4, 31
	;; [unrolled: 1-line block ×3, first 2 shown]
	s_lshl_b64 s[2:3], s[2:3], 1
	s_lshl_b64 s[4:5], s[4:5], 1
	;; [unrolled: 1-line block ×3, first 2 shown]
	s_add_u32 s2, s4, s2
	s_addc_u32 s3, s5, s3
	s_add_u32 s0, s2, s0
	s_addc_u32 s1, s3, s1
	v_lshlrev_b32_e32 v0, 1, v30
	v_add_co_u32 v1, vcc_lo, s0, v4
	v_add_co_ci_u32_e32 v2, vcc_lo, s1, v5, vcc_lo
	s_delay_alu instid0(VALU_DEP_2) | instskip(NEXT) | instid1(VALU_DEP_2)
	v_add_co_u32 v0, vcc_lo, v1, v0
	v_add_co_ci_u32_e32 v1, vcc_lo, 0, v2, vcc_lo
	;;#ASMSTART
	v_cvt_f16_f32 v2, v25;

	;;#ASMEND
	flat_store_b16 v[0:1], v2
	;;#ASMSTART
	v_cvt_f16_f32 v2, v36;

	;;#ASMEND
	flat_store_b16 v[0:1], v2 offset:64
	;;#ASMSTART
	v_cvt_f16_f32 v2, v29;

	;;#ASMEND
	flat_store_b16 v[0:1], v2 offset:128
	;;#ASMSTART
	v_cvt_f16_f32 v2, v28;

	;;#ASMEND
	flat_store_b16 v[0:1], v2 offset:192
	;;#ASMSTART
	v_cvt_f16_f32 v2, v24;

	;;#ASMEND
	flat_store_b16 v[0:1], v2 offset:256
	;;#ASMSTART
	v_cvt_f16_f32 v2, v21;

	;;#ASMEND
	flat_store_b16 v[0:1], v2 offset:320
	;;#ASMSTART
	v_cvt_f16_f32 v2, v20;

	;;#ASMEND
	flat_store_b16 v[0:1], v2 offset:384
	;;#ASMSTART
	v_cvt_f16_f32 v2, v19;

	;;#ASMEND
	flat_store_b16 v[0:1], v2 offset:448
.LBB309_1086:
	s_or_b32 exec_lo, exec_lo, s11
	s_clause 0x1
	scratch_load_b32 v41, off, s32
	scratch_load_b32 v40, off, s32 offset:4
	s_waitcnt vmcnt(0) lgkmcnt(0)
	s_setpc_b64 s[30:31]
.Lfunc_end309:
	.size	_ZN4vllm22paged_attention_kernelIthLi256ELi8ELi128ELNS_18Fp8KVCacheDataTypeE1ELb0ELi512EEEvPfS2_PT_PKS3_PKT0_S9_ifPKiSB_iPKfiiiSD_SD_iiiii, .Lfunc_end309-_ZN4vllm22paged_attention_kernelIthLi256ELi8ELi128ELNS_18Fp8KVCacheDataTypeE1ELb0ELi512EEEvPfS2_PT_PKS3_PKT0_S9_ifPKiSB_iPKfiiiSD_SD_iiiii
                                        ; -- End function
	.section	.AMDGPU.csdata,"",@progbits
; Function info:
; codeLenInByte = 42428
; NumSgprs: 35
; NumVgprs: 184
; ScratchSize: 12
; MemoryBound: 0
	.section	.text._ZN4vllm25paged_attention_v2_kernelIthLi256ELi8ELi128ELNS_18Fp8KVCacheDataTypeE1ELb0ELi512EEEvPfS2_PT_PKS3_PKT0_S9_ifPKiSB_iPKfiiiSD_SD_iiiii,"axG",@progbits,_ZN4vllm25paged_attention_v2_kernelIthLi256ELi8ELi128ELNS_18Fp8KVCacheDataTypeE1ELb0ELi512EEEvPfS2_PT_PKS3_PKT0_S9_ifPKiSB_iPKfiiiSD_SD_iiiii,comdat
	.protected	_ZN4vllm25paged_attention_v2_kernelIthLi256ELi8ELi128ELNS_18Fp8KVCacheDataTypeE1ELb0ELi512EEEvPfS2_PT_PKS3_PKT0_S9_ifPKiSB_iPKfiiiSD_SD_iiiii ; -- Begin function _ZN4vllm25paged_attention_v2_kernelIthLi256ELi8ELi128ELNS_18Fp8KVCacheDataTypeE1ELb0ELi512EEEvPfS2_PT_PKS3_PKT0_S9_ifPKiSB_iPKfiiiSD_SD_iiiii
	.globl	_ZN4vllm25paged_attention_v2_kernelIthLi256ELi8ELi128ELNS_18Fp8KVCacheDataTypeE1ELb0ELi512EEEvPfS2_PT_PKS3_PKT0_S9_ifPKiSB_iPKfiiiSD_SD_iiiii
	.p2align	8
	.type	_ZN4vllm25paged_attention_v2_kernelIthLi256ELi8ELi128ELNS_18Fp8KVCacheDataTypeE1ELb0ELi512EEEvPfS2_PT_PKS3_PKT0_S9_ifPKiSB_iPKfiiiSD_SD_iiiii,@function
_ZN4vllm25paged_attention_v2_kernelIthLi256ELi8ELi128ELNS_18Fp8KVCacheDataTypeE1ELb0ELi512EEEvPfS2_PT_PKS3_PKT0_S9_ifPKiSB_iPKfiiiSD_SD_iiiii: ; @_ZN4vllm25paged_attention_v2_kernelIthLi256ELi8ELi128ELNS_18Fp8KVCacheDataTypeE1ELb0ELi512EEEvPfS2_PT_PKS3_PKT0_S9_ifPKiSB_iPKfiiiSD_SD_iiiii
; %bb.0:
	s_clause 0x5
	s_load_b256 s[24:31], s[0:1], 0x0
	s_load_b256 s[16:23], s[0:1], 0x20
	s_load_b64 s[2:3], s[0:1], 0x40
	s_load_b64 s[4:5], s[0:1], 0x50
	s_load_b32 s6, s[0:1], 0x48
	s_load_b256 s[36:43], s[0:1], 0x58
	v_mov_b32_e32 v31, v0
	s_add_u32 s8, s0, 0x90
	s_mov_b32 s12, s13
	s_addc_u32 s9, s1, 0
	s_mov_b32 s13, s14
	s_mov_b32 s14, s15
	s_movk_i32 s15, 0x69
	s_mov_b32 s32, 0
	s_getpc_b64 s[0:1]
	s_add_u32 s0, s0, _ZN4vllm22paged_attention_kernelIthLi256ELi8ELi128ELNS_18Fp8KVCacheDataTypeE1ELb0ELi512EEEvPfS2_PT_PKS3_PKT0_S9_ifPKiSB_iPKfiiiSD_SD_iiiii@rel32@lo+4
	s_addc_u32 s1, s1, _ZN4vllm22paged_attention_kernelIthLi256ELi8ELi128ELNS_18Fp8KVCacheDataTypeE1ELb0ELi512EEEvPfS2_PT_PKS3_PKT0_S9_ifPKiSB_iPKfiiiSD_SD_iiiii@rel32@hi+12
	s_waitcnt lgkmcnt(0)
	v_dual_mov_b32 v0, s24 :: v_dual_mov_b32 v1, s25
	v_dual_mov_b32 v2, s26 :: v_dual_mov_b32 v3, s27
	;; [unrolled: 1-line block ×14, first 2 shown]
	s_swappc_b64 s[30:31], s[0:1]
	s_endpgm
	.section	.rodata,"a",@progbits
	.p2align	6, 0x0
	.amdhsa_kernel _ZN4vllm25paged_attention_v2_kernelIthLi256ELi8ELi128ELNS_18Fp8KVCacheDataTypeE1ELb0ELi512EEEvPfS2_PT_PKS3_PKT0_S9_ifPKiSB_iPKfiiiSD_SD_iiiii
		.amdhsa_group_segment_fixed_size 544
		.amdhsa_private_segment_fixed_size 12
		.amdhsa_kernarg_size 400
		.amdhsa_user_sgpr_count 13
		.amdhsa_user_sgpr_dispatch_ptr 0
		.amdhsa_user_sgpr_queue_ptr 0
		.amdhsa_user_sgpr_kernarg_segment_ptr 1
		.amdhsa_user_sgpr_dispatch_id 0
		.amdhsa_user_sgpr_private_segment_size 0
		.amdhsa_wavefront_size32 1
		.amdhsa_uses_dynamic_stack 0
		.amdhsa_enable_private_segment 1
		.amdhsa_system_sgpr_workgroup_id_x 1
		.amdhsa_system_sgpr_workgroup_id_y 1
		.amdhsa_system_sgpr_workgroup_id_z 1
		.amdhsa_system_sgpr_workgroup_info 0
		.amdhsa_system_vgpr_workitem_id 0
		.amdhsa_next_free_vgpr 184
		.amdhsa_next_free_sgpr 44
		.amdhsa_reserve_vcc 1
		.amdhsa_float_round_mode_32 0
		.amdhsa_float_round_mode_16_64 0
		.amdhsa_float_denorm_mode_32 3
		.amdhsa_float_denorm_mode_16_64 3
		.amdhsa_dx10_clamp 1
		.amdhsa_ieee_mode 1
		.amdhsa_fp16_overflow 0
		.amdhsa_workgroup_processor_mode 1
		.amdhsa_memory_ordered 1
		.amdhsa_forward_progress 0
		.amdhsa_shared_vgpr_count 0
		.amdhsa_exception_fp_ieee_invalid_op 0
		.amdhsa_exception_fp_denorm_src 0
		.amdhsa_exception_fp_ieee_div_zero 0
		.amdhsa_exception_fp_ieee_overflow 0
		.amdhsa_exception_fp_ieee_underflow 0
		.amdhsa_exception_fp_ieee_inexact 0
		.amdhsa_exception_int_div_zero 0
	.end_amdhsa_kernel
	.section	.text._ZN4vllm25paged_attention_v2_kernelIthLi256ELi8ELi128ELNS_18Fp8KVCacheDataTypeE1ELb0ELi512EEEvPfS2_PT_PKS3_PKT0_S9_ifPKiSB_iPKfiiiSD_SD_iiiii,"axG",@progbits,_ZN4vllm25paged_attention_v2_kernelIthLi256ELi8ELi128ELNS_18Fp8KVCacheDataTypeE1ELb0ELi512EEEvPfS2_PT_PKS3_PKT0_S9_ifPKiSB_iPKfiiiSD_SD_iiiii,comdat
.Lfunc_end310:
	.size	_ZN4vllm25paged_attention_v2_kernelIthLi256ELi8ELi128ELNS_18Fp8KVCacheDataTypeE1ELb0ELi512EEEvPfS2_PT_PKS3_PKT0_S9_ifPKiSB_iPKfiiiSD_SD_iiiii, .Lfunc_end310-_ZN4vllm25paged_attention_v2_kernelIthLi256ELi8ELi128ELNS_18Fp8KVCacheDataTypeE1ELb0ELi512EEEvPfS2_PT_PKS3_PKT0_S9_ifPKiSB_iPKfiiiSD_SD_iiiii
                                        ; -- End function
	.section	.AMDGPU.csdata,"",@progbits
; Kernel info:
; codeLenInByte = 232
; NumSgprs: 46
; NumVgprs: 184
; ScratchSize: 12
; MemoryBound: 0
; FloatMode: 240
; IeeeMode: 1
; LDSByteSize: 544 bytes/workgroup (compile time only)
; SGPRBlocks: 5
; VGPRBlocks: 22
; NumSGPRsForWavesPerEU: 46
; NumVGPRsForWavesPerEU: 184
; Occupancy: 8
; WaveLimiterHint : 1
; COMPUTE_PGM_RSRC2:SCRATCH_EN: 1
; COMPUTE_PGM_RSRC2:USER_SGPR: 13
; COMPUTE_PGM_RSRC2:TRAP_HANDLER: 0
; COMPUTE_PGM_RSRC2:TGID_X_EN: 1
; COMPUTE_PGM_RSRC2:TGID_Y_EN: 1
; COMPUTE_PGM_RSRC2:TGID_Z_EN: 1
; COMPUTE_PGM_RSRC2:TIDIG_COMP_CNT: 0
	.section	.text._ZN4vllm25paged_attention_v2_kernelIthLi32ELi16ELi128ELNS_18Fp8KVCacheDataTypeE1ELb1ELi512EEEvPfS2_PT_PKS3_PKT0_S9_ifPKiSB_iPKfiiiSD_SD_iiiii,"axG",@progbits,_ZN4vllm25paged_attention_v2_kernelIthLi32ELi16ELi128ELNS_18Fp8KVCacheDataTypeE1ELb1ELi512EEEvPfS2_PT_PKS3_PKT0_S9_ifPKiSB_iPKfiiiSD_SD_iiiii,comdat
	.protected	_ZN4vllm25paged_attention_v2_kernelIthLi32ELi16ELi128ELNS_18Fp8KVCacheDataTypeE1ELb1ELi512EEEvPfS2_PT_PKS3_PKT0_S9_ifPKiSB_iPKfiiiSD_SD_iiiii ; -- Begin function _ZN4vllm25paged_attention_v2_kernelIthLi32ELi16ELi128ELNS_18Fp8KVCacheDataTypeE1ELb1ELi512EEEvPfS2_PT_PKS3_PKT0_S9_ifPKiSB_iPKfiiiSD_SD_iiiii
	.globl	_ZN4vllm25paged_attention_v2_kernelIthLi32ELi16ELi128ELNS_18Fp8KVCacheDataTypeE1ELb1ELi512EEEvPfS2_PT_PKS3_PKT0_S9_ifPKiSB_iPKfiiiSD_SD_iiiii
	.p2align	8
	.type	_ZN4vllm25paged_attention_v2_kernelIthLi32ELi16ELi128ELNS_18Fp8KVCacheDataTypeE1ELb1ELi512EEEvPfS2_PT_PKS3_PKT0_S9_ifPKiSB_iPKfiiiSD_SD_iiiii,@function
_ZN4vllm25paged_attention_v2_kernelIthLi32ELi16ELi128ELNS_18Fp8KVCacheDataTypeE1ELb1ELi512EEEvPfS2_PT_PKS3_PKT0_S9_ifPKiSB_iPKfiiiSD_SD_iiiii: ; @_ZN4vllm25paged_attention_v2_kernelIthLi32ELi16ELi128ELNS_18Fp8KVCacheDataTypeE1ELb1ELi512EEEvPfS2_PT_PKS3_PKT0_S9_ifPKiSB_iPKfiiiSD_SD_iiiii
; %bb.0:
	s_load_b64 s[2:3], s[0:1], 0x40
	s_mov_b32 s26, s15
	s_ashr_i32 s15, s14, 31
	s_delay_alu instid0(SALU_CYCLE_1)
	s_lshl_b64 s[4:5], s[14:15], 2
	s_waitcnt lgkmcnt(0)
	s_add_u32 s2, s2, s4
	s_addc_u32 s3, s3, s5
	s_lshl_b32 s41, s26, 9
	s_load_b32 s15, s[2:3], 0x0
	s_waitcnt lgkmcnt(0)
	s_cmp_ge_i32 s41, s15
	s_cbranch_scc1 .LBB311_312
; %bb.1:
	s_clause 0x1
	s_load_b32 s27, s[0:1], 0x90
	s_load_b64 s[38:39], s[0:1], 0x30
	s_mov_b32 s28, s13
	s_mov_b32 s43, 0
	s_waitcnt lgkmcnt(0)
	s_abs_i32 s5, s27
	s_abs_i32 s2, s38
	s_delay_alu instid0(SALU_CYCLE_1) | instskip(SKIP_1) | instid1(VALU_DEP_1)
	v_cvt_f32_u32_e32 v1, s2
	s_sub_i32 s4, 0, s2
	v_rcp_iflag_f32_e32 v1, v1
	s_waitcnt_depctr 0xfff
	v_mul_f32_e32 v1, 0x4f7ffffe, v1
	s_delay_alu instid0(VALU_DEP_1) | instskip(NEXT) | instid1(VALU_DEP_1)
	v_cvt_u32_f32_e32 v1, v1
	v_readfirstlane_b32 s3, v1
	s_delay_alu instid0(VALU_DEP_1) | instskip(NEXT) | instid1(SALU_CYCLE_1)
	s_mul_i32 s4, s4, s3
	s_mul_hi_u32 s4, s3, s4
	s_delay_alu instid0(SALU_CYCLE_1) | instskip(SKIP_4) | instid1(SALU_CYCLE_1)
	s_add_i32 s3, s3, s4
	s_xor_b32 s4, s27, s38
	s_mul_hi_u32 s3, s5, s3
	s_ashr_i32 s4, s4, 31
	s_mul_i32 s6, s3, s2
	s_sub_i32 s5, s5, s6
	s_add_i32 s6, s3, 1
	s_sub_i32 s7, s5, s2
	s_cmp_ge_u32 s5, s2
	s_cselect_b32 s3, s6, s3
	s_cselect_b32 s5, s7, s5
	s_add_i32 s6, s3, 1
	s_cmp_ge_u32 s5, s2
	s_cselect_b32 s2, s6, s3
	s_delay_alu instid0(SALU_CYCLE_1) | instskip(NEXT) | instid1(SALU_CYCLE_1)
	s_xor_b32 s2, s2, s4
	s_sub_i32 s7, s2, s4
	s_load_b64 s[2:3], s[0:1], 0x50
	s_abs_i32 s4, s7
	s_delay_alu instid0(SALU_CYCLE_1) | instskip(SKIP_1) | instid1(VALU_DEP_1)
	v_cvt_f32_u32_e32 v1, s4
	s_sub_i32 s5, 0, s4
	v_rcp_iflag_f32_e32 v1, v1
	s_waitcnt_depctr 0xfff
	v_mul_f32_e32 v1, 0x4f7ffffe, v1
	s_delay_alu instid0(VALU_DEP_1) | instskip(NEXT) | instid1(VALU_DEP_1)
	v_cvt_u32_f32_e32 v1, v1
	v_readfirstlane_b32 s6, v1
	s_delay_alu instid0(VALU_DEP_1) | instskip(NEXT) | instid1(SALU_CYCLE_1)
	s_mul_i32 s5, s5, s6
	s_mul_hi_u32 s8, s6, s5
	s_abs_i32 s5, s13
	s_add_i32 s6, s6, s8
	s_waitcnt lgkmcnt(0)
	s_cmp_eq_u64 s[2:3], 0
	s_mul_hi_u32 s6, s5, s6
	s_cbranch_scc1 .LBB311_3
; %bb.2:
	s_ashr_i32 s29, s28, 31
	s_delay_alu instid0(SALU_CYCLE_1) | instskip(NEXT) | instid1(SALU_CYCLE_1)
	s_lshl_b64 s[8:9], s[28:29], 2
	s_add_u32 s2, s2, s8
	s_addc_u32 s3, s3, s9
	s_load_b32 s43, s[2:3], 0x0
.LBB311_3:
	s_load_b128 s[8:11], s[0:1], 0x58
	v_lshrrev_b32_e32 v15, 1, v0
	v_and_b32_e32 v16, 1, v0
	v_lshlrev_b32_e32 v11, 3, v0
	s_ashr_i32 s2, s28, 31
	s_ashr_i32 s3, s7, 31
	s_lshl_b32 s12, s28, 5
	s_mov_b32 s7, exec_lo
	v_cmpx_gt_u32_e32 8, v0
	s_cbranch_execz .LBB311_5
; %bb.4:
	s_load_b64 s[16:17], s[0:1], 0x18
	s_waitcnt lgkmcnt(0)
	s_mul_i32 s18, s14, s8
	v_lshlrev_b32_e32 v3, 3, v15
	s_ashr_i32 s19, s18, 31
	s_delay_alu instid0(SALU_CYCLE_1) | instskip(NEXT) | instid1(VALU_DEP_1)
	s_lshl_b64 s[18:19], s[18:19], 1
	v_lshl_add_u32 v3, v16, 5, v3
	s_add_u32 s8, s16, s18
	s_addc_u32 s11, s17, s19
	s_ashr_i32 s13, s12, 31
	s_delay_alu instid0(SALU_CYCLE_1) | instskip(NEXT) | instid1(SALU_CYCLE_1)
	s_lshl_b64 s[16:17], s[12:13], 1
	s_add_u32 s16, s8, s16
	s_addc_u32 s17, s11, s17
	global_load_b64 v[1:2], v11, s[16:17]
	s_waitcnt vmcnt(0)
	ds_store_b64 v3, v[1:2]
.LBB311_5:
	s_or_b32 exec_lo, exec_lo, s7
	s_load_b128 s[16:19], s[0:1], 0x78
	s_mul_i32 s7, s6, s4
	s_xor_b32 s2, s2, s3
	s_sub_i32 s3, s5, s7
	s_add_i32 s5, s6, 1
	s_sub_i32 s7, s3, s4
	s_cmp_ge_u32 s3, s4
	s_waitcnt lgkmcnt(0)
	s_cselect_b32 s5, s5, s6
	s_cselect_b32 s3, s7, s3
	s_add_i32 s6, s5, 1
	s_cmp_ge_u32 s3, s4
	s_load_b32 s4, s[0:1], 0x88
	s_cselect_b32 s3, s6, s5
	s_add_i32 s5, s15, -1
	s_xor_b32 s3, s3, s2
	s_mov_b32 s6, -1
	s_sub_i32 s11, s3, s2
	s_abs_i32 s3, s5
	s_waitcnt lgkmcnt(0)
	s_barrier
	s_abs_i32 s29, s19
	buffer_gl0_inv
	v_cvt_f32_u32_e32 v1, s29
	s_sub_i32 s2, 0, s29
                                        ; implicit-def: $sgpr40
	s_delay_alu instid0(VALU_DEP_1) | instskip(SKIP_2) | instid1(VALU_DEP_1)
	v_rcp_iflag_f32_e32 v1, v1
	s_waitcnt_depctr 0xfff
	v_mul_f32_e32 v1, 0x4f7ffffe, v1
	v_cvt_u32_f32_e32 v1, v1
	s_delay_alu instid0(VALU_DEP_1) | instskip(NEXT) | instid1(VALU_DEP_1)
	v_readfirstlane_b32 s33, v1
	s_mul_i32 s2, s2, s33
	s_delay_alu instid0(SALU_CYCLE_1) | instskip(NEXT) | instid1(SALU_CYCLE_1)
	s_mul_hi_u32 s2, s33, s2
	s_add_i32 s33, s33, s2
	s_cmp_lt_i32 s4, 0
	s_mul_hi_u32 s2, s3, s33
	s_cbranch_scc0 .LBB311_7
; %bb.6:
	s_mul_i32 s6, s16, s38
	s_delay_alu instid0(SALU_CYCLE_1) | instskip(NEXT) | instid1(SALU_CYCLE_1)
	s_add_i32 s6, s11, s6
	s_mul_i32 s6, s6, s4
	s_delay_alu instid0(SALU_CYCLE_1)
	s_sub_i32 s40, 1, s6
	s_mov_b32 s6, 0
.LBB311_7:
	s_load_b64 s[30:31], s[0:1], 0x38
	s_ashr_i32 s8, s5, 31
	s_and_not1_b32 vcc_lo, exec_lo, s6
	s_ashr_i32 s19, s19, 31
	s_cbranch_vccnz .LBB311_9
; %bb.8:
	s_mul_i32 s5, s27, s16
	s_delay_alu instid0(SALU_CYCLE_1) | instskip(NEXT) | instid1(SALU_CYCLE_1)
	s_add_i32 s5, s5, s28
	s_mul_i32 s4, s5, s4
	s_delay_alu instid0(SALU_CYCLE_1)
	s_add_i32 s40, s4, 1
.LBB311_9:
	s_clause 0x5
	s_load_b32 s16, s[0:1], 0x48
	s_load_b64 s[36:37], s[0:1], 0x28
	s_load_b128 s[20:23], s[0:1], 0x0
	s_load_b64 s[24:25], s[0:1], 0x10
	s_load_b32 s13, s[0:1], 0x98
	s_load_b128 s[4:7], s[0:1], 0x68
	s_xor_b32 s42, s8, s19
	s_mul_i32 s8, s2, s29
	s_add_i32 s38, s2, 1
	s_sub_i32 s3, s3, s8
	v_lshrrev_b32_e32 v17, 5, v0
	s_sub_i32 s8, s3, s29
	v_mov_b32_e32 v13, 0xff7fffff
	v_mbcnt_lo_u32_b32 v12, -1, 0
	s_mul_i32 s11, s11, s10
	v_lshl_add_u32 v18, v17, 4, s41
	s_waitcnt lgkmcnt(0)
	s_mul_i32 s34, s14, s16
	s_delay_alu instid0(SALU_CYCLE_1)
	s_ashr_i32 s35, s34, 31
	s_cmp_ge_u32 s3, s29
	s_cselect_b32 s2, s38, s2
	s_cselect_b32 s3, s8, s3
	s_add_i32 s8, s2, 1
	s_cmp_ge_u32 s3, s29
	s_cselect_b32 s2, s8, s2
	s_add_i32 s3, s15, 15
	s_lshl_b32 s8, s26, 5
	s_ashr_i32 s16, s3, 31
	v_or_b32_e32 v1, s8, v17
	s_lshr_b32 s16, s16, 28
	s_delay_alu instid0(SALU_CYCLE_1)
	s_add_i32 s3, s3, s16
	s_add_i32 s16, s8, 32
	s_ashr_i32 s38, s3, 4
	s_xor_b32 s3, s2, s42
	s_min_i32 s16, s16, s38
	v_ashrrev_i32_e32 v2, 31, v1
	v_cmp_gt_i32_e64 s2, s16, v1
	s_sub_i32 s42, s3, s42
	s_delay_alu instid0(VALU_DEP_1)
	s_and_saveexec_b32 s10, s2
	s_cbranch_execz .LBB311_147
; %bb.10:
	s_load_b64 s[0:1], s[0:1], 0x20
	s_sub_i32 s44, s42, s17
	s_ashr_i32 s3, s11, 31
	v_bfe_u32 v14, v0, 1, 4
	v_lshlrev_b64 v[7:8], 2, v[1:2]
	v_mov_b32_e32 v26, v1
	v_cmp_eq_u32_e32 vcc_lo, 0, v16
	v_dual_mov_b32 v22, 0xff7fffff :: v_dual_lshlrev_b32 v19, 2, v16
	v_lshlrev_b32_e32 v5, 2, v14
	v_lshlrev_b32_e32 v10, 4, v14
	v_subrev_nc_u32_e32 v6, s15, v14
	v_dual_mov_b32 v13, 0xff7fffff :: v_dual_lshlrev_b32 v20, 5, v16
	s_delay_alu instid0(VALU_DEP_4) | instskip(SKIP_1) | instid1(VALU_DEP_4)
	v_lshl_or_b32 v5, v17, 6, v5
	v_lshl_add_u32 v21, v17, 4, s41
	v_add_nc_u32_e32 v23, 1, v6
	s_delay_alu instid0(VALU_DEP_3)
	v_add_nc_u32_e32 v24, 0x60, v5
	s_waitcnt lgkmcnt(0)
	s_add_u32 s48, s0, s11
	s_addc_u32 s1, s1, s3
	s_abs_i32 s45, s18
	s_lshl_b64 s[46:47], s[34:35], 2
	v_cvt_f32_u32_e32 v3, s45
	s_sub_i32 s3, 0, s45
	v_cmp_neq_f32_e64 s0, s43, 0
	s_delay_alu instid0(VALU_DEP_2) | instskip(SKIP_2) | instid1(VALU_DEP_1)
	v_rcp_iflag_f32_e32 v3, v3
	s_waitcnt_depctr 0xfff
	v_dual_mov_b32 v4, 0 :: v_dual_mul_f32 v3, 0x4f7ffffe, v3
	v_cvt_u32_f32_e32 v3, v3
	s_delay_alu instid0(VALU_DEP_1) | instskip(SKIP_1) | instid1(VALU_DEP_1)
	v_mul_lo_u32 v9, s3, v3
	v_add_co_u32 v5, s3, s48, v10
	v_add_co_ci_u32_e64 v6, null, s1, 0, s3
	s_add_u32 s1, s30, s46
	s_addc_u32 s3, s31, s47
	v_add_co_u32 v7, s1, s1, v7
	s_delay_alu instid0(VALU_DEP_4) | instskip(SKIP_3) | instid1(VALU_DEP_2)
	v_mul_hi_u32 v9, v3, v9
	v_add_co_ci_u32_e64 v8, s1, s3, v8, s1
	s_mov_b32 s46, 0
	s_mov_b32 s47, s9
	v_add_nc_u32_e32 v25, v3, v9
	s_branch .LBB311_13
.LBB311_11:                             ;   in Loop: Header=BB311_13 Depth=1
	s_or_b32 exec_lo, exec_lo, s48
.LBB311_12:                             ;   in Loop: Header=BB311_13 Depth=1
	s_delay_alu instid0(SALU_CYCLE_1) | instskip(SKIP_2) | instid1(VALU_DEP_1)
	s_or_b32 exec_lo, exec_lo, s3
	v_add_nc_u32_e32 v26, 4, v26
	v_add_co_u32 v7, s3, v7, 16
	v_add_co_ci_u32_e64 v8, s3, 0, v8, s3
	s_delay_alu instid0(VALU_DEP_3) | instskip(SKIP_2) | instid1(VALU_DEP_3)
	v_cmp_le_i32_e64 s1, s16, v26
	v_add_nc_u32_e32 v21, 64, v21
	v_add_nc_u32_e32 v24, 0x100, v24
	s_or_b32 s46, s1, s46
	s_delay_alu instid0(SALU_CYCLE_1)
	s_and_not1_b32 exec_lo, exec_lo, s46
	s_cbranch_execz .LBB311_146
.LBB311_13:                             ; =>This Inner Loop Header: Depth=1
	v_sub_nc_u32_e32 v3, 0, v21
	s_delay_alu instid0(VALU_DEP_1) | instskip(SKIP_1) | instid1(VALU_DEP_1)
	v_max_i32_e32 v3, v21, v3
	s_waitcnt lgkmcnt(0)
	v_mul_hi_u32 v9, v3, s33
	s_delay_alu instid0(VALU_DEP_1) | instskip(NEXT) | instid1(VALU_DEP_1)
	v_mul_lo_u32 v10, v9, s29
	v_sub_nc_u32_e32 v3, v3, v10
	v_add_nc_u32_e32 v10, 1, v9
	s_delay_alu instid0(VALU_DEP_2) | instskip(SKIP_1) | instid1(VALU_DEP_1)
	v_subrev_nc_u32_e32 v27, s29, v3
	v_cmp_le_u32_e64 s1, s29, v3
	v_cndmask_b32_e64 v9, v9, v10, s1
	s_delay_alu instid0(VALU_DEP_3) | instskip(SKIP_1) | instid1(VALU_DEP_3)
	v_cndmask_b32_e64 v3, v3, v27, s1
	v_ashrrev_i32_e32 v10, 31, v21
	v_add_nc_u32_e32 v27, 1, v9
	s_delay_alu instid0(VALU_DEP_3) | instskip(NEXT) | instid1(VALU_DEP_3)
	v_cmp_le_u32_e64 s1, s29, v3
	v_xor_b32_e32 v10, s19, v10
	s_delay_alu instid0(VALU_DEP_2) | instskip(NEXT) | instid1(VALU_DEP_1)
	v_cndmask_b32_e64 v3, v9, v27, s1
	v_xor_b32_e32 v3, v3, v10
	s_delay_alu instid0(VALU_DEP_1) | instskip(NEXT) | instid1(VALU_DEP_1)
	v_sub_nc_u32_e32 v3, v3, v10
	v_add_nc_u32_e32 v9, s40, v3
	v_cmp_ge_i32_e64 s3, s44, v3
	s_delay_alu instid0(VALU_DEP_2) | instskip(NEXT) | instid1(VALU_DEP_1)
	v_sub_nc_u32_e32 v10, 0, v9
	v_max_i32_e32 v10, v9, v10
	v_ashrrev_i32_e32 v9, 31, v9
	s_delay_alu instid0(VALU_DEP_2) | instskip(NEXT) | instid1(VALU_DEP_1)
	v_mul_hi_u32 v27, v10, v25
	v_mul_lo_u32 v27, v27, s45
	s_delay_alu instid0(VALU_DEP_1) | instskip(NEXT) | instid1(VALU_DEP_1)
	v_sub_nc_u32_e32 v10, v10, v27
	v_subrev_nc_u32_e32 v27, s45, v10
	v_cmp_le_u32_e64 s1, s45, v10
	s_delay_alu instid0(VALU_DEP_1) | instskip(NEXT) | instid1(VALU_DEP_1)
	v_cndmask_b32_e64 v10, v10, v27, s1
	v_subrev_nc_u32_e32 v27, s45, v10
	v_cmp_le_u32_e64 s1, s45, v10
	s_delay_alu instid0(VALU_DEP_1) | instskip(NEXT) | instid1(VALU_DEP_1)
	v_cndmask_b32_e64 v10, v10, v27, s1
	v_xor_b32_e32 v10, v10, v9
	s_delay_alu instid0(VALU_DEP_1) | instskip(NEXT) | instid1(VALU_DEP_1)
	v_sub_nc_u32_e32 v9, v10, v9
	v_cmp_ne_u32_e64 s1, 0, v9
	s_delay_alu instid0(VALU_DEP_1) | instskip(NEXT) | instid1(SALU_CYCLE_1)
	s_and_b32 s1, s1, s3
	s_and_b32 s48, vcc_lo, s1
	s_delay_alu instid0(SALU_CYCLE_1)
	s_and_saveexec_b32 s3, s48
	s_cbranch_execz .LBB311_15
; %bb.14:                               ;   in Loop: Header=BB311_13 Depth=1
	ds_store_b32 v24, v22
.LBB311_15:                             ;   in Loop: Header=BB311_13 Depth=1
	s_or_b32 exec_lo, exec_lo, s3
	s_xor_b32 s1, s1, -1
	s_delay_alu instid0(SALU_CYCLE_1)
	s_and_saveexec_b32 s3, s1
	s_cbranch_execz .LBB311_12
; %bb.16:                               ;   in Loop: Header=BB311_13 Depth=1
	global_load_b32 v3, v[7:8], off
	v_mov_b32_e32 v29, 0
	s_mov_b32 s48, exec_lo
	v_mov_b32_e32 v28, 0
	s_waitcnt vmcnt(0)
	v_mad_i64_i32 v[9:10], null, v3, s47, v[5:6]
	s_delay_alu instid0(VALU_DEP_1) | instskip(NEXT) | instid1(VALU_DEP_1)
	v_add_co_u32 v9, s1, v9, v19
	v_add_co_ci_u32_e64 v10, s1, 0, v10, s1
	global_load_b32 v32, v[9:10], off
	global_load_b32 v27, v4, s[4:5]
	s_waitcnt vmcnt(1)
	v_and_b32_e32 v3, 0xff, v32
	s_delay_alu instid0(VALU_DEP_1)
	v_cmpx_ne_u16_e32 0, v3
	s_cbranch_execz .LBB311_24
; %bb.17:                               ;   in Loop: Header=BB311_13 Depth=1
	v_bfrev_b32_e32 v29, 1
	s_mov_b32 s49, exec_lo
	v_cmpx_ne_u16_e32 0x80, v3
	s_cbranch_execz .LBB311_23
; %bb.18:                               ;   in Loop: Header=BB311_13 Depth=1
	v_and_b32_e32 v30, 0x7f, v32
	v_mov_b32_e32 v29, 0x7fc02000
	s_mov_b32 s50, exec_lo
	s_delay_alu instid0(VALU_DEP_2)
	v_cmpx_ne_u32_e32 0x7f, v30
	s_cbranch_execz .LBB311_22
; %bb.19:                               ;   in Loop: Header=BB311_13 Depth=1
	v_and_b32_e32 v3, 7, v32
	v_lshrrev_b32_e32 v29, 3, v30
	s_mov_b32 s51, exec_lo
	v_cmpx_gt_u32_e32 8, v30
; %bb.20:                               ;   in Loop: Header=BB311_13 Depth=1
	s_delay_alu instid0(VALU_DEP_3) | instskip(NEXT) | instid1(VALU_DEP_1)
	v_clz_i32_u32_e32 v29, v3
	v_min_u32_e32 v29, 32, v29
	s_delay_alu instid0(VALU_DEP_1) | instskip(SKIP_1) | instid1(VALU_DEP_2)
	v_subrev_nc_u32_e32 v30, 28, v29
	v_sub_nc_u32_e32 v29, 29, v29
	v_lshlrev_b64 v[30:31], v30, v[3:4]
	s_delay_alu instid0(VALU_DEP_1)
	v_and_b32_e32 v3, 7, v30
; %bb.21:                               ;   in Loop: Header=BB311_13 Depth=1
	s_or_b32 exec_lo, exec_lo, s51
	v_lshlrev_b32_e32 v30, 8, v32
	v_lshl_add_u32 v29, v29, 10, 0x2000
	s_delay_alu instid0(VALU_DEP_1) | instskip(NEXT) | instid1(VALU_DEP_1)
	v_and_or_b32 v29, 0x8000, v30, v29
	v_lshl_or_b32 v3, v3, 7, v29
	s_delay_alu instid0(VALU_DEP_1)
	v_cvt_f32_f16_e32 v29, v3
.LBB311_22:                             ;   in Loop: Header=BB311_13 Depth=1
	s_or_b32 exec_lo, exec_lo, s50
.LBB311_23:                             ;   in Loop: Header=BB311_13 Depth=1
	s_delay_alu instid0(SALU_CYCLE_1)
	s_or_b32 exec_lo, exec_lo, s49
.LBB311_24:                             ;   in Loop: Header=BB311_13 Depth=1
	s_delay_alu instid0(SALU_CYCLE_1) | instskip(SKIP_2) | instid1(VALU_DEP_1)
	s_or_b32 exec_lo, exec_lo, s48
	v_lshrrev_b16 v3, 8, v32
	s_mov_b32 s48, exec_lo
	v_cmpx_ne_u16_e32 0, v3
	s_cbranch_execz .LBB311_32
; %bb.25:                               ;   in Loop: Header=BB311_13 Depth=1
	v_bfrev_b32_e32 v28, 1
	s_mov_b32 s49, exec_lo
	v_cmpx_ne_u16_e32 0x80, v3
	s_cbranch_execz .LBB311_31
; %bb.26:                               ;   in Loop: Header=BB311_13 Depth=1
	v_and_b32_e32 v30, 0xffff, v3
	v_mov_b32_e32 v28, 0x7fc02000
	s_mov_b32 s50, exec_lo
	s_delay_alu instid0(VALU_DEP_2) | instskip(NEXT) | instid1(VALU_DEP_1)
	v_and_b32_e32 v31, 0x7f, v30
	v_cmpx_ne_u32_e32 0x7f, v31
	s_cbranch_execz .LBB311_30
; %bb.27:                               ;   in Loop: Header=BB311_13 Depth=1
	v_and_b32_e32 v3, 7, v30
	v_lshrrev_b32_e32 v28, 3, v31
	s_mov_b32 s51, exec_lo
	v_cmpx_gt_u32_e32 8, v31
; %bb.28:                               ;   in Loop: Header=BB311_13 Depth=1
	s_delay_alu instid0(VALU_DEP_3) | instskip(NEXT) | instid1(VALU_DEP_1)
	v_clz_i32_u32_e32 v28, v3
	v_min_u32_e32 v28, 32, v28
	s_delay_alu instid0(VALU_DEP_1) | instskip(SKIP_1) | instid1(VALU_DEP_2)
	v_subrev_nc_u32_e32 v31, 28, v28
	v_sub_nc_u32_e32 v28, 29, v28
	v_lshlrev_b64 v[33:34], v31, v[3:4]
	s_delay_alu instid0(VALU_DEP_1)
	v_and_b32_e32 v3, 7, v33
; %bb.29:                               ;   in Loop: Header=BB311_13 Depth=1
	s_or_b32 exec_lo, exec_lo, s51
	v_lshlrev_b32_e32 v30, 8, v30
	v_lshl_add_u32 v28, v28, 10, 0x2000
	s_delay_alu instid0(VALU_DEP_1) | instskip(NEXT) | instid1(VALU_DEP_1)
	v_and_or_b32 v28, 0x8000, v30, v28
	v_lshl_or_b32 v3, v3, 7, v28
	s_delay_alu instid0(VALU_DEP_1)
	v_cvt_f32_f16_e32 v28, v3
.LBB311_30:                             ;   in Loop: Header=BB311_13 Depth=1
	s_or_b32 exec_lo, exec_lo, s50
.LBB311_31:                             ;   in Loop: Header=BB311_13 Depth=1
	s_delay_alu instid0(SALU_CYCLE_1)
	s_or_b32 exec_lo, exec_lo, s49
.LBB311_32:                             ;   in Loop: Header=BB311_13 Depth=1
	s_delay_alu instid0(SALU_CYCLE_1) | instskip(SKIP_3) | instid1(VALU_DEP_2)
	s_or_b32 exec_lo, exec_lo, s48
	v_lshrrev_b32_e32 v33, 16, v32
	v_mov_b32_e32 v31, 0
	s_mov_b32 s48, exec_lo
	v_dual_mov_b32 v30, 0 :: v_dual_and_b32 v3, 0xff, v33
	s_delay_alu instid0(VALU_DEP_1)
	v_cmpx_ne_u16_e32 0, v3
	s_cbranch_execz .LBB311_40
; %bb.33:                               ;   in Loop: Header=BB311_13 Depth=1
	v_bfrev_b32_e32 v31, 1
	s_mov_b32 s49, exec_lo
	v_cmpx_ne_u16_e32 0x80, v3
	s_cbranch_execz .LBB311_39
; %bb.34:                               ;   in Loop: Header=BB311_13 Depth=1
	v_bfe_u32 v34, v32, 16, 7
	v_mov_b32_e32 v31, 0x7fc02000
	s_mov_b32 s50, exec_lo
	s_delay_alu instid0(VALU_DEP_2)
	v_cmpx_ne_u32_e32 0x7f, v34
	s_cbranch_execz .LBB311_38
; %bb.35:                               ;   in Loop: Header=BB311_13 Depth=1
	v_and_b32_e32 v3, 7, v33
	v_lshrrev_b32_e32 v31, 3, v34
	s_mov_b32 s51, exec_lo
	v_cmpx_gt_u32_e32 8, v34
; %bb.36:                               ;   in Loop: Header=BB311_13 Depth=1
	s_delay_alu instid0(VALU_DEP_3) | instskip(NEXT) | instid1(VALU_DEP_1)
	v_clz_i32_u32_e32 v31, v3
	v_min_u32_e32 v31, 32, v31
	s_delay_alu instid0(VALU_DEP_1) | instskip(SKIP_1) | instid1(VALU_DEP_2)
	v_subrev_nc_u32_e32 v34, 28, v31
	v_sub_nc_u32_e32 v31, 29, v31
	v_lshlrev_b64 v[34:35], v34, v[3:4]
	s_delay_alu instid0(VALU_DEP_1)
	v_and_b32_e32 v3, 7, v34
; %bb.37:                               ;   in Loop: Header=BB311_13 Depth=1
	s_or_b32 exec_lo, exec_lo, s51
	v_lshlrev_b32_e32 v33, 8, v33
	v_lshl_add_u32 v31, v31, 10, 0x2000
	s_delay_alu instid0(VALU_DEP_1) | instskip(NEXT) | instid1(VALU_DEP_1)
	v_and_or_b32 v31, 0x8000, v33, v31
	v_lshl_or_b32 v3, v3, 7, v31
	s_delay_alu instid0(VALU_DEP_1)
	v_cvt_f32_f16_e32 v31, v3
.LBB311_38:                             ;   in Loop: Header=BB311_13 Depth=1
	s_or_b32 exec_lo, exec_lo, s50
.LBB311_39:                             ;   in Loop: Header=BB311_13 Depth=1
	s_delay_alu instid0(SALU_CYCLE_1)
	s_or_b32 exec_lo, exec_lo, s49
.LBB311_40:                             ;   in Loop: Header=BB311_13 Depth=1
	s_delay_alu instid0(SALU_CYCLE_1) | instskip(NEXT) | instid1(SALU_CYCLE_1)
	s_or_b32 exec_lo, exec_lo, s48
	s_mov_b32 s48, exec_lo
	v_cmpx_lt_u32_e32 0xffffff, v32
	s_cbranch_execz .LBB311_48
; %bb.41:                               ;   in Loop: Header=BB311_13 Depth=1
	v_lshrrev_b32_e32 v32, 24, v32
	v_bfrev_b32_e32 v30, 1
	s_mov_b32 s49, exec_lo
	s_delay_alu instid0(VALU_DEP_2)
	v_cmpx_ne_u32_e32 0x80, v32
	s_cbranch_execz .LBB311_47
; %bb.42:                               ;   in Loop: Header=BB311_13 Depth=1
	v_and_b32_e32 v33, 0x7f, v32
	v_mov_b32_e32 v30, 0x7fc02000
	s_mov_b32 s50, exec_lo
	s_delay_alu instid0(VALU_DEP_2)
	v_cmpx_ne_u32_e32 0x7f, v33
	s_cbranch_execz .LBB311_46
; %bb.43:                               ;   in Loop: Header=BB311_13 Depth=1
	v_and_b32_e32 v3, 7, v32
	v_lshrrev_b32_e32 v30, 3, v33
	s_mov_b32 s51, exec_lo
	v_cmpx_gt_u32_e32 8, v33
; %bb.44:                               ;   in Loop: Header=BB311_13 Depth=1
	s_delay_alu instid0(VALU_DEP_3) | instskip(NEXT) | instid1(VALU_DEP_1)
	v_clz_i32_u32_e32 v30, v3
	v_min_u32_e32 v30, 32, v30
	s_delay_alu instid0(VALU_DEP_1) | instskip(SKIP_1) | instid1(VALU_DEP_2)
	v_subrev_nc_u32_e32 v33, 28, v30
	v_sub_nc_u32_e32 v30, 29, v30
	v_lshlrev_b64 v[33:34], v33, v[3:4]
	s_delay_alu instid0(VALU_DEP_1)
	v_and_b32_e32 v3, 7, v33
; %bb.45:                               ;   in Loop: Header=BB311_13 Depth=1
	s_or_b32 exec_lo, exec_lo, s51
	v_lshlrev_b32_e32 v32, 8, v32
	v_lshl_add_u32 v30, v30, 10, 0x2000
	s_delay_alu instid0(VALU_DEP_1) | instskip(NEXT) | instid1(VALU_DEP_1)
	v_and_or_b32 v30, 0x8000, v32, v30
	v_lshl_or_b32 v3, v3, 7, v30
	s_delay_alu instid0(VALU_DEP_1)
	v_cvt_f32_f16_e32 v30, v3
.LBB311_46:                             ;   in Loop: Header=BB311_13 Depth=1
	s_or_b32 exec_lo, exec_lo, s50
.LBB311_47:                             ;   in Loop: Header=BB311_13 Depth=1
	s_delay_alu instid0(SALU_CYCLE_1)
	s_or_b32 exec_lo, exec_lo, s49
.LBB311_48:                             ;   in Loop: Header=BB311_13 Depth=1
	s_delay_alu instid0(SALU_CYCLE_1)
	s_or_b32 exec_lo, exec_lo, s48
	global_load_b32 v36, v[9:10], off offset:8
	v_mov_b32_e32 v33, 0
	s_mov_b32 s48, exec_lo
	s_waitcnt vmcnt(0)
	v_dual_mov_b32 v32, 0 :: v_dual_and_b32 v3, 0xff, v36
	s_delay_alu instid0(VALU_DEP_1)
	v_cmpx_ne_u16_e32 0, v3
	s_cbranch_execz .LBB311_56
; %bb.49:                               ;   in Loop: Header=BB311_13 Depth=1
	v_bfrev_b32_e32 v33, 1
	s_mov_b32 s49, exec_lo
	v_cmpx_ne_u16_e32 0x80, v3
	s_cbranch_execz .LBB311_55
; %bb.50:                               ;   in Loop: Header=BB311_13 Depth=1
	v_and_b32_e32 v34, 0x7f, v36
	v_mov_b32_e32 v33, 0x7fc02000
	s_mov_b32 s50, exec_lo
	s_delay_alu instid0(VALU_DEP_2)
	v_cmpx_ne_u32_e32 0x7f, v34
	s_cbranch_execz .LBB311_54
; %bb.51:                               ;   in Loop: Header=BB311_13 Depth=1
	v_and_b32_e32 v3, 7, v36
	v_lshrrev_b32_e32 v33, 3, v34
	s_mov_b32 s51, exec_lo
	v_cmpx_gt_u32_e32 8, v34
; %bb.52:                               ;   in Loop: Header=BB311_13 Depth=1
	s_delay_alu instid0(VALU_DEP_3) | instskip(NEXT) | instid1(VALU_DEP_1)
	v_clz_i32_u32_e32 v33, v3
	v_min_u32_e32 v33, 32, v33
	s_delay_alu instid0(VALU_DEP_1) | instskip(SKIP_1) | instid1(VALU_DEP_2)
	v_subrev_nc_u32_e32 v34, 28, v33
	v_sub_nc_u32_e32 v33, 29, v33
	v_lshlrev_b64 v[34:35], v34, v[3:4]
	s_delay_alu instid0(VALU_DEP_1)
	v_and_b32_e32 v3, 7, v34
; %bb.53:                               ;   in Loop: Header=BB311_13 Depth=1
	s_or_b32 exec_lo, exec_lo, s51
	v_lshlrev_b32_e32 v34, 8, v36
	v_lshl_add_u32 v33, v33, 10, 0x2000
	s_delay_alu instid0(VALU_DEP_1) | instskip(NEXT) | instid1(VALU_DEP_1)
	v_and_or_b32 v33, 0x8000, v34, v33
	v_lshl_or_b32 v3, v3, 7, v33
	s_delay_alu instid0(VALU_DEP_1)
	v_cvt_f32_f16_e32 v33, v3
.LBB311_54:                             ;   in Loop: Header=BB311_13 Depth=1
	s_or_b32 exec_lo, exec_lo, s50
.LBB311_55:                             ;   in Loop: Header=BB311_13 Depth=1
	s_delay_alu instid0(SALU_CYCLE_1)
	s_or_b32 exec_lo, exec_lo, s49
.LBB311_56:                             ;   in Loop: Header=BB311_13 Depth=1
	s_delay_alu instid0(SALU_CYCLE_1) | instskip(SKIP_2) | instid1(VALU_DEP_1)
	s_or_b32 exec_lo, exec_lo, s48
	v_lshrrev_b16 v3, 8, v36
	s_mov_b32 s48, exec_lo
	v_cmpx_ne_u16_e32 0, v3
	s_cbranch_execz .LBB311_64
; %bb.57:                               ;   in Loop: Header=BB311_13 Depth=1
	v_bfrev_b32_e32 v32, 1
	s_mov_b32 s49, exec_lo
	v_cmpx_ne_u16_e32 0x80, v3
	s_cbranch_execz .LBB311_63
; %bb.58:                               ;   in Loop: Header=BB311_13 Depth=1
	v_and_b32_e32 v34, 0xffff, v3
	v_mov_b32_e32 v32, 0x7fc02000
	s_mov_b32 s50, exec_lo
	s_delay_alu instid0(VALU_DEP_2) | instskip(NEXT) | instid1(VALU_DEP_1)
	v_and_b32_e32 v35, 0x7f, v34
	v_cmpx_ne_u32_e32 0x7f, v35
	s_cbranch_execz .LBB311_62
; %bb.59:                               ;   in Loop: Header=BB311_13 Depth=1
	v_and_b32_e32 v3, 7, v34
	v_lshrrev_b32_e32 v32, 3, v35
	s_mov_b32 s51, exec_lo
	v_cmpx_gt_u32_e32 8, v35
; %bb.60:                               ;   in Loop: Header=BB311_13 Depth=1
	s_delay_alu instid0(VALU_DEP_3) | instskip(NEXT) | instid1(VALU_DEP_1)
	v_clz_i32_u32_e32 v32, v3
	v_min_u32_e32 v32, 32, v32
	s_delay_alu instid0(VALU_DEP_1) | instskip(SKIP_1) | instid1(VALU_DEP_2)
	v_subrev_nc_u32_e32 v35, 28, v32
	v_sub_nc_u32_e32 v32, 29, v32
	v_lshlrev_b64 v[37:38], v35, v[3:4]
	s_delay_alu instid0(VALU_DEP_1)
	v_and_b32_e32 v3, 7, v37
; %bb.61:                               ;   in Loop: Header=BB311_13 Depth=1
	s_or_b32 exec_lo, exec_lo, s51
	v_lshlrev_b32_e32 v34, 8, v34
	v_lshl_add_u32 v32, v32, 10, 0x2000
	s_delay_alu instid0(VALU_DEP_1) | instskip(NEXT) | instid1(VALU_DEP_1)
	v_and_or_b32 v32, 0x8000, v34, v32
	v_lshl_or_b32 v3, v3, 7, v32
	s_delay_alu instid0(VALU_DEP_1)
	v_cvt_f32_f16_e32 v32, v3
.LBB311_62:                             ;   in Loop: Header=BB311_13 Depth=1
	s_or_b32 exec_lo, exec_lo, s50
.LBB311_63:                             ;   in Loop: Header=BB311_13 Depth=1
	s_delay_alu instid0(SALU_CYCLE_1)
	s_or_b32 exec_lo, exec_lo, s49
.LBB311_64:                             ;   in Loop: Header=BB311_13 Depth=1
	s_delay_alu instid0(SALU_CYCLE_1) | instskip(SKIP_3) | instid1(VALU_DEP_2)
	s_or_b32 exec_lo, exec_lo, s48
	v_lshrrev_b32_e32 v37, 16, v36
	v_mov_b32_e32 v35, 0
	s_mov_b32 s48, exec_lo
	v_dual_mov_b32 v34, 0 :: v_dual_and_b32 v3, 0xff, v37
	s_delay_alu instid0(VALU_DEP_1)
	v_cmpx_ne_u16_e32 0, v3
	s_cbranch_execz .LBB311_72
; %bb.65:                               ;   in Loop: Header=BB311_13 Depth=1
	v_bfrev_b32_e32 v35, 1
	s_mov_b32 s49, exec_lo
	v_cmpx_ne_u16_e32 0x80, v3
	s_cbranch_execz .LBB311_71
; %bb.66:                               ;   in Loop: Header=BB311_13 Depth=1
	v_bfe_u32 v38, v36, 16, 7
	v_mov_b32_e32 v35, 0x7fc02000
	s_mov_b32 s50, exec_lo
	s_delay_alu instid0(VALU_DEP_2)
	v_cmpx_ne_u32_e32 0x7f, v38
	s_cbranch_execz .LBB311_70
; %bb.67:                               ;   in Loop: Header=BB311_13 Depth=1
	v_and_b32_e32 v3, 7, v37
	v_lshrrev_b32_e32 v35, 3, v38
	s_mov_b32 s51, exec_lo
	v_cmpx_gt_u32_e32 8, v38
; %bb.68:                               ;   in Loop: Header=BB311_13 Depth=1
	s_delay_alu instid0(VALU_DEP_3) | instskip(NEXT) | instid1(VALU_DEP_1)
	v_clz_i32_u32_e32 v35, v3
	v_min_u32_e32 v35, 32, v35
	s_delay_alu instid0(VALU_DEP_1) | instskip(SKIP_1) | instid1(VALU_DEP_2)
	v_subrev_nc_u32_e32 v38, 28, v35
	v_sub_nc_u32_e32 v35, 29, v35
	v_lshlrev_b64 v[38:39], v38, v[3:4]
	s_delay_alu instid0(VALU_DEP_1)
	v_and_b32_e32 v3, 7, v38
; %bb.69:                               ;   in Loop: Header=BB311_13 Depth=1
	s_or_b32 exec_lo, exec_lo, s51
	v_lshlrev_b32_e32 v37, 8, v37
	v_lshl_add_u32 v35, v35, 10, 0x2000
	s_delay_alu instid0(VALU_DEP_1) | instskip(NEXT) | instid1(VALU_DEP_1)
	v_and_or_b32 v35, 0x8000, v37, v35
	v_lshl_or_b32 v3, v3, 7, v35
	s_delay_alu instid0(VALU_DEP_1)
	v_cvt_f32_f16_e32 v35, v3
.LBB311_70:                             ;   in Loop: Header=BB311_13 Depth=1
	s_or_b32 exec_lo, exec_lo, s50
.LBB311_71:                             ;   in Loop: Header=BB311_13 Depth=1
	s_delay_alu instid0(SALU_CYCLE_1)
	s_or_b32 exec_lo, exec_lo, s49
.LBB311_72:                             ;   in Loop: Header=BB311_13 Depth=1
	s_delay_alu instid0(SALU_CYCLE_1) | instskip(NEXT) | instid1(SALU_CYCLE_1)
	s_or_b32 exec_lo, exec_lo, s48
	s_mov_b32 s48, exec_lo
	v_cmpx_lt_u32_e32 0xffffff, v36
	s_cbranch_execz .LBB311_80
; %bb.73:                               ;   in Loop: Header=BB311_13 Depth=1
	v_lshrrev_b32_e32 v36, 24, v36
	v_bfrev_b32_e32 v34, 1
	s_mov_b32 s49, exec_lo
	s_delay_alu instid0(VALU_DEP_2)
	v_cmpx_ne_u32_e32 0x80, v36
	s_cbranch_execz .LBB311_79
; %bb.74:                               ;   in Loop: Header=BB311_13 Depth=1
	v_and_b32_e32 v37, 0x7f, v36
	v_mov_b32_e32 v34, 0x7fc02000
	s_mov_b32 s50, exec_lo
	s_delay_alu instid0(VALU_DEP_2)
	v_cmpx_ne_u32_e32 0x7f, v37
	s_cbranch_execz .LBB311_78
; %bb.75:                               ;   in Loop: Header=BB311_13 Depth=1
	v_and_b32_e32 v3, 7, v36
	v_lshrrev_b32_e32 v34, 3, v37
	s_mov_b32 s51, exec_lo
	v_cmpx_gt_u32_e32 8, v37
; %bb.76:                               ;   in Loop: Header=BB311_13 Depth=1
	s_delay_alu instid0(VALU_DEP_3) | instskip(NEXT) | instid1(VALU_DEP_1)
	v_clz_i32_u32_e32 v34, v3
	v_min_u32_e32 v34, 32, v34
	s_delay_alu instid0(VALU_DEP_1) | instskip(SKIP_1) | instid1(VALU_DEP_2)
	v_subrev_nc_u32_e32 v37, 28, v34
	v_sub_nc_u32_e32 v34, 29, v34
	v_lshlrev_b64 v[37:38], v37, v[3:4]
	s_delay_alu instid0(VALU_DEP_1)
	v_and_b32_e32 v3, 7, v37
; %bb.77:                               ;   in Loop: Header=BB311_13 Depth=1
	s_or_b32 exec_lo, exec_lo, s51
	v_lshlrev_b32_e32 v36, 8, v36
	v_lshl_add_u32 v34, v34, 10, 0x2000
	s_delay_alu instid0(VALU_DEP_1) | instskip(NEXT) | instid1(VALU_DEP_1)
	v_and_or_b32 v34, 0x8000, v36, v34
	v_lshl_or_b32 v3, v3, 7, v34
	s_delay_alu instid0(VALU_DEP_1)
	v_cvt_f32_f16_e32 v34, v3
.LBB311_78:                             ;   in Loop: Header=BB311_13 Depth=1
	s_or_b32 exec_lo, exec_lo, s50
.LBB311_79:                             ;   in Loop: Header=BB311_13 Depth=1
	s_delay_alu instid0(SALU_CYCLE_1)
	s_or_b32 exec_lo, exec_lo, s49
.LBB311_80:                             ;   in Loop: Header=BB311_13 Depth=1
	s_delay_alu instid0(SALU_CYCLE_1)
	s_or_b32 exec_lo, exec_lo, s48
	global_load_b32 v40, v[9:10], off offset:256
	v_mov_b32_e32 v37, 0
	s_mov_b32 s48, exec_lo
	s_waitcnt vmcnt(0)
	v_dual_mov_b32 v36, 0 :: v_dual_and_b32 v3, 0xff, v40
	s_delay_alu instid0(VALU_DEP_1)
	v_cmpx_ne_u16_e32 0, v3
	s_cbranch_execz .LBB311_88
; %bb.81:                               ;   in Loop: Header=BB311_13 Depth=1
	v_bfrev_b32_e32 v37, 1
	s_mov_b32 s49, exec_lo
	v_cmpx_ne_u16_e32 0x80, v3
	s_cbranch_execz .LBB311_87
; %bb.82:                               ;   in Loop: Header=BB311_13 Depth=1
	v_and_b32_e32 v38, 0x7f, v40
	v_mov_b32_e32 v37, 0x7fc02000
	s_mov_b32 s50, exec_lo
	s_delay_alu instid0(VALU_DEP_2)
	v_cmpx_ne_u32_e32 0x7f, v38
	s_cbranch_execz .LBB311_86
; %bb.83:                               ;   in Loop: Header=BB311_13 Depth=1
	v_and_b32_e32 v3, 7, v40
	v_lshrrev_b32_e32 v37, 3, v38
	s_mov_b32 s51, exec_lo
	v_cmpx_gt_u32_e32 8, v38
; %bb.84:                               ;   in Loop: Header=BB311_13 Depth=1
	s_delay_alu instid0(VALU_DEP_3) | instskip(NEXT) | instid1(VALU_DEP_1)
	v_clz_i32_u32_e32 v37, v3
	v_min_u32_e32 v37, 32, v37
	s_delay_alu instid0(VALU_DEP_1) | instskip(SKIP_1) | instid1(VALU_DEP_2)
	v_subrev_nc_u32_e32 v38, 28, v37
	v_sub_nc_u32_e32 v37, 29, v37
	v_lshlrev_b64 v[38:39], v38, v[3:4]
	s_delay_alu instid0(VALU_DEP_1)
	v_and_b32_e32 v3, 7, v38
; %bb.85:                               ;   in Loop: Header=BB311_13 Depth=1
	s_or_b32 exec_lo, exec_lo, s51
	v_lshlrev_b32_e32 v38, 8, v40
	v_lshl_add_u32 v37, v37, 10, 0x2000
	s_delay_alu instid0(VALU_DEP_1) | instskip(NEXT) | instid1(VALU_DEP_1)
	v_and_or_b32 v37, 0x8000, v38, v37
	v_lshl_or_b32 v3, v3, 7, v37
	s_delay_alu instid0(VALU_DEP_1)
	v_cvt_f32_f16_e32 v37, v3
.LBB311_86:                             ;   in Loop: Header=BB311_13 Depth=1
	s_or_b32 exec_lo, exec_lo, s50
.LBB311_87:                             ;   in Loop: Header=BB311_13 Depth=1
	s_delay_alu instid0(SALU_CYCLE_1)
	s_or_b32 exec_lo, exec_lo, s49
.LBB311_88:                             ;   in Loop: Header=BB311_13 Depth=1
	s_delay_alu instid0(SALU_CYCLE_1) | instskip(SKIP_2) | instid1(VALU_DEP_1)
	s_or_b32 exec_lo, exec_lo, s48
	v_lshrrev_b16 v3, 8, v40
	s_mov_b32 s48, exec_lo
	v_cmpx_ne_u16_e32 0, v3
	s_cbranch_execz .LBB311_96
; %bb.89:                               ;   in Loop: Header=BB311_13 Depth=1
	v_bfrev_b32_e32 v36, 1
	s_mov_b32 s49, exec_lo
	v_cmpx_ne_u16_e32 0x80, v3
	s_cbranch_execz .LBB311_95
; %bb.90:                               ;   in Loop: Header=BB311_13 Depth=1
	v_and_b32_e32 v38, 0xffff, v3
	v_mov_b32_e32 v36, 0x7fc02000
	s_mov_b32 s50, exec_lo
	s_delay_alu instid0(VALU_DEP_2) | instskip(NEXT) | instid1(VALU_DEP_1)
	v_and_b32_e32 v39, 0x7f, v38
	v_cmpx_ne_u32_e32 0x7f, v39
	s_cbranch_execz .LBB311_94
; %bb.91:                               ;   in Loop: Header=BB311_13 Depth=1
	v_and_b32_e32 v3, 7, v38
	v_lshrrev_b32_e32 v36, 3, v39
	s_mov_b32 s51, exec_lo
	v_cmpx_gt_u32_e32 8, v39
; %bb.92:                               ;   in Loop: Header=BB311_13 Depth=1
	s_delay_alu instid0(VALU_DEP_3) | instskip(NEXT) | instid1(VALU_DEP_1)
	v_clz_i32_u32_e32 v36, v3
	v_min_u32_e32 v36, 32, v36
	s_delay_alu instid0(VALU_DEP_1) | instskip(SKIP_1) | instid1(VALU_DEP_2)
	v_subrev_nc_u32_e32 v39, 28, v36
	v_sub_nc_u32_e32 v36, 29, v36
	v_lshlrev_b64 v[41:42], v39, v[3:4]
	s_delay_alu instid0(VALU_DEP_1)
	v_and_b32_e32 v3, 7, v41
; %bb.93:                               ;   in Loop: Header=BB311_13 Depth=1
	s_or_b32 exec_lo, exec_lo, s51
	v_lshlrev_b32_e32 v38, 8, v38
	v_lshl_add_u32 v36, v36, 10, 0x2000
	s_delay_alu instid0(VALU_DEP_1) | instskip(NEXT) | instid1(VALU_DEP_1)
	v_and_or_b32 v36, 0x8000, v38, v36
	v_lshl_or_b32 v3, v3, 7, v36
	s_delay_alu instid0(VALU_DEP_1)
	v_cvt_f32_f16_e32 v36, v3
.LBB311_94:                             ;   in Loop: Header=BB311_13 Depth=1
	s_or_b32 exec_lo, exec_lo, s50
.LBB311_95:                             ;   in Loop: Header=BB311_13 Depth=1
	s_delay_alu instid0(SALU_CYCLE_1)
	s_or_b32 exec_lo, exec_lo, s49
.LBB311_96:                             ;   in Loop: Header=BB311_13 Depth=1
	s_delay_alu instid0(SALU_CYCLE_1) | instskip(SKIP_3) | instid1(VALU_DEP_2)
	s_or_b32 exec_lo, exec_lo, s48
	v_lshrrev_b32_e32 v41, 16, v40
	v_mov_b32_e32 v39, 0
	s_mov_b32 s48, exec_lo
	v_dual_mov_b32 v38, 0 :: v_dual_and_b32 v3, 0xff, v41
	s_delay_alu instid0(VALU_DEP_1)
	v_cmpx_ne_u16_e32 0, v3
	s_cbranch_execz .LBB311_104
; %bb.97:                               ;   in Loop: Header=BB311_13 Depth=1
	v_bfrev_b32_e32 v39, 1
	s_mov_b32 s49, exec_lo
	v_cmpx_ne_u16_e32 0x80, v3
	s_cbranch_execz .LBB311_103
; %bb.98:                               ;   in Loop: Header=BB311_13 Depth=1
	v_bfe_u32 v42, v40, 16, 7
	v_mov_b32_e32 v39, 0x7fc02000
	s_mov_b32 s50, exec_lo
	s_delay_alu instid0(VALU_DEP_2)
	v_cmpx_ne_u32_e32 0x7f, v42
	s_cbranch_execz .LBB311_102
; %bb.99:                               ;   in Loop: Header=BB311_13 Depth=1
	v_and_b32_e32 v3, 7, v41
	v_lshrrev_b32_e32 v39, 3, v42
	s_mov_b32 s51, exec_lo
	v_cmpx_gt_u32_e32 8, v42
; %bb.100:                              ;   in Loop: Header=BB311_13 Depth=1
	s_delay_alu instid0(VALU_DEP_3) | instskip(NEXT) | instid1(VALU_DEP_1)
	v_clz_i32_u32_e32 v39, v3
	v_min_u32_e32 v39, 32, v39
	s_delay_alu instid0(VALU_DEP_1) | instskip(SKIP_1) | instid1(VALU_DEP_2)
	v_subrev_nc_u32_e32 v42, 28, v39
	v_sub_nc_u32_e32 v39, 29, v39
	v_lshlrev_b64 v[42:43], v42, v[3:4]
	s_delay_alu instid0(VALU_DEP_1)
	v_and_b32_e32 v3, 7, v42
; %bb.101:                              ;   in Loop: Header=BB311_13 Depth=1
	s_or_b32 exec_lo, exec_lo, s51
	v_lshlrev_b32_e32 v41, 8, v41
	v_lshl_add_u32 v39, v39, 10, 0x2000
	s_delay_alu instid0(VALU_DEP_1) | instskip(NEXT) | instid1(VALU_DEP_1)
	v_and_or_b32 v39, 0x8000, v41, v39
	v_lshl_or_b32 v3, v3, 7, v39
	s_delay_alu instid0(VALU_DEP_1)
	v_cvt_f32_f16_e32 v39, v3
.LBB311_102:                            ;   in Loop: Header=BB311_13 Depth=1
	s_or_b32 exec_lo, exec_lo, s50
.LBB311_103:                            ;   in Loop: Header=BB311_13 Depth=1
	s_delay_alu instid0(SALU_CYCLE_1)
	s_or_b32 exec_lo, exec_lo, s49
.LBB311_104:                            ;   in Loop: Header=BB311_13 Depth=1
	s_delay_alu instid0(SALU_CYCLE_1) | instskip(NEXT) | instid1(SALU_CYCLE_1)
	s_or_b32 exec_lo, exec_lo, s48
	s_mov_b32 s48, exec_lo
	v_cmpx_lt_u32_e32 0xffffff, v40
	s_cbranch_execz .LBB311_112
; %bb.105:                              ;   in Loop: Header=BB311_13 Depth=1
	v_lshrrev_b32_e32 v40, 24, v40
	v_bfrev_b32_e32 v38, 1
	s_mov_b32 s49, exec_lo
	s_delay_alu instid0(VALU_DEP_2)
	v_cmpx_ne_u32_e32 0x80, v40
	s_cbranch_execz .LBB311_111
; %bb.106:                              ;   in Loop: Header=BB311_13 Depth=1
	v_and_b32_e32 v41, 0x7f, v40
	v_mov_b32_e32 v38, 0x7fc02000
	s_mov_b32 s50, exec_lo
	s_delay_alu instid0(VALU_DEP_2)
	v_cmpx_ne_u32_e32 0x7f, v41
	s_cbranch_execz .LBB311_110
; %bb.107:                              ;   in Loop: Header=BB311_13 Depth=1
	v_and_b32_e32 v3, 7, v40
	v_lshrrev_b32_e32 v38, 3, v41
	s_mov_b32 s51, exec_lo
	v_cmpx_gt_u32_e32 8, v41
; %bb.108:                              ;   in Loop: Header=BB311_13 Depth=1
	s_delay_alu instid0(VALU_DEP_3) | instskip(NEXT) | instid1(VALU_DEP_1)
	v_clz_i32_u32_e32 v38, v3
	v_min_u32_e32 v38, 32, v38
	s_delay_alu instid0(VALU_DEP_1) | instskip(SKIP_1) | instid1(VALU_DEP_2)
	v_subrev_nc_u32_e32 v41, 28, v38
	v_sub_nc_u32_e32 v38, 29, v38
	v_lshlrev_b64 v[41:42], v41, v[3:4]
	s_delay_alu instid0(VALU_DEP_1)
	v_and_b32_e32 v3, 7, v41
; %bb.109:                              ;   in Loop: Header=BB311_13 Depth=1
	s_or_b32 exec_lo, exec_lo, s51
	v_lshlrev_b32_e32 v40, 8, v40
	v_lshl_add_u32 v38, v38, 10, 0x2000
	s_delay_alu instid0(VALU_DEP_1) | instskip(NEXT) | instid1(VALU_DEP_1)
	v_and_or_b32 v38, 0x8000, v40, v38
	v_lshl_or_b32 v3, v3, 7, v38
	s_delay_alu instid0(VALU_DEP_1)
	v_cvt_f32_f16_e32 v38, v3
.LBB311_110:                            ;   in Loop: Header=BB311_13 Depth=1
	s_or_b32 exec_lo, exec_lo, s50
.LBB311_111:                            ;   in Loop: Header=BB311_13 Depth=1
	s_delay_alu instid0(SALU_CYCLE_1)
	s_or_b32 exec_lo, exec_lo, s49
.LBB311_112:                            ;   in Loop: Header=BB311_13 Depth=1
	s_delay_alu instid0(SALU_CYCLE_1)
	s_or_b32 exec_lo, exec_lo, s48
	global_load_b32 v42, v[9:10], off offset:264
	v_mov_b32_e32 v9, 0
	s_mov_b32 s48, exec_lo
	s_waitcnt vmcnt(0)
	v_dual_mov_b32 v10, 0 :: v_dual_and_b32 v3, 0xff, v42
	s_delay_alu instid0(VALU_DEP_1)
	v_cmpx_ne_u16_e32 0, v3
	s_cbranch_execz .LBB311_120
; %bb.113:                              ;   in Loop: Header=BB311_13 Depth=1
	v_bfrev_b32_e32 v10, 1
	s_mov_b32 s49, exec_lo
	v_cmpx_ne_u16_e32 0x80, v3
	s_cbranch_execz .LBB311_119
; %bb.114:                              ;   in Loop: Header=BB311_13 Depth=1
	v_and_b32_e32 v40, 0x7f, v42
	v_mov_b32_e32 v10, 0x7fc02000
	s_mov_b32 s50, exec_lo
	s_delay_alu instid0(VALU_DEP_2)
	v_cmpx_ne_u32_e32 0x7f, v40
	s_cbranch_execz .LBB311_118
; %bb.115:                              ;   in Loop: Header=BB311_13 Depth=1
	v_and_b32_e32 v3, 7, v42
	v_lshrrev_b32_e32 v10, 3, v40
	s_mov_b32 s51, exec_lo
	v_cmpx_gt_u32_e32 8, v40
; %bb.116:                              ;   in Loop: Header=BB311_13 Depth=1
	s_delay_alu instid0(VALU_DEP_3) | instskip(NEXT) | instid1(VALU_DEP_1)
	v_clz_i32_u32_e32 v10, v3
	v_min_u32_e32 v10, 32, v10
	s_delay_alu instid0(VALU_DEP_1) | instskip(SKIP_1) | instid1(VALU_DEP_2)
	v_subrev_nc_u32_e32 v40, 28, v10
	v_sub_nc_u32_e32 v10, 29, v10
	v_lshlrev_b64 v[40:41], v40, v[3:4]
	s_delay_alu instid0(VALU_DEP_1)
	v_and_b32_e32 v3, 7, v40
; %bb.117:                              ;   in Loop: Header=BB311_13 Depth=1
	s_or_b32 exec_lo, exec_lo, s51
	v_lshlrev_b32_e32 v40, 8, v42
	v_lshl_add_u32 v10, v10, 10, 0x2000
	s_delay_alu instid0(VALU_DEP_1) | instskip(NEXT) | instid1(VALU_DEP_1)
	v_and_or_b32 v10, 0x8000, v40, v10
	v_lshl_or_b32 v3, v3, 7, v10
	s_delay_alu instid0(VALU_DEP_1)
	v_cvt_f32_f16_e32 v10, v3
.LBB311_118:                            ;   in Loop: Header=BB311_13 Depth=1
	s_or_b32 exec_lo, exec_lo, s50
.LBB311_119:                            ;   in Loop: Header=BB311_13 Depth=1
	s_delay_alu instid0(SALU_CYCLE_1)
	s_or_b32 exec_lo, exec_lo, s49
.LBB311_120:                            ;   in Loop: Header=BB311_13 Depth=1
	s_delay_alu instid0(SALU_CYCLE_1) | instskip(SKIP_2) | instid1(VALU_DEP_1)
	s_or_b32 exec_lo, exec_lo, s48
	v_lshrrev_b16 v3, 8, v42
	s_mov_b32 s48, exec_lo
	v_cmpx_ne_u16_e32 0, v3
	s_cbranch_execz .LBB311_128
; %bb.121:                              ;   in Loop: Header=BB311_13 Depth=1
	v_bfrev_b32_e32 v9, 1
	s_mov_b32 s49, exec_lo
	v_cmpx_ne_u16_e32 0x80, v3
	s_cbranch_execz .LBB311_127
; %bb.122:                              ;   in Loop: Header=BB311_13 Depth=1
	v_and_b32_e32 v40, 0xffff, v3
	v_mov_b32_e32 v9, 0x7fc02000
	s_mov_b32 s50, exec_lo
	s_delay_alu instid0(VALU_DEP_2) | instskip(NEXT) | instid1(VALU_DEP_1)
	v_and_b32_e32 v41, 0x7f, v40
	v_cmpx_ne_u32_e32 0x7f, v41
	s_cbranch_execz .LBB311_126
; %bb.123:                              ;   in Loop: Header=BB311_13 Depth=1
	v_and_b32_e32 v3, 7, v40
	v_lshrrev_b32_e32 v9, 3, v41
	s_mov_b32 s51, exec_lo
	v_cmpx_gt_u32_e32 8, v41
; %bb.124:                              ;   in Loop: Header=BB311_13 Depth=1
	s_delay_alu instid0(VALU_DEP_3) | instskip(NEXT) | instid1(VALU_DEP_1)
	v_clz_i32_u32_e32 v9, v3
	v_min_u32_e32 v9, 32, v9
	s_delay_alu instid0(VALU_DEP_1) | instskip(SKIP_1) | instid1(VALU_DEP_2)
	v_subrev_nc_u32_e32 v41, 28, v9
	v_sub_nc_u32_e32 v9, 29, v9
	v_lshlrev_b64 v[43:44], v41, v[3:4]
	s_delay_alu instid0(VALU_DEP_1)
	v_and_b32_e32 v3, 7, v43
; %bb.125:                              ;   in Loop: Header=BB311_13 Depth=1
	s_or_b32 exec_lo, exec_lo, s51
	v_lshlrev_b32_e32 v40, 8, v40
	v_lshl_add_u32 v9, v9, 10, 0x2000
	s_delay_alu instid0(VALU_DEP_1) | instskip(NEXT) | instid1(VALU_DEP_1)
	v_and_or_b32 v9, 0x8000, v40, v9
	v_lshl_or_b32 v3, v3, 7, v9
	s_delay_alu instid0(VALU_DEP_1)
	v_cvt_f32_f16_e32 v9, v3
.LBB311_126:                            ;   in Loop: Header=BB311_13 Depth=1
	s_or_b32 exec_lo, exec_lo, s50
.LBB311_127:                            ;   in Loop: Header=BB311_13 Depth=1
	s_delay_alu instid0(SALU_CYCLE_1)
	s_or_b32 exec_lo, exec_lo, s49
.LBB311_128:                            ;   in Loop: Header=BB311_13 Depth=1
	s_delay_alu instid0(SALU_CYCLE_1) | instskip(SKIP_3) | instid1(VALU_DEP_2)
	s_or_b32 exec_lo, exec_lo, s48
	v_lshrrev_b32_e32 v43, 16, v42
	v_mov_b32_e32 v41, 0
	s_mov_b32 s48, exec_lo
	v_dual_mov_b32 v40, 0 :: v_dual_and_b32 v3, 0xff, v43
	s_delay_alu instid0(VALU_DEP_1)
	v_cmpx_ne_u16_e32 0, v3
	s_cbranch_execz .LBB311_136
; %bb.129:                              ;   in Loop: Header=BB311_13 Depth=1
	v_bfrev_b32_e32 v41, 1
	s_mov_b32 s49, exec_lo
	v_cmpx_ne_u16_e32 0x80, v3
	s_cbranch_execz .LBB311_135
; %bb.130:                              ;   in Loop: Header=BB311_13 Depth=1
	v_bfe_u32 v44, v42, 16, 7
	v_mov_b32_e32 v41, 0x7fc02000
	s_mov_b32 s50, exec_lo
	s_delay_alu instid0(VALU_DEP_2)
	v_cmpx_ne_u32_e32 0x7f, v44
	s_cbranch_execz .LBB311_134
; %bb.131:                              ;   in Loop: Header=BB311_13 Depth=1
	v_and_b32_e32 v3, 7, v43
	v_lshrrev_b32_e32 v41, 3, v44
	s_mov_b32 s51, exec_lo
	v_cmpx_gt_u32_e32 8, v44
; %bb.132:                              ;   in Loop: Header=BB311_13 Depth=1
	s_delay_alu instid0(VALU_DEP_3) | instskip(NEXT) | instid1(VALU_DEP_1)
	v_clz_i32_u32_e32 v41, v3
	v_min_u32_e32 v41, 32, v41
	s_delay_alu instid0(VALU_DEP_1) | instskip(SKIP_1) | instid1(VALU_DEP_2)
	v_subrev_nc_u32_e32 v44, 28, v41
	v_sub_nc_u32_e32 v41, 29, v41
	v_lshlrev_b64 v[44:45], v44, v[3:4]
	s_delay_alu instid0(VALU_DEP_1)
	v_and_b32_e32 v3, 7, v44
; %bb.133:                              ;   in Loop: Header=BB311_13 Depth=1
	s_or_b32 exec_lo, exec_lo, s51
	v_lshlrev_b32_e32 v43, 8, v43
	v_lshl_add_u32 v41, v41, 10, 0x2000
	s_delay_alu instid0(VALU_DEP_1) | instskip(NEXT) | instid1(VALU_DEP_1)
	v_and_or_b32 v41, 0x8000, v43, v41
	v_lshl_or_b32 v3, v3, 7, v41
	s_delay_alu instid0(VALU_DEP_1)
	v_cvt_f32_f16_e32 v41, v3
.LBB311_134:                            ;   in Loop: Header=BB311_13 Depth=1
	s_or_b32 exec_lo, exec_lo, s50
.LBB311_135:                            ;   in Loop: Header=BB311_13 Depth=1
	s_delay_alu instid0(SALU_CYCLE_1)
	s_or_b32 exec_lo, exec_lo, s49
.LBB311_136:                            ;   in Loop: Header=BB311_13 Depth=1
	s_delay_alu instid0(SALU_CYCLE_1) | instskip(NEXT) | instid1(SALU_CYCLE_1)
	s_or_b32 exec_lo, exec_lo, s48
	s_mov_b32 s48, exec_lo
	v_cmpx_lt_u32_e32 0xffffff, v42
	s_cbranch_execz .LBB311_144
; %bb.137:                              ;   in Loop: Header=BB311_13 Depth=1
	v_lshrrev_b32_e32 v42, 24, v42
	v_bfrev_b32_e32 v40, 1
	s_mov_b32 s49, exec_lo
	s_delay_alu instid0(VALU_DEP_2)
	v_cmpx_ne_u32_e32 0x80, v42
	s_cbranch_execz .LBB311_143
; %bb.138:                              ;   in Loop: Header=BB311_13 Depth=1
	v_and_b32_e32 v43, 0x7f, v42
	v_mov_b32_e32 v40, 0x7fc02000
	s_mov_b32 s50, exec_lo
	s_delay_alu instid0(VALU_DEP_2)
	v_cmpx_ne_u32_e32 0x7f, v43
	s_cbranch_execz .LBB311_142
; %bb.139:                              ;   in Loop: Header=BB311_13 Depth=1
	v_and_b32_e32 v3, 7, v42
	v_lshrrev_b32_e32 v40, 3, v43
	s_mov_b32 s51, exec_lo
	v_cmpx_gt_u32_e32 8, v43
; %bb.140:                              ;   in Loop: Header=BB311_13 Depth=1
	s_delay_alu instid0(VALU_DEP_3) | instskip(NEXT) | instid1(VALU_DEP_1)
	v_clz_i32_u32_e32 v40, v3
	v_min_u32_e32 v40, 32, v40
	s_delay_alu instid0(VALU_DEP_1) | instskip(SKIP_1) | instid1(VALU_DEP_2)
	v_subrev_nc_u32_e32 v43, 28, v40
	v_sub_nc_u32_e32 v40, 29, v40
	v_lshlrev_b64 v[43:44], v43, v[3:4]
	s_delay_alu instid0(VALU_DEP_1)
	v_and_b32_e32 v3, 7, v43
; %bb.141:                              ;   in Loop: Header=BB311_13 Depth=1
	s_or_b32 exec_lo, exec_lo, s51
	v_lshlrev_b32_e32 v42, 8, v42
	v_lshl_add_u32 v40, v40, 10, 0x2000
	s_delay_alu instid0(VALU_DEP_1) | instskip(NEXT) | instid1(VALU_DEP_1)
	v_and_or_b32 v40, 0x8000, v42, v40
	v_lshl_or_b32 v3, v3, 7, v40
	s_delay_alu instid0(VALU_DEP_1)
	v_cvt_f32_f16_e32 v40, v3
.LBB311_142:                            ;   in Loop: Header=BB311_13 Depth=1
	s_or_b32 exec_lo, exec_lo, s50
.LBB311_143:                            ;   in Loop: Header=BB311_13 Depth=1
	s_delay_alu instid0(SALU_CYCLE_1)
	s_or_b32 exec_lo, exec_lo, s49
.LBB311_144:                            ;   in Loop: Header=BB311_13 Depth=1
	s_delay_alu instid0(SALU_CYCLE_1)
	s_or_b32 exec_lo, exec_lo, s48
	ds_load_b64 v[42:43], v20
	v_fma_mixlo_f16 v3, v27, v29, 0
	v_fma_mixlo_f16 v28, v27, v28, 0
	;; [unrolled: 1-line block ×5, first 2 shown]
	v_and_b32_e32 v3, 0xffff, v3
	v_and_b32_e32 v28, 0xffff, v28
	;; [unrolled: 1-line block ×5, first 2 shown]
	v_fma_mixlo_f16 v32, v27, v32, 0
	v_fma_mixlo_f16 v35, v27, v35, 0
	;; [unrolled: 1-line block ×6, first 2 shown]
	v_and_b32_e32 v35, 0xffff, v35
	v_fma_mixlo_f16 v38, v27, v38, 0
	v_fma_mixlo_f16 v10, v27, v10, 0
	s_waitcnt lgkmcnt(0)
	v_and_b32_e32 v31, 0xffff, v42
	v_lshrrev_b32_e32 v42, 16, v42
	v_lshrrev_b32_e32 v44, 16, v43
	v_and_b32_e32 v43, 0xffff, v43
	;;#ASMSTART
	v_cvt_f32_f16 v31, v31;
	;;#ASMEND
	;;#ASMSTART
	v_cvt_f32_f16 v42, v42;
	;;#ASMEND
	;; [unrolled: 3-line block ×8, first 2 shown]
	ds_load_b64 v[28:29], v20 offset:8
	v_and_b32_e32 v37, 0xffff, v37
	v_and_b32_e32 v39, 0xffff, v39
	v_fma_mixlo_f16 v9, v27, v9, 0
	v_fma_mixlo_f16 v41, v27, v41, 0
	v_fma_mixlo_f16 v27, v27, v40, 0
	s_delay_alu instid0(VALU_DEP_3)
	v_and_b32_e32 v9, 0xffff, v9
	s_waitcnt lgkmcnt(0)
	v_and_b32_e32 v47, 0xffff, v28
	v_lshrrev_b32_e32 v28, 16, v28
	;;#ASMSTART
	v_cvt_f32_f16 v47, v47;
	;;#ASMEND
	;;#ASMSTART
	v_cvt_f32_f16 v49, v28;
	;;#ASMEND
	;;#ASMSTART
	v_cvt_f32_f16 v33, v33;
	;;#ASMEND
	v_dual_mul_f32 v33, v47, v33 :: v_dual_and_b32 v32, 0xffff, v32
	v_lshrrev_b32_e32 v48, 16, v29
	v_and_b32_e32 v29, 0xffff, v29
	s_delay_alu instid0(VALU_DEP_3)
	v_dual_fmac_f32 v33, v31, v3 :: v_dual_and_b32 v34, 0xffff, v34
	;;#ASMSTART
	v_cvt_f32_f16 v32, v32;
	;;#ASMEND
	;;#ASMSTART
	v_cvt_f32_f16 v50, v29;
	;;#ASMEND
	;;#ASMSTART
	v_cvt_f32_f16 v48, v48;
	;;#ASMEND
	;;#ASMSTART
	v_cvt_f32_f16 v35, v35;
	;;#ASMEND
	;;#ASMSTART
	v_cvt_f32_f16 v34, v34;
	;;#ASMEND
	ds_load_b64 v[28:29], v20 offset:16
	v_dual_mul_f32 v35, v50, v35 :: v_dual_and_b32 v36, 0xffff, v36
	v_mul_f32_e32 v32, v49, v32
	v_dual_mul_f32 v34, v48, v34 :: v_dual_and_b32 v3, 0xffff, v27
	s_delay_alu instid0(VALU_DEP_2) | instskip(SKIP_1) | instid1(VALU_DEP_2)
	v_dual_fmac_f32 v35, v43, v46 :: v_dual_fmac_f32 v32, v42, v45
	s_waitcnt lgkmcnt(0)
	v_dual_fmac_f32 v34, v44, v30 :: v_dual_and_b32 v51, 0xffff, v28
	v_lshrrev_b32_e32 v52, 16, v29
	v_lshrrev_b32_e32 v28, 16, v28
	v_and_b32_e32 v29, 0xffff, v29
	;;#ASMSTART
	v_cvt_f32_f16 v51, v51;
	;;#ASMEND
	;;#ASMSTART
	v_cvt_f32_f16 v53, v28;
	;;#ASMEND
	;; [unrolled: 3-line block ×7, first 2 shown]
	v_dual_fmac_f32 v35, v54, v39 :: v_dual_and_b32 v38, 0xffff, v38
	;;#ASMSTART
	v_cvt_f32_f16 v38, v38;
	;;#ASMEND
	ds_load_b64 v[28:29], v20 offset:24
	v_dual_fmac_f32 v33, v51, v37 :: v_dual_fmac_f32 v32, v53, v36
	v_and_b32_e32 v10, 0xffff, v10
	s_waitcnt lgkmcnt(0)
	v_dual_fmac_f32 v34, v52, v38 :: v_dual_and_b32 v27, 0xffff, v28
	v_lshrrev_b32_e32 v28, 16, v28
	;;#ASMSTART
	v_cvt_f32_f16 v27, v27;
	;;#ASMEND
	;;#ASMSTART
	v_cvt_f32_f16 v28, v28;
	;;#ASMEND
	;; [unrolled: 3-line block ×4, first 2 shown]
	v_dual_fmac_f32 v33, v27, v10 :: v_dual_and_b32 v40, 0xffff, v41
	v_lshrrev_b32_e32 v30, 16, v29
	v_and_b32_e32 v29, 0xffff, v29
	v_fmac_f32_e32 v32, v28, v9
	;;#ASMSTART
	v_cvt_f32_f16 v9, v29;
	;;#ASMEND
	;;#ASMSTART
	v_cvt_f32_f16 v10, v30;
	;;#ASMEND
	;; [unrolled: 3-line block ×3, first 2 shown]
	v_fmac_f32_e32 v35, v9, v27
	v_xor_b32_e32 v27, 1, v12
	v_add_f32_e32 v9, v33, v32
	;;#ASMSTART
	v_cvt_f32_f16 v3, v3;
	;;#ASMEND
	v_fmac_f32_e32 v34, v10, v3
	s_delay_alu instid0(VALU_DEP_3) | instskip(NEXT) | instid1(VALU_DEP_3)
	v_cmp_gt_i32_e64 s1, 32, v27
	v_add_f32_e32 v3, v9, v35
	s_delay_alu instid0(VALU_DEP_2) | instskip(NEXT) | instid1(VALU_DEP_2)
	v_cndmask_b32_e64 v9, v12, v27, s1
	v_add_f32_e32 v3, v34, v3
	s_delay_alu instid0(VALU_DEP_2)
	v_lshlrev_b32_e32 v9, 2, v9
	ds_bpermute_b32 v9, v9, v3
	s_and_saveexec_b32 s48, vcc_lo
	s_cbranch_execz .LBB311_11
; %bb.145:                              ;   in Loop: Header=BB311_13 Depth=1
	s_waitcnt lgkmcnt(0)
	v_add_f32_e32 v3, v3, v9
	v_add_nc_u32_e32 v10, v23, v21
	s_delay_alu instid0(VALU_DEP_1) | instskip(NEXT) | instid1(VALU_DEP_1)
	v_cvt_f32_i32_e32 v10, v10
	v_mul_f32_e32 v10, s43, v10
	s_delay_alu instid0(VALU_DEP_1) | instskip(NEXT) | instid1(VALU_DEP_1)
	v_cndmask_b32_e64 v9, 0, v10, s0
	v_dual_max_f32 v10, v13, v13 :: v_dual_fmac_f32 v9, s39, v3
	v_add_nc_u32_e32 v3, v14, v21
	s_delay_alu instid0(VALU_DEP_2) | instskip(NEXT) | instid1(VALU_DEP_2)
	v_max_f32_e32 v10, v10, v9
	v_cmp_gt_i32_e64 s1, s15, v3
	s_delay_alu instid0(VALU_DEP_1) | instskip(NEXT) | instid1(VALU_DEP_3)
	v_cndmask_b32_e64 v3, 0, v9, s1
	v_cndmask_b32_e64 v13, v13, v10, s1
	ds_store_b32 v24, v3
	s_branch .LBB311_11
.LBB311_146:
	s_or_b32 exec_lo, exec_lo, s46
.LBB311_147:
	s_delay_alu instid0(SALU_CYCLE_1)
	s_or_b32 exec_lo, exec_lo, s10
	v_xor_b32_e32 v3, 16, v12
	v_xor_b32_e32 v4, 8, v12
	v_dual_max_f32 v6, v13, v13 :: v_dual_and_b32 v19, 31, v0
	s_waitcnt lgkmcnt(0)
	v_lshlrev_b32_e32 v9, 2, v17
	v_cmp_gt_i32_e32 vcc_lo, 32, v3
	v_cndmask_b32_e32 v3, v12, v3, vcc_lo
	v_cmp_gt_i32_e32 vcc_lo, 32, v4
	s_delay_alu instid0(VALU_DEP_2) | instskip(SKIP_3) | instid1(VALU_DEP_1)
	v_dual_cndmask_b32 v4, v12, v4 :: v_dual_lshlrev_b32 v5, 2, v3
	ds_bpermute_b32 v3, v5, v13
	s_waitcnt lgkmcnt(0)
	v_max_f32_e32 v3, v3, v3
	v_max_f32_e32 v3, v6, v3
	v_xor_b32_e32 v6, 4, v12
	s_delay_alu instid0(VALU_DEP_1) | instskip(SKIP_1) | instid1(VALU_DEP_1)
	v_cmp_gt_i32_e32 vcc_lo, 32, v6
	v_cndmask_b32_e32 v6, v12, v6, vcc_lo
	v_lshlrev_b32_e32 v8, 2, v6
	v_xor_b32_e32 v6, 2, v12
	s_delay_alu instid0(VALU_DEP_1)
	v_cmp_gt_i32_e32 vcc_lo, 32, v6
	v_dual_cndmask_b32 v6, v12, v6 :: v_dual_lshlrev_b32 v7, 2, v4
	ds_bpermute_b32 v4, v7, v3
	v_cmp_eq_u32_e32 vcc_lo, 0, v19
	s_waitcnt lgkmcnt(0)
	v_max_f32_e32 v4, v4, v4
	s_delay_alu instid0(VALU_DEP_1) | instskip(SKIP_3) | instid1(VALU_DEP_1)
	v_max_f32_e32 v3, v3, v4
	ds_bpermute_b32 v4, v8, v3
	s_waitcnt lgkmcnt(0)
	v_max_f32_e32 v4, v4, v4
	v_dual_max_f32 v3, v3, v4 :: v_dual_lshlrev_b32 v4, 2, v6
	ds_bpermute_b32 v6, v4, v3
	s_and_saveexec_b32 s0, vcc_lo
	s_cbranch_execz .LBB311_149
; %bb.148:
	s_waitcnt lgkmcnt(0)
	v_dual_max_f32 v6, v6, v6 :: v_dual_max_f32 v3, v3, v3
	s_delay_alu instid0(VALU_DEP_1)
	v_max_f32_e32 v3, v3, v6
	ds_store_b32 v9, v3 offset:64
.LBB311_149:
	s_or_b32 exec_lo, exec_lo, s0
	v_cmp_gt_u32_e64 s0, 4, v19
	v_dual_mov_b32 v3, 0xff7fffff :: v_dual_lshlrev_b32 v10, 2, v19
	s_waitcnt lgkmcnt(0)
	s_barrier
	buffer_gl0_inv
	s_and_saveexec_b32 s1, s0
	s_cbranch_execz .LBB311_151
; %bb.150:
	ds_load_b32 v3, v10 offset:64
.LBB311_151:
	s_or_b32 exec_lo, exec_lo, s1
	s_waitcnt lgkmcnt(0)
	ds_bpermute_b32 v6, v4, v3
	v_xor_b32_e32 v13, 1, v12
	v_max_f32_e32 v3, v3, v3
	s_delay_alu instid0(VALU_DEP_2) | instskip(NEXT) | instid1(VALU_DEP_1)
	v_cmp_gt_i32_e64 s1, 32, v13
	v_cndmask_b32_e64 v12, v12, v13, s1
	s_sub_i32 s1, s16, s8
	s_delay_alu instid0(SALU_CYCLE_1) | instskip(NEXT) | instid1(SALU_CYCLE_1)
	s_lshl_b32 s1, s1, 4
	s_add_i32 s1, s1, s41
	s_delay_alu instid0(SALU_CYCLE_1)
	s_min_i32 s1, s1, s15
	s_waitcnt lgkmcnt(0)
	v_max_f32_e32 v6, v6, v6
	v_lshlrev_b32_e32 v20, 2, v12
	s_sub_i32 s4, s1, s41
	v_mov_b32_e32 v12, 0
	v_cmp_gt_i32_e64 s1, s4, v0
	v_max_f32_e32 v3, v3, v6
	ds_bpermute_b32 v6, v20, v3
	s_waitcnt lgkmcnt(0)
	v_max_f32_e32 v6, v6, v6
	s_delay_alu instid0(VALU_DEP_1)
	v_max_f32_e32 v3, v3, v6
	v_lshl_add_u32 v6, v0, 2, 0x60
	ds_bpermute_b32 v3, v12, v3
	s_and_saveexec_b32 s5, s1
	s_cbranch_execz .LBB311_155
; %bb.152:
	v_lshl_add_u32 v13, v0, 2, 0x60
	v_mov_b32_e32 v12, 0
	v_mov_b32_e32 v14, v0
	s_mov_b32 s10, 0
	.p2align	6
.LBB311_153:                            ; =>This Inner Loop Header: Depth=1
	ds_load_b32 v21, v13
	v_add_nc_u32_e32 v14, 0x80, v14
	s_delay_alu instid0(VALU_DEP_1) | instskip(NEXT) | instid1(VALU_DEP_1)
	v_cmp_le_i32_e64 s3, s4, v14
	s_or_b32 s10, s3, s10
	s_waitcnt lgkmcnt(0)
	v_sub_f32_e32 v21, v21, v3
	s_delay_alu instid0(VALU_DEP_1) | instskip(NEXT) | instid1(VALU_DEP_1)
	v_mul_f32_e32 v21, 0x3fb8aa3b, v21
	v_exp_f32_e32 v21, v21
	ds_store_b32 v13, v21
	v_add_f32_e32 v12, v12, v21
	v_add_nc_u32_e32 v13, 0x200, v13
	s_and_not1_b32 exec_lo, exec_lo, s10
	s_cbranch_execnz .LBB311_153
; %bb.154:
	s_or_b32 exec_lo, exec_lo, s10
.LBB311_155:
	s_delay_alu instid0(SALU_CYCLE_1)
	s_or_b32 exec_lo, exec_lo, s5
	ds_bpermute_b32 v5, v5, v12
	s_waitcnt lgkmcnt(0)
	v_add_f32_e32 v5, v12, v5
	ds_bpermute_b32 v7, v7, v5
	s_waitcnt lgkmcnt(0)
	v_add_f32_e32 v5, v5, v7
	ds_bpermute_b32 v7, v8, v5
	s_waitcnt lgkmcnt(0)
	v_add_f32_e32 v5, v5, v7
	ds_bpermute_b32 v7, v4, v5
	s_waitcnt lgkmcnt(0)
	v_add_f32_e32 v5, v5, v7
	ds_bpermute_b32 v7, v20, v5
	s_waitcnt lgkmcnt(0)
	v_add_f32_e32 v5, v5, v7
	s_and_saveexec_b32 s3, vcc_lo
	s_cbranch_execz .LBB311_157
; %bb.156:
	ds_store_b32 v9, v5 offset:80
.LBB311_157:
	s_or_b32 exec_lo, exec_lo, s3
	s_waitcnt lgkmcnt(0)
	s_barrier
	buffer_gl0_inv
	s_and_saveexec_b32 s3, s0
	s_cbranch_execz .LBB311_159
; %bb.158:
	ds_load_b32 v5, v10 offset:80
.LBB311_159:
	s_or_b32 exec_lo, exec_lo, s3
	s_waitcnt lgkmcnt(0)
	ds_bpermute_b32 v4, v4, v5
	s_waitcnt lgkmcnt(0)
	v_add_f32_e32 v4, v5, v4
	ds_bpermute_b32 v5, v20, v4
	s_waitcnt lgkmcnt(0)
	v_dual_add_f32 v4, v4, v5 :: v_dual_mov_b32 v5, 0
	ds_bpermute_b32 v4, v5, v4
	s_and_saveexec_b32 s0, s1
	s_cbranch_execz .LBB311_162
; %bb.160:
	s_waitcnt lgkmcnt(0)
	v_add_f32_e32 v5, 0x358637bd, v4
	s_mov_b32 s1, 0
	s_delay_alu instid0(VALU_DEP_1) | instskip(SKIP_1) | instid1(VALU_DEP_2)
	v_div_scale_f32 v7, null, v5, v5, 1.0
	v_div_scale_f32 v10, vcc_lo, 1.0, v5, 1.0
	v_rcp_f32_e32 v8, v7
	s_waitcnt_depctr 0xfff
	v_fma_f32 v9, -v7, v8, 1.0
	s_delay_alu instid0(VALU_DEP_1) | instskip(NEXT) | instid1(VALU_DEP_1)
	v_fmac_f32_e32 v8, v9, v8
	v_mul_f32_e32 v9, v10, v8
	s_delay_alu instid0(VALU_DEP_1) | instskip(NEXT) | instid1(VALU_DEP_1)
	v_fma_f32 v12, -v7, v9, v10
	v_fmac_f32_e32 v9, v12, v8
	s_delay_alu instid0(VALU_DEP_1) | instskip(NEXT) | instid1(VALU_DEP_1)
	v_fma_f32 v7, -v7, v9, v10
	v_div_fmas_f32 v7, v7, v8, v9
	s_delay_alu instid0(VALU_DEP_1)
	v_div_fixup_f32 v5, v7, v5, 1.0
	v_mov_b32_e32 v7, v0
.LBB311_161:                            ; =>This Inner Loop Header: Depth=1
	ds_load_b32 v8, v6
	s_waitcnt lgkmcnt(0)
	v_dual_mul_f32 v8, v5, v8 :: v_dual_add_nc_u32 v7, 0x80, v7
	s_delay_alu instid0(VALU_DEP_1) | instskip(SKIP_3) | instid1(SALU_CYCLE_1)
	v_cmp_le_i32_e32 vcc_lo, s4, v7
	ds_store_b32 v6, v8
	v_add_nc_u32_e32 v6, 0x200, v6
	s_or_b32 s1, vcc_lo, s1
	s_and_not1_b32 exec_lo, exec_lo, s1
	s_cbranch_execnz .LBB311_161
.LBB311_162:
	s_or_b32 exec_lo, exec_lo, s0
	s_mul_i32 s0, s13, s14
	s_waitcnt lgkmcnt(0)
	s_mul_i32 s4, s0, s27
	s_mov_b32 s0, exec_lo
	s_barrier
	buffer_gl0_inv
	v_cmpx_eq_u32_e32 0, v0
	s_cbranch_execz .LBB311_164
; %bb.163:
	s_ashr_i32 s5, s4, 31
	s_mul_i32 s46, s13, s28
	s_lshl_b64 s[44:45], s[4:5], 2
	v_mov_b32_e32 v5, 0
	s_add_u32 s1, s22, s44
	s_addc_u32 s3, s23, s45
	s_ashr_i32 s47, s46, 31
	s_delay_alu instid0(SALU_CYCLE_1) | instskip(NEXT) | instid1(SALU_CYCLE_1)
	s_lshl_b64 s[22:23], s[46:47], 2
	s_add_u32 s1, s1, s22
	s_addc_u32 s3, s3, s23
	s_ashr_i32 s27, s26, 31
	s_delay_alu instid0(SALU_CYCLE_1) | instskip(NEXT) | instid1(SALU_CYCLE_1)
	s_lshl_b64 s[26:27], s[26:27], 2
	s_add_u32 s46, s1, s26
	s_addc_u32 s47, s3, s27
	s_add_u32 s1, s20, s44
	s_addc_u32 s3, s21, s45
	;; [unrolled: 2-line block ×4, first 2 shown]
	s_clause 0x1
	global_store_b32 v5, v3, s[46:47]
	global_store_b32 v5, v4, s[20:21]
.LBB311_164:
	s_or_b32 exec_lo, exec_lo, s0
	v_dual_mov_b32 v4, 0 :: v_dual_mov_b32 v3, 0
	s_mov_b32 s10, 0
	s_and_saveexec_b32 s1, s2
	s_cbranch_execz .LBB311_294
; %bb.165:
	s_sub_i32 s5, s42, s17
	s_ashr_i32 s0, s11, 31
	s_add_u32 s17, s36, s11
	s_addc_u32 s0, s37, s0
	s_abs_i32 s14, s18
	v_lshlrev_b64 v[7:8], 2, v[1:2]
	v_cvt_f32_u32_e32 v3, s14
	s_sub_i32 s18, 0, s14
	v_and_b32_e32 v5, 0xf8, v11
	s_mov_b32 s11, s10
	v_and_b32_e32 v21, 8, v11
	v_rcp_iflag_f32_e32 v3, v3
	s_lshl_b64 s[20:21], s[34:35], 2
	s_add_i32 s38, s38, -1
	s_mov_b32 s2, -1
	s_mov_b32 s3, 0xffffff
	s_waitcnt_depctr 0xfff
	v_dual_mul_f32 v3, 0x4f7ffffe, v3 :: v_dual_lshlrev_b32 v2, 5, v16
	s_delay_alu instid0(VALU_DEP_1) | instskip(NEXT) | instid1(VALU_DEP_2)
	v_lshl_or_b32 v2, v17, 6, v2
	v_cvt_u32_f32_e32 v9, v3
	s_delay_alu instid0(VALU_DEP_2) | instskip(SKIP_1) | instid1(VALU_DEP_3)
	v_dual_mov_b32 v3, s10 :: v_dual_add_nc_u32 v2, 0x60, v2
	v_mov_b32_e32 v4, s11
	v_mul_lo_u32 v10, s18, v9
	s_delay_alu instid0(VALU_DEP_1) | instskip(NEXT) | instid1(VALU_DEP_1)
	v_mul_hi_u32 v10, v9, v10
	v_add_nc_u32_e32 v22, v9, v10
	v_mov_b32_e32 v10, 0
	v_add_co_u32 v5, s11, s17, v5
	s_delay_alu instid0(VALU_DEP_1)
	v_add_co_ci_u32_e64 v6, null, s0, 0, s11
	s_add_u32 s0, s30, s20
	s_addc_u32 s11, s31, s21
	v_add_co_u32 v7, vcc_lo, s0, v7
	v_add_co_ci_u32_e32 v8, vcc_lo, s11, v8, vcc_lo
	s_mov_b32 s11, s15
	s_branch .LBB311_168
.LBB311_166:                            ;   in Loop: Header=BB311_168 Depth=1
	s_or_b32 exec_lo, exec_lo, s0
	;;#ASMSTART
	v_pk_mul_f16 v12, v35, v36;

	;;#ASMEND
	;;#ASMSTART
	v_pk_mul_f16 v13, v34, v33;

	;;#ASMEND
	;;#ASMSTART
	v_pk_mul_f16 v9, v32, v9;

	;;#ASMEND
	;;#ASMSTART
	v_pk_mul_f16 v11, v31, v11;

	;;#ASMEND
	;;#ASMSTART
	v_pk_add_f16 v12, v12, v13;

	;;#ASMEND
	;;#ASMSTART
	v_pk_add_f16 v9, v12, v9;

	;;#ASMEND
	;; [unrolled: 4-line block ×3, first 2 shown]
	v_dual_add_f32 v12, v29, v30 :: v_dual_and_b32 v11, 0xffff, v9
	v_lshrrev_b32_e32 v9, 16, v9
	;;#ASMSTART
	v_cvt_f32_f16 v11, v11;
	;;#ASMEND
	;;#ASMSTART
	v_cvt_f32_f16 v9, v9;
	;;#ASMEND
	s_delay_alu instid0(VALU_DEP_1) | instskip(NEXT) | instid1(VALU_DEP_1)
	v_add_f32_e32 v9, v11, v9
	v_dual_add_f32 v3, v3, v12 :: v_dual_add_f32 v4, v4, v9
.LBB311_167:                            ;   in Loop: Header=BB311_168 Depth=1
	s_or_b32 exec_lo, exec_lo, s17
	v_add_nc_u32_e32 v1, 4, v1
	v_add_co_u32 v7, s0, v7, 16
	s_delay_alu instid0(VALU_DEP_1) | instskip(NEXT) | instid1(VALU_DEP_3)
	v_add_co_ci_u32_e64 v8, s0, 0, v8, s0
	v_cmp_le_i32_e32 vcc_lo, s16, v1
	v_add_nc_u32_e32 v18, 64, v18
	v_add_nc_u32_e32 v2, 0x100, v2
	s_or_b32 s10, vcc_lo, s10
	s_delay_alu instid0(SALU_CYCLE_1)
	s_and_not1_b32 exec_lo, exec_lo, s10
	s_cbranch_execz .LBB311_293
.LBB311_168:                            ; =>This Inner Loop Header: Depth=1
	v_sub_nc_u32_e32 v9, 0, v18
	s_delay_alu instid0(VALU_DEP_1) | instskip(NEXT) | instid1(VALU_DEP_1)
	v_max_i32_e32 v9, v18, v9
	v_mul_hi_u32 v11, v9, s33
	s_delay_alu instid0(VALU_DEP_1) | instskip(NEXT) | instid1(VALU_DEP_1)
	v_mul_lo_u32 v12, v11, s29
	v_sub_nc_u32_e32 v9, v9, v12
	s_delay_alu instid0(VALU_DEP_1) | instskip(SKIP_1) | instid1(VALU_DEP_2)
	v_subrev_nc_u32_e32 v13, s29, v9
	v_cmp_le_u32_e32 vcc_lo, s29, v9
	v_dual_cndmask_b32 v9, v9, v13 :: v_dual_add_nc_u32 v12, 1, v11
	s_delay_alu instid0(VALU_DEP_1) | instskip(SKIP_1) | instid1(VALU_DEP_3)
	v_cndmask_b32_e32 v11, v11, v12, vcc_lo
	v_ashrrev_i32_e32 v12, 31, v18
	v_cmp_le_u32_e32 vcc_lo, s29, v9
	s_delay_alu instid0(VALU_DEP_3) | instskip(NEXT) | instid1(VALU_DEP_3)
	v_add_nc_u32_e32 v13, 1, v11
	v_xor_b32_e32 v12, s19, v12
	s_delay_alu instid0(VALU_DEP_2) | instskip(NEXT) | instid1(VALU_DEP_1)
	v_cndmask_b32_e32 v9, v11, v13, vcc_lo
	v_xor_b32_e32 v9, v9, v12
	s_delay_alu instid0(VALU_DEP_1) | instskip(NEXT) | instid1(VALU_DEP_1)
	v_sub_nc_u32_e32 v9, v9, v12
	v_add_nc_u32_e32 v11, s40, v9
	v_cmp_lt_i32_e64 s0, s5, v9
	s_delay_alu instid0(VALU_DEP_2) | instskip(NEXT) | instid1(VALU_DEP_1)
	v_sub_nc_u32_e32 v12, 0, v11
	v_max_i32_e32 v12, v11, v12
	v_ashrrev_i32_e32 v11, 31, v11
	s_delay_alu instid0(VALU_DEP_2) | instskip(NEXT) | instid1(VALU_DEP_1)
	v_mul_hi_u32 v13, v12, v22
	v_mul_lo_u32 v13, v13, s14
	s_delay_alu instid0(VALU_DEP_1) | instskip(NEXT) | instid1(VALU_DEP_1)
	v_sub_nc_u32_e32 v12, v12, v13
	v_subrev_nc_u32_e32 v13, s14, v12
	v_cmp_le_u32_e32 vcc_lo, s14, v12
	s_delay_alu instid0(VALU_DEP_2) | instskip(NEXT) | instid1(VALU_DEP_1)
	v_cndmask_b32_e32 v12, v12, v13, vcc_lo
	v_subrev_nc_u32_e32 v13, s14, v12
	v_cmp_le_u32_e32 vcc_lo, s14, v12
	s_delay_alu instid0(VALU_DEP_2) | instskip(NEXT) | instid1(VALU_DEP_1)
	v_cndmask_b32_e32 v12, v12, v13, vcc_lo
	v_xor_b32_e32 v12, v12, v11
	s_delay_alu instid0(VALU_DEP_1) | instskip(NEXT) | instid1(VALU_DEP_1)
	v_sub_nc_u32_e32 v11, v12, v11
	v_cmp_eq_u32_e32 vcc_lo, 0, v11
	s_or_b32 s0, vcc_lo, s0
	s_delay_alu instid0(SALU_CYCLE_1)
	s_and_saveexec_b32 s17, s0
	s_cbranch_execz .LBB311_167
; %bb.169:                              ;   in Loop: Header=BB311_168 Depth=1
	global_load_b32 v9, v[7:8], off
	ds_load_2addr_b64 v[23:26], v2 offset1:1
	ds_load_2addr_b64 v[35:38], v2 offset0:2 offset1:3
	s_mov_b32 s0, exec_lo
	s_waitcnt lgkmcnt(1)
	;;#ASMSTART
	v_cvt_f16_f32 v29, v23;

	;;#ASMEND
	;;#ASMSTART
	v_cvt_f16_f32 v30, v24;

	;;#ASMEND
	;; [unrolled: 4-line block ×4, first 2 shown]
	s_waitcnt lgkmcnt(0)
	;;#ASMSTART
	v_cvt_f16_f32 v35, v35;

	;;#ASMEND
	;;#ASMSTART
	v_cvt_f16_f32 v32, v36;

	;;#ASMEND
	;; [unrolled: 4-line block ×4, first 2 shown]
	v_dual_mov_b32 v25, 0 :: v_dual_mov_b32 v24, 0
	s_waitcnt vmcnt(0)
	v_mad_i64_i32 v[11:12], null, v9, s9, v[5:6]
	global_load_b64 v[13:14], v[11:12], off
	global_load_b32 v23, v10, s[6:7]
	s_waitcnt vmcnt(1)
	v_and_b32_e32 v9, 0xff, v13
	s_delay_alu instid0(VALU_DEP_1)
	v_cmpx_ne_u16_e32 0, v9
	s_cbranch_execz .LBB311_175
; %bb.170:                              ;   in Loop: Header=BB311_168 Depth=1
	v_bfrev_b32_e32 v24, 1
	s_mov_b32 s18, exec_lo
	v_cmpx_ne_u16_e32 0x80, v9
	s_cbranch_execz .LBB311_174
; %bb.171:                              ;   in Loop: Header=BB311_168 Depth=1
	v_and_b32_e32 v9, 0x7f, v13
	v_mov_b32_e32 v24, 0x7fc02000
	s_mov_b32 s20, exec_lo
	s_delay_alu instid0(VALU_DEP_2)
	v_cmpx_ne_u32_e32 0x7f, v9
	s_cbranch_execz .LBB311_173
; %bb.172:                              ;   in Loop: Header=BB311_168 Depth=1
	v_cmp_gt_u32_e32 vcc_lo, 8, v9
	v_and_b32_e32 v24, 7, v13
	v_lshrrev_b32_e32 v26, 3, v9
	s_delay_alu instid0(VALU_DEP_2) | instskip(NEXT) | instid1(VALU_DEP_1)
	v_clz_i32_u32_e32 v24, v24
	v_min_u32_e32 v24, 32, v24
	s_delay_alu instid0(VALU_DEP_1) | instskip(SKIP_1) | instid1(VALU_DEP_1)
	v_subrev_nc_u32_e32 v27, 28, v24
	v_sub_nc_u32_e32 v24, 29, v24
	v_dual_cndmask_b32 v9, 0, v27 :: v_dual_cndmask_b32 v24, v26, v24
	s_delay_alu instid0(VALU_DEP_1) | instskip(SKIP_1) | instid1(VALU_DEP_3)
	v_lshlrev_b64 v[26:27], v9, v[13:14]
	v_lshlrev_b32_e32 v9, 8, v13
	v_lshl_add_u32 v24, v24, 10, 0x2000
	s_delay_alu instid0(VALU_DEP_3) | instskip(NEXT) | instid1(VALU_DEP_2)
	v_lshlrev_b32_e32 v26, 7, v26
	v_and_or_b32 v9, 0x8000, v9, v24
	s_delay_alu instid0(VALU_DEP_1) | instskip(NEXT) | instid1(VALU_DEP_1)
	v_and_or_b32 v9, 0x380, v26, v9
	v_cvt_f32_f16_e32 v24, v9
.LBB311_173:                            ;   in Loop: Header=BB311_168 Depth=1
	s_or_b32 exec_lo, exec_lo, s20
.LBB311_174:                            ;   in Loop: Header=BB311_168 Depth=1
	s_delay_alu instid0(SALU_CYCLE_1)
	s_or_b32 exec_lo, exec_lo, s18
.LBB311_175:                            ;   in Loop: Header=BB311_168 Depth=1
	s_delay_alu instid0(SALU_CYCLE_1) | instskip(SKIP_2) | instid1(VALU_DEP_1)
	s_or_b32 exec_lo, exec_lo, s0
	v_lshrrev_b16 v9, 8, v13
	s_mov_b32 s0, exec_lo
	v_cmpx_ne_u16_e32 0, v9
	s_cbranch_execz .LBB311_183
; %bb.176:                              ;   in Loop: Header=BB311_168 Depth=1
	v_bfrev_b32_e32 v25, 1
	s_mov_b32 s18, exec_lo
	v_cmpx_ne_u16_e32 0x80, v9
	s_cbranch_execz .LBB311_182
; %bb.177:                              ;   in Loop: Header=BB311_168 Depth=1
	v_and_b32_e32 v26, 0xffff, v9
	v_mov_b32_e32 v25, 0x7fc02000
	s_mov_b32 s20, exec_lo
	s_delay_alu instid0(VALU_DEP_2) | instskip(NEXT) | instid1(VALU_DEP_1)
	v_and_b32_e32 v27, 0x7f, v26
	v_cmpx_ne_u32_e32 0x7f, v27
	s_cbranch_execz .LBB311_181
; %bb.178:                              ;   in Loop: Header=BB311_168 Depth=1
	v_and_b32_e32 v9, 7, v26
	v_lshrrev_b32_e32 v25, 3, v27
	s_mov_b32 s21, exec_lo
	v_cmpx_gt_u32_e32 8, v27
; %bb.179:                              ;   in Loop: Header=BB311_168 Depth=1
	s_delay_alu instid0(VALU_DEP_3) | instskip(NEXT) | instid1(VALU_DEP_1)
	v_clz_i32_u32_e32 v25, v9
	v_min_u32_e32 v25, 32, v25
	s_delay_alu instid0(VALU_DEP_1) | instskip(SKIP_1) | instid1(VALU_DEP_2)
	v_subrev_nc_u32_e32 v27, 28, v25
	v_sub_nc_u32_e32 v25, 29, v25
	v_lshlrev_b64 v[27:28], v27, v[9:10]
	s_delay_alu instid0(VALU_DEP_1)
	v_and_b32_e32 v9, 7, v27
; %bb.180:                              ;   in Loop: Header=BB311_168 Depth=1
	s_or_b32 exec_lo, exec_lo, s21
	v_lshlrev_b32_e32 v26, 8, v26
	v_lshl_add_u32 v25, v25, 10, 0x2000
	s_delay_alu instid0(VALU_DEP_1) | instskip(NEXT) | instid1(VALU_DEP_1)
	v_and_or_b32 v25, 0x8000, v26, v25
	v_lshl_or_b32 v9, v9, 7, v25
	s_delay_alu instid0(VALU_DEP_1)
	v_cvt_f32_f16_e32 v25, v9
.LBB311_181:                            ;   in Loop: Header=BB311_168 Depth=1
	s_or_b32 exec_lo, exec_lo, s20
.LBB311_182:                            ;   in Loop: Header=BB311_168 Depth=1
	s_delay_alu instid0(SALU_CYCLE_1)
	s_or_b32 exec_lo, exec_lo, s18
.LBB311_183:                            ;   in Loop: Header=BB311_168 Depth=1
	s_delay_alu instid0(SALU_CYCLE_1) | instskip(SKIP_3) | instid1(VALU_DEP_2)
	s_or_b32 exec_lo, exec_lo, s0
	v_lshrrev_b32_e32 v28, 16, v13
	v_mov_b32_e32 v27, 0
	s_mov_b32 s0, exec_lo
	v_dual_mov_b32 v26, 0 :: v_dual_and_b32 v9, 0xff, v28
	s_delay_alu instid0(VALU_DEP_1)
	v_cmpx_ne_u16_e32 0, v9
	s_cbranch_execz .LBB311_191
; %bb.184:                              ;   in Loop: Header=BB311_168 Depth=1
	v_bfrev_b32_e32 v26, 1
	s_mov_b32 s18, exec_lo
	v_cmpx_ne_u16_e32 0x80, v9
	s_cbranch_execz .LBB311_190
; %bb.185:                              ;   in Loop: Header=BB311_168 Depth=1
	v_bfe_u32 v37, v13, 16, 7
	v_mov_b32_e32 v26, 0x7fc02000
	s_mov_b32 s20, exec_lo
	s_delay_alu instid0(VALU_DEP_2)
	v_cmpx_ne_u32_e32 0x7f, v37
	s_cbranch_execz .LBB311_189
; %bb.186:                              ;   in Loop: Header=BB311_168 Depth=1
	v_and_b32_e32 v9, 7, v28
	v_lshrrev_b32_e32 v26, 3, v37
	s_mov_b32 s21, exec_lo
	v_cmpx_gt_u32_e32 8, v37
; %bb.187:                              ;   in Loop: Header=BB311_168 Depth=1
	s_delay_alu instid0(VALU_DEP_3) | instskip(NEXT) | instid1(VALU_DEP_1)
	v_clz_i32_u32_e32 v26, v9
	v_min_u32_e32 v26, 32, v26
	s_delay_alu instid0(VALU_DEP_1) | instskip(SKIP_1) | instid1(VALU_DEP_2)
	v_subrev_nc_u32_e32 v37, 28, v26
	v_sub_nc_u32_e32 v26, 29, v26
	v_lshlrev_b64 v[37:38], v37, v[9:10]
	s_delay_alu instid0(VALU_DEP_1)
	v_and_b32_e32 v9, 7, v37
; %bb.188:                              ;   in Loop: Header=BB311_168 Depth=1
	s_or_b32 exec_lo, exec_lo, s21
	v_lshlrev_b32_e32 v28, 8, v28
	v_lshl_add_u32 v26, v26, 10, 0x2000
	s_delay_alu instid0(VALU_DEP_1) | instskip(NEXT) | instid1(VALU_DEP_1)
	v_and_or_b32 v26, 0x8000, v28, v26
	v_lshl_or_b32 v9, v9, 7, v26
	s_delay_alu instid0(VALU_DEP_1)
	v_cvt_f32_f16_e32 v26, v9
.LBB311_189:                            ;   in Loop: Header=BB311_168 Depth=1
	s_or_b32 exec_lo, exec_lo, s20
.LBB311_190:                            ;   in Loop: Header=BB311_168 Depth=1
	s_delay_alu instid0(SALU_CYCLE_1)
	s_or_b32 exec_lo, exec_lo, s18
.LBB311_191:                            ;   in Loop: Header=BB311_168 Depth=1
	s_delay_alu instid0(SALU_CYCLE_1) | instskip(NEXT) | instid1(SALU_CYCLE_1)
	s_or_b32 exec_lo, exec_lo, s0
	s_mov_b32 s0, exec_lo
	v_cmpx_lt_u32_e32 0xffffff, v13
	s_cbranch_execz .LBB311_199
; %bb.192:                              ;   in Loop: Header=BB311_168 Depth=1
	v_lshrrev_b32_e32 v28, 24, v13
	v_bfrev_b32_e32 v27, 1
	s_mov_b32 s18, exec_lo
	s_delay_alu instid0(VALU_DEP_2)
	v_cmpx_ne_u32_e32 0x80, v28
	s_cbranch_execz .LBB311_198
; %bb.193:                              ;   in Loop: Header=BB311_168 Depth=1
	v_and_b32_e32 v37, 0x7f, v28
	v_mov_b32_e32 v27, 0x7fc02000
	s_mov_b32 s20, exec_lo
	s_delay_alu instid0(VALU_DEP_2)
	v_cmpx_ne_u32_e32 0x7f, v37
	s_cbranch_execz .LBB311_197
; %bb.194:                              ;   in Loop: Header=BB311_168 Depth=1
	v_and_b32_e32 v9, 7, v28
	v_lshrrev_b32_e32 v27, 3, v37
	s_mov_b32 s21, exec_lo
	v_cmpx_gt_u32_e32 8, v37
; %bb.195:                              ;   in Loop: Header=BB311_168 Depth=1
	s_delay_alu instid0(VALU_DEP_3) | instskip(NEXT) | instid1(VALU_DEP_1)
	v_clz_i32_u32_e32 v27, v9
	v_min_u32_e32 v27, 32, v27
	s_delay_alu instid0(VALU_DEP_1) | instskip(SKIP_1) | instid1(VALU_DEP_2)
	v_subrev_nc_u32_e32 v37, 28, v27
	v_sub_nc_u32_e32 v27, 29, v27
	v_lshlrev_b64 v[37:38], v37, v[9:10]
	s_delay_alu instid0(VALU_DEP_1)
	v_and_b32_e32 v9, 7, v37
; %bb.196:                              ;   in Loop: Header=BB311_168 Depth=1
	s_or_b32 exec_lo, exec_lo, s21
	v_lshlrev_b32_e32 v28, 8, v28
	v_lshl_add_u32 v27, v27, 10, 0x2000
	s_delay_alu instid0(VALU_DEP_1) | instskip(NEXT) | instid1(VALU_DEP_1)
	v_and_or_b32 v27, 0x8000, v28, v27
	v_lshl_or_b32 v9, v9, 7, v27
	s_delay_alu instid0(VALU_DEP_1)
	v_cvt_f32_f16_e32 v27, v9
.LBB311_197:                            ;   in Loop: Header=BB311_168 Depth=1
	s_or_b32 exec_lo, exec_lo, s20
.LBB311_198:                            ;   in Loop: Header=BB311_168 Depth=1
	s_delay_alu instid0(SALU_CYCLE_1)
	s_or_b32 exec_lo, exec_lo, s18
.LBB311_199:                            ;   in Loop: Header=BB311_168 Depth=1
	s_delay_alu instid0(SALU_CYCLE_1) | instskip(SKIP_3) | instid1(VALU_DEP_2)
	s_or_b32 exec_lo, exec_lo, s0
	v_dual_mov_b32 v9, v14 :: v_dual_and_b32 v38, 0xff, v14
	v_dual_mov_b32 v37, 0 :: v_dual_mov_b32 v28, 0
	s_mov_b32 s0, exec_lo
	v_cmpx_ne_u16_e32 0, v38
	s_cbranch_execz .LBB311_205
; %bb.200:                              ;   in Loop: Header=BB311_168 Depth=1
	v_bfrev_b32_e32 v28, 1
	s_mov_b32 s18, exec_lo
	v_cmpx_ne_u16_e32 0x80, v38
	s_cbranch_execz .LBB311_204
; %bb.201:                              ;   in Loop: Header=BB311_168 Depth=1
	v_and_b32_e32 v38, 0x7f, v14
	v_mov_b32_e32 v28, 0x7fc02000
	s_mov_b32 s20, exec_lo
	s_delay_alu instid0(VALU_DEP_2)
	v_cmpx_ne_u32_e32 0x7f, v38
	s_cbranch_execz .LBB311_203
; %bb.202:                              ;   in Loop: Header=BB311_168 Depth=1
	v_and_b32_e32 v28, 7, v14
	v_cmp_gt_u32_e32 vcc_lo, 8, v38
	v_lshrrev_b32_e32 v39, 3, v38
	s_delay_alu instid0(VALU_DEP_3) | instskip(NEXT) | instid1(VALU_DEP_1)
	v_clz_i32_u32_e32 v28, v28
	v_min_u32_e32 v28, 32, v28
	s_delay_alu instid0(VALU_DEP_1) | instskip(SKIP_1) | instid1(VALU_DEP_2)
	v_subrev_nc_u32_e32 v40, 28, v28
	v_sub_nc_u32_e32 v28, 29, v28
	v_cndmask_b32_e32 v38, 0, v40, vcc_lo
	s_delay_alu instid0(VALU_DEP_2) | instskip(NEXT) | instid1(VALU_DEP_2)
	v_cndmask_b32_e32 v28, v39, v28, vcc_lo
	v_lshlrev_b64 v[38:39], v38, v[9:10]
	v_lshlrev_b32_e32 v39, 8, v14
	s_delay_alu instid0(VALU_DEP_3) | instskip(NEXT) | instid1(VALU_DEP_3)
	v_lshl_add_u32 v28, v28, 10, 0x2000
	v_lshlrev_b32_e32 v38, 7, v38
	s_delay_alu instid0(VALU_DEP_2) | instskip(NEXT) | instid1(VALU_DEP_1)
	v_and_or_b32 v28, 0x8000, v39, v28
	v_and_or_b32 v28, 0x380, v38, v28
	s_delay_alu instid0(VALU_DEP_1)
	v_cvt_f32_f16_e32 v28, v28
.LBB311_203:                            ;   in Loop: Header=BB311_168 Depth=1
	s_or_b32 exec_lo, exec_lo, s20
.LBB311_204:                            ;   in Loop: Header=BB311_168 Depth=1
	s_delay_alu instid0(SALU_CYCLE_1)
	s_or_b32 exec_lo, exec_lo, s18
.LBB311_205:                            ;   in Loop: Header=BB311_168 Depth=1
	s_delay_alu instid0(SALU_CYCLE_1) | instskip(SKIP_2) | instid1(VALU_DEP_1)
	s_or_b32 exec_lo, exec_lo, s0
	v_lshrrev_b16 v9, 8, v9
	s_mov_b32 s0, exec_lo
	v_cmpx_ne_u16_e32 0, v9
	s_cbranch_execz .LBB311_213
; %bb.206:                              ;   in Loop: Header=BB311_168 Depth=1
	v_bfrev_b32_e32 v37, 1
	s_mov_b32 s18, exec_lo
	v_cmpx_ne_u16_e32 0x80, v9
	s_cbranch_execz .LBB311_212
; %bb.207:                              ;   in Loop: Header=BB311_168 Depth=1
	v_and_b32_e32 v38, 0xffff, v9
	v_mov_b32_e32 v37, 0x7fc02000
	s_mov_b32 s20, exec_lo
	s_delay_alu instid0(VALU_DEP_2) | instskip(NEXT) | instid1(VALU_DEP_1)
	v_and_b32_e32 v39, 0x7f, v38
	v_cmpx_ne_u32_e32 0x7f, v39
	s_cbranch_execz .LBB311_211
; %bb.208:                              ;   in Loop: Header=BB311_168 Depth=1
	v_and_b32_e32 v9, 7, v38
	v_lshrrev_b32_e32 v37, 3, v39
	s_mov_b32 s21, exec_lo
	v_cmpx_gt_u32_e32 8, v39
; %bb.209:                              ;   in Loop: Header=BB311_168 Depth=1
	s_delay_alu instid0(VALU_DEP_3) | instskip(NEXT) | instid1(VALU_DEP_1)
	v_clz_i32_u32_e32 v37, v9
	v_min_u32_e32 v37, 32, v37
	s_delay_alu instid0(VALU_DEP_1) | instskip(SKIP_1) | instid1(VALU_DEP_2)
	v_subrev_nc_u32_e32 v39, 28, v37
	v_sub_nc_u32_e32 v37, 29, v37
	v_lshlrev_b64 v[39:40], v39, v[9:10]
	s_delay_alu instid0(VALU_DEP_1)
	v_and_b32_e32 v9, 7, v39
; %bb.210:                              ;   in Loop: Header=BB311_168 Depth=1
	s_or_b32 exec_lo, exec_lo, s21
	v_lshlrev_b32_e32 v38, 8, v38
	v_lshl_add_u32 v37, v37, 10, 0x2000
	s_delay_alu instid0(VALU_DEP_1) | instskip(NEXT) | instid1(VALU_DEP_1)
	v_and_or_b32 v37, 0x8000, v38, v37
	v_lshl_or_b32 v9, v9, 7, v37
	s_delay_alu instid0(VALU_DEP_1)
	v_cvt_f32_f16_e32 v37, v9
.LBB311_211:                            ;   in Loop: Header=BB311_168 Depth=1
	s_or_b32 exec_lo, exec_lo, s20
.LBB311_212:                            ;   in Loop: Header=BB311_168 Depth=1
	s_delay_alu instid0(SALU_CYCLE_1)
	s_or_b32 exec_lo, exec_lo, s18
.LBB311_213:                            ;   in Loop: Header=BB311_168 Depth=1
	s_delay_alu instid0(SALU_CYCLE_1) | instskip(SKIP_3) | instid1(VALU_DEP_2)
	s_or_b32 exec_lo, exec_lo, s0
	v_lshrrev_b32_e32 v40, 16, v14
	v_mov_b32_e32 v39, 0
	s_mov_b32 s0, exec_lo
	v_dual_mov_b32 v38, 0 :: v_dual_and_b32 v9, 0xff, v40
	s_delay_alu instid0(VALU_DEP_1)
	v_cmpx_ne_u16_e32 0, v9
	s_cbranch_execz .LBB311_221
; %bb.214:                              ;   in Loop: Header=BB311_168 Depth=1
	v_bfrev_b32_e32 v38, 1
	s_mov_b32 s18, exec_lo
	v_cmpx_ne_u16_e32 0x80, v9
	s_cbranch_execz .LBB311_220
; %bb.215:                              ;   in Loop: Header=BB311_168 Depth=1
	v_bfe_u32 v41, v14, 16, 7
	v_mov_b32_e32 v38, 0x7fc02000
	s_mov_b32 s20, exec_lo
	s_delay_alu instid0(VALU_DEP_2)
	v_cmpx_ne_u32_e32 0x7f, v41
	s_cbranch_execz .LBB311_219
; %bb.216:                              ;   in Loop: Header=BB311_168 Depth=1
	v_and_b32_e32 v9, 7, v40
	v_lshrrev_b32_e32 v38, 3, v41
	s_mov_b32 s21, exec_lo
	v_cmpx_gt_u32_e32 8, v41
; %bb.217:                              ;   in Loop: Header=BB311_168 Depth=1
	s_delay_alu instid0(VALU_DEP_3) | instskip(NEXT) | instid1(VALU_DEP_1)
	v_clz_i32_u32_e32 v38, v9
	v_min_u32_e32 v38, 32, v38
	s_delay_alu instid0(VALU_DEP_1) | instskip(SKIP_1) | instid1(VALU_DEP_2)
	v_subrev_nc_u32_e32 v41, 28, v38
	v_sub_nc_u32_e32 v38, 29, v38
	v_lshlrev_b64 v[41:42], v41, v[9:10]
	s_delay_alu instid0(VALU_DEP_1)
	v_and_b32_e32 v9, 7, v41
; %bb.218:                              ;   in Loop: Header=BB311_168 Depth=1
	s_or_b32 exec_lo, exec_lo, s21
	v_lshlrev_b32_e32 v40, 8, v40
	v_lshl_add_u32 v38, v38, 10, 0x2000
	s_delay_alu instid0(VALU_DEP_1) | instskip(NEXT) | instid1(VALU_DEP_1)
	v_and_or_b32 v38, 0x8000, v40, v38
	v_lshl_or_b32 v9, v9, 7, v38
	s_delay_alu instid0(VALU_DEP_1)
	v_cvt_f32_f16_e32 v38, v9
.LBB311_219:                            ;   in Loop: Header=BB311_168 Depth=1
	s_or_b32 exec_lo, exec_lo, s20
.LBB311_220:                            ;   in Loop: Header=BB311_168 Depth=1
	s_delay_alu instid0(SALU_CYCLE_1)
	s_or_b32 exec_lo, exec_lo, s18
.LBB311_221:                            ;   in Loop: Header=BB311_168 Depth=1
	s_delay_alu instid0(SALU_CYCLE_1) | instskip(NEXT) | instid1(SALU_CYCLE_1)
	s_or_b32 exec_lo, exec_lo, s0
	s_mov_b32 s0, exec_lo
	v_cmpx_lt_u64_e64 s[2:3], v[13:14]
	s_cbranch_execz .LBB311_229
; %bb.222:                              ;   in Loop: Header=BB311_168 Depth=1
	v_lshrrev_b32_e32 v13, 24, v14
	v_bfrev_b32_e32 v39, 1
	s_mov_b32 s18, exec_lo
	s_delay_alu instid0(VALU_DEP_2)
	v_cmpx_ne_u32_e32 0x80, v13
	s_cbranch_execz .LBB311_228
; %bb.223:                              ;   in Loop: Header=BB311_168 Depth=1
	v_and_b32_e32 v40, 0x7f, v13
	v_mov_b32_e32 v39, 0x7fc02000
	s_mov_b32 s20, exec_lo
	s_delay_alu instid0(VALU_DEP_2)
	v_cmpx_ne_u32_e32 0x7f, v40
	s_cbranch_execz .LBB311_227
; %bb.224:                              ;   in Loop: Header=BB311_168 Depth=1
	v_and_b32_e32 v9, 7, v13
	v_lshrrev_b32_e32 v14, 3, v40
	s_mov_b32 s21, exec_lo
	v_cmpx_gt_u32_e32 8, v40
; %bb.225:                              ;   in Loop: Header=BB311_168 Depth=1
	s_delay_alu instid0(VALU_DEP_3) | instskip(NEXT) | instid1(VALU_DEP_1)
	v_clz_i32_u32_e32 v14, v9
	v_min_u32_e32 v14, 32, v14
	s_delay_alu instid0(VALU_DEP_1) | instskip(SKIP_1) | instid1(VALU_DEP_2)
	v_subrev_nc_u32_e32 v39, 28, v14
	v_sub_nc_u32_e32 v14, 29, v14
	v_lshlrev_b64 v[39:40], v39, v[9:10]
	s_delay_alu instid0(VALU_DEP_1)
	v_and_b32_e32 v9, 7, v39
; %bb.226:                              ;   in Loop: Header=BB311_168 Depth=1
	s_or_b32 exec_lo, exec_lo, s21
	v_lshlrev_b32_e32 v13, 8, v13
	v_lshl_add_u32 v14, v14, 10, 0x2000
	s_delay_alu instid0(VALU_DEP_1) | instskip(NEXT) | instid1(VALU_DEP_1)
	v_and_or_b32 v13, 0x8000, v13, v14
	v_lshl_or_b32 v9, v9, 7, v13
	s_delay_alu instid0(VALU_DEP_1)
	v_cvt_f32_f16_e32 v39, v9
.LBB311_227:                            ;   in Loop: Header=BB311_168 Depth=1
	s_or_b32 exec_lo, exec_lo, s20
.LBB311_228:                            ;   in Loop: Header=BB311_168 Depth=1
	s_delay_alu instid0(SALU_CYCLE_1)
	s_or_b32 exec_lo, exec_lo, s18
.LBB311_229:                            ;   in Loop: Header=BB311_168 Depth=1
	s_delay_alu instid0(SALU_CYCLE_1)
	s_or_b32 exec_lo, exec_lo, s0
	s_waitcnt vmcnt(0)
	v_fma_mixlo_f16 v9, v23, v27, 0
	v_fma_mixlo_f16 v14, v23, v26, 0
	v_fma_mixlo_f16 v25, v23, v25, 0
	v_fma_mixlo_f16 v24, v23, v24, 0
	v_fma_mixlo_f16 v26, v23, v37, 0
	v_fma_mixlo_f16 v27, v23, v28, 0
	v_fma_mixlo_f16 v28, v23, v39, 0
	v_fma_mixlo_f16 v39, v23, v38, 0
	v_add_nc_u32_e32 v13, v21, v18
	v_lshlrev_b32_e32 v9, 16, v9
	v_and_b32_e32 v14, 0xffff, v14
	v_lshlrev_b32_e32 v25, 16, v25
	v_and_b32_e32 v23, 0xffff, v24
	;; [unrolled: 2-line block ×4, first 2 shown]
	v_cmp_eq_u32_e32 vcc_lo, s38, v1
	v_or_b32_e32 v38, v9, v14
	v_or_b32_e32 v40, v25, v23
	;; [unrolled: 1-line block ×4, first 2 shown]
	v_add_nc_u32_e32 v28, 1, v13
	v_or_b32_e32 v27, 3, v13
	v_or_b32_e32 v26, 2, v13
	;; [unrolled: 1-line block ×6, first 2 shown]
	s_and_saveexec_b32 s18, vcc_lo
	s_cbranch_execz .LBB311_231
; %bb.230:                              ;   in Loop: Header=BB311_168 Depth=1
	v_cmp_gt_i32_e64 s0, s15, v13
	v_lshrrev_b32_e32 v41, 16, v40
	v_lshrrev_b32_e32 v42, 16, v38
	;; [unrolled: 1-line block ×4, first 2 shown]
	v_cndmask_b32_e64 v40, 0, v40, s0
	v_cmp_gt_i32_e64 s0, s11, v28
	s_delay_alu instid0(VALU_DEP_1) | instskip(SKIP_1) | instid1(VALU_DEP_2)
	v_cndmask_b32_e64 v41, 0, v41, s0
	v_cmp_gt_i32_e64 s0, s11, v27
	v_perm_b32 v40, v41, v40, 0x5040100
	s_delay_alu instid0(VALU_DEP_2) | instskip(SKIP_1) | instid1(VALU_DEP_1)
	v_cndmask_b32_e64 v42, 0, v42, s0
	v_cmp_gt_i32_e64 s0, s15, v26
	v_cndmask_b32_e64 v38, 0, v38, s0
	v_cmp_gt_i32_e64 s0, s11, v25
	s_delay_alu instid0(VALU_DEP_2) | instskip(NEXT) | instid1(VALU_DEP_2)
	v_perm_b32 v38, v42, v38, 0x5040100
	v_cndmask_b32_e64 v43, 0, v43, s0
	v_cmp_gt_i32_e64 s0, s15, v24
	s_delay_alu instid0(VALU_DEP_1) | instskip(SKIP_1) | instid1(VALU_DEP_2)
	v_cndmask_b32_e64 v9, 0, v9, s0
	v_cmp_gt_i32_e64 s0, s11, v23
	v_perm_b32 v9, v43, v9, 0x5040100
	s_delay_alu instid0(VALU_DEP_2) | instskip(SKIP_1) | instid1(VALU_DEP_1)
	v_cndmask_b32_e64 v37, 0, v37, s0
	v_cmp_gt_i32_e64 s0, s15, v14
	v_cndmask_b32_e64 v39, 0, v39, s0
	s_delay_alu instid0(VALU_DEP_1)
	v_perm_b32 v37, v37, v39, 0x5040100
.LBB311_231:                            ;   in Loop: Header=BB311_168 Depth=1
	s_or_b32 exec_lo, exec_lo, s18
	v_and_b32_e32 v29, 0xffff, v29
	v_and_b32_e32 v34, 0xffff, v34
	;; [unrolled: 1-line block ×4, first 2 shown]
	s_mov_b32 s18, exec_lo
	s_delay_alu instid0(VALU_DEP_3) | instskip(NEXT) | instid1(VALU_DEP_3)
	v_lshl_or_b32 v34, v31, 16, v34
	v_lshl_or_b32 v32, v32, 16, v39
	s_delay_alu instid0(VALU_DEP_3)
	v_lshl_or_b32 v31, v33, 16, v36
	v_mov_b32_e32 v36, 0
	v_lshl_or_b32 v35, v30, 16, v29
	;;#ASMSTART
	v_pk_mul_f16 v29, v35, v40;

	;;#ASMEND
	;;#ASMSTART
	v_pk_mul_f16 v30, v34, v38;

	;;#ASMEND
	;; [unrolled: 4-line block ×4, first 2 shown]
	v_mov_b32_e32 v37, 0
	;;#ASMSTART
	v_pk_add_f16 v29, v29, v30;

	;;#ASMEND
	;;#ASMSTART
	v_pk_add_f16 v9, v29, v9;

	;;#ASMEND
	;; [unrolled: 4-line block ×3, first 2 shown]
	v_and_b32_e32 v29, 0xffff, v9
	v_lshrrev_b32_e32 v9, 16, v9
	;;#ASMSTART
	v_cvt_f32_f16 v29, v29;
	;;#ASMEND
	;;#ASMSTART
	v_cvt_f32_f16 v30, v9;
	;;#ASMEND
	global_load_b64 v[11:12], v[11:12], off offset:256
	global_load_b32 v33, v10, s[6:7]
	s_waitcnt vmcnt(1)
	v_and_b32_e32 v9, 0xff, v11
	s_delay_alu instid0(VALU_DEP_1)
	v_cmpx_ne_u16_e32 0, v9
	s_cbranch_execz .LBB311_237
; %bb.232:                              ;   in Loop: Header=BB311_168 Depth=1
	v_bfrev_b32_e32 v36, 1
	s_mov_b32 s20, exec_lo
	v_cmpx_ne_u16_e32 0x80, v9
	s_cbranch_execz .LBB311_236
; %bb.233:                              ;   in Loop: Header=BB311_168 Depth=1
	v_and_b32_e32 v9, 0x7f, v11
	v_mov_b32_e32 v36, 0x7fc02000
	s_mov_b32 s21, exec_lo
	s_delay_alu instid0(VALU_DEP_2)
	v_cmpx_ne_u32_e32 0x7f, v9
	s_cbranch_execz .LBB311_235
; %bb.234:                              ;   in Loop: Header=BB311_168 Depth=1
	v_and_b32_e32 v36, 7, v11
	v_cmp_gt_u32_e64 s0, 8, v9
	v_lshrrev_b32_e32 v38, 3, v9
	s_delay_alu instid0(VALU_DEP_3) | instskip(NEXT) | instid1(VALU_DEP_1)
	v_clz_i32_u32_e32 v36, v36
	v_min_u32_e32 v36, 32, v36
	s_delay_alu instid0(VALU_DEP_1) | instskip(SKIP_1) | instid1(VALU_DEP_2)
	v_subrev_nc_u32_e32 v39, 28, v36
	v_sub_nc_u32_e32 v36, 29, v36
	v_cndmask_b32_e64 v9, 0, v39, s0
	s_delay_alu instid0(VALU_DEP_2) | instskip(NEXT) | instid1(VALU_DEP_2)
	v_cndmask_b32_e64 v36, v38, v36, s0
	v_lshlrev_b64 v[38:39], v9, v[11:12]
	v_lshlrev_b32_e32 v9, 8, v11
	s_delay_alu instid0(VALU_DEP_3) | instskip(NEXT) | instid1(VALU_DEP_3)
	v_lshl_add_u32 v36, v36, 10, 0x2000
	v_lshlrev_b32_e32 v38, 7, v38
	s_delay_alu instid0(VALU_DEP_2) | instskip(NEXT) | instid1(VALU_DEP_1)
	v_and_or_b32 v9, 0x8000, v9, v36
	v_and_or_b32 v9, 0x380, v38, v9
	s_delay_alu instid0(VALU_DEP_1)
	v_cvt_f32_f16_e32 v36, v9
.LBB311_235:                            ;   in Loop: Header=BB311_168 Depth=1
	s_or_b32 exec_lo, exec_lo, s21
.LBB311_236:                            ;   in Loop: Header=BB311_168 Depth=1
	s_delay_alu instid0(SALU_CYCLE_1)
	s_or_b32 exec_lo, exec_lo, s20
.LBB311_237:                            ;   in Loop: Header=BB311_168 Depth=1
	s_delay_alu instid0(SALU_CYCLE_1) | instskip(SKIP_2) | instid1(VALU_DEP_1)
	s_or_b32 exec_lo, exec_lo, s18
	v_lshrrev_b16 v9, 8, v11
	s_mov_b32 s18, exec_lo
	v_cmpx_ne_u16_e32 0, v9
	s_cbranch_execz .LBB311_245
; %bb.238:                              ;   in Loop: Header=BB311_168 Depth=1
	v_bfrev_b32_e32 v37, 1
	s_mov_b32 s20, exec_lo
	v_cmpx_ne_u16_e32 0x80, v9
	s_cbranch_execz .LBB311_244
; %bb.239:                              ;   in Loop: Header=BB311_168 Depth=1
	v_and_b32_e32 v38, 0xffff, v9
	v_mov_b32_e32 v37, 0x7fc02000
	s_mov_b32 s21, exec_lo
	s_delay_alu instid0(VALU_DEP_2) | instskip(NEXT) | instid1(VALU_DEP_1)
	v_and_b32_e32 v39, 0x7f, v38
	v_cmpx_ne_u32_e32 0x7f, v39
	s_cbranch_execz .LBB311_243
; %bb.240:                              ;   in Loop: Header=BB311_168 Depth=1
	v_and_b32_e32 v9, 7, v38
	v_lshrrev_b32_e32 v37, 3, v39
	s_mov_b32 s22, exec_lo
	v_cmpx_gt_u32_e32 8, v39
; %bb.241:                              ;   in Loop: Header=BB311_168 Depth=1
	s_delay_alu instid0(VALU_DEP_3) | instskip(NEXT) | instid1(VALU_DEP_1)
	v_clz_i32_u32_e32 v37, v9
	v_min_u32_e32 v37, 32, v37
	s_delay_alu instid0(VALU_DEP_1) | instskip(SKIP_1) | instid1(VALU_DEP_2)
	v_subrev_nc_u32_e32 v39, 28, v37
	v_sub_nc_u32_e32 v37, 29, v37
	v_lshlrev_b64 v[39:40], v39, v[9:10]
	s_delay_alu instid0(VALU_DEP_1)
	v_and_b32_e32 v9, 7, v39
; %bb.242:                              ;   in Loop: Header=BB311_168 Depth=1
	s_or_b32 exec_lo, exec_lo, s22
	v_lshlrev_b32_e32 v38, 8, v38
	v_lshl_add_u32 v37, v37, 10, 0x2000
	s_delay_alu instid0(VALU_DEP_1) | instskip(NEXT) | instid1(VALU_DEP_1)
	v_and_or_b32 v37, 0x8000, v38, v37
	v_lshl_or_b32 v9, v9, 7, v37
	s_delay_alu instid0(VALU_DEP_1)
	v_cvt_f32_f16_e32 v37, v9
.LBB311_243:                            ;   in Loop: Header=BB311_168 Depth=1
	s_or_b32 exec_lo, exec_lo, s21
.LBB311_244:                            ;   in Loop: Header=BB311_168 Depth=1
	s_delay_alu instid0(SALU_CYCLE_1)
	s_or_b32 exec_lo, exec_lo, s20
.LBB311_245:                            ;   in Loop: Header=BB311_168 Depth=1
	s_delay_alu instid0(SALU_CYCLE_1) | instskip(SKIP_3) | instid1(VALU_DEP_2)
	s_or_b32 exec_lo, exec_lo, s18
	v_lshrrev_b32_e32 v40, 16, v11
	v_mov_b32_e32 v39, 0
	s_mov_b32 s18, exec_lo
	v_dual_mov_b32 v38, 0 :: v_dual_and_b32 v9, 0xff, v40
	s_delay_alu instid0(VALU_DEP_1)
	v_cmpx_ne_u16_e32 0, v9
	s_cbranch_execz .LBB311_253
; %bb.246:                              ;   in Loop: Header=BB311_168 Depth=1
	v_bfrev_b32_e32 v38, 1
	s_mov_b32 s20, exec_lo
	v_cmpx_ne_u16_e32 0x80, v9
	s_cbranch_execz .LBB311_252
; %bb.247:                              ;   in Loop: Header=BB311_168 Depth=1
	v_bfe_u32 v41, v11, 16, 7
	v_mov_b32_e32 v38, 0x7fc02000
	s_mov_b32 s21, exec_lo
	s_delay_alu instid0(VALU_DEP_2)
	v_cmpx_ne_u32_e32 0x7f, v41
	s_cbranch_execz .LBB311_251
; %bb.248:                              ;   in Loop: Header=BB311_168 Depth=1
	v_and_b32_e32 v9, 7, v40
	v_lshrrev_b32_e32 v38, 3, v41
	s_mov_b32 s22, exec_lo
	v_cmpx_gt_u32_e32 8, v41
; %bb.249:                              ;   in Loop: Header=BB311_168 Depth=1
	s_delay_alu instid0(VALU_DEP_3) | instskip(NEXT) | instid1(VALU_DEP_1)
	v_clz_i32_u32_e32 v38, v9
	v_min_u32_e32 v38, 32, v38
	s_delay_alu instid0(VALU_DEP_1) | instskip(SKIP_1) | instid1(VALU_DEP_2)
	v_subrev_nc_u32_e32 v41, 28, v38
	v_sub_nc_u32_e32 v38, 29, v38
	v_lshlrev_b64 v[41:42], v41, v[9:10]
	s_delay_alu instid0(VALU_DEP_1)
	v_and_b32_e32 v9, 7, v41
; %bb.250:                              ;   in Loop: Header=BB311_168 Depth=1
	s_or_b32 exec_lo, exec_lo, s22
	v_lshlrev_b32_e32 v40, 8, v40
	v_lshl_add_u32 v38, v38, 10, 0x2000
	s_delay_alu instid0(VALU_DEP_1) | instskip(NEXT) | instid1(VALU_DEP_1)
	v_and_or_b32 v38, 0x8000, v40, v38
	v_lshl_or_b32 v9, v9, 7, v38
	s_delay_alu instid0(VALU_DEP_1)
	v_cvt_f32_f16_e32 v38, v9
.LBB311_251:                            ;   in Loop: Header=BB311_168 Depth=1
	s_or_b32 exec_lo, exec_lo, s21
.LBB311_252:                            ;   in Loop: Header=BB311_168 Depth=1
	s_delay_alu instid0(SALU_CYCLE_1)
	s_or_b32 exec_lo, exec_lo, s20
.LBB311_253:                            ;   in Loop: Header=BB311_168 Depth=1
	s_delay_alu instid0(SALU_CYCLE_1) | instskip(NEXT) | instid1(SALU_CYCLE_1)
	s_or_b32 exec_lo, exec_lo, s18
	s_mov_b32 s18, exec_lo
	v_cmpx_lt_u32_e32 0xffffff, v11
	s_cbranch_execz .LBB311_261
; %bb.254:                              ;   in Loop: Header=BB311_168 Depth=1
	v_lshrrev_b32_e32 v40, 24, v11
	v_bfrev_b32_e32 v39, 1
	s_mov_b32 s20, exec_lo
	s_delay_alu instid0(VALU_DEP_2)
	v_cmpx_ne_u32_e32 0x80, v40
	s_cbranch_execz .LBB311_260
; %bb.255:                              ;   in Loop: Header=BB311_168 Depth=1
	v_and_b32_e32 v41, 0x7f, v40
	v_mov_b32_e32 v39, 0x7fc02000
	s_mov_b32 s21, exec_lo
	s_delay_alu instid0(VALU_DEP_2)
	v_cmpx_ne_u32_e32 0x7f, v41
	s_cbranch_execz .LBB311_259
; %bb.256:                              ;   in Loop: Header=BB311_168 Depth=1
	v_and_b32_e32 v9, 7, v40
	v_lshrrev_b32_e32 v39, 3, v41
	s_mov_b32 s22, exec_lo
	v_cmpx_gt_u32_e32 8, v41
; %bb.257:                              ;   in Loop: Header=BB311_168 Depth=1
	s_delay_alu instid0(VALU_DEP_3) | instskip(NEXT) | instid1(VALU_DEP_1)
	v_clz_i32_u32_e32 v39, v9
	v_min_u32_e32 v39, 32, v39
	s_delay_alu instid0(VALU_DEP_1) | instskip(SKIP_1) | instid1(VALU_DEP_2)
	v_subrev_nc_u32_e32 v41, 28, v39
	v_sub_nc_u32_e32 v39, 29, v39
	v_lshlrev_b64 v[41:42], v41, v[9:10]
	s_delay_alu instid0(VALU_DEP_1)
	v_and_b32_e32 v9, 7, v41
; %bb.258:                              ;   in Loop: Header=BB311_168 Depth=1
	s_or_b32 exec_lo, exec_lo, s22
	v_lshlrev_b32_e32 v40, 8, v40
	v_lshl_add_u32 v39, v39, 10, 0x2000
	s_delay_alu instid0(VALU_DEP_1) | instskip(NEXT) | instid1(VALU_DEP_1)
	v_and_or_b32 v39, 0x8000, v40, v39
	v_lshl_or_b32 v9, v9, 7, v39
	s_delay_alu instid0(VALU_DEP_1)
	v_cvt_f32_f16_e32 v39, v9
.LBB311_259:                            ;   in Loop: Header=BB311_168 Depth=1
	s_or_b32 exec_lo, exec_lo, s21
.LBB311_260:                            ;   in Loop: Header=BB311_168 Depth=1
	s_delay_alu instid0(SALU_CYCLE_1)
	s_or_b32 exec_lo, exec_lo, s20
.LBB311_261:                            ;   in Loop: Header=BB311_168 Depth=1
	s_delay_alu instid0(SALU_CYCLE_1) | instskip(SKIP_3) | instid1(VALU_DEP_2)
	s_or_b32 exec_lo, exec_lo, s18
	v_dual_mov_b32 v9, v12 :: v_dual_and_b32 v42, 0xff, v12
	v_dual_mov_b32 v41, 0 :: v_dual_mov_b32 v40, 0
	s_mov_b32 s18, exec_lo
	v_cmpx_ne_u16_e32 0, v42
	s_cbranch_execz .LBB311_267
; %bb.262:                              ;   in Loop: Header=BB311_168 Depth=1
	v_bfrev_b32_e32 v40, 1
	s_mov_b32 s20, exec_lo
	v_cmpx_ne_u16_e32 0x80, v42
	s_cbranch_execz .LBB311_266
; %bb.263:                              ;   in Loop: Header=BB311_168 Depth=1
	v_and_b32_e32 v42, 0x7f, v12
	v_mov_b32_e32 v40, 0x7fc02000
	s_mov_b32 s21, exec_lo
	s_delay_alu instid0(VALU_DEP_2)
	v_cmpx_ne_u32_e32 0x7f, v42
	s_cbranch_execz .LBB311_265
; %bb.264:                              ;   in Loop: Header=BB311_168 Depth=1
	v_and_b32_e32 v40, 7, v12
	v_cmp_gt_u32_e64 s0, 8, v42
	v_lshrrev_b32_e32 v43, 3, v42
	s_delay_alu instid0(VALU_DEP_3) | instskip(NEXT) | instid1(VALU_DEP_1)
	v_clz_i32_u32_e32 v40, v40
	v_min_u32_e32 v40, 32, v40
	s_delay_alu instid0(VALU_DEP_1) | instskip(SKIP_1) | instid1(VALU_DEP_2)
	v_subrev_nc_u32_e32 v44, 28, v40
	v_sub_nc_u32_e32 v40, 29, v40
	v_cndmask_b32_e64 v42, 0, v44, s0
	s_delay_alu instid0(VALU_DEP_2) | instskip(NEXT) | instid1(VALU_DEP_2)
	v_cndmask_b32_e64 v40, v43, v40, s0
	v_lshlrev_b64 v[42:43], v42, v[9:10]
	v_lshlrev_b32_e32 v43, 8, v12
	s_delay_alu instid0(VALU_DEP_3) | instskip(NEXT) | instid1(VALU_DEP_3)
	v_lshl_add_u32 v40, v40, 10, 0x2000
	v_lshlrev_b32_e32 v42, 7, v42
	s_delay_alu instid0(VALU_DEP_2) | instskip(NEXT) | instid1(VALU_DEP_1)
	v_and_or_b32 v40, 0x8000, v43, v40
	v_and_or_b32 v40, 0x380, v42, v40
	s_delay_alu instid0(VALU_DEP_1)
	v_cvt_f32_f16_e32 v40, v40
.LBB311_265:                            ;   in Loop: Header=BB311_168 Depth=1
	s_or_b32 exec_lo, exec_lo, s21
.LBB311_266:                            ;   in Loop: Header=BB311_168 Depth=1
	s_delay_alu instid0(SALU_CYCLE_1)
	s_or_b32 exec_lo, exec_lo, s20
.LBB311_267:                            ;   in Loop: Header=BB311_168 Depth=1
	s_delay_alu instid0(SALU_CYCLE_1) | instskip(SKIP_2) | instid1(VALU_DEP_1)
	s_or_b32 exec_lo, exec_lo, s18
	v_lshrrev_b16 v9, 8, v9
	s_mov_b32 s18, exec_lo
	v_cmpx_ne_u16_e32 0, v9
	s_cbranch_execz .LBB311_275
; %bb.268:                              ;   in Loop: Header=BB311_168 Depth=1
	v_bfrev_b32_e32 v41, 1
	s_mov_b32 s20, exec_lo
	v_cmpx_ne_u16_e32 0x80, v9
	s_cbranch_execz .LBB311_274
; %bb.269:                              ;   in Loop: Header=BB311_168 Depth=1
	v_and_b32_e32 v42, 0xffff, v9
	v_mov_b32_e32 v41, 0x7fc02000
	s_mov_b32 s21, exec_lo
	s_delay_alu instid0(VALU_DEP_2) | instskip(NEXT) | instid1(VALU_DEP_1)
	v_and_b32_e32 v43, 0x7f, v42
	v_cmpx_ne_u32_e32 0x7f, v43
	s_cbranch_execz .LBB311_273
; %bb.270:                              ;   in Loop: Header=BB311_168 Depth=1
	v_and_b32_e32 v9, 7, v42
	v_lshrrev_b32_e32 v41, 3, v43
	s_mov_b32 s22, exec_lo
	v_cmpx_gt_u32_e32 8, v43
; %bb.271:                              ;   in Loop: Header=BB311_168 Depth=1
	s_delay_alu instid0(VALU_DEP_3) | instskip(NEXT) | instid1(VALU_DEP_1)
	v_clz_i32_u32_e32 v41, v9
	v_min_u32_e32 v41, 32, v41
	s_delay_alu instid0(VALU_DEP_1) | instskip(SKIP_1) | instid1(VALU_DEP_2)
	v_subrev_nc_u32_e32 v43, 28, v41
	v_sub_nc_u32_e32 v41, 29, v41
	v_lshlrev_b64 v[43:44], v43, v[9:10]
	s_delay_alu instid0(VALU_DEP_1)
	v_and_b32_e32 v9, 7, v43
; %bb.272:                              ;   in Loop: Header=BB311_168 Depth=1
	s_or_b32 exec_lo, exec_lo, s22
	v_lshlrev_b32_e32 v42, 8, v42
	v_lshl_add_u32 v41, v41, 10, 0x2000
	s_delay_alu instid0(VALU_DEP_1) | instskip(NEXT) | instid1(VALU_DEP_1)
	v_and_or_b32 v41, 0x8000, v42, v41
	v_lshl_or_b32 v9, v9, 7, v41
	s_delay_alu instid0(VALU_DEP_1)
	v_cvt_f32_f16_e32 v41, v9
.LBB311_273:                            ;   in Loop: Header=BB311_168 Depth=1
	s_or_b32 exec_lo, exec_lo, s21
.LBB311_274:                            ;   in Loop: Header=BB311_168 Depth=1
	s_delay_alu instid0(SALU_CYCLE_1)
	s_or_b32 exec_lo, exec_lo, s20
.LBB311_275:                            ;   in Loop: Header=BB311_168 Depth=1
	s_delay_alu instid0(SALU_CYCLE_1) | instskip(SKIP_3) | instid1(VALU_DEP_2)
	s_or_b32 exec_lo, exec_lo, s18
	v_lshrrev_b32_e32 v44, 16, v12
	v_mov_b32_e32 v43, 0
	s_mov_b32 s18, exec_lo
	v_dual_mov_b32 v42, 0 :: v_dual_and_b32 v9, 0xff, v44
	s_delay_alu instid0(VALU_DEP_1)
	v_cmpx_ne_u16_e32 0, v9
	s_cbranch_execz .LBB311_283
; %bb.276:                              ;   in Loop: Header=BB311_168 Depth=1
	v_bfrev_b32_e32 v42, 1
	s_mov_b32 s20, exec_lo
	v_cmpx_ne_u16_e32 0x80, v9
	s_cbranch_execz .LBB311_282
; %bb.277:                              ;   in Loop: Header=BB311_168 Depth=1
	v_bfe_u32 v45, v12, 16, 7
	v_mov_b32_e32 v42, 0x7fc02000
	s_mov_b32 s21, exec_lo
	s_delay_alu instid0(VALU_DEP_2)
	v_cmpx_ne_u32_e32 0x7f, v45
	s_cbranch_execz .LBB311_281
; %bb.278:                              ;   in Loop: Header=BB311_168 Depth=1
	v_and_b32_e32 v9, 7, v44
	v_lshrrev_b32_e32 v42, 3, v45
	s_mov_b32 s22, exec_lo
	v_cmpx_gt_u32_e32 8, v45
; %bb.279:                              ;   in Loop: Header=BB311_168 Depth=1
	s_delay_alu instid0(VALU_DEP_3) | instskip(NEXT) | instid1(VALU_DEP_1)
	v_clz_i32_u32_e32 v42, v9
	v_min_u32_e32 v42, 32, v42
	s_delay_alu instid0(VALU_DEP_1) | instskip(SKIP_1) | instid1(VALU_DEP_2)
	v_subrev_nc_u32_e32 v45, 28, v42
	v_sub_nc_u32_e32 v42, 29, v42
	v_lshlrev_b64 v[45:46], v45, v[9:10]
	s_delay_alu instid0(VALU_DEP_1)
	v_and_b32_e32 v9, 7, v45
; %bb.280:                              ;   in Loop: Header=BB311_168 Depth=1
	s_or_b32 exec_lo, exec_lo, s22
	v_lshlrev_b32_e32 v44, 8, v44
	v_lshl_add_u32 v42, v42, 10, 0x2000
	s_delay_alu instid0(VALU_DEP_1) | instskip(NEXT) | instid1(VALU_DEP_1)
	v_and_or_b32 v42, 0x8000, v44, v42
	v_lshl_or_b32 v9, v9, 7, v42
	s_delay_alu instid0(VALU_DEP_1)
	v_cvt_f32_f16_e32 v42, v9
.LBB311_281:                            ;   in Loop: Header=BB311_168 Depth=1
	s_or_b32 exec_lo, exec_lo, s21
.LBB311_282:                            ;   in Loop: Header=BB311_168 Depth=1
	s_delay_alu instid0(SALU_CYCLE_1)
	s_or_b32 exec_lo, exec_lo, s20
.LBB311_283:                            ;   in Loop: Header=BB311_168 Depth=1
	s_delay_alu instid0(SALU_CYCLE_1) | instskip(NEXT) | instid1(SALU_CYCLE_1)
	s_or_b32 exec_lo, exec_lo, s18
	s_mov_b32 s18, exec_lo
	v_cmpx_lt_u64_e64 s[2:3], v[11:12]
	s_cbranch_execz .LBB311_291
; %bb.284:                              ;   in Loop: Header=BB311_168 Depth=1
	v_lshrrev_b32_e32 v11, 24, v12
	v_bfrev_b32_e32 v43, 1
	s_mov_b32 s20, exec_lo
	s_delay_alu instid0(VALU_DEP_2)
	v_cmpx_ne_u32_e32 0x80, v11
	s_cbranch_execz .LBB311_290
; %bb.285:                              ;   in Loop: Header=BB311_168 Depth=1
	v_and_b32_e32 v44, 0x7f, v11
	v_mov_b32_e32 v43, 0x7fc02000
	s_mov_b32 s21, exec_lo
	s_delay_alu instid0(VALU_DEP_2)
	v_cmpx_ne_u32_e32 0x7f, v44
	s_cbranch_execz .LBB311_289
; %bb.286:                              ;   in Loop: Header=BB311_168 Depth=1
	v_and_b32_e32 v9, 7, v11
	v_lshrrev_b32_e32 v12, 3, v44
	s_mov_b32 s22, exec_lo
	v_cmpx_gt_u32_e32 8, v44
; %bb.287:                              ;   in Loop: Header=BB311_168 Depth=1
	s_delay_alu instid0(VALU_DEP_3) | instskip(NEXT) | instid1(VALU_DEP_1)
	v_clz_i32_u32_e32 v12, v9
	v_min_u32_e32 v12, 32, v12
	s_delay_alu instid0(VALU_DEP_1) | instskip(SKIP_1) | instid1(VALU_DEP_2)
	v_subrev_nc_u32_e32 v43, 28, v12
	v_sub_nc_u32_e32 v12, 29, v12
	v_lshlrev_b64 v[43:44], v43, v[9:10]
	s_delay_alu instid0(VALU_DEP_1)
	v_and_b32_e32 v9, 7, v43
; %bb.288:                              ;   in Loop: Header=BB311_168 Depth=1
	s_or_b32 exec_lo, exec_lo, s22
	v_lshlrev_b32_e32 v11, 8, v11
	v_lshl_add_u32 v12, v12, 10, 0x2000
	s_delay_alu instid0(VALU_DEP_1) | instskip(NEXT) | instid1(VALU_DEP_1)
	v_and_or_b32 v11, 0x8000, v11, v12
	v_lshl_or_b32 v9, v9, 7, v11
	s_delay_alu instid0(VALU_DEP_1)
	v_cvt_f32_f16_e32 v43, v9
.LBB311_289:                            ;   in Loop: Header=BB311_168 Depth=1
	s_or_b32 exec_lo, exec_lo, s21
.LBB311_290:                            ;   in Loop: Header=BB311_168 Depth=1
	s_delay_alu instid0(SALU_CYCLE_1)
	s_or_b32 exec_lo, exec_lo, s20
.LBB311_291:                            ;   in Loop: Header=BB311_168 Depth=1
	s_delay_alu instid0(SALU_CYCLE_1)
	s_or_b32 exec_lo, exec_lo, s18
	s_waitcnt vmcnt(0)
	v_fma_mixlo_f16 v12, v33, v37, 0
	v_fma_mixlo_f16 v9, v33, v39, 0
	;; [unrolled: 1-line block ×5, first 2 shown]
	v_lshlrev_b32_e32 v37, 16, v12
	v_fma_mixlo_f16 v39, v33, v40, 0
	v_fma_mixlo_f16 v40, v33, v43, 0
	;; [unrolled: 1-line block ×3, first 2 shown]
	v_lshlrev_b32_e32 v9, 16, v9
	v_and_b32_e32 v11, 0xffff, v11
	v_and_b32_e32 v36, 0xffff, v36
	v_lshlrev_b32_e32 v38, 16, v38
	v_and_b32_e32 v39, 0xffff, v39
	v_lshlrev_b32_e32 v40, 16, v40
	v_and_b32_e32 v41, 0xffff, v12
	v_or_b32_e32 v33, v9, v11
	v_or_b32_e32 v36, v37, v36
	;; [unrolled: 1-line block ×3, first 2 shown]
	s_delay_alu instid0(VALU_DEP_4)
	v_or_b32_e32 v11, v40, v41
	s_and_saveexec_b32 s0, vcc_lo
	s_cbranch_execz .LBB311_166
; %bb.292:                              ;   in Loop: Header=BB311_168 Depth=1
	v_cmp_gt_i32_e32 vcc_lo, s15, v13
	v_lshrrev_b32_e32 v37, 16, v36
	v_lshrrev_b32_e32 v38, 16, v33
	;; [unrolled: 1-line block ×3, first 2 shown]
	v_cndmask_b32_e32 v13, 0, v36, vcc_lo
	v_cmp_gt_i32_e32 vcc_lo, s11, v28
	v_lshrrev_b32_e32 v36, 16, v9
	v_cndmask_b32_e32 v28, 0, v37, vcc_lo
	v_cmp_gt_i32_e32 vcc_lo, s11, v27
	v_cndmask_b32_e32 v27, 0, v38, vcc_lo
	v_cmp_gt_i32_e32 vcc_lo, s15, v26
	;; [unrolled: 2-line block ×3, first 2 shown]
	s_delay_alu instid0(VALU_DEP_2)
	v_perm_b32 v33, v27, v26, 0x5040100
	v_cndmask_b32_e32 v25, 0, v36, vcc_lo
	v_cmp_gt_i32_e32 vcc_lo, s15, v24
	v_perm_b32 v36, v28, v13, 0x5040100
	v_cndmask_b32_e32 v9, 0, v9, vcc_lo
	v_cmp_gt_i32_e32 vcc_lo, s11, v23
	v_cndmask_b32_e32 v11, 0, v11, vcc_lo
	v_cmp_gt_i32_e32 vcc_lo, s15, v14
	v_cndmask_b32_e32 v12, 0, v12, vcc_lo
	v_perm_b32 v9, v25, v9, 0x5040100
	s_delay_alu instid0(VALU_DEP_2)
	v_perm_b32 v11, v11, v12, 0x5040100
	s_branch .LBB311_166
.LBB311_293:
	s_or_b32 exec_lo, exec_lo, s10
.LBB311_294:
	s_delay_alu instid0(SALU_CYCLE_1)
	s_or_b32 exec_lo, exec_lo, s1
	ds_bpermute_b32 v1, v20, v3
	ds_bpermute_b32 v6, v20, v4
	v_and_b32_e32 v7, 0x3c1, v0
	v_lshrrev_b32_e32 v5, 1, v19
	s_mov_b32 s0, exec_lo
	s_waitcnt lgkmcnt(0)
	s_waitcnt_vscnt null, 0x0
	s_barrier
	buffer_gl0_inv
	v_dual_add_f32 v2, v3, v1 :: v_dual_add_f32 v1, v4, v6
	v_cmpx_eq_u32_e32 64, v7
	s_cbranch_execz .LBB311_296
; %bb.295:
	v_lshl_add_u32 v3, v17, 7, 0x60
	v_lshlrev_b32_e32 v4, 2, v5
	s_delay_alu instid0(VALU_DEP_1)
	v_add3_u32 v3, v3, v4, 0xffffff00
	ds_store_2addr_b32 v3, v2, v1 offset1:16
.LBB311_296:
	s_or_b32 exec_lo, exec_lo, s0
	v_and_b32_e32 v3, 0x3e0, v0
	v_cmp_eq_u32_e32 vcc_lo, 0, v16
	s_mov_b32 s1, exec_lo
	s_waitcnt lgkmcnt(0)
	s_barrier
	v_lshl_add_u32 v3, v3, 2, 0x60
	buffer_gl0_inv
	v_cmpx_gt_u32_e32 64, v0
	s_cbranch_execz .LBB311_302
; %bb.297:
	s_and_saveexec_b32 s0, vcc_lo
	s_cbranch_execz .LBB311_299
; %bb.298:
	v_lshl_add_u32 v4, v5, 2, v3
	ds_load_b32 v4, v4
	s_waitcnt lgkmcnt(0)
	v_add_f32_e32 v2, v2, v4
.LBB311_299:
	s_or_b32 exec_lo, exec_lo, s0
	s_and_saveexec_b32 s0, vcc_lo
	s_cbranch_execz .LBB311_301
; %bb.300:
	v_lshl_add_u32 v4, v5, 2, v3
	ds_load_b32 v4, v4 offset:64
	s_waitcnt lgkmcnt(0)
	v_add_f32_e32 v1, v1, v4
.LBB311_301:
	s_or_b32 exec_lo, exec_lo, s0
.LBB311_302:
	s_delay_alu instid0(SALU_CYCLE_1)
	s_or_b32 exec_lo, exec_lo, s1
	v_and_b32_e32 v4, 0x3e1, v0
	s_mov_b32 s1, exec_lo
	s_barrier
	buffer_gl0_inv
	v_cmpx_eq_u32_e32 32, v4
	s_cbranch_execz .LBB311_304
; %bb.303:
	v_lshl_add_u32 v6, v5, 2, 0x60
	ds_store_2addr_b32 v6, v2, v1 offset1:16
.LBB311_304:
	s_or_b32 exec_lo, exec_lo, s1
	s_delay_alu instid0(SALU_CYCLE_1)
	s_mov_b32 s1, exec_lo
	s_waitcnt lgkmcnt(0)
	s_barrier
	buffer_gl0_inv
	v_cmpx_gt_u32_e32 32, v0
	s_cbranch_execz .LBB311_310
; %bb.305:
	v_lshl_add_u32 v0, v5, 2, v3
	s_and_saveexec_b32 s0, vcc_lo
	s_cbranch_execz .LBB311_307
; %bb.306:
	ds_load_b32 v3, v0
	s_waitcnt lgkmcnt(0)
	v_add_f32_e32 v2, v2, v3
.LBB311_307:
	s_or_b32 exec_lo, exec_lo, s0
	s_and_saveexec_b32 s0, vcc_lo
	s_cbranch_execz .LBB311_309
; %bb.308:
	ds_load_b32 v0, v0 offset:64
	s_waitcnt lgkmcnt(0)
	v_add_f32_e32 v1, v1, v0
.LBB311_309:
	s_or_b32 exec_lo, exec_lo, s0
.LBB311_310:
	s_delay_alu instid0(SALU_CYCLE_1)
	s_or_b32 exec_lo, exec_lo, s1
	s_barrier
	buffer_gl0_inv
	s_mov_b32 s0, exec_lo
	v_cmpx_eq_u32_e32 0, v4
	s_cbranch_execz .LBB311_312
; %bb.311:
	s_lshl_b32 s0, s4, 5
	s_mul_i32 s2, s13, s12
	s_ashr_i32 s1, s0, 31
	v_lshlrev_b32_e32 v0, 1, v15
	s_lshl_b64 s[0:1], s[0:1], 1
	;;#ASMSTART
	v_cvt_f16_f32 v2, v2;

	;;#ASMEND
	s_add_u32 s4, s24, s0
	s_addc_u32 s5, s25, s1
	s_ashr_i32 s3, s2, 31
	s_delay_alu instid0(SALU_CYCLE_1) | instskip(NEXT) | instid1(SALU_CYCLE_1)
	s_lshl_b64 s[0:1], s[2:3], 1
	s_add_u32 s2, s4, s0
	s_addc_u32 s3, s5, s1
	s_ashr_i32 s9, s8, 31
	s_delay_alu instid0(SALU_CYCLE_1) | instskip(NEXT) | instid1(SALU_CYCLE_1)
	s_lshl_b64 s[0:1], s[8:9], 1
	s_add_u32 s0, s2, s0
	s_addc_u32 s1, s3, s1
	global_store_b16 v0, v2, s[0:1]
	;;#ASMSTART
	v_cvt_f16_f32 v1, v1;

	;;#ASMEND
	global_store_b16 v0, v1, s[0:1] offset:32
.LBB311_312:
	s_nop 0
	s_sendmsg sendmsg(MSG_DEALLOC_VGPRS)
	s_endpgm
	.section	.rodata,"a",@progbits
	.p2align	6, 0x0
	.amdhsa_kernel _ZN4vllm25paged_attention_v2_kernelIthLi32ELi16ELi128ELNS_18Fp8KVCacheDataTypeE1ELb1ELi512EEEvPfS2_PT_PKS3_PKT0_S9_ifPKiSB_iPKfiiiSD_SD_iiiii
		.amdhsa_group_segment_fixed_size 96
		.amdhsa_private_segment_fixed_size 0
		.amdhsa_kernarg_size 400
		.amdhsa_user_sgpr_count 13
		.amdhsa_user_sgpr_dispatch_ptr 0
		.amdhsa_user_sgpr_queue_ptr 0
		.amdhsa_user_sgpr_kernarg_segment_ptr 1
		.amdhsa_user_sgpr_dispatch_id 0
		.amdhsa_user_sgpr_private_segment_size 0
		.amdhsa_wavefront_size32 1
		.amdhsa_uses_dynamic_stack 0
		.amdhsa_enable_private_segment 0
		.amdhsa_system_sgpr_workgroup_id_x 1
		.amdhsa_system_sgpr_workgroup_id_y 1
		.amdhsa_system_sgpr_workgroup_id_z 1
		.amdhsa_system_sgpr_workgroup_info 0
		.amdhsa_system_vgpr_workitem_id 0
		.amdhsa_next_free_vgpr 55
		.amdhsa_next_free_sgpr 52
		.amdhsa_reserve_vcc 1
		.amdhsa_float_round_mode_32 0
		.amdhsa_float_round_mode_16_64 0
		.amdhsa_float_denorm_mode_32 3
		.amdhsa_float_denorm_mode_16_64 3
		.amdhsa_dx10_clamp 1
		.amdhsa_ieee_mode 1
		.amdhsa_fp16_overflow 0
		.amdhsa_workgroup_processor_mode 1
		.amdhsa_memory_ordered 1
		.amdhsa_forward_progress 0
		.amdhsa_shared_vgpr_count 0
		.amdhsa_exception_fp_ieee_invalid_op 0
		.amdhsa_exception_fp_denorm_src 0
		.amdhsa_exception_fp_ieee_div_zero 0
		.amdhsa_exception_fp_ieee_overflow 0
		.amdhsa_exception_fp_ieee_underflow 0
		.amdhsa_exception_fp_ieee_inexact 0
		.amdhsa_exception_int_div_zero 0
	.end_amdhsa_kernel
	.section	.text._ZN4vllm25paged_attention_v2_kernelIthLi32ELi16ELi128ELNS_18Fp8KVCacheDataTypeE1ELb1ELi512EEEvPfS2_PT_PKS3_PKT0_S9_ifPKiSB_iPKfiiiSD_SD_iiiii,"axG",@progbits,_ZN4vllm25paged_attention_v2_kernelIthLi32ELi16ELi128ELNS_18Fp8KVCacheDataTypeE1ELb1ELi512EEEvPfS2_PT_PKS3_PKT0_S9_ifPKiSB_iPKfiiiSD_SD_iiiii,comdat
.Lfunc_end311:
	.size	_ZN4vllm25paged_attention_v2_kernelIthLi32ELi16ELi128ELNS_18Fp8KVCacheDataTypeE1ELb1ELi512EEEvPfS2_PT_PKS3_PKT0_S9_ifPKiSB_iPKfiiiSD_SD_iiiii, .Lfunc_end311-_ZN4vllm25paged_attention_v2_kernelIthLi32ELi16ELi128ELNS_18Fp8KVCacheDataTypeE1ELb1ELi512EEEvPfS2_PT_PKS3_PKT0_S9_ifPKiSB_iPKfiiiSD_SD_iiiii
                                        ; -- End function
	.section	.AMDGPU.csdata,"",@progbits
; Kernel info:
; codeLenInByte = 13396
; NumSgprs: 54
; NumVgprs: 55
; ScratchSize: 0
; MemoryBound: 0
; FloatMode: 240
; IeeeMode: 1
; LDSByteSize: 96 bytes/workgroup (compile time only)
; SGPRBlocks: 6
; VGPRBlocks: 6
; NumSGPRsForWavesPerEU: 54
; NumVGPRsForWavesPerEU: 55
; Occupancy: 16
; WaveLimiterHint : 1
; COMPUTE_PGM_RSRC2:SCRATCH_EN: 0
; COMPUTE_PGM_RSRC2:USER_SGPR: 13
; COMPUTE_PGM_RSRC2:TRAP_HANDLER: 0
; COMPUTE_PGM_RSRC2:TGID_X_EN: 1
; COMPUTE_PGM_RSRC2:TGID_Y_EN: 1
; COMPUTE_PGM_RSRC2:TGID_Z_EN: 1
; COMPUTE_PGM_RSRC2:TIDIG_COMP_CNT: 0
	.section	.text._ZN4vllm25paged_attention_v2_kernelIthLi64ELi16ELi128ELNS_18Fp8KVCacheDataTypeE1ELb1ELi512EEEvPfS2_PT_PKS3_PKT0_S9_ifPKiSB_iPKfiiiSD_SD_iiiii,"axG",@progbits,_ZN4vllm25paged_attention_v2_kernelIthLi64ELi16ELi128ELNS_18Fp8KVCacheDataTypeE1ELb1ELi512EEEvPfS2_PT_PKS3_PKT0_S9_ifPKiSB_iPKfiiiSD_SD_iiiii,comdat
	.protected	_ZN4vllm25paged_attention_v2_kernelIthLi64ELi16ELi128ELNS_18Fp8KVCacheDataTypeE1ELb1ELi512EEEvPfS2_PT_PKS3_PKT0_S9_ifPKiSB_iPKfiiiSD_SD_iiiii ; -- Begin function _ZN4vllm25paged_attention_v2_kernelIthLi64ELi16ELi128ELNS_18Fp8KVCacheDataTypeE1ELb1ELi512EEEvPfS2_PT_PKS3_PKT0_S9_ifPKiSB_iPKfiiiSD_SD_iiiii
	.globl	_ZN4vllm25paged_attention_v2_kernelIthLi64ELi16ELi128ELNS_18Fp8KVCacheDataTypeE1ELb1ELi512EEEvPfS2_PT_PKS3_PKT0_S9_ifPKiSB_iPKfiiiSD_SD_iiiii
	.p2align	8
	.type	_ZN4vllm25paged_attention_v2_kernelIthLi64ELi16ELi128ELNS_18Fp8KVCacheDataTypeE1ELb1ELi512EEEvPfS2_PT_PKS3_PKT0_S9_ifPKiSB_iPKfiiiSD_SD_iiiii,@function
_ZN4vllm25paged_attention_v2_kernelIthLi64ELi16ELi128ELNS_18Fp8KVCacheDataTypeE1ELb1ELi512EEEvPfS2_PT_PKS3_PKT0_S9_ifPKiSB_iPKfiiiSD_SD_iiiii: ; @_ZN4vllm25paged_attention_v2_kernelIthLi64ELi16ELi128ELNS_18Fp8KVCacheDataTypeE1ELb1ELi512EEEvPfS2_PT_PKS3_PKT0_S9_ifPKiSB_iPKfiiiSD_SD_iiiii
; %bb.0:
	s_load_b64 s[2:3], s[0:1], 0x40
	s_mov_b32 s24, s15
	s_ashr_i32 s15, s14, 31
	s_delay_alu instid0(SALU_CYCLE_1)
	s_lshl_b64 s[4:5], s[14:15], 2
	s_waitcnt lgkmcnt(0)
	s_add_u32 s2, s2, s4
	s_addc_u32 s3, s3, s5
	s_lshl_b32 s25, s24, 9
	s_load_b32 s33, s[2:3], 0x0
	s_waitcnt lgkmcnt(0)
	s_cmp_ge_i32 s25, s33
	s_cbranch_scc1 .LBB312_566
; %bb.1:
	s_clause 0x1
	s_load_b32 s15, s[0:1], 0x90
	s_load_b64 s[38:39], s[0:1], 0x30
	s_mov_b32 s12, s13
	s_mov_b32 s41, 0
	s_waitcnt lgkmcnt(0)
	s_abs_i32 s5, s15
	s_abs_i32 s2, s38
	s_delay_alu instid0(SALU_CYCLE_1) | instskip(SKIP_1) | instid1(VALU_DEP_1)
	v_cvt_f32_u32_e32 v1, s2
	s_sub_i32 s4, 0, s2
	v_rcp_iflag_f32_e32 v1, v1
	s_waitcnt_depctr 0xfff
	v_mul_f32_e32 v1, 0x4f7ffffe, v1
	s_delay_alu instid0(VALU_DEP_1) | instskip(NEXT) | instid1(VALU_DEP_1)
	v_cvt_u32_f32_e32 v1, v1
	v_readfirstlane_b32 s3, v1
	s_delay_alu instid0(VALU_DEP_1) | instskip(NEXT) | instid1(SALU_CYCLE_1)
	s_mul_i32 s4, s4, s3
	s_mul_hi_u32 s4, s3, s4
	s_delay_alu instid0(SALU_CYCLE_1) | instskip(SKIP_4) | instid1(SALU_CYCLE_1)
	s_add_i32 s3, s3, s4
	s_xor_b32 s4, s15, s38
	s_mul_hi_u32 s3, s5, s3
	s_ashr_i32 s4, s4, 31
	s_mul_i32 s6, s3, s2
	s_sub_i32 s5, s5, s6
	s_add_i32 s6, s3, 1
	s_sub_i32 s7, s5, s2
	s_cmp_ge_u32 s5, s2
	s_cselect_b32 s3, s6, s3
	s_cselect_b32 s5, s7, s5
	s_add_i32 s6, s3, 1
	s_cmp_ge_u32 s5, s2
	s_cselect_b32 s2, s6, s3
	s_delay_alu instid0(SALU_CYCLE_1) | instskip(NEXT) | instid1(SALU_CYCLE_1)
	s_xor_b32 s2, s2, s4
	s_sub_i32 s7, s2, s4
	s_load_b64 s[2:3], s[0:1], 0x50
	s_abs_i32 s4, s7
	s_delay_alu instid0(SALU_CYCLE_1) | instskip(SKIP_1) | instid1(VALU_DEP_1)
	v_cvt_f32_u32_e32 v1, s4
	s_sub_i32 s5, 0, s4
	v_rcp_iflag_f32_e32 v1, v1
	s_waitcnt_depctr 0xfff
	v_mul_f32_e32 v1, 0x4f7ffffe, v1
	s_delay_alu instid0(VALU_DEP_1) | instskip(NEXT) | instid1(VALU_DEP_1)
	v_cvt_u32_f32_e32 v1, v1
	v_readfirstlane_b32 s6, v1
	s_delay_alu instid0(VALU_DEP_1) | instskip(NEXT) | instid1(SALU_CYCLE_1)
	s_mul_i32 s5, s5, s6
	s_mul_hi_u32 s8, s6, s5
	s_abs_i32 s5, s13
	s_add_i32 s6, s6, s8
	s_waitcnt lgkmcnt(0)
	s_cmp_eq_u64 s[2:3], 0
	s_mul_hi_u32 s6, s5, s6
	s_cbranch_scc1 .LBB312_3
; %bb.2:
	s_ashr_i32 s13, s12, 31
	s_delay_alu instid0(SALU_CYCLE_1) | instskip(NEXT) | instid1(SALU_CYCLE_1)
	s_lshl_b64 s[8:9], s[12:13], 2
	s_add_u32 s2, s2, s8
	s_addc_u32 s3, s3, s9
	s_load_b32 s41, s[2:3], 0x0
.LBB312_3:
	s_load_b128 s[8:11], s[0:1], 0x58
	v_lshrrev_b32_e32 v16, 1, v0
	v_and_b32_e32 v17, 1, v0
	v_lshlrev_b32_e32 v11, 3, v0
	s_ashr_i32 s2, s12, 31
	s_ashr_i32 s3, s7, 31
	s_lshl_b32 s26, s12, 6
	s_mov_b32 s7, exec_lo
	v_cmpx_gt_u32_e32 16, v0
	s_cbranch_execz .LBB312_5
; %bb.4:
	s_load_b64 s[16:17], s[0:1], 0x18
	s_waitcnt lgkmcnt(0)
	s_mul_i32 s18, s14, s8
	v_lshlrev_b32_e32 v3, 3, v16
	s_ashr_i32 s19, s18, 31
	s_delay_alu instid0(SALU_CYCLE_1) | instskip(NEXT) | instid1(VALU_DEP_1)
	s_lshl_b64 s[18:19], s[18:19], 1
	v_lshl_add_u32 v3, v17, 6, v3
	s_add_u32 s8, s16, s18
	s_addc_u32 s11, s17, s19
	s_ashr_i32 s27, s26, 31
	s_delay_alu instid0(SALU_CYCLE_1) | instskip(NEXT) | instid1(SALU_CYCLE_1)
	s_lshl_b64 s[16:17], s[26:27], 1
	s_add_u32 s16, s8, s16
	s_addc_u32 s17, s11, s17
	global_load_b64 v[1:2], v11, s[16:17]
	s_waitcnt vmcnt(0)
	ds_store_b64 v3, v[1:2]
.LBB312_5:
	s_or_b32 exec_lo, exec_lo, s7
	s_load_b128 s[16:19], s[0:1], 0x78
	s_mul_i32 s7, s6, s4
	s_xor_b32 s2, s2, s3
	s_sub_i32 s3, s5, s7
	s_add_i32 s5, s6, 1
	s_sub_i32 s7, s3, s4
	s_cmp_ge_u32 s3, s4
	s_waitcnt lgkmcnt(0)
	s_cselect_b32 s5, s5, s6
	s_cselect_b32 s3, s7, s3
	s_add_i32 s6, s5, 1
	s_cmp_ge_u32 s3, s4
	s_load_b32 s4, s[0:1], 0x88
	s_cselect_b32 s3, s6, s5
	s_add_i32 s5, s33, -1
	s_xor_b32 s3, s3, s2
	s_abs_i32 s13, s5
	s_sub_i32 s3, s3, s2
	s_mov_b32 s6, -1
	s_waitcnt lgkmcnt(0)
	s_barrier
	s_abs_i32 s11, s19
	buffer_gl0_inv
	v_cvt_f32_u32_e32 v1, s11
	s_sub_i32 s2, 0, s11
                                        ; implicit-def: $sgpr40
	s_delay_alu instid0(VALU_DEP_1) | instskip(SKIP_2) | instid1(VALU_DEP_1)
	v_rcp_iflag_f32_e32 v1, v1
	s_waitcnt_depctr 0xfff
	v_mul_f32_e32 v1, 0x4f7ffffe, v1
	v_cvt_u32_f32_e32 v1, v1
	s_delay_alu instid0(VALU_DEP_1) | instskip(NEXT) | instid1(VALU_DEP_1)
	v_readfirstlane_b32 s27, v1
	s_mul_i32 s2, s2, s27
	s_delay_alu instid0(SALU_CYCLE_1) | instskip(NEXT) | instid1(SALU_CYCLE_1)
	s_mul_hi_u32 s2, s27, s2
	s_add_i32 s27, s27, s2
	s_cmp_lt_i32 s4, 0
	s_mul_hi_u32 s2, s13, s27
	s_cbranch_scc0 .LBB312_7
; %bb.6:
	s_mul_i32 s6, s16, s38
	s_delay_alu instid0(SALU_CYCLE_1) | instskip(NEXT) | instid1(SALU_CYCLE_1)
	s_add_i32 s6, s3, s6
	s_mul_i32 s6, s6, s4
	s_delay_alu instid0(SALU_CYCLE_1)
	s_sub_i32 s40, 1, s6
	s_mov_b32 s6, 0
.LBB312_7:
	s_load_b64 s[30:31], s[0:1], 0x38
	s_ashr_i32 s34, s5, 31
	s_and_not1_b32 vcc_lo, exec_lo, s6
	s_ashr_i32 s19, s19, 31
	s_cbranch_vccnz .LBB312_9
; %bb.8:
	s_mul_i32 s5, s15, s16
	s_delay_alu instid0(SALU_CYCLE_1) | instskip(NEXT) | instid1(SALU_CYCLE_1)
	s_add_i32 s5, s5, s12
	s_mul_i32 s4, s5, s4
	s_delay_alu instid0(SALU_CYCLE_1)
	s_add_i32 s40, s4, 1
.LBB312_9:
	s_clause 0x5
	s_load_b32 s16, s[0:1], 0x48
	s_load_b64 s[36:37], s[0:1], 0x28
	s_load_b128 s[20:23], s[0:1], 0x0
	s_load_b64 s[28:29], s[0:1], 0x10
	s_load_b32 s8, s[0:1], 0x98
	s_load_b128 s[4:7], s[0:1], 0x68
	s_xor_b32 s43, s34, s19
	s_mul_i32 s34, s2, s11
	s_add_i32 s38, s2, 1
	s_sub_i32 s13, s13, s34
	v_lshrrev_b32_e32 v18, 5, v0
	v_mov_b32_e32 v13, 0xff7fffff
	v_mbcnt_lo_u32_b32 v12, -1, 0
	s_mul_i32 s10, s3, s10
	s_delay_alu instid0(VALU_DEP_3)
	v_lshl_add_u32 v19, v18, 4, s25
	s_waitcnt lgkmcnt(0)
	s_mul_i32 s34, s14, s16
	s_sub_i32 s16, s13, s11
	s_ashr_i32 s35, s34, 31
	s_cmp_ge_u32 s13, s11
	s_cselect_b32 s2, s38, s2
	s_cselect_b32 s13, s16, s13
	s_add_i32 s16, s2, 1
	s_cmp_ge_u32 s13, s11
	s_cselect_b32 s2, s16, s2
	s_add_i32 s13, s33, 15
	s_lshl_b32 s42, s24, 5
	s_ashr_i32 s16, s13, 31
	v_or_b32_e32 v5, s42, v18
	s_lshr_b32 s16, s16, 28
	s_delay_alu instid0(SALU_CYCLE_1)
	s_add_i32 s13, s13, s16
	s_add_i32 s16, s42, 32
	s_ashr_i32 s38, s13, 4
	s_xor_b32 s13, s2, s43
	s_min_i32 s16, s16, s38
	v_ashrrev_i32_e32 v6, 31, v5
	v_cmp_gt_i32_e64 s2, s16, v5
	s_sub_i32 s13, s13, s43
	s_delay_alu instid0(VALU_DEP_1)
	s_and_saveexec_b32 s43, s2
	s_cbranch_execz .LBB312_275
; %bb.10:
	s_load_b64 s[0:1], s[0:1], 0x20
	s_sub_i32 s44, s13, s17
	s_ashr_i32 s3, s10, 31
	v_bfe_u32 v14, v0, 1, 4
	v_lshlrev_b64 v[7:8], 2, v[5:6]
	v_mov_b32_e32 v26, v5
	v_cmp_eq_u32_e32 vcc_lo, 0, v17
	v_dual_mov_b32 v22, 0xff7fffff :: v_dual_lshlrev_b32 v15, 2, v17
	v_lshlrev_b32_e32 v3, 2, v14
	v_lshlrev_b32_e32 v10, 4, v14
	v_subrev_nc_u32_e32 v4, s33, v14
	v_dual_mov_b32 v13, 0xff7fffff :: v_dual_lshlrev_b32 v20, 6, v17
	s_delay_alu instid0(VALU_DEP_4) | instskip(SKIP_1) | instid1(VALU_DEP_4)
	v_lshl_or_b32 v3, v18, 6, v3
	v_lshl_add_u32 v21, v18, 4, s25
	v_add_nc_u32_e32 v23, 1, v4
	s_delay_alu instid0(VALU_DEP_3)
	v_add_nc_u32_e32 v24, 0xa0, v3
	s_waitcnt lgkmcnt(0)
	s_add_u32 s48, s0, s10
	s_addc_u32 s1, s1, s3
	s_abs_i32 s45, s18
	s_lshl_b64 s[46:47], s[34:35], 2
	v_cvt_f32_u32_e32 v1, s45
	s_sub_i32 s3, 0, s45
	v_cmp_neq_f32_e64 s0, s41, 0
	s_delay_alu instid0(VALU_DEP_2) | instskip(SKIP_2) | instid1(VALU_DEP_1)
	v_rcp_iflag_f32_e32 v1, v1
	s_waitcnt_depctr 0xfff
	v_dual_mov_b32 v2, 0 :: v_dual_mul_f32 v1, 0x4f7ffffe, v1
	v_cvt_u32_f32_e32 v1, v1
	s_delay_alu instid0(VALU_DEP_1) | instskip(SKIP_1) | instid1(VALU_DEP_1)
	v_mul_lo_u32 v9, s3, v1
	v_add_co_u32 v3, s3, s48, v10
	v_add_co_ci_u32_e64 v4, null, s1, 0, s3
	s_add_u32 s1, s30, s46
	s_addc_u32 s3, s31, s47
	v_add_co_u32 v7, s1, s1, v7
	s_delay_alu instid0(VALU_DEP_4) | instskip(SKIP_3) | instid1(VALU_DEP_2)
	v_mul_hi_u32 v9, v1, v9
	v_add_co_ci_u32_e64 v8, s1, s3, v8, s1
	s_mov_b32 s46, 0
	s_mov_b32 s47, s9
	v_add_nc_u32_e32 v25, v1, v9
	s_branch .LBB312_13
.LBB312_11:                             ;   in Loop: Header=BB312_13 Depth=1
	s_or_b32 exec_lo, exec_lo, s48
.LBB312_12:                             ;   in Loop: Header=BB312_13 Depth=1
	s_delay_alu instid0(SALU_CYCLE_1) | instskip(SKIP_2) | instid1(VALU_DEP_1)
	s_or_b32 exec_lo, exec_lo, s3
	v_add_nc_u32_e32 v26, 4, v26
	v_add_co_u32 v7, s3, v7, 16
	v_add_co_ci_u32_e64 v8, s3, 0, v8, s3
	s_delay_alu instid0(VALU_DEP_3) | instskip(SKIP_2) | instid1(VALU_DEP_3)
	v_cmp_le_i32_e64 s1, s16, v26
	v_add_nc_u32_e32 v21, 64, v21
	v_add_nc_u32_e32 v24, 0x100, v24
	s_or_b32 s46, s1, s46
	s_delay_alu instid0(SALU_CYCLE_1)
	s_and_not1_b32 exec_lo, exec_lo, s46
	s_cbranch_execz .LBB312_274
.LBB312_13:                             ; =>This Inner Loop Header: Depth=1
	v_sub_nc_u32_e32 v1, 0, v21
	s_delay_alu instid0(VALU_DEP_1) | instskip(SKIP_1) | instid1(VALU_DEP_1)
	v_max_i32_e32 v1, v21, v1
	s_waitcnt lgkmcnt(0)
	v_mul_hi_u32 v9, v1, s27
	s_delay_alu instid0(VALU_DEP_1) | instskip(NEXT) | instid1(VALU_DEP_1)
	v_mul_lo_u32 v10, v9, s11
	v_sub_nc_u32_e32 v1, v1, v10
	v_add_nc_u32_e32 v10, 1, v9
	s_delay_alu instid0(VALU_DEP_2) | instskip(SKIP_1) | instid1(VALU_DEP_1)
	v_subrev_nc_u32_e32 v27, s11, v1
	v_cmp_le_u32_e64 s1, s11, v1
	v_cndmask_b32_e64 v9, v9, v10, s1
	s_delay_alu instid0(VALU_DEP_3) | instskip(SKIP_1) | instid1(VALU_DEP_3)
	v_cndmask_b32_e64 v1, v1, v27, s1
	v_ashrrev_i32_e32 v10, 31, v21
	v_add_nc_u32_e32 v27, 1, v9
	s_delay_alu instid0(VALU_DEP_3) | instskip(NEXT) | instid1(VALU_DEP_3)
	v_cmp_le_u32_e64 s1, s11, v1
	v_xor_b32_e32 v10, s19, v10
	s_delay_alu instid0(VALU_DEP_2) | instskip(NEXT) | instid1(VALU_DEP_1)
	v_cndmask_b32_e64 v1, v9, v27, s1
	v_xor_b32_e32 v1, v1, v10
	s_delay_alu instid0(VALU_DEP_1) | instskip(NEXT) | instid1(VALU_DEP_1)
	v_sub_nc_u32_e32 v1, v1, v10
	v_add_nc_u32_e32 v9, s40, v1
	v_cmp_ge_i32_e64 s3, s44, v1
	s_delay_alu instid0(VALU_DEP_2) | instskip(NEXT) | instid1(VALU_DEP_1)
	v_sub_nc_u32_e32 v10, 0, v9
	v_max_i32_e32 v10, v9, v10
	v_ashrrev_i32_e32 v9, 31, v9
	s_delay_alu instid0(VALU_DEP_2) | instskip(NEXT) | instid1(VALU_DEP_1)
	v_mul_hi_u32 v27, v10, v25
	v_mul_lo_u32 v27, v27, s45
	s_delay_alu instid0(VALU_DEP_1) | instskip(NEXT) | instid1(VALU_DEP_1)
	v_sub_nc_u32_e32 v10, v10, v27
	v_subrev_nc_u32_e32 v27, s45, v10
	v_cmp_le_u32_e64 s1, s45, v10
	s_delay_alu instid0(VALU_DEP_1) | instskip(NEXT) | instid1(VALU_DEP_1)
	v_cndmask_b32_e64 v10, v10, v27, s1
	v_subrev_nc_u32_e32 v27, s45, v10
	v_cmp_le_u32_e64 s1, s45, v10
	s_delay_alu instid0(VALU_DEP_1) | instskip(NEXT) | instid1(VALU_DEP_1)
	v_cndmask_b32_e64 v10, v10, v27, s1
	v_xor_b32_e32 v10, v10, v9
	s_delay_alu instid0(VALU_DEP_1) | instskip(NEXT) | instid1(VALU_DEP_1)
	v_sub_nc_u32_e32 v9, v10, v9
	v_cmp_ne_u32_e64 s1, 0, v9
	s_delay_alu instid0(VALU_DEP_1) | instskip(NEXT) | instid1(SALU_CYCLE_1)
	s_and_b32 s1, s1, s3
	s_and_b32 s48, vcc_lo, s1
	s_delay_alu instid0(SALU_CYCLE_1)
	s_and_saveexec_b32 s3, s48
	s_cbranch_execz .LBB312_15
; %bb.14:                               ;   in Loop: Header=BB312_13 Depth=1
	ds_store_b32 v24, v22
.LBB312_15:                             ;   in Loop: Header=BB312_13 Depth=1
	s_or_b32 exec_lo, exec_lo, s3
	s_xor_b32 s1, s1, -1
	s_delay_alu instid0(SALU_CYCLE_1)
	s_and_saveexec_b32 s3, s1
	s_cbranch_execz .LBB312_12
; %bb.16:                               ;   in Loop: Header=BB312_13 Depth=1
	global_load_b32 v1, v[7:8], off
	v_mov_b32_e32 v29, 0
	s_mov_b32 s48, exec_lo
	v_mov_b32_e32 v28, 0
	s_waitcnt vmcnt(0)
	v_mad_i64_i32 v[9:10], null, v1, s47, v[3:4]
	s_delay_alu instid0(VALU_DEP_1) | instskip(NEXT) | instid1(VALU_DEP_1)
	v_add_co_u32 v9, s1, v9, v15
	v_add_co_ci_u32_e64 v10, s1, 0, v10, s1
	global_load_b32 v32, v[9:10], off
	global_load_b32 v27, v2, s[4:5]
	s_waitcnt vmcnt(1)
	v_and_b32_e32 v1, 0xff, v32
	s_delay_alu instid0(VALU_DEP_1)
	v_cmpx_ne_u16_e32 0, v1
	s_cbranch_execz .LBB312_24
; %bb.17:                               ;   in Loop: Header=BB312_13 Depth=1
	v_bfrev_b32_e32 v29, 1
	s_mov_b32 s49, exec_lo
	v_cmpx_ne_u16_e32 0x80, v1
	s_cbranch_execz .LBB312_23
; %bb.18:                               ;   in Loop: Header=BB312_13 Depth=1
	v_and_b32_e32 v30, 0x7f, v32
	v_mov_b32_e32 v29, 0x7fc02000
	s_mov_b32 s50, exec_lo
	s_delay_alu instid0(VALU_DEP_2)
	v_cmpx_ne_u32_e32 0x7f, v30
	s_cbranch_execz .LBB312_22
; %bb.19:                               ;   in Loop: Header=BB312_13 Depth=1
	v_and_b32_e32 v1, 7, v32
	v_lshrrev_b32_e32 v29, 3, v30
	s_mov_b32 s51, exec_lo
	v_cmpx_gt_u32_e32 8, v30
; %bb.20:                               ;   in Loop: Header=BB312_13 Depth=1
	s_delay_alu instid0(VALU_DEP_3) | instskip(NEXT) | instid1(VALU_DEP_1)
	v_clz_i32_u32_e32 v29, v1
	v_min_u32_e32 v29, 32, v29
	s_delay_alu instid0(VALU_DEP_1) | instskip(SKIP_1) | instid1(VALU_DEP_2)
	v_subrev_nc_u32_e32 v30, 28, v29
	v_sub_nc_u32_e32 v29, 29, v29
	v_lshlrev_b64 v[30:31], v30, v[1:2]
	s_delay_alu instid0(VALU_DEP_1)
	v_and_b32_e32 v1, 7, v30
; %bb.21:                               ;   in Loop: Header=BB312_13 Depth=1
	s_or_b32 exec_lo, exec_lo, s51
	v_lshlrev_b32_e32 v30, 8, v32
	v_lshl_add_u32 v29, v29, 10, 0x2000
	s_delay_alu instid0(VALU_DEP_1) | instskip(NEXT) | instid1(VALU_DEP_1)
	v_and_or_b32 v29, 0x8000, v30, v29
	v_lshl_or_b32 v1, v1, 7, v29
	s_delay_alu instid0(VALU_DEP_1)
	v_cvt_f32_f16_e32 v29, v1
.LBB312_22:                             ;   in Loop: Header=BB312_13 Depth=1
	s_or_b32 exec_lo, exec_lo, s50
.LBB312_23:                             ;   in Loop: Header=BB312_13 Depth=1
	s_delay_alu instid0(SALU_CYCLE_1)
	s_or_b32 exec_lo, exec_lo, s49
.LBB312_24:                             ;   in Loop: Header=BB312_13 Depth=1
	s_delay_alu instid0(SALU_CYCLE_1) | instskip(SKIP_2) | instid1(VALU_DEP_1)
	s_or_b32 exec_lo, exec_lo, s48
	v_lshrrev_b16 v1, 8, v32
	s_mov_b32 s48, exec_lo
	v_cmpx_ne_u16_e32 0, v1
	s_cbranch_execz .LBB312_32
; %bb.25:                               ;   in Loop: Header=BB312_13 Depth=1
	v_bfrev_b32_e32 v28, 1
	s_mov_b32 s49, exec_lo
	v_cmpx_ne_u16_e32 0x80, v1
	s_cbranch_execz .LBB312_31
; %bb.26:                               ;   in Loop: Header=BB312_13 Depth=1
	v_and_b32_e32 v30, 0xffff, v1
	v_mov_b32_e32 v28, 0x7fc02000
	s_mov_b32 s50, exec_lo
	s_delay_alu instid0(VALU_DEP_2) | instskip(NEXT) | instid1(VALU_DEP_1)
	v_and_b32_e32 v31, 0x7f, v30
	v_cmpx_ne_u32_e32 0x7f, v31
	s_cbranch_execz .LBB312_30
; %bb.27:                               ;   in Loop: Header=BB312_13 Depth=1
	v_and_b32_e32 v1, 7, v30
	v_lshrrev_b32_e32 v28, 3, v31
	s_mov_b32 s51, exec_lo
	v_cmpx_gt_u32_e32 8, v31
; %bb.28:                               ;   in Loop: Header=BB312_13 Depth=1
	s_delay_alu instid0(VALU_DEP_3) | instskip(NEXT) | instid1(VALU_DEP_1)
	v_clz_i32_u32_e32 v28, v1
	v_min_u32_e32 v28, 32, v28
	s_delay_alu instid0(VALU_DEP_1) | instskip(SKIP_1) | instid1(VALU_DEP_2)
	v_subrev_nc_u32_e32 v31, 28, v28
	v_sub_nc_u32_e32 v28, 29, v28
	v_lshlrev_b64 v[33:34], v31, v[1:2]
	s_delay_alu instid0(VALU_DEP_1)
	v_and_b32_e32 v1, 7, v33
; %bb.29:                               ;   in Loop: Header=BB312_13 Depth=1
	s_or_b32 exec_lo, exec_lo, s51
	v_lshlrev_b32_e32 v30, 8, v30
	v_lshl_add_u32 v28, v28, 10, 0x2000
	s_delay_alu instid0(VALU_DEP_1) | instskip(NEXT) | instid1(VALU_DEP_1)
	v_and_or_b32 v28, 0x8000, v30, v28
	v_lshl_or_b32 v1, v1, 7, v28
	s_delay_alu instid0(VALU_DEP_1)
	v_cvt_f32_f16_e32 v28, v1
.LBB312_30:                             ;   in Loop: Header=BB312_13 Depth=1
	s_or_b32 exec_lo, exec_lo, s50
.LBB312_31:                             ;   in Loop: Header=BB312_13 Depth=1
	s_delay_alu instid0(SALU_CYCLE_1)
	s_or_b32 exec_lo, exec_lo, s49
.LBB312_32:                             ;   in Loop: Header=BB312_13 Depth=1
	s_delay_alu instid0(SALU_CYCLE_1) | instskip(SKIP_3) | instid1(VALU_DEP_2)
	s_or_b32 exec_lo, exec_lo, s48
	v_lshrrev_b32_e32 v33, 16, v32
	v_mov_b32_e32 v31, 0
	s_mov_b32 s48, exec_lo
	v_dual_mov_b32 v30, 0 :: v_dual_and_b32 v1, 0xff, v33
	s_delay_alu instid0(VALU_DEP_1)
	v_cmpx_ne_u16_e32 0, v1
	s_cbranch_execz .LBB312_40
; %bb.33:                               ;   in Loop: Header=BB312_13 Depth=1
	v_bfrev_b32_e32 v31, 1
	s_mov_b32 s49, exec_lo
	v_cmpx_ne_u16_e32 0x80, v1
	s_cbranch_execz .LBB312_39
; %bb.34:                               ;   in Loop: Header=BB312_13 Depth=1
	v_bfe_u32 v34, v32, 16, 7
	v_mov_b32_e32 v31, 0x7fc02000
	s_mov_b32 s50, exec_lo
	s_delay_alu instid0(VALU_DEP_2)
	v_cmpx_ne_u32_e32 0x7f, v34
	s_cbranch_execz .LBB312_38
; %bb.35:                               ;   in Loop: Header=BB312_13 Depth=1
	v_and_b32_e32 v1, 7, v33
	v_lshrrev_b32_e32 v31, 3, v34
	s_mov_b32 s51, exec_lo
	v_cmpx_gt_u32_e32 8, v34
; %bb.36:                               ;   in Loop: Header=BB312_13 Depth=1
	s_delay_alu instid0(VALU_DEP_3) | instskip(NEXT) | instid1(VALU_DEP_1)
	v_clz_i32_u32_e32 v31, v1
	v_min_u32_e32 v31, 32, v31
	s_delay_alu instid0(VALU_DEP_1) | instskip(SKIP_1) | instid1(VALU_DEP_2)
	v_subrev_nc_u32_e32 v34, 28, v31
	v_sub_nc_u32_e32 v31, 29, v31
	v_lshlrev_b64 v[34:35], v34, v[1:2]
	s_delay_alu instid0(VALU_DEP_1)
	v_and_b32_e32 v1, 7, v34
; %bb.37:                               ;   in Loop: Header=BB312_13 Depth=1
	s_or_b32 exec_lo, exec_lo, s51
	v_lshlrev_b32_e32 v33, 8, v33
	v_lshl_add_u32 v31, v31, 10, 0x2000
	s_delay_alu instid0(VALU_DEP_1) | instskip(NEXT) | instid1(VALU_DEP_1)
	v_and_or_b32 v31, 0x8000, v33, v31
	v_lshl_or_b32 v1, v1, 7, v31
	s_delay_alu instid0(VALU_DEP_1)
	v_cvt_f32_f16_e32 v31, v1
.LBB312_38:                             ;   in Loop: Header=BB312_13 Depth=1
	s_or_b32 exec_lo, exec_lo, s50
.LBB312_39:                             ;   in Loop: Header=BB312_13 Depth=1
	s_delay_alu instid0(SALU_CYCLE_1)
	s_or_b32 exec_lo, exec_lo, s49
.LBB312_40:                             ;   in Loop: Header=BB312_13 Depth=1
	s_delay_alu instid0(SALU_CYCLE_1) | instskip(NEXT) | instid1(SALU_CYCLE_1)
	s_or_b32 exec_lo, exec_lo, s48
	s_mov_b32 s48, exec_lo
	v_cmpx_lt_u32_e32 0xffffff, v32
	s_cbranch_execz .LBB312_48
; %bb.41:                               ;   in Loop: Header=BB312_13 Depth=1
	v_lshrrev_b32_e32 v32, 24, v32
	v_bfrev_b32_e32 v30, 1
	s_mov_b32 s49, exec_lo
	s_delay_alu instid0(VALU_DEP_2)
	v_cmpx_ne_u32_e32 0x80, v32
	s_cbranch_execz .LBB312_47
; %bb.42:                               ;   in Loop: Header=BB312_13 Depth=1
	v_and_b32_e32 v33, 0x7f, v32
	v_mov_b32_e32 v30, 0x7fc02000
	s_mov_b32 s50, exec_lo
	s_delay_alu instid0(VALU_DEP_2)
	v_cmpx_ne_u32_e32 0x7f, v33
	s_cbranch_execz .LBB312_46
; %bb.43:                               ;   in Loop: Header=BB312_13 Depth=1
	v_and_b32_e32 v1, 7, v32
	v_lshrrev_b32_e32 v30, 3, v33
	s_mov_b32 s51, exec_lo
	v_cmpx_gt_u32_e32 8, v33
; %bb.44:                               ;   in Loop: Header=BB312_13 Depth=1
	s_delay_alu instid0(VALU_DEP_3) | instskip(NEXT) | instid1(VALU_DEP_1)
	v_clz_i32_u32_e32 v30, v1
	v_min_u32_e32 v30, 32, v30
	s_delay_alu instid0(VALU_DEP_1) | instskip(SKIP_1) | instid1(VALU_DEP_2)
	v_subrev_nc_u32_e32 v33, 28, v30
	v_sub_nc_u32_e32 v30, 29, v30
	v_lshlrev_b64 v[33:34], v33, v[1:2]
	s_delay_alu instid0(VALU_DEP_1)
	v_and_b32_e32 v1, 7, v33
; %bb.45:                               ;   in Loop: Header=BB312_13 Depth=1
	s_or_b32 exec_lo, exec_lo, s51
	v_lshlrev_b32_e32 v32, 8, v32
	v_lshl_add_u32 v30, v30, 10, 0x2000
	s_delay_alu instid0(VALU_DEP_1) | instskip(NEXT) | instid1(VALU_DEP_1)
	v_and_or_b32 v30, 0x8000, v32, v30
	v_lshl_or_b32 v1, v1, 7, v30
	s_delay_alu instid0(VALU_DEP_1)
	v_cvt_f32_f16_e32 v30, v1
.LBB312_46:                             ;   in Loop: Header=BB312_13 Depth=1
	s_or_b32 exec_lo, exec_lo, s50
.LBB312_47:                             ;   in Loop: Header=BB312_13 Depth=1
	s_delay_alu instid0(SALU_CYCLE_1)
	s_or_b32 exec_lo, exec_lo, s49
.LBB312_48:                             ;   in Loop: Header=BB312_13 Depth=1
	s_delay_alu instid0(SALU_CYCLE_1)
	s_or_b32 exec_lo, exec_lo, s48
	global_load_b32 v36, v[9:10], off offset:8
	v_mov_b32_e32 v33, 0
	s_mov_b32 s48, exec_lo
	s_waitcnt vmcnt(0)
	v_dual_mov_b32 v32, 0 :: v_dual_and_b32 v1, 0xff, v36
	s_delay_alu instid0(VALU_DEP_1)
	v_cmpx_ne_u16_e32 0, v1
	s_cbranch_execz .LBB312_56
; %bb.49:                               ;   in Loop: Header=BB312_13 Depth=1
	v_bfrev_b32_e32 v33, 1
	s_mov_b32 s49, exec_lo
	v_cmpx_ne_u16_e32 0x80, v1
	s_cbranch_execz .LBB312_55
; %bb.50:                               ;   in Loop: Header=BB312_13 Depth=1
	v_and_b32_e32 v34, 0x7f, v36
	v_mov_b32_e32 v33, 0x7fc02000
	s_mov_b32 s50, exec_lo
	s_delay_alu instid0(VALU_DEP_2)
	v_cmpx_ne_u32_e32 0x7f, v34
	s_cbranch_execz .LBB312_54
; %bb.51:                               ;   in Loop: Header=BB312_13 Depth=1
	v_and_b32_e32 v1, 7, v36
	v_lshrrev_b32_e32 v33, 3, v34
	s_mov_b32 s51, exec_lo
	v_cmpx_gt_u32_e32 8, v34
; %bb.52:                               ;   in Loop: Header=BB312_13 Depth=1
	s_delay_alu instid0(VALU_DEP_3) | instskip(NEXT) | instid1(VALU_DEP_1)
	v_clz_i32_u32_e32 v33, v1
	v_min_u32_e32 v33, 32, v33
	s_delay_alu instid0(VALU_DEP_1) | instskip(SKIP_1) | instid1(VALU_DEP_2)
	v_subrev_nc_u32_e32 v34, 28, v33
	v_sub_nc_u32_e32 v33, 29, v33
	v_lshlrev_b64 v[34:35], v34, v[1:2]
	s_delay_alu instid0(VALU_DEP_1)
	v_and_b32_e32 v1, 7, v34
; %bb.53:                               ;   in Loop: Header=BB312_13 Depth=1
	s_or_b32 exec_lo, exec_lo, s51
	v_lshlrev_b32_e32 v34, 8, v36
	v_lshl_add_u32 v33, v33, 10, 0x2000
	s_delay_alu instid0(VALU_DEP_1) | instskip(NEXT) | instid1(VALU_DEP_1)
	v_and_or_b32 v33, 0x8000, v34, v33
	v_lshl_or_b32 v1, v1, 7, v33
	s_delay_alu instid0(VALU_DEP_1)
	v_cvt_f32_f16_e32 v33, v1
.LBB312_54:                             ;   in Loop: Header=BB312_13 Depth=1
	s_or_b32 exec_lo, exec_lo, s50
.LBB312_55:                             ;   in Loop: Header=BB312_13 Depth=1
	s_delay_alu instid0(SALU_CYCLE_1)
	s_or_b32 exec_lo, exec_lo, s49
.LBB312_56:                             ;   in Loop: Header=BB312_13 Depth=1
	s_delay_alu instid0(SALU_CYCLE_1) | instskip(SKIP_2) | instid1(VALU_DEP_1)
	s_or_b32 exec_lo, exec_lo, s48
	v_lshrrev_b16 v1, 8, v36
	s_mov_b32 s48, exec_lo
	v_cmpx_ne_u16_e32 0, v1
	s_cbranch_execz .LBB312_64
; %bb.57:                               ;   in Loop: Header=BB312_13 Depth=1
	v_bfrev_b32_e32 v32, 1
	s_mov_b32 s49, exec_lo
	v_cmpx_ne_u16_e32 0x80, v1
	s_cbranch_execz .LBB312_63
; %bb.58:                               ;   in Loop: Header=BB312_13 Depth=1
	v_and_b32_e32 v34, 0xffff, v1
	v_mov_b32_e32 v32, 0x7fc02000
	s_mov_b32 s50, exec_lo
	s_delay_alu instid0(VALU_DEP_2) | instskip(NEXT) | instid1(VALU_DEP_1)
	v_and_b32_e32 v35, 0x7f, v34
	v_cmpx_ne_u32_e32 0x7f, v35
	s_cbranch_execz .LBB312_62
; %bb.59:                               ;   in Loop: Header=BB312_13 Depth=1
	v_and_b32_e32 v1, 7, v34
	v_lshrrev_b32_e32 v32, 3, v35
	s_mov_b32 s51, exec_lo
	v_cmpx_gt_u32_e32 8, v35
; %bb.60:                               ;   in Loop: Header=BB312_13 Depth=1
	s_delay_alu instid0(VALU_DEP_3) | instskip(NEXT) | instid1(VALU_DEP_1)
	v_clz_i32_u32_e32 v32, v1
	v_min_u32_e32 v32, 32, v32
	s_delay_alu instid0(VALU_DEP_1) | instskip(SKIP_1) | instid1(VALU_DEP_2)
	v_subrev_nc_u32_e32 v35, 28, v32
	v_sub_nc_u32_e32 v32, 29, v32
	v_lshlrev_b64 v[37:38], v35, v[1:2]
	s_delay_alu instid0(VALU_DEP_1)
	v_and_b32_e32 v1, 7, v37
; %bb.61:                               ;   in Loop: Header=BB312_13 Depth=1
	s_or_b32 exec_lo, exec_lo, s51
	v_lshlrev_b32_e32 v34, 8, v34
	v_lshl_add_u32 v32, v32, 10, 0x2000
	s_delay_alu instid0(VALU_DEP_1) | instskip(NEXT) | instid1(VALU_DEP_1)
	v_and_or_b32 v32, 0x8000, v34, v32
	v_lshl_or_b32 v1, v1, 7, v32
	s_delay_alu instid0(VALU_DEP_1)
	v_cvt_f32_f16_e32 v32, v1
.LBB312_62:                             ;   in Loop: Header=BB312_13 Depth=1
	s_or_b32 exec_lo, exec_lo, s50
.LBB312_63:                             ;   in Loop: Header=BB312_13 Depth=1
	s_delay_alu instid0(SALU_CYCLE_1)
	s_or_b32 exec_lo, exec_lo, s49
.LBB312_64:                             ;   in Loop: Header=BB312_13 Depth=1
	s_delay_alu instid0(SALU_CYCLE_1) | instskip(SKIP_3) | instid1(VALU_DEP_2)
	s_or_b32 exec_lo, exec_lo, s48
	v_lshrrev_b32_e32 v37, 16, v36
	v_mov_b32_e32 v35, 0
	s_mov_b32 s48, exec_lo
	v_dual_mov_b32 v34, 0 :: v_dual_and_b32 v1, 0xff, v37
	s_delay_alu instid0(VALU_DEP_1)
	v_cmpx_ne_u16_e32 0, v1
	s_cbranch_execz .LBB312_72
; %bb.65:                               ;   in Loop: Header=BB312_13 Depth=1
	v_bfrev_b32_e32 v35, 1
	s_mov_b32 s49, exec_lo
	v_cmpx_ne_u16_e32 0x80, v1
	s_cbranch_execz .LBB312_71
; %bb.66:                               ;   in Loop: Header=BB312_13 Depth=1
	v_bfe_u32 v38, v36, 16, 7
	v_mov_b32_e32 v35, 0x7fc02000
	s_mov_b32 s50, exec_lo
	s_delay_alu instid0(VALU_DEP_2)
	v_cmpx_ne_u32_e32 0x7f, v38
	s_cbranch_execz .LBB312_70
; %bb.67:                               ;   in Loop: Header=BB312_13 Depth=1
	v_and_b32_e32 v1, 7, v37
	v_lshrrev_b32_e32 v35, 3, v38
	s_mov_b32 s51, exec_lo
	v_cmpx_gt_u32_e32 8, v38
; %bb.68:                               ;   in Loop: Header=BB312_13 Depth=1
	s_delay_alu instid0(VALU_DEP_3) | instskip(NEXT) | instid1(VALU_DEP_1)
	v_clz_i32_u32_e32 v35, v1
	v_min_u32_e32 v35, 32, v35
	s_delay_alu instid0(VALU_DEP_1) | instskip(SKIP_1) | instid1(VALU_DEP_2)
	v_subrev_nc_u32_e32 v38, 28, v35
	v_sub_nc_u32_e32 v35, 29, v35
	v_lshlrev_b64 v[38:39], v38, v[1:2]
	s_delay_alu instid0(VALU_DEP_1)
	v_and_b32_e32 v1, 7, v38
; %bb.69:                               ;   in Loop: Header=BB312_13 Depth=1
	s_or_b32 exec_lo, exec_lo, s51
	v_lshlrev_b32_e32 v37, 8, v37
	v_lshl_add_u32 v35, v35, 10, 0x2000
	s_delay_alu instid0(VALU_DEP_1) | instskip(NEXT) | instid1(VALU_DEP_1)
	v_and_or_b32 v35, 0x8000, v37, v35
	v_lshl_or_b32 v1, v1, 7, v35
	s_delay_alu instid0(VALU_DEP_1)
	v_cvt_f32_f16_e32 v35, v1
.LBB312_70:                             ;   in Loop: Header=BB312_13 Depth=1
	s_or_b32 exec_lo, exec_lo, s50
.LBB312_71:                             ;   in Loop: Header=BB312_13 Depth=1
	s_delay_alu instid0(SALU_CYCLE_1)
	s_or_b32 exec_lo, exec_lo, s49
.LBB312_72:                             ;   in Loop: Header=BB312_13 Depth=1
	s_delay_alu instid0(SALU_CYCLE_1) | instskip(NEXT) | instid1(SALU_CYCLE_1)
	s_or_b32 exec_lo, exec_lo, s48
	s_mov_b32 s48, exec_lo
	v_cmpx_lt_u32_e32 0xffffff, v36
	s_cbranch_execz .LBB312_80
; %bb.73:                               ;   in Loop: Header=BB312_13 Depth=1
	v_lshrrev_b32_e32 v36, 24, v36
	v_bfrev_b32_e32 v34, 1
	s_mov_b32 s49, exec_lo
	s_delay_alu instid0(VALU_DEP_2)
	v_cmpx_ne_u32_e32 0x80, v36
	s_cbranch_execz .LBB312_79
; %bb.74:                               ;   in Loop: Header=BB312_13 Depth=1
	v_and_b32_e32 v37, 0x7f, v36
	v_mov_b32_e32 v34, 0x7fc02000
	s_mov_b32 s50, exec_lo
	s_delay_alu instid0(VALU_DEP_2)
	v_cmpx_ne_u32_e32 0x7f, v37
	s_cbranch_execz .LBB312_78
; %bb.75:                               ;   in Loop: Header=BB312_13 Depth=1
	v_and_b32_e32 v1, 7, v36
	v_lshrrev_b32_e32 v34, 3, v37
	s_mov_b32 s51, exec_lo
	v_cmpx_gt_u32_e32 8, v37
; %bb.76:                               ;   in Loop: Header=BB312_13 Depth=1
	s_delay_alu instid0(VALU_DEP_3) | instskip(NEXT) | instid1(VALU_DEP_1)
	v_clz_i32_u32_e32 v34, v1
	v_min_u32_e32 v34, 32, v34
	s_delay_alu instid0(VALU_DEP_1) | instskip(SKIP_1) | instid1(VALU_DEP_2)
	v_subrev_nc_u32_e32 v37, 28, v34
	v_sub_nc_u32_e32 v34, 29, v34
	v_lshlrev_b64 v[37:38], v37, v[1:2]
	s_delay_alu instid0(VALU_DEP_1)
	v_and_b32_e32 v1, 7, v37
; %bb.77:                               ;   in Loop: Header=BB312_13 Depth=1
	s_or_b32 exec_lo, exec_lo, s51
	v_lshlrev_b32_e32 v36, 8, v36
	v_lshl_add_u32 v34, v34, 10, 0x2000
	s_delay_alu instid0(VALU_DEP_1) | instskip(NEXT) | instid1(VALU_DEP_1)
	v_and_or_b32 v34, 0x8000, v36, v34
	v_lshl_or_b32 v1, v1, 7, v34
	s_delay_alu instid0(VALU_DEP_1)
	v_cvt_f32_f16_e32 v34, v1
.LBB312_78:                             ;   in Loop: Header=BB312_13 Depth=1
	s_or_b32 exec_lo, exec_lo, s50
.LBB312_79:                             ;   in Loop: Header=BB312_13 Depth=1
	s_delay_alu instid0(SALU_CYCLE_1)
	s_or_b32 exec_lo, exec_lo, s49
.LBB312_80:                             ;   in Loop: Header=BB312_13 Depth=1
	s_delay_alu instid0(SALU_CYCLE_1)
	s_or_b32 exec_lo, exec_lo, s48
	global_load_b32 v40, v[9:10], off offset:256
	v_mov_b32_e32 v37, 0
	s_mov_b32 s48, exec_lo
	s_waitcnt vmcnt(0)
	v_dual_mov_b32 v36, 0 :: v_dual_and_b32 v1, 0xff, v40
	s_delay_alu instid0(VALU_DEP_1)
	v_cmpx_ne_u16_e32 0, v1
	s_cbranch_execz .LBB312_88
; %bb.81:                               ;   in Loop: Header=BB312_13 Depth=1
	v_bfrev_b32_e32 v37, 1
	s_mov_b32 s49, exec_lo
	v_cmpx_ne_u16_e32 0x80, v1
	s_cbranch_execz .LBB312_87
; %bb.82:                               ;   in Loop: Header=BB312_13 Depth=1
	v_and_b32_e32 v38, 0x7f, v40
	v_mov_b32_e32 v37, 0x7fc02000
	s_mov_b32 s50, exec_lo
	s_delay_alu instid0(VALU_DEP_2)
	v_cmpx_ne_u32_e32 0x7f, v38
	s_cbranch_execz .LBB312_86
; %bb.83:                               ;   in Loop: Header=BB312_13 Depth=1
	v_and_b32_e32 v1, 7, v40
	v_lshrrev_b32_e32 v37, 3, v38
	s_mov_b32 s51, exec_lo
	v_cmpx_gt_u32_e32 8, v38
; %bb.84:                               ;   in Loop: Header=BB312_13 Depth=1
	s_delay_alu instid0(VALU_DEP_3) | instskip(NEXT) | instid1(VALU_DEP_1)
	v_clz_i32_u32_e32 v37, v1
	v_min_u32_e32 v37, 32, v37
	s_delay_alu instid0(VALU_DEP_1) | instskip(SKIP_1) | instid1(VALU_DEP_2)
	v_subrev_nc_u32_e32 v38, 28, v37
	v_sub_nc_u32_e32 v37, 29, v37
	v_lshlrev_b64 v[38:39], v38, v[1:2]
	s_delay_alu instid0(VALU_DEP_1)
	v_and_b32_e32 v1, 7, v38
; %bb.85:                               ;   in Loop: Header=BB312_13 Depth=1
	s_or_b32 exec_lo, exec_lo, s51
	v_lshlrev_b32_e32 v38, 8, v40
	v_lshl_add_u32 v37, v37, 10, 0x2000
	s_delay_alu instid0(VALU_DEP_1) | instskip(NEXT) | instid1(VALU_DEP_1)
	v_and_or_b32 v37, 0x8000, v38, v37
	v_lshl_or_b32 v1, v1, 7, v37
	s_delay_alu instid0(VALU_DEP_1)
	v_cvt_f32_f16_e32 v37, v1
.LBB312_86:                             ;   in Loop: Header=BB312_13 Depth=1
	s_or_b32 exec_lo, exec_lo, s50
.LBB312_87:                             ;   in Loop: Header=BB312_13 Depth=1
	s_delay_alu instid0(SALU_CYCLE_1)
	s_or_b32 exec_lo, exec_lo, s49
.LBB312_88:                             ;   in Loop: Header=BB312_13 Depth=1
	s_delay_alu instid0(SALU_CYCLE_1) | instskip(SKIP_2) | instid1(VALU_DEP_1)
	s_or_b32 exec_lo, exec_lo, s48
	v_lshrrev_b16 v1, 8, v40
	s_mov_b32 s48, exec_lo
	v_cmpx_ne_u16_e32 0, v1
	s_cbranch_execz .LBB312_96
; %bb.89:                               ;   in Loop: Header=BB312_13 Depth=1
	v_bfrev_b32_e32 v36, 1
	s_mov_b32 s49, exec_lo
	v_cmpx_ne_u16_e32 0x80, v1
	s_cbranch_execz .LBB312_95
; %bb.90:                               ;   in Loop: Header=BB312_13 Depth=1
	v_and_b32_e32 v38, 0xffff, v1
	v_mov_b32_e32 v36, 0x7fc02000
	s_mov_b32 s50, exec_lo
	s_delay_alu instid0(VALU_DEP_2) | instskip(NEXT) | instid1(VALU_DEP_1)
	v_and_b32_e32 v39, 0x7f, v38
	v_cmpx_ne_u32_e32 0x7f, v39
	s_cbranch_execz .LBB312_94
; %bb.91:                               ;   in Loop: Header=BB312_13 Depth=1
	v_and_b32_e32 v1, 7, v38
	v_lshrrev_b32_e32 v36, 3, v39
	s_mov_b32 s51, exec_lo
	v_cmpx_gt_u32_e32 8, v39
; %bb.92:                               ;   in Loop: Header=BB312_13 Depth=1
	s_delay_alu instid0(VALU_DEP_3) | instskip(NEXT) | instid1(VALU_DEP_1)
	v_clz_i32_u32_e32 v36, v1
	v_min_u32_e32 v36, 32, v36
	s_delay_alu instid0(VALU_DEP_1) | instskip(SKIP_1) | instid1(VALU_DEP_2)
	v_subrev_nc_u32_e32 v39, 28, v36
	v_sub_nc_u32_e32 v36, 29, v36
	v_lshlrev_b64 v[41:42], v39, v[1:2]
	s_delay_alu instid0(VALU_DEP_1)
	v_and_b32_e32 v1, 7, v41
; %bb.93:                               ;   in Loop: Header=BB312_13 Depth=1
	s_or_b32 exec_lo, exec_lo, s51
	v_lshlrev_b32_e32 v38, 8, v38
	v_lshl_add_u32 v36, v36, 10, 0x2000
	s_delay_alu instid0(VALU_DEP_1) | instskip(NEXT) | instid1(VALU_DEP_1)
	v_and_or_b32 v36, 0x8000, v38, v36
	v_lshl_or_b32 v1, v1, 7, v36
	s_delay_alu instid0(VALU_DEP_1)
	v_cvt_f32_f16_e32 v36, v1
.LBB312_94:                             ;   in Loop: Header=BB312_13 Depth=1
	s_or_b32 exec_lo, exec_lo, s50
.LBB312_95:                             ;   in Loop: Header=BB312_13 Depth=1
	s_delay_alu instid0(SALU_CYCLE_1)
	s_or_b32 exec_lo, exec_lo, s49
.LBB312_96:                             ;   in Loop: Header=BB312_13 Depth=1
	s_delay_alu instid0(SALU_CYCLE_1) | instskip(SKIP_3) | instid1(VALU_DEP_2)
	s_or_b32 exec_lo, exec_lo, s48
	v_lshrrev_b32_e32 v41, 16, v40
	v_mov_b32_e32 v39, 0
	s_mov_b32 s48, exec_lo
	v_dual_mov_b32 v38, 0 :: v_dual_and_b32 v1, 0xff, v41
	s_delay_alu instid0(VALU_DEP_1)
	v_cmpx_ne_u16_e32 0, v1
	s_cbranch_execz .LBB312_104
; %bb.97:                               ;   in Loop: Header=BB312_13 Depth=1
	v_bfrev_b32_e32 v39, 1
	s_mov_b32 s49, exec_lo
	v_cmpx_ne_u16_e32 0x80, v1
	s_cbranch_execz .LBB312_103
; %bb.98:                               ;   in Loop: Header=BB312_13 Depth=1
	v_bfe_u32 v42, v40, 16, 7
	v_mov_b32_e32 v39, 0x7fc02000
	s_mov_b32 s50, exec_lo
	s_delay_alu instid0(VALU_DEP_2)
	v_cmpx_ne_u32_e32 0x7f, v42
	s_cbranch_execz .LBB312_102
; %bb.99:                               ;   in Loop: Header=BB312_13 Depth=1
	v_and_b32_e32 v1, 7, v41
	v_lshrrev_b32_e32 v39, 3, v42
	s_mov_b32 s51, exec_lo
	v_cmpx_gt_u32_e32 8, v42
; %bb.100:                              ;   in Loop: Header=BB312_13 Depth=1
	s_delay_alu instid0(VALU_DEP_3) | instskip(NEXT) | instid1(VALU_DEP_1)
	v_clz_i32_u32_e32 v39, v1
	v_min_u32_e32 v39, 32, v39
	s_delay_alu instid0(VALU_DEP_1) | instskip(SKIP_1) | instid1(VALU_DEP_2)
	v_subrev_nc_u32_e32 v42, 28, v39
	v_sub_nc_u32_e32 v39, 29, v39
	v_lshlrev_b64 v[42:43], v42, v[1:2]
	s_delay_alu instid0(VALU_DEP_1)
	v_and_b32_e32 v1, 7, v42
; %bb.101:                              ;   in Loop: Header=BB312_13 Depth=1
	s_or_b32 exec_lo, exec_lo, s51
	v_lshlrev_b32_e32 v41, 8, v41
	v_lshl_add_u32 v39, v39, 10, 0x2000
	s_delay_alu instid0(VALU_DEP_1) | instskip(NEXT) | instid1(VALU_DEP_1)
	v_and_or_b32 v39, 0x8000, v41, v39
	v_lshl_or_b32 v1, v1, 7, v39
	s_delay_alu instid0(VALU_DEP_1)
	v_cvt_f32_f16_e32 v39, v1
.LBB312_102:                            ;   in Loop: Header=BB312_13 Depth=1
	s_or_b32 exec_lo, exec_lo, s50
.LBB312_103:                            ;   in Loop: Header=BB312_13 Depth=1
	s_delay_alu instid0(SALU_CYCLE_1)
	s_or_b32 exec_lo, exec_lo, s49
.LBB312_104:                            ;   in Loop: Header=BB312_13 Depth=1
	s_delay_alu instid0(SALU_CYCLE_1) | instskip(NEXT) | instid1(SALU_CYCLE_1)
	s_or_b32 exec_lo, exec_lo, s48
	s_mov_b32 s48, exec_lo
	v_cmpx_lt_u32_e32 0xffffff, v40
	s_cbranch_execz .LBB312_112
; %bb.105:                              ;   in Loop: Header=BB312_13 Depth=1
	v_lshrrev_b32_e32 v40, 24, v40
	v_bfrev_b32_e32 v38, 1
	s_mov_b32 s49, exec_lo
	s_delay_alu instid0(VALU_DEP_2)
	v_cmpx_ne_u32_e32 0x80, v40
	s_cbranch_execz .LBB312_111
; %bb.106:                              ;   in Loop: Header=BB312_13 Depth=1
	v_and_b32_e32 v41, 0x7f, v40
	v_mov_b32_e32 v38, 0x7fc02000
	s_mov_b32 s50, exec_lo
	s_delay_alu instid0(VALU_DEP_2)
	v_cmpx_ne_u32_e32 0x7f, v41
	s_cbranch_execz .LBB312_110
; %bb.107:                              ;   in Loop: Header=BB312_13 Depth=1
	v_and_b32_e32 v1, 7, v40
	v_lshrrev_b32_e32 v38, 3, v41
	s_mov_b32 s51, exec_lo
	v_cmpx_gt_u32_e32 8, v41
; %bb.108:                              ;   in Loop: Header=BB312_13 Depth=1
	s_delay_alu instid0(VALU_DEP_3) | instskip(NEXT) | instid1(VALU_DEP_1)
	v_clz_i32_u32_e32 v38, v1
	v_min_u32_e32 v38, 32, v38
	s_delay_alu instid0(VALU_DEP_1) | instskip(SKIP_1) | instid1(VALU_DEP_2)
	v_subrev_nc_u32_e32 v41, 28, v38
	v_sub_nc_u32_e32 v38, 29, v38
	v_lshlrev_b64 v[41:42], v41, v[1:2]
	s_delay_alu instid0(VALU_DEP_1)
	v_and_b32_e32 v1, 7, v41
; %bb.109:                              ;   in Loop: Header=BB312_13 Depth=1
	s_or_b32 exec_lo, exec_lo, s51
	v_lshlrev_b32_e32 v40, 8, v40
	v_lshl_add_u32 v38, v38, 10, 0x2000
	s_delay_alu instid0(VALU_DEP_1) | instskip(NEXT) | instid1(VALU_DEP_1)
	v_and_or_b32 v38, 0x8000, v40, v38
	v_lshl_or_b32 v1, v1, 7, v38
	s_delay_alu instid0(VALU_DEP_1)
	v_cvt_f32_f16_e32 v38, v1
.LBB312_110:                            ;   in Loop: Header=BB312_13 Depth=1
	s_or_b32 exec_lo, exec_lo, s50
.LBB312_111:                            ;   in Loop: Header=BB312_13 Depth=1
	s_delay_alu instid0(SALU_CYCLE_1)
	s_or_b32 exec_lo, exec_lo, s49
.LBB312_112:                            ;   in Loop: Header=BB312_13 Depth=1
	s_delay_alu instid0(SALU_CYCLE_1)
	s_or_b32 exec_lo, exec_lo, s48
	global_load_b32 v44, v[9:10], off offset:264
	v_mov_b32_e32 v41, 0
	s_mov_b32 s48, exec_lo
	s_waitcnt vmcnt(0)
	v_dual_mov_b32 v40, 0 :: v_dual_and_b32 v1, 0xff, v44
	s_delay_alu instid0(VALU_DEP_1)
	v_cmpx_ne_u16_e32 0, v1
	s_cbranch_execz .LBB312_120
; %bb.113:                              ;   in Loop: Header=BB312_13 Depth=1
	v_bfrev_b32_e32 v41, 1
	s_mov_b32 s49, exec_lo
	v_cmpx_ne_u16_e32 0x80, v1
	s_cbranch_execz .LBB312_119
; %bb.114:                              ;   in Loop: Header=BB312_13 Depth=1
	v_and_b32_e32 v42, 0x7f, v44
	v_mov_b32_e32 v41, 0x7fc02000
	s_mov_b32 s50, exec_lo
	s_delay_alu instid0(VALU_DEP_2)
	v_cmpx_ne_u32_e32 0x7f, v42
	s_cbranch_execz .LBB312_118
; %bb.115:                              ;   in Loop: Header=BB312_13 Depth=1
	v_and_b32_e32 v1, 7, v44
	v_lshrrev_b32_e32 v41, 3, v42
	s_mov_b32 s51, exec_lo
	v_cmpx_gt_u32_e32 8, v42
; %bb.116:                              ;   in Loop: Header=BB312_13 Depth=1
	s_delay_alu instid0(VALU_DEP_3) | instskip(NEXT) | instid1(VALU_DEP_1)
	v_clz_i32_u32_e32 v41, v1
	v_min_u32_e32 v41, 32, v41
	s_delay_alu instid0(VALU_DEP_1) | instskip(SKIP_1) | instid1(VALU_DEP_2)
	v_subrev_nc_u32_e32 v42, 28, v41
	v_sub_nc_u32_e32 v41, 29, v41
	v_lshlrev_b64 v[42:43], v42, v[1:2]
	s_delay_alu instid0(VALU_DEP_1)
	v_and_b32_e32 v1, 7, v42
; %bb.117:                              ;   in Loop: Header=BB312_13 Depth=1
	s_or_b32 exec_lo, exec_lo, s51
	v_lshlrev_b32_e32 v42, 8, v44
	v_lshl_add_u32 v41, v41, 10, 0x2000
	s_delay_alu instid0(VALU_DEP_1) | instskip(NEXT) | instid1(VALU_DEP_1)
	v_and_or_b32 v41, 0x8000, v42, v41
	v_lshl_or_b32 v1, v1, 7, v41
	s_delay_alu instid0(VALU_DEP_1)
	v_cvt_f32_f16_e32 v41, v1
.LBB312_118:                            ;   in Loop: Header=BB312_13 Depth=1
	s_or_b32 exec_lo, exec_lo, s50
.LBB312_119:                            ;   in Loop: Header=BB312_13 Depth=1
	s_delay_alu instid0(SALU_CYCLE_1)
	s_or_b32 exec_lo, exec_lo, s49
.LBB312_120:                            ;   in Loop: Header=BB312_13 Depth=1
	s_delay_alu instid0(SALU_CYCLE_1) | instskip(SKIP_2) | instid1(VALU_DEP_1)
	s_or_b32 exec_lo, exec_lo, s48
	v_lshrrev_b16 v1, 8, v44
	s_mov_b32 s48, exec_lo
	v_cmpx_ne_u16_e32 0, v1
	s_cbranch_execz .LBB312_128
; %bb.121:                              ;   in Loop: Header=BB312_13 Depth=1
	v_bfrev_b32_e32 v40, 1
	s_mov_b32 s49, exec_lo
	v_cmpx_ne_u16_e32 0x80, v1
	s_cbranch_execz .LBB312_127
; %bb.122:                              ;   in Loop: Header=BB312_13 Depth=1
	v_and_b32_e32 v42, 0xffff, v1
	v_mov_b32_e32 v40, 0x7fc02000
	s_mov_b32 s50, exec_lo
	s_delay_alu instid0(VALU_DEP_2) | instskip(NEXT) | instid1(VALU_DEP_1)
	v_and_b32_e32 v43, 0x7f, v42
	v_cmpx_ne_u32_e32 0x7f, v43
	s_cbranch_execz .LBB312_126
; %bb.123:                              ;   in Loop: Header=BB312_13 Depth=1
	v_and_b32_e32 v1, 7, v42
	v_lshrrev_b32_e32 v40, 3, v43
	s_mov_b32 s51, exec_lo
	v_cmpx_gt_u32_e32 8, v43
; %bb.124:                              ;   in Loop: Header=BB312_13 Depth=1
	s_delay_alu instid0(VALU_DEP_3) | instskip(NEXT) | instid1(VALU_DEP_1)
	v_clz_i32_u32_e32 v40, v1
	v_min_u32_e32 v40, 32, v40
	s_delay_alu instid0(VALU_DEP_1) | instskip(SKIP_1) | instid1(VALU_DEP_2)
	v_subrev_nc_u32_e32 v43, 28, v40
	v_sub_nc_u32_e32 v40, 29, v40
	v_lshlrev_b64 v[45:46], v43, v[1:2]
	s_delay_alu instid0(VALU_DEP_1)
	v_and_b32_e32 v1, 7, v45
; %bb.125:                              ;   in Loop: Header=BB312_13 Depth=1
	s_or_b32 exec_lo, exec_lo, s51
	v_lshlrev_b32_e32 v42, 8, v42
	v_lshl_add_u32 v40, v40, 10, 0x2000
	s_delay_alu instid0(VALU_DEP_1) | instskip(NEXT) | instid1(VALU_DEP_1)
	v_and_or_b32 v40, 0x8000, v42, v40
	v_lshl_or_b32 v1, v1, 7, v40
	s_delay_alu instid0(VALU_DEP_1)
	v_cvt_f32_f16_e32 v40, v1
.LBB312_126:                            ;   in Loop: Header=BB312_13 Depth=1
	s_or_b32 exec_lo, exec_lo, s50
.LBB312_127:                            ;   in Loop: Header=BB312_13 Depth=1
	s_delay_alu instid0(SALU_CYCLE_1)
	s_or_b32 exec_lo, exec_lo, s49
.LBB312_128:                            ;   in Loop: Header=BB312_13 Depth=1
	s_delay_alu instid0(SALU_CYCLE_1) | instskip(SKIP_3) | instid1(VALU_DEP_2)
	s_or_b32 exec_lo, exec_lo, s48
	v_lshrrev_b32_e32 v45, 16, v44
	v_mov_b32_e32 v43, 0
	s_mov_b32 s48, exec_lo
	v_dual_mov_b32 v42, 0 :: v_dual_and_b32 v1, 0xff, v45
	s_delay_alu instid0(VALU_DEP_1)
	v_cmpx_ne_u16_e32 0, v1
	s_cbranch_execz .LBB312_136
; %bb.129:                              ;   in Loop: Header=BB312_13 Depth=1
	v_bfrev_b32_e32 v43, 1
	s_mov_b32 s49, exec_lo
	v_cmpx_ne_u16_e32 0x80, v1
	s_cbranch_execz .LBB312_135
; %bb.130:                              ;   in Loop: Header=BB312_13 Depth=1
	v_bfe_u32 v46, v44, 16, 7
	v_mov_b32_e32 v43, 0x7fc02000
	s_mov_b32 s50, exec_lo
	s_delay_alu instid0(VALU_DEP_2)
	v_cmpx_ne_u32_e32 0x7f, v46
	s_cbranch_execz .LBB312_134
; %bb.131:                              ;   in Loop: Header=BB312_13 Depth=1
	v_and_b32_e32 v1, 7, v45
	v_lshrrev_b32_e32 v43, 3, v46
	s_mov_b32 s51, exec_lo
	v_cmpx_gt_u32_e32 8, v46
; %bb.132:                              ;   in Loop: Header=BB312_13 Depth=1
	s_delay_alu instid0(VALU_DEP_3) | instskip(NEXT) | instid1(VALU_DEP_1)
	v_clz_i32_u32_e32 v43, v1
	v_min_u32_e32 v43, 32, v43
	s_delay_alu instid0(VALU_DEP_1) | instskip(SKIP_1) | instid1(VALU_DEP_2)
	v_subrev_nc_u32_e32 v46, 28, v43
	v_sub_nc_u32_e32 v43, 29, v43
	v_lshlrev_b64 v[46:47], v46, v[1:2]
	s_delay_alu instid0(VALU_DEP_1)
	v_and_b32_e32 v1, 7, v46
; %bb.133:                              ;   in Loop: Header=BB312_13 Depth=1
	s_or_b32 exec_lo, exec_lo, s51
	v_lshlrev_b32_e32 v45, 8, v45
	v_lshl_add_u32 v43, v43, 10, 0x2000
	s_delay_alu instid0(VALU_DEP_1) | instskip(NEXT) | instid1(VALU_DEP_1)
	v_and_or_b32 v43, 0x8000, v45, v43
	v_lshl_or_b32 v1, v1, 7, v43
	s_delay_alu instid0(VALU_DEP_1)
	v_cvt_f32_f16_e32 v43, v1
.LBB312_134:                            ;   in Loop: Header=BB312_13 Depth=1
	s_or_b32 exec_lo, exec_lo, s50
.LBB312_135:                            ;   in Loop: Header=BB312_13 Depth=1
	s_delay_alu instid0(SALU_CYCLE_1)
	s_or_b32 exec_lo, exec_lo, s49
.LBB312_136:                            ;   in Loop: Header=BB312_13 Depth=1
	s_delay_alu instid0(SALU_CYCLE_1) | instskip(NEXT) | instid1(SALU_CYCLE_1)
	s_or_b32 exec_lo, exec_lo, s48
	s_mov_b32 s48, exec_lo
	v_cmpx_lt_u32_e32 0xffffff, v44
	s_cbranch_execz .LBB312_144
; %bb.137:                              ;   in Loop: Header=BB312_13 Depth=1
	v_lshrrev_b32_e32 v44, 24, v44
	v_bfrev_b32_e32 v42, 1
	s_mov_b32 s49, exec_lo
	s_delay_alu instid0(VALU_DEP_2)
	v_cmpx_ne_u32_e32 0x80, v44
	s_cbranch_execz .LBB312_143
; %bb.138:                              ;   in Loop: Header=BB312_13 Depth=1
	v_and_b32_e32 v45, 0x7f, v44
	v_mov_b32_e32 v42, 0x7fc02000
	s_mov_b32 s50, exec_lo
	s_delay_alu instid0(VALU_DEP_2)
	v_cmpx_ne_u32_e32 0x7f, v45
	s_cbranch_execz .LBB312_142
; %bb.139:                              ;   in Loop: Header=BB312_13 Depth=1
	v_and_b32_e32 v1, 7, v44
	v_lshrrev_b32_e32 v42, 3, v45
	s_mov_b32 s51, exec_lo
	v_cmpx_gt_u32_e32 8, v45
; %bb.140:                              ;   in Loop: Header=BB312_13 Depth=1
	s_delay_alu instid0(VALU_DEP_3) | instskip(NEXT) | instid1(VALU_DEP_1)
	v_clz_i32_u32_e32 v42, v1
	v_min_u32_e32 v42, 32, v42
	s_delay_alu instid0(VALU_DEP_1) | instskip(SKIP_1) | instid1(VALU_DEP_2)
	v_subrev_nc_u32_e32 v45, 28, v42
	v_sub_nc_u32_e32 v42, 29, v42
	v_lshlrev_b64 v[45:46], v45, v[1:2]
	s_delay_alu instid0(VALU_DEP_1)
	v_and_b32_e32 v1, 7, v45
; %bb.141:                              ;   in Loop: Header=BB312_13 Depth=1
	s_or_b32 exec_lo, exec_lo, s51
	v_lshlrev_b32_e32 v44, 8, v44
	v_lshl_add_u32 v42, v42, 10, 0x2000
	s_delay_alu instid0(VALU_DEP_1) | instskip(NEXT) | instid1(VALU_DEP_1)
	v_and_or_b32 v42, 0x8000, v44, v42
	v_lshl_or_b32 v1, v1, 7, v42
	s_delay_alu instid0(VALU_DEP_1)
	v_cvt_f32_f16_e32 v42, v1
.LBB312_142:                            ;   in Loop: Header=BB312_13 Depth=1
	s_or_b32 exec_lo, exec_lo, s50
.LBB312_143:                            ;   in Loop: Header=BB312_13 Depth=1
	s_delay_alu instid0(SALU_CYCLE_1)
	s_or_b32 exec_lo, exec_lo, s49
.LBB312_144:                            ;   in Loop: Header=BB312_13 Depth=1
	s_delay_alu instid0(SALU_CYCLE_1)
	s_or_b32 exec_lo, exec_lo, s48
	global_load_b32 v48, v[9:10], off offset:512
	v_mov_b32_e32 v45, 0
	s_mov_b32 s48, exec_lo
	s_waitcnt vmcnt(0)
	v_dual_mov_b32 v44, 0 :: v_dual_and_b32 v1, 0xff, v48
	s_delay_alu instid0(VALU_DEP_1)
	v_cmpx_ne_u16_e32 0, v1
	s_cbranch_execz .LBB312_152
; %bb.145:                              ;   in Loop: Header=BB312_13 Depth=1
	v_bfrev_b32_e32 v45, 1
	s_mov_b32 s49, exec_lo
	v_cmpx_ne_u16_e32 0x80, v1
	s_cbranch_execz .LBB312_151
; %bb.146:                              ;   in Loop: Header=BB312_13 Depth=1
	v_and_b32_e32 v46, 0x7f, v48
	v_mov_b32_e32 v45, 0x7fc02000
	s_mov_b32 s50, exec_lo
	s_delay_alu instid0(VALU_DEP_2)
	v_cmpx_ne_u32_e32 0x7f, v46
	s_cbranch_execz .LBB312_150
; %bb.147:                              ;   in Loop: Header=BB312_13 Depth=1
	v_and_b32_e32 v1, 7, v48
	v_lshrrev_b32_e32 v45, 3, v46
	s_mov_b32 s51, exec_lo
	v_cmpx_gt_u32_e32 8, v46
; %bb.148:                              ;   in Loop: Header=BB312_13 Depth=1
	s_delay_alu instid0(VALU_DEP_3) | instskip(NEXT) | instid1(VALU_DEP_1)
	v_clz_i32_u32_e32 v45, v1
	v_min_u32_e32 v45, 32, v45
	s_delay_alu instid0(VALU_DEP_1) | instskip(SKIP_1) | instid1(VALU_DEP_2)
	v_subrev_nc_u32_e32 v46, 28, v45
	v_sub_nc_u32_e32 v45, 29, v45
	v_lshlrev_b64 v[46:47], v46, v[1:2]
	s_delay_alu instid0(VALU_DEP_1)
	v_and_b32_e32 v1, 7, v46
; %bb.149:                              ;   in Loop: Header=BB312_13 Depth=1
	s_or_b32 exec_lo, exec_lo, s51
	v_lshlrev_b32_e32 v46, 8, v48
	v_lshl_add_u32 v45, v45, 10, 0x2000
	s_delay_alu instid0(VALU_DEP_1) | instskip(NEXT) | instid1(VALU_DEP_1)
	v_and_or_b32 v45, 0x8000, v46, v45
	v_lshl_or_b32 v1, v1, 7, v45
	s_delay_alu instid0(VALU_DEP_1)
	v_cvt_f32_f16_e32 v45, v1
.LBB312_150:                            ;   in Loop: Header=BB312_13 Depth=1
	s_or_b32 exec_lo, exec_lo, s50
.LBB312_151:                            ;   in Loop: Header=BB312_13 Depth=1
	s_delay_alu instid0(SALU_CYCLE_1)
	s_or_b32 exec_lo, exec_lo, s49
.LBB312_152:                            ;   in Loop: Header=BB312_13 Depth=1
	s_delay_alu instid0(SALU_CYCLE_1) | instskip(SKIP_2) | instid1(VALU_DEP_1)
	s_or_b32 exec_lo, exec_lo, s48
	v_lshrrev_b16 v1, 8, v48
	s_mov_b32 s48, exec_lo
	v_cmpx_ne_u16_e32 0, v1
	s_cbranch_execz .LBB312_160
; %bb.153:                              ;   in Loop: Header=BB312_13 Depth=1
	v_bfrev_b32_e32 v44, 1
	s_mov_b32 s49, exec_lo
	v_cmpx_ne_u16_e32 0x80, v1
	s_cbranch_execz .LBB312_159
; %bb.154:                              ;   in Loop: Header=BB312_13 Depth=1
	v_and_b32_e32 v46, 0xffff, v1
	v_mov_b32_e32 v44, 0x7fc02000
	s_mov_b32 s50, exec_lo
	s_delay_alu instid0(VALU_DEP_2) | instskip(NEXT) | instid1(VALU_DEP_1)
	v_and_b32_e32 v47, 0x7f, v46
	v_cmpx_ne_u32_e32 0x7f, v47
	s_cbranch_execz .LBB312_158
; %bb.155:                              ;   in Loop: Header=BB312_13 Depth=1
	v_and_b32_e32 v1, 7, v46
	v_lshrrev_b32_e32 v44, 3, v47
	s_mov_b32 s51, exec_lo
	v_cmpx_gt_u32_e32 8, v47
; %bb.156:                              ;   in Loop: Header=BB312_13 Depth=1
	s_delay_alu instid0(VALU_DEP_3) | instskip(NEXT) | instid1(VALU_DEP_1)
	v_clz_i32_u32_e32 v44, v1
	v_min_u32_e32 v44, 32, v44
	s_delay_alu instid0(VALU_DEP_1) | instskip(SKIP_1) | instid1(VALU_DEP_2)
	v_subrev_nc_u32_e32 v47, 28, v44
	v_sub_nc_u32_e32 v44, 29, v44
	v_lshlrev_b64 v[49:50], v47, v[1:2]
	s_delay_alu instid0(VALU_DEP_1)
	v_and_b32_e32 v1, 7, v49
; %bb.157:                              ;   in Loop: Header=BB312_13 Depth=1
	s_or_b32 exec_lo, exec_lo, s51
	v_lshlrev_b32_e32 v46, 8, v46
	v_lshl_add_u32 v44, v44, 10, 0x2000
	s_delay_alu instid0(VALU_DEP_1) | instskip(NEXT) | instid1(VALU_DEP_1)
	v_and_or_b32 v44, 0x8000, v46, v44
	v_lshl_or_b32 v1, v1, 7, v44
	s_delay_alu instid0(VALU_DEP_1)
	v_cvt_f32_f16_e32 v44, v1
.LBB312_158:                            ;   in Loop: Header=BB312_13 Depth=1
	s_or_b32 exec_lo, exec_lo, s50
.LBB312_159:                            ;   in Loop: Header=BB312_13 Depth=1
	s_delay_alu instid0(SALU_CYCLE_1)
	s_or_b32 exec_lo, exec_lo, s49
.LBB312_160:                            ;   in Loop: Header=BB312_13 Depth=1
	s_delay_alu instid0(SALU_CYCLE_1) | instskip(SKIP_3) | instid1(VALU_DEP_2)
	s_or_b32 exec_lo, exec_lo, s48
	v_lshrrev_b32_e32 v49, 16, v48
	v_mov_b32_e32 v47, 0
	s_mov_b32 s48, exec_lo
	v_dual_mov_b32 v46, 0 :: v_dual_and_b32 v1, 0xff, v49
	s_delay_alu instid0(VALU_DEP_1)
	v_cmpx_ne_u16_e32 0, v1
	s_cbranch_execz .LBB312_168
; %bb.161:                              ;   in Loop: Header=BB312_13 Depth=1
	v_bfrev_b32_e32 v47, 1
	s_mov_b32 s49, exec_lo
	v_cmpx_ne_u16_e32 0x80, v1
	s_cbranch_execz .LBB312_167
; %bb.162:                              ;   in Loop: Header=BB312_13 Depth=1
	v_bfe_u32 v50, v48, 16, 7
	v_mov_b32_e32 v47, 0x7fc02000
	s_mov_b32 s50, exec_lo
	s_delay_alu instid0(VALU_DEP_2)
	v_cmpx_ne_u32_e32 0x7f, v50
	s_cbranch_execz .LBB312_166
; %bb.163:                              ;   in Loop: Header=BB312_13 Depth=1
	v_and_b32_e32 v1, 7, v49
	v_lshrrev_b32_e32 v47, 3, v50
	s_mov_b32 s51, exec_lo
	v_cmpx_gt_u32_e32 8, v50
; %bb.164:                              ;   in Loop: Header=BB312_13 Depth=1
	s_delay_alu instid0(VALU_DEP_3) | instskip(NEXT) | instid1(VALU_DEP_1)
	v_clz_i32_u32_e32 v47, v1
	v_min_u32_e32 v47, 32, v47
	s_delay_alu instid0(VALU_DEP_1) | instskip(SKIP_1) | instid1(VALU_DEP_2)
	v_subrev_nc_u32_e32 v50, 28, v47
	v_sub_nc_u32_e32 v47, 29, v47
	v_lshlrev_b64 v[50:51], v50, v[1:2]
	s_delay_alu instid0(VALU_DEP_1)
	v_and_b32_e32 v1, 7, v50
; %bb.165:                              ;   in Loop: Header=BB312_13 Depth=1
	s_or_b32 exec_lo, exec_lo, s51
	v_lshlrev_b32_e32 v49, 8, v49
	v_lshl_add_u32 v47, v47, 10, 0x2000
	s_delay_alu instid0(VALU_DEP_1) | instskip(NEXT) | instid1(VALU_DEP_1)
	v_and_or_b32 v47, 0x8000, v49, v47
	v_lshl_or_b32 v1, v1, 7, v47
	s_delay_alu instid0(VALU_DEP_1)
	v_cvt_f32_f16_e32 v47, v1
.LBB312_166:                            ;   in Loop: Header=BB312_13 Depth=1
	s_or_b32 exec_lo, exec_lo, s50
.LBB312_167:                            ;   in Loop: Header=BB312_13 Depth=1
	s_delay_alu instid0(SALU_CYCLE_1)
	s_or_b32 exec_lo, exec_lo, s49
.LBB312_168:                            ;   in Loop: Header=BB312_13 Depth=1
	s_delay_alu instid0(SALU_CYCLE_1) | instskip(NEXT) | instid1(SALU_CYCLE_1)
	s_or_b32 exec_lo, exec_lo, s48
	s_mov_b32 s48, exec_lo
	v_cmpx_lt_u32_e32 0xffffff, v48
	s_cbranch_execz .LBB312_176
; %bb.169:                              ;   in Loop: Header=BB312_13 Depth=1
	v_lshrrev_b32_e32 v48, 24, v48
	v_bfrev_b32_e32 v46, 1
	s_mov_b32 s49, exec_lo
	s_delay_alu instid0(VALU_DEP_2)
	v_cmpx_ne_u32_e32 0x80, v48
	s_cbranch_execz .LBB312_175
; %bb.170:                              ;   in Loop: Header=BB312_13 Depth=1
	v_and_b32_e32 v49, 0x7f, v48
	v_mov_b32_e32 v46, 0x7fc02000
	s_mov_b32 s50, exec_lo
	s_delay_alu instid0(VALU_DEP_2)
	v_cmpx_ne_u32_e32 0x7f, v49
	s_cbranch_execz .LBB312_174
; %bb.171:                              ;   in Loop: Header=BB312_13 Depth=1
	v_and_b32_e32 v1, 7, v48
	v_lshrrev_b32_e32 v46, 3, v49
	s_mov_b32 s51, exec_lo
	v_cmpx_gt_u32_e32 8, v49
; %bb.172:                              ;   in Loop: Header=BB312_13 Depth=1
	s_delay_alu instid0(VALU_DEP_3) | instskip(NEXT) | instid1(VALU_DEP_1)
	v_clz_i32_u32_e32 v46, v1
	v_min_u32_e32 v46, 32, v46
	s_delay_alu instid0(VALU_DEP_1) | instskip(SKIP_1) | instid1(VALU_DEP_2)
	v_subrev_nc_u32_e32 v49, 28, v46
	v_sub_nc_u32_e32 v46, 29, v46
	v_lshlrev_b64 v[49:50], v49, v[1:2]
	s_delay_alu instid0(VALU_DEP_1)
	v_and_b32_e32 v1, 7, v49
; %bb.173:                              ;   in Loop: Header=BB312_13 Depth=1
	s_or_b32 exec_lo, exec_lo, s51
	v_lshlrev_b32_e32 v48, 8, v48
	v_lshl_add_u32 v46, v46, 10, 0x2000
	s_delay_alu instid0(VALU_DEP_1) | instskip(NEXT) | instid1(VALU_DEP_1)
	v_and_or_b32 v46, 0x8000, v48, v46
	v_lshl_or_b32 v1, v1, 7, v46
	s_delay_alu instid0(VALU_DEP_1)
	v_cvt_f32_f16_e32 v46, v1
.LBB312_174:                            ;   in Loop: Header=BB312_13 Depth=1
	s_or_b32 exec_lo, exec_lo, s50
.LBB312_175:                            ;   in Loop: Header=BB312_13 Depth=1
	s_delay_alu instid0(SALU_CYCLE_1)
	s_or_b32 exec_lo, exec_lo, s49
.LBB312_176:                            ;   in Loop: Header=BB312_13 Depth=1
	s_delay_alu instid0(SALU_CYCLE_1)
	s_or_b32 exec_lo, exec_lo, s48
	global_load_b32 v52, v[9:10], off offset:520
	v_mov_b32_e32 v49, 0
	s_mov_b32 s48, exec_lo
	s_waitcnt vmcnt(0)
	v_dual_mov_b32 v48, 0 :: v_dual_and_b32 v1, 0xff, v52
	s_delay_alu instid0(VALU_DEP_1)
	v_cmpx_ne_u16_e32 0, v1
	s_cbranch_execz .LBB312_184
; %bb.177:                              ;   in Loop: Header=BB312_13 Depth=1
	v_bfrev_b32_e32 v49, 1
	s_mov_b32 s49, exec_lo
	v_cmpx_ne_u16_e32 0x80, v1
	s_cbranch_execz .LBB312_183
; %bb.178:                              ;   in Loop: Header=BB312_13 Depth=1
	v_and_b32_e32 v50, 0x7f, v52
	v_mov_b32_e32 v49, 0x7fc02000
	s_mov_b32 s50, exec_lo
	s_delay_alu instid0(VALU_DEP_2)
	v_cmpx_ne_u32_e32 0x7f, v50
	s_cbranch_execz .LBB312_182
; %bb.179:                              ;   in Loop: Header=BB312_13 Depth=1
	v_and_b32_e32 v1, 7, v52
	v_lshrrev_b32_e32 v49, 3, v50
	s_mov_b32 s51, exec_lo
	v_cmpx_gt_u32_e32 8, v50
; %bb.180:                              ;   in Loop: Header=BB312_13 Depth=1
	s_delay_alu instid0(VALU_DEP_3) | instskip(NEXT) | instid1(VALU_DEP_1)
	v_clz_i32_u32_e32 v49, v1
	v_min_u32_e32 v49, 32, v49
	s_delay_alu instid0(VALU_DEP_1) | instskip(SKIP_1) | instid1(VALU_DEP_2)
	v_subrev_nc_u32_e32 v50, 28, v49
	v_sub_nc_u32_e32 v49, 29, v49
	v_lshlrev_b64 v[50:51], v50, v[1:2]
	s_delay_alu instid0(VALU_DEP_1)
	v_and_b32_e32 v1, 7, v50
; %bb.181:                              ;   in Loop: Header=BB312_13 Depth=1
	s_or_b32 exec_lo, exec_lo, s51
	v_lshlrev_b32_e32 v50, 8, v52
	v_lshl_add_u32 v49, v49, 10, 0x2000
	s_delay_alu instid0(VALU_DEP_1) | instskip(NEXT) | instid1(VALU_DEP_1)
	v_and_or_b32 v49, 0x8000, v50, v49
	v_lshl_or_b32 v1, v1, 7, v49
	s_delay_alu instid0(VALU_DEP_1)
	v_cvt_f32_f16_e32 v49, v1
.LBB312_182:                            ;   in Loop: Header=BB312_13 Depth=1
	s_or_b32 exec_lo, exec_lo, s50
.LBB312_183:                            ;   in Loop: Header=BB312_13 Depth=1
	s_delay_alu instid0(SALU_CYCLE_1)
	s_or_b32 exec_lo, exec_lo, s49
.LBB312_184:                            ;   in Loop: Header=BB312_13 Depth=1
	s_delay_alu instid0(SALU_CYCLE_1) | instskip(SKIP_2) | instid1(VALU_DEP_1)
	s_or_b32 exec_lo, exec_lo, s48
	v_lshrrev_b16 v1, 8, v52
	s_mov_b32 s48, exec_lo
	v_cmpx_ne_u16_e32 0, v1
	s_cbranch_execz .LBB312_192
; %bb.185:                              ;   in Loop: Header=BB312_13 Depth=1
	v_bfrev_b32_e32 v48, 1
	s_mov_b32 s49, exec_lo
	v_cmpx_ne_u16_e32 0x80, v1
	s_cbranch_execz .LBB312_191
; %bb.186:                              ;   in Loop: Header=BB312_13 Depth=1
	v_and_b32_e32 v50, 0xffff, v1
	v_mov_b32_e32 v48, 0x7fc02000
	s_mov_b32 s50, exec_lo
	s_delay_alu instid0(VALU_DEP_2) | instskip(NEXT) | instid1(VALU_DEP_1)
	v_and_b32_e32 v51, 0x7f, v50
	v_cmpx_ne_u32_e32 0x7f, v51
	s_cbranch_execz .LBB312_190
; %bb.187:                              ;   in Loop: Header=BB312_13 Depth=1
	v_and_b32_e32 v1, 7, v50
	v_lshrrev_b32_e32 v48, 3, v51
	s_mov_b32 s51, exec_lo
	v_cmpx_gt_u32_e32 8, v51
; %bb.188:                              ;   in Loop: Header=BB312_13 Depth=1
	s_delay_alu instid0(VALU_DEP_3) | instskip(NEXT) | instid1(VALU_DEP_1)
	v_clz_i32_u32_e32 v48, v1
	v_min_u32_e32 v48, 32, v48
	s_delay_alu instid0(VALU_DEP_1) | instskip(SKIP_1) | instid1(VALU_DEP_2)
	v_subrev_nc_u32_e32 v51, 28, v48
	v_sub_nc_u32_e32 v48, 29, v48
	v_lshlrev_b64 v[53:54], v51, v[1:2]
	s_delay_alu instid0(VALU_DEP_1)
	v_and_b32_e32 v1, 7, v53
; %bb.189:                              ;   in Loop: Header=BB312_13 Depth=1
	s_or_b32 exec_lo, exec_lo, s51
	v_lshlrev_b32_e32 v50, 8, v50
	v_lshl_add_u32 v48, v48, 10, 0x2000
	s_delay_alu instid0(VALU_DEP_1) | instskip(NEXT) | instid1(VALU_DEP_1)
	v_and_or_b32 v48, 0x8000, v50, v48
	v_lshl_or_b32 v1, v1, 7, v48
	s_delay_alu instid0(VALU_DEP_1)
	v_cvt_f32_f16_e32 v48, v1
.LBB312_190:                            ;   in Loop: Header=BB312_13 Depth=1
	s_or_b32 exec_lo, exec_lo, s50
.LBB312_191:                            ;   in Loop: Header=BB312_13 Depth=1
	s_delay_alu instid0(SALU_CYCLE_1)
	s_or_b32 exec_lo, exec_lo, s49
.LBB312_192:                            ;   in Loop: Header=BB312_13 Depth=1
	s_delay_alu instid0(SALU_CYCLE_1) | instskip(SKIP_3) | instid1(VALU_DEP_2)
	s_or_b32 exec_lo, exec_lo, s48
	v_lshrrev_b32_e32 v53, 16, v52
	v_mov_b32_e32 v51, 0
	s_mov_b32 s48, exec_lo
	v_dual_mov_b32 v50, 0 :: v_dual_and_b32 v1, 0xff, v53
	s_delay_alu instid0(VALU_DEP_1)
	v_cmpx_ne_u16_e32 0, v1
	s_cbranch_execz .LBB312_200
; %bb.193:                              ;   in Loop: Header=BB312_13 Depth=1
	v_bfrev_b32_e32 v51, 1
	s_mov_b32 s49, exec_lo
	v_cmpx_ne_u16_e32 0x80, v1
	s_cbranch_execz .LBB312_199
; %bb.194:                              ;   in Loop: Header=BB312_13 Depth=1
	v_bfe_u32 v54, v52, 16, 7
	v_mov_b32_e32 v51, 0x7fc02000
	s_mov_b32 s50, exec_lo
	s_delay_alu instid0(VALU_DEP_2)
	v_cmpx_ne_u32_e32 0x7f, v54
	s_cbranch_execz .LBB312_198
; %bb.195:                              ;   in Loop: Header=BB312_13 Depth=1
	v_and_b32_e32 v1, 7, v53
	v_lshrrev_b32_e32 v51, 3, v54
	s_mov_b32 s51, exec_lo
	v_cmpx_gt_u32_e32 8, v54
; %bb.196:                              ;   in Loop: Header=BB312_13 Depth=1
	s_delay_alu instid0(VALU_DEP_3) | instskip(NEXT) | instid1(VALU_DEP_1)
	v_clz_i32_u32_e32 v51, v1
	v_min_u32_e32 v51, 32, v51
	s_delay_alu instid0(VALU_DEP_1) | instskip(SKIP_1) | instid1(VALU_DEP_2)
	v_subrev_nc_u32_e32 v54, 28, v51
	v_sub_nc_u32_e32 v51, 29, v51
	v_lshlrev_b64 v[54:55], v54, v[1:2]
	s_delay_alu instid0(VALU_DEP_1)
	v_and_b32_e32 v1, 7, v54
; %bb.197:                              ;   in Loop: Header=BB312_13 Depth=1
	s_or_b32 exec_lo, exec_lo, s51
	v_lshlrev_b32_e32 v53, 8, v53
	v_lshl_add_u32 v51, v51, 10, 0x2000
	s_delay_alu instid0(VALU_DEP_1) | instskip(NEXT) | instid1(VALU_DEP_1)
	v_and_or_b32 v51, 0x8000, v53, v51
	v_lshl_or_b32 v1, v1, 7, v51
	s_delay_alu instid0(VALU_DEP_1)
	v_cvt_f32_f16_e32 v51, v1
.LBB312_198:                            ;   in Loop: Header=BB312_13 Depth=1
	s_or_b32 exec_lo, exec_lo, s50
.LBB312_199:                            ;   in Loop: Header=BB312_13 Depth=1
	s_delay_alu instid0(SALU_CYCLE_1)
	s_or_b32 exec_lo, exec_lo, s49
.LBB312_200:                            ;   in Loop: Header=BB312_13 Depth=1
	s_delay_alu instid0(SALU_CYCLE_1) | instskip(NEXT) | instid1(SALU_CYCLE_1)
	s_or_b32 exec_lo, exec_lo, s48
	s_mov_b32 s48, exec_lo
	v_cmpx_lt_u32_e32 0xffffff, v52
	s_cbranch_execz .LBB312_208
; %bb.201:                              ;   in Loop: Header=BB312_13 Depth=1
	v_lshrrev_b32_e32 v52, 24, v52
	v_bfrev_b32_e32 v50, 1
	s_mov_b32 s49, exec_lo
	s_delay_alu instid0(VALU_DEP_2)
	v_cmpx_ne_u32_e32 0x80, v52
	s_cbranch_execz .LBB312_207
; %bb.202:                              ;   in Loop: Header=BB312_13 Depth=1
	v_and_b32_e32 v53, 0x7f, v52
	v_mov_b32_e32 v50, 0x7fc02000
	s_mov_b32 s50, exec_lo
	s_delay_alu instid0(VALU_DEP_2)
	v_cmpx_ne_u32_e32 0x7f, v53
	s_cbranch_execz .LBB312_206
; %bb.203:                              ;   in Loop: Header=BB312_13 Depth=1
	v_and_b32_e32 v1, 7, v52
	v_lshrrev_b32_e32 v50, 3, v53
	s_mov_b32 s51, exec_lo
	v_cmpx_gt_u32_e32 8, v53
; %bb.204:                              ;   in Loop: Header=BB312_13 Depth=1
	s_delay_alu instid0(VALU_DEP_3) | instskip(NEXT) | instid1(VALU_DEP_1)
	v_clz_i32_u32_e32 v50, v1
	v_min_u32_e32 v50, 32, v50
	s_delay_alu instid0(VALU_DEP_1) | instskip(SKIP_1) | instid1(VALU_DEP_2)
	v_subrev_nc_u32_e32 v53, 28, v50
	v_sub_nc_u32_e32 v50, 29, v50
	v_lshlrev_b64 v[53:54], v53, v[1:2]
	s_delay_alu instid0(VALU_DEP_1)
	v_and_b32_e32 v1, 7, v53
; %bb.205:                              ;   in Loop: Header=BB312_13 Depth=1
	s_or_b32 exec_lo, exec_lo, s51
	v_lshlrev_b32_e32 v52, 8, v52
	v_lshl_add_u32 v50, v50, 10, 0x2000
	s_delay_alu instid0(VALU_DEP_1) | instskip(NEXT) | instid1(VALU_DEP_1)
	v_and_or_b32 v50, 0x8000, v52, v50
	v_lshl_or_b32 v1, v1, 7, v50
	s_delay_alu instid0(VALU_DEP_1)
	v_cvt_f32_f16_e32 v50, v1
.LBB312_206:                            ;   in Loop: Header=BB312_13 Depth=1
	s_or_b32 exec_lo, exec_lo, s50
.LBB312_207:                            ;   in Loop: Header=BB312_13 Depth=1
	s_delay_alu instid0(SALU_CYCLE_1)
	s_or_b32 exec_lo, exec_lo, s49
.LBB312_208:                            ;   in Loop: Header=BB312_13 Depth=1
	s_delay_alu instid0(SALU_CYCLE_1)
	s_or_b32 exec_lo, exec_lo, s48
	global_load_b32 v56, v[9:10], off offset:768
	v_mov_b32_e32 v53, 0
	s_mov_b32 s48, exec_lo
	s_waitcnt vmcnt(0)
	v_dual_mov_b32 v52, 0 :: v_dual_and_b32 v1, 0xff, v56
	s_delay_alu instid0(VALU_DEP_1)
	v_cmpx_ne_u16_e32 0, v1
	s_cbranch_execz .LBB312_216
; %bb.209:                              ;   in Loop: Header=BB312_13 Depth=1
	v_bfrev_b32_e32 v52, 1
	s_mov_b32 s49, exec_lo
	v_cmpx_ne_u16_e32 0x80, v1
	s_cbranch_execz .LBB312_215
; %bb.210:                              ;   in Loop: Header=BB312_13 Depth=1
	v_and_b32_e32 v54, 0x7f, v56
	v_mov_b32_e32 v52, 0x7fc02000
	s_mov_b32 s50, exec_lo
	s_delay_alu instid0(VALU_DEP_2)
	v_cmpx_ne_u32_e32 0x7f, v54
	s_cbranch_execz .LBB312_214
; %bb.211:                              ;   in Loop: Header=BB312_13 Depth=1
	v_and_b32_e32 v1, 7, v56
	v_lshrrev_b32_e32 v52, 3, v54
	s_mov_b32 s51, exec_lo
	v_cmpx_gt_u32_e32 8, v54
; %bb.212:                              ;   in Loop: Header=BB312_13 Depth=1
	s_delay_alu instid0(VALU_DEP_3) | instskip(NEXT) | instid1(VALU_DEP_1)
	v_clz_i32_u32_e32 v52, v1
	v_min_u32_e32 v52, 32, v52
	s_delay_alu instid0(VALU_DEP_1) | instskip(SKIP_1) | instid1(VALU_DEP_2)
	v_subrev_nc_u32_e32 v54, 28, v52
	v_sub_nc_u32_e32 v52, 29, v52
	v_lshlrev_b64 v[54:55], v54, v[1:2]
	s_delay_alu instid0(VALU_DEP_1)
	v_and_b32_e32 v1, 7, v54
; %bb.213:                              ;   in Loop: Header=BB312_13 Depth=1
	s_or_b32 exec_lo, exec_lo, s51
	v_lshlrev_b32_e32 v54, 8, v56
	v_lshl_add_u32 v52, v52, 10, 0x2000
	s_delay_alu instid0(VALU_DEP_1) | instskip(NEXT) | instid1(VALU_DEP_1)
	v_and_or_b32 v52, 0x8000, v54, v52
	v_lshl_or_b32 v1, v1, 7, v52
	s_delay_alu instid0(VALU_DEP_1)
	v_cvt_f32_f16_e32 v52, v1
.LBB312_214:                            ;   in Loop: Header=BB312_13 Depth=1
	s_or_b32 exec_lo, exec_lo, s50
.LBB312_215:                            ;   in Loop: Header=BB312_13 Depth=1
	s_delay_alu instid0(SALU_CYCLE_1)
	s_or_b32 exec_lo, exec_lo, s49
.LBB312_216:                            ;   in Loop: Header=BB312_13 Depth=1
	s_delay_alu instid0(SALU_CYCLE_1) | instskip(SKIP_2) | instid1(VALU_DEP_1)
	s_or_b32 exec_lo, exec_lo, s48
	v_lshrrev_b16 v1, 8, v56
	s_mov_b32 s48, exec_lo
	v_cmpx_ne_u16_e32 0, v1
	s_cbranch_execz .LBB312_224
; %bb.217:                              ;   in Loop: Header=BB312_13 Depth=1
	v_bfrev_b32_e32 v53, 1
	s_mov_b32 s49, exec_lo
	v_cmpx_ne_u16_e32 0x80, v1
	s_cbranch_execz .LBB312_223
; %bb.218:                              ;   in Loop: Header=BB312_13 Depth=1
	v_and_b32_e32 v54, 0xffff, v1
	v_mov_b32_e32 v53, 0x7fc02000
	s_mov_b32 s50, exec_lo
	s_delay_alu instid0(VALU_DEP_2) | instskip(NEXT) | instid1(VALU_DEP_1)
	v_and_b32_e32 v55, 0x7f, v54
	v_cmpx_ne_u32_e32 0x7f, v55
	s_cbranch_execz .LBB312_222
; %bb.219:                              ;   in Loop: Header=BB312_13 Depth=1
	v_and_b32_e32 v1, 7, v54
	v_lshrrev_b32_e32 v53, 3, v55
	s_mov_b32 s51, exec_lo
	v_cmpx_gt_u32_e32 8, v55
; %bb.220:                              ;   in Loop: Header=BB312_13 Depth=1
	s_delay_alu instid0(VALU_DEP_3) | instskip(NEXT) | instid1(VALU_DEP_1)
	v_clz_i32_u32_e32 v53, v1
	v_min_u32_e32 v53, 32, v53
	s_delay_alu instid0(VALU_DEP_1) | instskip(SKIP_1) | instid1(VALU_DEP_2)
	v_subrev_nc_u32_e32 v55, 28, v53
	v_sub_nc_u32_e32 v53, 29, v53
	v_lshlrev_b64 v[57:58], v55, v[1:2]
	s_delay_alu instid0(VALU_DEP_1)
	v_and_b32_e32 v1, 7, v57
; %bb.221:                              ;   in Loop: Header=BB312_13 Depth=1
	s_or_b32 exec_lo, exec_lo, s51
	v_lshlrev_b32_e32 v54, 8, v54
	v_lshl_add_u32 v53, v53, 10, 0x2000
	s_delay_alu instid0(VALU_DEP_1) | instskip(NEXT) | instid1(VALU_DEP_1)
	v_and_or_b32 v53, 0x8000, v54, v53
	v_lshl_or_b32 v1, v1, 7, v53
	s_delay_alu instid0(VALU_DEP_1)
	v_cvt_f32_f16_e32 v53, v1
.LBB312_222:                            ;   in Loop: Header=BB312_13 Depth=1
	s_or_b32 exec_lo, exec_lo, s50
.LBB312_223:                            ;   in Loop: Header=BB312_13 Depth=1
	s_delay_alu instid0(SALU_CYCLE_1)
	s_or_b32 exec_lo, exec_lo, s49
.LBB312_224:                            ;   in Loop: Header=BB312_13 Depth=1
	s_delay_alu instid0(SALU_CYCLE_1) | instskip(SKIP_3) | instid1(VALU_DEP_2)
	s_or_b32 exec_lo, exec_lo, s48
	v_lshrrev_b32_e32 v57, 16, v56
	v_mov_b32_e32 v55, 0
	s_mov_b32 s48, exec_lo
	v_dual_mov_b32 v54, 0 :: v_dual_and_b32 v1, 0xff, v57
	s_delay_alu instid0(VALU_DEP_1)
	v_cmpx_ne_u16_e32 0, v1
	s_cbranch_execz .LBB312_232
; %bb.225:                              ;   in Loop: Header=BB312_13 Depth=1
	v_bfrev_b32_e32 v55, 1
	s_mov_b32 s49, exec_lo
	v_cmpx_ne_u16_e32 0x80, v1
	s_cbranch_execz .LBB312_231
; %bb.226:                              ;   in Loop: Header=BB312_13 Depth=1
	v_bfe_u32 v58, v56, 16, 7
	v_mov_b32_e32 v55, 0x7fc02000
	s_mov_b32 s50, exec_lo
	s_delay_alu instid0(VALU_DEP_2)
	v_cmpx_ne_u32_e32 0x7f, v58
	s_cbranch_execz .LBB312_230
; %bb.227:                              ;   in Loop: Header=BB312_13 Depth=1
	v_and_b32_e32 v1, 7, v57
	v_lshrrev_b32_e32 v55, 3, v58
	s_mov_b32 s51, exec_lo
	v_cmpx_gt_u32_e32 8, v58
; %bb.228:                              ;   in Loop: Header=BB312_13 Depth=1
	s_delay_alu instid0(VALU_DEP_3) | instskip(NEXT) | instid1(VALU_DEP_1)
	v_clz_i32_u32_e32 v55, v1
	v_min_u32_e32 v55, 32, v55
	s_delay_alu instid0(VALU_DEP_1) | instskip(SKIP_1) | instid1(VALU_DEP_2)
	v_subrev_nc_u32_e32 v58, 28, v55
	v_sub_nc_u32_e32 v55, 29, v55
	v_lshlrev_b64 v[58:59], v58, v[1:2]
	s_delay_alu instid0(VALU_DEP_1)
	v_and_b32_e32 v1, 7, v58
; %bb.229:                              ;   in Loop: Header=BB312_13 Depth=1
	s_or_b32 exec_lo, exec_lo, s51
	v_lshlrev_b32_e32 v57, 8, v57
	v_lshl_add_u32 v55, v55, 10, 0x2000
	s_delay_alu instid0(VALU_DEP_1) | instskip(NEXT) | instid1(VALU_DEP_1)
	v_and_or_b32 v55, 0x8000, v57, v55
	v_lshl_or_b32 v1, v1, 7, v55
	s_delay_alu instid0(VALU_DEP_1)
	v_cvt_f32_f16_e32 v55, v1
.LBB312_230:                            ;   in Loop: Header=BB312_13 Depth=1
	s_or_b32 exec_lo, exec_lo, s50
.LBB312_231:                            ;   in Loop: Header=BB312_13 Depth=1
	s_delay_alu instid0(SALU_CYCLE_1)
	s_or_b32 exec_lo, exec_lo, s49
.LBB312_232:                            ;   in Loop: Header=BB312_13 Depth=1
	s_delay_alu instid0(SALU_CYCLE_1) | instskip(NEXT) | instid1(SALU_CYCLE_1)
	s_or_b32 exec_lo, exec_lo, s48
	s_mov_b32 s48, exec_lo
	v_cmpx_lt_u32_e32 0xffffff, v56
	s_cbranch_execz .LBB312_240
; %bb.233:                              ;   in Loop: Header=BB312_13 Depth=1
	v_lshrrev_b32_e32 v56, 24, v56
	v_bfrev_b32_e32 v54, 1
	s_mov_b32 s49, exec_lo
	s_delay_alu instid0(VALU_DEP_2)
	v_cmpx_ne_u32_e32 0x80, v56
	s_cbranch_execz .LBB312_239
; %bb.234:                              ;   in Loop: Header=BB312_13 Depth=1
	v_and_b32_e32 v57, 0x7f, v56
	v_mov_b32_e32 v54, 0x7fc02000
	s_mov_b32 s50, exec_lo
	s_delay_alu instid0(VALU_DEP_2)
	v_cmpx_ne_u32_e32 0x7f, v57
	s_cbranch_execz .LBB312_238
; %bb.235:                              ;   in Loop: Header=BB312_13 Depth=1
	v_and_b32_e32 v1, 7, v56
	v_lshrrev_b32_e32 v54, 3, v57
	s_mov_b32 s51, exec_lo
	v_cmpx_gt_u32_e32 8, v57
; %bb.236:                              ;   in Loop: Header=BB312_13 Depth=1
	s_delay_alu instid0(VALU_DEP_3) | instskip(NEXT) | instid1(VALU_DEP_1)
	v_clz_i32_u32_e32 v54, v1
	v_min_u32_e32 v54, 32, v54
	s_delay_alu instid0(VALU_DEP_1) | instskip(SKIP_1) | instid1(VALU_DEP_2)
	v_subrev_nc_u32_e32 v57, 28, v54
	v_sub_nc_u32_e32 v54, 29, v54
	v_lshlrev_b64 v[57:58], v57, v[1:2]
	s_delay_alu instid0(VALU_DEP_1)
	v_and_b32_e32 v1, 7, v57
; %bb.237:                              ;   in Loop: Header=BB312_13 Depth=1
	s_or_b32 exec_lo, exec_lo, s51
	v_lshlrev_b32_e32 v56, 8, v56
	v_lshl_add_u32 v54, v54, 10, 0x2000
	s_delay_alu instid0(VALU_DEP_1) | instskip(NEXT) | instid1(VALU_DEP_1)
	v_and_or_b32 v54, 0x8000, v56, v54
	v_lshl_or_b32 v1, v1, 7, v54
	s_delay_alu instid0(VALU_DEP_1)
	v_cvt_f32_f16_e32 v54, v1
.LBB312_238:                            ;   in Loop: Header=BB312_13 Depth=1
	s_or_b32 exec_lo, exec_lo, s50
.LBB312_239:                            ;   in Loop: Header=BB312_13 Depth=1
	s_delay_alu instid0(SALU_CYCLE_1)
	s_or_b32 exec_lo, exec_lo, s49
.LBB312_240:                            ;   in Loop: Header=BB312_13 Depth=1
	s_delay_alu instid0(SALU_CYCLE_1)
	s_or_b32 exec_lo, exec_lo, s48
	global_load_b32 v58, v[9:10], off offset:776
	v_mov_b32_e32 v9, 0
	s_mov_b32 s48, exec_lo
	s_waitcnt vmcnt(0)
	v_dual_mov_b32 v10, 0 :: v_dual_and_b32 v1, 0xff, v58
	s_delay_alu instid0(VALU_DEP_1)
	v_cmpx_ne_u16_e32 0, v1
	s_cbranch_execz .LBB312_248
; %bb.241:                              ;   in Loop: Header=BB312_13 Depth=1
	v_bfrev_b32_e32 v9, 1
	s_mov_b32 s49, exec_lo
	v_cmpx_ne_u16_e32 0x80, v1
	s_cbranch_execz .LBB312_247
; %bb.242:                              ;   in Loop: Header=BB312_13 Depth=1
	v_and_b32_e32 v56, 0x7f, v58
	v_mov_b32_e32 v9, 0x7fc02000
	s_mov_b32 s50, exec_lo
	s_delay_alu instid0(VALU_DEP_2)
	v_cmpx_ne_u32_e32 0x7f, v56
	s_cbranch_execz .LBB312_246
; %bb.243:                              ;   in Loop: Header=BB312_13 Depth=1
	v_and_b32_e32 v1, 7, v58
	v_lshrrev_b32_e32 v9, 3, v56
	s_mov_b32 s51, exec_lo
	v_cmpx_gt_u32_e32 8, v56
; %bb.244:                              ;   in Loop: Header=BB312_13 Depth=1
	s_delay_alu instid0(VALU_DEP_3) | instskip(NEXT) | instid1(VALU_DEP_1)
	v_clz_i32_u32_e32 v9, v1
	v_min_u32_e32 v9, 32, v9
	s_delay_alu instid0(VALU_DEP_1) | instskip(SKIP_1) | instid1(VALU_DEP_2)
	v_subrev_nc_u32_e32 v56, 28, v9
	v_sub_nc_u32_e32 v9, 29, v9
	v_lshlrev_b64 v[56:57], v56, v[1:2]
	s_delay_alu instid0(VALU_DEP_1)
	v_and_b32_e32 v1, 7, v56
; %bb.245:                              ;   in Loop: Header=BB312_13 Depth=1
	s_or_b32 exec_lo, exec_lo, s51
	v_lshlrev_b32_e32 v56, 8, v58
	v_lshl_add_u32 v9, v9, 10, 0x2000
	s_delay_alu instid0(VALU_DEP_1) | instskip(NEXT) | instid1(VALU_DEP_1)
	v_and_or_b32 v9, 0x8000, v56, v9
	v_lshl_or_b32 v1, v1, 7, v9
	s_delay_alu instid0(VALU_DEP_1)
	v_cvt_f32_f16_e32 v9, v1
.LBB312_246:                            ;   in Loop: Header=BB312_13 Depth=1
	s_or_b32 exec_lo, exec_lo, s50
.LBB312_247:                            ;   in Loop: Header=BB312_13 Depth=1
	s_delay_alu instid0(SALU_CYCLE_1)
	s_or_b32 exec_lo, exec_lo, s49
.LBB312_248:                            ;   in Loop: Header=BB312_13 Depth=1
	s_delay_alu instid0(SALU_CYCLE_1) | instskip(SKIP_2) | instid1(VALU_DEP_1)
	s_or_b32 exec_lo, exec_lo, s48
	v_lshrrev_b16 v1, 8, v58
	s_mov_b32 s48, exec_lo
	v_cmpx_ne_u16_e32 0, v1
	s_cbranch_execz .LBB312_256
; %bb.249:                              ;   in Loop: Header=BB312_13 Depth=1
	v_bfrev_b32_e32 v10, 1
	s_mov_b32 s49, exec_lo
	v_cmpx_ne_u16_e32 0x80, v1
	s_cbranch_execz .LBB312_255
; %bb.250:                              ;   in Loop: Header=BB312_13 Depth=1
	v_and_b32_e32 v56, 0xffff, v1
	v_mov_b32_e32 v10, 0x7fc02000
	s_mov_b32 s50, exec_lo
	s_delay_alu instid0(VALU_DEP_2) | instskip(NEXT) | instid1(VALU_DEP_1)
	v_and_b32_e32 v57, 0x7f, v56
	v_cmpx_ne_u32_e32 0x7f, v57
	s_cbranch_execz .LBB312_254
; %bb.251:                              ;   in Loop: Header=BB312_13 Depth=1
	v_and_b32_e32 v1, 7, v56
	v_lshrrev_b32_e32 v10, 3, v57
	s_mov_b32 s51, exec_lo
	v_cmpx_gt_u32_e32 8, v57
; %bb.252:                              ;   in Loop: Header=BB312_13 Depth=1
	s_delay_alu instid0(VALU_DEP_3) | instskip(NEXT) | instid1(VALU_DEP_1)
	v_clz_i32_u32_e32 v10, v1
	v_min_u32_e32 v10, 32, v10
	s_delay_alu instid0(VALU_DEP_1) | instskip(SKIP_1) | instid1(VALU_DEP_2)
	v_subrev_nc_u32_e32 v57, 28, v10
	v_sub_nc_u32_e32 v10, 29, v10
	v_lshlrev_b64 v[59:60], v57, v[1:2]
	s_delay_alu instid0(VALU_DEP_1)
	v_and_b32_e32 v1, 7, v59
; %bb.253:                              ;   in Loop: Header=BB312_13 Depth=1
	s_or_b32 exec_lo, exec_lo, s51
	v_lshlrev_b32_e32 v56, 8, v56
	v_lshl_add_u32 v10, v10, 10, 0x2000
	s_delay_alu instid0(VALU_DEP_1) | instskip(NEXT) | instid1(VALU_DEP_1)
	v_and_or_b32 v10, 0x8000, v56, v10
	v_lshl_or_b32 v1, v1, 7, v10
	s_delay_alu instid0(VALU_DEP_1)
	v_cvt_f32_f16_e32 v10, v1
.LBB312_254:                            ;   in Loop: Header=BB312_13 Depth=1
	s_or_b32 exec_lo, exec_lo, s50
.LBB312_255:                            ;   in Loop: Header=BB312_13 Depth=1
	s_delay_alu instid0(SALU_CYCLE_1)
	s_or_b32 exec_lo, exec_lo, s49
.LBB312_256:                            ;   in Loop: Header=BB312_13 Depth=1
	s_delay_alu instid0(SALU_CYCLE_1) | instskip(SKIP_3) | instid1(VALU_DEP_2)
	s_or_b32 exec_lo, exec_lo, s48
	v_lshrrev_b32_e32 v59, 16, v58
	v_mov_b32_e32 v57, 0
	s_mov_b32 s48, exec_lo
	v_dual_mov_b32 v56, 0 :: v_dual_and_b32 v1, 0xff, v59
	s_delay_alu instid0(VALU_DEP_1)
	v_cmpx_ne_u16_e32 0, v1
	s_cbranch_execz .LBB312_264
; %bb.257:                              ;   in Loop: Header=BB312_13 Depth=1
	v_bfrev_b32_e32 v57, 1
	s_mov_b32 s49, exec_lo
	v_cmpx_ne_u16_e32 0x80, v1
	s_cbranch_execz .LBB312_263
; %bb.258:                              ;   in Loop: Header=BB312_13 Depth=1
	v_bfe_u32 v60, v58, 16, 7
	v_mov_b32_e32 v57, 0x7fc02000
	s_mov_b32 s50, exec_lo
	s_delay_alu instid0(VALU_DEP_2)
	v_cmpx_ne_u32_e32 0x7f, v60
	s_cbranch_execz .LBB312_262
; %bb.259:                              ;   in Loop: Header=BB312_13 Depth=1
	v_and_b32_e32 v1, 7, v59
	v_lshrrev_b32_e32 v57, 3, v60
	s_mov_b32 s51, exec_lo
	v_cmpx_gt_u32_e32 8, v60
; %bb.260:                              ;   in Loop: Header=BB312_13 Depth=1
	s_delay_alu instid0(VALU_DEP_3) | instskip(NEXT) | instid1(VALU_DEP_1)
	v_clz_i32_u32_e32 v57, v1
	v_min_u32_e32 v57, 32, v57
	s_delay_alu instid0(VALU_DEP_1) | instskip(SKIP_1) | instid1(VALU_DEP_2)
	v_subrev_nc_u32_e32 v60, 28, v57
	v_sub_nc_u32_e32 v57, 29, v57
	v_lshlrev_b64 v[60:61], v60, v[1:2]
	s_delay_alu instid0(VALU_DEP_1)
	v_and_b32_e32 v1, 7, v60
; %bb.261:                              ;   in Loop: Header=BB312_13 Depth=1
	s_or_b32 exec_lo, exec_lo, s51
	v_lshlrev_b32_e32 v59, 8, v59
	v_lshl_add_u32 v57, v57, 10, 0x2000
	s_delay_alu instid0(VALU_DEP_1) | instskip(NEXT) | instid1(VALU_DEP_1)
	v_and_or_b32 v57, 0x8000, v59, v57
	v_lshl_or_b32 v1, v1, 7, v57
	s_delay_alu instid0(VALU_DEP_1)
	v_cvt_f32_f16_e32 v57, v1
.LBB312_262:                            ;   in Loop: Header=BB312_13 Depth=1
	s_or_b32 exec_lo, exec_lo, s50
.LBB312_263:                            ;   in Loop: Header=BB312_13 Depth=1
	s_delay_alu instid0(SALU_CYCLE_1)
	s_or_b32 exec_lo, exec_lo, s49
.LBB312_264:                            ;   in Loop: Header=BB312_13 Depth=1
	s_delay_alu instid0(SALU_CYCLE_1) | instskip(NEXT) | instid1(SALU_CYCLE_1)
	s_or_b32 exec_lo, exec_lo, s48
	s_mov_b32 s48, exec_lo
	v_cmpx_lt_u32_e32 0xffffff, v58
	s_cbranch_execz .LBB312_272
; %bb.265:                              ;   in Loop: Header=BB312_13 Depth=1
	v_lshrrev_b32_e32 v58, 24, v58
	v_bfrev_b32_e32 v56, 1
	s_mov_b32 s49, exec_lo
	s_delay_alu instid0(VALU_DEP_2)
	v_cmpx_ne_u32_e32 0x80, v58
	s_cbranch_execz .LBB312_271
; %bb.266:                              ;   in Loop: Header=BB312_13 Depth=1
	v_and_b32_e32 v59, 0x7f, v58
	v_mov_b32_e32 v56, 0x7fc02000
	s_mov_b32 s50, exec_lo
	s_delay_alu instid0(VALU_DEP_2)
	v_cmpx_ne_u32_e32 0x7f, v59
	s_cbranch_execz .LBB312_270
; %bb.267:                              ;   in Loop: Header=BB312_13 Depth=1
	v_and_b32_e32 v1, 7, v58
	v_lshrrev_b32_e32 v56, 3, v59
	s_mov_b32 s51, exec_lo
	v_cmpx_gt_u32_e32 8, v59
; %bb.268:                              ;   in Loop: Header=BB312_13 Depth=1
	s_delay_alu instid0(VALU_DEP_3) | instskip(NEXT) | instid1(VALU_DEP_1)
	v_clz_i32_u32_e32 v56, v1
	v_min_u32_e32 v56, 32, v56
	s_delay_alu instid0(VALU_DEP_1) | instskip(SKIP_1) | instid1(VALU_DEP_2)
	v_subrev_nc_u32_e32 v59, 28, v56
	v_sub_nc_u32_e32 v56, 29, v56
	v_lshlrev_b64 v[59:60], v59, v[1:2]
	s_delay_alu instid0(VALU_DEP_1)
	v_and_b32_e32 v1, 7, v59
; %bb.269:                              ;   in Loop: Header=BB312_13 Depth=1
	s_or_b32 exec_lo, exec_lo, s51
	v_lshlrev_b32_e32 v58, 8, v58
	v_lshl_add_u32 v56, v56, 10, 0x2000
	s_delay_alu instid0(VALU_DEP_1) | instskip(NEXT) | instid1(VALU_DEP_1)
	v_and_or_b32 v56, 0x8000, v58, v56
	v_lshl_or_b32 v1, v1, 7, v56
	s_delay_alu instid0(VALU_DEP_1)
	v_cvt_f32_f16_e32 v56, v1
.LBB312_270:                            ;   in Loop: Header=BB312_13 Depth=1
	s_or_b32 exec_lo, exec_lo, s50
.LBB312_271:                            ;   in Loop: Header=BB312_13 Depth=1
	s_delay_alu instid0(SALU_CYCLE_1)
	s_or_b32 exec_lo, exec_lo, s49
.LBB312_272:                            ;   in Loop: Header=BB312_13 Depth=1
	s_delay_alu instid0(SALU_CYCLE_1)
	s_or_b32 exec_lo, exec_lo, s48
	ds_load_b64 v[58:59], v20
	v_fma_mixlo_f16 v1, v27, v29, 0
	v_fma_mixlo_f16 v28, v27, v28, 0
	;; [unrolled: 1-line block ×5, first 2 shown]
	v_and_b32_e32 v1, 0xffff, v1
	v_and_b32_e32 v28, 0xffff, v28
	v_and_b32_e32 v29, 0xffff, v29
	v_and_b32_e32 v30, 0xffff, v30
	v_and_b32_e32 v33, 0xffff, v33
	v_fma_mixlo_f16 v32, v27, v32, 0
	v_fma_mixlo_f16 v35, v27, v35, 0
	;; [unrolled: 1-line block ×6, first 2 shown]
	v_and_b32_e32 v35, 0xffff, v35
	v_fma_mixlo_f16 v38, v27, v38, 0
	v_fma_mixlo_f16 v41, v27, v41, 0
	s_waitcnt lgkmcnt(0)
	v_and_b32_e32 v31, 0xffff, v58
	v_lshrrev_b32_e32 v58, 16, v58
	v_lshrrev_b32_e32 v60, 16, v59
	v_and_b32_e32 v59, 0xffff, v59
	;;#ASMSTART
	v_cvt_f32_f16 v31, v31;
	;;#ASMEND
	;;#ASMSTART
	v_cvt_f32_f16 v58, v58;
	;;#ASMEND
	;; [unrolled: 3-line block ×8, first 2 shown]
	ds_load_b64 v[28:29], v20 offset:8
	v_and_b32_e32 v37, 0xffff, v37
	v_and_b32_e32 v39, 0xffff, v39
	v_fma_mixlo_f16 v40, v27, v40, 0
	v_fma_mixlo_f16 v43, v27, v43, 0
	;; [unrolled: 1-line block ×3, first 2 shown]
	v_and_b32_e32 v41, 0xffff, v41
	v_fma_mixlo_f16 v45, v27, v45, 0
	v_fma_mixlo_f16 v44, v27, v44, 0
	v_and_b32_e32 v43, 0xffff, v43
	v_fma_mixlo_f16 v47, v27, v47, 0
	v_fma_mixlo_f16 v46, v27, v46, 0
	;; [unrolled: 3-line block ×4, first 2 shown]
	v_and_b32_e32 v49, 0xffff, v49
	v_fma_mixlo_f16 v9, v27, v9, 0
	s_waitcnt lgkmcnt(0)
	v_and_b32_e32 v63, 0xffff, v28
	v_lshrrev_b32_e32 v28, 16, v28
	;;#ASMSTART
	v_cvt_f32_f16 v63, v63;
	;;#ASMEND
	;;#ASMSTART
	v_cvt_f32_f16 v65, v28;
	;;#ASMEND
	;; [unrolled: 3-line block ×3, first 2 shown]
	v_dual_mul_f32 v33, v63, v33 :: v_dual_and_b32 v32, 0xffff, v32
	v_lshrrev_b32_e32 v64, 16, v29
	v_and_b32_e32 v29, 0xffff, v29
	v_and_b32_e32 v51, 0xffff, v51
	s_delay_alu instid0(VALU_DEP_4)
	v_dual_fmac_f32 v33, v31, v1 :: v_dual_and_b32 v34, 0xffff, v34
	;;#ASMSTART
	v_cvt_f32_f16 v32, v32;
	;;#ASMEND
	;;#ASMSTART
	v_cvt_f32_f16 v66, v29;
	;;#ASMEND
	;;#ASMSTART
	v_cvt_f32_f16 v64, v64;
	;;#ASMEND
	;;#ASMSTART
	v_cvt_f32_f16 v35, v35;
	;;#ASMEND
	;;#ASMSTART
	v_cvt_f32_f16 v34, v34;
	;;#ASMEND
	ds_load_b64 v[28:29], v20 offset:16
	v_dual_mul_f32 v35, v66, v35 :: v_dual_and_b32 v36, 0xffff, v36
	v_mul_f32_e32 v32, v65, v32
	v_mul_f32_e32 v34, v64, v34
	v_fma_mixlo_f16 v53, v27, v53, 0
	s_delay_alu instid0(VALU_DEP_4)
	v_fmac_f32_e32 v35, v59, v62
	v_fma_mixlo_f16 v52, v27, v52, 0
	v_fmac_f32_e32 v32, v58, v61
	v_fma_mixlo_f16 v55, v27, v55, 0
	v_fma_mixlo_f16 v54, v27, v54, 0
	v_dual_fmac_f32 v34, v60, v30 :: v_dual_and_b32 v1, 0xffff, v9
	v_fma_mixlo_f16 v83, v27, v10, 0
	v_fma_mixlo_f16 v57, v27, v57, 0
	;; [unrolled: 1-line block ×3, first 2 shown]
	s_waitcnt lgkmcnt(0)
	v_and_b32_e32 v67, 0xffff, v28
	v_lshrrev_b32_e32 v68, 16, v29
	v_lshrrev_b32_e32 v28, 16, v28
	v_and_b32_e32 v29, 0xffff, v29
	;;#ASMSTART
	v_cvt_f32_f16 v67, v67;
	;;#ASMEND
	;;#ASMSTART
	v_cvt_f32_f16 v69, v28;
	;;#ASMEND
	;;#ASMSTART
	v_cvt_f32_f16 v37, v37;
	;;#ASMEND
	;;#ASMSTART
	v_cvt_f32_f16 v36, v36;
	;;#ASMEND
	;;#ASMSTART
	v_cvt_f32_f16 v70, v29;
	;;#ASMEND
	;;#ASMSTART
	v_cvt_f32_f16 v68, v68;
	;;#ASMEND
	;;#ASMSTART
	v_cvt_f32_f16 v39, v39;
	;;#ASMEND
	v_dual_fmac_f32 v35, v70, v39 :: v_dual_and_b32 v38, 0xffff, v38
	;;#ASMSTART
	v_cvt_f32_f16 v38, v38;
	;;#ASMEND
	ds_load_b64 v[28:29], v20 offset:24
	v_dual_fmac_f32 v33, v67, v37 :: v_dual_fmac_f32 v32, v69, v36
	v_dual_fmac_f32 v34, v68, v38 :: v_dual_and_b32 v27, 0xffff, v27
	s_waitcnt lgkmcnt(0)
	v_and_b32_e32 v71, 0xffff, v28
	v_lshrrev_b32_e32 v28, 16, v28
	v_lshrrev_b32_e32 v72, 16, v29
	;;#ASMSTART
	v_cvt_f32_f16 v71, v71;
	;;#ASMEND
	;;#ASMSTART
	v_cvt_f32_f16 v73, v28;
	;;#ASMEND
	;; [unrolled: 3-line block ×3, first 2 shown]
	v_dual_fmac_f32 v33, v71, v41 :: v_dual_and_b32 v40, 0xffff, v40
	v_and_b32_e32 v29, 0xffff, v29
	;;#ASMSTART
	v_cvt_f32_f16 v40, v40;
	;;#ASMEND
	;;#ASMSTART
	v_cvt_f32_f16 v74, v29;
	;;#ASMEND
	;; [unrolled: 3-line block ×4, first 2 shown]
	v_dual_fmac_f32 v35, v74, v43 :: v_dual_and_b32 v42, 0xffff, v42
	;;#ASMSTART
	v_cvt_f32_f16 v42, v42;
	;;#ASMEND
	ds_load_b64 v[28:29], v20 offset:32
	v_fmac_f32_e32 v32, v73, v40
	s_waitcnt lgkmcnt(0)
	v_dual_fmac_f32 v34, v72, v42 :: v_dual_and_b32 v75, 0xffff, v28
	v_lshrrev_b32_e32 v28, 16, v28
	v_lshrrev_b32_e32 v76, 16, v29
	;;#ASMSTART
	v_cvt_f32_f16 v75, v75;
	;;#ASMEND
	;;#ASMSTART
	v_cvt_f32_f16 v77, v28;
	;;#ASMEND
	;;#ASMSTART
	v_cvt_f32_f16 v45, v45;
	;;#ASMEND
	v_dual_fmac_f32 v33, v75, v45 :: v_dual_and_b32 v44, 0xffff, v44
	v_and_b32_e32 v29, 0xffff, v29
	;;#ASMSTART
	v_cvt_f32_f16 v44, v44;
	;;#ASMEND
	;;#ASMSTART
	v_cvt_f32_f16 v78, v29;
	;;#ASMEND
	;; [unrolled: 3-line block ×4, first 2 shown]
	v_dual_fmac_f32 v35, v78, v47 :: v_dual_and_b32 v46, 0xffff, v46
	;;#ASMSTART
	v_cvt_f32_f16 v46, v46;
	;;#ASMEND
	ds_load_b64 v[28:29], v20 offset:40
	v_fmac_f32_e32 v32, v77, v44
	s_waitcnt lgkmcnt(0)
	v_dual_fmac_f32 v34, v76, v46 :: v_dual_and_b32 v79, 0xffff, v28
	v_lshrrev_b32_e32 v28, 16, v28
	v_lshrrev_b32_e32 v80, 16, v29
	;;#ASMSTART
	v_cvt_f32_f16 v79, v79;
	;;#ASMEND
	;;#ASMSTART
	v_cvt_f32_f16 v81, v28;
	;;#ASMEND
	;; [unrolled: 3-line block ×3, first 2 shown]
	v_dual_fmac_f32 v33, v79, v49 :: v_dual_and_b32 v48, 0xffff, v48
	v_and_b32_e32 v29, 0xffff, v29
	;;#ASMSTART
	v_cvt_f32_f16 v48, v48;
	;;#ASMEND
	;;#ASMSTART
	v_cvt_f32_f16 v82, v29;
	;;#ASMEND
	;; [unrolled: 3-line block ×4, first 2 shown]
	v_dual_fmac_f32 v35, v82, v51 :: v_dual_and_b32 v50, 0xffff, v50
	;;#ASMSTART
	v_cvt_f32_f16 v50, v50;
	;;#ASMEND
	ds_load_b64 v[28:29], v20 offset:48
	v_and_b32_e32 v10, 0xffff, v52
	v_fmac_f32_e32 v32, v81, v48
	s_waitcnt lgkmcnt(0)
	v_dual_fmac_f32 v34, v80, v50 :: v_dual_and_b32 v9, 0xffff, v28
	v_lshrrev_b32_e32 v28, 16, v28
	v_lshrrev_b32_e32 v30, 16, v29
	v_and_b32_e32 v29, 0xffff, v29
	;;#ASMSTART
	v_cvt_f32_f16 v31, v9;
	;;#ASMEND
	;;#ASMSTART
	v_cvt_f32_f16 v28, v28;
	;;#ASMEND
	;; [unrolled: 3-line block ×3, first 2 shown]
	v_dual_fmac_f32 v33, v31, v36 :: v_dual_and_b32 v52, 0xffff, v53
	v_and_b32_e32 v53, 0xffff, v55
	v_and_b32_e32 v54, 0xffff, v54
	;;#ASMSTART
	v_cvt_f32_f16 v37, v52;
	;;#ASMEND
	;;#ASMSTART
	v_cvt_f32_f16 v29, v29;
	;;#ASMEND
	;; [unrolled: 3-line block ×5, first 2 shown]
	ds_load_b64 v[9:10], v20 offset:56
	v_dual_fmac_f32 v32, v28, v37 :: v_dual_fmac_f32 v35, v29, v39
	v_and_b32_e32 v38, 0xffff, v83
	v_fmac_f32_e32 v34, v30, v52
	s_waitcnt lgkmcnt(0)
	v_and_b32_e32 v28, 0xffff, v9
	v_lshrrev_b32_e32 v9, 16, v9
	v_lshrrev_b32_e32 v29, 16, v10
	v_and_b32_e32 v10, 0xffff, v10
	;;#ASMSTART
	v_cvt_f32_f16 v28, v28;
	;;#ASMEND
	;;#ASMSTART
	v_cvt_f32_f16 v9, v9;
	;;#ASMEND
	;; [unrolled: 3-line block ×4, first 2 shown]
	v_dual_fmac_f32 v33, v28, v1 :: v_dual_fmac_f32 v32, v9, v30
	v_and_b32_e32 v40, 0xffff, v57
	;;#ASMSTART
	v_cvt_f32_f16 v1, v10;
	;;#ASMEND
	;;#ASMSTART
	v_cvt_f32_f16 v9, v29;
	;;#ASMEND
	;; [unrolled: 3-line block ×3, first 2 shown]
	v_fmac_f32_e32 v35, v1, v10
	v_add_f32_e32 v1, v33, v32
	v_xor_b32_e32 v10, 1, v12
	;;#ASMSTART
	v_cvt_f32_f16 v27, v27;
	;;#ASMEND
	v_fmac_f32_e32 v34, v9, v27
	s_delay_alu instid0(VALU_DEP_3) | instskip(NEXT) | instid1(VALU_DEP_3)
	v_add_f32_e32 v1, v1, v35
	v_cmp_gt_i32_e64 s1, 32, v10
	s_delay_alu instid0(VALU_DEP_2) | instskip(NEXT) | instid1(VALU_DEP_2)
	v_add_f32_e32 v1, v34, v1
	v_cndmask_b32_e64 v9, v12, v10, s1
	s_delay_alu instid0(VALU_DEP_1)
	v_lshlrev_b32_e32 v9, 2, v9
	ds_bpermute_b32 v9, v9, v1
	s_and_saveexec_b32 s48, vcc_lo
	s_cbranch_execz .LBB312_11
; %bb.273:                              ;   in Loop: Header=BB312_13 Depth=1
	v_add_nc_u32_e32 v10, v23, v21
	s_waitcnt lgkmcnt(0)
	v_add_f32_e32 v1, v1, v9
	s_delay_alu instid0(VALU_DEP_2) | instskip(NEXT) | instid1(VALU_DEP_1)
	v_cvt_f32_i32_e32 v10, v10
	v_mul_f32_e32 v10, s41, v10
	s_delay_alu instid0(VALU_DEP_1) | instskip(SKIP_1) | instid1(VALU_DEP_2)
	v_cndmask_b32_e64 v9, 0, v10, s0
	v_max_f32_e32 v10, v13, v13
	v_fmac_f32_e32 v9, s39, v1
	v_add_nc_u32_e32 v1, v14, v21
	s_delay_alu instid0(VALU_DEP_2) | instskip(NEXT) | instid1(VALU_DEP_2)
	v_max_f32_e32 v10, v10, v9
	v_cmp_gt_i32_e64 s1, s33, v1
	s_delay_alu instid0(VALU_DEP_1) | instskip(NEXT) | instid1(VALU_DEP_3)
	v_cndmask_b32_e64 v1, 0, v9, s1
	v_cndmask_b32_e64 v13, v13, v10, s1
	ds_store_b32 v24, v1
	s_branch .LBB312_11
.LBB312_274:
	s_or_b32 exec_lo, exec_lo, s46
.LBB312_275:
	s_delay_alu instid0(SALU_CYCLE_1)
	s_or_b32 exec_lo, exec_lo, s43
	v_xor_b32_e32 v1, 16, v12
	v_xor_b32_e32 v2, 8, v12
	v_and_b32_e32 v20, 31, v0
	s_waitcnt lgkmcnt(0)
	v_lshlrev_b32_e32 v9, 2, v18
	v_cmp_gt_i32_e32 vcc_lo, 32, v1
	v_cndmask_b32_e32 v1, v12, v1, vcc_lo
	v_cmp_gt_i32_e32 vcc_lo, 32, v2
	s_delay_alu instid0(VALU_DEP_2)
	v_dual_cndmask_b32 v2, v12, v2 :: v_dual_lshlrev_b32 v3, 2, v1
	v_max_f32_e32 v4, v13, v13
	ds_bpermute_b32 v1, v3, v13
	v_lshlrev_b32_e32 v7, 2, v2
	s_waitcnt lgkmcnt(0)
	v_max_f32_e32 v1, v1, v1
	s_delay_alu instid0(VALU_DEP_1) | instskip(SKIP_1) | instid1(VALU_DEP_1)
	v_max_f32_e32 v1, v4, v1
	v_xor_b32_e32 v4, 4, v12
	v_cmp_gt_i32_e32 vcc_lo, 32, v4
	v_cndmask_b32_e32 v4, v12, v4, vcc_lo
	s_delay_alu instid0(VALU_DEP_1) | instskip(SKIP_2) | instid1(VALU_DEP_1)
	v_lshlrev_b32_e32 v8, 2, v4
	ds_bpermute_b32 v2, v7, v1
	v_xor_b32_e32 v4, 2, v12
	v_cmp_gt_i32_e32 vcc_lo, 32, v4
	v_cndmask_b32_e32 v4, v12, v4, vcc_lo
	v_cmp_eq_u32_e32 vcc_lo, 0, v20
	s_waitcnt lgkmcnt(0)
	v_max_f32_e32 v2, v2, v2
	s_delay_alu instid0(VALU_DEP_1) | instskip(SKIP_3) | instid1(VALU_DEP_1)
	v_max_f32_e32 v1, v1, v2
	ds_bpermute_b32 v2, v8, v1
	s_waitcnt lgkmcnt(0)
	v_max_f32_e32 v2, v2, v2
	v_dual_max_f32 v1, v1, v2 :: v_dual_lshlrev_b32 v2, 2, v4
	ds_bpermute_b32 v4, v2, v1
	s_and_saveexec_b32 s0, vcc_lo
	s_cbranch_execz .LBB312_277
; %bb.276:
	s_waitcnt lgkmcnt(0)
	v_dual_max_f32 v4, v4, v4 :: v_dual_max_f32 v1, v1, v1
	s_delay_alu instid0(VALU_DEP_1)
	v_max_f32_e32 v1, v1, v4
	ds_store_b32 v9, v1 offset:128
.LBB312_277:
	s_or_b32 exec_lo, exec_lo, s0
	v_cmp_gt_u32_e64 s0, 4, v20
	v_dual_mov_b32 v1, 0xff7fffff :: v_dual_lshlrev_b32 v10, 2, v20
	s_waitcnt lgkmcnt(0)
	s_barrier
	buffer_gl0_inv
	s_and_saveexec_b32 s1, s0
	s_cbranch_execz .LBB312_279
; %bb.278:
	ds_load_b32 v1, v10 offset:128
.LBB312_279:
	s_or_b32 exec_lo, exec_lo, s1
	s_waitcnt lgkmcnt(0)
	ds_bpermute_b32 v4, v2, v1
	v_xor_b32_e32 v13, 1, v12
	v_max_f32_e32 v1, v1, v1
	s_delay_alu instid0(VALU_DEP_2) | instskip(NEXT) | instid1(VALU_DEP_1)
	v_cmp_gt_i32_e64 s1, 32, v13
	v_cndmask_b32_e64 v12, v12, v13, s1
	s_sub_i32 s1, s16, s42
	s_delay_alu instid0(SALU_CYCLE_1) | instskip(NEXT) | instid1(VALU_DEP_1)
	s_lshl_b32 s1, s1, 4
	v_dual_mov_b32 v12, 0 :: v_dual_lshlrev_b32 v21, 2, v12
	s_add_i32 s1, s1, s25
	s_delay_alu instid0(SALU_CYCLE_1) | instskip(SKIP_3) | instid1(SALU_CYCLE_1)
	s_min_i32 s1, s1, s33
	s_waitcnt lgkmcnt(0)
	v_max_f32_e32 v4, v4, v4
	s_sub_i32 s4, s1, s25
	v_cmp_gt_i32_e64 s1, s4, v0
	s_delay_alu instid0(VALU_DEP_2) | instskip(SKIP_3) | instid1(VALU_DEP_1)
	v_max_f32_e32 v1, v1, v4
	ds_bpermute_b32 v4, v21, v1
	s_waitcnt lgkmcnt(0)
	v_max_f32_e32 v4, v4, v4
	v_max_f32_e32 v1, v1, v4
	v_lshl_add_u32 v4, v0, 2, 0xa0
	ds_bpermute_b32 v1, v12, v1
	s_and_saveexec_b32 s5, s1
	s_cbranch_execz .LBB312_283
; %bb.280:
	v_lshl_add_u32 v13, v0, 2, 0xa0
	v_mov_b32_e32 v12, 0
	v_mov_b32_e32 v14, v0
	s_mov_b32 s25, 0
	.p2align	6
.LBB312_281:                            ; =>This Inner Loop Header: Depth=1
	ds_load_b32 v15, v13
	v_add_nc_u32_e32 v14, 0x80, v14
	s_delay_alu instid0(VALU_DEP_1) | instskip(NEXT) | instid1(VALU_DEP_1)
	v_cmp_le_i32_e64 s3, s4, v14
	s_or_b32 s25, s3, s25
	s_waitcnt lgkmcnt(0)
	v_sub_f32_e32 v15, v15, v1
	s_delay_alu instid0(VALU_DEP_1) | instskip(NEXT) | instid1(VALU_DEP_1)
	v_mul_f32_e32 v15, 0x3fb8aa3b, v15
	v_exp_f32_e32 v15, v15
	ds_store_b32 v13, v15
	v_dual_add_f32 v12, v12, v15 :: v_dual_add_nc_u32 v13, 0x200, v13
	s_and_not1_b32 exec_lo, exec_lo, s25
	s_cbranch_execnz .LBB312_281
; %bb.282:
	s_or_b32 exec_lo, exec_lo, s25
.LBB312_283:
	s_delay_alu instid0(SALU_CYCLE_1)
	s_or_b32 exec_lo, exec_lo, s5
	ds_bpermute_b32 v3, v3, v12
	s_waitcnt lgkmcnt(0)
	v_add_f32_e32 v3, v12, v3
	ds_bpermute_b32 v7, v7, v3
	s_waitcnt lgkmcnt(0)
	v_add_f32_e32 v3, v3, v7
	;; [unrolled: 3-line block ×5, first 2 shown]
	s_and_saveexec_b32 s3, vcc_lo
	s_cbranch_execz .LBB312_285
; %bb.284:
	ds_store_b32 v9, v3 offset:144
.LBB312_285:
	s_or_b32 exec_lo, exec_lo, s3
	s_waitcnt lgkmcnt(0)
	s_barrier
	buffer_gl0_inv
	s_and_saveexec_b32 s3, s0
	s_cbranch_execz .LBB312_287
; %bb.286:
	ds_load_b32 v3, v10 offset:144
.LBB312_287:
	s_or_b32 exec_lo, exec_lo, s3
	s_waitcnt lgkmcnt(0)
	ds_bpermute_b32 v2, v2, v3
	s_waitcnt lgkmcnt(0)
	v_add_f32_e32 v2, v3, v2
	ds_bpermute_b32 v3, v21, v2
	s_waitcnt lgkmcnt(0)
	v_dual_add_f32 v2, v2, v3 :: v_dual_mov_b32 v3, 0
	ds_bpermute_b32 v2, v3, v2
	s_and_saveexec_b32 s0, s1
	s_cbranch_execz .LBB312_290
; %bb.288:
	s_waitcnt lgkmcnt(0)
	v_add_f32_e32 v3, 0x358637bd, v2
	s_mov_b32 s1, 0
	s_delay_alu instid0(VALU_DEP_1) | instskip(NEXT) | instid1(VALU_DEP_1)
	v_div_scale_f32 v7, null, v3, v3, 1.0
	v_rcp_f32_e32 v8, v7
	s_waitcnt_depctr 0xfff
	v_fma_f32 v9, -v7, v8, 1.0
	s_delay_alu instid0(VALU_DEP_1) | instskip(SKIP_1) | instid1(VALU_DEP_1)
	v_fmac_f32_e32 v8, v9, v8
	v_div_scale_f32 v10, vcc_lo, 1.0, v3, 1.0
	v_mul_f32_e32 v9, v10, v8
	s_delay_alu instid0(VALU_DEP_1) | instskip(NEXT) | instid1(VALU_DEP_1)
	v_fma_f32 v12, -v7, v9, v10
	v_fmac_f32_e32 v9, v12, v8
	s_delay_alu instid0(VALU_DEP_1) | instskip(NEXT) | instid1(VALU_DEP_1)
	v_fma_f32 v7, -v7, v9, v10
	v_div_fmas_f32 v7, v7, v8, v9
	s_delay_alu instid0(VALU_DEP_1)
	v_div_fixup_f32 v3, v7, v3, 1.0
	v_mov_b32_e32 v7, v0
.LBB312_289:                            ; =>This Inner Loop Header: Depth=1
	ds_load_b32 v8, v4
	s_waitcnt lgkmcnt(0)
	v_dual_mul_f32 v8, v3, v8 :: v_dual_add_nc_u32 v7, 0x80, v7
	s_delay_alu instid0(VALU_DEP_1) | instskip(SKIP_3) | instid1(SALU_CYCLE_1)
	v_cmp_le_i32_e32 vcc_lo, s4, v7
	ds_store_b32 v4, v8
	v_add_nc_u32_e32 v4, 0x200, v4
	s_or_b32 s1, vcc_lo, s1
	s_and_not1_b32 exec_lo, exec_lo, s1
	s_cbranch_execnz .LBB312_289
.LBB312_290:
	s_or_b32 exec_lo, exec_lo, s0
	s_mul_i32 s0, s8, s14
	s_waitcnt lgkmcnt(0)
	s_mul_i32 s4, s0, s15
	s_mov_b32 s0, exec_lo
	s_barrier
	buffer_gl0_inv
	v_cmpx_eq_u32_e32 0, v0
	s_cbranch_execz .LBB312_292
; %bb.291:
	s_ashr_i32 s5, s4, 31
	s_mul_i32 s42, s8, s12
	s_lshl_b64 s[14:15], s[4:5], 2
	v_mov_b32_e32 v3, 0
	s_add_u32 s1, s22, s14
	s_addc_u32 s3, s23, s15
	s_ashr_i32 s43, s42, 31
	s_delay_alu instid0(SALU_CYCLE_1) | instskip(NEXT) | instid1(SALU_CYCLE_1)
	s_lshl_b64 s[22:23], s[42:43], 2
	s_add_u32 s1, s1, s22
	s_addc_u32 s3, s3, s23
	s_ashr_i32 s25, s24, 31
	s_delay_alu instid0(SALU_CYCLE_1) | instskip(NEXT) | instid1(SALU_CYCLE_1)
	s_lshl_b64 s[42:43], s[24:25], 2
	s_add_u32 s44, s1, s42
	s_addc_u32 s45, s3, s43
	s_add_u32 s1, s20, s14
	s_addc_u32 s3, s21, s15
	;; [unrolled: 2-line block ×4, first 2 shown]
	s_clause 0x1
	global_store_b32 v3, v1, s[44:45]
	global_store_b32 v3, v2, s[14:15]
.LBB312_292:
	s_or_b32 exec_lo, exec_lo, s0
	v_dual_mov_b32 v4, 0 :: v_dual_mov_b32 v3, 0
	v_dual_mov_b32 v2, 0 :: v_dual_mov_b32 v1, 0
	s_mov_b32 s12, 0
	s_and_saveexec_b32 s1, s2
	s_cbranch_execz .LBB312_546
; %bb.293:
	s_sub_i32 s5, s13, s17
	s_ashr_i32 s0, s10, 31
	s_add_u32 s17, s36, s10
	s_addc_u32 s0, s37, s0
	s_abs_i32 s10, s18
	s_mov_b32 s13, s12
	v_cvt_f32_u32_e32 v1, s10
	s_mov_b32 s14, s12
	s_mov_b32 s15, s12
	v_and_b32_e32 v7, 0xf8, v11
	s_sub_i32 s18, 0, s10
	v_rcp_iflag_f32_e32 v1, v1
	v_and_b32_e32 v22, 8, v11
	v_lshlrev_b32_e32 v10, 5, v17
	v_lshlrev_b64 v[8:9], 2, v[5:6]
	s_lshl_b64 s[20:21], s[34:35], 2
	s_add_i32 s38, s38, -1
	s_mov_b32 s2, -1
	s_mov_b32 s3, 0xffffff
	s_waitcnt_depctr 0xfff
	v_mul_f32_e32 v1, 0x4f7ffffe, v1
	s_delay_alu instid0(VALU_DEP_1) | instskip(SKIP_2) | instid1(VALU_DEP_3)
	v_cvt_u32_f32_e32 v11, v1
	v_dual_mov_b32 v1, s12 :: v_dual_mov_b32 v2, s13
	v_dual_mov_b32 v3, s14 :: v_dual_mov_b32 v4, s15
	v_mul_lo_u32 v12, s18, v11
	v_add_co_u32 v6, s13, s17, v7
	v_lshl_or_b32 v10, v18, 6, v10
	v_add_co_ci_u32_e64 v7, null, s0, 0, s13
	s_add_u32 s0, s30, s20
	s_addc_u32 s13, s31, s21
	s_delay_alu instid0(VALU_DEP_4) | instskip(SKIP_4) | instid1(VALU_DEP_4)
	v_mul_hi_u32 v12, v11, v12
	v_add_co_u32 v8, vcc_lo, s0, v8
	v_add_co_ci_u32_e32 v9, vcc_lo, s13, v9, vcc_lo
	v_add_nc_u32_e32 v23, 0xa0, v10
	s_mov_b32 s13, s33
	v_dual_mov_b32 v11, 0 :: v_dual_add_nc_u32 v24, v11, v12
	s_branch .LBB312_296
.LBB312_294:                            ;   in Loop: Header=BB312_296 Depth=1
	s_or_b32 exec_lo, exec_lo, s0
	;;#ASMSTART
	v_pk_mul_f16 v25, v38, v42;

	;;#ASMEND
	;;#ASMSTART
	v_pk_mul_f16 v13, v37, v13;

	;;#ASMEND
	;; [unrolled: 4-line block ×4, first 2 shown]
	;;#ASMSTART
	v_pk_add_f16 v13, v25, v13;

	;;#ASMEND
	;;#ASMSTART
	v_pk_add_f16 v10, v13, v10;

	;;#ASMEND
	;; [unrolled: 4-line block ×3, first 2 shown]
	v_dual_add_f32 v25, v39, v40 :: v_dual_and_b32 v12, 0xffff, v10
	v_lshrrev_b32_e32 v10, 16, v10
	;;#ASMSTART
	v_cvt_f32_f16 v12, v12;
	;;#ASMEND
	;;#ASMSTART
	v_cvt_f32_f16 v10, v10;
	;;#ASMEND
	v_dual_add_f32 v13, v33, v34 :: v_dual_add_f32 v14, v14, v15
	s_delay_alu instid0(VALU_DEP_2) | instskip(SKIP_1) | instid1(VALU_DEP_3)
	v_add_f32_e32 v10, v12, v10
	v_add_f32_e32 v2, v2, v25
	;; [unrolled: 1-line block ×3, first 2 shown]
	s_delay_alu instid0(VALU_DEP_4) | instskip(NEXT) | instid1(VALU_DEP_4)
	v_add_f32_e32 v3, v3, v14
	v_add_f32_e32 v4, v4, v10
.LBB312_295:                            ;   in Loop: Header=BB312_296 Depth=1
	s_or_b32 exec_lo, exec_lo, s14
	v_add_nc_u32_e32 v5, 4, v5
	v_add_co_u32 v8, s0, v8, 16
	s_delay_alu instid0(VALU_DEP_1) | instskip(NEXT) | instid1(VALU_DEP_3)
	v_add_co_ci_u32_e64 v9, s0, 0, v9, s0
	v_cmp_le_i32_e32 vcc_lo, s16, v5
	v_add_nc_u32_e32 v19, 64, v19
	v_add_nc_u32_e32 v23, 0x100, v23
	s_or_b32 s12, vcc_lo, s12
	s_delay_alu instid0(SALU_CYCLE_1)
	s_and_not1_b32 exec_lo, exec_lo, s12
	s_cbranch_execz .LBB312_545
.LBB312_296:                            ; =>This Inner Loop Header: Depth=1
	v_sub_nc_u32_e32 v10, 0, v19
	s_delay_alu instid0(VALU_DEP_1) | instskip(NEXT) | instid1(VALU_DEP_1)
	v_max_i32_e32 v10, v19, v10
	v_mul_hi_u32 v12, v10, s27
	s_delay_alu instid0(VALU_DEP_1) | instskip(NEXT) | instid1(VALU_DEP_1)
	v_mul_lo_u32 v13, v12, s11
	v_sub_nc_u32_e32 v10, v10, v13
	s_delay_alu instid0(VALU_DEP_1) | instskip(SKIP_1) | instid1(VALU_DEP_2)
	v_subrev_nc_u32_e32 v14, s11, v10
	v_cmp_le_u32_e32 vcc_lo, s11, v10
	v_dual_cndmask_b32 v10, v10, v14 :: v_dual_add_nc_u32 v13, 1, v12
	s_delay_alu instid0(VALU_DEP_1) | instskip(SKIP_1) | instid1(VALU_DEP_3)
	v_cndmask_b32_e32 v12, v12, v13, vcc_lo
	v_ashrrev_i32_e32 v13, 31, v19
	v_cmp_le_u32_e32 vcc_lo, s11, v10
	s_delay_alu instid0(VALU_DEP_3) | instskip(NEXT) | instid1(VALU_DEP_3)
	v_add_nc_u32_e32 v14, 1, v12
	v_xor_b32_e32 v13, s19, v13
	s_delay_alu instid0(VALU_DEP_2) | instskip(NEXT) | instid1(VALU_DEP_1)
	v_cndmask_b32_e32 v10, v12, v14, vcc_lo
	v_xor_b32_e32 v10, v10, v13
	s_delay_alu instid0(VALU_DEP_1) | instskip(NEXT) | instid1(VALU_DEP_1)
	v_sub_nc_u32_e32 v10, v10, v13
	v_add_nc_u32_e32 v12, s40, v10
	v_cmp_lt_i32_e64 s0, s5, v10
	s_delay_alu instid0(VALU_DEP_2) | instskip(NEXT) | instid1(VALU_DEP_1)
	v_sub_nc_u32_e32 v13, 0, v12
	v_max_i32_e32 v13, v12, v13
	v_ashrrev_i32_e32 v12, 31, v12
	s_delay_alu instid0(VALU_DEP_2) | instskip(NEXT) | instid1(VALU_DEP_1)
	v_mul_hi_u32 v14, v13, v24
	v_mul_lo_u32 v14, v14, s10
	s_delay_alu instid0(VALU_DEP_1) | instskip(NEXT) | instid1(VALU_DEP_1)
	v_sub_nc_u32_e32 v13, v13, v14
	v_subrev_nc_u32_e32 v14, s10, v13
	v_cmp_le_u32_e32 vcc_lo, s10, v13
	s_delay_alu instid0(VALU_DEP_2) | instskip(NEXT) | instid1(VALU_DEP_1)
	v_cndmask_b32_e32 v13, v13, v14, vcc_lo
	v_subrev_nc_u32_e32 v14, s10, v13
	v_cmp_le_u32_e32 vcc_lo, s10, v13
	s_delay_alu instid0(VALU_DEP_2) | instskip(NEXT) | instid1(VALU_DEP_1)
	v_cndmask_b32_e32 v13, v13, v14, vcc_lo
	v_xor_b32_e32 v13, v13, v12
	s_delay_alu instid0(VALU_DEP_1) | instskip(NEXT) | instid1(VALU_DEP_1)
	v_sub_nc_u32_e32 v12, v13, v12
	v_cmp_eq_u32_e32 vcc_lo, 0, v12
	s_or_b32 s0, vcc_lo, s0
	s_delay_alu instid0(SALU_CYCLE_1)
	s_and_saveexec_b32 s14, s0
	s_cbranch_execz .LBB312_295
; %bb.297:                              ;   in Loop: Header=BB312_296 Depth=1
	global_load_b32 v10, v[8:9], off
	ds_load_2addr_b64 v[25:28], v23 offset1:1
	ds_load_2addr_b64 v[29:32], v23 offset0:2 offset1:3
	s_mov_b32 s0, exec_lo
	s_waitcnt lgkmcnt(1)
	;;#ASMSTART
	v_cvt_f16_f32 v33, v25;

	;;#ASMEND
	;;#ASMSTART
	v_cvt_f16_f32 v34, v26;

	;;#ASMEND
	;; [unrolled: 4-line block ×4, first 2 shown]
	s_waitcnt lgkmcnt(0)
	;;#ASMSTART
	v_cvt_f16_f32 v38, v29;

	;;#ASMEND
	;;#ASMSTART
	v_cvt_f16_f32 v36, v30;

	;;#ASMEND
	;; [unrolled: 4-line block ×4, first 2 shown]
	v_mov_b32_e32 v27, 0
	v_mov_b32_e32 v25, 0
	s_waitcnt vmcnt(0)
	v_mad_i64_i32 v[12:13], null, v10, s9, v[6:7]
	global_load_b64 v[14:15], v[12:13], off
	global_load_b32 v26, v11, s[6:7]
	s_waitcnt vmcnt(1)
	v_and_b32_e32 v10, 0xff, v14
	s_delay_alu instid0(VALU_DEP_1)
	v_cmpx_ne_u16_e32 0, v10
	s_cbranch_execz .LBB312_303
; %bb.298:                              ;   in Loop: Header=BB312_296 Depth=1
	v_bfrev_b32_e32 v27, 1
	s_mov_b32 s15, exec_lo
	v_cmpx_ne_u16_e32 0x80, v10
	s_cbranch_execz .LBB312_302
; %bb.299:                              ;   in Loop: Header=BB312_296 Depth=1
	v_and_b32_e32 v10, 0x7f, v14
	v_mov_b32_e32 v27, 0x7fc02000
	s_mov_b32 s17, exec_lo
	s_delay_alu instid0(VALU_DEP_2)
	v_cmpx_ne_u32_e32 0x7f, v10
	s_cbranch_execz .LBB312_301
; %bb.300:                              ;   in Loop: Header=BB312_296 Depth=1
	v_cmp_gt_u32_e32 vcc_lo, 8, v10
	v_and_b32_e32 v27, 7, v14
	v_lshrrev_b32_e32 v28, 3, v10
	s_delay_alu instid0(VALU_DEP_2) | instskip(NEXT) | instid1(VALU_DEP_1)
	v_clz_i32_u32_e32 v27, v27
	v_min_u32_e32 v27, 32, v27
	s_delay_alu instid0(VALU_DEP_1) | instskip(SKIP_1) | instid1(VALU_DEP_1)
	v_subrev_nc_u32_e32 v29, 28, v27
	v_sub_nc_u32_e32 v27, 29, v27
	v_dual_cndmask_b32 v10, 0, v29 :: v_dual_cndmask_b32 v29, v28, v27
	s_delay_alu instid0(VALU_DEP_1) | instskip(SKIP_1) | instid1(VALU_DEP_3)
	v_lshlrev_b64 v[27:28], v10, v[14:15]
	v_lshlrev_b32_e32 v10, 8, v14
	v_lshl_add_u32 v28, v29, 10, 0x2000
	s_delay_alu instid0(VALU_DEP_3) | instskip(NEXT) | instid1(VALU_DEP_2)
	v_lshlrev_b32_e32 v27, 7, v27
	v_and_or_b32 v10, 0x8000, v10, v28
	s_delay_alu instid0(VALU_DEP_1) | instskip(NEXT) | instid1(VALU_DEP_1)
	v_and_or_b32 v10, 0x380, v27, v10
	v_cvt_f32_f16_e32 v27, v10
.LBB312_301:                            ;   in Loop: Header=BB312_296 Depth=1
	s_or_b32 exec_lo, exec_lo, s17
.LBB312_302:                            ;   in Loop: Header=BB312_296 Depth=1
	s_delay_alu instid0(SALU_CYCLE_1)
	s_or_b32 exec_lo, exec_lo, s15
.LBB312_303:                            ;   in Loop: Header=BB312_296 Depth=1
	s_delay_alu instid0(SALU_CYCLE_1) | instskip(SKIP_2) | instid1(VALU_DEP_1)
	s_or_b32 exec_lo, exec_lo, s0
	v_lshrrev_b16 v10, 8, v14
	s_mov_b32 s0, exec_lo
	v_cmpx_ne_u16_e32 0, v10
	s_cbranch_execz .LBB312_311
; %bb.304:                              ;   in Loop: Header=BB312_296 Depth=1
	v_bfrev_b32_e32 v25, 1
	s_mov_b32 s15, exec_lo
	v_cmpx_ne_u16_e32 0x80, v10
	s_cbranch_execz .LBB312_310
; %bb.305:                              ;   in Loop: Header=BB312_296 Depth=1
	v_and_b32_e32 v28, 0xffff, v10
	v_mov_b32_e32 v25, 0x7fc02000
	s_mov_b32 s17, exec_lo
	s_delay_alu instid0(VALU_DEP_2) | instskip(NEXT) | instid1(VALU_DEP_1)
	v_and_b32_e32 v29, 0x7f, v28
	v_cmpx_ne_u32_e32 0x7f, v29
	s_cbranch_execz .LBB312_309
; %bb.306:                              ;   in Loop: Header=BB312_296 Depth=1
	v_and_b32_e32 v10, 7, v28
	v_lshrrev_b32_e32 v25, 3, v29
	s_mov_b32 s18, exec_lo
	v_cmpx_gt_u32_e32 8, v29
; %bb.307:                              ;   in Loop: Header=BB312_296 Depth=1
	s_delay_alu instid0(VALU_DEP_3) | instskip(NEXT) | instid1(VALU_DEP_1)
	v_clz_i32_u32_e32 v25, v10
	v_min_u32_e32 v25, 32, v25
	s_delay_alu instid0(VALU_DEP_1) | instskip(SKIP_1) | instid1(VALU_DEP_2)
	v_subrev_nc_u32_e32 v29, 28, v25
	v_sub_nc_u32_e32 v25, 29, v25
	v_lshlrev_b64 v[29:30], v29, v[10:11]
	s_delay_alu instid0(VALU_DEP_1)
	v_and_b32_e32 v10, 7, v29
; %bb.308:                              ;   in Loop: Header=BB312_296 Depth=1
	s_or_b32 exec_lo, exec_lo, s18
	v_lshlrev_b32_e32 v28, 8, v28
	v_lshl_add_u32 v25, v25, 10, 0x2000
	s_delay_alu instid0(VALU_DEP_1) | instskip(NEXT) | instid1(VALU_DEP_1)
	v_and_or_b32 v25, 0x8000, v28, v25
	v_lshl_or_b32 v10, v10, 7, v25
	s_delay_alu instid0(VALU_DEP_1)
	v_cvt_f32_f16_e32 v25, v10
.LBB312_309:                            ;   in Loop: Header=BB312_296 Depth=1
	s_or_b32 exec_lo, exec_lo, s17
.LBB312_310:                            ;   in Loop: Header=BB312_296 Depth=1
	s_delay_alu instid0(SALU_CYCLE_1)
	s_or_b32 exec_lo, exec_lo, s15
.LBB312_311:                            ;   in Loop: Header=BB312_296 Depth=1
	s_delay_alu instid0(SALU_CYCLE_1) | instskip(SKIP_3) | instid1(VALU_DEP_2)
	s_or_b32 exec_lo, exec_lo, s0
	v_lshrrev_b32_e32 v30, 16, v14
	v_mov_b32_e32 v28, 0
	s_mov_b32 s0, exec_lo
	v_dual_mov_b32 v29, 0 :: v_dual_and_b32 v10, 0xff, v30
	s_delay_alu instid0(VALU_DEP_1)
	v_cmpx_ne_u16_e32 0, v10
	s_cbranch_execz .LBB312_319
; %bb.312:                              ;   in Loop: Header=BB312_296 Depth=1
	v_bfrev_b32_e32 v28, 1
	s_mov_b32 s15, exec_lo
	v_cmpx_ne_u16_e32 0x80, v10
	s_cbranch_execz .LBB312_318
; %bb.313:                              ;   in Loop: Header=BB312_296 Depth=1
	v_bfe_u32 v31, v14, 16, 7
	v_mov_b32_e32 v28, 0x7fc02000
	s_mov_b32 s17, exec_lo
	s_delay_alu instid0(VALU_DEP_2)
	v_cmpx_ne_u32_e32 0x7f, v31
	s_cbranch_execz .LBB312_317
; %bb.314:                              ;   in Loop: Header=BB312_296 Depth=1
	v_and_b32_e32 v10, 7, v30
	v_lshrrev_b32_e32 v28, 3, v31
	s_mov_b32 s18, exec_lo
	v_cmpx_gt_u32_e32 8, v31
; %bb.315:                              ;   in Loop: Header=BB312_296 Depth=1
	s_delay_alu instid0(VALU_DEP_3) | instskip(NEXT) | instid1(VALU_DEP_1)
	v_clz_i32_u32_e32 v28, v10
	v_min_u32_e32 v28, 32, v28
	s_delay_alu instid0(VALU_DEP_1) | instskip(SKIP_1) | instid1(VALU_DEP_2)
	v_subrev_nc_u32_e32 v31, 28, v28
	v_sub_nc_u32_e32 v28, 29, v28
	v_lshlrev_b64 v[31:32], v31, v[10:11]
	s_delay_alu instid0(VALU_DEP_1)
	v_and_b32_e32 v10, 7, v31
; %bb.316:                              ;   in Loop: Header=BB312_296 Depth=1
	s_or_b32 exec_lo, exec_lo, s18
	v_lshlrev_b32_e32 v30, 8, v30
	v_lshl_add_u32 v28, v28, 10, 0x2000
	s_delay_alu instid0(VALU_DEP_1) | instskip(NEXT) | instid1(VALU_DEP_1)
	v_and_or_b32 v28, 0x8000, v30, v28
	v_lshl_or_b32 v10, v10, 7, v28
	s_delay_alu instid0(VALU_DEP_1)
	v_cvt_f32_f16_e32 v28, v10
.LBB312_317:                            ;   in Loop: Header=BB312_296 Depth=1
	s_or_b32 exec_lo, exec_lo, s17
.LBB312_318:                            ;   in Loop: Header=BB312_296 Depth=1
	s_delay_alu instid0(SALU_CYCLE_1)
	s_or_b32 exec_lo, exec_lo, s15
.LBB312_319:                            ;   in Loop: Header=BB312_296 Depth=1
	s_delay_alu instid0(SALU_CYCLE_1) | instskip(NEXT) | instid1(SALU_CYCLE_1)
	s_or_b32 exec_lo, exec_lo, s0
	s_mov_b32 s0, exec_lo
	v_cmpx_lt_u32_e32 0xffffff, v14
	s_cbranch_execz .LBB312_327
; %bb.320:                              ;   in Loop: Header=BB312_296 Depth=1
	v_lshrrev_b32_e32 v30, 24, v14
	v_bfrev_b32_e32 v29, 1
	s_mov_b32 s15, exec_lo
	s_delay_alu instid0(VALU_DEP_2)
	v_cmpx_ne_u32_e32 0x80, v30
	s_cbranch_execz .LBB312_326
; %bb.321:                              ;   in Loop: Header=BB312_296 Depth=1
	v_and_b32_e32 v31, 0x7f, v30
	v_mov_b32_e32 v29, 0x7fc02000
	s_mov_b32 s17, exec_lo
	s_delay_alu instid0(VALU_DEP_2)
	v_cmpx_ne_u32_e32 0x7f, v31
	s_cbranch_execz .LBB312_325
; %bb.322:                              ;   in Loop: Header=BB312_296 Depth=1
	v_and_b32_e32 v10, 7, v30
	v_lshrrev_b32_e32 v29, 3, v31
	s_mov_b32 s18, exec_lo
	v_cmpx_gt_u32_e32 8, v31
; %bb.323:                              ;   in Loop: Header=BB312_296 Depth=1
	s_delay_alu instid0(VALU_DEP_3) | instskip(NEXT) | instid1(VALU_DEP_1)
	v_clz_i32_u32_e32 v29, v10
	v_min_u32_e32 v29, 32, v29
	s_delay_alu instid0(VALU_DEP_1) | instskip(SKIP_1) | instid1(VALU_DEP_2)
	v_subrev_nc_u32_e32 v31, 28, v29
	v_sub_nc_u32_e32 v29, 29, v29
	v_lshlrev_b64 v[31:32], v31, v[10:11]
	s_delay_alu instid0(VALU_DEP_1)
	v_and_b32_e32 v10, 7, v31
; %bb.324:                              ;   in Loop: Header=BB312_296 Depth=1
	s_or_b32 exec_lo, exec_lo, s18
	v_lshlrev_b32_e32 v30, 8, v30
	v_lshl_add_u32 v29, v29, 10, 0x2000
	s_delay_alu instid0(VALU_DEP_1) | instskip(NEXT) | instid1(VALU_DEP_1)
	v_and_or_b32 v29, 0x8000, v30, v29
	v_lshl_or_b32 v10, v10, 7, v29
	s_delay_alu instid0(VALU_DEP_1)
	v_cvt_f32_f16_e32 v29, v10
.LBB312_325:                            ;   in Loop: Header=BB312_296 Depth=1
	s_or_b32 exec_lo, exec_lo, s17
.LBB312_326:                            ;   in Loop: Header=BB312_296 Depth=1
	s_delay_alu instid0(SALU_CYCLE_1)
	s_or_b32 exec_lo, exec_lo, s15
.LBB312_327:                            ;   in Loop: Header=BB312_296 Depth=1
	s_delay_alu instid0(SALU_CYCLE_1) | instskip(SKIP_4) | instid1(VALU_DEP_3)
	s_or_b32 exec_lo, exec_lo, s0
	v_dual_mov_b32 v31, 0 :: v_dual_and_b32 v32, 0xff, v15
	v_mov_b32_e32 v10, v15
	v_mov_b32_e32 v30, 0
	s_mov_b32 s0, exec_lo
	v_cmpx_ne_u16_e32 0, v32
	s_cbranch_execz .LBB312_333
; %bb.328:                              ;   in Loop: Header=BB312_296 Depth=1
	v_bfrev_b32_e32 v30, 1
	s_mov_b32 s15, exec_lo
	v_cmpx_ne_u16_e32 0x80, v32
	s_cbranch_execz .LBB312_332
; %bb.329:                              ;   in Loop: Header=BB312_296 Depth=1
	v_and_b32_e32 v32, 0x7f, v15
	v_mov_b32_e32 v30, 0x7fc02000
	s_mov_b32 s17, exec_lo
	s_delay_alu instid0(VALU_DEP_2)
	v_cmpx_ne_u32_e32 0x7f, v32
	s_cbranch_execz .LBB312_331
; %bb.330:                              ;   in Loop: Header=BB312_296 Depth=1
	v_and_b32_e32 v30, 7, v15
	v_cmp_gt_u32_e32 vcc_lo, 8, v32
	v_lshrrev_b32_e32 v41, 3, v32
	s_delay_alu instid0(VALU_DEP_3) | instskip(NEXT) | instid1(VALU_DEP_1)
	v_clz_i32_u32_e32 v30, v30
	v_min_u32_e32 v30, 32, v30
	s_delay_alu instid0(VALU_DEP_1) | instskip(SKIP_1) | instid1(VALU_DEP_2)
	v_subrev_nc_u32_e32 v42, 28, v30
	v_sub_nc_u32_e32 v30, 29, v30
	v_cndmask_b32_e32 v32, 0, v42, vcc_lo
	s_delay_alu instid0(VALU_DEP_2) | instskip(NEXT) | instid1(VALU_DEP_2)
	v_cndmask_b32_e32 v30, v41, v30, vcc_lo
	v_lshlrev_b64 v[41:42], v32, v[10:11]
	v_lshlrev_b32_e32 v32, 8, v15
	s_delay_alu instid0(VALU_DEP_3) | instskip(NEXT) | instid1(VALU_DEP_3)
	v_lshl_add_u32 v30, v30, 10, 0x2000
	v_lshlrev_b32_e32 v41, 7, v41
	s_delay_alu instid0(VALU_DEP_2) | instskip(NEXT) | instid1(VALU_DEP_1)
	v_and_or_b32 v30, 0x8000, v32, v30
	v_and_or_b32 v30, 0x380, v41, v30
	s_delay_alu instid0(VALU_DEP_1)
	v_cvt_f32_f16_e32 v30, v30
.LBB312_331:                            ;   in Loop: Header=BB312_296 Depth=1
	s_or_b32 exec_lo, exec_lo, s17
.LBB312_332:                            ;   in Loop: Header=BB312_296 Depth=1
	s_delay_alu instid0(SALU_CYCLE_1)
	s_or_b32 exec_lo, exec_lo, s15
.LBB312_333:                            ;   in Loop: Header=BB312_296 Depth=1
	s_delay_alu instid0(SALU_CYCLE_1) | instskip(SKIP_2) | instid1(VALU_DEP_1)
	s_or_b32 exec_lo, exec_lo, s0
	v_lshrrev_b16 v10, 8, v10
	s_mov_b32 s0, exec_lo
	v_cmpx_ne_u16_e32 0, v10
	s_cbranch_execz .LBB312_341
; %bb.334:                              ;   in Loop: Header=BB312_296 Depth=1
	v_bfrev_b32_e32 v31, 1
	s_mov_b32 s15, exec_lo
	v_cmpx_ne_u16_e32 0x80, v10
	s_cbranch_execz .LBB312_340
; %bb.335:                              ;   in Loop: Header=BB312_296 Depth=1
	v_and_b32_e32 v32, 0xffff, v10
	v_mov_b32_e32 v31, 0x7fc02000
	s_mov_b32 s17, exec_lo
	s_delay_alu instid0(VALU_DEP_2) | instskip(NEXT) | instid1(VALU_DEP_1)
	v_and_b32_e32 v41, 0x7f, v32
	v_cmpx_ne_u32_e32 0x7f, v41
	s_cbranch_execz .LBB312_339
; %bb.336:                              ;   in Loop: Header=BB312_296 Depth=1
	v_and_b32_e32 v10, 7, v32
	v_lshrrev_b32_e32 v31, 3, v41
	s_mov_b32 s18, exec_lo
	v_cmpx_gt_u32_e32 8, v41
; %bb.337:                              ;   in Loop: Header=BB312_296 Depth=1
	s_delay_alu instid0(VALU_DEP_3) | instskip(NEXT) | instid1(VALU_DEP_1)
	v_clz_i32_u32_e32 v31, v10
	v_min_u32_e32 v31, 32, v31
	s_delay_alu instid0(VALU_DEP_1) | instskip(SKIP_1) | instid1(VALU_DEP_2)
	v_subrev_nc_u32_e32 v41, 28, v31
	v_sub_nc_u32_e32 v31, 29, v31
	v_lshlrev_b64 v[41:42], v41, v[10:11]
	s_delay_alu instid0(VALU_DEP_1)
	v_and_b32_e32 v10, 7, v41
; %bb.338:                              ;   in Loop: Header=BB312_296 Depth=1
	s_or_b32 exec_lo, exec_lo, s18
	v_lshlrev_b32_e32 v32, 8, v32
	v_lshl_add_u32 v31, v31, 10, 0x2000
	s_delay_alu instid0(VALU_DEP_1) | instskip(NEXT) | instid1(VALU_DEP_1)
	v_and_or_b32 v31, 0x8000, v32, v31
	v_lshl_or_b32 v10, v10, 7, v31
	s_delay_alu instid0(VALU_DEP_1)
	v_cvt_f32_f16_e32 v31, v10
.LBB312_339:                            ;   in Loop: Header=BB312_296 Depth=1
	s_or_b32 exec_lo, exec_lo, s17
.LBB312_340:                            ;   in Loop: Header=BB312_296 Depth=1
	s_delay_alu instid0(SALU_CYCLE_1)
	s_or_b32 exec_lo, exec_lo, s15
.LBB312_341:                            ;   in Loop: Header=BB312_296 Depth=1
	s_delay_alu instid0(SALU_CYCLE_1) | instskip(SKIP_3) | instid1(VALU_DEP_2)
	s_or_b32 exec_lo, exec_lo, s0
	v_lshrrev_b32_e32 v42, 16, v15
	v_mov_b32_e32 v32, 0
	s_mov_b32 s0, exec_lo
	v_dual_mov_b32 v41, 0 :: v_dual_and_b32 v10, 0xff, v42
	s_delay_alu instid0(VALU_DEP_1)
	v_cmpx_ne_u16_e32 0, v10
	s_cbranch_execz .LBB312_349
; %bb.342:                              ;   in Loop: Header=BB312_296 Depth=1
	v_bfrev_b32_e32 v32, 1
	s_mov_b32 s15, exec_lo
	v_cmpx_ne_u16_e32 0x80, v10
	s_cbranch_execz .LBB312_348
; %bb.343:                              ;   in Loop: Header=BB312_296 Depth=1
	v_bfe_u32 v43, v15, 16, 7
	v_mov_b32_e32 v32, 0x7fc02000
	s_mov_b32 s17, exec_lo
	s_delay_alu instid0(VALU_DEP_2)
	v_cmpx_ne_u32_e32 0x7f, v43
	s_cbranch_execz .LBB312_347
; %bb.344:                              ;   in Loop: Header=BB312_296 Depth=1
	v_and_b32_e32 v10, 7, v42
	v_lshrrev_b32_e32 v32, 3, v43
	s_mov_b32 s18, exec_lo
	v_cmpx_gt_u32_e32 8, v43
; %bb.345:                              ;   in Loop: Header=BB312_296 Depth=1
	s_delay_alu instid0(VALU_DEP_3) | instskip(NEXT) | instid1(VALU_DEP_1)
	v_clz_i32_u32_e32 v32, v10
	v_min_u32_e32 v32, 32, v32
	s_delay_alu instid0(VALU_DEP_1) | instskip(SKIP_1) | instid1(VALU_DEP_2)
	v_subrev_nc_u32_e32 v43, 28, v32
	v_sub_nc_u32_e32 v32, 29, v32
	v_lshlrev_b64 v[43:44], v43, v[10:11]
	s_delay_alu instid0(VALU_DEP_1)
	v_and_b32_e32 v10, 7, v43
; %bb.346:                              ;   in Loop: Header=BB312_296 Depth=1
	s_or_b32 exec_lo, exec_lo, s18
	v_lshlrev_b32_e32 v42, 8, v42
	v_lshl_add_u32 v32, v32, 10, 0x2000
	s_delay_alu instid0(VALU_DEP_1) | instskip(NEXT) | instid1(VALU_DEP_1)
	v_and_or_b32 v32, 0x8000, v42, v32
	v_lshl_or_b32 v10, v10, 7, v32
	s_delay_alu instid0(VALU_DEP_1)
	v_cvt_f32_f16_e32 v32, v10
.LBB312_347:                            ;   in Loop: Header=BB312_296 Depth=1
	s_or_b32 exec_lo, exec_lo, s17
.LBB312_348:                            ;   in Loop: Header=BB312_296 Depth=1
	s_delay_alu instid0(SALU_CYCLE_1)
	s_or_b32 exec_lo, exec_lo, s15
.LBB312_349:                            ;   in Loop: Header=BB312_296 Depth=1
	s_delay_alu instid0(SALU_CYCLE_1) | instskip(NEXT) | instid1(SALU_CYCLE_1)
	s_or_b32 exec_lo, exec_lo, s0
	s_mov_b32 s0, exec_lo
	v_cmpx_lt_u64_e64 s[2:3], v[14:15]
	s_cbranch_execz .LBB312_357
; %bb.350:                              ;   in Loop: Header=BB312_296 Depth=1
	v_lshrrev_b32_e32 v14, 24, v15
	v_bfrev_b32_e32 v41, 1
	s_mov_b32 s15, exec_lo
	s_delay_alu instid0(VALU_DEP_2)
	v_cmpx_ne_u32_e32 0x80, v14
	s_cbranch_execz .LBB312_356
; %bb.351:                              ;   in Loop: Header=BB312_296 Depth=1
	v_and_b32_e32 v42, 0x7f, v14
	v_mov_b32_e32 v41, 0x7fc02000
	s_mov_b32 s17, exec_lo
	s_delay_alu instid0(VALU_DEP_2)
	v_cmpx_ne_u32_e32 0x7f, v42
	s_cbranch_execz .LBB312_355
; %bb.352:                              ;   in Loop: Header=BB312_296 Depth=1
	v_and_b32_e32 v10, 7, v14
	v_lshrrev_b32_e32 v15, 3, v42
	s_mov_b32 s18, exec_lo
	v_cmpx_gt_u32_e32 8, v42
; %bb.353:                              ;   in Loop: Header=BB312_296 Depth=1
	s_delay_alu instid0(VALU_DEP_3) | instskip(NEXT) | instid1(VALU_DEP_1)
	v_clz_i32_u32_e32 v15, v10
	v_min_u32_e32 v15, 32, v15
	s_delay_alu instid0(VALU_DEP_1) | instskip(SKIP_1) | instid1(VALU_DEP_2)
	v_subrev_nc_u32_e32 v41, 28, v15
	v_sub_nc_u32_e32 v15, 29, v15
	v_lshlrev_b64 v[41:42], v41, v[10:11]
	s_delay_alu instid0(VALU_DEP_1)
	v_and_b32_e32 v10, 7, v41
; %bb.354:                              ;   in Loop: Header=BB312_296 Depth=1
	s_or_b32 exec_lo, exec_lo, s18
	v_lshlrev_b32_e32 v14, 8, v14
	v_lshl_add_u32 v15, v15, 10, 0x2000
	s_delay_alu instid0(VALU_DEP_1) | instskip(NEXT) | instid1(VALU_DEP_1)
	v_and_or_b32 v14, 0x8000, v14, v15
	v_lshl_or_b32 v10, v10, 7, v14
	s_delay_alu instid0(VALU_DEP_1)
	v_cvt_f32_f16_e32 v41, v10
.LBB312_355:                            ;   in Loop: Header=BB312_296 Depth=1
	s_or_b32 exec_lo, exec_lo, s17
.LBB312_356:                            ;   in Loop: Header=BB312_296 Depth=1
	s_delay_alu instid0(SALU_CYCLE_1)
	s_or_b32 exec_lo, exec_lo, s15
.LBB312_357:                            ;   in Loop: Header=BB312_296 Depth=1
	s_delay_alu instid0(SALU_CYCLE_1)
	s_or_b32 exec_lo, exec_lo, s0
	s_waitcnt vmcnt(0)
	v_fma_mixlo_f16 v15, v26, v25, 0
	v_fma_mixlo_f16 v10, v26, v29, 0
	v_fma_mixlo_f16 v14, v26, v28, 0
	v_fma_mixlo_f16 v29, v26, v30, 0
	v_fma_mixlo_f16 v30, v26, v41, 0
	v_lshlrev_b32_e32 v28, 16, v15
	v_fma_mixlo_f16 v15, v26, v27, 0
	v_fma_mixlo_f16 v27, v26, v31, 0
	;; [unrolled: 1-line block ×3, first 2 shown]
	v_add_nc_u32_e32 v25, v22, v19
	v_lshlrev_b32_e32 v10, 16, v10
	v_and_b32_e32 v14, 0xffff, v14
	v_and_b32_e32 v26, 0xffff, v15
	v_lshlrev_b32_e32 v27, 16, v27
	v_and_b32_e32 v29, 0xffff, v29
	v_lshlrev_b32_e32 v30, 16, v30
	v_and_b32_e32 v31, 0xffff, v41
	v_cmp_eq_u32_e32 vcc_lo, s38, v5
	v_or_b32_e32 v15, v10, v14
	v_or_b32_e32 v42, v28, v26
	;; [unrolled: 1-line block ×4, first 2 shown]
	v_add_nc_u32_e32 v32, 1, v25
	v_or_b32_e32 v31, 3, v25
	v_or_b32_e32 v30, 2, v25
	;; [unrolled: 1-line block ×6, first 2 shown]
	s_and_saveexec_b32 s15, vcc_lo
	s_cbranch_execz .LBB312_359
; %bb.358:                              ;   in Loop: Header=BB312_296 Depth=1
	v_cmp_gt_i32_e64 s0, s33, v25
	v_lshrrev_b32_e32 v43, 16, v42
	v_lshrrev_b32_e32 v44, 16, v15
	;; [unrolled: 1-line block ×4, first 2 shown]
	v_cndmask_b32_e64 v42, 0, v42, s0
	v_cmp_gt_i32_e64 s0, s13, v32
	s_delay_alu instid0(VALU_DEP_1) | instskip(SKIP_1) | instid1(VALU_DEP_2)
	v_cndmask_b32_e64 v43, 0, v43, s0
	v_cmp_gt_i32_e64 s0, s13, v31
	v_perm_b32 v42, v43, v42, 0x5040100
	s_delay_alu instid0(VALU_DEP_2) | instskip(SKIP_1) | instid1(VALU_DEP_1)
	v_cndmask_b32_e64 v44, 0, v44, s0
	v_cmp_gt_i32_e64 s0, s33, v30
	v_cndmask_b32_e64 v15, 0, v15, s0
	v_cmp_gt_i32_e64 s0, s13, v29
	s_delay_alu instid0(VALU_DEP_2) | instskip(NEXT) | instid1(VALU_DEP_2)
	v_perm_b32 v15, v44, v15, 0x5040100
	v_cndmask_b32_e64 v45, 0, v45, s0
	v_cmp_gt_i32_e64 s0, s33, v28
	s_delay_alu instid0(VALU_DEP_1) | instskip(SKIP_1) | instid1(VALU_DEP_2)
	v_cndmask_b32_e64 v10, 0, v10, s0
	v_cmp_gt_i32_e64 s0, s13, v27
	v_perm_b32 v10, v45, v10, 0x5040100
	s_delay_alu instid0(VALU_DEP_2) | instskip(SKIP_1) | instid1(VALU_DEP_1)
	v_cndmask_b32_e64 v14, 0, v14, s0
	v_cmp_gt_i32_e64 s0, s33, v26
	v_cndmask_b32_e64 v41, 0, v41, s0
	s_delay_alu instid0(VALU_DEP_1)
	v_perm_b32 v14, v14, v41, 0x5040100
.LBB312_359:                            ;   in Loop: Header=BB312_296 Depth=1
	s_or_b32 exec_lo, exec_lo, s15
	v_and_b32_e32 v33, 0xffff, v33
	v_and_b32_e32 v37, 0xffff, v37
	;; [unrolled: 1-line block ×4, first 2 shown]
	s_mov_b32 s15, exec_lo
	s_delay_alu instid0(VALU_DEP_3) | instskip(NEXT) | instid1(VALU_DEP_3)
	v_lshl_or_b32 v37, v35, 16, v37
	v_lshl_or_b32 v36, v36, 16, v41
	v_mov_b32_e32 v41, 0
	v_lshl_or_b32 v35, v39, 16, v40
	v_mov_b32_e32 v40, 0
	v_lshl_or_b32 v38, v34, 16, v33
	;;#ASMSTART
	v_pk_mul_f16 v33, v38, v42;

	;;#ASMEND
	;;#ASMSTART
	v_pk_mul_f16 v15, v37, v15;

	;;#ASMEND
	;; [unrolled: 4-line block ×4, first 2 shown]
	;;#ASMSTART
	v_pk_add_f16 v15, v33, v15;

	;;#ASMEND
	;;#ASMSTART
	v_pk_add_f16 v10, v15, v10;

	;;#ASMEND
	;;#ASMSTART
	v_pk_add_f16 v10, v10, v14;

	;;#ASMEND
	v_and_b32_e32 v14, 0xffff, v10
	v_lshrrev_b32_e32 v10, 16, v10
	;;#ASMSTART
	v_cvt_f32_f16 v33, v14;
	;;#ASMEND
	;;#ASMSTART
	v_cvt_f32_f16 v34, v10;
	;;#ASMEND
	global_load_b64 v[14:15], v[12:13], off offset:256
	global_load_b32 v39, v11, s[6:7]
	s_waitcnt vmcnt(1)
	v_and_b32_e32 v10, 0xff, v14
	s_delay_alu instid0(VALU_DEP_1)
	v_cmpx_ne_u16_e32 0, v10
	s_cbranch_execz .LBB312_365
; %bb.360:                              ;   in Loop: Header=BB312_296 Depth=1
	v_bfrev_b32_e32 v40, 1
	s_mov_b32 s17, exec_lo
	v_cmpx_ne_u16_e32 0x80, v10
	s_cbranch_execz .LBB312_364
; %bb.361:                              ;   in Loop: Header=BB312_296 Depth=1
	v_and_b32_e32 v10, 0x7f, v14
	v_mov_b32_e32 v40, 0x7fc02000
	s_mov_b32 s18, exec_lo
	s_delay_alu instid0(VALU_DEP_2)
	v_cmpx_ne_u32_e32 0x7f, v10
	s_cbranch_execz .LBB312_363
; %bb.362:                              ;   in Loop: Header=BB312_296 Depth=1
	v_and_b32_e32 v40, 7, v14
	v_cmp_gt_u32_e64 s0, 8, v10
	v_lshrrev_b32_e32 v42, 3, v10
	s_delay_alu instid0(VALU_DEP_3) | instskip(NEXT) | instid1(VALU_DEP_1)
	v_clz_i32_u32_e32 v40, v40
	v_min_u32_e32 v40, 32, v40
	s_delay_alu instid0(VALU_DEP_1) | instskip(SKIP_1) | instid1(VALU_DEP_2)
	v_subrev_nc_u32_e32 v43, 28, v40
	v_sub_nc_u32_e32 v40, 29, v40
	v_cndmask_b32_e64 v10, 0, v43, s0
	s_delay_alu instid0(VALU_DEP_2) | instskip(NEXT) | instid1(VALU_DEP_2)
	v_cndmask_b32_e64 v40, v42, v40, s0
	v_lshlrev_b64 v[42:43], v10, v[14:15]
	v_lshlrev_b32_e32 v10, 8, v14
	s_delay_alu instid0(VALU_DEP_3) | instskip(NEXT) | instid1(VALU_DEP_3)
	v_lshl_add_u32 v40, v40, 10, 0x2000
	v_lshlrev_b32_e32 v42, 7, v42
	s_delay_alu instid0(VALU_DEP_2) | instskip(NEXT) | instid1(VALU_DEP_1)
	v_and_or_b32 v10, 0x8000, v10, v40
	v_and_or_b32 v10, 0x380, v42, v10
	s_delay_alu instid0(VALU_DEP_1)
	v_cvt_f32_f16_e32 v40, v10
.LBB312_363:                            ;   in Loop: Header=BB312_296 Depth=1
	s_or_b32 exec_lo, exec_lo, s18
.LBB312_364:                            ;   in Loop: Header=BB312_296 Depth=1
	s_delay_alu instid0(SALU_CYCLE_1)
	s_or_b32 exec_lo, exec_lo, s17
.LBB312_365:                            ;   in Loop: Header=BB312_296 Depth=1
	s_delay_alu instid0(SALU_CYCLE_1) | instskip(SKIP_2) | instid1(VALU_DEP_1)
	s_or_b32 exec_lo, exec_lo, s15
	v_lshrrev_b16 v10, 8, v14
	s_mov_b32 s15, exec_lo
	v_cmpx_ne_u16_e32 0, v10
	s_cbranch_execz .LBB312_373
; %bb.366:                              ;   in Loop: Header=BB312_296 Depth=1
	v_bfrev_b32_e32 v41, 1
	s_mov_b32 s17, exec_lo
	v_cmpx_ne_u16_e32 0x80, v10
	s_cbranch_execz .LBB312_372
; %bb.367:                              ;   in Loop: Header=BB312_296 Depth=1
	v_and_b32_e32 v42, 0xffff, v10
	v_mov_b32_e32 v41, 0x7fc02000
	s_mov_b32 s18, exec_lo
	s_delay_alu instid0(VALU_DEP_2) | instskip(NEXT) | instid1(VALU_DEP_1)
	v_and_b32_e32 v43, 0x7f, v42
	v_cmpx_ne_u32_e32 0x7f, v43
	s_cbranch_execz .LBB312_371
; %bb.368:                              ;   in Loop: Header=BB312_296 Depth=1
	v_and_b32_e32 v10, 7, v42
	v_lshrrev_b32_e32 v41, 3, v43
	s_mov_b32 s20, exec_lo
	v_cmpx_gt_u32_e32 8, v43
; %bb.369:                              ;   in Loop: Header=BB312_296 Depth=1
	s_delay_alu instid0(VALU_DEP_3) | instskip(NEXT) | instid1(VALU_DEP_1)
	v_clz_i32_u32_e32 v41, v10
	v_min_u32_e32 v41, 32, v41
	s_delay_alu instid0(VALU_DEP_1) | instskip(SKIP_1) | instid1(VALU_DEP_2)
	v_subrev_nc_u32_e32 v43, 28, v41
	v_sub_nc_u32_e32 v41, 29, v41
	v_lshlrev_b64 v[43:44], v43, v[10:11]
	s_delay_alu instid0(VALU_DEP_1)
	v_and_b32_e32 v10, 7, v43
; %bb.370:                              ;   in Loop: Header=BB312_296 Depth=1
	s_or_b32 exec_lo, exec_lo, s20
	v_lshlrev_b32_e32 v42, 8, v42
	v_lshl_add_u32 v41, v41, 10, 0x2000
	s_delay_alu instid0(VALU_DEP_1) | instskip(NEXT) | instid1(VALU_DEP_1)
	v_and_or_b32 v41, 0x8000, v42, v41
	v_lshl_or_b32 v10, v10, 7, v41
	s_delay_alu instid0(VALU_DEP_1)
	v_cvt_f32_f16_e32 v41, v10
.LBB312_371:                            ;   in Loop: Header=BB312_296 Depth=1
	s_or_b32 exec_lo, exec_lo, s18
.LBB312_372:                            ;   in Loop: Header=BB312_296 Depth=1
	s_delay_alu instid0(SALU_CYCLE_1)
	s_or_b32 exec_lo, exec_lo, s17
.LBB312_373:                            ;   in Loop: Header=BB312_296 Depth=1
	s_delay_alu instid0(SALU_CYCLE_1) | instskip(SKIP_3) | instid1(VALU_DEP_2)
	s_or_b32 exec_lo, exec_lo, s15
	v_lshrrev_b32_e32 v44, 16, v14
	v_mov_b32_e32 v42, 0
	s_mov_b32 s15, exec_lo
	v_dual_mov_b32 v43, 0 :: v_dual_and_b32 v10, 0xff, v44
	s_delay_alu instid0(VALU_DEP_1)
	v_cmpx_ne_u16_e32 0, v10
	s_cbranch_execz .LBB312_381
; %bb.374:                              ;   in Loop: Header=BB312_296 Depth=1
	v_bfrev_b32_e32 v42, 1
	s_mov_b32 s17, exec_lo
	v_cmpx_ne_u16_e32 0x80, v10
	s_cbranch_execz .LBB312_380
; %bb.375:                              ;   in Loop: Header=BB312_296 Depth=1
	v_bfe_u32 v45, v14, 16, 7
	v_mov_b32_e32 v42, 0x7fc02000
	s_mov_b32 s18, exec_lo
	s_delay_alu instid0(VALU_DEP_2)
	v_cmpx_ne_u32_e32 0x7f, v45
	s_cbranch_execz .LBB312_379
; %bb.376:                              ;   in Loop: Header=BB312_296 Depth=1
	v_and_b32_e32 v10, 7, v44
	v_lshrrev_b32_e32 v42, 3, v45
	s_mov_b32 s20, exec_lo
	v_cmpx_gt_u32_e32 8, v45
; %bb.377:                              ;   in Loop: Header=BB312_296 Depth=1
	s_delay_alu instid0(VALU_DEP_3) | instskip(NEXT) | instid1(VALU_DEP_1)
	v_clz_i32_u32_e32 v42, v10
	v_min_u32_e32 v42, 32, v42
	s_delay_alu instid0(VALU_DEP_1) | instskip(SKIP_1) | instid1(VALU_DEP_2)
	v_subrev_nc_u32_e32 v45, 28, v42
	v_sub_nc_u32_e32 v42, 29, v42
	v_lshlrev_b64 v[45:46], v45, v[10:11]
	s_delay_alu instid0(VALU_DEP_1)
	v_and_b32_e32 v10, 7, v45
; %bb.378:                              ;   in Loop: Header=BB312_296 Depth=1
	s_or_b32 exec_lo, exec_lo, s20
	v_lshlrev_b32_e32 v44, 8, v44
	v_lshl_add_u32 v42, v42, 10, 0x2000
	s_delay_alu instid0(VALU_DEP_1) | instskip(NEXT) | instid1(VALU_DEP_1)
	v_and_or_b32 v42, 0x8000, v44, v42
	v_lshl_or_b32 v10, v10, 7, v42
	s_delay_alu instid0(VALU_DEP_1)
	v_cvt_f32_f16_e32 v42, v10
.LBB312_379:                            ;   in Loop: Header=BB312_296 Depth=1
	s_or_b32 exec_lo, exec_lo, s18
.LBB312_380:                            ;   in Loop: Header=BB312_296 Depth=1
	s_delay_alu instid0(SALU_CYCLE_1)
	s_or_b32 exec_lo, exec_lo, s17
.LBB312_381:                            ;   in Loop: Header=BB312_296 Depth=1
	s_delay_alu instid0(SALU_CYCLE_1) | instskip(NEXT) | instid1(SALU_CYCLE_1)
	s_or_b32 exec_lo, exec_lo, s15
	s_mov_b32 s15, exec_lo
	v_cmpx_lt_u32_e32 0xffffff, v14
	s_cbranch_execz .LBB312_389
; %bb.382:                              ;   in Loop: Header=BB312_296 Depth=1
	v_lshrrev_b32_e32 v44, 24, v14
	v_bfrev_b32_e32 v43, 1
	s_mov_b32 s17, exec_lo
	s_delay_alu instid0(VALU_DEP_2)
	v_cmpx_ne_u32_e32 0x80, v44
	s_cbranch_execz .LBB312_388
; %bb.383:                              ;   in Loop: Header=BB312_296 Depth=1
	v_and_b32_e32 v45, 0x7f, v44
	v_mov_b32_e32 v43, 0x7fc02000
	s_mov_b32 s18, exec_lo
	s_delay_alu instid0(VALU_DEP_2)
	v_cmpx_ne_u32_e32 0x7f, v45
	s_cbranch_execz .LBB312_387
; %bb.384:                              ;   in Loop: Header=BB312_296 Depth=1
	v_and_b32_e32 v10, 7, v44
	v_lshrrev_b32_e32 v43, 3, v45
	s_mov_b32 s20, exec_lo
	v_cmpx_gt_u32_e32 8, v45
; %bb.385:                              ;   in Loop: Header=BB312_296 Depth=1
	s_delay_alu instid0(VALU_DEP_3) | instskip(NEXT) | instid1(VALU_DEP_1)
	v_clz_i32_u32_e32 v43, v10
	v_min_u32_e32 v43, 32, v43
	s_delay_alu instid0(VALU_DEP_1) | instskip(SKIP_1) | instid1(VALU_DEP_2)
	v_subrev_nc_u32_e32 v45, 28, v43
	v_sub_nc_u32_e32 v43, 29, v43
	v_lshlrev_b64 v[45:46], v45, v[10:11]
	s_delay_alu instid0(VALU_DEP_1)
	v_and_b32_e32 v10, 7, v45
; %bb.386:                              ;   in Loop: Header=BB312_296 Depth=1
	s_or_b32 exec_lo, exec_lo, s20
	v_lshlrev_b32_e32 v44, 8, v44
	v_lshl_add_u32 v43, v43, 10, 0x2000
	s_delay_alu instid0(VALU_DEP_1) | instskip(NEXT) | instid1(VALU_DEP_1)
	v_and_or_b32 v43, 0x8000, v44, v43
	v_lshl_or_b32 v10, v10, 7, v43
	s_delay_alu instid0(VALU_DEP_1)
	v_cvt_f32_f16_e32 v43, v10
.LBB312_387:                            ;   in Loop: Header=BB312_296 Depth=1
	s_or_b32 exec_lo, exec_lo, s18
.LBB312_388:                            ;   in Loop: Header=BB312_296 Depth=1
	s_delay_alu instid0(SALU_CYCLE_1)
	s_or_b32 exec_lo, exec_lo, s17
.LBB312_389:                            ;   in Loop: Header=BB312_296 Depth=1
	s_delay_alu instid0(SALU_CYCLE_1) | instskip(SKIP_4) | instid1(VALU_DEP_3)
	s_or_b32 exec_lo, exec_lo, s15
	v_dual_mov_b32 v45, 0 :: v_dual_and_b32 v46, 0xff, v15
	v_mov_b32_e32 v10, v15
	v_mov_b32_e32 v44, 0
	s_mov_b32 s15, exec_lo
	v_cmpx_ne_u16_e32 0, v46
	s_cbranch_execz .LBB312_395
; %bb.390:                              ;   in Loop: Header=BB312_296 Depth=1
	v_bfrev_b32_e32 v44, 1
	s_mov_b32 s17, exec_lo
	v_cmpx_ne_u16_e32 0x80, v46
	s_cbranch_execz .LBB312_394
; %bb.391:                              ;   in Loop: Header=BB312_296 Depth=1
	v_and_b32_e32 v46, 0x7f, v15
	v_mov_b32_e32 v44, 0x7fc02000
	s_mov_b32 s18, exec_lo
	s_delay_alu instid0(VALU_DEP_2)
	v_cmpx_ne_u32_e32 0x7f, v46
	s_cbranch_execz .LBB312_393
; %bb.392:                              ;   in Loop: Header=BB312_296 Depth=1
	v_and_b32_e32 v44, 7, v15
	v_cmp_gt_u32_e64 s0, 8, v46
	v_lshrrev_b32_e32 v47, 3, v46
	s_delay_alu instid0(VALU_DEP_3) | instskip(NEXT) | instid1(VALU_DEP_1)
	v_clz_i32_u32_e32 v44, v44
	v_min_u32_e32 v44, 32, v44
	s_delay_alu instid0(VALU_DEP_1) | instskip(SKIP_1) | instid1(VALU_DEP_2)
	v_subrev_nc_u32_e32 v48, 28, v44
	v_sub_nc_u32_e32 v44, 29, v44
	v_cndmask_b32_e64 v46, 0, v48, s0
	s_delay_alu instid0(VALU_DEP_2) | instskip(NEXT) | instid1(VALU_DEP_2)
	v_cndmask_b32_e64 v44, v47, v44, s0
	v_lshlrev_b64 v[46:47], v46, v[10:11]
	v_lshlrev_b32_e32 v47, 8, v15
	s_delay_alu instid0(VALU_DEP_3) | instskip(NEXT) | instid1(VALU_DEP_3)
	v_lshl_add_u32 v44, v44, 10, 0x2000
	v_lshlrev_b32_e32 v46, 7, v46
	s_delay_alu instid0(VALU_DEP_2) | instskip(NEXT) | instid1(VALU_DEP_1)
	v_and_or_b32 v44, 0x8000, v47, v44
	v_and_or_b32 v44, 0x380, v46, v44
	s_delay_alu instid0(VALU_DEP_1)
	v_cvt_f32_f16_e32 v44, v44
.LBB312_393:                            ;   in Loop: Header=BB312_296 Depth=1
	s_or_b32 exec_lo, exec_lo, s18
.LBB312_394:                            ;   in Loop: Header=BB312_296 Depth=1
	s_delay_alu instid0(SALU_CYCLE_1)
	s_or_b32 exec_lo, exec_lo, s17
.LBB312_395:                            ;   in Loop: Header=BB312_296 Depth=1
	s_delay_alu instid0(SALU_CYCLE_1) | instskip(SKIP_2) | instid1(VALU_DEP_1)
	s_or_b32 exec_lo, exec_lo, s15
	v_lshrrev_b16 v10, 8, v10
	s_mov_b32 s15, exec_lo
	v_cmpx_ne_u16_e32 0, v10
	s_cbranch_execz .LBB312_403
; %bb.396:                              ;   in Loop: Header=BB312_296 Depth=1
	v_bfrev_b32_e32 v45, 1
	s_mov_b32 s17, exec_lo
	v_cmpx_ne_u16_e32 0x80, v10
	s_cbranch_execz .LBB312_402
; %bb.397:                              ;   in Loop: Header=BB312_296 Depth=1
	v_and_b32_e32 v46, 0xffff, v10
	v_mov_b32_e32 v45, 0x7fc02000
	s_mov_b32 s18, exec_lo
	s_delay_alu instid0(VALU_DEP_2) | instskip(NEXT) | instid1(VALU_DEP_1)
	v_and_b32_e32 v47, 0x7f, v46
	v_cmpx_ne_u32_e32 0x7f, v47
	s_cbranch_execz .LBB312_401
; %bb.398:                              ;   in Loop: Header=BB312_296 Depth=1
	v_and_b32_e32 v10, 7, v46
	v_lshrrev_b32_e32 v45, 3, v47
	s_mov_b32 s20, exec_lo
	v_cmpx_gt_u32_e32 8, v47
; %bb.399:                              ;   in Loop: Header=BB312_296 Depth=1
	s_delay_alu instid0(VALU_DEP_3) | instskip(NEXT) | instid1(VALU_DEP_1)
	v_clz_i32_u32_e32 v45, v10
	v_min_u32_e32 v45, 32, v45
	s_delay_alu instid0(VALU_DEP_1) | instskip(SKIP_1) | instid1(VALU_DEP_2)
	v_subrev_nc_u32_e32 v47, 28, v45
	v_sub_nc_u32_e32 v45, 29, v45
	v_lshlrev_b64 v[47:48], v47, v[10:11]
	s_delay_alu instid0(VALU_DEP_1)
	v_and_b32_e32 v10, 7, v47
; %bb.400:                              ;   in Loop: Header=BB312_296 Depth=1
	s_or_b32 exec_lo, exec_lo, s20
	v_lshlrev_b32_e32 v46, 8, v46
	v_lshl_add_u32 v45, v45, 10, 0x2000
	s_delay_alu instid0(VALU_DEP_1) | instskip(NEXT) | instid1(VALU_DEP_1)
	v_and_or_b32 v45, 0x8000, v46, v45
	v_lshl_or_b32 v10, v10, 7, v45
	s_delay_alu instid0(VALU_DEP_1)
	v_cvt_f32_f16_e32 v45, v10
.LBB312_401:                            ;   in Loop: Header=BB312_296 Depth=1
	s_or_b32 exec_lo, exec_lo, s18
.LBB312_402:                            ;   in Loop: Header=BB312_296 Depth=1
	s_delay_alu instid0(SALU_CYCLE_1)
	s_or_b32 exec_lo, exec_lo, s17
.LBB312_403:                            ;   in Loop: Header=BB312_296 Depth=1
	s_delay_alu instid0(SALU_CYCLE_1) | instskip(SKIP_3) | instid1(VALU_DEP_2)
	s_or_b32 exec_lo, exec_lo, s15
	v_lshrrev_b32_e32 v48, 16, v15
	v_mov_b32_e32 v46, 0
	s_mov_b32 s15, exec_lo
	v_dual_mov_b32 v47, 0 :: v_dual_and_b32 v10, 0xff, v48
	s_delay_alu instid0(VALU_DEP_1)
	v_cmpx_ne_u16_e32 0, v10
	s_cbranch_execz .LBB312_411
; %bb.404:                              ;   in Loop: Header=BB312_296 Depth=1
	v_bfrev_b32_e32 v46, 1
	s_mov_b32 s17, exec_lo
	v_cmpx_ne_u16_e32 0x80, v10
	s_cbranch_execz .LBB312_410
; %bb.405:                              ;   in Loop: Header=BB312_296 Depth=1
	v_bfe_u32 v49, v15, 16, 7
	v_mov_b32_e32 v46, 0x7fc02000
	s_mov_b32 s18, exec_lo
	s_delay_alu instid0(VALU_DEP_2)
	v_cmpx_ne_u32_e32 0x7f, v49
	s_cbranch_execz .LBB312_409
; %bb.406:                              ;   in Loop: Header=BB312_296 Depth=1
	v_and_b32_e32 v10, 7, v48
	v_lshrrev_b32_e32 v46, 3, v49
	s_mov_b32 s20, exec_lo
	v_cmpx_gt_u32_e32 8, v49
; %bb.407:                              ;   in Loop: Header=BB312_296 Depth=1
	s_delay_alu instid0(VALU_DEP_3) | instskip(NEXT) | instid1(VALU_DEP_1)
	v_clz_i32_u32_e32 v46, v10
	v_min_u32_e32 v46, 32, v46
	s_delay_alu instid0(VALU_DEP_1) | instskip(SKIP_1) | instid1(VALU_DEP_2)
	v_subrev_nc_u32_e32 v49, 28, v46
	v_sub_nc_u32_e32 v46, 29, v46
	v_lshlrev_b64 v[49:50], v49, v[10:11]
	s_delay_alu instid0(VALU_DEP_1)
	v_and_b32_e32 v10, 7, v49
; %bb.408:                              ;   in Loop: Header=BB312_296 Depth=1
	s_or_b32 exec_lo, exec_lo, s20
	v_lshlrev_b32_e32 v48, 8, v48
	v_lshl_add_u32 v46, v46, 10, 0x2000
	s_delay_alu instid0(VALU_DEP_1) | instskip(NEXT) | instid1(VALU_DEP_1)
	v_and_or_b32 v46, 0x8000, v48, v46
	v_lshl_or_b32 v10, v10, 7, v46
	s_delay_alu instid0(VALU_DEP_1)
	v_cvt_f32_f16_e32 v46, v10
.LBB312_409:                            ;   in Loop: Header=BB312_296 Depth=1
	s_or_b32 exec_lo, exec_lo, s18
.LBB312_410:                            ;   in Loop: Header=BB312_296 Depth=1
	s_delay_alu instid0(SALU_CYCLE_1)
	s_or_b32 exec_lo, exec_lo, s17
.LBB312_411:                            ;   in Loop: Header=BB312_296 Depth=1
	s_delay_alu instid0(SALU_CYCLE_1) | instskip(NEXT) | instid1(SALU_CYCLE_1)
	s_or_b32 exec_lo, exec_lo, s15
	s_mov_b32 s15, exec_lo
	v_cmpx_lt_u64_e64 s[2:3], v[14:15]
	s_cbranch_execz .LBB312_419
; %bb.412:                              ;   in Loop: Header=BB312_296 Depth=1
	v_lshrrev_b32_e32 v14, 24, v15
	v_bfrev_b32_e32 v47, 1
	s_mov_b32 s17, exec_lo
	s_delay_alu instid0(VALU_DEP_2)
	v_cmpx_ne_u32_e32 0x80, v14
	s_cbranch_execz .LBB312_418
; %bb.413:                              ;   in Loop: Header=BB312_296 Depth=1
	v_and_b32_e32 v48, 0x7f, v14
	v_mov_b32_e32 v47, 0x7fc02000
	s_mov_b32 s18, exec_lo
	s_delay_alu instid0(VALU_DEP_2)
	v_cmpx_ne_u32_e32 0x7f, v48
	s_cbranch_execz .LBB312_417
; %bb.414:                              ;   in Loop: Header=BB312_296 Depth=1
	v_and_b32_e32 v10, 7, v14
	v_lshrrev_b32_e32 v15, 3, v48
	s_mov_b32 s20, exec_lo
	v_cmpx_gt_u32_e32 8, v48
; %bb.415:                              ;   in Loop: Header=BB312_296 Depth=1
	s_delay_alu instid0(VALU_DEP_3) | instskip(NEXT) | instid1(VALU_DEP_1)
	v_clz_i32_u32_e32 v15, v10
	v_min_u32_e32 v15, 32, v15
	s_delay_alu instid0(VALU_DEP_1) | instskip(SKIP_1) | instid1(VALU_DEP_2)
	v_subrev_nc_u32_e32 v47, 28, v15
	v_sub_nc_u32_e32 v15, 29, v15
	v_lshlrev_b64 v[47:48], v47, v[10:11]
	s_delay_alu instid0(VALU_DEP_1)
	v_and_b32_e32 v10, 7, v47
; %bb.416:                              ;   in Loop: Header=BB312_296 Depth=1
	s_or_b32 exec_lo, exec_lo, s20
	v_lshlrev_b32_e32 v14, 8, v14
	v_lshl_add_u32 v15, v15, 10, 0x2000
	s_delay_alu instid0(VALU_DEP_1) | instskip(NEXT) | instid1(VALU_DEP_1)
	v_and_or_b32 v14, 0x8000, v14, v15
	v_lshl_or_b32 v10, v10, 7, v14
	s_delay_alu instid0(VALU_DEP_1)
	v_cvt_f32_f16_e32 v47, v10
.LBB312_417:                            ;   in Loop: Header=BB312_296 Depth=1
	s_or_b32 exec_lo, exec_lo, s18
.LBB312_418:                            ;   in Loop: Header=BB312_296 Depth=1
	s_delay_alu instid0(SALU_CYCLE_1)
	s_or_b32 exec_lo, exec_lo, s17
.LBB312_419:                            ;   in Loop: Header=BB312_296 Depth=1
	s_delay_alu instid0(SALU_CYCLE_1)
	s_or_b32 exec_lo, exec_lo, s15
	s_waitcnt vmcnt(0)
	v_fma_mixlo_f16 v15, v39, v41, 0
	v_fma_mixlo_f16 v10, v39, v43, 0
	;; [unrolled: 1-line block ×5, first 2 shown]
	v_lshlrev_b32_e32 v41, 16, v15
	v_fma_mixlo_f16 v43, v39, v44, 0
	v_fma_mixlo_f16 v44, v39, v47, 0
	;; [unrolled: 1-line block ×3, first 2 shown]
	v_lshlrev_b32_e32 v10, 16, v10
	v_and_b32_e32 v14, 0xffff, v14
	v_and_b32_e32 v40, 0xffff, v40
	v_lshlrev_b32_e32 v42, 16, v42
	v_and_b32_e32 v43, 0xffff, v43
	v_lshlrev_b32_e32 v44, 16, v44
	v_and_b32_e32 v45, 0xffff, v15
	v_or_b32_e32 v39, v10, v14
	v_or_b32_e32 v40, v41, v40
	;; [unrolled: 1-line block ×3, first 2 shown]
	s_delay_alu instid0(VALU_DEP_4)
	v_or_b32_e32 v14, v44, v45
	s_and_saveexec_b32 s15, vcc_lo
	s_cbranch_execz .LBB312_421
; %bb.420:                              ;   in Loop: Header=BB312_296 Depth=1
	v_cmp_gt_i32_e64 s0, s33, v25
	v_lshrrev_b32_e32 v41, 16, v40
	v_lshrrev_b32_e32 v42, 16, v39
	;; [unrolled: 1-line block ×4, first 2 shown]
	v_cndmask_b32_e64 v40, 0, v40, s0
	v_cmp_gt_i32_e64 s0, s13, v32
	s_delay_alu instid0(VALU_DEP_1) | instskip(SKIP_1) | instid1(VALU_DEP_2)
	v_cndmask_b32_e64 v41, 0, v41, s0
	v_cmp_gt_i32_e64 s0, s13, v31
	v_perm_b32 v40, v41, v40, 0x5040100
	s_delay_alu instid0(VALU_DEP_2) | instskip(SKIP_1) | instid1(VALU_DEP_1)
	v_cndmask_b32_e64 v42, 0, v42, s0
	v_cmp_gt_i32_e64 s0, s33, v30
	v_cndmask_b32_e64 v39, 0, v39, s0
	v_cmp_gt_i32_e64 s0, s13, v29
	s_delay_alu instid0(VALU_DEP_2) | instskip(NEXT) | instid1(VALU_DEP_2)
	v_perm_b32 v39, v42, v39, 0x5040100
	v_cndmask_b32_e64 v43, 0, v43, s0
	v_cmp_gt_i32_e64 s0, s33, v28
	s_delay_alu instid0(VALU_DEP_1) | instskip(SKIP_1) | instid1(VALU_DEP_2)
	v_cndmask_b32_e64 v10, 0, v10, s0
	v_cmp_gt_i32_e64 s0, s13, v27
	v_perm_b32 v10, v43, v10, 0x5040100
	s_delay_alu instid0(VALU_DEP_2) | instskip(SKIP_1) | instid1(VALU_DEP_1)
	v_cndmask_b32_e64 v14, 0, v14, s0
	v_cmp_gt_i32_e64 s0, s33, v26
	v_cndmask_b32_e64 v15, 0, v15, s0
	s_delay_alu instid0(VALU_DEP_1)
	v_perm_b32 v14, v14, v15, 0x5040100
.LBB312_421:                            ;   in Loop: Header=BB312_296 Depth=1
	s_or_b32 exec_lo, exec_lo, s15
	;;#ASMSTART
	v_pk_mul_f16 v15, v38, v40;

	;;#ASMEND
	;;#ASMSTART
	v_pk_mul_f16 v39, v37, v39;

	;;#ASMEND
	;; [unrolled: 4-line block ×4, first 2 shown]
	;;#ASMSTART
	v_pk_add_f16 v15, v15, v39;

	;;#ASMEND
	;;#ASMSTART
	v_pk_add_f16 v10, v15, v10;

	;;#ASMEND
	;; [unrolled: 4-line block ×3, first 2 shown]
	v_dual_mov_b32 v43, 0 :: v_dual_and_b32 v14, 0xffff, v10
	v_lshrrev_b32_e32 v10, 16, v10
	;;#ASMSTART
	v_cvt_f32_f16 v39, v14;
	;;#ASMEND
	;;#ASMSTART
	v_cvt_f32_f16 v40, v10;
	;;#ASMEND
	global_load_b64 v[14:15], v[12:13], off offset:512
	global_load_b32 v41, v11, s[6:7]
	v_mov_b32_e32 v42, 0
	s_mov_b32 s15, exec_lo
	s_waitcnt vmcnt(1)
	v_and_b32_e32 v10, 0xff, v14
	s_delay_alu instid0(VALU_DEP_1)
	v_cmpx_ne_u16_e32 0, v10
	s_cbranch_execz .LBB312_427
; %bb.422:                              ;   in Loop: Header=BB312_296 Depth=1
	v_bfrev_b32_e32 v42, 1
	s_mov_b32 s17, exec_lo
	v_cmpx_ne_u16_e32 0x80, v10
	s_cbranch_execz .LBB312_426
; %bb.423:                              ;   in Loop: Header=BB312_296 Depth=1
	v_and_b32_e32 v10, 0x7f, v14
	v_mov_b32_e32 v42, 0x7fc02000
	s_mov_b32 s18, exec_lo
	s_delay_alu instid0(VALU_DEP_2)
	v_cmpx_ne_u32_e32 0x7f, v10
	s_cbranch_execz .LBB312_425
; %bb.424:                              ;   in Loop: Header=BB312_296 Depth=1
	v_and_b32_e32 v42, 7, v14
	v_cmp_gt_u32_e64 s0, 8, v10
	v_lshrrev_b32_e32 v44, 3, v10
	s_delay_alu instid0(VALU_DEP_3) | instskip(NEXT) | instid1(VALU_DEP_1)
	v_clz_i32_u32_e32 v42, v42
	v_min_u32_e32 v42, 32, v42
	s_delay_alu instid0(VALU_DEP_1) | instskip(SKIP_1) | instid1(VALU_DEP_2)
	v_subrev_nc_u32_e32 v45, 28, v42
	v_sub_nc_u32_e32 v42, 29, v42
	v_cndmask_b32_e64 v10, 0, v45, s0
	s_delay_alu instid0(VALU_DEP_2) | instskip(NEXT) | instid1(VALU_DEP_2)
	v_cndmask_b32_e64 v42, v44, v42, s0
	v_lshlrev_b64 v[44:45], v10, v[14:15]
	v_lshlrev_b32_e32 v10, 8, v14
	s_delay_alu instid0(VALU_DEP_3) | instskip(NEXT) | instid1(VALU_DEP_3)
	v_lshl_add_u32 v42, v42, 10, 0x2000
	v_lshlrev_b32_e32 v44, 7, v44
	s_delay_alu instid0(VALU_DEP_2) | instskip(NEXT) | instid1(VALU_DEP_1)
	v_and_or_b32 v10, 0x8000, v10, v42
	v_and_or_b32 v10, 0x380, v44, v10
	s_delay_alu instid0(VALU_DEP_1)
	v_cvt_f32_f16_e32 v42, v10
.LBB312_425:                            ;   in Loop: Header=BB312_296 Depth=1
	s_or_b32 exec_lo, exec_lo, s18
.LBB312_426:                            ;   in Loop: Header=BB312_296 Depth=1
	s_delay_alu instid0(SALU_CYCLE_1)
	s_or_b32 exec_lo, exec_lo, s17
.LBB312_427:                            ;   in Loop: Header=BB312_296 Depth=1
	s_delay_alu instid0(SALU_CYCLE_1) | instskip(SKIP_2) | instid1(VALU_DEP_1)
	s_or_b32 exec_lo, exec_lo, s15
	v_lshrrev_b16 v10, 8, v14
	s_mov_b32 s15, exec_lo
	v_cmpx_ne_u16_e32 0, v10
	s_cbranch_execz .LBB312_435
; %bb.428:                              ;   in Loop: Header=BB312_296 Depth=1
	v_bfrev_b32_e32 v43, 1
	s_mov_b32 s17, exec_lo
	v_cmpx_ne_u16_e32 0x80, v10
	s_cbranch_execz .LBB312_434
; %bb.429:                              ;   in Loop: Header=BB312_296 Depth=1
	v_and_b32_e32 v44, 0xffff, v10
	v_mov_b32_e32 v43, 0x7fc02000
	s_mov_b32 s18, exec_lo
	s_delay_alu instid0(VALU_DEP_2) | instskip(NEXT) | instid1(VALU_DEP_1)
	v_and_b32_e32 v45, 0x7f, v44
	v_cmpx_ne_u32_e32 0x7f, v45
	s_cbranch_execz .LBB312_433
; %bb.430:                              ;   in Loop: Header=BB312_296 Depth=1
	v_and_b32_e32 v10, 7, v44
	v_lshrrev_b32_e32 v43, 3, v45
	s_mov_b32 s20, exec_lo
	v_cmpx_gt_u32_e32 8, v45
; %bb.431:                              ;   in Loop: Header=BB312_296 Depth=1
	s_delay_alu instid0(VALU_DEP_3) | instskip(NEXT) | instid1(VALU_DEP_1)
	v_clz_i32_u32_e32 v43, v10
	v_min_u32_e32 v43, 32, v43
	s_delay_alu instid0(VALU_DEP_1) | instskip(SKIP_1) | instid1(VALU_DEP_2)
	v_subrev_nc_u32_e32 v45, 28, v43
	v_sub_nc_u32_e32 v43, 29, v43
	v_lshlrev_b64 v[45:46], v45, v[10:11]
	s_delay_alu instid0(VALU_DEP_1)
	v_and_b32_e32 v10, 7, v45
; %bb.432:                              ;   in Loop: Header=BB312_296 Depth=1
	s_or_b32 exec_lo, exec_lo, s20
	v_lshlrev_b32_e32 v44, 8, v44
	v_lshl_add_u32 v43, v43, 10, 0x2000
	s_delay_alu instid0(VALU_DEP_1) | instskip(NEXT) | instid1(VALU_DEP_1)
	v_and_or_b32 v43, 0x8000, v44, v43
	v_lshl_or_b32 v10, v10, 7, v43
	s_delay_alu instid0(VALU_DEP_1)
	v_cvt_f32_f16_e32 v43, v10
.LBB312_433:                            ;   in Loop: Header=BB312_296 Depth=1
	s_or_b32 exec_lo, exec_lo, s18
.LBB312_434:                            ;   in Loop: Header=BB312_296 Depth=1
	s_delay_alu instid0(SALU_CYCLE_1)
	s_or_b32 exec_lo, exec_lo, s17
.LBB312_435:                            ;   in Loop: Header=BB312_296 Depth=1
	s_delay_alu instid0(SALU_CYCLE_1) | instskip(SKIP_3) | instid1(VALU_DEP_2)
	s_or_b32 exec_lo, exec_lo, s15
	v_lshrrev_b32_e32 v46, 16, v14
	v_mov_b32_e32 v44, 0
	s_mov_b32 s15, exec_lo
	v_dual_mov_b32 v45, 0 :: v_dual_and_b32 v10, 0xff, v46
	s_delay_alu instid0(VALU_DEP_1)
	v_cmpx_ne_u16_e32 0, v10
	s_cbranch_execz .LBB312_443
; %bb.436:                              ;   in Loop: Header=BB312_296 Depth=1
	v_bfrev_b32_e32 v44, 1
	s_mov_b32 s17, exec_lo
	v_cmpx_ne_u16_e32 0x80, v10
	s_cbranch_execz .LBB312_442
; %bb.437:                              ;   in Loop: Header=BB312_296 Depth=1
	v_bfe_u32 v47, v14, 16, 7
	v_mov_b32_e32 v44, 0x7fc02000
	s_mov_b32 s18, exec_lo
	s_delay_alu instid0(VALU_DEP_2)
	v_cmpx_ne_u32_e32 0x7f, v47
	s_cbranch_execz .LBB312_441
; %bb.438:                              ;   in Loop: Header=BB312_296 Depth=1
	v_and_b32_e32 v10, 7, v46
	v_lshrrev_b32_e32 v44, 3, v47
	s_mov_b32 s20, exec_lo
	v_cmpx_gt_u32_e32 8, v47
; %bb.439:                              ;   in Loop: Header=BB312_296 Depth=1
	s_delay_alu instid0(VALU_DEP_3) | instskip(NEXT) | instid1(VALU_DEP_1)
	v_clz_i32_u32_e32 v44, v10
	v_min_u32_e32 v44, 32, v44
	s_delay_alu instid0(VALU_DEP_1) | instskip(SKIP_1) | instid1(VALU_DEP_2)
	v_subrev_nc_u32_e32 v47, 28, v44
	v_sub_nc_u32_e32 v44, 29, v44
	v_lshlrev_b64 v[47:48], v47, v[10:11]
	s_delay_alu instid0(VALU_DEP_1)
	v_and_b32_e32 v10, 7, v47
; %bb.440:                              ;   in Loop: Header=BB312_296 Depth=1
	s_or_b32 exec_lo, exec_lo, s20
	v_lshlrev_b32_e32 v46, 8, v46
	v_lshl_add_u32 v44, v44, 10, 0x2000
	s_delay_alu instid0(VALU_DEP_1) | instskip(NEXT) | instid1(VALU_DEP_1)
	v_and_or_b32 v44, 0x8000, v46, v44
	v_lshl_or_b32 v10, v10, 7, v44
	s_delay_alu instid0(VALU_DEP_1)
	v_cvt_f32_f16_e32 v44, v10
.LBB312_441:                            ;   in Loop: Header=BB312_296 Depth=1
	s_or_b32 exec_lo, exec_lo, s18
.LBB312_442:                            ;   in Loop: Header=BB312_296 Depth=1
	s_delay_alu instid0(SALU_CYCLE_1)
	s_or_b32 exec_lo, exec_lo, s17
.LBB312_443:                            ;   in Loop: Header=BB312_296 Depth=1
	s_delay_alu instid0(SALU_CYCLE_1) | instskip(NEXT) | instid1(SALU_CYCLE_1)
	s_or_b32 exec_lo, exec_lo, s15
	s_mov_b32 s15, exec_lo
	v_cmpx_lt_u32_e32 0xffffff, v14
	s_cbranch_execz .LBB312_451
; %bb.444:                              ;   in Loop: Header=BB312_296 Depth=1
	v_lshrrev_b32_e32 v46, 24, v14
	v_bfrev_b32_e32 v45, 1
	s_mov_b32 s17, exec_lo
	s_delay_alu instid0(VALU_DEP_2)
	v_cmpx_ne_u32_e32 0x80, v46
	s_cbranch_execz .LBB312_450
; %bb.445:                              ;   in Loop: Header=BB312_296 Depth=1
	v_and_b32_e32 v47, 0x7f, v46
	v_mov_b32_e32 v45, 0x7fc02000
	s_mov_b32 s18, exec_lo
	s_delay_alu instid0(VALU_DEP_2)
	v_cmpx_ne_u32_e32 0x7f, v47
	s_cbranch_execz .LBB312_449
; %bb.446:                              ;   in Loop: Header=BB312_296 Depth=1
	v_and_b32_e32 v10, 7, v46
	v_lshrrev_b32_e32 v45, 3, v47
	s_mov_b32 s20, exec_lo
	v_cmpx_gt_u32_e32 8, v47
; %bb.447:                              ;   in Loop: Header=BB312_296 Depth=1
	s_delay_alu instid0(VALU_DEP_3) | instskip(NEXT) | instid1(VALU_DEP_1)
	v_clz_i32_u32_e32 v45, v10
	v_min_u32_e32 v45, 32, v45
	s_delay_alu instid0(VALU_DEP_1) | instskip(SKIP_1) | instid1(VALU_DEP_2)
	v_subrev_nc_u32_e32 v47, 28, v45
	v_sub_nc_u32_e32 v45, 29, v45
	v_lshlrev_b64 v[47:48], v47, v[10:11]
	s_delay_alu instid0(VALU_DEP_1)
	v_and_b32_e32 v10, 7, v47
; %bb.448:                              ;   in Loop: Header=BB312_296 Depth=1
	s_or_b32 exec_lo, exec_lo, s20
	v_lshlrev_b32_e32 v46, 8, v46
	v_lshl_add_u32 v45, v45, 10, 0x2000
	s_delay_alu instid0(VALU_DEP_1) | instskip(NEXT) | instid1(VALU_DEP_1)
	v_and_or_b32 v45, 0x8000, v46, v45
	v_lshl_or_b32 v10, v10, 7, v45
	s_delay_alu instid0(VALU_DEP_1)
	v_cvt_f32_f16_e32 v45, v10
.LBB312_449:                            ;   in Loop: Header=BB312_296 Depth=1
	s_or_b32 exec_lo, exec_lo, s18
.LBB312_450:                            ;   in Loop: Header=BB312_296 Depth=1
	s_delay_alu instid0(SALU_CYCLE_1)
	s_or_b32 exec_lo, exec_lo, s17
.LBB312_451:                            ;   in Loop: Header=BB312_296 Depth=1
	s_delay_alu instid0(SALU_CYCLE_1) | instskip(SKIP_4) | instid1(VALU_DEP_3)
	s_or_b32 exec_lo, exec_lo, s15
	v_dual_mov_b32 v47, 0 :: v_dual_and_b32 v48, 0xff, v15
	v_mov_b32_e32 v10, v15
	v_mov_b32_e32 v46, 0
	s_mov_b32 s15, exec_lo
	v_cmpx_ne_u16_e32 0, v48
	s_cbranch_execz .LBB312_457
; %bb.452:                              ;   in Loop: Header=BB312_296 Depth=1
	v_bfrev_b32_e32 v46, 1
	s_mov_b32 s17, exec_lo
	v_cmpx_ne_u16_e32 0x80, v48
	s_cbranch_execz .LBB312_456
; %bb.453:                              ;   in Loop: Header=BB312_296 Depth=1
	v_and_b32_e32 v48, 0x7f, v15
	v_mov_b32_e32 v46, 0x7fc02000
	s_mov_b32 s18, exec_lo
	s_delay_alu instid0(VALU_DEP_2)
	v_cmpx_ne_u32_e32 0x7f, v48
	s_cbranch_execz .LBB312_455
; %bb.454:                              ;   in Loop: Header=BB312_296 Depth=1
	v_and_b32_e32 v46, 7, v15
	v_cmp_gt_u32_e64 s0, 8, v48
	v_lshrrev_b32_e32 v49, 3, v48
	s_delay_alu instid0(VALU_DEP_3) | instskip(NEXT) | instid1(VALU_DEP_1)
	v_clz_i32_u32_e32 v46, v46
	v_min_u32_e32 v46, 32, v46
	s_delay_alu instid0(VALU_DEP_1) | instskip(SKIP_1) | instid1(VALU_DEP_2)
	v_subrev_nc_u32_e32 v50, 28, v46
	v_sub_nc_u32_e32 v46, 29, v46
	v_cndmask_b32_e64 v48, 0, v50, s0
	s_delay_alu instid0(VALU_DEP_2) | instskip(NEXT) | instid1(VALU_DEP_2)
	v_cndmask_b32_e64 v46, v49, v46, s0
	v_lshlrev_b64 v[48:49], v48, v[10:11]
	v_lshlrev_b32_e32 v49, 8, v15
	s_delay_alu instid0(VALU_DEP_3) | instskip(NEXT) | instid1(VALU_DEP_3)
	v_lshl_add_u32 v46, v46, 10, 0x2000
	v_lshlrev_b32_e32 v48, 7, v48
	s_delay_alu instid0(VALU_DEP_2) | instskip(NEXT) | instid1(VALU_DEP_1)
	v_and_or_b32 v46, 0x8000, v49, v46
	v_and_or_b32 v46, 0x380, v48, v46
	s_delay_alu instid0(VALU_DEP_1)
	v_cvt_f32_f16_e32 v46, v46
.LBB312_455:                            ;   in Loop: Header=BB312_296 Depth=1
	s_or_b32 exec_lo, exec_lo, s18
.LBB312_456:                            ;   in Loop: Header=BB312_296 Depth=1
	s_delay_alu instid0(SALU_CYCLE_1)
	s_or_b32 exec_lo, exec_lo, s17
.LBB312_457:                            ;   in Loop: Header=BB312_296 Depth=1
	s_delay_alu instid0(SALU_CYCLE_1) | instskip(SKIP_2) | instid1(VALU_DEP_1)
	s_or_b32 exec_lo, exec_lo, s15
	v_lshrrev_b16 v10, 8, v10
	s_mov_b32 s15, exec_lo
	v_cmpx_ne_u16_e32 0, v10
	s_cbranch_execz .LBB312_465
; %bb.458:                              ;   in Loop: Header=BB312_296 Depth=1
	v_bfrev_b32_e32 v47, 1
	s_mov_b32 s17, exec_lo
	v_cmpx_ne_u16_e32 0x80, v10
	s_cbranch_execz .LBB312_464
; %bb.459:                              ;   in Loop: Header=BB312_296 Depth=1
	v_and_b32_e32 v48, 0xffff, v10
	v_mov_b32_e32 v47, 0x7fc02000
	s_mov_b32 s18, exec_lo
	s_delay_alu instid0(VALU_DEP_2) | instskip(NEXT) | instid1(VALU_DEP_1)
	v_and_b32_e32 v49, 0x7f, v48
	v_cmpx_ne_u32_e32 0x7f, v49
	s_cbranch_execz .LBB312_463
; %bb.460:                              ;   in Loop: Header=BB312_296 Depth=1
	v_and_b32_e32 v10, 7, v48
	v_lshrrev_b32_e32 v47, 3, v49
	s_mov_b32 s20, exec_lo
	v_cmpx_gt_u32_e32 8, v49
; %bb.461:                              ;   in Loop: Header=BB312_296 Depth=1
	s_delay_alu instid0(VALU_DEP_3) | instskip(NEXT) | instid1(VALU_DEP_1)
	v_clz_i32_u32_e32 v47, v10
	v_min_u32_e32 v47, 32, v47
	s_delay_alu instid0(VALU_DEP_1) | instskip(SKIP_1) | instid1(VALU_DEP_2)
	v_subrev_nc_u32_e32 v49, 28, v47
	v_sub_nc_u32_e32 v47, 29, v47
	v_lshlrev_b64 v[49:50], v49, v[10:11]
	s_delay_alu instid0(VALU_DEP_1)
	v_and_b32_e32 v10, 7, v49
; %bb.462:                              ;   in Loop: Header=BB312_296 Depth=1
	s_or_b32 exec_lo, exec_lo, s20
	v_lshlrev_b32_e32 v48, 8, v48
	v_lshl_add_u32 v47, v47, 10, 0x2000
	s_delay_alu instid0(VALU_DEP_1) | instskip(NEXT) | instid1(VALU_DEP_1)
	v_and_or_b32 v47, 0x8000, v48, v47
	v_lshl_or_b32 v10, v10, 7, v47
	s_delay_alu instid0(VALU_DEP_1)
	v_cvt_f32_f16_e32 v47, v10
.LBB312_463:                            ;   in Loop: Header=BB312_296 Depth=1
	s_or_b32 exec_lo, exec_lo, s18
.LBB312_464:                            ;   in Loop: Header=BB312_296 Depth=1
	s_delay_alu instid0(SALU_CYCLE_1)
	s_or_b32 exec_lo, exec_lo, s17
.LBB312_465:                            ;   in Loop: Header=BB312_296 Depth=1
	s_delay_alu instid0(SALU_CYCLE_1) | instskip(SKIP_3) | instid1(VALU_DEP_2)
	s_or_b32 exec_lo, exec_lo, s15
	v_lshrrev_b32_e32 v50, 16, v15
	v_mov_b32_e32 v48, 0
	s_mov_b32 s15, exec_lo
	v_dual_mov_b32 v49, 0 :: v_dual_and_b32 v10, 0xff, v50
	s_delay_alu instid0(VALU_DEP_1)
	v_cmpx_ne_u16_e32 0, v10
	s_cbranch_execz .LBB312_473
; %bb.466:                              ;   in Loop: Header=BB312_296 Depth=1
	v_bfrev_b32_e32 v48, 1
	s_mov_b32 s17, exec_lo
	v_cmpx_ne_u16_e32 0x80, v10
	s_cbranch_execz .LBB312_472
; %bb.467:                              ;   in Loop: Header=BB312_296 Depth=1
	v_bfe_u32 v51, v15, 16, 7
	v_mov_b32_e32 v48, 0x7fc02000
	s_mov_b32 s18, exec_lo
	s_delay_alu instid0(VALU_DEP_2)
	v_cmpx_ne_u32_e32 0x7f, v51
	s_cbranch_execz .LBB312_471
; %bb.468:                              ;   in Loop: Header=BB312_296 Depth=1
	v_and_b32_e32 v10, 7, v50
	v_lshrrev_b32_e32 v48, 3, v51
	s_mov_b32 s20, exec_lo
	v_cmpx_gt_u32_e32 8, v51
; %bb.469:                              ;   in Loop: Header=BB312_296 Depth=1
	s_delay_alu instid0(VALU_DEP_3) | instskip(NEXT) | instid1(VALU_DEP_1)
	v_clz_i32_u32_e32 v48, v10
	v_min_u32_e32 v48, 32, v48
	s_delay_alu instid0(VALU_DEP_1) | instskip(SKIP_1) | instid1(VALU_DEP_2)
	v_subrev_nc_u32_e32 v51, 28, v48
	v_sub_nc_u32_e32 v48, 29, v48
	v_lshlrev_b64 v[51:52], v51, v[10:11]
	s_delay_alu instid0(VALU_DEP_1)
	v_and_b32_e32 v10, 7, v51
; %bb.470:                              ;   in Loop: Header=BB312_296 Depth=1
	s_or_b32 exec_lo, exec_lo, s20
	v_lshlrev_b32_e32 v50, 8, v50
	v_lshl_add_u32 v48, v48, 10, 0x2000
	s_delay_alu instid0(VALU_DEP_1) | instskip(NEXT) | instid1(VALU_DEP_1)
	v_and_or_b32 v48, 0x8000, v50, v48
	v_lshl_or_b32 v10, v10, 7, v48
	s_delay_alu instid0(VALU_DEP_1)
	v_cvt_f32_f16_e32 v48, v10
.LBB312_471:                            ;   in Loop: Header=BB312_296 Depth=1
	s_or_b32 exec_lo, exec_lo, s18
.LBB312_472:                            ;   in Loop: Header=BB312_296 Depth=1
	s_delay_alu instid0(SALU_CYCLE_1)
	s_or_b32 exec_lo, exec_lo, s17
.LBB312_473:                            ;   in Loop: Header=BB312_296 Depth=1
	s_delay_alu instid0(SALU_CYCLE_1) | instskip(NEXT) | instid1(SALU_CYCLE_1)
	s_or_b32 exec_lo, exec_lo, s15
	s_mov_b32 s15, exec_lo
	v_cmpx_lt_u64_e64 s[2:3], v[14:15]
	s_cbranch_execz .LBB312_481
; %bb.474:                              ;   in Loop: Header=BB312_296 Depth=1
	v_lshrrev_b32_e32 v14, 24, v15
	v_bfrev_b32_e32 v49, 1
	s_mov_b32 s17, exec_lo
	s_delay_alu instid0(VALU_DEP_2)
	v_cmpx_ne_u32_e32 0x80, v14
	s_cbranch_execz .LBB312_480
; %bb.475:                              ;   in Loop: Header=BB312_296 Depth=1
	v_and_b32_e32 v50, 0x7f, v14
	v_mov_b32_e32 v49, 0x7fc02000
	s_mov_b32 s18, exec_lo
	s_delay_alu instid0(VALU_DEP_2)
	v_cmpx_ne_u32_e32 0x7f, v50
	s_cbranch_execz .LBB312_479
; %bb.476:                              ;   in Loop: Header=BB312_296 Depth=1
	v_and_b32_e32 v10, 7, v14
	v_lshrrev_b32_e32 v15, 3, v50
	s_mov_b32 s20, exec_lo
	v_cmpx_gt_u32_e32 8, v50
; %bb.477:                              ;   in Loop: Header=BB312_296 Depth=1
	s_delay_alu instid0(VALU_DEP_3) | instskip(NEXT) | instid1(VALU_DEP_1)
	v_clz_i32_u32_e32 v15, v10
	v_min_u32_e32 v15, 32, v15
	s_delay_alu instid0(VALU_DEP_1) | instskip(SKIP_1) | instid1(VALU_DEP_2)
	v_subrev_nc_u32_e32 v49, 28, v15
	v_sub_nc_u32_e32 v15, 29, v15
	v_lshlrev_b64 v[49:50], v49, v[10:11]
	s_delay_alu instid0(VALU_DEP_1)
	v_and_b32_e32 v10, 7, v49
; %bb.478:                              ;   in Loop: Header=BB312_296 Depth=1
	s_or_b32 exec_lo, exec_lo, s20
	v_lshlrev_b32_e32 v14, 8, v14
	v_lshl_add_u32 v15, v15, 10, 0x2000
	s_delay_alu instid0(VALU_DEP_1) | instskip(NEXT) | instid1(VALU_DEP_1)
	v_and_or_b32 v14, 0x8000, v14, v15
	v_lshl_or_b32 v10, v10, 7, v14
	s_delay_alu instid0(VALU_DEP_1)
	v_cvt_f32_f16_e32 v49, v10
.LBB312_479:                            ;   in Loop: Header=BB312_296 Depth=1
	s_or_b32 exec_lo, exec_lo, s18
.LBB312_480:                            ;   in Loop: Header=BB312_296 Depth=1
	s_delay_alu instid0(SALU_CYCLE_1)
	s_or_b32 exec_lo, exec_lo, s17
.LBB312_481:                            ;   in Loop: Header=BB312_296 Depth=1
	s_delay_alu instid0(SALU_CYCLE_1)
	s_or_b32 exec_lo, exec_lo, s15
	s_waitcnt vmcnt(0)
	v_fma_mixlo_f16 v15, v41, v43, 0
	v_fma_mixlo_f16 v10, v41, v45, 0
	;; [unrolled: 1-line block ×5, first 2 shown]
	v_lshlrev_b32_e32 v43, 16, v15
	v_fma_mixlo_f16 v45, v41, v46, 0
	v_fma_mixlo_f16 v46, v41, v49, 0
	;; [unrolled: 1-line block ×3, first 2 shown]
	v_lshlrev_b32_e32 v10, 16, v10
	v_and_b32_e32 v14, 0xffff, v14
	v_and_b32_e32 v42, 0xffff, v42
	v_lshlrev_b32_e32 v44, 16, v44
	v_and_b32_e32 v45, 0xffff, v45
	v_lshlrev_b32_e32 v46, 16, v46
	v_and_b32_e32 v47, 0xffff, v15
	v_or_b32_e32 v41, v10, v14
	v_or_b32_e32 v42, v43, v42
	;; [unrolled: 1-line block ×3, first 2 shown]
	s_delay_alu instid0(VALU_DEP_4)
	v_or_b32_e32 v14, v46, v47
	s_and_saveexec_b32 s15, vcc_lo
	s_cbranch_execz .LBB312_483
; %bb.482:                              ;   in Loop: Header=BB312_296 Depth=1
	v_cmp_gt_i32_e64 s0, s33, v25
	v_lshrrev_b32_e32 v43, 16, v42
	v_lshrrev_b32_e32 v44, 16, v41
	v_lshrrev_b32_e32 v45, 16, v10
	v_lshrrev_b32_e32 v14, 16, v14
	v_cndmask_b32_e64 v42, 0, v42, s0
	v_cmp_gt_i32_e64 s0, s13, v32
	s_delay_alu instid0(VALU_DEP_1) | instskip(SKIP_1) | instid1(VALU_DEP_2)
	v_cndmask_b32_e64 v43, 0, v43, s0
	v_cmp_gt_i32_e64 s0, s13, v31
	v_perm_b32 v42, v43, v42, 0x5040100
	s_delay_alu instid0(VALU_DEP_2) | instskip(SKIP_1) | instid1(VALU_DEP_1)
	v_cndmask_b32_e64 v44, 0, v44, s0
	v_cmp_gt_i32_e64 s0, s33, v30
	v_cndmask_b32_e64 v41, 0, v41, s0
	v_cmp_gt_i32_e64 s0, s13, v29
	s_delay_alu instid0(VALU_DEP_2) | instskip(NEXT) | instid1(VALU_DEP_2)
	v_perm_b32 v41, v44, v41, 0x5040100
	v_cndmask_b32_e64 v45, 0, v45, s0
	v_cmp_gt_i32_e64 s0, s33, v28
	s_delay_alu instid0(VALU_DEP_1) | instskip(SKIP_1) | instid1(VALU_DEP_2)
	v_cndmask_b32_e64 v10, 0, v10, s0
	v_cmp_gt_i32_e64 s0, s13, v27
	v_perm_b32 v10, v45, v10, 0x5040100
	s_delay_alu instid0(VALU_DEP_2) | instskip(SKIP_1) | instid1(VALU_DEP_1)
	v_cndmask_b32_e64 v14, 0, v14, s0
	v_cmp_gt_i32_e64 s0, s33, v26
	v_cndmask_b32_e64 v15, 0, v15, s0
	s_delay_alu instid0(VALU_DEP_1)
	v_perm_b32 v14, v14, v15, 0x5040100
.LBB312_483:                            ;   in Loop: Header=BB312_296 Depth=1
	s_or_b32 exec_lo, exec_lo, s15
	;;#ASMSTART
	v_pk_mul_f16 v15, v38, v42;

	;;#ASMEND
	;;#ASMSTART
	v_pk_mul_f16 v41, v37, v41;

	;;#ASMEND
	;; [unrolled: 4-line block ×4, first 2 shown]
	;;#ASMSTART
	v_pk_add_f16 v15, v15, v41;

	;;#ASMEND
	;;#ASMSTART
	v_pk_add_f16 v10, v15, v10;

	;;#ASMEND
	;; [unrolled: 4-line block ×3, first 2 shown]
	v_dual_mov_b32 v43, 0 :: v_dual_and_b32 v14, 0xffff, v10
	v_lshrrev_b32_e32 v10, 16, v10
	;;#ASMSTART
	v_cvt_f32_f16 v14, v14;
	;;#ASMEND
	;;#ASMSTART
	v_cvt_f32_f16 v15, v10;
	;;#ASMEND
	global_load_b64 v[12:13], v[12:13], off offset:768
	global_load_b32 v41, v11, s[6:7]
	v_mov_b32_e32 v42, 0
	s_mov_b32 s15, exec_lo
	s_waitcnt vmcnt(1)
	v_and_b32_e32 v10, 0xff, v12
	s_delay_alu instid0(VALU_DEP_1)
	v_cmpx_ne_u16_e32 0, v10
	s_cbranch_execz .LBB312_489
; %bb.484:                              ;   in Loop: Header=BB312_296 Depth=1
	v_bfrev_b32_e32 v42, 1
	s_mov_b32 s17, exec_lo
	v_cmpx_ne_u16_e32 0x80, v10
	s_cbranch_execz .LBB312_488
; %bb.485:                              ;   in Loop: Header=BB312_296 Depth=1
	v_and_b32_e32 v10, 0x7f, v12
	v_mov_b32_e32 v42, 0x7fc02000
	s_mov_b32 s18, exec_lo
	s_delay_alu instid0(VALU_DEP_2)
	v_cmpx_ne_u32_e32 0x7f, v10
	s_cbranch_execz .LBB312_487
; %bb.486:                              ;   in Loop: Header=BB312_296 Depth=1
	v_and_b32_e32 v42, 7, v12
	v_cmp_gt_u32_e64 s0, 8, v10
	v_lshrrev_b32_e32 v44, 3, v10
	s_delay_alu instid0(VALU_DEP_3) | instskip(NEXT) | instid1(VALU_DEP_1)
	v_clz_i32_u32_e32 v42, v42
	v_min_u32_e32 v42, 32, v42
	s_delay_alu instid0(VALU_DEP_1) | instskip(SKIP_1) | instid1(VALU_DEP_2)
	v_subrev_nc_u32_e32 v45, 28, v42
	v_sub_nc_u32_e32 v42, 29, v42
	v_cndmask_b32_e64 v10, 0, v45, s0
	s_delay_alu instid0(VALU_DEP_2) | instskip(NEXT) | instid1(VALU_DEP_2)
	v_cndmask_b32_e64 v42, v44, v42, s0
	v_lshlrev_b64 v[44:45], v10, v[12:13]
	v_lshlrev_b32_e32 v10, 8, v12
	s_delay_alu instid0(VALU_DEP_3) | instskip(NEXT) | instid1(VALU_DEP_3)
	v_lshl_add_u32 v42, v42, 10, 0x2000
	v_lshlrev_b32_e32 v44, 7, v44
	s_delay_alu instid0(VALU_DEP_2) | instskip(NEXT) | instid1(VALU_DEP_1)
	v_and_or_b32 v10, 0x8000, v10, v42
	v_and_or_b32 v10, 0x380, v44, v10
	s_delay_alu instid0(VALU_DEP_1)
	v_cvt_f32_f16_e32 v42, v10
.LBB312_487:                            ;   in Loop: Header=BB312_296 Depth=1
	s_or_b32 exec_lo, exec_lo, s18
.LBB312_488:                            ;   in Loop: Header=BB312_296 Depth=1
	s_delay_alu instid0(SALU_CYCLE_1)
	s_or_b32 exec_lo, exec_lo, s17
.LBB312_489:                            ;   in Loop: Header=BB312_296 Depth=1
	s_delay_alu instid0(SALU_CYCLE_1) | instskip(SKIP_2) | instid1(VALU_DEP_1)
	s_or_b32 exec_lo, exec_lo, s15
	v_lshrrev_b16 v10, 8, v12
	s_mov_b32 s15, exec_lo
	v_cmpx_ne_u16_e32 0, v10
	s_cbranch_execz .LBB312_497
; %bb.490:                              ;   in Loop: Header=BB312_296 Depth=1
	v_bfrev_b32_e32 v43, 1
	s_mov_b32 s17, exec_lo
	v_cmpx_ne_u16_e32 0x80, v10
	s_cbranch_execz .LBB312_496
; %bb.491:                              ;   in Loop: Header=BB312_296 Depth=1
	v_and_b32_e32 v44, 0xffff, v10
	v_mov_b32_e32 v43, 0x7fc02000
	s_mov_b32 s18, exec_lo
	s_delay_alu instid0(VALU_DEP_2) | instskip(NEXT) | instid1(VALU_DEP_1)
	v_and_b32_e32 v45, 0x7f, v44
	v_cmpx_ne_u32_e32 0x7f, v45
	s_cbranch_execz .LBB312_495
; %bb.492:                              ;   in Loop: Header=BB312_296 Depth=1
	v_and_b32_e32 v10, 7, v44
	v_lshrrev_b32_e32 v43, 3, v45
	s_mov_b32 s20, exec_lo
	v_cmpx_gt_u32_e32 8, v45
; %bb.493:                              ;   in Loop: Header=BB312_296 Depth=1
	s_delay_alu instid0(VALU_DEP_3) | instskip(NEXT) | instid1(VALU_DEP_1)
	v_clz_i32_u32_e32 v43, v10
	v_min_u32_e32 v43, 32, v43
	s_delay_alu instid0(VALU_DEP_1) | instskip(SKIP_1) | instid1(VALU_DEP_2)
	v_subrev_nc_u32_e32 v45, 28, v43
	v_sub_nc_u32_e32 v43, 29, v43
	v_lshlrev_b64 v[45:46], v45, v[10:11]
	s_delay_alu instid0(VALU_DEP_1)
	v_and_b32_e32 v10, 7, v45
; %bb.494:                              ;   in Loop: Header=BB312_296 Depth=1
	s_or_b32 exec_lo, exec_lo, s20
	v_lshlrev_b32_e32 v44, 8, v44
	v_lshl_add_u32 v43, v43, 10, 0x2000
	s_delay_alu instid0(VALU_DEP_1) | instskip(NEXT) | instid1(VALU_DEP_1)
	v_and_or_b32 v43, 0x8000, v44, v43
	v_lshl_or_b32 v10, v10, 7, v43
	s_delay_alu instid0(VALU_DEP_1)
	v_cvt_f32_f16_e32 v43, v10
.LBB312_495:                            ;   in Loop: Header=BB312_296 Depth=1
	s_or_b32 exec_lo, exec_lo, s18
.LBB312_496:                            ;   in Loop: Header=BB312_296 Depth=1
	s_delay_alu instid0(SALU_CYCLE_1)
	s_or_b32 exec_lo, exec_lo, s17
.LBB312_497:                            ;   in Loop: Header=BB312_296 Depth=1
	s_delay_alu instid0(SALU_CYCLE_1) | instskip(SKIP_3) | instid1(VALU_DEP_2)
	s_or_b32 exec_lo, exec_lo, s15
	v_lshrrev_b32_e32 v46, 16, v12
	v_mov_b32_e32 v44, 0
	s_mov_b32 s15, exec_lo
	v_dual_mov_b32 v45, 0 :: v_dual_and_b32 v10, 0xff, v46
	s_delay_alu instid0(VALU_DEP_1)
	v_cmpx_ne_u16_e32 0, v10
	s_cbranch_execz .LBB312_505
; %bb.498:                              ;   in Loop: Header=BB312_296 Depth=1
	v_bfrev_b32_e32 v44, 1
	s_mov_b32 s17, exec_lo
	v_cmpx_ne_u16_e32 0x80, v10
	s_cbranch_execz .LBB312_504
; %bb.499:                              ;   in Loop: Header=BB312_296 Depth=1
	v_bfe_u32 v47, v12, 16, 7
	v_mov_b32_e32 v44, 0x7fc02000
	s_mov_b32 s18, exec_lo
	s_delay_alu instid0(VALU_DEP_2)
	v_cmpx_ne_u32_e32 0x7f, v47
	s_cbranch_execz .LBB312_503
; %bb.500:                              ;   in Loop: Header=BB312_296 Depth=1
	v_and_b32_e32 v10, 7, v46
	v_lshrrev_b32_e32 v44, 3, v47
	s_mov_b32 s20, exec_lo
	v_cmpx_gt_u32_e32 8, v47
; %bb.501:                              ;   in Loop: Header=BB312_296 Depth=1
	s_delay_alu instid0(VALU_DEP_3) | instskip(NEXT) | instid1(VALU_DEP_1)
	v_clz_i32_u32_e32 v44, v10
	v_min_u32_e32 v44, 32, v44
	s_delay_alu instid0(VALU_DEP_1) | instskip(SKIP_1) | instid1(VALU_DEP_2)
	v_subrev_nc_u32_e32 v47, 28, v44
	v_sub_nc_u32_e32 v44, 29, v44
	v_lshlrev_b64 v[47:48], v47, v[10:11]
	s_delay_alu instid0(VALU_DEP_1)
	v_and_b32_e32 v10, 7, v47
; %bb.502:                              ;   in Loop: Header=BB312_296 Depth=1
	s_or_b32 exec_lo, exec_lo, s20
	v_lshlrev_b32_e32 v46, 8, v46
	v_lshl_add_u32 v44, v44, 10, 0x2000
	s_delay_alu instid0(VALU_DEP_1) | instskip(NEXT) | instid1(VALU_DEP_1)
	v_and_or_b32 v44, 0x8000, v46, v44
	v_lshl_or_b32 v10, v10, 7, v44
	s_delay_alu instid0(VALU_DEP_1)
	v_cvt_f32_f16_e32 v44, v10
.LBB312_503:                            ;   in Loop: Header=BB312_296 Depth=1
	s_or_b32 exec_lo, exec_lo, s18
.LBB312_504:                            ;   in Loop: Header=BB312_296 Depth=1
	s_delay_alu instid0(SALU_CYCLE_1)
	s_or_b32 exec_lo, exec_lo, s17
.LBB312_505:                            ;   in Loop: Header=BB312_296 Depth=1
	s_delay_alu instid0(SALU_CYCLE_1) | instskip(NEXT) | instid1(SALU_CYCLE_1)
	s_or_b32 exec_lo, exec_lo, s15
	s_mov_b32 s15, exec_lo
	v_cmpx_lt_u32_e32 0xffffff, v12
	s_cbranch_execz .LBB312_513
; %bb.506:                              ;   in Loop: Header=BB312_296 Depth=1
	v_lshrrev_b32_e32 v46, 24, v12
	v_bfrev_b32_e32 v45, 1
	s_mov_b32 s17, exec_lo
	s_delay_alu instid0(VALU_DEP_2)
	v_cmpx_ne_u32_e32 0x80, v46
	s_cbranch_execz .LBB312_512
; %bb.507:                              ;   in Loop: Header=BB312_296 Depth=1
	v_and_b32_e32 v47, 0x7f, v46
	v_mov_b32_e32 v45, 0x7fc02000
	s_mov_b32 s18, exec_lo
	s_delay_alu instid0(VALU_DEP_2)
	v_cmpx_ne_u32_e32 0x7f, v47
	s_cbranch_execz .LBB312_511
; %bb.508:                              ;   in Loop: Header=BB312_296 Depth=1
	v_and_b32_e32 v10, 7, v46
	v_lshrrev_b32_e32 v45, 3, v47
	s_mov_b32 s20, exec_lo
	v_cmpx_gt_u32_e32 8, v47
; %bb.509:                              ;   in Loop: Header=BB312_296 Depth=1
	s_delay_alu instid0(VALU_DEP_3) | instskip(NEXT) | instid1(VALU_DEP_1)
	v_clz_i32_u32_e32 v45, v10
	v_min_u32_e32 v45, 32, v45
	s_delay_alu instid0(VALU_DEP_1) | instskip(SKIP_1) | instid1(VALU_DEP_2)
	v_subrev_nc_u32_e32 v47, 28, v45
	v_sub_nc_u32_e32 v45, 29, v45
	v_lshlrev_b64 v[47:48], v47, v[10:11]
	s_delay_alu instid0(VALU_DEP_1)
	v_and_b32_e32 v10, 7, v47
; %bb.510:                              ;   in Loop: Header=BB312_296 Depth=1
	s_or_b32 exec_lo, exec_lo, s20
	v_lshlrev_b32_e32 v46, 8, v46
	v_lshl_add_u32 v45, v45, 10, 0x2000
	s_delay_alu instid0(VALU_DEP_1) | instskip(NEXT) | instid1(VALU_DEP_1)
	v_and_or_b32 v45, 0x8000, v46, v45
	v_lshl_or_b32 v10, v10, 7, v45
	s_delay_alu instid0(VALU_DEP_1)
	v_cvt_f32_f16_e32 v45, v10
.LBB312_511:                            ;   in Loop: Header=BB312_296 Depth=1
	s_or_b32 exec_lo, exec_lo, s18
.LBB312_512:                            ;   in Loop: Header=BB312_296 Depth=1
	s_delay_alu instid0(SALU_CYCLE_1)
	s_or_b32 exec_lo, exec_lo, s17
.LBB312_513:                            ;   in Loop: Header=BB312_296 Depth=1
	s_delay_alu instid0(SALU_CYCLE_1) | instskip(SKIP_4) | instid1(VALU_DEP_3)
	s_or_b32 exec_lo, exec_lo, s15
	v_dual_mov_b32 v47, 0 :: v_dual_and_b32 v48, 0xff, v13
	v_mov_b32_e32 v10, v13
	v_mov_b32_e32 v46, 0
	s_mov_b32 s15, exec_lo
	v_cmpx_ne_u16_e32 0, v48
	s_cbranch_execz .LBB312_519
; %bb.514:                              ;   in Loop: Header=BB312_296 Depth=1
	v_bfrev_b32_e32 v46, 1
	s_mov_b32 s17, exec_lo
	v_cmpx_ne_u16_e32 0x80, v48
	s_cbranch_execz .LBB312_518
; %bb.515:                              ;   in Loop: Header=BB312_296 Depth=1
	v_and_b32_e32 v48, 0x7f, v13
	v_mov_b32_e32 v46, 0x7fc02000
	s_mov_b32 s18, exec_lo
	s_delay_alu instid0(VALU_DEP_2)
	v_cmpx_ne_u32_e32 0x7f, v48
	s_cbranch_execz .LBB312_517
; %bb.516:                              ;   in Loop: Header=BB312_296 Depth=1
	v_and_b32_e32 v46, 7, v13
	v_cmp_gt_u32_e64 s0, 8, v48
	v_lshrrev_b32_e32 v49, 3, v48
	s_delay_alu instid0(VALU_DEP_3) | instskip(NEXT) | instid1(VALU_DEP_1)
	v_clz_i32_u32_e32 v46, v46
	v_min_u32_e32 v46, 32, v46
	s_delay_alu instid0(VALU_DEP_1) | instskip(SKIP_1) | instid1(VALU_DEP_2)
	v_subrev_nc_u32_e32 v50, 28, v46
	v_sub_nc_u32_e32 v46, 29, v46
	v_cndmask_b32_e64 v48, 0, v50, s0
	s_delay_alu instid0(VALU_DEP_2) | instskip(NEXT) | instid1(VALU_DEP_2)
	v_cndmask_b32_e64 v46, v49, v46, s0
	v_lshlrev_b64 v[48:49], v48, v[10:11]
	v_lshlrev_b32_e32 v49, 8, v13
	s_delay_alu instid0(VALU_DEP_3) | instskip(NEXT) | instid1(VALU_DEP_3)
	v_lshl_add_u32 v46, v46, 10, 0x2000
	v_lshlrev_b32_e32 v48, 7, v48
	s_delay_alu instid0(VALU_DEP_2) | instskip(NEXT) | instid1(VALU_DEP_1)
	v_and_or_b32 v46, 0x8000, v49, v46
	v_and_or_b32 v46, 0x380, v48, v46
	s_delay_alu instid0(VALU_DEP_1)
	v_cvt_f32_f16_e32 v46, v46
.LBB312_517:                            ;   in Loop: Header=BB312_296 Depth=1
	s_or_b32 exec_lo, exec_lo, s18
.LBB312_518:                            ;   in Loop: Header=BB312_296 Depth=1
	s_delay_alu instid0(SALU_CYCLE_1)
	s_or_b32 exec_lo, exec_lo, s17
.LBB312_519:                            ;   in Loop: Header=BB312_296 Depth=1
	s_delay_alu instid0(SALU_CYCLE_1) | instskip(SKIP_2) | instid1(VALU_DEP_1)
	s_or_b32 exec_lo, exec_lo, s15
	v_lshrrev_b16 v10, 8, v10
	s_mov_b32 s15, exec_lo
	v_cmpx_ne_u16_e32 0, v10
	s_cbranch_execz .LBB312_527
; %bb.520:                              ;   in Loop: Header=BB312_296 Depth=1
	v_bfrev_b32_e32 v47, 1
	s_mov_b32 s17, exec_lo
	v_cmpx_ne_u16_e32 0x80, v10
	s_cbranch_execz .LBB312_526
; %bb.521:                              ;   in Loop: Header=BB312_296 Depth=1
	v_and_b32_e32 v48, 0xffff, v10
	v_mov_b32_e32 v47, 0x7fc02000
	s_mov_b32 s18, exec_lo
	s_delay_alu instid0(VALU_DEP_2) | instskip(NEXT) | instid1(VALU_DEP_1)
	v_and_b32_e32 v49, 0x7f, v48
	v_cmpx_ne_u32_e32 0x7f, v49
	s_cbranch_execz .LBB312_525
; %bb.522:                              ;   in Loop: Header=BB312_296 Depth=1
	v_and_b32_e32 v10, 7, v48
	v_lshrrev_b32_e32 v47, 3, v49
	s_mov_b32 s20, exec_lo
	v_cmpx_gt_u32_e32 8, v49
; %bb.523:                              ;   in Loop: Header=BB312_296 Depth=1
	s_delay_alu instid0(VALU_DEP_3) | instskip(NEXT) | instid1(VALU_DEP_1)
	v_clz_i32_u32_e32 v47, v10
	v_min_u32_e32 v47, 32, v47
	s_delay_alu instid0(VALU_DEP_1) | instskip(SKIP_1) | instid1(VALU_DEP_2)
	v_subrev_nc_u32_e32 v49, 28, v47
	v_sub_nc_u32_e32 v47, 29, v47
	v_lshlrev_b64 v[49:50], v49, v[10:11]
	s_delay_alu instid0(VALU_DEP_1)
	v_and_b32_e32 v10, 7, v49
; %bb.524:                              ;   in Loop: Header=BB312_296 Depth=1
	s_or_b32 exec_lo, exec_lo, s20
	v_lshlrev_b32_e32 v48, 8, v48
	v_lshl_add_u32 v47, v47, 10, 0x2000
	s_delay_alu instid0(VALU_DEP_1) | instskip(NEXT) | instid1(VALU_DEP_1)
	v_and_or_b32 v47, 0x8000, v48, v47
	v_lshl_or_b32 v10, v10, 7, v47
	s_delay_alu instid0(VALU_DEP_1)
	v_cvt_f32_f16_e32 v47, v10
.LBB312_525:                            ;   in Loop: Header=BB312_296 Depth=1
	s_or_b32 exec_lo, exec_lo, s18
.LBB312_526:                            ;   in Loop: Header=BB312_296 Depth=1
	s_delay_alu instid0(SALU_CYCLE_1)
	s_or_b32 exec_lo, exec_lo, s17
.LBB312_527:                            ;   in Loop: Header=BB312_296 Depth=1
	s_delay_alu instid0(SALU_CYCLE_1) | instskip(SKIP_3) | instid1(VALU_DEP_2)
	s_or_b32 exec_lo, exec_lo, s15
	v_lshrrev_b32_e32 v50, 16, v13
	v_mov_b32_e32 v48, 0
	s_mov_b32 s15, exec_lo
	v_dual_mov_b32 v49, 0 :: v_dual_and_b32 v10, 0xff, v50
	s_delay_alu instid0(VALU_DEP_1)
	v_cmpx_ne_u16_e32 0, v10
	s_cbranch_execz .LBB312_535
; %bb.528:                              ;   in Loop: Header=BB312_296 Depth=1
	v_bfrev_b32_e32 v48, 1
	s_mov_b32 s17, exec_lo
	v_cmpx_ne_u16_e32 0x80, v10
	s_cbranch_execz .LBB312_534
; %bb.529:                              ;   in Loop: Header=BB312_296 Depth=1
	v_bfe_u32 v51, v13, 16, 7
	v_mov_b32_e32 v48, 0x7fc02000
	s_mov_b32 s18, exec_lo
	s_delay_alu instid0(VALU_DEP_2)
	v_cmpx_ne_u32_e32 0x7f, v51
	s_cbranch_execz .LBB312_533
; %bb.530:                              ;   in Loop: Header=BB312_296 Depth=1
	v_and_b32_e32 v10, 7, v50
	v_lshrrev_b32_e32 v48, 3, v51
	s_mov_b32 s20, exec_lo
	v_cmpx_gt_u32_e32 8, v51
; %bb.531:                              ;   in Loop: Header=BB312_296 Depth=1
	s_delay_alu instid0(VALU_DEP_3) | instskip(NEXT) | instid1(VALU_DEP_1)
	v_clz_i32_u32_e32 v48, v10
	v_min_u32_e32 v48, 32, v48
	s_delay_alu instid0(VALU_DEP_1) | instskip(SKIP_1) | instid1(VALU_DEP_2)
	v_subrev_nc_u32_e32 v51, 28, v48
	v_sub_nc_u32_e32 v48, 29, v48
	v_lshlrev_b64 v[51:52], v51, v[10:11]
	s_delay_alu instid0(VALU_DEP_1)
	v_and_b32_e32 v10, 7, v51
; %bb.532:                              ;   in Loop: Header=BB312_296 Depth=1
	s_or_b32 exec_lo, exec_lo, s20
	v_lshlrev_b32_e32 v50, 8, v50
	v_lshl_add_u32 v48, v48, 10, 0x2000
	s_delay_alu instid0(VALU_DEP_1) | instskip(NEXT) | instid1(VALU_DEP_1)
	v_and_or_b32 v48, 0x8000, v50, v48
	v_lshl_or_b32 v10, v10, 7, v48
	s_delay_alu instid0(VALU_DEP_1)
	v_cvt_f32_f16_e32 v48, v10
.LBB312_533:                            ;   in Loop: Header=BB312_296 Depth=1
	s_or_b32 exec_lo, exec_lo, s18
.LBB312_534:                            ;   in Loop: Header=BB312_296 Depth=1
	s_delay_alu instid0(SALU_CYCLE_1)
	s_or_b32 exec_lo, exec_lo, s17
.LBB312_535:                            ;   in Loop: Header=BB312_296 Depth=1
	s_delay_alu instid0(SALU_CYCLE_1) | instskip(NEXT) | instid1(SALU_CYCLE_1)
	s_or_b32 exec_lo, exec_lo, s15
	s_mov_b32 s15, exec_lo
	v_cmpx_lt_u64_e64 s[2:3], v[12:13]
	s_cbranch_execz .LBB312_543
; %bb.536:                              ;   in Loop: Header=BB312_296 Depth=1
	v_lshrrev_b32_e32 v12, 24, v13
	v_bfrev_b32_e32 v49, 1
	s_mov_b32 s17, exec_lo
	s_delay_alu instid0(VALU_DEP_2)
	v_cmpx_ne_u32_e32 0x80, v12
	s_cbranch_execz .LBB312_542
; %bb.537:                              ;   in Loop: Header=BB312_296 Depth=1
	v_and_b32_e32 v50, 0x7f, v12
	v_mov_b32_e32 v49, 0x7fc02000
	s_mov_b32 s18, exec_lo
	s_delay_alu instid0(VALU_DEP_2)
	v_cmpx_ne_u32_e32 0x7f, v50
	s_cbranch_execz .LBB312_541
; %bb.538:                              ;   in Loop: Header=BB312_296 Depth=1
	v_and_b32_e32 v10, 7, v12
	v_lshrrev_b32_e32 v13, 3, v50
	s_mov_b32 s20, exec_lo
	v_cmpx_gt_u32_e32 8, v50
; %bb.539:                              ;   in Loop: Header=BB312_296 Depth=1
	s_delay_alu instid0(VALU_DEP_3) | instskip(NEXT) | instid1(VALU_DEP_1)
	v_clz_i32_u32_e32 v13, v10
	v_min_u32_e32 v13, 32, v13
	s_delay_alu instid0(VALU_DEP_1) | instskip(SKIP_1) | instid1(VALU_DEP_2)
	v_subrev_nc_u32_e32 v49, 28, v13
	v_sub_nc_u32_e32 v13, 29, v13
	v_lshlrev_b64 v[49:50], v49, v[10:11]
	s_delay_alu instid0(VALU_DEP_1)
	v_and_b32_e32 v10, 7, v49
; %bb.540:                              ;   in Loop: Header=BB312_296 Depth=1
	s_or_b32 exec_lo, exec_lo, s20
	v_lshlrev_b32_e32 v12, 8, v12
	v_lshl_add_u32 v13, v13, 10, 0x2000
	s_delay_alu instid0(VALU_DEP_1) | instskip(NEXT) | instid1(VALU_DEP_1)
	v_and_or_b32 v12, 0x8000, v12, v13
	v_lshl_or_b32 v10, v10, 7, v12
	s_delay_alu instid0(VALU_DEP_1)
	v_cvt_f32_f16_e32 v49, v10
.LBB312_541:                            ;   in Loop: Header=BB312_296 Depth=1
	s_or_b32 exec_lo, exec_lo, s18
.LBB312_542:                            ;   in Loop: Header=BB312_296 Depth=1
	s_delay_alu instid0(SALU_CYCLE_1)
	s_or_b32 exec_lo, exec_lo, s17
.LBB312_543:                            ;   in Loop: Header=BB312_296 Depth=1
	s_delay_alu instid0(SALU_CYCLE_1)
	s_or_b32 exec_lo, exec_lo, s15
	s_waitcnt vmcnt(0)
	v_fma_mixlo_f16 v13, v41, v43, 0
	v_fma_mixlo_f16 v10, v41, v45, 0
	;; [unrolled: 1-line block ×5, first 2 shown]
	v_lshlrev_b32_e32 v43, 16, v13
	v_fma_mixlo_f16 v13, v41, v42, 0
	v_fma_mixlo_f16 v42, v41, v47, 0
	;; [unrolled: 1-line block ×3, first 2 shown]
	v_lshlrev_b32_e32 v10, 16, v10
	v_and_b32_e32 v12, 0xffff, v12
	v_and_b32_e32 v46, 0xffff, v13
	v_lshlrev_b32_e32 v47, 16, v42
	v_and_b32_e32 v44, 0xffff, v44
	v_lshlrev_b32_e32 v45, 16, v45
	v_and_b32_e32 v48, 0xffff, v41
	v_or_b32_e32 v13, v10, v12
	v_or_b32_e32 v42, v43, v46
	;; [unrolled: 1-line block ×3, first 2 shown]
	s_delay_alu instid0(VALU_DEP_4)
	v_or_b32_e32 v12, v45, v48
	s_and_saveexec_b32 s0, vcc_lo
	s_cbranch_execz .LBB312_294
; %bb.544:                              ;   in Loop: Header=BB312_296 Depth=1
	v_cmp_gt_i32_e32 vcc_lo, s33, v25
	v_lshrrev_b32_e32 v43, 16, v42
	v_lshrrev_b32_e32 v44, 16, v13
	;; [unrolled: 1-line block ×3, first 2 shown]
	v_cndmask_b32_e32 v25, 0, v42, vcc_lo
	v_cmp_gt_i32_e32 vcc_lo, s13, v32
	v_lshrrev_b32_e32 v42, 16, v10
	v_cndmask_b32_e32 v32, 0, v43, vcc_lo
	v_cmp_gt_i32_e32 vcc_lo, s13, v31
	v_cndmask_b32_e32 v31, 0, v44, vcc_lo
	v_cmp_gt_i32_e32 vcc_lo, s33, v30
	;; [unrolled: 2-line block ×4, first 2 shown]
	v_perm_b32 v42, v32, v25, 0x5040100
	v_cndmask_b32_e32 v10, 0, v10, vcc_lo
	v_cmp_gt_i32_e32 vcc_lo, s13, v27
	v_cndmask_b32_e32 v12, 0, v12, vcc_lo
	v_cmp_gt_i32_e32 vcc_lo, s33, v26
	v_perm_b32 v13, v31, v13, 0x5040100
	v_cndmask_b32_e32 v26, 0, v41, vcc_lo
	v_perm_b32 v10, v29, v10, 0x5040100
	s_delay_alu instid0(VALU_DEP_2)
	v_perm_b32 v12, v12, v26, 0x5040100
	s_branch .LBB312_294
.LBB312_545:
	s_or_b32 exec_lo, exec_lo, s12
.LBB312_546:
	s_delay_alu instid0(SALU_CYCLE_1)
	s_or_b32 exec_lo, exec_lo, s1
	ds_bpermute_b32 v5, v21, v1
	ds_bpermute_b32 v9, v21, v2
	;; [unrolled: 1-line block ×4, first 2 shown]
	v_lshrrev_b32_e32 v7, 1, v20
	v_lshl_add_u32 v8, v18, 8, 0xa0
	v_and_b32_e32 v12, 0x3c1, v0
	s_mov_b32 s0, exec_lo
	s_waitcnt lgkmcnt(0)
	s_waitcnt_vscnt null, 0x0
	s_barrier
	buffer_gl0_inv
	v_add_f32_e32 v6, v1, v5
	v_dual_add_f32 v5, v2, v9 :: v_dual_add_f32 v2, v3, v10
	v_add_f32_e32 v1, v4, v11
	v_cmpx_eq_u32_e32 64, v12
	s_cbranch_execz .LBB312_548
; %bb.547:
	v_lshlrev_b32_e32 v3, 2, v7
	s_delay_alu instid0(VALU_DEP_1)
	v_add3_u32 v3, v8, v3, 0xfffffe00
	ds_store_2addr_b32 v3, v6, v5 offset1:16
	ds_store_2addr_b32 v3, v2, v1 offset0:32 offset1:48
.LBB312_548:
	s_or_b32 exec_lo, exec_lo, s0
	v_cmp_eq_u32_e32 vcc_lo, 0, v17
	s_mov_b32 s1, exec_lo
	s_waitcnt lgkmcnt(0)
	s_barrier
	buffer_gl0_inv
	v_cmpx_gt_u32_e32 64, v0
	s_cbranch_execz .LBB312_555
; %bb.549:
	s_and_saveexec_b32 s0, vcc_lo
	s_cbranch_execnz .LBB312_567
; %bb.550:
	s_or_b32 exec_lo, exec_lo, s0
	s_and_saveexec_b32 s0, vcc_lo
	s_cbranch_execnz .LBB312_568
.LBB312_551:
	s_or_b32 exec_lo, exec_lo, s0
	s_and_saveexec_b32 s0, vcc_lo
	s_cbranch_execnz .LBB312_569
.LBB312_552:
	s_or_b32 exec_lo, exec_lo, s0
	s_and_saveexec_b32 s0, vcc_lo
	s_cbranch_execz .LBB312_554
.LBB312_553:
	v_lshl_add_u32 v3, v7, 2, v8
	ds_load_b32 v3, v3 offset:192
	s_waitcnt lgkmcnt(0)
	v_add_f32_e32 v1, v1, v3
.LBB312_554:
	s_or_b32 exec_lo, exec_lo, s0
.LBB312_555:
	s_delay_alu instid0(SALU_CYCLE_1)
	s_or_b32 exec_lo, exec_lo, s1
	v_and_b32_e32 v3, 0x3e1, v0
	s_mov_b32 s1, exec_lo
	s_barrier
	buffer_gl0_inv
	v_cmpx_eq_u32_e32 32, v3
	s_cbranch_execz .LBB312_557
; %bb.556:
	v_lshl_add_u32 v4, v7, 2, 0xa0
	ds_store_2addr_b32 v4, v6, v5 offset1:16
	ds_store_2addr_b32 v4, v2, v1 offset0:32 offset1:48
.LBB312_557:
	s_or_b32 exec_lo, exec_lo, s1
	s_delay_alu instid0(SALU_CYCLE_1)
	s_mov_b32 s1, exec_lo
	s_waitcnt lgkmcnt(0)
	s_barrier
	buffer_gl0_inv
	v_cmpx_gt_u32_e32 32, v0
	s_cbranch_execz .LBB312_564
; %bb.558:
	v_lshl_add_u32 v0, v7, 2, v8
	s_and_saveexec_b32 s0, vcc_lo
	s_cbranch_execnz .LBB312_570
; %bb.559:
	s_or_b32 exec_lo, exec_lo, s0
	s_and_saveexec_b32 s0, vcc_lo
	s_cbranch_execnz .LBB312_571
.LBB312_560:
	s_or_b32 exec_lo, exec_lo, s0
	s_and_saveexec_b32 s0, vcc_lo
	s_cbranch_execnz .LBB312_572
.LBB312_561:
	s_or_b32 exec_lo, exec_lo, s0
	s_and_saveexec_b32 s0, vcc_lo
	s_cbranch_execz .LBB312_563
.LBB312_562:
	ds_load_b32 v0, v0 offset:192
	s_waitcnt lgkmcnt(0)
	v_add_f32_e32 v1, v1, v0
.LBB312_563:
	s_or_b32 exec_lo, exec_lo, s0
.LBB312_564:
	s_delay_alu instid0(SALU_CYCLE_1)
	s_or_b32 exec_lo, exec_lo, s1
	s_barrier
	buffer_gl0_inv
	s_mov_b32 s0, exec_lo
	v_cmpx_eq_u32_e32 0, v3
	s_cbranch_execz .LBB312_566
; %bb.565:
	s_lshl_b32 s0, s4, 6
	s_mul_i32 s2, s8, s26
	s_ashr_i32 s1, s0, 31
	v_lshlrev_b32_e32 v0, 1, v16
	s_lshl_b64 s[0:1], s[0:1], 1
	;;#ASMSTART
	v_cvt_f16_f32 v3, v6;

	;;#ASMEND
	s_add_u32 s4, s28, s0
	s_addc_u32 s5, s29, s1
	s_ashr_i32 s3, s2, 31
	s_delay_alu instid0(SALU_CYCLE_1) | instskip(NEXT) | instid1(SALU_CYCLE_1)
	s_lshl_b64 s[0:1], s[2:3], 1
	s_add_u32 s2, s4, s0
	s_addc_u32 s3, s5, s1
	s_lshl_b32 s0, s24, 6
	s_delay_alu instid0(SALU_CYCLE_1) | instskip(NEXT) | instid1(SALU_CYCLE_1)
	s_ashr_i32 s1, s0, 31
	s_lshl_b64 s[0:1], s[0:1], 1
	s_delay_alu instid0(SALU_CYCLE_1)
	s_add_u32 s0, s2, s0
	s_addc_u32 s1, s3, s1
	global_store_b16 v0, v3, s[0:1]
	;;#ASMSTART
	v_cvt_f16_f32 v3, v5;

	;;#ASMEND
	global_store_b16 v0, v3, s[0:1] offset:32
	;;#ASMSTART
	v_cvt_f16_f32 v2, v2;

	;;#ASMEND
	global_store_b16 v0, v2, s[0:1] offset:64
	;; [unrolled: 5-line block ×3, first 2 shown]
.LBB312_566:
	s_nop 0
	s_sendmsg sendmsg(MSG_DEALLOC_VGPRS)
	s_endpgm
.LBB312_567:
	v_lshl_add_u32 v3, v7, 2, v8
	ds_load_b32 v3, v3
	s_waitcnt lgkmcnt(0)
	v_add_f32_e32 v6, v6, v3
	s_or_b32 exec_lo, exec_lo, s0
	s_and_saveexec_b32 s0, vcc_lo
	s_cbranch_execz .LBB312_551
.LBB312_568:
	v_lshl_add_u32 v3, v7, 2, v8
	ds_load_b32 v3, v3 offset:64
	s_waitcnt lgkmcnt(0)
	v_add_f32_e32 v5, v5, v3
	s_or_b32 exec_lo, exec_lo, s0
	s_and_saveexec_b32 s0, vcc_lo
	s_cbranch_execz .LBB312_552
.LBB312_569:
	v_lshl_add_u32 v3, v7, 2, v8
	ds_load_b32 v3, v3 offset:128
	s_waitcnt lgkmcnt(0)
	v_add_f32_e32 v2, v2, v3
	s_or_b32 exec_lo, exec_lo, s0
	s_and_saveexec_b32 s0, vcc_lo
	s_cbranch_execnz .LBB312_553
	s_branch .LBB312_554
.LBB312_570:
	ds_load_b32 v4, v0
	s_waitcnt lgkmcnt(0)
	v_add_f32_e32 v6, v6, v4
	s_or_b32 exec_lo, exec_lo, s0
	s_and_saveexec_b32 s0, vcc_lo
	s_cbranch_execz .LBB312_560
.LBB312_571:
	ds_load_b32 v4, v0 offset:64
	s_waitcnt lgkmcnt(0)
	v_add_f32_e32 v5, v5, v4
	s_or_b32 exec_lo, exec_lo, s0
	s_and_saveexec_b32 s0, vcc_lo
	s_cbranch_execz .LBB312_561
.LBB312_572:
	ds_load_b32 v4, v0 offset:128
	s_waitcnt lgkmcnt(0)
	v_add_f32_e32 v2, v2, v4
	s_or_b32 exec_lo, exec_lo, s0
	s_and_saveexec_b32 s0, vcc_lo
	s_cbranch_execnz .LBB312_562
	s_branch .LBB312_563
	.section	.rodata,"a",@progbits
	.p2align	6, 0x0
	.amdhsa_kernel _ZN4vllm25paged_attention_v2_kernelIthLi64ELi16ELi128ELNS_18Fp8KVCacheDataTypeE1ELb1ELi512EEEvPfS2_PT_PKS3_PKT0_S9_ifPKiSB_iPKfiiiSD_SD_iiiii
		.amdhsa_group_segment_fixed_size 160
		.amdhsa_private_segment_fixed_size 0
		.amdhsa_kernarg_size 400
		.amdhsa_user_sgpr_count 13
		.amdhsa_user_sgpr_dispatch_ptr 0
		.amdhsa_user_sgpr_queue_ptr 0
		.amdhsa_user_sgpr_kernarg_segment_ptr 1
		.amdhsa_user_sgpr_dispatch_id 0
		.amdhsa_user_sgpr_private_segment_size 0
		.amdhsa_wavefront_size32 1
		.amdhsa_uses_dynamic_stack 0
		.amdhsa_enable_private_segment 0
		.amdhsa_system_sgpr_workgroup_id_x 1
		.amdhsa_system_sgpr_workgroup_id_y 1
		.amdhsa_system_sgpr_workgroup_id_z 1
		.amdhsa_system_sgpr_workgroup_info 0
		.amdhsa_system_vgpr_workitem_id 0
		.amdhsa_next_free_vgpr 84
		.amdhsa_next_free_sgpr 52
		.amdhsa_reserve_vcc 1
		.amdhsa_float_round_mode_32 0
		.amdhsa_float_round_mode_16_64 0
		.amdhsa_float_denorm_mode_32 3
		.amdhsa_float_denorm_mode_16_64 3
		.amdhsa_dx10_clamp 1
		.amdhsa_ieee_mode 1
		.amdhsa_fp16_overflow 0
		.amdhsa_workgroup_processor_mode 1
		.amdhsa_memory_ordered 1
		.amdhsa_forward_progress 0
		.amdhsa_shared_vgpr_count 0
		.amdhsa_exception_fp_ieee_invalid_op 0
		.amdhsa_exception_fp_denorm_src 0
		.amdhsa_exception_fp_ieee_div_zero 0
		.amdhsa_exception_fp_ieee_overflow 0
		.amdhsa_exception_fp_ieee_underflow 0
		.amdhsa_exception_fp_ieee_inexact 0
		.amdhsa_exception_int_div_zero 0
	.end_amdhsa_kernel
	.section	.text._ZN4vllm25paged_attention_v2_kernelIthLi64ELi16ELi128ELNS_18Fp8KVCacheDataTypeE1ELb1ELi512EEEvPfS2_PT_PKS3_PKT0_S9_ifPKiSB_iPKfiiiSD_SD_iiiii,"axG",@progbits,_ZN4vllm25paged_attention_v2_kernelIthLi64ELi16ELi128ELNS_18Fp8KVCacheDataTypeE1ELb1ELi512EEEvPfS2_PT_PKS3_PKT0_S9_ifPKiSB_iPKfiiiSD_SD_iiiii,comdat
.Lfunc_end312:
	.size	_ZN4vllm25paged_attention_v2_kernelIthLi64ELi16ELi128ELNS_18Fp8KVCacheDataTypeE1ELb1ELi512EEEvPfS2_PT_PKS3_PKT0_S9_ifPKiSB_iPKfiiiSD_SD_iiiii, .Lfunc_end312-_ZN4vllm25paged_attention_v2_kernelIthLi64ELi16ELi128ELNS_18Fp8KVCacheDataTypeE1ELb1ELi512EEEvPfS2_PT_PKS3_PKT0_S9_ifPKiSB_iPKfiiiSD_SD_iiiii
                                        ; -- End function
	.section	.AMDGPU.csdata,"",@progbits
; Kernel info:
; codeLenInByte = 22944
; NumSgprs: 54
; NumVgprs: 84
; ScratchSize: 0
; MemoryBound: 0
; FloatMode: 240
; IeeeMode: 1
; LDSByteSize: 160 bytes/workgroup (compile time only)
; SGPRBlocks: 6
; VGPRBlocks: 10
; NumSGPRsForWavesPerEU: 54
; NumVGPRsForWavesPerEU: 84
; Occupancy: 16
; WaveLimiterHint : 1
; COMPUTE_PGM_RSRC2:SCRATCH_EN: 0
; COMPUTE_PGM_RSRC2:USER_SGPR: 13
; COMPUTE_PGM_RSRC2:TRAP_HANDLER: 0
; COMPUTE_PGM_RSRC2:TGID_X_EN: 1
; COMPUTE_PGM_RSRC2:TGID_Y_EN: 1
; COMPUTE_PGM_RSRC2:TGID_Z_EN: 1
; COMPUTE_PGM_RSRC2:TIDIG_COMP_CNT: 0
	.section	.text._ZN4vllm25paged_attention_v2_kernelIthLi80ELi16ELi128ELNS_18Fp8KVCacheDataTypeE1ELb1ELi512EEEvPfS2_PT_PKS3_PKT0_S9_ifPKiSB_iPKfiiiSD_SD_iiiii,"axG",@progbits,_ZN4vllm25paged_attention_v2_kernelIthLi80ELi16ELi128ELNS_18Fp8KVCacheDataTypeE1ELb1ELi512EEEvPfS2_PT_PKS3_PKT0_S9_ifPKiSB_iPKfiiiSD_SD_iiiii,comdat
	.protected	_ZN4vllm25paged_attention_v2_kernelIthLi80ELi16ELi128ELNS_18Fp8KVCacheDataTypeE1ELb1ELi512EEEvPfS2_PT_PKS3_PKT0_S9_ifPKiSB_iPKfiiiSD_SD_iiiii ; -- Begin function _ZN4vllm25paged_attention_v2_kernelIthLi80ELi16ELi128ELNS_18Fp8KVCacheDataTypeE1ELb1ELi512EEEvPfS2_PT_PKS3_PKT0_S9_ifPKiSB_iPKfiiiSD_SD_iiiii
	.globl	_ZN4vllm25paged_attention_v2_kernelIthLi80ELi16ELi128ELNS_18Fp8KVCacheDataTypeE1ELb1ELi512EEEvPfS2_PT_PKS3_PKT0_S9_ifPKiSB_iPKfiiiSD_SD_iiiii
	.p2align	8
	.type	_ZN4vllm25paged_attention_v2_kernelIthLi80ELi16ELi128ELNS_18Fp8KVCacheDataTypeE1ELb1ELi512EEEvPfS2_PT_PKS3_PKT0_S9_ifPKiSB_iPKfiiiSD_SD_iiiii,@function
_ZN4vllm25paged_attention_v2_kernelIthLi80ELi16ELi128ELNS_18Fp8KVCacheDataTypeE1ELb1ELi512EEEvPfS2_PT_PKS3_PKT0_S9_ifPKiSB_iPKfiiiSD_SD_iiiii: ; @_ZN4vllm25paged_attention_v2_kernelIthLi80ELi16ELi128ELNS_18Fp8KVCacheDataTypeE1ELb1ELi512EEEvPfS2_PT_PKS3_PKT0_S9_ifPKiSB_iPKfiiiSD_SD_iiiii
; %bb.0:
	s_load_b64 s[2:3], s[0:1], 0x40
	s_mov_b32 s12, s15
	s_ashr_i32 s15, s14, 31
	s_delay_alu instid0(SALU_CYCLE_1)
	s_lshl_b64 s[4:5], s[14:15], 2
	s_waitcnt lgkmcnt(0)
	s_add_u32 s2, s2, s4
	s_addc_u32 s3, s3, s5
	s_lshl_b32 s15, s12, 9
	s_load_b32 s33, s[2:3], 0x0
	s_waitcnt lgkmcnt(0)
	s_cmp_ge_i32 s15, s33
	s_cbranch_scc1 .LBB313_694
; %bb.1:
	s_mov_b32 s28, s13
	s_clause 0x1
	s_load_b32 s13, s[0:1], 0x90
	s_load_b64 s[38:39], s[0:1], 0x30
	s_mov_b32 s43, 0
	s_waitcnt lgkmcnt(0)
	s_abs_i32 s5, s13
	s_abs_i32 s2, s38
	s_delay_alu instid0(SALU_CYCLE_1) | instskip(SKIP_1) | instid1(VALU_DEP_1)
	v_cvt_f32_u32_e32 v1, s2
	s_sub_i32 s4, 0, s2
	v_rcp_iflag_f32_e32 v1, v1
	s_waitcnt_depctr 0xfff
	v_mul_f32_e32 v1, 0x4f7ffffe, v1
	s_delay_alu instid0(VALU_DEP_1) | instskip(NEXT) | instid1(VALU_DEP_1)
	v_cvt_u32_f32_e32 v1, v1
	v_readfirstlane_b32 s3, v1
	s_delay_alu instid0(VALU_DEP_1) | instskip(NEXT) | instid1(SALU_CYCLE_1)
	s_mul_i32 s4, s4, s3
	s_mul_hi_u32 s4, s3, s4
	s_delay_alu instid0(SALU_CYCLE_1) | instskip(SKIP_4) | instid1(SALU_CYCLE_1)
	s_add_i32 s3, s3, s4
	s_xor_b32 s4, s13, s38
	s_mul_hi_u32 s3, s5, s3
	s_ashr_i32 s4, s4, 31
	s_mul_i32 s6, s3, s2
	s_sub_i32 s5, s5, s6
	s_add_i32 s6, s3, 1
	s_sub_i32 s7, s5, s2
	s_cmp_ge_u32 s5, s2
	s_cselect_b32 s3, s6, s3
	s_cselect_b32 s5, s7, s5
	s_add_i32 s6, s3, 1
	s_cmp_ge_u32 s5, s2
	s_cselect_b32 s2, s6, s3
	s_abs_i32 s9, s28
	s_xor_b32 s2, s2, s4
	s_delay_alu instid0(SALU_CYCLE_1) | instskip(SKIP_2) | instid1(SALU_CYCLE_1)
	s_sub_i32 s4, s2, s4
	s_load_b64 s[2:3], s[0:1], 0x50
	s_abs_i32 s8, s4
	v_cvt_f32_u32_e32 v1, s8
	s_sub_i32 s6, 0, s8
	s_delay_alu instid0(VALU_DEP_1) | instskip(SKIP_2) | instid1(VALU_DEP_1)
	v_rcp_iflag_f32_e32 v1, v1
	s_waitcnt_depctr 0xfff
	v_mul_f32_e32 v1, 0x4f7ffffe, v1
	v_cvt_u32_f32_e32 v1, v1
	s_delay_alu instid0(VALU_DEP_1) | instskip(NEXT) | instid1(VALU_DEP_1)
	v_readfirstlane_b32 s5, v1
	s_mul_i32 s6, s6, s5
	s_delay_alu instid0(SALU_CYCLE_1) | instskip(NEXT) | instid1(SALU_CYCLE_1)
	s_mul_hi_u32 s6, s5, s6
	s_add_i32 s5, s5, s6
	s_waitcnt lgkmcnt(0)
	s_cmp_eq_u64 s[2:3], 0
	s_mul_hi_u32 s10, s9, s5
	s_cbranch_scc1 .LBB313_3
; %bb.2:
	s_ashr_i32 s29, s28, 31
	s_delay_alu instid0(SALU_CYCLE_1) | instskip(NEXT) | instid1(SALU_CYCLE_1)
	s_lshl_b64 s[6:7], s[28:29], 2
	s_add_u32 s2, s2, s6
	s_addc_u32 s3, s3, s7
	s_load_b32 s43, s[2:3], 0x0
.LBB313_3:
	s_load_b128 s[16:19], s[0:1], 0x58
	v_lshrrev_b32_e32 v17, 1, v0
	v_and_b32_e32 v18, 1, v0
	v_lshlrev_b32_e32 v12, 3, v0
	s_ashr_i32 s2, s28, 31
	s_ashr_i32 s3, s4, 31
	s_mul_i32 s24, s28, 0x50
	s_mov_b32 s4, exec_lo
	v_cmpx_gt_u32_e32 20, v0
	s_cbranch_execz .LBB313_5
; %bb.4:
	s_load_b64 s[6:7], s[0:1], 0x18
	s_waitcnt lgkmcnt(0)
	s_mul_i32 s20, s14, s16
	v_lshlrev_b32_e32 v3, 3, v17
	s_ashr_i32 s21, s20, 31
	s_delay_alu instid0(SALU_CYCLE_1) | instskip(NEXT) | instid1(VALU_DEP_1)
	s_lshl_b64 s[20:21], s[20:21], 1
	v_mad_u32_u24 v3, 0x50, v18, v3
	s_add_u32 s5, s6, s20
	s_addc_u32 s11, s7, s21
	s_ashr_i32 s25, s24, 31
	s_delay_alu instid0(SALU_CYCLE_1) | instskip(NEXT) | instid1(SALU_CYCLE_1)
	s_lshl_b64 s[6:7], s[24:25], 1
	s_add_u32 s6, s5, s6
	s_addc_u32 s7, s11, s7
	global_load_b64 v[1:2], v12, s[6:7]
	s_waitcnt vmcnt(0)
	ds_store_b64 v3, v[1:2]
.LBB313_5:
	s_or_b32 exec_lo, exec_lo, s4
	s_load_b128 s[4:7], s[0:1], 0x78
	s_mul_i32 s11, s10, s8
	s_xor_b32 s2, s2, s3
	s_sub_i32 s3, s9, s11
	s_add_i32 s9, s10, 1
	s_sub_i32 s11, s3, s8
	s_cmp_ge_u32 s3, s8
	s_waitcnt lgkmcnt(0)
	s_cselect_b32 s9, s9, s10
	s_cselect_b32 s3, s11, s3
	s_add_i32 s10, s9, 1
	s_cmp_ge_u32 s3, s8
	s_load_b32 s8, s[0:1], 0x88
	s_cselect_b32 s3, s10, s9
	s_add_i32 s9, s33, -1
	s_xor_b32 s3, s3, s2
	s_abs_i32 s34, s9
	s_sub_i32 s3, s3, s2
	s_mov_b32 s10, -1
	s_waitcnt lgkmcnt(0)
	s_barrier
	s_abs_i32 s19, s7
	buffer_gl0_inv
	v_cvt_f32_u32_e32 v1, s19
	s_sub_i32 s2, 0, s19
                                        ; implicit-def: $sgpr29
	s_delay_alu instid0(VALU_DEP_1) | instskip(SKIP_2) | instid1(VALU_DEP_1)
	v_rcp_iflag_f32_e32 v1, v1
	s_waitcnt_depctr 0xfff
	v_mul_f32_e32 v1, 0x4f7ffffe, v1
	v_cvt_u32_f32_e32 v1, v1
	s_delay_alu instid0(VALU_DEP_1) | instskip(NEXT) | instid1(VALU_DEP_1)
	v_readfirstlane_b32 s25, v1
	s_mul_i32 s2, s2, s25
	s_delay_alu instid0(SALU_CYCLE_1) | instskip(NEXT) | instid1(SALU_CYCLE_1)
	s_mul_hi_u32 s2, s25, s2
	s_add_i32 s25, s25, s2
	s_cmp_lt_i32 s8, 0
	s_mul_hi_u32 s2, s34, s25
	s_cbranch_scc0 .LBB313_7
; %bb.6:
	s_mul_i32 s10, s4, s38
	s_delay_alu instid0(SALU_CYCLE_1) | instskip(NEXT) | instid1(SALU_CYCLE_1)
	s_add_i32 s10, s3, s10
	s_mul_i32 s10, s10, s8
	s_delay_alu instid0(SALU_CYCLE_1)
	s_sub_i32 s29, 1, s10
	s_mov_b32 s10, 0
.LBB313_7:
	s_load_b64 s[30:31], s[0:1], 0x38
	s_ashr_i32 s35, s9, 31
	s_and_not1_b32 vcc_lo, exec_lo, s10
	s_ashr_i32 s38, s7, 31
	s_cbranch_vccnz .LBB313_9
; %bb.8:
	s_mul_i32 s4, s13, s4
	s_delay_alu instid0(SALU_CYCLE_1) | instskip(NEXT) | instid1(SALU_CYCLE_1)
	s_add_i32 s4, s4, s28
	s_mul_i32 s4, s4, s8
	s_delay_alu instid0(SALU_CYCLE_1)
	s_add_i32 s29, s4, 1
.LBB313_9:
	s_clause 0x5
	s_load_b32 s4, s[0:1], 0x48
	s_load_b64 s[36:37], s[0:1], 0x28
	s_load_b128 s[20:23], s[0:1], 0x0
	s_load_b64 s[26:27], s[0:1], 0x10
	s_load_b32 s16, s[0:1], 0x98
	s_load_b128 s[8:11], s[0:1], 0x68
	s_xor_b32 s7, s35, s38
	s_mul_i32 s35, s2, s19
	s_add_i32 s40, s2, 1
	s_sub_i32 s41, s34, s35
	v_lshrrev_b32_e32 v19, 5, v0
	v_mov_b32_e32 v13, 0xff7fffff
	v_mbcnt_lo_u32_b32 v5, -1, 0
	s_delay_alu instid0(VALU_DEP_3)
	v_lshl_add_u32 v20, v19, 4, s15
	s_waitcnt lgkmcnt(0)
	s_mul_i32 s34, s14, s4
	s_sub_i32 s4, s41, s19
	s_ashr_i32 s35, s34, 31
	s_cmp_ge_u32 s41, s19
	s_cselect_b32 s2, s40, s2
	s_cselect_b32 s4, s4, s41
	s_add_i32 s40, s2, 1
	s_cmp_ge_u32 s4, s19
	s_cselect_b32 s2, s40, s2
	s_add_i32 s40, s33, 15
	s_lshl_b32 s4, s12, 5
	s_ashr_i32 s41, s40, 31
	v_or_b32_e32 v6, s4, v19
	s_lshr_b32 s41, s41, 28
	s_add_i32 s42, s4, 32
	s_add_i32 s40, s40, s41
	s_xor_b32 s44, s2, s7
	s_ashr_i32 s41, s40, 4
	v_ashrrev_i32_e32 v7, 31, v6
	s_min_i32 s40, s42, s41
	s_sub_i32 s42, s44, s7
	v_cmp_gt_i32_e64 s2, s40, v6
	s_mul_i32 s7, s3, s18
	s_delay_alu instid0(VALU_DEP_1)
	s_and_saveexec_b32 s18, s2
	s_cbranch_execz .LBB313_339
; %bb.10:
	s_load_b64 s[0:1], s[0:1], 0x20
	s_sub_i32 s44, s42, s5
	s_ashr_i32 s3, s7, 31
	v_bfe_u32 v14, v0, 1, 4
	v_lshlrev_b64 v[8:9], 2, v[6:7]
	v_cmp_eq_u32_e32 vcc_lo, 0, v18
	v_lshlrev_b32_e32 v15, 2, v18
	v_mul_u32_u24_e32 v16, 0x50, v18
	v_lshlrev_b32_e32 v3, 2, v14
	v_lshlrev_b32_e32 v11, 4, v14
	v_subrev_nc_u32_e32 v4, s33, v14
	v_mov_b32_e32 v13, 0xff7fffff
	v_lshl_add_u32 v21, v19, 4, s15
	v_lshl_or_b32 v3, v19, 6, v3
	s_delay_alu instid0(VALU_DEP_4) | instskip(NEXT) | instid1(VALU_DEP_2)
	v_dual_mov_b32 v25, v6 :: v_dual_add_nc_u32 v22, 1, v4
	v_add_nc_u32_e32 v23, 0xc0, v3
	s_waitcnt lgkmcnt(0)
	s_add_u32 s48, s0, s7
	s_addc_u32 s1, s1, s3
	s_abs_i32 s45, s6
	s_lshl_b64 s[46:47], s[34:35], 2
	v_cvt_f32_u32_e32 v1, s45
	s_sub_i32 s3, 0, s45
	v_cmp_neq_f32_e64 s0, s43, 0
	s_delay_alu instid0(VALU_DEP_2) | instskip(SKIP_2) | instid1(VALU_DEP_1)
	v_rcp_iflag_f32_e32 v1, v1
	s_waitcnt_depctr 0xfff
	v_dual_mov_b32 v2, 0 :: v_dual_mul_f32 v1, 0x4f7ffffe, v1
	v_cvt_u32_f32_e32 v1, v1
	s_delay_alu instid0(VALU_DEP_1) | instskip(SKIP_1) | instid1(VALU_DEP_1)
	v_mul_lo_u32 v10, s3, v1
	v_add_co_u32 v3, s3, s48, v11
	v_add_co_ci_u32_e64 v4, null, s1, 0, s3
	s_add_u32 s1, s30, s46
	s_addc_u32 s3, s31, s47
	v_add_co_u32 v8, s1, s1, v8
	s_delay_alu instid0(VALU_DEP_4) | instskip(SKIP_3) | instid1(VALU_DEP_2)
	v_mul_hi_u32 v10, v1, v10
	v_add_co_ci_u32_e64 v9, s1, s3, v9, s1
	s_mov_b32 s46, 0
	s_mov_b32 s47, s17
	v_add_nc_u32_e32 v24, v1, v10
	s_branch .LBB313_13
.LBB313_11:                             ;   in Loop: Header=BB313_13 Depth=1
	s_or_b32 exec_lo, exec_lo, s48
.LBB313_12:                             ;   in Loop: Header=BB313_13 Depth=1
	s_delay_alu instid0(SALU_CYCLE_1) | instskip(SKIP_2) | instid1(VALU_DEP_1)
	s_or_b32 exec_lo, exec_lo, s3
	v_add_nc_u32_e32 v25, 4, v25
	v_add_co_u32 v8, s3, v8, 16
	v_add_co_ci_u32_e64 v9, s3, 0, v9, s3
	s_delay_alu instid0(VALU_DEP_3) | instskip(SKIP_2) | instid1(VALU_DEP_3)
	v_cmp_le_i32_e64 s1, s40, v25
	v_add_nc_u32_e32 v21, 64, v21
	v_add_nc_u32_e32 v23, 0x100, v23
	s_or_b32 s46, s1, s46
	s_delay_alu instid0(SALU_CYCLE_1)
	s_and_not1_b32 exec_lo, exec_lo, s46
	s_cbranch_execz .LBB313_338
.LBB313_13:                             ; =>This Inner Loop Header: Depth=1
	v_sub_nc_u32_e32 v1, 0, v21
	s_delay_alu instid0(VALU_DEP_1) | instskip(SKIP_1) | instid1(VALU_DEP_1)
	v_max_i32_e32 v1, v21, v1
	s_waitcnt lgkmcnt(0)
	v_mul_hi_u32 v10, v1, s25
	s_delay_alu instid0(VALU_DEP_1) | instskip(NEXT) | instid1(VALU_DEP_1)
	v_mul_lo_u32 v11, v10, s19
	v_sub_nc_u32_e32 v1, v1, v11
	v_add_nc_u32_e32 v11, 1, v10
	s_delay_alu instid0(VALU_DEP_2) | instskip(SKIP_1) | instid1(VALU_DEP_1)
	v_subrev_nc_u32_e32 v26, s19, v1
	v_cmp_le_u32_e64 s1, s19, v1
	v_cndmask_b32_e64 v10, v10, v11, s1
	s_delay_alu instid0(VALU_DEP_3) | instskip(SKIP_1) | instid1(VALU_DEP_3)
	v_cndmask_b32_e64 v1, v1, v26, s1
	v_ashrrev_i32_e32 v11, 31, v21
	v_add_nc_u32_e32 v26, 1, v10
	s_delay_alu instid0(VALU_DEP_3) | instskip(NEXT) | instid1(VALU_DEP_3)
	v_cmp_le_u32_e64 s1, s19, v1
	v_xor_b32_e32 v11, s38, v11
	s_delay_alu instid0(VALU_DEP_2) | instskip(NEXT) | instid1(VALU_DEP_1)
	v_cndmask_b32_e64 v1, v10, v26, s1
	v_xor_b32_e32 v1, v1, v11
	s_delay_alu instid0(VALU_DEP_1) | instskip(NEXT) | instid1(VALU_DEP_1)
	v_sub_nc_u32_e32 v1, v1, v11
	v_add_nc_u32_e32 v10, s29, v1
	v_cmp_ge_i32_e64 s3, s44, v1
	s_delay_alu instid0(VALU_DEP_2) | instskip(NEXT) | instid1(VALU_DEP_1)
	v_sub_nc_u32_e32 v11, 0, v10
	v_max_i32_e32 v11, v10, v11
	v_ashrrev_i32_e32 v10, 31, v10
	s_delay_alu instid0(VALU_DEP_2) | instskip(NEXT) | instid1(VALU_DEP_1)
	v_mul_hi_u32 v26, v11, v24
	v_mul_lo_u32 v26, v26, s45
	s_delay_alu instid0(VALU_DEP_1) | instskip(NEXT) | instid1(VALU_DEP_1)
	v_sub_nc_u32_e32 v11, v11, v26
	v_subrev_nc_u32_e32 v26, s45, v11
	v_cmp_le_u32_e64 s1, s45, v11
	s_delay_alu instid0(VALU_DEP_1) | instskip(NEXT) | instid1(VALU_DEP_1)
	v_cndmask_b32_e64 v11, v11, v26, s1
	v_subrev_nc_u32_e32 v26, s45, v11
	v_cmp_le_u32_e64 s1, s45, v11
	s_delay_alu instid0(VALU_DEP_1) | instskip(NEXT) | instid1(VALU_DEP_1)
	v_cndmask_b32_e64 v11, v11, v26, s1
	v_xor_b32_e32 v11, v11, v10
	s_delay_alu instid0(VALU_DEP_1) | instskip(NEXT) | instid1(VALU_DEP_1)
	v_sub_nc_u32_e32 v10, v11, v10
	v_cmp_ne_u32_e64 s1, 0, v10
	s_delay_alu instid0(VALU_DEP_1) | instskip(NEXT) | instid1(SALU_CYCLE_1)
	s_and_b32 s1, s1, s3
	s_and_b32 s48, vcc_lo, s1
	s_delay_alu instid0(SALU_CYCLE_1)
	s_and_saveexec_b32 s3, s48
	s_cbranch_execz .LBB313_15
; %bb.14:                               ;   in Loop: Header=BB313_13 Depth=1
	v_mov_b32_e32 v1, 0xff7fffff
	ds_store_b32 v23, v1
.LBB313_15:                             ;   in Loop: Header=BB313_13 Depth=1
	s_or_b32 exec_lo, exec_lo, s3
	s_xor_b32 s1, s1, -1
	s_delay_alu instid0(SALU_CYCLE_1)
	s_and_saveexec_b32 s3, s1
	s_cbranch_execz .LBB313_12
; %bb.16:                               ;   in Loop: Header=BB313_13 Depth=1
	global_load_b32 v1, v[8:9], off
	v_mov_b32_e32 v27, 0
	s_mov_b32 s48, exec_lo
	v_mov_b32_e32 v28, 0
	s_waitcnt vmcnt(0)
	v_mad_i64_i32 v[10:11], null, v1, s47, v[3:4]
	s_delay_alu instid0(VALU_DEP_1) | instskip(NEXT) | instid1(VALU_DEP_1)
	v_add_co_u32 v10, s1, v10, v15
	v_add_co_ci_u32_e64 v11, s1, 0, v11, s1
	global_load_b32 v31, v[10:11], off
	global_load_b32 v26, v2, s[8:9]
	s_waitcnt vmcnt(1)
	v_and_b32_e32 v1, 0xff, v31
	s_delay_alu instid0(VALU_DEP_1)
	v_cmpx_ne_u16_e32 0, v1
	s_cbranch_execz .LBB313_24
; %bb.17:                               ;   in Loop: Header=BB313_13 Depth=1
	v_bfrev_b32_e32 v28, 1
	s_mov_b32 s49, exec_lo
	v_cmpx_ne_u16_e32 0x80, v1
	s_cbranch_execz .LBB313_23
; %bb.18:                               ;   in Loop: Header=BB313_13 Depth=1
	v_and_b32_e32 v29, 0x7f, v31
	v_mov_b32_e32 v28, 0x7fc02000
	s_mov_b32 s50, exec_lo
	s_delay_alu instid0(VALU_DEP_2)
	v_cmpx_ne_u32_e32 0x7f, v29
	s_cbranch_execz .LBB313_22
; %bb.19:                               ;   in Loop: Header=BB313_13 Depth=1
	v_and_b32_e32 v1, 7, v31
	v_lshrrev_b32_e32 v28, 3, v29
	s_mov_b32 s51, exec_lo
	v_cmpx_gt_u32_e32 8, v29
; %bb.20:                               ;   in Loop: Header=BB313_13 Depth=1
	s_delay_alu instid0(VALU_DEP_3) | instskip(NEXT) | instid1(VALU_DEP_1)
	v_clz_i32_u32_e32 v28, v1
	v_min_u32_e32 v28, 32, v28
	s_delay_alu instid0(VALU_DEP_1) | instskip(SKIP_1) | instid1(VALU_DEP_2)
	v_subrev_nc_u32_e32 v29, 28, v28
	v_sub_nc_u32_e32 v28, 29, v28
	v_lshlrev_b64 v[29:30], v29, v[1:2]
	s_delay_alu instid0(VALU_DEP_1)
	v_and_b32_e32 v1, 7, v29
; %bb.21:                               ;   in Loop: Header=BB313_13 Depth=1
	s_or_b32 exec_lo, exec_lo, s51
	v_lshlrev_b32_e32 v29, 8, v31
	v_lshl_add_u32 v28, v28, 10, 0x2000
	s_delay_alu instid0(VALU_DEP_1) | instskip(NEXT) | instid1(VALU_DEP_1)
	v_and_or_b32 v28, 0x8000, v29, v28
	v_lshl_or_b32 v1, v1, 7, v28
	s_delay_alu instid0(VALU_DEP_1)
	v_cvt_f32_f16_e32 v28, v1
.LBB313_22:                             ;   in Loop: Header=BB313_13 Depth=1
	s_or_b32 exec_lo, exec_lo, s50
.LBB313_23:                             ;   in Loop: Header=BB313_13 Depth=1
	s_delay_alu instid0(SALU_CYCLE_1)
	s_or_b32 exec_lo, exec_lo, s49
.LBB313_24:                             ;   in Loop: Header=BB313_13 Depth=1
	s_delay_alu instid0(SALU_CYCLE_1) | instskip(SKIP_2) | instid1(VALU_DEP_1)
	s_or_b32 exec_lo, exec_lo, s48
	v_lshrrev_b16 v1, 8, v31
	s_mov_b32 s48, exec_lo
	v_cmpx_ne_u16_e32 0, v1
	s_cbranch_execz .LBB313_32
; %bb.25:                               ;   in Loop: Header=BB313_13 Depth=1
	v_bfrev_b32_e32 v27, 1
	s_mov_b32 s49, exec_lo
	v_cmpx_ne_u16_e32 0x80, v1
	s_cbranch_execz .LBB313_31
; %bb.26:                               ;   in Loop: Header=BB313_13 Depth=1
	v_and_b32_e32 v29, 0xffff, v1
	v_mov_b32_e32 v27, 0x7fc02000
	s_mov_b32 s50, exec_lo
	s_delay_alu instid0(VALU_DEP_2) | instskip(NEXT) | instid1(VALU_DEP_1)
	v_and_b32_e32 v30, 0x7f, v29
	v_cmpx_ne_u32_e32 0x7f, v30
	s_cbranch_execz .LBB313_30
; %bb.27:                               ;   in Loop: Header=BB313_13 Depth=1
	v_and_b32_e32 v1, 7, v29
	v_lshrrev_b32_e32 v27, 3, v30
	s_mov_b32 s51, exec_lo
	v_cmpx_gt_u32_e32 8, v30
; %bb.28:                               ;   in Loop: Header=BB313_13 Depth=1
	s_delay_alu instid0(VALU_DEP_3) | instskip(NEXT) | instid1(VALU_DEP_1)
	v_clz_i32_u32_e32 v27, v1
	v_min_u32_e32 v27, 32, v27
	s_delay_alu instid0(VALU_DEP_1) | instskip(SKIP_1) | instid1(VALU_DEP_2)
	v_subrev_nc_u32_e32 v30, 28, v27
	v_sub_nc_u32_e32 v27, 29, v27
	v_lshlrev_b64 v[32:33], v30, v[1:2]
	s_delay_alu instid0(VALU_DEP_1)
	v_and_b32_e32 v1, 7, v32
; %bb.29:                               ;   in Loop: Header=BB313_13 Depth=1
	s_or_b32 exec_lo, exec_lo, s51
	v_lshlrev_b32_e32 v29, 8, v29
	v_lshl_add_u32 v27, v27, 10, 0x2000
	s_delay_alu instid0(VALU_DEP_1) | instskip(NEXT) | instid1(VALU_DEP_1)
	v_and_or_b32 v27, 0x8000, v29, v27
	v_lshl_or_b32 v1, v1, 7, v27
	s_delay_alu instid0(VALU_DEP_1)
	v_cvt_f32_f16_e32 v27, v1
.LBB313_30:                             ;   in Loop: Header=BB313_13 Depth=1
	s_or_b32 exec_lo, exec_lo, s50
.LBB313_31:                             ;   in Loop: Header=BB313_13 Depth=1
	s_delay_alu instid0(SALU_CYCLE_1)
	s_or_b32 exec_lo, exec_lo, s49
.LBB313_32:                             ;   in Loop: Header=BB313_13 Depth=1
	s_delay_alu instid0(SALU_CYCLE_1) | instskip(SKIP_3) | instid1(VALU_DEP_2)
	s_or_b32 exec_lo, exec_lo, s48
	v_lshrrev_b32_e32 v32, 16, v31
	v_mov_b32_e32 v29, 0
	s_mov_b32 s48, exec_lo
	v_dual_mov_b32 v30, 0 :: v_dual_and_b32 v1, 0xff, v32
	s_delay_alu instid0(VALU_DEP_1)
	v_cmpx_ne_u16_e32 0, v1
	s_cbranch_execz .LBB313_40
; %bb.33:                               ;   in Loop: Header=BB313_13 Depth=1
	v_bfrev_b32_e32 v30, 1
	s_mov_b32 s49, exec_lo
	v_cmpx_ne_u16_e32 0x80, v1
	s_cbranch_execz .LBB313_39
; %bb.34:                               ;   in Loop: Header=BB313_13 Depth=1
	v_bfe_u32 v33, v31, 16, 7
	v_mov_b32_e32 v30, 0x7fc02000
	s_mov_b32 s50, exec_lo
	s_delay_alu instid0(VALU_DEP_2)
	v_cmpx_ne_u32_e32 0x7f, v33
	s_cbranch_execz .LBB313_38
; %bb.35:                               ;   in Loop: Header=BB313_13 Depth=1
	v_and_b32_e32 v1, 7, v32
	v_lshrrev_b32_e32 v30, 3, v33
	s_mov_b32 s51, exec_lo
	v_cmpx_gt_u32_e32 8, v33
; %bb.36:                               ;   in Loop: Header=BB313_13 Depth=1
	s_delay_alu instid0(VALU_DEP_3) | instskip(NEXT) | instid1(VALU_DEP_1)
	v_clz_i32_u32_e32 v30, v1
	v_min_u32_e32 v30, 32, v30
	s_delay_alu instid0(VALU_DEP_1) | instskip(SKIP_1) | instid1(VALU_DEP_2)
	v_subrev_nc_u32_e32 v33, 28, v30
	v_sub_nc_u32_e32 v30, 29, v30
	v_lshlrev_b64 v[33:34], v33, v[1:2]
	s_delay_alu instid0(VALU_DEP_1)
	v_and_b32_e32 v1, 7, v33
; %bb.37:                               ;   in Loop: Header=BB313_13 Depth=1
	s_or_b32 exec_lo, exec_lo, s51
	v_lshlrev_b32_e32 v32, 8, v32
	v_lshl_add_u32 v30, v30, 10, 0x2000
	s_delay_alu instid0(VALU_DEP_1) | instskip(NEXT) | instid1(VALU_DEP_1)
	v_and_or_b32 v30, 0x8000, v32, v30
	v_lshl_or_b32 v1, v1, 7, v30
	s_delay_alu instid0(VALU_DEP_1)
	v_cvt_f32_f16_e32 v30, v1
.LBB313_38:                             ;   in Loop: Header=BB313_13 Depth=1
	s_or_b32 exec_lo, exec_lo, s50
.LBB313_39:                             ;   in Loop: Header=BB313_13 Depth=1
	s_delay_alu instid0(SALU_CYCLE_1)
	s_or_b32 exec_lo, exec_lo, s49
.LBB313_40:                             ;   in Loop: Header=BB313_13 Depth=1
	s_delay_alu instid0(SALU_CYCLE_1) | instskip(NEXT) | instid1(SALU_CYCLE_1)
	s_or_b32 exec_lo, exec_lo, s48
	s_mov_b32 s48, exec_lo
	v_cmpx_lt_u32_e32 0xffffff, v31
	s_cbranch_execz .LBB313_48
; %bb.41:                               ;   in Loop: Header=BB313_13 Depth=1
	v_lshrrev_b32_e32 v31, 24, v31
	v_bfrev_b32_e32 v29, 1
	s_mov_b32 s49, exec_lo
	s_delay_alu instid0(VALU_DEP_2)
	v_cmpx_ne_u32_e32 0x80, v31
	s_cbranch_execz .LBB313_47
; %bb.42:                               ;   in Loop: Header=BB313_13 Depth=1
	v_and_b32_e32 v32, 0x7f, v31
	v_mov_b32_e32 v29, 0x7fc02000
	s_mov_b32 s50, exec_lo
	s_delay_alu instid0(VALU_DEP_2)
	v_cmpx_ne_u32_e32 0x7f, v32
	s_cbranch_execz .LBB313_46
; %bb.43:                               ;   in Loop: Header=BB313_13 Depth=1
	v_and_b32_e32 v1, 7, v31
	v_lshrrev_b32_e32 v29, 3, v32
	s_mov_b32 s51, exec_lo
	v_cmpx_gt_u32_e32 8, v32
; %bb.44:                               ;   in Loop: Header=BB313_13 Depth=1
	s_delay_alu instid0(VALU_DEP_3) | instskip(NEXT) | instid1(VALU_DEP_1)
	v_clz_i32_u32_e32 v29, v1
	v_min_u32_e32 v29, 32, v29
	s_delay_alu instid0(VALU_DEP_1) | instskip(SKIP_1) | instid1(VALU_DEP_2)
	v_subrev_nc_u32_e32 v32, 28, v29
	v_sub_nc_u32_e32 v29, 29, v29
	v_lshlrev_b64 v[32:33], v32, v[1:2]
	s_delay_alu instid0(VALU_DEP_1)
	v_and_b32_e32 v1, 7, v32
; %bb.45:                               ;   in Loop: Header=BB313_13 Depth=1
	s_or_b32 exec_lo, exec_lo, s51
	v_lshlrev_b32_e32 v31, 8, v31
	v_lshl_add_u32 v29, v29, 10, 0x2000
	s_delay_alu instid0(VALU_DEP_1) | instskip(NEXT) | instid1(VALU_DEP_1)
	v_and_or_b32 v29, 0x8000, v31, v29
	v_lshl_or_b32 v1, v1, 7, v29
	s_delay_alu instid0(VALU_DEP_1)
	v_cvt_f32_f16_e32 v29, v1
.LBB313_46:                             ;   in Loop: Header=BB313_13 Depth=1
	s_or_b32 exec_lo, exec_lo, s50
.LBB313_47:                             ;   in Loop: Header=BB313_13 Depth=1
	s_delay_alu instid0(SALU_CYCLE_1)
	s_or_b32 exec_lo, exec_lo, s49
.LBB313_48:                             ;   in Loop: Header=BB313_13 Depth=1
	s_delay_alu instid0(SALU_CYCLE_1)
	s_or_b32 exec_lo, exec_lo, s48
	global_load_b32 v35, v[10:11], off offset:8
	v_mov_b32_e32 v31, 0
	s_mov_b32 s48, exec_lo
	s_waitcnt vmcnt(0)
	v_dual_mov_b32 v32, 0 :: v_dual_and_b32 v1, 0xff, v35
	s_delay_alu instid0(VALU_DEP_1)
	v_cmpx_ne_u16_e32 0, v1
	s_cbranch_execz .LBB313_56
; %bb.49:                               ;   in Loop: Header=BB313_13 Depth=1
	v_bfrev_b32_e32 v32, 1
	s_mov_b32 s49, exec_lo
	v_cmpx_ne_u16_e32 0x80, v1
	s_cbranch_execz .LBB313_55
; %bb.50:                               ;   in Loop: Header=BB313_13 Depth=1
	v_and_b32_e32 v33, 0x7f, v35
	v_mov_b32_e32 v32, 0x7fc02000
	s_mov_b32 s50, exec_lo
	s_delay_alu instid0(VALU_DEP_2)
	v_cmpx_ne_u32_e32 0x7f, v33
	s_cbranch_execz .LBB313_54
; %bb.51:                               ;   in Loop: Header=BB313_13 Depth=1
	v_and_b32_e32 v1, 7, v35
	v_lshrrev_b32_e32 v32, 3, v33
	s_mov_b32 s51, exec_lo
	v_cmpx_gt_u32_e32 8, v33
; %bb.52:                               ;   in Loop: Header=BB313_13 Depth=1
	s_delay_alu instid0(VALU_DEP_3) | instskip(NEXT) | instid1(VALU_DEP_1)
	v_clz_i32_u32_e32 v32, v1
	v_min_u32_e32 v32, 32, v32
	s_delay_alu instid0(VALU_DEP_1) | instskip(SKIP_1) | instid1(VALU_DEP_2)
	v_subrev_nc_u32_e32 v33, 28, v32
	v_sub_nc_u32_e32 v32, 29, v32
	v_lshlrev_b64 v[33:34], v33, v[1:2]
	s_delay_alu instid0(VALU_DEP_1)
	v_and_b32_e32 v1, 7, v33
; %bb.53:                               ;   in Loop: Header=BB313_13 Depth=1
	s_or_b32 exec_lo, exec_lo, s51
	v_lshlrev_b32_e32 v33, 8, v35
	v_lshl_add_u32 v32, v32, 10, 0x2000
	s_delay_alu instid0(VALU_DEP_1) | instskip(NEXT) | instid1(VALU_DEP_1)
	v_and_or_b32 v32, 0x8000, v33, v32
	v_lshl_or_b32 v1, v1, 7, v32
	s_delay_alu instid0(VALU_DEP_1)
	v_cvt_f32_f16_e32 v32, v1
.LBB313_54:                             ;   in Loop: Header=BB313_13 Depth=1
	s_or_b32 exec_lo, exec_lo, s50
.LBB313_55:                             ;   in Loop: Header=BB313_13 Depth=1
	s_delay_alu instid0(SALU_CYCLE_1)
	s_or_b32 exec_lo, exec_lo, s49
.LBB313_56:                             ;   in Loop: Header=BB313_13 Depth=1
	s_delay_alu instid0(SALU_CYCLE_1) | instskip(SKIP_2) | instid1(VALU_DEP_1)
	s_or_b32 exec_lo, exec_lo, s48
	v_lshrrev_b16 v1, 8, v35
	s_mov_b32 s48, exec_lo
	v_cmpx_ne_u16_e32 0, v1
	s_cbranch_execz .LBB313_64
; %bb.57:                               ;   in Loop: Header=BB313_13 Depth=1
	v_bfrev_b32_e32 v31, 1
	s_mov_b32 s49, exec_lo
	v_cmpx_ne_u16_e32 0x80, v1
	s_cbranch_execz .LBB313_63
; %bb.58:                               ;   in Loop: Header=BB313_13 Depth=1
	v_and_b32_e32 v33, 0xffff, v1
	v_mov_b32_e32 v31, 0x7fc02000
	s_mov_b32 s50, exec_lo
	s_delay_alu instid0(VALU_DEP_2) | instskip(NEXT) | instid1(VALU_DEP_1)
	v_and_b32_e32 v34, 0x7f, v33
	v_cmpx_ne_u32_e32 0x7f, v34
	s_cbranch_execz .LBB313_62
; %bb.59:                               ;   in Loop: Header=BB313_13 Depth=1
	v_and_b32_e32 v1, 7, v33
	v_lshrrev_b32_e32 v31, 3, v34
	s_mov_b32 s51, exec_lo
	v_cmpx_gt_u32_e32 8, v34
; %bb.60:                               ;   in Loop: Header=BB313_13 Depth=1
	s_delay_alu instid0(VALU_DEP_3) | instskip(NEXT) | instid1(VALU_DEP_1)
	v_clz_i32_u32_e32 v31, v1
	v_min_u32_e32 v31, 32, v31
	s_delay_alu instid0(VALU_DEP_1) | instskip(SKIP_1) | instid1(VALU_DEP_2)
	v_subrev_nc_u32_e32 v34, 28, v31
	v_sub_nc_u32_e32 v31, 29, v31
	v_lshlrev_b64 v[36:37], v34, v[1:2]
	s_delay_alu instid0(VALU_DEP_1)
	v_and_b32_e32 v1, 7, v36
; %bb.61:                               ;   in Loop: Header=BB313_13 Depth=1
	s_or_b32 exec_lo, exec_lo, s51
	v_lshlrev_b32_e32 v33, 8, v33
	v_lshl_add_u32 v31, v31, 10, 0x2000
	s_delay_alu instid0(VALU_DEP_1) | instskip(NEXT) | instid1(VALU_DEP_1)
	v_and_or_b32 v31, 0x8000, v33, v31
	v_lshl_or_b32 v1, v1, 7, v31
	s_delay_alu instid0(VALU_DEP_1)
	v_cvt_f32_f16_e32 v31, v1
.LBB313_62:                             ;   in Loop: Header=BB313_13 Depth=1
	s_or_b32 exec_lo, exec_lo, s50
.LBB313_63:                             ;   in Loop: Header=BB313_13 Depth=1
	s_delay_alu instid0(SALU_CYCLE_1)
	s_or_b32 exec_lo, exec_lo, s49
.LBB313_64:                             ;   in Loop: Header=BB313_13 Depth=1
	s_delay_alu instid0(SALU_CYCLE_1) | instskip(SKIP_3) | instid1(VALU_DEP_2)
	s_or_b32 exec_lo, exec_lo, s48
	v_lshrrev_b32_e32 v36, 16, v35
	v_mov_b32_e32 v33, 0
	s_mov_b32 s48, exec_lo
	v_dual_mov_b32 v34, 0 :: v_dual_and_b32 v1, 0xff, v36
	s_delay_alu instid0(VALU_DEP_1)
	v_cmpx_ne_u16_e32 0, v1
	s_cbranch_execz .LBB313_72
; %bb.65:                               ;   in Loop: Header=BB313_13 Depth=1
	v_bfrev_b32_e32 v34, 1
	s_mov_b32 s49, exec_lo
	v_cmpx_ne_u16_e32 0x80, v1
	s_cbranch_execz .LBB313_71
; %bb.66:                               ;   in Loop: Header=BB313_13 Depth=1
	v_bfe_u32 v37, v35, 16, 7
	v_mov_b32_e32 v34, 0x7fc02000
	s_mov_b32 s50, exec_lo
	s_delay_alu instid0(VALU_DEP_2)
	v_cmpx_ne_u32_e32 0x7f, v37
	s_cbranch_execz .LBB313_70
; %bb.67:                               ;   in Loop: Header=BB313_13 Depth=1
	v_and_b32_e32 v1, 7, v36
	v_lshrrev_b32_e32 v34, 3, v37
	s_mov_b32 s51, exec_lo
	v_cmpx_gt_u32_e32 8, v37
; %bb.68:                               ;   in Loop: Header=BB313_13 Depth=1
	s_delay_alu instid0(VALU_DEP_3) | instskip(NEXT) | instid1(VALU_DEP_1)
	v_clz_i32_u32_e32 v34, v1
	v_min_u32_e32 v34, 32, v34
	s_delay_alu instid0(VALU_DEP_1) | instskip(SKIP_1) | instid1(VALU_DEP_2)
	v_subrev_nc_u32_e32 v37, 28, v34
	v_sub_nc_u32_e32 v34, 29, v34
	v_lshlrev_b64 v[37:38], v37, v[1:2]
	s_delay_alu instid0(VALU_DEP_1)
	v_and_b32_e32 v1, 7, v37
; %bb.69:                               ;   in Loop: Header=BB313_13 Depth=1
	s_or_b32 exec_lo, exec_lo, s51
	v_lshlrev_b32_e32 v36, 8, v36
	v_lshl_add_u32 v34, v34, 10, 0x2000
	s_delay_alu instid0(VALU_DEP_1) | instskip(NEXT) | instid1(VALU_DEP_1)
	v_and_or_b32 v34, 0x8000, v36, v34
	v_lshl_or_b32 v1, v1, 7, v34
	s_delay_alu instid0(VALU_DEP_1)
	v_cvt_f32_f16_e32 v34, v1
.LBB313_70:                             ;   in Loop: Header=BB313_13 Depth=1
	s_or_b32 exec_lo, exec_lo, s50
.LBB313_71:                             ;   in Loop: Header=BB313_13 Depth=1
	s_delay_alu instid0(SALU_CYCLE_1)
	s_or_b32 exec_lo, exec_lo, s49
.LBB313_72:                             ;   in Loop: Header=BB313_13 Depth=1
	s_delay_alu instid0(SALU_CYCLE_1) | instskip(NEXT) | instid1(SALU_CYCLE_1)
	s_or_b32 exec_lo, exec_lo, s48
	s_mov_b32 s48, exec_lo
	v_cmpx_lt_u32_e32 0xffffff, v35
	s_cbranch_execz .LBB313_80
; %bb.73:                               ;   in Loop: Header=BB313_13 Depth=1
	v_lshrrev_b32_e32 v35, 24, v35
	v_bfrev_b32_e32 v33, 1
	s_mov_b32 s49, exec_lo
	s_delay_alu instid0(VALU_DEP_2)
	v_cmpx_ne_u32_e32 0x80, v35
	s_cbranch_execz .LBB313_79
; %bb.74:                               ;   in Loop: Header=BB313_13 Depth=1
	v_and_b32_e32 v36, 0x7f, v35
	v_mov_b32_e32 v33, 0x7fc02000
	s_mov_b32 s50, exec_lo
	s_delay_alu instid0(VALU_DEP_2)
	v_cmpx_ne_u32_e32 0x7f, v36
	s_cbranch_execz .LBB313_78
; %bb.75:                               ;   in Loop: Header=BB313_13 Depth=1
	v_and_b32_e32 v1, 7, v35
	v_lshrrev_b32_e32 v33, 3, v36
	s_mov_b32 s51, exec_lo
	v_cmpx_gt_u32_e32 8, v36
; %bb.76:                               ;   in Loop: Header=BB313_13 Depth=1
	s_delay_alu instid0(VALU_DEP_3) | instskip(NEXT) | instid1(VALU_DEP_1)
	v_clz_i32_u32_e32 v33, v1
	v_min_u32_e32 v33, 32, v33
	s_delay_alu instid0(VALU_DEP_1) | instskip(SKIP_1) | instid1(VALU_DEP_2)
	v_subrev_nc_u32_e32 v36, 28, v33
	v_sub_nc_u32_e32 v33, 29, v33
	v_lshlrev_b64 v[36:37], v36, v[1:2]
	s_delay_alu instid0(VALU_DEP_1)
	v_and_b32_e32 v1, 7, v36
; %bb.77:                               ;   in Loop: Header=BB313_13 Depth=1
	s_or_b32 exec_lo, exec_lo, s51
	v_lshlrev_b32_e32 v35, 8, v35
	v_lshl_add_u32 v33, v33, 10, 0x2000
	s_delay_alu instid0(VALU_DEP_1) | instskip(NEXT) | instid1(VALU_DEP_1)
	v_and_or_b32 v33, 0x8000, v35, v33
	v_lshl_or_b32 v1, v1, 7, v33
	s_delay_alu instid0(VALU_DEP_1)
	v_cvt_f32_f16_e32 v33, v1
.LBB313_78:                             ;   in Loop: Header=BB313_13 Depth=1
	s_or_b32 exec_lo, exec_lo, s50
.LBB313_79:                             ;   in Loop: Header=BB313_13 Depth=1
	s_delay_alu instid0(SALU_CYCLE_1)
	s_or_b32 exec_lo, exec_lo, s49
.LBB313_80:                             ;   in Loop: Header=BB313_13 Depth=1
	s_delay_alu instid0(SALU_CYCLE_1)
	s_or_b32 exec_lo, exec_lo, s48
	global_load_b32 v39, v[10:11], off offset:256
	v_mov_b32_e32 v35, 0
	s_mov_b32 s48, exec_lo
	s_waitcnt vmcnt(0)
	v_dual_mov_b32 v36, 0 :: v_dual_and_b32 v1, 0xff, v39
	s_delay_alu instid0(VALU_DEP_1)
	v_cmpx_ne_u16_e32 0, v1
	s_cbranch_execz .LBB313_88
; %bb.81:                               ;   in Loop: Header=BB313_13 Depth=1
	v_bfrev_b32_e32 v36, 1
	s_mov_b32 s49, exec_lo
	v_cmpx_ne_u16_e32 0x80, v1
	s_cbranch_execz .LBB313_87
; %bb.82:                               ;   in Loop: Header=BB313_13 Depth=1
	v_and_b32_e32 v37, 0x7f, v39
	v_mov_b32_e32 v36, 0x7fc02000
	s_mov_b32 s50, exec_lo
	s_delay_alu instid0(VALU_DEP_2)
	v_cmpx_ne_u32_e32 0x7f, v37
	s_cbranch_execz .LBB313_86
; %bb.83:                               ;   in Loop: Header=BB313_13 Depth=1
	v_and_b32_e32 v1, 7, v39
	v_lshrrev_b32_e32 v36, 3, v37
	s_mov_b32 s51, exec_lo
	v_cmpx_gt_u32_e32 8, v37
; %bb.84:                               ;   in Loop: Header=BB313_13 Depth=1
	s_delay_alu instid0(VALU_DEP_3) | instskip(NEXT) | instid1(VALU_DEP_1)
	v_clz_i32_u32_e32 v36, v1
	v_min_u32_e32 v36, 32, v36
	s_delay_alu instid0(VALU_DEP_1) | instskip(SKIP_1) | instid1(VALU_DEP_2)
	v_subrev_nc_u32_e32 v37, 28, v36
	v_sub_nc_u32_e32 v36, 29, v36
	v_lshlrev_b64 v[37:38], v37, v[1:2]
	s_delay_alu instid0(VALU_DEP_1)
	v_and_b32_e32 v1, 7, v37
; %bb.85:                               ;   in Loop: Header=BB313_13 Depth=1
	s_or_b32 exec_lo, exec_lo, s51
	v_lshlrev_b32_e32 v37, 8, v39
	v_lshl_add_u32 v36, v36, 10, 0x2000
	s_delay_alu instid0(VALU_DEP_1) | instskip(NEXT) | instid1(VALU_DEP_1)
	v_and_or_b32 v36, 0x8000, v37, v36
	v_lshl_or_b32 v1, v1, 7, v36
	s_delay_alu instid0(VALU_DEP_1)
	v_cvt_f32_f16_e32 v36, v1
.LBB313_86:                             ;   in Loop: Header=BB313_13 Depth=1
	s_or_b32 exec_lo, exec_lo, s50
.LBB313_87:                             ;   in Loop: Header=BB313_13 Depth=1
	s_delay_alu instid0(SALU_CYCLE_1)
	s_or_b32 exec_lo, exec_lo, s49
.LBB313_88:                             ;   in Loop: Header=BB313_13 Depth=1
	s_delay_alu instid0(SALU_CYCLE_1) | instskip(SKIP_2) | instid1(VALU_DEP_1)
	s_or_b32 exec_lo, exec_lo, s48
	v_lshrrev_b16 v1, 8, v39
	s_mov_b32 s48, exec_lo
	v_cmpx_ne_u16_e32 0, v1
	s_cbranch_execz .LBB313_96
; %bb.89:                               ;   in Loop: Header=BB313_13 Depth=1
	v_bfrev_b32_e32 v35, 1
	s_mov_b32 s49, exec_lo
	v_cmpx_ne_u16_e32 0x80, v1
	s_cbranch_execz .LBB313_95
; %bb.90:                               ;   in Loop: Header=BB313_13 Depth=1
	v_and_b32_e32 v37, 0xffff, v1
	v_mov_b32_e32 v35, 0x7fc02000
	s_mov_b32 s50, exec_lo
	s_delay_alu instid0(VALU_DEP_2) | instskip(NEXT) | instid1(VALU_DEP_1)
	v_and_b32_e32 v38, 0x7f, v37
	v_cmpx_ne_u32_e32 0x7f, v38
	s_cbranch_execz .LBB313_94
; %bb.91:                               ;   in Loop: Header=BB313_13 Depth=1
	v_and_b32_e32 v1, 7, v37
	v_lshrrev_b32_e32 v35, 3, v38
	s_mov_b32 s51, exec_lo
	v_cmpx_gt_u32_e32 8, v38
; %bb.92:                               ;   in Loop: Header=BB313_13 Depth=1
	s_delay_alu instid0(VALU_DEP_3) | instskip(NEXT) | instid1(VALU_DEP_1)
	v_clz_i32_u32_e32 v35, v1
	v_min_u32_e32 v35, 32, v35
	s_delay_alu instid0(VALU_DEP_1) | instskip(SKIP_1) | instid1(VALU_DEP_2)
	v_subrev_nc_u32_e32 v38, 28, v35
	v_sub_nc_u32_e32 v35, 29, v35
	v_lshlrev_b64 v[40:41], v38, v[1:2]
	s_delay_alu instid0(VALU_DEP_1)
	v_and_b32_e32 v1, 7, v40
; %bb.93:                               ;   in Loop: Header=BB313_13 Depth=1
	s_or_b32 exec_lo, exec_lo, s51
	v_lshlrev_b32_e32 v37, 8, v37
	v_lshl_add_u32 v35, v35, 10, 0x2000
	s_delay_alu instid0(VALU_DEP_1) | instskip(NEXT) | instid1(VALU_DEP_1)
	v_and_or_b32 v35, 0x8000, v37, v35
	v_lshl_or_b32 v1, v1, 7, v35
	s_delay_alu instid0(VALU_DEP_1)
	v_cvt_f32_f16_e32 v35, v1
.LBB313_94:                             ;   in Loop: Header=BB313_13 Depth=1
	s_or_b32 exec_lo, exec_lo, s50
.LBB313_95:                             ;   in Loop: Header=BB313_13 Depth=1
	s_delay_alu instid0(SALU_CYCLE_1)
	s_or_b32 exec_lo, exec_lo, s49
.LBB313_96:                             ;   in Loop: Header=BB313_13 Depth=1
	s_delay_alu instid0(SALU_CYCLE_1) | instskip(SKIP_3) | instid1(VALU_DEP_2)
	s_or_b32 exec_lo, exec_lo, s48
	v_lshrrev_b32_e32 v40, 16, v39
	v_mov_b32_e32 v37, 0
	s_mov_b32 s48, exec_lo
	v_dual_mov_b32 v38, 0 :: v_dual_and_b32 v1, 0xff, v40
	s_delay_alu instid0(VALU_DEP_1)
	v_cmpx_ne_u16_e32 0, v1
	s_cbranch_execz .LBB313_104
; %bb.97:                               ;   in Loop: Header=BB313_13 Depth=1
	v_bfrev_b32_e32 v38, 1
	s_mov_b32 s49, exec_lo
	v_cmpx_ne_u16_e32 0x80, v1
	s_cbranch_execz .LBB313_103
; %bb.98:                               ;   in Loop: Header=BB313_13 Depth=1
	v_bfe_u32 v41, v39, 16, 7
	v_mov_b32_e32 v38, 0x7fc02000
	s_mov_b32 s50, exec_lo
	s_delay_alu instid0(VALU_DEP_2)
	v_cmpx_ne_u32_e32 0x7f, v41
	s_cbranch_execz .LBB313_102
; %bb.99:                               ;   in Loop: Header=BB313_13 Depth=1
	v_and_b32_e32 v1, 7, v40
	v_lshrrev_b32_e32 v38, 3, v41
	s_mov_b32 s51, exec_lo
	v_cmpx_gt_u32_e32 8, v41
; %bb.100:                              ;   in Loop: Header=BB313_13 Depth=1
	s_delay_alu instid0(VALU_DEP_3) | instskip(NEXT) | instid1(VALU_DEP_1)
	v_clz_i32_u32_e32 v38, v1
	v_min_u32_e32 v38, 32, v38
	s_delay_alu instid0(VALU_DEP_1) | instskip(SKIP_1) | instid1(VALU_DEP_2)
	v_subrev_nc_u32_e32 v41, 28, v38
	v_sub_nc_u32_e32 v38, 29, v38
	v_lshlrev_b64 v[41:42], v41, v[1:2]
	s_delay_alu instid0(VALU_DEP_1)
	v_and_b32_e32 v1, 7, v41
; %bb.101:                              ;   in Loop: Header=BB313_13 Depth=1
	s_or_b32 exec_lo, exec_lo, s51
	v_lshlrev_b32_e32 v40, 8, v40
	v_lshl_add_u32 v38, v38, 10, 0x2000
	s_delay_alu instid0(VALU_DEP_1) | instskip(NEXT) | instid1(VALU_DEP_1)
	v_and_or_b32 v38, 0x8000, v40, v38
	v_lshl_or_b32 v1, v1, 7, v38
	s_delay_alu instid0(VALU_DEP_1)
	v_cvt_f32_f16_e32 v38, v1
.LBB313_102:                            ;   in Loop: Header=BB313_13 Depth=1
	s_or_b32 exec_lo, exec_lo, s50
.LBB313_103:                            ;   in Loop: Header=BB313_13 Depth=1
	s_delay_alu instid0(SALU_CYCLE_1)
	s_or_b32 exec_lo, exec_lo, s49
.LBB313_104:                            ;   in Loop: Header=BB313_13 Depth=1
	s_delay_alu instid0(SALU_CYCLE_1) | instskip(NEXT) | instid1(SALU_CYCLE_1)
	s_or_b32 exec_lo, exec_lo, s48
	s_mov_b32 s48, exec_lo
	v_cmpx_lt_u32_e32 0xffffff, v39
	s_cbranch_execz .LBB313_112
; %bb.105:                              ;   in Loop: Header=BB313_13 Depth=1
	v_lshrrev_b32_e32 v39, 24, v39
	v_bfrev_b32_e32 v37, 1
	s_mov_b32 s49, exec_lo
	s_delay_alu instid0(VALU_DEP_2)
	v_cmpx_ne_u32_e32 0x80, v39
	s_cbranch_execz .LBB313_111
; %bb.106:                              ;   in Loop: Header=BB313_13 Depth=1
	v_and_b32_e32 v40, 0x7f, v39
	v_mov_b32_e32 v37, 0x7fc02000
	s_mov_b32 s50, exec_lo
	s_delay_alu instid0(VALU_DEP_2)
	v_cmpx_ne_u32_e32 0x7f, v40
	s_cbranch_execz .LBB313_110
; %bb.107:                              ;   in Loop: Header=BB313_13 Depth=1
	v_and_b32_e32 v1, 7, v39
	v_lshrrev_b32_e32 v37, 3, v40
	s_mov_b32 s51, exec_lo
	v_cmpx_gt_u32_e32 8, v40
; %bb.108:                              ;   in Loop: Header=BB313_13 Depth=1
	s_delay_alu instid0(VALU_DEP_3) | instskip(NEXT) | instid1(VALU_DEP_1)
	v_clz_i32_u32_e32 v37, v1
	v_min_u32_e32 v37, 32, v37
	s_delay_alu instid0(VALU_DEP_1) | instskip(SKIP_1) | instid1(VALU_DEP_2)
	v_subrev_nc_u32_e32 v40, 28, v37
	v_sub_nc_u32_e32 v37, 29, v37
	v_lshlrev_b64 v[40:41], v40, v[1:2]
	s_delay_alu instid0(VALU_DEP_1)
	v_and_b32_e32 v1, 7, v40
; %bb.109:                              ;   in Loop: Header=BB313_13 Depth=1
	s_or_b32 exec_lo, exec_lo, s51
	v_lshlrev_b32_e32 v39, 8, v39
	v_lshl_add_u32 v37, v37, 10, 0x2000
	s_delay_alu instid0(VALU_DEP_1) | instskip(NEXT) | instid1(VALU_DEP_1)
	v_and_or_b32 v37, 0x8000, v39, v37
	v_lshl_or_b32 v1, v1, 7, v37
	s_delay_alu instid0(VALU_DEP_1)
	v_cvt_f32_f16_e32 v37, v1
.LBB313_110:                            ;   in Loop: Header=BB313_13 Depth=1
	s_or_b32 exec_lo, exec_lo, s50
.LBB313_111:                            ;   in Loop: Header=BB313_13 Depth=1
	s_delay_alu instid0(SALU_CYCLE_1)
	s_or_b32 exec_lo, exec_lo, s49
.LBB313_112:                            ;   in Loop: Header=BB313_13 Depth=1
	s_delay_alu instid0(SALU_CYCLE_1)
	s_or_b32 exec_lo, exec_lo, s48
	global_load_b32 v43, v[10:11], off offset:264
	v_mov_b32_e32 v39, 0
	s_mov_b32 s48, exec_lo
	s_waitcnt vmcnt(0)
	v_dual_mov_b32 v40, 0 :: v_dual_and_b32 v1, 0xff, v43
	s_delay_alu instid0(VALU_DEP_1)
	v_cmpx_ne_u16_e32 0, v1
	s_cbranch_execz .LBB313_120
; %bb.113:                              ;   in Loop: Header=BB313_13 Depth=1
	v_bfrev_b32_e32 v40, 1
	s_mov_b32 s49, exec_lo
	v_cmpx_ne_u16_e32 0x80, v1
	s_cbranch_execz .LBB313_119
; %bb.114:                              ;   in Loop: Header=BB313_13 Depth=1
	v_and_b32_e32 v41, 0x7f, v43
	v_mov_b32_e32 v40, 0x7fc02000
	s_mov_b32 s50, exec_lo
	s_delay_alu instid0(VALU_DEP_2)
	v_cmpx_ne_u32_e32 0x7f, v41
	s_cbranch_execz .LBB313_118
; %bb.115:                              ;   in Loop: Header=BB313_13 Depth=1
	v_and_b32_e32 v1, 7, v43
	v_lshrrev_b32_e32 v40, 3, v41
	s_mov_b32 s51, exec_lo
	v_cmpx_gt_u32_e32 8, v41
; %bb.116:                              ;   in Loop: Header=BB313_13 Depth=1
	s_delay_alu instid0(VALU_DEP_3) | instskip(NEXT) | instid1(VALU_DEP_1)
	v_clz_i32_u32_e32 v40, v1
	v_min_u32_e32 v40, 32, v40
	s_delay_alu instid0(VALU_DEP_1) | instskip(SKIP_1) | instid1(VALU_DEP_2)
	v_subrev_nc_u32_e32 v41, 28, v40
	v_sub_nc_u32_e32 v40, 29, v40
	v_lshlrev_b64 v[41:42], v41, v[1:2]
	s_delay_alu instid0(VALU_DEP_1)
	v_and_b32_e32 v1, 7, v41
; %bb.117:                              ;   in Loop: Header=BB313_13 Depth=1
	s_or_b32 exec_lo, exec_lo, s51
	v_lshlrev_b32_e32 v41, 8, v43
	v_lshl_add_u32 v40, v40, 10, 0x2000
	s_delay_alu instid0(VALU_DEP_1) | instskip(NEXT) | instid1(VALU_DEP_1)
	v_and_or_b32 v40, 0x8000, v41, v40
	v_lshl_or_b32 v1, v1, 7, v40
	s_delay_alu instid0(VALU_DEP_1)
	v_cvt_f32_f16_e32 v40, v1
.LBB313_118:                            ;   in Loop: Header=BB313_13 Depth=1
	s_or_b32 exec_lo, exec_lo, s50
.LBB313_119:                            ;   in Loop: Header=BB313_13 Depth=1
	s_delay_alu instid0(SALU_CYCLE_1)
	s_or_b32 exec_lo, exec_lo, s49
.LBB313_120:                            ;   in Loop: Header=BB313_13 Depth=1
	s_delay_alu instid0(SALU_CYCLE_1) | instskip(SKIP_2) | instid1(VALU_DEP_1)
	s_or_b32 exec_lo, exec_lo, s48
	v_lshrrev_b16 v1, 8, v43
	s_mov_b32 s48, exec_lo
	v_cmpx_ne_u16_e32 0, v1
	s_cbranch_execz .LBB313_128
; %bb.121:                              ;   in Loop: Header=BB313_13 Depth=1
	v_bfrev_b32_e32 v39, 1
	s_mov_b32 s49, exec_lo
	v_cmpx_ne_u16_e32 0x80, v1
	s_cbranch_execz .LBB313_127
; %bb.122:                              ;   in Loop: Header=BB313_13 Depth=1
	v_and_b32_e32 v41, 0xffff, v1
	v_mov_b32_e32 v39, 0x7fc02000
	s_mov_b32 s50, exec_lo
	s_delay_alu instid0(VALU_DEP_2) | instskip(NEXT) | instid1(VALU_DEP_1)
	v_and_b32_e32 v42, 0x7f, v41
	v_cmpx_ne_u32_e32 0x7f, v42
	s_cbranch_execz .LBB313_126
; %bb.123:                              ;   in Loop: Header=BB313_13 Depth=1
	v_and_b32_e32 v1, 7, v41
	v_lshrrev_b32_e32 v39, 3, v42
	s_mov_b32 s51, exec_lo
	v_cmpx_gt_u32_e32 8, v42
; %bb.124:                              ;   in Loop: Header=BB313_13 Depth=1
	s_delay_alu instid0(VALU_DEP_3) | instskip(NEXT) | instid1(VALU_DEP_1)
	v_clz_i32_u32_e32 v39, v1
	v_min_u32_e32 v39, 32, v39
	s_delay_alu instid0(VALU_DEP_1) | instskip(SKIP_1) | instid1(VALU_DEP_2)
	v_subrev_nc_u32_e32 v42, 28, v39
	v_sub_nc_u32_e32 v39, 29, v39
	v_lshlrev_b64 v[44:45], v42, v[1:2]
	s_delay_alu instid0(VALU_DEP_1)
	v_and_b32_e32 v1, 7, v44
; %bb.125:                              ;   in Loop: Header=BB313_13 Depth=1
	s_or_b32 exec_lo, exec_lo, s51
	v_lshlrev_b32_e32 v41, 8, v41
	v_lshl_add_u32 v39, v39, 10, 0x2000
	s_delay_alu instid0(VALU_DEP_1) | instskip(NEXT) | instid1(VALU_DEP_1)
	v_and_or_b32 v39, 0x8000, v41, v39
	v_lshl_or_b32 v1, v1, 7, v39
	s_delay_alu instid0(VALU_DEP_1)
	v_cvt_f32_f16_e32 v39, v1
.LBB313_126:                            ;   in Loop: Header=BB313_13 Depth=1
	s_or_b32 exec_lo, exec_lo, s50
.LBB313_127:                            ;   in Loop: Header=BB313_13 Depth=1
	s_delay_alu instid0(SALU_CYCLE_1)
	s_or_b32 exec_lo, exec_lo, s49
.LBB313_128:                            ;   in Loop: Header=BB313_13 Depth=1
	s_delay_alu instid0(SALU_CYCLE_1) | instskip(SKIP_3) | instid1(VALU_DEP_2)
	s_or_b32 exec_lo, exec_lo, s48
	v_lshrrev_b32_e32 v44, 16, v43
	v_mov_b32_e32 v41, 0
	s_mov_b32 s48, exec_lo
	v_dual_mov_b32 v42, 0 :: v_dual_and_b32 v1, 0xff, v44
	s_delay_alu instid0(VALU_DEP_1)
	v_cmpx_ne_u16_e32 0, v1
	s_cbranch_execz .LBB313_136
; %bb.129:                              ;   in Loop: Header=BB313_13 Depth=1
	v_bfrev_b32_e32 v42, 1
	s_mov_b32 s49, exec_lo
	v_cmpx_ne_u16_e32 0x80, v1
	s_cbranch_execz .LBB313_135
; %bb.130:                              ;   in Loop: Header=BB313_13 Depth=1
	v_bfe_u32 v45, v43, 16, 7
	v_mov_b32_e32 v42, 0x7fc02000
	s_mov_b32 s50, exec_lo
	s_delay_alu instid0(VALU_DEP_2)
	v_cmpx_ne_u32_e32 0x7f, v45
	s_cbranch_execz .LBB313_134
; %bb.131:                              ;   in Loop: Header=BB313_13 Depth=1
	v_and_b32_e32 v1, 7, v44
	v_lshrrev_b32_e32 v42, 3, v45
	s_mov_b32 s51, exec_lo
	v_cmpx_gt_u32_e32 8, v45
; %bb.132:                              ;   in Loop: Header=BB313_13 Depth=1
	s_delay_alu instid0(VALU_DEP_3) | instskip(NEXT) | instid1(VALU_DEP_1)
	v_clz_i32_u32_e32 v42, v1
	v_min_u32_e32 v42, 32, v42
	s_delay_alu instid0(VALU_DEP_1) | instskip(SKIP_1) | instid1(VALU_DEP_2)
	v_subrev_nc_u32_e32 v45, 28, v42
	v_sub_nc_u32_e32 v42, 29, v42
	v_lshlrev_b64 v[45:46], v45, v[1:2]
	s_delay_alu instid0(VALU_DEP_1)
	v_and_b32_e32 v1, 7, v45
; %bb.133:                              ;   in Loop: Header=BB313_13 Depth=1
	s_or_b32 exec_lo, exec_lo, s51
	v_lshlrev_b32_e32 v44, 8, v44
	v_lshl_add_u32 v42, v42, 10, 0x2000
	s_delay_alu instid0(VALU_DEP_1) | instskip(NEXT) | instid1(VALU_DEP_1)
	v_and_or_b32 v42, 0x8000, v44, v42
	v_lshl_or_b32 v1, v1, 7, v42
	s_delay_alu instid0(VALU_DEP_1)
	v_cvt_f32_f16_e32 v42, v1
.LBB313_134:                            ;   in Loop: Header=BB313_13 Depth=1
	s_or_b32 exec_lo, exec_lo, s50
.LBB313_135:                            ;   in Loop: Header=BB313_13 Depth=1
	s_delay_alu instid0(SALU_CYCLE_1)
	s_or_b32 exec_lo, exec_lo, s49
.LBB313_136:                            ;   in Loop: Header=BB313_13 Depth=1
	s_delay_alu instid0(SALU_CYCLE_1) | instskip(NEXT) | instid1(SALU_CYCLE_1)
	s_or_b32 exec_lo, exec_lo, s48
	s_mov_b32 s48, exec_lo
	v_cmpx_lt_u32_e32 0xffffff, v43
	s_cbranch_execz .LBB313_144
; %bb.137:                              ;   in Loop: Header=BB313_13 Depth=1
	v_lshrrev_b32_e32 v43, 24, v43
	v_bfrev_b32_e32 v41, 1
	s_mov_b32 s49, exec_lo
	s_delay_alu instid0(VALU_DEP_2)
	v_cmpx_ne_u32_e32 0x80, v43
	s_cbranch_execz .LBB313_143
; %bb.138:                              ;   in Loop: Header=BB313_13 Depth=1
	v_and_b32_e32 v44, 0x7f, v43
	v_mov_b32_e32 v41, 0x7fc02000
	s_mov_b32 s50, exec_lo
	s_delay_alu instid0(VALU_DEP_2)
	v_cmpx_ne_u32_e32 0x7f, v44
	s_cbranch_execz .LBB313_142
; %bb.139:                              ;   in Loop: Header=BB313_13 Depth=1
	v_and_b32_e32 v1, 7, v43
	v_lshrrev_b32_e32 v41, 3, v44
	s_mov_b32 s51, exec_lo
	v_cmpx_gt_u32_e32 8, v44
; %bb.140:                              ;   in Loop: Header=BB313_13 Depth=1
	s_delay_alu instid0(VALU_DEP_3) | instskip(NEXT) | instid1(VALU_DEP_1)
	v_clz_i32_u32_e32 v41, v1
	v_min_u32_e32 v41, 32, v41
	s_delay_alu instid0(VALU_DEP_1) | instskip(SKIP_1) | instid1(VALU_DEP_2)
	v_subrev_nc_u32_e32 v44, 28, v41
	v_sub_nc_u32_e32 v41, 29, v41
	v_lshlrev_b64 v[44:45], v44, v[1:2]
	s_delay_alu instid0(VALU_DEP_1)
	v_and_b32_e32 v1, 7, v44
; %bb.141:                              ;   in Loop: Header=BB313_13 Depth=1
	s_or_b32 exec_lo, exec_lo, s51
	v_lshlrev_b32_e32 v43, 8, v43
	v_lshl_add_u32 v41, v41, 10, 0x2000
	s_delay_alu instid0(VALU_DEP_1) | instskip(NEXT) | instid1(VALU_DEP_1)
	v_and_or_b32 v41, 0x8000, v43, v41
	v_lshl_or_b32 v1, v1, 7, v41
	s_delay_alu instid0(VALU_DEP_1)
	v_cvt_f32_f16_e32 v41, v1
.LBB313_142:                            ;   in Loop: Header=BB313_13 Depth=1
	s_or_b32 exec_lo, exec_lo, s50
.LBB313_143:                            ;   in Loop: Header=BB313_13 Depth=1
	s_delay_alu instid0(SALU_CYCLE_1)
	s_or_b32 exec_lo, exec_lo, s49
.LBB313_144:                            ;   in Loop: Header=BB313_13 Depth=1
	s_delay_alu instid0(SALU_CYCLE_1)
	s_or_b32 exec_lo, exec_lo, s48
	global_load_b32 v47, v[10:11], off offset:512
	v_mov_b32_e32 v43, 0
	s_mov_b32 s48, exec_lo
	s_waitcnt vmcnt(0)
	v_dual_mov_b32 v44, 0 :: v_dual_and_b32 v1, 0xff, v47
	s_delay_alu instid0(VALU_DEP_1)
	v_cmpx_ne_u16_e32 0, v1
	s_cbranch_execz .LBB313_152
; %bb.145:                              ;   in Loop: Header=BB313_13 Depth=1
	v_bfrev_b32_e32 v44, 1
	s_mov_b32 s49, exec_lo
	v_cmpx_ne_u16_e32 0x80, v1
	s_cbranch_execz .LBB313_151
; %bb.146:                              ;   in Loop: Header=BB313_13 Depth=1
	v_and_b32_e32 v45, 0x7f, v47
	v_mov_b32_e32 v44, 0x7fc02000
	s_mov_b32 s50, exec_lo
	s_delay_alu instid0(VALU_DEP_2)
	v_cmpx_ne_u32_e32 0x7f, v45
	s_cbranch_execz .LBB313_150
; %bb.147:                              ;   in Loop: Header=BB313_13 Depth=1
	v_and_b32_e32 v1, 7, v47
	v_lshrrev_b32_e32 v44, 3, v45
	s_mov_b32 s51, exec_lo
	v_cmpx_gt_u32_e32 8, v45
; %bb.148:                              ;   in Loop: Header=BB313_13 Depth=1
	s_delay_alu instid0(VALU_DEP_3) | instskip(NEXT) | instid1(VALU_DEP_1)
	v_clz_i32_u32_e32 v44, v1
	v_min_u32_e32 v44, 32, v44
	s_delay_alu instid0(VALU_DEP_1) | instskip(SKIP_1) | instid1(VALU_DEP_2)
	v_subrev_nc_u32_e32 v45, 28, v44
	v_sub_nc_u32_e32 v44, 29, v44
	v_lshlrev_b64 v[45:46], v45, v[1:2]
	s_delay_alu instid0(VALU_DEP_1)
	v_and_b32_e32 v1, 7, v45
; %bb.149:                              ;   in Loop: Header=BB313_13 Depth=1
	s_or_b32 exec_lo, exec_lo, s51
	v_lshlrev_b32_e32 v45, 8, v47
	v_lshl_add_u32 v44, v44, 10, 0x2000
	s_delay_alu instid0(VALU_DEP_1) | instskip(NEXT) | instid1(VALU_DEP_1)
	v_and_or_b32 v44, 0x8000, v45, v44
	v_lshl_or_b32 v1, v1, 7, v44
	s_delay_alu instid0(VALU_DEP_1)
	v_cvt_f32_f16_e32 v44, v1
.LBB313_150:                            ;   in Loop: Header=BB313_13 Depth=1
	s_or_b32 exec_lo, exec_lo, s50
.LBB313_151:                            ;   in Loop: Header=BB313_13 Depth=1
	s_delay_alu instid0(SALU_CYCLE_1)
	s_or_b32 exec_lo, exec_lo, s49
.LBB313_152:                            ;   in Loop: Header=BB313_13 Depth=1
	s_delay_alu instid0(SALU_CYCLE_1) | instskip(SKIP_2) | instid1(VALU_DEP_1)
	s_or_b32 exec_lo, exec_lo, s48
	v_lshrrev_b16 v1, 8, v47
	s_mov_b32 s48, exec_lo
	v_cmpx_ne_u16_e32 0, v1
	s_cbranch_execz .LBB313_160
; %bb.153:                              ;   in Loop: Header=BB313_13 Depth=1
	v_bfrev_b32_e32 v43, 1
	s_mov_b32 s49, exec_lo
	v_cmpx_ne_u16_e32 0x80, v1
	s_cbranch_execz .LBB313_159
; %bb.154:                              ;   in Loop: Header=BB313_13 Depth=1
	v_and_b32_e32 v45, 0xffff, v1
	v_mov_b32_e32 v43, 0x7fc02000
	s_mov_b32 s50, exec_lo
	s_delay_alu instid0(VALU_DEP_2) | instskip(NEXT) | instid1(VALU_DEP_1)
	v_and_b32_e32 v46, 0x7f, v45
	v_cmpx_ne_u32_e32 0x7f, v46
	s_cbranch_execz .LBB313_158
; %bb.155:                              ;   in Loop: Header=BB313_13 Depth=1
	v_and_b32_e32 v1, 7, v45
	v_lshrrev_b32_e32 v43, 3, v46
	s_mov_b32 s51, exec_lo
	v_cmpx_gt_u32_e32 8, v46
; %bb.156:                              ;   in Loop: Header=BB313_13 Depth=1
	s_delay_alu instid0(VALU_DEP_3) | instskip(NEXT) | instid1(VALU_DEP_1)
	v_clz_i32_u32_e32 v43, v1
	v_min_u32_e32 v43, 32, v43
	s_delay_alu instid0(VALU_DEP_1) | instskip(SKIP_1) | instid1(VALU_DEP_2)
	v_subrev_nc_u32_e32 v46, 28, v43
	v_sub_nc_u32_e32 v43, 29, v43
	v_lshlrev_b64 v[48:49], v46, v[1:2]
	s_delay_alu instid0(VALU_DEP_1)
	v_and_b32_e32 v1, 7, v48
; %bb.157:                              ;   in Loop: Header=BB313_13 Depth=1
	s_or_b32 exec_lo, exec_lo, s51
	v_lshlrev_b32_e32 v45, 8, v45
	v_lshl_add_u32 v43, v43, 10, 0x2000
	s_delay_alu instid0(VALU_DEP_1) | instskip(NEXT) | instid1(VALU_DEP_1)
	v_and_or_b32 v43, 0x8000, v45, v43
	v_lshl_or_b32 v1, v1, 7, v43
	s_delay_alu instid0(VALU_DEP_1)
	v_cvt_f32_f16_e32 v43, v1
.LBB313_158:                            ;   in Loop: Header=BB313_13 Depth=1
	s_or_b32 exec_lo, exec_lo, s50
.LBB313_159:                            ;   in Loop: Header=BB313_13 Depth=1
	s_delay_alu instid0(SALU_CYCLE_1)
	s_or_b32 exec_lo, exec_lo, s49
.LBB313_160:                            ;   in Loop: Header=BB313_13 Depth=1
	s_delay_alu instid0(SALU_CYCLE_1) | instskip(SKIP_3) | instid1(VALU_DEP_2)
	s_or_b32 exec_lo, exec_lo, s48
	v_lshrrev_b32_e32 v48, 16, v47
	v_mov_b32_e32 v45, 0
	s_mov_b32 s48, exec_lo
	v_dual_mov_b32 v46, 0 :: v_dual_and_b32 v1, 0xff, v48
	s_delay_alu instid0(VALU_DEP_1)
	v_cmpx_ne_u16_e32 0, v1
	s_cbranch_execz .LBB313_168
; %bb.161:                              ;   in Loop: Header=BB313_13 Depth=1
	v_bfrev_b32_e32 v46, 1
	s_mov_b32 s49, exec_lo
	v_cmpx_ne_u16_e32 0x80, v1
	s_cbranch_execz .LBB313_167
; %bb.162:                              ;   in Loop: Header=BB313_13 Depth=1
	v_bfe_u32 v49, v47, 16, 7
	v_mov_b32_e32 v46, 0x7fc02000
	s_mov_b32 s50, exec_lo
	s_delay_alu instid0(VALU_DEP_2)
	v_cmpx_ne_u32_e32 0x7f, v49
	s_cbranch_execz .LBB313_166
; %bb.163:                              ;   in Loop: Header=BB313_13 Depth=1
	v_and_b32_e32 v1, 7, v48
	v_lshrrev_b32_e32 v46, 3, v49
	s_mov_b32 s51, exec_lo
	v_cmpx_gt_u32_e32 8, v49
; %bb.164:                              ;   in Loop: Header=BB313_13 Depth=1
	s_delay_alu instid0(VALU_DEP_3) | instskip(NEXT) | instid1(VALU_DEP_1)
	v_clz_i32_u32_e32 v46, v1
	v_min_u32_e32 v46, 32, v46
	s_delay_alu instid0(VALU_DEP_1) | instskip(SKIP_1) | instid1(VALU_DEP_2)
	v_subrev_nc_u32_e32 v49, 28, v46
	v_sub_nc_u32_e32 v46, 29, v46
	v_lshlrev_b64 v[49:50], v49, v[1:2]
	s_delay_alu instid0(VALU_DEP_1)
	v_and_b32_e32 v1, 7, v49
; %bb.165:                              ;   in Loop: Header=BB313_13 Depth=1
	s_or_b32 exec_lo, exec_lo, s51
	v_lshlrev_b32_e32 v48, 8, v48
	v_lshl_add_u32 v46, v46, 10, 0x2000
	s_delay_alu instid0(VALU_DEP_1) | instskip(NEXT) | instid1(VALU_DEP_1)
	v_and_or_b32 v46, 0x8000, v48, v46
	v_lshl_or_b32 v1, v1, 7, v46
	s_delay_alu instid0(VALU_DEP_1)
	v_cvt_f32_f16_e32 v46, v1
.LBB313_166:                            ;   in Loop: Header=BB313_13 Depth=1
	s_or_b32 exec_lo, exec_lo, s50
.LBB313_167:                            ;   in Loop: Header=BB313_13 Depth=1
	s_delay_alu instid0(SALU_CYCLE_1)
	s_or_b32 exec_lo, exec_lo, s49
.LBB313_168:                            ;   in Loop: Header=BB313_13 Depth=1
	s_delay_alu instid0(SALU_CYCLE_1) | instskip(NEXT) | instid1(SALU_CYCLE_1)
	s_or_b32 exec_lo, exec_lo, s48
	s_mov_b32 s48, exec_lo
	v_cmpx_lt_u32_e32 0xffffff, v47
	s_cbranch_execz .LBB313_176
; %bb.169:                              ;   in Loop: Header=BB313_13 Depth=1
	v_lshrrev_b32_e32 v47, 24, v47
	v_bfrev_b32_e32 v45, 1
	s_mov_b32 s49, exec_lo
	s_delay_alu instid0(VALU_DEP_2)
	v_cmpx_ne_u32_e32 0x80, v47
	s_cbranch_execz .LBB313_175
; %bb.170:                              ;   in Loop: Header=BB313_13 Depth=1
	v_and_b32_e32 v48, 0x7f, v47
	v_mov_b32_e32 v45, 0x7fc02000
	s_mov_b32 s50, exec_lo
	s_delay_alu instid0(VALU_DEP_2)
	v_cmpx_ne_u32_e32 0x7f, v48
	s_cbranch_execz .LBB313_174
; %bb.171:                              ;   in Loop: Header=BB313_13 Depth=1
	v_and_b32_e32 v1, 7, v47
	v_lshrrev_b32_e32 v45, 3, v48
	s_mov_b32 s51, exec_lo
	v_cmpx_gt_u32_e32 8, v48
; %bb.172:                              ;   in Loop: Header=BB313_13 Depth=1
	s_delay_alu instid0(VALU_DEP_3) | instskip(NEXT) | instid1(VALU_DEP_1)
	v_clz_i32_u32_e32 v45, v1
	v_min_u32_e32 v45, 32, v45
	s_delay_alu instid0(VALU_DEP_1) | instskip(SKIP_1) | instid1(VALU_DEP_2)
	v_subrev_nc_u32_e32 v48, 28, v45
	v_sub_nc_u32_e32 v45, 29, v45
	v_lshlrev_b64 v[48:49], v48, v[1:2]
	s_delay_alu instid0(VALU_DEP_1)
	v_and_b32_e32 v1, 7, v48
; %bb.173:                              ;   in Loop: Header=BB313_13 Depth=1
	s_or_b32 exec_lo, exec_lo, s51
	v_lshlrev_b32_e32 v47, 8, v47
	v_lshl_add_u32 v45, v45, 10, 0x2000
	s_delay_alu instid0(VALU_DEP_1) | instskip(NEXT) | instid1(VALU_DEP_1)
	v_and_or_b32 v45, 0x8000, v47, v45
	v_lshl_or_b32 v1, v1, 7, v45
	s_delay_alu instid0(VALU_DEP_1)
	v_cvt_f32_f16_e32 v45, v1
.LBB313_174:                            ;   in Loop: Header=BB313_13 Depth=1
	s_or_b32 exec_lo, exec_lo, s50
.LBB313_175:                            ;   in Loop: Header=BB313_13 Depth=1
	s_delay_alu instid0(SALU_CYCLE_1)
	s_or_b32 exec_lo, exec_lo, s49
.LBB313_176:                            ;   in Loop: Header=BB313_13 Depth=1
	s_delay_alu instid0(SALU_CYCLE_1)
	s_or_b32 exec_lo, exec_lo, s48
	global_load_b32 v51, v[10:11], off offset:520
	v_mov_b32_e32 v47, 0
	s_mov_b32 s48, exec_lo
	s_waitcnt vmcnt(0)
	v_dual_mov_b32 v48, 0 :: v_dual_and_b32 v1, 0xff, v51
	s_delay_alu instid0(VALU_DEP_1)
	v_cmpx_ne_u16_e32 0, v1
	s_cbranch_execz .LBB313_184
; %bb.177:                              ;   in Loop: Header=BB313_13 Depth=1
	v_bfrev_b32_e32 v48, 1
	s_mov_b32 s49, exec_lo
	v_cmpx_ne_u16_e32 0x80, v1
	s_cbranch_execz .LBB313_183
; %bb.178:                              ;   in Loop: Header=BB313_13 Depth=1
	v_and_b32_e32 v49, 0x7f, v51
	v_mov_b32_e32 v48, 0x7fc02000
	s_mov_b32 s50, exec_lo
	s_delay_alu instid0(VALU_DEP_2)
	v_cmpx_ne_u32_e32 0x7f, v49
	s_cbranch_execz .LBB313_182
; %bb.179:                              ;   in Loop: Header=BB313_13 Depth=1
	v_and_b32_e32 v1, 7, v51
	v_lshrrev_b32_e32 v48, 3, v49
	s_mov_b32 s51, exec_lo
	v_cmpx_gt_u32_e32 8, v49
; %bb.180:                              ;   in Loop: Header=BB313_13 Depth=1
	s_delay_alu instid0(VALU_DEP_3) | instskip(NEXT) | instid1(VALU_DEP_1)
	v_clz_i32_u32_e32 v48, v1
	v_min_u32_e32 v48, 32, v48
	s_delay_alu instid0(VALU_DEP_1) | instskip(SKIP_1) | instid1(VALU_DEP_2)
	v_subrev_nc_u32_e32 v49, 28, v48
	v_sub_nc_u32_e32 v48, 29, v48
	v_lshlrev_b64 v[49:50], v49, v[1:2]
	s_delay_alu instid0(VALU_DEP_1)
	v_and_b32_e32 v1, 7, v49
; %bb.181:                              ;   in Loop: Header=BB313_13 Depth=1
	s_or_b32 exec_lo, exec_lo, s51
	v_lshlrev_b32_e32 v49, 8, v51
	v_lshl_add_u32 v48, v48, 10, 0x2000
	s_delay_alu instid0(VALU_DEP_1) | instskip(NEXT) | instid1(VALU_DEP_1)
	v_and_or_b32 v48, 0x8000, v49, v48
	v_lshl_or_b32 v1, v1, 7, v48
	s_delay_alu instid0(VALU_DEP_1)
	v_cvt_f32_f16_e32 v48, v1
.LBB313_182:                            ;   in Loop: Header=BB313_13 Depth=1
	s_or_b32 exec_lo, exec_lo, s50
.LBB313_183:                            ;   in Loop: Header=BB313_13 Depth=1
	s_delay_alu instid0(SALU_CYCLE_1)
	s_or_b32 exec_lo, exec_lo, s49
.LBB313_184:                            ;   in Loop: Header=BB313_13 Depth=1
	s_delay_alu instid0(SALU_CYCLE_1) | instskip(SKIP_2) | instid1(VALU_DEP_1)
	s_or_b32 exec_lo, exec_lo, s48
	v_lshrrev_b16 v1, 8, v51
	s_mov_b32 s48, exec_lo
	v_cmpx_ne_u16_e32 0, v1
	s_cbranch_execz .LBB313_192
; %bb.185:                              ;   in Loop: Header=BB313_13 Depth=1
	v_bfrev_b32_e32 v47, 1
	s_mov_b32 s49, exec_lo
	v_cmpx_ne_u16_e32 0x80, v1
	s_cbranch_execz .LBB313_191
; %bb.186:                              ;   in Loop: Header=BB313_13 Depth=1
	v_and_b32_e32 v49, 0xffff, v1
	v_mov_b32_e32 v47, 0x7fc02000
	s_mov_b32 s50, exec_lo
	s_delay_alu instid0(VALU_DEP_2) | instskip(NEXT) | instid1(VALU_DEP_1)
	v_and_b32_e32 v50, 0x7f, v49
	v_cmpx_ne_u32_e32 0x7f, v50
	s_cbranch_execz .LBB313_190
; %bb.187:                              ;   in Loop: Header=BB313_13 Depth=1
	v_and_b32_e32 v1, 7, v49
	v_lshrrev_b32_e32 v47, 3, v50
	s_mov_b32 s51, exec_lo
	v_cmpx_gt_u32_e32 8, v50
; %bb.188:                              ;   in Loop: Header=BB313_13 Depth=1
	s_delay_alu instid0(VALU_DEP_3) | instskip(NEXT) | instid1(VALU_DEP_1)
	v_clz_i32_u32_e32 v47, v1
	v_min_u32_e32 v47, 32, v47
	s_delay_alu instid0(VALU_DEP_1) | instskip(SKIP_1) | instid1(VALU_DEP_2)
	v_subrev_nc_u32_e32 v50, 28, v47
	v_sub_nc_u32_e32 v47, 29, v47
	v_lshlrev_b64 v[52:53], v50, v[1:2]
	s_delay_alu instid0(VALU_DEP_1)
	v_and_b32_e32 v1, 7, v52
; %bb.189:                              ;   in Loop: Header=BB313_13 Depth=1
	s_or_b32 exec_lo, exec_lo, s51
	v_lshlrev_b32_e32 v49, 8, v49
	v_lshl_add_u32 v47, v47, 10, 0x2000
	s_delay_alu instid0(VALU_DEP_1) | instskip(NEXT) | instid1(VALU_DEP_1)
	v_and_or_b32 v47, 0x8000, v49, v47
	v_lshl_or_b32 v1, v1, 7, v47
	s_delay_alu instid0(VALU_DEP_1)
	v_cvt_f32_f16_e32 v47, v1
.LBB313_190:                            ;   in Loop: Header=BB313_13 Depth=1
	s_or_b32 exec_lo, exec_lo, s50
.LBB313_191:                            ;   in Loop: Header=BB313_13 Depth=1
	s_delay_alu instid0(SALU_CYCLE_1)
	s_or_b32 exec_lo, exec_lo, s49
.LBB313_192:                            ;   in Loop: Header=BB313_13 Depth=1
	s_delay_alu instid0(SALU_CYCLE_1) | instskip(SKIP_3) | instid1(VALU_DEP_2)
	s_or_b32 exec_lo, exec_lo, s48
	v_lshrrev_b32_e32 v52, 16, v51
	v_mov_b32_e32 v49, 0
	s_mov_b32 s48, exec_lo
	v_dual_mov_b32 v50, 0 :: v_dual_and_b32 v1, 0xff, v52
	s_delay_alu instid0(VALU_DEP_1)
	v_cmpx_ne_u16_e32 0, v1
	s_cbranch_execz .LBB313_200
; %bb.193:                              ;   in Loop: Header=BB313_13 Depth=1
	v_bfrev_b32_e32 v50, 1
	s_mov_b32 s49, exec_lo
	v_cmpx_ne_u16_e32 0x80, v1
	s_cbranch_execz .LBB313_199
; %bb.194:                              ;   in Loop: Header=BB313_13 Depth=1
	v_bfe_u32 v53, v51, 16, 7
	v_mov_b32_e32 v50, 0x7fc02000
	s_mov_b32 s50, exec_lo
	s_delay_alu instid0(VALU_DEP_2)
	v_cmpx_ne_u32_e32 0x7f, v53
	s_cbranch_execz .LBB313_198
; %bb.195:                              ;   in Loop: Header=BB313_13 Depth=1
	v_and_b32_e32 v1, 7, v52
	v_lshrrev_b32_e32 v50, 3, v53
	s_mov_b32 s51, exec_lo
	v_cmpx_gt_u32_e32 8, v53
; %bb.196:                              ;   in Loop: Header=BB313_13 Depth=1
	s_delay_alu instid0(VALU_DEP_3) | instskip(NEXT) | instid1(VALU_DEP_1)
	v_clz_i32_u32_e32 v50, v1
	v_min_u32_e32 v50, 32, v50
	s_delay_alu instid0(VALU_DEP_1) | instskip(SKIP_1) | instid1(VALU_DEP_2)
	v_subrev_nc_u32_e32 v53, 28, v50
	v_sub_nc_u32_e32 v50, 29, v50
	v_lshlrev_b64 v[53:54], v53, v[1:2]
	s_delay_alu instid0(VALU_DEP_1)
	v_and_b32_e32 v1, 7, v53
; %bb.197:                              ;   in Loop: Header=BB313_13 Depth=1
	s_or_b32 exec_lo, exec_lo, s51
	v_lshlrev_b32_e32 v52, 8, v52
	v_lshl_add_u32 v50, v50, 10, 0x2000
	s_delay_alu instid0(VALU_DEP_1) | instskip(NEXT) | instid1(VALU_DEP_1)
	v_and_or_b32 v50, 0x8000, v52, v50
	v_lshl_or_b32 v1, v1, 7, v50
	s_delay_alu instid0(VALU_DEP_1)
	v_cvt_f32_f16_e32 v50, v1
.LBB313_198:                            ;   in Loop: Header=BB313_13 Depth=1
	s_or_b32 exec_lo, exec_lo, s50
.LBB313_199:                            ;   in Loop: Header=BB313_13 Depth=1
	s_delay_alu instid0(SALU_CYCLE_1)
	s_or_b32 exec_lo, exec_lo, s49
.LBB313_200:                            ;   in Loop: Header=BB313_13 Depth=1
	s_delay_alu instid0(SALU_CYCLE_1) | instskip(NEXT) | instid1(SALU_CYCLE_1)
	s_or_b32 exec_lo, exec_lo, s48
	s_mov_b32 s48, exec_lo
	v_cmpx_lt_u32_e32 0xffffff, v51
	s_cbranch_execz .LBB313_208
; %bb.201:                              ;   in Loop: Header=BB313_13 Depth=1
	v_lshrrev_b32_e32 v51, 24, v51
	v_bfrev_b32_e32 v49, 1
	s_mov_b32 s49, exec_lo
	s_delay_alu instid0(VALU_DEP_2)
	v_cmpx_ne_u32_e32 0x80, v51
	s_cbranch_execz .LBB313_207
; %bb.202:                              ;   in Loop: Header=BB313_13 Depth=1
	v_and_b32_e32 v52, 0x7f, v51
	v_mov_b32_e32 v49, 0x7fc02000
	s_mov_b32 s50, exec_lo
	s_delay_alu instid0(VALU_DEP_2)
	v_cmpx_ne_u32_e32 0x7f, v52
	s_cbranch_execz .LBB313_206
; %bb.203:                              ;   in Loop: Header=BB313_13 Depth=1
	v_and_b32_e32 v1, 7, v51
	v_lshrrev_b32_e32 v49, 3, v52
	s_mov_b32 s51, exec_lo
	v_cmpx_gt_u32_e32 8, v52
; %bb.204:                              ;   in Loop: Header=BB313_13 Depth=1
	s_delay_alu instid0(VALU_DEP_3) | instskip(NEXT) | instid1(VALU_DEP_1)
	v_clz_i32_u32_e32 v49, v1
	v_min_u32_e32 v49, 32, v49
	s_delay_alu instid0(VALU_DEP_1) | instskip(SKIP_1) | instid1(VALU_DEP_2)
	v_subrev_nc_u32_e32 v52, 28, v49
	v_sub_nc_u32_e32 v49, 29, v49
	v_lshlrev_b64 v[52:53], v52, v[1:2]
	s_delay_alu instid0(VALU_DEP_1)
	v_and_b32_e32 v1, 7, v52
; %bb.205:                              ;   in Loop: Header=BB313_13 Depth=1
	s_or_b32 exec_lo, exec_lo, s51
	v_lshlrev_b32_e32 v51, 8, v51
	v_lshl_add_u32 v49, v49, 10, 0x2000
	s_delay_alu instid0(VALU_DEP_1) | instskip(NEXT) | instid1(VALU_DEP_1)
	v_and_or_b32 v49, 0x8000, v51, v49
	v_lshl_or_b32 v1, v1, 7, v49
	s_delay_alu instid0(VALU_DEP_1)
	v_cvt_f32_f16_e32 v49, v1
.LBB313_206:                            ;   in Loop: Header=BB313_13 Depth=1
	s_or_b32 exec_lo, exec_lo, s50
.LBB313_207:                            ;   in Loop: Header=BB313_13 Depth=1
	s_delay_alu instid0(SALU_CYCLE_1)
	s_or_b32 exec_lo, exec_lo, s49
.LBB313_208:                            ;   in Loop: Header=BB313_13 Depth=1
	s_delay_alu instid0(SALU_CYCLE_1)
	s_or_b32 exec_lo, exec_lo, s48
	global_load_b32 v55, v[10:11], off offset:768
	v_mov_b32_e32 v51, 0
	s_mov_b32 s48, exec_lo
	s_waitcnt vmcnt(0)
	v_dual_mov_b32 v52, 0 :: v_dual_and_b32 v1, 0xff, v55
	s_delay_alu instid0(VALU_DEP_1)
	v_cmpx_ne_u16_e32 0, v1
	s_cbranch_execz .LBB313_216
; %bb.209:                              ;   in Loop: Header=BB313_13 Depth=1
	v_bfrev_b32_e32 v52, 1
	s_mov_b32 s49, exec_lo
	v_cmpx_ne_u16_e32 0x80, v1
	s_cbranch_execz .LBB313_215
; %bb.210:                              ;   in Loop: Header=BB313_13 Depth=1
	v_and_b32_e32 v53, 0x7f, v55
	v_mov_b32_e32 v52, 0x7fc02000
	s_mov_b32 s50, exec_lo
	s_delay_alu instid0(VALU_DEP_2)
	v_cmpx_ne_u32_e32 0x7f, v53
	s_cbranch_execz .LBB313_214
; %bb.211:                              ;   in Loop: Header=BB313_13 Depth=1
	v_and_b32_e32 v1, 7, v55
	v_lshrrev_b32_e32 v52, 3, v53
	s_mov_b32 s51, exec_lo
	v_cmpx_gt_u32_e32 8, v53
; %bb.212:                              ;   in Loop: Header=BB313_13 Depth=1
	s_delay_alu instid0(VALU_DEP_3) | instskip(NEXT) | instid1(VALU_DEP_1)
	v_clz_i32_u32_e32 v52, v1
	v_min_u32_e32 v52, 32, v52
	s_delay_alu instid0(VALU_DEP_1) | instskip(SKIP_1) | instid1(VALU_DEP_2)
	v_subrev_nc_u32_e32 v53, 28, v52
	v_sub_nc_u32_e32 v52, 29, v52
	v_lshlrev_b64 v[53:54], v53, v[1:2]
	s_delay_alu instid0(VALU_DEP_1)
	v_and_b32_e32 v1, 7, v53
; %bb.213:                              ;   in Loop: Header=BB313_13 Depth=1
	s_or_b32 exec_lo, exec_lo, s51
	v_lshlrev_b32_e32 v53, 8, v55
	v_lshl_add_u32 v52, v52, 10, 0x2000
	s_delay_alu instid0(VALU_DEP_1) | instskip(NEXT) | instid1(VALU_DEP_1)
	v_and_or_b32 v52, 0x8000, v53, v52
	v_lshl_or_b32 v1, v1, 7, v52
	s_delay_alu instid0(VALU_DEP_1)
	v_cvt_f32_f16_e32 v52, v1
.LBB313_214:                            ;   in Loop: Header=BB313_13 Depth=1
	s_or_b32 exec_lo, exec_lo, s50
.LBB313_215:                            ;   in Loop: Header=BB313_13 Depth=1
	s_delay_alu instid0(SALU_CYCLE_1)
	s_or_b32 exec_lo, exec_lo, s49
.LBB313_216:                            ;   in Loop: Header=BB313_13 Depth=1
	s_delay_alu instid0(SALU_CYCLE_1) | instskip(SKIP_2) | instid1(VALU_DEP_1)
	s_or_b32 exec_lo, exec_lo, s48
	v_lshrrev_b16 v1, 8, v55
	s_mov_b32 s48, exec_lo
	v_cmpx_ne_u16_e32 0, v1
	s_cbranch_execz .LBB313_224
; %bb.217:                              ;   in Loop: Header=BB313_13 Depth=1
	v_bfrev_b32_e32 v51, 1
	s_mov_b32 s49, exec_lo
	v_cmpx_ne_u16_e32 0x80, v1
	s_cbranch_execz .LBB313_223
; %bb.218:                              ;   in Loop: Header=BB313_13 Depth=1
	v_and_b32_e32 v53, 0xffff, v1
	v_mov_b32_e32 v51, 0x7fc02000
	s_mov_b32 s50, exec_lo
	s_delay_alu instid0(VALU_DEP_2) | instskip(NEXT) | instid1(VALU_DEP_1)
	v_and_b32_e32 v54, 0x7f, v53
	v_cmpx_ne_u32_e32 0x7f, v54
	s_cbranch_execz .LBB313_222
; %bb.219:                              ;   in Loop: Header=BB313_13 Depth=1
	v_and_b32_e32 v1, 7, v53
	v_lshrrev_b32_e32 v51, 3, v54
	s_mov_b32 s51, exec_lo
	v_cmpx_gt_u32_e32 8, v54
; %bb.220:                              ;   in Loop: Header=BB313_13 Depth=1
	s_delay_alu instid0(VALU_DEP_3) | instskip(NEXT) | instid1(VALU_DEP_1)
	v_clz_i32_u32_e32 v51, v1
	v_min_u32_e32 v51, 32, v51
	s_delay_alu instid0(VALU_DEP_1) | instskip(SKIP_1) | instid1(VALU_DEP_2)
	v_subrev_nc_u32_e32 v54, 28, v51
	v_sub_nc_u32_e32 v51, 29, v51
	v_lshlrev_b64 v[56:57], v54, v[1:2]
	s_delay_alu instid0(VALU_DEP_1)
	v_and_b32_e32 v1, 7, v56
; %bb.221:                              ;   in Loop: Header=BB313_13 Depth=1
	s_or_b32 exec_lo, exec_lo, s51
	v_lshlrev_b32_e32 v53, 8, v53
	v_lshl_add_u32 v51, v51, 10, 0x2000
	s_delay_alu instid0(VALU_DEP_1) | instskip(NEXT) | instid1(VALU_DEP_1)
	v_and_or_b32 v51, 0x8000, v53, v51
	v_lshl_or_b32 v1, v1, 7, v51
	s_delay_alu instid0(VALU_DEP_1)
	v_cvt_f32_f16_e32 v51, v1
.LBB313_222:                            ;   in Loop: Header=BB313_13 Depth=1
	s_or_b32 exec_lo, exec_lo, s50
.LBB313_223:                            ;   in Loop: Header=BB313_13 Depth=1
	s_delay_alu instid0(SALU_CYCLE_1)
	s_or_b32 exec_lo, exec_lo, s49
.LBB313_224:                            ;   in Loop: Header=BB313_13 Depth=1
	s_delay_alu instid0(SALU_CYCLE_1) | instskip(SKIP_3) | instid1(VALU_DEP_2)
	s_or_b32 exec_lo, exec_lo, s48
	v_lshrrev_b32_e32 v56, 16, v55
	v_mov_b32_e32 v53, 0
	s_mov_b32 s48, exec_lo
	v_dual_mov_b32 v54, 0 :: v_dual_and_b32 v1, 0xff, v56
	s_delay_alu instid0(VALU_DEP_1)
	v_cmpx_ne_u16_e32 0, v1
	s_cbranch_execz .LBB313_232
; %bb.225:                              ;   in Loop: Header=BB313_13 Depth=1
	v_bfrev_b32_e32 v54, 1
	s_mov_b32 s49, exec_lo
	v_cmpx_ne_u16_e32 0x80, v1
	s_cbranch_execz .LBB313_231
; %bb.226:                              ;   in Loop: Header=BB313_13 Depth=1
	v_bfe_u32 v57, v55, 16, 7
	v_mov_b32_e32 v54, 0x7fc02000
	s_mov_b32 s50, exec_lo
	s_delay_alu instid0(VALU_DEP_2)
	v_cmpx_ne_u32_e32 0x7f, v57
	s_cbranch_execz .LBB313_230
; %bb.227:                              ;   in Loop: Header=BB313_13 Depth=1
	v_and_b32_e32 v1, 7, v56
	v_lshrrev_b32_e32 v54, 3, v57
	s_mov_b32 s51, exec_lo
	v_cmpx_gt_u32_e32 8, v57
; %bb.228:                              ;   in Loop: Header=BB313_13 Depth=1
	s_delay_alu instid0(VALU_DEP_3) | instskip(NEXT) | instid1(VALU_DEP_1)
	v_clz_i32_u32_e32 v54, v1
	v_min_u32_e32 v54, 32, v54
	s_delay_alu instid0(VALU_DEP_1) | instskip(SKIP_1) | instid1(VALU_DEP_2)
	v_subrev_nc_u32_e32 v57, 28, v54
	v_sub_nc_u32_e32 v54, 29, v54
	v_lshlrev_b64 v[57:58], v57, v[1:2]
	s_delay_alu instid0(VALU_DEP_1)
	v_and_b32_e32 v1, 7, v57
; %bb.229:                              ;   in Loop: Header=BB313_13 Depth=1
	s_or_b32 exec_lo, exec_lo, s51
	v_lshlrev_b32_e32 v56, 8, v56
	v_lshl_add_u32 v54, v54, 10, 0x2000
	s_delay_alu instid0(VALU_DEP_1) | instskip(NEXT) | instid1(VALU_DEP_1)
	v_and_or_b32 v54, 0x8000, v56, v54
	v_lshl_or_b32 v1, v1, 7, v54
	s_delay_alu instid0(VALU_DEP_1)
	v_cvt_f32_f16_e32 v54, v1
.LBB313_230:                            ;   in Loop: Header=BB313_13 Depth=1
	s_or_b32 exec_lo, exec_lo, s50
.LBB313_231:                            ;   in Loop: Header=BB313_13 Depth=1
	s_delay_alu instid0(SALU_CYCLE_1)
	s_or_b32 exec_lo, exec_lo, s49
.LBB313_232:                            ;   in Loop: Header=BB313_13 Depth=1
	s_delay_alu instid0(SALU_CYCLE_1) | instskip(NEXT) | instid1(SALU_CYCLE_1)
	s_or_b32 exec_lo, exec_lo, s48
	s_mov_b32 s48, exec_lo
	v_cmpx_lt_u32_e32 0xffffff, v55
	s_cbranch_execz .LBB313_240
; %bb.233:                              ;   in Loop: Header=BB313_13 Depth=1
	v_lshrrev_b32_e32 v55, 24, v55
	v_bfrev_b32_e32 v53, 1
	s_mov_b32 s49, exec_lo
	s_delay_alu instid0(VALU_DEP_2)
	v_cmpx_ne_u32_e32 0x80, v55
	s_cbranch_execz .LBB313_239
; %bb.234:                              ;   in Loop: Header=BB313_13 Depth=1
	v_and_b32_e32 v56, 0x7f, v55
	v_mov_b32_e32 v53, 0x7fc02000
	s_mov_b32 s50, exec_lo
	s_delay_alu instid0(VALU_DEP_2)
	v_cmpx_ne_u32_e32 0x7f, v56
	s_cbranch_execz .LBB313_238
; %bb.235:                              ;   in Loop: Header=BB313_13 Depth=1
	v_and_b32_e32 v1, 7, v55
	v_lshrrev_b32_e32 v53, 3, v56
	s_mov_b32 s51, exec_lo
	v_cmpx_gt_u32_e32 8, v56
; %bb.236:                              ;   in Loop: Header=BB313_13 Depth=1
	s_delay_alu instid0(VALU_DEP_3) | instskip(NEXT) | instid1(VALU_DEP_1)
	v_clz_i32_u32_e32 v53, v1
	v_min_u32_e32 v53, 32, v53
	s_delay_alu instid0(VALU_DEP_1) | instskip(SKIP_1) | instid1(VALU_DEP_2)
	v_subrev_nc_u32_e32 v56, 28, v53
	v_sub_nc_u32_e32 v53, 29, v53
	v_lshlrev_b64 v[56:57], v56, v[1:2]
	s_delay_alu instid0(VALU_DEP_1)
	v_and_b32_e32 v1, 7, v56
; %bb.237:                              ;   in Loop: Header=BB313_13 Depth=1
	s_or_b32 exec_lo, exec_lo, s51
	v_lshlrev_b32_e32 v55, 8, v55
	v_lshl_add_u32 v53, v53, 10, 0x2000
	s_delay_alu instid0(VALU_DEP_1) | instskip(NEXT) | instid1(VALU_DEP_1)
	v_and_or_b32 v53, 0x8000, v55, v53
	v_lshl_or_b32 v1, v1, 7, v53
	s_delay_alu instid0(VALU_DEP_1)
	v_cvt_f32_f16_e32 v53, v1
.LBB313_238:                            ;   in Loop: Header=BB313_13 Depth=1
	s_or_b32 exec_lo, exec_lo, s50
.LBB313_239:                            ;   in Loop: Header=BB313_13 Depth=1
	s_delay_alu instid0(SALU_CYCLE_1)
	s_or_b32 exec_lo, exec_lo, s49
.LBB313_240:                            ;   in Loop: Header=BB313_13 Depth=1
	s_delay_alu instid0(SALU_CYCLE_1)
	s_or_b32 exec_lo, exec_lo, s48
	global_load_b32 v59, v[10:11], off offset:776
	v_mov_b32_e32 v55, 0
	s_mov_b32 s48, exec_lo
	s_waitcnt vmcnt(0)
	v_dual_mov_b32 v56, 0 :: v_dual_and_b32 v1, 0xff, v59
	s_delay_alu instid0(VALU_DEP_1)
	v_cmpx_ne_u16_e32 0, v1
	s_cbranch_execz .LBB313_248
; %bb.241:                              ;   in Loop: Header=BB313_13 Depth=1
	v_bfrev_b32_e32 v55, 1
	s_mov_b32 s49, exec_lo
	v_cmpx_ne_u16_e32 0x80, v1
	s_cbranch_execz .LBB313_247
; %bb.242:                              ;   in Loop: Header=BB313_13 Depth=1
	v_and_b32_e32 v57, 0x7f, v59
	v_mov_b32_e32 v55, 0x7fc02000
	s_mov_b32 s50, exec_lo
	s_delay_alu instid0(VALU_DEP_2)
	v_cmpx_ne_u32_e32 0x7f, v57
	s_cbranch_execz .LBB313_246
; %bb.243:                              ;   in Loop: Header=BB313_13 Depth=1
	v_and_b32_e32 v1, 7, v59
	v_lshrrev_b32_e32 v55, 3, v57
	s_mov_b32 s51, exec_lo
	v_cmpx_gt_u32_e32 8, v57
; %bb.244:                              ;   in Loop: Header=BB313_13 Depth=1
	s_delay_alu instid0(VALU_DEP_3) | instskip(NEXT) | instid1(VALU_DEP_1)
	v_clz_i32_u32_e32 v55, v1
	v_min_u32_e32 v55, 32, v55
	s_delay_alu instid0(VALU_DEP_1) | instskip(SKIP_1) | instid1(VALU_DEP_2)
	v_subrev_nc_u32_e32 v57, 28, v55
	v_sub_nc_u32_e32 v55, 29, v55
	v_lshlrev_b64 v[57:58], v57, v[1:2]
	s_delay_alu instid0(VALU_DEP_1)
	v_and_b32_e32 v1, 7, v57
; %bb.245:                              ;   in Loop: Header=BB313_13 Depth=1
	s_or_b32 exec_lo, exec_lo, s51
	v_lshlrev_b32_e32 v57, 8, v59
	v_lshl_add_u32 v55, v55, 10, 0x2000
	s_delay_alu instid0(VALU_DEP_1) | instskip(NEXT) | instid1(VALU_DEP_1)
	v_and_or_b32 v55, 0x8000, v57, v55
	v_lshl_or_b32 v1, v1, 7, v55
	s_delay_alu instid0(VALU_DEP_1)
	v_cvt_f32_f16_e32 v55, v1
.LBB313_246:                            ;   in Loop: Header=BB313_13 Depth=1
	s_or_b32 exec_lo, exec_lo, s50
.LBB313_247:                            ;   in Loop: Header=BB313_13 Depth=1
	s_delay_alu instid0(SALU_CYCLE_1)
	s_or_b32 exec_lo, exec_lo, s49
.LBB313_248:                            ;   in Loop: Header=BB313_13 Depth=1
	s_delay_alu instid0(SALU_CYCLE_1) | instskip(SKIP_2) | instid1(VALU_DEP_1)
	s_or_b32 exec_lo, exec_lo, s48
	v_lshrrev_b16 v1, 8, v59
	s_mov_b32 s48, exec_lo
	v_cmpx_ne_u16_e32 0, v1
	s_cbranch_execz .LBB313_256
; %bb.249:                              ;   in Loop: Header=BB313_13 Depth=1
	v_bfrev_b32_e32 v56, 1
	s_mov_b32 s49, exec_lo
	v_cmpx_ne_u16_e32 0x80, v1
	s_cbranch_execz .LBB313_255
; %bb.250:                              ;   in Loop: Header=BB313_13 Depth=1
	v_and_b32_e32 v57, 0xffff, v1
	v_mov_b32_e32 v56, 0x7fc02000
	s_mov_b32 s50, exec_lo
	s_delay_alu instid0(VALU_DEP_2) | instskip(NEXT) | instid1(VALU_DEP_1)
	v_and_b32_e32 v58, 0x7f, v57
	v_cmpx_ne_u32_e32 0x7f, v58
	s_cbranch_execz .LBB313_254
; %bb.251:                              ;   in Loop: Header=BB313_13 Depth=1
	v_and_b32_e32 v1, 7, v57
	v_lshrrev_b32_e32 v56, 3, v58
	s_mov_b32 s51, exec_lo
	v_cmpx_gt_u32_e32 8, v58
; %bb.252:                              ;   in Loop: Header=BB313_13 Depth=1
	s_delay_alu instid0(VALU_DEP_3) | instskip(NEXT) | instid1(VALU_DEP_1)
	v_clz_i32_u32_e32 v56, v1
	v_min_u32_e32 v56, 32, v56
	s_delay_alu instid0(VALU_DEP_1) | instskip(SKIP_1) | instid1(VALU_DEP_2)
	v_subrev_nc_u32_e32 v58, 28, v56
	v_sub_nc_u32_e32 v56, 29, v56
	v_lshlrev_b64 v[60:61], v58, v[1:2]
	s_delay_alu instid0(VALU_DEP_1)
	v_and_b32_e32 v1, 7, v60
; %bb.253:                              ;   in Loop: Header=BB313_13 Depth=1
	s_or_b32 exec_lo, exec_lo, s51
	v_lshlrev_b32_e32 v57, 8, v57
	v_lshl_add_u32 v56, v56, 10, 0x2000
	s_delay_alu instid0(VALU_DEP_1) | instskip(NEXT) | instid1(VALU_DEP_1)
	v_and_or_b32 v56, 0x8000, v57, v56
	v_lshl_or_b32 v1, v1, 7, v56
	s_delay_alu instid0(VALU_DEP_1)
	v_cvt_f32_f16_e32 v56, v1
.LBB313_254:                            ;   in Loop: Header=BB313_13 Depth=1
	s_or_b32 exec_lo, exec_lo, s50
.LBB313_255:                            ;   in Loop: Header=BB313_13 Depth=1
	s_delay_alu instid0(SALU_CYCLE_1)
	s_or_b32 exec_lo, exec_lo, s49
.LBB313_256:                            ;   in Loop: Header=BB313_13 Depth=1
	s_delay_alu instid0(SALU_CYCLE_1) | instskip(SKIP_3) | instid1(VALU_DEP_2)
	s_or_b32 exec_lo, exec_lo, s48
	v_lshrrev_b32_e32 v60, 16, v59
	v_mov_b32_e32 v57, 0
	s_mov_b32 s48, exec_lo
	v_dual_mov_b32 v58, 0 :: v_dual_and_b32 v1, 0xff, v60
	s_delay_alu instid0(VALU_DEP_1)
	v_cmpx_ne_u16_e32 0, v1
	s_cbranch_execz .LBB313_264
; %bb.257:                              ;   in Loop: Header=BB313_13 Depth=1
	v_bfrev_b32_e32 v58, 1
	s_mov_b32 s49, exec_lo
	v_cmpx_ne_u16_e32 0x80, v1
	s_cbranch_execz .LBB313_263
; %bb.258:                              ;   in Loop: Header=BB313_13 Depth=1
	v_bfe_u32 v61, v59, 16, 7
	v_mov_b32_e32 v58, 0x7fc02000
	s_mov_b32 s50, exec_lo
	s_delay_alu instid0(VALU_DEP_2)
	v_cmpx_ne_u32_e32 0x7f, v61
	s_cbranch_execz .LBB313_262
; %bb.259:                              ;   in Loop: Header=BB313_13 Depth=1
	v_and_b32_e32 v1, 7, v60
	v_lshrrev_b32_e32 v58, 3, v61
	s_mov_b32 s51, exec_lo
	v_cmpx_gt_u32_e32 8, v61
; %bb.260:                              ;   in Loop: Header=BB313_13 Depth=1
	s_delay_alu instid0(VALU_DEP_3) | instskip(NEXT) | instid1(VALU_DEP_1)
	v_clz_i32_u32_e32 v58, v1
	v_min_u32_e32 v58, 32, v58
	s_delay_alu instid0(VALU_DEP_1) | instskip(SKIP_1) | instid1(VALU_DEP_2)
	v_subrev_nc_u32_e32 v61, 28, v58
	v_sub_nc_u32_e32 v58, 29, v58
	v_lshlrev_b64 v[61:62], v61, v[1:2]
	s_delay_alu instid0(VALU_DEP_1)
	v_and_b32_e32 v1, 7, v61
; %bb.261:                              ;   in Loop: Header=BB313_13 Depth=1
	s_or_b32 exec_lo, exec_lo, s51
	v_lshlrev_b32_e32 v60, 8, v60
	v_lshl_add_u32 v58, v58, 10, 0x2000
	s_delay_alu instid0(VALU_DEP_1) | instskip(NEXT) | instid1(VALU_DEP_1)
	v_and_or_b32 v58, 0x8000, v60, v58
	v_lshl_or_b32 v1, v1, 7, v58
	s_delay_alu instid0(VALU_DEP_1)
	v_cvt_f32_f16_e32 v58, v1
.LBB313_262:                            ;   in Loop: Header=BB313_13 Depth=1
	s_or_b32 exec_lo, exec_lo, s50
.LBB313_263:                            ;   in Loop: Header=BB313_13 Depth=1
	s_delay_alu instid0(SALU_CYCLE_1)
	s_or_b32 exec_lo, exec_lo, s49
.LBB313_264:                            ;   in Loop: Header=BB313_13 Depth=1
	s_delay_alu instid0(SALU_CYCLE_1) | instskip(NEXT) | instid1(SALU_CYCLE_1)
	s_or_b32 exec_lo, exec_lo, s48
	s_mov_b32 s48, exec_lo
	v_cmpx_lt_u32_e32 0xffffff, v59
	s_cbranch_execz .LBB313_272
; %bb.265:                              ;   in Loop: Header=BB313_13 Depth=1
	v_lshrrev_b32_e32 v59, 24, v59
	v_bfrev_b32_e32 v57, 1
	s_mov_b32 s49, exec_lo
	s_delay_alu instid0(VALU_DEP_2)
	v_cmpx_ne_u32_e32 0x80, v59
	s_cbranch_execz .LBB313_271
; %bb.266:                              ;   in Loop: Header=BB313_13 Depth=1
	v_and_b32_e32 v60, 0x7f, v59
	v_mov_b32_e32 v57, 0x7fc02000
	s_mov_b32 s50, exec_lo
	s_delay_alu instid0(VALU_DEP_2)
	v_cmpx_ne_u32_e32 0x7f, v60
	s_cbranch_execz .LBB313_270
; %bb.267:                              ;   in Loop: Header=BB313_13 Depth=1
	v_and_b32_e32 v1, 7, v59
	v_lshrrev_b32_e32 v57, 3, v60
	s_mov_b32 s51, exec_lo
	v_cmpx_gt_u32_e32 8, v60
; %bb.268:                              ;   in Loop: Header=BB313_13 Depth=1
	s_delay_alu instid0(VALU_DEP_3) | instskip(NEXT) | instid1(VALU_DEP_1)
	v_clz_i32_u32_e32 v57, v1
	v_min_u32_e32 v57, 32, v57
	s_delay_alu instid0(VALU_DEP_1) | instskip(SKIP_1) | instid1(VALU_DEP_2)
	v_subrev_nc_u32_e32 v60, 28, v57
	v_sub_nc_u32_e32 v57, 29, v57
	v_lshlrev_b64 v[60:61], v60, v[1:2]
	s_delay_alu instid0(VALU_DEP_1)
	v_and_b32_e32 v1, 7, v60
; %bb.269:                              ;   in Loop: Header=BB313_13 Depth=1
	s_or_b32 exec_lo, exec_lo, s51
	v_lshlrev_b32_e32 v59, 8, v59
	v_lshl_add_u32 v57, v57, 10, 0x2000
	s_delay_alu instid0(VALU_DEP_1) | instskip(NEXT) | instid1(VALU_DEP_1)
	v_and_or_b32 v57, 0x8000, v59, v57
	v_lshl_or_b32 v1, v1, 7, v57
	s_delay_alu instid0(VALU_DEP_1)
	v_cvt_f32_f16_e32 v57, v1
.LBB313_270:                            ;   in Loop: Header=BB313_13 Depth=1
	s_or_b32 exec_lo, exec_lo, s50
.LBB313_271:                            ;   in Loop: Header=BB313_13 Depth=1
	s_delay_alu instid0(SALU_CYCLE_1)
	s_or_b32 exec_lo, exec_lo, s49
.LBB313_272:                            ;   in Loop: Header=BB313_13 Depth=1
	s_delay_alu instid0(SALU_CYCLE_1)
	s_or_b32 exec_lo, exec_lo, s48
	global_load_b32 v63, v[10:11], off offset:1024
	v_mov_b32_e32 v59, 0
	s_mov_b32 s48, exec_lo
	s_waitcnt vmcnt(0)
	v_dual_mov_b32 v60, 0 :: v_dual_and_b32 v1, 0xff, v63
	s_delay_alu instid0(VALU_DEP_1)
	v_cmpx_ne_u16_e32 0, v1
	s_cbranch_execz .LBB313_280
; %bb.273:                              ;   in Loop: Header=BB313_13 Depth=1
	v_bfrev_b32_e32 v59, 1
	s_mov_b32 s49, exec_lo
	v_cmpx_ne_u16_e32 0x80, v1
	s_cbranch_execz .LBB313_279
; %bb.274:                              ;   in Loop: Header=BB313_13 Depth=1
	v_and_b32_e32 v61, 0x7f, v63
	v_mov_b32_e32 v59, 0x7fc02000
	s_mov_b32 s50, exec_lo
	s_delay_alu instid0(VALU_DEP_2)
	v_cmpx_ne_u32_e32 0x7f, v61
	s_cbranch_execz .LBB313_278
; %bb.275:                              ;   in Loop: Header=BB313_13 Depth=1
	v_and_b32_e32 v1, 7, v63
	v_lshrrev_b32_e32 v59, 3, v61
	s_mov_b32 s51, exec_lo
	v_cmpx_gt_u32_e32 8, v61
; %bb.276:                              ;   in Loop: Header=BB313_13 Depth=1
	s_delay_alu instid0(VALU_DEP_3) | instskip(NEXT) | instid1(VALU_DEP_1)
	v_clz_i32_u32_e32 v59, v1
	v_min_u32_e32 v59, 32, v59
	s_delay_alu instid0(VALU_DEP_1) | instskip(SKIP_1) | instid1(VALU_DEP_2)
	v_subrev_nc_u32_e32 v61, 28, v59
	v_sub_nc_u32_e32 v59, 29, v59
	v_lshlrev_b64 v[61:62], v61, v[1:2]
	s_delay_alu instid0(VALU_DEP_1)
	v_and_b32_e32 v1, 7, v61
; %bb.277:                              ;   in Loop: Header=BB313_13 Depth=1
	s_or_b32 exec_lo, exec_lo, s51
	v_lshlrev_b32_e32 v61, 8, v63
	v_lshl_add_u32 v59, v59, 10, 0x2000
	s_delay_alu instid0(VALU_DEP_1) | instskip(NEXT) | instid1(VALU_DEP_1)
	v_and_or_b32 v59, 0x8000, v61, v59
	v_lshl_or_b32 v1, v1, 7, v59
	s_delay_alu instid0(VALU_DEP_1)
	v_cvt_f32_f16_e32 v59, v1
.LBB313_278:                            ;   in Loop: Header=BB313_13 Depth=1
	s_or_b32 exec_lo, exec_lo, s50
.LBB313_279:                            ;   in Loop: Header=BB313_13 Depth=1
	s_delay_alu instid0(SALU_CYCLE_1)
	s_or_b32 exec_lo, exec_lo, s49
.LBB313_280:                            ;   in Loop: Header=BB313_13 Depth=1
	s_delay_alu instid0(SALU_CYCLE_1) | instskip(SKIP_2) | instid1(VALU_DEP_1)
	s_or_b32 exec_lo, exec_lo, s48
	v_lshrrev_b16 v1, 8, v63
	s_mov_b32 s48, exec_lo
	v_cmpx_ne_u16_e32 0, v1
	s_cbranch_execz .LBB313_288
; %bb.281:                              ;   in Loop: Header=BB313_13 Depth=1
	v_bfrev_b32_e32 v60, 1
	s_mov_b32 s49, exec_lo
	v_cmpx_ne_u16_e32 0x80, v1
	s_cbranch_execz .LBB313_287
; %bb.282:                              ;   in Loop: Header=BB313_13 Depth=1
	v_and_b32_e32 v61, 0xffff, v1
	v_mov_b32_e32 v60, 0x7fc02000
	s_mov_b32 s50, exec_lo
	s_delay_alu instid0(VALU_DEP_2) | instskip(NEXT) | instid1(VALU_DEP_1)
	v_and_b32_e32 v62, 0x7f, v61
	v_cmpx_ne_u32_e32 0x7f, v62
	s_cbranch_execz .LBB313_286
; %bb.283:                              ;   in Loop: Header=BB313_13 Depth=1
	v_and_b32_e32 v1, 7, v61
	v_lshrrev_b32_e32 v60, 3, v62
	s_mov_b32 s51, exec_lo
	v_cmpx_gt_u32_e32 8, v62
; %bb.284:                              ;   in Loop: Header=BB313_13 Depth=1
	s_delay_alu instid0(VALU_DEP_3) | instskip(NEXT) | instid1(VALU_DEP_1)
	v_clz_i32_u32_e32 v60, v1
	v_min_u32_e32 v60, 32, v60
	s_delay_alu instid0(VALU_DEP_1) | instskip(SKIP_1) | instid1(VALU_DEP_2)
	v_subrev_nc_u32_e32 v62, 28, v60
	v_sub_nc_u32_e32 v60, 29, v60
	v_lshlrev_b64 v[64:65], v62, v[1:2]
	s_delay_alu instid0(VALU_DEP_1)
	v_and_b32_e32 v1, 7, v64
; %bb.285:                              ;   in Loop: Header=BB313_13 Depth=1
	s_or_b32 exec_lo, exec_lo, s51
	v_lshlrev_b32_e32 v61, 8, v61
	v_lshl_add_u32 v60, v60, 10, 0x2000
	s_delay_alu instid0(VALU_DEP_1) | instskip(NEXT) | instid1(VALU_DEP_1)
	v_and_or_b32 v60, 0x8000, v61, v60
	v_lshl_or_b32 v1, v1, 7, v60
	s_delay_alu instid0(VALU_DEP_1)
	v_cvt_f32_f16_e32 v60, v1
.LBB313_286:                            ;   in Loop: Header=BB313_13 Depth=1
	s_or_b32 exec_lo, exec_lo, s50
.LBB313_287:                            ;   in Loop: Header=BB313_13 Depth=1
	s_delay_alu instid0(SALU_CYCLE_1)
	s_or_b32 exec_lo, exec_lo, s49
.LBB313_288:                            ;   in Loop: Header=BB313_13 Depth=1
	s_delay_alu instid0(SALU_CYCLE_1) | instskip(SKIP_3) | instid1(VALU_DEP_2)
	s_or_b32 exec_lo, exec_lo, s48
	v_lshrrev_b32_e32 v64, 16, v63
	v_mov_b32_e32 v61, 0
	s_mov_b32 s48, exec_lo
	v_dual_mov_b32 v62, 0 :: v_dual_and_b32 v1, 0xff, v64
	s_delay_alu instid0(VALU_DEP_1)
	v_cmpx_ne_u16_e32 0, v1
	s_cbranch_execz .LBB313_296
; %bb.289:                              ;   in Loop: Header=BB313_13 Depth=1
	v_bfrev_b32_e32 v62, 1
	s_mov_b32 s49, exec_lo
	v_cmpx_ne_u16_e32 0x80, v1
	s_cbranch_execz .LBB313_295
; %bb.290:                              ;   in Loop: Header=BB313_13 Depth=1
	v_bfe_u32 v65, v63, 16, 7
	v_mov_b32_e32 v62, 0x7fc02000
	s_mov_b32 s50, exec_lo
	s_delay_alu instid0(VALU_DEP_2)
	v_cmpx_ne_u32_e32 0x7f, v65
	s_cbranch_execz .LBB313_294
; %bb.291:                              ;   in Loop: Header=BB313_13 Depth=1
	v_and_b32_e32 v1, 7, v64
	v_lshrrev_b32_e32 v62, 3, v65
	s_mov_b32 s51, exec_lo
	v_cmpx_gt_u32_e32 8, v65
; %bb.292:                              ;   in Loop: Header=BB313_13 Depth=1
	s_delay_alu instid0(VALU_DEP_3) | instskip(NEXT) | instid1(VALU_DEP_1)
	v_clz_i32_u32_e32 v62, v1
	v_min_u32_e32 v62, 32, v62
	s_delay_alu instid0(VALU_DEP_1) | instskip(SKIP_1) | instid1(VALU_DEP_2)
	v_subrev_nc_u32_e32 v65, 28, v62
	v_sub_nc_u32_e32 v62, 29, v62
	v_lshlrev_b64 v[65:66], v65, v[1:2]
	s_delay_alu instid0(VALU_DEP_1)
	v_and_b32_e32 v1, 7, v65
; %bb.293:                              ;   in Loop: Header=BB313_13 Depth=1
	s_or_b32 exec_lo, exec_lo, s51
	v_lshlrev_b32_e32 v64, 8, v64
	v_lshl_add_u32 v62, v62, 10, 0x2000
	s_delay_alu instid0(VALU_DEP_1) | instskip(NEXT) | instid1(VALU_DEP_1)
	v_and_or_b32 v62, 0x8000, v64, v62
	v_lshl_or_b32 v1, v1, 7, v62
	s_delay_alu instid0(VALU_DEP_1)
	v_cvt_f32_f16_e32 v62, v1
.LBB313_294:                            ;   in Loop: Header=BB313_13 Depth=1
	s_or_b32 exec_lo, exec_lo, s50
.LBB313_295:                            ;   in Loop: Header=BB313_13 Depth=1
	s_delay_alu instid0(SALU_CYCLE_1)
	s_or_b32 exec_lo, exec_lo, s49
.LBB313_296:                            ;   in Loop: Header=BB313_13 Depth=1
	s_delay_alu instid0(SALU_CYCLE_1) | instskip(NEXT) | instid1(SALU_CYCLE_1)
	s_or_b32 exec_lo, exec_lo, s48
	s_mov_b32 s48, exec_lo
	v_cmpx_lt_u32_e32 0xffffff, v63
	s_cbranch_execz .LBB313_304
; %bb.297:                              ;   in Loop: Header=BB313_13 Depth=1
	v_lshrrev_b32_e32 v63, 24, v63
	v_bfrev_b32_e32 v61, 1
	s_mov_b32 s49, exec_lo
	s_delay_alu instid0(VALU_DEP_2)
	v_cmpx_ne_u32_e32 0x80, v63
	s_cbranch_execz .LBB313_303
; %bb.298:                              ;   in Loop: Header=BB313_13 Depth=1
	v_and_b32_e32 v64, 0x7f, v63
	v_mov_b32_e32 v61, 0x7fc02000
	s_mov_b32 s50, exec_lo
	s_delay_alu instid0(VALU_DEP_2)
	v_cmpx_ne_u32_e32 0x7f, v64
	s_cbranch_execz .LBB313_302
; %bb.299:                              ;   in Loop: Header=BB313_13 Depth=1
	v_and_b32_e32 v1, 7, v63
	v_lshrrev_b32_e32 v61, 3, v64
	s_mov_b32 s51, exec_lo
	v_cmpx_gt_u32_e32 8, v64
; %bb.300:                              ;   in Loop: Header=BB313_13 Depth=1
	s_delay_alu instid0(VALU_DEP_3) | instskip(NEXT) | instid1(VALU_DEP_1)
	v_clz_i32_u32_e32 v61, v1
	v_min_u32_e32 v61, 32, v61
	s_delay_alu instid0(VALU_DEP_1) | instskip(SKIP_1) | instid1(VALU_DEP_2)
	v_subrev_nc_u32_e32 v64, 28, v61
	v_sub_nc_u32_e32 v61, 29, v61
	v_lshlrev_b64 v[64:65], v64, v[1:2]
	s_delay_alu instid0(VALU_DEP_1)
	v_and_b32_e32 v1, 7, v64
; %bb.301:                              ;   in Loop: Header=BB313_13 Depth=1
	s_or_b32 exec_lo, exec_lo, s51
	v_lshlrev_b32_e32 v63, 8, v63
	v_lshl_add_u32 v61, v61, 10, 0x2000
	s_delay_alu instid0(VALU_DEP_1) | instskip(NEXT) | instid1(VALU_DEP_1)
	v_and_or_b32 v61, 0x8000, v63, v61
	v_lshl_or_b32 v1, v1, 7, v61
	s_delay_alu instid0(VALU_DEP_1)
	v_cvt_f32_f16_e32 v61, v1
.LBB313_302:                            ;   in Loop: Header=BB313_13 Depth=1
	s_or_b32 exec_lo, exec_lo, s50
.LBB313_303:                            ;   in Loop: Header=BB313_13 Depth=1
	s_delay_alu instid0(SALU_CYCLE_1)
	s_or_b32 exec_lo, exec_lo, s49
.LBB313_304:                            ;   in Loop: Header=BB313_13 Depth=1
	s_delay_alu instid0(SALU_CYCLE_1)
	s_or_b32 exec_lo, exec_lo, s48
	global_load_b32 v65, v[10:11], off offset:1032
	v_mov_b32_e32 v11, 0
	s_mov_b32 s48, exec_lo
	s_waitcnt vmcnt(0)
	v_dual_mov_b32 v10, 0 :: v_dual_and_b32 v1, 0xff, v65
	s_delay_alu instid0(VALU_DEP_1)
	v_cmpx_ne_u16_e32 0, v1
	s_cbranch_execz .LBB313_312
; %bb.305:                              ;   in Loop: Header=BB313_13 Depth=1
	v_bfrev_b32_e32 v10, 1
	s_mov_b32 s49, exec_lo
	v_cmpx_ne_u16_e32 0x80, v1
	s_cbranch_execz .LBB313_311
; %bb.306:                              ;   in Loop: Header=BB313_13 Depth=1
	v_and_b32_e32 v63, 0x7f, v65
	v_mov_b32_e32 v10, 0x7fc02000
	s_mov_b32 s50, exec_lo
	s_delay_alu instid0(VALU_DEP_2)
	v_cmpx_ne_u32_e32 0x7f, v63
	s_cbranch_execz .LBB313_310
; %bb.307:                              ;   in Loop: Header=BB313_13 Depth=1
	v_and_b32_e32 v1, 7, v65
	v_lshrrev_b32_e32 v10, 3, v63
	s_mov_b32 s51, exec_lo
	v_cmpx_gt_u32_e32 8, v63
; %bb.308:                              ;   in Loop: Header=BB313_13 Depth=1
	s_delay_alu instid0(VALU_DEP_3) | instskip(NEXT) | instid1(VALU_DEP_1)
	v_clz_i32_u32_e32 v10, v1
	v_min_u32_e32 v10, 32, v10
	s_delay_alu instid0(VALU_DEP_1) | instskip(SKIP_1) | instid1(VALU_DEP_2)
	v_subrev_nc_u32_e32 v63, 28, v10
	v_sub_nc_u32_e32 v10, 29, v10
	v_lshlrev_b64 v[63:64], v63, v[1:2]
	s_delay_alu instid0(VALU_DEP_1)
	v_and_b32_e32 v1, 7, v63
; %bb.309:                              ;   in Loop: Header=BB313_13 Depth=1
	s_or_b32 exec_lo, exec_lo, s51
	v_lshlrev_b32_e32 v63, 8, v65
	v_lshl_add_u32 v10, v10, 10, 0x2000
	s_delay_alu instid0(VALU_DEP_1) | instskip(NEXT) | instid1(VALU_DEP_1)
	v_and_or_b32 v10, 0x8000, v63, v10
	v_lshl_or_b32 v1, v1, 7, v10
	s_delay_alu instid0(VALU_DEP_1)
	v_cvt_f32_f16_e32 v10, v1
.LBB313_310:                            ;   in Loop: Header=BB313_13 Depth=1
	s_or_b32 exec_lo, exec_lo, s50
.LBB313_311:                            ;   in Loop: Header=BB313_13 Depth=1
	s_delay_alu instid0(SALU_CYCLE_1)
	s_or_b32 exec_lo, exec_lo, s49
.LBB313_312:                            ;   in Loop: Header=BB313_13 Depth=1
	s_delay_alu instid0(SALU_CYCLE_1) | instskip(SKIP_2) | instid1(VALU_DEP_1)
	s_or_b32 exec_lo, exec_lo, s48
	v_lshrrev_b16 v1, 8, v65
	s_mov_b32 s48, exec_lo
	v_cmpx_ne_u16_e32 0, v1
	s_cbranch_execz .LBB313_320
; %bb.313:                              ;   in Loop: Header=BB313_13 Depth=1
	v_bfrev_b32_e32 v11, 1
	s_mov_b32 s49, exec_lo
	v_cmpx_ne_u16_e32 0x80, v1
	s_cbranch_execz .LBB313_319
; %bb.314:                              ;   in Loop: Header=BB313_13 Depth=1
	v_and_b32_e32 v63, 0xffff, v1
	v_mov_b32_e32 v11, 0x7fc02000
	s_mov_b32 s50, exec_lo
	s_delay_alu instid0(VALU_DEP_2) | instskip(NEXT) | instid1(VALU_DEP_1)
	v_and_b32_e32 v64, 0x7f, v63
	v_cmpx_ne_u32_e32 0x7f, v64
	s_cbranch_execz .LBB313_318
; %bb.315:                              ;   in Loop: Header=BB313_13 Depth=1
	v_and_b32_e32 v1, 7, v63
	v_lshrrev_b32_e32 v11, 3, v64
	s_mov_b32 s51, exec_lo
	v_cmpx_gt_u32_e32 8, v64
; %bb.316:                              ;   in Loop: Header=BB313_13 Depth=1
	s_delay_alu instid0(VALU_DEP_3) | instskip(NEXT) | instid1(VALU_DEP_1)
	v_clz_i32_u32_e32 v11, v1
	v_min_u32_e32 v11, 32, v11
	s_delay_alu instid0(VALU_DEP_1) | instskip(SKIP_1) | instid1(VALU_DEP_2)
	v_subrev_nc_u32_e32 v64, 28, v11
	v_sub_nc_u32_e32 v11, 29, v11
	v_lshlrev_b64 v[66:67], v64, v[1:2]
	s_delay_alu instid0(VALU_DEP_1)
	v_and_b32_e32 v1, 7, v66
; %bb.317:                              ;   in Loop: Header=BB313_13 Depth=1
	s_or_b32 exec_lo, exec_lo, s51
	v_lshlrev_b32_e32 v63, 8, v63
	v_lshl_add_u32 v11, v11, 10, 0x2000
	s_delay_alu instid0(VALU_DEP_1) | instskip(NEXT) | instid1(VALU_DEP_1)
	v_and_or_b32 v11, 0x8000, v63, v11
	v_lshl_or_b32 v1, v1, 7, v11
	s_delay_alu instid0(VALU_DEP_1)
	v_cvt_f32_f16_e32 v11, v1
.LBB313_318:                            ;   in Loop: Header=BB313_13 Depth=1
	s_or_b32 exec_lo, exec_lo, s50
.LBB313_319:                            ;   in Loop: Header=BB313_13 Depth=1
	s_delay_alu instid0(SALU_CYCLE_1)
	s_or_b32 exec_lo, exec_lo, s49
.LBB313_320:                            ;   in Loop: Header=BB313_13 Depth=1
	s_delay_alu instid0(SALU_CYCLE_1) | instskip(SKIP_3) | instid1(VALU_DEP_2)
	s_or_b32 exec_lo, exec_lo, s48
	v_lshrrev_b32_e32 v66, 16, v65
	v_mov_b32_e32 v63, 0
	s_mov_b32 s48, exec_lo
	v_dual_mov_b32 v64, 0 :: v_dual_and_b32 v1, 0xff, v66
	s_delay_alu instid0(VALU_DEP_1)
	v_cmpx_ne_u16_e32 0, v1
	s_cbranch_execz .LBB313_328
; %bb.321:                              ;   in Loop: Header=BB313_13 Depth=1
	v_bfrev_b32_e32 v64, 1
	s_mov_b32 s49, exec_lo
	v_cmpx_ne_u16_e32 0x80, v1
	s_cbranch_execz .LBB313_327
; %bb.322:                              ;   in Loop: Header=BB313_13 Depth=1
	v_bfe_u32 v67, v65, 16, 7
	v_mov_b32_e32 v64, 0x7fc02000
	s_mov_b32 s50, exec_lo
	s_delay_alu instid0(VALU_DEP_2)
	v_cmpx_ne_u32_e32 0x7f, v67
	s_cbranch_execz .LBB313_326
; %bb.323:                              ;   in Loop: Header=BB313_13 Depth=1
	v_and_b32_e32 v1, 7, v66
	v_lshrrev_b32_e32 v64, 3, v67
	s_mov_b32 s51, exec_lo
	v_cmpx_gt_u32_e32 8, v67
; %bb.324:                              ;   in Loop: Header=BB313_13 Depth=1
	s_delay_alu instid0(VALU_DEP_3) | instskip(NEXT) | instid1(VALU_DEP_1)
	v_clz_i32_u32_e32 v64, v1
	v_min_u32_e32 v64, 32, v64
	s_delay_alu instid0(VALU_DEP_1) | instskip(SKIP_1) | instid1(VALU_DEP_2)
	v_subrev_nc_u32_e32 v67, 28, v64
	v_sub_nc_u32_e32 v64, 29, v64
	v_lshlrev_b64 v[67:68], v67, v[1:2]
	s_delay_alu instid0(VALU_DEP_1)
	v_and_b32_e32 v1, 7, v67
; %bb.325:                              ;   in Loop: Header=BB313_13 Depth=1
	s_or_b32 exec_lo, exec_lo, s51
	v_lshlrev_b32_e32 v66, 8, v66
	v_lshl_add_u32 v64, v64, 10, 0x2000
	s_delay_alu instid0(VALU_DEP_1) | instskip(NEXT) | instid1(VALU_DEP_1)
	v_and_or_b32 v64, 0x8000, v66, v64
	v_lshl_or_b32 v1, v1, 7, v64
	s_delay_alu instid0(VALU_DEP_1)
	v_cvt_f32_f16_e32 v64, v1
.LBB313_326:                            ;   in Loop: Header=BB313_13 Depth=1
	s_or_b32 exec_lo, exec_lo, s50
.LBB313_327:                            ;   in Loop: Header=BB313_13 Depth=1
	s_delay_alu instid0(SALU_CYCLE_1)
	s_or_b32 exec_lo, exec_lo, s49
.LBB313_328:                            ;   in Loop: Header=BB313_13 Depth=1
	s_delay_alu instid0(SALU_CYCLE_1) | instskip(NEXT) | instid1(SALU_CYCLE_1)
	s_or_b32 exec_lo, exec_lo, s48
	s_mov_b32 s48, exec_lo
	v_cmpx_lt_u32_e32 0xffffff, v65
	s_cbranch_execz .LBB313_336
; %bb.329:                              ;   in Loop: Header=BB313_13 Depth=1
	v_lshrrev_b32_e32 v65, 24, v65
	v_bfrev_b32_e32 v63, 1
	s_mov_b32 s49, exec_lo
	s_delay_alu instid0(VALU_DEP_2)
	v_cmpx_ne_u32_e32 0x80, v65
	s_cbranch_execz .LBB313_335
; %bb.330:                              ;   in Loop: Header=BB313_13 Depth=1
	v_and_b32_e32 v66, 0x7f, v65
	v_mov_b32_e32 v63, 0x7fc02000
	s_mov_b32 s50, exec_lo
	s_delay_alu instid0(VALU_DEP_2)
	v_cmpx_ne_u32_e32 0x7f, v66
	s_cbranch_execz .LBB313_334
; %bb.331:                              ;   in Loop: Header=BB313_13 Depth=1
	v_and_b32_e32 v1, 7, v65
	v_lshrrev_b32_e32 v63, 3, v66
	s_mov_b32 s51, exec_lo
	v_cmpx_gt_u32_e32 8, v66
; %bb.332:                              ;   in Loop: Header=BB313_13 Depth=1
	s_delay_alu instid0(VALU_DEP_3) | instskip(NEXT) | instid1(VALU_DEP_1)
	v_clz_i32_u32_e32 v63, v1
	v_min_u32_e32 v63, 32, v63
	s_delay_alu instid0(VALU_DEP_1) | instskip(SKIP_1) | instid1(VALU_DEP_2)
	v_subrev_nc_u32_e32 v66, 28, v63
	v_sub_nc_u32_e32 v63, 29, v63
	v_lshlrev_b64 v[66:67], v66, v[1:2]
	s_delay_alu instid0(VALU_DEP_1)
	v_and_b32_e32 v1, 7, v66
; %bb.333:                              ;   in Loop: Header=BB313_13 Depth=1
	s_or_b32 exec_lo, exec_lo, s51
	v_lshlrev_b32_e32 v65, 8, v65
	v_lshl_add_u32 v63, v63, 10, 0x2000
	s_delay_alu instid0(VALU_DEP_1) | instskip(NEXT) | instid1(VALU_DEP_1)
	v_and_or_b32 v63, 0x8000, v65, v63
	v_lshl_or_b32 v1, v1, 7, v63
	s_delay_alu instid0(VALU_DEP_1)
	v_cvt_f32_f16_e32 v63, v1
.LBB313_334:                            ;   in Loop: Header=BB313_13 Depth=1
	s_or_b32 exec_lo, exec_lo, s50
.LBB313_335:                            ;   in Loop: Header=BB313_13 Depth=1
	s_delay_alu instid0(SALU_CYCLE_1)
	s_or_b32 exec_lo, exec_lo, s49
.LBB313_336:                            ;   in Loop: Header=BB313_13 Depth=1
	s_delay_alu instid0(SALU_CYCLE_1)
	s_or_b32 exec_lo, exec_lo, s48
	ds_load_b64 v[65:66], v16
	v_fma_mixlo_f16 v1, v26, v28, 0
	v_fma_mixlo_f16 v27, v26, v27, 0
	;; [unrolled: 1-line block ×5, first 2 shown]
	v_and_b32_e32 v1, 0xffff, v1
	v_and_b32_e32 v27, 0xffff, v27
	;; [unrolled: 1-line block ×4, first 2 shown]
	v_fma_mixlo_f16 v31, v26, v31, 0
	v_fma_mixlo_f16 v34, v26, v34, 0
	;; [unrolled: 1-line block ×9, first 2 shown]
	v_and_b32_e32 v36, 0xffff, v36
	s_waitcnt lgkmcnt(0)
	v_and_b32_e32 v30, 0xffff, v65
	v_lshrrev_b32_e32 v65, 16, v65
	v_lshrrev_b32_e32 v67, 16, v66
	v_and_b32_e32 v66, 0xffff, v66
	;;#ASMSTART
	v_cvt_f32_f16 v30, v30;
	;;#ASMEND
	;;#ASMSTART
	v_cvt_f32_f16 v65, v65;
	;;#ASMEND
	;; [unrolled: 3-line block ×8, first 2 shown]
	ds_load_b64 v[27:28], v16 offset:8
	v_and_b32_e32 v32, 0xffff, v32
	v_and_b32_e32 v38, 0xffff, v38
	v_fma_mixlo_f16 v42, v26, v42, 0
	v_fma_mixlo_f16 v41, v26, v41, 0
	v_and_b32_e32 v40, 0xffff, v40
	v_fma_mixlo_f16 v44, v26, v44, 0
	v_fma_mixlo_f16 v43, v26, v43, 0
	;; [unrolled: 3-line block ×6, first 2 shown]
	s_waitcnt lgkmcnt(0)
	v_and_b32_e32 v70, 0xffff, v27
	v_lshrrev_b32_e32 v27, 16, v27
	;;#ASMSTART
	v_cvt_f32_f16 v70, v70;
	;;#ASMEND
	;;#ASMSTART
	v_cvt_f32_f16 v72, v27;
	;;#ASMEND
	;; [unrolled: 3-line block ×3, first 2 shown]
	v_dual_mul_f32 v32, v70, v32 :: v_dual_and_b32 v31, 0xffff, v31
	v_lshrrev_b32_e32 v71, 16, v28
	v_and_b32_e32 v28, 0xffff, v28
	v_and_b32_e32 v50, 0xffff, v50
	s_delay_alu instid0(VALU_DEP_4)
	v_fmac_f32_e32 v32, v30, v1
	;;#ASMSTART
	v_cvt_f32_f16 v31, v31;
	;;#ASMEND
	v_mul_f32_e32 v31, v72, v31
	;;#ASMSTART
	v_cvt_f32_f16 v73, v28;
	;;#ASMEND
	;;#ASMSTART
	v_cvt_f32_f16 v71, v71;
	;;#ASMEND
	v_fma_mixlo_f16 v54, v26, v54, 0
	v_fma_mixlo_f16 v53, v26, v53, 0
	v_dual_fmac_f32 v31, v65, v68 :: v_dual_and_b32 v34, 0xffff, v34
	;;#ASMSTART
	v_cvt_f32_f16 v34, v34;
	;;#ASMEND
	s_delay_alu instid0(VALU_DEP_1) | instskip(SKIP_3) | instid1(VALU_DEP_4)
	v_dual_mul_f32 v34, v73, v34 :: v_dual_and_b32 v35, 0xffff, v35
	v_and_b32_e32 v52, 0xffff, v52
	v_and_b32_e32 v54, 0xffff, v54
	v_fma_mixlo_f16 v60, v26, v60, 0
	v_fmac_f32_e32 v34, v66, v69
	v_and_b32_e32 v33, 0xffff, v33
	;;#ASMSTART
	v_cvt_f32_f16 v33, v33;
	;;#ASMEND
	ds_load_b64 v[27:28], v16 offset:16
	v_fma_mixlo_f16 v59, v26, v59, 0
	v_fma_mixlo_f16 v56, v26, v56, 0
	;; [unrolled: 1-line block ×7, first 2 shown]
	v_and_b32_e32 v10, 0xffff, v55
	v_and_b32_e32 v55, 0xffff, v58
	;; [unrolled: 1-line block ×3, first 2 shown]
	v_fma_mixlo_f16 v62, v26, v62, 0
	v_fma_mixlo_f16 v61, v26, v61, 0
	;; [unrolled: 1-line block ×4, first 2 shown]
	v_mul_f32_e32 v33, v71, v33
	v_and_b32_e32 v1, 0xffff, v62
	v_and_b32_e32 v30, 0xffff, v95
	s_delay_alu instid0(VALU_DEP_4)
	v_and_b32_e32 v26, 0xffff, v26
	s_waitcnt lgkmcnt(0)
	v_and_b32_e32 v74, 0xffff, v27
	v_lshrrev_b32_e32 v27, 16, v27
	v_lshrrev_b32_e32 v75, 16, v28
	v_and_b32_e32 v28, 0xffff, v28
	;;#ASMSTART
	v_cvt_f32_f16 v74, v74;
	;;#ASMEND
	;;#ASMSTART
	v_cvt_f32_f16 v76, v27;
	;;#ASMEND
	;; [unrolled: 3-line block ×3, first 2 shown]
	v_dual_fmac_f32 v32, v74, v36 :: v_dual_and_b32 v37, 0xffff, v37
	;;#ASMSTART
	v_cvt_f32_f16 v35, v35;
	;;#ASMEND
	;;#ASMSTART
	v_cvt_f32_f16 v77, v28;
	;;#ASMEND
	;; [unrolled: 3-line block ×5, first 2 shown]
	ds_load_b64 v[27:28], v16 offset:24
	v_dual_fmac_f32 v34, v77, v38 :: v_dual_and_b32 v39, 0xffff, v39
	v_fmac_f32_e32 v33, v67, v29
	v_fmac_f32_e32 v31, v76, v35
	s_waitcnt lgkmcnt(0)
	s_delay_alu instid0(VALU_DEP_2)
	v_dual_fmac_f32 v33, v75, v37 :: v_dual_and_b32 v78, 0xffff, v27
	v_lshrrev_b32_e32 v27, 16, v27
	v_lshrrev_b32_e32 v79, 16, v28
	v_and_b32_e32 v28, 0xffff, v28
	;;#ASMSTART
	v_cvt_f32_f16 v78, v78;
	;;#ASMEND
	;;#ASMSTART
	v_cvt_f32_f16 v80, v27;
	;;#ASMEND
	;; [unrolled: 3-line block ×3, first 2 shown]
	v_dual_fmac_f32 v32, v78, v40 :: v_dual_and_b32 v41, 0xffff, v41
	;;#ASMSTART
	v_cvt_f32_f16 v39, v39;
	;;#ASMEND
	;;#ASMSTART
	v_cvt_f32_f16 v81, v28;
	;;#ASMEND
	;; [unrolled: 3-line block ×5, first 2 shown]
	ds_load_b64 v[27:28], v16 offset:32
	v_dual_fmac_f32 v34, v81, v42 :: v_dual_and_b32 v43, 0xffff, v43
	v_fmac_f32_e32 v31, v80, v39
	v_fmac_f32_e32 v33, v79, v41
	v_and_b32_e32 v41, 0xffff, v94
	v_and_b32_e32 v42, 0xffff, v64
	s_waitcnt lgkmcnt(0)
	v_and_b32_e32 v82, 0xffff, v27
	v_lshrrev_b32_e32 v27, 16, v27
	v_lshrrev_b32_e32 v83, 16, v28
	v_and_b32_e32 v28, 0xffff, v28
	;;#ASMSTART
	v_cvt_f32_f16 v82, v82;
	;;#ASMEND
	;;#ASMSTART
	v_cvt_f32_f16 v84, v27;
	;;#ASMEND
	;; [unrolled: 3-line block ×3, first 2 shown]
	v_dual_fmac_f32 v32, v82, v44 :: v_dual_and_b32 v45, 0xffff, v45
	;;#ASMSTART
	v_cvt_f32_f16 v43, v43;
	;;#ASMEND
	;;#ASMSTART
	v_cvt_f32_f16 v85, v28;
	;;#ASMEND
	;; [unrolled: 3-line block ×5, first 2 shown]
	ds_load_b64 v[27:28], v16 offset:40
	v_dual_fmac_f32 v34, v85, v46 :: v_dual_and_b32 v47, 0xffff, v47
	v_fmac_f32_e32 v31, v84, v43
	s_waitcnt lgkmcnt(0)
	v_dual_fmac_f32 v33, v83, v45 :: v_dual_and_b32 v86, 0xffff, v27
	v_lshrrev_b32_e32 v27, 16, v27
	v_lshrrev_b32_e32 v87, 16, v28
	v_and_b32_e32 v28, 0xffff, v28
	;;#ASMSTART
	v_cvt_f32_f16 v86, v86;
	;;#ASMEND
	;;#ASMSTART
	v_cvt_f32_f16 v88, v27;
	;;#ASMEND
	;; [unrolled: 3-line block ×3, first 2 shown]
	v_dual_fmac_f32 v32, v86, v48 :: v_dual_and_b32 v49, 0xffff, v49
	;;#ASMSTART
	v_cvt_f32_f16 v47, v47;
	;;#ASMEND
	;;#ASMSTART
	v_cvt_f32_f16 v89, v28;
	;;#ASMEND
	;; [unrolled: 3-line block ×5, first 2 shown]
	ds_load_b64 v[27:28], v16 offset:48
	v_dual_fmac_f32 v34, v89, v50 :: v_dual_and_b32 v51, 0xffff, v51
	v_fmac_f32_e32 v31, v88, v47
	s_waitcnt lgkmcnt(0)
	v_dual_fmac_f32 v33, v87, v49 :: v_dual_and_b32 v90, 0xffff, v27
	v_lshrrev_b32_e32 v27, 16, v27
	v_lshrrev_b32_e32 v91, 16, v28
	v_and_b32_e32 v28, 0xffff, v28
	;;#ASMSTART
	v_cvt_f32_f16 v90, v90;
	;;#ASMEND
	;;#ASMSTART
	v_cvt_f32_f16 v92, v27;
	;;#ASMEND
	;;#ASMSTART
	v_cvt_f32_f16 v52, v52;
	;;#ASMEND
	v_dual_fmac_f32 v32, v90, v52 :: v_dual_and_b32 v53, 0xffff, v53
	;;#ASMSTART
	v_cvt_f32_f16 v51, v51;
	;;#ASMEND
	;;#ASMSTART
	v_cvt_f32_f16 v93, v28;
	;;#ASMEND
	;; [unrolled: 3-line block ×5, first 2 shown]
	ds_load_b64 v[27:28], v16 offset:56
	v_dual_fmac_f32 v34, v93, v54 :: v_dual_and_b32 v11, 0xffff, v56
	v_and_b32_e32 v56, 0xffff, v57
	v_and_b32_e32 v57, 0xffff, v59
	v_fmac_f32_e32 v31, v92, v51
	v_fmac_f32_e32 v33, v91, v53
	s_waitcnt lgkmcnt(0)
	v_and_b32_e32 v59, 0xffff, v27
	v_lshrrev_b32_e32 v27, 16, v27
	v_lshrrev_b32_e32 v60, 16, v28
	v_and_b32_e32 v28, 0xffff, v28
	;;#ASMSTART
	v_cvt_f32_f16 v59, v59;
	;;#ASMEND
	;;#ASMSTART
	v_cvt_f32_f16 v27, v27;
	;;#ASMEND
	;; [unrolled: 3-line block ×8, first 2 shown]
	ds_load_b64 v[10:11], v16 offset:64
	v_fmac_f32_e32 v34, v28, v55
	v_fmac_f32_e32 v32, v59, v63
	;; [unrolled: 1-line block ×4, first 2 shown]
	s_waitcnt lgkmcnt(0)
	v_and_b32_e32 v35, 0xffff, v10
	v_lshrrev_b32_e32 v36, 16, v11
	v_lshrrev_b32_e32 v10, 16, v10
	v_and_b32_e32 v11, 0xffff, v11
	;;#ASMSTART
	v_cvt_f32_f16 v35, v35;
	;;#ASMEND
	;;#ASMSTART
	v_cvt_f32_f16 v37, v10;
	;;#ASMEND
	;; [unrolled: 3-line block ×7, first 2 shown]
	v_fmac_f32_e32 v34, v40, v1
	v_and_b32_e32 v29, 0xffff, v61
	;;#ASMSTART
	v_cvt_f32_f16 v29, v29;
	;;#ASMEND
	ds_load_b64 v[10:11], v16 offset:72
	v_dual_fmac_f32 v32, v35, v38 :: v_dual_fmac_f32 v31, v37, v39
	v_fmac_f32_e32 v33, v36, v29
	s_waitcnt lgkmcnt(0)
	v_and_b32_e32 v1, 0xffff, v10
	v_lshrrev_b32_e32 v10, 16, v10
	v_lshrrev_b32_e32 v27, 16, v11
	v_and_b32_e32 v11, 0xffff, v11
	;;#ASMSTART
	v_cvt_f32_f16 v1, v1;
	;;#ASMEND
	;;#ASMSTART
	v_cvt_f32_f16 v10, v10;
	;;#ASMEND
	;; [unrolled: 3-line block ×4, first 2 shown]
	v_dual_fmac_f32 v32, v1, v28 :: v_dual_fmac_f32 v31, v10, v29
	;;#ASMSTART
	v_cvt_f32_f16 v1, v11;
	;;#ASMEND
	;;#ASMSTART
	v_cvt_f32_f16 v10, v27;
	;;#ASMEND
	;; [unrolled: 3-line block ×3, first 2 shown]
	v_fmac_f32_e32 v34, v1, v11
	v_xor_b32_e32 v11, 1, v5
	v_add_f32_e32 v1, v32, v31
	;;#ASMSTART
	v_cvt_f32_f16 v26, v26;
	;;#ASMEND
	v_fmac_f32_e32 v33, v10, v26
	s_delay_alu instid0(VALU_DEP_3) | instskip(NEXT) | instid1(VALU_DEP_3)
	v_cmp_gt_i32_e64 s1, 32, v11
	v_add_f32_e32 v1, v1, v34
	s_delay_alu instid0(VALU_DEP_2) | instskip(NEXT) | instid1(VALU_DEP_1)
	v_cndmask_b32_e64 v10, v5, v11, s1
	v_dual_add_f32 v1, v33, v1 :: v_dual_lshlrev_b32 v10, 2, v10
	ds_bpermute_b32 v10, v10, v1
	s_and_saveexec_b32 s48, vcc_lo
	s_cbranch_execz .LBB313_11
; %bb.337:                              ;   in Loop: Header=BB313_13 Depth=1
	v_add_nc_u32_e32 v11, v22, v21
	s_waitcnt lgkmcnt(0)
	v_add_f32_e32 v1, v1, v10
	s_delay_alu instid0(VALU_DEP_2) | instskip(NEXT) | instid1(VALU_DEP_1)
	v_cvt_f32_i32_e32 v11, v11
	v_mul_f32_e32 v11, s43, v11
	s_delay_alu instid0(VALU_DEP_1) | instskip(SKIP_1) | instid1(VALU_DEP_2)
	v_cndmask_b32_e64 v10, 0, v11, s0
	v_max_f32_e32 v11, v13, v13
	v_fmac_f32_e32 v10, s39, v1
	v_add_nc_u32_e32 v1, v14, v21
	s_delay_alu instid0(VALU_DEP_2) | instskip(NEXT) | instid1(VALU_DEP_2)
	v_max_f32_e32 v11, v11, v10
	v_cmp_gt_i32_e64 s1, s33, v1
	s_delay_alu instid0(VALU_DEP_1) | instskip(NEXT) | instid1(VALU_DEP_3)
	v_cndmask_b32_e64 v1, 0, v10, s1
	v_cndmask_b32_e64 v13, v13, v11, s1
	ds_store_b32 v23, v1
	s_branch .LBB313_11
.LBB313_338:
	s_or_b32 exec_lo, exec_lo, s46
.LBB313_339:
	s_delay_alu instid0(SALU_CYCLE_1)
	s_or_b32 exec_lo, exec_lo, s18
	v_xor_b32_e32 v1, 16, v5
	v_xor_b32_e32 v2, 8, v5
	v_dual_max_f32 v4, v13, v13 :: v_dual_and_b32 v21, 31, v0
	s_waitcnt lgkmcnt(0)
	v_lshlrev_b32_e32 v10, 2, v19
	v_cmp_gt_i32_e32 vcc_lo, 32, v1
	v_cndmask_b32_e32 v1, v5, v1, vcc_lo
	v_cmp_gt_i32_e32 vcc_lo, 32, v2
	v_cndmask_b32_e32 v2, v5, v2, vcc_lo
	s_delay_alu instid0(VALU_DEP_1) | instskip(NEXT) | instid1(VALU_DEP_4)
	v_lshlrev_b32_e32 v8, 2, v2
	v_lshlrev_b32_e32 v3, 2, v1
	ds_bpermute_b32 v1, v3, v13
	s_waitcnt lgkmcnt(0)
	v_max_f32_e32 v1, v1, v1
	s_delay_alu instid0(VALU_DEP_1) | instskip(SKIP_4) | instid1(VALU_DEP_1)
	v_max_f32_e32 v1, v4, v1
	v_xor_b32_e32 v4, 4, v5
	ds_bpermute_b32 v2, v8, v1
	v_cmp_gt_i32_e32 vcc_lo, 32, v4
	v_cndmask_b32_e32 v4, v5, v4, vcc_lo
	v_lshlrev_b32_e32 v9, 2, v4
	v_xor_b32_e32 v4, 2, v5
	s_delay_alu instid0(VALU_DEP_1) | instskip(SKIP_4) | instid1(VALU_DEP_3)
	v_cmp_gt_i32_e32 vcc_lo, 32, v4
	s_waitcnt lgkmcnt(0)
	v_max_f32_e32 v2, v2, v2
	v_cndmask_b32_e32 v4, v5, v4, vcc_lo
	v_cmp_eq_u32_e32 vcc_lo, 0, v21
	v_max_f32_e32 v1, v1, v2
	ds_bpermute_b32 v2, v9, v1
	s_waitcnt lgkmcnt(0)
	v_max_f32_e32 v2, v2, v2
	s_delay_alu instid0(VALU_DEP_1)
	v_dual_max_f32 v1, v1, v2 :: v_dual_lshlrev_b32 v2, 2, v4
	ds_bpermute_b32 v4, v2, v1
	s_and_saveexec_b32 s0, vcc_lo
	s_cbranch_execz .LBB313_341
; %bb.340:
	s_waitcnt lgkmcnt(0)
	v_dual_max_f32 v4, v4, v4 :: v_dual_max_f32 v1, v1, v1
	s_delay_alu instid0(VALU_DEP_1)
	v_max_f32_e32 v1, v1, v4
	ds_store_b32 v10, v1 offset:160
.LBB313_341:
	s_or_b32 exec_lo, exec_lo, s0
	v_cmp_gt_u32_e64 s0, 4, v21
	v_mov_b32_e32 v1, 0xff7fffff
	v_lshlrev_b32_e32 v11, 2, v21
	s_waitcnt lgkmcnt(0)
	s_barrier
	buffer_gl0_inv
	s_and_saveexec_b32 s1, s0
	s_cbranch_execz .LBB313_343
; %bb.342:
	ds_load_b32 v1, v11 offset:160
.LBB313_343:
	s_or_b32 exec_lo, exec_lo, s1
	s_waitcnt lgkmcnt(0)
	ds_bpermute_b32 v4, v2, v1
	v_xor_b32_e32 v13, 1, v5
	v_max_f32_e32 v1, v1, v1
	s_delay_alu instid0(VALU_DEP_2) | instskip(NEXT) | instid1(VALU_DEP_1)
	v_cmp_gt_i32_e64 s1, 32, v13
	v_cndmask_b32_e64 v5, v5, v13, s1
	s_sub_i32 s1, s40, s4
	s_delay_alu instid0(SALU_CYCLE_1) | instskip(NEXT) | instid1(SALU_CYCLE_1)
	s_lshl_b32 s1, s1, 4
	s_add_i32 s1, s1, s15
	s_delay_alu instid0(SALU_CYCLE_1)
	s_min_i32 s1, s1, s33
	s_waitcnt lgkmcnt(0)
	v_max_f32_e32 v4, v4, v4
	v_lshlrev_b32_e32 v22, 2, v5
	s_sub_i32 s4, s1, s15
	v_mov_b32_e32 v5, 0
	v_cmp_gt_i32_e64 s1, s4, v0
	v_max_f32_e32 v1, v1, v4
	ds_bpermute_b32 v4, v22, v1
	s_waitcnt lgkmcnt(0)
	v_max_f32_e32 v4, v4, v4
	s_delay_alu instid0(VALU_DEP_1)
	v_max_f32_e32 v1, v1, v4
	v_lshl_add_u32 v4, v0, 2, 0xc0
	ds_bpermute_b32 v1, v5, v1
	s_and_saveexec_b32 s8, s1
	s_cbranch_execz .LBB313_347
; %bb.344:
	v_lshl_add_u32 v13, v0, 2, 0xc0
	v_dual_mov_b32 v5, 0 :: v_dual_mov_b32 v14, v0
	s_mov_b32 s9, 0
	.p2align	6
.LBB313_345:                            ; =>This Inner Loop Header: Depth=1
	ds_load_b32 v15, v13
	v_add_nc_u32_e32 v14, 0x80, v14
	s_delay_alu instid0(VALU_DEP_1) | instskip(NEXT) | instid1(VALU_DEP_1)
	v_cmp_le_i32_e64 s3, s4, v14
	s_or_b32 s9, s3, s9
	s_waitcnt lgkmcnt(0)
	v_sub_f32_e32 v15, v15, v1
	s_delay_alu instid0(VALU_DEP_1) | instskip(NEXT) | instid1(VALU_DEP_1)
	v_mul_f32_e32 v15, 0x3fb8aa3b, v15
	v_exp_f32_e32 v15, v15
	ds_store_b32 v13, v15
	v_add_f32_e32 v5, v5, v15
	v_add_nc_u32_e32 v13, 0x200, v13
	s_and_not1_b32 exec_lo, exec_lo, s9
	s_cbranch_execnz .LBB313_345
; %bb.346:
	s_or_b32 exec_lo, exec_lo, s9
.LBB313_347:
	s_delay_alu instid0(SALU_CYCLE_1)
	s_or_b32 exec_lo, exec_lo, s8
	ds_bpermute_b32 v3, v3, v5
	s_waitcnt lgkmcnt(0)
	v_add_f32_e32 v3, v5, v3
	ds_bpermute_b32 v5, v8, v3
	s_waitcnt lgkmcnt(0)
	v_add_f32_e32 v3, v3, v5
	;; [unrolled: 3-line block ×5, first 2 shown]
	s_and_saveexec_b32 s3, vcc_lo
	s_cbranch_execz .LBB313_349
; %bb.348:
	ds_store_b32 v10, v3 offset:176
.LBB313_349:
	s_or_b32 exec_lo, exec_lo, s3
	s_waitcnt lgkmcnt(0)
	s_barrier
	buffer_gl0_inv
	s_and_saveexec_b32 s3, s0
	s_cbranch_execz .LBB313_351
; %bb.350:
	ds_load_b32 v3, v11 offset:176
.LBB313_351:
	s_or_b32 exec_lo, exec_lo, s3
	s_waitcnt lgkmcnt(0)
	ds_bpermute_b32 v2, v2, v3
	s_waitcnt lgkmcnt(0)
	v_add_f32_e32 v2, v3, v2
	ds_bpermute_b32 v3, v22, v2
	s_waitcnt lgkmcnt(0)
	v_dual_add_f32 v2, v2, v3 :: v_dual_mov_b32 v3, 0
	ds_bpermute_b32 v2, v3, v2
	s_and_saveexec_b32 s0, s1
	s_cbranch_execz .LBB313_354
; %bb.352:
	s_waitcnt lgkmcnt(0)
	v_add_f32_e32 v3, 0x358637bd, v2
	s_mov_b32 s1, 0
	s_delay_alu instid0(VALU_DEP_1) | instskip(NEXT) | instid1(VALU_DEP_1)
	v_div_scale_f32 v5, null, v3, v3, 1.0
	v_rcp_f32_e32 v8, v5
	s_waitcnt_depctr 0xfff
	v_fma_f32 v9, -v5, v8, 1.0
	s_delay_alu instid0(VALU_DEP_1) | instskip(SKIP_1) | instid1(VALU_DEP_1)
	v_fmac_f32_e32 v8, v9, v8
	v_div_scale_f32 v10, vcc_lo, 1.0, v3, 1.0
	v_mul_f32_e32 v9, v10, v8
	s_delay_alu instid0(VALU_DEP_1) | instskip(NEXT) | instid1(VALU_DEP_1)
	v_fma_f32 v11, -v5, v9, v10
	v_fmac_f32_e32 v9, v11, v8
	s_delay_alu instid0(VALU_DEP_1) | instskip(NEXT) | instid1(VALU_DEP_1)
	v_fma_f32 v5, -v5, v9, v10
	v_div_fmas_f32 v5, v5, v8, v9
	s_delay_alu instid0(VALU_DEP_1)
	v_div_fixup_f32 v3, v5, v3, 1.0
	v_mov_b32_e32 v5, v0
.LBB313_353:                            ; =>This Inner Loop Header: Depth=1
	ds_load_b32 v8, v4
	s_waitcnt lgkmcnt(0)
	v_dual_mul_f32 v8, v3, v8 :: v_dual_add_nc_u32 v5, 0x80, v5
	s_delay_alu instid0(VALU_DEP_1) | instskip(SKIP_3) | instid1(SALU_CYCLE_1)
	v_cmp_le_i32_e32 vcc_lo, s4, v5
	ds_store_b32 v4, v8
	v_add_nc_u32_e32 v4, 0x200, v4
	s_or_b32 s1, vcc_lo, s1
	s_and_not1_b32 exec_lo, exec_lo, s1
	s_cbranch_execnz .LBB313_353
.LBB313_354:
	s_or_b32 exec_lo, exec_lo, s0
	s_mul_i32 s0, s16, s14
	s_waitcnt lgkmcnt(0)
	s_mul_i32 s14, s0, s13
	s_mov_b32 s0, exec_lo
	s_barrier
	buffer_gl0_inv
	v_cmpx_eq_u32_e32 0, v0
	s_cbranch_execz .LBB313_356
; %bb.355:
	s_ashr_i32 s15, s14, 31
	s_mul_i32 s44, s16, s28
	s_lshl_b64 s[8:9], s[14:15], 2
	v_mov_b32_e32 v3, 0
	s_add_u32 s1, s22, s8
	s_addc_u32 s3, s23, s9
	s_ashr_i32 s45, s44, 31
	s_delay_alu instid0(SALU_CYCLE_1) | instskip(NEXT) | instid1(SALU_CYCLE_1)
	s_lshl_b64 s[22:23], s[44:45], 2
	s_add_u32 s1, s1, s22
	s_addc_u32 s3, s3, s23
	s_ashr_i32 s13, s12, 31
	s_delay_alu instid0(SALU_CYCLE_1) | instskip(NEXT) | instid1(SALU_CYCLE_1)
	s_lshl_b64 s[44:45], s[12:13], 2
	s_add_u32 s46, s1, s44
	s_addc_u32 s47, s3, s45
	s_add_u32 s1, s20, s8
	s_addc_u32 s3, s21, s9
	;; [unrolled: 2-line block ×4, first 2 shown]
	s_clause 0x1
	global_store_b32 v3, v1, s[46:47]
	global_store_b32 v3, v2, s[8:9]
.LBB313_356:
	s_or_b32 exec_lo, exec_lo, s0
	v_dual_mov_b32 v5, 0 :: v_dual_mov_b32 v4, 0
	v_dual_mov_b32 v3, 0 :: v_dual_mov_b32 v2, 0
	v_mov_b32_e32 v1, 0
	s_mov_b32 s4, 0
	s_and_saveexec_b32 s1, s2
	s_cbranch_execz .LBB313_672
; %bb.357:
	s_sub_i32 s9, s42, s5
	s_ashr_i32 s0, s7, 31
	s_add_u32 s15, s36, s7
	s_addc_u32 s0, s37, s0
	s_abs_i32 s13, s6
	s_mov_b32 s5, s4
	v_cvt_f32_u32_e32 v1, s13
	s_mov_b32 s6, s4
	s_mov_b32 s7, s4
	;; [unrolled: 1-line block ×3, first 2 shown]
	v_and_b32_e32 v23, 8, v12
	v_rcp_iflag_f32_e32 v1, v1
	v_and_b32_e32 v8, 0xf8, v12
	s_sub_i32 s18, 0, s13
	v_lshlrev_b32_e32 v11, 5, v18
	v_lshlrev_b64 v[9:10], 2, v[6:7]
	s_lshl_b64 s[20:21], s[34:35], 2
	s_add_i32 s41, s41, -1
	s_mov_b32 s2, -1
	s_mov_b32 s3, 0xffffff
	s_waitcnt_depctr 0xfff
	v_mul_f32_e32 v1, 0x4f7ffffe, v1
	s_delay_alu instid0(VALU_DEP_1) | instskip(SKIP_2) | instid1(VALU_DEP_3)
	v_cvt_u32_f32_e32 v12, v1
	v_dual_mov_b32 v1, s4 :: v_dual_mov_b32 v4, s7
	v_dual_mov_b32 v2, s5 :: v_dual_mov_b32 v5, s8
	v_mul_lo_u32 v13, s18, v12
	s_delay_alu instid0(VALU_DEP_1) | instskip(NEXT) | instid1(VALU_DEP_1)
	v_mul_hi_u32 v13, v12, v13
	v_dual_mov_b32 v12, 0 :: v_dual_add_nc_u32 v25, v12, v13
	v_lshl_or_b32 v11, v19, 6, v11
	v_mov_b32_e32 v3, s6
	v_add_co_u32 v7, s5, s15, v8
	s_delay_alu instid0(VALU_DEP_1) | instskip(NEXT) | instid1(VALU_DEP_4)
	v_add_co_ci_u32_e64 v8, null, s0, 0, s5
	v_add_nc_u32_e32 v24, 0xc0, v11
	s_add_u32 s0, s30, s20
	s_addc_u32 s5, s31, s21
	v_add_co_u32 v9, vcc_lo, s0, v9
	v_add_co_ci_u32_e32 v10, vcc_lo, s5, v10, vcc_lo
	s_mov_b32 s5, s17
	s_mov_b32 s6, s33
	s_branch .LBB313_360
.LBB313_358:                            ;   in Loop: Header=BB313_360 Depth=1
	s_or_b32 exec_lo, exec_lo, s0
	;;#ASMSTART
	v_pk_mul_f16 v27, v37, v45;

	;;#ASMEND
	;;#ASMSTART
	v_pk_mul_f16 v14, v36, v14;

	;;#ASMEND
	;; [unrolled: 4-line block ×4, first 2 shown]
	;;#ASMSTART
	v_pk_add_f16 v14, v27, v14;

	;;#ASMEND
	;;#ASMSTART
	v_pk_add_f16 v11, v14, v11;

	;;#ASMEND
	;; [unrolled: 4-line block ×3, first 2 shown]
	v_dual_add_f32 v14, v40, v41 :: v_dual_and_b32 v13, 0xffff, v11
	v_lshrrev_b32_e32 v11, 16, v11
	;;#ASMSTART
	v_cvt_f32_f16 v13, v13;
	;;#ASMEND
	;;#ASMSTART
	v_cvt_f32_f16 v11, v11;
	;;#ASMEND
	v_dual_add_f32 v26, v38, v39 :: v_dual_add_f32 v15, v15, v16
	v_add_f32_e32 v27, v42, v43
	v_dual_add_f32 v11, v13, v11 :: v_dual_add_f32 v2, v2, v14
	s_delay_alu instid0(VALU_DEP_3) | instskip(NEXT) | instid1(VALU_DEP_3)
	v_dual_add_f32 v1, v1, v26 :: v_dual_add_f32 v4, v4, v15
	v_add_f32_e32 v3, v3, v27
	s_delay_alu instid0(VALU_DEP_3)
	v_add_f32_e32 v5, v5, v11
.LBB313_359:                            ;   in Loop: Header=BB313_360 Depth=1
	s_or_b32 exec_lo, exec_lo, s7
	v_add_nc_u32_e32 v6, 4, v6
	v_add_co_u32 v9, s0, v9, 16
	s_delay_alu instid0(VALU_DEP_1) | instskip(NEXT) | instid1(VALU_DEP_3)
	v_add_co_ci_u32_e64 v10, s0, 0, v10, s0
	v_cmp_le_i32_e32 vcc_lo, s40, v6
	v_add_nc_u32_e32 v20, 64, v20
	v_add_nc_u32_e32 v24, 0x100, v24
	s_or_b32 s4, vcc_lo, s4
	s_delay_alu instid0(SALU_CYCLE_1)
	s_and_not1_b32 exec_lo, exec_lo, s4
	s_cbranch_execz .LBB313_671
.LBB313_360:                            ; =>This Inner Loop Header: Depth=1
	v_sub_nc_u32_e32 v11, 0, v20
	s_delay_alu instid0(VALU_DEP_1) | instskip(NEXT) | instid1(VALU_DEP_1)
	v_max_i32_e32 v11, v20, v11
	v_mul_hi_u32 v13, v11, s25
	s_delay_alu instid0(VALU_DEP_1) | instskip(NEXT) | instid1(VALU_DEP_1)
	v_mul_lo_u32 v14, v13, s19
	v_sub_nc_u32_e32 v11, v11, v14
	s_delay_alu instid0(VALU_DEP_1) | instskip(SKIP_1) | instid1(VALU_DEP_2)
	v_subrev_nc_u32_e32 v15, s19, v11
	v_cmp_le_u32_e32 vcc_lo, s19, v11
	v_dual_cndmask_b32 v11, v11, v15 :: v_dual_add_nc_u32 v14, 1, v13
	s_delay_alu instid0(VALU_DEP_1) | instskip(SKIP_1) | instid1(VALU_DEP_3)
	v_cndmask_b32_e32 v13, v13, v14, vcc_lo
	v_ashrrev_i32_e32 v14, 31, v20
	v_cmp_le_u32_e32 vcc_lo, s19, v11
	s_delay_alu instid0(VALU_DEP_3) | instskip(NEXT) | instid1(VALU_DEP_3)
	v_add_nc_u32_e32 v15, 1, v13
	v_xor_b32_e32 v14, s38, v14
	s_delay_alu instid0(VALU_DEP_2) | instskip(NEXT) | instid1(VALU_DEP_1)
	v_cndmask_b32_e32 v11, v13, v15, vcc_lo
	v_xor_b32_e32 v11, v11, v14
	s_delay_alu instid0(VALU_DEP_1) | instskip(NEXT) | instid1(VALU_DEP_1)
	v_sub_nc_u32_e32 v11, v11, v14
	v_add_nc_u32_e32 v13, s29, v11
	v_cmp_lt_i32_e64 s0, s9, v11
	s_delay_alu instid0(VALU_DEP_2) | instskip(NEXT) | instid1(VALU_DEP_1)
	v_sub_nc_u32_e32 v14, 0, v13
	v_max_i32_e32 v14, v13, v14
	v_ashrrev_i32_e32 v13, 31, v13
	s_delay_alu instid0(VALU_DEP_2) | instskip(NEXT) | instid1(VALU_DEP_1)
	v_mul_hi_u32 v15, v14, v25
	v_mul_lo_u32 v15, v15, s13
	s_delay_alu instid0(VALU_DEP_1) | instskip(NEXT) | instid1(VALU_DEP_1)
	v_sub_nc_u32_e32 v14, v14, v15
	v_subrev_nc_u32_e32 v15, s13, v14
	v_cmp_le_u32_e32 vcc_lo, s13, v14
	s_delay_alu instid0(VALU_DEP_2) | instskip(NEXT) | instid1(VALU_DEP_1)
	v_cndmask_b32_e32 v14, v14, v15, vcc_lo
	v_subrev_nc_u32_e32 v15, s13, v14
	v_cmp_le_u32_e32 vcc_lo, s13, v14
	s_delay_alu instid0(VALU_DEP_2) | instskip(NEXT) | instid1(VALU_DEP_1)
	v_cndmask_b32_e32 v14, v14, v15, vcc_lo
	v_xor_b32_e32 v14, v14, v13
	s_delay_alu instid0(VALU_DEP_1) | instskip(NEXT) | instid1(VALU_DEP_1)
	v_sub_nc_u32_e32 v13, v14, v13
	v_cmp_eq_u32_e32 vcc_lo, 0, v13
	s_or_b32 s0, vcc_lo, s0
	s_delay_alu instid0(SALU_CYCLE_1)
	s_and_saveexec_b32 s7, s0
	s_cbranch_execz .LBB313_359
; %bb.361:                              ;   in Loop: Header=BB313_360 Depth=1
	global_load_b32 v11, v[9:10], off
	ds_load_2addr_b64 v[26:29], v24 offset1:1
	ds_load_2addr_b64 v[30:33], v24 offset0:2 offset1:3
	s_mov_b32 s0, exec_lo
	s_waitcnt lgkmcnt(1)
	;;#ASMSTART
	v_cvt_f16_f32 v34, v26;

	;;#ASMEND
	;;#ASMSTART
	v_cvt_f16_f32 v35, v27;

	;;#ASMEND
	;; [unrolled: 4-line block ×4, first 2 shown]
	s_waitcnt lgkmcnt(0)
	;;#ASMSTART
	v_cvt_f16_f32 v40, v30;

	;;#ASMEND
	;;#ASMSTART
	v_cvt_f16_f32 v38, v31;

	;;#ASMEND
	;; [unrolled: 4-line block ×4, first 2 shown]
	v_mov_b32_e32 v28, 0
	v_mov_b32_e32 v26, 0
	s_waitcnt vmcnt(0)
	v_mad_i64_i32 v[13:14], null, v11, s5, v[7:8]
	global_load_b64 v[15:16], v[13:14], off
	global_load_b32 v27, v12, s[10:11]
	s_waitcnt vmcnt(1)
	v_and_b32_e32 v11, 0xff, v15
	s_delay_alu instid0(VALU_DEP_1)
	v_cmpx_ne_u16_e32 0, v11
	s_cbranch_execz .LBB313_367
; %bb.362:                              ;   in Loop: Header=BB313_360 Depth=1
	v_bfrev_b32_e32 v28, 1
	s_mov_b32 s8, exec_lo
	v_cmpx_ne_u16_e32 0x80, v11
	s_cbranch_execz .LBB313_366
; %bb.363:                              ;   in Loop: Header=BB313_360 Depth=1
	v_and_b32_e32 v11, 0x7f, v15
	v_mov_b32_e32 v28, 0x7fc02000
	s_mov_b32 s15, exec_lo
	s_delay_alu instid0(VALU_DEP_2)
	v_cmpx_ne_u32_e32 0x7f, v11
	s_cbranch_execz .LBB313_365
; %bb.364:                              ;   in Loop: Header=BB313_360 Depth=1
	v_cmp_gt_u32_e32 vcc_lo, 8, v11
	v_and_b32_e32 v28, 7, v15
	v_lshrrev_b32_e32 v29, 3, v11
	s_delay_alu instid0(VALU_DEP_2) | instskip(NEXT) | instid1(VALU_DEP_1)
	v_clz_i32_u32_e32 v28, v28
	v_min_u32_e32 v28, 32, v28
	s_delay_alu instid0(VALU_DEP_1) | instskip(SKIP_1) | instid1(VALU_DEP_1)
	v_subrev_nc_u32_e32 v30, 28, v28
	v_sub_nc_u32_e32 v28, 29, v28
	v_dual_cndmask_b32 v11, 0, v30 :: v_dual_cndmask_b32 v30, v29, v28
	s_delay_alu instid0(VALU_DEP_1) | instskip(SKIP_1) | instid1(VALU_DEP_3)
	v_lshlrev_b64 v[28:29], v11, v[15:16]
	v_lshlrev_b32_e32 v11, 8, v15
	v_lshl_add_u32 v29, v30, 10, 0x2000
	s_delay_alu instid0(VALU_DEP_3) | instskip(NEXT) | instid1(VALU_DEP_2)
	v_lshlrev_b32_e32 v28, 7, v28
	v_and_or_b32 v11, 0x8000, v11, v29
	s_delay_alu instid0(VALU_DEP_1) | instskip(NEXT) | instid1(VALU_DEP_1)
	v_and_or_b32 v11, 0x380, v28, v11
	v_cvt_f32_f16_e32 v28, v11
.LBB313_365:                            ;   in Loop: Header=BB313_360 Depth=1
	s_or_b32 exec_lo, exec_lo, s15
.LBB313_366:                            ;   in Loop: Header=BB313_360 Depth=1
	s_delay_alu instid0(SALU_CYCLE_1)
	s_or_b32 exec_lo, exec_lo, s8
.LBB313_367:                            ;   in Loop: Header=BB313_360 Depth=1
	s_delay_alu instid0(SALU_CYCLE_1) | instskip(SKIP_2) | instid1(VALU_DEP_1)
	s_or_b32 exec_lo, exec_lo, s0
	v_lshrrev_b16 v11, 8, v15
	s_mov_b32 s0, exec_lo
	v_cmpx_ne_u16_e32 0, v11
	s_cbranch_execz .LBB313_375
; %bb.368:                              ;   in Loop: Header=BB313_360 Depth=1
	v_bfrev_b32_e32 v26, 1
	s_mov_b32 s8, exec_lo
	v_cmpx_ne_u16_e32 0x80, v11
	s_cbranch_execz .LBB313_374
; %bb.369:                              ;   in Loop: Header=BB313_360 Depth=1
	v_and_b32_e32 v29, 0xffff, v11
	v_mov_b32_e32 v26, 0x7fc02000
	s_mov_b32 s15, exec_lo
	s_delay_alu instid0(VALU_DEP_2) | instskip(NEXT) | instid1(VALU_DEP_1)
	v_and_b32_e32 v30, 0x7f, v29
	v_cmpx_ne_u32_e32 0x7f, v30
	s_cbranch_execz .LBB313_373
; %bb.370:                              ;   in Loop: Header=BB313_360 Depth=1
	v_and_b32_e32 v11, 7, v29
	v_lshrrev_b32_e32 v26, 3, v30
	s_mov_b32 s17, exec_lo
	v_cmpx_gt_u32_e32 8, v30
; %bb.371:                              ;   in Loop: Header=BB313_360 Depth=1
	s_delay_alu instid0(VALU_DEP_3) | instskip(NEXT) | instid1(VALU_DEP_1)
	v_clz_i32_u32_e32 v26, v11
	v_min_u32_e32 v26, 32, v26
	s_delay_alu instid0(VALU_DEP_1) | instskip(SKIP_1) | instid1(VALU_DEP_2)
	v_subrev_nc_u32_e32 v30, 28, v26
	v_sub_nc_u32_e32 v26, 29, v26
	v_lshlrev_b64 v[30:31], v30, v[11:12]
	s_delay_alu instid0(VALU_DEP_1)
	v_and_b32_e32 v11, 7, v30
; %bb.372:                              ;   in Loop: Header=BB313_360 Depth=1
	s_or_b32 exec_lo, exec_lo, s17
	v_lshlrev_b32_e32 v29, 8, v29
	v_lshl_add_u32 v26, v26, 10, 0x2000
	s_delay_alu instid0(VALU_DEP_1) | instskip(NEXT) | instid1(VALU_DEP_1)
	v_and_or_b32 v26, 0x8000, v29, v26
	v_lshl_or_b32 v11, v11, 7, v26
	s_delay_alu instid0(VALU_DEP_1)
	v_cvt_f32_f16_e32 v26, v11
.LBB313_373:                            ;   in Loop: Header=BB313_360 Depth=1
	s_or_b32 exec_lo, exec_lo, s15
.LBB313_374:                            ;   in Loop: Header=BB313_360 Depth=1
	s_delay_alu instid0(SALU_CYCLE_1)
	s_or_b32 exec_lo, exec_lo, s8
.LBB313_375:                            ;   in Loop: Header=BB313_360 Depth=1
	s_delay_alu instid0(SALU_CYCLE_1) | instskip(SKIP_3) | instid1(VALU_DEP_2)
	s_or_b32 exec_lo, exec_lo, s0
	v_lshrrev_b32_e32 v31, 16, v15
	v_mov_b32_e32 v29, 0
	s_mov_b32 s0, exec_lo
	v_dual_mov_b32 v30, 0 :: v_dual_and_b32 v11, 0xff, v31
	s_delay_alu instid0(VALU_DEP_1)
	v_cmpx_ne_u16_e32 0, v11
	s_cbranch_execz .LBB313_383
; %bb.376:                              ;   in Loop: Header=BB313_360 Depth=1
	v_bfrev_b32_e32 v29, 1
	s_mov_b32 s8, exec_lo
	v_cmpx_ne_u16_e32 0x80, v11
	s_cbranch_execz .LBB313_382
; %bb.377:                              ;   in Loop: Header=BB313_360 Depth=1
	v_bfe_u32 v32, v15, 16, 7
	v_mov_b32_e32 v29, 0x7fc02000
	s_mov_b32 s15, exec_lo
	s_delay_alu instid0(VALU_DEP_2)
	v_cmpx_ne_u32_e32 0x7f, v32
	s_cbranch_execz .LBB313_381
; %bb.378:                              ;   in Loop: Header=BB313_360 Depth=1
	v_and_b32_e32 v11, 7, v31
	v_lshrrev_b32_e32 v29, 3, v32
	s_mov_b32 s17, exec_lo
	v_cmpx_gt_u32_e32 8, v32
; %bb.379:                              ;   in Loop: Header=BB313_360 Depth=1
	s_delay_alu instid0(VALU_DEP_3) | instskip(NEXT) | instid1(VALU_DEP_1)
	v_clz_i32_u32_e32 v29, v11
	v_min_u32_e32 v29, 32, v29
	s_delay_alu instid0(VALU_DEP_1) | instskip(SKIP_1) | instid1(VALU_DEP_2)
	v_subrev_nc_u32_e32 v32, 28, v29
	v_sub_nc_u32_e32 v29, 29, v29
	v_lshlrev_b64 v[32:33], v32, v[11:12]
	s_delay_alu instid0(VALU_DEP_1)
	v_and_b32_e32 v11, 7, v32
; %bb.380:                              ;   in Loop: Header=BB313_360 Depth=1
	s_or_b32 exec_lo, exec_lo, s17
	v_lshlrev_b32_e32 v31, 8, v31
	v_lshl_add_u32 v29, v29, 10, 0x2000
	s_delay_alu instid0(VALU_DEP_1) | instskip(NEXT) | instid1(VALU_DEP_1)
	v_and_or_b32 v29, 0x8000, v31, v29
	v_lshl_or_b32 v11, v11, 7, v29
	s_delay_alu instid0(VALU_DEP_1)
	v_cvt_f32_f16_e32 v29, v11
.LBB313_381:                            ;   in Loop: Header=BB313_360 Depth=1
	s_or_b32 exec_lo, exec_lo, s15
.LBB313_382:                            ;   in Loop: Header=BB313_360 Depth=1
	s_delay_alu instid0(SALU_CYCLE_1)
	s_or_b32 exec_lo, exec_lo, s8
.LBB313_383:                            ;   in Loop: Header=BB313_360 Depth=1
	s_delay_alu instid0(SALU_CYCLE_1) | instskip(NEXT) | instid1(SALU_CYCLE_1)
	s_or_b32 exec_lo, exec_lo, s0
	s_mov_b32 s0, exec_lo
	v_cmpx_lt_u32_e32 0xffffff, v15
	s_cbranch_execz .LBB313_391
; %bb.384:                              ;   in Loop: Header=BB313_360 Depth=1
	v_lshrrev_b32_e32 v31, 24, v15
	v_bfrev_b32_e32 v30, 1
	s_mov_b32 s8, exec_lo
	s_delay_alu instid0(VALU_DEP_2)
	v_cmpx_ne_u32_e32 0x80, v31
	s_cbranch_execz .LBB313_390
; %bb.385:                              ;   in Loop: Header=BB313_360 Depth=1
	v_and_b32_e32 v32, 0x7f, v31
	v_mov_b32_e32 v30, 0x7fc02000
	s_mov_b32 s15, exec_lo
	s_delay_alu instid0(VALU_DEP_2)
	v_cmpx_ne_u32_e32 0x7f, v32
	s_cbranch_execz .LBB313_389
; %bb.386:                              ;   in Loop: Header=BB313_360 Depth=1
	v_and_b32_e32 v11, 7, v31
	v_lshrrev_b32_e32 v30, 3, v32
	s_mov_b32 s17, exec_lo
	v_cmpx_gt_u32_e32 8, v32
; %bb.387:                              ;   in Loop: Header=BB313_360 Depth=1
	s_delay_alu instid0(VALU_DEP_3) | instskip(NEXT) | instid1(VALU_DEP_1)
	v_clz_i32_u32_e32 v30, v11
	v_min_u32_e32 v30, 32, v30
	s_delay_alu instid0(VALU_DEP_1) | instskip(SKIP_1) | instid1(VALU_DEP_2)
	v_subrev_nc_u32_e32 v32, 28, v30
	v_sub_nc_u32_e32 v30, 29, v30
	v_lshlrev_b64 v[32:33], v32, v[11:12]
	s_delay_alu instid0(VALU_DEP_1)
	v_and_b32_e32 v11, 7, v32
; %bb.388:                              ;   in Loop: Header=BB313_360 Depth=1
	s_or_b32 exec_lo, exec_lo, s17
	v_lshlrev_b32_e32 v31, 8, v31
	v_lshl_add_u32 v30, v30, 10, 0x2000
	s_delay_alu instid0(VALU_DEP_1) | instskip(NEXT) | instid1(VALU_DEP_1)
	v_and_or_b32 v30, 0x8000, v31, v30
	v_lshl_or_b32 v11, v11, 7, v30
	s_delay_alu instid0(VALU_DEP_1)
	v_cvt_f32_f16_e32 v30, v11
.LBB313_389:                            ;   in Loop: Header=BB313_360 Depth=1
	s_or_b32 exec_lo, exec_lo, s15
.LBB313_390:                            ;   in Loop: Header=BB313_360 Depth=1
	s_delay_alu instid0(SALU_CYCLE_1)
	s_or_b32 exec_lo, exec_lo, s8
.LBB313_391:                            ;   in Loop: Header=BB313_360 Depth=1
	s_delay_alu instid0(SALU_CYCLE_1) | instskip(SKIP_4) | instid1(VALU_DEP_3)
	s_or_b32 exec_lo, exec_lo, s0
	v_dual_mov_b32 v32, 0 :: v_dual_and_b32 v33, 0xff, v16
	v_mov_b32_e32 v11, v16
	v_mov_b32_e32 v31, 0
	s_mov_b32 s0, exec_lo
	v_cmpx_ne_u16_e32 0, v33
	s_cbranch_execz .LBB313_397
; %bb.392:                              ;   in Loop: Header=BB313_360 Depth=1
	v_bfrev_b32_e32 v31, 1
	s_mov_b32 s8, exec_lo
	v_cmpx_ne_u16_e32 0x80, v33
	s_cbranch_execz .LBB313_396
; %bb.393:                              ;   in Loop: Header=BB313_360 Depth=1
	v_and_b32_e32 v33, 0x7f, v16
	v_mov_b32_e32 v31, 0x7fc02000
	s_mov_b32 s15, exec_lo
	s_delay_alu instid0(VALU_DEP_2)
	v_cmpx_ne_u32_e32 0x7f, v33
	s_cbranch_execz .LBB313_395
; %bb.394:                              ;   in Loop: Header=BB313_360 Depth=1
	v_and_b32_e32 v31, 7, v16
	v_cmp_gt_u32_e32 vcc_lo, 8, v33
	v_lshrrev_b32_e32 v42, 3, v33
	s_delay_alu instid0(VALU_DEP_3) | instskip(NEXT) | instid1(VALU_DEP_1)
	v_clz_i32_u32_e32 v31, v31
	v_min_u32_e32 v31, 32, v31
	s_delay_alu instid0(VALU_DEP_1) | instskip(SKIP_1) | instid1(VALU_DEP_2)
	v_subrev_nc_u32_e32 v43, 28, v31
	v_sub_nc_u32_e32 v31, 29, v31
	v_cndmask_b32_e32 v33, 0, v43, vcc_lo
	s_delay_alu instid0(VALU_DEP_2) | instskip(NEXT) | instid1(VALU_DEP_2)
	v_cndmask_b32_e32 v31, v42, v31, vcc_lo
	v_lshlrev_b64 v[42:43], v33, v[11:12]
	v_lshlrev_b32_e32 v33, 8, v16
	s_delay_alu instid0(VALU_DEP_3) | instskip(NEXT) | instid1(VALU_DEP_3)
	v_lshl_add_u32 v31, v31, 10, 0x2000
	v_lshlrev_b32_e32 v42, 7, v42
	s_delay_alu instid0(VALU_DEP_2) | instskip(NEXT) | instid1(VALU_DEP_1)
	v_and_or_b32 v31, 0x8000, v33, v31
	v_and_or_b32 v31, 0x380, v42, v31
	s_delay_alu instid0(VALU_DEP_1)
	v_cvt_f32_f16_e32 v31, v31
.LBB313_395:                            ;   in Loop: Header=BB313_360 Depth=1
	s_or_b32 exec_lo, exec_lo, s15
.LBB313_396:                            ;   in Loop: Header=BB313_360 Depth=1
	s_delay_alu instid0(SALU_CYCLE_1)
	s_or_b32 exec_lo, exec_lo, s8
.LBB313_397:                            ;   in Loop: Header=BB313_360 Depth=1
	s_delay_alu instid0(SALU_CYCLE_1) | instskip(SKIP_2) | instid1(VALU_DEP_1)
	s_or_b32 exec_lo, exec_lo, s0
	v_lshrrev_b16 v11, 8, v11
	s_mov_b32 s0, exec_lo
	v_cmpx_ne_u16_e32 0, v11
	s_cbranch_execz .LBB313_405
; %bb.398:                              ;   in Loop: Header=BB313_360 Depth=1
	v_bfrev_b32_e32 v32, 1
	s_mov_b32 s8, exec_lo
	v_cmpx_ne_u16_e32 0x80, v11
	s_cbranch_execz .LBB313_404
; %bb.399:                              ;   in Loop: Header=BB313_360 Depth=1
	v_and_b32_e32 v33, 0xffff, v11
	v_mov_b32_e32 v32, 0x7fc02000
	s_mov_b32 s15, exec_lo
	s_delay_alu instid0(VALU_DEP_2) | instskip(NEXT) | instid1(VALU_DEP_1)
	v_and_b32_e32 v42, 0x7f, v33
	v_cmpx_ne_u32_e32 0x7f, v42
	s_cbranch_execz .LBB313_403
; %bb.400:                              ;   in Loop: Header=BB313_360 Depth=1
	v_and_b32_e32 v11, 7, v33
	v_lshrrev_b32_e32 v32, 3, v42
	s_mov_b32 s17, exec_lo
	v_cmpx_gt_u32_e32 8, v42
; %bb.401:                              ;   in Loop: Header=BB313_360 Depth=1
	s_delay_alu instid0(VALU_DEP_3) | instskip(NEXT) | instid1(VALU_DEP_1)
	v_clz_i32_u32_e32 v32, v11
	v_min_u32_e32 v32, 32, v32
	s_delay_alu instid0(VALU_DEP_1) | instskip(SKIP_1) | instid1(VALU_DEP_2)
	v_subrev_nc_u32_e32 v42, 28, v32
	v_sub_nc_u32_e32 v32, 29, v32
	v_lshlrev_b64 v[42:43], v42, v[11:12]
	s_delay_alu instid0(VALU_DEP_1)
	v_and_b32_e32 v11, 7, v42
; %bb.402:                              ;   in Loop: Header=BB313_360 Depth=1
	s_or_b32 exec_lo, exec_lo, s17
	v_lshlrev_b32_e32 v33, 8, v33
	v_lshl_add_u32 v32, v32, 10, 0x2000
	s_delay_alu instid0(VALU_DEP_1) | instskip(NEXT) | instid1(VALU_DEP_1)
	v_and_or_b32 v32, 0x8000, v33, v32
	v_lshl_or_b32 v11, v11, 7, v32
	s_delay_alu instid0(VALU_DEP_1)
	v_cvt_f32_f16_e32 v32, v11
.LBB313_403:                            ;   in Loop: Header=BB313_360 Depth=1
	s_or_b32 exec_lo, exec_lo, s15
.LBB313_404:                            ;   in Loop: Header=BB313_360 Depth=1
	s_delay_alu instid0(SALU_CYCLE_1)
	s_or_b32 exec_lo, exec_lo, s8
.LBB313_405:                            ;   in Loop: Header=BB313_360 Depth=1
	s_delay_alu instid0(SALU_CYCLE_1) | instskip(SKIP_3) | instid1(VALU_DEP_2)
	s_or_b32 exec_lo, exec_lo, s0
	v_lshrrev_b32_e32 v43, 16, v16
	v_mov_b32_e32 v33, 0
	s_mov_b32 s0, exec_lo
	v_dual_mov_b32 v42, 0 :: v_dual_and_b32 v11, 0xff, v43
	s_delay_alu instid0(VALU_DEP_1)
	v_cmpx_ne_u16_e32 0, v11
	s_cbranch_execz .LBB313_413
; %bb.406:                              ;   in Loop: Header=BB313_360 Depth=1
	v_bfrev_b32_e32 v33, 1
	s_mov_b32 s8, exec_lo
	v_cmpx_ne_u16_e32 0x80, v11
	s_cbranch_execz .LBB313_412
; %bb.407:                              ;   in Loop: Header=BB313_360 Depth=1
	v_bfe_u32 v44, v16, 16, 7
	v_mov_b32_e32 v33, 0x7fc02000
	s_mov_b32 s15, exec_lo
	s_delay_alu instid0(VALU_DEP_2)
	v_cmpx_ne_u32_e32 0x7f, v44
	s_cbranch_execz .LBB313_411
; %bb.408:                              ;   in Loop: Header=BB313_360 Depth=1
	v_and_b32_e32 v11, 7, v43
	v_lshrrev_b32_e32 v33, 3, v44
	s_mov_b32 s17, exec_lo
	v_cmpx_gt_u32_e32 8, v44
; %bb.409:                              ;   in Loop: Header=BB313_360 Depth=1
	s_delay_alu instid0(VALU_DEP_3) | instskip(NEXT) | instid1(VALU_DEP_1)
	v_clz_i32_u32_e32 v33, v11
	v_min_u32_e32 v33, 32, v33
	s_delay_alu instid0(VALU_DEP_1) | instskip(SKIP_1) | instid1(VALU_DEP_2)
	v_subrev_nc_u32_e32 v44, 28, v33
	v_sub_nc_u32_e32 v33, 29, v33
	v_lshlrev_b64 v[44:45], v44, v[11:12]
	s_delay_alu instid0(VALU_DEP_1)
	v_and_b32_e32 v11, 7, v44
; %bb.410:                              ;   in Loop: Header=BB313_360 Depth=1
	s_or_b32 exec_lo, exec_lo, s17
	v_lshlrev_b32_e32 v43, 8, v43
	v_lshl_add_u32 v33, v33, 10, 0x2000
	s_delay_alu instid0(VALU_DEP_1) | instskip(NEXT) | instid1(VALU_DEP_1)
	v_and_or_b32 v33, 0x8000, v43, v33
	v_lshl_or_b32 v11, v11, 7, v33
	s_delay_alu instid0(VALU_DEP_1)
	v_cvt_f32_f16_e32 v33, v11
.LBB313_411:                            ;   in Loop: Header=BB313_360 Depth=1
	s_or_b32 exec_lo, exec_lo, s15
.LBB313_412:                            ;   in Loop: Header=BB313_360 Depth=1
	s_delay_alu instid0(SALU_CYCLE_1)
	s_or_b32 exec_lo, exec_lo, s8
.LBB313_413:                            ;   in Loop: Header=BB313_360 Depth=1
	s_delay_alu instid0(SALU_CYCLE_1) | instskip(NEXT) | instid1(SALU_CYCLE_1)
	s_or_b32 exec_lo, exec_lo, s0
	s_mov_b32 s0, exec_lo
	v_cmpx_lt_u64_e64 s[2:3], v[15:16]
	s_cbranch_execz .LBB313_421
; %bb.414:                              ;   in Loop: Header=BB313_360 Depth=1
	v_lshrrev_b32_e32 v15, 24, v16
	v_bfrev_b32_e32 v42, 1
	s_mov_b32 s8, exec_lo
	s_delay_alu instid0(VALU_DEP_2)
	v_cmpx_ne_u32_e32 0x80, v15
	s_cbranch_execz .LBB313_420
; %bb.415:                              ;   in Loop: Header=BB313_360 Depth=1
	v_and_b32_e32 v43, 0x7f, v15
	v_mov_b32_e32 v42, 0x7fc02000
	s_mov_b32 s15, exec_lo
	s_delay_alu instid0(VALU_DEP_2)
	v_cmpx_ne_u32_e32 0x7f, v43
	s_cbranch_execz .LBB313_419
; %bb.416:                              ;   in Loop: Header=BB313_360 Depth=1
	v_and_b32_e32 v11, 7, v15
	v_lshrrev_b32_e32 v16, 3, v43
	s_mov_b32 s17, exec_lo
	v_cmpx_gt_u32_e32 8, v43
; %bb.417:                              ;   in Loop: Header=BB313_360 Depth=1
	s_delay_alu instid0(VALU_DEP_3) | instskip(NEXT) | instid1(VALU_DEP_1)
	v_clz_i32_u32_e32 v16, v11
	v_min_u32_e32 v16, 32, v16
	s_delay_alu instid0(VALU_DEP_1) | instskip(SKIP_1) | instid1(VALU_DEP_2)
	v_subrev_nc_u32_e32 v42, 28, v16
	v_sub_nc_u32_e32 v16, 29, v16
	v_lshlrev_b64 v[42:43], v42, v[11:12]
	s_delay_alu instid0(VALU_DEP_1)
	v_and_b32_e32 v11, 7, v42
; %bb.418:                              ;   in Loop: Header=BB313_360 Depth=1
	s_or_b32 exec_lo, exec_lo, s17
	v_lshlrev_b32_e32 v15, 8, v15
	v_lshl_add_u32 v16, v16, 10, 0x2000
	s_delay_alu instid0(VALU_DEP_1) | instskip(NEXT) | instid1(VALU_DEP_1)
	v_and_or_b32 v15, 0x8000, v15, v16
	v_lshl_or_b32 v11, v11, 7, v15
	s_delay_alu instid0(VALU_DEP_1)
	v_cvt_f32_f16_e32 v42, v11
.LBB313_419:                            ;   in Loop: Header=BB313_360 Depth=1
	s_or_b32 exec_lo, exec_lo, s15
.LBB313_420:                            ;   in Loop: Header=BB313_360 Depth=1
	s_delay_alu instid0(SALU_CYCLE_1)
	s_or_b32 exec_lo, exec_lo, s8
.LBB313_421:                            ;   in Loop: Header=BB313_360 Depth=1
	s_delay_alu instid0(SALU_CYCLE_1)
	s_or_b32 exec_lo, exec_lo, s0
	s_waitcnt vmcnt(0)
	v_fma_mixlo_f16 v16, v27, v26, 0
	v_fma_mixlo_f16 v11, v27, v30, 0
	;; [unrolled: 1-line block ×5, first 2 shown]
	v_lshlrev_b32_e32 v29, 16, v16
	v_fma_mixlo_f16 v16, v27, v28, 0
	v_fma_mixlo_f16 v28, v27, v32, 0
	;; [unrolled: 1-line block ×3, first 2 shown]
	v_add_nc_u32_e32 v26, v23, v20
	v_lshlrev_b32_e32 v11, 16, v11
	v_and_b32_e32 v15, 0xffff, v15
	v_and_b32_e32 v27, 0xffff, v16
	v_lshlrev_b32_e32 v28, 16, v28
	v_and_b32_e32 v30, 0xffff, v30
	v_lshlrev_b32_e32 v31, 16, v31
	v_and_b32_e32 v32, 0xffff, v42
	v_cmp_eq_u32_e32 vcc_lo, s41, v6
	v_or_b32_e32 v16, v11, v15
	v_or_b32_e32 v43, v29, v27
	;; [unrolled: 1-line block ×4, first 2 shown]
	v_add_nc_u32_e32 v33, 1, v26
	v_or_b32_e32 v32, 3, v26
	v_or_b32_e32 v31, 2, v26
	;; [unrolled: 1-line block ×6, first 2 shown]
	s_and_saveexec_b32 s8, vcc_lo
	s_cbranch_execz .LBB313_423
; %bb.422:                              ;   in Loop: Header=BB313_360 Depth=1
	v_cmp_gt_i32_e64 s0, s33, v26
	v_lshrrev_b32_e32 v44, 16, v43
	v_lshrrev_b32_e32 v45, 16, v16
	;; [unrolled: 1-line block ×4, first 2 shown]
	v_cndmask_b32_e64 v43, 0, v43, s0
	v_cmp_gt_i32_e64 s0, s6, v33
	s_delay_alu instid0(VALU_DEP_1) | instskip(SKIP_1) | instid1(VALU_DEP_2)
	v_cndmask_b32_e64 v44, 0, v44, s0
	v_cmp_gt_i32_e64 s0, s6, v32
	v_perm_b32 v43, v44, v43, 0x5040100
	s_delay_alu instid0(VALU_DEP_2) | instskip(SKIP_1) | instid1(VALU_DEP_1)
	v_cndmask_b32_e64 v45, 0, v45, s0
	v_cmp_gt_i32_e64 s0, s33, v31
	v_cndmask_b32_e64 v16, 0, v16, s0
	v_cmp_gt_i32_e64 s0, s6, v30
	s_delay_alu instid0(VALU_DEP_2) | instskip(NEXT) | instid1(VALU_DEP_2)
	v_perm_b32 v16, v45, v16, 0x5040100
	v_cndmask_b32_e64 v46, 0, v46, s0
	v_cmp_gt_i32_e64 s0, s33, v29
	s_delay_alu instid0(VALU_DEP_1) | instskip(SKIP_1) | instid1(VALU_DEP_2)
	v_cndmask_b32_e64 v11, 0, v11, s0
	v_cmp_gt_i32_e64 s0, s6, v28
	v_perm_b32 v11, v46, v11, 0x5040100
	s_delay_alu instid0(VALU_DEP_2) | instskip(SKIP_1) | instid1(VALU_DEP_1)
	v_cndmask_b32_e64 v15, 0, v15, s0
	v_cmp_gt_i32_e64 s0, s33, v27
	v_cndmask_b32_e64 v42, 0, v42, s0
	s_delay_alu instid0(VALU_DEP_1)
	v_perm_b32 v15, v15, v42, 0x5040100
.LBB313_423:                            ;   in Loop: Header=BB313_360 Depth=1
	s_or_b32 exec_lo, exec_lo, s8
	v_and_b32_e32 v34, 0xffff, v34
	v_and_b32_e32 v42, 0xffff, v37
	;; [unrolled: 1-line block ×4, first 2 shown]
	s_mov_b32 s8, exec_lo
	v_lshl_or_b32 v37, v35, 16, v34
	v_lshl_or_b32 v36, v36, 16, v42
	v_mov_b32_e32 v42, 0
	v_lshl_or_b32 v35, v38, 16, v40
	;;#ASMSTART
	v_pk_mul_f16 v38, v37, v43;

	;;#ASMEND
	;;#ASMSTART
	v_pk_mul_f16 v16, v36, v16;

	;;#ASMEND
	;; [unrolled: 4-line block ×3, first 2 shown]
	v_lshl_or_b32 v34, v39, 16, v41
	;;#ASMSTART
	v_pk_mul_f16 v15, v34, v15;

	;;#ASMEND
	;;#ASMSTART
	v_pk_add_f16 v16, v38, v16;

	;;#ASMEND
	;;#ASMSTART
	v_pk_add_f16 v11, v16, v11;
	;; [unrolled: 4-line block ×3, first 2 shown]

	;;#ASMEND
	v_and_b32_e32 v15, 0xffff, v11
	v_lshrrev_b32_e32 v11, 16, v11
	;;#ASMSTART
	v_cvt_f32_f16 v38, v15;
	;;#ASMEND
	;;#ASMSTART
	v_cvt_f32_f16 v39, v11;
	;;#ASMEND
	global_load_b64 v[15:16], v[13:14], off offset:256
	global_load_b32 v40, v12, s[10:11]
	v_mov_b32_e32 v41, 0
	s_waitcnt vmcnt(1)
	v_and_b32_e32 v11, 0xff, v15
	s_delay_alu instid0(VALU_DEP_1)
	v_cmpx_ne_u16_e32 0, v11
	s_cbranch_execz .LBB313_429
; %bb.424:                              ;   in Loop: Header=BB313_360 Depth=1
	v_bfrev_b32_e32 v41, 1
	s_mov_b32 s15, exec_lo
	v_cmpx_ne_u16_e32 0x80, v11
	s_cbranch_execz .LBB313_428
; %bb.425:                              ;   in Loop: Header=BB313_360 Depth=1
	v_and_b32_e32 v11, 0x7f, v15
	v_mov_b32_e32 v41, 0x7fc02000
	s_mov_b32 s17, exec_lo
	s_delay_alu instid0(VALU_DEP_2)
	v_cmpx_ne_u32_e32 0x7f, v11
	s_cbranch_execz .LBB313_427
; %bb.426:                              ;   in Loop: Header=BB313_360 Depth=1
	v_and_b32_e32 v41, 7, v15
	v_cmp_gt_u32_e64 s0, 8, v11
	v_lshrrev_b32_e32 v43, 3, v11
	s_delay_alu instid0(VALU_DEP_3) | instskip(NEXT) | instid1(VALU_DEP_1)
	v_clz_i32_u32_e32 v41, v41
	v_min_u32_e32 v41, 32, v41
	s_delay_alu instid0(VALU_DEP_1) | instskip(SKIP_1) | instid1(VALU_DEP_2)
	v_subrev_nc_u32_e32 v44, 28, v41
	v_sub_nc_u32_e32 v41, 29, v41
	v_cndmask_b32_e64 v11, 0, v44, s0
	s_delay_alu instid0(VALU_DEP_2) | instskip(NEXT) | instid1(VALU_DEP_2)
	v_cndmask_b32_e64 v41, v43, v41, s0
	v_lshlrev_b64 v[43:44], v11, v[15:16]
	v_lshlrev_b32_e32 v11, 8, v15
	s_delay_alu instid0(VALU_DEP_3) | instskip(NEXT) | instid1(VALU_DEP_3)
	v_lshl_add_u32 v41, v41, 10, 0x2000
	v_lshlrev_b32_e32 v43, 7, v43
	s_delay_alu instid0(VALU_DEP_2) | instskip(NEXT) | instid1(VALU_DEP_1)
	v_and_or_b32 v11, 0x8000, v11, v41
	v_and_or_b32 v11, 0x380, v43, v11
	s_delay_alu instid0(VALU_DEP_1)
	v_cvt_f32_f16_e32 v41, v11
.LBB313_427:                            ;   in Loop: Header=BB313_360 Depth=1
	s_or_b32 exec_lo, exec_lo, s17
.LBB313_428:                            ;   in Loop: Header=BB313_360 Depth=1
	s_delay_alu instid0(SALU_CYCLE_1)
	s_or_b32 exec_lo, exec_lo, s15
.LBB313_429:                            ;   in Loop: Header=BB313_360 Depth=1
	s_delay_alu instid0(SALU_CYCLE_1) | instskip(SKIP_2) | instid1(VALU_DEP_1)
	s_or_b32 exec_lo, exec_lo, s8
	v_lshrrev_b16 v11, 8, v15
	s_mov_b32 s8, exec_lo
	v_cmpx_ne_u16_e32 0, v11
	s_cbranch_execz .LBB313_437
; %bb.430:                              ;   in Loop: Header=BB313_360 Depth=1
	v_bfrev_b32_e32 v42, 1
	s_mov_b32 s15, exec_lo
	v_cmpx_ne_u16_e32 0x80, v11
	s_cbranch_execz .LBB313_436
; %bb.431:                              ;   in Loop: Header=BB313_360 Depth=1
	v_and_b32_e32 v43, 0xffff, v11
	v_mov_b32_e32 v42, 0x7fc02000
	s_mov_b32 s17, exec_lo
	s_delay_alu instid0(VALU_DEP_2) | instskip(NEXT) | instid1(VALU_DEP_1)
	v_and_b32_e32 v44, 0x7f, v43
	v_cmpx_ne_u32_e32 0x7f, v44
	s_cbranch_execz .LBB313_435
; %bb.432:                              ;   in Loop: Header=BB313_360 Depth=1
	v_and_b32_e32 v11, 7, v43
	v_lshrrev_b32_e32 v42, 3, v44
	s_mov_b32 s18, exec_lo
	v_cmpx_gt_u32_e32 8, v44
; %bb.433:                              ;   in Loop: Header=BB313_360 Depth=1
	s_delay_alu instid0(VALU_DEP_3) | instskip(NEXT) | instid1(VALU_DEP_1)
	v_clz_i32_u32_e32 v42, v11
	v_min_u32_e32 v42, 32, v42
	s_delay_alu instid0(VALU_DEP_1) | instskip(SKIP_1) | instid1(VALU_DEP_2)
	v_subrev_nc_u32_e32 v44, 28, v42
	v_sub_nc_u32_e32 v42, 29, v42
	v_lshlrev_b64 v[44:45], v44, v[11:12]
	s_delay_alu instid0(VALU_DEP_1)
	v_and_b32_e32 v11, 7, v44
; %bb.434:                              ;   in Loop: Header=BB313_360 Depth=1
	s_or_b32 exec_lo, exec_lo, s18
	v_lshlrev_b32_e32 v43, 8, v43
	v_lshl_add_u32 v42, v42, 10, 0x2000
	s_delay_alu instid0(VALU_DEP_1) | instskip(NEXT) | instid1(VALU_DEP_1)
	v_and_or_b32 v42, 0x8000, v43, v42
	v_lshl_or_b32 v11, v11, 7, v42
	s_delay_alu instid0(VALU_DEP_1)
	v_cvt_f32_f16_e32 v42, v11
.LBB313_435:                            ;   in Loop: Header=BB313_360 Depth=1
	s_or_b32 exec_lo, exec_lo, s17
.LBB313_436:                            ;   in Loop: Header=BB313_360 Depth=1
	s_delay_alu instid0(SALU_CYCLE_1)
	s_or_b32 exec_lo, exec_lo, s15
.LBB313_437:                            ;   in Loop: Header=BB313_360 Depth=1
	s_delay_alu instid0(SALU_CYCLE_1) | instskip(SKIP_3) | instid1(VALU_DEP_2)
	s_or_b32 exec_lo, exec_lo, s8
	v_lshrrev_b32_e32 v45, 16, v15
	v_mov_b32_e32 v43, 0
	s_mov_b32 s8, exec_lo
	v_dual_mov_b32 v44, 0 :: v_dual_and_b32 v11, 0xff, v45
	s_delay_alu instid0(VALU_DEP_1)
	v_cmpx_ne_u16_e32 0, v11
	s_cbranch_execz .LBB313_445
; %bb.438:                              ;   in Loop: Header=BB313_360 Depth=1
	v_bfrev_b32_e32 v43, 1
	s_mov_b32 s15, exec_lo
	v_cmpx_ne_u16_e32 0x80, v11
	s_cbranch_execz .LBB313_444
; %bb.439:                              ;   in Loop: Header=BB313_360 Depth=1
	v_bfe_u32 v46, v15, 16, 7
	v_mov_b32_e32 v43, 0x7fc02000
	s_mov_b32 s17, exec_lo
	s_delay_alu instid0(VALU_DEP_2)
	v_cmpx_ne_u32_e32 0x7f, v46
	s_cbranch_execz .LBB313_443
; %bb.440:                              ;   in Loop: Header=BB313_360 Depth=1
	v_and_b32_e32 v11, 7, v45
	v_lshrrev_b32_e32 v43, 3, v46
	s_mov_b32 s18, exec_lo
	v_cmpx_gt_u32_e32 8, v46
; %bb.441:                              ;   in Loop: Header=BB313_360 Depth=1
	s_delay_alu instid0(VALU_DEP_3) | instskip(NEXT) | instid1(VALU_DEP_1)
	v_clz_i32_u32_e32 v43, v11
	v_min_u32_e32 v43, 32, v43
	s_delay_alu instid0(VALU_DEP_1) | instskip(SKIP_1) | instid1(VALU_DEP_2)
	v_subrev_nc_u32_e32 v46, 28, v43
	v_sub_nc_u32_e32 v43, 29, v43
	v_lshlrev_b64 v[46:47], v46, v[11:12]
	s_delay_alu instid0(VALU_DEP_1)
	v_and_b32_e32 v11, 7, v46
; %bb.442:                              ;   in Loop: Header=BB313_360 Depth=1
	s_or_b32 exec_lo, exec_lo, s18
	v_lshlrev_b32_e32 v45, 8, v45
	v_lshl_add_u32 v43, v43, 10, 0x2000
	s_delay_alu instid0(VALU_DEP_1) | instskip(NEXT) | instid1(VALU_DEP_1)
	v_and_or_b32 v43, 0x8000, v45, v43
	v_lshl_or_b32 v11, v11, 7, v43
	s_delay_alu instid0(VALU_DEP_1)
	v_cvt_f32_f16_e32 v43, v11
.LBB313_443:                            ;   in Loop: Header=BB313_360 Depth=1
	s_or_b32 exec_lo, exec_lo, s17
.LBB313_444:                            ;   in Loop: Header=BB313_360 Depth=1
	s_delay_alu instid0(SALU_CYCLE_1)
	s_or_b32 exec_lo, exec_lo, s15
.LBB313_445:                            ;   in Loop: Header=BB313_360 Depth=1
	s_delay_alu instid0(SALU_CYCLE_1) | instskip(NEXT) | instid1(SALU_CYCLE_1)
	s_or_b32 exec_lo, exec_lo, s8
	s_mov_b32 s8, exec_lo
	v_cmpx_lt_u32_e32 0xffffff, v15
	s_cbranch_execz .LBB313_453
; %bb.446:                              ;   in Loop: Header=BB313_360 Depth=1
	v_lshrrev_b32_e32 v45, 24, v15
	v_bfrev_b32_e32 v44, 1
	s_mov_b32 s15, exec_lo
	s_delay_alu instid0(VALU_DEP_2)
	v_cmpx_ne_u32_e32 0x80, v45
	s_cbranch_execz .LBB313_452
; %bb.447:                              ;   in Loop: Header=BB313_360 Depth=1
	v_and_b32_e32 v46, 0x7f, v45
	v_mov_b32_e32 v44, 0x7fc02000
	s_mov_b32 s17, exec_lo
	s_delay_alu instid0(VALU_DEP_2)
	v_cmpx_ne_u32_e32 0x7f, v46
	s_cbranch_execz .LBB313_451
; %bb.448:                              ;   in Loop: Header=BB313_360 Depth=1
	v_and_b32_e32 v11, 7, v45
	v_lshrrev_b32_e32 v44, 3, v46
	s_mov_b32 s18, exec_lo
	v_cmpx_gt_u32_e32 8, v46
; %bb.449:                              ;   in Loop: Header=BB313_360 Depth=1
	s_delay_alu instid0(VALU_DEP_3) | instskip(NEXT) | instid1(VALU_DEP_1)
	v_clz_i32_u32_e32 v44, v11
	v_min_u32_e32 v44, 32, v44
	s_delay_alu instid0(VALU_DEP_1) | instskip(SKIP_1) | instid1(VALU_DEP_2)
	v_subrev_nc_u32_e32 v46, 28, v44
	v_sub_nc_u32_e32 v44, 29, v44
	v_lshlrev_b64 v[46:47], v46, v[11:12]
	s_delay_alu instid0(VALU_DEP_1)
	v_and_b32_e32 v11, 7, v46
; %bb.450:                              ;   in Loop: Header=BB313_360 Depth=1
	s_or_b32 exec_lo, exec_lo, s18
	v_lshlrev_b32_e32 v45, 8, v45
	v_lshl_add_u32 v44, v44, 10, 0x2000
	s_delay_alu instid0(VALU_DEP_1) | instskip(NEXT) | instid1(VALU_DEP_1)
	v_and_or_b32 v44, 0x8000, v45, v44
	v_lshl_or_b32 v11, v11, 7, v44
	s_delay_alu instid0(VALU_DEP_1)
	v_cvt_f32_f16_e32 v44, v11
.LBB313_451:                            ;   in Loop: Header=BB313_360 Depth=1
	s_or_b32 exec_lo, exec_lo, s17
.LBB313_452:                            ;   in Loop: Header=BB313_360 Depth=1
	s_delay_alu instid0(SALU_CYCLE_1)
	s_or_b32 exec_lo, exec_lo, s15
.LBB313_453:                            ;   in Loop: Header=BB313_360 Depth=1
	s_delay_alu instid0(SALU_CYCLE_1) | instskip(SKIP_4) | instid1(VALU_DEP_3)
	s_or_b32 exec_lo, exec_lo, s8
	v_dual_mov_b32 v46, 0 :: v_dual_and_b32 v47, 0xff, v16
	v_mov_b32_e32 v11, v16
	v_mov_b32_e32 v45, 0
	s_mov_b32 s8, exec_lo
	v_cmpx_ne_u16_e32 0, v47
	s_cbranch_execz .LBB313_459
; %bb.454:                              ;   in Loop: Header=BB313_360 Depth=1
	v_bfrev_b32_e32 v45, 1
	s_mov_b32 s15, exec_lo
	v_cmpx_ne_u16_e32 0x80, v47
	s_cbranch_execz .LBB313_458
; %bb.455:                              ;   in Loop: Header=BB313_360 Depth=1
	v_and_b32_e32 v47, 0x7f, v16
	v_mov_b32_e32 v45, 0x7fc02000
	s_mov_b32 s17, exec_lo
	s_delay_alu instid0(VALU_DEP_2)
	v_cmpx_ne_u32_e32 0x7f, v47
	s_cbranch_execz .LBB313_457
; %bb.456:                              ;   in Loop: Header=BB313_360 Depth=1
	v_and_b32_e32 v45, 7, v16
	v_cmp_gt_u32_e64 s0, 8, v47
	v_lshrrev_b32_e32 v48, 3, v47
	s_delay_alu instid0(VALU_DEP_3) | instskip(NEXT) | instid1(VALU_DEP_1)
	v_clz_i32_u32_e32 v45, v45
	v_min_u32_e32 v45, 32, v45
	s_delay_alu instid0(VALU_DEP_1) | instskip(SKIP_1) | instid1(VALU_DEP_2)
	v_subrev_nc_u32_e32 v49, 28, v45
	v_sub_nc_u32_e32 v45, 29, v45
	v_cndmask_b32_e64 v47, 0, v49, s0
	s_delay_alu instid0(VALU_DEP_2) | instskip(NEXT) | instid1(VALU_DEP_2)
	v_cndmask_b32_e64 v45, v48, v45, s0
	v_lshlrev_b64 v[47:48], v47, v[11:12]
	v_lshlrev_b32_e32 v48, 8, v16
	s_delay_alu instid0(VALU_DEP_3) | instskip(NEXT) | instid1(VALU_DEP_3)
	v_lshl_add_u32 v45, v45, 10, 0x2000
	v_lshlrev_b32_e32 v47, 7, v47
	s_delay_alu instid0(VALU_DEP_2) | instskip(NEXT) | instid1(VALU_DEP_1)
	v_and_or_b32 v45, 0x8000, v48, v45
	v_and_or_b32 v45, 0x380, v47, v45
	s_delay_alu instid0(VALU_DEP_1)
	v_cvt_f32_f16_e32 v45, v45
.LBB313_457:                            ;   in Loop: Header=BB313_360 Depth=1
	s_or_b32 exec_lo, exec_lo, s17
.LBB313_458:                            ;   in Loop: Header=BB313_360 Depth=1
	s_delay_alu instid0(SALU_CYCLE_1)
	s_or_b32 exec_lo, exec_lo, s15
.LBB313_459:                            ;   in Loop: Header=BB313_360 Depth=1
	s_delay_alu instid0(SALU_CYCLE_1) | instskip(SKIP_2) | instid1(VALU_DEP_1)
	s_or_b32 exec_lo, exec_lo, s8
	v_lshrrev_b16 v11, 8, v11
	s_mov_b32 s8, exec_lo
	v_cmpx_ne_u16_e32 0, v11
	s_cbranch_execz .LBB313_467
; %bb.460:                              ;   in Loop: Header=BB313_360 Depth=1
	v_bfrev_b32_e32 v46, 1
	s_mov_b32 s15, exec_lo
	v_cmpx_ne_u16_e32 0x80, v11
	s_cbranch_execz .LBB313_466
; %bb.461:                              ;   in Loop: Header=BB313_360 Depth=1
	v_and_b32_e32 v47, 0xffff, v11
	v_mov_b32_e32 v46, 0x7fc02000
	s_mov_b32 s17, exec_lo
	s_delay_alu instid0(VALU_DEP_2) | instskip(NEXT) | instid1(VALU_DEP_1)
	v_and_b32_e32 v48, 0x7f, v47
	v_cmpx_ne_u32_e32 0x7f, v48
	s_cbranch_execz .LBB313_465
; %bb.462:                              ;   in Loop: Header=BB313_360 Depth=1
	v_and_b32_e32 v11, 7, v47
	v_lshrrev_b32_e32 v46, 3, v48
	s_mov_b32 s18, exec_lo
	v_cmpx_gt_u32_e32 8, v48
; %bb.463:                              ;   in Loop: Header=BB313_360 Depth=1
	s_delay_alu instid0(VALU_DEP_3) | instskip(NEXT) | instid1(VALU_DEP_1)
	v_clz_i32_u32_e32 v46, v11
	v_min_u32_e32 v46, 32, v46
	s_delay_alu instid0(VALU_DEP_1) | instskip(SKIP_1) | instid1(VALU_DEP_2)
	v_subrev_nc_u32_e32 v48, 28, v46
	v_sub_nc_u32_e32 v46, 29, v46
	v_lshlrev_b64 v[48:49], v48, v[11:12]
	s_delay_alu instid0(VALU_DEP_1)
	v_and_b32_e32 v11, 7, v48
; %bb.464:                              ;   in Loop: Header=BB313_360 Depth=1
	s_or_b32 exec_lo, exec_lo, s18
	v_lshlrev_b32_e32 v47, 8, v47
	v_lshl_add_u32 v46, v46, 10, 0x2000
	s_delay_alu instid0(VALU_DEP_1) | instskip(NEXT) | instid1(VALU_DEP_1)
	v_and_or_b32 v46, 0x8000, v47, v46
	v_lshl_or_b32 v11, v11, 7, v46
	s_delay_alu instid0(VALU_DEP_1)
	v_cvt_f32_f16_e32 v46, v11
.LBB313_465:                            ;   in Loop: Header=BB313_360 Depth=1
	s_or_b32 exec_lo, exec_lo, s17
.LBB313_466:                            ;   in Loop: Header=BB313_360 Depth=1
	s_delay_alu instid0(SALU_CYCLE_1)
	s_or_b32 exec_lo, exec_lo, s15
.LBB313_467:                            ;   in Loop: Header=BB313_360 Depth=1
	s_delay_alu instid0(SALU_CYCLE_1) | instskip(SKIP_3) | instid1(VALU_DEP_2)
	s_or_b32 exec_lo, exec_lo, s8
	v_lshrrev_b32_e32 v49, 16, v16
	v_mov_b32_e32 v47, 0
	s_mov_b32 s8, exec_lo
	v_dual_mov_b32 v48, 0 :: v_dual_and_b32 v11, 0xff, v49
	s_delay_alu instid0(VALU_DEP_1)
	v_cmpx_ne_u16_e32 0, v11
	s_cbranch_execz .LBB313_475
; %bb.468:                              ;   in Loop: Header=BB313_360 Depth=1
	v_bfrev_b32_e32 v47, 1
	s_mov_b32 s15, exec_lo
	v_cmpx_ne_u16_e32 0x80, v11
	s_cbranch_execz .LBB313_474
; %bb.469:                              ;   in Loop: Header=BB313_360 Depth=1
	v_bfe_u32 v50, v16, 16, 7
	v_mov_b32_e32 v47, 0x7fc02000
	s_mov_b32 s17, exec_lo
	s_delay_alu instid0(VALU_DEP_2)
	v_cmpx_ne_u32_e32 0x7f, v50
	s_cbranch_execz .LBB313_473
; %bb.470:                              ;   in Loop: Header=BB313_360 Depth=1
	v_and_b32_e32 v11, 7, v49
	v_lshrrev_b32_e32 v47, 3, v50
	s_mov_b32 s18, exec_lo
	v_cmpx_gt_u32_e32 8, v50
; %bb.471:                              ;   in Loop: Header=BB313_360 Depth=1
	s_delay_alu instid0(VALU_DEP_3) | instskip(NEXT) | instid1(VALU_DEP_1)
	v_clz_i32_u32_e32 v47, v11
	v_min_u32_e32 v47, 32, v47
	s_delay_alu instid0(VALU_DEP_1) | instskip(SKIP_1) | instid1(VALU_DEP_2)
	v_subrev_nc_u32_e32 v50, 28, v47
	v_sub_nc_u32_e32 v47, 29, v47
	v_lshlrev_b64 v[50:51], v50, v[11:12]
	s_delay_alu instid0(VALU_DEP_1)
	v_and_b32_e32 v11, 7, v50
; %bb.472:                              ;   in Loop: Header=BB313_360 Depth=1
	s_or_b32 exec_lo, exec_lo, s18
	v_lshlrev_b32_e32 v49, 8, v49
	v_lshl_add_u32 v47, v47, 10, 0x2000
	s_delay_alu instid0(VALU_DEP_1) | instskip(NEXT) | instid1(VALU_DEP_1)
	v_and_or_b32 v47, 0x8000, v49, v47
	v_lshl_or_b32 v11, v11, 7, v47
	s_delay_alu instid0(VALU_DEP_1)
	v_cvt_f32_f16_e32 v47, v11
.LBB313_473:                            ;   in Loop: Header=BB313_360 Depth=1
	s_or_b32 exec_lo, exec_lo, s17
.LBB313_474:                            ;   in Loop: Header=BB313_360 Depth=1
	s_delay_alu instid0(SALU_CYCLE_1)
	s_or_b32 exec_lo, exec_lo, s15
.LBB313_475:                            ;   in Loop: Header=BB313_360 Depth=1
	s_delay_alu instid0(SALU_CYCLE_1) | instskip(NEXT) | instid1(SALU_CYCLE_1)
	s_or_b32 exec_lo, exec_lo, s8
	s_mov_b32 s8, exec_lo
	v_cmpx_lt_u64_e64 s[2:3], v[15:16]
	s_cbranch_execz .LBB313_483
; %bb.476:                              ;   in Loop: Header=BB313_360 Depth=1
	v_lshrrev_b32_e32 v15, 24, v16
	v_bfrev_b32_e32 v48, 1
	s_mov_b32 s15, exec_lo
	s_delay_alu instid0(VALU_DEP_2)
	v_cmpx_ne_u32_e32 0x80, v15
	s_cbranch_execz .LBB313_482
; %bb.477:                              ;   in Loop: Header=BB313_360 Depth=1
	v_and_b32_e32 v49, 0x7f, v15
	v_mov_b32_e32 v48, 0x7fc02000
	s_mov_b32 s17, exec_lo
	s_delay_alu instid0(VALU_DEP_2)
	v_cmpx_ne_u32_e32 0x7f, v49
	s_cbranch_execz .LBB313_481
; %bb.478:                              ;   in Loop: Header=BB313_360 Depth=1
	v_and_b32_e32 v11, 7, v15
	v_lshrrev_b32_e32 v16, 3, v49
	s_mov_b32 s18, exec_lo
	v_cmpx_gt_u32_e32 8, v49
; %bb.479:                              ;   in Loop: Header=BB313_360 Depth=1
	s_delay_alu instid0(VALU_DEP_3) | instskip(NEXT) | instid1(VALU_DEP_1)
	v_clz_i32_u32_e32 v16, v11
	v_min_u32_e32 v16, 32, v16
	s_delay_alu instid0(VALU_DEP_1) | instskip(SKIP_1) | instid1(VALU_DEP_2)
	v_subrev_nc_u32_e32 v48, 28, v16
	v_sub_nc_u32_e32 v16, 29, v16
	v_lshlrev_b64 v[48:49], v48, v[11:12]
	s_delay_alu instid0(VALU_DEP_1)
	v_and_b32_e32 v11, 7, v48
; %bb.480:                              ;   in Loop: Header=BB313_360 Depth=1
	s_or_b32 exec_lo, exec_lo, s18
	v_lshlrev_b32_e32 v15, 8, v15
	v_lshl_add_u32 v16, v16, 10, 0x2000
	s_delay_alu instid0(VALU_DEP_1) | instskip(NEXT) | instid1(VALU_DEP_1)
	v_and_or_b32 v15, 0x8000, v15, v16
	v_lshl_or_b32 v11, v11, 7, v15
	s_delay_alu instid0(VALU_DEP_1)
	v_cvt_f32_f16_e32 v48, v11
.LBB313_481:                            ;   in Loop: Header=BB313_360 Depth=1
	s_or_b32 exec_lo, exec_lo, s17
.LBB313_482:                            ;   in Loop: Header=BB313_360 Depth=1
	s_delay_alu instid0(SALU_CYCLE_1)
	s_or_b32 exec_lo, exec_lo, s15
.LBB313_483:                            ;   in Loop: Header=BB313_360 Depth=1
	s_delay_alu instid0(SALU_CYCLE_1)
	s_or_b32 exec_lo, exec_lo, s8
	s_waitcnt vmcnt(0)
	v_fma_mixlo_f16 v16, v40, v42, 0
	v_fma_mixlo_f16 v11, v40, v44, 0
	;; [unrolled: 1-line block ×5, first 2 shown]
	v_lshlrev_b32_e32 v42, 16, v16
	v_fma_mixlo_f16 v44, v40, v45, 0
	v_fma_mixlo_f16 v45, v40, v48, 0
	;; [unrolled: 1-line block ×3, first 2 shown]
	v_lshlrev_b32_e32 v11, 16, v11
	v_and_b32_e32 v15, 0xffff, v15
	v_and_b32_e32 v41, 0xffff, v41
	v_lshlrev_b32_e32 v43, 16, v43
	v_and_b32_e32 v44, 0xffff, v44
	v_lshlrev_b32_e32 v45, 16, v45
	v_and_b32_e32 v46, 0xffff, v16
	v_or_b32_e32 v40, v11, v15
	v_or_b32_e32 v41, v42, v41
	;; [unrolled: 1-line block ×3, first 2 shown]
	s_delay_alu instid0(VALU_DEP_4)
	v_or_b32_e32 v15, v45, v46
	s_and_saveexec_b32 s8, vcc_lo
	s_cbranch_execz .LBB313_485
; %bb.484:                              ;   in Loop: Header=BB313_360 Depth=1
	v_cmp_gt_i32_e64 s0, s33, v26
	v_lshrrev_b32_e32 v42, 16, v41
	v_lshrrev_b32_e32 v43, 16, v40
	;; [unrolled: 1-line block ×4, first 2 shown]
	v_cndmask_b32_e64 v41, 0, v41, s0
	v_cmp_gt_i32_e64 s0, s6, v33
	s_delay_alu instid0(VALU_DEP_1) | instskip(SKIP_1) | instid1(VALU_DEP_2)
	v_cndmask_b32_e64 v42, 0, v42, s0
	v_cmp_gt_i32_e64 s0, s6, v32
	v_perm_b32 v41, v42, v41, 0x5040100
	s_delay_alu instid0(VALU_DEP_2) | instskip(SKIP_1) | instid1(VALU_DEP_1)
	v_cndmask_b32_e64 v43, 0, v43, s0
	v_cmp_gt_i32_e64 s0, s33, v31
	v_cndmask_b32_e64 v40, 0, v40, s0
	v_cmp_gt_i32_e64 s0, s6, v30
	s_delay_alu instid0(VALU_DEP_2) | instskip(NEXT) | instid1(VALU_DEP_2)
	v_perm_b32 v40, v43, v40, 0x5040100
	v_cndmask_b32_e64 v44, 0, v44, s0
	v_cmp_gt_i32_e64 s0, s33, v29
	s_delay_alu instid0(VALU_DEP_1) | instskip(SKIP_1) | instid1(VALU_DEP_2)
	v_cndmask_b32_e64 v11, 0, v11, s0
	v_cmp_gt_i32_e64 s0, s6, v28
	v_perm_b32 v11, v44, v11, 0x5040100
	s_delay_alu instid0(VALU_DEP_2) | instskip(SKIP_1) | instid1(VALU_DEP_1)
	v_cndmask_b32_e64 v15, 0, v15, s0
	v_cmp_gt_i32_e64 s0, s33, v27
	v_cndmask_b32_e64 v16, 0, v16, s0
	s_delay_alu instid0(VALU_DEP_1)
	v_perm_b32 v15, v15, v16, 0x5040100
.LBB313_485:                            ;   in Loop: Header=BB313_360 Depth=1
	s_or_b32 exec_lo, exec_lo, s8
	;;#ASMSTART
	v_pk_mul_f16 v16, v37, v41;

	;;#ASMEND
	;;#ASMSTART
	v_pk_mul_f16 v40, v36, v40;

	;;#ASMEND
	;;#ASMSTART
	v_pk_mul_f16 v11, v35, v11;

	;;#ASMEND
	;;#ASMSTART
	v_pk_mul_f16 v15, v34, v15;

	;;#ASMEND
	;;#ASMSTART
	v_pk_add_f16 v16, v16, v40;

	;;#ASMEND
	;;#ASMSTART
	v_pk_add_f16 v11, v16, v11;

	;;#ASMEND
	;; [unrolled: 4-line block ×3, first 2 shown]
	v_dual_mov_b32 v44, 0 :: v_dual_and_b32 v15, 0xffff, v11
	v_lshrrev_b32_e32 v11, 16, v11
	;;#ASMSTART
	v_cvt_f32_f16 v40, v15;
	;;#ASMEND
	;;#ASMSTART
	v_cvt_f32_f16 v41, v11;
	;;#ASMEND
	global_load_b64 v[15:16], v[13:14], off offset:512
	global_load_b32 v42, v12, s[10:11]
	v_mov_b32_e32 v43, 0
	s_mov_b32 s8, exec_lo
	s_waitcnt vmcnt(1)
	v_and_b32_e32 v11, 0xff, v15
	s_delay_alu instid0(VALU_DEP_1)
	v_cmpx_ne_u16_e32 0, v11
	s_cbranch_execz .LBB313_491
; %bb.486:                              ;   in Loop: Header=BB313_360 Depth=1
	v_bfrev_b32_e32 v43, 1
	s_mov_b32 s15, exec_lo
	v_cmpx_ne_u16_e32 0x80, v11
	s_cbranch_execz .LBB313_490
; %bb.487:                              ;   in Loop: Header=BB313_360 Depth=1
	v_and_b32_e32 v11, 0x7f, v15
	v_mov_b32_e32 v43, 0x7fc02000
	s_mov_b32 s17, exec_lo
	s_delay_alu instid0(VALU_DEP_2)
	v_cmpx_ne_u32_e32 0x7f, v11
	s_cbranch_execz .LBB313_489
; %bb.488:                              ;   in Loop: Header=BB313_360 Depth=1
	v_and_b32_e32 v43, 7, v15
	v_cmp_gt_u32_e64 s0, 8, v11
	v_lshrrev_b32_e32 v45, 3, v11
	s_delay_alu instid0(VALU_DEP_3) | instskip(NEXT) | instid1(VALU_DEP_1)
	v_clz_i32_u32_e32 v43, v43
	v_min_u32_e32 v43, 32, v43
	s_delay_alu instid0(VALU_DEP_1) | instskip(SKIP_1) | instid1(VALU_DEP_2)
	v_subrev_nc_u32_e32 v46, 28, v43
	v_sub_nc_u32_e32 v43, 29, v43
	v_cndmask_b32_e64 v11, 0, v46, s0
	s_delay_alu instid0(VALU_DEP_2) | instskip(NEXT) | instid1(VALU_DEP_2)
	v_cndmask_b32_e64 v43, v45, v43, s0
	v_lshlrev_b64 v[45:46], v11, v[15:16]
	v_lshlrev_b32_e32 v11, 8, v15
	s_delay_alu instid0(VALU_DEP_3) | instskip(NEXT) | instid1(VALU_DEP_3)
	v_lshl_add_u32 v43, v43, 10, 0x2000
	v_lshlrev_b32_e32 v45, 7, v45
	s_delay_alu instid0(VALU_DEP_2) | instskip(NEXT) | instid1(VALU_DEP_1)
	v_and_or_b32 v11, 0x8000, v11, v43
	v_and_or_b32 v11, 0x380, v45, v11
	s_delay_alu instid0(VALU_DEP_1)
	v_cvt_f32_f16_e32 v43, v11
.LBB313_489:                            ;   in Loop: Header=BB313_360 Depth=1
	s_or_b32 exec_lo, exec_lo, s17
.LBB313_490:                            ;   in Loop: Header=BB313_360 Depth=1
	s_delay_alu instid0(SALU_CYCLE_1)
	s_or_b32 exec_lo, exec_lo, s15
.LBB313_491:                            ;   in Loop: Header=BB313_360 Depth=1
	s_delay_alu instid0(SALU_CYCLE_1) | instskip(SKIP_2) | instid1(VALU_DEP_1)
	s_or_b32 exec_lo, exec_lo, s8
	v_lshrrev_b16 v11, 8, v15
	s_mov_b32 s8, exec_lo
	v_cmpx_ne_u16_e32 0, v11
	s_cbranch_execz .LBB313_499
; %bb.492:                              ;   in Loop: Header=BB313_360 Depth=1
	v_bfrev_b32_e32 v44, 1
	s_mov_b32 s15, exec_lo
	v_cmpx_ne_u16_e32 0x80, v11
	s_cbranch_execz .LBB313_498
; %bb.493:                              ;   in Loop: Header=BB313_360 Depth=1
	v_and_b32_e32 v45, 0xffff, v11
	v_mov_b32_e32 v44, 0x7fc02000
	s_mov_b32 s17, exec_lo
	s_delay_alu instid0(VALU_DEP_2) | instskip(NEXT) | instid1(VALU_DEP_1)
	v_and_b32_e32 v46, 0x7f, v45
	v_cmpx_ne_u32_e32 0x7f, v46
	s_cbranch_execz .LBB313_497
; %bb.494:                              ;   in Loop: Header=BB313_360 Depth=1
	v_and_b32_e32 v11, 7, v45
	v_lshrrev_b32_e32 v44, 3, v46
	s_mov_b32 s18, exec_lo
	v_cmpx_gt_u32_e32 8, v46
; %bb.495:                              ;   in Loop: Header=BB313_360 Depth=1
	s_delay_alu instid0(VALU_DEP_3) | instskip(NEXT) | instid1(VALU_DEP_1)
	v_clz_i32_u32_e32 v44, v11
	v_min_u32_e32 v44, 32, v44
	s_delay_alu instid0(VALU_DEP_1) | instskip(SKIP_1) | instid1(VALU_DEP_2)
	v_subrev_nc_u32_e32 v46, 28, v44
	v_sub_nc_u32_e32 v44, 29, v44
	v_lshlrev_b64 v[46:47], v46, v[11:12]
	s_delay_alu instid0(VALU_DEP_1)
	v_and_b32_e32 v11, 7, v46
; %bb.496:                              ;   in Loop: Header=BB313_360 Depth=1
	s_or_b32 exec_lo, exec_lo, s18
	v_lshlrev_b32_e32 v45, 8, v45
	v_lshl_add_u32 v44, v44, 10, 0x2000
	s_delay_alu instid0(VALU_DEP_1) | instskip(NEXT) | instid1(VALU_DEP_1)
	v_and_or_b32 v44, 0x8000, v45, v44
	v_lshl_or_b32 v11, v11, 7, v44
	s_delay_alu instid0(VALU_DEP_1)
	v_cvt_f32_f16_e32 v44, v11
.LBB313_497:                            ;   in Loop: Header=BB313_360 Depth=1
	s_or_b32 exec_lo, exec_lo, s17
.LBB313_498:                            ;   in Loop: Header=BB313_360 Depth=1
	s_delay_alu instid0(SALU_CYCLE_1)
	s_or_b32 exec_lo, exec_lo, s15
.LBB313_499:                            ;   in Loop: Header=BB313_360 Depth=1
	s_delay_alu instid0(SALU_CYCLE_1) | instskip(SKIP_3) | instid1(VALU_DEP_2)
	s_or_b32 exec_lo, exec_lo, s8
	v_lshrrev_b32_e32 v47, 16, v15
	v_mov_b32_e32 v45, 0
	s_mov_b32 s8, exec_lo
	v_dual_mov_b32 v46, 0 :: v_dual_and_b32 v11, 0xff, v47
	s_delay_alu instid0(VALU_DEP_1)
	v_cmpx_ne_u16_e32 0, v11
	s_cbranch_execz .LBB313_507
; %bb.500:                              ;   in Loop: Header=BB313_360 Depth=1
	v_bfrev_b32_e32 v45, 1
	s_mov_b32 s15, exec_lo
	v_cmpx_ne_u16_e32 0x80, v11
	s_cbranch_execz .LBB313_506
; %bb.501:                              ;   in Loop: Header=BB313_360 Depth=1
	v_bfe_u32 v48, v15, 16, 7
	v_mov_b32_e32 v45, 0x7fc02000
	s_mov_b32 s17, exec_lo
	s_delay_alu instid0(VALU_DEP_2)
	v_cmpx_ne_u32_e32 0x7f, v48
	s_cbranch_execz .LBB313_505
; %bb.502:                              ;   in Loop: Header=BB313_360 Depth=1
	v_and_b32_e32 v11, 7, v47
	v_lshrrev_b32_e32 v45, 3, v48
	s_mov_b32 s18, exec_lo
	v_cmpx_gt_u32_e32 8, v48
; %bb.503:                              ;   in Loop: Header=BB313_360 Depth=1
	s_delay_alu instid0(VALU_DEP_3) | instskip(NEXT) | instid1(VALU_DEP_1)
	v_clz_i32_u32_e32 v45, v11
	v_min_u32_e32 v45, 32, v45
	s_delay_alu instid0(VALU_DEP_1) | instskip(SKIP_1) | instid1(VALU_DEP_2)
	v_subrev_nc_u32_e32 v48, 28, v45
	v_sub_nc_u32_e32 v45, 29, v45
	v_lshlrev_b64 v[48:49], v48, v[11:12]
	s_delay_alu instid0(VALU_DEP_1)
	v_and_b32_e32 v11, 7, v48
; %bb.504:                              ;   in Loop: Header=BB313_360 Depth=1
	s_or_b32 exec_lo, exec_lo, s18
	v_lshlrev_b32_e32 v47, 8, v47
	v_lshl_add_u32 v45, v45, 10, 0x2000
	s_delay_alu instid0(VALU_DEP_1) | instskip(NEXT) | instid1(VALU_DEP_1)
	v_and_or_b32 v45, 0x8000, v47, v45
	v_lshl_or_b32 v11, v11, 7, v45
	s_delay_alu instid0(VALU_DEP_1)
	v_cvt_f32_f16_e32 v45, v11
.LBB313_505:                            ;   in Loop: Header=BB313_360 Depth=1
	s_or_b32 exec_lo, exec_lo, s17
.LBB313_506:                            ;   in Loop: Header=BB313_360 Depth=1
	s_delay_alu instid0(SALU_CYCLE_1)
	s_or_b32 exec_lo, exec_lo, s15
.LBB313_507:                            ;   in Loop: Header=BB313_360 Depth=1
	s_delay_alu instid0(SALU_CYCLE_1) | instskip(NEXT) | instid1(SALU_CYCLE_1)
	s_or_b32 exec_lo, exec_lo, s8
	s_mov_b32 s8, exec_lo
	v_cmpx_lt_u32_e32 0xffffff, v15
	s_cbranch_execz .LBB313_515
; %bb.508:                              ;   in Loop: Header=BB313_360 Depth=1
	v_lshrrev_b32_e32 v47, 24, v15
	v_bfrev_b32_e32 v46, 1
	s_mov_b32 s15, exec_lo
	s_delay_alu instid0(VALU_DEP_2)
	v_cmpx_ne_u32_e32 0x80, v47
	s_cbranch_execz .LBB313_514
; %bb.509:                              ;   in Loop: Header=BB313_360 Depth=1
	v_and_b32_e32 v48, 0x7f, v47
	v_mov_b32_e32 v46, 0x7fc02000
	s_mov_b32 s17, exec_lo
	s_delay_alu instid0(VALU_DEP_2)
	v_cmpx_ne_u32_e32 0x7f, v48
	s_cbranch_execz .LBB313_513
; %bb.510:                              ;   in Loop: Header=BB313_360 Depth=1
	v_and_b32_e32 v11, 7, v47
	v_lshrrev_b32_e32 v46, 3, v48
	s_mov_b32 s18, exec_lo
	v_cmpx_gt_u32_e32 8, v48
; %bb.511:                              ;   in Loop: Header=BB313_360 Depth=1
	s_delay_alu instid0(VALU_DEP_3) | instskip(NEXT) | instid1(VALU_DEP_1)
	v_clz_i32_u32_e32 v46, v11
	v_min_u32_e32 v46, 32, v46
	s_delay_alu instid0(VALU_DEP_1) | instskip(SKIP_1) | instid1(VALU_DEP_2)
	v_subrev_nc_u32_e32 v48, 28, v46
	v_sub_nc_u32_e32 v46, 29, v46
	v_lshlrev_b64 v[48:49], v48, v[11:12]
	s_delay_alu instid0(VALU_DEP_1)
	v_and_b32_e32 v11, 7, v48
; %bb.512:                              ;   in Loop: Header=BB313_360 Depth=1
	s_or_b32 exec_lo, exec_lo, s18
	v_lshlrev_b32_e32 v47, 8, v47
	v_lshl_add_u32 v46, v46, 10, 0x2000
	s_delay_alu instid0(VALU_DEP_1) | instskip(NEXT) | instid1(VALU_DEP_1)
	v_and_or_b32 v46, 0x8000, v47, v46
	v_lshl_or_b32 v11, v11, 7, v46
	s_delay_alu instid0(VALU_DEP_1)
	v_cvt_f32_f16_e32 v46, v11
.LBB313_513:                            ;   in Loop: Header=BB313_360 Depth=1
	s_or_b32 exec_lo, exec_lo, s17
.LBB313_514:                            ;   in Loop: Header=BB313_360 Depth=1
	s_delay_alu instid0(SALU_CYCLE_1)
	s_or_b32 exec_lo, exec_lo, s15
.LBB313_515:                            ;   in Loop: Header=BB313_360 Depth=1
	s_delay_alu instid0(SALU_CYCLE_1) | instskip(SKIP_4) | instid1(VALU_DEP_3)
	s_or_b32 exec_lo, exec_lo, s8
	v_dual_mov_b32 v48, 0 :: v_dual_and_b32 v49, 0xff, v16
	v_mov_b32_e32 v11, v16
	v_mov_b32_e32 v47, 0
	s_mov_b32 s8, exec_lo
	v_cmpx_ne_u16_e32 0, v49
	s_cbranch_execz .LBB313_521
; %bb.516:                              ;   in Loop: Header=BB313_360 Depth=1
	v_bfrev_b32_e32 v47, 1
	s_mov_b32 s15, exec_lo
	v_cmpx_ne_u16_e32 0x80, v49
	s_cbranch_execz .LBB313_520
; %bb.517:                              ;   in Loop: Header=BB313_360 Depth=1
	v_and_b32_e32 v49, 0x7f, v16
	v_mov_b32_e32 v47, 0x7fc02000
	s_mov_b32 s17, exec_lo
	s_delay_alu instid0(VALU_DEP_2)
	v_cmpx_ne_u32_e32 0x7f, v49
	s_cbranch_execz .LBB313_519
; %bb.518:                              ;   in Loop: Header=BB313_360 Depth=1
	v_and_b32_e32 v47, 7, v16
	v_cmp_gt_u32_e64 s0, 8, v49
	v_lshrrev_b32_e32 v50, 3, v49
	s_delay_alu instid0(VALU_DEP_3) | instskip(NEXT) | instid1(VALU_DEP_1)
	v_clz_i32_u32_e32 v47, v47
	v_min_u32_e32 v47, 32, v47
	s_delay_alu instid0(VALU_DEP_1) | instskip(SKIP_1) | instid1(VALU_DEP_2)
	v_subrev_nc_u32_e32 v51, 28, v47
	v_sub_nc_u32_e32 v47, 29, v47
	v_cndmask_b32_e64 v49, 0, v51, s0
	s_delay_alu instid0(VALU_DEP_2) | instskip(NEXT) | instid1(VALU_DEP_2)
	v_cndmask_b32_e64 v47, v50, v47, s0
	v_lshlrev_b64 v[49:50], v49, v[11:12]
	v_lshlrev_b32_e32 v50, 8, v16
	s_delay_alu instid0(VALU_DEP_3) | instskip(NEXT) | instid1(VALU_DEP_3)
	v_lshl_add_u32 v47, v47, 10, 0x2000
	v_lshlrev_b32_e32 v49, 7, v49
	s_delay_alu instid0(VALU_DEP_2) | instskip(NEXT) | instid1(VALU_DEP_1)
	v_and_or_b32 v47, 0x8000, v50, v47
	v_and_or_b32 v47, 0x380, v49, v47
	s_delay_alu instid0(VALU_DEP_1)
	v_cvt_f32_f16_e32 v47, v47
.LBB313_519:                            ;   in Loop: Header=BB313_360 Depth=1
	s_or_b32 exec_lo, exec_lo, s17
.LBB313_520:                            ;   in Loop: Header=BB313_360 Depth=1
	s_delay_alu instid0(SALU_CYCLE_1)
	s_or_b32 exec_lo, exec_lo, s15
.LBB313_521:                            ;   in Loop: Header=BB313_360 Depth=1
	s_delay_alu instid0(SALU_CYCLE_1) | instskip(SKIP_2) | instid1(VALU_DEP_1)
	s_or_b32 exec_lo, exec_lo, s8
	v_lshrrev_b16 v11, 8, v11
	s_mov_b32 s8, exec_lo
	v_cmpx_ne_u16_e32 0, v11
	s_cbranch_execz .LBB313_529
; %bb.522:                              ;   in Loop: Header=BB313_360 Depth=1
	v_bfrev_b32_e32 v48, 1
	s_mov_b32 s15, exec_lo
	v_cmpx_ne_u16_e32 0x80, v11
	s_cbranch_execz .LBB313_528
; %bb.523:                              ;   in Loop: Header=BB313_360 Depth=1
	v_and_b32_e32 v49, 0xffff, v11
	v_mov_b32_e32 v48, 0x7fc02000
	s_mov_b32 s17, exec_lo
	s_delay_alu instid0(VALU_DEP_2) | instskip(NEXT) | instid1(VALU_DEP_1)
	v_and_b32_e32 v50, 0x7f, v49
	v_cmpx_ne_u32_e32 0x7f, v50
	s_cbranch_execz .LBB313_527
; %bb.524:                              ;   in Loop: Header=BB313_360 Depth=1
	v_and_b32_e32 v11, 7, v49
	v_lshrrev_b32_e32 v48, 3, v50
	s_mov_b32 s18, exec_lo
	v_cmpx_gt_u32_e32 8, v50
; %bb.525:                              ;   in Loop: Header=BB313_360 Depth=1
	s_delay_alu instid0(VALU_DEP_3) | instskip(NEXT) | instid1(VALU_DEP_1)
	v_clz_i32_u32_e32 v48, v11
	v_min_u32_e32 v48, 32, v48
	s_delay_alu instid0(VALU_DEP_1) | instskip(SKIP_1) | instid1(VALU_DEP_2)
	v_subrev_nc_u32_e32 v50, 28, v48
	v_sub_nc_u32_e32 v48, 29, v48
	v_lshlrev_b64 v[50:51], v50, v[11:12]
	s_delay_alu instid0(VALU_DEP_1)
	v_and_b32_e32 v11, 7, v50
; %bb.526:                              ;   in Loop: Header=BB313_360 Depth=1
	s_or_b32 exec_lo, exec_lo, s18
	v_lshlrev_b32_e32 v49, 8, v49
	v_lshl_add_u32 v48, v48, 10, 0x2000
	s_delay_alu instid0(VALU_DEP_1) | instskip(NEXT) | instid1(VALU_DEP_1)
	v_and_or_b32 v48, 0x8000, v49, v48
	v_lshl_or_b32 v11, v11, 7, v48
	s_delay_alu instid0(VALU_DEP_1)
	v_cvt_f32_f16_e32 v48, v11
.LBB313_527:                            ;   in Loop: Header=BB313_360 Depth=1
	s_or_b32 exec_lo, exec_lo, s17
.LBB313_528:                            ;   in Loop: Header=BB313_360 Depth=1
	s_delay_alu instid0(SALU_CYCLE_1)
	s_or_b32 exec_lo, exec_lo, s15
.LBB313_529:                            ;   in Loop: Header=BB313_360 Depth=1
	s_delay_alu instid0(SALU_CYCLE_1) | instskip(SKIP_3) | instid1(VALU_DEP_2)
	s_or_b32 exec_lo, exec_lo, s8
	v_lshrrev_b32_e32 v51, 16, v16
	v_mov_b32_e32 v49, 0
	s_mov_b32 s8, exec_lo
	v_dual_mov_b32 v50, 0 :: v_dual_and_b32 v11, 0xff, v51
	s_delay_alu instid0(VALU_DEP_1)
	v_cmpx_ne_u16_e32 0, v11
	s_cbranch_execz .LBB313_537
; %bb.530:                              ;   in Loop: Header=BB313_360 Depth=1
	v_bfrev_b32_e32 v49, 1
	s_mov_b32 s15, exec_lo
	v_cmpx_ne_u16_e32 0x80, v11
	s_cbranch_execz .LBB313_536
; %bb.531:                              ;   in Loop: Header=BB313_360 Depth=1
	v_bfe_u32 v52, v16, 16, 7
	v_mov_b32_e32 v49, 0x7fc02000
	s_mov_b32 s17, exec_lo
	s_delay_alu instid0(VALU_DEP_2)
	v_cmpx_ne_u32_e32 0x7f, v52
	s_cbranch_execz .LBB313_535
; %bb.532:                              ;   in Loop: Header=BB313_360 Depth=1
	v_and_b32_e32 v11, 7, v51
	v_lshrrev_b32_e32 v49, 3, v52
	s_mov_b32 s18, exec_lo
	v_cmpx_gt_u32_e32 8, v52
; %bb.533:                              ;   in Loop: Header=BB313_360 Depth=1
	s_delay_alu instid0(VALU_DEP_3) | instskip(NEXT) | instid1(VALU_DEP_1)
	v_clz_i32_u32_e32 v49, v11
	v_min_u32_e32 v49, 32, v49
	s_delay_alu instid0(VALU_DEP_1) | instskip(SKIP_1) | instid1(VALU_DEP_2)
	v_subrev_nc_u32_e32 v52, 28, v49
	v_sub_nc_u32_e32 v49, 29, v49
	v_lshlrev_b64 v[52:53], v52, v[11:12]
	s_delay_alu instid0(VALU_DEP_1)
	v_and_b32_e32 v11, 7, v52
; %bb.534:                              ;   in Loop: Header=BB313_360 Depth=1
	s_or_b32 exec_lo, exec_lo, s18
	v_lshlrev_b32_e32 v51, 8, v51
	v_lshl_add_u32 v49, v49, 10, 0x2000
	s_delay_alu instid0(VALU_DEP_1) | instskip(NEXT) | instid1(VALU_DEP_1)
	v_and_or_b32 v49, 0x8000, v51, v49
	v_lshl_or_b32 v11, v11, 7, v49
	s_delay_alu instid0(VALU_DEP_1)
	v_cvt_f32_f16_e32 v49, v11
.LBB313_535:                            ;   in Loop: Header=BB313_360 Depth=1
	s_or_b32 exec_lo, exec_lo, s17
.LBB313_536:                            ;   in Loop: Header=BB313_360 Depth=1
	s_delay_alu instid0(SALU_CYCLE_1)
	s_or_b32 exec_lo, exec_lo, s15
.LBB313_537:                            ;   in Loop: Header=BB313_360 Depth=1
	s_delay_alu instid0(SALU_CYCLE_1) | instskip(NEXT) | instid1(SALU_CYCLE_1)
	s_or_b32 exec_lo, exec_lo, s8
	s_mov_b32 s8, exec_lo
	v_cmpx_lt_u64_e64 s[2:3], v[15:16]
	s_cbranch_execz .LBB313_545
; %bb.538:                              ;   in Loop: Header=BB313_360 Depth=1
	v_lshrrev_b32_e32 v15, 24, v16
	v_bfrev_b32_e32 v50, 1
	s_mov_b32 s15, exec_lo
	s_delay_alu instid0(VALU_DEP_2)
	v_cmpx_ne_u32_e32 0x80, v15
	s_cbranch_execz .LBB313_544
; %bb.539:                              ;   in Loop: Header=BB313_360 Depth=1
	v_and_b32_e32 v51, 0x7f, v15
	v_mov_b32_e32 v50, 0x7fc02000
	s_mov_b32 s17, exec_lo
	s_delay_alu instid0(VALU_DEP_2)
	v_cmpx_ne_u32_e32 0x7f, v51
	s_cbranch_execz .LBB313_543
; %bb.540:                              ;   in Loop: Header=BB313_360 Depth=1
	v_and_b32_e32 v11, 7, v15
	v_lshrrev_b32_e32 v16, 3, v51
	s_mov_b32 s18, exec_lo
	v_cmpx_gt_u32_e32 8, v51
; %bb.541:                              ;   in Loop: Header=BB313_360 Depth=1
	s_delay_alu instid0(VALU_DEP_3) | instskip(NEXT) | instid1(VALU_DEP_1)
	v_clz_i32_u32_e32 v16, v11
	v_min_u32_e32 v16, 32, v16
	s_delay_alu instid0(VALU_DEP_1) | instskip(SKIP_1) | instid1(VALU_DEP_2)
	v_subrev_nc_u32_e32 v50, 28, v16
	v_sub_nc_u32_e32 v16, 29, v16
	v_lshlrev_b64 v[50:51], v50, v[11:12]
	s_delay_alu instid0(VALU_DEP_1)
	v_and_b32_e32 v11, 7, v50
; %bb.542:                              ;   in Loop: Header=BB313_360 Depth=1
	s_or_b32 exec_lo, exec_lo, s18
	v_lshlrev_b32_e32 v15, 8, v15
	v_lshl_add_u32 v16, v16, 10, 0x2000
	s_delay_alu instid0(VALU_DEP_1) | instskip(NEXT) | instid1(VALU_DEP_1)
	v_and_or_b32 v15, 0x8000, v15, v16
	v_lshl_or_b32 v11, v11, 7, v15
	s_delay_alu instid0(VALU_DEP_1)
	v_cvt_f32_f16_e32 v50, v11
.LBB313_543:                            ;   in Loop: Header=BB313_360 Depth=1
	s_or_b32 exec_lo, exec_lo, s17
.LBB313_544:                            ;   in Loop: Header=BB313_360 Depth=1
	s_delay_alu instid0(SALU_CYCLE_1)
	s_or_b32 exec_lo, exec_lo, s15
.LBB313_545:                            ;   in Loop: Header=BB313_360 Depth=1
	s_delay_alu instid0(SALU_CYCLE_1)
	s_or_b32 exec_lo, exec_lo, s8
	s_waitcnt vmcnt(0)
	v_fma_mixlo_f16 v16, v42, v44, 0
	v_fma_mixlo_f16 v11, v42, v46, 0
	v_fma_mixlo_f16 v15, v42, v45, 0
	v_fma_mixlo_f16 v43, v42, v43, 0
	v_fma_mixlo_f16 v45, v42, v48, 0
	v_lshlrev_b32_e32 v44, 16, v16
	v_fma_mixlo_f16 v46, v42, v47, 0
	v_fma_mixlo_f16 v47, v42, v50, 0
	;; [unrolled: 1-line block ×3, first 2 shown]
	v_lshlrev_b32_e32 v11, 16, v11
	v_and_b32_e32 v15, 0xffff, v15
	v_and_b32_e32 v43, 0xffff, v43
	v_lshlrev_b32_e32 v45, 16, v45
	v_and_b32_e32 v46, 0xffff, v46
	v_lshlrev_b32_e32 v47, 16, v47
	v_and_b32_e32 v48, 0xffff, v16
	v_or_b32_e32 v42, v11, v15
	v_or_b32_e32 v43, v44, v43
	;; [unrolled: 1-line block ×3, first 2 shown]
	s_delay_alu instid0(VALU_DEP_4)
	v_or_b32_e32 v15, v47, v48
	s_and_saveexec_b32 s8, vcc_lo
	s_cbranch_execz .LBB313_547
; %bb.546:                              ;   in Loop: Header=BB313_360 Depth=1
	v_cmp_gt_i32_e64 s0, s33, v26
	v_lshrrev_b32_e32 v44, 16, v43
	v_lshrrev_b32_e32 v45, 16, v42
	;; [unrolled: 1-line block ×4, first 2 shown]
	v_cndmask_b32_e64 v43, 0, v43, s0
	v_cmp_gt_i32_e64 s0, s6, v33
	s_delay_alu instid0(VALU_DEP_1) | instskip(SKIP_1) | instid1(VALU_DEP_2)
	v_cndmask_b32_e64 v44, 0, v44, s0
	v_cmp_gt_i32_e64 s0, s6, v32
	v_perm_b32 v43, v44, v43, 0x5040100
	s_delay_alu instid0(VALU_DEP_2) | instskip(SKIP_1) | instid1(VALU_DEP_1)
	v_cndmask_b32_e64 v45, 0, v45, s0
	v_cmp_gt_i32_e64 s0, s33, v31
	v_cndmask_b32_e64 v42, 0, v42, s0
	v_cmp_gt_i32_e64 s0, s6, v30
	s_delay_alu instid0(VALU_DEP_2) | instskip(NEXT) | instid1(VALU_DEP_2)
	v_perm_b32 v42, v45, v42, 0x5040100
	v_cndmask_b32_e64 v46, 0, v46, s0
	v_cmp_gt_i32_e64 s0, s33, v29
	s_delay_alu instid0(VALU_DEP_1) | instskip(SKIP_1) | instid1(VALU_DEP_2)
	v_cndmask_b32_e64 v11, 0, v11, s0
	v_cmp_gt_i32_e64 s0, s6, v28
	v_perm_b32 v11, v46, v11, 0x5040100
	s_delay_alu instid0(VALU_DEP_2) | instskip(SKIP_1) | instid1(VALU_DEP_1)
	v_cndmask_b32_e64 v15, 0, v15, s0
	v_cmp_gt_i32_e64 s0, s33, v27
	v_cndmask_b32_e64 v16, 0, v16, s0
	s_delay_alu instid0(VALU_DEP_1)
	v_perm_b32 v15, v15, v16, 0x5040100
.LBB313_547:                            ;   in Loop: Header=BB313_360 Depth=1
	s_or_b32 exec_lo, exec_lo, s8
	;;#ASMSTART
	v_pk_mul_f16 v16, v37, v43;

	;;#ASMEND
	;;#ASMSTART
	v_pk_mul_f16 v42, v36, v42;

	;;#ASMEND
	;; [unrolled: 4-line block ×4, first 2 shown]
	;;#ASMSTART
	v_pk_add_f16 v16, v16, v42;

	;;#ASMEND
	;;#ASMSTART
	v_pk_add_f16 v11, v16, v11;

	;;#ASMEND
	;; [unrolled: 4-line block ×3, first 2 shown]
	v_dual_mov_b32 v46, 0 :: v_dual_and_b32 v15, 0xffff, v11
	v_lshrrev_b32_e32 v11, 16, v11
	;;#ASMSTART
	v_cvt_f32_f16 v42, v15;
	;;#ASMEND
	;;#ASMSTART
	v_cvt_f32_f16 v43, v11;
	;;#ASMEND
	global_load_b64 v[15:16], v[13:14], off offset:768
	global_load_b32 v44, v12, s[10:11]
	v_mov_b32_e32 v45, 0
	s_mov_b32 s8, exec_lo
	s_waitcnt vmcnt(1)
	v_and_b32_e32 v11, 0xff, v15
	s_delay_alu instid0(VALU_DEP_1)
	v_cmpx_ne_u16_e32 0, v11
	s_cbranch_execz .LBB313_553
; %bb.548:                              ;   in Loop: Header=BB313_360 Depth=1
	v_bfrev_b32_e32 v45, 1
	s_mov_b32 s15, exec_lo
	v_cmpx_ne_u16_e32 0x80, v11
	s_cbranch_execz .LBB313_552
; %bb.549:                              ;   in Loop: Header=BB313_360 Depth=1
	v_and_b32_e32 v11, 0x7f, v15
	v_mov_b32_e32 v45, 0x7fc02000
	s_mov_b32 s17, exec_lo
	s_delay_alu instid0(VALU_DEP_2)
	v_cmpx_ne_u32_e32 0x7f, v11
	s_cbranch_execz .LBB313_551
; %bb.550:                              ;   in Loop: Header=BB313_360 Depth=1
	v_and_b32_e32 v45, 7, v15
	v_cmp_gt_u32_e64 s0, 8, v11
	v_lshrrev_b32_e32 v47, 3, v11
	s_delay_alu instid0(VALU_DEP_3) | instskip(NEXT) | instid1(VALU_DEP_1)
	v_clz_i32_u32_e32 v45, v45
	v_min_u32_e32 v45, 32, v45
	s_delay_alu instid0(VALU_DEP_1) | instskip(SKIP_1) | instid1(VALU_DEP_2)
	v_subrev_nc_u32_e32 v48, 28, v45
	v_sub_nc_u32_e32 v45, 29, v45
	v_cndmask_b32_e64 v11, 0, v48, s0
	s_delay_alu instid0(VALU_DEP_2) | instskip(NEXT) | instid1(VALU_DEP_2)
	v_cndmask_b32_e64 v45, v47, v45, s0
	v_lshlrev_b64 v[47:48], v11, v[15:16]
	v_lshlrev_b32_e32 v11, 8, v15
	s_delay_alu instid0(VALU_DEP_3) | instskip(NEXT) | instid1(VALU_DEP_3)
	v_lshl_add_u32 v45, v45, 10, 0x2000
	v_lshlrev_b32_e32 v47, 7, v47
	s_delay_alu instid0(VALU_DEP_2) | instskip(NEXT) | instid1(VALU_DEP_1)
	v_and_or_b32 v11, 0x8000, v11, v45
	v_and_or_b32 v11, 0x380, v47, v11
	s_delay_alu instid0(VALU_DEP_1)
	v_cvt_f32_f16_e32 v45, v11
.LBB313_551:                            ;   in Loop: Header=BB313_360 Depth=1
	s_or_b32 exec_lo, exec_lo, s17
.LBB313_552:                            ;   in Loop: Header=BB313_360 Depth=1
	s_delay_alu instid0(SALU_CYCLE_1)
	s_or_b32 exec_lo, exec_lo, s15
.LBB313_553:                            ;   in Loop: Header=BB313_360 Depth=1
	s_delay_alu instid0(SALU_CYCLE_1) | instskip(SKIP_2) | instid1(VALU_DEP_1)
	s_or_b32 exec_lo, exec_lo, s8
	v_lshrrev_b16 v11, 8, v15
	s_mov_b32 s8, exec_lo
	v_cmpx_ne_u16_e32 0, v11
	s_cbranch_execz .LBB313_561
; %bb.554:                              ;   in Loop: Header=BB313_360 Depth=1
	v_bfrev_b32_e32 v46, 1
	s_mov_b32 s15, exec_lo
	v_cmpx_ne_u16_e32 0x80, v11
	s_cbranch_execz .LBB313_560
; %bb.555:                              ;   in Loop: Header=BB313_360 Depth=1
	v_and_b32_e32 v47, 0xffff, v11
	v_mov_b32_e32 v46, 0x7fc02000
	s_mov_b32 s17, exec_lo
	s_delay_alu instid0(VALU_DEP_2) | instskip(NEXT) | instid1(VALU_DEP_1)
	v_and_b32_e32 v48, 0x7f, v47
	v_cmpx_ne_u32_e32 0x7f, v48
	s_cbranch_execz .LBB313_559
; %bb.556:                              ;   in Loop: Header=BB313_360 Depth=1
	v_and_b32_e32 v11, 7, v47
	v_lshrrev_b32_e32 v46, 3, v48
	s_mov_b32 s18, exec_lo
	v_cmpx_gt_u32_e32 8, v48
; %bb.557:                              ;   in Loop: Header=BB313_360 Depth=1
	s_delay_alu instid0(VALU_DEP_3) | instskip(NEXT) | instid1(VALU_DEP_1)
	v_clz_i32_u32_e32 v46, v11
	v_min_u32_e32 v46, 32, v46
	s_delay_alu instid0(VALU_DEP_1) | instskip(SKIP_1) | instid1(VALU_DEP_2)
	v_subrev_nc_u32_e32 v48, 28, v46
	v_sub_nc_u32_e32 v46, 29, v46
	v_lshlrev_b64 v[48:49], v48, v[11:12]
	s_delay_alu instid0(VALU_DEP_1)
	v_and_b32_e32 v11, 7, v48
; %bb.558:                              ;   in Loop: Header=BB313_360 Depth=1
	s_or_b32 exec_lo, exec_lo, s18
	v_lshlrev_b32_e32 v47, 8, v47
	v_lshl_add_u32 v46, v46, 10, 0x2000
	s_delay_alu instid0(VALU_DEP_1) | instskip(NEXT) | instid1(VALU_DEP_1)
	v_and_or_b32 v46, 0x8000, v47, v46
	v_lshl_or_b32 v11, v11, 7, v46
	s_delay_alu instid0(VALU_DEP_1)
	v_cvt_f32_f16_e32 v46, v11
.LBB313_559:                            ;   in Loop: Header=BB313_360 Depth=1
	s_or_b32 exec_lo, exec_lo, s17
.LBB313_560:                            ;   in Loop: Header=BB313_360 Depth=1
	s_delay_alu instid0(SALU_CYCLE_1)
	s_or_b32 exec_lo, exec_lo, s15
.LBB313_561:                            ;   in Loop: Header=BB313_360 Depth=1
	s_delay_alu instid0(SALU_CYCLE_1) | instskip(SKIP_3) | instid1(VALU_DEP_2)
	s_or_b32 exec_lo, exec_lo, s8
	v_lshrrev_b32_e32 v49, 16, v15
	v_mov_b32_e32 v47, 0
	s_mov_b32 s8, exec_lo
	v_dual_mov_b32 v48, 0 :: v_dual_and_b32 v11, 0xff, v49
	s_delay_alu instid0(VALU_DEP_1)
	v_cmpx_ne_u16_e32 0, v11
	s_cbranch_execz .LBB313_569
; %bb.562:                              ;   in Loop: Header=BB313_360 Depth=1
	v_bfrev_b32_e32 v47, 1
	s_mov_b32 s15, exec_lo
	v_cmpx_ne_u16_e32 0x80, v11
	s_cbranch_execz .LBB313_568
; %bb.563:                              ;   in Loop: Header=BB313_360 Depth=1
	v_bfe_u32 v50, v15, 16, 7
	v_mov_b32_e32 v47, 0x7fc02000
	s_mov_b32 s17, exec_lo
	s_delay_alu instid0(VALU_DEP_2)
	v_cmpx_ne_u32_e32 0x7f, v50
	s_cbranch_execz .LBB313_567
; %bb.564:                              ;   in Loop: Header=BB313_360 Depth=1
	v_and_b32_e32 v11, 7, v49
	v_lshrrev_b32_e32 v47, 3, v50
	s_mov_b32 s18, exec_lo
	v_cmpx_gt_u32_e32 8, v50
; %bb.565:                              ;   in Loop: Header=BB313_360 Depth=1
	s_delay_alu instid0(VALU_DEP_3) | instskip(NEXT) | instid1(VALU_DEP_1)
	v_clz_i32_u32_e32 v47, v11
	v_min_u32_e32 v47, 32, v47
	s_delay_alu instid0(VALU_DEP_1) | instskip(SKIP_1) | instid1(VALU_DEP_2)
	v_subrev_nc_u32_e32 v50, 28, v47
	v_sub_nc_u32_e32 v47, 29, v47
	v_lshlrev_b64 v[50:51], v50, v[11:12]
	s_delay_alu instid0(VALU_DEP_1)
	v_and_b32_e32 v11, 7, v50
; %bb.566:                              ;   in Loop: Header=BB313_360 Depth=1
	s_or_b32 exec_lo, exec_lo, s18
	v_lshlrev_b32_e32 v49, 8, v49
	v_lshl_add_u32 v47, v47, 10, 0x2000
	s_delay_alu instid0(VALU_DEP_1) | instskip(NEXT) | instid1(VALU_DEP_1)
	v_and_or_b32 v47, 0x8000, v49, v47
	v_lshl_or_b32 v11, v11, 7, v47
	s_delay_alu instid0(VALU_DEP_1)
	v_cvt_f32_f16_e32 v47, v11
.LBB313_567:                            ;   in Loop: Header=BB313_360 Depth=1
	s_or_b32 exec_lo, exec_lo, s17
.LBB313_568:                            ;   in Loop: Header=BB313_360 Depth=1
	s_delay_alu instid0(SALU_CYCLE_1)
	s_or_b32 exec_lo, exec_lo, s15
.LBB313_569:                            ;   in Loop: Header=BB313_360 Depth=1
	s_delay_alu instid0(SALU_CYCLE_1) | instskip(NEXT) | instid1(SALU_CYCLE_1)
	s_or_b32 exec_lo, exec_lo, s8
	s_mov_b32 s8, exec_lo
	v_cmpx_lt_u32_e32 0xffffff, v15
	s_cbranch_execz .LBB313_577
; %bb.570:                              ;   in Loop: Header=BB313_360 Depth=1
	v_lshrrev_b32_e32 v49, 24, v15
	v_bfrev_b32_e32 v48, 1
	s_mov_b32 s15, exec_lo
	s_delay_alu instid0(VALU_DEP_2)
	v_cmpx_ne_u32_e32 0x80, v49
	s_cbranch_execz .LBB313_576
; %bb.571:                              ;   in Loop: Header=BB313_360 Depth=1
	v_and_b32_e32 v50, 0x7f, v49
	v_mov_b32_e32 v48, 0x7fc02000
	s_mov_b32 s17, exec_lo
	s_delay_alu instid0(VALU_DEP_2)
	v_cmpx_ne_u32_e32 0x7f, v50
	s_cbranch_execz .LBB313_575
; %bb.572:                              ;   in Loop: Header=BB313_360 Depth=1
	v_and_b32_e32 v11, 7, v49
	v_lshrrev_b32_e32 v48, 3, v50
	s_mov_b32 s18, exec_lo
	v_cmpx_gt_u32_e32 8, v50
; %bb.573:                              ;   in Loop: Header=BB313_360 Depth=1
	s_delay_alu instid0(VALU_DEP_3) | instskip(NEXT) | instid1(VALU_DEP_1)
	v_clz_i32_u32_e32 v48, v11
	v_min_u32_e32 v48, 32, v48
	s_delay_alu instid0(VALU_DEP_1) | instskip(SKIP_1) | instid1(VALU_DEP_2)
	v_subrev_nc_u32_e32 v50, 28, v48
	v_sub_nc_u32_e32 v48, 29, v48
	v_lshlrev_b64 v[50:51], v50, v[11:12]
	s_delay_alu instid0(VALU_DEP_1)
	v_and_b32_e32 v11, 7, v50
; %bb.574:                              ;   in Loop: Header=BB313_360 Depth=1
	s_or_b32 exec_lo, exec_lo, s18
	v_lshlrev_b32_e32 v49, 8, v49
	v_lshl_add_u32 v48, v48, 10, 0x2000
	s_delay_alu instid0(VALU_DEP_1) | instskip(NEXT) | instid1(VALU_DEP_1)
	v_and_or_b32 v48, 0x8000, v49, v48
	v_lshl_or_b32 v11, v11, 7, v48
	s_delay_alu instid0(VALU_DEP_1)
	v_cvt_f32_f16_e32 v48, v11
.LBB313_575:                            ;   in Loop: Header=BB313_360 Depth=1
	s_or_b32 exec_lo, exec_lo, s17
.LBB313_576:                            ;   in Loop: Header=BB313_360 Depth=1
	s_delay_alu instid0(SALU_CYCLE_1)
	s_or_b32 exec_lo, exec_lo, s15
.LBB313_577:                            ;   in Loop: Header=BB313_360 Depth=1
	s_delay_alu instid0(SALU_CYCLE_1) | instskip(SKIP_4) | instid1(VALU_DEP_3)
	s_or_b32 exec_lo, exec_lo, s8
	v_dual_mov_b32 v50, 0 :: v_dual_and_b32 v51, 0xff, v16
	v_mov_b32_e32 v11, v16
	v_mov_b32_e32 v49, 0
	s_mov_b32 s8, exec_lo
	v_cmpx_ne_u16_e32 0, v51
	s_cbranch_execz .LBB313_583
; %bb.578:                              ;   in Loop: Header=BB313_360 Depth=1
	v_bfrev_b32_e32 v49, 1
	s_mov_b32 s15, exec_lo
	v_cmpx_ne_u16_e32 0x80, v51
	s_cbranch_execz .LBB313_582
; %bb.579:                              ;   in Loop: Header=BB313_360 Depth=1
	v_and_b32_e32 v51, 0x7f, v16
	v_mov_b32_e32 v49, 0x7fc02000
	s_mov_b32 s17, exec_lo
	s_delay_alu instid0(VALU_DEP_2)
	v_cmpx_ne_u32_e32 0x7f, v51
	s_cbranch_execz .LBB313_581
; %bb.580:                              ;   in Loop: Header=BB313_360 Depth=1
	v_and_b32_e32 v49, 7, v16
	v_cmp_gt_u32_e64 s0, 8, v51
	v_lshrrev_b32_e32 v52, 3, v51
	s_delay_alu instid0(VALU_DEP_3) | instskip(NEXT) | instid1(VALU_DEP_1)
	v_clz_i32_u32_e32 v49, v49
	v_min_u32_e32 v49, 32, v49
	s_delay_alu instid0(VALU_DEP_1) | instskip(SKIP_1) | instid1(VALU_DEP_2)
	v_subrev_nc_u32_e32 v53, 28, v49
	v_sub_nc_u32_e32 v49, 29, v49
	v_cndmask_b32_e64 v51, 0, v53, s0
	s_delay_alu instid0(VALU_DEP_2) | instskip(NEXT) | instid1(VALU_DEP_2)
	v_cndmask_b32_e64 v49, v52, v49, s0
	v_lshlrev_b64 v[51:52], v51, v[11:12]
	v_lshlrev_b32_e32 v52, 8, v16
	s_delay_alu instid0(VALU_DEP_3) | instskip(NEXT) | instid1(VALU_DEP_3)
	v_lshl_add_u32 v49, v49, 10, 0x2000
	v_lshlrev_b32_e32 v51, 7, v51
	s_delay_alu instid0(VALU_DEP_2) | instskip(NEXT) | instid1(VALU_DEP_1)
	v_and_or_b32 v49, 0x8000, v52, v49
	v_and_or_b32 v49, 0x380, v51, v49
	s_delay_alu instid0(VALU_DEP_1)
	v_cvt_f32_f16_e32 v49, v49
.LBB313_581:                            ;   in Loop: Header=BB313_360 Depth=1
	s_or_b32 exec_lo, exec_lo, s17
.LBB313_582:                            ;   in Loop: Header=BB313_360 Depth=1
	s_delay_alu instid0(SALU_CYCLE_1)
	s_or_b32 exec_lo, exec_lo, s15
.LBB313_583:                            ;   in Loop: Header=BB313_360 Depth=1
	s_delay_alu instid0(SALU_CYCLE_1) | instskip(SKIP_2) | instid1(VALU_DEP_1)
	s_or_b32 exec_lo, exec_lo, s8
	v_lshrrev_b16 v11, 8, v11
	s_mov_b32 s8, exec_lo
	v_cmpx_ne_u16_e32 0, v11
	s_cbranch_execz .LBB313_591
; %bb.584:                              ;   in Loop: Header=BB313_360 Depth=1
	v_bfrev_b32_e32 v50, 1
	s_mov_b32 s15, exec_lo
	v_cmpx_ne_u16_e32 0x80, v11
	s_cbranch_execz .LBB313_590
; %bb.585:                              ;   in Loop: Header=BB313_360 Depth=1
	v_and_b32_e32 v51, 0xffff, v11
	v_mov_b32_e32 v50, 0x7fc02000
	s_mov_b32 s17, exec_lo
	s_delay_alu instid0(VALU_DEP_2) | instskip(NEXT) | instid1(VALU_DEP_1)
	v_and_b32_e32 v52, 0x7f, v51
	v_cmpx_ne_u32_e32 0x7f, v52
	s_cbranch_execz .LBB313_589
; %bb.586:                              ;   in Loop: Header=BB313_360 Depth=1
	v_and_b32_e32 v11, 7, v51
	v_lshrrev_b32_e32 v50, 3, v52
	s_mov_b32 s18, exec_lo
	v_cmpx_gt_u32_e32 8, v52
; %bb.587:                              ;   in Loop: Header=BB313_360 Depth=1
	s_delay_alu instid0(VALU_DEP_3) | instskip(NEXT) | instid1(VALU_DEP_1)
	v_clz_i32_u32_e32 v50, v11
	v_min_u32_e32 v50, 32, v50
	s_delay_alu instid0(VALU_DEP_1) | instskip(SKIP_1) | instid1(VALU_DEP_2)
	v_subrev_nc_u32_e32 v52, 28, v50
	v_sub_nc_u32_e32 v50, 29, v50
	v_lshlrev_b64 v[52:53], v52, v[11:12]
	s_delay_alu instid0(VALU_DEP_1)
	v_and_b32_e32 v11, 7, v52
; %bb.588:                              ;   in Loop: Header=BB313_360 Depth=1
	s_or_b32 exec_lo, exec_lo, s18
	v_lshlrev_b32_e32 v51, 8, v51
	v_lshl_add_u32 v50, v50, 10, 0x2000
	s_delay_alu instid0(VALU_DEP_1) | instskip(NEXT) | instid1(VALU_DEP_1)
	v_and_or_b32 v50, 0x8000, v51, v50
	v_lshl_or_b32 v11, v11, 7, v50
	s_delay_alu instid0(VALU_DEP_1)
	v_cvt_f32_f16_e32 v50, v11
.LBB313_589:                            ;   in Loop: Header=BB313_360 Depth=1
	s_or_b32 exec_lo, exec_lo, s17
.LBB313_590:                            ;   in Loop: Header=BB313_360 Depth=1
	s_delay_alu instid0(SALU_CYCLE_1)
	s_or_b32 exec_lo, exec_lo, s15
.LBB313_591:                            ;   in Loop: Header=BB313_360 Depth=1
	s_delay_alu instid0(SALU_CYCLE_1) | instskip(SKIP_3) | instid1(VALU_DEP_2)
	s_or_b32 exec_lo, exec_lo, s8
	v_lshrrev_b32_e32 v53, 16, v16
	v_mov_b32_e32 v51, 0
	s_mov_b32 s8, exec_lo
	v_dual_mov_b32 v52, 0 :: v_dual_and_b32 v11, 0xff, v53
	s_delay_alu instid0(VALU_DEP_1)
	v_cmpx_ne_u16_e32 0, v11
	s_cbranch_execz .LBB313_599
; %bb.592:                              ;   in Loop: Header=BB313_360 Depth=1
	v_bfrev_b32_e32 v51, 1
	s_mov_b32 s15, exec_lo
	v_cmpx_ne_u16_e32 0x80, v11
	s_cbranch_execz .LBB313_598
; %bb.593:                              ;   in Loop: Header=BB313_360 Depth=1
	v_bfe_u32 v54, v16, 16, 7
	v_mov_b32_e32 v51, 0x7fc02000
	s_mov_b32 s17, exec_lo
	s_delay_alu instid0(VALU_DEP_2)
	v_cmpx_ne_u32_e32 0x7f, v54
	s_cbranch_execz .LBB313_597
; %bb.594:                              ;   in Loop: Header=BB313_360 Depth=1
	v_and_b32_e32 v11, 7, v53
	v_lshrrev_b32_e32 v51, 3, v54
	s_mov_b32 s18, exec_lo
	v_cmpx_gt_u32_e32 8, v54
; %bb.595:                              ;   in Loop: Header=BB313_360 Depth=1
	s_delay_alu instid0(VALU_DEP_3) | instskip(NEXT) | instid1(VALU_DEP_1)
	v_clz_i32_u32_e32 v51, v11
	v_min_u32_e32 v51, 32, v51
	s_delay_alu instid0(VALU_DEP_1) | instskip(SKIP_1) | instid1(VALU_DEP_2)
	v_subrev_nc_u32_e32 v54, 28, v51
	v_sub_nc_u32_e32 v51, 29, v51
	v_lshlrev_b64 v[54:55], v54, v[11:12]
	s_delay_alu instid0(VALU_DEP_1)
	v_and_b32_e32 v11, 7, v54
; %bb.596:                              ;   in Loop: Header=BB313_360 Depth=1
	s_or_b32 exec_lo, exec_lo, s18
	v_lshlrev_b32_e32 v53, 8, v53
	v_lshl_add_u32 v51, v51, 10, 0x2000
	s_delay_alu instid0(VALU_DEP_1) | instskip(NEXT) | instid1(VALU_DEP_1)
	v_and_or_b32 v51, 0x8000, v53, v51
	v_lshl_or_b32 v11, v11, 7, v51
	s_delay_alu instid0(VALU_DEP_1)
	v_cvt_f32_f16_e32 v51, v11
.LBB313_597:                            ;   in Loop: Header=BB313_360 Depth=1
	s_or_b32 exec_lo, exec_lo, s17
.LBB313_598:                            ;   in Loop: Header=BB313_360 Depth=1
	s_delay_alu instid0(SALU_CYCLE_1)
	s_or_b32 exec_lo, exec_lo, s15
.LBB313_599:                            ;   in Loop: Header=BB313_360 Depth=1
	s_delay_alu instid0(SALU_CYCLE_1) | instskip(NEXT) | instid1(SALU_CYCLE_1)
	s_or_b32 exec_lo, exec_lo, s8
	s_mov_b32 s8, exec_lo
	v_cmpx_lt_u64_e64 s[2:3], v[15:16]
	s_cbranch_execz .LBB313_607
; %bb.600:                              ;   in Loop: Header=BB313_360 Depth=1
	v_lshrrev_b32_e32 v15, 24, v16
	v_bfrev_b32_e32 v52, 1
	s_mov_b32 s15, exec_lo
	s_delay_alu instid0(VALU_DEP_2)
	v_cmpx_ne_u32_e32 0x80, v15
	s_cbranch_execz .LBB313_606
; %bb.601:                              ;   in Loop: Header=BB313_360 Depth=1
	v_and_b32_e32 v53, 0x7f, v15
	v_mov_b32_e32 v52, 0x7fc02000
	s_mov_b32 s17, exec_lo
	s_delay_alu instid0(VALU_DEP_2)
	v_cmpx_ne_u32_e32 0x7f, v53
	s_cbranch_execz .LBB313_605
; %bb.602:                              ;   in Loop: Header=BB313_360 Depth=1
	v_and_b32_e32 v11, 7, v15
	v_lshrrev_b32_e32 v16, 3, v53
	s_mov_b32 s18, exec_lo
	v_cmpx_gt_u32_e32 8, v53
; %bb.603:                              ;   in Loop: Header=BB313_360 Depth=1
	s_delay_alu instid0(VALU_DEP_3) | instskip(NEXT) | instid1(VALU_DEP_1)
	v_clz_i32_u32_e32 v16, v11
	v_min_u32_e32 v16, 32, v16
	s_delay_alu instid0(VALU_DEP_1) | instskip(SKIP_1) | instid1(VALU_DEP_2)
	v_subrev_nc_u32_e32 v52, 28, v16
	v_sub_nc_u32_e32 v16, 29, v16
	v_lshlrev_b64 v[52:53], v52, v[11:12]
	s_delay_alu instid0(VALU_DEP_1)
	v_and_b32_e32 v11, 7, v52
; %bb.604:                              ;   in Loop: Header=BB313_360 Depth=1
	s_or_b32 exec_lo, exec_lo, s18
	v_lshlrev_b32_e32 v15, 8, v15
	v_lshl_add_u32 v16, v16, 10, 0x2000
	s_delay_alu instid0(VALU_DEP_1) | instskip(NEXT) | instid1(VALU_DEP_1)
	v_and_or_b32 v15, 0x8000, v15, v16
	v_lshl_or_b32 v11, v11, 7, v15
	s_delay_alu instid0(VALU_DEP_1)
	v_cvt_f32_f16_e32 v52, v11
.LBB313_605:                            ;   in Loop: Header=BB313_360 Depth=1
	s_or_b32 exec_lo, exec_lo, s17
.LBB313_606:                            ;   in Loop: Header=BB313_360 Depth=1
	s_delay_alu instid0(SALU_CYCLE_1)
	s_or_b32 exec_lo, exec_lo, s15
.LBB313_607:                            ;   in Loop: Header=BB313_360 Depth=1
	s_delay_alu instid0(SALU_CYCLE_1)
	s_or_b32 exec_lo, exec_lo, s8
	s_waitcnt vmcnt(0)
	v_fma_mixlo_f16 v16, v44, v46, 0
	v_fma_mixlo_f16 v11, v44, v48, 0
	;; [unrolled: 1-line block ×5, first 2 shown]
	v_lshlrev_b32_e32 v46, 16, v16
	v_fma_mixlo_f16 v48, v44, v49, 0
	v_fma_mixlo_f16 v49, v44, v52, 0
	;; [unrolled: 1-line block ×3, first 2 shown]
	v_lshlrev_b32_e32 v11, 16, v11
	v_and_b32_e32 v15, 0xffff, v15
	v_and_b32_e32 v45, 0xffff, v45
	v_lshlrev_b32_e32 v47, 16, v47
	v_and_b32_e32 v48, 0xffff, v48
	v_lshlrev_b32_e32 v49, 16, v49
	v_and_b32_e32 v50, 0xffff, v16
	v_or_b32_e32 v44, v11, v15
	v_or_b32_e32 v45, v46, v45
	;; [unrolled: 1-line block ×3, first 2 shown]
	s_delay_alu instid0(VALU_DEP_4)
	v_or_b32_e32 v15, v49, v50
	s_and_saveexec_b32 s8, vcc_lo
	s_cbranch_execz .LBB313_609
; %bb.608:                              ;   in Loop: Header=BB313_360 Depth=1
	v_cmp_gt_i32_e64 s0, s33, v26
	v_lshrrev_b32_e32 v46, 16, v45
	v_lshrrev_b32_e32 v47, 16, v44
	;; [unrolled: 1-line block ×4, first 2 shown]
	v_cndmask_b32_e64 v45, 0, v45, s0
	v_cmp_gt_i32_e64 s0, s6, v33
	s_delay_alu instid0(VALU_DEP_1) | instskip(SKIP_1) | instid1(VALU_DEP_2)
	v_cndmask_b32_e64 v46, 0, v46, s0
	v_cmp_gt_i32_e64 s0, s6, v32
	v_perm_b32 v45, v46, v45, 0x5040100
	s_delay_alu instid0(VALU_DEP_2) | instskip(SKIP_1) | instid1(VALU_DEP_1)
	v_cndmask_b32_e64 v47, 0, v47, s0
	v_cmp_gt_i32_e64 s0, s33, v31
	v_cndmask_b32_e64 v44, 0, v44, s0
	v_cmp_gt_i32_e64 s0, s6, v30
	s_delay_alu instid0(VALU_DEP_2) | instskip(NEXT) | instid1(VALU_DEP_2)
	v_perm_b32 v44, v47, v44, 0x5040100
	v_cndmask_b32_e64 v48, 0, v48, s0
	v_cmp_gt_i32_e64 s0, s33, v29
	s_delay_alu instid0(VALU_DEP_1) | instskip(SKIP_1) | instid1(VALU_DEP_2)
	v_cndmask_b32_e64 v11, 0, v11, s0
	v_cmp_gt_i32_e64 s0, s6, v28
	v_perm_b32 v11, v48, v11, 0x5040100
	s_delay_alu instid0(VALU_DEP_2) | instskip(SKIP_1) | instid1(VALU_DEP_1)
	v_cndmask_b32_e64 v15, 0, v15, s0
	v_cmp_gt_i32_e64 s0, s33, v27
	v_cndmask_b32_e64 v16, 0, v16, s0
	s_delay_alu instid0(VALU_DEP_1)
	v_perm_b32 v15, v15, v16, 0x5040100
.LBB313_609:                            ;   in Loop: Header=BB313_360 Depth=1
	s_or_b32 exec_lo, exec_lo, s8
	;;#ASMSTART
	v_pk_mul_f16 v16, v37, v45;

	;;#ASMEND
	;;#ASMSTART
	v_pk_mul_f16 v44, v36, v44;

	;;#ASMEND
	;; [unrolled: 4-line block ×4, first 2 shown]
	;;#ASMSTART
	v_pk_add_f16 v16, v16, v44;

	;;#ASMEND
	;;#ASMSTART
	v_pk_add_f16 v11, v16, v11;

	;;#ASMEND
	;; [unrolled: 4-line block ×3, first 2 shown]
	v_dual_mov_b32 v46, 0 :: v_dual_and_b32 v15, 0xffff, v11
	v_lshrrev_b32_e32 v11, 16, v11
	;;#ASMSTART
	v_cvt_f32_f16 v15, v15;
	;;#ASMEND
	;;#ASMSTART
	v_cvt_f32_f16 v16, v11;
	;;#ASMEND
	global_load_b64 v[13:14], v[13:14], off offset:1024
	global_load_b32 v44, v12, s[10:11]
	v_mov_b32_e32 v45, 0
	s_mov_b32 s8, exec_lo
	s_waitcnt vmcnt(1)
	v_and_b32_e32 v11, 0xff, v13
	s_delay_alu instid0(VALU_DEP_1)
	v_cmpx_ne_u16_e32 0, v11
	s_cbranch_execz .LBB313_615
; %bb.610:                              ;   in Loop: Header=BB313_360 Depth=1
	v_bfrev_b32_e32 v45, 1
	s_mov_b32 s15, exec_lo
	v_cmpx_ne_u16_e32 0x80, v11
	s_cbranch_execz .LBB313_614
; %bb.611:                              ;   in Loop: Header=BB313_360 Depth=1
	v_and_b32_e32 v11, 0x7f, v13
	v_mov_b32_e32 v45, 0x7fc02000
	s_mov_b32 s17, exec_lo
	s_delay_alu instid0(VALU_DEP_2)
	v_cmpx_ne_u32_e32 0x7f, v11
	s_cbranch_execz .LBB313_613
; %bb.612:                              ;   in Loop: Header=BB313_360 Depth=1
	v_and_b32_e32 v45, 7, v13
	v_cmp_gt_u32_e64 s0, 8, v11
	v_lshrrev_b32_e32 v47, 3, v11
	s_delay_alu instid0(VALU_DEP_3) | instskip(NEXT) | instid1(VALU_DEP_1)
	v_clz_i32_u32_e32 v45, v45
	v_min_u32_e32 v45, 32, v45
	s_delay_alu instid0(VALU_DEP_1) | instskip(SKIP_1) | instid1(VALU_DEP_2)
	v_subrev_nc_u32_e32 v48, 28, v45
	v_sub_nc_u32_e32 v45, 29, v45
	v_cndmask_b32_e64 v11, 0, v48, s0
	s_delay_alu instid0(VALU_DEP_2) | instskip(NEXT) | instid1(VALU_DEP_2)
	v_cndmask_b32_e64 v45, v47, v45, s0
	v_lshlrev_b64 v[47:48], v11, v[13:14]
	v_lshlrev_b32_e32 v11, 8, v13
	s_delay_alu instid0(VALU_DEP_3) | instskip(NEXT) | instid1(VALU_DEP_3)
	v_lshl_add_u32 v45, v45, 10, 0x2000
	v_lshlrev_b32_e32 v47, 7, v47
	s_delay_alu instid0(VALU_DEP_2) | instskip(NEXT) | instid1(VALU_DEP_1)
	v_and_or_b32 v11, 0x8000, v11, v45
	v_and_or_b32 v11, 0x380, v47, v11
	s_delay_alu instid0(VALU_DEP_1)
	v_cvt_f32_f16_e32 v45, v11
.LBB313_613:                            ;   in Loop: Header=BB313_360 Depth=1
	s_or_b32 exec_lo, exec_lo, s17
.LBB313_614:                            ;   in Loop: Header=BB313_360 Depth=1
	s_delay_alu instid0(SALU_CYCLE_1)
	s_or_b32 exec_lo, exec_lo, s15
.LBB313_615:                            ;   in Loop: Header=BB313_360 Depth=1
	s_delay_alu instid0(SALU_CYCLE_1) | instskip(SKIP_2) | instid1(VALU_DEP_1)
	s_or_b32 exec_lo, exec_lo, s8
	v_lshrrev_b16 v11, 8, v13
	s_mov_b32 s8, exec_lo
	v_cmpx_ne_u16_e32 0, v11
	s_cbranch_execz .LBB313_623
; %bb.616:                              ;   in Loop: Header=BB313_360 Depth=1
	v_bfrev_b32_e32 v46, 1
	s_mov_b32 s15, exec_lo
	v_cmpx_ne_u16_e32 0x80, v11
	s_cbranch_execz .LBB313_622
; %bb.617:                              ;   in Loop: Header=BB313_360 Depth=1
	v_and_b32_e32 v47, 0xffff, v11
	v_mov_b32_e32 v46, 0x7fc02000
	s_mov_b32 s17, exec_lo
	s_delay_alu instid0(VALU_DEP_2) | instskip(NEXT) | instid1(VALU_DEP_1)
	v_and_b32_e32 v48, 0x7f, v47
	v_cmpx_ne_u32_e32 0x7f, v48
	s_cbranch_execz .LBB313_621
; %bb.618:                              ;   in Loop: Header=BB313_360 Depth=1
	v_and_b32_e32 v11, 7, v47
	v_lshrrev_b32_e32 v46, 3, v48
	s_mov_b32 s18, exec_lo
	v_cmpx_gt_u32_e32 8, v48
; %bb.619:                              ;   in Loop: Header=BB313_360 Depth=1
	s_delay_alu instid0(VALU_DEP_3) | instskip(NEXT) | instid1(VALU_DEP_1)
	v_clz_i32_u32_e32 v46, v11
	v_min_u32_e32 v46, 32, v46
	s_delay_alu instid0(VALU_DEP_1) | instskip(SKIP_1) | instid1(VALU_DEP_2)
	v_subrev_nc_u32_e32 v48, 28, v46
	v_sub_nc_u32_e32 v46, 29, v46
	v_lshlrev_b64 v[48:49], v48, v[11:12]
	s_delay_alu instid0(VALU_DEP_1)
	v_and_b32_e32 v11, 7, v48
; %bb.620:                              ;   in Loop: Header=BB313_360 Depth=1
	s_or_b32 exec_lo, exec_lo, s18
	v_lshlrev_b32_e32 v47, 8, v47
	v_lshl_add_u32 v46, v46, 10, 0x2000
	s_delay_alu instid0(VALU_DEP_1) | instskip(NEXT) | instid1(VALU_DEP_1)
	v_and_or_b32 v46, 0x8000, v47, v46
	v_lshl_or_b32 v11, v11, 7, v46
	s_delay_alu instid0(VALU_DEP_1)
	v_cvt_f32_f16_e32 v46, v11
.LBB313_621:                            ;   in Loop: Header=BB313_360 Depth=1
	s_or_b32 exec_lo, exec_lo, s17
.LBB313_622:                            ;   in Loop: Header=BB313_360 Depth=1
	s_delay_alu instid0(SALU_CYCLE_1)
	s_or_b32 exec_lo, exec_lo, s15
.LBB313_623:                            ;   in Loop: Header=BB313_360 Depth=1
	s_delay_alu instid0(SALU_CYCLE_1) | instskip(SKIP_3) | instid1(VALU_DEP_2)
	s_or_b32 exec_lo, exec_lo, s8
	v_lshrrev_b32_e32 v49, 16, v13
	v_mov_b32_e32 v47, 0
	s_mov_b32 s8, exec_lo
	v_dual_mov_b32 v48, 0 :: v_dual_and_b32 v11, 0xff, v49
	s_delay_alu instid0(VALU_DEP_1)
	v_cmpx_ne_u16_e32 0, v11
	s_cbranch_execz .LBB313_631
; %bb.624:                              ;   in Loop: Header=BB313_360 Depth=1
	v_bfrev_b32_e32 v47, 1
	s_mov_b32 s15, exec_lo
	v_cmpx_ne_u16_e32 0x80, v11
	s_cbranch_execz .LBB313_630
; %bb.625:                              ;   in Loop: Header=BB313_360 Depth=1
	v_bfe_u32 v50, v13, 16, 7
	v_mov_b32_e32 v47, 0x7fc02000
	s_mov_b32 s17, exec_lo
	s_delay_alu instid0(VALU_DEP_2)
	v_cmpx_ne_u32_e32 0x7f, v50
	s_cbranch_execz .LBB313_629
; %bb.626:                              ;   in Loop: Header=BB313_360 Depth=1
	v_and_b32_e32 v11, 7, v49
	v_lshrrev_b32_e32 v47, 3, v50
	s_mov_b32 s18, exec_lo
	v_cmpx_gt_u32_e32 8, v50
; %bb.627:                              ;   in Loop: Header=BB313_360 Depth=1
	s_delay_alu instid0(VALU_DEP_3) | instskip(NEXT) | instid1(VALU_DEP_1)
	v_clz_i32_u32_e32 v47, v11
	v_min_u32_e32 v47, 32, v47
	s_delay_alu instid0(VALU_DEP_1) | instskip(SKIP_1) | instid1(VALU_DEP_2)
	v_subrev_nc_u32_e32 v50, 28, v47
	v_sub_nc_u32_e32 v47, 29, v47
	v_lshlrev_b64 v[50:51], v50, v[11:12]
	s_delay_alu instid0(VALU_DEP_1)
	v_and_b32_e32 v11, 7, v50
; %bb.628:                              ;   in Loop: Header=BB313_360 Depth=1
	s_or_b32 exec_lo, exec_lo, s18
	v_lshlrev_b32_e32 v49, 8, v49
	v_lshl_add_u32 v47, v47, 10, 0x2000
	s_delay_alu instid0(VALU_DEP_1) | instskip(NEXT) | instid1(VALU_DEP_1)
	v_and_or_b32 v47, 0x8000, v49, v47
	v_lshl_or_b32 v11, v11, 7, v47
	s_delay_alu instid0(VALU_DEP_1)
	v_cvt_f32_f16_e32 v47, v11
.LBB313_629:                            ;   in Loop: Header=BB313_360 Depth=1
	s_or_b32 exec_lo, exec_lo, s17
.LBB313_630:                            ;   in Loop: Header=BB313_360 Depth=1
	s_delay_alu instid0(SALU_CYCLE_1)
	s_or_b32 exec_lo, exec_lo, s15
.LBB313_631:                            ;   in Loop: Header=BB313_360 Depth=1
	s_delay_alu instid0(SALU_CYCLE_1) | instskip(NEXT) | instid1(SALU_CYCLE_1)
	s_or_b32 exec_lo, exec_lo, s8
	s_mov_b32 s8, exec_lo
	v_cmpx_lt_u32_e32 0xffffff, v13
	s_cbranch_execz .LBB313_639
; %bb.632:                              ;   in Loop: Header=BB313_360 Depth=1
	v_lshrrev_b32_e32 v49, 24, v13
	v_bfrev_b32_e32 v48, 1
	s_mov_b32 s15, exec_lo
	s_delay_alu instid0(VALU_DEP_2)
	v_cmpx_ne_u32_e32 0x80, v49
	s_cbranch_execz .LBB313_638
; %bb.633:                              ;   in Loop: Header=BB313_360 Depth=1
	v_and_b32_e32 v50, 0x7f, v49
	v_mov_b32_e32 v48, 0x7fc02000
	s_mov_b32 s17, exec_lo
	s_delay_alu instid0(VALU_DEP_2)
	v_cmpx_ne_u32_e32 0x7f, v50
	s_cbranch_execz .LBB313_637
; %bb.634:                              ;   in Loop: Header=BB313_360 Depth=1
	v_and_b32_e32 v11, 7, v49
	v_lshrrev_b32_e32 v48, 3, v50
	s_mov_b32 s18, exec_lo
	v_cmpx_gt_u32_e32 8, v50
; %bb.635:                              ;   in Loop: Header=BB313_360 Depth=1
	s_delay_alu instid0(VALU_DEP_3) | instskip(NEXT) | instid1(VALU_DEP_1)
	v_clz_i32_u32_e32 v48, v11
	v_min_u32_e32 v48, 32, v48
	s_delay_alu instid0(VALU_DEP_1) | instskip(SKIP_1) | instid1(VALU_DEP_2)
	v_subrev_nc_u32_e32 v50, 28, v48
	v_sub_nc_u32_e32 v48, 29, v48
	v_lshlrev_b64 v[50:51], v50, v[11:12]
	s_delay_alu instid0(VALU_DEP_1)
	v_and_b32_e32 v11, 7, v50
; %bb.636:                              ;   in Loop: Header=BB313_360 Depth=1
	s_or_b32 exec_lo, exec_lo, s18
	v_lshlrev_b32_e32 v49, 8, v49
	v_lshl_add_u32 v48, v48, 10, 0x2000
	s_delay_alu instid0(VALU_DEP_1) | instskip(NEXT) | instid1(VALU_DEP_1)
	v_and_or_b32 v48, 0x8000, v49, v48
	v_lshl_or_b32 v11, v11, 7, v48
	s_delay_alu instid0(VALU_DEP_1)
	v_cvt_f32_f16_e32 v48, v11
.LBB313_637:                            ;   in Loop: Header=BB313_360 Depth=1
	s_or_b32 exec_lo, exec_lo, s17
.LBB313_638:                            ;   in Loop: Header=BB313_360 Depth=1
	s_delay_alu instid0(SALU_CYCLE_1)
	s_or_b32 exec_lo, exec_lo, s15
.LBB313_639:                            ;   in Loop: Header=BB313_360 Depth=1
	s_delay_alu instid0(SALU_CYCLE_1) | instskip(SKIP_4) | instid1(VALU_DEP_3)
	s_or_b32 exec_lo, exec_lo, s8
	v_dual_mov_b32 v50, 0 :: v_dual_and_b32 v51, 0xff, v14
	v_mov_b32_e32 v11, v14
	v_mov_b32_e32 v49, 0
	s_mov_b32 s8, exec_lo
	v_cmpx_ne_u16_e32 0, v51
	s_cbranch_execz .LBB313_645
; %bb.640:                              ;   in Loop: Header=BB313_360 Depth=1
	v_bfrev_b32_e32 v49, 1
	s_mov_b32 s15, exec_lo
	v_cmpx_ne_u16_e32 0x80, v51
	s_cbranch_execz .LBB313_644
; %bb.641:                              ;   in Loop: Header=BB313_360 Depth=1
	v_and_b32_e32 v51, 0x7f, v14
	v_mov_b32_e32 v49, 0x7fc02000
	s_mov_b32 s17, exec_lo
	s_delay_alu instid0(VALU_DEP_2)
	v_cmpx_ne_u32_e32 0x7f, v51
	s_cbranch_execz .LBB313_643
; %bb.642:                              ;   in Loop: Header=BB313_360 Depth=1
	v_and_b32_e32 v49, 7, v14
	v_cmp_gt_u32_e64 s0, 8, v51
	v_lshrrev_b32_e32 v52, 3, v51
	s_delay_alu instid0(VALU_DEP_3) | instskip(NEXT) | instid1(VALU_DEP_1)
	v_clz_i32_u32_e32 v49, v49
	v_min_u32_e32 v49, 32, v49
	s_delay_alu instid0(VALU_DEP_1) | instskip(SKIP_1) | instid1(VALU_DEP_2)
	v_subrev_nc_u32_e32 v53, 28, v49
	v_sub_nc_u32_e32 v49, 29, v49
	v_cndmask_b32_e64 v51, 0, v53, s0
	s_delay_alu instid0(VALU_DEP_2) | instskip(NEXT) | instid1(VALU_DEP_2)
	v_cndmask_b32_e64 v49, v52, v49, s0
	v_lshlrev_b64 v[51:52], v51, v[11:12]
	v_lshlrev_b32_e32 v52, 8, v14
	s_delay_alu instid0(VALU_DEP_3) | instskip(NEXT) | instid1(VALU_DEP_3)
	v_lshl_add_u32 v49, v49, 10, 0x2000
	v_lshlrev_b32_e32 v51, 7, v51
	s_delay_alu instid0(VALU_DEP_2) | instskip(NEXT) | instid1(VALU_DEP_1)
	v_and_or_b32 v49, 0x8000, v52, v49
	v_and_or_b32 v49, 0x380, v51, v49
	s_delay_alu instid0(VALU_DEP_1)
	v_cvt_f32_f16_e32 v49, v49
.LBB313_643:                            ;   in Loop: Header=BB313_360 Depth=1
	s_or_b32 exec_lo, exec_lo, s17
.LBB313_644:                            ;   in Loop: Header=BB313_360 Depth=1
	s_delay_alu instid0(SALU_CYCLE_1)
	s_or_b32 exec_lo, exec_lo, s15
.LBB313_645:                            ;   in Loop: Header=BB313_360 Depth=1
	s_delay_alu instid0(SALU_CYCLE_1) | instskip(SKIP_2) | instid1(VALU_DEP_1)
	s_or_b32 exec_lo, exec_lo, s8
	v_lshrrev_b16 v11, 8, v11
	s_mov_b32 s8, exec_lo
	v_cmpx_ne_u16_e32 0, v11
	s_cbranch_execz .LBB313_653
; %bb.646:                              ;   in Loop: Header=BB313_360 Depth=1
	v_bfrev_b32_e32 v50, 1
	s_mov_b32 s15, exec_lo
	v_cmpx_ne_u16_e32 0x80, v11
	s_cbranch_execz .LBB313_652
; %bb.647:                              ;   in Loop: Header=BB313_360 Depth=1
	v_and_b32_e32 v51, 0xffff, v11
	v_mov_b32_e32 v50, 0x7fc02000
	s_mov_b32 s17, exec_lo
	s_delay_alu instid0(VALU_DEP_2) | instskip(NEXT) | instid1(VALU_DEP_1)
	v_and_b32_e32 v52, 0x7f, v51
	v_cmpx_ne_u32_e32 0x7f, v52
	s_cbranch_execz .LBB313_651
; %bb.648:                              ;   in Loop: Header=BB313_360 Depth=1
	v_and_b32_e32 v11, 7, v51
	v_lshrrev_b32_e32 v50, 3, v52
	s_mov_b32 s18, exec_lo
	v_cmpx_gt_u32_e32 8, v52
; %bb.649:                              ;   in Loop: Header=BB313_360 Depth=1
	s_delay_alu instid0(VALU_DEP_3) | instskip(NEXT) | instid1(VALU_DEP_1)
	v_clz_i32_u32_e32 v50, v11
	v_min_u32_e32 v50, 32, v50
	s_delay_alu instid0(VALU_DEP_1) | instskip(SKIP_1) | instid1(VALU_DEP_2)
	v_subrev_nc_u32_e32 v52, 28, v50
	v_sub_nc_u32_e32 v50, 29, v50
	v_lshlrev_b64 v[52:53], v52, v[11:12]
	s_delay_alu instid0(VALU_DEP_1)
	v_and_b32_e32 v11, 7, v52
; %bb.650:                              ;   in Loop: Header=BB313_360 Depth=1
	s_or_b32 exec_lo, exec_lo, s18
	v_lshlrev_b32_e32 v51, 8, v51
	v_lshl_add_u32 v50, v50, 10, 0x2000
	s_delay_alu instid0(VALU_DEP_1) | instskip(NEXT) | instid1(VALU_DEP_1)
	v_and_or_b32 v50, 0x8000, v51, v50
	v_lshl_or_b32 v11, v11, 7, v50
	s_delay_alu instid0(VALU_DEP_1)
	v_cvt_f32_f16_e32 v50, v11
.LBB313_651:                            ;   in Loop: Header=BB313_360 Depth=1
	s_or_b32 exec_lo, exec_lo, s17
.LBB313_652:                            ;   in Loop: Header=BB313_360 Depth=1
	s_delay_alu instid0(SALU_CYCLE_1)
	s_or_b32 exec_lo, exec_lo, s15
.LBB313_653:                            ;   in Loop: Header=BB313_360 Depth=1
	s_delay_alu instid0(SALU_CYCLE_1) | instskip(SKIP_3) | instid1(VALU_DEP_2)
	s_or_b32 exec_lo, exec_lo, s8
	v_lshrrev_b32_e32 v53, 16, v14
	v_mov_b32_e32 v51, 0
	s_mov_b32 s8, exec_lo
	v_dual_mov_b32 v52, 0 :: v_dual_and_b32 v11, 0xff, v53
	s_delay_alu instid0(VALU_DEP_1)
	v_cmpx_ne_u16_e32 0, v11
	s_cbranch_execz .LBB313_661
; %bb.654:                              ;   in Loop: Header=BB313_360 Depth=1
	v_bfrev_b32_e32 v51, 1
	s_mov_b32 s15, exec_lo
	v_cmpx_ne_u16_e32 0x80, v11
	s_cbranch_execz .LBB313_660
; %bb.655:                              ;   in Loop: Header=BB313_360 Depth=1
	v_bfe_u32 v54, v14, 16, 7
	v_mov_b32_e32 v51, 0x7fc02000
	s_mov_b32 s17, exec_lo
	s_delay_alu instid0(VALU_DEP_2)
	v_cmpx_ne_u32_e32 0x7f, v54
	s_cbranch_execz .LBB313_659
; %bb.656:                              ;   in Loop: Header=BB313_360 Depth=1
	v_and_b32_e32 v11, 7, v53
	v_lshrrev_b32_e32 v51, 3, v54
	s_mov_b32 s18, exec_lo
	v_cmpx_gt_u32_e32 8, v54
; %bb.657:                              ;   in Loop: Header=BB313_360 Depth=1
	s_delay_alu instid0(VALU_DEP_3) | instskip(NEXT) | instid1(VALU_DEP_1)
	v_clz_i32_u32_e32 v51, v11
	v_min_u32_e32 v51, 32, v51
	s_delay_alu instid0(VALU_DEP_1) | instskip(SKIP_1) | instid1(VALU_DEP_2)
	v_subrev_nc_u32_e32 v54, 28, v51
	v_sub_nc_u32_e32 v51, 29, v51
	v_lshlrev_b64 v[54:55], v54, v[11:12]
	s_delay_alu instid0(VALU_DEP_1)
	v_and_b32_e32 v11, 7, v54
; %bb.658:                              ;   in Loop: Header=BB313_360 Depth=1
	s_or_b32 exec_lo, exec_lo, s18
	v_lshlrev_b32_e32 v53, 8, v53
	v_lshl_add_u32 v51, v51, 10, 0x2000
	s_delay_alu instid0(VALU_DEP_1) | instskip(NEXT) | instid1(VALU_DEP_1)
	v_and_or_b32 v51, 0x8000, v53, v51
	v_lshl_or_b32 v11, v11, 7, v51
	s_delay_alu instid0(VALU_DEP_1)
	v_cvt_f32_f16_e32 v51, v11
.LBB313_659:                            ;   in Loop: Header=BB313_360 Depth=1
	s_or_b32 exec_lo, exec_lo, s17
.LBB313_660:                            ;   in Loop: Header=BB313_360 Depth=1
	s_delay_alu instid0(SALU_CYCLE_1)
	s_or_b32 exec_lo, exec_lo, s15
.LBB313_661:                            ;   in Loop: Header=BB313_360 Depth=1
	s_delay_alu instid0(SALU_CYCLE_1) | instskip(NEXT) | instid1(SALU_CYCLE_1)
	s_or_b32 exec_lo, exec_lo, s8
	s_mov_b32 s8, exec_lo
	v_cmpx_lt_u64_e64 s[2:3], v[13:14]
	s_cbranch_execz .LBB313_669
; %bb.662:                              ;   in Loop: Header=BB313_360 Depth=1
	v_lshrrev_b32_e32 v13, 24, v14
	v_bfrev_b32_e32 v52, 1
	s_mov_b32 s15, exec_lo
	s_delay_alu instid0(VALU_DEP_2)
	v_cmpx_ne_u32_e32 0x80, v13
	s_cbranch_execz .LBB313_668
; %bb.663:                              ;   in Loop: Header=BB313_360 Depth=1
	v_and_b32_e32 v53, 0x7f, v13
	v_mov_b32_e32 v52, 0x7fc02000
	s_mov_b32 s17, exec_lo
	s_delay_alu instid0(VALU_DEP_2)
	v_cmpx_ne_u32_e32 0x7f, v53
	s_cbranch_execz .LBB313_667
; %bb.664:                              ;   in Loop: Header=BB313_360 Depth=1
	v_and_b32_e32 v11, 7, v13
	v_lshrrev_b32_e32 v14, 3, v53
	s_mov_b32 s18, exec_lo
	v_cmpx_gt_u32_e32 8, v53
; %bb.665:                              ;   in Loop: Header=BB313_360 Depth=1
	s_delay_alu instid0(VALU_DEP_3) | instskip(NEXT) | instid1(VALU_DEP_1)
	v_clz_i32_u32_e32 v14, v11
	v_min_u32_e32 v14, 32, v14
	s_delay_alu instid0(VALU_DEP_1) | instskip(SKIP_1) | instid1(VALU_DEP_2)
	v_subrev_nc_u32_e32 v52, 28, v14
	v_sub_nc_u32_e32 v14, 29, v14
	v_lshlrev_b64 v[52:53], v52, v[11:12]
	s_delay_alu instid0(VALU_DEP_1)
	v_and_b32_e32 v11, 7, v52
; %bb.666:                              ;   in Loop: Header=BB313_360 Depth=1
	s_or_b32 exec_lo, exec_lo, s18
	v_lshlrev_b32_e32 v13, 8, v13
	v_lshl_add_u32 v14, v14, 10, 0x2000
	s_delay_alu instid0(VALU_DEP_1) | instskip(NEXT) | instid1(VALU_DEP_1)
	v_and_or_b32 v13, 0x8000, v13, v14
	v_lshl_or_b32 v11, v11, 7, v13
	s_delay_alu instid0(VALU_DEP_1)
	v_cvt_f32_f16_e32 v52, v11
.LBB313_667:                            ;   in Loop: Header=BB313_360 Depth=1
	s_or_b32 exec_lo, exec_lo, s17
.LBB313_668:                            ;   in Loop: Header=BB313_360 Depth=1
	s_delay_alu instid0(SALU_CYCLE_1)
	s_or_b32 exec_lo, exec_lo, s15
.LBB313_669:                            ;   in Loop: Header=BB313_360 Depth=1
	s_delay_alu instid0(SALU_CYCLE_1)
	s_or_b32 exec_lo, exec_lo, s8
	s_waitcnt vmcnt(0)
	v_fma_mixlo_f16 v14, v44, v46, 0
	v_fma_mixlo_f16 v11, v44, v48, 0
	v_fma_mixlo_f16 v13, v44, v47, 0
	v_fma_mixlo_f16 v47, v44, v49, 0
	v_fma_mixlo_f16 v48, v44, v52, 0
	v_lshlrev_b32_e32 v46, 16, v14
	v_fma_mixlo_f16 v14, v44, v45, 0
	v_fma_mixlo_f16 v45, v44, v50, 0
	;; [unrolled: 1-line block ×3, first 2 shown]
	v_lshlrev_b32_e32 v11, 16, v11
	v_and_b32_e32 v13, 0xffff, v13
	v_and_b32_e32 v49, 0xffff, v14
	v_lshlrev_b32_e32 v50, 16, v45
	v_and_b32_e32 v47, 0xffff, v47
	v_lshlrev_b32_e32 v48, 16, v48
	v_and_b32_e32 v51, 0xffff, v44
	v_or_b32_e32 v14, v11, v13
	v_or_b32_e32 v45, v46, v49
	;; [unrolled: 1-line block ×3, first 2 shown]
	s_delay_alu instid0(VALU_DEP_4)
	v_or_b32_e32 v13, v48, v51
	s_and_saveexec_b32 s0, vcc_lo
	s_cbranch_execz .LBB313_358
; %bb.670:                              ;   in Loop: Header=BB313_360 Depth=1
	v_cmp_gt_i32_e32 vcc_lo, s33, v26
	v_lshrrev_b32_e32 v46, 16, v45
	v_lshrrev_b32_e32 v47, 16, v14
	v_lshrrev_b32_e32 v13, 16, v13
	v_cndmask_b32_e32 v26, 0, v45, vcc_lo
	v_cmp_gt_i32_e32 vcc_lo, s6, v33
	v_lshrrev_b32_e32 v45, 16, v11
	v_cndmask_b32_e32 v33, 0, v46, vcc_lo
	v_cmp_gt_i32_e32 vcc_lo, s6, v32
	v_cndmask_b32_e32 v32, 0, v47, vcc_lo
	v_cmp_gt_i32_e32 vcc_lo, s33, v31
	;; [unrolled: 2-line block ×4, first 2 shown]
	v_perm_b32 v45, v33, v26, 0x5040100
	v_cndmask_b32_e32 v11, 0, v11, vcc_lo
	v_cmp_gt_i32_e32 vcc_lo, s6, v28
	v_cndmask_b32_e32 v13, 0, v13, vcc_lo
	v_cmp_gt_i32_e32 vcc_lo, s33, v27
	v_perm_b32 v14, v32, v14, 0x5040100
	v_cndmask_b32_e32 v27, 0, v44, vcc_lo
	v_perm_b32 v11, v30, v11, 0x5040100
	s_delay_alu instid0(VALU_DEP_2)
	v_perm_b32 v13, v13, v27, 0x5040100
	s_branch .LBB313_358
.LBB313_671:
	s_or_b32 exec_lo, exec_lo, s4
.LBB313_672:
	s_delay_alu instid0(SALU_CYCLE_1)
	s_or_b32 exec_lo, exec_lo, s1
	ds_bpermute_b32 v6, v22, v1
	ds_bpermute_b32 v10, v22, v2
	;; [unrolled: 1-line block ×5, first 2 shown]
	v_and_b32_e32 v7, 0x3c1, v0
	v_lshrrev_b32_e32 v8, 1, v21
	s_movk_i32 s0, 0x140
	s_waitcnt lgkmcnt(0)
	s_waitcnt_vscnt null, 0x0
	v_mad_u32_u24 v9, v19, s0, 0xc0
	v_cmp_eq_u32_e32 vcc_lo, 64, v7
	s_barrier
	buffer_gl0_inv
	v_add_f32_e32 v7, v1, v6
	v_dual_add_f32 v6, v2, v10 :: v_dual_add_f32 v3, v3, v11
	v_add_f32_e32 v2, v4, v12
	v_dual_add_f32 v1, v5, v13 :: v_dual_lshlrev_b32 v4, 2, v8
	s_and_saveexec_b32 s0, vcc_lo
	s_cbranch_execz .LBB313_674
; %bb.673:
	s_delay_alu instid0(VALU_DEP_1)
	v_add3_u32 v5, v9, v4, 0xfffffd80
	ds_store_2addr_b32 v5, v7, v6 offset1:16
	ds_store_2addr_b32 v5, v3, v2 offset0:32 offset1:48
	ds_store_b32 v5, v1 offset:256
.LBB313_674:
	s_or_b32 exec_lo, exec_lo, s0
	v_cmp_eq_u32_e32 vcc_lo, 0, v18
	s_mov_b32 s1, exec_lo
	s_waitcnt lgkmcnt(0)
	s_barrier
	buffer_gl0_inv
	v_cmpx_gt_u32_e32 64, v0
	s_cbranch_execz .LBB313_682
; %bb.675:
	s_and_saveexec_b32 s0, vcc_lo
	s_cbranch_execnz .LBB313_695
; %bb.676:
	s_or_b32 exec_lo, exec_lo, s0
	s_and_saveexec_b32 s0, vcc_lo
	s_cbranch_execnz .LBB313_696
.LBB313_677:
	s_or_b32 exec_lo, exec_lo, s0
	s_and_saveexec_b32 s0, vcc_lo
	s_cbranch_execnz .LBB313_697
.LBB313_678:
	s_or_b32 exec_lo, exec_lo, s0
	s_and_saveexec_b32 s0, vcc_lo
	s_cbranch_execnz .LBB313_698
.LBB313_679:
	s_or_b32 exec_lo, exec_lo, s0
	s_and_saveexec_b32 s0, vcc_lo
	s_cbranch_execz .LBB313_681
.LBB313_680:
	v_lshl_add_u32 v5, v8, 2, v9
	ds_load_b32 v5, v5 offset:256
	s_waitcnt lgkmcnt(0)
	v_add_f32_e32 v1, v1, v5
.LBB313_681:
	s_or_b32 exec_lo, exec_lo, s0
.LBB313_682:
	s_delay_alu instid0(SALU_CYCLE_1)
	s_or_b32 exec_lo, exec_lo, s1
	v_and_b32_e32 v5, 0x3e1, v0
	s_mov_b32 s1, exec_lo
	s_barrier
	buffer_gl0_inv
	v_cmpx_eq_u32_e32 32, v5
	s_cbranch_execz .LBB313_684
; %bb.683:
	v_add3_u32 v4, v9, v4, 0xfffffec0
	ds_store_2addr_b32 v4, v7, v6 offset1:16
	ds_store_2addr_b32 v4, v3, v2 offset0:32 offset1:48
	ds_store_b32 v4, v1 offset:256
.LBB313_684:
	s_or_b32 exec_lo, exec_lo, s1
	s_delay_alu instid0(SALU_CYCLE_1)
	s_mov_b32 s1, exec_lo
	s_waitcnt lgkmcnt(0)
	s_barrier
	buffer_gl0_inv
	v_cmpx_gt_u32_e32 32, v0
	s_cbranch_execz .LBB313_692
; %bb.685:
	v_lshl_add_u32 v0, v8, 2, v9
	s_and_saveexec_b32 s0, vcc_lo
	s_cbranch_execnz .LBB313_699
; %bb.686:
	s_or_b32 exec_lo, exec_lo, s0
	s_and_saveexec_b32 s0, vcc_lo
	s_cbranch_execnz .LBB313_700
.LBB313_687:
	s_or_b32 exec_lo, exec_lo, s0
	s_and_saveexec_b32 s0, vcc_lo
	s_cbranch_execnz .LBB313_701
.LBB313_688:
	s_or_b32 exec_lo, exec_lo, s0
	s_and_saveexec_b32 s0, vcc_lo
	s_cbranch_execnz .LBB313_702
.LBB313_689:
	s_or_b32 exec_lo, exec_lo, s0
	s_and_saveexec_b32 s0, vcc_lo
	s_cbranch_execz .LBB313_691
.LBB313_690:
	ds_load_b32 v0, v0 offset:256
	s_waitcnt lgkmcnt(0)
	v_add_f32_e32 v1, v1, v0
.LBB313_691:
	s_or_b32 exec_lo, exec_lo, s0
.LBB313_692:
	s_delay_alu instid0(SALU_CYCLE_1)
	s_or_b32 exec_lo, exec_lo, s1
	s_barrier
	buffer_gl0_inv
	s_mov_b32 s0, exec_lo
	v_cmpx_eq_u32_e32 0, v5
	s_cbranch_execz .LBB313_694
; %bb.693:
	s_mul_i32 s0, s14, 0x50
	s_mul_i32 s2, s16, s24
	s_ashr_i32 s1, s0, 31
	v_lshlrev_b32_e32 v0, 1, v17
	s_lshl_b64 s[0:1], s[0:1], 1
	;;#ASMSTART
	v_cvt_f16_f32 v4, v7;

	;;#ASMEND
	s_add_u32 s4, s26, s0
	s_addc_u32 s5, s27, s1
	s_ashr_i32 s3, s2, 31
	s_delay_alu instid0(SALU_CYCLE_1) | instskip(SKIP_4) | instid1(SALU_CYCLE_1)
	s_lshl_b64 s[0:1], s[2:3], 1
	s_mul_i32 s2, s12, 0x50
	s_add_u32 s4, s4, s0
	s_addc_u32 s5, s5, s1
	s_ashr_i32 s3, s2, 31
	s_lshl_b64 s[0:1], s[2:3], 1
	s_delay_alu instid0(SALU_CYCLE_1)
	s_add_u32 s0, s4, s0
	s_addc_u32 s1, s5, s1
	global_store_b16 v0, v4, s[0:1]
	;;#ASMSTART
	v_cvt_f16_f32 v4, v6;

	;;#ASMEND
	global_store_b16 v0, v4, s[0:1] offset:32
	;;#ASMSTART
	v_cvt_f16_f32 v3, v3;

	;;#ASMEND
	global_store_b16 v0, v3, s[0:1] offset:64
	;;#ASMSTART
	v_cvt_f16_f32 v2, v2;

	;;#ASMEND
	global_store_b16 v0, v2, s[0:1] offset:96
	;;#ASMSTART
	v_cvt_f16_f32 v1, v1;

	;;#ASMEND
	global_store_b16 v0, v1, s[0:1] offset:128
.LBB313_694:
	s_nop 0
	s_sendmsg sendmsg(MSG_DEALLOC_VGPRS)
	s_endpgm
.LBB313_695:
	v_lshl_add_u32 v5, v8, 2, v9
	ds_load_b32 v5, v5
	s_waitcnt lgkmcnt(0)
	v_add_f32_e32 v7, v7, v5
	s_or_b32 exec_lo, exec_lo, s0
	s_and_saveexec_b32 s0, vcc_lo
	s_cbranch_execz .LBB313_677
.LBB313_696:
	v_lshl_add_u32 v5, v8, 2, v9
	ds_load_b32 v5, v5 offset:64
	s_waitcnt lgkmcnt(0)
	v_add_f32_e32 v6, v6, v5
	s_or_b32 exec_lo, exec_lo, s0
	s_and_saveexec_b32 s0, vcc_lo
	s_cbranch_execz .LBB313_678
.LBB313_697:
	v_lshl_add_u32 v5, v8, 2, v9
	ds_load_b32 v5, v5 offset:128
	s_waitcnt lgkmcnt(0)
	v_add_f32_e32 v3, v3, v5
	s_or_b32 exec_lo, exec_lo, s0
	s_and_saveexec_b32 s0, vcc_lo
	s_cbranch_execz .LBB313_679
.LBB313_698:
	v_lshl_add_u32 v5, v8, 2, v9
	ds_load_b32 v5, v5 offset:192
	s_waitcnt lgkmcnt(0)
	v_add_f32_e32 v2, v2, v5
	s_or_b32 exec_lo, exec_lo, s0
	s_and_saveexec_b32 s0, vcc_lo
	s_cbranch_execnz .LBB313_680
	s_branch .LBB313_681
.LBB313_699:
	ds_load_b32 v4, v0
	s_waitcnt lgkmcnt(0)
	v_add_f32_e32 v7, v7, v4
	s_or_b32 exec_lo, exec_lo, s0
	s_and_saveexec_b32 s0, vcc_lo
	s_cbranch_execz .LBB313_687
.LBB313_700:
	ds_load_b32 v4, v0 offset:64
	s_waitcnt lgkmcnt(0)
	v_add_f32_e32 v6, v6, v4
	s_or_b32 exec_lo, exec_lo, s0
	s_and_saveexec_b32 s0, vcc_lo
	s_cbranch_execz .LBB313_688
.LBB313_701:
	ds_load_b32 v4, v0 offset:128
	s_waitcnt lgkmcnt(0)
	v_add_f32_e32 v3, v3, v4
	s_or_b32 exec_lo, exec_lo, s0
	s_and_saveexec_b32 s0, vcc_lo
	s_cbranch_execz .LBB313_689
.LBB313_702:
	ds_load_b32 v4, v0 offset:192
	s_waitcnt lgkmcnt(0)
	v_add_f32_e32 v2, v2, v4
	s_or_b32 exec_lo, exec_lo, s0
	s_and_saveexec_b32 s0, vcc_lo
	s_cbranch_execnz .LBB313_690
	s_branch .LBB313_691
	.section	.rodata,"a",@progbits
	.p2align	6, 0x0
	.amdhsa_kernel _ZN4vllm25paged_attention_v2_kernelIthLi80ELi16ELi128ELNS_18Fp8KVCacheDataTypeE1ELb1ELi512EEEvPfS2_PT_PKS3_PKT0_S9_ifPKiSB_iPKfiiiSD_SD_iiiii
		.amdhsa_group_segment_fixed_size 192
		.amdhsa_private_segment_fixed_size 0
		.amdhsa_kernarg_size 400
		.amdhsa_user_sgpr_count 13
		.amdhsa_user_sgpr_dispatch_ptr 0
		.amdhsa_user_sgpr_queue_ptr 0
		.amdhsa_user_sgpr_kernarg_segment_ptr 1
		.amdhsa_user_sgpr_dispatch_id 0
		.amdhsa_user_sgpr_private_segment_size 0
		.amdhsa_wavefront_size32 1
		.amdhsa_uses_dynamic_stack 0
		.amdhsa_enable_private_segment 0
		.amdhsa_system_sgpr_workgroup_id_x 1
		.amdhsa_system_sgpr_workgroup_id_y 1
		.amdhsa_system_sgpr_workgroup_id_z 1
		.amdhsa_system_sgpr_workgroup_info 0
		.amdhsa_system_vgpr_workitem_id 0
		.amdhsa_next_free_vgpr 96
		.amdhsa_next_free_sgpr 52
		.amdhsa_reserve_vcc 1
		.amdhsa_float_round_mode_32 0
		.amdhsa_float_round_mode_16_64 0
		.amdhsa_float_denorm_mode_32 3
		.amdhsa_float_denorm_mode_16_64 3
		.amdhsa_dx10_clamp 1
		.amdhsa_ieee_mode 1
		.amdhsa_fp16_overflow 0
		.amdhsa_workgroup_processor_mode 1
		.amdhsa_memory_ordered 1
		.amdhsa_forward_progress 0
		.amdhsa_shared_vgpr_count 0
		.amdhsa_exception_fp_ieee_invalid_op 0
		.amdhsa_exception_fp_denorm_src 0
		.amdhsa_exception_fp_ieee_div_zero 0
		.amdhsa_exception_fp_ieee_overflow 0
		.amdhsa_exception_fp_ieee_underflow 0
		.amdhsa_exception_fp_ieee_inexact 0
		.amdhsa_exception_int_div_zero 0
	.end_amdhsa_kernel
	.section	.text._ZN4vllm25paged_attention_v2_kernelIthLi80ELi16ELi128ELNS_18Fp8KVCacheDataTypeE1ELb1ELi512EEEvPfS2_PT_PKS3_PKT0_S9_ifPKiSB_iPKfiiiSD_SD_iiiii,"axG",@progbits,_ZN4vllm25paged_attention_v2_kernelIthLi80ELi16ELi128ELNS_18Fp8KVCacheDataTypeE1ELb1ELi512EEEvPfS2_PT_PKS3_PKT0_S9_ifPKiSB_iPKfiiiSD_SD_iiiii,comdat
.Lfunc_end313:
	.size	_ZN4vllm25paged_attention_v2_kernelIthLi80ELi16ELi128ELNS_18Fp8KVCacheDataTypeE1ELb1ELi512EEEvPfS2_PT_PKS3_PKT0_S9_ifPKiSB_iPKfiiiSD_SD_iiiii, .Lfunc_end313-_ZN4vllm25paged_attention_v2_kernelIthLi80ELi16ELi128ELNS_18Fp8KVCacheDataTypeE1ELb1ELi512EEEvPfS2_PT_PKS3_PKT0_S9_ifPKiSB_iPKfiiiSD_SD_iiiii
                                        ; -- End function
	.section	.AMDGPU.csdata,"",@progbits
; Kernel info:
; codeLenInByte = 27744
; NumSgprs: 54
; NumVgprs: 96
; ScratchSize: 0
; MemoryBound: 0
; FloatMode: 240
; IeeeMode: 1
; LDSByteSize: 192 bytes/workgroup (compile time only)
; SGPRBlocks: 6
; VGPRBlocks: 11
; NumSGPRsForWavesPerEU: 54
; NumVGPRsForWavesPerEU: 96
; Occupancy: 16
; WaveLimiterHint : 1
; COMPUTE_PGM_RSRC2:SCRATCH_EN: 0
; COMPUTE_PGM_RSRC2:USER_SGPR: 13
; COMPUTE_PGM_RSRC2:TRAP_HANDLER: 0
; COMPUTE_PGM_RSRC2:TGID_X_EN: 1
; COMPUTE_PGM_RSRC2:TGID_Y_EN: 1
; COMPUTE_PGM_RSRC2:TGID_Z_EN: 1
; COMPUTE_PGM_RSRC2:TIDIG_COMP_CNT: 0
	.text
	.p2align	2                               ; -- Begin function _ZN4vllm22paged_attention_kernelIthLi96ELi16ELi128ELNS_18Fp8KVCacheDataTypeE1ELb1ELi512EEEvPfS2_PT_PKS3_PKT0_S9_ifPKiSB_iPKfiiiSD_SD_iiiii
	.type	_ZN4vllm22paged_attention_kernelIthLi96ELi16ELi128ELNS_18Fp8KVCacheDataTypeE1ELb1ELi512EEEvPfS2_PT_PKS3_PKT0_S9_ifPKiSB_iPKfiiiSD_SD_iiiii,@function
_ZN4vllm22paged_attention_kernelIthLi96ELi16ELi128ELNS_18Fp8KVCacheDataTypeE1ELb1ELi512EEEvPfS2_PT_PKS3_PKT0_S9_ifPKiSB_iPKfiiiSD_SD_iiiii: ; @_ZN4vllm22paged_attention_kernelIthLi96ELi16ELi128ELNS_18Fp8KVCacheDataTypeE1ELb1ELi512EEEvPfS2_PT_PKS3_PKT0_S9_ifPKiSB_iPKfiiiSD_SD_iiiii
; %bb.0:
	s_waitcnt vmcnt(0) expcnt(0) lgkmcnt(0)
	s_mov_b32 s10, s13
	s_ashr_i32 s11, s13, 31
	s_lshl_b32 s16, s14, 9
	s_lshl_b64 s[0:1], s[10:11], 2
	s_mov_b32 s11, exec_lo
	v_add_co_u32 v16, vcc_lo, v16, s0
	v_add_co_ci_u32_e32 v17, vcc_lo, s1, v17, vcc_lo
	flat_load_b32 v35, v[16:17]
	s_clause 0x1
	scratch_load_b32 v32, off, s32 offset:4
	scratch_load_b32 v39, off, s32
	s_waitcnt vmcnt(2) lgkmcnt(0)
	v_cmpx_lt_i32_e64 s16, v35
	s_cbranch_execz .LBB314_846
; %bb.1:
	v_sub_nc_u32_e32 v16, 0, v12
	s_clause 0x1
	s_load_b32 s0, s[8:9], 0x10
	s_load_b32 s1, s[8:9], 0x0
	s_mov_b32 s6, s15
	v_mov_b32_e32 v55, 0
	v_max_i32_e32 v16, v12, v16
	s_delay_alu instid0(VALU_DEP_1) | instskip(SKIP_1) | instid1(VALU_DEP_2)
	v_cvt_f32_u32_e32 v17, v16
	v_sub_nc_u32_e32 v33, 0, v16
	v_rcp_iflag_f32_e32 v17, v17
	s_waitcnt lgkmcnt(0)
	s_lshr_b32 s0, s0, 16
	s_delay_alu instid0(SALU_CYCLE_1) | instskip(SKIP_3) | instid1(SALU_CYCLE_1)
	s_cmp_lg_u32 s0, 0
	s_waitcnt_depctr 0xfff
	v_mul_f32_e32 v17, 0x4f7ffffe, v17
	s_cselect_b32 s0, -1, 0
	s_cmp_lg_u32 s0, 0
	s_delay_alu instid0(VALU_DEP_1) | instskip(SKIP_3) | instid1(VALU_DEP_1)
	v_cvt_u32_f32_e32 v17, v17
	s_addc_u32 s15, s1, 0
	s_mov_b32 s1, exec_lo
	s_abs_i32 s0, s15
	v_mul_lo_u32 v33, v33, v17
	s_delay_alu instid0(VALU_DEP_1) | instskip(NEXT) | instid1(VALU_DEP_1)
	v_mul_hi_u32 v33, v17, v33
	v_add_nc_u32_e32 v17, v17, v33
	s_delay_alu instid0(VALU_DEP_1) | instskip(NEXT) | instid1(VALU_DEP_1)
	v_mul_hi_u32 v17, s0, v17
	v_mul_lo_u32 v33, v17, v16
	s_delay_alu instid0(VALU_DEP_1) | instskip(SKIP_1) | instid1(VALU_DEP_1)
	v_sub_nc_u32_e32 v33, s0, v33
	s_abs_i32 s0, s12
	v_sub_nc_u32_e32 v36, v33, v16
	v_cmp_ge_u32_e32 vcc_lo, v33, v16
	s_delay_alu instid0(VALU_DEP_2) | instskip(NEXT) | instid1(VALU_DEP_1)
	v_dual_cndmask_b32 v33, v33, v36 :: v_dual_add_nc_u32 v34, 1, v17
	v_cndmask_b32_e32 v17, v17, v34, vcc_lo
	v_xor_b32_e32 v34, s15, v12
	s_delay_alu instid0(VALU_DEP_3) | instskip(NEXT) | instid1(VALU_DEP_3)
	v_cmp_ge_u32_e32 vcc_lo, v33, v16
	v_add_nc_u32_e32 v36, 1, v17
	s_delay_alu instid0(VALU_DEP_3) | instskip(NEXT) | instid1(VALU_DEP_2)
	v_ashrrev_i32_e32 v34, 31, v34
	v_cndmask_b32_e32 v16, v17, v36, vcc_lo
	s_delay_alu instid0(VALU_DEP_1) | instskip(NEXT) | instid1(VALU_DEP_1)
	v_xor_b32_e32 v16, v16, v34
	v_sub_nc_u32_e32 v33, v16, v34
	s_delay_alu instid0(VALU_DEP_1) | instskip(NEXT) | instid1(VALU_DEP_1)
	v_sub_nc_u32_e32 v16, 0, v33
	v_max_i32_e32 v38, v33, v16
	s_delay_alu instid0(VALU_DEP_1) | instskip(SKIP_1) | instid1(VALU_DEP_2)
	v_cvt_f32_u32_e32 v16, v38
	v_sub_nc_u32_e32 v17, 0, v38
	v_rcp_iflag_f32_e32 v16, v16
	s_waitcnt_depctr 0xfff
	v_mul_f32_e32 v16, 0x4f7ffffe, v16
	s_delay_alu instid0(VALU_DEP_1) | instskip(NEXT) | instid1(VALU_DEP_1)
	v_cvt_u32_f32_e32 v16, v16
	v_mul_lo_u32 v17, v17, v16
	s_delay_alu instid0(VALU_DEP_1) | instskip(NEXT) | instid1(VALU_DEP_1)
	v_mul_hi_u32 v17, v16, v17
	v_add_nc_u32_e32 v34, v16, v17
	s_delay_alu instid0(VALU_DEP_1)
	v_mad_u64_u32 v[16:17], null, s0, v34, 0
	v_cmpx_ne_u64_e32 0, v[19:20]
	s_cbranch_execz .LBB314_3
; %bb.2:
	s_ashr_i32 s13, s12, 31
	s_delay_alu instid0(SALU_CYCLE_1) | instskip(NEXT) | instid1(SALU_CYCLE_1)
	s_lshl_b64 s[2:3], s[12:13], 2
	v_add_co_u32 v19, vcc_lo, v19, s2
	v_add_co_ci_u32_e32 v20, vcc_lo, s3, v20, vcc_lo
	flat_load_b32 v55, v[19:20]
.LBB314_3:
	s_or_b32 exec_lo, exec_lo, s1
	v_and_b32_e32 v34, 0x3ff, v31
	v_ashrrev_i32_e32 v16, 31, v33
	s_ashr_i32 s1, s12, 31
	s_mul_i32 s4, s12, 0x60
	s_mov_b32 s2, exec_lo
	v_lshrrev_b32_e32 v33, 1, v34
	v_and_b32_e32 v36, 1, v34
	v_lshlrev_b32_e32 v51, 3, v34
	v_cmpx_gt_u32_e32 24, v34
	s_cbranch_execz .LBB314_5
; %bb.4:
	v_mul_lo_u32 v19, s10, v21
	s_ashr_i32 s5, s4, 31
	s_delay_alu instid0(SALU_CYCLE_1) | instskip(NEXT) | instid1(VALU_DEP_1)
	s_lshl_b64 s[18:19], s[4:5], 1
	v_ashrrev_i32_e32 v20, 31, v19
	s_delay_alu instid0(VALU_DEP_1) | instskip(NEXT) | instid1(VALU_DEP_1)
	v_lshlrev_b64 v[19:20], 1, v[19:20]
	v_add_co_u32 v6, vcc_lo, v6, v19
	s_delay_alu instid0(VALU_DEP_2) | instskip(SKIP_1) | instid1(VALU_DEP_3)
	v_add_co_ci_u32_e32 v7, vcc_lo, v7, v20, vcc_lo
	v_lshlrev_b32_e32 v19, 3, v33
	v_add_co_u32 v6, vcc_lo, v6, s18
	s_delay_alu instid0(VALU_DEP_3) | instskip(NEXT) | instid1(VALU_DEP_3)
	v_add_co_ci_u32_e32 v7, vcc_lo, s19, v7, vcc_lo
	v_mad_u32_u24 v19, 0x60, v36, v19
	s_delay_alu instid0(VALU_DEP_3) | instskip(NEXT) | instid1(VALU_DEP_3)
	v_add_co_u32 v6, vcc_lo, v6, v51
	v_add_co_ci_u32_e32 v7, vcc_lo, 0, v7, vcc_lo
	flat_load_b64 v[6:7], v[6:7]
	s_waitcnt vmcnt(0) lgkmcnt(0)
	ds_store_b64 v19, v[6:7]
.LBB314_5:
	s_or_b32 exec_lo, exec_lo, s2
	s_waitcnt vmcnt(0)
	v_sub_nc_u32_e32 v6, 0, v39
	v_mul_lo_u32 v7, v17, v38
	v_add_nc_u32_e32 v20, 1, v17
	v_xor_b32_e32 v48, s1, v16
	s_waitcnt lgkmcnt(0)
	s_waitcnt_vscnt null, 0x0
	v_max_i32_e32 v37, v39, v6
	s_barrier
	buffer_gl0_inv
	v_sub_nc_u32_e32 v19, s0, v7
	v_cvt_f32_u32_e32 v6, v37
	v_sub_nc_u32_e32 v7, 0, v37
	s_mov_b32 s0, exec_lo
	s_delay_alu instid0(VALU_DEP_3) | instskip(NEXT) | instid1(VALU_DEP_3)
	v_cmp_ge_u32_e32 vcc_lo, v19, v38
	v_rcp_iflag_f32_e32 v6, v6
	v_sub_nc_u32_e32 v21, v19, v38
	v_cndmask_b32_e32 v17, v17, v20, vcc_lo
	s_delay_alu instid0(VALU_DEP_2) | instskip(NEXT) | instid1(VALU_DEP_2)
	v_cndmask_b32_e32 v19, v19, v21, vcc_lo
	v_add_nc_u32_e32 v20, 1, v17
	s_waitcnt_depctr 0xfff
	v_mul_f32_e32 v6, 0x4f7ffffe, v6
	v_cmp_ge_u32_e32 vcc_lo, v19, v38
	s_delay_alu instid0(VALU_DEP_2) | instskip(SKIP_1) | instid1(VALU_DEP_2)
	v_cvt_u32_f32_e32 v6, v6
	v_cndmask_b32_e32 v16, v17, v20, vcc_lo
	v_mul_lo_u32 v31, v7, v6
	v_add_nc_u32_e32 v7, -1, v35
	s_delay_alu instid0(VALU_DEP_2) | instskip(NEXT) | instid1(VALU_DEP_2)
	v_mul_hi_u32 v21, v6, v31
	v_sub_nc_u32_e32 v31, 0, v7
	s_delay_alu instid0(VALU_DEP_1) | instskip(NEXT) | instid1(VALU_DEP_3)
	v_max_i32_e32 v19, v7, v31
	v_add_nc_u32_e32 v38, v6, v21
	v_xor_b32_e32 v6, v16, v48
	s_delay_alu instid0(VALU_DEP_2) | instskip(NEXT) | instid1(VALU_DEP_2)
	v_mad_u64_u32 v[16:17], null, v19, v38, 0
	v_sub_nc_u32_e32 v16, v6, v48
                                        ; implicit-def: $vgpr6
	v_cmpx_gt_i32_e32 0, v32
	s_xor_b32 s0, exec_lo, s0
; %bb.6:
	s_delay_alu instid0(VALU_DEP_2) | instskip(NEXT) | instid1(VALU_DEP_1)
	v_mad_u64_u32 v[20:21], null, v28, v12, v[16:17]
                                        ; implicit-def: $vgpr28
	v_mul_lo_u32 v6, v20, v32
                                        ; implicit-def: $vgpr32
	s_delay_alu instid0(VALU_DEP_1)
	v_sub_nc_u32_e32 v6, 1, v6
; %bb.7:
	s_or_saveexec_b32 s0, s0
	v_ashrrev_i32_e32 v12, 31, v7
	v_ashrrev_i32_e32 v39, 31, v39
	s_xor_b32 exec_lo, exec_lo, s0
; %bb.8:
	v_mad_u64_u32 v[20:21], null, s15, v28, s[12:13]
	s_delay_alu instid0(VALU_DEP_1)
	v_mad_u64_u32 v[6:7], null, v20, v32, 1
; %bb.9:
	s_or_b32 exec_lo, exec_lo, s0
	v_mul_lo_u32 v7, v17, v37
	v_xor_b32_e32 v31, v12, v39
	s_clause 0x1
	s_load_b32 s17, s[8:9], 0x14
	s_load_b32 s5, s[8:9], 0x8
	v_mul_lo_u32 v18, s10, v18
	v_lshrrev_b32_e32 v48, 5, v34
	s_lshl_b32 s13, s14, 5
	v_mov_b32_e32 v65, 0xff7fffff
	s_add_i32 s0, s13, 32
	v_sub_nc_u32_e32 v7, v19, v7
	v_add_nc_u32_e32 v19, 1, v17
	v_sub_nc_u32_e32 v53, 0, v30
	v_mbcnt_lo_u32_b32 v64, -1, 0
	s_delay_alu instid0(VALU_DEP_4) | instskip(SKIP_1) | instid1(VALU_DEP_2)
	v_sub_nc_u32_e32 v28, v7, v37
	v_cmp_ge_u32_e32 vcc_lo, v7, v37
	v_dual_cndmask_b32 v7, v7, v28 :: v_dual_add_nc_u32 v20, 15, v35
	s_delay_alu instid0(VALU_DEP_1) | instskip(NEXT) | instid1(VALU_DEP_1)
	v_ashrrev_i32_e32 v21, 31, v20
	v_lshrrev_b32_e32 v12, 28, v21
	v_cndmask_b32_e32 v17, v17, v19, vcc_lo
	s_delay_alu instid0(VALU_DEP_4) | instskip(NEXT) | instid1(VALU_DEP_3)
	v_cmp_ge_u32_e32 vcc_lo, v7, v37
	v_add_nc_u32_e32 v20, v20, v12
	s_delay_alu instid0(VALU_DEP_3)
	v_add_nc_u32_e32 v19, 1, v17
	v_mul_lo_u32 v12, v16, v23
	v_or_b32_e32 v16, s13, v48
	v_lshl_add_u32 v23, v48, 4, s16
	v_ashrrev_i32_e32 v52, 4, v20
	v_cndmask_b32_e32 v7, v17, v19, vcc_lo
	v_ashrrev_i32_e32 v19, 31, v18
	v_ashrrev_i32_e32 v17, 31, v16
	s_delay_alu instid0(VALU_DEP_4) | instskip(NEXT) | instid1(VALU_DEP_4)
	v_min_i32_e32 v49, s0, v52
	v_xor_b32_e32 v7, v7, v31
	s_delay_alu instid0(VALU_DEP_4) | instskip(SKIP_1) | instid1(VALU_DEP_4)
	v_lshlrev_b64 v[18:19], 2, v[18:19]
	v_ashrrev_i32_e32 v54, 31, v12
	v_cmp_lt_i32_e64 s0, v16, v49
	s_delay_alu instid0(VALU_DEP_4) | instskip(NEXT) | instid1(VALU_DEP_1)
	v_sub_nc_u32_e32 v7, v7, v31
	v_sub_nc_u32_e32 v50, v7, v29
	s_delay_alu instid0(VALU_DEP_3)
	s_and_saveexec_b32 s18, s0
	s_cbranch_execz .LBB314_403
; %bb.10:
	v_max_i32_e32 v66, v30, v53
	v_bfe_u32 v67, v34, 1, 4
	s_ashr_i32 s7, s6, 31
	s_getpc_b64 s[2:3]
	s_add_u32 s2, s2, llvm.amdgcn.dynlds.offset.table@rel32@lo+4
	s_addc_u32 s3, s3, llvm.amdgcn.dynlds.offset.table@rel32@hi+12
	s_lshl_b64 s[8:9], s[6:7], 2
	v_cvt_f32_u32_e32 v7, v66
	v_sub_nc_u32_e32 v80, v67, v35
	v_sub_nc_u32_e32 v31, 0, v66
	s_add_u32 s8, s8, s2
	s_addc_u32 s9, s9, s3
	v_rcp_iflag_f32_e32 v7, v7
	s_load_b32 s7, s[8:9], 0x0
	v_lshlrev_b64 v[20:21], 2, v[16:17]
	v_add_co_u32 v28, s1, v8, v12
	v_lshlrev_b32_e32 v32, 4, v67
	v_add_co_ci_u32_e64 v29, s1, v9, v54, s1
	s_delay_alu instid0(VALU_DEP_4) | instskip(SKIP_4) | instid1(VALU_DEP_3)
	v_add_co_u32 v81, s2, v18, v20
	s_waitcnt_depctr 0xfff
	v_dual_mul_f32 v7, 0x4f7ffffe, v7 :: v_dual_add_nc_u32 v80, 1, v80
	v_add_co_ci_u32_e64 v82, s2, v19, v21, s2
	v_lshlrev_b32_e32 v71, 2, v67
	v_cvt_u32_f32_e32 v7, v7
	v_add_co_u32 v20, s2, v28, v32
	s_delay_alu instid0(VALU_DEP_1) | instskip(NEXT) | instid1(VALU_DEP_3)
	v_add_co_ci_u32_e64 v21, s2, 0, v29, s2
	v_mul_lo_u32 v31, v31, v7
	v_add_co_u32 v28, s2, v14, v81
	v_cmp_eq_u32_e32 vcc_lo, 0, v36
	v_dual_mov_b32 v8, 0 :: v_dual_lshlrev_b32 v9, 2, v36
	v_mul_u32_u24_e32 v68, 0x60, v36
	v_cmp_neq_f32_e64 s1, 0, v55
	v_mul_hi_u32 v31, v7, v31
	v_lshl_add_u32 v69, v48, 4, s16
	v_dual_mov_b32 v70, 0xff7fffff :: v_dual_mov_b32 v65, 0xff7fffff
	v_add_co_ci_u32_e64 v29, s2, v15, v82, s2
	v_mov_b32_e32 v82, v16
	v_lshl_or_b32 v71, v48, 6, v71
	v_add_nc_u32_e32 v81, v7, v31
	s_mov_b32 s19, 0
	s_branch .LBB314_13
.LBB314_11:                             ;   in Loop: Header=BB314_13 Depth=1
	s_or_b32 exec_lo, exec_lo, s20
.LBB314_12:                             ;   in Loop: Header=BB314_13 Depth=1
	s_delay_alu instid0(SALU_CYCLE_1) | instskip(SKIP_2) | instid1(VALU_DEP_1)
	s_or_b32 exec_lo, exec_lo, s3
	v_add_nc_u32_e32 v82, 4, v82
	v_add_co_u32 v28, s3, v28, 16
	v_add_co_ci_u32_e64 v29, s3, 0, v29, s3
	s_delay_alu instid0(VALU_DEP_3) | instskip(SKIP_2) | instid1(VALU_DEP_3)
	v_cmp_ge_i32_e64 s2, v82, v49
	v_add_nc_u32_e32 v69, 64, v69
	v_add_nc_u32_e32 v71, 0x100, v71
	s_or_b32 s19, s2, s19
	s_delay_alu instid0(SALU_CYCLE_1)
	s_and_not1_b32 exec_lo, exec_lo, s19
	s_cbranch_execz .LBB314_402
.LBB314_13:                             ; =>This Inner Loop Header: Depth=1
	v_sub_nc_u32_e32 v7, 0, v69
	s_delay_alu instid0(VALU_DEP_1) | instskip(SKIP_1) | instid1(VALU_DEP_1)
	v_max_i32_e32 v7, v69, v7
	s_waitcnt lgkmcnt(0)
	v_mul_hi_u32 v31, v7, v38
	s_delay_alu instid0(VALU_DEP_1) | instskip(NEXT) | instid1(VALU_DEP_1)
	v_mul_lo_u32 v32, v31, v37
	v_sub_nc_u32_e32 v7, v7, v32
	v_add_nc_u32_e32 v32, 1, v31
	s_delay_alu instid0(VALU_DEP_2) | instskip(SKIP_1) | instid1(VALU_DEP_1)
	v_sub_nc_u32_e32 v83, v7, v37
	v_cmp_ge_u32_e64 s2, v7, v37
	v_cndmask_b32_e64 v31, v31, v32, s2
	s_delay_alu instid0(VALU_DEP_3) | instskip(SKIP_1) | instid1(VALU_DEP_3)
	v_cndmask_b32_e64 v7, v7, v83, s2
	v_ashrrev_i32_e32 v32, 31, v69
	v_add_nc_u32_e32 v83, 1, v31
	s_delay_alu instid0(VALU_DEP_3) | instskip(NEXT) | instid1(VALU_DEP_3)
	v_cmp_ge_u32_e64 s2, v7, v37
	v_xor_b32_e32 v32, v32, v39
	s_delay_alu instid0(VALU_DEP_2) | instskip(NEXT) | instid1(VALU_DEP_1)
	v_cndmask_b32_e64 v7, v31, v83, s2
	v_xor_b32_e32 v7, v7, v32
	s_delay_alu instid0(VALU_DEP_1) | instskip(NEXT) | instid1(VALU_DEP_1)
	v_sub_nc_u32_e32 v7, v7, v32
	v_add_nc_u32_e32 v31, v7, v6
	v_cmp_le_i32_e64 s3, v7, v50
	s_delay_alu instid0(VALU_DEP_2) | instskip(NEXT) | instid1(VALU_DEP_1)
	v_sub_nc_u32_e32 v32, 0, v31
	v_max_i32_e32 v32, v31, v32
	v_ashrrev_i32_e32 v31, 31, v31
	s_delay_alu instid0(VALU_DEP_2) | instskip(NEXT) | instid1(VALU_DEP_1)
	v_mul_hi_u32 v83, v32, v81
	v_mul_lo_u32 v83, v83, v66
	s_delay_alu instid0(VALU_DEP_1) | instskip(NEXT) | instid1(VALU_DEP_1)
	v_sub_nc_u32_e32 v32, v32, v83
	v_sub_nc_u32_e32 v83, v32, v66
	v_cmp_ge_u32_e64 s2, v32, v66
	s_delay_alu instid0(VALU_DEP_1) | instskip(NEXT) | instid1(VALU_DEP_1)
	v_cndmask_b32_e64 v32, v32, v83, s2
	v_sub_nc_u32_e32 v83, v32, v66
	v_cmp_ge_u32_e64 s2, v32, v66
	s_delay_alu instid0(VALU_DEP_1) | instskip(NEXT) | instid1(VALU_DEP_1)
	v_cndmask_b32_e64 v32, v32, v83, s2
	v_xor_b32_e32 v32, v32, v31
	s_delay_alu instid0(VALU_DEP_1) | instskip(NEXT) | instid1(VALU_DEP_1)
	v_sub_nc_u32_e32 v31, v32, v31
	v_cmp_ne_u32_e64 s2, 0, v31
	s_delay_alu instid0(VALU_DEP_1) | instskip(NEXT) | instid1(SALU_CYCLE_1)
	s_and_b32 s2, s2, s3
	s_and_b32 s20, vcc_lo, s2
	s_delay_alu instid0(SALU_CYCLE_1)
	s_and_saveexec_b32 s3, s20
	s_cbranch_execz .LBB314_15
; %bb.14:                               ;   in Loop: Header=BB314_13 Depth=1
	s_waitcnt lgkmcnt(0)
	v_add_nc_u32_e32 v7, s7, v71
	ds_store_b32 v7, v70
.LBB314_15:                             ;   in Loop: Header=BB314_13 Depth=1
	s_or_b32 exec_lo, exec_lo, s3
	s_xor_b32 s2, s2, -1
	s_delay_alu instid0(SALU_CYCLE_1)
	s_and_saveexec_b32 s3, s2
	s_cbranch_execz .LBB314_12
; %bb.16:                               ;   in Loop: Header=BB314_13 Depth=1
	flat_load_b32 v7, v[28:29]
	v_mov_b32_e32 v85, 0
	s_mov_b32 s20, exec_lo
	v_mov_b32_e32 v84, 0
	s_waitcnt vmcnt(0) lgkmcnt(0)
	v_mad_i64_i32 v[31:32], null, v7, v22, v[20:21]
	s_delay_alu instid0(VALU_DEP_1) | instskip(NEXT) | instid1(VALU_DEP_1)
	v_add_co_u32 v31, s2, v31, v9
	v_add_co_ci_u32_e64 v32, s2, 0, v32, s2
	flat_load_b32 v96, v[31:32]
	flat_load_b32 v83, v[24:25]
	s_waitcnt vmcnt(1) lgkmcnt(1)
	v_and_b32_e32 v7, 0xff, v96
	s_delay_alu instid0(VALU_DEP_1)
	v_cmpx_ne_u16_e32 0, v7
	s_cbranch_execz .LBB314_24
; %bb.17:                               ;   in Loop: Header=BB314_13 Depth=1
	v_bfrev_b32_e32 v84, 1
	s_mov_b32 s21, exec_lo
	v_cmpx_ne_u16_e32 0x80, v7
	s_cbranch_execz .LBB314_23
; %bb.18:                               ;   in Loop: Header=BB314_13 Depth=1
	v_and_b32_e32 v86, 0x7f, v96
	v_mov_b32_e32 v84, 0x7fc02000
	s_mov_b32 s22, exec_lo
	s_delay_alu instid0(VALU_DEP_2)
	v_cmpx_ne_u32_e32 0x7f, v86
	s_cbranch_execz .LBB314_22
; %bb.19:                               ;   in Loop: Header=BB314_13 Depth=1
	v_and_b32_e32 v7, 7, v96
	v_lshrrev_b32_e32 v84, 3, v86
	s_mov_b32 s23, exec_lo
	v_cmpx_gt_u32_e32 8, v86
; %bb.20:                               ;   in Loop: Header=BB314_13 Depth=1
	s_delay_alu instid0(VALU_DEP_3) | instskip(NEXT) | instid1(VALU_DEP_1)
	v_clz_i32_u32_e32 v84, v7
	v_min_u32_e32 v84, 32, v84
	s_delay_alu instid0(VALU_DEP_1) | instskip(SKIP_1) | instid1(VALU_DEP_2)
	v_subrev_nc_u32_e32 v86, 28, v84
	v_sub_nc_u32_e32 v84, 29, v84
	v_lshlrev_b64 v[86:87], v86, v[7:8]
	s_delay_alu instid0(VALU_DEP_1)
	v_and_b32_e32 v7, 7, v86
; %bb.21:                               ;   in Loop: Header=BB314_13 Depth=1
	s_or_b32 exec_lo, exec_lo, s23
	v_lshlrev_b32_e32 v86, 8, v96
	v_lshl_add_u32 v84, v84, 10, 0x2000
	s_delay_alu instid0(VALU_DEP_1) | instskip(NEXT) | instid1(VALU_DEP_1)
	v_and_or_b32 v84, 0x8000, v86, v84
	v_lshl_or_b32 v7, v7, 7, v84
	s_delay_alu instid0(VALU_DEP_1)
	v_cvt_f32_f16_e32 v84, v7
.LBB314_22:                             ;   in Loop: Header=BB314_13 Depth=1
	s_or_b32 exec_lo, exec_lo, s22
.LBB314_23:                             ;   in Loop: Header=BB314_13 Depth=1
	s_delay_alu instid0(SALU_CYCLE_1)
	s_or_b32 exec_lo, exec_lo, s21
.LBB314_24:                             ;   in Loop: Header=BB314_13 Depth=1
	s_delay_alu instid0(SALU_CYCLE_1) | instskip(SKIP_2) | instid1(VALU_DEP_1)
	s_or_b32 exec_lo, exec_lo, s20
	v_lshrrev_b16 v7, 8, v96
	s_mov_b32 s20, exec_lo
	v_cmpx_ne_u16_e32 0, v7
	s_cbranch_execz .LBB314_32
; %bb.25:                               ;   in Loop: Header=BB314_13 Depth=1
	v_bfrev_b32_e32 v85, 1
	s_mov_b32 s21, exec_lo
	v_cmpx_ne_u16_e32 0x80, v7
	s_cbranch_execz .LBB314_31
; %bb.26:                               ;   in Loop: Header=BB314_13 Depth=1
	v_and_b32_e32 v86, 0xffff, v7
	v_mov_b32_e32 v85, 0x7fc02000
	s_mov_b32 s22, exec_lo
	s_delay_alu instid0(VALU_DEP_2) | instskip(NEXT) | instid1(VALU_DEP_1)
	v_and_b32_e32 v87, 0x7f, v86
	v_cmpx_ne_u32_e32 0x7f, v87
	s_cbranch_execz .LBB314_30
; %bb.27:                               ;   in Loop: Header=BB314_13 Depth=1
	v_and_b32_e32 v7, 7, v86
	v_lshrrev_b32_e32 v85, 3, v87
	s_mov_b32 s23, exec_lo
	v_cmpx_gt_u32_e32 8, v87
; %bb.28:                               ;   in Loop: Header=BB314_13 Depth=1
	s_delay_alu instid0(VALU_DEP_3) | instskip(NEXT) | instid1(VALU_DEP_1)
	v_clz_i32_u32_e32 v85, v7
	v_min_u32_e32 v85, 32, v85
	s_delay_alu instid0(VALU_DEP_1) | instskip(SKIP_1) | instid1(VALU_DEP_2)
	v_subrev_nc_u32_e32 v87, 28, v85
	v_sub_nc_u32_e32 v85, 29, v85
	v_lshlrev_b64 v[97:98], v87, v[7:8]
	s_delay_alu instid0(VALU_DEP_1)
	v_and_b32_e32 v7, 7, v97
; %bb.29:                               ;   in Loop: Header=BB314_13 Depth=1
	s_or_b32 exec_lo, exec_lo, s23
	v_lshlrev_b32_e32 v86, 8, v86
	v_lshl_add_u32 v85, v85, 10, 0x2000
	s_delay_alu instid0(VALU_DEP_1) | instskip(NEXT) | instid1(VALU_DEP_1)
	v_and_or_b32 v85, 0x8000, v86, v85
	v_lshl_or_b32 v7, v7, 7, v85
	s_delay_alu instid0(VALU_DEP_1)
	v_cvt_f32_f16_e32 v85, v7
.LBB314_30:                             ;   in Loop: Header=BB314_13 Depth=1
	s_or_b32 exec_lo, exec_lo, s22
.LBB314_31:                             ;   in Loop: Header=BB314_13 Depth=1
	s_delay_alu instid0(SALU_CYCLE_1)
	s_or_b32 exec_lo, exec_lo, s21
.LBB314_32:                             ;   in Loop: Header=BB314_13 Depth=1
	s_delay_alu instid0(SALU_CYCLE_1) | instskip(SKIP_3) | instid1(VALU_DEP_2)
	s_or_b32 exec_lo, exec_lo, s20
	v_lshrrev_b32_e32 v97, 16, v96
	v_mov_b32_e32 v87, 0
	s_mov_b32 s20, exec_lo
	v_dual_mov_b32 v86, 0 :: v_dual_and_b32 v7, 0xff, v97
	s_delay_alu instid0(VALU_DEP_1)
	v_cmpx_ne_u16_e32 0, v7
	s_cbranch_execz .LBB314_40
; %bb.33:                               ;   in Loop: Header=BB314_13 Depth=1
	v_bfrev_b32_e32 v87, 1
	s_mov_b32 s21, exec_lo
	v_cmpx_ne_u16_e32 0x80, v7
	s_cbranch_execz .LBB314_39
; %bb.34:                               ;   in Loop: Header=BB314_13 Depth=1
	v_bfe_u32 v98, v96, 16, 7
	v_mov_b32_e32 v87, 0x7fc02000
	s_mov_b32 s22, exec_lo
	s_delay_alu instid0(VALU_DEP_2)
	v_cmpx_ne_u32_e32 0x7f, v98
	s_cbranch_execz .LBB314_38
; %bb.35:                               ;   in Loop: Header=BB314_13 Depth=1
	v_and_b32_e32 v7, 7, v97
	v_lshrrev_b32_e32 v87, 3, v98
	s_mov_b32 s23, exec_lo
	v_cmpx_gt_u32_e32 8, v98
; %bb.36:                               ;   in Loop: Header=BB314_13 Depth=1
	s_delay_alu instid0(VALU_DEP_3) | instskip(NEXT) | instid1(VALU_DEP_1)
	v_clz_i32_u32_e32 v87, v7
	v_min_u32_e32 v87, 32, v87
	s_delay_alu instid0(VALU_DEP_1) | instskip(SKIP_1) | instid1(VALU_DEP_2)
	v_subrev_nc_u32_e32 v98, 28, v87
	v_sub_nc_u32_e32 v87, 29, v87
	v_lshlrev_b64 v[98:99], v98, v[7:8]
	s_delay_alu instid0(VALU_DEP_1)
	v_and_b32_e32 v7, 7, v98
; %bb.37:                               ;   in Loop: Header=BB314_13 Depth=1
	s_or_b32 exec_lo, exec_lo, s23
	v_lshlrev_b32_e32 v97, 8, v97
	v_lshl_add_u32 v87, v87, 10, 0x2000
	s_delay_alu instid0(VALU_DEP_1) | instskip(NEXT) | instid1(VALU_DEP_1)
	v_and_or_b32 v87, 0x8000, v97, v87
	v_lshl_or_b32 v7, v7, 7, v87
	s_delay_alu instid0(VALU_DEP_1)
	v_cvt_f32_f16_e32 v87, v7
.LBB314_38:                             ;   in Loop: Header=BB314_13 Depth=1
	s_or_b32 exec_lo, exec_lo, s22
.LBB314_39:                             ;   in Loop: Header=BB314_13 Depth=1
	s_delay_alu instid0(SALU_CYCLE_1)
	s_or_b32 exec_lo, exec_lo, s21
.LBB314_40:                             ;   in Loop: Header=BB314_13 Depth=1
	s_delay_alu instid0(SALU_CYCLE_1) | instskip(NEXT) | instid1(SALU_CYCLE_1)
	s_or_b32 exec_lo, exec_lo, s20
	s_mov_b32 s20, exec_lo
	v_cmpx_lt_u32_e32 0xffffff, v96
	s_cbranch_execz .LBB314_48
; %bb.41:                               ;   in Loop: Header=BB314_13 Depth=1
	v_lshrrev_b32_e32 v96, 24, v96
	v_bfrev_b32_e32 v86, 1
	s_mov_b32 s21, exec_lo
	s_delay_alu instid0(VALU_DEP_2)
	v_cmpx_ne_u32_e32 0x80, v96
	s_cbranch_execz .LBB314_47
; %bb.42:                               ;   in Loop: Header=BB314_13 Depth=1
	v_and_b32_e32 v97, 0x7f, v96
	v_mov_b32_e32 v86, 0x7fc02000
	s_mov_b32 s22, exec_lo
	s_delay_alu instid0(VALU_DEP_2)
	v_cmpx_ne_u32_e32 0x7f, v97
	s_cbranch_execz .LBB314_46
; %bb.43:                               ;   in Loop: Header=BB314_13 Depth=1
	v_and_b32_e32 v7, 7, v96
	v_lshrrev_b32_e32 v86, 3, v97
	s_mov_b32 s23, exec_lo
	v_cmpx_gt_u32_e32 8, v97
; %bb.44:                               ;   in Loop: Header=BB314_13 Depth=1
	s_delay_alu instid0(VALU_DEP_3) | instskip(NEXT) | instid1(VALU_DEP_1)
	v_clz_i32_u32_e32 v86, v7
	v_min_u32_e32 v86, 32, v86
	s_delay_alu instid0(VALU_DEP_1) | instskip(SKIP_1) | instid1(VALU_DEP_2)
	v_subrev_nc_u32_e32 v97, 28, v86
	v_sub_nc_u32_e32 v86, 29, v86
	v_lshlrev_b64 v[97:98], v97, v[7:8]
	s_delay_alu instid0(VALU_DEP_1)
	v_and_b32_e32 v7, 7, v97
; %bb.45:                               ;   in Loop: Header=BB314_13 Depth=1
	s_or_b32 exec_lo, exec_lo, s23
	v_lshlrev_b32_e32 v96, 8, v96
	v_lshl_add_u32 v86, v86, 10, 0x2000
	s_delay_alu instid0(VALU_DEP_1) | instskip(NEXT) | instid1(VALU_DEP_1)
	v_and_or_b32 v86, 0x8000, v96, v86
	v_lshl_or_b32 v7, v7, 7, v86
	s_delay_alu instid0(VALU_DEP_1)
	v_cvt_f32_f16_e32 v86, v7
.LBB314_46:                             ;   in Loop: Header=BB314_13 Depth=1
	s_or_b32 exec_lo, exec_lo, s22
.LBB314_47:                             ;   in Loop: Header=BB314_13 Depth=1
	s_delay_alu instid0(SALU_CYCLE_1)
	s_or_b32 exec_lo, exec_lo, s21
.LBB314_48:                             ;   in Loop: Header=BB314_13 Depth=1
	s_delay_alu instid0(SALU_CYCLE_1)
	s_or_b32 exec_lo, exec_lo, s20
	flat_load_b32 v100, v[31:32] offset:8
	v_mov_b32_e32 v97, 0
	s_mov_b32 s20, exec_lo
	s_waitcnt vmcnt(0) lgkmcnt(0)
	v_dual_mov_b32 v96, 0 :: v_dual_and_b32 v7, 0xff, v100
	s_delay_alu instid0(VALU_DEP_1)
	v_cmpx_ne_u16_e32 0, v7
	s_cbranch_execz .LBB314_56
; %bb.49:                               ;   in Loop: Header=BB314_13 Depth=1
	v_bfrev_b32_e32 v96, 1
	s_mov_b32 s21, exec_lo
	v_cmpx_ne_u16_e32 0x80, v7
	s_cbranch_execz .LBB314_55
; %bb.50:                               ;   in Loop: Header=BB314_13 Depth=1
	v_and_b32_e32 v98, 0x7f, v100
	v_mov_b32_e32 v96, 0x7fc02000
	s_mov_b32 s22, exec_lo
	s_delay_alu instid0(VALU_DEP_2)
	v_cmpx_ne_u32_e32 0x7f, v98
	s_cbranch_execz .LBB314_54
; %bb.51:                               ;   in Loop: Header=BB314_13 Depth=1
	v_and_b32_e32 v7, 7, v100
	v_lshrrev_b32_e32 v96, 3, v98
	s_mov_b32 s23, exec_lo
	v_cmpx_gt_u32_e32 8, v98
; %bb.52:                               ;   in Loop: Header=BB314_13 Depth=1
	s_delay_alu instid0(VALU_DEP_3) | instskip(NEXT) | instid1(VALU_DEP_1)
	v_clz_i32_u32_e32 v96, v7
	v_min_u32_e32 v96, 32, v96
	s_delay_alu instid0(VALU_DEP_1) | instskip(SKIP_1) | instid1(VALU_DEP_2)
	v_subrev_nc_u32_e32 v98, 28, v96
	v_sub_nc_u32_e32 v96, 29, v96
	v_lshlrev_b64 v[98:99], v98, v[7:8]
	s_delay_alu instid0(VALU_DEP_1)
	v_and_b32_e32 v7, 7, v98
; %bb.53:                               ;   in Loop: Header=BB314_13 Depth=1
	s_or_b32 exec_lo, exec_lo, s23
	v_lshlrev_b32_e32 v98, 8, v100
	v_lshl_add_u32 v96, v96, 10, 0x2000
	s_delay_alu instid0(VALU_DEP_1) | instskip(NEXT) | instid1(VALU_DEP_1)
	v_and_or_b32 v96, 0x8000, v98, v96
	v_lshl_or_b32 v7, v7, 7, v96
	s_delay_alu instid0(VALU_DEP_1)
	v_cvt_f32_f16_e32 v96, v7
.LBB314_54:                             ;   in Loop: Header=BB314_13 Depth=1
	s_or_b32 exec_lo, exec_lo, s22
.LBB314_55:                             ;   in Loop: Header=BB314_13 Depth=1
	s_delay_alu instid0(SALU_CYCLE_1)
	s_or_b32 exec_lo, exec_lo, s21
.LBB314_56:                             ;   in Loop: Header=BB314_13 Depth=1
	s_delay_alu instid0(SALU_CYCLE_1) | instskip(SKIP_2) | instid1(VALU_DEP_1)
	s_or_b32 exec_lo, exec_lo, s20
	v_lshrrev_b16 v7, 8, v100
	s_mov_b32 s20, exec_lo
	v_cmpx_ne_u16_e32 0, v7
	s_cbranch_execz .LBB314_64
; %bb.57:                               ;   in Loop: Header=BB314_13 Depth=1
	v_bfrev_b32_e32 v97, 1
	s_mov_b32 s21, exec_lo
	v_cmpx_ne_u16_e32 0x80, v7
	s_cbranch_execz .LBB314_63
; %bb.58:                               ;   in Loop: Header=BB314_13 Depth=1
	v_and_b32_e32 v98, 0xffff, v7
	v_mov_b32_e32 v97, 0x7fc02000
	s_mov_b32 s22, exec_lo
	s_delay_alu instid0(VALU_DEP_2) | instskip(NEXT) | instid1(VALU_DEP_1)
	v_and_b32_e32 v99, 0x7f, v98
	v_cmpx_ne_u32_e32 0x7f, v99
	s_cbranch_execz .LBB314_62
; %bb.59:                               ;   in Loop: Header=BB314_13 Depth=1
	v_and_b32_e32 v7, 7, v98
	v_lshrrev_b32_e32 v97, 3, v99
	s_mov_b32 s23, exec_lo
	v_cmpx_gt_u32_e32 8, v99
; %bb.60:                               ;   in Loop: Header=BB314_13 Depth=1
	s_delay_alu instid0(VALU_DEP_3) | instskip(NEXT) | instid1(VALU_DEP_1)
	v_clz_i32_u32_e32 v97, v7
	v_min_u32_e32 v97, 32, v97
	s_delay_alu instid0(VALU_DEP_1) | instskip(SKIP_1) | instid1(VALU_DEP_2)
	v_subrev_nc_u32_e32 v99, 28, v97
	v_sub_nc_u32_e32 v97, 29, v97
	v_lshlrev_b64 v[101:102], v99, v[7:8]
	s_delay_alu instid0(VALU_DEP_1)
	v_and_b32_e32 v7, 7, v101
; %bb.61:                               ;   in Loop: Header=BB314_13 Depth=1
	s_or_b32 exec_lo, exec_lo, s23
	v_lshlrev_b32_e32 v98, 8, v98
	v_lshl_add_u32 v97, v97, 10, 0x2000
	s_delay_alu instid0(VALU_DEP_1) | instskip(NEXT) | instid1(VALU_DEP_1)
	v_and_or_b32 v97, 0x8000, v98, v97
	v_lshl_or_b32 v7, v7, 7, v97
	s_delay_alu instid0(VALU_DEP_1)
	v_cvt_f32_f16_e32 v97, v7
.LBB314_62:                             ;   in Loop: Header=BB314_13 Depth=1
	s_or_b32 exec_lo, exec_lo, s22
.LBB314_63:                             ;   in Loop: Header=BB314_13 Depth=1
	s_delay_alu instid0(SALU_CYCLE_1)
	s_or_b32 exec_lo, exec_lo, s21
.LBB314_64:                             ;   in Loop: Header=BB314_13 Depth=1
	s_delay_alu instid0(SALU_CYCLE_1) | instskip(SKIP_3) | instid1(VALU_DEP_2)
	s_or_b32 exec_lo, exec_lo, s20
	v_lshrrev_b32_e32 v101, 16, v100
	v_mov_b32_e32 v99, 0
	s_mov_b32 s20, exec_lo
	v_dual_mov_b32 v98, 0 :: v_dual_and_b32 v7, 0xff, v101
	s_delay_alu instid0(VALU_DEP_1)
	v_cmpx_ne_u16_e32 0, v7
	s_cbranch_execz .LBB314_72
; %bb.65:                               ;   in Loop: Header=BB314_13 Depth=1
	v_bfrev_b32_e32 v99, 1
	s_mov_b32 s21, exec_lo
	v_cmpx_ne_u16_e32 0x80, v7
	s_cbranch_execz .LBB314_71
; %bb.66:                               ;   in Loop: Header=BB314_13 Depth=1
	v_bfe_u32 v102, v100, 16, 7
	v_mov_b32_e32 v99, 0x7fc02000
	s_mov_b32 s22, exec_lo
	s_delay_alu instid0(VALU_DEP_2)
	v_cmpx_ne_u32_e32 0x7f, v102
	s_cbranch_execz .LBB314_70
; %bb.67:                               ;   in Loop: Header=BB314_13 Depth=1
	v_and_b32_e32 v7, 7, v101
	v_lshrrev_b32_e32 v99, 3, v102
	s_mov_b32 s23, exec_lo
	v_cmpx_gt_u32_e32 8, v102
; %bb.68:                               ;   in Loop: Header=BB314_13 Depth=1
	s_delay_alu instid0(VALU_DEP_3) | instskip(NEXT) | instid1(VALU_DEP_1)
	v_clz_i32_u32_e32 v99, v7
	v_min_u32_e32 v99, 32, v99
	s_delay_alu instid0(VALU_DEP_1) | instskip(SKIP_1) | instid1(VALU_DEP_2)
	v_subrev_nc_u32_e32 v102, 28, v99
	v_sub_nc_u32_e32 v99, 29, v99
	v_lshlrev_b64 v[102:103], v102, v[7:8]
	s_delay_alu instid0(VALU_DEP_1)
	v_and_b32_e32 v7, 7, v102
; %bb.69:                               ;   in Loop: Header=BB314_13 Depth=1
	s_or_b32 exec_lo, exec_lo, s23
	v_lshlrev_b32_e32 v101, 8, v101
	v_lshl_add_u32 v99, v99, 10, 0x2000
	s_delay_alu instid0(VALU_DEP_1) | instskip(NEXT) | instid1(VALU_DEP_1)
	v_and_or_b32 v99, 0x8000, v101, v99
	v_lshl_or_b32 v7, v7, 7, v99
	s_delay_alu instid0(VALU_DEP_1)
	v_cvt_f32_f16_e32 v99, v7
.LBB314_70:                             ;   in Loop: Header=BB314_13 Depth=1
	s_or_b32 exec_lo, exec_lo, s22
.LBB314_71:                             ;   in Loop: Header=BB314_13 Depth=1
	s_delay_alu instid0(SALU_CYCLE_1)
	s_or_b32 exec_lo, exec_lo, s21
.LBB314_72:                             ;   in Loop: Header=BB314_13 Depth=1
	s_delay_alu instid0(SALU_CYCLE_1) | instskip(NEXT) | instid1(SALU_CYCLE_1)
	s_or_b32 exec_lo, exec_lo, s20
	s_mov_b32 s20, exec_lo
	v_cmpx_lt_u32_e32 0xffffff, v100
	s_cbranch_execz .LBB314_80
; %bb.73:                               ;   in Loop: Header=BB314_13 Depth=1
	v_lshrrev_b32_e32 v100, 24, v100
	v_bfrev_b32_e32 v98, 1
	s_mov_b32 s21, exec_lo
	s_delay_alu instid0(VALU_DEP_2)
	v_cmpx_ne_u32_e32 0x80, v100
	s_cbranch_execz .LBB314_79
; %bb.74:                               ;   in Loop: Header=BB314_13 Depth=1
	v_and_b32_e32 v101, 0x7f, v100
	v_mov_b32_e32 v98, 0x7fc02000
	s_mov_b32 s22, exec_lo
	s_delay_alu instid0(VALU_DEP_2)
	v_cmpx_ne_u32_e32 0x7f, v101
	s_cbranch_execz .LBB314_78
; %bb.75:                               ;   in Loop: Header=BB314_13 Depth=1
	v_and_b32_e32 v7, 7, v100
	v_lshrrev_b32_e32 v98, 3, v101
	s_mov_b32 s23, exec_lo
	v_cmpx_gt_u32_e32 8, v101
; %bb.76:                               ;   in Loop: Header=BB314_13 Depth=1
	s_delay_alu instid0(VALU_DEP_3) | instskip(NEXT) | instid1(VALU_DEP_1)
	v_clz_i32_u32_e32 v98, v7
	v_min_u32_e32 v98, 32, v98
	s_delay_alu instid0(VALU_DEP_1) | instskip(SKIP_1) | instid1(VALU_DEP_2)
	v_subrev_nc_u32_e32 v101, 28, v98
	v_sub_nc_u32_e32 v98, 29, v98
	v_lshlrev_b64 v[101:102], v101, v[7:8]
	s_delay_alu instid0(VALU_DEP_1)
	v_and_b32_e32 v7, 7, v101
; %bb.77:                               ;   in Loop: Header=BB314_13 Depth=1
	s_or_b32 exec_lo, exec_lo, s23
	v_lshlrev_b32_e32 v100, 8, v100
	v_lshl_add_u32 v98, v98, 10, 0x2000
	s_delay_alu instid0(VALU_DEP_1) | instskip(NEXT) | instid1(VALU_DEP_1)
	v_and_or_b32 v98, 0x8000, v100, v98
	v_lshl_or_b32 v7, v7, 7, v98
	s_delay_alu instid0(VALU_DEP_1)
	v_cvt_f32_f16_e32 v98, v7
.LBB314_78:                             ;   in Loop: Header=BB314_13 Depth=1
	s_or_b32 exec_lo, exec_lo, s22
.LBB314_79:                             ;   in Loop: Header=BB314_13 Depth=1
	s_delay_alu instid0(SALU_CYCLE_1)
	s_or_b32 exec_lo, exec_lo, s21
.LBB314_80:                             ;   in Loop: Header=BB314_13 Depth=1
	s_delay_alu instid0(SALU_CYCLE_1)
	s_or_b32 exec_lo, exec_lo, s20
	flat_load_b32 v112, v[31:32] offset:256
	v_mov_b32_e32 v101, 0
	s_mov_b32 s20, exec_lo
	s_waitcnt vmcnt(0) lgkmcnt(0)
	v_dual_mov_b32 v100, 0 :: v_dual_and_b32 v7, 0xff, v112
	s_delay_alu instid0(VALU_DEP_1)
	v_cmpx_ne_u16_e32 0, v7
	s_cbranch_execz .LBB314_88
; %bb.81:                               ;   in Loop: Header=BB314_13 Depth=1
	v_bfrev_b32_e32 v100, 1
	s_mov_b32 s21, exec_lo
	v_cmpx_ne_u16_e32 0x80, v7
	s_cbranch_execz .LBB314_87
; %bb.82:                               ;   in Loop: Header=BB314_13 Depth=1
	v_and_b32_e32 v102, 0x7f, v112
	v_mov_b32_e32 v100, 0x7fc02000
	s_mov_b32 s22, exec_lo
	s_delay_alu instid0(VALU_DEP_2)
	v_cmpx_ne_u32_e32 0x7f, v102
	s_cbranch_execz .LBB314_86
; %bb.83:                               ;   in Loop: Header=BB314_13 Depth=1
	v_and_b32_e32 v7, 7, v112
	v_lshrrev_b32_e32 v100, 3, v102
	s_mov_b32 s23, exec_lo
	v_cmpx_gt_u32_e32 8, v102
; %bb.84:                               ;   in Loop: Header=BB314_13 Depth=1
	s_delay_alu instid0(VALU_DEP_3) | instskip(NEXT) | instid1(VALU_DEP_1)
	v_clz_i32_u32_e32 v100, v7
	v_min_u32_e32 v100, 32, v100
	s_delay_alu instid0(VALU_DEP_1) | instskip(SKIP_1) | instid1(VALU_DEP_2)
	v_subrev_nc_u32_e32 v102, 28, v100
	v_sub_nc_u32_e32 v100, 29, v100
	v_lshlrev_b64 v[102:103], v102, v[7:8]
	s_delay_alu instid0(VALU_DEP_1)
	v_and_b32_e32 v7, 7, v102
; %bb.85:                               ;   in Loop: Header=BB314_13 Depth=1
	s_or_b32 exec_lo, exec_lo, s23
	v_lshlrev_b32_e32 v102, 8, v112
	v_lshl_add_u32 v100, v100, 10, 0x2000
	s_delay_alu instid0(VALU_DEP_1) | instskip(NEXT) | instid1(VALU_DEP_1)
	v_and_or_b32 v100, 0x8000, v102, v100
	v_lshl_or_b32 v7, v7, 7, v100
	s_delay_alu instid0(VALU_DEP_1)
	v_cvt_f32_f16_e32 v100, v7
.LBB314_86:                             ;   in Loop: Header=BB314_13 Depth=1
	s_or_b32 exec_lo, exec_lo, s22
.LBB314_87:                             ;   in Loop: Header=BB314_13 Depth=1
	s_delay_alu instid0(SALU_CYCLE_1)
	s_or_b32 exec_lo, exec_lo, s21
.LBB314_88:                             ;   in Loop: Header=BB314_13 Depth=1
	s_delay_alu instid0(SALU_CYCLE_1) | instskip(SKIP_2) | instid1(VALU_DEP_1)
	s_or_b32 exec_lo, exec_lo, s20
	v_lshrrev_b16 v7, 8, v112
	s_mov_b32 s20, exec_lo
	v_cmpx_ne_u16_e32 0, v7
	s_cbranch_execz .LBB314_96
; %bb.89:                               ;   in Loop: Header=BB314_13 Depth=1
	v_bfrev_b32_e32 v101, 1
	s_mov_b32 s21, exec_lo
	v_cmpx_ne_u16_e32 0x80, v7
	s_cbranch_execz .LBB314_95
; %bb.90:                               ;   in Loop: Header=BB314_13 Depth=1
	v_and_b32_e32 v102, 0xffff, v7
	v_mov_b32_e32 v101, 0x7fc02000
	s_mov_b32 s22, exec_lo
	s_delay_alu instid0(VALU_DEP_2) | instskip(NEXT) | instid1(VALU_DEP_1)
	v_and_b32_e32 v103, 0x7f, v102
	v_cmpx_ne_u32_e32 0x7f, v103
	s_cbranch_execz .LBB314_94
; %bb.91:                               ;   in Loop: Header=BB314_13 Depth=1
	v_and_b32_e32 v7, 7, v102
	v_lshrrev_b32_e32 v101, 3, v103
	s_mov_b32 s23, exec_lo
	v_cmpx_gt_u32_e32 8, v103
; %bb.92:                               ;   in Loop: Header=BB314_13 Depth=1
	s_delay_alu instid0(VALU_DEP_3) | instskip(NEXT) | instid1(VALU_DEP_1)
	v_clz_i32_u32_e32 v101, v7
	v_min_u32_e32 v101, 32, v101
	s_delay_alu instid0(VALU_DEP_1) | instskip(SKIP_1) | instid1(VALU_DEP_2)
	v_subrev_nc_u32_e32 v103, 28, v101
	v_sub_nc_u32_e32 v101, 29, v101
	v_lshlrev_b64 v[113:114], v103, v[7:8]
	s_delay_alu instid0(VALU_DEP_1)
	v_and_b32_e32 v7, 7, v113
; %bb.93:                               ;   in Loop: Header=BB314_13 Depth=1
	s_or_b32 exec_lo, exec_lo, s23
	v_lshlrev_b32_e32 v102, 8, v102
	v_lshl_add_u32 v101, v101, 10, 0x2000
	s_delay_alu instid0(VALU_DEP_1) | instskip(NEXT) | instid1(VALU_DEP_1)
	v_and_or_b32 v101, 0x8000, v102, v101
	v_lshl_or_b32 v7, v7, 7, v101
	s_delay_alu instid0(VALU_DEP_1)
	v_cvt_f32_f16_e32 v101, v7
.LBB314_94:                             ;   in Loop: Header=BB314_13 Depth=1
	s_or_b32 exec_lo, exec_lo, s22
.LBB314_95:                             ;   in Loop: Header=BB314_13 Depth=1
	s_delay_alu instid0(SALU_CYCLE_1)
	s_or_b32 exec_lo, exec_lo, s21
.LBB314_96:                             ;   in Loop: Header=BB314_13 Depth=1
	s_delay_alu instid0(SALU_CYCLE_1) | instskip(SKIP_3) | instid1(VALU_DEP_2)
	s_or_b32 exec_lo, exec_lo, s20
	v_lshrrev_b32_e32 v113, 16, v112
	v_mov_b32_e32 v103, 0
	s_mov_b32 s20, exec_lo
	v_dual_mov_b32 v102, 0 :: v_dual_and_b32 v7, 0xff, v113
	s_delay_alu instid0(VALU_DEP_1)
	v_cmpx_ne_u16_e32 0, v7
	s_cbranch_execz .LBB314_104
; %bb.97:                               ;   in Loop: Header=BB314_13 Depth=1
	v_bfrev_b32_e32 v103, 1
	s_mov_b32 s21, exec_lo
	v_cmpx_ne_u16_e32 0x80, v7
	s_cbranch_execz .LBB314_103
; %bb.98:                               ;   in Loop: Header=BB314_13 Depth=1
	v_bfe_u32 v114, v112, 16, 7
	v_mov_b32_e32 v103, 0x7fc02000
	s_mov_b32 s22, exec_lo
	s_delay_alu instid0(VALU_DEP_2)
	v_cmpx_ne_u32_e32 0x7f, v114
	s_cbranch_execz .LBB314_102
; %bb.99:                               ;   in Loop: Header=BB314_13 Depth=1
	v_and_b32_e32 v7, 7, v113
	v_lshrrev_b32_e32 v103, 3, v114
	s_mov_b32 s23, exec_lo
	v_cmpx_gt_u32_e32 8, v114
; %bb.100:                              ;   in Loop: Header=BB314_13 Depth=1
	s_delay_alu instid0(VALU_DEP_3) | instskip(NEXT) | instid1(VALU_DEP_1)
	v_clz_i32_u32_e32 v103, v7
	v_min_u32_e32 v103, 32, v103
	s_delay_alu instid0(VALU_DEP_1) | instskip(SKIP_1) | instid1(VALU_DEP_2)
	v_subrev_nc_u32_e32 v114, 28, v103
	v_sub_nc_u32_e32 v103, 29, v103
	v_lshlrev_b64 v[114:115], v114, v[7:8]
	s_delay_alu instid0(VALU_DEP_1)
	v_and_b32_e32 v7, 7, v114
; %bb.101:                              ;   in Loop: Header=BB314_13 Depth=1
	s_or_b32 exec_lo, exec_lo, s23
	v_lshlrev_b32_e32 v113, 8, v113
	v_lshl_add_u32 v103, v103, 10, 0x2000
	s_delay_alu instid0(VALU_DEP_1) | instskip(NEXT) | instid1(VALU_DEP_1)
	v_and_or_b32 v103, 0x8000, v113, v103
	v_lshl_or_b32 v7, v7, 7, v103
	s_delay_alu instid0(VALU_DEP_1)
	v_cvt_f32_f16_e32 v103, v7
.LBB314_102:                            ;   in Loop: Header=BB314_13 Depth=1
	s_or_b32 exec_lo, exec_lo, s22
.LBB314_103:                            ;   in Loop: Header=BB314_13 Depth=1
	s_delay_alu instid0(SALU_CYCLE_1)
	s_or_b32 exec_lo, exec_lo, s21
.LBB314_104:                            ;   in Loop: Header=BB314_13 Depth=1
	s_delay_alu instid0(SALU_CYCLE_1) | instskip(NEXT) | instid1(SALU_CYCLE_1)
	s_or_b32 exec_lo, exec_lo, s20
	s_mov_b32 s20, exec_lo
	v_cmpx_lt_u32_e32 0xffffff, v112
	s_cbranch_execz .LBB314_112
; %bb.105:                              ;   in Loop: Header=BB314_13 Depth=1
	v_lshrrev_b32_e32 v112, 24, v112
	v_bfrev_b32_e32 v102, 1
	s_mov_b32 s21, exec_lo
	s_delay_alu instid0(VALU_DEP_2)
	v_cmpx_ne_u32_e32 0x80, v112
	s_cbranch_execz .LBB314_111
; %bb.106:                              ;   in Loop: Header=BB314_13 Depth=1
	v_and_b32_e32 v113, 0x7f, v112
	v_mov_b32_e32 v102, 0x7fc02000
	s_mov_b32 s22, exec_lo
	s_delay_alu instid0(VALU_DEP_2)
	v_cmpx_ne_u32_e32 0x7f, v113
	s_cbranch_execz .LBB314_110
; %bb.107:                              ;   in Loop: Header=BB314_13 Depth=1
	v_and_b32_e32 v7, 7, v112
	v_lshrrev_b32_e32 v102, 3, v113
	s_mov_b32 s23, exec_lo
	v_cmpx_gt_u32_e32 8, v113
; %bb.108:                              ;   in Loop: Header=BB314_13 Depth=1
	s_delay_alu instid0(VALU_DEP_3) | instskip(NEXT) | instid1(VALU_DEP_1)
	v_clz_i32_u32_e32 v102, v7
	v_min_u32_e32 v102, 32, v102
	s_delay_alu instid0(VALU_DEP_1) | instskip(SKIP_1) | instid1(VALU_DEP_2)
	v_subrev_nc_u32_e32 v113, 28, v102
	v_sub_nc_u32_e32 v102, 29, v102
	v_lshlrev_b64 v[113:114], v113, v[7:8]
	s_delay_alu instid0(VALU_DEP_1)
	v_and_b32_e32 v7, 7, v113
; %bb.109:                              ;   in Loop: Header=BB314_13 Depth=1
	s_or_b32 exec_lo, exec_lo, s23
	v_lshlrev_b32_e32 v112, 8, v112
	v_lshl_add_u32 v102, v102, 10, 0x2000
	s_delay_alu instid0(VALU_DEP_1) | instskip(NEXT) | instid1(VALU_DEP_1)
	v_and_or_b32 v102, 0x8000, v112, v102
	v_lshl_or_b32 v7, v7, 7, v102
	s_delay_alu instid0(VALU_DEP_1)
	v_cvt_f32_f16_e32 v102, v7
.LBB314_110:                            ;   in Loop: Header=BB314_13 Depth=1
	s_or_b32 exec_lo, exec_lo, s22
.LBB314_111:                            ;   in Loop: Header=BB314_13 Depth=1
	s_delay_alu instid0(SALU_CYCLE_1)
	s_or_b32 exec_lo, exec_lo, s21
.LBB314_112:                            ;   in Loop: Header=BB314_13 Depth=1
	s_delay_alu instid0(SALU_CYCLE_1)
	s_or_b32 exec_lo, exec_lo, s20
	flat_load_b32 v116, v[31:32] offset:264
	v_mov_b32_e32 v113, 0
	s_mov_b32 s20, exec_lo
	s_waitcnt vmcnt(0) lgkmcnt(0)
	v_dual_mov_b32 v112, 0 :: v_dual_and_b32 v7, 0xff, v116
	s_delay_alu instid0(VALU_DEP_1)
	v_cmpx_ne_u16_e32 0, v7
	s_cbranch_execz .LBB314_120
; %bb.113:                              ;   in Loop: Header=BB314_13 Depth=1
	v_bfrev_b32_e32 v112, 1
	s_mov_b32 s21, exec_lo
	v_cmpx_ne_u16_e32 0x80, v7
	s_cbranch_execz .LBB314_119
; %bb.114:                              ;   in Loop: Header=BB314_13 Depth=1
	v_and_b32_e32 v114, 0x7f, v116
	v_mov_b32_e32 v112, 0x7fc02000
	s_mov_b32 s22, exec_lo
	s_delay_alu instid0(VALU_DEP_2)
	v_cmpx_ne_u32_e32 0x7f, v114
	s_cbranch_execz .LBB314_118
; %bb.115:                              ;   in Loop: Header=BB314_13 Depth=1
	v_and_b32_e32 v7, 7, v116
	v_lshrrev_b32_e32 v112, 3, v114
	s_mov_b32 s23, exec_lo
	v_cmpx_gt_u32_e32 8, v114
; %bb.116:                              ;   in Loop: Header=BB314_13 Depth=1
	s_delay_alu instid0(VALU_DEP_3) | instskip(NEXT) | instid1(VALU_DEP_1)
	v_clz_i32_u32_e32 v112, v7
	v_min_u32_e32 v112, 32, v112
	s_delay_alu instid0(VALU_DEP_1) | instskip(SKIP_1) | instid1(VALU_DEP_2)
	v_subrev_nc_u32_e32 v114, 28, v112
	v_sub_nc_u32_e32 v112, 29, v112
	v_lshlrev_b64 v[114:115], v114, v[7:8]
	s_delay_alu instid0(VALU_DEP_1)
	v_and_b32_e32 v7, 7, v114
; %bb.117:                              ;   in Loop: Header=BB314_13 Depth=1
	s_or_b32 exec_lo, exec_lo, s23
	v_lshlrev_b32_e32 v114, 8, v116
	v_lshl_add_u32 v112, v112, 10, 0x2000
	s_delay_alu instid0(VALU_DEP_1) | instskip(NEXT) | instid1(VALU_DEP_1)
	v_and_or_b32 v112, 0x8000, v114, v112
	v_lshl_or_b32 v7, v7, 7, v112
	s_delay_alu instid0(VALU_DEP_1)
	v_cvt_f32_f16_e32 v112, v7
.LBB314_118:                            ;   in Loop: Header=BB314_13 Depth=1
	s_or_b32 exec_lo, exec_lo, s22
.LBB314_119:                            ;   in Loop: Header=BB314_13 Depth=1
	s_delay_alu instid0(SALU_CYCLE_1)
	s_or_b32 exec_lo, exec_lo, s21
.LBB314_120:                            ;   in Loop: Header=BB314_13 Depth=1
	s_delay_alu instid0(SALU_CYCLE_1) | instskip(SKIP_2) | instid1(VALU_DEP_1)
	s_or_b32 exec_lo, exec_lo, s20
	v_lshrrev_b16 v7, 8, v116
	s_mov_b32 s20, exec_lo
	v_cmpx_ne_u16_e32 0, v7
	s_cbranch_execz .LBB314_128
; %bb.121:                              ;   in Loop: Header=BB314_13 Depth=1
	v_bfrev_b32_e32 v113, 1
	s_mov_b32 s21, exec_lo
	v_cmpx_ne_u16_e32 0x80, v7
	s_cbranch_execz .LBB314_127
; %bb.122:                              ;   in Loop: Header=BB314_13 Depth=1
	v_and_b32_e32 v114, 0xffff, v7
	v_mov_b32_e32 v113, 0x7fc02000
	s_mov_b32 s22, exec_lo
	s_delay_alu instid0(VALU_DEP_2) | instskip(NEXT) | instid1(VALU_DEP_1)
	v_and_b32_e32 v115, 0x7f, v114
	v_cmpx_ne_u32_e32 0x7f, v115
	s_cbranch_execz .LBB314_126
; %bb.123:                              ;   in Loop: Header=BB314_13 Depth=1
	v_and_b32_e32 v7, 7, v114
	v_lshrrev_b32_e32 v113, 3, v115
	s_mov_b32 s23, exec_lo
	v_cmpx_gt_u32_e32 8, v115
; %bb.124:                              ;   in Loop: Header=BB314_13 Depth=1
	s_delay_alu instid0(VALU_DEP_3) | instskip(NEXT) | instid1(VALU_DEP_1)
	v_clz_i32_u32_e32 v113, v7
	v_min_u32_e32 v113, 32, v113
	s_delay_alu instid0(VALU_DEP_1) | instskip(SKIP_1) | instid1(VALU_DEP_2)
	v_subrev_nc_u32_e32 v115, 28, v113
	v_sub_nc_u32_e32 v113, 29, v113
	v_lshlrev_b64 v[117:118], v115, v[7:8]
	s_delay_alu instid0(VALU_DEP_1)
	v_and_b32_e32 v7, 7, v117
; %bb.125:                              ;   in Loop: Header=BB314_13 Depth=1
	s_or_b32 exec_lo, exec_lo, s23
	v_lshlrev_b32_e32 v114, 8, v114
	v_lshl_add_u32 v113, v113, 10, 0x2000
	s_delay_alu instid0(VALU_DEP_1) | instskip(NEXT) | instid1(VALU_DEP_1)
	v_and_or_b32 v113, 0x8000, v114, v113
	v_lshl_or_b32 v7, v7, 7, v113
	s_delay_alu instid0(VALU_DEP_1)
	v_cvt_f32_f16_e32 v113, v7
.LBB314_126:                            ;   in Loop: Header=BB314_13 Depth=1
	s_or_b32 exec_lo, exec_lo, s22
.LBB314_127:                            ;   in Loop: Header=BB314_13 Depth=1
	s_delay_alu instid0(SALU_CYCLE_1)
	s_or_b32 exec_lo, exec_lo, s21
.LBB314_128:                            ;   in Loop: Header=BB314_13 Depth=1
	s_delay_alu instid0(SALU_CYCLE_1) | instskip(SKIP_3) | instid1(VALU_DEP_2)
	s_or_b32 exec_lo, exec_lo, s20
	v_lshrrev_b32_e32 v117, 16, v116
	v_mov_b32_e32 v115, 0
	s_mov_b32 s20, exec_lo
	v_dual_mov_b32 v114, 0 :: v_dual_and_b32 v7, 0xff, v117
	s_delay_alu instid0(VALU_DEP_1)
	v_cmpx_ne_u16_e32 0, v7
	s_cbranch_execz .LBB314_136
; %bb.129:                              ;   in Loop: Header=BB314_13 Depth=1
	v_bfrev_b32_e32 v115, 1
	s_mov_b32 s21, exec_lo
	v_cmpx_ne_u16_e32 0x80, v7
	s_cbranch_execz .LBB314_135
; %bb.130:                              ;   in Loop: Header=BB314_13 Depth=1
	v_bfe_u32 v118, v116, 16, 7
	v_mov_b32_e32 v115, 0x7fc02000
	s_mov_b32 s22, exec_lo
	s_delay_alu instid0(VALU_DEP_2)
	v_cmpx_ne_u32_e32 0x7f, v118
	s_cbranch_execz .LBB314_134
; %bb.131:                              ;   in Loop: Header=BB314_13 Depth=1
	v_and_b32_e32 v7, 7, v117
	v_lshrrev_b32_e32 v115, 3, v118
	s_mov_b32 s23, exec_lo
	v_cmpx_gt_u32_e32 8, v118
; %bb.132:                              ;   in Loop: Header=BB314_13 Depth=1
	s_delay_alu instid0(VALU_DEP_3) | instskip(NEXT) | instid1(VALU_DEP_1)
	v_clz_i32_u32_e32 v115, v7
	v_min_u32_e32 v115, 32, v115
	s_delay_alu instid0(VALU_DEP_1) | instskip(SKIP_1) | instid1(VALU_DEP_2)
	v_subrev_nc_u32_e32 v118, 28, v115
	v_sub_nc_u32_e32 v115, 29, v115
	v_lshlrev_b64 v[118:119], v118, v[7:8]
	s_delay_alu instid0(VALU_DEP_1)
	v_and_b32_e32 v7, 7, v118
; %bb.133:                              ;   in Loop: Header=BB314_13 Depth=1
	s_or_b32 exec_lo, exec_lo, s23
	v_lshlrev_b32_e32 v117, 8, v117
	v_lshl_add_u32 v115, v115, 10, 0x2000
	s_delay_alu instid0(VALU_DEP_1) | instskip(NEXT) | instid1(VALU_DEP_1)
	v_and_or_b32 v115, 0x8000, v117, v115
	v_lshl_or_b32 v7, v7, 7, v115
	s_delay_alu instid0(VALU_DEP_1)
	v_cvt_f32_f16_e32 v115, v7
.LBB314_134:                            ;   in Loop: Header=BB314_13 Depth=1
	s_or_b32 exec_lo, exec_lo, s22
.LBB314_135:                            ;   in Loop: Header=BB314_13 Depth=1
	s_delay_alu instid0(SALU_CYCLE_1)
	s_or_b32 exec_lo, exec_lo, s21
.LBB314_136:                            ;   in Loop: Header=BB314_13 Depth=1
	s_delay_alu instid0(SALU_CYCLE_1) | instskip(NEXT) | instid1(SALU_CYCLE_1)
	s_or_b32 exec_lo, exec_lo, s20
	s_mov_b32 s20, exec_lo
	v_cmpx_lt_u32_e32 0xffffff, v116
	s_cbranch_execz .LBB314_144
; %bb.137:                              ;   in Loop: Header=BB314_13 Depth=1
	v_lshrrev_b32_e32 v116, 24, v116
	v_bfrev_b32_e32 v114, 1
	s_mov_b32 s21, exec_lo
	s_delay_alu instid0(VALU_DEP_2)
	v_cmpx_ne_u32_e32 0x80, v116
	s_cbranch_execz .LBB314_143
; %bb.138:                              ;   in Loop: Header=BB314_13 Depth=1
	v_and_b32_e32 v117, 0x7f, v116
	v_mov_b32_e32 v114, 0x7fc02000
	s_mov_b32 s22, exec_lo
	s_delay_alu instid0(VALU_DEP_2)
	v_cmpx_ne_u32_e32 0x7f, v117
	s_cbranch_execz .LBB314_142
; %bb.139:                              ;   in Loop: Header=BB314_13 Depth=1
	v_and_b32_e32 v7, 7, v116
	v_lshrrev_b32_e32 v114, 3, v117
	s_mov_b32 s23, exec_lo
	v_cmpx_gt_u32_e32 8, v117
; %bb.140:                              ;   in Loop: Header=BB314_13 Depth=1
	s_delay_alu instid0(VALU_DEP_3) | instskip(NEXT) | instid1(VALU_DEP_1)
	v_clz_i32_u32_e32 v114, v7
	v_min_u32_e32 v114, 32, v114
	s_delay_alu instid0(VALU_DEP_1) | instskip(SKIP_1) | instid1(VALU_DEP_2)
	v_subrev_nc_u32_e32 v117, 28, v114
	v_sub_nc_u32_e32 v114, 29, v114
	v_lshlrev_b64 v[117:118], v117, v[7:8]
	s_delay_alu instid0(VALU_DEP_1)
	v_and_b32_e32 v7, 7, v117
; %bb.141:                              ;   in Loop: Header=BB314_13 Depth=1
	s_or_b32 exec_lo, exec_lo, s23
	v_lshlrev_b32_e32 v116, 8, v116
	v_lshl_add_u32 v114, v114, 10, 0x2000
	s_delay_alu instid0(VALU_DEP_1) | instskip(NEXT) | instid1(VALU_DEP_1)
	v_and_or_b32 v114, 0x8000, v116, v114
	v_lshl_or_b32 v7, v7, 7, v114
	s_delay_alu instid0(VALU_DEP_1)
	v_cvt_f32_f16_e32 v114, v7
.LBB314_142:                            ;   in Loop: Header=BB314_13 Depth=1
	s_or_b32 exec_lo, exec_lo, s22
.LBB314_143:                            ;   in Loop: Header=BB314_13 Depth=1
	s_delay_alu instid0(SALU_CYCLE_1)
	s_or_b32 exec_lo, exec_lo, s21
.LBB314_144:                            ;   in Loop: Header=BB314_13 Depth=1
	s_delay_alu instid0(SALU_CYCLE_1)
	s_or_b32 exec_lo, exec_lo, s20
	flat_load_b32 v128, v[31:32] offset:512
	v_mov_b32_e32 v117, 0
	s_mov_b32 s20, exec_lo
	s_waitcnt vmcnt(0) lgkmcnt(0)
	v_dual_mov_b32 v116, 0 :: v_dual_and_b32 v7, 0xff, v128
	s_delay_alu instid0(VALU_DEP_1)
	v_cmpx_ne_u16_e32 0, v7
	s_cbranch_execz .LBB314_152
; %bb.145:                              ;   in Loop: Header=BB314_13 Depth=1
	v_bfrev_b32_e32 v116, 1
	s_mov_b32 s21, exec_lo
	v_cmpx_ne_u16_e32 0x80, v7
	s_cbranch_execz .LBB314_151
; %bb.146:                              ;   in Loop: Header=BB314_13 Depth=1
	v_and_b32_e32 v118, 0x7f, v128
	v_mov_b32_e32 v116, 0x7fc02000
	s_mov_b32 s22, exec_lo
	s_delay_alu instid0(VALU_DEP_2)
	v_cmpx_ne_u32_e32 0x7f, v118
	s_cbranch_execz .LBB314_150
; %bb.147:                              ;   in Loop: Header=BB314_13 Depth=1
	v_and_b32_e32 v7, 7, v128
	v_lshrrev_b32_e32 v116, 3, v118
	s_mov_b32 s23, exec_lo
	v_cmpx_gt_u32_e32 8, v118
; %bb.148:                              ;   in Loop: Header=BB314_13 Depth=1
	s_delay_alu instid0(VALU_DEP_3) | instskip(NEXT) | instid1(VALU_DEP_1)
	v_clz_i32_u32_e32 v116, v7
	v_min_u32_e32 v116, 32, v116
	s_delay_alu instid0(VALU_DEP_1) | instskip(SKIP_1) | instid1(VALU_DEP_2)
	v_subrev_nc_u32_e32 v118, 28, v116
	v_sub_nc_u32_e32 v116, 29, v116
	v_lshlrev_b64 v[118:119], v118, v[7:8]
	s_delay_alu instid0(VALU_DEP_1)
	v_and_b32_e32 v7, 7, v118
; %bb.149:                              ;   in Loop: Header=BB314_13 Depth=1
	s_or_b32 exec_lo, exec_lo, s23
	v_lshlrev_b32_e32 v118, 8, v128
	v_lshl_add_u32 v116, v116, 10, 0x2000
	s_delay_alu instid0(VALU_DEP_1) | instskip(NEXT) | instid1(VALU_DEP_1)
	v_and_or_b32 v116, 0x8000, v118, v116
	v_lshl_or_b32 v7, v7, 7, v116
	s_delay_alu instid0(VALU_DEP_1)
	v_cvt_f32_f16_e32 v116, v7
.LBB314_150:                            ;   in Loop: Header=BB314_13 Depth=1
	s_or_b32 exec_lo, exec_lo, s22
.LBB314_151:                            ;   in Loop: Header=BB314_13 Depth=1
	s_delay_alu instid0(SALU_CYCLE_1)
	s_or_b32 exec_lo, exec_lo, s21
.LBB314_152:                            ;   in Loop: Header=BB314_13 Depth=1
	s_delay_alu instid0(SALU_CYCLE_1) | instskip(SKIP_2) | instid1(VALU_DEP_1)
	s_or_b32 exec_lo, exec_lo, s20
	v_lshrrev_b16 v7, 8, v128
	s_mov_b32 s20, exec_lo
	v_cmpx_ne_u16_e32 0, v7
	s_cbranch_execz .LBB314_160
; %bb.153:                              ;   in Loop: Header=BB314_13 Depth=1
	v_bfrev_b32_e32 v117, 1
	s_mov_b32 s21, exec_lo
	v_cmpx_ne_u16_e32 0x80, v7
	s_cbranch_execz .LBB314_159
; %bb.154:                              ;   in Loop: Header=BB314_13 Depth=1
	v_and_b32_e32 v118, 0xffff, v7
	v_mov_b32_e32 v117, 0x7fc02000
	s_mov_b32 s22, exec_lo
	s_delay_alu instid0(VALU_DEP_2) | instskip(NEXT) | instid1(VALU_DEP_1)
	v_and_b32_e32 v119, 0x7f, v118
	v_cmpx_ne_u32_e32 0x7f, v119
	s_cbranch_execz .LBB314_158
; %bb.155:                              ;   in Loop: Header=BB314_13 Depth=1
	v_and_b32_e32 v7, 7, v118
	v_lshrrev_b32_e32 v117, 3, v119
	s_mov_b32 s23, exec_lo
	v_cmpx_gt_u32_e32 8, v119
; %bb.156:                              ;   in Loop: Header=BB314_13 Depth=1
	s_delay_alu instid0(VALU_DEP_3) | instskip(NEXT) | instid1(VALU_DEP_1)
	v_clz_i32_u32_e32 v117, v7
	v_min_u32_e32 v117, 32, v117
	s_delay_alu instid0(VALU_DEP_1) | instskip(SKIP_1) | instid1(VALU_DEP_2)
	v_subrev_nc_u32_e32 v119, 28, v117
	v_sub_nc_u32_e32 v117, 29, v117
	v_lshlrev_b64 v[129:130], v119, v[7:8]
	s_delay_alu instid0(VALU_DEP_1)
	v_and_b32_e32 v7, 7, v129
; %bb.157:                              ;   in Loop: Header=BB314_13 Depth=1
	s_or_b32 exec_lo, exec_lo, s23
	v_lshlrev_b32_e32 v118, 8, v118
	v_lshl_add_u32 v117, v117, 10, 0x2000
	s_delay_alu instid0(VALU_DEP_1) | instskip(NEXT) | instid1(VALU_DEP_1)
	v_and_or_b32 v117, 0x8000, v118, v117
	v_lshl_or_b32 v7, v7, 7, v117
	s_delay_alu instid0(VALU_DEP_1)
	v_cvt_f32_f16_e32 v117, v7
.LBB314_158:                            ;   in Loop: Header=BB314_13 Depth=1
	s_or_b32 exec_lo, exec_lo, s22
.LBB314_159:                            ;   in Loop: Header=BB314_13 Depth=1
	s_delay_alu instid0(SALU_CYCLE_1)
	s_or_b32 exec_lo, exec_lo, s21
.LBB314_160:                            ;   in Loop: Header=BB314_13 Depth=1
	s_delay_alu instid0(SALU_CYCLE_1) | instskip(SKIP_3) | instid1(VALU_DEP_2)
	s_or_b32 exec_lo, exec_lo, s20
	v_lshrrev_b32_e32 v129, 16, v128
	v_mov_b32_e32 v119, 0
	s_mov_b32 s20, exec_lo
	v_dual_mov_b32 v118, 0 :: v_dual_and_b32 v7, 0xff, v129
	s_delay_alu instid0(VALU_DEP_1)
	v_cmpx_ne_u16_e32 0, v7
	s_cbranch_execz .LBB314_168
; %bb.161:                              ;   in Loop: Header=BB314_13 Depth=1
	v_bfrev_b32_e32 v119, 1
	s_mov_b32 s21, exec_lo
	v_cmpx_ne_u16_e32 0x80, v7
	s_cbranch_execz .LBB314_167
; %bb.162:                              ;   in Loop: Header=BB314_13 Depth=1
	v_bfe_u32 v130, v128, 16, 7
	v_mov_b32_e32 v119, 0x7fc02000
	s_mov_b32 s22, exec_lo
	s_delay_alu instid0(VALU_DEP_2)
	v_cmpx_ne_u32_e32 0x7f, v130
	s_cbranch_execz .LBB314_166
; %bb.163:                              ;   in Loop: Header=BB314_13 Depth=1
	v_and_b32_e32 v7, 7, v129
	v_lshrrev_b32_e32 v119, 3, v130
	s_mov_b32 s23, exec_lo
	v_cmpx_gt_u32_e32 8, v130
; %bb.164:                              ;   in Loop: Header=BB314_13 Depth=1
	s_delay_alu instid0(VALU_DEP_3) | instskip(NEXT) | instid1(VALU_DEP_1)
	v_clz_i32_u32_e32 v119, v7
	v_min_u32_e32 v119, 32, v119
	s_delay_alu instid0(VALU_DEP_1) | instskip(SKIP_1) | instid1(VALU_DEP_2)
	v_subrev_nc_u32_e32 v130, 28, v119
	v_sub_nc_u32_e32 v119, 29, v119
	v_lshlrev_b64 v[130:131], v130, v[7:8]
	s_delay_alu instid0(VALU_DEP_1)
	v_and_b32_e32 v7, 7, v130
; %bb.165:                              ;   in Loop: Header=BB314_13 Depth=1
	s_or_b32 exec_lo, exec_lo, s23
	v_lshlrev_b32_e32 v129, 8, v129
	v_lshl_add_u32 v119, v119, 10, 0x2000
	s_delay_alu instid0(VALU_DEP_1) | instskip(NEXT) | instid1(VALU_DEP_1)
	v_and_or_b32 v119, 0x8000, v129, v119
	v_lshl_or_b32 v7, v7, 7, v119
	s_delay_alu instid0(VALU_DEP_1)
	v_cvt_f32_f16_e32 v119, v7
.LBB314_166:                            ;   in Loop: Header=BB314_13 Depth=1
	s_or_b32 exec_lo, exec_lo, s22
.LBB314_167:                            ;   in Loop: Header=BB314_13 Depth=1
	s_delay_alu instid0(SALU_CYCLE_1)
	s_or_b32 exec_lo, exec_lo, s21
.LBB314_168:                            ;   in Loop: Header=BB314_13 Depth=1
	s_delay_alu instid0(SALU_CYCLE_1) | instskip(NEXT) | instid1(SALU_CYCLE_1)
	s_or_b32 exec_lo, exec_lo, s20
	s_mov_b32 s20, exec_lo
	v_cmpx_lt_u32_e32 0xffffff, v128
	s_cbranch_execz .LBB314_176
; %bb.169:                              ;   in Loop: Header=BB314_13 Depth=1
	v_lshrrev_b32_e32 v128, 24, v128
	v_bfrev_b32_e32 v118, 1
	s_mov_b32 s21, exec_lo
	s_delay_alu instid0(VALU_DEP_2)
	v_cmpx_ne_u32_e32 0x80, v128
	s_cbranch_execz .LBB314_175
; %bb.170:                              ;   in Loop: Header=BB314_13 Depth=1
	v_and_b32_e32 v129, 0x7f, v128
	v_mov_b32_e32 v118, 0x7fc02000
	s_mov_b32 s22, exec_lo
	s_delay_alu instid0(VALU_DEP_2)
	v_cmpx_ne_u32_e32 0x7f, v129
	s_cbranch_execz .LBB314_174
; %bb.171:                              ;   in Loop: Header=BB314_13 Depth=1
	v_and_b32_e32 v7, 7, v128
	v_lshrrev_b32_e32 v118, 3, v129
	s_mov_b32 s23, exec_lo
	v_cmpx_gt_u32_e32 8, v129
; %bb.172:                              ;   in Loop: Header=BB314_13 Depth=1
	s_delay_alu instid0(VALU_DEP_3) | instskip(NEXT) | instid1(VALU_DEP_1)
	v_clz_i32_u32_e32 v118, v7
	v_min_u32_e32 v118, 32, v118
	s_delay_alu instid0(VALU_DEP_1) | instskip(SKIP_1) | instid1(VALU_DEP_2)
	v_subrev_nc_u32_e32 v129, 28, v118
	v_sub_nc_u32_e32 v118, 29, v118
	v_lshlrev_b64 v[129:130], v129, v[7:8]
	s_delay_alu instid0(VALU_DEP_1)
	v_and_b32_e32 v7, 7, v129
; %bb.173:                              ;   in Loop: Header=BB314_13 Depth=1
	s_or_b32 exec_lo, exec_lo, s23
	v_lshlrev_b32_e32 v128, 8, v128
	v_lshl_add_u32 v118, v118, 10, 0x2000
	s_delay_alu instid0(VALU_DEP_1) | instskip(NEXT) | instid1(VALU_DEP_1)
	v_and_or_b32 v118, 0x8000, v128, v118
	v_lshl_or_b32 v7, v7, 7, v118
	s_delay_alu instid0(VALU_DEP_1)
	v_cvt_f32_f16_e32 v118, v7
.LBB314_174:                            ;   in Loop: Header=BB314_13 Depth=1
	s_or_b32 exec_lo, exec_lo, s22
.LBB314_175:                            ;   in Loop: Header=BB314_13 Depth=1
	s_delay_alu instid0(SALU_CYCLE_1)
	s_or_b32 exec_lo, exec_lo, s21
.LBB314_176:                            ;   in Loop: Header=BB314_13 Depth=1
	s_delay_alu instid0(SALU_CYCLE_1)
	s_or_b32 exec_lo, exec_lo, s20
	flat_load_b32 v132, v[31:32] offset:520
	v_mov_b32_e32 v129, 0
	s_mov_b32 s20, exec_lo
	s_waitcnt vmcnt(0) lgkmcnt(0)
	v_dual_mov_b32 v128, 0 :: v_dual_and_b32 v7, 0xff, v132
	s_delay_alu instid0(VALU_DEP_1)
	v_cmpx_ne_u16_e32 0, v7
	s_cbranch_execz .LBB314_184
; %bb.177:                              ;   in Loop: Header=BB314_13 Depth=1
	v_bfrev_b32_e32 v128, 1
	s_mov_b32 s21, exec_lo
	v_cmpx_ne_u16_e32 0x80, v7
	s_cbranch_execz .LBB314_183
; %bb.178:                              ;   in Loop: Header=BB314_13 Depth=1
	v_and_b32_e32 v130, 0x7f, v132
	v_mov_b32_e32 v128, 0x7fc02000
	s_mov_b32 s22, exec_lo
	s_delay_alu instid0(VALU_DEP_2)
	v_cmpx_ne_u32_e32 0x7f, v130
	s_cbranch_execz .LBB314_182
; %bb.179:                              ;   in Loop: Header=BB314_13 Depth=1
	v_and_b32_e32 v7, 7, v132
	v_lshrrev_b32_e32 v128, 3, v130
	s_mov_b32 s23, exec_lo
	v_cmpx_gt_u32_e32 8, v130
; %bb.180:                              ;   in Loop: Header=BB314_13 Depth=1
	s_delay_alu instid0(VALU_DEP_3) | instskip(NEXT) | instid1(VALU_DEP_1)
	v_clz_i32_u32_e32 v128, v7
	v_min_u32_e32 v128, 32, v128
	s_delay_alu instid0(VALU_DEP_1) | instskip(SKIP_1) | instid1(VALU_DEP_2)
	v_subrev_nc_u32_e32 v130, 28, v128
	v_sub_nc_u32_e32 v128, 29, v128
	v_lshlrev_b64 v[130:131], v130, v[7:8]
	s_delay_alu instid0(VALU_DEP_1)
	v_and_b32_e32 v7, 7, v130
; %bb.181:                              ;   in Loop: Header=BB314_13 Depth=1
	s_or_b32 exec_lo, exec_lo, s23
	v_lshlrev_b32_e32 v130, 8, v132
	v_lshl_add_u32 v128, v128, 10, 0x2000
	s_delay_alu instid0(VALU_DEP_1) | instskip(NEXT) | instid1(VALU_DEP_1)
	v_and_or_b32 v128, 0x8000, v130, v128
	v_lshl_or_b32 v7, v7, 7, v128
	s_delay_alu instid0(VALU_DEP_1)
	v_cvt_f32_f16_e64 v128, v7
.LBB314_182:                            ;   in Loop: Header=BB314_13 Depth=1
	s_or_b32 exec_lo, exec_lo, s22
.LBB314_183:                            ;   in Loop: Header=BB314_13 Depth=1
	s_delay_alu instid0(SALU_CYCLE_1)
	s_or_b32 exec_lo, exec_lo, s21
.LBB314_184:                            ;   in Loop: Header=BB314_13 Depth=1
	s_delay_alu instid0(SALU_CYCLE_1) | instskip(SKIP_2) | instid1(VALU_DEP_1)
	s_or_b32 exec_lo, exec_lo, s20
	v_lshrrev_b16 v7, 8, v132
	s_mov_b32 s20, exec_lo
	v_cmpx_ne_u16_e32 0, v7
	s_cbranch_execz .LBB314_192
; %bb.185:                              ;   in Loop: Header=BB314_13 Depth=1
	v_bfrev_b32_e32 v129, 1
	s_mov_b32 s21, exec_lo
	v_cmpx_ne_u16_e32 0x80, v7
	s_cbranch_execz .LBB314_191
; %bb.186:                              ;   in Loop: Header=BB314_13 Depth=1
	v_and_b32_e32 v130, 0xffff, v7
	v_mov_b32_e32 v129, 0x7fc02000
	s_mov_b32 s22, exec_lo
	s_delay_alu instid0(VALU_DEP_2) | instskip(NEXT) | instid1(VALU_DEP_1)
	v_and_b32_e32 v131, 0x7f, v130
	v_cmpx_ne_u32_e32 0x7f, v131
	s_cbranch_execz .LBB314_190
; %bb.187:                              ;   in Loop: Header=BB314_13 Depth=1
	v_and_b32_e32 v7, 7, v130
	v_lshrrev_b32_e32 v129, 3, v131
	s_mov_b32 s23, exec_lo
	v_cmpx_gt_u32_e32 8, v131
; %bb.188:                              ;   in Loop: Header=BB314_13 Depth=1
	s_delay_alu instid0(VALU_DEP_3) | instskip(NEXT) | instid1(VALU_DEP_1)
	v_clz_i32_u32_e32 v129, v7
	v_min_u32_e32 v129, 32, v129
	s_delay_alu instid0(VALU_DEP_1) | instskip(SKIP_1) | instid1(VALU_DEP_2)
	v_subrev_nc_u32_e32 v131, 28, v129
	v_sub_nc_u32_e32 v129, 29, v129
	v_lshlrev_b64 v[133:134], v131, v[7:8]
	s_delay_alu instid0(VALU_DEP_1)
	v_and_b32_e32 v7, 7, v133
; %bb.189:                              ;   in Loop: Header=BB314_13 Depth=1
	s_or_b32 exec_lo, exec_lo, s23
	v_lshlrev_b32_e32 v130, 8, v130
	v_lshl_add_u32 v129, v129, 10, 0x2000
	s_delay_alu instid0(VALU_DEP_1) | instskip(NEXT) | instid1(VALU_DEP_1)
	v_and_or_b32 v129, 0x8000, v130, v129
	v_lshl_or_b32 v7, v7, 7, v129
	s_delay_alu instid0(VALU_DEP_1)
	v_cvt_f32_f16_e64 v129, v7
.LBB314_190:                            ;   in Loop: Header=BB314_13 Depth=1
	s_or_b32 exec_lo, exec_lo, s22
.LBB314_191:                            ;   in Loop: Header=BB314_13 Depth=1
	s_delay_alu instid0(SALU_CYCLE_1)
	s_or_b32 exec_lo, exec_lo, s21
.LBB314_192:                            ;   in Loop: Header=BB314_13 Depth=1
	s_delay_alu instid0(SALU_CYCLE_1) | instskip(SKIP_3) | instid1(VALU_DEP_2)
	s_or_b32 exec_lo, exec_lo, s20
	v_lshrrev_b32_e32 v133, 16, v132
	v_mov_b32_e32 v131, 0
	s_mov_b32 s20, exec_lo
	v_dual_mov_b32 v130, 0 :: v_dual_and_b32 v7, 0xff, v133
	s_delay_alu instid0(VALU_DEP_1)
	v_cmpx_ne_u16_e32 0, v7
	s_cbranch_execz .LBB314_200
; %bb.193:                              ;   in Loop: Header=BB314_13 Depth=1
	v_bfrev_b32_e32 v131, 1
	s_mov_b32 s21, exec_lo
	v_cmpx_ne_u16_e32 0x80, v7
	s_cbranch_execz .LBB314_199
; %bb.194:                              ;   in Loop: Header=BB314_13 Depth=1
	v_bfe_u32 v134, v132, 16, 7
	v_mov_b32_e32 v131, 0x7fc02000
	s_mov_b32 s22, exec_lo
	s_delay_alu instid0(VALU_DEP_2)
	v_cmpx_ne_u32_e32 0x7f, v134
	s_cbranch_execz .LBB314_198
; %bb.195:                              ;   in Loop: Header=BB314_13 Depth=1
	v_and_b32_e32 v7, 7, v133
	v_lshrrev_b32_e32 v131, 3, v134
	s_mov_b32 s23, exec_lo
	v_cmpx_gt_u32_e32 8, v134
; %bb.196:                              ;   in Loop: Header=BB314_13 Depth=1
	s_delay_alu instid0(VALU_DEP_3) | instskip(NEXT) | instid1(VALU_DEP_1)
	v_clz_i32_u32_e32 v131, v7
	v_min_u32_e32 v131, 32, v131
	s_delay_alu instid0(VALU_DEP_1) | instskip(SKIP_1) | instid1(VALU_DEP_2)
	v_subrev_nc_u32_e32 v134, 28, v131
	v_sub_nc_u32_e32 v131, 29, v131
	v_lshlrev_b64 v[134:135], v134, v[7:8]
	s_delay_alu instid0(VALU_DEP_1)
	v_and_b32_e32 v7, 7, v134
; %bb.197:                              ;   in Loop: Header=BB314_13 Depth=1
	s_or_b32 exec_lo, exec_lo, s23
	v_lshlrev_b32_e32 v133, 8, v133
	v_lshl_add_u32 v131, v131, 10, 0x2000
	s_delay_alu instid0(VALU_DEP_1) | instskip(NEXT) | instid1(VALU_DEP_1)
	v_and_or_b32 v131, 0x8000, v133, v131
	v_lshl_or_b32 v7, v7, 7, v131
	s_delay_alu instid0(VALU_DEP_1)
	v_cvt_f32_f16_e64 v131, v7
.LBB314_198:                            ;   in Loop: Header=BB314_13 Depth=1
	s_or_b32 exec_lo, exec_lo, s22
.LBB314_199:                            ;   in Loop: Header=BB314_13 Depth=1
	s_delay_alu instid0(SALU_CYCLE_1)
	s_or_b32 exec_lo, exec_lo, s21
.LBB314_200:                            ;   in Loop: Header=BB314_13 Depth=1
	s_delay_alu instid0(SALU_CYCLE_1) | instskip(NEXT) | instid1(SALU_CYCLE_1)
	s_or_b32 exec_lo, exec_lo, s20
	s_mov_b32 s20, exec_lo
	v_cmpx_lt_u32_e32 0xffffff, v132
	s_cbranch_execz .LBB314_208
; %bb.201:                              ;   in Loop: Header=BB314_13 Depth=1
	v_lshrrev_b32_e32 v132, 24, v132
	v_bfrev_b32_e32 v130, 1
	s_mov_b32 s21, exec_lo
	s_delay_alu instid0(VALU_DEP_2)
	v_cmpx_ne_u32_e32 0x80, v132
	s_cbranch_execz .LBB314_207
; %bb.202:                              ;   in Loop: Header=BB314_13 Depth=1
	v_and_b32_e32 v133, 0x7f, v132
	v_mov_b32_e32 v130, 0x7fc02000
	s_mov_b32 s22, exec_lo
	s_delay_alu instid0(VALU_DEP_2)
	v_cmpx_ne_u32_e32 0x7f, v133
	s_cbranch_execz .LBB314_206
; %bb.203:                              ;   in Loop: Header=BB314_13 Depth=1
	v_and_b32_e32 v7, 7, v132
	v_lshrrev_b32_e32 v130, 3, v133
	s_mov_b32 s23, exec_lo
	v_cmpx_gt_u32_e32 8, v133
; %bb.204:                              ;   in Loop: Header=BB314_13 Depth=1
	s_delay_alu instid0(VALU_DEP_3) | instskip(NEXT) | instid1(VALU_DEP_1)
	v_clz_i32_u32_e32 v130, v7
	v_min_u32_e32 v130, 32, v130
	s_delay_alu instid0(VALU_DEP_1) | instskip(SKIP_1) | instid1(VALU_DEP_2)
	v_subrev_nc_u32_e32 v133, 28, v130
	v_sub_nc_u32_e32 v130, 29, v130
	v_lshlrev_b64 v[133:134], v133, v[7:8]
	s_delay_alu instid0(VALU_DEP_1)
	v_and_b32_e32 v7, 7, v133
; %bb.205:                              ;   in Loop: Header=BB314_13 Depth=1
	s_or_b32 exec_lo, exec_lo, s23
	v_lshlrev_b32_e32 v132, 8, v132
	v_lshl_add_u32 v130, v130, 10, 0x2000
	s_delay_alu instid0(VALU_DEP_1) | instskip(NEXT) | instid1(VALU_DEP_1)
	v_and_or_b32 v130, 0x8000, v132, v130
	v_lshl_or_b32 v7, v7, 7, v130
	s_delay_alu instid0(VALU_DEP_1)
	v_cvt_f32_f16_e64 v130, v7
.LBB314_206:                            ;   in Loop: Header=BB314_13 Depth=1
	s_or_b32 exec_lo, exec_lo, s22
.LBB314_207:                            ;   in Loop: Header=BB314_13 Depth=1
	s_delay_alu instid0(SALU_CYCLE_1)
	s_or_b32 exec_lo, exec_lo, s21
.LBB314_208:                            ;   in Loop: Header=BB314_13 Depth=1
	s_delay_alu instid0(SALU_CYCLE_1)
	s_or_b32 exec_lo, exec_lo, s20
	flat_load_b32 v144, v[31:32] offset:768
	v_mov_b32_e32 v133, 0
	s_mov_b32 s20, exec_lo
	s_waitcnt vmcnt(0) lgkmcnt(0)
	v_dual_mov_b32 v132, 0 :: v_dual_and_b32 v7, 0xff, v144
	s_delay_alu instid0(VALU_DEP_1)
	v_cmpx_ne_u16_e32 0, v7
	s_cbranch_execz .LBB314_216
; %bb.209:                              ;   in Loop: Header=BB314_13 Depth=1
	v_bfrev_b32_e32 v132, 1
	s_mov_b32 s21, exec_lo
	v_cmpx_ne_u16_e32 0x80, v7
	s_cbranch_execz .LBB314_215
; %bb.210:                              ;   in Loop: Header=BB314_13 Depth=1
	v_and_b32_e32 v134, 0x7f, v144
	v_mov_b32_e32 v132, 0x7fc02000
	s_mov_b32 s22, exec_lo
	s_delay_alu instid0(VALU_DEP_2)
	v_cmpx_ne_u32_e32 0x7f, v134
	s_cbranch_execz .LBB314_214
; %bb.211:                              ;   in Loop: Header=BB314_13 Depth=1
	v_and_b32_e32 v7, 7, v144
	v_lshrrev_b32_e32 v132, 3, v134
	s_mov_b32 s23, exec_lo
	v_cmpx_gt_u32_e32 8, v134
; %bb.212:                              ;   in Loop: Header=BB314_13 Depth=1
	s_delay_alu instid0(VALU_DEP_3) | instskip(NEXT) | instid1(VALU_DEP_1)
	v_clz_i32_u32_e32 v132, v7
	v_min_u32_e32 v132, 32, v132
	s_delay_alu instid0(VALU_DEP_1) | instskip(SKIP_1) | instid1(VALU_DEP_2)
	v_subrev_nc_u32_e32 v134, 28, v132
	v_sub_nc_u32_e32 v132, 29, v132
	v_lshlrev_b64 v[134:135], v134, v[7:8]
	s_delay_alu instid0(VALU_DEP_1)
	v_and_b32_e32 v7, 7, v134
; %bb.213:                              ;   in Loop: Header=BB314_13 Depth=1
	s_or_b32 exec_lo, exec_lo, s23
	v_lshlrev_b32_e32 v134, 8, v144
	v_lshl_add_u32 v132, v132, 10, 0x2000
	s_delay_alu instid0(VALU_DEP_1) | instskip(NEXT) | instid1(VALU_DEP_1)
	v_and_or_b32 v132, 0x8000, v134, v132
	v_lshl_or_b32 v7, v7, 7, v132
	s_delay_alu instid0(VALU_DEP_1)
	v_cvt_f32_f16_e64 v132, v7
.LBB314_214:                            ;   in Loop: Header=BB314_13 Depth=1
	s_or_b32 exec_lo, exec_lo, s22
.LBB314_215:                            ;   in Loop: Header=BB314_13 Depth=1
	s_delay_alu instid0(SALU_CYCLE_1)
	s_or_b32 exec_lo, exec_lo, s21
.LBB314_216:                            ;   in Loop: Header=BB314_13 Depth=1
	s_delay_alu instid0(SALU_CYCLE_1) | instskip(SKIP_2) | instid1(VALU_DEP_1)
	s_or_b32 exec_lo, exec_lo, s20
	v_lshrrev_b16 v7, 8, v144
	s_mov_b32 s20, exec_lo
	v_cmpx_ne_u16_e32 0, v7
	s_cbranch_execz .LBB314_224
; %bb.217:                              ;   in Loop: Header=BB314_13 Depth=1
	v_bfrev_b32_e32 v133, 1
	s_mov_b32 s21, exec_lo
	v_cmpx_ne_u16_e32 0x80, v7
	s_cbranch_execz .LBB314_223
; %bb.218:                              ;   in Loop: Header=BB314_13 Depth=1
	v_and_b32_e32 v134, 0xffff, v7
	v_mov_b32_e32 v133, 0x7fc02000
	s_mov_b32 s22, exec_lo
	s_delay_alu instid0(VALU_DEP_2) | instskip(NEXT) | instid1(VALU_DEP_1)
	v_and_b32_e32 v135, 0x7f, v134
	v_cmpx_ne_u32_e32 0x7f, v135
	s_cbranch_execz .LBB314_222
; %bb.219:                              ;   in Loop: Header=BB314_13 Depth=1
	v_and_b32_e32 v7, 7, v134
	v_lshrrev_b32_e32 v133, 3, v135
	s_mov_b32 s23, exec_lo
	v_cmpx_gt_u32_e32 8, v135
; %bb.220:                              ;   in Loop: Header=BB314_13 Depth=1
	s_delay_alu instid0(VALU_DEP_3) | instskip(NEXT) | instid1(VALU_DEP_1)
	v_clz_i32_u32_e32 v133, v7
	v_min_u32_e32 v133, 32, v133
	s_delay_alu instid0(VALU_DEP_1) | instskip(SKIP_1) | instid1(VALU_DEP_2)
	v_subrev_nc_u32_e32 v135, 28, v133
	v_sub_nc_u32_e32 v133, 29, v133
	v_lshlrev_b64 v[145:146], v135, v[7:8]
	s_delay_alu instid0(VALU_DEP_1)
	v_and_b32_e32 v7, 7, v145
; %bb.221:                              ;   in Loop: Header=BB314_13 Depth=1
	s_or_b32 exec_lo, exec_lo, s23
	v_lshlrev_b32_e32 v134, 8, v134
	v_lshl_add_u32 v133, v133, 10, 0x2000
	s_delay_alu instid0(VALU_DEP_1) | instskip(NEXT) | instid1(VALU_DEP_1)
	v_and_or_b32 v133, 0x8000, v134, v133
	v_lshl_or_b32 v7, v7, 7, v133
	s_delay_alu instid0(VALU_DEP_1)
	v_cvt_f32_f16_e64 v133, v7
.LBB314_222:                            ;   in Loop: Header=BB314_13 Depth=1
	s_or_b32 exec_lo, exec_lo, s22
.LBB314_223:                            ;   in Loop: Header=BB314_13 Depth=1
	s_delay_alu instid0(SALU_CYCLE_1)
	s_or_b32 exec_lo, exec_lo, s21
.LBB314_224:                            ;   in Loop: Header=BB314_13 Depth=1
	s_delay_alu instid0(SALU_CYCLE_1) | instskip(SKIP_3) | instid1(VALU_DEP_2)
	s_or_b32 exec_lo, exec_lo, s20
	v_lshrrev_b32_e32 v145, 16, v144
	v_mov_b32_e32 v135, 0
	s_mov_b32 s20, exec_lo
	v_dual_mov_b32 v134, 0 :: v_dual_and_b32 v7, 0xff, v145
	s_delay_alu instid0(VALU_DEP_1)
	v_cmpx_ne_u16_e32 0, v7
	s_cbranch_execz .LBB314_232
; %bb.225:                              ;   in Loop: Header=BB314_13 Depth=1
	v_bfrev_b32_e32 v135, 1
	s_mov_b32 s21, exec_lo
	v_cmpx_ne_u16_e32 0x80, v7
	s_cbranch_execz .LBB314_231
; %bb.226:                              ;   in Loop: Header=BB314_13 Depth=1
	v_bfe_u32 v146, v144, 16, 7
	v_mov_b32_e32 v135, 0x7fc02000
	s_mov_b32 s22, exec_lo
	s_delay_alu instid0(VALU_DEP_2)
	v_cmpx_ne_u32_e32 0x7f, v146
	s_cbranch_execz .LBB314_230
; %bb.227:                              ;   in Loop: Header=BB314_13 Depth=1
	v_and_b32_e32 v7, 7, v145
	v_lshrrev_b32_e32 v135, 3, v146
	s_mov_b32 s23, exec_lo
	v_cmpx_gt_u32_e32 8, v146
; %bb.228:                              ;   in Loop: Header=BB314_13 Depth=1
	s_delay_alu instid0(VALU_DEP_3) | instskip(NEXT) | instid1(VALU_DEP_1)
	v_clz_i32_u32_e32 v135, v7
	v_min_u32_e32 v135, 32, v135
	s_delay_alu instid0(VALU_DEP_1) | instskip(SKIP_1) | instid1(VALU_DEP_2)
	v_subrev_nc_u32_e32 v146, 28, v135
	v_sub_nc_u32_e32 v135, 29, v135
	v_lshlrev_b64 v[146:147], v146, v[7:8]
	s_delay_alu instid0(VALU_DEP_1)
	v_and_b32_e32 v7, 7, v146
; %bb.229:                              ;   in Loop: Header=BB314_13 Depth=1
	s_or_b32 exec_lo, exec_lo, s23
	v_lshlrev_b32_e32 v145, 8, v145
	v_lshl_add_u32 v135, v135, 10, 0x2000
	s_delay_alu instid0(VALU_DEP_1) | instskip(NEXT) | instid1(VALU_DEP_1)
	v_and_or_b32 v135, 0x8000, v145, v135
	v_lshl_or_b32 v7, v7, 7, v135
	s_delay_alu instid0(VALU_DEP_1)
	v_cvt_f32_f16_e64 v135, v7
.LBB314_230:                            ;   in Loop: Header=BB314_13 Depth=1
	s_or_b32 exec_lo, exec_lo, s22
.LBB314_231:                            ;   in Loop: Header=BB314_13 Depth=1
	s_delay_alu instid0(SALU_CYCLE_1)
	s_or_b32 exec_lo, exec_lo, s21
.LBB314_232:                            ;   in Loop: Header=BB314_13 Depth=1
	s_delay_alu instid0(SALU_CYCLE_1) | instskip(NEXT) | instid1(SALU_CYCLE_1)
	s_or_b32 exec_lo, exec_lo, s20
	s_mov_b32 s20, exec_lo
	v_cmpx_lt_u32_e32 0xffffff, v144
	s_cbranch_execz .LBB314_240
; %bb.233:                              ;   in Loop: Header=BB314_13 Depth=1
	v_lshrrev_b32_e32 v144, 24, v144
	v_bfrev_b32_e32 v134, 1
	s_mov_b32 s21, exec_lo
	s_delay_alu instid0(VALU_DEP_2)
	v_cmpx_ne_u32_e32 0x80, v144
	s_cbranch_execz .LBB314_239
; %bb.234:                              ;   in Loop: Header=BB314_13 Depth=1
	v_and_b32_e32 v145, 0x7f, v144
	v_mov_b32_e32 v134, 0x7fc02000
	s_mov_b32 s22, exec_lo
	s_delay_alu instid0(VALU_DEP_2)
	v_cmpx_ne_u32_e32 0x7f, v145
	s_cbranch_execz .LBB314_238
; %bb.235:                              ;   in Loop: Header=BB314_13 Depth=1
	v_and_b32_e32 v7, 7, v144
	v_lshrrev_b32_e32 v134, 3, v145
	s_mov_b32 s23, exec_lo
	v_cmpx_gt_u32_e32 8, v145
; %bb.236:                              ;   in Loop: Header=BB314_13 Depth=1
	s_delay_alu instid0(VALU_DEP_3) | instskip(NEXT) | instid1(VALU_DEP_1)
	v_clz_i32_u32_e32 v134, v7
	v_min_u32_e32 v134, 32, v134
	s_delay_alu instid0(VALU_DEP_1) | instskip(SKIP_1) | instid1(VALU_DEP_2)
	v_subrev_nc_u32_e32 v145, 28, v134
	v_sub_nc_u32_e32 v134, 29, v134
	v_lshlrev_b64 v[145:146], v145, v[7:8]
	s_delay_alu instid0(VALU_DEP_1)
	v_and_b32_e32 v7, 7, v145
; %bb.237:                              ;   in Loop: Header=BB314_13 Depth=1
	s_or_b32 exec_lo, exec_lo, s23
	v_lshlrev_b32_e32 v144, 8, v144
	v_lshl_add_u32 v134, v134, 10, 0x2000
	s_delay_alu instid0(VALU_DEP_1) | instskip(NEXT) | instid1(VALU_DEP_1)
	v_and_or_b32 v134, 0x8000, v144, v134
	v_lshl_or_b32 v7, v7, 7, v134
	s_delay_alu instid0(VALU_DEP_1)
	v_cvt_f32_f16_e64 v134, v7
.LBB314_238:                            ;   in Loop: Header=BB314_13 Depth=1
	s_or_b32 exec_lo, exec_lo, s22
.LBB314_239:                            ;   in Loop: Header=BB314_13 Depth=1
	s_delay_alu instid0(SALU_CYCLE_1)
	s_or_b32 exec_lo, exec_lo, s21
.LBB314_240:                            ;   in Loop: Header=BB314_13 Depth=1
	s_delay_alu instid0(SALU_CYCLE_1)
	s_or_b32 exec_lo, exec_lo, s20
	flat_load_b32 v148, v[31:32] offset:776
	v_mov_b32_e32 v145, 0
	s_mov_b32 s20, exec_lo
	s_waitcnt vmcnt(0) lgkmcnt(0)
	v_dual_mov_b32 v144, 0 :: v_dual_and_b32 v7, 0xff, v148
	s_delay_alu instid0(VALU_DEP_1)
	v_cmpx_ne_u16_e32 0, v7
	s_cbranch_execz .LBB314_248
; %bb.241:                              ;   in Loop: Header=BB314_13 Depth=1
	v_bfrev_b32_e32 v144, 1
	s_mov_b32 s21, exec_lo
	v_cmpx_ne_u16_e32 0x80, v7
	s_cbranch_execz .LBB314_247
; %bb.242:                              ;   in Loop: Header=BB314_13 Depth=1
	v_and_b32_e32 v146, 0x7f, v148
	v_mov_b32_e32 v144, 0x7fc02000
	s_mov_b32 s22, exec_lo
	s_delay_alu instid0(VALU_DEP_2)
	v_cmpx_ne_u32_e32 0x7f, v146
	s_cbranch_execz .LBB314_246
; %bb.243:                              ;   in Loop: Header=BB314_13 Depth=1
	v_and_b32_e32 v7, 7, v148
	v_lshrrev_b32_e32 v144, 3, v146
	s_mov_b32 s23, exec_lo
	v_cmpx_gt_u32_e32 8, v146
; %bb.244:                              ;   in Loop: Header=BB314_13 Depth=1
	s_delay_alu instid0(VALU_DEP_3) | instskip(NEXT) | instid1(VALU_DEP_1)
	v_clz_i32_u32_e32 v144, v7
	v_min_u32_e32 v144, 32, v144
	s_delay_alu instid0(VALU_DEP_1) | instskip(SKIP_1) | instid1(VALU_DEP_2)
	v_subrev_nc_u32_e32 v146, 28, v144
	v_sub_nc_u32_e32 v144, 29, v144
	v_lshlrev_b64 v[146:147], v146, v[7:8]
	s_delay_alu instid0(VALU_DEP_1)
	v_and_b32_e32 v7, 7, v146
; %bb.245:                              ;   in Loop: Header=BB314_13 Depth=1
	s_or_b32 exec_lo, exec_lo, s23
	v_lshlrev_b32_e32 v146, 8, v148
	v_lshl_add_u32 v144, v144, 10, 0x2000
	s_delay_alu instid0(VALU_DEP_1) | instskip(NEXT) | instid1(VALU_DEP_1)
	v_and_or_b32 v144, 0x8000, v146, v144
	v_lshl_or_b32 v7, v7, 7, v144
	s_delay_alu instid0(VALU_DEP_1)
	v_cvt_f32_f16_e64 v144, v7
.LBB314_246:                            ;   in Loop: Header=BB314_13 Depth=1
	s_or_b32 exec_lo, exec_lo, s22
.LBB314_247:                            ;   in Loop: Header=BB314_13 Depth=1
	s_delay_alu instid0(SALU_CYCLE_1)
	s_or_b32 exec_lo, exec_lo, s21
.LBB314_248:                            ;   in Loop: Header=BB314_13 Depth=1
	s_delay_alu instid0(SALU_CYCLE_1) | instskip(SKIP_2) | instid1(VALU_DEP_1)
	s_or_b32 exec_lo, exec_lo, s20
	v_lshrrev_b16 v7, 8, v148
	s_mov_b32 s20, exec_lo
	v_cmpx_ne_u16_e32 0, v7
	s_cbranch_execz .LBB314_256
; %bb.249:                              ;   in Loop: Header=BB314_13 Depth=1
	v_bfrev_b32_e32 v145, 1
	s_mov_b32 s21, exec_lo
	v_cmpx_ne_u16_e32 0x80, v7
	s_cbranch_execz .LBB314_255
; %bb.250:                              ;   in Loop: Header=BB314_13 Depth=1
	v_and_b32_e32 v146, 0xffff, v7
	v_mov_b32_e32 v145, 0x7fc02000
	s_mov_b32 s22, exec_lo
	s_delay_alu instid0(VALU_DEP_2) | instskip(NEXT) | instid1(VALU_DEP_1)
	v_and_b32_e32 v147, 0x7f, v146
	v_cmpx_ne_u32_e32 0x7f, v147
	s_cbranch_execz .LBB314_254
; %bb.251:                              ;   in Loop: Header=BB314_13 Depth=1
	v_and_b32_e32 v7, 7, v146
	v_lshrrev_b32_e32 v145, 3, v147
	s_mov_b32 s23, exec_lo
	v_cmpx_gt_u32_e32 8, v147
; %bb.252:                              ;   in Loop: Header=BB314_13 Depth=1
	s_delay_alu instid0(VALU_DEP_3) | instskip(NEXT) | instid1(VALU_DEP_1)
	v_clz_i32_u32_e32 v145, v7
	v_min_u32_e32 v145, 32, v145
	s_delay_alu instid0(VALU_DEP_1) | instskip(SKIP_1) | instid1(VALU_DEP_2)
	v_subrev_nc_u32_e32 v147, 28, v145
	v_sub_nc_u32_e32 v145, 29, v145
	v_lshlrev_b64 v[149:150], v147, v[7:8]
	s_delay_alu instid0(VALU_DEP_1)
	v_and_b32_e32 v7, 7, v149
; %bb.253:                              ;   in Loop: Header=BB314_13 Depth=1
	s_or_b32 exec_lo, exec_lo, s23
	v_lshlrev_b32_e32 v146, 8, v146
	v_lshl_add_u32 v145, v145, 10, 0x2000
	s_delay_alu instid0(VALU_DEP_1) | instskip(NEXT) | instid1(VALU_DEP_1)
	v_and_or_b32 v145, 0x8000, v146, v145
	v_lshl_or_b32 v7, v7, 7, v145
	s_delay_alu instid0(VALU_DEP_1)
	v_cvt_f32_f16_e64 v145, v7
.LBB314_254:                            ;   in Loop: Header=BB314_13 Depth=1
	s_or_b32 exec_lo, exec_lo, s22
.LBB314_255:                            ;   in Loop: Header=BB314_13 Depth=1
	s_delay_alu instid0(SALU_CYCLE_1)
	s_or_b32 exec_lo, exec_lo, s21
.LBB314_256:                            ;   in Loop: Header=BB314_13 Depth=1
	s_delay_alu instid0(SALU_CYCLE_1) | instskip(SKIP_3) | instid1(VALU_DEP_2)
	s_or_b32 exec_lo, exec_lo, s20
	v_lshrrev_b32_e32 v149, 16, v148
	v_mov_b32_e32 v147, 0
	s_mov_b32 s20, exec_lo
	v_dual_mov_b32 v146, 0 :: v_dual_and_b32 v7, 0xff, v149
	s_delay_alu instid0(VALU_DEP_1)
	v_cmpx_ne_u16_e32 0, v7
	s_cbranch_execz .LBB314_264
; %bb.257:                              ;   in Loop: Header=BB314_13 Depth=1
	v_bfrev_b32_e32 v147, 1
	s_mov_b32 s21, exec_lo
	v_cmpx_ne_u16_e32 0x80, v7
	s_cbranch_execz .LBB314_263
; %bb.258:                              ;   in Loop: Header=BB314_13 Depth=1
	v_bfe_u32 v150, v148, 16, 7
	v_mov_b32_e32 v147, 0x7fc02000
	s_mov_b32 s22, exec_lo
	s_delay_alu instid0(VALU_DEP_2)
	v_cmpx_ne_u32_e32 0x7f, v150
	s_cbranch_execz .LBB314_262
; %bb.259:                              ;   in Loop: Header=BB314_13 Depth=1
	v_and_b32_e32 v7, 7, v149
	v_lshrrev_b32_e32 v147, 3, v150
	s_mov_b32 s23, exec_lo
	v_cmpx_gt_u32_e32 8, v150
; %bb.260:                              ;   in Loop: Header=BB314_13 Depth=1
	s_delay_alu instid0(VALU_DEP_3) | instskip(NEXT) | instid1(VALU_DEP_1)
	v_clz_i32_u32_e32 v147, v7
	v_min_u32_e32 v147, 32, v147
	s_delay_alu instid0(VALU_DEP_1) | instskip(SKIP_1) | instid1(VALU_DEP_2)
	v_subrev_nc_u32_e32 v150, 28, v147
	v_sub_nc_u32_e32 v147, 29, v147
	v_lshlrev_b64 v[150:151], v150, v[7:8]
	s_delay_alu instid0(VALU_DEP_1)
	v_and_b32_e32 v7, 7, v150
; %bb.261:                              ;   in Loop: Header=BB314_13 Depth=1
	s_or_b32 exec_lo, exec_lo, s23
	v_lshlrev_b32_e32 v149, 8, v149
	v_lshl_add_u32 v147, v147, 10, 0x2000
	s_delay_alu instid0(VALU_DEP_1) | instskip(NEXT) | instid1(VALU_DEP_1)
	v_and_or_b32 v147, 0x8000, v149, v147
	v_lshl_or_b32 v7, v7, 7, v147
	s_delay_alu instid0(VALU_DEP_1)
	v_cvt_f32_f16_e64 v147, v7
.LBB314_262:                            ;   in Loop: Header=BB314_13 Depth=1
	s_or_b32 exec_lo, exec_lo, s22
.LBB314_263:                            ;   in Loop: Header=BB314_13 Depth=1
	s_delay_alu instid0(SALU_CYCLE_1)
	s_or_b32 exec_lo, exec_lo, s21
.LBB314_264:                            ;   in Loop: Header=BB314_13 Depth=1
	s_delay_alu instid0(SALU_CYCLE_1) | instskip(NEXT) | instid1(SALU_CYCLE_1)
	s_or_b32 exec_lo, exec_lo, s20
	s_mov_b32 s20, exec_lo
	v_cmpx_lt_u32_e32 0xffffff, v148
	s_cbranch_execz .LBB314_272
; %bb.265:                              ;   in Loop: Header=BB314_13 Depth=1
	v_lshrrev_b32_e32 v148, 24, v148
	v_bfrev_b32_e32 v146, 1
	s_mov_b32 s21, exec_lo
	s_delay_alu instid0(VALU_DEP_2)
	v_cmpx_ne_u32_e32 0x80, v148
	s_cbranch_execz .LBB314_271
; %bb.266:                              ;   in Loop: Header=BB314_13 Depth=1
	v_and_b32_e32 v149, 0x7f, v148
	v_mov_b32_e32 v146, 0x7fc02000
	s_mov_b32 s22, exec_lo
	s_delay_alu instid0(VALU_DEP_2)
	v_cmpx_ne_u32_e32 0x7f, v149
	s_cbranch_execz .LBB314_270
; %bb.267:                              ;   in Loop: Header=BB314_13 Depth=1
	v_and_b32_e32 v7, 7, v148
	v_lshrrev_b32_e32 v146, 3, v149
	s_mov_b32 s23, exec_lo
	v_cmpx_gt_u32_e32 8, v149
; %bb.268:                              ;   in Loop: Header=BB314_13 Depth=1
	s_delay_alu instid0(VALU_DEP_3) | instskip(NEXT) | instid1(VALU_DEP_1)
	v_clz_i32_u32_e32 v146, v7
	v_min_u32_e32 v146, 32, v146
	s_delay_alu instid0(VALU_DEP_1) | instskip(SKIP_1) | instid1(VALU_DEP_2)
	v_subrev_nc_u32_e32 v149, 28, v146
	v_sub_nc_u32_e32 v146, 29, v146
	v_lshlrev_b64 v[149:150], v149, v[7:8]
	s_delay_alu instid0(VALU_DEP_1)
	v_and_b32_e32 v7, 7, v149
; %bb.269:                              ;   in Loop: Header=BB314_13 Depth=1
	s_or_b32 exec_lo, exec_lo, s23
	v_lshlrev_b32_e32 v148, 8, v148
	v_lshl_add_u32 v146, v146, 10, 0x2000
	s_delay_alu instid0(VALU_DEP_1) | instskip(NEXT) | instid1(VALU_DEP_1)
	v_and_or_b32 v146, 0x8000, v148, v146
	v_lshl_or_b32 v7, v7, 7, v146
	s_delay_alu instid0(VALU_DEP_1)
	v_cvt_f32_f16_e64 v146, v7
.LBB314_270:                            ;   in Loop: Header=BB314_13 Depth=1
	s_or_b32 exec_lo, exec_lo, s22
.LBB314_271:                            ;   in Loop: Header=BB314_13 Depth=1
	s_delay_alu instid0(SALU_CYCLE_1)
	s_or_b32 exec_lo, exec_lo, s21
.LBB314_272:                            ;   in Loop: Header=BB314_13 Depth=1
	s_delay_alu instid0(SALU_CYCLE_1)
	s_or_b32 exec_lo, exec_lo, s20
	flat_load_b32 v160, v[31:32] offset:1024
	v_mov_b32_e32 v149, 0
	s_mov_b32 s20, exec_lo
	s_waitcnt vmcnt(0) lgkmcnt(0)
	v_dual_mov_b32 v148, 0 :: v_dual_and_b32 v7, 0xff, v160
	s_delay_alu instid0(VALU_DEP_1)
	v_cmpx_ne_u16_e32 0, v7
	s_cbranch_execz .LBB314_280
; %bb.273:                              ;   in Loop: Header=BB314_13 Depth=1
	v_bfrev_b32_e32 v148, 1
	s_mov_b32 s21, exec_lo
	v_cmpx_ne_u16_e32 0x80, v7
	s_cbranch_execz .LBB314_279
; %bb.274:                              ;   in Loop: Header=BB314_13 Depth=1
	v_and_b32_e32 v150, 0x7f, v160
	v_mov_b32_e32 v148, 0x7fc02000
	s_mov_b32 s22, exec_lo
	s_delay_alu instid0(VALU_DEP_2)
	v_cmpx_ne_u32_e32 0x7f, v150
	s_cbranch_execz .LBB314_278
; %bb.275:                              ;   in Loop: Header=BB314_13 Depth=1
	v_and_b32_e32 v7, 7, v160
	v_lshrrev_b32_e32 v148, 3, v150
	s_mov_b32 s23, exec_lo
	v_cmpx_gt_u32_e32 8, v150
; %bb.276:                              ;   in Loop: Header=BB314_13 Depth=1
	s_delay_alu instid0(VALU_DEP_3) | instskip(NEXT) | instid1(VALU_DEP_1)
	v_clz_i32_u32_e32 v148, v7
	v_min_u32_e32 v148, 32, v148
	s_delay_alu instid0(VALU_DEP_1) | instskip(SKIP_1) | instid1(VALU_DEP_2)
	v_subrev_nc_u32_e32 v150, 28, v148
	v_sub_nc_u32_e32 v148, 29, v148
	v_lshlrev_b64 v[150:151], v150, v[7:8]
	s_delay_alu instid0(VALU_DEP_1)
	v_and_b32_e32 v7, 7, v150
; %bb.277:                              ;   in Loop: Header=BB314_13 Depth=1
	s_or_b32 exec_lo, exec_lo, s23
	v_lshlrev_b32_e32 v150, 8, v160
	v_lshl_add_u32 v148, v148, 10, 0x2000
	s_delay_alu instid0(VALU_DEP_1) | instskip(NEXT) | instid1(VALU_DEP_1)
	v_and_or_b32 v148, 0x8000, v150, v148
	v_lshl_or_b32 v7, v7, 7, v148
	s_delay_alu instid0(VALU_DEP_1)
	v_cvt_f32_f16_e64 v148, v7
.LBB314_278:                            ;   in Loop: Header=BB314_13 Depth=1
	s_or_b32 exec_lo, exec_lo, s22
.LBB314_279:                            ;   in Loop: Header=BB314_13 Depth=1
	s_delay_alu instid0(SALU_CYCLE_1)
	s_or_b32 exec_lo, exec_lo, s21
.LBB314_280:                            ;   in Loop: Header=BB314_13 Depth=1
	s_delay_alu instid0(SALU_CYCLE_1) | instskip(SKIP_2) | instid1(VALU_DEP_1)
	s_or_b32 exec_lo, exec_lo, s20
	v_lshrrev_b16 v7, 8, v160
	s_mov_b32 s20, exec_lo
	v_cmpx_ne_u16_e32 0, v7
	s_cbranch_execz .LBB314_288
; %bb.281:                              ;   in Loop: Header=BB314_13 Depth=1
	v_bfrev_b32_e32 v149, 1
	s_mov_b32 s21, exec_lo
	v_cmpx_ne_u16_e32 0x80, v7
	s_cbranch_execz .LBB314_287
; %bb.282:                              ;   in Loop: Header=BB314_13 Depth=1
	v_and_b32_e32 v150, 0xffff, v7
	v_mov_b32_e32 v149, 0x7fc02000
	s_mov_b32 s22, exec_lo
	s_delay_alu instid0(VALU_DEP_2) | instskip(NEXT) | instid1(VALU_DEP_1)
	v_and_b32_e32 v151, 0x7f, v150
	v_cmpx_ne_u32_e32 0x7f, v151
	s_cbranch_execz .LBB314_286
; %bb.283:                              ;   in Loop: Header=BB314_13 Depth=1
	v_and_b32_e32 v7, 7, v150
	v_lshrrev_b32_e32 v149, 3, v151
	s_mov_b32 s23, exec_lo
	v_cmpx_gt_u32_e32 8, v151
; %bb.284:                              ;   in Loop: Header=BB314_13 Depth=1
	s_delay_alu instid0(VALU_DEP_3) | instskip(NEXT) | instid1(VALU_DEP_1)
	v_clz_i32_u32_e32 v149, v7
	v_min_u32_e32 v149, 32, v149
	s_delay_alu instid0(VALU_DEP_1) | instskip(SKIP_1) | instid1(VALU_DEP_2)
	v_subrev_nc_u32_e32 v151, 28, v149
	v_sub_nc_u32_e32 v149, 29, v149
	v_lshlrev_b64 v[161:162], v151, v[7:8]
	s_delay_alu instid0(VALU_DEP_1)
	v_and_b32_e32 v7, 7, v161
; %bb.285:                              ;   in Loop: Header=BB314_13 Depth=1
	s_or_b32 exec_lo, exec_lo, s23
	v_lshlrev_b32_e32 v150, 8, v150
	v_lshl_add_u32 v149, v149, 10, 0x2000
	s_delay_alu instid0(VALU_DEP_1) | instskip(NEXT) | instid1(VALU_DEP_1)
	v_and_or_b32 v149, 0x8000, v150, v149
	v_lshl_or_b32 v7, v7, 7, v149
	s_delay_alu instid0(VALU_DEP_1)
	v_cvt_f32_f16_e64 v149, v7
.LBB314_286:                            ;   in Loop: Header=BB314_13 Depth=1
	s_or_b32 exec_lo, exec_lo, s22
.LBB314_287:                            ;   in Loop: Header=BB314_13 Depth=1
	s_delay_alu instid0(SALU_CYCLE_1)
	s_or_b32 exec_lo, exec_lo, s21
.LBB314_288:                            ;   in Loop: Header=BB314_13 Depth=1
	s_delay_alu instid0(SALU_CYCLE_1) | instskip(SKIP_3) | instid1(VALU_DEP_2)
	s_or_b32 exec_lo, exec_lo, s20
	v_lshrrev_b32_e32 v161, 16, v160
	v_mov_b32_e32 v151, 0
	s_mov_b32 s20, exec_lo
	v_dual_mov_b32 v150, 0 :: v_dual_and_b32 v7, 0xff, v161
	s_delay_alu instid0(VALU_DEP_1)
	v_cmpx_ne_u16_e32 0, v7
	s_cbranch_execz .LBB314_296
; %bb.289:                              ;   in Loop: Header=BB314_13 Depth=1
	v_bfrev_b32_e32 v151, 1
	s_mov_b32 s21, exec_lo
	v_cmpx_ne_u16_e32 0x80, v7
	s_cbranch_execz .LBB314_295
; %bb.290:                              ;   in Loop: Header=BB314_13 Depth=1
	v_bfe_u32 v162, v160, 16, 7
	v_mov_b32_e32 v151, 0x7fc02000
	s_mov_b32 s22, exec_lo
	s_delay_alu instid0(VALU_DEP_2)
	v_cmpx_ne_u32_e32 0x7f, v162
	s_cbranch_execz .LBB314_294
; %bb.291:                              ;   in Loop: Header=BB314_13 Depth=1
	v_and_b32_e32 v7, 7, v161
	v_lshrrev_b32_e32 v151, 3, v162
	s_mov_b32 s23, exec_lo
	v_cmpx_gt_u32_e32 8, v162
; %bb.292:                              ;   in Loop: Header=BB314_13 Depth=1
	s_delay_alu instid0(VALU_DEP_3) | instskip(NEXT) | instid1(VALU_DEP_1)
	v_clz_i32_u32_e32 v151, v7
	v_min_u32_e32 v151, 32, v151
	s_delay_alu instid0(VALU_DEP_1) | instskip(SKIP_1) | instid1(VALU_DEP_2)
	v_subrev_nc_u32_e32 v162, 28, v151
	v_sub_nc_u32_e32 v151, 29, v151
	v_lshlrev_b64 v[162:163], v162, v[7:8]
	s_delay_alu instid0(VALU_DEP_1)
	v_and_b32_e32 v7, 7, v162
; %bb.293:                              ;   in Loop: Header=BB314_13 Depth=1
	s_or_b32 exec_lo, exec_lo, s23
	v_lshlrev_b32_e32 v161, 8, v161
	v_lshl_add_u32 v151, v151, 10, 0x2000
	s_delay_alu instid0(VALU_DEP_1) | instskip(NEXT) | instid1(VALU_DEP_1)
	v_and_or_b32 v151, 0x8000, v161, v151
	v_lshl_or_b32 v7, v7, 7, v151
	s_delay_alu instid0(VALU_DEP_1)
	v_cvt_f32_f16_e64 v151, v7
.LBB314_294:                            ;   in Loop: Header=BB314_13 Depth=1
	s_or_b32 exec_lo, exec_lo, s22
.LBB314_295:                            ;   in Loop: Header=BB314_13 Depth=1
	s_delay_alu instid0(SALU_CYCLE_1)
	s_or_b32 exec_lo, exec_lo, s21
.LBB314_296:                            ;   in Loop: Header=BB314_13 Depth=1
	s_delay_alu instid0(SALU_CYCLE_1) | instskip(NEXT) | instid1(SALU_CYCLE_1)
	s_or_b32 exec_lo, exec_lo, s20
	s_mov_b32 s20, exec_lo
	v_cmpx_lt_u32_e32 0xffffff, v160
	s_cbranch_execz .LBB314_304
; %bb.297:                              ;   in Loop: Header=BB314_13 Depth=1
	v_lshrrev_b32_e32 v160, 24, v160
	v_bfrev_b32_e32 v150, 1
	s_mov_b32 s21, exec_lo
	s_delay_alu instid0(VALU_DEP_2)
	v_cmpx_ne_u32_e32 0x80, v160
	s_cbranch_execz .LBB314_303
; %bb.298:                              ;   in Loop: Header=BB314_13 Depth=1
	v_and_b32_e32 v161, 0x7f, v160
	v_mov_b32_e32 v150, 0x7fc02000
	s_mov_b32 s22, exec_lo
	s_delay_alu instid0(VALU_DEP_2)
	v_cmpx_ne_u32_e32 0x7f, v161
	s_cbranch_execz .LBB314_302
; %bb.299:                              ;   in Loop: Header=BB314_13 Depth=1
	v_and_b32_e32 v7, 7, v160
	v_lshrrev_b32_e32 v150, 3, v161
	s_mov_b32 s23, exec_lo
	v_cmpx_gt_u32_e32 8, v161
; %bb.300:                              ;   in Loop: Header=BB314_13 Depth=1
	s_delay_alu instid0(VALU_DEP_3) | instskip(NEXT) | instid1(VALU_DEP_1)
	v_clz_i32_u32_e32 v150, v7
	v_min_u32_e32 v150, 32, v150
	s_delay_alu instid0(VALU_DEP_1) | instskip(SKIP_1) | instid1(VALU_DEP_2)
	v_subrev_nc_u32_e32 v161, 28, v150
	v_sub_nc_u32_e32 v150, 29, v150
	v_lshlrev_b64 v[161:162], v161, v[7:8]
	s_delay_alu instid0(VALU_DEP_1)
	v_and_b32_e32 v7, 7, v161
; %bb.301:                              ;   in Loop: Header=BB314_13 Depth=1
	s_or_b32 exec_lo, exec_lo, s23
	v_lshlrev_b32_e32 v160, 8, v160
	v_lshl_add_u32 v150, v150, 10, 0x2000
	s_delay_alu instid0(VALU_DEP_1) | instskip(NEXT) | instid1(VALU_DEP_1)
	v_and_or_b32 v150, 0x8000, v160, v150
	v_lshl_or_b32 v7, v7, 7, v150
	s_delay_alu instid0(VALU_DEP_1)
	v_cvt_f32_f16_e64 v150, v7
.LBB314_302:                            ;   in Loop: Header=BB314_13 Depth=1
	s_or_b32 exec_lo, exec_lo, s22
.LBB314_303:                            ;   in Loop: Header=BB314_13 Depth=1
	s_delay_alu instid0(SALU_CYCLE_1)
	s_or_b32 exec_lo, exec_lo, s21
.LBB314_304:                            ;   in Loop: Header=BB314_13 Depth=1
	s_delay_alu instid0(SALU_CYCLE_1)
	s_or_b32 exec_lo, exec_lo, s20
	flat_load_b32 v164, v[31:32] offset:1032
	v_mov_b32_e32 v161, 0
	s_mov_b32 s20, exec_lo
	s_waitcnt vmcnt(0) lgkmcnt(0)
	v_dual_mov_b32 v160, 0 :: v_dual_and_b32 v7, 0xff, v164
	s_delay_alu instid0(VALU_DEP_1)
	v_cmpx_ne_u16_e32 0, v7
	s_cbranch_execz .LBB314_312
; %bb.305:                              ;   in Loop: Header=BB314_13 Depth=1
	v_bfrev_b32_e32 v160, 1
	s_mov_b32 s21, exec_lo
	v_cmpx_ne_u16_e32 0x80, v7
	s_cbranch_execz .LBB314_311
; %bb.306:                              ;   in Loop: Header=BB314_13 Depth=1
	v_and_b32_e32 v162, 0x7f, v164
	v_mov_b32_e32 v160, 0x7fc02000
	s_mov_b32 s22, exec_lo
	s_delay_alu instid0(VALU_DEP_2)
	v_cmpx_ne_u32_e32 0x7f, v162
	s_cbranch_execz .LBB314_310
; %bb.307:                              ;   in Loop: Header=BB314_13 Depth=1
	v_and_b32_e32 v7, 7, v164
	v_lshrrev_b32_e32 v160, 3, v162
	s_mov_b32 s23, exec_lo
	v_cmpx_gt_u32_e32 8, v162
; %bb.308:                              ;   in Loop: Header=BB314_13 Depth=1
	s_delay_alu instid0(VALU_DEP_3) | instskip(NEXT) | instid1(VALU_DEP_1)
	v_clz_i32_u32_e32 v160, v7
	v_min_u32_e32 v160, 32, v160
	s_delay_alu instid0(VALU_DEP_1) | instskip(SKIP_1) | instid1(VALU_DEP_2)
	v_subrev_nc_u32_e32 v162, 28, v160
	v_sub_nc_u32_e32 v160, 29, v160
	v_lshlrev_b64 v[162:163], v162, v[7:8]
	s_delay_alu instid0(VALU_DEP_1)
	v_and_b32_e32 v7, 7, v162
; %bb.309:                              ;   in Loop: Header=BB314_13 Depth=1
	s_or_b32 exec_lo, exec_lo, s23
	v_lshlrev_b32_e32 v162, 8, v164
	v_lshl_add_u32 v160, v160, 10, 0x2000
	s_delay_alu instid0(VALU_DEP_1) | instskip(NEXT) | instid1(VALU_DEP_1)
	v_and_or_b32 v160, 0x8000, v162, v160
	v_lshl_or_b32 v7, v7, 7, v160
	s_delay_alu instid0(VALU_DEP_1)
	v_cvt_f32_f16_e64 v160, v7
.LBB314_310:                            ;   in Loop: Header=BB314_13 Depth=1
	s_or_b32 exec_lo, exec_lo, s22
.LBB314_311:                            ;   in Loop: Header=BB314_13 Depth=1
	s_delay_alu instid0(SALU_CYCLE_1)
	s_or_b32 exec_lo, exec_lo, s21
.LBB314_312:                            ;   in Loop: Header=BB314_13 Depth=1
	s_delay_alu instid0(SALU_CYCLE_1) | instskip(SKIP_2) | instid1(VALU_DEP_1)
	s_or_b32 exec_lo, exec_lo, s20
	v_lshrrev_b16 v7, 8, v164
	s_mov_b32 s20, exec_lo
	v_cmpx_ne_u16_e32 0, v7
	s_cbranch_execz .LBB314_320
; %bb.313:                              ;   in Loop: Header=BB314_13 Depth=1
	v_bfrev_b32_e32 v161, 1
	s_mov_b32 s21, exec_lo
	v_cmpx_ne_u16_e32 0x80, v7
	s_cbranch_execz .LBB314_319
; %bb.314:                              ;   in Loop: Header=BB314_13 Depth=1
	v_and_b32_e32 v162, 0xffff, v7
	v_mov_b32_e32 v161, 0x7fc02000
	s_mov_b32 s22, exec_lo
	s_delay_alu instid0(VALU_DEP_2) | instskip(NEXT) | instid1(VALU_DEP_1)
	v_and_b32_e32 v163, 0x7f, v162
	v_cmpx_ne_u32_e32 0x7f, v163
	s_cbranch_execz .LBB314_318
; %bb.315:                              ;   in Loop: Header=BB314_13 Depth=1
	v_and_b32_e32 v7, 7, v162
	v_lshrrev_b32_e32 v161, 3, v163
	s_mov_b32 s23, exec_lo
	v_cmpx_gt_u32_e32 8, v163
; %bb.316:                              ;   in Loop: Header=BB314_13 Depth=1
	s_delay_alu instid0(VALU_DEP_3) | instskip(NEXT) | instid1(VALU_DEP_1)
	v_clz_i32_u32_e32 v161, v7
	v_min_u32_e32 v161, 32, v161
	s_delay_alu instid0(VALU_DEP_1) | instskip(SKIP_1) | instid1(VALU_DEP_2)
	v_subrev_nc_u32_e32 v163, 28, v161
	v_sub_nc_u32_e32 v161, 29, v161
	v_lshlrev_b64 v[165:166], v163, v[7:8]
	s_delay_alu instid0(VALU_DEP_1)
	v_and_b32_e32 v7, 7, v165
; %bb.317:                              ;   in Loop: Header=BB314_13 Depth=1
	s_or_b32 exec_lo, exec_lo, s23
	v_lshlrev_b32_e32 v162, 8, v162
	v_lshl_add_u32 v161, v161, 10, 0x2000
	s_delay_alu instid0(VALU_DEP_1) | instskip(NEXT) | instid1(VALU_DEP_1)
	v_and_or_b32 v161, 0x8000, v162, v161
	v_lshl_or_b32 v7, v7, 7, v161
	s_delay_alu instid0(VALU_DEP_1)
	v_cvt_f32_f16_e64 v161, v7
.LBB314_318:                            ;   in Loop: Header=BB314_13 Depth=1
	s_or_b32 exec_lo, exec_lo, s22
.LBB314_319:                            ;   in Loop: Header=BB314_13 Depth=1
	s_delay_alu instid0(SALU_CYCLE_1)
	s_or_b32 exec_lo, exec_lo, s21
.LBB314_320:                            ;   in Loop: Header=BB314_13 Depth=1
	s_delay_alu instid0(SALU_CYCLE_1) | instskip(SKIP_3) | instid1(VALU_DEP_2)
	s_or_b32 exec_lo, exec_lo, s20
	v_lshrrev_b32_e32 v165, 16, v164
	v_mov_b32_e32 v163, 0
	s_mov_b32 s20, exec_lo
	v_dual_mov_b32 v162, 0 :: v_dual_and_b32 v7, 0xff, v165
	s_delay_alu instid0(VALU_DEP_1)
	v_cmpx_ne_u16_e32 0, v7
	s_cbranch_execz .LBB314_328
; %bb.321:                              ;   in Loop: Header=BB314_13 Depth=1
	v_bfrev_b32_e32 v163, 1
	s_mov_b32 s21, exec_lo
	v_cmpx_ne_u16_e32 0x80, v7
	s_cbranch_execz .LBB314_327
; %bb.322:                              ;   in Loop: Header=BB314_13 Depth=1
	v_bfe_u32 v166, v164, 16, 7
	v_mov_b32_e32 v163, 0x7fc02000
	s_mov_b32 s22, exec_lo
	s_delay_alu instid0(VALU_DEP_2)
	v_cmpx_ne_u32_e32 0x7f, v166
	s_cbranch_execz .LBB314_326
; %bb.323:                              ;   in Loop: Header=BB314_13 Depth=1
	v_and_b32_e32 v7, 7, v165
	v_lshrrev_b32_e32 v163, 3, v166
	s_mov_b32 s23, exec_lo
	v_cmpx_gt_u32_e32 8, v166
; %bb.324:                              ;   in Loop: Header=BB314_13 Depth=1
	s_delay_alu instid0(VALU_DEP_3) | instskip(NEXT) | instid1(VALU_DEP_1)
	v_clz_i32_u32_e32 v163, v7
	v_min_u32_e32 v163, 32, v163
	s_delay_alu instid0(VALU_DEP_1) | instskip(SKIP_1) | instid1(VALU_DEP_2)
	v_subrev_nc_u32_e32 v166, 28, v163
	v_sub_nc_u32_e32 v163, 29, v163
	v_lshlrev_b64 v[166:167], v166, v[7:8]
	s_delay_alu instid0(VALU_DEP_1)
	v_and_b32_e32 v7, 7, v166
; %bb.325:                              ;   in Loop: Header=BB314_13 Depth=1
	s_or_b32 exec_lo, exec_lo, s23
	v_lshlrev_b32_e32 v165, 8, v165
	v_lshl_add_u32 v163, v163, 10, 0x2000
	s_delay_alu instid0(VALU_DEP_1) | instskip(NEXT) | instid1(VALU_DEP_1)
	v_and_or_b32 v163, 0x8000, v165, v163
	v_lshl_or_b32 v7, v7, 7, v163
	s_delay_alu instid0(VALU_DEP_1)
	v_cvt_f32_f16_e64 v163, v7
.LBB314_326:                            ;   in Loop: Header=BB314_13 Depth=1
	s_or_b32 exec_lo, exec_lo, s22
.LBB314_327:                            ;   in Loop: Header=BB314_13 Depth=1
	s_delay_alu instid0(SALU_CYCLE_1)
	s_or_b32 exec_lo, exec_lo, s21
.LBB314_328:                            ;   in Loop: Header=BB314_13 Depth=1
	s_delay_alu instid0(SALU_CYCLE_1) | instskip(NEXT) | instid1(SALU_CYCLE_1)
	s_or_b32 exec_lo, exec_lo, s20
	s_mov_b32 s20, exec_lo
	v_cmpx_lt_u32_e32 0xffffff, v164
	s_cbranch_execz .LBB314_336
; %bb.329:                              ;   in Loop: Header=BB314_13 Depth=1
	v_lshrrev_b32_e32 v164, 24, v164
	v_bfrev_b32_e32 v162, 1
	s_mov_b32 s21, exec_lo
	s_delay_alu instid0(VALU_DEP_2)
	v_cmpx_ne_u32_e32 0x80, v164
	s_cbranch_execz .LBB314_335
; %bb.330:                              ;   in Loop: Header=BB314_13 Depth=1
	v_and_b32_e32 v165, 0x7f, v164
	v_mov_b32_e32 v162, 0x7fc02000
	s_mov_b32 s22, exec_lo
	s_delay_alu instid0(VALU_DEP_2)
	v_cmpx_ne_u32_e32 0x7f, v165
	s_cbranch_execz .LBB314_334
; %bb.331:                              ;   in Loop: Header=BB314_13 Depth=1
	v_and_b32_e32 v7, 7, v164
	v_lshrrev_b32_e32 v162, 3, v165
	s_mov_b32 s23, exec_lo
	v_cmpx_gt_u32_e32 8, v165
; %bb.332:                              ;   in Loop: Header=BB314_13 Depth=1
	s_delay_alu instid0(VALU_DEP_3) | instskip(NEXT) | instid1(VALU_DEP_1)
	v_clz_i32_u32_e32 v162, v7
	v_min_u32_e32 v162, 32, v162
	s_delay_alu instid0(VALU_DEP_1) | instskip(SKIP_1) | instid1(VALU_DEP_2)
	v_subrev_nc_u32_e32 v165, 28, v162
	v_sub_nc_u32_e32 v162, 29, v162
	v_lshlrev_b64 v[165:166], v165, v[7:8]
	s_delay_alu instid0(VALU_DEP_1)
	v_and_b32_e32 v7, 7, v165
; %bb.333:                              ;   in Loop: Header=BB314_13 Depth=1
	s_or_b32 exec_lo, exec_lo, s23
	v_lshlrev_b32_e32 v164, 8, v164
	v_lshl_add_u32 v162, v162, 10, 0x2000
	s_delay_alu instid0(VALU_DEP_1) | instskip(NEXT) | instid1(VALU_DEP_1)
	v_and_or_b32 v162, 0x8000, v164, v162
	v_lshl_or_b32 v7, v7, 7, v162
	s_delay_alu instid0(VALU_DEP_1)
	v_cvt_f32_f16_e64 v162, v7
.LBB314_334:                            ;   in Loop: Header=BB314_13 Depth=1
	s_or_b32 exec_lo, exec_lo, s22
.LBB314_335:                            ;   in Loop: Header=BB314_13 Depth=1
	s_delay_alu instid0(SALU_CYCLE_1)
	s_or_b32 exec_lo, exec_lo, s21
.LBB314_336:                            ;   in Loop: Header=BB314_13 Depth=1
	s_delay_alu instid0(SALU_CYCLE_1)
	s_or_b32 exec_lo, exec_lo, s20
	flat_load_b32 v166, v[31:32] offset:1280
	v_mov_b32_e32 v165, 0
	s_mov_b32 s20, exec_lo
	s_waitcnt vmcnt(0) lgkmcnt(0)
	v_dual_mov_b32 v164, 0 :: v_dual_and_b32 v7, 0xff, v166
	s_delay_alu instid0(VALU_DEP_1)
	v_cmpx_ne_u16_e32 0, v7
	s_cbranch_execz .LBB314_344
; %bb.337:                              ;   in Loop: Header=BB314_13 Depth=1
	v_bfrev_b32_e32 v164, 1
	s_mov_b32 s21, exec_lo
	v_cmpx_ne_u16_e32 0x80, v7
	s_cbranch_execz .LBB314_343
; %bb.338:                              ;   in Loop: Header=BB314_13 Depth=1
	v_and_b32_e32 v167, 0x7f, v166
	v_mov_b32_e32 v164, 0x7fc02000
	s_mov_b32 s22, exec_lo
	s_delay_alu instid0(VALU_DEP_2)
	v_cmpx_ne_u32_e32 0x7f, v167
	s_cbranch_execz .LBB314_342
; %bb.339:                              ;   in Loop: Header=BB314_13 Depth=1
	v_and_b32_e32 v7, 7, v166
	v_lshrrev_b32_e32 v164, 3, v167
	s_mov_b32 s23, exec_lo
	v_cmpx_gt_u32_e32 8, v167
; %bb.340:                              ;   in Loop: Header=BB314_13 Depth=1
	s_delay_alu instid0(VALU_DEP_3) | instskip(NEXT) | instid1(VALU_DEP_1)
	v_clz_i32_u32_e32 v164, v7
	v_min_u32_e32 v164, 32, v164
	s_delay_alu instid0(VALU_DEP_1) | instskip(SKIP_1) | instid1(VALU_DEP_2)
	v_subrev_nc_u32_e32 v167, 28, v164
	v_sub_nc_u32_e32 v164, 29, v164
	v_lshlrev_b64 v[176:177], v167, v[7:8]
	s_delay_alu instid0(VALU_DEP_1)
	v_and_b32_e32 v7, 7, v176
; %bb.341:                              ;   in Loop: Header=BB314_13 Depth=1
	s_or_b32 exec_lo, exec_lo, s23
	v_lshlrev_b32_e32 v167, 8, v166
	v_lshl_add_u32 v164, v164, 10, 0x2000
	s_delay_alu instid0(VALU_DEP_1) | instskip(NEXT) | instid1(VALU_DEP_1)
	v_and_or_b32 v164, 0x8000, v167, v164
	v_lshl_or_b32 v7, v7, 7, v164
	s_delay_alu instid0(VALU_DEP_1)
	v_cvt_f32_f16_e64 v164, v7
.LBB314_342:                            ;   in Loop: Header=BB314_13 Depth=1
	s_or_b32 exec_lo, exec_lo, s22
.LBB314_343:                            ;   in Loop: Header=BB314_13 Depth=1
	s_delay_alu instid0(SALU_CYCLE_1)
	s_or_b32 exec_lo, exec_lo, s21
.LBB314_344:                            ;   in Loop: Header=BB314_13 Depth=1
	s_delay_alu instid0(SALU_CYCLE_1) | instskip(SKIP_2) | instid1(VALU_DEP_1)
	s_or_b32 exec_lo, exec_lo, s20
	v_lshrrev_b16 v7, 8, v166
	s_mov_b32 s20, exec_lo
	v_cmpx_ne_u16_e32 0, v7
	s_cbranch_execz .LBB314_352
; %bb.345:                              ;   in Loop: Header=BB314_13 Depth=1
	v_bfrev_b32_e32 v165, 1
	s_mov_b32 s21, exec_lo
	v_cmpx_ne_u16_e32 0x80, v7
	s_cbranch_execz .LBB314_351
; %bb.346:                              ;   in Loop: Header=BB314_13 Depth=1
	v_and_b32_e32 v167, 0xffff, v7
	v_mov_b32_e32 v165, 0x7fc02000
	s_mov_b32 s22, exec_lo
	s_delay_alu instid0(VALU_DEP_2) | instskip(NEXT) | instid1(VALU_DEP_1)
	v_and_b32_e32 v176, 0x7f, v167
	v_cmpx_ne_u32_e32 0x7f, v176
	s_cbranch_execz .LBB314_350
; %bb.347:                              ;   in Loop: Header=BB314_13 Depth=1
	v_and_b32_e32 v7, 7, v167
	v_lshrrev_b32_e32 v165, 3, v176
	s_mov_b32 s23, exec_lo
	v_cmpx_gt_u32_e32 8, v176
; %bb.348:                              ;   in Loop: Header=BB314_13 Depth=1
	s_delay_alu instid0(VALU_DEP_3) | instskip(NEXT) | instid1(VALU_DEP_1)
	v_clz_i32_u32_e32 v165, v7
	v_min_u32_e32 v165, 32, v165
	s_delay_alu instid0(VALU_DEP_1) | instskip(SKIP_1) | instid1(VALU_DEP_2)
	v_subrev_nc_u32_e32 v176, 28, v165
	v_sub_nc_u32_e32 v165, 29, v165
	v_lshlrev_b64 v[176:177], v176, v[7:8]
	s_delay_alu instid0(VALU_DEP_1)
	v_and_b32_e32 v7, 7, v176
; %bb.349:                              ;   in Loop: Header=BB314_13 Depth=1
	s_or_b32 exec_lo, exec_lo, s23
	v_lshlrev_b32_e32 v167, 8, v167
	v_lshl_add_u32 v165, v165, 10, 0x2000
	s_delay_alu instid0(VALU_DEP_1) | instskip(NEXT) | instid1(VALU_DEP_1)
	v_and_or_b32 v165, 0x8000, v167, v165
	v_lshl_or_b32 v7, v7, 7, v165
	s_delay_alu instid0(VALU_DEP_1)
	v_cvt_f32_f16_e64 v165, v7
.LBB314_350:                            ;   in Loop: Header=BB314_13 Depth=1
	s_or_b32 exec_lo, exec_lo, s22
.LBB314_351:                            ;   in Loop: Header=BB314_13 Depth=1
	s_delay_alu instid0(SALU_CYCLE_1)
	s_or_b32 exec_lo, exec_lo, s21
.LBB314_352:                            ;   in Loop: Header=BB314_13 Depth=1
	s_delay_alu instid0(SALU_CYCLE_1) | instskip(SKIP_3) | instid1(VALU_DEP_2)
	s_or_b32 exec_lo, exec_lo, s20
	v_lshrrev_b32_e32 v167, 16, v166
	v_mov_b32_e32 v177, 0
	s_mov_b32 s20, exec_lo
	v_dual_mov_b32 v176, 0 :: v_dual_and_b32 v7, 0xff, v167
	s_delay_alu instid0(VALU_DEP_1)
	v_cmpx_ne_u16_e32 0, v7
	s_cbranch_execz .LBB314_360
; %bb.353:                              ;   in Loop: Header=BB314_13 Depth=1
	v_bfrev_b32_e32 v177, 1
	s_mov_b32 s21, exec_lo
	v_cmpx_ne_u16_e32 0x80, v7
	s_cbranch_execz .LBB314_359
; %bb.354:                              ;   in Loop: Header=BB314_13 Depth=1
	v_bfe_u32 v178, v166, 16, 7
	v_mov_b32_e32 v177, 0x7fc02000
	s_mov_b32 s22, exec_lo
	s_delay_alu instid0(VALU_DEP_2)
	v_cmpx_ne_u32_e32 0x7f, v178
	s_cbranch_execz .LBB314_358
; %bb.355:                              ;   in Loop: Header=BB314_13 Depth=1
	v_and_b32_e32 v7, 7, v167
	v_lshrrev_b32_e32 v177, 3, v178
	s_mov_b32 s23, exec_lo
	v_cmpx_gt_u32_e32 8, v178
; %bb.356:                              ;   in Loop: Header=BB314_13 Depth=1
	s_delay_alu instid0(VALU_DEP_3) | instskip(NEXT) | instid1(VALU_DEP_1)
	v_clz_i32_u32_e32 v177, v7
	v_min_u32_e32 v177, 32, v177
	s_delay_alu instid0(VALU_DEP_1) | instskip(SKIP_1) | instid1(VALU_DEP_2)
	v_subrev_nc_u32_e32 v178, 28, v177
	v_sub_nc_u32_e32 v177, 29, v177
	v_lshlrev_b64 v[178:179], v178, v[7:8]
	s_delay_alu instid0(VALU_DEP_1)
	v_and_b32_e32 v7, 7, v178
; %bb.357:                              ;   in Loop: Header=BB314_13 Depth=1
	s_or_b32 exec_lo, exec_lo, s23
	v_lshlrev_b32_e32 v167, 8, v167
	v_lshl_add_u32 v177, v177, 10, 0x2000
	s_delay_alu instid0(VALU_DEP_1) | instskip(NEXT) | instid1(VALU_DEP_1)
	v_and_or_b32 v167, 0x8000, v167, v177
	v_lshl_or_b32 v7, v7, 7, v167
	s_delay_alu instid0(VALU_DEP_1)
	v_cvt_f32_f16_e64 v177, v7
.LBB314_358:                            ;   in Loop: Header=BB314_13 Depth=1
	s_or_b32 exec_lo, exec_lo, s22
.LBB314_359:                            ;   in Loop: Header=BB314_13 Depth=1
	s_delay_alu instid0(SALU_CYCLE_1)
	s_or_b32 exec_lo, exec_lo, s21
.LBB314_360:                            ;   in Loop: Header=BB314_13 Depth=1
	s_delay_alu instid0(SALU_CYCLE_1) | instskip(NEXT) | instid1(SALU_CYCLE_1)
	s_or_b32 exec_lo, exec_lo, s20
	s_mov_b32 s20, exec_lo
	v_cmpx_lt_u32_e32 0xffffff, v166
	s_cbranch_execz .LBB314_368
; %bb.361:                              ;   in Loop: Header=BB314_13 Depth=1
	v_lshrrev_b32_e32 v166, 24, v166
	v_bfrev_b32_e32 v176, 1
	s_mov_b32 s21, exec_lo
	s_delay_alu instid0(VALU_DEP_2)
	v_cmpx_ne_u32_e32 0x80, v166
	s_cbranch_execz .LBB314_367
; %bb.362:                              ;   in Loop: Header=BB314_13 Depth=1
	v_and_b32_e32 v178, 0x7f, v166
	v_mov_b32_e32 v176, 0x7fc02000
	s_mov_b32 s22, exec_lo
	s_delay_alu instid0(VALU_DEP_2)
	v_cmpx_ne_u32_e32 0x7f, v178
	s_cbranch_execz .LBB314_366
; %bb.363:                              ;   in Loop: Header=BB314_13 Depth=1
	v_and_b32_e32 v7, 7, v166
	v_lshrrev_b32_e32 v167, 3, v178
	s_mov_b32 s23, exec_lo
	v_cmpx_gt_u32_e32 8, v178
; %bb.364:                              ;   in Loop: Header=BB314_13 Depth=1
	s_delay_alu instid0(VALU_DEP_3) | instskip(NEXT) | instid1(VALU_DEP_1)
	v_clz_i32_u32_e32 v167, v7
	v_min_u32_e32 v167, 32, v167
	s_delay_alu instid0(VALU_DEP_1) | instskip(SKIP_1) | instid1(VALU_DEP_2)
	v_subrev_nc_u32_e32 v176, 28, v167
	v_sub_nc_u32_e32 v167, 29, v167
	v_lshlrev_b64 v[178:179], v176, v[7:8]
	s_delay_alu instid0(VALU_DEP_1)
	v_and_b32_e32 v7, 7, v178
; %bb.365:                              ;   in Loop: Header=BB314_13 Depth=1
	s_or_b32 exec_lo, exec_lo, s23
	v_lshlrev_b32_e32 v166, 8, v166
	v_lshl_add_u32 v167, v167, 10, 0x2000
	s_delay_alu instid0(VALU_DEP_1) | instskip(NEXT) | instid1(VALU_DEP_1)
	v_and_or_b32 v166, 0x8000, v166, v167
	v_lshl_or_b32 v7, v7, 7, v166
	s_delay_alu instid0(VALU_DEP_1)
	v_cvt_f32_f16_e64 v176, v7
.LBB314_366:                            ;   in Loop: Header=BB314_13 Depth=1
	s_or_b32 exec_lo, exec_lo, s22
.LBB314_367:                            ;   in Loop: Header=BB314_13 Depth=1
	s_delay_alu instid0(SALU_CYCLE_1)
	s_or_b32 exec_lo, exec_lo, s21
.LBB314_368:                            ;   in Loop: Header=BB314_13 Depth=1
	s_delay_alu instid0(SALU_CYCLE_1)
	s_or_b32 exec_lo, exec_lo, s20
	flat_load_b32 v166, v[31:32] offset:1288
	v_mov_b32_e32 v31, 0
	s_mov_b32 s20, exec_lo
	s_waitcnt vmcnt(0) lgkmcnt(0)
	v_dual_mov_b32 v32, 0 :: v_dual_and_b32 v7, 0xff, v166
	s_delay_alu instid0(VALU_DEP_1)
	v_cmpx_ne_u16_e32 0, v7
	s_cbranch_execz .LBB314_376
; %bb.369:                              ;   in Loop: Header=BB314_13 Depth=1
	v_bfrev_b32_e32 v31, 1
	s_mov_b32 s21, exec_lo
	v_cmpx_ne_u16_e32 0x80, v7
	s_cbranch_execz .LBB314_375
; %bb.370:                              ;   in Loop: Header=BB314_13 Depth=1
	v_and_b32_e32 v167, 0x7f, v166
	v_mov_b32_e32 v31, 0x7fc02000
	s_mov_b32 s22, exec_lo
	s_delay_alu instid0(VALU_DEP_2)
	v_cmpx_ne_u32_e32 0x7f, v167
	s_cbranch_execz .LBB314_374
; %bb.371:                              ;   in Loop: Header=BB314_13 Depth=1
	v_and_b32_e32 v7, 7, v166
	v_lshrrev_b32_e32 v31, 3, v167
	s_mov_b32 s23, exec_lo
	v_cmpx_gt_u32_e32 8, v167
; %bb.372:                              ;   in Loop: Header=BB314_13 Depth=1
	s_delay_alu instid0(VALU_DEP_3) | instskip(NEXT) | instid1(VALU_DEP_1)
	v_clz_i32_u32_e32 v31, v7
	v_min_u32_e32 v31, 32, v31
	s_delay_alu instid0(VALU_DEP_1) | instskip(SKIP_1) | instid1(VALU_DEP_2)
	v_subrev_nc_u32_e32 v167, 28, v31
	v_sub_nc_u32_e32 v31, 29, v31
	v_lshlrev_b64 v[178:179], v167, v[7:8]
	s_delay_alu instid0(VALU_DEP_1)
	v_and_b32_e32 v7, 7, v178
; %bb.373:                              ;   in Loop: Header=BB314_13 Depth=1
	s_or_b32 exec_lo, exec_lo, s23
	v_lshlrev_b32_e32 v167, 8, v166
	v_lshl_add_u32 v31, v31, 10, 0x2000
	s_delay_alu instid0(VALU_DEP_1) | instskip(NEXT) | instid1(VALU_DEP_1)
	v_and_or_b32 v31, 0x8000, v167, v31
	v_lshl_or_b32 v7, v7, 7, v31
	s_delay_alu instid0(VALU_DEP_1)
	v_cvt_f32_f16_e32 v31, v7
.LBB314_374:                            ;   in Loop: Header=BB314_13 Depth=1
	s_or_b32 exec_lo, exec_lo, s22
.LBB314_375:                            ;   in Loop: Header=BB314_13 Depth=1
	s_delay_alu instid0(SALU_CYCLE_1)
	s_or_b32 exec_lo, exec_lo, s21
.LBB314_376:                            ;   in Loop: Header=BB314_13 Depth=1
	s_delay_alu instid0(SALU_CYCLE_1) | instskip(SKIP_2) | instid1(VALU_DEP_1)
	s_or_b32 exec_lo, exec_lo, s20
	v_lshrrev_b16 v7, 8, v166
	s_mov_b32 s20, exec_lo
	v_cmpx_ne_u16_e32 0, v7
	s_cbranch_execz .LBB314_384
; %bb.377:                              ;   in Loop: Header=BB314_13 Depth=1
	v_bfrev_b32_e32 v32, 1
	s_mov_b32 s21, exec_lo
	v_cmpx_ne_u16_e32 0x80, v7
	s_cbranch_execz .LBB314_383
; %bb.378:                              ;   in Loop: Header=BB314_13 Depth=1
	v_and_b32_e32 v167, 0xffff, v7
	v_mov_b32_e32 v32, 0x7fc02000
	s_mov_b32 s22, exec_lo
	s_delay_alu instid0(VALU_DEP_2) | instskip(NEXT) | instid1(VALU_DEP_1)
	v_and_b32_e32 v178, 0x7f, v167
	v_cmpx_ne_u32_e32 0x7f, v178
	s_cbranch_execz .LBB314_382
; %bb.379:                              ;   in Loop: Header=BB314_13 Depth=1
	v_and_b32_e32 v7, 7, v167
	v_lshrrev_b32_e32 v32, 3, v178
	s_mov_b32 s23, exec_lo
	v_cmpx_gt_u32_e32 8, v178
; %bb.380:                              ;   in Loop: Header=BB314_13 Depth=1
	s_delay_alu instid0(VALU_DEP_3) | instskip(NEXT) | instid1(VALU_DEP_1)
	v_clz_i32_u32_e32 v32, v7
	v_min_u32_e32 v32, 32, v32
	s_delay_alu instid0(VALU_DEP_1) | instskip(SKIP_1) | instid1(VALU_DEP_2)
	v_subrev_nc_u32_e32 v178, 28, v32
	v_sub_nc_u32_e32 v32, 29, v32
	v_lshlrev_b64 v[178:179], v178, v[7:8]
	s_delay_alu instid0(VALU_DEP_1)
	v_and_b32_e32 v7, 7, v178
; %bb.381:                              ;   in Loop: Header=BB314_13 Depth=1
	s_or_b32 exec_lo, exec_lo, s23
	v_lshlrev_b32_e32 v167, 8, v167
	v_lshl_add_u32 v32, v32, 10, 0x2000
	s_delay_alu instid0(VALU_DEP_1) | instskip(NEXT) | instid1(VALU_DEP_1)
	v_and_or_b32 v32, 0x8000, v167, v32
	v_lshl_or_b32 v7, v7, 7, v32
	s_delay_alu instid0(VALU_DEP_1)
	v_cvt_f32_f16_e32 v32, v7
.LBB314_382:                            ;   in Loop: Header=BB314_13 Depth=1
	s_or_b32 exec_lo, exec_lo, s22
.LBB314_383:                            ;   in Loop: Header=BB314_13 Depth=1
	s_delay_alu instid0(SALU_CYCLE_1)
	s_or_b32 exec_lo, exec_lo, s21
.LBB314_384:                            ;   in Loop: Header=BB314_13 Depth=1
	s_delay_alu instid0(SALU_CYCLE_1) | instskip(SKIP_3) | instid1(VALU_DEP_2)
	s_or_b32 exec_lo, exec_lo, s20
	v_lshrrev_b32_e32 v167, 16, v166
	v_mov_b32_e32 v179, 0
	s_mov_b32 s20, exec_lo
	v_dual_mov_b32 v178, 0 :: v_dual_and_b32 v7, 0xff, v167
	s_delay_alu instid0(VALU_DEP_1)
	v_cmpx_ne_u16_e32 0, v7
	s_cbranch_execz .LBB314_392
; %bb.385:                              ;   in Loop: Header=BB314_13 Depth=1
	v_bfrev_b32_e32 v179, 1
	s_mov_b32 s21, exec_lo
	v_cmpx_ne_u16_e32 0x80, v7
	s_cbranch_execz .LBB314_391
; %bb.386:                              ;   in Loop: Header=BB314_13 Depth=1
	v_bfe_u32 v180, v166, 16, 7
	v_mov_b32_e32 v179, 0x7fc02000
	s_mov_b32 s22, exec_lo
	s_delay_alu instid0(VALU_DEP_2)
	v_cmpx_ne_u32_e32 0x7f, v180
	s_cbranch_execz .LBB314_390
; %bb.387:                              ;   in Loop: Header=BB314_13 Depth=1
	v_and_b32_e32 v7, 7, v167
	v_lshrrev_b32_e32 v179, 3, v180
	s_mov_b32 s23, exec_lo
	v_cmpx_gt_u32_e32 8, v180
; %bb.388:                              ;   in Loop: Header=BB314_13 Depth=1
	s_delay_alu instid0(VALU_DEP_3) | instskip(NEXT) | instid1(VALU_DEP_1)
	v_clz_i32_u32_e32 v179, v7
	v_min_u32_e32 v179, 32, v179
	s_delay_alu instid0(VALU_DEP_1) | instskip(SKIP_1) | instid1(VALU_DEP_2)
	v_subrev_nc_u32_e32 v180, 28, v179
	v_sub_nc_u32_e32 v179, 29, v179
	v_lshlrev_b64 v[180:181], v180, v[7:8]
	s_delay_alu instid0(VALU_DEP_1)
	v_and_b32_e32 v7, 7, v180
; %bb.389:                              ;   in Loop: Header=BB314_13 Depth=1
	s_or_b32 exec_lo, exec_lo, s23
	v_lshlrev_b32_e32 v167, 8, v167
	v_lshl_add_u32 v179, v179, 10, 0x2000
	s_delay_alu instid0(VALU_DEP_1) | instskip(NEXT) | instid1(VALU_DEP_1)
	v_and_or_b32 v167, 0x8000, v167, v179
	v_lshl_or_b32 v7, v7, 7, v167
	s_delay_alu instid0(VALU_DEP_1)
	v_cvt_f32_f16_e64 v179, v7
.LBB314_390:                            ;   in Loop: Header=BB314_13 Depth=1
	s_or_b32 exec_lo, exec_lo, s22
.LBB314_391:                            ;   in Loop: Header=BB314_13 Depth=1
	s_delay_alu instid0(SALU_CYCLE_1)
	s_or_b32 exec_lo, exec_lo, s21
.LBB314_392:                            ;   in Loop: Header=BB314_13 Depth=1
	s_delay_alu instid0(SALU_CYCLE_1) | instskip(NEXT) | instid1(SALU_CYCLE_1)
	s_or_b32 exec_lo, exec_lo, s20
	s_mov_b32 s20, exec_lo
	v_cmpx_lt_u32_e32 0xffffff, v166
	s_cbranch_execz .LBB314_400
; %bb.393:                              ;   in Loop: Header=BB314_13 Depth=1
	v_lshrrev_b32_e32 v166, 24, v166
	v_bfrev_b32_e32 v178, 1
	s_mov_b32 s21, exec_lo
	s_delay_alu instid0(VALU_DEP_2)
	v_cmpx_ne_u32_e32 0x80, v166
	s_cbranch_execz .LBB314_399
; %bb.394:                              ;   in Loop: Header=BB314_13 Depth=1
	v_and_b32_e32 v180, 0x7f, v166
	v_mov_b32_e32 v178, 0x7fc02000
	s_mov_b32 s22, exec_lo
	s_delay_alu instid0(VALU_DEP_2)
	v_cmpx_ne_u32_e32 0x7f, v180
	s_cbranch_execz .LBB314_398
; %bb.395:                              ;   in Loop: Header=BB314_13 Depth=1
	v_and_b32_e32 v7, 7, v166
	v_lshrrev_b32_e32 v167, 3, v180
	s_mov_b32 s23, exec_lo
	v_cmpx_gt_u32_e32 8, v180
; %bb.396:                              ;   in Loop: Header=BB314_13 Depth=1
	s_delay_alu instid0(VALU_DEP_3) | instskip(NEXT) | instid1(VALU_DEP_1)
	v_clz_i32_u32_e32 v167, v7
	v_min_u32_e32 v167, 32, v167
	s_delay_alu instid0(VALU_DEP_1) | instskip(SKIP_1) | instid1(VALU_DEP_2)
	v_subrev_nc_u32_e32 v178, 28, v167
	v_sub_nc_u32_e32 v167, 29, v167
	v_lshlrev_b64 v[180:181], v178, v[7:8]
	s_delay_alu instid0(VALU_DEP_1)
	v_and_b32_e32 v7, 7, v180
; %bb.397:                              ;   in Loop: Header=BB314_13 Depth=1
	s_or_b32 exec_lo, exec_lo, s23
	v_lshlrev_b32_e32 v166, 8, v166
	v_lshl_add_u32 v167, v167, 10, 0x2000
	s_delay_alu instid0(VALU_DEP_1) | instskip(NEXT) | instid1(VALU_DEP_1)
	v_and_or_b32 v166, 0x8000, v166, v167
	v_lshl_or_b32 v7, v7, 7, v166
	s_delay_alu instid0(VALU_DEP_1)
	v_cvt_f32_f16_e64 v178, v7
.LBB314_398:                            ;   in Loop: Header=BB314_13 Depth=1
	s_or_b32 exec_lo, exec_lo, s22
.LBB314_399:                            ;   in Loop: Header=BB314_13 Depth=1
	s_delay_alu instid0(SALU_CYCLE_1)
	s_or_b32 exec_lo, exec_lo, s21
.LBB314_400:                            ;   in Loop: Header=BB314_13 Depth=1
	s_delay_alu instid0(SALU_CYCLE_1)
	s_or_b32 exec_lo, exec_lo, s20
	v_fma_mixlo_f16 v167, v83, v164, 0
	v_fma_mixlo_f16 v164, v83, v176, 0
	;; [unrolled: 1-line block ×12, first 2 shown]
	ds_load_b64 v[85:86], v68
	v_fma_mixlo_f16 v166, v83, v165, 0
	v_fma_mixlo_f16 v165, v83, v177, 0
	v_fma_mixlo_f16 v177, v83, v160, 0
	v_fma_mixlo_f16 v160, v83, v162, 0
	v_fma_mixlo_f16 v162, v83, v149, 0
	v_fma_mixlo_f16 v149, v83, v151, 0
	v_fma_mixlo_f16 v151, v83, v144, 0
	v_fma_mixlo_f16 v144, v83, v146, 0
	v_fma_mixlo_f16 v146, v83, v133, 0
	v_fma_mixlo_f16 v133, v83, v135, 0
	v_fma_mixlo_f16 v135, v83, v84, 0
	v_fma_mixlo_f16 v87, v83, v87, 0
	v_fma_mixlo_f16 v129, v83, v129, 0
	v_fma_mixlo_f16 v128, v83, v128, 0
	v_fma_mixlo_f16 v131, v83, v131, 0
	v_fma_mixlo_f16 v130, v83, v130, 0
	v_fma_mixlo_f16 v117, v83, v117, 0
	v_fma_mixlo_f16 v116, v83, v116, 0
	v_fma_mixlo_f16 v119, v83, v119, 0
	v_fma_mixlo_f16 v118, v83, v118, 0
	v_fma_mixlo_f16 v113, v83, v113, 0
	v_fma_mixlo_f16 v112, v83, v112, 0
	v_fma_mixlo_f16 v115, v83, v115, 0
	v_fma_mixlo_f16 v114, v83, v114, 0
	v_fma_mixlo_f16 v101, v83, v101, 0
	v_fma_mixlo_f16 v100, v83, v100, 0
	v_fma_mixlo_f16 v103, v83, v103, 0
	v_fma_mixlo_f16 v102, v83, v102, 0
	v_fma_mixlo_f16 v97, v83, v97, 0
	v_fma_mixlo_f16 v96, v83, v96, 0
	v_fma_mixlo_f16 v99, v83, v99, 0
	v_fma_mixlo_f16 v98, v83, v98, 0
	v_fma_mixlo_f16 v32, v83, v32, 0
	v_fma_mixlo_f16 v84, v83, v31, 0
	v_fma_mixlo_f16 v31, v83, v179, 0
	v_fma_mixlo_f16 v7, v83, v178, 0
	s_waitcnt lgkmcnt(0)
	v_lshrrev_b32_e32 v83, 16, v85
	v_and_b32_e32 v85, 0xffff, v85
	;;#ASMSTART
	v_cvt_f32_f16 v178, v85;
	;;#ASMEND
	;;#ASMSTART
	v_cvt_f32_f16 v179, v83;
	;;#ASMEND
	v_and_b32_e32 v83, 0xffff, v135
	;;#ASMSTART
	v_cvt_f32_f16 v135, v83;
	;;#ASMEND
	v_and_b32_e32 v83, 0xffff, v134
	;;#ASMSTART
	v_cvt_f32_f16 v134, v83;
	;;#ASMEND
	v_lshrrev_b32_e32 v83, 16, v86
	v_and_b32_e32 v85, 0xffff, v86
	;;#ASMSTART
	v_cvt_f32_f16 v181, v85;
	;;#ASMEND
	;;#ASMSTART
	v_cvt_f32_f16 v182, v83;
	;;#ASMEND
	v_and_b32_e32 v83, 0xffff, v87
	;;#ASMSTART
	v_cvt_f32_f16 v87, v83;
	;;#ASMEND
	v_and_b32_e32 v83, 0xffff, v180
	;;#ASMSTART
	v_cvt_f32_f16 v180, v83;
	;;#ASMEND
	ds_load_b64 v[85:86], v68 offset:8
	v_and_b32_e32 v98, 0xffff, v98
	v_and_b32_e32 v31, 0xffff, v31
	;; [unrolled: 1-line block ×4, first 2 shown]
	s_waitcnt lgkmcnt(0)
	v_lshrrev_b32_e32 v83, 16, v85
	v_and_b32_e32 v85, 0xffff, v85
	;;#ASMSTART
	v_cvt_f32_f16 v85, v85;
	;;#ASMEND
	;;#ASMSTART
	v_cvt_f32_f16 v183, v83;
	;;#ASMEND
	v_and_b32_e32 v83, 0xffff, v96
	;;#ASMSTART
	v_cvt_f32_f16 v83, v83;
	;;#ASMEND
	s_delay_alu instid0(VALU_DEP_1) | instskip(SKIP_1) | instid1(VALU_DEP_1)
	v_dual_mul_f32 v83, v85, v83 :: v_dual_and_b32 v96, 0xffff, v97
	;;#ASMSTART
	v_cvt_f32_f16 v96, v96;
	;;#ASMEND
	v_mul_f32_e32 v85, v183, v96
	v_lshrrev_b32_e32 v96, 16, v86
	s_delay_alu instid0(VALU_DEP_3) | instskip(SKIP_4) | instid1(VALU_DEP_1)
	v_dual_fmac_f32 v83, v178, v135 :: v_dual_and_b32 v86, 0xffff, v86
	;;#ASMSTART
	v_cvt_f32_f16 v86, v86;
	;;#ASMEND
	v_and_b32_e32 v97, 0xffff, v99
	;;#ASMSTART
	v_cvt_f32_f16 v96, v96;
	;;#ASMEND
	;;#ASMSTART
	v_cvt_f32_f16 v97, v97;
	;;#ASMEND
	v_mul_f32_e32 v86, v86, v97
	;;#ASMSTART
	v_cvt_f32_f16 v98, v98;
	;;#ASMEND
	v_and_b32_e32 v99, 0xffff, v100
	v_and_b32_e32 v100, 0xffff, v101
	s_delay_alu instid0(VALU_DEP_3)
	v_dual_fmac_f32 v86, v181, v87 :: v_dual_mul_f32 v87, v96, v98
	ds_load_b64 v[96:97], v68 offset:16
	v_fmac_f32_e32 v85, v179, v134
	v_fmac_f32_e32 v87, v182, v180
	s_waitcnt lgkmcnt(0)
	v_lshrrev_b32_e32 v98, 16, v96
	v_and_b32_e32 v96, 0xffff, v96
	;;#ASMSTART
	v_cvt_f32_f16 v96, v96;
	;;#ASMEND
	;;#ASMSTART
	v_cvt_f32_f16 v98, v98;
	;;#ASMEND
	;; [unrolled: 3-line block ×3, first 2 shown]
	s_delay_alu instid0(VALU_DEP_1)
	v_fmac_f32_e32 v83, v96, v99
	v_lshrrev_b32_e32 v96, 16, v97
	v_and_b32_e32 v97, 0xffff, v97
	;;#ASMSTART
	v_cvt_f32_f16 v100, v100;
	;;#ASMEND
	v_dual_fmac_f32 v85, v98, v100 :: v_dual_and_b32 v100, 0xffff, v113
	;;#ASMSTART
	v_cvt_f32_f16 v97, v97;
	;;#ASMEND
	;;#ASMSTART
	v_cvt_f32_f16 v96, v96;
	;;#ASMEND
	v_and_b32_e32 v98, 0xffff, v103
	v_and_b32_e32 v99, 0xffff, v102
	;;#ASMSTART
	v_cvt_f32_f16 v98, v98;
	;;#ASMEND
	;;#ASMSTART
	v_cvt_f32_f16 v99, v99;
	;;#ASMEND
	s_delay_alu instid0(VALU_DEP_1)
	v_dual_fmac_f32 v86, v97, v98 :: v_dual_fmac_f32 v87, v96, v99
	ds_load_b64 v[96:97], v68 offset:24
	v_and_b32_e32 v99, 0xffff, v112
	s_waitcnt lgkmcnt(0)
	v_lshrrev_b32_e32 v98, 16, v96
	v_and_b32_e32 v96, 0xffff, v96
	;;#ASMSTART
	v_cvt_f32_f16 v96, v96;
	;;#ASMEND
	;;#ASMSTART
	v_cvt_f32_f16 v98, v98;
	;;#ASMEND
	;;#ASMSTART
	v_cvt_f32_f16 v99, v99;
	;;#ASMEND
	s_delay_alu instid0(VALU_DEP_1)
	v_fmac_f32_e32 v83, v96, v99
	v_lshrrev_b32_e32 v96, 16, v97
	v_and_b32_e32 v97, 0xffff, v97
	;;#ASMSTART
	v_cvt_f32_f16 v100, v100;
	;;#ASMEND
	v_dual_fmac_f32 v85, v98, v100 :: v_dual_and_b32 v98, 0xffff, v115
	;;#ASMSTART
	v_cvt_f32_f16 v97, v97;
	;;#ASMEND
	;;#ASMSTART
	v_cvt_f32_f16 v96, v96;
	;;#ASMEND
	v_and_b32_e32 v99, 0xffff, v114
	;;#ASMSTART
	v_cvt_f32_f16 v98, v98;
	;;#ASMEND
	;;#ASMSTART
	v_cvt_f32_f16 v99, v99;
	;;#ASMEND
	s_delay_alu instid0(VALU_DEP_1)
	v_dual_fmac_f32 v86, v97, v98 :: v_dual_fmac_f32 v87, v96, v99
	ds_load_b64 v[96:97], v68 offset:32
	v_and_b32_e32 v99, 0xffff, v116
	v_and_b32_e32 v100, 0xffff, v117
	s_waitcnt lgkmcnt(0)
	v_lshrrev_b32_e32 v98, 16, v96
	v_and_b32_e32 v96, 0xffff, v96
	;;#ASMSTART
	v_cvt_f32_f16 v96, v96;
	;;#ASMEND
	;;#ASMSTART
	v_cvt_f32_f16 v98, v98;
	;;#ASMEND
	;;#ASMSTART
	v_cvt_f32_f16 v99, v99;
	;;#ASMEND
	s_delay_alu instid0(VALU_DEP_1)
	v_fmac_f32_e32 v83, v96, v99
	v_lshrrev_b32_e32 v96, 16, v97
	v_and_b32_e32 v97, 0xffff, v97
	;;#ASMSTART
	v_cvt_f32_f16 v100, v100;
	;;#ASMEND
	v_dual_fmac_f32 v85, v98, v100 :: v_dual_and_b32 v98, 0xffff, v119
	;;#ASMSTART
	v_cvt_f32_f16 v97, v97;
	;;#ASMEND
	;;#ASMSTART
	v_cvt_f32_f16 v96, v96;
	;;#ASMEND
	v_and_b32_e32 v99, 0xffff, v118
	;;#ASMSTART
	v_cvt_f32_f16 v98, v98;
	;;#ASMEND
	;;#ASMSTART
	v_cvt_f32_f16 v99, v99;
	;;#ASMEND
	s_delay_alu instid0(VALU_DEP_1)
	v_dual_fmac_f32 v86, v97, v98 :: v_dual_fmac_f32 v87, v96, v99
	ds_load_b64 v[96:97], v68 offset:40
	v_and_b32_e32 v99, 0xffff, v128
	;; [unrolled: 38-line block ×3, first 2 shown]
	v_and_b32_e32 v100, 0xffff, v146
	s_waitcnt lgkmcnt(0)
	v_lshrrev_b32_e32 v98, 16, v96
	v_and_b32_e32 v96, 0xffff, v96
	;;#ASMSTART
	v_cvt_f32_f16 v96, v96;
	;;#ASMEND
	;;#ASMSTART
	v_cvt_f32_f16 v98, v98;
	;;#ASMEND
	;; [unrolled: 3-line block ×3, first 2 shown]
	s_delay_alu instid0(VALU_DEP_1)
	v_fmac_f32_e32 v83, v96, v99
	v_lshrrev_b32_e32 v96, 16, v97
	v_and_b32_e32 v97, 0xffff, v97
	;;#ASMSTART
	v_cvt_f32_f16 v100, v100;
	;;#ASMEND
	v_dual_fmac_f32 v85, v98, v100 :: v_dual_and_b32 v100, 0xffff, v150
	;;#ASMSTART
	v_cvt_f32_f16 v97, v97;
	;;#ASMEND
	;;#ASMSTART
	v_cvt_f32_f16 v96, v96;
	;;#ASMEND
	v_and_b32_e32 v98, 0xffff, v133
	v_and_b32_e32 v99, 0xffff, v132
	;;#ASMSTART
	v_cvt_f32_f16 v98, v98;
	;;#ASMEND
	;;#ASMSTART
	v_cvt_f32_f16 v99, v99;
	;;#ASMEND
	s_delay_alu instid0(VALU_DEP_1)
	v_dual_fmac_f32 v86, v97, v98 :: v_dual_fmac_f32 v87, v96, v99
	ds_load_b64 v[96:97], v68 offset:56
	v_and_b32_e32 v99, 0xffff, v151
	s_waitcnt lgkmcnt(0)
	v_lshrrev_b32_e32 v98, 16, v96
	v_and_b32_e32 v96, 0xffff, v96
	;;#ASMSTART
	v_cvt_f32_f16 v96, v96;
	;;#ASMEND
	;;#ASMSTART
	v_cvt_f32_f16 v98, v98;
	;;#ASMEND
	;; [unrolled: 3-line block ×3, first 2 shown]
	s_delay_alu instid0(VALU_DEP_1)
	v_fmac_f32_e32 v83, v96, v99
	v_lshrrev_b32_e32 v96, 16, v97
	v_and_b32_e32 v97, 0xffff, v97
	;;#ASMSTART
	v_cvt_f32_f16 v100, v100;
	;;#ASMEND
	v_dual_fmac_f32 v85, v98, v100 :: v_dual_and_b32 v100, 0xffff, v162
	;;#ASMSTART
	v_cvt_f32_f16 v97, v97;
	;;#ASMEND
	;;#ASMSTART
	v_cvt_f32_f16 v96, v96;
	;;#ASMEND
	v_and_b32_e32 v98, 0xffff, v145
	v_and_b32_e32 v99, 0xffff, v144
	;;#ASMSTART
	v_cvt_f32_f16 v98, v98;
	;;#ASMEND
	;;#ASMSTART
	v_cvt_f32_f16 v99, v99;
	;;#ASMEND
	s_delay_alu instid0(VALU_DEP_1)
	v_dual_fmac_f32 v86, v97, v98 :: v_dual_fmac_f32 v87, v96, v99
	ds_load_b64 v[96:97], v68 offset:64
	v_and_b32_e32 v99, 0xffff, v163
	s_waitcnt lgkmcnt(0)
	v_lshrrev_b32_e32 v98, 16, v96
	v_and_b32_e32 v96, 0xffff, v96
	;;#ASMSTART
	v_cvt_f32_f16 v96, v96;
	;;#ASMEND
	;;#ASMSTART
	v_cvt_f32_f16 v98, v98;
	;;#ASMEND
	;; [unrolled: 3-line block ×3, first 2 shown]
	s_delay_alu instid0(VALU_DEP_1)
	v_fmac_f32_e32 v83, v96, v99
	v_lshrrev_b32_e32 v96, 16, v97
	v_and_b32_e32 v97, 0xffff, v97
	;;#ASMSTART
	v_cvt_f32_f16 v100, v100;
	;;#ASMEND
	v_fmac_f32_e32 v85, v98, v100
	;;#ASMSTART
	v_cvt_f32_f16 v97, v97;
	;;#ASMEND
	;;#ASMSTART
	v_cvt_f32_f16 v96, v96;
	;;#ASMEND
	v_and_b32_e32 v98, 0xffff, v149
	v_and_b32_e32 v99, 0xffff, v148
	;;#ASMSTART
	v_cvt_f32_f16 v98, v98;
	;;#ASMEND
	;;#ASMSTART
	v_cvt_f32_f16 v99, v99;
	;;#ASMEND
	s_delay_alu instid0(VALU_DEP_1)
	v_dual_fmac_f32 v86, v97, v98 :: v_dual_fmac_f32 v87, v96, v99
	v_and_b32_e32 v100, 0xffff, v176
	ds_load_b64 v[96:97], v68 offset:72
	v_and_b32_e32 v99, 0xffff, v177
	s_waitcnt lgkmcnt(0)
	v_lshrrev_b32_e32 v98, 16, v96
	v_and_b32_e32 v96, 0xffff, v96
	;;#ASMSTART
	v_cvt_f32_f16 v96, v96;
	;;#ASMEND
	;;#ASMSTART
	v_cvt_f32_f16 v98, v98;
	;;#ASMEND
	;;#ASMSTART
	v_cvt_f32_f16 v99, v99;
	;;#ASMEND
	s_delay_alu instid0(VALU_DEP_1)
	v_fmac_f32_e32 v83, v96, v99
	v_lshrrev_b32_e32 v96, 16, v97
	v_and_b32_e32 v97, 0xffff, v97
	;;#ASMSTART
	v_cvt_f32_f16 v100, v100;
	;;#ASMEND
	v_dual_fmac_f32 v85, v98, v100 :: v_dual_and_b32 v100, 0xffff, v166
	;;#ASMSTART
	v_cvt_f32_f16 v97, v97;
	;;#ASMEND
	;;#ASMSTART
	v_cvt_f32_f16 v96, v96;
	;;#ASMEND
	v_and_b32_e32 v98, 0xffff, v161
	v_and_b32_e32 v99, 0xffff, v160
	;;#ASMSTART
	v_cvt_f32_f16 v98, v98;
	;;#ASMEND
	;;#ASMSTART
	v_cvt_f32_f16 v99, v99;
	;;#ASMEND
	s_delay_alu instid0(VALU_DEP_1)
	v_dual_fmac_f32 v86, v97, v98 :: v_dual_fmac_f32 v87, v96, v99
	ds_load_b64 v[96:97], v68 offset:80
	v_and_b32_e32 v99, 0xffff, v167
	s_waitcnt lgkmcnt(0)
	v_lshrrev_b32_e32 v98, 16, v96
	v_and_b32_e32 v96, 0xffff, v96
	;;#ASMSTART
	v_cvt_f32_f16 v96, v96;
	;;#ASMEND
	;;#ASMSTART
	v_cvt_f32_f16 v98, v98;
	;;#ASMEND
	;;#ASMSTART
	v_cvt_f32_f16 v99, v99;
	;;#ASMEND
	s_delay_alu instid0(VALU_DEP_1)
	v_fmac_f32_e32 v83, v96, v99
	v_lshrrev_b32_e32 v96, 16, v97
	v_and_b32_e32 v97, 0xffff, v97
	;;#ASMSTART
	v_cvt_f32_f16 v100, v100;
	;;#ASMEND
	v_fmac_f32_e32 v85, v98, v100
	;;#ASMSTART
	v_cvt_f32_f16 v97, v97;
	;;#ASMEND
	;;#ASMSTART
	v_cvt_f32_f16 v96, v96;
	;;#ASMEND
	v_and_b32_e32 v98, 0xffff, v165
	v_and_b32_e32 v99, 0xffff, v164
	;;#ASMSTART
	v_cvt_f32_f16 v98, v98;
	;;#ASMEND
	;;#ASMSTART
	v_cvt_f32_f16 v99, v99;
	;;#ASMEND
	s_delay_alu instid0(VALU_DEP_1)
	v_dual_fmac_f32 v86, v97, v98 :: v_dual_fmac_f32 v87, v96, v99
	ds_load_b64 v[96:97], v68 offset:88
	s_waitcnt lgkmcnt(0)
	v_lshrrev_b32_e32 v98, 16, v96
	v_and_b32_e32 v96, 0xffff, v96
	;;#ASMSTART
	v_cvt_f32_f16 v96, v96;
	;;#ASMEND
	;;#ASMSTART
	v_cvt_f32_f16 v98, v98;
	;;#ASMEND
	;; [unrolled: 3-line block ×3, first 2 shown]
	s_delay_alu instid0(VALU_DEP_1) | instskip(SKIP_2) | instid1(VALU_DEP_1)
	v_fmac_f32_e32 v83, v96, v84
	v_and_b32_e32 v32, 0xffff, v32
	;;#ASMSTART
	v_cvt_f32_f16 v32, v32;
	;;#ASMEND
	v_dual_fmac_f32 v85, v98, v32 :: v_dual_and_b32 v84, 0xffff, v97
	v_lshrrev_b32_e32 v32, 16, v97
	;;#ASMSTART
	v_cvt_f32_f16 v84, v84;
	;;#ASMEND
	;;#ASMSTART
	v_cvt_f32_f16 v32, v32;
	;;#ASMEND
	;; [unrolled: 3-line block ×3, first 2 shown]
	v_fmac_f32_e32 v86, v84, v31
	v_xor_b32_e32 v31, 1, v64
	;;#ASMSTART
	v_cvt_f32_f16 v7, v7;
	;;#ASMEND
	v_fmac_f32_e32 v87, v32, v7
	v_add_f32_e32 v7, v83, v85
	s_delay_alu instid0(VALU_DEP_3) | instskip(NEXT) | instid1(VALU_DEP_2)
	v_cmp_gt_i32_e64 s2, 32, v31
	v_add_f32_e32 v7, v7, v86
	s_delay_alu instid0(VALU_DEP_2) | instskip(NEXT) | instid1(VALU_DEP_2)
	v_cndmask_b32_e64 v31, v64, v31, s2
	v_add_f32_e32 v7, v87, v7
	s_delay_alu instid0(VALU_DEP_2)
	v_lshlrev_b32_e32 v31, 2, v31
	ds_bpermute_b32 v31, v31, v7
	s_and_saveexec_b32 s20, vcc_lo
	s_cbranch_execz .LBB314_11
; %bb.401:                              ;   in Loop: Header=BB314_13 Depth=1
	s_waitcnt lgkmcnt(0)
	v_dual_add_f32 v7, v7, v31 :: v_dual_add_nc_u32 v32, v80, v69
	s_load_b32 s21, s[8:9], 0x0
	s_delay_alu instid0(VALU_DEP_1) | instskip(NEXT) | instid1(VALU_DEP_1)
	v_cvt_f32_i32_e32 v32, v32
	v_mul_f32_e32 v32, v55, v32
	s_delay_alu instid0(VALU_DEP_1) | instskip(SKIP_1) | instid1(VALU_DEP_2)
	v_cndmask_b32_e64 v31, 0, v32, s1
	v_max_f32_e32 v32, v65, v65
	v_fmac_f32_e32 v31, v7, v13
	s_delay_alu instid0(VALU_DEP_1) | instskip(NEXT) | instid1(VALU_DEP_1)
	v_dual_max_f32 v32, v32, v31 :: v_dual_add_nc_u32 v7, v67, v69
	v_cmp_lt_i32_e64 s2, v7, v35
	s_waitcnt lgkmcnt(0)
	v_add_nc_u32_e32 v7, s21, v71
	s_delay_alu instid0(VALU_DEP_2)
	v_cndmask_b32_e64 v31, 0, v31, s2
	v_cndmask_b32_e64 v65, v65, v32, s2
	ds_store_b32 v7, v31
	s_branch .LBB314_11
.LBB314_402:
	s_or_b32 exec_lo, exec_lo, s19
.LBB314_403:
	s_delay_alu instid0(SALU_CYCLE_1)
	s_or_b32 exec_lo, exec_lo, s18
	v_xor_b32_e32 v7, 16, v64
	v_xor_b32_e32 v8, 8, v64
	s_waitcnt lgkmcnt(0)
	s_lshr_b32 s8, s17, 16
	v_and_b32_e32 v20, 31, v34
	v_lshlrev_b32_e32 v28, 2, v48
	v_cmp_gt_i32_e32 vcc_lo, 32, v7
	v_cndmask_b32_e32 v7, v64, v7, vcc_lo
	v_cmp_gt_i32_e32 vcc_lo, 32, v8
	v_dual_max_f32 v9, v65, v65 :: v_dual_cndmask_b32 v8, v64, v8
	s_delay_alu instid0(VALU_DEP_1) | instskip(NEXT) | instid1(VALU_DEP_4)
	v_lshlrev_b32_e32 v24, 2, v8
	v_lshlrev_b32_e32 v13, 2, v7
	ds_bpermute_b32 v7, v13, v65
	s_waitcnt lgkmcnt(0)
	v_max_f32_e32 v7, v7, v7
	s_delay_alu instid0(VALU_DEP_1) | instskip(SKIP_4) | instid1(VALU_DEP_1)
	v_max_f32_e32 v7, v9, v7
	v_xor_b32_e32 v9, 4, v64
	ds_bpermute_b32 v8, v24, v7
	v_cmp_gt_i32_e32 vcc_lo, 32, v9
	v_cndmask_b32_e32 v9, v64, v9, vcc_lo
	v_lshlrev_b32_e32 v25, 2, v9
	v_xor_b32_e32 v9, 2, v64
	s_delay_alu instid0(VALU_DEP_1) | instskip(SKIP_4) | instid1(VALU_DEP_3)
	v_cmp_gt_i32_e32 vcc_lo, 32, v9
	s_waitcnt lgkmcnt(0)
	v_max_f32_e32 v8, v8, v8
	v_cndmask_b32_e32 v9, v64, v9, vcc_lo
	v_cmp_eq_u32_e32 vcc_lo, 0, v20
	v_max_f32_e32 v7, v7, v8
	s_delay_alu instid0(VALU_DEP_3) | instskip(SKIP_3) | instid1(VALU_DEP_1)
	v_lshlrev_b32_e32 v9, 2, v9
	ds_bpermute_b32 v8, v25, v7
	s_waitcnt lgkmcnt(0)
	v_max_f32_e32 v8, v8, v8
	v_max_f32_e32 v7, v7, v8
	ds_bpermute_b32 v8, v9, v7
	s_and_saveexec_b32 s1, vcc_lo
	s_cbranch_execz .LBB314_405
; %bb.404:
	s_waitcnt lgkmcnt(0)
	v_dual_max_f32 v8, v8, v8 :: v_dual_max_f32 v7, v7, v7
	s_delay_alu instid0(VALU_DEP_1)
	v_max_f32_e32 v7, v7, v8
	ds_store_b32 v28, v7 offset:192
.LBB314_405:
	s_or_b32 exec_lo, exec_lo, s1
	v_cmp_gt_u32_e64 s1, 4, v20
	v_mov_b32_e32 v7, 0xff7fffff
	v_lshlrev_b32_e32 v29, 2, v20
	s_waitcnt lgkmcnt(0)
	s_barrier
	buffer_gl0_inv
	s_and_saveexec_b32 s2, s1
	s_cbranch_execz .LBB314_407
; %bb.406:
	ds_load_b32 v7, v29 offset:192
.LBB314_407:
	s_or_b32 exec_lo, exec_lo, s2
	s_waitcnt lgkmcnt(0)
	ds_bpermute_b32 v8, v9, v7
	v_xor_b32_e32 v21, 1, v64
	v_max_f32_e32 v7, v7, v7
	v_subrev_nc_u32_e32 v32, s13, v49
	v_mov_b32_e32 v31, 0
	s_delay_alu instid0(VALU_DEP_4) | instskip(NEXT) | instid1(VALU_DEP_1)
	v_cmp_gt_i32_e64 s2, 32, v21
	v_cndmask_b32_e64 v21, v64, v21, s2
	s_waitcnt lgkmcnt(0)
	s_delay_alu instid0(VALU_DEP_1) | instskip(NEXT) | instid1(VALU_DEP_1)
	v_dual_max_f32 v8, v8, v8 :: v_dual_lshlrev_b32 v21, 2, v21
	v_max_f32_e32 v7, v7, v8
	ds_bpermute_b32 v8, v21, v7
	s_waitcnt lgkmcnt(0)
	v_max_f32_e32 v8, v8, v8
	s_delay_alu instid0(VALU_DEP_1) | instskip(SKIP_3) | instid1(VALU_DEP_1)
	v_max_f32_e32 v7, v7, v8
	v_lshl_add_u32 v8, v32, 4, s16
	ds_bpermute_b32 v7, v31, v7
	v_min_i32_e32 v8, v8, v35
	v_subrev_nc_u32_e32 v8, s16, v8
	s_delay_alu instid0(VALU_DEP_1) | instskip(NEXT) | instid1(VALU_DEP_1)
	v_cmp_lt_i32_e64 s2, v34, v8
	s_and_saveexec_b32 s9, s2
	s_cbranch_execz .LBB314_411
; %bb.408:
	s_getpc_b64 s[16:17]
	s_add_u32 s16, s16, llvm.amdgcn.dynlds.offset.table@rel32@lo+4
	s_addc_u32 s17, s17, llvm.amdgcn.dynlds.offset.table@rel32@hi+12
	s_ashr_i32 s7, s6, 31
	v_mov_b32_e32 v31, 0
	s_lshl_b64 s[18:19], s[6:7], 2
	v_mov_b32_e32 v55, v34
	s_add_u32 s16, s18, s16
	s_addc_u32 s17, s19, s17
	s_mov_b32 s7, 0
	s_load_b32 s3, s[16:17], 0x0
	s_waitcnt lgkmcnt(0)
	v_lshl_add_u32 v32, v34, 2, s3
	.p2align	6
.LBB314_409:                            ; =>This Inner Loop Header: Depth=1
	ds_load_b32 v64, v32
	v_add_nc_u32_e32 v55, 0x80, v55
	s_delay_alu instid0(VALU_DEP_1) | instskip(NEXT) | instid1(VALU_DEP_1)
	v_cmp_ge_i32_e64 s3, v55, v8
	s_or_b32 s7, s3, s7
	s_waitcnt lgkmcnt(0)
	v_sub_f32_e32 v64, v64, v7
	s_delay_alu instid0(VALU_DEP_1) | instskip(NEXT) | instid1(VALU_DEP_1)
	v_mul_f32_e32 v64, 0x3fb8aa3b, v64
	v_exp_f32_e32 v64, v64
	ds_store_b32 v32, v64
	v_add_f32_e32 v31, v31, v64
	v_add_nc_u32_e32 v32, 0x200, v32
	s_and_not1_b32 exec_lo, exec_lo, s7
	s_cbranch_execnz .LBB314_409
; %bb.410:
	s_or_b32 exec_lo, exec_lo, s7
.LBB314_411:
	s_delay_alu instid0(SALU_CYCLE_1)
	s_or_b32 exec_lo, exec_lo, s9
	ds_bpermute_b32 v13, v13, v31
	s_waitcnt lgkmcnt(0)
	v_add_f32_e32 v13, v31, v13
	ds_bpermute_b32 v24, v24, v13
	s_waitcnt lgkmcnt(0)
	v_add_f32_e32 v13, v13, v24
	;; [unrolled: 3-line block ×5, first 2 shown]
	s_and_saveexec_b32 s3, vcc_lo
	s_cbranch_execz .LBB314_413
; %bb.412:
	ds_store_b32 v28, v13 offset:208
.LBB314_413:
	s_or_b32 exec_lo, exec_lo, s3
	s_waitcnt lgkmcnt(0)
	s_barrier
	buffer_gl0_inv
	s_and_saveexec_b32 s3, s1
	s_cbranch_execz .LBB314_415
; %bb.414:
	ds_load_b32 v13, v29 offset:208
.LBB314_415:
	s_or_b32 exec_lo, exec_lo, s3
	s_waitcnt lgkmcnt(0)
	ds_bpermute_b32 v9, v9, v13
	s_waitcnt lgkmcnt(0)
	v_add_f32_e32 v9, v13, v9
	ds_bpermute_b32 v13, v21, v9
	s_waitcnt lgkmcnt(0)
	v_add_f32_e32 v9, v9, v13
	v_mov_b32_e32 v13, 0
	ds_bpermute_b32 v9, v13, v9
	s_and_saveexec_b32 s1, s2
	s_cbranch_execz .LBB314_418
; %bb.416:
	s_waitcnt lgkmcnt(0)
	v_add_f32_e32 v24, 0x358637bd, v9
	s_getpc_b64 s[2:3]
	s_add_u32 s2, s2, llvm.amdgcn.dynlds.offset.table@rel32@lo+4
	s_addc_u32 s3, s3, llvm.amdgcn.dynlds.offset.table@rel32@hi+12
	s_ashr_i32 s7, s6, 31
	s_delay_alu instid0(SALU_CYCLE_1) | instskip(SKIP_3) | instid1(VALU_DEP_2)
	s_lshl_b64 s[16:17], s[6:7], 2
	v_div_scale_f32 v13, null, v24, v24, 1.0
	v_div_scale_f32 v29, vcc_lo, 1.0, v24, 1.0
	s_add_u32 s2, s16, s2
	v_rcp_f32_e32 v25, v13
	s_addc_u32 s3, s17, s3
	s_load_b32 s2, s[2:3], 0x0
	s_waitcnt_depctr 0xfff
	v_fma_f32 v28, -v13, v25, 1.0
	s_delay_alu instid0(VALU_DEP_1) | instskip(NEXT) | instid1(VALU_DEP_1)
	v_fmac_f32_e32 v25, v28, v25
	v_mul_f32_e32 v28, v29, v25
	s_delay_alu instid0(VALU_DEP_1) | instskip(NEXT) | instid1(VALU_DEP_1)
	v_fma_f32 v31, -v13, v28, v29
	v_fmac_f32_e32 v28, v31, v25
	s_delay_alu instid0(VALU_DEP_1) | instskip(NEXT) | instid1(VALU_DEP_1)
	v_fma_f32 v13, -v13, v28, v29
	v_div_fmas_f32 v25, v13, v25, v28
	s_waitcnt lgkmcnt(0)
	v_lshl_add_u32 v13, v34, 2, s2
	s_mov_b32 s2, 0
	s_delay_alu instid0(VALU_DEP_2)
	v_div_fixup_f32 v24, v25, v24, 1.0
	v_mov_b32_e32 v25, v34
.LBB314_417:                            ; =>This Inner Loop Header: Depth=1
	ds_load_b32 v28, v13
	s_waitcnt lgkmcnt(0)
	v_dual_mul_f32 v28, v24, v28 :: v_dual_add_nc_u32 v25, 0x80, v25
	s_delay_alu instid0(VALU_DEP_1) | instskip(SKIP_3) | instid1(SALU_CYCLE_1)
	v_cmp_ge_i32_e32 vcc_lo, v25, v8
	ds_store_b32 v13, v28
	v_add_nc_u32_e32 v13, 0x200, v13
	s_or_b32 s2, vcc_lo, s2
	s_and_not1_b32 exec_lo, exec_lo, s2
	s_cbranch_execnz .LBB314_417
.LBB314_418:
	s_or_b32 exec_lo, exec_lo, s1
	v_cmp_ne_u16_e64 s1, s8, 0
	s_waitcnt lgkmcnt(0)
	s_barrier
	buffer_gl0_inv
	s_cmp_lg_u32 s1, 0
	s_addc_u32 s1, s5, 0
	s_mov_b32 s5, exec_lo
	s_mul_i32 s2, s1, s10
	s_delay_alu instid0(SALU_CYCLE_1)
	s_mul_i32 s2, s2, s15
	v_cmpx_eq_u32_e32 0, v34
	s_cbranch_execz .LBB314_420
; %bb.419:
	s_mul_i32 s8, s1, s12
	s_ashr_i32 s15, s14, 31
	s_ashr_i32 s9, s8, 31
	;; [unrolled: 1-line block ×3, first 2 shown]
	s_lshl_b64 s[8:9], s[8:9], 2
	s_lshl_b64 s[12:13], s[14:15], 2
	;; [unrolled: 1-line block ×3, first 2 shown]
	s_add_u32 s3, s12, s8
	s_addc_u32 s7, s13, s9
	s_add_u32 s3, s3, s16
	s_addc_u32 s7, s7, s17
	v_add_co_u32 v2, vcc_lo, s3, v2
	v_add_co_ci_u32_e32 v3, vcc_lo, s7, v3, vcc_lo
	v_add_co_u32 v0, vcc_lo, s3, v0
	v_add_co_ci_u32_e32 v1, vcc_lo, s7, v1, vcc_lo
	flat_store_b32 v[2:3], v7
	flat_store_b32 v[0:1], v9
.LBB314_420:
	s_or_b32 exec_lo, exec_lo, s5
	s_getpc_b64 s[8:9]
	s_add_u32 s8, s8, llvm.amdgcn.dynlds.offset.table@rel32@lo+4
	s_addc_u32 s9, s9, llvm.amdgcn.dynlds.offset.table@rel32@hi+12
	s_ashr_i32 s7, s6, 31
	v_dual_mov_b32 v32, 0 :: v_dual_mov_b32 v25, 0
	s_lshl_b64 s[6:7], s[6:7], 2
	v_dual_mov_b32 v24, 0 :: v_dual_mov_b32 v29, 0
	s_add_u32 s6, s6, s8
	s_addc_u32 s7, s7, s9
	v_dual_mov_b32 v28, 0 :: v_dual_mov_b32 v31, 0
	s_load_b32 s10, s[6:7], 0x0
	s_mov_b32 s5, 0
	s_waitcnt lgkmcnt(0)
	v_mov_b32_e32 v0, s10
	s_and_saveexec_b32 s3, s0
	s_cbranch_execz .LBB314_822
; %bb.421:
	v_max_i32_e32 v30, v30, v53
	v_add_co_u32 v2, vcc_lo, v10, v12
	v_dual_mov_b32 v28, 0 :: v_dual_and_b32 v9, 0xf8, v51
	s_delay_alu instid0(VALU_DEP_3) | instskip(SKIP_3) | instid1(VALU_DEP_4)
	v_cvt_f32_u32_e32 v0, v30
	v_sub_nc_u32_e32 v10, 0, v30
	v_add_co_ci_u32_e32 v3, vcc_lo, v11, v54, vcc_lo
	v_lshlrev_b64 v[7:8], 2, v[16:17]
	v_rcp_iflag_f32_e32 v0, v0
	v_and_b32_e32 v53, 8, v51
	v_dual_mov_b32 v32, 0 :: v_dual_lshlrev_b32 v11, 5, v36
	v_add_co_u32 v2, vcc_lo, v2, v9
	v_add_co_ci_u32_e32 v3, vcc_lo, 0, v3, vcc_lo
	v_add_co_u32 v7, vcc_lo, v18, v7
	s_waitcnt_depctr 0xfff
	v_mul_f32_e32 v0, 0x4f7ffffe, v0
	v_lshl_or_b32 v9, v48, 6, v11
	v_add_co_ci_u32_e32 v8, vcc_lo, v19, v8, vcc_lo
	v_add_co_u32 v7, vcc_lo, v14, v7
	s_delay_alu instid0(VALU_DEP_4) | instskip(SKIP_2) | instid1(VALU_DEP_3)
	v_cvt_u32_f32_e32 v0, v0
	v_dual_mov_b32 v1, 0 :: v_dual_add_nc_u32 v52, -1, v52
	v_dual_mov_b32 v51, v35 :: v_dual_mov_b32 v24, 0
	v_mul_lo_u32 v10, v10, v0
	v_mov_b32_e32 v31, 0
	v_mov_b32_e32 v29, 0
	;; [unrolled: 1-line block ×3, first 2 shown]
	v_add_nc_u32_e32 v17, s10, v9
	v_add_co_ci_u32_e32 v8, vcc_lo, v15, v8, vcc_lo
	s_mov_b32 s8, -1
	v_mul_hi_u32 v10, v0, v10
	s_mov_b32 s9, 0xffffff
	s_delay_alu instid0(VALU_DEP_1)
	v_add_nc_u32_e32 v15, v0, v10
	s_branch .LBB314_424
.LBB314_422:                            ;   in Loop: Header=BB314_424 Depth=1
	s_or_b32 exec_lo, exec_lo, s0
	v_add_f32_e32 v11, v13, v14
	;;#ASMSTART
	v_pk_mul_f16 v12, v81, v12;

	;;#ASMEND
	;;#ASMSTART
	v_pk_mul_f16 v10, v80, v10;

	;;#ASMEND
	;; [unrolled: 4-line block ×4, first 2 shown]
	;;#ASMSTART
	v_pk_add_f16 v10, v12, v10;

	;;#ASMEND
	;;#ASMSTART
	v_pk_add_f16 v0, v10, v0;

	;;#ASMEND
	v_add_f32_e32 v10, v84, v85
	;;#ASMSTART
	v_pk_add_f16 v0, v0, v9;

	;;#ASMEND
	v_dual_add_f32 v24, v24, v11 :: v_dual_and_b32 v9, 0xffff, v0
	v_lshrrev_b32_e32 v0, 16, v0
	;;#ASMSTART
	v_cvt_f32_f16 v9, v9;
	;;#ASMEND
	;;#ASMSTART
	v_cvt_f32_f16 v0, v0;
	;;#ASMEND
	v_dual_add_f32 v13, v86, v87 :: v_dual_add_f32 v12, v68, v69
	s_delay_alu instid0(VALU_DEP_2) | instskip(NEXT) | instid1(VALU_DEP_2)
	v_dual_add_f32 v11, v82, v83 :: v_dual_add_f32 v0, v9, v0
	v_dual_add_f32 v25, v25, v10 :: v_dual_add_f32 v28, v28, v13
	s_delay_alu instid0(VALU_DEP_3) | instskip(NEXT) | instid1(VALU_DEP_3)
	v_add_f32_e32 v31, v31, v12
	v_dual_add_f32 v29, v29, v11 :: v_dual_add_f32 v32, v32, v0
.LBB314_423:                            ;   in Loop: Header=BB314_424 Depth=1
	s_or_b32 exec_lo, exec_lo, s10
	v_add_nc_u32_e32 v16, 4, v16
	v_add_co_u32 v7, s0, v7, 16
	s_delay_alu instid0(VALU_DEP_1) | instskip(NEXT) | instid1(VALU_DEP_3)
	v_add_co_ci_u32_e64 v8, s0, 0, v8, s0
	v_cmp_ge_i32_e32 vcc_lo, v16, v49
	v_add_nc_u32_e32 v23, 64, v23
	v_add_nc_u32_e32 v17, 0x100, v17
	s_or_b32 s5, vcc_lo, s5
	s_delay_alu instid0(SALU_CYCLE_1)
	s_and_not1_b32 exec_lo, exec_lo, s5
	s_cbranch_execz .LBB314_821
.LBB314_424:                            ; =>This Inner Loop Header: Depth=1
	v_sub_nc_u32_e32 v0, 0, v23
	s_delay_alu instid0(VALU_DEP_1) | instskip(NEXT) | instid1(VALU_DEP_1)
	v_max_i32_e32 v0, v23, v0
	v_mul_hi_u32 v9, v0, v38
	s_delay_alu instid0(VALU_DEP_1) | instskip(NEXT) | instid1(VALU_DEP_1)
	v_mul_lo_u32 v10, v9, v37
	v_sub_nc_u32_e32 v0, v0, v10
	v_add_nc_u32_e32 v10, 1, v9
	s_delay_alu instid0(VALU_DEP_2) | instskip(SKIP_1) | instid1(VALU_DEP_2)
	v_sub_nc_u32_e32 v11, v0, v37
	v_cmp_ge_u32_e32 vcc_lo, v0, v37
	v_dual_cndmask_b32 v9, v9, v10 :: v_dual_cndmask_b32 v0, v0, v11
	v_ashrrev_i32_e32 v10, 31, v23
	s_delay_alu instid0(VALU_DEP_2) | instskip(NEXT) | instid1(VALU_DEP_3)
	v_add_nc_u32_e32 v11, 1, v9
	v_cmp_ge_u32_e32 vcc_lo, v0, v37
	s_delay_alu instid0(VALU_DEP_3) | instskip(NEXT) | instid1(VALU_DEP_3)
	v_xor_b32_e32 v10, v10, v39
	v_cndmask_b32_e32 v0, v9, v11, vcc_lo
	s_delay_alu instid0(VALU_DEP_1) | instskip(NEXT) | instid1(VALU_DEP_1)
	v_xor_b32_e32 v0, v0, v10
	v_sub_nc_u32_e32 v0, v0, v10
	s_delay_alu instid0(VALU_DEP_1) | instskip(SKIP_1) | instid1(VALU_DEP_2)
	v_add_nc_u32_e32 v9, v0, v6
	v_cmp_gt_i32_e64 s0, v0, v50
	v_sub_nc_u32_e32 v10, 0, v9
	s_delay_alu instid0(VALU_DEP_1) | instskip(NEXT) | instid1(VALU_DEP_1)
	v_max_i32_e32 v10, v9, v10
	v_mul_hi_u32 v11, v10, v15
	s_delay_alu instid0(VALU_DEP_1) | instskip(NEXT) | instid1(VALU_DEP_1)
	v_mul_lo_u32 v11, v11, v30
	v_sub_nc_u32_e32 v10, v10, v11
	s_delay_alu instid0(VALU_DEP_1) | instskip(SKIP_1) | instid1(VALU_DEP_2)
	v_sub_nc_u32_e32 v11, v10, v30
	v_cmp_ge_u32_e32 vcc_lo, v10, v30
	v_cndmask_b32_e32 v10, v10, v11, vcc_lo
	v_ashrrev_i32_e32 v9, 31, v9
	s_delay_alu instid0(VALU_DEP_2) | instskip(SKIP_1) | instid1(VALU_DEP_2)
	v_sub_nc_u32_e32 v11, v10, v30
	v_cmp_ge_u32_e32 vcc_lo, v10, v30
	v_cndmask_b32_e32 v10, v10, v11, vcc_lo
	s_delay_alu instid0(VALU_DEP_1) | instskip(NEXT) | instid1(VALU_DEP_1)
	v_xor_b32_e32 v10, v10, v9
	v_sub_nc_u32_e32 v9, v10, v9
	s_delay_alu instid0(VALU_DEP_1) | instskip(SKIP_1) | instid1(SALU_CYCLE_1)
	v_cmp_eq_u32_e32 vcc_lo, 0, v9
	s_or_b32 s0, vcc_lo, s0
	s_and_saveexec_b32 s10, s0
	s_cbranch_execz .LBB314_423
; %bb.425:                              ;   in Loop: Header=BB314_424 Depth=1
	flat_load_b32 v0, v[7:8]
	ds_load_2addr_b64 v[10:13], v17 offset1:1
	ds_load_2addr_b64 v[64:67], v17 offset0:2 offset1:3
	v_mov_b32_e32 v18, 0
	v_mov_b32_e32 v54, 0
	s_mov_b32 s0, exec_lo
	s_waitcnt lgkmcnt(1)
	;;#ASMSTART
	v_cvt_f16_f32 v68, v10;

	;;#ASMEND
	;;#ASMSTART
	v_cvt_f16_f32 v69, v11;

	;;#ASMEND
	;; [unrolled: 4-line block ×4, first 2 shown]
	s_waitcnt lgkmcnt(0)
	;;#ASMSTART
	v_cvt_f16_f32 v81, v64;

	;;#ASMEND
	;;#ASMSTART
	v_cvt_f16_f32 v71, v65;

	;;#ASMEND
	;; [unrolled: 4-line block ×4, first 2 shown]
	s_waitcnt vmcnt(0)
	v_mad_i64_i32 v[9:10], null, v0, v22, v[2:3]
	flat_load_b64 v[11:12], v[9:10]
	flat_load_b32 v19, v[26:27]
	s_waitcnt vmcnt(1) lgkmcnt(1)
	v_and_b32_e32 v0, 0xff, v11
	s_delay_alu instid0(VALU_DEP_1)
	v_cmpx_ne_u16_e32 0, v0
	s_cbranch_execz .LBB314_433
; %bb.426:                              ;   in Loop: Header=BB314_424 Depth=1
	v_bfrev_b32_e32 v54, 1
	s_mov_b32 s12, exec_lo
	v_cmpx_ne_u16_e32 0x80, v0
	s_cbranch_execz .LBB314_432
; %bb.427:                              ;   in Loop: Header=BB314_424 Depth=1
	v_and_b32_e32 v13, 0x7f, v11
	v_mov_b32_e32 v54, 0x7fc02000
	s_mov_b32 s13, exec_lo
	s_delay_alu instid0(VALU_DEP_2)
	v_cmpx_ne_u32_e32 0x7f, v13
	s_cbranch_execz .LBB314_431
; %bb.428:                              ;   in Loop: Header=BB314_424 Depth=1
	v_lshrrev_b32_e32 v0, 3, v13
	v_cmp_gt_u32_e32 vcc_lo, 8, v13
	v_dual_mov_b32 v14, v12 :: v_dual_mov_b32 v13, v11
	s_and_saveexec_b32 s15, vcc_lo
; %bb.429:                              ;   in Loop: Header=BB314_424 Depth=1
	v_and_b32_e32 v0, 7, v11
	s_delay_alu instid0(VALU_DEP_1) | instskip(NEXT) | instid1(VALU_DEP_1)
	v_clz_i32_u32_e32 v0, v0
	v_min_u32_e32 v0, 32, v0
	s_delay_alu instid0(VALU_DEP_1) | instskip(SKIP_1) | instid1(VALU_DEP_2)
	v_subrev_nc_u32_e32 v13, 28, v0
	v_sub_nc_u32_e32 v0, 29, v0
	v_lshlrev_b64 v[13:14], v13, v[11:12]
; %bb.430:                              ;   in Loop: Header=BB314_424 Depth=1
	s_or_b32 exec_lo, exec_lo, s15
	v_lshlrev_b32_e32 v14, 8, v11
	s_delay_alu instid0(VALU_DEP_3) | instskip(NEXT) | instid1(VALU_DEP_3)
	v_lshl_add_u32 v0, v0, 10, 0x2000
	v_lshlrev_b32_e32 v13, 7, v13
	s_delay_alu instid0(VALU_DEP_2) | instskip(NEXT) | instid1(VALU_DEP_1)
	v_and_or_b32 v0, 0x8000, v14, v0
	v_and_or_b32 v0, 0x380, v13, v0
	s_delay_alu instid0(VALU_DEP_1)
	v_cvt_f32_f16_e32 v54, v0
.LBB314_431:                            ;   in Loop: Header=BB314_424 Depth=1
	s_or_b32 exec_lo, exec_lo, s13
.LBB314_432:                            ;   in Loop: Header=BB314_424 Depth=1
	s_delay_alu instid0(SALU_CYCLE_1)
	s_or_b32 exec_lo, exec_lo, s12
.LBB314_433:                            ;   in Loop: Header=BB314_424 Depth=1
	s_delay_alu instid0(SALU_CYCLE_1) | instskip(SKIP_2) | instid1(VALU_DEP_1)
	s_or_b32 exec_lo, exec_lo, s0
	v_lshrrev_b16 v0, 8, v11
	s_mov_b32 s0, exec_lo
	v_cmpx_ne_u16_e32 0, v0
	s_cbranch_execz .LBB314_441
; %bb.434:                              ;   in Loop: Header=BB314_424 Depth=1
	v_bfrev_b32_e32 v18, 1
	s_mov_b32 s12, exec_lo
	v_cmpx_ne_u16_e32 0x80, v0
	s_cbranch_execz .LBB314_440
; %bb.435:                              ;   in Loop: Header=BB314_424 Depth=1
	v_and_b32_e32 v13, 0xffff, v0
	v_mov_b32_e32 v18, 0x7fc02000
	s_mov_b32 s13, exec_lo
	s_delay_alu instid0(VALU_DEP_2) | instskip(NEXT) | instid1(VALU_DEP_1)
	v_and_b32_e32 v55, 0x7f, v13
	v_cmpx_ne_u32_e32 0x7f, v55
	s_cbranch_execz .LBB314_439
; %bb.436:                              ;   in Loop: Header=BB314_424 Depth=1
	v_and_b32_e32 v0, 7, v13
	v_lshrrev_b32_e32 v14, 3, v55
	s_mov_b32 s15, exec_lo
	v_cmpx_gt_u32_e32 8, v55
; %bb.437:                              ;   in Loop: Header=BB314_424 Depth=1
	s_delay_alu instid0(VALU_DEP_3) | instskip(NEXT) | instid1(VALU_DEP_1)
	v_clz_i32_u32_e32 v14, v0
	v_min_u32_e32 v14, 32, v14
	s_delay_alu instid0(VALU_DEP_1) | instskip(SKIP_1) | instid1(VALU_DEP_2)
	v_subrev_nc_u32_e32 v18, 28, v14
	v_sub_nc_u32_e32 v14, 29, v14
	v_lshlrev_b64 v[64:65], v18, v[0:1]
	s_delay_alu instid0(VALU_DEP_1)
	v_and_b32_e32 v0, 7, v64
; %bb.438:                              ;   in Loop: Header=BB314_424 Depth=1
	s_or_b32 exec_lo, exec_lo, s15
	v_lshlrev_b32_e32 v13, 8, v13
	v_lshl_add_u32 v14, v14, 10, 0x2000
	s_delay_alu instid0(VALU_DEP_1) | instskip(NEXT) | instid1(VALU_DEP_1)
	v_and_or_b32 v13, 0x8000, v13, v14
	v_lshl_or_b32 v0, v0, 7, v13
	s_delay_alu instid0(VALU_DEP_1)
	v_cvt_f32_f16_e32 v18, v0
.LBB314_439:                            ;   in Loop: Header=BB314_424 Depth=1
	s_or_b32 exec_lo, exec_lo, s13
.LBB314_440:                            ;   in Loop: Header=BB314_424 Depth=1
	s_delay_alu instid0(SALU_CYCLE_1)
	s_or_b32 exec_lo, exec_lo, s12
.LBB314_441:                            ;   in Loop: Header=BB314_424 Depth=1
	s_delay_alu instid0(SALU_CYCLE_1) | instskip(SKIP_3) | instid1(VALU_DEP_2)
	s_or_b32 exec_lo, exec_lo, s0
	v_lshrrev_b32_e32 v13, 16, v11
	v_mov_b32_e32 v64, 0
	s_mov_b32 s0, exec_lo
	v_dual_mov_b32 v55, 0 :: v_dual_and_b32 v0, 0xff, v13
	s_delay_alu instid0(VALU_DEP_1)
	v_cmpx_ne_u16_e32 0, v0
	s_cbranch_execz .LBB314_449
; %bb.442:                              ;   in Loop: Header=BB314_424 Depth=1
	v_bfrev_b32_e32 v55, 1
	s_mov_b32 s12, exec_lo
	v_cmpx_ne_u16_e32 0x80, v0
	s_cbranch_execz .LBB314_448
; %bb.443:                              ;   in Loop: Header=BB314_424 Depth=1
	v_bfe_u32 v65, v11, 16, 7
	v_mov_b32_e32 v55, 0x7fc02000
	s_mov_b32 s13, exec_lo
	s_delay_alu instid0(VALU_DEP_2)
	v_cmpx_ne_u32_e32 0x7f, v65
	s_cbranch_execz .LBB314_447
; %bb.444:                              ;   in Loop: Header=BB314_424 Depth=1
	v_and_b32_e32 v0, 7, v13
	v_lshrrev_b32_e32 v14, 3, v65
	s_mov_b32 s15, exec_lo
	v_cmpx_gt_u32_e32 8, v65
; %bb.445:                              ;   in Loop: Header=BB314_424 Depth=1
	s_delay_alu instid0(VALU_DEP_3) | instskip(NEXT) | instid1(VALU_DEP_1)
	v_clz_i32_u32_e32 v14, v0
	v_min_u32_e32 v14, 32, v14
	s_delay_alu instid0(VALU_DEP_1) | instskip(SKIP_1) | instid1(VALU_DEP_2)
	v_subrev_nc_u32_e32 v55, 28, v14
	v_sub_nc_u32_e32 v14, 29, v14
	v_lshlrev_b64 v[65:66], v55, v[0:1]
	s_delay_alu instid0(VALU_DEP_1)
	v_and_b32_e32 v0, 7, v65
; %bb.446:                              ;   in Loop: Header=BB314_424 Depth=1
	s_or_b32 exec_lo, exec_lo, s15
	v_lshlrev_b32_e32 v13, 8, v13
	v_lshl_add_u32 v14, v14, 10, 0x2000
	s_delay_alu instid0(VALU_DEP_1) | instskip(NEXT) | instid1(VALU_DEP_1)
	v_and_or_b32 v13, 0x8000, v13, v14
	v_lshl_or_b32 v0, v0, 7, v13
	s_delay_alu instid0(VALU_DEP_1)
	v_cvt_f32_f16_e32 v55, v0
.LBB314_447:                            ;   in Loop: Header=BB314_424 Depth=1
	s_or_b32 exec_lo, exec_lo, s13
.LBB314_448:                            ;   in Loop: Header=BB314_424 Depth=1
	s_delay_alu instid0(SALU_CYCLE_1)
	s_or_b32 exec_lo, exec_lo, s12
.LBB314_449:                            ;   in Loop: Header=BB314_424 Depth=1
	s_delay_alu instid0(SALU_CYCLE_1) | instskip(NEXT) | instid1(SALU_CYCLE_1)
	s_or_b32 exec_lo, exec_lo, s0
	s_mov_b32 s0, exec_lo
	v_cmpx_lt_u32_e32 0xffffff, v11
	s_cbranch_execz .LBB314_457
; %bb.450:                              ;   in Loop: Header=BB314_424 Depth=1
	v_lshrrev_b32_e32 v13, 24, v11
	v_bfrev_b32_e32 v64, 1
	s_mov_b32 s12, exec_lo
	s_delay_alu instid0(VALU_DEP_2)
	v_cmpx_ne_u32_e32 0x80, v13
	s_cbranch_execz .LBB314_456
; %bb.451:                              ;   in Loop: Header=BB314_424 Depth=1
	v_and_b32_e32 v65, 0x7f, v13
	v_mov_b32_e32 v64, 0x7fc02000
	s_mov_b32 s13, exec_lo
	s_delay_alu instid0(VALU_DEP_2)
	v_cmpx_ne_u32_e32 0x7f, v65
	s_cbranch_execz .LBB314_455
; %bb.452:                              ;   in Loop: Header=BB314_424 Depth=1
	v_and_b32_e32 v0, 7, v13
	v_lshrrev_b32_e32 v14, 3, v65
	s_mov_b32 s15, exec_lo
	v_cmpx_gt_u32_e32 8, v65
; %bb.453:                              ;   in Loop: Header=BB314_424 Depth=1
	s_delay_alu instid0(VALU_DEP_3) | instskip(NEXT) | instid1(VALU_DEP_1)
	v_clz_i32_u32_e32 v14, v0
	v_min_u32_e32 v14, 32, v14
	s_delay_alu instid0(VALU_DEP_1) | instskip(SKIP_1) | instid1(VALU_DEP_2)
	v_subrev_nc_u32_e32 v64, 28, v14
	v_sub_nc_u32_e32 v14, 29, v14
	v_lshlrev_b64 v[64:65], v64, v[0:1]
	s_delay_alu instid0(VALU_DEP_1)
	v_and_b32_e32 v0, 7, v64
; %bb.454:                              ;   in Loop: Header=BB314_424 Depth=1
	s_or_b32 exec_lo, exec_lo, s15
	v_lshlrev_b32_e32 v13, 8, v13
	v_lshl_add_u32 v14, v14, 10, 0x2000
	s_delay_alu instid0(VALU_DEP_1) | instskip(NEXT) | instid1(VALU_DEP_1)
	v_and_or_b32 v13, 0x8000, v13, v14
	v_lshl_or_b32 v0, v0, 7, v13
	s_delay_alu instid0(VALU_DEP_1)
	v_cvt_f32_f16_e32 v64, v0
.LBB314_455:                            ;   in Loop: Header=BB314_424 Depth=1
	s_or_b32 exec_lo, exec_lo, s13
.LBB314_456:                            ;   in Loop: Header=BB314_424 Depth=1
	s_delay_alu instid0(SALU_CYCLE_1)
	s_or_b32 exec_lo, exec_lo, s12
.LBB314_457:                            ;   in Loop: Header=BB314_424 Depth=1
	s_delay_alu instid0(SALU_CYCLE_1) | instskip(SKIP_3) | instid1(VALU_DEP_2)
	s_or_b32 exec_lo, exec_lo, s0
	v_dual_mov_b32 v65, 0 :: v_dual_and_b32 v14, 0xff, v12
	v_dual_mov_b32 v0, v12 :: v_dual_mov_b32 v13, 0
	s_mov_b32 s0, exec_lo
	v_cmpx_ne_u16_e32 0, v14
	s_cbranch_execz .LBB314_465
; %bb.458:                              ;   in Loop: Header=BB314_424 Depth=1
	v_bfrev_b32_e32 v13, 1
	s_mov_b32 s12, exec_lo
	v_cmpx_ne_u16_e32 0x80, v14
	s_cbranch_execz .LBB314_464
; %bb.459:                              ;   in Loop: Header=BB314_424 Depth=1
	v_and_b32_e32 v14, 0x7f, v12
	v_mov_b32_e32 v13, 0x7fc02000
	s_mov_b32 s13, exec_lo
	s_delay_alu instid0(VALU_DEP_2)
	v_cmpx_ne_u32_e32 0x7f, v14
	s_cbranch_execz .LBB314_463
; %bb.460:                              ;   in Loop: Header=BB314_424 Depth=1
	v_lshrrev_b32_e32 v66, 3, v14
	v_cmp_gt_u32_e32 vcc_lo, 8, v14
	v_dual_mov_b32 v14, v1 :: v_dual_mov_b32 v13, v0
	s_and_saveexec_b32 s15, vcc_lo
; %bb.461:                              ;   in Loop: Header=BB314_424 Depth=1
	v_and_b32_e32 v13, 7, v12
	s_delay_alu instid0(VALU_DEP_1) | instskip(NEXT) | instid1(VALU_DEP_1)
	v_clz_i32_u32_e32 v13, v13
	v_min_u32_e32 v66, 32, v13
	s_delay_alu instid0(VALU_DEP_1) | instskip(SKIP_1) | instid1(VALU_DEP_2)
	v_subrev_nc_u32_e32 v13, 28, v66
	v_sub_nc_u32_e32 v66, 29, v66
	v_lshlrev_b64 v[13:14], v13, v[0:1]
; %bb.462:                              ;   in Loop: Header=BB314_424 Depth=1
	s_or_b32 exec_lo, exec_lo, s15
	v_lshlrev_b32_e32 v14, 8, v12
	s_delay_alu instid0(VALU_DEP_3) | instskip(NEXT) | instid1(VALU_DEP_3)
	v_lshl_add_u32 v66, v66, 10, 0x2000
	v_lshlrev_b32_e32 v13, 7, v13
	s_delay_alu instid0(VALU_DEP_2) | instskip(NEXT) | instid1(VALU_DEP_1)
	v_and_or_b32 v14, 0x8000, v14, v66
	v_and_or_b32 v13, 0x380, v13, v14
	s_delay_alu instid0(VALU_DEP_1)
	v_cvt_f32_f16_e32 v13, v13
.LBB314_463:                            ;   in Loop: Header=BB314_424 Depth=1
	s_or_b32 exec_lo, exec_lo, s13
.LBB314_464:                            ;   in Loop: Header=BB314_424 Depth=1
	s_delay_alu instid0(SALU_CYCLE_1)
	s_or_b32 exec_lo, exec_lo, s12
.LBB314_465:                            ;   in Loop: Header=BB314_424 Depth=1
	s_delay_alu instid0(SALU_CYCLE_1) | instskip(SKIP_2) | instid1(VALU_DEP_1)
	s_or_b32 exec_lo, exec_lo, s0
	v_lshrrev_b16 v0, 8, v0
	s_mov_b32 s0, exec_lo
	v_cmpx_ne_u16_e32 0, v0
	s_cbranch_execz .LBB314_473
; %bb.466:                              ;   in Loop: Header=BB314_424 Depth=1
	v_bfrev_b32_e32 v65, 1
	s_mov_b32 s12, exec_lo
	v_cmpx_ne_u16_e32 0x80, v0
	s_cbranch_execz .LBB314_472
; %bb.467:                              ;   in Loop: Header=BB314_424 Depth=1
	v_and_b32_e32 v14, 0xffff, v0
	v_mov_b32_e32 v65, 0x7fc02000
	s_mov_b32 s13, exec_lo
	s_delay_alu instid0(VALU_DEP_2) | instskip(NEXT) | instid1(VALU_DEP_1)
	v_and_b32_e32 v66, 0x7f, v14
	v_cmpx_ne_u32_e32 0x7f, v66
	s_cbranch_execz .LBB314_471
; %bb.468:                              ;   in Loop: Header=BB314_424 Depth=1
	v_and_b32_e32 v0, 7, v14
	v_lshrrev_b32_e32 v65, 3, v66
	s_mov_b32 s15, exec_lo
	v_cmpx_gt_u32_e32 8, v66
; %bb.469:                              ;   in Loop: Header=BB314_424 Depth=1
	s_delay_alu instid0(VALU_DEP_3) | instskip(NEXT) | instid1(VALU_DEP_1)
	v_clz_i32_u32_e32 v65, v0
	v_min_u32_e32 v65, 32, v65
	s_delay_alu instid0(VALU_DEP_1) | instskip(SKIP_1) | instid1(VALU_DEP_2)
	v_subrev_nc_u32_e32 v66, 28, v65
	v_sub_nc_u32_e32 v65, 29, v65
	v_lshlrev_b64 v[66:67], v66, v[0:1]
	s_delay_alu instid0(VALU_DEP_1)
	v_and_b32_e32 v0, 7, v66
; %bb.470:                              ;   in Loop: Header=BB314_424 Depth=1
	s_or_b32 exec_lo, exec_lo, s15
	v_lshlrev_b32_e32 v14, 8, v14
	v_lshl_add_u32 v65, v65, 10, 0x2000
	s_delay_alu instid0(VALU_DEP_1) | instskip(NEXT) | instid1(VALU_DEP_1)
	v_and_or_b32 v14, 0x8000, v14, v65
	v_lshl_or_b32 v0, v0, 7, v14
	s_delay_alu instid0(VALU_DEP_1)
	v_cvt_f32_f16_e32 v65, v0
.LBB314_471:                            ;   in Loop: Header=BB314_424 Depth=1
	s_or_b32 exec_lo, exec_lo, s13
.LBB314_472:                            ;   in Loop: Header=BB314_424 Depth=1
	s_delay_alu instid0(SALU_CYCLE_1)
	s_or_b32 exec_lo, exec_lo, s12
.LBB314_473:                            ;   in Loop: Header=BB314_424 Depth=1
	s_delay_alu instid0(SALU_CYCLE_1) | instskip(SKIP_4) | instid1(VALU_DEP_3)
	s_or_b32 exec_lo, exec_lo, s0
	v_lshrrev_b32_e32 v67, 16, v12
	v_mov_b32_e32 v66, 0
	v_mov_b32_e32 v14, 0
	s_mov_b32 s0, exec_lo
	v_and_b32_e32 v0, 0xff, v67
	s_delay_alu instid0(VALU_DEP_1)
	v_cmpx_ne_u16_e32 0, v0
	s_cbranch_execz .LBB314_481
; %bb.474:                              ;   in Loop: Header=BB314_424 Depth=1
	v_bfrev_b32_e32 v14, 1
	s_mov_b32 s12, exec_lo
	v_cmpx_ne_u16_e32 0x80, v0
	s_cbranch_execz .LBB314_480
; %bb.475:                              ;   in Loop: Header=BB314_424 Depth=1
	v_bfe_u32 v84, v12, 16, 7
	v_mov_b32_e32 v14, 0x7fc02000
	s_mov_b32 s13, exec_lo
	s_delay_alu instid0(VALU_DEP_2)
	v_cmpx_ne_u32_e32 0x7f, v84
	s_cbranch_execz .LBB314_479
; %bb.476:                              ;   in Loop: Header=BB314_424 Depth=1
	v_and_b32_e32 v0, 7, v67
	v_lshrrev_b32_e32 v14, 3, v84
	s_mov_b32 s15, exec_lo
	v_cmpx_gt_u32_e32 8, v84
; %bb.477:                              ;   in Loop: Header=BB314_424 Depth=1
	s_delay_alu instid0(VALU_DEP_3) | instskip(NEXT) | instid1(VALU_DEP_1)
	v_clz_i32_u32_e32 v14, v0
	v_min_u32_e32 v14, 32, v14
	s_delay_alu instid0(VALU_DEP_1) | instskip(SKIP_1) | instid1(VALU_DEP_2)
	v_subrev_nc_u32_e32 v84, 28, v14
	v_sub_nc_u32_e32 v14, 29, v14
	v_lshlrev_b64 v[84:85], v84, v[0:1]
	s_delay_alu instid0(VALU_DEP_1)
	v_and_b32_e32 v0, 7, v84
; %bb.478:                              ;   in Loop: Header=BB314_424 Depth=1
	s_or_b32 exec_lo, exec_lo, s15
	v_lshlrev_b32_e32 v67, 8, v67
	v_lshl_add_u32 v14, v14, 10, 0x2000
	s_delay_alu instid0(VALU_DEP_1) | instskip(NEXT) | instid1(VALU_DEP_1)
	v_and_or_b32 v14, 0x8000, v67, v14
	v_lshl_or_b32 v0, v0, 7, v14
	s_delay_alu instid0(VALU_DEP_1)
	v_cvt_f32_f16_e32 v14, v0
.LBB314_479:                            ;   in Loop: Header=BB314_424 Depth=1
	s_or_b32 exec_lo, exec_lo, s13
.LBB314_480:                            ;   in Loop: Header=BB314_424 Depth=1
	s_delay_alu instid0(SALU_CYCLE_1)
	s_or_b32 exec_lo, exec_lo, s12
.LBB314_481:                            ;   in Loop: Header=BB314_424 Depth=1
	s_delay_alu instid0(SALU_CYCLE_1) | instskip(NEXT) | instid1(SALU_CYCLE_1)
	s_or_b32 exec_lo, exec_lo, s0
	s_mov_b32 s0, exec_lo
	v_cmpx_lt_u64_e64 s[8:9], v[11:12]
	s_cbranch_execz .LBB314_489
; %bb.482:                              ;   in Loop: Header=BB314_424 Depth=1
	v_lshrrev_b32_e32 v11, 24, v12
	v_bfrev_b32_e32 v66, 1
	s_mov_b32 s12, exec_lo
	s_delay_alu instid0(VALU_DEP_2)
	v_cmpx_ne_u32_e32 0x80, v11
	s_cbranch_execz .LBB314_488
; %bb.483:                              ;   in Loop: Header=BB314_424 Depth=1
	v_and_b32_e32 v67, 0x7f, v11
	v_mov_b32_e32 v66, 0x7fc02000
	s_mov_b32 s13, exec_lo
	s_delay_alu instid0(VALU_DEP_2)
	v_cmpx_ne_u32_e32 0x7f, v67
	s_cbranch_execz .LBB314_487
; %bb.484:                              ;   in Loop: Header=BB314_424 Depth=1
	v_and_b32_e32 v0, 7, v11
	v_lshrrev_b32_e32 v12, 3, v67
	s_mov_b32 s15, exec_lo
	v_cmpx_gt_u32_e32 8, v67
; %bb.485:                              ;   in Loop: Header=BB314_424 Depth=1
	s_delay_alu instid0(VALU_DEP_3) | instskip(NEXT) | instid1(VALU_DEP_1)
	v_clz_i32_u32_e32 v12, v0
	v_min_u32_e32 v12, 32, v12
	s_delay_alu instid0(VALU_DEP_1) | instskip(SKIP_1) | instid1(VALU_DEP_2)
	v_subrev_nc_u32_e32 v66, 28, v12
	v_sub_nc_u32_e32 v12, 29, v12
	v_lshlrev_b64 v[66:67], v66, v[0:1]
	s_delay_alu instid0(VALU_DEP_1)
	v_and_b32_e32 v0, 7, v66
; %bb.486:                              ;   in Loop: Header=BB314_424 Depth=1
	s_or_b32 exec_lo, exec_lo, s15
	v_lshlrev_b32_e32 v11, 8, v11
	v_lshl_add_u32 v12, v12, 10, 0x2000
	s_delay_alu instid0(VALU_DEP_1) | instskip(NEXT) | instid1(VALU_DEP_1)
	v_and_or_b32 v11, 0x8000, v11, v12
	v_lshl_or_b32 v0, v0, 7, v11
	s_delay_alu instid0(VALU_DEP_1)
	v_cvt_f32_f16_e32 v66, v0
.LBB314_487:                            ;   in Loop: Header=BB314_424 Depth=1
	s_or_b32 exec_lo, exec_lo, s13
.LBB314_488:                            ;   in Loop: Header=BB314_424 Depth=1
	s_delay_alu instid0(SALU_CYCLE_1)
	s_or_b32 exec_lo, exec_lo, s12
.LBB314_489:                            ;   in Loop: Header=BB314_424 Depth=1
	s_delay_alu instid0(SALU_CYCLE_1)
	s_or_b32 exec_lo, exec_lo, s0
	s_waitcnt vmcnt(0) lgkmcnt(0)
	v_fma_mixlo_f16 v12, v19, v18, 0
	v_fma_mixlo_f16 v0, v19, v64, 0
	;; [unrolled: 1-line block ×5, first 2 shown]
	v_lshlrev_b32_e32 v55, 16, v12
	v_fma_mixlo_f16 v12, v19, v54, 0
	v_fma_mixlo_f16 v54, v19, v65, 0
	;; [unrolled: 1-line block ×3, first 2 shown]
	v_add_nc_u32_e32 v18, v53, v23
	v_lshlrev_b32_e32 v0, 16, v0
	v_and_b32_e32 v11, 0xffff, v11
	v_and_b32_e32 v14, 0xffff, v12
	v_lshlrev_b32_e32 v19, 16, v54
	v_and_b32_e32 v54, 0xffff, v64
	v_lshlrev_b32_e32 v64, 16, v65
	v_and_b32_e32 v65, 0xffff, v13
	v_cmp_eq_u32_e32 vcc_lo, v52, v16
	v_or_b32_e32 v12, v0, v11
	v_or_b32_e32 v14, v55, v14
	;; [unrolled: 1-line block ×4, first 2 shown]
	v_add_nc_u32_e32 v67, 1, v18
	v_or_b32_e32 v66, 3, v18
	v_or_b32_e32 v65, 2, v18
	;; [unrolled: 1-line block ×6, first 2 shown]
	s_and_saveexec_b32 s12, vcc_lo
	s_cbranch_execz .LBB314_491
; %bb.490:                              ;   in Loop: Header=BB314_424 Depth=1
	v_cmp_lt_i32_e64 s0, v18, v35
	v_lshrrev_b32_e32 v84, 16, v14
	v_lshrrev_b32_e32 v85, 16, v12
	v_lshrrev_b32_e32 v86, 16, v0
	v_lshrrev_b32_e32 v11, 16, v11
	v_cndmask_b32_e64 v14, 0, v14, s0
	v_cmp_lt_i32_e64 s0, v67, v51
	s_delay_alu instid0(VALU_DEP_1) | instskip(SKIP_1) | instid1(VALU_DEP_2)
	v_cndmask_b32_e64 v84, 0, v84, s0
	v_cmp_lt_i32_e64 s0, v66, v51
	v_perm_b32 v14, v84, v14, 0x5040100
	s_delay_alu instid0(VALU_DEP_2) | instskip(SKIP_1) | instid1(VALU_DEP_1)
	v_cndmask_b32_e64 v85, 0, v85, s0
	v_cmp_lt_i32_e64 s0, v65, v35
	v_cndmask_b32_e64 v12, 0, v12, s0
	v_cmp_lt_i32_e64 s0, v64, v51
	s_delay_alu instid0(VALU_DEP_2) | instskip(NEXT) | instid1(VALU_DEP_2)
	v_perm_b32 v12, v85, v12, 0x5040100
	v_cndmask_b32_e64 v86, 0, v86, s0
	v_cmp_lt_i32_e64 s0, v55, v35
	s_delay_alu instid0(VALU_DEP_1) | instskip(SKIP_1) | instid1(VALU_DEP_2)
	v_cndmask_b32_e64 v0, 0, v0, s0
	v_cmp_lt_i32_e64 s0, v54, v51
	v_perm_b32 v0, v86, v0, 0x5040100
	s_delay_alu instid0(VALU_DEP_2) | instskip(SKIP_1) | instid1(VALU_DEP_1)
	v_cndmask_b32_e64 v11, 0, v11, s0
	v_cmp_lt_i32_e64 s0, v19, v35
	v_cndmask_b32_e64 v13, 0, v13, s0
	s_delay_alu instid0(VALU_DEP_1)
	v_perm_b32 v11, v11, v13, 0x5040100
.LBB314_491:                            ;   in Loop: Header=BB314_424 Depth=1
	s_or_b32 exec_lo, exec_lo, s12
	v_and_b32_e32 v13, 0xffff, v68
	v_and_b32_e32 v68, 0xffff, v80
	;; [unrolled: 1-line block ×4, first 2 shown]
	s_mov_b32 s12, exec_lo
	s_delay_alu instid0(VALU_DEP_3) | instskip(NEXT) | instid1(VALU_DEP_3)
	v_lshl_or_b32 v80, v70, 16, v68
	v_lshl_or_b32 v71, v71, 16, v84
	v_mov_b32_e32 v84, 0
	v_lshl_or_b32 v81, v69, 16, v13
	;;#ASMSTART
	v_pk_mul_f16 v13, v81, v14;

	;;#ASMEND
	;;#ASMSTART
	v_pk_mul_f16 v12, v80, v12;

	;;#ASMEND
	;;#ASMSTART
	v_pk_mul_f16 v0, v71, v0;

	;;#ASMEND
	v_lshl_or_b32 v70, v82, 16, v83
	v_mov_b32_e32 v83, 0
	;;#ASMSTART
	v_pk_mul_f16 v11, v70, v11;

	;;#ASMEND
	;;#ASMSTART
	v_pk_add_f16 v12, v13, v12;

	;;#ASMEND
	;;#ASMSTART
	v_pk_add_f16 v0, v12, v0;
	;; [unrolled: 4-line block ×3, first 2 shown]

	;;#ASMEND
	v_and_b32_e32 v11, 0xffff, v0
	v_lshrrev_b32_e32 v0, 16, v0
	;;#ASMSTART
	v_cvt_f32_f16 v68, v11;
	;;#ASMEND
	;;#ASMSTART
	v_cvt_f32_f16 v69, v0;
	;;#ASMEND
	flat_load_b64 v[11:12], v[9:10] offset:256
	flat_load_b32 v82, v[26:27]
	s_waitcnt vmcnt(1) lgkmcnt(1)
	v_and_b32_e32 v0, 0xff, v11
	s_delay_alu instid0(VALU_DEP_1)
	v_cmpx_ne_u16_e32 0, v0
	s_cbranch_execz .LBB314_499
; %bb.492:                              ;   in Loop: Header=BB314_424 Depth=1
	v_bfrev_b32_e32 v83, 1
	s_mov_b32 s13, exec_lo
	v_cmpx_ne_u16_e32 0x80, v0
	s_cbranch_execz .LBB314_498
; %bb.493:                              ;   in Loop: Header=BB314_424 Depth=1
	v_and_b32_e32 v13, 0x7f, v11
	v_mov_b32_e32 v83, 0x7fc02000
	s_mov_b32 s15, exec_lo
	s_delay_alu instid0(VALU_DEP_2)
	v_cmpx_ne_u32_e32 0x7f, v13
	s_cbranch_execz .LBB314_497
; %bb.494:                              ;   in Loop: Header=BB314_424 Depth=1
	v_lshrrev_b32_e32 v0, 3, v13
	v_cmp_gt_u32_e64 s0, 8, v13
	v_dual_mov_b32 v14, v12 :: v_dual_mov_b32 v13, v11
	s_delay_alu instid0(VALU_DEP_2)
	s_and_saveexec_b32 s16, s0
; %bb.495:                              ;   in Loop: Header=BB314_424 Depth=1
	v_and_b32_e32 v0, 7, v11
	s_delay_alu instid0(VALU_DEP_1) | instskip(NEXT) | instid1(VALU_DEP_1)
	v_clz_i32_u32_e32 v0, v0
	v_min_u32_e32 v0, 32, v0
	s_delay_alu instid0(VALU_DEP_1) | instskip(SKIP_1) | instid1(VALU_DEP_2)
	v_subrev_nc_u32_e32 v13, 28, v0
	v_sub_nc_u32_e32 v0, 29, v0
	v_lshlrev_b64 v[13:14], v13, v[11:12]
; %bb.496:                              ;   in Loop: Header=BB314_424 Depth=1
	s_or_b32 exec_lo, exec_lo, s16
	v_lshlrev_b32_e32 v14, 8, v11
	s_delay_alu instid0(VALU_DEP_3) | instskip(NEXT) | instid1(VALU_DEP_3)
	v_lshl_add_u32 v0, v0, 10, 0x2000
	v_lshlrev_b32_e32 v13, 7, v13
	s_delay_alu instid0(VALU_DEP_2) | instskip(NEXT) | instid1(VALU_DEP_1)
	v_and_or_b32 v0, 0x8000, v14, v0
	v_and_or_b32 v0, 0x380, v13, v0
	s_delay_alu instid0(VALU_DEP_1)
	v_cvt_f32_f16_e32 v83, v0
.LBB314_497:                            ;   in Loop: Header=BB314_424 Depth=1
	s_or_b32 exec_lo, exec_lo, s15
.LBB314_498:                            ;   in Loop: Header=BB314_424 Depth=1
	s_delay_alu instid0(SALU_CYCLE_1)
	s_or_b32 exec_lo, exec_lo, s13
.LBB314_499:                            ;   in Loop: Header=BB314_424 Depth=1
	s_delay_alu instid0(SALU_CYCLE_1) | instskip(SKIP_2) | instid1(VALU_DEP_1)
	s_or_b32 exec_lo, exec_lo, s12
	v_lshrrev_b16 v0, 8, v11
	s_mov_b32 s12, exec_lo
	v_cmpx_ne_u16_e32 0, v0
	s_cbranch_execz .LBB314_507
; %bb.500:                              ;   in Loop: Header=BB314_424 Depth=1
	v_bfrev_b32_e32 v84, 1
	s_mov_b32 s13, exec_lo
	v_cmpx_ne_u16_e32 0x80, v0
	s_cbranch_execz .LBB314_506
; %bb.501:                              ;   in Loop: Header=BB314_424 Depth=1
	v_and_b32_e32 v13, 0xffff, v0
	v_mov_b32_e32 v84, 0x7fc02000
	s_mov_b32 s15, exec_lo
	s_delay_alu instid0(VALU_DEP_2) | instskip(NEXT) | instid1(VALU_DEP_1)
	v_and_b32_e32 v85, 0x7f, v13
	v_cmpx_ne_u32_e32 0x7f, v85
	s_cbranch_execz .LBB314_505
; %bb.502:                              ;   in Loop: Header=BB314_424 Depth=1
	v_and_b32_e32 v0, 7, v13
	v_lshrrev_b32_e32 v14, 3, v85
	s_mov_b32 s16, exec_lo
	v_cmpx_gt_u32_e32 8, v85
; %bb.503:                              ;   in Loop: Header=BB314_424 Depth=1
	s_delay_alu instid0(VALU_DEP_3) | instskip(NEXT) | instid1(VALU_DEP_1)
	v_clz_i32_u32_e32 v14, v0
	v_min_u32_e32 v14, 32, v14
	s_delay_alu instid0(VALU_DEP_1) | instskip(SKIP_1) | instid1(VALU_DEP_2)
	v_subrev_nc_u32_e32 v84, 28, v14
	v_sub_nc_u32_e32 v14, 29, v14
	v_lshlrev_b64 v[84:85], v84, v[0:1]
	s_delay_alu instid0(VALU_DEP_1)
	v_and_b32_e32 v0, 7, v84
; %bb.504:                              ;   in Loop: Header=BB314_424 Depth=1
	s_or_b32 exec_lo, exec_lo, s16
	v_lshlrev_b32_e32 v13, 8, v13
	v_lshl_add_u32 v14, v14, 10, 0x2000
	s_delay_alu instid0(VALU_DEP_1) | instskip(NEXT) | instid1(VALU_DEP_1)
	v_and_or_b32 v13, 0x8000, v13, v14
	v_lshl_or_b32 v0, v0, 7, v13
	s_delay_alu instid0(VALU_DEP_1)
	v_cvt_f32_f16_e32 v84, v0
.LBB314_505:                            ;   in Loop: Header=BB314_424 Depth=1
	s_or_b32 exec_lo, exec_lo, s15
.LBB314_506:                            ;   in Loop: Header=BB314_424 Depth=1
	s_delay_alu instid0(SALU_CYCLE_1)
	s_or_b32 exec_lo, exec_lo, s13
.LBB314_507:                            ;   in Loop: Header=BB314_424 Depth=1
	s_delay_alu instid0(SALU_CYCLE_1) | instskip(SKIP_3) | instid1(VALU_DEP_2)
	s_or_b32 exec_lo, exec_lo, s12
	v_lshrrev_b32_e32 v13, 16, v11
	v_mov_b32_e32 v86, 0
	s_mov_b32 s12, exec_lo
	v_dual_mov_b32 v85, 0 :: v_dual_and_b32 v0, 0xff, v13
	s_delay_alu instid0(VALU_DEP_1)
	v_cmpx_ne_u16_e32 0, v0
	s_cbranch_execz .LBB314_515
; %bb.508:                              ;   in Loop: Header=BB314_424 Depth=1
	v_bfrev_b32_e32 v85, 1
	s_mov_b32 s13, exec_lo
	v_cmpx_ne_u16_e32 0x80, v0
	s_cbranch_execz .LBB314_514
; %bb.509:                              ;   in Loop: Header=BB314_424 Depth=1
	v_bfe_u32 v87, v11, 16, 7
	v_mov_b32_e32 v85, 0x7fc02000
	s_mov_b32 s15, exec_lo
	s_delay_alu instid0(VALU_DEP_2)
	v_cmpx_ne_u32_e32 0x7f, v87
	s_cbranch_execz .LBB314_513
; %bb.510:                              ;   in Loop: Header=BB314_424 Depth=1
	v_and_b32_e32 v0, 7, v13
	v_lshrrev_b32_e32 v14, 3, v87
	s_mov_b32 s16, exec_lo
	v_cmpx_gt_u32_e32 8, v87
; %bb.511:                              ;   in Loop: Header=BB314_424 Depth=1
	s_delay_alu instid0(VALU_DEP_3) | instskip(NEXT) | instid1(VALU_DEP_1)
	v_clz_i32_u32_e32 v14, v0
	v_min_u32_e32 v14, 32, v14
	s_delay_alu instid0(VALU_DEP_1) | instskip(SKIP_1) | instid1(VALU_DEP_2)
	v_subrev_nc_u32_e32 v85, 28, v14
	v_sub_nc_u32_e32 v14, 29, v14
	v_lshlrev_b64 v[96:97], v85, v[0:1]
	s_delay_alu instid0(VALU_DEP_1)
	v_and_b32_e32 v0, 7, v96
; %bb.512:                              ;   in Loop: Header=BB314_424 Depth=1
	s_or_b32 exec_lo, exec_lo, s16
	v_lshlrev_b32_e32 v13, 8, v13
	v_lshl_add_u32 v14, v14, 10, 0x2000
	s_delay_alu instid0(VALU_DEP_1) | instskip(NEXT) | instid1(VALU_DEP_1)
	v_and_or_b32 v13, 0x8000, v13, v14
	v_lshl_or_b32 v0, v0, 7, v13
	s_delay_alu instid0(VALU_DEP_1)
	v_cvt_f32_f16_e32 v85, v0
.LBB314_513:                            ;   in Loop: Header=BB314_424 Depth=1
	s_or_b32 exec_lo, exec_lo, s15
.LBB314_514:                            ;   in Loop: Header=BB314_424 Depth=1
	s_delay_alu instid0(SALU_CYCLE_1)
	s_or_b32 exec_lo, exec_lo, s13
.LBB314_515:                            ;   in Loop: Header=BB314_424 Depth=1
	s_delay_alu instid0(SALU_CYCLE_1) | instskip(NEXT) | instid1(SALU_CYCLE_1)
	s_or_b32 exec_lo, exec_lo, s12
	s_mov_b32 s12, exec_lo
	v_cmpx_lt_u32_e32 0xffffff, v11
	s_cbranch_execz .LBB314_523
; %bb.516:                              ;   in Loop: Header=BB314_424 Depth=1
	v_lshrrev_b32_e32 v13, 24, v11
	v_bfrev_b32_e32 v86, 1
	s_mov_b32 s13, exec_lo
	s_delay_alu instid0(VALU_DEP_2)
	v_cmpx_ne_u32_e32 0x80, v13
	s_cbranch_execz .LBB314_522
; %bb.517:                              ;   in Loop: Header=BB314_424 Depth=1
	v_and_b32_e32 v87, 0x7f, v13
	v_mov_b32_e32 v86, 0x7fc02000
	s_mov_b32 s15, exec_lo
	s_delay_alu instid0(VALU_DEP_2)
	v_cmpx_ne_u32_e32 0x7f, v87
	s_cbranch_execz .LBB314_521
; %bb.518:                              ;   in Loop: Header=BB314_424 Depth=1
	v_and_b32_e32 v0, 7, v13
	v_lshrrev_b32_e32 v14, 3, v87
	s_mov_b32 s16, exec_lo
	v_cmpx_gt_u32_e32 8, v87
; %bb.519:                              ;   in Loop: Header=BB314_424 Depth=1
	s_delay_alu instid0(VALU_DEP_3) | instskip(NEXT) | instid1(VALU_DEP_1)
	v_clz_i32_u32_e32 v14, v0
	v_min_u32_e32 v14, 32, v14
	s_delay_alu instid0(VALU_DEP_1) | instskip(SKIP_1) | instid1(VALU_DEP_2)
	v_subrev_nc_u32_e32 v86, 28, v14
	v_sub_nc_u32_e32 v14, 29, v14
	v_lshlrev_b64 v[86:87], v86, v[0:1]
	s_delay_alu instid0(VALU_DEP_1)
	v_and_b32_e32 v0, 7, v86
; %bb.520:                              ;   in Loop: Header=BB314_424 Depth=1
	s_or_b32 exec_lo, exec_lo, s16
	v_lshlrev_b32_e32 v13, 8, v13
	v_lshl_add_u32 v14, v14, 10, 0x2000
	s_delay_alu instid0(VALU_DEP_1) | instskip(NEXT) | instid1(VALU_DEP_1)
	v_and_or_b32 v13, 0x8000, v13, v14
	v_lshl_or_b32 v0, v0, 7, v13
	s_delay_alu instid0(VALU_DEP_1)
	v_cvt_f32_f16_e32 v86, v0
.LBB314_521:                            ;   in Loop: Header=BB314_424 Depth=1
	s_or_b32 exec_lo, exec_lo, s15
.LBB314_522:                            ;   in Loop: Header=BB314_424 Depth=1
	s_delay_alu instid0(SALU_CYCLE_1)
	s_or_b32 exec_lo, exec_lo, s13
.LBB314_523:                            ;   in Loop: Header=BB314_424 Depth=1
	s_delay_alu instid0(SALU_CYCLE_1) | instskip(SKIP_3) | instid1(VALU_DEP_2)
	s_or_b32 exec_lo, exec_lo, s12
	v_dual_mov_b32 v87, 0 :: v_dual_and_b32 v14, 0xff, v12
	v_dual_mov_b32 v0, v12 :: v_dual_mov_b32 v13, 0
	s_mov_b32 s12, exec_lo
	v_cmpx_ne_u16_e32 0, v14
	s_cbranch_execz .LBB314_531
; %bb.524:                              ;   in Loop: Header=BB314_424 Depth=1
	v_bfrev_b32_e32 v13, 1
	s_mov_b32 s13, exec_lo
	v_cmpx_ne_u16_e32 0x80, v14
	s_cbranch_execz .LBB314_530
; %bb.525:                              ;   in Loop: Header=BB314_424 Depth=1
	v_and_b32_e32 v14, 0x7f, v12
	v_mov_b32_e32 v13, 0x7fc02000
	s_mov_b32 s15, exec_lo
	s_delay_alu instid0(VALU_DEP_2)
	v_cmpx_ne_u32_e32 0x7f, v14
	s_cbranch_execz .LBB314_529
; %bb.526:                              ;   in Loop: Header=BB314_424 Depth=1
	v_lshrrev_b32_e32 v96, 3, v14
	v_cmp_gt_u32_e64 s0, 8, v14
	v_dual_mov_b32 v14, v1 :: v_dual_mov_b32 v13, v0
	s_delay_alu instid0(VALU_DEP_2)
	s_and_saveexec_b32 s16, s0
; %bb.527:                              ;   in Loop: Header=BB314_424 Depth=1
	v_and_b32_e32 v13, 7, v12
	s_delay_alu instid0(VALU_DEP_1) | instskip(NEXT) | instid1(VALU_DEP_1)
	v_clz_i32_u32_e32 v13, v13
	v_min_u32_e32 v96, 32, v13
	s_delay_alu instid0(VALU_DEP_1) | instskip(SKIP_1) | instid1(VALU_DEP_2)
	v_subrev_nc_u32_e32 v13, 28, v96
	v_sub_nc_u32_e32 v96, 29, v96
	v_lshlrev_b64 v[13:14], v13, v[0:1]
; %bb.528:                              ;   in Loop: Header=BB314_424 Depth=1
	s_or_b32 exec_lo, exec_lo, s16
	v_lshlrev_b32_e32 v14, 8, v12
	s_delay_alu instid0(VALU_DEP_3) | instskip(NEXT) | instid1(VALU_DEP_3)
	v_lshl_add_u32 v96, v96, 10, 0x2000
	v_lshlrev_b32_e32 v13, 7, v13
	s_delay_alu instid0(VALU_DEP_2) | instskip(NEXT) | instid1(VALU_DEP_1)
	v_and_or_b32 v14, 0x8000, v14, v96
	v_and_or_b32 v13, 0x380, v13, v14
	s_delay_alu instid0(VALU_DEP_1)
	v_cvt_f32_f16_e32 v13, v13
.LBB314_529:                            ;   in Loop: Header=BB314_424 Depth=1
	s_or_b32 exec_lo, exec_lo, s15
.LBB314_530:                            ;   in Loop: Header=BB314_424 Depth=1
	s_delay_alu instid0(SALU_CYCLE_1)
	s_or_b32 exec_lo, exec_lo, s13
.LBB314_531:                            ;   in Loop: Header=BB314_424 Depth=1
	s_delay_alu instid0(SALU_CYCLE_1) | instskip(SKIP_2) | instid1(VALU_DEP_1)
	s_or_b32 exec_lo, exec_lo, s12
	v_lshrrev_b16 v0, 8, v0
	s_mov_b32 s12, exec_lo
	v_cmpx_ne_u16_e32 0, v0
	s_cbranch_execz .LBB314_539
; %bb.532:                              ;   in Loop: Header=BB314_424 Depth=1
	v_bfrev_b32_e32 v87, 1
	s_mov_b32 s13, exec_lo
	v_cmpx_ne_u16_e32 0x80, v0
	s_cbranch_execz .LBB314_538
; %bb.533:                              ;   in Loop: Header=BB314_424 Depth=1
	v_and_b32_e32 v14, 0xffff, v0
	v_mov_b32_e32 v87, 0x7fc02000
	s_mov_b32 s15, exec_lo
	s_delay_alu instid0(VALU_DEP_2) | instskip(NEXT) | instid1(VALU_DEP_1)
	v_and_b32_e32 v96, 0x7f, v14
	v_cmpx_ne_u32_e32 0x7f, v96
	s_cbranch_execz .LBB314_537
; %bb.534:                              ;   in Loop: Header=BB314_424 Depth=1
	v_and_b32_e32 v0, 7, v14
	v_lshrrev_b32_e32 v87, 3, v96
	s_mov_b32 s16, exec_lo
	v_cmpx_gt_u32_e32 8, v96
; %bb.535:                              ;   in Loop: Header=BB314_424 Depth=1
	s_delay_alu instid0(VALU_DEP_3) | instskip(NEXT) | instid1(VALU_DEP_1)
	v_clz_i32_u32_e32 v87, v0
	v_min_u32_e32 v87, 32, v87
	s_delay_alu instid0(VALU_DEP_1) | instskip(SKIP_1) | instid1(VALU_DEP_2)
	v_subrev_nc_u32_e32 v96, 28, v87
	v_sub_nc_u32_e32 v87, 29, v87
	v_lshlrev_b64 v[96:97], v96, v[0:1]
	s_delay_alu instid0(VALU_DEP_1)
	v_and_b32_e32 v0, 7, v96
; %bb.536:                              ;   in Loop: Header=BB314_424 Depth=1
	s_or_b32 exec_lo, exec_lo, s16
	v_lshlrev_b32_e32 v14, 8, v14
	v_lshl_add_u32 v87, v87, 10, 0x2000
	s_delay_alu instid0(VALU_DEP_1) | instskip(NEXT) | instid1(VALU_DEP_1)
	v_and_or_b32 v14, 0x8000, v14, v87
	v_lshl_or_b32 v0, v0, 7, v14
	s_delay_alu instid0(VALU_DEP_1)
	v_cvt_f32_f16_e32 v87, v0
.LBB314_537:                            ;   in Loop: Header=BB314_424 Depth=1
	s_or_b32 exec_lo, exec_lo, s15
.LBB314_538:                            ;   in Loop: Header=BB314_424 Depth=1
	s_delay_alu instid0(SALU_CYCLE_1)
	s_or_b32 exec_lo, exec_lo, s13
.LBB314_539:                            ;   in Loop: Header=BB314_424 Depth=1
	s_delay_alu instid0(SALU_CYCLE_1) | instskip(SKIP_4) | instid1(VALU_DEP_3)
	s_or_b32 exec_lo, exec_lo, s12
	v_lshrrev_b32_e32 v97, 16, v12
	v_mov_b32_e32 v96, 0
	v_mov_b32_e32 v14, 0
	s_mov_b32 s12, exec_lo
	v_and_b32_e32 v0, 0xff, v97
	s_delay_alu instid0(VALU_DEP_1)
	v_cmpx_ne_u16_e32 0, v0
	s_cbranch_execz .LBB314_547
; %bb.540:                              ;   in Loop: Header=BB314_424 Depth=1
	v_bfrev_b32_e32 v14, 1
	s_mov_b32 s13, exec_lo
	v_cmpx_ne_u16_e32 0x80, v0
	s_cbranch_execz .LBB314_546
; %bb.541:                              ;   in Loop: Header=BB314_424 Depth=1
	v_bfe_u32 v98, v12, 16, 7
	v_mov_b32_e32 v14, 0x7fc02000
	s_mov_b32 s15, exec_lo
	s_delay_alu instid0(VALU_DEP_2)
	v_cmpx_ne_u32_e32 0x7f, v98
	s_cbranch_execz .LBB314_545
; %bb.542:                              ;   in Loop: Header=BB314_424 Depth=1
	v_and_b32_e32 v0, 7, v97
	v_lshrrev_b32_e32 v14, 3, v98
	s_mov_b32 s16, exec_lo
	v_cmpx_gt_u32_e32 8, v98
; %bb.543:                              ;   in Loop: Header=BB314_424 Depth=1
	s_delay_alu instid0(VALU_DEP_3) | instskip(NEXT) | instid1(VALU_DEP_1)
	v_clz_i32_u32_e32 v14, v0
	v_min_u32_e32 v14, 32, v14
	s_delay_alu instid0(VALU_DEP_1) | instskip(SKIP_1) | instid1(VALU_DEP_2)
	v_subrev_nc_u32_e32 v98, 28, v14
	v_sub_nc_u32_e32 v14, 29, v14
	v_lshlrev_b64 v[98:99], v98, v[0:1]
	s_delay_alu instid0(VALU_DEP_1)
	v_and_b32_e32 v0, 7, v98
; %bb.544:                              ;   in Loop: Header=BB314_424 Depth=1
	s_or_b32 exec_lo, exec_lo, s16
	v_lshlrev_b32_e32 v97, 8, v97
	v_lshl_add_u32 v14, v14, 10, 0x2000
	s_delay_alu instid0(VALU_DEP_1) | instskip(NEXT) | instid1(VALU_DEP_1)
	v_and_or_b32 v14, 0x8000, v97, v14
	v_lshl_or_b32 v0, v0, 7, v14
	s_delay_alu instid0(VALU_DEP_1)
	v_cvt_f32_f16_e32 v14, v0
.LBB314_545:                            ;   in Loop: Header=BB314_424 Depth=1
	s_or_b32 exec_lo, exec_lo, s15
.LBB314_546:                            ;   in Loop: Header=BB314_424 Depth=1
	s_delay_alu instid0(SALU_CYCLE_1)
	s_or_b32 exec_lo, exec_lo, s13
.LBB314_547:                            ;   in Loop: Header=BB314_424 Depth=1
	s_delay_alu instid0(SALU_CYCLE_1) | instskip(NEXT) | instid1(SALU_CYCLE_1)
	s_or_b32 exec_lo, exec_lo, s12
	s_mov_b32 s12, exec_lo
	v_cmpx_lt_u64_e64 s[8:9], v[11:12]
	s_cbranch_execz .LBB314_555
; %bb.548:                              ;   in Loop: Header=BB314_424 Depth=1
	v_lshrrev_b32_e32 v11, 24, v12
	v_bfrev_b32_e32 v96, 1
	s_mov_b32 s13, exec_lo
	s_delay_alu instid0(VALU_DEP_2)
	v_cmpx_ne_u32_e32 0x80, v11
	s_cbranch_execz .LBB314_554
; %bb.549:                              ;   in Loop: Header=BB314_424 Depth=1
	v_and_b32_e32 v97, 0x7f, v11
	v_mov_b32_e32 v96, 0x7fc02000
	s_mov_b32 s15, exec_lo
	s_delay_alu instid0(VALU_DEP_2)
	v_cmpx_ne_u32_e32 0x7f, v97
	s_cbranch_execz .LBB314_553
; %bb.550:                              ;   in Loop: Header=BB314_424 Depth=1
	v_and_b32_e32 v0, 7, v11
	v_lshrrev_b32_e32 v12, 3, v97
	s_mov_b32 s16, exec_lo
	v_cmpx_gt_u32_e32 8, v97
; %bb.551:                              ;   in Loop: Header=BB314_424 Depth=1
	s_delay_alu instid0(VALU_DEP_3) | instskip(NEXT) | instid1(VALU_DEP_1)
	v_clz_i32_u32_e32 v12, v0
	v_min_u32_e32 v12, 32, v12
	s_delay_alu instid0(VALU_DEP_1) | instskip(SKIP_1) | instid1(VALU_DEP_2)
	v_subrev_nc_u32_e32 v96, 28, v12
	v_sub_nc_u32_e32 v12, 29, v12
	v_lshlrev_b64 v[96:97], v96, v[0:1]
	s_delay_alu instid0(VALU_DEP_1)
	v_and_b32_e32 v0, 7, v96
; %bb.552:                              ;   in Loop: Header=BB314_424 Depth=1
	s_or_b32 exec_lo, exec_lo, s16
	v_lshlrev_b32_e32 v11, 8, v11
	v_lshl_add_u32 v12, v12, 10, 0x2000
	s_delay_alu instid0(VALU_DEP_1) | instskip(NEXT) | instid1(VALU_DEP_1)
	v_and_or_b32 v11, 0x8000, v11, v12
	v_lshl_or_b32 v0, v0, 7, v11
	s_delay_alu instid0(VALU_DEP_1)
	v_cvt_f32_f16_e32 v96, v0
.LBB314_553:                            ;   in Loop: Header=BB314_424 Depth=1
	s_or_b32 exec_lo, exec_lo, s15
.LBB314_554:                            ;   in Loop: Header=BB314_424 Depth=1
	s_delay_alu instid0(SALU_CYCLE_1)
	s_or_b32 exec_lo, exec_lo, s13
.LBB314_555:                            ;   in Loop: Header=BB314_424 Depth=1
	s_delay_alu instid0(SALU_CYCLE_1)
	s_or_b32 exec_lo, exec_lo, s12
	s_waitcnt vmcnt(0) lgkmcnt(0)
	v_fma_mixlo_f16 v12, v82, v84, 0
	v_fma_mixlo_f16 v0, v82, v86, 0
	;; [unrolled: 1-line block ×5, first 2 shown]
	v_lshlrev_b32_e32 v84, 16, v12
	v_fma_mixlo_f16 v13, v82, v13, 0
	v_fma_mixlo_f16 v86, v82, v96, 0
	;; [unrolled: 1-line block ×3, first 2 shown]
	v_lshlrev_b32_e32 v0, 16, v0
	v_and_b32_e32 v11, 0xffff, v11
	v_and_b32_e32 v14, 0xffff, v83
	v_lshlrev_b32_e32 v82, 16, v85
	v_and_b32_e32 v83, 0xffff, v13
	v_lshlrev_b32_e32 v85, 16, v86
	v_and_b32_e32 v86, 0xffff, v12
	v_or_b32_e32 v13, v0, v11
	v_or_b32_e32 v14, v84, v14
	;; [unrolled: 1-line block ×3, first 2 shown]
	s_delay_alu instid0(VALU_DEP_4)
	v_or_b32_e32 v11, v85, v86
	s_and_saveexec_b32 s12, vcc_lo
	s_cbranch_execz .LBB314_557
; %bb.556:                              ;   in Loop: Header=BB314_424 Depth=1
	v_cmp_lt_i32_e64 s0, v18, v35
	v_lshrrev_b32_e32 v82, 16, v14
	v_lshrrev_b32_e32 v83, 16, v13
	;; [unrolled: 1-line block ×4, first 2 shown]
	v_cndmask_b32_e64 v14, 0, v14, s0
	v_cmp_lt_i32_e64 s0, v67, v51
	s_delay_alu instid0(VALU_DEP_1) | instskip(SKIP_1) | instid1(VALU_DEP_2)
	v_cndmask_b32_e64 v82, 0, v82, s0
	v_cmp_lt_i32_e64 s0, v66, v51
	v_perm_b32 v14, v82, v14, 0x5040100
	s_delay_alu instid0(VALU_DEP_2) | instskip(SKIP_1) | instid1(VALU_DEP_1)
	v_cndmask_b32_e64 v83, 0, v83, s0
	v_cmp_lt_i32_e64 s0, v65, v35
	v_cndmask_b32_e64 v13, 0, v13, s0
	v_cmp_lt_i32_e64 s0, v64, v51
	s_delay_alu instid0(VALU_DEP_2) | instskip(NEXT) | instid1(VALU_DEP_2)
	v_perm_b32 v13, v83, v13, 0x5040100
	v_cndmask_b32_e64 v84, 0, v84, s0
	v_cmp_lt_i32_e64 s0, v55, v35
	s_delay_alu instid0(VALU_DEP_1) | instskip(SKIP_1) | instid1(VALU_DEP_2)
	v_cndmask_b32_e64 v0, 0, v0, s0
	v_cmp_lt_i32_e64 s0, v54, v51
	v_perm_b32 v0, v84, v0, 0x5040100
	s_delay_alu instid0(VALU_DEP_2) | instskip(SKIP_1) | instid1(VALU_DEP_1)
	v_cndmask_b32_e64 v11, 0, v11, s0
	v_cmp_lt_i32_e64 s0, v19, v35
	v_cndmask_b32_e64 v12, 0, v12, s0
	s_delay_alu instid0(VALU_DEP_1)
	v_perm_b32 v11, v11, v12, 0x5040100
.LBB314_557:                            ;   in Loop: Header=BB314_424 Depth=1
	s_or_b32 exec_lo, exec_lo, s12
	;;#ASMSTART
	v_pk_mul_f16 v12, v81, v14;

	;;#ASMEND
	;;#ASMSTART
	v_pk_mul_f16 v13, v80, v13;

	;;#ASMEND
	;; [unrolled: 4-line block ×4, first 2 shown]
	;;#ASMSTART
	v_pk_add_f16 v12, v12, v13;

	;;#ASMEND
	;;#ASMSTART
	v_pk_add_f16 v0, v12, v0;

	;;#ASMEND
	;; [unrolled: 4-line block ×3, first 2 shown]
	v_dual_mov_b32 v86, 0 :: v_dual_and_b32 v11, 0xffff, v0
	v_lshrrev_b32_e32 v0, 16, v0
	;;#ASMSTART
	v_cvt_f32_f16 v82, v11;
	;;#ASMEND
	;;#ASMSTART
	v_cvt_f32_f16 v83, v0;
	;;#ASMEND
	flat_load_b64 v[11:12], v[9:10] offset:512
	flat_load_b32 v84, v[26:27]
	s_mov_b32 s12, exec_lo
	s_waitcnt vmcnt(1) lgkmcnt(1)
	v_dual_mov_b32 v85, 0 :: v_dual_and_b32 v0, 0xff, v11
	s_delay_alu instid0(VALU_DEP_1)
	v_cmpx_ne_u16_e32 0, v0
	s_cbranch_execz .LBB314_565
; %bb.558:                              ;   in Loop: Header=BB314_424 Depth=1
	v_bfrev_b32_e32 v85, 1
	s_mov_b32 s13, exec_lo
	v_cmpx_ne_u16_e32 0x80, v0
	s_cbranch_execz .LBB314_564
; %bb.559:                              ;   in Loop: Header=BB314_424 Depth=1
	v_and_b32_e32 v13, 0x7f, v11
	v_mov_b32_e32 v85, 0x7fc02000
	s_mov_b32 s15, exec_lo
	s_delay_alu instid0(VALU_DEP_2)
	v_cmpx_ne_u32_e32 0x7f, v13
	s_cbranch_execz .LBB314_563
; %bb.560:                              ;   in Loop: Header=BB314_424 Depth=1
	v_lshrrev_b32_e32 v0, 3, v13
	v_cmp_gt_u32_e64 s0, 8, v13
	v_dual_mov_b32 v14, v12 :: v_dual_mov_b32 v13, v11
	s_delay_alu instid0(VALU_DEP_2)
	s_and_saveexec_b32 s16, s0
; %bb.561:                              ;   in Loop: Header=BB314_424 Depth=1
	v_and_b32_e32 v0, 7, v11
	s_delay_alu instid0(VALU_DEP_1) | instskip(NEXT) | instid1(VALU_DEP_1)
	v_clz_i32_u32_e32 v0, v0
	v_min_u32_e32 v0, 32, v0
	s_delay_alu instid0(VALU_DEP_1) | instskip(SKIP_1) | instid1(VALU_DEP_2)
	v_subrev_nc_u32_e32 v13, 28, v0
	v_sub_nc_u32_e32 v0, 29, v0
	v_lshlrev_b64 v[13:14], v13, v[11:12]
; %bb.562:                              ;   in Loop: Header=BB314_424 Depth=1
	s_or_b32 exec_lo, exec_lo, s16
	v_lshlrev_b32_e32 v14, 8, v11
	s_delay_alu instid0(VALU_DEP_3) | instskip(NEXT) | instid1(VALU_DEP_3)
	v_lshl_add_u32 v0, v0, 10, 0x2000
	v_lshlrev_b32_e32 v13, 7, v13
	s_delay_alu instid0(VALU_DEP_2) | instskip(NEXT) | instid1(VALU_DEP_1)
	v_and_or_b32 v0, 0x8000, v14, v0
	v_and_or_b32 v0, 0x380, v13, v0
	s_delay_alu instid0(VALU_DEP_1)
	v_cvt_f32_f16_e32 v85, v0
.LBB314_563:                            ;   in Loop: Header=BB314_424 Depth=1
	s_or_b32 exec_lo, exec_lo, s15
.LBB314_564:                            ;   in Loop: Header=BB314_424 Depth=1
	s_delay_alu instid0(SALU_CYCLE_1)
	s_or_b32 exec_lo, exec_lo, s13
.LBB314_565:                            ;   in Loop: Header=BB314_424 Depth=1
	s_delay_alu instid0(SALU_CYCLE_1) | instskip(SKIP_2) | instid1(VALU_DEP_1)
	s_or_b32 exec_lo, exec_lo, s12
	v_lshrrev_b16 v0, 8, v11
	s_mov_b32 s12, exec_lo
	v_cmpx_ne_u16_e32 0, v0
	s_cbranch_execz .LBB314_573
; %bb.566:                              ;   in Loop: Header=BB314_424 Depth=1
	v_bfrev_b32_e32 v86, 1
	s_mov_b32 s13, exec_lo
	v_cmpx_ne_u16_e32 0x80, v0
	s_cbranch_execz .LBB314_572
; %bb.567:                              ;   in Loop: Header=BB314_424 Depth=1
	v_and_b32_e32 v13, 0xffff, v0
	v_mov_b32_e32 v86, 0x7fc02000
	s_mov_b32 s15, exec_lo
	s_delay_alu instid0(VALU_DEP_2) | instskip(NEXT) | instid1(VALU_DEP_1)
	v_and_b32_e32 v87, 0x7f, v13
	v_cmpx_ne_u32_e32 0x7f, v87
	s_cbranch_execz .LBB314_571
; %bb.568:                              ;   in Loop: Header=BB314_424 Depth=1
	v_and_b32_e32 v0, 7, v13
	v_lshrrev_b32_e32 v14, 3, v87
	s_mov_b32 s16, exec_lo
	v_cmpx_gt_u32_e32 8, v87
; %bb.569:                              ;   in Loop: Header=BB314_424 Depth=1
	s_delay_alu instid0(VALU_DEP_3) | instskip(NEXT) | instid1(VALU_DEP_1)
	v_clz_i32_u32_e32 v14, v0
	v_min_u32_e32 v14, 32, v14
	s_delay_alu instid0(VALU_DEP_1) | instskip(SKIP_1) | instid1(VALU_DEP_2)
	v_subrev_nc_u32_e32 v86, 28, v14
	v_sub_nc_u32_e32 v14, 29, v14
	v_lshlrev_b64 v[86:87], v86, v[0:1]
	s_delay_alu instid0(VALU_DEP_1)
	v_and_b32_e32 v0, 7, v86
; %bb.570:                              ;   in Loop: Header=BB314_424 Depth=1
	s_or_b32 exec_lo, exec_lo, s16
	v_lshlrev_b32_e32 v13, 8, v13
	v_lshl_add_u32 v14, v14, 10, 0x2000
	s_delay_alu instid0(VALU_DEP_1) | instskip(NEXT) | instid1(VALU_DEP_1)
	v_and_or_b32 v13, 0x8000, v13, v14
	v_lshl_or_b32 v0, v0, 7, v13
	s_delay_alu instid0(VALU_DEP_1)
	v_cvt_f32_f16_e32 v86, v0
.LBB314_571:                            ;   in Loop: Header=BB314_424 Depth=1
	s_or_b32 exec_lo, exec_lo, s15
.LBB314_572:                            ;   in Loop: Header=BB314_424 Depth=1
	s_delay_alu instid0(SALU_CYCLE_1)
	s_or_b32 exec_lo, exec_lo, s13
.LBB314_573:                            ;   in Loop: Header=BB314_424 Depth=1
	s_delay_alu instid0(SALU_CYCLE_1) | instskip(SKIP_3) | instid1(VALU_DEP_2)
	s_or_b32 exec_lo, exec_lo, s12
	v_lshrrev_b32_e32 v13, 16, v11
	v_mov_b32_e32 v96, 0
	s_mov_b32 s12, exec_lo
	v_dual_mov_b32 v87, 0 :: v_dual_and_b32 v0, 0xff, v13
	s_delay_alu instid0(VALU_DEP_1)
	v_cmpx_ne_u16_e32 0, v0
	s_cbranch_execz .LBB314_581
; %bb.574:                              ;   in Loop: Header=BB314_424 Depth=1
	v_bfrev_b32_e32 v87, 1
	s_mov_b32 s13, exec_lo
	v_cmpx_ne_u16_e32 0x80, v0
	s_cbranch_execz .LBB314_580
; %bb.575:                              ;   in Loop: Header=BB314_424 Depth=1
	v_bfe_u32 v97, v11, 16, 7
	v_mov_b32_e32 v87, 0x7fc02000
	s_mov_b32 s15, exec_lo
	s_delay_alu instid0(VALU_DEP_2)
	v_cmpx_ne_u32_e32 0x7f, v97
	s_cbranch_execz .LBB314_579
; %bb.576:                              ;   in Loop: Header=BB314_424 Depth=1
	v_and_b32_e32 v0, 7, v13
	v_lshrrev_b32_e32 v14, 3, v97
	s_mov_b32 s16, exec_lo
	v_cmpx_gt_u32_e32 8, v97
; %bb.577:                              ;   in Loop: Header=BB314_424 Depth=1
	s_delay_alu instid0(VALU_DEP_3) | instskip(NEXT) | instid1(VALU_DEP_1)
	v_clz_i32_u32_e32 v14, v0
	v_min_u32_e32 v14, 32, v14
	s_delay_alu instid0(VALU_DEP_1) | instskip(SKIP_1) | instid1(VALU_DEP_2)
	v_subrev_nc_u32_e32 v87, 28, v14
	v_sub_nc_u32_e32 v14, 29, v14
	v_lshlrev_b64 v[97:98], v87, v[0:1]
	s_delay_alu instid0(VALU_DEP_1)
	v_and_b32_e32 v0, 7, v97
; %bb.578:                              ;   in Loop: Header=BB314_424 Depth=1
	s_or_b32 exec_lo, exec_lo, s16
	v_lshlrev_b32_e32 v13, 8, v13
	v_lshl_add_u32 v14, v14, 10, 0x2000
	s_delay_alu instid0(VALU_DEP_1) | instskip(NEXT) | instid1(VALU_DEP_1)
	v_and_or_b32 v13, 0x8000, v13, v14
	v_lshl_or_b32 v0, v0, 7, v13
	s_delay_alu instid0(VALU_DEP_1)
	v_cvt_f32_f16_e32 v87, v0
.LBB314_579:                            ;   in Loop: Header=BB314_424 Depth=1
	s_or_b32 exec_lo, exec_lo, s15
.LBB314_580:                            ;   in Loop: Header=BB314_424 Depth=1
	s_delay_alu instid0(SALU_CYCLE_1)
	s_or_b32 exec_lo, exec_lo, s13
.LBB314_581:                            ;   in Loop: Header=BB314_424 Depth=1
	s_delay_alu instid0(SALU_CYCLE_1) | instskip(NEXT) | instid1(SALU_CYCLE_1)
	s_or_b32 exec_lo, exec_lo, s12
	s_mov_b32 s12, exec_lo
	v_cmpx_lt_u32_e32 0xffffff, v11
	s_cbranch_execz .LBB314_589
; %bb.582:                              ;   in Loop: Header=BB314_424 Depth=1
	v_lshrrev_b32_e32 v13, 24, v11
	v_bfrev_b32_e32 v96, 1
	s_mov_b32 s13, exec_lo
	s_delay_alu instid0(VALU_DEP_2)
	v_cmpx_ne_u32_e32 0x80, v13
	s_cbranch_execz .LBB314_588
; %bb.583:                              ;   in Loop: Header=BB314_424 Depth=1
	v_and_b32_e32 v97, 0x7f, v13
	v_mov_b32_e32 v96, 0x7fc02000
	s_mov_b32 s15, exec_lo
	s_delay_alu instid0(VALU_DEP_2)
	v_cmpx_ne_u32_e32 0x7f, v97
	s_cbranch_execz .LBB314_587
; %bb.584:                              ;   in Loop: Header=BB314_424 Depth=1
	v_and_b32_e32 v0, 7, v13
	v_lshrrev_b32_e32 v14, 3, v97
	s_mov_b32 s16, exec_lo
	v_cmpx_gt_u32_e32 8, v97
; %bb.585:                              ;   in Loop: Header=BB314_424 Depth=1
	s_delay_alu instid0(VALU_DEP_3) | instskip(NEXT) | instid1(VALU_DEP_1)
	v_clz_i32_u32_e32 v14, v0
	v_min_u32_e32 v14, 32, v14
	s_delay_alu instid0(VALU_DEP_1) | instskip(SKIP_1) | instid1(VALU_DEP_2)
	v_subrev_nc_u32_e32 v96, 28, v14
	v_sub_nc_u32_e32 v14, 29, v14
	v_lshlrev_b64 v[96:97], v96, v[0:1]
	s_delay_alu instid0(VALU_DEP_1)
	v_and_b32_e32 v0, 7, v96
; %bb.586:                              ;   in Loop: Header=BB314_424 Depth=1
	s_or_b32 exec_lo, exec_lo, s16
	v_lshlrev_b32_e32 v13, 8, v13
	v_lshl_add_u32 v14, v14, 10, 0x2000
	s_delay_alu instid0(VALU_DEP_1) | instskip(NEXT) | instid1(VALU_DEP_1)
	v_and_or_b32 v13, 0x8000, v13, v14
	v_lshl_or_b32 v0, v0, 7, v13
	s_delay_alu instid0(VALU_DEP_1)
	v_cvt_f32_f16_e32 v96, v0
.LBB314_587:                            ;   in Loop: Header=BB314_424 Depth=1
	s_or_b32 exec_lo, exec_lo, s15
.LBB314_588:                            ;   in Loop: Header=BB314_424 Depth=1
	s_delay_alu instid0(SALU_CYCLE_1)
	s_or_b32 exec_lo, exec_lo, s13
.LBB314_589:                            ;   in Loop: Header=BB314_424 Depth=1
	s_delay_alu instid0(SALU_CYCLE_1) | instskip(SKIP_3) | instid1(VALU_DEP_2)
	s_or_b32 exec_lo, exec_lo, s12
	v_dual_mov_b32 v97, 0 :: v_dual_and_b32 v14, 0xff, v12
	v_dual_mov_b32 v0, v12 :: v_dual_mov_b32 v13, 0
	s_mov_b32 s12, exec_lo
	v_cmpx_ne_u16_e32 0, v14
	s_cbranch_execz .LBB314_597
; %bb.590:                              ;   in Loop: Header=BB314_424 Depth=1
	v_bfrev_b32_e32 v13, 1
	s_mov_b32 s13, exec_lo
	v_cmpx_ne_u16_e32 0x80, v14
	s_cbranch_execz .LBB314_596
; %bb.591:                              ;   in Loop: Header=BB314_424 Depth=1
	v_and_b32_e32 v14, 0x7f, v12
	v_mov_b32_e32 v13, 0x7fc02000
	s_mov_b32 s15, exec_lo
	s_delay_alu instid0(VALU_DEP_2)
	v_cmpx_ne_u32_e32 0x7f, v14
	s_cbranch_execz .LBB314_595
; %bb.592:                              ;   in Loop: Header=BB314_424 Depth=1
	v_lshrrev_b32_e32 v98, 3, v14
	v_cmp_gt_u32_e64 s0, 8, v14
	v_dual_mov_b32 v14, v1 :: v_dual_mov_b32 v13, v0
	s_delay_alu instid0(VALU_DEP_2)
	s_and_saveexec_b32 s16, s0
; %bb.593:                              ;   in Loop: Header=BB314_424 Depth=1
	v_and_b32_e32 v13, 7, v12
	s_delay_alu instid0(VALU_DEP_1) | instskip(NEXT) | instid1(VALU_DEP_1)
	v_clz_i32_u32_e32 v13, v13
	v_min_u32_e32 v98, 32, v13
	s_delay_alu instid0(VALU_DEP_1) | instskip(SKIP_1) | instid1(VALU_DEP_2)
	v_subrev_nc_u32_e32 v13, 28, v98
	v_sub_nc_u32_e32 v98, 29, v98
	v_lshlrev_b64 v[13:14], v13, v[0:1]
; %bb.594:                              ;   in Loop: Header=BB314_424 Depth=1
	s_or_b32 exec_lo, exec_lo, s16
	v_lshlrev_b32_e32 v14, 8, v12
	s_delay_alu instid0(VALU_DEP_3) | instskip(NEXT) | instid1(VALU_DEP_3)
	v_lshl_add_u32 v98, v98, 10, 0x2000
	v_lshlrev_b32_e32 v13, 7, v13
	s_delay_alu instid0(VALU_DEP_2) | instskip(NEXT) | instid1(VALU_DEP_1)
	v_and_or_b32 v14, 0x8000, v14, v98
	v_and_or_b32 v13, 0x380, v13, v14
	s_delay_alu instid0(VALU_DEP_1)
	v_cvt_f32_f16_e32 v13, v13
.LBB314_595:                            ;   in Loop: Header=BB314_424 Depth=1
	s_or_b32 exec_lo, exec_lo, s15
.LBB314_596:                            ;   in Loop: Header=BB314_424 Depth=1
	s_delay_alu instid0(SALU_CYCLE_1)
	s_or_b32 exec_lo, exec_lo, s13
.LBB314_597:                            ;   in Loop: Header=BB314_424 Depth=1
	s_delay_alu instid0(SALU_CYCLE_1) | instskip(SKIP_2) | instid1(VALU_DEP_1)
	s_or_b32 exec_lo, exec_lo, s12
	v_lshrrev_b16 v0, 8, v0
	s_mov_b32 s12, exec_lo
	v_cmpx_ne_u16_e32 0, v0
	s_cbranch_execz .LBB314_605
; %bb.598:                              ;   in Loop: Header=BB314_424 Depth=1
	v_bfrev_b32_e32 v97, 1
	s_mov_b32 s13, exec_lo
	v_cmpx_ne_u16_e32 0x80, v0
	s_cbranch_execz .LBB314_604
; %bb.599:                              ;   in Loop: Header=BB314_424 Depth=1
	v_and_b32_e32 v14, 0xffff, v0
	v_mov_b32_e32 v97, 0x7fc02000
	s_mov_b32 s15, exec_lo
	s_delay_alu instid0(VALU_DEP_2) | instskip(NEXT) | instid1(VALU_DEP_1)
	v_and_b32_e32 v98, 0x7f, v14
	v_cmpx_ne_u32_e32 0x7f, v98
	s_cbranch_execz .LBB314_603
; %bb.600:                              ;   in Loop: Header=BB314_424 Depth=1
	v_and_b32_e32 v0, 7, v14
	v_lshrrev_b32_e32 v97, 3, v98
	s_mov_b32 s16, exec_lo
	v_cmpx_gt_u32_e32 8, v98
; %bb.601:                              ;   in Loop: Header=BB314_424 Depth=1
	s_delay_alu instid0(VALU_DEP_3) | instskip(NEXT) | instid1(VALU_DEP_1)
	v_clz_i32_u32_e32 v97, v0
	v_min_u32_e32 v97, 32, v97
	s_delay_alu instid0(VALU_DEP_1) | instskip(SKIP_1) | instid1(VALU_DEP_2)
	v_subrev_nc_u32_e32 v98, 28, v97
	v_sub_nc_u32_e32 v97, 29, v97
	v_lshlrev_b64 v[98:99], v98, v[0:1]
	s_delay_alu instid0(VALU_DEP_1)
	v_and_b32_e32 v0, 7, v98
; %bb.602:                              ;   in Loop: Header=BB314_424 Depth=1
	s_or_b32 exec_lo, exec_lo, s16
	v_lshlrev_b32_e32 v14, 8, v14
	v_lshl_add_u32 v97, v97, 10, 0x2000
	s_delay_alu instid0(VALU_DEP_1) | instskip(NEXT) | instid1(VALU_DEP_1)
	v_and_or_b32 v14, 0x8000, v14, v97
	v_lshl_or_b32 v0, v0, 7, v14
	s_delay_alu instid0(VALU_DEP_1)
	v_cvt_f32_f16_e32 v97, v0
.LBB314_603:                            ;   in Loop: Header=BB314_424 Depth=1
	s_or_b32 exec_lo, exec_lo, s15
.LBB314_604:                            ;   in Loop: Header=BB314_424 Depth=1
	s_delay_alu instid0(SALU_CYCLE_1)
	s_or_b32 exec_lo, exec_lo, s13
.LBB314_605:                            ;   in Loop: Header=BB314_424 Depth=1
	s_delay_alu instid0(SALU_CYCLE_1) | instskip(SKIP_4) | instid1(VALU_DEP_3)
	s_or_b32 exec_lo, exec_lo, s12
	v_lshrrev_b32_e32 v99, 16, v12
	v_mov_b32_e32 v98, 0
	v_mov_b32_e32 v14, 0
	s_mov_b32 s12, exec_lo
	v_and_b32_e32 v0, 0xff, v99
	s_delay_alu instid0(VALU_DEP_1)
	v_cmpx_ne_u16_e32 0, v0
	s_cbranch_execz .LBB314_613
; %bb.606:                              ;   in Loop: Header=BB314_424 Depth=1
	v_bfrev_b32_e32 v14, 1
	s_mov_b32 s13, exec_lo
	v_cmpx_ne_u16_e32 0x80, v0
	s_cbranch_execz .LBB314_612
; %bb.607:                              ;   in Loop: Header=BB314_424 Depth=1
	v_bfe_u32 v100, v12, 16, 7
	v_mov_b32_e32 v14, 0x7fc02000
	s_mov_b32 s15, exec_lo
	s_delay_alu instid0(VALU_DEP_2)
	v_cmpx_ne_u32_e32 0x7f, v100
	s_cbranch_execz .LBB314_611
; %bb.608:                              ;   in Loop: Header=BB314_424 Depth=1
	v_and_b32_e32 v0, 7, v99
	v_lshrrev_b32_e32 v14, 3, v100
	s_mov_b32 s16, exec_lo
	v_cmpx_gt_u32_e32 8, v100
; %bb.609:                              ;   in Loop: Header=BB314_424 Depth=1
	s_delay_alu instid0(VALU_DEP_3) | instskip(NEXT) | instid1(VALU_DEP_1)
	v_clz_i32_u32_e32 v14, v0
	v_min_u32_e32 v14, 32, v14
	s_delay_alu instid0(VALU_DEP_1) | instskip(SKIP_1) | instid1(VALU_DEP_2)
	v_subrev_nc_u32_e32 v100, 28, v14
	v_sub_nc_u32_e32 v14, 29, v14
	v_lshlrev_b64 v[100:101], v100, v[0:1]
	s_delay_alu instid0(VALU_DEP_1)
	v_and_b32_e32 v0, 7, v100
; %bb.610:                              ;   in Loop: Header=BB314_424 Depth=1
	s_or_b32 exec_lo, exec_lo, s16
	v_lshlrev_b32_e32 v99, 8, v99
	v_lshl_add_u32 v14, v14, 10, 0x2000
	s_delay_alu instid0(VALU_DEP_1) | instskip(NEXT) | instid1(VALU_DEP_1)
	v_and_or_b32 v14, 0x8000, v99, v14
	v_lshl_or_b32 v0, v0, 7, v14
	s_delay_alu instid0(VALU_DEP_1)
	v_cvt_f32_f16_e32 v14, v0
.LBB314_611:                            ;   in Loop: Header=BB314_424 Depth=1
	s_or_b32 exec_lo, exec_lo, s15
.LBB314_612:                            ;   in Loop: Header=BB314_424 Depth=1
	s_delay_alu instid0(SALU_CYCLE_1)
	s_or_b32 exec_lo, exec_lo, s13
.LBB314_613:                            ;   in Loop: Header=BB314_424 Depth=1
	s_delay_alu instid0(SALU_CYCLE_1) | instskip(NEXT) | instid1(SALU_CYCLE_1)
	s_or_b32 exec_lo, exec_lo, s12
	s_mov_b32 s12, exec_lo
	v_cmpx_lt_u64_e64 s[8:9], v[11:12]
	s_cbranch_execz .LBB314_621
; %bb.614:                              ;   in Loop: Header=BB314_424 Depth=1
	v_lshrrev_b32_e32 v11, 24, v12
	v_bfrev_b32_e32 v98, 1
	s_mov_b32 s13, exec_lo
	s_delay_alu instid0(VALU_DEP_2)
	v_cmpx_ne_u32_e32 0x80, v11
	s_cbranch_execz .LBB314_620
; %bb.615:                              ;   in Loop: Header=BB314_424 Depth=1
	v_and_b32_e32 v99, 0x7f, v11
	v_mov_b32_e32 v98, 0x7fc02000
	s_mov_b32 s15, exec_lo
	s_delay_alu instid0(VALU_DEP_2)
	v_cmpx_ne_u32_e32 0x7f, v99
	s_cbranch_execz .LBB314_619
; %bb.616:                              ;   in Loop: Header=BB314_424 Depth=1
	v_and_b32_e32 v0, 7, v11
	v_lshrrev_b32_e32 v12, 3, v99
	s_mov_b32 s16, exec_lo
	v_cmpx_gt_u32_e32 8, v99
; %bb.617:                              ;   in Loop: Header=BB314_424 Depth=1
	s_delay_alu instid0(VALU_DEP_3) | instskip(NEXT) | instid1(VALU_DEP_1)
	v_clz_i32_u32_e32 v12, v0
	v_min_u32_e32 v12, 32, v12
	s_delay_alu instid0(VALU_DEP_1) | instskip(SKIP_1) | instid1(VALU_DEP_2)
	v_subrev_nc_u32_e32 v98, 28, v12
	v_sub_nc_u32_e32 v12, 29, v12
	v_lshlrev_b64 v[98:99], v98, v[0:1]
	s_delay_alu instid0(VALU_DEP_1)
	v_and_b32_e32 v0, 7, v98
; %bb.618:                              ;   in Loop: Header=BB314_424 Depth=1
	s_or_b32 exec_lo, exec_lo, s16
	v_lshlrev_b32_e32 v11, 8, v11
	v_lshl_add_u32 v12, v12, 10, 0x2000
	s_delay_alu instid0(VALU_DEP_1) | instskip(NEXT) | instid1(VALU_DEP_1)
	v_and_or_b32 v11, 0x8000, v11, v12
	v_lshl_or_b32 v0, v0, 7, v11
	s_delay_alu instid0(VALU_DEP_1)
	v_cvt_f32_f16_e32 v98, v0
.LBB314_619:                            ;   in Loop: Header=BB314_424 Depth=1
	s_or_b32 exec_lo, exec_lo, s15
.LBB314_620:                            ;   in Loop: Header=BB314_424 Depth=1
	s_delay_alu instid0(SALU_CYCLE_1)
	s_or_b32 exec_lo, exec_lo, s13
.LBB314_621:                            ;   in Loop: Header=BB314_424 Depth=1
	s_delay_alu instid0(SALU_CYCLE_1)
	s_or_b32 exec_lo, exec_lo, s12
	s_waitcnt vmcnt(0) lgkmcnt(0)
	v_fma_mixlo_f16 v12, v84, v86, 0
	v_fma_mixlo_f16 v0, v84, v96, 0
	;; [unrolled: 1-line block ×5, first 2 shown]
	v_lshlrev_b32_e32 v86, 16, v12
	v_fma_mixlo_f16 v13, v84, v13, 0
	v_fma_mixlo_f16 v96, v84, v98, 0
	;; [unrolled: 1-line block ×3, first 2 shown]
	v_lshlrev_b32_e32 v0, 16, v0
	v_and_b32_e32 v11, 0xffff, v11
	v_and_b32_e32 v14, 0xffff, v85
	v_lshlrev_b32_e32 v84, 16, v87
	v_and_b32_e32 v85, 0xffff, v13
	v_lshlrev_b32_e32 v87, 16, v96
	v_and_b32_e32 v96, 0xffff, v12
	v_or_b32_e32 v13, v0, v11
	v_or_b32_e32 v14, v86, v14
	;; [unrolled: 1-line block ×3, first 2 shown]
	s_delay_alu instid0(VALU_DEP_4)
	v_or_b32_e32 v11, v87, v96
	s_and_saveexec_b32 s12, vcc_lo
	s_cbranch_execz .LBB314_623
; %bb.622:                              ;   in Loop: Header=BB314_424 Depth=1
	v_cmp_lt_i32_e64 s0, v18, v35
	v_lshrrev_b32_e32 v84, 16, v14
	v_lshrrev_b32_e32 v85, 16, v13
	;; [unrolled: 1-line block ×4, first 2 shown]
	v_cndmask_b32_e64 v14, 0, v14, s0
	v_cmp_lt_i32_e64 s0, v67, v51
	s_delay_alu instid0(VALU_DEP_1) | instskip(SKIP_1) | instid1(VALU_DEP_2)
	v_cndmask_b32_e64 v84, 0, v84, s0
	v_cmp_lt_i32_e64 s0, v66, v51
	v_perm_b32 v14, v84, v14, 0x5040100
	s_delay_alu instid0(VALU_DEP_2) | instskip(SKIP_1) | instid1(VALU_DEP_1)
	v_cndmask_b32_e64 v85, 0, v85, s0
	v_cmp_lt_i32_e64 s0, v65, v35
	v_cndmask_b32_e64 v13, 0, v13, s0
	v_cmp_lt_i32_e64 s0, v64, v51
	s_delay_alu instid0(VALU_DEP_2) | instskip(NEXT) | instid1(VALU_DEP_2)
	v_perm_b32 v13, v85, v13, 0x5040100
	v_cndmask_b32_e64 v86, 0, v86, s0
	v_cmp_lt_i32_e64 s0, v55, v35
	s_delay_alu instid0(VALU_DEP_1) | instskip(SKIP_1) | instid1(VALU_DEP_2)
	v_cndmask_b32_e64 v0, 0, v0, s0
	v_cmp_lt_i32_e64 s0, v54, v51
	v_perm_b32 v0, v86, v0, 0x5040100
	s_delay_alu instid0(VALU_DEP_2) | instskip(SKIP_1) | instid1(VALU_DEP_1)
	v_cndmask_b32_e64 v11, 0, v11, s0
	v_cmp_lt_i32_e64 s0, v19, v35
	v_cndmask_b32_e64 v12, 0, v12, s0
	s_delay_alu instid0(VALU_DEP_1)
	v_perm_b32 v11, v11, v12, 0x5040100
.LBB314_623:                            ;   in Loop: Header=BB314_424 Depth=1
	s_or_b32 exec_lo, exec_lo, s12
	;;#ASMSTART
	v_pk_mul_f16 v12, v81, v14;

	;;#ASMEND
	;;#ASMSTART
	v_pk_mul_f16 v13, v80, v13;

	;;#ASMEND
	;;#ASMSTART
	v_pk_mul_f16 v0, v71, v0;

	;;#ASMEND
	;;#ASMSTART
	v_pk_mul_f16 v11, v70, v11;

	;;#ASMEND
	;;#ASMSTART
	v_pk_add_f16 v12, v12, v13;

	;;#ASMEND
	;;#ASMSTART
	v_pk_add_f16 v0, v12, v0;

	;;#ASMEND
	;; [unrolled: 4-line block ×3, first 2 shown]
	v_dual_mov_b32 v96, 0 :: v_dual_and_b32 v11, 0xffff, v0
	v_lshrrev_b32_e32 v0, 16, v0
	;;#ASMSTART
	v_cvt_f32_f16 v84, v11;
	;;#ASMEND
	;;#ASMSTART
	v_cvt_f32_f16 v85, v0;
	;;#ASMEND
	flat_load_b64 v[11:12], v[9:10] offset:768
	flat_load_b32 v86, v[26:27]
	s_mov_b32 s12, exec_lo
	s_waitcnt vmcnt(1) lgkmcnt(1)
	v_dual_mov_b32 v87, 0 :: v_dual_and_b32 v0, 0xff, v11
	s_delay_alu instid0(VALU_DEP_1)
	v_cmpx_ne_u16_e32 0, v0
	s_cbranch_execz .LBB314_631
; %bb.624:                              ;   in Loop: Header=BB314_424 Depth=1
	v_bfrev_b32_e32 v87, 1
	s_mov_b32 s13, exec_lo
	v_cmpx_ne_u16_e32 0x80, v0
	s_cbranch_execz .LBB314_630
; %bb.625:                              ;   in Loop: Header=BB314_424 Depth=1
	v_and_b32_e32 v13, 0x7f, v11
	v_mov_b32_e32 v87, 0x7fc02000
	s_mov_b32 s15, exec_lo
	s_delay_alu instid0(VALU_DEP_2)
	v_cmpx_ne_u32_e32 0x7f, v13
	s_cbranch_execz .LBB314_629
; %bb.626:                              ;   in Loop: Header=BB314_424 Depth=1
	v_lshrrev_b32_e32 v0, 3, v13
	v_cmp_gt_u32_e64 s0, 8, v13
	v_dual_mov_b32 v14, v12 :: v_dual_mov_b32 v13, v11
	s_delay_alu instid0(VALU_DEP_2)
	s_and_saveexec_b32 s16, s0
; %bb.627:                              ;   in Loop: Header=BB314_424 Depth=1
	v_and_b32_e32 v0, 7, v11
	s_delay_alu instid0(VALU_DEP_1) | instskip(NEXT) | instid1(VALU_DEP_1)
	v_clz_i32_u32_e32 v0, v0
	v_min_u32_e32 v0, 32, v0
	s_delay_alu instid0(VALU_DEP_1) | instskip(SKIP_1) | instid1(VALU_DEP_2)
	v_subrev_nc_u32_e32 v13, 28, v0
	v_sub_nc_u32_e32 v0, 29, v0
	v_lshlrev_b64 v[13:14], v13, v[11:12]
; %bb.628:                              ;   in Loop: Header=BB314_424 Depth=1
	s_or_b32 exec_lo, exec_lo, s16
	v_lshlrev_b32_e32 v14, 8, v11
	s_delay_alu instid0(VALU_DEP_3) | instskip(NEXT) | instid1(VALU_DEP_3)
	v_lshl_add_u32 v0, v0, 10, 0x2000
	v_lshlrev_b32_e32 v13, 7, v13
	s_delay_alu instid0(VALU_DEP_2) | instskip(NEXT) | instid1(VALU_DEP_1)
	v_and_or_b32 v0, 0x8000, v14, v0
	v_and_or_b32 v0, 0x380, v13, v0
	s_delay_alu instid0(VALU_DEP_1)
	v_cvt_f32_f16_e32 v87, v0
.LBB314_629:                            ;   in Loop: Header=BB314_424 Depth=1
	s_or_b32 exec_lo, exec_lo, s15
.LBB314_630:                            ;   in Loop: Header=BB314_424 Depth=1
	s_delay_alu instid0(SALU_CYCLE_1)
	s_or_b32 exec_lo, exec_lo, s13
.LBB314_631:                            ;   in Loop: Header=BB314_424 Depth=1
	s_delay_alu instid0(SALU_CYCLE_1) | instskip(SKIP_2) | instid1(VALU_DEP_1)
	s_or_b32 exec_lo, exec_lo, s12
	v_lshrrev_b16 v0, 8, v11
	s_mov_b32 s12, exec_lo
	v_cmpx_ne_u16_e32 0, v0
	s_cbranch_execz .LBB314_639
; %bb.632:                              ;   in Loop: Header=BB314_424 Depth=1
	v_bfrev_b32_e32 v96, 1
	s_mov_b32 s13, exec_lo
	v_cmpx_ne_u16_e32 0x80, v0
	s_cbranch_execz .LBB314_638
; %bb.633:                              ;   in Loop: Header=BB314_424 Depth=1
	v_and_b32_e32 v13, 0xffff, v0
	v_mov_b32_e32 v96, 0x7fc02000
	s_mov_b32 s15, exec_lo
	s_delay_alu instid0(VALU_DEP_2) | instskip(NEXT) | instid1(VALU_DEP_1)
	v_and_b32_e32 v97, 0x7f, v13
	v_cmpx_ne_u32_e32 0x7f, v97
	s_cbranch_execz .LBB314_637
; %bb.634:                              ;   in Loop: Header=BB314_424 Depth=1
	v_and_b32_e32 v0, 7, v13
	v_lshrrev_b32_e32 v14, 3, v97
	s_mov_b32 s16, exec_lo
	v_cmpx_gt_u32_e32 8, v97
; %bb.635:                              ;   in Loop: Header=BB314_424 Depth=1
	s_delay_alu instid0(VALU_DEP_3) | instskip(NEXT) | instid1(VALU_DEP_1)
	v_clz_i32_u32_e32 v14, v0
	v_min_u32_e32 v14, 32, v14
	s_delay_alu instid0(VALU_DEP_1) | instskip(SKIP_1) | instid1(VALU_DEP_2)
	v_subrev_nc_u32_e32 v96, 28, v14
	v_sub_nc_u32_e32 v14, 29, v14
	v_lshlrev_b64 v[96:97], v96, v[0:1]
	s_delay_alu instid0(VALU_DEP_1)
	v_and_b32_e32 v0, 7, v96
; %bb.636:                              ;   in Loop: Header=BB314_424 Depth=1
	s_or_b32 exec_lo, exec_lo, s16
	v_lshlrev_b32_e32 v13, 8, v13
	v_lshl_add_u32 v14, v14, 10, 0x2000
	s_delay_alu instid0(VALU_DEP_1) | instskip(NEXT) | instid1(VALU_DEP_1)
	v_and_or_b32 v13, 0x8000, v13, v14
	v_lshl_or_b32 v0, v0, 7, v13
	s_delay_alu instid0(VALU_DEP_1)
	v_cvt_f32_f16_e32 v96, v0
.LBB314_637:                            ;   in Loop: Header=BB314_424 Depth=1
	s_or_b32 exec_lo, exec_lo, s15
.LBB314_638:                            ;   in Loop: Header=BB314_424 Depth=1
	s_delay_alu instid0(SALU_CYCLE_1)
	s_or_b32 exec_lo, exec_lo, s13
.LBB314_639:                            ;   in Loop: Header=BB314_424 Depth=1
	s_delay_alu instid0(SALU_CYCLE_1) | instskip(SKIP_3) | instid1(VALU_DEP_2)
	s_or_b32 exec_lo, exec_lo, s12
	v_lshrrev_b32_e32 v13, 16, v11
	v_mov_b32_e32 v98, 0
	s_mov_b32 s12, exec_lo
	v_dual_mov_b32 v97, 0 :: v_dual_and_b32 v0, 0xff, v13
	s_delay_alu instid0(VALU_DEP_1)
	v_cmpx_ne_u16_e32 0, v0
	s_cbranch_execz .LBB314_647
; %bb.640:                              ;   in Loop: Header=BB314_424 Depth=1
	v_bfrev_b32_e32 v97, 1
	s_mov_b32 s13, exec_lo
	v_cmpx_ne_u16_e32 0x80, v0
	s_cbranch_execz .LBB314_646
; %bb.641:                              ;   in Loop: Header=BB314_424 Depth=1
	v_bfe_u32 v99, v11, 16, 7
	v_mov_b32_e32 v97, 0x7fc02000
	s_mov_b32 s15, exec_lo
	s_delay_alu instid0(VALU_DEP_2)
	v_cmpx_ne_u32_e32 0x7f, v99
	s_cbranch_execz .LBB314_645
; %bb.642:                              ;   in Loop: Header=BB314_424 Depth=1
	v_and_b32_e32 v0, 7, v13
	v_lshrrev_b32_e32 v14, 3, v99
	s_mov_b32 s16, exec_lo
	v_cmpx_gt_u32_e32 8, v99
; %bb.643:                              ;   in Loop: Header=BB314_424 Depth=1
	s_delay_alu instid0(VALU_DEP_3) | instskip(NEXT) | instid1(VALU_DEP_1)
	v_clz_i32_u32_e32 v14, v0
	v_min_u32_e32 v14, 32, v14
	s_delay_alu instid0(VALU_DEP_1) | instskip(SKIP_1) | instid1(VALU_DEP_2)
	v_subrev_nc_u32_e32 v97, 28, v14
	v_sub_nc_u32_e32 v14, 29, v14
	v_lshlrev_b64 v[99:100], v97, v[0:1]
	s_delay_alu instid0(VALU_DEP_1)
	v_and_b32_e32 v0, 7, v99
; %bb.644:                              ;   in Loop: Header=BB314_424 Depth=1
	s_or_b32 exec_lo, exec_lo, s16
	v_lshlrev_b32_e32 v13, 8, v13
	v_lshl_add_u32 v14, v14, 10, 0x2000
	s_delay_alu instid0(VALU_DEP_1) | instskip(NEXT) | instid1(VALU_DEP_1)
	v_and_or_b32 v13, 0x8000, v13, v14
	v_lshl_or_b32 v0, v0, 7, v13
	s_delay_alu instid0(VALU_DEP_1)
	v_cvt_f32_f16_e32 v97, v0
.LBB314_645:                            ;   in Loop: Header=BB314_424 Depth=1
	s_or_b32 exec_lo, exec_lo, s15
.LBB314_646:                            ;   in Loop: Header=BB314_424 Depth=1
	s_delay_alu instid0(SALU_CYCLE_1)
	s_or_b32 exec_lo, exec_lo, s13
.LBB314_647:                            ;   in Loop: Header=BB314_424 Depth=1
	s_delay_alu instid0(SALU_CYCLE_1) | instskip(NEXT) | instid1(SALU_CYCLE_1)
	s_or_b32 exec_lo, exec_lo, s12
	s_mov_b32 s12, exec_lo
	v_cmpx_lt_u32_e32 0xffffff, v11
	s_cbranch_execz .LBB314_655
; %bb.648:                              ;   in Loop: Header=BB314_424 Depth=1
	v_lshrrev_b32_e32 v13, 24, v11
	v_bfrev_b32_e32 v98, 1
	s_mov_b32 s13, exec_lo
	s_delay_alu instid0(VALU_DEP_2)
	v_cmpx_ne_u32_e32 0x80, v13
	s_cbranch_execz .LBB314_654
; %bb.649:                              ;   in Loop: Header=BB314_424 Depth=1
	v_and_b32_e32 v99, 0x7f, v13
	v_mov_b32_e32 v98, 0x7fc02000
	s_mov_b32 s15, exec_lo
	s_delay_alu instid0(VALU_DEP_2)
	v_cmpx_ne_u32_e32 0x7f, v99
	s_cbranch_execz .LBB314_653
; %bb.650:                              ;   in Loop: Header=BB314_424 Depth=1
	v_and_b32_e32 v0, 7, v13
	v_lshrrev_b32_e32 v14, 3, v99
	s_mov_b32 s16, exec_lo
	v_cmpx_gt_u32_e32 8, v99
; %bb.651:                              ;   in Loop: Header=BB314_424 Depth=1
	s_delay_alu instid0(VALU_DEP_3) | instskip(NEXT) | instid1(VALU_DEP_1)
	v_clz_i32_u32_e32 v14, v0
	v_min_u32_e32 v14, 32, v14
	s_delay_alu instid0(VALU_DEP_1) | instskip(SKIP_1) | instid1(VALU_DEP_2)
	v_subrev_nc_u32_e32 v98, 28, v14
	v_sub_nc_u32_e32 v14, 29, v14
	v_lshlrev_b64 v[98:99], v98, v[0:1]
	s_delay_alu instid0(VALU_DEP_1)
	v_and_b32_e32 v0, 7, v98
; %bb.652:                              ;   in Loop: Header=BB314_424 Depth=1
	s_or_b32 exec_lo, exec_lo, s16
	v_lshlrev_b32_e32 v13, 8, v13
	v_lshl_add_u32 v14, v14, 10, 0x2000
	s_delay_alu instid0(VALU_DEP_1) | instskip(NEXT) | instid1(VALU_DEP_1)
	v_and_or_b32 v13, 0x8000, v13, v14
	v_lshl_or_b32 v0, v0, 7, v13
	s_delay_alu instid0(VALU_DEP_1)
	v_cvt_f32_f16_e32 v98, v0
.LBB314_653:                            ;   in Loop: Header=BB314_424 Depth=1
	s_or_b32 exec_lo, exec_lo, s15
.LBB314_654:                            ;   in Loop: Header=BB314_424 Depth=1
	s_delay_alu instid0(SALU_CYCLE_1)
	s_or_b32 exec_lo, exec_lo, s13
.LBB314_655:                            ;   in Loop: Header=BB314_424 Depth=1
	s_delay_alu instid0(SALU_CYCLE_1) | instskip(SKIP_3) | instid1(VALU_DEP_2)
	s_or_b32 exec_lo, exec_lo, s12
	v_dual_mov_b32 v99, 0 :: v_dual_and_b32 v14, 0xff, v12
	v_dual_mov_b32 v0, v12 :: v_dual_mov_b32 v13, 0
	s_mov_b32 s12, exec_lo
	v_cmpx_ne_u16_e32 0, v14
	s_cbranch_execz .LBB314_663
; %bb.656:                              ;   in Loop: Header=BB314_424 Depth=1
	v_bfrev_b32_e32 v13, 1
	s_mov_b32 s13, exec_lo
	v_cmpx_ne_u16_e32 0x80, v14
	s_cbranch_execz .LBB314_662
; %bb.657:                              ;   in Loop: Header=BB314_424 Depth=1
	v_and_b32_e32 v14, 0x7f, v12
	v_mov_b32_e32 v13, 0x7fc02000
	s_mov_b32 s15, exec_lo
	s_delay_alu instid0(VALU_DEP_2)
	v_cmpx_ne_u32_e32 0x7f, v14
	s_cbranch_execz .LBB314_661
; %bb.658:                              ;   in Loop: Header=BB314_424 Depth=1
	v_lshrrev_b32_e32 v100, 3, v14
	v_cmp_gt_u32_e64 s0, 8, v14
	v_dual_mov_b32 v14, v1 :: v_dual_mov_b32 v13, v0
	s_delay_alu instid0(VALU_DEP_2)
	s_and_saveexec_b32 s16, s0
; %bb.659:                              ;   in Loop: Header=BB314_424 Depth=1
	v_and_b32_e32 v13, 7, v12
	s_delay_alu instid0(VALU_DEP_1) | instskip(NEXT) | instid1(VALU_DEP_1)
	v_clz_i32_u32_e32 v13, v13
	v_min_u32_e32 v100, 32, v13
	s_delay_alu instid0(VALU_DEP_1) | instskip(SKIP_1) | instid1(VALU_DEP_2)
	v_subrev_nc_u32_e32 v13, 28, v100
	v_sub_nc_u32_e32 v100, 29, v100
	v_lshlrev_b64 v[13:14], v13, v[0:1]
; %bb.660:                              ;   in Loop: Header=BB314_424 Depth=1
	s_or_b32 exec_lo, exec_lo, s16
	v_lshlrev_b32_e32 v14, 8, v12
	s_delay_alu instid0(VALU_DEP_3) | instskip(NEXT) | instid1(VALU_DEP_3)
	v_lshl_add_u32 v100, v100, 10, 0x2000
	v_lshlrev_b32_e32 v13, 7, v13
	s_delay_alu instid0(VALU_DEP_2) | instskip(NEXT) | instid1(VALU_DEP_1)
	v_and_or_b32 v14, 0x8000, v14, v100
	v_and_or_b32 v13, 0x380, v13, v14
	s_delay_alu instid0(VALU_DEP_1)
	v_cvt_f32_f16_e32 v13, v13
.LBB314_661:                            ;   in Loop: Header=BB314_424 Depth=1
	s_or_b32 exec_lo, exec_lo, s15
.LBB314_662:                            ;   in Loop: Header=BB314_424 Depth=1
	s_delay_alu instid0(SALU_CYCLE_1)
	s_or_b32 exec_lo, exec_lo, s13
.LBB314_663:                            ;   in Loop: Header=BB314_424 Depth=1
	s_delay_alu instid0(SALU_CYCLE_1) | instskip(SKIP_2) | instid1(VALU_DEP_1)
	s_or_b32 exec_lo, exec_lo, s12
	v_lshrrev_b16 v0, 8, v0
	s_mov_b32 s12, exec_lo
	v_cmpx_ne_u16_e32 0, v0
	s_cbranch_execz .LBB314_671
; %bb.664:                              ;   in Loop: Header=BB314_424 Depth=1
	v_bfrev_b32_e32 v99, 1
	s_mov_b32 s13, exec_lo
	v_cmpx_ne_u16_e32 0x80, v0
	s_cbranch_execz .LBB314_670
; %bb.665:                              ;   in Loop: Header=BB314_424 Depth=1
	v_and_b32_e32 v14, 0xffff, v0
	v_mov_b32_e32 v99, 0x7fc02000
	s_mov_b32 s15, exec_lo
	s_delay_alu instid0(VALU_DEP_2) | instskip(NEXT) | instid1(VALU_DEP_1)
	v_and_b32_e32 v100, 0x7f, v14
	v_cmpx_ne_u32_e32 0x7f, v100
	s_cbranch_execz .LBB314_669
; %bb.666:                              ;   in Loop: Header=BB314_424 Depth=1
	v_and_b32_e32 v0, 7, v14
	v_lshrrev_b32_e32 v99, 3, v100
	s_mov_b32 s16, exec_lo
	v_cmpx_gt_u32_e32 8, v100
; %bb.667:                              ;   in Loop: Header=BB314_424 Depth=1
	s_delay_alu instid0(VALU_DEP_3) | instskip(NEXT) | instid1(VALU_DEP_1)
	v_clz_i32_u32_e32 v99, v0
	v_min_u32_e32 v99, 32, v99
	s_delay_alu instid0(VALU_DEP_1) | instskip(SKIP_1) | instid1(VALU_DEP_2)
	v_subrev_nc_u32_e32 v100, 28, v99
	v_sub_nc_u32_e32 v99, 29, v99
	v_lshlrev_b64 v[100:101], v100, v[0:1]
	s_delay_alu instid0(VALU_DEP_1)
	v_and_b32_e32 v0, 7, v100
; %bb.668:                              ;   in Loop: Header=BB314_424 Depth=1
	s_or_b32 exec_lo, exec_lo, s16
	v_lshlrev_b32_e32 v14, 8, v14
	v_lshl_add_u32 v99, v99, 10, 0x2000
	s_delay_alu instid0(VALU_DEP_1) | instskip(NEXT) | instid1(VALU_DEP_1)
	v_and_or_b32 v14, 0x8000, v14, v99
	v_lshl_or_b32 v0, v0, 7, v14
	s_delay_alu instid0(VALU_DEP_1)
	v_cvt_f32_f16_e32 v99, v0
.LBB314_669:                            ;   in Loop: Header=BB314_424 Depth=1
	s_or_b32 exec_lo, exec_lo, s15
.LBB314_670:                            ;   in Loop: Header=BB314_424 Depth=1
	s_delay_alu instid0(SALU_CYCLE_1)
	s_or_b32 exec_lo, exec_lo, s13
.LBB314_671:                            ;   in Loop: Header=BB314_424 Depth=1
	s_delay_alu instid0(SALU_CYCLE_1) | instskip(SKIP_4) | instid1(VALU_DEP_3)
	s_or_b32 exec_lo, exec_lo, s12
	v_lshrrev_b32_e32 v101, 16, v12
	v_mov_b32_e32 v100, 0
	v_mov_b32_e32 v14, 0
	s_mov_b32 s12, exec_lo
	v_and_b32_e32 v0, 0xff, v101
	s_delay_alu instid0(VALU_DEP_1)
	v_cmpx_ne_u16_e32 0, v0
	s_cbranch_execz .LBB314_679
; %bb.672:                              ;   in Loop: Header=BB314_424 Depth=1
	v_bfrev_b32_e32 v14, 1
	s_mov_b32 s13, exec_lo
	v_cmpx_ne_u16_e32 0x80, v0
	s_cbranch_execz .LBB314_678
; %bb.673:                              ;   in Loop: Header=BB314_424 Depth=1
	v_bfe_u32 v102, v12, 16, 7
	v_mov_b32_e32 v14, 0x7fc02000
	s_mov_b32 s15, exec_lo
	s_delay_alu instid0(VALU_DEP_2)
	v_cmpx_ne_u32_e32 0x7f, v102
	s_cbranch_execz .LBB314_677
; %bb.674:                              ;   in Loop: Header=BB314_424 Depth=1
	v_and_b32_e32 v0, 7, v101
	v_lshrrev_b32_e32 v14, 3, v102
	s_mov_b32 s16, exec_lo
	v_cmpx_gt_u32_e32 8, v102
; %bb.675:                              ;   in Loop: Header=BB314_424 Depth=1
	s_delay_alu instid0(VALU_DEP_3) | instskip(NEXT) | instid1(VALU_DEP_1)
	v_clz_i32_u32_e32 v14, v0
	v_min_u32_e32 v14, 32, v14
	s_delay_alu instid0(VALU_DEP_1) | instskip(SKIP_1) | instid1(VALU_DEP_2)
	v_subrev_nc_u32_e32 v102, 28, v14
	v_sub_nc_u32_e32 v14, 29, v14
	v_lshlrev_b64 v[102:103], v102, v[0:1]
	s_delay_alu instid0(VALU_DEP_1)
	v_and_b32_e32 v0, 7, v102
; %bb.676:                              ;   in Loop: Header=BB314_424 Depth=1
	s_or_b32 exec_lo, exec_lo, s16
	v_lshlrev_b32_e32 v101, 8, v101
	v_lshl_add_u32 v14, v14, 10, 0x2000
	s_delay_alu instid0(VALU_DEP_1) | instskip(NEXT) | instid1(VALU_DEP_1)
	v_and_or_b32 v14, 0x8000, v101, v14
	v_lshl_or_b32 v0, v0, 7, v14
	s_delay_alu instid0(VALU_DEP_1)
	v_cvt_f32_f16_e32 v14, v0
.LBB314_677:                            ;   in Loop: Header=BB314_424 Depth=1
	s_or_b32 exec_lo, exec_lo, s15
.LBB314_678:                            ;   in Loop: Header=BB314_424 Depth=1
	s_delay_alu instid0(SALU_CYCLE_1)
	s_or_b32 exec_lo, exec_lo, s13
.LBB314_679:                            ;   in Loop: Header=BB314_424 Depth=1
	s_delay_alu instid0(SALU_CYCLE_1) | instskip(NEXT) | instid1(SALU_CYCLE_1)
	s_or_b32 exec_lo, exec_lo, s12
	s_mov_b32 s12, exec_lo
	v_cmpx_lt_u64_e64 s[8:9], v[11:12]
	s_cbranch_execz .LBB314_687
; %bb.680:                              ;   in Loop: Header=BB314_424 Depth=1
	v_lshrrev_b32_e32 v11, 24, v12
	v_bfrev_b32_e32 v100, 1
	s_mov_b32 s13, exec_lo
	s_delay_alu instid0(VALU_DEP_2)
	v_cmpx_ne_u32_e32 0x80, v11
	s_cbranch_execz .LBB314_686
; %bb.681:                              ;   in Loop: Header=BB314_424 Depth=1
	v_and_b32_e32 v101, 0x7f, v11
	v_mov_b32_e32 v100, 0x7fc02000
	s_mov_b32 s15, exec_lo
	s_delay_alu instid0(VALU_DEP_2)
	v_cmpx_ne_u32_e32 0x7f, v101
	s_cbranch_execz .LBB314_685
; %bb.682:                              ;   in Loop: Header=BB314_424 Depth=1
	v_and_b32_e32 v0, 7, v11
	v_lshrrev_b32_e32 v12, 3, v101
	s_mov_b32 s16, exec_lo
	v_cmpx_gt_u32_e32 8, v101
; %bb.683:                              ;   in Loop: Header=BB314_424 Depth=1
	s_delay_alu instid0(VALU_DEP_3) | instskip(NEXT) | instid1(VALU_DEP_1)
	v_clz_i32_u32_e32 v12, v0
	v_min_u32_e32 v12, 32, v12
	s_delay_alu instid0(VALU_DEP_1) | instskip(SKIP_1) | instid1(VALU_DEP_2)
	v_subrev_nc_u32_e32 v100, 28, v12
	v_sub_nc_u32_e32 v12, 29, v12
	v_lshlrev_b64 v[100:101], v100, v[0:1]
	s_delay_alu instid0(VALU_DEP_1)
	v_and_b32_e32 v0, 7, v100
; %bb.684:                              ;   in Loop: Header=BB314_424 Depth=1
	s_or_b32 exec_lo, exec_lo, s16
	v_lshlrev_b32_e32 v11, 8, v11
	v_lshl_add_u32 v12, v12, 10, 0x2000
	s_delay_alu instid0(VALU_DEP_1) | instskip(NEXT) | instid1(VALU_DEP_1)
	v_and_or_b32 v11, 0x8000, v11, v12
	v_lshl_or_b32 v0, v0, 7, v11
	s_delay_alu instid0(VALU_DEP_1)
	v_cvt_f32_f16_e32 v100, v0
.LBB314_685:                            ;   in Loop: Header=BB314_424 Depth=1
	s_or_b32 exec_lo, exec_lo, s15
.LBB314_686:                            ;   in Loop: Header=BB314_424 Depth=1
	s_delay_alu instid0(SALU_CYCLE_1)
	s_or_b32 exec_lo, exec_lo, s13
.LBB314_687:                            ;   in Loop: Header=BB314_424 Depth=1
	s_delay_alu instid0(SALU_CYCLE_1)
	s_or_b32 exec_lo, exec_lo, s12
	s_waitcnt vmcnt(0) lgkmcnt(0)
	v_fma_mixlo_f16 v12, v86, v96, 0
	v_fma_mixlo_f16 v0, v86, v98, 0
	;; [unrolled: 1-line block ×5, first 2 shown]
	v_lshlrev_b32_e32 v96, 16, v12
	v_fma_mixlo_f16 v13, v86, v13, 0
	v_fma_mixlo_f16 v98, v86, v100, 0
	;; [unrolled: 1-line block ×3, first 2 shown]
	v_lshlrev_b32_e32 v0, 16, v0
	v_and_b32_e32 v11, 0xffff, v11
	v_and_b32_e32 v14, 0xffff, v87
	v_lshlrev_b32_e32 v86, 16, v97
	v_and_b32_e32 v87, 0xffff, v13
	v_lshlrev_b32_e32 v97, 16, v98
	v_and_b32_e32 v98, 0xffff, v12
	v_or_b32_e32 v13, v0, v11
	v_or_b32_e32 v14, v96, v14
	;; [unrolled: 1-line block ×3, first 2 shown]
	s_delay_alu instid0(VALU_DEP_4)
	v_or_b32_e32 v11, v97, v98
	s_and_saveexec_b32 s12, vcc_lo
	s_cbranch_execz .LBB314_689
; %bb.688:                              ;   in Loop: Header=BB314_424 Depth=1
	v_cmp_lt_i32_e64 s0, v18, v35
	v_lshrrev_b32_e32 v86, 16, v14
	v_lshrrev_b32_e32 v87, 16, v13
	;; [unrolled: 1-line block ×4, first 2 shown]
	v_cndmask_b32_e64 v14, 0, v14, s0
	v_cmp_lt_i32_e64 s0, v67, v51
	s_delay_alu instid0(VALU_DEP_1) | instskip(SKIP_1) | instid1(VALU_DEP_2)
	v_cndmask_b32_e64 v86, 0, v86, s0
	v_cmp_lt_i32_e64 s0, v66, v51
	v_perm_b32 v14, v86, v14, 0x5040100
	s_delay_alu instid0(VALU_DEP_2) | instskip(SKIP_1) | instid1(VALU_DEP_1)
	v_cndmask_b32_e64 v87, 0, v87, s0
	v_cmp_lt_i32_e64 s0, v65, v35
	v_cndmask_b32_e64 v13, 0, v13, s0
	v_cmp_lt_i32_e64 s0, v64, v51
	s_delay_alu instid0(VALU_DEP_2) | instskip(NEXT) | instid1(VALU_DEP_2)
	v_perm_b32 v13, v87, v13, 0x5040100
	v_cndmask_b32_e64 v96, 0, v96, s0
	v_cmp_lt_i32_e64 s0, v55, v35
	s_delay_alu instid0(VALU_DEP_1) | instskip(SKIP_1) | instid1(VALU_DEP_2)
	v_cndmask_b32_e64 v0, 0, v0, s0
	v_cmp_lt_i32_e64 s0, v54, v51
	v_perm_b32 v0, v96, v0, 0x5040100
	s_delay_alu instid0(VALU_DEP_2) | instskip(SKIP_1) | instid1(VALU_DEP_1)
	v_cndmask_b32_e64 v11, 0, v11, s0
	v_cmp_lt_i32_e64 s0, v19, v35
	v_cndmask_b32_e64 v12, 0, v12, s0
	s_delay_alu instid0(VALU_DEP_1)
	v_perm_b32 v11, v11, v12, 0x5040100
.LBB314_689:                            ;   in Loop: Header=BB314_424 Depth=1
	s_or_b32 exec_lo, exec_lo, s12
	;;#ASMSTART
	v_pk_mul_f16 v12, v81, v14;

	;;#ASMEND
	;;#ASMSTART
	v_pk_mul_f16 v13, v80, v13;

	;;#ASMEND
	;; [unrolled: 4-line block ×4, first 2 shown]
	;;#ASMSTART
	v_pk_add_f16 v12, v12, v13;

	;;#ASMEND
	;;#ASMSTART
	v_pk_add_f16 v0, v12, v0;

	;;#ASMEND
	;; [unrolled: 4-line block ×3, first 2 shown]
	v_dual_mov_b32 v98, 0 :: v_dual_and_b32 v11, 0xffff, v0
	v_lshrrev_b32_e32 v0, 16, v0
	;;#ASMSTART
	v_cvt_f32_f16 v86, v11;
	;;#ASMEND
	;;#ASMSTART
	v_cvt_f32_f16 v87, v0;
	;;#ASMEND
	flat_load_b64 v[11:12], v[9:10] offset:1024
	flat_load_b32 v96, v[26:27]
	s_mov_b32 s12, exec_lo
	s_waitcnt vmcnt(1) lgkmcnt(1)
	v_dual_mov_b32 v97, 0 :: v_dual_and_b32 v0, 0xff, v11
	s_delay_alu instid0(VALU_DEP_1)
	v_cmpx_ne_u16_e32 0, v0
	s_cbranch_execz .LBB314_697
; %bb.690:                              ;   in Loop: Header=BB314_424 Depth=1
	v_bfrev_b32_e32 v97, 1
	s_mov_b32 s13, exec_lo
	v_cmpx_ne_u16_e32 0x80, v0
	s_cbranch_execz .LBB314_696
; %bb.691:                              ;   in Loop: Header=BB314_424 Depth=1
	v_and_b32_e32 v13, 0x7f, v11
	v_mov_b32_e32 v97, 0x7fc02000
	s_mov_b32 s15, exec_lo
	s_delay_alu instid0(VALU_DEP_2)
	v_cmpx_ne_u32_e32 0x7f, v13
	s_cbranch_execz .LBB314_695
; %bb.692:                              ;   in Loop: Header=BB314_424 Depth=1
	v_lshrrev_b32_e32 v0, 3, v13
	v_cmp_gt_u32_e64 s0, 8, v13
	v_dual_mov_b32 v14, v12 :: v_dual_mov_b32 v13, v11
	s_delay_alu instid0(VALU_DEP_2)
	s_and_saveexec_b32 s16, s0
; %bb.693:                              ;   in Loop: Header=BB314_424 Depth=1
	v_and_b32_e32 v0, 7, v11
	s_delay_alu instid0(VALU_DEP_1) | instskip(NEXT) | instid1(VALU_DEP_1)
	v_clz_i32_u32_e32 v0, v0
	v_min_u32_e32 v0, 32, v0
	s_delay_alu instid0(VALU_DEP_1) | instskip(SKIP_1) | instid1(VALU_DEP_2)
	v_subrev_nc_u32_e32 v13, 28, v0
	v_sub_nc_u32_e32 v0, 29, v0
	v_lshlrev_b64 v[13:14], v13, v[11:12]
; %bb.694:                              ;   in Loop: Header=BB314_424 Depth=1
	s_or_b32 exec_lo, exec_lo, s16
	v_lshlrev_b32_e32 v14, 8, v11
	s_delay_alu instid0(VALU_DEP_3) | instskip(NEXT) | instid1(VALU_DEP_3)
	v_lshl_add_u32 v0, v0, 10, 0x2000
	v_lshlrev_b32_e32 v13, 7, v13
	s_delay_alu instid0(VALU_DEP_2) | instskip(NEXT) | instid1(VALU_DEP_1)
	v_and_or_b32 v0, 0x8000, v14, v0
	v_and_or_b32 v0, 0x380, v13, v0
	s_delay_alu instid0(VALU_DEP_1)
	v_cvt_f32_f16_e32 v97, v0
.LBB314_695:                            ;   in Loop: Header=BB314_424 Depth=1
	s_or_b32 exec_lo, exec_lo, s15
.LBB314_696:                            ;   in Loop: Header=BB314_424 Depth=1
	s_delay_alu instid0(SALU_CYCLE_1)
	s_or_b32 exec_lo, exec_lo, s13
.LBB314_697:                            ;   in Loop: Header=BB314_424 Depth=1
	s_delay_alu instid0(SALU_CYCLE_1) | instskip(SKIP_2) | instid1(VALU_DEP_1)
	s_or_b32 exec_lo, exec_lo, s12
	v_lshrrev_b16 v0, 8, v11
	s_mov_b32 s12, exec_lo
	v_cmpx_ne_u16_e32 0, v0
	s_cbranch_execz .LBB314_705
; %bb.698:                              ;   in Loop: Header=BB314_424 Depth=1
	v_bfrev_b32_e32 v98, 1
	s_mov_b32 s13, exec_lo
	v_cmpx_ne_u16_e32 0x80, v0
	s_cbranch_execz .LBB314_704
; %bb.699:                              ;   in Loop: Header=BB314_424 Depth=1
	v_and_b32_e32 v13, 0xffff, v0
	v_mov_b32_e32 v98, 0x7fc02000
	s_mov_b32 s15, exec_lo
	s_delay_alu instid0(VALU_DEP_2) | instskip(NEXT) | instid1(VALU_DEP_1)
	v_and_b32_e32 v99, 0x7f, v13
	v_cmpx_ne_u32_e32 0x7f, v99
	s_cbranch_execz .LBB314_703
; %bb.700:                              ;   in Loop: Header=BB314_424 Depth=1
	v_and_b32_e32 v0, 7, v13
	v_lshrrev_b32_e32 v14, 3, v99
	s_mov_b32 s16, exec_lo
	v_cmpx_gt_u32_e32 8, v99
; %bb.701:                              ;   in Loop: Header=BB314_424 Depth=1
	s_delay_alu instid0(VALU_DEP_3) | instskip(NEXT) | instid1(VALU_DEP_1)
	v_clz_i32_u32_e32 v14, v0
	v_min_u32_e32 v14, 32, v14
	s_delay_alu instid0(VALU_DEP_1) | instskip(SKIP_1) | instid1(VALU_DEP_2)
	v_subrev_nc_u32_e32 v98, 28, v14
	v_sub_nc_u32_e32 v14, 29, v14
	v_lshlrev_b64 v[98:99], v98, v[0:1]
	s_delay_alu instid0(VALU_DEP_1)
	v_and_b32_e32 v0, 7, v98
; %bb.702:                              ;   in Loop: Header=BB314_424 Depth=1
	s_or_b32 exec_lo, exec_lo, s16
	v_lshlrev_b32_e32 v13, 8, v13
	v_lshl_add_u32 v14, v14, 10, 0x2000
	s_delay_alu instid0(VALU_DEP_1) | instskip(NEXT) | instid1(VALU_DEP_1)
	v_and_or_b32 v13, 0x8000, v13, v14
	v_lshl_or_b32 v0, v0, 7, v13
	s_delay_alu instid0(VALU_DEP_1)
	v_cvt_f32_f16_e32 v98, v0
.LBB314_703:                            ;   in Loop: Header=BB314_424 Depth=1
	s_or_b32 exec_lo, exec_lo, s15
.LBB314_704:                            ;   in Loop: Header=BB314_424 Depth=1
	s_delay_alu instid0(SALU_CYCLE_1)
	s_or_b32 exec_lo, exec_lo, s13
.LBB314_705:                            ;   in Loop: Header=BB314_424 Depth=1
	s_delay_alu instid0(SALU_CYCLE_1) | instskip(SKIP_3) | instid1(VALU_DEP_2)
	s_or_b32 exec_lo, exec_lo, s12
	v_lshrrev_b32_e32 v13, 16, v11
	v_mov_b32_e32 v100, 0
	s_mov_b32 s12, exec_lo
	v_dual_mov_b32 v99, 0 :: v_dual_and_b32 v0, 0xff, v13
	s_delay_alu instid0(VALU_DEP_1)
	v_cmpx_ne_u16_e32 0, v0
	s_cbranch_execz .LBB314_713
; %bb.706:                              ;   in Loop: Header=BB314_424 Depth=1
	v_bfrev_b32_e32 v99, 1
	s_mov_b32 s13, exec_lo
	v_cmpx_ne_u16_e32 0x80, v0
	s_cbranch_execz .LBB314_712
; %bb.707:                              ;   in Loop: Header=BB314_424 Depth=1
	v_bfe_u32 v101, v11, 16, 7
	v_mov_b32_e32 v99, 0x7fc02000
	s_mov_b32 s15, exec_lo
	s_delay_alu instid0(VALU_DEP_2)
	v_cmpx_ne_u32_e32 0x7f, v101
	s_cbranch_execz .LBB314_711
; %bb.708:                              ;   in Loop: Header=BB314_424 Depth=1
	v_and_b32_e32 v0, 7, v13
	v_lshrrev_b32_e32 v14, 3, v101
	s_mov_b32 s16, exec_lo
	v_cmpx_gt_u32_e32 8, v101
; %bb.709:                              ;   in Loop: Header=BB314_424 Depth=1
	s_delay_alu instid0(VALU_DEP_3) | instskip(NEXT) | instid1(VALU_DEP_1)
	v_clz_i32_u32_e32 v14, v0
	v_min_u32_e32 v14, 32, v14
	s_delay_alu instid0(VALU_DEP_1) | instskip(SKIP_1) | instid1(VALU_DEP_2)
	v_subrev_nc_u32_e32 v99, 28, v14
	v_sub_nc_u32_e32 v14, 29, v14
	v_lshlrev_b64 v[101:102], v99, v[0:1]
	s_delay_alu instid0(VALU_DEP_1)
	v_and_b32_e32 v0, 7, v101
; %bb.710:                              ;   in Loop: Header=BB314_424 Depth=1
	s_or_b32 exec_lo, exec_lo, s16
	v_lshlrev_b32_e32 v13, 8, v13
	v_lshl_add_u32 v14, v14, 10, 0x2000
	s_delay_alu instid0(VALU_DEP_1) | instskip(NEXT) | instid1(VALU_DEP_1)
	v_and_or_b32 v13, 0x8000, v13, v14
	v_lshl_or_b32 v0, v0, 7, v13
	s_delay_alu instid0(VALU_DEP_1)
	v_cvt_f32_f16_e32 v99, v0
.LBB314_711:                            ;   in Loop: Header=BB314_424 Depth=1
	s_or_b32 exec_lo, exec_lo, s15
.LBB314_712:                            ;   in Loop: Header=BB314_424 Depth=1
	s_delay_alu instid0(SALU_CYCLE_1)
	s_or_b32 exec_lo, exec_lo, s13
.LBB314_713:                            ;   in Loop: Header=BB314_424 Depth=1
	s_delay_alu instid0(SALU_CYCLE_1) | instskip(NEXT) | instid1(SALU_CYCLE_1)
	s_or_b32 exec_lo, exec_lo, s12
	s_mov_b32 s12, exec_lo
	v_cmpx_lt_u32_e32 0xffffff, v11
	s_cbranch_execz .LBB314_721
; %bb.714:                              ;   in Loop: Header=BB314_424 Depth=1
	v_lshrrev_b32_e32 v13, 24, v11
	v_bfrev_b32_e32 v100, 1
	s_mov_b32 s13, exec_lo
	s_delay_alu instid0(VALU_DEP_2)
	v_cmpx_ne_u32_e32 0x80, v13
	s_cbranch_execz .LBB314_720
; %bb.715:                              ;   in Loop: Header=BB314_424 Depth=1
	v_and_b32_e32 v101, 0x7f, v13
	v_mov_b32_e32 v100, 0x7fc02000
	s_mov_b32 s15, exec_lo
	s_delay_alu instid0(VALU_DEP_2)
	v_cmpx_ne_u32_e32 0x7f, v101
	s_cbranch_execz .LBB314_719
; %bb.716:                              ;   in Loop: Header=BB314_424 Depth=1
	v_and_b32_e32 v0, 7, v13
	v_lshrrev_b32_e32 v14, 3, v101
	s_mov_b32 s16, exec_lo
	v_cmpx_gt_u32_e32 8, v101
; %bb.717:                              ;   in Loop: Header=BB314_424 Depth=1
	s_delay_alu instid0(VALU_DEP_3) | instskip(NEXT) | instid1(VALU_DEP_1)
	v_clz_i32_u32_e32 v14, v0
	v_min_u32_e32 v14, 32, v14
	s_delay_alu instid0(VALU_DEP_1) | instskip(SKIP_1) | instid1(VALU_DEP_2)
	v_subrev_nc_u32_e32 v100, 28, v14
	v_sub_nc_u32_e32 v14, 29, v14
	v_lshlrev_b64 v[100:101], v100, v[0:1]
	s_delay_alu instid0(VALU_DEP_1)
	v_and_b32_e32 v0, 7, v100
; %bb.718:                              ;   in Loop: Header=BB314_424 Depth=1
	s_or_b32 exec_lo, exec_lo, s16
	v_lshlrev_b32_e32 v13, 8, v13
	v_lshl_add_u32 v14, v14, 10, 0x2000
	s_delay_alu instid0(VALU_DEP_1) | instskip(NEXT) | instid1(VALU_DEP_1)
	v_and_or_b32 v13, 0x8000, v13, v14
	v_lshl_or_b32 v0, v0, 7, v13
	s_delay_alu instid0(VALU_DEP_1)
	v_cvt_f32_f16_e32 v100, v0
.LBB314_719:                            ;   in Loop: Header=BB314_424 Depth=1
	s_or_b32 exec_lo, exec_lo, s15
.LBB314_720:                            ;   in Loop: Header=BB314_424 Depth=1
	s_delay_alu instid0(SALU_CYCLE_1)
	s_or_b32 exec_lo, exec_lo, s13
.LBB314_721:                            ;   in Loop: Header=BB314_424 Depth=1
	s_delay_alu instid0(SALU_CYCLE_1) | instskip(SKIP_3) | instid1(VALU_DEP_2)
	s_or_b32 exec_lo, exec_lo, s12
	v_dual_mov_b32 v101, 0 :: v_dual_and_b32 v14, 0xff, v12
	v_dual_mov_b32 v0, v12 :: v_dual_mov_b32 v13, 0
	s_mov_b32 s12, exec_lo
	v_cmpx_ne_u16_e32 0, v14
	s_cbranch_execz .LBB314_729
; %bb.722:                              ;   in Loop: Header=BB314_424 Depth=1
	v_bfrev_b32_e32 v13, 1
	s_mov_b32 s13, exec_lo
	v_cmpx_ne_u16_e32 0x80, v14
	s_cbranch_execz .LBB314_728
; %bb.723:                              ;   in Loop: Header=BB314_424 Depth=1
	v_and_b32_e32 v14, 0x7f, v12
	v_mov_b32_e32 v13, 0x7fc02000
	s_mov_b32 s15, exec_lo
	s_delay_alu instid0(VALU_DEP_2)
	v_cmpx_ne_u32_e32 0x7f, v14
	s_cbranch_execz .LBB314_727
; %bb.724:                              ;   in Loop: Header=BB314_424 Depth=1
	v_lshrrev_b32_e32 v102, 3, v14
	v_cmp_gt_u32_e64 s0, 8, v14
	v_dual_mov_b32 v14, v1 :: v_dual_mov_b32 v13, v0
	s_delay_alu instid0(VALU_DEP_2)
	s_and_saveexec_b32 s16, s0
; %bb.725:                              ;   in Loop: Header=BB314_424 Depth=1
	v_and_b32_e32 v13, 7, v12
	s_delay_alu instid0(VALU_DEP_1) | instskip(NEXT) | instid1(VALU_DEP_1)
	v_clz_i32_u32_e32 v13, v13
	v_min_u32_e32 v102, 32, v13
	s_delay_alu instid0(VALU_DEP_1) | instskip(SKIP_1) | instid1(VALU_DEP_2)
	v_subrev_nc_u32_e32 v13, 28, v102
	v_sub_nc_u32_e32 v102, 29, v102
	v_lshlrev_b64 v[13:14], v13, v[0:1]
; %bb.726:                              ;   in Loop: Header=BB314_424 Depth=1
	s_or_b32 exec_lo, exec_lo, s16
	v_lshlrev_b32_e32 v14, 8, v12
	s_delay_alu instid0(VALU_DEP_3) | instskip(NEXT) | instid1(VALU_DEP_3)
	v_lshl_add_u32 v102, v102, 10, 0x2000
	v_lshlrev_b32_e32 v13, 7, v13
	s_delay_alu instid0(VALU_DEP_2) | instskip(NEXT) | instid1(VALU_DEP_1)
	v_and_or_b32 v14, 0x8000, v14, v102
	v_and_or_b32 v13, 0x380, v13, v14
	s_delay_alu instid0(VALU_DEP_1)
	v_cvt_f32_f16_e32 v13, v13
.LBB314_727:                            ;   in Loop: Header=BB314_424 Depth=1
	s_or_b32 exec_lo, exec_lo, s15
.LBB314_728:                            ;   in Loop: Header=BB314_424 Depth=1
	s_delay_alu instid0(SALU_CYCLE_1)
	s_or_b32 exec_lo, exec_lo, s13
.LBB314_729:                            ;   in Loop: Header=BB314_424 Depth=1
	s_delay_alu instid0(SALU_CYCLE_1) | instskip(SKIP_2) | instid1(VALU_DEP_1)
	s_or_b32 exec_lo, exec_lo, s12
	v_lshrrev_b16 v0, 8, v0
	s_mov_b32 s12, exec_lo
	v_cmpx_ne_u16_e32 0, v0
	s_cbranch_execz .LBB314_737
; %bb.730:                              ;   in Loop: Header=BB314_424 Depth=1
	v_bfrev_b32_e32 v101, 1
	s_mov_b32 s13, exec_lo
	v_cmpx_ne_u16_e32 0x80, v0
	s_cbranch_execz .LBB314_736
; %bb.731:                              ;   in Loop: Header=BB314_424 Depth=1
	v_and_b32_e32 v14, 0xffff, v0
	v_mov_b32_e32 v101, 0x7fc02000
	s_mov_b32 s15, exec_lo
	s_delay_alu instid0(VALU_DEP_2) | instskip(NEXT) | instid1(VALU_DEP_1)
	v_and_b32_e32 v102, 0x7f, v14
	v_cmpx_ne_u32_e32 0x7f, v102
	s_cbranch_execz .LBB314_735
; %bb.732:                              ;   in Loop: Header=BB314_424 Depth=1
	v_and_b32_e32 v0, 7, v14
	v_lshrrev_b32_e32 v101, 3, v102
	s_mov_b32 s16, exec_lo
	v_cmpx_gt_u32_e32 8, v102
; %bb.733:                              ;   in Loop: Header=BB314_424 Depth=1
	s_delay_alu instid0(VALU_DEP_3) | instskip(NEXT) | instid1(VALU_DEP_1)
	v_clz_i32_u32_e32 v101, v0
	v_min_u32_e32 v101, 32, v101
	s_delay_alu instid0(VALU_DEP_1) | instskip(SKIP_1) | instid1(VALU_DEP_2)
	v_subrev_nc_u32_e32 v102, 28, v101
	v_sub_nc_u32_e32 v101, 29, v101
	v_lshlrev_b64 v[102:103], v102, v[0:1]
	s_delay_alu instid0(VALU_DEP_1)
	v_and_b32_e32 v0, 7, v102
; %bb.734:                              ;   in Loop: Header=BB314_424 Depth=1
	s_or_b32 exec_lo, exec_lo, s16
	v_lshlrev_b32_e32 v14, 8, v14
	v_lshl_add_u32 v101, v101, 10, 0x2000
	s_delay_alu instid0(VALU_DEP_1) | instskip(NEXT) | instid1(VALU_DEP_1)
	v_and_or_b32 v14, 0x8000, v14, v101
	v_lshl_or_b32 v0, v0, 7, v14
	s_delay_alu instid0(VALU_DEP_1)
	v_cvt_f32_f16_e32 v101, v0
.LBB314_735:                            ;   in Loop: Header=BB314_424 Depth=1
	s_or_b32 exec_lo, exec_lo, s15
.LBB314_736:                            ;   in Loop: Header=BB314_424 Depth=1
	s_delay_alu instid0(SALU_CYCLE_1)
	s_or_b32 exec_lo, exec_lo, s13
.LBB314_737:                            ;   in Loop: Header=BB314_424 Depth=1
	s_delay_alu instid0(SALU_CYCLE_1) | instskip(SKIP_4) | instid1(VALU_DEP_3)
	s_or_b32 exec_lo, exec_lo, s12
	v_lshrrev_b32_e32 v103, 16, v12
	v_mov_b32_e32 v102, 0
	v_mov_b32_e32 v14, 0
	s_mov_b32 s12, exec_lo
	v_and_b32_e32 v0, 0xff, v103
	s_delay_alu instid0(VALU_DEP_1)
	v_cmpx_ne_u16_e32 0, v0
	s_cbranch_execz .LBB314_745
; %bb.738:                              ;   in Loop: Header=BB314_424 Depth=1
	v_bfrev_b32_e32 v14, 1
	s_mov_b32 s13, exec_lo
	v_cmpx_ne_u16_e32 0x80, v0
	s_cbranch_execz .LBB314_744
; %bb.739:                              ;   in Loop: Header=BB314_424 Depth=1
	v_bfe_u32 v112, v12, 16, 7
	v_mov_b32_e32 v14, 0x7fc02000
	s_mov_b32 s15, exec_lo
	s_delay_alu instid0(VALU_DEP_2)
	v_cmpx_ne_u32_e32 0x7f, v112
	s_cbranch_execz .LBB314_743
; %bb.740:                              ;   in Loop: Header=BB314_424 Depth=1
	v_and_b32_e32 v0, 7, v103
	v_lshrrev_b32_e32 v14, 3, v112
	s_mov_b32 s16, exec_lo
	v_cmpx_gt_u32_e32 8, v112
; %bb.741:                              ;   in Loop: Header=BB314_424 Depth=1
	s_delay_alu instid0(VALU_DEP_3) | instskip(NEXT) | instid1(VALU_DEP_1)
	v_clz_i32_u32_e32 v14, v0
	v_min_u32_e32 v14, 32, v14
	s_delay_alu instid0(VALU_DEP_1) | instskip(SKIP_1) | instid1(VALU_DEP_2)
	v_subrev_nc_u32_e32 v112, 28, v14
	v_sub_nc_u32_e32 v14, 29, v14
	v_lshlrev_b64 v[112:113], v112, v[0:1]
	s_delay_alu instid0(VALU_DEP_1)
	v_and_b32_e32 v0, 7, v112
; %bb.742:                              ;   in Loop: Header=BB314_424 Depth=1
	s_or_b32 exec_lo, exec_lo, s16
	v_lshlrev_b32_e32 v103, 8, v103
	v_lshl_add_u32 v14, v14, 10, 0x2000
	s_delay_alu instid0(VALU_DEP_1) | instskip(NEXT) | instid1(VALU_DEP_1)
	v_and_or_b32 v14, 0x8000, v103, v14
	v_lshl_or_b32 v0, v0, 7, v14
	s_delay_alu instid0(VALU_DEP_1)
	v_cvt_f32_f16_e32 v14, v0
.LBB314_743:                            ;   in Loop: Header=BB314_424 Depth=1
	s_or_b32 exec_lo, exec_lo, s15
.LBB314_744:                            ;   in Loop: Header=BB314_424 Depth=1
	s_delay_alu instid0(SALU_CYCLE_1)
	s_or_b32 exec_lo, exec_lo, s13
.LBB314_745:                            ;   in Loop: Header=BB314_424 Depth=1
	s_delay_alu instid0(SALU_CYCLE_1) | instskip(NEXT) | instid1(SALU_CYCLE_1)
	s_or_b32 exec_lo, exec_lo, s12
	s_mov_b32 s12, exec_lo
	v_cmpx_lt_u64_e64 s[8:9], v[11:12]
	s_cbranch_execz .LBB314_753
; %bb.746:                              ;   in Loop: Header=BB314_424 Depth=1
	v_lshrrev_b32_e32 v11, 24, v12
	v_bfrev_b32_e32 v102, 1
	s_mov_b32 s13, exec_lo
	s_delay_alu instid0(VALU_DEP_2)
	v_cmpx_ne_u32_e32 0x80, v11
	s_cbranch_execz .LBB314_752
; %bb.747:                              ;   in Loop: Header=BB314_424 Depth=1
	v_and_b32_e32 v103, 0x7f, v11
	v_mov_b32_e32 v102, 0x7fc02000
	s_mov_b32 s15, exec_lo
	s_delay_alu instid0(VALU_DEP_2)
	v_cmpx_ne_u32_e32 0x7f, v103
	s_cbranch_execz .LBB314_751
; %bb.748:                              ;   in Loop: Header=BB314_424 Depth=1
	v_and_b32_e32 v0, 7, v11
	v_lshrrev_b32_e32 v12, 3, v103
	s_mov_b32 s16, exec_lo
	v_cmpx_gt_u32_e32 8, v103
; %bb.749:                              ;   in Loop: Header=BB314_424 Depth=1
	s_delay_alu instid0(VALU_DEP_3) | instskip(NEXT) | instid1(VALU_DEP_1)
	v_clz_i32_u32_e32 v12, v0
	v_min_u32_e32 v12, 32, v12
	s_delay_alu instid0(VALU_DEP_1) | instskip(SKIP_1) | instid1(VALU_DEP_2)
	v_subrev_nc_u32_e32 v102, 28, v12
	v_sub_nc_u32_e32 v12, 29, v12
	v_lshlrev_b64 v[102:103], v102, v[0:1]
	s_delay_alu instid0(VALU_DEP_1)
	v_and_b32_e32 v0, 7, v102
; %bb.750:                              ;   in Loop: Header=BB314_424 Depth=1
	s_or_b32 exec_lo, exec_lo, s16
	v_lshlrev_b32_e32 v11, 8, v11
	v_lshl_add_u32 v12, v12, 10, 0x2000
	s_delay_alu instid0(VALU_DEP_1) | instskip(NEXT) | instid1(VALU_DEP_1)
	v_and_or_b32 v11, 0x8000, v11, v12
	v_lshl_or_b32 v0, v0, 7, v11
	s_delay_alu instid0(VALU_DEP_1)
	v_cvt_f32_f16_e32 v102, v0
.LBB314_751:                            ;   in Loop: Header=BB314_424 Depth=1
	s_or_b32 exec_lo, exec_lo, s15
.LBB314_752:                            ;   in Loop: Header=BB314_424 Depth=1
	s_delay_alu instid0(SALU_CYCLE_1)
	s_or_b32 exec_lo, exec_lo, s13
.LBB314_753:                            ;   in Loop: Header=BB314_424 Depth=1
	s_delay_alu instid0(SALU_CYCLE_1)
	s_or_b32 exec_lo, exec_lo, s12
	s_waitcnt vmcnt(0) lgkmcnt(0)
	v_fma_mixlo_f16 v12, v96, v98, 0
	v_fma_mixlo_f16 v0, v96, v100, 0
	;; [unrolled: 1-line block ×5, first 2 shown]
	v_lshlrev_b32_e32 v98, 16, v12
	v_fma_mixlo_f16 v13, v96, v13, 0
	v_fma_mixlo_f16 v100, v96, v102, 0
	;; [unrolled: 1-line block ×3, first 2 shown]
	v_lshlrev_b32_e32 v0, 16, v0
	v_and_b32_e32 v11, 0xffff, v11
	v_and_b32_e32 v14, 0xffff, v97
	v_lshlrev_b32_e32 v96, 16, v99
	v_and_b32_e32 v97, 0xffff, v13
	v_lshlrev_b32_e32 v99, 16, v100
	v_and_b32_e32 v100, 0xffff, v12
	v_or_b32_e32 v13, v0, v11
	v_or_b32_e32 v14, v98, v14
	;; [unrolled: 1-line block ×3, first 2 shown]
	s_delay_alu instid0(VALU_DEP_4)
	v_or_b32_e32 v11, v99, v100
	s_and_saveexec_b32 s12, vcc_lo
	s_cbranch_execz .LBB314_755
; %bb.754:                              ;   in Loop: Header=BB314_424 Depth=1
	v_cmp_lt_i32_e64 s0, v18, v35
	v_lshrrev_b32_e32 v96, 16, v14
	v_lshrrev_b32_e32 v97, 16, v13
	v_lshrrev_b32_e32 v98, 16, v0
	v_lshrrev_b32_e32 v11, 16, v11
	v_cndmask_b32_e64 v14, 0, v14, s0
	v_cmp_lt_i32_e64 s0, v67, v51
	s_delay_alu instid0(VALU_DEP_1) | instskip(SKIP_1) | instid1(VALU_DEP_2)
	v_cndmask_b32_e64 v96, 0, v96, s0
	v_cmp_lt_i32_e64 s0, v66, v51
	v_perm_b32 v14, v96, v14, 0x5040100
	s_delay_alu instid0(VALU_DEP_2) | instskip(SKIP_1) | instid1(VALU_DEP_1)
	v_cndmask_b32_e64 v97, 0, v97, s0
	v_cmp_lt_i32_e64 s0, v65, v35
	v_cndmask_b32_e64 v13, 0, v13, s0
	v_cmp_lt_i32_e64 s0, v64, v51
	s_delay_alu instid0(VALU_DEP_2) | instskip(NEXT) | instid1(VALU_DEP_2)
	v_perm_b32 v13, v97, v13, 0x5040100
	v_cndmask_b32_e64 v98, 0, v98, s0
	v_cmp_lt_i32_e64 s0, v55, v35
	s_delay_alu instid0(VALU_DEP_1) | instskip(SKIP_1) | instid1(VALU_DEP_2)
	v_cndmask_b32_e64 v0, 0, v0, s0
	v_cmp_lt_i32_e64 s0, v54, v51
	v_perm_b32 v0, v98, v0, 0x5040100
	s_delay_alu instid0(VALU_DEP_2) | instskip(SKIP_1) | instid1(VALU_DEP_1)
	v_cndmask_b32_e64 v11, 0, v11, s0
	v_cmp_lt_i32_e64 s0, v19, v35
	v_cndmask_b32_e64 v12, 0, v12, s0
	s_delay_alu instid0(VALU_DEP_1)
	v_perm_b32 v11, v11, v12, 0x5040100
.LBB314_755:                            ;   in Loop: Header=BB314_424 Depth=1
	s_or_b32 exec_lo, exec_lo, s12
	;;#ASMSTART
	v_pk_mul_f16 v12, v81, v14;

	;;#ASMEND
	;;#ASMSTART
	v_pk_mul_f16 v13, v80, v13;

	;;#ASMEND
	;; [unrolled: 4-line block ×4, first 2 shown]
	;;#ASMSTART
	v_pk_add_f16 v12, v12, v13;

	;;#ASMEND
	;;#ASMSTART
	v_pk_add_f16 v0, v12, v0;

	;;#ASMEND
	;;#ASMSTART
	v_pk_add_f16 v0, v0, v11;

	;;#ASMEND
	v_dual_mov_b32 v98, 0 :: v_dual_and_b32 v11, 0xffff, v0
	v_lshrrev_b32_e32 v0, 16, v0
	;;#ASMSTART
	v_cvt_f32_f16 v13, v11;
	;;#ASMEND
	;;#ASMSTART
	v_cvt_f32_f16 v14, v0;
	;;#ASMEND
	flat_load_b64 v[9:10], v[9:10] offset:1280
	flat_load_b32 v96, v[26:27]
	s_mov_b32 s12, exec_lo
	s_waitcnt vmcnt(1) lgkmcnt(1)
	v_dual_mov_b32 v97, 0 :: v_dual_and_b32 v0, 0xff, v9
	s_delay_alu instid0(VALU_DEP_1)
	v_cmpx_ne_u16_e32 0, v0
	s_cbranch_execz .LBB314_763
; %bb.756:                              ;   in Loop: Header=BB314_424 Depth=1
	v_bfrev_b32_e32 v97, 1
	s_mov_b32 s13, exec_lo
	v_cmpx_ne_u16_e32 0x80, v0
	s_cbranch_execz .LBB314_762
; %bb.757:                              ;   in Loop: Header=BB314_424 Depth=1
	v_and_b32_e32 v11, 0x7f, v9
	v_mov_b32_e32 v97, 0x7fc02000
	s_mov_b32 s15, exec_lo
	s_delay_alu instid0(VALU_DEP_2)
	v_cmpx_ne_u32_e32 0x7f, v11
	s_cbranch_execz .LBB314_761
; %bb.758:                              ;   in Loop: Header=BB314_424 Depth=1
	v_lshrrev_b32_e32 v0, 3, v11
	v_cmp_gt_u32_e64 s0, 8, v11
	v_dual_mov_b32 v12, v10 :: v_dual_mov_b32 v11, v9
	s_delay_alu instid0(VALU_DEP_2)
	s_and_saveexec_b32 s16, s0
; %bb.759:                              ;   in Loop: Header=BB314_424 Depth=1
	v_and_b32_e32 v0, 7, v9
	s_delay_alu instid0(VALU_DEP_1) | instskip(NEXT) | instid1(VALU_DEP_1)
	v_clz_i32_u32_e32 v0, v0
	v_min_u32_e32 v0, 32, v0
	s_delay_alu instid0(VALU_DEP_1) | instskip(SKIP_1) | instid1(VALU_DEP_2)
	v_subrev_nc_u32_e32 v11, 28, v0
	v_sub_nc_u32_e32 v0, 29, v0
	v_lshlrev_b64 v[11:12], v11, v[9:10]
; %bb.760:                              ;   in Loop: Header=BB314_424 Depth=1
	s_or_b32 exec_lo, exec_lo, s16
	v_lshlrev_b32_e32 v12, 8, v9
	s_delay_alu instid0(VALU_DEP_3) | instskip(NEXT) | instid1(VALU_DEP_3)
	v_lshl_add_u32 v0, v0, 10, 0x2000
	v_lshlrev_b32_e32 v11, 7, v11
	s_delay_alu instid0(VALU_DEP_2) | instskip(NEXT) | instid1(VALU_DEP_1)
	v_and_or_b32 v0, 0x8000, v12, v0
	v_and_or_b32 v0, 0x380, v11, v0
	s_delay_alu instid0(VALU_DEP_1)
	v_cvt_f32_f16_e32 v97, v0
.LBB314_761:                            ;   in Loop: Header=BB314_424 Depth=1
	s_or_b32 exec_lo, exec_lo, s15
.LBB314_762:                            ;   in Loop: Header=BB314_424 Depth=1
	s_delay_alu instid0(SALU_CYCLE_1)
	s_or_b32 exec_lo, exec_lo, s13
.LBB314_763:                            ;   in Loop: Header=BB314_424 Depth=1
	s_delay_alu instid0(SALU_CYCLE_1) | instskip(SKIP_2) | instid1(VALU_DEP_1)
	s_or_b32 exec_lo, exec_lo, s12
	v_lshrrev_b16 v0, 8, v9
	s_mov_b32 s12, exec_lo
	v_cmpx_ne_u16_e32 0, v0
	s_cbranch_execz .LBB314_771
; %bb.764:                              ;   in Loop: Header=BB314_424 Depth=1
	v_bfrev_b32_e32 v98, 1
	s_mov_b32 s13, exec_lo
	v_cmpx_ne_u16_e32 0x80, v0
	s_cbranch_execz .LBB314_770
; %bb.765:                              ;   in Loop: Header=BB314_424 Depth=1
	v_and_b32_e32 v11, 0xffff, v0
	v_mov_b32_e32 v98, 0x7fc02000
	s_mov_b32 s15, exec_lo
	s_delay_alu instid0(VALU_DEP_2) | instskip(NEXT) | instid1(VALU_DEP_1)
	v_and_b32_e32 v99, 0x7f, v11
	v_cmpx_ne_u32_e32 0x7f, v99
	s_cbranch_execz .LBB314_769
; %bb.766:                              ;   in Loop: Header=BB314_424 Depth=1
	v_and_b32_e32 v0, 7, v11
	v_lshrrev_b32_e32 v12, 3, v99
	s_mov_b32 s16, exec_lo
	v_cmpx_gt_u32_e32 8, v99
; %bb.767:                              ;   in Loop: Header=BB314_424 Depth=1
	s_delay_alu instid0(VALU_DEP_3) | instskip(NEXT) | instid1(VALU_DEP_1)
	v_clz_i32_u32_e32 v12, v0
	v_min_u32_e32 v12, 32, v12
	s_delay_alu instid0(VALU_DEP_1) | instskip(SKIP_1) | instid1(VALU_DEP_2)
	v_subrev_nc_u32_e32 v98, 28, v12
	v_sub_nc_u32_e32 v12, 29, v12
	v_lshlrev_b64 v[98:99], v98, v[0:1]
	s_delay_alu instid0(VALU_DEP_1)
	v_and_b32_e32 v0, 7, v98
; %bb.768:                              ;   in Loop: Header=BB314_424 Depth=1
	s_or_b32 exec_lo, exec_lo, s16
	v_lshlrev_b32_e32 v11, 8, v11
	v_lshl_add_u32 v12, v12, 10, 0x2000
	s_delay_alu instid0(VALU_DEP_1) | instskip(NEXT) | instid1(VALU_DEP_1)
	v_and_or_b32 v11, 0x8000, v11, v12
	v_lshl_or_b32 v0, v0, 7, v11
	s_delay_alu instid0(VALU_DEP_1)
	v_cvt_f32_f16_e32 v98, v0
.LBB314_769:                            ;   in Loop: Header=BB314_424 Depth=1
	s_or_b32 exec_lo, exec_lo, s15
.LBB314_770:                            ;   in Loop: Header=BB314_424 Depth=1
	s_delay_alu instid0(SALU_CYCLE_1)
	s_or_b32 exec_lo, exec_lo, s13
.LBB314_771:                            ;   in Loop: Header=BB314_424 Depth=1
	s_delay_alu instid0(SALU_CYCLE_1) | instskip(SKIP_3) | instid1(VALU_DEP_2)
	s_or_b32 exec_lo, exec_lo, s12
	v_lshrrev_b32_e32 v11, 16, v9
	v_mov_b32_e32 v100, 0
	s_mov_b32 s12, exec_lo
	v_dual_mov_b32 v99, 0 :: v_dual_and_b32 v0, 0xff, v11
	s_delay_alu instid0(VALU_DEP_1)
	v_cmpx_ne_u16_e32 0, v0
	s_cbranch_execz .LBB314_779
; %bb.772:                              ;   in Loop: Header=BB314_424 Depth=1
	v_bfrev_b32_e32 v99, 1
	s_mov_b32 s13, exec_lo
	v_cmpx_ne_u16_e32 0x80, v0
	s_cbranch_execz .LBB314_778
; %bb.773:                              ;   in Loop: Header=BB314_424 Depth=1
	v_bfe_u32 v101, v9, 16, 7
	v_mov_b32_e32 v99, 0x7fc02000
	s_mov_b32 s15, exec_lo
	s_delay_alu instid0(VALU_DEP_2)
	v_cmpx_ne_u32_e32 0x7f, v101
	s_cbranch_execz .LBB314_777
; %bb.774:                              ;   in Loop: Header=BB314_424 Depth=1
	v_and_b32_e32 v0, 7, v11
	v_lshrrev_b32_e32 v12, 3, v101
	s_mov_b32 s16, exec_lo
	v_cmpx_gt_u32_e32 8, v101
; %bb.775:                              ;   in Loop: Header=BB314_424 Depth=1
	s_delay_alu instid0(VALU_DEP_3) | instskip(NEXT) | instid1(VALU_DEP_1)
	v_clz_i32_u32_e32 v12, v0
	v_min_u32_e32 v12, 32, v12
	s_delay_alu instid0(VALU_DEP_1) | instskip(SKIP_1) | instid1(VALU_DEP_2)
	v_subrev_nc_u32_e32 v99, 28, v12
	v_sub_nc_u32_e32 v12, 29, v12
	v_lshlrev_b64 v[101:102], v99, v[0:1]
	s_delay_alu instid0(VALU_DEP_1)
	v_and_b32_e32 v0, 7, v101
; %bb.776:                              ;   in Loop: Header=BB314_424 Depth=1
	s_or_b32 exec_lo, exec_lo, s16
	v_lshlrev_b32_e32 v11, 8, v11
	v_lshl_add_u32 v12, v12, 10, 0x2000
	s_delay_alu instid0(VALU_DEP_1) | instskip(NEXT) | instid1(VALU_DEP_1)
	v_and_or_b32 v11, 0x8000, v11, v12
	v_lshl_or_b32 v0, v0, 7, v11
	s_delay_alu instid0(VALU_DEP_1)
	v_cvt_f32_f16_e32 v99, v0
.LBB314_777:                            ;   in Loop: Header=BB314_424 Depth=1
	s_or_b32 exec_lo, exec_lo, s15
.LBB314_778:                            ;   in Loop: Header=BB314_424 Depth=1
	s_delay_alu instid0(SALU_CYCLE_1)
	s_or_b32 exec_lo, exec_lo, s13
.LBB314_779:                            ;   in Loop: Header=BB314_424 Depth=1
	s_delay_alu instid0(SALU_CYCLE_1) | instskip(NEXT) | instid1(SALU_CYCLE_1)
	s_or_b32 exec_lo, exec_lo, s12
	s_mov_b32 s12, exec_lo
	v_cmpx_lt_u32_e32 0xffffff, v9
	s_cbranch_execz .LBB314_787
; %bb.780:                              ;   in Loop: Header=BB314_424 Depth=1
	v_lshrrev_b32_e32 v11, 24, v9
	v_bfrev_b32_e32 v100, 1
	s_mov_b32 s13, exec_lo
	s_delay_alu instid0(VALU_DEP_2)
	v_cmpx_ne_u32_e32 0x80, v11
	s_cbranch_execz .LBB314_786
; %bb.781:                              ;   in Loop: Header=BB314_424 Depth=1
	v_and_b32_e32 v101, 0x7f, v11
	v_mov_b32_e32 v100, 0x7fc02000
	s_mov_b32 s15, exec_lo
	s_delay_alu instid0(VALU_DEP_2)
	v_cmpx_ne_u32_e32 0x7f, v101
	s_cbranch_execz .LBB314_785
; %bb.782:                              ;   in Loop: Header=BB314_424 Depth=1
	v_and_b32_e32 v0, 7, v11
	v_lshrrev_b32_e32 v12, 3, v101
	s_mov_b32 s16, exec_lo
	v_cmpx_gt_u32_e32 8, v101
; %bb.783:                              ;   in Loop: Header=BB314_424 Depth=1
	s_delay_alu instid0(VALU_DEP_3) | instskip(NEXT) | instid1(VALU_DEP_1)
	v_clz_i32_u32_e32 v12, v0
	v_min_u32_e32 v12, 32, v12
	s_delay_alu instid0(VALU_DEP_1) | instskip(SKIP_1) | instid1(VALU_DEP_2)
	v_subrev_nc_u32_e32 v100, 28, v12
	v_sub_nc_u32_e32 v12, 29, v12
	v_lshlrev_b64 v[100:101], v100, v[0:1]
	s_delay_alu instid0(VALU_DEP_1)
	v_and_b32_e32 v0, 7, v100
; %bb.784:                              ;   in Loop: Header=BB314_424 Depth=1
	s_or_b32 exec_lo, exec_lo, s16
	v_lshlrev_b32_e32 v11, 8, v11
	v_lshl_add_u32 v12, v12, 10, 0x2000
	s_delay_alu instid0(VALU_DEP_1) | instskip(NEXT) | instid1(VALU_DEP_1)
	v_and_or_b32 v11, 0x8000, v11, v12
	v_lshl_or_b32 v0, v0, 7, v11
	s_delay_alu instid0(VALU_DEP_1)
	v_cvt_f32_f16_e32 v100, v0
.LBB314_785:                            ;   in Loop: Header=BB314_424 Depth=1
	s_or_b32 exec_lo, exec_lo, s15
.LBB314_786:                            ;   in Loop: Header=BB314_424 Depth=1
	s_delay_alu instid0(SALU_CYCLE_1)
	s_or_b32 exec_lo, exec_lo, s13
.LBB314_787:                            ;   in Loop: Header=BB314_424 Depth=1
	s_delay_alu instid0(SALU_CYCLE_1) | instskip(SKIP_3) | instid1(VALU_DEP_2)
	s_or_b32 exec_lo, exec_lo, s12
	v_dual_mov_b32 v101, 0 :: v_dual_and_b32 v12, 0xff, v10
	v_dual_mov_b32 v0, v10 :: v_dual_mov_b32 v11, 0
	s_mov_b32 s12, exec_lo
	v_cmpx_ne_u16_e32 0, v12
	s_cbranch_execz .LBB314_795
; %bb.788:                              ;   in Loop: Header=BB314_424 Depth=1
	v_bfrev_b32_e32 v11, 1
	s_mov_b32 s13, exec_lo
	v_cmpx_ne_u16_e32 0x80, v12
	s_cbranch_execz .LBB314_794
; %bb.789:                              ;   in Loop: Header=BB314_424 Depth=1
	v_and_b32_e32 v12, 0x7f, v10
	v_mov_b32_e32 v11, 0x7fc02000
	s_mov_b32 s15, exec_lo
	s_delay_alu instid0(VALU_DEP_2)
	v_cmpx_ne_u32_e32 0x7f, v12
	s_cbranch_execz .LBB314_793
; %bb.790:                              ;   in Loop: Header=BB314_424 Depth=1
	v_lshrrev_b32_e32 v102, 3, v12
	v_cmp_gt_u32_e64 s0, 8, v12
	v_dual_mov_b32 v12, v1 :: v_dual_mov_b32 v11, v0
	s_delay_alu instid0(VALU_DEP_2)
	s_and_saveexec_b32 s16, s0
; %bb.791:                              ;   in Loop: Header=BB314_424 Depth=1
	v_and_b32_e32 v11, 7, v10
	s_delay_alu instid0(VALU_DEP_1) | instskip(NEXT) | instid1(VALU_DEP_1)
	v_clz_i32_u32_e32 v11, v11
	v_min_u32_e32 v102, 32, v11
	s_delay_alu instid0(VALU_DEP_1) | instskip(SKIP_1) | instid1(VALU_DEP_2)
	v_subrev_nc_u32_e32 v11, 28, v102
	v_sub_nc_u32_e32 v102, 29, v102
	v_lshlrev_b64 v[11:12], v11, v[0:1]
; %bb.792:                              ;   in Loop: Header=BB314_424 Depth=1
	s_or_b32 exec_lo, exec_lo, s16
	v_lshlrev_b32_e32 v12, 8, v10
	s_delay_alu instid0(VALU_DEP_3) | instskip(NEXT) | instid1(VALU_DEP_3)
	v_lshl_add_u32 v102, v102, 10, 0x2000
	v_lshlrev_b32_e32 v11, 7, v11
	s_delay_alu instid0(VALU_DEP_2) | instskip(NEXT) | instid1(VALU_DEP_1)
	v_and_or_b32 v12, 0x8000, v12, v102
	v_and_or_b32 v11, 0x380, v11, v12
	s_delay_alu instid0(VALU_DEP_1)
	v_cvt_f32_f16_e32 v11, v11
.LBB314_793:                            ;   in Loop: Header=BB314_424 Depth=1
	s_or_b32 exec_lo, exec_lo, s15
.LBB314_794:                            ;   in Loop: Header=BB314_424 Depth=1
	s_delay_alu instid0(SALU_CYCLE_1)
	s_or_b32 exec_lo, exec_lo, s13
.LBB314_795:                            ;   in Loop: Header=BB314_424 Depth=1
	s_delay_alu instid0(SALU_CYCLE_1) | instskip(SKIP_2) | instid1(VALU_DEP_1)
	s_or_b32 exec_lo, exec_lo, s12
	v_lshrrev_b16 v0, 8, v0
	s_mov_b32 s12, exec_lo
	v_cmpx_ne_u16_e32 0, v0
	s_cbranch_execz .LBB314_803
; %bb.796:                              ;   in Loop: Header=BB314_424 Depth=1
	v_bfrev_b32_e32 v101, 1
	s_mov_b32 s13, exec_lo
	v_cmpx_ne_u16_e32 0x80, v0
	s_cbranch_execz .LBB314_802
; %bb.797:                              ;   in Loop: Header=BB314_424 Depth=1
	v_and_b32_e32 v12, 0xffff, v0
	v_mov_b32_e32 v101, 0x7fc02000
	s_mov_b32 s15, exec_lo
	s_delay_alu instid0(VALU_DEP_2) | instskip(NEXT) | instid1(VALU_DEP_1)
	v_and_b32_e32 v102, 0x7f, v12
	v_cmpx_ne_u32_e32 0x7f, v102
	s_cbranch_execz .LBB314_801
; %bb.798:                              ;   in Loop: Header=BB314_424 Depth=1
	v_and_b32_e32 v0, 7, v12
	v_lshrrev_b32_e32 v101, 3, v102
	s_mov_b32 s16, exec_lo
	v_cmpx_gt_u32_e32 8, v102
; %bb.799:                              ;   in Loop: Header=BB314_424 Depth=1
	s_delay_alu instid0(VALU_DEP_3) | instskip(NEXT) | instid1(VALU_DEP_1)
	v_clz_i32_u32_e32 v101, v0
	v_min_u32_e32 v101, 32, v101
	s_delay_alu instid0(VALU_DEP_1) | instskip(SKIP_1) | instid1(VALU_DEP_2)
	v_subrev_nc_u32_e32 v102, 28, v101
	v_sub_nc_u32_e32 v101, 29, v101
	v_lshlrev_b64 v[102:103], v102, v[0:1]
	s_delay_alu instid0(VALU_DEP_1)
	v_and_b32_e32 v0, 7, v102
; %bb.800:                              ;   in Loop: Header=BB314_424 Depth=1
	s_or_b32 exec_lo, exec_lo, s16
	v_lshlrev_b32_e32 v12, 8, v12
	v_lshl_add_u32 v101, v101, 10, 0x2000
	s_delay_alu instid0(VALU_DEP_1) | instskip(NEXT) | instid1(VALU_DEP_1)
	v_and_or_b32 v12, 0x8000, v12, v101
	v_lshl_or_b32 v0, v0, 7, v12
	s_delay_alu instid0(VALU_DEP_1)
	v_cvt_f32_f16_e32 v101, v0
.LBB314_801:                            ;   in Loop: Header=BB314_424 Depth=1
	s_or_b32 exec_lo, exec_lo, s15
.LBB314_802:                            ;   in Loop: Header=BB314_424 Depth=1
	s_delay_alu instid0(SALU_CYCLE_1)
	s_or_b32 exec_lo, exec_lo, s13
.LBB314_803:                            ;   in Loop: Header=BB314_424 Depth=1
	s_delay_alu instid0(SALU_CYCLE_1) | instskip(SKIP_4) | instid1(VALU_DEP_3)
	s_or_b32 exec_lo, exec_lo, s12
	v_lshrrev_b32_e32 v103, 16, v10
	v_mov_b32_e32 v102, 0
	v_mov_b32_e32 v12, 0
	s_mov_b32 s12, exec_lo
	v_and_b32_e32 v0, 0xff, v103
	s_delay_alu instid0(VALU_DEP_1)
	v_cmpx_ne_u16_e32 0, v0
	s_cbranch_execz .LBB314_811
; %bb.804:                              ;   in Loop: Header=BB314_424 Depth=1
	v_bfrev_b32_e32 v12, 1
	s_mov_b32 s13, exec_lo
	v_cmpx_ne_u16_e32 0x80, v0
	s_cbranch_execz .LBB314_810
; %bb.805:                              ;   in Loop: Header=BB314_424 Depth=1
	v_bfe_u32 v112, v10, 16, 7
	v_mov_b32_e32 v12, 0x7fc02000
	s_mov_b32 s15, exec_lo
	s_delay_alu instid0(VALU_DEP_2)
	v_cmpx_ne_u32_e32 0x7f, v112
	s_cbranch_execz .LBB314_809
; %bb.806:                              ;   in Loop: Header=BB314_424 Depth=1
	v_and_b32_e32 v0, 7, v103
	v_lshrrev_b32_e32 v12, 3, v112
	s_mov_b32 s16, exec_lo
	v_cmpx_gt_u32_e32 8, v112
; %bb.807:                              ;   in Loop: Header=BB314_424 Depth=1
	s_delay_alu instid0(VALU_DEP_3) | instskip(NEXT) | instid1(VALU_DEP_1)
	v_clz_i32_u32_e32 v12, v0
	v_min_u32_e32 v12, 32, v12
	s_delay_alu instid0(VALU_DEP_1) | instskip(SKIP_1) | instid1(VALU_DEP_2)
	v_subrev_nc_u32_e32 v112, 28, v12
	v_sub_nc_u32_e32 v12, 29, v12
	v_lshlrev_b64 v[112:113], v112, v[0:1]
	s_delay_alu instid0(VALU_DEP_1)
	v_and_b32_e32 v0, 7, v112
; %bb.808:                              ;   in Loop: Header=BB314_424 Depth=1
	s_or_b32 exec_lo, exec_lo, s16
	v_lshlrev_b32_e32 v103, 8, v103
	v_lshl_add_u32 v12, v12, 10, 0x2000
	s_delay_alu instid0(VALU_DEP_1) | instskip(NEXT) | instid1(VALU_DEP_1)
	v_and_or_b32 v12, 0x8000, v103, v12
	v_lshl_or_b32 v0, v0, 7, v12
	s_delay_alu instid0(VALU_DEP_1)
	v_cvt_f32_f16_e32 v12, v0
.LBB314_809:                            ;   in Loop: Header=BB314_424 Depth=1
	s_or_b32 exec_lo, exec_lo, s15
.LBB314_810:                            ;   in Loop: Header=BB314_424 Depth=1
	s_delay_alu instid0(SALU_CYCLE_1)
	s_or_b32 exec_lo, exec_lo, s13
.LBB314_811:                            ;   in Loop: Header=BB314_424 Depth=1
	s_delay_alu instid0(SALU_CYCLE_1) | instskip(NEXT) | instid1(SALU_CYCLE_1)
	s_or_b32 exec_lo, exec_lo, s12
	s_mov_b32 s12, exec_lo
	v_cmpx_lt_u64_e64 s[8:9], v[9:10]
	s_cbranch_execz .LBB314_819
; %bb.812:                              ;   in Loop: Header=BB314_424 Depth=1
	v_lshrrev_b32_e32 v9, 24, v10
	v_bfrev_b32_e32 v102, 1
	s_mov_b32 s13, exec_lo
	s_delay_alu instid0(VALU_DEP_2)
	v_cmpx_ne_u32_e32 0x80, v9
	s_cbranch_execz .LBB314_818
; %bb.813:                              ;   in Loop: Header=BB314_424 Depth=1
	v_and_b32_e32 v103, 0x7f, v9
	v_mov_b32_e32 v102, 0x7fc02000
	s_mov_b32 s15, exec_lo
	s_delay_alu instid0(VALU_DEP_2)
	v_cmpx_ne_u32_e32 0x7f, v103
	s_cbranch_execz .LBB314_817
; %bb.814:                              ;   in Loop: Header=BB314_424 Depth=1
	v_and_b32_e32 v0, 7, v9
	v_lshrrev_b32_e32 v10, 3, v103
	s_mov_b32 s16, exec_lo
	v_cmpx_gt_u32_e32 8, v103
; %bb.815:                              ;   in Loop: Header=BB314_424 Depth=1
	s_delay_alu instid0(VALU_DEP_3) | instskip(NEXT) | instid1(VALU_DEP_1)
	v_clz_i32_u32_e32 v10, v0
	v_min_u32_e32 v10, 32, v10
	s_delay_alu instid0(VALU_DEP_1) | instskip(SKIP_1) | instid1(VALU_DEP_2)
	v_subrev_nc_u32_e32 v102, 28, v10
	v_sub_nc_u32_e32 v10, 29, v10
	v_lshlrev_b64 v[102:103], v102, v[0:1]
	s_delay_alu instid0(VALU_DEP_1)
	v_and_b32_e32 v0, 7, v102
; %bb.816:                              ;   in Loop: Header=BB314_424 Depth=1
	s_or_b32 exec_lo, exec_lo, s16
	v_lshlrev_b32_e32 v9, 8, v9
	v_lshl_add_u32 v10, v10, 10, 0x2000
	s_delay_alu instid0(VALU_DEP_1) | instskip(NEXT) | instid1(VALU_DEP_1)
	v_and_or_b32 v9, 0x8000, v9, v10
	v_lshl_or_b32 v0, v0, 7, v9
	s_delay_alu instid0(VALU_DEP_1)
	v_cvt_f32_f16_e32 v102, v0
.LBB314_817:                            ;   in Loop: Header=BB314_424 Depth=1
	s_or_b32 exec_lo, exec_lo, s15
.LBB314_818:                            ;   in Loop: Header=BB314_424 Depth=1
	s_delay_alu instid0(SALU_CYCLE_1)
	s_or_b32 exec_lo, exec_lo, s13
.LBB314_819:                            ;   in Loop: Header=BB314_424 Depth=1
	s_delay_alu instid0(SALU_CYCLE_1)
	s_or_b32 exec_lo, exec_lo, s12
	s_waitcnt vmcnt(0) lgkmcnt(0)
	v_fma_mixlo_f16 v10, v96, v98, 0
	v_fma_mixlo_f16 v0, v96, v100, 0
	;; [unrolled: 1-line block ×5, first 2 shown]
	v_lshlrev_b32_e32 v98, 16, v10
	v_fma_mixlo_f16 v10, v96, v97, 0
	v_fma_mixlo_f16 v97, v96, v101, 0
	;; [unrolled: 1-line block ×3, first 2 shown]
	v_lshlrev_b32_e32 v0, 16, v0
	v_and_b32_e32 v9, 0xffff, v9
	v_and_b32_e32 v12, 0xffff, v10
	v_lshlrev_b32_e32 v96, 16, v97
	v_and_b32_e32 v97, 0xffff, v99
	v_lshlrev_b32_e32 v99, 16, v100
	v_and_b32_e32 v100, 0xffff, v11
	v_or_b32_e32 v10, v0, v9
	v_or_b32_e32 v12, v98, v12
	;; [unrolled: 1-line block ×3, first 2 shown]
	s_delay_alu instid0(VALU_DEP_4)
	v_or_b32_e32 v9, v99, v100
	s_and_saveexec_b32 s0, vcc_lo
	s_cbranch_execz .LBB314_422
; %bb.820:                              ;   in Loop: Header=BB314_424 Depth=1
	v_cmp_lt_i32_e32 vcc_lo, v18, v35
	v_lshrrev_b32_e32 v96, 16, v12
	v_lshrrev_b32_e32 v9, 16, v9
	;; [unrolled: 1-line block ×3, first 2 shown]
	v_cndmask_b32_e32 v12, 0, v12, vcc_lo
	v_cmp_lt_i32_e32 vcc_lo, v67, v51
	v_lshrrev_b32_e32 v67, 16, v0
	v_cndmask_b32_e32 v18, 0, v96, vcc_lo
	v_cmp_lt_i32_e32 vcc_lo, v66, v51
	v_cndmask_b32_e32 v66, 0, v97, vcc_lo
	v_cmp_lt_i32_e32 vcc_lo, v65, v35
	;; [unrolled: 2-line block ×3, first 2 shown]
	s_delay_alu instid0(VALU_DEP_2) | instskip(SKIP_4) | instid1(VALU_DEP_2)
	v_perm_b32 v10, v66, v10, 0x5040100
	v_cndmask_b32_e32 v64, 0, v67, vcc_lo
	v_cmp_lt_i32_e32 vcc_lo, v55, v35
	v_cndmask_b32_e32 v0, 0, v0, vcc_lo
	v_cmp_lt_i32_e32 vcc_lo, v54, v51
	v_perm_b32 v0, v64, v0, 0x5040100
	v_cndmask_b32_e32 v9, 0, v9, vcc_lo
	v_cmp_lt_i32_e32 vcc_lo, v19, v35
	v_cndmask_b32_e32 v11, 0, v11, vcc_lo
	v_perm_b32 v12, v18, v12, 0x5040100
	s_delay_alu instid0(VALU_DEP_2)
	v_perm_b32 v9, v9, v11, 0x5040100
	s_branch .LBB314_422
.LBB314_821:
	s_or_b32 exec_lo, exec_lo, s5
	s_load_b32 s0, s[6:7], 0x0
	s_waitcnt lgkmcnt(0)
	v_mov_b32_e32 v0, s0
.LBB314_822:
	s_or_b32 exec_lo, exec_lo, s3
	ds_bpermute_b32 v1, v21, v31
	ds_bpermute_b32 v2, v21, v29
	;; [unrolled: 1-line block ×6, first 2 shown]
	v_and_b32_e32 v6, 0x3c1, v34
	v_lshrrev_b32_e32 v8, 1, v20
	v_mad_u32_u24 v9, 0x180, v48, v0
	s_waitcnt lgkmcnt(0)
	s_waitcnt_vscnt null, 0x0
	s_barrier
	buffer_gl0_inv
	v_add_f32_e32 v7, v31, v1
	v_cmp_eq_u32_e32 vcc_lo, 64, v6
	v_add_f32_e32 v6, v29, v2
	v_dual_add_f32 v3, v25, v3 :: v_dual_add_f32 v2, v28, v10
	v_add_f32_e32 v1, v24, v11
	v_add_f32_e32 v0, v32, v12
	v_lshlrev_b32_e32 v10, 2, v8
	s_and_saveexec_b32 s0, vcc_lo
	s_cbranch_execz .LBB314_824
; %bb.823:
	s_delay_alu instid0(VALU_DEP_1)
	v_add3_u32 v11, v9, v10, 0xfffffd00
	ds_store_2addr_b32 v11, v7, v6 offset1:16
	ds_store_2addr_b32 v11, v3, v2 offset0:32 offset1:48
	ds_store_2addr_b32 v11, v1, v0 offset0:64 offset1:80
.LBB314_824:
	s_or_b32 exec_lo, exec_lo, s0
	v_cmp_eq_u32_e32 vcc_lo, 0, v36
	s_mov_b32 s3, exec_lo
	s_waitcnt lgkmcnt(0)
	s_barrier
	buffer_gl0_inv
	v_cmpx_gt_u32_e32 64, v34
	s_cbranch_execz .LBB314_833
; %bb.825:
	s_and_saveexec_b32 s0, vcc_lo
	s_cbranch_execnz .LBB314_847
; %bb.826:
	s_or_b32 exec_lo, exec_lo, s0
	s_and_saveexec_b32 s0, vcc_lo
	s_cbranch_execnz .LBB314_848
.LBB314_827:
	s_or_b32 exec_lo, exec_lo, s0
	s_and_saveexec_b32 s0, vcc_lo
	s_cbranch_execnz .LBB314_849
.LBB314_828:
	s_or_b32 exec_lo, exec_lo, s0
	s_and_saveexec_b32 s0, vcc_lo
	s_cbranch_execnz .LBB314_850
.LBB314_829:
	s_or_b32 exec_lo, exec_lo, s0
	s_and_saveexec_b32 s0, vcc_lo
	s_cbranch_execnz .LBB314_851
.LBB314_830:
	s_or_b32 exec_lo, exec_lo, s0
	s_and_saveexec_b32 s0, vcc_lo
	s_cbranch_execz .LBB314_832
.LBB314_831:
	v_lshl_add_u32 v11, v8, 2, v9
	ds_load_b32 v11, v11 offset:320
	s_waitcnt lgkmcnt(0)
	v_add_f32_e32 v0, v0, v11
.LBB314_832:
	s_or_b32 exec_lo, exec_lo, s0
.LBB314_833:
	s_delay_alu instid0(SALU_CYCLE_1)
	s_or_b32 exec_lo, exec_lo, s3
	v_and_b32_e32 v11, 0x3e1, v34
	s_mov_b32 s3, exec_lo
	s_barrier
	buffer_gl0_inv
	v_cmpx_eq_u32_e32 32, v11
	s_cbranch_execz .LBB314_835
; %bb.834:
	v_add3_u32 v10, v9, v10, 0xfffffe80
	ds_store_2addr_b32 v10, v7, v6 offset1:16
	ds_store_2addr_b32 v10, v3, v2 offset0:32 offset1:48
	ds_store_2addr_b32 v10, v1, v0 offset0:64 offset1:80
.LBB314_835:
	s_or_b32 exec_lo, exec_lo, s3
	s_delay_alu instid0(SALU_CYCLE_1)
	s_mov_b32 s3, exec_lo
	s_waitcnt lgkmcnt(0)
	s_barrier
	buffer_gl0_inv
	v_cmpx_gt_u32_e32 32, v34
	s_cbranch_execz .LBB314_844
; %bb.836:
	v_lshl_add_u32 v8, v8, 2, v9
	s_and_saveexec_b32 s0, vcc_lo
	s_cbranch_execnz .LBB314_852
; %bb.837:
	s_or_b32 exec_lo, exec_lo, s0
	s_and_saveexec_b32 s0, vcc_lo
	s_cbranch_execnz .LBB314_853
.LBB314_838:
	s_or_b32 exec_lo, exec_lo, s0
	s_and_saveexec_b32 s0, vcc_lo
	s_cbranch_execnz .LBB314_854
.LBB314_839:
	s_or_b32 exec_lo, exec_lo, s0
	s_and_saveexec_b32 s0, vcc_lo
	s_cbranch_execnz .LBB314_855
.LBB314_840:
	s_or_b32 exec_lo, exec_lo, s0
	s_and_saveexec_b32 s0, vcc_lo
	s_cbranch_execnz .LBB314_856
.LBB314_841:
	s_or_b32 exec_lo, exec_lo, s0
	s_and_saveexec_b32 s0, vcc_lo
	s_cbranch_execz .LBB314_843
.LBB314_842:
	ds_load_b32 v8, v8 offset:320
	s_waitcnt lgkmcnt(0)
	v_add_f32_e32 v0, v0, v8
.LBB314_843:
	s_or_b32 exec_lo, exec_lo, s0
.LBB314_844:
	s_delay_alu instid0(SALU_CYCLE_1)
	s_or_b32 exec_lo, exec_lo, s3
	v_cmp_eq_u32_e32 vcc_lo, 0, v11
	s_barrier
	buffer_gl0_inv
	s_and_b32 exec_lo, exec_lo, vcc_lo
	s_cbranch_execz .LBB314_846
; %bb.845:
	s_mul_i32 s0, s2, 0x60
	s_mul_i32 s2, s4, s1
	;; [unrolled: 1-line block ×3, first 2 shown]
	s_ashr_i32 s3, s2, 31
	s_ashr_i32 s5, s4, 31
	;; [unrolled: 1-line block ×3, first 2 shown]
	s_lshl_b64 s[2:3], s[2:3], 1
	s_lshl_b64 s[4:5], s[4:5], 1
	;; [unrolled: 1-line block ×3, first 2 shown]
	s_add_u32 s2, s4, s2
	s_addc_u32 s3, s5, s3
	s_add_u32 s0, s2, s0
	s_addc_u32 s1, s3, s1
	v_lshlrev_b32_e32 v8, 1, v33
	v_add_co_u32 v4, vcc_lo, s0, v4
	v_add_co_ci_u32_e32 v5, vcc_lo, s1, v5, vcc_lo
	;;#ASMSTART
	v_cvt_f16_f32 v7, v7;

	;;#ASMEND
	s_delay_alu instid0(VALU_DEP_2) | instskip(NEXT) | instid1(VALU_DEP_2)
	v_add_co_u32 v4, vcc_lo, v4, v8
	v_add_co_ci_u32_e32 v5, vcc_lo, 0, v5, vcc_lo
	flat_store_b16 v[4:5], v7
	;;#ASMSTART
	v_cvt_f16_f32 v6, v6;

	;;#ASMEND
	flat_store_b16 v[4:5], v6 offset:32
	;;#ASMSTART
	v_cvt_f16_f32 v3, v3;

	;;#ASMEND
	flat_store_b16 v[4:5], v3 offset:64
	;;#ASMSTART
	v_cvt_f16_f32 v2, v2;

	;;#ASMEND
	flat_store_b16 v[4:5], v2 offset:96
	;;#ASMSTART
	v_cvt_f16_f32 v1, v1;

	;;#ASMEND
	flat_store_b16 v[4:5], v1 offset:128
	;;#ASMSTART
	v_cvt_f16_f32 v0, v0;

	;;#ASMEND
	flat_store_b16 v[4:5], v0 offset:160
.LBB314_846:
	s_or_b32 exec_lo, exec_lo, s11
	s_waitcnt vmcnt(0) lgkmcnt(0)
	s_setpc_b64 s[30:31]
.LBB314_847:
	v_lshl_add_u32 v11, v8, 2, v9
	ds_load_b32 v11, v11
	s_waitcnt lgkmcnt(0)
	v_add_f32_e32 v7, v7, v11
	s_or_b32 exec_lo, exec_lo, s0
	s_and_saveexec_b32 s0, vcc_lo
	s_cbranch_execz .LBB314_827
.LBB314_848:
	v_lshl_add_u32 v11, v8, 2, v9
	ds_load_b32 v11, v11 offset:64
	s_waitcnt lgkmcnt(0)
	v_add_f32_e32 v6, v6, v11
	s_or_b32 exec_lo, exec_lo, s0
	s_and_saveexec_b32 s0, vcc_lo
	s_cbranch_execz .LBB314_828
.LBB314_849:
	v_lshl_add_u32 v11, v8, 2, v9
	ds_load_b32 v11, v11 offset:128
	s_waitcnt lgkmcnt(0)
	v_add_f32_e32 v3, v3, v11
	s_or_b32 exec_lo, exec_lo, s0
	s_and_saveexec_b32 s0, vcc_lo
	s_cbranch_execz .LBB314_829
.LBB314_850:
	v_lshl_add_u32 v11, v8, 2, v9
	ds_load_b32 v11, v11 offset:192
	s_waitcnt lgkmcnt(0)
	v_add_f32_e32 v2, v2, v11
	s_or_b32 exec_lo, exec_lo, s0
	s_and_saveexec_b32 s0, vcc_lo
	s_cbranch_execz .LBB314_830
.LBB314_851:
	v_lshl_add_u32 v11, v8, 2, v9
	ds_load_b32 v11, v11 offset:256
	s_waitcnt lgkmcnt(0)
	v_add_f32_e32 v1, v1, v11
	s_or_b32 exec_lo, exec_lo, s0
	s_and_saveexec_b32 s0, vcc_lo
	s_cbranch_execnz .LBB314_831
	s_branch .LBB314_832
.LBB314_852:
	ds_load_b32 v9, v8
	s_waitcnt lgkmcnt(0)
	v_add_f32_e32 v7, v7, v9
	s_or_b32 exec_lo, exec_lo, s0
	s_and_saveexec_b32 s0, vcc_lo
	s_cbranch_execz .LBB314_838
.LBB314_853:
	ds_load_b32 v9, v8 offset:64
	s_waitcnt lgkmcnt(0)
	v_add_f32_e32 v6, v6, v9
	s_or_b32 exec_lo, exec_lo, s0
	s_and_saveexec_b32 s0, vcc_lo
	s_cbranch_execz .LBB314_839
.LBB314_854:
	ds_load_b32 v9, v8 offset:128
	s_waitcnt lgkmcnt(0)
	v_add_f32_e32 v3, v3, v9
	s_or_b32 exec_lo, exec_lo, s0
	s_and_saveexec_b32 s0, vcc_lo
	s_cbranch_execz .LBB314_840
.LBB314_855:
	ds_load_b32 v9, v8 offset:192
	s_waitcnt lgkmcnt(0)
	v_add_f32_e32 v2, v2, v9
	s_or_b32 exec_lo, exec_lo, s0
	s_and_saveexec_b32 s0, vcc_lo
	s_cbranch_execz .LBB314_841
.LBB314_856:
	ds_load_b32 v9, v8 offset:256
	s_waitcnt lgkmcnt(0)
	v_add_f32_e32 v1, v1, v9
	s_or_b32 exec_lo, exec_lo, s0
	s_and_saveexec_b32 s0, vcc_lo
	s_cbranch_execnz .LBB314_842
	s_branch .LBB314_843
.Lfunc_end314:
	.size	_ZN4vllm22paged_attention_kernelIthLi96ELi16ELi128ELNS_18Fp8KVCacheDataTypeE1ELb1ELi512EEEvPfS2_PT_PKS3_PKT0_S9_ifPKiSB_iPKfiiiSD_SD_iiiii, .Lfunc_end314-_ZN4vllm22paged_attention_kernelIthLi96ELi16ELi128ELNS_18Fp8KVCacheDataTypeE1ELb1ELi512EEEvPfS2_PT_PKS3_PKT0_S9_ifPKiSB_iPKfiiiSD_SD_iiiii
                                        ; -- End function
	.section	.AMDGPU.csdata,"",@progbits
; Function info:
; codeLenInByte = 33020
; NumSgprs: 35
; NumVgprs: 184
; ScratchSize: 12
; MemoryBound: 0
	.section	.text._ZN4vllm25paged_attention_v2_kernelIthLi96ELi16ELi128ELNS_18Fp8KVCacheDataTypeE1ELb1ELi512EEEvPfS2_PT_PKS3_PKT0_S9_ifPKiSB_iPKfiiiSD_SD_iiiii,"axG",@progbits,_ZN4vllm25paged_attention_v2_kernelIthLi96ELi16ELi128ELNS_18Fp8KVCacheDataTypeE1ELb1ELi512EEEvPfS2_PT_PKS3_PKT0_S9_ifPKiSB_iPKfiiiSD_SD_iiiii,comdat
	.protected	_ZN4vllm25paged_attention_v2_kernelIthLi96ELi16ELi128ELNS_18Fp8KVCacheDataTypeE1ELb1ELi512EEEvPfS2_PT_PKS3_PKT0_S9_ifPKiSB_iPKfiiiSD_SD_iiiii ; -- Begin function _ZN4vllm25paged_attention_v2_kernelIthLi96ELi16ELi128ELNS_18Fp8KVCacheDataTypeE1ELb1ELi512EEEvPfS2_PT_PKS3_PKT0_S9_ifPKiSB_iPKfiiiSD_SD_iiiii
	.globl	_ZN4vllm25paged_attention_v2_kernelIthLi96ELi16ELi128ELNS_18Fp8KVCacheDataTypeE1ELb1ELi512EEEvPfS2_PT_PKS3_PKT0_S9_ifPKiSB_iPKfiiiSD_SD_iiiii
	.p2align	8
	.type	_ZN4vllm25paged_attention_v2_kernelIthLi96ELi16ELi128ELNS_18Fp8KVCacheDataTypeE1ELb1ELi512EEEvPfS2_PT_PKS3_PKT0_S9_ifPKiSB_iPKfiiiSD_SD_iiiii,@function
_ZN4vllm25paged_attention_v2_kernelIthLi96ELi16ELi128ELNS_18Fp8KVCacheDataTypeE1ELb1ELi512EEEvPfS2_PT_PKS3_PKT0_S9_ifPKiSB_iPKfiiiSD_SD_iiiii: ; @_ZN4vllm25paged_attention_v2_kernelIthLi96ELi16ELi128ELNS_18Fp8KVCacheDataTypeE1ELb1ELi512EEEvPfS2_PT_PKS3_PKT0_S9_ifPKiSB_iPKfiiiSD_SD_iiiii
; %bb.0:
	s_mov_b32 s12, s13
	s_clause 0x7
	s_load_b128 s[4:7], s[0:1], 0x78
	s_load_b32 s8, s[0:1], 0x88
	s_load_b256 s[24:31], s[0:1], 0x0
	s_load_b256 s[36:43], s[0:1], 0x20
	s_load_b64 s[2:3], s[0:1], 0x40
	s_load_b64 s[10:11], s[0:1], 0x50
	s_load_b32 s13, s[0:1], 0x48
	s_load_b256 s[16:23], s[0:1], 0x58
	s_mov_b32 s32, 0
	v_mov_b32_e32 v31, v0
	s_waitcnt lgkmcnt(0)
	v_dual_mov_b32 v1, s7 :: v_dual_mov_b32 v2, s8
	v_dual_mov_b32 v0, s24 :: v_dual_mov_b32 v3, s27
	;; [unrolled: 1-line block ×3, first 2 shown]
	v_mov_b32_e32 v6, s30
	scratch_store_b64 off, v[1:2], s32
	v_dual_mov_b32 v1, s25 :: v_dual_mov_b32 v2, s26
	v_dual_mov_b32 v7, s31 :: v_dual_mov_b32 v8, s36
	;; [unrolled: 1-line block ×13, first 2 shown]
	s_add_u32 s8, s0, 0x90
	s_addc_u32 s9, s1, 0
	s_mov_b32 s13, s14
	s_mov_b32 s14, s15
	s_movk_i32 s15, 0x70
	s_getpc_b64 s[0:1]
	s_add_u32 s0, s0, _ZN4vllm22paged_attention_kernelIthLi96ELi16ELi128ELNS_18Fp8KVCacheDataTypeE1ELb1ELi512EEEvPfS2_PT_PKS3_PKT0_S9_ifPKiSB_iPKfiiiSD_SD_iiiii@rel32@lo+4
	s_addc_u32 s1, s1, _ZN4vllm22paged_attention_kernelIthLi96ELi16ELi128ELNS_18Fp8KVCacheDataTypeE1ELb1ELi512EEEvPfS2_PT_PKS3_PKT0_S9_ifPKiSB_iPKfiiiSD_SD_iiiii@rel32@hi+12
	s_delay_alu instid0(SALU_CYCLE_1)
	s_swappc_b64 s[30:31], s[0:1]
	s_endpgm
	.section	.rodata,"a",@progbits
	.p2align	6, 0x0
	.amdhsa_kernel _ZN4vllm25paged_attention_v2_kernelIthLi96ELi16ELi128ELNS_18Fp8KVCacheDataTypeE1ELb1ELi512EEEvPfS2_PT_PKS3_PKT0_S9_ifPKiSB_iPKfiiiSD_SD_iiiii
		.amdhsa_group_segment_fixed_size 224
		.amdhsa_private_segment_fixed_size 12
		.amdhsa_kernarg_size 400
		.amdhsa_user_sgpr_count 13
		.amdhsa_user_sgpr_dispatch_ptr 0
		.amdhsa_user_sgpr_queue_ptr 0
		.amdhsa_user_sgpr_kernarg_segment_ptr 1
		.amdhsa_user_sgpr_dispatch_id 0
		.amdhsa_user_sgpr_private_segment_size 0
		.amdhsa_wavefront_size32 1
		.amdhsa_uses_dynamic_stack 0
		.amdhsa_enable_private_segment 1
		.amdhsa_system_sgpr_workgroup_id_x 1
		.amdhsa_system_sgpr_workgroup_id_y 1
		.amdhsa_system_sgpr_workgroup_id_z 1
		.amdhsa_system_sgpr_workgroup_info 0
		.amdhsa_system_vgpr_workitem_id 0
		.amdhsa_next_free_vgpr 184
		.amdhsa_next_free_sgpr 44
		.amdhsa_reserve_vcc 1
		.amdhsa_float_round_mode_32 0
		.amdhsa_float_round_mode_16_64 0
		.amdhsa_float_denorm_mode_32 3
		.amdhsa_float_denorm_mode_16_64 3
		.amdhsa_dx10_clamp 1
		.amdhsa_ieee_mode 1
		.amdhsa_fp16_overflow 0
		.amdhsa_workgroup_processor_mode 1
		.amdhsa_memory_ordered 1
		.amdhsa_forward_progress 0
		.amdhsa_shared_vgpr_count 0
		.amdhsa_exception_fp_ieee_invalid_op 0
		.amdhsa_exception_fp_denorm_src 0
		.amdhsa_exception_fp_ieee_div_zero 0
		.amdhsa_exception_fp_ieee_overflow 0
		.amdhsa_exception_fp_ieee_underflow 0
		.amdhsa_exception_fp_ieee_inexact 0
		.amdhsa_exception_int_div_zero 0
	.end_amdhsa_kernel
	.section	.text._ZN4vllm25paged_attention_v2_kernelIthLi96ELi16ELi128ELNS_18Fp8KVCacheDataTypeE1ELb1ELi512EEEvPfS2_PT_PKS3_PKT0_S9_ifPKiSB_iPKfiiiSD_SD_iiiii,"axG",@progbits,_ZN4vllm25paged_attention_v2_kernelIthLi96ELi16ELi128ELNS_18Fp8KVCacheDataTypeE1ELb1ELi512EEEvPfS2_PT_PKS3_PKT0_S9_ifPKiSB_iPKfiiiSD_SD_iiiii,comdat
.Lfunc_end315:
	.size	_ZN4vllm25paged_attention_v2_kernelIthLi96ELi16ELi128ELNS_18Fp8KVCacheDataTypeE1ELb1ELi512EEEvPfS2_PT_PKS3_PKT0_S9_ifPKiSB_iPKfiiiSD_SD_iiiii, .Lfunc_end315-_ZN4vllm25paged_attention_v2_kernelIthLi96ELi16ELi128ELNS_18Fp8KVCacheDataTypeE1ELb1ELi512EEEvPfS2_PT_PKS3_PKT0_S9_ifPKiSB_iPKfiiiSD_SD_iiiii
                                        ; -- End function
	.section	.AMDGPU.csdata,"",@progbits
; Kernel info:
; codeLenInByte = 280
; NumSgprs: 46
; NumVgprs: 184
; ScratchSize: 12
; MemoryBound: 0
; FloatMode: 240
; IeeeMode: 1
; LDSByteSize: 224 bytes/workgroup (compile time only)
; SGPRBlocks: 5
; VGPRBlocks: 22
; NumSGPRsForWavesPerEU: 46
; NumVGPRsForWavesPerEU: 184
; Occupancy: 8
; WaveLimiterHint : 1
; COMPUTE_PGM_RSRC2:SCRATCH_EN: 1
; COMPUTE_PGM_RSRC2:USER_SGPR: 13
; COMPUTE_PGM_RSRC2:TRAP_HANDLER: 0
; COMPUTE_PGM_RSRC2:TGID_X_EN: 1
; COMPUTE_PGM_RSRC2:TGID_Y_EN: 1
; COMPUTE_PGM_RSRC2:TGID_Z_EN: 1
; COMPUTE_PGM_RSRC2:TIDIG_COMP_CNT: 0
	.text
	.p2align	2                               ; -- Begin function _ZN4vllm22paged_attention_kernelIthLi112ELi16ELi128ELNS_18Fp8KVCacheDataTypeE1ELb1ELi512EEEvPfS2_PT_PKS3_PKT0_S9_ifPKiSB_iPKfiiiSD_SD_iiiii
	.type	_ZN4vllm22paged_attention_kernelIthLi112ELi16ELi128ELNS_18Fp8KVCacheDataTypeE1ELb1ELi512EEEvPfS2_PT_PKS3_PKT0_S9_ifPKiSB_iPKfiiiSD_SD_iiiii,@function
_ZN4vllm22paged_attention_kernelIthLi112ELi16ELi128ELNS_18Fp8KVCacheDataTypeE1ELb1ELi512EEEvPfS2_PT_PKS3_PKT0_S9_ifPKiSB_iPKfiiiSD_SD_iiiii: ; @_ZN4vllm22paged_attention_kernelIthLi112ELi16ELi128ELNS_18Fp8KVCacheDataTypeE1ELb1ELi512EEEvPfS2_PT_PKS3_PKT0_S9_ifPKiSB_iPKfiiiSD_SD_iiiii
; %bb.0:
	s_waitcnt vmcnt(0) expcnt(0) lgkmcnt(0)
	s_clause 0x7
	scratch_store_b32 off, v40, s32 offset:36
	; meta instruction
	scratch_store_b32 off, v41, s32 offset:32
	; meta instruction
	;; [unrolled: 2-line block ×7, first 2 shown]
	scratch_store_b32 off, v47, s32 offset:8
	s_mov_b32 s10, s13
	s_ashr_i32 s11, s13, 31
	s_lshl_b32 s16, s14, 9
	s_lshl_b64 s[0:1], s[10:11], 2
	s_mov_b32 s11, exec_lo
	v_add_co_u32 v16, vcc_lo, v16, s0
	v_add_co_ci_u32_e32 v17, vcc_lo, s1, v17, vcc_lo
	flat_load_b32 v35, v[16:17]
	s_clause 0x1
	scratch_load_b32 v32, off, s32 offset:4
	scratch_load_b32 v39, off, s32
	s_waitcnt vmcnt(2) lgkmcnt(0)
	v_cmpx_lt_i32_e64 s16, v35
	s_cbranch_execz .LBB316_978
; %bb.1:
	v_sub_nc_u32_e32 v16, 0, v12
	s_clause 0x1
	s_load_b32 s0, s[8:9], 0x10
	s_load_b32 s1, s[8:9], 0x0
	s_mov_b32 s6, s15
	v_mov_b32_e32 v55, 0
	v_max_i32_e32 v16, v12, v16
	s_delay_alu instid0(VALU_DEP_1) | instskip(SKIP_1) | instid1(VALU_DEP_2)
	v_cvt_f32_u32_e32 v17, v16
	v_sub_nc_u32_e32 v33, 0, v16
	v_rcp_iflag_f32_e32 v17, v17
	s_waitcnt lgkmcnt(0)
	s_lshr_b32 s0, s0, 16
	s_delay_alu instid0(SALU_CYCLE_1) | instskip(SKIP_3) | instid1(SALU_CYCLE_1)
	s_cmp_lg_u32 s0, 0
	s_waitcnt_depctr 0xfff
	v_mul_f32_e32 v17, 0x4f7ffffe, v17
	s_cselect_b32 s0, -1, 0
	s_cmp_lg_u32 s0, 0
	s_delay_alu instid0(VALU_DEP_1) | instskip(SKIP_3) | instid1(VALU_DEP_1)
	v_cvt_u32_f32_e32 v17, v17
	s_addc_u32 s15, s1, 0
	s_mov_b32 s1, exec_lo
	s_abs_i32 s0, s15
	v_mul_lo_u32 v33, v33, v17
	s_delay_alu instid0(VALU_DEP_1) | instskip(NEXT) | instid1(VALU_DEP_1)
	v_mul_hi_u32 v33, v17, v33
	v_add_nc_u32_e32 v17, v17, v33
	s_delay_alu instid0(VALU_DEP_1) | instskip(NEXT) | instid1(VALU_DEP_1)
	v_mul_hi_u32 v17, s0, v17
	v_mul_lo_u32 v33, v17, v16
	s_delay_alu instid0(VALU_DEP_1) | instskip(SKIP_1) | instid1(VALU_DEP_1)
	v_sub_nc_u32_e32 v33, s0, v33
	s_abs_i32 s0, s12
	v_sub_nc_u32_e32 v36, v33, v16
	v_cmp_ge_u32_e32 vcc_lo, v33, v16
	s_delay_alu instid0(VALU_DEP_2) | instskip(NEXT) | instid1(VALU_DEP_1)
	v_dual_cndmask_b32 v33, v33, v36 :: v_dual_add_nc_u32 v34, 1, v17
	v_cndmask_b32_e32 v17, v17, v34, vcc_lo
	v_xor_b32_e32 v34, s15, v12
	s_delay_alu instid0(VALU_DEP_3) | instskip(NEXT) | instid1(VALU_DEP_3)
	v_cmp_ge_u32_e32 vcc_lo, v33, v16
	v_add_nc_u32_e32 v36, 1, v17
	s_delay_alu instid0(VALU_DEP_3) | instskip(NEXT) | instid1(VALU_DEP_2)
	v_ashrrev_i32_e32 v34, 31, v34
	v_cndmask_b32_e32 v16, v17, v36, vcc_lo
	s_delay_alu instid0(VALU_DEP_1) | instskip(NEXT) | instid1(VALU_DEP_1)
	v_xor_b32_e32 v16, v16, v34
	v_sub_nc_u32_e32 v33, v16, v34
	s_delay_alu instid0(VALU_DEP_1) | instskip(NEXT) | instid1(VALU_DEP_1)
	v_sub_nc_u32_e32 v16, 0, v33
	v_max_i32_e32 v38, v33, v16
	s_delay_alu instid0(VALU_DEP_1) | instskip(SKIP_1) | instid1(VALU_DEP_2)
	v_cvt_f32_u32_e32 v16, v38
	v_sub_nc_u32_e32 v17, 0, v38
	v_rcp_iflag_f32_e32 v16, v16
	s_waitcnt_depctr 0xfff
	v_mul_f32_e32 v16, 0x4f7ffffe, v16
	s_delay_alu instid0(VALU_DEP_1) | instskip(NEXT) | instid1(VALU_DEP_1)
	v_cvt_u32_f32_e32 v16, v16
	v_mul_lo_u32 v17, v17, v16
	s_delay_alu instid0(VALU_DEP_1) | instskip(NEXT) | instid1(VALU_DEP_1)
	v_mul_hi_u32 v17, v16, v17
	v_add_nc_u32_e32 v34, v16, v17
	s_delay_alu instid0(VALU_DEP_1)
	v_mad_u64_u32 v[16:17], null, s0, v34, 0
	v_cmpx_ne_u64_e32 0, v[19:20]
	s_cbranch_execz .LBB316_3
; %bb.2:
	s_ashr_i32 s13, s12, 31
	s_delay_alu instid0(SALU_CYCLE_1) | instskip(NEXT) | instid1(SALU_CYCLE_1)
	s_lshl_b64 s[2:3], s[12:13], 2
	v_add_co_u32 v19, vcc_lo, v19, s2
	v_add_co_ci_u32_e32 v20, vcc_lo, s3, v20, vcc_lo
	flat_load_b32 v55, v[19:20]
.LBB316_3:
	s_or_b32 exec_lo, exec_lo, s1
	v_and_b32_e32 v34, 0x3ff, v31
	v_ashrrev_i32_e32 v16, 31, v33
	s_ashr_i32 s1, s12, 31
	s_mul_i32 s4, s12, 0x70
	s_mov_b32 s2, exec_lo
	v_lshrrev_b32_e32 v33, 1, v34
	v_and_b32_e32 v36, 1, v34
	v_lshlrev_b32_e32 v51, 3, v34
	v_cmpx_gt_u32_e32 28, v34
	s_cbranch_execz .LBB316_5
; %bb.4:
	v_mul_lo_u32 v19, s10, v21
	s_ashr_i32 s5, s4, 31
	s_delay_alu instid0(SALU_CYCLE_1) | instskip(NEXT) | instid1(VALU_DEP_1)
	s_lshl_b64 s[18:19], s[4:5], 1
	v_ashrrev_i32_e32 v20, 31, v19
	s_delay_alu instid0(VALU_DEP_1) | instskip(NEXT) | instid1(VALU_DEP_1)
	v_lshlrev_b64 v[19:20], 1, v[19:20]
	v_add_co_u32 v6, vcc_lo, v6, v19
	s_delay_alu instid0(VALU_DEP_2) | instskip(SKIP_1) | instid1(VALU_DEP_3)
	v_add_co_ci_u32_e32 v7, vcc_lo, v7, v20, vcc_lo
	v_lshlrev_b32_e32 v19, 3, v33
	v_add_co_u32 v6, vcc_lo, v6, s18
	s_delay_alu instid0(VALU_DEP_3) | instskip(NEXT) | instid1(VALU_DEP_3)
	v_add_co_ci_u32_e32 v7, vcc_lo, s19, v7, vcc_lo
	v_mad_u32_u24 v19, 0x70, v36, v19
	s_delay_alu instid0(VALU_DEP_3) | instskip(NEXT) | instid1(VALU_DEP_3)
	v_add_co_u32 v6, vcc_lo, v6, v51
	v_add_co_ci_u32_e32 v7, vcc_lo, 0, v7, vcc_lo
	flat_load_b64 v[6:7], v[6:7]
	s_waitcnt vmcnt(0) lgkmcnt(0)
	ds_store_b64 v19, v[6:7]
.LBB316_5:
	s_or_b32 exec_lo, exec_lo, s2
	s_waitcnt vmcnt(0)
	v_sub_nc_u32_e32 v6, 0, v39
	v_mul_lo_u32 v7, v17, v38
	v_add_nc_u32_e32 v20, 1, v17
	v_xor_b32_e32 v48, s1, v16
	s_waitcnt lgkmcnt(0)
	s_waitcnt_vscnt null, 0x0
	v_max_i32_e32 v37, v39, v6
	s_barrier
	buffer_gl0_inv
	v_sub_nc_u32_e32 v19, s0, v7
	v_cvt_f32_u32_e32 v6, v37
	v_sub_nc_u32_e32 v7, 0, v37
	s_mov_b32 s0, exec_lo
	s_delay_alu instid0(VALU_DEP_3) | instskip(NEXT) | instid1(VALU_DEP_3)
	v_cmp_ge_u32_e32 vcc_lo, v19, v38
	v_rcp_iflag_f32_e32 v6, v6
	v_sub_nc_u32_e32 v21, v19, v38
	v_cndmask_b32_e32 v17, v17, v20, vcc_lo
	s_delay_alu instid0(VALU_DEP_2) | instskip(NEXT) | instid1(VALU_DEP_2)
	v_cndmask_b32_e32 v19, v19, v21, vcc_lo
	v_add_nc_u32_e32 v20, 1, v17
	s_waitcnt_depctr 0xfff
	v_mul_f32_e32 v6, 0x4f7ffffe, v6
	v_cmp_ge_u32_e32 vcc_lo, v19, v38
	s_delay_alu instid0(VALU_DEP_2) | instskip(SKIP_1) | instid1(VALU_DEP_2)
	v_cvt_u32_f32_e32 v6, v6
	v_cndmask_b32_e32 v16, v17, v20, vcc_lo
	v_mul_lo_u32 v31, v7, v6
	v_add_nc_u32_e32 v7, -1, v35
	s_delay_alu instid0(VALU_DEP_2) | instskip(NEXT) | instid1(VALU_DEP_2)
	v_mul_hi_u32 v21, v6, v31
	v_sub_nc_u32_e32 v31, 0, v7
	s_delay_alu instid0(VALU_DEP_1) | instskip(NEXT) | instid1(VALU_DEP_3)
	v_max_i32_e32 v19, v7, v31
	v_add_nc_u32_e32 v38, v6, v21
	v_xor_b32_e32 v6, v16, v48
	s_delay_alu instid0(VALU_DEP_2) | instskip(NEXT) | instid1(VALU_DEP_2)
	v_mad_u64_u32 v[16:17], null, v19, v38, 0
	v_sub_nc_u32_e32 v16, v6, v48
                                        ; implicit-def: $vgpr6
	v_cmpx_gt_i32_e32 0, v32
	s_xor_b32 s0, exec_lo, s0
; %bb.6:
	s_delay_alu instid0(VALU_DEP_2) | instskip(NEXT) | instid1(VALU_DEP_1)
	v_mad_u64_u32 v[20:21], null, v28, v12, v[16:17]
                                        ; implicit-def: $vgpr28
	v_mul_lo_u32 v6, v20, v32
                                        ; implicit-def: $vgpr32
	s_delay_alu instid0(VALU_DEP_1)
	v_sub_nc_u32_e32 v6, 1, v6
; %bb.7:
	s_or_saveexec_b32 s0, s0
	v_ashrrev_i32_e32 v12, 31, v7
	v_ashrrev_i32_e32 v39, 31, v39
	s_xor_b32 exec_lo, exec_lo, s0
; %bb.8:
	v_mad_u64_u32 v[20:21], null, s15, v28, s[12:13]
	s_delay_alu instid0(VALU_DEP_1)
	v_mad_u64_u32 v[6:7], null, v20, v32, 1
; %bb.9:
	s_or_b32 exec_lo, exec_lo, s0
	v_mul_lo_u32 v7, v17, v37
	v_xor_b32_e32 v31, v12, v39
	s_clause 0x1
	s_load_b32 s17, s[8:9], 0x14
	s_load_b32 s5, s[8:9], 0x8
	v_mul_lo_u32 v18, s10, v18
	v_lshrrev_b32_e32 v48, 5, v34
	s_lshl_b32 s13, s14, 5
	v_mov_b32_e32 v65, 0xff7fffff
	s_add_i32 s0, s13, 32
	v_sub_nc_u32_e32 v7, v19, v7
	v_add_nc_u32_e32 v19, 1, v17
	v_sub_nc_u32_e32 v53, 0, v30
	v_mbcnt_lo_u32_b32 v64, -1, 0
	s_delay_alu instid0(VALU_DEP_4) | instskip(SKIP_1) | instid1(VALU_DEP_2)
	v_sub_nc_u32_e32 v28, v7, v37
	v_cmp_ge_u32_e32 vcc_lo, v7, v37
	v_dual_cndmask_b32 v7, v7, v28 :: v_dual_add_nc_u32 v20, 15, v35
	s_delay_alu instid0(VALU_DEP_1) | instskip(NEXT) | instid1(VALU_DEP_1)
	v_ashrrev_i32_e32 v21, 31, v20
	v_lshrrev_b32_e32 v12, 28, v21
	v_cndmask_b32_e32 v17, v17, v19, vcc_lo
	s_delay_alu instid0(VALU_DEP_4) | instskip(NEXT) | instid1(VALU_DEP_3)
	v_cmp_ge_u32_e32 vcc_lo, v7, v37
	v_add_nc_u32_e32 v20, v20, v12
	s_delay_alu instid0(VALU_DEP_3)
	v_add_nc_u32_e32 v19, 1, v17
	v_mul_lo_u32 v12, v16, v23
	v_or_b32_e32 v16, s13, v48
	v_lshl_add_u32 v23, v48, 4, s16
	v_ashrrev_i32_e32 v52, 4, v20
	v_cndmask_b32_e32 v7, v17, v19, vcc_lo
	v_ashrrev_i32_e32 v19, 31, v18
	v_ashrrev_i32_e32 v17, 31, v16
	s_delay_alu instid0(VALU_DEP_4) | instskip(NEXT) | instid1(VALU_DEP_4)
	v_min_i32_e32 v49, s0, v52
	v_xor_b32_e32 v7, v7, v31
	s_delay_alu instid0(VALU_DEP_4) | instskip(SKIP_1) | instid1(VALU_DEP_4)
	v_lshlrev_b64 v[18:19], 2, v[18:19]
	v_ashrrev_i32_e32 v54, 31, v12
	v_cmp_lt_i32_e64 s0, v16, v49
	s_delay_alu instid0(VALU_DEP_4) | instskip(NEXT) | instid1(VALU_DEP_1)
	v_sub_nc_u32_e32 v7, v7, v31
	v_sub_nc_u32_e32 v50, v7, v29
	s_delay_alu instid0(VALU_DEP_3)
	s_and_saveexec_b32 s18, s0
	s_cbranch_execz .LBB316_467
; %bb.10:
	v_max_i32_e32 v66, v30, v53
	v_bfe_u32 v67, v34, 1, 4
	s_ashr_i32 s7, s6, 31
	s_getpc_b64 s[2:3]
	s_add_u32 s2, s2, llvm.amdgcn.dynlds.offset.table@rel32@lo+4
	s_addc_u32 s3, s3, llvm.amdgcn.dynlds.offset.table@rel32@hi+12
	s_lshl_b64 s[8:9], s[6:7], 2
	v_cvt_f32_u32_e32 v7, v66
	v_sub_nc_u32_e32 v80, v67, v35
	v_sub_nc_u32_e32 v31, 0, v66
	s_add_u32 s8, s8, s2
	s_addc_u32 s9, s9, s3
	v_rcp_iflag_f32_e32 v7, v7
	s_load_b32 s7, s[8:9], 0x0
	v_lshlrev_b64 v[20:21], 2, v[16:17]
	v_add_co_u32 v28, s1, v8, v12
	v_lshlrev_b32_e32 v32, 4, v67
	v_add_co_ci_u32_e64 v29, s1, v9, v54, s1
	s_delay_alu instid0(VALU_DEP_4) | instskip(SKIP_4) | instid1(VALU_DEP_3)
	v_add_co_u32 v81, s2, v18, v20
	s_waitcnt_depctr 0xfff
	v_dual_mul_f32 v7, 0x4f7ffffe, v7 :: v_dual_add_nc_u32 v80, 1, v80
	v_add_co_ci_u32_e64 v82, s2, v19, v21, s2
	v_lshlrev_b32_e32 v71, 2, v67
	v_cvt_u32_f32_e32 v7, v7
	v_add_co_u32 v20, s2, v28, v32
	s_delay_alu instid0(VALU_DEP_1) | instskip(NEXT) | instid1(VALU_DEP_3)
	v_add_co_ci_u32_e64 v21, s2, 0, v29, s2
	v_mul_lo_u32 v31, v31, v7
	v_add_co_u32 v28, s2, v14, v81
	v_cmp_eq_u32_e32 vcc_lo, 0, v36
	v_dual_mov_b32 v8, 0 :: v_dual_lshlrev_b32 v9, 2, v36
	v_mul_u32_u24_e32 v68, 0x70, v36
	v_cmp_neq_f32_e64 s1, 0, v55
	v_mul_hi_u32 v31, v7, v31
	v_lshl_add_u32 v69, v48, 4, s16
	v_dual_mov_b32 v70, 0xff7fffff :: v_dual_mov_b32 v65, 0xff7fffff
	v_add_co_ci_u32_e64 v29, s2, v15, v82, s2
	v_mov_b32_e32 v82, v16
	v_lshl_or_b32 v71, v48, 6, v71
	v_add_nc_u32_e32 v81, v7, v31
	s_mov_b32 s19, 0
	s_branch .LBB316_13
.LBB316_11:                             ;   in Loop: Header=BB316_13 Depth=1
	s_or_b32 exec_lo, exec_lo, s20
.LBB316_12:                             ;   in Loop: Header=BB316_13 Depth=1
	s_delay_alu instid0(SALU_CYCLE_1) | instskip(SKIP_2) | instid1(VALU_DEP_1)
	s_or_b32 exec_lo, exec_lo, s3
	v_add_nc_u32_e32 v82, 4, v82
	v_add_co_u32 v28, s3, v28, 16
	v_add_co_ci_u32_e64 v29, s3, 0, v29, s3
	s_delay_alu instid0(VALU_DEP_3) | instskip(SKIP_2) | instid1(VALU_DEP_3)
	v_cmp_ge_i32_e64 s2, v82, v49
	v_add_nc_u32_e32 v69, 64, v69
	v_add_nc_u32_e32 v71, 0x100, v71
	s_or_b32 s19, s2, s19
	s_delay_alu instid0(SALU_CYCLE_1)
	s_and_not1_b32 exec_lo, exec_lo, s19
	s_cbranch_execz .LBB316_466
.LBB316_13:                             ; =>This Inner Loop Header: Depth=1
	v_sub_nc_u32_e32 v7, 0, v69
	s_delay_alu instid0(VALU_DEP_1) | instskip(SKIP_1) | instid1(VALU_DEP_1)
	v_max_i32_e32 v7, v69, v7
	s_waitcnt lgkmcnt(0)
	v_mul_hi_u32 v31, v7, v38
	s_delay_alu instid0(VALU_DEP_1) | instskip(NEXT) | instid1(VALU_DEP_1)
	v_mul_lo_u32 v32, v31, v37
	v_sub_nc_u32_e32 v7, v7, v32
	v_add_nc_u32_e32 v32, 1, v31
	s_delay_alu instid0(VALU_DEP_2) | instskip(SKIP_1) | instid1(VALU_DEP_1)
	v_sub_nc_u32_e32 v83, v7, v37
	v_cmp_ge_u32_e64 s2, v7, v37
	v_cndmask_b32_e64 v31, v31, v32, s2
	s_delay_alu instid0(VALU_DEP_3) | instskip(SKIP_1) | instid1(VALU_DEP_3)
	v_cndmask_b32_e64 v7, v7, v83, s2
	v_ashrrev_i32_e32 v32, 31, v69
	v_add_nc_u32_e32 v83, 1, v31
	s_delay_alu instid0(VALU_DEP_3) | instskip(NEXT) | instid1(VALU_DEP_3)
	v_cmp_ge_u32_e64 s2, v7, v37
	v_xor_b32_e32 v32, v32, v39
	s_delay_alu instid0(VALU_DEP_2) | instskip(NEXT) | instid1(VALU_DEP_1)
	v_cndmask_b32_e64 v7, v31, v83, s2
	v_xor_b32_e32 v7, v7, v32
	s_delay_alu instid0(VALU_DEP_1) | instskip(NEXT) | instid1(VALU_DEP_1)
	v_sub_nc_u32_e32 v7, v7, v32
	v_add_nc_u32_e32 v31, v7, v6
	v_cmp_le_i32_e64 s3, v7, v50
	s_delay_alu instid0(VALU_DEP_2) | instskip(NEXT) | instid1(VALU_DEP_1)
	v_sub_nc_u32_e32 v32, 0, v31
	v_max_i32_e32 v32, v31, v32
	v_ashrrev_i32_e32 v31, 31, v31
	s_delay_alu instid0(VALU_DEP_2) | instskip(NEXT) | instid1(VALU_DEP_1)
	v_mul_hi_u32 v83, v32, v81
	v_mul_lo_u32 v83, v83, v66
	s_delay_alu instid0(VALU_DEP_1) | instskip(NEXT) | instid1(VALU_DEP_1)
	v_sub_nc_u32_e32 v32, v32, v83
	v_sub_nc_u32_e32 v83, v32, v66
	v_cmp_ge_u32_e64 s2, v32, v66
	s_delay_alu instid0(VALU_DEP_1) | instskip(NEXT) | instid1(VALU_DEP_1)
	v_cndmask_b32_e64 v32, v32, v83, s2
	v_sub_nc_u32_e32 v83, v32, v66
	v_cmp_ge_u32_e64 s2, v32, v66
	s_delay_alu instid0(VALU_DEP_1) | instskip(NEXT) | instid1(VALU_DEP_1)
	v_cndmask_b32_e64 v32, v32, v83, s2
	v_xor_b32_e32 v32, v32, v31
	s_delay_alu instid0(VALU_DEP_1) | instskip(NEXT) | instid1(VALU_DEP_1)
	v_sub_nc_u32_e32 v31, v32, v31
	v_cmp_ne_u32_e64 s2, 0, v31
	s_delay_alu instid0(VALU_DEP_1) | instskip(NEXT) | instid1(SALU_CYCLE_1)
	s_and_b32 s2, s2, s3
	s_and_b32 s20, vcc_lo, s2
	s_delay_alu instid0(SALU_CYCLE_1)
	s_and_saveexec_b32 s3, s20
	s_cbranch_execz .LBB316_15
; %bb.14:                               ;   in Loop: Header=BB316_13 Depth=1
	s_waitcnt lgkmcnt(0)
	v_add_nc_u32_e32 v7, s7, v71
	ds_store_b32 v7, v70
.LBB316_15:                             ;   in Loop: Header=BB316_13 Depth=1
	s_or_b32 exec_lo, exec_lo, s3
	s_xor_b32 s2, s2, -1
	s_delay_alu instid0(SALU_CYCLE_1)
	s_and_saveexec_b32 s3, s2
	s_cbranch_execz .LBB316_12
; %bb.16:                               ;   in Loop: Header=BB316_13 Depth=1
	flat_load_b32 v7, v[28:29]
	v_mov_b32_e32 v85, 0
	s_mov_b32 s20, exec_lo
	v_mov_b32_e32 v84, 0
	s_waitcnt vmcnt(0) lgkmcnt(0)
	v_mad_i64_i32 v[31:32], null, v7, v22, v[20:21]
	s_delay_alu instid0(VALU_DEP_1) | instskip(NEXT) | instid1(VALU_DEP_1)
	v_add_co_u32 v31, s2, v31, v9
	v_add_co_ci_u32_e64 v32, s2, 0, v32, s2
	flat_load_b32 v96, v[31:32]
	flat_load_b32 v83, v[24:25]
	s_waitcnt vmcnt(1) lgkmcnt(1)
	v_and_b32_e32 v7, 0xff, v96
	s_delay_alu instid0(VALU_DEP_1)
	v_cmpx_ne_u16_e32 0, v7
	s_cbranch_execz .LBB316_24
; %bb.17:                               ;   in Loop: Header=BB316_13 Depth=1
	v_bfrev_b32_e32 v84, 1
	s_mov_b32 s21, exec_lo
	v_cmpx_ne_u16_e32 0x80, v7
	s_cbranch_execz .LBB316_23
; %bb.18:                               ;   in Loop: Header=BB316_13 Depth=1
	v_and_b32_e32 v86, 0x7f, v96
	v_mov_b32_e32 v84, 0x7fc02000
	s_mov_b32 s22, exec_lo
	s_delay_alu instid0(VALU_DEP_2)
	v_cmpx_ne_u32_e32 0x7f, v86
	s_cbranch_execz .LBB316_22
; %bb.19:                               ;   in Loop: Header=BB316_13 Depth=1
	v_and_b32_e32 v7, 7, v96
	v_lshrrev_b32_e32 v84, 3, v86
	s_mov_b32 s23, exec_lo
	v_cmpx_gt_u32_e32 8, v86
; %bb.20:                               ;   in Loop: Header=BB316_13 Depth=1
	s_delay_alu instid0(VALU_DEP_3) | instskip(NEXT) | instid1(VALU_DEP_1)
	v_clz_i32_u32_e32 v84, v7
	v_min_u32_e32 v84, 32, v84
	s_delay_alu instid0(VALU_DEP_1) | instskip(SKIP_1) | instid1(VALU_DEP_2)
	v_subrev_nc_u32_e32 v86, 28, v84
	v_sub_nc_u32_e32 v84, 29, v84
	v_lshlrev_b64 v[86:87], v86, v[7:8]
	s_delay_alu instid0(VALU_DEP_1)
	v_and_b32_e32 v7, 7, v86
; %bb.21:                               ;   in Loop: Header=BB316_13 Depth=1
	s_or_b32 exec_lo, exec_lo, s23
	v_lshlrev_b32_e32 v86, 8, v96
	v_lshl_add_u32 v84, v84, 10, 0x2000
	s_delay_alu instid0(VALU_DEP_1) | instskip(NEXT) | instid1(VALU_DEP_1)
	v_and_or_b32 v84, 0x8000, v86, v84
	v_lshl_or_b32 v7, v7, 7, v84
	s_delay_alu instid0(VALU_DEP_1)
	v_cvt_f32_f16_e32 v84, v7
.LBB316_22:                             ;   in Loop: Header=BB316_13 Depth=1
	s_or_b32 exec_lo, exec_lo, s22
.LBB316_23:                             ;   in Loop: Header=BB316_13 Depth=1
	s_delay_alu instid0(SALU_CYCLE_1)
	s_or_b32 exec_lo, exec_lo, s21
.LBB316_24:                             ;   in Loop: Header=BB316_13 Depth=1
	s_delay_alu instid0(SALU_CYCLE_1) | instskip(SKIP_2) | instid1(VALU_DEP_1)
	s_or_b32 exec_lo, exec_lo, s20
	v_lshrrev_b16 v7, 8, v96
	s_mov_b32 s20, exec_lo
	v_cmpx_ne_u16_e32 0, v7
	s_cbranch_execz .LBB316_32
; %bb.25:                               ;   in Loop: Header=BB316_13 Depth=1
	v_bfrev_b32_e32 v85, 1
	s_mov_b32 s21, exec_lo
	v_cmpx_ne_u16_e32 0x80, v7
	s_cbranch_execz .LBB316_31
; %bb.26:                               ;   in Loop: Header=BB316_13 Depth=1
	v_and_b32_e32 v86, 0xffff, v7
	v_mov_b32_e32 v85, 0x7fc02000
	s_mov_b32 s22, exec_lo
	s_delay_alu instid0(VALU_DEP_2) | instskip(NEXT) | instid1(VALU_DEP_1)
	v_and_b32_e32 v87, 0x7f, v86
	v_cmpx_ne_u32_e32 0x7f, v87
	s_cbranch_execz .LBB316_30
; %bb.27:                               ;   in Loop: Header=BB316_13 Depth=1
	v_and_b32_e32 v7, 7, v86
	v_lshrrev_b32_e32 v85, 3, v87
	s_mov_b32 s23, exec_lo
	v_cmpx_gt_u32_e32 8, v87
; %bb.28:                               ;   in Loop: Header=BB316_13 Depth=1
	s_delay_alu instid0(VALU_DEP_3) | instskip(NEXT) | instid1(VALU_DEP_1)
	v_clz_i32_u32_e32 v85, v7
	v_min_u32_e32 v85, 32, v85
	s_delay_alu instid0(VALU_DEP_1) | instskip(SKIP_1) | instid1(VALU_DEP_2)
	v_subrev_nc_u32_e32 v87, 28, v85
	v_sub_nc_u32_e32 v85, 29, v85
	v_lshlrev_b64 v[97:98], v87, v[7:8]
	s_delay_alu instid0(VALU_DEP_1)
	v_and_b32_e32 v7, 7, v97
; %bb.29:                               ;   in Loop: Header=BB316_13 Depth=1
	s_or_b32 exec_lo, exec_lo, s23
	v_lshlrev_b32_e32 v86, 8, v86
	v_lshl_add_u32 v85, v85, 10, 0x2000
	s_delay_alu instid0(VALU_DEP_1) | instskip(NEXT) | instid1(VALU_DEP_1)
	v_and_or_b32 v85, 0x8000, v86, v85
	v_lshl_or_b32 v7, v7, 7, v85
	s_delay_alu instid0(VALU_DEP_1)
	v_cvt_f32_f16_e32 v85, v7
.LBB316_30:                             ;   in Loop: Header=BB316_13 Depth=1
	s_or_b32 exec_lo, exec_lo, s22
.LBB316_31:                             ;   in Loop: Header=BB316_13 Depth=1
	s_delay_alu instid0(SALU_CYCLE_1)
	s_or_b32 exec_lo, exec_lo, s21
.LBB316_32:                             ;   in Loop: Header=BB316_13 Depth=1
	s_delay_alu instid0(SALU_CYCLE_1) | instskip(SKIP_3) | instid1(VALU_DEP_2)
	s_or_b32 exec_lo, exec_lo, s20
	v_lshrrev_b32_e32 v97, 16, v96
	v_mov_b32_e32 v87, 0
	s_mov_b32 s20, exec_lo
	v_dual_mov_b32 v86, 0 :: v_dual_and_b32 v7, 0xff, v97
	s_delay_alu instid0(VALU_DEP_1)
	v_cmpx_ne_u16_e32 0, v7
	s_cbranch_execz .LBB316_40
; %bb.33:                               ;   in Loop: Header=BB316_13 Depth=1
	v_bfrev_b32_e32 v87, 1
	s_mov_b32 s21, exec_lo
	v_cmpx_ne_u16_e32 0x80, v7
	s_cbranch_execz .LBB316_39
; %bb.34:                               ;   in Loop: Header=BB316_13 Depth=1
	v_bfe_u32 v98, v96, 16, 7
	v_mov_b32_e32 v87, 0x7fc02000
	s_mov_b32 s22, exec_lo
	s_delay_alu instid0(VALU_DEP_2)
	v_cmpx_ne_u32_e32 0x7f, v98
	s_cbranch_execz .LBB316_38
; %bb.35:                               ;   in Loop: Header=BB316_13 Depth=1
	v_and_b32_e32 v7, 7, v97
	v_lshrrev_b32_e32 v87, 3, v98
	s_mov_b32 s23, exec_lo
	v_cmpx_gt_u32_e32 8, v98
; %bb.36:                               ;   in Loop: Header=BB316_13 Depth=1
	s_delay_alu instid0(VALU_DEP_3) | instskip(NEXT) | instid1(VALU_DEP_1)
	v_clz_i32_u32_e32 v87, v7
	v_min_u32_e32 v87, 32, v87
	s_delay_alu instid0(VALU_DEP_1) | instskip(SKIP_1) | instid1(VALU_DEP_2)
	v_subrev_nc_u32_e32 v98, 28, v87
	v_sub_nc_u32_e32 v87, 29, v87
	v_lshlrev_b64 v[98:99], v98, v[7:8]
	s_delay_alu instid0(VALU_DEP_1)
	v_and_b32_e32 v7, 7, v98
; %bb.37:                               ;   in Loop: Header=BB316_13 Depth=1
	s_or_b32 exec_lo, exec_lo, s23
	v_lshlrev_b32_e32 v97, 8, v97
	v_lshl_add_u32 v87, v87, 10, 0x2000
	s_delay_alu instid0(VALU_DEP_1) | instskip(NEXT) | instid1(VALU_DEP_1)
	v_and_or_b32 v87, 0x8000, v97, v87
	v_lshl_or_b32 v7, v7, 7, v87
	s_delay_alu instid0(VALU_DEP_1)
	v_cvt_f32_f16_e32 v87, v7
.LBB316_38:                             ;   in Loop: Header=BB316_13 Depth=1
	s_or_b32 exec_lo, exec_lo, s22
.LBB316_39:                             ;   in Loop: Header=BB316_13 Depth=1
	s_delay_alu instid0(SALU_CYCLE_1)
	s_or_b32 exec_lo, exec_lo, s21
.LBB316_40:                             ;   in Loop: Header=BB316_13 Depth=1
	s_delay_alu instid0(SALU_CYCLE_1) | instskip(NEXT) | instid1(SALU_CYCLE_1)
	s_or_b32 exec_lo, exec_lo, s20
	s_mov_b32 s20, exec_lo
	v_cmpx_lt_u32_e32 0xffffff, v96
	s_cbranch_execz .LBB316_48
; %bb.41:                               ;   in Loop: Header=BB316_13 Depth=1
	v_lshrrev_b32_e32 v96, 24, v96
	v_bfrev_b32_e32 v86, 1
	s_mov_b32 s21, exec_lo
	s_delay_alu instid0(VALU_DEP_2)
	v_cmpx_ne_u32_e32 0x80, v96
	s_cbranch_execz .LBB316_47
; %bb.42:                               ;   in Loop: Header=BB316_13 Depth=1
	v_and_b32_e32 v97, 0x7f, v96
	v_mov_b32_e32 v86, 0x7fc02000
	s_mov_b32 s22, exec_lo
	s_delay_alu instid0(VALU_DEP_2)
	v_cmpx_ne_u32_e32 0x7f, v97
	s_cbranch_execz .LBB316_46
; %bb.43:                               ;   in Loop: Header=BB316_13 Depth=1
	v_and_b32_e32 v7, 7, v96
	v_lshrrev_b32_e32 v86, 3, v97
	s_mov_b32 s23, exec_lo
	v_cmpx_gt_u32_e32 8, v97
; %bb.44:                               ;   in Loop: Header=BB316_13 Depth=1
	s_delay_alu instid0(VALU_DEP_3) | instskip(NEXT) | instid1(VALU_DEP_1)
	v_clz_i32_u32_e32 v86, v7
	v_min_u32_e32 v86, 32, v86
	s_delay_alu instid0(VALU_DEP_1) | instskip(SKIP_1) | instid1(VALU_DEP_2)
	v_subrev_nc_u32_e32 v97, 28, v86
	v_sub_nc_u32_e32 v86, 29, v86
	v_lshlrev_b64 v[97:98], v97, v[7:8]
	s_delay_alu instid0(VALU_DEP_1)
	v_and_b32_e32 v7, 7, v97
; %bb.45:                               ;   in Loop: Header=BB316_13 Depth=1
	s_or_b32 exec_lo, exec_lo, s23
	v_lshlrev_b32_e32 v96, 8, v96
	v_lshl_add_u32 v86, v86, 10, 0x2000
	s_delay_alu instid0(VALU_DEP_1) | instskip(NEXT) | instid1(VALU_DEP_1)
	v_and_or_b32 v86, 0x8000, v96, v86
	v_lshl_or_b32 v7, v7, 7, v86
	s_delay_alu instid0(VALU_DEP_1)
	v_cvt_f32_f16_e32 v86, v7
.LBB316_46:                             ;   in Loop: Header=BB316_13 Depth=1
	s_or_b32 exec_lo, exec_lo, s22
.LBB316_47:                             ;   in Loop: Header=BB316_13 Depth=1
	s_delay_alu instid0(SALU_CYCLE_1)
	s_or_b32 exec_lo, exec_lo, s21
.LBB316_48:                             ;   in Loop: Header=BB316_13 Depth=1
	s_delay_alu instid0(SALU_CYCLE_1)
	s_or_b32 exec_lo, exec_lo, s20
	flat_load_b32 v100, v[31:32] offset:8
	v_mov_b32_e32 v97, 0
	s_mov_b32 s20, exec_lo
	s_waitcnt vmcnt(0) lgkmcnt(0)
	v_dual_mov_b32 v96, 0 :: v_dual_and_b32 v7, 0xff, v100
	s_delay_alu instid0(VALU_DEP_1)
	v_cmpx_ne_u16_e32 0, v7
	s_cbranch_execz .LBB316_56
; %bb.49:                               ;   in Loop: Header=BB316_13 Depth=1
	v_bfrev_b32_e32 v96, 1
	s_mov_b32 s21, exec_lo
	v_cmpx_ne_u16_e32 0x80, v7
	s_cbranch_execz .LBB316_55
; %bb.50:                               ;   in Loop: Header=BB316_13 Depth=1
	v_and_b32_e32 v98, 0x7f, v100
	v_mov_b32_e32 v96, 0x7fc02000
	s_mov_b32 s22, exec_lo
	s_delay_alu instid0(VALU_DEP_2)
	v_cmpx_ne_u32_e32 0x7f, v98
	s_cbranch_execz .LBB316_54
; %bb.51:                               ;   in Loop: Header=BB316_13 Depth=1
	v_and_b32_e32 v7, 7, v100
	v_lshrrev_b32_e32 v96, 3, v98
	s_mov_b32 s23, exec_lo
	v_cmpx_gt_u32_e32 8, v98
; %bb.52:                               ;   in Loop: Header=BB316_13 Depth=1
	s_delay_alu instid0(VALU_DEP_3) | instskip(NEXT) | instid1(VALU_DEP_1)
	v_clz_i32_u32_e32 v96, v7
	v_min_u32_e32 v96, 32, v96
	s_delay_alu instid0(VALU_DEP_1) | instskip(SKIP_1) | instid1(VALU_DEP_2)
	v_subrev_nc_u32_e32 v98, 28, v96
	v_sub_nc_u32_e32 v96, 29, v96
	v_lshlrev_b64 v[98:99], v98, v[7:8]
	s_delay_alu instid0(VALU_DEP_1)
	v_and_b32_e32 v7, 7, v98
; %bb.53:                               ;   in Loop: Header=BB316_13 Depth=1
	s_or_b32 exec_lo, exec_lo, s23
	v_lshlrev_b32_e32 v98, 8, v100
	v_lshl_add_u32 v96, v96, 10, 0x2000
	s_delay_alu instid0(VALU_DEP_1) | instskip(NEXT) | instid1(VALU_DEP_1)
	v_and_or_b32 v96, 0x8000, v98, v96
	v_lshl_or_b32 v7, v7, 7, v96
	s_delay_alu instid0(VALU_DEP_1)
	v_cvt_f32_f16_e32 v96, v7
.LBB316_54:                             ;   in Loop: Header=BB316_13 Depth=1
	s_or_b32 exec_lo, exec_lo, s22
.LBB316_55:                             ;   in Loop: Header=BB316_13 Depth=1
	s_delay_alu instid0(SALU_CYCLE_1)
	s_or_b32 exec_lo, exec_lo, s21
.LBB316_56:                             ;   in Loop: Header=BB316_13 Depth=1
	s_delay_alu instid0(SALU_CYCLE_1) | instskip(SKIP_2) | instid1(VALU_DEP_1)
	s_or_b32 exec_lo, exec_lo, s20
	v_lshrrev_b16 v7, 8, v100
	s_mov_b32 s20, exec_lo
	v_cmpx_ne_u16_e32 0, v7
	s_cbranch_execz .LBB316_64
; %bb.57:                               ;   in Loop: Header=BB316_13 Depth=1
	v_bfrev_b32_e32 v97, 1
	s_mov_b32 s21, exec_lo
	v_cmpx_ne_u16_e32 0x80, v7
	s_cbranch_execz .LBB316_63
; %bb.58:                               ;   in Loop: Header=BB316_13 Depth=1
	v_and_b32_e32 v98, 0xffff, v7
	v_mov_b32_e32 v97, 0x7fc02000
	s_mov_b32 s22, exec_lo
	s_delay_alu instid0(VALU_DEP_2) | instskip(NEXT) | instid1(VALU_DEP_1)
	v_and_b32_e32 v99, 0x7f, v98
	v_cmpx_ne_u32_e32 0x7f, v99
	s_cbranch_execz .LBB316_62
; %bb.59:                               ;   in Loop: Header=BB316_13 Depth=1
	v_and_b32_e32 v7, 7, v98
	v_lshrrev_b32_e32 v97, 3, v99
	s_mov_b32 s23, exec_lo
	v_cmpx_gt_u32_e32 8, v99
; %bb.60:                               ;   in Loop: Header=BB316_13 Depth=1
	s_delay_alu instid0(VALU_DEP_3) | instskip(NEXT) | instid1(VALU_DEP_1)
	v_clz_i32_u32_e32 v97, v7
	v_min_u32_e32 v97, 32, v97
	s_delay_alu instid0(VALU_DEP_1) | instskip(SKIP_1) | instid1(VALU_DEP_2)
	v_subrev_nc_u32_e32 v99, 28, v97
	v_sub_nc_u32_e32 v97, 29, v97
	v_lshlrev_b64 v[101:102], v99, v[7:8]
	s_delay_alu instid0(VALU_DEP_1)
	v_and_b32_e32 v7, 7, v101
; %bb.61:                               ;   in Loop: Header=BB316_13 Depth=1
	s_or_b32 exec_lo, exec_lo, s23
	v_lshlrev_b32_e32 v98, 8, v98
	v_lshl_add_u32 v97, v97, 10, 0x2000
	s_delay_alu instid0(VALU_DEP_1) | instskip(NEXT) | instid1(VALU_DEP_1)
	v_and_or_b32 v97, 0x8000, v98, v97
	v_lshl_or_b32 v7, v7, 7, v97
	s_delay_alu instid0(VALU_DEP_1)
	v_cvt_f32_f16_e32 v97, v7
.LBB316_62:                             ;   in Loop: Header=BB316_13 Depth=1
	s_or_b32 exec_lo, exec_lo, s22
.LBB316_63:                             ;   in Loop: Header=BB316_13 Depth=1
	s_delay_alu instid0(SALU_CYCLE_1)
	s_or_b32 exec_lo, exec_lo, s21
.LBB316_64:                             ;   in Loop: Header=BB316_13 Depth=1
	s_delay_alu instid0(SALU_CYCLE_1) | instskip(SKIP_3) | instid1(VALU_DEP_2)
	s_or_b32 exec_lo, exec_lo, s20
	v_lshrrev_b32_e32 v101, 16, v100
	v_mov_b32_e32 v99, 0
	s_mov_b32 s20, exec_lo
	v_dual_mov_b32 v98, 0 :: v_dual_and_b32 v7, 0xff, v101
	s_delay_alu instid0(VALU_DEP_1)
	v_cmpx_ne_u16_e32 0, v7
	s_cbranch_execz .LBB316_72
; %bb.65:                               ;   in Loop: Header=BB316_13 Depth=1
	v_bfrev_b32_e32 v99, 1
	s_mov_b32 s21, exec_lo
	v_cmpx_ne_u16_e32 0x80, v7
	s_cbranch_execz .LBB316_71
; %bb.66:                               ;   in Loop: Header=BB316_13 Depth=1
	v_bfe_u32 v102, v100, 16, 7
	v_mov_b32_e32 v99, 0x7fc02000
	s_mov_b32 s22, exec_lo
	s_delay_alu instid0(VALU_DEP_2)
	v_cmpx_ne_u32_e32 0x7f, v102
	s_cbranch_execz .LBB316_70
; %bb.67:                               ;   in Loop: Header=BB316_13 Depth=1
	v_and_b32_e32 v7, 7, v101
	v_lshrrev_b32_e32 v99, 3, v102
	s_mov_b32 s23, exec_lo
	v_cmpx_gt_u32_e32 8, v102
; %bb.68:                               ;   in Loop: Header=BB316_13 Depth=1
	s_delay_alu instid0(VALU_DEP_3) | instskip(NEXT) | instid1(VALU_DEP_1)
	v_clz_i32_u32_e32 v99, v7
	v_min_u32_e32 v99, 32, v99
	s_delay_alu instid0(VALU_DEP_1) | instskip(SKIP_1) | instid1(VALU_DEP_2)
	v_subrev_nc_u32_e32 v102, 28, v99
	v_sub_nc_u32_e32 v99, 29, v99
	v_lshlrev_b64 v[102:103], v102, v[7:8]
	s_delay_alu instid0(VALU_DEP_1)
	v_and_b32_e32 v7, 7, v102
; %bb.69:                               ;   in Loop: Header=BB316_13 Depth=1
	s_or_b32 exec_lo, exec_lo, s23
	v_lshlrev_b32_e32 v101, 8, v101
	v_lshl_add_u32 v99, v99, 10, 0x2000
	s_delay_alu instid0(VALU_DEP_1) | instskip(NEXT) | instid1(VALU_DEP_1)
	v_and_or_b32 v99, 0x8000, v101, v99
	v_lshl_or_b32 v7, v7, 7, v99
	s_delay_alu instid0(VALU_DEP_1)
	v_cvt_f32_f16_e32 v99, v7
.LBB316_70:                             ;   in Loop: Header=BB316_13 Depth=1
	s_or_b32 exec_lo, exec_lo, s22
.LBB316_71:                             ;   in Loop: Header=BB316_13 Depth=1
	s_delay_alu instid0(SALU_CYCLE_1)
	s_or_b32 exec_lo, exec_lo, s21
.LBB316_72:                             ;   in Loop: Header=BB316_13 Depth=1
	s_delay_alu instid0(SALU_CYCLE_1) | instskip(NEXT) | instid1(SALU_CYCLE_1)
	s_or_b32 exec_lo, exec_lo, s20
	s_mov_b32 s20, exec_lo
	v_cmpx_lt_u32_e32 0xffffff, v100
	s_cbranch_execz .LBB316_80
; %bb.73:                               ;   in Loop: Header=BB316_13 Depth=1
	v_lshrrev_b32_e32 v100, 24, v100
	v_bfrev_b32_e32 v98, 1
	s_mov_b32 s21, exec_lo
	s_delay_alu instid0(VALU_DEP_2)
	v_cmpx_ne_u32_e32 0x80, v100
	s_cbranch_execz .LBB316_79
; %bb.74:                               ;   in Loop: Header=BB316_13 Depth=1
	v_and_b32_e32 v101, 0x7f, v100
	v_mov_b32_e32 v98, 0x7fc02000
	s_mov_b32 s22, exec_lo
	s_delay_alu instid0(VALU_DEP_2)
	v_cmpx_ne_u32_e32 0x7f, v101
	s_cbranch_execz .LBB316_78
; %bb.75:                               ;   in Loop: Header=BB316_13 Depth=1
	v_and_b32_e32 v7, 7, v100
	v_lshrrev_b32_e32 v98, 3, v101
	s_mov_b32 s23, exec_lo
	v_cmpx_gt_u32_e32 8, v101
; %bb.76:                               ;   in Loop: Header=BB316_13 Depth=1
	s_delay_alu instid0(VALU_DEP_3) | instskip(NEXT) | instid1(VALU_DEP_1)
	v_clz_i32_u32_e32 v98, v7
	v_min_u32_e32 v98, 32, v98
	s_delay_alu instid0(VALU_DEP_1) | instskip(SKIP_1) | instid1(VALU_DEP_2)
	v_subrev_nc_u32_e32 v101, 28, v98
	v_sub_nc_u32_e32 v98, 29, v98
	v_lshlrev_b64 v[101:102], v101, v[7:8]
	s_delay_alu instid0(VALU_DEP_1)
	v_and_b32_e32 v7, 7, v101
; %bb.77:                               ;   in Loop: Header=BB316_13 Depth=1
	s_or_b32 exec_lo, exec_lo, s23
	v_lshlrev_b32_e32 v100, 8, v100
	v_lshl_add_u32 v98, v98, 10, 0x2000
	s_delay_alu instid0(VALU_DEP_1) | instskip(NEXT) | instid1(VALU_DEP_1)
	v_and_or_b32 v98, 0x8000, v100, v98
	v_lshl_or_b32 v7, v7, 7, v98
	s_delay_alu instid0(VALU_DEP_1)
	v_cvt_f32_f16_e32 v98, v7
.LBB316_78:                             ;   in Loop: Header=BB316_13 Depth=1
	s_or_b32 exec_lo, exec_lo, s22
.LBB316_79:                             ;   in Loop: Header=BB316_13 Depth=1
	s_delay_alu instid0(SALU_CYCLE_1)
	s_or_b32 exec_lo, exec_lo, s21
.LBB316_80:                             ;   in Loop: Header=BB316_13 Depth=1
	s_delay_alu instid0(SALU_CYCLE_1)
	s_or_b32 exec_lo, exec_lo, s20
	flat_load_b32 v112, v[31:32] offset:256
	v_mov_b32_e32 v101, 0
	s_mov_b32 s20, exec_lo
	s_waitcnt vmcnt(0) lgkmcnt(0)
	v_dual_mov_b32 v100, 0 :: v_dual_and_b32 v7, 0xff, v112
	s_delay_alu instid0(VALU_DEP_1)
	v_cmpx_ne_u16_e32 0, v7
	s_cbranch_execz .LBB316_88
; %bb.81:                               ;   in Loop: Header=BB316_13 Depth=1
	v_bfrev_b32_e32 v100, 1
	s_mov_b32 s21, exec_lo
	v_cmpx_ne_u16_e32 0x80, v7
	s_cbranch_execz .LBB316_87
; %bb.82:                               ;   in Loop: Header=BB316_13 Depth=1
	v_and_b32_e32 v102, 0x7f, v112
	v_mov_b32_e32 v100, 0x7fc02000
	s_mov_b32 s22, exec_lo
	s_delay_alu instid0(VALU_DEP_2)
	v_cmpx_ne_u32_e32 0x7f, v102
	s_cbranch_execz .LBB316_86
; %bb.83:                               ;   in Loop: Header=BB316_13 Depth=1
	v_and_b32_e32 v7, 7, v112
	v_lshrrev_b32_e32 v100, 3, v102
	s_mov_b32 s23, exec_lo
	v_cmpx_gt_u32_e32 8, v102
; %bb.84:                               ;   in Loop: Header=BB316_13 Depth=1
	s_delay_alu instid0(VALU_DEP_3) | instskip(NEXT) | instid1(VALU_DEP_1)
	v_clz_i32_u32_e32 v100, v7
	v_min_u32_e32 v100, 32, v100
	s_delay_alu instid0(VALU_DEP_1) | instskip(SKIP_1) | instid1(VALU_DEP_2)
	v_subrev_nc_u32_e32 v102, 28, v100
	v_sub_nc_u32_e32 v100, 29, v100
	v_lshlrev_b64 v[102:103], v102, v[7:8]
	s_delay_alu instid0(VALU_DEP_1)
	v_and_b32_e32 v7, 7, v102
; %bb.85:                               ;   in Loop: Header=BB316_13 Depth=1
	s_or_b32 exec_lo, exec_lo, s23
	v_lshlrev_b32_e32 v102, 8, v112
	v_lshl_add_u32 v100, v100, 10, 0x2000
	s_delay_alu instid0(VALU_DEP_1) | instskip(NEXT) | instid1(VALU_DEP_1)
	v_and_or_b32 v100, 0x8000, v102, v100
	v_lshl_or_b32 v7, v7, 7, v100
	s_delay_alu instid0(VALU_DEP_1)
	v_cvt_f32_f16_e32 v100, v7
.LBB316_86:                             ;   in Loop: Header=BB316_13 Depth=1
	s_or_b32 exec_lo, exec_lo, s22
.LBB316_87:                             ;   in Loop: Header=BB316_13 Depth=1
	s_delay_alu instid0(SALU_CYCLE_1)
	s_or_b32 exec_lo, exec_lo, s21
.LBB316_88:                             ;   in Loop: Header=BB316_13 Depth=1
	s_delay_alu instid0(SALU_CYCLE_1) | instskip(SKIP_2) | instid1(VALU_DEP_1)
	s_or_b32 exec_lo, exec_lo, s20
	v_lshrrev_b16 v7, 8, v112
	s_mov_b32 s20, exec_lo
	v_cmpx_ne_u16_e32 0, v7
	s_cbranch_execz .LBB316_96
; %bb.89:                               ;   in Loop: Header=BB316_13 Depth=1
	v_bfrev_b32_e32 v101, 1
	s_mov_b32 s21, exec_lo
	v_cmpx_ne_u16_e32 0x80, v7
	s_cbranch_execz .LBB316_95
; %bb.90:                               ;   in Loop: Header=BB316_13 Depth=1
	v_and_b32_e32 v102, 0xffff, v7
	v_mov_b32_e32 v101, 0x7fc02000
	s_mov_b32 s22, exec_lo
	s_delay_alu instid0(VALU_DEP_2) | instskip(NEXT) | instid1(VALU_DEP_1)
	v_and_b32_e32 v103, 0x7f, v102
	v_cmpx_ne_u32_e32 0x7f, v103
	s_cbranch_execz .LBB316_94
; %bb.91:                               ;   in Loop: Header=BB316_13 Depth=1
	v_and_b32_e32 v7, 7, v102
	v_lshrrev_b32_e32 v101, 3, v103
	s_mov_b32 s23, exec_lo
	v_cmpx_gt_u32_e32 8, v103
; %bb.92:                               ;   in Loop: Header=BB316_13 Depth=1
	s_delay_alu instid0(VALU_DEP_3) | instskip(NEXT) | instid1(VALU_DEP_1)
	v_clz_i32_u32_e32 v101, v7
	v_min_u32_e32 v101, 32, v101
	s_delay_alu instid0(VALU_DEP_1) | instskip(SKIP_1) | instid1(VALU_DEP_2)
	v_subrev_nc_u32_e32 v103, 28, v101
	v_sub_nc_u32_e32 v101, 29, v101
	v_lshlrev_b64 v[113:114], v103, v[7:8]
	s_delay_alu instid0(VALU_DEP_1)
	v_and_b32_e32 v7, 7, v113
; %bb.93:                               ;   in Loop: Header=BB316_13 Depth=1
	s_or_b32 exec_lo, exec_lo, s23
	v_lshlrev_b32_e32 v102, 8, v102
	v_lshl_add_u32 v101, v101, 10, 0x2000
	s_delay_alu instid0(VALU_DEP_1) | instskip(NEXT) | instid1(VALU_DEP_1)
	v_and_or_b32 v101, 0x8000, v102, v101
	v_lshl_or_b32 v7, v7, 7, v101
	s_delay_alu instid0(VALU_DEP_1)
	v_cvt_f32_f16_e32 v101, v7
.LBB316_94:                             ;   in Loop: Header=BB316_13 Depth=1
	s_or_b32 exec_lo, exec_lo, s22
.LBB316_95:                             ;   in Loop: Header=BB316_13 Depth=1
	s_delay_alu instid0(SALU_CYCLE_1)
	s_or_b32 exec_lo, exec_lo, s21
.LBB316_96:                             ;   in Loop: Header=BB316_13 Depth=1
	s_delay_alu instid0(SALU_CYCLE_1) | instskip(SKIP_3) | instid1(VALU_DEP_2)
	s_or_b32 exec_lo, exec_lo, s20
	v_lshrrev_b32_e32 v113, 16, v112
	v_mov_b32_e32 v103, 0
	s_mov_b32 s20, exec_lo
	v_dual_mov_b32 v102, 0 :: v_dual_and_b32 v7, 0xff, v113
	s_delay_alu instid0(VALU_DEP_1)
	v_cmpx_ne_u16_e32 0, v7
	s_cbranch_execz .LBB316_104
; %bb.97:                               ;   in Loop: Header=BB316_13 Depth=1
	v_bfrev_b32_e32 v103, 1
	s_mov_b32 s21, exec_lo
	v_cmpx_ne_u16_e32 0x80, v7
	s_cbranch_execz .LBB316_103
; %bb.98:                               ;   in Loop: Header=BB316_13 Depth=1
	v_bfe_u32 v114, v112, 16, 7
	v_mov_b32_e32 v103, 0x7fc02000
	s_mov_b32 s22, exec_lo
	s_delay_alu instid0(VALU_DEP_2)
	v_cmpx_ne_u32_e32 0x7f, v114
	s_cbranch_execz .LBB316_102
; %bb.99:                               ;   in Loop: Header=BB316_13 Depth=1
	v_and_b32_e32 v7, 7, v113
	v_lshrrev_b32_e32 v103, 3, v114
	s_mov_b32 s23, exec_lo
	v_cmpx_gt_u32_e32 8, v114
; %bb.100:                              ;   in Loop: Header=BB316_13 Depth=1
	s_delay_alu instid0(VALU_DEP_3) | instskip(NEXT) | instid1(VALU_DEP_1)
	v_clz_i32_u32_e32 v103, v7
	v_min_u32_e32 v103, 32, v103
	s_delay_alu instid0(VALU_DEP_1) | instskip(SKIP_1) | instid1(VALU_DEP_2)
	v_subrev_nc_u32_e32 v114, 28, v103
	v_sub_nc_u32_e32 v103, 29, v103
	v_lshlrev_b64 v[114:115], v114, v[7:8]
	s_delay_alu instid0(VALU_DEP_1)
	v_and_b32_e32 v7, 7, v114
; %bb.101:                              ;   in Loop: Header=BB316_13 Depth=1
	s_or_b32 exec_lo, exec_lo, s23
	v_lshlrev_b32_e32 v113, 8, v113
	v_lshl_add_u32 v103, v103, 10, 0x2000
	s_delay_alu instid0(VALU_DEP_1) | instskip(NEXT) | instid1(VALU_DEP_1)
	v_and_or_b32 v103, 0x8000, v113, v103
	v_lshl_or_b32 v7, v7, 7, v103
	s_delay_alu instid0(VALU_DEP_1)
	v_cvt_f32_f16_e32 v103, v7
.LBB316_102:                            ;   in Loop: Header=BB316_13 Depth=1
	s_or_b32 exec_lo, exec_lo, s22
.LBB316_103:                            ;   in Loop: Header=BB316_13 Depth=1
	s_delay_alu instid0(SALU_CYCLE_1)
	s_or_b32 exec_lo, exec_lo, s21
.LBB316_104:                            ;   in Loop: Header=BB316_13 Depth=1
	s_delay_alu instid0(SALU_CYCLE_1) | instskip(NEXT) | instid1(SALU_CYCLE_1)
	s_or_b32 exec_lo, exec_lo, s20
	s_mov_b32 s20, exec_lo
	v_cmpx_lt_u32_e32 0xffffff, v112
	s_cbranch_execz .LBB316_112
; %bb.105:                              ;   in Loop: Header=BB316_13 Depth=1
	v_lshrrev_b32_e32 v112, 24, v112
	v_bfrev_b32_e32 v102, 1
	s_mov_b32 s21, exec_lo
	s_delay_alu instid0(VALU_DEP_2)
	v_cmpx_ne_u32_e32 0x80, v112
	s_cbranch_execz .LBB316_111
; %bb.106:                              ;   in Loop: Header=BB316_13 Depth=1
	v_and_b32_e32 v113, 0x7f, v112
	v_mov_b32_e32 v102, 0x7fc02000
	s_mov_b32 s22, exec_lo
	s_delay_alu instid0(VALU_DEP_2)
	v_cmpx_ne_u32_e32 0x7f, v113
	s_cbranch_execz .LBB316_110
; %bb.107:                              ;   in Loop: Header=BB316_13 Depth=1
	v_and_b32_e32 v7, 7, v112
	v_lshrrev_b32_e32 v102, 3, v113
	s_mov_b32 s23, exec_lo
	v_cmpx_gt_u32_e32 8, v113
; %bb.108:                              ;   in Loop: Header=BB316_13 Depth=1
	s_delay_alu instid0(VALU_DEP_3) | instskip(NEXT) | instid1(VALU_DEP_1)
	v_clz_i32_u32_e32 v102, v7
	v_min_u32_e32 v102, 32, v102
	s_delay_alu instid0(VALU_DEP_1) | instskip(SKIP_1) | instid1(VALU_DEP_2)
	v_subrev_nc_u32_e32 v113, 28, v102
	v_sub_nc_u32_e32 v102, 29, v102
	v_lshlrev_b64 v[113:114], v113, v[7:8]
	s_delay_alu instid0(VALU_DEP_1)
	v_and_b32_e32 v7, 7, v113
; %bb.109:                              ;   in Loop: Header=BB316_13 Depth=1
	s_or_b32 exec_lo, exec_lo, s23
	v_lshlrev_b32_e32 v112, 8, v112
	v_lshl_add_u32 v102, v102, 10, 0x2000
	s_delay_alu instid0(VALU_DEP_1) | instskip(NEXT) | instid1(VALU_DEP_1)
	v_and_or_b32 v102, 0x8000, v112, v102
	v_lshl_or_b32 v7, v7, 7, v102
	s_delay_alu instid0(VALU_DEP_1)
	v_cvt_f32_f16_e32 v102, v7
.LBB316_110:                            ;   in Loop: Header=BB316_13 Depth=1
	s_or_b32 exec_lo, exec_lo, s22
.LBB316_111:                            ;   in Loop: Header=BB316_13 Depth=1
	s_delay_alu instid0(SALU_CYCLE_1)
	s_or_b32 exec_lo, exec_lo, s21
.LBB316_112:                            ;   in Loop: Header=BB316_13 Depth=1
	s_delay_alu instid0(SALU_CYCLE_1)
	s_or_b32 exec_lo, exec_lo, s20
	flat_load_b32 v116, v[31:32] offset:264
	v_mov_b32_e32 v113, 0
	s_mov_b32 s20, exec_lo
	s_waitcnt vmcnt(0) lgkmcnt(0)
	v_dual_mov_b32 v112, 0 :: v_dual_and_b32 v7, 0xff, v116
	s_delay_alu instid0(VALU_DEP_1)
	v_cmpx_ne_u16_e32 0, v7
	s_cbranch_execz .LBB316_120
; %bb.113:                              ;   in Loop: Header=BB316_13 Depth=1
	v_bfrev_b32_e32 v112, 1
	s_mov_b32 s21, exec_lo
	v_cmpx_ne_u16_e32 0x80, v7
	s_cbranch_execz .LBB316_119
; %bb.114:                              ;   in Loop: Header=BB316_13 Depth=1
	v_and_b32_e32 v114, 0x7f, v116
	v_mov_b32_e32 v112, 0x7fc02000
	s_mov_b32 s22, exec_lo
	s_delay_alu instid0(VALU_DEP_2)
	v_cmpx_ne_u32_e32 0x7f, v114
	s_cbranch_execz .LBB316_118
; %bb.115:                              ;   in Loop: Header=BB316_13 Depth=1
	v_and_b32_e32 v7, 7, v116
	v_lshrrev_b32_e32 v112, 3, v114
	s_mov_b32 s23, exec_lo
	v_cmpx_gt_u32_e32 8, v114
; %bb.116:                              ;   in Loop: Header=BB316_13 Depth=1
	s_delay_alu instid0(VALU_DEP_3) | instskip(NEXT) | instid1(VALU_DEP_1)
	v_clz_i32_u32_e32 v112, v7
	v_min_u32_e32 v112, 32, v112
	s_delay_alu instid0(VALU_DEP_1) | instskip(SKIP_1) | instid1(VALU_DEP_2)
	v_subrev_nc_u32_e32 v114, 28, v112
	v_sub_nc_u32_e32 v112, 29, v112
	v_lshlrev_b64 v[114:115], v114, v[7:8]
	s_delay_alu instid0(VALU_DEP_1)
	v_and_b32_e32 v7, 7, v114
; %bb.117:                              ;   in Loop: Header=BB316_13 Depth=1
	s_or_b32 exec_lo, exec_lo, s23
	v_lshlrev_b32_e32 v114, 8, v116
	v_lshl_add_u32 v112, v112, 10, 0x2000
	s_delay_alu instid0(VALU_DEP_1) | instskip(NEXT) | instid1(VALU_DEP_1)
	v_and_or_b32 v112, 0x8000, v114, v112
	v_lshl_or_b32 v7, v7, 7, v112
	s_delay_alu instid0(VALU_DEP_1)
	v_cvt_f32_f16_e32 v112, v7
.LBB316_118:                            ;   in Loop: Header=BB316_13 Depth=1
	s_or_b32 exec_lo, exec_lo, s22
.LBB316_119:                            ;   in Loop: Header=BB316_13 Depth=1
	s_delay_alu instid0(SALU_CYCLE_1)
	s_or_b32 exec_lo, exec_lo, s21
.LBB316_120:                            ;   in Loop: Header=BB316_13 Depth=1
	s_delay_alu instid0(SALU_CYCLE_1) | instskip(SKIP_2) | instid1(VALU_DEP_1)
	s_or_b32 exec_lo, exec_lo, s20
	v_lshrrev_b16 v7, 8, v116
	s_mov_b32 s20, exec_lo
	v_cmpx_ne_u16_e32 0, v7
	s_cbranch_execz .LBB316_128
; %bb.121:                              ;   in Loop: Header=BB316_13 Depth=1
	v_bfrev_b32_e32 v113, 1
	s_mov_b32 s21, exec_lo
	v_cmpx_ne_u16_e32 0x80, v7
	s_cbranch_execz .LBB316_127
; %bb.122:                              ;   in Loop: Header=BB316_13 Depth=1
	v_and_b32_e32 v114, 0xffff, v7
	v_mov_b32_e32 v113, 0x7fc02000
	s_mov_b32 s22, exec_lo
	s_delay_alu instid0(VALU_DEP_2) | instskip(NEXT) | instid1(VALU_DEP_1)
	v_and_b32_e32 v115, 0x7f, v114
	v_cmpx_ne_u32_e32 0x7f, v115
	s_cbranch_execz .LBB316_126
; %bb.123:                              ;   in Loop: Header=BB316_13 Depth=1
	v_and_b32_e32 v7, 7, v114
	v_lshrrev_b32_e32 v113, 3, v115
	s_mov_b32 s23, exec_lo
	v_cmpx_gt_u32_e32 8, v115
; %bb.124:                              ;   in Loop: Header=BB316_13 Depth=1
	s_delay_alu instid0(VALU_DEP_3) | instskip(NEXT) | instid1(VALU_DEP_1)
	v_clz_i32_u32_e32 v113, v7
	v_min_u32_e32 v113, 32, v113
	s_delay_alu instid0(VALU_DEP_1) | instskip(SKIP_1) | instid1(VALU_DEP_2)
	v_subrev_nc_u32_e32 v115, 28, v113
	v_sub_nc_u32_e32 v113, 29, v113
	v_lshlrev_b64 v[117:118], v115, v[7:8]
	s_delay_alu instid0(VALU_DEP_1)
	v_and_b32_e32 v7, 7, v117
; %bb.125:                              ;   in Loop: Header=BB316_13 Depth=1
	s_or_b32 exec_lo, exec_lo, s23
	v_lshlrev_b32_e32 v114, 8, v114
	v_lshl_add_u32 v113, v113, 10, 0x2000
	s_delay_alu instid0(VALU_DEP_1) | instskip(NEXT) | instid1(VALU_DEP_1)
	v_and_or_b32 v113, 0x8000, v114, v113
	v_lshl_or_b32 v7, v7, 7, v113
	s_delay_alu instid0(VALU_DEP_1)
	v_cvt_f32_f16_e32 v113, v7
.LBB316_126:                            ;   in Loop: Header=BB316_13 Depth=1
	s_or_b32 exec_lo, exec_lo, s22
.LBB316_127:                            ;   in Loop: Header=BB316_13 Depth=1
	s_delay_alu instid0(SALU_CYCLE_1)
	s_or_b32 exec_lo, exec_lo, s21
.LBB316_128:                            ;   in Loop: Header=BB316_13 Depth=1
	s_delay_alu instid0(SALU_CYCLE_1) | instskip(SKIP_3) | instid1(VALU_DEP_2)
	s_or_b32 exec_lo, exec_lo, s20
	v_lshrrev_b32_e32 v117, 16, v116
	v_mov_b32_e32 v115, 0
	s_mov_b32 s20, exec_lo
	v_dual_mov_b32 v114, 0 :: v_dual_and_b32 v7, 0xff, v117
	s_delay_alu instid0(VALU_DEP_1)
	v_cmpx_ne_u16_e32 0, v7
	s_cbranch_execz .LBB316_136
; %bb.129:                              ;   in Loop: Header=BB316_13 Depth=1
	v_bfrev_b32_e32 v115, 1
	s_mov_b32 s21, exec_lo
	v_cmpx_ne_u16_e32 0x80, v7
	s_cbranch_execz .LBB316_135
; %bb.130:                              ;   in Loop: Header=BB316_13 Depth=1
	v_bfe_u32 v118, v116, 16, 7
	v_mov_b32_e32 v115, 0x7fc02000
	s_mov_b32 s22, exec_lo
	s_delay_alu instid0(VALU_DEP_2)
	v_cmpx_ne_u32_e32 0x7f, v118
	s_cbranch_execz .LBB316_134
; %bb.131:                              ;   in Loop: Header=BB316_13 Depth=1
	v_and_b32_e32 v7, 7, v117
	v_lshrrev_b32_e32 v115, 3, v118
	s_mov_b32 s23, exec_lo
	v_cmpx_gt_u32_e32 8, v118
; %bb.132:                              ;   in Loop: Header=BB316_13 Depth=1
	s_delay_alu instid0(VALU_DEP_3) | instskip(NEXT) | instid1(VALU_DEP_1)
	v_clz_i32_u32_e32 v115, v7
	v_min_u32_e32 v115, 32, v115
	s_delay_alu instid0(VALU_DEP_1) | instskip(SKIP_1) | instid1(VALU_DEP_2)
	v_subrev_nc_u32_e32 v118, 28, v115
	v_sub_nc_u32_e32 v115, 29, v115
	v_lshlrev_b64 v[118:119], v118, v[7:8]
	s_delay_alu instid0(VALU_DEP_1)
	v_and_b32_e32 v7, 7, v118
; %bb.133:                              ;   in Loop: Header=BB316_13 Depth=1
	s_or_b32 exec_lo, exec_lo, s23
	v_lshlrev_b32_e32 v117, 8, v117
	v_lshl_add_u32 v115, v115, 10, 0x2000
	s_delay_alu instid0(VALU_DEP_1) | instskip(NEXT) | instid1(VALU_DEP_1)
	v_and_or_b32 v115, 0x8000, v117, v115
	v_lshl_or_b32 v7, v7, 7, v115
	s_delay_alu instid0(VALU_DEP_1)
	v_cvt_f32_f16_e32 v115, v7
.LBB316_134:                            ;   in Loop: Header=BB316_13 Depth=1
	s_or_b32 exec_lo, exec_lo, s22
.LBB316_135:                            ;   in Loop: Header=BB316_13 Depth=1
	s_delay_alu instid0(SALU_CYCLE_1)
	s_or_b32 exec_lo, exec_lo, s21
.LBB316_136:                            ;   in Loop: Header=BB316_13 Depth=1
	s_delay_alu instid0(SALU_CYCLE_1) | instskip(NEXT) | instid1(SALU_CYCLE_1)
	s_or_b32 exec_lo, exec_lo, s20
	s_mov_b32 s20, exec_lo
	v_cmpx_lt_u32_e32 0xffffff, v116
	s_cbranch_execz .LBB316_144
; %bb.137:                              ;   in Loop: Header=BB316_13 Depth=1
	v_lshrrev_b32_e32 v116, 24, v116
	v_bfrev_b32_e32 v114, 1
	s_mov_b32 s21, exec_lo
	s_delay_alu instid0(VALU_DEP_2)
	v_cmpx_ne_u32_e32 0x80, v116
	s_cbranch_execz .LBB316_143
; %bb.138:                              ;   in Loop: Header=BB316_13 Depth=1
	v_and_b32_e32 v117, 0x7f, v116
	v_mov_b32_e32 v114, 0x7fc02000
	s_mov_b32 s22, exec_lo
	s_delay_alu instid0(VALU_DEP_2)
	v_cmpx_ne_u32_e32 0x7f, v117
	s_cbranch_execz .LBB316_142
; %bb.139:                              ;   in Loop: Header=BB316_13 Depth=1
	v_and_b32_e32 v7, 7, v116
	v_lshrrev_b32_e32 v114, 3, v117
	s_mov_b32 s23, exec_lo
	v_cmpx_gt_u32_e32 8, v117
; %bb.140:                              ;   in Loop: Header=BB316_13 Depth=1
	s_delay_alu instid0(VALU_DEP_3) | instskip(NEXT) | instid1(VALU_DEP_1)
	v_clz_i32_u32_e32 v114, v7
	v_min_u32_e32 v114, 32, v114
	s_delay_alu instid0(VALU_DEP_1) | instskip(SKIP_1) | instid1(VALU_DEP_2)
	v_subrev_nc_u32_e32 v117, 28, v114
	v_sub_nc_u32_e32 v114, 29, v114
	v_lshlrev_b64 v[117:118], v117, v[7:8]
	s_delay_alu instid0(VALU_DEP_1)
	v_and_b32_e32 v7, 7, v117
; %bb.141:                              ;   in Loop: Header=BB316_13 Depth=1
	s_or_b32 exec_lo, exec_lo, s23
	v_lshlrev_b32_e32 v116, 8, v116
	v_lshl_add_u32 v114, v114, 10, 0x2000
	s_delay_alu instid0(VALU_DEP_1) | instskip(NEXT) | instid1(VALU_DEP_1)
	v_and_or_b32 v114, 0x8000, v116, v114
	v_lshl_or_b32 v7, v7, 7, v114
	s_delay_alu instid0(VALU_DEP_1)
	v_cvt_f32_f16_e32 v114, v7
.LBB316_142:                            ;   in Loop: Header=BB316_13 Depth=1
	s_or_b32 exec_lo, exec_lo, s22
.LBB316_143:                            ;   in Loop: Header=BB316_13 Depth=1
	s_delay_alu instid0(SALU_CYCLE_1)
	s_or_b32 exec_lo, exec_lo, s21
.LBB316_144:                            ;   in Loop: Header=BB316_13 Depth=1
	s_delay_alu instid0(SALU_CYCLE_1)
	s_or_b32 exec_lo, exec_lo, s20
	flat_load_b32 v128, v[31:32] offset:512
	v_mov_b32_e32 v117, 0
	s_mov_b32 s20, exec_lo
	s_waitcnt vmcnt(0) lgkmcnt(0)
	v_dual_mov_b32 v116, 0 :: v_dual_and_b32 v7, 0xff, v128
	s_delay_alu instid0(VALU_DEP_1)
	v_cmpx_ne_u16_e32 0, v7
	s_cbranch_execz .LBB316_152
; %bb.145:                              ;   in Loop: Header=BB316_13 Depth=1
	v_bfrev_b32_e32 v116, 1
	s_mov_b32 s21, exec_lo
	v_cmpx_ne_u16_e32 0x80, v7
	s_cbranch_execz .LBB316_151
; %bb.146:                              ;   in Loop: Header=BB316_13 Depth=1
	v_and_b32_e32 v118, 0x7f, v128
	v_mov_b32_e32 v116, 0x7fc02000
	s_mov_b32 s22, exec_lo
	s_delay_alu instid0(VALU_DEP_2)
	v_cmpx_ne_u32_e32 0x7f, v118
	s_cbranch_execz .LBB316_150
; %bb.147:                              ;   in Loop: Header=BB316_13 Depth=1
	v_and_b32_e32 v7, 7, v128
	v_lshrrev_b32_e32 v116, 3, v118
	s_mov_b32 s23, exec_lo
	v_cmpx_gt_u32_e32 8, v118
; %bb.148:                              ;   in Loop: Header=BB316_13 Depth=1
	s_delay_alu instid0(VALU_DEP_3) | instskip(NEXT) | instid1(VALU_DEP_1)
	v_clz_i32_u32_e32 v116, v7
	v_min_u32_e32 v116, 32, v116
	s_delay_alu instid0(VALU_DEP_1) | instskip(SKIP_1) | instid1(VALU_DEP_2)
	v_subrev_nc_u32_e32 v118, 28, v116
	v_sub_nc_u32_e32 v116, 29, v116
	v_lshlrev_b64 v[118:119], v118, v[7:8]
	s_delay_alu instid0(VALU_DEP_1)
	v_and_b32_e32 v7, 7, v118
; %bb.149:                              ;   in Loop: Header=BB316_13 Depth=1
	s_or_b32 exec_lo, exec_lo, s23
	v_lshlrev_b32_e32 v118, 8, v128
	v_lshl_add_u32 v116, v116, 10, 0x2000
	s_delay_alu instid0(VALU_DEP_1) | instskip(NEXT) | instid1(VALU_DEP_1)
	v_and_or_b32 v116, 0x8000, v118, v116
	v_lshl_or_b32 v7, v7, 7, v116
	s_delay_alu instid0(VALU_DEP_1)
	v_cvt_f32_f16_e32 v116, v7
.LBB316_150:                            ;   in Loop: Header=BB316_13 Depth=1
	s_or_b32 exec_lo, exec_lo, s22
.LBB316_151:                            ;   in Loop: Header=BB316_13 Depth=1
	s_delay_alu instid0(SALU_CYCLE_1)
	s_or_b32 exec_lo, exec_lo, s21
.LBB316_152:                            ;   in Loop: Header=BB316_13 Depth=1
	s_delay_alu instid0(SALU_CYCLE_1) | instskip(SKIP_2) | instid1(VALU_DEP_1)
	s_or_b32 exec_lo, exec_lo, s20
	v_lshrrev_b16 v7, 8, v128
	s_mov_b32 s20, exec_lo
	v_cmpx_ne_u16_e32 0, v7
	s_cbranch_execz .LBB316_160
; %bb.153:                              ;   in Loop: Header=BB316_13 Depth=1
	v_bfrev_b32_e32 v117, 1
	s_mov_b32 s21, exec_lo
	v_cmpx_ne_u16_e32 0x80, v7
	s_cbranch_execz .LBB316_159
; %bb.154:                              ;   in Loop: Header=BB316_13 Depth=1
	v_and_b32_e32 v118, 0xffff, v7
	v_mov_b32_e32 v117, 0x7fc02000
	s_mov_b32 s22, exec_lo
	s_delay_alu instid0(VALU_DEP_2) | instskip(NEXT) | instid1(VALU_DEP_1)
	v_and_b32_e32 v119, 0x7f, v118
	v_cmpx_ne_u32_e32 0x7f, v119
	s_cbranch_execz .LBB316_158
; %bb.155:                              ;   in Loop: Header=BB316_13 Depth=1
	v_and_b32_e32 v7, 7, v118
	v_lshrrev_b32_e32 v117, 3, v119
	s_mov_b32 s23, exec_lo
	v_cmpx_gt_u32_e32 8, v119
; %bb.156:                              ;   in Loop: Header=BB316_13 Depth=1
	s_delay_alu instid0(VALU_DEP_3) | instskip(NEXT) | instid1(VALU_DEP_1)
	v_clz_i32_u32_e32 v117, v7
	v_min_u32_e32 v117, 32, v117
	s_delay_alu instid0(VALU_DEP_1) | instskip(SKIP_1) | instid1(VALU_DEP_2)
	v_subrev_nc_u32_e32 v119, 28, v117
	v_sub_nc_u32_e32 v117, 29, v117
	v_lshlrev_b64 v[129:130], v119, v[7:8]
	s_delay_alu instid0(VALU_DEP_1)
	v_and_b32_e32 v7, 7, v129
; %bb.157:                              ;   in Loop: Header=BB316_13 Depth=1
	s_or_b32 exec_lo, exec_lo, s23
	v_lshlrev_b32_e32 v118, 8, v118
	v_lshl_add_u32 v117, v117, 10, 0x2000
	s_delay_alu instid0(VALU_DEP_1) | instskip(NEXT) | instid1(VALU_DEP_1)
	v_and_or_b32 v117, 0x8000, v118, v117
	v_lshl_or_b32 v7, v7, 7, v117
	s_delay_alu instid0(VALU_DEP_1)
	v_cvt_f32_f16_e32 v117, v7
.LBB316_158:                            ;   in Loop: Header=BB316_13 Depth=1
	s_or_b32 exec_lo, exec_lo, s22
.LBB316_159:                            ;   in Loop: Header=BB316_13 Depth=1
	s_delay_alu instid0(SALU_CYCLE_1)
	s_or_b32 exec_lo, exec_lo, s21
.LBB316_160:                            ;   in Loop: Header=BB316_13 Depth=1
	s_delay_alu instid0(SALU_CYCLE_1) | instskip(SKIP_3) | instid1(VALU_DEP_2)
	s_or_b32 exec_lo, exec_lo, s20
	v_lshrrev_b32_e32 v129, 16, v128
	v_mov_b32_e32 v119, 0
	s_mov_b32 s20, exec_lo
	v_dual_mov_b32 v118, 0 :: v_dual_and_b32 v7, 0xff, v129
	s_delay_alu instid0(VALU_DEP_1)
	v_cmpx_ne_u16_e32 0, v7
	s_cbranch_execz .LBB316_168
; %bb.161:                              ;   in Loop: Header=BB316_13 Depth=1
	v_bfrev_b32_e32 v119, 1
	s_mov_b32 s21, exec_lo
	v_cmpx_ne_u16_e32 0x80, v7
	s_cbranch_execz .LBB316_167
; %bb.162:                              ;   in Loop: Header=BB316_13 Depth=1
	v_bfe_u32 v130, v128, 16, 7
	v_mov_b32_e32 v119, 0x7fc02000
	s_mov_b32 s22, exec_lo
	s_delay_alu instid0(VALU_DEP_2)
	v_cmpx_ne_u32_e32 0x7f, v130
	s_cbranch_execz .LBB316_166
; %bb.163:                              ;   in Loop: Header=BB316_13 Depth=1
	v_and_b32_e32 v7, 7, v129
	v_lshrrev_b32_e32 v119, 3, v130
	s_mov_b32 s23, exec_lo
	v_cmpx_gt_u32_e32 8, v130
; %bb.164:                              ;   in Loop: Header=BB316_13 Depth=1
	s_delay_alu instid0(VALU_DEP_3) | instskip(NEXT) | instid1(VALU_DEP_1)
	v_clz_i32_u32_e32 v119, v7
	v_min_u32_e32 v119, 32, v119
	s_delay_alu instid0(VALU_DEP_1) | instskip(SKIP_1) | instid1(VALU_DEP_2)
	v_subrev_nc_u32_e32 v130, 28, v119
	v_sub_nc_u32_e32 v119, 29, v119
	v_lshlrev_b64 v[130:131], v130, v[7:8]
	s_delay_alu instid0(VALU_DEP_1)
	v_and_b32_e32 v7, 7, v130
; %bb.165:                              ;   in Loop: Header=BB316_13 Depth=1
	s_or_b32 exec_lo, exec_lo, s23
	v_lshlrev_b32_e32 v129, 8, v129
	v_lshl_add_u32 v119, v119, 10, 0x2000
	s_delay_alu instid0(VALU_DEP_1) | instskip(NEXT) | instid1(VALU_DEP_1)
	v_and_or_b32 v119, 0x8000, v129, v119
	v_lshl_or_b32 v7, v7, 7, v119
	s_delay_alu instid0(VALU_DEP_1)
	v_cvt_f32_f16_e32 v119, v7
.LBB316_166:                            ;   in Loop: Header=BB316_13 Depth=1
	s_or_b32 exec_lo, exec_lo, s22
.LBB316_167:                            ;   in Loop: Header=BB316_13 Depth=1
	s_delay_alu instid0(SALU_CYCLE_1)
	s_or_b32 exec_lo, exec_lo, s21
.LBB316_168:                            ;   in Loop: Header=BB316_13 Depth=1
	s_delay_alu instid0(SALU_CYCLE_1) | instskip(NEXT) | instid1(SALU_CYCLE_1)
	s_or_b32 exec_lo, exec_lo, s20
	s_mov_b32 s20, exec_lo
	v_cmpx_lt_u32_e32 0xffffff, v128
	s_cbranch_execz .LBB316_176
; %bb.169:                              ;   in Loop: Header=BB316_13 Depth=1
	v_lshrrev_b32_e32 v128, 24, v128
	v_bfrev_b32_e32 v118, 1
	s_mov_b32 s21, exec_lo
	s_delay_alu instid0(VALU_DEP_2)
	v_cmpx_ne_u32_e32 0x80, v128
	s_cbranch_execz .LBB316_175
; %bb.170:                              ;   in Loop: Header=BB316_13 Depth=1
	v_and_b32_e32 v129, 0x7f, v128
	v_mov_b32_e32 v118, 0x7fc02000
	s_mov_b32 s22, exec_lo
	s_delay_alu instid0(VALU_DEP_2)
	v_cmpx_ne_u32_e32 0x7f, v129
	s_cbranch_execz .LBB316_174
; %bb.171:                              ;   in Loop: Header=BB316_13 Depth=1
	v_and_b32_e32 v7, 7, v128
	v_lshrrev_b32_e32 v118, 3, v129
	s_mov_b32 s23, exec_lo
	v_cmpx_gt_u32_e32 8, v129
; %bb.172:                              ;   in Loop: Header=BB316_13 Depth=1
	s_delay_alu instid0(VALU_DEP_3) | instskip(NEXT) | instid1(VALU_DEP_1)
	v_clz_i32_u32_e32 v118, v7
	v_min_u32_e32 v118, 32, v118
	s_delay_alu instid0(VALU_DEP_1) | instskip(SKIP_1) | instid1(VALU_DEP_2)
	v_subrev_nc_u32_e32 v129, 28, v118
	v_sub_nc_u32_e32 v118, 29, v118
	v_lshlrev_b64 v[129:130], v129, v[7:8]
	s_delay_alu instid0(VALU_DEP_1)
	v_and_b32_e32 v7, 7, v129
; %bb.173:                              ;   in Loop: Header=BB316_13 Depth=1
	s_or_b32 exec_lo, exec_lo, s23
	v_lshlrev_b32_e32 v128, 8, v128
	v_lshl_add_u32 v118, v118, 10, 0x2000
	s_delay_alu instid0(VALU_DEP_1) | instskip(NEXT) | instid1(VALU_DEP_1)
	v_and_or_b32 v118, 0x8000, v128, v118
	v_lshl_or_b32 v7, v7, 7, v118
	s_delay_alu instid0(VALU_DEP_1)
	v_cvt_f32_f16_e32 v118, v7
.LBB316_174:                            ;   in Loop: Header=BB316_13 Depth=1
	s_or_b32 exec_lo, exec_lo, s22
.LBB316_175:                            ;   in Loop: Header=BB316_13 Depth=1
	s_delay_alu instid0(SALU_CYCLE_1)
	s_or_b32 exec_lo, exec_lo, s21
.LBB316_176:                            ;   in Loop: Header=BB316_13 Depth=1
	s_delay_alu instid0(SALU_CYCLE_1)
	s_or_b32 exec_lo, exec_lo, s20
	flat_load_b32 v132, v[31:32] offset:520
	v_mov_b32_e32 v129, 0
	s_mov_b32 s20, exec_lo
	s_waitcnt vmcnt(0) lgkmcnt(0)
	v_dual_mov_b32 v128, 0 :: v_dual_and_b32 v7, 0xff, v132
	s_delay_alu instid0(VALU_DEP_1)
	v_cmpx_ne_u16_e32 0, v7
	s_cbranch_execz .LBB316_184
; %bb.177:                              ;   in Loop: Header=BB316_13 Depth=1
	v_bfrev_b32_e32 v128, 1
	s_mov_b32 s21, exec_lo
	v_cmpx_ne_u16_e32 0x80, v7
	s_cbranch_execz .LBB316_183
; %bb.178:                              ;   in Loop: Header=BB316_13 Depth=1
	v_and_b32_e32 v130, 0x7f, v132
	v_mov_b32_e32 v128, 0x7fc02000
	s_mov_b32 s22, exec_lo
	s_delay_alu instid0(VALU_DEP_2)
	v_cmpx_ne_u32_e32 0x7f, v130
	s_cbranch_execz .LBB316_182
; %bb.179:                              ;   in Loop: Header=BB316_13 Depth=1
	v_and_b32_e32 v7, 7, v132
	v_lshrrev_b32_e32 v128, 3, v130
	s_mov_b32 s23, exec_lo
	v_cmpx_gt_u32_e32 8, v130
; %bb.180:                              ;   in Loop: Header=BB316_13 Depth=1
	s_delay_alu instid0(VALU_DEP_3) | instskip(NEXT) | instid1(VALU_DEP_1)
	v_clz_i32_u32_e32 v128, v7
	v_min_u32_e32 v128, 32, v128
	s_delay_alu instid0(VALU_DEP_1) | instskip(SKIP_1) | instid1(VALU_DEP_2)
	v_subrev_nc_u32_e32 v130, 28, v128
	v_sub_nc_u32_e32 v128, 29, v128
	v_lshlrev_b64 v[130:131], v130, v[7:8]
	s_delay_alu instid0(VALU_DEP_1)
	v_and_b32_e32 v7, 7, v130
; %bb.181:                              ;   in Loop: Header=BB316_13 Depth=1
	s_or_b32 exec_lo, exec_lo, s23
	v_lshlrev_b32_e32 v130, 8, v132
	v_lshl_add_u32 v128, v128, 10, 0x2000
	s_delay_alu instid0(VALU_DEP_1) | instskip(NEXT) | instid1(VALU_DEP_1)
	v_and_or_b32 v128, 0x8000, v130, v128
	v_lshl_or_b32 v7, v7, 7, v128
	s_delay_alu instid0(VALU_DEP_1)
	v_cvt_f32_f16_e64 v128, v7
.LBB316_182:                            ;   in Loop: Header=BB316_13 Depth=1
	s_or_b32 exec_lo, exec_lo, s22
.LBB316_183:                            ;   in Loop: Header=BB316_13 Depth=1
	s_delay_alu instid0(SALU_CYCLE_1)
	s_or_b32 exec_lo, exec_lo, s21
.LBB316_184:                            ;   in Loop: Header=BB316_13 Depth=1
	s_delay_alu instid0(SALU_CYCLE_1) | instskip(SKIP_2) | instid1(VALU_DEP_1)
	s_or_b32 exec_lo, exec_lo, s20
	v_lshrrev_b16 v7, 8, v132
	s_mov_b32 s20, exec_lo
	v_cmpx_ne_u16_e32 0, v7
	s_cbranch_execz .LBB316_192
; %bb.185:                              ;   in Loop: Header=BB316_13 Depth=1
	v_bfrev_b32_e32 v129, 1
	s_mov_b32 s21, exec_lo
	v_cmpx_ne_u16_e32 0x80, v7
	s_cbranch_execz .LBB316_191
; %bb.186:                              ;   in Loop: Header=BB316_13 Depth=1
	v_and_b32_e32 v130, 0xffff, v7
	v_mov_b32_e32 v129, 0x7fc02000
	s_mov_b32 s22, exec_lo
	s_delay_alu instid0(VALU_DEP_2) | instskip(NEXT) | instid1(VALU_DEP_1)
	v_and_b32_e32 v131, 0x7f, v130
	v_cmpx_ne_u32_e32 0x7f, v131
	s_cbranch_execz .LBB316_190
; %bb.187:                              ;   in Loop: Header=BB316_13 Depth=1
	v_and_b32_e32 v7, 7, v130
	v_lshrrev_b32_e32 v129, 3, v131
	s_mov_b32 s23, exec_lo
	v_cmpx_gt_u32_e32 8, v131
; %bb.188:                              ;   in Loop: Header=BB316_13 Depth=1
	s_delay_alu instid0(VALU_DEP_3) | instskip(NEXT) | instid1(VALU_DEP_1)
	v_clz_i32_u32_e32 v129, v7
	v_min_u32_e32 v129, 32, v129
	s_delay_alu instid0(VALU_DEP_1) | instskip(SKIP_1) | instid1(VALU_DEP_2)
	v_subrev_nc_u32_e32 v131, 28, v129
	v_sub_nc_u32_e32 v129, 29, v129
	v_lshlrev_b64 v[133:134], v131, v[7:8]
	s_delay_alu instid0(VALU_DEP_1)
	v_and_b32_e32 v7, 7, v133
; %bb.189:                              ;   in Loop: Header=BB316_13 Depth=1
	s_or_b32 exec_lo, exec_lo, s23
	v_lshlrev_b32_e32 v130, 8, v130
	v_lshl_add_u32 v129, v129, 10, 0x2000
	s_delay_alu instid0(VALU_DEP_1) | instskip(NEXT) | instid1(VALU_DEP_1)
	v_and_or_b32 v129, 0x8000, v130, v129
	v_lshl_or_b32 v7, v7, 7, v129
	s_delay_alu instid0(VALU_DEP_1)
	v_cvt_f32_f16_e64 v129, v7
.LBB316_190:                            ;   in Loop: Header=BB316_13 Depth=1
	s_or_b32 exec_lo, exec_lo, s22
.LBB316_191:                            ;   in Loop: Header=BB316_13 Depth=1
	s_delay_alu instid0(SALU_CYCLE_1)
	s_or_b32 exec_lo, exec_lo, s21
.LBB316_192:                            ;   in Loop: Header=BB316_13 Depth=1
	s_delay_alu instid0(SALU_CYCLE_1) | instskip(SKIP_3) | instid1(VALU_DEP_2)
	s_or_b32 exec_lo, exec_lo, s20
	v_lshrrev_b32_e32 v133, 16, v132
	v_mov_b32_e32 v131, 0
	s_mov_b32 s20, exec_lo
	v_dual_mov_b32 v130, 0 :: v_dual_and_b32 v7, 0xff, v133
	s_delay_alu instid0(VALU_DEP_1)
	v_cmpx_ne_u16_e32 0, v7
	s_cbranch_execz .LBB316_200
; %bb.193:                              ;   in Loop: Header=BB316_13 Depth=1
	v_bfrev_b32_e32 v131, 1
	s_mov_b32 s21, exec_lo
	v_cmpx_ne_u16_e32 0x80, v7
	s_cbranch_execz .LBB316_199
; %bb.194:                              ;   in Loop: Header=BB316_13 Depth=1
	v_bfe_u32 v134, v132, 16, 7
	v_mov_b32_e32 v131, 0x7fc02000
	s_mov_b32 s22, exec_lo
	s_delay_alu instid0(VALU_DEP_2)
	v_cmpx_ne_u32_e32 0x7f, v134
	s_cbranch_execz .LBB316_198
; %bb.195:                              ;   in Loop: Header=BB316_13 Depth=1
	v_and_b32_e32 v7, 7, v133
	v_lshrrev_b32_e32 v131, 3, v134
	s_mov_b32 s23, exec_lo
	v_cmpx_gt_u32_e32 8, v134
; %bb.196:                              ;   in Loop: Header=BB316_13 Depth=1
	s_delay_alu instid0(VALU_DEP_3) | instskip(NEXT) | instid1(VALU_DEP_1)
	v_clz_i32_u32_e32 v131, v7
	v_min_u32_e32 v131, 32, v131
	s_delay_alu instid0(VALU_DEP_1) | instskip(SKIP_1) | instid1(VALU_DEP_2)
	v_subrev_nc_u32_e32 v134, 28, v131
	v_sub_nc_u32_e32 v131, 29, v131
	v_lshlrev_b64 v[134:135], v134, v[7:8]
	s_delay_alu instid0(VALU_DEP_1)
	v_and_b32_e32 v7, 7, v134
; %bb.197:                              ;   in Loop: Header=BB316_13 Depth=1
	s_or_b32 exec_lo, exec_lo, s23
	v_lshlrev_b32_e32 v133, 8, v133
	v_lshl_add_u32 v131, v131, 10, 0x2000
	s_delay_alu instid0(VALU_DEP_1) | instskip(NEXT) | instid1(VALU_DEP_1)
	v_and_or_b32 v131, 0x8000, v133, v131
	v_lshl_or_b32 v7, v7, 7, v131
	s_delay_alu instid0(VALU_DEP_1)
	v_cvt_f32_f16_e64 v131, v7
.LBB316_198:                            ;   in Loop: Header=BB316_13 Depth=1
	s_or_b32 exec_lo, exec_lo, s22
.LBB316_199:                            ;   in Loop: Header=BB316_13 Depth=1
	s_delay_alu instid0(SALU_CYCLE_1)
	s_or_b32 exec_lo, exec_lo, s21
.LBB316_200:                            ;   in Loop: Header=BB316_13 Depth=1
	s_delay_alu instid0(SALU_CYCLE_1) | instskip(NEXT) | instid1(SALU_CYCLE_1)
	s_or_b32 exec_lo, exec_lo, s20
	s_mov_b32 s20, exec_lo
	v_cmpx_lt_u32_e32 0xffffff, v132
	s_cbranch_execz .LBB316_208
; %bb.201:                              ;   in Loop: Header=BB316_13 Depth=1
	v_lshrrev_b32_e32 v132, 24, v132
	v_bfrev_b32_e32 v130, 1
	s_mov_b32 s21, exec_lo
	s_delay_alu instid0(VALU_DEP_2)
	v_cmpx_ne_u32_e32 0x80, v132
	s_cbranch_execz .LBB316_207
; %bb.202:                              ;   in Loop: Header=BB316_13 Depth=1
	v_and_b32_e32 v133, 0x7f, v132
	v_mov_b32_e32 v130, 0x7fc02000
	s_mov_b32 s22, exec_lo
	s_delay_alu instid0(VALU_DEP_2)
	v_cmpx_ne_u32_e32 0x7f, v133
	s_cbranch_execz .LBB316_206
; %bb.203:                              ;   in Loop: Header=BB316_13 Depth=1
	v_and_b32_e32 v7, 7, v132
	v_lshrrev_b32_e32 v130, 3, v133
	s_mov_b32 s23, exec_lo
	v_cmpx_gt_u32_e32 8, v133
; %bb.204:                              ;   in Loop: Header=BB316_13 Depth=1
	s_delay_alu instid0(VALU_DEP_3) | instskip(NEXT) | instid1(VALU_DEP_1)
	v_clz_i32_u32_e32 v130, v7
	v_min_u32_e32 v130, 32, v130
	s_delay_alu instid0(VALU_DEP_1) | instskip(SKIP_1) | instid1(VALU_DEP_2)
	v_subrev_nc_u32_e32 v133, 28, v130
	v_sub_nc_u32_e32 v130, 29, v130
	v_lshlrev_b64 v[133:134], v133, v[7:8]
	s_delay_alu instid0(VALU_DEP_1)
	v_and_b32_e32 v7, 7, v133
; %bb.205:                              ;   in Loop: Header=BB316_13 Depth=1
	s_or_b32 exec_lo, exec_lo, s23
	v_lshlrev_b32_e32 v132, 8, v132
	v_lshl_add_u32 v130, v130, 10, 0x2000
	s_delay_alu instid0(VALU_DEP_1) | instskip(NEXT) | instid1(VALU_DEP_1)
	v_and_or_b32 v130, 0x8000, v132, v130
	v_lshl_or_b32 v7, v7, 7, v130
	s_delay_alu instid0(VALU_DEP_1)
	v_cvt_f32_f16_e64 v130, v7
.LBB316_206:                            ;   in Loop: Header=BB316_13 Depth=1
	s_or_b32 exec_lo, exec_lo, s22
.LBB316_207:                            ;   in Loop: Header=BB316_13 Depth=1
	s_delay_alu instid0(SALU_CYCLE_1)
	s_or_b32 exec_lo, exec_lo, s21
.LBB316_208:                            ;   in Loop: Header=BB316_13 Depth=1
	s_delay_alu instid0(SALU_CYCLE_1)
	s_or_b32 exec_lo, exec_lo, s20
	flat_load_b32 v144, v[31:32] offset:768
	v_mov_b32_e32 v133, 0
	s_mov_b32 s20, exec_lo
	s_waitcnt vmcnt(0) lgkmcnt(0)
	v_dual_mov_b32 v132, 0 :: v_dual_and_b32 v7, 0xff, v144
	s_delay_alu instid0(VALU_DEP_1)
	v_cmpx_ne_u16_e32 0, v7
	s_cbranch_execz .LBB316_216
; %bb.209:                              ;   in Loop: Header=BB316_13 Depth=1
	v_bfrev_b32_e32 v132, 1
	s_mov_b32 s21, exec_lo
	v_cmpx_ne_u16_e32 0x80, v7
	s_cbranch_execz .LBB316_215
; %bb.210:                              ;   in Loop: Header=BB316_13 Depth=1
	v_and_b32_e32 v134, 0x7f, v144
	v_mov_b32_e32 v132, 0x7fc02000
	s_mov_b32 s22, exec_lo
	s_delay_alu instid0(VALU_DEP_2)
	v_cmpx_ne_u32_e32 0x7f, v134
	s_cbranch_execz .LBB316_214
; %bb.211:                              ;   in Loop: Header=BB316_13 Depth=1
	v_and_b32_e32 v7, 7, v144
	v_lshrrev_b32_e32 v132, 3, v134
	s_mov_b32 s23, exec_lo
	v_cmpx_gt_u32_e32 8, v134
; %bb.212:                              ;   in Loop: Header=BB316_13 Depth=1
	s_delay_alu instid0(VALU_DEP_3) | instskip(NEXT) | instid1(VALU_DEP_1)
	v_clz_i32_u32_e32 v132, v7
	v_min_u32_e32 v132, 32, v132
	s_delay_alu instid0(VALU_DEP_1) | instskip(SKIP_1) | instid1(VALU_DEP_2)
	v_subrev_nc_u32_e32 v134, 28, v132
	v_sub_nc_u32_e32 v132, 29, v132
	v_lshlrev_b64 v[134:135], v134, v[7:8]
	s_delay_alu instid0(VALU_DEP_1)
	v_and_b32_e32 v7, 7, v134
; %bb.213:                              ;   in Loop: Header=BB316_13 Depth=1
	s_or_b32 exec_lo, exec_lo, s23
	v_lshlrev_b32_e32 v134, 8, v144
	v_lshl_add_u32 v132, v132, 10, 0x2000
	s_delay_alu instid0(VALU_DEP_1) | instskip(NEXT) | instid1(VALU_DEP_1)
	v_and_or_b32 v132, 0x8000, v134, v132
	v_lshl_or_b32 v7, v7, 7, v132
	s_delay_alu instid0(VALU_DEP_1)
	v_cvt_f32_f16_e64 v132, v7
.LBB316_214:                            ;   in Loop: Header=BB316_13 Depth=1
	s_or_b32 exec_lo, exec_lo, s22
.LBB316_215:                            ;   in Loop: Header=BB316_13 Depth=1
	s_delay_alu instid0(SALU_CYCLE_1)
	s_or_b32 exec_lo, exec_lo, s21
.LBB316_216:                            ;   in Loop: Header=BB316_13 Depth=1
	s_delay_alu instid0(SALU_CYCLE_1) | instskip(SKIP_2) | instid1(VALU_DEP_1)
	s_or_b32 exec_lo, exec_lo, s20
	v_lshrrev_b16 v7, 8, v144
	s_mov_b32 s20, exec_lo
	v_cmpx_ne_u16_e32 0, v7
	s_cbranch_execz .LBB316_224
; %bb.217:                              ;   in Loop: Header=BB316_13 Depth=1
	v_bfrev_b32_e32 v133, 1
	s_mov_b32 s21, exec_lo
	v_cmpx_ne_u16_e32 0x80, v7
	s_cbranch_execz .LBB316_223
; %bb.218:                              ;   in Loop: Header=BB316_13 Depth=1
	v_and_b32_e32 v134, 0xffff, v7
	v_mov_b32_e32 v133, 0x7fc02000
	s_mov_b32 s22, exec_lo
	s_delay_alu instid0(VALU_DEP_2) | instskip(NEXT) | instid1(VALU_DEP_1)
	v_and_b32_e32 v135, 0x7f, v134
	v_cmpx_ne_u32_e32 0x7f, v135
	s_cbranch_execz .LBB316_222
; %bb.219:                              ;   in Loop: Header=BB316_13 Depth=1
	v_and_b32_e32 v7, 7, v134
	v_lshrrev_b32_e32 v133, 3, v135
	s_mov_b32 s23, exec_lo
	v_cmpx_gt_u32_e32 8, v135
; %bb.220:                              ;   in Loop: Header=BB316_13 Depth=1
	s_delay_alu instid0(VALU_DEP_3) | instskip(NEXT) | instid1(VALU_DEP_1)
	v_clz_i32_u32_e32 v133, v7
	v_min_u32_e32 v133, 32, v133
	s_delay_alu instid0(VALU_DEP_1) | instskip(SKIP_1) | instid1(VALU_DEP_2)
	v_subrev_nc_u32_e32 v135, 28, v133
	v_sub_nc_u32_e32 v133, 29, v133
	v_lshlrev_b64 v[145:146], v135, v[7:8]
	s_delay_alu instid0(VALU_DEP_1)
	v_and_b32_e32 v7, 7, v145
; %bb.221:                              ;   in Loop: Header=BB316_13 Depth=1
	s_or_b32 exec_lo, exec_lo, s23
	v_lshlrev_b32_e32 v134, 8, v134
	v_lshl_add_u32 v133, v133, 10, 0x2000
	s_delay_alu instid0(VALU_DEP_1) | instskip(NEXT) | instid1(VALU_DEP_1)
	v_and_or_b32 v133, 0x8000, v134, v133
	v_lshl_or_b32 v7, v7, 7, v133
	s_delay_alu instid0(VALU_DEP_1)
	v_cvt_f32_f16_e64 v133, v7
.LBB316_222:                            ;   in Loop: Header=BB316_13 Depth=1
	s_or_b32 exec_lo, exec_lo, s22
.LBB316_223:                            ;   in Loop: Header=BB316_13 Depth=1
	s_delay_alu instid0(SALU_CYCLE_1)
	s_or_b32 exec_lo, exec_lo, s21
.LBB316_224:                            ;   in Loop: Header=BB316_13 Depth=1
	s_delay_alu instid0(SALU_CYCLE_1) | instskip(SKIP_3) | instid1(VALU_DEP_2)
	s_or_b32 exec_lo, exec_lo, s20
	v_lshrrev_b32_e32 v145, 16, v144
	v_mov_b32_e32 v135, 0
	s_mov_b32 s20, exec_lo
	v_dual_mov_b32 v134, 0 :: v_dual_and_b32 v7, 0xff, v145
	s_delay_alu instid0(VALU_DEP_1)
	v_cmpx_ne_u16_e32 0, v7
	s_cbranch_execz .LBB316_232
; %bb.225:                              ;   in Loop: Header=BB316_13 Depth=1
	v_bfrev_b32_e32 v135, 1
	s_mov_b32 s21, exec_lo
	v_cmpx_ne_u16_e32 0x80, v7
	s_cbranch_execz .LBB316_231
; %bb.226:                              ;   in Loop: Header=BB316_13 Depth=1
	v_bfe_u32 v146, v144, 16, 7
	v_mov_b32_e32 v135, 0x7fc02000
	s_mov_b32 s22, exec_lo
	s_delay_alu instid0(VALU_DEP_2)
	v_cmpx_ne_u32_e32 0x7f, v146
	s_cbranch_execz .LBB316_230
; %bb.227:                              ;   in Loop: Header=BB316_13 Depth=1
	v_and_b32_e32 v7, 7, v145
	v_lshrrev_b32_e32 v135, 3, v146
	s_mov_b32 s23, exec_lo
	v_cmpx_gt_u32_e32 8, v146
; %bb.228:                              ;   in Loop: Header=BB316_13 Depth=1
	s_delay_alu instid0(VALU_DEP_3) | instskip(NEXT) | instid1(VALU_DEP_1)
	v_clz_i32_u32_e32 v135, v7
	v_min_u32_e32 v135, 32, v135
	s_delay_alu instid0(VALU_DEP_1) | instskip(SKIP_1) | instid1(VALU_DEP_2)
	v_subrev_nc_u32_e32 v146, 28, v135
	v_sub_nc_u32_e32 v135, 29, v135
	v_lshlrev_b64 v[146:147], v146, v[7:8]
	s_delay_alu instid0(VALU_DEP_1)
	v_and_b32_e32 v7, 7, v146
; %bb.229:                              ;   in Loop: Header=BB316_13 Depth=1
	s_or_b32 exec_lo, exec_lo, s23
	v_lshlrev_b32_e32 v145, 8, v145
	v_lshl_add_u32 v135, v135, 10, 0x2000
	s_delay_alu instid0(VALU_DEP_1) | instskip(NEXT) | instid1(VALU_DEP_1)
	v_and_or_b32 v135, 0x8000, v145, v135
	v_lshl_or_b32 v7, v7, 7, v135
	s_delay_alu instid0(VALU_DEP_1)
	v_cvt_f32_f16_e64 v135, v7
.LBB316_230:                            ;   in Loop: Header=BB316_13 Depth=1
	s_or_b32 exec_lo, exec_lo, s22
.LBB316_231:                            ;   in Loop: Header=BB316_13 Depth=1
	s_delay_alu instid0(SALU_CYCLE_1)
	s_or_b32 exec_lo, exec_lo, s21
.LBB316_232:                            ;   in Loop: Header=BB316_13 Depth=1
	s_delay_alu instid0(SALU_CYCLE_1) | instskip(NEXT) | instid1(SALU_CYCLE_1)
	s_or_b32 exec_lo, exec_lo, s20
	s_mov_b32 s20, exec_lo
	v_cmpx_lt_u32_e32 0xffffff, v144
	s_cbranch_execz .LBB316_240
; %bb.233:                              ;   in Loop: Header=BB316_13 Depth=1
	v_lshrrev_b32_e32 v144, 24, v144
	v_bfrev_b32_e32 v134, 1
	s_mov_b32 s21, exec_lo
	s_delay_alu instid0(VALU_DEP_2)
	v_cmpx_ne_u32_e32 0x80, v144
	s_cbranch_execz .LBB316_239
; %bb.234:                              ;   in Loop: Header=BB316_13 Depth=1
	v_and_b32_e32 v145, 0x7f, v144
	v_mov_b32_e32 v134, 0x7fc02000
	s_mov_b32 s22, exec_lo
	s_delay_alu instid0(VALU_DEP_2)
	v_cmpx_ne_u32_e32 0x7f, v145
	s_cbranch_execz .LBB316_238
; %bb.235:                              ;   in Loop: Header=BB316_13 Depth=1
	v_and_b32_e32 v7, 7, v144
	v_lshrrev_b32_e32 v134, 3, v145
	s_mov_b32 s23, exec_lo
	v_cmpx_gt_u32_e32 8, v145
; %bb.236:                              ;   in Loop: Header=BB316_13 Depth=1
	s_delay_alu instid0(VALU_DEP_3) | instskip(NEXT) | instid1(VALU_DEP_1)
	v_clz_i32_u32_e32 v134, v7
	v_min_u32_e32 v134, 32, v134
	s_delay_alu instid0(VALU_DEP_1) | instskip(SKIP_1) | instid1(VALU_DEP_2)
	v_subrev_nc_u32_e32 v145, 28, v134
	v_sub_nc_u32_e32 v134, 29, v134
	v_lshlrev_b64 v[145:146], v145, v[7:8]
	s_delay_alu instid0(VALU_DEP_1)
	v_and_b32_e32 v7, 7, v145
; %bb.237:                              ;   in Loop: Header=BB316_13 Depth=1
	s_or_b32 exec_lo, exec_lo, s23
	v_lshlrev_b32_e32 v144, 8, v144
	v_lshl_add_u32 v134, v134, 10, 0x2000
	s_delay_alu instid0(VALU_DEP_1) | instskip(NEXT) | instid1(VALU_DEP_1)
	v_and_or_b32 v134, 0x8000, v144, v134
	v_lshl_or_b32 v7, v7, 7, v134
	s_delay_alu instid0(VALU_DEP_1)
	v_cvt_f32_f16_e64 v134, v7
.LBB316_238:                            ;   in Loop: Header=BB316_13 Depth=1
	s_or_b32 exec_lo, exec_lo, s22
.LBB316_239:                            ;   in Loop: Header=BB316_13 Depth=1
	s_delay_alu instid0(SALU_CYCLE_1)
	s_or_b32 exec_lo, exec_lo, s21
.LBB316_240:                            ;   in Loop: Header=BB316_13 Depth=1
	s_delay_alu instid0(SALU_CYCLE_1)
	s_or_b32 exec_lo, exec_lo, s20
	flat_load_b32 v148, v[31:32] offset:776
	v_mov_b32_e32 v145, 0
	s_mov_b32 s20, exec_lo
	s_waitcnt vmcnt(0) lgkmcnt(0)
	v_dual_mov_b32 v144, 0 :: v_dual_and_b32 v7, 0xff, v148
	s_delay_alu instid0(VALU_DEP_1)
	v_cmpx_ne_u16_e32 0, v7
	s_cbranch_execz .LBB316_248
; %bb.241:                              ;   in Loop: Header=BB316_13 Depth=1
	v_bfrev_b32_e32 v144, 1
	s_mov_b32 s21, exec_lo
	v_cmpx_ne_u16_e32 0x80, v7
	s_cbranch_execz .LBB316_247
; %bb.242:                              ;   in Loop: Header=BB316_13 Depth=1
	v_and_b32_e32 v146, 0x7f, v148
	v_mov_b32_e32 v144, 0x7fc02000
	s_mov_b32 s22, exec_lo
	s_delay_alu instid0(VALU_DEP_2)
	v_cmpx_ne_u32_e32 0x7f, v146
	s_cbranch_execz .LBB316_246
; %bb.243:                              ;   in Loop: Header=BB316_13 Depth=1
	v_and_b32_e32 v7, 7, v148
	v_lshrrev_b32_e32 v144, 3, v146
	s_mov_b32 s23, exec_lo
	v_cmpx_gt_u32_e32 8, v146
; %bb.244:                              ;   in Loop: Header=BB316_13 Depth=1
	s_delay_alu instid0(VALU_DEP_3) | instskip(NEXT) | instid1(VALU_DEP_1)
	v_clz_i32_u32_e32 v144, v7
	v_min_u32_e32 v144, 32, v144
	s_delay_alu instid0(VALU_DEP_1) | instskip(SKIP_1) | instid1(VALU_DEP_2)
	v_subrev_nc_u32_e32 v146, 28, v144
	v_sub_nc_u32_e32 v144, 29, v144
	v_lshlrev_b64 v[146:147], v146, v[7:8]
	s_delay_alu instid0(VALU_DEP_1)
	v_and_b32_e32 v7, 7, v146
; %bb.245:                              ;   in Loop: Header=BB316_13 Depth=1
	s_or_b32 exec_lo, exec_lo, s23
	v_lshlrev_b32_e32 v146, 8, v148
	v_lshl_add_u32 v144, v144, 10, 0x2000
	s_delay_alu instid0(VALU_DEP_1) | instskip(NEXT) | instid1(VALU_DEP_1)
	v_and_or_b32 v144, 0x8000, v146, v144
	v_lshl_or_b32 v7, v7, 7, v144
	s_delay_alu instid0(VALU_DEP_1)
	v_cvt_f32_f16_e64 v144, v7
.LBB316_246:                            ;   in Loop: Header=BB316_13 Depth=1
	s_or_b32 exec_lo, exec_lo, s22
.LBB316_247:                            ;   in Loop: Header=BB316_13 Depth=1
	s_delay_alu instid0(SALU_CYCLE_1)
	s_or_b32 exec_lo, exec_lo, s21
.LBB316_248:                            ;   in Loop: Header=BB316_13 Depth=1
	s_delay_alu instid0(SALU_CYCLE_1) | instskip(SKIP_2) | instid1(VALU_DEP_1)
	s_or_b32 exec_lo, exec_lo, s20
	v_lshrrev_b16 v7, 8, v148
	s_mov_b32 s20, exec_lo
	v_cmpx_ne_u16_e32 0, v7
	s_cbranch_execz .LBB316_256
; %bb.249:                              ;   in Loop: Header=BB316_13 Depth=1
	v_bfrev_b32_e32 v145, 1
	s_mov_b32 s21, exec_lo
	v_cmpx_ne_u16_e32 0x80, v7
	s_cbranch_execz .LBB316_255
; %bb.250:                              ;   in Loop: Header=BB316_13 Depth=1
	v_and_b32_e32 v146, 0xffff, v7
	v_mov_b32_e32 v145, 0x7fc02000
	s_mov_b32 s22, exec_lo
	s_delay_alu instid0(VALU_DEP_2) | instskip(NEXT) | instid1(VALU_DEP_1)
	v_and_b32_e32 v147, 0x7f, v146
	v_cmpx_ne_u32_e32 0x7f, v147
	s_cbranch_execz .LBB316_254
; %bb.251:                              ;   in Loop: Header=BB316_13 Depth=1
	v_and_b32_e32 v7, 7, v146
	v_lshrrev_b32_e32 v145, 3, v147
	s_mov_b32 s23, exec_lo
	v_cmpx_gt_u32_e32 8, v147
; %bb.252:                              ;   in Loop: Header=BB316_13 Depth=1
	s_delay_alu instid0(VALU_DEP_3) | instskip(NEXT) | instid1(VALU_DEP_1)
	v_clz_i32_u32_e32 v145, v7
	v_min_u32_e32 v145, 32, v145
	s_delay_alu instid0(VALU_DEP_1) | instskip(SKIP_1) | instid1(VALU_DEP_2)
	v_subrev_nc_u32_e32 v147, 28, v145
	v_sub_nc_u32_e32 v145, 29, v145
	v_lshlrev_b64 v[149:150], v147, v[7:8]
	s_delay_alu instid0(VALU_DEP_1)
	v_and_b32_e32 v7, 7, v149
; %bb.253:                              ;   in Loop: Header=BB316_13 Depth=1
	s_or_b32 exec_lo, exec_lo, s23
	v_lshlrev_b32_e32 v146, 8, v146
	v_lshl_add_u32 v145, v145, 10, 0x2000
	s_delay_alu instid0(VALU_DEP_1) | instskip(NEXT) | instid1(VALU_DEP_1)
	v_and_or_b32 v145, 0x8000, v146, v145
	v_lshl_or_b32 v7, v7, 7, v145
	s_delay_alu instid0(VALU_DEP_1)
	v_cvt_f32_f16_e64 v145, v7
.LBB316_254:                            ;   in Loop: Header=BB316_13 Depth=1
	s_or_b32 exec_lo, exec_lo, s22
.LBB316_255:                            ;   in Loop: Header=BB316_13 Depth=1
	s_delay_alu instid0(SALU_CYCLE_1)
	s_or_b32 exec_lo, exec_lo, s21
.LBB316_256:                            ;   in Loop: Header=BB316_13 Depth=1
	s_delay_alu instid0(SALU_CYCLE_1) | instskip(SKIP_3) | instid1(VALU_DEP_2)
	s_or_b32 exec_lo, exec_lo, s20
	v_lshrrev_b32_e32 v149, 16, v148
	v_mov_b32_e32 v147, 0
	s_mov_b32 s20, exec_lo
	v_dual_mov_b32 v146, 0 :: v_dual_and_b32 v7, 0xff, v149
	s_delay_alu instid0(VALU_DEP_1)
	v_cmpx_ne_u16_e32 0, v7
	s_cbranch_execz .LBB316_264
; %bb.257:                              ;   in Loop: Header=BB316_13 Depth=1
	v_bfrev_b32_e32 v147, 1
	s_mov_b32 s21, exec_lo
	v_cmpx_ne_u16_e32 0x80, v7
	s_cbranch_execz .LBB316_263
; %bb.258:                              ;   in Loop: Header=BB316_13 Depth=1
	v_bfe_u32 v150, v148, 16, 7
	v_mov_b32_e32 v147, 0x7fc02000
	s_mov_b32 s22, exec_lo
	s_delay_alu instid0(VALU_DEP_2)
	v_cmpx_ne_u32_e32 0x7f, v150
	s_cbranch_execz .LBB316_262
; %bb.259:                              ;   in Loop: Header=BB316_13 Depth=1
	v_and_b32_e32 v7, 7, v149
	v_lshrrev_b32_e32 v147, 3, v150
	s_mov_b32 s23, exec_lo
	v_cmpx_gt_u32_e32 8, v150
; %bb.260:                              ;   in Loop: Header=BB316_13 Depth=1
	s_delay_alu instid0(VALU_DEP_3) | instskip(NEXT) | instid1(VALU_DEP_1)
	v_clz_i32_u32_e32 v147, v7
	v_min_u32_e32 v147, 32, v147
	s_delay_alu instid0(VALU_DEP_1) | instskip(SKIP_1) | instid1(VALU_DEP_2)
	v_subrev_nc_u32_e32 v150, 28, v147
	v_sub_nc_u32_e32 v147, 29, v147
	v_lshlrev_b64 v[150:151], v150, v[7:8]
	s_delay_alu instid0(VALU_DEP_1)
	v_and_b32_e32 v7, 7, v150
; %bb.261:                              ;   in Loop: Header=BB316_13 Depth=1
	s_or_b32 exec_lo, exec_lo, s23
	v_lshlrev_b32_e32 v149, 8, v149
	v_lshl_add_u32 v147, v147, 10, 0x2000
	s_delay_alu instid0(VALU_DEP_1) | instskip(NEXT) | instid1(VALU_DEP_1)
	v_and_or_b32 v147, 0x8000, v149, v147
	v_lshl_or_b32 v7, v7, 7, v147
	s_delay_alu instid0(VALU_DEP_1)
	v_cvt_f32_f16_e64 v147, v7
.LBB316_262:                            ;   in Loop: Header=BB316_13 Depth=1
	s_or_b32 exec_lo, exec_lo, s22
.LBB316_263:                            ;   in Loop: Header=BB316_13 Depth=1
	s_delay_alu instid0(SALU_CYCLE_1)
	s_or_b32 exec_lo, exec_lo, s21
.LBB316_264:                            ;   in Loop: Header=BB316_13 Depth=1
	s_delay_alu instid0(SALU_CYCLE_1) | instskip(NEXT) | instid1(SALU_CYCLE_1)
	s_or_b32 exec_lo, exec_lo, s20
	s_mov_b32 s20, exec_lo
	v_cmpx_lt_u32_e32 0xffffff, v148
	s_cbranch_execz .LBB316_272
; %bb.265:                              ;   in Loop: Header=BB316_13 Depth=1
	v_lshrrev_b32_e32 v148, 24, v148
	v_bfrev_b32_e32 v146, 1
	s_mov_b32 s21, exec_lo
	s_delay_alu instid0(VALU_DEP_2)
	v_cmpx_ne_u32_e32 0x80, v148
	s_cbranch_execz .LBB316_271
; %bb.266:                              ;   in Loop: Header=BB316_13 Depth=1
	v_and_b32_e32 v149, 0x7f, v148
	v_mov_b32_e32 v146, 0x7fc02000
	s_mov_b32 s22, exec_lo
	s_delay_alu instid0(VALU_DEP_2)
	v_cmpx_ne_u32_e32 0x7f, v149
	s_cbranch_execz .LBB316_270
; %bb.267:                              ;   in Loop: Header=BB316_13 Depth=1
	v_and_b32_e32 v7, 7, v148
	v_lshrrev_b32_e32 v146, 3, v149
	s_mov_b32 s23, exec_lo
	v_cmpx_gt_u32_e32 8, v149
; %bb.268:                              ;   in Loop: Header=BB316_13 Depth=1
	s_delay_alu instid0(VALU_DEP_3) | instskip(NEXT) | instid1(VALU_DEP_1)
	v_clz_i32_u32_e32 v146, v7
	v_min_u32_e32 v146, 32, v146
	s_delay_alu instid0(VALU_DEP_1) | instskip(SKIP_1) | instid1(VALU_DEP_2)
	v_subrev_nc_u32_e32 v149, 28, v146
	v_sub_nc_u32_e32 v146, 29, v146
	v_lshlrev_b64 v[149:150], v149, v[7:8]
	s_delay_alu instid0(VALU_DEP_1)
	v_and_b32_e32 v7, 7, v149
; %bb.269:                              ;   in Loop: Header=BB316_13 Depth=1
	s_or_b32 exec_lo, exec_lo, s23
	v_lshlrev_b32_e32 v148, 8, v148
	v_lshl_add_u32 v146, v146, 10, 0x2000
	s_delay_alu instid0(VALU_DEP_1) | instskip(NEXT) | instid1(VALU_DEP_1)
	v_and_or_b32 v146, 0x8000, v148, v146
	v_lshl_or_b32 v7, v7, 7, v146
	s_delay_alu instid0(VALU_DEP_1)
	v_cvt_f32_f16_e64 v146, v7
.LBB316_270:                            ;   in Loop: Header=BB316_13 Depth=1
	s_or_b32 exec_lo, exec_lo, s22
.LBB316_271:                            ;   in Loop: Header=BB316_13 Depth=1
	s_delay_alu instid0(SALU_CYCLE_1)
	s_or_b32 exec_lo, exec_lo, s21
.LBB316_272:                            ;   in Loop: Header=BB316_13 Depth=1
	s_delay_alu instid0(SALU_CYCLE_1)
	s_or_b32 exec_lo, exec_lo, s20
	flat_load_b32 v160, v[31:32] offset:1024
	v_mov_b32_e32 v149, 0
	s_mov_b32 s20, exec_lo
	s_waitcnt vmcnt(0) lgkmcnt(0)
	v_dual_mov_b32 v148, 0 :: v_dual_and_b32 v7, 0xff, v160
	s_delay_alu instid0(VALU_DEP_1)
	v_cmpx_ne_u16_e32 0, v7
	s_cbranch_execz .LBB316_280
; %bb.273:                              ;   in Loop: Header=BB316_13 Depth=1
	v_bfrev_b32_e32 v148, 1
	s_mov_b32 s21, exec_lo
	v_cmpx_ne_u16_e32 0x80, v7
	s_cbranch_execz .LBB316_279
; %bb.274:                              ;   in Loop: Header=BB316_13 Depth=1
	v_and_b32_e32 v150, 0x7f, v160
	v_mov_b32_e32 v148, 0x7fc02000
	s_mov_b32 s22, exec_lo
	s_delay_alu instid0(VALU_DEP_2)
	v_cmpx_ne_u32_e32 0x7f, v150
	s_cbranch_execz .LBB316_278
; %bb.275:                              ;   in Loop: Header=BB316_13 Depth=1
	v_and_b32_e32 v7, 7, v160
	v_lshrrev_b32_e32 v148, 3, v150
	s_mov_b32 s23, exec_lo
	v_cmpx_gt_u32_e32 8, v150
; %bb.276:                              ;   in Loop: Header=BB316_13 Depth=1
	s_delay_alu instid0(VALU_DEP_3) | instskip(NEXT) | instid1(VALU_DEP_1)
	v_clz_i32_u32_e32 v148, v7
	v_min_u32_e32 v148, 32, v148
	s_delay_alu instid0(VALU_DEP_1) | instskip(SKIP_1) | instid1(VALU_DEP_2)
	v_subrev_nc_u32_e32 v150, 28, v148
	v_sub_nc_u32_e32 v148, 29, v148
	v_lshlrev_b64 v[150:151], v150, v[7:8]
	s_delay_alu instid0(VALU_DEP_1)
	v_and_b32_e32 v7, 7, v150
; %bb.277:                              ;   in Loop: Header=BB316_13 Depth=1
	s_or_b32 exec_lo, exec_lo, s23
	v_lshlrev_b32_e32 v150, 8, v160
	v_lshl_add_u32 v148, v148, 10, 0x2000
	s_delay_alu instid0(VALU_DEP_1) | instskip(NEXT) | instid1(VALU_DEP_1)
	v_and_or_b32 v148, 0x8000, v150, v148
	v_lshl_or_b32 v7, v7, 7, v148
	s_delay_alu instid0(VALU_DEP_1)
	v_cvt_f32_f16_e64 v148, v7
.LBB316_278:                            ;   in Loop: Header=BB316_13 Depth=1
	s_or_b32 exec_lo, exec_lo, s22
.LBB316_279:                            ;   in Loop: Header=BB316_13 Depth=1
	s_delay_alu instid0(SALU_CYCLE_1)
	s_or_b32 exec_lo, exec_lo, s21
.LBB316_280:                            ;   in Loop: Header=BB316_13 Depth=1
	s_delay_alu instid0(SALU_CYCLE_1) | instskip(SKIP_2) | instid1(VALU_DEP_1)
	s_or_b32 exec_lo, exec_lo, s20
	v_lshrrev_b16 v7, 8, v160
	s_mov_b32 s20, exec_lo
	v_cmpx_ne_u16_e32 0, v7
	s_cbranch_execz .LBB316_288
; %bb.281:                              ;   in Loop: Header=BB316_13 Depth=1
	v_bfrev_b32_e32 v149, 1
	s_mov_b32 s21, exec_lo
	v_cmpx_ne_u16_e32 0x80, v7
	s_cbranch_execz .LBB316_287
; %bb.282:                              ;   in Loop: Header=BB316_13 Depth=1
	v_and_b32_e32 v150, 0xffff, v7
	v_mov_b32_e32 v149, 0x7fc02000
	s_mov_b32 s22, exec_lo
	s_delay_alu instid0(VALU_DEP_2) | instskip(NEXT) | instid1(VALU_DEP_1)
	v_and_b32_e32 v151, 0x7f, v150
	v_cmpx_ne_u32_e32 0x7f, v151
	s_cbranch_execz .LBB316_286
; %bb.283:                              ;   in Loop: Header=BB316_13 Depth=1
	v_and_b32_e32 v7, 7, v150
	v_lshrrev_b32_e32 v149, 3, v151
	s_mov_b32 s23, exec_lo
	v_cmpx_gt_u32_e32 8, v151
; %bb.284:                              ;   in Loop: Header=BB316_13 Depth=1
	s_delay_alu instid0(VALU_DEP_3) | instskip(NEXT) | instid1(VALU_DEP_1)
	v_clz_i32_u32_e32 v149, v7
	v_min_u32_e32 v149, 32, v149
	s_delay_alu instid0(VALU_DEP_1) | instskip(SKIP_1) | instid1(VALU_DEP_2)
	v_subrev_nc_u32_e32 v151, 28, v149
	v_sub_nc_u32_e32 v149, 29, v149
	v_lshlrev_b64 v[161:162], v151, v[7:8]
	s_delay_alu instid0(VALU_DEP_1)
	v_and_b32_e32 v7, 7, v161
; %bb.285:                              ;   in Loop: Header=BB316_13 Depth=1
	s_or_b32 exec_lo, exec_lo, s23
	v_lshlrev_b32_e32 v150, 8, v150
	v_lshl_add_u32 v149, v149, 10, 0x2000
	s_delay_alu instid0(VALU_DEP_1) | instskip(NEXT) | instid1(VALU_DEP_1)
	v_and_or_b32 v149, 0x8000, v150, v149
	v_lshl_or_b32 v7, v7, 7, v149
	s_delay_alu instid0(VALU_DEP_1)
	v_cvt_f32_f16_e64 v149, v7
.LBB316_286:                            ;   in Loop: Header=BB316_13 Depth=1
	s_or_b32 exec_lo, exec_lo, s22
.LBB316_287:                            ;   in Loop: Header=BB316_13 Depth=1
	s_delay_alu instid0(SALU_CYCLE_1)
	s_or_b32 exec_lo, exec_lo, s21
.LBB316_288:                            ;   in Loop: Header=BB316_13 Depth=1
	s_delay_alu instid0(SALU_CYCLE_1) | instskip(SKIP_3) | instid1(VALU_DEP_2)
	s_or_b32 exec_lo, exec_lo, s20
	v_lshrrev_b32_e32 v161, 16, v160
	v_mov_b32_e32 v151, 0
	s_mov_b32 s20, exec_lo
	v_dual_mov_b32 v150, 0 :: v_dual_and_b32 v7, 0xff, v161
	s_delay_alu instid0(VALU_DEP_1)
	v_cmpx_ne_u16_e32 0, v7
	s_cbranch_execz .LBB316_296
; %bb.289:                              ;   in Loop: Header=BB316_13 Depth=1
	v_bfrev_b32_e32 v151, 1
	s_mov_b32 s21, exec_lo
	v_cmpx_ne_u16_e32 0x80, v7
	s_cbranch_execz .LBB316_295
; %bb.290:                              ;   in Loop: Header=BB316_13 Depth=1
	v_bfe_u32 v162, v160, 16, 7
	v_mov_b32_e32 v151, 0x7fc02000
	s_mov_b32 s22, exec_lo
	s_delay_alu instid0(VALU_DEP_2)
	v_cmpx_ne_u32_e32 0x7f, v162
	s_cbranch_execz .LBB316_294
; %bb.291:                              ;   in Loop: Header=BB316_13 Depth=1
	v_and_b32_e32 v7, 7, v161
	v_lshrrev_b32_e32 v151, 3, v162
	s_mov_b32 s23, exec_lo
	v_cmpx_gt_u32_e32 8, v162
; %bb.292:                              ;   in Loop: Header=BB316_13 Depth=1
	s_delay_alu instid0(VALU_DEP_3) | instskip(NEXT) | instid1(VALU_DEP_1)
	v_clz_i32_u32_e32 v151, v7
	v_min_u32_e32 v151, 32, v151
	s_delay_alu instid0(VALU_DEP_1) | instskip(SKIP_1) | instid1(VALU_DEP_2)
	v_subrev_nc_u32_e32 v162, 28, v151
	v_sub_nc_u32_e32 v151, 29, v151
	v_lshlrev_b64 v[162:163], v162, v[7:8]
	s_delay_alu instid0(VALU_DEP_1)
	v_and_b32_e32 v7, 7, v162
; %bb.293:                              ;   in Loop: Header=BB316_13 Depth=1
	s_or_b32 exec_lo, exec_lo, s23
	v_lshlrev_b32_e32 v161, 8, v161
	v_lshl_add_u32 v151, v151, 10, 0x2000
	s_delay_alu instid0(VALU_DEP_1) | instskip(NEXT) | instid1(VALU_DEP_1)
	v_and_or_b32 v151, 0x8000, v161, v151
	v_lshl_or_b32 v7, v7, 7, v151
	s_delay_alu instid0(VALU_DEP_1)
	v_cvt_f32_f16_e64 v151, v7
.LBB316_294:                            ;   in Loop: Header=BB316_13 Depth=1
	s_or_b32 exec_lo, exec_lo, s22
.LBB316_295:                            ;   in Loop: Header=BB316_13 Depth=1
	s_delay_alu instid0(SALU_CYCLE_1)
	s_or_b32 exec_lo, exec_lo, s21
.LBB316_296:                            ;   in Loop: Header=BB316_13 Depth=1
	s_delay_alu instid0(SALU_CYCLE_1) | instskip(NEXT) | instid1(SALU_CYCLE_1)
	s_or_b32 exec_lo, exec_lo, s20
	s_mov_b32 s20, exec_lo
	v_cmpx_lt_u32_e32 0xffffff, v160
	s_cbranch_execz .LBB316_304
; %bb.297:                              ;   in Loop: Header=BB316_13 Depth=1
	v_lshrrev_b32_e32 v160, 24, v160
	v_bfrev_b32_e32 v150, 1
	s_mov_b32 s21, exec_lo
	s_delay_alu instid0(VALU_DEP_2)
	v_cmpx_ne_u32_e32 0x80, v160
	s_cbranch_execz .LBB316_303
; %bb.298:                              ;   in Loop: Header=BB316_13 Depth=1
	v_and_b32_e32 v161, 0x7f, v160
	v_mov_b32_e32 v150, 0x7fc02000
	s_mov_b32 s22, exec_lo
	s_delay_alu instid0(VALU_DEP_2)
	v_cmpx_ne_u32_e32 0x7f, v161
	s_cbranch_execz .LBB316_302
; %bb.299:                              ;   in Loop: Header=BB316_13 Depth=1
	v_and_b32_e32 v7, 7, v160
	v_lshrrev_b32_e32 v150, 3, v161
	s_mov_b32 s23, exec_lo
	v_cmpx_gt_u32_e32 8, v161
; %bb.300:                              ;   in Loop: Header=BB316_13 Depth=1
	s_delay_alu instid0(VALU_DEP_3) | instskip(NEXT) | instid1(VALU_DEP_1)
	v_clz_i32_u32_e32 v150, v7
	v_min_u32_e32 v150, 32, v150
	s_delay_alu instid0(VALU_DEP_1) | instskip(SKIP_1) | instid1(VALU_DEP_2)
	v_subrev_nc_u32_e32 v161, 28, v150
	v_sub_nc_u32_e32 v150, 29, v150
	v_lshlrev_b64 v[161:162], v161, v[7:8]
	s_delay_alu instid0(VALU_DEP_1)
	v_and_b32_e32 v7, 7, v161
; %bb.301:                              ;   in Loop: Header=BB316_13 Depth=1
	s_or_b32 exec_lo, exec_lo, s23
	v_lshlrev_b32_e32 v160, 8, v160
	v_lshl_add_u32 v150, v150, 10, 0x2000
	s_delay_alu instid0(VALU_DEP_1) | instskip(NEXT) | instid1(VALU_DEP_1)
	v_and_or_b32 v150, 0x8000, v160, v150
	v_lshl_or_b32 v7, v7, 7, v150
	s_delay_alu instid0(VALU_DEP_1)
	v_cvt_f32_f16_e64 v150, v7
.LBB316_302:                            ;   in Loop: Header=BB316_13 Depth=1
	s_or_b32 exec_lo, exec_lo, s22
.LBB316_303:                            ;   in Loop: Header=BB316_13 Depth=1
	s_delay_alu instid0(SALU_CYCLE_1)
	s_or_b32 exec_lo, exec_lo, s21
.LBB316_304:                            ;   in Loop: Header=BB316_13 Depth=1
	s_delay_alu instid0(SALU_CYCLE_1)
	s_or_b32 exec_lo, exec_lo, s20
	flat_load_b32 v164, v[31:32] offset:1032
	v_mov_b32_e32 v161, 0
	s_mov_b32 s20, exec_lo
	s_waitcnt vmcnt(0) lgkmcnt(0)
	v_dual_mov_b32 v160, 0 :: v_dual_and_b32 v7, 0xff, v164
	s_delay_alu instid0(VALU_DEP_1)
	v_cmpx_ne_u16_e32 0, v7
	s_cbranch_execz .LBB316_312
; %bb.305:                              ;   in Loop: Header=BB316_13 Depth=1
	v_bfrev_b32_e32 v160, 1
	s_mov_b32 s21, exec_lo
	v_cmpx_ne_u16_e32 0x80, v7
	s_cbranch_execz .LBB316_311
; %bb.306:                              ;   in Loop: Header=BB316_13 Depth=1
	v_and_b32_e32 v162, 0x7f, v164
	v_mov_b32_e32 v160, 0x7fc02000
	s_mov_b32 s22, exec_lo
	s_delay_alu instid0(VALU_DEP_2)
	v_cmpx_ne_u32_e32 0x7f, v162
	s_cbranch_execz .LBB316_310
; %bb.307:                              ;   in Loop: Header=BB316_13 Depth=1
	v_and_b32_e32 v7, 7, v164
	v_lshrrev_b32_e32 v160, 3, v162
	s_mov_b32 s23, exec_lo
	v_cmpx_gt_u32_e32 8, v162
; %bb.308:                              ;   in Loop: Header=BB316_13 Depth=1
	s_delay_alu instid0(VALU_DEP_3) | instskip(NEXT) | instid1(VALU_DEP_1)
	v_clz_i32_u32_e32 v160, v7
	v_min_u32_e32 v160, 32, v160
	s_delay_alu instid0(VALU_DEP_1) | instskip(SKIP_1) | instid1(VALU_DEP_2)
	v_subrev_nc_u32_e32 v162, 28, v160
	v_sub_nc_u32_e32 v160, 29, v160
	v_lshlrev_b64 v[162:163], v162, v[7:8]
	s_delay_alu instid0(VALU_DEP_1)
	v_and_b32_e32 v7, 7, v162
; %bb.309:                              ;   in Loop: Header=BB316_13 Depth=1
	s_or_b32 exec_lo, exec_lo, s23
	v_lshlrev_b32_e32 v162, 8, v164
	v_lshl_add_u32 v160, v160, 10, 0x2000
	s_delay_alu instid0(VALU_DEP_1) | instskip(NEXT) | instid1(VALU_DEP_1)
	v_and_or_b32 v160, 0x8000, v162, v160
	v_lshl_or_b32 v7, v7, 7, v160
	s_delay_alu instid0(VALU_DEP_1)
	v_cvt_f32_f16_e64 v160, v7
.LBB316_310:                            ;   in Loop: Header=BB316_13 Depth=1
	s_or_b32 exec_lo, exec_lo, s22
.LBB316_311:                            ;   in Loop: Header=BB316_13 Depth=1
	s_delay_alu instid0(SALU_CYCLE_1)
	s_or_b32 exec_lo, exec_lo, s21
.LBB316_312:                            ;   in Loop: Header=BB316_13 Depth=1
	s_delay_alu instid0(SALU_CYCLE_1) | instskip(SKIP_2) | instid1(VALU_DEP_1)
	s_or_b32 exec_lo, exec_lo, s20
	v_lshrrev_b16 v7, 8, v164
	s_mov_b32 s20, exec_lo
	v_cmpx_ne_u16_e32 0, v7
	s_cbranch_execz .LBB316_320
; %bb.313:                              ;   in Loop: Header=BB316_13 Depth=1
	v_bfrev_b32_e32 v161, 1
	s_mov_b32 s21, exec_lo
	v_cmpx_ne_u16_e32 0x80, v7
	s_cbranch_execz .LBB316_319
; %bb.314:                              ;   in Loop: Header=BB316_13 Depth=1
	v_and_b32_e32 v162, 0xffff, v7
	v_mov_b32_e32 v161, 0x7fc02000
	s_mov_b32 s22, exec_lo
	s_delay_alu instid0(VALU_DEP_2) | instskip(NEXT) | instid1(VALU_DEP_1)
	v_and_b32_e32 v163, 0x7f, v162
	v_cmpx_ne_u32_e32 0x7f, v163
	s_cbranch_execz .LBB316_318
; %bb.315:                              ;   in Loop: Header=BB316_13 Depth=1
	v_and_b32_e32 v7, 7, v162
	v_lshrrev_b32_e32 v161, 3, v163
	s_mov_b32 s23, exec_lo
	v_cmpx_gt_u32_e32 8, v163
; %bb.316:                              ;   in Loop: Header=BB316_13 Depth=1
	s_delay_alu instid0(VALU_DEP_3) | instskip(NEXT) | instid1(VALU_DEP_1)
	v_clz_i32_u32_e32 v161, v7
	v_min_u32_e32 v161, 32, v161
	s_delay_alu instid0(VALU_DEP_1) | instskip(SKIP_1) | instid1(VALU_DEP_2)
	v_subrev_nc_u32_e32 v163, 28, v161
	v_sub_nc_u32_e32 v161, 29, v161
	v_lshlrev_b64 v[165:166], v163, v[7:8]
	s_delay_alu instid0(VALU_DEP_1)
	v_and_b32_e32 v7, 7, v165
; %bb.317:                              ;   in Loop: Header=BB316_13 Depth=1
	s_or_b32 exec_lo, exec_lo, s23
	v_lshlrev_b32_e32 v162, 8, v162
	v_lshl_add_u32 v161, v161, 10, 0x2000
	s_delay_alu instid0(VALU_DEP_1) | instskip(NEXT) | instid1(VALU_DEP_1)
	v_and_or_b32 v161, 0x8000, v162, v161
	v_lshl_or_b32 v7, v7, 7, v161
	s_delay_alu instid0(VALU_DEP_1)
	v_cvt_f32_f16_e64 v161, v7
.LBB316_318:                            ;   in Loop: Header=BB316_13 Depth=1
	s_or_b32 exec_lo, exec_lo, s22
.LBB316_319:                            ;   in Loop: Header=BB316_13 Depth=1
	s_delay_alu instid0(SALU_CYCLE_1)
	s_or_b32 exec_lo, exec_lo, s21
.LBB316_320:                            ;   in Loop: Header=BB316_13 Depth=1
	s_delay_alu instid0(SALU_CYCLE_1) | instskip(SKIP_3) | instid1(VALU_DEP_2)
	s_or_b32 exec_lo, exec_lo, s20
	v_lshrrev_b32_e32 v165, 16, v164
	v_mov_b32_e32 v163, 0
	s_mov_b32 s20, exec_lo
	v_dual_mov_b32 v162, 0 :: v_dual_and_b32 v7, 0xff, v165
	s_delay_alu instid0(VALU_DEP_1)
	v_cmpx_ne_u16_e32 0, v7
	s_cbranch_execz .LBB316_328
; %bb.321:                              ;   in Loop: Header=BB316_13 Depth=1
	v_bfrev_b32_e32 v163, 1
	s_mov_b32 s21, exec_lo
	v_cmpx_ne_u16_e32 0x80, v7
	s_cbranch_execz .LBB316_327
; %bb.322:                              ;   in Loop: Header=BB316_13 Depth=1
	v_bfe_u32 v166, v164, 16, 7
	v_mov_b32_e32 v163, 0x7fc02000
	s_mov_b32 s22, exec_lo
	s_delay_alu instid0(VALU_DEP_2)
	v_cmpx_ne_u32_e32 0x7f, v166
	s_cbranch_execz .LBB316_326
; %bb.323:                              ;   in Loop: Header=BB316_13 Depth=1
	v_and_b32_e32 v7, 7, v165
	v_lshrrev_b32_e32 v163, 3, v166
	s_mov_b32 s23, exec_lo
	v_cmpx_gt_u32_e32 8, v166
; %bb.324:                              ;   in Loop: Header=BB316_13 Depth=1
	s_delay_alu instid0(VALU_DEP_3) | instskip(NEXT) | instid1(VALU_DEP_1)
	v_clz_i32_u32_e32 v163, v7
	v_min_u32_e32 v163, 32, v163
	s_delay_alu instid0(VALU_DEP_1) | instskip(SKIP_1) | instid1(VALU_DEP_2)
	v_subrev_nc_u32_e32 v166, 28, v163
	v_sub_nc_u32_e32 v163, 29, v163
	v_lshlrev_b64 v[166:167], v166, v[7:8]
	s_delay_alu instid0(VALU_DEP_1)
	v_and_b32_e32 v7, 7, v166
; %bb.325:                              ;   in Loop: Header=BB316_13 Depth=1
	s_or_b32 exec_lo, exec_lo, s23
	v_lshlrev_b32_e32 v165, 8, v165
	v_lshl_add_u32 v163, v163, 10, 0x2000
	s_delay_alu instid0(VALU_DEP_1) | instskip(NEXT) | instid1(VALU_DEP_1)
	v_and_or_b32 v163, 0x8000, v165, v163
	v_lshl_or_b32 v7, v7, 7, v163
	s_delay_alu instid0(VALU_DEP_1)
	v_cvt_f32_f16_e64 v163, v7
.LBB316_326:                            ;   in Loop: Header=BB316_13 Depth=1
	s_or_b32 exec_lo, exec_lo, s22
.LBB316_327:                            ;   in Loop: Header=BB316_13 Depth=1
	s_delay_alu instid0(SALU_CYCLE_1)
	s_or_b32 exec_lo, exec_lo, s21
.LBB316_328:                            ;   in Loop: Header=BB316_13 Depth=1
	s_delay_alu instid0(SALU_CYCLE_1) | instskip(NEXT) | instid1(SALU_CYCLE_1)
	s_or_b32 exec_lo, exec_lo, s20
	s_mov_b32 s20, exec_lo
	v_cmpx_lt_u32_e32 0xffffff, v164
	s_cbranch_execz .LBB316_336
; %bb.329:                              ;   in Loop: Header=BB316_13 Depth=1
	v_lshrrev_b32_e32 v164, 24, v164
	v_bfrev_b32_e32 v162, 1
	s_mov_b32 s21, exec_lo
	s_delay_alu instid0(VALU_DEP_2)
	v_cmpx_ne_u32_e32 0x80, v164
	s_cbranch_execz .LBB316_335
; %bb.330:                              ;   in Loop: Header=BB316_13 Depth=1
	v_and_b32_e32 v165, 0x7f, v164
	v_mov_b32_e32 v162, 0x7fc02000
	s_mov_b32 s22, exec_lo
	s_delay_alu instid0(VALU_DEP_2)
	v_cmpx_ne_u32_e32 0x7f, v165
	s_cbranch_execz .LBB316_334
; %bb.331:                              ;   in Loop: Header=BB316_13 Depth=1
	v_and_b32_e32 v7, 7, v164
	v_lshrrev_b32_e32 v162, 3, v165
	s_mov_b32 s23, exec_lo
	v_cmpx_gt_u32_e32 8, v165
; %bb.332:                              ;   in Loop: Header=BB316_13 Depth=1
	s_delay_alu instid0(VALU_DEP_3) | instskip(NEXT) | instid1(VALU_DEP_1)
	v_clz_i32_u32_e32 v162, v7
	v_min_u32_e32 v162, 32, v162
	s_delay_alu instid0(VALU_DEP_1) | instskip(SKIP_1) | instid1(VALU_DEP_2)
	v_subrev_nc_u32_e32 v165, 28, v162
	v_sub_nc_u32_e32 v162, 29, v162
	v_lshlrev_b64 v[165:166], v165, v[7:8]
	s_delay_alu instid0(VALU_DEP_1)
	v_and_b32_e32 v7, 7, v165
; %bb.333:                              ;   in Loop: Header=BB316_13 Depth=1
	s_or_b32 exec_lo, exec_lo, s23
	v_lshlrev_b32_e32 v164, 8, v164
	v_lshl_add_u32 v162, v162, 10, 0x2000
	s_delay_alu instid0(VALU_DEP_1) | instskip(NEXT) | instid1(VALU_DEP_1)
	v_and_or_b32 v162, 0x8000, v164, v162
	v_lshl_or_b32 v7, v7, 7, v162
	s_delay_alu instid0(VALU_DEP_1)
	v_cvt_f32_f16_e64 v162, v7
.LBB316_334:                            ;   in Loop: Header=BB316_13 Depth=1
	s_or_b32 exec_lo, exec_lo, s22
.LBB316_335:                            ;   in Loop: Header=BB316_13 Depth=1
	s_delay_alu instid0(SALU_CYCLE_1)
	s_or_b32 exec_lo, exec_lo, s21
.LBB316_336:                            ;   in Loop: Header=BB316_13 Depth=1
	s_delay_alu instid0(SALU_CYCLE_1)
	s_or_b32 exec_lo, exec_lo, s20
	flat_load_b32 v176, v[31:32] offset:1280
	v_mov_b32_e32 v165, 0
	s_mov_b32 s20, exec_lo
	s_waitcnt vmcnt(0) lgkmcnt(0)
	v_dual_mov_b32 v164, 0 :: v_dual_and_b32 v7, 0xff, v176
	s_delay_alu instid0(VALU_DEP_1)
	v_cmpx_ne_u16_e32 0, v7
	s_cbranch_execz .LBB316_344
; %bb.337:                              ;   in Loop: Header=BB316_13 Depth=1
	v_bfrev_b32_e32 v164, 1
	s_mov_b32 s21, exec_lo
	v_cmpx_ne_u16_e32 0x80, v7
	s_cbranch_execz .LBB316_343
; %bb.338:                              ;   in Loop: Header=BB316_13 Depth=1
	v_and_b32_e32 v166, 0x7f, v176
	v_mov_b32_e32 v164, 0x7fc02000
	s_mov_b32 s22, exec_lo
	s_delay_alu instid0(VALU_DEP_2)
	v_cmpx_ne_u32_e32 0x7f, v166
	s_cbranch_execz .LBB316_342
; %bb.339:                              ;   in Loop: Header=BB316_13 Depth=1
	v_and_b32_e32 v7, 7, v176
	v_lshrrev_b32_e32 v164, 3, v166
	s_mov_b32 s23, exec_lo
	v_cmpx_gt_u32_e32 8, v166
; %bb.340:                              ;   in Loop: Header=BB316_13 Depth=1
	s_delay_alu instid0(VALU_DEP_3) | instskip(NEXT) | instid1(VALU_DEP_1)
	v_clz_i32_u32_e32 v164, v7
	v_min_u32_e32 v164, 32, v164
	s_delay_alu instid0(VALU_DEP_1) | instskip(SKIP_1) | instid1(VALU_DEP_2)
	v_subrev_nc_u32_e32 v166, 28, v164
	v_sub_nc_u32_e32 v164, 29, v164
	v_lshlrev_b64 v[166:167], v166, v[7:8]
	s_delay_alu instid0(VALU_DEP_1)
	v_and_b32_e32 v7, 7, v166
; %bb.341:                              ;   in Loop: Header=BB316_13 Depth=1
	s_or_b32 exec_lo, exec_lo, s23
	v_lshlrev_b32_e32 v166, 8, v176
	v_lshl_add_u32 v164, v164, 10, 0x2000
	s_delay_alu instid0(VALU_DEP_1) | instskip(NEXT) | instid1(VALU_DEP_1)
	v_and_or_b32 v164, 0x8000, v166, v164
	v_lshl_or_b32 v7, v7, 7, v164
	s_delay_alu instid0(VALU_DEP_1)
	v_cvt_f32_f16_e64 v164, v7
.LBB316_342:                            ;   in Loop: Header=BB316_13 Depth=1
	s_or_b32 exec_lo, exec_lo, s22
.LBB316_343:                            ;   in Loop: Header=BB316_13 Depth=1
	s_delay_alu instid0(SALU_CYCLE_1)
	s_or_b32 exec_lo, exec_lo, s21
.LBB316_344:                            ;   in Loop: Header=BB316_13 Depth=1
	s_delay_alu instid0(SALU_CYCLE_1) | instskip(SKIP_2) | instid1(VALU_DEP_1)
	s_or_b32 exec_lo, exec_lo, s20
	v_lshrrev_b16 v7, 8, v176
	s_mov_b32 s20, exec_lo
	v_cmpx_ne_u16_e32 0, v7
	s_cbranch_execz .LBB316_352
; %bb.345:                              ;   in Loop: Header=BB316_13 Depth=1
	v_bfrev_b32_e32 v165, 1
	s_mov_b32 s21, exec_lo
	v_cmpx_ne_u16_e32 0x80, v7
	s_cbranch_execz .LBB316_351
; %bb.346:                              ;   in Loop: Header=BB316_13 Depth=1
	v_and_b32_e32 v166, 0xffff, v7
	v_mov_b32_e32 v165, 0x7fc02000
	s_mov_b32 s22, exec_lo
	s_delay_alu instid0(VALU_DEP_2) | instskip(NEXT) | instid1(VALU_DEP_1)
	v_and_b32_e32 v167, 0x7f, v166
	v_cmpx_ne_u32_e32 0x7f, v167
	s_cbranch_execz .LBB316_350
; %bb.347:                              ;   in Loop: Header=BB316_13 Depth=1
	v_and_b32_e32 v7, 7, v166
	v_lshrrev_b32_e32 v165, 3, v167
	s_mov_b32 s23, exec_lo
	v_cmpx_gt_u32_e32 8, v167
; %bb.348:                              ;   in Loop: Header=BB316_13 Depth=1
	s_delay_alu instid0(VALU_DEP_3) | instskip(NEXT) | instid1(VALU_DEP_1)
	v_clz_i32_u32_e32 v165, v7
	v_min_u32_e32 v165, 32, v165
	s_delay_alu instid0(VALU_DEP_1) | instskip(SKIP_1) | instid1(VALU_DEP_2)
	v_subrev_nc_u32_e32 v167, 28, v165
	v_sub_nc_u32_e32 v165, 29, v165
	v_lshlrev_b64 v[177:178], v167, v[7:8]
	s_delay_alu instid0(VALU_DEP_1)
	v_and_b32_e32 v7, 7, v177
; %bb.349:                              ;   in Loop: Header=BB316_13 Depth=1
	s_or_b32 exec_lo, exec_lo, s23
	v_lshlrev_b32_e32 v166, 8, v166
	v_lshl_add_u32 v165, v165, 10, 0x2000
	s_delay_alu instid0(VALU_DEP_1) | instskip(NEXT) | instid1(VALU_DEP_1)
	v_and_or_b32 v165, 0x8000, v166, v165
	v_lshl_or_b32 v7, v7, 7, v165
	s_delay_alu instid0(VALU_DEP_1)
	v_cvt_f32_f16_e64 v165, v7
.LBB316_350:                            ;   in Loop: Header=BB316_13 Depth=1
	s_or_b32 exec_lo, exec_lo, s22
.LBB316_351:                            ;   in Loop: Header=BB316_13 Depth=1
	s_delay_alu instid0(SALU_CYCLE_1)
	s_or_b32 exec_lo, exec_lo, s21
.LBB316_352:                            ;   in Loop: Header=BB316_13 Depth=1
	s_delay_alu instid0(SALU_CYCLE_1) | instskip(SKIP_3) | instid1(VALU_DEP_2)
	s_or_b32 exec_lo, exec_lo, s20
	v_lshrrev_b32_e32 v177, 16, v176
	v_mov_b32_e32 v167, 0
	s_mov_b32 s20, exec_lo
	v_dual_mov_b32 v166, 0 :: v_dual_and_b32 v7, 0xff, v177
	s_delay_alu instid0(VALU_DEP_1)
	v_cmpx_ne_u16_e32 0, v7
	s_cbranch_execz .LBB316_360
; %bb.353:                              ;   in Loop: Header=BB316_13 Depth=1
	v_bfrev_b32_e32 v167, 1
	s_mov_b32 s21, exec_lo
	v_cmpx_ne_u16_e32 0x80, v7
	s_cbranch_execz .LBB316_359
; %bb.354:                              ;   in Loop: Header=BB316_13 Depth=1
	v_bfe_u32 v178, v176, 16, 7
	v_mov_b32_e32 v167, 0x7fc02000
	s_mov_b32 s22, exec_lo
	s_delay_alu instid0(VALU_DEP_2)
	v_cmpx_ne_u32_e32 0x7f, v178
	s_cbranch_execz .LBB316_358
; %bb.355:                              ;   in Loop: Header=BB316_13 Depth=1
	v_and_b32_e32 v7, 7, v177
	v_lshrrev_b32_e32 v167, 3, v178
	s_mov_b32 s23, exec_lo
	v_cmpx_gt_u32_e32 8, v178
; %bb.356:                              ;   in Loop: Header=BB316_13 Depth=1
	s_delay_alu instid0(VALU_DEP_3) | instskip(NEXT) | instid1(VALU_DEP_1)
	v_clz_i32_u32_e32 v167, v7
	v_min_u32_e32 v167, 32, v167
	s_delay_alu instid0(VALU_DEP_1) | instskip(SKIP_1) | instid1(VALU_DEP_2)
	v_subrev_nc_u32_e32 v178, 28, v167
	v_sub_nc_u32_e32 v167, 29, v167
	v_lshlrev_b64 v[178:179], v178, v[7:8]
	s_delay_alu instid0(VALU_DEP_1)
	v_and_b32_e32 v7, 7, v178
; %bb.357:                              ;   in Loop: Header=BB316_13 Depth=1
	s_or_b32 exec_lo, exec_lo, s23
	v_lshlrev_b32_e32 v177, 8, v177
	v_lshl_add_u32 v167, v167, 10, 0x2000
	s_delay_alu instid0(VALU_DEP_1) | instskip(NEXT) | instid1(VALU_DEP_1)
	v_and_or_b32 v167, 0x8000, v177, v167
	v_lshl_or_b32 v7, v7, 7, v167
	s_delay_alu instid0(VALU_DEP_1)
	v_cvt_f32_f16_e64 v167, v7
.LBB316_358:                            ;   in Loop: Header=BB316_13 Depth=1
	s_or_b32 exec_lo, exec_lo, s22
.LBB316_359:                            ;   in Loop: Header=BB316_13 Depth=1
	s_delay_alu instid0(SALU_CYCLE_1)
	s_or_b32 exec_lo, exec_lo, s21
.LBB316_360:                            ;   in Loop: Header=BB316_13 Depth=1
	s_delay_alu instid0(SALU_CYCLE_1) | instskip(NEXT) | instid1(SALU_CYCLE_1)
	s_or_b32 exec_lo, exec_lo, s20
	s_mov_b32 s20, exec_lo
	v_cmpx_lt_u32_e32 0xffffff, v176
	s_cbranch_execz .LBB316_368
; %bb.361:                              ;   in Loop: Header=BB316_13 Depth=1
	v_lshrrev_b32_e32 v176, 24, v176
	v_bfrev_b32_e32 v166, 1
	s_mov_b32 s21, exec_lo
	s_delay_alu instid0(VALU_DEP_2)
	v_cmpx_ne_u32_e32 0x80, v176
	s_cbranch_execz .LBB316_367
; %bb.362:                              ;   in Loop: Header=BB316_13 Depth=1
	v_and_b32_e32 v177, 0x7f, v176
	v_mov_b32_e32 v166, 0x7fc02000
	s_mov_b32 s22, exec_lo
	s_delay_alu instid0(VALU_DEP_2)
	v_cmpx_ne_u32_e32 0x7f, v177
	s_cbranch_execz .LBB316_366
; %bb.363:                              ;   in Loop: Header=BB316_13 Depth=1
	v_and_b32_e32 v7, 7, v176
	v_lshrrev_b32_e32 v166, 3, v177
	s_mov_b32 s23, exec_lo
	v_cmpx_gt_u32_e32 8, v177
; %bb.364:                              ;   in Loop: Header=BB316_13 Depth=1
	s_delay_alu instid0(VALU_DEP_3) | instskip(NEXT) | instid1(VALU_DEP_1)
	v_clz_i32_u32_e32 v166, v7
	v_min_u32_e32 v166, 32, v166
	s_delay_alu instid0(VALU_DEP_1) | instskip(SKIP_1) | instid1(VALU_DEP_2)
	v_subrev_nc_u32_e32 v177, 28, v166
	v_sub_nc_u32_e32 v166, 29, v166
	v_lshlrev_b64 v[177:178], v177, v[7:8]
	s_delay_alu instid0(VALU_DEP_1)
	v_and_b32_e32 v7, 7, v177
; %bb.365:                              ;   in Loop: Header=BB316_13 Depth=1
	s_or_b32 exec_lo, exec_lo, s23
	v_lshlrev_b32_e32 v176, 8, v176
	v_lshl_add_u32 v166, v166, 10, 0x2000
	s_delay_alu instid0(VALU_DEP_1) | instskip(NEXT) | instid1(VALU_DEP_1)
	v_and_or_b32 v166, 0x8000, v176, v166
	v_lshl_or_b32 v7, v7, 7, v166
	s_delay_alu instid0(VALU_DEP_1)
	v_cvt_f32_f16_e64 v166, v7
.LBB316_366:                            ;   in Loop: Header=BB316_13 Depth=1
	s_or_b32 exec_lo, exec_lo, s22
.LBB316_367:                            ;   in Loop: Header=BB316_13 Depth=1
	s_delay_alu instid0(SALU_CYCLE_1)
	s_or_b32 exec_lo, exec_lo, s21
.LBB316_368:                            ;   in Loop: Header=BB316_13 Depth=1
	s_delay_alu instid0(SALU_CYCLE_1)
	s_or_b32 exec_lo, exec_lo, s20
	flat_load_b32 v178, v[31:32] offset:1288
	v_mov_b32_e32 v177, 0
	s_mov_b32 s20, exec_lo
	s_waitcnt vmcnt(0) lgkmcnt(0)
	v_dual_mov_b32 v176, 0 :: v_dual_and_b32 v7, 0xff, v178
	s_delay_alu instid0(VALU_DEP_1)
	v_cmpx_ne_u16_e32 0, v7
	s_cbranch_execz .LBB316_376
; %bb.369:                              ;   in Loop: Header=BB316_13 Depth=1
	v_bfrev_b32_e32 v176, 1
	s_mov_b32 s21, exec_lo
	v_cmpx_ne_u16_e32 0x80, v7
	s_cbranch_execz .LBB316_375
; %bb.370:                              ;   in Loop: Header=BB316_13 Depth=1
	v_and_b32_e32 v179, 0x7f, v178
	v_mov_b32_e32 v176, 0x7fc02000
	s_mov_b32 s22, exec_lo
	s_delay_alu instid0(VALU_DEP_2)
	v_cmpx_ne_u32_e32 0x7f, v179
	s_cbranch_execz .LBB316_374
; %bb.371:                              ;   in Loop: Header=BB316_13 Depth=1
	v_and_b32_e32 v7, 7, v178
	v_lshrrev_b32_e32 v176, 3, v179
	s_mov_b32 s23, exec_lo
	v_cmpx_gt_u32_e32 8, v179
; %bb.372:                              ;   in Loop: Header=BB316_13 Depth=1
	s_delay_alu instid0(VALU_DEP_3) | instskip(NEXT) | instid1(VALU_DEP_1)
	v_clz_i32_u32_e32 v176, v7
	v_min_u32_e32 v176, 32, v176
	s_delay_alu instid0(VALU_DEP_1) | instskip(SKIP_1) | instid1(VALU_DEP_2)
	v_subrev_nc_u32_e32 v179, 28, v176
	v_sub_nc_u32_e32 v176, 29, v176
	v_lshlrev_b64 v[179:180], v179, v[7:8]
	s_delay_alu instid0(VALU_DEP_1)
	v_and_b32_e32 v7, 7, v179
; %bb.373:                              ;   in Loop: Header=BB316_13 Depth=1
	s_or_b32 exec_lo, exec_lo, s23
	v_lshlrev_b32_e32 v179, 8, v178
	v_lshl_add_u32 v176, v176, 10, 0x2000
	s_delay_alu instid0(VALU_DEP_1) | instskip(NEXT) | instid1(VALU_DEP_1)
	v_and_or_b32 v176, 0x8000, v179, v176
	v_lshl_or_b32 v7, v7, 7, v176
	s_delay_alu instid0(VALU_DEP_1)
	v_cvt_f32_f16_e64 v176, v7
.LBB316_374:                            ;   in Loop: Header=BB316_13 Depth=1
	s_or_b32 exec_lo, exec_lo, s22
.LBB316_375:                            ;   in Loop: Header=BB316_13 Depth=1
	s_delay_alu instid0(SALU_CYCLE_1)
	s_or_b32 exec_lo, exec_lo, s21
.LBB316_376:                            ;   in Loop: Header=BB316_13 Depth=1
	s_delay_alu instid0(SALU_CYCLE_1) | instskip(SKIP_2) | instid1(VALU_DEP_1)
	s_or_b32 exec_lo, exec_lo, s20
	v_lshrrev_b16 v7, 8, v178
	s_mov_b32 s20, exec_lo
	v_cmpx_ne_u16_e32 0, v7
	s_cbranch_execz .LBB316_384
; %bb.377:                              ;   in Loop: Header=BB316_13 Depth=1
	v_bfrev_b32_e32 v177, 1
	s_mov_b32 s21, exec_lo
	v_cmpx_ne_u16_e32 0x80, v7
	s_cbranch_execz .LBB316_383
; %bb.378:                              ;   in Loop: Header=BB316_13 Depth=1
	v_and_b32_e32 v179, 0xffff, v7
	v_mov_b32_e32 v177, 0x7fc02000
	s_mov_b32 s22, exec_lo
	s_delay_alu instid0(VALU_DEP_2) | instskip(NEXT) | instid1(VALU_DEP_1)
	v_and_b32_e32 v180, 0x7f, v179
	v_cmpx_ne_u32_e32 0x7f, v180
	s_cbranch_execz .LBB316_382
; %bb.379:                              ;   in Loop: Header=BB316_13 Depth=1
	v_and_b32_e32 v7, 7, v179
	v_lshrrev_b32_e32 v177, 3, v180
	s_mov_b32 s23, exec_lo
	v_cmpx_gt_u32_e32 8, v180
; %bb.380:                              ;   in Loop: Header=BB316_13 Depth=1
	s_delay_alu instid0(VALU_DEP_3) | instskip(NEXT) | instid1(VALU_DEP_1)
	v_clz_i32_u32_e32 v177, v7
	v_min_u32_e32 v177, 32, v177
	s_delay_alu instid0(VALU_DEP_1) | instskip(SKIP_1) | instid1(VALU_DEP_2)
	v_subrev_nc_u32_e32 v180, 28, v177
	v_sub_nc_u32_e32 v177, 29, v177
	v_lshlrev_b64 v[180:181], v180, v[7:8]
	s_delay_alu instid0(VALU_DEP_1)
	v_and_b32_e32 v7, 7, v180
; %bb.381:                              ;   in Loop: Header=BB316_13 Depth=1
	s_or_b32 exec_lo, exec_lo, s23
	v_lshlrev_b32_e32 v179, 8, v179
	v_lshl_add_u32 v177, v177, 10, 0x2000
	s_delay_alu instid0(VALU_DEP_1) | instskip(NEXT) | instid1(VALU_DEP_1)
	v_and_or_b32 v177, 0x8000, v179, v177
	v_lshl_or_b32 v7, v7, 7, v177
	s_delay_alu instid0(VALU_DEP_1)
	v_cvt_f32_f16_e64 v177, v7
.LBB316_382:                            ;   in Loop: Header=BB316_13 Depth=1
	s_or_b32 exec_lo, exec_lo, s22
.LBB316_383:                            ;   in Loop: Header=BB316_13 Depth=1
	s_delay_alu instid0(SALU_CYCLE_1)
	s_or_b32 exec_lo, exec_lo, s21
.LBB316_384:                            ;   in Loop: Header=BB316_13 Depth=1
	s_delay_alu instid0(SALU_CYCLE_1) | instskip(SKIP_3) | instid1(VALU_DEP_2)
	s_or_b32 exec_lo, exec_lo, s20
	v_lshrrev_b32_e32 v179, 16, v178
	v_mov_b32_e32 v181, 0
	s_mov_b32 s20, exec_lo
	v_dual_mov_b32 v182, 0 :: v_dual_and_b32 v7, 0xff, v179
	s_delay_alu instid0(VALU_DEP_1)
	v_cmpx_ne_u16_e32 0, v7
	s_cbranch_execz .LBB316_392
; %bb.385:                              ;   in Loop: Header=BB316_13 Depth=1
	v_bfrev_b32_e32 v182, 1
	s_mov_b32 s21, exec_lo
	v_cmpx_ne_u16_e32 0x80, v7
	s_cbranch_execz .LBB316_391
; %bb.386:                              ;   in Loop: Header=BB316_13 Depth=1
	v_bfe_u32 v183, v178, 16, 7
	v_mov_b32_e32 v182, 0x7fc02000
	s_mov_b32 s22, exec_lo
	s_delay_alu instid0(VALU_DEP_2)
	v_cmpx_ne_u32_e32 0x7f, v183
	s_cbranch_execz .LBB316_390
; %bb.387:                              ;   in Loop: Header=BB316_13 Depth=1
	v_and_b32_e32 v7, 7, v179
	v_lshrrev_b32_e32 v180, 3, v183
	s_mov_b32 s23, exec_lo
	v_cmpx_gt_u32_e32 8, v183
; %bb.388:                              ;   in Loop: Header=BB316_13 Depth=1
	s_delay_alu instid0(VALU_DEP_3) | instskip(NEXT) | instid1(VALU_DEP_1)
	v_clz_i32_u32_e32 v180, v7
	v_min_u32_e32 v180, 32, v180
	s_delay_alu instid0(VALU_DEP_1) | instskip(SKIP_1) | instid1(VALU_DEP_2)
	v_subrev_nc_u32_e32 v182, 28, v180
	v_sub_nc_u32_e32 v180, 29, v180
	v_lshlrev_b64 v[182:183], v182, v[7:8]
	s_delay_alu instid0(VALU_DEP_1)
	v_and_b32_e32 v7, 7, v182
; %bb.389:                              ;   in Loop: Header=BB316_13 Depth=1
	s_or_b32 exec_lo, exec_lo, s23
	v_lshlrev_b32_e32 v179, 8, v179
	v_lshl_add_u32 v180, v180, 10, 0x2000
	s_delay_alu instid0(VALU_DEP_1) | instskip(NEXT) | instid1(VALU_DEP_1)
	v_and_or_b32 v179, 0x8000, v179, v180
	v_lshl_or_b32 v7, v7, 7, v179
	s_delay_alu instid0(VALU_DEP_1)
	v_cvt_f32_f16_e64 v182, v7
.LBB316_390:                            ;   in Loop: Header=BB316_13 Depth=1
	s_or_b32 exec_lo, exec_lo, s22
.LBB316_391:                            ;   in Loop: Header=BB316_13 Depth=1
	s_delay_alu instid0(SALU_CYCLE_1)
	s_or_b32 exec_lo, exec_lo, s21
.LBB316_392:                            ;   in Loop: Header=BB316_13 Depth=1
	s_delay_alu instid0(SALU_CYCLE_1) | instskip(NEXT) | instid1(SALU_CYCLE_1)
	s_or_b32 exec_lo, exec_lo, s20
	s_mov_b32 s20, exec_lo
	v_cmpx_lt_u32_e32 0xffffff, v178
	s_cbranch_execz .LBB316_400
; %bb.393:                              ;   in Loop: Header=BB316_13 Depth=1
	v_lshrrev_b32_e32 v178, 24, v178
	v_bfrev_b32_e32 v181, 1
	s_mov_b32 s21, exec_lo
	s_delay_alu instid0(VALU_DEP_2)
	v_cmpx_ne_u32_e32 0x80, v178
	s_cbranch_execz .LBB316_399
; %bb.394:                              ;   in Loop: Header=BB316_13 Depth=1
	v_and_b32_e32 v180, 0x7f, v178
	v_mov_b32_e32 v181, 0x7fc02000
	s_mov_b32 s22, exec_lo
	s_delay_alu instid0(VALU_DEP_2)
	v_cmpx_ne_u32_e32 0x7f, v180
	s_cbranch_execz .LBB316_398
; %bb.395:                              ;   in Loop: Header=BB316_13 Depth=1
	v_and_b32_e32 v7, 7, v178
	v_lshrrev_b32_e32 v179, 3, v180
	s_mov_b32 s23, exec_lo
	v_cmpx_gt_u32_e32 8, v180
; %bb.396:                              ;   in Loop: Header=BB316_13 Depth=1
	s_delay_alu instid0(VALU_DEP_3) | instskip(NEXT) | instid1(VALU_DEP_1)
	v_clz_i32_u32_e32 v179, v7
	v_min_u32_e32 v179, 32, v179
	s_delay_alu instid0(VALU_DEP_1) | instskip(SKIP_1) | instid1(VALU_DEP_2)
	v_subrev_nc_u32_e32 v180, 28, v179
	v_sub_nc_u32_e32 v179, 29, v179
	v_lshlrev_b64 v[180:181], v180, v[7:8]
	s_delay_alu instid0(VALU_DEP_1)
	v_and_b32_e32 v7, 7, v180
; %bb.397:                              ;   in Loop: Header=BB316_13 Depth=1
	s_or_b32 exec_lo, exec_lo, s23
	v_lshlrev_b32_e32 v178, 8, v178
	v_lshl_add_u32 v179, v179, 10, 0x2000
	s_delay_alu instid0(VALU_DEP_1) | instskip(NEXT) | instid1(VALU_DEP_1)
	v_and_or_b32 v178, 0x8000, v178, v179
	v_lshl_or_b32 v7, v7, 7, v178
	s_delay_alu instid0(VALU_DEP_1)
	v_cvt_f32_f16_e64 v181, v7
.LBB316_398:                            ;   in Loop: Header=BB316_13 Depth=1
	s_or_b32 exec_lo, exec_lo, s22
.LBB316_399:                            ;   in Loop: Header=BB316_13 Depth=1
	s_delay_alu instid0(SALU_CYCLE_1)
	s_or_b32 exec_lo, exec_lo, s21
.LBB316_400:                            ;   in Loop: Header=BB316_13 Depth=1
	s_delay_alu instid0(SALU_CYCLE_1)
	s_or_b32 exec_lo, exec_lo, s20
	flat_load_b32 v180, v[31:32] offset:1536
	v_mov_b32_e32 v179, 0
	s_mov_b32 s20, exec_lo
	s_waitcnt vmcnt(0) lgkmcnt(0)
	v_dual_mov_b32 v178, 0 :: v_dual_and_b32 v7, 0xff, v180
	s_delay_alu instid0(VALU_DEP_1)
	v_cmpx_ne_u16_e32 0, v7
	s_cbranch_execz .LBB316_408
; %bb.401:                              ;   in Loop: Header=BB316_13 Depth=1
	v_bfrev_b32_e32 v178, 1
	s_mov_b32 s21, exec_lo
	v_cmpx_ne_u16_e32 0x80, v7
	s_cbranch_execz .LBB316_407
; %bb.402:                              ;   in Loop: Header=BB316_13 Depth=1
	v_and_b32_e32 v183, 0x7f, v180
	v_mov_b32_e32 v178, 0x7fc02000
	s_mov_b32 s22, exec_lo
	s_delay_alu instid0(VALU_DEP_2)
	v_cmpx_ne_u32_e32 0x7f, v183
	s_cbranch_execz .LBB316_406
; %bb.403:                              ;   in Loop: Header=BB316_13 Depth=1
	v_and_b32_e32 v7, 7, v180
	v_lshrrev_b32_e32 v178, 3, v183
	s_mov_b32 s23, exec_lo
	v_cmpx_gt_u32_e32 8, v183
; %bb.404:                              ;   in Loop: Header=BB316_13 Depth=1
	s_delay_alu instid0(VALU_DEP_3) | instskip(NEXT) | instid1(VALU_DEP_1)
	v_clz_i32_u32_e32 v178, v7
	v_min_u32_e32 v178, 32, v178
	s_delay_alu instid0(VALU_DEP_1) | instskip(SKIP_1) | instid1(VALU_DEP_2)
	v_subrev_nc_u32_e32 v183, 28, v178
	v_sub_nc_u32_e32 v178, 29, v178
	v_lshlrev_b64 v[40:41], v183, v[7:8]
	s_delay_alu instid0(VALU_DEP_1)
	v_and_b32_e32 v7, 7, v40
; %bb.405:                              ;   in Loop: Header=BB316_13 Depth=1
	s_or_b32 exec_lo, exec_lo, s23
	v_lshlrev_b32_e32 v183, 8, v180
	v_lshl_add_u32 v178, v178, 10, 0x2000
	s_delay_alu instid0(VALU_DEP_1) | instskip(NEXT) | instid1(VALU_DEP_1)
	v_and_or_b32 v178, 0x8000, v183, v178
	v_lshl_or_b32 v7, v7, 7, v178
	s_delay_alu instid0(VALU_DEP_1)
	v_cvt_f32_f16_e64 v178, v7
.LBB316_406:                            ;   in Loop: Header=BB316_13 Depth=1
	s_or_b32 exec_lo, exec_lo, s22
.LBB316_407:                            ;   in Loop: Header=BB316_13 Depth=1
	s_delay_alu instid0(SALU_CYCLE_1)
	s_or_b32 exec_lo, exec_lo, s21
.LBB316_408:                            ;   in Loop: Header=BB316_13 Depth=1
	s_delay_alu instid0(SALU_CYCLE_1) | instskip(SKIP_2) | instid1(VALU_DEP_1)
	s_or_b32 exec_lo, exec_lo, s20
	v_lshrrev_b16 v7, 8, v180
	s_mov_b32 s20, exec_lo
	v_cmpx_ne_u16_e32 0, v7
	s_cbranch_execz .LBB316_416
; %bb.409:                              ;   in Loop: Header=BB316_13 Depth=1
	v_bfrev_b32_e32 v179, 1
	s_mov_b32 s21, exec_lo
	v_cmpx_ne_u16_e32 0x80, v7
	s_cbranch_execz .LBB316_415
; %bb.410:                              ;   in Loop: Header=BB316_13 Depth=1
	v_and_b32_e32 v183, 0xffff, v7
	v_mov_b32_e32 v179, 0x7fc02000
	s_mov_b32 s22, exec_lo
	s_delay_alu instid0(VALU_DEP_2) | instskip(NEXT) | instid1(VALU_DEP_1)
	v_and_b32_e32 v40, 0x7f, v183
	v_cmpx_ne_u32_e32 0x7f, v40
	s_cbranch_execz .LBB316_414
; %bb.411:                              ;   in Loop: Header=BB316_13 Depth=1
	v_and_b32_e32 v7, 7, v183
	v_lshrrev_b32_e32 v179, 3, v40
	s_mov_b32 s23, exec_lo
	v_cmpx_gt_u32_e32 8, v40
; %bb.412:                              ;   in Loop: Header=BB316_13 Depth=1
	s_delay_alu instid0(VALU_DEP_3) | instskip(NEXT) | instid1(VALU_DEP_1)
	v_clz_i32_u32_e32 v179, v7
	v_min_u32_e32 v179, 32, v179
	s_delay_alu instid0(VALU_DEP_1) | instskip(SKIP_1) | instid1(VALU_DEP_2)
	v_subrev_nc_u32_e32 v40, 28, v179
	v_sub_nc_u32_e32 v179, 29, v179
	v_lshlrev_b64 v[40:41], v40, v[7:8]
	s_delay_alu instid0(VALU_DEP_1)
	v_and_b32_e32 v7, 7, v40
; %bb.413:                              ;   in Loop: Header=BB316_13 Depth=1
	s_or_b32 exec_lo, exec_lo, s23
	v_lshlrev_b32_e32 v183, 8, v183
	v_lshl_add_u32 v179, v179, 10, 0x2000
	s_delay_alu instid0(VALU_DEP_1) | instskip(NEXT) | instid1(VALU_DEP_1)
	v_and_or_b32 v179, 0x8000, v183, v179
	v_lshl_or_b32 v7, v7, 7, v179
	s_delay_alu instid0(VALU_DEP_1)
	v_cvt_f32_f16_e64 v179, v7
.LBB316_414:                            ;   in Loop: Header=BB316_13 Depth=1
	s_or_b32 exec_lo, exec_lo, s22
.LBB316_415:                            ;   in Loop: Header=BB316_13 Depth=1
	s_delay_alu instid0(SALU_CYCLE_1)
	s_or_b32 exec_lo, exec_lo, s21
.LBB316_416:                            ;   in Loop: Header=BB316_13 Depth=1
	s_delay_alu instid0(SALU_CYCLE_1) | instskip(SKIP_3) | instid1(VALU_DEP_2)
	s_or_b32 exec_lo, exec_lo, s20
	v_lshrrev_b32_e32 v41, 16, v180
	v_mov_b32_e32 v183, 0
	s_mov_b32 s20, exec_lo
	v_dual_mov_b32 v40, 0 :: v_dual_and_b32 v7, 0xff, v41
	s_delay_alu instid0(VALU_DEP_1)
	v_cmpx_ne_u16_e32 0, v7
	s_cbranch_execz .LBB316_424
; %bb.417:                              ;   in Loop: Header=BB316_13 Depth=1
	v_bfrev_b32_e32 v40, 1
	s_mov_b32 s21, exec_lo
	v_cmpx_ne_u16_e32 0x80, v7
	s_cbranch_execz .LBB316_423
; %bb.418:                              ;   in Loop: Header=BB316_13 Depth=1
	v_bfe_u32 v42, v180, 16, 7
	v_mov_b32_e32 v40, 0x7fc02000
	s_mov_b32 s22, exec_lo
	s_delay_alu instid0(VALU_DEP_2)
	v_cmpx_ne_u32_e32 0x7f, v42
	s_cbranch_execz .LBB316_422
; %bb.419:                              ;   in Loop: Header=BB316_13 Depth=1
	v_and_b32_e32 v7, 7, v41
	v_lshrrev_b32_e32 v40, 3, v42
	s_mov_b32 s23, exec_lo
	v_cmpx_gt_u32_e32 8, v42
; %bb.420:                              ;   in Loop: Header=BB316_13 Depth=1
	s_delay_alu instid0(VALU_DEP_3) | instskip(NEXT) | instid1(VALU_DEP_1)
	v_clz_i32_u32_e32 v40, v7
	v_min_u32_e32 v40, 32, v40
	s_delay_alu instid0(VALU_DEP_1) | instskip(SKIP_1) | instid1(VALU_DEP_2)
	v_subrev_nc_u32_e32 v42, 28, v40
	v_sub_nc_u32_e32 v40, 29, v40
	v_lshlrev_b64 v[42:43], v42, v[7:8]
	s_delay_alu instid0(VALU_DEP_1)
	v_and_b32_e32 v7, 7, v42
; %bb.421:                              ;   in Loop: Header=BB316_13 Depth=1
	s_or_b32 exec_lo, exec_lo, s23
	v_lshlrev_b32_e32 v41, 8, v41
	v_lshl_add_u32 v40, v40, 10, 0x2000
	s_delay_alu instid0(VALU_DEP_1) | instskip(NEXT) | instid1(VALU_DEP_1)
	v_and_or_b32 v40, 0x8000, v41, v40
	v_lshl_or_b32 v7, v7, 7, v40
	s_delay_alu instid0(VALU_DEP_1)
	v_cvt_f32_f16_e32 v40, v7
.LBB316_422:                            ;   in Loop: Header=BB316_13 Depth=1
	s_or_b32 exec_lo, exec_lo, s22
.LBB316_423:                            ;   in Loop: Header=BB316_13 Depth=1
	s_delay_alu instid0(SALU_CYCLE_1)
	s_or_b32 exec_lo, exec_lo, s21
.LBB316_424:                            ;   in Loop: Header=BB316_13 Depth=1
	s_delay_alu instid0(SALU_CYCLE_1) | instskip(NEXT) | instid1(SALU_CYCLE_1)
	s_or_b32 exec_lo, exec_lo, s20
	s_mov_b32 s20, exec_lo
	v_cmpx_lt_u32_e32 0xffffff, v180
	s_cbranch_execz .LBB316_432
; %bb.425:                              ;   in Loop: Header=BB316_13 Depth=1
	v_lshrrev_b32_e32 v180, 24, v180
	v_bfrev_b32_e32 v183, 1
	s_mov_b32 s21, exec_lo
	s_delay_alu instid0(VALU_DEP_2)
	v_cmpx_ne_u32_e32 0x80, v180
	s_cbranch_execz .LBB316_431
; %bb.426:                              ;   in Loop: Header=BB316_13 Depth=1
	v_and_b32_e32 v41, 0x7f, v180
	v_mov_b32_e32 v183, 0x7fc02000
	s_mov_b32 s22, exec_lo
	s_delay_alu instid0(VALU_DEP_2)
	v_cmpx_ne_u32_e32 0x7f, v41
	s_cbranch_execz .LBB316_430
; %bb.427:                              ;   in Loop: Header=BB316_13 Depth=1
	v_and_b32_e32 v7, 7, v180
	v_lshrrev_b32_e32 v183, 3, v41
	s_mov_b32 s23, exec_lo
	v_cmpx_gt_u32_e32 8, v41
; %bb.428:                              ;   in Loop: Header=BB316_13 Depth=1
	s_delay_alu instid0(VALU_DEP_3) | instskip(NEXT) | instid1(VALU_DEP_1)
	v_clz_i32_u32_e32 v183, v7
	v_min_u32_e32 v183, 32, v183
	s_delay_alu instid0(VALU_DEP_1) | instskip(SKIP_1) | instid1(VALU_DEP_2)
	v_subrev_nc_u32_e32 v41, 28, v183
	v_sub_nc_u32_e32 v183, 29, v183
	v_lshlrev_b64 v[41:42], v41, v[7:8]
	s_delay_alu instid0(VALU_DEP_1)
	v_and_b32_e32 v7, 7, v41
; %bb.429:                              ;   in Loop: Header=BB316_13 Depth=1
	s_or_b32 exec_lo, exec_lo, s23
	v_lshlrev_b32_e32 v180, 8, v180
	v_lshl_add_u32 v183, v183, 10, 0x2000
	s_delay_alu instid0(VALU_DEP_1) | instskip(NEXT) | instid1(VALU_DEP_1)
	v_and_or_b32 v180, 0x8000, v180, v183
	v_lshl_or_b32 v7, v7, 7, v180
	s_delay_alu instid0(VALU_DEP_1)
	v_cvt_f32_f16_e64 v183, v7
.LBB316_430:                            ;   in Loop: Header=BB316_13 Depth=1
	s_or_b32 exec_lo, exec_lo, s22
.LBB316_431:                            ;   in Loop: Header=BB316_13 Depth=1
	s_delay_alu instid0(SALU_CYCLE_1)
	s_or_b32 exec_lo, exec_lo, s21
.LBB316_432:                            ;   in Loop: Header=BB316_13 Depth=1
	s_delay_alu instid0(SALU_CYCLE_1)
	s_or_b32 exec_lo, exec_lo, s20
	flat_load_b32 v32, v[31:32] offset:1544
	v_mov_b32_e32 v41, 0
	v_mov_b32_e32 v31, 0
	s_mov_b32 s20, exec_lo
	s_waitcnt vmcnt(0) lgkmcnt(0)
	v_and_b32_e32 v7, 0xff, v32
	s_delay_alu instid0(VALU_DEP_1)
	v_cmpx_ne_u16_e32 0, v7
	s_cbranch_execz .LBB316_440
; %bb.433:                              ;   in Loop: Header=BB316_13 Depth=1
	v_bfrev_b32_e32 v31, 1
	s_mov_b32 s21, exec_lo
	v_cmpx_ne_u16_e32 0x80, v7
	s_cbranch_execz .LBB316_439
; %bb.434:                              ;   in Loop: Header=BB316_13 Depth=1
	v_and_b32_e32 v180, 0x7f, v32
	v_mov_b32_e32 v31, 0x7fc02000
	s_mov_b32 s22, exec_lo
	s_delay_alu instid0(VALU_DEP_2)
	v_cmpx_ne_u32_e32 0x7f, v180
	s_cbranch_execz .LBB316_438
; %bb.435:                              ;   in Loop: Header=BB316_13 Depth=1
	v_and_b32_e32 v7, 7, v32
	v_lshrrev_b32_e32 v31, 3, v180
	s_mov_b32 s23, exec_lo
	v_cmpx_gt_u32_e32 8, v180
; %bb.436:                              ;   in Loop: Header=BB316_13 Depth=1
	s_delay_alu instid0(VALU_DEP_3) | instskip(NEXT) | instid1(VALU_DEP_1)
	v_clz_i32_u32_e32 v31, v7
	v_min_u32_e32 v31, 32, v31
	s_delay_alu instid0(VALU_DEP_1) | instskip(SKIP_1) | instid1(VALU_DEP_2)
	v_subrev_nc_u32_e32 v180, 28, v31
	v_sub_nc_u32_e32 v31, 29, v31
	v_lshlrev_b64 v[42:43], v180, v[7:8]
	s_delay_alu instid0(VALU_DEP_1)
	v_and_b32_e32 v7, 7, v42
; %bb.437:                              ;   in Loop: Header=BB316_13 Depth=1
	s_or_b32 exec_lo, exec_lo, s23
	v_lshlrev_b32_e32 v180, 8, v32
	v_lshl_add_u32 v31, v31, 10, 0x2000
	s_delay_alu instid0(VALU_DEP_1) | instskip(NEXT) | instid1(VALU_DEP_1)
	v_and_or_b32 v31, 0x8000, v180, v31
	v_lshl_or_b32 v7, v7, 7, v31
	s_delay_alu instid0(VALU_DEP_1)
	v_cvt_f32_f16_e32 v31, v7
.LBB316_438:                            ;   in Loop: Header=BB316_13 Depth=1
	s_or_b32 exec_lo, exec_lo, s22
.LBB316_439:                            ;   in Loop: Header=BB316_13 Depth=1
	s_delay_alu instid0(SALU_CYCLE_1)
	s_or_b32 exec_lo, exec_lo, s21
.LBB316_440:                            ;   in Loop: Header=BB316_13 Depth=1
	s_delay_alu instid0(SALU_CYCLE_1) | instskip(SKIP_2) | instid1(VALU_DEP_1)
	s_or_b32 exec_lo, exec_lo, s20
	v_lshrrev_b16 v7, 8, v32
	s_mov_b32 s20, exec_lo
	v_cmpx_ne_u16_e32 0, v7
	s_cbranch_execz .LBB316_448
; %bb.441:                              ;   in Loop: Header=BB316_13 Depth=1
	v_bfrev_b32_e32 v41, 1
	s_mov_b32 s21, exec_lo
	v_cmpx_ne_u16_e32 0x80, v7
	s_cbranch_execz .LBB316_447
; %bb.442:                              ;   in Loop: Header=BB316_13 Depth=1
	v_and_b32_e32 v180, 0xffff, v7
	v_mov_b32_e32 v41, 0x7fc02000
	s_mov_b32 s22, exec_lo
	s_delay_alu instid0(VALU_DEP_2) | instskip(NEXT) | instid1(VALU_DEP_1)
	v_and_b32_e32 v42, 0x7f, v180
	v_cmpx_ne_u32_e32 0x7f, v42
	s_cbranch_execz .LBB316_446
; %bb.443:                              ;   in Loop: Header=BB316_13 Depth=1
	v_and_b32_e32 v7, 7, v180
	v_lshrrev_b32_e32 v41, 3, v42
	s_mov_b32 s23, exec_lo
	v_cmpx_gt_u32_e32 8, v42
; %bb.444:                              ;   in Loop: Header=BB316_13 Depth=1
	s_delay_alu instid0(VALU_DEP_3) | instskip(NEXT) | instid1(VALU_DEP_1)
	v_clz_i32_u32_e32 v41, v7
	v_min_u32_e32 v41, 32, v41
	s_delay_alu instid0(VALU_DEP_1) | instskip(SKIP_1) | instid1(VALU_DEP_2)
	v_subrev_nc_u32_e32 v42, 28, v41
	v_sub_nc_u32_e32 v41, 29, v41
	v_lshlrev_b64 v[42:43], v42, v[7:8]
	s_delay_alu instid0(VALU_DEP_1)
	v_and_b32_e32 v7, 7, v42
; %bb.445:                              ;   in Loop: Header=BB316_13 Depth=1
	s_or_b32 exec_lo, exec_lo, s23
	v_lshlrev_b32_e32 v180, 8, v180
	v_lshl_add_u32 v41, v41, 10, 0x2000
	s_delay_alu instid0(VALU_DEP_1) | instskip(NEXT) | instid1(VALU_DEP_1)
	v_and_or_b32 v180, 0x8000, v180, v41
	v_lshl_or_b32 v7, v7, 7, v180
	s_delay_alu instid0(VALU_DEP_1)
	v_cvt_f32_f16_e32 v41, v7
.LBB316_446:                            ;   in Loop: Header=BB316_13 Depth=1
	s_or_b32 exec_lo, exec_lo, s22
.LBB316_447:                            ;   in Loop: Header=BB316_13 Depth=1
	s_delay_alu instid0(SALU_CYCLE_1)
	s_or_b32 exec_lo, exec_lo, s21
.LBB316_448:                            ;   in Loop: Header=BB316_13 Depth=1
	s_delay_alu instid0(SALU_CYCLE_1) | instskip(SKIP_3) | instid1(VALU_DEP_2)
	s_or_b32 exec_lo, exec_lo, s20
	v_lshrrev_b32_e32 v180, 16, v32
	v_mov_b32_e32 v43, 0
	s_mov_b32 s20, exec_lo
	v_dual_mov_b32 v42, 0 :: v_dual_and_b32 v7, 0xff, v180
	s_delay_alu instid0(VALU_DEP_1)
	v_cmpx_ne_u16_e32 0, v7
	s_cbranch_execz .LBB316_456
; %bb.449:                              ;   in Loop: Header=BB316_13 Depth=1
	v_bfrev_b32_e32 v43, 1
	s_mov_b32 s21, exec_lo
	v_cmpx_ne_u16_e32 0x80, v7
	s_cbranch_execz .LBB316_455
; %bb.450:                              ;   in Loop: Header=BB316_13 Depth=1
	v_bfe_u32 v44, v32, 16, 7
	v_mov_b32_e32 v43, 0x7fc02000
	s_mov_b32 s22, exec_lo
	s_delay_alu instid0(VALU_DEP_2)
	v_cmpx_ne_u32_e32 0x7f, v44
	s_cbranch_execz .LBB316_454
; %bb.451:                              ;   in Loop: Header=BB316_13 Depth=1
	v_and_b32_e32 v7, 7, v180
	v_lshrrev_b32_e32 v43, 3, v44
	s_mov_b32 s23, exec_lo
	v_cmpx_gt_u32_e32 8, v44
; %bb.452:                              ;   in Loop: Header=BB316_13 Depth=1
	s_delay_alu instid0(VALU_DEP_3) | instskip(NEXT) | instid1(VALU_DEP_1)
	v_clz_i32_u32_e32 v43, v7
	v_min_u32_e32 v43, 32, v43
	s_delay_alu instid0(VALU_DEP_1) | instskip(SKIP_1) | instid1(VALU_DEP_2)
	v_subrev_nc_u32_e32 v44, 28, v43
	v_sub_nc_u32_e32 v43, 29, v43
	v_lshlrev_b64 v[44:45], v44, v[7:8]
	s_delay_alu instid0(VALU_DEP_1)
	v_and_b32_e32 v7, 7, v44
; %bb.453:                              ;   in Loop: Header=BB316_13 Depth=1
	s_or_b32 exec_lo, exec_lo, s23
	v_lshlrev_b32_e32 v180, 8, v180
	v_lshl_add_u32 v43, v43, 10, 0x2000
	s_delay_alu instid0(VALU_DEP_1) | instskip(NEXT) | instid1(VALU_DEP_1)
	v_and_or_b32 v180, 0x8000, v180, v43
	v_lshl_or_b32 v7, v7, 7, v180
	s_delay_alu instid0(VALU_DEP_1)
	v_cvt_f32_f16_e32 v43, v7
.LBB316_454:                            ;   in Loop: Header=BB316_13 Depth=1
	s_or_b32 exec_lo, exec_lo, s22
.LBB316_455:                            ;   in Loop: Header=BB316_13 Depth=1
	s_delay_alu instid0(SALU_CYCLE_1)
	s_or_b32 exec_lo, exec_lo, s21
.LBB316_456:                            ;   in Loop: Header=BB316_13 Depth=1
	s_delay_alu instid0(SALU_CYCLE_1) | instskip(NEXT) | instid1(SALU_CYCLE_1)
	s_or_b32 exec_lo, exec_lo, s20
	s_mov_b32 s20, exec_lo
	v_cmpx_lt_u32_e32 0xffffff, v32
	s_cbranch_execz .LBB316_464
; %bb.457:                              ;   in Loop: Header=BB316_13 Depth=1
	v_lshrrev_b32_e32 v32, 24, v32
	v_bfrev_b32_e32 v42, 1
	s_mov_b32 s21, exec_lo
	s_delay_alu instid0(VALU_DEP_2)
	v_cmpx_ne_u32_e32 0x80, v32
	s_cbranch_execz .LBB316_463
; %bb.458:                              ;   in Loop: Header=BB316_13 Depth=1
	v_and_b32_e32 v44, 0x7f, v32
	v_mov_b32_e32 v42, 0x7fc02000
	s_mov_b32 s22, exec_lo
	s_delay_alu instid0(VALU_DEP_2)
	v_cmpx_ne_u32_e32 0x7f, v44
	s_cbranch_execz .LBB316_462
; %bb.459:                              ;   in Loop: Header=BB316_13 Depth=1
	v_and_b32_e32 v7, 7, v32
	v_lshrrev_b32_e32 v180, 3, v44
	s_mov_b32 s23, exec_lo
	v_cmpx_gt_u32_e32 8, v44
; %bb.460:                              ;   in Loop: Header=BB316_13 Depth=1
	s_delay_alu instid0(VALU_DEP_3) | instskip(NEXT) | instid1(VALU_DEP_1)
	v_clz_i32_u32_e32 v180, v7
	v_min_u32_e32 v180, 32, v180
	s_delay_alu instid0(VALU_DEP_1) | instskip(SKIP_1) | instid1(VALU_DEP_2)
	v_subrev_nc_u32_e32 v42, 28, v180
	v_sub_nc_u32_e32 v180, 29, v180
	v_lshlrev_b64 v[44:45], v42, v[7:8]
	s_delay_alu instid0(VALU_DEP_1)
	v_and_b32_e32 v7, 7, v44
; %bb.461:                              ;   in Loop: Header=BB316_13 Depth=1
	s_or_b32 exec_lo, exec_lo, s23
	v_lshlrev_b32_e32 v32, 8, v32
	v_lshl_add_u32 v180, v180, 10, 0x2000
	s_delay_alu instid0(VALU_DEP_1) | instskip(NEXT) | instid1(VALU_DEP_1)
	v_and_or_b32 v32, 0x8000, v32, v180
	v_lshl_or_b32 v7, v7, 7, v32
	s_delay_alu instid0(VALU_DEP_1)
	v_cvt_f32_f16_e32 v42, v7
.LBB316_462:                            ;   in Loop: Header=BB316_13 Depth=1
	s_or_b32 exec_lo, exec_lo, s22
.LBB316_463:                            ;   in Loop: Header=BB316_13 Depth=1
	s_delay_alu instid0(SALU_CYCLE_1)
	s_or_b32 exec_lo, exec_lo, s21
.LBB316_464:                            ;   in Loop: Header=BB316_13 Depth=1
	s_delay_alu instid0(SALU_CYCLE_1)
	s_or_b32 exec_lo, exec_lo, s20
	v_fma_mixlo_f16 v44, v83, v87, 0
	v_fma_mixlo_f16 v45, v83, v86, 0
	ds_load_b64 v[86:87], v68
	v_fma_mixlo_f16 v32, v83, v183, 0
	v_fma_mixlo_f16 v183, v83, v177, 0
	;; [unrolled: 1-line block ×54, first 2 shown]
	s_waitcnt lgkmcnt(0)
	v_lshrrev_b32_e32 v83, 16, v86
	v_and_b32_e32 v86, 0xffff, v86
	;;#ASMSTART
	v_cvt_f32_f16 v41, v86;
	;;#ASMEND
	;;#ASMSTART
	v_cvt_f32_f16 v42, v83;
	;;#ASMEND
	v_and_b32_e32 v83, 0xffff, v131
	;;#ASMSTART
	v_cvt_f32_f16 v131, v83;
	;;#ASMEND
	v_and_b32_e32 v83, 0xffff, v130
	;;#ASMSTART
	v_cvt_f32_f16 v130, v83;
	;;#ASMEND
	v_lshrrev_b32_e32 v83, 16, v87
	v_and_b32_e32 v86, 0xffff, v87
	;;#ASMSTART
	v_cvt_f32_f16 v43, v86;
	;;#ASMEND
	;;#ASMSTART
	v_cvt_f32_f16 v46, v83;
	;;#ASMEND
	v_and_b32_e32 v83, 0xffff, v44
	;;#ASMSTART
	v_cvt_f32_f16 v44, v83;
	;;#ASMEND
	v_and_b32_e32 v83, 0xffff, v45
	;;#ASMSTART
	v_cvt_f32_f16 v45, v83;
	;;#ASMEND
	ds_load_b64 v[86:87], v68 offset:8
	v_and_b32_e32 v101, 0xffff, v101
	v_and_b32_e32 v32, 0xffff, v32
	;; [unrolled: 1-line block ×6, first 2 shown]
	s_waitcnt lgkmcnt(0)
	v_lshrrev_b32_e32 v83, 16, v86
	v_and_b32_e32 v86, 0xffff, v86
	;;#ASMSTART
	v_cvt_f32_f16 v86, v86;
	;;#ASMEND
	;;#ASMSTART
	v_cvt_f32_f16 v47, v83;
	;;#ASMEND
	v_and_b32_e32 v83, 0xffff, v96
	;;#ASMSTART
	v_cvt_f32_f16 v83, v83;
	;;#ASMEND
	s_delay_alu instid0(VALU_DEP_1) | instskip(SKIP_1) | instid1(VALU_DEP_1)
	v_dual_mul_f32 v83, v86, v83 :: v_dual_and_b32 v96, 0xffff, v97
	;;#ASMSTART
	v_cvt_f32_f16 v96, v96;
	;;#ASMEND
	v_mul_f32_e32 v86, v47, v96
	v_lshrrev_b32_e32 v96, 16, v87
	v_and_b32_e32 v87, 0xffff, v87
	v_fmac_f32_e32 v83, v41, v131
	v_and_b32_e32 v97, 0xffff, v99
	v_and_b32_e32 v98, 0xffff, v98
	;;#ASMSTART
	v_cvt_f32_f16 v87, v87;
	;;#ASMEND
	;;#ASMSTART
	v_cvt_f32_f16 v96, v96;
	;;#ASMEND
	;; [unrolled: 3-line block ×4, first 2 shown]
	v_dual_mul_f32 v87, v87, v97 :: v_dual_mul_f32 v96, v96, v98
	ds_load_b64 v[97:98], v68 offset:16
	v_dual_fmac_f32 v86, v42, v130 :: v_dual_fmac_f32 v87, v43, v44
	v_fmac_f32_e32 v96, v46, v45
	v_and_b32_e32 v100, 0xffff, v100
	s_waitcnt lgkmcnt(0)
	v_lshrrev_b32_e32 v99, 16, v97
	v_and_b32_e32 v97, 0xffff, v97
	;;#ASMSTART
	v_cvt_f32_f16 v97, v97;
	;;#ASMEND
	;;#ASMSTART
	v_cvt_f32_f16 v99, v99;
	;;#ASMEND
	;;#ASMSTART
	v_cvt_f32_f16 v100, v100;
	;;#ASMEND
	;;#ASMSTART
	v_cvt_f32_f16 v101, v101;
	;;#ASMEND
	v_dual_fmac_f32 v83, v97, v100 :: v_dual_fmac_f32 v86, v99, v101
	v_lshrrev_b32_e32 v97, 16, v98
	v_and_b32_e32 v98, 0xffff, v98
	v_and_b32_e32 v99, 0xffff, v103
	;;#ASMSTART
	v_cvt_f32_f16 v98, v98;
	;;#ASMEND
	;;#ASMSTART
	v_cvt_f32_f16 v97, v97;
	;;#ASMEND
	;; [unrolled: 3-line block ×3, first 2 shown]
	s_delay_alu instid0(VALU_DEP_1) | instskip(SKIP_1) | instid1(VALU_DEP_1)
	v_dual_fmac_f32 v87, v98, v99 :: v_dual_and_b32 v100, 0xffff, v102
	;;#ASMSTART
	v_cvt_f32_f16 v100, v100;
	;;#ASMEND
	v_fmac_f32_e32 v96, v97, v100
	ds_load_b64 v[97:98], v68 offset:24
	v_and_b32_e32 v100, 0xffff, v112
	v_and_b32_e32 v101, 0xffff, v113
	s_waitcnt lgkmcnt(0)
	v_lshrrev_b32_e32 v99, 16, v97
	v_and_b32_e32 v97, 0xffff, v97
	;;#ASMSTART
	v_cvt_f32_f16 v97, v97;
	;;#ASMEND
	;;#ASMSTART
	v_cvt_f32_f16 v99, v99;
	;;#ASMEND
	;; [unrolled: 3-line block ×3, first 2 shown]
	s_delay_alu instid0(VALU_DEP_1)
	v_fmac_f32_e32 v83, v97, v100
	v_lshrrev_b32_e32 v97, 16, v98
	v_and_b32_e32 v98, 0xffff, v98
	;;#ASMSTART
	v_cvt_f32_f16 v101, v101;
	;;#ASMEND
	v_fmac_f32_e32 v86, v99, v101
	;;#ASMSTART
	v_cvt_f32_f16 v98, v98;
	;;#ASMEND
	;;#ASMSTART
	v_cvt_f32_f16 v97, v97;
	;;#ASMEND
	v_and_b32_e32 v99, 0xffff, v115
	v_and_b32_e32 v100, 0xffff, v114
	;;#ASMSTART
	v_cvt_f32_f16 v99, v99;
	;;#ASMEND
	;;#ASMSTART
	v_cvt_f32_f16 v100, v100;
	;;#ASMEND
	s_delay_alu instid0(VALU_DEP_1)
	v_dual_fmac_f32 v87, v98, v99 :: v_dual_fmac_f32 v96, v97, v100
	ds_load_b64 v[97:98], v68 offset:32
	v_and_b32_e32 v100, 0xffff, v116
	v_and_b32_e32 v101, 0xffff, v117
	s_waitcnt lgkmcnt(0)
	v_lshrrev_b32_e32 v99, 16, v97
	v_and_b32_e32 v97, 0xffff, v97
	;;#ASMSTART
	v_cvt_f32_f16 v97, v97;
	;;#ASMEND
	;;#ASMSTART
	v_cvt_f32_f16 v99, v99;
	;;#ASMEND
	;; [unrolled: 3-line block ×3, first 2 shown]
	s_delay_alu instid0(VALU_DEP_1)
	v_fmac_f32_e32 v83, v97, v100
	v_lshrrev_b32_e32 v97, 16, v98
	v_and_b32_e32 v98, 0xffff, v98
	;;#ASMSTART
	v_cvt_f32_f16 v101, v101;
	;;#ASMEND
	v_dual_fmac_f32 v86, v99, v101 :: v_dual_and_b32 v99, 0xffff, v119
	;;#ASMSTART
	v_cvt_f32_f16 v98, v98;
	;;#ASMEND
	;;#ASMSTART
	v_cvt_f32_f16 v97, v97;
	;;#ASMEND
	v_and_b32_e32 v100, 0xffff, v118
	;;#ASMSTART
	v_cvt_f32_f16 v99, v99;
	;;#ASMEND
	;;#ASMSTART
	v_cvt_f32_f16 v100, v100;
	;;#ASMEND
	s_delay_alu instid0(VALU_DEP_1)
	v_dual_fmac_f32 v87, v98, v99 :: v_dual_fmac_f32 v96, v97, v100
	ds_load_b64 v[97:98], v68 offset:40
	v_and_b32_e32 v100, 0xffff, v135
	v_and_b32_e32 v101, 0xffff, v134
	s_waitcnt lgkmcnt(0)
	v_lshrrev_b32_e32 v99, 16, v97
	v_and_b32_e32 v97, 0xffff, v97
	;;#ASMSTART
	v_cvt_f32_f16 v97, v97;
	;;#ASMEND
	;;#ASMSTART
	v_cvt_f32_f16 v99, v99;
	;;#ASMEND
	;;#ASMSTART
	v_cvt_f32_f16 v100, v100;
	;;#ASMEND
	s_delay_alu instid0(VALU_DEP_1)
	v_fmac_f32_e32 v83, v97, v100
	v_lshrrev_b32_e32 v97, 16, v98
	v_and_b32_e32 v98, 0xffff, v98
	;;#ASMSTART
	v_cvt_f32_f16 v101, v101;
	;;#ASMEND
	v_dual_fmac_f32 v86, v99, v101 :: v_dual_and_b32 v101, 0xffff, v146
	;;#ASMSTART
	v_cvt_f32_f16 v98, v98;
	;;#ASMEND
	;;#ASMSTART
	v_cvt_f32_f16 v97, v97;
	;;#ASMEND
	v_and_b32_e32 v99, 0xffff, v129
	v_and_b32_e32 v100, 0xffff, v128
	;;#ASMSTART
	v_cvt_f32_f16 v99, v99;
	;;#ASMEND
	;;#ASMSTART
	v_cvt_f32_f16 v100, v100;
	;;#ASMEND
	s_delay_alu instid0(VALU_DEP_1)
	v_dual_fmac_f32 v87, v98, v99 :: v_dual_fmac_f32 v96, v97, v100
	ds_load_b64 v[97:98], v68 offset:48
	v_and_b32_e32 v100, 0xffff, v147
	s_waitcnt lgkmcnt(0)
	v_lshrrev_b32_e32 v99, 16, v97
	v_and_b32_e32 v97, 0xffff, v97
	;;#ASMSTART
	v_cvt_f32_f16 v97, v97;
	;;#ASMEND
	;;#ASMSTART
	v_cvt_f32_f16 v99, v99;
	;;#ASMEND
	;;#ASMSTART
	v_cvt_f32_f16 v100, v100;
	;;#ASMEND
	s_delay_alu instid0(VALU_DEP_1)
	v_fmac_f32_e32 v83, v97, v100
	v_lshrrev_b32_e32 v97, 16, v98
	v_and_b32_e32 v98, 0xffff, v98
	;;#ASMSTART
	v_cvt_f32_f16 v101, v101;
	;;#ASMEND
	v_dual_fmac_f32 v86, v99, v101 :: v_dual_and_b32 v101, 0xffff, v150
	;;#ASMSTART
	v_cvt_f32_f16 v98, v98;
	;;#ASMEND
	;;#ASMSTART
	v_cvt_f32_f16 v97, v97;
	;;#ASMEND
	v_and_b32_e32 v99, 0xffff, v133
	v_and_b32_e32 v100, 0xffff, v132
	;;#ASMSTART
	v_cvt_f32_f16 v99, v99;
	;;#ASMEND
	;;#ASMSTART
	v_cvt_f32_f16 v100, v100;
	;;#ASMEND
	s_delay_alu instid0(VALU_DEP_1)
	v_dual_fmac_f32 v87, v98, v99 :: v_dual_fmac_f32 v96, v97, v100
	ds_load_b64 v[97:98], v68 offset:56
	;; [unrolled: 38-line block ×4, first 2 shown]
	v_and_b32_e32 v100, 0xffff, v167
	s_waitcnt lgkmcnt(0)
	v_lshrrev_b32_e32 v99, 16, v97
	v_and_b32_e32 v97, 0xffff, v97
	;;#ASMSTART
	v_cvt_f32_f16 v97, v97;
	;;#ASMEND
	;;#ASMSTART
	v_cvt_f32_f16 v99, v99;
	;;#ASMEND
	;; [unrolled: 3-line block ×3, first 2 shown]
	s_delay_alu instid0(VALU_DEP_1)
	v_fmac_f32_e32 v83, v97, v100
	v_lshrrev_b32_e32 v97, 16, v98
	v_and_b32_e32 v98, 0xffff, v98
	;;#ASMSTART
	v_cvt_f32_f16 v101, v101;
	;;#ASMEND
	v_fmac_f32_e32 v86, v99, v101
	;;#ASMSTART
	v_cvt_f32_f16 v98, v98;
	;;#ASMEND
	;;#ASMSTART
	v_cvt_f32_f16 v97, v97;
	;;#ASMEND
	v_and_b32_e32 v99, 0xffff, v161
	v_and_b32_e32 v100, 0xffff, v160
	;;#ASMSTART
	v_cvt_f32_f16 v99, v99;
	;;#ASMEND
	;;#ASMSTART
	v_cvt_f32_f16 v100, v100;
	;;#ASMEND
	s_delay_alu instid0(VALU_DEP_1)
	v_dual_fmac_f32 v87, v98, v99 :: v_dual_fmac_f32 v96, v97, v100
	ds_load_b64 v[97:98], v68 offset:80
	v_and_b32_e32 v100, 0xffff, v182
	v_and_b32_e32 v101, 0xffff, v181
	s_waitcnt lgkmcnt(0)
	v_lshrrev_b32_e32 v99, 16, v97
	v_and_b32_e32 v97, 0xffff, v97
	;;#ASMSTART
	v_cvt_f32_f16 v97, v97;
	;;#ASMEND
	;;#ASMSTART
	v_cvt_f32_f16 v99, v99;
	;;#ASMEND
	;; [unrolled: 3-line block ×3, first 2 shown]
	s_delay_alu instid0(VALU_DEP_1)
	v_fmac_f32_e32 v83, v97, v100
	v_lshrrev_b32_e32 v97, 16, v98
	v_and_b32_e32 v98, 0xffff, v98
	;;#ASMSTART
	v_cvt_f32_f16 v101, v101;
	;;#ASMEND
	v_dual_fmac_f32 v86, v99, v101 :: v_dual_and_b32 v101, 0xffff, v183
	;;#ASMSTART
	v_cvt_f32_f16 v98, v98;
	;;#ASMEND
	;;#ASMSTART
	v_cvt_f32_f16 v97, v97;
	;;#ASMEND
	v_and_b32_e32 v99, 0xffff, v165
	v_and_b32_e32 v100, 0xffff, v164
	;;#ASMSTART
	v_cvt_f32_f16 v99, v99;
	;;#ASMEND
	;;#ASMSTART
	v_cvt_f32_f16 v100, v100;
	;;#ASMEND
	s_delay_alu instid0(VALU_DEP_1)
	v_dual_fmac_f32 v87, v98, v99 :: v_dual_fmac_f32 v96, v97, v100
	ds_load_b64 v[97:98], v68 offset:88
	v_and_b32_e32 v100, 0xffff, v40
	s_waitcnt lgkmcnt(0)
	v_lshrrev_b32_e32 v99, 16, v97
	v_and_b32_e32 v97, 0xffff, v97
	;;#ASMSTART
	v_cvt_f32_f16 v97, v97;
	;;#ASMEND
	;;#ASMSTART
	v_cvt_f32_f16 v99, v99;
	;;#ASMEND
	;; [unrolled: 3-line block ×3, first 2 shown]
	s_delay_alu instid0(VALU_DEP_1)
	v_fmac_f32_e32 v83, v97, v100
	v_lshrrev_b32_e32 v97, 16, v98
	v_and_b32_e32 v98, 0xffff, v98
	;;#ASMSTART
	v_cvt_f32_f16 v101, v101;
	;;#ASMEND
	v_dual_fmac_f32 v86, v99, v101 :: v_dual_and_b32 v101, 0xffff, v179
	;;#ASMSTART
	v_cvt_f32_f16 v98, v98;
	;;#ASMEND
	;;#ASMSTART
	v_cvt_f32_f16 v97, v97;
	;;#ASMEND
	v_and_b32_e32 v99, 0xffff, v177
	v_and_b32_e32 v100, 0xffff, v176
	;;#ASMSTART
	v_cvt_f32_f16 v99, v99;
	;;#ASMEND
	;;#ASMSTART
	v_cvt_f32_f16 v100, v100;
	;;#ASMEND
	s_delay_alu instid0(VALU_DEP_1)
	v_dual_fmac_f32 v87, v98, v99 :: v_dual_fmac_f32 v96, v97, v100
	ds_load_b64 v[97:98], v68 offset:96
	v_and_b32_e32 v100, 0xffff, v180
	s_waitcnt lgkmcnt(0)
	v_lshrrev_b32_e32 v99, 16, v97
	v_and_b32_e32 v97, 0xffff, v97
	;;#ASMSTART
	v_cvt_f32_f16 v97, v97;
	;;#ASMEND
	;;#ASMSTART
	v_cvt_f32_f16 v99, v99;
	;;#ASMEND
	;; [unrolled: 3-line block ×3, first 2 shown]
	s_delay_alu instid0(VALU_DEP_1)
	v_fmac_f32_e32 v83, v97, v100
	v_lshrrev_b32_e32 v97, 16, v98
	v_and_b32_e32 v98, 0xffff, v98
	;;#ASMSTART
	v_cvt_f32_f16 v101, v101;
	;;#ASMEND
	v_dual_fmac_f32 v86, v99, v101 :: v_dual_and_b32 v99, 0xffff, v178
	;;#ASMSTART
	v_cvt_f32_f16 v98, v98;
	;;#ASMEND
	;;#ASMSTART
	v_cvt_f32_f16 v97, v97;
	;;#ASMEND
	;; [unrolled: 3-line block ×4, first 2 shown]
	v_dual_fmac_f32 v87, v98, v99 :: v_dual_fmac_f32 v96, v97, v32
	ds_load_b64 v[97:98], v68 offset:104
	s_waitcnt lgkmcnt(0)
	v_lshrrev_b32_e32 v32, 16, v97
	v_and_b32_e32 v97, 0xffff, v97
	;;#ASMSTART
	v_cvt_f32_f16 v97, v97;
	;;#ASMEND
	;;#ASMSTART
	v_cvt_f32_f16 v32, v32;
	;;#ASMEND
	;; [unrolled: 3-line block ×4, first 2 shown]
	v_fmac_f32_e32 v86, v32, v84
	v_lshrrev_b32_e32 v32, 16, v98
	v_and_b32_e32 v84, 0xffff, v98
	;;#ASMSTART
	v_cvt_f32_f16 v84, v84;
	;;#ASMEND
	;;#ASMSTART
	v_cvt_f32_f16 v32, v32;
	;;#ASMEND
	;; [unrolled: 3-line block ×3, first 2 shown]
	v_fmac_f32_e32 v83, v97, v85
	v_fmac_f32_e32 v87, v84, v31
	v_xor_b32_e32 v31, 1, v64
	;;#ASMSTART
	v_cvt_f32_f16 v7, v7;
	;;#ASMEND
	s_delay_alu instid0(VALU_DEP_3) | instskip(NEXT) | instid1(VALU_DEP_2)
	v_dual_fmac_f32 v96, v32, v7 :: v_dual_add_f32 v7, v83, v86
	v_cmp_gt_i32_e64 s2, 32, v31
	s_delay_alu instid0(VALU_DEP_2) | instskip(NEXT) | instid1(VALU_DEP_2)
	v_add_f32_e32 v7, v7, v87
	v_cndmask_b32_e64 v31, v64, v31, s2
	s_delay_alu instid0(VALU_DEP_2) | instskip(NEXT) | instid1(VALU_DEP_2)
	v_add_f32_e32 v7, v96, v7
	v_lshlrev_b32_e32 v31, 2, v31
	ds_bpermute_b32 v31, v31, v7
	s_and_saveexec_b32 s20, vcc_lo
	s_cbranch_execz .LBB316_11
; %bb.465:                              ;   in Loop: Header=BB316_13 Depth=1
	s_waitcnt lgkmcnt(0)
	v_dual_add_f32 v7, v7, v31 :: v_dual_add_nc_u32 v32, v80, v69
	s_load_b32 s21, s[8:9], 0x0
	s_delay_alu instid0(VALU_DEP_1) | instskip(NEXT) | instid1(VALU_DEP_1)
	v_cvt_f32_i32_e32 v32, v32
	v_mul_f32_e32 v32, v55, v32
	s_delay_alu instid0(VALU_DEP_1) | instskip(SKIP_1) | instid1(VALU_DEP_2)
	v_cndmask_b32_e64 v31, 0, v32, s1
	v_max_f32_e32 v32, v65, v65
	v_fmac_f32_e32 v31, v7, v13
	s_delay_alu instid0(VALU_DEP_1) | instskip(NEXT) | instid1(VALU_DEP_1)
	v_dual_max_f32 v32, v32, v31 :: v_dual_add_nc_u32 v7, v67, v69
	v_cmp_lt_i32_e64 s2, v7, v35
	s_waitcnt lgkmcnt(0)
	v_add_nc_u32_e32 v7, s21, v71
	s_delay_alu instid0(VALU_DEP_2)
	v_cndmask_b32_e64 v31, 0, v31, s2
	v_cndmask_b32_e64 v65, v65, v32, s2
	ds_store_b32 v7, v31
	s_branch .LBB316_11
.LBB316_466:
	s_or_b32 exec_lo, exec_lo, s19
.LBB316_467:
	s_delay_alu instid0(SALU_CYCLE_1)
	s_or_b32 exec_lo, exec_lo, s18
	v_xor_b32_e32 v7, 16, v64
	v_xor_b32_e32 v8, 8, v64
	s_waitcnt lgkmcnt(0)
	s_lshr_b32 s8, s17, 16
	v_and_b32_e32 v20, 31, v34
	v_lshlrev_b32_e32 v28, 2, v48
	v_cmp_gt_i32_e32 vcc_lo, 32, v7
	v_cndmask_b32_e32 v7, v64, v7, vcc_lo
	v_cmp_gt_i32_e32 vcc_lo, 32, v8
	v_dual_max_f32 v9, v65, v65 :: v_dual_cndmask_b32 v8, v64, v8
	s_delay_alu instid0(VALU_DEP_1) | instskip(NEXT) | instid1(VALU_DEP_4)
	v_lshlrev_b32_e32 v24, 2, v8
	v_lshlrev_b32_e32 v13, 2, v7
	ds_bpermute_b32 v7, v13, v65
	s_waitcnt lgkmcnt(0)
	v_max_f32_e32 v7, v7, v7
	s_delay_alu instid0(VALU_DEP_1) | instskip(SKIP_4) | instid1(VALU_DEP_1)
	v_max_f32_e32 v7, v9, v7
	v_xor_b32_e32 v9, 4, v64
	ds_bpermute_b32 v8, v24, v7
	v_cmp_gt_i32_e32 vcc_lo, 32, v9
	v_cndmask_b32_e32 v9, v64, v9, vcc_lo
	v_lshlrev_b32_e32 v25, 2, v9
	v_xor_b32_e32 v9, 2, v64
	s_delay_alu instid0(VALU_DEP_1) | instskip(SKIP_4) | instid1(VALU_DEP_3)
	v_cmp_gt_i32_e32 vcc_lo, 32, v9
	s_waitcnt lgkmcnt(0)
	v_max_f32_e32 v8, v8, v8
	v_cndmask_b32_e32 v9, v64, v9, vcc_lo
	v_cmp_eq_u32_e32 vcc_lo, 0, v20
	v_max_f32_e32 v7, v7, v8
	s_delay_alu instid0(VALU_DEP_3) | instskip(SKIP_3) | instid1(VALU_DEP_1)
	v_lshlrev_b32_e32 v9, 2, v9
	ds_bpermute_b32 v8, v25, v7
	s_waitcnt lgkmcnt(0)
	v_max_f32_e32 v8, v8, v8
	v_max_f32_e32 v7, v7, v8
	ds_bpermute_b32 v8, v9, v7
	s_and_saveexec_b32 s1, vcc_lo
	s_cbranch_execz .LBB316_469
; %bb.468:
	s_waitcnt lgkmcnt(0)
	v_dual_max_f32 v8, v8, v8 :: v_dual_max_f32 v7, v7, v7
	s_delay_alu instid0(VALU_DEP_1)
	v_max_f32_e32 v7, v7, v8
	ds_store_b32 v28, v7 offset:224
.LBB316_469:
	s_or_b32 exec_lo, exec_lo, s1
	v_cmp_gt_u32_e64 s1, 4, v20
	v_mov_b32_e32 v7, 0xff7fffff
	v_lshlrev_b32_e32 v29, 2, v20
	s_waitcnt lgkmcnt(0)
	s_barrier
	buffer_gl0_inv
	s_and_saveexec_b32 s2, s1
	s_cbranch_execz .LBB316_471
; %bb.470:
	ds_load_b32 v7, v29 offset:224
.LBB316_471:
	s_or_b32 exec_lo, exec_lo, s2
	s_waitcnt lgkmcnt(0)
	ds_bpermute_b32 v8, v9, v7
	v_xor_b32_e32 v21, 1, v64
	v_max_f32_e32 v7, v7, v7
	v_subrev_nc_u32_e32 v32, s13, v49
	v_mov_b32_e32 v31, 0
	s_delay_alu instid0(VALU_DEP_4) | instskip(NEXT) | instid1(VALU_DEP_1)
	v_cmp_gt_i32_e64 s2, 32, v21
	v_cndmask_b32_e64 v21, v64, v21, s2
	s_waitcnt lgkmcnt(0)
	s_delay_alu instid0(VALU_DEP_1) | instskip(NEXT) | instid1(VALU_DEP_1)
	v_dual_max_f32 v8, v8, v8 :: v_dual_lshlrev_b32 v21, 2, v21
	v_max_f32_e32 v7, v7, v8
	ds_bpermute_b32 v8, v21, v7
	s_waitcnt lgkmcnt(0)
	v_max_f32_e32 v8, v8, v8
	s_delay_alu instid0(VALU_DEP_1) | instskip(SKIP_3) | instid1(VALU_DEP_1)
	v_max_f32_e32 v7, v7, v8
	v_lshl_add_u32 v8, v32, 4, s16
	ds_bpermute_b32 v7, v31, v7
	v_min_i32_e32 v8, v8, v35
	v_subrev_nc_u32_e32 v8, s16, v8
	s_delay_alu instid0(VALU_DEP_1) | instskip(NEXT) | instid1(VALU_DEP_1)
	v_cmp_lt_i32_e64 s2, v34, v8
	s_and_saveexec_b32 s9, s2
	s_cbranch_execz .LBB316_475
; %bb.472:
	s_getpc_b64 s[16:17]
	s_add_u32 s16, s16, llvm.amdgcn.dynlds.offset.table@rel32@lo+4
	s_addc_u32 s17, s17, llvm.amdgcn.dynlds.offset.table@rel32@hi+12
	s_ashr_i32 s7, s6, 31
	v_mov_b32_e32 v31, 0
	s_lshl_b64 s[18:19], s[6:7], 2
	v_mov_b32_e32 v55, v34
	s_add_u32 s16, s18, s16
	s_addc_u32 s17, s19, s17
	s_mov_b32 s7, 0
	s_load_b32 s3, s[16:17], 0x0
	s_waitcnt lgkmcnt(0)
	v_lshl_add_u32 v32, v34, 2, s3
	.p2align	6
.LBB316_473:                            ; =>This Inner Loop Header: Depth=1
	ds_load_b32 v64, v32
	v_add_nc_u32_e32 v55, 0x80, v55
	s_delay_alu instid0(VALU_DEP_1) | instskip(NEXT) | instid1(VALU_DEP_1)
	v_cmp_ge_i32_e64 s3, v55, v8
	s_or_b32 s7, s3, s7
	s_waitcnt lgkmcnt(0)
	v_sub_f32_e32 v64, v64, v7
	s_delay_alu instid0(VALU_DEP_1) | instskip(NEXT) | instid1(VALU_DEP_1)
	v_mul_f32_e32 v64, 0x3fb8aa3b, v64
	v_exp_f32_e32 v64, v64
	ds_store_b32 v32, v64
	v_add_f32_e32 v31, v31, v64
	v_add_nc_u32_e32 v32, 0x200, v32
	s_and_not1_b32 exec_lo, exec_lo, s7
	s_cbranch_execnz .LBB316_473
; %bb.474:
	s_or_b32 exec_lo, exec_lo, s7
.LBB316_475:
	s_delay_alu instid0(SALU_CYCLE_1)
	s_or_b32 exec_lo, exec_lo, s9
	ds_bpermute_b32 v13, v13, v31
	s_waitcnt lgkmcnt(0)
	v_add_f32_e32 v13, v31, v13
	ds_bpermute_b32 v24, v24, v13
	s_waitcnt lgkmcnt(0)
	v_add_f32_e32 v13, v13, v24
	ds_bpermute_b32 v24, v25, v13
	s_waitcnt lgkmcnt(0)
	v_add_f32_e32 v13, v13, v24
	ds_bpermute_b32 v24, v9, v13
	s_waitcnt lgkmcnt(0)
	v_add_f32_e32 v13, v13, v24
	ds_bpermute_b32 v24, v21, v13
	s_waitcnt lgkmcnt(0)
	v_add_f32_e32 v13, v13, v24
	s_and_saveexec_b32 s3, vcc_lo
	s_cbranch_execz .LBB316_477
; %bb.476:
	ds_store_b32 v28, v13 offset:240
.LBB316_477:
	s_or_b32 exec_lo, exec_lo, s3
	s_waitcnt lgkmcnt(0)
	s_barrier
	buffer_gl0_inv
	s_and_saveexec_b32 s3, s1
	s_cbranch_execz .LBB316_479
; %bb.478:
	ds_load_b32 v13, v29 offset:240
.LBB316_479:
	s_or_b32 exec_lo, exec_lo, s3
	s_waitcnt lgkmcnt(0)
	ds_bpermute_b32 v9, v9, v13
	s_waitcnt lgkmcnt(0)
	v_add_f32_e32 v9, v13, v9
	ds_bpermute_b32 v13, v21, v9
	s_waitcnt lgkmcnt(0)
	v_add_f32_e32 v9, v9, v13
	v_mov_b32_e32 v13, 0
	ds_bpermute_b32 v9, v13, v9
	s_and_saveexec_b32 s1, s2
	s_cbranch_execz .LBB316_482
; %bb.480:
	s_waitcnt lgkmcnt(0)
	v_add_f32_e32 v24, 0x358637bd, v9
	s_getpc_b64 s[2:3]
	s_add_u32 s2, s2, llvm.amdgcn.dynlds.offset.table@rel32@lo+4
	s_addc_u32 s3, s3, llvm.amdgcn.dynlds.offset.table@rel32@hi+12
	s_ashr_i32 s7, s6, 31
	s_delay_alu instid0(SALU_CYCLE_1) | instskip(SKIP_3) | instid1(VALU_DEP_2)
	s_lshl_b64 s[16:17], s[6:7], 2
	v_div_scale_f32 v13, null, v24, v24, 1.0
	v_div_scale_f32 v29, vcc_lo, 1.0, v24, 1.0
	s_add_u32 s2, s16, s2
	v_rcp_f32_e32 v25, v13
	s_addc_u32 s3, s17, s3
	s_load_b32 s2, s[2:3], 0x0
	s_waitcnt_depctr 0xfff
	v_fma_f32 v28, -v13, v25, 1.0
	s_delay_alu instid0(VALU_DEP_1) | instskip(NEXT) | instid1(VALU_DEP_1)
	v_fmac_f32_e32 v25, v28, v25
	v_mul_f32_e32 v28, v29, v25
	s_delay_alu instid0(VALU_DEP_1) | instskip(NEXT) | instid1(VALU_DEP_1)
	v_fma_f32 v31, -v13, v28, v29
	v_fmac_f32_e32 v28, v31, v25
	s_delay_alu instid0(VALU_DEP_1) | instskip(NEXT) | instid1(VALU_DEP_1)
	v_fma_f32 v13, -v13, v28, v29
	v_div_fmas_f32 v25, v13, v25, v28
	s_waitcnt lgkmcnt(0)
	v_lshl_add_u32 v13, v34, 2, s2
	s_mov_b32 s2, 0
	s_delay_alu instid0(VALU_DEP_2)
	v_div_fixup_f32 v24, v25, v24, 1.0
	v_mov_b32_e32 v25, v34
.LBB316_481:                            ; =>This Inner Loop Header: Depth=1
	ds_load_b32 v28, v13
	s_waitcnt lgkmcnt(0)
	v_dual_mul_f32 v28, v24, v28 :: v_dual_add_nc_u32 v25, 0x80, v25
	s_delay_alu instid0(VALU_DEP_1) | instskip(SKIP_3) | instid1(SALU_CYCLE_1)
	v_cmp_ge_i32_e32 vcc_lo, v25, v8
	ds_store_b32 v13, v28
	v_add_nc_u32_e32 v13, 0x200, v13
	s_or_b32 s2, vcc_lo, s2
	s_and_not1_b32 exec_lo, exec_lo, s2
	s_cbranch_execnz .LBB316_481
.LBB316_482:
	s_or_b32 exec_lo, exec_lo, s1
	v_cmp_ne_u16_e64 s1, s8, 0
	s_waitcnt lgkmcnt(0)
	s_barrier
	buffer_gl0_inv
	s_cmp_lg_u32 s1, 0
	s_addc_u32 s1, s5, 0
	s_mov_b32 s5, exec_lo
	s_mul_i32 s2, s1, s10
	s_delay_alu instid0(SALU_CYCLE_1)
	s_mul_i32 s2, s2, s15
	v_cmpx_eq_u32_e32 0, v34
	s_cbranch_execz .LBB316_484
; %bb.483:
	s_mul_i32 s8, s1, s12
	s_ashr_i32 s15, s14, 31
	s_ashr_i32 s9, s8, 31
	;; [unrolled: 1-line block ×3, first 2 shown]
	s_lshl_b64 s[8:9], s[8:9], 2
	s_lshl_b64 s[12:13], s[14:15], 2
	;; [unrolled: 1-line block ×3, first 2 shown]
	s_add_u32 s3, s12, s8
	s_addc_u32 s7, s13, s9
	s_add_u32 s3, s3, s16
	s_addc_u32 s7, s7, s17
	v_add_co_u32 v2, vcc_lo, s3, v2
	v_add_co_ci_u32_e32 v3, vcc_lo, s7, v3, vcc_lo
	v_add_co_u32 v0, vcc_lo, s3, v0
	v_add_co_ci_u32_e32 v1, vcc_lo, s7, v1, vcc_lo
	flat_store_b32 v[2:3], v7
	flat_store_b32 v[0:1], v9
.LBB316_484:
	s_or_b32 exec_lo, exec_lo, s5
	s_getpc_b64 s[8:9]
	s_add_u32 s8, s8, llvm.amdgcn.dynlds.offset.table@rel32@lo+4
	s_addc_u32 s9, s9, llvm.amdgcn.dynlds.offset.table@rel32@hi+12
	s_ashr_i32 s7, s6, 31
	v_dual_mov_b32 v55, 0 :: v_dual_mov_b32 v24, 0
	s_lshl_b64 s[6:7], s[6:7], 2
	v_dual_mov_b32 v28, 0 :: v_dual_mov_b32 v25, 0
	s_add_u32 s6, s6, s8
	s_addc_u32 s7, s7, s9
	v_dual_mov_b32 v31, 0 :: v_dual_mov_b32 v32, 0
	s_load_b32 s10, s[6:7], 0x0
	v_mov_b32_e32 v29, 0
	s_mov_b32 s5, 0
	s_waitcnt lgkmcnt(0)
	v_mov_b32_e32 v0, s10
	s_and_saveexec_b32 s3, s0
	s_cbranch_execz .LBB316_952
; %bb.485:
	v_max_i32_e32 v30, v30, v53
	v_add_co_u32 v2, vcc_lo, v10, v12
	v_add_co_ci_u32_e32 v3, vcc_lo, v11, v54, vcc_lo
	s_delay_alu instid0(VALU_DEP_3) | instskip(SKIP_3) | instid1(VALU_DEP_4)
	v_cvt_f32_u32_e32 v0, v30
	v_sub_nc_u32_e32 v11, 0, v30
	v_dual_mov_b32 v32, 0 :: v_dual_and_b32 v9, 0xf8, v51
	v_lshlrev_b64 v[7:8], 2, v[16:17]
	v_rcp_iflag_f32_e32 v0, v0
	v_and_b32_e32 v53, 8, v51
	v_dual_mov_b32 v51, v35 :: v_dual_lshlrev_b32 v10, 5, v36
	v_add_co_u32 v2, vcc_lo, v2, v9
	v_add_co_ci_u32_e32 v3, vcc_lo, 0, v3, vcc_lo
	s_delay_alu instid0(VALU_DEP_3) | instskip(SKIP_1) | instid1(TRANS32_DEP_1)
	v_lshl_or_b32 v9, v48, 6, v10
	v_add_co_u32 v7, vcc_lo, v18, v7
	v_mul_f32_e32 v0, 0x4f7ffffe, v0
	v_add_co_ci_u32_e32 v8, vcc_lo, v19, v8, vcc_lo
	s_delay_alu instid0(VALU_DEP_3) | instskip(NEXT) | instid1(VALU_DEP_3)
	v_add_co_u32 v7, vcc_lo, v14, v7
	v_cvt_u32_f32_e32 v0, v0
	v_dual_mov_b32 v1, 0 :: v_dual_add_nc_u32 v52, -1, v52
	v_dual_mov_b32 v31, 0 :: v_dual_mov_b32 v28, 0
	s_delay_alu instid0(VALU_DEP_3)
	v_mul_lo_u32 v11, v11, v0
	v_dual_mov_b32 v29, 0 :: v_dual_mov_b32 v24, 0
	v_mov_b32_e32 v25, 0
	v_add_nc_u32_e32 v17, s10, v9
	v_add_co_ci_u32_e32 v8, vcc_lo, v15, v8, vcc_lo
	v_mov_b32_e32 v55, 0
	v_mul_hi_u32 v10, v0, v11
	s_mov_b32 s8, -1
	s_mov_b32 s9, 0xffffff
	s_delay_alu instid0(VALU_DEP_1)
	v_add_nc_u32_e32 v15, v0, v10
	s_branch .LBB316_488
.LBB316_486:                            ;   in Loop: Header=BB316_488 Depth=1
	s_or_b32 exec_lo, exec_lo, s0
	v_dual_add_f32 v11, v13, v14 :: v_dual_add_f32 v14, v87, v96
	v_add_f32_e32 v13, v97, v98
	;;#ASMSTART
	v_pk_mul_f16 v12, v82, v12;

	;;#ASMEND
	;;#ASMSTART
	v_pk_mul_f16 v10, v81, v10;

	;;#ASMEND
	s_delay_alu instid0(VALU_DEP_2)
	v_add_f32_e32 v24, v24, v11
	;;#ASMSTART
	v_pk_mul_f16 v0, v80, v0;

	;;#ASMEND
	;;#ASMSTART
	v_pk_mul_f16 v9, v71, v9;

	;;#ASMEND
	;;#ASMSTART
	v_pk_add_f16 v10, v12, v10;

	;;#ASMEND
	;;#ASMSTART
	v_pk_add_f16 v0, v10, v0;
	;; [unrolled: 4-line block ×3, first 2 shown]

	;;#ASMEND
	v_dual_add_f32 v28, v28, v13 :: v_dual_and_b32 v9, 0xffff, v0
	v_lshrrev_b32_e32 v0, 16, v0
	;;#ASMSTART
	v_cvt_f32_f16 v9, v9;
	;;#ASMEND
	;;#ASMSTART
	v_cvt_f32_f16 v0, v0;
	;;#ASMEND
	v_dual_add_f32 v10, v85, v86 :: v_dual_add_f32 v11, v83, v84
	v_add_f32_e32 v12, v69, v70
	v_add_f32_e32 v0, v9, v0
	s_delay_alu instid0(VALU_DEP_3) | instskip(NEXT) | instid1(VALU_DEP_4)
	v_add_f32_e32 v29, v29, v10
	v_add_f32_e32 v31, v31, v11
	s_delay_alu instid0(VALU_DEP_4) | instskip(NEXT) | instid1(VALU_DEP_4)
	v_dual_add_f32 v25, v25, v14 :: v_dual_add_f32 v32, v32, v12
	v_add_f32_e32 v55, v55, v0
.LBB316_487:                            ;   in Loop: Header=BB316_488 Depth=1
	s_or_b32 exec_lo, exec_lo, s10
	v_add_nc_u32_e32 v16, 4, v16
	v_add_co_u32 v7, s0, v7, 16
	s_delay_alu instid0(VALU_DEP_1) | instskip(NEXT) | instid1(VALU_DEP_3)
	v_add_co_ci_u32_e64 v8, s0, 0, v8, s0
	v_cmp_ge_i32_e32 vcc_lo, v16, v49
	v_add_nc_u32_e32 v23, 64, v23
	v_add_nc_u32_e32 v17, 0x100, v17
	s_or_b32 s5, vcc_lo, s5
	s_delay_alu instid0(SALU_CYCLE_1)
	s_and_not1_b32 exec_lo, exec_lo, s5
	s_cbranch_execz .LBB316_951
.LBB316_488:                            ; =>This Inner Loop Header: Depth=1
	v_sub_nc_u32_e32 v0, 0, v23
	s_delay_alu instid0(VALU_DEP_1) | instskip(NEXT) | instid1(VALU_DEP_1)
	v_max_i32_e32 v0, v23, v0
	v_mul_hi_u32 v9, v0, v38
	s_delay_alu instid0(VALU_DEP_1) | instskip(NEXT) | instid1(VALU_DEP_1)
	v_mul_lo_u32 v10, v9, v37
	v_sub_nc_u32_e32 v0, v0, v10
	v_add_nc_u32_e32 v10, 1, v9
	s_delay_alu instid0(VALU_DEP_2) | instskip(SKIP_1) | instid1(VALU_DEP_2)
	v_sub_nc_u32_e32 v11, v0, v37
	v_cmp_ge_u32_e32 vcc_lo, v0, v37
	v_dual_cndmask_b32 v9, v9, v10 :: v_dual_cndmask_b32 v0, v0, v11
	v_ashrrev_i32_e32 v10, 31, v23
	s_delay_alu instid0(VALU_DEP_2) | instskip(NEXT) | instid1(VALU_DEP_3)
	v_add_nc_u32_e32 v11, 1, v9
	v_cmp_ge_u32_e32 vcc_lo, v0, v37
	s_delay_alu instid0(VALU_DEP_3) | instskip(NEXT) | instid1(VALU_DEP_3)
	v_xor_b32_e32 v10, v10, v39
	v_cndmask_b32_e32 v0, v9, v11, vcc_lo
	s_delay_alu instid0(VALU_DEP_1) | instskip(NEXT) | instid1(VALU_DEP_1)
	v_xor_b32_e32 v0, v0, v10
	v_sub_nc_u32_e32 v0, v0, v10
	s_delay_alu instid0(VALU_DEP_1) | instskip(SKIP_1) | instid1(VALU_DEP_2)
	v_add_nc_u32_e32 v9, v0, v6
	v_cmp_gt_i32_e64 s0, v0, v50
	v_sub_nc_u32_e32 v10, 0, v9
	s_delay_alu instid0(VALU_DEP_1) | instskip(NEXT) | instid1(VALU_DEP_1)
	v_max_i32_e32 v10, v9, v10
	v_mul_hi_u32 v11, v10, v15
	s_delay_alu instid0(VALU_DEP_1) | instskip(NEXT) | instid1(VALU_DEP_1)
	v_mul_lo_u32 v11, v11, v30
	v_sub_nc_u32_e32 v10, v10, v11
	s_delay_alu instid0(VALU_DEP_1) | instskip(SKIP_1) | instid1(VALU_DEP_2)
	v_sub_nc_u32_e32 v11, v10, v30
	v_cmp_ge_u32_e32 vcc_lo, v10, v30
	v_cndmask_b32_e32 v10, v10, v11, vcc_lo
	v_ashrrev_i32_e32 v9, 31, v9
	s_delay_alu instid0(VALU_DEP_2) | instskip(SKIP_1) | instid1(VALU_DEP_2)
	v_sub_nc_u32_e32 v11, v10, v30
	v_cmp_ge_u32_e32 vcc_lo, v10, v30
	v_cndmask_b32_e32 v10, v10, v11, vcc_lo
	s_delay_alu instid0(VALU_DEP_1) | instskip(NEXT) | instid1(VALU_DEP_1)
	v_xor_b32_e32 v10, v10, v9
	v_sub_nc_u32_e32 v9, v10, v9
	s_delay_alu instid0(VALU_DEP_1) | instskip(SKIP_1) | instid1(SALU_CYCLE_1)
	v_cmp_eq_u32_e32 vcc_lo, 0, v9
	s_or_b32 s0, vcc_lo, s0
	s_and_saveexec_b32 s10, s0
	s_cbranch_execz .LBB316_487
; %bb.489:                              ;   in Loop: Header=BB316_488 Depth=1
	flat_load_b32 v0, v[7:8]
	ds_load_2addr_b64 v[10:13], v17 offset1:1
	ds_load_2addr_b64 v[64:67], v17 offset0:2 offset1:3
	v_mov_b32_e32 v18, 0
	v_mov_b32_e32 v54, 0
	s_mov_b32 s0, exec_lo
	s_waitcnt lgkmcnt(1)
	;;#ASMSTART
	v_cvt_f16_f32 v69, v10;

	;;#ASMEND
	;;#ASMSTART
	v_cvt_f16_f32 v70, v11;

	;;#ASMEND
	;; [unrolled: 4-line block ×4, first 2 shown]
	s_waitcnt lgkmcnt(0)
	;;#ASMSTART
	v_cvt_f16_f32 v82, v64;

	;;#ASMEND
	;;#ASMSTART
	v_cvt_f16_f32 v80, v65;

	;;#ASMEND
	;; [unrolled: 4-line block ×4, first 2 shown]
	s_waitcnt vmcnt(0)
	v_mad_i64_i32 v[9:10], null, v0, v22, v[2:3]
	flat_load_b64 v[11:12], v[9:10]
	flat_load_b32 v19, v[26:27]
	s_waitcnt vmcnt(1) lgkmcnt(1)
	v_and_b32_e32 v0, 0xff, v11
	s_delay_alu instid0(VALU_DEP_1)
	v_cmpx_ne_u16_e32 0, v0
	s_cbranch_execz .LBB316_497
; %bb.490:                              ;   in Loop: Header=BB316_488 Depth=1
	v_bfrev_b32_e32 v54, 1
	s_mov_b32 s12, exec_lo
	v_cmpx_ne_u16_e32 0x80, v0
	s_cbranch_execz .LBB316_496
; %bb.491:                              ;   in Loop: Header=BB316_488 Depth=1
	v_and_b32_e32 v13, 0x7f, v11
	v_mov_b32_e32 v54, 0x7fc02000
	s_mov_b32 s13, exec_lo
	s_delay_alu instid0(VALU_DEP_2)
	v_cmpx_ne_u32_e32 0x7f, v13
	s_cbranch_execz .LBB316_495
; %bb.492:                              ;   in Loop: Header=BB316_488 Depth=1
	v_lshrrev_b32_e32 v0, 3, v13
	v_cmp_gt_u32_e32 vcc_lo, 8, v13
	v_dual_mov_b32 v14, v12 :: v_dual_mov_b32 v13, v11
	s_and_saveexec_b32 s15, vcc_lo
; %bb.493:                              ;   in Loop: Header=BB316_488 Depth=1
	v_and_b32_e32 v0, 7, v11
	s_delay_alu instid0(VALU_DEP_1) | instskip(NEXT) | instid1(VALU_DEP_1)
	v_clz_i32_u32_e32 v0, v0
	v_min_u32_e32 v0, 32, v0
	s_delay_alu instid0(VALU_DEP_1) | instskip(SKIP_1) | instid1(VALU_DEP_2)
	v_subrev_nc_u32_e32 v13, 28, v0
	v_sub_nc_u32_e32 v0, 29, v0
	v_lshlrev_b64 v[13:14], v13, v[11:12]
; %bb.494:                              ;   in Loop: Header=BB316_488 Depth=1
	s_or_b32 exec_lo, exec_lo, s15
	v_lshlrev_b32_e32 v14, 8, v11
	s_delay_alu instid0(VALU_DEP_3) | instskip(NEXT) | instid1(VALU_DEP_3)
	v_lshl_add_u32 v0, v0, 10, 0x2000
	v_lshlrev_b32_e32 v13, 7, v13
	s_delay_alu instid0(VALU_DEP_2) | instskip(NEXT) | instid1(VALU_DEP_1)
	v_and_or_b32 v0, 0x8000, v14, v0
	v_and_or_b32 v0, 0x380, v13, v0
	s_delay_alu instid0(VALU_DEP_1)
	v_cvt_f32_f16_e32 v54, v0
.LBB316_495:                            ;   in Loop: Header=BB316_488 Depth=1
	s_or_b32 exec_lo, exec_lo, s13
.LBB316_496:                            ;   in Loop: Header=BB316_488 Depth=1
	s_delay_alu instid0(SALU_CYCLE_1)
	s_or_b32 exec_lo, exec_lo, s12
.LBB316_497:                            ;   in Loop: Header=BB316_488 Depth=1
	s_delay_alu instid0(SALU_CYCLE_1) | instskip(SKIP_2) | instid1(VALU_DEP_1)
	s_or_b32 exec_lo, exec_lo, s0
	v_lshrrev_b16 v0, 8, v11
	s_mov_b32 s0, exec_lo
	v_cmpx_ne_u16_e32 0, v0
	s_cbranch_execz .LBB316_505
; %bb.498:                              ;   in Loop: Header=BB316_488 Depth=1
	v_bfrev_b32_e32 v18, 1
	s_mov_b32 s12, exec_lo
	v_cmpx_ne_u16_e32 0x80, v0
	s_cbranch_execz .LBB316_504
; %bb.499:                              ;   in Loop: Header=BB316_488 Depth=1
	v_and_b32_e32 v13, 0xffff, v0
	v_mov_b32_e32 v18, 0x7fc02000
	s_mov_b32 s13, exec_lo
	s_delay_alu instid0(VALU_DEP_2) | instskip(NEXT) | instid1(VALU_DEP_1)
	v_and_b32_e32 v64, 0x7f, v13
	v_cmpx_ne_u32_e32 0x7f, v64
	s_cbranch_execz .LBB316_503
; %bb.500:                              ;   in Loop: Header=BB316_488 Depth=1
	v_and_b32_e32 v0, 7, v13
	v_lshrrev_b32_e32 v14, 3, v64
	s_mov_b32 s15, exec_lo
	v_cmpx_gt_u32_e32 8, v64
; %bb.501:                              ;   in Loop: Header=BB316_488 Depth=1
	s_delay_alu instid0(VALU_DEP_3) | instskip(NEXT) | instid1(VALU_DEP_1)
	v_clz_i32_u32_e32 v14, v0
	v_min_u32_e32 v14, 32, v14
	s_delay_alu instid0(VALU_DEP_1) | instskip(SKIP_1) | instid1(VALU_DEP_2)
	v_subrev_nc_u32_e32 v18, 28, v14
	v_sub_nc_u32_e32 v14, 29, v14
	v_lshlrev_b64 v[64:65], v18, v[0:1]
	s_delay_alu instid0(VALU_DEP_1)
	v_and_b32_e32 v0, 7, v64
; %bb.502:                              ;   in Loop: Header=BB316_488 Depth=1
	s_or_b32 exec_lo, exec_lo, s15
	v_lshlrev_b32_e32 v13, 8, v13
	v_lshl_add_u32 v14, v14, 10, 0x2000
	s_delay_alu instid0(VALU_DEP_1) | instskip(NEXT) | instid1(VALU_DEP_1)
	v_and_or_b32 v13, 0x8000, v13, v14
	v_lshl_or_b32 v0, v0, 7, v13
	s_delay_alu instid0(VALU_DEP_1)
	v_cvt_f32_f16_e32 v18, v0
.LBB316_503:                            ;   in Loop: Header=BB316_488 Depth=1
	s_or_b32 exec_lo, exec_lo, s13
.LBB316_504:                            ;   in Loop: Header=BB316_488 Depth=1
	s_delay_alu instid0(SALU_CYCLE_1)
	s_or_b32 exec_lo, exec_lo, s12
.LBB316_505:                            ;   in Loop: Header=BB316_488 Depth=1
	s_delay_alu instid0(SALU_CYCLE_1) | instskip(SKIP_3) | instid1(VALU_DEP_2)
	s_or_b32 exec_lo, exec_lo, s0
	v_lshrrev_b32_e32 v13, 16, v11
	v_mov_b32_e32 v64, 0
	s_mov_b32 s0, exec_lo
	v_dual_mov_b32 v65, 0 :: v_dual_and_b32 v0, 0xff, v13
	s_delay_alu instid0(VALU_DEP_1)
	v_cmpx_ne_u16_e32 0, v0
	s_cbranch_execz .LBB316_513
; %bb.506:                              ;   in Loop: Header=BB316_488 Depth=1
	v_bfrev_b32_e32 v64, 1
	s_mov_b32 s12, exec_lo
	v_cmpx_ne_u16_e32 0x80, v0
	s_cbranch_execz .LBB316_512
; %bb.507:                              ;   in Loop: Header=BB316_488 Depth=1
	v_bfe_u32 v66, v11, 16, 7
	v_mov_b32_e32 v64, 0x7fc02000
	s_mov_b32 s13, exec_lo
	s_delay_alu instid0(VALU_DEP_2)
	v_cmpx_ne_u32_e32 0x7f, v66
	s_cbranch_execz .LBB316_511
; %bb.508:                              ;   in Loop: Header=BB316_488 Depth=1
	v_and_b32_e32 v0, 7, v13
	v_lshrrev_b32_e32 v14, 3, v66
	s_mov_b32 s15, exec_lo
	v_cmpx_gt_u32_e32 8, v66
; %bb.509:                              ;   in Loop: Header=BB316_488 Depth=1
	s_delay_alu instid0(VALU_DEP_3) | instskip(NEXT) | instid1(VALU_DEP_1)
	v_clz_i32_u32_e32 v14, v0
	v_min_u32_e32 v14, 32, v14
	s_delay_alu instid0(VALU_DEP_1) | instskip(SKIP_1) | instid1(VALU_DEP_2)
	v_subrev_nc_u32_e32 v64, 28, v14
	v_sub_nc_u32_e32 v14, 29, v14
	v_lshlrev_b64 v[66:67], v64, v[0:1]
	s_delay_alu instid0(VALU_DEP_1)
	v_and_b32_e32 v0, 7, v66
; %bb.510:                              ;   in Loop: Header=BB316_488 Depth=1
	s_or_b32 exec_lo, exec_lo, s15
	v_lshlrev_b32_e32 v13, 8, v13
	v_lshl_add_u32 v14, v14, 10, 0x2000
	s_delay_alu instid0(VALU_DEP_1) | instskip(NEXT) | instid1(VALU_DEP_1)
	v_and_or_b32 v13, 0x8000, v13, v14
	v_lshl_or_b32 v0, v0, 7, v13
	s_delay_alu instid0(VALU_DEP_1)
	v_cvt_f32_f16_e32 v64, v0
.LBB316_511:                            ;   in Loop: Header=BB316_488 Depth=1
	s_or_b32 exec_lo, exec_lo, s13
.LBB316_512:                            ;   in Loop: Header=BB316_488 Depth=1
	s_delay_alu instid0(SALU_CYCLE_1)
	s_or_b32 exec_lo, exec_lo, s12
.LBB316_513:                            ;   in Loop: Header=BB316_488 Depth=1
	s_delay_alu instid0(SALU_CYCLE_1) | instskip(NEXT) | instid1(SALU_CYCLE_1)
	s_or_b32 exec_lo, exec_lo, s0
	s_mov_b32 s0, exec_lo
	v_cmpx_lt_u32_e32 0xffffff, v11
	s_cbranch_execz .LBB316_521
; %bb.514:                              ;   in Loop: Header=BB316_488 Depth=1
	v_lshrrev_b32_e32 v13, 24, v11
	v_bfrev_b32_e32 v65, 1
	s_mov_b32 s12, exec_lo
	s_delay_alu instid0(VALU_DEP_2)
	v_cmpx_ne_u32_e32 0x80, v13
	s_cbranch_execz .LBB316_520
; %bb.515:                              ;   in Loop: Header=BB316_488 Depth=1
	v_and_b32_e32 v66, 0x7f, v13
	v_mov_b32_e32 v65, 0x7fc02000
	s_mov_b32 s13, exec_lo
	s_delay_alu instid0(VALU_DEP_2)
	v_cmpx_ne_u32_e32 0x7f, v66
	s_cbranch_execz .LBB316_519
; %bb.516:                              ;   in Loop: Header=BB316_488 Depth=1
	v_and_b32_e32 v0, 7, v13
	v_lshrrev_b32_e32 v14, 3, v66
	s_mov_b32 s15, exec_lo
	v_cmpx_gt_u32_e32 8, v66
; %bb.517:                              ;   in Loop: Header=BB316_488 Depth=1
	s_delay_alu instid0(VALU_DEP_3) | instskip(NEXT) | instid1(VALU_DEP_1)
	v_clz_i32_u32_e32 v14, v0
	v_min_u32_e32 v14, 32, v14
	s_delay_alu instid0(VALU_DEP_1) | instskip(SKIP_1) | instid1(VALU_DEP_2)
	v_subrev_nc_u32_e32 v65, 28, v14
	v_sub_nc_u32_e32 v14, 29, v14
	v_lshlrev_b64 v[65:66], v65, v[0:1]
	s_delay_alu instid0(VALU_DEP_1)
	v_and_b32_e32 v0, 7, v65
; %bb.518:                              ;   in Loop: Header=BB316_488 Depth=1
	s_or_b32 exec_lo, exec_lo, s15
	v_lshlrev_b32_e32 v13, 8, v13
	v_lshl_add_u32 v14, v14, 10, 0x2000
	s_delay_alu instid0(VALU_DEP_1) | instskip(NEXT) | instid1(VALU_DEP_1)
	v_and_or_b32 v13, 0x8000, v13, v14
	v_lshl_or_b32 v0, v0, 7, v13
	s_delay_alu instid0(VALU_DEP_1)
	v_cvt_f32_f16_e32 v65, v0
.LBB316_519:                            ;   in Loop: Header=BB316_488 Depth=1
	s_or_b32 exec_lo, exec_lo, s13
.LBB316_520:                            ;   in Loop: Header=BB316_488 Depth=1
	s_delay_alu instid0(SALU_CYCLE_1)
	s_or_b32 exec_lo, exec_lo, s12
.LBB316_521:                            ;   in Loop: Header=BB316_488 Depth=1
	s_delay_alu instid0(SALU_CYCLE_1) | instskip(SKIP_4) | instid1(VALU_DEP_3)
	s_or_b32 exec_lo, exec_lo, s0
	v_dual_mov_b32 v13, 0 :: v_dual_and_b32 v14, 0xff, v12
	v_mov_b32_e32 v0, v12
	v_mov_b32_e32 v66, 0
	s_mov_b32 s0, exec_lo
	v_cmpx_ne_u16_e32 0, v14
	s_cbranch_execz .LBB316_529
; %bb.522:                              ;   in Loop: Header=BB316_488 Depth=1
	v_bfrev_b32_e32 v13, 1
	s_mov_b32 s12, exec_lo
	v_cmpx_ne_u16_e32 0x80, v14
	s_cbranch_execz .LBB316_528
; %bb.523:                              ;   in Loop: Header=BB316_488 Depth=1
	v_and_b32_e32 v14, 0x7f, v12
	v_mov_b32_e32 v13, 0x7fc02000
	s_mov_b32 s13, exec_lo
	s_delay_alu instid0(VALU_DEP_2)
	v_cmpx_ne_u32_e32 0x7f, v14
	s_cbranch_execz .LBB316_527
; %bb.524:                              ;   in Loop: Header=BB316_488 Depth=1
	v_lshrrev_b32_e32 v67, 3, v14
	v_cmp_gt_u32_e32 vcc_lo, 8, v14
	v_dual_mov_b32 v14, v1 :: v_dual_mov_b32 v13, v0
	s_and_saveexec_b32 s15, vcc_lo
; %bb.525:                              ;   in Loop: Header=BB316_488 Depth=1
	v_and_b32_e32 v13, 7, v12
	s_delay_alu instid0(VALU_DEP_1) | instskip(NEXT) | instid1(VALU_DEP_1)
	v_clz_i32_u32_e32 v13, v13
	v_min_u32_e32 v67, 32, v13
	s_delay_alu instid0(VALU_DEP_1) | instskip(SKIP_1) | instid1(VALU_DEP_2)
	v_subrev_nc_u32_e32 v13, 28, v67
	v_sub_nc_u32_e32 v67, 29, v67
	v_lshlrev_b64 v[13:14], v13, v[0:1]
; %bb.526:                              ;   in Loop: Header=BB316_488 Depth=1
	s_or_b32 exec_lo, exec_lo, s15
	v_lshlrev_b32_e32 v14, 8, v12
	s_delay_alu instid0(VALU_DEP_3) | instskip(NEXT) | instid1(VALU_DEP_3)
	v_lshl_add_u32 v67, v67, 10, 0x2000
	v_lshlrev_b32_e32 v13, 7, v13
	s_delay_alu instid0(VALU_DEP_2) | instskip(NEXT) | instid1(VALU_DEP_1)
	v_and_or_b32 v14, 0x8000, v14, v67
	v_and_or_b32 v13, 0x380, v13, v14
	s_delay_alu instid0(VALU_DEP_1)
	v_cvt_f32_f16_e32 v13, v13
.LBB316_527:                            ;   in Loop: Header=BB316_488 Depth=1
	s_or_b32 exec_lo, exec_lo, s13
.LBB316_528:                            ;   in Loop: Header=BB316_488 Depth=1
	s_delay_alu instid0(SALU_CYCLE_1)
	s_or_b32 exec_lo, exec_lo, s12
.LBB316_529:                            ;   in Loop: Header=BB316_488 Depth=1
	s_delay_alu instid0(SALU_CYCLE_1) | instskip(SKIP_2) | instid1(VALU_DEP_1)
	s_or_b32 exec_lo, exec_lo, s0
	v_lshrrev_b16 v0, 8, v0
	s_mov_b32 s0, exec_lo
	v_cmpx_ne_u16_e32 0, v0
	s_cbranch_execz .LBB316_537
; %bb.530:                              ;   in Loop: Header=BB316_488 Depth=1
	v_bfrev_b32_e32 v66, 1
	s_mov_b32 s12, exec_lo
	v_cmpx_ne_u16_e32 0x80, v0
	s_cbranch_execz .LBB316_536
; %bb.531:                              ;   in Loop: Header=BB316_488 Depth=1
	v_and_b32_e32 v14, 0xffff, v0
	v_mov_b32_e32 v66, 0x7fc02000
	s_mov_b32 s13, exec_lo
	s_delay_alu instid0(VALU_DEP_2) | instskip(NEXT) | instid1(VALU_DEP_1)
	v_and_b32_e32 v67, 0x7f, v14
	v_cmpx_ne_u32_e32 0x7f, v67
	s_cbranch_execz .LBB316_535
; %bb.532:                              ;   in Loop: Header=BB316_488 Depth=1
	v_and_b32_e32 v0, 7, v14
	v_lshrrev_b32_e32 v66, 3, v67
	s_mov_b32 s15, exec_lo
	v_cmpx_gt_u32_e32 8, v67
; %bb.533:                              ;   in Loop: Header=BB316_488 Depth=1
	s_delay_alu instid0(VALU_DEP_3) | instskip(NEXT) | instid1(VALU_DEP_1)
	v_clz_i32_u32_e32 v66, v0
	v_min_u32_e32 v66, 32, v66
	s_delay_alu instid0(VALU_DEP_1) | instskip(SKIP_1) | instid1(VALU_DEP_2)
	v_subrev_nc_u32_e32 v67, 28, v66
	v_sub_nc_u32_e32 v66, 29, v66
	v_lshlrev_b64 v[67:68], v67, v[0:1]
	s_delay_alu instid0(VALU_DEP_1)
	v_and_b32_e32 v0, 7, v67
; %bb.534:                              ;   in Loop: Header=BB316_488 Depth=1
	s_or_b32 exec_lo, exec_lo, s15
	v_lshlrev_b32_e32 v14, 8, v14
	v_lshl_add_u32 v66, v66, 10, 0x2000
	s_delay_alu instid0(VALU_DEP_1) | instskip(NEXT) | instid1(VALU_DEP_1)
	v_and_or_b32 v14, 0x8000, v14, v66
	v_lshl_or_b32 v0, v0, 7, v14
	s_delay_alu instid0(VALU_DEP_1)
	v_cvt_f32_f16_e32 v66, v0
.LBB316_535:                            ;   in Loop: Header=BB316_488 Depth=1
	s_or_b32 exec_lo, exec_lo, s13
.LBB316_536:                            ;   in Loop: Header=BB316_488 Depth=1
	s_delay_alu instid0(SALU_CYCLE_1)
	s_or_b32 exec_lo, exec_lo, s12
.LBB316_537:                            ;   in Loop: Header=BB316_488 Depth=1
	s_delay_alu instid0(SALU_CYCLE_1) | instskip(SKIP_3) | instid1(VALU_DEP_2)
	s_or_b32 exec_lo, exec_lo, s0
	v_lshrrev_b32_e32 v68, 16, v12
	v_mov_b32_e32 v14, 0
	s_mov_b32 s0, exec_lo
	v_dual_mov_b32 v67, 0 :: v_dual_and_b32 v0, 0xff, v68
	s_delay_alu instid0(VALU_DEP_1)
	v_cmpx_ne_u16_e32 0, v0
	s_cbranch_execz .LBB316_545
; %bb.538:                              ;   in Loop: Header=BB316_488 Depth=1
	v_bfrev_b32_e32 v14, 1
	s_mov_b32 s12, exec_lo
	v_cmpx_ne_u16_e32 0x80, v0
	s_cbranch_execz .LBB316_544
; %bb.539:                              ;   in Loop: Header=BB316_488 Depth=1
	v_bfe_u32 v85, v12, 16, 7
	v_mov_b32_e32 v14, 0x7fc02000
	s_mov_b32 s13, exec_lo
	s_delay_alu instid0(VALU_DEP_2)
	v_cmpx_ne_u32_e32 0x7f, v85
	s_cbranch_execz .LBB316_543
; %bb.540:                              ;   in Loop: Header=BB316_488 Depth=1
	v_and_b32_e32 v0, 7, v68
	v_lshrrev_b32_e32 v14, 3, v85
	s_mov_b32 s15, exec_lo
	v_cmpx_gt_u32_e32 8, v85
; %bb.541:                              ;   in Loop: Header=BB316_488 Depth=1
	s_delay_alu instid0(VALU_DEP_3) | instskip(NEXT) | instid1(VALU_DEP_1)
	v_clz_i32_u32_e32 v14, v0
	v_min_u32_e32 v14, 32, v14
	s_delay_alu instid0(VALU_DEP_1) | instskip(SKIP_1) | instid1(VALU_DEP_2)
	v_subrev_nc_u32_e32 v85, 28, v14
	v_sub_nc_u32_e32 v14, 29, v14
	v_lshlrev_b64 v[85:86], v85, v[0:1]
	s_delay_alu instid0(VALU_DEP_1)
	v_and_b32_e32 v0, 7, v85
; %bb.542:                              ;   in Loop: Header=BB316_488 Depth=1
	s_or_b32 exec_lo, exec_lo, s15
	v_lshlrev_b32_e32 v68, 8, v68
	v_lshl_add_u32 v14, v14, 10, 0x2000
	s_delay_alu instid0(VALU_DEP_1) | instskip(NEXT) | instid1(VALU_DEP_1)
	v_and_or_b32 v14, 0x8000, v68, v14
	v_lshl_or_b32 v0, v0, 7, v14
	s_delay_alu instid0(VALU_DEP_1)
	v_cvt_f32_f16_e32 v14, v0
.LBB316_543:                            ;   in Loop: Header=BB316_488 Depth=1
	s_or_b32 exec_lo, exec_lo, s13
.LBB316_544:                            ;   in Loop: Header=BB316_488 Depth=1
	s_delay_alu instid0(SALU_CYCLE_1)
	s_or_b32 exec_lo, exec_lo, s12
.LBB316_545:                            ;   in Loop: Header=BB316_488 Depth=1
	s_delay_alu instid0(SALU_CYCLE_1) | instskip(NEXT) | instid1(SALU_CYCLE_1)
	s_or_b32 exec_lo, exec_lo, s0
	s_mov_b32 s0, exec_lo
	v_cmpx_lt_u64_e64 s[8:9], v[11:12]
	s_cbranch_execz .LBB316_553
; %bb.546:                              ;   in Loop: Header=BB316_488 Depth=1
	v_lshrrev_b32_e32 v11, 24, v12
	v_bfrev_b32_e32 v67, 1
	s_mov_b32 s12, exec_lo
	s_delay_alu instid0(VALU_DEP_2)
	v_cmpx_ne_u32_e32 0x80, v11
	s_cbranch_execz .LBB316_552
; %bb.547:                              ;   in Loop: Header=BB316_488 Depth=1
	v_and_b32_e32 v68, 0x7f, v11
	v_mov_b32_e32 v67, 0x7fc02000
	s_mov_b32 s13, exec_lo
	s_delay_alu instid0(VALU_DEP_2)
	v_cmpx_ne_u32_e32 0x7f, v68
	s_cbranch_execz .LBB316_551
; %bb.548:                              ;   in Loop: Header=BB316_488 Depth=1
	v_and_b32_e32 v0, 7, v11
	v_lshrrev_b32_e32 v12, 3, v68
	s_mov_b32 s15, exec_lo
	v_cmpx_gt_u32_e32 8, v68
; %bb.549:                              ;   in Loop: Header=BB316_488 Depth=1
	s_delay_alu instid0(VALU_DEP_3) | instskip(NEXT) | instid1(VALU_DEP_1)
	v_clz_i32_u32_e32 v12, v0
	v_min_u32_e32 v12, 32, v12
	s_delay_alu instid0(VALU_DEP_1) | instskip(SKIP_1) | instid1(VALU_DEP_2)
	v_subrev_nc_u32_e32 v67, 28, v12
	v_sub_nc_u32_e32 v12, 29, v12
	v_lshlrev_b64 v[67:68], v67, v[0:1]
	s_delay_alu instid0(VALU_DEP_1)
	v_and_b32_e32 v0, 7, v67
; %bb.550:                              ;   in Loop: Header=BB316_488 Depth=1
	s_or_b32 exec_lo, exec_lo, s15
	v_lshlrev_b32_e32 v11, 8, v11
	v_lshl_add_u32 v12, v12, 10, 0x2000
	s_delay_alu instid0(VALU_DEP_1) | instskip(NEXT) | instid1(VALU_DEP_1)
	v_and_or_b32 v11, 0x8000, v11, v12
	v_lshl_or_b32 v0, v0, 7, v11
	s_delay_alu instid0(VALU_DEP_1)
	v_cvt_f32_f16_e32 v67, v0
.LBB316_551:                            ;   in Loop: Header=BB316_488 Depth=1
	s_or_b32 exec_lo, exec_lo, s13
.LBB316_552:                            ;   in Loop: Header=BB316_488 Depth=1
	s_delay_alu instid0(SALU_CYCLE_1)
	s_or_b32 exec_lo, exec_lo, s12
.LBB316_553:                            ;   in Loop: Header=BB316_488 Depth=1
	s_delay_alu instid0(SALU_CYCLE_1)
	s_or_b32 exec_lo, exec_lo, s0
	s_waitcnt vmcnt(0) lgkmcnt(0)
	v_fma_mixlo_f16 v12, v19, v18, 0
	v_fma_mixlo_f16 v0, v19, v65, 0
	;; [unrolled: 1-line block ×5, first 2 shown]
	v_lshlrev_b32_e32 v64, 16, v12
	v_fma_mixlo_f16 v12, v19, v54, 0
	v_fma_mixlo_f16 v54, v19, v66, 0
	;; [unrolled: 1-line block ×3, first 2 shown]
	v_add_nc_u32_e32 v18, v53, v23
	v_lshlrev_b32_e32 v0, 16, v0
	v_and_b32_e32 v11, 0xffff, v11
	v_and_b32_e32 v14, 0xffff, v12
	v_lshlrev_b32_e32 v19, 16, v54
	v_and_b32_e32 v54, 0xffff, v65
	v_lshlrev_b32_e32 v65, 16, v66
	v_and_b32_e32 v66, 0xffff, v13
	v_cmp_eq_u32_e32 vcc_lo, v52, v16
	v_or_b32_e32 v12, v0, v11
	v_or_b32_e32 v14, v64, v14
	;; [unrolled: 1-line block ×4, first 2 shown]
	v_add_nc_u32_e32 v68, 1, v18
	v_or_b32_e32 v67, 3, v18
	v_or_b32_e32 v66, 2, v18
	;; [unrolled: 1-line block ×6, first 2 shown]
	s_and_saveexec_b32 s12, vcc_lo
	s_cbranch_execz .LBB316_555
; %bb.554:                              ;   in Loop: Header=BB316_488 Depth=1
	v_cmp_lt_i32_e64 s0, v18, v35
	v_lshrrev_b32_e32 v85, 16, v14
	v_lshrrev_b32_e32 v86, 16, v12
	;; [unrolled: 1-line block ×4, first 2 shown]
	v_cndmask_b32_e64 v14, 0, v14, s0
	v_cmp_lt_i32_e64 s0, v68, v51
	s_delay_alu instid0(VALU_DEP_1) | instskip(SKIP_1) | instid1(VALU_DEP_2)
	v_cndmask_b32_e64 v85, 0, v85, s0
	v_cmp_lt_i32_e64 s0, v67, v51
	v_perm_b32 v14, v85, v14, 0x5040100
	s_delay_alu instid0(VALU_DEP_2) | instskip(SKIP_1) | instid1(VALU_DEP_1)
	v_cndmask_b32_e64 v86, 0, v86, s0
	v_cmp_lt_i32_e64 s0, v66, v35
	v_cndmask_b32_e64 v12, 0, v12, s0
	v_cmp_lt_i32_e64 s0, v65, v51
	s_delay_alu instid0(VALU_DEP_2) | instskip(NEXT) | instid1(VALU_DEP_2)
	v_perm_b32 v12, v86, v12, 0x5040100
	v_cndmask_b32_e64 v87, 0, v87, s0
	v_cmp_lt_i32_e64 s0, v64, v35
	s_delay_alu instid0(VALU_DEP_1) | instskip(SKIP_1) | instid1(VALU_DEP_2)
	v_cndmask_b32_e64 v0, 0, v0, s0
	v_cmp_lt_i32_e64 s0, v54, v51
	v_perm_b32 v0, v87, v0, 0x5040100
	s_delay_alu instid0(VALU_DEP_2) | instskip(SKIP_1) | instid1(VALU_DEP_1)
	v_cndmask_b32_e64 v11, 0, v11, s0
	v_cmp_lt_i32_e64 s0, v19, v35
	v_cndmask_b32_e64 v13, 0, v13, s0
	s_delay_alu instid0(VALU_DEP_1)
	v_perm_b32 v11, v11, v13, 0x5040100
.LBB316_555:                            ;   in Loop: Header=BB316_488 Depth=1
	s_or_b32 exec_lo, exec_lo, s12
	v_and_b32_e32 v13, 0xffff, v69
	v_and_b32_e32 v69, 0xffff, v81
	;; [unrolled: 1-line block ×4, first 2 shown]
	s_mov_b32 s12, exec_lo
	s_delay_alu instid0(VALU_DEP_3) | instskip(NEXT) | instid1(VALU_DEP_3)
	v_lshl_or_b32 v81, v71, 16, v69
	v_lshl_or_b32 v80, v80, 16, v85
	v_mov_b32_e32 v85, 0
	v_lshl_or_b32 v71, v83, 16, v84
	v_mov_b32_e32 v84, 0
	v_lshl_or_b32 v82, v70, 16, v13
	;;#ASMSTART
	v_pk_mul_f16 v13, v82, v14;

	;;#ASMEND
	;;#ASMSTART
	v_pk_mul_f16 v12, v81, v12;

	;;#ASMEND
	;; [unrolled: 4-line block ×4, first 2 shown]
	;;#ASMSTART
	v_pk_add_f16 v12, v13, v12;

	;;#ASMEND
	;;#ASMSTART
	v_pk_add_f16 v0, v12, v0;

	;;#ASMEND
	;; [unrolled: 4-line block ×3, first 2 shown]
	v_and_b32_e32 v11, 0xffff, v0
	v_lshrrev_b32_e32 v0, 16, v0
	;;#ASMSTART
	v_cvt_f32_f16 v69, v11;
	;;#ASMEND
	;;#ASMSTART
	v_cvt_f32_f16 v70, v0;
	;;#ASMEND
	flat_load_b64 v[11:12], v[9:10] offset:256
	flat_load_b32 v83, v[26:27]
	s_waitcnt vmcnt(1) lgkmcnt(1)
	v_and_b32_e32 v0, 0xff, v11
	s_delay_alu instid0(VALU_DEP_1)
	v_cmpx_ne_u16_e32 0, v0
	s_cbranch_execz .LBB316_563
; %bb.556:                              ;   in Loop: Header=BB316_488 Depth=1
	v_bfrev_b32_e32 v84, 1
	s_mov_b32 s13, exec_lo
	v_cmpx_ne_u16_e32 0x80, v0
	s_cbranch_execz .LBB316_562
; %bb.557:                              ;   in Loop: Header=BB316_488 Depth=1
	v_and_b32_e32 v13, 0x7f, v11
	v_mov_b32_e32 v84, 0x7fc02000
	s_mov_b32 s15, exec_lo
	s_delay_alu instid0(VALU_DEP_2)
	v_cmpx_ne_u32_e32 0x7f, v13
	s_cbranch_execz .LBB316_561
; %bb.558:                              ;   in Loop: Header=BB316_488 Depth=1
	v_lshrrev_b32_e32 v0, 3, v13
	v_cmp_gt_u32_e64 s0, 8, v13
	v_dual_mov_b32 v14, v12 :: v_dual_mov_b32 v13, v11
	s_delay_alu instid0(VALU_DEP_2)
	s_and_saveexec_b32 s16, s0
; %bb.559:                              ;   in Loop: Header=BB316_488 Depth=1
	v_and_b32_e32 v0, 7, v11
	s_delay_alu instid0(VALU_DEP_1) | instskip(NEXT) | instid1(VALU_DEP_1)
	v_clz_i32_u32_e32 v0, v0
	v_min_u32_e32 v0, 32, v0
	s_delay_alu instid0(VALU_DEP_1) | instskip(SKIP_1) | instid1(VALU_DEP_2)
	v_subrev_nc_u32_e32 v13, 28, v0
	v_sub_nc_u32_e32 v0, 29, v0
	v_lshlrev_b64 v[13:14], v13, v[11:12]
; %bb.560:                              ;   in Loop: Header=BB316_488 Depth=1
	s_or_b32 exec_lo, exec_lo, s16
	v_lshlrev_b32_e32 v14, 8, v11
	s_delay_alu instid0(VALU_DEP_3) | instskip(NEXT) | instid1(VALU_DEP_3)
	v_lshl_add_u32 v0, v0, 10, 0x2000
	v_lshlrev_b32_e32 v13, 7, v13
	s_delay_alu instid0(VALU_DEP_2) | instskip(NEXT) | instid1(VALU_DEP_1)
	v_and_or_b32 v0, 0x8000, v14, v0
	v_and_or_b32 v0, 0x380, v13, v0
	s_delay_alu instid0(VALU_DEP_1)
	v_cvt_f32_f16_e32 v84, v0
.LBB316_561:                            ;   in Loop: Header=BB316_488 Depth=1
	s_or_b32 exec_lo, exec_lo, s15
.LBB316_562:                            ;   in Loop: Header=BB316_488 Depth=1
	s_delay_alu instid0(SALU_CYCLE_1)
	s_or_b32 exec_lo, exec_lo, s13
.LBB316_563:                            ;   in Loop: Header=BB316_488 Depth=1
	s_delay_alu instid0(SALU_CYCLE_1) | instskip(SKIP_2) | instid1(VALU_DEP_1)
	s_or_b32 exec_lo, exec_lo, s12
	v_lshrrev_b16 v0, 8, v11
	s_mov_b32 s12, exec_lo
	v_cmpx_ne_u16_e32 0, v0
	s_cbranch_execz .LBB316_571
; %bb.564:                              ;   in Loop: Header=BB316_488 Depth=1
	v_bfrev_b32_e32 v85, 1
	s_mov_b32 s13, exec_lo
	v_cmpx_ne_u16_e32 0x80, v0
	s_cbranch_execz .LBB316_570
; %bb.565:                              ;   in Loop: Header=BB316_488 Depth=1
	v_and_b32_e32 v13, 0xffff, v0
	v_mov_b32_e32 v85, 0x7fc02000
	s_mov_b32 s15, exec_lo
	s_delay_alu instid0(VALU_DEP_2) | instskip(NEXT) | instid1(VALU_DEP_1)
	v_and_b32_e32 v86, 0x7f, v13
	v_cmpx_ne_u32_e32 0x7f, v86
	s_cbranch_execz .LBB316_569
; %bb.566:                              ;   in Loop: Header=BB316_488 Depth=1
	v_and_b32_e32 v0, 7, v13
	v_lshrrev_b32_e32 v14, 3, v86
	s_mov_b32 s16, exec_lo
	v_cmpx_gt_u32_e32 8, v86
; %bb.567:                              ;   in Loop: Header=BB316_488 Depth=1
	s_delay_alu instid0(VALU_DEP_3) | instskip(NEXT) | instid1(VALU_DEP_1)
	v_clz_i32_u32_e32 v14, v0
	v_min_u32_e32 v14, 32, v14
	s_delay_alu instid0(VALU_DEP_1) | instskip(SKIP_1) | instid1(VALU_DEP_2)
	v_subrev_nc_u32_e32 v85, 28, v14
	v_sub_nc_u32_e32 v14, 29, v14
	v_lshlrev_b64 v[85:86], v85, v[0:1]
	s_delay_alu instid0(VALU_DEP_1)
	v_and_b32_e32 v0, 7, v85
; %bb.568:                              ;   in Loop: Header=BB316_488 Depth=1
	s_or_b32 exec_lo, exec_lo, s16
	v_lshlrev_b32_e32 v13, 8, v13
	v_lshl_add_u32 v14, v14, 10, 0x2000
	s_delay_alu instid0(VALU_DEP_1) | instskip(NEXT) | instid1(VALU_DEP_1)
	v_and_or_b32 v13, 0x8000, v13, v14
	v_lshl_or_b32 v0, v0, 7, v13
	s_delay_alu instid0(VALU_DEP_1)
	v_cvt_f32_f16_e32 v85, v0
.LBB316_569:                            ;   in Loop: Header=BB316_488 Depth=1
	s_or_b32 exec_lo, exec_lo, s15
.LBB316_570:                            ;   in Loop: Header=BB316_488 Depth=1
	s_delay_alu instid0(SALU_CYCLE_1)
	s_or_b32 exec_lo, exec_lo, s13
.LBB316_571:                            ;   in Loop: Header=BB316_488 Depth=1
	s_delay_alu instid0(SALU_CYCLE_1) | instskip(SKIP_3) | instid1(VALU_DEP_2)
	s_or_b32 exec_lo, exec_lo, s12
	v_lshrrev_b32_e32 v13, 16, v11
	v_mov_b32_e32 v86, 0
	s_mov_b32 s12, exec_lo
	v_dual_mov_b32 v87, 0 :: v_dual_and_b32 v0, 0xff, v13
	s_delay_alu instid0(VALU_DEP_1)
	v_cmpx_ne_u16_e32 0, v0
	s_cbranch_execz .LBB316_579
; %bb.572:                              ;   in Loop: Header=BB316_488 Depth=1
	v_bfrev_b32_e32 v86, 1
	s_mov_b32 s13, exec_lo
	v_cmpx_ne_u16_e32 0x80, v0
	s_cbranch_execz .LBB316_578
; %bb.573:                              ;   in Loop: Header=BB316_488 Depth=1
	v_bfe_u32 v96, v11, 16, 7
	v_mov_b32_e32 v86, 0x7fc02000
	s_mov_b32 s15, exec_lo
	s_delay_alu instid0(VALU_DEP_2)
	v_cmpx_ne_u32_e32 0x7f, v96
	s_cbranch_execz .LBB316_577
; %bb.574:                              ;   in Loop: Header=BB316_488 Depth=1
	v_and_b32_e32 v0, 7, v13
	v_lshrrev_b32_e32 v14, 3, v96
	s_mov_b32 s16, exec_lo
	v_cmpx_gt_u32_e32 8, v96
; %bb.575:                              ;   in Loop: Header=BB316_488 Depth=1
	s_delay_alu instid0(VALU_DEP_3) | instskip(NEXT) | instid1(VALU_DEP_1)
	v_clz_i32_u32_e32 v14, v0
	v_min_u32_e32 v14, 32, v14
	s_delay_alu instid0(VALU_DEP_1) | instskip(SKIP_1) | instid1(VALU_DEP_2)
	v_subrev_nc_u32_e32 v86, 28, v14
	v_sub_nc_u32_e32 v14, 29, v14
	v_lshlrev_b64 v[96:97], v86, v[0:1]
	s_delay_alu instid0(VALU_DEP_1)
	v_and_b32_e32 v0, 7, v96
; %bb.576:                              ;   in Loop: Header=BB316_488 Depth=1
	s_or_b32 exec_lo, exec_lo, s16
	v_lshlrev_b32_e32 v13, 8, v13
	v_lshl_add_u32 v14, v14, 10, 0x2000
	s_delay_alu instid0(VALU_DEP_1) | instskip(NEXT) | instid1(VALU_DEP_1)
	v_and_or_b32 v13, 0x8000, v13, v14
	v_lshl_or_b32 v0, v0, 7, v13
	s_delay_alu instid0(VALU_DEP_1)
	v_cvt_f32_f16_e32 v86, v0
.LBB316_577:                            ;   in Loop: Header=BB316_488 Depth=1
	s_or_b32 exec_lo, exec_lo, s15
.LBB316_578:                            ;   in Loop: Header=BB316_488 Depth=1
	s_delay_alu instid0(SALU_CYCLE_1)
	s_or_b32 exec_lo, exec_lo, s13
.LBB316_579:                            ;   in Loop: Header=BB316_488 Depth=1
	s_delay_alu instid0(SALU_CYCLE_1) | instskip(NEXT) | instid1(SALU_CYCLE_1)
	s_or_b32 exec_lo, exec_lo, s12
	s_mov_b32 s12, exec_lo
	v_cmpx_lt_u32_e32 0xffffff, v11
	s_cbranch_execz .LBB316_587
; %bb.580:                              ;   in Loop: Header=BB316_488 Depth=1
	v_lshrrev_b32_e32 v13, 24, v11
	v_bfrev_b32_e32 v87, 1
	s_mov_b32 s13, exec_lo
	s_delay_alu instid0(VALU_DEP_2)
	v_cmpx_ne_u32_e32 0x80, v13
	s_cbranch_execz .LBB316_586
; %bb.581:                              ;   in Loop: Header=BB316_488 Depth=1
	v_and_b32_e32 v96, 0x7f, v13
	v_mov_b32_e32 v87, 0x7fc02000
	s_mov_b32 s15, exec_lo
	s_delay_alu instid0(VALU_DEP_2)
	v_cmpx_ne_u32_e32 0x7f, v96
	s_cbranch_execz .LBB316_585
; %bb.582:                              ;   in Loop: Header=BB316_488 Depth=1
	v_and_b32_e32 v0, 7, v13
	v_lshrrev_b32_e32 v14, 3, v96
	s_mov_b32 s16, exec_lo
	v_cmpx_gt_u32_e32 8, v96
; %bb.583:                              ;   in Loop: Header=BB316_488 Depth=1
	s_delay_alu instid0(VALU_DEP_3) | instskip(NEXT) | instid1(VALU_DEP_1)
	v_clz_i32_u32_e32 v14, v0
	v_min_u32_e32 v14, 32, v14
	s_delay_alu instid0(VALU_DEP_1) | instskip(SKIP_1) | instid1(VALU_DEP_2)
	v_subrev_nc_u32_e32 v87, 28, v14
	v_sub_nc_u32_e32 v14, 29, v14
	v_lshlrev_b64 v[96:97], v87, v[0:1]
	s_delay_alu instid0(VALU_DEP_1)
	v_and_b32_e32 v0, 7, v96
; %bb.584:                              ;   in Loop: Header=BB316_488 Depth=1
	s_or_b32 exec_lo, exec_lo, s16
	v_lshlrev_b32_e32 v13, 8, v13
	v_lshl_add_u32 v14, v14, 10, 0x2000
	s_delay_alu instid0(VALU_DEP_1) | instskip(NEXT) | instid1(VALU_DEP_1)
	v_and_or_b32 v13, 0x8000, v13, v14
	v_lshl_or_b32 v0, v0, 7, v13
	s_delay_alu instid0(VALU_DEP_1)
	v_cvt_f32_f16_e32 v87, v0
.LBB316_585:                            ;   in Loop: Header=BB316_488 Depth=1
	s_or_b32 exec_lo, exec_lo, s15
.LBB316_586:                            ;   in Loop: Header=BB316_488 Depth=1
	s_delay_alu instid0(SALU_CYCLE_1)
	s_or_b32 exec_lo, exec_lo, s13
.LBB316_587:                            ;   in Loop: Header=BB316_488 Depth=1
	s_delay_alu instid0(SALU_CYCLE_1) | instskip(SKIP_4) | instid1(VALU_DEP_3)
	s_or_b32 exec_lo, exec_lo, s12
	v_dual_mov_b32 v13, 0 :: v_dual_and_b32 v14, 0xff, v12
	v_mov_b32_e32 v0, v12
	v_mov_b32_e32 v96, 0
	s_mov_b32 s12, exec_lo
	v_cmpx_ne_u16_e32 0, v14
	s_cbranch_execz .LBB316_595
; %bb.588:                              ;   in Loop: Header=BB316_488 Depth=1
	v_bfrev_b32_e32 v13, 1
	s_mov_b32 s13, exec_lo
	v_cmpx_ne_u16_e32 0x80, v14
	s_cbranch_execz .LBB316_594
; %bb.589:                              ;   in Loop: Header=BB316_488 Depth=1
	v_and_b32_e32 v14, 0x7f, v12
	v_mov_b32_e32 v13, 0x7fc02000
	s_mov_b32 s15, exec_lo
	s_delay_alu instid0(VALU_DEP_2)
	v_cmpx_ne_u32_e32 0x7f, v14
	s_cbranch_execz .LBB316_593
; %bb.590:                              ;   in Loop: Header=BB316_488 Depth=1
	v_lshrrev_b32_e32 v97, 3, v14
	v_cmp_gt_u32_e64 s0, 8, v14
	v_dual_mov_b32 v14, v1 :: v_dual_mov_b32 v13, v0
	s_delay_alu instid0(VALU_DEP_2)
	s_and_saveexec_b32 s16, s0
; %bb.591:                              ;   in Loop: Header=BB316_488 Depth=1
	v_and_b32_e32 v13, 7, v12
	s_delay_alu instid0(VALU_DEP_1) | instskip(NEXT) | instid1(VALU_DEP_1)
	v_clz_i32_u32_e32 v13, v13
	v_min_u32_e32 v97, 32, v13
	s_delay_alu instid0(VALU_DEP_1) | instskip(SKIP_1) | instid1(VALU_DEP_2)
	v_subrev_nc_u32_e32 v13, 28, v97
	v_sub_nc_u32_e32 v97, 29, v97
	v_lshlrev_b64 v[13:14], v13, v[0:1]
; %bb.592:                              ;   in Loop: Header=BB316_488 Depth=1
	s_or_b32 exec_lo, exec_lo, s16
	v_lshlrev_b32_e32 v14, 8, v12
	s_delay_alu instid0(VALU_DEP_3) | instskip(NEXT) | instid1(VALU_DEP_3)
	v_lshl_add_u32 v97, v97, 10, 0x2000
	v_lshlrev_b32_e32 v13, 7, v13
	s_delay_alu instid0(VALU_DEP_2) | instskip(NEXT) | instid1(VALU_DEP_1)
	v_and_or_b32 v14, 0x8000, v14, v97
	v_and_or_b32 v13, 0x380, v13, v14
	s_delay_alu instid0(VALU_DEP_1)
	v_cvt_f32_f16_e32 v13, v13
.LBB316_593:                            ;   in Loop: Header=BB316_488 Depth=1
	s_or_b32 exec_lo, exec_lo, s15
.LBB316_594:                            ;   in Loop: Header=BB316_488 Depth=1
	s_delay_alu instid0(SALU_CYCLE_1)
	s_or_b32 exec_lo, exec_lo, s13
.LBB316_595:                            ;   in Loop: Header=BB316_488 Depth=1
	s_delay_alu instid0(SALU_CYCLE_1) | instskip(SKIP_2) | instid1(VALU_DEP_1)
	s_or_b32 exec_lo, exec_lo, s12
	v_lshrrev_b16 v0, 8, v0
	s_mov_b32 s12, exec_lo
	v_cmpx_ne_u16_e32 0, v0
	s_cbranch_execz .LBB316_603
; %bb.596:                              ;   in Loop: Header=BB316_488 Depth=1
	v_bfrev_b32_e32 v96, 1
	s_mov_b32 s13, exec_lo
	v_cmpx_ne_u16_e32 0x80, v0
	s_cbranch_execz .LBB316_602
; %bb.597:                              ;   in Loop: Header=BB316_488 Depth=1
	v_and_b32_e32 v14, 0xffff, v0
	v_mov_b32_e32 v96, 0x7fc02000
	s_mov_b32 s15, exec_lo
	s_delay_alu instid0(VALU_DEP_2) | instskip(NEXT) | instid1(VALU_DEP_1)
	v_and_b32_e32 v97, 0x7f, v14
	v_cmpx_ne_u32_e32 0x7f, v97
	s_cbranch_execz .LBB316_601
; %bb.598:                              ;   in Loop: Header=BB316_488 Depth=1
	v_and_b32_e32 v0, 7, v14
	v_lshrrev_b32_e32 v96, 3, v97
	s_mov_b32 s16, exec_lo
	v_cmpx_gt_u32_e32 8, v97
; %bb.599:                              ;   in Loop: Header=BB316_488 Depth=1
	s_delay_alu instid0(VALU_DEP_3) | instskip(NEXT) | instid1(VALU_DEP_1)
	v_clz_i32_u32_e32 v96, v0
	v_min_u32_e32 v96, 32, v96
	s_delay_alu instid0(VALU_DEP_1) | instskip(SKIP_1) | instid1(VALU_DEP_2)
	v_subrev_nc_u32_e32 v97, 28, v96
	v_sub_nc_u32_e32 v96, 29, v96
	v_lshlrev_b64 v[97:98], v97, v[0:1]
	s_delay_alu instid0(VALU_DEP_1)
	v_and_b32_e32 v0, 7, v97
; %bb.600:                              ;   in Loop: Header=BB316_488 Depth=1
	s_or_b32 exec_lo, exec_lo, s16
	v_lshlrev_b32_e32 v14, 8, v14
	v_lshl_add_u32 v96, v96, 10, 0x2000
	s_delay_alu instid0(VALU_DEP_1) | instskip(NEXT) | instid1(VALU_DEP_1)
	v_and_or_b32 v14, 0x8000, v14, v96
	v_lshl_or_b32 v0, v0, 7, v14
	s_delay_alu instid0(VALU_DEP_1)
	v_cvt_f32_f16_e32 v96, v0
.LBB316_601:                            ;   in Loop: Header=BB316_488 Depth=1
	s_or_b32 exec_lo, exec_lo, s15
.LBB316_602:                            ;   in Loop: Header=BB316_488 Depth=1
	s_delay_alu instid0(SALU_CYCLE_1)
	s_or_b32 exec_lo, exec_lo, s13
.LBB316_603:                            ;   in Loop: Header=BB316_488 Depth=1
	s_delay_alu instid0(SALU_CYCLE_1) | instskip(SKIP_3) | instid1(VALU_DEP_2)
	s_or_b32 exec_lo, exec_lo, s12
	v_lshrrev_b32_e32 v98, 16, v12
	v_mov_b32_e32 v14, 0
	s_mov_b32 s12, exec_lo
	v_dual_mov_b32 v97, 0 :: v_dual_and_b32 v0, 0xff, v98
	s_delay_alu instid0(VALU_DEP_1)
	v_cmpx_ne_u16_e32 0, v0
	s_cbranch_execz .LBB316_611
; %bb.604:                              ;   in Loop: Header=BB316_488 Depth=1
	v_bfrev_b32_e32 v14, 1
	s_mov_b32 s13, exec_lo
	v_cmpx_ne_u16_e32 0x80, v0
	s_cbranch_execz .LBB316_610
; %bb.605:                              ;   in Loop: Header=BB316_488 Depth=1
	v_bfe_u32 v99, v12, 16, 7
	v_mov_b32_e32 v14, 0x7fc02000
	s_mov_b32 s15, exec_lo
	s_delay_alu instid0(VALU_DEP_2)
	v_cmpx_ne_u32_e32 0x7f, v99
	s_cbranch_execz .LBB316_609
; %bb.606:                              ;   in Loop: Header=BB316_488 Depth=1
	v_and_b32_e32 v0, 7, v98
	v_lshrrev_b32_e32 v14, 3, v99
	s_mov_b32 s16, exec_lo
	v_cmpx_gt_u32_e32 8, v99
; %bb.607:                              ;   in Loop: Header=BB316_488 Depth=1
	s_delay_alu instid0(VALU_DEP_3) | instskip(NEXT) | instid1(VALU_DEP_1)
	v_clz_i32_u32_e32 v14, v0
	v_min_u32_e32 v14, 32, v14
	s_delay_alu instid0(VALU_DEP_1) | instskip(SKIP_1) | instid1(VALU_DEP_2)
	v_subrev_nc_u32_e32 v99, 28, v14
	v_sub_nc_u32_e32 v14, 29, v14
	v_lshlrev_b64 v[99:100], v99, v[0:1]
	s_delay_alu instid0(VALU_DEP_1)
	v_and_b32_e32 v0, 7, v99
; %bb.608:                              ;   in Loop: Header=BB316_488 Depth=1
	s_or_b32 exec_lo, exec_lo, s16
	v_lshlrev_b32_e32 v98, 8, v98
	v_lshl_add_u32 v14, v14, 10, 0x2000
	s_delay_alu instid0(VALU_DEP_1) | instskip(NEXT) | instid1(VALU_DEP_1)
	v_and_or_b32 v14, 0x8000, v98, v14
	v_lshl_or_b32 v0, v0, 7, v14
	s_delay_alu instid0(VALU_DEP_1)
	v_cvt_f32_f16_e32 v14, v0
.LBB316_609:                            ;   in Loop: Header=BB316_488 Depth=1
	s_or_b32 exec_lo, exec_lo, s15
.LBB316_610:                            ;   in Loop: Header=BB316_488 Depth=1
	s_delay_alu instid0(SALU_CYCLE_1)
	s_or_b32 exec_lo, exec_lo, s13
.LBB316_611:                            ;   in Loop: Header=BB316_488 Depth=1
	s_delay_alu instid0(SALU_CYCLE_1) | instskip(NEXT) | instid1(SALU_CYCLE_1)
	s_or_b32 exec_lo, exec_lo, s12
	s_mov_b32 s12, exec_lo
	v_cmpx_lt_u64_e64 s[8:9], v[11:12]
	s_cbranch_execz .LBB316_619
; %bb.612:                              ;   in Loop: Header=BB316_488 Depth=1
	v_lshrrev_b32_e32 v11, 24, v12
	v_bfrev_b32_e32 v97, 1
	s_mov_b32 s13, exec_lo
	s_delay_alu instid0(VALU_DEP_2)
	v_cmpx_ne_u32_e32 0x80, v11
	s_cbranch_execz .LBB316_618
; %bb.613:                              ;   in Loop: Header=BB316_488 Depth=1
	v_and_b32_e32 v98, 0x7f, v11
	v_mov_b32_e32 v97, 0x7fc02000
	s_mov_b32 s15, exec_lo
	s_delay_alu instid0(VALU_DEP_2)
	v_cmpx_ne_u32_e32 0x7f, v98
	s_cbranch_execz .LBB316_617
; %bb.614:                              ;   in Loop: Header=BB316_488 Depth=1
	v_and_b32_e32 v0, 7, v11
	v_lshrrev_b32_e32 v12, 3, v98
	s_mov_b32 s16, exec_lo
	v_cmpx_gt_u32_e32 8, v98
; %bb.615:                              ;   in Loop: Header=BB316_488 Depth=1
	s_delay_alu instid0(VALU_DEP_3) | instskip(NEXT) | instid1(VALU_DEP_1)
	v_clz_i32_u32_e32 v12, v0
	v_min_u32_e32 v12, 32, v12
	s_delay_alu instid0(VALU_DEP_1) | instskip(SKIP_1) | instid1(VALU_DEP_2)
	v_subrev_nc_u32_e32 v97, 28, v12
	v_sub_nc_u32_e32 v12, 29, v12
	v_lshlrev_b64 v[97:98], v97, v[0:1]
	s_delay_alu instid0(VALU_DEP_1)
	v_and_b32_e32 v0, 7, v97
; %bb.616:                              ;   in Loop: Header=BB316_488 Depth=1
	s_or_b32 exec_lo, exec_lo, s16
	v_lshlrev_b32_e32 v11, 8, v11
	v_lshl_add_u32 v12, v12, 10, 0x2000
	s_delay_alu instid0(VALU_DEP_1) | instskip(NEXT) | instid1(VALU_DEP_1)
	v_and_or_b32 v11, 0x8000, v11, v12
	v_lshl_or_b32 v0, v0, 7, v11
	s_delay_alu instid0(VALU_DEP_1)
	v_cvt_f32_f16_e32 v97, v0
.LBB316_617:                            ;   in Loop: Header=BB316_488 Depth=1
	s_or_b32 exec_lo, exec_lo, s15
.LBB316_618:                            ;   in Loop: Header=BB316_488 Depth=1
	s_delay_alu instid0(SALU_CYCLE_1)
	s_or_b32 exec_lo, exec_lo, s13
.LBB316_619:                            ;   in Loop: Header=BB316_488 Depth=1
	s_delay_alu instid0(SALU_CYCLE_1)
	s_or_b32 exec_lo, exec_lo, s12
	s_waitcnt vmcnt(0) lgkmcnt(0)
	v_fma_mixlo_f16 v12, v83, v85, 0
	v_fma_mixlo_f16 v0, v83, v87, 0
	;; [unrolled: 1-line block ×5, first 2 shown]
	v_lshlrev_b32_e32 v85, 16, v12
	v_fma_mixlo_f16 v13, v83, v13, 0
	v_fma_mixlo_f16 v87, v83, v97, 0
	;; [unrolled: 1-line block ×3, first 2 shown]
	v_lshlrev_b32_e32 v0, 16, v0
	v_and_b32_e32 v11, 0xffff, v11
	v_and_b32_e32 v14, 0xffff, v84
	v_lshlrev_b32_e32 v83, 16, v86
	v_and_b32_e32 v84, 0xffff, v13
	v_lshlrev_b32_e32 v86, 16, v87
	v_and_b32_e32 v87, 0xffff, v12
	v_or_b32_e32 v13, v0, v11
	v_or_b32_e32 v14, v85, v14
	;; [unrolled: 1-line block ×3, first 2 shown]
	s_delay_alu instid0(VALU_DEP_4)
	v_or_b32_e32 v11, v86, v87
	s_and_saveexec_b32 s12, vcc_lo
	s_cbranch_execz .LBB316_621
; %bb.620:                              ;   in Loop: Header=BB316_488 Depth=1
	v_cmp_lt_i32_e64 s0, v18, v35
	v_lshrrev_b32_e32 v83, 16, v14
	v_lshrrev_b32_e32 v84, 16, v13
	;; [unrolled: 1-line block ×4, first 2 shown]
	v_cndmask_b32_e64 v14, 0, v14, s0
	v_cmp_lt_i32_e64 s0, v68, v51
	s_delay_alu instid0(VALU_DEP_1) | instskip(SKIP_1) | instid1(VALU_DEP_2)
	v_cndmask_b32_e64 v83, 0, v83, s0
	v_cmp_lt_i32_e64 s0, v67, v51
	v_perm_b32 v14, v83, v14, 0x5040100
	s_delay_alu instid0(VALU_DEP_2) | instskip(SKIP_1) | instid1(VALU_DEP_1)
	v_cndmask_b32_e64 v84, 0, v84, s0
	v_cmp_lt_i32_e64 s0, v66, v35
	v_cndmask_b32_e64 v13, 0, v13, s0
	v_cmp_lt_i32_e64 s0, v65, v51
	s_delay_alu instid0(VALU_DEP_2) | instskip(NEXT) | instid1(VALU_DEP_2)
	v_perm_b32 v13, v84, v13, 0x5040100
	v_cndmask_b32_e64 v85, 0, v85, s0
	v_cmp_lt_i32_e64 s0, v64, v35
	s_delay_alu instid0(VALU_DEP_1) | instskip(SKIP_1) | instid1(VALU_DEP_2)
	v_cndmask_b32_e64 v0, 0, v0, s0
	v_cmp_lt_i32_e64 s0, v54, v51
	v_perm_b32 v0, v85, v0, 0x5040100
	s_delay_alu instid0(VALU_DEP_2) | instskip(SKIP_1) | instid1(VALU_DEP_1)
	v_cndmask_b32_e64 v11, 0, v11, s0
	v_cmp_lt_i32_e64 s0, v19, v35
	v_cndmask_b32_e64 v12, 0, v12, s0
	s_delay_alu instid0(VALU_DEP_1)
	v_perm_b32 v11, v11, v12, 0x5040100
.LBB316_621:                            ;   in Loop: Header=BB316_488 Depth=1
	s_or_b32 exec_lo, exec_lo, s12
	;;#ASMSTART
	v_pk_mul_f16 v12, v82, v14;

	;;#ASMEND
	;;#ASMSTART
	v_pk_mul_f16 v13, v81, v13;

	;;#ASMEND
	;; [unrolled: 4-line block ×4, first 2 shown]
	;;#ASMSTART
	v_pk_add_f16 v12, v12, v13;

	;;#ASMEND
	;;#ASMSTART
	v_pk_add_f16 v0, v12, v0;

	;;#ASMEND
	;;#ASMSTART
	v_pk_add_f16 v0, v0, v11;

	;;#ASMEND
	v_dual_mov_b32 v86, 0 :: v_dual_and_b32 v11, 0xffff, v0
	v_lshrrev_b32_e32 v0, 16, v0
	;;#ASMSTART
	v_cvt_f32_f16 v83, v11;
	;;#ASMEND
	;;#ASMSTART
	v_cvt_f32_f16 v84, v0;
	;;#ASMEND
	flat_load_b64 v[11:12], v[9:10] offset:512
	flat_load_b32 v85, v[26:27]
	s_mov_b32 s12, exec_lo
	s_waitcnt vmcnt(1) lgkmcnt(1)
	v_dual_mov_b32 v87, 0 :: v_dual_and_b32 v0, 0xff, v11
	s_delay_alu instid0(VALU_DEP_1)
	v_cmpx_ne_u16_e32 0, v0
	s_cbranch_execz .LBB316_629
; %bb.622:                              ;   in Loop: Header=BB316_488 Depth=1
	v_bfrev_b32_e32 v86, 1
	s_mov_b32 s13, exec_lo
	v_cmpx_ne_u16_e32 0x80, v0
	s_cbranch_execz .LBB316_628
; %bb.623:                              ;   in Loop: Header=BB316_488 Depth=1
	v_and_b32_e32 v13, 0x7f, v11
	v_mov_b32_e32 v86, 0x7fc02000
	s_mov_b32 s15, exec_lo
	s_delay_alu instid0(VALU_DEP_2)
	v_cmpx_ne_u32_e32 0x7f, v13
	s_cbranch_execz .LBB316_627
; %bb.624:                              ;   in Loop: Header=BB316_488 Depth=1
	v_lshrrev_b32_e32 v0, 3, v13
	v_cmp_gt_u32_e64 s0, 8, v13
	v_dual_mov_b32 v14, v12 :: v_dual_mov_b32 v13, v11
	s_delay_alu instid0(VALU_DEP_2)
	s_and_saveexec_b32 s16, s0
; %bb.625:                              ;   in Loop: Header=BB316_488 Depth=1
	v_and_b32_e32 v0, 7, v11
	s_delay_alu instid0(VALU_DEP_1) | instskip(NEXT) | instid1(VALU_DEP_1)
	v_clz_i32_u32_e32 v0, v0
	v_min_u32_e32 v0, 32, v0
	s_delay_alu instid0(VALU_DEP_1) | instskip(SKIP_1) | instid1(VALU_DEP_2)
	v_subrev_nc_u32_e32 v13, 28, v0
	v_sub_nc_u32_e32 v0, 29, v0
	v_lshlrev_b64 v[13:14], v13, v[11:12]
; %bb.626:                              ;   in Loop: Header=BB316_488 Depth=1
	s_or_b32 exec_lo, exec_lo, s16
	v_lshlrev_b32_e32 v14, 8, v11
	s_delay_alu instid0(VALU_DEP_3) | instskip(NEXT) | instid1(VALU_DEP_3)
	v_lshl_add_u32 v0, v0, 10, 0x2000
	v_lshlrev_b32_e32 v13, 7, v13
	s_delay_alu instid0(VALU_DEP_2) | instskip(NEXT) | instid1(VALU_DEP_1)
	v_and_or_b32 v0, 0x8000, v14, v0
	v_and_or_b32 v0, 0x380, v13, v0
	s_delay_alu instid0(VALU_DEP_1)
	v_cvt_f32_f16_e32 v86, v0
.LBB316_627:                            ;   in Loop: Header=BB316_488 Depth=1
	s_or_b32 exec_lo, exec_lo, s15
.LBB316_628:                            ;   in Loop: Header=BB316_488 Depth=1
	s_delay_alu instid0(SALU_CYCLE_1)
	s_or_b32 exec_lo, exec_lo, s13
.LBB316_629:                            ;   in Loop: Header=BB316_488 Depth=1
	s_delay_alu instid0(SALU_CYCLE_1) | instskip(SKIP_2) | instid1(VALU_DEP_1)
	s_or_b32 exec_lo, exec_lo, s12
	v_lshrrev_b16 v0, 8, v11
	s_mov_b32 s12, exec_lo
	v_cmpx_ne_u16_e32 0, v0
	s_cbranch_execz .LBB316_637
; %bb.630:                              ;   in Loop: Header=BB316_488 Depth=1
	v_bfrev_b32_e32 v87, 1
	s_mov_b32 s13, exec_lo
	v_cmpx_ne_u16_e32 0x80, v0
	s_cbranch_execz .LBB316_636
; %bb.631:                              ;   in Loop: Header=BB316_488 Depth=1
	v_and_b32_e32 v13, 0xffff, v0
	v_mov_b32_e32 v87, 0x7fc02000
	s_mov_b32 s15, exec_lo
	s_delay_alu instid0(VALU_DEP_2) | instskip(NEXT) | instid1(VALU_DEP_1)
	v_and_b32_e32 v96, 0x7f, v13
	v_cmpx_ne_u32_e32 0x7f, v96
	s_cbranch_execz .LBB316_635
; %bb.632:                              ;   in Loop: Header=BB316_488 Depth=1
	v_and_b32_e32 v0, 7, v13
	v_lshrrev_b32_e32 v14, 3, v96
	s_mov_b32 s16, exec_lo
	v_cmpx_gt_u32_e32 8, v96
; %bb.633:                              ;   in Loop: Header=BB316_488 Depth=1
	s_delay_alu instid0(VALU_DEP_3) | instskip(NEXT) | instid1(VALU_DEP_1)
	v_clz_i32_u32_e32 v14, v0
	v_min_u32_e32 v14, 32, v14
	s_delay_alu instid0(VALU_DEP_1) | instskip(SKIP_1) | instid1(VALU_DEP_2)
	v_subrev_nc_u32_e32 v87, 28, v14
	v_sub_nc_u32_e32 v14, 29, v14
	v_lshlrev_b64 v[96:97], v87, v[0:1]
	s_delay_alu instid0(VALU_DEP_1)
	v_and_b32_e32 v0, 7, v96
; %bb.634:                              ;   in Loop: Header=BB316_488 Depth=1
	s_or_b32 exec_lo, exec_lo, s16
	v_lshlrev_b32_e32 v13, 8, v13
	v_lshl_add_u32 v14, v14, 10, 0x2000
	s_delay_alu instid0(VALU_DEP_1) | instskip(NEXT) | instid1(VALU_DEP_1)
	v_and_or_b32 v13, 0x8000, v13, v14
	v_lshl_or_b32 v0, v0, 7, v13
	s_delay_alu instid0(VALU_DEP_1)
	v_cvt_f32_f16_e32 v87, v0
.LBB316_635:                            ;   in Loop: Header=BB316_488 Depth=1
	s_or_b32 exec_lo, exec_lo, s15
.LBB316_636:                            ;   in Loop: Header=BB316_488 Depth=1
	s_delay_alu instid0(SALU_CYCLE_1)
	s_or_b32 exec_lo, exec_lo, s13
.LBB316_637:                            ;   in Loop: Header=BB316_488 Depth=1
	s_delay_alu instid0(SALU_CYCLE_1) | instskip(SKIP_3) | instid1(VALU_DEP_2)
	s_or_b32 exec_lo, exec_lo, s12
	v_lshrrev_b32_e32 v13, 16, v11
	v_mov_b32_e32 v96, 0
	s_mov_b32 s12, exec_lo
	v_dual_mov_b32 v97, 0 :: v_dual_and_b32 v0, 0xff, v13
	s_delay_alu instid0(VALU_DEP_1)
	v_cmpx_ne_u16_e32 0, v0
	s_cbranch_execz .LBB316_645
; %bb.638:                              ;   in Loop: Header=BB316_488 Depth=1
	v_bfrev_b32_e32 v96, 1
	s_mov_b32 s13, exec_lo
	v_cmpx_ne_u16_e32 0x80, v0
	s_cbranch_execz .LBB316_644
; %bb.639:                              ;   in Loop: Header=BB316_488 Depth=1
	v_bfe_u32 v98, v11, 16, 7
	v_mov_b32_e32 v96, 0x7fc02000
	s_mov_b32 s15, exec_lo
	s_delay_alu instid0(VALU_DEP_2)
	v_cmpx_ne_u32_e32 0x7f, v98
	s_cbranch_execz .LBB316_643
; %bb.640:                              ;   in Loop: Header=BB316_488 Depth=1
	v_and_b32_e32 v0, 7, v13
	v_lshrrev_b32_e32 v14, 3, v98
	s_mov_b32 s16, exec_lo
	v_cmpx_gt_u32_e32 8, v98
; %bb.641:                              ;   in Loop: Header=BB316_488 Depth=1
	s_delay_alu instid0(VALU_DEP_3) | instskip(NEXT) | instid1(VALU_DEP_1)
	v_clz_i32_u32_e32 v14, v0
	v_min_u32_e32 v14, 32, v14
	s_delay_alu instid0(VALU_DEP_1) | instskip(SKIP_1) | instid1(VALU_DEP_2)
	v_subrev_nc_u32_e32 v96, 28, v14
	v_sub_nc_u32_e32 v14, 29, v14
	v_lshlrev_b64 v[98:99], v96, v[0:1]
	s_delay_alu instid0(VALU_DEP_1)
	v_and_b32_e32 v0, 7, v98
; %bb.642:                              ;   in Loop: Header=BB316_488 Depth=1
	s_or_b32 exec_lo, exec_lo, s16
	v_lshlrev_b32_e32 v13, 8, v13
	v_lshl_add_u32 v14, v14, 10, 0x2000
	s_delay_alu instid0(VALU_DEP_1) | instskip(NEXT) | instid1(VALU_DEP_1)
	v_and_or_b32 v13, 0x8000, v13, v14
	v_lshl_or_b32 v0, v0, 7, v13
	s_delay_alu instid0(VALU_DEP_1)
	v_cvt_f32_f16_e32 v96, v0
.LBB316_643:                            ;   in Loop: Header=BB316_488 Depth=1
	s_or_b32 exec_lo, exec_lo, s15
.LBB316_644:                            ;   in Loop: Header=BB316_488 Depth=1
	s_delay_alu instid0(SALU_CYCLE_1)
	s_or_b32 exec_lo, exec_lo, s13
.LBB316_645:                            ;   in Loop: Header=BB316_488 Depth=1
	s_delay_alu instid0(SALU_CYCLE_1) | instskip(NEXT) | instid1(SALU_CYCLE_1)
	s_or_b32 exec_lo, exec_lo, s12
	s_mov_b32 s12, exec_lo
	v_cmpx_lt_u32_e32 0xffffff, v11
	s_cbranch_execz .LBB316_653
; %bb.646:                              ;   in Loop: Header=BB316_488 Depth=1
	v_lshrrev_b32_e32 v13, 24, v11
	v_bfrev_b32_e32 v97, 1
	s_mov_b32 s13, exec_lo
	s_delay_alu instid0(VALU_DEP_2)
	v_cmpx_ne_u32_e32 0x80, v13
	s_cbranch_execz .LBB316_652
; %bb.647:                              ;   in Loop: Header=BB316_488 Depth=1
	v_and_b32_e32 v98, 0x7f, v13
	v_mov_b32_e32 v97, 0x7fc02000
	s_mov_b32 s15, exec_lo
	s_delay_alu instid0(VALU_DEP_2)
	v_cmpx_ne_u32_e32 0x7f, v98
	s_cbranch_execz .LBB316_651
; %bb.648:                              ;   in Loop: Header=BB316_488 Depth=1
	v_and_b32_e32 v0, 7, v13
	v_lshrrev_b32_e32 v14, 3, v98
	s_mov_b32 s16, exec_lo
	v_cmpx_gt_u32_e32 8, v98
; %bb.649:                              ;   in Loop: Header=BB316_488 Depth=1
	s_delay_alu instid0(VALU_DEP_3) | instskip(NEXT) | instid1(VALU_DEP_1)
	v_clz_i32_u32_e32 v14, v0
	v_min_u32_e32 v14, 32, v14
	s_delay_alu instid0(VALU_DEP_1) | instskip(SKIP_1) | instid1(VALU_DEP_2)
	v_subrev_nc_u32_e32 v97, 28, v14
	v_sub_nc_u32_e32 v14, 29, v14
	v_lshlrev_b64 v[97:98], v97, v[0:1]
	s_delay_alu instid0(VALU_DEP_1)
	v_and_b32_e32 v0, 7, v97
; %bb.650:                              ;   in Loop: Header=BB316_488 Depth=1
	s_or_b32 exec_lo, exec_lo, s16
	v_lshlrev_b32_e32 v13, 8, v13
	v_lshl_add_u32 v14, v14, 10, 0x2000
	s_delay_alu instid0(VALU_DEP_1) | instskip(NEXT) | instid1(VALU_DEP_1)
	v_and_or_b32 v13, 0x8000, v13, v14
	v_lshl_or_b32 v0, v0, 7, v13
	s_delay_alu instid0(VALU_DEP_1)
	v_cvt_f32_f16_e32 v97, v0
.LBB316_651:                            ;   in Loop: Header=BB316_488 Depth=1
	s_or_b32 exec_lo, exec_lo, s15
.LBB316_652:                            ;   in Loop: Header=BB316_488 Depth=1
	s_delay_alu instid0(SALU_CYCLE_1)
	s_or_b32 exec_lo, exec_lo, s13
.LBB316_653:                            ;   in Loop: Header=BB316_488 Depth=1
	s_delay_alu instid0(SALU_CYCLE_1) | instskip(SKIP_4) | instid1(VALU_DEP_3)
	s_or_b32 exec_lo, exec_lo, s12
	v_dual_mov_b32 v13, 0 :: v_dual_and_b32 v14, 0xff, v12
	v_mov_b32_e32 v0, v12
	v_mov_b32_e32 v98, 0
	s_mov_b32 s12, exec_lo
	v_cmpx_ne_u16_e32 0, v14
	s_cbranch_execz .LBB316_661
; %bb.654:                              ;   in Loop: Header=BB316_488 Depth=1
	v_bfrev_b32_e32 v13, 1
	s_mov_b32 s13, exec_lo
	v_cmpx_ne_u16_e32 0x80, v14
	s_cbranch_execz .LBB316_660
; %bb.655:                              ;   in Loop: Header=BB316_488 Depth=1
	v_and_b32_e32 v14, 0x7f, v12
	v_mov_b32_e32 v13, 0x7fc02000
	s_mov_b32 s15, exec_lo
	s_delay_alu instid0(VALU_DEP_2)
	v_cmpx_ne_u32_e32 0x7f, v14
	s_cbranch_execz .LBB316_659
; %bb.656:                              ;   in Loop: Header=BB316_488 Depth=1
	v_lshrrev_b32_e32 v99, 3, v14
	v_cmp_gt_u32_e64 s0, 8, v14
	v_dual_mov_b32 v14, v1 :: v_dual_mov_b32 v13, v0
	s_delay_alu instid0(VALU_DEP_2)
	s_and_saveexec_b32 s16, s0
; %bb.657:                              ;   in Loop: Header=BB316_488 Depth=1
	v_and_b32_e32 v13, 7, v12
	s_delay_alu instid0(VALU_DEP_1) | instskip(NEXT) | instid1(VALU_DEP_1)
	v_clz_i32_u32_e32 v13, v13
	v_min_u32_e32 v99, 32, v13
	s_delay_alu instid0(VALU_DEP_1) | instskip(SKIP_1) | instid1(VALU_DEP_2)
	v_subrev_nc_u32_e32 v13, 28, v99
	v_sub_nc_u32_e32 v99, 29, v99
	v_lshlrev_b64 v[13:14], v13, v[0:1]
; %bb.658:                              ;   in Loop: Header=BB316_488 Depth=1
	s_or_b32 exec_lo, exec_lo, s16
	v_lshlrev_b32_e32 v14, 8, v12
	s_delay_alu instid0(VALU_DEP_3) | instskip(NEXT) | instid1(VALU_DEP_3)
	v_lshl_add_u32 v99, v99, 10, 0x2000
	v_lshlrev_b32_e32 v13, 7, v13
	s_delay_alu instid0(VALU_DEP_2) | instskip(NEXT) | instid1(VALU_DEP_1)
	v_and_or_b32 v14, 0x8000, v14, v99
	v_and_or_b32 v13, 0x380, v13, v14
	s_delay_alu instid0(VALU_DEP_1)
	v_cvt_f32_f16_e32 v13, v13
.LBB316_659:                            ;   in Loop: Header=BB316_488 Depth=1
	s_or_b32 exec_lo, exec_lo, s15
.LBB316_660:                            ;   in Loop: Header=BB316_488 Depth=1
	s_delay_alu instid0(SALU_CYCLE_1)
	s_or_b32 exec_lo, exec_lo, s13
.LBB316_661:                            ;   in Loop: Header=BB316_488 Depth=1
	s_delay_alu instid0(SALU_CYCLE_1) | instskip(SKIP_2) | instid1(VALU_DEP_1)
	s_or_b32 exec_lo, exec_lo, s12
	v_lshrrev_b16 v0, 8, v0
	s_mov_b32 s12, exec_lo
	v_cmpx_ne_u16_e32 0, v0
	s_cbranch_execz .LBB316_669
; %bb.662:                              ;   in Loop: Header=BB316_488 Depth=1
	v_bfrev_b32_e32 v98, 1
	s_mov_b32 s13, exec_lo
	v_cmpx_ne_u16_e32 0x80, v0
	s_cbranch_execz .LBB316_668
; %bb.663:                              ;   in Loop: Header=BB316_488 Depth=1
	v_and_b32_e32 v14, 0xffff, v0
	v_mov_b32_e32 v98, 0x7fc02000
	s_mov_b32 s15, exec_lo
	s_delay_alu instid0(VALU_DEP_2) | instskip(NEXT) | instid1(VALU_DEP_1)
	v_and_b32_e32 v99, 0x7f, v14
	v_cmpx_ne_u32_e32 0x7f, v99
	s_cbranch_execz .LBB316_667
; %bb.664:                              ;   in Loop: Header=BB316_488 Depth=1
	v_and_b32_e32 v0, 7, v14
	v_lshrrev_b32_e32 v98, 3, v99
	s_mov_b32 s16, exec_lo
	v_cmpx_gt_u32_e32 8, v99
; %bb.665:                              ;   in Loop: Header=BB316_488 Depth=1
	s_delay_alu instid0(VALU_DEP_3) | instskip(NEXT) | instid1(VALU_DEP_1)
	v_clz_i32_u32_e32 v98, v0
	v_min_u32_e32 v98, 32, v98
	s_delay_alu instid0(VALU_DEP_1) | instskip(SKIP_1) | instid1(VALU_DEP_2)
	v_subrev_nc_u32_e32 v99, 28, v98
	v_sub_nc_u32_e32 v98, 29, v98
	v_lshlrev_b64 v[99:100], v99, v[0:1]
	s_delay_alu instid0(VALU_DEP_1)
	v_and_b32_e32 v0, 7, v99
; %bb.666:                              ;   in Loop: Header=BB316_488 Depth=1
	s_or_b32 exec_lo, exec_lo, s16
	v_lshlrev_b32_e32 v14, 8, v14
	v_lshl_add_u32 v98, v98, 10, 0x2000
	s_delay_alu instid0(VALU_DEP_1) | instskip(NEXT) | instid1(VALU_DEP_1)
	v_and_or_b32 v14, 0x8000, v14, v98
	v_lshl_or_b32 v0, v0, 7, v14
	s_delay_alu instid0(VALU_DEP_1)
	v_cvt_f32_f16_e32 v98, v0
.LBB316_667:                            ;   in Loop: Header=BB316_488 Depth=1
	s_or_b32 exec_lo, exec_lo, s15
.LBB316_668:                            ;   in Loop: Header=BB316_488 Depth=1
	s_delay_alu instid0(SALU_CYCLE_1)
	s_or_b32 exec_lo, exec_lo, s13
.LBB316_669:                            ;   in Loop: Header=BB316_488 Depth=1
	s_delay_alu instid0(SALU_CYCLE_1) | instskip(SKIP_3) | instid1(VALU_DEP_2)
	s_or_b32 exec_lo, exec_lo, s12
	v_lshrrev_b32_e32 v100, 16, v12
	v_mov_b32_e32 v14, 0
	s_mov_b32 s12, exec_lo
	v_dual_mov_b32 v99, 0 :: v_dual_and_b32 v0, 0xff, v100
	s_delay_alu instid0(VALU_DEP_1)
	v_cmpx_ne_u16_e32 0, v0
	s_cbranch_execz .LBB316_677
; %bb.670:                              ;   in Loop: Header=BB316_488 Depth=1
	v_bfrev_b32_e32 v14, 1
	s_mov_b32 s13, exec_lo
	v_cmpx_ne_u16_e32 0x80, v0
	s_cbranch_execz .LBB316_676
; %bb.671:                              ;   in Loop: Header=BB316_488 Depth=1
	v_bfe_u32 v101, v12, 16, 7
	v_mov_b32_e32 v14, 0x7fc02000
	s_mov_b32 s15, exec_lo
	s_delay_alu instid0(VALU_DEP_2)
	v_cmpx_ne_u32_e32 0x7f, v101
	s_cbranch_execz .LBB316_675
; %bb.672:                              ;   in Loop: Header=BB316_488 Depth=1
	v_and_b32_e32 v0, 7, v100
	v_lshrrev_b32_e32 v14, 3, v101
	s_mov_b32 s16, exec_lo
	v_cmpx_gt_u32_e32 8, v101
; %bb.673:                              ;   in Loop: Header=BB316_488 Depth=1
	s_delay_alu instid0(VALU_DEP_3) | instskip(NEXT) | instid1(VALU_DEP_1)
	v_clz_i32_u32_e32 v14, v0
	v_min_u32_e32 v14, 32, v14
	s_delay_alu instid0(VALU_DEP_1) | instskip(SKIP_1) | instid1(VALU_DEP_2)
	v_subrev_nc_u32_e32 v101, 28, v14
	v_sub_nc_u32_e32 v14, 29, v14
	v_lshlrev_b64 v[101:102], v101, v[0:1]
	s_delay_alu instid0(VALU_DEP_1)
	v_and_b32_e32 v0, 7, v101
; %bb.674:                              ;   in Loop: Header=BB316_488 Depth=1
	s_or_b32 exec_lo, exec_lo, s16
	v_lshlrev_b32_e32 v100, 8, v100
	v_lshl_add_u32 v14, v14, 10, 0x2000
	s_delay_alu instid0(VALU_DEP_1) | instskip(NEXT) | instid1(VALU_DEP_1)
	v_and_or_b32 v14, 0x8000, v100, v14
	v_lshl_or_b32 v0, v0, 7, v14
	s_delay_alu instid0(VALU_DEP_1)
	v_cvt_f32_f16_e32 v14, v0
.LBB316_675:                            ;   in Loop: Header=BB316_488 Depth=1
	s_or_b32 exec_lo, exec_lo, s15
.LBB316_676:                            ;   in Loop: Header=BB316_488 Depth=1
	s_delay_alu instid0(SALU_CYCLE_1)
	s_or_b32 exec_lo, exec_lo, s13
.LBB316_677:                            ;   in Loop: Header=BB316_488 Depth=1
	s_delay_alu instid0(SALU_CYCLE_1) | instskip(NEXT) | instid1(SALU_CYCLE_1)
	s_or_b32 exec_lo, exec_lo, s12
	s_mov_b32 s12, exec_lo
	v_cmpx_lt_u64_e64 s[8:9], v[11:12]
	s_cbranch_execz .LBB316_685
; %bb.678:                              ;   in Loop: Header=BB316_488 Depth=1
	v_lshrrev_b32_e32 v11, 24, v12
	v_bfrev_b32_e32 v99, 1
	s_mov_b32 s13, exec_lo
	s_delay_alu instid0(VALU_DEP_2)
	v_cmpx_ne_u32_e32 0x80, v11
	s_cbranch_execz .LBB316_684
; %bb.679:                              ;   in Loop: Header=BB316_488 Depth=1
	v_and_b32_e32 v100, 0x7f, v11
	v_mov_b32_e32 v99, 0x7fc02000
	s_mov_b32 s15, exec_lo
	s_delay_alu instid0(VALU_DEP_2)
	v_cmpx_ne_u32_e32 0x7f, v100
	s_cbranch_execz .LBB316_683
; %bb.680:                              ;   in Loop: Header=BB316_488 Depth=1
	v_and_b32_e32 v0, 7, v11
	v_lshrrev_b32_e32 v12, 3, v100
	s_mov_b32 s16, exec_lo
	v_cmpx_gt_u32_e32 8, v100
; %bb.681:                              ;   in Loop: Header=BB316_488 Depth=1
	s_delay_alu instid0(VALU_DEP_3) | instskip(NEXT) | instid1(VALU_DEP_1)
	v_clz_i32_u32_e32 v12, v0
	v_min_u32_e32 v12, 32, v12
	s_delay_alu instid0(VALU_DEP_1) | instskip(SKIP_1) | instid1(VALU_DEP_2)
	v_subrev_nc_u32_e32 v99, 28, v12
	v_sub_nc_u32_e32 v12, 29, v12
	v_lshlrev_b64 v[99:100], v99, v[0:1]
	s_delay_alu instid0(VALU_DEP_1)
	v_and_b32_e32 v0, 7, v99
; %bb.682:                              ;   in Loop: Header=BB316_488 Depth=1
	s_or_b32 exec_lo, exec_lo, s16
	v_lshlrev_b32_e32 v11, 8, v11
	v_lshl_add_u32 v12, v12, 10, 0x2000
	s_delay_alu instid0(VALU_DEP_1) | instskip(NEXT) | instid1(VALU_DEP_1)
	v_and_or_b32 v11, 0x8000, v11, v12
	v_lshl_or_b32 v0, v0, 7, v11
	s_delay_alu instid0(VALU_DEP_1)
	v_cvt_f32_f16_e32 v99, v0
.LBB316_683:                            ;   in Loop: Header=BB316_488 Depth=1
	s_or_b32 exec_lo, exec_lo, s15
.LBB316_684:                            ;   in Loop: Header=BB316_488 Depth=1
	s_delay_alu instid0(SALU_CYCLE_1)
	s_or_b32 exec_lo, exec_lo, s13
.LBB316_685:                            ;   in Loop: Header=BB316_488 Depth=1
	s_delay_alu instid0(SALU_CYCLE_1)
	s_or_b32 exec_lo, exec_lo, s12
	s_waitcnt vmcnt(0) lgkmcnt(0)
	v_fma_mixlo_f16 v12, v85, v87, 0
	v_fma_mixlo_f16 v0, v85, v97, 0
	;; [unrolled: 1-line block ×5, first 2 shown]
	v_lshlrev_b32_e32 v87, 16, v12
	v_fma_mixlo_f16 v13, v85, v13, 0
	v_fma_mixlo_f16 v97, v85, v99, 0
	;; [unrolled: 1-line block ×3, first 2 shown]
	v_lshlrev_b32_e32 v0, 16, v0
	v_and_b32_e32 v11, 0xffff, v11
	v_and_b32_e32 v14, 0xffff, v86
	v_lshlrev_b32_e32 v85, 16, v96
	v_and_b32_e32 v86, 0xffff, v13
	v_lshlrev_b32_e32 v96, 16, v97
	v_and_b32_e32 v97, 0xffff, v12
	v_or_b32_e32 v13, v0, v11
	v_or_b32_e32 v14, v87, v14
	v_or_b32_e32 v0, v85, v86
	s_delay_alu instid0(VALU_DEP_4)
	v_or_b32_e32 v11, v96, v97
	s_and_saveexec_b32 s12, vcc_lo
	s_cbranch_execz .LBB316_687
; %bb.686:                              ;   in Loop: Header=BB316_488 Depth=1
	v_cmp_lt_i32_e64 s0, v18, v35
	v_lshrrev_b32_e32 v85, 16, v14
	v_lshrrev_b32_e32 v86, 16, v13
	;; [unrolled: 1-line block ×4, first 2 shown]
	v_cndmask_b32_e64 v14, 0, v14, s0
	v_cmp_lt_i32_e64 s0, v68, v51
	s_delay_alu instid0(VALU_DEP_1) | instskip(SKIP_1) | instid1(VALU_DEP_2)
	v_cndmask_b32_e64 v85, 0, v85, s0
	v_cmp_lt_i32_e64 s0, v67, v51
	v_perm_b32 v14, v85, v14, 0x5040100
	s_delay_alu instid0(VALU_DEP_2) | instskip(SKIP_1) | instid1(VALU_DEP_1)
	v_cndmask_b32_e64 v86, 0, v86, s0
	v_cmp_lt_i32_e64 s0, v66, v35
	v_cndmask_b32_e64 v13, 0, v13, s0
	v_cmp_lt_i32_e64 s0, v65, v51
	s_delay_alu instid0(VALU_DEP_2) | instskip(NEXT) | instid1(VALU_DEP_2)
	v_perm_b32 v13, v86, v13, 0x5040100
	v_cndmask_b32_e64 v87, 0, v87, s0
	v_cmp_lt_i32_e64 s0, v64, v35
	s_delay_alu instid0(VALU_DEP_1) | instskip(SKIP_1) | instid1(VALU_DEP_2)
	v_cndmask_b32_e64 v0, 0, v0, s0
	v_cmp_lt_i32_e64 s0, v54, v51
	v_perm_b32 v0, v87, v0, 0x5040100
	s_delay_alu instid0(VALU_DEP_2) | instskip(SKIP_1) | instid1(VALU_DEP_1)
	v_cndmask_b32_e64 v11, 0, v11, s0
	v_cmp_lt_i32_e64 s0, v19, v35
	v_cndmask_b32_e64 v12, 0, v12, s0
	s_delay_alu instid0(VALU_DEP_1)
	v_perm_b32 v11, v11, v12, 0x5040100
.LBB316_687:                            ;   in Loop: Header=BB316_488 Depth=1
	s_or_b32 exec_lo, exec_lo, s12
	;;#ASMSTART
	v_pk_mul_f16 v12, v82, v14;

	;;#ASMEND
	;;#ASMSTART
	v_pk_mul_f16 v13, v81, v13;

	;;#ASMEND
	;;#ASMSTART
	v_pk_mul_f16 v0, v80, v0;

	;;#ASMEND
	;;#ASMSTART
	v_pk_mul_f16 v11, v71, v11;

	;;#ASMEND
	;;#ASMSTART
	v_pk_add_f16 v12, v12, v13;

	;;#ASMEND
	;;#ASMSTART
	v_pk_add_f16 v0, v12, v0;

	;;#ASMEND
	;; [unrolled: 4-line block ×3, first 2 shown]
	v_dual_mov_b32 v96, 0 :: v_dual_and_b32 v11, 0xffff, v0
	v_lshrrev_b32_e32 v0, 16, v0
	;;#ASMSTART
	v_cvt_f32_f16 v85, v11;
	;;#ASMEND
	;;#ASMSTART
	v_cvt_f32_f16 v86, v0;
	;;#ASMEND
	flat_load_b64 v[11:12], v[9:10] offset:768
	flat_load_b32 v87, v[26:27]
	s_mov_b32 s12, exec_lo
	s_waitcnt vmcnt(1) lgkmcnt(1)
	v_dual_mov_b32 v97, 0 :: v_dual_and_b32 v0, 0xff, v11
	s_delay_alu instid0(VALU_DEP_1)
	v_cmpx_ne_u16_e32 0, v0
	s_cbranch_execz .LBB316_695
; %bb.688:                              ;   in Loop: Header=BB316_488 Depth=1
	v_bfrev_b32_e32 v96, 1
	s_mov_b32 s13, exec_lo
	v_cmpx_ne_u16_e32 0x80, v0
	s_cbranch_execz .LBB316_694
; %bb.689:                              ;   in Loop: Header=BB316_488 Depth=1
	v_and_b32_e32 v13, 0x7f, v11
	v_mov_b32_e32 v96, 0x7fc02000
	s_mov_b32 s15, exec_lo
	s_delay_alu instid0(VALU_DEP_2)
	v_cmpx_ne_u32_e32 0x7f, v13
	s_cbranch_execz .LBB316_693
; %bb.690:                              ;   in Loop: Header=BB316_488 Depth=1
	v_lshrrev_b32_e32 v0, 3, v13
	v_cmp_gt_u32_e64 s0, 8, v13
	v_dual_mov_b32 v14, v12 :: v_dual_mov_b32 v13, v11
	s_delay_alu instid0(VALU_DEP_2)
	s_and_saveexec_b32 s16, s0
; %bb.691:                              ;   in Loop: Header=BB316_488 Depth=1
	v_and_b32_e32 v0, 7, v11
	s_delay_alu instid0(VALU_DEP_1) | instskip(NEXT) | instid1(VALU_DEP_1)
	v_clz_i32_u32_e32 v0, v0
	v_min_u32_e32 v0, 32, v0
	s_delay_alu instid0(VALU_DEP_1) | instskip(SKIP_1) | instid1(VALU_DEP_2)
	v_subrev_nc_u32_e32 v13, 28, v0
	v_sub_nc_u32_e32 v0, 29, v0
	v_lshlrev_b64 v[13:14], v13, v[11:12]
; %bb.692:                              ;   in Loop: Header=BB316_488 Depth=1
	s_or_b32 exec_lo, exec_lo, s16
	v_lshlrev_b32_e32 v14, 8, v11
	s_delay_alu instid0(VALU_DEP_3) | instskip(NEXT) | instid1(VALU_DEP_3)
	v_lshl_add_u32 v0, v0, 10, 0x2000
	v_lshlrev_b32_e32 v13, 7, v13
	s_delay_alu instid0(VALU_DEP_2) | instskip(NEXT) | instid1(VALU_DEP_1)
	v_and_or_b32 v0, 0x8000, v14, v0
	v_and_or_b32 v0, 0x380, v13, v0
	s_delay_alu instid0(VALU_DEP_1)
	v_cvt_f32_f16_e32 v96, v0
.LBB316_693:                            ;   in Loop: Header=BB316_488 Depth=1
	s_or_b32 exec_lo, exec_lo, s15
.LBB316_694:                            ;   in Loop: Header=BB316_488 Depth=1
	s_delay_alu instid0(SALU_CYCLE_1)
	s_or_b32 exec_lo, exec_lo, s13
.LBB316_695:                            ;   in Loop: Header=BB316_488 Depth=1
	s_delay_alu instid0(SALU_CYCLE_1) | instskip(SKIP_2) | instid1(VALU_DEP_1)
	s_or_b32 exec_lo, exec_lo, s12
	v_lshrrev_b16 v0, 8, v11
	s_mov_b32 s12, exec_lo
	v_cmpx_ne_u16_e32 0, v0
	s_cbranch_execz .LBB316_703
; %bb.696:                              ;   in Loop: Header=BB316_488 Depth=1
	v_bfrev_b32_e32 v97, 1
	s_mov_b32 s13, exec_lo
	v_cmpx_ne_u16_e32 0x80, v0
	s_cbranch_execz .LBB316_702
; %bb.697:                              ;   in Loop: Header=BB316_488 Depth=1
	v_and_b32_e32 v13, 0xffff, v0
	v_mov_b32_e32 v97, 0x7fc02000
	s_mov_b32 s15, exec_lo
	s_delay_alu instid0(VALU_DEP_2) | instskip(NEXT) | instid1(VALU_DEP_1)
	v_and_b32_e32 v98, 0x7f, v13
	v_cmpx_ne_u32_e32 0x7f, v98
	s_cbranch_execz .LBB316_701
; %bb.698:                              ;   in Loop: Header=BB316_488 Depth=1
	v_and_b32_e32 v0, 7, v13
	v_lshrrev_b32_e32 v14, 3, v98
	s_mov_b32 s16, exec_lo
	v_cmpx_gt_u32_e32 8, v98
; %bb.699:                              ;   in Loop: Header=BB316_488 Depth=1
	s_delay_alu instid0(VALU_DEP_3) | instskip(NEXT) | instid1(VALU_DEP_1)
	v_clz_i32_u32_e32 v14, v0
	v_min_u32_e32 v14, 32, v14
	s_delay_alu instid0(VALU_DEP_1) | instskip(SKIP_1) | instid1(VALU_DEP_2)
	v_subrev_nc_u32_e32 v97, 28, v14
	v_sub_nc_u32_e32 v14, 29, v14
	v_lshlrev_b64 v[97:98], v97, v[0:1]
	s_delay_alu instid0(VALU_DEP_1)
	v_and_b32_e32 v0, 7, v97
; %bb.700:                              ;   in Loop: Header=BB316_488 Depth=1
	s_or_b32 exec_lo, exec_lo, s16
	v_lshlrev_b32_e32 v13, 8, v13
	v_lshl_add_u32 v14, v14, 10, 0x2000
	s_delay_alu instid0(VALU_DEP_1) | instskip(NEXT) | instid1(VALU_DEP_1)
	v_and_or_b32 v13, 0x8000, v13, v14
	v_lshl_or_b32 v0, v0, 7, v13
	s_delay_alu instid0(VALU_DEP_1)
	v_cvt_f32_f16_e32 v97, v0
.LBB316_701:                            ;   in Loop: Header=BB316_488 Depth=1
	s_or_b32 exec_lo, exec_lo, s15
.LBB316_702:                            ;   in Loop: Header=BB316_488 Depth=1
	s_delay_alu instid0(SALU_CYCLE_1)
	s_or_b32 exec_lo, exec_lo, s13
.LBB316_703:                            ;   in Loop: Header=BB316_488 Depth=1
	s_delay_alu instid0(SALU_CYCLE_1) | instskip(SKIP_3) | instid1(VALU_DEP_2)
	s_or_b32 exec_lo, exec_lo, s12
	v_lshrrev_b32_e32 v13, 16, v11
	v_mov_b32_e32 v98, 0
	s_mov_b32 s12, exec_lo
	v_dual_mov_b32 v99, 0 :: v_dual_and_b32 v0, 0xff, v13
	s_delay_alu instid0(VALU_DEP_1)
	v_cmpx_ne_u16_e32 0, v0
	s_cbranch_execz .LBB316_711
; %bb.704:                              ;   in Loop: Header=BB316_488 Depth=1
	v_bfrev_b32_e32 v98, 1
	s_mov_b32 s13, exec_lo
	v_cmpx_ne_u16_e32 0x80, v0
	s_cbranch_execz .LBB316_710
; %bb.705:                              ;   in Loop: Header=BB316_488 Depth=1
	v_bfe_u32 v100, v11, 16, 7
	v_mov_b32_e32 v98, 0x7fc02000
	s_mov_b32 s15, exec_lo
	s_delay_alu instid0(VALU_DEP_2)
	v_cmpx_ne_u32_e32 0x7f, v100
	s_cbranch_execz .LBB316_709
; %bb.706:                              ;   in Loop: Header=BB316_488 Depth=1
	v_and_b32_e32 v0, 7, v13
	v_lshrrev_b32_e32 v14, 3, v100
	s_mov_b32 s16, exec_lo
	v_cmpx_gt_u32_e32 8, v100
; %bb.707:                              ;   in Loop: Header=BB316_488 Depth=1
	s_delay_alu instid0(VALU_DEP_3) | instskip(NEXT) | instid1(VALU_DEP_1)
	v_clz_i32_u32_e32 v14, v0
	v_min_u32_e32 v14, 32, v14
	s_delay_alu instid0(VALU_DEP_1) | instskip(SKIP_1) | instid1(VALU_DEP_2)
	v_subrev_nc_u32_e32 v98, 28, v14
	v_sub_nc_u32_e32 v14, 29, v14
	v_lshlrev_b64 v[100:101], v98, v[0:1]
	s_delay_alu instid0(VALU_DEP_1)
	v_and_b32_e32 v0, 7, v100
; %bb.708:                              ;   in Loop: Header=BB316_488 Depth=1
	s_or_b32 exec_lo, exec_lo, s16
	v_lshlrev_b32_e32 v13, 8, v13
	v_lshl_add_u32 v14, v14, 10, 0x2000
	s_delay_alu instid0(VALU_DEP_1) | instskip(NEXT) | instid1(VALU_DEP_1)
	v_and_or_b32 v13, 0x8000, v13, v14
	v_lshl_or_b32 v0, v0, 7, v13
	s_delay_alu instid0(VALU_DEP_1)
	v_cvt_f32_f16_e32 v98, v0
.LBB316_709:                            ;   in Loop: Header=BB316_488 Depth=1
	s_or_b32 exec_lo, exec_lo, s15
.LBB316_710:                            ;   in Loop: Header=BB316_488 Depth=1
	s_delay_alu instid0(SALU_CYCLE_1)
	s_or_b32 exec_lo, exec_lo, s13
.LBB316_711:                            ;   in Loop: Header=BB316_488 Depth=1
	s_delay_alu instid0(SALU_CYCLE_1) | instskip(NEXT) | instid1(SALU_CYCLE_1)
	s_or_b32 exec_lo, exec_lo, s12
	s_mov_b32 s12, exec_lo
	v_cmpx_lt_u32_e32 0xffffff, v11
	s_cbranch_execz .LBB316_719
; %bb.712:                              ;   in Loop: Header=BB316_488 Depth=1
	v_lshrrev_b32_e32 v13, 24, v11
	v_bfrev_b32_e32 v99, 1
	s_mov_b32 s13, exec_lo
	s_delay_alu instid0(VALU_DEP_2)
	v_cmpx_ne_u32_e32 0x80, v13
	s_cbranch_execz .LBB316_718
; %bb.713:                              ;   in Loop: Header=BB316_488 Depth=1
	v_and_b32_e32 v100, 0x7f, v13
	v_mov_b32_e32 v99, 0x7fc02000
	s_mov_b32 s15, exec_lo
	s_delay_alu instid0(VALU_DEP_2)
	v_cmpx_ne_u32_e32 0x7f, v100
	s_cbranch_execz .LBB316_717
; %bb.714:                              ;   in Loop: Header=BB316_488 Depth=1
	v_and_b32_e32 v0, 7, v13
	v_lshrrev_b32_e32 v14, 3, v100
	s_mov_b32 s16, exec_lo
	v_cmpx_gt_u32_e32 8, v100
; %bb.715:                              ;   in Loop: Header=BB316_488 Depth=1
	s_delay_alu instid0(VALU_DEP_3) | instskip(NEXT) | instid1(VALU_DEP_1)
	v_clz_i32_u32_e32 v14, v0
	v_min_u32_e32 v14, 32, v14
	s_delay_alu instid0(VALU_DEP_1) | instskip(SKIP_1) | instid1(VALU_DEP_2)
	v_subrev_nc_u32_e32 v99, 28, v14
	v_sub_nc_u32_e32 v14, 29, v14
	v_lshlrev_b64 v[99:100], v99, v[0:1]
	s_delay_alu instid0(VALU_DEP_1)
	v_and_b32_e32 v0, 7, v99
; %bb.716:                              ;   in Loop: Header=BB316_488 Depth=1
	s_or_b32 exec_lo, exec_lo, s16
	v_lshlrev_b32_e32 v13, 8, v13
	v_lshl_add_u32 v14, v14, 10, 0x2000
	s_delay_alu instid0(VALU_DEP_1) | instskip(NEXT) | instid1(VALU_DEP_1)
	v_and_or_b32 v13, 0x8000, v13, v14
	v_lshl_or_b32 v0, v0, 7, v13
	s_delay_alu instid0(VALU_DEP_1)
	v_cvt_f32_f16_e32 v99, v0
.LBB316_717:                            ;   in Loop: Header=BB316_488 Depth=1
	s_or_b32 exec_lo, exec_lo, s15
.LBB316_718:                            ;   in Loop: Header=BB316_488 Depth=1
	s_delay_alu instid0(SALU_CYCLE_1)
	s_or_b32 exec_lo, exec_lo, s13
.LBB316_719:                            ;   in Loop: Header=BB316_488 Depth=1
	s_delay_alu instid0(SALU_CYCLE_1) | instskip(SKIP_4) | instid1(VALU_DEP_3)
	s_or_b32 exec_lo, exec_lo, s12
	v_dual_mov_b32 v13, 0 :: v_dual_and_b32 v14, 0xff, v12
	v_mov_b32_e32 v0, v12
	v_mov_b32_e32 v100, 0
	s_mov_b32 s12, exec_lo
	v_cmpx_ne_u16_e32 0, v14
	s_cbranch_execz .LBB316_727
; %bb.720:                              ;   in Loop: Header=BB316_488 Depth=1
	v_bfrev_b32_e32 v13, 1
	s_mov_b32 s13, exec_lo
	v_cmpx_ne_u16_e32 0x80, v14
	s_cbranch_execz .LBB316_726
; %bb.721:                              ;   in Loop: Header=BB316_488 Depth=1
	v_and_b32_e32 v14, 0x7f, v12
	v_mov_b32_e32 v13, 0x7fc02000
	s_mov_b32 s15, exec_lo
	s_delay_alu instid0(VALU_DEP_2)
	v_cmpx_ne_u32_e32 0x7f, v14
	s_cbranch_execz .LBB316_725
; %bb.722:                              ;   in Loop: Header=BB316_488 Depth=1
	v_lshrrev_b32_e32 v101, 3, v14
	v_cmp_gt_u32_e64 s0, 8, v14
	v_dual_mov_b32 v14, v1 :: v_dual_mov_b32 v13, v0
	s_delay_alu instid0(VALU_DEP_2)
	s_and_saveexec_b32 s16, s0
; %bb.723:                              ;   in Loop: Header=BB316_488 Depth=1
	v_and_b32_e32 v13, 7, v12
	s_delay_alu instid0(VALU_DEP_1) | instskip(NEXT) | instid1(VALU_DEP_1)
	v_clz_i32_u32_e32 v13, v13
	v_min_u32_e32 v101, 32, v13
	s_delay_alu instid0(VALU_DEP_1) | instskip(SKIP_1) | instid1(VALU_DEP_2)
	v_subrev_nc_u32_e32 v13, 28, v101
	v_sub_nc_u32_e32 v101, 29, v101
	v_lshlrev_b64 v[13:14], v13, v[0:1]
; %bb.724:                              ;   in Loop: Header=BB316_488 Depth=1
	s_or_b32 exec_lo, exec_lo, s16
	v_lshlrev_b32_e32 v14, 8, v12
	s_delay_alu instid0(VALU_DEP_3) | instskip(NEXT) | instid1(VALU_DEP_3)
	v_lshl_add_u32 v101, v101, 10, 0x2000
	v_lshlrev_b32_e32 v13, 7, v13
	s_delay_alu instid0(VALU_DEP_2) | instskip(NEXT) | instid1(VALU_DEP_1)
	v_and_or_b32 v14, 0x8000, v14, v101
	v_and_or_b32 v13, 0x380, v13, v14
	s_delay_alu instid0(VALU_DEP_1)
	v_cvt_f32_f16_e32 v13, v13
.LBB316_725:                            ;   in Loop: Header=BB316_488 Depth=1
	s_or_b32 exec_lo, exec_lo, s15
.LBB316_726:                            ;   in Loop: Header=BB316_488 Depth=1
	s_delay_alu instid0(SALU_CYCLE_1)
	s_or_b32 exec_lo, exec_lo, s13
.LBB316_727:                            ;   in Loop: Header=BB316_488 Depth=1
	s_delay_alu instid0(SALU_CYCLE_1) | instskip(SKIP_2) | instid1(VALU_DEP_1)
	s_or_b32 exec_lo, exec_lo, s12
	v_lshrrev_b16 v0, 8, v0
	s_mov_b32 s12, exec_lo
	v_cmpx_ne_u16_e32 0, v0
	s_cbranch_execz .LBB316_735
; %bb.728:                              ;   in Loop: Header=BB316_488 Depth=1
	v_bfrev_b32_e32 v100, 1
	s_mov_b32 s13, exec_lo
	v_cmpx_ne_u16_e32 0x80, v0
	s_cbranch_execz .LBB316_734
; %bb.729:                              ;   in Loop: Header=BB316_488 Depth=1
	v_and_b32_e32 v14, 0xffff, v0
	v_mov_b32_e32 v100, 0x7fc02000
	s_mov_b32 s15, exec_lo
	s_delay_alu instid0(VALU_DEP_2) | instskip(NEXT) | instid1(VALU_DEP_1)
	v_and_b32_e32 v101, 0x7f, v14
	v_cmpx_ne_u32_e32 0x7f, v101
	s_cbranch_execz .LBB316_733
; %bb.730:                              ;   in Loop: Header=BB316_488 Depth=1
	v_and_b32_e32 v0, 7, v14
	v_lshrrev_b32_e32 v100, 3, v101
	s_mov_b32 s16, exec_lo
	v_cmpx_gt_u32_e32 8, v101
; %bb.731:                              ;   in Loop: Header=BB316_488 Depth=1
	s_delay_alu instid0(VALU_DEP_3) | instskip(NEXT) | instid1(VALU_DEP_1)
	v_clz_i32_u32_e32 v100, v0
	v_min_u32_e32 v100, 32, v100
	s_delay_alu instid0(VALU_DEP_1) | instskip(SKIP_1) | instid1(VALU_DEP_2)
	v_subrev_nc_u32_e32 v101, 28, v100
	v_sub_nc_u32_e32 v100, 29, v100
	v_lshlrev_b64 v[101:102], v101, v[0:1]
	s_delay_alu instid0(VALU_DEP_1)
	v_and_b32_e32 v0, 7, v101
; %bb.732:                              ;   in Loop: Header=BB316_488 Depth=1
	s_or_b32 exec_lo, exec_lo, s16
	v_lshlrev_b32_e32 v14, 8, v14
	v_lshl_add_u32 v100, v100, 10, 0x2000
	s_delay_alu instid0(VALU_DEP_1) | instskip(NEXT) | instid1(VALU_DEP_1)
	v_and_or_b32 v14, 0x8000, v14, v100
	v_lshl_or_b32 v0, v0, 7, v14
	s_delay_alu instid0(VALU_DEP_1)
	v_cvt_f32_f16_e32 v100, v0
.LBB316_733:                            ;   in Loop: Header=BB316_488 Depth=1
	s_or_b32 exec_lo, exec_lo, s15
.LBB316_734:                            ;   in Loop: Header=BB316_488 Depth=1
	s_delay_alu instid0(SALU_CYCLE_1)
	s_or_b32 exec_lo, exec_lo, s13
.LBB316_735:                            ;   in Loop: Header=BB316_488 Depth=1
	s_delay_alu instid0(SALU_CYCLE_1) | instskip(SKIP_3) | instid1(VALU_DEP_2)
	s_or_b32 exec_lo, exec_lo, s12
	v_lshrrev_b32_e32 v102, 16, v12
	v_mov_b32_e32 v14, 0
	s_mov_b32 s12, exec_lo
	v_dual_mov_b32 v101, 0 :: v_dual_and_b32 v0, 0xff, v102
	s_delay_alu instid0(VALU_DEP_1)
	v_cmpx_ne_u16_e32 0, v0
	s_cbranch_execz .LBB316_743
; %bb.736:                              ;   in Loop: Header=BB316_488 Depth=1
	v_bfrev_b32_e32 v14, 1
	s_mov_b32 s13, exec_lo
	v_cmpx_ne_u16_e32 0x80, v0
	s_cbranch_execz .LBB316_742
; %bb.737:                              ;   in Loop: Header=BB316_488 Depth=1
	v_bfe_u32 v103, v12, 16, 7
	v_mov_b32_e32 v14, 0x7fc02000
	s_mov_b32 s15, exec_lo
	s_delay_alu instid0(VALU_DEP_2)
	v_cmpx_ne_u32_e32 0x7f, v103
	s_cbranch_execz .LBB316_741
; %bb.738:                              ;   in Loop: Header=BB316_488 Depth=1
	v_and_b32_e32 v0, 7, v102
	v_lshrrev_b32_e32 v14, 3, v103
	s_mov_b32 s16, exec_lo
	v_cmpx_gt_u32_e32 8, v103
; %bb.739:                              ;   in Loop: Header=BB316_488 Depth=1
	s_delay_alu instid0(VALU_DEP_3) | instskip(NEXT) | instid1(VALU_DEP_1)
	v_clz_i32_u32_e32 v14, v0
	v_min_u32_e32 v14, 32, v14
	s_delay_alu instid0(VALU_DEP_1) | instskip(SKIP_1) | instid1(VALU_DEP_2)
	v_subrev_nc_u32_e32 v103, 28, v14
	v_sub_nc_u32_e32 v14, 29, v14
	v_lshlrev_b64 v[112:113], v103, v[0:1]
	s_delay_alu instid0(VALU_DEP_1)
	v_and_b32_e32 v0, 7, v112
; %bb.740:                              ;   in Loop: Header=BB316_488 Depth=1
	s_or_b32 exec_lo, exec_lo, s16
	v_lshlrev_b32_e32 v102, 8, v102
	v_lshl_add_u32 v14, v14, 10, 0x2000
	s_delay_alu instid0(VALU_DEP_1) | instskip(NEXT) | instid1(VALU_DEP_1)
	v_and_or_b32 v14, 0x8000, v102, v14
	v_lshl_or_b32 v0, v0, 7, v14
	s_delay_alu instid0(VALU_DEP_1)
	v_cvt_f32_f16_e32 v14, v0
.LBB316_741:                            ;   in Loop: Header=BB316_488 Depth=1
	s_or_b32 exec_lo, exec_lo, s15
.LBB316_742:                            ;   in Loop: Header=BB316_488 Depth=1
	s_delay_alu instid0(SALU_CYCLE_1)
	s_or_b32 exec_lo, exec_lo, s13
.LBB316_743:                            ;   in Loop: Header=BB316_488 Depth=1
	s_delay_alu instid0(SALU_CYCLE_1) | instskip(NEXT) | instid1(SALU_CYCLE_1)
	s_or_b32 exec_lo, exec_lo, s12
	s_mov_b32 s12, exec_lo
	v_cmpx_lt_u64_e64 s[8:9], v[11:12]
	s_cbranch_execz .LBB316_751
; %bb.744:                              ;   in Loop: Header=BB316_488 Depth=1
	v_lshrrev_b32_e32 v11, 24, v12
	v_bfrev_b32_e32 v101, 1
	s_mov_b32 s13, exec_lo
	s_delay_alu instid0(VALU_DEP_2)
	v_cmpx_ne_u32_e32 0x80, v11
	s_cbranch_execz .LBB316_750
; %bb.745:                              ;   in Loop: Header=BB316_488 Depth=1
	v_and_b32_e32 v102, 0x7f, v11
	v_mov_b32_e32 v101, 0x7fc02000
	s_mov_b32 s15, exec_lo
	s_delay_alu instid0(VALU_DEP_2)
	v_cmpx_ne_u32_e32 0x7f, v102
	s_cbranch_execz .LBB316_749
; %bb.746:                              ;   in Loop: Header=BB316_488 Depth=1
	v_and_b32_e32 v0, 7, v11
	v_lshrrev_b32_e32 v12, 3, v102
	s_mov_b32 s16, exec_lo
	v_cmpx_gt_u32_e32 8, v102
; %bb.747:                              ;   in Loop: Header=BB316_488 Depth=1
	s_delay_alu instid0(VALU_DEP_3) | instskip(NEXT) | instid1(VALU_DEP_1)
	v_clz_i32_u32_e32 v12, v0
	v_min_u32_e32 v12, 32, v12
	s_delay_alu instid0(VALU_DEP_1) | instskip(SKIP_1) | instid1(VALU_DEP_2)
	v_subrev_nc_u32_e32 v101, 28, v12
	v_sub_nc_u32_e32 v12, 29, v12
	v_lshlrev_b64 v[101:102], v101, v[0:1]
	s_delay_alu instid0(VALU_DEP_1)
	v_and_b32_e32 v0, 7, v101
; %bb.748:                              ;   in Loop: Header=BB316_488 Depth=1
	s_or_b32 exec_lo, exec_lo, s16
	v_lshlrev_b32_e32 v11, 8, v11
	v_lshl_add_u32 v12, v12, 10, 0x2000
	s_delay_alu instid0(VALU_DEP_1) | instskip(NEXT) | instid1(VALU_DEP_1)
	v_and_or_b32 v11, 0x8000, v11, v12
	v_lshl_or_b32 v0, v0, 7, v11
	s_delay_alu instid0(VALU_DEP_1)
	v_cvt_f32_f16_e32 v101, v0
.LBB316_749:                            ;   in Loop: Header=BB316_488 Depth=1
	s_or_b32 exec_lo, exec_lo, s15
.LBB316_750:                            ;   in Loop: Header=BB316_488 Depth=1
	s_delay_alu instid0(SALU_CYCLE_1)
	s_or_b32 exec_lo, exec_lo, s13
.LBB316_751:                            ;   in Loop: Header=BB316_488 Depth=1
	s_delay_alu instid0(SALU_CYCLE_1)
	s_or_b32 exec_lo, exec_lo, s12
	s_waitcnt vmcnt(0) lgkmcnt(0)
	v_fma_mixlo_f16 v12, v87, v97, 0
	v_fma_mixlo_f16 v0, v87, v99, 0
	;; [unrolled: 1-line block ×5, first 2 shown]
	v_lshlrev_b32_e32 v97, 16, v12
	v_fma_mixlo_f16 v13, v87, v13, 0
	v_fma_mixlo_f16 v99, v87, v101, 0
	;; [unrolled: 1-line block ×3, first 2 shown]
	v_lshlrev_b32_e32 v0, 16, v0
	v_and_b32_e32 v11, 0xffff, v11
	v_and_b32_e32 v14, 0xffff, v96
	v_lshlrev_b32_e32 v87, 16, v98
	v_and_b32_e32 v96, 0xffff, v13
	v_lshlrev_b32_e32 v98, 16, v99
	v_and_b32_e32 v99, 0xffff, v12
	v_or_b32_e32 v13, v0, v11
	v_or_b32_e32 v14, v97, v14
	;; [unrolled: 1-line block ×3, first 2 shown]
	s_delay_alu instid0(VALU_DEP_4)
	v_or_b32_e32 v11, v98, v99
	s_and_saveexec_b32 s12, vcc_lo
	s_cbranch_execz .LBB316_753
; %bb.752:                              ;   in Loop: Header=BB316_488 Depth=1
	v_cmp_lt_i32_e64 s0, v18, v35
	v_lshrrev_b32_e32 v87, 16, v14
	v_lshrrev_b32_e32 v96, 16, v13
	v_lshrrev_b32_e32 v97, 16, v0
	v_lshrrev_b32_e32 v11, 16, v11
	v_cndmask_b32_e64 v14, 0, v14, s0
	v_cmp_lt_i32_e64 s0, v68, v51
	s_delay_alu instid0(VALU_DEP_1) | instskip(SKIP_1) | instid1(VALU_DEP_2)
	v_cndmask_b32_e64 v87, 0, v87, s0
	v_cmp_lt_i32_e64 s0, v67, v51
	v_perm_b32 v14, v87, v14, 0x5040100
	s_delay_alu instid0(VALU_DEP_2) | instskip(SKIP_1) | instid1(VALU_DEP_1)
	v_cndmask_b32_e64 v96, 0, v96, s0
	v_cmp_lt_i32_e64 s0, v66, v35
	v_cndmask_b32_e64 v13, 0, v13, s0
	v_cmp_lt_i32_e64 s0, v65, v51
	s_delay_alu instid0(VALU_DEP_2) | instskip(NEXT) | instid1(VALU_DEP_2)
	v_perm_b32 v13, v96, v13, 0x5040100
	v_cndmask_b32_e64 v97, 0, v97, s0
	v_cmp_lt_i32_e64 s0, v64, v35
	s_delay_alu instid0(VALU_DEP_1) | instskip(SKIP_1) | instid1(VALU_DEP_2)
	v_cndmask_b32_e64 v0, 0, v0, s0
	v_cmp_lt_i32_e64 s0, v54, v51
	v_perm_b32 v0, v97, v0, 0x5040100
	s_delay_alu instid0(VALU_DEP_2) | instskip(SKIP_1) | instid1(VALU_DEP_1)
	v_cndmask_b32_e64 v11, 0, v11, s0
	v_cmp_lt_i32_e64 s0, v19, v35
	v_cndmask_b32_e64 v12, 0, v12, s0
	s_delay_alu instid0(VALU_DEP_1)
	v_perm_b32 v11, v11, v12, 0x5040100
.LBB316_753:                            ;   in Loop: Header=BB316_488 Depth=1
	s_or_b32 exec_lo, exec_lo, s12
	;;#ASMSTART
	v_pk_mul_f16 v12, v82, v14;

	;;#ASMEND
	;;#ASMSTART
	v_pk_mul_f16 v13, v81, v13;

	;;#ASMEND
	;; [unrolled: 4-line block ×4, first 2 shown]
	;;#ASMSTART
	v_pk_add_f16 v12, v12, v13;

	;;#ASMEND
	;;#ASMSTART
	v_pk_add_f16 v0, v12, v0;

	;;#ASMEND
	;; [unrolled: 4-line block ×3, first 2 shown]
	v_dual_mov_b32 v98, 0 :: v_dual_and_b32 v11, 0xffff, v0
	v_lshrrev_b32_e32 v0, 16, v0
	;;#ASMSTART
	v_cvt_f32_f16 v87, v11;
	;;#ASMEND
	;;#ASMSTART
	v_cvt_f32_f16 v96, v0;
	;;#ASMEND
	flat_load_b64 v[11:12], v[9:10] offset:1024
	flat_load_b32 v97, v[26:27]
	s_mov_b32 s12, exec_lo
	s_waitcnt vmcnt(1) lgkmcnt(1)
	v_dual_mov_b32 v99, 0 :: v_dual_and_b32 v0, 0xff, v11
	s_delay_alu instid0(VALU_DEP_1)
	v_cmpx_ne_u16_e32 0, v0
	s_cbranch_execz .LBB316_761
; %bb.754:                              ;   in Loop: Header=BB316_488 Depth=1
	v_bfrev_b32_e32 v98, 1
	s_mov_b32 s13, exec_lo
	v_cmpx_ne_u16_e32 0x80, v0
	s_cbranch_execz .LBB316_760
; %bb.755:                              ;   in Loop: Header=BB316_488 Depth=1
	v_and_b32_e32 v13, 0x7f, v11
	v_mov_b32_e32 v98, 0x7fc02000
	s_mov_b32 s15, exec_lo
	s_delay_alu instid0(VALU_DEP_2)
	v_cmpx_ne_u32_e32 0x7f, v13
	s_cbranch_execz .LBB316_759
; %bb.756:                              ;   in Loop: Header=BB316_488 Depth=1
	v_lshrrev_b32_e32 v0, 3, v13
	v_cmp_gt_u32_e64 s0, 8, v13
	v_dual_mov_b32 v14, v12 :: v_dual_mov_b32 v13, v11
	s_delay_alu instid0(VALU_DEP_2)
	s_and_saveexec_b32 s16, s0
; %bb.757:                              ;   in Loop: Header=BB316_488 Depth=1
	v_and_b32_e32 v0, 7, v11
	s_delay_alu instid0(VALU_DEP_1) | instskip(NEXT) | instid1(VALU_DEP_1)
	v_clz_i32_u32_e32 v0, v0
	v_min_u32_e32 v0, 32, v0
	s_delay_alu instid0(VALU_DEP_1) | instskip(SKIP_1) | instid1(VALU_DEP_2)
	v_subrev_nc_u32_e32 v13, 28, v0
	v_sub_nc_u32_e32 v0, 29, v0
	v_lshlrev_b64 v[13:14], v13, v[11:12]
; %bb.758:                              ;   in Loop: Header=BB316_488 Depth=1
	s_or_b32 exec_lo, exec_lo, s16
	v_lshlrev_b32_e32 v14, 8, v11
	s_delay_alu instid0(VALU_DEP_3) | instskip(NEXT) | instid1(VALU_DEP_3)
	v_lshl_add_u32 v0, v0, 10, 0x2000
	v_lshlrev_b32_e32 v13, 7, v13
	s_delay_alu instid0(VALU_DEP_2) | instskip(NEXT) | instid1(VALU_DEP_1)
	v_and_or_b32 v0, 0x8000, v14, v0
	v_and_or_b32 v0, 0x380, v13, v0
	s_delay_alu instid0(VALU_DEP_1)
	v_cvt_f32_f16_e32 v98, v0
.LBB316_759:                            ;   in Loop: Header=BB316_488 Depth=1
	s_or_b32 exec_lo, exec_lo, s15
.LBB316_760:                            ;   in Loop: Header=BB316_488 Depth=1
	s_delay_alu instid0(SALU_CYCLE_1)
	s_or_b32 exec_lo, exec_lo, s13
.LBB316_761:                            ;   in Loop: Header=BB316_488 Depth=1
	s_delay_alu instid0(SALU_CYCLE_1) | instskip(SKIP_2) | instid1(VALU_DEP_1)
	s_or_b32 exec_lo, exec_lo, s12
	v_lshrrev_b16 v0, 8, v11
	s_mov_b32 s12, exec_lo
	v_cmpx_ne_u16_e32 0, v0
	s_cbranch_execz .LBB316_769
; %bb.762:                              ;   in Loop: Header=BB316_488 Depth=1
	v_bfrev_b32_e32 v99, 1
	s_mov_b32 s13, exec_lo
	v_cmpx_ne_u16_e32 0x80, v0
	s_cbranch_execz .LBB316_768
; %bb.763:                              ;   in Loop: Header=BB316_488 Depth=1
	v_and_b32_e32 v13, 0xffff, v0
	v_mov_b32_e32 v99, 0x7fc02000
	s_mov_b32 s15, exec_lo
	s_delay_alu instid0(VALU_DEP_2) | instskip(NEXT) | instid1(VALU_DEP_1)
	v_and_b32_e32 v100, 0x7f, v13
	v_cmpx_ne_u32_e32 0x7f, v100
	s_cbranch_execz .LBB316_767
; %bb.764:                              ;   in Loop: Header=BB316_488 Depth=1
	v_and_b32_e32 v0, 7, v13
	v_lshrrev_b32_e32 v14, 3, v100
	s_mov_b32 s16, exec_lo
	v_cmpx_gt_u32_e32 8, v100
; %bb.765:                              ;   in Loop: Header=BB316_488 Depth=1
	s_delay_alu instid0(VALU_DEP_3) | instskip(NEXT) | instid1(VALU_DEP_1)
	v_clz_i32_u32_e32 v14, v0
	v_min_u32_e32 v14, 32, v14
	s_delay_alu instid0(VALU_DEP_1) | instskip(SKIP_1) | instid1(VALU_DEP_2)
	v_subrev_nc_u32_e32 v99, 28, v14
	v_sub_nc_u32_e32 v14, 29, v14
	v_lshlrev_b64 v[99:100], v99, v[0:1]
	s_delay_alu instid0(VALU_DEP_1)
	v_and_b32_e32 v0, 7, v99
; %bb.766:                              ;   in Loop: Header=BB316_488 Depth=1
	s_or_b32 exec_lo, exec_lo, s16
	v_lshlrev_b32_e32 v13, 8, v13
	v_lshl_add_u32 v14, v14, 10, 0x2000
	s_delay_alu instid0(VALU_DEP_1) | instskip(NEXT) | instid1(VALU_DEP_1)
	v_and_or_b32 v13, 0x8000, v13, v14
	v_lshl_or_b32 v0, v0, 7, v13
	s_delay_alu instid0(VALU_DEP_1)
	v_cvt_f32_f16_e32 v99, v0
.LBB316_767:                            ;   in Loop: Header=BB316_488 Depth=1
	s_or_b32 exec_lo, exec_lo, s15
.LBB316_768:                            ;   in Loop: Header=BB316_488 Depth=1
	s_delay_alu instid0(SALU_CYCLE_1)
	s_or_b32 exec_lo, exec_lo, s13
.LBB316_769:                            ;   in Loop: Header=BB316_488 Depth=1
	s_delay_alu instid0(SALU_CYCLE_1) | instskip(SKIP_3) | instid1(VALU_DEP_2)
	s_or_b32 exec_lo, exec_lo, s12
	v_lshrrev_b32_e32 v13, 16, v11
	v_mov_b32_e32 v100, 0
	s_mov_b32 s12, exec_lo
	v_dual_mov_b32 v101, 0 :: v_dual_and_b32 v0, 0xff, v13
	s_delay_alu instid0(VALU_DEP_1)
	v_cmpx_ne_u16_e32 0, v0
	s_cbranch_execz .LBB316_777
; %bb.770:                              ;   in Loop: Header=BB316_488 Depth=1
	v_bfrev_b32_e32 v100, 1
	s_mov_b32 s13, exec_lo
	v_cmpx_ne_u16_e32 0x80, v0
	s_cbranch_execz .LBB316_776
; %bb.771:                              ;   in Loop: Header=BB316_488 Depth=1
	v_bfe_u32 v102, v11, 16, 7
	v_mov_b32_e32 v100, 0x7fc02000
	s_mov_b32 s15, exec_lo
	s_delay_alu instid0(VALU_DEP_2)
	v_cmpx_ne_u32_e32 0x7f, v102
	s_cbranch_execz .LBB316_775
; %bb.772:                              ;   in Loop: Header=BB316_488 Depth=1
	v_and_b32_e32 v0, 7, v13
	v_lshrrev_b32_e32 v14, 3, v102
	s_mov_b32 s16, exec_lo
	v_cmpx_gt_u32_e32 8, v102
; %bb.773:                              ;   in Loop: Header=BB316_488 Depth=1
	s_delay_alu instid0(VALU_DEP_3) | instskip(NEXT) | instid1(VALU_DEP_1)
	v_clz_i32_u32_e32 v14, v0
	v_min_u32_e32 v14, 32, v14
	s_delay_alu instid0(VALU_DEP_1) | instskip(SKIP_1) | instid1(VALU_DEP_2)
	v_subrev_nc_u32_e32 v100, 28, v14
	v_sub_nc_u32_e32 v14, 29, v14
	v_lshlrev_b64 v[102:103], v100, v[0:1]
	s_delay_alu instid0(VALU_DEP_1)
	v_and_b32_e32 v0, 7, v102
; %bb.774:                              ;   in Loop: Header=BB316_488 Depth=1
	s_or_b32 exec_lo, exec_lo, s16
	v_lshlrev_b32_e32 v13, 8, v13
	v_lshl_add_u32 v14, v14, 10, 0x2000
	s_delay_alu instid0(VALU_DEP_1) | instskip(NEXT) | instid1(VALU_DEP_1)
	v_and_or_b32 v13, 0x8000, v13, v14
	v_lshl_or_b32 v0, v0, 7, v13
	s_delay_alu instid0(VALU_DEP_1)
	v_cvt_f32_f16_e32 v100, v0
.LBB316_775:                            ;   in Loop: Header=BB316_488 Depth=1
	s_or_b32 exec_lo, exec_lo, s15
.LBB316_776:                            ;   in Loop: Header=BB316_488 Depth=1
	s_delay_alu instid0(SALU_CYCLE_1)
	s_or_b32 exec_lo, exec_lo, s13
.LBB316_777:                            ;   in Loop: Header=BB316_488 Depth=1
	s_delay_alu instid0(SALU_CYCLE_1) | instskip(NEXT) | instid1(SALU_CYCLE_1)
	s_or_b32 exec_lo, exec_lo, s12
	s_mov_b32 s12, exec_lo
	v_cmpx_lt_u32_e32 0xffffff, v11
	s_cbranch_execz .LBB316_785
; %bb.778:                              ;   in Loop: Header=BB316_488 Depth=1
	v_lshrrev_b32_e32 v13, 24, v11
	v_bfrev_b32_e32 v101, 1
	s_mov_b32 s13, exec_lo
	s_delay_alu instid0(VALU_DEP_2)
	v_cmpx_ne_u32_e32 0x80, v13
	s_cbranch_execz .LBB316_784
; %bb.779:                              ;   in Loop: Header=BB316_488 Depth=1
	v_and_b32_e32 v102, 0x7f, v13
	v_mov_b32_e32 v101, 0x7fc02000
	s_mov_b32 s15, exec_lo
	s_delay_alu instid0(VALU_DEP_2)
	v_cmpx_ne_u32_e32 0x7f, v102
	s_cbranch_execz .LBB316_783
; %bb.780:                              ;   in Loop: Header=BB316_488 Depth=1
	v_and_b32_e32 v0, 7, v13
	v_lshrrev_b32_e32 v14, 3, v102
	s_mov_b32 s16, exec_lo
	v_cmpx_gt_u32_e32 8, v102
; %bb.781:                              ;   in Loop: Header=BB316_488 Depth=1
	s_delay_alu instid0(VALU_DEP_3) | instskip(NEXT) | instid1(VALU_DEP_1)
	v_clz_i32_u32_e32 v14, v0
	v_min_u32_e32 v14, 32, v14
	s_delay_alu instid0(VALU_DEP_1) | instskip(SKIP_1) | instid1(VALU_DEP_2)
	v_subrev_nc_u32_e32 v101, 28, v14
	v_sub_nc_u32_e32 v14, 29, v14
	v_lshlrev_b64 v[101:102], v101, v[0:1]
	s_delay_alu instid0(VALU_DEP_1)
	v_and_b32_e32 v0, 7, v101
; %bb.782:                              ;   in Loop: Header=BB316_488 Depth=1
	s_or_b32 exec_lo, exec_lo, s16
	v_lshlrev_b32_e32 v13, 8, v13
	v_lshl_add_u32 v14, v14, 10, 0x2000
	s_delay_alu instid0(VALU_DEP_1) | instskip(NEXT) | instid1(VALU_DEP_1)
	v_and_or_b32 v13, 0x8000, v13, v14
	v_lshl_or_b32 v0, v0, 7, v13
	s_delay_alu instid0(VALU_DEP_1)
	v_cvt_f32_f16_e32 v101, v0
.LBB316_783:                            ;   in Loop: Header=BB316_488 Depth=1
	s_or_b32 exec_lo, exec_lo, s15
.LBB316_784:                            ;   in Loop: Header=BB316_488 Depth=1
	s_delay_alu instid0(SALU_CYCLE_1)
	s_or_b32 exec_lo, exec_lo, s13
.LBB316_785:                            ;   in Loop: Header=BB316_488 Depth=1
	s_delay_alu instid0(SALU_CYCLE_1) | instskip(SKIP_4) | instid1(VALU_DEP_3)
	s_or_b32 exec_lo, exec_lo, s12
	v_dual_mov_b32 v13, 0 :: v_dual_and_b32 v14, 0xff, v12
	v_mov_b32_e32 v0, v12
	v_mov_b32_e32 v102, 0
	s_mov_b32 s12, exec_lo
	v_cmpx_ne_u16_e32 0, v14
	s_cbranch_execz .LBB316_793
; %bb.786:                              ;   in Loop: Header=BB316_488 Depth=1
	v_bfrev_b32_e32 v13, 1
	s_mov_b32 s13, exec_lo
	v_cmpx_ne_u16_e32 0x80, v14
	s_cbranch_execz .LBB316_792
; %bb.787:                              ;   in Loop: Header=BB316_488 Depth=1
	v_and_b32_e32 v14, 0x7f, v12
	v_mov_b32_e32 v13, 0x7fc02000
	s_mov_b32 s15, exec_lo
	s_delay_alu instid0(VALU_DEP_2)
	v_cmpx_ne_u32_e32 0x7f, v14
	s_cbranch_execz .LBB316_791
; %bb.788:                              ;   in Loop: Header=BB316_488 Depth=1
	v_lshrrev_b32_e32 v103, 3, v14
	v_cmp_gt_u32_e64 s0, 8, v14
	v_dual_mov_b32 v14, v1 :: v_dual_mov_b32 v13, v0
	s_delay_alu instid0(VALU_DEP_2)
	s_and_saveexec_b32 s16, s0
; %bb.789:                              ;   in Loop: Header=BB316_488 Depth=1
	v_and_b32_e32 v13, 7, v12
	s_delay_alu instid0(VALU_DEP_1) | instskip(NEXT) | instid1(VALU_DEP_1)
	v_clz_i32_u32_e32 v13, v13
	v_min_u32_e32 v103, 32, v13
	s_delay_alu instid0(VALU_DEP_1) | instskip(SKIP_1) | instid1(VALU_DEP_2)
	v_subrev_nc_u32_e32 v13, 28, v103
	v_sub_nc_u32_e32 v103, 29, v103
	v_lshlrev_b64 v[13:14], v13, v[0:1]
; %bb.790:                              ;   in Loop: Header=BB316_488 Depth=1
	s_or_b32 exec_lo, exec_lo, s16
	v_lshlrev_b32_e32 v14, 8, v12
	s_delay_alu instid0(VALU_DEP_3) | instskip(NEXT) | instid1(VALU_DEP_3)
	v_lshl_add_u32 v103, v103, 10, 0x2000
	v_lshlrev_b32_e32 v13, 7, v13
	s_delay_alu instid0(VALU_DEP_2) | instskip(NEXT) | instid1(VALU_DEP_1)
	v_and_or_b32 v14, 0x8000, v14, v103
	v_and_or_b32 v13, 0x380, v13, v14
	s_delay_alu instid0(VALU_DEP_1)
	v_cvt_f32_f16_e32 v13, v13
.LBB316_791:                            ;   in Loop: Header=BB316_488 Depth=1
	s_or_b32 exec_lo, exec_lo, s15
.LBB316_792:                            ;   in Loop: Header=BB316_488 Depth=1
	s_delay_alu instid0(SALU_CYCLE_1)
	s_or_b32 exec_lo, exec_lo, s13
.LBB316_793:                            ;   in Loop: Header=BB316_488 Depth=1
	s_delay_alu instid0(SALU_CYCLE_1) | instskip(SKIP_2) | instid1(VALU_DEP_1)
	s_or_b32 exec_lo, exec_lo, s12
	v_lshrrev_b16 v0, 8, v0
	s_mov_b32 s12, exec_lo
	v_cmpx_ne_u16_e32 0, v0
	s_cbranch_execz .LBB316_801
; %bb.794:                              ;   in Loop: Header=BB316_488 Depth=1
	v_bfrev_b32_e32 v102, 1
	s_mov_b32 s13, exec_lo
	v_cmpx_ne_u16_e32 0x80, v0
	s_cbranch_execz .LBB316_800
; %bb.795:                              ;   in Loop: Header=BB316_488 Depth=1
	v_and_b32_e32 v14, 0xffff, v0
	v_mov_b32_e32 v102, 0x7fc02000
	s_mov_b32 s15, exec_lo
	s_delay_alu instid0(VALU_DEP_2) | instskip(NEXT) | instid1(VALU_DEP_1)
	v_and_b32_e32 v103, 0x7f, v14
	v_cmpx_ne_u32_e32 0x7f, v103
	s_cbranch_execz .LBB316_799
; %bb.796:                              ;   in Loop: Header=BB316_488 Depth=1
	v_and_b32_e32 v0, 7, v14
	v_lshrrev_b32_e32 v102, 3, v103
	s_mov_b32 s16, exec_lo
	v_cmpx_gt_u32_e32 8, v103
; %bb.797:                              ;   in Loop: Header=BB316_488 Depth=1
	s_delay_alu instid0(VALU_DEP_3) | instskip(NEXT) | instid1(VALU_DEP_1)
	v_clz_i32_u32_e32 v102, v0
	v_min_u32_e32 v102, 32, v102
	s_delay_alu instid0(VALU_DEP_1) | instskip(SKIP_1) | instid1(VALU_DEP_2)
	v_subrev_nc_u32_e32 v103, 28, v102
	v_sub_nc_u32_e32 v102, 29, v102
	v_lshlrev_b64 v[112:113], v103, v[0:1]
	s_delay_alu instid0(VALU_DEP_1)
	v_and_b32_e32 v0, 7, v112
; %bb.798:                              ;   in Loop: Header=BB316_488 Depth=1
	s_or_b32 exec_lo, exec_lo, s16
	v_lshlrev_b32_e32 v14, 8, v14
	v_lshl_add_u32 v102, v102, 10, 0x2000
	s_delay_alu instid0(VALU_DEP_1) | instskip(NEXT) | instid1(VALU_DEP_1)
	v_and_or_b32 v14, 0x8000, v14, v102
	v_lshl_or_b32 v0, v0, 7, v14
	s_delay_alu instid0(VALU_DEP_1)
	v_cvt_f32_f16_e32 v102, v0
.LBB316_799:                            ;   in Loop: Header=BB316_488 Depth=1
	s_or_b32 exec_lo, exec_lo, s15
.LBB316_800:                            ;   in Loop: Header=BB316_488 Depth=1
	s_delay_alu instid0(SALU_CYCLE_1)
	s_or_b32 exec_lo, exec_lo, s13
.LBB316_801:                            ;   in Loop: Header=BB316_488 Depth=1
	s_delay_alu instid0(SALU_CYCLE_1) | instskip(SKIP_3) | instid1(VALU_DEP_2)
	s_or_b32 exec_lo, exec_lo, s12
	v_lshrrev_b32_e32 v112, 16, v12
	v_mov_b32_e32 v14, 0
	s_mov_b32 s12, exec_lo
	v_dual_mov_b32 v103, 0 :: v_dual_and_b32 v0, 0xff, v112
	s_delay_alu instid0(VALU_DEP_1)
	v_cmpx_ne_u16_e32 0, v0
	s_cbranch_execz .LBB316_809
; %bb.802:                              ;   in Loop: Header=BB316_488 Depth=1
	v_bfrev_b32_e32 v14, 1
	s_mov_b32 s13, exec_lo
	v_cmpx_ne_u16_e32 0x80, v0
	s_cbranch_execz .LBB316_808
; %bb.803:                              ;   in Loop: Header=BB316_488 Depth=1
	v_bfe_u32 v113, v12, 16, 7
	v_mov_b32_e32 v14, 0x7fc02000
	s_mov_b32 s15, exec_lo
	s_delay_alu instid0(VALU_DEP_2)
	v_cmpx_ne_u32_e32 0x7f, v113
	s_cbranch_execz .LBB316_807
; %bb.804:                              ;   in Loop: Header=BB316_488 Depth=1
	v_and_b32_e32 v0, 7, v112
	v_lshrrev_b32_e32 v14, 3, v113
	s_mov_b32 s16, exec_lo
	v_cmpx_gt_u32_e32 8, v113
; %bb.805:                              ;   in Loop: Header=BB316_488 Depth=1
	s_delay_alu instid0(VALU_DEP_3) | instskip(NEXT) | instid1(VALU_DEP_1)
	v_clz_i32_u32_e32 v14, v0
	v_min_u32_e32 v14, 32, v14
	s_delay_alu instid0(VALU_DEP_1) | instskip(SKIP_1) | instid1(VALU_DEP_2)
	v_subrev_nc_u32_e32 v113, 28, v14
	v_sub_nc_u32_e32 v14, 29, v14
	v_lshlrev_b64 v[113:114], v113, v[0:1]
	s_delay_alu instid0(VALU_DEP_1)
	v_and_b32_e32 v0, 7, v113
; %bb.806:                              ;   in Loop: Header=BB316_488 Depth=1
	s_or_b32 exec_lo, exec_lo, s16
	v_lshlrev_b32_e32 v112, 8, v112
	v_lshl_add_u32 v14, v14, 10, 0x2000
	s_delay_alu instid0(VALU_DEP_1) | instskip(NEXT) | instid1(VALU_DEP_1)
	v_and_or_b32 v14, 0x8000, v112, v14
	v_lshl_or_b32 v0, v0, 7, v14
	s_delay_alu instid0(VALU_DEP_1)
	v_cvt_f32_f16_e32 v14, v0
.LBB316_807:                            ;   in Loop: Header=BB316_488 Depth=1
	s_or_b32 exec_lo, exec_lo, s15
.LBB316_808:                            ;   in Loop: Header=BB316_488 Depth=1
	s_delay_alu instid0(SALU_CYCLE_1)
	s_or_b32 exec_lo, exec_lo, s13
.LBB316_809:                            ;   in Loop: Header=BB316_488 Depth=1
	s_delay_alu instid0(SALU_CYCLE_1) | instskip(NEXT) | instid1(SALU_CYCLE_1)
	s_or_b32 exec_lo, exec_lo, s12
	s_mov_b32 s12, exec_lo
	v_cmpx_lt_u64_e64 s[8:9], v[11:12]
	s_cbranch_execz .LBB316_817
; %bb.810:                              ;   in Loop: Header=BB316_488 Depth=1
	v_lshrrev_b32_e32 v11, 24, v12
	v_bfrev_b32_e32 v103, 1
	s_mov_b32 s13, exec_lo
	s_delay_alu instid0(VALU_DEP_2)
	v_cmpx_ne_u32_e32 0x80, v11
	s_cbranch_execz .LBB316_816
; %bb.811:                              ;   in Loop: Header=BB316_488 Depth=1
	v_and_b32_e32 v112, 0x7f, v11
	v_mov_b32_e32 v103, 0x7fc02000
	s_mov_b32 s15, exec_lo
	s_delay_alu instid0(VALU_DEP_2)
	v_cmpx_ne_u32_e32 0x7f, v112
	s_cbranch_execz .LBB316_815
; %bb.812:                              ;   in Loop: Header=BB316_488 Depth=1
	v_and_b32_e32 v0, 7, v11
	v_lshrrev_b32_e32 v12, 3, v112
	s_mov_b32 s16, exec_lo
	v_cmpx_gt_u32_e32 8, v112
; %bb.813:                              ;   in Loop: Header=BB316_488 Depth=1
	s_delay_alu instid0(VALU_DEP_3) | instskip(NEXT) | instid1(VALU_DEP_1)
	v_clz_i32_u32_e32 v12, v0
	v_min_u32_e32 v12, 32, v12
	s_delay_alu instid0(VALU_DEP_1) | instskip(SKIP_1) | instid1(VALU_DEP_2)
	v_subrev_nc_u32_e32 v103, 28, v12
	v_sub_nc_u32_e32 v12, 29, v12
	v_lshlrev_b64 v[112:113], v103, v[0:1]
	s_delay_alu instid0(VALU_DEP_1)
	v_and_b32_e32 v0, 7, v112
; %bb.814:                              ;   in Loop: Header=BB316_488 Depth=1
	s_or_b32 exec_lo, exec_lo, s16
	v_lshlrev_b32_e32 v11, 8, v11
	v_lshl_add_u32 v12, v12, 10, 0x2000
	s_delay_alu instid0(VALU_DEP_1) | instskip(NEXT) | instid1(VALU_DEP_1)
	v_and_or_b32 v11, 0x8000, v11, v12
	v_lshl_or_b32 v0, v0, 7, v11
	s_delay_alu instid0(VALU_DEP_1)
	v_cvt_f32_f16_e32 v103, v0
.LBB316_815:                            ;   in Loop: Header=BB316_488 Depth=1
	s_or_b32 exec_lo, exec_lo, s15
.LBB316_816:                            ;   in Loop: Header=BB316_488 Depth=1
	s_delay_alu instid0(SALU_CYCLE_1)
	s_or_b32 exec_lo, exec_lo, s13
.LBB316_817:                            ;   in Loop: Header=BB316_488 Depth=1
	s_delay_alu instid0(SALU_CYCLE_1)
	s_or_b32 exec_lo, exec_lo, s12
	s_waitcnt vmcnt(0) lgkmcnt(0)
	v_fma_mixlo_f16 v12, v97, v99, 0
	v_fma_mixlo_f16 v0, v97, v101, 0
	;; [unrolled: 1-line block ×5, first 2 shown]
	v_lshlrev_b32_e32 v99, 16, v12
	v_fma_mixlo_f16 v13, v97, v13, 0
	v_fma_mixlo_f16 v101, v97, v103, 0
	;; [unrolled: 1-line block ×3, first 2 shown]
	v_lshlrev_b32_e32 v0, 16, v0
	v_and_b32_e32 v11, 0xffff, v11
	v_and_b32_e32 v14, 0xffff, v98
	v_lshlrev_b32_e32 v97, 16, v100
	v_and_b32_e32 v98, 0xffff, v13
	v_lshlrev_b32_e32 v100, 16, v101
	v_and_b32_e32 v101, 0xffff, v12
	v_or_b32_e32 v13, v0, v11
	v_or_b32_e32 v14, v99, v14
	;; [unrolled: 1-line block ×3, first 2 shown]
	s_delay_alu instid0(VALU_DEP_4)
	v_or_b32_e32 v11, v100, v101
	s_and_saveexec_b32 s12, vcc_lo
	s_cbranch_execz .LBB316_819
; %bb.818:                              ;   in Loop: Header=BB316_488 Depth=1
	v_cmp_lt_i32_e64 s0, v18, v35
	v_lshrrev_b32_e32 v97, 16, v14
	v_lshrrev_b32_e32 v98, 16, v13
	;; [unrolled: 1-line block ×4, first 2 shown]
	v_cndmask_b32_e64 v14, 0, v14, s0
	v_cmp_lt_i32_e64 s0, v68, v51
	s_delay_alu instid0(VALU_DEP_1) | instskip(SKIP_1) | instid1(VALU_DEP_2)
	v_cndmask_b32_e64 v97, 0, v97, s0
	v_cmp_lt_i32_e64 s0, v67, v51
	v_perm_b32 v14, v97, v14, 0x5040100
	s_delay_alu instid0(VALU_DEP_2) | instskip(SKIP_1) | instid1(VALU_DEP_1)
	v_cndmask_b32_e64 v98, 0, v98, s0
	v_cmp_lt_i32_e64 s0, v66, v35
	v_cndmask_b32_e64 v13, 0, v13, s0
	v_cmp_lt_i32_e64 s0, v65, v51
	s_delay_alu instid0(VALU_DEP_2) | instskip(NEXT) | instid1(VALU_DEP_2)
	v_perm_b32 v13, v98, v13, 0x5040100
	v_cndmask_b32_e64 v99, 0, v99, s0
	v_cmp_lt_i32_e64 s0, v64, v35
	s_delay_alu instid0(VALU_DEP_1) | instskip(SKIP_1) | instid1(VALU_DEP_2)
	v_cndmask_b32_e64 v0, 0, v0, s0
	v_cmp_lt_i32_e64 s0, v54, v51
	v_perm_b32 v0, v99, v0, 0x5040100
	s_delay_alu instid0(VALU_DEP_2) | instskip(SKIP_1) | instid1(VALU_DEP_1)
	v_cndmask_b32_e64 v11, 0, v11, s0
	v_cmp_lt_i32_e64 s0, v19, v35
	v_cndmask_b32_e64 v12, 0, v12, s0
	s_delay_alu instid0(VALU_DEP_1)
	v_perm_b32 v11, v11, v12, 0x5040100
.LBB316_819:                            ;   in Loop: Header=BB316_488 Depth=1
	s_or_b32 exec_lo, exec_lo, s12
	;;#ASMSTART
	v_pk_mul_f16 v12, v82, v14;

	;;#ASMEND
	;;#ASMSTART
	v_pk_mul_f16 v13, v81, v13;

	;;#ASMEND
	;;#ASMSTART
	v_pk_mul_f16 v0, v80, v0;

	;;#ASMEND
	;;#ASMSTART
	v_pk_mul_f16 v11, v71, v11;

	;;#ASMEND
	;;#ASMSTART
	v_pk_add_f16 v12, v12, v13;

	;;#ASMEND
	;;#ASMSTART
	v_pk_add_f16 v0, v12, v0;

	;;#ASMEND
	;; [unrolled: 4-line block ×3, first 2 shown]
	v_dual_mov_b32 v100, 0 :: v_dual_and_b32 v11, 0xffff, v0
	v_lshrrev_b32_e32 v0, 16, v0
	;;#ASMSTART
	v_cvt_f32_f16 v97, v11;
	;;#ASMEND
	;;#ASMSTART
	v_cvt_f32_f16 v98, v0;
	;;#ASMEND
	flat_load_b64 v[11:12], v[9:10] offset:1280
	flat_load_b32 v99, v[26:27]
	s_mov_b32 s12, exec_lo
	s_waitcnt vmcnt(1) lgkmcnt(1)
	v_dual_mov_b32 v101, 0 :: v_dual_and_b32 v0, 0xff, v11
	s_delay_alu instid0(VALU_DEP_1)
	v_cmpx_ne_u16_e32 0, v0
	s_cbranch_execz .LBB316_827
; %bb.820:                              ;   in Loop: Header=BB316_488 Depth=1
	v_bfrev_b32_e32 v100, 1
	s_mov_b32 s13, exec_lo
	v_cmpx_ne_u16_e32 0x80, v0
	s_cbranch_execz .LBB316_826
; %bb.821:                              ;   in Loop: Header=BB316_488 Depth=1
	v_and_b32_e32 v13, 0x7f, v11
	v_mov_b32_e32 v100, 0x7fc02000
	s_mov_b32 s15, exec_lo
	s_delay_alu instid0(VALU_DEP_2)
	v_cmpx_ne_u32_e32 0x7f, v13
	s_cbranch_execz .LBB316_825
; %bb.822:                              ;   in Loop: Header=BB316_488 Depth=1
	v_lshrrev_b32_e32 v0, 3, v13
	v_cmp_gt_u32_e64 s0, 8, v13
	v_dual_mov_b32 v14, v12 :: v_dual_mov_b32 v13, v11
	s_delay_alu instid0(VALU_DEP_2)
	s_and_saveexec_b32 s16, s0
; %bb.823:                              ;   in Loop: Header=BB316_488 Depth=1
	v_and_b32_e32 v0, 7, v11
	s_delay_alu instid0(VALU_DEP_1) | instskip(NEXT) | instid1(VALU_DEP_1)
	v_clz_i32_u32_e32 v0, v0
	v_min_u32_e32 v0, 32, v0
	s_delay_alu instid0(VALU_DEP_1) | instskip(SKIP_1) | instid1(VALU_DEP_2)
	v_subrev_nc_u32_e32 v13, 28, v0
	v_sub_nc_u32_e32 v0, 29, v0
	v_lshlrev_b64 v[13:14], v13, v[11:12]
; %bb.824:                              ;   in Loop: Header=BB316_488 Depth=1
	s_or_b32 exec_lo, exec_lo, s16
	v_lshlrev_b32_e32 v14, 8, v11
	s_delay_alu instid0(VALU_DEP_3) | instskip(NEXT) | instid1(VALU_DEP_3)
	v_lshl_add_u32 v0, v0, 10, 0x2000
	v_lshlrev_b32_e32 v13, 7, v13
	s_delay_alu instid0(VALU_DEP_2) | instskip(NEXT) | instid1(VALU_DEP_1)
	v_and_or_b32 v0, 0x8000, v14, v0
	v_and_or_b32 v0, 0x380, v13, v0
	s_delay_alu instid0(VALU_DEP_1)
	v_cvt_f32_f16_e32 v100, v0
.LBB316_825:                            ;   in Loop: Header=BB316_488 Depth=1
	s_or_b32 exec_lo, exec_lo, s15
.LBB316_826:                            ;   in Loop: Header=BB316_488 Depth=1
	s_delay_alu instid0(SALU_CYCLE_1)
	s_or_b32 exec_lo, exec_lo, s13
.LBB316_827:                            ;   in Loop: Header=BB316_488 Depth=1
	s_delay_alu instid0(SALU_CYCLE_1) | instskip(SKIP_2) | instid1(VALU_DEP_1)
	s_or_b32 exec_lo, exec_lo, s12
	v_lshrrev_b16 v0, 8, v11
	s_mov_b32 s12, exec_lo
	v_cmpx_ne_u16_e32 0, v0
	s_cbranch_execz .LBB316_835
; %bb.828:                              ;   in Loop: Header=BB316_488 Depth=1
	v_bfrev_b32_e32 v101, 1
	s_mov_b32 s13, exec_lo
	v_cmpx_ne_u16_e32 0x80, v0
	s_cbranch_execz .LBB316_834
; %bb.829:                              ;   in Loop: Header=BB316_488 Depth=1
	v_and_b32_e32 v13, 0xffff, v0
	v_mov_b32_e32 v101, 0x7fc02000
	s_mov_b32 s15, exec_lo
	s_delay_alu instid0(VALU_DEP_2) | instskip(NEXT) | instid1(VALU_DEP_1)
	v_and_b32_e32 v102, 0x7f, v13
	v_cmpx_ne_u32_e32 0x7f, v102
	s_cbranch_execz .LBB316_833
; %bb.830:                              ;   in Loop: Header=BB316_488 Depth=1
	v_and_b32_e32 v0, 7, v13
	v_lshrrev_b32_e32 v14, 3, v102
	s_mov_b32 s16, exec_lo
	v_cmpx_gt_u32_e32 8, v102
; %bb.831:                              ;   in Loop: Header=BB316_488 Depth=1
	s_delay_alu instid0(VALU_DEP_3) | instskip(NEXT) | instid1(VALU_DEP_1)
	v_clz_i32_u32_e32 v14, v0
	v_min_u32_e32 v14, 32, v14
	s_delay_alu instid0(VALU_DEP_1) | instskip(SKIP_1) | instid1(VALU_DEP_2)
	v_subrev_nc_u32_e32 v101, 28, v14
	v_sub_nc_u32_e32 v14, 29, v14
	v_lshlrev_b64 v[101:102], v101, v[0:1]
	s_delay_alu instid0(VALU_DEP_1)
	v_and_b32_e32 v0, 7, v101
; %bb.832:                              ;   in Loop: Header=BB316_488 Depth=1
	s_or_b32 exec_lo, exec_lo, s16
	v_lshlrev_b32_e32 v13, 8, v13
	v_lshl_add_u32 v14, v14, 10, 0x2000
	s_delay_alu instid0(VALU_DEP_1) | instskip(NEXT) | instid1(VALU_DEP_1)
	v_and_or_b32 v13, 0x8000, v13, v14
	v_lshl_or_b32 v0, v0, 7, v13
	s_delay_alu instid0(VALU_DEP_1)
	v_cvt_f32_f16_e32 v101, v0
.LBB316_833:                            ;   in Loop: Header=BB316_488 Depth=1
	s_or_b32 exec_lo, exec_lo, s15
.LBB316_834:                            ;   in Loop: Header=BB316_488 Depth=1
	s_delay_alu instid0(SALU_CYCLE_1)
	s_or_b32 exec_lo, exec_lo, s13
.LBB316_835:                            ;   in Loop: Header=BB316_488 Depth=1
	s_delay_alu instid0(SALU_CYCLE_1) | instskip(SKIP_3) | instid1(VALU_DEP_2)
	s_or_b32 exec_lo, exec_lo, s12
	v_lshrrev_b32_e32 v13, 16, v11
	v_mov_b32_e32 v102, 0
	s_mov_b32 s12, exec_lo
	v_dual_mov_b32 v103, 0 :: v_dual_and_b32 v0, 0xff, v13
	s_delay_alu instid0(VALU_DEP_1)
	v_cmpx_ne_u16_e32 0, v0
	s_cbranch_execz .LBB316_843
; %bb.836:                              ;   in Loop: Header=BB316_488 Depth=1
	v_bfrev_b32_e32 v102, 1
	s_mov_b32 s13, exec_lo
	v_cmpx_ne_u16_e32 0x80, v0
	s_cbranch_execz .LBB316_842
; %bb.837:                              ;   in Loop: Header=BB316_488 Depth=1
	v_bfe_u32 v112, v11, 16, 7
	v_mov_b32_e32 v102, 0x7fc02000
	s_mov_b32 s15, exec_lo
	s_delay_alu instid0(VALU_DEP_2)
	v_cmpx_ne_u32_e32 0x7f, v112
	s_cbranch_execz .LBB316_841
; %bb.838:                              ;   in Loop: Header=BB316_488 Depth=1
	v_and_b32_e32 v0, 7, v13
	v_lshrrev_b32_e32 v14, 3, v112
	s_mov_b32 s16, exec_lo
	v_cmpx_gt_u32_e32 8, v112
; %bb.839:                              ;   in Loop: Header=BB316_488 Depth=1
	s_delay_alu instid0(VALU_DEP_3) | instskip(NEXT) | instid1(VALU_DEP_1)
	v_clz_i32_u32_e32 v14, v0
	v_min_u32_e32 v14, 32, v14
	s_delay_alu instid0(VALU_DEP_1) | instskip(SKIP_1) | instid1(VALU_DEP_2)
	v_subrev_nc_u32_e32 v102, 28, v14
	v_sub_nc_u32_e32 v14, 29, v14
	v_lshlrev_b64 v[112:113], v102, v[0:1]
	s_delay_alu instid0(VALU_DEP_1)
	v_and_b32_e32 v0, 7, v112
; %bb.840:                              ;   in Loop: Header=BB316_488 Depth=1
	s_or_b32 exec_lo, exec_lo, s16
	v_lshlrev_b32_e32 v13, 8, v13
	v_lshl_add_u32 v14, v14, 10, 0x2000
	s_delay_alu instid0(VALU_DEP_1) | instskip(NEXT) | instid1(VALU_DEP_1)
	v_and_or_b32 v13, 0x8000, v13, v14
	v_lshl_or_b32 v0, v0, 7, v13
	s_delay_alu instid0(VALU_DEP_1)
	v_cvt_f32_f16_e32 v102, v0
.LBB316_841:                            ;   in Loop: Header=BB316_488 Depth=1
	s_or_b32 exec_lo, exec_lo, s15
.LBB316_842:                            ;   in Loop: Header=BB316_488 Depth=1
	s_delay_alu instid0(SALU_CYCLE_1)
	s_or_b32 exec_lo, exec_lo, s13
.LBB316_843:                            ;   in Loop: Header=BB316_488 Depth=1
	s_delay_alu instid0(SALU_CYCLE_1) | instskip(NEXT) | instid1(SALU_CYCLE_1)
	s_or_b32 exec_lo, exec_lo, s12
	s_mov_b32 s12, exec_lo
	v_cmpx_lt_u32_e32 0xffffff, v11
	s_cbranch_execz .LBB316_851
; %bb.844:                              ;   in Loop: Header=BB316_488 Depth=1
	v_lshrrev_b32_e32 v13, 24, v11
	v_bfrev_b32_e32 v103, 1
	s_mov_b32 s13, exec_lo
	s_delay_alu instid0(VALU_DEP_2)
	v_cmpx_ne_u32_e32 0x80, v13
	s_cbranch_execz .LBB316_850
; %bb.845:                              ;   in Loop: Header=BB316_488 Depth=1
	v_and_b32_e32 v112, 0x7f, v13
	v_mov_b32_e32 v103, 0x7fc02000
	s_mov_b32 s15, exec_lo
	s_delay_alu instid0(VALU_DEP_2)
	v_cmpx_ne_u32_e32 0x7f, v112
	s_cbranch_execz .LBB316_849
; %bb.846:                              ;   in Loop: Header=BB316_488 Depth=1
	v_and_b32_e32 v0, 7, v13
	v_lshrrev_b32_e32 v14, 3, v112
	s_mov_b32 s16, exec_lo
	v_cmpx_gt_u32_e32 8, v112
; %bb.847:                              ;   in Loop: Header=BB316_488 Depth=1
	s_delay_alu instid0(VALU_DEP_3) | instskip(NEXT) | instid1(VALU_DEP_1)
	v_clz_i32_u32_e32 v14, v0
	v_min_u32_e32 v14, 32, v14
	s_delay_alu instid0(VALU_DEP_1) | instskip(SKIP_1) | instid1(VALU_DEP_2)
	v_subrev_nc_u32_e32 v103, 28, v14
	v_sub_nc_u32_e32 v14, 29, v14
	v_lshlrev_b64 v[112:113], v103, v[0:1]
	s_delay_alu instid0(VALU_DEP_1)
	v_and_b32_e32 v0, 7, v112
; %bb.848:                              ;   in Loop: Header=BB316_488 Depth=1
	s_or_b32 exec_lo, exec_lo, s16
	v_lshlrev_b32_e32 v13, 8, v13
	v_lshl_add_u32 v14, v14, 10, 0x2000
	s_delay_alu instid0(VALU_DEP_1) | instskip(NEXT) | instid1(VALU_DEP_1)
	v_and_or_b32 v13, 0x8000, v13, v14
	v_lshl_or_b32 v0, v0, 7, v13
	s_delay_alu instid0(VALU_DEP_1)
	v_cvt_f32_f16_e32 v103, v0
.LBB316_849:                            ;   in Loop: Header=BB316_488 Depth=1
	s_or_b32 exec_lo, exec_lo, s15
.LBB316_850:                            ;   in Loop: Header=BB316_488 Depth=1
	s_delay_alu instid0(SALU_CYCLE_1)
	s_or_b32 exec_lo, exec_lo, s13
.LBB316_851:                            ;   in Loop: Header=BB316_488 Depth=1
	s_delay_alu instid0(SALU_CYCLE_1) | instskip(SKIP_4) | instid1(VALU_DEP_3)
	s_or_b32 exec_lo, exec_lo, s12
	v_dual_mov_b32 v13, 0 :: v_dual_and_b32 v14, 0xff, v12
	v_mov_b32_e32 v0, v12
	v_mov_b32_e32 v112, 0
	s_mov_b32 s12, exec_lo
	v_cmpx_ne_u16_e32 0, v14
	s_cbranch_execz .LBB316_859
; %bb.852:                              ;   in Loop: Header=BB316_488 Depth=1
	v_bfrev_b32_e32 v13, 1
	s_mov_b32 s13, exec_lo
	v_cmpx_ne_u16_e32 0x80, v14
	s_cbranch_execz .LBB316_858
; %bb.853:                              ;   in Loop: Header=BB316_488 Depth=1
	v_and_b32_e32 v14, 0x7f, v12
	v_mov_b32_e32 v13, 0x7fc02000
	s_mov_b32 s15, exec_lo
	s_delay_alu instid0(VALU_DEP_2)
	v_cmpx_ne_u32_e32 0x7f, v14
	s_cbranch_execz .LBB316_857
; %bb.854:                              ;   in Loop: Header=BB316_488 Depth=1
	v_lshrrev_b32_e32 v113, 3, v14
	v_cmp_gt_u32_e64 s0, 8, v14
	v_dual_mov_b32 v14, v1 :: v_dual_mov_b32 v13, v0
	s_delay_alu instid0(VALU_DEP_2)
	s_and_saveexec_b32 s16, s0
; %bb.855:                              ;   in Loop: Header=BB316_488 Depth=1
	v_and_b32_e32 v13, 7, v12
	s_delay_alu instid0(VALU_DEP_1) | instskip(NEXT) | instid1(VALU_DEP_1)
	v_clz_i32_u32_e32 v13, v13
	v_min_u32_e32 v113, 32, v13
	s_delay_alu instid0(VALU_DEP_1) | instskip(SKIP_1) | instid1(VALU_DEP_2)
	v_subrev_nc_u32_e32 v13, 28, v113
	v_sub_nc_u32_e32 v113, 29, v113
	v_lshlrev_b64 v[13:14], v13, v[0:1]
; %bb.856:                              ;   in Loop: Header=BB316_488 Depth=1
	s_or_b32 exec_lo, exec_lo, s16
	v_lshlrev_b32_e32 v14, 8, v12
	s_delay_alu instid0(VALU_DEP_3) | instskip(NEXT) | instid1(VALU_DEP_3)
	v_lshl_add_u32 v113, v113, 10, 0x2000
	v_lshlrev_b32_e32 v13, 7, v13
	s_delay_alu instid0(VALU_DEP_2) | instskip(NEXT) | instid1(VALU_DEP_1)
	v_and_or_b32 v14, 0x8000, v14, v113
	v_and_or_b32 v13, 0x380, v13, v14
	s_delay_alu instid0(VALU_DEP_1)
	v_cvt_f32_f16_e32 v13, v13
.LBB316_857:                            ;   in Loop: Header=BB316_488 Depth=1
	s_or_b32 exec_lo, exec_lo, s15
.LBB316_858:                            ;   in Loop: Header=BB316_488 Depth=1
	s_delay_alu instid0(SALU_CYCLE_1)
	s_or_b32 exec_lo, exec_lo, s13
.LBB316_859:                            ;   in Loop: Header=BB316_488 Depth=1
	s_delay_alu instid0(SALU_CYCLE_1) | instskip(SKIP_2) | instid1(VALU_DEP_1)
	s_or_b32 exec_lo, exec_lo, s12
	v_lshrrev_b16 v0, 8, v0
	s_mov_b32 s12, exec_lo
	v_cmpx_ne_u16_e32 0, v0
	s_cbranch_execz .LBB316_867
; %bb.860:                              ;   in Loop: Header=BB316_488 Depth=1
	v_bfrev_b32_e32 v112, 1
	s_mov_b32 s13, exec_lo
	v_cmpx_ne_u16_e32 0x80, v0
	s_cbranch_execz .LBB316_866
; %bb.861:                              ;   in Loop: Header=BB316_488 Depth=1
	v_and_b32_e32 v14, 0xffff, v0
	v_mov_b32_e32 v112, 0x7fc02000
	s_mov_b32 s15, exec_lo
	s_delay_alu instid0(VALU_DEP_2) | instskip(NEXT) | instid1(VALU_DEP_1)
	v_and_b32_e32 v113, 0x7f, v14
	v_cmpx_ne_u32_e32 0x7f, v113
	s_cbranch_execz .LBB316_865
; %bb.862:                              ;   in Loop: Header=BB316_488 Depth=1
	v_and_b32_e32 v0, 7, v14
	v_lshrrev_b32_e32 v112, 3, v113
	s_mov_b32 s16, exec_lo
	v_cmpx_gt_u32_e32 8, v113
; %bb.863:                              ;   in Loop: Header=BB316_488 Depth=1
	s_delay_alu instid0(VALU_DEP_3) | instskip(NEXT) | instid1(VALU_DEP_1)
	v_clz_i32_u32_e32 v112, v0
	v_min_u32_e32 v112, 32, v112
	s_delay_alu instid0(VALU_DEP_1) | instskip(SKIP_1) | instid1(VALU_DEP_2)
	v_subrev_nc_u32_e32 v113, 28, v112
	v_sub_nc_u32_e32 v112, 29, v112
	v_lshlrev_b64 v[113:114], v113, v[0:1]
	s_delay_alu instid0(VALU_DEP_1)
	v_and_b32_e32 v0, 7, v113
; %bb.864:                              ;   in Loop: Header=BB316_488 Depth=1
	s_or_b32 exec_lo, exec_lo, s16
	v_lshlrev_b32_e32 v14, 8, v14
	v_lshl_add_u32 v112, v112, 10, 0x2000
	s_delay_alu instid0(VALU_DEP_1) | instskip(NEXT) | instid1(VALU_DEP_1)
	v_and_or_b32 v14, 0x8000, v14, v112
	v_lshl_or_b32 v0, v0, 7, v14
	s_delay_alu instid0(VALU_DEP_1)
	v_cvt_f32_f16_e32 v112, v0
.LBB316_865:                            ;   in Loop: Header=BB316_488 Depth=1
	s_or_b32 exec_lo, exec_lo, s15
.LBB316_866:                            ;   in Loop: Header=BB316_488 Depth=1
	s_delay_alu instid0(SALU_CYCLE_1)
	s_or_b32 exec_lo, exec_lo, s13
.LBB316_867:                            ;   in Loop: Header=BB316_488 Depth=1
	s_delay_alu instid0(SALU_CYCLE_1) | instskip(SKIP_3) | instid1(VALU_DEP_2)
	s_or_b32 exec_lo, exec_lo, s12
	v_lshrrev_b32_e32 v114, 16, v12
	v_mov_b32_e32 v14, 0
	s_mov_b32 s12, exec_lo
	v_dual_mov_b32 v113, 0 :: v_dual_and_b32 v0, 0xff, v114
	s_delay_alu instid0(VALU_DEP_1)
	v_cmpx_ne_u16_e32 0, v0
	s_cbranch_execz .LBB316_875
; %bb.868:                              ;   in Loop: Header=BB316_488 Depth=1
	v_bfrev_b32_e32 v14, 1
	s_mov_b32 s13, exec_lo
	v_cmpx_ne_u16_e32 0x80, v0
	s_cbranch_execz .LBB316_874
; %bb.869:                              ;   in Loop: Header=BB316_488 Depth=1
	v_bfe_u32 v115, v12, 16, 7
	v_mov_b32_e32 v14, 0x7fc02000
	s_mov_b32 s15, exec_lo
	s_delay_alu instid0(VALU_DEP_2)
	v_cmpx_ne_u32_e32 0x7f, v115
	s_cbranch_execz .LBB316_873
; %bb.870:                              ;   in Loop: Header=BB316_488 Depth=1
	v_and_b32_e32 v0, 7, v114
	v_lshrrev_b32_e32 v14, 3, v115
	s_mov_b32 s16, exec_lo
	v_cmpx_gt_u32_e32 8, v115
; %bb.871:                              ;   in Loop: Header=BB316_488 Depth=1
	s_delay_alu instid0(VALU_DEP_3) | instskip(NEXT) | instid1(VALU_DEP_1)
	v_clz_i32_u32_e32 v14, v0
	v_min_u32_e32 v14, 32, v14
	s_delay_alu instid0(VALU_DEP_1) | instskip(SKIP_1) | instid1(VALU_DEP_2)
	v_subrev_nc_u32_e32 v115, 28, v14
	v_sub_nc_u32_e32 v14, 29, v14
	v_lshlrev_b64 v[115:116], v115, v[0:1]
	s_delay_alu instid0(VALU_DEP_1)
	v_and_b32_e32 v0, 7, v115
; %bb.872:                              ;   in Loop: Header=BB316_488 Depth=1
	s_or_b32 exec_lo, exec_lo, s16
	v_lshlrev_b32_e32 v114, 8, v114
	v_lshl_add_u32 v14, v14, 10, 0x2000
	s_delay_alu instid0(VALU_DEP_1) | instskip(NEXT) | instid1(VALU_DEP_1)
	v_and_or_b32 v14, 0x8000, v114, v14
	v_lshl_or_b32 v0, v0, 7, v14
	s_delay_alu instid0(VALU_DEP_1)
	v_cvt_f32_f16_e32 v14, v0
.LBB316_873:                            ;   in Loop: Header=BB316_488 Depth=1
	s_or_b32 exec_lo, exec_lo, s15
.LBB316_874:                            ;   in Loop: Header=BB316_488 Depth=1
	s_delay_alu instid0(SALU_CYCLE_1)
	s_or_b32 exec_lo, exec_lo, s13
.LBB316_875:                            ;   in Loop: Header=BB316_488 Depth=1
	s_delay_alu instid0(SALU_CYCLE_1) | instskip(NEXT) | instid1(SALU_CYCLE_1)
	s_or_b32 exec_lo, exec_lo, s12
	s_mov_b32 s12, exec_lo
	v_cmpx_lt_u64_e64 s[8:9], v[11:12]
	s_cbranch_execz .LBB316_883
; %bb.876:                              ;   in Loop: Header=BB316_488 Depth=1
	v_lshrrev_b32_e32 v11, 24, v12
	v_bfrev_b32_e32 v113, 1
	s_mov_b32 s13, exec_lo
	s_delay_alu instid0(VALU_DEP_2)
	v_cmpx_ne_u32_e32 0x80, v11
	s_cbranch_execz .LBB316_882
; %bb.877:                              ;   in Loop: Header=BB316_488 Depth=1
	v_and_b32_e32 v114, 0x7f, v11
	v_mov_b32_e32 v113, 0x7fc02000
	s_mov_b32 s15, exec_lo
	s_delay_alu instid0(VALU_DEP_2)
	v_cmpx_ne_u32_e32 0x7f, v114
	s_cbranch_execz .LBB316_881
; %bb.878:                              ;   in Loop: Header=BB316_488 Depth=1
	v_and_b32_e32 v0, 7, v11
	v_lshrrev_b32_e32 v12, 3, v114
	s_mov_b32 s16, exec_lo
	v_cmpx_gt_u32_e32 8, v114
; %bb.879:                              ;   in Loop: Header=BB316_488 Depth=1
	s_delay_alu instid0(VALU_DEP_3) | instskip(NEXT) | instid1(VALU_DEP_1)
	v_clz_i32_u32_e32 v12, v0
	v_min_u32_e32 v12, 32, v12
	s_delay_alu instid0(VALU_DEP_1) | instskip(SKIP_1) | instid1(VALU_DEP_2)
	v_subrev_nc_u32_e32 v113, 28, v12
	v_sub_nc_u32_e32 v12, 29, v12
	v_lshlrev_b64 v[113:114], v113, v[0:1]
	s_delay_alu instid0(VALU_DEP_1)
	v_and_b32_e32 v0, 7, v113
; %bb.880:                              ;   in Loop: Header=BB316_488 Depth=1
	s_or_b32 exec_lo, exec_lo, s16
	v_lshlrev_b32_e32 v11, 8, v11
	v_lshl_add_u32 v12, v12, 10, 0x2000
	s_delay_alu instid0(VALU_DEP_1) | instskip(NEXT) | instid1(VALU_DEP_1)
	v_and_or_b32 v11, 0x8000, v11, v12
	v_lshl_or_b32 v0, v0, 7, v11
	s_delay_alu instid0(VALU_DEP_1)
	v_cvt_f32_f16_e32 v113, v0
.LBB316_881:                            ;   in Loop: Header=BB316_488 Depth=1
	s_or_b32 exec_lo, exec_lo, s15
.LBB316_882:                            ;   in Loop: Header=BB316_488 Depth=1
	s_delay_alu instid0(SALU_CYCLE_1)
	s_or_b32 exec_lo, exec_lo, s13
.LBB316_883:                            ;   in Loop: Header=BB316_488 Depth=1
	s_delay_alu instid0(SALU_CYCLE_1)
	s_or_b32 exec_lo, exec_lo, s12
	s_waitcnt vmcnt(0) lgkmcnt(0)
	v_fma_mixlo_f16 v12, v99, v101, 0
	v_fma_mixlo_f16 v0, v99, v103, 0
	;; [unrolled: 1-line block ×5, first 2 shown]
	v_lshlrev_b32_e32 v101, 16, v12
	v_fma_mixlo_f16 v13, v99, v13, 0
	v_fma_mixlo_f16 v103, v99, v113, 0
	;; [unrolled: 1-line block ×3, first 2 shown]
	v_lshlrev_b32_e32 v0, 16, v0
	v_and_b32_e32 v11, 0xffff, v11
	v_and_b32_e32 v14, 0xffff, v100
	v_lshlrev_b32_e32 v99, 16, v102
	v_and_b32_e32 v100, 0xffff, v13
	v_lshlrev_b32_e32 v102, 16, v103
	v_and_b32_e32 v103, 0xffff, v12
	v_or_b32_e32 v13, v0, v11
	v_or_b32_e32 v14, v101, v14
	v_or_b32_e32 v0, v99, v100
	s_delay_alu instid0(VALU_DEP_4)
	v_or_b32_e32 v11, v102, v103
	s_and_saveexec_b32 s12, vcc_lo
	s_cbranch_execz .LBB316_885
; %bb.884:                              ;   in Loop: Header=BB316_488 Depth=1
	v_cmp_lt_i32_e64 s0, v18, v35
	v_lshrrev_b32_e32 v99, 16, v14
	v_lshrrev_b32_e32 v100, 16, v13
	;; [unrolled: 1-line block ×4, first 2 shown]
	v_cndmask_b32_e64 v14, 0, v14, s0
	v_cmp_lt_i32_e64 s0, v68, v51
	s_delay_alu instid0(VALU_DEP_1) | instskip(SKIP_1) | instid1(VALU_DEP_2)
	v_cndmask_b32_e64 v99, 0, v99, s0
	v_cmp_lt_i32_e64 s0, v67, v51
	v_perm_b32 v14, v99, v14, 0x5040100
	s_delay_alu instid0(VALU_DEP_2) | instskip(SKIP_1) | instid1(VALU_DEP_1)
	v_cndmask_b32_e64 v100, 0, v100, s0
	v_cmp_lt_i32_e64 s0, v66, v35
	v_cndmask_b32_e64 v13, 0, v13, s0
	v_cmp_lt_i32_e64 s0, v65, v51
	s_delay_alu instid0(VALU_DEP_2) | instskip(NEXT) | instid1(VALU_DEP_2)
	v_perm_b32 v13, v100, v13, 0x5040100
	v_cndmask_b32_e64 v101, 0, v101, s0
	v_cmp_lt_i32_e64 s0, v64, v35
	s_delay_alu instid0(VALU_DEP_1) | instskip(SKIP_1) | instid1(VALU_DEP_2)
	v_cndmask_b32_e64 v0, 0, v0, s0
	v_cmp_lt_i32_e64 s0, v54, v51
	v_perm_b32 v0, v101, v0, 0x5040100
	s_delay_alu instid0(VALU_DEP_2) | instskip(SKIP_1) | instid1(VALU_DEP_1)
	v_cndmask_b32_e64 v11, 0, v11, s0
	v_cmp_lt_i32_e64 s0, v19, v35
	v_cndmask_b32_e64 v12, 0, v12, s0
	s_delay_alu instid0(VALU_DEP_1)
	v_perm_b32 v11, v11, v12, 0x5040100
.LBB316_885:                            ;   in Loop: Header=BB316_488 Depth=1
	s_or_b32 exec_lo, exec_lo, s12
	;;#ASMSTART
	v_pk_mul_f16 v12, v82, v14;

	;;#ASMEND
	;;#ASMSTART
	v_pk_mul_f16 v13, v81, v13;

	;;#ASMEND
	;; [unrolled: 4-line block ×4, first 2 shown]
	;;#ASMSTART
	v_pk_add_f16 v12, v12, v13;

	;;#ASMEND
	;;#ASMSTART
	v_pk_add_f16 v0, v12, v0;

	;;#ASMEND
	;; [unrolled: 4-line block ×3, first 2 shown]
	v_dual_mov_b32 v100, 0 :: v_dual_and_b32 v11, 0xffff, v0
	v_lshrrev_b32_e32 v0, 16, v0
	;;#ASMSTART
	v_cvt_f32_f16 v13, v11;
	;;#ASMEND
	;;#ASMSTART
	v_cvt_f32_f16 v14, v0;
	;;#ASMEND
	flat_load_b64 v[9:10], v[9:10] offset:1536
	flat_load_b32 v99, v[26:27]
	s_mov_b32 s12, exec_lo
	s_waitcnt vmcnt(1) lgkmcnt(1)
	v_dual_mov_b32 v101, 0 :: v_dual_and_b32 v0, 0xff, v9
	s_delay_alu instid0(VALU_DEP_1)
	v_cmpx_ne_u16_e32 0, v0
	s_cbranch_execz .LBB316_893
; %bb.886:                              ;   in Loop: Header=BB316_488 Depth=1
	v_bfrev_b32_e32 v100, 1
	s_mov_b32 s13, exec_lo
	v_cmpx_ne_u16_e32 0x80, v0
	s_cbranch_execz .LBB316_892
; %bb.887:                              ;   in Loop: Header=BB316_488 Depth=1
	v_and_b32_e32 v11, 0x7f, v9
	v_mov_b32_e32 v100, 0x7fc02000
	s_mov_b32 s15, exec_lo
	s_delay_alu instid0(VALU_DEP_2)
	v_cmpx_ne_u32_e32 0x7f, v11
	s_cbranch_execz .LBB316_891
; %bb.888:                              ;   in Loop: Header=BB316_488 Depth=1
	v_lshrrev_b32_e32 v0, 3, v11
	v_cmp_gt_u32_e64 s0, 8, v11
	v_dual_mov_b32 v12, v10 :: v_dual_mov_b32 v11, v9
	s_delay_alu instid0(VALU_DEP_2)
	s_and_saveexec_b32 s16, s0
; %bb.889:                              ;   in Loop: Header=BB316_488 Depth=1
	v_and_b32_e32 v0, 7, v9
	s_delay_alu instid0(VALU_DEP_1) | instskip(NEXT) | instid1(VALU_DEP_1)
	v_clz_i32_u32_e32 v0, v0
	v_min_u32_e32 v0, 32, v0
	s_delay_alu instid0(VALU_DEP_1) | instskip(SKIP_1) | instid1(VALU_DEP_2)
	v_subrev_nc_u32_e32 v11, 28, v0
	v_sub_nc_u32_e32 v0, 29, v0
	v_lshlrev_b64 v[11:12], v11, v[9:10]
; %bb.890:                              ;   in Loop: Header=BB316_488 Depth=1
	s_or_b32 exec_lo, exec_lo, s16
	v_lshlrev_b32_e32 v12, 8, v9
	s_delay_alu instid0(VALU_DEP_3) | instskip(NEXT) | instid1(VALU_DEP_3)
	v_lshl_add_u32 v0, v0, 10, 0x2000
	v_lshlrev_b32_e32 v11, 7, v11
	s_delay_alu instid0(VALU_DEP_2) | instskip(NEXT) | instid1(VALU_DEP_1)
	v_and_or_b32 v0, 0x8000, v12, v0
	v_and_or_b32 v0, 0x380, v11, v0
	s_delay_alu instid0(VALU_DEP_1)
	v_cvt_f32_f16_e32 v100, v0
.LBB316_891:                            ;   in Loop: Header=BB316_488 Depth=1
	s_or_b32 exec_lo, exec_lo, s15
.LBB316_892:                            ;   in Loop: Header=BB316_488 Depth=1
	s_delay_alu instid0(SALU_CYCLE_1)
	s_or_b32 exec_lo, exec_lo, s13
.LBB316_893:                            ;   in Loop: Header=BB316_488 Depth=1
	s_delay_alu instid0(SALU_CYCLE_1) | instskip(SKIP_2) | instid1(VALU_DEP_1)
	s_or_b32 exec_lo, exec_lo, s12
	v_lshrrev_b16 v0, 8, v9
	s_mov_b32 s12, exec_lo
	v_cmpx_ne_u16_e32 0, v0
	s_cbranch_execz .LBB316_901
; %bb.894:                              ;   in Loop: Header=BB316_488 Depth=1
	v_bfrev_b32_e32 v101, 1
	s_mov_b32 s13, exec_lo
	v_cmpx_ne_u16_e32 0x80, v0
	s_cbranch_execz .LBB316_900
; %bb.895:                              ;   in Loop: Header=BB316_488 Depth=1
	v_and_b32_e32 v11, 0xffff, v0
	v_mov_b32_e32 v101, 0x7fc02000
	s_mov_b32 s15, exec_lo
	s_delay_alu instid0(VALU_DEP_2) | instskip(NEXT) | instid1(VALU_DEP_1)
	v_and_b32_e32 v102, 0x7f, v11
	v_cmpx_ne_u32_e32 0x7f, v102
	s_cbranch_execz .LBB316_899
; %bb.896:                              ;   in Loop: Header=BB316_488 Depth=1
	v_and_b32_e32 v0, 7, v11
	v_lshrrev_b32_e32 v12, 3, v102
	s_mov_b32 s16, exec_lo
	v_cmpx_gt_u32_e32 8, v102
; %bb.897:                              ;   in Loop: Header=BB316_488 Depth=1
	s_delay_alu instid0(VALU_DEP_3) | instskip(NEXT) | instid1(VALU_DEP_1)
	v_clz_i32_u32_e32 v12, v0
	v_min_u32_e32 v12, 32, v12
	s_delay_alu instid0(VALU_DEP_1) | instskip(SKIP_1) | instid1(VALU_DEP_2)
	v_subrev_nc_u32_e32 v101, 28, v12
	v_sub_nc_u32_e32 v12, 29, v12
	v_lshlrev_b64 v[101:102], v101, v[0:1]
	s_delay_alu instid0(VALU_DEP_1)
	v_and_b32_e32 v0, 7, v101
; %bb.898:                              ;   in Loop: Header=BB316_488 Depth=1
	s_or_b32 exec_lo, exec_lo, s16
	v_lshlrev_b32_e32 v11, 8, v11
	v_lshl_add_u32 v12, v12, 10, 0x2000
	s_delay_alu instid0(VALU_DEP_1) | instskip(NEXT) | instid1(VALU_DEP_1)
	v_and_or_b32 v11, 0x8000, v11, v12
	v_lshl_or_b32 v0, v0, 7, v11
	s_delay_alu instid0(VALU_DEP_1)
	v_cvt_f32_f16_e32 v101, v0
.LBB316_899:                            ;   in Loop: Header=BB316_488 Depth=1
	s_or_b32 exec_lo, exec_lo, s15
.LBB316_900:                            ;   in Loop: Header=BB316_488 Depth=1
	s_delay_alu instid0(SALU_CYCLE_1)
	s_or_b32 exec_lo, exec_lo, s13
.LBB316_901:                            ;   in Loop: Header=BB316_488 Depth=1
	s_delay_alu instid0(SALU_CYCLE_1) | instskip(SKIP_3) | instid1(VALU_DEP_2)
	s_or_b32 exec_lo, exec_lo, s12
	v_lshrrev_b32_e32 v11, 16, v9
	v_mov_b32_e32 v102, 0
	s_mov_b32 s12, exec_lo
	v_dual_mov_b32 v103, 0 :: v_dual_and_b32 v0, 0xff, v11
	s_delay_alu instid0(VALU_DEP_1)
	v_cmpx_ne_u16_e32 0, v0
	s_cbranch_execz .LBB316_909
; %bb.902:                              ;   in Loop: Header=BB316_488 Depth=1
	v_bfrev_b32_e32 v102, 1
	s_mov_b32 s13, exec_lo
	v_cmpx_ne_u16_e32 0x80, v0
	s_cbranch_execz .LBB316_908
; %bb.903:                              ;   in Loop: Header=BB316_488 Depth=1
	v_bfe_u32 v112, v9, 16, 7
	v_mov_b32_e32 v102, 0x7fc02000
	s_mov_b32 s15, exec_lo
	s_delay_alu instid0(VALU_DEP_2)
	v_cmpx_ne_u32_e32 0x7f, v112
	s_cbranch_execz .LBB316_907
; %bb.904:                              ;   in Loop: Header=BB316_488 Depth=1
	v_and_b32_e32 v0, 7, v11
	v_lshrrev_b32_e32 v12, 3, v112
	s_mov_b32 s16, exec_lo
	v_cmpx_gt_u32_e32 8, v112
; %bb.905:                              ;   in Loop: Header=BB316_488 Depth=1
	s_delay_alu instid0(VALU_DEP_3) | instskip(NEXT) | instid1(VALU_DEP_1)
	v_clz_i32_u32_e32 v12, v0
	v_min_u32_e32 v12, 32, v12
	s_delay_alu instid0(VALU_DEP_1) | instskip(SKIP_1) | instid1(VALU_DEP_2)
	v_subrev_nc_u32_e32 v102, 28, v12
	v_sub_nc_u32_e32 v12, 29, v12
	v_lshlrev_b64 v[112:113], v102, v[0:1]
	s_delay_alu instid0(VALU_DEP_1)
	v_and_b32_e32 v0, 7, v112
; %bb.906:                              ;   in Loop: Header=BB316_488 Depth=1
	s_or_b32 exec_lo, exec_lo, s16
	v_lshlrev_b32_e32 v11, 8, v11
	v_lshl_add_u32 v12, v12, 10, 0x2000
	s_delay_alu instid0(VALU_DEP_1) | instskip(NEXT) | instid1(VALU_DEP_1)
	v_and_or_b32 v11, 0x8000, v11, v12
	v_lshl_or_b32 v0, v0, 7, v11
	s_delay_alu instid0(VALU_DEP_1)
	v_cvt_f32_f16_e32 v102, v0
.LBB316_907:                            ;   in Loop: Header=BB316_488 Depth=1
	s_or_b32 exec_lo, exec_lo, s15
.LBB316_908:                            ;   in Loop: Header=BB316_488 Depth=1
	s_delay_alu instid0(SALU_CYCLE_1)
	s_or_b32 exec_lo, exec_lo, s13
.LBB316_909:                            ;   in Loop: Header=BB316_488 Depth=1
	s_delay_alu instid0(SALU_CYCLE_1) | instskip(NEXT) | instid1(SALU_CYCLE_1)
	s_or_b32 exec_lo, exec_lo, s12
	s_mov_b32 s12, exec_lo
	v_cmpx_lt_u32_e32 0xffffff, v9
	s_cbranch_execz .LBB316_917
; %bb.910:                              ;   in Loop: Header=BB316_488 Depth=1
	v_lshrrev_b32_e32 v11, 24, v9
	v_bfrev_b32_e32 v103, 1
	s_mov_b32 s13, exec_lo
	s_delay_alu instid0(VALU_DEP_2)
	v_cmpx_ne_u32_e32 0x80, v11
	s_cbranch_execz .LBB316_916
; %bb.911:                              ;   in Loop: Header=BB316_488 Depth=1
	v_and_b32_e32 v112, 0x7f, v11
	v_mov_b32_e32 v103, 0x7fc02000
	s_mov_b32 s15, exec_lo
	s_delay_alu instid0(VALU_DEP_2)
	v_cmpx_ne_u32_e32 0x7f, v112
	s_cbranch_execz .LBB316_915
; %bb.912:                              ;   in Loop: Header=BB316_488 Depth=1
	v_and_b32_e32 v0, 7, v11
	v_lshrrev_b32_e32 v12, 3, v112
	s_mov_b32 s16, exec_lo
	v_cmpx_gt_u32_e32 8, v112
; %bb.913:                              ;   in Loop: Header=BB316_488 Depth=1
	s_delay_alu instid0(VALU_DEP_3) | instskip(NEXT) | instid1(VALU_DEP_1)
	v_clz_i32_u32_e32 v12, v0
	v_min_u32_e32 v12, 32, v12
	s_delay_alu instid0(VALU_DEP_1) | instskip(SKIP_1) | instid1(VALU_DEP_2)
	v_subrev_nc_u32_e32 v103, 28, v12
	v_sub_nc_u32_e32 v12, 29, v12
	v_lshlrev_b64 v[112:113], v103, v[0:1]
	s_delay_alu instid0(VALU_DEP_1)
	v_and_b32_e32 v0, 7, v112
; %bb.914:                              ;   in Loop: Header=BB316_488 Depth=1
	s_or_b32 exec_lo, exec_lo, s16
	v_lshlrev_b32_e32 v11, 8, v11
	v_lshl_add_u32 v12, v12, 10, 0x2000
	s_delay_alu instid0(VALU_DEP_1) | instskip(NEXT) | instid1(VALU_DEP_1)
	v_and_or_b32 v11, 0x8000, v11, v12
	v_lshl_or_b32 v0, v0, 7, v11
	s_delay_alu instid0(VALU_DEP_1)
	v_cvt_f32_f16_e32 v103, v0
.LBB316_915:                            ;   in Loop: Header=BB316_488 Depth=1
	s_or_b32 exec_lo, exec_lo, s15
.LBB316_916:                            ;   in Loop: Header=BB316_488 Depth=1
	s_delay_alu instid0(SALU_CYCLE_1)
	s_or_b32 exec_lo, exec_lo, s13
.LBB316_917:                            ;   in Loop: Header=BB316_488 Depth=1
	s_delay_alu instid0(SALU_CYCLE_1) | instskip(SKIP_4) | instid1(VALU_DEP_3)
	s_or_b32 exec_lo, exec_lo, s12
	v_dual_mov_b32 v11, 0 :: v_dual_and_b32 v12, 0xff, v10
	v_mov_b32_e32 v0, v10
	v_mov_b32_e32 v112, 0
	s_mov_b32 s12, exec_lo
	v_cmpx_ne_u16_e32 0, v12
	s_cbranch_execz .LBB316_925
; %bb.918:                              ;   in Loop: Header=BB316_488 Depth=1
	v_bfrev_b32_e32 v11, 1
	s_mov_b32 s13, exec_lo
	v_cmpx_ne_u16_e32 0x80, v12
	s_cbranch_execz .LBB316_924
; %bb.919:                              ;   in Loop: Header=BB316_488 Depth=1
	v_and_b32_e32 v12, 0x7f, v10
	v_mov_b32_e32 v11, 0x7fc02000
	s_mov_b32 s15, exec_lo
	s_delay_alu instid0(VALU_DEP_2)
	v_cmpx_ne_u32_e32 0x7f, v12
	s_cbranch_execz .LBB316_923
; %bb.920:                              ;   in Loop: Header=BB316_488 Depth=1
	v_lshrrev_b32_e32 v113, 3, v12
	v_cmp_gt_u32_e64 s0, 8, v12
	v_dual_mov_b32 v12, v1 :: v_dual_mov_b32 v11, v0
	s_delay_alu instid0(VALU_DEP_2)
	s_and_saveexec_b32 s16, s0
; %bb.921:                              ;   in Loop: Header=BB316_488 Depth=1
	v_and_b32_e32 v11, 7, v10
	s_delay_alu instid0(VALU_DEP_1) | instskip(NEXT) | instid1(VALU_DEP_1)
	v_clz_i32_u32_e32 v11, v11
	v_min_u32_e32 v113, 32, v11
	s_delay_alu instid0(VALU_DEP_1) | instskip(SKIP_1) | instid1(VALU_DEP_2)
	v_subrev_nc_u32_e32 v11, 28, v113
	v_sub_nc_u32_e32 v113, 29, v113
	v_lshlrev_b64 v[11:12], v11, v[0:1]
; %bb.922:                              ;   in Loop: Header=BB316_488 Depth=1
	s_or_b32 exec_lo, exec_lo, s16
	v_lshlrev_b32_e32 v12, 8, v10
	s_delay_alu instid0(VALU_DEP_3) | instskip(NEXT) | instid1(VALU_DEP_3)
	v_lshl_add_u32 v113, v113, 10, 0x2000
	v_lshlrev_b32_e32 v11, 7, v11
	s_delay_alu instid0(VALU_DEP_2) | instskip(NEXT) | instid1(VALU_DEP_1)
	v_and_or_b32 v12, 0x8000, v12, v113
	v_and_or_b32 v11, 0x380, v11, v12
	s_delay_alu instid0(VALU_DEP_1)
	v_cvt_f32_f16_e32 v11, v11
.LBB316_923:                            ;   in Loop: Header=BB316_488 Depth=1
	s_or_b32 exec_lo, exec_lo, s15
.LBB316_924:                            ;   in Loop: Header=BB316_488 Depth=1
	s_delay_alu instid0(SALU_CYCLE_1)
	s_or_b32 exec_lo, exec_lo, s13
.LBB316_925:                            ;   in Loop: Header=BB316_488 Depth=1
	s_delay_alu instid0(SALU_CYCLE_1) | instskip(SKIP_2) | instid1(VALU_DEP_1)
	s_or_b32 exec_lo, exec_lo, s12
	v_lshrrev_b16 v0, 8, v0
	s_mov_b32 s12, exec_lo
	v_cmpx_ne_u16_e32 0, v0
	s_cbranch_execz .LBB316_933
; %bb.926:                              ;   in Loop: Header=BB316_488 Depth=1
	v_bfrev_b32_e32 v112, 1
	s_mov_b32 s13, exec_lo
	v_cmpx_ne_u16_e32 0x80, v0
	s_cbranch_execz .LBB316_932
; %bb.927:                              ;   in Loop: Header=BB316_488 Depth=1
	v_and_b32_e32 v12, 0xffff, v0
	v_mov_b32_e32 v112, 0x7fc02000
	s_mov_b32 s15, exec_lo
	s_delay_alu instid0(VALU_DEP_2) | instskip(NEXT) | instid1(VALU_DEP_1)
	v_and_b32_e32 v113, 0x7f, v12
	v_cmpx_ne_u32_e32 0x7f, v113
	s_cbranch_execz .LBB316_931
; %bb.928:                              ;   in Loop: Header=BB316_488 Depth=1
	v_and_b32_e32 v0, 7, v12
	v_lshrrev_b32_e32 v112, 3, v113
	s_mov_b32 s16, exec_lo
	v_cmpx_gt_u32_e32 8, v113
; %bb.929:                              ;   in Loop: Header=BB316_488 Depth=1
	s_delay_alu instid0(VALU_DEP_3) | instskip(NEXT) | instid1(VALU_DEP_1)
	v_clz_i32_u32_e32 v112, v0
	v_min_u32_e32 v112, 32, v112
	s_delay_alu instid0(VALU_DEP_1) | instskip(SKIP_1) | instid1(VALU_DEP_2)
	v_subrev_nc_u32_e32 v113, 28, v112
	v_sub_nc_u32_e32 v112, 29, v112
	v_lshlrev_b64 v[113:114], v113, v[0:1]
	s_delay_alu instid0(VALU_DEP_1)
	v_and_b32_e32 v0, 7, v113
; %bb.930:                              ;   in Loop: Header=BB316_488 Depth=1
	s_or_b32 exec_lo, exec_lo, s16
	v_lshlrev_b32_e32 v12, 8, v12
	v_lshl_add_u32 v112, v112, 10, 0x2000
	s_delay_alu instid0(VALU_DEP_1) | instskip(NEXT) | instid1(VALU_DEP_1)
	v_and_or_b32 v12, 0x8000, v12, v112
	v_lshl_or_b32 v0, v0, 7, v12
	s_delay_alu instid0(VALU_DEP_1)
	v_cvt_f32_f16_e32 v112, v0
.LBB316_931:                            ;   in Loop: Header=BB316_488 Depth=1
	s_or_b32 exec_lo, exec_lo, s15
.LBB316_932:                            ;   in Loop: Header=BB316_488 Depth=1
	s_delay_alu instid0(SALU_CYCLE_1)
	s_or_b32 exec_lo, exec_lo, s13
.LBB316_933:                            ;   in Loop: Header=BB316_488 Depth=1
	s_delay_alu instid0(SALU_CYCLE_1) | instskip(SKIP_3) | instid1(VALU_DEP_2)
	s_or_b32 exec_lo, exec_lo, s12
	v_lshrrev_b32_e32 v114, 16, v10
	v_mov_b32_e32 v12, 0
	s_mov_b32 s12, exec_lo
	v_dual_mov_b32 v113, 0 :: v_dual_and_b32 v0, 0xff, v114
	s_delay_alu instid0(VALU_DEP_1)
	v_cmpx_ne_u16_e32 0, v0
	s_cbranch_execz .LBB316_941
; %bb.934:                              ;   in Loop: Header=BB316_488 Depth=1
	v_bfrev_b32_e32 v12, 1
	s_mov_b32 s13, exec_lo
	v_cmpx_ne_u16_e32 0x80, v0
	s_cbranch_execz .LBB316_940
; %bb.935:                              ;   in Loop: Header=BB316_488 Depth=1
	v_bfe_u32 v115, v10, 16, 7
	v_mov_b32_e32 v12, 0x7fc02000
	s_mov_b32 s15, exec_lo
	s_delay_alu instid0(VALU_DEP_2)
	v_cmpx_ne_u32_e32 0x7f, v115
	s_cbranch_execz .LBB316_939
; %bb.936:                              ;   in Loop: Header=BB316_488 Depth=1
	v_and_b32_e32 v0, 7, v114
	v_lshrrev_b32_e32 v12, 3, v115
	s_mov_b32 s16, exec_lo
	v_cmpx_gt_u32_e32 8, v115
; %bb.937:                              ;   in Loop: Header=BB316_488 Depth=1
	s_delay_alu instid0(VALU_DEP_3) | instskip(NEXT) | instid1(VALU_DEP_1)
	v_clz_i32_u32_e32 v12, v0
	v_min_u32_e32 v12, 32, v12
	s_delay_alu instid0(VALU_DEP_1) | instskip(SKIP_1) | instid1(VALU_DEP_2)
	v_subrev_nc_u32_e32 v115, 28, v12
	v_sub_nc_u32_e32 v12, 29, v12
	v_lshlrev_b64 v[115:116], v115, v[0:1]
	s_delay_alu instid0(VALU_DEP_1)
	v_and_b32_e32 v0, 7, v115
; %bb.938:                              ;   in Loop: Header=BB316_488 Depth=1
	s_or_b32 exec_lo, exec_lo, s16
	v_lshlrev_b32_e32 v114, 8, v114
	v_lshl_add_u32 v12, v12, 10, 0x2000
	s_delay_alu instid0(VALU_DEP_1) | instskip(NEXT) | instid1(VALU_DEP_1)
	v_and_or_b32 v12, 0x8000, v114, v12
	v_lshl_or_b32 v0, v0, 7, v12
	s_delay_alu instid0(VALU_DEP_1)
	v_cvt_f32_f16_e32 v12, v0
.LBB316_939:                            ;   in Loop: Header=BB316_488 Depth=1
	s_or_b32 exec_lo, exec_lo, s15
.LBB316_940:                            ;   in Loop: Header=BB316_488 Depth=1
	s_delay_alu instid0(SALU_CYCLE_1)
	s_or_b32 exec_lo, exec_lo, s13
.LBB316_941:                            ;   in Loop: Header=BB316_488 Depth=1
	s_delay_alu instid0(SALU_CYCLE_1) | instskip(NEXT) | instid1(SALU_CYCLE_1)
	s_or_b32 exec_lo, exec_lo, s12
	s_mov_b32 s12, exec_lo
	v_cmpx_lt_u64_e64 s[8:9], v[9:10]
	s_cbranch_execz .LBB316_949
; %bb.942:                              ;   in Loop: Header=BB316_488 Depth=1
	v_lshrrev_b32_e32 v9, 24, v10
	v_bfrev_b32_e32 v113, 1
	s_mov_b32 s13, exec_lo
	s_delay_alu instid0(VALU_DEP_2)
	v_cmpx_ne_u32_e32 0x80, v9
	s_cbranch_execz .LBB316_948
; %bb.943:                              ;   in Loop: Header=BB316_488 Depth=1
	v_and_b32_e32 v114, 0x7f, v9
	v_mov_b32_e32 v113, 0x7fc02000
	s_mov_b32 s15, exec_lo
	s_delay_alu instid0(VALU_DEP_2)
	v_cmpx_ne_u32_e32 0x7f, v114
	s_cbranch_execz .LBB316_947
; %bb.944:                              ;   in Loop: Header=BB316_488 Depth=1
	v_and_b32_e32 v0, 7, v9
	v_lshrrev_b32_e32 v10, 3, v114
	s_mov_b32 s16, exec_lo
	v_cmpx_gt_u32_e32 8, v114
; %bb.945:                              ;   in Loop: Header=BB316_488 Depth=1
	s_delay_alu instid0(VALU_DEP_3) | instskip(NEXT) | instid1(VALU_DEP_1)
	v_clz_i32_u32_e32 v10, v0
	v_min_u32_e32 v10, 32, v10
	s_delay_alu instid0(VALU_DEP_1) | instskip(SKIP_1) | instid1(VALU_DEP_2)
	v_subrev_nc_u32_e32 v113, 28, v10
	v_sub_nc_u32_e32 v10, 29, v10
	v_lshlrev_b64 v[113:114], v113, v[0:1]
	s_delay_alu instid0(VALU_DEP_1)
	v_and_b32_e32 v0, 7, v113
; %bb.946:                              ;   in Loop: Header=BB316_488 Depth=1
	s_or_b32 exec_lo, exec_lo, s16
	v_lshlrev_b32_e32 v9, 8, v9
	v_lshl_add_u32 v10, v10, 10, 0x2000
	s_delay_alu instid0(VALU_DEP_1) | instskip(NEXT) | instid1(VALU_DEP_1)
	v_and_or_b32 v9, 0x8000, v9, v10
	v_lshl_or_b32 v0, v0, 7, v9
	s_delay_alu instid0(VALU_DEP_1)
	v_cvt_f32_f16_e32 v113, v0
.LBB316_947:                            ;   in Loop: Header=BB316_488 Depth=1
	s_or_b32 exec_lo, exec_lo, s15
.LBB316_948:                            ;   in Loop: Header=BB316_488 Depth=1
	s_delay_alu instid0(SALU_CYCLE_1)
	s_or_b32 exec_lo, exec_lo, s13
.LBB316_949:                            ;   in Loop: Header=BB316_488 Depth=1
	s_delay_alu instid0(SALU_CYCLE_1)
	s_or_b32 exec_lo, exec_lo, s12
	s_waitcnt vmcnt(0) lgkmcnt(0)
	v_fma_mixlo_f16 v10, v99, v101, 0
	v_fma_mixlo_f16 v0, v99, v103, 0
	;; [unrolled: 1-line block ×5, first 2 shown]
	v_lshlrev_b32_e32 v101, 16, v10
	v_fma_mixlo_f16 v10, v99, v100, 0
	v_fma_mixlo_f16 v100, v99, v112, 0
	;; [unrolled: 1-line block ×3, first 2 shown]
	v_lshlrev_b32_e32 v0, 16, v0
	v_and_b32_e32 v9, 0xffff, v9
	v_and_b32_e32 v12, 0xffff, v10
	v_lshlrev_b32_e32 v99, 16, v100
	v_and_b32_e32 v100, 0xffff, v102
	v_lshlrev_b32_e32 v102, 16, v103
	v_and_b32_e32 v103, 0xffff, v11
	v_or_b32_e32 v10, v0, v9
	v_or_b32_e32 v12, v101, v12
	;; [unrolled: 1-line block ×3, first 2 shown]
	s_delay_alu instid0(VALU_DEP_4)
	v_or_b32_e32 v9, v102, v103
	s_and_saveexec_b32 s0, vcc_lo
	s_cbranch_execz .LBB316_486
; %bb.950:                              ;   in Loop: Header=BB316_488 Depth=1
	v_cmp_lt_i32_e32 vcc_lo, v18, v35
	v_lshrrev_b32_e32 v99, 16, v12
	v_lshrrev_b32_e32 v9, 16, v9
	;; [unrolled: 1-line block ×3, first 2 shown]
	v_cndmask_b32_e32 v12, 0, v12, vcc_lo
	v_cmp_lt_i32_e32 vcc_lo, v68, v51
	v_lshrrev_b32_e32 v68, 16, v0
	v_cndmask_b32_e32 v18, 0, v99, vcc_lo
	v_cmp_lt_i32_e32 vcc_lo, v67, v51
	v_cndmask_b32_e32 v67, 0, v100, vcc_lo
	v_cmp_lt_i32_e32 vcc_lo, v66, v35
	;; [unrolled: 2-line block ×4, first 2 shown]
	s_delay_alu instid0(VALU_DEP_4)
	v_perm_b32 v10, v67, v10, 0x5040100
	v_cndmask_b32_e32 v0, 0, v0, vcc_lo
	v_cmp_lt_i32_e32 vcc_lo, v54, v51
	v_cndmask_b32_e32 v9, 0, v9, vcc_lo
	v_cmp_lt_i32_e32 vcc_lo, v19, v35
	v_perm_b32 v12, v18, v12, 0x5040100
	v_cndmask_b32_e32 v11, 0, v11, vcc_lo
	v_perm_b32 v0, v65, v0, 0x5040100
	s_delay_alu instid0(VALU_DEP_2)
	v_perm_b32 v9, v9, v11, 0x5040100
	s_branch .LBB316_486
.LBB316_951:
	s_or_b32 exec_lo, exec_lo, s5
	s_load_b32 s0, s[6:7], 0x0
	s_waitcnt lgkmcnt(0)
	v_mov_b32_e32 v0, s0
.LBB316_952:
	s_or_b32 exec_lo, exec_lo, s3
	ds_bpermute_b32 v1, v21, v32
	ds_bpermute_b32 v2, v21, v31
	;; [unrolled: 1-line block ×7, first 2 shown]
	v_and_b32_e32 v6, 0x3c1, v34
	v_lshrrev_b32_e32 v9, 1, v20
	v_mad_u32_u24 v10, 0x1c0, v48, v0
	s_waitcnt lgkmcnt(0)
	s_waitcnt_vscnt null, 0x0
	s_barrier
	v_cmp_eq_u32_e32 vcc_lo, 64, v6
	buffer_gl0_inv
	v_dual_add_f32 v8, v32, v1 :: v_dual_add_f32 v7, v31, v2
	v_add_f32_e32 v6, v29, v3
	v_dual_add_f32 v3, v25, v11 :: v_dual_add_f32 v2, v28, v12
	v_lshlrev_b32_e32 v11, 2, v9
	v_dual_add_f32 v1, v24, v13 :: v_dual_add_f32 v0, v55, v14
	s_and_saveexec_b32 s0, vcc_lo
	s_cbranch_execz .LBB316_954
; %bb.953:
	s_delay_alu instid0(VALU_DEP_2)
	v_add3_u32 v12, v10, v11, 0xfffffc80
	ds_store_2addr_b32 v12, v8, v7 offset1:16
	ds_store_2addr_b32 v12, v6, v3 offset0:32 offset1:48
	ds_store_2addr_b32 v12, v2, v1 offset0:64 offset1:80
	ds_store_b32 v12, v0 offset:384
.LBB316_954:
	s_or_b32 exec_lo, exec_lo, s0
	v_cmp_eq_u32_e32 vcc_lo, 0, v36
	s_mov_b32 s3, exec_lo
	s_waitcnt lgkmcnt(0)
	s_barrier
	buffer_gl0_inv
	v_cmpx_gt_u32_e32 64, v34
	s_cbranch_execz .LBB316_964
; %bb.955:
	s_and_saveexec_b32 s0, vcc_lo
	s_cbranch_execnz .LBB316_979
; %bb.956:
	s_or_b32 exec_lo, exec_lo, s0
	s_and_saveexec_b32 s0, vcc_lo
	s_cbranch_execnz .LBB316_980
.LBB316_957:
	s_or_b32 exec_lo, exec_lo, s0
	s_and_saveexec_b32 s0, vcc_lo
	s_cbranch_execnz .LBB316_981
.LBB316_958:
	s_or_b32 exec_lo, exec_lo, s0
	s_and_saveexec_b32 s0, vcc_lo
	s_cbranch_execnz .LBB316_982
.LBB316_959:
	s_or_b32 exec_lo, exec_lo, s0
	s_and_saveexec_b32 s0, vcc_lo
	s_cbranch_execnz .LBB316_983
.LBB316_960:
	s_or_b32 exec_lo, exec_lo, s0
	s_and_saveexec_b32 s0, vcc_lo
	s_cbranch_execnz .LBB316_984
.LBB316_961:
	s_or_b32 exec_lo, exec_lo, s0
	s_and_saveexec_b32 s0, vcc_lo
	s_cbranch_execz .LBB316_963
.LBB316_962:
	v_lshl_add_u32 v12, v9, 2, v10
	ds_load_b32 v12, v12 offset:384
	s_waitcnt lgkmcnt(0)
	v_add_f32_e32 v0, v0, v12
.LBB316_963:
	s_or_b32 exec_lo, exec_lo, s0
.LBB316_964:
	s_delay_alu instid0(SALU_CYCLE_1)
	s_or_b32 exec_lo, exec_lo, s3
	v_and_b32_e32 v12, 0x3e1, v34
	s_mov_b32 s3, exec_lo
	s_barrier
	buffer_gl0_inv
	v_cmpx_eq_u32_e32 32, v12
	s_cbranch_execz .LBB316_966
; %bb.965:
	v_add3_u32 v11, v10, v11, 0xfffffe40
	ds_store_2addr_b32 v11, v8, v7 offset1:16
	ds_store_2addr_b32 v11, v6, v3 offset0:32 offset1:48
	ds_store_2addr_b32 v11, v2, v1 offset0:64 offset1:80
	ds_store_b32 v11, v0 offset:384
.LBB316_966:
	s_or_b32 exec_lo, exec_lo, s3
	s_delay_alu instid0(SALU_CYCLE_1)
	s_mov_b32 s3, exec_lo
	s_waitcnt lgkmcnt(0)
	s_barrier
	buffer_gl0_inv
	v_cmpx_gt_u32_e32 32, v34
	s_cbranch_execz .LBB316_976
; %bb.967:
	v_lshl_add_u32 v9, v9, 2, v10
	s_and_saveexec_b32 s0, vcc_lo
	s_cbranch_execnz .LBB316_985
; %bb.968:
	s_or_b32 exec_lo, exec_lo, s0
	s_and_saveexec_b32 s0, vcc_lo
	s_cbranch_execnz .LBB316_986
.LBB316_969:
	s_or_b32 exec_lo, exec_lo, s0
	s_and_saveexec_b32 s0, vcc_lo
	s_cbranch_execnz .LBB316_987
.LBB316_970:
	s_or_b32 exec_lo, exec_lo, s0
	s_and_saveexec_b32 s0, vcc_lo
	s_cbranch_execnz .LBB316_988
.LBB316_971:
	s_or_b32 exec_lo, exec_lo, s0
	s_and_saveexec_b32 s0, vcc_lo
	s_cbranch_execnz .LBB316_989
.LBB316_972:
	s_or_b32 exec_lo, exec_lo, s0
	s_and_saveexec_b32 s0, vcc_lo
	s_cbranch_execnz .LBB316_990
.LBB316_973:
	s_or_b32 exec_lo, exec_lo, s0
	s_and_saveexec_b32 s0, vcc_lo
	s_cbranch_execz .LBB316_975
.LBB316_974:
	ds_load_b32 v9, v9 offset:384
	s_waitcnt lgkmcnt(0)
	v_add_f32_e32 v0, v0, v9
.LBB316_975:
	s_or_b32 exec_lo, exec_lo, s0
.LBB316_976:
	s_delay_alu instid0(SALU_CYCLE_1)
	s_or_b32 exec_lo, exec_lo, s3
	v_cmp_eq_u32_e32 vcc_lo, 0, v12
	s_barrier
	buffer_gl0_inv
	s_and_b32 exec_lo, exec_lo, vcc_lo
	s_cbranch_execz .LBB316_978
; %bb.977:
	s_mul_i32 s0, s2, 0x70
	s_mul_i32 s2, s4, s1
	;; [unrolled: 1-line block ×3, first 2 shown]
	s_ashr_i32 s3, s2, 31
	s_ashr_i32 s5, s4, 31
	;; [unrolled: 1-line block ×3, first 2 shown]
	s_lshl_b64 s[2:3], s[2:3], 1
	s_lshl_b64 s[4:5], s[4:5], 1
	;; [unrolled: 1-line block ×3, first 2 shown]
	s_add_u32 s2, s4, s2
	s_addc_u32 s3, s5, s3
	s_add_u32 s0, s2, s0
	s_addc_u32 s1, s3, s1
	v_lshlrev_b32_e32 v9, 1, v33
	v_add_co_u32 v4, vcc_lo, s0, v4
	v_add_co_ci_u32_e32 v5, vcc_lo, s1, v5, vcc_lo
	;;#ASMSTART
	v_cvt_f16_f32 v8, v8;

	;;#ASMEND
	s_delay_alu instid0(VALU_DEP_2) | instskip(NEXT) | instid1(VALU_DEP_2)
	v_add_co_u32 v4, vcc_lo, v4, v9
	v_add_co_ci_u32_e32 v5, vcc_lo, 0, v5, vcc_lo
	flat_store_b16 v[4:5], v8
	;;#ASMSTART
	v_cvt_f16_f32 v7, v7;

	;;#ASMEND
	flat_store_b16 v[4:5], v7 offset:32
	;;#ASMSTART
	v_cvt_f16_f32 v6, v6;

	;;#ASMEND
	flat_store_b16 v[4:5], v6 offset:64
	;; [unrolled: 5-line block ×6, first 2 shown]
.LBB316_978:
	s_or_b32 exec_lo, exec_lo, s11
	s_clause 0x7
	scratch_load_b32 v47, off, s32 offset:8
	scratch_load_b32 v46, off, s32 offset:12
	;; [unrolled: 1-line block ×8, first 2 shown]
	s_waitcnt vmcnt(0) lgkmcnt(0)
	s_setpc_b64 s[30:31]
.LBB316_979:
	v_lshl_add_u32 v12, v9, 2, v10
	ds_load_b32 v12, v12
	s_waitcnt lgkmcnt(0)
	v_add_f32_e32 v8, v8, v12
	s_or_b32 exec_lo, exec_lo, s0
	s_and_saveexec_b32 s0, vcc_lo
	s_cbranch_execz .LBB316_957
.LBB316_980:
	v_lshl_add_u32 v12, v9, 2, v10
	ds_load_b32 v12, v12 offset:64
	s_waitcnt lgkmcnt(0)
	v_add_f32_e32 v7, v7, v12
	s_or_b32 exec_lo, exec_lo, s0
	s_and_saveexec_b32 s0, vcc_lo
	s_cbranch_execz .LBB316_958
.LBB316_981:
	v_lshl_add_u32 v12, v9, 2, v10
	ds_load_b32 v12, v12 offset:128
	s_waitcnt lgkmcnt(0)
	v_add_f32_e32 v6, v6, v12
	s_or_b32 exec_lo, exec_lo, s0
	s_and_saveexec_b32 s0, vcc_lo
	s_cbranch_execz .LBB316_959
.LBB316_982:
	v_lshl_add_u32 v12, v9, 2, v10
	ds_load_b32 v12, v12 offset:192
	s_waitcnt lgkmcnt(0)
	v_add_f32_e32 v3, v3, v12
	s_or_b32 exec_lo, exec_lo, s0
	s_and_saveexec_b32 s0, vcc_lo
	s_cbranch_execz .LBB316_960
.LBB316_983:
	v_lshl_add_u32 v12, v9, 2, v10
	ds_load_b32 v12, v12 offset:256
	s_waitcnt lgkmcnt(0)
	v_add_f32_e32 v2, v2, v12
	s_or_b32 exec_lo, exec_lo, s0
	s_and_saveexec_b32 s0, vcc_lo
	s_cbranch_execz .LBB316_961
.LBB316_984:
	v_lshl_add_u32 v12, v9, 2, v10
	ds_load_b32 v12, v12 offset:320
	s_waitcnt lgkmcnt(0)
	v_add_f32_e32 v1, v1, v12
	s_or_b32 exec_lo, exec_lo, s0
	s_and_saveexec_b32 s0, vcc_lo
	s_cbranch_execnz .LBB316_962
	s_branch .LBB316_963
.LBB316_985:
	ds_load_b32 v10, v9
	s_waitcnt lgkmcnt(0)
	v_add_f32_e32 v8, v8, v10
	s_or_b32 exec_lo, exec_lo, s0
	s_and_saveexec_b32 s0, vcc_lo
	s_cbranch_execz .LBB316_969
.LBB316_986:
	ds_load_b32 v10, v9 offset:64
	s_waitcnt lgkmcnt(0)
	v_add_f32_e32 v7, v7, v10
	s_or_b32 exec_lo, exec_lo, s0
	s_and_saveexec_b32 s0, vcc_lo
	s_cbranch_execz .LBB316_970
.LBB316_987:
	ds_load_b32 v10, v9 offset:128
	s_waitcnt lgkmcnt(0)
	v_add_f32_e32 v6, v6, v10
	s_or_b32 exec_lo, exec_lo, s0
	s_and_saveexec_b32 s0, vcc_lo
	s_cbranch_execz .LBB316_971
.LBB316_988:
	ds_load_b32 v10, v9 offset:192
	s_waitcnt lgkmcnt(0)
	v_add_f32_e32 v3, v3, v10
	s_or_b32 exec_lo, exec_lo, s0
	s_and_saveexec_b32 s0, vcc_lo
	s_cbranch_execz .LBB316_972
.LBB316_989:
	ds_load_b32 v10, v9 offset:256
	s_waitcnt lgkmcnt(0)
	v_add_f32_e32 v2, v2, v10
	s_or_b32 exec_lo, exec_lo, s0
	s_and_saveexec_b32 s0, vcc_lo
	s_cbranch_execz .LBB316_973
.LBB316_990:
	ds_load_b32 v10, v9 offset:320
	s_waitcnt lgkmcnt(0)
	v_add_f32_e32 v1, v1, v10
	s_or_b32 exec_lo, exec_lo, s0
	s_and_saveexec_b32 s0, vcc_lo
	s_cbranch_execnz .LBB316_974
	s_branch .LBB316_975
.Lfunc_end316:
	.size	_ZN4vllm22paged_attention_kernelIthLi112ELi16ELi128ELNS_18Fp8KVCacheDataTypeE1ELb1ELi512EEEvPfS2_PT_PKS3_PKT0_S9_ifPKiSB_iPKfiiiSD_SD_iiiii, .Lfunc_end316-_ZN4vllm22paged_attention_kernelIthLi112ELi16ELi128ELNS_18Fp8KVCacheDataTypeE1ELb1ELi512EEEvPfS2_PT_PKS3_PKT0_S9_ifPKiSB_iPKfiiiSD_SD_iiiii
                                        ; -- End function
	.section	.AMDGPU.csdata,"",@progbits
; Function info:
; codeLenInByte = 37956
; NumSgprs: 35
; NumVgprs: 184
; ScratchSize: 44
; MemoryBound: 0
	.section	.text._ZN4vllm25paged_attention_v2_kernelIthLi112ELi16ELi128ELNS_18Fp8KVCacheDataTypeE1ELb1ELi512EEEvPfS2_PT_PKS3_PKT0_S9_ifPKiSB_iPKfiiiSD_SD_iiiii,"axG",@progbits,_ZN4vllm25paged_attention_v2_kernelIthLi112ELi16ELi128ELNS_18Fp8KVCacheDataTypeE1ELb1ELi512EEEvPfS2_PT_PKS3_PKT0_S9_ifPKiSB_iPKfiiiSD_SD_iiiii,comdat
	.protected	_ZN4vllm25paged_attention_v2_kernelIthLi112ELi16ELi128ELNS_18Fp8KVCacheDataTypeE1ELb1ELi512EEEvPfS2_PT_PKS3_PKT0_S9_ifPKiSB_iPKfiiiSD_SD_iiiii ; -- Begin function _ZN4vllm25paged_attention_v2_kernelIthLi112ELi16ELi128ELNS_18Fp8KVCacheDataTypeE1ELb1ELi512EEEvPfS2_PT_PKS3_PKT0_S9_ifPKiSB_iPKfiiiSD_SD_iiiii
	.globl	_ZN4vllm25paged_attention_v2_kernelIthLi112ELi16ELi128ELNS_18Fp8KVCacheDataTypeE1ELb1ELi512EEEvPfS2_PT_PKS3_PKT0_S9_ifPKiSB_iPKfiiiSD_SD_iiiii
	.p2align	8
	.type	_ZN4vllm25paged_attention_v2_kernelIthLi112ELi16ELi128ELNS_18Fp8KVCacheDataTypeE1ELb1ELi512EEEvPfS2_PT_PKS3_PKT0_S9_ifPKiSB_iPKfiiiSD_SD_iiiii,@function
_ZN4vllm25paged_attention_v2_kernelIthLi112ELi16ELi128ELNS_18Fp8KVCacheDataTypeE1ELb1ELi512EEEvPfS2_PT_PKS3_PKT0_S9_ifPKiSB_iPKfiiiSD_SD_iiiii: ; @_ZN4vllm25paged_attention_v2_kernelIthLi112ELi16ELi128ELNS_18Fp8KVCacheDataTypeE1ELb1ELi512EEEvPfS2_PT_PKS3_PKT0_S9_ifPKiSB_iPKfiiiSD_SD_iiiii
; %bb.0:
	s_mov_b32 s12, s13
	s_clause 0x7
	s_load_b128 s[4:7], s[0:1], 0x78
	s_load_b32 s8, s[0:1], 0x88
	s_load_b256 s[24:31], s[0:1], 0x0
	s_load_b256 s[36:43], s[0:1], 0x20
	s_load_b64 s[2:3], s[0:1], 0x40
	s_load_b64 s[10:11], s[0:1], 0x50
	s_load_b32 s13, s[0:1], 0x48
	s_load_b256 s[16:23], s[0:1], 0x58
	s_mov_b32 s32, 0
	v_mov_b32_e32 v31, v0
	s_waitcnt lgkmcnt(0)
	v_dual_mov_b32 v1, s7 :: v_dual_mov_b32 v2, s8
	v_dual_mov_b32 v0, s24 :: v_dual_mov_b32 v3, s27
	;; [unrolled: 1-line block ×3, first 2 shown]
	v_mov_b32_e32 v6, s30
	scratch_store_b64 off, v[1:2], s32
	v_dual_mov_b32 v1, s25 :: v_dual_mov_b32 v2, s26
	v_dual_mov_b32 v7, s31 :: v_dual_mov_b32 v8, s36
	;; [unrolled: 1-line block ×13, first 2 shown]
	s_add_u32 s8, s0, 0x90
	s_addc_u32 s9, s1, 0
	s_mov_b32 s13, s14
	s_mov_b32 s14, s15
	s_movk_i32 s15, 0x54
	s_getpc_b64 s[0:1]
	s_add_u32 s0, s0, _ZN4vllm22paged_attention_kernelIthLi112ELi16ELi128ELNS_18Fp8KVCacheDataTypeE1ELb1ELi512EEEvPfS2_PT_PKS3_PKT0_S9_ifPKiSB_iPKfiiiSD_SD_iiiii@rel32@lo+4
	s_addc_u32 s1, s1, _ZN4vllm22paged_attention_kernelIthLi112ELi16ELi128ELNS_18Fp8KVCacheDataTypeE1ELb1ELi512EEEvPfS2_PT_PKS3_PKT0_S9_ifPKiSB_iPKfiiiSD_SD_iiiii@rel32@hi+12
	s_delay_alu instid0(SALU_CYCLE_1)
	s_swappc_b64 s[30:31], s[0:1]
	s_endpgm
	.section	.rodata,"a",@progbits
	.p2align	6, 0x0
	.amdhsa_kernel _ZN4vllm25paged_attention_v2_kernelIthLi112ELi16ELi128ELNS_18Fp8KVCacheDataTypeE1ELb1ELi512EEEvPfS2_PT_PKS3_PKT0_S9_ifPKiSB_iPKfiiiSD_SD_iiiii
		.amdhsa_group_segment_fixed_size 256
		.amdhsa_private_segment_fixed_size 44
		.amdhsa_kernarg_size 400
		.amdhsa_user_sgpr_count 13
		.amdhsa_user_sgpr_dispatch_ptr 0
		.amdhsa_user_sgpr_queue_ptr 0
		.amdhsa_user_sgpr_kernarg_segment_ptr 1
		.amdhsa_user_sgpr_dispatch_id 0
		.amdhsa_user_sgpr_private_segment_size 0
		.amdhsa_wavefront_size32 1
		.amdhsa_uses_dynamic_stack 0
		.amdhsa_enable_private_segment 1
		.amdhsa_system_sgpr_workgroup_id_x 1
		.amdhsa_system_sgpr_workgroup_id_y 1
		.amdhsa_system_sgpr_workgroup_id_z 1
		.amdhsa_system_sgpr_workgroup_info 0
		.amdhsa_system_vgpr_workitem_id 0
		.amdhsa_next_free_vgpr 184
		.amdhsa_next_free_sgpr 44
		.amdhsa_reserve_vcc 1
		.amdhsa_float_round_mode_32 0
		.amdhsa_float_round_mode_16_64 0
		.amdhsa_float_denorm_mode_32 3
		.amdhsa_float_denorm_mode_16_64 3
		.amdhsa_dx10_clamp 1
		.amdhsa_ieee_mode 1
		.amdhsa_fp16_overflow 0
		.amdhsa_workgroup_processor_mode 1
		.amdhsa_memory_ordered 1
		.amdhsa_forward_progress 0
		.amdhsa_shared_vgpr_count 0
		.amdhsa_exception_fp_ieee_invalid_op 0
		.amdhsa_exception_fp_denorm_src 0
		.amdhsa_exception_fp_ieee_div_zero 0
		.amdhsa_exception_fp_ieee_overflow 0
		.amdhsa_exception_fp_ieee_underflow 0
		.amdhsa_exception_fp_ieee_inexact 0
		.amdhsa_exception_int_div_zero 0
	.end_amdhsa_kernel
	.section	.text._ZN4vllm25paged_attention_v2_kernelIthLi112ELi16ELi128ELNS_18Fp8KVCacheDataTypeE1ELb1ELi512EEEvPfS2_PT_PKS3_PKT0_S9_ifPKiSB_iPKfiiiSD_SD_iiiii,"axG",@progbits,_ZN4vllm25paged_attention_v2_kernelIthLi112ELi16ELi128ELNS_18Fp8KVCacheDataTypeE1ELb1ELi512EEEvPfS2_PT_PKS3_PKT0_S9_ifPKiSB_iPKfiiiSD_SD_iiiii,comdat
.Lfunc_end317:
	.size	_ZN4vllm25paged_attention_v2_kernelIthLi112ELi16ELi128ELNS_18Fp8KVCacheDataTypeE1ELb1ELi512EEEvPfS2_PT_PKS3_PKT0_S9_ifPKiSB_iPKfiiiSD_SD_iiiii, .Lfunc_end317-_ZN4vllm25paged_attention_v2_kernelIthLi112ELi16ELi128ELNS_18Fp8KVCacheDataTypeE1ELb1ELi512EEEvPfS2_PT_PKS3_PKT0_S9_ifPKiSB_iPKfiiiSD_SD_iiiii
                                        ; -- End function
	.section	.AMDGPU.csdata,"",@progbits
; Kernel info:
; codeLenInByte = 280
; NumSgprs: 46
; NumVgprs: 184
; ScratchSize: 44
; MemoryBound: 0
; FloatMode: 240
; IeeeMode: 1
; LDSByteSize: 256 bytes/workgroup (compile time only)
; SGPRBlocks: 5
; VGPRBlocks: 22
; NumSGPRsForWavesPerEU: 46
; NumVGPRsForWavesPerEU: 184
; Occupancy: 8
; WaveLimiterHint : 1
; COMPUTE_PGM_RSRC2:SCRATCH_EN: 1
; COMPUTE_PGM_RSRC2:USER_SGPR: 13
; COMPUTE_PGM_RSRC2:TRAP_HANDLER: 0
; COMPUTE_PGM_RSRC2:TGID_X_EN: 1
; COMPUTE_PGM_RSRC2:TGID_Y_EN: 1
; COMPUTE_PGM_RSRC2:TGID_Z_EN: 1
; COMPUTE_PGM_RSRC2:TIDIG_COMP_CNT: 0
	.text
	.p2align	2                               ; -- Begin function _ZN4vllm22paged_attention_kernelIthLi120ELi16ELi128ELNS_18Fp8KVCacheDataTypeE1ELb1ELi512EEEvPfS2_PT_PKS3_PKT0_S9_ifPKiSB_iPKfiiiSD_SD_iiiii
	.type	_ZN4vllm22paged_attention_kernelIthLi120ELi16ELi128ELNS_18Fp8KVCacheDataTypeE1ELb1ELi512EEEvPfS2_PT_PKS3_PKT0_S9_ifPKiSB_iPKfiiiSD_SD_iiiii,@function
_ZN4vllm22paged_attention_kernelIthLi120ELi16ELi128ELNS_18Fp8KVCacheDataTypeE1ELb1ELi512EEEvPfS2_PT_PKS3_PKT0_S9_ifPKiSB_iPKfiiiSD_SD_iiiii: ; @_ZN4vllm22paged_attention_kernelIthLi120ELi16ELi128ELNS_18Fp8KVCacheDataTypeE1ELb1ELi512EEEvPfS2_PT_PKS3_PKT0_S9_ifPKiSB_iPKfiiiSD_SD_iiiii
; %bb.0:
	s_waitcnt vmcnt(0) expcnt(0) lgkmcnt(0)
	s_clause 0xb
	scratch_store_b32 off, v40, s32 offset:52
	; meta instruction
	scratch_store_b32 off, v41, s32 offset:48
	; meta instruction
	;; [unrolled: 2-line block ×11, first 2 shown]
	scratch_store_b32 off, v59, s32 offset:8
	s_mov_b32 s10, s13
	s_ashr_i32 s11, s13, 31
	s_lshl_b32 s16, s14, 9
	s_lshl_b64 s[0:1], s[10:11], 2
	s_mov_b32 s11, exec_lo
	v_add_co_u32 v16, vcc_lo, v16, s0
	v_add_co_ci_u32_e32 v17, vcc_lo, s1, v17, vcc_lo
	flat_load_b32 v35, v[16:17]
	s_clause 0x1
	scratch_load_b32 v32, off, s32 offset:4
	scratch_load_b32 v39, off, s32
	s_waitcnt vmcnt(2) lgkmcnt(0)
	v_cmpx_lt_i32_e64 s16, v35
	s_cbranch_execz .LBB318_1105
; %bb.1:
	v_sub_nc_u32_e32 v16, 0, v12
	s_clause 0x1
	s_load_b32 s0, s[8:9], 0x10
	s_load_b32 s1, s[8:9], 0x0
	s_mov_b32 s6, s15
	v_mov_b32_e32 v55, 0
	v_max_i32_e32 v16, v12, v16
	s_delay_alu instid0(VALU_DEP_1) | instskip(SKIP_1) | instid1(VALU_DEP_2)
	v_cvt_f32_u32_e32 v17, v16
	v_sub_nc_u32_e32 v33, 0, v16
	v_rcp_iflag_f32_e32 v17, v17
	s_waitcnt lgkmcnt(0)
	s_lshr_b32 s0, s0, 16
	s_delay_alu instid0(SALU_CYCLE_1) | instskip(SKIP_3) | instid1(SALU_CYCLE_1)
	s_cmp_lg_u32 s0, 0
	s_waitcnt_depctr 0xfff
	v_mul_f32_e32 v17, 0x4f7ffffe, v17
	s_cselect_b32 s0, -1, 0
	s_cmp_lg_u32 s0, 0
	s_delay_alu instid0(VALU_DEP_1) | instskip(SKIP_3) | instid1(VALU_DEP_1)
	v_cvt_u32_f32_e32 v17, v17
	s_addc_u32 s15, s1, 0
	s_mov_b32 s1, exec_lo
	s_abs_i32 s0, s15
	v_mul_lo_u32 v33, v33, v17
	s_delay_alu instid0(VALU_DEP_1) | instskip(NEXT) | instid1(VALU_DEP_1)
	v_mul_hi_u32 v33, v17, v33
	v_add_nc_u32_e32 v17, v17, v33
	s_delay_alu instid0(VALU_DEP_1) | instskip(NEXT) | instid1(VALU_DEP_1)
	v_mul_hi_u32 v17, s0, v17
	v_mul_lo_u32 v33, v17, v16
	s_delay_alu instid0(VALU_DEP_1) | instskip(SKIP_1) | instid1(VALU_DEP_1)
	v_sub_nc_u32_e32 v33, s0, v33
	s_abs_i32 s0, s12
	v_sub_nc_u32_e32 v36, v33, v16
	v_cmp_ge_u32_e32 vcc_lo, v33, v16
	s_delay_alu instid0(VALU_DEP_2) | instskip(NEXT) | instid1(VALU_DEP_1)
	v_dual_cndmask_b32 v33, v33, v36 :: v_dual_add_nc_u32 v34, 1, v17
	v_cndmask_b32_e32 v17, v17, v34, vcc_lo
	v_xor_b32_e32 v34, s15, v12
	s_delay_alu instid0(VALU_DEP_3) | instskip(NEXT) | instid1(VALU_DEP_3)
	v_cmp_ge_u32_e32 vcc_lo, v33, v16
	v_add_nc_u32_e32 v36, 1, v17
	s_delay_alu instid0(VALU_DEP_3) | instskip(NEXT) | instid1(VALU_DEP_2)
	v_ashrrev_i32_e32 v34, 31, v34
	v_cndmask_b32_e32 v16, v17, v36, vcc_lo
	s_delay_alu instid0(VALU_DEP_1) | instskip(NEXT) | instid1(VALU_DEP_1)
	v_xor_b32_e32 v16, v16, v34
	v_sub_nc_u32_e32 v33, v16, v34
	s_delay_alu instid0(VALU_DEP_1) | instskip(NEXT) | instid1(VALU_DEP_1)
	v_sub_nc_u32_e32 v16, 0, v33
	v_max_i32_e32 v38, v33, v16
	s_delay_alu instid0(VALU_DEP_1) | instskip(SKIP_1) | instid1(VALU_DEP_2)
	v_cvt_f32_u32_e32 v16, v38
	v_sub_nc_u32_e32 v17, 0, v38
	v_rcp_iflag_f32_e32 v16, v16
	s_waitcnt_depctr 0xfff
	v_mul_f32_e32 v16, 0x4f7ffffe, v16
	s_delay_alu instid0(VALU_DEP_1) | instskip(NEXT) | instid1(VALU_DEP_1)
	v_cvt_u32_f32_e32 v16, v16
	v_mul_lo_u32 v17, v17, v16
	s_delay_alu instid0(VALU_DEP_1) | instskip(NEXT) | instid1(VALU_DEP_1)
	v_mul_hi_u32 v17, v16, v17
	v_add_nc_u32_e32 v34, v16, v17
	s_delay_alu instid0(VALU_DEP_1)
	v_mad_u64_u32 v[16:17], null, s0, v34, 0
	v_cmpx_ne_u64_e32 0, v[19:20]
	s_cbranch_execz .LBB318_3
; %bb.2:
	s_ashr_i32 s13, s12, 31
	s_delay_alu instid0(SALU_CYCLE_1) | instskip(NEXT) | instid1(SALU_CYCLE_1)
	s_lshl_b64 s[2:3], s[12:13], 2
	v_add_co_u32 v19, vcc_lo, v19, s2
	v_add_co_ci_u32_e32 v20, vcc_lo, s3, v20, vcc_lo
	flat_load_b32 v55, v[19:20]
.LBB318_3:
	s_or_b32 exec_lo, exec_lo, s1
	v_and_b32_e32 v34, 0x3ff, v31
	v_ashrrev_i32_e32 v16, 31, v33
	s_ashr_i32 s1, s12, 31
	s_mul_i32 s4, s12, 0x78
	s_mov_b32 s2, exec_lo
	v_lshrrev_b32_e32 v33, 1, v34
	v_and_b32_e32 v36, 1, v34
	v_lshlrev_b32_e32 v51, 3, v34
	v_cmpx_gt_u32_e32 30, v34
	s_cbranch_execz .LBB318_5
; %bb.4:
	v_mul_lo_u32 v19, s10, v21
	s_ashr_i32 s5, s4, 31
	s_delay_alu instid0(SALU_CYCLE_1) | instskip(NEXT) | instid1(VALU_DEP_1)
	s_lshl_b64 s[18:19], s[4:5], 1
	v_ashrrev_i32_e32 v20, 31, v19
	s_delay_alu instid0(VALU_DEP_1) | instskip(NEXT) | instid1(VALU_DEP_1)
	v_lshlrev_b64 v[19:20], 1, v[19:20]
	v_add_co_u32 v6, vcc_lo, v6, v19
	s_delay_alu instid0(VALU_DEP_2) | instskip(SKIP_1) | instid1(VALU_DEP_3)
	v_add_co_ci_u32_e32 v7, vcc_lo, v7, v20, vcc_lo
	v_lshlrev_b32_e32 v19, 3, v33
	v_add_co_u32 v6, vcc_lo, v6, s18
	s_delay_alu instid0(VALU_DEP_3) | instskip(NEXT) | instid1(VALU_DEP_3)
	v_add_co_ci_u32_e32 v7, vcc_lo, s19, v7, vcc_lo
	v_mad_u32_u24 v19, 0x78, v36, v19
	s_delay_alu instid0(VALU_DEP_3) | instskip(NEXT) | instid1(VALU_DEP_3)
	v_add_co_u32 v6, vcc_lo, v6, v51
	v_add_co_ci_u32_e32 v7, vcc_lo, 0, v7, vcc_lo
	flat_load_b64 v[6:7], v[6:7]
	s_waitcnt vmcnt(0) lgkmcnt(0)
	ds_store_b64 v19, v[6:7]
.LBB318_5:
	s_or_b32 exec_lo, exec_lo, s2
	s_waitcnt vmcnt(0)
	v_sub_nc_u32_e32 v6, 0, v39
	v_mul_lo_u32 v7, v17, v38
	v_add_nc_u32_e32 v20, 1, v17
	v_xor_b32_e32 v48, s1, v16
	s_waitcnt lgkmcnt(0)
	s_waitcnt_vscnt null, 0x0
	v_max_i32_e32 v37, v39, v6
	s_barrier
	buffer_gl0_inv
	v_sub_nc_u32_e32 v19, s0, v7
	v_cvt_f32_u32_e32 v6, v37
	v_sub_nc_u32_e32 v7, 0, v37
	s_mov_b32 s0, exec_lo
	s_delay_alu instid0(VALU_DEP_3) | instskip(NEXT) | instid1(VALU_DEP_3)
	v_cmp_ge_u32_e32 vcc_lo, v19, v38
	v_rcp_iflag_f32_e32 v6, v6
	v_sub_nc_u32_e32 v21, v19, v38
	v_cndmask_b32_e32 v17, v17, v20, vcc_lo
	s_delay_alu instid0(VALU_DEP_2) | instskip(NEXT) | instid1(VALU_DEP_2)
	v_cndmask_b32_e32 v19, v19, v21, vcc_lo
	v_add_nc_u32_e32 v20, 1, v17
	s_waitcnt_depctr 0xfff
	v_mul_f32_e32 v6, 0x4f7ffffe, v6
	v_cmp_ge_u32_e32 vcc_lo, v19, v38
	s_delay_alu instid0(VALU_DEP_2) | instskip(SKIP_1) | instid1(VALU_DEP_2)
	v_cvt_u32_f32_e32 v6, v6
	v_cndmask_b32_e32 v16, v17, v20, vcc_lo
	v_mul_lo_u32 v31, v7, v6
	v_add_nc_u32_e32 v7, -1, v35
	s_delay_alu instid0(VALU_DEP_2) | instskip(NEXT) | instid1(VALU_DEP_2)
	v_mul_hi_u32 v21, v6, v31
	v_sub_nc_u32_e32 v31, 0, v7
	s_delay_alu instid0(VALU_DEP_1) | instskip(NEXT) | instid1(VALU_DEP_3)
	v_max_i32_e32 v19, v7, v31
	v_add_nc_u32_e32 v38, v6, v21
	v_xor_b32_e32 v6, v16, v48
	s_delay_alu instid0(VALU_DEP_2) | instskip(NEXT) | instid1(VALU_DEP_2)
	v_mad_u64_u32 v[16:17], null, v19, v38, 0
	v_sub_nc_u32_e32 v16, v6, v48
                                        ; implicit-def: $vgpr6
	v_cmpx_gt_i32_e32 0, v32
	s_xor_b32 s0, exec_lo, s0
; %bb.6:
	s_delay_alu instid0(VALU_DEP_2) | instskip(NEXT) | instid1(VALU_DEP_1)
	v_mad_u64_u32 v[20:21], null, v28, v12, v[16:17]
                                        ; implicit-def: $vgpr28
	v_mul_lo_u32 v6, v20, v32
                                        ; implicit-def: $vgpr32
	s_delay_alu instid0(VALU_DEP_1)
	v_sub_nc_u32_e32 v6, 1, v6
; %bb.7:
	s_or_saveexec_b32 s0, s0
	v_ashrrev_i32_e32 v12, 31, v7
	v_ashrrev_i32_e32 v48, 31, v39
	s_xor_b32 exec_lo, exec_lo, s0
; %bb.8:
	v_mad_u64_u32 v[20:21], null, s15, v28, s[12:13]
	s_delay_alu instid0(VALU_DEP_1)
	v_mad_u64_u32 v[6:7], null, v20, v32, 1
; %bb.9:
	s_or_b32 exec_lo, exec_lo, s0
	v_mul_lo_u32 v7, v17, v37
	v_xor_b32_e32 v21, v12, v48
	s_clause 0x1
	s_load_b32 s17, s[8:9], 0x14
	s_load_b32 s5, s[8:9], 0x8
	v_mul_lo_u32 v18, s10, v18
	v_lshrrev_b32_e32 v39, 5, v34
	s_lshl_b32 s13, s14, 5
	v_mul_lo_u32 v52, v16, v23
	s_add_i32 s0, s13, 32
	v_sub_nc_u32_e32 v7, v19, v7
	v_add_nc_u32_e32 v19, 1, v17
	v_or_b32_e32 v16, s13, v39
	v_mov_b32_e32 v65, 0xff7fffff
	v_sub_nc_u32_e32 v53, 0, v30
	v_sub_nc_u32_e32 v28, v7, v37
	v_cmp_ge_u32_e32 vcc_lo, v7, v37
	v_add_nc_u32_e32 v20, 15, v35
	v_lshl_add_u32 v49, v39, 4, s16
	v_ashrrev_i32_e32 v54, 31, v52
	v_mbcnt_lo_u32_b32 v64, -1, 0
	v_cndmask_b32_e32 v7, v7, v28, vcc_lo
	v_ashrrev_i32_e32 v12, 31, v20
	s_mov_b32 s18, exec_lo
	s_delay_alu instid0(VALU_DEP_1) | instskip(SKIP_2) | instid1(VALU_DEP_3)
	v_lshrrev_b32_e32 v12, 28, v12
	v_cndmask_b32_e32 v17, v17, v19, vcc_lo
	v_cmp_ge_u32_e32 vcc_lo, v7, v37
	v_add_nc_u32_e32 v12, v20, v12
	s_delay_alu instid0(VALU_DEP_3) | instskip(NEXT) | instid1(VALU_DEP_2)
	v_add_nc_u32_e32 v19, 1, v17
	v_ashrrev_i32_e32 v12, 4, v12
	s_delay_alu instid0(VALU_DEP_2) | instskip(SKIP_2) | instid1(VALU_DEP_4)
	v_cndmask_b32_e32 v7, v17, v19, vcc_lo
	v_ashrrev_i32_e32 v19, 31, v18
	v_ashrrev_i32_e32 v17, 31, v16
	v_min_i32_e32 v23, s0, v12
	s_delay_alu instid0(VALU_DEP_4) | instskip(NEXT) | instid1(VALU_DEP_4)
	v_xor_b32_e32 v7, v7, v21
	v_lshlrev_b64 v[18:19], 2, v[18:19]
	s_delay_alu instid0(VALU_DEP_3) | instskip(NEXT) | instid1(VALU_DEP_3)
	v_cmp_ge_i32_e64 s0, v16, v23
	v_sub_nc_u32_e32 v7, v7, v21
	s_delay_alu instid0(VALU_DEP_1)
	v_sub_nc_u32_e32 v50, v7, v29
	v_cmpx_lt_i32_e64 v16, v23
	s_cbranch_execz .LBB318_499
; %bb.10:
	v_max_i32_e32 v66, v30, v53
	v_bfe_u32 v67, v34, 1, 4
	s_ashr_i32 s7, s6, 31
	s_getpc_b64 s[2:3]
	s_add_u32 s2, s2, llvm.amdgcn.dynlds.offset.table@rel32@lo+4
	s_addc_u32 s3, s3, llvm.amdgcn.dynlds.offset.table@rel32@hi+12
	s_lshl_b64 s[8:9], s[6:7], 2
	v_cvt_f32_u32_e32 v7, v66
	v_sub_nc_u32_e32 v80, v67, v35
	v_sub_nc_u32_e32 v31, 0, v66
	s_add_u32 s8, s8, s2
	s_addc_u32 s9, s9, s3
	v_rcp_iflag_f32_e32 v7, v7
	s_load_b32 s7, s[8:9], 0x0
	v_lshlrev_b64 v[20:21], 2, v[16:17]
	v_add_co_u32 v28, s1, v8, v52
	v_lshlrev_b32_e32 v32, 4, v67
	v_add_co_ci_u32_e64 v29, s1, v9, v54, s1
	s_delay_alu instid0(VALU_DEP_4) | instskip(SKIP_4) | instid1(VALU_DEP_3)
	v_add_co_u32 v81, s2, v18, v20
	s_waitcnt_depctr 0xfff
	v_dual_mul_f32 v7, 0x4f7ffffe, v7 :: v_dual_add_nc_u32 v80, 1, v80
	v_add_co_ci_u32_e64 v82, s2, v19, v21, s2
	v_lshlrev_b32_e32 v71, 2, v67
	v_cvt_u32_f32_e32 v7, v7
	v_add_co_u32 v20, s2, v28, v32
	s_delay_alu instid0(VALU_DEP_1) | instskip(NEXT) | instid1(VALU_DEP_3)
	v_add_co_ci_u32_e64 v21, s2, 0, v29, s2
	v_mul_lo_u32 v31, v31, v7
	v_add_co_u32 v28, s2, v14, v81
	v_cmp_eq_u32_e32 vcc_lo, 0, v36
	v_dual_mov_b32 v8, 0 :: v_dual_lshlrev_b32 v9, 2, v36
	v_mul_u32_u24_e32 v68, 0x78, v36
	v_cmp_neq_f32_e64 s1, 0, v55
	v_mul_hi_u32 v31, v7, v31
	v_lshl_add_u32 v69, v39, 4, s16
	v_dual_mov_b32 v70, 0xff7fffff :: v_dual_mov_b32 v65, 0xff7fffff
	v_add_co_ci_u32_e64 v29, s2, v15, v82, s2
	v_mov_b32_e32 v82, v16
	v_lshl_or_b32 v71, v39, 6, v71
	v_add_nc_u32_e32 v81, v7, v31
	s_mov_b32 s19, 0
	s_branch .LBB318_13
.LBB318_11:                             ;   in Loop: Header=BB318_13 Depth=1
	s_or_b32 exec_lo, exec_lo, s20
.LBB318_12:                             ;   in Loop: Header=BB318_13 Depth=1
	s_delay_alu instid0(SALU_CYCLE_1) | instskip(SKIP_2) | instid1(VALU_DEP_1)
	s_or_b32 exec_lo, exec_lo, s3
	v_add_nc_u32_e32 v82, 4, v82
	v_add_co_u32 v28, s3, v28, 16
	v_add_co_ci_u32_e64 v29, s3, 0, v29, s3
	s_delay_alu instid0(VALU_DEP_3) | instskip(SKIP_2) | instid1(VALU_DEP_3)
	v_cmp_ge_i32_e64 s2, v82, v23
	v_add_nc_u32_e32 v69, 64, v69
	v_add_nc_u32_e32 v71, 0x100, v71
	s_or_b32 s19, s2, s19
	s_delay_alu instid0(SALU_CYCLE_1)
	s_and_not1_b32 exec_lo, exec_lo, s19
	s_cbranch_execz .LBB318_498
.LBB318_13:                             ; =>This Inner Loop Header: Depth=1
	v_sub_nc_u32_e32 v7, 0, v69
	s_delay_alu instid0(VALU_DEP_1) | instskip(SKIP_1) | instid1(VALU_DEP_1)
	v_max_i32_e32 v7, v69, v7
	s_waitcnt lgkmcnt(0)
	v_mul_hi_u32 v31, v7, v38
	s_delay_alu instid0(VALU_DEP_1) | instskip(NEXT) | instid1(VALU_DEP_1)
	v_mul_lo_u32 v32, v31, v37
	v_sub_nc_u32_e32 v7, v7, v32
	v_add_nc_u32_e32 v32, 1, v31
	s_delay_alu instid0(VALU_DEP_2) | instskip(SKIP_1) | instid1(VALU_DEP_1)
	v_sub_nc_u32_e32 v83, v7, v37
	v_cmp_ge_u32_e64 s2, v7, v37
	v_cndmask_b32_e64 v31, v31, v32, s2
	s_delay_alu instid0(VALU_DEP_3) | instskip(SKIP_1) | instid1(VALU_DEP_3)
	v_cndmask_b32_e64 v7, v7, v83, s2
	v_ashrrev_i32_e32 v32, 31, v69
	v_add_nc_u32_e32 v83, 1, v31
	s_delay_alu instid0(VALU_DEP_3) | instskip(NEXT) | instid1(VALU_DEP_3)
	v_cmp_ge_u32_e64 s2, v7, v37
	v_xor_b32_e32 v32, v32, v48
	s_delay_alu instid0(VALU_DEP_2) | instskip(NEXT) | instid1(VALU_DEP_1)
	v_cndmask_b32_e64 v7, v31, v83, s2
	v_xor_b32_e32 v7, v7, v32
	s_delay_alu instid0(VALU_DEP_1) | instskip(NEXT) | instid1(VALU_DEP_1)
	v_sub_nc_u32_e32 v7, v7, v32
	v_add_nc_u32_e32 v31, v7, v6
	v_cmp_le_i32_e64 s3, v7, v50
	s_delay_alu instid0(VALU_DEP_2) | instskip(NEXT) | instid1(VALU_DEP_1)
	v_sub_nc_u32_e32 v32, 0, v31
	v_max_i32_e32 v32, v31, v32
	v_ashrrev_i32_e32 v31, 31, v31
	s_delay_alu instid0(VALU_DEP_2) | instskip(NEXT) | instid1(VALU_DEP_1)
	v_mul_hi_u32 v83, v32, v81
	v_mul_lo_u32 v83, v83, v66
	s_delay_alu instid0(VALU_DEP_1) | instskip(NEXT) | instid1(VALU_DEP_1)
	v_sub_nc_u32_e32 v32, v32, v83
	v_sub_nc_u32_e32 v83, v32, v66
	v_cmp_ge_u32_e64 s2, v32, v66
	s_delay_alu instid0(VALU_DEP_1) | instskip(NEXT) | instid1(VALU_DEP_1)
	v_cndmask_b32_e64 v32, v32, v83, s2
	v_sub_nc_u32_e32 v83, v32, v66
	v_cmp_ge_u32_e64 s2, v32, v66
	s_delay_alu instid0(VALU_DEP_1) | instskip(NEXT) | instid1(VALU_DEP_1)
	v_cndmask_b32_e64 v32, v32, v83, s2
	v_xor_b32_e32 v32, v32, v31
	s_delay_alu instid0(VALU_DEP_1) | instskip(NEXT) | instid1(VALU_DEP_1)
	v_sub_nc_u32_e32 v31, v32, v31
	v_cmp_ne_u32_e64 s2, 0, v31
	s_delay_alu instid0(VALU_DEP_1) | instskip(NEXT) | instid1(SALU_CYCLE_1)
	s_and_b32 s2, s2, s3
	s_and_b32 s20, vcc_lo, s2
	s_delay_alu instid0(SALU_CYCLE_1)
	s_and_saveexec_b32 s3, s20
	s_cbranch_execz .LBB318_15
; %bb.14:                               ;   in Loop: Header=BB318_13 Depth=1
	s_waitcnt lgkmcnt(0)
	v_add_nc_u32_e32 v7, s7, v71
	ds_store_b32 v7, v70
.LBB318_15:                             ;   in Loop: Header=BB318_13 Depth=1
	s_or_b32 exec_lo, exec_lo, s3
	s_xor_b32 s2, s2, -1
	s_delay_alu instid0(SALU_CYCLE_1)
	s_and_saveexec_b32 s3, s2
	s_cbranch_execz .LBB318_12
; %bb.16:                               ;   in Loop: Header=BB318_13 Depth=1
	flat_load_b32 v7, v[28:29]
	v_mov_b32_e32 v85, 0
	s_mov_b32 s20, exec_lo
	v_mov_b32_e32 v84, 0
	s_waitcnt vmcnt(0) lgkmcnt(0)
	v_mad_i64_i32 v[31:32], null, v7, v22, v[20:21]
	s_delay_alu instid0(VALU_DEP_1) | instskip(NEXT) | instid1(VALU_DEP_1)
	v_add_co_u32 v31, s2, v31, v9
	v_add_co_ci_u32_e64 v32, s2, 0, v32, s2
	flat_load_b32 v96, v[31:32]
	flat_load_b32 v83, v[24:25]
	s_waitcnt vmcnt(1) lgkmcnt(1)
	v_and_b32_e32 v7, 0xff, v96
	s_delay_alu instid0(VALU_DEP_1)
	v_cmpx_ne_u16_e32 0, v7
	s_cbranch_execz .LBB318_24
; %bb.17:                               ;   in Loop: Header=BB318_13 Depth=1
	v_bfrev_b32_e32 v84, 1
	s_mov_b32 s21, exec_lo
	v_cmpx_ne_u16_e32 0x80, v7
	s_cbranch_execz .LBB318_23
; %bb.18:                               ;   in Loop: Header=BB318_13 Depth=1
	v_and_b32_e32 v86, 0x7f, v96
	v_mov_b32_e32 v84, 0x7fc02000
	s_mov_b32 s22, exec_lo
	s_delay_alu instid0(VALU_DEP_2)
	v_cmpx_ne_u32_e32 0x7f, v86
	s_cbranch_execz .LBB318_22
; %bb.19:                               ;   in Loop: Header=BB318_13 Depth=1
	v_and_b32_e32 v7, 7, v96
	v_lshrrev_b32_e32 v84, 3, v86
	s_mov_b32 s23, exec_lo
	v_cmpx_gt_u32_e32 8, v86
; %bb.20:                               ;   in Loop: Header=BB318_13 Depth=1
	s_delay_alu instid0(VALU_DEP_3) | instskip(NEXT) | instid1(VALU_DEP_1)
	v_clz_i32_u32_e32 v84, v7
	v_min_u32_e32 v84, 32, v84
	s_delay_alu instid0(VALU_DEP_1) | instskip(SKIP_1) | instid1(VALU_DEP_2)
	v_subrev_nc_u32_e32 v86, 28, v84
	v_sub_nc_u32_e32 v84, 29, v84
	v_lshlrev_b64 v[86:87], v86, v[7:8]
	s_delay_alu instid0(VALU_DEP_1)
	v_and_b32_e32 v7, 7, v86
; %bb.21:                               ;   in Loop: Header=BB318_13 Depth=1
	s_or_b32 exec_lo, exec_lo, s23
	v_lshlrev_b32_e32 v86, 8, v96
	v_lshl_add_u32 v84, v84, 10, 0x2000
	s_delay_alu instid0(VALU_DEP_1) | instskip(NEXT) | instid1(VALU_DEP_1)
	v_and_or_b32 v84, 0x8000, v86, v84
	v_lshl_or_b32 v7, v7, 7, v84
	s_delay_alu instid0(VALU_DEP_1)
	v_cvt_f32_f16_e32 v84, v7
.LBB318_22:                             ;   in Loop: Header=BB318_13 Depth=1
	s_or_b32 exec_lo, exec_lo, s22
.LBB318_23:                             ;   in Loop: Header=BB318_13 Depth=1
	s_delay_alu instid0(SALU_CYCLE_1)
	s_or_b32 exec_lo, exec_lo, s21
.LBB318_24:                             ;   in Loop: Header=BB318_13 Depth=1
	s_delay_alu instid0(SALU_CYCLE_1) | instskip(SKIP_2) | instid1(VALU_DEP_1)
	s_or_b32 exec_lo, exec_lo, s20
	v_lshrrev_b16 v7, 8, v96
	s_mov_b32 s20, exec_lo
	v_cmpx_ne_u16_e32 0, v7
	s_cbranch_execz .LBB318_32
; %bb.25:                               ;   in Loop: Header=BB318_13 Depth=1
	v_bfrev_b32_e32 v85, 1
	s_mov_b32 s21, exec_lo
	v_cmpx_ne_u16_e32 0x80, v7
	s_cbranch_execz .LBB318_31
; %bb.26:                               ;   in Loop: Header=BB318_13 Depth=1
	v_and_b32_e32 v86, 0xffff, v7
	v_mov_b32_e32 v85, 0x7fc02000
	s_mov_b32 s22, exec_lo
	s_delay_alu instid0(VALU_DEP_2) | instskip(NEXT) | instid1(VALU_DEP_1)
	v_and_b32_e32 v87, 0x7f, v86
	v_cmpx_ne_u32_e32 0x7f, v87
	s_cbranch_execz .LBB318_30
; %bb.27:                               ;   in Loop: Header=BB318_13 Depth=1
	v_and_b32_e32 v7, 7, v86
	v_lshrrev_b32_e32 v85, 3, v87
	s_mov_b32 s23, exec_lo
	v_cmpx_gt_u32_e32 8, v87
; %bb.28:                               ;   in Loop: Header=BB318_13 Depth=1
	s_delay_alu instid0(VALU_DEP_3) | instskip(NEXT) | instid1(VALU_DEP_1)
	v_clz_i32_u32_e32 v85, v7
	v_min_u32_e32 v85, 32, v85
	s_delay_alu instid0(VALU_DEP_1) | instskip(SKIP_1) | instid1(VALU_DEP_2)
	v_subrev_nc_u32_e32 v87, 28, v85
	v_sub_nc_u32_e32 v85, 29, v85
	v_lshlrev_b64 v[97:98], v87, v[7:8]
	s_delay_alu instid0(VALU_DEP_1)
	v_and_b32_e32 v7, 7, v97
; %bb.29:                               ;   in Loop: Header=BB318_13 Depth=1
	s_or_b32 exec_lo, exec_lo, s23
	v_lshlrev_b32_e32 v86, 8, v86
	v_lshl_add_u32 v85, v85, 10, 0x2000
	s_delay_alu instid0(VALU_DEP_1) | instskip(NEXT) | instid1(VALU_DEP_1)
	v_and_or_b32 v85, 0x8000, v86, v85
	v_lshl_or_b32 v7, v7, 7, v85
	s_delay_alu instid0(VALU_DEP_1)
	v_cvt_f32_f16_e32 v85, v7
.LBB318_30:                             ;   in Loop: Header=BB318_13 Depth=1
	s_or_b32 exec_lo, exec_lo, s22
.LBB318_31:                             ;   in Loop: Header=BB318_13 Depth=1
	s_delay_alu instid0(SALU_CYCLE_1)
	s_or_b32 exec_lo, exec_lo, s21
.LBB318_32:                             ;   in Loop: Header=BB318_13 Depth=1
	s_delay_alu instid0(SALU_CYCLE_1) | instskip(SKIP_3) | instid1(VALU_DEP_2)
	s_or_b32 exec_lo, exec_lo, s20
	v_lshrrev_b32_e32 v97, 16, v96
	v_mov_b32_e32 v87, 0
	s_mov_b32 s20, exec_lo
	v_dual_mov_b32 v86, 0 :: v_dual_and_b32 v7, 0xff, v97
	s_delay_alu instid0(VALU_DEP_1)
	v_cmpx_ne_u16_e32 0, v7
	s_cbranch_execz .LBB318_40
; %bb.33:                               ;   in Loop: Header=BB318_13 Depth=1
	v_bfrev_b32_e32 v87, 1
	s_mov_b32 s21, exec_lo
	v_cmpx_ne_u16_e32 0x80, v7
	s_cbranch_execz .LBB318_39
; %bb.34:                               ;   in Loop: Header=BB318_13 Depth=1
	v_bfe_u32 v98, v96, 16, 7
	v_mov_b32_e32 v87, 0x7fc02000
	s_mov_b32 s22, exec_lo
	s_delay_alu instid0(VALU_DEP_2)
	v_cmpx_ne_u32_e32 0x7f, v98
	s_cbranch_execz .LBB318_38
; %bb.35:                               ;   in Loop: Header=BB318_13 Depth=1
	v_and_b32_e32 v7, 7, v97
	v_lshrrev_b32_e32 v87, 3, v98
	s_mov_b32 s23, exec_lo
	v_cmpx_gt_u32_e32 8, v98
; %bb.36:                               ;   in Loop: Header=BB318_13 Depth=1
	s_delay_alu instid0(VALU_DEP_3) | instskip(NEXT) | instid1(VALU_DEP_1)
	v_clz_i32_u32_e32 v87, v7
	v_min_u32_e32 v87, 32, v87
	s_delay_alu instid0(VALU_DEP_1) | instskip(SKIP_1) | instid1(VALU_DEP_2)
	v_subrev_nc_u32_e32 v98, 28, v87
	v_sub_nc_u32_e32 v87, 29, v87
	v_lshlrev_b64 v[98:99], v98, v[7:8]
	s_delay_alu instid0(VALU_DEP_1)
	v_and_b32_e32 v7, 7, v98
; %bb.37:                               ;   in Loop: Header=BB318_13 Depth=1
	s_or_b32 exec_lo, exec_lo, s23
	v_lshlrev_b32_e32 v97, 8, v97
	v_lshl_add_u32 v87, v87, 10, 0x2000
	s_delay_alu instid0(VALU_DEP_1) | instskip(NEXT) | instid1(VALU_DEP_1)
	v_and_or_b32 v87, 0x8000, v97, v87
	v_lshl_or_b32 v7, v7, 7, v87
	s_delay_alu instid0(VALU_DEP_1)
	v_cvt_f32_f16_e32 v87, v7
.LBB318_38:                             ;   in Loop: Header=BB318_13 Depth=1
	s_or_b32 exec_lo, exec_lo, s22
.LBB318_39:                             ;   in Loop: Header=BB318_13 Depth=1
	s_delay_alu instid0(SALU_CYCLE_1)
	s_or_b32 exec_lo, exec_lo, s21
.LBB318_40:                             ;   in Loop: Header=BB318_13 Depth=1
	s_delay_alu instid0(SALU_CYCLE_1) | instskip(NEXT) | instid1(SALU_CYCLE_1)
	s_or_b32 exec_lo, exec_lo, s20
	s_mov_b32 s20, exec_lo
	v_cmpx_lt_u32_e32 0xffffff, v96
	s_cbranch_execz .LBB318_48
; %bb.41:                               ;   in Loop: Header=BB318_13 Depth=1
	v_lshrrev_b32_e32 v96, 24, v96
	v_bfrev_b32_e32 v86, 1
	s_mov_b32 s21, exec_lo
	s_delay_alu instid0(VALU_DEP_2)
	v_cmpx_ne_u32_e32 0x80, v96
	s_cbranch_execz .LBB318_47
; %bb.42:                               ;   in Loop: Header=BB318_13 Depth=1
	v_and_b32_e32 v97, 0x7f, v96
	v_mov_b32_e32 v86, 0x7fc02000
	s_mov_b32 s22, exec_lo
	s_delay_alu instid0(VALU_DEP_2)
	v_cmpx_ne_u32_e32 0x7f, v97
	s_cbranch_execz .LBB318_46
; %bb.43:                               ;   in Loop: Header=BB318_13 Depth=1
	v_and_b32_e32 v7, 7, v96
	v_lshrrev_b32_e32 v86, 3, v97
	s_mov_b32 s23, exec_lo
	v_cmpx_gt_u32_e32 8, v97
; %bb.44:                               ;   in Loop: Header=BB318_13 Depth=1
	s_delay_alu instid0(VALU_DEP_3) | instskip(NEXT) | instid1(VALU_DEP_1)
	v_clz_i32_u32_e32 v86, v7
	v_min_u32_e32 v86, 32, v86
	s_delay_alu instid0(VALU_DEP_1) | instskip(SKIP_1) | instid1(VALU_DEP_2)
	v_subrev_nc_u32_e32 v97, 28, v86
	v_sub_nc_u32_e32 v86, 29, v86
	v_lshlrev_b64 v[97:98], v97, v[7:8]
	s_delay_alu instid0(VALU_DEP_1)
	v_and_b32_e32 v7, 7, v97
; %bb.45:                               ;   in Loop: Header=BB318_13 Depth=1
	s_or_b32 exec_lo, exec_lo, s23
	v_lshlrev_b32_e32 v96, 8, v96
	v_lshl_add_u32 v86, v86, 10, 0x2000
	s_delay_alu instid0(VALU_DEP_1) | instskip(NEXT) | instid1(VALU_DEP_1)
	v_and_or_b32 v86, 0x8000, v96, v86
	v_lshl_or_b32 v7, v7, 7, v86
	s_delay_alu instid0(VALU_DEP_1)
	v_cvt_f32_f16_e32 v86, v7
.LBB318_46:                             ;   in Loop: Header=BB318_13 Depth=1
	s_or_b32 exec_lo, exec_lo, s22
.LBB318_47:                             ;   in Loop: Header=BB318_13 Depth=1
	s_delay_alu instid0(SALU_CYCLE_1)
	s_or_b32 exec_lo, exec_lo, s21
.LBB318_48:                             ;   in Loop: Header=BB318_13 Depth=1
	s_delay_alu instid0(SALU_CYCLE_1)
	s_or_b32 exec_lo, exec_lo, s20
	flat_load_b32 v100, v[31:32] offset:8
	v_mov_b32_e32 v97, 0
	s_mov_b32 s20, exec_lo
	s_waitcnt vmcnt(0) lgkmcnt(0)
	v_dual_mov_b32 v96, 0 :: v_dual_and_b32 v7, 0xff, v100
	s_delay_alu instid0(VALU_DEP_1)
	v_cmpx_ne_u16_e32 0, v7
	s_cbranch_execz .LBB318_56
; %bb.49:                               ;   in Loop: Header=BB318_13 Depth=1
	v_bfrev_b32_e32 v96, 1
	s_mov_b32 s21, exec_lo
	v_cmpx_ne_u16_e32 0x80, v7
	s_cbranch_execz .LBB318_55
; %bb.50:                               ;   in Loop: Header=BB318_13 Depth=1
	v_and_b32_e32 v98, 0x7f, v100
	v_mov_b32_e32 v96, 0x7fc02000
	s_mov_b32 s22, exec_lo
	s_delay_alu instid0(VALU_DEP_2)
	v_cmpx_ne_u32_e32 0x7f, v98
	s_cbranch_execz .LBB318_54
; %bb.51:                               ;   in Loop: Header=BB318_13 Depth=1
	v_and_b32_e32 v7, 7, v100
	v_lshrrev_b32_e32 v96, 3, v98
	s_mov_b32 s23, exec_lo
	v_cmpx_gt_u32_e32 8, v98
; %bb.52:                               ;   in Loop: Header=BB318_13 Depth=1
	s_delay_alu instid0(VALU_DEP_3) | instskip(NEXT) | instid1(VALU_DEP_1)
	v_clz_i32_u32_e32 v96, v7
	v_min_u32_e32 v96, 32, v96
	s_delay_alu instid0(VALU_DEP_1) | instskip(SKIP_1) | instid1(VALU_DEP_2)
	v_subrev_nc_u32_e32 v98, 28, v96
	v_sub_nc_u32_e32 v96, 29, v96
	v_lshlrev_b64 v[98:99], v98, v[7:8]
	s_delay_alu instid0(VALU_DEP_1)
	v_and_b32_e32 v7, 7, v98
; %bb.53:                               ;   in Loop: Header=BB318_13 Depth=1
	s_or_b32 exec_lo, exec_lo, s23
	v_lshlrev_b32_e32 v98, 8, v100
	v_lshl_add_u32 v96, v96, 10, 0x2000
	s_delay_alu instid0(VALU_DEP_1) | instskip(NEXT) | instid1(VALU_DEP_1)
	v_and_or_b32 v96, 0x8000, v98, v96
	v_lshl_or_b32 v7, v7, 7, v96
	s_delay_alu instid0(VALU_DEP_1)
	v_cvt_f32_f16_e32 v96, v7
.LBB318_54:                             ;   in Loop: Header=BB318_13 Depth=1
	s_or_b32 exec_lo, exec_lo, s22
.LBB318_55:                             ;   in Loop: Header=BB318_13 Depth=1
	s_delay_alu instid0(SALU_CYCLE_1)
	s_or_b32 exec_lo, exec_lo, s21
.LBB318_56:                             ;   in Loop: Header=BB318_13 Depth=1
	s_delay_alu instid0(SALU_CYCLE_1) | instskip(SKIP_2) | instid1(VALU_DEP_1)
	s_or_b32 exec_lo, exec_lo, s20
	v_lshrrev_b16 v7, 8, v100
	s_mov_b32 s20, exec_lo
	v_cmpx_ne_u16_e32 0, v7
	s_cbranch_execz .LBB318_64
; %bb.57:                               ;   in Loop: Header=BB318_13 Depth=1
	v_bfrev_b32_e32 v97, 1
	s_mov_b32 s21, exec_lo
	v_cmpx_ne_u16_e32 0x80, v7
	s_cbranch_execz .LBB318_63
; %bb.58:                               ;   in Loop: Header=BB318_13 Depth=1
	v_and_b32_e32 v98, 0xffff, v7
	v_mov_b32_e32 v97, 0x7fc02000
	s_mov_b32 s22, exec_lo
	s_delay_alu instid0(VALU_DEP_2) | instskip(NEXT) | instid1(VALU_DEP_1)
	v_and_b32_e32 v99, 0x7f, v98
	v_cmpx_ne_u32_e32 0x7f, v99
	s_cbranch_execz .LBB318_62
; %bb.59:                               ;   in Loop: Header=BB318_13 Depth=1
	v_and_b32_e32 v7, 7, v98
	v_lshrrev_b32_e32 v97, 3, v99
	s_mov_b32 s23, exec_lo
	v_cmpx_gt_u32_e32 8, v99
; %bb.60:                               ;   in Loop: Header=BB318_13 Depth=1
	s_delay_alu instid0(VALU_DEP_3) | instskip(NEXT) | instid1(VALU_DEP_1)
	v_clz_i32_u32_e32 v97, v7
	v_min_u32_e32 v97, 32, v97
	s_delay_alu instid0(VALU_DEP_1) | instskip(SKIP_1) | instid1(VALU_DEP_2)
	v_subrev_nc_u32_e32 v99, 28, v97
	v_sub_nc_u32_e32 v97, 29, v97
	v_lshlrev_b64 v[101:102], v99, v[7:8]
	s_delay_alu instid0(VALU_DEP_1)
	v_and_b32_e32 v7, 7, v101
; %bb.61:                               ;   in Loop: Header=BB318_13 Depth=1
	s_or_b32 exec_lo, exec_lo, s23
	v_lshlrev_b32_e32 v98, 8, v98
	v_lshl_add_u32 v97, v97, 10, 0x2000
	s_delay_alu instid0(VALU_DEP_1) | instskip(NEXT) | instid1(VALU_DEP_1)
	v_and_or_b32 v97, 0x8000, v98, v97
	v_lshl_or_b32 v7, v7, 7, v97
	s_delay_alu instid0(VALU_DEP_1)
	v_cvt_f32_f16_e32 v97, v7
.LBB318_62:                             ;   in Loop: Header=BB318_13 Depth=1
	s_or_b32 exec_lo, exec_lo, s22
.LBB318_63:                             ;   in Loop: Header=BB318_13 Depth=1
	s_delay_alu instid0(SALU_CYCLE_1)
	s_or_b32 exec_lo, exec_lo, s21
.LBB318_64:                             ;   in Loop: Header=BB318_13 Depth=1
	s_delay_alu instid0(SALU_CYCLE_1) | instskip(SKIP_3) | instid1(VALU_DEP_2)
	s_or_b32 exec_lo, exec_lo, s20
	v_lshrrev_b32_e32 v101, 16, v100
	v_mov_b32_e32 v99, 0
	s_mov_b32 s20, exec_lo
	v_dual_mov_b32 v98, 0 :: v_dual_and_b32 v7, 0xff, v101
	s_delay_alu instid0(VALU_DEP_1)
	v_cmpx_ne_u16_e32 0, v7
	s_cbranch_execz .LBB318_72
; %bb.65:                               ;   in Loop: Header=BB318_13 Depth=1
	v_bfrev_b32_e32 v99, 1
	s_mov_b32 s21, exec_lo
	v_cmpx_ne_u16_e32 0x80, v7
	s_cbranch_execz .LBB318_71
; %bb.66:                               ;   in Loop: Header=BB318_13 Depth=1
	v_bfe_u32 v102, v100, 16, 7
	v_mov_b32_e32 v99, 0x7fc02000
	s_mov_b32 s22, exec_lo
	s_delay_alu instid0(VALU_DEP_2)
	v_cmpx_ne_u32_e32 0x7f, v102
	s_cbranch_execz .LBB318_70
; %bb.67:                               ;   in Loop: Header=BB318_13 Depth=1
	v_and_b32_e32 v7, 7, v101
	v_lshrrev_b32_e32 v99, 3, v102
	s_mov_b32 s23, exec_lo
	v_cmpx_gt_u32_e32 8, v102
; %bb.68:                               ;   in Loop: Header=BB318_13 Depth=1
	s_delay_alu instid0(VALU_DEP_3) | instskip(NEXT) | instid1(VALU_DEP_1)
	v_clz_i32_u32_e32 v99, v7
	v_min_u32_e32 v99, 32, v99
	s_delay_alu instid0(VALU_DEP_1) | instskip(SKIP_1) | instid1(VALU_DEP_2)
	v_subrev_nc_u32_e32 v102, 28, v99
	v_sub_nc_u32_e32 v99, 29, v99
	v_lshlrev_b64 v[102:103], v102, v[7:8]
	s_delay_alu instid0(VALU_DEP_1)
	v_and_b32_e32 v7, 7, v102
; %bb.69:                               ;   in Loop: Header=BB318_13 Depth=1
	s_or_b32 exec_lo, exec_lo, s23
	v_lshlrev_b32_e32 v101, 8, v101
	v_lshl_add_u32 v99, v99, 10, 0x2000
	s_delay_alu instid0(VALU_DEP_1) | instskip(NEXT) | instid1(VALU_DEP_1)
	v_and_or_b32 v99, 0x8000, v101, v99
	v_lshl_or_b32 v7, v7, 7, v99
	s_delay_alu instid0(VALU_DEP_1)
	v_cvt_f32_f16_e32 v99, v7
.LBB318_70:                             ;   in Loop: Header=BB318_13 Depth=1
	s_or_b32 exec_lo, exec_lo, s22
.LBB318_71:                             ;   in Loop: Header=BB318_13 Depth=1
	s_delay_alu instid0(SALU_CYCLE_1)
	s_or_b32 exec_lo, exec_lo, s21
.LBB318_72:                             ;   in Loop: Header=BB318_13 Depth=1
	s_delay_alu instid0(SALU_CYCLE_1) | instskip(NEXT) | instid1(SALU_CYCLE_1)
	s_or_b32 exec_lo, exec_lo, s20
	s_mov_b32 s20, exec_lo
	v_cmpx_lt_u32_e32 0xffffff, v100
	s_cbranch_execz .LBB318_80
; %bb.73:                               ;   in Loop: Header=BB318_13 Depth=1
	v_lshrrev_b32_e32 v100, 24, v100
	v_bfrev_b32_e32 v98, 1
	s_mov_b32 s21, exec_lo
	s_delay_alu instid0(VALU_DEP_2)
	v_cmpx_ne_u32_e32 0x80, v100
	s_cbranch_execz .LBB318_79
; %bb.74:                               ;   in Loop: Header=BB318_13 Depth=1
	v_and_b32_e32 v101, 0x7f, v100
	v_mov_b32_e32 v98, 0x7fc02000
	s_mov_b32 s22, exec_lo
	s_delay_alu instid0(VALU_DEP_2)
	v_cmpx_ne_u32_e32 0x7f, v101
	s_cbranch_execz .LBB318_78
; %bb.75:                               ;   in Loop: Header=BB318_13 Depth=1
	v_and_b32_e32 v7, 7, v100
	v_lshrrev_b32_e32 v98, 3, v101
	s_mov_b32 s23, exec_lo
	v_cmpx_gt_u32_e32 8, v101
; %bb.76:                               ;   in Loop: Header=BB318_13 Depth=1
	s_delay_alu instid0(VALU_DEP_3) | instskip(NEXT) | instid1(VALU_DEP_1)
	v_clz_i32_u32_e32 v98, v7
	v_min_u32_e32 v98, 32, v98
	s_delay_alu instid0(VALU_DEP_1) | instskip(SKIP_1) | instid1(VALU_DEP_2)
	v_subrev_nc_u32_e32 v101, 28, v98
	v_sub_nc_u32_e32 v98, 29, v98
	v_lshlrev_b64 v[101:102], v101, v[7:8]
	s_delay_alu instid0(VALU_DEP_1)
	v_and_b32_e32 v7, 7, v101
; %bb.77:                               ;   in Loop: Header=BB318_13 Depth=1
	s_or_b32 exec_lo, exec_lo, s23
	v_lshlrev_b32_e32 v100, 8, v100
	v_lshl_add_u32 v98, v98, 10, 0x2000
	s_delay_alu instid0(VALU_DEP_1) | instskip(NEXT) | instid1(VALU_DEP_1)
	v_and_or_b32 v98, 0x8000, v100, v98
	v_lshl_or_b32 v7, v7, 7, v98
	s_delay_alu instid0(VALU_DEP_1)
	v_cvt_f32_f16_e32 v98, v7
.LBB318_78:                             ;   in Loop: Header=BB318_13 Depth=1
	s_or_b32 exec_lo, exec_lo, s22
.LBB318_79:                             ;   in Loop: Header=BB318_13 Depth=1
	s_delay_alu instid0(SALU_CYCLE_1)
	s_or_b32 exec_lo, exec_lo, s21
.LBB318_80:                             ;   in Loop: Header=BB318_13 Depth=1
	s_delay_alu instid0(SALU_CYCLE_1)
	s_or_b32 exec_lo, exec_lo, s20
	flat_load_b32 v112, v[31:32] offset:256
	v_mov_b32_e32 v101, 0
	s_mov_b32 s20, exec_lo
	s_waitcnt vmcnt(0) lgkmcnt(0)
	v_dual_mov_b32 v100, 0 :: v_dual_and_b32 v7, 0xff, v112
	s_delay_alu instid0(VALU_DEP_1)
	v_cmpx_ne_u16_e32 0, v7
	s_cbranch_execz .LBB318_88
; %bb.81:                               ;   in Loop: Header=BB318_13 Depth=1
	v_bfrev_b32_e32 v100, 1
	s_mov_b32 s21, exec_lo
	v_cmpx_ne_u16_e32 0x80, v7
	s_cbranch_execz .LBB318_87
; %bb.82:                               ;   in Loop: Header=BB318_13 Depth=1
	v_and_b32_e32 v102, 0x7f, v112
	v_mov_b32_e32 v100, 0x7fc02000
	s_mov_b32 s22, exec_lo
	s_delay_alu instid0(VALU_DEP_2)
	v_cmpx_ne_u32_e32 0x7f, v102
	s_cbranch_execz .LBB318_86
; %bb.83:                               ;   in Loop: Header=BB318_13 Depth=1
	v_and_b32_e32 v7, 7, v112
	v_lshrrev_b32_e32 v100, 3, v102
	s_mov_b32 s23, exec_lo
	v_cmpx_gt_u32_e32 8, v102
; %bb.84:                               ;   in Loop: Header=BB318_13 Depth=1
	s_delay_alu instid0(VALU_DEP_3) | instskip(NEXT) | instid1(VALU_DEP_1)
	v_clz_i32_u32_e32 v100, v7
	v_min_u32_e32 v100, 32, v100
	s_delay_alu instid0(VALU_DEP_1) | instskip(SKIP_1) | instid1(VALU_DEP_2)
	v_subrev_nc_u32_e32 v102, 28, v100
	v_sub_nc_u32_e32 v100, 29, v100
	v_lshlrev_b64 v[102:103], v102, v[7:8]
	s_delay_alu instid0(VALU_DEP_1)
	v_and_b32_e32 v7, 7, v102
; %bb.85:                               ;   in Loop: Header=BB318_13 Depth=1
	s_or_b32 exec_lo, exec_lo, s23
	v_lshlrev_b32_e32 v102, 8, v112
	v_lshl_add_u32 v100, v100, 10, 0x2000
	s_delay_alu instid0(VALU_DEP_1) | instskip(NEXT) | instid1(VALU_DEP_1)
	v_and_or_b32 v100, 0x8000, v102, v100
	v_lshl_or_b32 v7, v7, 7, v100
	s_delay_alu instid0(VALU_DEP_1)
	v_cvt_f32_f16_e32 v100, v7
.LBB318_86:                             ;   in Loop: Header=BB318_13 Depth=1
	s_or_b32 exec_lo, exec_lo, s22
.LBB318_87:                             ;   in Loop: Header=BB318_13 Depth=1
	s_delay_alu instid0(SALU_CYCLE_1)
	s_or_b32 exec_lo, exec_lo, s21
.LBB318_88:                             ;   in Loop: Header=BB318_13 Depth=1
	s_delay_alu instid0(SALU_CYCLE_1) | instskip(SKIP_2) | instid1(VALU_DEP_1)
	s_or_b32 exec_lo, exec_lo, s20
	v_lshrrev_b16 v7, 8, v112
	s_mov_b32 s20, exec_lo
	v_cmpx_ne_u16_e32 0, v7
	s_cbranch_execz .LBB318_96
; %bb.89:                               ;   in Loop: Header=BB318_13 Depth=1
	v_bfrev_b32_e32 v101, 1
	s_mov_b32 s21, exec_lo
	v_cmpx_ne_u16_e32 0x80, v7
	s_cbranch_execz .LBB318_95
; %bb.90:                               ;   in Loop: Header=BB318_13 Depth=1
	v_and_b32_e32 v102, 0xffff, v7
	v_mov_b32_e32 v101, 0x7fc02000
	s_mov_b32 s22, exec_lo
	s_delay_alu instid0(VALU_DEP_2) | instskip(NEXT) | instid1(VALU_DEP_1)
	v_and_b32_e32 v103, 0x7f, v102
	v_cmpx_ne_u32_e32 0x7f, v103
	s_cbranch_execz .LBB318_94
; %bb.91:                               ;   in Loop: Header=BB318_13 Depth=1
	v_and_b32_e32 v7, 7, v102
	v_lshrrev_b32_e32 v101, 3, v103
	s_mov_b32 s23, exec_lo
	v_cmpx_gt_u32_e32 8, v103
; %bb.92:                               ;   in Loop: Header=BB318_13 Depth=1
	s_delay_alu instid0(VALU_DEP_3) | instskip(NEXT) | instid1(VALU_DEP_1)
	v_clz_i32_u32_e32 v101, v7
	v_min_u32_e32 v101, 32, v101
	s_delay_alu instid0(VALU_DEP_1) | instskip(SKIP_1) | instid1(VALU_DEP_2)
	v_subrev_nc_u32_e32 v103, 28, v101
	v_sub_nc_u32_e32 v101, 29, v101
	v_lshlrev_b64 v[113:114], v103, v[7:8]
	s_delay_alu instid0(VALU_DEP_1)
	v_and_b32_e32 v7, 7, v113
; %bb.93:                               ;   in Loop: Header=BB318_13 Depth=1
	s_or_b32 exec_lo, exec_lo, s23
	v_lshlrev_b32_e32 v102, 8, v102
	v_lshl_add_u32 v101, v101, 10, 0x2000
	s_delay_alu instid0(VALU_DEP_1) | instskip(NEXT) | instid1(VALU_DEP_1)
	v_and_or_b32 v101, 0x8000, v102, v101
	v_lshl_or_b32 v7, v7, 7, v101
	s_delay_alu instid0(VALU_DEP_1)
	v_cvt_f32_f16_e32 v101, v7
.LBB318_94:                             ;   in Loop: Header=BB318_13 Depth=1
	s_or_b32 exec_lo, exec_lo, s22
.LBB318_95:                             ;   in Loop: Header=BB318_13 Depth=1
	s_delay_alu instid0(SALU_CYCLE_1)
	s_or_b32 exec_lo, exec_lo, s21
.LBB318_96:                             ;   in Loop: Header=BB318_13 Depth=1
	s_delay_alu instid0(SALU_CYCLE_1) | instskip(SKIP_3) | instid1(VALU_DEP_2)
	s_or_b32 exec_lo, exec_lo, s20
	v_lshrrev_b32_e32 v113, 16, v112
	v_mov_b32_e32 v103, 0
	s_mov_b32 s20, exec_lo
	v_dual_mov_b32 v102, 0 :: v_dual_and_b32 v7, 0xff, v113
	s_delay_alu instid0(VALU_DEP_1)
	v_cmpx_ne_u16_e32 0, v7
	s_cbranch_execz .LBB318_104
; %bb.97:                               ;   in Loop: Header=BB318_13 Depth=1
	v_bfrev_b32_e32 v103, 1
	s_mov_b32 s21, exec_lo
	v_cmpx_ne_u16_e32 0x80, v7
	s_cbranch_execz .LBB318_103
; %bb.98:                               ;   in Loop: Header=BB318_13 Depth=1
	v_bfe_u32 v114, v112, 16, 7
	v_mov_b32_e32 v103, 0x7fc02000
	s_mov_b32 s22, exec_lo
	s_delay_alu instid0(VALU_DEP_2)
	v_cmpx_ne_u32_e32 0x7f, v114
	s_cbranch_execz .LBB318_102
; %bb.99:                               ;   in Loop: Header=BB318_13 Depth=1
	v_and_b32_e32 v7, 7, v113
	v_lshrrev_b32_e32 v103, 3, v114
	s_mov_b32 s23, exec_lo
	v_cmpx_gt_u32_e32 8, v114
; %bb.100:                              ;   in Loop: Header=BB318_13 Depth=1
	s_delay_alu instid0(VALU_DEP_3) | instskip(NEXT) | instid1(VALU_DEP_1)
	v_clz_i32_u32_e32 v103, v7
	v_min_u32_e32 v103, 32, v103
	s_delay_alu instid0(VALU_DEP_1) | instskip(SKIP_1) | instid1(VALU_DEP_2)
	v_subrev_nc_u32_e32 v114, 28, v103
	v_sub_nc_u32_e32 v103, 29, v103
	v_lshlrev_b64 v[114:115], v114, v[7:8]
	s_delay_alu instid0(VALU_DEP_1)
	v_and_b32_e32 v7, 7, v114
; %bb.101:                              ;   in Loop: Header=BB318_13 Depth=1
	s_or_b32 exec_lo, exec_lo, s23
	v_lshlrev_b32_e32 v113, 8, v113
	v_lshl_add_u32 v103, v103, 10, 0x2000
	s_delay_alu instid0(VALU_DEP_1) | instskip(NEXT) | instid1(VALU_DEP_1)
	v_and_or_b32 v103, 0x8000, v113, v103
	v_lshl_or_b32 v7, v7, 7, v103
	s_delay_alu instid0(VALU_DEP_1)
	v_cvt_f32_f16_e32 v103, v7
.LBB318_102:                            ;   in Loop: Header=BB318_13 Depth=1
	s_or_b32 exec_lo, exec_lo, s22
.LBB318_103:                            ;   in Loop: Header=BB318_13 Depth=1
	s_delay_alu instid0(SALU_CYCLE_1)
	s_or_b32 exec_lo, exec_lo, s21
.LBB318_104:                            ;   in Loop: Header=BB318_13 Depth=1
	s_delay_alu instid0(SALU_CYCLE_1) | instskip(NEXT) | instid1(SALU_CYCLE_1)
	s_or_b32 exec_lo, exec_lo, s20
	s_mov_b32 s20, exec_lo
	v_cmpx_lt_u32_e32 0xffffff, v112
	s_cbranch_execz .LBB318_112
; %bb.105:                              ;   in Loop: Header=BB318_13 Depth=1
	v_lshrrev_b32_e32 v112, 24, v112
	v_bfrev_b32_e32 v102, 1
	s_mov_b32 s21, exec_lo
	s_delay_alu instid0(VALU_DEP_2)
	v_cmpx_ne_u32_e32 0x80, v112
	s_cbranch_execz .LBB318_111
; %bb.106:                              ;   in Loop: Header=BB318_13 Depth=1
	v_and_b32_e32 v113, 0x7f, v112
	v_mov_b32_e32 v102, 0x7fc02000
	s_mov_b32 s22, exec_lo
	s_delay_alu instid0(VALU_DEP_2)
	v_cmpx_ne_u32_e32 0x7f, v113
	s_cbranch_execz .LBB318_110
; %bb.107:                              ;   in Loop: Header=BB318_13 Depth=1
	v_and_b32_e32 v7, 7, v112
	v_lshrrev_b32_e32 v102, 3, v113
	s_mov_b32 s23, exec_lo
	v_cmpx_gt_u32_e32 8, v113
; %bb.108:                              ;   in Loop: Header=BB318_13 Depth=1
	s_delay_alu instid0(VALU_DEP_3) | instskip(NEXT) | instid1(VALU_DEP_1)
	v_clz_i32_u32_e32 v102, v7
	v_min_u32_e32 v102, 32, v102
	s_delay_alu instid0(VALU_DEP_1) | instskip(SKIP_1) | instid1(VALU_DEP_2)
	v_subrev_nc_u32_e32 v113, 28, v102
	v_sub_nc_u32_e32 v102, 29, v102
	v_lshlrev_b64 v[113:114], v113, v[7:8]
	s_delay_alu instid0(VALU_DEP_1)
	v_and_b32_e32 v7, 7, v113
; %bb.109:                              ;   in Loop: Header=BB318_13 Depth=1
	s_or_b32 exec_lo, exec_lo, s23
	v_lshlrev_b32_e32 v112, 8, v112
	v_lshl_add_u32 v102, v102, 10, 0x2000
	s_delay_alu instid0(VALU_DEP_1) | instskip(NEXT) | instid1(VALU_DEP_1)
	v_and_or_b32 v102, 0x8000, v112, v102
	v_lshl_or_b32 v7, v7, 7, v102
	s_delay_alu instid0(VALU_DEP_1)
	v_cvt_f32_f16_e32 v102, v7
.LBB318_110:                            ;   in Loop: Header=BB318_13 Depth=1
	s_or_b32 exec_lo, exec_lo, s22
.LBB318_111:                            ;   in Loop: Header=BB318_13 Depth=1
	s_delay_alu instid0(SALU_CYCLE_1)
	s_or_b32 exec_lo, exec_lo, s21
.LBB318_112:                            ;   in Loop: Header=BB318_13 Depth=1
	s_delay_alu instid0(SALU_CYCLE_1)
	s_or_b32 exec_lo, exec_lo, s20
	flat_load_b32 v116, v[31:32] offset:264
	v_mov_b32_e32 v113, 0
	s_mov_b32 s20, exec_lo
	s_waitcnt vmcnt(0) lgkmcnt(0)
	v_dual_mov_b32 v112, 0 :: v_dual_and_b32 v7, 0xff, v116
	s_delay_alu instid0(VALU_DEP_1)
	v_cmpx_ne_u16_e32 0, v7
	s_cbranch_execz .LBB318_120
; %bb.113:                              ;   in Loop: Header=BB318_13 Depth=1
	v_bfrev_b32_e32 v112, 1
	s_mov_b32 s21, exec_lo
	v_cmpx_ne_u16_e32 0x80, v7
	s_cbranch_execz .LBB318_119
; %bb.114:                              ;   in Loop: Header=BB318_13 Depth=1
	v_and_b32_e32 v114, 0x7f, v116
	v_mov_b32_e32 v112, 0x7fc02000
	s_mov_b32 s22, exec_lo
	s_delay_alu instid0(VALU_DEP_2)
	v_cmpx_ne_u32_e32 0x7f, v114
	s_cbranch_execz .LBB318_118
; %bb.115:                              ;   in Loop: Header=BB318_13 Depth=1
	v_and_b32_e32 v7, 7, v116
	v_lshrrev_b32_e32 v112, 3, v114
	s_mov_b32 s23, exec_lo
	v_cmpx_gt_u32_e32 8, v114
; %bb.116:                              ;   in Loop: Header=BB318_13 Depth=1
	s_delay_alu instid0(VALU_DEP_3) | instskip(NEXT) | instid1(VALU_DEP_1)
	v_clz_i32_u32_e32 v112, v7
	v_min_u32_e32 v112, 32, v112
	s_delay_alu instid0(VALU_DEP_1) | instskip(SKIP_1) | instid1(VALU_DEP_2)
	v_subrev_nc_u32_e32 v114, 28, v112
	v_sub_nc_u32_e32 v112, 29, v112
	v_lshlrev_b64 v[114:115], v114, v[7:8]
	s_delay_alu instid0(VALU_DEP_1)
	v_and_b32_e32 v7, 7, v114
; %bb.117:                              ;   in Loop: Header=BB318_13 Depth=1
	s_or_b32 exec_lo, exec_lo, s23
	v_lshlrev_b32_e32 v114, 8, v116
	v_lshl_add_u32 v112, v112, 10, 0x2000
	s_delay_alu instid0(VALU_DEP_1) | instskip(NEXT) | instid1(VALU_DEP_1)
	v_and_or_b32 v112, 0x8000, v114, v112
	v_lshl_or_b32 v7, v7, 7, v112
	s_delay_alu instid0(VALU_DEP_1)
	v_cvt_f32_f16_e32 v112, v7
.LBB318_118:                            ;   in Loop: Header=BB318_13 Depth=1
	s_or_b32 exec_lo, exec_lo, s22
.LBB318_119:                            ;   in Loop: Header=BB318_13 Depth=1
	s_delay_alu instid0(SALU_CYCLE_1)
	s_or_b32 exec_lo, exec_lo, s21
.LBB318_120:                            ;   in Loop: Header=BB318_13 Depth=1
	s_delay_alu instid0(SALU_CYCLE_1) | instskip(SKIP_2) | instid1(VALU_DEP_1)
	s_or_b32 exec_lo, exec_lo, s20
	v_lshrrev_b16 v7, 8, v116
	s_mov_b32 s20, exec_lo
	v_cmpx_ne_u16_e32 0, v7
	s_cbranch_execz .LBB318_128
; %bb.121:                              ;   in Loop: Header=BB318_13 Depth=1
	v_bfrev_b32_e32 v113, 1
	s_mov_b32 s21, exec_lo
	v_cmpx_ne_u16_e32 0x80, v7
	s_cbranch_execz .LBB318_127
; %bb.122:                              ;   in Loop: Header=BB318_13 Depth=1
	v_and_b32_e32 v114, 0xffff, v7
	v_mov_b32_e32 v113, 0x7fc02000
	s_mov_b32 s22, exec_lo
	s_delay_alu instid0(VALU_DEP_2) | instskip(NEXT) | instid1(VALU_DEP_1)
	v_and_b32_e32 v115, 0x7f, v114
	v_cmpx_ne_u32_e32 0x7f, v115
	s_cbranch_execz .LBB318_126
; %bb.123:                              ;   in Loop: Header=BB318_13 Depth=1
	v_and_b32_e32 v7, 7, v114
	v_lshrrev_b32_e32 v113, 3, v115
	s_mov_b32 s23, exec_lo
	v_cmpx_gt_u32_e32 8, v115
; %bb.124:                              ;   in Loop: Header=BB318_13 Depth=1
	s_delay_alu instid0(VALU_DEP_3) | instskip(NEXT) | instid1(VALU_DEP_1)
	v_clz_i32_u32_e32 v113, v7
	v_min_u32_e32 v113, 32, v113
	s_delay_alu instid0(VALU_DEP_1) | instskip(SKIP_1) | instid1(VALU_DEP_2)
	v_subrev_nc_u32_e32 v115, 28, v113
	v_sub_nc_u32_e32 v113, 29, v113
	v_lshlrev_b64 v[117:118], v115, v[7:8]
	s_delay_alu instid0(VALU_DEP_1)
	v_and_b32_e32 v7, 7, v117
; %bb.125:                              ;   in Loop: Header=BB318_13 Depth=1
	s_or_b32 exec_lo, exec_lo, s23
	v_lshlrev_b32_e32 v114, 8, v114
	v_lshl_add_u32 v113, v113, 10, 0x2000
	s_delay_alu instid0(VALU_DEP_1) | instskip(NEXT) | instid1(VALU_DEP_1)
	v_and_or_b32 v113, 0x8000, v114, v113
	v_lshl_or_b32 v7, v7, 7, v113
	s_delay_alu instid0(VALU_DEP_1)
	v_cvt_f32_f16_e32 v113, v7
.LBB318_126:                            ;   in Loop: Header=BB318_13 Depth=1
	s_or_b32 exec_lo, exec_lo, s22
.LBB318_127:                            ;   in Loop: Header=BB318_13 Depth=1
	s_delay_alu instid0(SALU_CYCLE_1)
	s_or_b32 exec_lo, exec_lo, s21
.LBB318_128:                            ;   in Loop: Header=BB318_13 Depth=1
	s_delay_alu instid0(SALU_CYCLE_1) | instskip(SKIP_3) | instid1(VALU_DEP_2)
	s_or_b32 exec_lo, exec_lo, s20
	v_lshrrev_b32_e32 v117, 16, v116
	v_mov_b32_e32 v115, 0
	s_mov_b32 s20, exec_lo
	v_dual_mov_b32 v114, 0 :: v_dual_and_b32 v7, 0xff, v117
	s_delay_alu instid0(VALU_DEP_1)
	v_cmpx_ne_u16_e32 0, v7
	s_cbranch_execz .LBB318_136
; %bb.129:                              ;   in Loop: Header=BB318_13 Depth=1
	v_bfrev_b32_e32 v115, 1
	s_mov_b32 s21, exec_lo
	v_cmpx_ne_u16_e32 0x80, v7
	s_cbranch_execz .LBB318_135
; %bb.130:                              ;   in Loop: Header=BB318_13 Depth=1
	v_bfe_u32 v118, v116, 16, 7
	v_mov_b32_e32 v115, 0x7fc02000
	s_mov_b32 s22, exec_lo
	s_delay_alu instid0(VALU_DEP_2)
	v_cmpx_ne_u32_e32 0x7f, v118
	s_cbranch_execz .LBB318_134
; %bb.131:                              ;   in Loop: Header=BB318_13 Depth=1
	v_and_b32_e32 v7, 7, v117
	v_lshrrev_b32_e32 v115, 3, v118
	s_mov_b32 s23, exec_lo
	v_cmpx_gt_u32_e32 8, v118
; %bb.132:                              ;   in Loop: Header=BB318_13 Depth=1
	s_delay_alu instid0(VALU_DEP_3) | instskip(NEXT) | instid1(VALU_DEP_1)
	v_clz_i32_u32_e32 v115, v7
	v_min_u32_e32 v115, 32, v115
	s_delay_alu instid0(VALU_DEP_1) | instskip(SKIP_1) | instid1(VALU_DEP_2)
	v_subrev_nc_u32_e32 v118, 28, v115
	v_sub_nc_u32_e32 v115, 29, v115
	v_lshlrev_b64 v[118:119], v118, v[7:8]
	s_delay_alu instid0(VALU_DEP_1)
	v_and_b32_e32 v7, 7, v118
; %bb.133:                              ;   in Loop: Header=BB318_13 Depth=1
	s_or_b32 exec_lo, exec_lo, s23
	v_lshlrev_b32_e32 v117, 8, v117
	v_lshl_add_u32 v115, v115, 10, 0x2000
	s_delay_alu instid0(VALU_DEP_1) | instskip(NEXT) | instid1(VALU_DEP_1)
	v_and_or_b32 v115, 0x8000, v117, v115
	v_lshl_or_b32 v7, v7, 7, v115
	s_delay_alu instid0(VALU_DEP_1)
	v_cvt_f32_f16_e32 v115, v7
.LBB318_134:                            ;   in Loop: Header=BB318_13 Depth=1
	s_or_b32 exec_lo, exec_lo, s22
.LBB318_135:                            ;   in Loop: Header=BB318_13 Depth=1
	s_delay_alu instid0(SALU_CYCLE_1)
	s_or_b32 exec_lo, exec_lo, s21
.LBB318_136:                            ;   in Loop: Header=BB318_13 Depth=1
	s_delay_alu instid0(SALU_CYCLE_1) | instskip(NEXT) | instid1(SALU_CYCLE_1)
	s_or_b32 exec_lo, exec_lo, s20
	s_mov_b32 s20, exec_lo
	v_cmpx_lt_u32_e32 0xffffff, v116
	s_cbranch_execz .LBB318_144
; %bb.137:                              ;   in Loop: Header=BB318_13 Depth=1
	v_lshrrev_b32_e32 v116, 24, v116
	v_bfrev_b32_e32 v114, 1
	s_mov_b32 s21, exec_lo
	s_delay_alu instid0(VALU_DEP_2)
	v_cmpx_ne_u32_e32 0x80, v116
	s_cbranch_execz .LBB318_143
; %bb.138:                              ;   in Loop: Header=BB318_13 Depth=1
	v_and_b32_e32 v117, 0x7f, v116
	v_mov_b32_e32 v114, 0x7fc02000
	s_mov_b32 s22, exec_lo
	s_delay_alu instid0(VALU_DEP_2)
	v_cmpx_ne_u32_e32 0x7f, v117
	s_cbranch_execz .LBB318_142
; %bb.139:                              ;   in Loop: Header=BB318_13 Depth=1
	v_and_b32_e32 v7, 7, v116
	v_lshrrev_b32_e32 v114, 3, v117
	s_mov_b32 s23, exec_lo
	v_cmpx_gt_u32_e32 8, v117
; %bb.140:                              ;   in Loop: Header=BB318_13 Depth=1
	s_delay_alu instid0(VALU_DEP_3) | instskip(NEXT) | instid1(VALU_DEP_1)
	v_clz_i32_u32_e32 v114, v7
	v_min_u32_e32 v114, 32, v114
	s_delay_alu instid0(VALU_DEP_1) | instskip(SKIP_1) | instid1(VALU_DEP_2)
	v_subrev_nc_u32_e32 v117, 28, v114
	v_sub_nc_u32_e32 v114, 29, v114
	v_lshlrev_b64 v[117:118], v117, v[7:8]
	s_delay_alu instid0(VALU_DEP_1)
	v_and_b32_e32 v7, 7, v117
; %bb.141:                              ;   in Loop: Header=BB318_13 Depth=1
	s_or_b32 exec_lo, exec_lo, s23
	v_lshlrev_b32_e32 v116, 8, v116
	v_lshl_add_u32 v114, v114, 10, 0x2000
	s_delay_alu instid0(VALU_DEP_1) | instskip(NEXT) | instid1(VALU_DEP_1)
	v_and_or_b32 v114, 0x8000, v116, v114
	v_lshl_or_b32 v7, v7, 7, v114
	s_delay_alu instid0(VALU_DEP_1)
	v_cvt_f32_f16_e32 v114, v7
.LBB318_142:                            ;   in Loop: Header=BB318_13 Depth=1
	s_or_b32 exec_lo, exec_lo, s22
.LBB318_143:                            ;   in Loop: Header=BB318_13 Depth=1
	s_delay_alu instid0(SALU_CYCLE_1)
	s_or_b32 exec_lo, exec_lo, s21
.LBB318_144:                            ;   in Loop: Header=BB318_13 Depth=1
	s_delay_alu instid0(SALU_CYCLE_1)
	s_or_b32 exec_lo, exec_lo, s20
	flat_load_b32 v128, v[31:32] offset:512
	v_mov_b32_e32 v117, 0
	s_mov_b32 s20, exec_lo
	s_waitcnt vmcnt(0) lgkmcnt(0)
	v_dual_mov_b32 v116, 0 :: v_dual_and_b32 v7, 0xff, v128
	s_delay_alu instid0(VALU_DEP_1)
	v_cmpx_ne_u16_e32 0, v7
	s_cbranch_execz .LBB318_152
; %bb.145:                              ;   in Loop: Header=BB318_13 Depth=1
	v_bfrev_b32_e32 v116, 1
	s_mov_b32 s21, exec_lo
	v_cmpx_ne_u16_e32 0x80, v7
	s_cbranch_execz .LBB318_151
; %bb.146:                              ;   in Loop: Header=BB318_13 Depth=1
	v_and_b32_e32 v118, 0x7f, v128
	v_mov_b32_e32 v116, 0x7fc02000
	s_mov_b32 s22, exec_lo
	s_delay_alu instid0(VALU_DEP_2)
	v_cmpx_ne_u32_e32 0x7f, v118
	s_cbranch_execz .LBB318_150
; %bb.147:                              ;   in Loop: Header=BB318_13 Depth=1
	v_and_b32_e32 v7, 7, v128
	v_lshrrev_b32_e32 v116, 3, v118
	s_mov_b32 s23, exec_lo
	v_cmpx_gt_u32_e32 8, v118
; %bb.148:                              ;   in Loop: Header=BB318_13 Depth=1
	s_delay_alu instid0(VALU_DEP_3) | instskip(NEXT) | instid1(VALU_DEP_1)
	v_clz_i32_u32_e32 v116, v7
	v_min_u32_e32 v116, 32, v116
	s_delay_alu instid0(VALU_DEP_1) | instskip(SKIP_1) | instid1(VALU_DEP_2)
	v_subrev_nc_u32_e32 v118, 28, v116
	v_sub_nc_u32_e32 v116, 29, v116
	v_lshlrev_b64 v[118:119], v118, v[7:8]
	s_delay_alu instid0(VALU_DEP_1)
	v_and_b32_e32 v7, 7, v118
; %bb.149:                              ;   in Loop: Header=BB318_13 Depth=1
	s_or_b32 exec_lo, exec_lo, s23
	v_lshlrev_b32_e32 v118, 8, v128
	v_lshl_add_u32 v116, v116, 10, 0x2000
	s_delay_alu instid0(VALU_DEP_1) | instskip(NEXT) | instid1(VALU_DEP_1)
	v_and_or_b32 v116, 0x8000, v118, v116
	v_lshl_or_b32 v7, v7, 7, v116
	s_delay_alu instid0(VALU_DEP_1)
	v_cvt_f32_f16_e32 v116, v7
.LBB318_150:                            ;   in Loop: Header=BB318_13 Depth=1
	s_or_b32 exec_lo, exec_lo, s22
.LBB318_151:                            ;   in Loop: Header=BB318_13 Depth=1
	s_delay_alu instid0(SALU_CYCLE_1)
	s_or_b32 exec_lo, exec_lo, s21
.LBB318_152:                            ;   in Loop: Header=BB318_13 Depth=1
	s_delay_alu instid0(SALU_CYCLE_1) | instskip(SKIP_2) | instid1(VALU_DEP_1)
	s_or_b32 exec_lo, exec_lo, s20
	v_lshrrev_b16 v7, 8, v128
	s_mov_b32 s20, exec_lo
	v_cmpx_ne_u16_e32 0, v7
	s_cbranch_execz .LBB318_160
; %bb.153:                              ;   in Loop: Header=BB318_13 Depth=1
	v_bfrev_b32_e32 v117, 1
	s_mov_b32 s21, exec_lo
	v_cmpx_ne_u16_e32 0x80, v7
	s_cbranch_execz .LBB318_159
; %bb.154:                              ;   in Loop: Header=BB318_13 Depth=1
	v_and_b32_e32 v118, 0xffff, v7
	v_mov_b32_e32 v117, 0x7fc02000
	s_mov_b32 s22, exec_lo
	s_delay_alu instid0(VALU_DEP_2) | instskip(NEXT) | instid1(VALU_DEP_1)
	v_and_b32_e32 v119, 0x7f, v118
	v_cmpx_ne_u32_e32 0x7f, v119
	s_cbranch_execz .LBB318_158
; %bb.155:                              ;   in Loop: Header=BB318_13 Depth=1
	v_and_b32_e32 v7, 7, v118
	v_lshrrev_b32_e32 v117, 3, v119
	s_mov_b32 s23, exec_lo
	v_cmpx_gt_u32_e32 8, v119
; %bb.156:                              ;   in Loop: Header=BB318_13 Depth=1
	s_delay_alu instid0(VALU_DEP_3) | instskip(NEXT) | instid1(VALU_DEP_1)
	v_clz_i32_u32_e32 v117, v7
	v_min_u32_e32 v117, 32, v117
	s_delay_alu instid0(VALU_DEP_1) | instskip(SKIP_1) | instid1(VALU_DEP_2)
	v_subrev_nc_u32_e32 v119, 28, v117
	v_sub_nc_u32_e32 v117, 29, v117
	v_lshlrev_b64 v[129:130], v119, v[7:8]
	s_delay_alu instid0(VALU_DEP_1)
	v_and_b32_e32 v7, 7, v129
; %bb.157:                              ;   in Loop: Header=BB318_13 Depth=1
	s_or_b32 exec_lo, exec_lo, s23
	v_lshlrev_b32_e32 v118, 8, v118
	v_lshl_add_u32 v117, v117, 10, 0x2000
	s_delay_alu instid0(VALU_DEP_1) | instskip(NEXT) | instid1(VALU_DEP_1)
	v_and_or_b32 v117, 0x8000, v118, v117
	v_lshl_or_b32 v7, v7, 7, v117
	s_delay_alu instid0(VALU_DEP_1)
	v_cvt_f32_f16_e32 v117, v7
.LBB318_158:                            ;   in Loop: Header=BB318_13 Depth=1
	s_or_b32 exec_lo, exec_lo, s22
.LBB318_159:                            ;   in Loop: Header=BB318_13 Depth=1
	s_delay_alu instid0(SALU_CYCLE_1)
	s_or_b32 exec_lo, exec_lo, s21
.LBB318_160:                            ;   in Loop: Header=BB318_13 Depth=1
	s_delay_alu instid0(SALU_CYCLE_1) | instskip(SKIP_3) | instid1(VALU_DEP_2)
	s_or_b32 exec_lo, exec_lo, s20
	v_lshrrev_b32_e32 v129, 16, v128
	v_mov_b32_e32 v119, 0
	s_mov_b32 s20, exec_lo
	v_dual_mov_b32 v118, 0 :: v_dual_and_b32 v7, 0xff, v129
	s_delay_alu instid0(VALU_DEP_1)
	v_cmpx_ne_u16_e32 0, v7
	s_cbranch_execz .LBB318_168
; %bb.161:                              ;   in Loop: Header=BB318_13 Depth=1
	v_bfrev_b32_e32 v119, 1
	s_mov_b32 s21, exec_lo
	v_cmpx_ne_u16_e32 0x80, v7
	s_cbranch_execz .LBB318_167
; %bb.162:                              ;   in Loop: Header=BB318_13 Depth=1
	v_bfe_u32 v130, v128, 16, 7
	v_mov_b32_e32 v119, 0x7fc02000
	s_mov_b32 s22, exec_lo
	s_delay_alu instid0(VALU_DEP_2)
	v_cmpx_ne_u32_e32 0x7f, v130
	s_cbranch_execz .LBB318_166
; %bb.163:                              ;   in Loop: Header=BB318_13 Depth=1
	v_and_b32_e32 v7, 7, v129
	v_lshrrev_b32_e32 v119, 3, v130
	s_mov_b32 s23, exec_lo
	v_cmpx_gt_u32_e32 8, v130
; %bb.164:                              ;   in Loop: Header=BB318_13 Depth=1
	s_delay_alu instid0(VALU_DEP_3) | instskip(NEXT) | instid1(VALU_DEP_1)
	v_clz_i32_u32_e32 v119, v7
	v_min_u32_e32 v119, 32, v119
	s_delay_alu instid0(VALU_DEP_1) | instskip(SKIP_1) | instid1(VALU_DEP_2)
	v_subrev_nc_u32_e32 v130, 28, v119
	v_sub_nc_u32_e32 v119, 29, v119
	v_lshlrev_b64 v[130:131], v130, v[7:8]
	s_delay_alu instid0(VALU_DEP_1)
	v_and_b32_e32 v7, 7, v130
; %bb.165:                              ;   in Loop: Header=BB318_13 Depth=1
	s_or_b32 exec_lo, exec_lo, s23
	v_lshlrev_b32_e32 v129, 8, v129
	v_lshl_add_u32 v119, v119, 10, 0x2000
	s_delay_alu instid0(VALU_DEP_1) | instskip(NEXT) | instid1(VALU_DEP_1)
	v_and_or_b32 v119, 0x8000, v129, v119
	v_lshl_or_b32 v7, v7, 7, v119
	s_delay_alu instid0(VALU_DEP_1)
	v_cvt_f32_f16_e32 v119, v7
.LBB318_166:                            ;   in Loop: Header=BB318_13 Depth=1
	s_or_b32 exec_lo, exec_lo, s22
.LBB318_167:                            ;   in Loop: Header=BB318_13 Depth=1
	s_delay_alu instid0(SALU_CYCLE_1)
	s_or_b32 exec_lo, exec_lo, s21
.LBB318_168:                            ;   in Loop: Header=BB318_13 Depth=1
	s_delay_alu instid0(SALU_CYCLE_1) | instskip(NEXT) | instid1(SALU_CYCLE_1)
	s_or_b32 exec_lo, exec_lo, s20
	s_mov_b32 s20, exec_lo
	v_cmpx_lt_u32_e32 0xffffff, v128
	s_cbranch_execz .LBB318_176
; %bb.169:                              ;   in Loop: Header=BB318_13 Depth=1
	v_lshrrev_b32_e32 v128, 24, v128
	v_bfrev_b32_e32 v118, 1
	s_mov_b32 s21, exec_lo
	s_delay_alu instid0(VALU_DEP_2)
	v_cmpx_ne_u32_e32 0x80, v128
	s_cbranch_execz .LBB318_175
; %bb.170:                              ;   in Loop: Header=BB318_13 Depth=1
	v_and_b32_e32 v129, 0x7f, v128
	v_mov_b32_e32 v118, 0x7fc02000
	s_mov_b32 s22, exec_lo
	s_delay_alu instid0(VALU_DEP_2)
	v_cmpx_ne_u32_e32 0x7f, v129
	s_cbranch_execz .LBB318_174
; %bb.171:                              ;   in Loop: Header=BB318_13 Depth=1
	v_and_b32_e32 v7, 7, v128
	v_lshrrev_b32_e32 v118, 3, v129
	s_mov_b32 s23, exec_lo
	v_cmpx_gt_u32_e32 8, v129
; %bb.172:                              ;   in Loop: Header=BB318_13 Depth=1
	s_delay_alu instid0(VALU_DEP_3) | instskip(NEXT) | instid1(VALU_DEP_1)
	v_clz_i32_u32_e32 v118, v7
	v_min_u32_e32 v118, 32, v118
	s_delay_alu instid0(VALU_DEP_1) | instskip(SKIP_1) | instid1(VALU_DEP_2)
	v_subrev_nc_u32_e32 v129, 28, v118
	v_sub_nc_u32_e32 v118, 29, v118
	v_lshlrev_b64 v[129:130], v129, v[7:8]
	s_delay_alu instid0(VALU_DEP_1)
	v_and_b32_e32 v7, 7, v129
; %bb.173:                              ;   in Loop: Header=BB318_13 Depth=1
	s_or_b32 exec_lo, exec_lo, s23
	v_lshlrev_b32_e32 v128, 8, v128
	v_lshl_add_u32 v118, v118, 10, 0x2000
	s_delay_alu instid0(VALU_DEP_1) | instskip(NEXT) | instid1(VALU_DEP_1)
	v_and_or_b32 v118, 0x8000, v128, v118
	v_lshl_or_b32 v7, v7, 7, v118
	s_delay_alu instid0(VALU_DEP_1)
	v_cvt_f32_f16_e32 v118, v7
.LBB318_174:                            ;   in Loop: Header=BB318_13 Depth=1
	s_or_b32 exec_lo, exec_lo, s22
.LBB318_175:                            ;   in Loop: Header=BB318_13 Depth=1
	s_delay_alu instid0(SALU_CYCLE_1)
	s_or_b32 exec_lo, exec_lo, s21
.LBB318_176:                            ;   in Loop: Header=BB318_13 Depth=1
	s_delay_alu instid0(SALU_CYCLE_1)
	s_or_b32 exec_lo, exec_lo, s20
	flat_load_b32 v132, v[31:32] offset:520
	v_mov_b32_e32 v129, 0
	s_mov_b32 s20, exec_lo
	s_waitcnt vmcnt(0) lgkmcnt(0)
	v_dual_mov_b32 v128, 0 :: v_dual_and_b32 v7, 0xff, v132
	s_delay_alu instid0(VALU_DEP_1)
	v_cmpx_ne_u16_e32 0, v7
	s_cbranch_execz .LBB318_184
; %bb.177:                              ;   in Loop: Header=BB318_13 Depth=1
	v_bfrev_b32_e32 v128, 1
	s_mov_b32 s21, exec_lo
	v_cmpx_ne_u16_e32 0x80, v7
	s_cbranch_execz .LBB318_183
; %bb.178:                              ;   in Loop: Header=BB318_13 Depth=1
	v_and_b32_e32 v130, 0x7f, v132
	v_mov_b32_e32 v128, 0x7fc02000
	s_mov_b32 s22, exec_lo
	s_delay_alu instid0(VALU_DEP_2)
	v_cmpx_ne_u32_e32 0x7f, v130
	s_cbranch_execz .LBB318_182
; %bb.179:                              ;   in Loop: Header=BB318_13 Depth=1
	v_and_b32_e32 v7, 7, v132
	v_lshrrev_b32_e32 v128, 3, v130
	s_mov_b32 s23, exec_lo
	v_cmpx_gt_u32_e32 8, v130
; %bb.180:                              ;   in Loop: Header=BB318_13 Depth=1
	s_delay_alu instid0(VALU_DEP_3) | instskip(NEXT) | instid1(VALU_DEP_1)
	v_clz_i32_u32_e32 v128, v7
	v_min_u32_e32 v128, 32, v128
	s_delay_alu instid0(VALU_DEP_1) | instskip(SKIP_1) | instid1(VALU_DEP_2)
	v_subrev_nc_u32_e32 v130, 28, v128
	v_sub_nc_u32_e32 v128, 29, v128
	v_lshlrev_b64 v[130:131], v130, v[7:8]
	s_delay_alu instid0(VALU_DEP_1)
	v_and_b32_e32 v7, 7, v130
; %bb.181:                              ;   in Loop: Header=BB318_13 Depth=1
	s_or_b32 exec_lo, exec_lo, s23
	v_lshlrev_b32_e32 v130, 8, v132
	v_lshl_add_u32 v128, v128, 10, 0x2000
	s_delay_alu instid0(VALU_DEP_1) | instskip(NEXT) | instid1(VALU_DEP_1)
	v_and_or_b32 v128, 0x8000, v130, v128
	v_lshl_or_b32 v7, v7, 7, v128
	s_delay_alu instid0(VALU_DEP_1)
	v_cvt_f32_f16_e64 v128, v7
.LBB318_182:                            ;   in Loop: Header=BB318_13 Depth=1
	s_or_b32 exec_lo, exec_lo, s22
.LBB318_183:                            ;   in Loop: Header=BB318_13 Depth=1
	s_delay_alu instid0(SALU_CYCLE_1)
	s_or_b32 exec_lo, exec_lo, s21
.LBB318_184:                            ;   in Loop: Header=BB318_13 Depth=1
	s_delay_alu instid0(SALU_CYCLE_1) | instskip(SKIP_2) | instid1(VALU_DEP_1)
	s_or_b32 exec_lo, exec_lo, s20
	v_lshrrev_b16 v7, 8, v132
	s_mov_b32 s20, exec_lo
	v_cmpx_ne_u16_e32 0, v7
	s_cbranch_execz .LBB318_192
; %bb.185:                              ;   in Loop: Header=BB318_13 Depth=1
	v_bfrev_b32_e32 v129, 1
	s_mov_b32 s21, exec_lo
	v_cmpx_ne_u16_e32 0x80, v7
	s_cbranch_execz .LBB318_191
; %bb.186:                              ;   in Loop: Header=BB318_13 Depth=1
	v_and_b32_e32 v130, 0xffff, v7
	v_mov_b32_e32 v129, 0x7fc02000
	s_mov_b32 s22, exec_lo
	s_delay_alu instid0(VALU_DEP_2) | instskip(NEXT) | instid1(VALU_DEP_1)
	v_and_b32_e32 v131, 0x7f, v130
	v_cmpx_ne_u32_e32 0x7f, v131
	s_cbranch_execz .LBB318_190
; %bb.187:                              ;   in Loop: Header=BB318_13 Depth=1
	v_and_b32_e32 v7, 7, v130
	v_lshrrev_b32_e32 v129, 3, v131
	s_mov_b32 s23, exec_lo
	v_cmpx_gt_u32_e32 8, v131
; %bb.188:                              ;   in Loop: Header=BB318_13 Depth=1
	s_delay_alu instid0(VALU_DEP_3) | instskip(NEXT) | instid1(VALU_DEP_1)
	v_clz_i32_u32_e32 v129, v7
	v_min_u32_e32 v129, 32, v129
	s_delay_alu instid0(VALU_DEP_1) | instskip(SKIP_1) | instid1(VALU_DEP_2)
	v_subrev_nc_u32_e32 v131, 28, v129
	v_sub_nc_u32_e32 v129, 29, v129
	v_lshlrev_b64 v[133:134], v131, v[7:8]
	s_delay_alu instid0(VALU_DEP_1)
	v_and_b32_e32 v7, 7, v133
; %bb.189:                              ;   in Loop: Header=BB318_13 Depth=1
	s_or_b32 exec_lo, exec_lo, s23
	v_lshlrev_b32_e32 v130, 8, v130
	v_lshl_add_u32 v129, v129, 10, 0x2000
	s_delay_alu instid0(VALU_DEP_1) | instskip(NEXT) | instid1(VALU_DEP_1)
	v_and_or_b32 v129, 0x8000, v130, v129
	v_lshl_or_b32 v7, v7, 7, v129
	s_delay_alu instid0(VALU_DEP_1)
	v_cvt_f32_f16_e64 v129, v7
.LBB318_190:                            ;   in Loop: Header=BB318_13 Depth=1
	s_or_b32 exec_lo, exec_lo, s22
.LBB318_191:                            ;   in Loop: Header=BB318_13 Depth=1
	s_delay_alu instid0(SALU_CYCLE_1)
	s_or_b32 exec_lo, exec_lo, s21
.LBB318_192:                            ;   in Loop: Header=BB318_13 Depth=1
	s_delay_alu instid0(SALU_CYCLE_1) | instskip(SKIP_3) | instid1(VALU_DEP_2)
	s_or_b32 exec_lo, exec_lo, s20
	v_lshrrev_b32_e32 v133, 16, v132
	v_mov_b32_e32 v131, 0
	s_mov_b32 s20, exec_lo
	v_dual_mov_b32 v130, 0 :: v_dual_and_b32 v7, 0xff, v133
	s_delay_alu instid0(VALU_DEP_1)
	v_cmpx_ne_u16_e32 0, v7
	s_cbranch_execz .LBB318_200
; %bb.193:                              ;   in Loop: Header=BB318_13 Depth=1
	v_bfrev_b32_e32 v131, 1
	s_mov_b32 s21, exec_lo
	v_cmpx_ne_u16_e32 0x80, v7
	s_cbranch_execz .LBB318_199
; %bb.194:                              ;   in Loop: Header=BB318_13 Depth=1
	v_bfe_u32 v134, v132, 16, 7
	v_mov_b32_e32 v131, 0x7fc02000
	s_mov_b32 s22, exec_lo
	s_delay_alu instid0(VALU_DEP_2)
	v_cmpx_ne_u32_e32 0x7f, v134
	s_cbranch_execz .LBB318_198
; %bb.195:                              ;   in Loop: Header=BB318_13 Depth=1
	v_and_b32_e32 v7, 7, v133
	v_lshrrev_b32_e32 v131, 3, v134
	s_mov_b32 s23, exec_lo
	v_cmpx_gt_u32_e32 8, v134
; %bb.196:                              ;   in Loop: Header=BB318_13 Depth=1
	s_delay_alu instid0(VALU_DEP_3) | instskip(NEXT) | instid1(VALU_DEP_1)
	v_clz_i32_u32_e32 v131, v7
	v_min_u32_e32 v131, 32, v131
	s_delay_alu instid0(VALU_DEP_1) | instskip(SKIP_1) | instid1(VALU_DEP_2)
	v_subrev_nc_u32_e32 v134, 28, v131
	v_sub_nc_u32_e32 v131, 29, v131
	v_lshlrev_b64 v[134:135], v134, v[7:8]
	s_delay_alu instid0(VALU_DEP_1)
	v_and_b32_e32 v7, 7, v134
; %bb.197:                              ;   in Loop: Header=BB318_13 Depth=1
	s_or_b32 exec_lo, exec_lo, s23
	v_lshlrev_b32_e32 v133, 8, v133
	v_lshl_add_u32 v131, v131, 10, 0x2000
	s_delay_alu instid0(VALU_DEP_1) | instskip(NEXT) | instid1(VALU_DEP_1)
	v_and_or_b32 v131, 0x8000, v133, v131
	v_lshl_or_b32 v7, v7, 7, v131
	s_delay_alu instid0(VALU_DEP_1)
	v_cvt_f32_f16_e64 v131, v7
.LBB318_198:                            ;   in Loop: Header=BB318_13 Depth=1
	s_or_b32 exec_lo, exec_lo, s22
.LBB318_199:                            ;   in Loop: Header=BB318_13 Depth=1
	s_delay_alu instid0(SALU_CYCLE_1)
	s_or_b32 exec_lo, exec_lo, s21
.LBB318_200:                            ;   in Loop: Header=BB318_13 Depth=1
	s_delay_alu instid0(SALU_CYCLE_1) | instskip(NEXT) | instid1(SALU_CYCLE_1)
	s_or_b32 exec_lo, exec_lo, s20
	s_mov_b32 s20, exec_lo
	v_cmpx_lt_u32_e32 0xffffff, v132
	s_cbranch_execz .LBB318_208
; %bb.201:                              ;   in Loop: Header=BB318_13 Depth=1
	v_lshrrev_b32_e32 v132, 24, v132
	v_bfrev_b32_e32 v130, 1
	s_mov_b32 s21, exec_lo
	s_delay_alu instid0(VALU_DEP_2)
	v_cmpx_ne_u32_e32 0x80, v132
	s_cbranch_execz .LBB318_207
; %bb.202:                              ;   in Loop: Header=BB318_13 Depth=1
	v_and_b32_e32 v133, 0x7f, v132
	v_mov_b32_e32 v130, 0x7fc02000
	s_mov_b32 s22, exec_lo
	s_delay_alu instid0(VALU_DEP_2)
	v_cmpx_ne_u32_e32 0x7f, v133
	s_cbranch_execz .LBB318_206
; %bb.203:                              ;   in Loop: Header=BB318_13 Depth=1
	v_and_b32_e32 v7, 7, v132
	v_lshrrev_b32_e32 v130, 3, v133
	s_mov_b32 s23, exec_lo
	v_cmpx_gt_u32_e32 8, v133
; %bb.204:                              ;   in Loop: Header=BB318_13 Depth=1
	s_delay_alu instid0(VALU_DEP_3) | instskip(NEXT) | instid1(VALU_DEP_1)
	v_clz_i32_u32_e32 v130, v7
	v_min_u32_e32 v130, 32, v130
	s_delay_alu instid0(VALU_DEP_1) | instskip(SKIP_1) | instid1(VALU_DEP_2)
	v_subrev_nc_u32_e32 v133, 28, v130
	v_sub_nc_u32_e32 v130, 29, v130
	v_lshlrev_b64 v[133:134], v133, v[7:8]
	s_delay_alu instid0(VALU_DEP_1)
	v_and_b32_e32 v7, 7, v133
; %bb.205:                              ;   in Loop: Header=BB318_13 Depth=1
	s_or_b32 exec_lo, exec_lo, s23
	v_lshlrev_b32_e32 v132, 8, v132
	v_lshl_add_u32 v130, v130, 10, 0x2000
	s_delay_alu instid0(VALU_DEP_1) | instskip(NEXT) | instid1(VALU_DEP_1)
	v_and_or_b32 v130, 0x8000, v132, v130
	v_lshl_or_b32 v7, v7, 7, v130
	s_delay_alu instid0(VALU_DEP_1)
	v_cvt_f32_f16_e64 v130, v7
.LBB318_206:                            ;   in Loop: Header=BB318_13 Depth=1
	s_or_b32 exec_lo, exec_lo, s22
.LBB318_207:                            ;   in Loop: Header=BB318_13 Depth=1
	s_delay_alu instid0(SALU_CYCLE_1)
	s_or_b32 exec_lo, exec_lo, s21
.LBB318_208:                            ;   in Loop: Header=BB318_13 Depth=1
	s_delay_alu instid0(SALU_CYCLE_1)
	s_or_b32 exec_lo, exec_lo, s20
	flat_load_b32 v144, v[31:32] offset:768
	v_mov_b32_e32 v133, 0
	s_mov_b32 s20, exec_lo
	s_waitcnt vmcnt(0) lgkmcnt(0)
	v_dual_mov_b32 v132, 0 :: v_dual_and_b32 v7, 0xff, v144
	s_delay_alu instid0(VALU_DEP_1)
	v_cmpx_ne_u16_e32 0, v7
	s_cbranch_execz .LBB318_216
; %bb.209:                              ;   in Loop: Header=BB318_13 Depth=1
	v_bfrev_b32_e32 v132, 1
	s_mov_b32 s21, exec_lo
	v_cmpx_ne_u16_e32 0x80, v7
	s_cbranch_execz .LBB318_215
; %bb.210:                              ;   in Loop: Header=BB318_13 Depth=1
	v_and_b32_e32 v134, 0x7f, v144
	v_mov_b32_e32 v132, 0x7fc02000
	s_mov_b32 s22, exec_lo
	s_delay_alu instid0(VALU_DEP_2)
	v_cmpx_ne_u32_e32 0x7f, v134
	s_cbranch_execz .LBB318_214
; %bb.211:                              ;   in Loop: Header=BB318_13 Depth=1
	v_and_b32_e32 v7, 7, v144
	v_lshrrev_b32_e32 v132, 3, v134
	s_mov_b32 s23, exec_lo
	v_cmpx_gt_u32_e32 8, v134
; %bb.212:                              ;   in Loop: Header=BB318_13 Depth=1
	s_delay_alu instid0(VALU_DEP_3) | instskip(NEXT) | instid1(VALU_DEP_1)
	v_clz_i32_u32_e32 v132, v7
	v_min_u32_e32 v132, 32, v132
	s_delay_alu instid0(VALU_DEP_1) | instskip(SKIP_1) | instid1(VALU_DEP_2)
	v_subrev_nc_u32_e32 v134, 28, v132
	v_sub_nc_u32_e32 v132, 29, v132
	v_lshlrev_b64 v[134:135], v134, v[7:8]
	s_delay_alu instid0(VALU_DEP_1)
	v_and_b32_e32 v7, 7, v134
; %bb.213:                              ;   in Loop: Header=BB318_13 Depth=1
	s_or_b32 exec_lo, exec_lo, s23
	v_lshlrev_b32_e32 v134, 8, v144
	v_lshl_add_u32 v132, v132, 10, 0x2000
	s_delay_alu instid0(VALU_DEP_1) | instskip(NEXT) | instid1(VALU_DEP_1)
	v_and_or_b32 v132, 0x8000, v134, v132
	v_lshl_or_b32 v7, v7, 7, v132
	s_delay_alu instid0(VALU_DEP_1)
	v_cvt_f32_f16_e64 v132, v7
.LBB318_214:                            ;   in Loop: Header=BB318_13 Depth=1
	s_or_b32 exec_lo, exec_lo, s22
.LBB318_215:                            ;   in Loop: Header=BB318_13 Depth=1
	s_delay_alu instid0(SALU_CYCLE_1)
	s_or_b32 exec_lo, exec_lo, s21
.LBB318_216:                            ;   in Loop: Header=BB318_13 Depth=1
	s_delay_alu instid0(SALU_CYCLE_1) | instskip(SKIP_2) | instid1(VALU_DEP_1)
	s_or_b32 exec_lo, exec_lo, s20
	v_lshrrev_b16 v7, 8, v144
	s_mov_b32 s20, exec_lo
	v_cmpx_ne_u16_e32 0, v7
	s_cbranch_execz .LBB318_224
; %bb.217:                              ;   in Loop: Header=BB318_13 Depth=1
	v_bfrev_b32_e32 v133, 1
	s_mov_b32 s21, exec_lo
	v_cmpx_ne_u16_e32 0x80, v7
	s_cbranch_execz .LBB318_223
; %bb.218:                              ;   in Loop: Header=BB318_13 Depth=1
	v_and_b32_e32 v134, 0xffff, v7
	v_mov_b32_e32 v133, 0x7fc02000
	s_mov_b32 s22, exec_lo
	s_delay_alu instid0(VALU_DEP_2) | instskip(NEXT) | instid1(VALU_DEP_1)
	v_and_b32_e32 v135, 0x7f, v134
	v_cmpx_ne_u32_e32 0x7f, v135
	s_cbranch_execz .LBB318_222
; %bb.219:                              ;   in Loop: Header=BB318_13 Depth=1
	v_and_b32_e32 v7, 7, v134
	v_lshrrev_b32_e32 v133, 3, v135
	s_mov_b32 s23, exec_lo
	v_cmpx_gt_u32_e32 8, v135
; %bb.220:                              ;   in Loop: Header=BB318_13 Depth=1
	s_delay_alu instid0(VALU_DEP_3) | instskip(NEXT) | instid1(VALU_DEP_1)
	v_clz_i32_u32_e32 v133, v7
	v_min_u32_e32 v133, 32, v133
	s_delay_alu instid0(VALU_DEP_1) | instskip(SKIP_1) | instid1(VALU_DEP_2)
	v_subrev_nc_u32_e32 v135, 28, v133
	v_sub_nc_u32_e32 v133, 29, v133
	v_lshlrev_b64 v[145:146], v135, v[7:8]
	s_delay_alu instid0(VALU_DEP_1)
	v_and_b32_e32 v7, 7, v145
; %bb.221:                              ;   in Loop: Header=BB318_13 Depth=1
	s_or_b32 exec_lo, exec_lo, s23
	v_lshlrev_b32_e32 v134, 8, v134
	v_lshl_add_u32 v133, v133, 10, 0x2000
	s_delay_alu instid0(VALU_DEP_1) | instskip(NEXT) | instid1(VALU_DEP_1)
	v_and_or_b32 v133, 0x8000, v134, v133
	v_lshl_or_b32 v7, v7, 7, v133
	s_delay_alu instid0(VALU_DEP_1)
	v_cvt_f32_f16_e64 v133, v7
.LBB318_222:                            ;   in Loop: Header=BB318_13 Depth=1
	s_or_b32 exec_lo, exec_lo, s22
.LBB318_223:                            ;   in Loop: Header=BB318_13 Depth=1
	s_delay_alu instid0(SALU_CYCLE_1)
	s_or_b32 exec_lo, exec_lo, s21
.LBB318_224:                            ;   in Loop: Header=BB318_13 Depth=1
	s_delay_alu instid0(SALU_CYCLE_1) | instskip(SKIP_3) | instid1(VALU_DEP_2)
	s_or_b32 exec_lo, exec_lo, s20
	v_lshrrev_b32_e32 v145, 16, v144
	v_mov_b32_e32 v135, 0
	s_mov_b32 s20, exec_lo
	v_dual_mov_b32 v134, 0 :: v_dual_and_b32 v7, 0xff, v145
	s_delay_alu instid0(VALU_DEP_1)
	v_cmpx_ne_u16_e32 0, v7
	s_cbranch_execz .LBB318_232
; %bb.225:                              ;   in Loop: Header=BB318_13 Depth=1
	v_bfrev_b32_e32 v135, 1
	s_mov_b32 s21, exec_lo
	v_cmpx_ne_u16_e32 0x80, v7
	s_cbranch_execz .LBB318_231
; %bb.226:                              ;   in Loop: Header=BB318_13 Depth=1
	v_bfe_u32 v146, v144, 16, 7
	v_mov_b32_e32 v135, 0x7fc02000
	s_mov_b32 s22, exec_lo
	s_delay_alu instid0(VALU_DEP_2)
	v_cmpx_ne_u32_e32 0x7f, v146
	s_cbranch_execz .LBB318_230
; %bb.227:                              ;   in Loop: Header=BB318_13 Depth=1
	v_and_b32_e32 v7, 7, v145
	v_lshrrev_b32_e32 v135, 3, v146
	s_mov_b32 s23, exec_lo
	v_cmpx_gt_u32_e32 8, v146
; %bb.228:                              ;   in Loop: Header=BB318_13 Depth=1
	s_delay_alu instid0(VALU_DEP_3) | instskip(NEXT) | instid1(VALU_DEP_1)
	v_clz_i32_u32_e32 v135, v7
	v_min_u32_e32 v135, 32, v135
	s_delay_alu instid0(VALU_DEP_1) | instskip(SKIP_1) | instid1(VALU_DEP_2)
	v_subrev_nc_u32_e32 v146, 28, v135
	v_sub_nc_u32_e32 v135, 29, v135
	v_lshlrev_b64 v[146:147], v146, v[7:8]
	s_delay_alu instid0(VALU_DEP_1)
	v_and_b32_e32 v7, 7, v146
; %bb.229:                              ;   in Loop: Header=BB318_13 Depth=1
	s_or_b32 exec_lo, exec_lo, s23
	v_lshlrev_b32_e32 v145, 8, v145
	v_lshl_add_u32 v135, v135, 10, 0x2000
	s_delay_alu instid0(VALU_DEP_1) | instskip(NEXT) | instid1(VALU_DEP_1)
	v_and_or_b32 v135, 0x8000, v145, v135
	v_lshl_or_b32 v7, v7, 7, v135
	s_delay_alu instid0(VALU_DEP_1)
	v_cvt_f32_f16_e64 v135, v7
.LBB318_230:                            ;   in Loop: Header=BB318_13 Depth=1
	s_or_b32 exec_lo, exec_lo, s22
.LBB318_231:                            ;   in Loop: Header=BB318_13 Depth=1
	s_delay_alu instid0(SALU_CYCLE_1)
	s_or_b32 exec_lo, exec_lo, s21
.LBB318_232:                            ;   in Loop: Header=BB318_13 Depth=1
	s_delay_alu instid0(SALU_CYCLE_1) | instskip(NEXT) | instid1(SALU_CYCLE_1)
	s_or_b32 exec_lo, exec_lo, s20
	s_mov_b32 s20, exec_lo
	v_cmpx_lt_u32_e32 0xffffff, v144
	s_cbranch_execz .LBB318_240
; %bb.233:                              ;   in Loop: Header=BB318_13 Depth=1
	v_lshrrev_b32_e32 v144, 24, v144
	v_bfrev_b32_e32 v134, 1
	s_mov_b32 s21, exec_lo
	s_delay_alu instid0(VALU_DEP_2)
	v_cmpx_ne_u32_e32 0x80, v144
	s_cbranch_execz .LBB318_239
; %bb.234:                              ;   in Loop: Header=BB318_13 Depth=1
	v_and_b32_e32 v145, 0x7f, v144
	v_mov_b32_e32 v134, 0x7fc02000
	s_mov_b32 s22, exec_lo
	s_delay_alu instid0(VALU_DEP_2)
	v_cmpx_ne_u32_e32 0x7f, v145
	s_cbranch_execz .LBB318_238
; %bb.235:                              ;   in Loop: Header=BB318_13 Depth=1
	v_and_b32_e32 v7, 7, v144
	v_lshrrev_b32_e32 v134, 3, v145
	s_mov_b32 s23, exec_lo
	v_cmpx_gt_u32_e32 8, v145
; %bb.236:                              ;   in Loop: Header=BB318_13 Depth=1
	s_delay_alu instid0(VALU_DEP_3) | instskip(NEXT) | instid1(VALU_DEP_1)
	v_clz_i32_u32_e32 v134, v7
	v_min_u32_e32 v134, 32, v134
	s_delay_alu instid0(VALU_DEP_1) | instskip(SKIP_1) | instid1(VALU_DEP_2)
	v_subrev_nc_u32_e32 v145, 28, v134
	v_sub_nc_u32_e32 v134, 29, v134
	v_lshlrev_b64 v[145:146], v145, v[7:8]
	s_delay_alu instid0(VALU_DEP_1)
	v_and_b32_e32 v7, 7, v145
; %bb.237:                              ;   in Loop: Header=BB318_13 Depth=1
	s_or_b32 exec_lo, exec_lo, s23
	v_lshlrev_b32_e32 v144, 8, v144
	v_lshl_add_u32 v134, v134, 10, 0x2000
	s_delay_alu instid0(VALU_DEP_1) | instskip(NEXT) | instid1(VALU_DEP_1)
	v_and_or_b32 v134, 0x8000, v144, v134
	v_lshl_or_b32 v7, v7, 7, v134
	s_delay_alu instid0(VALU_DEP_1)
	v_cvt_f32_f16_e64 v134, v7
.LBB318_238:                            ;   in Loop: Header=BB318_13 Depth=1
	s_or_b32 exec_lo, exec_lo, s22
.LBB318_239:                            ;   in Loop: Header=BB318_13 Depth=1
	s_delay_alu instid0(SALU_CYCLE_1)
	s_or_b32 exec_lo, exec_lo, s21
.LBB318_240:                            ;   in Loop: Header=BB318_13 Depth=1
	s_delay_alu instid0(SALU_CYCLE_1)
	s_or_b32 exec_lo, exec_lo, s20
	flat_load_b32 v148, v[31:32] offset:776
	v_mov_b32_e32 v145, 0
	s_mov_b32 s20, exec_lo
	s_waitcnt vmcnt(0) lgkmcnt(0)
	v_dual_mov_b32 v144, 0 :: v_dual_and_b32 v7, 0xff, v148
	s_delay_alu instid0(VALU_DEP_1)
	v_cmpx_ne_u16_e32 0, v7
	s_cbranch_execz .LBB318_248
; %bb.241:                              ;   in Loop: Header=BB318_13 Depth=1
	v_bfrev_b32_e32 v144, 1
	s_mov_b32 s21, exec_lo
	v_cmpx_ne_u16_e32 0x80, v7
	s_cbranch_execz .LBB318_247
; %bb.242:                              ;   in Loop: Header=BB318_13 Depth=1
	v_and_b32_e32 v146, 0x7f, v148
	v_mov_b32_e32 v144, 0x7fc02000
	s_mov_b32 s22, exec_lo
	s_delay_alu instid0(VALU_DEP_2)
	v_cmpx_ne_u32_e32 0x7f, v146
	s_cbranch_execz .LBB318_246
; %bb.243:                              ;   in Loop: Header=BB318_13 Depth=1
	v_and_b32_e32 v7, 7, v148
	v_lshrrev_b32_e32 v144, 3, v146
	s_mov_b32 s23, exec_lo
	v_cmpx_gt_u32_e32 8, v146
; %bb.244:                              ;   in Loop: Header=BB318_13 Depth=1
	s_delay_alu instid0(VALU_DEP_3) | instskip(NEXT) | instid1(VALU_DEP_1)
	v_clz_i32_u32_e32 v144, v7
	v_min_u32_e32 v144, 32, v144
	s_delay_alu instid0(VALU_DEP_1) | instskip(SKIP_1) | instid1(VALU_DEP_2)
	v_subrev_nc_u32_e32 v146, 28, v144
	v_sub_nc_u32_e32 v144, 29, v144
	v_lshlrev_b64 v[146:147], v146, v[7:8]
	s_delay_alu instid0(VALU_DEP_1)
	v_and_b32_e32 v7, 7, v146
; %bb.245:                              ;   in Loop: Header=BB318_13 Depth=1
	s_or_b32 exec_lo, exec_lo, s23
	v_lshlrev_b32_e32 v146, 8, v148
	v_lshl_add_u32 v144, v144, 10, 0x2000
	s_delay_alu instid0(VALU_DEP_1) | instskip(NEXT) | instid1(VALU_DEP_1)
	v_and_or_b32 v144, 0x8000, v146, v144
	v_lshl_or_b32 v7, v7, 7, v144
	s_delay_alu instid0(VALU_DEP_1)
	v_cvt_f32_f16_e64 v144, v7
.LBB318_246:                            ;   in Loop: Header=BB318_13 Depth=1
	s_or_b32 exec_lo, exec_lo, s22
.LBB318_247:                            ;   in Loop: Header=BB318_13 Depth=1
	s_delay_alu instid0(SALU_CYCLE_1)
	s_or_b32 exec_lo, exec_lo, s21
.LBB318_248:                            ;   in Loop: Header=BB318_13 Depth=1
	s_delay_alu instid0(SALU_CYCLE_1) | instskip(SKIP_2) | instid1(VALU_DEP_1)
	s_or_b32 exec_lo, exec_lo, s20
	v_lshrrev_b16 v7, 8, v148
	s_mov_b32 s20, exec_lo
	v_cmpx_ne_u16_e32 0, v7
	s_cbranch_execz .LBB318_256
; %bb.249:                              ;   in Loop: Header=BB318_13 Depth=1
	v_bfrev_b32_e32 v145, 1
	s_mov_b32 s21, exec_lo
	v_cmpx_ne_u16_e32 0x80, v7
	s_cbranch_execz .LBB318_255
; %bb.250:                              ;   in Loop: Header=BB318_13 Depth=1
	v_and_b32_e32 v146, 0xffff, v7
	v_mov_b32_e32 v145, 0x7fc02000
	s_mov_b32 s22, exec_lo
	s_delay_alu instid0(VALU_DEP_2) | instskip(NEXT) | instid1(VALU_DEP_1)
	v_and_b32_e32 v147, 0x7f, v146
	v_cmpx_ne_u32_e32 0x7f, v147
	s_cbranch_execz .LBB318_254
; %bb.251:                              ;   in Loop: Header=BB318_13 Depth=1
	v_and_b32_e32 v7, 7, v146
	v_lshrrev_b32_e32 v145, 3, v147
	s_mov_b32 s23, exec_lo
	v_cmpx_gt_u32_e32 8, v147
; %bb.252:                              ;   in Loop: Header=BB318_13 Depth=1
	s_delay_alu instid0(VALU_DEP_3) | instskip(NEXT) | instid1(VALU_DEP_1)
	v_clz_i32_u32_e32 v145, v7
	v_min_u32_e32 v145, 32, v145
	s_delay_alu instid0(VALU_DEP_1) | instskip(SKIP_1) | instid1(VALU_DEP_2)
	v_subrev_nc_u32_e32 v147, 28, v145
	v_sub_nc_u32_e32 v145, 29, v145
	v_lshlrev_b64 v[149:150], v147, v[7:8]
	s_delay_alu instid0(VALU_DEP_1)
	v_and_b32_e32 v7, 7, v149
; %bb.253:                              ;   in Loop: Header=BB318_13 Depth=1
	s_or_b32 exec_lo, exec_lo, s23
	v_lshlrev_b32_e32 v146, 8, v146
	v_lshl_add_u32 v145, v145, 10, 0x2000
	s_delay_alu instid0(VALU_DEP_1) | instskip(NEXT) | instid1(VALU_DEP_1)
	v_and_or_b32 v145, 0x8000, v146, v145
	v_lshl_or_b32 v7, v7, 7, v145
	s_delay_alu instid0(VALU_DEP_1)
	v_cvt_f32_f16_e64 v145, v7
.LBB318_254:                            ;   in Loop: Header=BB318_13 Depth=1
	s_or_b32 exec_lo, exec_lo, s22
.LBB318_255:                            ;   in Loop: Header=BB318_13 Depth=1
	s_delay_alu instid0(SALU_CYCLE_1)
	s_or_b32 exec_lo, exec_lo, s21
.LBB318_256:                            ;   in Loop: Header=BB318_13 Depth=1
	s_delay_alu instid0(SALU_CYCLE_1) | instskip(SKIP_3) | instid1(VALU_DEP_2)
	s_or_b32 exec_lo, exec_lo, s20
	v_lshrrev_b32_e32 v149, 16, v148
	v_mov_b32_e32 v147, 0
	s_mov_b32 s20, exec_lo
	v_dual_mov_b32 v146, 0 :: v_dual_and_b32 v7, 0xff, v149
	s_delay_alu instid0(VALU_DEP_1)
	v_cmpx_ne_u16_e32 0, v7
	s_cbranch_execz .LBB318_264
; %bb.257:                              ;   in Loop: Header=BB318_13 Depth=1
	v_bfrev_b32_e32 v147, 1
	s_mov_b32 s21, exec_lo
	v_cmpx_ne_u16_e32 0x80, v7
	s_cbranch_execz .LBB318_263
; %bb.258:                              ;   in Loop: Header=BB318_13 Depth=1
	v_bfe_u32 v150, v148, 16, 7
	v_mov_b32_e32 v147, 0x7fc02000
	s_mov_b32 s22, exec_lo
	s_delay_alu instid0(VALU_DEP_2)
	v_cmpx_ne_u32_e32 0x7f, v150
	s_cbranch_execz .LBB318_262
; %bb.259:                              ;   in Loop: Header=BB318_13 Depth=1
	v_and_b32_e32 v7, 7, v149
	v_lshrrev_b32_e32 v147, 3, v150
	s_mov_b32 s23, exec_lo
	v_cmpx_gt_u32_e32 8, v150
; %bb.260:                              ;   in Loop: Header=BB318_13 Depth=1
	s_delay_alu instid0(VALU_DEP_3) | instskip(NEXT) | instid1(VALU_DEP_1)
	v_clz_i32_u32_e32 v147, v7
	v_min_u32_e32 v147, 32, v147
	s_delay_alu instid0(VALU_DEP_1) | instskip(SKIP_1) | instid1(VALU_DEP_2)
	v_subrev_nc_u32_e32 v150, 28, v147
	v_sub_nc_u32_e32 v147, 29, v147
	v_lshlrev_b64 v[150:151], v150, v[7:8]
	s_delay_alu instid0(VALU_DEP_1)
	v_and_b32_e32 v7, 7, v150
; %bb.261:                              ;   in Loop: Header=BB318_13 Depth=1
	s_or_b32 exec_lo, exec_lo, s23
	v_lshlrev_b32_e32 v149, 8, v149
	v_lshl_add_u32 v147, v147, 10, 0x2000
	s_delay_alu instid0(VALU_DEP_1) | instskip(NEXT) | instid1(VALU_DEP_1)
	v_and_or_b32 v147, 0x8000, v149, v147
	v_lshl_or_b32 v7, v7, 7, v147
	s_delay_alu instid0(VALU_DEP_1)
	v_cvt_f32_f16_e64 v147, v7
.LBB318_262:                            ;   in Loop: Header=BB318_13 Depth=1
	s_or_b32 exec_lo, exec_lo, s22
.LBB318_263:                            ;   in Loop: Header=BB318_13 Depth=1
	s_delay_alu instid0(SALU_CYCLE_1)
	s_or_b32 exec_lo, exec_lo, s21
.LBB318_264:                            ;   in Loop: Header=BB318_13 Depth=1
	s_delay_alu instid0(SALU_CYCLE_1) | instskip(NEXT) | instid1(SALU_CYCLE_1)
	s_or_b32 exec_lo, exec_lo, s20
	s_mov_b32 s20, exec_lo
	v_cmpx_lt_u32_e32 0xffffff, v148
	s_cbranch_execz .LBB318_272
; %bb.265:                              ;   in Loop: Header=BB318_13 Depth=1
	v_lshrrev_b32_e32 v148, 24, v148
	v_bfrev_b32_e32 v146, 1
	s_mov_b32 s21, exec_lo
	s_delay_alu instid0(VALU_DEP_2)
	v_cmpx_ne_u32_e32 0x80, v148
	s_cbranch_execz .LBB318_271
; %bb.266:                              ;   in Loop: Header=BB318_13 Depth=1
	v_and_b32_e32 v149, 0x7f, v148
	v_mov_b32_e32 v146, 0x7fc02000
	s_mov_b32 s22, exec_lo
	s_delay_alu instid0(VALU_DEP_2)
	v_cmpx_ne_u32_e32 0x7f, v149
	s_cbranch_execz .LBB318_270
; %bb.267:                              ;   in Loop: Header=BB318_13 Depth=1
	v_and_b32_e32 v7, 7, v148
	v_lshrrev_b32_e32 v146, 3, v149
	s_mov_b32 s23, exec_lo
	v_cmpx_gt_u32_e32 8, v149
; %bb.268:                              ;   in Loop: Header=BB318_13 Depth=1
	s_delay_alu instid0(VALU_DEP_3) | instskip(NEXT) | instid1(VALU_DEP_1)
	v_clz_i32_u32_e32 v146, v7
	v_min_u32_e32 v146, 32, v146
	s_delay_alu instid0(VALU_DEP_1) | instskip(SKIP_1) | instid1(VALU_DEP_2)
	v_subrev_nc_u32_e32 v149, 28, v146
	v_sub_nc_u32_e32 v146, 29, v146
	v_lshlrev_b64 v[149:150], v149, v[7:8]
	s_delay_alu instid0(VALU_DEP_1)
	v_and_b32_e32 v7, 7, v149
; %bb.269:                              ;   in Loop: Header=BB318_13 Depth=1
	s_or_b32 exec_lo, exec_lo, s23
	v_lshlrev_b32_e32 v148, 8, v148
	v_lshl_add_u32 v146, v146, 10, 0x2000
	s_delay_alu instid0(VALU_DEP_1) | instskip(NEXT) | instid1(VALU_DEP_1)
	v_and_or_b32 v146, 0x8000, v148, v146
	v_lshl_or_b32 v7, v7, 7, v146
	s_delay_alu instid0(VALU_DEP_1)
	v_cvt_f32_f16_e64 v146, v7
.LBB318_270:                            ;   in Loop: Header=BB318_13 Depth=1
	s_or_b32 exec_lo, exec_lo, s22
.LBB318_271:                            ;   in Loop: Header=BB318_13 Depth=1
	s_delay_alu instid0(SALU_CYCLE_1)
	s_or_b32 exec_lo, exec_lo, s21
.LBB318_272:                            ;   in Loop: Header=BB318_13 Depth=1
	s_delay_alu instid0(SALU_CYCLE_1)
	s_or_b32 exec_lo, exec_lo, s20
	flat_load_b32 v160, v[31:32] offset:1024
	v_mov_b32_e32 v149, 0
	s_mov_b32 s20, exec_lo
	s_waitcnt vmcnt(0) lgkmcnt(0)
	v_dual_mov_b32 v148, 0 :: v_dual_and_b32 v7, 0xff, v160
	s_delay_alu instid0(VALU_DEP_1)
	v_cmpx_ne_u16_e32 0, v7
	s_cbranch_execz .LBB318_280
; %bb.273:                              ;   in Loop: Header=BB318_13 Depth=1
	v_bfrev_b32_e32 v148, 1
	s_mov_b32 s21, exec_lo
	v_cmpx_ne_u16_e32 0x80, v7
	s_cbranch_execz .LBB318_279
; %bb.274:                              ;   in Loop: Header=BB318_13 Depth=1
	v_and_b32_e32 v150, 0x7f, v160
	v_mov_b32_e32 v148, 0x7fc02000
	s_mov_b32 s22, exec_lo
	s_delay_alu instid0(VALU_DEP_2)
	v_cmpx_ne_u32_e32 0x7f, v150
	s_cbranch_execz .LBB318_278
; %bb.275:                              ;   in Loop: Header=BB318_13 Depth=1
	v_and_b32_e32 v7, 7, v160
	v_lshrrev_b32_e32 v148, 3, v150
	s_mov_b32 s23, exec_lo
	v_cmpx_gt_u32_e32 8, v150
; %bb.276:                              ;   in Loop: Header=BB318_13 Depth=1
	s_delay_alu instid0(VALU_DEP_3) | instskip(NEXT) | instid1(VALU_DEP_1)
	v_clz_i32_u32_e32 v148, v7
	v_min_u32_e32 v148, 32, v148
	s_delay_alu instid0(VALU_DEP_1) | instskip(SKIP_1) | instid1(VALU_DEP_2)
	v_subrev_nc_u32_e32 v150, 28, v148
	v_sub_nc_u32_e32 v148, 29, v148
	v_lshlrev_b64 v[150:151], v150, v[7:8]
	s_delay_alu instid0(VALU_DEP_1)
	v_and_b32_e32 v7, 7, v150
; %bb.277:                              ;   in Loop: Header=BB318_13 Depth=1
	s_or_b32 exec_lo, exec_lo, s23
	v_lshlrev_b32_e32 v150, 8, v160
	v_lshl_add_u32 v148, v148, 10, 0x2000
	s_delay_alu instid0(VALU_DEP_1) | instskip(NEXT) | instid1(VALU_DEP_1)
	v_and_or_b32 v148, 0x8000, v150, v148
	v_lshl_or_b32 v7, v7, 7, v148
	s_delay_alu instid0(VALU_DEP_1)
	v_cvt_f32_f16_e64 v148, v7
.LBB318_278:                            ;   in Loop: Header=BB318_13 Depth=1
	s_or_b32 exec_lo, exec_lo, s22
.LBB318_279:                            ;   in Loop: Header=BB318_13 Depth=1
	s_delay_alu instid0(SALU_CYCLE_1)
	s_or_b32 exec_lo, exec_lo, s21
.LBB318_280:                            ;   in Loop: Header=BB318_13 Depth=1
	s_delay_alu instid0(SALU_CYCLE_1) | instskip(SKIP_2) | instid1(VALU_DEP_1)
	s_or_b32 exec_lo, exec_lo, s20
	v_lshrrev_b16 v7, 8, v160
	s_mov_b32 s20, exec_lo
	v_cmpx_ne_u16_e32 0, v7
	s_cbranch_execz .LBB318_288
; %bb.281:                              ;   in Loop: Header=BB318_13 Depth=1
	v_bfrev_b32_e32 v149, 1
	s_mov_b32 s21, exec_lo
	v_cmpx_ne_u16_e32 0x80, v7
	s_cbranch_execz .LBB318_287
; %bb.282:                              ;   in Loop: Header=BB318_13 Depth=1
	v_and_b32_e32 v150, 0xffff, v7
	v_mov_b32_e32 v149, 0x7fc02000
	s_mov_b32 s22, exec_lo
	s_delay_alu instid0(VALU_DEP_2) | instskip(NEXT) | instid1(VALU_DEP_1)
	v_and_b32_e32 v151, 0x7f, v150
	v_cmpx_ne_u32_e32 0x7f, v151
	s_cbranch_execz .LBB318_286
; %bb.283:                              ;   in Loop: Header=BB318_13 Depth=1
	v_and_b32_e32 v7, 7, v150
	v_lshrrev_b32_e32 v149, 3, v151
	s_mov_b32 s23, exec_lo
	v_cmpx_gt_u32_e32 8, v151
; %bb.284:                              ;   in Loop: Header=BB318_13 Depth=1
	s_delay_alu instid0(VALU_DEP_3) | instskip(NEXT) | instid1(VALU_DEP_1)
	v_clz_i32_u32_e32 v149, v7
	v_min_u32_e32 v149, 32, v149
	s_delay_alu instid0(VALU_DEP_1) | instskip(SKIP_1) | instid1(VALU_DEP_2)
	v_subrev_nc_u32_e32 v151, 28, v149
	v_sub_nc_u32_e32 v149, 29, v149
	v_lshlrev_b64 v[161:162], v151, v[7:8]
	s_delay_alu instid0(VALU_DEP_1)
	v_and_b32_e32 v7, 7, v161
; %bb.285:                              ;   in Loop: Header=BB318_13 Depth=1
	s_or_b32 exec_lo, exec_lo, s23
	v_lshlrev_b32_e32 v150, 8, v150
	v_lshl_add_u32 v149, v149, 10, 0x2000
	s_delay_alu instid0(VALU_DEP_1) | instskip(NEXT) | instid1(VALU_DEP_1)
	v_and_or_b32 v149, 0x8000, v150, v149
	v_lshl_or_b32 v7, v7, 7, v149
	s_delay_alu instid0(VALU_DEP_1)
	v_cvt_f32_f16_e64 v149, v7
.LBB318_286:                            ;   in Loop: Header=BB318_13 Depth=1
	s_or_b32 exec_lo, exec_lo, s22
.LBB318_287:                            ;   in Loop: Header=BB318_13 Depth=1
	s_delay_alu instid0(SALU_CYCLE_1)
	s_or_b32 exec_lo, exec_lo, s21
.LBB318_288:                            ;   in Loop: Header=BB318_13 Depth=1
	s_delay_alu instid0(SALU_CYCLE_1) | instskip(SKIP_3) | instid1(VALU_DEP_2)
	s_or_b32 exec_lo, exec_lo, s20
	v_lshrrev_b32_e32 v161, 16, v160
	v_mov_b32_e32 v151, 0
	s_mov_b32 s20, exec_lo
	v_dual_mov_b32 v150, 0 :: v_dual_and_b32 v7, 0xff, v161
	s_delay_alu instid0(VALU_DEP_1)
	v_cmpx_ne_u16_e32 0, v7
	s_cbranch_execz .LBB318_296
; %bb.289:                              ;   in Loop: Header=BB318_13 Depth=1
	v_bfrev_b32_e32 v151, 1
	s_mov_b32 s21, exec_lo
	v_cmpx_ne_u16_e32 0x80, v7
	s_cbranch_execz .LBB318_295
; %bb.290:                              ;   in Loop: Header=BB318_13 Depth=1
	v_bfe_u32 v162, v160, 16, 7
	v_mov_b32_e32 v151, 0x7fc02000
	s_mov_b32 s22, exec_lo
	s_delay_alu instid0(VALU_DEP_2)
	v_cmpx_ne_u32_e32 0x7f, v162
	s_cbranch_execz .LBB318_294
; %bb.291:                              ;   in Loop: Header=BB318_13 Depth=1
	v_and_b32_e32 v7, 7, v161
	v_lshrrev_b32_e32 v151, 3, v162
	s_mov_b32 s23, exec_lo
	v_cmpx_gt_u32_e32 8, v162
; %bb.292:                              ;   in Loop: Header=BB318_13 Depth=1
	s_delay_alu instid0(VALU_DEP_3) | instskip(NEXT) | instid1(VALU_DEP_1)
	v_clz_i32_u32_e32 v151, v7
	v_min_u32_e32 v151, 32, v151
	s_delay_alu instid0(VALU_DEP_1) | instskip(SKIP_1) | instid1(VALU_DEP_2)
	v_subrev_nc_u32_e32 v162, 28, v151
	v_sub_nc_u32_e32 v151, 29, v151
	v_lshlrev_b64 v[162:163], v162, v[7:8]
	s_delay_alu instid0(VALU_DEP_1)
	v_and_b32_e32 v7, 7, v162
; %bb.293:                              ;   in Loop: Header=BB318_13 Depth=1
	s_or_b32 exec_lo, exec_lo, s23
	v_lshlrev_b32_e32 v161, 8, v161
	v_lshl_add_u32 v151, v151, 10, 0x2000
	s_delay_alu instid0(VALU_DEP_1) | instskip(NEXT) | instid1(VALU_DEP_1)
	v_and_or_b32 v151, 0x8000, v161, v151
	v_lshl_or_b32 v7, v7, 7, v151
	s_delay_alu instid0(VALU_DEP_1)
	v_cvt_f32_f16_e64 v151, v7
.LBB318_294:                            ;   in Loop: Header=BB318_13 Depth=1
	s_or_b32 exec_lo, exec_lo, s22
.LBB318_295:                            ;   in Loop: Header=BB318_13 Depth=1
	s_delay_alu instid0(SALU_CYCLE_1)
	s_or_b32 exec_lo, exec_lo, s21
.LBB318_296:                            ;   in Loop: Header=BB318_13 Depth=1
	s_delay_alu instid0(SALU_CYCLE_1) | instskip(NEXT) | instid1(SALU_CYCLE_1)
	s_or_b32 exec_lo, exec_lo, s20
	s_mov_b32 s20, exec_lo
	v_cmpx_lt_u32_e32 0xffffff, v160
	s_cbranch_execz .LBB318_304
; %bb.297:                              ;   in Loop: Header=BB318_13 Depth=1
	v_lshrrev_b32_e32 v160, 24, v160
	v_bfrev_b32_e32 v150, 1
	s_mov_b32 s21, exec_lo
	s_delay_alu instid0(VALU_DEP_2)
	v_cmpx_ne_u32_e32 0x80, v160
	s_cbranch_execz .LBB318_303
; %bb.298:                              ;   in Loop: Header=BB318_13 Depth=1
	v_and_b32_e32 v161, 0x7f, v160
	v_mov_b32_e32 v150, 0x7fc02000
	s_mov_b32 s22, exec_lo
	s_delay_alu instid0(VALU_DEP_2)
	v_cmpx_ne_u32_e32 0x7f, v161
	s_cbranch_execz .LBB318_302
; %bb.299:                              ;   in Loop: Header=BB318_13 Depth=1
	v_and_b32_e32 v7, 7, v160
	v_lshrrev_b32_e32 v150, 3, v161
	s_mov_b32 s23, exec_lo
	v_cmpx_gt_u32_e32 8, v161
; %bb.300:                              ;   in Loop: Header=BB318_13 Depth=1
	s_delay_alu instid0(VALU_DEP_3) | instskip(NEXT) | instid1(VALU_DEP_1)
	v_clz_i32_u32_e32 v150, v7
	v_min_u32_e32 v150, 32, v150
	s_delay_alu instid0(VALU_DEP_1) | instskip(SKIP_1) | instid1(VALU_DEP_2)
	v_subrev_nc_u32_e32 v161, 28, v150
	v_sub_nc_u32_e32 v150, 29, v150
	v_lshlrev_b64 v[161:162], v161, v[7:8]
	s_delay_alu instid0(VALU_DEP_1)
	v_and_b32_e32 v7, 7, v161
; %bb.301:                              ;   in Loop: Header=BB318_13 Depth=1
	s_or_b32 exec_lo, exec_lo, s23
	v_lshlrev_b32_e32 v160, 8, v160
	v_lshl_add_u32 v150, v150, 10, 0x2000
	s_delay_alu instid0(VALU_DEP_1) | instskip(NEXT) | instid1(VALU_DEP_1)
	v_and_or_b32 v150, 0x8000, v160, v150
	v_lshl_or_b32 v7, v7, 7, v150
	s_delay_alu instid0(VALU_DEP_1)
	v_cvt_f32_f16_e64 v150, v7
.LBB318_302:                            ;   in Loop: Header=BB318_13 Depth=1
	s_or_b32 exec_lo, exec_lo, s22
.LBB318_303:                            ;   in Loop: Header=BB318_13 Depth=1
	s_delay_alu instid0(SALU_CYCLE_1)
	s_or_b32 exec_lo, exec_lo, s21
.LBB318_304:                            ;   in Loop: Header=BB318_13 Depth=1
	s_delay_alu instid0(SALU_CYCLE_1)
	s_or_b32 exec_lo, exec_lo, s20
	flat_load_b32 v164, v[31:32] offset:1032
	v_mov_b32_e32 v161, 0
	s_mov_b32 s20, exec_lo
	s_waitcnt vmcnt(0) lgkmcnt(0)
	v_dual_mov_b32 v160, 0 :: v_dual_and_b32 v7, 0xff, v164
	s_delay_alu instid0(VALU_DEP_1)
	v_cmpx_ne_u16_e32 0, v7
	s_cbranch_execz .LBB318_312
; %bb.305:                              ;   in Loop: Header=BB318_13 Depth=1
	v_bfrev_b32_e32 v160, 1
	s_mov_b32 s21, exec_lo
	v_cmpx_ne_u16_e32 0x80, v7
	s_cbranch_execz .LBB318_311
; %bb.306:                              ;   in Loop: Header=BB318_13 Depth=1
	v_and_b32_e32 v162, 0x7f, v164
	v_mov_b32_e32 v160, 0x7fc02000
	s_mov_b32 s22, exec_lo
	s_delay_alu instid0(VALU_DEP_2)
	v_cmpx_ne_u32_e32 0x7f, v162
	s_cbranch_execz .LBB318_310
; %bb.307:                              ;   in Loop: Header=BB318_13 Depth=1
	v_and_b32_e32 v7, 7, v164
	v_lshrrev_b32_e32 v160, 3, v162
	s_mov_b32 s23, exec_lo
	v_cmpx_gt_u32_e32 8, v162
; %bb.308:                              ;   in Loop: Header=BB318_13 Depth=1
	s_delay_alu instid0(VALU_DEP_3) | instskip(NEXT) | instid1(VALU_DEP_1)
	v_clz_i32_u32_e32 v160, v7
	v_min_u32_e32 v160, 32, v160
	s_delay_alu instid0(VALU_DEP_1) | instskip(SKIP_1) | instid1(VALU_DEP_2)
	v_subrev_nc_u32_e32 v162, 28, v160
	v_sub_nc_u32_e32 v160, 29, v160
	v_lshlrev_b64 v[162:163], v162, v[7:8]
	s_delay_alu instid0(VALU_DEP_1)
	v_and_b32_e32 v7, 7, v162
; %bb.309:                              ;   in Loop: Header=BB318_13 Depth=1
	s_or_b32 exec_lo, exec_lo, s23
	v_lshlrev_b32_e32 v162, 8, v164
	v_lshl_add_u32 v160, v160, 10, 0x2000
	s_delay_alu instid0(VALU_DEP_1) | instskip(NEXT) | instid1(VALU_DEP_1)
	v_and_or_b32 v160, 0x8000, v162, v160
	v_lshl_or_b32 v7, v7, 7, v160
	s_delay_alu instid0(VALU_DEP_1)
	v_cvt_f32_f16_e64 v160, v7
.LBB318_310:                            ;   in Loop: Header=BB318_13 Depth=1
	s_or_b32 exec_lo, exec_lo, s22
.LBB318_311:                            ;   in Loop: Header=BB318_13 Depth=1
	s_delay_alu instid0(SALU_CYCLE_1)
	s_or_b32 exec_lo, exec_lo, s21
.LBB318_312:                            ;   in Loop: Header=BB318_13 Depth=1
	s_delay_alu instid0(SALU_CYCLE_1) | instskip(SKIP_2) | instid1(VALU_DEP_1)
	s_or_b32 exec_lo, exec_lo, s20
	v_lshrrev_b16 v7, 8, v164
	s_mov_b32 s20, exec_lo
	v_cmpx_ne_u16_e32 0, v7
	s_cbranch_execz .LBB318_320
; %bb.313:                              ;   in Loop: Header=BB318_13 Depth=1
	v_bfrev_b32_e32 v161, 1
	s_mov_b32 s21, exec_lo
	v_cmpx_ne_u16_e32 0x80, v7
	s_cbranch_execz .LBB318_319
; %bb.314:                              ;   in Loop: Header=BB318_13 Depth=1
	v_and_b32_e32 v162, 0xffff, v7
	v_mov_b32_e32 v161, 0x7fc02000
	s_mov_b32 s22, exec_lo
	s_delay_alu instid0(VALU_DEP_2) | instskip(NEXT) | instid1(VALU_DEP_1)
	v_and_b32_e32 v163, 0x7f, v162
	v_cmpx_ne_u32_e32 0x7f, v163
	s_cbranch_execz .LBB318_318
; %bb.315:                              ;   in Loop: Header=BB318_13 Depth=1
	v_and_b32_e32 v7, 7, v162
	v_lshrrev_b32_e32 v161, 3, v163
	s_mov_b32 s23, exec_lo
	v_cmpx_gt_u32_e32 8, v163
; %bb.316:                              ;   in Loop: Header=BB318_13 Depth=1
	s_delay_alu instid0(VALU_DEP_3) | instskip(NEXT) | instid1(VALU_DEP_1)
	v_clz_i32_u32_e32 v161, v7
	v_min_u32_e32 v161, 32, v161
	s_delay_alu instid0(VALU_DEP_1) | instskip(SKIP_1) | instid1(VALU_DEP_2)
	v_subrev_nc_u32_e32 v163, 28, v161
	v_sub_nc_u32_e32 v161, 29, v161
	v_lshlrev_b64 v[165:166], v163, v[7:8]
	s_delay_alu instid0(VALU_DEP_1)
	v_and_b32_e32 v7, 7, v165
; %bb.317:                              ;   in Loop: Header=BB318_13 Depth=1
	s_or_b32 exec_lo, exec_lo, s23
	v_lshlrev_b32_e32 v162, 8, v162
	v_lshl_add_u32 v161, v161, 10, 0x2000
	s_delay_alu instid0(VALU_DEP_1) | instskip(NEXT) | instid1(VALU_DEP_1)
	v_and_or_b32 v161, 0x8000, v162, v161
	v_lshl_or_b32 v7, v7, 7, v161
	s_delay_alu instid0(VALU_DEP_1)
	v_cvt_f32_f16_e64 v161, v7
.LBB318_318:                            ;   in Loop: Header=BB318_13 Depth=1
	s_or_b32 exec_lo, exec_lo, s22
.LBB318_319:                            ;   in Loop: Header=BB318_13 Depth=1
	s_delay_alu instid0(SALU_CYCLE_1)
	s_or_b32 exec_lo, exec_lo, s21
.LBB318_320:                            ;   in Loop: Header=BB318_13 Depth=1
	s_delay_alu instid0(SALU_CYCLE_1) | instskip(SKIP_3) | instid1(VALU_DEP_2)
	s_or_b32 exec_lo, exec_lo, s20
	v_lshrrev_b32_e32 v165, 16, v164
	v_mov_b32_e32 v163, 0
	s_mov_b32 s20, exec_lo
	v_dual_mov_b32 v162, 0 :: v_dual_and_b32 v7, 0xff, v165
	s_delay_alu instid0(VALU_DEP_1)
	v_cmpx_ne_u16_e32 0, v7
	s_cbranch_execz .LBB318_328
; %bb.321:                              ;   in Loop: Header=BB318_13 Depth=1
	v_bfrev_b32_e32 v163, 1
	s_mov_b32 s21, exec_lo
	v_cmpx_ne_u16_e32 0x80, v7
	s_cbranch_execz .LBB318_327
; %bb.322:                              ;   in Loop: Header=BB318_13 Depth=1
	v_bfe_u32 v166, v164, 16, 7
	v_mov_b32_e32 v163, 0x7fc02000
	s_mov_b32 s22, exec_lo
	s_delay_alu instid0(VALU_DEP_2)
	v_cmpx_ne_u32_e32 0x7f, v166
	s_cbranch_execz .LBB318_326
; %bb.323:                              ;   in Loop: Header=BB318_13 Depth=1
	v_and_b32_e32 v7, 7, v165
	v_lshrrev_b32_e32 v163, 3, v166
	s_mov_b32 s23, exec_lo
	v_cmpx_gt_u32_e32 8, v166
; %bb.324:                              ;   in Loop: Header=BB318_13 Depth=1
	s_delay_alu instid0(VALU_DEP_3) | instskip(NEXT) | instid1(VALU_DEP_1)
	v_clz_i32_u32_e32 v163, v7
	v_min_u32_e32 v163, 32, v163
	s_delay_alu instid0(VALU_DEP_1) | instskip(SKIP_1) | instid1(VALU_DEP_2)
	v_subrev_nc_u32_e32 v166, 28, v163
	v_sub_nc_u32_e32 v163, 29, v163
	v_lshlrev_b64 v[166:167], v166, v[7:8]
	s_delay_alu instid0(VALU_DEP_1)
	v_and_b32_e32 v7, 7, v166
; %bb.325:                              ;   in Loop: Header=BB318_13 Depth=1
	s_or_b32 exec_lo, exec_lo, s23
	v_lshlrev_b32_e32 v165, 8, v165
	v_lshl_add_u32 v163, v163, 10, 0x2000
	s_delay_alu instid0(VALU_DEP_1) | instskip(NEXT) | instid1(VALU_DEP_1)
	v_and_or_b32 v163, 0x8000, v165, v163
	v_lshl_or_b32 v7, v7, 7, v163
	s_delay_alu instid0(VALU_DEP_1)
	v_cvt_f32_f16_e64 v163, v7
.LBB318_326:                            ;   in Loop: Header=BB318_13 Depth=1
	s_or_b32 exec_lo, exec_lo, s22
.LBB318_327:                            ;   in Loop: Header=BB318_13 Depth=1
	s_delay_alu instid0(SALU_CYCLE_1)
	s_or_b32 exec_lo, exec_lo, s21
.LBB318_328:                            ;   in Loop: Header=BB318_13 Depth=1
	s_delay_alu instid0(SALU_CYCLE_1) | instskip(NEXT) | instid1(SALU_CYCLE_1)
	s_or_b32 exec_lo, exec_lo, s20
	s_mov_b32 s20, exec_lo
	v_cmpx_lt_u32_e32 0xffffff, v164
	s_cbranch_execz .LBB318_336
; %bb.329:                              ;   in Loop: Header=BB318_13 Depth=1
	v_lshrrev_b32_e32 v164, 24, v164
	v_bfrev_b32_e32 v162, 1
	s_mov_b32 s21, exec_lo
	s_delay_alu instid0(VALU_DEP_2)
	v_cmpx_ne_u32_e32 0x80, v164
	s_cbranch_execz .LBB318_335
; %bb.330:                              ;   in Loop: Header=BB318_13 Depth=1
	v_and_b32_e32 v165, 0x7f, v164
	v_mov_b32_e32 v162, 0x7fc02000
	s_mov_b32 s22, exec_lo
	s_delay_alu instid0(VALU_DEP_2)
	v_cmpx_ne_u32_e32 0x7f, v165
	s_cbranch_execz .LBB318_334
; %bb.331:                              ;   in Loop: Header=BB318_13 Depth=1
	v_and_b32_e32 v7, 7, v164
	v_lshrrev_b32_e32 v162, 3, v165
	s_mov_b32 s23, exec_lo
	v_cmpx_gt_u32_e32 8, v165
; %bb.332:                              ;   in Loop: Header=BB318_13 Depth=1
	s_delay_alu instid0(VALU_DEP_3) | instskip(NEXT) | instid1(VALU_DEP_1)
	v_clz_i32_u32_e32 v162, v7
	v_min_u32_e32 v162, 32, v162
	s_delay_alu instid0(VALU_DEP_1) | instskip(SKIP_1) | instid1(VALU_DEP_2)
	v_subrev_nc_u32_e32 v165, 28, v162
	v_sub_nc_u32_e32 v162, 29, v162
	v_lshlrev_b64 v[165:166], v165, v[7:8]
	s_delay_alu instid0(VALU_DEP_1)
	v_and_b32_e32 v7, 7, v165
; %bb.333:                              ;   in Loop: Header=BB318_13 Depth=1
	s_or_b32 exec_lo, exec_lo, s23
	v_lshlrev_b32_e32 v164, 8, v164
	v_lshl_add_u32 v162, v162, 10, 0x2000
	s_delay_alu instid0(VALU_DEP_1) | instskip(NEXT) | instid1(VALU_DEP_1)
	v_and_or_b32 v162, 0x8000, v164, v162
	v_lshl_or_b32 v7, v7, 7, v162
	s_delay_alu instid0(VALU_DEP_1)
	v_cvt_f32_f16_e64 v162, v7
.LBB318_334:                            ;   in Loop: Header=BB318_13 Depth=1
	s_or_b32 exec_lo, exec_lo, s22
.LBB318_335:                            ;   in Loop: Header=BB318_13 Depth=1
	s_delay_alu instid0(SALU_CYCLE_1)
	s_or_b32 exec_lo, exec_lo, s21
.LBB318_336:                            ;   in Loop: Header=BB318_13 Depth=1
	s_delay_alu instid0(SALU_CYCLE_1)
	s_or_b32 exec_lo, exec_lo, s20
	flat_load_b32 v176, v[31:32] offset:1280
	v_mov_b32_e32 v165, 0
	s_mov_b32 s20, exec_lo
	s_waitcnt vmcnt(0) lgkmcnt(0)
	v_dual_mov_b32 v164, 0 :: v_dual_and_b32 v7, 0xff, v176
	s_delay_alu instid0(VALU_DEP_1)
	v_cmpx_ne_u16_e32 0, v7
	s_cbranch_execz .LBB318_344
; %bb.337:                              ;   in Loop: Header=BB318_13 Depth=1
	v_bfrev_b32_e32 v164, 1
	s_mov_b32 s21, exec_lo
	v_cmpx_ne_u16_e32 0x80, v7
	s_cbranch_execz .LBB318_343
; %bb.338:                              ;   in Loop: Header=BB318_13 Depth=1
	v_and_b32_e32 v166, 0x7f, v176
	v_mov_b32_e32 v164, 0x7fc02000
	s_mov_b32 s22, exec_lo
	s_delay_alu instid0(VALU_DEP_2)
	v_cmpx_ne_u32_e32 0x7f, v166
	s_cbranch_execz .LBB318_342
; %bb.339:                              ;   in Loop: Header=BB318_13 Depth=1
	v_and_b32_e32 v7, 7, v176
	v_lshrrev_b32_e32 v164, 3, v166
	s_mov_b32 s23, exec_lo
	v_cmpx_gt_u32_e32 8, v166
; %bb.340:                              ;   in Loop: Header=BB318_13 Depth=1
	s_delay_alu instid0(VALU_DEP_3) | instskip(NEXT) | instid1(VALU_DEP_1)
	v_clz_i32_u32_e32 v164, v7
	v_min_u32_e32 v164, 32, v164
	s_delay_alu instid0(VALU_DEP_1) | instskip(SKIP_1) | instid1(VALU_DEP_2)
	v_subrev_nc_u32_e32 v166, 28, v164
	v_sub_nc_u32_e32 v164, 29, v164
	v_lshlrev_b64 v[166:167], v166, v[7:8]
	s_delay_alu instid0(VALU_DEP_1)
	v_and_b32_e32 v7, 7, v166
; %bb.341:                              ;   in Loop: Header=BB318_13 Depth=1
	s_or_b32 exec_lo, exec_lo, s23
	v_lshlrev_b32_e32 v166, 8, v176
	v_lshl_add_u32 v164, v164, 10, 0x2000
	s_delay_alu instid0(VALU_DEP_1) | instskip(NEXT) | instid1(VALU_DEP_1)
	v_and_or_b32 v164, 0x8000, v166, v164
	v_lshl_or_b32 v7, v7, 7, v164
	s_delay_alu instid0(VALU_DEP_1)
	v_cvt_f32_f16_e64 v164, v7
.LBB318_342:                            ;   in Loop: Header=BB318_13 Depth=1
	s_or_b32 exec_lo, exec_lo, s22
.LBB318_343:                            ;   in Loop: Header=BB318_13 Depth=1
	s_delay_alu instid0(SALU_CYCLE_1)
	s_or_b32 exec_lo, exec_lo, s21
.LBB318_344:                            ;   in Loop: Header=BB318_13 Depth=1
	s_delay_alu instid0(SALU_CYCLE_1) | instskip(SKIP_2) | instid1(VALU_DEP_1)
	s_or_b32 exec_lo, exec_lo, s20
	v_lshrrev_b16 v7, 8, v176
	s_mov_b32 s20, exec_lo
	v_cmpx_ne_u16_e32 0, v7
	s_cbranch_execz .LBB318_352
; %bb.345:                              ;   in Loop: Header=BB318_13 Depth=1
	v_bfrev_b32_e32 v165, 1
	s_mov_b32 s21, exec_lo
	v_cmpx_ne_u16_e32 0x80, v7
	s_cbranch_execz .LBB318_351
; %bb.346:                              ;   in Loop: Header=BB318_13 Depth=1
	v_and_b32_e32 v166, 0xffff, v7
	v_mov_b32_e32 v165, 0x7fc02000
	s_mov_b32 s22, exec_lo
	s_delay_alu instid0(VALU_DEP_2) | instskip(NEXT) | instid1(VALU_DEP_1)
	v_and_b32_e32 v167, 0x7f, v166
	v_cmpx_ne_u32_e32 0x7f, v167
	s_cbranch_execz .LBB318_350
; %bb.347:                              ;   in Loop: Header=BB318_13 Depth=1
	v_and_b32_e32 v7, 7, v166
	v_lshrrev_b32_e32 v165, 3, v167
	s_mov_b32 s23, exec_lo
	v_cmpx_gt_u32_e32 8, v167
; %bb.348:                              ;   in Loop: Header=BB318_13 Depth=1
	s_delay_alu instid0(VALU_DEP_3) | instskip(NEXT) | instid1(VALU_DEP_1)
	v_clz_i32_u32_e32 v165, v7
	v_min_u32_e32 v165, 32, v165
	s_delay_alu instid0(VALU_DEP_1) | instskip(SKIP_1) | instid1(VALU_DEP_2)
	v_subrev_nc_u32_e32 v167, 28, v165
	v_sub_nc_u32_e32 v165, 29, v165
	v_lshlrev_b64 v[177:178], v167, v[7:8]
	s_delay_alu instid0(VALU_DEP_1)
	v_and_b32_e32 v7, 7, v177
; %bb.349:                              ;   in Loop: Header=BB318_13 Depth=1
	s_or_b32 exec_lo, exec_lo, s23
	v_lshlrev_b32_e32 v166, 8, v166
	v_lshl_add_u32 v165, v165, 10, 0x2000
	s_delay_alu instid0(VALU_DEP_1) | instskip(NEXT) | instid1(VALU_DEP_1)
	v_and_or_b32 v165, 0x8000, v166, v165
	v_lshl_or_b32 v7, v7, 7, v165
	s_delay_alu instid0(VALU_DEP_1)
	v_cvt_f32_f16_e64 v165, v7
.LBB318_350:                            ;   in Loop: Header=BB318_13 Depth=1
	s_or_b32 exec_lo, exec_lo, s22
.LBB318_351:                            ;   in Loop: Header=BB318_13 Depth=1
	s_delay_alu instid0(SALU_CYCLE_1)
	s_or_b32 exec_lo, exec_lo, s21
.LBB318_352:                            ;   in Loop: Header=BB318_13 Depth=1
	s_delay_alu instid0(SALU_CYCLE_1) | instskip(SKIP_3) | instid1(VALU_DEP_2)
	s_or_b32 exec_lo, exec_lo, s20
	v_lshrrev_b32_e32 v177, 16, v176
	v_mov_b32_e32 v167, 0
	s_mov_b32 s20, exec_lo
	v_dual_mov_b32 v166, 0 :: v_dual_and_b32 v7, 0xff, v177
	s_delay_alu instid0(VALU_DEP_1)
	v_cmpx_ne_u16_e32 0, v7
	s_cbranch_execz .LBB318_360
; %bb.353:                              ;   in Loop: Header=BB318_13 Depth=1
	v_bfrev_b32_e32 v167, 1
	s_mov_b32 s21, exec_lo
	v_cmpx_ne_u16_e32 0x80, v7
	s_cbranch_execz .LBB318_359
; %bb.354:                              ;   in Loop: Header=BB318_13 Depth=1
	v_bfe_u32 v178, v176, 16, 7
	v_mov_b32_e32 v167, 0x7fc02000
	s_mov_b32 s22, exec_lo
	s_delay_alu instid0(VALU_DEP_2)
	v_cmpx_ne_u32_e32 0x7f, v178
	s_cbranch_execz .LBB318_358
; %bb.355:                              ;   in Loop: Header=BB318_13 Depth=1
	v_and_b32_e32 v7, 7, v177
	v_lshrrev_b32_e32 v167, 3, v178
	s_mov_b32 s23, exec_lo
	v_cmpx_gt_u32_e32 8, v178
; %bb.356:                              ;   in Loop: Header=BB318_13 Depth=1
	s_delay_alu instid0(VALU_DEP_3) | instskip(NEXT) | instid1(VALU_DEP_1)
	v_clz_i32_u32_e32 v167, v7
	v_min_u32_e32 v167, 32, v167
	s_delay_alu instid0(VALU_DEP_1) | instskip(SKIP_1) | instid1(VALU_DEP_2)
	v_subrev_nc_u32_e32 v178, 28, v167
	v_sub_nc_u32_e32 v167, 29, v167
	v_lshlrev_b64 v[178:179], v178, v[7:8]
	s_delay_alu instid0(VALU_DEP_1)
	v_and_b32_e32 v7, 7, v178
; %bb.357:                              ;   in Loop: Header=BB318_13 Depth=1
	s_or_b32 exec_lo, exec_lo, s23
	v_lshlrev_b32_e32 v177, 8, v177
	v_lshl_add_u32 v167, v167, 10, 0x2000
	s_delay_alu instid0(VALU_DEP_1) | instskip(NEXT) | instid1(VALU_DEP_1)
	v_and_or_b32 v167, 0x8000, v177, v167
	v_lshl_or_b32 v7, v7, 7, v167
	s_delay_alu instid0(VALU_DEP_1)
	v_cvt_f32_f16_e64 v167, v7
.LBB318_358:                            ;   in Loop: Header=BB318_13 Depth=1
	s_or_b32 exec_lo, exec_lo, s22
.LBB318_359:                            ;   in Loop: Header=BB318_13 Depth=1
	s_delay_alu instid0(SALU_CYCLE_1)
	s_or_b32 exec_lo, exec_lo, s21
.LBB318_360:                            ;   in Loop: Header=BB318_13 Depth=1
	s_delay_alu instid0(SALU_CYCLE_1) | instskip(NEXT) | instid1(SALU_CYCLE_1)
	s_or_b32 exec_lo, exec_lo, s20
	s_mov_b32 s20, exec_lo
	v_cmpx_lt_u32_e32 0xffffff, v176
	s_cbranch_execz .LBB318_368
; %bb.361:                              ;   in Loop: Header=BB318_13 Depth=1
	v_lshrrev_b32_e32 v176, 24, v176
	v_bfrev_b32_e32 v166, 1
	s_mov_b32 s21, exec_lo
	s_delay_alu instid0(VALU_DEP_2)
	v_cmpx_ne_u32_e32 0x80, v176
	s_cbranch_execz .LBB318_367
; %bb.362:                              ;   in Loop: Header=BB318_13 Depth=1
	v_and_b32_e32 v177, 0x7f, v176
	v_mov_b32_e32 v166, 0x7fc02000
	s_mov_b32 s22, exec_lo
	s_delay_alu instid0(VALU_DEP_2)
	v_cmpx_ne_u32_e32 0x7f, v177
	s_cbranch_execz .LBB318_366
; %bb.363:                              ;   in Loop: Header=BB318_13 Depth=1
	v_and_b32_e32 v7, 7, v176
	v_lshrrev_b32_e32 v166, 3, v177
	s_mov_b32 s23, exec_lo
	v_cmpx_gt_u32_e32 8, v177
; %bb.364:                              ;   in Loop: Header=BB318_13 Depth=1
	s_delay_alu instid0(VALU_DEP_3) | instskip(NEXT) | instid1(VALU_DEP_1)
	v_clz_i32_u32_e32 v166, v7
	v_min_u32_e32 v166, 32, v166
	s_delay_alu instid0(VALU_DEP_1) | instskip(SKIP_1) | instid1(VALU_DEP_2)
	v_subrev_nc_u32_e32 v177, 28, v166
	v_sub_nc_u32_e32 v166, 29, v166
	v_lshlrev_b64 v[177:178], v177, v[7:8]
	s_delay_alu instid0(VALU_DEP_1)
	v_and_b32_e32 v7, 7, v177
; %bb.365:                              ;   in Loop: Header=BB318_13 Depth=1
	s_or_b32 exec_lo, exec_lo, s23
	v_lshlrev_b32_e32 v176, 8, v176
	v_lshl_add_u32 v166, v166, 10, 0x2000
	s_delay_alu instid0(VALU_DEP_1) | instskip(NEXT) | instid1(VALU_DEP_1)
	v_and_or_b32 v166, 0x8000, v176, v166
	v_lshl_or_b32 v7, v7, 7, v166
	s_delay_alu instid0(VALU_DEP_1)
	v_cvt_f32_f16_e64 v166, v7
.LBB318_366:                            ;   in Loop: Header=BB318_13 Depth=1
	s_or_b32 exec_lo, exec_lo, s22
.LBB318_367:                            ;   in Loop: Header=BB318_13 Depth=1
	s_delay_alu instid0(SALU_CYCLE_1)
	s_or_b32 exec_lo, exec_lo, s21
.LBB318_368:                            ;   in Loop: Header=BB318_13 Depth=1
	s_delay_alu instid0(SALU_CYCLE_1)
	s_or_b32 exec_lo, exec_lo, s20
	flat_load_b32 v180, v[31:32] offset:1288
	v_mov_b32_e32 v177, 0
	s_mov_b32 s20, exec_lo
	s_waitcnt vmcnt(0) lgkmcnt(0)
	v_dual_mov_b32 v176, 0 :: v_dual_and_b32 v7, 0xff, v180
	s_delay_alu instid0(VALU_DEP_1)
	v_cmpx_ne_u16_e32 0, v7
	s_cbranch_execz .LBB318_376
; %bb.369:                              ;   in Loop: Header=BB318_13 Depth=1
	v_bfrev_b32_e32 v176, 1
	s_mov_b32 s21, exec_lo
	v_cmpx_ne_u16_e32 0x80, v7
	s_cbranch_execz .LBB318_375
; %bb.370:                              ;   in Loop: Header=BB318_13 Depth=1
	v_and_b32_e32 v178, 0x7f, v180
	v_mov_b32_e32 v176, 0x7fc02000
	s_mov_b32 s22, exec_lo
	s_delay_alu instid0(VALU_DEP_2)
	v_cmpx_ne_u32_e32 0x7f, v178
	s_cbranch_execz .LBB318_374
; %bb.371:                              ;   in Loop: Header=BB318_13 Depth=1
	v_and_b32_e32 v7, 7, v180
	v_lshrrev_b32_e32 v176, 3, v178
	s_mov_b32 s23, exec_lo
	v_cmpx_gt_u32_e32 8, v178
; %bb.372:                              ;   in Loop: Header=BB318_13 Depth=1
	s_delay_alu instid0(VALU_DEP_3) | instskip(NEXT) | instid1(VALU_DEP_1)
	v_clz_i32_u32_e32 v176, v7
	v_min_u32_e32 v176, 32, v176
	s_delay_alu instid0(VALU_DEP_1) | instskip(SKIP_1) | instid1(VALU_DEP_2)
	v_subrev_nc_u32_e32 v178, 28, v176
	v_sub_nc_u32_e32 v176, 29, v176
	v_lshlrev_b64 v[178:179], v178, v[7:8]
	s_delay_alu instid0(VALU_DEP_1)
	v_and_b32_e32 v7, 7, v178
; %bb.373:                              ;   in Loop: Header=BB318_13 Depth=1
	s_or_b32 exec_lo, exec_lo, s23
	v_lshlrev_b32_e32 v178, 8, v180
	v_lshl_add_u32 v176, v176, 10, 0x2000
	s_delay_alu instid0(VALU_DEP_1) | instskip(NEXT) | instid1(VALU_DEP_1)
	v_and_or_b32 v176, 0x8000, v178, v176
	v_lshl_or_b32 v7, v7, 7, v176
	s_delay_alu instid0(VALU_DEP_1)
	v_cvt_f32_f16_e64 v176, v7
.LBB318_374:                            ;   in Loop: Header=BB318_13 Depth=1
	s_or_b32 exec_lo, exec_lo, s22
.LBB318_375:                            ;   in Loop: Header=BB318_13 Depth=1
	s_delay_alu instid0(SALU_CYCLE_1)
	s_or_b32 exec_lo, exec_lo, s21
.LBB318_376:                            ;   in Loop: Header=BB318_13 Depth=1
	s_delay_alu instid0(SALU_CYCLE_1) | instskip(SKIP_2) | instid1(VALU_DEP_1)
	s_or_b32 exec_lo, exec_lo, s20
	v_lshrrev_b16 v7, 8, v180
	s_mov_b32 s20, exec_lo
	v_cmpx_ne_u16_e32 0, v7
	s_cbranch_execz .LBB318_384
; %bb.377:                              ;   in Loop: Header=BB318_13 Depth=1
	v_bfrev_b32_e32 v177, 1
	s_mov_b32 s21, exec_lo
	v_cmpx_ne_u16_e32 0x80, v7
	s_cbranch_execz .LBB318_383
; %bb.378:                              ;   in Loop: Header=BB318_13 Depth=1
	v_and_b32_e32 v178, 0xffff, v7
	v_mov_b32_e32 v177, 0x7fc02000
	s_mov_b32 s22, exec_lo
	s_delay_alu instid0(VALU_DEP_2) | instskip(NEXT) | instid1(VALU_DEP_1)
	v_and_b32_e32 v179, 0x7f, v178
	v_cmpx_ne_u32_e32 0x7f, v179
	s_cbranch_execz .LBB318_382
; %bb.379:                              ;   in Loop: Header=BB318_13 Depth=1
	v_and_b32_e32 v7, 7, v178
	v_lshrrev_b32_e32 v177, 3, v179
	s_mov_b32 s23, exec_lo
	v_cmpx_gt_u32_e32 8, v179
; %bb.380:                              ;   in Loop: Header=BB318_13 Depth=1
	s_delay_alu instid0(VALU_DEP_3) | instskip(NEXT) | instid1(VALU_DEP_1)
	v_clz_i32_u32_e32 v177, v7
	v_min_u32_e32 v177, 32, v177
	s_delay_alu instid0(VALU_DEP_1) | instskip(SKIP_1) | instid1(VALU_DEP_2)
	v_subrev_nc_u32_e32 v179, 28, v177
	v_sub_nc_u32_e32 v177, 29, v177
	v_lshlrev_b64 v[181:182], v179, v[7:8]
	s_delay_alu instid0(VALU_DEP_1)
	v_and_b32_e32 v7, 7, v181
; %bb.381:                              ;   in Loop: Header=BB318_13 Depth=1
	s_or_b32 exec_lo, exec_lo, s23
	v_lshlrev_b32_e32 v178, 8, v178
	v_lshl_add_u32 v177, v177, 10, 0x2000
	s_delay_alu instid0(VALU_DEP_1) | instskip(NEXT) | instid1(VALU_DEP_1)
	v_and_or_b32 v177, 0x8000, v178, v177
	v_lshl_or_b32 v7, v7, 7, v177
	s_delay_alu instid0(VALU_DEP_1)
	v_cvt_f32_f16_e64 v177, v7
.LBB318_382:                            ;   in Loop: Header=BB318_13 Depth=1
	s_or_b32 exec_lo, exec_lo, s22
.LBB318_383:                            ;   in Loop: Header=BB318_13 Depth=1
	s_delay_alu instid0(SALU_CYCLE_1)
	s_or_b32 exec_lo, exec_lo, s21
.LBB318_384:                            ;   in Loop: Header=BB318_13 Depth=1
	s_delay_alu instid0(SALU_CYCLE_1) | instskip(SKIP_3) | instid1(VALU_DEP_2)
	s_or_b32 exec_lo, exec_lo, s20
	v_lshrrev_b32_e32 v181, 16, v180
	v_mov_b32_e32 v179, 0
	s_mov_b32 s20, exec_lo
	v_dual_mov_b32 v178, 0 :: v_dual_and_b32 v7, 0xff, v181
	s_delay_alu instid0(VALU_DEP_1)
	v_cmpx_ne_u16_e32 0, v7
	s_cbranch_execz .LBB318_392
; %bb.385:                              ;   in Loop: Header=BB318_13 Depth=1
	v_bfrev_b32_e32 v179, 1
	s_mov_b32 s21, exec_lo
	v_cmpx_ne_u16_e32 0x80, v7
	s_cbranch_execz .LBB318_391
; %bb.386:                              ;   in Loop: Header=BB318_13 Depth=1
	v_bfe_u32 v182, v180, 16, 7
	v_mov_b32_e32 v179, 0x7fc02000
	s_mov_b32 s22, exec_lo
	s_delay_alu instid0(VALU_DEP_2)
	v_cmpx_ne_u32_e32 0x7f, v182
	s_cbranch_execz .LBB318_390
; %bb.387:                              ;   in Loop: Header=BB318_13 Depth=1
	v_and_b32_e32 v7, 7, v181
	v_lshrrev_b32_e32 v179, 3, v182
	s_mov_b32 s23, exec_lo
	v_cmpx_gt_u32_e32 8, v182
; %bb.388:                              ;   in Loop: Header=BB318_13 Depth=1
	s_delay_alu instid0(VALU_DEP_3) | instskip(NEXT) | instid1(VALU_DEP_1)
	v_clz_i32_u32_e32 v179, v7
	v_min_u32_e32 v179, 32, v179
	s_delay_alu instid0(VALU_DEP_1) | instskip(SKIP_1) | instid1(VALU_DEP_2)
	v_subrev_nc_u32_e32 v182, 28, v179
	v_sub_nc_u32_e32 v179, 29, v179
	v_lshlrev_b64 v[182:183], v182, v[7:8]
	s_delay_alu instid0(VALU_DEP_1)
	v_and_b32_e32 v7, 7, v182
; %bb.389:                              ;   in Loop: Header=BB318_13 Depth=1
	s_or_b32 exec_lo, exec_lo, s23
	v_lshlrev_b32_e32 v181, 8, v181
	v_lshl_add_u32 v179, v179, 10, 0x2000
	s_delay_alu instid0(VALU_DEP_1) | instskip(NEXT) | instid1(VALU_DEP_1)
	v_and_or_b32 v179, 0x8000, v181, v179
	v_lshl_or_b32 v7, v7, 7, v179
	s_delay_alu instid0(VALU_DEP_1)
	v_cvt_f32_f16_e64 v179, v7
.LBB318_390:                            ;   in Loop: Header=BB318_13 Depth=1
	s_or_b32 exec_lo, exec_lo, s22
.LBB318_391:                            ;   in Loop: Header=BB318_13 Depth=1
	s_delay_alu instid0(SALU_CYCLE_1)
	s_or_b32 exec_lo, exec_lo, s21
.LBB318_392:                            ;   in Loop: Header=BB318_13 Depth=1
	s_delay_alu instid0(SALU_CYCLE_1) | instskip(NEXT) | instid1(SALU_CYCLE_1)
	s_or_b32 exec_lo, exec_lo, s20
	s_mov_b32 s20, exec_lo
	v_cmpx_lt_u32_e32 0xffffff, v180
	s_cbranch_execz .LBB318_400
; %bb.393:                              ;   in Loop: Header=BB318_13 Depth=1
	v_lshrrev_b32_e32 v180, 24, v180
	v_bfrev_b32_e32 v178, 1
	s_mov_b32 s21, exec_lo
	s_delay_alu instid0(VALU_DEP_2)
	v_cmpx_ne_u32_e32 0x80, v180
	s_cbranch_execz .LBB318_399
; %bb.394:                              ;   in Loop: Header=BB318_13 Depth=1
	v_and_b32_e32 v181, 0x7f, v180
	v_mov_b32_e32 v178, 0x7fc02000
	s_mov_b32 s22, exec_lo
	s_delay_alu instid0(VALU_DEP_2)
	v_cmpx_ne_u32_e32 0x7f, v181
	s_cbranch_execz .LBB318_398
; %bb.395:                              ;   in Loop: Header=BB318_13 Depth=1
	v_and_b32_e32 v7, 7, v180
	v_lshrrev_b32_e32 v178, 3, v181
	s_mov_b32 s23, exec_lo
	v_cmpx_gt_u32_e32 8, v181
; %bb.396:                              ;   in Loop: Header=BB318_13 Depth=1
	s_delay_alu instid0(VALU_DEP_3) | instskip(NEXT) | instid1(VALU_DEP_1)
	v_clz_i32_u32_e32 v178, v7
	v_min_u32_e32 v178, 32, v178
	s_delay_alu instid0(VALU_DEP_1) | instskip(SKIP_1) | instid1(VALU_DEP_2)
	v_subrev_nc_u32_e32 v181, 28, v178
	v_sub_nc_u32_e32 v178, 29, v178
	v_lshlrev_b64 v[181:182], v181, v[7:8]
	s_delay_alu instid0(VALU_DEP_1)
	v_and_b32_e32 v7, 7, v181
; %bb.397:                              ;   in Loop: Header=BB318_13 Depth=1
	s_or_b32 exec_lo, exec_lo, s23
	v_lshlrev_b32_e32 v180, 8, v180
	v_lshl_add_u32 v178, v178, 10, 0x2000
	s_delay_alu instid0(VALU_DEP_1) | instskip(NEXT) | instid1(VALU_DEP_1)
	v_and_or_b32 v178, 0x8000, v180, v178
	v_lshl_or_b32 v7, v7, 7, v178
	s_delay_alu instid0(VALU_DEP_1)
	v_cvt_f32_f16_e64 v178, v7
.LBB318_398:                            ;   in Loop: Header=BB318_13 Depth=1
	s_or_b32 exec_lo, exec_lo, s22
.LBB318_399:                            ;   in Loop: Header=BB318_13 Depth=1
	s_delay_alu instid0(SALU_CYCLE_1)
	s_or_b32 exec_lo, exec_lo, s21
.LBB318_400:                            ;   in Loop: Header=BB318_13 Depth=1
	s_delay_alu instid0(SALU_CYCLE_1)
	s_or_b32 exec_lo, exec_lo, s20
	flat_load_b32 v180, v[31:32] offset:1536
	v_mov_b32_e32 v181, 0
	s_mov_b32 s20, exec_lo
	s_waitcnt vmcnt(0) lgkmcnt(0)
	v_dual_mov_b32 v182, 0 :: v_dual_and_b32 v7, 0xff, v180
	s_delay_alu instid0(VALU_DEP_1)
	v_cmpx_ne_u16_e32 0, v7
	s_cbranch_execz .LBB318_408
; %bb.401:                              ;   in Loop: Header=BB318_13 Depth=1
	v_bfrev_b32_e32 v181, 1
	s_mov_b32 s21, exec_lo
	v_cmpx_ne_u16_e32 0x80, v7
	s_cbranch_execz .LBB318_407
; %bb.402:                              ;   in Loop: Header=BB318_13 Depth=1
	v_and_b32_e32 v183, 0x7f, v180
	v_mov_b32_e32 v181, 0x7fc02000
	s_mov_b32 s22, exec_lo
	s_delay_alu instid0(VALU_DEP_2)
	v_cmpx_ne_u32_e32 0x7f, v183
	s_cbranch_execz .LBB318_406
; %bb.403:                              ;   in Loop: Header=BB318_13 Depth=1
	v_and_b32_e32 v7, 7, v180
	v_lshrrev_b32_e32 v181, 3, v183
	s_mov_b32 s23, exec_lo
	v_cmpx_gt_u32_e32 8, v183
; %bb.404:                              ;   in Loop: Header=BB318_13 Depth=1
	s_delay_alu instid0(VALU_DEP_3) | instskip(NEXT) | instid1(VALU_DEP_1)
	v_clz_i32_u32_e32 v181, v7
	v_min_u32_e32 v181, 32, v181
	s_delay_alu instid0(VALU_DEP_1) | instskip(SKIP_1) | instid1(VALU_DEP_2)
	v_subrev_nc_u32_e32 v183, 28, v181
	v_sub_nc_u32_e32 v181, 29, v181
	v_lshlrev_b64 v[40:41], v183, v[7:8]
	s_delay_alu instid0(VALU_DEP_1)
	v_and_b32_e32 v7, 7, v40
; %bb.405:                              ;   in Loop: Header=BB318_13 Depth=1
	s_or_b32 exec_lo, exec_lo, s23
	v_lshlrev_b32_e32 v183, 8, v180
	v_lshl_add_u32 v181, v181, 10, 0x2000
	s_delay_alu instid0(VALU_DEP_1) | instskip(NEXT) | instid1(VALU_DEP_1)
	v_and_or_b32 v181, 0x8000, v183, v181
	v_lshl_or_b32 v7, v7, 7, v181
	s_delay_alu instid0(VALU_DEP_1)
	v_cvt_f32_f16_e64 v181, v7
.LBB318_406:                            ;   in Loop: Header=BB318_13 Depth=1
	s_or_b32 exec_lo, exec_lo, s22
.LBB318_407:                            ;   in Loop: Header=BB318_13 Depth=1
	s_delay_alu instid0(SALU_CYCLE_1)
	s_or_b32 exec_lo, exec_lo, s21
.LBB318_408:                            ;   in Loop: Header=BB318_13 Depth=1
	s_delay_alu instid0(SALU_CYCLE_1) | instskip(SKIP_2) | instid1(VALU_DEP_1)
	s_or_b32 exec_lo, exec_lo, s20
	v_lshrrev_b16 v7, 8, v180
	s_mov_b32 s20, exec_lo
	v_cmpx_ne_u16_e32 0, v7
	s_cbranch_execz .LBB318_416
; %bb.409:                              ;   in Loop: Header=BB318_13 Depth=1
	v_bfrev_b32_e32 v182, 1
	s_mov_b32 s21, exec_lo
	v_cmpx_ne_u16_e32 0x80, v7
	s_cbranch_execz .LBB318_415
; %bb.410:                              ;   in Loop: Header=BB318_13 Depth=1
	v_and_b32_e32 v183, 0xffff, v7
	v_mov_b32_e32 v182, 0x7fc02000
	s_mov_b32 s22, exec_lo
	s_delay_alu instid0(VALU_DEP_2) | instskip(NEXT) | instid1(VALU_DEP_1)
	v_and_b32_e32 v40, 0x7f, v183
	v_cmpx_ne_u32_e32 0x7f, v40
	s_cbranch_execz .LBB318_414
; %bb.411:                              ;   in Loop: Header=BB318_13 Depth=1
	v_and_b32_e32 v7, 7, v183
	v_lshrrev_b32_e32 v182, 3, v40
	s_mov_b32 s23, exec_lo
	v_cmpx_gt_u32_e32 8, v40
; %bb.412:                              ;   in Loop: Header=BB318_13 Depth=1
	s_delay_alu instid0(VALU_DEP_3) | instskip(NEXT) | instid1(VALU_DEP_1)
	v_clz_i32_u32_e32 v182, v7
	v_min_u32_e32 v182, 32, v182
	s_delay_alu instid0(VALU_DEP_1) | instskip(SKIP_1) | instid1(VALU_DEP_2)
	v_subrev_nc_u32_e32 v40, 28, v182
	v_sub_nc_u32_e32 v182, 29, v182
	v_lshlrev_b64 v[40:41], v40, v[7:8]
	s_delay_alu instid0(VALU_DEP_1)
	v_and_b32_e32 v7, 7, v40
; %bb.413:                              ;   in Loop: Header=BB318_13 Depth=1
	s_or_b32 exec_lo, exec_lo, s23
	v_lshlrev_b32_e32 v183, 8, v183
	v_lshl_add_u32 v182, v182, 10, 0x2000
	s_delay_alu instid0(VALU_DEP_1) | instskip(NEXT) | instid1(VALU_DEP_1)
	v_and_or_b32 v182, 0x8000, v183, v182
	v_lshl_or_b32 v7, v7, 7, v182
	s_delay_alu instid0(VALU_DEP_1)
	v_cvt_f32_f16_e64 v182, v7
.LBB318_414:                            ;   in Loop: Header=BB318_13 Depth=1
	s_or_b32 exec_lo, exec_lo, s22
.LBB318_415:                            ;   in Loop: Header=BB318_13 Depth=1
	s_delay_alu instid0(SALU_CYCLE_1)
	s_or_b32 exec_lo, exec_lo, s21
.LBB318_416:                            ;   in Loop: Header=BB318_13 Depth=1
	s_delay_alu instid0(SALU_CYCLE_1) | instskip(SKIP_3) | instid1(VALU_DEP_2)
	s_or_b32 exec_lo, exec_lo, s20
	v_lshrrev_b32_e32 v183, 16, v180
	v_mov_b32_e32 v43, 0
	s_mov_b32 s20, exec_lo
	v_dual_mov_b32 v44, 0 :: v_dual_and_b32 v7, 0xff, v183
	s_delay_alu instid0(VALU_DEP_1)
	v_cmpx_ne_u16_e32 0, v7
	s_cbranch_execz .LBB318_424
; %bb.417:                              ;   in Loop: Header=BB318_13 Depth=1
	v_bfrev_b32_e32 v44, 1
	s_mov_b32 s21, exec_lo
	v_cmpx_ne_u16_e32 0x80, v7
	s_cbranch_execz .LBB318_423
; %bb.418:                              ;   in Loop: Header=BB318_13 Depth=1
	v_bfe_u32 v41, v180, 16, 7
	v_mov_b32_e32 v44, 0x7fc02000
	s_mov_b32 s22, exec_lo
	s_delay_alu instid0(VALU_DEP_2)
	v_cmpx_ne_u32_e32 0x7f, v41
	s_cbranch_execz .LBB318_422
; %bb.419:                              ;   in Loop: Header=BB318_13 Depth=1
	v_and_b32_e32 v7, 7, v183
	v_lshrrev_b32_e32 v40, 3, v41
	s_mov_b32 s23, exec_lo
	v_cmpx_gt_u32_e32 8, v41
; %bb.420:                              ;   in Loop: Header=BB318_13 Depth=1
	s_delay_alu instid0(VALU_DEP_3) | instskip(NEXT) | instid1(VALU_DEP_1)
	v_clz_i32_u32_e32 v40, v7
	v_min_u32_e32 v40, 32, v40
	s_delay_alu instid0(VALU_DEP_1) | instskip(SKIP_1) | instid1(VALU_DEP_2)
	v_subrev_nc_u32_e32 v41, 28, v40
	v_sub_nc_u32_e32 v40, 29, v40
	v_lshlrev_b64 v[41:42], v41, v[7:8]
	s_delay_alu instid0(VALU_DEP_1)
	v_and_b32_e32 v7, 7, v41
; %bb.421:                              ;   in Loop: Header=BB318_13 Depth=1
	s_or_b32 exec_lo, exec_lo, s23
	v_lshlrev_b32_e32 v183, 8, v183
	v_lshl_add_u32 v40, v40, 10, 0x2000
	s_delay_alu instid0(VALU_DEP_1) | instskip(NEXT) | instid1(VALU_DEP_1)
	v_and_or_b32 v183, 0x8000, v183, v40
	v_lshl_or_b32 v7, v7, 7, v183
	s_delay_alu instid0(VALU_DEP_1)
	v_cvt_f32_f16_e32 v44, v7
.LBB318_422:                            ;   in Loop: Header=BB318_13 Depth=1
	s_or_b32 exec_lo, exec_lo, s22
.LBB318_423:                            ;   in Loop: Header=BB318_13 Depth=1
	s_delay_alu instid0(SALU_CYCLE_1)
	s_or_b32 exec_lo, exec_lo, s21
.LBB318_424:                            ;   in Loop: Header=BB318_13 Depth=1
	s_delay_alu instid0(SALU_CYCLE_1) | instskip(NEXT) | instid1(SALU_CYCLE_1)
	s_or_b32 exec_lo, exec_lo, s20
	s_mov_b32 s20, exec_lo
	v_cmpx_lt_u32_e32 0xffffff, v180
	s_cbranch_execz .LBB318_432
; %bb.425:                              ;   in Loop: Header=BB318_13 Depth=1
	v_lshrrev_b32_e32 v180, 24, v180
	v_bfrev_b32_e32 v43, 1
	s_mov_b32 s21, exec_lo
	s_delay_alu instid0(VALU_DEP_2)
	v_cmpx_ne_u32_e32 0x80, v180
	s_cbranch_execz .LBB318_431
; %bb.426:                              ;   in Loop: Header=BB318_13 Depth=1
	v_and_b32_e32 v40, 0x7f, v180
	v_mov_b32_e32 v43, 0x7fc02000
	s_mov_b32 s22, exec_lo
	s_delay_alu instid0(VALU_DEP_2)
	v_cmpx_ne_u32_e32 0x7f, v40
	s_cbranch_execz .LBB318_430
; %bb.427:                              ;   in Loop: Header=BB318_13 Depth=1
	v_and_b32_e32 v7, 7, v180
	v_lshrrev_b32_e32 v183, 3, v40
	s_mov_b32 s23, exec_lo
	v_cmpx_gt_u32_e32 8, v40
; %bb.428:                              ;   in Loop: Header=BB318_13 Depth=1
	s_delay_alu instid0(VALU_DEP_3) | instskip(NEXT) | instid1(VALU_DEP_1)
	v_clz_i32_u32_e32 v183, v7
	v_min_u32_e32 v183, 32, v183
	s_delay_alu instid0(VALU_DEP_1) | instskip(SKIP_1) | instid1(VALU_DEP_2)
	v_subrev_nc_u32_e32 v40, 28, v183
	v_sub_nc_u32_e32 v183, 29, v183
	v_lshlrev_b64 v[40:41], v40, v[7:8]
	s_delay_alu instid0(VALU_DEP_1)
	v_and_b32_e32 v7, 7, v40
; %bb.429:                              ;   in Loop: Header=BB318_13 Depth=1
	s_or_b32 exec_lo, exec_lo, s23
	v_lshlrev_b32_e32 v180, 8, v180
	v_lshl_add_u32 v183, v183, 10, 0x2000
	s_delay_alu instid0(VALU_DEP_1) | instskip(NEXT) | instid1(VALU_DEP_1)
	v_and_or_b32 v180, 0x8000, v180, v183
	v_lshl_or_b32 v7, v7, 7, v180
	s_delay_alu instid0(VALU_DEP_1)
	v_cvt_f32_f16_e32 v43, v7
.LBB318_430:                            ;   in Loop: Header=BB318_13 Depth=1
	s_or_b32 exec_lo, exec_lo, s22
.LBB318_431:                            ;   in Loop: Header=BB318_13 Depth=1
	s_delay_alu instid0(SALU_CYCLE_1)
	s_or_b32 exec_lo, exec_lo, s21
.LBB318_432:                            ;   in Loop: Header=BB318_13 Depth=1
	s_delay_alu instid0(SALU_CYCLE_1)
	s_or_b32 exec_lo, exec_lo, s20
	flat_load_b32 v40, v[31:32] offset:1544
	v_mov_b32_e32 v183, 0
	s_mov_b32 s20, exec_lo
	s_waitcnt vmcnt(0) lgkmcnt(0)
	v_dual_mov_b32 v180, 0 :: v_dual_and_b32 v7, 0xff, v40
	s_delay_alu instid0(VALU_DEP_1)
	v_cmpx_ne_u16_e32 0, v7
	s_cbranch_execz .LBB318_440
; %bb.433:                              ;   in Loop: Header=BB318_13 Depth=1
	v_bfrev_b32_e32 v180, 1
	s_mov_b32 s21, exec_lo
	v_cmpx_ne_u16_e32 0x80, v7
	s_cbranch_execz .LBB318_439
; %bb.434:                              ;   in Loop: Header=BB318_13 Depth=1
	v_and_b32_e32 v41, 0x7f, v40
	v_mov_b32_e32 v180, 0x7fc02000
	s_mov_b32 s22, exec_lo
	s_delay_alu instid0(VALU_DEP_2)
	v_cmpx_ne_u32_e32 0x7f, v41
	s_cbranch_execz .LBB318_438
; %bb.435:                              ;   in Loop: Header=BB318_13 Depth=1
	v_and_b32_e32 v7, 7, v40
	v_lshrrev_b32_e32 v180, 3, v41
	s_mov_b32 s23, exec_lo
	v_cmpx_gt_u32_e32 8, v41
; %bb.436:                              ;   in Loop: Header=BB318_13 Depth=1
	s_delay_alu instid0(VALU_DEP_3) | instskip(NEXT) | instid1(VALU_DEP_1)
	v_clz_i32_u32_e32 v180, v7
	v_min_u32_e32 v180, 32, v180
	s_delay_alu instid0(VALU_DEP_1) | instskip(SKIP_1) | instid1(VALU_DEP_2)
	v_subrev_nc_u32_e32 v41, 28, v180
	v_sub_nc_u32_e32 v180, 29, v180
	v_lshlrev_b64 v[41:42], v41, v[7:8]
	s_delay_alu instid0(VALU_DEP_1)
	v_and_b32_e32 v7, 7, v41
; %bb.437:                              ;   in Loop: Header=BB318_13 Depth=1
	s_or_b32 exec_lo, exec_lo, s23
	v_lshlrev_b32_e32 v41, 8, v40
	v_lshl_add_u32 v180, v180, 10, 0x2000
	s_delay_alu instid0(VALU_DEP_1) | instskip(NEXT) | instid1(VALU_DEP_1)
	v_and_or_b32 v180, 0x8000, v41, v180
	v_lshl_or_b32 v7, v7, 7, v180
	s_delay_alu instid0(VALU_DEP_1)
	v_cvt_f32_f16_e64 v180, v7
.LBB318_438:                            ;   in Loop: Header=BB318_13 Depth=1
	s_or_b32 exec_lo, exec_lo, s22
.LBB318_439:                            ;   in Loop: Header=BB318_13 Depth=1
	s_delay_alu instid0(SALU_CYCLE_1)
	s_or_b32 exec_lo, exec_lo, s21
.LBB318_440:                            ;   in Loop: Header=BB318_13 Depth=1
	s_delay_alu instid0(SALU_CYCLE_1) | instskip(SKIP_2) | instid1(VALU_DEP_1)
	s_or_b32 exec_lo, exec_lo, s20
	v_lshrrev_b16 v7, 8, v40
	s_mov_b32 s20, exec_lo
	v_cmpx_ne_u16_e32 0, v7
	s_cbranch_execz .LBB318_448
; %bb.441:                              ;   in Loop: Header=BB318_13 Depth=1
	v_bfrev_b32_e32 v183, 1
	s_mov_b32 s21, exec_lo
	v_cmpx_ne_u16_e32 0x80, v7
	s_cbranch_execz .LBB318_447
; %bb.442:                              ;   in Loop: Header=BB318_13 Depth=1
	v_and_b32_e32 v41, 0xffff, v7
	v_mov_b32_e32 v183, 0x7fc02000
	s_mov_b32 s22, exec_lo
	s_delay_alu instid0(VALU_DEP_2) | instskip(NEXT) | instid1(VALU_DEP_1)
	v_and_b32_e32 v42, 0x7f, v41
	v_cmpx_ne_u32_e32 0x7f, v42
	s_cbranch_execz .LBB318_446
; %bb.443:                              ;   in Loop: Header=BB318_13 Depth=1
	v_and_b32_e32 v7, 7, v41
	v_lshrrev_b32_e32 v183, 3, v42
	s_mov_b32 s23, exec_lo
	v_cmpx_gt_u32_e32 8, v42
; %bb.444:                              ;   in Loop: Header=BB318_13 Depth=1
	s_delay_alu instid0(VALU_DEP_3) | instskip(NEXT) | instid1(VALU_DEP_1)
	v_clz_i32_u32_e32 v183, v7
	v_min_u32_e32 v183, 32, v183
	s_delay_alu instid0(VALU_DEP_1) | instskip(SKIP_1) | instid1(VALU_DEP_2)
	v_subrev_nc_u32_e32 v42, 28, v183
	v_sub_nc_u32_e32 v183, 29, v183
	v_lshlrev_b64 v[45:46], v42, v[7:8]
	s_delay_alu instid0(VALU_DEP_1)
	v_and_b32_e32 v7, 7, v45
; %bb.445:                              ;   in Loop: Header=BB318_13 Depth=1
	s_or_b32 exec_lo, exec_lo, s23
	v_lshlrev_b32_e32 v41, 8, v41
	v_lshl_add_u32 v183, v183, 10, 0x2000
	s_delay_alu instid0(VALU_DEP_1) | instskip(NEXT) | instid1(VALU_DEP_1)
	v_and_or_b32 v183, 0x8000, v41, v183
	v_lshl_or_b32 v7, v7, 7, v183
	s_delay_alu instid0(VALU_DEP_1)
	v_cvt_f32_f16_e64 v183, v7
.LBB318_446:                            ;   in Loop: Header=BB318_13 Depth=1
	s_or_b32 exec_lo, exec_lo, s22
.LBB318_447:                            ;   in Loop: Header=BB318_13 Depth=1
	s_delay_alu instid0(SALU_CYCLE_1)
	s_or_b32 exec_lo, exec_lo, s21
.LBB318_448:                            ;   in Loop: Header=BB318_13 Depth=1
	s_delay_alu instid0(SALU_CYCLE_1) | instskip(SKIP_3) | instid1(VALU_DEP_2)
	s_or_b32 exec_lo, exec_lo, s20
	v_lshrrev_b32_e32 v45, 16, v40
	v_mov_b32_e32 v41, 0
	s_mov_b32 s20, exec_lo
	v_dual_mov_b32 v42, 0 :: v_dual_and_b32 v7, 0xff, v45
	s_delay_alu instid0(VALU_DEP_1)
	v_cmpx_ne_u16_e32 0, v7
	s_cbranch_execz .LBB318_456
; %bb.449:                              ;   in Loop: Header=BB318_13 Depth=1
	v_bfrev_b32_e32 v42, 1
	s_mov_b32 s21, exec_lo
	v_cmpx_ne_u16_e32 0x80, v7
	s_cbranch_execz .LBB318_455
; %bb.450:                              ;   in Loop: Header=BB318_13 Depth=1
	v_bfe_u32 v46, v40, 16, 7
	v_mov_b32_e32 v42, 0x7fc02000
	s_mov_b32 s22, exec_lo
	s_delay_alu instid0(VALU_DEP_2)
	v_cmpx_ne_u32_e32 0x7f, v46
	s_cbranch_execz .LBB318_454
; %bb.451:                              ;   in Loop: Header=BB318_13 Depth=1
	v_and_b32_e32 v7, 7, v45
	v_lshrrev_b32_e32 v42, 3, v46
	s_mov_b32 s23, exec_lo
	v_cmpx_gt_u32_e32 8, v46
; %bb.452:                              ;   in Loop: Header=BB318_13 Depth=1
	s_delay_alu instid0(VALU_DEP_3) | instskip(NEXT) | instid1(VALU_DEP_1)
	v_clz_i32_u32_e32 v42, v7
	v_min_u32_e32 v42, 32, v42
	s_delay_alu instid0(VALU_DEP_1) | instskip(SKIP_1) | instid1(VALU_DEP_2)
	v_subrev_nc_u32_e32 v46, 28, v42
	v_sub_nc_u32_e32 v42, 29, v42
	v_lshlrev_b64 v[46:47], v46, v[7:8]
	s_delay_alu instid0(VALU_DEP_1)
	v_and_b32_e32 v7, 7, v46
; %bb.453:                              ;   in Loop: Header=BB318_13 Depth=1
	s_or_b32 exec_lo, exec_lo, s23
	v_lshlrev_b32_e32 v45, 8, v45
	v_lshl_add_u32 v42, v42, 10, 0x2000
	s_delay_alu instid0(VALU_DEP_1) | instskip(NEXT) | instid1(VALU_DEP_1)
	v_and_or_b32 v42, 0x8000, v45, v42
	v_lshl_or_b32 v7, v7, 7, v42
	s_delay_alu instid0(VALU_DEP_1)
	v_cvt_f32_f16_e32 v42, v7
.LBB318_454:                            ;   in Loop: Header=BB318_13 Depth=1
	s_or_b32 exec_lo, exec_lo, s22
.LBB318_455:                            ;   in Loop: Header=BB318_13 Depth=1
	s_delay_alu instid0(SALU_CYCLE_1)
	s_or_b32 exec_lo, exec_lo, s21
.LBB318_456:                            ;   in Loop: Header=BB318_13 Depth=1
	s_delay_alu instid0(SALU_CYCLE_1) | instskip(NEXT) | instid1(SALU_CYCLE_1)
	s_or_b32 exec_lo, exec_lo, s20
	s_mov_b32 s20, exec_lo
	v_cmpx_lt_u32_e32 0xffffff, v40
	s_cbranch_execz .LBB318_464
; %bb.457:                              ;   in Loop: Header=BB318_13 Depth=1
	v_lshrrev_b32_e32 v40, 24, v40
	v_bfrev_b32_e32 v41, 1
	s_mov_b32 s21, exec_lo
	s_delay_alu instid0(VALU_DEP_2)
	v_cmpx_ne_u32_e32 0x80, v40
	s_cbranch_execz .LBB318_463
; %bb.458:                              ;   in Loop: Header=BB318_13 Depth=1
	v_and_b32_e32 v45, 0x7f, v40
	v_mov_b32_e32 v41, 0x7fc02000
	s_mov_b32 s22, exec_lo
	s_delay_alu instid0(VALU_DEP_2)
	v_cmpx_ne_u32_e32 0x7f, v45
	s_cbranch_execz .LBB318_462
; %bb.459:                              ;   in Loop: Header=BB318_13 Depth=1
	v_and_b32_e32 v7, 7, v40
	v_lshrrev_b32_e32 v41, 3, v45
	s_mov_b32 s23, exec_lo
	v_cmpx_gt_u32_e32 8, v45
; %bb.460:                              ;   in Loop: Header=BB318_13 Depth=1
	s_delay_alu instid0(VALU_DEP_3) | instskip(NEXT) | instid1(VALU_DEP_1)
	v_clz_i32_u32_e32 v41, v7
	v_min_u32_e32 v41, 32, v41
	s_delay_alu instid0(VALU_DEP_1) | instskip(SKIP_1) | instid1(VALU_DEP_2)
	v_subrev_nc_u32_e32 v45, 28, v41
	v_sub_nc_u32_e32 v41, 29, v41
	v_lshlrev_b64 v[45:46], v45, v[7:8]
	s_delay_alu instid0(VALU_DEP_1)
	v_and_b32_e32 v7, 7, v45
; %bb.461:                              ;   in Loop: Header=BB318_13 Depth=1
	s_or_b32 exec_lo, exec_lo, s23
	v_lshlrev_b32_e32 v40, 8, v40
	v_lshl_add_u32 v41, v41, 10, 0x2000
	s_delay_alu instid0(VALU_DEP_1) | instskip(NEXT) | instid1(VALU_DEP_1)
	v_and_or_b32 v40, 0x8000, v40, v41
	v_lshl_or_b32 v7, v7, 7, v40
	s_delay_alu instid0(VALU_DEP_1)
	v_cvt_f32_f16_e32 v41, v7
.LBB318_462:                            ;   in Loop: Header=BB318_13 Depth=1
	s_or_b32 exec_lo, exec_lo, s22
.LBB318_463:                            ;   in Loop: Header=BB318_13 Depth=1
	s_delay_alu instid0(SALU_CYCLE_1)
	s_or_b32 exec_lo, exec_lo, s21
.LBB318_464:                            ;   in Loop: Header=BB318_13 Depth=1
	s_delay_alu instid0(SALU_CYCLE_1)
	s_or_b32 exec_lo, exec_lo, s20
	flat_load_b32 v32, v[31:32] offset:1792
	v_mov_b32_e32 v45, 0
	v_mov_b32_e32 v31, 0
	s_mov_b32 s20, exec_lo
	s_waitcnt vmcnt(0) lgkmcnt(0)
	v_and_b32_e32 v7, 0xff, v32
	s_delay_alu instid0(VALU_DEP_1)
	v_cmpx_ne_u16_e32 0, v7
	s_cbranch_execz .LBB318_472
; %bb.465:                              ;   in Loop: Header=BB318_13 Depth=1
	v_bfrev_b32_e32 v31, 1
	s_mov_b32 s21, exec_lo
	v_cmpx_ne_u16_e32 0x80, v7
	s_cbranch_execz .LBB318_471
; %bb.466:                              ;   in Loop: Header=BB318_13 Depth=1
	v_and_b32_e32 v40, 0x7f, v32
	v_mov_b32_e32 v31, 0x7fc02000
	s_mov_b32 s22, exec_lo
	s_delay_alu instid0(VALU_DEP_2)
	v_cmpx_ne_u32_e32 0x7f, v40
	s_cbranch_execz .LBB318_470
; %bb.467:                              ;   in Loop: Header=BB318_13 Depth=1
	v_and_b32_e32 v7, 7, v32
	v_lshrrev_b32_e32 v31, 3, v40
	s_mov_b32 s23, exec_lo
	v_cmpx_gt_u32_e32 8, v40
; %bb.468:                              ;   in Loop: Header=BB318_13 Depth=1
	s_delay_alu instid0(VALU_DEP_3) | instskip(NEXT) | instid1(VALU_DEP_1)
	v_clz_i32_u32_e32 v31, v7
	v_min_u32_e32 v31, 32, v31
	s_delay_alu instid0(VALU_DEP_1) | instskip(SKIP_1) | instid1(VALU_DEP_2)
	v_subrev_nc_u32_e32 v40, 28, v31
	v_sub_nc_u32_e32 v31, 29, v31
	v_lshlrev_b64 v[46:47], v40, v[7:8]
	s_delay_alu instid0(VALU_DEP_1)
	v_and_b32_e32 v7, 7, v46
; %bb.469:                              ;   in Loop: Header=BB318_13 Depth=1
	s_or_b32 exec_lo, exec_lo, s23
	v_lshlrev_b32_e32 v40, 8, v32
	v_lshl_add_u32 v31, v31, 10, 0x2000
	s_delay_alu instid0(VALU_DEP_1) | instskip(NEXT) | instid1(VALU_DEP_1)
	v_and_or_b32 v31, 0x8000, v40, v31
	v_lshl_or_b32 v7, v7, 7, v31
	s_delay_alu instid0(VALU_DEP_1)
	v_cvt_f32_f16_e32 v31, v7
.LBB318_470:                            ;   in Loop: Header=BB318_13 Depth=1
	s_or_b32 exec_lo, exec_lo, s22
.LBB318_471:                            ;   in Loop: Header=BB318_13 Depth=1
	s_delay_alu instid0(SALU_CYCLE_1)
	s_or_b32 exec_lo, exec_lo, s21
.LBB318_472:                            ;   in Loop: Header=BB318_13 Depth=1
	s_delay_alu instid0(SALU_CYCLE_1) | instskip(SKIP_2) | instid1(VALU_DEP_1)
	s_or_b32 exec_lo, exec_lo, s20
	v_lshrrev_b16 v7, 8, v32
	s_mov_b32 s20, exec_lo
	v_cmpx_ne_u16_e32 0, v7
	s_cbranch_execz .LBB318_480
; %bb.473:                              ;   in Loop: Header=BB318_13 Depth=1
	v_bfrev_b32_e32 v45, 1
	s_mov_b32 s21, exec_lo
	v_cmpx_ne_u16_e32 0x80, v7
	s_cbranch_execz .LBB318_479
; %bb.474:                              ;   in Loop: Header=BB318_13 Depth=1
	v_and_b32_e32 v40, 0xffff, v7
	v_mov_b32_e32 v45, 0x7fc02000
	s_mov_b32 s22, exec_lo
	s_delay_alu instid0(VALU_DEP_2) | instskip(NEXT) | instid1(VALU_DEP_1)
	v_and_b32_e32 v46, 0x7f, v40
	v_cmpx_ne_u32_e32 0x7f, v46
	s_cbranch_execz .LBB318_478
; %bb.475:                              ;   in Loop: Header=BB318_13 Depth=1
	v_and_b32_e32 v7, 7, v40
	v_lshrrev_b32_e32 v45, 3, v46
	s_mov_b32 s23, exec_lo
	v_cmpx_gt_u32_e32 8, v46
; %bb.476:                              ;   in Loop: Header=BB318_13 Depth=1
	s_delay_alu instid0(VALU_DEP_3) | instskip(NEXT) | instid1(VALU_DEP_1)
	v_clz_i32_u32_e32 v45, v7
	v_min_u32_e32 v45, 32, v45
	s_delay_alu instid0(VALU_DEP_1) | instskip(SKIP_1) | instid1(VALU_DEP_2)
	v_subrev_nc_u32_e32 v46, 28, v45
	v_sub_nc_u32_e32 v45, 29, v45
	v_lshlrev_b64 v[46:47], v46, v[7:8]
	s_delay_alu instid0(VALU_DEP_1)
	v_and_b32_e32 v7, 7, v46
; %bb.477:                              ;   in Loop: Header=BB318_13 Depth=1
	s_or_b32 exec_lo, exec_lo, s23
	v_lshlrev_b32_e32 v40, 8, v40
	v_lshl_add_u32 v45, v45, 10, 0x2000
	s_delay_alu instid0(VALU_DEP_1) | instskip(NEXT) | instid1(VALU_DEP_1)
	v_and_or_b32 v40, 0x8000, v40, v45
	v_lshl_or_b32 v7, v7, 7, v40
	s_delay_alu instid0(VALU_DEP_1)
	v_cvt_f32_f16_e32 v45, v7
.LBB318_478:                            ;   in Loop: Header=BB318_13 Depth=1
	s_or_b32 exec_lo, exec_lo, s22
.LBB318_479:                            ;   in Loop: Header=BB318_13 Depth=1
	s_delay_alu instid0(SALU_CYCLE_1)
	s_or_b32 exec_lo, exec_lo, s21
.LBB318_480:                            ;   in Loop: Header=BB318_13 Depth=1
	s_delay_alu instid0(SALU_CYCLE_1) | instskip(SKIP_3) | instid1(VALU_DEP_2)
	s_or_b32 exec_lo, exec_lo, s20
	v_lshrrev_b32_e32 v40, 16, v32
	v_mov_b32_e32 v47, 0
	s_mov_b32 s20, exec_lo
	v_dual_mov_b32 v46, 0 :: v_dual_and_b32 v7, 0xff, v40
	s_delay_alu instid0(VALU_DEP_1)
	v_cmpx_ne_u16_e32 0, v7
	s_cbranch_execz .LBB318_488
; %bb.481:                              ;   in Loop: Header=BB318_13 Depth=1
	v_bfrev_b32_e32 v47, 1
	s_mov_b32 s21, exec_lo
	v_cmpx_ne_u16_e32 0x80, v7
	s_cbranch_execz .LBB318_487
; %bb.482:                              ;   in Loop: Header=BB318_13 Depth=1
	v_bfe_u32 v56, v32, 16, 7
	v_mov_b32_e32 v47, 0x7fc02000
	s_mov_b32 s22, exec_lo
	s_delay_alu instid0(VALU_DEP_2)
	v_cmpx_ne_u32_e32 0x7f, v56
	s_cbranch_execz .LBB318_486
; %bb.483:                              ;   in Loop: Header=BB318_13 Depth=1
	v_and_b32_e32 v7, 7, v40
	v_lshrrev_b32_e32 v47, 3, v56
	s_mov_b32 s23, exec_lo
	v_cmpx_gt_u32_e32 8, v56
; %bb.484:                              ;   in Loop: Header=BB318_13 Depth=1
	s_delay_alu instid0(VALU_DEP_3) | instskip(NEXT) | instid1(VALU_DEP_1)
	v_clz_i32_u32_e32 v47, v7
	v_min_u32_e32 v47, 32, v47
	s_delay_alu instid0(VALU_DEP_1) | instskip(SKIP_1) | instid1(VALU_DEP_2)
	v_subrev_nc_u32_e32 v56, 28, v47
	v_sub_nc_u32_e32 v47, 29, v47
	v_lshlrev_b64 v[56:57], v56, v[7:8]
	s_delay_alu instid0(VALU_DEP_1)
	v_and_b32_e32 v7, 7, v56
; %bb.485:                              ;   in Loop: Header=BB318_13 Depth=1
	s_or_b32 exec_lo, exec_lo, s23
	v_lshlrev_b32_e32 v40, 8, v40
	v_lshl_add_u32 v47, v47, 10, 0x2000
	s_delay_alu instid0(VALU_DEP_1) | instskip(NEXT) | instid1(VALU_DEP_1)
	v_and_or_b32 v40, 0x8000, v40, v47
	v_lshl_or_b32 v7, v7, 7, v40
	s_delay_alu instid0(VALU_DEP_1)
	v_cvt_f32_f16_e32 v47, v7
.LBB318_486:                            ;   in Loop: Header=BB318_13 Depth=1
	s_or_b32 exec_lo, exec_lo, s22
.LBB318_487:                            ;   in Loop: Header=BB318_13 Depth=1
	s_delay_alu instid0(SALU_CYCLE_1)
	s_or_b32 exec_lo, exec_lo, s21
.LBB318_488:                            ;   in Loop: Header=BB318_13 Depth=1
	s_delay_alu instid0(SALU_CYCLE_1) | instskip(NEXT) | instid1(SALU_CYCLE_1)
	s_or_b32 exec_lo, exec_lo, s20
	s_mov_b32 s20, exec_lo
	v_cmpx_lt_u32_e32 0xffffff, v32
	s_cbranch_execz .LBB318_496
; %bb.489:                              ;   in Loop: Header=BB318_13 Depth=1
	v_lshrrev_b32_e32 v32, 24, v32
	v_bfrev_b32_e32 v46, 1
	s_mov_b32 s21, exec_lo
	s_delay_alu instid0(VALU_DEP_2)
	v_cmpx_ne_u32_e32 0x80, v32
	s_cbranch_execz .LBB318_495
; %bb.490:                              ;   in Loop: Header=BB318_13 Depth=1
	v_and_b32_e32 v56, 0x7f, v32
	v_mov_b32_e32 v46, 0x7fc02000
	s_mov_b32 s22, exec_lo
	s_delay_alu instid0(VALU_DEP_2)
	v_cmpx_ne_u32_e32 0x7f, v56
	s_cbranch_execz .LBB318_494
; %bb.491:                              ;   in Loop: Header=BB318_13 Depth=1
	v_and_b32_e32 v7, 7, v32
	v_lshrrev_b32_e32 v40, 3, v56
	s_mov_b32 s23, exec_lo
	v_cmpx_gt_u32_e32 8, v56
; %bb.492:                              ;   in Loop: Header=BB318_13 Depth=1
	s_delay_alu instid0(VALU_DEP_3) | instskip(NEXT) | instid1(VALU_DEP_1)
	v_clz_i32_u32_e32 v40, v7
	v_min_u32_e32 v40, 32, v40
	s_delay_alu instid0(VALU_DEP_1) | instskip(SKIP_1) | instid1(VALU_DEP_2)
	v_subrev_nc_u32_e32 v46, 28, v40
	v_sub_nc_u32_e32 v40, 29, v40
	v_lshlrev_b64 v[56:57], v46, v[7:8]
	s_delay_alu instid0(VALU_DEP_1)
	v_and_b32_e32 v7, 7, v56
; %bb.493:                              ;   in Loop: Header=BB318_13 Depth=1
	s_or_b32 exec_lo, exec_lo, s23
	v_lshlrev_b32_e32 v32, 8, v32
	v_lshl_add_u32 v40, v40, 10, 0x2000
	s_delay_alu instid0(VALU_DEP_1) | instskip(NEXT) | instid1(VALU_DEP_1)
	v_and_or_b32 v32, 0x8000, v32, v40
	v_lshl_or_b32 v7, v7, 7, v32
	s_delay_alu instid0(VALU_DEP_1)
	v_cvt_f32_f16_e32 v46, v7
.LBB318_494:                            ;   in Loop: Header=BB318_13 Depth=1
	s_or_b32 exec_lo, exec_lo, s22
.LBB318_495:                            ;   in Loop: Header=BB318_13 Depth=1
	s_delay_alu instid0(SALU_CYCLE_1)
	s_or_b32 exec_lo, exec_lo, s21
.LBB318_496:                            ;   in Loop: Header=BB318_13 Depth=1
	s_delay_alu instid0(SALU_CYCLE_1)
	s_or_b32 exec_lo, exec_lo, s20
	v_fma_mixlo_f16 v56, v83, v87, 0
	v_fma_mixlo_f16 v57, v83, v86, 0
	ds_load_b64 v[86:87], v68
	v_fma_mixlo_f16 v40, v83, v180, 0
	v_fma_mixlo_f16 v180, v83, v42, 0
	;; [unrolled: 1-line block ×58, first 2 shown]
	s_waitcnt lgkmcnt(0)
	v_lshrrev_b32_e32 v83, 16, v86
	v_and_b32_e32 v86, 0xffff, v86
	;;#ASMSTART
	v_cvt_f32_f16 v45, v86;
	;;#ASMEND
	;;#ASMSTART
	v_cvt_f32_f16 v46, v83;
	;;#ASMEND
	v_and_b32_e32 v83, 0xffff, v131
	;;#ASMSTART
	v_cvt_f32_f16 v131, v83;
	;;#ASMEND
	v_and_b32_e32 v83, 0xffff, v130
	;;#ASMSTART
	v_cvt_f32_f16 v130, v83;
	;;#ASMEND
	v_lshrrev_b32_e32 v83, 16, v87
	v_and_b32_e32 v86, 0xffff, v87
	;;#ASMSTART
	v_cvt_f32_f16 v47, v86;
	;;#ASMEND
	;;#ASMSTART
	v_cvt_f32_f16 v58, v83;
	;;#ASMEND
	v_and_b32_e32 v83, 0xffff, v56
	;;#ASMSTART
	v_cvt_f32_f16 v56, v83;
	;;#ASMEND
	v_and_b32_e32 v83, 0xffff, v57
	;;#ASMSTART
	v_cvt_f32_f16 v57, v83;
	;;#ASMEND
	ds_load_b64 v[86:87], v68 offset:8
	v_and_b32_e32 v101, 0xffff, v101
	v_and_b32_e32 v32, 0xffff, v32
	;; [unrolled: 1-line block ×6, first 2 shown]
	s_waitcnt lgkmcnt(0)
	v_lshrrev_b32_e32 v83, 16, v86
	v_and_b32_e32 v86, 0xffff, v86
	;;#ASMSTART
	v_cvt_f32_f16 v86, v86;
	;;#ASMEND
	;;#ASMSTART
	v_cvt_f32_f16 v59, v83;
	;;#ASMEND
	v_and_b32_e32 v83, 0xffff, v96
	;;#ASMSTART
	v_cvt_f32_f16 v83, v83;
	;;#ASMEND
	s_delay_alu instid0(VALU_DEP_1) | instskip(SKIP_1) | instid1(VALU_DEP_1)
	v_dual_mul_f32 v83, v86, v83 :: v_dual_and_b32 v96, 0xffff, v97
	;;#ASMSTART
	v_cvt_f32_f16 v96, v96;
	;;#ASMEND
	v_mul_f32_e32 v86, v59, v96
	v_lshrrev_b32_e32 v96, 16, v87
	v_and_b32_e32 v87, 0xffff, v87
	v_fmac_f32_e32 v83, v45, v131
	v_and_b32_e32 v97, 0xffff, v99
	v_and_b32_e32 v98, 0xffff, v98
	;;#ASMSTART
	v_cvt_f32_f16 v87, v87;
	;;#ASMEND
	;;#ASMSTART
	v_cvt_f32_f16 v96, v96;
	;;#ASMEND
	;; [unrolled: 3-line block ×4, first 2 shown]
	v_dual_mul_f32 v87, v87, v97 :: v_dual_mul_f32 v96, v96, v98
	ds_load_b64 v[97:98], v68 offset:16
	v_dual_fmac_f32 v86, v46, v130 :: v_dual_fmac_f32 v87, v47, v56
	v_fmac_f32_e32 v96, v58, v57
	v_and_b32_e32 v100, 0xffff, v100
	s_waitcnt lgkmcnt(0)
	v_lshrrev_b32_e32 v99, 16, v97
	v_and_b32_e32 v97, 0xffff, v97
	;;#ASMSTART
	v_cvt_f32_f16 v97, v97;
	;;#ASMEND
	;;#ASMSTART
	v_cvt_f32_f16 v99, v99;
	;;#ASMEND
	;; [unrolled: 3-line block ×4, first 2 shown]
	v_dual_fmac_f32 v83, v97, v100 :: v_dual_fmac_f32 v86, v99, v101
	v_lshrrev_b32_e32 v97, 16, v98
	v_and_b32_e32 v98, 0xffff, v98
	v_and_b32_e32 v99, 0xffff, v103
	;;#ASMSTART
	v_cvt_f32_f16 v98, v98;
	;;#ASMEND
	;;#ASMSTART
	v_cvt_f32_f16 v97, v97;
	;;#ASMEND
	;; [unrolled: 3-line block ×3, first 2 shown]
	s_delay_alu instid0(VALU_DEP_1) | instskip(SKIP_1) | instid1(VALU_DEP_1)
	v_dual_fmac_f32 v87, v98, v99 :: v_dual_and_b32 v100, 0xffff, v102
	;;#ASMSTART
	v_cvt_f32_f16 v100, v100;
	;;#ASMEND
	v_fmac_f32_e32 v96, v97, v100
	ds_load_b64 v[97:98], v68 offset:24
	v_and_b32_e32 v100, 0xffff, v112
	v_and_b32_e32 v101, 0xffff, v113
	s_waitcnt lgkmcnt(0)
	v_lshrrev_b32_e32 v99, 16, v97
	v_and_b32_e32 v97, 0xffff, v97
	;;#ASMSTART
	v_cvt_f32_f16 v97, v97;
	;;#ASMEND
	;;#ASMSTART
	v_cvt_f32_f16 v99, v99;
	;;#ASMEND
	;; [unrolled: 3-line block ×3, first 2 shown]
	s_delay_alu instid0(VALU_DEP_1)
	v_fmac_f32_e32 v83, v97, v100
	v_lshrrev_b32_e32 v97, 16, v98
	v_and_b32_e32 v98, 0xffff, v98
	;;#ASMSTART
	v_cvt_f32_f16 v101, v101;
	;;#ASMEND
	v_fmac_f32_e32 v86, v99, v101
	;;#ASMSTART
	v_cvt_f32_f16 v98, v98;
	;;#ASMEND
	;;#ASMSTART
	v_cvt_f32_f16 v97, v97;
	;;#ASMEND
	v_and_b32_e32 v99, 0xffff, v115
	v_and_b32_e32 v100, 0xffff, v114
	;;#ASMSTART
	v_cvt_f32_f16 v99, v99;
	;;#ASMEND
	;;#ASMSTART
	v_cvt_f32_f16 v100, v100;
	;;#ASMEND
	s_delay_alu instid0(VALU_DEP_1)
	v_dual_fmac_f32 v87, v98, v99 :: v_dual_fmac_f32 v96, v97, v100
	ds_load_b64 v[97:98], v68 offset:32
	v_and_b32_e32 v100, 0xffff, v116
	v_and_b32_e32 v101, 0xffff, v117
	s_waitcnt lgkmcnt(0)
	v_lshrrev_b32_e32 v99, 16, v97
	v_and_b32_e32 v97, 0xffff, v97
	;;#ASMSTART
	v_cvt_f32_f16 v97, v97;
	;;#ASMEND
	;;#ASMSTART
	v_cvt_f32_f16 v99, v99;
	;;#ASMEND
	;; [unrolled: 3-line block ×3, first 2 shown]
	s_delay_alu instid0(VALU_DEP_1)
	v_fmac_f32_e32 v83, v97, v100
	v_lshrrev_b32_e32 v97, 16, v98
	v_and_b32_e32 v98, 0xffff, v98
	;;#ASMSTART
	v_cvt_f32_f16 v101, v101;
	;;#ASMEND
	v_dual_fmac_f32 v86, v99, v101 :: v_dual_and_b32 v99, 0xffff, v119
	;;#ASMSTART
	v_cvt_f32_f16 v98, v98;
	;;#ASMEND
	;;#ASMSTART
	v_cvt_f32_f16 v97, v97;
	;;#ASMEND
	v_and_b32_e32 v100, 0xffff, v118
	;;#ASMSTART
	v_cvt_f32_f16 v99, v99;
	;;#ASMEND
	;;#ASMSTART
	v_cvt_f32_f16 v100, v100;
	;;#ASMEND
	s_delay_alu instid0(VALU_DEP_1)
	v_dual_fmac_f32 v87, v98, v99 :: v_dual_fmac_f32 v96, v97, v100
	ds_load_b64 v[97:98], v68 offset:40
	v_and_b32_e32 v100, 0xffff, v135
	v_and_b32_e32 v101, 0xffff, v134
	s_waitcnt lgkmcnt(0)
	v_lshrrev_b32_e32 v99, 16, v97
	v_and_b32_e32 v97, 0xffff, v97
	;;#ASMSTART
	v_cvt_f32_f16 v97, v97;
	;;#ASMEND
	;;#ASMSTART
	v_cvt_f32_f16 v99, v99;
	;;#ASMEND
	;;#ASMSTART
	v_cvt_f32_f16 v100, v100;
	;;#ASMEND
	s_delay_alu instid0(VALU_DEP_1)
	v_fmac_f32_e32 v83, v97, v100
	v_lshrrev_b32_e32 v97, 16, v98
	v_and_b32_e32 v98, 0xffff, v98
	;;#ASMSTART
	v_cvt_f32_f16 v101, v101;
	;;#ASMEND
	v_dual_fmac_f32 v86, v99, v101 :: v_dual_and_b32 v101, 0xffff, v146
	;;#ASMSTART
	v_cvt_f32_f16 v98, v98;
	;;#ASMEND
	;;#ASMSTART
	v_cvt_f32_f16 v97, v97;
	;;#ASMEND
	v_and_b32_e32 v99, 0xffff, v129
	v_and_b32_e32 v100, 0xffff, v128
	;;#ASMSTART
	v_cvt_f32_f16 v99, v99;
	;;#ASMEND
	;;#ASMSTART
	v_cvt_f32_f16 v100, v100;
	;;#ASMEND
	s_delay_alu instid0(VALU_DEP_1)
	v_dual_fmac_f32 v87, v98, v99 :: v_dual_fmac_f32 v96, v97, v100
	ds_load_b64 v[97:98], v68 offset:48
	v_and_b32_e32 v100, 0xffff, v147
	s_waitcnt lgkmcnt(0)
	v_lshrrev_b32_e32 v99, 16, v97
	v_and_b32_e32 v97, 0xffff, v97
	;;#ASMSTART
	v_cvt_f32_f16 v97, v97;
	;;#ASMEND
	;;#ASMSTART
	v_cvt_f32_f16 v99, v99;
	;;#ASMEND
	;;#ASMSTART
	v_cvt_f32_f16 v100, v100;
	;;#ASMEND
	s_delay_alu instid0(VALU_DEP_1)
	v_fmac_f32_e32 v83, v97, v100
	v_lshrrev_b32_e32 v97, 16, v98
	v_and_b32_e32 v98, 0xffff, v98
	;;#ASMSTART
	v_cvt_f32_f16 v101, v101;
	;;#ASMEND
	v_dual_fmac_f32 v86, v99, v101 :: v_dual_and_b32 v101, 0xffff, v150
	;;#ASMSTART
	v_cvt_f32_f16 v98, v98;
	;;#ASMEND
	;;#ASMSTART
	v_cvt_f32_f16 v97, v97;
	;;#ASMEND
	v_and_b32_e32 v99, 0xffff, v133
	v_and_b32_e32 v100, 0xffff, v132
	;;#ASMSTART
	v_cvt_f32_f16 v99, v99;
	;;#ASMEND
	;;#ASMSTART
	v_cvt_f32_f16 v100, v100;
	;;#ASMEND
	s_delay_alu instid0(VALU_DEP_1)
	v_dual_fmac_f32 v87, v98, v99 :: v_dual_fmac_f32 v96, v97, v100
	ds_load_b64 v[97:98], v68 offset:56
	;; [unrolled: 38-line block ×6, first 2 shown]
	v_and_b32_e32 v100, 0xffff, v44
	s_waitcnt lgkmcnt(0)
	v_lshrrev_b32_e32 v99, 16, v97
	v_and_b32_e32 v97, 0xffff, v97
	;;#ASMSTART
	v_cvt_f32_f16 v97, v97;
	;;#ASMEND
	;;#ASMSTART
	v_cvt_f32_f16 v99, v99;
	;;#ASMEND
	;; [unrolled: 3-line block ×3, first 2 shown]
	s_delay_alu instid0(VALU_DEP_1)
	v_fmac_f32_e32 v83, v97, v100
	v_lshrrev_b32_e32 v97, 16, v98
	v_and_b32_e32 v98, 0xffff, v98
	;;#ASMSTART
	v_cvt_f32_f16 v101, v101;
	;;#ASMEND
	v_fmac_f32_e32 v86, v99, v101
	;;#ASMSTART
	v_cvt_f32_f16 v98, v98;
	;;#ASMEND
	;;#ASMSTART
	v_cvt_f32_f16 v97, v97;
	;;#ASMEND
	v_and_b32_e32 v99, 0xffff, v177
	v_and_b32_e32 v100, 0xffff, v176
	;;#ASMSTART
	v_cvt_f32_f16 v99, v99;
	;;#ASMEND
	;;#ASMSTART
	v_cvt_f32_f16 v100, v100;
	;;#ASMEND
	s_delay_alu instid0(VALU_DEP_1)
	v_dual_fmac_f32 v87, v98, v99 :: v_dual_fmac_f32 v96, v97, v100
	ds_load_b64 v[97:98], v68 offset:96
	v_and_b32_e32 v100, 0xffff, v42
	v_and_b32_e32 v101, 0xffff, v41
	s_waitcnt lgkmcnt(0)
	v_lshrrev_b32_e32 v99, 16, v97
	v_and_b32_e32 v97, 0xffff, v97
	;;#ASMSTART
	v_cvt_f32_f16 v97, v97;
	;;#ASMEND
	;;#ASMSTART
	v_cvt_f32_f16 v99, v99;
	;;#ASMEND
	;; [unrolled: 3-line block ×3, first 2 shown]
	s_delay_alu instid0(VALU_DEP_1)
	v_fmac_f32_e32 v83, v97, v100
	v_lshrrev_b32_e32 v97, 16, v98
	v_and_b32_e32 v98, 0xffff, v98
	;;#ASMSTART
	v_cvt_f32_f16 v101, v101;
	;;#ASMEND
	v_dual_fmac_f32 v86, v99, v101 :: v_dual_and_b32 v99, 0xffff, v182
	;;#ASMSTART
	v_cvt_f32_f16 v98, v98;
	;;#ASMEND
	;;#ASMSTART
	v_cvt_f32_f16 v97, v97;
	;;#ASMEND
	v_and_b32_e32 v100, 0xffff, v181
	;;#ASMSTART
	v_cvt_f32_f16 v99, v99;
	;;#ASMEND
	;;#ASMSTART
	v_cvt_f32_f16 v100, v100;
	;;#ASMEND
	s_delay_alu instid0(VALU_DEP_1)
	v_dual_fmac_f32 v87, v98, v99 :: v_dual_fmac_f32 v96, v97, v100
	ds_load_b64 v[97:98], v68 offset:104
	v_and_b32_e32 v100, 0xffff, v40
	v_and_b32_e32 v101, 0xffff, v183
	s_waitcnt lgkmcnt(0)
	v_lshrrev_b32_e32 v99, 16, v97
	v_and_b32_e32 v97, 0xffff, v97
	;;#ASMSTART
	v_cvt_f32_f16 v97, v97;
	;;#ASMEND
	;;#ASMSTART
	v_cvt_f32_f16 v99, v99;
	;;#ASMEND
	;;#ASMSTART
	v_cvt_f32_f16 v100, v100;
	;;#ASMEND
	s_delay_alu instid0(VALU_DEP_1)
	v_fmac_f32_e32 v83, v97, v100
	v_lshrrev_b32_e32 v97, 16, v98
	v_and_b32_e32 v98, 0xffff, v98
	;;#ASMSTART
	v_cvt_f32_f16 v101, v101;
	;;#ASMEND
	v_dual_fmac_f32 v86, v99, v101 :: v_dual_and_b32 v99, 0xffff, v180
	;;#ASMSTART
	v_cvt_f32_f16 v98, v98;
	;;#ASMEND
	;;#ASMSTART
	v_cvt_f32_f16 v97, v97;
	;;#ASMEND
	;; [unrolled: 3-line block ×4, first 2 shown]
	v_dual_fmac_f32 v87, v98, v99 :: v_dual_fmac_f32 v96, v97, v32
	ds_load_b64 v[97:98], v68 offset:112
	s_waitcnt lgkmcnt(0)
	v_lshrrev_b32_e32 v32, 16, v97
	v_and_b32_e32 v97, 0xffff, v97
	;;#ASMSTART
	v_cvt_f32_f16 v97, v97;
	;;#ASMEND
	;;#ASMSTART
	v_cvt_f32_f16 v32, v32;
	;;#ASMEND
	;; [unrolled: 3-line block ×4, first 2 shown]
	v_fmac_f32_e32 v86, v32, v84
	v_lshrrev_b32_e32 v32, 16, v98
	v_and_b32_e32 v84, 0xffff, v98
	;;#ASMSTART
	v_cvt_f32_f16 v84, v84;
	;;#ASMEND
	;;#ASMSTART
	v_cvt_f32_f16 v32, v32;
	;;#ASMEND
	;; [unrolled: 3-line block ×3, first 2 shown]
	v_fmac_f32_e32 v83, v97, v85
	v_fmac_f32_e32 v87, v84, v31
	v_xor_b32_e32 v31, 1, v64
	;;#ASMSTART
	v_cvt_f32_f16 v7, v7;
	;;#ASMEND
	s_delay_alu instid0(VALU_DEP_3) | instskip(NEXT) | instid1(VALU_DEP_2)
	v_dual_fmac_f32 v96, v32, v7 :: v_dual_add_f32 v7, v83, v86
	v_cmp_gt_i32_e64 s2, 32, v31
	s_delay_alu instid0(VALU_DEP_2) | instskip(NEXT) | instid1(VALU_DEP_2)
	v_add_f32_e32 v7, v7, v87
	v_cndmask_b32_e64 v31, v64, v31, s2
	s_delay_alu instid0(VALU_DEP_2) | instskip(NEXT) | instid1(VALU_DEP_2)
	v_add_f32_e32 v7, v96, v7
	v_lshlrev_b32_e32 v31, 2, v31
	ds_bpermute_b32 v31, v31, v7
	s_and_saveexec_b32 s20, vcc_lo
	s_cbranch_execz .LBB318_11
; %bb.497:                              ;   in Loop: Header=BB318_13 Depth=1
	s_waitcnt lgkmcnt(0)
	v_dual_add_f32 v7, v7, v31 :: v_dual_add_nc_u32 v32, v80, v69
	s_load_b32 s21, s[8:9], 0x0
	s_delay_alu instid0(VALU_DEP_1) | instskip(NEXT) | instid1(VALU_DEP_1)
	v_cvt_f32_i32_e32 v32, v32
	v_mul_f32_e32 v32, v55, v32
	s_delay_alu instid0(VALU_DEP_1) | instskip(SKIP_1) | instid1(VALU_DEP_2)
	v_cndmask_b32_e64 v31, 0, v32, s1
	v_max_f32_e32 v32, v65, v65
	v_fmac_f32_e32 v31, v7, v13
	s_delay_alu instid0(VALU_DEP_1) | instskip(NEXT) | instid1(VALU_DEP_1)
	v_dual_max_f32 v32, v32, v31 :: v_dual_add_nc_u32 v7, v67, v69
	v_cmp_lt_i32_e64 s2, v7, v35
	s_waitcnt lgkmcnt(0)
	v_add_nc_u32_e32 v7, s21, v71
	s_delay_alu instid0(VALU_DEP_2)
	v_cndmask_b32_e64 v31, 0, v31, s2
	v_cndmask_b32_e64 v65, v65, v32, s2
	ds_store_b32 v7, v31
	s_branch .LBB318_11
.LBB318_498:
	s_or_b32 exec_lo, exec_lo, s19
.LBB318_499:
	s_delay_alu instid0(SALU_CYCLE_1)
	s_or_b32 exec_lo, exec_lo, s18
	v_xor_b32_e32 v7, 16, v64
	v_xor_b32_e32 v8, 8, v64
	s_waitcnt lgkmcnt(0)
	s_lshr_b32 s8, s17, 16
	v_dual_max_f32 v9, v65, v65 :: v_dual_lshlrev_b32 v28, 2, v39
	v_cmp_gt_i32_e32 vcc_lo, 32, v7
	v_cndmask_b32_e32 v7, v64, v7, vcc_lo
	v_cmp_gt_i32_e32 vcc_lo, 32, v8
	v_cndmask_b32_e32 v8, v64, v8, vcc_lo
	s_delay_alu instid0(VALU_DEP_1) | instskip(NEXT) | instid1(VALU_DEP_4)
	v_lshlrev_b32_e32 v24, 2, v8
	v_lshlrev_b32_e32 v20, 2, v7
	ds_bpermute_b32 v7, v20, v65
	s_waitcnt lgkmcnt(0)
	v_max_f32_e32 v7, v7, v7
	s_delay_alu instid0(VALU_DEP_1)
	v_max_f32_e32 v7, v9, v7
	v_xor_b32_e32 v9, 4, v64
	ds_bpermute_b32 v8, v24, v7
	v_cmp_gt_i32_e32 vcc_lo, 32, v9
	s_waitcnt lgkmcnt(0)
	v_max_f32_e32 v8, v8, v8
	s_delay_alu instid0(VALU_DEP_1) | instskip(SKIP_1) | instid1(VALU_DEP_1)
	v_max_f32_e32 v7, v7, v8
	v_cndmask_b32_e32 v9, v64, v9, vcc_lo
	v_lshlrev_b32_e32 v25, 2, v9
	v_xor_b32_e32 v9, 2, v64
	ds_bpermute_b32 v8, v25, v7
	v_cmp_gt_i32_e32 vcc_lo, 32, v9
	v_cndmask_b32_e32 v9, v64, v9, vcc_lo
	s_waitcnt lgkmcnt(0)
	s_delay_alu instid0(VALU_DEP_1) | instskip(NEXT) | instid1(VALU_DEP_1)
	v_dual_max_f32 v8, v8, v8 :: v_dual_lshlrev_b32 v13, 2, v9
	v_dual_max_f32 v8, v7, v8 :: v_dual_and_b32 v7, 31, v34
	ds_bpermute_b32 v9, v13, v8
	v_cmp_eq_u32_e32 vcc_lo, 0, v7
	s_and_saveexec_b32 s1, vcc_lo
	s_cbranch_execz .LBB318_501
; %bb.500:
	s_waitcnt lgkmcnt(0)
	v_dual_max_f32 v9, v9, v9 :: v_dual_max_f32 v8, v8, v8
	s_delay_alu instid0(VALU_DEP_1)
	v_max_f32_e32 v8, v8, v9
	ds_store_b32 v28, v8 offset:240
.LBB318_501:
	s_or_b32 exec_lo, exec_lo, s1
	v_cmp_gt_u32_e64 s1, 4, v7
	v_dual_mov_b32 v8, 0xff7fffff :: v_dual_lshlrev_b32 v29, 2, v7
	s_waitcnt lgkmcnt(0)
	s_barrier
	buffer_gl0_inv
	s_and_saveexec_b32 s2, s1
	s_cbranch_execz .LBB318_503
; %bb.502:
	ds_load_b32 v8, v29 offset:240
.LBB318_503:
	s_or_b32 exec_lo, exec_lo, s2
	s_waitcnt lgkmcnt(0)
	ds_bpermute_b32 v9, v13, v8
	v_xor_b32_e32 v21, 1, v64
	v_max_f32_e32 v8, v8, v8
	v_subrev_nc_u32_e32 v32, s13, v23
	v_mov_b32_e32 v31, 0
	s_delay_alu instid0(VALU_DEP_4) | instskip(NEXT) | instid1(VALU_DEP_1)
	v_cmp_gt_i32_e64 s2, 32, v21
	v_cndmask_b32_e64 v21, v64, v21, s2
	s_delay_alu instid0(VALU_DEP_1) | instskip(SKIP_2) | instid1(VALU_DEP_1)
	v_lshlrev_b32_e32 v21, 2, v21
	s_waitcnt lgkmcnt(0)
	v_max_f32_e32 v9, v9, v9
	v_max_f32_e32 v8, v8, v9
	ds_bpermute_b32 v9, v21, v8
	s_waitcnt lgkmcnt(0)
	v_max_f32_e32 v9, v9, v9
	s_delay_alu instid0(VALU_DEP_1) | instskip(SKIP_3) | instid1(VALU_DEP_1)
	v_max_f32_e32 v8, v8, v9
	v_lshl_add_u32 v9, v32, 4, s16
	ds_bpermute_b32 v8, v31, v8
	v_min_i32_e32 v9, v9, v35
	v_subrev_nc_u32_e32 v9, s16, v9
	s_delay_alu instid0(VALU_DEP_1) | instskip(NEXT) | instid1(VALU_DEP_1)
	v_cmp_lt_i32_e64 s2, v34, v9
	s_and_saveexec_b32 s9, s2
	s_cbranch_execz .LBB318_507
; %bb.504:
	s_getpc_b64 s[16:17]
	s_add_u32 s16, s16, llvm.amdgcn.dynlds.offset.table@rel32@lo+4
	s_addc_u32 s17, s17, llvm.amdgcn.dynlds.offset.table@rel32@hi+12
	s_ashr_i32 s7, s6, 31
	v_mov_b32_e32 v31, 0
	s_lshl_b64 s[18:19], s[6:7], 2
	v_mov_b32_e32 v55, v34
	s_add_u32 s16, s18, s16
	s_addc_u32 s17, s19, s17
	s_mov_b32 s7, 0
	s_load_b32 s3, s[16:17], 0x0
	s_waitcnt lgkmcnt(0)
	v_lshl_add_u32 v32, v34, 2, s3
	.p2align	6
.LBB318_505:                            ; =>This Inner Loop Header: Depth=1
	ds_load_b32 v64, v32
	v_add_nc_u32_e32 v55, 0x80, v55
	s_delay_alu instid0(VALU_DEP_1) | instskip(NEXT) | instid1(VALU_DEP_1)
	v_cmp_ge_i32_e64 s3, v55, v9
	s_or_b32 s7, s3, s7
	s_waitcnt lgkmcnt(0)
	v_sub_f32_e32 v64, v64, v8
	s_delay_alu instid0(VALU_DEP_1) | instskip(NEXT) | instid1(VALU_DEP_1)
	v_mul_f32_e32 v64, 0x3fb8aa3b, v64
	v_exp_f32_e32 v64, v64
	ds_store_b32 v32, v64
	v_add_f32_e32 v31, v31, v64
	v_add_nc_u32_e32 v32, 0x200, v32
	s_and_not1_b32 exec_lo, exec_lo, s7
	s_cbranch_execnz .LBB318_505
; %bb.506:
	s_or_b32 exec_lo, exec_lo, s7
.LBB318_507:
	s_delay_alu instid0(SALU_CYCLE_1)
	s_or_b32 exec_lo, exec_lo, s9
	ds_bpermute_b32 v20, v20, v31
	s_waitcnt lgkmcnt(0)
	v_add_f32_e32 v20, v31, v20
	ds_bpermute_b32 v24, v24, v20
	s_waitcnt lgkmcnt(0)
	v_add_f32_e32 v20, v20, v24
	;; [unrolled: 3-line block ×5, first 2 shown]
	s_and_saveexec_b32 s3, vcc_lo
	s_cbranch_execz .LBB318_509
; %bb.508:
	ds_store_b32 v28, v20 offset:256
.LBB318_509:
	s_or_b32 exec_lo, exec_lo, s3
	s_waitcnt lgkmcnt(0)
	s_barrier
	buffer_gl0_inv
	s_and_saveexec_b32 s3, s1
	s_cbranch_execz .LBB318_511
; %bb.510:
	ds_load_b32 v20, v29 offset:256
.LBB318_511:
	s_or_b32 exec_lo, exec_lo, s3
	s_waitcnt lgkmcnt(0)
	ds_bpermute_b32 v13, v13, v20
	s_waitcnt lgkmcnt(0)
	v_add_f32_e32 v13, v20, v13
	ds_bpermute_b32 v20, v21, v13
	s_waitcnt lgkmcnt(0)
	v_dual_add_f32 v13, v13, v20 :: v_dual_mov_b32 v20, 0
	ds_bpermute_b32 v13, v20, v13
	s_and_saveexec_b32 s1, s2
	s_cbranch_execz .LBB318_514
; %bb.512:
	s_waitcnt lgkmcnt(0)
	v_add_f32_e32 v24, 0x358637bd, v13
	s_getpc_b64 s[2:3]
	s_add_u32 s2, s2, llvm.amdgcn.dynlds.offset.table@rel32@lo+4
	s_addc_u32 s3, s3, llvm.amdgcn.dynlds.offset.table@rel32@hi+12
	s_ashr_i32 s7, s6, 31
	s_delay_alu instid0(SALU_CYCLE_1) | instskip(SKIP_3) | instid1(VALU_DEP_2)
	s_lshl_b64 s[16:17], s[6:7], 2
	v_div_scale_f32 v20, null, v24, v24, 1.0
	v_div_scale_f32 v29, vcc_lo, 1.0, v24, 1.0
	s_add_u32 s2, s16, s2
	v_rcp_f32_e32 v25, v20
	s_addc_u32 s3, s17, s3
	s_load_b32 s2, s[2:3], 0x0
	s_waitcnt_depctr 0xfff
	v_fma_f32 v28, -v20, v25, 1.0
	s_delay_alu instid0(VALU_DEP_1) | instskip(NEXT) | instid1(VALU_DEP_1)
	v_fmac_f32_e32 v25, v28, v25
	v_mul_f32_e32 v28, v29, v25
	s_delay_alu instid0(VALU_DEP_1) | instskip(NEXT) | instid1(VALU_DEP_1)
	v_fma_f32 v31, -v20, v28, v29
	v_fmac_f32_e32 v28, v31, v25
	s_delay_alu instid0(VALU_DEP_1) | instskip(NEXT) | instid1(VALU_DEP_1)
	v_fma_f32 v20, -v20, v28, v29
	v_div_fmas_f32 v25, v20, v25, v28
	s_waitcnt lgkmcnt(0)
	v_lshl_add_u32 v20, v34, 2, s2
	s_mov_b32 s2, 0
	s_delay_alu instid0(VALU_DEP_2)
	v_div_fixup_f32 v24, v25, v24, 1.0
	v_mov_b32_e32 v25, v34
.LBB318_513:                            ; =>This Inner Loop Header: Depth=1
	ds_load_b32 v28, v20
	s_waitcnt lgkmcnt(0)
	v_dual_mul_f32 v28, v24, v28 :: v_dual_add_nc_u32 v25, 0x80, v25
	s_delay_alu instid0(VALU_DEP_1) | instskip(SKIP_3) | instid1(SALU_CYCLE_1)
	v_cmp_ge_i32_e32 vcc_lo, v25, v9
	ds_store_b32 v20, v28
	v_add_nc_u32_e32 v20, 0x200, v20
	s_or_b32 s2, vcc_lo, s2
	s_and_not1_b32 exec_lo, exec_lo, s2
	s_cbranch_execnz .LBB318_513
.LBB318_514:
	s_or_b32 exec_lo, exec_lo, s1
	v_cmp_ne_u16_e64 s1, s8, 0
	s_waitcnt lgkmcnt(0)
	s_barrier
	buffer_gl0_inv
	s_cmp_lg_u32 s1, 0
	s_addc_u32 s5, s5, 0
	s_delay_alu instid0(SALU_CYCLE_1) | instskip(NEXT) | instid1(SALU_CYCLE_1)
	s_mul_i32 s1, s5, s10
	s_mul_i32 s2, s1, s15
	s_mov_b32 s1, exec_lo
	v_cmpx_eq_u32_e32 0, v34
	s_cbranch_execz .LBB318_516
; %bb.515:
	s_mul_i32 s8, s5, s12
	s_ashr_i32 s15, s14, 31
	s_ashr_i32 s9, s8, 31
	;; [unrolled: 1-line block ×3, first 2 shown]
	s_lshl_b64 s[8:9], s[8:9], 2
	s_lshl_b64 s[12:13], s[14:15], 2
	;; [unrolled: 1-line block ×3, first 2 shown]
	s_add_u32 s3, s12, s8
	s_addc_u32 s7, s13, s9
	s_add_u32 s3, s3, s16
	s_addc_u32 s7, s7, s17
	v_add_co_u32 v2, vcc_lo, s3, v2
	v_add_co_ci_u32_e32 v3, vcc_lo, s7, v3, vcc_lo
	v_add_co_u32 v0, vcc_lo, s3, v0
	v_add_co_ci_u32_e32 v1, vcc_lo, s7, v1, vcc_lo
	flat_store_b32 v[2:3], v8
	flat_store_b32 v[0:1], v13
.LBB318_516:
	s_or_b32 exec_lo, exec_lo, s1
	s_getpc_b64 s[8:9]
	s_add_u32 s8, s8, llvm.amdgcn.dynlds.offset.table@rel32@lo+4
	s_addc_u32 s9, s9, llvm.amdgcn.dynlds.offset.table@rel32@hi+12
	s_ashr_i32 s7, s6, 31
	v_lshrrev_b32_e32 v20, 1, v7
	s_lshl_b64 s[6:7], s[6:7], 2
	s_delay_alu instid0(SALU_CYCLE_1) | instskip(SKIP_3) | instid1(SALU_CYCLE_1)
	s_add_u32 s6, s6, s8
	s_addc_u32 s7, s7, s9
                                        ; implicit-def: $sgpr8
	s_load_b32 s1, s[6:7], 0x0
	s_and_saveexec_b32 s3, s0
	s_xor_b32 s0, exec_lo, s3
; %bb.517:
	v_lshrrev_b32_e32 v20, 1, v7
	s_mov_b32 s8, 0
                                        ; implicit-def: $vgpr35
                                        ; implicit-def: $vgpr48
                                        ; implicit-def: $vgpr37
                                        ; implicit-def: $vgpr6
                                        ; implicit-def: $vgpr12
                                        ; implicit-def: $vgpr23
                                        ; implicit-def: $vgpr16
                                        ; implicit-def: $vgpr10
                                        ; implicit-def: $vgpr11
                                        ; implicit-def: $vgpr14
                                        ; implicit-def: $vgpr15
                                        ; implicit-def: $vgpr22
                                        ; implicit-def: $vgpr30
                                        ; implicit-def: $vgpr38
                                        ; implicit-def: $vgpr26_vgpr27
                                        ; implicit-def: $vgpr50
                                        ; implicit-def: $vgpr52
                                        ; implicit-def: $vgpr54
                                        ; implicit-def: $vgpr53
                                        ; implicit-def: $vgpr18_vgpr19
                                        ; implicit-def: $vgpr49
                                        ; implicit-def: $vgpr51
; %bb.518:
	s_or_saveexec_b32 s3, s0
	v_dual_mov_b32 v64, s8 :: v_dual_mov_b32 v25, s8
	s_waitcnt lgkmcnt(0)
	v_dual_mov_b32 v0, s1 :: v_dual_mov_b32 v29, s8
	v_dual_mov_b32 v24, s8 :: v_dual_mov_b32 v31, s8
	;; [unrolled: 1-line block ×3, first 2 shown]
	v_mov_b32_e32 v32, s8
	s_xor_b32 exec_lo, exec_lo, s3
	s_cbranch_execz .LBB318_1054
; %bb.519:
	v_max_i32_e32 v30, v30, v53
	v_or_b32_e32 v9, 0x70, v20
	v_mov_b32_e32 v53, v35
	v_lshlrev_b64 v[7:8], 2, v[16:17]
	v_dual_mov_b32 v55, 0 :: v_dual_mov_b32 v32, 0
	v_cvt_f32_u32_e32 v0, v30
	v_dual_mov_b32 v31, 0 :: v_dual_mov_b32 v28, 0
	s_delay_alu instid0(VALU_DEP_4) | instskip(NEXT) | instid1(VALU_DEP_3)
	v_add_co_u32 v7, s0, v18, v7
	v_rcp_iflag_f32_e32 v2, v0
	v_and_b32_e32 v51, 8, v51
	v_add_co_u32 v0, vcc_lo, v10, v52
	v_add_co_ci_u32_e32 v1, vcc_lo, v11, v54, vcc_lo
	v_sub_nc_u32_e32 v11, 0, v30
	v_lshlrev_b32_e32 v10, 5, v36
	v_cmp_gt_u32_e32 vcc_lo, 0x78, v9
	v_add_co_ci_u32_e64 v8, s0, v19, v8, s0
	s_delay_alu instid0(TRANS32_DEP_1) | instskip(SKIP_3) | instid1(VALU_DEP_4)
	v_mul_f32_e32 v2, 0x4f7ffffe, v2
	v_lshl_or_b32 v65, v9, 4, v51
	v_lshl_or_b32 v9, v39, 6, v10
	v_add_co_u32 v7, s0, v14, v7
	v_cvt_u32_f32_e32 v2, v2
	v_dual_mov_b32 v3, 0 :: v_dual_add_nc_u32 v52, -1, v12
	v_dual_mov_b32 v29, 0 :: v_dual_mov_b32 v24, 0
	s_delay_alu instid0(VALU_DEP_3)
	v_mul_lo_u32 v11, v11, v2
	v_dual_mov_b32 v25, 0 :: v_dual_mov_b32 v64, 0
	v_lshl_or_b32 v54, v20, 4, v51
	v_add_nc_u32_e32 v19, s1, v9
	v_add_co_ci_u32_e64 v8, s0, v15, v8, s0
	s_mov_b32 s8, -1
	v_mul_hi_u32 v10, v2, v11
	s_mov_b32 s9, 0xffffff
	s_mov_b32 s10, 0
	s_delay_alu instid0(VALU_DEP_1)
	v_add_nc_u32_e32 v15, v2, v10
	s_branch .LBB318_523
.LBB318_520:                            ;   in Loop: Header=BB318_523 Depth=1
	s_or_b32 exec_lo, exec_lo, s1
	;;#ASMSTART
	v_pk_mul_f16 v10, v80, v12;

	;;#ASMEND
	;;#ASMSTART
	v_pk_mul_f16 v11, v71, v11;

	;;#ASMEND
	;; [unrolled: 4-line block ×4, first 2 shown]
	;;#ASMSTART
	v_pk_add_f16 v10, v10, v11;

	;;#ASMEND
	;;#ASMSTART
	v_pk_add_f16 v2, v10, v2;

	;;#ASMEND
	;; [unrolled: 4-line block ×3, first 2 shown]
	v_and_b32_e32 v9, 0xffff, v2
	v_lshrrev_b32_e32 v2, 16, v2
	;;#ASMSTART
	v_cvt_f32_f16 v9, v9;
	;;#ASMEND
	;;#ASMSTART
	v_cvt_f32_f16 v2, v2;
	;;#ASMEND
	s_delay_alu instid0(VALU_DEP_1) | instskip(NEXT) | instid1(VALU_DEP_1)
	v_add_f32_e32 v2, v9, v2
	v_add_f32_e32 v64, v64, v2
.LBB318_521:                            ;   in Loop: Header=BB318_523 Depth=1
	s_or_b32 exec_lo, exec_lo, s13
	v_dual_add_f32 v2, v67, v68 :: v_dual_add_f32 v9, v81, v82
	v_dual_add_f32 v10, v83, v84 :: v_dual_add_f32 v11, v85, v86
	v_add_f32_e32 v12, v13, v14
	s_delay_alu instid0(VALU_DEP_3) | instskip(SKIP_1) | instid1(VALU_DEP_4)
	v_dual_add_f32 v55, v55, v2 :: v_dual_add_f32 v32, v32, v9
	v_dual_add_f32 v2, v87, v96 :: v_dual_add_f32 v9, v17, v18
	;; [unrolled: 1-line block ×3, first 2 shown]
	s_delay_alu instid0(VALU_DEP_2) | instskip(NEXT) | instid1(VALU_DEP_3)
	v_dual_add_f32 v24, v24, v12 :: v_dual_add_f32 v29, v29, v2
	v_add_f32_e32 v25, v25, v9
.LBB318_522:                            ;   in Loop: Header=BB318_523 Depth=1
	s_or_b32 exec_lo, exec_lo, s12
	v_add_nc_u32_e32 v16, 4, v16
	v_add_co_u32 v7, s1, v7, 16
	s_delay_alu instid0(VALU_DEP_1) | instskip(NEXT) | instid1(VALU_DEP_3)
	v_add_co_ci_u32_e64 v8, s1, 0, v8, s1
	v_cmp_ge_i32_e64 s0, v16, v23
	v_add_nc_u32_e32 v49, 64, v49
	v_add_nc_u32_e32 v19, 0x100, v19
	s_delay_alu instid0(VALU_DEP_3) | instskip(NEXT) | instid1(SALU_CYCLE_1)
	s_or_b32 s10, s0, s10
	s_and_not1_b32 exec_lo, exec_lo, s10
	s_cbranch_execz .LBB318_1053
.LBB318_523:                            ; =>This Inner Loop Header: Depth=1
	v_sub_nc_u32_e32 v2, 0, v49
	s_delay_alu instid0(VALU_DEP_1) | instskip(NEXT) | instid1(VALU_DEP_1)
	v_max_i32_e32 v2, v49, v2
	v_mul_hi_u32 v9, v2, v38
	s_delay_alu instid0(VALU_DEP_1) | instskip(NEXT) | instid1(VALU_DEP_1)
	v_mul_lo_u32 v10, v9, v37
	v_sub_nc_u32_e32 v2, v2, v10
	v_add_nc_u32_e32 v10, 1, v9
	s_delay_alu instid0(VALU_DEP_2) | instskip(SKIP_1) | instid1(VALU_DEP_1)
	v_sub_nc_u32_e32 v11, v2, v37
	v_cmp_ge_u32_e64 s0, v2, v37
	v_cndmask_b32_e64 v9, v9, v10, s0
	s_delay_alu instid0(VALU_DEP_3) | instskip(SKIP_1) | instid1(VALU_DEP_3)
	v_cndmask_b32_e64 v2, v2, v11, s0
	v_ashrrev_i32_e32 v10, 31, v49
	v_add_nc_u32_e32 v11, 1, v9
	s_delay_alu instid0(VALU_DEP_3) | instskip(NEXT) | instid1(VALU_DEP_3)
	v_cmp_ge_u32_e64 s0, v2, v37
	v_xor_b32_e32 v10, v10, v48
	s_delay_alu instid0(VALU_DEP_2) | instskip(NEXT) | instid1(VALU_DEP_1)
	v_cndmask_b32_e64 v2, v9, v11, s0
	v_xor_b32_e32 v2, v2, v10
	s_delay_alu instid0(VALU_DEP_1) | instskip(NEXT) | instid1(VALU_DEP_1)
	v_sub_nc_u32_e32 v2, v2, v10
	v_add_nc_u32_e32 v9, v2, v6
	v_cmp_gt_i32_e64 s1, v2, v50
	s_delay_alu instid0(VALU_DEP_2) | instskip(NEXT) | instid1(VALU_DEP_1)
	v_sub_nc_u32_e32 v10, 0, v9
	v_max_i32_e32 v10, v9, v10
	v_ashrrev_i32_e32 v9, 31, v9
	s_delay_alu instid0(VALU_DEP_2) | instskip(NEXT) | instid1(VALU_DEP_1)
	v_mul_hi_u32 v11, v10, v15
	v_mul_lo_u32 v11, v11, v30
	s_delay_alu instid0(VALU_DEP_1) | instskip(NEXT) | instid1(VALU_DEP_1)
	v_sub_nc_u32_e32 v10, v10, v11
	v_sub_nc_u32_e32 v11, v10, v30
	v_cmp_ge_u32_e64 s0, v10, v30
	s_delay_alu instid0(VALU_DEP_1) | instskip(NEXT) | instid1(VALU_DEP_1)
	v_cndmask_b32_e64 v10, v10, v11, s0
	v_sub_nc_u32_e32 v11, v10, v30
	v_cmp_ge_u32_e64 s0, v10, v30
	s_delay_alu instid0(VALU_DEP_1) | instskip(NEXT) | instid1(VALU_DEP_1)
	v_cndmask_b32_e64 v10, v10, v11, s0
	v_xor_b32_e32 v10, v10, v9
	s_delay_alu instid0(VALU_DEP_1) | instskip(NEXT) | instid1(VALU_DEP_1)
	v_sub_nc_u32_e32 v9, v10, v9
	v_cmp_eq_u32_e64 s0, 0, v9
	s_delay_alu instid0(VALU_DEP_1) | instskip(NEXT) | instid1(SALU_CYCLE_1)
	s_or_b32 s0, s0, s1
	s_and_saveexec_b32 s12, s0
	s_cbranch_execz .LBB318_522
; %bb.524:                              ;   in Loop: Header=BB318_523 Depth=1
	flat_load_b32 v2, v[7:8]
	ds_load_2addr_b64 v[11:14], v19 offset1:1
	ds_load_2addr_b64 v[80:83], v19 offset0:2 offset1:3
	v_mov_b32_e32 v66, 0
	v_mov_b32_e32 v84, 0
	s_mov_b32 s1, exec_lo
	s_waitcnt lgkmcnt(1)
	;;#ASMSTART
	v_cvt_f16_f32 v70, v11;

	;;#ASMEND
	;;#ASMSTART
	v_cvt_f16_f32 v67, v12;

	;;#ASMEND
	;; [unrolled: 4-line block ×4, first 2 shown]
	s_waitcnt lgkmcnt(0)
	;;#ASMSTART
	v_cvt_f16_f32 v80, v80;

	;;#ASMEND
	;;#ASMSTART
	v_cvt_f16_f32 v69, v81;

	;;#ASMEND
	;; [unrolled: 4-line block ×4, first 2 shown]
	s_waitcnt vmcnt(0)
	v_mad_i64_i32 v[9:10], null, v2, v22, v[0:1]
	s_delay_alu instid0(VALU_DEP_1) | instskip(NEXT) | instid1(VALU_DEP_1)
	v_add_co_u32 v11, s0, v9, v54
	v_add_co_ci_u32_e64 v12, s0, 0, v10, s0
	flat_load_b64 v[13:14], v[11:12]
	flat_load_b32 v83, v[26:27]
	s_waitcnt vmcnt(1) lgkmcnt(1)
	v_and_b32_e32 v2, 0xff, v13
	s_delay_alu instid0(VALU_DEP_1)
	v_cmpx_ne_u16_e32 0, v2
	s_cbranch_execz .LBB318_532
; %bb.525:                              ;   in Loop: Header=BB318_523 Depth=1
	v_bfrev_b32_e32 v84, 1
	s_mov_b32 s13, exec_lo
	v_cmpx_ne_u16_e32 0x80, v2
	s_cbranch_execz .LBB318_531
; %bb.526:                              ;   in Loop: Header=BB318_523 Depth=1
	v_and_b32_e32 v17, 0x7f, v13
	v_mov_b32_e32 v84, 0x7fc02000
	s_mov_b32 s15, exec_lo
	s_delay_alu instid0(VALU_DEP_2)
	v_cmpx_ne_u32_e32 0x7f, v17
	s_cbranch_execz .LBB318_530
; %bb.527:                              ;   in Loop: Header=BB318_523 Depth=1
	v_lshrrev_b32_e32 v2, 3, v17
	v_cmp_gt_u32_e64 s0, 8, v17
	v_dual_mov_b32 v18, v14 :: v_dual_mov_b32 v17, v13
	s_delay_alu instid0(VALU_DEP_2)
	s_and_saveexec_b32 s16, s0
; %bb.528:                              ;   in Loop: Header=BB318_523 Depth=1
	v_and_b32_e32 v2, 7, v13
	s_delay_alu instid0(VALU_DEP_1) | instskip(NEXT) | instid1(VALU_DEP_1)
	v_clz_i32_u32_e32 v2, v2
	v_min_u32_e32 v2, 32, v2
	s_delay_alu instid0(VALU_DEP_1) | instskip(SKIP_1) | instid1(VALU_DEP_2)
	v_subrev_nc_u32_e32 v17, 28, v2
	v_sub_nc_u32_e32 v2, 29, v2
	v_lshlrev_b64 v[17:18], v17, v[13:14]
; %bb.529:                              ;   in Loop: Header=BB318_523 Depth=1
	s_or_b32 exec_lo, exec_lo, s16
	v_lshlrev_b32_e32 v18, 8, v13
	s_delay_alu instid0(VALU_DEP_3) | instskip(NEXT) | instid1(VALU_DEP_3)
	v_lshl_add_u32 v2, v2, 10, 0x2000
	v_lshlrev_b32_e32 v17, 7, v17
	s_delay_alu instid0(VALU_DEP_2) | instskip(NEXT) | instid1(VALU_DEP_1)
	v_and_or_b32 v2, 0x8000, v18, v2
	v_and_or_b32 v2, 0x380, v17, v2
	s_delay_alu instid0(VALU_DEP_1)
	v_cvt_f32_f16_e32 v84, v2
.LBB318_530:                            ;   in Loop: Header=BB318_523 Depth=1
	s_or_b32 exec_lo, exec_lo, s15
.LBB318_531:                            ;   in Loop: Header=BB318_523 Depth=1
	s_delay_alu instid0(SALU_CYCLE_1)
	s_or_b32 exec_lo, exec_lo, s13
.LBB318_532:                            ;   in Loop: Header=BB318_523 Depth=1
	s_delay_alu instid0(SALU_CYCLE_1) | instskip(SKIP_2) | instid1(VALU_DEP_1)
	s_or_b32 exec_lo, exec_lo, s1
	v_lshrrev_b16 v2, 8, v13
	s_mov_b32 s1, exec_lo
	v_cmpx_ne_u16_e32 0, v2
	s_cbranch_execz .LBB318_540
; %bb.533:                              ;   in Loop: Header=BB318_523 Depth=1
	v_bfrev_b32_e32 v66, 1
	s_mov_b32 s13, exec_lo
	v_cmpx_ne_u16_e32 0x80, v2
	s_cbranch_execz .LBB318_539
; %bb.534:                              ;   in Loop: Header=BB318_523 Depth=1
	v_and_b32_e32 v17, 0xffff, v2
	v_mov_b32_e32 v66, 0x7fc02000
	s_mov_b32 s15, exec_lo
	s_delay_alu instid0(VALU_DEP_2) | instskip(NEXT) | instid1(VALU_DEP_1)
	v_and_b32_e32 v85, 0x7f, v17
	v_cmpx_ne_u32_e32 0x7f, v85
	s_cbranch_execz .LBB318_538
; %bb.535:                              ;   in Loop: Header=BB318_523 Depth=1
	v_and_b32_e32 v2, 7, v17
	v_lshrrev_b32_e32 v18, 3, v85
	s_mov_b32 s16, exec_lo
	v_cmpx_gt_u32_e32 8, v85
; %bb.536:                              ;   in Loop: Header=BB318_523 Depth=1
	s_delay_alu instid0(VALU_DEP_3) | instskip(NEXT) | instid1(VALU_DEP_1)
	v_clz_i32_u32_e32 v18, v2
	v_min_u32_e32 v18, 32, v18
	s_delay_alu instid0(VALU_DEP_1) | instskip(SKIP_1) | instid1(VALU_DEP_2)
	v_subrev_nc_u32_e32 v66, 28, v18
	v_sub_nc_u32_e32 v18, 29, v18
	v_lshlrev_b64 v[85:86], v66, v[2:3]
	s_delay_alu instid0(VALU_DEP_1)
	v_and_b32_e32 v2, 7, v85
; %bb.537:                              ;   in Loop: Header=BB318_523 Depth=1
	s_or_b32 exec_lo, exec_lo, s16
	v_lshlrev_b32_e32 v17, 8, v17
	v_lshl_add_u32 v18, v18, 10, 0x2000
	s_delay_alu instid0(VALU_DEP_1) | instskip(NEXT) | instid1(VALU_DEP_1)
	v_and_or_b32 v17, 0x8000, v17, v18
	v_lshl_or_b32 v2, v2, 7, v17
	s_delay_alu instid0(VALU_DEP_1)
	v_cvt_f32_f16_e32 v66, v2
.LBB318_538:                            ;   in Loop: Header=BB318_523 Depth=1
	s_or_b32 exec_lo, exec_lo, s15
.LBB318_539:                            ;   in Loop: Header=BB318_523 Depth=1
	s_delay_alu instid0(SALU_CYCLE_1)
	s_or_b32 exec_lo, exec_lo, s13
.LBB318_540:                            ;   in Loop: Header=BB318_523 Depth=1
	s_delay_alu instid0(SALU_CYCLE_1) | instskip(SKIP_3) | instid1(VALU_DEP_2)
	s_or_b32 exec_lo, exec_lo, s1
	v_lshrrev_b32_e32 v17, 16, v13
	v_mov_b32_e32 v86, 0
	s_mov_b32 s1, exec_lo
	v_dual_mov_b32 v85, 0 :: v_dual_and_b32 v2, 0xff, v17
	s_delay_alu instid0(VALU_DEP_1)
	v_cmpx_ne_u16_e32 0, v2
	s_cbranch_execz .LBB318_548
; %bb.541:                              ;   in Loop: Header=BB318_523 Depth=1
	v_bfrev_b32_e32 v85, 1
	s_mov_b32 s13, exec_lo
	v_cmpx_ne_u16_e32 0x80, v2
	s_cbranch_execz .LBB318_547
; %bb.542:                              ;   in Loop: Header=BB318_523 Depth=1
	v_bfe_u32 v87, v13, 16, 7
	v_mov_b32_e32 v85, 0x7fc02000
	s_mov_b32 s15, exec_lo
	s_delay_alu instid0(VALU_DEP_2)
	v_cmpx_ne_u32_e32 0x7f, v87
	s_cbranch_execz .LBB318_546
; %bb.543:                              ;   in Loop: Header=BB318_523 Depth=1
	v_and_b32_e32 v2, 7, v17
	v_lshrrev_b32_e32 v18, 3, v87
	s_mov_b32 s16, exec_lo
	v_cmpx_gt_u32_e32 8, v87
; %bb.544:                              ;   in Loop: Header=BB318_523 Depth=1
	s_delay_alu instid0(VALU_DEP_3) | instskip(NEXT) | instid1(VALU_DEP_1)
	v_clz_i32_u32_e32 v18, v2
	v_min_u32_e32 v18, 32, v18
	s_delay_alu instid0(VALU_DEP_1) | instskip(SKIP_1) | instid1(VALU_DEP_2)
	v_subrev_nc_u32_e32 v85, 28, v18
	v_sub_nc_u32_e32 v18, 29, v18
	v_lshlrev_b64 v[96:97], v85, v[2:3]
	s_delay_alu instid0(VALU_DEP_1)
	v_and_b32_e32 v2, 7, v96
; %bb.545:                              ;   in Loop: Header=BB318_523 Depth=1
	s_or_b32 exec_lo, exec_lo, s16
	v_lshlrev_b32_e32 v17, 8, v17
	v_lshl_add_u32 v18, v18, 10, 0x2000
	s_delay_alu instid0(VALU_DEP_1) | instskip(NEXT) | instid1(VALU_DEP_1)
	v_and_or_b32 v17, 0x8000, v17, v18
	v_lshl_or_b32 v2, v2, 7, v17
	s_delay_alu instid0(VALU_DEP_1)
	v_cvt_f32_f16_e32 v85, v2
.LBB318_546:                            ;   in Loop: Header=BB318_523 Depth=1
	s_or_b32 exec_lo, exec_lo, s15
.LBB318_547:                            ;   in Loop: Header=BB318_523 Depth=1
	s_delay_alu instid0(SALU_CYCLE_1)
	s_or_b32 exec_lo, exec_lo, s13
.LBB318_548:                            ;   in Loop: Header=BB318_523 Depth=1
	s_delay_alu instid0(SALU_CYCLE_1) | instskip(NEXT) | instid1(SALU_CYCLE_1)
	s_or_b32 exec_lo, exec_lo, s1
	s_mov_b32 s1, exec_lo
	v_cmpx_lt_u32_e32 0xffffff, v13
	s_cbranch_execz .LBB318_556
; %bb.549:                              ;   in Loop: Header=BB318_523 Depth=1
	v_lshrrev_b32_e32 v17, 24, v13
	v_bfrev_b32_e32 v86, 1
	s_mov_b32 s13, exec_lo
	s_delay_alu instid0(VALU_DEP_2)
	v_cmpx_ne_u32_e32 0x80, v17
	s_cbranch_execz .LBB318_555
; %bb.550:                              ;   in Loop: Header=BB318_523 Depth=1
	v_and_b32_e32 v87, 0x7f, v17
	v_mov_b32_e32 v86, 0x7fc02000
	s_mov_b32 s15, exec_lo
	s_delay_alu instid0(VALU_DEP_2)
	v_cmpx_ne_u32_e32 0x7f, v87
	s_cbranch_execz .LBB318_554
; %bb.551:                              ;   in Loop: Header=BB318_523 Depth=1
	v_and_b32_e32 v2, 7, v17
	v_lshrrev_b32_e32 v18, 3, v87
	s_mov_b32 s16, exec_lo
	v_cmpx_gt_u32_e32 8, v87
; %bb.552:                              ;   in Loop: Header=BB318_523 Depth=1
	s_delay_alu instid0(VALU_DEP_3) | instskip(NEXT) | instid1(VALU_DEP_1)
	v_clz_i32_u32_e32 v18, v2
	v_min_u32_e32 v18, 32, v18
	s_delay_alu instid0(VALU_DEP_1) | instskip(SKIP_1) | instid1(VALU_DEP_2)
	v_subrev_nc_u32_e32 v86, 28, v18
	v_sub_nc_u32_e32 v18, 29, v18
	v_lshlrev_b64 v[86:87], v86, v[2:3]
	s_delay_alu instid0(VALU_DEP_1)
	v_and_b32_e32 v2, 7, v86
; %bb.553:                              ;   in Loop: Header=BB318_523 Depth=1
	s_or_b32 exec_lo, exec_lo, s16
	v_lshlrev_b32_e32 v17, 8, v17
	v_lshl_add_u32 v18, v18, 10, 0x2000
	s_delay_alu instid0(VALU_DEP_1) | instskip(NEXT) | instid1(VALU_DEP_1)
	v_and_or_b32 v17, 0x8000, v17, v18
	v_lshl_or_b32 v2, v2, 7, v17
	s_delay_alu instid0(VALU_DEP_1)
	v_cvt_f32_f16_e32 v86, v2
.LBB318_554:                            ;   in Loop: Header=BB318_523 Depth=1
	s_or_b32 exec_lo, exec_lo, s15
.LBB318_555:                            ;   in Loop: Header=BB318_523 Depth=1
	s_delay_alu instid0(SALU_CYCLE_1)
	s_or_b32 exec_lo, exec_lo, s13
.LBB318_556:                            ;   in Loop: Header=BB318_523 Depth=1
	s_delay_alu instid0(SALU_CYCLE_1) | instskip(SKIP_3) | instid1(VALU_DEP_2)
	s_or_b32 exec_lo, exec_lo, s1
	v_dual_mov_b32 v87, 0 :: v_dual_and_b32 v18, 0xff, v14
	v_dual_mov_b32 v2, v14 :: v_dual_mov_b32 v17, 0
	s_mov_b32 s1, exec_lo
	v_cmpx_ne_u16_e32 0, v18
	s_cbranch_execz .LBB318_564
; %bb.557:                              ;   in Loop: Header=BB318_523 Depth=1
	v_bfrev_b32_e32 v17, 1
	s_mov_b32 s13, exec_lo
	v_cmpx_ne_u16_e32 0x80, v18
	s_cbranch_execz .LBB318_563
; %bb.558:                              ;   in Loop: Header=BB318_523 Depth=1
	v_and_b32_e32 v18, 0x7f, v14
	v_mov_b32_e32 v17, 0x7fc02000
	s_mov_b32 s15, exec_lo
	s_delay_alu instid0(VALU_DEP_2)
	v_cmpx_ne_u32_e32 0x7f, v18
	s_cbranch_execz .LBB318_562
; %bb.559:                              ;   in Loop: Header=BB318_523 Depth=1
	v_lshrrev_b32_e32 v96, 3, v18
	v_cmp_gt_u32_e64 s0, 8, v18
	v_dual_mov_b32 v18, v3 :: v_dual_mov_b32 v17, v2
	s_delay_alu instid0(VALU_DEP_2)
	s_and_saveexec_b32 s16, s0
; %bb.560:                              ;   in Loop: Header=BB318_523 Depth=1
	v_and_b32_e32 v17, 7, v14
	s_delay_alu instid0(VALU_DEP_1) | instskip(NEXT) | instid1(VALU_DEP_1)
	v_clz_i32_u32_e32 v17, v17
	v_min_u32_e32 v96, 32, v17
	s_delay_alu instid0(VALU_DEP_1) | instskip(SKIP_1) | instid1(VALU_DEP_2)
	v_subrev_nc_u32_e32 v17, 28, v96
	v_sub_nc_u32_e32 v96, 29, v96
	v_lshlrev_b64 v[17:18], v17, v[2:3]
; %bb.561:                              ;   in Loop: Header=BB318_523 Depth=1
	s_or_b32 exec_lo, exec_lo, s16
	v_lshlrev_b32_e32 v18, 8, v14
	s_delay_alu instid0(VALU_DEP_3) | instskip(NEXT) | instid1(VALU_DEP_3)
	v_lshl_add_u32 v96, v96, 10, 0x2000
	v_lshlrev_b32_e32 v17, 7, v17
	s_delay_alu instid0(VALU_DEP_2) | instskip(NEXT) | instid1(VALU_DEP_1)
	v_and_or_b32 v18, 0x8000, v18, v96
	v_and_or_b32 v17, 0x380, v17, v18
	s_delay_alu instid0(VALU_DEP_1)
	v_cvt_f32_f16_e32 v17, v17
.LBB318_562:                            ;   in Loop: Header=BB318_523 Depth=1
	s_or_b32 exec_lo, exec_lo, s15
.LBB318_563:                            ;   in Loop: Header=BB318_523 Depth=1
	s_delay_alu instid0(SALU_CYCLE_1)
	s_or_b32 exec_lo, exec_lo, s13
.LBB318_564:                            ;   in Loop: Header=BB318_523 Depth=1
	s_delay_alu instid0(SALU_CYCLE_1) | instskip(SKIP_2) | instid1(VALU_DEP_1)
	s_or_b32 exec_lo, exec_lo, s1
	v_lshrrev_b16 v2, 8, v2
	s_mov_b32 s1, exec_lo
	v_cmpx_ne_u16_e32 0, v2
	s_cbranch_execz .LBB318_572
; %bb.565:                              ;   in Loop: Header=BB318_523 Depth=1
	v_bfrev_b32_e32 v87, 1
	s_mov_b32 s13, exec_lo
	v_cmpx_ne_u16_e32 0x80, v2
	s_cbranch_execz .LBB318_571
; %bb.566:                              ;   in Loop: Header=BB318_523 Depth=1
	v_and_b32_e32 v18, 0xffff, v2
	v_mov_b32_e32 v87, 0x7fc02000
	s_mov_b32 s15, exec_lo
	s_delay_alu instid0(VALU_DEP_2) | instskip(NEXT) | instid1(VALU_DEP_1)
	v_and_b32_e32 v96, 0x7f, v18
	v_cmpx_ne_u32_e32 0x7f, v96
	s_cbranch_execz .LBB318_570
; %bb.567:                              ;   in Loop: Header=BB318_523 Depth=1
	v_and_b32_e32 v2, 7, v18
	v_lshrrev_b32_e32 v87, 3, v96
	s_mov_b32 s16, exec_lo
	v_cmpx_gt_u32_e32 8, v96
; %bb.568:                              ;   in Loop: Header=BB318_523 Depth=1
	s_delay_alu instid0(VALU_DEP_3) | instskip(NEXT) | instid1(VALU_DEP_1)
	v_clz_i32_u32_e32 v87, v2
	v_min_u32_e32 v87, 32, v87
	s_delay_alu instid0(VALU_DEP_1) | instskip(SKIP_1) | instid1(VALU_DEP_2)
	v_subrev_nc_u32_e32 v96, 28, v87
	v_sub_nc_u32_e32 v87, 29, v87
	v_lshlrev_b64 v[96:97], v96, v[2:3]
	s_delay_alu instid0(VALU_DEP_1)
	v_and_b32_e32 v2, 7, v96
; %bb.569:                              ;   in Loop: Header=BB318_523 Depth=1
	s_or_b32 exec_lo, exec_lo, s16
	v_lshlrev_b32_e32 v18, 8, v18
	v_lshl_add_u32 v87, v87, 10, 0x2000
	s_delay_alu instid0(VALU_DEP_1) | instskip(NEXT) | instid1(VALU_DEP_1)
	v_and_or_b32 v18, 0x8000, v18, v87
	v_lshl_or_b32 v2, v2, 7, v18
	s_delay_alu instid0(VALU_DEP_1)
	v_cvt_f32_f16_e32 v87, v2
.LBB318_570:                            ;   in Loop: Header=BB318_523 Depth=1
	s_or_b32 exec_lo, exec_lo, s15
.LBB318_571:                            ;   in Loop: Header=BB318_523 Depth=1
	s_delay_alu instid0(SALU_CYCLE_1)
	s_or_b32 exec_lo, exec_lo, s13
.LBB318_572:                            ;   in Loop: Header=BB318_523 Depth=1
	s_delay_alu instid0(SALU_CYCLE_1) | instskip(SKIP_4) | instid1(VALU_DEP_3)
	s_or_b32 exec_lo, exec_lo, s1
	v_lshrrev_b32_e32 v97, 16, v14
	v_mov_b32_e32 v96, 0
	v_mov_b32_e32 v18, 0
	s_mov_b32 s1, exec_lo
	v_and_b32_e32 v2, 0xff, v97
	s_delay_alu instid0(VALU_DEP_1)
	v_cmpx_ne_u16_e32 0, v2
	s_cbranch_execz .LBB318_580
; %bb.573:                              ;   in Loop: Header=BB318_523 Depth=1
	v_bfrev_b32_e32 v18, 1
	s_mov_b32 s13, exec_lo
	v_cmpx_ne_u16_e32 0x80, v2
	s_cbranch_execz .LBB318_579
; %bb.574:                              ;   in Loop: Header=BB318_523 Depth=1
	v_bfe_u32 v98, v14, 16, 7
	v_mov_b32_e32 v18, 0x7fc02000
	s_mov_b32 s15, exec_lo
	s_delay_alu instid0(VALU_DEP_2)
	v_cmpx_ne_u32_e32 0x7f, v98
	s_cbranch_execz .LBB318_578
; %bb.575:                              ;   in Loop: Header=BB318_523 Depth=1
	v_and_b32_e32 v2, 7, v97
	v_lshrrev_b32_e32 v18, 3, v98
	s_mov_b32 s16, exec_lo
	v_cmpx_gt_u32_e32 8, v98
; %bb.576:                              ;   in Loop: Header=BB318_523 Depth=1
	s_delay_alu instid0(VALU_DEP_3) | instskip(NEXT) | instid1(VALU_DEP_1)
	v_clz_i32_u32_e32 v18, v2
	v_min_u32_e32 v18, 32, v18
	s_delay_alu instid0(VALU_DEP_1) | instskip(SKIP_1) | instid1(VALU_DEP_2)
	v_subrev_nc_u32_e32 v98, 28, v18
	v_sub_nc_u32_e32 v18, 29, v18
	v_lshlrev_b64 v[98:99], v98, v[2:3]
	s_delay_alu instid0(VALU_DEP_1)
	v_and_b32_e32 v2, 7, v98
; %bb.577:                              ;   in Loop: Header=BB318_523 Depth=1
	s_or_b32 exec_lo, exec_lo, s16
	v_lshlrev_b32_e32 v97, 8, v97
	v_lshl_add_u32 v18, v18, 10, 0x2000
	s_delay_alu instid0(VALU_DEP_1) | instskip(NEXT) | instid1(VALU_DEP_1)
	v_and_or_b32 v18, 0x8000, v97, v18
	v_lshl_or_b32 v2, v2, 7, v18
	s_delay_alu instid0(VALU_DEP_1)
	v_cvt_f32_f16_e32 v18, v2
.LBB318_578:                            ;   in Loop: Header=BB318_523 Depth=1
	s_or_b32 exec_lo, exec_lo, s15
.LBB318_579:                            ;   in Loop: Header=BB318_523 Depth=1
	s_delay_alu instid0(SALU_CYCLE_1)
	s_or_b32 exec_lo, exec_lo, s13
.LBB318_580:                            ;   in Loop: Header=BB318_523 Depth=1
	s_delay_alu instid0(SALU_CYCLE_1) | instskip(NEXT) | instid1(SALU_CYCLE_1)
	s_or_b32 exec_lo, exec_lo, s1
	s_mov_b32 s1, exec_lo
	v_cmpx_lt_u64_e64 s[8:9], v[13:14]
	s_cbranch_execz .LBB318_588
; %bb.581:                              ;   in Loop: Header=BB318_523 Depth=1
	v_lshrrev_b32_e32 v13, 24, v14
	v_bfrev_b32_e32 v96, 1
	s_mov_b32 s13, exec_lo
	s_delay_alu instid0(VALU_DEP_2)
	v_cmpx_ne_u32_e32 0x80, v13
	s_cbranch_execz .LBB318_587
; %bb.582:                              ;   in Loop: Header=BB318_523 Depth=1
	v_and_b32_e32 v97, 0x7f, v13
	v_mov_b32_e32 v96, 0x7fc02000
	s_mov_b32 s15, exec_lo
	s_delay_alu instid0(VALU_DEP_2)
	v_cmpx_ne_u32_e32 0x7f, v97
	s_cbranch_execz .LBB318_586
; %bb.583:                              ;   in Loop: Header=BB318_523 Depth=1
	v_and_b32_e32 v2, 7, v13
	v_lshrrev_b32_e32 v14, 3, v97
	s_mov_b32 s16, exec_lo
	v_cmpx_gt_u32_e32 8, v97
; %bb.584:                              ;   in Loop: Header=BB318_523 Depth=1
	s_delay_alu instid0(VALU_DEP_3) | instskip(NEXT) | instid1(VALU_DEP_1)
	v_clz_i32_u32_e32 v14, v2
	v_min_u32_e32 v14, 32, v14
	s_delay_alu instid0(VALU_DEP_1) | instskip(SKIP_1) | instid1(VALU_DEP_2)
	v_subrev_nc_u32_e32 v96, 28, v14
	v_sub_nc_u32_e32 v14, 29, v14
	v_lshlrev_b64 v[96:97], v96, v[2:3]
	s_delay_alu instid0(VALU_DEP_1)
	v_and_b32_e32 v2, 7, v96
; %bb.585:                              ;   in Loop: Header=BB318_523 Depth=1
	s_or_b32 exec_lo, exec_lo, s16
	v_lshlrev_b32_e32 v13, 8, v13
	v_lshl_add_u32 v14, v14, 10, 0x2000
	s_delay_alu instid0(VALU_DEP_1) | instskip(NEXT) | instid1(VALU_DEP_1)
	v_and_or_b32 v13, 0x8000, v13, v14
	v_lshl_or_b32 v2, v2, 7, v13
	s_delay_alu instid0(VALU_DEP_1)
	v_cvt_f32_f16_e32 v96, v2
.LBB318_586:                            ;   in Loop: Header=BB318_523 Depth=1
	s_or_b32 exec_lo, exec_lo, s15
.LBB318_587:                            ;   in Loop: Header=BB318_523 Depth=1
	s_delay_alu instid0(SALU_CYCLE_1)
	s_or_b32 exec_lo, exec_lo, s13
.LBB318_588:                            ;   in Loop: Header=BB318_523 Depth=1
	s_delay_alu instid0(SALU_CYCLE_1)
	s_or_b32 exec_lo, exec_lo, s1
	s_waitcnt vmcnt(0) lgkmcnt(0)
	v_fma_mixlo_f16 v14, v83, v66, 0
	v_fma_mixlo_f16 v2, v83, v86, 0
	;; [unrolled: 1-line block ×5, first 2 shown]
	v_lshlrev_b32_e32 v85, 16, v14
	v_fma_mixlo_f16 v14, v83, v84, 0
	v_fma_mixlo_f16 v84, v83, v87, 0
	;; [unrolled: 1-line block ×3, first 2 shown]
	v_lshlrev_b32_e32 v2, 16, v2
	v_and_b32_e32 v13, 0xffff, v13
	v_and_b32_e32 v18, 0xffff, v14
	v_lshlrev_b32_e32 v83, 16, v84
	v_and_b32_e32 v84, 0xffff, v86
	v_lshlrev_b32_e32 v86, 16, v87
	v_and_b32_e32 v87, 0xffff, v17
	v_add_nc_u32_e32 v66, v51, v49
	v_cmp_eq_u32_e64 s0, v52, v16
	v_or_b32_e32 v14, v2, v13
	v_or_b32_e32 v18, v85, v18
	v_or_b32_e32 v2, v83, v84
	v_or_b32_e32 v13, v86, v87
	s_and_saveexec_b32 s13, s0
	s_cbranch_execz .LBB318_590
; %bb.589:                              ;   in Loop: Header=BB318_523 Depth=1
	v_add_nc_u32_e32 v83, 1, v66
	v_lshrrev_b32_e32 v84, 16, v18
	v_or_b32_e32 v85, 3, v66
	v_lshrrev_b32_e32 v86, 16, v14
	v_lshrrev_b32_e32 v87, 16, v2
	v_cmp_lt_i32_e64 s1, v83, v53
	v_lshrrev_b32_e32 v13, 16, v13
	v_or_b32_e32 v96, 6, v66
	s_delay_alu instid0(VALU_DEP_3) | instskip(SKIP_2) | instid1(VALU_DEP_2)
	v_cndmask_b32_e64 v83, 0, v84, s1
	v_cmp_lt_i32_e64 s1, v66, v35
	v_or_b32_e32 v84, 2, v66
	v_cndmask_b32_e64 v18, 0, v18, s1
	v_cmp_lt_i32_e64 s1, v85, v53
	s_delay_alu instid0(VALU_DEP_2) | instskip(NEXT) | instid1(VALU_DEP_2)
	v_perm_b32 v18, v83, v18, 0x5040100
	v_cndmask_b32_e64 v85, 0, v86, s1
	v_or_b32_e32 v86, 5, v66
	v_cmp_lt_i32_e64 s1, v84, v35
	v_or_b32_e32 v84, 4, v66
	s_delay_alu instid0(VALU_DEP_2) | instskip(NEXT) | instid1(VALU_DEP_4)
	v_cndmask_b32_e64 v14, 0, v14, s1
	v_cmp_lt_i32_e64 s1, v86, v53
	s_delay_alu instid0(VALU_DEP_2) | instskip(NEXT) | instid1(VALU_DEP_2)
	v_perm_b32 v14, v85, v14, 0x5040100
	v_cndmask_b32_e64 v86, 0, v87, s1
	v_or_b32_e32 v87, 7, v66
	v_cmp_lt_i32_e64 s1, v84, v35
	s_delay_alu instid0(VALU_DEP_1) | instskip(NEXT) | instid1(VALU_DEP_3)
	v_cndmask_b32_e64 v2, 0, v2, s1
	v_cmp_lt_i32_e64 s1, v87, v53
	s_delay_alu instid0(VALU_DEP_2) | instskip(NEXT) | instid1(VALU_DEP_2)
	v_perm_b32 v2, v86, v2, 0x5040100
	v_cndmask_b32_e64 v13, 0, v13, s1
	v_cmp_lt_i32_e64 s1, v96, v35
	s_delay_alu instid0(VALU_DEP_1) | instskip(NEXT) | instid1(VALU_DEP_1)
	v_cndmask_b32_e64 v17, 0, v17, s1
	v_perm_b32 v13, v13, v17, 0x5040100
.LBB318_590:                            ;   in Loop: Header=BB318_523 Depth=1
	s_or_b32 exec_lo, exec_lo, s13
	v_and_b32_e32 v17, 0xffff, v70
	v_and_b32_e32 v70, 0xffff, v71
	;; [unrolled: 1-line block ×4, first 2 shown]
	s_mov_b32 s13, exec_lo
	s_delay_alu instid0(VALU_DEP_3) | instskip(NEXT) | instid1(VALU_DEP_3)
	v_lshl_or_b32 v71, v68, 16, v70
	v_lshl_or_b32 v70, v69, 16, v83
	v_mov_b32_e32 v83, 0
	v_lshl_or_b32 v69, v81, 16, v82
	v_mov_b32_e32 v82, 0
	v_lshl_or_b32 v80, v67, 16, v17
	;;#ASMSTART
	v_pk_mul_f16 v17, v80, v18;

	;;#ASMEND
	;;#ASMSTART
	v_pk_mul_f16 v14, v71, v14;

	;;#ASMEND
	;; [unrolled: 4-line block ×4, first 2 shown]
	;;#ASMSTART
	v_pk_add_f16 v14, v17, v14;

	;;#ASMEND
	;;#ASMSTART
	v_pk_add_f16 v2, v14, v2;

	;;#ASMEND
	;; [unrolled: 4-line block ×3, first 2 shown]
	v_and_b32_e32 v13, 0xffff, v2
	v_lshrrev_b32_e32 v2, 16, v2
	;;#ASMSTART
	v_cvt_f32_f16 v67, v13;
	;;#ASMEND
	;;#ASMSTART
	v_cvt_f32_f16 v68, v2;
	;;#ASMEND
	flat_load_b64 v[13:14], v[11:12] offset:256
	flat_load_b32 v81, v[26:27]
	s_waitcnt vmcnt(1) lgkmcnt(1)
	v_and_b32_e32 v2, 0xff, v13
	s_delay_alu instid0(VALU_DEP_1)
	v_cmpx_ne_u16_e32 0, v2
	s_cbranch_execz .LBB318_598
; %bb.591:                              ;   in Loop: Header=BB318_523 Depth=1
	v_bfrev_b32_e32 v82, 1
	s_mov_b32 s15, exec_lo
	v_cmpx_ne_u16_e32 0x80, v2
	s_cbranch_execz .LBB318_597
; %bb.592:                              ;   in Loop: Header=BB318_523 Depth=1
	v_and_b32_e32 v17, 0x7f, v13
	v_mov_b32_e32 v82, 0x7fc02000
	s_mov_b32 s16, exec_lo
	s_delay_alu instid0(VALU_DEP_2)
	v_cmpx_ne_u32_e32 0x7f, v17
	s_cbranch_execz .LBB318_596
; %bb.593:                              ;   in Loop: Header=BB318_523 Depth=1
	v_lshrrev_b32_e32 v2, 3, v17
	v_cmp_gt_u32_e64 s1, 8, v17
	v_dual_mov_b32 v18, v14 :: v_dual_mov_b32 v17, v13
	s_delay_alu instid0(VALU_DEP_2)
	s_and_saveexec_b32 s17, s1
; %bb.594:                              ;   in Loop: Header=BB318_523 Depth=1
	v_and_b32_e32 v2, 7, v13
	s_delay_alu instid0(VALU_DEP_1) | instskip(NEXT) | instid1(VALU_DEP_1)
	v_clz_i32_u32_e32 v2, v2
	v_min_u32_e32 v2, 32, v2
	s_delay_alu instid0(VALU_DEP_1) | instskip(SKIP_1) | instid1(VALU_DEP_2)
	v_subrev_nc_u32_e32 v17, 28, v2
	v_sub_nc_u32_e32 v2, 29, v2
	v_lshlrev_b64 v[17:18], v17, v[13:14]
; %bb.595:                              ;   in Loop: Header=BB318_523 Depth=1
	s_or_b32 exec_lo, exec_lo, s17
	v_lshlrev_b32_e32 v18, 8, v13
	s_delay_alu instid0(VALU_DEP_3) | instskip(NEXT) | instid1(VALU_DEP_3)
	v_lshl_add_u32 v2, v2, 10, 0x2000
	v_lshlrev_b32_e32 v17, 7, v17
	s_delay_alu instid0(VALU_DEP_2) | instskip(NEXT) | instid1(VALU_DEP_1)
	v_and_or_b32 v2, 0x8000, v18, v2
	v_and_or_b32 v2, 0x380, v17, v2
	s_delay_alu instid0(VALU_DEP_1)
	v_cvt_f32_f16_e32 v82, v2
.LBB318_596:                            ;   in Loop: Header=BB318_523 Depth=1
	s_or_b32 exec_lo, exec_lo, s16
.LBB318_597:                            ;   in Loop: Header=BB318_523 Depth=1
	s_delay_alu instid0(SALU_CYCLE_1)
	s_or_b32 exec_lo, exec_lo, s15
.LBB318_598:                            ;   in Loop: Header=BB318_523 Depth=1
	s_delay_alu instid0(SALU_CYCLE_1) | instskip(SKIP_2) | instid1(VALU_DEP_1)
	s_or_b32 exec_lo, exec_lo, s13
	v_lshrrev_b16 v2, 8, v13
	s_mov_b32 s13, exec_lo
	v_cmpx_ne_u16_e32 0, v2
	s_cbranch_execz .LBB318_606
; %bb.599:                              ;   in Loop: Header=BB318_523 Depth=1
	v_bfrev_b32_e32 v83, 1
	s_mov_b32 s15, exec_lo
	v_cmpx_ne_u16_e32 0x80, v2
	s_cbranch_execz .LBB318_605
; %bb.600:                              ;   in Loop: Header=BB318_523 Depth=1
	v_and_b32_e32 v17, 0xffff, v2
	v_mov_b32_e32 v83, 0x7fc02000
	s_mov_b32 s16, exec_lo
	s_delay_alu instid0(VALU_DEP_2) | instskip(NEXT) | instid1(VALU_DEP_1)
	v_and_b32_e32 v84, 0x7f, v17
	v_cmpx_ne_u32_e32 0x7f, v84
	s_cbranch_execz .LBB318_604
; %bb.601:                              ;   in Loop: Header=BB318_523 Depth=1
	v_and_b32_e32 v2, 7, v17
	v_lshrrev_b32_e32 v18, 3, v84
	s_mov_b32 s17, exec_lo
	v_cmpx_gt_u32_e32 8, v84
; %bb.602:                              ;   in Loop: Header=BB318_523 Depth=1
	s_delay_alu instid0(VALU_DEP_3) | instskip(NEXT) | instid1(VALU_DEP_1)
	v_clz_i32_u32_e32 v18, v2
	v_min_u32_e32 v18, 32, v18
	s_delay_alu instid0(VALU_DEP_1) | instskip(SKIP_1) | instid1(VALU_DEP_2)
	v_subrev_nc_u32_e32 v83, 28, v18
	v_sub_nc_u32_e32 v18, 29, v18
	v_lshlrev_b64 v[83:84], v83, v[2:3]
	s_delay_alu instid0(VALU_DEP_1)
	v_and_b32_e32 v2, 7, v83
; %bb.603:                              ;   in Loop: Header=BB318_523 Depth=1
	s_or_b32 exec_lo, exec_lo, s17
	v_lshlrev_b32_e32 v17, 8, v17
	v_lshl_add_u32 v18, v18, 10, 0x2000
	s_delay_alu instid0(VALU_DEP_1) | instskip(NEXT) | instid1(VALU_DEP_1)
	v_and_or_b32 v17, 0x8000, v17, v18
	v_lshl_or_b32 v2, v2, 7, v17
	s_delay_alu instid0(VALU_DEP_1)
	v_cvt_f32_f16_e32 v83, v2
.LBB318_604:                            ;   in Loop: Header=BB318_523 Depth=1
	s_or_b32 exec_lo, exec_lo, s16
.LBB318_605:                            ;   in Loop: Header=BB318_523 Depth=1
	s_delay_alu instid0(SALU_CYCLE_1)
	s_or_b32 exec_lo, exec_lo, s15
.LBB318_606:                            ;   in Loop: Header=BB318_523 Depth=1
	s_delay_alu instid0(SALU_CYCLE_1) | instskip(SKIP_3) | instid1(VALU_DEP_2)
	s_or_b32 exec_lo, exec_lo, s13
	v_lshrrev_b32_e32 v17, 16, v13
	v_mov_b32_e32 v84, 0
	s_mov_b32 s13, exec_lo
	v_dual_mov_b32 v85, 0 :: v_dual_and_b32 v2, 0xff, v17
	s_delay_alu instid0(VALU_DEP_1)
	v_cmpx_ne_u16_e32 0, v2
	s_cbranch_execz .LBB318_614
; %bb.607:                              ;   in Loop: Header=BB318_523 Depth=1
	v_bfrev_b32_e32 v84, 1
	s_mov_b32 s15, exec_lo
	v_cmpx_ne_u16_e32 0x80, v2
	s_cbranch_execz .LBB318_613
; %bb.608:                              ;   in Loop: Header=BB318_523 Depth=1
	v_bfe_u32 v86, v13, 16, 7
	v_mov_b32_e32 v84, 0x7fc02000
	s_mov_b32 s16, exec_lo
	s_delay_alu instid0(VALU_DEP_2)
	v_cmpx_ne_u32_e32 0x7f, v86
	s_cbranch_execz .LBB318_612
; %bb.609:                              ;   in Loop: Header=BB318_523 Depth=1
	v_and_b32_e32 v2, 7, v17
	v_lshrrev_b32_e32 v18, 3, v86
	s_mov_b32 s17, exec_lo
	v_cmpx_gt_u32_e32 8, v86
; %bb.610:                              ;   in Loop: Header=BB318_523 Depth=1
	s_delay_alu instid0(VALU_DEP_3) | instskip(NEXT) | instid1(VALU_DEP_1)
	v_clz_i32_u32_e32 v18, v2
	v_min_u32_e32 v18, 32, v18
	s_delay_alu instid0(VALU_DEP_1) | instskip(SKIP_1) | instid1(VALU_DEP_2)
	v_subrev_nc_u32_e32 v84, 28, v18
	v_sub_nc_u32_e32 v18, 29, v18
	v_lshlrev_b64 v[86:87], v84, v[2:3]
	s_delay_alu instid0(VALU_DEP_1)
	v_and_b32_e32 v2, 7, v86
; %bb.611:                              ;   in Loop: Header=BB318_523 Depth=1
	s_or_b32 exec_lo, exec_lo, s17
	v_lshlrev_b32_e32 v17, 8, v17
	v_lshl_add_u32 v18, v18, 10, 0x2000
	s_delay_alu instid0(VALU_DEP_1) | instskip(NEXT) | instid1(VALU_DEP_1)
	v_and_or_b32 v17, 0x8000, v17, v18
	v_lshl_or_b32 v2, v2, 7, v17
	s_delay_alu instid0(VALU_DEP_1)
	v_cvt_f32_f16_e32 v84, v2
.LBB318_612:                            ;   in Loop: Header=BB318_523 Depth=1
	s_or_b32 exec_lo, exec_lo, s16
.LBB318_613:                            ;   in Loop: Header=BB318_523 Depth=1
	s_delay_alu instid0(SALU_CYCLE_1)
	s_or_b32 exec_lo, exec_lo, s15
.LBB318_614:                            ;   in Loop: Header=BB318_523 Depth=1
	s_delay_alu instid0(SALU_CYCLE_1) | instskip(NEXT) | instid1(SALU_CYCLE_1)
	s_or_b32 exec_lo, exec_lo, s13
	s_mov_b32 s13, exec_lo
	v_cmpx_lt_u32_e32 0xffffff, v13
	s_cbranch_execz .LBB318_622
; %bb.615:                              ;   in Loop: Header=BB318_523 Depth=1
	v_lshrrev_b32_e32 v17, 24, v13
	v_bfrev_b32_e32 v85, 1
	s_mov_b32 s15, exec_lo
	s_delay_alu instid0(VALU_DEP_2)
	v_cmpx_ne_u32_e32 0x80, v17
	s_cbranch_execz .LBB318_621
; %bb.616:                              ;   in Loop: Header=BB318_523 Depth=1
	v_and_b32_e32 v86, 0x7f, v17
	v_mov_b32_e32 v85, 0x7fc02000
	s_mov_b32 s16, exec_lo
	s_delay_alu instid0(VALU_DEP_2)
	v_cmpx_ne_u32_e32 0x7f, v86
	s_cbranch_execz .LBB318_620
; %bb.617:                              ;   in Loop: Header=BB318_523 Depth=1
	v_and_b32_e32 v2, 7, v17
	v_lshrrev_b32_e32 v18, 3, v86
	s_mov_b32 s17, exec_lo
	v_cmpx_gt_u32_e32 8, v86
; %bb.618:                              ;   in Loop: Header=BB318_523 Depth=1
	s_delay_alu instid0(VALU_DEP_3) | instskip(NEXT) | instid1(VALU_DEP_1)
	v_clz_i32_u32_e32 v18, v2
	v_min_u32_e32 v18, 32, v18
	s_delay_alu instid0(VALU_DEP_1) | instskip(SKIP_1) | instid1(VALU_DEP_2)
	v_subrev_nc_u32_e32 v85, 28, v18
	v_sub_nc_u32_e32 v18, 29, v18
	v_lshlrev_b64 v[85:86], v85, v[2:3]
	s_delay_alu instid0(VALU_DEP_1)
	v_and_b32_e32 v2, 7, v85
; %bb.619:                              ;   in Loop: Header=BB318_523 Depth=1
	s_or_b32 exec_lo, exec_lo, s17
	v_lshlrev_b32_e32 v17, 8, v17
	v_lshl_add_u32 v18, v18, 10, 0x2000
	s_delay_alu instid0(VALU_DEP_1) | instskip(NEXT) | instid1(VALU_DEP_1)
	v_and_or_b32 v17, 0x8000, v17, v18
	v_lshl_or_b32 v2, v2, 7, v17
	s_delay_alu instid0(VALU_DEP_1)
	v_cvt_f32_f16_e32 v85, v2
.LBB318_620:                            ;   in Loop: Header=BB318_523 Depth=1
	s_or_b32 exec_lo, exec_lo, s16
.LBB318_621:                            ;   in Loop: Header=BB318_523 Depth=1
	s_delay_alu instid0(SALU_CYCLE_1)
	s_or_b32 exec_lo, exec_lo, s15
.LBB318_622:                            ;   in Loop: Header=BB318_523 Depth=1
	s_delay_alu instid0(SALU_CYCLE_1) | instskip(SKIP_4) | instid1(VALU_DEP_3)
	s_or_b32 exec_lo, exec_lo, s13
	v_dual_mov_b32 v17, 0 :: v_dual_and_b32 v18, 0xff, v14
	v_mov_b32_e32 v2, v14
	v_mov_b32_e32 v86, 0
	s_mov_b32 s13, exec_lo
	v_cmpx_ne_u16_e32 0, v18
	s_cbranch_execz .LBB318_630
; %bb.623:                              ;   in Loop: Header=BB318_523 Depth=1
	v_bfrev_b32_e32 v17, 1
	s_mov_b32 s15, exec_lo
	v_cmpx_ne_u16_e32 0x80, v18
	s_cbranch_execz .LBB318_629
; %bb.624:                              ;   in Loop: Header=BB318_523 Depth=1
	v_and_b32_e32 v18, 0x7f, v14
	v_mov_b32_e32 v17, 0x7fc02000
	s_mov_b32 s16, exec_lo
	s_delay_alu instid0(VALU_DEP_2)
	v_cmpx_ne_u32_e32 0x7f, v18
	s_cbranch_execz .LBB318_628
; %bb.625:                              ;   in Loop: Header=BB318_523 Depth=1
	v_lshrrev_b32_e32 v87, 3, v18
	v_cmp_gt_u32_e64 s1, 8, v18
	v_dual_mov_b32 v18, v3 :: v_dual_mov_b32 v17, v2
	s_delay_alu instid0(VALU_DEP_2)
	s_and_saveexec_b32 s17, s1
; %bb.626:                              ;   in Loop: Header=BB318_523 Depth=1
	v_and_b32_e32 v17, 7, v14
	s_delay_alu instid0(VALU_DEP_1) | instskip(NEXT) | instid1(VALU_DEP_1)
	v_clz_i32_u32_e32 v17, v17
	v_min_u32_e32 v87, 32, v17
	s_delay_alu instid0(VALU_DEP_1) | instskip(SKIP_1) | instid1(VALU_DEP_2)
	v_subrev_nc_u32_e32 v17, 28, v87
	v_sub_nc_u32_e32 v87, 29, v87
	v_lshlrev_b64 v[17:18], v17, v[2:3]
; %bb.627:                              ;   in Loop: Header=BB318_523 Depth=1
	s_or_b32 exec_lo, exec_lo, s17
	v_lshlrev_b32_e32 v18, 8, v14
	s_delay_alu instid0(VALU_DEP_3) | instskip(NEXT) | instid1(VALU_DEP_3)
	v_lshl_add_u32 v87, v87, 10, 0x2000
	v_lshlrev_b32_e32 v17, 7, v17
	s_delay_alu instid0(VALU_DEP_2) | instskip(NEXT) | instid1(VALU_DEP_1)
	v_and_or_b32 v18, 0x8000, v18, v87
	v_and_or_b32 v17, 0x380, v17, v18
	s_delay_alu instid0(VALU_DEP_1)
	v_cvt_f32_f16_e32 v17, v17
.LBB318_628:                            ;   in Loop: Header=BB318_523 Depth=1
	s_or_b32 exec_lo, exec_lo, s16
.LBB318_629:                            ;   in Loop: Header=BB318_523 Depth=1
	s_delay_alu instid0(SALU_CYCLE_1)
	s_or_b32 exec_lo, exec_lo, s15
.LBB318_630:                            ;   in Loop: Header=BB318_523 Depth=1
	s_delay_alu instid0(SALU_CYCLE_1) | instskip(SKIP_2) | instid1(VALU_DEP_1)
	s_or_b32 exec_lo, exec_lo, s13
	v_lshrrev_b16 v2, 8, v2
	s_mov_b32 s13, exec_lo
	v_cmpx_ne_u16_e32 0, v2
	s_cbranch_execz .LBB318_638
; %bb.631:                              ;   in Loop: Header=BB318_523 Depth=1
	v_bfrev_b32_e32 v86, 1
	s_mov_b32 s15, exec_lo
	v_cmpx_ne_u16_e32 0x80, v2
	s_cbranch_execz .LBB318_637
; %bb.632:                              ;   in Loop: Header=BB318_523 Depth=1
	v_and_b32_e32 v18, 0xffff, v2
	v_mov_b32_e32 v86, 0x7fc02000
	s_mov_b32 s16, exec_lo
	s_delay_alu instid0(VALU_DEP_2) | instskip(NEXT) | instid1(VALU_DEP_1)
	v_and_b32_e32 v87, 0x7f, v18
	v_cmpx_ne_u32_e32 0x7f, v87
	s_cbranch_execz .LBB318_636
; %bb.633:                              ;   in Loop: Header=BB318_523 Depth=1
	v_and_b32_e32 v2, 7, v18
	v_lshrrev_b32_e32 v86, 3, v87
	s_mov_b32 s17, exec_lo
	v_cmpx_gt_u32_e32 8, v87
; %bb.634:                              ;   in Loop: Header=BB318_523 Depth=1
	s_delay_alu instid0(VALU_DEP_3) | instskip(NEXT) | instid1(VALU_DEP_1)
	v_clz_i32_u32_e32 v86, v2
	v_min_u32_e32 v86, 32, v86
	s_delay_alu instid0(VALU_DEP_1) | instskip(SKIP_1) | instid1(VALU_DEP_2)
	v_subrev_nc_u32_e32 v87, 28, v86
	v_sub_nc_u32_e32 v86, 29, v86
	v_lshlrev_b64 v[96:97], v87, v[2:3]
	s_delay_alu instid0(VALU_DEP_1)
	v_and_b32_e32 v2, 7, v96
; %bb.635:                              ;   in Loop: Header=BB318_523 Depth=1
	s_or_b32 exec_lo, exec_lo, s17
	v_lshlrev_b32_e32 v18, 8, v18
	v_lshl_add_u32 v86, v86, 10, 0x2000
	s_delay_alu instid0(VALU_DEP_1) | instskip(NEXT) | instid1(VALU_DEP_1)
	v_and_or_b32 v18, 0x8000, v18, v86
	v_lshl_or_b32 v2, v2, 7, v18
	s_delay_alu instid0(VALU_DEP_1)
	v_cvt_f32_f16_e32 v86, v2
.LBB318_636:                            ;   in Loop: Header=BB318_523 Depth=1
	s_or_b32 exec_lo, exec_lo, s16
.LBB318_637:                            ;   in Loop: Header=BB318_523 Depth=1
	s_delay_alu instid0(SALU_CYCLE_1)
	s_or_b32 exec_lo, exec_lo, s15
.LBB318_638:                            ;   in Loop: Header=BB318_523 Depth=1
	s_delay_alu instid0(SALU_CYCLE_1) | instskip(SKIP_3) | instid1(VALU_DEP_2)
	s_or_b32 exec_lo, exec_lo, s13
	v_lshrrev_b32_e32 v96, 16, v14
	v_mov_b32_e32 v18, 0
	s_mov_b32 s13, exec_lo
	v_dual_mov_b32 v87, 0 :: v_dual_and_b32 v2, 0xff, v96
	s_delay_alu instid0(VALU_DEP_1)
	v_cmpx_ne_u16_e32 0, v2
	s_cbranch_execz .LBB318_646
; %bb.639:                              ;   in Loop: Header=BB318_523 Depth=1
	v_bfrev_b32_e32 v18, 1
	s_mov_b32 s15, exec_lo
	v_cmpx_ne_u16_e32 0x80, v2
	s_cbranch_execz .LBB318_645
; %bb.640:                              ;   in Loop: Header=BB318_523 Depth=1
	v_bfe_u32 v97, v14, 16, 7
	v_mov_b32_e32 v18, 0x7fc02000
	s_mov_b32 s16, exec_lo
	s_delay_alu instid0(VALU_DEP_2)
	v_cmpx_ne_u32_e32 0x7f, v97
	s_cbranch_execz .LBB318_644
; %bb.641:                              ;   in Loop: Header=BB318_523 Depth=1
	v_and_b32_e32 v2, 7, v96
	v_lshrrev_b32_e32 v18, 3, v97
	s_mov_b32 s17, exec_lo
	v_cmpx_gt_u32_e32 8, v97
; %bb.642:                              ;   in Loop: Header=BB318_523 Depth=1
	s_delay_alu instid0(VALU_DEP_3) | instskip(NEXT) | instid1(VALU_DEP_1)
	v_clz_i32_u32_e32 v18, v2
	v_min_u32_e32 v18, 32, v18
	s_delay_alu instid0(VALU_DEP_1) | instskip(SKIP_1) | instid1(VALU_DEP_2)
	v_subrev_nc_u32_e32 v97, 28, v18
	v_sub_nc_u32_e32 v18, 29, v18
	v_lshlrev_b64 v[97:98], v97, v[2:3]
	s_delay_alu instid0(VALU_DEP_1)
	v_and_b32_e32 v2, 7, v97
; %bb.643:                              ;   in Loop: Header=BB318_523 Depth=1
	s_or_b32 exec_lo, exec_lo, s17
	v_lshlrev_b32_e32 v96, 8, v96
	v_lshl_add_u32 v18, v18, 10, 0x2000
	s_delay_alu instid0(VALU_DEP_1) | instskip(NEXT) | instid1(VALU_DEP_1)
	v_and_or_b32 v18, 0x8000, v96, v18
	v_lshl_or_b32 v2, v2, 7, v18
	s_delay_alu instid0(VALU_DEP_1)
	v_cvt_f32_f16_e32 v18, v2
.LBB318_644:                            ;   in Loop: Header=BB318_523 Depth=1
	s_or_b32 exec_lo, exec_lo, s16
.LBB318_645:                            ;   in Loop: Header=BB318_523 Depth=1
	s_delay_alu instid0(SALU_CYCLE_1)
	s_or_b32 exec_lo, exec_lo, s15
.LBB318_646:                            ;   in Loop: Header=BB318_523 Depth=1
	s_delay_alu instid0(SALU_CYCLE_1) | instskip(NEXT) | instid1(SALU_CYCLE_1)
	s_or_b32 exec_lo, exec_lo, s13
	s_mov_b32 s13, exec_lo
	v_cmpx_lt_u64_e64 s[8:9], v[13:14]
	s_cbranch_execz .LBB318_654
; %bb.647:                              ;   in Loop: Header=BB318_523 Depth=1
	v_lshrrev_b32_e32 v13, 24, v14
	v_bfrev_b32_e32 v87, 1
	s_mov_b32 s15, exec_lo
	s_delay_alu instid0(VALU_DEP_2)
	v_cmpx_ne_u32_e32 0x80, v13
	s_cbranch_execz .LBB318_653
; %bb.648:                              ;   in Loop: Header=BB318_523 Depth=1
	v_and_b32_e32 v96, 0x7f, v13
	v_mov_b32_e32 v87, 0x7fc02000
	s_mov_b32 s16, exec_lo
	s_delay_alu instid0(VALU_DEP_2)
	v_cmpx_ne_u32_e32 0x7f, v96
	s_cbranch_execz .LBB318_652
; %bb.649:                              ;   in Loop: Header=BB318_523 Depth=1
	v_and_b32_e32 v2, 7, v13
	v_lshrrev_b32_e32 v14, 3, v96
	s_mov_b32 s17, exec_lo
	v_cmpx_gt_u32_e32 8, v96
; %bb.650:                              ;   in Loop: Header=BB318_523 Depth=1
	s_delay_alu instid0(VALU_DEP_3) | instskip(NEXT) | instid1(VALU_DEP_1)
	v_clz_i32_u32_e32 v14, v2
	v_min_u32_e32 v14, 32, v14
	s_delay_alu instid0(VALU_DEP_1) | instskip(SKIP_1) | instid1(VALU_DEP_2)
	v_subrev_nc_u32_e32 v87, 28, v14
	v_sub_nc_u32_e32 v14, 29, v14
	v_lshlrev_b64 v[96:97], v87, v[2:3]
	s_delay_alu instid0(VALU_DEP_1)
	v_and_b32_e32 v2, 7, v96
; %bb.651:                              ;   in Loop: Header=BB318_523 Depth=1
	s_or_b32 exec_lo, exec_lo, s17
	v_lshlrev_b32_e32 v13, 8, v13
	v_lshl_add_u32 v14, v14, 10, 0x2000
	s_delay_alu instid0(VALU_DEP_1) | instskip(NEXT) | instid1(VALU_DEP_1)
	v_and_or_b32 v13, 0x8000, v13, v14
	v_lshl_or_b32 v2, v2, 7, v13
	s_delay_alu instid0(VALU_DEP_1)
	v_cvt_f32_f16_e32 v87, v2
.LBB318_652:                            ;   in Loop: Header=BB318_523 Depth=1
	s_or_b32 exec_lo, exec_lo, s16
.LBB318_653:                            ;   in Loop: Header=BB318_523 Depth=1
	s_delay_alu instid0(SALU_CYCLE_1)
	s_or_b32 exec_lo, exec_lo, s15
.LBB318_654:                            ;   in Loop: Header=BB318_523 Depth=1
	s_delay_alu instid0(SALU_CYCLE_1)
	s_or_b32 exec_lo, exec_lo, s13
	s_waitcnt vmcnt(0) lgkmcnt(0)
	v_fma_mixlo_f16 v14, v81, v83, 0
	v_fma_mixlo_f16 v2, v81, v85, 0
	;; [unrolled: 1-line block ×5, first 2 shown]
	v_lshlrev_b32_e32 v83, 16, v14
	v_fma_mixlo_f16 v17, v81, v17, 0
	v_fma_mixlo_f16 v85, v81, v87, 0
	;; [unrolled: 1-line block ×3, first 2 shown]
	v_lshlrev_b32_e32 v2, 16, v2
	v_and_b32_e32 v13, 0xffff, v13
	v_and_b32_e32 v18, 0xffff, v82
	v_lshlrev_b32_e32 v81, 16, v84
	v_and_b32_e32 v82, 0xffff, v17
	v_lshlrev_b32_e32 v84, 16, v85
	v_and_b32_e32 v85, 0xffff, v14
	v_or_b32_e32 v17, v2, v13
	v_or_b32_e32 v18, v83, v18
	;; [unrolled: 1-line block ×3, first 2 shown]
	s_delay_alu instid0(VALU_DEP_4)
	v_or_b32_e32 v13, v84, v85
	s_and_saveexec_b32 s13, s0
	s_cbranch_execz .LBB318_656
; %bb.655:                              ;   in Loop: Header=BB318_523 Depth=1
	v_add_nc_u32_e32 v81, 1, v66
	v_lshrrev_b32_e32 v82, 16, v18
	v_or_b32_e32 v83, 3, v66
	v_lshrrev_b32_e32 v84, 16, v17
	v_lshrrev_b32_e32 v85, 16, v2
	v_cmp_lt_i32_e64 s1, v81, v53
	v_lshrrev_b32_e32 v13, 16, v13
	v_or_b32_e32 v86, 6, v66
	s_delay_alu instid0(VALU_DEP_3) | instskip(SKIP_2) | instid1(VALU_DEP_2)
	v_cndmask_b32_e64 v81, 0, v82, s1
	v_cmp_lt_i32_e64 s1, v66, v35
	v_or_b32_e32 v82, 2, v66
	v_cndmask_b32_e64 v18, 0, v18, s1
	v_cmp_lt_i32_e64 s1, v83, v53
	s_delay_alu instid0(VALU_DEP_2) | instskip(NEXT) | instid1(VALU_DEP_2)
	v_perm_b32 v18, v81, v18, 0x5040100
	v_cndmask_b32_e64 v83, 0, v84, s1
	v_or_b32_e32 v84, 5, v66
	v_cmp_lt_i32_e64 s1, v82, v35
	v_or_b32_e32 v82, 4, v66
	s_delay_alu instid0(VALU_DEP_2) | instskip(NEXT) | instid1(VALU_DEP_4)
	v_cndmask_b32_e64 v17, 0, v17, s1
	v_cmp_lt_i32_e64 s1, v84, v53
	s_delay_alu instid0(VALU_DEP_2) | instskip(NEXT) | instid1(VALU_DEP_2)
	v_perm_b32 v17, v83, v17, 0x5040100
	v_cndmask_b32_e64 v84, 0, v85, s1
	v_or_b32_e32 v85, 7, v66
	v_cmp_lt_i32_e64 s1, v82, v35
	s_delay_alu instid0(VALU_DEP_1) | instskip(NEXT) | instid1(VALU_DEP_3)
	v_cndmask_b32_e64 v2, 0, v2, s1
	v_cmp_lt_i32_e64 s1, v85, v53
	s_delay_alu instid0(VALU_DEP_2) | instskip(NEXT) | instid1(VALU_DEP_2)
	v_perm_b32 v2, v84, v2, 0x5040100
	v_cndmask_b32_e64 v13, 0, v13, s1
	v_cmp_lt_i32_e64 s1, v86, v35
	s_delay_alu instid0(VALU_DEP_1) | instskip(NEXT) | instid1(VALU_DEP_1)
	v_cndmask_b32_e64 v14, 0, v14, s1
	v_perm_b32 v13, v13, v14, 0x5040100
.LBB318_656:                            ;   in Loop: Header=BB318_523 Depth=1
	s_or_b32 exec_lo, exec_lo, s13
	;;#ASMSTART
	v_pk_mul_f16 v14, v80, v18;

	;;#ASMEND
	;;#ASMSTART
	v_pk_mul_f16 v17, v71, v17;

	;;#ASMEND
	;; [unrolled: 4-line block ×4, first 2 shown]
	;;#ASMSTART
	v_pk_add_f16 v14, v14, v17;

	;;#ASMEND
	;;#ASMSTART
	v_pk_add_f16 v2, v14, v2;

	;;#ASMEND
	;; [unrolled: 4-line block ×3, first 2 shown]
	v_dual_mov_b32 v84, 0 :: v_dual_and_b32 v13, 0xffff, v2
	v_lshrrev_b32_e32 v2, 16, v2
	;;#ASMSTART
	v_cvt_f32_f16 v81, v13;
	;;#ASMEND
	;;#ASMSTART
	v_cvt_f32_f16 v82, v2;
	;;#ASMEND
	flat_load_b64 v[13:14], v[11:12] offset:512
	flat_load_b32 v83, v[26:27]
	s_mov_b32 s13, exec_lo
	s_waitcnt vmcnt(1) lgkmcnt(1)
	v_dual_mov_b32 v85, 0 :: v_dual_and_b32 v2, 0xff, v13
	s_delay_alu instid0(VALU_DEP_1)
	v_cmpx_ne_u16_e32 0, v2
	s_cbranch_execz .LBB318_664
; %bb.657:                              ;   in Loop: Header=BB318_523 Depth=1
	v_bfrev_b32_e32 v84, 1
	s_mov_b32 s15, exec_lo
	v_cmpx_ne_u16_e32 0x80, v2
	s_cbranch_execz .LBB318_663
; %bb.658:                              ;   in Loop: Header=BB318_523 Depth=1
	v_and_b32_e32 v17, 0x7f, v13
	v_mov_b32_e32 v84, 0x7fc02000
	s_mov_b32 s16, exec_lo
	s_delay_alu instid0(VALU_DEP_2)
	v_cmpx_ne_u32_e32 0x7f, v17
	s_cbranch_execz .LBB318_662
; %bb.659:                              ;   in Loop: Header=BB318_523 Depth=1
	v_lshrrev_b32_e32 v2, 3, v17
	v_cmp_gt_u32_e64 s1, 8, v17
	v_dual_mov_b32 v18, v14 :: v_dual_mov_b32 v17, v13
	s_delay_alu instid0(VALU_DEP_2)
	s_and_saveexec_b32 s17, s1
; %bb.660:                              ;   in Loop: Header=BB318_523 Depth=1
	v_and_b32_e32 v2, 7, v13
	s_delay_alu instid0(VALU_DEP_1) | instskip(NEXT) | instid1(VALU_DEP_1)
	v_clz_i32_u32_e32 v2, v2
	v_min_u32_e32 v2, 32, v2
	s_delay_alu instid0(VALU_DEP_1) | instskip(SKIP_1) | instid1(VALU_DEP_2)
	v_subrev_nc_u32_e32 v17, 28, v2
	v_sub_nc_u32_e32 v2, 29, v2
	v_lshlrev_b64 v[17:18], v17, v[13:14]
; %bb.661:                              ;   in Loop: Header=BB318_523 Depth=1
	s_or_b32 exec_lo, exec_lo, s17
	v_lshlrev_b32_e32 v18, 8, v13
	s_delay_alu instid0(VALU_DEP_3) | instskip(NEXT) | instid1(VALU_DEP_3)
	v_lshl_add_u32 v2, v2, 10, 0x2000
	v_lshlrev_b32_e32 v17, 7, v17
	s_delay_alu instid0(VALU_DEP_2) | instskip(NEXT) | instid1(VALU_DEP_1)
	v_and_or_b32 v2, 0x8000, v18, v2
	v_and_or_b32 v2, 0x380, v17, v2
	s_delay_alu instid0(VALU_DEP_1)
	v_cvt_f32_f16_e32 v84, v2
.LBB318_662:                            ;   in Loop: Header=BB318_523 Depth=1
	s_or_b32 exec_lo, exec_lo, s16
.LBB318_663:                            ;   in Loop: Header=BB318_523 Depth=1
	s_delay_alu instid0(SALU_CYCLE_1)
	s_or_b32 exec_lo, exec_lo, s15
.LBB318_664:                            ;   in Loop: Header=BB318_523 Depth=1
	s_delay_alu instid0(SALU_CYCLE_1) | instskip(SKIP_2) | instid1(VALU_DEP_1)
	s_or_b32 exec_lo, exec_lo, s13
	v_lshrrev_b16 v2, 8, v13
	s_mov_b32 s13, exec_lo
	v_cmpx_ne_u16_e32 0, v2
	s_cbranch_execz .LBB318_672
; %bb.665:                              ;   in Loop: Header=BB318_523 Depth=1
	v_bfrev_b32_e32 v85, 1
	s_mov_b32 s15, exec_lo
	v_cmpx_ne_u16_e32 0x80, v2
	s_cbranch_execz .LBB318_671
; %bb.666:                              ;   in Loop: Header=BB318_523 Depth=1
	v_and_b32_e32 v17, 0xffff, v2
	v_mov_b32_e32 v85, 0x7fc02000
	s_mov_b32 s16, exec_lo
	s_delay_alu instid0(VALU_DEP_2) | instskip(NEXT) | instid1(VALU_DEP_1)
	v_and_b32_e32 v86, 0x7f, v17
	v_cmpx_ne_u32_e32 0x7f, v86
	s_cbranch_execz .LBB318_670
; %bb.667:                              ;   in Loop: Header=BB318_523 Depth=1
	v_and_b32_e32 v2, 7, v17
	v_lshrrev_b32_e32 v18, 3, v86
	s_mov_b32 s17, exec_lo
	v_cmpx_gt_u32_e32 8, v86
; %bb.668:                              ;   in Loop: Header=BB318_523 Depth=1
	s_delay_alu instid0(VALU_DEP_3) | instskip(NEXT) | instid1(VALU_DEP_1)
	v_clz_i32_u32_e32 v18, v2
	v_min_u32_e32 v18, 32, v18
	s_delay_alu instid0(VALU_DEP_1) | instskip(SKIP_1) | instid1(VALU_DEP_2)
	v_subrev_nc_u32_e32 v85, 28, v18
	v_sub_nc_u32_e32 v18, 29, v18
	v_lshlrev_b64 v[85:86], v85, v[2:3]
	s_delay_alu instid0(VALU_DEP_1)
	v_and_b32_e32 v2, 7, v85
; %bb.669:                              ;   in Loop: Header=BB318_523 Depth=1
	s_or_b32 exec_lo, exec_lo, s17
	v_lshlrev_b32_e32 v17, 8, v17
	v_lshl_add_u32 v18, v18, 10, 0x2000
	s_delay_alu instid0(VALU_DEP_1) | instskip(NEXT) | instid1(VALU_DEP_1)
	v_and_or_b32 v17, 0x8000, v17, v18
	v_lshl_or_b32 v2, v2, 7, v17
	s_delay_alu instid0(VALU_DEP_1)
	v_cvt_f32_f16_e32 v85, v2
.LBB318_670:                            ;   in Loop: Header=BB318_523 Depth=1
	s_or_b32 exec_lo, exec_lo, s16
.LBB318_671:                            ;   in Loop: Header=BB318_523 Depth=1
	s_delay_alu instid0(SALU_CYCLE_1)
	s_or_b32 exec_lo, exec_lo, s15
.LBB318_672:                            ;   in Loop: Header=BB318_523 Depth=1
	s_delay_alu instid0(SALU_CYCLE_1) | instskip(SKIP_3) | instid1(VALU_DEP_2)
	s_or_b32 exec_lo, exec_lo, s13
	v_lshrrev_b32_e32 v17, 16, v13
	v_mov_b32_e32 v86, 0
	s_mov_b32 s13, exec_lo
	v_dual_mov_b32 v87, 0 :: v_dual_and_b32 v2, 0xff, v17
	s_delay_alu instid0(VALU_DEP_1)
	v_cmpx_ne_u16_e32 0, v2
	s_cbranch_execz .LBB318_680
; %bb.673:                              ;   in Loop: Header=BB318_523 Depth=1
	v_bfrev_b32_e32 v86, 1
	s_mov_b32 s15, exec_lo
	v_cmpx_ne_u16_e32 0x80, v2
	s_cbranch_execz .LBB318_679
; %bb.674:                              ;   in Loop: Header=BB318_523 Depth=1
	v_bfe_u32 v96, v13, 16, 7
	v_mov_b32_e32 v86, 0x7fc02000
	s_mov_b32 s16, exec_lo
	s_delay_alu instid0(VALU_DEP_2)
	v_cmpx_ne_u32_e32 0x7f, v96
	s_cbranch_execz .LBB318_678
; %bb.675:                              ;   in Loop: Header=BB318_523 Depth=1
	v_and_b32_e32 v2, 7, v17
	v_lshrrev_b32_e32 v18, 3, v96
	s_mov_b32 s17, exec_lo
	v_cmpx_gt_u32_e32 8, v96
; %bb.676:                              ;   in Loop: Header=BB318_523 Depth=1
	s_delay_alu instid0(VALU_DEP_3) | instskip(NEXT) | instid1(VALU_DEP_1)
	v_clz_i32_u32_e32 v18, v2
	v_min_u32_e32 v18, 32, v18
	s_delay_alu instid0(VALU_DEP_1) | instskip(SKIP_1) | instid1(VALU_DEP_2)
	v_subrev_nc_u32_e32 v86, 28, v18
	v_sub_nc_u32_e32 v18, 29, v18
	v_lshlrev_b64 v[96:97], v86, v[2:3]
	s_delay_alu instid0(VALU_DEP_1)
	v_and_b32_e32 v2, 7, v96
; %bb.677:                              ;   in Loop: Header=BB318_523 Depth=1
	s_or_b32 exec_lo, exec_lo, s17
	v_lshlrev_b32_e32 v17, 8, v17
	v_lshl_add_u32 v18, v18, 10, 0x2000
	s_delay_alu instid0(VALU_DEP_1) | instskip(NEXT) | instid1(VALU_DEP_1)
	v_and_or_b32 v17, 0x8000, v17, v18
	v_lshl_or_b32 v2, v2, 7, v17
	s_delay_alu instid0(VALU_DEP_1)
	v_cvt_f32_f16_e32 v86, v2
.LBB318_678:                            ;   in Loop: Header=BB318_523 Depth=1
	s_or_b32 exec_lo, exec_lo, s16
.LBB318_679:                            ;   in Loop: Header=BB318_523 Depth=1
	s_delay_alu instid0(SALU_CYCLE_1)
	s_or_b32 exec_lo, exec_lo, s15
.LBB318_680:                            ;   in Loop: Header=BB318_523 Depth=1
	s_delay_alu instid0(SALU_CYCLE_1) | instskip(NEXT) | instid1(SALU_CYCLE_1)
	s_or_b32 exec_lo, exec_lo, s13
	s_mov_b32 s13, exec_lo
	v_cmpx_lt_u32_e32 0xffffff, v13
	s_cbranch_execz .LBB318_688
; %bb.681:                              ;   in Loop: Header=BB318_523 Depth=1
	v_lshrrev_b32_e32 v17, 24, v13
	v_bfrev_b32_e32 v87, 1
	s_mov_b32 s15, exec_lo
	s_delay_alu instid0(VALU_DEP_2)
	v_cmpx_ne_u32_e32 0x80, v17
	s_cbranch_execz .LBB318_687
; %bb.682:                              ;   in Loop: Header=BB318_523 Depth=1
	v_and_b32_e32 v96, 0x7f, v17
	v_mov_b32_e32 v87, 0x7fc02000
	s_mov_b32 s16, exec_lo
	s_delay_alu instid0(VALU_DEP_2)
	v_cmpx_ne_u32_e32 0x7f, v96
	s_cbranch_execz .LBB318_686
; %bb.683:                              ;   in Loop: Header=BB318_523 Depth=1
	v_and_b32_e32 v2, 7, v17
	v_lshrrev_b32_e32 v18, 3, v96
	s_mov_b32 s17, exec_lo
	v_cmpx_gt_u32_e32 8, v96
; %bb.684:                              ;   in Loop: Header=BB318_523 Depth=1
	s_delay_alu instid0(VALU_DEP_3) | instskip(NEXT) | instid1(VALU_DEP_1)
	v_clz_i32_u32_e32 v18, v2
	v_min_u32_e32 v18, 32, v18
	s_delay_alu instid0(VALU_DEP_1) | instskip(SKIP_1) | instid1(VALU_DEP_2)
	v_subrev_nc_u32_e32 v87, 28, v18
	v_sub_nc_u32_e32 v18, 29, v18
	v_lshlrev_b64 v[96:97], v87, v[2:3]
	s_delay_alu instid0(VALU_DEP_1)
	v_and_b32_e32 v2, 7, v96
; %bb.685:                              ;   in Loop: Header=BB318_523 Depth=1
	s_or_b32 exec_lo, exec_lo, s17
	v_lshlrev_b32_e32 v17, 8, v17
	v_lshl_add_u32 v18, v18, 10, 0x2000
	s_delay_alu instid0(VALU_DEP_1) | instskip(NEXT) | instid1(VALU_DEP_1)
	v_and_or_b32 v17, 0x8000, v17, v18
	v_lshl_or_b32 v2, v2, 7, v17
	s_delay_alu instid0(VALU_DEP_1)
	v_cvt_f32_f16_e32 v87, v2
.LBB318_686:                            ;   in Loop: Header=BB318_523 Depth=1
	s_or_b32 exec_lo, exec_lo, s16
.LBB318_687:                            ;   in Loop: Header=BB318_523 Depth=1
	s_delay_alu instid0(SALU_CYCLE_1)
	s_or_b32 exec_lo, exec_lo, s15
.LBB318_688:                            ;   in Loop: Header=BB318_523 Depth=1
	s_delay_alu instid0(SALU_CYCLE_1) | instskip(SKIP_4) | instid1(VALU_DEP_3)
	s_or_b32 exec_lo, exec_lo, s13
	v_dual_mov_b32 v17, 0 :: v_dual_and_b32 v18, 0xff, v14
	v_mov_b32_e32 v2, v14
	v_mov_b32_e32 v96, 0
	s_mov_b32 s13, exec_lo
	v_cmpx_ne_u16_e32 0, v18
	s_cbranch_execz .LBB318_696
; %bb.689:                              ;   in Loop: Header=BB318_523 Depth=1
	v_bfrev_b32_e32 v17, 1
	s_mov_b32 s15, exec_lo
	v_cmpx_ne_u16_e32 0x80, v18
	s_cbranch_execz .LBB318_695
; %bb.690:                              ;   in Loop: Header=BB318_523 Depth=1
	v_and_b32_e32 v18, 0x7f, v14
	v_mov_b32_e32 v17, 0x7fc02000
	s_mov_b32 s16, exec_lo
	s_delay_alu instid0(VALU_DEP_2)
	v_cmpx_ne_u32_e32 0x7f, v18
	s_cbranch_execz .LBB318_694
; %bb.691:                              ;   in Loop: Header=BB318_523 Depth=1
	v_lshrrev_b32_e32 v97, 3, v18
	v_cmp_gt_u32_e64 s1, 8, v18
	v_dual_mov_b32 v18, v3 :: v_dual_mov_b32 v17, v2
	s_delay_alu instid0(VALU_DEP_2)
	s_and_saveexec_b32 s17, s1
; %bb.692:                              ;   in Loop: Header=BB318_523 Depth=1
	v_and_b32_e32 v17, 7, v14
	s_delay_alu instid0(VALU_DEP_1) | instskip(NEXT) | instid1(VALU_DEP_1)
	v_clz_i32_u32_e32 v17, v17
	v_min_u32_e32 v97, 32, v17
	s_delay_alu instid0(VALU_DEP_1) | instskip(SKIP_1) | instid1(VALU_DEP_2)
	v_subrev_nc_u32_e32 v17, 28, v97
	v_sub_nc_u32_e32 v97, 29, v97
	v_lshlrev_b64 v[17:18], v17, v[2:3]
; %bb.693:                              ;   in Loop: Header=BB318_523 Depth=1
	s_or_b32 exec_lo, exec_lo, s17
	v_lshlrev_b32_e32 v18, 8, v14
	s_delay_alu instid0(VALU_DEP_3) | instskip(NEXT) | instid1(VALU_DEP_3)
	v_lshl_add_u32 v97, v97, 10, 0x2000
	v_lshlrev_b32_e32 v17, 7, v17
	s_delay_alu instid0(VALU_DEP_2) | instskip(NEXT) | instid1(VALU_DEP_1)
	v_and_or_b32 v18, 0x8000, v18, v97
	v_and_or_b32 v17, 0x380, v17, v18
	s_delay_alu instid0(VALU_DEP_1)
	v_cvt_f32_f16_e32 v17, v17
.LBB318_694:                            ;   in Loop: Header=BB318_523 Depth=1
	s_or_b32 exec_lo, exec_lo, s16
.LBB318_695:                            ;   in Loop: Header=BB318_523 Depth=1
	s_delay_alu instid0(SALU_CYCLE_1)
	s_or_b32 exec_lo, exec_lo, s15
.LBB318_696:                            ;   in Loop: Header=BB318_523 Depth=1
	s_delay_alu instid0(SALU_CYCLE_1) | instskip(SKIP_2) | instid1(VALU_DEP_1)
	s_or_b32 exec_lo, exec_lo, s13
	v_lshrrev_b16 v2, 8, v2
	s_mov_b32 s13, exec_lo
	v_cmpx_ne_u16_e32 0, v2
	s_cbranch_execz .LBB318_704
; %bb.697:                              ;   in Loop: Header=BB318_523 Depth=1
	v_bfrev_b32_e32 v96, 1
	s_mov_b32 s15, exec_lo
	v_cmpx_ne_u16_e32 0x80, v2
	s_cbranch_execz .LBB318_703
; %bb.698:                              ;   in Loop: Header=BB318_523 Depth=1
	v_and_b32_e32 v18, 0xffff, v2
	v_mov_b32_e32 v96, 0x7fc02000
	s_mov_b32 s16, exec_lo
	s_delay_alu instid0(VALU_DEP_2) | instskip(NEXT) | instid1(VALU_DEP_1)
	v_and_b32_e32 v97, 0x7f, v18
	v_cmpx_ne_u32_e32 0x7f, v97
	s_cbranch_execz .LBB318_702
; %bb.699:                              ;   in Loop: Header=BB318_523 Depth=1
	v_and_b32_e32 v2, 7, v18
	v_lshrrev_b32_e32 v96, 3, v97
	s_mov_b32 s17, exec_lo
	v_cmpx_gt_u32_e32 8, v97
; %bb.700:                              ;   in Loop: Header=BB318_523 Depth=1
	s_delay_alu instid0(VALU_DEP_3) | instskip(NEXT) | instid1(VALU_DEP_1)
	v_clz_i32_u32_e32 v96, v2
	v_min_u32_e32 v96, 32, v96
	s_delay_alu instid0(VALU_DEP_1) | instskip(SKIP_1) | instid1(VALU_DEP_2)
	v_subrev_nc_u32_e32 v97, 28, v96
	v_sub_nc_u32_e32 v96, 29, v96
	v_lshlrev_b64 v[97:98], v97, v[2:3]
	s_delay_alu instid0(VALU_DEP_1)
	v_and_b32_e32 v2, 7, v97
; %bb.701:                              ;   in Loop: Header=BB318_523 Depth=1
	s_or_b32 exec_lo, exec_lo, s17
	v_lshlrev_b32_e32 v18, 8, v18
	v_lshl_add_u32 v96, v96, 10, 0x2000
	s_delay_alu instid0(VALU_DEP_1) | instskip(NEXT) | instid1(VALU_DEP_1)
	v_and_or_b32 v18, 0x8000, v18, v96
	v_lshl_or_b32 v2, v2, 7, v18
	s_delay_alu instid0(VALU_DEP_1)
	v_cvt_f32_f16_e32 v96, v2
.LBB318_702:                            ;   in Loop: Header=BB318_523 Depth=1
	s_or_b32 exec_lo, exec_lo, s16
.LBB318_703:                            ;   in Loop: Header=BB318_523 Depth=1
	s_delay_alu instid0(SALU_CYCLE_1)
	s_or_b32 exec_lo, exec_lo, s15
.LBB318_704:                            ;   in Loop: Header=BB318_523 Depth=1
	s_delay_alu instid0(SALU_CYCLE_1) | instskip(SKIP_3) | instid1(VALU_DEP_2)
	s_or_b32 exec_lo, exec_lo, s13
	v_lshrrev_b32_e32 v98, 16, v14
	v_mov_b32_e32 v18, 0
	s_mov_b32 s13, exec_lo
	v_dual_mov_b32 v97, 0 :: v_dual_and_b32 v2, 0xff, v98
	s_delay_alu instid0(VALU_DEP_1)
	v_cmpx_ne_u16_e32 0, v2
	s_cbranch_execz .LBB318_712
; %bb.705:                              ;   in Loop: Header=BB318_523 Depth=1
	v_bfrev_b32_e32 v18, 1
	s_mov_b32 s15, exec_lo
	v_cmpx_ne_u16_e32 0x80, v2
	s_cbranch_execz .LBB318_711
; %bb.706:                              ;   in Loop: Header=BB318_523 Depth=1
	v_bfe_u32 v99, v14, 16, 7
	v_mov_b32_e32 v18, 0x7fc02000
	s_mov_b32 s16, exec_lo
	s_delay_alu instid0(VALU_DEP_2)
	v_cmpx_ne_u32_e32 0x7f, v99
	s_cbranch_execz .LBB318_710
; %bb.707:                              ;   in Loop: Header=BB318_523 Depth=1
	v_and_b32_e32 v2, 7, v98
	v_lshrrev_b32_e32 v18, 3, v99
	s_mov_b32 s17, exec_lo
	v_cmpx_gt_u32_e32 8, v99
; %bb.708:                              ;   in Loop: Header=BB318_523 Depth=1
	s_delay_alu instid0(VALU_DEP_3) | instskip(NEXT) | instid1(VALU_DEP_1)
	v_clz_i32_u32_e32 v18, v2
	v_min_u32_e32 v18, 32, v18
	s_delay_alu instid0(VALU_DEP_1) | instskip(SKIP_1) | instid1(VALU_DEP_2)
	v_subrev_nc_u32_e32 v99, 28, v18
	v_sub_nc_u32_e32 v18, 29, v18
	v_lshlrev_b64 v[99:100], v99, v[2:3]
	s_delay_alu instid0(VALU_DEP_1)
	v_and_b32_e32 v2, 7, v99
; %bb.709:                              ;   in Loop: Header=BB318_523 Depth=1
	s_or_b32 exec_lo, exec_lo, s17
	v_lshlrev_b32_e32 v98, 8, v98
	v_lshl_add_u32 v18, v18, 10, 0x2000
	s_delay_alu instid0(VALU_DEP_1) | instskip(NEXT) | instid1(VALU_DEP_1)
	v_and_or_b32 v18, 0x8000, v98, v18
	v_lshl_or_b32 v2, v2, 7, v18
	s_delay_alu instid0(VALU_DEP_1)
	v_cvt_f32_f16_e32 v18, v2
.LBB318_710:                            ;   in Loop: Header=BB318_523 Depth=1
	s_or_b32 exec_lo, exec_lo, s16
.LBB318_711:                            ;   in Loop: Header=BB318_523 Depth=1
	s_delay_alu instid0(SALU_CYCLE_1)
	s_or_b32 exec_lo, exec_lo, s15
.LBB318_712:                            ;   in Loop: Header=BB318_523 Depth=1
	s_delay_alu instid0(SALU_CYCLE_1) | instskip(NEXT) | instid1(SALU_CYCLE_1)
	s_or_b32 exec_lo, exec_lo, s13
	s_mov_b32 s13, exec_lo
	v_cmpx_lt_u64_e64 s[8:9], v[13:14]
	s_cbranch_execz .LBB318_720
; %bb.713:                              ;   in Loop: Header=BB318_523 Depth=1
	v_lshrrev_b32_e32 v13, 24, v14
	v_bfrev_b32_e32 v97, 1
	s_mov_b32 s15, exec_lo
	s_delay_alu instid0(VALU_DEP_2)
	v_cmpx_ne_u32_e32 0x80, v13
	s_cbranch_execz .LBB318_719
; %bb.714:                              ;   in Loop: Header=BB318_523 Depth=1
	v_and_b32_e32 v98, 0x7f, v13
	v_mov_b32_e32 v97, 0x7fc02000
	s_mov_b32 s16, exec_lo
	s_delay_alu instid0(VALU_DEP_2)
	v_cmpx_ne_u32_e32 0x7f, v98
	s_cbranch_execz .LBB318_718
; %bb.715:                              ;   in Loop: Header=BB318_523 Depth=1
	v_and_b32_e32 v2, 7, v13
	v_lshrrev_b32_e32 v14, 3, v98
	s_mov_b32 s17, exec_lo
	v_cmpx_gt_u32_e32 8, v98
; %bb.716:                              ;   in Loop: Header=BB318_523 Depth=1
	s_delay_alu instid0(VALU_DEP_3) | instskip(NEXT) | instid1(VALU_DEP_1)
	v_clz_i32_u32_e32 v14, v2
	v_min_u32_e32 v14, 32, v14
	s_delay_alu instid0(VALU_DEP_1) | instskip(SKIP_1) | instid1(VALU_DEP_2)
	v_subrev_nc_u32_e32 v97, 28, v14
	v_sub_nc_u32_e32 v14, 29, v14
	v_lshlrev_b64 v[97:98], v97, v[2:3]
	s_delay_alu instid0(VALU_DEP_1)
	v_and_b32_e32 v2, 7, v97
; %bb.717:                              ;   in Loop: Header=BB318_523 Depth=1
	s_or_b32 exec_lo, exec_lo, s17
	v_lshlrev_b32_e32 v13, 8, v13
	v_lshl_add_u32 v14, v14, 10, 0x2000
	s_delay_alu instid0(VALU_DEP_1) | instskip(NEXT) | instid1(VALU_DEP_1)
	v_and_or_b32 v13, 0x8000, v13, v14
	v_lshl_or_b32 v2, v2, 7, v13
	s_delay_alu instid0(VALU_DEP_1)
	v_cvt_f32_f16_e32 v97, v2
.LBB318_718:                            ;   in Loop: Header=BB318_523 Depth=1
	s_or_b32 exec_lo, exec_lo, s16
.LBB318_719:                            ;   in Loop: Header=BB318_523 Depth=1
	s_delay_alu instid0(SALU_CYCLE_1)
	s_or_b32 exec_lo, exec_lo, s15
.LBB318_720:                            ;   in Loop: Header=BB318_523 Depth=1
	s_delay_alu instid0(SALU_CYCLE_1)
	s_or_b32 exec_lo, exec_lo, s13
	s_waitcnt vmcnt(0) lgkmcnt(0)
	v_fma_mixlo_f16 v14, v83, v85, 0
	v_fma_mixlo_f16 v2, v83, v87, 0
	;; [unrolled: 1-line block ×5, first 2 shown]
	v_lshlrev_b32_e32 v85, 16, v14
	v_fma_mixlo_f16 v17, v83, v17, 0
	v_fma_mixlo_f16 v87, v83, v97, 0
	;; [unrolled: 1-line block ×3, first 2 shown]
	v_lshlrev_b32_e32 v2, 16, v2
	v_and_b32_e32 v13, 0xffff, v13
	v_and_b32_e32 v18, 0xffff, v84
	v_lshlrev_b32_e32 v83, 16, v86
	v_and_b32_e32 v84, 0xffff, v17
	v_lshlrev_b32_e32 v86, 16, v87
	v_and_b32_e32 v87, 0xffff, v14
	v_or_b32_e32 v17, v2, v13
	v_or_b32_e32 v18, v85, v18
	;; [unrolled: 1-line block ×3, first 2 shown]
	s_delay_alu instid0(VALU_DEP_4)
	v_or_b32_e32 v13, v86, v87
	s_and_saveexec_b32 s13, s0
	s_cbranch_execz .LBB318_722
; %bb.721:                              ;   in Loop: Header=BB318_523 Depth=1
	v_add_nc_u32_e32 v83, 1, v66
	v_lshrrev_b32_e32 v84, 16, v18
	v_or_b32_e32 v85, 3, v66
	v_lshrrev_b32_e32 v86, 16, v17
	v_lshrrev_b32_e32 v87, 16, v2
	v_cmp_lt_i32_e64 s1, v83, v53
	v_lshrrev_b32_e32 v13, 16, v13
	v_or_b32_e32 v96, 6, v66
	s_delay_alu instid0(VALU_DEP_3) | instskip(SKIP_2) | instid1(VALU_DEP_2)
	v_cndmask_b32_e64 v83, 0, v84, s1
	v_cmp_lt_i32_e64 s1, v66, v35
	v_or_b32_e32 v84, 2, v66
	v_cndmask_b32_e64 v18, 0, v18, s1
	v_cmp_lt_i32_e64 s1, v85, v53
	s_delay_alu instid0(VALU_DEP_2) | instskip(NEXT) | instid1(VALU_DEP_2)
	v_perm_b32 v18, v83, v18, 0x5040100
	v_cndmask_b32_e64 v85, 0, v86, s1
	v_or_b32_e32 v86, 5, v66
	v_cmp_lt_i32_e64 s1, v84, v35
	v_or_b32_e32 v84, 4, v66
	s_delay_alu instid0(VALU_DEP_2) | instskip(NEXT) | instid1(VALU_DEP_4)
	v_cndmask_b32_e64 v17, 0, v17, s1
	v_cmp_lt_i32_e64 s1, v86, v53
	s_delay_alu instid0(VALU_DEP_2) | instskip(NEXT) | instid1(VALU_DEP_2)
	v_perm_b32 v17, v85, v17, 0x5040100
	v_cndmask_b32_e64 v86, 0, v87, s1
	v_or_b32_e32 v87, 7, v66
	v_cmp_lt_i32_e64 s1, v84, v35
	s_delay_alu instid0(VALU_DEP_1) | instskip(NEXT) | instid1(VALU_DEP_3)
	v_cndmask_b32_e64 v2, 0, v2, s1
	v_cmp_lt_i32_e64 s1, v87, v53
	s_delay_alu instid0(VALU_DEP_2) | instskip(NEXT) | instid1(VALU_DEP_2)
	v_perm_b32 v2, v86, v2, 0x5040100
	v_cndmask_b32_e64 v13, 0, v13, s1
	v_cmp_lt_i32_e64 s1, v96, v35
	s_delay_alu instid0(VALU_DEP_1) | instskip(NEXT) | instid1(VALU_DEP_1)
	v_cndmask_b32_e64 v14, 0, v14, s1
	v_perm_b32 v13, v13, v14, 0x5040100
.LBB318_722:                            ;   in Loop: Header=BB318_523 Depth=1
	s_or_b32 exec_lo, exec_lo, s13
	;;#ASMSTART
	v_pk_mul_f16 v14, v80, v18;

	;;#ASMEND
	;;#ASMSTART
	v_pk_mul_f16 v17, v71, v17;

	;;#ASMEND
	;;#ASMSTART
	v_pk_mul_f16 v2, v70, v2;

	;;#ASMEND
	;;#ASMSTART
	v_pk_mul_f16 v13, v69, v13;

	;;#ASMEND
	;;#ASMSTART
	v_pk_add_f16 v14, v14, v17;

	;;#ASMEND
	;;#ASMSTART
	v_pk_add_f16 v2, v14, v2;

	;;#ASMEND
	;; [unrolled: 4-line block ×3, first 2 shown]
	v_dual_mov_b32 v86, 0 :: v_dual_and_b32 v13, 0xffff, v2
	v_lshrrev_b32_e32 v2, 16, v2
	;;#ASMSTART
	v_cvt_f32_f16 v83, v13;
	;;#ASMEND
	;;#ASMSTART
	v_cvt_f32_f16 v84, v2;
	;;#ASMEND
	flat_load_b64 v[13:14], v[11:12] offset:768
	flat_load_b32 v85, v[26:27]
	s_mov_b32 s13, exec_lo
	s_waitcnt vmcnt(1) lgkmcnt(1)
	v_dual_mov_b32 v87, 0 :: v_dual_and_b32 v2, 0xff, v13
	s_delay_alu instid0(VALU_DEP_1)
	v_cmpx_ne_u16_e32 0, v2
	s_cbranch_execz .LBB318_730
; %bb.723:                              ;   in Loop: Header=BB318_523 Depth=1
	v_bfrev_b32_e32 v86, 1
	s_mov_b32 s15, exec_lo
	v_cmpx_ne_u16_e32 0x80, v2
	s_cbranch_execz .LBB318_729
; %bb.724:                              ;   in Loop: Header=BB318_523 Depth=1
	v_and_b32_e32 v17, 0x7f, v13
	v_mov_b32_e32 v86, 0x7fc02000
	s_mov_b32 s16, exec_lo
	s_delay_alu instid0(VALU_DEP_2)
	v_cmpx_ne_u32_e32 0x7f, v17
	s_cbranch_execz .LBB318_728
; %bb.725:                              ;   in Loop: Header=BB318_523 Depth=1
	v_lshrrev_b32_e32 v2, 3, v17
	v_cmp_gt_u32_e64 s1, 8, v17
	v_dual_mov_b32 v18, v14 :: v_dual_mov_b32 v17, v13
	s_delay_alu instid0(VALU_DEP_2)
	s_and_saveexec_b32 s17, s1
; %bb.726:                              ;   in Loop: Header=BB318_523 Depth=1
	v_and_b32_e32 v2, 7, v13
	s_delay_alu instid0(VALU_DEP_1) | instskip(NEXT) | instid1(VALU_DEP_1)
	v_clz_i32_u32_e32 v2, v2
	v_min_u32_e32 v2, 32, v2
	s_delay_alu instid0(VALU_DEP_1) | instskip(SKIP_1) | instid1(VALU_DEP_2)
	v_subrev_nc_u32_e32 v17, 28, v2
	v_sub_nc_u32_e32 v2, 29, v2
	v_lshlrev_b64 v[17:18], v17, v[13:14]
; %bb.727:                              ;   in Loop: Header=BB318_523 Depth=1
	s_or_b32 exec_lo, exec_lo, s17
	v_lshlrev_b32_e32 v18, 8, v13
	s_delay_alu instid0(VALU_DEP_3) | instskip(NEXT) | instid1(VALU_DEP_3)
	v_lshl_add_u32 v2, v2, 10, 0x2000
	v_lshlrev_b32_e32 v17, 7, v17
	s_delay_alu instid0(VALU_DEP_2) | instskip(NEXT) | instid1(VALU_DEP_1)
	v_and_or_b32 v2, 0x8000, v18, v2
	v_and_or_b32 v2, 0x380, v17, v2
	s_delay_alu instid0(VALU_DEP_1)
	v_cvt_f32_f16_e32 v86, v2
.LBB318_728:                            ;   in Loop: Header=BB318_523 Depth=1
	s_or_b32 exec_lo, exec_lo, s16
.LBB318_729:                            ;   in Loop: Header=BB318_523 Depth=1
	s_delay_alu instid0(SALU_CYCLE_1)
	s_or_b32 exec_lo, exec_lo, s15
.LBB318_730:                            ;   in Loop: Header=BB318_523 Depth=1
	s_delay_alu instid0(SALU_CYCLE_1) | instskip(SKIP_2) | instid1(VALU_DEP_1)
	s_or_b32 exec_lo, exec_lo, s13
	v_lshrrev_b16 v2, 8, v13
	s_mov_b32 s13, exec_lo
	v_cmpx_ne_u16_e32 0, v2
	s_cbranch_execz .LBB318_738
; %bb.731:                              ;   in Loop: Header=BB318_523 Depth=1
	v_bfrev_b32_e32 v87, 1
	s_mov_b32 s15, exec_lo
	v_cmpx_ne_u16_e32 0x80, v2
	s_cbranch_execz .LBB318_737
; %bb.732:                              ;   in Loop: Header=BB318_523 Depth=1
	v_and_b32_e32 v17, 0xffff, v2
	v_mov_b32_e32 v87, 0x7fc02000
	s_mov_b32 s16, exec_lo
	s_delay_alu instid0(VALU_DEP_2) | instskip(NEXT) | instid1(VALU_DEP_1)
	v_and_b32_e32 v96, 0x7f, v17
	v_cmpx_ne_u32_e32 0x7f, v96
	s_cbranch_execz .LBB318_736
; %bb.733:                              ;   in Loop: Header=BB318_523 Depth=1
	v_and_b32_e32 v2, 7, v17
	v_lshrrev_b32_e32 v18, 3, v96
	s_mov_b32 s17, exec_lo
	v_cmpx_gt_u32_e32 8, v96
; %bb.734:                              ;   in Loop: Header=BB318_523 Depth=1
	s_delay_alu instid0(VALU_DEP_3) | instskip(NEXT) | instid1(VALU_DEP_1)
	v_clz_i32_u32_e32 v18, v2
	v_min_u32_e32 v18, 32, v18
	s_delay_alu instid0(VALU_DEP_1) | instskip(SKIP_1) | instid1(VALU_DEP_2)
	v_subrev_nc_u32_e32 v87, 28, v18
	v_sub_nc_u32_e32 v18, 29, v18
	v_lshlrev_b64 v[96:97], v87, v[2:3]
	s_delay_alu instid0(VALU_DEP_1)
	v_and_b32_e32 v2, 7, v96
; %bb.735:                              ;   in Loop: Header=BB318_523 Depth=1
	s_or_b32 exec_lo, exec_lo, s17
	v_lshlrev_b32_e32 v17, 8, v17
	v_lshl_add_u32 v18, v18, 10, 0x2000
	s_delay_alu instid0(VALU_DEP_1) | instskip(NEXT) | instid1(VALU_DEP_1)
	v_and_or_b32 v17, 0x8000, v17, v18
	v_lshl_or_b32 v2, v2, 7, v17
	s_delay_alu instid0(VALU_DEP_1)
	v_cvt_f32_f16_e32 v87, v2
.LBB318_736:                            ;   in Loop: Header=BB318_523 Depth=1
	s_or_b32 exec_lo, exec_lo, s16
.LBB318_737:                            ;   in Loop: Header=BB318_523 Depth=1
	s_delay_alu instid0(SALU_CYCLE_1)
	s_or_b32 exec_lo, exec_lo, s15
.LBB318_738:                            ;   in Loop: Header=BB318_523 Depth=1
	s_delay_alu instid0(SALU_CYCLE_1) | instskip(SKIP_3) | instid1(VALU_DEP_2)
	s_or_b32 exec_lo, exec_lo, s13
	v_lshrrev_b32_e32 v17, 16, v13
	v_mov_b32_e32 v96, 0
	s_mov_b32 s13, exec_lo
	v_dual_mov_b32 v97, 0 :: v_dual_and_b32 v2, 0xff, v17
	s_delay_alu instid0(VALU_DEP_1)
	v_cmpx_ne_u16_e32 0, v2
	s_cbranch_execz .LBB318_746
; %bb.739:                              ;   in Loop: Header=BB318_523 Depth=1
	v_bfrev_b32_e32 v96, 1
	s_mov_b32 s15, exec_lo
	v_cmpx_ne_u16_e32 0x80, v2
	s_cbranch_execz .LBB318_745
; %bb.740:                              ;   in Loop: Header=BB318_523 Depth=1
	v_bfe_u32 v98, v13, 16, 7
	v_mov_b32_e32 v96, 0x7fc02000
	s_mov_b32 s16, exec_lo
	s_delay_alu instid0(VALU_DEP_2)
	v_cmpx_ne_u32_e32 0x7f, v98
	s_cbranch_execz .LBB318_744
; %bb.741:                              ;   in Loop: Header=BB318_523 Depth=1
	v_and_b32_e32 v2, 7, v17
	v_lshrrev_b32_e32 v18, 3, v98
	s_mov_b32 s17, exec_lo
	v_cmpx_gt_u32_e32 8, v98
; %bb.742:                              ;   in Loop: Header=BB318_523 Depth=1
	s_delay_alu instid0(VALU_DEP_3) | instskip(NEXT) | instid1(VALU_DEP_1)
	v_clz_i32_u32_e32 v18, v2
	v_min_u32_e32 v18, 32, v18
	s_delay_alu instid0(VALU_DEP_1) | instskip(SKIP_1) | instid1(VALU_DEP_2)
	v_subrev_nc_u32_e32 v96, 28, v18
	v_sub_nc_u32_e32 v18, 29, v18
	v_lshlrev_b64 v[98:99], v96, v[2:3]
	s_delay_alu instid0(VALU_DEP_1)
	v_and_b32_e32 v2, 7, v98
; %bb.743:                              ;   in Loop: Header=BB318_523 Depth=1
	s_or_b32 exec_lo, exec_lo, s17
	v_lshlrev_b32_e32 v17, 8, v17
	v_lshl_add_u32 v18, v18, 10, 0x2000
	s_delay_alu instid0(VALU_DEP_1) | instskip(NEXT) | instid1(VALU_DEP_1)
	v_and_or_b32 v17, 0x8000, v17, v18
	v_lshl_or_b32 v2, v2, 7, v17
	s_delay_alu instid0(VALU_DEP_1)
	v_cvt_f32_f16_e32 v96, v2
.LBB318_744:                            ;   in Loop: Header=BB318_523 Depth=1
	s_or_b32 exec_lo, exec_lo, s16
.LBB318_745:                            ;   in Loop: Header=BB318_523 Depth=1
	s_delay_alu instid0(SALU_CYCLE_1)
	s_or_b32 exec_lo, exec_lo, s15
.LBB318_746:                            ;   in Loop: Header=BB318_523 Depth=1
	s_delay_alu instid0(SALU_CYCLE_1) | instskip(NEXT) | instid1(SALU_CYCLE_1)
	s_or_b32 exec_lo, exec_lo, s13
	s_mov_b32 s13, exec_lo
	v_cmpx_lt_u32_e32 0xffffff, v13
	s_cbranch_execz .LBB318_754
; %bb.747:                              ;   in Loop: Header=BB318_523 Depth=1
	v_lshrrev_b32_e32 v17, 24, v13
	v_bfrev_b32_e32 v97, 1
	s_mov_b32 s15, exec_lo
	s_delay_alu instid0(VALU_DEP_2)
	v_cmpx_ne_u32_e32 0x80, v17
	s_cbranch_execz .LBB318_753
; %bb.748:                              ;   in Loop: Header=BB318_523 Depth=1
	v_and_b32_e32 v98, 0x7f, v17
	v_mov_b32_e32 v97, 0x7fc02000
	s_mov_b32 s16, exec_lo
	s_delay_alu instid0(VALU_DEP_2)
	v_cmpx_ne_u32_e32 0x7f, v98
	s_cbranch_execz .LBB318_752
; %bb.749:                              ;   in Loop: Header=BB318_523 Depth=1
	v_and_b32_e32 v2, 7, v17
	v_lshrrev_b32_e32 v18, 3, v98
	s_mov_b32 s17, exec_lo
	v_cmpx_gt_u32_e32 8, v98
; %bb.750:                              ;   in Loop: Header=BB318_523 Depth=1
	s_delay_alu instid0(VALU_DEP_3) | instskip(NEXT) | instid1(VALU_DEP_1)
	v_clz_i32_u32_e32 v18, v2
	v_min_u32_e32 v18, 32, v18
	s_delay_alu instid0(VALU_DEP_1) | instskip(SKIP_1) | instid1(VALU_DEP_2)
	v_subrev_nc_u32_e32 v97, 28, v18
	v_sub_nc_u32_e32 v18, 29, v18
	v_lshlrev_b64 v[97:98], v97, v[2:3]
	s_delay_alu instid0(VALU_DEP_1)
	v_and_b32_e32 v2, 7, v97
; %bb.751:                              ;   in Loop: Header=BB318_523 Depth=1
	s_or_b32 exec_lo, exec_lo, s17
	v_lshlrev_b32_e32 v17, 8, v17
	v_lshl_add_u32 v18, v18, 10, 0x2000
	s_delay_alu instid0(VALU_DEP_1) | instskip(NEXT) | instid1(VALU_DEP_1)
	v_and_or_b32 v17, 0x8000, v17, v18
	v_lshl_or_b32 v2, v2, 7, v17
	s_delay_alu instid0(VALU_DEP_1)
	v_cvt_f32_f16_e32 v97, v2
.LBB318_752:                            ;   in Loop: Header=BB318_523 Depth=1
	s_or_b32 exec_lo, exec_lo, s16
.LBB318_753:                            ;   in Loop: Header=BB318_523 Depth=1
	s_delay_alu instid0(SALU_CYCLE_1)
	s_or_b32 exec_lo, exec_lo, s15
.LBB318_754:                            ;   in Loop: Header=BB318_523 Depth=1
	s_delay_alu instid0(SALU_CYCLE_1) | instskip(SKIP_4) | instid1(VALU_DEP_3)
	s_or_b32 exec_lo, exec_lo, s13
	v_dual_mov_b32 v17, 0 :: v_dual_and_b32 v18, 0xff, v14
	v_mov_b32_e32 v2, v14
	v_mov_b32_e32 v98, 0
	s_mov_b32 s13, exec_lo
	v_cmpx_ne_u16_e32 0, v18
	s_cbranch_execz .LBB318_762
; %bb.755:                              ;   in Loop: Header=BB318_523 Depth=1
	v_bfrev_b32_e32 v17, 1
	s_mov_b32 s15, exec_lo
	v_cmpx_ne_u16_e32 0x80, v18
	s_cbranch_execz .LBB318_761
; %bb.756:                              ;   in Loop: Header=BB318_523 Depth=1
	v_and_b32_e32 v18, 0x7f, v14
	v_mov_b32_e32 v17, 0x7fc02000
	s_mov_b32 s16, exec_lo
	s_delay_alu instid0(VALU_DEP_2)
	v_cmpx_ne_u32_e32 0x7f, v18
	s_cbranch_execz .LBB318_760
; %bb.757:                              ;   in Loop: Header=BB318_523 Depth=1
	v_lshrrev_b32_e32 v99, 3, v18
	v_cmp_gt_u32_e64 s1, 8, v18
	v_dual_mov_b32 v18, v3 :: v_dual_mov_b32 v17, v2
	s_delay_alu instid0(VALU_DEP_2)
	s_and_saveexec_b32 s17, s1
; %bb.758:                              ;   in Loop: Header=BB318_523 Depth=1
	v_and_b32_e32 v17, 7, v14
	s_delay_alu instid0(VALU_DEP_1) | instskip(NEXT) | instid1(VALU_DEP_1)
	v_clz_i32_u32_e32 v17, v17
	v_min_u32_e32 v99, 32, v17
	s_delay_alu instid0(VALU_DEP_1) | instskip(SKIP_1) | instid1(VALU_DEP_2)
	v_subrev_nc_u32_e32 v17, 28, v99
	v_sub_nc_u32_e32 v99, 29, v99
	v_lshlrev_b64 v[17:18], v17, v[2:3]
; %bb.759:                              ;   in Loop: Header=BB318_523 Depth=1
	s_or_b32 exec_lo, exec_lo, s17
	v_lshlrev_b32_e32 v18, 8, v14
	s_delay_alu instid0(VALU_DEP_3) | instskip(NEXT) | instid1(VALU_DEP_3)
	v_lshl_add_u32 v99, v99, 10, 0x2000
	v_lshlrev_b32_e32 v17, 7, v17
	s_delay_alu instid0(VALU_DEP_2) | instskip(NEXT) | instid1(VALU_DEP_1)
	v_and_or_b32 v18, 0x8000, v18, v99
	v_and_or_b32 v17, 0x380, v17, v18
	s_delay_alu instid0(VALU_DEP_1)
	v_cvt_f32_f16_e32 v17, v17
.LBB318_760:                            ;   in Loop: Header=BB318_523 Depth=1
	s_or_b32 exec_lo, exec_lo, s16
.LBB318_761:                            ;   in Loop: Header=BB318_523 Depth=1
	s_delay_alu instid0(SALU_CYCLE_1)
	s_or_b32 exec_lo, exec_lo, s15
.LBB318_762:                            ;   in Loop: Header=BB318_523 Depth=1
	s_delay_alu instid0(SALU_CYCLE_1) | instskip(SKIP_2) | instid1(VALU_DEP_1)
	s_or_b32 exec_lo, exec_lo, s13
	v_lshrrev_b16 v2, 8, v2
	s_mov_b32 s13, exec_lo
	v_cmpx_ne_u16_e32 0, v2
	s_cbranch_execz .LBB318_770
; %bb.763:                              ;   in Loop: Header=BB318_523 Depth=1
	v_bfrev_b32_e32 v98, 1
	s_mov_b32 s15, exec_lo
	v_cmpx_ne_u16_e32 0x80, v2
	s_cbranch_execz .LBB318_769
; %bb.764:                              ;   in Loop: Header=BB318_523 Depth=1
	v_and_b32_e32 v18, 0xffff, v2
	v_mov_b32_e32 v98, 0x7fc02000
	s_mov_b32 s16, exec_lo
	s_delay_alu instid0(VALU_DEP_2) | instskip(NEXT) | instid1(VALU_DEP_1)
	v_and_b32_e32 v99, 0x7f, v18
	v_cmpx_ne_u32_e32 0x7f, v99
	s_cbranch_execz .LBB318_768
; %bb.765:                              ;   in Loop: Header=BB318_523 Depth=1
	v_and_b32_e32 v2, 7, v18
	v_lshrrev_b32_e32 v98, 3, v99
	s_mov_b32 s17, exec_lo
	v_cmpx_gt_u32_e32 8, v99
; %bb.766:                              ;   in Loop: Header=BB318_523 Depth=1
	s_delay_alu instid0(VALU_DEP_3) | instskip(NEXT) | instid1(VALU_DEP_1)
	v_clz_i32_u32_e32 v98, v2
	v_min_u32_e32 v98, 32, v98
	s_delay_alu instid0(VALU_DEP_1) | instskip(SKIP_1) | instid1(VALU_DEP_2)
	v_subrev_nc_u32_e32 v99, 28, v98
	v_sub_nc_u32_e32 v98, 29, v98
	v_lshlrev_b64 v[99:100], v99, v[2:3]
	s_delay_alu instid0(VALU_DEP_1)
	v_and_b32_e32 v2, 7, v99
; %bb.767:                              ;   in Loop: Header=BB318_523 Depth=1
	s_or_b32 exec_lo, exec_lo, s17
	v_lshlrev_b32_e32 v18, 8, v18
	v_lshl_add_u32 v98, v98, 10, 0x2000
	s_delay_alu instid0(VALU_DEP_1) | instskip(NEXT) | instid1(VALU_DEP_1)
	v_and_or_b32 v18, 0x8000, v18, v98
	v_lshl_or_b32 v2, v2, 7, v18
	s_delay_alu instid0(VALU_DEP_1)
	v_cvt_f32_f16_e32 v98, v2
.LBB318_768:                            ;   in Loop: Header=BB318_523 Depth=1
	s_or_b32 exec_lo, exec_lo, s16
.LBB318_769:                            ;   in Loop: Header=BB318_523 Depth=1
	s_delay_alu instid0(SALU_CYCLE_1)
	s_or_b32 exec_lo, exec_lo, s15
.LBB318_770:                            ;   in Loop: Header=BB318_523 Depth=1
	s_delay_alu instid0(SALU_CYCLE_1) | instskip(SKIP_3) | instid1(VALU_DEP_2)
	s_or_b32 exec_lo, exec_lo, s13
	v_lshrrev_b32_e32 v100, 16, v14
	v_mov_b32_e32 v18, 0
	s_mov_b32 s13, exec_lo
	v_dual_mov_b32 v99, 0 :: v_dual_and_b32 v2, 0xff, v100
	s_delay_alu instid0(VALU_DEP_1)
	v_cmpx_ne_u16_e32 0, v2
	s_cbranch_execz .LBB318_778
; %bb.771:                              ;   in Loop: Header=BB318_523 Depth=1
	v_bfrev_b32_e32 v18, 1
	s_mov_b32 s15, exec_lo
	v_cmpx_ne_u16_e32 0x80, v2
	s_cbranch_execz .LBB318_777
; %bb.772:                              ;   in Loop: Header=BB318_523 Depth=1
	v_bfe_u32 v101, v14, 16, 7
	v_mov_b32_e32 v18, 0x7fc02000
	s_mov_b32 s16, exec_lo
	s_delay_alu instid0(VALU_DEP_2)
	v_cmpx_ne_u32_e32 0x7f, v101
	s_cbranch_execz .LBB318_776
; %bb.773:                              ;   in Loop: Header=BB318_523 Depth=1
	v_and_b32_e32 v2, 7, v100
	v_lshrrev_b32_e32 v18, 3, v101
	s_mov_b32 s17, exec_lo
	v_cmpx_gt_u32_e32 8, v101
; %bb.774:                              ;   in Loop: Header=BB318_523 Depth=1
	s_delay_alu instid0(VALU_DEP_3) | instskip(NEXT) | instid1(VALU_DEP_1)
	v_clz_i32_u32_e32 v18, v2
	v_min_u32_e32 v18, 32, v18
	s_delay_alu instid0(VALU_DEP_1) | instskip(SKIP_1) | instid1(VALU_DEP_2)
	v_subrev_nc_u32_e32 v101, 28, v18
	v_sub_nc_u32_e32 v18, 29, v18
	v_lshlrev_b64 v[101:102], v101, v[2:3]
	s_delay_alu instid0(VALU_DEP_1)
	v_and_b32_e32 v2, 7, v101
; %bb.775:                              ;   in Loop: Header=BB318_523 Depth=1
	s_or_b32 exec_lo, exec_lo, s17
	v_lshlrev_b32_e32 v100, 8, v100
	v_lshl_add_u32 v18, v18, 10, 0x2000
	s_delay_alu instid0(VALU_DEP_1) | instskip(NEXT) | instid1(VALU_DEP_1)
	v_and_or_b32 v18, 0x8000, v100, v18
	v_lshl_or_b32 v2, v2, 7, v18
	s_delay_alu instid0(VALU_DEP_1)
	v_cvt_f32_f16_e32 v18, v2
.LBB318_776:                            ;   in Loop: Header=BB318_523 Depth=1
	s_or_b32 exec_lo, exec_lo, s16
.LBB318_777:                            ;   in Loop: Header=BB318_523 Depth=1
	s_delay_alu instid0(SALU_CYCLE_1)
	s_or_b32 exec_lo, exec_lo, s15
.LBB318_778:                            ;   in Loop: Header=BB318_523 Depth=1
	s_delay_alu instid0(SALU_CYCLE_1) | instskip(NEXT) | instid1(SALU_CYCLE_1)
	s_or_b32 exec_lo, exec_lo, s13
	s_mov_b32 s13, exec_lo
	v_cmpx_lt_u64_e64 s[8:9], v[13:14]
	s_cbranch_execz .LBB318_786
; %bb.779:                              ;   in Loop: Header=BB318_523 Depth=1
	v_lshrrev_b32_e32 v13, 24, v14
	v_bfrev_b32_e32 v99, 1
	s_mov_b32 s15, exec_lo
	s_delay_alu instid0(VALU_DEP_2)
	v_cmpx_ne_u32_e32 0x80, v13
	s_cbranch_execz .LBB318_785
; %bb.780:                              ;   in Loop: Header=BB318_523 Depth=1
	v_and_b32_e32 v100, 0x7f, v13
	v_mov_b32_e32 v99, 0x7fc02000
	s_mov_b32 s16, exec_lo
	s_delay_alu instid0(VALU_DEP_2)
	v_cmpx_ne_u32_e32 0x7f, v100
	s_cbranch_execz .LBB318_784
; %bb.781:                              ;   in Loop: Header=BB318_523 Depth=1
	v_and_b32_e32 v2, 7, v13
	v_lshrrev_b32_e32 v14, 3, v100
	s_mov_b32 s17, exec_lo
	v_cmpx_gt_u32_e32 8, v100
; %bb.782:                              ;   in Loop: Header=BB318_523 Depth=1
	s_delay_alu instid0(VALU_DEP_3) | instskip(NEXT) | instid1(VALU_DEP_1)
	v_clz_i32_u32_e32 v14, v2
	v_min_u32_e32 v14, 32, v14
	s_delay_alu instid0(VALU_DEP_1) | instskip(SKIP_1) | instid1(VALU_DEP_2)
	v_subrev_nc_u32_e32 v99, 28, v14
	v_sub_nc_u32_e32 v14, 29, v14
	v_lshlrev_b64 v[99:100], v99, v[2:3]
	s_delay_alu instid0(VALU_DEP_1)
	v_and_b32_e32 v2, 7, v99
; %bb.783:                              ;   in Loop: Header=BB318_523 Depth=1
	s_or_b32 exec_lo, exec_lo, s17
	v_lshlrev_b32_e32 v13, 8, v13
	v_lshl_add_u32 v14, v14, 10, 0x2000
	s_delay_alu instid0(VALU_DEP_1) | instskip(NEXT) | instid1(VALU_DEP_1)
	v_and_or_b32 v13, 0x8000, v13, v14
	v_lshl_or_b32 v2, v2, 7, v13
	s_delay_alu instid0(VALU_DEP_1)
	v_cvt_f32_f16_e32 v99, v2
.LBB318_784:                            ;   in Loop: Header=BB318_523 Depth=1
	s_or_b32 exec_lo, exec_lo, s16
.LBB318_785:                            ;   in Loop: Header=BB318_523 Depth=1
	s_delay_alu instid0(SALU_CYCLE_1)
	s_or_b32 exec_lo, exec_lo, s15
.LBB318_786:                            ;   in Loop: Header=BB318_523 Depth=1
	s_delay_alu instid0(SALU_CYCLE_1)
	s_or_b32 exec_lo, exec_lo, s13
	s_waitcnt vmcnt(0) lgkmcnt(0)
	v_fma_mixlo_f16 v14, v85, v87, 0
	v_fma_mixlo_f16 v2, v85, v97, 0
	;; [unrolled: 1-line block ×5, first 2 shown]
	v_lshlrev_b32_e32 v87, 16, v14
	v_fma_mixlo_f16 v17, v85, v17, 0
	v_fma_mixlo_f16 v97, v85, v99, 0
	;; [unrolled: 1-line block ×3, first 2 shown]
	v_lshlrev_b32_e32 v2, 16, v2
	v_and_b32_e32 v13, 0xffff, v13
	v_and_b32_e32 v18, 0xffff, v86
	v_lshlrev_b32_e32 v85, 16, v96
	v_and_b32_e32 v86, 0xffff, v17
	v_lshlrev_b32_e32 v96, 16, v97
	v_and_b32_e32 v97, 0xffff, v14
	v_or_b32_e32 v17, v2, v13
	v_or_b32_e32 v18, v87, v18
	;; [unrolled: 1-line block ×3, first 2 shown]
	s_delay_alu instid0(VALU_DEP_4)
	v_or_b32_e32 v13, v96, v97
	s_and_saveexec_b32 s13, s0
	s_cbranch_execz .LBB318_788
; %bb.787:                              ;   in Loop: Header=BB318_523 Depth=1
	v_add_nc_u32_e32 v85, 1, v66
	v_lshrrev_b32_e32 v86, 16, v18
	v_or_b32_e32 v87, 3, v66
	v_lshrrev_b32_e32 v96, 16, v17
	v_lshrrev_b32_e32 v97, 16, v2
	v_cmp_lt_i32_e64 s1, v85, v53
	v_lshrrev_b32_e32 v13, 16, v13
	v_or_b32_e32 v98, 6, v66
	s_delay_alu instid0(VALU_DEP_3) | instskip(SKIP_2) | instid1(VALU_DEP_2)
	v_cndmask_b32_e64 v85, 0, v86, s1
	v_cmp_lt_i32_e64 s1, v66, v35
	v_or_b32_e32 v86, 2, v66
	v_cndmask_b32_e64 v18, 0, v18, s1
	v_cmp_lt_i32_e64 s1, v87, v53
	s_delay_alu instid0(VALU_DEP_2) | instskip(NEXT) | instid1(VALU_DEP_2)
	v_perm_b32 v18, v85, v18, 0x5040100
	v_cndmask_b32_e64 v87, 0, v96, s1
	v_or_b32_e32 v96, 5, v66
	v_cmp_lt_i32_e64 s1, v86, v35
	v_or_b32_e32 v86, 4, v66
	s_delay_alu instid0(VALU_DEP_2) | instskip(NEXT) | instid1(VALU_DEP_4)
	v_cndmask_b32_e64 v17, 0, v17, s1
	v_cmp_lt_i32_e64 s1, v96, v53
	s_delay_alu instid0(VALU_DEP_2) | instskip(NEXT) | instid1(VALU_DEP_2)
	v_perm_b32 v17, v87, v17, 0x5040100
	v_cndmask_b32_e64 v96, 0, v97, s1
	v_or_b32_e32 v97, 7, v66
	v_cmp_lt_i32_e64 s1, v86, v35
	s_delay_alu instid0(VALU_DEP_1) | instskip(NEXT) | instid1(VALU_DEP_3)
	v_cndmask_b32_e64 v2, 0, v2, s1
	v_cmp_lt_i32_e64 s1, v97, v53
	s_delay_alu instid0(VALU_DEP_2) | instskip(NEXT) | instid1(VALU_DEP_2)
	v_perm_b32 v2, v96, v2, 0x5040100
	v_cndmask_b32_e64 v13, 0, v13, s1
	v_cmp_lt_i32_e64 s1, v98, v35
	s_delay_alu instid0(VALU_DEP_1) | instskip(NEXT) | instid1(VALU_DEP_1)
	v_cndmask_b32_e64 v14, 0, v14, s1
	v_perm_b32 v13, v13, v14, 0x5040100
.LBB318_788:                            ;   in Loop: Header=BB318_523 Depth=1
	s_or_b32 exec_lo, exec_lo, s13
	;;#ASMSTART
	v_pk_mul_f16 v14, v80, v18;

	;;#ASMEND
	;;#ASMSTART
	v_pk_mul_f16 v17, v71, v17;

	;;#ASMEND
	;; [unrolled: 4-line block ×4, first 2 shown]
	;;#ASMSTART
	v_pk_add_f16 v14, v14, v17;

	;;#ASMEND
	;;#ASMSTART
	v_pk_add_f16 v2, v14, v2;

	;;#ASMEND
	;; [unrolled: 4-line block ×3, first 2 shown]
	v_dual_mov_b32 v96, 0 :: v_dual_and_b32 v13, 0xffff, v2
	v_lshrrev_b32_e32 v2, 16, v2
	;;#ASMSTART
	v_cvt_f32_f16 v85, v13;
	;;#ASMEND
	;;#ASMSTART
	v_cvt_f32_f16 v86, v2;
	;;#ASMEND
	flat_load_b64 v[13:14], v[11:12] offset:1024
	flat_load_b32 v87, v[26:27]
	s_mov_b32 s13, exec_lo
	s_waitcnt vmcnt(1) lgkmcnt(1)
	v_dual_mov_b32 v97, 0 :: v_dual_and_b32 v2, 0xff, v13
	s_delay_alu instid0(VALU_DEP_1)
	v_cmpx_ne_u16_e32 0, v2
	s_cbranch_execz .LBB318_796
; %bb.789:                              ;   in Loop: Header=BB318_523 Depth=1
	v_bfrev_b32_e32 v96, 1
	s_mov_b32 s15, exec_lo
	v_cmpx_ne_u16_e32 0x80, v2
	s_cbranch_execz .LBB318_795
; %bb.790:                              ;   in Loop: Header=BB318_523 Depth=1
	v_and_b32_e32 v17, 0x7f, v13
	v_mov_b32_e32 v96, 0x7fc02000
	s_mov_b32 s16, exec_lo
	s_delay_alu instid0(VALU_DEP_2)
	v_cmpx_ne_u32_e32 0x7f, v17
	s_cbranch_execz .LBB318_794
; %bb.791:                              ;   in Loop: Header=BB318_523 Depth=1
	v_lshrrev_b32_e32 v2, 3, v17
	v_cmp_gt_u32_e64 s1, 8, v17
	v_dual_mov_b32 v18, v14 :: v_dual_mov_b32 v17, v13
	s_delay_alu instid0(VALU_DEP_2)
	s_and_saveexec_b32 s17, s1
; %bb.792:                              ;   in Loop: Header=BB318_523 Depth=1
	v_and_b32_e32 v2, 7, v13
	s_delay_alu instid0(VALU_DEP_1) | instskip(NEXT) | instid1(VALU_DEP_1)
	v_clz_i32_u32_e32 v2, v2
	v_min_u32_e32 v2, 32, v2
	s_delay_alu instid0(VALU_DEP_1) | instskip(SKIP_1) | instid1(VALU_DEP_2)
	v_subrev_nc_u32_e32 v17, 28, v2
	v_sub_nc_u32_e32 v2, 29, v2
	v_lshlrev_b64 v[17:18], v17, v[13:14]
; %bb.793:                              ;   in Loop: Header=BB318_523 Depth=1
	s_or_b32 exec_lo, exec_lo, s17
	v_lshlrev_b32_e32 v18, 8, v13
	s_delay_alu instid0(VALU_DEP_3) | instskip(NEXT) | instid1(VALU_DEP_3)
	v_lshl_add_u32 v2, v2, 10, 0x2000
	v_lshlrev_b32_e32 v17, 7, v17
	s_delay_alu instid0(VALU_DEP_2) | instskip(NEXT) | instid1(VALU_DEP_1)
	v_and_or_b32 v2, 0x8000, v18, v2
	v_and_or_b32 v2, 0x380, v17, v2
	s_delay_alu instid0(VALU_DEP_1)
	v_cvt_f32_f16_e32 v96, v2
.LBB318_794:                            ;   in Loop: Header=BB318_523 Depth=1
	s_or_b32 exec_lo, exec_lo, s16
.LBB318_795:                            ;   in Loop: Header=BB318_523 Depth=1
	s_delay_alu instid0(SALU_CYCLE_1)
	s_or_b32 exec_lo, exec_lo, s15
.LBB318_796:                            ;   in Loop: Header=BB318_523 Depth=1
	s_delay_alu instid0(SALU_CYCLE_1) | instskip(SKIP_2) | instid1(VALU_DEP_1)
	s_or_b32 exec_lo, exec_lo, s13
	v_lshrrev_b16 v2, 8, v13
	s_mov_b32 s13, exec_lo
	v_cmpx_ne_u16_e32 0, v2
	s_cbranch_execz .LBB318_804
; %bb.797:                              ;   in Loop: Header=BB318_523 Depth=1
	v_bfrev_b32_e32 v97, 1
	s_mov_b32 s15, exec_lo
	v_cmpx_ne_u16_e32 0x80, v2
	s_cbranch_execz .LBB318_803
; %bb.798:                              ;   in Loop: Header=BB318_523 Depth=1
	v_and_b32_e32 v17, 0xffff, v2
	v_mov_b32_e32 v97, 0x7fc02000
	s_mov_b32 s16, exec_lo
	s_delay_alu instid0(VALU_DEP_2) | instskip(NEXT) | instid1(VALU_DEP_1)
	v_and_b32_e32 v98, 0x7f, v17
	v_cmpx_ne_u32_e32 0x7f, v98
	s_cbranch_execz .LBB318_802
; %bb.799:                              ;   in Loop: Header=BB318_523 Depth=1
	v_and_b32_e32 v2, 7, v17
	v_lshrrev_b32_e32 v18, 3, v98
	s_mov_b32 s17, exec_lo
	v_cmpx_gt_u32_e32 8, v98
; %bb.800:                              ;   in Loop: Header=BB318_523 Depth=1
	s_delay_alu instid0(VALU_DEP_3) | instskip(NEXT) | instid1(VALU_DEP_1)
	v_clz_i32_u32_e32 v18, v2
	v_min_u32_e32 v18, 32, v18
	s_delay_alu instid0(VALU_DEP_1) | instskip(SKIP_1) | instid1(VALU_DEP_2)
	v_subrev_nc_u32_e32 v97, 28, v18
	v_sub_nc_u32_e32 v18, 29, v18
	v_lshlrev_b64 v[97:98], v97, v[2:3]
	s_delay_alu instid0(VALU_DEP_1)
	v_and_b32_e32 v2, 7, v97
; %bb.801:                              ;   in Loop: Header=BB318_523 Depth=1
	s_or_b32 exec_lo, exec_lo, s17
	v_lshlrev_b32_e32 v17, 8, v17
	v_lshl_add_u32 v18, v18, 10, 0x2000
	s_delay_alu instid0(VALU_DEP_1) | instskip(NEXT) | instid1(VALU_DEP_1)
	v_and_or_b32 v17, 0x8000, v17, v18
	v_lshl_or_b32 v2, v2, 7, v17
	s_delay_alu instid0(VALU_DEP_1)
	v_cvt_f32_f16_e32 v97, v2
.LBB318_802:                            ;   in Loop: Header=BB318_523 Depth=1
	s_or_b32 exec_lo, exec_lo, s16
.LBB318_803:                            ;   in Loop: Header=BB318_523 Depth=1
	s_delay_alu instid0(SALU_CYCLE_1)
	s_or_b32 exec_lo, exec_lo, s15
.LBB318_804:                            ;   in Loop: Header=BB318_523 Depth=1
	s_delay_alu instid0(SALU_CYCLE_1) | instskip(SKIP_3) | instid1(VALU_DEP_2)
	s_or_b32 exec_lo, exec_lo, s13
	v_lshrrev_b32_e32 v17, 16, v13
	v_mov_b32_e32 v98, 0
	s_mov_b32 s13, exec_lo
	v_dual_mov_b32 v99, 0 :: v_dual_and_b32 v2, 0xff, v17
	s_delay_alu instid0(VALU_DEP_1)
	v_cmpx_ne_u16_e32 0, v2
	s_cbranch_execz .LBB318_812
; %bb.805:                              ;   in Loop: Header=BB318_523 Depth=1
	v_bfrev_b32_e32 v98, 1
	s_mov_b32 s15, exec_lo
	v_cmpx_ne_u16_e32 0x80, v2
	s_cbranch_execz .LBB318_811
; %bb.806:                              ;   in Loop: Header=BB318_523 Depth=1
	v_bfe_u32 v100, v13, 16, 7
	v_mov_b32_e32 v98, 0x7fc02000
	s_mov_b32 s16, exec_lo
	s_delay_alu instid0(VALU_DEP_2)
	v_cmpx_ne_u32_e32 0x7f, v100
	s_cbranch_execz .LBB318_810
; %bb.807:                              ;   in Loop: Header=BB318_523 Depth=1
	v_and_b32_e32 v2, 7, v17
	v_lshrrev_b32_e32 v18, 3, v100
	s_mov_b32 s17, exec_lo
	v_cmpx_gt_u32_e32 8, v100
; %bb.808:                              ;   in Loop: Header=BB318_523 Depth=1
	s_delay_alu instid0(VALU_DEP_3) | instskip(NEXT) | instid1(VALU_DEP_1)
	v_clz_i32_u32_e32 v18, v2
	v_min_u32_e32 v18, 32, v18
	s_delay_alu instid0(VALU_DEP_1) | instskip(SKIP_1) | instid1(VALU_DEP_2)
	v_subrev_nc_u32_e32 v98, 28, v18
	v_sub_nc_u32_e32 v18, 29, v18
	v_lshlrev_b64 v[100:101], v98, v[2:3]
	s_delay_alu instid0(VALU_DEP_1)
	v_and_b32_e32 v2, 7, v100
; %bb.809:                              ;   in Loop: Header=BB318_523 Depth=1
	s_or_b32 exec_lo, exec_lo, s17
	v_lshlrev_b32_e32 v17, 8, v17
	v_lshl_add_u32 v18, v18, 10, 0x2000
	s_delay_alu instid0(VALU_DEP_1) | instskip(NEXT) | instid1(VALU_DEP_1)
	v_and_or_b32 v17, 0x8000, v17, v18
	v_lshl_or_b32 v2, v2, 7, v17
	s_delay_alu instid0(VALU_DEP_1)
	v_cvt_f32_f16_e32 v98, v2
.LBB318_810:                            ;   in Loop: Header=BB318_523 Depth=1
	s_or_b32 exec_lo, exec_lo, s16
.LBB318_811:                            ;   in Loop: Header=BB318_523 Depth=1
	s_delay_alu instid0(SALU_CYCLE_1)
	s_or_b32 exec_lo, exec_lo, s15
.LBB318_812:                            ;   in Loop: Header=BB318_523 Depth=1
	s_delay_alu instid0(SALU_CYCLE_1) | instskip(NEXT) | instid1(SALU_CYCLE_1)
	s_or_b32 exec_lo, exec_lo, s13
	s_mov_b32 s13, exec_lo
	v_cmpx_lt_u32_e32 0xffffff, v13
	s_cbranch_execz .LBB318_820
; %bb.813:                              ;   in Loop: Header=BB318_523 Depth=1
	v_lshrrev_b32_e32 v17, 24, v13
	v_bfrev_b32_e32 v99, 1
	s_mov_b32 s15, exec_lo
	s_delay_alu instid0(VALU_DEP_2)
	v_cmpx_ne_u32_e32 0x80, v17
	s_cbranch_execz .LBB318_819
; %bb.814:                              ;   in Loop: Header=BB318_523 Depth=1
	v_and_b32_e32 v100, 0x7f, v17
	v_mov_b32_e32 v99, 0x7fc02000
	s_mov_b32 s16, exec_lo
	s_delay_alu instid0(VALU_DEP_2)
	v_cmpx_ne_u32_e32 0x7f, v100
	s_cbranch_execz .LBB318_818
; %bb.815:                              ;   in Loop: Header=BB318_523 Depth=1
	v_and_b32_e32 v2, 7, v17
	v_lshrrev_b32_e32 v18, 3, v100
	s_mov_b32 s17, exec_lo
	v_cmpx_gt_u32_e32 8, v100
; %bb.816:                              ;   in Loop: Header=BB318_523 Depth=1
	s_delay_alu instid0(VALU_DEP_3) | instskip(NEXT) | instid1(VALU_DEP_1)
	v_clz_i32_u32_e32 v18, v2
	v_min_u32_e32 v18, 32, v18
	s_delay_alu instid0(VALU_DEP_1) | instskip(SKIP_1) | instid1(VALU_DEP_2)
	v_subrev_nc_u32_e32 v99, 28, v18
	v_sub_nc_u32_e32 v18, 29, v18
	v_lshlrev_b64 v[99:100], v99, v[2:3]
	s_delay_alu instid0(VALU_DEP_1)
	v_and_b32_e32 v2, 7, v99
; %bb.817:                              ;   in Loop: Header=BB318_523 Depth=1
	s_or_b32 exec_lo, exec_lo, s17
	v_lshlrev_b32_e32 v17, 8, v17
	v_lshl_add_u32 v18, v18, 10, 0x2000
	s_delay_alu instid0(VALU_DEP_1) | instskip(NEXT) | instid1(VALU_DEP_1)
	v_and_or_b32 v17, 0x8000, v17, v18
	v_lshl_or_b32 v2, v2, 7, v17
	s_delay_alu instid0(VALU_DEP_1)
	v_cvt_f32_f16_e32 v99, v2
.LBB318_818:                            ;   in Loop: Header=BB318_523 Depth=1
	s_or_b32 exec_lo, exec_lo, s16
.LBB318_819:                            ;   in Loop: Header=BB318_523 Depth=1
	s_delay_alu instid0(SALU_CYCLE_1)
	s_or_b32 exec_lo, exec_lo, s15
.LBB318_820:                            ;   in Loop: Header=BB318_523 Depth=1
	s_delay_alu instid0(SALU_CYCLE_1) | instskip(SKIP_4) | instid1(VALU_DEP_3)
	s_or_b32 exec_lo, exec_lo, s13
	v_dual_mov_b32 v17, 0 :: v_dual_and_b32 v18, 0xff, v14
	v_mov_b32_e32 v2, v14
	v_mov_b32_e32 v100, 0
	s_mov_b32 s13, exec_lo
	v_cmpx_ne_u16_e32 0, v18
	s_cbranch_execz .LBB318_828
; %bb.821:                              ;   in Loop: Header=BB318_523 Depth=1
	v_bfrev_b32_e32 v17, 1
	s_mov_b32 s15, exec_lo
	v_cmpx_ne_u16_e32 0x80, v18
	s_cbranch_execz .LBB318_827
; %bb.822:                              ;   in Loop: Header=BB318_523 Depth=1
	v_and_b32_e32 v18, 0x7f, v14
	v_mov_b32_e32 v17, 0x7fc02000
	s_mov_b32 s16, exec_lo
	s_delay_alu instid0(VALU_DEP_2)
	v_cmpx_ne_u32_e32 0x7f, v18
	s_cbranch_execz .LBB318_826
; %bb.823:                              ;   in Loop: Header=BB318_523 Depth=1
	v_lshrrev_b32_e32 v101, 3, v18
	v_cmp_gt_u32_e64 s1, 8, v18
	v_dual_mov_b32 v18, v3 :: v_dual_mov_b32 v17, v2
	s_delay_alu instid0(VALU_DEP_2)
	s_and_saveexec_b32 s17, s1
; %bb.824:                              ;   in Loop: Header=BB318_523 Depth=1
	v_and_b32_e32 v17, 7, v14
	s_delay_alu instid0(VALU_DEP_1) | instskip(NEXT) | instid1(VALU_DEP_1)
	v_clz_i32_u32_e32 v17, v17
	v_min_u32_e32 v101, 32, v17
	s_delay_alu instid0(VALU_DEP_1) | instskip(SKIP_1) | instid1(VALU_DEP_2)
	v_subrev_nc_u32_e32 v17, 28, v101
	v_sub_nc_u32_e32 v101, 29, v101
	v_lshlrev_b64 v[17:18], v17, v[2:3]
; %bb.825:                              ;   in Loop: Header=BB318_523 Depth=1
	s_or_b32 exec_lo, exec_lo, s17
	v_lshlrev_b32_e32 v18, 8, v14
	s_delay_alu instid0(VALU_DEP_3) | instskip(NEXT) | instid1(VALU_DEP_3)
	v_lshl_add_u32 v101, v101, 10, 0x2000
	v_lshlrev_b32_e32 v17, 7, v17
	s_delay_alu instid0(VALU_DEP_2) | instskip(NEXT) | instid1(VALU_DEP_1)
	v_and_or_b32 v18, 0x8000, v18, v101
	v_and_or_b32 v17, 0x380, v17, v18
	s_delay_alu instid0(VALU_DEP_1)
	v_cvt_f32_f16_e32 v17, v17
.LBB318_826:                            ;   in Loop: Header=BB318_523 Depth=1
	s_or_b32 exec_lo, exec_lo, s16
.LBB318_827:                            ;   in Loop: Header=BB318_523 Depth=1
	s_delay_alu instid0(SALU_CYCLE_1)
	s_or_b32 exec_lo, exec_lo, s15
.LBB318_828:                            ;   in Loop: Header=BB318_523 Depth=1
	s_delay_alu instid0(SALU_CYCLE_1) | instskip(SKIP_2) | instid1(VALU_DEP_1)
	s_or_b32 exec_lo, exec_lo, s13
	v_lshrrev_b16 v2, 8, v2
	s_mov_b32 s13, exec_lo
	v_cmpx_ne_u16_e32 0, v2
	s_cbranch_execz .LBB318_836
; %bb.829:                              ;   in Loop: Header=BB318_523 Depth=1
	v_bfrev_b32_e32 v100, 1
	s_mov_b32 s15, exec_lo
	v_cmpx_ne_u16_e32 0x80, v2
	s_cbranch_execz .LBB318_835
; %bb.830:                              ;   in Loop: Header=BB318_523 Depth=1
	v_and_b32_e32 v18, 0xffff, v2
	v_mov_b32_e32 v100, 0x7fc02000
	s_mov_b32 s16, exec_lo
	s_delay_alu instid0(VALU_DEP_2) | instskip(NEXT) | instid1(VALU_DEP_1)
	v_and_b32_e32 v101, 0x7f, v18
	v_cmpx_ne_u32_e32 0x7f, v101
	s_cbranch_execz .LBB318_834
; %bb.831:                              ;   in Loop: Header=BB318_523 Depth=1
	v_and_b32_e32 v2, 7, v18
	v_lshrrev_b32_e32 v100, 3, v101
	s_mov_b32 s17, exec_lo
	v_cmpx_gt_u32_e32 8, v101
; %bb.832:                              ;   in Loop: Header=BB318_523 Depth=1
	s_delay_alu instid0(VALU_DEP_3) | instskip(NEXT) | instid1(VALU_DEP_1)
	v_clz_i32_u32_e32 v100, v2
	v_min_u32_e32 v100, 32, v100
	s_delay_alu instid0(VALU_DEP_1) | instskip(SKIP_1) | instid1(VALU_DEP_2)
	v_subrev_nc_u32_e32 v101, 28, v100
	v_sub_nc_u32_e32 v100, 29, v100
	v_lshlrev_b64 v[101:102], v101, v[2:3]
	s_delay_alu instid0(VALU_DEP_1)
	v_and_b32_e32 v2, 7, v101
; %bb.833:                              ;   in Loop: Header=BB318_523 Depth=1
	s_or_b32 exec_lo, exec_lo, s17
	v_lshlrev_b32_e32 v18, 8, v18
	v_lshl_add_u32 v100, v100, 10, 0x2000
	s_delay_alu instid0(VALU_DEP_1) | instskip(NEXT) | instid1(VALU_DEP_1)
	v_and_or_b32 v18, 0x8000, v18, v100
	v_lshl_or_b32 v2, v2, 7, v18
	s_delay_alu instid0(VALU_DEP_1)
	v_cvt_f32_f16_e32 v100, v2
.LBB318_834:                            ;   in Loop: Header=BB318_523 Depth=1
	s_or_b32 exec_lo, exec_lo, s16
.LBB318_835:                            ;   in Loop: Header=BB318_523 Depth=1
	s_delay_alu instid0(SALU_CYCLE_1)
	s_or_b32 exec_lo, exec_lo, s15
.LBB318_836:                            ;   in Loop: Header=BB318_523 Depth=1
	s_delay_alu instid0(SALU_CYCLE_1) | instskip(SKIP_3) | instid1(VALU_DEP_2)
	s_or_b32 exec_lo, exec_lo, s13
	v_lshrrev_b32_e32 v102, 16, v14
	v_mov_b32_e32 v18, 0
	s_mov_b32 s13, exec_lo
	v_dual_mov_b32 v101, 0 :: v_dual_and_b32 v2, 0xff, v102
	s_delay_alu instid0(VALU_DEP_1)
	v_cmpx_ne_u16_e32 0, v2
	s_cbranch_execz .LBB318_844
; %bb.837:                              ;   in Loop: Header=BB318_523 Depth=1
	v_bfrev_b32_e32 v18, 1
	s_mov_b32 s15, exec_lo
	v_cmpx_ne_u16_e32 0x80, v2
	s_cbranch_execz .LBB318_843
; %bb.838:                              ;   in Loop: Header=BB318_523 Depth=1
	v_bfe_u32 v103, v14, 16, 7
	v_mov_b32_e32 v18, 0x7fc02000
	s_mov_b32 s16, exec_lo
	s_delay_alu instid0(VALU_DEP_2)
	v_cmpx_ne_u32_e32 0x7f, v103
	s_cbranch_execz .LBB318_842
; %bb.839:                              ;   in Loop: Header=BB318_523 Depth=1
	v_and_b32_e32 v2, 7, v102
	v_lshrrev_b32_e32 v18, 3, v103
	s_mov_b32 s17, exec_lo
	v_cmpx_gt_u32_e32 8, v103
; %bb.840:                              ;   in Loop: Header=BB318_523 Depth=1
	s_delay_alu instid0(VALU_DEP_3) | instskip(NEXT) | instid1(VALU_DEP_1)
	v_clz_i32_u32_e32 v18, v2
	v_min_u32_e32 v18, 32, v18
	s_delay_alu instid0(VALU_DEP_1) | instskip(SKIP_1) | instid1(VALU_DEP_2)
	v_subrev_nc_u32_e32 v103, 28, v18
	v_sub_nc_u32_e32 v18, 29, v18
	v_lshlrev_b64 v[112:113], v103, v[2:3]
	s_delay_alu instid0(VALU_DEP_1)
	v_and_b32_e32 v2, 7, v112
; %bb.841:                              ;   in Loop: Header=BB318_523 Depth=1
	s_or_b32 exec_lo, exec_lo, s17
	v_lshlrev_b32_e32 v102, 8, v102
	v_lshl_add_u32 v18, v18, 10, 0x2000
	s_delay_alu instid0(VALU_DEP_1) | instskip(NEXT) | instid1(VALU_DEP_1)
	v_and_or_b32 v18, 0x8000, v102, v18
	v_lshl_or_b32 v2, v2, 7, v18
	s_delay_alu instid0(VALU_DEP_1)
	v_cvt_f32_f16_e32 v18, v2
.LBB318_842:                            ;   in Loop: Header=BB318_523 Depth=1
	s_or_b32 exec_lo, exec_lo, s16
.LBB318_843:                            ;   in Loop: Header=BB318_523 Depth=1
	s_delay_alu instid0(SALU_CYCLE_1)
	s_or_b32 exec_lo, exec_lo, s15
.LBB318_844:                            ;   in Loop: Header=BB318_523 Depth=1
	s_delay_alu instid0(SALU_CYCLE_1) | instskip(NEXT) | instid1(SALU_CYCLE_1)
	s_or_b32 exec_lo, exec_lo, s13
	s_mov_b32 s13, exec_lo
	v_cmpx_lt_u64_e64 s[8:9], v[13:14]
	s_cbranch_execz .LBB318_852
; %bb.845:                              ;   in Loop: Header=BB318_523 Depth=1
	v_lshrrev_b32_e32 v13, 24, v14
	v_bfrev_b32_e32 v101, 1
	s_mov_b32 s15, exec_lo
	s_delay_alu instid0(VALU_DEP_2)
	v_cmpx_ne_u32_e32 0x80, v13
	s_cbranch_execz .LBB318_851
; %bb.846:                              ;   in Loop: Header=BB318_523 Depth=1
	v_and_b32_e32 v102, 0x7f, v13
	v_mov_b32_e32 v101, 0x7fc02000
	s_mov_b32 s16, exec_lo
	s_delay_alu instid0(VALU_DEP_2)
	v_cmpx_ne_u32_e32 0x7f, v102
	s_cbranch_execz .LBB318_850
; %bb.847:                              ;   in Loop: Header=BB318_523 Depth=1
	v_and_b32_e32 v2, 7, v13
	v_lshrrev_b32_e32 v14, 3, v102
	s_mov_b32 s17, exec_lo
	v_cmpx_gt_u32_e32 8, v102
; %bb.848:                              ;   in Loop: Header=BB318_523 Depth=1
	s_delay_alu instid0(VALU_DEP_3) | instskip(NEXT) | instid1(VALU_DEP_1)
	v_clz_i32_u32_e32 v14, v2
	v_min_u32_e32 v14, 32, v14
	s_delay_alu instid0(VALU_DEP_1) | instskip(SKIP_1) | instid1(VALU_DEP_2)
	v_subrev_nc_u32_e32 v101, 28, v14
	v_sub_nc_u32_e32 v14, 29, v14
	v_lshlrev_b64 v[101:102], v101, v[2:3]
	s_delay_alu instid0(VALU_DEP_1)
	v_and_b32_e32 v2, 7, v101
; %bb.849:                              ;   in Loop: Header=BB318_523 Depth=1
	s_or_b32 exec_lo, exec_lo, s17
	v_lshlrev_b32_e32 v13, 8, v13
	v_lshl_add_u32 v14, v14, 10, 0x2000
	s_delay_alu instid0(VALU_DEP_1) | instskip(NEXT) | instid1(VALU_DEP_1)
	v_and_or_b32 v13, 0x8000, v13, v14
	v_lshl_or_b32 v2, v2, 7, v13
	s_delay_alu instid0(VALU_DEP_1)
	v_cvt_f32_f16_e32 v101, v2
.LBB318_850:                            ;   in Loop: Header=BB318_523 Depth=1
	s_or_b32 exec_lo, exec_lo, s16
.LBB318_851:                            ;   in Loop: Header=BB318_523 Depth=1
	s_delay_alu instid0(SALU_CYCLE_1)
	s_or_b32 exec_lo, exec_lo, s15
.LBB318_852:                            ;   in Loop: Header=BB318_523 Depth=1
	s_delay_alu instid0(SALU_CYCLE_1)
	s_or_b32 exec_lo, exec_lo, s13
	s_waitcnt vmcnt(0) lgkmcnt(0)
	v_fma_mixlo_f16 v14, v87, v97, 0
	v_fma_mixlo_f16 v2, v87, v99, 0
	;; [unrolled: 1-line block ×5, first 2 shown]
	v_lshlrev_b32_e32 v97, 16, v14
	v_fma_mixlo_f16 v17, v87, v17, 0
	v_fma_mixlo_f16 v99, v87, v101, 0
	v_fma_mixlo_f16 v14, v87, v18, 0
	v_lshlrev_b32_e32 v2, 16, v2
	v_and_b32_e32 v13, 0xffff, v13
	v_and_b32_e32 v18, 0xffff, v96
	v_lshlrev_b32_e32 v87, 16, v98
	v_and_b32_e32 v96, 0xffff, v17
	v_lshlrev_b32_e32 v98, 16, v99
	v_and_b32_e32 v99, 0xffff, v14
	v_or_b32_e32 v17, v2, v13
	v_or_b32_e32 v18, v97, v18
	v_or_b32_e32 v2, v87, v96
	s_delay_alu instid0(VALU_DEP_4)
	v_or_b32_e32 v13, v98, v99
	s_and_saveexec_b32 s13, s0
	s_cbranch_execz .LBB318_854
; %bb.853:                              ;   in Loop: Header=BB318_523 Depth=1
	v_add_nc_u32_e32 v87, 1, v66
	v_lshrrev_b32_e32 v96, 16, v18
	v_or_b32_e32 v97, 3, v66
	v_lshrrev_b32_e32 v98, 16, v17
	v_lshrrev_b32_e32 v99, 16, v2
	v_cmp_lt_i32_e64 s1, v87, v53
	v_lshrrev_b32_e32 v13, 16, v13
	v_or_b32_e32 v100, 6, v66
	s_delay_alu instid0(VALU_DEP_3) | instskip(SKIP_2) | instid1(VALU_DEP_2)
	v_cndmask_b32_e64 v87, 0, v96, s1
	v_cmp_lt_i32_e64 s1, v66, v35
	v_or_b32_e32 v96, 2, v66
	v_cndmask_b32_e64 v18, 0, v18, s1
	v_cmp_lt_i32_e64 s1, v97, v53
	s_delay_alu instid0(VALU_DEP_2) | instskip(NEXT) | instid1(VALU_DEP_2)
	v_perm_b32 v18, v87, v18, 0x5040100
	v_cndmask_b32_e64 v97, 0, v98, s1
	v_or_b32_e32 v98, 5, v66
	v_cmp_lt_i32_e64 s1, v96, v35
	v_or_b32_e32 v96, 4, v66
	s_delay_alu instid0(VALU_DEP_2) | instskip(NEXT) | instid1(VALU_DEP_4)
	v_cndmask_b32_e64 v17, 0, v17, s1
	v_cmp_lt_i32_e64 s1, v98, v53
	s_delay_alu instid0(VALU_DEP_2) | instskip(NEXT) | instid1(VALU_DEP_2)
	v_perm_b32 v17, v97, v17, 0x5040100
	v_cndmask_b32_e64 v98, 0, v99, s1
	v_or_b32_e32 v99, 7, v66
	v_cmp_lt_i32_e64 s1, v96, v35
	s_delay_alu instid0(VALU_DEP_1) | instskip(NEXT) | instid1(VALU_DEP_3)
	v_cndmask_b32_e64 v2, 0, v2, s1
	v_cmp_lt_i32_e64 s1, v99, v53
	s_delay_alu instid0(VALU_DEP_2) | instskip(NEXT) | instid1(VALU_DEP_2)
	v_perm_b32 v2, v98, v2, 0x5040100
	v_cndmask_b32_e64 v13, 0, v13, s1
	v_cmp_lt_i32_e64 s1, v100, v35
	s_delay_alu instid0(VALU_DEP_1) | instskip(NEXT) | instid1(VALU_DEP_1)
	v_cndmask_b32_e64 v14, 0, v14, s1
	v_perm_b32 v13, v13, v14, 0x5040100
.LBB318_854:                            ;   in Loop: Header=BB318_523 Depth=1
	s_or_b32 exec_lo, exec_lo, s13
	;;#ASMSTART
	v_pk_mul_f16 v14, v80, v18;

	;;#ASMEND
	;;#ASMSTART
	v_pk_mul_f16 v17, v71, v17;

	;;#ASMEND
	;; [unrolled: 4-line block ×4, first 2 shown]
	;;#ASMSTART
	v_pk_add_f16 v14, v14, v17;

	;;#ASMEND
	;;#ASMSTART
	v_pk_add_f16 v2, v14, v2;

	;;#ASMEND
	;;#ASMSTART
	v_pk_add_f16 v2, v2, v13;

	;;#ASMEND
	v_dual_mov_b32 v98, 0 :: v_dual_and_b32 v13, 0xffff, v2
	v_lshrrev_b32_e32 v2, 16, v2
	;;#ASMSTART
	v_cvt_f32_f16 v87, v13;
	;;#ASMEND
	;;#ASMSTART
	v_cvt_f32_f16 v96, v2;
	;;#ASMEND
	flat_load_b64 v[13:14], v[11:12] offset:1280
	flat_load_b32 v97, v[26:27]
	s_mov_b32 s13, exec_lo
	s_waitcnt vmcnt(1) lgkmcnt(1)
	v_dual_mov_b32 v99, 0 :: v_dual_and_b32 v2, 0xff, v13
	s_delay_alu instid0(VALU_DEP_1)
	v_cmpx_ne_u16_e32 0, v2
	s_cbranch_execz .LBB318_862
; %bb.855:                              ;   in Loop: Header=BB318_523 Depth=1
	v_bfrev_b32_e32 v98, 1
	s_mov_b32 s15, exec_lo
	v_cmpx_ne_u16_e32 0x80, v2
	s_cbranch_execz .LBB318_861
; %bb.856:                              ;   in Loop: Header=BB318_523 Depth=1
	v_and_b32_e32 v17, 0x7f, v13
	v_mov_b32_e32 v98, 0x7fc02000
	s_mov_b32 s16, exec_lo
	s_delay_alu instid0(VALU_DEP_2)
	v_cmpx_ne_u32_e32 0x7f, v17
	s_cbranch_execz .LBB318_860
; %bb.857:                              ;   in Loop: Header=BB318_523 Depth=1
	v_lshrrev_b32_e32 v2, 3, v17
	v_cmp_gt_u32_e64 s1, 8, v17
	v_dual_mov_b32 v18, v14 :: v_dual_mov_b32 v17, v13
	s_delay_alu instid0(VALU_DEP_2)
	s_and_saveexec_b32 s17, s1
; %bb.858:                              ;   in Loop: Header=BB318_523 Depth=1
	v_and_b32_e32 v2, 7, v13
	s_delay_alu instid0(VALU_DEP_1) | instskip(NEXT) | instid1(VALU_DEP_1)
	v_clz_i32_u32_e32 v2, v2
	v_min_u32_e32 v2, 32, v2
	s_delay_alu instid0(VALU_DEP_1) | instskip(SKIP_1) | instid1(VALU_DEP_2)
	v_subrev_nc_u32_e32 v17, 28, v2
	v_sub_nc_u32_e32 v2, 29, v2
	v_lshlrev_b64 v[17:18], v17, v[13:14]
; %bb.859:                              ;   in Loop: Header=BB318_523 Depth=1
	s_or_b32 exec_lo, exec_lo, s17
	v_lshlrev_b32_e32 v18, 8, v13
	s_delay_alu instid0(VALU_DEP_3) | instskip(NEXT) | instid1(VALU_DEP_3)
	v_lshl_add_u32 v2, v2, 10, 0x2000
	v_lshlrev_b32_e32 v17, 7, v17
	s_delay_alu instid0(VALU_DEP_2) | instskip(NEXT) | instid1(VALU_DEP_1)
	v_and_or_b32 v2, 0x8000, v18, v2
	v_and_or_b32 v2, 0x380, v17, v2
	s_delay_alu instid0(VALU_DEP_1)
	v_cvt_f32_f16_e32 v98, v2
.LBB318_860:                            ;   in Loop: Header=BB318_523 Depth=1
	s_or_b32 exec_lo, exec_lo, s16
.LBB318_861:                            ;   in Loop: Header=BB318_523 Depth=1
	s_delay_alu instid0(SALU_CYCLE_1)
	s_or_b32 exec_lo, exec_lo, s15
.LBB318_862:                            ;   in Loop: Header=BB318_523 Depth=1
	s_delay_alu instid0(SALU_CYCLE_1) | instskip(SKIP_2) | instid1(VALU_DEP_1)
	s_or_b32 exec_lo, exec_lo, s13
	v_lshrrev_b16 v2, 8, v13
	s_mov_b32 s13, exec_lo
	v_cmpx_ne_u16_e32 0, v2
	s_cbranch_execz .LBB318_870
; %bb.863:                              ;   in Loop: Header=BB318_523 Depth=1
	v_bfrev_b32_e32 v99, 1
	s_mov_b32 s15, exec_lo
	v_cmpx_ne_u16_e32 0x80, v2
	s_cbranch_execz .LBB318_869
; %bb.864:                              ;   in Loop: Header=BB318_523 Depth=1
	v_and_b32_e32 v17, 0xffff, v2
	v_mov_b32_e32 v99, 0x7fc02000
	s_mov_b32 s16, exec_lo
	s_delay_alu instid0(VALU_DEP_2) | instskip(NEXT) | instid1(VALU_DEP_1)
	v_and_b32_e32 v100, 0x7f, v17
	v_cmpx_ne_u32_e32 0x7f, v100
	s_cbranch_execz .LBB318_868
; %bb.865:                              ;   in Loop: Header=BB318_523 Depth=1
	v_and_b32_e32 v2, 7, v17
	v_lshrrev_b32_e32 v18, 3, v100
	s_mov_b32 s17, exec_lo
	v_cmpx_gt_u32_e32 8, v100
; %bb.866:                              ;   in Loop: Header=BB318_523 Depth=1
	s_delay_alu instid0(VALU_DEP_3) | instskip(NEXT) | instid1(VALU_DEP_1)
	v_clz_i32_u32_e32 v18, v2
	v_min_u32_e32 v18, 32, v18
	s_delay_alu instid0(VALU_DEP_1) | instskip(SKIP_1) | instid1(VALU_DEP_2)
	v_subrev_nc_u32_e32 v99, 28, v18
	v_sub_nc_u32_e32 v18, 29, v18
	v_lshlrev_b64 v[99:100], v99, v[2:3]
	s_delay_alu instid0(VALU_DEP_1)
	v_and_b32_e32 v2, 7, v99
; %bb.867:                              ;   in Loop: Header=BB318_523 Depth=1
	s_or_b32 exec_lo, exec_lo, s17
	v_lshlrev_b32_e32 v17, 8, v17
	v_lshl_add_u32 v18, v18, 10, 0x2000
	s_delay_alu instid0(VALU_DEP_1) | instskip(NEXT) | instid1(VALU_DEP_1)
	v_and_or_b32 v17, 0x8000, v17, v18
	v_lshl_or_b32 v2, v2, 7, v17
	s_delay_alu instid0(VALU_DEP_1)
	v_cvt_f32_f16_e32 v99, v2
.LBB318_868:                            ;   in Loop: Header=BB318_523 Depth=1
	s_or_b32 exec_lo, exec_lo, s16
.LBB318_869:                            ;   in Loop: Header=BB318_523 Depth=1
	s_delay_alu instid0(SALU_CYCLE_1)
	s_or_b32 exec_lo, exec_lo, s15
.LBB318_870:                            ;   in Loop: Header=BB318_523 Depth=1
	s_delay_alu instid0(SALU_CYCLE_1) | instskip(SKIP_3) | instid1(VALU_DEP_2)
	s_or_b32 exec_lo, exec_lo, s13
	v_lshrrev_b32_e32 v17, 16, v13
	v_mov_b32_e32 v100, 0
	s_mov_b32 s13, exec_lo
	v_dual_mov_b32 v101, 0 :: v_dual_and_b32 v2, 0xff, v17
	s_delay_alu instid0(VALU_DEP_1)
	v_cmpx_ne_u16_e32 0, v2
	s_cbranch_execz .LBB318_878
; %bb.871:                              ;   in Loop: Header=BB318_523 Depth=1
	v_bfrev_b32_e32 v100, 1
	s_mov_b32 s15, exec_lo
	v_cmpx_ne_u16_e32 0x80, v2
	s_cbranch_execz .LBB318_877
; %bb.872:                              ;   in Loop: Header=BB318_523 Depth=1
	v_bfe_u32 v102, v13, 16, 7
	v_mov_b32_e32 v100, 0x7fc02000
	s_mov_b32 s16, exec_lo
	s_delay_alu instid0(VALU_DEP_2)
	v_cmpx_ne_u32_e32 0x7f, v102
	s_cbranch_execz .LBB318_876
; %bb.873:                              ;   in Loop: Header=BB318_523 Depth=1
	v_and_b32_e32 v2, 7, v17
	v_lshrrev_b32_e32 v18, 3, v102
	s_mov_b32 s17, exec_lo
	v_cmpx_gt_u32_e32 8, v102
; %bb.874:                              ;   in Loop: Header=BB318_523 Depth=1
	s_delay_alu instid0(VALU_DEP_3) | instskip(NEXT) | instid1(VALU_DEP_1)
	v_clz_i32_u32_e32 v18, v2
	v_min_u32_e32 v18, 32, v18
	s_delay_alu instid0(VALU_DEP_1) | instskip(SKIP_1) | instid1(VALU_DEP_2)
	v_subrev_nc_u32_e32 v100, 28, v18
	v_sub_nc_u32_e32 v18, 29, v18
	v_lshlrev_b64 v[102:103], v100, v[2:3]
	s_delay_alu instid0(VALU_DEP_1)
	v_and_b32_e32 v2, 7, v102
; %bb.875:                              ;   in Loop: Header=BB318_523 Depth=1
	s_or_b32 exec_lo, exec_lo, s17
	v_lshlrev_b32_e32 v17, 8, v17
	v_lshl_add_u32 v18, v18, 10, 0x2000
	s_delay_alu instid0(VALU_DEP_1) | instskip(NEXT) | instid1(VALU_DEP_1)
	v_and_or_b32 v17, 0x8000, v17, v18
	v_lshl_or_b32 v2, v2, 7, v17
	s_delay_alu instid0(VALU_DEP_1)
	v_cvt_f32_f16_e32 v100, v2
.LBB318_876:                            ;   in Loop: Header=BB318_523 Depth=1
	s_or_b32 exec_lo, exec_lo, s16
.LBB318_877:                            ;   in Loop: Header=BB318_523 Depth=1
	s_delay_alu instid0(SALU_CYCLE_1)
	s_or_b32 exec_lo, exec_lo, s15
.LBB318_878:                            ;   in Loop: Header=BB318_523 Depth=1
	s_delay_alu instid0(SALU_CYCLE_1) | instskip(NEXT) | instid1(SALU_CYCLE_1)
	s_or_b32 exec_lo, exec_lo, s13
	s_mov_b32 s13, exec_lo
	v_cmpx_lt_u32_e32 0xffffff, v13
	s_cbranch_execz .LBB318_886
; %bb.879:                              ;   in Loop: Header=BB318_523 Depth=1
	v_lshrrev_b32_e32 v17, 24, v13
	v_bfrev_b32_e32 v101, 1
	s_mov_b32 s15, exec_lo
	s_delay_alu instid0(VALU_DEP_2)
	v_cmpx_ne_u32_e32 0x80, v17
	s_cbranch_execz .LBB318_885
; %bb.880:                              ;   in Loop: Header=BB318_523 Depth=1
	v_and_b32_e32 v102, 0x7f, v17
	v_mov_b32_e32 v101, 0x7fc02000
	s_mov_b32 s16, exec_lo
	s_delay_alu instid0(VALU_DEP_2)
	v_cmpx_ne_u32_e32 0x7f, v102
	s_cbranch_execz .LBB318_884
; %bb.881:                              ;   in Loop: Header=BB318_523 Depth=1
	v_and_b32_e32 v2, 7, v17
	v_lshrrev_b32_e32 v18, 3, v102
	s_mov_b32 s17, exec_lo
	v_cmpx_gt_u32_e32 8, v102
; %bb.882:                              ;   in Loop: Header=BB318_523 Depth=1
	s_delay_alu instid0(VALU_DEP_3) | instskip(NEXT) | instid1(VALU_DEP_1)
	v_clz_i32_u32_e32 v18, v2
	v_min_u32_e32 v18, 32, v18
	s_delay_alu instid0(VALU_DEP_1) | instskip(SKIP_1) | instid1(VALU_DEP_2)
	v_subrev_nc_u32_e32 v101, 28, v18
	v_sub_nc_u32_e32 v18, 29, v18
	v_lshlrev_b64 v[101:102], v101, v[2:3]
	s_delay_alu instid0(VALU_DEP_1)
	v_and_b32_e32 v2, 7, v101
; %bb.883:                              ;   in Loop: Header=BB318_523 Depth=1
	s_or_b32 exec_lo, exec_lo, s17
	v_lshlrev_b32_e32 v17, 8, v17
	v_lshl_add_u32 v18, v18, 10, 0x2000
	s_delay_alu instid0(VALU_DEP_1) | instskip(NEXT) | instid1(VALU_DEP_1)
	v_and_or_b32 v17, 0x8000, v17, v18
	v_lshl_or_b32 v2, v2, 7, v17
	s_delay_alu instid0(VALU_DEP_1)
	v_cvt_f32_f16_e32 v101, v2
.LBB318_884:                            ;   in Loop: Header=BB318_523 Depth=1
	s_or_b32 exec_lo, exec_lo, s16
.LBB318_885:                            ;   in Loop: Header=BB318_523 Depth=1
	s_delay_alu instid0(SALU_CYCLE_1)
	s_or_b32 exec_lo, exec_lo, s15
.LBB318_886:                            ;   in Loop: Header=BB318_523 Depth=1
	s_delay_alu instid0(SALU_CYCLE_1) | instskip(SKIP_4) | instid1(VALU_DEP_3)
	s_or_b32 exec_lo, exec_lo, s13
	v_dual_mov_b32 v17, 0 :: v_dual_and_b32 v18, 0xff, v14
	v_mov_b32_e32 v2, v14
	v_mov_b32_e32 v102, 0
	s_mov_b32 s13, exec_lo
	v_cmpx_ne_u16_e32 0, v18
	s_cbranch_execz .LBB318_894
; %bb.887:                              ;   in Loop: Header=BB318_523 Depth=1
	v_bfrev_b32_e32 v17, 1
	s_mov_b32 s15, exec_lo
	v_cmpx_ne_u16_e32 0x80, v18
	s_cbranch_execz .LBB318_893
; %bb.888:                              ;   in Loop: Header=BB318_523 Depth=1
	v_and_b32_e32 v18, 0x7f, v14
	v_mov_b32_e32 v17, 0x7fc02000
	s_mov_b32 s16, exec_lo
	s_delay_alu instid0(VALU_DEP_2)
	v_cmpx_ne_u32_e32 0x7f, v18
	s_cbranch_execz .LBB318_892
; %bb.889:                              ;   in Loop: Header=BB318_523 Depth=1
	v_lshrrev_b32_e32 v103, 3, v18
	v_cmp_gt_u32_e64 s1, 8, v18
	v_dual_mov_b32 v18, v3 :: v_dual_mov_b32 v17, v2
	s_delay_alu instid0(VALU_DEP_2)
	s_and_saveexec_b32 s17, s1
; %bb.890:                              ;   in Loop: Header=BB318_523 Depth=1
	v_and_b32_e32 v17, 7, v14
	s_delay_alu instid0(VALU_DEP_1) | instskip(NEXT) | instid1(VALU_DEP_1)
	v_clz_i32_u32_e32 v17, v17
	v_min_u32_e32 v103, 32, v17
	s_delay_alu instid0(VALU_DEP_1) | instskip(SKIP_1) | instid1(VALU_DEP_2)
	v_subrev_nc_u32_e32 v17, 28, v103
	v_sub_nc_u32_e32 v103, 29, v103
	v_lshlrev_b64 v[17:18], v17, v[2:3]
; %bb.891:                              ;   in Loop: Header=BB318_523 Depth=1
	s_or_b32 exec_lo, exec_lo, s17
	v_lshlrev_b32_e32 v18, 8, v14
	s_delay_alu instid0(VALU_DEP_3) | instskip(NEXT) | instid1(VALU_DEP_3)
	v_lshl_add_u32 v103, v103, 10, 0x2000
	v_lshlrev_b32_e32 v17, 7, v17
	s_delay_alu instid0(VALU_DEP_2) | instskip(NEXT) | instid1(VALU_DEP_1)
	v_and_or_b32 v18, 0x8000, v18, v103
	v_and_or_b32 v17, 0x380, v17, v18
	s_delay_alu instid0(VALU_DEP_1)
	v_cvt_f32_f16_e32 v17, v17
.LBB318_892:                            ;   in Loop: Header=BB318_523 Depth=1
	s_or_b32 exec_lo, exec_lo, s16
.LBB318_893:                            ;   in Loop: Header=BB318_523 Depth=1
	s_delay_alu instid0(SALU_CYCLE_1)
	s_or_b32 exec_lo, exec_lo, s15
.LBB318_894:                            ;   in Loop: Header=BB318_523 Depth=1
	s_delay_alu instid0(SALU_CYCLE_1) | instskip(SKIP_2) | instid1(VALU_DEP_1)
	s_or_b32 exec_lo, exec_lo, s13
	v_lshrrev_b16 v2, 8, v2
	s_mov_b32 s13, exec_lo
	v_cmpx_ne_u16_e32 0, v2
	s_cbranch_execz .LBB318_902
; %bb.895:                              ;   in Loop: Header=BB318_523 Depth=1
	v_bfrev_b32_e32 v102, 1
	s_mov_b32 s15, exec_lo
	v_cmpx_ne_u16_e32 0x80, v2
	s_cbranch_execz .LBB318_901
; %bb.896:                              ;   in Loop: Header=BB318_523 Depth=1
	v_and_b32_e32 v18, 0xffff, v2
	v_mov_b32_e32 v102, 0x7fc02000
	s_mov_b32 s16, exec_lo
	s_delay_alu instid0(VALU_DEP_2) | instskip(NEXT) | instid1(VALU_DEP_1)
	v_and_b32_e32 v103, 0x7f, v18
	v_cmpx_ne_u32_e32 0x7f, v103
	s_cbranch_execz .LBB318_900
; %bb.897:                              ;   in Loop: Header=BB318_523 Depth=1
	v_and_b32_e32 v2, 7, v18
	v_lshrrev_b32_e32 v102, 3, v103
	s_mov_b32 s17, exec_lo
	v_cmpx_gt_u32_e32 8, v103
; %bb.898:                              ;   in Loop: Header=BB318_523 Depth=1
	s_delay_alu instid0(VALU_DEP_3) | instskip(NEXT) | instid1(VALU_DEP_1)
	v_clz_i32_u32_e32 v102, v2
	v_min_u32_e32 v102, 32, v102
	s_delay_alu instid0(VALU_DEP_1) | instskip(SKIP_1) | instid1(VALU_DEP_2)
	v_subrev_nc_u32_e32 v103, 28, v102
	v_sub_nc_u32_e32 v102, 29, v102
	v_lshlrev_b64 v[112:113], v103, v[2:3]
	s_delay_alu instid0(VALU_DEP_1)
	v_and_b32_e32 v2, 7, v112
; %bb.899:                              ;   in Loop: Header=BB318_523 Depth=1
	s_or_b32 exec_lo, exec_lo, s17
	v_lshlrev_b32_e32 v18, 8, v18
	v_lshl_add_u32 v102, v102, 10, 0x2000
	s_delay_alu instid0(VALU_DEP_1) | instskip(NEXT) | instid1(VALU_DEP_1)
	v_and_or_b32 v18, 0x8000, v18, v102
	v_lshl_or_b32 v2, v2, 7, v18
	s_delay_alu instid0(VALU_DEP_1)
	v_cvt_f32_f16_e32 v102, v2
.LBB318_900:                            ;   in Loop: Header=BB318_523 Depth=1
	s_or_b32 exec_lo, exec_lo, s16
.LBB318_901:                            ;   in Loop: Header=BB318_523 Depth=1
	s_delay_alu instid0(SALU_CYCLE_1)
	s_or_b32 exec_lo, exec_lo, s15
.LBB318_902:                            ;   in Loop: Header=BB318_523 Depth=1
	s_delay_alu instid0(SALU_CYCLE_1) | instskip(SKIP_3) | instid1(VALU_DEP_2)
	s_or_b32 exec_lo, exec_lo, s13
	v_lshrrev_b32_e32 v112, 16, v14
	v_mov_b32_e32 v18, 0
	s_mov_b32 s13, exec_lo
	v_dual_mov_b32 v103, 0 :: v_dual_and_b32 v2, 0xff, v112
	s_delay_alu instid0(VALU_DEP_1)
	v_cmpx_ne_u16_e32 0, v2
	s_cbranch_execz .LBB318_910
; %bb.903:                              ;   in Loop: Header=BB318_523 Depth=1
	v_bfrev_b32_e32 v18, 1
	s_mov_b32 s15, exec_lo
	v_cmpx_ne_u16_e32 0x80, v2
	s_cbranch_execz .LBB318_909
; %bb.904:                              ;   in Loop: Header=BB318_523 Depth=1
	v_bfe_u32 v113, v14, 16, 7
	v_mov_b32_e32 v18, 0x7fc02000
	s_mov_b32 s16, exec_lo
	s_delay_alu instid0(VALU_DEP_2)
	v_cmpx_ne_u32_e32 0x7f, v113
	s_cbranch_execz .LBB318_908
; %bb.905:                              ;   in Loop: Header=BB318_523 Depth=1
	v_and_b32_e32 v2, 7, v112
	v_lshrrev_b32_e32 v18, 3, v113
	s_mov_b32 s17, exec_lo
	v_cmpx_gt_u32_e32 8, v113
; %bb.906:                              ;   in Loop: Header=BB318_523 Depth=1
	s_delay_alu instid0(VALU_DEP_3) | instskip(NEXT) | instid1(VALU_DEP_1)
	v_clz_i32_u32_e32 v18, v2
	v_min_u32_e32 v18, 32, v18
	s_delay_alu instid0(VALU_DEP_1) | instskip(SKIP_1) | instid1(VALU_DEP_2)
	v_subrev_nc_u32_e32 v113, 28, v18
	v_sub_nc_u32_e32 v18, 29, v18
	v_lshlrev_b64 v[113:114], v113, v[2:3]
	s_delay_alu instid0(VALU_DEP_1)
	v_and_b32_e32 v2, 7, v113
; %bb.907:                              ;   in Loop: Header=BB318_523 Depth=1
	s_or_b32 exec_lo, exec_lo, s17
	v_lshlrev_b32_e32 v112, 8, v112
	v_lshl_add_u32 v18, v18, 10, 0x2000
	s_delay_alu instid0(VALU_DEP_1) | instskip(NEXT) | instid1(VALU_DEP_1)
	v_and_or_b32 v18, 0x8000, v112, v18
	v_lshl_or_b32 v2, v2, 7, v18
	s_delay_alu instid0(VALU_DEP_1)
	v_cvt_f32_f16_e32 v18, v2
.LBB318_908:                            ;   in Loop: Header=BB318_523 Depth=1
	s_or_b32 exec_lo, exec_lo, s16
.LBB318_909:                            ;   in Loop: Header=BB318_523 Depth=1
	s_delay_alu instid0(SALU_CYCLE_1)
	s_or_b32 exec_lo, exec_lo, s15
.LBB318_910:                            ;   in Loop: Header=BB318_523 Depth=1
	s_delay_alu instid0(SALU_CYCLE_1) | instskip(NEXT) | instid1(SALU_CYCLE_1)
	s_or_b32 exec_lo, exec_lo, s13
	s_mov_b32 s13, exec_lo
	v_cmpx_lt_u64_e64 s[8:9], v[13:14]
	s_cbranch_execz .LBB318_918
; %bb.911:                              ;   in Loop: Header=BB318_523 Depth=1
	v_lshrrev_b32_e32 v13, 24, v14
	v_bfrev_b32_e32 v103, 1
	s_mov_b32 s15, exec_lo
	s_delay_alu instid0(VALU_DEP_2)
	v_cmpx_ne_u32_e32 0x80, v13
	s_cbranch_execz .LBB318_917
; %bb.912:                              ;   in Loop: Header=BB318_523 Depth=1
	v_and_b32_e32 v112, 0x7f, v13
	v_mov_b32_e32 v103, 0x7fc02000
	s_mov_b32 s16, exec_lo
	s_delay_alu instid0(VALU_DEP_2)
	v_cmpx_ne_u32_e32 0x7f, v112
	s_cbranch_execz .LBB318_916
; %bb.913:                              ;   in Loop: Header=BB318_523 Depth=1
	v_and_b32_e32 v2, 7, v13
	v_lshrrev_b32_e32 v14, 3, v112
	s_mov_b32 s17, exec_lo
	v_cmpx_gt_u32_e32 8, v112
; %bb.914:                              ;   in Loop: Header=BB318_523 Depth=1
	s_delay_alu instid0(VALU_DEP_3) | instskip(NEXT) | instid1(VALU_DEP_1)
	v_clz_i32_u32_e32 v14, v2
	v_min_u32_e32 v14, 32, v14
	s_delay_alu instid0(VALU_DEP_1) | instskip(SKIP_1) | instid1(VALU_DEP_2)
	v_subrev_nc_u32_e32 v103, 28, v14
	v_sub_nc_u32_e32 v14, 29, v14
	v_lshlrev_b64 v[112:113], v103, v[2:3]
	s_delay_alu instid0(VALU_DEP_1)
	v_and_b32_e32 v2, 7, v112
; %bb.915:                              ;   in Loop: Header=BB318_523 Depth=1
	s_or_b32 exec_lo, exec_lo, s17
	v_lshlrev_b32_e32 v13, 8, v13
	v_lshl_add_u32 v14, v14, 10, 0x2000
	s_delay_alu instid0(VALU_DEP_1) | instskip(NEXT) | instid1(VALU_DEP_1)
	v_and_or_b32 v13, 0x8000, v13, v14
	v_lshl_or_b32 v2, v2, 7, v13
	s_delay_alu instid0(VALU_DEP_1)
	v_cvt_f32_f16_e32 v103, v2
.LBB318_916:                            ;   in Loop: Header=BB318_523 Depth=1
	s_or_b32 exec_lo, exec_lo, s16
.LBB318_917:                            ;   in Loop: Header=BB318_523 Depth=1
	s_delay_alu instid0(SALU_CYCLE_1)
	s_or_b32 exec_lo, exec_lo, s15
.LBB318_918:                            ;   in Loop: Header=BB318_523 Depth=1
	s_delay_alu instid0(SALU_CYCLE_1)
	s_or_b32 exec_lo, exec_lo, s13
	s_waitcnt vmcnt(0) lgkmcnt(0)
	v_fma_mixlo_f16 v14, v97, v99, 0
	v_fma_mixlo_f16 v2, v97, v101, 0
	;; [unrolled: 1-line block ×5, first 2 shown]
	v_lshlrev_b32_e32 v99, 16, v14
	v_fma_mixlo_f16 v17, v97, v17, 0
	v_fma_mixlo_f16 v101, v97, v103, 0
	;; [unrolled: 1-line block ×3, first 2 shown]
	v_lshlrev_b32_e32 v2, 16, v2
	v_and_b32_e32 v13, 0xffff, v13
	v_and_b32_e32 v18, 0xffff, v98
	v_lshlrev_b32_e32 v97, 16, v100
	v_and_b32_e32 v98, 0xffff, v17
	v_lshlrev_b32_e32 v100, 16, v101
	v_and_b32_e32 v101, 0xffff, v14
	v_or_b32_e32 v17, v2, v13
	v_or_b32_e32 v18, v99, v18
	;; [unrolled: 1-line block ×3, first 2 shown]
	s_delay_alu instid0(VALU_DEP_4)
	v_or_b32_e32 v13, v100, v101
	s_and_saveexec_b32 s13, s0
	s_cbranch_execz .LBB318_920
; %bb.919:                              ;   in Loop: Header=BB318_523 Depth=1
	v_add_nc_u32_e32 v97, 1, v66
	v_lshrrev_b32_e32 v98, 16, v18
	v_or_b32_e32 v99, 3, v66
	v_lshrrev_b32_e32 v100, 16, v17
	v_lshrrev_b32_e32 v101, 16, v2
	v_cmp_lt_i32_e64 s1, v97, v53
	v_lshrrev_b32_e32 v13, 16, v13
	v_or_b32_e32 v102, 6, v66
	s_delay_alu instid0(VALU_DEP_3) | instskip(SKIP_2) | instid1(VALU_DEP_2)
	v_cndmask_b32_e64 v97, 0, v98, s1
	v_cmp_lt_i32_e64 s1, v66, v35
	v_or_b32_e32 v98, 2, v66
	v_cndmask_b32_e64 v18, 0, v18, s1
	v_cmp_lt_i32_e64 s1, v99, v53
	s_delay_alu instid0(VALU_DEP_2) | instskip(NEXT) | instid1(VALU_DEP_2)
	v_perm_b32 v18, v97, v18, 0x5040100
	v_cndmask_b32_e64 v99, 0, v100, s1
	v_or_b32_e32 v100, 5, v66
	v_cmp_lt_i32_e64 s1, v98, v35
	v_or_b32_e32 v98, 4, v66
	s_delay_alu instid0(VALU_DEP_2) | instskip(NEXT) | instid1(VALU_DEP_4)
	v_cndmask_b32_e64 v17, 0, v17, s1
	v_cmp_lt_i32_e64 s1, v100, v53
	s_delay_alu instid0(VALU_DEP_2) | instskip(NEXT) | instid1(VALU_DEP_2)
	v_perm_b32 v17, v99, v17, 0x5040100
	v_cndmask_b32_e64 v100, 0, v101, s1
	v_or_b32_e32 v101, 7, v66
	v_cmp_lt_i32_e64 s1, v98, v35
	s_delay_alu instid0(VALU_DEP_1) | instskip(NEXT) | instid1(VALU_DEP_3)
	v_cndmask_b32_e64 v2, 0, v2, s1
	v_cmp_lt_i32_e64 s1, v101, v53
	s_delay_alu instid0(VALU_DEP_2) | instskip(NEXT) | instid1(VALU_DEP_2)
	v_perm_b32 v2, v100, v2, 0x5040100
	v_cndmask_b32_e64 v13, 0, v13, s1
	v_cmp_lt_i32_e64 s1, v102, v35
	s_delay_alu instid0(VALU_DEP_1) | instskip(NEXT) | instid1(VALU_DEP_1)
	v_cndmask_b32_e64 v14, 0, v14, s1
	v_perm_b32 v13, v13, v14, 0x5040100
.LBB318_920:                            ;   in Loop: Header=BB318_523 Depth=1
	s_or_b32 exec_lo, exec_lo, s13
	;;#ASMSTART
	v_pk_mul_f16 v14, v80, v18;

	;;#ASMEND
	;;#ASMSTART
	v_pk_mul_f16 v17, v71, v17;

	;;#ASMEND
	;; [unrolled: 4-line block ×4, first 2 shown]
	;;#ASMSTART
	v_pk_add_f16 v14, v14, v17;

	;;#ASMEND
	;;#ASMSTART
	v_pk_add_f16 v2, v14, v2;

	;;#ASMEND
	;; [unrolled: 4-line block ×3, first 2 shown]
	v_dual_mov_b32 v98, 0 :: v_dual_and_b32 v13, 0xffff, v2
	v_lshrrev_b32_e32 v2, 16, v2
	;;#ASMSTART
	v_cvt_f32_f16 v17, v13;
	;;#ASMEND
	;;#ASMSTART
	v_cvt_f32_f16 v18, v2;
	;;#ASMEND
	flat_load_b64 v[11:12], v[11:12] offset:1536
	flat_load_b32 v97, v[26:27]
	s_mov_b32 s13, exec_lo
	s_waitcnt vmcnt(1) lgkmcnt(1)
	v_dual_mov_b32 v99, 0 :: v_dual_and_b32 v2, 0xff, v11
	s_delay_alu instid0(VALU_DEP_1)
	v_cmpx_ne_u16_e32 0, v2
	s_cbranch_execz .LBB318_928
; %bb.921:                              ;   in Loop: Header=BB318_523 Depth=1
	v_bfrev_b32_e32 v98, 1
	s_mov_b32 s15, exec_lo
	v_cmpx_ne_u16_e32 0x80, v2
	s_cbranch_execz .LBB318_927
; %bb.922:                              ;   in Loop: Header=BB318_523 Depth=1
	v_and_b32_e32 v13, 0x7f, v11
	v_mov_b32_e32 v98, 0x7fc02000
	s_mov_b32 s16, exec_lo
	s_delay_alu instid0(VALU_DEP_2)
	v_cmpx_ne_u32_e32 0x7f, v13
	s_cbranch_execz .LBB318_926
; %bb.923:                              ;   in Loop: Header=BB318_523 Depth=1
	v_lshrrev_b32_e32 v2, 3, v13
	v_cmp_gt_u32_e64 s1, 8, v13
	v_dual_mov_b32 v14, v12 :: v_dual_mov_b32 v13, v11
	s_delay_alu instid0(VALU_DEP_2)
	s_and_saveexec_b32 s17, s1
; %bb.924:                              ;   in Loop: Header=BB318_523 Depth=1
	v_and_b32_e32 v2, 7, v11
	s_delay_alu instid0(VALU_DEP_1) | instskip(NEXT) | instid1(VALU_DEP_1)
	v_clz_i32_u32_e32 v2, v2
	v_min_u32_e32 v2, 32, v2
	s_delay_alu instid0(VALU_DEP_1) | instskip(SKIP_1) | instid1(VALU_DEP_2)
	v_subrev_nc_u32_e32 v13, 28, v2
	v_sub_nc_u32_e32 v2, 29, v2
	v_lshlrev_b64 v[13:14], v13, v[11:12]
; %bb.925:                              ;   in Loop: Header=BB318_523 Depth=1
	s_or_b32 exec_lo, exec_lo, s17
	v_lshlrev_b32_e32 v14, 8, v11
	s_delay_alu instid0(VALU_DEP_3) | instskip(NEXT) | instid1(VALU_DEP_3)
	v_lshl_add_u32 v2, v2, 10, 0x2000
	v_lshlrev_b32_e32 v13, 7, v13
	s_delay_alu instid0(VALU_DEP_2) | instskip(NEXT) | instid1(VALU_DEP_1)
	v_and_or_b32 v2, 0x8000, v14, v2
	v_and_or_b32 v2, 0x380, v13, v2
	s_delay_alu instid0(VALU_DEP_1)
	v_cvt_f32_f16_e32 v98, v2
.LBB318_926:                            ;   in Loop: Header=BB318_523 Depth=1
	s_or_b32 exec_lo, exec_lo, s16
.LBB318_927:                            ;   in Loop: Header=BB318_523 Depth=1
	s_delay_alu instid0(SALU_CYCLE_1)
	s_or_b32 exec_lo, exec_lo, s15
.LBB318_928:                            ;   in Loop: Header=BB318_523 Depth=1
	s_delay_alu instid0(SALU_CYCLE_1) | instskip(SKIP_2) | instid1(VALU_DEP_1)
	s_or_b32 exec_lo, exec_lo, s13
	v_lshrrev_b16 v2, 8, v11
	s_mov_b32 s13, exec_lo
	v_cmpx_ne_u16_e32 0, v2
	s_cbranch_execz .LBB318_936
; %bb.929:                              ;   in Loop: Header=BB318_523 Depth=1
	v_bfrev_b32_e32 v99, 1
	s_mov_b32 s15, exec_lo
	v_cmpx_ne_u16_e32 0x80, v2
	s_cbranch_execz .LBB318_935
; %bb.930:                              ;   in Loop: Header=BB318_523 Depth=1
	v_and_b32_e32 v13, 0xffff, v2
	v_mov_b32_e32 v99, 0x7fc02000
	s_mov_b32 s16, exec_lo
	s_delay_alu instid0(VALU_DEP_2) | instskip(NEXT) | instid1(VALU_DEP_1)
	v_and_b32_e32 v100, 0x7f, v13
	v_cmpx_ne_u32_e32 0x7f, v100
	s_cbranch_execz .LBB318_934
; %bb.931:                              ;   in Loop: Header=BB318_523 Depth=1
	v_and_b32_e32 v2, 7, v13
	v_lshrrev_b32_e32 v14, 3, v100
	s_mov_b32 s17, exec_lo
	v_cmpx_gt_u32_e32 8, v100
; %bb.932:                              ;   in Loop: Header=BB318_523 Depth=1
	s_delay_alu instid0(VALU_DEP_3) | instskip(NEXT) | instid1(VALU_DEP_1)
	v_clz_i32_u32_e32 v14, v2
	v_min_u32_e32 v14, 32, v14
	s_delay_alu instid0(VALU_DEP_1) | instskip(SKIP_1) | instid1(VALU_DEP_2)
	v_subrev_nc_u32_e32 v99, 28, v14
	v_sub_nc_u32_e32 v14, 29, v14
	v_lshlrev_b64 v[99:100], v99, v[2:3]
	s_delay_alu instid0(VALU_DEP_1)
	v_and_b32_e32 v2, 7, v99
; %bb.933:                              ;   in Loop: Header=BB318_523 Depth=1
	s_or_b32 exec_lo, exec_lo, s17
	v_lshlrev_b32_e32 v13, 8, v13
	v_lshl_add_u32 v14, v14, 10, 0x2000
	s_delay_alu instid0(VALU_DEP_1) | instskip(NEXT) | instid1(VALU_DEP_1)
	v_and_or_b32 v13, 0x8000, v13, v14
	v_lshl_or_b32 v2, v2, 7, v13
	s_delay_alu instid0(VALU_DEP_1)
	v_cvt_f32_f16_e32 v99, v2
.LBB318_934:                            ;   in Loop: Header=BB318_523 Depth=1
	s_or_b32 exec_lo, exec_lo, s16
.LBB318_935:                            ;   in Loop: Header=BB318_523 Depth=1
	s_delay_alu instid0(SALU_CYCLE_1)
	s_or_b32 exec_lo, exec_lo, s15
.LBB318_936:                            ;   in Loop: Header=BB318_523 Depth=1
	s_delay_alu instid0(SALU_CYCLE_1) | instskip(SKIP_3) | instid1(VALU_DEP_2)
	s_or_b32 exec_lo, exec_lo, s13
	v_lshrrev_b32_e32 v13, 16, v11
	v_mov_b32_e32 v100, 0
	s_mov_b32 s13, exec_lo
	v_dual_mov_b32 v101, 0 :: v_dual_and_b32 v2, 0xff, v13
	s_delay_alu instid0(VALU_DEP_1)
	v_cmpx_ne_u16_e32 0, v2
	s_cbranch_execz .LBB318_944
; %bb.937:                              ;   in Loop: Header=BB318_523 Depth=1
	v_bfrev_b32_e32 v100, 1
	s_mov_b32 s15, exec_lo
	v_cmpx_ne_u16_e32 0x80, v2
	s_cbranch_execz .LBB318_943
; %bb.938:                              ;   in Loop: Header=BB318_523 Depth=1
	v_bfe_u32 v102, v11, 16, 7
	v_mov_b32_e32 v100, 0x7fc02000
	s_mov_b32 s16, exec_lo
	s_delay_alu instid0(VALU_DEP_2)
	v_cmpx_ne_u32_e32 0x7f, v102
	s_cbranch_execz .LBB318_942
; %bb.939:                              ;   in Loop: Header=BB318_523 Depth=1
	v_and_b32_e32 v2, 7, v13
	v_lshrrev_b32_e32 v14, 3, v102
	s_mov_b32 s17, exec_lo
	v_cmpx_gt_u32_e32 8, v102
; %bb.940:                              ;   in Loop: Header=BB318_523 Depth=1
	s_delay_alu instid0(VALU_DEP_3) | instskip(NEXT) | instid1(VALU_DEP_1)
	v_clz_i32_u32_e32 v14, v2
	v_min_u32_e32 v14, 32, v14
	s_delay_alu instid0(VALU_DEP_1) | instskip(SKIP_1) | instid1(VALU_DEP_2)
	v_subrev_nc_u32_e32 v100, 28, v14
	v_sub_nc_u32_e32 v14, 29, v14
	v_lshlrev_b64 v[102:103], v100, v[2:3]
	s_delay_alu instid0(VALU_DEP_1)
	v_and_b32_e32 v2, 7, v102
; %bb.941:                              ;   in Loop: Header=BB318_523 Depth=1
	s_or_b32 exec_lo, exec_lo, s17
	v_lshlrev_b32_e32 v13, 8, v13
	v_lshl_add_u32 v14, v14, 10, 0x2000
	s_delay_alu instid0(VALU_DEP_1) | instskip(NEXT) | instid1(VALU_DEP_1)
	v_and_or_b32 v13, 0x8000, v13, v14
	v_lshl_or_b32 v2, v2, 7, v13
	s_delay_alu instid0(VALU_DEP_1)
	v_cvt_f32_f16_e32 v100, v2
.LBB318_942:                            ;   in Loop: Header=BB318_523 Depth=1
	s_or_b32 exec_lo, exec_lo, s16
.LBB318_943:                            ;   in Loop: Header=BB318_523 Depth=1
	s_delay_alu instid0(SALU_CYCLE_1)
	s_or_b32 exec_lo, exec_lo, s15
.LBB318_944:                            ;   in Loop: Header=BB318_523 Depth=1
	s_delay_alu instid0(SALU_CYCLE_1) | instskip(NEXT) | instid1(SALU_CYCLE_1)
	s_or_b32 exec_lo, exec_lo, s13
	s_mov_b32 s13, exec_lo
	v_cmpx_lt_u32_e32 0xffffff, v11
	s_cbranch_execz .LBB318_952
; %bb.945:                              ;   in Loop: Header=BB318_523 Depth=1
	v_lshrrev_b32_e32 v13, 24, v11
	v_bfrev_b32_e32 v101, 1
	s_mov_b32 s15, exec_lo
	s_delay_alu instid0(VALU_DEP_2)
	v_cmpx_ne_u32_e32 0x80, v13
	s_cbranch_execz .LBB318_951
; %bb.946:                              ;   in Loop: Header=BB318_523 Depth=1
	v_and_b32_e32 v102, 0x7f, v13
	v_mov_b32_e32 v101, 0x7fc02000
	s_mov_b32 s16, exec_lo
	s_delay_alu instid0(VALU_DEP_2)
	v_cmpx_ne_u32_e32 0x7f, v102
	s_cbranch_execz .LBB318_950
; %bb.947:                              ;   in Loop: Header=BB318_523 Depth=1
	v_and_b32_e32 v2, 7, v13
	v_lshrrev_b32_e32 v14, 3, v102
	s_mov_b32 s17, exec_lo
	v_cmpx_gt_u32_e32 8, v102
; %bb.948:                              ;   in Loop: Header=BB318_523 Depth=1
	s_delay_alu instid0(VALU_DEP_3) | instskip(NEXT) | instid1(VALU_DEP_1)
	v_clz_i32_u32_e32 v14, v2
	v_min_u32_e32 v14, 32, v14
	s_delay_alu instid0(VALU_DEP_1) | instskip(SKIP_1) | instid1(VALU_DEP_2)
	v_subrev_nc_u32_e32 v101, 28, v14
	v_sub_nc_u32_e32 v14, 29, v14
	v_lshlrev_b64 v[101:102], v101, v[2:3]
	s_delay_alu instid0(VALU_DEP_1)
	v_and_b32_e32 v2, 7, v101
; %bb.949:                              ;   in Loop: Header=BB318_523 Depth=1
	s_or_b32 exec_lo, exec_lo, s17
	v_lshlrev_b32_e32 v13, 8, v13
	v_lshl_add_u32 v14, v14, 10, 0x2000
	s_delay_alu instid0(VALU_DEP_1) | instskip(NEXT) | instid1(VALU_DEP_1)
	v_and_or_b32 v13, 0x8000, v13, v14
	v_lshl_or_b32 v2, v2, 7, v13
	s_delay_alu instid0(VALU_DEP_1)
	v_cvt_f32_f16_e32 v101, v2
.LBB318_950:                            ;   in Loop: Header=BB318_523 Depth=1
	s_or_b32 exec_lo, exec_lo, s16
.LBB318_951:                            ;   in Loop: Header=BB318_523 Depth=1
	s_delay_alu instid0(SALU_CYCLE_1)
	s_or_b32 exec_lo, exec_lo, s15
.LBB318_952:                            ;   in Loop: Header=BB318_523 Depth=1
	s_delay_alu instid0(SALU_CYCLE_1) | instskip(SKIP_4) | instid1(VALU_DEP_3)
	s_or_b32 exec_lo, exec_lo, s13
	v_dual_mov_b32 v13, 0 :: v_dual_and_b32 v14, 0xff, v12
	v_mov_b32_e32 v2, v12
	v_mov_b32_e32 v102, 0
	s_mov_b32 s13, exec_lo
	v_cmpx_ne_u16_e32 0, v14
	s_cbranch_execz .LBB318_960
; %bb.953:                              ;   in Loop: Header=BB318_523 Depth=1
	v_bfrev_b32_e32 v13, 1
	s_mov_b32 s15, exec_lo
	v_cmpx_ne_u16_e32 0x80, v14
	s_cbranch_execz .LBB318_959
; %bb.954:                              ;   in Loop: Header=BB318_523 Depth=1
	v_and_b32_e32 v14, 0x7f, v12
	v_mov_b32_e32 v13, 0x7fc02000
	s_mov_b32 s16, exec_lo
	s_delay_alu instid0(VALU_DEP_2)
	v_cmpx_ne_u32_e32 0x7f, v14
	s_cbranch_execz .LBB318_958
; %bb.955:                              ;   in Loop: Header=BB318_523 Depth=1
	v_lshrrev_b32_e32 v103, 3, v14
	v_cmp_gt_u32_e64 s1, 8, v14
	v_dual_mov_b32 v14, v3 :: v_dual_mov_b32 v13, v2
	s_delay_alu instid0(VALU_DEP_2)
	s_and_saveexec_b32 s17, s1
; %bb.956:                              ;   in Loop: Header=BB318_523 Depth=1
	v_and_b32_e32 v13, 7, v12
	s_delay_alu instid0(VALU_DEP_1) | instskip(NEXT) | instid1(VALU_DEP_1)
	v_clz_i32_u32_e32 v13, v13
	v_min_u32_e32 v103, 32, v13
	s_delay_alu instid0(VALU_DEP_1) | instskip(SKIP_1) | instid1(VALU_DEP_2)
	v_subrev_nc_u32_e32 v13, 28, v103
	v_sub_nc_u32_e32 v103, 29, v103
	v_lshlrev_b64 v[13:14], v13, v[2:3]
; %bb.957:                              ;   in Loop: Header=BB318_523 Depth=1
	s_or_b32 exec_lo, exec_lo, s17
	v_lshlrev_b32_e32 v14, 8, v12
	s_delay_alu instid0(VALU_DEP_3) | instskip(NEXT) | instid1(VALU_DEP_3)
	v_lshl_add_u32 v103, v103, 10, 0x2000
	v_lshlrev_b32_e32 v13, 7, v13
	s_delay_alu instid0(VALU_DEP_2) | instskip(NEXT) | instid1(VALU_DEP_1)
	v_and_or_b32 v14, 0x8000, v14, v103
	v_and_or_b32 v13, 0x380, v13, v14
	s_delay_alu instid0(VALU_DEP_1)
	v_cvt_f32_f16_e32 v13, v13
.LBB318_958:                            ;   in Loop: Header=BB318_523 Depth=1
	s_or_b32 exec_lo, exec_lo, s16
.LBB318_959:                            ;   in Loop: Header=BB318_523 Depth=1
	s_delay_alu instid0(SALU_CYCLE_1)
	s_or_b32 exec_lo, exec_lo, s15
.LBB318_960:                            ;   in Loop: Header=BB318_523 Depth=1
	s_delay_alu instid0(SALU_CYCLE_1) | instskip(SKIP_2) | instid1(VALU_DEP_1)
	s_or_b32 exec_lo, exec_lo, s13
	v_lshrrev_b16 v2, 8, v2
	s_mov_b32 s13, exec_lo
	v_cmpx_ne_u16_e32 0, v2
	s_cbranch_execz .LBB318_968
; %bb.961:                              ;   in Loop: Header=BB318_523 Depth=1
	v_bfrev_b32_e32 v102, 1
	s_mov_b32 s15, exec_lo
	v_cmpx_ne_u16_e32 0x80, v2
	s_cbranch_execz .LBB318_967
; %bb.962:                              ;   in Loop: Header=BB318_523 Depth=1
	v_and_b32_e32 v14, 0xffff, v2
	v_mov_b32_e32 v102, 0x7fc02000
	s_mov_b32 s16, exec_lo
	s_delay_alu instid0(VALU_DEP_2) | instskip(NEXT) | instid1(VALU_DEP_1)
	v_and_b32_e32 v103, 0x7f, v14
	v_cmpx_ne_u32_e32 0x7f, v103
	s_cbranch_execz .LBB318_966
; %bb.963:                              ;   in Loop: Header=BB318_523 Depth=1
	v_and_b32_e32 v2, 7, v14
	v_lshrrev_b32_e32 v102, 3, v103
	s_mov_b32 s17, exec_lo
	v_cmpx_gt_u32_e32 8, v103
; %bb.964:                              ;   in Loop: Header=BB318_523 Depth=1
	s_delay_alu instid0(VALU_DEP_3) | instskip(NEXT) | instid1(VALU_DEP_1)
	v_clz_i32_u32_e32 v102, v2
	v_min_u32_e32 v102, 32, v102
	s_delay_alu instid0(VALU_DEP_1) | instskip(SKIP_1) | instid1(VALU_DEP_2)
	v_subrev_nc_u32_e32 v103, 28, v102
	v_sub_nc_u32_e32 v102, 29, v102
	v_lshlrev_b64 v[112:113], v103, v[2:3]
	s_delay_alu instid0(VALU_DEP_1)
	v_and_b32_e32 v2, 7, v112
; %bb.965:                              ;   in Loop: Header=BB318_523 Depth=1
	s_or_b32 exec_lo, exec_lo, s17
	v_lshlrev_b32_e32 v14, 8, v14
	v_lshl_add_u32 v102, v102, 10, 0x2000
	s_delay_alu instid0(VALU_DEP_1) | instskip(NEXT) | instid1(VALU_DEP_1)
	v_and_or_b32 v14, 0x8000, v14, v102
	v_lshl_or_b32 v2, v2, 7, v14
	s_delay_alu instid0(VALU_DEP_1)
	v_cvt_f32_f16_e32 v102, v2
.LBB318_966:                            ;   in Loop: Header=BB318_523 Depth=1
	s_or_b32 exec_lo, exec_lo, s16
.LBB318_967:                            ;   in Loop: Header=BB318_523 Depth=1
	s_delay_alu instid0(SALU_CYCLE_1)
	s_or_b32 exec_lo, exec_lo, s15
.LBB318_968:                            ;   in Loop: Header=BB318_523 Depth=1
	s_delay_alu instid0(SALU_CYCLE_1) | instskip(SKIP_3) | instid1(VALU_DEP_2)
	s_or_b32 exec_lo, exec_lo, s13
	v_lshrrev_b32_e32 v112, 16, v12
	v_mov_b32_e32 v14, 0
	s_mov_b32 s13, exec_lo
	v_dual_mov_b32 v103, 0 :: v_dual_and_b32 v2, 0xff, v112
	s_delay_alu instid0(VALU_DEP_1)
	v_cmpx_ne_u16_e32 0, v2
	s_cbranch_execz .LBB318_976
; %bb.969:                              ;   in Loop: Header=BB318_523 Depth=1
	v_bfrev_b32_e32 v14, 1
	s_mov_b32 s15, exec_lo
	v_cmpx_ne_u16_e32 0x80, v2
	s_cbranch_execz .LBB318_975
; %bb.970:                              ;   in Loop: Header=BB318_523 Depth=1
	v_bfe_u32 v113, v12, 16, 7
	v_mov_b32_e32 v14, 0x7fc02000
	s_mov_b32 s16, exec_lo
	s_delay_alu instid0(VALU_DEP_2)
	v_cmpx_ne_u32_e32 0x7f, v113
	s_cbranch_execz .LBB318_974
; %bb.971:                              ;   in Loop: Header=BB318_523 Depth=1
	v_and_b32_e32 v2, 7, v112
	v_lshrrev_b32_e32 v14, 3, v113
	s_mov_b32 s17, exec_lo
	v_cmpx_gt_u32_e32 8, v113
; %bb.972:                              ;   in Loop: Header=BB318_523 Depth=1
	s_delay_alu instid0(VALU_DEP_3) | instskip(NEXT) | instid1(VALU_DEP_1)
	v_clz_i32_u32_e32 v14, v2
	v_min_u32_e32 v14, 32, v14
	s_delay_alu instid0(VALU_DEP_1) | instskip(SKIP_1) | instid1(VALU_DEP_2)
	v_subrev_nc_u32_e32 v113, 28, v14
	v_sub_nc_u32_e32 v14, 29, v14
	v_lshlrev_b64 v[113:114], v113, v[2:3]
	s_delay_alu instid0(VALU_DEP_1)
	v_and_b32_e32 v2, 7, v113
; %bb.973:                              ;   in Loop: Header=BB318_523 Depth=1
	s_or_b32 exec_lo, exec_lo, s17
	v_lshlrev_b32_e32 v112, 8, v112
	v_lshl_add_u32 v14, v14, 10, 0x2000
	s_delay_alu instid0(VALU_DEP_1) | instskip(NEXT) | instid1(VALU_DEP_1)
	v_and_or_b32 v14, 0x8000, v112, v14
	v_lshl_or_b32 v2, v2, 7, v14
	s_delay_alu instid0(VALU_DEP_1)
	v_cvt_f32_f16_e32 v14, v2
.LBB318_974:                            ;   in Loop: Header=BB318_523 Depth=1
	s_or_b32 exec_lo, exec_lo, s16
.LBB318_975:                            ;   in Loop: Header=BB318_523 Depth=1
	s_delay_alu instid0(SALU_CYCLE_1)
	s_or_b32 exec_lo, exec_lo, s15
.LBB318_976:                            ;   in Loop: Header=BB318_523 Depth=1
	s_delay_alu instid0(SALU_CYCLE_1) | instskip(NEXT) | instid1(SALU_CYCLE_1)
	s_or_b32 exec_lo, exec_lo, s13
	s_mov_b32 s13, exec_lo
	v_cmpx_lt_u64_e64 s[8:9], v[11:12]
	s_cbranch_execz .LBB318_984
; %bb.977:                              ;   in Loop: Header=BB318_523 Depth=1
	v_lshrrev_b32_e32 v11, 24, v12
	v_bfrev_b32_e32 v103, 1
	s_mov_b32 s15, exec_lo
	s_delay_alu instid0(VALU_DEP_2)
	v_cmpx_ne_u32_e32 0x80, v11
	s_cbranch_execz .LBB318_983
; %bb.978:                              ;   in Loop: Header=BB318_523 Depth=1
	v_and_b32_e32 v112, 0x7f, v11
	v_mov_b32_e32 v103, 0x7fc02000
	s_mov_b32 s16, exec_lo
	s_delay_alu instid0(VALU_DEP_2)
	v_cmpx_ne_u32_e32 0x7f, v112
	s_cbranch_execz .LBB318_982
; %bb.979:                              ;   in Loop: Header=BB318_523 Depth=1
	v_and_b32_e32 v2, 7, v11
	v_lshrrev_b32_e32 v12, 3, v112
	s_mov_b32 s17, exec_lo
	v_cmpx_gt_u32_e32 8, v112
; %bb.980:                              ;   in Loop: Header=BB318_523 Depth=1
	s_delay_alu instid0(VALU_DEP_3) | instskip(NEXT) | instid1(VALU_DEP_1)
	v_clz_i32_u32_e32 v12, v2
	v_min_u32_e32 v12, 32, v12
	s_delay_alu instid0(VALU_DEP_1) | instskip(SKIP_1) | instid1(VALU_DEP_2)
	v_subrev_nc_u32_e32 v103, 28, v12
	v_sub_nc_u32_e32 v12, 29, v12
	v_lshlrev_b64 v[112:113], v103, v[2:3]
	s_delay_alu instid0(VALU_DEP_1)
	v_and_b32_e32 v2, 7, v112
; %bb.981:                              ;   in Loop: Header=BB318_523 Depth=1
	s_or_b32 exec_lo, exec_lo, s17
	v_lshlrev_b32_e32 v11, 8, v11
	v_lshl_add_u32 v12, v12, 10, 0x2000
	s_delay_alu instid0(VALU_DEP_1) | instskip(NEXT) | instid1(VALU_DEP_1)
	v_and_or_b32 v11, 0x8000, v11, v12
	v_lshl_or_b32 v2, v2, 7, v11
	s_delay_alu instid0(VALU_DEP_1)
	v_cvt_f32_f16_e32 v103, v2
.LBB318_982:                            ;   in Loop: Header=BB318_523 Depth=1
	s_or_b32 exec_lo, exec_lo, s16
.LBB318_983:                            ;   in Loop: Header=BB318_523 Depth=1
	s_delay_alu instid0(SALU_CYCLE_1)
	s_or_b32 exec_lo, exec_lo, s15
.LBB318_984:                            ;   in Loop: Header=BB318_523 Depth=1
	s_delay_alu instid0(SALU_CYCLE_1)
	s_or_b32 exec_lo, exec_lo, s13
	s_waitcnt vmcnt(0) lgkmcnt(0)
	v_fma_mixlo_f16 v12, v97, v99, 0
	v_fma_mixlo_f16 v2, v97, v101, 0
	;; [unrolled: 1-line block ×5, first 2 shown]
	v_lshlrev_b32_e32 v99, 16, v12
	v_fma_mixlo_f16 v13, v97, v13, 0
	v_fma_mixlo_f16 v101, v97, v103, 0
	;; [unrolled: 1-line block ×3, first 2 shown]
	v_lshlrev_b32_e32 v2, 16, v2
	v_and_b32_e32 v11, 0xffff, v11
	v_and_b32_e32 v14, 0xffff, v98
	v_lshlrev_b32_e32 v97, 16, v100
	v_and_b32_e32 v98, 0xffff, v13
	v_lshlrev_b32_e32 v100, 16, v101
	v_and_b32_e32 v101, 0xffff, v12
	v_or_b32_e32 v13, v2, v11
	v_or_b32_e32 v14, v99, v14
	;; [unrolled: 1-line block ×3, first 2 shown]
	s_delay_alu instid0(VALU_DEP_4)
	v_or_b32_e32 v11, v100, v101
	s_and_saveexec_b32 s13, s0
	s_cbranch_execz .LBB318_986
; %bb.985:                              ;   in Loop: Header=BB318_523 Depth=1
	v_add_nc_u32_e32 v97, 1, v66
	v_lshrrev_b32_e32 v98, 16, v14
	v_or_b32_e32 v99, 3, v66
	v_lshrrev_b32_e32 v100, 16, v13
	v_lshrrev_b32_e32 v101, 16, v2
	v_cmp_lt_i32_e64 s1, v97, v53
	v_lshrrev_b32_e32 v11, 16, v11
	v_or_b32_e32 v102, 6, v66
	s_delay_alu instid0(VALU_DEP_3) | instskip(SKIP_2) | instid1(VALU_DEP_2)
	v_cndmask_b32_e64 v97, 0, v98, s1
	v_cmp_lt_i32_e64 s1, v66, v35
	v_or_b32_e32 v98, 2, v66
	v_cndmask_b32_e64 v14, 0, v14, s1
	v_cmp_lt_i32_e64 s1, v99, v53
	s_delay_alu instid0(VALU_DEP_2) | instskip(NEXT) | instid1(VALU_DEP_2)
	v_perm_b32 v14, v97, v14, 0x5040100
	v_cndmask_b32_e64 v99, 0, v100, s1
	v_or_b32_e32 v100, 5, v66
	v_cmp_lt_i32_e64 s1, v98, v35
	v_or_b32_e32 v98, 4, v66
	s_delay_alu instid0(VALU_DEP_2) | instskip(NEXT) | instid1(VALU_DEP_4)
	v_cndmask_b32_e64 v13, 0, v13, s1
	v_cmp_lt_i32_e64 s1, v100, v53
	s_delay_alu instid0(VALU_DEP_2) | instskip(NEXT) | instid1(VALU_DEP_2)
	v_perm_b32 v13, v99, v13, 0x5040100
	v_cndmask_b32_e64 v100, 0, v101, s1
	v_or_b32_e32 v101, 7, v66
	v_cmp_lt_i32_e64 s1, v98, v35
	s_delay_alu instid0(VALU_DEP_1) | instskip(NEXT) | instid1(VALU_DEP_3)
	v_cndmask_b32_e64 v2, 0, v2, s1
	v_cmp_lt_i32_e64 s1, v101, v53
	s_delay_alu instid0(VALU_DEP_2) | instskip(NEXT) | instid1(VALU_DEP_2)
	v_perm_b32 v2, v100, v2, 0x5040100
	v_cndmask_b32_e64 v11, 0, v11, s1
	v_cmp_lt_i32_e64 s1, v102, v35
	s_delay_alu instid0(VALU_DEP_1) | instskip(NEXT) | instid1(VALU_DEP_1)
	v_cndmask_b32_e64 v12, 0, v12, s1
	v_perm_b32 v11, v11, v12, 0x5040100
.LBB318_986:                            ;   in Loop: Header=BB318_523 Depth=1
	s_or_b32 exec_lo, exec_lo, s13
	;;#ASMSTART
	v_pk_mul_f16 v12, v80, v14;

	;;#ASMEND
	;;#ASMSTART
	v_pk_mul_f16 v13, v71, v13;

	;;#ASMEND
	;; [unrolled: 4-line block ×4, first 2 shown]
	;;#ASMSTART
	v_pk_add_f16 v12, v12, v13;

	;;#ASMEND
	;;#ASMSTART
	v_pk_add_f16 v2, v12, v2;

	;;#ASMEND
	;; [unrolled: 4-line block ×3, first 2 shown]
	v_and_b32_e32 v11, 0xffff, v2
	v_lshrrev_b32_e32 v2, 16, v2
	;;#ASMSTART
	v_cvt_f32_f16 v13, v11;
	;;#ASMEND
	;;#ASMSTART
	v_cvt_f32_f16 v14, v2;
	;;#ASMEND
	s_and_saveexec_b32 s13, vcc_lo
	s_cbranch_execz .LBB318_521
; %bb.987:                              ;   in Loop: Header=BB318_523 Depth=1
	v_add_co_u32 v9, s1, v9, v65
	s_delay_alu instid0(VALU_DEP_1)
	v_add_co_ci_u32_e64 v10, s1, 0, v10, s1
	v_mov_b32_e32 v98, 0
	s_mov_b32 s15, exec_lo
	flat_load_b64 v[9:10], v[9:10]
	flat_load_b32 v97, v[26:27]
	s_waitcnt vmcnt(1) lgkmcnt(1)
	v_dual_mov_b32 v99, 0 :: v_dual_and_b32 v2, 0xff, v9
	s_delay_alu instid0(VALU_DEP_1)
	v_cmpx_ne_u16_e32 0, v2
	s_cbranch_execz .LBB318_995
; %bb.988:                              ;   in Loop: Header=BB318_523 Depth=1
	v_bfrev_b32_e32 v98, 1
	s_mov_b32 s16, exec_lo
	v_cmpx_ne_u16_e32 0x80, v2
	s_cbranch_execz .LBB318_994
; %bb.989:                              ;   in Loop: Header=BB318_523 Depth=1
	v_and_b32_e32 v11, 0x7f, v9
	v_mov_b32_e32 v98, 0x7fc02000
	s_mov_b32 s17, exec_lo
	s_delay_alu instid0(VALU_DEP_2)
	v_cmpx_ne_u32_e32 0x7f, v11
	s_cbranch_execz .LBB318_993
; %bb.990:                              ;   in Loop: Header=BB318_523 Depth=1
	v_lshrrev_b32_e32 v2, 3, v11
	v_cmp_gt_u32_e64 s1, 8, v11
	v_dual_mov_b32 v12, v10 :: v_dual_mov_b32 v11, v9
	s_delay_alu instid0(VALU_DEP_2)
	s_and_saveexec_b32 s18, s1
; %bb.991:                              ;   in Loop: Header=BB318_523 Depth=1
	v_and_b32_e32 v2, 7, v9
	s_delay_alu instid0(VALU_DEP_1) | instskip(NEXT) | instid1(VALU_DEP_1)
	v_clz_i32_u32_e32 v2, v2
	v_min_u32_e32 v2, 32, v2
	s_delay_alu instid0(VALU_DEP_1) | instskip(SKIP_1) | instid1(VALU_DEP_2)
	v_subrev_nc_u32_e32 v11, 28, v2
	v_sub_nc_u32_e32 v2, 29, v2
	v_lshlrev_b64 v[11:12], v11, v[9:10]
; %bb.992:                              ;   in Loop: Header=BB318_523 Depth=1
	s_or_b32 exec_lo, exec_lo, s18
	v_lshlrev_b32_e32 v12, 8, v9
	s_delay_alu instid0(VALU_DEP_3) | instskip(NEXT) | instid1(VALU_DEP_3)
	v_lshl_add_u32 v2, v2, 10, 0x2000
	v_lshlrev_b32_e32 v11, 7, v11
	s_delay_alu instid0(VALU_DEP_2) | instskip(NEXT) | instid1(VALU_DEP_1)
	v_and_or_b32 v2, 0x8000, v12, v2
	v_and_or_b32 v2, 0x380, v11, v2
	s_delay_alu instid0(VALU_DEP_1)
	v_cvt_f32_f16_e32 v98, v2
.LBB318_993:                            ;   in Loop: Header=BB318_523 Depth=1
	s_or_b32 exec_lo, exec_lo, s17
.LBB318_994:                            ;   in Loop: Header=BB318_523 Depth=1
	s_delay_alu instid0(SALU_CYCLE_1)
	s_or_b32 exec_lo, exec_lo, s16
.LBB318_995:                            ;   in Loop: Header=BB318_523 Depth=1
	s_delay_alu instid0(SALU_CYCLE_1) | instskip(SKIP_2) | instid1(VALU_DEP_1)
	s_or_b32 exec_lo, exec_lo, s15
	v_lshrrev_b16 v2, 8, v9
	s_mov_b32 s15, exec_lo
	v_cmpx_ne_u16_e32 0, v2
	s_cbranch_execz .LBB318_1003
; %bb.996:                              ;   in Loop: Header=BB318_523 Depth=1
	v_bfrev_b32_e32 v99, 1
	s_mov_b32 s16, exec_lo
	v_cmpx_ne_u16_e32 0x80, v2
	s_cbranch_execz .LBB318_1002
; %bb.997:                              ;   in Loop: Header=BB318_523 Depth=1
	v_and_b32_e32 v11, 0xffff, v2
	v_mov_b32_e32 v99, 0x7fc02000
	s_mov_b32 s17, exec_lo
	s_delay_alu instid0(VALU_DEP_2) | instskip(NEXT) | instid1(VALU_DEP_1)
	v_and_b32_e32 v100, 0x7f, v11
	v_cmpx_ne_u32_e32 0x7f, v100
	s_cbranch_execz .LBB318_1001
; %bb.998:                              ;   in Loop: Header=BB318_523 Depth=1
	v_and_b32_e32 v2, 7, v11
	v_lshrrev_b32_e32 v12, 3, v100
	s_mov_b32 s18, exec_lo
	v_cmpx_gt_u32_e32 8, v100
; %bb.999:                              ;   in Loop: Header=BB318_523 Depth=1
	s_delay_alu instid0(VALU_DEP_3) | instskip(NEXT) | instid1(VALU_DEP_1)
	v_clz_i32_u32_e32 v12, v2
	v_min_u32_e32 v12, 32, v12
	s_delay_alu instid0(VALU_DEP_1) | instskip(SKIP_1) | instid1(VALU_DEP_2)
	v_subrev_nc_u32_e32 v99, 28, v12
	v_sub_nc_u32_e32 v12, 29, v12
	v_lshlrev_b64 v[99:100], v99, v[2:3]
	s_delay_alu instid0(VALU_DEP_1)
	v_and_b32_e32 v2, 7, v99
; %bb.1000:                             ;   in Loop: Header=BB318_523 Depth=1
	s_or_b32 exec_lo, exec_lo, s18
	v_lshlrev_b32_e32 v11, 8, v11
	v_lshl_add_u32 v12, v12, 10, 0x2000
	s_delay_alu instid0(VALU_DEP_1) | instskip(NEXT) | instid1(VALU_DEP_1)
	v_and_or_b32 v11, 0x8000, v11, v12
	v_lshl_or_b32 v2, v2, 7, v11
	s_delay_alu instid0(VALU_DEP_1)
	v_cvt_f32_f16_e32 v99, v2
.LBB318_1001:                           ;   in Loop: Header=BB318_523 Depth=1
	s_or_b32 exec_lo, exec_lo, s17
.LBB318_1002:                           ;   in Loop: Header=BB318_523 Depth=1
	s_delay_alu instid0(SALU_CYCLE_1)
	s_or_b32 exec_lo, exec_lo, s16
.LBB318_1003:                           ;   in Loop: Header=BB318_523 Depth=1
	s_delay_alu instid0(SALU_CYCLE_1) | instskip(SKIP_3) | instid1(VALU_DEP_2)
	s_or_b32 exec_lo, exec_lo, s15
	v_lshrrev_b32_e32 v11, 16, v9
	v_mov_b32_e32 v100, 0
	s_mov_b32 s15, exec_lo
	v_dual_mov_b32 v101, 0 :: v_dual_and_b32 v2, 0xff, v11
	s_delay_alu instid0(VALU_DEP_1)
	v_cmpx_ne_u16_e32 0, v2
	s_cbranch_execz .LBB318_1011
; %bb.1004:                             ;   in Loop: Header=BB318_523 Depth=1
	v_bfrev_b32_e32 v100, 1
	s_mov_b32 s16, exec_lo
	v_cmpx_ne_u16_e32 0x80, v2
	s_cbranch_execz .LBB318_1010
; %bb.1005:                             ;   in Loop: Header=BB318_523 Depth=1
	v_bfe_u32 v102, v9, 16, 7
	v_mov_b32_e32 v100, 0x7fc02000
	s_mov_b32 s17, exec_lo
	s_delay_alu instid0(VALU_DEP_2)
	v_cmpx_ne_u32_e32 0x7f, v102
	s_cbranch_execz .LBB318_1009
; %bb.1006:                             ;   in Loop: Header=BB318_523 Depth=1
	v_and_b32_e32 v2, 7, v11
	v_lshrrev_b32_e32 v12, 3, v102
	s_mov_b32 s18, exec_lo
	v_cmpx_gt_u32_e32 8, v102
; %bb.1007:                             ;   in Loop: Header=BB318_523 Depth=1
	s_delay_alu instid0(VALU_DEP_3) | instskip(NEXT) | instid1(VALU_DEP_1)
	v_clz_i32_u32_e32 v12, v2
	v_min_u32_e32 v12, 32, v12
	s_delay_alu instid0(VALU_DEP_1) | instskip(SKIP_1) | instid1(VALU_DEP_2)
	v_subrev_nc_u32_e32 v100, 28, v12
	v_sub_nc_u32_e32 v12, 29, v12
	v_lshlrev_b64 v[102:103], v100, v[2:3]
	s_delay_alu instid0(VALU_DEP_1)
	v_and_b32_e32 v2, 7, v102
; %bb.1008:                             ;   in Loop: Header=BB318_523 Depth=1
	s_or_b32 exec_lo, exec_lo, s18
	v_lshlrev_b32_e32 v11, 8, v11
	v_lshl_add_u32 v12, v12, 10, 0x2000
	s_delay_alu instid0(VALU_DEP_1) | instskip(NEXT) | instid1(VALU_DEP_1)
	v_and_or_b32 v11, 0x8000, v11, v12
	v_lshl_or_b32 v2, v2, 7, v11
	s_delay_alu instid0(VALU_DEP_1)
	v_cvt_f32_f16_e32 v100, v2
.LBB318_1009:                           ;   in Loop: Header=BB318_523 Depth=1
	s_or_b32 exec_lo, exec_lo, s17
.LBB318_1010:                           ;   in Loop: Header=BB318_523 Depth=1
	s_delay_alu instid0(SALU_CYCLE_1)
	s_or_b32 exec_lo, exec_lo, s16
.LBB318_1011:                           ;   in Loop: Header=BB318_523 Depth=1
	s_delay_alu instid0(SALU_CYCLE_1) | instskip(NEXT) | instid1(SALU_CYCLE_1)
	s_or_b32 exec_lo, exec_lo, s15
	s_mov_b32 s15, exec_lo
	v_cmpx_lt_u32_e32 0xffffff, v9
	s_cbranch_execz .LBB318_1019
; %bb.1012:                             ;   in Loop: Header=BB318_523 Depth=1
	v_lshrrev_b32_e32 v11, 24, v9
	v_bfrev_b32_e32 v101, 1
	s_mov_b32 s16, exec_lo
	s_delay_alu instid0(VALU_DEP_2)
	v_cmpx_ne_u32_e32 0x80, v11
	s_cbranch_execz .LBB318_1018
; %bb.1013:                             ;   in Loop: Header=BB318_523 Depth=1
	v_and_b32_e32 v102, 0x7f, v11
	v_mov_b32_e32 v101, 0x7fc02000
	s_mov_b32 s17, exec_lo
	s_delay_alu instid0(VALU_DEP_2)
	v_cmpx_ne_u32_e32 0x7f, v102
	s_cbranch_execz .LBB318_1017
; %bb.1014:                             ;   in Loop: Header=BB318_523 Depth=1
	v_and_b32_e32 v2, 7, v11
	v_lshrrev_b32_e32 v12, 3, v102
	s_mov_b32 s18, exec_lo
	v_cmpx_gt_u32_e32 8, v102
; %bb.1015:                             ;   in Loop: Header=BB318_523 Depth=1
	s_delay_alu instid0(VALU_DEP_3) | instskip(NEXT) | instid1(VALU_DEP_1)
	v_clz_i32_u32_e32 v12, v2
	v_min_u32_e32 v12, 32, v12
	s_delay_alu instid0(VALU_DEP_1) | instskip(SKIP_1) | instid1(VALU_DEP_2)
	v_subrev_nc_u32_e32 v101, 28, v12
	v_sub_nc_u32_e32 v12, 29, v12
	v_lshlrev_b64 v[101:102], v101, v[2:3]
	s_delay_alu instid0(VALU_DEP_1)
	v_and_b32_e32 v2, 7, v101
; %bb.1016:                             ;   in Loop: Header=BB318_523 Depth=1
	s_or_b32 exec_lo, exec_lo, s18
	v_lshlrev_b32_e32 v11, 8, v11
	v_lshl_add_u32 v12, v12, 10, 0x2000
	s_delay_alu instid0(VALU_DEP_1) | instskip(NEXT) | instid1(VALU_DEP_1)
	v_and_or_b32 v11, 0x8000, v11, v12
	v_lshl_or_b32 v2, v2, 7, v11
	s_delay_alu instid0(VALU_DEP_1)
	v_cvt_f32_f16_e32 v101, v2
.LBB318_1017:                           ;   in Loop: Header=BB318_523 Depth=1
	s_or_b32 exec_lo, exec_lo, s17
.LBB318_1018:                           ;   in Loop: Header=BB318_523 Depth=1
	s_delay_alu instid0(SALU_CYCLE_1)
	s_or_b32 exec_lo, exec_lo, s16
.LBB318_1019:                           ;   in Loop: Header=BB318_523 Depth=1
	s_delay_alu instid0(SALU_CYCLE_1) | instskip(SKIP_4) | instid1(VALU_DEP_3)
	s_or_b32 exec_lo, exec_lo, s15
	v_dual_mov_b32 v11, 0 :: v_dual_and_b32 v12, 0xff, v10
	v_mov_b32_e32 v2, v10
	v_mov_b32_e32 v102, 0
	s_mov_b32 s15, exec_lo
	v_cmpx_ne_u16_e32 0, v12
	s_cbranch_execz .LBB318_1027
; %bb.1020:                             ;   in Loop: Header=BB318_523 Depth=1
	v_bfrev_b32_e32 v11, 1
	s_mov_b32 s16, exec_lo
	v_cmpx_ne_u16_e32 0x80, v12
	s_cbranch_execz .LBB318_1026
; %bb.1021:                             ;   in Loop: Header=BB318_523 Depth=1
	v_and_b32_e32 v12, 0x7f, v10
	v_mov_b32_e32 v11, 0x7fc02000
	s_mov_b32 s17, exec_lo
	s_delay_alu instid0(VALU_DEP_2)
	v_cmpx_ne_u32_e32 0x7f, v12
	s_cbranch_execz .LBB318_1025
; %bb.1022:                             ;   in Loop: Header=BB318_523 Depth=1
	v_lshrrev_b32_e32 v103, 3, v12
	v_cmp_gt_u32_e64 s1, 8, v12
	v_dual_mov_b32 v12, v3 :: v_dual_mov_b32 v11, v2
	s_delay_alu instid0(VALU_DEP_2)
	s_and_saveexec_b32 s18, s1
; %bb.1023:                             ;   in Loop: Header=BB318_523 Depth=1
	v_and_b32_e32 v11, 7, v10
	s_delay_alu instid0(VALU_DEP_1) | instskip(NEXT) | instid1(VALU_DEP_1)
	v_clz_i32_u32_e32 v11, v11
	v_min_u32_e32 v103, 32, v11
	s_delay_alu instid0(VALU_DEP_1) | instskip(SKIP_1) | instid1(VALU_DEP_2)
	v_subrev_nc_u32_e32 v11, 28, v103
	v_sub_nc_u32_e32 v103, 29, v103
	v_lshlrev_b64 v[11:12], v11, v[2:3]
; %bb.1024:                             ;   in Loop: Header=BB318_523 Depth=1
	s_or_b32 exec_lo, exec_lo, s18
	v_lshlrev_b32_e32 v12, 8, v10
	s_delay_alu instid0(VALU_DEP_3) | instskip(NEXT) | instid1(VALU_DEP_3)
	v_lshl_add_u32 v103, v103, 10, 0x2000
	v_lshlrev_b32_e32 v11, 7, v11
	s_delay_alu instid0(VALU_DEP_2) | instskip(NEXT) | instid1(VALU_DEP_1)
	v_and_or_b32 v12, 0x8000, v12, v103
	v_and_or_b32 v11, 0x380, v11, v12
	s_delay_alu instid0(VALU_DEP_1)
	v_cvt_f32_f16_e32 v11, v11
.LBB318_1025:                           ;   in Loop: Header=BB318_523 Depth=1
	s_or_b32 exec_lo, exec_lo, s17
.LBB318_1026:                           ;   in Loop: Header=BB318_523 Depth=1
	s_delay_alu instid0(SALU_CYCLE_1)
	s_or_b32 exec_lo, exec_lo, s16
.LBB318_1027:                           ;   in Loop: Header=BB318_523 Depth=1
	s_delay_alu instid0(SALU_CYCLE_1) | instskip(SKIP_2) | instid1(VALU_DEP_1)
	s_or_b32 exec_lo, exec_lo, s15
	v_lshrrev_b16 v2, 8, v2
	s_mov_b32 s15, exec_lo
	v_cmpx_ne_u16_e32 0, v2
	s_cbranch_execz .LBB318_1035
; %bb.1028:                             ;   in Loop: Header=BB318_523 Depth=1
	v_bfrev_b32_e32 v102, 1
	s_mov_b32 s16, exec_lo
	v_cmpx_ne_u16_e32 0x80, v2
	s_cbranch_execz .LBB318_1034
; %bb.1029:                             ;   in Loop: Header=BB318_523 Depth=1
	v_and_b32_e32 v12, 0xffff, v2
	v_mov_b32_e32 v102, 0x7fc02000
	s_mov_b32 s17, exec_lo
	s_delay_alu instid0(VALU_DEP_2) | instskip(NEXT) | instid1(VALU_DEP_1)
	v_and_b32_e32 v103, 0x7f, v12
	v_cmpx_ne_u32_e32 0x7f, v103
	s_cbranch_execz .LBB318_1033
; %bb.1030:                             ;   in Loop: Header=BB318_523 Depth=1
	v_and_b32_e32 v2, 7, v12
	v_lshrrev_b32_e32 v102, 3, v103
	s_mov_b32 s18, exec_lo
	v_cmpx_gt_u32_e32 8, v103
; %bb.1031:                             ;   in Loop: Header=BB318_523 Depth=1
	s_delay_alu instid0(VALU_DEP_3) | instskip(NEXT) | instid1(VALU_DEP_1)
	v_clz_i32_u32_e32 v102, v2
	v_min_u32_e32 v102, 32, v102
	s_delay_alu instid0(VALU_DEP_1) | instskip(SKIP_1) | instid1(VALU_DEP_2)
	v_subrev_nc_u32_e32 v103, 28, v102
	v_sub_nc_u32_e32 v102, 29, v102
	v_lshlrev_b64 v[112:113], v103, v[2:3]
	s_delay_alu instid0(VALU_DEP_1)
	v_and_b32_e32 v2, 7, v112
; %bb.1032:                             ;   in Loop: Header=BB318_523 Depth=1
	s_or_b32 exec_lo, exec_lo, s18
	v_lshlrev_b32_e32 v12, 8, v12
	v_lshl_add_u32 v102, v102, 10, 0x2000
	s_delay_alu instid0(VALU_DEP_1) | instskip(NEXT) | instid1(VALU_DEP_1)
	v_and_or_b32 v12, 0x8000, v12, v102
	v_lshl_or_b32 v2, v2, 7, v12
	s_delay_alu instid0(VALU_DEP_1)
	v_cvt_f32_f16_e32 v102, v2
.LBB318_1033:                           ;   in Loop: Header=BB318_523 Depth=1
	s_or_b32 exec_lo, exec_lo, s17
.LBB318_1034:                           ;   in Loop: Header=BB318_523 Depth=1
	s_delay_alu instid0(SALU_CYCLE_1)
	s_or_b32 exec_lo, exec_lo, s16
.LBB318_1035:                           ;   in Loop: Header=BB318_523 Depth=1
	s_delay_alu instid0(SALU_CYCLE_1) | instskip(SKIP_3) | instid1(VALU_DEP_2)
	s_or_b32 exec_lo, exec_lo, s15
	v_lshrrev_b32_e32 v112, 16, v10
	v_mov_b32_e32 v12, 0
	s_mov_b32 s15, exec_lo
	v_dual_mov_b32 v103, 0 :: v_dual_and_b32 v2, 0xff, v112
	s_delay_alu instid0(VALU_DEP_1)
	v_cmpx_ne_u16_e32 0, v2
	s_cbranch_execz .LBB318_1043
; %bb.1036:                             ;   in Loop: Header=BB318_523 Depth=1
	v_bfrev_b32_e32 v12, 1
	s_mov_b32 s16, exec_lo
	v_cmpx_ne_u16_e32 0x80, v2
	s_cbranch_execz .LBB318_1042
; %bb.1037:                             ;   in Loop: Header=BB318_523 Depth=1
	v_bfe_u32 v113, v10, 16, 7
	v_mov_b32_e32 v12, 0x7fc02000
	s_mov_b32 s17, exec_lo
	s_delay_alu instid0(VALU_DEP_2)
	v_cmpx_ne_u32_e32 0x7f, v113
	s_cbranch_execz .LBB318_1041
; %bb.1038:                             ;   in Loop: Header=BB318_523 Depth=1
	v_and_b32_e32 v2, 7, v112
	v_lshrrev_b32_e32 v12, 3, v113
	s_mov_b32 s18, exec_lo
	v_cmpx_gt_u32_e32 8, v113
; %bb.1039:                             ;   in Loop: Header=BB318_523 Depth=1
	s_delay_alu instid0(VALU_DEP_3) | instskip(NEXT) | instid1(VALU_DEP_1)
	v_clz_i32_u32_e32 v12, v2
	v_min_u32_e32 v12, 32, v12
	s_delay_alu instid0(VALU_DEP_1) | instskip(SKIP_1) | instid1(VALU_DEP_2)
	v_subrev_nc_u32_e32 v113, 28, v12
	v_sub_nc_u32_e32 v12, 29, v12
	v_lshlrev_b64 v[113:114], v113, v[2:3]
	s_delay_alu instid0(VALU_DEP_1)
	v_and_b32_e32 v2, 7, v113
; %bb.1040:                             ;   in Loop: Header=BB318_523 Depth=1
	s_or_b32 exec_lo, exec_lo, s18
	v_lshlrev_b32_e32 v112, 8, v112
	v_lshl_add_u32 v12, v12, 10, 0x2000
	s_delay_alu instid0(VALU_DEP_1) | instskip(NEXT) | instid1(VALU_DEP_1)
	v_and_or_b32 v12, 0x8000, v112, v12
	v_lshl_or_b32 v2, v2, 7, v12
	s_delay_alu instid0(VALU_DEP_1)
	v_cvt_f32_f16_e32 v12, v2
.LBB318_1041:                           ;   in Loop: Header=BB318_523 Depth=1
	s_or_b32 exec_lo, exec_lo, s17
.LBB318_1042:                           ;   in Loop: Header=BB318_523 Depth=1
	s_delay_alu instid0(SALU_CYCLE_1)
	s_or_b32 exec_lo, exec_lo, s16
.LBB318_1043:                           ;   in Loop: Header=BB318_523 Depth=1
	s_delay_alu instid0(SALU_CYCLE_1) | instskip(NEXT) | instid1(SALU_CYCLE_1)
	s_or_b32 exec_lo, exec_lo, s15
	s_mov_b32 s15, exec_lo
	v_cmpx_lt_u64_e64 s[8:9], v[9:10]
	s_cbranch_execz .LBB318_1051
; %bb.1044:                             ;   in Loop: Header=BB318_523 Depth=1
	v_lshrrev_b32_e32 v9, 24, v10
	v_bfrev_b32_e32 v103, 1
	s_mov_b32 s16, exec_lo
	s_delay_alu instid0(VALU_DEP_2)
	v_cmpx_ne_u32_e32 0x80, v9
	s_cbranch_execz .LBB318_1050
; %bb.1045:                             ;   in Loop: Header=BB318_523 Depth=1
	v_and_b32_e32 v112, 0x7f, v9
	v_mov_b32_e32 v103, 0x7fc02000
	s_mov_b32 s17, exec_lo
	s_delay_alu instid0(VALU_DEP_2)
	v_cmpx_ne_u32_e32 0x7f, v112
	s_cbranch_execz .LBB318_1049
; %bb.1046:                             ;   in Loop: Header=BB318_523 Depth=1
	v_and_b32_e32 v2, 7, v9
	v_lshrrev_b32_e32 v10, 3, v112
	s_mov_b32 s18, exec_lo
	v_cmpx_gt_u32_e32 8, v112
; %bb.1047:                             ;   in Loop: Header=BB318_523 Depth=1
	s_delay_alu instid0(VALU_DEP_3) | instskip(NEXT) | instid1(VALU_DEP_1)
	v_clz_i32_u32_e32 v10, v2
	v_min_u32_e32 v10, 32, v10
	s_delay_alu instid0(VALU_DEP_1) | instskip(SKIP_1) | instid1(VALU_DEP_2)
	v_subrev_nc_u32_e32 v103, 28, v10
	v_sub_nc_u32_e32 v10, 29, v10
	v_lshlrev_b64 v[112:113], v103, v[2:3]
	s_delay_alu instid0(VALU_DEP_1)
	v_and_b32_e32 v2, 7, v112
; %bb.1048:                             ;   in Loop: Header=BB318_523 Depth=1
	s_or_b32 exec_lo, exec_lo, s18
	v_lshlrev_b32_e32 v9, 8, v9
	v_lshl_add_u32 v10, v10, 10, 0x2000
	s_delay_alu instid0(VALU_DEP_1) | instskip(NEXT) | instid1(VALU_DEP_1)
	v_and_or_b32 v9, 0x8000, v9, v10
	v_lshl_or_b32 v2, v2, 7, v9
	s_delay_alu instid0(VALU_DEP_1)
	v_cvt_f32_f16_e32 v103, v2
.LBB318_1049:                           ;   in Loop: Header=BB318_523 Depth=1
	s_or_b32 exec_lo, exec_lo, s17
.LBB318_1050:                           ;   in Loop: Header=BB318_523 Depth=1
	s_delay_alu instid0(SALU_CYCLE_1)
	s_or_b32 exec_lo, exec_lo, s16
.LBB318_1051:                           ;   in Loop: Header=BB318_523 Depth=1
	s_delay_alu instid0(SALU_CYCLE_1)
	s_or_b32 exec_lo, exec_lo, s15
	s_waitcnt vmcnt(0) lgkmcnt(0)
	v_fma_mixlo_f16 v10, v97, v99, 0
	v_fma_mixlo_f16 v2, v97, v101, 0
	;; [unrolled: 1-line block ×5, first 2 shown]
	v_lshlrev_b32_e32 v99, 16, v10
	v_fma_mixlo_f16 v11, v97, v11, 0
	v_fma_mixlo_f16 v101, v97, v103, 0
	;; [unrolled: 1-line block ×3, first 2 shown]
	v_lshlrev_b32_e32 v2, 16, v2
	v_and_b32_e32 v9, 0xffff, v9
	v_and_b32_e32 v12, 0xffff, v98
	v_lshlrev_b32_e32 v97, 16, v100
	v_and_b32_e32 v98, 0xffff, v11
	v_lshlrev_b32_e32 v100, 16, v101
	v_and_b32_e32 v101, 0xffff, v10
	v_or_b32_e32 v11, v2, v9
	v_or_b32_e32 v12, v99, v12
	;; [unrolled: 1-line block ×3, first 2 shown]
	s_delay_alu instid0(VALU_DEP_4)
	v_or_b32_e32 v9, v100, v101
	s_and_saveexec_b32 s1, s0
	s_cbranch_execz .LBB318_520
; %bb.1052:                             ;   in Loop: Header=BB318_523 Depth=1
	v_add_nc_u32_e32 v97, 1, v66
	v_lshrrev_b32_e32 v98, 16, v12
	v_or_b32_e32 v99, 3, v66
	v_lshrrev_b32_e32 v100, 16, v11
	v_lshrrev_b32_e32 v101, 16, v2
	v_cmp_lt_i32_e64 s0, v97, v53
	v_lshrrev_b32_e32 v9, 16, v9
	s_delay_alu instid0(VALU_DEP_2) | instskip(SKIP_2) | instid1(VALU_DEP_2)
	v_cndmask_b32_e64 v97, 0, v98, s0
	v_cmp_lt_i32_e64 s0, v66, v35
	v_or_b32_e32 v98, 2, v66
	v_cndmask_b32_e64 v12, 0, v12, s0
	v_cmp_lt_i32_e64 s0, v99, v53
	s_delay_alu instid0(VALU_DEP_2) | instskip(NEXT) | instid1(VALU_DEP_2)
	v_perm_b32 v12, v97, v12, 0x5040100
	v_cndmask_b32_e64 v99, 0, v100, s0
	v_or_b32_e32 v100, 5, v66
	v_cmp_lt_i32_e64 s0, v98, v35
	v_or_b32_e32 v98, 4, v66
	s_delay_alu instid0(VALU_DEP_2) | instskip(NEXT) | instid1(VALU_DEP_4)
	v_cndmask_b32_e64 v11, 0, v11, s0
	v_cmp_lt_i32_e64 s0, v100, v53
	s_delay_alu instid0(VALU_DEP_2) | instskip(NEXT) | instid1(VALU_DEP_2)
	v_perm_b32 v11, v99, v11, 0x5040100
	v_cndmask_b32_e64 v100, 0, v101, s0
	v_or_b32_e32 v101, 7, v66
	v_cmp_lt_i32_e64 s0, v98, v35
	v_or_b32_e32 v66, 6, v66
	s_delay_alu instid0(VALU_DEP_2) | instskip(NEXT) | instid1(VALU_DEP_4)
	v_cndmask_b32_e64 v2, 0, v2, s0
	v_cmp_lt_i32_e64 s0, v101, v53
	s_delay_alu instid0(VALU_DEP_2) | instskip(NEXT) | instid1(VALU_DEP_2)
	v_perm_b32 v2, v100, v2, 0x5040100
	v_cndmask_b32_e64 v9, 0, v9, s0
	v_cmp_lt_i32_e64 s0, v66, v35
	s_delay_alu instid0(VALU_DEP_1) | instskip(NEXT) | instid1(VALU_DEP_1)
	v_cndmask_b32_e64 v10, 0, v10, s0
	v_perm_b32 v9, v9, v10, 0x5040100
	s_branch .LBB318_520
.LBB318_1053:
	s_or_b32 exec_lo, exec_lo, s10
	s_load_b32 s0, s[6:7], 0x0
	s_waitcnt lgkmcnt(0)
	v_mov_b32_e32 v0, s0
.LBB318_1054:
	s_or_b32 exec_lo, exec_lo, s3
	ds_bpermute_b32 v1, v21, v55
	ds_bpermute_b32 v2, v21, v32
	ds_bpermute_b32 v3, v21, v31
	ds_bpermute_b32 v6, v21, v28
	ds_bpermute_b32 v11, v21, v29
	ds_bpermute_b32 v12, v21, v25
	ds_bpermute_b32 v13, v21, v24
	ds_bpermute_b32 v14, v21, v64
	v_cmp_eq_u32_e32 vcc_lo, 0, v36
	v_mad_u32_u24 v10, 0x1e0, v39, v0
	v_and_b32_e32 v15, 0x3c0, v34
	s_mov_b32 s1, exec_lo
	s_waitcnt lgkmcnt(0)
	s_waitcnt_vscnt null, 0x0
	s_barrier
	buffer_gl0_inv
	v_dual_add_f32 v9, v55, v1 :: v_dual_add_f32 v8, v32, v2
	v_dual_add_f32 v7, v31, v3 :: v_dual_add_f32 v6, v28, v6
	v_add_f32_e32 v3, v29, v11
	v_dual_add_f32 v2, v25, v12 :: v_dual_add_f32 v1, v24, v13
	v_add_f32_e32 v0, v64, v14
	v_cmpx_eq_u32_e32 64, v15
	s_cbranch_execz .LBB318_1059
; %bb.1055:
	v_add_nc_u32_e32 v11, 0xfffffc40, v10
	s_delay_alu instid0(VALU_DEP_1)
	v_lshl_add_u32 v11, v20, 2, v11
	s_and_saveexec_b32 s0, vcc_lo
	s_cbranch_execz .LBB318_1057
; %bb.1056:
	ds_store_2addr_b32 v11, v9, v8 offset1:16
	ds_store_2addr_b32 v11, v7, v6 offset0:32 offset1:48
	ds_store_2addr_b32 v11, v3, v2 offset0:64 offset1:80
	ds_store_b32 v11, v1 offset:384
.LBB318_1057:
	s_or_b32 exec_lo, exec_lo, s0
	v_or_b32_e32 v12, 0x70, v20
	s_delay_alu instid0(VALU_DEP_1) | instskip(NEXT) | instid1(VALU_DEP_1)
	v_cmp_gt_u32_e64 s0, 0x78, v12
	s_and_b32 s0, vcc_lo, s0
	s_delay_alu instid0(SALU_CYCLE_1)
	s_and_b32 exec_lo, exec_lo, s0
	s_cbranch_execz .LBB318_1059
; %bb.1058:
	ds_store_b32 v11, v0 offset:448
.LBB318_1059:
	s_or_b32 exec_lo, exec_lo, s1
	s_delay_alu instid0(SALU_CYCLE_1)
	s_mov_b32 s1, exec_lo
	s_waitcnt lgkmcnt(0)
	s_barrier
	buffer_gl0_inv
	v_cmpx_gt_u32_e32 64, v34
	s_cbranch_execz .LBB318_1071
; %bb.1060:
	s_and_saveexec_b32 s0, vcc_lo
	s_cbranch_execnz .LBB318_1106
; %bb.1061:
	s_or_b32 exec_lo, exec_lo, s0
	s_and_saveexec_b32 s0, vcc_lo
	s_cbranch_execnz .LBB318_1107
.LBB318_1062:
	s_or_b32 exec_lo, exec_lo, s0
	s_and_saveexec_b32 s0, vcc_lo
	s_cbranch_execnz .LBB318_1108
.LBB318_1063:
	s_or_b32 exec_lo, exec_lo, s0
	s_and_saveexec_b32 s0, vcc_lo
	s_cbranch_execnz .LBB318_1109
.LBB318_1064:
	s_or_b32 exec_lo, exec_lo, s0
	s_and_saveexec_b32 s0, vcc_lo
	s_cbranch_execnz .LBB318_1110
.LBB318_1065:
	s_or_b32 exec_lo, exec_lo, s0
	s_and_saveexec_b32 s0, vcc_lo
	s_cbranch_execnz .LBB318_1111
.LBB318_1066:
	s_or_b32 exec_lo, exec_lo, s0
	s_and_saveexec_b32 s0, vcc_lo
	s_cbranch_execz .LBB318_1068
.LBB318_1067:
	v_lshl_add_u32 v11, v20, 2, v10
	ds_load_b32 v11, v11 offset:384
	s_waitcnt lgkmcnt(0)
	v_add_f32_e32 v1, v1, v11
.LBB318_1068:
	s_or_b32 exec_lo, exec_lo, s0
	v_or_b32_e32 v11, 0x70, v20
	s_delay_alu instid0(VALU_DEP_1) | instskip(NEXT) | instid1(VALU_DEP_1)
	v_cmp_gt_u32_e64 s0, 0x78, v11
	s_and_b32 s3, vcc_lo, s0
	s_delay_alu instid0(SALU_CYCLE_1)
	s_and_saveexec_b32 s0, s3
	s_cbranch_execz .LBB318_1070
; %bb.1069:
	v_lshl_add_u32 v11, v20, 2, v10
	ds_load_b32 v11, v11 offset:448
	s_waitcnt lgkmcnt(0)
	v_add_f32_e32 v0, v0, v11
.LBB318_1070:
	s_or_b32 exec_lo, exec_lo, s0
.LBB318_1071:
	s_delay_alu instid0(SALU_CYCLE_1)
	s_or_b32 exec_lo, exec_lo, s1
	v_and_b32_e32 v11, 0x3e0, v34
	s_mov_b32 s1, exec_lo
	s_barrier
	buffer_gl0_inv
	v_cmpx_eq_u32_e32 32, v11
	s_cbranch_execz .LBB318_1076
; %bb.1072:
	v_add_nc_u32_e32 v11, 0xfffffe20, v10
	s_delay_alu instid0(VALU_DEP_1)
	v_lshl_add_u32 v11, v20, 2, v11
	s_and_saveexec_b32 s0, vcc_lo
	s_cbranch_execz .LBB318_1074
; %bb.1073:
	ds_store_2addr_b32 v11, v9, v8 offset1:16
	ds_store_2addr_b32 v11, v7, v6 offset0:32 offset1:48
	ds_store_2addr_b32 v11, v3, v2 offset0:64 offset1:80
	ds_store_b32 v11, v1 offset:384
.LBB318_1074:
	s_or_b32 exec_lo, exec_lo, s0
	v_or_b32_e32 v12, 0x70, v20
	s_delay_alu instid0(VALU_DEP_1) | instskip(NEXT) | instid1(VALU_DEP_1)
	v_cmp_gt_u32_e64 s0, 0x78, v12
	s_and_b32 s0, vcc_lo, s0
	s_delay_alu instid0(SALU_CYCLE_1)
	s_and_b32 exec_lo, exec_lo, s0
	s_cbranch_execz .LBB318_1076
; %bb.1075:
	ds_store_b32 v11, v0 offset:448
.LBB318_1076:
	s_or_b32 exec_lo, exec_lo, s1
	v_cmp_gt_u32_e64 s0, 32, v34
	s_waitcnt lgkmcnt(0)
	s_barrier
	buffer_gl0_inv
	s_and_saveexec_b32 s3, s0
	s_cbranch_execz .LBB318_1088
; %bb.1077:
	v_lshl_add_u32 v10, v20, 2, v10
	s_and_saveexec_b32 s1, vcc_lo
	s_cbranch_execnz .LBB318_1112
; %bb.1078:
	s_or_b32 exec_lo, exec_lo, s1
	s_and_saveexec_b32 s1, vcc_lo
	s_cbranch_execnz .LBB318_1113
.LBB318_1079:
	s_or_b32 exec_lo, exec_lo, s1
	s_and_saveexec_b32 s1, vcc_lo
	s_cbranch_execnz .LBB318_1114
.LBB318_1080:
	s_or_b32 exec_lo, exec_lo, s1
	s_and_saveexec_b32 s1, vcc_lo
	s_cbranch_execnz .LBB318_1115
.LBB318_1081:
	s_or_b32 exec_lo, exec_lo, s1
	s_and_saveexec_b32 s1, vcc_lo
	s_cbranch_execnz .LBB318_1116
.LBB318_1082:
	s_or_b32 exec_lo, exec_lo, s1
	s_and_saveexec_b32 s1, vcc_lo
	s_cbranch_execnz .LBB318_1117
.LBB318_1083:
	s_or_b32 exec_lo, exec_lo, s1
	s_and_saveexec_b32 s1, vcc_lo
	s_cbranch_execz .LBB318_1085
.LBB318_1084:
	ds_load_b32 v11, v10 offset:384
	s_waitcnt lgkmcnt(0)
	v_add_f32_e32 v1, v1, v11
.LBB318_1085:
	s_or_b32 exec_lo, exec_lo, s1
	v_or_b32_e32 v11, 0x70, v20
	s_delay_alu instid0(VALU_DEP_1) | instskip(NEXT) | instid1(VALU_DEP_1)
	v_cmp_gt_u32_e64 s1, 0x78, v11
	s_and_b32 s6, vcc_lo, s1
	s_delay_alu instid0(SALU_CYCLE_1)
	s_and_saveexec_b32 s1, s6
	s_cbranch_execz .LBB318_1087
; %bb.1086:
	ds_load_b32 v10, v10 offset:448
	s_waitcnt lgkmcnt(0)
	v_add_f32_e32 v0, v0, v10
.LBB318_1087:
	s_or_b32 exec_lo, exec_lo, s1
.LBB318_1088:
	s_delay_alu instid0(SALU_CYCLE_1)
	s_or_b32 exec_lo, exec_lo, s3
	s_barrier
	buffer_gl0_inv
	s_and_b32 exec_lo, exec_lo, s0
	s_cbranch_execz .LBB318_1105
; %bb.1089:
	s_mul_i32 s0, s2, 0x78
	s_mul_i32 s2, s4, s5
	;; [unrolled: 1-line block ×3, first 2 shown]
	s_ashr_i32 s3, s2, 31
	s_ashr_i32 s5, s4, 31
	;; [unrolled: 1-line block ×3, first 2 shown]
	s_lshl_b64 s[2:3], s[2:3], 1
	s_lshl_b64 s[4:5], s[4:5], 1
	;; [unrolled: 1-line block ×3, first 2 shown]
	s_add_u32 s2, s4, s2
	s_addc_u32 s3, s5, s3
	s_add_u32 s0, s2, s0
	s_addc_u32 s1, s3, s1
	v_add_co_u32 v4, s0, s0, v4
	s_delay_alu instid0(VALU_DEP_1)
	v_add_co_ci_u32_e64 v5, s0, s1, v5, s0
	v_lshlrev_b32_e32 v10, 1, v33
	s_and_saveexec_b32 s1, vcc_lo
	s_cbranch_execz .LBB318_1091
; %bb.1090:
	s_delay_alu instid0(VALU_DEP_1) | instskip(NEXT) | instid1(VALU_DEP_1)
	v_add_co_u32 v11, s0, v4, v10
	v_add_co_ci_u32_e64 v12, s0, 0, v5, s0
	;;#ASMSTART
	v_cvt_f16_f32 v9, v9;

	;;#ASMEND
	flat_store_b16 v[11:12], v9
.LBB318_1091:
	s_or_b32 exec_lo, exec_lo, s1
	v_or_b32_e32 v9, 16, v33
	s_delay_alu instid0(VALU_DEP_1) | instskip(NEXT) | instid1(VALU_DEP_1)
	v_cmp_gt_u32_e64 s0, 0x78, v9
	s_and_b32 s0, vcc_lo, s0
	s_delay_alu instid0(SALU_CYCLE_1)
	s_and_saveexec_b32 s1, s0
	s_cbranch_execz .LBB318_1093
; %bb.1092:
	v_add_co_u32 v11, s0, v4, v10
	s_delay_alu instid0(VALU_DEP_1)
	v_add_co_ci_u32_e64 v12, s0, 0, v5, s0
	;;#ASMSTART
	v_cvt_f16_f32 v8, v8;

	;;#ASMEND
	flat_store_b16 v[11:12], v8 offset:32
.LBB318_1093:
	s_or_b32 exec_lo, exec_lo, s1
	v_or_b32_e32 v8, 32, v33
	s_delay_alu instid0(VALU_DEP_1) | instskip(NEXT) | instid1(VALU_DEP_1)
	v_cmp_gt_u32_e64 s0, 0x78, v8
	s_and_b32 s0, vcc_lo, s0
	s_delay_alu instid0(SALU_CYCLE_1)
	s_and_saveexec_b32 s1, s0
	s_cbranch_execz .LBB318_1095
; %bb.1094:
	v_add_co_u32 v8, s0, v4, v10
	s_delay_alu instid0(VALU_DEP_1)
	v_add_co_ci_u32_e64 v9, s0, 0, v5, s0
	;;#ASMSTART
	v_cvt_f16_f32 v7, v7;

	;;#ASMEND
	flat_store_b16 v[8:9], v7 offset:64
.LBB318_1095:
	;; [unrolled: 18-line block ×6, first 2 shown]
	s_or_b32 exec_lo, exec_lo, s1
	v_or_b32_e32 v1, 0x70, v33
	s_delay_alu instid0(VALU_DEP_1) | instskip(NEXT) | instid1(VALU_DEP_1)
	v_cmp_gt_u32_e64 s0, 0x78, v1
	s_and_b32 s0, vcc_lo, s0
	s_delay_alu instid0(SALU_CYCLE_1)
	s_and_b32 exec_lo, exec_lo, s0
	s_cbranch_execz .LBB318_1105
; %bb.1104:
	v_add_co_u32 v1, vcc_lo, v4, v10
	v_add_co_ci_u32_e32 v2, vcc_lo, 0, v5, vcc_lo
	;;#ASMSTART
	v_cvt_f16_f32 v0, v0;

	;;#ASMEND
	flat_store_b16 v[1:2], v0 offset:224
.LBB318_1105:
	s_or_b32 exec_lo, exec_lo, s11
	s_clause 0xb
	scratch_load_b32 v59, off, s32 offset:8
	scratch_load_b32 v58, off, s32 offset:12
	;; [unrolled: 1-line block ×12, first 2 shown]
	s_waitcnt vmcnt(0) lgkmcnt(0)
	s_setpc_b64 s[30:31]
.LBB318_1106:
	v_lshl_add_u32 v11, v20, 2, v10
	ds_load_b32 v11, v11
	s_waitcnt lgkmcnt(0)
	v_add_f32_e32 v9, v9, v11
	s_or_b32 exec_lo, exec_lo, s0
	s_and_saveexec_b32 s0, vcc_lo
	s_cbranch_execz .LBB318_1062
.LBB318_1107:
	v_lshl_add_u32 v11, v20, 2, v10
	ds_load_b32 v11, v11 offset:64
	s_waitcnt lgkmcnt(0)
	v_add_f32_e32 v8, v8, v11
	s_or_b32 exec_lo, exec_lo, s0
	s_and_saveexec_b32 s0, vcc_lo
	s_cbranch_execz .LBB318_1063
.LBB318_1108:
	v_lshl_add_u32 v11, v20, 2, v10
	ds_load_b32 v11, v11 offset:128
	s_waitcnt lgkmcnt(0)
	v_add_f32_e32 v7, v7, v11
	s_or_b32 exec_lo, exec_lo, s0
	s_and_saveexec_b32 s0, vcc_lo
	s_cbranch_execz .LBB318_1064
.LBB318_1109:
	v_lshl_add_u32 v11, v20, 2, v10
	ds_load_b32 v11, v11 offset:192
	s_waitcnt lgkmcnt(0)
	v_add_f32_e32 v6, v6, v11
	s_or_b32 exec_lo, exec_lo, s0
	s_and_saveexec_b32 s0, vcc_lo
	s_cbranch_execz .LBB318_1065
.LBB318_1110:
	v_lshl_add_u32 v11, v20, 2, v10
	ds_load_b32 v11, v11 offset:256
	s_waitcnt lgkmcnt(0)
	v_add_f32_e32 v3, v3, v11
	s_or_b32 exec_lo, exec_lo, s0
	s_and_saveexec_b32 s0, vcc_lo
	s_cbranch_execz .LBB318_1066
.LBB318_1111:
	v_lshl_add_u32 v11, v20, 2, v10
	ds_load_b32 v11, v11 offset:320
	s_waitcnt lgkmcnt(0)
	v_add_f32_e32 v2, v2, v11
	s_or_b32 exec_lo, exec_lo, s0
	s_and_saveexec_b32 s0, vcc_lo
	s_cbranch_execnz .LBB318_1067
	s_branch .LBB318_1068
.LBB318_1112:
	ds_load_b32 v11, v10
	s_waitcnt lgkmcnt(0)
	v_add_f32_e32 v9, v9, v11
	s_or_b32 exec_lo, exec_lo, s1
	s_and_saveexec_b32 s1, vcc_lo
	s_cbranch_execz .LBB318_1079
.LBB318_1113:
	ds_load_b32 v11, v10 offset:64
	s_waitcnt lgkmcnt(0)
	v_add_f32_e32 v8, v8, v11
	s_or_b32 exec_lo, exec_lo, s1
	s_and_saveexec_b32 s1, vcc_lo
	s_cbranch_execz .LBB318_1080
.LBB318_1114:
	ds_load_b32 v11, v10 offset:128
	s_waitcnt lgkmcnt(0)
	v_add_f32_e32 v7, v7, v11
	s_or_b32 exec_lo, exec_lo, s1
	s_and_saveexec_b32 s1, vcc_lo
	s_cbranch_execz .LBB318_1081
.LBB318_1115:
	ds_load_b32 v11, v10 offset:192
	s_waitcnt lgkmcnt(0)
	v_add_f32_e32 v6, v6, v11
	s_or_b32 exec_lo, exec_lo, s1
	s_and_saveexec_b32 s1, vcc_lo
	s_cbranch_execz .LBB318_1082
.LBB318_1116:
	ds_load_b32 v11, v10 offset:256
	s_waitcnt lgkmcnt(0)
	v_add_f32_e32 v3, v3, v11
	s_or_b32 exec_lo, exec_lo, s1
	s_and_saveexec_b32 s1, vcc_lo
	s_cbranch_execz .LBB318_1083
.LBB318_1117:
	ds_load_b32 v11, v10 offset:320
	s_waitcnt lgkmcnt(0)
	v_add_f32_e32 v2, v2, v11
	s_or_b32 exec_lo, exec_lo, s1
	s_and_saveexec_b32 s1, vcc_lo
	s_cbranch_execnz .LBB318_1084
	s_branch .LBB318_1085
.Lfunc_end318:
	.size	_ZN4vllm22paged_attention_kernelIthLi120ELi16ELi128ELNS_18Fp8KVCacheDataTypeE1ELb1ELi512EEEvPfS2_PT_PKS3_PKT0_S9_ifPKiSB_iPKfiiiSD_SD_iiiii, .Lfunc_end318-_ZN4vllm22paged_attention_kernelIthLi120ELi16ELi128ELNS_18Fp8KVCacheDataTypeE1ELb1ELi512EEEvPfS2_PT_PKS3_PKT0_S9_ifPKiSB_iPKfiiiSD_SD_iiiii
                                        ; -- End function
	.section	.AMDGPU.csdata,"",@progbits
; Function info:
; codeLenInByte = 42728
; NumSgprs: 35
; NumVgprs: 184
; ScratchSize: 60
; MemoryBound: 0
	.section	.text._ZN4vllm25paged_attention_v2_kernelIthLi120ELi16ELi128ELNS_18Fp8KVCacheDataTypeE1ELb1ELi512EEEvPfS2_PT_PKS3_PKT0_S9_ifPKiSB_iPKfiiiSD_SD_iiiii,"axG",@progbits,_ZN4vllm25paged_attention_v2_kernelIthLi120ELi16ELi128ELNS_18Fp8KVCacheDataTypeE1ELb1ELi512EEEvPfS2_PT_PKS3_PKT0_S9_ifPKiSB_iPKfiiiSD_SD_iiiii,comdat
	.protected	_ZN4vllm25paged_attention_v2_kernelIthLi120ELi16ELi128ELNS_18Fp8KVCacheDataTypeE1ELb1ELi512EEEvPfS2_PT_PKS3_PKT0_S9_ifPKiSB_iPKfiiiSD_SD_iiiii ; -- Begin function _ZN4vllm25paged_attention_v2_kernelIthLi120ELi16ELi128ELNS_18Fp8KVCacheDataTypeE1ELb1ELi512EEEvPfS2_PT_PKS3_PKT0_S9_ifPKiSB_iPKfiiiSD_SD_iiiii
	.globl	_ZN4vllm25paged_attention_v2_kernelIthLi120ELi16ELi128ELNS_18Fp8KVCacheDataTypeE1ELb1ELi512EEEvPfS2_PT_PKS3_PKT0_S9_ifPKiSB_iPKfiiiSD_SD_iiiii
	.p2align	8
	.type	_ZN4vllm25paged_attention_v2_kernelIthLi120ELi16ELi128ELNS_18Fp8KVCacheDataTypeE1ELb1ELi512EEEvPfS2_PT_PKS3_PKT0_S9_ifPKiSB_iPKfiiiSD_SD_iiiii,@function
_ZN4vllm25paged_attention_v2_kernelIthLi120ELi16ELi128ELNS_18Fp8KVCacheDataTypeE1ELb1ELi512EEEvPfS2_PT_PKS3_PKT0_S9_ifPKiSB_iPKfiiiSD_SD_iiiii: ; @_ZN4vllm25paged_attention_v2_kernelIthLi120ELi16ELi128ELNS_18Fp8KVCacheDataTypeE1ELb1ELi512EEEvPfS2_PT_PKS3_PKT0_S9_ifPKiSB_iPKfiiiSD_SD_iiiii
; %bb.0:
	s_mov_b32 s12, s13
	s_clause 0x7
	s_load_b128 s[4:7], s[0:1], 0x78
	s_load_b32 s8, s[0:1], 0x88
	s_load_b256 s[24:31], s[0:1], 0x0
	s_load_b256 s[36:43], s[0:1], 0x20
	s_load_b64 s[2:3], s[0:1], 0x40
	s_load_b64 s[10:11], s[0:1], 0x50
	s_load_b32 s13, s[0:1], 0x48
	s_load_b256 s[16:23], s[0:1], 0x58
	s_mov_b32 s32, 0
	v_mov_b32_e32 v31, v0
	s_waitcnt lgkmcnt(0)
	v_dual_mov_b32 v1, s7 :: v_dual_mov_b32 v2, s8
	v_dual_mov_b32 v0, s24 :: v_dual_mov_b32 v3, s27
	;; [unrolled: 1-line block ×3, first 2 shown]
	v_mov_b32_e32 v6, s30
	scratch_store_b64 off, v[1:2], s32
	v_dual_mov_b32 v1, s25 :: v_dual_mov_b32 v2, s26
	v_dual_mov_b32 v7, s31 :: v_dual_mov_b32 v8, s36
	;; [unrolled: 1-line block ×13, first 2 shown]
	s_add_u32 s8, s0, 0x90
	s_addc_u32 s9, s1, 0
	s_mov_b32 s13, s14
	s_mov_b32 s14, s15
	s_movk_i32 s15, 0x58
	s_getpc_b64 s[0:1]
	s_add_u32 s0, s0, _ZN4vllm22paged_attention_kernelIthLi120ELi16ELi128ELNS_18Fp8KVCacheDataTypeE1ELb1ELi512EEEvPfS2_PT_PKS3_PKT0_S9_ifPKiSB_iPKfiiiSD_SD_iiiii@rel32@lo+4
	s_addc_u32 s1, s1, _ZN4vllm22paged_attention_kernelIthLi120ELi16ELi128ELNS_18Fp8KVCacheDataTypeE1ELb1ELi512EEEvPfS2_PT_PKS3_PKT0_S9_ifPKiSB_iPKfiiiSD_SD_iiiii@rel32@hi+12
	s_delay_alu instid0(SALU_CYCLE_1)
	s_swappc_b64 s[30:31], s[0:1]
	s_endpgm
	.section	.rodata,"a",@progbits
	.p2align	6, 0x0
	.amdhsa_kernel _ZN4vllm25paged_attention_v2_kernelIthLi120ELi16ELi128ELNS_18Fp8KVCacheDataTypeE1ELb1ELi512EEEvPfS2_PT_PKS3_PKT0_S9_ifPKiSB_iPKfiiiSD_SD_iiiii
		.amdhsa_group_segment_fixed_size 272
		.amdhsa_private_segment_fixed_size 60
		.amdhsa_kernarg_size 400
		.amdhsa_user_sgpr_count 13
		.amdhsa_user_sgpr_dispatch_ptr 0
		.amdhsa_user_sgpr_queue_ptr 0
		.amdhsa_user_sgpr_kernarg_segment_ptr 1
		.amdhsa_user_sgpr_dispatch_id 0
		.amdhsa_user_sgpr_private_segment_size 0
		.amdhsa_wavefront_size32 1
		.amdhsa_uses_dynamic_stack 0
		.amdhsa_enable_private_segment 1
		.amdhsa_system_sgpr_workgroup_id_x 1
		.amdhsa_system_sgpr_workgroup_id_y 1
		.amdhsa_system_sgpr_workgroup_id_z 1
		.amdhsa_system_sgpr_workgroup_info 0
		.amdhsa_system_vgpr_workitem_id 0
		.amdhsa_next_free_vgpr 184
		.amdhsa_next_free_sgpr 44
		.amdhsa_reserve_vcc 1
		.amdhsa_float_round_mode_32 0
		.amdhsa_float_round_mode_16_64 0
		.amdhsa_float_denorm_mode_32 3
		.amdhsa_float_denorm_mode_16_64 3
		.amdhsa_dx10_clamp 1
		.amdhsa_ieee_mode 1
		.amdhsa_fp16_overflow 0
		.amdhsa_workgroup_processor_mode 1
		.amdhsa_memory_ordered 1
		.amdhsa_forward_progress 0
		.amdhsa_shared_vgpr_count 0
		.amdhsa_exception_fp_ieee_invalid_op 0
		.amdhsa_exception_fp_denorm_src 0
		.amdhsa_exception_fp_ieee_div_zero 0
		.amdhsa_exception_fp_ieee_overflow 0
		.amdhsa_exception_fp_ieee_underflow 0
		.amdhsa_exception_fp_ieee_inexact 0
		.amdhsa_exception_int_div_zero 0
	.end_amdhsa_kernel
	.section	.text._ZN4vllm25paged_attention_v2_kernelIthLi120ELi16ELi128ELNS_18Fp8KVCacheDataTypeE1ELb1ELi512EEEvPfS2_PT_PKS3_PKT0_S9_ifPKiSB_iPKfiiiSD_SD_iiiii,"axG",@progbits,_ZN4vllm25paged_attention_v2_kernelIthLi120ELi16ELi128ELNS_18Fp8KVCacheDataTypeE1ELb1ELi512EEEvPfS2_PT_PKS3_PKT0_S9_ifPKiSB_iPKfiiiSD_SD_iiiii,comdat
.Lfunc_end319:
	.size	_ZN4vllm25paged_attention_v2_kernelIthLi120ELi16ELi128ELNS_18Fp8KVCacheDataTypeE1ELb1ELi512EEEvPfS2_PT_PKS3_PKT0_S9_ifPKiSB_iPKfiiiSD_SD_iiiii, .Lfunc_end319-_ZN4vllm25paged_attention_v2_kernelIthLi120ELi16ELi128ELNS_18Fp8KVCacheDataTypeE1ELb1ELi512EEEvPfS2_PT_PKS3_PKT0_S9_ifPKiSB_iPKfiiiSD_SD_iiiii
                                        ; -- End function
	.section	.AMDGPU.csdata,"",@progbits
; Kernel info:
; codeLenInByte = 280
; NumSgprs: 46
; NumVgprs: 184
; ScratchSize: 60
; MemoryBound: 0
; FloatMode: 240
; IeeeMode: 1
; LDSByteSize: 272 bytes/workgroup (compile time only)
; SGPRBlocks: 5
; VGPRBlocks: 22
; NumSGPRsForWavesPerEU: 46
; NumVGPRsForWavesPerEU: 184
; Occupancy: 8
; WaveLimiterHint : 1
; COMPUTE_PGM_RSRC2:SCRATCH_EN: 1
; COMPUTE_PGM_RSRC2:USER_SGPR: 13
; COMPUTE_PGM_RSRC2:TRAP_HANDLER: 0
; COMPUTE_PGM_RSRC2:TGID_X_EN: 1
; COMPUTE_PGM_RSRC2:TGID_Y_EN: 1
; COMPUTE_PGM_RSRC2:TGID_Z_EN: 1
; COMPUTE_PGM_RSRC2:TIDIG_COMP_CNT: 0
	.text
	.p2align	2                               ; -- Begin function _ZN4vllm22paged_attention_kernelIthLi128ELi16ELi128ELNS_18Fp8KVCacheDataTypeE1ELb1ELi512EEEvPfS2_PT_PKS3_PKT0_S9_ifPKiSB_iPKfiiiSD_SD_iiiii
	.type	_ZN4vllm22paged_attention_kernelIthLi128ELi16ELi128ELNS_18Fp8KVCacheDataTypeE1ELb1ELi512EEEvPfS2_PT_PKS3_PKT0_S9_ifPKiSB_iPKfiiiSD_SD_iiiii,@function
_ZN4vllm22paged_attention_kernelIthLi128ELi16ELi128ELNS_18Fp8KVCacheDataTypeE1ELb1ELi512EEEvPfS2_PT_PKS3_PKT0_S9_ifPKiSB_iPKfiiiSD_SD_iiiii: ; @_ZN4vllm22paged_attention_kernelIthLi128ELi16ELi128ELNS_18Fp8KVCacheDataTypeE1ELb1ELi512EEEvPfS2_PT_PKS3_PKT0_S9_ifPKiSB_iPKfiiiSD_SD_iiiii
; %bb.0:
	s_waitcnt vmcnt(0) expcnt(0) lgkmcnt(0)
	s_clause 0xf
	scratch_store_b32 off, v40, s32 offset:68
	; meta instruction
	scratch_store_b32 off, v41, s32 offset:64
	; meta instruction
	;; [unrolled: 2-line block ×15, first 2 shown]
	scratch_store_b32 off, v63, s32 offset:8
	s_mov_b32 s10, s13
	s_ashr_i32 s11, s13, 31
	s_lshl_b32 s16, s14, 9
	s_lshl_b64 s[0:1], s[10:11], 2
	s_mov_b32 s11, exec_lo
	v_add_co_u32 v16, vcc_lo, v16, s0
	v_add_co_ci_u32_e32 v17, vcc_lo, s1, v17, vcc_lo
	flat_load_b32 v35, v[16:17]
	s_clause 0x1
	scratch_load_b32 v32, off, s32 offset:4
	scratch_load_b32 v39, off, s32
	s_waitcnt vmcnt(2) lgkmcnt(0)
	v_cmpx_lt_i32_e64 s16, v35
	s_cbranch_execz .LBB320_1110
; %bb.1:
	v_sub_nc_u32_e32 v16, 0, v12
	s_clause 0x1
	s_load_b32 s0, s[8:9], 0x10
	s_load_b32 s1, s[8:9], 0x0
	s_mov_b32 s6, s15
	v_mov_b32_e32 v55, 0
	v_max_i32_e32 v16, v12, v16
	s_delay_alu instid0(VALU_DEP_1) | instskip(SKIP_1) | instid1(VALU_DEP_2)
	v_cvt_f32_u32_e32 v17, v16
	v_sub_nc_u32_e32 v33, 0, v16
	v_rcp_iflag_f32_e32 v17, v17
	s_waitcnt lgkmcnt(0)
	s_lshr_b32 s0, s0, 16
	s_delay_alu instid0(SALU_CYCLE_1) | instskip(SKIP_3) | instid1(SALU_CYCLE_1)
	s_cmp_lg_u32 s0, 0
	s_waitcnt_depctr 0xfff
	v_mul_f32_e32 v17, 0x4f7ffffe, v17
	s_cselect_b32 s0, -1, 0
	s_cmp_lg_u32 s0, 0
	s_delay_alu instid0(VALU_DEP_1) | instskip(SKIP_3) | instid1(VALU_DEP_1)
	v_cvt_u32_f32_e32 v17, v17
	s_addc_u32 s15, s1, 0
	s_mov_b32 s1, exec_lo
	s_abs_i32 s0, s15
	v_mul_lo_u32 v33, v33, v17
	s_delay_alu instid0(VALU_DEP_1) | instskip(NEXT) | instid1(VALU_DEP_1)
	v_mul_hi_u32 v33, v17, v33
	v_add_nc_u32_e32 v17, v17, v33
	s_delay_alu instid0(VALU_DEP_1) | instskip(NEXT) | instid1(VALU_DEP_1)
	v_mul_hi_u32 v17, s0, v17
	v_mul_lo_u32 v33, v17, v16
	s_delay_alu instid0(VALU_DEP_1) | instskip(SKIP_1) | instid1(VALU_DEP_1)
	v_sub_nc_u32_e32 v33, s0, v33
	s_abs_i32 s0, s12
	v_sub_nc_u32_e32 v36, v33, v16
	v_cmp_ge_u32_e32 vcc_lo, v33, v16
	s_delay_alu instid0(VALU_DEP_2) | instskip(NEXT) | instid1(VALU_DEP_1)
	v_dual_cndmask_b32 v33, v33, v36 :: v_dual_add_nc_u32 v34, 1, v17
	v_cndmask_b32_e32 v17, v17, v34, vcc_lo
	v_xor_b32_e32 v34, s15, v12
	s_delay_alu instid0(VALU_DEP_3) | instskip(NEXT) | instid1(VALU_DEP_3)
	v_cmp_ge_u32_e32 vcc_lo, v33, v16
	v_add_nc_u32_e32 v36, 1, v17
	s_delay_alu instid0(VALU_DEP_3) | instskip(NEXT) | instid1(VALU_DEP_2)
	v_ashrrev_i32_e32 v34, 31, v34
	v_cndmask_b32_e32 v16, v17, v36, vcc_lo
	s_delay_alu instid0(VALU_DEP_1) | instskip(NEXT) | instid1(VALU_DEP_1)
	v_xor_b32_e32 v16, v16, v34
	v_sub_nc_u32_e32 v33, v16, v34
	s_delay_alu instid0(VALU_DEP_1) | instskip(NEXT) | instid1(VALU_DEP_1)
	v_sub_nc_u32_e32 v16, 0, v33
	v_max_i32_e32 v38, v33, v16
	s_delay_alu instid0(VALU_DEP_1) | instskip(SKIP_1) | instid1(VALU_DEP_2)
	v_cvt_f32_u32_e32 v16, v38
	v_sub_nc_u32_e32 v17, 0, v38
	v_rcp_iflag_f32_e32 v16, v16
	s_waitcnt_depctr 0xfff
	v_mul_f32_e32 v16, 0x4f7ffffe, v16
	s_delay_alu instid0(VALU_DEP_1) | instskip(NEXT) | instid1(VALU_DEP_1)
	v_cvt_u32_f32_e32 v16, v16
	v_mul_lo_u32 v17, v17, v16
	s_delay_alu instid0(VALU_DEP_1) | instskip(NEXT) | instid1(VALU_DEP_1)
	v_mul_hi_u32 v17, v16, v17
	v_add_nc_u32_e32 v34, v16, v17
	s_delay_alu instid0(VALU_DEP_1)
	v_mad_u64_u32 v[16:17], null, s0, v34, 0
	v_cmpx_ne_u64_e32 0, v[19:20]
	s_cbranch_execz .LBB320_3
; %bb.2:
	s_ashr_i32 s13, s12, 31
	s_delay_alu instid0(SALU_CYCLE_1) | instskip(NEXT) | instid1(SALU_CYCLE_1)
	s_lshl_b64 s[2:3], s[12:13], 2
	v_add_co_u32 v19, vcc_lo, v19, s2
	v_add_co_ci_u32_e32 v20, vcc_lo, s3, v20, vcc_lo
	flat_load_b32 v55, v[19:20]
.LBB320_3:
	s_or_b32 exec_lo, exec_lo, s1
	v_and_b32_e32 v34, 0x3ff, v31
	v_ashrrev_i32_e32 v16, 31, v33
	s_ashr_i32 s1, s12, 31
	s_lshl_b32 s4, s12, 7
	s_mov_b32 s2, exec_lo
	v_lshrrev_b32_e32 v33, 1, v34
	v_and_b32_e32 v36, 1, v34
	v_lshlrev_b32_e32 v51, 3, v34
	v_cmpx_gt_u32_e32 32, v34
	s_cbranch_execz .LBB320_5
; %bb.4:
	v_mul_lo_u32 v19, s10, v21
	s_ashr_i32 s5, s4, 31
	s_delay_alu instid0(SALU_CYCLE_1) | instskip(NEXT) | instid1(VALU_DEP_1)
	s_lshl_b64 s[18:19], s[4:5], 1
	v_ashrrev_i32_e32 v20, 31, v19
	s_delay_alu instid0(VALU_DEP_1) | instskip(NEXT) | instid1(VALU_DEP_1)
	v_lshlrev_b64 v[19:20], 1, v[19:20]
	v_add_co_u32 v6, vcc_lo, v6, v19
	s_delay_alu instid0(VALU_DEP_2) | instskip(SKIP_1) | instid1(VALU_DEP_3)
	v_add_co_ci_u32_e32 v7, vcc_lo, v7, v20, vcc_lo
	v_lshlrev_b32_e32 v19, 3, v33
	v_add_co_u32 v6, vcc_lo, v6, s18
	s_delay_alu instid0(VALU_DEP_3) | instskip(NEXT) | instid1(VALU_DEP_3)
	v_add_co_ci_u32_e32 v7, vcc_lo, s19, v7, vcc_lo
	v_lshl_add_u32 v19, v36, 7, v19
	s_delay_alu instid0(VALU_DEP_3) | instskip(NEXT) | instid1(VALU_DEP_3)
	v_add_co_u32 v6, vcc_lo, v6, v51
	v_add_co_ci_u32_e32 v7, vcc_lo, 0, v7, vcc_lo
	flat_load_b64 v[6:7], v[6:7]
	s_waitcnt vmcnt(0) lgkmcnt(0)
	ds_store_b64 v19, v[6:7]
.LBB320_5:
	s_or_b32 exec_lo, exec_lo, s2
	s_waitcnt vmcnt(0)
	v_sub_nc_u32_e32 v6, 0, v39
	v_mul_lo_u32 v7, v17, v38
	v_add_nc_u32_e32 v20, 1, v17
	v_xor_b32_e32 v48, s1, v16
	s_waitcnt lgkmcnt(0)
	s_waitcnt_vscnt null, 0x0
	v_max_i32_e32 v37, v39, v6
	s_barrier
	buffer_gl0_inv
	v_sub_nc_u32_e32 v19, s0, v7
	v_cvt_f32_u32_e32 v6, v37
	v_sub_nc_u32_e32 v7, 0, v37
	s_mov_b32 s0, exec_lo
	s_delay_alu instid0(VALU_DEP_3) | instskip(NEXT) | instid1(VALU_DEP_3)
	v_cmp_ge_u32_e32 vcc_lo, v19, v38
	v_rcp_iflag_f32_e32 v6, v6
	v_sub_nc_u32_e32 v21, v19, v38
	v_cndmask_b32_e32 v17, v17, v20, vcc_lo
	s_delay_alu instid0(VALU_DEP_2) | instskip(NEXT) | instid1(VALU_DEP_2)
	v_cndmask_b32_e32 v19, v19, v21, vcc_lo
	v_add_nc_u32_e32 v20, 1, v17
	s_waitcnt_depctr 0xfff
	v_mul_f32_e32 v6, 0x4f7ffffe, v6
	v_cmp_ge_u32_e32 vcc_lo, v19, v38
	s_delay_alu instid0(VALU_DEP_2) | instskip(SKIP_1) | instid1(VALU_DEP_2)
	v_cvt_u32_f32_e32 v6, v6
	v_cndmask_b32_e32 v16, v17, v20, vcc_lo
	v_mul_lo_u32 v31, v7, v6
	v_add_nc_u32_e32 v7, -1, v35
	s_delay_alu instid0(VALU_DEP_2) | instskip(NEXT) | instid1(VALU_DEP_2)
	v_mul_hi_u32 v21, v6, v31
	v_sub_nc_u32_e32 v31, 0, v7
	s_delay_alu instid0(VALU_DEP_1) | instskip(NEXT) | instid1(VALU_DEP_3)
	v_max_i32_e32 v19, v7, v31
	v_add_nc_u32_e32 v38, v6, v21
	v_xor_b32_e32 v6, v16, v48
	s_delay_alu instid0(VALU_DEP_2) | instskip(NEXT) | instid1(VALU_DEP_2)
	v_mad_u64_u32 v[16:17], null, v19, v38, 0
	v_sub_nc_u32_e32 v16, v6, v48
                                        ; implicit-def: $vgpr6
	v_cmpx_gt_i32_e32 0, v32
	s_xor_b32 s0, exec_lo, s0
; %bb.6:
	s_delay_alu instid0(VALU_DEP_2) | instskip(NEXT) | instid1(VALU_DEP_1)
	v_mad_u64_u32 v[20:21], null, v28, v12, v[16:17]
                                        ; implicit-def: $vgpr28
	v_mul_lo_u32 v6, v20, v32
                                        ; implicit-def: $vgpr32
	s_delay_alu instid0(VALU_DEP_1)
	v_sub_nc_u32_e32 v6, 1, v6
; %bb.7:
	s_or_saveexec_b32 s0, s0
	v_ashrrev_i32_e32 v12, 31, v7
	v_ashrrev_i32_e32 v39, 31, v39
	s_xor_b32 exec_lo, exec_lo, s0
; %bb.8:
	v_mad_u64_u32 v[20:21], null, s15, v28, s[12:13]
	s_delay_alu instid0(VALU_DEP_1)
	v_mad_u64_u32 v[6:7], null, v20, v32, 1
; %bb.9:
	s_or_b32 exec_lo, exec_lo, s0
	v_mul_lo_u32 v7, v17, v37
	v_xor_b32_e32 v31, v12, v39
	s_clause 0x1
	s_load_b32 s17, s[8:9], 0x14
	s_load_b32 s5, s[8:9], 0x8
	v_mul_lo_u32 v18, s10, v18
	v_lshrrev_b32_e32 v48, 5, v34
	s_lshl_b32 s13, s14, 5
	v_mov_b32_e32 v65, 0xff7fffff
	s_add_i32 s0, s13, 32
	v_sub_nc_u32_e32 v7, v19, v7
	v_add_nc_u32_e32 v19, 1, v17
	v_sub_nc_u32_e32 v53, 0, v30
	v_mbcnt_lo_u32_b32 v64, -1, 0
	s_delay_alu instid0(VALU_DEP_4) | instskip(SKIP_1) | instid1(VALU_DEP_2)
	v_sub_nc_u32_e32 v28, v7, v37
	v_cmp_ge_u32_e32 vcc_lo, v7, v37
	v_dual_cndmask_b32 v7, v7, v28 :: v_dual_add_nc_u32 v20, 15, v35
	s_delay_alu instid0(VALU_DEP_1) | instskip(NEXT) | instid1(VALU_DEP_1)
	v_ashrrev_i32_e32 v21, 31, v20
	v_lshrrev_b32_e32 v12, 28, v21
	v_cndmask_b32_e32 v17, v17, v19, vcc_lo
	s_delay_alu instid0(VALU_DEP_4) | instskip(NEXT) | instid1(VALU_DEP_3)
	v_cmp_ge_u32_e32 vcc_lo, v7, v37
	v_add_nc_u32_e32 v20, v20, v12
	s_delay_alu instid0(VALU_DEP_3)
	v_add_nc_u32_e32 v19, 1, v17
	v_mul_lo_u32 v12, v16, v23
	v_or_b32_e32 v16, s13, v48
	v_lshl_add_u32 v23, v48, 4, s16
	v_ashrrev_i32_e32 v52, 4, v20
	v_cndmask_b32_e32 v7, v17, v19, vcc_lo
	v_ashrrev_i32_e32 v19, 31, v18
	v_ashrrev_i32_e32 v17, 31, v16
	s_delay_alu instid0(VALU_DEP_4) | instskip(NEXT) | instid1(VALU_DEP_4)
	v_min_i32_e32 v49, s0, v52
	v_xor_b32_e32 v7, v7, v31
	s_delay_alu instid0(VALU_DEP_4) | instskip(SKIP_1) | instid1(VALU_DEP_4)
	v_lshlrev_b64 v[18:19], 2, v[18:19]
	v_ashrrev_i32_e32 v54, 31, v12
	v_cmp_lt_i32_e64 s0, v16, v49
	s_delay_alu instid0(VALU_DEP_4) | instskip(NEXT) | instid1(VALU_DEP_1)
	v_sub_nc_u32_e32 v7, v7, v31
	v_sub_nc_u32_e32 v50, v7, v29
	s_delay_alu instid0(VALU_DEP_3)
	s_and_saveexec_b32 s18, s0
	s_cbranch_execz .LBB320_531
; %bb.10:
	v_max_i32_e32 v66, v30, v53
	s_ashr_i32 s7, s6, 31
	s_getpc_b64 s[2:3]
	s_add_u32 s2, s2, llvm.amdgcn.dynlds.offset.table@rel32@lo+4
	s_addc_u32 s3, s3, llvm.amdgcn.dynlds.offset.table@rel32@hi+12
	s_lshl_b64 s[8:9], s[6:7], 2
	v_bfe_u32 v67, v34, 1, 4
	v_cvt_f32_u32_e32 v7, v66
	v_sub_nc_u32_e32 v31, 0, v66
	s_add_u32 s8, s8, s2
	s_addc_u32 s9, s9, s3
	v_lshlrev_b64 v[20:21], 2, v[16:17]
	v_rcp_iflag_f32_e32 v7, v7
	v_lshlrev_b32_e32 v68, 7, v36
	s_load_b32 s7, s[8:9], 0x0
	v_add_co_u32 v28, s1, v8, v12
	v_lshlrev_b32_e32 v32, 4, v67
	v_add_co_ci_u32_e64 v29, s1, v9, v54, s1
	v_add_co_u32 v81, s2, v18, v20
	s_waitcnt_depctr 0xfff
	v_mul_f32_e32 v7, 0x4f7ffffe, v7
	v_add_co_ci_u32_e64 v82, s2, v19, v21, s2
	v_lshlrev_b32_e32 v71, 2, v67
	v_sub_nc_u32_e32 v80, v67, v35
	s_delay_alu instid0(VALU_DEP_4) | instskip(SKIP_1) | instid1(VALU_DEP_1)
	v_cvt_u32_f32_e32 v7, v7
	v_add_co_u32 v20, s2, v28, v32
	v_add_co_ci_u32_e64 v21, s2, 0, v29, s2
	s_delay_alu instid0(VALU_DEP_3)
	v_mul_lo_u32 v31, v31, v7
	v_add_co_u32 v28, s2, v14, v81
	v_cmp_eq_u32_e32 vcc_lo, 0, v36
	v_dual_mov_b32 v8, 0 :: v_dual_lshlrev_b32 v9, 2, v36
	v_cmp_neq_f32_e64 s1, 0, v55
	v_lshl_add_u32 v69, v48, 4, s16
	v_mul_hi_u32 v31, v7, v31
	v_dual_mov_b32 v70, 0xff7fffff :: v_dual_mov_b32 v65, 0xff7fffff
	v_add_nc_u32_e32 v80, 1, v80
	v_add_co_ci_u32_e64 v29, s2, v15, v82, s2
	v_mov_b32_e32 v82, v16
	v_lshl_or_b32 v71, v48, 6, v71
	v_add_nc_u32_e32 v81, v7, v31
	s_mov_b32 s19, 0
	s_branch .LBB320_13
.LBB320_11:                             ;   in Loop: Header=BB320_13 Depth=1
	s_or_b32 exec_lo, exec_lo, s20
.LBB320_12:                             ;   in Loop: Header=BB320_13 Depth=1
	s_delay_alu instid0(SALU_CYCLE_1) | instskip(SKIP_2) | instid1(VALU_DEP_1)
	s_or_b32 exec_lo, exec_lo, s3
	v_add_nc_u32_e32 v82, 4, v82
	v_add_co_u32 v28, s3, v28, 16
	v_add_co_ci_u32_e64 v29, s3, 0, v29, s3
	s_delay_alu instid0(VALU_DEP_3) | instskip(SKIP_2) | instid1(VALU_DEP_3)
	v_cmp_ge_i32_e64 s2, v82, v49
	v_add_nc_u32_e32 v69, 64, v69
	v_add_nc_u32_e32 v71, 0x100, v71
	s_or_b32 s19, s2, s19
	s_delay_alu instid0(SALU_CYCLE_1)
	s_and_not1_b32 exec_lo, exec_lo, s19
	s_cbranch_execz .LBB320_530
.LBB320_13:                             ; =>This Inner Loop Header: Depth=1
	v_sub_nc_u32_e32 v7, 0, v69
	s_delay_alu instid0(VALU_DEP_1) | instskip(SKIP_1) | instid1(VALU_DEP_1)
	v_max_i32_e32 v7, v69, v7
	s_waitcnt lgkmcnt(0)
	v_mul_hi_u32 v31, v7, v38
	s_delay_alu instid0(VALU_DEP_1) | instskip(NEXT) | instid1(VALU_DEP_1)
	v_mul_lo_u32 v32, v31, v37
	v_sub_nc_u32_e32 v7, v7, v32
	v_add_nc_u32_e32 v32, 1, v31
	s_delay_alu instid0(VALU_DEP_2) | instskip(SKIP_1) | instid1(VALU_DEP_1)
	v_sub_nc_u32_e32 v83, v7, v37
	v_cmp_ge_u32_e64 s2, v7, v37
	v_cndmask_b32_e64 v31, v31, v32, s2
	s_delay_alu instid0(VALU_DEP_3) | instskip(SKIP_1) | instid1(VALU_DEP_3)
	v_cndmask_b32_e64 v7, v7, v83, s2
	v_ashrrev_i32_e32 v32, 31, v69
	v_add_nc_u32_e32 v83, 1, v31
	s_delay_alu instid0(VALU_DEP_3) | instskip(NEXT) | instid1(VALU_DEP_3)
	v_cmp_ge_u32_e64 s2, v7, v37
	v_xor_b32_e32 v32, v32, v39
	s_delay_alu instid0(VALU_DEP_2) | instskip(NEXT) | instid1(VALU_DEP_1)
	v_cndmask_b32_e64 v7, v31, v83, s2
	v_xor_b32_e32 v7, v7, v32
	s_delay_alu instid0(VALU_DEP_1) | instskip(NEXT) | instid1(VALU_DEP_1)
	v_sub_nc_u32_e32 v7, v7, v32
	v_add_nc_u32_e32 v31, v7, v6
	v_cmp_le_i32_e64 s3, v7, v50
	s_delay_alu instid0(VALU_DEP_2) | instskip(NEXT) | instid1(VALU_DEP_1)
	v_sub_nc_u32_e32 v32, 0, v31
	v_max_i32_e32 v32, v31, v32
	v_ashrrev_i32_e32 v31, 31, v31
	s_delay_alu instid0(VALU_DEP_2) | instskip(NEXT) | instid1(VALU_DEP_1)
	v_mul_hi_u32 v83, v32, v81
	v_mul_lo_u32 v83, v83, v66
	s_delay_alu instid0(VALU_DEP_1) | instskip(NEXT) | instid1(VALU_DEP_1)
	v_sub_nc_u32_e32 v32, v32, v83
	v_sub_nc_u32_e32 v83, v32, v66
	v_cmp_ge_u32_e64 s2, v32, v66
	s_delay_alu instid0(VALU_DEP_1) | instskip(NEXT) | instid1(VALU_DEP_1)
	v_cndmask_b32_e64 v32, v32, v83, s2
	v_sub_nc_u32_e32 v83, v32, v66
	v_cmp_ge_u32_e64 s2, v32, v66
	s_delay_alu instid0(VALU_DEP_1) | instskip(NEXT) | instid1(VALU_DEP_1)
	v_cndmask_b32_e64 v32, v32, v83, s2
	v_xor_b32_e32 v32, v32, v31
	s_delay_alu instid0(VALU_DEP_1) | instskip(NEXT) | instid1(VALU_DEP_1)
	v_sub_nc_u32_e32 v31, v32, v31
	v_cmp_ne_u32_e64 s2, 0, v31
	s_delay_alu instid0(VALU_DEP_1) | instskip(NEXT) | instid1(SALU_CYCLE_1)
	s_and_b32 s2, s2, s3
	s_and_b32 s20, vcc_lo, s2
	s_delay_alu instid0(SALU_CYCLE_1)
	s_and_saveexec_b32 s3, s20
	s_cbranch_execz .LBB320_15
; %bb.14:                               ;   in Loop: Header=BB320_13 Depth=1
	s_waitcnt lgkmcnt(0)
	v_add_nc_u32_e32 v7, s7, v71
	ds_store_b32 v7, v70
.LBB320_15:                             ;   in Loop: Header=BB320_13 Depth=1
	s_or_b32 exec_lo, exec_lo, s3
	s_xor_b32 s2, s2, -1
	s_delay_alu instid0(SALU_CYCLE_1)
	s_and_saveexec_b32 s3, s2
	s_cbranch_execz .LBB320_12
; %bb.16:                               ;   in Loop: Header=BB320_13 Depth=1
	flat_load_b32 v7, v[28:29]
	v_mov_b32_e32 v85, 0
	s_mov_b32 s20, exec_lo
	v_mov_b32_e32 v84, 0
	s_waitcnt vmcnt(0) lgkmcnt(0)
	v_mad_i64_i32 v[31:32], null, v7, v22, v[20:21]
	s_delay_alu instid0(VALU_DEP_1) | instskip(NEXT) | instid1(VALU_DEP_1)
	v_add_co_u32 v31, s2, v31, v9
	v_add_co_ci_u32_e64 v32, s2, 0, v32, s2
	flat_load_b32 v96, v[31:32]
	flat_load_b32 v83, v[24:25]
	s_waitcnt vmcnt(1) lgkmcnt(1)
	v_and_b32_e32 v7, 0xff, v96
	s_delay_alu instid0(VALU_DEP_1)
	v_cmpx_ne_u16_e32 0, v7
	s_cbranch_execz .LBB320_24
; %bb.17:                               ;   in Loop: Header=BB320_13 Depth=1
	v_bfrev_b32_e32 v84, 1
	s_mov_b32 s21, exec_lo
	v_cmpx_ne_u16_e32 0x80, v7
	s_cbranch_execz .LBB320_23
; %bb.18:                               ;   in Loop: Header=BB320_13 Depth=1
	v_and_b32_e32 v86, 0x7f, v96
	v_mov_b32_e32 v84, 0x7fc02000
	s_mov_b32 s22, exec_lo
	s_delay_alu instid0(VALU_DEP_2)
	v_cmpx_ne_u32_e32 0x7f, v86
	s_cbranch_execz .LBB320_22
; %bb.19:                               ;   in Loop: Header=BB320_13 Depth=1
	v_and_b32_e32 v7, 7, v96
	v_lshrrev_b32_e32 v84, 3, v86
	s_mov_b32 s23, exec_lo
	v_cmpx_gt_u32_e32 8, v86
; %bb.20:                               ;   in Loop: Header=BB320_13 Depth=1
	s_delay_alu instid0(VALU_DEP_3) | instskip(NEXT) | instid1(VALU_DEP_1)
	v_clz_i32_u32_e32 v84, v7
	v_min_u32_e32 v84, 32, v84
	s_delay_alu instid0(VALU_DEP_1) | instskip(SKIP_1) | instid1(VALU_DEP_2)
	v_subrev_nc_u32_e32 v86, 28, v84
	v_sub_nc_u32_e32 v84, 29, v84
	v_lshlrev_b64 v[86:87], v86, v[7:8]
	s_delay_alu instid0(VALU_DEP_1)
	v_and_b32_e32 v7, 7, v86
; %bb.21:                               ;   in Loop: Header=BB320_13 Depth=1
	s_or_b32 exec_lo, exec_lo, s23
	v_lshlrev_b32_e32 v86, 8, v96
	v_lshl_add_u32 v84, v84, 10, 0x2000
	s_delay_alu instid0(VALU_DEP_1) | instskip(NEXT) | instid1(VALU_DEP_1)
	v_and_or_b32 v84, 0x8000, v86, v84
	v_lshl_or_b32 v7, v7, 7, v84
	s_delay_alu instid0(VALU_DEP_1)
	v_cvt_f32_f16_e32 v84, v7
.LBB320_22:                             ;   in Loop: Header=BB320_13 Depth=1
	s_or_b32 exec_lo, exec_lo, s22
.LBB320_23:                             ;   in Loop: Header=BB320_13 Depth=1
	s_delay_alu instid0(SALU_CYCLE_1)
	s_or_b32 exec_lo, exec_lo, s21
.LBB320_24:                             ;   in Loop: Header=BB320_13 Depth=1
	s_delay_alu instid0(SALU_CYCLE_1) | instskip(SKIP_2) | instid1(VALU_DEP_1)
	s_or_b32 exec_lo, exec_lo, s20
	v_lshrrev_b16 v7, 8, v96
	s_mov_b32 s20, exec_lo
	v_cmpx_ne_u16_e32 0, v7
	s_cbranch_execz .LBB320_32
; %bb.25:                               ;   in Loop: Header=BB320_13 Depth=1
	v_bfrev_b32_e32 v85, 1
	s_mov_b32 s21, exec_lo
	v_cmpx_ne_u16_e32 0x80, v7
	s_cbranch_execz .LBB320_31
; %bb.26:                               ;   in Loop: Header=BB320_13 Depth=1
	v_and_b32_e32 v86, 0xffff, v7
	v_mov_b32_e32 v85, 0x7fc02000
	s_mov_b32 s22, exec_lo
	s_delay_alu instid0(VALU_DEP_2) | instskip(NEXT) | instid1(VALU_DEP_1)
	v_and_b32_e32 v87, 0x7f, v86
	v_cmpx_ne_u32_e32 0x7f, v87
	s_cbranch_execz .LBB320_30
; %bb.27:                               ;   in Loop: Header=BB320_13 Depth=1
	v_and_b32_e32 v7, 7, v86
	v_lshrrev_b32_e32 v85, 3, v87
	s_mov_b32 s23, exec_lo
	v_cmpx_gt_u32_e32 8, v87
; %bb.28:                               ;   in Loop: Header=BB320_13 Depth=1
	s_delay_alu instid0(VALU_DEP_3) | instskip(NEXT) | instid1(VALU_DEP_1)
	v_clz_i32_u32_e32 v85, v7
	v_min_u32_e32 v85, 32, v85
	s_delay_alu instid0(VALU_DEP_1) | instskip(SKIP_1) | instid1(VALU_DEP_2)
	v_subrev_nc_u32_e32 v87, 28, v85
	v_sub_nc_u32_e32 v85, 29, v85
	v_lshlrev_b64 v[97:98], v87, v[7:8]
	s_delay_alu instid0(VALU_DEP_1)
	v_and_b32_e32 v7, 7, v97
; %bb.29:                               ;   in Loop: Header=BB320_13 Depth=1
	s_or_b32 exec_lo, exec_lo, s23
	v_lshlrev_b32_e32 v86, 8, v86
	v_lshl_add_u32 v85, v85, 10, 0x2000
	s_delay_alu instid0(VALU_DEP_1) | instskip(NEXT) | instid1(VALU_DEP_1)
	v_and_or_b32 v85, 0x8000, v86, v85
	v_lshl_or_b32 v7, v7, 7, v85
	s_delay_alu instid0(VALU_DEP_1)
	v_cvt_f32_f16_e32 v85, v7
.LBB320_30:                             ;   in Loop: Header=BB320_13 Depth=1
	s_or_b32 exec_lo, exec_lo, s22
.LBB320_31:                             ;   in Loop: Header=BB320_13 Depth=1
	s_delay_alu instid0(SALU_CYCLE_1)
	s_or_b32 exec_lo, exec_lo, s21
.LBB320_32:                             ;   in Loop: Header=BB320_13 Depth=1
	s_delay_alu instid0(SALU_CYCLE_1) | instskip(SKIP_3) | instid1(VALU_DEP_2)
	s_or_b32 exec_lo, exec_lo, s20
	v_lshrrev_b32_e32 v97, 16, v96
	v_mov_b32_e32 v87, 0
	s_mov_b32 s20, exec_lo
	v_dual_mov_b32 v86, 0 :: v_dual_and_b32 v7, 0xff, v97
	s_delay_alu instid0(VALU_DEP_1)
	v_cmpx_ne_u16_e32 0, v7
	s_cbranch_execz .LBB320_40
; %bb.33:                               ;   in Loop: Header=BB320_13 Depth=1
	v_bfrev_b32_e32 v87, 1
	s_mov_b32 s21, exec_lo
	v_cmpx_ne_u16_e32 0x80, v7
	s_cbranch_execz .LBB320_39
; %bb.34:                               ;   in Loop: Header=BB320_13 Depth=1
	v_bfe_u32 v98, v96, 16, 7
	v_mov_b32_e32 v87, 0x7fc02000
	s_mov_b32 s22, exec_lo
	s_delay_alu instid0(VALU_DEP_2)
	v_cmpx_ne_u32_e32 0x7f, v98
	s_cbranch_execz .LBB320_38
; %bb.35:                               ;   in Loop: Header=BB320_13 Depth=1
	v_and_b32_e32 v7, 7, v97
	v_lshrrev_b32_e32 v87, 3, v98
	s_mov_b32 s23, exec_lo
	v_cmpx_gt_u32_e32 8, v98
; %bb.36:                               ;   in Loop: Header=BB320_13 Depth=1
	s_delay_alu instid0(VALU_DEP_3) | instskip(NEXT) | instid1(VALU_DEP_1)
	v_clz_i32_u32_e32 v87, v7
	v_min_u32_e32 v87, 32, v87
	s_delay_alu instid0(VALU_DEP_1) | instskip(SKIP_1) | instid1(VALU_DEP_2)
	v_subrev_nc_u32_e32 v98, 28, v87
	v_sub_nc_u32_e32 v87, 29, v87
	v_lshlrev_b64 v[98:99], v98, v[7:8]
	s_delay_alu instid0(VALU_DEP_1)
	v_and_b32_e32 v7, 7, v98
; %bb.37:                               ;   in Loop: Header=BB320_13 Depth=1
	s_or_b32 exec_lo, exec_lo, s23
	v_lshlrev_b32_e32 v97, 8, v97
	v_lshl_add_u32 v87, v87, 10, 0x2000
	s_delay_alu instid0(VALU_DEP_1) | instskip(NEXT) | instid1(VALU_DEP_1)
	v_and_or_b32 v87, 0x8000, v97, v87
	v_lshl_or_b32 v7, v7, 7, v87
	s_delay_alu instid0(VALU_DEP_1)
	v_cvt_f32_f16_e32 v87, v7
.LBB320_38:                             ;   in Loop: Header=BB320_13 Depth=1
	s_or_b32 exec_lo, exec_lo, s22
.LBB320_39:                             ;   in Loop: Header=BB320_13 Depth=1
	s_delay_alu instid0(SALU_CYCLE_1)
	s_or_b32 exec_lo, exec_lo, s21
.LBB320_40:                             ;   in Loop: Header=BB320_13 Depth=1
	s_delay_alu instid0(SALU_CYCLE_1) | instskip(NEXT) | instid1(SALU_CYCLE_1)
	s_or_b32 exec_lo, exec_lo, s20
	s_mov_b32 s20, exec_lo
	v_cmpx_lt_u32_e32 0xffffff, v96
	s_cbranch_execz .LBB320_48
; %bb.41:                               ;   in Loop: Header=BB320_13 Depth=1
	v_lshrrev_b32_e32 v96, 24, v96
	v_bfrev_b32_e32 v86, 1
	s_mov_b32 s21, exec_lo
	s_delay_alu instid0(VALU_DEP_2)
	v_cmpx_ne_u32_e32 0x80, v96
	s_cbranch_execz .LBB320_47
; %bb.42:                               ;   in Loop: Header=BB320_13 Depth=1
	v_and_b32_e32 v97, 0x7f, v96
	v_mov_b32_e32 v86, 0x7fc02000
	s_mov_b32 s22, exec_lo
	s_delay_alu instid0(VALU_DEP_2)
	v_cmpx_ne_u32_e32 0x7f, v97
	s_cbranch_execz .LBB320_46
; %bb.43:                               ;   in Loop: Header=BB320_13 Depth=1
	v_and_b32_e32 v7, 7, v96
	v_lshrrev_b32_e32 v86, 3, v97
	s_mov_b32 s23, exec_lo
	v_cmpx_gt_u32_e32 8, v97
; %bb.44:                               ;   in Loop: Header=BB320_13 Depth=1
	s_delay_alu instid0(VALU_DEP_3) | instskip(NEXT) | instid1(VALU_DEP_1)
	v_clz_i32_u32_e32 v86, v7
	v_min_u32_e32 v86, 32, v86
	s_delay_alu instid0(VALU_DEP_1) | instskip(SKIP_1) | instid1(VALU_DEP_2)
	v_subrev_nc_u32_e32 v97, 28, v86
	v_sub_nc_u32_e32 v86, 29, v86
	v_lshlrev_b64 v[97:98], v97, v[7:8]
	s_delay_alu instid0(VALU_DEP_1)
	v_and_b32_e32 v7, 7, v97
; %bb.45:                               ;   in Loop: Header=BB320_13 Depth=1
	s_or_b32 exec_lo, exec_lo, s23
	v_lshlrev_b32_e32 v96, 8, v96
	v_lshl_add_u32 v86, v86, 10, 0x2000
	s_delay_alu instid0(VALU_DEP_1) | instskip(NEXT) | instid1(VALU_DEP_1)
	v_and_or_b32 v86, 0x8000, v96, v86
	v_lshl_or_b32 v7, v7, 7, v86
	s_delay_alu instid0(VALU_DEP_1)
	v_cvt_f32_f16_e32 v86, v7
.LBB320_46:                             ;   in Loop: Header=BB320_13 Depth=1
	s_or_b32 exec_lo, exec_lo, s22
.LBB320_47:                             ;   in Loop: Header=BB320_13 Depth=1
	s_delay_alu instid0(SALU_CYCLE_1)
	s_or_b32 exec_lo, exec_lo, s21
.LBB320_48:                             ;   in Loop: Header=BB320_13 Depth=1
	s_delay_alu instid0(SALU_CYCLE_1)
	s_or_b32 exec_lo, exec_lo, s20
	flat_load_b32 v100, v[31:32] offset:8
	v_mov_b32_e32 v97, 0
	s_mov_b32 s20, exec_lo
	s_waitcnt vmcnt(0) lgkmcnt(0)
	v_dual_mov_b32 v96, 0 :: v_dual_and_b32 v7, 0xff, v100
	s_delay_alu instid0(VALU_DEP_1)
	v_cmpx_ne_u16_e32 0, v7
	s_cbranch_execz .LBB320_56
; %bb.49:                               ;   in Loop: Header=BB320_13 Depth=1
	v_bfrev_b32_e32 v96, 1
	s_mov_b32 s21, exec_lo
	v_cmpx_ne_u16_e32 0x80, v7
	s_cbranch_execz .LBB320_55
; %bb.50:                               ;   in Loop: Header=BB320_13 Depth=1
	v_and_b32_e32 v98, 0x7f, v100
	v_mov_b32_e32 v96, 0x7fc02000
	s_mov_b32 s22, exec_lo
	s_delay_alu instid0(VALU_DEP_2)
	v_cmpx_ne_u32_e32 0x7f, v98
	s_cbranch_execz .LBB320_54
; %bb.51:                               ;   in Loop: Header=BB320_13 Depth=1
	v_and_b32_e32 v7, 7, v100
	v_lshrrev_b32_e32 v96, 3, v98
	s_mov_b32 s23, exec_lo
	v_cmpx_gt_u32_e32 8, v98
; %bb.52:                               ;   in Loop: Header=BB320_13 Depth=1
	s_delay_alu instid0(VALU_DEP_3) | instskip(NEXT) | instid1(VALU_DEP_1)
	v_clz_i32_u32_e32 v96, v7
	v_min_u32_e32 v96, 32, v96
	s_delay_alu instid0(VALU_DEP_1) | instskip(SKIP_1) | instid1(VALU_DEP_2)
	v_subrev_nc_u32_e32 v98, 28, v96
	v_sub_nc_u32_e32 v96, 29, v96
	v_lshlrev_b64 v[98:99], v98, v[7:8]
	s_delay_alu instid0(VALU_DEP_1)
	v_and_b32_e32 v7, 7, v98
; %bb.53:                               ;   in Loop: Header=BB320_13 Depth=1
	s_or_b32 exec_lo, exec_lo, s23
	v_lshlrev_b32_e32 v98, 8, v100
	v_lshl_add_u32 v96, v96, 10, 0x2000
	s_delay_alu instid0(VALU_DEP_1) | instskip(NEXT) | instid1(VALU_DEP_1)
	v_and_or_b32 v96, 0x8000, v98, v96
	v_lshl_or_b32 v7, v7, 7, v96
	s_delay_alu instid0(VALU_DEP_1)
	v_cvt_f32_f16_e32 v96, v7
.LBB320_54:                             ;   in Loop: Header=BB320_13 Depth=1
	s_or_b32 exec_lo, exec_lo, s22
.LBB320_55:                             ;   in Loop: Header=BB320_13 Depth=1
	s_delay_alu instid0(SALU_CYCLE_1)
	s_or_b32 exec_lo, exec_lo, s21
.LBB320_56:                             ;   in Loop: Header=BB320_13 Depth=1
	s_delay_alu instid0(SALU_CYCLE_1) | instskip(SKIP_2) | instid1(VALU_DEP_1)
	s_or_b32 exec_lo, exec_lo, s20
	v_lshrrev_b16 v7, 8, v100
	s_mov_b32 s20, exec_lo
	v_cmpx_ne_u16_e32 0, v7
	s_cbranch_execz .LBB320_64
; %bb.57:                               ;   in Loop: Header=BB320_13 Depth=1
	v_bfrev_b32_e32 v97, 1
	s_mov_b32 s21, exec_lo
	v_cmpx_ne_u16_e32 0x80, v7
	s_cbranch_execz .LBB320_63
; %bb.58:                               ;   in Loop: Header=BB320_13 Depth=1
	v_and_b32_e32 v98, 0xffff, v7
	v_mov_b32_e32 v97, 0x7fc02000
	s_mov_b32 s22, exec_lo
	s_delay_alu instid0(VALU_DEP_2) | instskip(NEXT) | instid1(VALU_DEP_1)
	v_and_b32_e32 v99, 0x7f, v98
	v_cmpx_ne_u32_e32 0x7f, v99
	s_cbranch_execz .LBB320_62
; %bb.59:                               ;   in Loop: Header=BB320_13 Depth=1
	v_and_b32_e32 v7, 7, v98
	v_lshrrev_b32_e32 v97, 3, v99
	s_mov_b32 s23, exec_lo
	v_cmpx_gt_u32_e32 8, v99
; %bb.60:                               ;   in Loop: Header=BB320_13 Depth=1
	s_delay_alu instid0(VALU_DEP_3) | instskip(NEXT) | instid1(VALU_DEP_1)
	v_clz_i32_u32_e32 v97, v7
	v_min_u32_e32 v97, 32, v97
	s_delay_alu instid0(VALU_DEP_1) | instskip(SKIP_1) | instid1(VALU_DEP_2)
	v_subrev_nc_u32_e32 v99, 28, v97
	v_sub_nc_u32_e32 v97, 29, v97
	v_lshlrev_b64 v[101:102], v99, v[7:8]
	s_delay_alu instid0(VALU_DEP_1)
	v_and_b32_e32 v7, 7, v101
; %bb.61:                               ;   in Loop: Header=BB320_13 Depth=1
	s_or_b32 exec_lo, exec_lo, s23
	v_lshlrev_b32_e32 v98, 8, v98
	v_lshl_add_u32 v97, v97, 10, 0x2000
	s_delay_alu instid0(VALU_DEP_1) | instskip(NEXT) | instid1(VALU_DEP_1)
	v_and_or_b32 v97, 0x8000, v98, v97
	v_lshl_or_b32 v7, v7, 7, v97
	s_delay_alu instid0(VALU_DEP_1)
	v_cvt_f32_f16_e32 v97, v7
.LBB320_62:                             ;   in Loop: Header=BB320_13 Depth=1
	s_or_b32 exec_lo, exec_lo, s22
.LBB320_63:                             ;   in Loop: Header=BB320_13 Depth=1
	s_delay_alu instid0(SALU_CYCLE_1)
	s_or_b32 exec_lo, exec_lo, s21
.LBB320_64:                             ;   in Loop: Header=BB320_13 Depth=1
	s_delay_alu instid0(SALU_CYCLE_1) | instskip(SKIP_3) | instid1(VALU_DEP_2)
	s_or_b32 exec_lo, exec_lo, s20
	v_lshrrev_b32_e32 v101, 16, v100
	v_mov_b32_e32 v99, 0
	s_mov_b32 s20, exec_lo
	v_dual_mov_b32 v98, 0 :: v_dual_and_b32 v7, 0xff, v101
	s_delay_alu instid0(VALU_DEP_1)
	v_cmpx_ne_u16_e32 0, v7
	s_cbranch_execz .LBB320_72
; %bb.65:                               ;   in Loop: Header=BB320_13 Depth=1
	v_bfrev_b32_e32 v99, 1
	s_mov_b32 s21, exec_lo
	v_cmpx_ne_u16_e32 0x80, v7
	s_cbranch_execz .LBB320_71
; %bb.66:                               ;   in Loop: Header=BB320_13 Depth=1
	v_bfe_u32 v102, v100, 16, 7
	v_mov_b32_e32 v99, 0x7fc02000
	s_mov_b32 s22, exec_lo
	s_delay_alu instid0(VALU_DEP_2)
	v_cmpx_ne_u32_e32 0x7f, v102
	s_cbranch_execz .LBB320_70
; %bb.67:                               ;   in Loop: Header=BB320_13 Depth=1
	v_and_b32_e32 v7, 7, v101
	v_lshrrev_b32_e32 v99, 3, v102
	s_mov_b32 s23, exec_lo
	v_cmpx_gt_u32_e32 8, v102
; %bb.68:                               ;   in Loop: Header=BB320_13 Depth=1
	s_delay_alu instid0(VALU_DEP_3) | instskip(NEXT) | instid1(VALU_DEP_1)
	v_clz_i32_u32_e32 v99, v7
	v_min_u32_e32 v99, 32, v99
	s_delay_alu instid0(VALU_DEP_1) | instskip(SKIP_1) | instid1(VALU_DEP_2)
	v_subrev_nc_u32_e32 v102, 28, v99
	v_sub_nc_u32_e32 v99, 29, v99
	v_lshlrev_b64 v[102:103], v102, v[7:8]
	s_delay_alu instid0(VALU_DEP_1)
	v_and_b32_e32 v7, 7, v102
; %bb.69:                               ;   in Loop: Header=BB320_13 Depth=1
	s_or_b32 exec_lo, exec_lo, s23
	v_lshlrev_b32_e32 v101, 8, v101
	v_lshl_add_u32 v99, v99, 10, 0x2000
	s_delay_alu instid0(VALU_DEP_1) | instskip(NEXT) | instid1(VALU_DEP_1)
	v_and_or_b32 v99, 0x8000, v101, v99
	v_lshl_or_b32 v7, v7, 7, v99
	s_delay_alu instid0(VALU_DEP_1)
	v_cvt_f32_f16_e32 v99, v7
.LBB320_70:                             ;   in Loop: Header=BB320_13 Depth=1
	s_or_b32 exec_lo, exec_lo, s22
.LBB320_71:                             ;   in Loop: Header=BB320_13 Depth=1
	s_delay_alu instid0(SALU_CYCLE_1)
	s_or_b32 exec_lo, exec_lo, s21
.LBB320_72:                             ;   in Loop: Header=BB320_13 Depth=1
	s_delay_alu instid0(SALU_CYCLE_1) | instskip(NEXT) | instid1(SALU_CYCLE_1)
	s_or_b32 exec_lo, exec_lo, s20
	s_mov_b32 s20, exec_lo
	v_cmpx_lt_u32_e32 0xffffff, v100
	s_cbranch_execz .LBB320_80
; %bb.73:                               ;   in Loop: Header=BB320_13 Depth=1
	v_lshrrev_b32_e32 v100, 24, v100
	v_bfrev_b32_e32 v98, 1
	s_mov_b32 s21, exec_lo
	s_delay_alu instid0(VALU_DEP_2)
	v_cmpx_ne_u32_e32 0x80, v100
	s_cbranch_execz .LBB320_79
; %bb.74:                               ;   in Loop: Header=BB320_13 Depth=1
	v_and_b32_e32 v101, 0x7f, v100
	v_mov_b32_e32 v98, 0x7fc02000
	s_mov_b32 s22, exec_lo
	s_delay_alu instid0(VALU_DEP_2)
	v_cmpx_ne_u32_e32 0x7f, v101
	s_cbranch_execz .LBB320_78
; %bb.75:                               ;   in Loop: Header=BB320_13 Depth=1
	v_and_b32_e32 v7, 7, v100
	v_lshrrev_b32_e32 v98, 3, v101
	s_mov_b32 s23, exec_lo
	v_cmpx_gt_u32_e32 8, v101
; %bb.76:                               ;   in Loop: Header=BB320_13 Depth=1
	s_delay_alu instid0(VALU_DEP_3) | instskip(NEXT) | instid1(VALU_DEP_1)
	v_clz_i32_u32_e32 v98, v7
	v_min_u32_e32 v98, 32, v98
	s_delay_alu instid0(VALU_DEP_1) | instskip(SKIP_1) | instid1(VALU_DEP_2)
	v_subrev_nc_u32_e32 v101, 28, v98
	v_sub_nc_u32_e32 v98, 29, v98
	v_lshlrev_b64 v[101:102], v101, v[7:8]
	s_delay_alu instid0(VALU_DEP_1)
	v_and_b32_e32 v7, 7, v101
; %bb.77:                               ;   in Loop: Header=BB320_13 Depth=1
	s_or_b32 exec_lo, exec_lo, s23
	v_lshlrev_b32_e32 v100, 8, v100
	v_lshl_add_u32 v98, v98, 10, 0x2000
	s_delay_alu instid0(VALU_DEP_1) | instskip(NEXT) | instid1(VALU_DEP_1)
	v_and_or_b32 v98, 0x8000, v100, v98
	v_lshl_or_b32 v7, v7, 7, v98
	s_delay_alu instid0(VALU_DEP_1)
	v_cvt_f32_f16_e32 v98, v7
.LBB320_78:                             ;   in Loop: Header=BB320_13 Depth=1
	s_or_b32 exec_lo, exec_lo, s22
.LBB320_79:                             ;   in Loop: Header=BB320_13 Depth=1
	s_delay_alu instid0(SALU_CYCLE_1)
	s_or_b32 exec_lo, exec_lo, s21
.LBB320_80:                             ;   in Loop: Header=BB320_13 Depth=1
	s_delay_alu instid0(SALU_CYCLE_1)
	s_or_b32 exec_lo, exec_lo, s20
	flat_load_b32 v112, v[31:32] offset:256
	v_mov_b32_e32 v101, 0
	s_mov_b32 s20, exec_lo
	s_waitcnt vmcnt(0) lgkmcnt(0)
	v_dual_mov_b32 v100, 0 :: v_dual_and_b32 v7, 0xff, v112
	s_delay_alu instid0(VALU_DEP_1)
	v_cmpx_ne_u16_e32 0, v7
	s_cbranch_execz .LBB320_88
; %bb.81:                               ;   in Loop: Header=BB320_13 Depth=1
	v_bfrev_b32_e32 v100, 1
	s_mov_b32 s21, exec_lo
	v_cmpx_ne_u16_e32 0x80, v7
	s_cbranch_execz .LBB320_87
; %bb.82:                               ;   in Loop: Header=BB320_13 Depth=1
	v_and_b32_e32 v102, 0x7f, v112
	v_mov_b32_e32 v100, 0x7fc02000
	s_mov_b32 s22, exec_lo
	s_delay_alu instid0(VALU_DEP_2)
	v_cmpx_ne_u32_e32 0x7f, v102
	s_cbranch_execz .LBB320_86
; %bb.83:                               ;   in Loop: Header=BB320_13 Depth=1
	v_and_b32_e32 v7, 7, v112
	v_lshrrev_b32_e32 v100, 3, v102
	s_mov_b32 s23, exec_lo
	v_cmpx_gt_u32_e32 8, v102
; %bb.84:                               ;   in Loop: Header=BB320_13 Depth=1
	s_delay_alu instid0(VALU_DEP_3) | instskip(NEXT) | instid1(VALU_DEP_1)
	v_clz_i32_u32_e32 v100, v7
	v_min_u32_e32 v100, 32, v100
	s_delay_alu instid0(VALU_DEP_1) | instskip(SKIP_1) | instid1(VALU_DEP_2)
	v_subrev_nc_u32_e32 v102, 28, v100
	v_sub_nc_u32_e32 v100, 29, v100
	v_lshlrev_b64 v[102:103], v102, v[7:8]
	s_delay_alu instid0(VALU_DEP_1)
	v_and_b32_e32 v7, 7, v102
; %bb.85:                               ;   in Loop: Header=BB320_13 Depth=1
	s_or_b32 exec_lo, exec_lo, s23
	v_lshlrev_b32_e32 v102, 8, v112
	v_lshl_add_u32 v100, v100, 10, 0x2000
	s_delay_alu instid0(VALU_DEP_1) | instskip(NEXT) | instid1(VALU_DEP_1)
	v_and_or_b32 v100, 0x8000, v102, v100
	v_lshl_or_b32 v7, v7, 7, v100
	s_delay_alu instid0(VALU_DEP_1)
	v_cvt_f32_f16_e32 v100, v7
.LBB320_86:                             ;   in Loop: Header=BB320_13 Depth=1
	s_or_b32 exec_lo, exec_lo, s22
.LBB320_87:                             ;   in Loop: Header=BB320_13 Depth=1
	s_delay_alu instid0(SALU_CYCLE_1)
	s_or_b32 exec_lo, exec_lo, s21
.LBB320_88:                             ;   in Loop: Header=BB320_13 Depth=1
	s_delay_alu instid0(SALU_CYCLE_1) | instskip(SKIP_2) | instid1(VALU_DEP_1)
	s_or_b32 exec_lo, exec_lo, s20
	v_lshrrev_b16 v7, 8, v112
	s_mov_b32 s20, exec_lo
	v_cmpx_ne_u16_e32 0, v7
	s_cbranch_execz .LBB320_96
; %bb.89:                               ;   in Loop: Header=BB320_13 Depth=1
	v_bfrev_b32_e32 v101, 1
	s_mov_b32 s21, exec_lo
	v_cmpx_ne_u16_e32 0x80, v7
	s_cbranch_execz .LBB320_95
; %bb.90:                               ;   in Loop: Header=BB320_13 Depth=1
	v_and_b32_e32 v102, 0xffff, v7
	v_mov_b32_e32 v101, 0x7fc02000
	s_mov_b32 s22, exec_lo
	s_delay_alu instid0(VALU_DEP_2) | instskip(NEXT) | instid1(VALU_DEP_1)
	v_and_b32_e32 v103, 0x7f, v102
	v_cmpx_ne_u32_e32 0x7f, v103
	s_cbranch_execz .LBB320_94
; %bb.91:                               ;   in Loop: Header=BB320_13 Depth=1
	v_and_b32_e32 v7, 7, v102
	v_lshrrev_b32_e32 v101, 3, v103
	s_mov_b32 s23, exec_lo
	v_cmpx_gt_u32_e32 8, v103
; %bb.92:                               ;   in Loop: Header=BB320_13 Depth=1
	s_delay_alu instid0(VALU_DEP_3) | instskip(NEXT) | instid1(VALU_DEP_1)
	v_clz_i32_u32_e32 v101, v7
	v_min_u32_e32 v101, 32, v101
	s_delay_alu instid0(VALU_DEP_1) | instskip(SKIP_1) | instid1(VALU_DEP_2)
	v_subrev_nc_u32_e32 v103, 28, v101
	v_sub_nc_u32_e32 v101, 29, v101
	v_lshlrev_b64 v[113:114], v103, v[7:8]
	s_delay_alu instid0(VALU_DEP_1)
	v_and_b32_e32 v7, 7, v113
; %bb.93:                               ;   in Loop: Header=BB320_13 Depth=1
	s_or_b32 exec_lo, exec_lo, s23
	v_lshlrev_b32_e32 v102, 8, v102
	v_lshl_add_u32 v101, v101, 10, 0x2000
	s_delay_alu instid0(VALU_DEP_1) | instskip(NEXT) | instid1(VALU_DEP_1)
	v_and_or_b32 v101, 0x8000, v102, v101
	v_lshl_or_b32 v7, v7, 7, v101
	s_delay_alu instid0(VALU_DEP_1)
	v_cvt_f32_f16_e32 v101, v7
.LBB320_94:                             ;   in Loop: Header=BB320_13 Depth=1
	s_or_b32 exec_lo, exec_lo, s22
.LBB320_95:                             ;   in Loop: Header=BB320_13 Depth=1
	s_delay_alu instid0(SALU_CYCLE_1)
	s_or_b32 exec_lo, exec_lo, s21
.LBB320_96:                             ;   in Loop: Header=BB320_13 Depth=1
	s_delay_alu instid0(SALU_CYCLE_1) | instskip(SKIP_3) | instid1(VALU_DEP_2)
	s_or_b32 exec_lo, exec_lo, s20
	v_lshrrev_b32_e32 v113, 16, v112
	v_mov_b32_e32 v103, 0
	s_mov_b32 s20, exec_lo
	v_dual_mov_b32 v102, 0 :: v_dual_and_b32 v7, 0xff, v113
	s_delay_alu instid0(VALU_DEP_1)
	v_cmpx_ne_u16_e32 0, v7
	s_cbranch_execz .LBB320_104
; %bb.97:                               ;   in Loop: Header=BB320_13 Depth=1
	v_bfrev_b32_e32 v103, 1
	s_mov_b32 s21, exec_lo
	v_cmpx_ne_u16_e32 0x80, v7
	s_cbranch_execz .LBB320_103
; %bb.98:                               ;   in Loop: Header=BB320_13 Depth=1
	v_bfe_u32 v114, v112, 16, 7
	v_mov_b32_e32 v103, 0x7fc02000
	s_mov_b32 s22, exec_lo
	s_delay_alu instid0(VALU_DEP_2)
	v_cmpx_ne_u32_e32 0x7f, v114
	s_cbranch_execz .LBB320_102
; %bb.99:                               ;   in Loop: Header=BB320_13 Depth=1
	v_and_b32_e32 v7, 7, v113
	v_lshrrev_b32_e32 v103, 3, v114
	s_mov_b32 s23, exec_lo
	v_cmpx_gt_u32_e32 8, v114
; %bb.100:                              ;   in Loop: Header=BB320_13 Depth=1
	s_delay_alu instid0(VALU_DEP_3) | instskip(NEXT) | instid1(VALU_DEP_1)
	v_clz_i32_u32_e32 v103, v7
	v_min_u32_e32 v103, 32, v103
	s_delay_alu instid0(VALU_DEP_1) | instskip(SKIP_1) | instid1(VALU_DEP_2)
	v_subrev_nc_u32_e32 v114, 28, v103
	v_sub_nc_u32_e32 v103, 29, v103
	v_lshlrev_b64 v[114:115], v114, v[7:8]
	s_delay_alu instid0(VALU_DEP_1)
	v_and_b32_e32 v7, 7, v114
; %bb.101:                              ;   in Loop: Header=BB320_13 Depth=1
	s_or_b32 exec_lo, exec_lo, s23
	v_lshlrev_b32_e32 v113, 8, v113
	v_lshl_add_u32 v103, v103, 10, 0x2000
	s_delay_alu instid0(VALU_DEP_1) | instskip(NEXT) | instid1(VALU_DEP_1)
	v_and_or_b32 v103, 0x8000, v113, v103
	v_lshl_or_b32 v7, v7, 7, v103
	s_delay_alu instid0(VALU_DEP_1)
	v_cvt_f32_f16_e32 v103, v7
.LBB320_102:                            ;   in Loop: Header=BB320_13 Depth=1
	s_or_b32 exec_lo, exec_lo, s22
.LBB320_103:                            ;   in Loop: Header=BB320_13 Depth=1
	s_delay_alu instid0(SALU_CYCLE_1)
	s_or_b32 exec_lo, exec_lo, s21
.LBB320_104:                            ;   in Loop: Header=BB320_13 Depth=1
	s_delay_alu instid0(SALU_CYCLE_1) | instskip(NEXT) | instid1(SALU_CYCLE_1)
	s_or_b32 exec_lo, exec_lo, s20
	s_mov_b32 s20, exec_lo
	v_cmpx_lt_u32_e32 0xffffff, v112
	s_cbranch_execz .LBB320_112
; %bb.105:                              ;   in Loop: Header=BB320_13 Depth=1
	v_lshrrev_b32_e32 v112, 24, v112
	v_bfrev_b32_e32 v102, 1
	s_mov_b32 s21, exec_lo
	s_delay_alu instid0(VALU_DEP_2)
	v_cmpx_ne_u32_e32 0x80, v112
	s_cbranch_execz .LBB320_111
; %bb.106:                              ;   in Loop: Header=BB320_13 Depth=1
	v_and_b32_e32 v113, 0x7f, v112
	v_mov_b32_e32 v102, 0x7fc02000
	s_mov_b32 s22, exec_lo
	s_delay_alu instid0(VALU_DEP_2)
	v_cmpx_ne_u32_e32 0x7f, v113
	s_cbranch_execz .LBB320_110
; %bb.107:                              ;   in Loop: Header=BB320_13 Depth=1
	v_and_b32_e32 v7, 7, v112
	v_lshrrev_b32_e32 v102, 3, v113
	s_mov_b32 s23, exec_lo
	v_cmpx_gt_u32_e32 8, v113
; %bb.108:                              ;   in Loop: Header=BB320_13 Depth=1
	s_delay_alu instid0(VALU_DEP_3) | instskip(NEXT) | instid1(VALU_DEP_1)
	v_clz_i32_u32_e32 v102, v7
	v_min_u32_e32 v102, 32, v102
	s_delay_alu instid0(VALU_DEP_1) | instskip(SKIP_1) | instid1(VALU_DEP_2)
	v_subrev_nc_u32_e32 v113, 28, v102
	v_sub_nc_u32_e32 v102, 29, v102
	v_lshlrev_b64 v[113:114], v113, v[7:8]
	s_delay_alu instid0(VALU_DEP_1)
	v_and_b32_e32 v7, 7, v113
; %bb.109:                              ;   in Loop: Header=BB320_13 Depth=1
	s_or_b32 exec_lo, exec_lo, s23
	v_lshlrev_b32_e32 v112, 8, v112
	v_lshl_add_u32 v102, v102, 10, 0x2000
	s_delay_alu instid0(VALU_DEP_1) | instskip(NEXT) | instid1(VALU_DEP_1)
	v_and_or_b32 v102, 0x8000, v112, v102
	v_lshl_or_b32 v7, v7, 7, v102
	s_delay_alu instid0(VALU_DEP_1)
	v_cvt_f32_f16_e32 v102, v7
.LBB320_110:                            ;   in Loop: Header=BB320_13 Depth=1
	s_or_b32 exec_lo, exec_lo, s22
.LBB320_111:                            ;   in Loop: Header=BB320_13 Depth=1
	s_delay_alu instid0(SALU_CYCLE_1)
	s_or_b32 exec_lo, exec_lo, s21
.LBB320_112:                            ;   in Loop: Header=BB320_13 Depth=1
	s_delay_alu instid0(SALU_CYCLE_1)
	s_or_b32 exec_lo, exec_lo, s20
	flat_load_b32 v116, v[31:32] offset:264
	v_mov_b32_e32 v113, 0
	s_mov_b32 s20, exec_lo
	s_waitcnt vmcnt(0) lgkmcnt(0)
	v_dual_mov_b32 v112, 0 :: v_dual_and_b32 v7, 0xff, v116
	s_delay_alu instid0(VALU_DEP_1)
	v_cmpx_ne_u16_e32 0, v7
	s_cbranch_execz .LBB320_120
; %bb.113:                              ;   in Loop: Header=BB320_13 Depth=1
	v_bfrev_b32_e32 v112, 1
	s_mov_b32 s21, exec_lo
	v_cmpx_ne_u16_e32 0x80, v7
	s_cbranch_execz .LBB320_119
; %bb.114:                              ;   in Loop: Header=BB320_13 Depth=1
	v_and_b32_e32 v114, 0x7f, v116
	v_mov_b32_e32 v112, 0x7fc02000
	s_mov_b32 s22, exec_lo
	s_delay_alu instid0(VALU_DEP_2)
	v_cmpx_ne_u32_e32 0x7f, v114
	s_cbranch_execz .LBB320_118
; %bb.115:                              ;   in Loop: Header=BB320_13 Depth=1
	v_and_b32_e32 v7, 7, v116
	v_lshrrev_b32_e32 v112, 3, v114
	s_mov_b32 s23, exec_lo
	v_cmpx_gt_u32_e32 8, v114
; %bb.116:                              ;   in Loop: Header=BB320_13 Depth=1
	s_delay_alu instid0(VALU_DEP_3) | instskip(NEXT) | instid1(VALU_DEP_1)
	v_clz_i32_u32_e32 v112, v7
	v_min_u32_e32 v112, 32, v112
	s_delay_alu instid0(VALU_DEP_1) | instskip(SKIP_1) | instid1(VALU_DEP_2)
	v_subrev_nc_u32_e32 v114, 28, v112
	v_sub_nc_u32_e32 v112, 29, v112
	v_lshlrev_b64 v[114:115], v114, v[7:8]
	s_delay_alu instid0(VALU_DEP_1)
	v_and_b32_e32 v7, 7, v114
; %bb.117:                              ;   in Loop: Header=BB320_13 Depth=1
	s_or_b32 exec_lo, exec_lo, s23
	v_lshlrev_b32_e32 v114, 8, v116
	v_lshl_add_u32 v112, v112, 10, 0x2000
	s_delay_alu instid0(VALU_DEP_1) | instskip(NEXT) | instid1(VALU_DEP_1)
	v_and_or_b32 v112, 0x8000, v114, v112
	v_lshl_or_b32 v7, v7, 7, v112
	s_delay_alu instid0(VALU_DEP_1)
	v_cvt_f32_f16_e32 v112, v7
.LBB320_118:                            ;   in Loop: Header=BB320_13 Depth=1
	s_or_b32 exec_lo, exec_lo, s22
.LBB320_119:                            ;   in Loop: Header=BB320_13 Depth=1
	s_delay_alu instid0(SALU_CYCLE_1)
	s_or_b32 exec_lo, exec_lo, s21
.LBB320_120:                            ;   in Loop: Header=BB320_13 Depth=1
	s_delay_alu instid0(SALU_CYCLE_1) | instskip(SKIP_2) | instid1(VALU_DEP_1)
	s_or_b32 exec_lo, exec_lo, s20
	v_lshrrev_b16 v7, 8, v116
	s_mov_b32 s20, exec_lo
	v_cmpx_ne_u16_e32 0, v7
	s_cbranch_execz .LBB320_128
; %bb.121:                              ;   in Loop: Header=BB320_13 Depth=1
	v_bfrev_b32_e32 v113, 1
	s_mov_b32 s21, exec_lo
	v_cmpx_ne_u16_e32 0x80, v7
	s_cbranch_execz .LBB320_127
; %bb.122:                              ;   in Loop: Header=BB320_13 Depth=1
	v_and_b32_e32 v114, 0xffff, v7
	v_mov_b32_e32 v113, 0x7fc02000
	s_mov_b32 s22, exec_lo
	s_delay_alu instid0(VALU_DEP_2) | instskip(NEXT) | instid1(VALU_DEP_1)
	v_and_b32_e32 v115, 0x7f, v114
	v_cmpx_ne_u32_e32 0x7f, v115
	s_cbranch_execz .LBB320_126
; %bb.123:                              ;   in Loop: Header=BB320_13 Depth=1
	v_and_b32_e32 v7, 7, v114
	v_lshrrev_b32_e32 v113, 3, v115
	s_mov_b32 s23, exec_lo
	v_cmpx_gt_u32_e32 8, v115
; %bb.124:                              ;   in Loop: Header=BB320_13 Depth=1
	s_delay_alu instid0(VALU_DEP_3) | instskip(NEXT) | instid1(VALU_DEP_1)
	v_clz_i32_u32_e32 v113, v7
	v_min_u32_e32 v113, 32, v113
	s_delay_alu instid0(VALU_DEP_1) | instskip(SKIP_1) | instid1(VALU_DEP_2)
	v_subrev_nc_u32_e32 v115, 28, v113
	v_sub_nc_u32_e32 v113, 29, v113
	v_lshlrev_b64 v[117:118], v115, v[7:8]
	s_delay_alu instid0(VALU_DEP_1)
	v_and_b32_e32 v7, 7, v117
; %bb.125:                              ;   in Loop: Header=BB320_13 Depth=1
	s_or_b32 exec_lo, exec_lo, s23
	v_lshlrev_b32_e32 v114, 8, v114
	v_lshl_add_u32 v113, v113, 10, 0x2000
	s_delay_alu instid0(VALU_DEP_1) | instskip(NEXT) | instid1(VALU_DEP_1)
	v_and_or_b32 v113, 0x8000, v114, v113
	v_lshl_or_b32 v7, v7, 7, v113
	s_delay_alu instid0(VALU_DEP_1)
	v_cvt_f32_f16_e32 v113, v7
.LBB320_126:                            ;   in Loop: Header=BB320_13 Depth=1
	s_or_b32 exec_lo, exec_lo, s22
.LBB320_127:                            ;   in Loop: Header=BB320_13 Depth=1
	s_delay_alu instid0(SALU_CYCLE_1)
	s_or_b32 exec_lo, exec_lo, s21
.LBB320_128:                            ;   in Loop: Header=BB320_13 Depth=1
	s_delay_alu instid0(SALU_CYCLE_1) | instskip(SKIP_3) | instid1(VALU_DEP_2)
	s_or_b32 exec_lo, exec_lo, s20
	v_lshrrev_b32_e32 v117, 16, v116
	v_mov_b32_e32 v115, 0
	s_mov_b32 s20, exec_lo
	v_dual_mov_b32 v114, 0 :: v_dual_and_b32 v7, 0xff, v117
	s_delay_alu instid0(VALU_DEP_1)
	v_cmpx_ne_u16_e32 0, v7
	s_cbranch_execz .LBB320_136
; %bb.129:                              ;   in Loop: Header=BB320_13 Depth=1
	v_bfrev_b32_e32 v115, 1
	s_mov_b32 s21, exec_lo
	v_cmpx_ne_u16_e32 0x80, v7
	s_cbranch_execz .LBB320_135
; %bb.130:                              ;   in Loop: Header=BB320_13 Depth=1
	v_bfe_u32 v118, v116, 16, 7
	v_mov_b32_e32 v115, 0x7fc02000
	s_mov_b32 s22, exec_lo
	s_delay_alu instid0(VALU_DEP_2)
	v_cmpx_ne_u32_e32 0x7f, v118
	s_cbranch_execz .LBB320_134
; %bb.131:                              ;   in Loop: Header=BB320_13 Depth=1
	v_and_b32_e32 v7, 7, v117
	v_lshrrev_b32_e32 v115, 3, v118
	s_mov_b32 s23, exec_lo
	v_cmpx_gt_u32_e32 8, v118
; %bb.132:                              ;   in Loop: Header=BB320_13 Depth=1
	s_delay_alu instid0(VALU_DEP_3) | instskip(NEXT) | instid1(VALU_DEP_1)
	v_clz_i32_u32_e32 v115, v7
	v_min_u32_e32 v115, 32, v115
	s_delay_alu instid0(VALU_DEP_1) | instskip(SKIP_1) | instid1(VALU_DEP_2)
	v_subrev_nc_u32_e32 v118, 28, v115
	v_sub_nc_u32_e32 v115, 29, v115
	v_lshlrev_b64 v[118:119], v118, v[7:8]
	s_delay_alu instid0(VALU_DEP_1)
	v_and_b32_e32 v7, 7, v118
; %bb.133:                              ;   in Loop: Header=BB320_13 Depth=1
	s_or_b32 exec_lo, exec_lo, s23
	v_lshlrev_b32_e32 v117, 8, v117
	v_lshl_add_u32 v115, v115, 10, 0x2000
	s_delay_alu instid0(VALU_DEP_1) | instskip(NEXT) | instid1(VALU_DEP_1)
	v_and_or_b32 v115, 0x8000, v117, v115
	v_lshl_or_b32 v7, v7, 7, v115
	s_delay_alu instid0(VALU_DEP_1)
	v_cvt_f32_f16_e32 v115, v7
.LBB320_134:                            ;   in Loop: Header=BB320_13 Depth=1
	s_or_b32 exec_lo, exec_lo, s22
.LBB320_135:                            ;   in Loop: Header=BB320_13 Depth=1
	s_delay_alu instid0(SALU_CYCLE_1)
	s_or_b32 exec_lo, exec_lo, s21
.LBB320_136:                            ;   in Loop: Header=BB320_13 Depth=1
	s_delay_alu instid0(SALU_CYCLE_1) | instskip(NEXT) | instid1(SALU_CYCLE_1)
	s_or_b32 exec_lo, exec_lo, s20
	s_mov_b32 s20, exec_lo
	v_cmpx_lt_u32_e32 0xffffff, v116
	s_cbranch_execz .LBB320_144
; %bb.137:                              ;   in Loop: Header=BB320_13 Depth=1
	v_lshrrev_b32_e32 v116, 24, v116
	v_bfrev_b32_e32 v114, 1
	s_mov_b32 s21, exec_lo
	s_delay_alu instid0(VALU_DEP_2)
	v_cmpx_ne_u32_e32 0x80, v116
	s_cbranch_execz .LBB320_143
; %bb.138:                              ;   in Loop: Header=BB320_13 Depth=1
	v_and_b32_e32 v117, 0x7f, v116
	v_mov_b32_e32 v114, 0x7fc02000
	s_mov_b32 s22, exec_lo
	s_delay_alu instid0(VALU_DEP_2)
	v_cmpx_ne_u32_e32 0x7f, v117
	s_cbranch_execz .LBB320_142
; %bb.139:                              ;   in Loop: Header=BB320_13 Depth=1
	v_and_b32_e32 v7, 7, v116
	v_lshrrev_b32_e32 v114, 3, v117
	s_mov_b32 s23, exec_lo
	v_cmpx_gt_u32_e32 8, v117
; %bb.140:                              ;   in Loop: Header=BB320_13 Depth=1
	s_delay_alu instid0(VALU_DEP_3) | instskip(NEXT) | instid1(VALU_DEP_1)
	v_clz_i32_u32_e32 v114, v7
	v_min_u32_e32 v114, 32, v114
	s_delay_alu instid0(VALU_DEP_1) | instskip(SKIP_1) | instid1(VALU_DEP_2)
	v_subrev_nc_u32_e32 v117, 28, v114
	v_sub_nc_u32_e32 v114, 29, v114
	v_lshlrev_b64 v[117:118], v117, v[7:8]
	s_delay_alu instid0(VALU_DEP_1)
	v_and_b32_e32 v7, 7, v117
; %bb.141:                              ;   in Loop: Header=BB320_13 Depth=1
	s_or_b32 exec_lo, exec_lo, s23
	v_lshlrev_b32_e32 v116, 8, v116
	v_lshl_add_u32 v114, v114, 10, 0x2000
	s_delay_alu instid0(VALU_DEP_1) | instskip(NEXT) | instid1(VALU_DEP_1)
	v_and_or_b32 v114, 0x8000, v116, v114
	v_lshl_or_b32 v7, v7, 7, v114
	s_delay_alu instid0(VALU_DEP_1)
	v_cvt_f32_f16_e32 v114, v7
.LBB320_142:                            ;   in Loop: Header=BB320_13 Depth=1
	s_or_b32 exec_lo, exec_lo, s22
.LBB320_143:                            ;   in Loop: Header=BB320_13 Depth=1
	s_delay_alu instid0(SALU_CYCLE_1)
	s_or_b32 exec_lo, exec_lo, s21
.LBB320_144:                            ;   in Loop: Header=BB320_13 Depth=1
	s_delay_alu instid0(SALU_CYCLE_1)
	s_or_b32 exec_lo, exec_lo, s20
	flat_load_b32 v128, v[31:32] offset:512
	v_mov_b32_e32 v117, 0
	s_mov_b32 s20, exec_lo
	s_waitcnt vmcnt(0) lgkmcnt(0)
	v_dual_mov_b32 v116, 0 :: v_dual_and_b32 v7, 0xff, v128
	s_delay_alu instid0(VALU_DEP_1)
	v_cmpx_ne_u16_e32 0, v7
	s_cbranch_execz .LBB320_152
; %bb.145:                              ;   in Loop: Header=BB320_13 Depth=1
	v_bfrev_b32_e32 v116, 1
	s_mov_b32 s21, exec_lo
	v_cmpx_ne_u16_e32 0x80, v7
	s_cbranch_execz .LBB320_151
; %bb.146:                              ;   in Loop: Header=BB320_13 Depth=1
	v_and_b32_e32 v118, 0x7f, v128
	v_mov_b32_e32 v116, 0x7fc02000
	s_mov_b32 s22, exec_lo
	s_delay_alu instid0(VALU_DEP_2)
	v_cmpx_ne_u32_e32 0x7f, v118
	s_cbranch_execz .LBB320_150
; %bb.147:                              ;   in Loop: Header=BB320_13 Depth=1
	v_and_b32_e32 v7, 7, v128
	v_lshrrev_b32_e32 v116, 3, v118
	s_mov_b32 s23, exec_lo
	v_cmpx_gt_u32_e32 8, v118
; %bb.148:                              ;   in Loop: Header=BB320_13 Depth=1
	s_delay_alu instid0(VALU_DEP_3) | instskip(NEXT) | instid1(VALU_DEP_1)
	v_clz_i32_u32_e32 v116, v7
	v_min_u32_e32 v116, 32, v116
	s_delay_alu instid0(VALU_DEP_1) | instskip(SKIP_1) | instid1(VALU_DEP_2)
	v_subrev_nc_u32_e32 v118, 28, v116
	v_sub_nc_u32_e32 v116, 29, v116
	v_lshlrev_b64 v[118:119], v118, v[7:8]
	s_delay_alu instid0(VALU_DEP_1)
	v_and_b32_e32 v7, 7, v118
; %bb.149:                              ;   in Loop: Header=BB320_13 Depth=1
	s_or_b32 exec_lo, exec_lo, s23
	v_lshlrev_b32_e32 v118, 8, v128
	v_lshl_add_u32 v116, v116, 10, 0x2000
	s_delay_alu instid0(VALU_DEP_1) | instskip(NEXT) | instid1(VALU_DEP_1)
	v_and_or_b32 v116, 0x8000, v118, v116
	v_lshl_or_b32 v7, v7, 7, v116
	s_delay_alu instid0(VALU_DEP_1)
	v_cvt_f32_f16_e32 v116, v7
.LBB320_150:                            ;   in Loop: Header=BB320_13 Depth=1
	s_or_b32 exec_lo, exec_lo, s22
.LBB320_151:                            ;   in Loop: Header=BB320_13 Depth=1
	s_delay_alu instid0(SALU_CYCLE_1)
	s_or_b32 exec_lo, exec_lo, s21
.LBB320_152:                            ;   in Loop: Header=BB320_13 Depth=1
	s_delay_alu instid0(SALU_CYCLE_1) | instskip(SKIP_2) | instid1(VALU_DEP_1)
	s_or_b32 exec_lo, exec_lo, s20
	v_lshrrev_b16 v7, 8, v128
	s_mov_b32 s20, exec_lo
	v_cmpx_ne_u16_e32 0, v7
	s_cbranch_execz .LBB320_160
; %bb.153:                              ;   in Loop: Header=BB320_13 Depth=1
	v_bfrev_b32_e32 v117, 1
	s_mov_b32 s21, exec_lo
	v_cmpx_ne_u16_e32 0x80, v7
	s_cbranch_execz .LBB320_159
; %bb.154:                              ;   in Loop: Header=BB320_13 Depth=1
	v_and_b32_e32 v118, 0xffff, v7
	v_mov_b32_e32 v117, 0x7fc02000
	s_mov_b32 s22, exec_lo
	s_delay_alu instid0(VALU_DEP_2) | instskip(NEXT) | instid1(VALU_DEP_1)
	v_and_b32_e32 v119, 0x7f, v118
	v_cmpx_ne_u32_e32 0x7f, v119
	s_cbranch_execz .LBB320_158
; %bb.155:                              ;   in Loop: Header=BB320_13 Depth=1
	v_and_b32_e32 v7, 7, v118
	v_lshrrev_b32_e32 v117, 3, v119
	s_mov_b32 s23, exec_lo
	v_cmpx_gt_u32_e32 8, v119
; %bb.156:                              ;   in Loop: Header=BB320_13 Depth=1
	s_delay_alu instid0(VALU_DEP_3) | instskip(NEXT) | instid1(VALU_DEP_1)
	v_clz_i32_u32_e32 v117, v7
	v_min_u32_e32 v117, 32, v117
	s_delay_alu instid0(VALU_DEP_1) | instskip(SKIP_1) | instid1(VALU_DEP_2)
	v_subrev_nc_u32_e32 v119, 28, v117
	v_sub_nc_u32_e32 v117, 29, v117
	v_lshlrev_b64 v[129:130], v119, v[7:8]
	s_delay_alu instid0(VALU_DEP_1)
	v_and_b32_e32 v7, 7, v129
; %bb.157:                              ;   in Loop: Header=BB320_13 Depth=1
	s_or_b32 exec_lo, exec_lo, s23
	v_lshlrev_b32_e32 v118, 8, v118
	v_lshl_add_u32 v117, v117, 10, 0x2000
	s_delay_alu instid0(VALU_DEP_1) | instskip(NEXT) | instid1(VALU_DEP_1)
	v_and_or_b32 v117, 0x8000, v118, v117
	v_lshl_or_b32 v7, v7, 7, v117
	s_delay_alu instid0(VALU_DEP_1)
	v_cvt_f32_f16_e32 v117, v7
.LBB320_158:                            ;   in Loop: Header=BB320_13 Depth=1
	s_or_b32 exec_lo, exec_lo, s22
.LBB320_159:                            ;   in Loop: Header=BB320_13 Depth=1
	s_delay_alu instid0(SALU_CYCLE_1)
	s_or_b32 exec_lo, exec_lo, s21
.LBB320_160:                            ;   in Loop: Header=BB320_13 Depth=1
	s_delay_alu instid0(SALU_CYCLE_1) | instskip(SKIP_3) | instid1(VALU_DEP_2)
	s_or_b32 exec_lo, exec_lo, s20
	v_lshrrev_b32_e32 v129, 16, v128
	v_mov_b32_e32 v119, 0
	s_mov_b32 s20, exec_lo
	v_dual_mov_b32 v118, 0 :: v_dual_and_b32 v7, 0xff, v129
	s_delay_alu instid0(VALU_DEP_1)
	v_cmpx_ne_u16_e32 0, v7
	s_cbranch_execz .LBB320_168
; %bb.161:                              ;   in Loop: Header=BB320_13 Depth=1
	v_bfrev_b32_e32 v119, 1
	s_mov_b32 s21, exec_lo
	v_cmpx_ne_u16_e32 0x80, v7
	s_cbranch_execz .LBB320_167
; %bb.162:                              ;   in Loop: Header=BB320_13 Depth=1
	v_bfe_u32 v130, v128, 16, 7
	v_mov_b32_e32 v119, 0x7fc02000
	s_mov_b32 s22, exec_lo
	s_delay_alu instid0(VALU_DEP_2)
	v_cmpx_ne_u32_e32 0x7f, v130
	s_cbranch_execz .LBB320_166
; %bb.163:                              ;   in Loop: Header=BB320_13 Depth=1
	v_and_b32_e32 v7, 7, v129
	v_lshrrev_b32_e32 v119, 3, v130
	s_mov_b32 s23, exec_lo
	v_cmpx_gt_u32_e32 8, v130
; %bb.164:                              ;   in Loop: Header=BB320_13 Depth=1
	s_delay_alu instid0(VALU_DEP_3) | instskip(NEXT) | instid1(VALU_DEP_1)
	v_clz_i32_u32_e32 v119, v7
	v_min_u32_e32 v119, 32, v119
	s_delay_alu instid0(VALU_DEP_1) | instskip(SKIP_1) | instid1(VALU_DEP_2)
	v_subrev_nc_u32_e32 v130, 28, v119
	v_sub_nc_u32_e32 v119, 29, v119
	v_lshlrev_b64 v[130:131], v130, v[7:8]
	s_delay_alu instid0(VALU_DEP_1)
	v_and_b32_e32 v7, 7, v130
; %bb.165:                              ;   in Loop: Header=BB320_13 Depth=1
	s_or_b32 exec_lo, exec_lo, s23
	v_lshlrev_b32_e32 v129, 8, v129
	v_lshl_add_u32 v119, v119, 10, 0x2000
	s_delay_alu instid0(VALU_DEP_1) | instskip(NEXT) | instid1(VALU_DEP_1)
	v_and_or_b32 v119, 0x8000, v129, v119
	v_lshl_or_b32 v7, v7, 7, v119
	s_delay_alu instid0(VALU_DEP_1)
	v_cvt_f32_f16_e32 v119, v7
.LBB320_166:                            ;   in Loop: Header=BB320_13 Depth=1
	s_or_b32 exec_lo, exec_lo, s22
.LBB320_167:                            ;   in Loop: Header=BB320_13 Depth=1
	s_delay_alu instid0(SALU_CYCLE_1)
	s_or_b32 exec_lo, exec_lo, s21
.LBB320_168:                            ;   in Loop: Header=BB320_13 Depth=1
	s_delay_alu instid0(SALU_CYCLE_1) | instskip(NEXT) | instid1(SALU_CYCLE_1)
	s_or_b32 exec_lo, exec_lo, s20
	s_mov_b32 s20, exec_lo
	v_cmpx_lt_u32_e32 0xffffff, v128
	s_cbranch_execz .LBB320_176
; %bb.169:                              ;   in Loop: Header=BB320_13 Depth=1
	v_lshrrev_b32_e32 v128, 24, v128
	v_bfrev_b32_e32 v118, 1
	s_mov_b32 s21, exec_lo
	s_delay_alu instid0(VALU_DEP_2)
	v_cmpx_ne_u32_e32 0x80, v128
	s_cbranch_execz .LBB320_175
; %bb.170:                              ;   in Loop: Header=BB320_13 Depth=1
	v_and_b32_e32 v129, 0x7f, v128
	v_mov_b32_e32 v118, 0x7fc02000
	s_mov_b32 s22, exec_lo
	s_delay_alu instid0(VALU_DEP_2)
	v_cmpx_ne_u32_e32 0x7f, v129
	s_cbranch_execz .LBB320_174
; %bb.171:                              ;   in Loop: Header=BB320_13 Depth=1
	v_and_b32_e32 v7, 7, v128
	v_lshrrev_b32_e32 v118, 3, v129
	s_mov_b32 s23, exec_lo
	v_cmpx_gt_u32_e32 8, v129
; %bb.172:                              ;   in Loop: Header=BB320_13 Depth=1
	s_delay_alu instid0(VALU_DEP_3) | instskip(NEXT) | instid1(VALU_DEP_1)
	v_clz_i32_u32_e32 v118, v7
	v_min_u32_e32 v118, 32, v118
	s_delay_alu instid0(VALU_DEP_1) | instskip(SKIP_1) | instid1(VALU_DEP_2)
	v_subrev_nc_u32_e32 v129, 28, v118
	v_sub_nc_u32_e32 v118, 29, v118
	v_lshlrev_b64 v[129:130], v129, v[7:8]
	s_delay_alu instid0(VALU_DEP_1)
	v_and_b32_e32 v7, 7, v129
; %bb.173:                              ;   in Loop: Header=BB320_13 Depth=1
	s_or_b32 exec_lo, exec_lo, s23
	v_lshlrev_b32_e32 v128, 8, v128
	v_lshl_add_u32 v118, v118, 10, 0x2000
	s_delay_alu instid0(VALU_DEP_1) | instskip(NEXT) | instid1(VALU_DEP_1)
	v_and_or_b32 v118, 0x8000, v128, v118
	v_lshl_or_b32 v7, v7, 7, v118
	s_delay_alu instid0(VALU_DEP_1)
	v_cvt_f32_f16_e32 v118, v7
.LBB320_174:                            ;   in Loop: Header=BB320_13 Depth=1
	s_or_b32 exec_lo, exec_lo, s22
.LBB320_175:                            ;   in Loop: Header=BB320_13 Depth=1
	s_delay_alu instid0(SALU_CYCLE_1)
	s_or_b32 exec_lo, exec_lo, s21
.LBB320_176:                            ;   in Loop: Header=BB320_13 Depth=1
	s_delay_alu instid0(SALU_CYCLE_1)
	s_or_b32 exec_lo, exec_lo, s20
	flat_load_b32 v132, v[31:32] offset:520
	v_mov_b32_e32 v129, 0
	s_mov_b32 s20, exec_lo
	s_waitcnt vmcnt(0) lgkmcnt(0)
	v_dual_mov_b32 v128, 0 :: v_dual_and_b32 v7, 0xff, v132
	s_delay_alu instid0(VALU_DEP_1)
	v_cmpx_ne_u16_e32 0, v7
	s_cbranch_execz .LBB320_184
; %bb.177:                              ;   in Loop: Header=BB320_13 Depth=1
	v_bfrev_b32_e32 v128, 1
	s_mov_b32 s21, exec_lo
	v_cmpx_ne_u16_e32 0x80, v7
	s_cbranch_execz .LBB320_183
; %bb.178:                              ;   in Loop: Header=BB320_13 Depth=1
	v_and_b32_e32 v130, 0x7f, v132
	v_mov_b32_e32 v128, 0x7fc02000
	s_mov_b32 s22, exec_lo
	s_delay_alu instid0(VALU_DEP_2)
	v_cmpx_ne_u32_e32 0x7f, v130
	s_cbranch_execz .LBB320_182
; %bb.179:                              ;   in Loop: Header=BB320_13 Depth=1
	v_and_b32_e32 v7, 7, v132
	v_lshrrev_b32_e32 v128, 3, v130
	s_mov_b32 s23, exec_lo
	v_cmpx_gt_u32_e32 8, v130
; %bb.180:                              ;   in Loop: Header=BB320_13 Depth=1
	s_delay_alu instid0(VALU_DEP_3) | instskip(NEXT) | instid1(VALU_DEP_1)
	v_clz_i32_u32_e32 v128, v7
	v_min_u32_e32 v128, 32, v128
	s_delay_alu instid0(VALU_DEP_1) | instskip(SKIP_1) | instid1(VALU_DEP_2)
	v_subrev_nc_u32_e32 v130, 28, v128
	v_sub_nc_u32_e32 v128, 29, v128
	v_lshlrev_b64 v[130:131], v130, v[7:8]
	s_delay_alu instid0(VALU_DEP_1)
	v_and_b32_e32 v7, 7, v130
; %bb.181:                              ;   in Loop: Header=BB320_13 Depth=1
	s_or_b32 exec_lo, exec_lo, s23
	v_lshlrev_b32_e32 v130, 8, v132
	v_lshl_add_u32 v128, v128, 10, 0x2000
	s_delay_alu instid0(VALU_DEP_1) | instskip(NEXT) | instid1(VALU_DEP_1)
	v_and_or_b32 v128, 0x8000, v130, v128
	v_lshl_or_b32 v7, v7, 7, v128
	s_delay_alu instid0(VALU_DEP_1)
	v_cvt_f32_f16_e64 v128, v7
.LBB320_182:                            ;   in Loop: Header=BB320_13 Depth=1
	s_or_b32 exec_lo, exec_lo, s22
.LBB320_183:                            ;   in Loop: Header=BB320_13 Depth=1
	s_delay_alu instid0(SALU_CYCLE_1)
	s_or_b32 exec_lo, exec_lo, s21
.LBB320_184:                            ;   in Loop: Header=BB320_13 Depth=1
	s_delay_alu instid0(SALU_CYCLE_1) | instskip(SKIP_2) | instid1(VALU_DEP_1)
	s_or_b32 exec_lo, exec_lo, s20
	v_lshrrev_b16 v7, 8, v132
	s_mov_b32 s20, exec_lo
	v_cmpx_ne_u16_e32 0, v7
	s_cbranch_execz .LBB320_192
; %bb.185:                              ;   in Loop: Header=BB320_13 Depth=1
	v_bfrev_b32_e32 v129, 1
	s_mov_b32 s21, exec_lo
	v_cmpx_ne_u16_e32 0x80, v7
	s_cbranch_execz .LBB320_191
; %bb.186:                              ;   in Loop: Header=BB320_13 Depth=1
	v_and_b32_e32 v130, 0xffff, v7
	v_mov_b32_e32 v129, 0x7fc02000
	s_mov_b32 s22, exec_lo
	s_delay_alu instid0(VALU_DEP_2) | instskip(NEXT) | instid1(VALU_DEP_1)
	v_and_b32_e32 v131, 0x7f, v130
	v_cmpx_ne_u32_e32 0x7f, v131
	s_cbranch_execz .LBB320_190
; %bb.187:                              ;   in Loop: Header=BB320_13 Depth=1
	v_and_b32_e32 v7, 7, v130
	v_lshrrev_b32_e32 v129, 3, v131
	s_mov_b32 s23, exec_lo
	v_cmpx_gt_u32_e32 8, v131
; %bb.188:                              ;   in Loop: Header=BB320_13 Depth=1
	s_delay_alu instid0(VALU_DEP_3) | instskip(NEXT) | instid1(VALU_DEP_1)
	v_clz_i32_u32_e32 v129, v7
	v_min_u32_e32 v129, 32, v129
	s_delay_alu instid0(VALU_DEP_1) | instskip(SKIP_1) | instid1(VALU_DEP_2)
	v_subrev_nc_u32_e32 v131, 28, v129
	v_sub_nc_u32_e32 v129, 29, v129
	v_lshlrev_b64 v[133:134], v131, v[7:8]
	s_delay_alu instid0(VALU_DEP_1)
	v_and_b32_e32 v7, 7, v133
; %bb.189:                              ;   in Loop: Header=BB320_13 Depth=1
	s_or_b32 exec_lo, exec_lo, s23
	v_lshlrev_b32_e32 v130, 8, v130
	v_lshl_add_u32 v129, v129, 10, 0x2000
	s_delay_alu instid0(VALU_DEP_1) | instskip(NEXT) | instid1(VALU_DEP_1)
	v_and_or_b32 v129, 0x8000, v130, v129
	v_lshl_or_b32 v7, v7, 7, v129
	s_delay_alu instid0(VALU_DEP_1)
	v_cvt_f32_f16_e64 v129, v7
.LBB320_190:                            ;   in Loop: Header=BB320_13 Depth=1
	s_or_b32 exec_lo, exec_lo, s22
.LBB320_191:                            ;   in Loop: Header=BB320_13 Depth=1
	s_delay_alu instid0(SALU_CYCLE_1)
	s_or_b32 exec_lo, exec_lo, s21
.LBB320_192:                            ;   in Loop: Header=BB320_13 Depth=1
	s_delay_alu instid0(SALU_CYCLE_1) | instskip(SKIP_3) | instid1(VALU_DEP_2)
	s_or_b32 exec_lo, exec_lo, s20
	v_lshrrev_b32_e32 v133, 16, v132
	v_mov_b32_e32 v131, 0
	s_mov_b32 s20, exec_lo
	v_dual_mov_b32 v130, 0 :: v_dual_and_b32 v7, 0xff, v133
	s_delay_alu instid0(VALU_DEP_1)
	v_cmpx_ne_u16_e32 0, v7
	s_cbranch_execz .LBB320_200
; %bb.193:                              ;   in Loop: Header=BB320_13 Depth=1
	v_bfrev_b32_e32 v131, 1
	s_mov_b32 s21, exec_lo
	v_cmpx_ne_u16_e32 0x80, v7
	s_cbranch_execz .LBB320_199
; %bb.194:                              ;   in Loop: Header=BB320_13 Depth=1
	v_bfe_u32 v134, v132, 16, 7
	v_mov_b32_e32 v131, 0x7fc02000
	s_mov_b32 s22, exec_lo
	s_delay_alu instid0(VALU_DEP_2)
	v_cmpx_ne_u32_e32 0x7f, v134
	s_cbranch_execz .LBB320_198
; %bb.195:                              ;   in Loop: Header=BB320_13 Depth=1
	v_and_b32_e32 v7, 7, v133
	v_lshrrev_b32_e32 v131, 3, v134
	s_mov_b32 s23, exec_lo
	v_cmpx_gt_u32_e32 8, v134
; %bb.196:                              ;   in Loop: Header=BB320_13 Depth=1
	s_delay_alu instid0(VALU_DEP_3) | instskip(NEXT) | instid1(VALU_DEP_1)
	v_clz_i32_u32_e32 v131, v7
	v_min_u32_e32 v131, 32, v131
	s_delay_alu instid0(VALU_DEP_1) | instskip(SKIP_1) | instid1(VALU_DEP_2)
	v_subrev_nc_u32_e32 v134, 28, v131
	v_sub_nc_u32_e32 v131, 29, v131
	v_lshlrev_b64 v[134:135], v134, v[7:8]
	s_delay_alu instid0(VALU_DEP_1)
	v_and_b32_e32 v7, 7, v134
; %bb.197:                              ;   in Loop: Header=BB320_13 Depth=1
	s_or_b32 exec_lo, exec_lo, s23
	v_lshlrev_b32_e32 v133, 8, v133
	v_lshl_add_u32 v131, v131, 10, 0x2000
	s_delay_alu instid0(VALU_DEP_1) | instskip(NEXT) | instid1(VALU_DEP_1)
	v_and_or_b32 v131, 0x8000, v133, v131
	v_lshl_or_b32 v7, v7, 7, v131
	s_delay_alu instid0(VALU_DEP_1)
	v_cvt_f32_f16_e64 v131, v7
.LBB320_198:                            ;   in Loop: Header=BB320_13 Depth=1
	s_or_b32 exec_lo, exec_lo, s22
.LBB320_199:                            ;   in Loop: Header=BB320_13 Depth=1
	s_delay_alu instid0(SALU_CYCLE_1)
	s_or_b32 exec_lo, exec_lo, s21
.LBB320_200:                            ;   in Loop: Header=BB320_13 Depth=1
	s_delay_alu instid0(SALU_CYCLE_1) | instskip(NEXT) | instid1(SALU_CYCLE_1)
	s_or_b32 exec_lo, exec_lo, s20
	s_mov_b32 s20, exec_lo
	v_cmpx_lt_u32_e32 0xffffff, v132
	s_cbranch_execz .LBB320_208
; %bb.201:                              ;   in Loop: Header=BB320_13 Depth=1
	v_lshrrev_b32_e32 v132, 24, v132
	v_bfrev_b32_e32 v130, 1
	s_mov_b32 s21, exec_lo
	s_delay_alu instid0(VALU_DEP_2)
	v_cmpx_ne_u32_e32 0x80, v132
	s_cbranch_execz .LBB320_207
; %bb.202:                              ;   in Loop: Header=BB320_13 Depth=1
	v_and_b32_e32 v133, 0x7f, v132
	v_mov_b32_e32 v130, 0x7fc02000
	s_mov_b32 s22, exec_lo
	s_delay_alu instid0(VALU_DEP_2)
	v_cmpx_ne_u32_e32 0x7f, v133
	s_cbranch_execz .LBB320_206
; %bb.203:                              ;   in Loop: Header=BB320_13 Depth=1
	v_and_b32_e32 v7, 7, v132
	v_lshrrev_b32_e32 v130, 3, v133
	s_mov_b32 s23, exec_lo
	v_cmpx_gt_u32_e32 8, v133
; %bb.204:                              ;   in Loop: Header=BB320_13 Depth=1
	s_delay_alu instid0(VALU_DEP_3) | instskip(NEXT) | instid1(VALU_DEP_1)
	v_clz_i32_u32_e32 v130, v7
	v_min_u32_e32 v130, 32, v130
	s_delay_alu instid0(VALU_DEP_1) | instskip(SKIP_1) | instid1(VALU_DEP_2)
	v_subrev_nc_u32_e32 v133, 28, v130
	v_sub_nc_u32_e32 v130, 29, v130
	v_lshlrev_b64 v[133:134], v133, v[7:8]
	s_delay_alu instid0(VALU_DEP_1)
	v_and_b32_e32 v7, 7, v133
; %bb.205:                              ;   in Loop: Header=BB320_13 Depth=1
	s_or_b32 exec_lo, exec_lo, s23
	v_lshlrev_b32_e32 v132, 8, v132
	v_lshl_add_u32 v130, v130, 10, 0x2000
	s_delay_alu instid0(VALU_DEP_1) | instskip(NEXT) | instid1(VALU_DEP_1)
	v_and_or_b32 v130, 0x8000, v132, v130
	v_lshl_or_b32 v7, v7, 7, v130
	s_delay_alu instid0(VALU_DEP_1)
	v_cvt_f32_f16_e64 v130, v7
.LBB320_206:                            ;   in Loop: Header=BB320_13 Depth=1
	s_or_b32 exec_lo, exec_lo, s22
.LBB320_207:                            ;   in Loop: Header=BB320_13 Depth=1
	s_delay_alu instid0(SALU_CYCLE_1)
	s_or_b32 exec_lo, exec_lo, s21
.LBB320_208:                            ;   in Loop: Header=BB320_13 Depth=1
	s_delay_alu instid0(SALU_CYCLE_1)
	s_or_b32 exec_lo, exec_lo, s20
	flat_load_b32 v144, v[31:32] offset:768
	v_mov_b32_e32 v133, 0
	s_mov_b32 s20, exec_lo
	s_waitcnt vmcnt(0) lgkmcnt(0)
	v_dual_mov_b32 v132, 0 :: v_dual_and_b32 v7, 0xff, v144
	s_delay_alu instid0(VALU_DEP_1)
	v_cmpx_ne_u16_e32 0, v7
	s_cbranch_execz .LBB320_216
; %bb.209:                              ;   in Loop: Header=BB320_13 Depth=1
	v_bfrev_b32_e32 v132, 1
	s_mov_b32 s21, exec_lo
	v_cmpx_ne_u16_e32 0x80, v7
	s_cbranch_execz .LBB320_215
; %bb.210:                              ;   in Loop: Header=BB320_13 Depth=1
	v_and_b32_e32 v134, 0x7f, v144
	v_mov_b32_e32 v132, 0x7fc02000
	s_mov_b32 s22, exec_lo
	s_delay_alu instid0(VALU_DEP_2)
	v_cmpx_ne_u32_e32 0x7f, v134
	s_cbranch_execz .LBB320_214
; %bb.211:                              ;   in Loop: Header=BB320_13 Depth=1
	v_and_b32_e32 v7, 7, v144
	v_lshrrev_b32_e32 v132, 3, v134
	s_mov_b32 s23, exec_lo
	v_cmpx_gt_u32_e32 8, v134
; %bb.212:                              ;   in Loop: Header=BB320_13 Depth=1
	s_delay_alu instid0(VALU_DEP_3) | instskip(NEXT) | instid1(VALU_DEP_1)
	v_clz_i32_u32_e32 v132, v7
	v_min_u32_e32 v132, 32, v132
	s_delay_alu instid0(VALU_DEP_1) | instskip(SKIP_1) | instid1(VALU_DEP_2)
	v_subrev_nc_u32_e32 v134, 28, v132
	v_sub_nc_u32_e32 v132, 29, v132
	v_lshlrev_b64 v[134:135], v134, v[7:8]
	s_delay_alu instid0(VALU_DEP_1)
	v_and_b32_e32 v7, 7, v134
; %bb.213:                              ;   in Loop: Header=BB320_13 Depth=1
	s_or_b32 exec_lo, exec_lo, s23
	v_lshlrev_b32_e32 v134, 8, v144
	v_lshl_add_u32 v132, v132, 10, 0x2000
	s_delay_alu instid0(VALU_DEP_1) | instskip(NEXT) | instid1(VALU_DEP_1)
	v_and_or_b32 v132, 0x8000, v134, v132
	v_lshl_or_b32 v7, v7, 7, v132
	s_delay_alu instid0(VALU_DEP_1)
	v_cvt_f32_f16_e64 v132, v7
.LBB320_214:                            ;   in Loop: Header=BB320_13 Depth=1
	s_or_b32 exec_lo, exec_lo, s22
.LBB320_215:                            ;   in Loop: Header=BB320_13 Depth=1
	s_delay_alu instid0(SALU_CYCLE_1)
	s_or_b32 exec_lo, exec_lo, s21
.LBB320_216:                            ;   in Loop: Header=BB320_13 Depth=1
	s_delay_alu instid0(SALU_CYCLE_1) | instskip(SKIP_2) | instid1(VALU_DEP_1)
	s_or_b32 exec_lo, exec_lo, s20
	v_lshrrev_b16 v7, 8, v144
	s_mov_b32 s20, exec_lo
	v_cmpx_ne_u16_e32 0, v7
	s_cbranch_execz .LBB320_224
; %bb.217:                              ;   in Loop: Header=BB320_13 Depth=1
	v_bfrev_b32_e32 v133, 1
	s_mov_b32 s21, exec_lo
	v_cmpx_ne_u16_e32 0x80, v7
	s_cbranch_execz .LBB320_223
; %bb.218:                              ;   in Loop: Header=BB320_13 Depth=1
	v_and_b32_e32 v134, 0xffff, v7
	v_mov_b32_e32 v133, 0x7fc02000
	s_mov_b32 s22, exec_lo
	s_delay_alu instid0(VALU_DEP_2) | instskip(NEXT) | instid1(VALU_DEP_1)
	v_and_b32_e32 v135, 0x7f, v134
	v_cmpx_ne_u32_e32 0x7f, v135
	s_cbranch_execz .LBB320_222
; %bb.219:                              ;   in Loop: Header=BB320_13 Depth=1
	v_and_b32_e32 v7, 7, v134
	v_lshrrev_b32_e32 v133, 3, v135
	s_mov_b32 s23, exec_lo
	v_cmpx_gt_u32_e32 8, v135
; %bb.220:                              ;   in Loop: Header=BB320_13 Depth=1
	s_delay_alu instid0(VALU_DEP_3) | instskip(NEXT) | instid1(VALU_DEP_1)
	v_clz_i32_u32_e32 v133, v7
	v_min_u32_e32 v133, 32, v133
	s_delay_alu instid0(VALU_DEP_1) | instskip(SKIP_1) | instid1(VALU_DEP_2)
	v_subrev_nc_u32_e32 v135, 28, v133
	v_sub_nc_u32_e32 v133, 29, v133
	v_lshlrev_b64 v[145:146], v135, v[7:8]
	s_delay_alu instid0(VALU_DEP_1)
	v_and_b32_e32 v7, 7, v145
; %bb.221:                              ;   in Loop: Header=BB320_13 Depth=1
	s_or_b32 exec_lo, exec_lo, s23
	v_lshlrev_b32_e32 v134, 8, v134
	v_lshl_add_u32 v133, v133, 10, 0x2000
	s_delay_alu instid0(VALU_DEP_1) | instskip(NEXT) | instid1(VALU_DEP_1)
	v_and_or_b32 v133, 0x8000, v134, v133
	v_lshl_or_b32 v7, v7, 7, v133
	s_delay_alu instid0(VALU_DEP_1)
	v_cvt_f32_f16_e64 v133, v7
.LBB320_222:                            ;   in Loop: Header=BB320_13 Depth=1
	s_or_b32 exec_lo, exec_lo, s22
.LBB320_223:                            ;   in Loop: Header=BB320_13 Depth=1
	s_delay_alu instid0(SALU_CYCLE_1)
	s_or_b32 exec_lo, exec_lo, s21
.LBB320_224:                            ;   in Loop: Header=BB320_13 Depth=1
	s_delay_alu instid0(SALU_CYCLE_1) | instskip(SKIP_3) | instid1(VALU_DEP_2)
	s_or_b32 exec_lo, exec_lo, s20
	v_lshrrev_b32_e32 v145, 16, v144
	v_mov_b32_e32 v135, 0
	s_mov_b32 s20, exec_lo
	v_dual_mov_b32 v134, 0 :: v_dual_and_b32 v7, 0xff, v145
	s_delay_alu instid0(VALU_DEP_1)
	v_cmpx_ne_u16_e32 0, v7
	s_cbranch_execz .LBB320_232
; %bb.225:                              ;   in Loop: Header=BB320_13 Depth=1
	v_bfrev_b32_e32 v135, 1
	s_mov_b32 s21, exec_lo
	v_cmpx_ne_u16_e32 0x80, v7
	s_cbranch_execz .LBB320_231
; %bb.226:                              ;   in Loop: Header=BB320_13 Depth=1
	v_bfe_u32 v146, v144, 16, 7
	v_mov_b32_e32 v135, 0x7fc02000
	s_mov_b32 s22, exec_lo
	s_delay_alu instid0(VALU_DEP_2)
	v_cmpx_ne_u32_e32 0x7f, v146
	s_cbranch_execz .LBB320_230
; %bb.227:                              ;   in Loop: Header=BB320_13 Depth=1
	v_and_b32_e32 v7, 7, v145
	v_lshrrev_b32_e32 v135, 3, v146
	s_mov_b32 s23, exec_lo
	v_cmpx_gt_u32_e32 8, v146
; %bb.228:                              ;   in Loop: Header=BB320_13 Depth=1
	s_delay_alu instid0(VALU_DEP_3) | instskip(NEXT) | instid1(VALU_DEP_1)
	v_clz_i32_u32_e32 v135, v7
	v_min_u32_e32 v135, 32, v135
	s_delay_alu instid0(VALU_DEP_1) | instskip(SKIP_1) | instid1(VALU_DEP_2)
	v_subrev_nc_u32_e32 v146, 28, v135
	v_sub_nc_u32_e32 v135, 29, v135
	v_lshlrev_b64 v[146:147], v146, v[7:8]
	s_delay_alu instid0(VALU_DEP_1)
	v_and_b32_e32 v7, 7, v146
; %bb.229:                              ;   in Loop: Header=BB320_13 Depth=1
	s_or_b32 exec_lo, exec_lo, s23
	v_lshlrev_b32_e32 v145, 8, v145
	v_lshl_add_u32 v135, v135, 10, 0x2000
	s_delay_alu instid0(VALU_DEP_1) | instskip(NEXT) | instid1(VALU_DEP_1)
	v_and_or_b32 v135, 0x8000, v145, v135
	v_lshl_or_b32 v7, v7, 7, v135
	s_delay_alu instid0(VALU_DEP_1)
	v_cvt_f32_f16_e64 v135, v7
.LBB320_230:                            ;   in Loop: Header=BB320_13 Depth=1
	s_or_b32 exec_lo, exec_lo, s22
.LBB320_231:                            ;   in Loop: Header=BB320_13 Depth=1
	s_delay_alu instid0(SALU_CYCLE_1)
	s_or_b32 exec_lo, exec_lo, s21
.LBB320_232:                            ;   in Loop: Header=BB320_13 Depth=1
	s_delay_alu instid0(SALU_CYCLE_1) | instskip(NEXT) | instid1(SALU_CYCLE_1)
	s_or_b32 exec_lo, exec_lo, s20
	s_mov_b32 s20, exec_lo
	v_cmpx_lt_u32_e32 0xffffff, v144
	s_cbranch_execz .LBB320_240
; %bb.233:                              ;   in Loop: Header=BB320_13 Depth=1
	v_lshrrev_b32_e32 v144, 24, v144
	v_bfrev_b32_e32 v134, 1
	s_mov_b32 s21, exec_lo
	s_delay_alu instid0(VALU_DEP_2)
	v_cmpx_ne_u32_e32 0x80, v144
	s_cbranch_execz .LBB320_239
; %bb.234:                              ;   in Loop: Header=BB320_13 Depth=1
	v_and_b32_e32 v145, 0x7f, v144
	v_mov_b32_e32 v134, 0x7fc02000
	s_mov_b32 s22, exec_lo
	s_delay_alu instid0(VALU_DEP_2)
	v_cmpx_ne_u32_e32 0x7f, v145
	s_cbranch_execz .LBB320_238
; %bb.235:                              ;   in Loop: Header=BB320_13 Depth=1
	v_and_b32_e32 v7, 7, v144
	v_lshrrev_b32_e32 v134, 3, v145
	s_mov_b32 s23, exec_lo
	v_cmpx_gt_u32_e32 8, v145
; %bb.236:                              ;   in Loop: Header=BB320_13 Depth=1
	s_delay_alu instid0(VALU_DEP_3) | instskip(NEXT) | instid1(VALU_DEP_1)
	v_clz_i32_u32_e32 v134, v7
	v_min_u32_e32 v134, 32, v134
	s_delay_alu instid0(VALU_DEP_1) | instskip(SKIP_1) | instid1(VALU_DEP_2)
	v_subrev_nc_u32_e32 v145, 28, v134
	v_sub_nc_u32_e32 v134, 29, v134
	v_lshlrev_b64 v[145:146], v145, v[7:8]
	s_delay_alu instid0(VALU_DEP_1)
	v_and_b32_e32 v7, 7, v145
; %bb.237:                              ;   in Loop: Header=BB320_13 Depth=1
	s_or_b32 exec_lo, exec_lo, s23
	v_lshlrev_b32_e32 v144, 8, v144
	v_lshl_add_u32 v134, v134, 10, 0x2000
	s_delay_alu instid0(VALU_DEP_1) | instskip(NEXT) | instid1(VALU_DEP_1)
	v_and_or_b32 v134, 0x8000, v144, v134
	v_lshl_or_b32 v7, v7, 7, v134
	s_delay_alu instid0(VALU_DEP_1)
	v_cvt_f32_f16_e64 v134, v7
.LBB320_238:                            ;   in Loop: Header=BB320_13 Depth=1
	s_or_b32 exec_lo, exec_lo, s22
.LBB320_239:                            ;   in Loop: Header=BB320_13 Depth=1
	s_delay_alu instid0(SALU_CYCLE_1)
	s_or_b32 exec_lo, exec_lo, s21
.LBB320_240:                            ;   in Loop: Header=BB320_13 Depth=1
	s_delay_alu instid0(SALU_CYCLE_1)
	s_or_b32 exec_lo, exec_lo, s20
	flat_load_b32 v148, v[31:32] offset:776
	v_mov_b32_e32 v145, 0
	s_mov_b32 s20, exec_lo
	s_waitcnt vmcnt(0) lgkmcnt(0)
	v_dual_mov_b32 v144, 0 :: v_dual_and_b32 v7, 0xff, v148
	s_delay_alu instid0(VALU_DEP_1)
	v_cmpx_ne_u16_e32 0, v7
	s_cbranch_execz .LBB320_248
; %bb.241:                              ;   in Loop: Header=BB320_13 Depth=1
	v_bfrev_b32_e32 v144, 1
	s_mov_b32 s21, exec_lo
	v_cmpx_ne_u16_e32 0x80, v7
	s_cbranch_execz .LBB320_247
; %bb.242:                              ;   in Loop: Header=BB320_13 Depth=1
	v_and_b32_e32 v146, 0x7f, v148
	v_mov_b32_e32 v144, 0x7fc02000
	s_mov_b32 s22, exec_lo
	s_delay_alu instid0(VALU_DEP_2)
	v_cmpx_ne_u32_e32 0x7f, v146
	s_cbranch_execz .LBB320_246
; %bb.243:                              ;   in Loop: Header=BB320_13 Depth=1
	v_and_b32_e32 v7, 7, v148
	v_lshrrev_b32_e32 v144, 3, v146
	s_mov_b32 s23, exec_lo
	v_cmpx_gt_u32_e32 8, v146
; %bb.244:                              ;   in Loop: Header=BB320_13 Depth=1
	s_delay_alu instid0(VALU_DEP_3) | instskip(NEXT) | instid1(VALU_DEP_1)
	v_clz_i32_u32_e32 v144, v7
	v_min_u32_e32 v144, 32, v144
	s_delay_alu instid0(VALU_DEP_1) | instskip(SKIP_1) | instid1(VALU_DEP_2)
	v_subrev_nc_u32_e32 v146, 28, v144
	v_sub_nc_u32_e32 v144, 29, v144
	v_lshlrev_b64 v[146:147], v146, v[7:8]
	s_delay_alu instid0(VALU_DEP_1)
	v_and_b32_e32 v7, 7, v146
; %bb.245:                              ;   in Loop: Header=BB320_13 Depth=1
	s_or_b32 exec_lo, exec_lo, s23
	v_lshlrev_b32_e32 v146, 8, v148
	v_lshl_add_u32 v144, v144, 10, 0x2000
	s_delay_alu instid0(VALU_DEP_1) | instskip(NEXT) | instid1(VALU_DEP_1)
	v_and_or_b32 v144, 0x8000, v146, v144
	v_lshl_or_b32 v7, v7, 7, v144
	s_delay_alu instid0(VALU_DEP_1)
	v_cvt_f32_f16_e64 v144, v7
.LBB320_246:                            ;   in Loop: Header=BB320_13 Depth=1
	s_or_b32 exec_lo, exec_lo, s22
.LBB320_247:                            ;   in Loop: Header=BB320_13 Depth=1
	s_delay_alu instid0(SALU_CYCLE_1)
	s_or_b32 exec_lo, exec_lo, s21
.LBB320_248:                            ;   in Loop: Header=BB320_13 Depth=1
	s_delay_alu instid0(SALU_CYCLE_1) | instskip(SKIP_2) | instid1(VALU_DEP_1)
	s_or_b32 exec_lo, exec_lo, s20
	v_lshrrev_b16 v7, 8, v148
	s_mov_b32 s20, exec_lo
	v_cmpx_ne_u16_e32 0, v7
	s_cbranch_execz .LBB320_256
; %bb.249:                              ;   in Loop: Header=BB320_13 Depth=1
	v_bfrev_b32_e32 v145, 1
	s_mov_b32 s21, exec_lo
	v_cmpx_ne_u16_e32 0x80, v7
	s_cbranch_execz .LBB320_255
; %bb.250:                              ;   in Loop: Header=BB320_13 Depth=1
	v_and_b32_e32 v146, 0xffff, v7
	v_mov_b32_e32 v145, 0x7fc02000
	s_mov_b32 s22, exec_lo
	s_delay_alu instid0(VALU_DEP_2) | instskip(NEXT) | instid1(VALU_DEP_1)
	v_and_b32_e32 v147, 0x7f, v146
	v_cmpx_ne_u32_e32 0x7f, v147
	s_cbranch_execz .LBB320_254
; %bb.251:                              ;   in Loop: Header=BB320_13 Depth=1
	v_and_b32_e32 v7, 7, v146
	v_lshrrev_b32_e32 v145, 3, v147
	s_mov_b32 s23, exec_lo
	v_cmpx_gt_u32_e32 8, v147
; %bb.252:                              ;   in Loop: Header=BB320_13 Depth=1
	s_delay_alu instid0(VALU_DEP_3) | instskip(NEXT) | instid1(VALU_DEP_1)
	v_clz_i32_u32_e32 v145, v7
	v_min_u32_e32 v145, 32, v145
	s_delay_alu instid0(VALU_DEP_1) | instskip(SKIP_1) | instid1(VALU_DEP_2)
	v_subrev_nc_u32_e32 v147, 28, v145
	v_sub_nc_u32_e32 v145, 29, v145
	v_lshlrev_b64 v[149:150], v147, v[7:8]
	s_delay_alu instid0(VALU_DEP_1)
	v_and_b32_e32 v7, 7, v149
; %bb.253:                              ;   in Loop: Header=BB320_13 Depth=1
	s_or_b32 exec_lo, exec_lo, s23
	v_lshlrev_b32_e32 v146, 8, v146
	v_lshl_add_u32 v145, v145, 10, 0x2000
	s_delay_alu instid0(VALU_DEP_1) | instskip(NEXT) | instid1(VALU_DEP_1)
	v_and_or_b32 v145, 0x8000, v146, v145
	v_lshl_or_b32 v7, v7, 7, v145
	s_delay_alu instid0(VALU_DEP_1)
	v_cvt_f32_f16_e64 v145, v7
.LBB320_254:                            ;   in Loop: Header=BB320_13 Depth=1
	s_or_b32 exec_lo, exec_lo, s22
.LBB320_255:                            ;   in Loop: Header=BB320_13 Depth=1
	s_delay_alu instid0(SALU_CYCLE_1)
	s_or_b32 exec_lo, exec_lo, s21
.LBB320_256:                            ;   in Loop: Header=BB320_13 Depth=1
	s_delay_alu instid0(SALU_CYCLE_1) | instskip(SKIP_3) | instid1(VALU_DEP_2)
	s_or_b32 exec_lo, exec_lo, s20
	v_lshrrev_b32_e32 v149, 16, v148
	v_mov_b32_e32 v147, 0
	s_mov_b32 s20, exec_lo
	v_dual_mov_b32 v146, 0 :: v_dual_and_b32 v7, 0xff, v149
	s_delay_alu instid0(VALU_DEP_1)
	v_cmpx_ne_u16_e32 0, v7
	s_cbranch_execz .LBB320_264
; %bb.257:                              ;   in Loop: Header=BB320_13 Depth=1
	v_bfrev_b32_e32 v147, 1
	s_mov_b32 s21, exec_lo
	v_cmpx_ne_u16_e32 0x80, v7
	s_cbranch_execz .LBB320_263
; %bb.258:                              ;   in Loop: Header=BB320_13 Depth=1
	v_bfe_u32 v150, v148, 16, 7
	v_mov_b32_e32 v147, 0x7fc02000
	s_mov_b32 s22, exec_lo
	s_delay_alu instid0(VALU_DEP_2)
	v_cmpx_ne_u32_e32 0x7f, v150
	s_cbranch_execz .LBB320_262
; %bb.259:                              ;   in Loop: Header=BB320_13 Depth=1
	v_and_b32_e32 v7, 7, v149
	v_lshrrev_b32_e32 v147, 3, v150
	s_mov_b32 s23, exec_lo
	v_cmpx_gt_u32_e32 8, v150
; %bb.260:                              ;   in Loop: Header=BB320_13 Depth=1
	s_delay_alu instid0(VALU_DEP_3) | instskip(NEXT) | instid1(VALU_DEP_1)
	v_clz_i32_u32_e32 v147, v7
	v_min_u32_e32 v147, 32, v147
	s_delay_alu instid0(VALU_DEP_1) | instskip(SKIP_1) | instid1(VALU_DEP_2)
	v_subrev_nc_u32_e32 v150, 28, v147
	v_sub_nc_u32_e32 v147, 29, v147
	v_lshlrev_b64 v[150:151], v150, v[7:8]
	s_delay_alu instid0(VALU_DEP_1)
	v_and_b32_e32 v7, 7, v150
; %bb.261:                              ;   in Loop: Header=BB320_13 Depth=1
	s_or_b32 exec_lo, exec_lo, s23
	v_lshlrev_b32_e32 v149, 8, v149
	v_lshl_add_u32 v147, v147, 10, 0x2000
	s_delay_alu instid0(VALU_DEP_1) | instskip(NEXT) | instid1(VALU_DEP_1)
	v_and_or_b32 v147, 0x8000, v149, v147
	v_lshl_or_b32 v7, v7, 7, v147
	s_delay_alu instid0(VALU_DEP_1)
	v_cvt_f32_f16_e64 v147, v7
.LBB320_262:                            ;   in Loop: Header=BB320_13 Depth=1
	s_or_b32 exec_lo, exec_lo, s22
.LBB320_263:                            ;   in Loop: Header=BB320_13 Depth=1
	s_delay_alu instid0(SALU_CYCLE_1)
	s_or_b32 exec_lo, exec_lo, s21
.LBB320_264:                            ;   in Loop: Header=BB320_13 Depth=1
	s_delay_alu instid0(SALU_CYCLE_1) | instskip(NEXT) | instid1(SALU_CYCLE_1)
	s_or_b32 exec_lo, exec_lo, s20
	s_mov_b32 s20, exec_lo
	v_cmpx_lt_u32_e32 0xffffff, v148
	s_cbranch_execz .LBB320_272
; %bb.265:                              ;   in Loop: Header=BB320_13 Depth=1
	v_lshrrev_b32_e32 v148, 24, v148
	v_bfrev_b32_e32 v146, 1
	s_mov_b32 s21, exec_lo
	s_delay_alu instid0(VALU_DEP_2)
	v_cmpx_ne_u32_e32 0x80, v148
	s_cbranch_execz .LBB320_271
; %bb.266:                              ;   in Loop: Header=BB320_13 Depth=1
	v_and_b32_e32 v149, 0x7f, v148
	v_mov_b32_e32 v146, 0x7fc02000
	s_mov_b32 s22, exec_lo
	s_delay_alu instid0(VALU_DEP_2)
	v_cmpx_ne_u32_e32 0x7f, v149
	s_cbranch_execz .LBB320_270
; %bb.267:                              ;   in Loop: Header=BB320_13 Depth=1
	v_and_b32_e32 v7, 7, v148
	v_lshrrev_b32_e32 v146, 3, v149
	s_mov_b32 s23, exec_lo
	v_cmpx_gt_u32_e32 8, v149
; %bb.268:                              ;   in Loop: Header=BB320_13 Depth=1
	s_delay_alu instid0(VALU_DEP_3) | instskip(NEXT) | instid1(VALU_DEP_1)
	v_clz_i32_u32_e32 v146, v7
	v_min_u32_e32 v146, 32, v146
	s_delay_alu instid0(VALU_DEP_1) | instskip(SKIP_1) | instid1(VALU_DEP_2)
	v_subrev_nc_u32_e32 v149, 28, v146
	v_sub_nc_u32_e32 v146, 29, v146
	v_lshlrev_b64 v[149:150], v149, v[7:8]
	s_delay_alu instid0(VALU_DEP_1)
	v_and_b32_e32 v7, 7, v149
; %bb.269:                              ;   in Loop: Header=BB320_13 Depth=1
	s_or_b32 exec_lo, exec_lo, s23
	v_lshlrev_b32_e32 v148, 8, v148
	v_lshl_add_u32 v146, v146, 10, 0x2000
	s_delay_alu instid0(VALU_DEP_1) | instskip(NEXT) | instid1(VALU_DEP_1)
	v_and_or_b32 v146, 0x8000, v148, v146
	v_lshl_or_b32 v7, v7, 7, v146
	s_delay_alu instid0(VALU_DEP_1)
	v_cvt_f32_f16_e64 v146, v7
.LBB320_270:                            ;   in Loop: Header=BB320_13 Depth=1
	s_or_b32 exec_lo, exec_lo, s22
.LBB320_271:                            ;   in Loop: Header=BB320_13 Depth=1
	s_delay_alu instid0(SALU_CYCLE_1)
	s_or_b32 exec_lo, exec_lo, s21
.LBB320_272:                            ;   in Loop: Header=BB320_13 Depth=1
	s_delay_alu instid0(SALU_CYCLE_1)
	s_or_b32 exec_lo, exec_lo, s20
	flat_load_b32 v160, v[31:32] offset:1024
	v_mov_b32_e32 v149, 0
	s_mov_b32 s20, exec_lo
	s_waitcnt vmcnt(0) lgkmcnt(0)
	v_dual_mov_b32 v148, 0 :: v_dual_and_b32 v7, 0xff, v160
	s_delay_alu instid0(VALU_DEP_1)
	v_cmpx_ne_u16_e32 0, v7
	s_cbranch_execz .LBB320_280
; %bb.273:                              ;   in Loop: Header=BB320_13 Depth=1
	v_bfrev_b32_e32 v148, 1
	s_mov_b32 s21, exec_lo
	v_cmpx_ne_u16_e32 0x80, v7
	s_cbranch_execz .LBB320_279
; %bb.274:                              ;   in Loop: Header=BB320_13 Depth=1
	v_and_b32_e32 v150, 0x7f, v160
	v_mov_b32_e32 v148, 0x7fc02000
	s_mov_b32 s22, exec_lo
	s_delay_alu instid0(VALU_DEP_2)
	v_cmpx_ne_u32_e32 0x7f, v150
	s_cbranch_execz .LBB320_278
; %bb.275:                              ;   in Loop: Header=BB320_13 Depth=1
	v_and_b32_e32 v7, 7, v160
	v_lshrrev_b32_e32 v148, 3, v150
	s_mov_b32 s23, exec_lo
	v_cmpx_gt_u32_e32 8, v150
; %bb.276:                              ;   in Loop: Header=BB320_13 Depth=1
	s_delay_alu instid0(VALU_DEP_3) | instskip(NEXT) | instid1(VALU_DEP_1)
	v_clz_i32_u32_e32 v148, v7
	v_min_u32_e32 v148, 32, v148
	s_delay_alu instid0(VALU_DEP_1) | instskip(SKIP_1) | instid1(VALU_DEP_2)
	v_subrev_nc_u32_e32 v150, 28, v148
	v_sub_nc_u32_e32 v148, 29, v148
	v_lshlrev_b64 v[150:151], v150, v[7:8]
	s_delay_alu instid0(VALU_DEP_1)
	v_and_b32_e32 v7, 7, v150
; %bb.277:                              ;   in Loop: Header=BB320_13 Depth=1
	s_or_b32 exec_lo, exec_lo, s23
	v_lshlrev_b32_e32 v150, 8, v160
	v_lshl_add_u32 v148, v148, 10, 0x2000
	s_delay_alu instid0(VALU_DEP_1) | instskip(NEXT) | instid1(VALU_DEP_1)
	v_and_or_b32 v148, 0x8000, v150, v148
	v_lshl_or_b32 v7, v7, 7, v148
	s_delay_alu instid0(VALU_DEP_1)
	v_cvt_f32_f16_e64 v148, v7
.LBB320_278:                            ;   in Loop: Header=BB320_13 Depth=1
	s_or_b32 exec_lo, exec_lo, s22
.LBB320_279:                            ;   in Loop: Header=BB320_13 Depth=1
	s_delay_alu instid0(SALU_CYCLE_1)
	s_or_b32 exec_lo, exec_lo, s21
.LBB320_280:                            ;   in Loop: Header=BB320_13 Depth=1
	s_delay_alu instid0(SALU_CYCLE_1) | instskip(SKIP_2) | instid1(VALU_DEP_1)
	s_or_b32 exec_lo, exec_lo, s20
	v_lshrrev_b16 v7, 8, v160
	s_mov_b32 s20, exec_lo
	v_cmpx_ne_u16_e32 0, v7
	s_cbranch_execz .LBB320_288
; %bb.281:                              ;   in Loop: Header=BB320_13 Depth=1
	v_bfrev_b32_e32 v149, 1
	s_mov_b32 s21, exec_lo
	v_cmpx_ne_u16_e32 0x80, v7
	s_cbranch_execz .LBB320_287
; %bb.282:                              ;   in Loop: Header=BB320_13 Depth=1
	v_and_b32_e32 v150, 0xffff, v7
	v_mov_b32_e32 v149, 0x7fc02000
	s_mov_b32 s22, exec_lo
	s_delay_alu instid0(VALU_DEP_2) | instskip(NEXT) | instid1(VALU_DEP_1)
	v_and_b32_e32 v151, 0x7f, v150
	v_cmpx_ne_u32_e32 0x7f, v151
	s_cbranch_execz .LBB320_286
; %bb.283:                              ;   in Loop: Header=BB320_13 Depth=1
	v_and_b32_e32 v7, 7, v150
	v_lshrrev_b32_e32 v149, 3, v151
	s_mov_b32 s23, exec_lo
	v_cmpx_gt_u32_e32 8, v151
; %bb.284:                              ;   in Loop: Header=BB320_13 Depth=1
	s_delay_alu instid0(VALU_DEP_3) | instskip(NEXT) | instid1(VALU_DEP_1)
	v_clz_i32_u32_e32 v149, v7
	v_min_u32_e32 v149, 32, v149
	s_delay_alu instid0(VALU_DEP_1) | instskip(SKIP_1) | instid1(VALU_DEP_2)
	v_subrev_nc_u32_e32 v151, 28, v149
	v_sub_nc_u32_e32 v149, 29, v149
	v_lshlrev_b64 v[161:162], v151, v[7:8]
	s_delay_alu instid0(VALU_DEP_1)
	v_and_b32_e32 v7, 7, v161
; %bb.285:                              ;   in Loop: Header=BB320_13 Depth=1
	s_or_b32 exec_lo, exec_lo, s23
	v_lshlrev_b32_e32 v150, 8, v150
	v_lshl_add_u32 v149, v149, 10, 0x2000
	s_delay_alu instid0(VALU_DEP_1) | instskip(NEXT) | instid1(VALU_DEP_1)
	v_and_or_b32 v149, 0x8000, v150, v149
	v_lshl_or_b32 v7, v7, 7, v149
	s_delay_alu instid0(VALU_DEP_1)
	v_cvt_f32_f16_e64 v149, v7
.LBB320_286:                            ;   in Loop: Header=BB320_13 Depth=1
	s_or_b32 exec_lo, exec_lo, s22
.LBB320_287:                            ;   in Loop: Header=BB320_13 Depth=1
	s_delay_alu instid0(SALU_CYCLE_1)
	s_or_b32 exec_lo, exec_lo, s21
.LBB320_288:                            ;   in Loop: Header=BB320_13 Depth=1
	s_delay_alu instid0(SALU_CYCLE_1) | instskip(SKIP_3) | instid1(VALU_DEP_2)
	s_or_b32 exec_lo, exec_lo, s20
	v_lshrrev_b32_e32 v161, 16, v160
	v_mov_b32_e32 v151, 0
	s_mov_b32 s20, exec_lo
	v_dual_mov_b32 v150, 0 :: v_dual_and_b32 v7, 0xff, v161
	s_delay_alu instid0(VALU_DEP_1)
	v_cmpx_ne_u16_e32 0, v7
	s_cbranch_execz .LBB320_296
; %bb.289:                              ;   in Loop: Header=BB320_13 Depth=1
	v_bfrev_b32_e32 v151, 1
	s_mov_b32 s21, exec_lo
	v_cmpx_ne_u16_e32 0x80, v7
	s_cbranch_execz .LBB320_295
; %bb.290:                              ;   in Loop: Header=BB320_13 Depth=1
	v_bfe_u32 v162, v160, 16, 7
	v_mov_b32_e32 v151, 0x7fc02000
	s_mov_b32 s22, exec_lo
	s_delay_alu instid0(VALU_DEP_2)
	v_cmpx_ne_u32_e32 0x7f, v162
	s_cbranch_execz .LBB320_294
; %bb.291:                              ;   in Loop: Header=BB320_13 Depth=1
	v_and_b32_e32 v7, 7, v161
	v_lshrrev_b32_e32 v151, 3, v162
	s_mov_b32 s23, exec_lo
	v_cmpx_gt_u32_e32 8, v162
; %bb.292:                              ;   in Loop: Header=BB320_13 Depth=1
	s_delay_alu instid0(VALU_DEP_3) | instskip(NEXT) | instid1(VALU_DEP_1)
	v_clz_i32_u32_e32 v151, v7
	v_min_u32_e32 v151, 32, v151
	s_delay_alu instid0(VALU_DEP_1) | instskip(SKIP_1) | instid1(VALU_DEP_2)
	v_subrev_nc_u32_e32 v162, 28, v151
	v_sub_nc_u32_e32 v151, 29, v151
	v_lshlrev_b64 v[162:163], v162, v[7:8]
	s_delay_alu instid0(VALU_DEP_1)
	v_and_b32_e32 v7, 7, v162
; %bb.293:                              ;   in Loop: Header=BB320_13 Depth=1
	s_or_b32 exec_lo, exec_lo, s23
	v_lshlrev_b32_e32 v161, 8, v161
	v_lshl_add_u32 v151, v151, 10, 0x2000
	s_delay_alu instid0(VALU_DEP_1) | instskip(NEXT) | instid1(VALU_DEP_1)
	v_and_or_b32 v151, 0x8000, v161, v151
	v_lshl_or_b32 v7, v7, 7, v151
	s_delay_alu instid0(VALU_DEP_1)
	v_cvt_f32_f16_e64 v151, v7
.LBB320_294:                            ;   in Loop: Header=BB320_13 Depth=1
	s_or_b32 exec_lo, exec_lo, s22
.LBB320_295:                            ;   in Loop: Header=BB320_13 Depth=1
	s_delay_alu instid0(SALU_CYCLE_1)
	s_or_b32 exec_lo, exec_lo, s21
.LBB320_296:                            ;   in Loop: Header=BB320_13 Depth=1
	s_delay_alu instid0(SALU_CYCLE_1) | instskip(NEXT) | instid1(SALU_CYCLE_1)
	s_or_b32 exec_lo, exec_lo, s20
	s_mov_b32 s20, exec_lo
	v_cmpx_lt_u32_e32 0xffffff, v160
	s_cbranch_execz .LBB320_304
; %bb.297:                              ;   in Loop: Header=BB320_13 Depth=1
	v_lshrrev_b32_e32 v160, 24, v160
	v_bfrev_b32_e32 v150, 1
	s_mov_b32 s21, exec_lo
	s_delay_alu instid0(VALU_DEP_2)
	v_cmpx_ne_u32_e32 0x80, v160
	s_cbranch_execz .LBB320_303
; %bb.298:                              ;   in Loop: Header=BB320_13 Depth=1
	v_and_b32_e32 v161, 0x7f, v160
	v_mov_b32_e32 v150, 0x7fc02000
	s_mov_b32 s22, exec_lo
	s_delay_alu instid0(VALU_DEP_2)
	v_cmpx_ne_u32_e32 0x7f, v161
	s_cbranch_execz .LBB320_302
; %bb.299:                              ;   in Loop: Header=BB320_13 Depth=1
	v_and_b32_e32 v7, 7, v160
	v_lshrrev_b32_e32 v150, 3, v161
	s_mov_b32 s23, exec_lo
	v_cmpx_gt_u32_e32 8, v161
; %bb.300:                              ;   in Loop: Header=BB320_13 Depth=1
	s_delay_alu instid0(VALU_DEP_3) | instskip(NEXT) | instid1(VALU_DEP_1)
	v_clz_i32_u32_e32 v150, v7
	v_min_u32_e32 v150, 32, v150
	s_delay_alu instid0(VALU_DEP_1) | instskip(SKIP_1) | instid1(VALU_DEP_2)
	v_subrev_nc_u32_e32 v161, 28, v150
	v_sub_nc_u32_e32 v150, 29, v150
	v_lshlrev_b64 v[161:162], v161, v[7:8]
	s_delay_alu instid0(VALU_DEP_1)
	v_and_b32_e32 v7, 7, v161
; %bb.301:                              ;   in Loop: Header=BB320_13 Depth=1
	s_or_b32 exec_lo, exec_lo, s23
	v_lshlrev_b32_e32 v160, 8, v160
	v_lshl_add_u32 v150, v150, 10, 0x2000
	s_delay_alu instid0(VALU_DEP_1) | instskip(NEXT) | instid1(VALU_DEP_1)
	v_and_or_b32 v150, 0x8000, v160, v150
	v_lshl_or_b32 v7, v7, 7, v150
	s_delay_alu instid0(VALU_DEP_1)
	v_cvt_f32_f16_e64 v150, v7
.LBB320_302:                            ;   in Loop: Header=BB320_13 Depth=1
	s_or_b32 exec_lo, exec_lo, s22
.LBB320_303:                            ;   in Loop: Header=BB320_13 Depth=1
	s_delay_alu instid0(SALU_CYCLE_1)
	s_or_b32 exec_lo, exec_lo, s21
.LBB320_304:                            ;   in Loop: Header=BB320_13 Depth=1
	s_delay_alu instid0(SALU_CYCLE_1)
	s_or_b32 exec_lo, exec_lo, s20
	flat_load_b32 v164, v[31:32] offset:1032
	v_mov_b32_e32 v161, 0
	s_mov_b32 s20, exec_lo
	s_waitcnt vmcnt(0) lgkmcnt(0)
	v_dual_mov_b32 v160, 0 :: v_dual_and_b32 v7, 0xff, v164
	s_delay_alu instid0(VALU_DEP_1)
	v_cmpx_ne_u16_e32 0, v7
	s_cbranch_execz .LBB320_312
; %bb.305:                              ;   in Loop: Header=BB320_13 Depth=1
	v_bfrev_b32_e32 v160, 1
	s_mov_b32 s21, exec_lo
	v_cmpx_ne_u16_e32 0x80, v7
	s_cbranch_execz .LBB320_311
; %bb.306:                              ;   in Loop: Header=BB320_13 Depth=1
	v_and_b32_e32 v162, 0x7f, v164
	v_mov_b32_e32 v160, 0x7fc02000
	s_mov_b32 s22, exec_lo
	s_delay_alu instid0(VALU_DEP_2)
	v_cmpx_ne_u32_e32 0x7f, v162
	s_cbranch_execz .LBB320_310
; %bb.307:                              ;   in Loop: Header=BB320_13 Depth=1
	v_and_b32_e32 v7, 7, v164
	v_lshrrev_b32_e32 v160, 3, v162
	s_mov_b32 s23, exec_lo
	v_cmpx_gt_u32_e32 8, v162
; %bb.308:                              ;   in Loop: Header=BB320_13 Depth=1
	s_delay_alu instid0(VALU_DEP_3) | instskip(NEXT) | instid1(VALU_DEP_1)
	v_clz_i32_u32_e32 v160, v7
	v_min_u32_e32 v160, 32, v160
	s_delay_alu instid0(VALU_DEP_1) | instskip(SKIP_1) | instid1(VALU_DEP_2)
	v_subrev_nc_u32_e32 v162, 28, v160
	v_sub_nc_u32_e32 v160, 29, v160
	v_lshlrev_b64 v[162:163], v162, v[7:8]
	s_delay_alu instid0(VALU_DEP_1)
	v_and_b32_e32 v7, 7, v162
; %bb.309:                              ;   in Loop: Header=BB320_13 Depth=1
	s_or_b32 exec_lo, exec_lo, s23
	v_lshlrev_b32_e32 v162, 8, v164
	v_lshl_add_u32 v160, v160, 10, 0x2000
	s_delay_alu instid0(VALU_DEP_1) | instskip(NEXT) | instid1(VALU_DEP_1)
	v_and_or_b32 v160, 0x8000, v162, v160
	v_lshl_or_b32 v7, v7, 7, v160
	s_delay_alu instid0(VALU_DEP_1)
	v_cvt_f32_f16_e64 v160, v7
.LBB320_310:                            ;   in Loop: Header=BB320_13 Depth=1
	s_or_b32 exec_lo, exec_lo, s22
.LBB320_311:                            ;   in Loop: Header=BB320_13 Depth=1
	s_delay_alu instid0(SALU_CYCLE_1)
	s_or_b32 exec_lo, exec_lo, s21
.LBB320_312:                            ;   in Loop: Header=BB320_13 Depth=1
	s_delay_alu instid0(SALU_CYCLE_1) | instskip(SKIP_2) | instid1(VALU_DEP_1)
	s_or_b32 exec_lo, exec_lo, s20
	v_lshrrev_b16 v7, 8, v164
	s_mov_b32 s20, exec_lo
	v_cmpx_ne_u16_e32 0, v7
	s_cbranch_execz .LBB320_320
; %bb.313:                              ;   in Loop: Header=BB320_13 Depth=1
	v_bfrev_b32_e32 v161, 1
	s_mov_b32 s21, exec_lo
	v_cmpx_ne_u16_e32 0x80, v7
	s_cbranch_execz .LBB320_319
; %bb.314:                              ;   in Loop: Header=BB320_13 Depth=1
	v_and_b32_e32 v162, 0xffff, v7
	v_mov_b32_e32 v161, 0x7fc02000
	s_mov_b32 s22, exec_lo
	s_delay_alu instid0(VALU_DEP_2) | instskip(NEXT) | instid1(VALU_DEP_1)
	v_and_b32_e32 v163, 0x7f, v162
	v_cmpx_ne_u32_e32 0x7f, v163
	s_cbranch_execz .LBB320_318
; %bb.315:                              ;   in Loop: Header=BB320_13 Depth=1
	v_and_b32_e32 v7, 7, v162
	v_lshrrev_b32_e32 v161, 3, v163
	s_mov_b32 s23, exec_lo
	v_cmpx_gt_u32_e32 8, v163
; %bb.316:                              ;   in Loop: Header=BB320_13 Depth=1
	s_delay_alu instid0(VALU_DEP_3) | instskip(NEXT) | instid1(VALU_DEP_1)
	v_clz_i32_u32_e32 v161, v7
	v_min_u32_e32 v161, 32, v161
	s_delay_alu instid0(VALU_DEP_1) | instskip(SKIP_1) | instid1(VALU_DEP_2)
	v_subrev_nc_u32_e32 v163, 28, v161
	v_sub_nc_u32_e32 v161, 29, v161
	v_lshlrev_b64 v[165:166], v163, v[7:8]
	s_delay_alu instid0(VALU_DEP_1)
	v_and_b32_e32 v7, 7, v165
; %bb.317:                              ;   in Loop: Header=BB320_13 Depth=1
	s_or_b32 exec_lo, exec_lo, s23
	v_lshlrev_b32_e32 v162, 8, v162
	v_lshl_add_u32 v161, v161, 10, 0x2000
	s_delay_alu instid0(VALU_DEP_1) | instskip(NEXT) | instid1(VALU_DEP_1)
	v_and_or_b32 v161, 0x8000, v162, v161
	v_lshl_or_b32 v7, v7, 7, v161
	s_delay_alu instid0(VALU_DEP_1)
	v_cvt_f32_f16_e64 v161, v7
.LBB320_318:                            ;   in Loop: Header=BB320_13 Depth=1
	s_or_b32 exec_lo, exec_lo, s22
.LBB320_319:                            ;   in Loop: Header=BB320_13 Depth=1
	s_delay_alu instid0(SALU_CYCLE_1)
	s_or_b32 exec_lo, exec_lo, s21
.LBB320_320:                            ;   in Loop: Header=BB320_13 Depth=1
	s_delay_alu instid0(SALU_CYCLE_1) | instskip(SKIP_3) | instid1(VALU_DEP_2)
	s_or_b32 exec_lo, exec_lo, s20
	v_lshrrev_b32_e32 v165, 16, v164
	v_mov_b32_e32 v163, 0
	s_mov_b32 s20, exec_lo
	v_dual_mov_b32 v162, 0 :: v_dual_and_b32 v7, 0xff, v165
	s_delay_alu instid0(VALU_DEP_1)
	v_cmpx_ne_u16_e32 0, v7
	s_cbranch_execz .LBB320_328
; %bb.321:                              ;   in Loop: Header=BB320_13 Depth=1
	v_bfrev_b32_e32 v163, 1
	s_mov_b32 s21, exec_lo
	v_cmpx_ne_u16_e32 0x80, v7
	s_cbranch_execz .LBB320_327
; %bb.322:                              ;   in Loop: Header=BB320_13 Depth=1
	v_bfe_u32 v166, v164, 16, 7
	v_mov_b32_e32 v163, 0x7fc02000
	s_mov_b32 s22, exec_lo
	s_delay_alu instid0(VALU_DEP_2)
	v_cmpx_ne_u32_e32 0x7f, v166
	s_cbranch_execz .LBB320_326
; %bb.323:                              ;   in Loop: Header=BB320_13 Depth=1
	v_and_b32_e32 v7, 7, v165
	v_lshrrev_b32_e32 v163, 3, v166
	s_mov_b32 s23, exec_lo
	v_cmpx_gt_u32_e32 8, v166
; %bb.324:                              ;   in Loop: Header=BB320_13 Depth=1
	s_delay_alu instid0(VALU_DEP_3) | instskip(NEXT) | instid1(VALU_DEP_1)
	v_clz_i32_u32_e32 v163, v7
	v_min_u32_e32 v163, 32, v163
	s_delay_alu instid0(VALU_DEP_1) | instskip(SKIP_1) | instid1(VALU_DEP_2)
	v_subrev_nc_u32_e32 v166, 28, v163
	v_sub_nc_u32_e32 v163, 29, v163
	v_lshlrev_b64 v[166:167], v166, v[7:8]
	s_delay_alu instid0(VALU_DEP_1)
	v_and_b32_e32 v7, 7, v166
; %bb.325:                              ;   in Loop: Header=BB320_13 Depth=1
	s_or_b32 exec_lo, exec_lo, s23
	v_lshlrev_b32_e32 v165, 8, v165
	v_lshl_add_u32 v163, v163, 10, 0x2000
	s_delay_alu instid0(VALU_DEP_1) | instskip(NEXT) | instid1(VALU_DEP_1)
	v_and_or_b32 v163, 0x8000, v165, v163
	v_lshl_or_b32 v7, v7, 7, v163
	s_delay_alu instid0(VALU_DEP_1)
	v_cvt_f32_f16_e64 v163, v7
.LBB320_326:                            ;   in Loop: Header=BB320_13 Depth=1
	s_or_b32 exec_lo, exec_lo, s22
.LBB320_327:                            ;   in Loop: Header=BB320_13 Depth=1
	s_delay_alu instid0(SALU_CYCLE_1)
	s_or_b32 exec_lo, exec_lo, s21
.LBB320_328:                            ;   in Loop: Header=BB320_13 Depth=1
	s_delay_alu instid0(SALU_CYCLE_1) | instskip(NEXT) | instid1(SALU_CYCLE_1)
	s_or_b32 exec_lo, exec_lo, s20
	s_mov_b32 s20, exec_lo
	v_cmpx_lt_u32_e32 0xffffff, v164
	s_cbranch_execz .LBB320_336
; %bb.329:                              ;   in Loop: Header=BB320_13 Depth=1
	v_lshrrev_b32_e32 v164, 24, v164
	v_bfrev_b32_e32 v162, 1
	s_mov_b32 s21, exec_lo
	s_delay_alu instid0(VALU_DEP_2)
	v_cmpx_ne_u32_e32 0x80, v164
	s_cbranch_execz .LBB320_335
; %bb.330:                              ;   in Loop: Header=BB320_13 Depth=1
	v_and_b32_e32 v165, 0x7f, v164
	v_mov_b32_e32 v162, 0x7fc02000
	s_mov_b32 s22, exec_lo
	s_delay_alu instid0(VALU_DEP_2)
	v_cmpx_ne_u32_e32 0x7f, v165
	s_cbranch_execz .LBB320_334
; %bb.331:                              ;   in Loop: Header=BB320_13 Depth=1
	v_and_b32_e32 v7, 7, v164
	v_lshrrev_b32_e32 v162, 3, v165
	s_mov_b32 s23, exec_lo
	v_cmpx_gt_u32_e32 8, v165
; %bb.332:                              ;   in Loop: Header=BB320_13 Depth=1
	s_delay_alu instid0(VALU_DEP_3) | instskip(NEXT) | instid1(VALU_DEP_1)
	v_clz_i32_u32_e32 v162, v7
	v_min_u32_e32 v162, 32, v162
	s_delay_alu instid0(VALU_DEP_1) | instskip(SKIP_1) | instid1(VALU_DEP_2)
	v_subrev_nc_u32_e32 v165, 28, v162
	v_sub_nc_u32_e32 v162, 29, v162
	v_lshlrev_b64 v[165:166], v165, v[7:8]
	s_delay_alu instid0(VALU_DEP_1)
	v_and_b32_e32 v7, 7, v165
; %bb.333:                              ;   in Loop: Header=BB320_13 Depth=1
	s_or_b32 exec_lo, exec_lo, s23
	v_lshlrev_b32_e32 v164, 8, v164
	v_lshl_add_u32 v162, v162, 10, 0x2000
	s_delay_alu instid0(VALU_DEP_1) | instskip(NEXT) | instid1(VALU_DEP_1)
	v_and_or_b32 v162, 0x8000, v164, v162
	v_lshl_or_b32 v7, v7, 7, v162
	s_delay_alu instid0(VALU_DEP_1)
	v_cvt_f32_f16_e64 v162, v7
.LBB320_334:                            ;   in Loop: Header=BB320_13 Depth=1
	s_or_b32 exec_lo, exec_lo, s22
.LBB320_335:                            ;   in Loop: Header=BB320_13 Depth=1
	s_delay_alu instid0(SALU_CYCLE_1)
	s_or_b32 exec_lo, exec_lo, s21
.LBB320_336:                            ;   in Loop: Header=BB320_13 Depth=1
	s_delay_alu instid0(SALU_CYCLE_1)
	s_or_b32 exec_lo, exec_lo, s20
	flat_load_b32 v176, v[31:32] offset:1280
	v_mov_b32_e32 v165, 0
	s_mov_b32 s20, exec_lo
	s_waitcnt vmcnt(0) lgkmcnt(0)
	v_dual_mov_b32 v164, 0 :: v_dual_and_b32 v7, 0xff, v176
	s_delay_alu instid0(VALU_DEP_1)
	v_cmpx_ne_u16_e32 0, v7
	s_cbranch_execz .LBB320_344
; %bb.337:                              ;   in Loop: Header=BB320_13 Depth=1
	v_bfrev_b32_e32 v164, 1
	s_mov_b32 s21, exec_lo
	v_cmpx_ne_u16_e32 0x80, v7
	s_cbranch_execz .LBB320_343
; %bb.338:                              ;   in Loop: Header=BB320_13 Depth=1
	v_and_b32_e32 v166, 0x7f, v176
	v_mov_b32_e32 v164, 0x7fc02000
	s_mov_b32 s22, exec_lo
	s_delay_alu instid0(VALU_DEP_2)
	v_cmpx_ne_u32_e32 0x7f, v166
	s_cbranch_execz .LBB320_342
; %bb.339:                              ;   in Loop: Header=BB320_13 Depth=1
	v_and_b32_e32 v7, 7, v176
	v_lshrrev_b32_e32 v164, 3, v166
	s_mov_b32 s23, exec_lo
	v_cmpx_gt_u32_e32 8, v166
; %bb.340:                              ;   in Loop: Header=BB320_13 Depth=1
	s_delay_alu instid0(VALU_DEP_3) | instskip(NEXT) | instid1(VALU_DEP_1)
	v_clz_i32_u32_e32 v164, v7
	v_min_u32_e32 v164, 32, v164
	s_delay_alu instid0(VALU_DEP_1) | instskip(SKIP_1) | instid1(VALU_DEP_2)
	v_subrev_nc_u32_e32 v166, 28, v164
	v_sub_nc_u32_e32 v164, 29, v164
	v_lshlrev_b64 v[166:167], v166, v[7:8]
	s_delay_alu instid0(VALU_DEP_1)
	v_and_b32_e32 v7, 7, v166
; %bb.341:                              ;   in Loop: Header=BB320_13 Depth=1
	s_or_b32 exec_lo, exec_lo, s23
	v_lshlrev_b32_e32 v166, 8, v176
	v_lshl_add_u32 v164, v164, 10, 0x2000
	s_delay_alu instid0(VALU_DEP_1) | instskip(NEXT) | instid1(VALU_DEP_1)
	v_and_or_b32 v164, 0x8000, v166, v164
	v_lshl_or_b32 v7, v7, 7, v164
	s_delay_alu instid0(VALU_DEP_1)
	v_cvt_f32_f16_e64 v164, v7
.LBB320_342:                            ;   in Loop: Header=BB320_13 Depth=1
	s_or_b32 exec_lo, exec_lo, s22
.LBB320_343:                            ;   in Loop: Header=BB320_13 Depth=1
	s_delay_alu instid0(SALU_CYCLE_1)
	s_or_b32 exec_lo, exec_lo, s21
.LBB320_344:                            ;   in Loop: Header=BB320_13 Depth=1
	s_delay_alu instid0(SALU_CYCLE_1) | instskip(SKIP_2) | instid1(VALU_DEP_1)
	s_or_b32 exec_lo, exec_lo, s20
	v_lshrrev_b16 v7, 8, v176
	s_mov_b32 s20, exec_lo
	v_cmpx_ne_u16_e32 0, v7
	s_cbranch_execz .LBB320_352
; %bb.345:                              ;   in Loop: Header=BB320_13 Depth=1
	v_bfrev_b32_e32 v165, 1
	s_mov_b32 s21, exec_lo
	v_cmpx_ne_u16_e32 0x80, v7
	s_cbranch_execz .LBB320_351
; %bb.346:                              ;   in Loop: Header=BB320_13 Depth=1
	v_and_b32_e32 v166, 0xffff, v7
	v_mov_b32_e32 v165, 0x7fc02000
	s_mov_b32 s22, exec_lo
	s_delay_alu instid0(VALU_DEP_2) | instskip(NEXT) | instid1(VALU_DEP_1)
	v_and_b32_e32 v167, 0x7f, v166
	v_cmpx_ne_u32_e32 0x7f, v167
	s_cbranch_execz .LBB320_350
; %bb.347:                              ;   in Loop: Header=BB320_13 Depth=1
	v_and_b32_e32 v7, 7, v166
	v_lshrrev_b32_e32 v165, 3, v167
	s_mov_b32 s23, exec_lo
	v_cmpx_gt_u32_e32 8, v167
; %bb.348:                              ;   in Loop: Header=BB320_13 Depth=1
	s_delay_alu instid0(VALU_DEP_3) | instskip(NEXT) | instid1(VALU_DEP_1)
	v_clz_i32_u32_e32 v165, v7
	v_min_u32_e32 v165, 32, v165
	s_delay_alu instid0(VALU_DEP_1) | instskip(SKIP_1) | instid1(VALU_DEP_2)
	v_subrev_nc_u32_e32 v167, 28, v165
	v_sub_nc_u32_e32 v165, 29, v165
	v_lshlrev_b64 v[177:178], v167, v[7:8]
	s_delay_alu instid0(VALU_DEP_1)
	v_and_b32_e32 v7, 7, v177
; %bb.349:                              ;   in Loop: Header=BB320_13 Depth=1
	s_or_b32 exec_lo, exec_lo, s23
	v_lshlrev_b32_e32 v166, 8, v166
	v_lshl_add_u32 v165, v165, 10, 0x2000
	s_delay_alu instid0(VALU_DEP_1) | instskip(NEXT) | instid1(VALU_DEP_1)
	v_and_or_b32 v165, 0x8000, v166, v165
	v_lshl_or_b32 v7, v7, 7, v165
	s_delay_alu instid0(VALU_DEP_1)
	v_cvt_f32_f16_e64 v165, v7
.LBB320_350:                            ;   in Loop: Header=BB320_13 Depth=1
	s_or_b32 exec_lo, exec_lo, s22
.LBB320_351:                            ;   in Loop: Header=BB320_13 Depth=1
	s_delay_alu instid0(SALU_CYCLE_1)
	s_or_b32 exec_lo, exec_lo, s21
.LBB320_352:                            ;   in Loop: Header=BB320_13 Depth=1
	s_delay_alu instid0(SALU_CYCLE_1) | instskip(SKIP_3) | instid1(VALU_DEP_2)
	s_or_b32 exec_lo, exec_lo, s20
	v_lshrrev_b32_e32 v177, 16, v176
	v_mov_b32_e32 v167, 0
	s_mov_b32 s20, exec_lo
	v_dual_mov_b32 v166, 0 :: v_dual_and_b32 v7, 0xff, v177
	s_delay_alu instid0(VALU_DEP_1)
	v_cmpx_ne_u16_e32 0, v7
	s_cbranch_execz .LBB320_360
; %bb.353:                              ;   in Loop: Header=BB320_13 Depth=1
	v_bfrev_b32_e32 v167, 1
	s_mov_b32 s21, exec_lo
	v_cmpx_ne_u16_e32 0x80, v7
	s_cbranch_execz .LBB320_359
; %bb.354:                              ;   in Loop: Header=BB320_13 Depth=1
	v_bfe_u32 v178, v176, 16, 7
	v_mov_b32_e32 v167, 0x7fc02000
	s_mov_b32 s22, exec_lo
	s_delay_alu instid0(VALU_DEP_2)
	v_cmpx_ne_u32_e32 0x7f, v178
	s_cbranch_execz .LBB320_358
; %bb.355:                              ;   in Loop: Header=BB320_13 Depth=1
	v_and_b32_e32 v7, 7, v177
	v_lshrrev_b32_e32 v167, 3, v178
	s_mov_b32 s23, exec_lo
	v_cmpx_gt_u32_e32 8, v178
; %bb.356:                              ;   in Loop: Header=BB320_13 Depth=1
	s_delay_alu instid0(VALU_DEP_3) | instskip(NEXT) | instid1(VALU_DEP_1)
	v_clz_i32_u32_e32 v167, v7
	v_min_u32_e32 v167, 32, v167
	s_delay_alu instid0(VALU_DEP_1) | instskip(SKIP_1) | instid1(VALU_DEP_2)
	v_subrev_nc_u32_e32 v178, 28, v167
	v_sub_nc_u32_e32 v167, 29, v167
	v_lshlrev_b64 v[178:179], v178, v[7:8]
	s_delay_alu instid0(VALU_DEP_1)
	v_and_b32_e32 v7, 7, v178
; %bb.357:                              ;   in Loop: Header=BB320_13 Depth=1
	s_or_b32 exec_lo, exec_lo, s23
	v_lshlrev_b32_e32 v177, 8, v177
	v_lshl_add_u32 v167, v167, 10, 0x2000
	s_delay_alu instid0(VALU_DEP_1) | instskip(NEXT) | instid1(VALU_DEP_1)
	v_and_or_b32 v167, 0x8000, v177, v167
	v_lshl_or_b32 v7, v7, 7, v167
	s_delay_alu instid0(VALU_DEP_1)
	v_cvt_f32_f16_e64 v167, v7
.LBB320_358:                            ;   in Loop: Header=BB320_13 Depth=1
	s_or_b32 exec_lo, exec_lo, s22
.LBB320_359:                            ;   in Loop: Header=BB320_13 Depth=1
	s_delay_alu instid0(SALU_CYCLE_1)
	s_or_b32 exec_lo, exec_lo, s21
.LBB320_360:                            ;   in Loop: Header=BB320_13 Depth=1
	s_delay_alu instid0(SALU_CYCLE_1) | instskip(NEXT) | instid1(SALU_CYCLE_1)
	s_or_b32 exec_lo, exec_lo, s20
	s_mov_b32 s20, exec_lo
	v_cmpx_lt_u32_e32 0xffffff, v176
	s_cbranch_execz .LBB320_368
; %bb.361:                              ;   in Loop: Header=BB320_13 Depth=1
	v_lshrrev_b32_e32 v176, 24, v176
	v_bfrev_b32_e32 v166, 1
	s_mov_b32 s21, exec_lo
	s_delay_alu instid0(VALU_DEP_2)
	v_cmpx_ne_u32_e32 0x80, v176
	s_cbranch_execz .LBB320_367
; %bb.362:                              ;   in Loop: Header=BB320_13 Depth=1
	v_and_b32_e32 v177, 0x7f, v176
	v_mov_b32_e32 v166, 0x7fc02000
	s_mov_b32 s22, exec_lo
	s_delay_alu instid0(VALU_DEP_2)
	v_cmpx_ne_u32_e32 0x7f, v177
	s_cbranch_execz .LBB320_366
; %bb.363:                              ;   in Loop: Header=BB320_13 Depth=1
	v_and_b32_e32 v7, 7, v176
	v_lshrrev_b32_e32 v166, 3, v177
	s_mov_b32 s23, exec_lo
	v_cmpx_gt_u32_e32 8, v177
; %bb.364:                              ;   in Loop: Header=BB320_13 Depth=1
	s_delay_alu instid0(VALU_DEP_3) | instskip(NEXT) | instid1(VALU_DEP_1)
	v_clz_i32_u32_e32 v166, v7
	v_min_u32_e32 v166, 32, v166
	s_delay_alu instid0(VALU_DEP_1) | instskip(SKIP_1) | instid1(VALU_DEP_2)
	v_subrev_nc_u32_e32 v177, 28, v166
	v_sub_nc_u32_e32 v166, 29, v166
	v_lshlrev_b64 v[177:178], v177, v[7:8]
	s_delay_alu instid0(VALU_DEP_1)
	v_and_b32_e32 v7, 7, v177
; %bb.365:                              ;   in Loop: Header=BB320_13 Depth=1
	s_or_b32 exec_lo, exec_lo, s23
	v_lshlrev_b32_e32 v176, 8, v176
	v_lshl_add_u32 v166, v166, 10, 0x2000
	s_delay_alu instid0(VALU_DEP_1) | instskip(NEXT) | instid1(VALU_DEP_1)
	v_and_or_b32 v166, 0x8000, v176, v166
	v_lshl_or_b32 v7, v7, 7, v166
	s_delay_alu instid0(VALU_DEP_1)
	v_cvt_f32_f16_e64 v166, v7
.LBB320_366:                            ;   in Loop: Header=BB320_13 Depth=1
	s_or_b32 exec_lo, exec_lo, s22
.LBB320_367:                            ;   in Loop: Header=BB320_13 Depth=1
	s_delay_alu instid0(SALU_CYCLE_1)
	s_or_b32 exec_lo, exec_lo, s21
.LBB320_368:                            ;   in Loop: Header=BB320_13 Depth=1
	s_delay_alu instid0(SALU_CYCLE_1)
	s_or_b32 exec_lo, exec_lo, s20
	flat_load_b32 v180, v[31:32] offset:1288
	v_mov_b32_e32 v177, 0
	s_mov_b32 s20, exec_lo
	s_waitcnt vmcnt(0) lgkmcnt(0)
	v_dual_mov_b32 v176, 0 :: v_dual_and_b32 v7, 0xff, v180
	s_delay_alu instid0(VALU_DEP_1)
	v_cmpx_ne_u16_e32 0, v7
	s_cbranch_execz .LBB320_376
; %bb.369:                              ;   in Loop: Header=BB320_13 Depth=1
	v_bfrev_b32_e32 v176, 1
	s_mov_b32 s21, exec_lo
	v_cmpx_ne_u16_e32 0x80, v7
	s_cbranch_execz .LBB320_375
; %bb.370:                              ;   in Loop: Header=BB320_13 Depth=1
	v_and_b32_e32 v178, 0x7f, v180
	v_mov_b32_e32 v176, 0x7fc02000
	s_mov_b32 s22, exec_lo
	s_delay_alu instid0(VALU_DEP_2)
	v_cmpx_ne_u32_e32 0x7f, v178
	s_cbranch_execz .LBB320_374
; %bb.371:                              ;   in Loop: Header=BB320_13 Depth=1
	v_and_b32_e32 v7, 7, v180
	v_lshrrev_b32_e32 v176, 3, v178
	s_mov_b32 s23, exec_lo
	v_cmpx_gt_u32_e32 8, v178
; %bb.372:                              ;   in Loop: Header=BB320_13 Depth=1
	s_delay_alu instid0(VALU_DEP_3) | instskip(NEXT) | instid1(VALU_DEP_1)
	v_clz_i32_u32_e32 v176, v7
	v_min_u32_e32 v176, 32, v176
	s_delay_alu instid0(VALU_DEP_1) | instskip(SKIP_1) | instid1(VALU_DEP_2)
	v_subrev_nc_u32_e32 v178, 28, v176
	v_sub_nc_u32_e32 v176, 29, v176
	v_lshlrev_b64 v[178:179], v178, v[7:8]
	s_delay_alu instid0(VALU_DEP_1)
	v_and_b32_e32 v7, 7, v178
; %bb.373:                              ;   in Loop: Header=BB320_13 Depth=1
	s_or_b32 exec_lo, exec_lo, s23
	v_lshlrev_b32_e32 v178, 8, v180
	v_lshl_add_u32 v176, v176, 10, 0x2000
	s_delay_alu instid0(VALU_DEP_1) | instskip(NEXT) | instid1(VALU_DEP_1)
	v_and_or_b32 v176, 0x8000, v178, v176
	v_lshl_or_b32 v7, v7, 7, v176
	s_delay_alu instid0(VALU_DEP_1)
	v_cvt_f32_f16_e64 v176, v7
.LBB320_374:                            ;   in Loop: Header=BB320_13 Depth=1
	s_or_b32 exec_lo, exec_lo, s22
.LBB320_375:                            ;   in Loop: Header=BB320_13 Depth=1
	s_delay_alu instid0(SALU_CYCLE_1)
	s_or_b32 exec_lo, exec_lo, s21
.LBB320_376:                            ;   in Loop: Header=BB320_13 Depth=1
	s_delay_alu instid0(SALU_CYCLE_1) | instskip(SKIP_2) | instid1(VALU_DEP_1)
	s_or_b32 exec_lo, exec_lo, s20
	v_lshrrev_b16 v7, 8, v180
	s_mov_b32 s20, exec_lo
	v_cmpx_ne_u16_e32 0, v7
	s_cbranch_execz .LBB320_384
; %bb.377:                              ;   in Loop: Header=BB320_13 Depth=1
	v_bfrev_b32_e32 v177, 1
	s_mov_b32 s21, exec_lo
	v_cmpx_ne_u16_e32 0x80, v7
	s_cbranch_execz .LBB320_383
; %bb.378:                              ;   in Loop: Header=BB320_13 Depth=1
	v_and_b32_e32 v178, 0xffff, v7
	v_mov_b32_e32 v177, 0x7fc02000
	s_mov_b32 s22, exec_lo
	s_delay_alu instid0(VALU_DEP_2) | instskip(NEXT) | instid1(VALU_DEP_1)
	v_and_b32_e32 v179, 0x7f, v178
	v_cmpx_ne_u32_e32 0x7f, v179
	s_cbranch_execz .LBB320_382
; %bb.379:                              ;   in Loop: Header=BB320_13 Depth=1
	v_and_b32_e32 v7, 7, v178
	v_lshrrev_b32_e32 v177, 3, v179
	s_mov_b32 s23, exec_lo
	v_cmpx_gt_u32_e32 8, v179
; %bb.380:                              ;   in Loop: Header=BB320_13 Depth=1
	s_delay_alu instid0(VALU_DEP_3) | instskip(NEXT) | instid1(VALU_DEP_1)
	v_clz_i32_u32_e32 v177, v7
	v_min_u32_e32 v177, 32, v177
	s_delay_alu instid0(VALU_DEP_1) | instskip(SKIP_1) | instid1(VALU_DEP_2)
	v_subrev_nc_u32_e32 v179, 28, v177
	v_sub_nc_u32_e32 v177, 29, v177
	v_lshlrev_b64 v[181:182], v179, v[7:8]
	s_delay_alu instid0(VALU_DEP_1)
	v_and_b32_e32 v7, 7, v181
; %bb.381:                              ;   in Loop: Header=BB320_13 Depth=1
	s_or_b32 exec_lo, exec_lo, s23
	v_lshlrev_b32_e32 v178, 8, v178
	v_lshl_add_u32 v177, v177, 10, 0x2000
	s_delay_alu instid0(VALU_DEP_1) | instskip(NEXT) | instid1(VALU_DEP_1)
	v_and_or_b32 v177, 0x8000, v178, v177
	v_lshl_or_b32 v7, v7, 7, v177
	s_delay_alu instid0(VALU_DEP_1)
	v_cvt_f32_f16_e64 v177, v7
.LBB320_382:                            ;   in Loop: Header=BB320_13 Depth=1
	s_or_b32 exec_lo, exec_lo, s22
.LBB320_383:                            ;   in Loop: Header=BB320_13 Depth=1
	s_delay_alu instid0(SALU_CYCLE_1)
	s_or_b32 exec_lo, exec_lo, s21
.LBB320_384:                            ;   in Loop: Header=BB320_13 Depth=1
	s_delay_alu instid0(SALU_CYCLE_1) | instskip(SKIP_3) | instid1(VALU_DEP_2)
	s_or_b32 exec_lo, exec_lo, s20
	v_lshrrev_b32_e32 v181, 16, v180
	v_mov_b32_e32 v179, 0
	s_mov_b32 s20, exec_lo
	v_dual_mov_b32 v178, 0 :: v_dual_and_b32 v7, 0xff, v181
	s_delay_alu instid0(VALU_DEP_1)
	v_cmpx_ne_u16_e32 0, v7
	s_cbranch_execz .LBB320_392
; %bb.385:                              ;   in Loop: Header=BB320_13 Depth=1
	v_bfrev_b32_e32 v179, 1
	s_mov_b32 s21, exec_lo
	v_cmpx_ne_u16_e32 0x80, v7
	s_cbranch_execz .LBB320_391
; %bb.386:                              ;   in Loop: Header=BB320_13 Depth=1
	v_bfe_u32 v182, v180, 16, 7
	v_mov_b32_e32 v179, 0x7fc02000
	s_mov_b32 s22, exec_lo
	s_delay_alu instid0(VALU_DEP_2)
	v_cmpx_ne_u32_e32 0x7f, v182
	s_cbranch_execz .LBB320_390
; %bb.387:                              ;   in Loop: Header=BB320_13 Depth=1
	v_and_b32_e32 v7, 7, v181
	v_lshrrev_b32_e32 v179, 3, v182
	s_mov_b32 s23, exec_lo
	v_cmpx_gt_u32_e32 8, v182
; %bb.388:                              ;   in Loop: Header=BB320_13 Depth=1
	s_delay_alu instid0(VALU_DEP_3) | instskip(NEXT) | instid1(VALU_DEP_1)
	v_clz_i32_u32_e32 v179, v7
	v_min_u32_e32 v179, 32, v179
	s_delay_alu instid0(VALU_DEP_1) | instskip(SKIP_1) | instid1(VALU_DEP_2)
	v_subrev_nc_u32_e32 v182, 28, v179
	v_sub_nc_u32_e32 v179, 29, v179
	v_lshlrev_b64 v[182:183], v182, v[7:8]
	s_delay_alu instid0(VALU_DEP_1)
	v_and_b32_e32 v7, 7, v182
; %bb.389:                              ;   in Loop: Header=BB320_13 Depth=1
	s_or_b32 exec_lo, exec_lo, s23
	v_lshlrev_b32_e32 v181, 8, v181
	v_lshl_add_u32 v179, v179, 10, 0x2000
	s_delay_alu instid0(VALU_DEP_1) | instskip(NEXT) | instid1(VALU_DEP_1)
	v_and_or_b32 v179, 0x8000, v181, v179
	v_lshl_or_b32 v7, v7, 7, v179
	s_delay_alu instid0(VALU_DEP_1)
	v_cvt_f32_f16_e64 v179, v7
.LBB320_390:                            ;   in Loop: Header=BB320_13 Depth=1
	s_or_b32 exec_lo, exec_lo, s22
.LBB320_391:                            ;   in Loop: Header=BB320_13 Depth=1
	s_delay_alu instid0(SALU_CYCLE_1)
	s_or_b32 exec_lo, exec_lo, s21
.LBB320_392:                            ;   in Loop: Header=BB320_13 Depth=1
	s_delay_alu instid0(SALU_CYCLE_1) | instskip(NEXT) | instid1(SALU_CYCLE_1)
	s_or_b32 exec_lo, exec_lo, s20
	s_mov_b32 s20, exec_lo
	v_cmpx_lt_u32_e32 0xffffff, v180
	s_cbranch_execz .LBB320_400
; %bb.393:                              ;   in Loop: Header=BB320_13 Depth=1
	v_lshrrev_b32_e32 v180, 24, v180
	v_bfrev_b32_e32 v178, 1
	s_mov_b32 s21, exec_lo
	s_delay_alu instid0(VALU_DEP_2)
	v_cmpx_ne_u32_e32 0x80, v180
	s_cbranch_execz .LBB320_399
; %bb.394:                              ;   in Loop: Header=BB320_13 Depth=1
	v_and_b32_e32 v181, 0x7f, v180
	v_mov_b32_e32 v178, 0x7fc02000
	s_mov_b32 s22, exec_lo
	s_delay_alu instid0(VALU_DEP_2)
	v_cmpx_ne_u32_e32 0x7f, v181
	s_cbranch_execz .LBB320_398
; %bb.395:                              ;   in Loop: Header=BB320_13 Depth=1
	v_and_b32_e32 v7, 7, v180
	v_lshrrev_b32_e32 v178, 3, v181
	s_mov_b32 s23, exec_lo
	v_cmpx_gt_u32_e32 8, v181
; %bb.396:                              ;   in Loop: Header=BB320_13 Depth=1
	s_delay_alu instid0(VALU_DEP_3) | instskip(NEXT) | instid1(VALU_DEP_1)
	v_clz_i32_u32_e32 v178, v7
	v_min_u32_e32 v178, 32, v178
	s_delay_alu instid0(VALU_DEP_1) | instskip(SKIP_1) | instid1(VALU_DEP_2)
	v_subrev_nc_u32_e32 v181, 28, v178
	v_sub_nc_u32_e32 v178, 29, v178
	v_lshlrev_b64 v[181:182], v181, v[7:8]
	s_delay_alu instid0(VALU_DEP_1)
	v_and_b32_e32 v7, 7, v181
; %bb.397:                              ;   in Loop: Header=BB320_13 Depth=1
	s_or_b32 exec_lo, exec_lo, s23
	v_lshlrev_b32_e32 v180, 8, v180
	v_lshl_add_u32 v178, v178, 10, 0x2000
	s_delay_alu instid0(VALU_DEP_1) | instskip(NEXT) | instid1(VALU_DEP_1)
	v_and_or_b32 v178, 0x8000, v180, v178
	v_lshl_or_b32 v7, v7, 7, v178
	s_delay_alu instid0(VALU_DEP_1)
	v_cvt_f32_f16_e64 v178, v7
.LBB320_398:                            ;   in Loop: Header=BB320_13 Depth=1
	s_or_b32 exec_lo, exec_lo, s22
.LBB320_399:                            ;   in Loop: Header=BB320_13 Depth=1
	s_delay_alu instid0(SALU_CYCLE_1)
	s_or_b32 exec_lo, exec_lo, s21
.LBB320_400:                            ;   in Loop: Header=BB320_13 Depth=1
	s_delay_alu instid0(SALU_CYCLE_1)
	s_or_b32 exec_lo, exec_lo, s20
	flat_load_b32 v40, v[31:32] offset:1536
	v_mov_b32_e32 v181, 0
	s_mov_b32 s20, exec_lo
	s_waitcnt vmcnt(0) lgkmcnt(0)
	v_dual_mov_b32 v180, 0 :: v_dual_and_b32 v7, 0xff, v40
	s_delay_alu instid0(VALU_DEP_1)
	v_cmpx_ne_u16_e32 0, v7
	s_cbranch_execz .LBB320_408
; %bb.401:                              ;   in Loop: Header=BB320_13 Depth=1
	v_bfrev_b32_e32 v180, 1
	s_mov_b32 s21, exec_lo
	v_cmpx_ne_u16_e32 0x80, v7
	s_cbranch_execz .LBB320_407
; %bb.402:                              ;   in Loop: Header=BB320_13 Depth=1
	v_and_b32_e32 v182, 0x7f, v40
	v_mov_b32_e32 v180, 0x7fc02000
	s_mov_b32 s22, exec_lo
	s_delay_alu instid0(VALU_DEP_2)
	v_cmpx_ne_u32_e32 0x7f, v182
	s_cbranch_execz .LBB320_406
; %bb.403:                              ;   in Loop: Header=BB320_13 Depth=1
	v_and_b32_e32 v7, 7, v40
	v_lshrrev_b32_e32 v180, 3, v182
	s_mov_b32 s23, exec_lo
	v_cmpx_gt_u32_e32 8, v182
; %bb.404:                              ;   in Loop: Header=BB320_13 Depth=1
	s_delay_alu instid0(VALU_DEP_3) | instskip(NEXT) | instid1(VALU_DEP_1)
	v_clz_i32_u32_e32 v180, v7
	v_min_u32_e32 v180, 32, v180
	s_delay_alu instid0(VALU_DEP_1) | instskip(SKIP_1) | instid1(VALU_DEP_2)
	v_subrev_nc_u32_e32 v182, 28, v180
	v_sub_nc_u32_e32 v180, 29, v180
	v_lshlrev_b64 v[182:183], v182, v[7:8]
	s_delay_alu instid0(VALU_DEP_1)
	v_and_b32_e32 v7, 7, v182
; %bb.405:                              ;   in Loop: Header=BB320_13 Depth=1
	s_or_b32 exec_lo, exec_lo, s23
	v_lshlrev_b32_e32 v182, 8, v40
	v_lshl_add_u32 v180, v180, 10, 0x2000
	s_delay_alu instid0(VALU_DEP_1) | instskip(NEXT) | instid1(VALU_DEP_1)
	v_and_or_b32 v180, 0x8000, v182, v180
	v_lshl_or_b32 v7, v7, 7, v180
	s_delay_alu instid0(VALU_DEP_1)
	v_cvt_f32_f16_e64 v180, v7
.LBB320_406:                            ;   in Loop: Header=BB320_13 Depth=1
	s_or_b32 exec_lo, exec_lo, s22
.LBB320_407:                            ;   in Loop: Header=BB320_13 Depth=1
	s_delay_alu instid0(SALU_CYCLE_1)
	s_or_b32 exec_lo, exec_lo, s21
.LBB320_408:                            ;   in Loop: Header=BB320_13 Depth=1
	s_delay_alu instid0(SALU_CYCLE_1) | instskip(SKIP_2) | instid1(VALU_DEP_1)
	s_or_b32 exec_lo, exec_lo, s20
	v_lshrrev_b16 v7, 8, v40
	s_mov_b32 s20, exec_lo
	v_cmpx_ne_u16_e32 0, v7
	s_cbranch_execz .LBB320_416
; %bb.409:                              ;   in Loop: Header=BB320_13 Depth=1
	v_bfrev_b32_e32 v181, 1
	s_mov_b32 s21, exec_lo
	v_cmpx_ne_u16_e32 0x80, v7
	s_cbranch_execz .LBB320_415
; %bb.410:                              ;   in Loop: Header=BB320_13 Depth=1
	v_and_b32_e32 v182, 0xffff, v7
	v_mov_b32_e32 v181, 0x7fc02000
	s_mov_b32 s22, exec_lo
	s_delay_alu instid0(VALU_DEP_2) | instskip(NEXT) | instid1(VALU_DEP_1)
	v_and_b32_e32 v183, 0x7f, v182
	v_cmpx_ne_u32_e32 0x7f, v183
	s_cbranch_execz .LBB320_414
; %bb.411:                              ;   in Loop: Header=BB320_13 Depth=1
	v_and_b32_e32 v7, 7, v182
	v_lshrrev_b32_e32 v181, 3, v183
	s_mov_b32 s23, exec_lo
	v_cmpx_gt_u32_e32 8, v183
; %bb.412:                              ;   in Loop: Header=BB320_13 Depth=1
	s_delay_alu instid0(VALU_DEP_3) | instskip(NEXT) | instid1(VALU_DEP_1)
	v_clz_i32_u32_e32 v181, v7
	v_min_u32_e32 v181, 32, v181
	s_delay_alu instid0(VALU_DEP_1) | instskip(SKIP_1) | instid1(VALU_DEP_2)
	v_subrev_nc_u32_e32 v183, 28, v181
	v_sub_nc_u32_e32 v181, 29, v181
	v_lshlrev_b64 v[41:42], v183, v[7:8]
	s_delay_alu instid0(VALU_DEP_1)
	v_and_b32_e32 v7, 7, v41
; %bb.413:                              ;   in Loop: Header=BB320_13 Depth=1
	s_or_b32 exec_lo, exec_lo, s23
	v_lshlrev_b32_e32 v182, 8, v182
	v_lshl_add_u32 v181, v181, 10, 0x2000
	s_delay_alu instid0(VALU_DEP_1) | instskip(NEXT) | instid1(VALU_DEP_1)
	v_and_or_b32 v181, 0x8000, v182, v181
	v_lshl_or_b32 v7, v7, 7, v181
	s_delay_alu instid0(VALU_DEP_1)
	v_cvt_f32_f16_e64 v181, v7
.LBB320_414:                            ;   in Loop: Header=BB320_13 Depth=1
	s_or_b32 exec_lo, exec_lo, s22
.LBB320_415:                            ;   in Loop: Header=BB320_13 Depth=1
	s_delay_alu instid0(SALU_CYCLE_1)
	s_or_b32 exec_lo, exec_lo, s21
.LBB320_416:                            ;   in Loop: Header=BB320_13 Depth=1
	s_delay_alu instid0(SALU_CYCLE_1) | instskip(SKIP_3) | instid1(VALU_DEP_2)
	s_or_b32 exec_lo, exec_lo, s20
	v_lshrrev_b32_e32 v41, 16, v40
	v_mov_b32_e32 v183, 0
	s_mov_b32 s20, exec_lo
	v_dual_mov_b32 v182, 0 :: v_dual_and_b32 v7, 0xff, v41
	s_delay_alu instid0(VALU_DEP_1)
	v_cmpx_ne_u16_e32 0, v7
	s_cbranch_execz .LBB320_424
; %bb.417:                              ;   in Loop: Header=BB320_13 Depth=1
	v_bfrev_b32_e32 v183, 1
	s_mov_b32 s21, exec_lo
	v_cmpx_ne_u16_e32 0x80, v7
	s_cbranch_execz .LBB320_423
; %bb.418:                              ;   in Loop: Header=BB320_13 Depth=1
	v_bfe_u32 v42, v40, 16, 7
	v_mov_b32_e32 v183, 0x7fc02000
	s_mov_b32 s22, exec_lo
	s_delay_alu instid0(VALU_DEP_2)
	v_cmpx_ne_u32_e32 0x7f, v42
	s_cbranch_execz .LBB320_422
; %bb.419:                              ;   in Loop: Header=BB320_13 Depth=1
	v_and_b32_e32 v7, 7, v41
	v_lshrrev_b32_e32 v183, 3, v42
	s_mov_b32 s23, exec_lo
	v_cmpx_gt_u32_e32 8, v42
; %bb.420:                              ;   in Loop: Header=BB320_13 Depth=1
	s_delay_alu instid0(VALU_DEP_3) | instskip(NEXT) | instid1(VALU_DEP_1)
	v_clz_i32_u32_e32 v183, v7
	v_min_u32_e32 v183, 32, v183
	s_delay_alu instid0(VALU_DEP_1) | instskip(SKIP_1) | instid1(VALU_DEP_2)
	v_subrev_nc_u32_e32 v42, 28, v183
	v_sub_nc_u32_e32 v183, 29, v183
	v_lshlrev_b64 v[42:43], v42, v[7:8]
	s_delay_alu instid0(VALU_DEP_1)
	v_and_b32_e32 v7, 7, v42
; %bb.421:                              ;   in Loop: Header=BB320_13 Depth=1
	s_or_b32 exec_lo, exec_lo, s23
	v_lshlrev_b32_e32 v41, 8, v41
	v_lshl_add_u32 v183, v183, 10, 0x2000
	s_delay_alu instid0(VALU_DEP_1) | instskip(NEXT) | instid1(VALU_DEP_1)
	v_and_or_b32 v183, 0x8000, v41, v183
	v_lshl_or_b32 v7, v7, 7, v183
	s_delay_alu instid0(VALU_DEP_1)
	v_cvt_f32_f16_e64 v183, v7
.LBB320_422:                            ;   in Loop: Header=BB320_13 Depth=1
	s_or_b32 exec_lo, exec_lo, s22
.LBB320_423:                            ;   in Loop: Header=BB320_13 Depth=1
	s_delay_alu instid0(SALU_CYCLE_1)
	s_or_b32 exec_lo, exec_lo, s21
.LBB320_424:                            ;   in Loop: Header=BB320_13 Depth=1
	s_delay_alu instid0(SALU_CYCLE_1) | instskip(NEXT) | instid1(SALU_CYCLE_1)
	s_or_b32 exec_lo, exec_lo, s20
	s_mov_b32 s20, exec_lo
	v_cmpx_lt_u32_e32 0xffffff, v40
	s_cbranch_execz .LBB320_432
; %bb.425:                              ;   in Loop: Header=BB320_13 Depth=1
	v_lshrrev_b32_e32 v40, 24, v40
	v_bfrev_b32_e32 v182, 1
	s_mov_b32 s21, exec_lo
	s_delay_alu instid0(VALU_DEP_2)
	v_cmpx_ne_u32_e32 0x80, v40
	s_cbranch_execz .LBB320_431
; %bb.426:                              ;   in Loop: Header=BB320_13 Depth=1
	v_and_b32_e32 v41, 0x7f, v40
	v_mov_b32_e32 v182, 0x7fc02000
	s_mov_b32 s22, exec_lo
	s_delay_alu instid0(VALU_DEP_2)
	v_cmpx_ne_u32_e32 0x7f, v41
	s_cbranch_execz .LBB320_430
; %bb.427:                              ;   in Loop: Header=BB320_13 Depth=1
	v_and_b32_e32 v7, 7, v40
	v_lshrrev_b32_e32 v182, 3, v41
	s_mov_b32 s23, exec_lo
	v_cmpx_gt_u32_e32 8, v41
; %bb.428:                              ;   in Loop: Header=BB320_13 Depth=1
	s_delay_alu instid0(VALU_DEP_3) | instskip(NEXT) | instid1(VALU_DEP_1)
	v_clz_i32_u32_e32 v182, v7
	v_min_u32_e32 v182, 32, v182
	s_delay_alu instid0(VALU_DEP_1) | instskip(SKIP_1) | instid1(VALU_DEP_2)
	v_subrev_nc_u32_e32 v41, 28, v182
	v_sub_nc_u32_e32 v182, 29, v182
	v_lshlrev_b64 v[41:42], v41, v[7:8]
	s_delay_alu instid0(VALU_DEP_1)
	v_and_b32_e32 v7, 7, v41
; %bb.429:                              ;   in Loop: Header=BB320_13 Depth=1
	s_or_b32 exec_lo, exec_lo, s23
	v_lshlrev_b32_e32 v40, 8, v40
	v_lshl_add_u32 v182, v182, 10, 0x2000
	s_delay_alu instid0(VALU_DEP_1) | instskip(NEXT) | instid1(VALU_DEP_1)
	v_and_or_b32 v182, 0x8000, v40, v182
	v_lshl_or_b32 v7, v7, 7, v182
	s_delay_alu instid0(VALU_DEP_1)
	v_cvt_f32_f16_e64 v182, v7
.LBB320_430:                            ;   in Loop: Header=BB320_13 Depth=1
	s_or_b32 exec_lo, exec_lo, s22
.LBB320_431:                            ;   in Loop: Header=BB320_13 Depth=1
	s_delay_alu instid0(SALU_CYCLE_1)
	s_or_b32 exec_lo, exec_lo, s21
.LBB320_432:                            ;   in Loop: Header=BB320_13 Depth=1
	s_delay_alu instid0(SALU_CYCLE_1)
	s_or_b32 exec_lo, exec_lo, s20
	flat_load_b32 v40, v[31:32] offset:1544
	v_mov_b32_e32 v43, 0
	s_mov_b32 s20, exec_lo
	s_waitcnt vmcnt(0) lgkmcnt(0)
	v_dual_mov_b32 v44, 0 :: v_dual_and_b32 v7, 0xff, v40
	s_delay_alu instid0(VALU_DEP_1)
	v_cmpx_ne_u16_e32 0, v7
	s_cbranch_execz .LBB320_440
; %bb.433:                              ;   in Loop: Header=BB320_13 Depth=1
	v_bfrev_b32_e32 v43, 1
	s_mov_b32 s21, exec_lo
	v_cmpx_ne_u16_e32 0x80, v7
	s_cbranch_execz .LBB320_439
; %bb.434:                              ;   in Loop: Header=BB320_13 Depth=1
	v_and_b32_e32 v42, 0x7f, v40
	v_mov_b32_e32 v43, 0x7fc02000
	s_mov_b32 s22, exec_lo
	s_delay_alu instid0(VALU_DEP_2)
	v_cmpx_ne_u32_e32 0x7f, v42
	s_cbranch_execz .LBB320_438
; %bb.435:                              ;   in Loop: Header=BB320_13 Depth=1
	v_and_b32_e32 v7, 7, v40
	v_lshrrev_b32_e32 v41, 3, v42
	s_mov_b32 s23, exec_lo
	v_cmpx_gt_u32_e32 8, v42
; %bb.436:                              ;   in Loop: Header=BB320_13 Depth=1
	s_delay_alu instid0(VALU_DEP_3) | instskip(NEXT) | instid1(VALU_DEP_1)
	v_clz_i32_u32_e32 v41, v7
	v_min_u32_e32 v41, 32, v41
	s_delay_alu instid0(VALU_DEP_1) | instskip(SKIP_1) | instid1(VALU_DEP_2)
	v_subrev_nc_u32_e32 v42, 28, v41
	v_sub_nc_u32_e32 v41, 29, v41
	v_lshlrev_b64 v[42:43], v42, v[7:8]
	s_delay_alu instid0(VALU_DEP_1)
	v_and_b32_e32 v7, 7, v42
; %bb.437:                              ;   in Loop: Header=BB320_13 Depth=1
	s_or_b32 exec_lo, exec_lo, s23
	v_lshlrev_b32_e32 v42, 8, v40
	v_lshl_add_u32 v41, v41, 10, 0x2000
	s_delay_alu instid0(VALU_DEP_1) | instskip(NEXT) | instid1(VALU_DEP_1)
	v_and_or_b32 v41, 0x8000, v42, v41
	v_lshl_or_b32 v7, v7, 7, v41
	s_delay_alu instid0(VALU_DEP_1)
	v_cvt_f32_f16_e32 v43, v7
.LBB320_438:                            ;   in Loop: Header=BB320_13 Depth=1
	s_or_b32 exec_lo, exec_lo, s22
.LBB320_439:                            ;   in Loop: Header=BB320_13 Depth=1
	s_delay_alu instid0(SALU_CYCLE_1)
	s_or_b32 exec_lo, exec_lo, s21
.LBB320_440:                            ;   in Loop: Header=BB320_13 Depth=1
	s_delay_alu instid0(SALU_CYCLE_1) | instskip(SKIP_2) | instid1(VALU_DEP_1)
	s_or_b32 exec_lo, exec_lo, s20
	v_lshrrev_b16 v7, 8, v40
	s_mov_b32 s20, exec_lo
	v_cmpx_ne_u16_e32 0, v7
	s_cbranch_execz .LBB320_448
; %bb.441:                              ;   in Loop: Header=BB320_13 Depth=1
	v_bfrev_b32_e32 v44, 1
	s_mov_b32 s21, exec_lo
	v_cmpx_ne_u16_e32 0x80, v7
	s_cbranch_execz .LBB320_447
; %bb.442:                              ;   in Loop: Header=BB320_13 Depth=1
	v_and_b32_e32 v41, 0xffff, v7
	v_mov_b32_e32 v44, 0x7fc02000
	s_mov_b32 s22, exec_lo
	s_delay_alu instid0(VALU_DEP_2) | instskip(NEXT) | instid1(VALU_DEP_1)
	v_and_b32_e32 v45, 0x7f, v41
	v_cmpx_ne_u32_e32 0x7f, v45
	s_cbranch_execz .LBB320_446
; %bb.443:                              ;   in Loop: Header=BB320_13 Depth=1
	v_and_b32_e32 v7, 7, v41
	v_lshrrev_b32_e32 v42, 3, v45
	s_mov_b32 s23, exec_lo
	v_cmpx_gt_u32_e32 8, v45
; %bb.444:                              ;   in Loop: Header=BB320_13 Depth=1
	s_delay_alu instid0(VALU_DEP_3) | instskip(NEXT) | instid1(VALU_DEP_1)
	v_clz_i32_u32_e32 v42, v7
	v_min_u32_e32 v42, 32, v42
	s_delay_alu instid0(VALU_DEP_1) | instskip(SKIP_1) | instid1(VALU_DEP_2)
	v_subrev_nc_u32_e32 v44, 28, v42
	v_sub_nc_u32_e32 v42, 29, v42
	v_lshlrev_b64 v[44:45], v44, v[7:8]
	s_delay_alu instid0(VALU_DEP_1)
	v_and_b32_e32 v7, 7, v44
; %bb.445:                              ;   in Loop: Header=BB320_13 Depth=1
	s_or_b32 exec_lo, exec_lo, s23
	v_lshlrev_b32_e32 v41, 8, v41
	v_lshl_add_u32 v42, v42, 10, 0x2000
	s_delay_alu instid0(VALU_DEP_1) | instskip(NEXT) | instid1(VALU_DEP_1)
	v_and_or_b32 v41, 0x8000, v41, v42
	v_lshl_or_b32 v7, v7, 7, v41
	s_delay_alu instid0(VALU_DEP_1)
	v_cvt_f32_f16_e32 v44, v7
.LBB320_446:                            ;   in Loop: Header=BB320_13 Depth=1
	s_or_b32 exec_lo, exec_lo, s22
.LBB320_447:                            ;   in Loop: Header=BB320_13 Depth=1
	s_delay_alu instid0(SALU_CYCLE_1)
	s_or_b32 exec_lo, exec_lo, s21
.LBB320_448:                            ;   in Loop: Header=BB320_13 Depth=1
	s_delay_alu instid0(SALU_CYCLE_1) | instskip(SKIP_3) | instid1(VALU_DEP_2)
	s_or_b32 exec_lo, exec_lo, s20
	v_lshrrev_b32_e32 v41, 16, v40
	v_mov_b32_e32 v47, 0
	s_mov_b32 s20, exec_lo
	v_dual_mov_b32 v56, 0 :: v_dual_and_b32 v7, 0xff, v41
	s_delay_alu instid0(VALU_DEP_1)
	v_cmpx_ne_u16_e32 0, v7
	s_cbranch_execz .LBB320_456
; %bb.449:                              ;   in Loop: Header=BB320_13 Depth=1
	v_bfrev_b32_e32 v56, 1
	s_mov_b32 s21, exec_lo
	v_cmpx_ne_u16_e32 0x80, v7
	s_cbranch_execz .LBB320_455
; %bb.450:                              ;   in Loop: Header=BB320_13 Depth=1
	v_bfe_u32 v45, v40, 16, 7
	v_mov_b32_e32 v56, 0x7fc02000
	s_mov_b32 s22, exec_lo
	s_delay_alu instid0(VALU_DEP_2)
	v_cmpx_ne_u32_e32 0x7f, v45
	s_cbranch_execz .LBB320_454
; %bb.451:                              ;   in Loop: Header=BB320_13 Depth=1
	v_and_b32_e32 v7, 7, v41
	v_lshrrev_b32_e32 v42, 3, v45
	s_mov_b32 s23, exec_lo
	v_cmpx_gt_u32_e32 8, v45
; %bb.452:                              ;   in Loop: Header=BB320_13 Depth=1
	s_delay_alu instid0(VALU_DEP_3) | instskip(NEXT) | instid1(VALU_DEP_1)
	v_clz_i32_u32_e32 v42, v7
	v_min_u32_e32 v42, 32, v42
	s_delay_alu instid0(VALU_DEP_1) | instskip(SKIP_1) | instid1(VALU_DEP_2)
	v_subrev_nc_u32_e32 v45, 28, v42
	v_sub_nc_u32_e32 v42, 29, v42
	v_lshlrev_b64 v[45:46], v45, v[7:8]
	s_delay_alu instid0(VALU_DEP_1)
	v_and_b32_e32 v7, 7, v45
; %bb.453:                              ;   in Loop: Header=BB320_13 Depth=1
	s_or_b32 exec_lo, exec_lo, s23
	v_lshlrev_b32_e32 v41, 8, v41
	v_lshl_add_u32 v42, v42, 10, 0x2000
	s_delay_alu instid0(VALU_DEP_1) | instskip(NEXT) | instid1(VALU_DEP_1)
	v_and_or_b32 v41, 0x8000, v41, v42
	v_lshl_or_b32 v7, v7, 7, v41
	s_delay_alu instid0(VALU_DEP_1)
	v_cvt_f32_f16_e32 v56, v7
.LBB320_454:                            ;   in Loop: Header=BB320_13 Depth=1
	s_or_b32 exec_lo, exec_lo, s22
.LBB320_455:                            ;   in Loop: Header=BB320_13 Depth=1
	s_delay_alu instid0(SALU_CYCLE_1)
	s_or_b32 exec_lo, exec_lo, s21
.LBB320_456:                            ;   in Loop: Header=BB320_13 Depth=1
	s_delay_alu instid0(SALU_CYCLE_1) | instskip(NEXT) | instid1(SALU_CYCLE_1)
	s_or_b32 exec_lo, exec_lo, s20
	s_mov_b32 s20, exec_lo
	v_cmpx_lt_u32_e32 0xffffff, v40
	s_cbranch_execz .LBB320_464
; %bb.457:                              ;   in Loop: Header=BB320_13 Depth=1
	v_lshrrev_b32_e32 v40, 24, v40
	v_bfrev_b32_e32 v47, 1
	s_mov_b32 s21, exec_lo
	s_delay_alu instid0(VALU_DEP_2)
	v_cmpx_ne_u32_e32 0x80, v40
	s_cbranch_execz .LBB320_463
; %bb.458:                              ;   in Loop: Header=BB320_13 Depth=1
	v_and_b32_e32 v42, 0x7f, v40
	v_mov_b32_e32 v47, 0x7fc02000
	s_mov_b32 s22, exec_lo
	s_delay_alu instid0(VALU_DEP_2)
	v_cmpx_ne_u32_e32 0x7f, v42
	s_cbranch_execz .LBB320_462
; %bb.459:                              ;   in Loop: Header=BB320_13 Depth=1
	v_and_b32_e32 v7, 7, v40
	v_lshrrev_b32_e32 v41, 3, v42
	s_mov_b32 s23, exec_lo
	v_cmpx_gt_u32_e32 8, v42
; %bb.460:                              ;   in Loop: Header=BB320_13 Depth=1
	s_delay_alu instid0(VALU_DEP_3) | instskip(NEXT) | instid1(VALU_DEP_1)
	v_clz_i32_u32_e32 v41, v7
	v_min_u32_e32 v41, 32, v41
	s_delay_alu instid0(VALU_DEP_1) | instskip(SKIP_1) | instid1(VALU_DEP_2)
	v_subrev_nc_u32_e32 v42, 28, v41
	v_sub_nc_u32_e32 v41, 29, v41
	v_lshlrev_b64 v[45:46], v42, v[7:8]
	s_delay_alu instid0(VALU_DEP_1)
	v_and_b32_e32 v7, 7, v45
; %bb.461:                              ;   in Loop: Header=BB320_13 Depth=1
	s_or_b32 exec_lo, exec_lo, s23
	v_lshlrev_b32_e32 v40, 8, v40
	v_lshl_add_u32 v41, v41, 10, 0x2000
	s_delay_alu instid0(VALU_DEP_1) | instskip(NEXT) | instid1(VALU_DEP_1)
	v_and_or_b32 v40, 0x8000, v40, v41
	v_lshl_or_b32 v7, v7, 7, v40
	s_delay_alu instid0(VALU_DEP_1)
	v_cvt_f32_f16_e32 v47, v7
.LBB320_462:                            ;   in Loop: Header=BB320_13 Depth=1
	s_or_b32 exec_lo, exec_lo, s22
.LBB320_463:                            ;   in Loop: Header=BB320_13 Depth=1
	s_delay_alu instid0(SALU_CYCLE_1)
	s_or_b32 exec_lo, exec_lo, s21
.LBB320_464:                            ;   in Loop: Header=BB320_13 Depth=1
	s_delay_alu instid0(SALU_CYCLE_1)
	s_or_b32 exec_lo, exec_lo, s20
	flat_load_b32 v42, v[31:32] offset:1792
	v_mov_b32_e32 v41, 0
	s_mov_b32 s20, exec_lo
	s_waitcnt vmcnt(0) lgkmcnt(0)
	v_dual_mov_b32 v40, 0 :: v_dual_and_b32 v7, 0xff, v42
	s_delay_alu instid0(VALU_DEP_1)
	v_cmpx_ne_u16_e32 0, v7
	s_cbranch_execz .LBB320_472
; %bb.465:                              ;   in Loop: Header=BB320_13 Depth=1
	v_bfrev_b32_e32 v40, 1
	s_mov_b32 s21, exec_lo
	v_cmpx_ne_u16_e32 0x80, v7
	s_cbranch_execz .LBB320_471
; %bb.466:                              ;   in Loop: Header=BB320_13 Depth=1
	v_and_b32_e32 v45, 0x7f, v42
	v_mov_b32_e32 v40, 0x7fc02000
	s_mov_b32 s22, exec_lo
	s_delay_alu instid0(VALU_DEP_2)
	v_cmpx_ne_u32_e32 0x7f, v45
	s_cbranch_execz .LBB320_470
; %bb.467:                              ;   in Loop: Header=BB320_13 Depth=1
	v_and_b32_e32 v7, 7, v42
	v_lshrrev_b32_e32 v40, 3, v45
	s_mov_b32 s23, exec_lo
	v_cmpx_gt_u32_e32 8, v45
; %bb.468:                              ;   in Loop: Header=BB320_13 Depth=1
	s_delay_alu instid0(VALU_DEP_3) | instskip(NEXT) | instid1(VALU_DEP_1)
	v_clz_i32_u32_e32 v40, v7
	v_min_u32_e32 v40, 32, v40
	s_delay_alu instid0(VALU_DEP_1) | instskip(SKIP_1) | instid1(VALU_DEP_2)
	v_subrev_nc_u32_e32 v45, 28, v40
	v_sub_nc_u32_e32 v40, 29, v40
	v_lshlrev_b64 v[45:46], v45, v[7:8]
	s_delay_alu instid0(VALU_DEP_1)
	v_and_b32_e32 v7, 7, v45
; %bb.469:                              ;   in Loop: Header=BB320_13 Depth=1
	s_or_b32 exec_lo, exec_lo, s23
	v_lshlrev_b32_e32 v45, 8, v42
	v_lshl_add_u32 v40, v40, 10, 0x2000
	s_delay_alu instid0(VALU_DEP_1) | instskip(NEXT) | instid1(VALU_DEP_1)
	v_and_or_b32 v40, 0x8000, v45, v40
	v_lshl_or_b32 v7, v7, 7, v40
	s_delay_alu instid0(VALU_DEP_1)
	v_cvt_f32_f16_e32 v40, v7
.LBB320_470:                            ;   in Loop: Header=BB320_13 Depth=1
	s_or_b32 exec_lo, exec_lo, s22
.LBB320_471:                            ;   in Loop: Header=BB320_13 Depth=1
	s_delay_alu instid0(SALU_CYCLE_1)
	s_or_b32 exec_lo, exec_lo, s21
.LBB320_472:                            ;   in Loop: Header=BB320_13 Depth=1
	s_delay_alu instid0(SALU_CYCLE_1) | instskip(SKIP_2) | instid1(VALU_DEP_1)
	s_or_b32 exec_lo, exec_lo, s20
	v_lshrrev_b16 v7, 8, v42
	s_mov_b32 s20, exec_lo
	v_cmpx_ne_u16_e32 0, v7
	s_cbranch_execz .LBB320_480
; %bb.473:                              ;   in Loop: Header=BB320_13 Depth=1
	v_bfrev_b32_e32 v41, 1
	s_mov_b32 s21, exec_lo
	v_cmpx_ne_u16_e32 0x80, v7
	s_cbranch_execz .LBB320_479
; %bb.474:                              ;   in Loop: Header=BB320_13 Depth=1
	v_and_b32_e32 v45, 0xffff, v7
	v_mov_b32_e32 v41, 0x7fc02000
	s_mov_b32 s22, exec_lo
	s_delay_alu instid0(VALU_DEP_2) | instskip(NEXT) | instid1(VALU_DEP_1)
	v_and_b32_e32 v46, 0x7f, v45
	v_cmpx_ne_u32_e32 0x7f, v46
	s_cbranch_execz .LBB320_478
; %bb.475:                              ;   in Loop: Header=BB320_13 Depth=1
	v_and_b32_e32 v7, 7, v45
	v_lshrrev_b32_e32 v41, 3, v46
	s_mov_b32 s23, exec_lo
	v_cmpx_gt_u32_e32 8, v46
; %bb.476:                              ;   in Loop: Header=BB320_13 Depth=1
	s_delay_alu instid0(VALU_DEP_3) | instskip(NEXT) | instid1(VALU_DEP_1)
	v_clz_i32_u32_e32 v41, v7
	v_min_u32_e32 v41, 32, v41
	s_delay_alu instid0(VALU_DEP_1) | instskip(SKIP_1) | instid1(VALU_DEP_2)
	v_subrev_nc_u32_e32 v46, 28, v41
	v_sub_nc_u32_e32 v41, 29, v41
	v_lshlrev_b64 v[57:58], v46, v[7:8]
	s_delay_alu instid0(VALU_DEP_1)
	v_and_b32_e32 v7, 7, v57
; %bb.477:                              ;   in Loop: Header=BB320_13 Depth=1
	s_or_b32 exec_lo, exec_lo, s23
	v_lshlrev_b32_e32 v45, 8, v45
	v_lshl_add_u32 v41, v41, 10, 0x2000
	s_delay_alu instid0(VALU_DEP_1) | instskip(NEXT) | instid1(VALU_DEP_1)
	v_and_or_b32 v41, 0x8000, v45, v41
	v_lshl_or_b32 v7, v7, 7, v41
	s_delay_alu instid0(VALU_DEP_1)
	v_cvt_f32_f16_e32 v41, v7
.LBB320_478:                            ;   in Loop: Header=BB320_13 Depth=1
	s_or_b32 exec_lo, exec_lo, s22
.LBB320_479:                            ;   in Loop: Header=BB320_13 Depth=1
	s_delay_alu instid0(SALU_CYCLE_1)
	s_or_b32 exec_lo, exec_lo, s21
.LBB320_480:                            ;   in Loop: Header=BB320_13 Depth=1
	s_delay_alu instid0(SALU_CYCLE_1) | instskip(SKIP_3) | instid1(VALU_DEP_2)
	s_or_b32 exec_lo, exec_lo, s20
	v_lshrrev_b32_e32 v57, 16, v42
	v_mov_b32_e32 v45, 0
	s_mov_b32 s20, exec_lo
	v_dual_mov_b32 v46, 0 :: v_dual_and_b32 v7, 0xff, v57
	s_delay_alu instid0(VALU_DEP_1)
	v_cmpx_ne_u16_e32 0, v7
	s_cbranch_execz .LBB320_488
; %bb.481:                              ;   in Loop: Header=BB320_13 Depth=1
	v_bfrev_b32_e32 v46, 1
	s_mov_b32 s21, exec_lo
	v_cmpx_ne_u16_e32 0x80, v7
	s_cbranch_execz .LBB320_487
; %bb.482:                              ;   in Loop: Header=BB320_13 Depth=1
	v_bfe_u32 v58, v42, 16, 7
	v_mov_b32_e32 v46, 0x7fc02000
	s_mov_b32 s22, exec_lo
	s_delay_alu instid0(VALU_DEP_2)
	v_cmpx_ne_u32_e32 0x7f, v58
	s_cbranch_execz .LBB320_486
; %bb.483:                              ;   in Loop: Header=BB320_13 Depth=1
	v_and_b32_e32 v7, 7, v57
	v_lshrrev_b32_e32 v46, 3, v58
	s_mov_b32 s23, exec_lo
	v_cmpx_gt_u32_e32 8, v58
; %bb.484:                              ;   in Loop: Header=BB320_13 Depth=1
	s_delay_alu instid0(VALU_DEP_3) | instskip(NEXT) | instid1(VALU_DEP_1)
	v_clz_i32_u32_e32 v46, v7
	v_min_u32_e32 v46, 32, v46
	s_delay_alu instid0(VALU_DEP_1) | instskip(SKIP_1) | instid1(VALU_DEP_2)
	v_subrev_nc_u32_e32 v58, 28, v46
	v_sub_nc_u32_e32 v46, 29, v46
	v_lshlrev_b64 v[58:59], v58, v[7:8]
	s_delay_alu instid0(VALU_DEP_1)
	v_and_b32_e32 v7, 7, v58
; %bb.485:                              ;   in Loop: Header=BB320_13 Depth=1
	s_or_b32 exec_lo, exec_lo, s23
	v_lshlrev_b32_e32 v57, 8, v57
	v_lshl_add_u32 v46, v46, 10, 0x2000
	s_delay_alu instid0(VALU_DEP_1) | instskip(NEXT) | instid1(VALU_DEP_1)
	v_and_or_b32 v46, 0x8000, v57, v46
	v_lshl_or_b32 v7, v7, 7, v46
	s_delay_alu instid0(VALU_DEP_1)
	v_cvt_f32_f16_e32 v46, v7
.LBB320_486:                            ;   in Loop: Header=BB320_13 Depth=1
	s_or_b32 exec_lo, exec_lo, s22
.LBB320_487:                            ;   in Loop: Header=BB320_13 Depth=1
	s_delay_alu instid0(SALU_CYCLE_1)
	s_or_b32 exec_lo, exec_lo, s21
.LBB320_488:                            ;   in Loop: Header=BB320_13 Depth=1
	s_delay_alu instid0(SALU_CYCLE_1) | instskip(NEXT) | instid1(SALU_CYCLE_1)
	s_or_b32 exec_lo, exec_lo, s20
	s_mov_b32 s20, exec_lo
	v_cmpx_lt_u32_e32 0xffffff, v42
	s_cbranch_execz .LBB320_496
; %bb.489:                              ;   in Loop: Header=BB320_13 Depth=1
	v_lshrrev_b32_e32 v42, 24, v42
	v_bfrev_b32_e32 v45, 1
	s_mov_b32 s21, exec_lo
	s_delay_alu instid0(VALU_DEP_2)
	v_cmpx_ne_u32_e32 0x80, v42
	s_cbranch_execz .LBB320_495
; %bb.490:                              ;   in Loop: Header=BB320_13 Depth=1
	v_and_b32_e32 v57, 0x7f, v42
	v_mov_b32_e32 v45, 0x7fc02000
	s_mov_b32 s22, exec_lo
	s_delay_alu instid0(VALU_DEP_2)
	v_cmpx_ne_u32_e32 0x7f, v57
	s_cbranch_execz .LBB320_494
; %bb.491:                              ;   in Loop: Header=BB320_13 Depth=1
	v_and_b32_e32 v7, 7, v42
	v_lshrrev_b32_e32 v45, 3, v57
	s_mov_b32 s23, exec_lo
	v_cmpx_gt_u32_e32 8, v57
; %bb.492:                              ;   in Loop: Header=BB320_13 Depth=1
	s_delay_alu instid0(VALU_DEP_3) | instskip(NEXT) | instid1(VALU_DEP_1)
	v_clz_i32_u32_e32 v45, v7
	v_min_u32_e32 v45, 32, v45
	s_delay_alu instid0(VALU_DEP_1) | instskip(SKIP_1) | instid1(VALU_DEP_2)
	v_subrev_nc_u32_e32 v57, 28, v45
	v_sub_nc_u32_e32 v45, 29, v45
	v_lshlrev_b64 v[57:58], v57, v[7:8]
	s_delay_alu instid0(VALU_DEP_1)
	v_and_b32_e32 v7, 7, v57
; %bb.493:                              ;   in Loop: Header=BB320_13 Depth=1
	s_or_b32 exec_lo, exec_lo, s23
	v_lshlrev_b32_e32 v42, 8, v42
	v_lshl_add_u32 v45, v45, 10, 0x2000
	s_delay_alu instid0(VALU_DEP_1) | instskip(NEXT) | instid1(VALU_DEP_1)
	v_and_or_b32 v42, 0x8000, v42, v45
	v_lshl_or_b32 v7, v7, 7, v42
	s_delay_alu instid0(VALU_DEP_1)
	v_cvt_f32_f16_e32 v45, v7
.LBB320_494:                            ;   in Loop: Header=BB320_13 Depth=1
	s_or_b32 exec_lo, exec_lo, s22
.LBB320_495:                            ;   in Loop: Header=BB320_13 Depth=1
	s_delay_alu instid0(SALU_CYCLE_1)
	s_or_b32 exec_lo, exec_lo, s21
.LBB320_496:                            ;   in Loop: Header=BB320_13 Depth=1
	s_delay_alu instid0(SALU_CYCLE_1)
	s_or_b32 exec_lo, exec_lo, s20
	flat_load_b32 v32, v[31:32] offset:1800
	v_mov_b32_e32 v57, 0
	v_mov_b32_e32 v31, 0
	s_mov_b32 s20, exec_lo
	s_waitcnt vmcnt(0) lgkmcnt(0)
	v_and_b32_e32 v7, 0xff, v32
	s_delay_alu instid0(VALU_DEP_1)
	v_cmpx_ne_u16_e32 0, v7
	s_cbranch_execz .LBB320_504
; %bb.497:                              ;   in Loop: Header=BB320_13 Depth=1
	v_bfrev_b32_e32 v31, 1
	s_mov_b32 s21, exec_lo
	v_cmpx_ne_u16_e32 0x80, v7
	s_cbranch_execz .LBB320_503
; %bb.498:                              ;   in Loop: Header=BB320_13 Depth=1
	v_and_b32_e32 v42, 0x7f, v32
	v_mov_b32_e32 v31, 0x7fc02000
	s_mov_b32 s22, exec_lo
	s_delay_alu instid0(VALU_DEP_2)
	v_cmpx_ne_u32_e32 0x7f, v42
	s_cbranch_execz .LBB320_502
; %bb.499:                              ;   in Loop: Header=BB320_13 Depth=1
	v_and_b32_e32 v7, 7, v32
	v_lshrrev_b32_e32 v31, 3, v42
	s_mov_b32 s23, exec_lo
	v_cmpx_gt_u32_e32 8, v42
; %bb.500:                              ;   in Loop: Header=BB320_13 Depth=1
	s_delay_alu instid0(VALU_DEP_3) | instskip(NEXT) | instid1(VALU_DEP_1)
	v_clz_i32_u32_e32 v31, v7
	v_min_u32_e32 v31, 32, v31
	s_delay_alu instid0(VALU_DEP_1) | instskip(SKIP_1) | instid1(VALU_DEP_2)
	v_subrev_nc_u32_e32 v42, 28, v31
	v_sub_nc_u32_e32 v31, 29, v31
	v_lshlrev_b64 v[58:59], v42, v[7:8]
	s_delay_alu instid0(VALU_DEP_1)
	v_and_b32_e32 v7, 7, v58
; %bb.501:                              ;   in Loop: Header=BB320_13 Depth=1
	s_or_b32 exec_lo, exec_lo, s23
	v_lshlrev_b32_e32 v42, 8, v32
	v_lshl_add_u32 v31, v31, 10, 0x2000
	s_delay_alu instid0(VALU_DEP_1) | instskip(NEXT) | instid1(VALU_DEP_1)
	v_and_or_b32 v31, 0x8000, v42, v31
	v_lshl_or_b32 v7, v7, 7, v31
	s_delay_alu instid0(VALU_DEP_1)
	v_cvt_f32_f16_e32 v31, v7
.LBB320_502:                            ;   in Loop: Header=BB320_13 Depth=1
	s_or_b32 exec_lo, exec_lo, s22
.LBB320_503:                            ;   in Loop: Header=BB320_13 Depth=1
	s_delay_alu instid0(SALU_CYCLE_1)
	s_or_b32 exec_lo, exec_lo, s21
.LBB320_504:                            ;   in Loop: Header=BB320_13 Depth=1
	s_delay_alu instid0(SALU_CYCLE_1) | instskip(SKIP_2) | instid1(VALU_DEP_1)
	s_or_b32 exec_lo, exec_lo, s20
	v_lshrrev_b16 v7, 8, v32
	s_mov_b32 s20, exec_lo
	v_cmpx_ne_u16_e32 0, v7
	s_cbranch_execz .LBB320_512
; %bb.505:                              ;   in Loop: Header=BB320_13 Depth=1
	v_bfrev_b32_e32 v57, 1
	s_mov_b32 s21, exec_lo
	v_cmpx_ne_u16_e32 0x80, v7
	s_cbranch_execz .LBB320_511
; %bb.506:                              ;   in Loop: Header=BB320_13 Depth=1
	v_and_b32_e32 v42, 0xffff, v7
	v_mov_b32_e32 v57, 0x7fc02000
	s_mov_b32 s22, exec_lo
	s_delay_alu instid0(VALU_DEP_2) | instskip(NEXT) | instid1(VALU_DEP_1)
	v_and_b32_e32 v58, 0x7f, v42
	v_cmpx_ne_u32_e32 0x7f, v58
	s_cbranch_execz .LBB320_510
; %bb.507:                              ;   in Loop: Header=BB320_13 Depth=1
	v_and_b32_e32 v7, 7, v42
	v_lshrrev_b32_e32 v57, 3, v58
	s_mov_b32 s23, exec_lo
	v_cmpx_gt_u32_e32 8, v58
; %bb.508:                              ;   in Loop: Header=BB320_13 Depth=1
	s_delay_alu instid0(VALU_DEP_3) | instskip(NEXT) | instid1(VALU_DEP_1)
	v_clz_i32_u32_e32 v57, v7
	v_min_u32_e32 v57, 32, v57
	s_delay_alu instid0(VALU_DEP_1) | instskip(SKIP_1) | instid1(VALU_DEP_2)
	v_subrev_nc_u32_e32 v58, 28, v57
	v_sub_nc_u32_e32 v57, 29, v57
	v_lshlrev_b64 v[58:59], v58, v[7:8]
	s_delay_alu instid0(VALU_DEP_1)
	v_and_b32_e32 v7, 7, v58
; %bb.509:                              ;   in Loop: Header=BB320_13 Depth=1
	s_or_b32 exec_lo, exec_lo, s23
	v_lshlrev_b32_e32 v42, 8, v42
	v_lshl_add_u32 v57, v57, 10, 0x2000
	s_delay_alu instid0(VALU_DEP_1) | instskip(NEXT) | instid1(VALU_DEP_1)
	v_and_or_b32 v42, 0x8000, v42, v57
	v_lshl_or_b32 v7, v7, 7, v42
	s_delay_alu instid0(VALU_DEP_1)
	v_cvt_f32_f16_e32 v57, v7
.LBB320_510:                            ;   in Loop: Header=BB320_13 Depth=1
	s_or_b32 exec_lo, exec_lo, s22
.LBB320_511:                            ;   in Loop: Header=BB320_13 Depth=1
	s_delay_alu instid0(SALU_CYCLE_1)
	s_or_b32 exec_lo, exec_lo, s21
.LBB320_512:                            ;   in Loop: Header=BB320_13 Depth=1
	s_delay_alu instid0(SALU_CYCLE_1) | instskip(SKIP_3) | instid1(VALU_DEP_2)
	s_or_b32 exec_lo, exec_lo, s20
	v_lshrrev_b32_e32 v42, 16, v32
	v_mov_b32_e32 v59, 0
	s_mov_b32 s20, exec_lo
	v_dual_mov_b32 v58, 0 :: v_dual_and_b32 v7, 0xff, v42
	s_delay_alu instid0(VALU_DEP_1)
	v_cmpx_ne_u16_e32 0, v7
	s_cbranch_execz .LBB320_520
; %bb.513:                              ;   in Loop: Header=BB320_13 Depth=1
	v_bfrev_b32_e32 v59, 1
	s_mov_b32 s21, exec_lo
	v_cmpx_ne_u16_e32 0x80, v7
	s_cbranch_execz .LBB320_519
; %bb.514:                              ;   in Loop: Header=BB320_13 Depth=1
	v_bfe_u32 v60, v32, 16, 7
	v_mov_b32_e32 v59, 0x7fc02000
	s_mov_b32 s22, exec_lo
	s_delay_alu instid0(VALU_DEP_2)
	v_cmpx_ne_u32_e32 0x7f, v60
	s_cbranch_execz .LBB320_518
; %bb.515:                              ;   in Loop: Header=BB320_13 Depth=1
	v_and_b32_e32 v7, 7, v42
	v_lshrrev_b32_e32 v59, 3, v60
	s_mov_b32 s23, exec_lo
	v_cmpx_gt_u32_e32 8, v60
; %bb.516:                              ;   in Loop: Header=BB320_13 Depth=1
	s_delay_alu instid0(VALU_DEP_3) | instskip(NEXT) | instid1(VALU_DEP_1)
	v_clz_i32_u32_e32 v59, v7
	v_min_u32_e32 v59, 32, v59
	s_delay_alu instid0(VALU_DEP_1) | instskip(SKIP_1) | instid1(VALU_DEP_2)
	v_subrev_nc_u32_e32 v60, 28, v59
	v_sub_nc_u32_e32 v59, 29, v59
	v_lshlrev_b64 v[60:61], v60, v[7:8]
	s_delay_alu instid0(VALU_DEP_1)
	v_and_b32_e32 v7, 7, v60
; %bb.517:                              ;   in Loop: Header=BB320_13 Depth=1
	s_or_b32 exec_lo, exec_lo, s23
	v_lshlrev_b32_e32 v42, 8, v42
	v_lshl_add_u32 v59, v59, 10, 0x2000
	s_delay_alu instid0(VALU_DEP_1) | instskip(NEXT) | instid1(VALU_DEP_1)
	v_and_or_b32 v42, 0x8000, v42, v59
	v_lshl_or_b32 v7, v7, 7, v42
	s_delay_alu instid0(VALU_DEP_1)
	v_cvt_f32_f16_e32 v59, v7
.LBB320_518:                            ;   in Loop: Header=BB320_13 Depth=1
	s_or_b32 exec_lo, exec_lo, s22
.LBB320_519:                            ;   in Loop: Header=BB320_13 Depth=1
	s_delay_alu instid0(SALU_CYCLE_1)
	s_or_b32 exec_lo, exec_lo, s21
.LBB320_520:                            ;   in Loop: Header=BB320_13 Depth=1
	s_delay_alu instid0(SALU_CYCLE_1) | instskip(NEXT) | instid1(SALU_CYCLE_1)
	s_or_b32 exec_lo, exec_lo, s20
	s_mov_b32 s20, exec_lo
	v_cmpx_lt_u32_e32 0xffffff, v32
	s_cbranch_execz .LBB320_528
; %bb.521:                              ;   in Loop: Header=BB320_13 Depth=1
	v_lshrrev_b32_e32 v32, 24, v32
	v_bfrev_b32_e32 v58, 1
	s_mov_b32 s21, exec_lo
	s_delay_alu instid0(VALU_DEP_2)
	v_cmpx_ne_u32_e32 0x80, v32
	s_cbranch_execz .LBB320_527
; %bb.522:                              ;   in Loop: Header=BB320_13 Depth=1
	v_and_b32_e32 v60, 0x7f, v32
	v_mov_b32_e32 v58, 0x7fc02000
	s_mov_b32 s22, exec_lo
	s_delay_alu instid0(VALU_DEP_2)
	v_cmpx_ne_u32_e32 0x7f, v60
	s_cbranch_execz .LBB320_526
; %bb.523:                              ;   in Loop: Header=BB320_13 Depth=1
	v_and_b32_e32 v7, 7, v32
	v_lshrrev_b32_e32 v42, 3, v60
	s_mov_b32 s23, exec_lo
	v_cmpx_gt_u32_e32 8, v60
; %bb.524:                              ;   in Loop: Header=BB320_13 Depth=1
	s_delay_alu instid0(VALU_DEP_3) | instskip(NEXT) | instid1(VALU_DEP_1)
	v_clz_i32_u32_e32 v42, v7
	v_min_u32_e32 v42, 32, v42
	s_delay_alu instid0(VALU_DEP_1) | instskip(SKIP_1) | instid1(VALU_DEP_2)
	v_subrev_nc_u32_e32 v58, 28, v42
	v_sub_nc_u32_e32 v42, 29, v42
	v_lshlrev_b64 v[60:61], v58, v[7:8]
	s_delay_alu instid0(VALU_DEP_1)
	v_and_b32_e32 v7, 7, v60
; %bb.525:                              ;   in Loop: Header=BB320_13 Depth=1
	s_or_b32 exec_lo, exec_lo, s23
	v_lshlrev_b32_e32 v32, 8, v32
	v_lshl_add_u32 v42, v42, 10, 0x2000
	s_delay_alu instid0(VALU_DEP_1) | instskip(NEXT) | instid1(VALU_DEP_1)
	v_and_or_b32 v32, 0x8000, v32, v42
	v_lshl_or_b32 v7, v7, 7, v32
	s_delay_alu instid0(VALU_DEP_1)
	v_cvt_f32_f16_e32 v58, v7
.LBB320_526:                            ;   in Loop: Header=BB320_13 Depth=1
	s_or_b32 exec_lo, exec_lo, s22
.LBB320_527:                            ;   in Loop: Header=BB320_13 Depth=1
	s_delay_alu instid0(SALU_CYCLE_1)
	s_or_b32 exec_lo, exec_lo, s21
.LBB320_528:                            ;   in Loop: Header=BB320_13 Depth=1
	s_delay_alu instid0(SALU_CYCLE_1)
	s_or_b32 exec_lo, exec_lo, s20
	v_fma_mixlo_f16 v60, v83, v87, 0
	v_fma_mixlo_f16 v61, v83, v86, 0
	ds_load_b64 v[86:87], v68
	v_fma_mixlo_f16 v32, v83, v45, 0
	v_fma_mixlo_f16 v45, v83, v44, 0
	;; [unrolled: 1-line block ×62, first 2 shown]
	s_waitcnt lgkmcnt(0)
	v_lshrrev_b32_e32 v83, 16, v86
	v_and_b32_e32 v86, 0xffff, v86
	;;#ASMSTART
	v_cvt_f32_f16 v57, v86;
	;;#ASMEND
	;;#ASMSTART
	v_cvt_f32_f16 v58, v83;
	;;#ASMEND
	v_and_b32_e32 v83, 0xffff, v131
	;;#ASMSTART
	v_cvt_f32_f16 v131, v83;
	;;#ASMEND
	v_and_b32_e32 v83, 0xffff, v130
	;;#ASMSTART
	v_cvt_f32_f16 v130, v83;
	;;#ASMEND
	v_lshrrev_b32_e32 v83, 16, v87
	v_and_b32_e32 v86, 0xffff, v87
	;;#ASMSTART
	v_cvt_f32_f16 v59, v86;
	;;#ASMEND
	;;#ASMSTART
	v_cvt_f32_f16 v62, v83;
	;;#ASMEND
	v_and_b32_e32 v83, 0xffff, v60
	;;#ASMSTART
	v_cvt_f32_f16 v60, v83;
	;;#ASMEND
	v_and_b32_e32 v83, 0xffff, v61
	;;#ASMSTART
	v_cvt_f32_f16 v61, v83;
	;;#ASMEND
	ds_load_b64 v[86:87], v68 offset:8
	v_and_b32_e32 v101, 0xffff, v101
	v_and_b32_e32 v32, 0xffff, v32
	v_and_b32_e32 v85, 0xffff, v85
	v_and_b32_e32 v84, 0xffff, v84
	v_and_b32_e32 v31, 0xffff, v31
	v_and_b32_e32 v7, 0xffff, v7
	s_waitcnt lgkmcnt(0)
	v_lshrrev_b32_e32 v83, 16, v86
	v_and_b32_e32 v86, 0xffff, v86
	;;#ASMSTART
	v_cvt_f32_f16 v86, v86;
	;;#ASMEND
	;;#ASMSTART
	v_cvt_f32_f16 v63, v83;
	;;#ASMEND
	v_and_b32_e32 v83, 0xffff, v96
	;;#ASMSTART
	v_cvt_f32_f16 v83, v83;
	;;#ASMEND
	s_delay_alu instid0(VALU_DEP_1) | instskip(SKIP_1) | instid1(VALU_DEP_1)
	v_dual_mul_f32 v83, v86, v83 :: v_dual_and_b32 v96, 0xffff, v97
	;;#ASMSTART
	v_cvt_f32_f16 v96, v96;
	;;#ASMEND
	v_mul_f32_e32 v86, v63, v96
	v_lshrrev_b32_e32 v96, 16, v87
	v_and_b32_e32 v87, 0xffff, v87
	v_fmac_f32_e32 v83, v57, v131
	v_and_b32_e32 v97, 0xffff, v99
	v_and_b32_e32 v98, 0xffff, v98
	;;#ASMSTART
	v_cvt_f32_f16 v87, v87;
	;;#ASMEND
	;;#ASMSTART
	v_cvt_f32_f16 v96, v96;
	;;#ASMEND
	;; [unrolled: 3-line block ×4, first 2 shown]
	v_dual_mul_f32 v87, v87, v97 :: v_dual_mul_f32 v96, v96, v98
	ds_load_b64 v[97:98], v68 offset:16
	v_dual_fmac_f32 v86, v58, v130 :: v_dual_fmac_f32 v87, v59, v60
	v_fmac_f32_e32 v96, v62, v61
	v_and_b32_e32 v100, 0xffff, v100
	s_waitcnt lgkmcnt(0)
	v_lshrrev_b32_e32 v99, 16, v97
	v_and_b32_e32 v97, 0xffff, v97
	;;#ASMSTART
	v_cvt_f32_f16 v97, v97;
	;;#ASMEND
	;;#ASMSTART
	v_cvt_f32_f16 v99, v99;
	;;#ASMEND
	;; [unrolled: 3-line block ×4, first 2 shown]
	v_dual_fmac_f32 v83, v97, v100 :: v_dual_fmac_f32 v86, v99, v101
	v_lshrrev_b32_e32 v97, 16, v98
	v_and_b32_e32 v98, 0xffff, v98
	v_and_b32_e32 v99, 0xffff, v103
	;;#ASMSTART
	v_cvt_f32_f16 v98, v98;
	;;#ASMEND
	;;#ASMSTART
	v_cvt_f32_f16 v97, v97;
	;;#ASMEND
	;; [unrolled: 3-line block ×3, first 2 shown]
	s_delay_alu instid0(VALU_DEP_1) | instskip(SKIP_1) | instid1(VALU_DEP_1)
	v_dual_fmac_f32 v87, v98, v99 :: v_dual_and_b32 v100, 0xffff, v102
	;;#ASMSTART
	v_cvt_f32_f16 v100, v100;
	;;#ASMEND
	v_fmac_f32_e32 v96, v97, v100
	ds_load_b64 v[97:98], v68 offset:24
	v_and_b32_e32 v100, 0xffff, v112
	v_and_b32_e32 v101, 0xffff, v113
	s_waitcnt lgkmcnt(0)
	v_lshrrev_b32_e32 v99, 16, v97
	v_and_b32_e32 v97, 0xffff, v97
	;;#ASMSTART
	v_cvt_f32_f16 v97, v97;
	;;#ASMEND
	;;#ASMSTART
	v_cvt_f32_f16 v99, v99;
	;;#ASMEND
	;; [unrolled: 3-line block ×3, first 2 shown]
	s_delay_alu instid0(VALU_DEP_1)
	v_fmac_f32_e32 v83, v97, v100
	v_lshrrev_b32_e32 v97, 16, v98
	v_and_b32_e32 v98, 0xffff, v98
	;;#ASMSTART
	v_cvt_f32_f16 v101, v101;
	;;#ASMEND
	v_fmac_f32_e32 v86, v99, v101
	;;#ASMSTART
	v_cvt_f32_f16 v98, v98;
	;;#ASMEND
	;;#ASMSTART
	v_cvt_f32_f16 v97, v97;
	;;#ASMEND
	v_and_b32_e32 v99, 0xffff, v115
	v_and_b32_e32 v100, 0xffff, v114
	;;#ASMSTART
	v_cvt_f32_f16 v99, v99;
	;;#ASMEND
	;;#ASMSTART
	v_cvt_f32_f16 v100, v100;
	;;#ASMEND
	s_delay_alu instid0(VALU_DEP_1)
	v_dual_fmac_f32 v87, v98, v99 :: v_dual_fmac_f32 v96, v97, v100
	ds_load_b64 v[97:98], v68 offset:32
	v_and_b32_e32 v100, 0xffff, v116
	v_and_b32_e32 v101, 0xffff, v117
	s_waitcnt lgkmcnt(0)
	v_lshrrev_b32_e32 v99, 16, v97
	v_and_b32_e32 v97, 0xffff, v97
	;;#ASMSTART
	v_cvt_f32_f16 v97, v97;
	;;#ASMEND
	;;#ASMSTART
	v_cvt_f32_f16 v99, v99;
	;;#ASMEND
	;; [unrolled: 3-line block ×3, first 2 shown]
	s_delay_alu instid0(VALU_DEP_1)
	v_fmac_f32_e32 v83, v97, v100
	v_lshrrev_b32_e32 v97, 16, v98
	v_and_b32_e32 v98, 0xffff, v98
	;;#ASMSTART
	v_cvt_f32_f16 v101, v101;
	;;#ASMEND
	v_dual_fmac_f32 v86, v99, v101 :: v_dual_and_b32 v99, 0xffff, v119
	;;#ASMSTART
	v_cvt_f32_f16 v98, v98;
	;;#ASMEND
	;;#ASMSTART
	v_cvt_f32_f16 v97, v97;
	;;#ASMEND
	v_and_b32_e32 v100, 0xffff, v118
	;;#ASMSTART
	v_cvt_f32_f16 v99, v99;
	;;#ASMEND
	;;#ASMSTART
	v_cvt_f32_f16 v100, v100;
	;;#ASMEND
	s_delay_alu instid0(VALU_DEP_1)
	v_dual_fmac_f32 v87, v98, v99 :: v_dual_fmac_f32 v96, v97, v100
	ds_load_b64 v[97:98], v68 offset:40
	v_and_b32_e32 v100, 0xffff, v135
	v_and_b32_e32 v101, 0xffff, v134
	s_waitcnt lgkmcnt(0)
	v_lshrrev_b32_e32 v99, 16, v97
	v_and_b32_e32 v97, 0xffff, v97
	;;#ASMSTART
	v_cvt_f32_f16 v97, v97;
	;;#ASMEND
	;;#ASMSTART
	v_cvt_f32_f16 v99, v99;
	;;#ASMEND
	;;#ASMSTART
	v_cvt_f32_f16 v100, v100;
	;;#ASMEND
	s_delay_alu instid0(VALU_DEP_1)
	v_fmac_f32_e32 v83, v97, v100
	v_lshrrev_b32_e32 v97, 16, v98
	v_and_b32_e32 v98, 0xffff, v98
	;;#ASMSTART
	v_cvt_f32_f16 v101, v101;
	;;#ASMEND
	v_dual_fmac_f32 v86, v99, v101 :: v_dual_and_b32 v101, 0xffff, v146
	;;#ASMSTART
	v_cvt_f32_f16 v98, v98;
	;;#ASMEND
	;;#ASMSTART
	v_cvt_f32_f16 v97, v97;
	;;#ASMEND
	v_and_b32_e32 v99, 0xffff, v129
	v_and_b32_e32 v100, 0xffff, v128
	;;#ASMSTART
	v_cvt_f32_f16 v99, v99;
	;;#ASMEND
	;;#ASMSTART
	v_cvt_f32_f16 v100, v100;
	;;#ASMEND
	s_delay_alu instid0(VALU_DEP_1)
	v_dual_fmac_f32 v87, v98, v99 :: v_dual_fmac_f32 v96, v97, v100
	ds_load_b64 v[97:98], v68 offset:48
	v_and_b32_e32 v100, 0xffff, v147
	s_waitcnt lgkmcnt(0)
	v_lshrrev_b32_e32 v99, 16, v97
	v_and_b32_e32 v97, 0xffff, v97
	;;#ASMSTART
	v_cvt_f32_f16 v97, v97;
	;;#ASMEND
	;;#ASMSTART
	v_cvt_f32_f16 v99, v99;
	;;#ASMEND
	;;#ASMSTART
	v_cvt_f32_f16 v100, v100;
	;;#ASMEND
	s_delay_alu instid0(VALU_DEP_1)
	v_fmac_f32_e32 v83, v97, v100
	v_lshrrev_b32_e32 v97, 16, v98
	v_and_b32_e32 v98, 0xffff, v98
	;;#ASMSTART
	v_cvt_f32_f16 v101, v101;
	;;#ASMEND
	v_dual_fmac_f32 v86, v99, v101 :: v_dual_and_b32 v101, 0xffff, v150
	;;#ASMSTART
	v_cvt_f32_f16 v98, v98;
	;;#ASMEND
	;;#ASMSTART
	v_cvt_f32_f16 v97, v97;
	;;#ASMEND
	v_and_b32_e32 v99, 0xffff, v133
	v_and_b32_e32 v100, 0xffff, v132
	;;#ASMSTART
	v_cvt_f32_f16 v99, v99;
	;;#ASMEND
	;;#ASMSTART
	v_cvt_f32_f16 v100, v100;
	;;#ASMEND
	s_delay_alu instid0(VALU_DEP_1)
	v_dual_fmac_f32 v87, v98, v99 :: v_dual_fmac_f32 v96, v97, v100
	ds_load_b64 v[97:98], v68 offset:56
	;; [unrolled: 38-line block ×7, first 2 shown]
	v_and_b32_e32 v100, 0xffff, v56
	s_waitcnt lgkmcnt(0)
	v_lshrrev_b32_e32 v99, 16, v97
	v_and_b32_e32 v97, 0xffff, v97
	;;#ASMSTART
	v_cvt_f32_f16 v97, v97;
	;;#ASMEND
	;;#ASMSTART
	v_cvt_f32_f16 v99, v99;
	;;#ASMEND
	;;#ASMSTART
	v_cvt_f32_f16 v100, v100;
	;;#ASMEND
	s_delay_alu instid0(VALU_DEP_1)
	v_fmac_f32_e32 v83, v97, v100
	v_lshrrev_b32_e32 v97, 16, v98
	v_and_b32_e32 v98, 0xffff, v98
	;;#ASMSTART
	v_cvt_f32_f16 v101, v101;
	;;#ASMEND
	v_fmac_f32_e32 v86, v99, v101
	;;#ASMSTART
	v_cvt_f32_f16 v98, v98;
	;;#ASMEND
	;;#ASMSTART
	v_cvt_f32_f16 v97, v97;
	;;#ASMEND
	v_and_b32_e32 v99, 0xffff, v181
	v_and_b32_e32 v100, 0xffff, v180
	;;#ASMSTART
	v_cvt_f32_f16 v99, v99;
	;;#ASMEND
	;;#ASMSTART
	v_cvt_f32_f16 v100, v100;
	;;#ASMEND
	s_delay_alu instid0(VALU_DEP_1)
	v_dual_fmac_f32 v87, v98, v99 :: v_dual_fmac_f32 v96, v97, v100
	ds_load_b64 v[97:98], v68 offset:104
	v_and_b32_e32 v100, 0xffff, v46
	v_and_b32_e32 v101, 0xffff, v45
	s_waitcnt lgkmcnt(0)
	v_lshrrev_b32_e32 v99, 16, v97
	v_and_b32_e32 v97, 0xffff, v97
	;;#ASMSTART
	v_cvt_f32_f16 v97, v97;
	;;#ASMEND
	;;#ASMSTART
	v_cvt_f32_f16 v99, v99;
	;;#ASMEND
	;; [unrolled: 3-line block ×3, first 2 shown]
	s_delay_alu instid0(VALU_DEP_1)
	v_fmac_f32_e32 v83, v97, v100
	v_lshrrev_b32_e32 v97, 16, v98
	v_and_b32_e32 v98, 0xffff, v98
	;;#ASMSTART
	v_cvt_f32_f16 v101, v101;
	;;#ASMEND
	v_dual_fmac_f32 v86, v99, v101 :: v_dual_and_b32 v99, 0xffff, v44
	;;#ASMSTART
	v_cvt_f32_f16 v98, v98;
	;;#ASMEND
	;;#ASMSTART
	v_cvt_f32_f16 v97, v97;
	;;#ASMEND
	v_and_b32_e32 v100, 0xffff, v43
	;;#ASMSTART
	v_cvt_f32_f16 v99, v99;
	;;#ASMEND
	;;#ASMSTART
	v_cvt_f32_f16 v100, v100;
	;;#ASMEND
	s_delay_alu instid0(VALU_DEP_1)
	v_dual_fmac_f32 v87, v98, v99 :: v_dual_fmac_f32 v96, v97, v100
	ds_load_b64 v[97:98], v68 offset:112
	v_and_b32_e32 v100, 0xffff, v42
	v_and_b32_e32 v101, 0xffff, v41
	s_waitcnt lgkmcnt(0)
	v_lshrrev_b32_e32 v99, 16, v97
	v_and_b32_e32 v97, 0xffff, v97
	;;#ASMSTART
	v_cvt_f32_f16 v97, v97;
	;;#ASMEND
	;;#ASMSTART
	v_cvt_f32_f16 v99, v99;
	;;#ASMEND
	;; [unrolled: 3-line block ×3, first 2 shown]
	s_delay_alu instid0(VALU_DEP_1)
	v_fmac_f32_e32 v83, v97, v100
	v_lshrrev_b32_e32 v97, 16, v98
	v_and_b32_e32 v98, 0xffff, v98
	;;#ASMSTART
	v_cvt_f32_f16 v101, v101;
	;;#ASMEND
	v_dual_fmac_f32 v86, v99, v101 :: v_dual_and_b32 v99, 0xffff, v40
	;;#ASMSTART
	v_cvt_f32_f16 v98, v98;
	;;#ASMEND
	;;#ASMSTART
	v_cvt_f32_f16 v97, v97;
	;;#ASMEND
	;;#ASMSTART
	v_cvt_f32_f16 v99, v99;
	;;#ASMEND
	;;#ASMSTART
	v_cvt_f32_f16 v32, v32;
	;;#ASMEND
	v_dual_fmac_f32 v87, v98, v99 :: v_dual_fmac_f32 v96, v97, v32
	ds_load_b64 v[97:98], v68 offset:120
	s_waitcnt lgkmcnt(0)
	v_lshrrev_b32_e32 v32, 16, v97
	v_and_b32_e32 v97, 0xffff, v97
	;;#ASMSTART
	v_cvt_f32_f16 v97, v97;
	;;#ASMEND
	;;#ASMSTART
	v_cvt_f32_f16 v32, v32;
	;;#ASMEND
	;; [unrolled: 3-line block ×4, first 2 shown]
	v_fmac_f32_e32 v86, v32, v84
	v_lshrrev_b32_e32 v32, 16, v98
	v_and_b32_e32 v84, 0xffff, v98
	;;#ASMSTART
	v_cvt_f32_f16 v84, v84;
	;;#ASMEND
	;;#ASMSTART
	v_cvt_f32_f16 v32, v32;
	;;#ASMEND
	;; [unrolled: 3-line block ×3, first 2 shown]
	v_fmac_f32_e32 v83, v97, v85
	v_fmac_f32_e32 v87, v84, v31
	v_xor_b32_e32 v31, 1, v64
	;;#ASMSTART
	v_cvt_f32_f16 v7, v7;
	;;#ASMEND
	s_delay_alu instid0(VALU_DEP_3) | instskip(NEXT) | instid1(VALU_DEP_2)
	v_dual_fmac_f32 v96, v32, v7 :: v_dual_add_f32 v7, v83, v86
	v_cmp_gt_i32_e64 s2, 32, v31
	s_delay_alu instid0(VALU_DEP_2) | instskip(NEXT) | instid1(VALU_DEP_2)
	v_add_f32_e32 v7, v7, v87
	v_cndmask_b32_e64 v31, v64, v31, s2
	s_delay_alu instid0(VALU_DEP_2) | instskip(NEXT) | instid1(VALU_DEP_2)
	v_add_f32_e32 v7, v96, v7
	v_lshlrev_b32_e32 v31, 2, v31
	ds_bpermute_b32 v31, v31, v7
	s_and_saveexec_b32 s20, vcc_lo
	s_cbranch_execz .LBB320_11
; %bb.529:                              ;   in Loop: Header=BB320_13 Depth=1
	s_waitcnt lgkmcnt(0)
	v_dual_add_f32 v7, v7, v31 :: v_dual_add_nc_u32 v32, v80, v69
	s_load_b32 s21, s[8:9], 0x0
	s_delay_alu instid0(VALU_DEP_1) | instskip(NEXT) | instid1(VALU_DEP_1)
	v_cvt_f32_i32_e32 v32, v32
	v_mul_f32_e32 v32, v55, v32
	s_delay_alu instid0(VALU_DEP_1) | instskip(SKIP_1) | instid1(VALU_DEP_2)
	v_cndmask_b32_e64 v31, 0, v32, s1
	v_max_f32_e32 v32, v65, v65
	v_fmac_f32_e32 v31, v7, v13
	s_delay_alu instid0(VALU_DEP_1) | instskip(NEXT) | instid1(VALU_DEP_1)
	v_dual_max_f32 v32, v32, v31 :: v_dual_add_nc_u32 v7, v67, v69
	v_cmp_lt_i32_e64 s2, v7, v35
	s_waitcnt lgkmcnt(0)
	v_add_nc_u32_e32 v7, s21, v71
	s_delay_alu instid0(VALU_DEP_2)
	v_cndmask_b32_e64 v31, 0, v31, s2
	v_cndmask_b32_e64 v65, v65, v32, s2
	ds_store_b32 v7, v31
	s_branch .LBB320_11
.LBB320_530:
	s_or_b32 exec_lo, exec_lo, s19
.LBB320_531:
	s_delay_alu instid0(SALU_CYCLE_1)
	s_or_b32 exec_lo, exec_lo, s18
	v_xor_b32_e32 v7, 16, v64
	v_xor_b32_e32 v8, 8, v64
	s_waitcnt lgkmcnt(0)
	s_lshr_b32 s8, s17, 16
	v_and_b32_e32 v20, 31, v34
	v_lshlrev_b32_e32 v28, 2, v48
	v_cmp_gt_i32_e32 vcc_lo, 32, v7
	v_cndmask_b32_e32 v7, v64, v7, vcc_lo
	v_cmp_gt_i32_e32 vcc_lo, 32, v8
	v_dual_max_f32 v9, v65, v65 :: v_dual_cndmask_b32 v8, v64, v8
	s_delay_alu instid0(VALU_DEP_1) | instskip(NEXT) | instid1(VALU_DEP_4)
	v_lshlrev_b32_e32 v24, 2, v8
	v_lshlrev_b32_e32 v13, 2, v7
	ds_bpermute_b32 v7, v13, v65
	s_waitcnt lgkmcnt(0)
	v_max_f32_e32 v7, v7, v7
	s_delay_alu instid0(VALU_DEP_1) | instskip(SKIP_4) | instid1(VALU_DEP_1)
	v_max_f32_e32 v7, v9, v7
	v_xor_b32_e32 v9, 4, v64
	ds_bpermute_b32 v8, v24, v7
	v_cmp_gt_i32_e32 vcc_lo, 32, v9
	v_cndmask_b32_e32 v9, v64, v9, vcc_lo
	v_lshlrev_b32_e32 v25, 2, v9
	v_xor_b32_e32 v9, 2, v64
	s_delay_alu instid0(VALU_DEP_1) | instskip(SKIP_4) | instid1(VALU_DEP_3)
	v_cmp_gt_i32_e32 vcc_lo, 32, v9
	s_waitcnt lgkmcnt(0)
	v_max_f32_e32 v8, v8, v8
	v_cndmask_b32_e32 v9, v64, v9, vcc_lo
	v_cmp_eq_u32_e32 vcc_lo, 0, v20
	v_max_f32_e32 v7, v7, v8
	s_delay_alu instid0(VALU_DEP_3) | instskip(SKIP_3) | instid1(VALU_DEP_1)
	v_lshlrev_b32_e32 v9, 2, v9
	ds_bpermute_b32 v8, v25, v7
	s_waitcnt lgkmcnt(0)
	v_max_f32_e32 v8, v8, v8
	v_max_f32_e32 v7, v7, v8
	ds_bpermute_b32 v8, v9, v7
	s_and_saveexec_b32 s1, vcc_lo
	s_cbranch_execz .LBB320_533
; %bb.532:
	s_waitcnt lgkmcnt(0)
	v_dual_max_f32 v8, v8, v8 :: v_dual_max_f32 v7, v7, v7
	s_delay_alu instid0(VALU_DEP_1)
	v_max_f32_e32 v7, v7, v8
	ds_store_b32 v28, v7 offset:256
.LBB320_533:
	s_or_b32 exec_lo, exec_lo, s1
	v_cmp_gt_u32_e64 s1, 4, v20
	v_mov_b32_e32 v7, 0xff7fffff
	v_lshlrev_b32_e32 v29, 2, v20
	s_waitcnt lgkmcnt(0)
	s_barrier
	buffer_gl0_inv
	s_and_saveexec_b32 s2, s1
	s_cbranch_execz .LBB320_535
; %bb.534:
	ds_load_b32 v7, v29 offset:256
.LBB320_535:
	s_or_b32 exec_lo, exec_lo, s2
	s_waitcnt lgkmcnt(0)
	ds_bpermute_b32 v8, v9, v7
	v_xor_b32_e32 v21, 1, v64
	v_max_f32_e32 v7, v7, v7
	v_subrev_nc_u32_e32 v32, s13, v49
	v_mov_b32_e32 v31, 0
	s_delay_alu instid0(VALU_DEP_4) | instskip(NEXT) | instid1(VALU_DEP_1)
	v_cmp_gt_i32_e64 s2, 32, v21
	v_cndmask_b32_e64 v21, v64, v21, s2
	s_waitcnt lgkmcnt(0)
	s_delay_alu instid0(VALU_DEP_1) | instskip(NEXT) | instid1(VALU_DEP_1)
	v_dual_max_f32 v8, v8, v8 :: v_dual_lshlrev_b32 v21, 2, v21
	v_max_f32_e32 v7, v7, v8
	ds_bpermute_b32 v8, v21, v7
	s_waitcnt lgkmcnt(0)
	v_max_f32_e32 v8, v8, v8
	s_delay_alu instid0(VALU_DEP_1) | instskip(SKIP_3) | instid1(VALU_DEP_1)
	v_max_f32_e32 v7, v7, v8
	v_lshl_add_u32 v8, v32, 4, s16
	ds_bpermute_b32 v7, v31, v7
	v_min_i32_e32 v8, v8, v35
	v_subrev_nc_u32_e32 v8, s16, v8
	s_delay_alu instid0(VALU_DEP_1) | instskip(NEXT) | instid1(VALU_DEP_1)
	v_cmp_lt_i32_e64 s2, v34, v8
	s_and_saveexec_b32 s9, s2
	s_cbranch_execz .LBB320_539
; %bb.536:
	s_getpc_b64 s[16:17]
	s_add_u32 s16, s16, llvm.amdgcn.dynlds.offset.table@rel32@lo+4
	s_addc_u32 s17, s17, llvm.amdgcn.dynlds.offset.table@rel32@hi+12
	s_ashr_i32 s7, s6, 31
	v_mov_b32_e32 v31, 0
	s_lshl_b64 s[18:19], s[6:7], 2
	v_mov_b32_e32 v55, v34
	s_add_u32 s16, s18, s16
	s_addc_u32 s17, s19, s17
	s_mov_b32 s7, 0
	s_load_b32 s3, s[16:17], 0x0
	s_waitcnt lgkmcnt(0)
	v_lshl_add_u32 v32, v34, 2, s3
	.p2align	6
.LBB320_537:                            ; =>This Inner Loop Header: Depth=1
	ds_load_b32 v64, v32
	v_add_nc_u32_e32 v55, 0x80, v55
	s_delay_alu instid0(VALU_DEP_1) | instskip(NEXT) | instid1(VALU_DEP_1)
	v_cmp_ge_i32_e64 s3, v55, v8
	s_or_b32 s7, s3, s7
	s_waitcnt lgkmcnt(0)
	v_sub_f32_e32 v64, v64, v7
	s_delay_alu instid0(VALU_DEP_1) | instskip(NEXT) | instid1(VALU_DEP_1)
	v_mul_f32_e32 v64, 0x3fb8aa3b, v64
	v_exp_f32_e32 v64, v64
	ds_store_b32 v32, v64
	v_add_f32_e32 v31, v31, v64
	v_add_nc_u32_e32 v32, 0x200, v32
	s_and_not1_b32 exec_lo, exec_lo, s7
	s_cbranch_execnz .LBB320_537
; %bb.538:
	s_or_b32 exec_lo, exec_lo, s7
.LBB320_539:
	s_delay_alu instid0(SALU_CYCLE_1)
	s_or_b32 exec_lo, exec_lo, s9
	ds_bpermute_b32 v13, v13, v31
	s_waitcnt lgkmcnt(0)
	v_add_f32_e32 v13, v31, v13
	ds_bpermute_b32 v24, v24, v13
	s_waitcnt lgkmcnt(0)
	v_add_f32_e32 v13, v13, v24
	ds_bpermute_b32 v24, v25, v13
	s_waitcnt lgkmcnt(0)
	v_add_f32_e32 v13, v13, v24
	ds_bpermute_b32 v24, v9, v13
	s_waitcnt lgkmcnt(0)
	v_add_f32_e32 v13, v13, v24
	ds_bpermute_b32 v24, v21, v13
	s_waitcnt lgkmcnt(0)
	v_add_f32_e32 v13, v13, v24
	s_and_saveexec_b32 s3, vcc_lo
	s_cbranch_execz .LBB320_541
; %bb.540:
	ds_store_b32 v28, v13 offset:272
.LBB320_541:
	s_or_b32 exec_lo, exec_lo, s3
	s_waitcnt lgkmcnt(0)
	s_barrier
	buffer_gl0_inv
	s_and_saveexec_b32 s3, s1
	s_cbranch_execz .LBB320_543
; %bb.542:
	ds_load_b32 v13, v29 offset:272
.LBB320_543:
	s_or_b32 exec_lo, exec_lo, s3
	s_waitcnt lgkmcnt(0)
	ds_bpermute_b32 v9, v9, v13
	s_waitcnt lgkmcnt(0)
	v_add_f32_e32 v9, v13, v9
	ds_bpermute_b32 v13, v21, v9
	s_waitcnt lgkmcnt(0)
	v_add_f32_e32 v9, v9, v13
	v_mov_b32_e32 v13, 0
	ds_bpermute_b32 v9, v13, v9
	s_and_saveexec_b32 s1, s2
	s_cbranch_execz .LBB320_546
; %bb.544:
	s_waitcnt lgkmcnt(0)
	v_add_f32_e32 v24, 0x358637bd, v9
	s_getpc_b64 s[2:3]
	s_add_u32 s2, s2, llvm.amdgcn.dynlds.offset.table@rel32@lo+4
	s_addc_u32 s3, s3, llvm.amdgcn.dynlds.offset.table@rel32@hi+12
	s_ashr_i32 s7, s6, 31
	s_delay_alu instid0(SALU_CYCLE_1) | instskip(SKIP_3) | instid1(VALU_DEP_2)
	s_lshl_b64 s[16:17], s[6:7], 2
	v_div_scale_f32 v13, null, v24, v24, 1.0
	v_div_scale_f32 v29, vcc_lo, 1.0, v24, 1.0
	s_add_u32 s2, s16, s2
	v_rcp_f32_e32 v25, v13
	s_addc_u32 s3, s17, s3
	s_load_b32 s2, s[2:3], 0x0
	s_waitcnt_depctr 0xfff
	v_fma_f32 v28, -v13, v25, 1.0
	s_delay_alu instid0(VALU_DEP_1) | instskip(NEXT) | instid1(VALU_DEP_1)
	v_fmac_f32_e32 v25, v28, v25
	v_mul_f32_e32 v28, v29, v25
	s_delay_alu instid0(VALU_DEP_1) | instskip(NEXT) | instid1(VALU_DEP_1)
	v_fma_f32 v31, -v13, v28, v29
	v_fmac_f32_e32 v28, v31, v25
	s_delay_alu instid0(VALU_DEP_1) | instskip(NEXT) | instid1(VALU_DEP_1)
	v_fma_f32 v13, -v13, v28, v29
	v_div_fmas_f32 v25, v13, v25, v28
	s_waitcnt lgkmcnt(0)
	v_lshl_add_u32 v13, v34, 2, s2
	s_mov_b32 s2, 0
	s_delay_alu instid0(VALU_DEP_2)
	v_div_fixup_f32 v24, v25, v24, 1.0
	v_mov_b32_e32 v25, v34
.LBB320_545:                            ; =>This Inner Loop Header: Depth=1
	ds_load_b32 v28, v13
	s_waitcnt lgkmcnt(0)
	v_dual_mul_f32 v28, v24, v28 :: v_dual_add_nc_u32 v25, 0x80, v25
	s_delay_alu instid0(VALU_DEP_1) | instskip(SKIP_3) | instid1(SALU_CYCLE_1)
	v_cmp_ge_i32_e32 vcc_lo, v25, v8
	ds_store_b32 v13, v28
	v_add_nc_u32_e32 v13, 0x200, v13
	s_or_b32 s2, vcc_lo, s2
	s_and_not1_b32 exec_lo, exec_lo, s2
	s_cbranch_execnz .LBB320_545
.LBB320_546:
	s_or_b32 exec_lo, exec_lo, s1
	v_cmp_ne_u16_e64 s1, s8, 0
	s_waitcnt lgkmcnt(0)
	s_barrier
	buffer_gl0_inv
	s_cmp_lg_u32 s1, 0
	s_addc_u32 s1, s5, 0
	s_mov_b32 s5, exec_lo
	s_mul_i32 s2, s1, s10
	s_delay_alu instid0(SALU_CYCLE_1)
	s_mul_i32 s2, s2, s15
	v_cmpx_eq_u32_e32 0, v34
	s_cbranch_execz .LBB320_548
; %bb.547:
	s_mul_i32 s8, s1, s12
	s_ashr_i32 s15, s14, 31
	s_ashr_i32 s9, s8, 31
	;; [unrolled: 1-line block ×3, first 2 shown]
	s_lshl_b64 s[8:9], s[8:9], 2
	s_lshl_b64 s[12:13], s[14:15], 2
	;; [unrolled: 1-line block ×3, first 2 shown]
	s_add_u32 s3, s12, s8
	s_addc_u32 s7, s13, s9
	s_add_u32 s3, s3, s16
	s_addc_u32 s7, s7, s17
	v_add_co_u32 v2, vcc_lo, s3, v2
	v_add_co_ci_u32_e32 v3, vcc_lo, s7, v3, vcc_lo
	v_add_co_u32 v0, vcc_lo, s3, v0
	v_add_co_ci_u32_e32 v1, vcc_lo, s7, v1, vcc_lo
	flat_store_b32 v[2:3], v7
	flat_store_b32 v[0:1], v9
.LBB320_548:
	s_or_b32 exec_lo, exec_lo, s5
	s_getpc_b64 s[8:9]
	s_add_u32 s8, s8, llvm.amdgcn.dynlds.offset.table@rel32@lo+4
	s_addc_u32 s9, s9, llvm.amdgcn.dynlds.offset.table@rel32@hi+12
	s_ashr_i32 s7, s6, 31
	v_dual_mov_b32 v64, 0 :: v_dual_mov_b32 v25, 0
	s_lshl_b64 s[6:7], s[6:7], 2
	v_dual_mov_b32 v24, 0 :: v_dual_mov_b32 v29, 0
	s_add_u32 s6, s6, s8
	s_addc_u32 s7, s7, s9
	v_dual_mov_b32 v28, 0 :: v_dual_mov_b32 v31, 0
	s_load_b32 s10, s[6:7], 0x0
	v_dual_mov_b32 v55, 0 :: v_dual_mov_b32 v32, 0
	s_mov_b32 s5, 0
	s_waitcnt lgkmcnt(0)
	v_mov_b32_e32 v13, s10
	s_and_saveexec_b32 s3, s0
	s_cbranch_execz .LBB320_1082
; %bb.549:
	v_max_i32_e32 v30, v30, v53
	v_add_co_u32 v2, vcc_lo, v10, v12
	v_add_co_ci_u32_e32 v3, vcc_lo, v11, v54, vcc_lo
	s_delay_alu instid0(VALU_DEP_3) | instskip(SKIP_3) | instid1(VALU_DEP_4)
	v_cvt_f32_u32_e32 v0, v30
	v_sub_nc_u32_e32 v11, 0, v30
	v_dual_mov_b32 v32, 0 :: v_dual_and_b32 v9, 0xf8, v51
	v_lshlrev_b64 v[7:8], 2, v[16:17]
	v_rcp_iflag_f32_e32 v0, v0
	v_and_b32_e32 v53, 8, v51
	v_dual_mov_b32 v51, v35 :: v_dual_lshlrev_b32 v10, 5, v36
	v_add_co_u32 v2, vcc_lo, v2, v9
	v_add_co_ci_u32_e32 v3, vcc_lo, 0, v3, vcc_lo
	s_delay_alu instid0(VALU_DEP_3) | instskip(SKIP_1) | instid1(TRANS32_DEP_1)
	v_lshl_or_b32 v9, v48, 6, v10
	v_add_co_u32 v7, vcc_lo, v18, v7
	v_mul_f32_e32 v0, 0x4f7ffffe, v0
	v_add_co_ci_u32_e32 v8, vcc_lo, v19, v8, vcc_lo
	s_delay_alu instid0(VALU_DEP_3) | instskip(NEXT) | instid1(VALU_DEP_3)
	v_add_co_u32 v7, vcc_lo, v14, v7
	v_cvt_u32_f32_e32 v0, v0
	v_dual_mov_b32 v1, 0 :: v_dual_add_nc_u32 v52, -1, v52
	v_dual_mov_b32 v55, 0 :: v_dual_mov_b32 v28, 0
	s_delay_alu instid0(VALU_DEP_3)
	v_mul_lo_u32 v11, v11, v0
	v_dual_mov_b32 v31, 0 :: v_dual_mov_b32 v24, 0
	v_dual_mov_b32 v29, 0 :: v_dual_mov_b32 v64, 0
	v_mov_b32_e32 v25, 0
	v_add_nc_u32_e32 v17, s10, v9
	v_add_co_ci_u32_e32 v8, vcc_lo, v15, v8, vcc_lo
	v_mul_hi_u32 v10, v0, v11
	s_mov_b32 s8, -1
	s_mov_b32 s9, 0xffffff
	s_delay_alu instid0(VALU_DEP_1)
	v_add_nc_u32_e32 v15, v0, v10
	s_branch .LBB320_552
.LBB320_550:                            ;   in Loop: Header=BB320_552 Depth=1
	s_or_b32 exec_lo, exec_lo, s0
	v_dual_add_f32 v11, v13, v14 :: v_dual_add_f32 v14, v98, v99
	v_add_f32_e32 v13, v100, v101
	;;#ASMSTART
	v_pk_mul_f16 v12, v83, v12;

	;;#ASMEND
	;;#ASMSTART
	v_pk_mul_f16 v10, v82, v10;

	;;#ASMEND
	;; [unrolled: 4-line block ×4, first 2 shown]
	;;#ASMSTART
	v_pk_add_f16 v10, v12, v10;

	;;#ASMEND
	;;#ASMSTART
	v_pk_add_f16 v0, v10, v0;

	;;#ASMEND
	v_add_f32_e32 v10, v86, v87
	;;#ASMSTART
	v_pk_add_f16 v0, v0, v9;

	;;#ASMEND
	v_dual_add_f32 v28, v28, v13 :: v_dual_and_b32 v9, 0xffff, v0
	v_lshrrev_b32_e32 v0, 16, v0
	;;#ASMSTART
	v_cvt_f32_f16 v9, v9;
	;;#ASMEND
	;;#ASMSTART
	v_cvt_f32_f16 v0, v0;
	;;#ASMEND
	v_dual_add_f32 v24, v24, v11 :: v_dual_add_f32 v25, v25, v14
	s_delay_alu instid0(VALU_DEP_2) | instskip(SKIP_2) | instid1(VALU_DEP_3)
	v_dual_add_f32 v11, v96, v97 :: v_dual_add_f32 v0, v9, v0
	v_dual_add_f32 v12, v84, v85 :: v_dual_add_f32 v13, v70, v71
	v_add_f32_e32 v31, v31, v10
	v_dual_add_f32 v29, v29, v11 :: v_dual_add_f32 v64, v64, v0
	s_delay_alu instid0(VALU_DEP_3)
	v_dual_add_f32 v55, v55, v12 :: v_dual_add_f32 v32, v32, v13
.LBB320_551:                            ;   in Loop: Header=BB320_552 Depth=1
	s_or_b32 exec_lo, exec_lo, s10
	v_add_nc_u32_e32 v16, 4, v16
	v_add_co_u32 v7, s0, v7, 16
	s_delay_alu instid0(VALU_DEP_1) | instskip(NEXT) | instid1(VALU_DEP_3)
	v_add_co_ci_u32_e64 v8, s0, 0, v8, s0
	v_cmp_ge_i32_e32 vcc_lo, v16, v49
	v_add_nc_u32_e32 v23, 64, v23
	v_add_nc_u32_e32 v17, 0x100, v17
	s_or_b32 s5, vcc_lo, s5
	s_delay_alu instid0(SALU_CYCLE_1)
	s_and_not1_b32 exec_lo, exec_lo, s5
	s_cbranch_execz .LBB320_1081
.LBB320_552:                            ; =>This Inner Loop Header: Depth=1
	v_sub_nc_u32_e32 v0, 0, v23
	s_delay_alu instid0(VALU_DEP_1) | instskip(NEXT) | instid1(VALU_DEP_1)
	v_max_i32_e32 v0, v23, v0
	v_mul_hi_u32 v9, v0, v38
	s_delay_alu instid0(VALU_DEP_1) | instskip(NEXT) | instid1(VALU_DEP_1)
	v_mul_lo_u32 v10, v9, v37
	v_sub_nc_u32_e32 v0, v0, v10
	v_add_nc_u32_e32 v10, 1, v9
	s_delay_alu instid0(VALU_DEP_2) | instskip(SKIP_1) | instid1(VALU_DEP_2)
	v_sub_nc_u32_e32 v11, v0, v37
	v_cmp_ge_u32_e32 vcc_lo, v0, v37
	v_dual_cndmask_b32 v9, v9, v10 :: v_dual_cndmask_b32 v0, v0, v11
	v_ashrrev_i32_e32 v10, 31, v23
	s_delay_alu instid0(VALU_DEP_2) | instskip(NEXT) | instid1(VALU_DEP_3)
	v_add_nc_u32_e32 v11, 1, v9
	v_cmp_ge_u32_e32 vcc_lo, v0, v37
	s_delay_alu instid0(VALU_DEP_3) | instskip(NEXT) | instid1(VALU_DEP_3)
	v_xor_b32_e32 v10, v10, v39
	v_cndmask_b32_e32 v0, v9, v11, vcc_lo
	s_delay_alu instid0(VALU_DEP_1) | instskip(NEXT) | instid1(VALU_DEP_1)
	v_xor_b32_e32 v0, v0, v10
	v_sub_nc_u32_e32 v0, v0, v10
	s_delay_alu instid0(VALU_DEP_1) | instskip(SKIP_1) | instid1(VALU_DEP_2)
	v_add_nc_u32_e32 v9, v0, v6
	v_cmp_gt_i32_e64 s0, v0, v50
	v_sub_nc_u32_e32 v10, 0, v9
	s_delay_alu instid0(VALU_DEP_1) | instskip(NEXT) | instid1(VALU_DEP_1)
	v_max_i32_e32 v10, v9, v10
	v_mul_hi_u32 v11, v10, v15
	s_delay_alu instid0(VALU_DEP_1) | instskip(NEXT) | instid1(VALU_DEP_1)
	v_mul_lo_u32 v11, v11, v30
	v_sub_nc_u32_e32 v10, v10, v11
	s_delay_alu instid0(VALU_DEP_1) | instskip(SKIP_1) | instid1(VALU_DEP_2)
	v_sub_nc_u32_e32 v11, v10, v30
	v_cmp_ge_u32_e32 vcc_lo, v10, v30
	v_cndmask_b32_e32 v10, v10, v11, vcc_lo
	v_ashrrev_i32_e32 v9, 31, v9
	s_delay_alu instid0(VALU_DEP_2) | instskip(SKIP_1) | instid1(VALU_DEP_2)
	v_sub_nc_u32_e32 v11, v10, v30
	v_cmp_ge_u32_e32 vcc_lo, v10, v30
	v_cndmask_b32_e32 v10, v10, v11, vcc_lo
	s_delay_alu instid0(VALU_DEP_1) | instskip(NEXT) | instid1(VALU_DEP_1)
	v_xor_b32_e32 v10, v10, v9
	v_sub_nc_u32_e32 v9, v10, v9
	s_delay_alu instid0(VALU_DEP_1) | instskip(SKIP_1) | instid1(SALU_CYCLE_1)
	v_cmp_eq_u32_e32 vcc_lo, 0, v9
	s_or_b32 s0, vcc_lo, s0
	s_and_saveexec_b32 s10, s0
	s_cbranch_execz .LBB320_551
; %bb.553:                              ;   in Loop: Header=BB320_552 Depth=1
	flat_load_b32 v0, v[7:8]
	ds_load_2addr_b64 v[10:13], v17 offset1:1
	ds_load_2addr_b64 v[65:68], v17 offset0:2 offset1:3
	v_mov_b32_e32 v18, 0
	v_mov_b32_e32 v54, 0
	s_mov_b32 s0, exec_lo
	s_waitcnt lgkmcnt(1)
	;;#ASMSTART
	v_cvt_f16_f32 v70, v10;

	;;#ASMEND
	;;#ASMSTART
	v_cvt_f16_f32 v71, v11;

	;;#ASMEND
	;; [unrolled: 4-line block ×4, first 2 shown]
	s_waitcnt lgkmcnt(0)
	;;#ASMSTART
	v_cvt_f16_f32 v83, v65;

	;;#ASMEND
	;;#ASMSTART
	v_cvt_f16_f32 v81, v66;

	;;#ASMEND
	;; [unrolled: 4-line block ×4, first 2 shown]
	s_waitcnt vmcnt(0)
	v_mad_i64_i32 v[9:10], null, v0, v22, v[2:3]
	flat_load_b64 v[11:12], v[9:10]
	flat_load_b32 v19, v[26:27]
	s_waitcnt vmcnt(1) lgkmcnt(1)
	v_and_b32_e32 v0, 0xff, v11
	s_delay_alu instid0(VALU_DEP_1)
	v_cmpx_ne_u16_e32 0, v0
	s_cbranch_execz .LBB320_561
; %bb.554:                              ;   in Loop: Header=BB320_552 Depth=1
	v_bfrev_b32_e32 v54, 1
	s_mov_b32 s12, exec_lo
	v_cmpx_ne_u16_e32 0x80, v0
	s_cbranch_execz .LBB320_560
; %bb.555:                              ;   in Loop: Header=BB320_552 Depth=1
	v_and_b32_e32 v13, 0x7f, v11
	v_mov_b32_e32 v54, 0x7fc02000
	s_mov_b32 s13, exec_lo
	s_delay_alu instid0(VALU_DEP_2)
	v_cmpx_ne_u32_e32 0x7f, v13
	s_cbranch_execz .LBB320_559
; %bb.556:                              ;   in Loop: Header=BB320_552 Depth=1
	v_lshrrev_b32_e32 v0, 3, v13
	v_cmp_gt_u32_e32 vcc_lo, 8, v13
	v_dual_mov_b32 v14, v12 :: v_dual_mov_b32 v13, v11
	s_and_saveexec_b32 s15, vcc_lo
; %bb.557:                              ;   in Loop: Header=BB320_552 Depth=1
	v_and_b32_e32 v0, 7, v11
	s_delay_alu instid0(VALU_DEP_1) | instskip(NEXT) | instid1(VALU_DEP_1)
	v_clz_i32_u32_e32 v0, v0
	v_min_u32_e32 v0, 32, v0
	s_delay_alu instid0(VALU_DEP_1) | instskip(SKIP_1) | instid1(VALU_DEP_2)
	v_subrev_nc_u32_e32 v13, 28, v0
	v_sub_nc_u32_e32 v0, 29, v0
	v_lshlrev_b64 v[13:14], v13, v[11:12]
; %bb.558:                              ;   in Loop: Header=BB320_552 Depth=1
	s_or_b32 exec_lo, exec_lo, s15
	v_lshlrev_b32_e32 v14, 8, v11
	s_delay_alu instid0(VALU_DEP_3) | instskip(NEXT) | instid1(VALU_DEP_3)
	v_lshl_add_u32 v0, v0, 10, 0x2000
	v_lshlrev_b32_e32 v13, 7, v13
	s_delay_alu instid0(VALU_DEP_2) | instskip(NEXT) | instid1(VALU_DEP_1)
	v_and_or_b32 v0, 0x8000, v14, v0
	v_and_or_b32 v0, 0x380, v13, v0
	s_delay_alu instid0(VALU_DEP_1)
	v_cvt_f32_f16_e32 v54, v0
.LBB320_559:                            ;   in Loop: Header=BB320_552 Depth=1
	s_or_b32 exec_lo, exec_lo, s13
.LBB320_560:                            ;   in Loop: Header=BB320_552 Depth=1
	s_delay_alu instid0(SALU_CYCLE_1)
	s_or_b32 exec_lo, exec_lo, s12
.LBB320_561:                            ;   in Loop: Header=BB320_552 Depth=1
	s_delay_alu instid0(SALU_CYCLE_1) | instskip(SKIP_2) | instid1(VALU_DEP_1)
	s_or_b32 exec_lo, exec_lo, s0
	v_lshrrev_b16 v0, 8, v11
	s_mov_b32 s0, exec_lo
	v_cmpx_ne_u16_e32 0, v0
	s_cbranch_execz .LBB320_569
; %bb.562:                              ;   in Loop: Header=BB320_552 Depth=1
	v_bfrev_b32_e32 v18, 1
	s_mov_b32 s12, exec_lo
	v_cmpx_ne_u16_e32 0x80, v0
	s_cbranch_execz .LBB320_568
; %bb.563:                              ;   in Loop: Header=BB320_552 Depth=1
	v_and_b32_e32 v13, 0xffff, v0
	v_mov_b32_e32 v18, 0x7fc02000
	s_mov_b32 s13, exec_lo
	s_delay_alu instid0(VALU_DEP_2) | instskip(NEXT) | instid1(VALU_DEP_1)
	v_and_b32_e32 v65, 0x7f, v13
	v_cmpx_ne_u32_e32 0x7f, v65
	s_cbranch_execz .LBB320_567
; %bb.564:                              ;   in Loop: Header=BB320_552 Depth=1
	v_and_b32_e32 v0, 7, v13
	v_lshrrev_b32_e32 v14, 3, v65
	s_mov_b32 s15, exec_lo
	v_cmpx_gt_u32_e32 8, v65
; %bb.565:                              ;   in Loop: Header=BB320_552 Depth=1
	s_delay_alu instid0(VALU_DEP_3) | instskip(NEXT) | instid1(VALU_DEP_1)
	v_clz_i32_u32_e32 v14, v0
	v_min_u32_e32 v14, 32, v14
	s_delay_alu instid0(VALU_DEP_1) | instskip(SKIP_1) | instid1(VALU_DEP_2)
	v_subrev_nc_u32_e32 v18, 28, v14
	v_sub_nc_u32_e32 v14, 29, v14
	v_lshlrev_b64 v[65:66], v18, v[0:1]
	s_delay_alu instid0(VALU_DEP_1)
	v_and_b32_e32 v0, 7, v65
; %bb.566:                              ;   in Loop: Header=BB320_552 Depth=1
	s_or_b32 exec_lo, exec_lo, s15
	v_lshlrev_b32_e32 v13, 8, v13
	v_lshl_add_u32 v14, v14, 10, 0x2000
	s_delay_alu instid0(VALU_DEP_1) | instskip(NEXT) | instid1(VALU_DEP_1)
	v_and_or_b32 v13, 0x8000, v13, v14
	v_lshl_or_b32 v0, v0, 7, v13
	s_delay_alu instid0(VALU_DEP_1)
	v_cvt_f32_f16_e32 v18, v0
.LBB320_567:                            ;   in Loop: Header=BB320_552 Depth=1
	s_or_b32 exec_lo, exec_lo, s13
.LBB320_568:                            ;   in Loop: Header=BB320_552 Depth=1
	s_delay_alu instid0(SALU_CYCLE_1)
	s_or_b32 exec_lo, exec_lo, s12
.LBB320_569:                            ;   in Loop: Header=BB320_552 Depth=1
	s_delay_alu instid0(SALU_CYCLE_1) | instskip(SKIP_3) | instid1(VALU_DEP_2)
	s_or_b32 exec_lo, exec_lo, s0
	v_lshrrev_b32_e32 v13, 16, v11
	v_mov_b32_e32 v66, 0
	s_mov_b32 s0, exec_lo
	v_dual_mov_b32 v65, 0 :: v_dual_and_b32 v0, 0xff, v13
	s_delay_alu instid0(VALU_DEP_1)
	v_cmpx_ne_u16_e32 0, v0
	s_cbranch_execz .LBB320_577
; %bb.570:                              ;   in Loop: Header=BB320_552 Depth=1
	v_bfrev_b32_e32 v65, 1
	s_mov_b32 s12, exec_lo
	v_cmpx_ne_u16_e32 0x80, v0
	s_cbranch_execz .LBB320_576
; %bb.571:                              ;   in Loop: Header=BB320_552 Depth=1
	v_bfe_u32 v67, v11, 16, 7
	v_mov_b32_e32 v65, 0x7fc02000
	s_mov_b32 s13, exec_lo
	s_delay_alu instid0(VALU_DEP_2)
	v_cmpx_ne_u32_e32 0x7f, v67
	s_cbranch_execz .LBB320_575
; %bb.572:                              ;   in Loop: Header=BB320_552 Depth=1
	v_and_b32_e32 v0, 7, v13
	v_lshrrev_b32_e32 v14, 3, v67
	s_mov_b32 s15, exec_lo
	v_cmpx_gt_u32_e32 8, v67
; %bb.573:                              ;   in Loop: Header=BB320_552 Depth=1
	s_delay_alu instid0(VALU_DEP_3) | instskip(NEXT) | instid1(VALU_DEP_1)
	v_clz_i32_u32_e32 v14, v0
	v_min_u32_e32 v14, 32, v14
	s_delay_alu instid0(VALU_DEP_1) | instskip(SKIP_1) | instid1(VALU_DEP_2)
	v_subrev_nc_u32_e32 v65, 28, v14
	v_sub_nc_u32_e32 v14, 29, v14
	v_lshlrev_b64 v[67:68], v65, v[0:1]
	s_delay_alu instid0(VALU_DEP_1)
	v_and_b32_e32 v0, 7, v67
; %bb.574:                              ;   in Loop: Header=BB320_552 Depth=1
	s_or_b32 exec_lo, exec_lo, s15
	v_lshlrev_b32_e32 v13, 8, v13
	v_lshl_add_u32 v14, v14, 10, 0x2000
	s_delay_alu instid0(VALU_DEP_1) | instskip(NEXT) | instid1(VALU_DEP_1)
	v_and_or_b32 v13, 0x8000, v13, v14
	v_lshl_or_b32 v0, v0, 7, v13
	s_delay_alu instid0(VALU_DEP_1)
	v_cvt_f32_f16_e32 v65, v0
.LBB320_575:                            ;   in Loop: Header=BB320_552 Depth=1
	s_or_b32 exec_lo, exec_lo, s13
.LBB320_576:                            ;   in Loop: Header=BB320_552 Depth=1
	s_delay_alu instid0(SALU_CYCLE_1)
	s_or_b32 exec_lo, exec_lo, s12
.LBB320_577:                            ;   in Loop: Header=BB320_552 Depth=1
	s_delay_alu instid0(SALU_CYCLE_1) | instskip(NEXT) | instid1(SALU_CYCLE_1)
	s_or_b32 exec_lo, exec_lo, s0
	s_mov_b32 s0, exec_lo
	v_cmpx_lt_u32_e32 0xffffff, v11
	s_cbranch_execz .LBB320_585
; %bb.578:                              ;   in Loop: Header=BB320_552 Depth=1
	v_lshrrev_b32_e32 v13, 24, v11
	v_bfrev_b32_e32 v66, 1
	s_mov_b32 s12, exec_lo
	s_delay_alu instid0(VALU_DEP_2)
	v_cmpx_ne_u32_e32 0x80, v13
	s_cbranch_execz .LBB320_584
; %bb.579:                              ;   in Loop: Header=BB320_552 Depth=1
	v_and_b32_e32 v67, 0x7f, v13
	v_mov_b32_e32 v66, 0x7fc02000
	s_mov_b32 s13, exec_lo
	s_delay_alu instid0(VALU_DEP_2)
	v_cmpx_ne_u32_e32 0x7f, v67
	s_cbranch_execz .LBB320_583
; %bb.580:                              ;   in Loop: Header=BB320_552 Depth=1
	v_and_b32_e32 v0, 7, v13
	v_lshrrev_b32_e32 v14, 3, v67
	s_mov_b32 s15, exec_lo
	v_cmpx_gt_u32_e32 8, v67
; %bb.581:                              ;   in Loop: Header=BB320_552 Depth=1
	s_delay_alu instid0(VALU_DEP_3) | instskip(NEXT) | instid1(VALU_DEP_1)
	v_clz_i32_u32_e32 v14, v0
	v_min_u32_e32 v14, 32, v14
	s_delay_alu instid0(VALU_DEP_1) | instskip(SKIP_1) | instid1(VALU_DEP_2)
	v_subrev_nc_u32_e32 v66, 28, v14
	v_sub_nc_u32_e32 v14, 29, v14
	v_lshlrev_b64 v[66:67], v66, v[0:1]
	s_delay_alu instid0(VALU_DEP_1)
	v_and_b32_e32 v0, 7, v66
; %bb.582:                              ;   in Loop: Header=BB320_552 Depth=1
	s_or_b32 exec_lo, exec_lo, s15
	v_lshlrev_b32_e32 v13, 8, v13
	v_lshl_add_u32 v14, v14, 10, 0x2000
	s_delay_alu instid0(VALU_DEP_1) | instskip(NEXT) | instid1(VALU_DEP_1)
	v_and_or_b32 v13, 0x8000, v13, v14
	v_lshl_or_b32 v0, v0, 7, v13
	s_delay_alu instid0(VALU_DEP_1)
	v_cvt_f32_f16_e32 v66, v0
.LBB320_583:                            ;   in Loop: Header=BB320_552 Depth=1
	s_or_b32 exec_lo, exec_lo, s13
.LBB320_584:                            ;   in Loop: Header=BB320_552 Depth=1
	s_delay_alu instid0(SALU_CYCLE_1)
	s_or_b32 exec_lo, exec_lo, s12
.LBB320_585:                            ;   in Loop: Header=BB320_552 Depth=1
	s_delay_alu instid0(SALU_CYCLE_1) | instskip(SKIP_3) | instid1(VALU_DEP_2)
	s_or_b32 exec_lo, exec_lo, s0
	v_dual_mov_b32 v67, 0 :: v_dual_and_b32 v14, 0xff, v12
	v_dual_mov_b32 v0, v12 :: v_dual_mov_b32 v13, 0
	s_mov_b32 s0, exec_lo
	v_cmpx_ne_u16_e32 0, v14
	s_cbranch_execz .LBB320_593
; %bb.586:                              ;   in Loop: Header=BB320_552 Depth=1
	v_bfrev_b32_e32 v13, 1
	s_mov_b32 s12, exec_lo
	v_cmpx_ne_u16_e32 0x80, v14
	s_cbranch_execz .LBB320_592
; %bb.587:                              ;   in Loop: Header=BB320_552 Depth=1
	v_and_b32_e32 v14, 0x7f, v12
	v_mov_b32_e32 v13, 0x7fc02000
	s_mov_b32 s13, exec_lo
	s_delay_alu instid0(VALU_DEP_2)
	v_cmpx_ne_u32_e32 0x7f, v14
	s_cbranch_execz .LBB320_591
; %bb.588:                              ;   in Loop: Header=BB320_552 Depth=1
	v_lshrrev_b32_e32 v68, 3, v14
	v_cmp_gt_u32_e32 vcc_lo, 8, v14
	v_dual_mov_b32 v14, v1 :: v_dual_mov_b32 v13, v0
	s_and_saveexec_b32 s15, vcc_lo
; %bb.589:                              ;   in Loop: Header=BB320_552 Depth=1
	v_and_b32_e32 v13, 7, v12
	s_delay_alu instid0(VALU_DEP_1) | instskip(NEXT) | instid1(VALU_DEP_1)
	v_clz_i32_u32_e32 v13, v13
	v_min_u32_e32 v68, 32, v13
	s_delay_alu instid0(VALU_DEP_1) | instskip(SKIP_1) | instid1(VALU_DEP_2)
	v_subrev_nc_u32_e32 v13, 28, v68
	v_sub_nc_u32_e32 v68, 29, v68
	v_lshlrev_b64 v[13:14], v13, v[0:1]
; %bb.590:                              ;   in Loop: Header=BB320_552 Depth=1
	s_or_b32 exec_lo, exec_lo, s15
	v_lshlrev_b32_e32 v14, 8, v12
	s_delay_alu instid0(VALU_DEP_3) | instskip(NEXT) | instid1(VALU_DEP_3)
	v_lshl_add_u32 v68, v68, 10, 0x2000
	v_lshlrev_b32_e32 v13, 7, v13
	s_delay_alu instid0(VALU_DEP_2) | instskip(NEXT) | instid1(VALU_DEP_1)
	v_and_or_b32 v14, 0x8000, v14, v68
	v_and_or_b32 v13, 0x380, v13, v14
	s_delay_alu instid0(VALU_DEP_1)
	v_cvt_f32_f16_e32 v13, v13
.LBB320_591:                            ;   in Loop: Header=BB320_552 Depth=1
	s_or_b32 exec_lo, exec_lo, s13
.LBB320_592:                            ;   in Loop: Header=BB320_552 Depth=1
	s_delay_alu instid0(SALU_CYCLE_1)
	s_or_b32 exec_lo, exec_lo, s12
.LBB320_593:                            ;   in Loop: Header=BB320_552 Depth=1
	s_delay_alu instid0(SALU_CYCLE_1) | instskip(SKIP_2) | instid1(VALU_DEP_1)
	s_or_b32 exec_lo, exec_lo, s0
	v_lshrrev_b16 v0, 8, v0
	s_mov_b32 s0, exec_lo
	v_cmpx_ne_u16_e32 0, v0
	s_cbranch_execz .LBB320_601
; %bb.594:                              ;   in Loop: Header=BB320_552 Depth=1
	v_bfrev_b32_e32 v67, 1
	s_mov_b32 s12, exec_lo
	v_cmpx_ne_u16_e32 0x80, v0
	s_cbranch_execz .LBB320_600
; %bb.595:                              ;   in Loop: Header=BB320_552 Depth=1
	v_and_b32_e32 v14, 0xffff, v0
	v_mov_b32_e32 v67, 0x7fc02000
	s_mov_b32 s13, exec_lo
	s_delay_alu instid0(VALU_DEP_2) | instskip(NEXT) | instid1(VALU_DEP_1)
	v_and_b32_e32 v68, 0x7f, v14
	v_cmpx_ne_u32_e32 0x7f, v68
	s_cbranch_execz .LBB320_599
; %bb.596:                              ;   in Loop: Header=BB320_552 Depth=1
	v_and_b32_e32 v0, 7, v14
	v_lshrrev_b32_e32 v67, 3, v68
	s_mov_b32 s15, exec_lo
	v_cmpx_gt_u32_e32 8, v68
; %bb.597:                              ;   in Loop: Header=BB320_552 Depth=1
	s_delay_alu instid0(VALU_DEP_3) | instskip(NEXT) | instid1(VALU_DEP_1)
	v_clz_i32_u32_e32 v67, v0
	v_min_u32_e32 v67, 32, v67
	s_delay_alu instid0(VALU_DEP_1) | instskip(SKIP_1) | instid1(VALU_DEP_2)
	v_subrev_nc_u32_e32 v68, 28, v67
	v_sub_nc_u32_e32 v67, 29, v67
	v_lshlrev_b64 v[68:69], v68, v[0:1]
	s_delay_alu instid0(VALU_DEP_1)
	v_and_b32_e32 v0, 7, v68
; %bb.598:                              ;   in Loop: Header=BB320_552 Depth=1
	s_or_b32 exec_lo, exec_lo, s15
	v_lshlrev_b32_e32 v14, 8, v14
	v_lshl_add_u32 v67, v67, 10, 0x2000
	s_delay_alu instid0(VALU_DEP_1) | instskip(NEXT) | instid1(VALU_DEP_1)
	v_and_or_b32 v14, 0x8000, v14, v67
	v_lshl_or_b32 v0, v0, 7, v14
	s_delay_alu instid0(VALU_DEP_1)
	v_cvt_f32_f16_e32 v67, v0
.LBB320_599:                            ;   in Loop: Header=BB320_552 Depth=1
	s_or_b32 exec_lo, exec_lo, s13
.LBB320_600:                            ;   in Loop: Header=BB320_552 Depth=1
	s_delay_alu instid0(SALU_CYCLE_1)
	s_or_b32 exec_lo, exec_lo, s12
.LBB320_601:                            ;   in Loop: Header=BB320_552 Depth=1
	s_delay_alu instid0(SALU_CYCLE_1) | instskip(SKIP_4) | instid1(VALU_DEP_3)
	s_or_b32 exec_lo, exec_lo, s0
	v_lshrrev_b32_e32 v69, 16, v12
	v_mov_b32_e32 v68, 0
	v_mov_b32_e32 v14, 0
	s_mov_b32 s0, exec_lo
	v_and_b32_e32 v0, 0xff, v69
	s_delay_alu instid0(VALU_DEP_1)
	v_cmpx_ne_u16_e32 0, v0
	s_cbranch_execz .LBB320_609
; %bb.602:                              ;   in Loop: Header=BB320_552 Depth=1
	v_bfrev_b32_e32 v14, 1
	s_mov_b32 s12, exec_lo
	v_cmpx_ne_u16_e32 0x80, v0
	s_cbranch_execz .LBB320_608
; %bb.603:                              ;   in Loop: Header=BB320_552 Depth=1
	v_bfe_u32 v86, v12, 16, 7
	v_mov_b32_e32 v14, 0x7fc02000
	s_mov_b32 s13, exec_lo
	s_delay_alu instid0(VALU_DEP_2)
	v_cmpx_ne_u32_e32 0x7f, v86
	s_cbranch_execz .LBB320_607
; %bb.604:                              ;   in Loop: Header=BB320_552 Depth=1
	v_and_b32_e32 v0, 7, v69
	v_lshrrev_b32_e32 v14, 3, v86
	s_mov_b32 s15, exec_lo
	v_cmpx_gt_u32_e32 8, v86
; %bb.605:                              ;   in Loop: Header=BB320_552 Depth=1
	s_delay_alu instid0(VALU_DEP_3) | instskip(NEXT) | instid1(VALU_DEP_1)
	v_clz_i32_u32_e32 v14, v0
	v_min_u32_e32 v14, 32, v14
	s_delay_alu instid0(VALU_DEP_1) | instskip(SKIP_1) | instid1(VALU_DEP_2)
	v_subrev_nc_u32_e32 v86, 28, v14
	v_sub_nc_u32_e32 v14, 29, v14
	v_lshlrev_b64 v[86:87], v86, v[0:1]
	s_delay_alu instid0(VALU_DEP_1)
	v_and_b32_e32 v0, 7, v86
; %bb.606:                              ;   in Loop: Header=BB320_552 Depth=1
	s_or_b32 exec_lo, exec_lo, s15
	v_lshlrev_b32_e32 v69, 8, v69
	v_lshl_add_u32 v14, v14, 10, 0x2000
	s_delay_alu instid0(VALU_DEP_1) | instskip(NEXT) | instid1(VALU_DEP_1)
	v_and_or_b32 v14, 0x8000, v69, v14
	v_lshl_or_b32 v0, v0, 7, v14
	s_delay_alu instid0(VALU_DEP_1)
	v_cvt_f32_f16_e32 v14, v0
.LBB320_607:                            ;   in Loop: Header=BB320_552 Depth=1
	s_or_b32 exec_lo, exec_lo, s13
.LBB320_608:                            ;   in Loop: Header=BB320_552 Depth=1
	s_delay_alu instid0(SALU_CYCLE_1)
	s_or_b32 exec_lo, exec_lo, s12
.LBB320_609:                            ;   in Loop: Header=BB320_552 Depth=1
	s_delay_alu instid0(SALU_CYCLE_1) | instskip(NEXT) | instid1(SALU_CYCLE_1)
	s_or_b32 exec_lo, exec_lo, s0
	s_mov_b32 s0, exec_lo
	v_cmpx_lt_u64_e64 s[8:9], v[11:12]
	s_cbranch_execz .LBB320_617
; %bb.610:                              ;   in Loop: Header=BB320_552 Depth=1
	v_lshrrev_b32_e32 v11, 24, v12
	v_bfrev_b32_e32 v68, 1
	s_mov_b32 s12, exec_lo
	s_delay_alu instid0(VALU_DEP_2)
	v_cmpx_ne_u32_e32 0x80, v11
	s_cbranch_execz .LBB320_616
; %bb.611:                              ;   in Loop: Header=BB320_552 Depth=1
	v_and_b32_e32 v69, 0x7f, v11
	v_mov_b32_e32 v68, 0x7fc02000
	s_mov_b32 s13, exec_lo
	s_delay_alu instid0(VALU_DEP_2)
	v_cmpx_ne_u32_e32 0x7f, v69
	s_cbranch_execz .LBB320_615
; %bb.612:                              ;   in Loop: Header=BB320_552 Depth=1
	v_and_b32_e32 v0, 7, v11
	v_lshrrev_b32_e32 v12, 3, v69
	s_mov_b32 s15, exec_lo
	v_cmpx_gt_u32_e32 8, v69
; %bb.613:                              ;   in Loop: Header=BB320_552 Depth=1
	s_delay_alu instid0(VALU_DEP_3) | instskip(NEXT) | instid1(VALU_DEP_1)
	v_clz_i32_u32_e32 v12, v0
	v_min_u32_e32 v12, 32, v12
	s_delay_alu instid0(VALU_DEP_1) | instskip(SKIP_1) | instid1(VALU_DEP_2)
	v_subrev_nc_u32_e32 v68, 28, v12
	v_sub_nc_u32_e32 v12, 29, v12
	v_lshlrev_b64 v[68:69], v68, v[0:1]
	s_delay_alu instid0(VALU_DEP_1)
	v_and_b32_e32 v0, 7, v68
; %bb.614:                              ;   in Loop: Header=BB320_552 Depth=1
	s_or_b32 exec_lo, exec_lo, s15
	v_lshlrev_b32_e32 v11, 8, v11
	v_lshl_add_u32 v12, v12, 10, 0x2000
	s_delay_alu instid0(VALU_DEP_1) | instskip(NEXT) | instid1(VALU_DEP_1)
	v_and_or_b32 v11, 0x8000, v11, v12
	v_lshl_or_b32 v0, v0, 7, v11
	s_delay_alu instid0(VALU_DEP_1)
	v_cvt_f32_f16_e32 v68, v0
.LBB320_615:                            ;   in Loop: Header=BB320_552 Depth=1
	s_or_b32 exec_lo, exec_lo, s13
.LBB320_616:                            ;   in Loop: Header=BB320_552 Depth=1
	s_delay_alu instid0(SALU_CYCLE_1)
	s_or_b32 exec_lo, exec_lo, s12
.LBB320_617:                            ;   in Loop: Header=BB320_552 Depth=1
	s_delay_alu instid0(SALU_CYCLE_1)
	s_or_b32 exec_lo, exec_lo, s0
	s_waitcnt vmcnt(0) lgkmcnt(0)
	v_fma_mixlo_f16 v12, v19, v18, 0
	v_fma_mixlo_f16 v0, v19, v66, 0
	;; [unrolled: 1-line block ×5, first 2 shown]
	v_lshlrev_b32_e32 v65, 16, v12
	v_fma_mixlo_f16 v12, v19, v54, 0
	v_fma_mixlo_f16 v54, v19, v67, 0
	;; [unrolled: 1-line block ×3, first 2 shown]
	v_add_nc_u32_e32 v18, v53, v23
	v_lshlrev_b32_e32 v0, 16, v0
	v_and_b32_e32 v11, 0xffff, v11
	v_and_b32_e32 v14, 0xffff, v12
	v_lshlrev_b32_e32 v19, 16, v54
	v_and_b32_e32 v54, 0xffff, v66
	v_lshlrev_b32_e32 v66, 16, v67
	v_and_b32_e32 v67, 0xffff, v13
	v_cmp_eq_u32_e32 vcc_lo, v52, v16
	v_or_b32_e32 v12, v0, v11
	v_or_b32_e32 v14, v65, v14
	v_or_b32_e32 v0, v19, v54
	v_or_b32_e32 v11, v66, v67
	v_add_nc_u32_e32 v69, 1, v18
	v_or_b32_e32 v68, 3, v18
	v_or_b32_e32 v67, 2, v18
	;; [unrolled: 1-line block ×6, first 2 shown]
	s_and_saveexec_b32 s12, vcc_lo
	s_cbranch_execz .LBB320_619
; %bb.618:                              ;   in Loop: Header=BB320_552 Depth=1
	v_cmp_lt_i32_e64 s0, v18, v35
	v_lshrrev_b32_e32 v86, 16, v14
	v_lshrrev_b32_e32 v87, 16, v12
	;; [unrolled: 1-line block ×4, first 2 shown]
	v_cndmask_b32_e64 v14, 0, v14, s0
	v_cmp_lt_i32_e64 s0, v69, v51
	s_delay_alu instid0(VALU_DEP_1) | instskip(SKIP_1) | instid1(VALU_DEP_2)
	v_cndmask_b32_e64 v86, 0, v86, s0
	v_cmp_lt_i32_e64 s0, v68, v51
	v_perm_b32 v14, v86, v14, 0x5040100
	s_delay_alu instid0(VALU_DEP_2) | instskip(SKIP_1) | instid1(VALU_DEP_1)
	v_cndmask_b32_e64 v87, 0, v87, s0
	v_cmp_lt_i32_e64 s0, v67, v35
	v_cndmask_b32_e64 v12, 0, v12, s0
	v_cmp_lt_i32_e64 s0, v66, v51
	s_delay_alu instid0(VALU_DEP_2) | instskip(NEXT) | instid1(VALU_DEP_2)
	v_perm_b32 v12, v87, v12, 0x5040100
	v_cndmask_b32_e64 v96, 0, v96, s0
	v_cmp_lt_i32_e64 s0, v65, v35
	s_delay_alu instid0(VALU_DEP_1) | instskip(SKIP_1) | instid1(VALU_DEP_2)
	v_cndmask_b32_e64 v0, 0, v0, s0
	v_cmp_lt_i32_e64 s0, v54, v51
	v_perm_b32 v0, v96, v0, 0x5040100
	s_delay_alu instid0(VALU_DEP_2) | instskip(SKIP_1) | instid1(VALU_DEP_1)
	v_cndmask_b32_e64 v11, 0, v11, s0
	v_cmp_lt_i32_e64 s0, v19, v35
	v_cndmask_b32_e64 v13, 0, v13, s0
	s_delay_alu instid0(VALU_DEP_1)
	v_perm_b32 v11, v11, v13, 0x5040100
.LBB320_619:                            ;   in Loop: Header=BB320_552 Depth=1
	s_or_b32 exec_lo, exec_lo, s12
	v_and_b32_e32 v13, 0xffff, v70
	v_and_b32_e32 v70, 0xffff, v82
	;; [unrolled: 1-line block ×4, first 2 shown]
	s_mov_b32 s12, exec_lo
	s_delay_alu instid0(VALU_DEP_3) | instskip(NEXT) | instid1(VALU_DEP_3)
	v_lshl_or_b32 v82, v80, 16, v70
	v_lshl_or_b32 v81, v81, 16, v86
	v_mov_b32_e32 v86, 0
	v_lshl_or_b32 v83, v71, 16, v13
	;;#ASMSTART
	v_pk_mul_f16 v13, v83, v14;

	;;#ASMEND
	;;#ASMSTART
	v_pk_mul_f16 v12, v82, v12;

	;;#ASMEND
	;; [unrolled: 4-line block ×3, first 2 shown]
	v_lshl_or_b32 v80, v84, 16, v85
	v_mov_b32_e32 v85, 0
	;;#ASMSTART
	v_pk_mul_f16 v11, v80, v11;

	;;#ASMEND
	;;#ASMSTART
	v_pk_add_f16 v12, v13, v12;

	;;#ASMEND
	;;#ASMSTART
	v_pk_add_f16 v0, v12, v0;
	;; [unrolled: 4-line block ×3, first 2 shown]

	;;#ASMEND
	v_and_b32_e32 v11, 0xffff, v0
	v_lshrrev_b32_e32 v0, 16, v0
	;;#ASMSTART
	v_cvt_f32_f16 v70, v11;
	;;#ASMEND
	;;#ASMSTART
	v_cvt_f32_f16 v71, v0;
	;;#ASMEND
	flat_load_b64 v[11:12], v[9:10] offset:256
	flat_load_b32 v84, v[26:27]
	s_waitcnt vmcnt(1) lgkmcnt(1)
	v_and_b32_e32 v0, 0xff, v11
	s_delay_alu instid0(VALU_DEP_1)
	v_cmpx_ne_u16_e32 0, v0
	s_cbranch_execz .LBB320_627
; %bb.620:                              ;   in Loop: Header=BB320_552 Depth=1
	v_bfrev_b32_e32 v85, 1
	s_mov_b32 s13, exec_lo
	v_cmpx_ne_u16_e32 0x80, v0
	s_cbranch_execz .LBB320_626
; %bb.621:                              ;   in Loop: Header=BB320_552 Depth=1
	v_and_b32_e32 v13, 0x7f, v11
	v_mov_b32_e32 v85, 0x7fc02000
	s_mov_b32 s15, exec_lo
	s_delay_alu instid0(VALU_DEP_2)
	v_cmpx_ne_u32_e32 0x7f, v13
	s_cbranch_execz .LBB320_625
; %bb.622:                              ;   in Loop: Header=BB320_552 Depth=1
	v_lshrrev_b32_e32 v0, 3, v13
	v_cmp_gt_u32_e64 s0, 8, v13
	v_dual_mov_b32 v14, v12 :: v_dual_mov_b32 v13, v11
	s_delay_alu instid0(VALU_DEP_2)
	s_and_saveexec_b32 s16, s0
; %bb.623:                              ;   in Loop: Header=BB320_552 Depth=1
	v_and_b32_e32 v0, 7, v11
	s_delay_alu instid0(VALU_DEP_1) | instskip(NEXT) | instid1(VALU_DEP_1)
	v_clz_i32_u32_e32 v0, v0
	v_min_u32_e32 v0, 32, v0
	s_delay_alu instid0(VALU_DEP_1) | instskip(SKIP_1) | instid1(VALU_DEP_2)
	v_subrev_nc_u32_e32 v13, 28, v0
	v_sub_nc_u32_e32 v0, 29, v0
	v_lshlrev_b64 v[13:14], v13, v[11:12]
; %bb.624:                              ;   in Loop: Header=BB320_552 Depth=1
	s_or_b32 exec_lo, exec_lo, s16
	v_lshlrev_b32_e32 v14, 8, v11
	s_delay_alu instid0(VALU_DEP_3) | instskip(NEXT) | instid1(VALU_DEP_3)
	v_lshl_add_u32 v0, v0, 10, 0x2000
	v_lshlrev_b32_e32 v13, 7, v13
	s_delay_alu instid0(VALU_DEP_2) | instskip(NEXT) | instid1(VALU_DEP_1)
	v_and_or_b32 v0, 0x8000, v14, v0
	v_and_or_b32 v0, 0x380, v13, v0
	s_delay_alu instid0(VALU_DEP_1)
	v_cvt_f32_f16_e32 v85, v0
.LBB320_625:                            ;   in Loop: Header=BB320_552 Depth=1
	s_or_b32 exec_lo, exec_lo, s15
.LBB320_626:                            ;   in Loop: Header=BB320_552 Depth=1
	s_delay_alu instid0(SALU_CYCLE_1)
	s_or_b32 exec_lo, exec_lo, s13
.LBB320_627:                            ;   in Loop: Header=BB320_552 Depth=1
	s_delay_alu instid0(SALU_CYCLE_1) | instskip(SKIP_2) | instid1(VALU_DEP_1)
	s_or_b32 exec_lo, exec_lo, s12
	v_lshrrev_b16 v0, 8, v11
	s_mov_b32 s12, exec_lo
	v_cmpx_ne_u16_e32 0, v0
	s_cbranch_execz .LBB320_635
; %bb.628:                              ;   in Loop: Header=BB320_552 Depth=1
	v_bfrev_b32_e32 v86, 1
	s_mov_b32 s13, exec_lo
	v_cmpx_ne_u16_e32 0x80, v0
	s_cbranch_execz .LBB320_634
; %bb.629:                              ;   in Loop: Header=BB320_552 Depth=1
	v_and_b32_e32 v13, 0xffff, v0
	v_mov_b32_e32 v86, 0x7fc02000
	s_mov_b32 s15, exec_lo
	s_delay_alu instid0(VALU_DEP_2) | instskip(NEXT) | instid1(VALU_DEP_1)
	v_and_b32_e32 v87, 0x7f, v13
	v_cmpx_ne_u32_e32 0x7f, v87
	s_cbranch_execz .LBB320_633
; %bb.630:                              ;   in Loop: Header=BB320_552 Depth=1
	v_and_b32_e32 v0, 7, v13
	v_lshrrev_b32_e32 v14, 3, v87
	s_mov_b32 s16, exec_lo
	v_cmpx_gt_u32_e32 8, v87
; %bb.631:                              ;   in Loop: Header=BB320_552 Depth=1
	s_delay_alu instid0(VALU_DEP_3) | instskip(NEXT) | instid1(VALU_DEP_1)
	v_clz_i32_u32_e32 v14, v0
	v_min_u32_e32 v14, 32, v14
	s_delay_alu instid0(VALU_DEP_1) | instskip(SKIP_1) | instid1(VALU_DEP_2)
	v_subrev_nc_u32_e32 v86, 28, v14
	v_sub_nc_u32_e32 v14, 29, v14
	v_lshlrev_b64 v[86:87], v86, v[0:1]
	s_delay_alu instid0(VALU_DEP_1)
	v_and_b32_e32 v0, 7, v86
; %bb.632:                              ;   in Loop: Header=BB320_552 Depth=1
	s_or_b32 exec_lo, exec_lo, s16
	v_lshlrev_b32_e32 v13, 8, v13
	v_lshl_add_u32 v14, v14, 10, 0x2000
	s_delay_alu instid0(VALU_DEP_1) | instskip(NEXT) | instid1(VALU_DEP_1)
	v_and_or_b32 v13, 0x8000, v13, v14
	v_lshl_or_b32 v0, v0, 7, v13
	s_delay_alu instid0(VALU_DEP_1)
	v_cvt_f32_f16_e32 v86, v0
.LBB320_633:                            ;   in Loop: Header=BB320_552 Depth=1
	s_or_b32 exec_lo, exec_lo, s15
.LBB320_634:                            ;   in Loop: Header=BB320_552 Depth=1
	s_delay_alu instid0(SALU_CYCLE_1)
	s_or_b32 exec_lo, exec_lo, s13
.LBB320_635:                            ;   in Loop: Header=BB320_552 Depth=1
	s_delay_alu instid0(SALU_CYCLE_1) | instskip(SKIP_3) | instid1(VALU_DEP_2)
	s_or_b32 exec_lo, exec_lo, s12
	v_lshrrev_b32_e32 v13, 16, v11
	v_mov_b32_e32 v96, 0
	s_mov_b32 s12, exec_lo
	v_dual_mov_b32 v87, 0 :: v_dual_and_b32 v0, 0xff, v13
	s_delay_alu instid0(VALU_DEP_1)
	v_cmpx_ne_u16_e32 0, v0
	s_cbranch_execz .LBB320_643
; %bb.636:                              ;   in Loop: Header=BB320_552 Depth=1
	v_bfrev_b32_e32 v87, 1
	s_mov_b32 s13, exec_lo
	v_cmpx_ne_u16_e32 0x80, v0
	s_cbranch_execz .LBB320_642
; %bb.637:                              ;   in Loop: Header=BB320_552 Depth=1
	v_bfe_u32 v97, v11, 16, 7
	v_mov_b32_e32 v87, 0x7fc02000
	s_mov_b32 s15, exec_lo
	s_delay_alu instid0(VALU_DEP_2)
	v_cmpx_ne_u32_e32 0x7f, v97
	s_cbranch_execz .LBB320_641
; %bb.638:                              ;   in Loop: Header=BB320_552 Depth=1
	v_and_b32_e32 v0, 7, v13
	v_lshrrev_b32_e32 v14, 3, v97
	s_mov_b32 s16, exec_lo
	v_cmpx_gt_u32_e32 8, v97
; %bb.639:                              ;   in Loop: Header=BB320_552 Depth=1
	s_delay_alu instid0(VALU_DEP_3) | instskip(NEXT) | instid1(VALU_DEP_1)
	v_clz_i32_u32_e32 v14, v0
	v_min_u32_e32 v14, 32, v14
	s_delay_alu instid0(VALU_DEP_1) | instskip(SKIP_1) | instid1(VALU_DEP_2)
	v_subrev_nc_u32_e32 v87, 28, v14
	v_sub_nc_u32_e32 v14, 29, v14
	v_lshlrev_b64 v[97:98], v87, v[0:1]
	s_delay_alu instid0(VALU_DEP_1)
	v_and_b32_e32 v0, 7, v97
; %bb.640:                              ;   in Loop: Header=BB320_552 Depth=1
	s_or_b32 exec_lo, exec_lo, s16
	v_lshlrev_b32_e32 v13, 8, v13
	v_lshl_add_u32 v14, v14, 10, 0x2000
	s_delay_alu instid0(VALU_DEP_1) | instskip(NEXT) | instid1(VALU_DEP_1)
	v_and_or_b32 v13, 0x8000, v13, v14
	v_lshl_or_b32 v0, v0, 7, v13
	s_delay_alu instid0(VALU_DEP_1)
	v_cvt_f32_f16_e32 v87, v0
.LBB320_641:                            ;   in Loop: Header=BB320_552 Depth=1
	s_or_b32 exec_lo, exec_lo, s15
.LBB320_642:                            ;   in Loop: Header=BB320_552 Depth=1
	s_delay_alu instid0(SALU_CYCLE_1)
	s_or_b32 exec_lo, exec_lo, s13
.LBB320_643:                            ;   in Loop: Header=BB320_552 Depth=1
	s_delay_alu instid0(SALU_CYCLE_1) | instskip(NEXT) | instid1(SALU_CYCLE_1)
	s_or_b32 exec_lo, exec_lo, s12
	s_mov_b32 s12, exec_lo
	v_cmpx_lt_u32_e32 0xffffff, v11
	s_cbranch_execz .LBB320_651
; %bb.644:                              ;   in Loop: Header=BB320_552 Depth=1
	v_lshrrev_b32_e32 v13, 24, v11
	v_bfrev_b32_e32 v96, 1
	s_mov_b32 s13, exec_lo
	s_delay_alu instid0(VALU_DEP_2)
	v_cmpx_ne_u32_e32 0x80, v13
	s_cbranch_execz .LBB320_650
; %bb.645:                              ;   in Loop: Header=BB320_552 Depth=1
	v_and_b32_e32 v97, 0x7f, v13
	v_mov_b32_e32 v96, 0x7fc02000
	s_mov_b32 s15, exec_lo
	s_delay_alu instid0(VALU_DEP_2)
	v_cmpx_ne_u32_e32 0x7f, v97
	s_cbranch_execz .LBB320_649
; %bb.646:                              ;   in Loop: Header=BB320_552 Depth=1
	v_and_b32_e32 v0, 7, v13
	v_lshrrev_b32_e32 v14, 3, v97
	s_mov_b32 s16, exec_lo
	v_cmpx_gt_u32_e32 8, v97
; %bb.647:                              ;   in Loop: Header=BB320_552 Depth=1
	s_delay_alu instid0(VALU_DEP_3) | instskip(NEXT) | instid1(VALU_DEP_1)
	v_clz_i32_u32_e32 v14, v0
	v_min_u32_e32 v14, 32, v14
	s_delay_alu instid0(VALU_DEP_1) | instskip(SKIP_1) | instid1(VALU_DEP_2)
	v_subrev_nc_u32_e32 v96, 28, v14
	v_sub_nc_u32_e32 v14, 29, v14
	v_lshlrev_b64 v[96:97], v96, v[0:1]
	s_delay_alu instid0(VALU_DEP_1)
	v_and_b32_e32 v0, 7, v96
; %bb.648:                              ;   in Loop: Header=BB320_552 Depth=1
	s_or_b32 exec_lo, exec_lo, s16
	v_lshlrev_b32_e32 v13, 8, v13
	v_lshl_add_u32 v14, v14, 10, 0x2000
	s_delay_alu instid0(VALU_DEP_1) | instskip(NEXT) | instid1(VALU_DEP_1)
	v_and_or_b32 v13, 0x8000, v13, v14
	v_lshl_or_b32 v0, v0, 7, v13
	s_delay_alu instid0(VALU_DEP_1)
	v_cvt_f32_f16_e32 v96, v0
.LBB320_649:                            ;   in Loop: Header=BB320_552 Depth=1
	s_or_b32 exec_lo, exec_lo, s15
.LBB320_650:                            ;   in Loop: Header=BB320_552 Depth=1
	s_delay_alu instid0(SALU_CYCLE_1)
	s_or_b32 exec_lo, exec_lo, s13
.LBB320_651:                            ;   in Loop: Header=BB320_552 Depth=1
	s_delay_alu instid0(SALU_CYCLE_1) | instskip(SKIP_3) | instid1(VALU_DEP_2)
	s_or_b32 exec_lo, exec_lo, s12
	v_dual_mov_b32 v97, 0 :: v_dual_and_b32 v14, 0xff, v12
	v_dual_mov_b32 v0, v12 :: v_dual_mov_b32 v13, 0
	s_mov_b32 s12, exec_lo
	v_cmpx_ne_u16_e32 0, v14
	s_cbranch_execz .LBB320_659
; %bb.652:                              ;   in Loop: Header=BB320_552 Depth=1
	v_bfrev_b32_e32 v13, 1
	s_mov_b32 s13, exec_lo
	v_cmpx_ne_u16_e32 0x80, v14
	s_cbranch_execz .LBB320_658
; %bb.653:                              ;   in Loop: Header=BB320_552 Depth=1
	v_and_b32_e32 v14, 0x7f, v12
	v_mov_b32_e32 v13, 0x7fc02000
	s_mov_b32 s15, exec_lo
	s_delay_alu instid0(VALU_DEP_2)
	v_cmpx_ne_u32_e32 0x7f, v14
	s_cbranch_execz .LBB320_657
; %bb.654:                              ;   in Loop: Header=BB320_552 Depth=1
	v_lshrrev_b32_e32 v98, 3, v14
	v_cmp_gt_u32_e64 s0, 8, v14
	v_dual_mov_b32 v14, v1 :: v_dual_mov_b32 v13, v0
	s_delay_alu instid0(VALU_DEP_2)
	s_and_saveexec_b32 s16, s0
; %bb.655:                              ;   in Loop: Header=BB320_552 Depth=1
	v_and_b32_e32 v13, 7, v12
	s_delay_alu instid0(VALU_DEP_1) | instskip(NEXT) | instid1(VALU_DEP_1)
	v_clz_i32_u32_e32 v13, v13
	v_min_u32_e32 v98, 32, v13
	s_delay_alu instid0(VALU_DEP_1) | instskip(SKIP_1) | instid1(VALU_DEP_2)
	v_subrev_nc_u32_e32 v13, 28, v98
	v_sub_nc_u32_e32 v98, 29, v98
	v_lshlrev_b64 v[13:14], v13, v[0:1]
; %bb.656:                              ;   in Loop: Header=BB320_552 Depth=1
	s_or_b32 exec_lo, exec_lo, s16
	v_lshlrev_b32_e32 v14, 8, v12
	s_delay_alu instid0(VALU_DEP_3) | instskip(NEXT) | instid1(VALU_DEP_3)
	v_lshl_add_u32 v98, v98, 10, 0x2000
	v_lshlrev_b32_e32 v13, 7, v13
	s_delay_alu instid0(VALU_DEP_2) | instskip(NEXT) | instid1(VALU_DEP_1)
	v_and_or_b32 v14, 0x8000, v14, v98
	v_and_or_b32 v13, 0x380, v13, v14
	s_delay_alu instid0(VALU_DEP_1)
	v_cvt_f32_f16_e32 v13, v13
.LBB320_657:                            ;   in Loop: Header=BB320_552 Depth=1
	s_or_b32 exec_lo, exec_lo, s15
.LBB320_658:                            ;   in Loop: Header=BB320_552 Depth=1
	s_delay_alu instid0(SALU_CYCLE_1)
	s_or_b32 exec_lo, exec_lo, s13
.LBB320_659:                            ;   in Loop: Header=BB320_552 Depth=1
	s_delay_alu instid0(SALU_CYCLE_1) | instskip(SKIP_2) | instid1(VALU_DEP_1)
	s_or_b32 exec_lo, exec_lo, s12
	v_lshrrev_b16 v0, 8, v0
	s_mov_b32 s12, exec_lo
	v_cmpx_ne_u16_e32 0, v0
	s_cbranch_execz .LBB320_667
; %bb.660:                              ;   in Loop: Header=BB320_552 Depth=1
	v_bfrev_b32_e32 v97, 1
	s_mov_b32 s13, exec_lo
	v_cmpx_ne_u16_e32 0x80, v0
	s_cbranch_execz .LBB320_666
; %bb.661:                              ;   in Loop: Header=BB320_552 Depth=1
	v_and_b32_e32 v14, 0xffff, v0
	v_mov_b32_e32 v97, 0x7fc02000
	s_mov_b32 s15, exec_lo
	s_delay_alu instid0(VALU_DEP_2) | instskip(NEXT) | instid1(VALU_DEP_1)
	v_and_b32_e32 v98, 0x7f, v14
	v_cmpx_ne_u32_e32 0x7f, v98
	s_cbranch_execz .LBB320_665
; %bb.662:                              ;   in Loop: Header=BB320_552 Depth=1
	v_and_b32_e32 v0, 7, v14
	v_lshrrev_b32_e32 v97, 3, v98
	s_mov_b32 s16, exec_lo
	v_cmpx_gt_u32_e32 8, v98
; %bb.663:                              ;   in Loop: Header=BB320_552 Depth=1
	s_delay_alu instid0(VALU_DEP_3) | instskip(NEXT) | instid1(VALU_DEP_1)
	v_clz_i32_u32_e32 v97, v0
	v_min_u32_e32 v97, 32, v97
	s_delay_alu instid0(VALU_DEP_1) | instskip(SKIP_1) | instid1(VALU_DEP_2)
	v_subrev_nc_u32_e32 v98, 28, v97
	v_sub_nc_u32_e32 v97, 29, v97
	v_lshlrev_b64 v[98:99], v98, v[0:1]
	s_delay_alu instid0(VALU_DEP_1)
	v_and_b32_e32 v0, 7, v98
; %bb.664:                              ;   in Loop: Header=BB320_552 Depth=1
	s_or_b32 exec_lo, exec_lo, s16
	v_lshlrev_b32_e32 v14, 8, v14
	v_lshl_add_u32 v97, v97, 10, 0x2000
	s_delay_alu instid0(VALU_DEP_1) | instskip(NEXT) | instid1(VALU_DEP_1)
	v_and_or_b32 v14, 0x8000, v14, v97
	v_lshl_or_b32 v0, v0, 7, v14
	s_delay_alu instid0(VALU_DEP_1)
	v_cvt_f32_f16_e32 v97, v0
.LBB320_665:                            ;   in Loop: Header=BB320_552 Depth=1
	s_or_b32 exec_lo, exec_lo, s15
.LBB320_666:                            ;   in Loop: Header=BB320_552 Depth=1
	s_delay_alu instid0(SALU_CYCLE_1)
	s_or_b32 exec_lo, exec_lo, s13
.LBB320_667:                            ;   in Loop: Header=BB320_552 Depth=1
	s_delay_alu instid0(SALU_CYCLE_1) | instskip(SKIP_4) | instid1(VALU_DEP_3)
	s_or_b32 exec_lo, exec_lo, s12
	v_lshrrev_b32_e32 v99, 16, v12
	v_mov_b32_e32 v98, 0
	v_mov_b32_e32 v14, 0
	s_mov_b32 s12, exec_lo
	v_and_b32_e32 v0, 0xff, v99
	s_delay_alu instid0(VALU_DEP_1)
	v_cmpx_ne_u16_e32 0, v0
	s_cbranch_execz .LBB320_675
; %bb.668:                              ;   in Loop: Header=BB320_552 Depth=1
	v_bfrev_b32_e32 v14, 1
	s_mov_b32 s13, exec_lo
	v_cmpx_ne_u16_e32 0x80, v0
	s_cbranch_execz .LBB320_674
; %bb.669:                              ;   in Loop: Header=BB320_552 Depth=1
	v_bfe_u32 v100, v12, 16, 7
	v_mov_b32_e32 v14, 0x7fc02000
	s_mov_b32 s15, exec_lo
	s_delay_alu instid0(VALU_DEP_2)
	v_cmpx_ne_u32_e32 0x7f, v100
	s_cbranch_execz .LBB320_673
; %bb.670:                              ;   in Loop: Header=BB320_552 Depth=1
	v_and_b32_e32 v0, 7, v99
	v_lshrrev_b32_e32 v14, 3, v100
	s_mov_b32 s16, exec_lo
	v_cmpx_gt_u32_e32 8, v100
; %bb.671:                              ;   in Loop: Header=BB320_552 Depth=1
	s_delay_alu instid0(VALU_DEP_3) | instskip(NEXT) | instid1(VALU_DEP_1)
	v_clz_i32_u32_e32 v14, v0
	v_min_u32_e32 v14, 32, v14
	s_delay_alu instid0(VALU_DEP_1) | instskip(SKIP_1) | instid1(VALU_DEP_2)
	v_subrev_nc_u32_e32 v100, 28, v14
	v_sub_nc_u32_e32 v14, 29, v14
	v_lshlrev_b64 v[100:101], v100, v[0:1]
	s_delay_alu instid0(VALU_DEP_1)
	v_and_b32_e32 v0, 7, v100
; %bb.672:                              ;   in Loop: Header=BB320_552 Depth=1
	s_or_b32 exec_lo, exec_lo, s16
	v_lshlrev_b32_e32 v99, 8, v99
	v_lshl_add_u32 v14, v14, 10, 0x2000
	s_delay_alu instid0(VALU_DEP_1) | instskip(NEXT) | instid1(VALU_DEP_1)
	v_and_or_b32 v14, 0x8000, v99, v14
	v_lshl_or_b32 v0, v0, 7, v14
	s_delay_alu instid0(VALU_DEP_1)
	v_cvt_f32_f16_e32 v14, v0
.LBB320_673:                            ;   in Loop: Header=BB320_552 Depth=1
	s_or_b32 exec_lo, exec_lo, s15
.LBB320_674:                            ;   in Loop: Header=BB320_552 Depth=1
	s_delay_alu instid0(SALU_CYCLE_1)
	s_or_b32 exec_lo, exec_lo, s13
.LBB320_675:                            ;   in Loop: Header=BB320_552 Depth=1
	s_delay_alu instid0(SALU_CYCLE_1) | instskip(NEXT) | instid1(SALU_CYCLE_1)
	s_or_b32 exec_lo, exec_lo, s12
	s_mov_b32 s12, exec_lo
	v_cmpx_lt_u64_e64 s[8:9], v[11:12]
	s_cbranch_execz .LBB320_683
; %bb.676:                              ;   in Loop: Header=BB320_552 Depth=1
	v_lshrrev_b32_e32 v11, 24, v12
	v_bfrev_b32_e32 v98, 1
	s_mov_b32 s13, exec_lo
	s_delay_alu instid0(VALU_DEP_2)
	v_cmpx_ne_u32_e32 0x80, v11
	s_cbranch_execz .LBB320_682
; %bb.677:                              ;   in Loop: Header=BB320_552 Depth=1
	v_and_b32_e32 v99, 0x7f, v11
	v_mov_b32_e32 v98, 0x7fc02000
	s_mov_b32 s15, exec_lo
	s_delay_alu instid0(VALU_DEP_2)
	v_cmpx_ne_u32_e32 0x7f, v99
	s_cbranch_execz .LBB320_681
; %bb.678:                              ;   in Loop: Header=BB320_552 Depth=1
	v_and_b32_e32 v0, 7, v11
	v_lshrrev_b32_e32 v12, 3, v99
	s_mov_b32 s16, exec_lo
	v_cmpx_gt_u32_e32 8, v99
; %bb.679:                              ;   in Loop: Header=BB320_552 Depth=1
	s_delay_alu instid0(VALU_DEP_3) | instskip(NEXT) | instid1(VALU_DEP_1)
	v_clz_i32_u32_e32 v12, v0
	v_min_u32_e32 v12, 32, v12
	s_delay_alu instid0(VALU_DEP_1) | instskip(SKIP_1) | instid1(VALU_DEP_2)
	v_subrev_nc_u32_e32 v98, 28, v12
	v_sub_nc_u32_e32 v12, 29, v12
	v_lshlrev_b64 v[98:99], v98, v[0:1]
	s_delay_alu instid0(VALU_DEP_1)
	v_and_b32_e32 v0, 7, v98
; %bb.680:                              ;   in Loop: Header=BB320_552 Depth=1
	s_or_b32 exec_lo, exec_lo, s16
	v_lshlrev_b32_e32 v11, 8, v11
	v_lshl_add_u32 v12, v12, 10, 0x2000
	s_delay_alu instid0(VALU_DEP_1) | instskip(NEXT) | instid1(VALU_DEP_1)
	v_and_or_b32 v11, 0x8000, v11, v12
	v_lshl_or_b32 v0, v0, 7, v11
	s_delay_alu instid0(VALU_DEP_1)
	v_cvt_f32_f16_e32 v98, v0
.LBB320_681:                            ;   in Loop: Header=BB320_552 Depth=1
	s_or_b32 exec_lo, exec_lo, s15
.LBB320_682:                            ;   in Loop: Header=BB320_552 Depth=1
	s_delay_alu instid0(SALU_CYCLE_1)
	s_or_b32 exec_lo, exec_lo, s13
.LBB320_683:                            ;   in Loop: Header=BB320_552 Depth=1
	s_delay_alu instid0(SALU_CYCLE_1)
	s_or_b32 exec_lo, exec_lo, s12
	s_waitcnt vmcnt(0) lgkmcnt(0)
	v_fma_mixlo_f16 v12, v84, v86, 0
	v_fma_mixlo_f16 v0, v84, v96, 0
	;; [unrolled: 1-line block ×5, first 2 shown]
	v_lshlrev_b32_e32 v86, 16, v12
	v_fma_mixlo_f16 v13, v84, v13, 0
	v_fma_mixlo_f16 v96, v84, v98, 0
	;; [unrolled: 1-line block ×3, first 2 shown]
	v_lshlrev_b32_e32 v0, 16, v0
	v_and_b32_e32 v11, 0xffff, v11
	v_and_b32_e32 v14, 0xffff, v85
	v_lshlrev_b32_e32 v84, 16, v87
	v_and_b32_e32 v85, 0xffff, v13
	v_lshlrev_b32_e32 v87, 16, v96
	v_and_b32_e32 v96, 0xffff, v12
	v_or_b32_e32 v13, v0, v11
	v_or_b32_e32 v14, v86, v14
	;; [unrolled: 1-line block ×3, first 2 shown]
	s_delay_alu instid0(VALU_DEP_4)
	v_or_b32_e32 v11, v87, v96
	s_and_saveexec_b32 s12, vcc_lo
	s_cbranch_execz .LBB320_685
; %bb.684:                              ;   in Loop: Header=BB320_552 Depth=1
	v_cmp_lt_i32_e64 s0, v18, v35
	v_lshrrev_b32_e32 v84, 16, v14
	v_lshrrev_b32_e32 v85, 16, v13
	;; [unrolled: 1-line block ×4, first 2 shown]
	v_cndmask_b32_e64 v14, 0, v14, s0
	v_cmp_lt_i32_e64 s0, v69, v51
	s_delay_alu instid0(VALU_DEP_1) | instskip(SKIP_1) | instid1(VALU_DEP_2)
	v_cndmask_b32_e64 v84, 0, v84, s0
	v_cmp_lt_i32_e64 s0, v68, v51
	v_perm_b32 v14, v84, v14, 0x5040100
	s_delay_alu instid0(VALU_DEP_2) | instskip(SKIP_1) | instid1(VALU_DEP_1)
	v_cndmask_b32_e64 v85, 0, v85, s0
	v_cmp_lt_i32_e64 s0, v67, v35
	v_cndmask_b32_e64 v13, 0, v13, s0
	v_cmp_lt_i32_e64 s0, v66, v51
	s_delay_alu instid0(VALU_DEP_2) | instskip(NEXT) | instid1(VALU_DEP_2)
	v_perm_b32 v13, v85, v13, 0x5040100
	v_cndmask_b32_e64 v86, 0, v86, s0
	v_cmp_lt_i32_e64 s0, v65, v35
	s_delay_alu instid0(VALU_DEP_1) | instskip(SKIP_1) | instid1(VALU_DEP_2)
	v_cndmask_b32_e64 v0, 0, v0, s0
	v_cmp_lt_i32_e64 s0, v54, v51
	v_perm_b32 v0, v86, v0, 0x5040100
	s_delay_alu instid0(VALU_DEP_2) | instskip(SKIP_1) | instid1(VALU_DEP_1)
	v_cndmask_b32_e64 v11, 0, v11, s0
	v_cmp_lt_i32_e64 s0, v19, v35
	v_cndmask_b32_e64 v12, 0, v12, s0
	s_delay_alu instid0(VALU_DEP_1)
	v_perm_b32 v11, v11, v12, 0x5040100
.LBB320_685:                            ;   in Loop: Header=BB320_552 Depth=1
	s_or_b32 exec_lo, exec_lo, s12
	;;#ASMSTART
	v_pk_mul_f16 v12, v83, v14;

	;;#ASMEND
	;;#ASMSTART
	v_pk_mul_f16 v13, v82, v13;

	;;#ASMEND
	;; [unrolled: 4-line block ×4, first 2 shown]
	;;#ASMSTART
	v_pk_add_f16 v12, v12, v13;

	;;#ASMEND
	;;#ASMSTART
	v_pk_add_f16 v0, v12, v0;

	;;#ASMEND
	;; [unrolled: 4-line block ×3, first 2 shown]
	v_dual_mov_b32 v96, 0 :: v_dual_and_b32 v11, 0xffff, v0
	v_lshrrev_b32_e32 v0, 16, v0
	;;#ASMSTART
	v_cvt_f32_f16 v84, v11;
	;;#ASMEND
	;;#ASMSTART
	v_cvt_f32_f16 v85, v0;
	;;#ASMEND
	flat_load_b64 v[11:12], v[9:10] offset:512
	flat_load_b32 v86, v[26:27]
	s_mov_b32 s12, exec_lo
	s_waitcnt vmcnt(1) lgkmcnt(1)
	v_dual_mov_b32 v87, 0 :: v_dual_and_b32 v0, 0xff, v11
	s_delay_alu instid0(VALU_DEP_1)
	v_cmpx_ne_u16_e32 0, v0
	s_cbranch_execz .LBB320_693
; %bb.686:                              ;   in Loop: Header=BB320_552 Depth=1
	v_bfrev_b32_e32 v87, 1
	s_mov_b32 s13, exec_lo
	v_cmpx_ne_u16_e32 0x80, v0
	s_cbranch_execz .LBB320_692
; %bb.687:                              ;   in Loop: Header=BB320_552 Depth=1
	v_and_b32_e32 v13, 0x7f, v11
	v_mov_b32_e32 v87, 0x7fc02000
	s_mov_b32 s15, exec_lo
	s_delay_alu instid0(VALU_DEP_2)
	v_cmpx_ne_u32_e32 0x7f, v13
	s_cbranch_execz .LBB320_691
; %bb.688:                              ;   in Loop: Header=BB320_552 Depth=1
	v_lshrrev_b32_e32 v0, 3, v13
	v_cmp_gt_u32_e64 s0, 8, v13
	v_dual_mov_b32 v14, v12 :: v_dual_mov_b32 v13, v11
	s_delay_alu instid0(VALU_DEP_2)
	s_and_saveexec_b32 s16, s0
; %bb.689:                              ;   in Loop: Header=BB320_552 Depth=1
	v_and_b32_e32 v0, 7, v11
	s_delay_alu instid0(VALU_DEP_1) | instskip(NEXT) | instid1(VALU_DEP_1)
	v_clz_i32_u32_e32 v0, v0
	v_min_u32_e32 v0, 32, v0
	s_delay_alu instid0(VALU_DEP_1) | instskip(SKIP_1) | instid1(VALU_DEP_2)
	v_subrev_nc_u32_e32 v13, 28, v0
	v_sub_nc_u32_e32 v0, 29, v0
	v_lshlrev_b64 v[13:14], v13, v[11:12]
; %bb.690:                              ;   in Loop: Header=BB320_552 Depth=1
	s_or_b32 exec_lo, exec_lo, s16
	v_lshlrev_b32_e32 v14, 8, v11
	s_delay_alu instid0(VALU_DEP_3) | instskip(NEXT) | instid1(VALU_DEP_3)
	v_lshl_add_u32 v0, v0, 10, 0x2000
	v_lshlrev_b32_e32 v13, 7, v13
	s_delay_alu instid0(VALU_DEP_2) | instskip(NEXT) | instid1(VALU_DEP_1)
	v_and_or_b32 v0, 0x8000, v14, v0
	v_and_or_b32 v0, 0x380, v13, v0
	s_delay_alu instid0(VALU_DEP_1)
	v_cvt_f32_f16_e32 v87, v0
.LBB320_691:                            ;   in Loop: Header=BB320_552 Depth=1
	s_or_b32 exec_lo, exec_lo, s15
.LBB320_692:                            ;   in Loop: Header=BB320_552 Depth=1
	s_delay_alu instid0(SALU_CYCLE_1)
	s_or_b32 exec_lo, exec_lo, s13
.LBB320_693:                            ;   in Loop: Header=BB320_552 Depth=1
	s_delay_alu instid0(SALU_CYCLE_1) | instskip(SKIP_2) | instid1(VALU_DEP_1)
	s_or_b32 exec_lo, exec_lo, s12
	v_lshrrev_b16 v0, 8, v11
	s_mov_b32 s12, exec_lo
	v_cmpx_ne_u16_e32 0, v0
	s_cbranch_execz .LBB320_701
; %bb.694:                              ;   in Loop: Header=BB320_552 Depth=1
	v_bfrev_b32_e32 v96, 1
	s_mov_b32 s13, exec_lo
	v_cmpx_ne_u16_e32 0x80, v0
	s_cbranch_execz .LBB320_700
; %bb.695:                              ;   in Loop: Header=BB320_552 Depth=1
	v_and_b32_e32 v13, 0xffff, v0
	v_mov_b32_e32 v96, 0x7fc02000
	s_mov_b32 s15, exec_lo
	s_delay_alu instid0(VALU_DEP_2) | instskip(NEXT) | instid1(VALU_DEP_1)
	v_and_b32_e32 v97, 0x7f, v13
	v_cmpx_ne_u32_e32 0x7f, v97
	s_cbranch_execz .LBB320_699
; %bb.696:                              ;   in Loop: Header=BB320_552 Depth=1
	v_and_b32_e32 v0, 7, v13
	v_lshrrev_b32_e32 v14, 3, v97
	s_mov_b32 s16, exec_lo
	v_cmpx_gt_u32_e32 8, v97
; %bb.697:                              ;   in Loop: Header=BB320_552 Depth=1
	s_delay_alu instid0(VALU_DEP_3) | instskip(NEXT) | instid1(VALU_DEP_1)
	v_clz_i32_u32_e32 v14, v0
	v_min_u32_e32 v14, 32, v14
	s_delay_alu instid0(VALU_DEP_1) | instskip(SKIP_1) | instid1(VALU_DEP_2)
	v_subrev_nc_u32_e32 v96, 28, v14
	v_sub_nc_u32_e32 v14, 29, v14
	v_lshlrev_b64 v[96:97], v96, v[0:1]
	s_delay_alu instid0(VALU_DEP_1)
	v_and_b32_e32 v0, 7, v96
; %bb.698:                              ;   in Loop: Header=BB320_552 Depth=1
	s_or_b32 exec_lo, exec_lo, s16
	v_lshlrev_b32_e32 v13, 8, v13
	v_lshl_add_u32 v14, v14, 10, 0x2000
	s_delay_alu instid0(VALU_DEP_1) | instskip(NEXT) | instid1(VALU_DEP_1)
	v_and_or_b32 v13, 0x8000, v13, v14
	v_lshl_or_b32 v0, v0, 7, v13
	s_delay_alu instid0(VALU_DEP_1)
	v_cvt_f32_f16_e32 v96, v0
.LBB320_699:                            ;   in Loop: Header=BB320_552 Depth=1
	s_or_b32 exec_lo, exec_lo, s15
.LBB320_700:                            ;   in Loop: Header=BB320_552 Depth=1
	s_delay_alu instid0(SALU_CYCLE_1)
	s_or_b32 exec_lo, exec_lo, s13
.LBB320_701:                            ;   in Loop: Header=BB320_552 Depth=1
	s_delay_alu instid0(SALU_CYCLE_1) | instskip(SKIP_3) | instid1(VALU_DEP_2)
	s_or_b32 exec_lo, exec_lo, s12
	v_lshrrev_b32_e32 v13, 16, v11
	v_mov_b32_e32 v98, 0
	s_mov_b32 s12, exec_lo
	v_dual_mov_b32 v97, 0 :: v_dual_and_b32 v0, 0xff, v13
	s_delay_alu instid0(VALU_DEP_1)
	v_cmpx_ne_u16_e32 0, v0
	s_cbranch_execz .LBB320_709
; %bb.702:                              ;   in Loop: Header=BB320_552 Depth=1
	v_bfrev_b32_e32 v97, 1
	s_mov_b32 s13, exec_lo
	v_cmpx_ne_u16_e32 0x80, v0
	s_cbranch_execz .LBB320_708
; %bb.703:                              ;   in Loop: Header=BB320_552 Depth=1
	v_bfe_u32 v99, v11, 16, 7
	v_mov_b32_e32 v97, 0x7fc02000
	s_mov_b32 s15, exec_lo
	s_delay_alu instid0(VALU_DEP_2)
	v_cmpx_ne_u32_e32 0x7f, v99
	s_cbranch_execz .LBB320_707
; %bb.704:                              ;   in Loop: Header=BB320_552 Depth=1
	v_and_b32_e32 v0, 7, v13
	v_lshrrev_b32_e32 v14, 3, v99
	s_mov_b32 s16, exec_lo
	v_cmpx_gt_u32_e32 8, v99
; %bb.705:                              ;   in Loop: Header=BB320_552 Depth=1
	s_delay_alu instid0(VALU_DEP_3) | instskip(NEXT) | instid1(VALU_DEP_1)
	v_clz_i32_u32_e32 v14, v0
	v_min_u32_e32 v14, 32, v14
	s_delay_alu instid0(VALU_DEP_1) | instskip(SKIP_1) | instid1(VALU_DEP_2)
	v_subrev_nc_u32_e32 v97, 28, v14
	v_sub_nc_u32_e32 v14, 29, v14
	v_lshlrev_b64 v[99:100], v97, v[0:1]
	s_delay_alu instid0(VALU_DEP_1)
	v_and_b32_e32 v0, 7, v99
; %bb.706:                              ;   in Loop: Header=BB320_552 Depth=1
	s_or_b32 exec_lo, exec_lo, s16
	v_lshlrev_b32_e32 v13, 8, v13
	v_lshl_add_u32 v14, v14, 10, 0x2000
	s_delay_alu instid0(VALU_DEP_1) | instskip(NEXT) | instid1(VALU_DEP_1)
	v_and_or_b32 v13, 0x8000, v13, v14
	v_lshl_or_b32 v0, v0, 7, v13
	s_delay_alu instid0(VALU_DEP_1)
	v_cvt_f32_f16_e32 v97, v0
.LBB320_707:                            ;   in Loop: Header=BB320_552 Depth=1
	s_or_b32 exec_lo, exec_lo, s15
.LBB320_708:                            ;   in Loop: Header=BB320_552 Depth=1
	s_delay_alu instid0(SALU_CYCLE_1)
	s_or_b32 exec_lo, exec_lo, s13
.LBB320_709:                            ;   in Loop: Header=BB320_552 Depth=1
	s_delay_alu instid0(SALU_CYCLE_1) | instskip(NEXT) | instid1(SALU_CYCLE_1)
	s_or_b32 exec_lo, exec_lo, s12
	s_mov_b32 s12, exec_lo
	v_cmpx_lt_u32_e32 0xffffff, v11
	s_cbranch_execz .LBB320_717
; %bb.710:                              ;   in Loop: Header=BB320_552 Depth=1
	v_lshrrev_b32_e32 v13, 24, v11
	v_bfrev_b32_e32 v98, 1
	s_mov_b32 s13, exec_lo
	s_delay_alu instid0(VALU_DEP_2)
	v_cmpx_ne_u32_e32 0x80, v13
	s_cbranch_execz .LBB320_716
; %bb.711:                              ;   in Loop: Header=BB320_552 Depth=1
	v_and_b32_e32 v99, 0x7f, v13
	v_mov_b32_e32 v98, 0x7fc02000
	s_mov_b32 s15, exec_lo
	s_delay_alu instid0(VALU_DEP_2)
	v_cmpx_ne_u32_e32 0x7f, v99
	s_cbranch_execz .LBB320_715
; %bb.712:                              ;   in Loop: Header=BB320_552 Depth=1
	v_and_b32_e32 v0, 7, v13
	v_lshrrev_b32_e32 v14, 3, v99
	s_mov_b32 s16, exec_lo
	v_cmpx_gt_u32_e32 8, v99
; %bb.713:                              ;   in Loop: Header=BB320_552 Depth=1
	s_delay_alu instid0(VALU_DEP_3) | instskip(NEXT) | instid1(VALU_DEP_1)
	v_clz_i32_u32_e32 v14, v0
	v_min_u32_e32 v14, 32, v14
	s_delay_alu instid0(VALU_DEP_1) | instskip(SKIP_1) | instid1(VALU_DEP_2)
	v_subrev_nc_u32_e32 v98, 28, v14
	v_sub_nc_u32_e32 v14, 29, v14
	v_lshlrev_b64 v[98:99], v98, v[0:1]
	s_delay_alu instid0(VALU_DEP_1)
	v_and_b32_e32 v0, 7, v98
; %bb.714:                              ;   in Loop: Header=BB320_552 Depth=1
	s_or_b32 exec_lo, exec_lo, s16
	v_lshlrev_b32_e32 v13, 8, v13
	v_lshl_add_u32 v14, v14, 10, 0x2000
	s_delay_alu instid0(VALU_DEP_1) | instskip(NEXT) | instid1(VALU_DEP_1)
	v_and_or_b32 v13, 0x8000, v13, v14
	v_lshl_or_b32 v0, v0, 7, v13
	s_delay_alu instid0(VALU_DEP_1)
	v_cvt_f32_f16_e32 v98, v0
.LBB320_715:                            ;   in Loop: Header=BB320_552 Depth=1
	s_or_b32 exec_lo, exec_lo, s15
.LBB320_716:                            ;   in Loop: Header=BB320_552 Depth=1
	s_delay_alu instid0(SALU_CYCLE_1)
	s_or_b32 exec_lo, exec_lo, s13
.LBB320_717:                            ;   in Loop: Header=BB320_552 Depth=1
	s_delay_alu instid0(SALU_CYCLE_1) | instskip(SKIP_3) | instid1(VALU_DEP_2)
	s_or_b32 exec_lo, exec_lo, s12
	v_dual_mov_b32 v99, 0 :: v_dual_and_b32 v14, 0xff, v12
	v_dual_mov_b32 v0, v12 :: v_dual_mov_b32 v13, 0
	s_mov_b32 s12, exec_lo
	v_cmpx_ne_u16_e32 0, v14
	s_cbranch_execz .LBB320_725
; %bb.718:                              ;   in Loop: Header=BB320_552 Depth=1
	v_bfrev_b32_e32 v13, 1
	s_mov_b32 s13, exec_lo
	v_cmpx_ne_u16_e32 0x80, v14
	s_cbranch_execz .LBB320_724
; %bb.719:                              ;   in Loop: Header=BB320_552 Depth=1
	v_and_b32_e32 v14, 0x7f, v12
	v_mov_b32_e32 v13, 0x7fc02000
	s_mov_b32 s15, exec_lo
	s_delay_alu instid0(VALU_DEP_2)
	v_cmpx_ne_u32_e32 0x7f, v14
	s_cbranch_execz .LBB320_723
; %bb.720:                              ;   in Loop: Header=BB320_552 Depth=1
	v_lshrrev_b32_e32 v100, 3, v14
	v_cmp_gt_u32_e64 s0, 8, v14
	v_dual_mov_b32 v14, v1 :: v_dual_mov_b32 v13, v0
	s_delay_alu instid0(VALU_DEP_2)
	s_and_saveexec_b32 s16, s0
; %bb.721:                              ;   in Loop: Header=BB320_552 Depth=1
	v_and_b32_e32 v13, 7, v12
	s_delay_alu instid0(VALU_DEP_1) | instskip(NEXT) | instid1(VALU_DEP_1)
	v_clz_i32_u32_e32 v13, v13
	v_min_u32_e32 v100, 32, v13
	s_delay_alu instid0(VALU_DEP_1) | instskip(SKIP_1) | instid1(VALU_DEP_2)
	v_subrev_nc_u32_e32 v13, 28, v100
	v_sub_nc_u32_e32 v100, 29, v100
	v_lshlrev_b64 v[13:14], v13, v[0:1]
; %bb.722:                              ;   in Loop: Header=BB320_552 Depth=1
	s_or_b32 exec_lo, exec_lo, s16
	v_lshlrev_b32_e32 v14, 8, v12
	s_delay_alu instid0(VALU_DEP_3) | instskip(NEXT) | instid1(VALU_DEP_3)
	v_lshl_add_u32 v100, v100, 10, 0x2000
	v_lshlrev_b32_e32 v13, 7, v13
	s_delay_alu instid0(VALU_DEP_2) | instskip(NEXT) | instid1(VALU_DEP_1)
	v_and_or_b32 v14, 0x8000, v14, v100
	v_and_or_b32 v13, 0x380, v13, v14
	s_delay_alu instid0(VALU_DEP_1)
	v_cvt_f32_f16_e32 v13, v13
.LBB320_723:                            ;   in Loop: Header=BB320_552 Depth=1
	s_or_b32 exec_lo, exec_lo, s15
.LBB320_724:                            ;   in Loop: Header=BB320_552 Depth=1
	s_delay_alu instid0(SALU_CYCLE_1)
	s_or_b32 exec_lo, exec_lo, s13
.LBB320_725:                            ;   in Loop: Header=BB320_552 Depth=1
	s_delay_alu instid0(SALU_CYCLE_1) | instskip(SKIP_2) | instid1(VALU_DEP_1)
	s_or_b32 exec_lo, exec_lo, s12
	v_lshrrev_b16 v0, 8, v0
	s_mov_b32 s12, exec_lo
	v_cmpx_ne_u16_e32 0, v0
	s_cbranch_execz .LBB320_733
; %bb.726:                              ;   in Loop: Header=BB320_552 Depth=1
	v_bfrev_b32_e32 v99, 1
	s_mov_b32 s13, exec_lo
	v_cmpx_ne_u16_e32 0x80, v0
	s_cbranch_execz .LBB320_732
; %bb.727:                              ;   in Loop: Header=BB320_552 Depth=1
	v_and_b32_e32 v14, 0xffff, v0
	v_mov_b32_e32 v99, 0x7fc02000
	s_mov_b32 s15, exec_lo
	s_delay_alu instid0(VALU_DEP_2) | instskip(NEXT) | instid1(VALU_DEP_1)
	v_and_b32_e32 v100, 0x7f, v14
	v_cmpx_ne_u32_e32 0x7f, v100
	s_cbranch_execz .LBB320_731
; %bb.728:                              ;   in Loop: Header=BB320_552 Depth=1
	v_and_b32_e32 v0, 7, v14
	v_lshrrev_b32_e32 v99, 3, v100
	s_mov_b32 s16, exec_lo
	v_cmpx_gt_u32_e32 8, v100
; %bb.729:                              ;   in Loop: Header=BB320_552 Depth=1
	s_delay_alu instid0(VALU_DEP_3) | instskip(NEXT) | instid1(VALU_DEP_1)
	v_clz_i32_u32_e32 v99, v0
	v_min_u32_e32 v99, 32, v99
	s_delay_alu instid0(VALU_DEP_1) | instskip(SKIP_1) | instid1(VALU_DEP_2)
	v_subrev_nc_u32_e32 v100, 28, v99
	v_sub_nc_u32_e32 v99, 29, v99
	v_lshlrev_b64 v[100:101], v100, v[0:1]
	s_delay_alu instid0(VALU_DEP_1)
	v_and_b32_e32 v0, 7, v100
; %bb.730:                              ;   in Loop: Header=BB320_552 Depth=1
	s_or_b32 exec_lo, exec_lo, s16
	v_lshlrev_b32_e32 v14, 8, v14
	v_lshl_add_u32 v99, v99, 10, 0x2000
	s_delay_alu instid0(VALU_DEP_1) | instskip(NEXT) | instid1(VALU_DEP_1)
	v_and_or_b32 v14, 0x8000, v14, v99
	v_lshl_or_b32 v0, v0, 7, v14
	s_delay_alu instid0(VALU_DEP_1)
	v_cvt_f32_f16_e32 v99, v0
.LBB320_731:                            ;   in Loop: Header=BB320_552 Depth=1
	s_or_b32 exec_lo, exec_lo, s15
.LBB320_732:                            ;   in Loop: Header=BB320_552 Depth=1
	s_delay_alu instid0(SALU_CYCLE_1)
	s_or_b32 exec_lo, exec_lo, s13
.LBB320_733:                            ;   in Loop: Header=BB320_552 Depth=1
	s_delay_alu instid0(SALU_CYCLE_1) | instskip(SKIP_4) | instid1(VALU_DEP_3)
	s_or_b32 exec_lo, exec_lo, s12
	v_lshrrev_b32_e32 v101, 16, v12
	v_mov_b32_e32 v100, 0
	v_mov_b32_e32 v14, 0
	s_mov_b32 s12, exec_lo
	v_and_b32_e32 v0, 0xff, v101
	s_delay_alu instid0(VALU_DEP_1)
	v_cmpx_ne_u16_e32 0, v0
	s_cbranch_execz .LBB320_741
; %bb.734:                              ;   in Loop: Header=BB320_552 Depth=1
	v_bfrev_b32_e32 v14, 1
	s_mov_b32 s13, exec_lo
	v_cmpx_ne_u16_e32 0x80, v0
	s_cbranch_execz .LBB320_740
; %bb.735:                              ;   in Loop: Header=BB320_552 Depth=1
	v_bfe_u32 v102, v12, 16, 7
	v_mov_b32_e32 v14, 0x7fc02000
	s_mov_b32 s15, exec_lo
	s_delay_alu instid0(VALU_DEP_2)
	v_cmpx_ne_u32_e32 0x7f, v102
	s_cbranch_execz .LBB320_739
; %bb.736:                              ;   in Loop: Header=BB320_552 Depth=1
	v_and_b32_e32 v0, 7, v101
	v_lshrrev_b32_e32 v14, 3, v102
	s_mov_b32 s16, exec_lo
	v_cmpx_gt_u32_e32 8, v102
; %bb.737:                              ;   in Loop: Header=BB320_552 Depth=1
	s_delay_alu instid0(VALU_DEP_3) | instskip(NEXT) | instid1(VALU_DEP_1)
	v_clz_i32_u32_e32 v14, v0
	v_min_u32_e32 v14, 32, v14
	s_delay_alu instid0(VALU_DEP_1) | instskip(SKIP_1) | instid1(VALU_DEP_2)
	v_subrev_nc_u32_e32 v102, 28, v14
	v_sub_nc_u32_e32 v14, 29, v14
	v_lshlrev_b64 v[102:103], v102, v[0:1]
	s_delay_alu instid0(VALU_DEP_1)
	v_and_b32_e32 v0, 7, v102
; %bb.738:                              ;   in Loop: Header=BB320_552 Depth=1
	s_or_b32 exec_lo, exec_lo, s16
	v_lshlrev_b32_e32 v101, 8, v101
	v_lshl_add_u32 v14, v14, 10, 0x2000
	s_delay_alu instid0(VALU_DEP_1) | instskip(NEXT) | instid1(VALU_DEP_1)
	v_and_or_b32 v14, 0x8000, v101, v14
	v_lshl_or_b32 v0, v0, 7, v14
	s_delay_alu instid0(VALU_DEP_1)
	v_cvt_f32_f16_e32 v14, v0
.LBB320_739:                            ;   in Loop: Header=BB320_552 Depth=1
	s_or_b32 exec_lo, exec_lo, s15
.LBB320_740:                            ;   in Loop: Header=BB320_552 Depth=1
	s_delay_alu instid0(SALU_CYCLE_1)
	s_or_b32 exec_lo, exec_lo, s13
.LBB320_741:                            ;   in Loop: Header=BB320_552 Depth=1
	s_delay_alu instid0(SALU_CYCLE_1) | instskip(NEXT) | instid1(SALU_CYCLE_1)
	s_or_b32 exec_lo, exec_lo, s12
	s_mov_b32 s12, exec_lo
	v_cmpx_lt_u64_e64 s[8:9], v[11:12]
	s_cbranch_execz .LBB320_749
; %bb.742:                              ;   in Loop: Header=BB320_552 Depth=1
	v_lshrrev_b32_e32 v11, 24, v12
	v_bfrev_b32_e32 v100, 1
	s_mov_b32 s13, exec_lo
	s_delay_alu instid0(VALU_DEP_2)
	v_cmpx_ne_u32_e32 0x80, v11
	s_cbranch_execz .LBB320_748
; %bb.743:                              ;   in Loop: Header=BB320_552 Depth=1
	v_and_b32_e32 v101, 0x7f, v11
	v_mov_b32_e32 v100, 0x7fc02000
	s_mov_b32 s15, exec_lo
	s_delay_alu instid0(VALU_DEP_2)
	v_cmpx_ne_u32_e32 0x7f, v101
	s_cbranch_execz .LBB320_747
; %bb.744:                              ;   in Loop: Header=BB320_552 Depth=1
	v_and_b32_e32 v0, 7, v11
	v_lshrrev_b32_e32 v12, 3, v101
	s_mov_b32 s16, exec_lo
	v_cmpx_gt_u32_e32 8, v101
; %bb.745:                              ;   in Loop: Header=BB320_552 Depth=1
	s_delay_alu instid0(VALU_DEP_3) | instskip(NEXT) | instid1(VALU_DEP_1)
	v_clz_i32_u32_e32 v12, v0
	v_min_u32_e32 v12, 32, v12
	s_delay_alu instid0(VALU_DEP_1) | instskip(SKIP_1) | instid1(VALU_DEP_2)
	v_subrev_nc_u32_e32 v100, 28, v12
	v_sub_nc_u32_e32 v12, 29, v12
	v_lshlrev_b64 v[100:101], v100, v[0:1]
	s_delay_alu instid0(VALU_DEP_1)
	v_and_b32_e32 v0, 7, v100
; %bb.746:                              ;   in Loop: Header=BB320_552 Depth=1
	s_or_b32 exec_lo, exec_lo, s16
	v_lshlrev_b32_e32 v11, 8, v11
	v_lshl_add_u32 v12, v12, 10, 0x2000
	s_delay_alu instid0(VALU_DEP_1) | instskip(NEXT) | instid1(VALU_DEP_1)
	v_and_or_b32 v11, 0x8000, v11, v12
	v_lshl_or_b32 v0, v0, 7, v11
	s_delay_alu instid0(VALU_DEP_1)
	v_cvt_f32_f16_e32 v100, v0
.LBB320_747:                            ;   in Loop: Header=BB320_552 Depth=1
	s_or_b32 exec_lo, exec_lo, s15
.LBB320_748:                            ;   in Loop: Header=BB320_552 Depth=1
	s_delay_alu instid0(SALU_CYCLE_1)
	s_or_b32 exec_lo, exec_lo, s13
.LBB320_749:                            ;   in Loop: Header=BB320_552 Depth=1
	s_delay_alu instid0(SALU_CYCLE_1)
	s_or_b32 exec_lo, exec_lo, s12
	s_waitcnt vmcnt(0) lgkmcnt(0)
	v_fma_mixlo_f16 v12, v86, v96, 0
	v_fma_mixlo_f16 v0, v86, v98, 0
	v_fma_mixlo_f16 v11, v86, v97, 0
	v_fma_mixlo_f16 v87, v86, v87, 0
	v_fma_mixlo_f16 v97, v86, v99, 0
	v_lshlrev_b32_e32 v96, 16, v12
	v_fma_mixlo_f16 v13, v86, v13, 0
	v_fma_mixlo_f16 v98, v86, v100, 0
	;; [unrolled: 1-line block ×3, first 2 shown]
	v_lshlrev_b32_e32 v0, 16, v0
	v_and_b32_e32 v11, 0xffff, v11
	v_and_b32_e32 v14, 0xffff, v87
	v_lshlrev_b32_e32 v86, 16, v97
	v_and_b32_e32 v87, 0xffff, v13
	v_lshlrev_b32_e32 v97, 16, v98
	v_and_b32_e32 v98, 0xffff, v12
	v_or_b32_e32 v13, v0, v11
	v_or_b32_e32 v14, v96, v14
	;; [unrolled: 1-line block ×3, first 2 shown]
	s_delay_alu instid0(VALU_DEP_4)
	v_or_b32_e32 v11, v97, v98
	s_and_saveexec_b32 s12, vcc_lo
	s_cbranch_execz .LBB320_751
; %bb.750:                              ;   in Loop: Header=BB320_552 Depth=1
	v_cmp_lt_i32_e64 s0, v18, v35
	v_lshrrev_b32_e32 v86, 16, v14
	v_lshrrev_b32_e32 v87, 16, v13
	;; [unrolled: 1-line block ×4, first 2 shown]
	v_cndmask_b32_e64 v14, 0, v14, s0
	v_cmp_lt_i32_e64 s0, v69, v51
	s_delay_alu instid0(VALU_DEP_1) | instskip(SKIP_1) | instid1(VALU_DEP_2)
	v_cndmask_b32_e64 v86, 0, v86, s0
	v_cmp_lt_i32_e64 s0, v68, v51
	v_perm_b32 v14, v86, v14, 0x5040100
	s_delay_alu instid0(VALU_DEP_2) | instskip(SKIP_1) | instid1(VALU_DEP_1)
	v_cndmask_b32_e64 v87, 0, v87, s0
	v_cmp_lt_i32_e64 s0, v67, v35
	v_cndmask_b32_e64 v13, 0, v13, s0
	v_cmp_lt_i32_e64 s0, v66, v51
	s_delay_alu instid0(VALU_DEP_2) | instskip(NEXT) | instid1(VALU_DEP_2)
	v_perm_b32 v13, v87, v13, 0x5040100
	v_cndmask_b32_e64 v96, 0, v96, s0
	v_cmp_lt_i32_e64 s0, v65, v35
	s_delay_alu instid0(VALU_DEP_1) | instskip(SKIP_1) | instid1(VALU_DEP_2)
	v_cndmask_b32_e64 v0, 0, v0, s0
	v_cmp_lt_i32_e64 s0, v54, v51
	v_perm_b32 v0, v96, v0, 0x5040100
	s_delay_alu instid0(VALU_DEP_2) | instskip(SKIP_1) | instid1(VALU_DEP_1)
	v_cndmask_b32_e64 v11, 0, v11, s0
	v_cmp_lt_i32_e64 s0, v19, v35
	v_cndmask_b32_e64 v12, 0, v12, s0
	s_delay_alu instid0(VALU_DEP_1)
	v_perm_b32 v11, v11, v12, 0x5040100
.LBB320_751:                            ;   in Loop: Header=BB320_552 Depth=1
	s_or_b32 exec_lo, exec_lo, s12
	;;#ASMSTART
	v_pk_mul_f16 v12, v83, v14;

	;;#ASMEND
	;;#ASMSTART
	v_pk_mul_f16 v13, v82, v13;

	;;#ASMEND
	;; [unrolled: 4-line block ×4, first 2 shown]
	;;#ASMSTART
	v_pk_add_f16 v12, v12, v13;

	;;#ASMEND
	;;#ASMSTART
	v_pk_add_f16 v0, v12, v0;

	;;#ASMEND
	;; [unrolled: 4-line block ×3, first 2 shown]
	v_dual_mov_b32 v98, 0 :: v_dual_and_b32 v11, 0xffff, v0
	v_lshrrev_b32_e32 v0, 16, v0
	;;#ASMSTART
	v_cvt_f32_f16 v86, v11;
	;;#ASMEND
	;;#ASMSTART
	v_cvt_f32_f16 v87, v0;
	;;#ASMEND
	flat_load_b64 v[11:12], v[9:10] offset:768
	flat_load_b32 v96, v[26:27]
	s_mov_b32 s12, exec_lo
	s_waitcnt vmcnt(1) lgkmcnt(1)
	v_dual_mov_b32 v97, 0 :: v_dual_and_b32 v0, 0xff, v11
	s_delay_alu instid0(VALU_DEP_1)
	v_cmpx_ne_u16_e32 0, v0
	s_cbranch_execz .LBB320_759
; %bb.752:                              ;   in Loop: Header=BB320_552 Depth=1
	v_bfrev_b32_e32 v97, 1
	s_mov_b32 s13, exec_lo
	v_cmpx_ne_u16_e32 0x80, v0
	s_cbranch_execz .LBB320_758
; %bb.753:                              ;   in Loop: Header=BB320_552 Depth=1
	v_and_b32_e32 v13, 0x7f, v11
	v_mov_b32_e32 v97, 0x7fc02000
	s_mov_b32 s15, exec_lo
	s_delay_alu instid0(VALU_DEP_2)
	v_cmpx_ne_u32_e32 0x7f, v13
	s_cbranch_execz .LBB320_757
; %bb.754:                              ;   in Loop: Header=BB320_552 Depth=1
	v_lshrrev_b32_e32 v0, 3, v13
	v_cmp_gt_u32_e64 s0, 8, v13
	v_dual_mov_b32 v14, v12 :: v_dual_mov_b32 v13, v11
	s_delay_alu instid0(VALU_DEP_2)
	s_and_saveexec_b32 s16, s0
; %bb.755:                              ;   in Loop: Header=BB320_552 Depth=1
	v_and_b32_e32 v0, 7, v11
	s_delay_alu instid0(VALU_DEP_1) | instskip(NEXT) | instid1(VALU_DEP_1)
	v_clz_i32_u32_e32 v0, v0
	v_min_u32_e32 v0, 32, v0
	s_delay_alu instid0(VALU_DEP_1) | instskip(SKIP_1) | instid1(VALU_DEP_2)
	v_subrev_nc_u32_e32 v13, 28, v0
	v_sub_nc_u32_e32 v0, 29, v0
	v_lshlrev_b64 v[13:14], v13, v[11:12]
; %bb.756:                              ;   in Loop: Header=BB320_552 Depth=1
	s_or_b32 exec_lo, exec_lo, s16
	v_lshlrev_b32_e32 v14, 8, v11
	s_delay_alu instid0(VALU_DEP_3) | instskip(NEXT) | instid1(VALU_DEP_3)
	v_lshl_add_u32 v0, v0, 10, 0x2000
	v_lshlrev_b32_e32 v13, 7, v13
	s_delay_alu instid0(VALU_DEP_2) | instskip(NEXT) | instid1(VALU_DEP_1)
	v_and_or_b32 v0, 0x8000, v14, v0
	v_and_or_b32 v0, 0x380, v13, v0
	s_delay_alu instid0(VALU_DEP_1)
	v_cvt_f32_f16_e32 v97, v0
.LBB320_757:                            ;   in Loop: Header=BB320_552 Depth=1
	s_or_b32 exec_lo, exec_lo, s15
.LBB320_758:                            ;   in Loop: Header=BB320_552 Depth=1
	s_delay_alu instid0(SALU_CYCLE_1)
	s_or_b32 exec_lo, exec_lo, s13
.LBB320_759:                            ;   in Loop: Header=BB320_552 Depth=1
	s_delay_alu instid0(SALU_CYCLE_1) | instskip(SKIP_2) | instid1(VALU_DEP_1)
	s_or_b32 exec_lo, exec_lo, s12
	v_lshrrev_b16 v0, 8, v11
	s_mov_b32 s12, exec_lo
	v_cmpx_ne_u16_e32 0, v0
	s_cbranch_execz .LBB320_767
; %bb.760:                              ;   in Loop: Header=BB320_552 Depth=1
	v_bfrev_b32_e32 v98, 1
	s_mov_b32 s13, exec_lo
	v_cmpx_ne_u16_e32 0x80, v0
	s_cbranch_execz .LBB320_766
; %bb.761:                              ;   in Loop: Header=BB320_552 Depth=1
	v_and_b32_e32 v13, 0xffff, v0
	v_mov_b32_e32 v98, 0x7fc02000
	s_mov_b32 s15, exec_lo
	s_delay_alu instid0(VALU_DEP_2) | instskip(NEXT) | instid1(VALU_DEP_1)
	v_and_b32_e32 v99, 0x7f, v13
	v_cmpx_ne_u32_e32 0x7f, v99
	s_cbranch_execz .LBB320_765
; %bb.762:                              ;   in Loop: Header=BB320_552 Depth=1
	v_and_b32_e32 v0, 7, v13
	v_lshrrev_b32_e32 v14, 3, v99
	s_mov_b32 s16, exec_lo
	v_cmpx_gt_u32_e32 8, v99
; %bb.763:                              ;   in Loop: Header=BB320_552 Depth=1
	s_delay_alu instid0(VALU_DEP_3) | instskip(NEXT) | instid1(VALU_DEP_1)
	v_clz_i32_u32_e32 v14, v0
	v_min_u32_e32 v14, 32, v14
	s_delay_alu instid0(VALU_DEP_1) | instskip(SKIP_1) | instid1(VALU_DEP_2)
	v_subrev_nc_u32_e32 v98, 28, v14
	v_sub_nc_u32_e32 v14, 29, v14
	v_lshlrev_b64 v[98:99], v98, v[0:1]
	s_delay_alu instid0(VALU_DEP_1)
	v_and_b32_e32 v0, 7, v98
; %bb.764:                              ;   in Loop: Header=BB320_552 Depth=1
	s_or_b32 exec_lo, exec_lo, s16
	v_lshlrev_b32_e32 v13, 8, v13
	v_lshl_add_u32 v14, v14, 10, 0x2000
	s_delay_alu instid0(VALU_DEP_1) | instskip(NEXT) | instid1(VALU_DEP_1)
	v_and_or_b32 v13, 0x8000, v13, v14
	v_lshl_or_b32 v0, v0, 7, v13
	s_delay_alu instid0(VALU_DEP_1)
	v_cvt_f32_f16_e32 v98, v0
.LBB320_765:                            ;   in Loop: Header=BB320_552 Depth=1
	s_or_b32 exec_lo, exec_lo, s15
.LBB320_766:                            ;   in Loop: Header=BB320_552 Depth=1
	s_delay_alu instid0(SALU_CYCLE_1)
	s_or_b32 exec_lo, exec_lo, s13
.LBB320_767:                            ;   in Loop: Header=BB320_552 Depth=1
	s_delay_alu instid0(SALU_CYCLE_1) | instskip(SKIP_3) | instid1(VALU_DEP_2)
	s_or_b32 exec_lo, exec_lo, s12
	v_lshrrev_b32_e32 v13, 16, v11
	v_mov_b32_e32 v100, 0
	s_mov_b32 s12, exec_lo
	v_dual_mov_b32 v99, 0 :: v_dual_and_b32 v0, 0xff, v13
	s_delay_alu instid0(VALU_DEP_1)
	v_cmpx_ne_u16_e32 0, v0
	s_cbranch_execz .LBB320_775
; %bb.768:                              ;   in Loop: Header=BB320_552 Depth=1
	v_bfrev_b32_e32 v99, 1
	s_mov_b32 s13, exec_lo
	v_cmpx_ne_u16_e32 0x80, v0
	s_cbranch_execz .LBB320_774
; %bb.769:                              ;   in Loop: Header=BB320_552 Depth=1
	v_bfe_u32 v101, v11, 16, 7
	v_mov_b32_e32 v99, 0x7fc02000
	s_mov_b32 s15, exec_lo
	s_delay_alu instid0(VALU_DEP_2)
	v_cmpx_ne_u32_e32 0x7f, v101
	s_cbranch_execz .LBB320_773
; %bb.770:                              ;   in Loop: Header=BB320_552 Depth=1
	v_and_b32_e32 v0, 7, v13
	v_lshrrev_b32_e32 v14, 3, v101
	s_mov_b32 s16, exec_lo
	v_cmpx_gt_u32_e32 8, v101
; %bb.771:                              ;   in Loop: Header=BB320_552 Depth=1
	s_delay_alu instid0(VALU_DEP_3) | instskip(NEXT) | instid1(VALU_DEP_1)
	v_clz_i32_u32_e32 v14, v0
	v_min_u32_e32 v14, 32, v14
	s_delay_alu instid0(VALU_DEP_1) | instskip(SKIP_1) | instid1(VALU_DEP_2)
	v_subrev_nc_u32_e32 v99, 28, v14
	v_sub_nc_u32_e32 v14, 29, v14
	v_lshlrev_b64 v[101:102], v99, v[0:1]
	s_delay_alu instid0(VALU_DEP_1)
	v_and_b32_e32 v0, 7, v101
; %bb.772:                              ;   in Loop: Header=BB320_552 Depth=1
	s_or_b32 exec_lo, exec_lo, s16
	v_lshlrev_b32_e32 v13, 8, v13
	v_lshl_add_u32 v14, v14, 10, 0x2000
	s_delay_alu instid0(VALU_DEP_1) | instskip(NEXT) | instid1(VALU_DEP_1)
	v_and_or_b32 v13, 0x8000, v13, v14
	v_lshl_or_b32 v0, v0, 7, v13
	s_delay_alu instid0(VALU_DEP_1)
	v_cvt_f32_f16_e32 v99, v0
.LBB320_773:                            ;   in Loop: Header=BB320_552 Depth=1
	s_or_b32 exec_lo, exec_lo, s15
.LBB320_774:                            ;   in Loop: Header=BB320_552 Depth=1
	s_delay_alu instid0(SALU_CYCLE_1)
	s_or_b32 exec_lo, exec_lo, s13
.LBB320_775:                            ;   in Loop: Header=BB320_552 Depth=1
	s_delay_alu instid0(SALU_CYCLE_1) | instskip(NEXT) | instid1(SALU_CYCLE_1)
	s_or_b32 exec_lo, exec_lo, s12
	s_mov_b32 s12, exec_lo
	v_cmpx_lt_u32_e32 0xffffff, v11
	s_cbranch_execz .LBB320_783
; %bb.776:                              ;   in Loop: Header=BB320_552 Depth=1
	v_lshrrev_b32_e32 v13, 24, v11
	v_bfrev_b32_e32 v100, 1
	s_mov_b32 s13, exec_lo
	s_delay_alu instid0(VALU_DEP_2)
	v_cmpx_ne_u32_e32 0x80, v13
	s_cbranch_execz .LBB320_782
; %bb.777:                              ;   in Loop: Header=BB320_552 Depth=1
	v_and_b32_e32 v101, 0x7f, v13
	v_mov_b32_e32 v100, 0x7fc02000
	s_mov_b32 s15, exec_lo
	s_delay_alu instid0(VALU_DEP_2)
	v_cmpx_ne_u32_e32 0x7f, v101
	s_cbranch_execz .LBB320_781
; %bb.778:                              ;   in Loop: Header=BB320_552 Depth=1
	v_and_b32_e32 v0, 7, v13
	v_lshrrev_b32_e32 v14, 3, v101
	s_mov_b32 s16, exec_lo
	v_cmpx_gt_u32_e32 8, v101
; %bb.779:                              ;   in Loop: Header=BB320_552 Depth=1
	s_delay_alu instid0(VALU_DEP_3) | instskip(NEXT) | instid1(VALU_DEP_1)
	v_clz_i32_u32_e32 v14, v0
	v_min_u32_e32 v14, 32, v14
	s_delay_alu instid0(VALU_DEP_1) | instskip(SKIP_1) | instid1(VALU_DEP_2)
	v_subrev_nc_u32_e32 v100, 28, v14
	v_sub_nc_u32_e32 v14, 29, v14
	v_lshlrev_b64 v[100:101], v100, v[0:1]
	s_delay_alu instid0(VALU_DEP_1)
	v_and_b32_e32 v0, 7, v100
; %bb.780:                              ;   in Loop: Header=BB320_552 Depth=1
	s_or_b32 exec_lo, exec_lo, s16
	v_lshlrev_b32_e32 v13, 8, v13
	v_lshl_add_u32 v14, v14, 10, 0x2000
	s_delay_alu instid0(VALU_DEP_1) | instskip(NEXT) | instid1(VALU_DEP_1)
	v_and_or_b32 v13, 0x8000, v13, v14
	v_lshl_or_b32 v0, v0, 7, v13
	s_delay_alu instid0(VALU_DEP_1)
	v_cvt_f32_f16_e32 v100, v0
.LBB320_781:                            ;   in Loop: Header=BB320_552 Depth=1
	s_or_b32 exec_lo, exec_lo, s15
.LBB320_782:                            ;   in Loop: Header=BB320_552 Depth=1
	s_delay_alu instid0(SALU_CYCLE_1)
	s_or_b32 exec_lo, exec_lo, s13
.LBB320_783:                            ;   in Loop: Header=BB320_552 Depth=1
	s_delay_alu instid0(SALU_CYCLE_1) | instskip(SKIP_3) | instid1(VALU_DEP_2)
	s_or_b32 exec_lo, exec_lo, s12
	v_dual_mov_b32 v101, 0 :: v_dual_and_b32 v14, 0xff, v12
	v_dual_mov_b32 v0, v12 :: v_dual_mov_b32 v13, 0
	s_mov_b32 s12, exec_lo
	v_cmpx_ne_u16_e32 0, v14
	s_cbranch_execz .LBB320_791
; %bb.784:                              ;   in Loop: Header=BB320_552 Depth=1
	v_bfrev_b32_e32 v13, 1
	s_mov_b32 s13, exec_lo
	v_cmpx_ne_u16_e32 0x80, v14
	s_cbranch_execz .LBB320_790
; %bb.785:                              ;   in Loop: Header=BB320_552 Depth=1
	v_and_b32_e32 v14, 0x7f, v12
	v_mov_b32_e32 v13, 0x7fc02000
	s_mov_b32 s15, exec_lo
	s_delay_alu instid0(VALU_DEP_2)
	v_cmpx_ne_u32_e32 0x7f, v14
	s_cbranch_execz .LBB320_789
; %bb.786:                              ;   in Loop: Header=BB320_552 Depth=1
	v_lshrrev_b32_e32 v102, 3, v14
	v_cmp_gt_u32_e64 s0, 8, v14
	v_dual_mov_b32 v14, v1 :: v_dual_mov_b32 v13, v0
	s_delay_alu instid0(VALU_DEP_2)
	s_and_saveexec_b32 s16, s0
; %bb.787:                              ;   in Loop: Header=BB320_552 Depth=1
	v_and_b32_e32 v13, 7, v12
	s_delay_alu instid0(VALU_DEP_1) | instskip(NEXT) | instid1(VALU_DEP_1)
	v_clz_i32_u32_e32 v13, v13
	v_min_u32_e32 v102, 32, v13
	s_delay_alu instid0(VALU_DEP_1) | instskip(SKIP_1) | instid1(VALU_DEP_2)
	v_subrev_nc_u32_e32 v13, 28, v102
	v_sub_nc_u32_e32 v102, 29, v102
	v_lshlrev_b64 v[13:14], v13, v[0:1]
; %bb.788:                              ;   in Loop: Header=BB320_552 Depth=1
	s_or_b32 exec_lo, exec_lo, s16
	v_lshlrev_b32_e32 v14, 8, v12
	s_delay_alu instid0(VALU_DEP_3) | instskip(NEXT) | instid1(VALU_DEP_3)
	v_lshl_add_u32 v102, v102, 10, 0x2000
	v_lshlrev_b32_e32 v13, 7, v13
	s_delay_alu instid0(VALU_DEP_2) | instskip(NEXT) | instid1(VALU_DEP_1)
	v_and_or_b32 v14, 0x8000, v14, v102
	v_and_or_b32 v13, 0x380, v13, v14
	s_delay_alu instid0(VALU_DEP_1)
	v_cvt_f32_f16_e32 v13, v13
.LBB320_789:                            ;   in Loop: Header=BB320_552 Depth=1
	s_or_b32 exec_lo, exec_lo, s15
.LBB320_790:                            ;   in Loop: Header=BB320_552 Depth=1
	s_delay_alu instid0(SALU_CYCLE_1)
	s_or_b32 exec_lo, exec_lo, s13
.LBB320_791:                            ;   in Loop: Header=BB320_552 Depth=1
	s_delay_alu instid0(SALU_CYCLE_1) | instskip(SKIP_2) | instid1(VALU_DEP_1)
	s_or_b32 exec_lo, exec_lo, s12
	v_lshrrev_b16 v0, 8, v0
	s_mov_b32 s12, exec_lo
	v_cmpx_ne_u16_e32 0, v0
	s_cbranch_execz .LBB320_799
; %bb.792:                              ;   in Loop: Header=BB320_552 Depth=1
	v_bfrev_b32_e32 v101, 1
	s_mov_b32 s13, exec_lo
	v_cmpx_ne_u16_e32 0x80, v0
	s_cbranch_execz .LBB320_798
; %bb.793:                              ;   in Loop: Header=BB320_552 Depth=1
	v_and_b32_e32 v14, 0xffff, v0
	v_mov_b32_e32 v101, 0x7fc02000
	s_mov_b32 s15, exec_lo
	s_delay_alu instid0(VALU_DEP_2) | instskip(NEXT) | instid1(VALU_DEP_1)
	v_and_b32_e32 v102, 0x7f, v14
	v_cmpx_ne_u32_e32 0x7f, v102
	s_cbranch_execz .LBB320_797
; %bb.794:                              ;   in Loop: Header=BB320_552 Depth=1
	v_and_b32_e32 v0, 7, v14
	v_lshrrev_b32_e32 v101, 3, v102
	s_mov_b32 s16, exec_lo
	v_cmpx_gt_u32_e32 8, v102
; %bb.795:                              ;   in Loop: Header=BB320_552 Depth=1
	s_delay_alu instid0(VALU_DEP_3) | instskip(NEXT) | instid1(VALU_DEP_1)
	v_clz_i32_u32_e32 v101, v0
	v_min_u32_e32 v101, 32, v101
	s_delay_alu instid0(VALU_DEP_1) | instskip(SKIP_1) | instid1(VALU_DEP_2)
	v_subrev_nc_u32_e32 v102, 28, v101
	v_sub_nc_u32_e32 v101, 29, v101
	v_lshlrev_b64 v[102:103], v102, v[0:1]
	s_delay_alu instid0(VALU_DEP_1)
	v_and_b32_e32 v0, 7, v102
; %bb.796:                              ;   in Loop: Header=BB320_552 Depth=1
	s_or_b32 exec_lo, exec_lo, s16
	v_lshlrev_b32_e32 v14, 8, v14
	v_lshl_add_u32 v101, v101, 10, 0x2000
	s_delay_alu instid0(VALU_DEP_1) | instskip(NEXT) | instid1(VALU_DEP_1)
	v_and_or_b32 v14, 0x8000, v14, v101
	v_lshl_or_b32 v0, v0, 7, v14
	s_delay_alu instid0(VALU_DEP_1)
	v_cvt_f32_f16_e32 v101, v0
.LBB320_797:                            ;   in Loop: Header=BB320_552 Depth=1
	s_or_b32 exec_lo, exec_lo, s15
.LBB320_798:                            ;   in Loop: Header=BB320_552 Depth=1
	s_delay_alu instid0(SALU_CYCLE_1)
	s_or_b32 exec_lo, exec_lo, s13
.LBB320_799:                            ;   in Loop: Header=BB320_552 Depth=1
	s_delay_alu instid0(SALU_CYCLE_1) | instskip(SKIP_4) | instid1(VALU_DEP_3)
	s_or_b32 exec_lo, exec_lo, s12
	v_lshrrev_b32_e32 v103, 16, v12
	v_mov_b32_e32 v102, 0
	v_mov_b32_e32 v14, 0
	s_mov_b32 s12, exec_lo
	v_and_b32_e32 v0, 0xff, v103
	s_delay_alu instid0(VALU_DEP_1)
	v_cmpx_ne_u16_e32 0, v0
	s_cbranch_execz .LBB320_807
; %bb.800:                              ;   in Loop: Header=BB320_552 Depth=1
	v_bfrev_b32_e32 v14, 1
	s_mov_b32 s13, exec_lo
	v_cmpx_ne_u16_e32 0x80, v0
	s_cbranch_execz .LBB320_806
; %bb.801:                              ;   in Loop: Header=BB320_552 Depth=1
	v_bfe_u32 v112, v12, 16, 7
	v_mov_b32_e32 v14, 0x7fc02000
	s_mov_b32 s15, exec_lo
	s_delay_alu instid0(VALU_DEP_2)
	v_cmpx_ne_u32_e32 0x7f, v112
	s_cbranch_execz .LBB320_805
; %bb.802:                              ;   in Loop: Header=BB320_552 Depth=1
	v_and_b32_e32 v0, 7, v103
	v_lshrrev_b32_e32 v14, 3, v112
	s_mov_b32 s16, exec_lo
	v_cmpx_gt_u32_e32 8, v112
; %bb.803:                              ;   in Loop: Header=BB320_552 Depth=1
	s_delay_alu instid0(VALU_DEP_3) | instskip(NEXT) | instid1(VALU_DEP_1)
	v_clz_i32_u32_e32 v14, v0
	v_min_u32_e32 v14, 32, v14
	s_delay_alu instid0(VALU_DEP_1) | instskip(SKIP_1) | instid1(VALU_DEP_2)
	v_subrev_nc_u32_e32 v112, 28, v14
	v_sub_nc_u32_e32 v14, 29, v14
	v_lshlrev_b64 v[112:113], v112, v[0:1]
	s_delay_alu instid0(VALU_DEP_1)
	v_and_b32_e32 v0, 7, v112
; %bb.804:                              ;   in Loop: Header=BB320_552 Depth=1
	s_or_b32 exec_lo, exec_lo, s16
	v_lshlrev_b32_e32 v103, 8, v103
	v_lshl_add_u32 v14, v14, 10, 0x2000
	s_delay_alu instid0(VALU_DEP_1) | instskip(NEXT) | instid1(VALU_DEP_1)
	v_and_or_b32 v14, 0x8000, v103, v14
	v_lshl_or_b32 v0, v0, 7, v14
	s_delay_alu instid0(VALU_DEP_1)
	v_cvt_f32_f16_e32 v14, v0
.LBB320_805:                            ;   in Loop: Header=BB320_552 Depth=1
	s_or_b32 exec_lo, exec_lo, s15
.LBB320_806:                            ;   in Loop: Header=BB320_552 Depth=1
	s_delay_alu instid0(SALU_CYCLE_1)
	s_or_b32 exec_lo, exec_lo, s13
.LBB320_807:                            ;   in Loop: Header=BB320_552 Depth=1
	s_delay_alu instid0(SALU_CYCLE_1) | instskip(NEXT) | instid1(SALU_CYCLE_1)
	s_or_b32 exec_lo, exec_lo, s12
	s_mov_b32 s12, exec_lo
	v_cmpx_lt_u64_e64 s[8:9], v[11:12]
	s_cbranch_execz .LBB320_815
; %bb.808:                              ;   in Loop: Header=BB320_552 Depth=1
	v_lshrrev_b32_e32 v11, 24, v12
	v_bfrev_b32_e32 v102, 1
	s_mov_b32 s13, exec_lo
	s_delay_alu instid0(VALU_DEP_2)
	v_cmpx_ne_u32_e32 0x80, v11
	s_cbranch_execz .LBB320_814
; %bb.809:                              ;   in Loop: Header=BB320_552 Depth=1
	v_and_b32_e32 v103, 0x7f, v11
	v_mov_b32_e32 v102, 0x7fc02000
	s_mov_b32 s15, exec_lo
	s_delay_alu instid0(VALU_DEP_2)
	v_cmpx_ne_u32_e32 0x7f, v103
	s_cbranch_execz .LBB320_813
; %bb.810:                              ;   in Loop: Header=BB320_552 Depth=1
	v_and_b32_e32 v0, 7, v11
	v_lshrrev_b32_e32 v12, 3, v103
	s_mov_b32 s16, exec_lo
	v_cmpx_gt_u32_e32 8, v103
; %bb.811:                              ;   in Loop: Header=BB320_552 Depth=1
	s_delay_alu instid0(VALU_DEP_3) | instskip(NEXT) | instid1(VALU_DEP_1)
	v_clz_i32_u32_e32 v12, v0
	v_min_u32_e32 v12, 32, v12
	s_delay_alu instid0(VALU_DEP_1) | instskip(SKIP_1) | instid1(VALU_DEP_2)
	v_subrev_nc_u32_e32 v102, 28, v12
	v_sub_nc_u32_e32 v12, 29, v12
	v_lshlrev_b64 v[102:103], v102, v[0:1]
	s_delay_alu instid0(VALU_DEP_1)
	v_and_b32_e32 v0, 7, v102
; %bb.812:                              ;   in Loop: Header=BB320_552 Depth=1
	s_or_b32 exec_lo, exec_lo, s16
	v_lshlrev_b32_e32 v11, 8, v11
	v_lshl_add_u32 v12, v12, 10, 0x2000
	s_delay_alu instid0(VALU_DEP_1) | instskip(NEXT) | instid1(VALU_DEP_1)
	v_and_or_b32 v11, 0x8000, v11, v12
	v_lshl_or_b32 v0, v0, 7, v11
	s_delay_alu instid0(VALU_DEP_1)
	v_cvt_f32_f16_e32 v102, v0
.LBB320_813:                            ;   in Loop: Header=BB320_552 Depth=1
	s_or_b32 exec_lo, exec_lo, s15
.LBB320_814:                            ;   in Loop: Header=BB320_552 Depth=1
	s_delay_alu instid0(SALU_CYCLE_1)
	s_or_b32 exec_lo, exec_lo, s13
.LBB320_815:                            ;   in Loop: Header=BB320_552 Depth=1
	s_delay_alu instid0(SALU_CYCLE_1)
	s_or_b32 exec_lo, exec_lo, s12
	s_waitcnt vmcnt(0) lgkmcnt(0)
	v_fma_mixlo_f16 v12, v96, v98, 0
	v_fma_mixlo_f16 v0, v96, v100, 0
	;; [unrolled: 1-line block ×5, first 2 shown]
	v_lshlrev_b32_e32 v98, 16, v12
	v_fma_mixlo_f16 v13, v96, v13, 0
	v_fma_mixlo_f16 v100, v96, v102, 0
	;; [unrolled: 1-line block ×3, first 2 shown]
	v_lshlrev_b32_e32 v0, 16, v0
	v_and_b32_e32 v11, 0xffff, v11
	v_and_b32_e32 v14, 0xffff, v97
	v_lshlrev_b32_e32 v96, 16, v99
	v_and_b32_e32 v97, 0xffff, v13
	v_lshlrev_b32_e32 v99, 16, v100
	v_and_b32_e32 v100, 0xffff, v12
	v_or_b32_e32 v13, v0, v11
	v_or_b32_e32 v14, v98, v14
	;; [unrolled: 1-line block ×3, first 2 shown]
	s_delay_alu instid0(VALU_DEP_4)
	v_or_b32_e32 v11, v99, v100
	s_and_saveexec_b32 s12, vcc_lo
	s_cbranch_execz .LBB320_817
; %bb.816:                              ;   in Loop: Header=BB320_552 Depth=1
	v_cmp_lt_i32_e64 s0, v18, v35
	v_lshrrev_b32_e32 v96, 16, v14
	v_lshrrev_b32_e32 v97, 16, v13
	;; [unrolled: 1-line block ×4, first 2 shown]
	v_cndmask_b32_e64 v14, 0, v14, s0
	v_cmp_lt_i32_e64 s0, v69, v51
	s_delay_alu instid0(VALU_DEP_1) | instskip(SKIP_1) | instid1(VALU_DEP_2)
	v_cndmask_b32_e64 v96, 0, v96, s0
	v_cmp_lt_i32_e64 s0, v68, v51
	v_perm_b32 v14, v96, v14, 0x5040100
	s_delay_alu instid0(VALU_DEP_2) | instskip(SKIP_1) | instid1(VALU_DEP_1)
	v_cndmask_b32_e64 v97, 0, v97, s0
	v_cmp_lt_i32_e64 s0, v67, v35
	v_cndmask_b32_e64 v13, 0, v13, s0
	v_cmp_lt_i32_e64 s0, v66, v51
	s_delay_alu instid0(VALU_DEP_2) | instskip(NEXT) | instid1(VALU_DEP_2)
	v_perm_b32 v13, v97, v13, 0x5040100
	v_cndmask_b32_e64 v98, 0, v98, s0
	v_cmp_lt_i32_e64 s0, v65, v35
	s_delay_alu instid0(VALU_DEP_1) | instskip(SKIP_1) | instid1(VALU_DEP_2)
	v_cndmask_b32_e64 v0, 0, v0, s0
	v_cmp_lt_i32_e64 s0, v54, v51
	v_perm_b32 v0, v98, v0, 0x5040100
	s_delay_alu instid0(VALU_DEP_2) | instskip(SKIP_1) | instid1(VALU_DEP_1)
	v_cndmask_b32_e64 v11, 0, v11, s0
	v_cmp_lt_i32_e64 s0, v19, v35
	v_cndmask_b32_e64 v12, 0, v12, s0
	s_delay_alu instid0(VALU_DEP_1)
	v_perm_b32 v11, v11, v12, 0x5040100
.LBB320_817:                            ;   in Loop: Header=BB320_552 Depth=1
	s_or_b32 exec_lo, exec_lo, s12
	;;#ASMSTART
	v_pk_mul_f16 v12, v83, v14;

	;;#ASMEND
	;;#ASMSTART
	v_pk_mul_f16 v13, v82, v13;

	;;#ASMEND
	;; [unrolled: 4-line block ×4, first 2 shown]
	;;#ASMSTART
	v_pk_add_f16 v12, v12, v13;

	;;#ASMEND
	;;#ASMSTART
	v_pk_add_f16 v0, v12, v0;

	;;#ASMEND
	;;#ASMSTART
	v_pk_add_f16 v0, v0, v11;

	;;#ASMEND
	v_dual_mov_b32 v100, 0 :: v_dual_and_b32 v11, 0xffff, v0
	v_lshrrev_b32_e32 v0, 16, v0
	;;#ASMSTART
	v_cvt_f32_f16 v96, v11;
	;;#ASMEND
	;;#ASMSTART
	v_cvt_f32_f16 v97, v0;
	;;#ASMEND
	flat_load_b64 v[11:12], v[9:10] offset:1024
	flat_load_b32 v98, v[26:27]
	s_mov_b32 s12, exec_lo
	s_waitcnt vmcnt(1) lgkmcnt(1)
	v_dual_mov_b32 v99, 0 :: v_dual_and_b32 v0, 0xff, v11
	s_delay_alu instid0(VALU_DEP_1)
	v_cmpx_ne_u16_e32 0, v0
	s_cbranch_execz .LBB320_825
; %bb.818:                              ;   in Loop: Header=BB320_552 Depth=1
	v_bfrev_b32_e32 v99, 1
	s_mov_b32 s13, exec_lo
	v_cmpx_ne_u16_e32 0x80, v0
	s_cbranch_execz .LBB320_824
; %bb.819:                              ;   in Loop: Header=BB320_552 Depth=1
	v_and_b32_e32 v13, 0x7f, v11
	v_mov_b32_e32 v99, 0x7fc02000
	s_mov_b32 s15, exec_lo
	s_delay_alu instid0(VALU_DEP_2)
	v_cmpx_ne_u32_e32 0x7f, v13
	s_cbranch_execz .LBB320_823
; %bb.820:                              ;   in Loop: Header=BB320_552 Depth=1
	v_lshrrev_b32_e32 v0, 3, v13
	v_cmp_gt_u32_e64 s0, 8, v13
	v_dual_mov_b32 v14, v12 :: v_dual_mov_b32 v13, v11
	s_delay_alu instid0(VALU_DEP_2)
	s_and_saveexec_b32 s16, s0
; %bb.821:                              ;   in Loop: Header=BB320_552 Depth=1
	v_and_b32_e32 v0, 7, v11
	s_delay_alu instid0(VALU_DEP_1) | instskip(NEXT) | instid1(VALU_DEP_1)
	v_clz_i32_u32_e32 v0, v0
	v_min_u32_e32 v0, 32, v0
	s_delay_alu instid0(VALU_DEP_1) | instskip(SKIP_1) | instid1(VALU_DEP_2)
	v_subrev_nc_u32_e32 v13, 28, v0
	v_sub_nc_u32_e32 v0, 29, v0
	v_lshlrev_b64 v[13:14], v13, v[11:12]
; %bb.822:                              ;   in Loop: Header=BB320_552 Depth=1
	s_or_b32 exec_lo, exec_lo, s16
	v_lshlrev_b32_e32 v14, 8, v11
	s_delay_alu instid0(VALU_DEP_3) | instskip(NEXT) | instid1(VALU_DEP_3)
	v_lshl_add_u32 v0, v0, 10, 0x2000
	v_lshlrev_b32_e32 v13, 7, v13
	s_delay_alu instid0(VALU_DEP_2) | instskip(NEXT) | instid1(VALU_DEP_1)
	v_and_or_b32 v0, 0x8000, v14, v0
	v_and_or_b32 v0, 0x380, v13, v0
	s_delay_alu instid0(VALU_DEP_1)
	v_cvt_f32_f16_e32 v99, v0
.LBB320_823:                            ;   in Loop: Header=BB320_552 Depth=1
	s_or_b32 exec_lo, exec_lo, s15
.LBB320_824:                            ;   in Loop: Header=BB320_552 Depth=1
	s_delay_alu instid0(SALU_CYCLE_1)
	s_or_b32 exec_lo, exec_lo, s13
.LBB320_825:                            ;   in Loop: Header=BB320_552 Depth=1
	s_delay_alu instid0(SALU_CYCLE_1) | instskip(SKIP_2) | instid1(VALU_DEP_1)
	s_or_b32 exec_lo, exec_lo, s12
	v_lshrrev_b16 v0, 8, v11
	s_mov_b32 s12, exec_lo
	v_cmpx_ne_u16_e32 0, v0
	s_cbranch_execz .LBB320_833
; %bb.826:                              ;   in Loop: Header=BB320_552 Depth=1
	v_bfrev_b32_e32 v100, 1
	s_mov_b32 s13, exec_lo
	v_cmpx_ne_u16_e32 0x80, v0
	s_cbranch_execz .LBB320_832
; %bb.827:                              ;   in Loop: Header=BB320_552 Depth=1
	v_and_b32_e32 v13, 0xffff, v0
	v_mov_b32_e32 v100, 0x7fc02000
	s_mov_b32 s15, exec_lo
	s_delay_alu instid0(VALU_DEP_2) | instskip(NEXT) | instid1(VALU_DEP_1)
	v_and_b32_e32 v101, 0x7f, v13
	v_cmpx_ne_u32_e32 0x7f, v101
	s_cbranch_execz .LBB320_831
; %bb.828:                              ;   in Loop: Header=BB320_552 Depth=1
	v_and_b32_e32 v0, 7, v13
	v_lshrrev_b32_e32 v14, 3, v101
	s_mov_b32 s16, exec_lo
	v_cmpx_gt_u32_e32 8, v101
; %bb.829:                              ;   in Loop: Header=BB320_552 Depth=1
	s_delay_alu instid0(VALU_DEP_3) | instskip(NEXT) | instid1(VALU_DEP_1)
	v_clz_i32_u32_e32 v14, v0
	v_min_u32_e32 v14, 32, v14
	s_delay_alu instid0(VALU_DEP_1) | instskip(SKIP_1) | instid1(VALU_DEP_2)
	v_subrev_nc_u32_e32 v100, 28, v14
	v_sub_nc_u32_e32 v14, 29, v14
	v_lshlrev_b64 v[100:101], v100, v[0:1]
	s_delay_alu instid0(VALU_DEP_1)
	v_and_b32_e32 v0, 7, v100
; %bb.830:                              ;   in Loop: Header=BB320_552 Depth=1
	s_or_b32 exec_lo, exec_lo, s16
	v_lshlrev_b32_e32 v13, 8, v13
	v_lshl_add_u32 v14, v14, 10, 0x2000
	s_delay_alu instid0(VALU_DEP_1) | instskip(NEXT) | instid1(VALU_DEP_1)
	v_and_or_b32 v13, 0x8000, v13, v14
	v_lshl_or_b32 v0, v0, 7, v13
	s_delay_alu instid0(VALU_DEP_1)
	v_cvt_f32_f16_e32 v100, v0
.LBB320_831:                            ;   in Loop: Header=BB320_552 Depth=1
	s_or_b32 exec_lo, exec_lo, s15
.LBB320_832:                            ;   in Loop: Header=BB320_552 Depth=1
	s_delay_alu instid0(SALU_CYCLE_1)
	s_or_b32 exec_lo, exec_lo, s13
.LBB320_833:                            ;   in Loop: Header=BB320_552 Depth=1
	s_delay_alu instid0(SALU_CYCLE_1) | instskip(SKIP_3) | instid1(VALU_DEP_2)
	s_or_b32 exec_lo, exec_lo, s12
	v_lshrrev_b32_e32 v13, 16, v11
	v_mov_b32_e32 v102, 0
	s_mov_b32 s12, exec_lo
	v_dual_mov_b32 v101, 0 :: v_dual_and_b32 v0, 0xff, v13
	s_delay_alu instid0(VALU_DEP_1)
	v_cmpx_ne_u16_e32 0, v0
	s_cbranch_execz .LBB320_841
; %bb.834:                              ;   in Loop: Header=BB320_552 Depth=1
	v_bfrev_b32_e32 v101, 1
	s_mov_b32 s13, exec_lo
	v_cmpx_ne_u16_e32 0x80, v0
	s_cbranch_execz .LBB320_840
; %bb.835:                              ;   in Loop: Header=BB320_552 Depth=1
	v_bfe_u32 v103, v11, 16, 7
	v_mov_b32_e32 v101, 0x7fc02000
	s_mov_b32 s15, exec_lo
	s_delay_alu instid0(VALU_DEP_2)
	v_cmpx_ne_u32_e32 0x7f, v103
	s_cbranch_execz .LBB320_839
; %bb.836:                              ;   in Loop: Header=BB320_552 Depth=1
	v_and_b32_e32 v0, 7, v13
	v_lshrrev_b32_e32 v14, 3, v103
	s_mov_b32 s16, exec_lo
	v_cmpx_gt_u32_e32 8, v103
; %bb.837:                              ;   in Loop: Header=BB320_552 Depth=1
	s_delay_alu instid0(VALU_DEP_3) | instskip(NEXT) | instid1(VALU_DEP_1)
	v_clz_i32_u32_e32 v14, v0
	v_min_u32_e32 v14, 32, v14
	s_delay_alu instid0(VALU_DEP_1) | instskip(SKIP_1) | instid1(VALU_DEP_2)
	v_subrev_nc_u32_e32 v101, 28, v14
	v_sub_nc_u32_e32 v14, 29, v14
	v_lshlrev_b64 v[112:113], v101, v[0:1]
	s_delay_alu instid0(VALU_DEP_1)
	v_and_b32_e32 v0, 7, v112
; %bb.838:                              ;   in Loop: Header=BB320_552 Depth=1
	s_or_b32 exec_lo, exec_lo, s16
	v_lshlrev_b32_e32 v13, 8, v13
	v_lshl_add_u32 v14, v14, 10, 0x2000
	s_delay_alu instid0(VALU_DEP_1) | instskip(NEXT) | instid1(VALU_DEP_1)
	v_and_or_b32 v13, 0x8000, v13, v14
	v_lshl_or_b32 v0, v0, 7, v13
	s_delay_alu instid0(VALU_DEP_1)
	v_cvt_f32_f16_e32 v101, v0
.LBB320_839:                            ;   in Loop: Header=BB320_552 Depth=1
	s_or_b32 exec_lo, exec_lo, s15
.LBB320_840:                            ;   in Loop: Header=BB320_552 Depth=1
	s_delay_alu instid0(SALU_CYCLE_1)
	s_or_b32 exec_lo, exec_lo, s13
.LBB320_841:                            ;   in Loop: Header=BB320_552 Depth=1
	s_delay_alu instid0(SALU_CYCLE_1) | instskip(NEXT) | instid1(SALU_CYCLE_1)
	s_or_b32 exec_lo, exec_lo, s12
	s_mov_b32 s12, exec_lo
	v_cmpx_lt_u32_e32 0xffffff, v11
	s_cbranch_execz .LBB320_849
; %bb.842:                              ;   in Loop: Header=BB320_552 Depth=1
	v_lshrrev_b32_e32 v13, 24, v11
	v_bfrev_b32_e32 v102, 1
	s_mov_b32 s13, exec_lo
	s_delay_alu instid0(VALU_DEP_2)
	v_cmpx_ne_u32_e32 0x80, v13
	s_cbranch_execz .LBB320_848
; %bb.843:                              ;   in Loop: Header=BB320_552 Depth=1
	v_and_b32_e32 v103, 0x7f, v13
	v_mov_b32_e32 v102, 0x7fc02000
	s_mov_b32 s15, exec_lo
	s_delay_alu instid0(VALU_DEP_2)
	v_cmpx_ne_u32_e32 0x7f, v103
	s_cbranch_execz .LBB320_847
; %bb.844:                              ;   in Loop: Header=BB320_552 Depth=1
	v_and_b32_e32 v0, 7, v13
	v_lshrrev_b32_e32 v14, 3, v103
	s_mov_b32 s16, exec_lo
	v_cmpx_gt_u32_e32 8, v103
; %bb.845:                              ;   in Loop: Header=BB320_552 Depth=1
	s_delay_alu instid0(VALU_DEP_3) | instskip(NEXT) | instid1(VALU_DEP_1)
	v_clz_i32_u32_e32 v14, v0
	v_min_u32_e32 v14, 32, v14
	s_delay_alu instid0(VALU_DEP_1) | instskip(SKIP_1) | instid1(VALU_DEP_2)
	v_subrev_nc_u32_e32 v102, 28, v14
	v_sub_nc_u32_e32 v14, 29, v14
	v_lshlrev_b64 v[102:103], v102, v[0:1]
	s_delay_alu instid0(VALU_DEP_1)
	v_and_b32_e32 v0, 7, v102
; %bb.846:                              ;   in Loop: Header=BB320_552 Depth=1
	s_or_b32 exec_lo, exec_lo, s16
	v_lshlrev_b32_e32 v13, 8, v13
	v_lshl_add_u32 v14, v14, 10, 0x2000
	s_delay_alu instid0(VALU_DEP_1) | instskip(NEXT) | instid1(VALU_DEP_1)
	v_and_or_b32 v13, 0x8000, v13, v14
	v_lshl_or_b32 v0, v0, 7, v13
	s_delay_alu instid0(VALU_DEP_1)
	v_cvt_f32_f16_e32 v102, v0
.LBB320_847:                            ;   in Loop: Header=BB320_552 Depth=1
	s_or_b32 exec_lo, exec_lo, s15
.LBB320_848:                            ;   in Loop: Header=BB320_552 Depth=1
	s_delay_alu instid0(SALU_CYCLE_1)
	s_or_b32 exec_lo, exec_lo, s13
.LBB320_849:                            ;   in Loop: Header=BB320_552 Depth=1
	s_delay_alu instid0(SALU_CYCLE_1) | instskip(SKIP_3) | instid1(VALU_DEP_2)
	s_or_b32 exec_lo, exec_lo, s12
	v_dual_mov_b32 v103, 0 :: v_dual_and_b32 v14, 0xff, v12
	v_dual_mov_b32 v0, v12 :: v_dual_mov_b32 v13, 0
	s_mov_b32 s12, exec_lo
	v_cmpx_ne_u16_e32 0, v14
	s_cbranch_execz .LBB320_857
; %bb.850:                              ;   in Loop: Header=BB320_552 Depth=1
	v_bfrev_b32_e32 v13, 1
	s_mov_b32 s13, exec_lo
	v_cmpx_ne_u16_e32 0x80, v14
	s_cbranch_execz .LBB320_856
; %bb.851:                              ;   in Loop: Header=BB320_552 Depth=1
	v_and_b32_e32 v14, 0x7f, v12
	v_mov_b32_e32 v13, 0x7fc02000
	s_mov_b32 s15, exec_lo
	s_delay_alu instid0(VALU_DEP_2)
	v_cmpx_ne_u32_e32 0x7f, v14
	s_cbranch_execz .LBB320_855
; %bb.852:                              ;   in Loop: Header=BB320_552 Depth=1
	v_lshrrev_b32_e32 v112, 3, v14
	v_cmp_gt_u32_e64 s0, 8, v14
	v_dual_mov_b32 v14, v1 :: v_dual_mov_b32 v13, v0
	s_delay_alu instid0(VALU_DEP_2)
	s_and_saveexec_b32 s16, s0
; %bb.853:                              ;   in Loop: Header=BB320_552 Depth=1
	v_and_b32_e32 v13, 7, v12
	s_delay_alu instid0(VALU_DEP_1) | instskip(NEXT) | instid1(VALU_DEP_1)
	v_clz_i32_u32_e32 v13, v13
	v_min_u32_e32 v112, 32, v13
	s_delay_alu instid0(VALU_DEP_1) | instskip(SKIP_1) | instid1(VALU_DEP_2)
	v_subrev_nc_u32_e32 v13, 28, v112
	v_sub_nc_u32_e32 v112, 29, v112
	v_lshlrev_b64 v[13:14], v13, v[0:1]
; %bb.854:                              ;   in Loop: Header=BB320_552 Depth=1
	s_or_b32 exec_lo, exec_lo, s16
	v_lshlrev_b32_e32 v14, 8, v12
	s_delay_alu instid0(VALU_DEP_3) | instskip(NEXT) | instid1(VALU_DEP_3)
	v_lshl_add_u32 v112, v112, 10, 0x2000
	v_lshlrev_b32_e32 v13, 7, v13
	s_delay_alu instid0(VALU_DEP_2) | instskip(NEXT) | instid1(VALU_DEP_1)
	v_and_or_b32 v14, 0x8000, v14, v112
	v_and_or_b32 v13, 0x380, v13, v14
	s_delay_alu instid0(VALU_DEP_1)
	v_cvt_f32_f16_e32 v13, v13
.LBB320_855:                            ;   in Loop: Header=BB320_552 Depth=1
	s_or_b32 exec_lo, exec_lo, s15
.LBB320_856:                            ;   in Loop: Header=BB320_552 Depth=1
	s_delay_alu instid0(SALU_CYCLE_1)
	s_or_b32 exec_lo, exec_lo, s13
.LBB320_857:                            ;   in Loop: Header=BB320_552 Depth=1
	s_delay_alu instid0(SALU_CYCLE_1) | instskip(SKIP_2) | instid1(VALU_DEP_1)
	s_or_b32 exec_lo, exec_lo, s12
	v_lshrrev_b16 v0, 8, v0
	s_mov_b32 s12, exec_lo
	v_cmpx_ne_u16_e32 0, v0
	s_cbranch_execz .LBB320_865
; %bb.858:                              ;   in Loop: Header=BB320_552 Depth=1
	v_bfrev_b32_e32 v103, 1
	s_mov_b32 s13, exec_lo
	v_cmpx_ne_u16_e32 0x80, v0
	s_cbranch_execz .LBB320_864
; %bb.859:                              ;   in Loop: Header=BB320_552 Depth=1
	v_and_b32_e32 v14, 0xffff, v0
	v_mov_b32_e32 v103, 0x7fc02000
	s_mov_b32 s15, exec_lo
	s_delay_alu instid0(VALU_DEP_2) | instskip(NEXT) | instid1(VALU_DEP_1)
	v_and_b32_e32 v112, 0x7f, v14
	v_cmpx_ne_u32_e32 0x7f, v112
	s_cbranch_execz .LBB320_863
; %bb.860:                              ;   in Loop: Header=BB320_552 Depth=1
	v_and_b32_e32 v0, 7, v14
	v_lshrrev_b32_e32 v103, 3, v112
	s_mov_b32 s16, exec_lo
	v_cmpx_gt_u32_e32 8, v112
; %bb.861:                              ;   in Loop: Header=BB320_552 Depth=1
	s_delay_alu instid0(VALU_DEP_3) | instskip(NEXT) | instid1(VALU_DEP_1)
	v_clz_i32_u32_e32 v103, v0
	v_min_u32_e32 v103, 32, v103
	s_delay_alu instid0(VALU_DEP_1) | instskip(SKIP_1) | instid1(VALU_DEP_2)
	v_subrev_nc_u32_e32 v112, 28, v103
	v_sub_nc_u32_e32 v103, 29, v103
	v_lshlrev_b64 v[112:113], v112, v[0:1]
	s_delay_alu instid0(VALU_DEP_1)
	v_and_b32_e32 v0, 7, v112
; %bb.862:                              ;   in Loop: Header=BB320_552 Depth=1
	s_or_b32 exec_lo, exec_lo, s16
	v_lshlrev_b32_e32 v14, 8, v14
	v_lshl_add_u32 v103, v103, 10, 0x2000
	s_delay_alu instid0(VALU_DEP_1) | instskip(NEXT) | instid1(VALU_DEP_1)
	v_and_or_b32 v14, 0x8000, v14, v103
	v_lshl_or_b32 v0, v0, 7, v14
	s_delay_alu instid0(VALU_DEP_1)
	v_cvt_f32_f16_e32 v103, v0
.LBB320_863:                            ;   in Loop: Header=BB320_552 Depth=1
	s_or_b32 exec_lo, exec_lo, s15
.LBB320_864:                            ;   in Loop: Header=BB320_552 Depth=1
	s_delay_alu instid0(SALU_CYCLE_1)
	s_or_b32 exec_lo, exec_lo, s13
.LBB320_865:                            ;   in Loop: Header=BB320_552 Depth=1
	s_delay_alu instid0(SALU_CYCLE_1) | instskip(SKIP_4) | instid1(VALU_DEP_3)
	s_or_b32 exec_lo, exec_lo, s12
	v_lshrrev_b32_e32 v113, 16, v12
	v_mov_b32_e32 v112, 0
	v_mov_b32_e32 v14, 0
	s_mov_b32 s12, exec_lo
	v_and_b32_e32 v0, 0xff, v113
	s_delay_alu instid0(VALU_DEP_1)
	v_cmpx_ne_u16_e32 0, v0
	s_cbranch_execz .LBB320_873
; %bb.866:                              ;   in Loop: Header=BB320_552 Depth=1
	v_bfrev_b32_e32 v14, 1
	s_mov_b32 s13, exec_lo
	v_cmpx_ne_u16_e32 0x80, v0
	s_cbranch_execz .LBB320_872
; %bb.867:                              ;   in Loop: Header=BB320_552 Depth=1
	v_bfe_u32 v114, v12, 16, 7
	v_mov_b32_e32 v14, 0x7fc02000
	s_mov_b32 s15, exec_lo
	s_delay_alu instid0(VALU_DEP_2)
	v_cmpx_ne_u32_e32 0x7f, v114
	s_cbranch_execz .LBB320_871
; %bb.868:                              ;   in Loop: Header=BB320_552 Depth=1
	v_and_b32_e32 v0, 7, v113
	v_lshrrev_b32_e32 v14, 3, v114
	s_mov_b32 s16, exec_lo
	v_cmpx_gt_u32_e32 8, v114
; %bb.869:                              ;   in Loop: Header=BB320_552 Depth=1
	s_delay_alu instid0(VALU_DEP_3) | instskip(NEXT) | instid1(VALU_DEP_1)
	v_clz_i32_u32_e32 v14, v0
	v_min_u32_e32 v14, 32, v14
	s_delay_alu instid0(VALU_DEP_1) | instskip(SKIP_1) | instid1(VALU_DEP_2)
	v_subrev_nc_u32_e32 v114, 28, v14
	v_sub_nc_u32_e32 v14, 29, v14
	v_lshlrev_b64 v[114:115], v114, v[0:1]
	s_delay_alu instid0(VALU_DEP_1)
	v_and_b32_e32 v0, 7, v114
; %bb.870:                              ;   in Loop: Header=BB320_552 Depth=1
	s_or_b32 exec_lo, exec_lo, s16
	v_lshlrev_b32_e32 v113, 8, v113
	v_lshl_add_u32 v14, v14, 10, 0x2000
	s_delay_alu instid0(VALU_DEP_1) | instskip(NEXT) | instid1(VALU_DEP_1)
	v_and_or_b32 v14, 0x8000, v113, v14
	v_lshl_or_b32 v0, v0, 7, v14
	s_delay_alu instid0(VALU_DEP_1)
	v_cvt_f32_f16_e32 v14, v0
.LBB320_871:                            ;   in Loop: Header=BB320_552 Depth=1
	s_or_b32 exec_lo, exec_lo, s15
.LBB320_872:                            ;   in Loop: Header=BB320_552 Depth=1
	s_delay_alu instid0(SALU_CYCLE_1)
	s_or_b32 exec_lo, exec_lo, s13
.LBB320_873:                            ;   in Loop: Header=BB320_552 Depth=1
	s_delay_alu instid0(SALU_CYCLE_1) | instskip(NEXT) | instid1(SALU_CYCLE_1)
	s_or_b32 exec_lo, exec_lo, s12
	s_mov_b32 s12, exec_lo
	v_cmpx_lt_u64_e64 s[8:9], v[11:12]
	s_cbranch_execz .LBB320_881
; %bb.874:                              ;   in Loop: Header=BB320_552 Depth=1
	v_lshrrev_b32_e32 v11, 24, v12
	v_bfrev_b32_e32 v112, 1
	s_mov_b32 s13, exec_lo
	s_delay_alu instid0(VALU_DEP_2)
	v_cmpx_ne_u32_e32 0x80, v11
	s_cbranch_execz .LBB320_880
; %bb.875:                              ;   in Loop: Header=BB320_552 Depth=1
	v_and_b32_e32 v113, 0x7f, v11
	v_mov_b32_e32 v112, 0x7fc02000
	s_mov_b32 s15, exec_lo
	s_delay_alu instid0(VALU_DEP_2)
	v_cmpx_ne_u32_e32 0x7f, v113
	s_cbranch_execz .LBB320_879
; %bb.876:                              ;   in Loop: Header=BB320_552 Depth=1
	v_and_b32_e32 v0, 7, v11
	v_lshrrev_b32_e32 v12, 3, v113
	s_mov_b32 s16, exec_lo
	v_cmpx_gt_u32_e32 8, v113
; %bb.877:                              ;   in Loop: Header=BB320_552 Depth=1
	s_delay_alu instid0(VALU_DEP_3) | instskip(NEXT) | instid1(VALU_DEP_1)
	v_clz_i32_u32_e32 v12, v0
	v_min_u32_e32 v12, 32, v12
	s_delay_alu instid0(VALU_DEP_1) | instskip(SKIP_1) | instid1(VALU_DEP_2)
	v_subrev_nc_u32_e32 v112, 28, v12
	v_sub_nc_u32_e32 v12, 29, v12
	v_lshlrev_b64 v[112:113], v112, v[0:1]
	s_delay_alu instid0(VALU_DEP_1)
	v_and_b32_e32 v0, 7, v112
; %bb.878:                              ;   in Loop: Header=BB320_552 Depth=1
	s_or_b32 exec_lo, exec_lo, s16
	v_lshlrev_b32_e32 v11, 8, v11
	v_lshl_add_u32 v12, v12, 10, 0x2000
	s_delay_alu instid0(VALU_DEP_1) | instskip(NEXT) | instid1(VALU_DEP_1)
	v_and_or_b32 v11, 0x8000, v11, v12
	v_lshl_or_b32 v0, v0, 7, v11
	s_delay_alu instid0(VALU_DEP_1)
	v_cvt_f32_f16_e32 v112, v0
.LBB320_879:                            ;   in Loop: Header=BB320_552 Depth=1
	s_or_b32 exec_lo, exec_lo, s15
.LBB320_880:                            ;   in Loop: Header=BB320_552 Depth=1
	s_delay_alu instid0(SALU_CYCLE_1)
	s_or_b32 exec_lo, exec_lo, s13
.LBB320_881:                            ;   in Loop: Header=BB320_552 Depth=1
	s_delay_alu instid0(SALU_CYCLE_1)
	s_or_b32 exec_lo, exec_lo, s12
	s_waitcnt vmcnt(0) lgkmcnt(0)
	v_fma_mixlo_f16 v12, v98, v100, 0
	v_fma_mixlo_f16 v0, v98, v102, 0
	;; [unrolled: 1-line block ×5, first 2 shown]
	v_lshlrev_b32_e32 v100, 16, v12
	v_fma_mixlo_f16 v13, v98, v13, 0
	v_fma_mixlo_f16 v102, v98, v112, 0
	;; [unrolled: 1-line block ×3, first 2 shown]
	v_lshlrev_b32_e32 v0, 16, v0
	v_and_b32_e32 v11, 0xffff, v11
	v_and_b32_e32 v14, 0xffff, v99
	v_lshlrev_b32_e32 v98, 16, v101
	v_and_b32_e32 v99, 0xffff, v13
	v_lshlrev_b32_e32 v101, 16, v102
	v_and_b32_e32 v102, 0xffff, v12
	v_or_b32_e32 v13, v0, v11
	v_or_b32_e32 v14, v100, v14
	;; [unrolled: 1-line block ×3, first 2 shown]
	s_delay_alu instid0(VALU_DEP_4)
	v_or_b32_e32 v11, v101, v102
	s_and_saveexec_b32 s12, vcc_lo
	s_cbranch_execz .LBB320_883
; %bb.882:                              ;   in Loop: Header=BB320_552 Depth=1
	v_cmp_lt_i32_e64 s0, v18, v35
	v_lshrrev_b32_e32 v98, 16, v14
	v_lshrrev_b32_e32 v99, 16, v13
	;; [unrolled: 1-line block ×4, first 2 shown]
	v_cndmask_b32_e64 v14, 0, v14, s0
	v_cmp_lt_i32_e64 s0, v69, v51
	s_delay_alu instid0(VALU_DEP_1) | instskip(SKIP_1) | instid1(VALU_DEP_2)
	v_cndmask_b32_e64 v98, 0, v98, s0
	v_cmp_lt_i32_e64 s0, v68, v51
	v_perm_b32 v14, v98, v14, 0x5040100
	s_delay_alu instid0(VALU_DEP_2) | instskip(SKIP_1) | instid1(VALU_DEP_1)
	v_cndmask_b32_e64 v99, 0, v99, s0
	v_cmp_lt_i32_e64 s0, v67, v35
	v_cndmask_b32_e64 v13, 0, v13, s0
	v_cmp_lt_i32_e64 s0, v66, v51
	s_delay_alu instid0(VALU_DEP_2) | instskip(NEXT) | instid1(VALU_DEP_2)
	v_perm_b32 v13, v99, v13, 0x5040100
	v_cndmask_b32_e64 v100, 0, v100, s0
	v_cmp_lt_i32_e64 s0, v65, v35
	s_delay_alu instid0(VALU_DEP_1) | instskip(SKIP_1) | instid1(VALU_DEP_2)
	v_cndmask_b32_e64 v0, 0, v0, s0
	v_cmp_lt_i32_e64 s0, v54, v51
	v_perm_b32 v0, v100, v0, 0x5040100
	s_delay_alu instid0(VALU_DEP_2) | instskip(SKIP_1) | instid1(VALU_DEP_1)
	v_cndmask_b32_e64 v11, 0, v11, s0
	v_cmp_lt_i32_e64 s0, v19, v35
	v_cndmask_b32_e64 v12, 0, v12, s0
	s_delay_alu instid0(VALU_DEP_1)
	v_perm_b32 v11, v11, v12, 0x5040100
.LBB320_883:                            ;   in Loop: Header=BB320_552 Depth=1
	s_or_b32 exec_lo, exec_lo, s12
	;;#ASMSTART
	v_pk_mul_f16 v12, v83, v14;

	;;#ASMEND
	;;#ASMSTART
	v_pk_mul_f16 v13, v82, v13;

	;;#ASMEND
	;; [unrolled: 4-line block ×4, first 2 shown]
	;;#ASMSTART
	v_pk_add_f16 v12, v12, v13;

	;;#ASMEND
	;;#ASMSTART
	v_pk_add_f16 v0, v12, v0;

	;;#ASMEND
	;; [unrolled: 4-line block ×3, first 2 shown]
	v_dual_mov_b32 v102, 0 :: v_dual_and_b32 v11, 0xffff, v0
	v_lshrrev_b32_e32 v0, 16, v0
	;;#ASMSTART
	v_cvt_f32_f16 v98, v11;
	;;#ASMEND
	;;#ASMSTART
	v_cvt_f32_f16 v99, v0;
	;;#ASMEND
	flat_load_b64 v[11:12], v[9:10] offset:1280
	flat_load_b32 v100, v[26:27]
	s_mov_b32 s12, exec_lo
	s_waitcnt vmcnt(1) lgkmcnt(1)
	v_dual_mov_b32 v101, 0 :: v_dual_and_b32 v0, 0xff, v11
	s_delay_alu instid0(VALU_DEP_1)
	v_cmpx_ne_u16_e32 0, v0
	s_cbranch_execz .LBB320_891
; %bb.884:                              ;   in Loop: Header=BB320_552 Depth=1
	v_bfrev_b32_e32 v101, 1
	s_mov_b32 s13, exec_lo
	v_cmpx_ne_u16_e32 0x80, v0
	s_cbranch_execz .LBB320_890
; %bb.885:                              ;   in Loop: Header=BB320_552 Depth=1
	v_and_b32_e32 v13, 0x7f, v11
	v_mov_b32_e32 v101, 0x7fc02000
	s_mov_b32 s15, exec_lo
	s_delay_alu instid0(VALU_DEP_2)
	v_cmpx_ne_u32_e32 0x7f, v13
	s_cbranch_execz .LBB320_889
; %bb.886:                              ;   in Loop: Header=BB320_552 Depth=1
	v_lshrrev_b32_e32 v0, 3, v13
	v_cmp_gt_u32_e64 s0, 8, v13
	v_dual_mov_b32 v14, v12 :: v_dual_mov_b32 v13, v11
	s_delay_alu instid0(VALU_DEP_2)
	s_and_saveexec_b32 s16, s0
; %bb.887:                              ;   in Loop: Header=BB320_552 Depth=1
	v_and_b32_e32 v0, 7, v11
	s_delay_alu instid0(VALU_DEP_1) | instskip(NEXT) | instid1(VALU_DEP_1)
	v_clz_i32_u32_e32 v0, v0
	v_min_u32_e32 v0, 32, v0
	s_delay_alu instid0(VALU_DEP_1) | instskip(SKIP_1) | instid1(VALU_DEP_2)
	v_subrev_nc_u32_e32 v13, 28, v0
	v_sub_nc_u32_e32 v0, 29, v0
	v_lshlrev_b64 v[13:14], v13, v[11:12]
; %bb.888:                              ;   in Loop: Header=BB320_552 Depth=1
	s_or_b32 exec_lo, exec_lo, s16
	v_lshlrev_b32_e32 v14, 8, v11
	s_delay_alu instid0(VALU_DEP_3) | instskip(NEXT) | instid1(VALU_DEP_3)
	v_lshl_add_u32 v0, v0, 10, 0x2000
	v_lshlrev_b32_e32 v13, 7, v13
	s_delay_alu instid0(VALU_DEP_2) | instskip(NEXT) | instid1(VALU_DEP_1)
	v_and_or_b32 v0, 0x8000, v14, v0
	v_and_or_b32 v0, 0x380, v13, v0
	s_delay_alu instid0(VALU_DEP_1)
	v_cvt_f32_f16_e32 v101, v0
.LBB320_889:                            ;   in Loop: Header=BB320_552 Depth=1
	s_or_b32 exec_lo, exec_lo, s15
.LBB320_890:                            ;   in Loop: Header=BB320_552 Depth=1
	s_delay_alu instid0(SALU_CYCLE_1)
	s_or_b32 exec_lo, exec_lo, s13
.LBB320_891:                            ;   in Loop: Header=BB320_552 Depth=1
	s_delay_alu instid0(SALU_CYCLE_1) | instskip(SKIP_2) | instid1(VALU_DEP_1)
	s_or_b32 exec_lo, exec_lo, s12
	v_lshrrev_b16 v0, 8, v11
	s_mov_b32 s12, exec_lo
	v_cmpx_ne_u16_e32 0, v0
	s_cbranch_execz .LBB320_899
; %bb.892:                              ;   in Loop: Header=BB320_552 Depth=1
	v_bfrev_b32_e32 v102, 1
	s_mov_b32 s13, exec_lo
	v_cmpx_ne_u16_e32 0x80, v0
	s_cbranch_execz .LBB320_898
; %bb.893:                              ;   in Loop: Header=BB320_552 Depth=1
	v_and_b32_e32 v13, 0xffff, v0
	v_mov_b32_e32 v102, 0x7fc02000
	s_mov_b32 s15, exec_lo
	s_delay_alu instid0(VALU_DEP_2) | instskip(NEXT) | instid1(VALU_DEP_1)
	v_and_b32_e32 v103, 0x7f, v13
	v_cmpx_ne_u32_e32 0x7f, v103
	s_cbranch_execz .LBB320_897
; %bb.894:                              ;   in Loop: Header=BB320_552 Depth=1
	v_and_b32_e32 v0, 7, v13
	v_lshrrev_b32_e32 v14, 3, v103
	s_mov_b32 s16, exec_lo
	v_cmpx_gt_u32_e32 8, v103
; %bb.895:                              ;   in Loop: Header=BB320_552 Depth=1
	s_delay_alu instid0(VALU_DEP_3) | instskip(NEXT) | instid1(VALU_DEP_1)
	v_clz_i32_u32_e32 v14, v0
	v_min_u32_e32 v14, 32, v14
	s_delay_alu instid0(VALU_DEP_1) | instskip(SKIP_1) | instid1(VALU_DEP_2)
	v_subrev_nc_u32_e32 v102, 28, v14
	v_sub_nc_u32_e32 v14, 29, v14
	v_lshlrev_b64 v[102:103], v102, v[0:1]
	s_delay_alu instid0(VALU_DEP_1)
	v_and_b32_e32 v0, 7, v102
; %bb.896:                              ;   in Loop: Header=BB320_552 Depth=1
	s_or_b32 exec_lo, exec_lo, s16
	v_lshlrev_b32_e32 v13, 8, v13
	v_lshl_add_u32 v14, v14, 10, 0x2000
	s_delay_alu instid0(VALU_DEP_1) | instskip(NEXT) | instid1(VALU_DEP_1)
	v_and_or_b32 v13, 0x8000, v13, v14
	v_lshl_or_b32 v0, v0, 7, v13
	s_delay_alu instid0(VALU_DEP_1)
	v_cvt_f32_f16_e32 v102, v0
.LBB320_897:                            ;   in Loop: Header=BB320_552 Depth=1
	s_or_b32 exec_lo, exec_lo, s15
.LBB320_898:                            ;   in Loop: Header=BB320_552 Depth=1
	s_delay_alu instid0(SALU_CYCLE_1)
	s_or_b32 exec_lo, exec_lo, s13
.LBB320_899:                            ;   in Loop: Header=BB320_552 Depth=1
	s_delay_alu instid0(SALU_CYCLE_1) | instskip(SKIP_3) | instid1(VALU_DEP_2)
	s_or_b32 exec_lo, exec_lo, s12
	v_lshrrev_b32_e32 v13, 16, v11
	v_mov_b32_e32 v112, 0
	s_mov_b32 s12, exec_lo
	v_dual_mov_b32 v103, 0 :: v_dual_and_b32 v0, 0xff, v13
	s_delay_alu instid0(VALU_DEP_1)
	v_cmpx_ne_u16_e32 0, v0
	s_cbranch_execz .LBB320_907
; %bb.900:                              ;   in Loop: Header=BB320_552 Depth=1
	v_bfrev_b32_e32 v103, 1
	s_mov_b32 s13, exec_lo
	v_cmpx_ne_u16_e32 0x80, v0
	s_cbranch_execz .LBB320_906
; %bb.901:                              ;   in Loop: Header=BB320_552 Depth=1
	v_bfe_u32 v113, v11, 16, 7
	v_mov_b32_e32 v103, 0x7fc02000
	s_mov_b32 s15, exec_lo
	s_delay_alu instid0(VALU_DEP_2)
	v_cmpx_ne_u32_e32 0x7f, v113
	s_cbranch_execz .LBB320_905
; %bb.902:                              ;   in Loop: Header=BB320_552 Depth=1
	v_and_b32_e32 v0, 7, v13
	v_lshrrev_b32_e32 v14, 3, v113
	s_mov_b32 s16, exec_lo
	v_cmpx_gt_u32_e32 8, v113
; %bb.903:                              ;   in Loop: Header=BB320_552 Depth=1
	s_delay_alu instid0(VALU_DEP_3) | instskip(NEXT) | instid1(VALU_DEP_1)
	v_clz_i32_u32_e32 v14, v0
	v_min_u32_e32 v14, 32, v14
	s_delay_alu instid0(VALU_DEP_1) | instskip(SKIP_1) | instid1(VALU_DEP_2)
	v_subrev_nc_u32_e32 v103, 28, v14
	v_sub_nc_u32_e32 v14, 29, v14
	v_lshlrev_b64 v[113:114], v103, v[0:1]
	s_delay_alu instid0(VALU_DEP_1)
	v_and_b32_e32 v0, 7, v113
; %bb.904:                              ;   in Loop: Header=BB320_552 Depth=1
	s_or_b32 exec_lo, exec_lo, s16
	v_lshlrev_b32_e32 v13, 8, v13
	v_lshl_add_u32 v14, v14, 10, 0x2000
	s_delay_alu instid0(VALU_DEP_1) | instskip(NEXT) | instid1(VALU_DEP_1)
	v_and_or_b32 v13, 0x8000, v13, v14
	v_lshl_or_b32 v0, v0, 7, v13
	s_delay_alu instid0(VALU_DEP_1)
	v_cvt_f32_f16_e32 v103, v0
.LBB320_905:                            ;   in Loop: Header=BB320_552 Depth=1
	s_or_b32 exec_lo, exec_lo, s15
.LBB320_906:                            ;   in Loop: Header=BB320_552 Depth=1
	s_delay_alu instid0(SALU_CYCLE_1)
	s_or_b32 exec_lo, exec_lo, s13
.LBB320_907:                            ;   in Loop: Header=BB320_552 Depth=1
	s_delay_alu instid0(SALU_CYCLE_1) | instskip(NEXT) | instid1(SALU_CYCLE_1)
	s_or_b32 exec_lo, exec_lo, s12
	s_mov_b32 s12, exec_lo
	v_cmpx_lt_u32_e32 0xffffff, v11
	s_cbranch_execz .LBB320_915
; %bb.908:                              ;   in Loop: Header=BB320_552 Depth=1
	v_lshrrev_b32_e32 v13, 24, v11
	v_bfrev_b32_e32 v112, 1
	s_mov_b32 s13, exec_lo
	s_delay_alu instid0(VALU_DEP_2)
	v_cmpx_ne_u32_e32 0x80, v13
	s_cbranch_execz .LBB320_914
; %bb.909:                              ;   in Loop: Header=BB320_552 Depth=1
	v_and_b32_e32 v113, 0x7f, v13
	v_mov_b32_e32 v112, 0x7fc02000
	s_mov_b32 s15, exec_lo
	s_delay_alu instid0(VALU_DEP_2)
	v_cmpx_ne_u32_e32 0x7f, v113
	s_cbranch_execz .LBB320_913
; %bb.910:                              ;   in Loop: Header=BB320_552 Depth=1
	v_and_b32_e32 v0, 7, v13
	v_lshrrev_b32_e32 v14, 3, v113
	s_mov_b32 s16, exec_lo
	v_cmpx_gt_u32_e32 8, v113
; %bb.911:                              ;   in Loop: Header=BB320_552 Depth=1
	s_delay_alu instid0(VALU_DEP_3) | instskip(NEXT) | instid1(VALU_DEP_1)
	v_clz_i32_u32_e32 v14, v0
	v_min_u32_e32 v14, 32, v14
	s_delay_alu instid0(VALU_DEP_1) | instskip(SKIP_1) | instid1(VALU_DEP_2)
	v_subrev_nc_u32_e32 v112, 28, v14
	v_sub_nc_u32_e32 v14, 29, v14
	v_lshlrev_b64 v[112:113], v112, v[0:1]
	s_delay_alu instid0(VALU_DEP_1)
	v_and_b32_e32 v0, 7, v112
; %bb.912:                              ;   in Loop: Header=BB320_552 Depth=1
	s_or_b32 exec_lo, exec_lo, s16
	v_lshlrev_b32_e32 v13, 8, v13
	v_lshl_add_u32 v14, v14, 10, 0x2000
	s_delay_alu instid0(VALU_DEP_1) | instskip(NEXT) | instid1(VALU_DEP_1)
	v_and_or_b32 v13, 0x8000, v13, v14
	v_lshl_or_b32 v0, v0, 7, v13
	s_delay_alu instid0(VALU_DEP_1)
	v_cvt_f32_f16_e32 v112, v0
.LBB320_913:                            ;   in Loop: Header=BB320_552 Depth=1
	s_or_b32 exec_lo, exec_lo, s15
.LBB320_914:                            ;   in Loop: Header=BB320_552 Depth=1
	s_delay_alu instid0(SALU_CYCLE_1)
	s_or_b32 exec_lo, exec_lo, s13
.LBB320_915:                            ;   in Loop: Header=BB320_552 Depth=1
	s_delay_alu instid0(SALU_CYCLE_1) | instskip(SKIP_3) | instid1(VALU_DEP_2)
	s_or_b32 exec_lo, exec_lo, s12
	v_dual_mov_b32 v113, 0 :: v_dual_and_b32 v14, 0xff, v12
	v_dual_mov_b32 v0, v12 :: v_dual_mov_b32 v13, 0
	s_mov_b32 s12, exec_lo
	v_cmpx_ne_u16_e32 0, v14
	s_cbranch_execz .LBB320_923
; %bb.916:                              ;   in Loop: Header=BB320_552 Depth=1
	v_bfrev_b32_e32 v13, 1
	s_mov_b32 s13, exec_lo
	v_cmpx_ne_u16_e32 0x80, v14
	s_cbranch_execz .LBB320_922
; %bb.917:                              ;   in Loop: Header=BB320_552 Depth=1
	v_and_b32_e32 v14, 0x7f, v12
	v_mov_b32_e32 v13, 0x7fc02000
	s_mov_b32 s15, exec_lo
	s_delay_alu instid0(VALU_DEP_2)
	v_cmpx_ne_u32_e32 0x7f, v14
	s_cbranch_execz .LBB320_921
; %bb.918:                              ;   in Loop: Header=BB320_552 Depth=1
	v_lshrrev_b32_e32 v114, 3, v14
	v_cmp_gt_u32_e64 s0, 8, v14
	v_dual_mov_b32 v14, v1 :: v_dual_mov_b32 v13, v0
	s_delay_alu instid0(VALU_DEP_2)
	s_and_saveexec_b32 s16, s0
; %bb.919:                              ;   in Loop: Header=BB320_552 Depth=1
	v_and_b32_e32 v13, 7, v12
	s_delay_alu instid0(VALU_DEP_1) | instskip(NEXT) | instid1(VALU_DEP_1)
	v_clz_i32_u32_e32 v13, v13
	v_min_u32_e32 v114, 32, v13
	s_delay_alu instid0(VALU_DEP_1) | instskip(SKIP_1) | instid1(VALU_DEP_2)
	v_subrev_nc_u32_e32 v13, 28, v114
	v_sub_nc_u32_e32 v114, 29, v114
	v_lshlrev_b64 v[13:14], v13, v[0:1]
; %bb.920:                              ;   in Loop: Header=BB320_552 Depth=1
	s_or_b32 exec_lo, exec_lo, s16
	v_lshlrev_b32_e32 v14, 8, v12
	s_delay_alu instid0(VALU_DEP_3) | instskip(NEXT) | instid1(VALU_DEP_3)
	v_lshl_add_u32 v114, v114, 10, 0x2000
	v_lshlrev_b32_e32 v13, 7, v13
	s_delay_alu instid0(VALU_DEP_2) | instskip(NEXT) | instid1(VALU_DEP_1)
	v_and_or_b32 v14, 0x8000, v14, v114
	v_and_or_b32 v13, 0x380, v13, v14
	s_delay_alu instid0(VALU_DEP_1)
	v_cvt_f32_f16_e32 v13, v13
.LBB320_921:                            ;   in Loop: Header=BB320_552 Depth=1
	s_or_b32 exec_lo, exec_lo, s15
.LBB320_922:                            ;   in Loop: Header=BB320_552 Depth=1
	s_delay_alu instid0(SALU_CYCLE_1)
	s_or_b32 exec_lo, exec_lo, s13
.LBB320_923:                            ;   in Loop: Header=BB320_552 Depth=1
	s_delay_alu instid0(SALU_CYCLE_1) | instskip(SKIP_2) | instid1(VALU_DEP_1)
	s_or_b32 exec_lo, exec_lo, s12
	v_lshrrev_b16 v0, 8, v0
	s_mov_b32 s12, exec_lo
	v_cmpx_ne_u16_e32 0, v0
	s_cbranch_execz .LBB320_931
; %bb.924:                              ;   in Loop: Header=BB320_552 Depth=1
	v_bfrev_b32_e32 v113, 1
	s_mov_b32 s13, exec_lo
	v_cmpx_ne_u16_e32 0x80, v0
	s_cbranch_execz .LBB320_930
; %bb.925:                              ;   in Loop: Header=BB320_552 Depth=1
	v_and_b32_e32 v14, 0xffff, v0
	v_mov_b32_e32 v113, 0x7fc02000
	s_mov_b32 s15, exec_lo
	s_delay_alu instid0(VALU_DEP_2) | instskip(NEXT) | instid1(VALU_DEP_1)
	v_and_b32_e32 v114, 0x7f, v14
	v_cmpx_ne_u32_e32 0x7f, v114
	s_cbranch_execz .LBB320_929
; %bb.926:                              ;   in Loop: Header=BB320_552 Depth=1
	v_and_b32_e32 v0, 7, v14
	v_lshrrev_b32_e32 v113, 3, v114
	s_mov_b32 s16, exec_lo
	v_cmpx_gt_u32_e32 8, v114
; %bb.927:                              ;   in Loop: Header=BB320_552 Depth=1
	s_delay_alu instid0(VALU_DEP_3) | instskip(NEXT) | instid1(VALU_DEP_1)
	v_clz_i32_u32_e32 v113, v0
	v_min_u32_e32 v113, 32, v113
	s_delay_alu instid0(VALU_DEP_1) | instskip(SKIP_1) | instid1(VALU_DEP_2)
	v_subrev_nc_u32_e32 v114, 28, v113
	v_sub_nc_u32_e32 v113, 29, v113
	v_lshlrev_b64 v[114:115], v114, v[0:1]
	s_delay_alu instid0(VALU_DEP_1)
	v_and_b32_e32 v0, 7, v114
; %bb.928:                              ;   in Loop: Header=BB320_552 Depth=1
	s_or_b32 exec_lo, exec_lo, s16
	v_lshlrev_b32_e32 v14, 8, v14
	v_lshl_add_u32 v113, v113, 10, 0x2000
	s_delay_alu instid0(VALU_DEP_1) | instskip(NEXT) | instid1(VALU_DEP_1)
	v_and_or_b32 v14, 0x8000, v14, v113
	v_lshl_or_b32 v0, v0, 7, v14
	s_delay_alu instid0(VALU_DEP_1)
	v_cvt_f32_f16_e32 v113, v0
.LBB320_929:                            ;   in Loop: Header=BB320_552 Depth=1
	s_or_b32 exec_lo, exec_lo, s15
.LBB320_930:                            ;   in Loop: Header=BB320_552 Depth=1
	s_delay_alu instid0(SALU_CYCLE_1)
	s_or_b32 exec_lo, exec_lo, s13
.LBB320_931:                            ;   in Loop: Header=BB320_552 Depth=1
	s_delay_alu instid0(SALU_CYCLE_1) | instskip(SKIP_4) | instid1(VALU_DEP_3)
	s_or_b32 exec_lo, exec_lo, s12
	v_lshrrev_b32_e32 v115, 16, v12
	v_mov_b32_e32 v114, 0
	v_mov_b32_e32 v14, 0
	s_mov_b32 s12, exec_lo
	v_and_b32_e32 v0, 0xff, v115
	s_delay_alu instid0(VALU_DEP_1)
	v_cmpx_ne_u16_e32 0, v0
	s_cbranch_execz .LBB320_939
; %bb.932:                              ;   in Loop: Header=BB320_552 Depth=1
	v_bfrev_b32_e32 v14, 1
	s_mov_b32 s13, exec_lo
	v_cmpx_ne_u16_e32 0x80, v0
	s_cbranch_execz .LBB320_938
; %bb.933:                              ;   in Loop: Header=BB320_552 Depth=1
	v_bfe_u32 v116, v12, 16, 7
	v_mov_b32_e32 v14, 0x7fc02000
	s_mov_b32 s15, exec_lo
	s_delay_alu instid0(VALU_DEP_2)
	v_cmpx_ne_u32_e32 0x7f, v116
	s_cbranch_execz .LBB320_937
; %bb.934:                              ;   in Loop: Header=BB320_552 Depth=1
	v_and_b32_e32 v0, 7, v115
	v_lshrrev_b32_e32 v14, 3, v116
	s_mov_b32 s16, exec_lo
	v_cmpx_gt_u32_e32 8, v116
; %bb.935:                              ;   in Loop: Header=BB320_552 Depth=1
	s_delay_alu instid0(VALU_DEP_3) | instskip(NEXT) | instid1(VALU_DEP_1)
	v_clz_i32_u32_e32 v14, v0
	v_min_u32_e32 v14, 32, v14
	s_delay_alu instid0(VALU_DEP_1) | instskip(SKIP_1) | instid1(VALU_DEP_2)
	v_subrev_nc_u32_e32 v116, 28, v14
	v_sub_nc_u32_e32 v14, 29, v14
	v_lshlrev_b64 v[116:117], v116, v[0:1]
	s_delay_alu instid0(VALU_DEP_1)
	v_and_b32_e32 v0, 7, v116
; %bb.936:                              ;   in Loop: Header=BB320_552 Depth=1
	s_or_b32 exec_lo, exec_lo, s16
	v_lshlrev_b32_e32 v115, 8, v115
	v_lshl_add_u32 v14, v14, 10, 0x2000
	s_delay_alu instid0(VALU_DEP_1) | instskip(NEXT) | instid1(VALU_DEP_1)
	v_and_or_b32 v14, 0x8000, v115, v14
	v_lshl_or_b32 v0, v0, 7, v14
	s_delay_alu instid0(VALU_DEP_1)
	v_cvt_f32_f16_e32 v14, v0
.LBB320_937:                            ;   in Loop: Header=BB320_552 Depth=1
	s_or_b32 exec_lo, exec_lo, s15
.LBB320_938:                            ;   in Loop: Header=BB320_552 Depth=1
	s_delay_alu instid0(SALU_CYCLE_1)
	s_or_b32 exec_lo, exec_lo, s13
.LBB320_939:                            ;   in Loop: Header=BB320_552 Depth=1
	s_delay_alu instid0(SALU_CYCLE_1) | instskip(NEXT) | instid1(SALU_CYCLE_1)
	s_or_b32 exec_lo, exec_lo, s12
	s_mov_b32 s12, exec_lo
	v_cmpx_lt_u64_e64 s[8:9], v[11:12]
	s_cbranch_execz .LBB320_947
; %bb.940:                              ;   in Loop: Header=BB320_552 Depth=1
	v_lshrrev_b32_e32 v11, 24, v12
	v_bfrev_b32_e32 v114, 1
	s_mov_b32 s13, exec_lo
	s_delay_alu instid0(VALU_DEP_2)
	v_cmpx_ne_u32_e32 0x80, v11
	s_cbranch_execz .LBB320_946
; %bb.941:                              ;   in Loop: Header=BB320_552 Depth=1
	v_and_b32_e32 v115, 0x7f, v11
	v_mov_b32_e32 v114, 0x7fc02000
	s_mov_b32 s15, exec_lo
	s_delay_alu instid0(VALU_DEP_2)
	v_cmpx_ne_u32_e32 0x7f, v115
	s_cbranch_execz .LBB320_945
; %bb.942:                              ;   in Loop: Header=BB320_552 Depth=1
	v_and_b32_e32 v0, 7, v11
	v_lshrrev_b32_e32 v12, 3, v115
	s_mov_b32 s16, exec_lo
	v_cmpx_gt_u32_e32 8, v115
; %bb.943:                              ;   in Loop: Header=BB320_552 Depth=1
	s_delay_alu instid0(VALU_DEP_3) | instskip(NEXT) | instid1(VALU_DEP_1)
	v_clz_i32_u32_e32 v12, v0
	v_min_u32_e32 v12, 32, v12
	s_delay_alu instid0(VALU_DEP_1) | instskip(SKIP_1) | instid1(VALU_DEP_2)
	v_subrev_nc_u32_e32 v114, 28, v12
	v_sub_nc_u32_e32 v12, 29, v12
	v_lshlrev_b64 v[114:115], v114, v[0:1]
	s_delay_alu instid0(VALU_DEP_1)
	v_and_b32_e32 v0, 7, v114
; %bb.944:                              ;   in Loop: Header=BB320_552 Depth=1
	s_or_b32 exec_lo, exec_lo, s16
	v_lshlrev_b32_e32 v11, 8, v11
	v_lshl_add_u32 v12, v12, 10, 0x2000
	s_delay_alu instid0(VALU_DEP_1) | instskip(NEXT) | instid1(VALU_DEP_1)
	v_and_or_b32 v11, 0x8000, v11, v12
	v_lshl_or_b32 v0, v0, 7, v11
	s_delay_alu instid0(VALU_DEP_1)
	v_cvt_f32_f16_e32 v114, v0
.LBB320_945:                            ;   in Loop: Header=BB320_552 Depth=1
	s_or_b32 exec_lo, exec_lo, s15
.LBB320_946:                            ;   in Loop: Header=BB320_552 Depth=1
	s_delay_alu instid0(SALU_CYCLE_1)
	s_or_b32 exec_lo, exec_lo, s13
.LBB320_947:                            ;   in Loop: Header=BB320_552 Depth=1
	s_delay_alu instid0(SALU_CYCLE_1)
	s_or_b32 exec_lo, exec_lo, s12
	s_waitcnt vmcnt(0) lgkmcnt(0)
	v_fma_mixlo_f16 v12, v100, v102, 0
	v_fma_mixlo_f16 v0, v100, v112, 0
	v_fma_mixlo_f16 v11, v100, v103, 0
	v_fma_mixlo_f16 v101, v100, v101, 0
	v_fma_mixlo_f16 v103, v100, v113, 0
	v_lshlrev_b32_e32 v102, 16, v12
	v_fma_mixlo_f16 v13, v100, v13, 0
	v_fma_mixlo_f16 v112, v100, v114, 0
	;; [unrolled: 1-line block ×3, first 2 shown]
	v_lshlrev_b32_e32 v0, 16, v0
	v_and_b32_e32 v11, 0xffff, v11
	v_and_b32_e32 v14, 0xffff, v101
	v_lshlrev_b32_e32 v100, 16, v103
	v_and_b32_e32 v101, 0xffff, v13
	v_lshlrev_b32_e32 v103, 16, v112
	v_and_b32_e32 v112, 0xffff, v12
	v_or_b32_e32 v13, v0, v11
	v_or_b32_e32 v14, v102, v14
	;; [unrolled: 1-line block ×3, first 2 shown]
	s_delay_alu instid0(VALU_DEP_4)
	v_or_b32_e32 v11, v103, v112
	s_and_saveexec_b32 s12, vcc_lo
	s_cbranch_execz .LBB320_949
; %bb.948:                              ;   in Loop: Header=BB320_552 Depth=1
	v_cmp_lt_i32_e64 s0, v18, v35
	v_lshrrev_b32_e32 v100, 16, v14
	v_lshrrev_b32_e32 v101, 16, v13
	;; [unrolled: 1-line block ×4, first 2 shown]
	v_cndmask_b32_e64 v14, 0, v14, s0
	v_cmp_lt_i32_e64 s0, v69, v51
	s_delay_alu instid0(VALU_DEP_1) | instskip(SKIP_1) | instid1(VALU_DEP_2)
	v_cndmask_b32_e64 v100, 0, v100, s0
	v_cmp_lt_i32_e64 s0, v68, v51
	v_perm_b32 v14, v100, v14, 0x5040100
	s_delay_alu instid0(VALU_DEP_2) | instskip(SKIP_1) | instid1(VALU_DEP_1)
	v_cndmask_b32_e64 v101, 0, v101, s0
	v_cmp_lt_i32_e64 s0, v67, v35
	v_cndmask_b32_e64 v13, 0, v13, s0
	v_cmp_lt_i32_e64 s0, v66, v51
	s_delay_alu instid0(VALU_DEP_2) | instskip(NEXT) | instid1(VALU_DEP_2)
	v_perm_b32 v13, v101, v13, 0x5040100
	v_cndmask_b32_e64 v102, 0, v102, s0
	v_cmp_lt_i32_e64 s0, v65, v35
	s_delay_alu instid0(VALU_DEP_1) | instskip(SKIP_1) | instid1(VALU_DEP_2)
	v_cndmask_b32_e64 v0, 0, v0, s0
	v_cmp_lt_i32_e64 s0, v54, v51
	v_perm_b32 v0, v102, v0, 0x5040100
	s_delay_alu instid0(VALU_DEP_2) | instskip(SKIP_1) | instid1(VALU_DEP_1)
	v_cndmask_b32_e64 v11, 0, v11, s0
	v_cmp_lt_i32_e64 s0, v19, v35
	v_cndmask_b32_e64 v12, 0, v12, s0
	s_delay_alu instid0(VALU_DEP_1)
	v_perm_b32 v11, v11, v12, 0x5040100
.LBB320_949:                            ;   in Loop: Header=BB320_552 Depth=1
	s_or_b32 exec_lo, exec_lo, s12
	;;#ASMSTART
	v_pk_mul_f16 v12, v83, v14;

	;;#ASMEND
	;;#ASMSTART
	v_pk_mul_f16 v13, v82, v13;

	;;#ASMEND
	;; [unrolled: 4-line block ×4, first 2 shown]
	;;#ASMSTART
	v_pk_add_f16 v12, v12, v13;

	;;#ASMEND
	;;#ASMSTART
	v_pk_add_f16 v0, v12, v0;

	;;#ASMEND
	;; [unrolled: 4-line block ×3, first 2 shown]
	v_dual_mov_b32 v112, 0 :: v_dual_and_b32 v11, 0xffff, v0
	v_lshrrev_b32_e32 v0, 16, v0
	;;#ASMSTART
	v_cvt_f32_f16 v100, v11;
	;;#ASMEND
	;;#ASMSTART
	v_cvt_f32_f16 v101, v0;
	;;#ASMEND
	flat_load_b64 v[11:12], v[9:10] offset:1536
	flat_load_b32 v102, v[26:27]
	s_mov_b32 s12, exec_lo
	s_waitcnt vmcnt(1) lgkmcnt(1)
	v_dual_mov_b32 v103, 0 :: v_dual_and_b32 v0, 0xff, v11
	s_delay_alu instid0(VALU_DEP_1)
	v_cmpx_ne_u16_e32 0, v0
	s_cbranch_execz .LBB320_957
; %bb.950:                              ;   in Loop: Header=BB320_552 Depth=1
	v_bfrev_b32_e32 v103, 1
	s_mov_b32 s13, exec_lo
	v_cmpx_ne_u16_e32 0x80, v0
	s_cbranch_execz .LBB320_956
; %bb.951:                              ;   in Loop: Header=BB320_552 Depth=1
	v_and_b32_e32 v13, 0x7f, v11
	v_mov_b32_e32 v103, 0x7fc02000
	s_mov_b32 s15, exec_lo
	s_delay_alu instid0(VALU_DEP_2)
	v_cmpx_ne_u32_e32 0x7f, v13
	s_cbranch_execz .LBB320_955
; %bb.952:                              ;   in Loop: Header=BB320_552 Depth=1
	v_lshrrev_b32_e32 v0, 3, v13
	v_cmp_gt_u32_e64 s0, 8, v13
	v_dual_mov_b32 v14, v12 :: v_dual_mov_b32 v13, v11
	s_delay_alu instid0(VALU_DEP_2)
	s_and_saveexec_b32 s16, s0
; %bb.953:                              ;   in Loop: Header=BB320_552 Depth=1
	v_and_b32_e32 v0, 7, v11
	s_delay_alu instid0(VALU_DEP_1) | instskip(NEXT) | instid1(VALU_DEP_1)
	v_clz_i32_u32_e32 v0, v0
	v_min_u32_e32 v0, 32, v0
	s_delay_alu instid0(VALU_DEP_1) | instskip(SKIP_1) | instid1(VALU_DEP_2)
	v_subrev_nc_u32_e32 v13, 28, v0
	v_sub_nc_u32_e32 v0, 29, v0
	v_lshlrev_b64 v[13:14], v13, v[11:12]
; %bb.954:                              ;   in Loop: Header=BB320_552 Depth=1
	s_or_b32 exec_lo, exec_lo, s16
	v_lshlrev_b32_e32 v14, 8, v11
	s_delay_alu instid0(VALU_DEP_3) | instskip(NEXT) | instid1(VALU_DEP_3)
	v_lshl_add_u32 v0, v0, 10, 0x2000
	v_lshlrev_b32_e32 v13, 7, v13
	s_delay_alu instid0(VALU_DEP_2) | instskip(NEXT) | instid1(VALU_DEP_1)
	v_and_or_b32 v0, 0x8000, v14, v0
	v_and_or_b32 v0, 0x380, v13, v0
	s_delay_alu instid0(VALU_DEP_1)
	v_cvt_f32_f16_e32 v103, v0
.LBB320_955:                            ;   in Loop: Header=BB320_552 Depth=1
	s_or_b32 exec_lo, exec_lo, s15
.LBB320_956:                            ;   in Loop: Header=BB320_552 Depth=1
	s_delay_alu instid0(SALU_CYCLE_1)
	s_or_b32 exec_lo, exec_lo, s13
.LBB320_957:                            ;   in Loop: Header=BB320_552 Depth=1
	s_delay_alu instid0(SALU_CYCLE_1) | instskip(SKIP_2) | instid1(VALU_DEP_1)
	s_or_b32 exec_lo, exec_lo, s12
	v_lshrrev_b16 v0, 8, v11
	s_mov_b32 s12, exec_lo
	v_cmpx_ne_u16_e32 0, v0
	s_cbranch_execz .LBB320_965
; %bb.958:                              ;   in Loop: Header=BB320_552 Depth=1
	v_bfrev_b32_e32 v112, 1
	s_mov_b32 s13, exec_lo
	v_cmpx_ne_u16_e32 0x80, v0
	s_cbranch_execz .LBB320_964
; %bb.959:                              ;   in Loop: Header=BB320_552 Depth=1
	v_and_b32_e32 v13, 0xffff, v0
	v_mov_b32_e32 v112, 0x7fc02000
	s_mov_b32 s15, exec_lo
	s_delay_alu instid0(VALU_DEP_2) | instskip(NEXT) | instid1(VALU_DEP_1)
	v_and_b32_e32 v113, 0x7f, v13
	v_cmpx_ne_u32_e32 0x7f, v113
	s_cbranch_execz .LBB320_963
; %bb.960:                              ;   in Loop: Header=BB320_552 Depth=1
	v_and_b32_e32 v0, 7, v13
	v_lshrrev_b32_e32 v14, 3, v113
	s_mov_b32 s16, exec_lo
	v_cmpx_gt_u32_e32 8, v113
; %bb.961:                              ;   in Loop: Header=BB320_552 Depth=1
	s_delay_alu instid0(VALU_DEP_3) | instskip(NEXT) | instid1(VALU_DEP_1)
	v_clz_i32_u32_e32 v14, v0
	v_min_u32_e32 v14, 32, v14
	s_delay_alu instid0(VALU_DEP_1) | instskip(SKIP_1) | instid1(VALU_DEP_2)
	v_subrev_nc_u32_e32 v112, 28, v14
	v_sub_nc_u32_e32 v14, 29, v14
	v_lshlrev_b64 v[112:113], v112, v[0:1]
	s_delay_alu instid0(VALU_DEP_1)
	v_and_b32_e32 v0, 7, v112
; %bb.962:                              ;   in Loop: Header=BB320_552 Depth=1
	s_or_b32 exec_lo, exec_lo, s16
	v_lshlrev_b32_e32 v13, 8, v13
	v_lshl_add_u32 v14, v14, 10, 0x2000
	s_delay_alu instid0(VALU_DEP_1) | instskip(NEXT) | instid1(VALU_DEP_1)
	v_and_or_b32 v13, 0x8000, v13, v14
	v_lshl_or_b32 v0, v0, 7, v13
	s_delay_alu instid0(VALU_DEP_1)
	v_cvt_f32_f16_e32 v112, v0
.LBB320_963:                            ;   in Loop: Header=BB320_552 Depth=1
	s_or_b32 exec_lo, exec_lo, s15
.LBB320_964:                            ;   in Loop: Header=BB320_552 Depth=1
	s_delay_alu instid0(SALU_CYCLE_1)
	s_or_b32 exec_lo, exec_lo, s13
.LBB320_965:                            ;   in Loop: Header=BB320_552 Depth=1
	s_delay_alu instid0(SALU_CYCLE_1) | instskip(SKIP_3) | instid1(VALU_DEP_2)
	s_or_b32 exec_lo, exec_lo, s12
	v_lshrrev_b32_e32 v13, 16, v11
	v_mov_b32_e32 v114, 0
	s_mov_b32 s12, exec_lo
	v_dual_mov_b32 v113, 0 :: v_dual_and_b32 v0, 0xff, v13
	s_delay_alu instid0(VALU_DEP_1)
	v_cmpx_ne_u16_e32 0, v0
	s_cbranch_execz .LBB320_973
; %bb.966:                              ;   in Loop: Header=BB320_552 Depth=1
	v_bfrev_b32_e32 v113, 1
	s_mov_b32 s13, exec_lo
	v_cmpx_ne_u16_e32 0x80, v0
	s_cbranch_execz .LBB320_972
; %bb.967:                              ;   in Loop: Header=BB320_552 Depth=1
	v_bfe_u32 v115, v11, 16, 7
	v_mov_b32_e32 v113, 0x7fc02000
	s_mov_b32 s15, exec_lo
	s_delay_alu instid0(VALU_DEP_2)
	v_cmpx_ne_u32_e32 0x7f, v115
	s_cbranch_execz .LBB320_971
; %bb.968:                              ;   in Loop: Header=BB320_552 Depth=1
	v_and_b32_e32 v0, 7, v13
	v_lshrrev_b32_e32 v14, 3, v115
	s_mov_b32 s16, exec_lo
	v_cmpx_gt_u32_e32 8, v115
; %bb.969:                              ;   in Loop: Header=BB320_552 Depth=1
	s_delay_alu instid0(VALU_DEP_3) | instskip(NEXT) | instid1(VALU_DEP_1)
	v_clz_i32_u32_e32 v14, v0
	v_min_u32_e32 v14, 32, v14
	s_delay_alu instid0(VALU_DEP_1) | instskip(SKIP_1) | instid1(VALU_DEP_2)
	v_subrev_nc_u32_e32 v113, 28, v14
	v_sub_nc_u32_e32 v14, 29, v14
	v_lshlrev_b64 v[115:116], v113, v[0:1]
	s_delay_alu instid0(VALU_DEP_1)
	v_and_b32_e32 v0, 7, v115
; %bb.970:                              ;   in Loop: Header=BB320_552 Depth=1
	s_or_b32 exec_lo, exec_lo, s16
	v_lshlrev_b32_e32 v13, 8, v13
	v_lshl_add_u32 v14, v14, 10, 0x2000
	s_delay_alu instid0(VALU_DEP_1) | instskip(NEXT) | instid1(VALU_DEP_1)
	v_and_or_b32 v13, 0x8000, v13, v14
	v_lshl_or_b32 v0, v0, 7, v13
	s_delay_alu instid0(VALU_DEP_1)
	v_cvt_f32_f16_e32 v113, v0
.LBB320_971:                            ;   in Loop: Header=BB320_552 Depth=1
	s_or_b32 exec_lo, exec_lo, s15
.LBB320_972:                            ;   in Loop: Header=BB320_552 Depth=1
	s_delay_alu instid0(SALU_CYCLE_1)
	s_or_b32 exec_lo, exec_lo, s13
.LBB320_973:                            ;   in Loop: Header=BB320_552 Depth=1
	s_delay_alu instid0(SALU_CYCLE_1) | instskip(NEXT) | instid1(SALU_CYCLE_1)
	s_or_b32 exec_lo, exec_lo, s12
	s_mov_b32 s12, exec_lo
	v_cmpx_lt_u32_e32 0xffffff, v11
	s_cbranch_execz .LBB320_981
; %bb.974:                              ;   in Loop: Header=BB320_552 Depth=1
	v_lshrrev_b32_e32 v13, 24, v11
	v_bfrev_b32_e32 v114, 1
	s_mov_b32 s13, exec_lo
	s_delay_alu instid0(VALU_DEP_2)
	v_cmpx_ne_u32_e32 0x80, v13
	s_cbranch_execz .LBB320_980
; %bb.975:                              ;   in Loop: Header=BB320_552 Depth=1
	v_and_b32_e32 v115, 0x7f, v13
	v_mov_b32_e32 v114, 0x7fc02000
	s_mov_b32 s15, exec_lo
	s_delay_alu instid0(VALU_DEP_2)
	v_cmpx_ne_u32_e32 0x7f, v115
	s_cbranch_execz .LBB320_979
; %bb.976:                              ;   in Loop: Header=BB320_552 Depth=1
	v_and_b32_e32 v0, 7, v13
	v_lshrrev_b32_e32 v14, 3, v115
	s_mov_b32 s16, exec_lo
	v_cmpx_gt_u32_e32 8, v115
; %bb.977:                              ;   in Loop: Header=BB320_552 Depth=1
	s_delay_alu instid0(VALU_DEP_3) | instskip(NEXT) | instid1(VALU_DEP_1)
	v_clz_i32_u32_e32 v14, v0
	v_min_u32_e32 v14, 32, v14
	s_delay_alu instid0(VALU_DEP_1) | instskip(SKIP_1) | instid1(VALU_DEP_2)
	v_subrev_nc_u32_e32 v114, 28, v14
	v_sub_nc_u32_e32 v14, 29, v14
	v_lshlrev_b64 v[114:115], v114, v[0:1]
	s_delay_alu instid0(VALU_DEP_1)
	v_and_b32_e32 v0, 7, v114
; %bb.978:                              ;   in Loop: Header=BB320_552 Depth=1
	s_or_b32 exec_lo, exec_lo, s16
	v_lshlrev_b32_e32 v13, 8, v13
	v_lshl_add_u32 v14, v14, 10, 0x2000
	s_delay_alu instid0(VALU_DEP_1) | instskip(NEXT) | instid1(VALU_DEP_1)
	v_and_or_b32 v13, 0x8000, v13, v14
	v_lshl_or_b32 v0, v0, 7, v13
	s_delay_alu instid0(VALU_DEP_1)
	v_cvt_f32_f16_e32 v114, v0
.LBB320_979:                            ;   in Loop: Header=BB320_552 Depth=1
	s_or_b32 exec_lo, exec_lo, s15
.LBB320_980:                            ;   in Loop: Header=BB320_552 Depth=1
	s_delay_alu instid0(SALU_CYCLE_1)
	s_or_b32 exec_lo, exec_lo, s13
.LBB320_981:                            ;   in Loop: Header=BB320_552 Depth=1
	s_delay_alu instid0(SALU_CYCLE_1) | instskip(SKIP_3) | instid1(VALU_DEP_2)
	s_or_b32 exec_lo, exec_lo, s12
	v_dual_mov_b32 v115, 0 :: v_dual_and_b32 v14, 0xff, v12
	v_dual_mov_b32 v0, v12 :: v_dual_mov_b32 v13, 0
	s_mov_b32 s12, exec_lo
	v_cmpx_ne_u16_e32 0, v14
	s_cbranch_execz .LBB320_989
; %bb.982:                              ;   in Loop: Header=BB320_552 Depth=1
	v_bfrev_b32_e32 v13, 1
	s_mov_b32 s13, exec_lo
	v_cmpx_ne_u16_e32 0x80, v14
	s_cbranch_execz .LBB320_988
; %bb.983:                              ;   in Loop: Header=BB320_552 Depth=1
	v_and_b32_e32 v14, 0x7f, v12
	v_mov_b32_e32 v13, 0x7fc02000
	s_mov_b32 s15, exec_lo
	s_delay_alu instid0(VALU_DEP_2)
	v_cmpx_ne_u32_e32 0x7f, v14
	s_cbranch_execz .LBB320_987
; %bb.984:                              ;   in Loop: Header=BB320_552 Depth=1
	v_lshrrev_b32_e32 v116, 3, v14
	v_cmp_gt_u32_e64 s0, 8, v14
	v_dual_mov_b32 v14, v1 :: v_dual_mov_b32 v13, v0
	s_delay_alu instid0(VALU_DEP_2)
	s_and_saveexec_b32 s16, s0
; %bb.985:                              ;   in Loop: Header=BB320_552 Depth=1
	v_and_b32_e32 v13, 7, v12
	s_delay_alu instid0(VALU_DEP_1) | instskip(NEXT) | instid1(VALU_DEP_1)
	v_clz_i32_u32_e32 v13, v13
	v_min_u32_e32 v116, 32, v13
	s_delay_alu instid0(VALU_DEP_1) | instskip(SKIP_1) | instid1(VALU_DEP_2)
	v_subrev_nc_u32_e32 v13, 28, v116
	v_sub_nc_u32_e32 v116, 29, v116
	v_lshlrev_b64 v[13:14], v13, v[0:1]
; %bb.986:                              ;   in Loop: Header=BB320_552 Depth=1
	s_or_b32 exec_lo, exec_lo, s16
	v_lshlrev_b32_e32 v14, 8, v12
	s_delay_alu instid0(VALU_DEP_3) | instskip(NEXT) | instid1(VALU_DEP_3)
	v_lshl_add_u32 v116, v116, 10, 0x2000
	v_lshlrev_b32_e32 v13, 7, v13
	s_delay_alu instid0(VALU_DEP_2) | instskip(NEXT) | instid1(VALU_DEP_1)
	v_and_or_b32 v14, 0x8000, v14, v116
	v_and_or_b32 v13, 0x380, v13, v14
	s_delay_alu instid0(VALU_DEP_1)
	v_cvt_f32_f16_e32 v13, v13
.LBB320_987:                            ;   in Loop: Header=BB320_552 Depth=1
	s_or_b32 exec_lo, exec_lo, s15
.LBB320_988:                            ;   in Loop: Header=BB320_552 Depth=1
	s_delay_alu instid0(SALU_CYCLE_1)
	s_or_b32 exec_lo, exec_lo, s13
.LBB320_989:                            ;   in Loop: Header=BB320_552 Depth=1
	s_delay_alu instid0(SALU_CYCLE_1) | instskip(SKIP_2) | instid1(VALU_DEP_1)
	s_or_b32 exec_lo, exec_lo, s12
	v_lshrrev_b16 v0, 8, v0
	s_mov_b32 s12, exec_lo
	v_cmpx_ne_u16_e32 0, v0
	s_cbranch_execz .LBB320_997
; %bb.990:                              ;   in Loop: Header=BB320_552 Depth=1
	v_bfrev_b32_e32 v115, 1
	s_mov_b32 s13, exec_lo
	v_cmpx_ne_u16_e32 0x80, v0
	s_cbranch_execz .LBB320_996
; %bb.991:                              ;   in Loop: Header=BB320_552 Depth=1
	v_and_b32_e32 v14, 0xffff, v0
	v_mov_b32_e32 v115, 0x7fc02000
	s_mov_b32 s15, exec_lo
	s_delay_alu instid0(VALU_DEP_2) | instskip(NEXT) | instid1(VALU_DEP_1)
	v_and_b32_e32 v116, 0x7f, v14
	v_cmpx_ne_u32_e32 0x7f, v116
	s_cbranch_execz .LBB320_995
; %bb.992:                              ;   in Loop: Header=BB320_552 Depth=1
	v_and_b32_e32 v0, 7, v14
	v_lshrrev_b32_e32 v115, 3, v116
	s_mov_b32 s16, exec_lo
	v_cmpx_gt_u32_e32 8, v116
; %bb.993:                              ;   in Loop: Header=BB320_552 Depth=1
	s_delay_alu instid0(VALU_DEP_3) | instskip(NEXT) | instid1(VALU_DEP_1)
	v_clz_i32_u32_e32 v115, v0
	v_min_u32_e32 v115, 32, v115
	s_delay_alu instid0(VALU_DEP_1) | instskip(SKIP_1) | instid1(VALU_DEP_2)
	v_subrev_nc_u32_e32 v116, 28, v115
	v_sub_nc_u32_e32 v115, 29, v115
	v_lshlrev_b64 v[116:117], v116, v[0:1]
	s_delay_alu instid0(VALU_DEP_1)
	v_and_b32_e32 v0, 7, v116
; %bb.994:                              ;   in Loop: Header=BB320_552 Depth=1
	s_or_b32 exec_lo, exec_lo, s16
	v_lshlrev_b32_e32 v14, 8, v14
	v_lshl_add_u32 v115, v115, 10, 0x2000
	s_delay_alu instid0(VALU_DEP_1) | instskip(NEXT) | instid1(VALU_DEP_1)
	v_and_or_b32 v14, 0x8000, v14, v115
	v_lshl_or_b32 v0, v0, 7, v14
	s_delay_alu instid0(VALU_DEP_1)
	v_cvt_f32_f16_e32 v115, v0
.LBB320_995:                            ;   in Loop: Header=BB320_552 Depth=1
	s_or_b32 exec_lo, exec_lo, s15
.LBB320_996:                            ;   in Loop: Header=BB320_552 Depth=1
	s_delay_alu instid0(SALU_CYCLE_1)
	s_or_b32 exec_lo, exec_lo, s13
.LBB320_997:                            ;   in Loop: Header=BB320_552 Depth=1
	s_delay_alu instid0(SALU_CYCLE_1) | instskip(SKIP_4) | instid1(VALU_DEP_3)
	s_or_b32 exec_lo, exec_lo, s12
	v_lshrrev_b32_e32 v117, 16, v12
	v_mov_b32_e32 v116, 0
	v_mov_b32_e32 v14, 0
	s_mov_b32 s12, exec_lo
	v_and_b32_e32 v0, 0xff, v117
	s_delay_alu instid0(VALU_DEP_1)
	v_cmpx_ne_u16_e32 0, v0
	s_cbranch_execz .LBB320_1005
; %bb.998:                              ;   in Loop: Header=BB320_552 Depth=1
	v_bfrev_b32_e32 v14, 1
	s_mov_b32 s13, exec_lo
	v_cmpx_ne_u16_e32 0x80, v0
	s_cbranch_execz .LBB320_1004
; %bb.999:                              ;   in Loop: Header=BB320_552 Depth=1
	v_bfe_u32 v118, v12, 16, 7
	v_mov_b32_e32 v14, 0x7fc02000
	s_mov_b32 s15, exec_lo
	s_delay_alu instid0(VALU_DEP_2)
	v_cmpx_ne_u32_e32 0x7f, v118
	s_cbranch_execz .LBB320_1003
; %bb.1000:                             ;   in Loop: Header=BB320_552 Depth=1
	v_and_b32_e32 v0, 7, v117
	v_lshrrev_b32_e32 v14, 3, v118
	s_mov_b32 s16, exec_lo
	v_cmpx_gt_u32_e32 8, v118
; %bb.1001:                             ;   in Loop: Header=BB320_552 Depth=1
	s_delay_alu instid0(VALU_DEP_3) | instskip(NEXT) | instid1(VALU_DEP_1)
	v_clz_i32_u32_e32 v14, v0
	v_min_u32_e32 v14, 32, v14
	s_delay_alu instid0(VALU_DEP_1) | instskip(SKIP_1) | instid1(VALU_DEP_2)
	v_subrev_nc_u32_e32 v118, 28, v14
	v_sub_nc_u32_e32 v14, 29, v14
	v_lshlrev_b64 v[118:119], v118, v[0:1]
	s_delay_alu instid0(VALU_DEP_1)
	v_and_b32_e32 v0, 7, v118
; %bb.1002:                             ;   in Loop: Header=BB320_552 Depth=1
	s_or_b32 exec_lo, exec_lo, s16
	v_lshlrev_b32_e32 v117, 8, v117
	v_lshl_add_u32 v14, v14, 10, 0x2000
	s_delay_alu instid0(VALU_DEP_1) | instskip(NEXT) | instid1(VALU_DEP_1)
	v_and_or_b32 v14, 0x8000, v117, v14
	v_lshl_or_b32 v0, v0, 7, v14
	s_delay_alu instid0(VALU_DEP_1)
	v_cvt_f32_f16_e32 v14, v0
.LBB320_1003:                           ;   in Loop: Header=BB320_552 Depth=1
	s_or_b32 exec_lo, exec_lo, s15
.LBB320_1004:                           ;   in Loop: Header=BB320_552 Depth=1
	s_delay_alu instid0(SALU_CYCLE_1)
	s_or_b32 exec_lo, exec_lo, s13
.LBB320_1005:                           ;   in Loop: Header=BB320_552 Depth=1
	s_delay_alu instid0(SALU_CYCLE_1) | instskip(NEXT) | instid1(SALU_CYCLE_1)
	s_or_b32 exec_lo, exec_lo, s12
	s_mov_b32 s12, exec_lo
	v_cmpx_lt_u64_e64 s[8:9], v[11:12]
	s_cbranch_execz .LBB320_1013
; %bb.1006:                             ;   in Loop: Header=BB320_552 Depth=1
	v_lshrrev_b32_e32 v11, 24, v12
	v_bfrev_b32_e32 v116, 1
	s_mov_b32 s13, exec_lo
	s_delay_alu instid0(VALU_DEP_2)
	v_cmpx_ne_u32_e32 0x80, v11
	s_cbranch_execz .LBB320_1012
; %bb.1007:                             ;   in Loop: Header=BB320_552 Depth=1
	v_and_b32_e32 v117, 0x7f, v11
	v_mov_b32_e32 v116, 0x7fc02000
	s_mov_b32 s15, exec_lo
	s_delay_alu instid0(VALU_DEP_2)
	v_cmpx_ne_u32_e32 0x7f, v117
	s_cbranch_execz .LBB320_1011
; %bb.1008:                             ;   in Loop: Header=BB320_552 Depth=1
	v_and_b32_e32 v0, 7, v11
	v_lshrrev_b32_e32 v12, 3, v117
	s_mov_b32 s16, exec_lo
	v_cmpx_gt_u32_e32 8, v117
; %bb.1009:                             ;   in Loop: Header=BB320_552 Depth=1
	s_delay_alu instid0(VALU_DEP_3) | instskip(NEXT) | instid1(VALU_DEP_1)
	v_clz_i32_u32_e32 v12, v0
	v_min_u32_e32 v12, 32, v12
	s_delay_alu instid0(VALU_DEP_1) | instskip(SKIP_1) | instid1(VALU_DEP_2)
	v_subrev_nc_u32_e32 v116, 28, v12
	v_sub_nc_u32_e32 v12, 29, v12
	v_lshlrev_b64 v[116:117], v116, v[0:1]
	s_delay_alu instid0(VALU_DEP_1)
	v_and_b32_e32 v0, 7, v116
; %bb.1010:                             ;   in Loop: Header=BB320_552 Depth=1
	s_or_b32 exec_lo, exec_lo, s16
	v_lshlrev_b32_e32 v11, 8, v11
	v_lshl_add_u32 v12, v12, 10, 0x2000
	s_delay_alu instid0(VALU_DEP_1) | instskip(NEXT) | instid1(VALU_DEP_1)
	v_and_or_b32 v11, 0x8000, v11, v12
	v_lshl_or_b32 v0, v0, 7, v11
	s_delay_alu instid0(VALU_DEP_1)
	v_cvt_f32_f16_e32 v116, v0
.LBB320_1011:                           ;   in Loop: Header=BB320_552 Depth=1
	s_or_b32 exec_lo, exec_lo, s15
.LBB320_1012:                           ;   in Loop: Header=BB320_552 Depth=1
	s_delay_alu instid0(SALU_CYCLE_1)
	s_or_b32 exec_lo, exec_lo, s13
.LBB320_1013:                           ;   in Loop: Header=BB320_552 Depth=1
	s_delay_alu instid0(SALU_CYCLE_1)
	s_or_b32 exec_lo, exec_lo, s12
	s_waitcnt vmcnt(0) lgkmcnt(0)
	v_fma_mixlo_f16 v12, v102, v112, 0
	v_fma_mixlo_f16 v0, v102, v114, 0
	v_fma_mixlo_f16 v11, v102, v113, 0
	v_fma_mixlo_f16 v103, v102, v103, 0
	v_fma_mixlo_f16 v113, v102, v115, 0
	v_lshlrev_b32_e32 v112, 16, v12
	v_fma_mixlo_f16 v13, v102, v13, 0
	v_fma_mixlo_f16 v114, v102, v116, 0
	;; [unrolled: 1-line block ×3, first 2 shown]
	v_lshlrev_b32_e32 v0, 16, v0
	v_and_b32_e32 v11, 0xffff, v11
	v_and_b32_e32 v14, 0xffff, v103
	v_lshlrev_b32_e32 v102, 16, v113
	v_and_b32_e32 v103, 0xffff, v13
	v_lshlrev_b32_e32 v113, 16, v114
	v_and_b32_e32 v114, 0xffff, v12
	v_or_b32_e32 v13, v0, v11
	v_or_b32_e32 v14, v112, v14
	;; [unrolled: 1-line block ×3, first 2 shown]
	s_delay_alu instid0(VALU_DEP_4)
	v_or_b32_e32 v11, v113, v114
	s_and_saveexec_b32 s12, vcc_lo
	s_cbranch_execz .LBB320_1015
; %bb.1014:                             ;   in Loop: Header=BB320_552 Depth=1
	v_cmp_lt_i32_e64 s0, v18, v35
	v_lshrrev_b32_e32 v102, 16, v14
	v_lshrrev_b32_e32 v103, 16, v13
	;; [unrolled: 1-line block ×4, first 2 shown]
	v_cndmask_b32_e64 v14, 0, v14, s0
	v_cmp_lt_i32_e64 s0, v69, v51
	s_delay_alu instid0(VALU_DEP_1) | instskip(SKIP_1) | instid1(VALU_DEP_2)
	v_cndmask_b32_e64 v102, 0, v102, s0
	v_cmp_lt_i32_e64 s0, v68, v51
	v_perm_b32 v14, v102, v14, 0x5040100
	s_delay_alu instid0(VALU_DEP_2) | instskip(SKIP_1) | instid1(VALU_DEP_1)
	v_cndmask_b32_e64 v103, 0, v103, s0
	v_cmp_lt_i32_e64 s0, v67, v35
	v_cndmask_b32_e64 v13, 0, v13, s0
	v_cmp_lt_i32_e64 s0, v66, v51
	s_delay_alu instid0(VALU_DEP_2) | instskip(NEXT) | instid1(VALU_DEP_2)
	v_perm_b32 v13, v103, v13, 0x5040100
	v_cndmask_b32_e64 v112, 0, v112, s0
	v_cmp_lt_i32_e64 s0, v65, v35
	s_delay_alu instid0(VALU_DEP_1) | instskip(SKIP_1) | instid1(VALU_DEP_2)
	v_cndmask_b32_e64 v0, 0, v0, s0
	v_cmp_lt_i32_e64 s0, v54, v51
	v_perm_b32 v0, v112, v0, 0x5040100
	s_delay_alu instid0(VALU_DEP_2) | instskip(SKIP_1) | instid1(VALU_DEP_1)
	v_cndmask_b32_e64 v11, 0, v11, s0
	v_cmp_lt_i32_e64 s0, v19, v35
	v_cndmask_b32_e64 v12, 0, v12, s0
	s_delay_alu instid0(VALU_DEP_1)
	v_perm_b32 v11, v11, v12, 0x5040100
.LBB320_1015:                           ;   in Loop: Header=BB320_552 Depth=1
	s_or_b32 exec_lo, exec_lo, s12
	;;#ASMSTART
	v_pk_mul_f16 v12, v83, v14;

	;;#ASMEND
	;;#ASMSTART
	v_pk_mul_f16 v13, v82, v13;

	;;#ASMEND
	;; [unrolled: 4-line block ×4, first 2 shown]
	;;#ASMSTART
	v_pk_add_f16 v12, v12, v13;

	;;#ASMEND
	;;#ASMSTART
	v_pk_add_f16 v0, v12, v0;

	;;#ASMEND
	;; [unrolled: 4-line block ×3, first 2 shown]
	v_dual_mov_b32 v112, 0 :: v_dual_and_b32 v11, 0xffff, v0
	v_lshrrev_b32_e32 v0, 16, v0
	;;#ASMSTART
	v_cvt_f32_f16 v13, v11;
	;;#ASMEND
	;;#ASMSTART
	v_cvt_f32_f16 v14, v0;
	;;#ASMEND
	flat_load_b64 v[9:10], v[9:10] offset:1792
	flat_load_b32 v102, v[26:27]
	s_mov_b32 s12, exec_lo
	s_waitcnt vmcnt(1) lgkmcnt(1)
	v_dual_mov_b32 v103, 0 :: v_dual_and_b32 v0, 0xff, v9
	s_delay_alu instid0(VALU_DEP_1)
	v_cmpx_ne_u16_e32 0, v0
	s_cbranch_execz .LBB320_1023
; %bb.1016:                             ;   in Loop: Header=BB320_552 Depth=1
	v_bfrev_b32_e32 v103, 1
	s_mov_b32 s13, exec_lo
	v_cmpx_ne_u16_e32 0x80, v0
	s_cbranch_execz .LBB320_1022
; %bb.1017:                             ;   in Loop: Header=BB320_552 Depth=1
	v_and_b32_e32 v11, 0x7f, v9
	v_mov_b32_e32 v103, 0x7fc02000
	s_mov_b32 s15, exec_lo
	s_delay_alu instid0(VALU_DEP_2)
	v_cmpx_ne_u32_e32 0x7f, v11
	s_cbranch_execz .LBB320_1021
; %bb.1018:                             ;   in Loop: Header=BB320_552 Depth=1
	v_lshrrev_b32_e32 v0, 3, v11
	v_cmp_gt_u32_e64 s0, 8, v11
	v_dual_mov_b32 v12, v10 :: v_dual_mov_b32 v11, v9
	s_delay_alu instid0(VALU_DEP_2)
	s_and_saveexec_b32 s16, s0
; %bb.1019:                             ;   in Loop: Header=BB320_552 Depth=1
	v_and_b32_e32 v0, 7, v9
	s_delay_alu instid0(VALU_DEP_1) | instskip(NEXT) | instid1(VALU_DEP_1)
	v_clz_i32_u32_e32 v0, v0
	v_min_u32_e32 v0, 32, v0
	s_delay_alu instid0(VALU_DEP_1) | instskip(SKIP_1) | instid1(VALU_DEP_2)
	v_subrev_nc_u32_e32 v11, 28, v0
	v_sub_nc_u32_e32 v0, 29, v0
	v_lshlrev_b64 v[11:12], v11, v[9:10]
; %bb.1020:                             ;   in Loop: Header=BB320_552 Depth=1
	s_or_b32 exec_lo, exec_lo, s16
	v_lshlrev_b32_e32 v12, 8, v9
	s_delay_alu instid0(VALU_DEP_3) | instskip(NEXT) | instid1(VALU_DEP_3)
	v_lshl_add_u32 v0, v0, 10, 0x2000
	v_lshlrev_b32_e32 v11, 7, v11
	s_delay_alu instid0(VALU_DEP_2) | instskip(NEXT) | instid1(VALU_DEP_1)
	v_and_or_b32 v0, 0x8000, v12, v0
	v_and_or_b32 v0, 0x380, v11, v0
	s_delay_alu instid0(VALU_DEP_1)
	v_cvt_f32_f16_e32 v103, v0
.LBB320_1021:                           ;   in Loop: Header=BB320_552 Depth=1
	s_or_b32 exec_lo, exec_lo, s15
.LBB320_1022:                           ;   in Loop: Header=BB320_552 Depth=1
	s_delay_alu instid0(SALU_CYCLE_1)
	s_or_b32 exec_lo, exec_lo, s13
.LBB320_1023:                           ;   in Loop: Header=BB320_552 Depth=1
	s_delay_alu instid0(SALU_CYCLE_1) | instskip(SKIP_2) | instid1(VALU_DEP_1)
	s_or_b32 exec_lo, exec_lo, s12
	v_lshrrev_b16 v0, 8, v9
	s_mov_b32 s12, exec_lo
	v_cmpx_ne_u16_e32 0, v0
	s_cbranch_execz .LBB320_1031
; %bb.1024:                             ;   in Loop: Header=BB320_552 Depth=1
	v_bfrev_b32_e32 v112, 1
	s_mov_b32 s13, exec_lo
	v_cmpx_ne_u16_e32 0x80, v0
	s_cbranch_execz .LBB320_1030
; %bb.1025:                             ;   in Loop: Header=BB320_552 Depth=1
	v_and_b32_e32 v11, 0xffff, v0
	v_mov_b32_e32 v112, 0x7fc02000
	s_mov_b32 s15, exec_lo
	s_delay_alu instid0(VALU_DEP_2) | instskip(NEXT) | instid1(VALU_DEP_1)
	v_and_b32_e32 v113, 0x7f, v11
	v_cmpx_ne_u32_e32 0x7f, v113
	s_cbranch_execz .LBB320_1029
; %bb.1026:                             ;   in Loop: Header=BB320_552 Depth=1
	v_and_b32_e32 v0, 7, v11
	v_lshrrev_b32_e32 v12, 3, v113
	s_mov_b32 s16, exec_lo
	v_cmpx_gt_u32_e32 8, v113
; %bb.1027:                             ;   in Loop: Header=BB320_552 Depth=1
	s_delay_alu instid0(VALU_DEP_3) | instskip(NEXT) | instid1(VALU_DEP_1)
	v_clz_i32_u32_e32 v12, v0
	v_min_u32_e32 v12, 32, v12
	s_delay_alu instid0(VALU_DEP_1) | instskip(SKIP_1) | instid1(VALU_DEP_2)
	v_subrev_nc_u32_e32 v112, 28, v12
	v_sub_nc_u32_e32 v12, 29, v12
	v_lshlrev_b64 v[112:113], v112, v[0:1]
	s_delay_alu instid0(VALU_DEP_1)
	v_and_b32_e32 v0, 7, v112
; %bb.1028:                             ;   in Loop: Header=BB320_552 Depth=1
	s_or_b32 exec_lo, exec_lo, s16
	v_lshlrev_b32_e32 v11, 8, v11
	v_lshl_add_u32 v12, v12, 10, 0x2000
	s_delay_alu instid0(VALU_DEP_1) | instskip(NEXT) | instid1(VALU_DEP_1)
	v_and_or_b32 v11, 0x8000, v11, v12
	v_lshl_or_b32 v0, v0, 7, v11
	s_delay_alu instid0(VALU_DEP_1)
	v_cvt_f32_f16_e32 v112, v0
.LBB320_1029:                           ;   in Loop: Header=BB320_552 Depth=1
	s_or_b32 exec_lo, exec_lo, s15
.LBB320_1030:                           ;   in Loop: Header=BB320_552 Depth=1
	s_delay_alu instid0(SALU_CYCLE_1)
	s_or_b32 exec_lo, exec_lo, s13
.LBB320_1031:                           ;   in Loop: Header=BB320_552 Depth=1
	s_delay_alu instid0(SALU_CYCLE_1) | instskip(SKIP_3) | instid1(VALU_DEP_2)
	s_or_b32 exec_lo, exec_lo, s12
	v_lshrrev_b32_e32 v11, 16, v9
	v_mov_b32_e32 v114, 0
	s_mov_b32 s12, exec_lo
	v_dual_mov_b32 v113, 0 :: v_dual_and_b32 v0, 0xff, v11
	s_delay_alu instid0(VALU_DEP_1)
	v_cmpx_ne_u16_e32 0, v0
	s_cbranch_execz .LBB320_1039
; %bb.1032:                             ;   in Loop: Header=BB320_552 Depth=1
	v_bfrev_b32_e32 v113, 1
	s_mov_b32 s13, exec_lo
	v_cmpx_ne_u16_e32 0x80, v0
	s_cbranch_execz .LBB320_1038
; %bb.1033:                             ;   in Loop: Header=BB320_552 Depth=1
	v_bfe_u32 v115, v9, 16, 7
	v_mov_b32_e32 v113, 0x7fc02000
	s_mov_b32 s15, exec_lo
	s_delay_alu instid0(VALU_DEP_2)
	v_cmpx_ne_u32_e32 0x7f, v115
	s_cbranch_execz .LBB320_1037
; %bb.1034:                             ;   in Loop: Header=BB320_552 Depth=1
	v_and_b32_e32 v0, 7, v11
	v_lshrrev_b32_e32 v12, 3, v115
	s_mov_b32 s16, exec_lo
	v_cmpx_gt_u32_e32 8, v115
; %bb.1035:                             ;   in Loop: Header=BB320_552 Depth=1
	s_delay_alu instid0(VALU_DEP_3) | instskip(NEXT) | instid1(VALU_DEP_1)
	v_clz_i32_u32_e32 v12, v0
	v_min_u32_e32 v12, 32, v12
	s_delay_alu instid0(VALU_DEP_1) | instskip(SKIP_1) | instid1(VALU_DEP_2)
	v_subrev_nc_u32_e32 v113, 28, v12
	v_sub_nc_u32_e32 v12, 29, v12
	v_lshlrev_b64 v[115:116], v113, v[0:1]
	s_delay_alu instid0(VALU_DEP_1)
	v_and_b32_e32 v0, 7, v115
; %bb.1036:                             ;   in Loop: Header=BB320_552 Depth=1
	s_or_b32 exec_lo, exec_lo, s16
	v_lshlrev_b32_e32 v11, 8, v11
	v_lshl_add_u32 v12, v12, 10, 0x2000
	s_delay_alu instid0(VALU_DEP_1) | instskip(NEXT) | instid1(VALU_DEP_1)
	v_and_or_b32 v11, 0x8000, v11, v12
	v_lshl_or_b32 v0, v0, 7, v11
	s_delay_alu instid0(VALU_DEP_1)
	v_cvt_f32_f16_e32 v113, v0
.LBB320_1037:                           ;   in Loop: Header=BB320_552 Depth=1
	s_or_b32 exec_lo, exec_lo, s15
.LBB320_1038:                           ;   in Loop: Header=BB320_552 Depth=1
	s_delay_alu instid0(SALU_CYCLE_1)
	s_or_b32 exec_lo, exec_lo, s13
.LBB320_1039:                           ;   in Loop: Header=BB320_552 Depth=1
	s_delay_alu instid0(SALU_CYCLE_1) | instskip(NEXT) | instid1(SALU_CYCLE_1)
	s_or_b32 exec_lo, exec_lo, s12
	s_mov_b32 s12, exec_lo
	v_cmpx_lt_u32_e32 0xffffff, v9
	s_cbranch_execz .LBB320_1047
; %bb.1040:                             ;   in Loop: Header=BB320_552 Depth=1
	v_lshrrev_b32_e32 v11, 24, v9
	v_bfrev_b32_e32 v114, 1
	s_mov_b32 s13, exec_lo
	s_delay_alu instid0(VALU_DEP_2)
	v_cmpx_ne_u32_e32 0x80, v11
	s_cbranch_execz .LBB320_1046
; %bb.1041:                             ;   in Loop: Header=BB320_552 Depth=1
	v_and_b32_e32 v115, 0x7f, v11
	v_mov_b32_e32 v114, 0x7fc02000
	s_mov_b32 s15, exec_lo
	s_delay_alu instid0(VALU_DEP_2)
	v_cmpx_ne_u32_e32 0x7f, v115
	s_cbranch_execz .LBB320_1045
; %bb.1042:                             ;   in Loop: Header=BB320_552 Depth=1
	v_and_b32_e32 v0, 7, v11
	v_lshrrev_b32_e32 v12, 3, v115
	s_mov_b32 s16, exec_lo
	v_cmpx_gt_u32_e32 8, v115
; %bb.1043:                             ;   in Loop: Header=BB320_552 Depth=1
	s_delay_alu instid0(VALU_DEP_3) | instskip(NEXT) | instid1(VALU_DEP_1)
	v_clz_i32_u32_e32 v12, v0
	v_min_u32_e32 v12, 32, v12
	s_delay_alu instid0(VALU_DEP_1) | instskip(SKIP_1) | instid1(VALU_DEP_2)
	v_subrev_nc_u32_e32 v114, 28, v12
	v_sub_nc_u32_e32 v12, 29, v12
	v_lshlrev_b64 v[114:115], v114, v[0:1]
	s_delay_alu instid0(VALU_DEP_1)
	v_and_b32_e32 v0, 7, v114
; %bb.1044:                             ;   in Loop: Header=BB320_552 Depth=1
	s_or_b32 exec_lo, exec_lo, s16
	v_lshlrev_b32_e32 v11, 8, v11
	v_lshl_add_u32 v12, v12, 10, 0x2000
	s_delay_alu instid0(VALU_DEP_1) | instskip(NEXT) | instid1(VALU_DEP_1)
	v_and_or_b32 v11, 0x8000, v11, v12
	v_lshl_or_b32 v0, v0, 7, v11
	s_delay_alu instid0(VALU_DEP_1)
	v_cvt_f32_f16_e32 v114, v0
.LBB320_1045:                           ;   in Loop: Header=BB320_552 Depth=1
	s_or_b32 exec_lo, exec_lo, s15
.LBB320_1046:                           ;   in Loop: Header=BB320_552 Depth=1
	s_delay_alu instid0(SALU_CYCLE_1)
	s_or_b32 exec_lo, exec_lo, s13
.LBB320_1047:                           ;   in Loop: Header=BB320_552 Depth=1
	s_delay_alu instid0(SALU_CYCLE_1) | instskip(SKIP_3) | instid1(VALU_DEP_2)
	s_or_b32 exec_lo, exec_lo, s12
	v_dual_mov_b32 v115, 0 :: v_dual_and_b32 v12, 0xff, v10
	v_dual_mov_b32 v0, v10 :: v_dual_mov_b32 v11, 0
	s_mov_b32 s12, exec_lo
	v_cmpx_ne_u16_e32 0, v12
	s_cbranch_execz .LBB320_1055
; %bb.1048:                             ;   in Loop: Header=BB320_552 Depth=1
	v_bfrev_b32_e32 v11, 1
	s_mov_b32 s13, exec_lo
	v_cmpx_ne_u16_e32 0x80, v12
	s_cbranch_execz .LBB320_1054
; %bb.1049:                             ;   in Loop: Header=BB320_552 Depth=1
	v_and_b32_e32 v12, 0x7f, v10
	v_mov_b32_e32 v11, 0x7fc02000
	s_mov_b32 s15, exec_lo
	s_delay_alu instid0(VALU_DEP_2)
	v_cmpx_ne_u32_e32 0x7f, v12
	s_cbranch_execz .LBB320_1053
; %bb.1050:                             ;   in Loop: Header=BB320_552 Depth=1
	v_lshrrev_b32_e32 v116, 3, v12
	v_cmp_gt_u32_e64 s0, 8, v12
	v_dual_mov_b32 v12, v1 :: v_dual_mov_b32 v11, v0
	s_delay_alu instid0(VALU_DEP_2)
	s_and_saveexec_b32 s16, s0
; %bb.1051:                             ;   in Loop: Header=BB320_552 Depth=1
	v_and_b32_e32 v11, 7, v10
	s_delay_alu instid0(VALU_DEP_1) | instskip(NEXT) | instid1(VALU_DEP_1)
	v_clz_i32_u32_e32 v11, v11
	v_min_u32_e32 v116, 32, v11
	s_delay_alu instid0(VALU_DEP_1) | instskip(SKIP_1) | instid1(VALU_DEP_2)
	v_subrev_nc_u32_e32 v11, 28, v116
	v_sub_nc_u32_e32 v116, 29, v116
	v_lshlrev_b64 v[11:12], v11, v[0:1]
; %bb.1052:                             ;   in Loop: Header=BB320_552 Depth=1
	s_or_b32 exec_lo, exec_lo, s16
	v_lshlrev_b32_e32 v12, 8, v10
	s_delay_alu instid0(VALU_DEP_3) | instskip(NEXT) | instid1(VALU_DEP_3)
	v_lshl_add_u32 v116, v116, 10, 0x2000
	v_lshlrev_b32_e32 v11, 7, v11
	s_delay_alu instid0(VALU_DEP_2) | instskip(NEXT) | instid1(VALU_DEP_1)
	v_and_or_b32 v12, 0x8000, v12, v116
	v_and_or_b32 v11, 0x380, v11, v12
	s_delay_alu instid0(VALU_DEP_1)
	v_cvt_f32_f16_e32 v11, v11
.LBB320_1053:                           ;   in Loop: Header=BB320_552 Depth=1
	s_or_b32 exec_lo, exec_lo, s15
.LBB320_1054:                           ;   in Loop: Header=BB320_552 Depth=1
	s_delay_alu instid0(SALU_CYCLE_1)
	s_or_b32 exec_lo, exec_lo, s13
.LBB320_1055:                           ;   in Loop: Header=BB320_552 Depth=1
	s_delay_alu instid0(SALU_CYCLE_1) | instskip(SKIP_2) | instid1(VALU_DEP_1)
	s_or_b32 exec_lo, exec_lo, s12
	v_lshrrev_b16 v0, 8, v0
	s_mov_b32 s12, exec_lo
	v_cmpx_ne_u16_e32 0, v0
	s_cbranch_execz .LBB320_1063
; %bb.1056:                             ;   in Loop: Header=BB320_552 Depth=1
	v_bfrev_b32_e32 v115, 1
	s_mov_b32 s13, exec_lo
	v_cmpx_ne_u16_e32 0x80, v0
	s_cbranch_execz .LBB320_1062
; %bb.1057:                             ;   in Loop: Header=BB320_552 Depth=1
	v_and_b32_e32 v12, 0xffff, v0
	v_mov_b32_e32 v115, 0x7fc02000
	s_mov_b32 s15, exec_lo
	s_delay_alu instid0(VALU_DEP_2) | instskip(NEXT) | instid1(VALU_DEP_1)
	v_and_b32_e32 v116, 0x7f, v12
	v_cmpx_ne_u32_e32 0x7f, v116
	s_cbranch_execz .LBB320_1061
; %bb.1058:                             ;   in Loop: Header=BB320_552 Depth=1
	v_and_b32_e32 v0, 7, v12
	v_lshrrev_b32_e32 v115, 3, v116
	s_mov_b32 s16, exec_lo
	v_cmpx_gt_u32_e32 8, v116
; %bb.1059:                             ;   in Loop: Header=BB320_552 Depth=1
	s_delay_alu instid0(VALU_DEP_3) | instskip(NEXT) | instid1(VALU_DEP_1)
	v_clz_i32_u32_e32 v115, v0
	v_min_u32_e32 v115, 32, v115
	s_delay_alu instid0(VALU_DEP_1) | instskip(SKIP_1) | instid1(VALU_DEP_2)
	v_subrev_nc_u32_e32 v116, 28, v115
	v_sub_nc_u32_e32 v115, 29, v115
	v_lshlrev_b64 v[116:117], v116, v[0:1]
	s_delay_alu instid0(VALU_DEP_1)
	v_and_b32_e32 v0, 7, v116
; %bb.1060:                             ;   in Loop: Header=BB320_552 Depth=1
	s_or_b32 exec_lo, exec_lo, s16
	v_lshlrev_b32_e32 v12, 8, v12
	v_lshl_add_u32 v115, v115, 10, 0x2000
	s_delay_alu instid0(VALU_DEP_1) | instskip(NEXT) | instid1(VALU_DEP_1)
	v_and_or_b32 v12, 0x8000, v12, v115
	v_lshl_or_b32 v0, v0, 7, v12
	s_delay_alu instid0(VALU_DEP_1)
	v_cvt_f32_f16_e32 v115, v0
.LBB320_1061:                           ;   in Loop: Header=BB320_552 Depth=1
	s_or_b32 exec_lo, exec_lo, s15
.LBB320_1062:                           ;   in Loop: Header=BB320_552 Depth=1
	s_delay_alu instid0(SALU_CYCLE_1)
	s_or_b32 exec_lo, exec_lo, s13
.LBB320_1063:                           ;   in Loop: Header=BB320_552 Depth=1
	s_delay_alu instid0(SALU_CYCLE_1) | instskip(SKIP_4) | instid1(VALU_DEP_3)
	s_or_b32 exec_lo, exec_lo, s12
	v_lshrrev_b32_e32 v117, 16, v10
	v_mov_b32_e32 v116, 0
	v_mov_b32_e32 v12, 0
	s_mov_b32 s12, exec_lo
	v_and_b32_e32 v0, 0xff, v117
	s_delay_alu instid0(VALU_DEP_1)
	v_cmpx_ne_u16_e32 0, v0
	s_cbranch_execz .LBB320_1071
; %bb.1064:                             ;   in Loop: Header=BB320_552 Depth=1
	v_bfrev_b32_e32 v12, 1
	s_mov_b32 s13, exec_lo
	v_cmpx_ne_u16_e32 0x80, v0
	s_cbranch_execz .LBB320_1070
; %bb.1065:                             ;   in Loop: Header=BB320_552 Depth=1
	v_bfe_u32 v118, v10, 16, 7
	v_mov_b32_e32 v12, 0x7fc02000
	s_mov_b32 s15, exec_lo
	s_delay_alu instid0(VALU_DEP_2)
	v_cmpx_ne_u32_e32 0x7f, v118
	s_cbranch_execz .LBB320_1069
; %bb.1066:                             ;   in Loop: Header=BB320_552 Depth=1
	v_and_b32_e32 v0, 7, v117
	v_lshrrev_b32_e32 v12, 3, v118
	s_mov_b32 s16, exec_lo
	v_cmpx_gt_u32_e32 8, v118
; %bb.1067:                             ;   in Loop: Header=BB320_552 Depth=1
	s_delay_alu instid0(VALU_DEP_3) | instskip(NEXT) | instid1(VALU_DEP_1)
	v_clz_i32_u32_e32 v12, v0
	v_min_u32_e32 v12, 32, v12
	s_delay_alu instid0(VALU_DEP_1) | instskip(SKIP_1) | instid1(VALU_DEP_2)
	v_subrev_nc_u32_e32 v118, 28, v12
	v_sub_nc_u32_e32 v12, 29, v12
	v_lshlrev_b64 v[118:119], v118, v[0:1]
	s_delay_alu instid0(VALU_DEP_1)
	v_and_b32_e32 v0, 7, v118
; %bb.1068:                             ;   in Loop: Header=BB320_552 Depth=1
	s_or_b32 exec_lo, exec_lo, s16
	v_lshlrev_b32_e32 v117, 8, v117
	v_lshl_add_u32 v12, v12, 10, 0x2000
	s_delay_alu instid0(VALU_DEP_1) | instskip(NEXT) | instid1(VALU_DEP_1)
	v_and_or_b32 v12, 0x8000, v117, v12
	v_lshl_or_b32 v0, v0, 7, v12
	s_delay_alu instid0(VALU_DEP_1)
	v_cvt_f32_f16_e32 v12, v0
.LBB320_1069:                           ;   in Loop: Header=BB320_552 Depth=1
	s_or_b32 exec_lo, exec_lo, s15
.LBB320_1070:                           ;   in Loop: Header=BB320_552 Depth=1
	s_delay_alu instid0(SALU_CYCLE_1)
	s_or_b32 exec_lo, exec_lo, s13
.LBB320_1071:                           ;   in Loop: Header=BB320_552 Depth=1
	s_delay_alu instid0(SALU_CYCLE_1) | instskip(NEXT) | instid1(SALU_CYCLE_1)
	s_or_b32 exec_lo, exec_lo, s12
	s_mov_b32 s12, exec_lo
	v_cmpx_lt_u64_e64 s[8:9], v[9:10]
	s_cbranch_execz .LBB320_1079
; %bb.1072:                             ;   in Loop: Header=BB320_552 Depth=1
	v_lshrrev_b32_e32 v9, 24, v10
	v_bfrev_b32_e32 v116, 1
	s_mov_b32 s13, exec_lo
	s_delay_alu instid0(VALU_DEP_2)
	v_cmpx_ne_u32_e32 0x80, v9
	s_cbranch_execz .LBB320_1078
; %bb.1073:                             ;   in Loop: Header=BB320_552 Depth=1
	v_and_b32_e32 v117, 0x7f, v9
	v_mov_b32_e32 v116, 0x7fc02000
	s_mov_b32 s15, exec_lo
	s_delay_alu instid0(VALU_DEP_2)
	v_cmpx_ne_u32_e32 0x7f, v117
	s_cbranch_execz .LBB320_1077
; %bb.1074:                             ;   in Loop: Header=BB320_552 Depth=1
	v_and_b32_e32 v0, 7, v9
	v_lshrrev_b32_e32 v10, 3, v117
	s_mov_b32 s16, exec_lo
	v_cmpx_gt_u32_e32 8, v117
; %bb.1075:                             ;   in Loop: Header=BB320_552 Depth=1
	s_delay_alu instid0(VALU_DEP_3) | instskip(NEXT) | instid1(VALU_DEP_1)
	v_clz_i32_u32_e32 v10, v0
	v_min_u32_e32 v10, 32, v10
	s_delay_alu instid0(VALU_DEP_1) | instskip(SKIP_1) | instid1(VALU_DEP_2)
	v_subrev_nc_u32_e32 v116, 28, v10
	v_sub_nc_u32_e32 v10, 29, v10
	v_lshlrev_b64 v[116:117], v116, v[0:1]
	s_delay_alu instid0(VALU_DEP_1)
	v_and_b32_e32 v0, 7, v116
; %bb.1076:                             ;   in Loop: Header=BB320_552 Depth=1
	s_or_b32 exec_lo, exec_lo, s16
	v_lshlrev_b32_e32 v9, 8, v9
	v_lshl_add_u32 v10, v10, 10, 0x2000
	s_delay_alu instid0(VALU_DEP_1) | instskip(NEXT) | instid1(VALU_DEP_1)
	v_and_or_b32 v9, 0x8000, v9, v10
	v_lshl_or_b32 v0, v0, 7, v9
	s_delay_alu instid0(VALU_DEP_1)
	v_cvt_f32_f16_e32 v116, v0
.LBB320_1077:                           ;   in Loop: Header=BB320_552 Depth=1
	s_or_b32 exec_lo, exec_lo, s15
.LBB320_1078:                           ;   in Loop: Header=BB320_552 Depth=1
	s_delay_alu instid0(SALU_CYCLE_1)
	s_or_b32 exec_lo, exec_lo, s13
.LBB320_1079:                           ;   in Loop: Header=BB320_552 Depth=1
	s_delay_alu instid0(SALU_CYCLE_1)
	s_or_b32 exec_lo, exec_lo, s12
	s_waitcnt vmcnt(0) lgkmcnt(0)
	v_fma_mixlo_f16 v10, v102, v112, 0
	v_fma_mixlo_f16 v0, v102, v114, 0
	v_fma_mixlo_f16 v9, v102, v113, 0
	v_fma_mixlo_f16 v113, v102, v11, 0
	v_fma_mixlo_f16 v114, v102, v116, 0
	v_lshlrev_b32_e32 v112, 16, v10
	v_fma_mixlo_f16 v10, v102, v103, 0
	v_fma_mixlo_f16 v103, v102, v115, 0
	v_fma_mixlo_f16 v11, v102, v12, 0
	v_lshlrev_b32_e32 v0, 16, v0
	v_and_b32_e32 v9, 0xffff, v9
	v_and_b32_e32 v12, 0xffff, v10
	v_lshlrev_b32_e32 v102, 16, v103
	v_and_b32_e32 v103, 0xffff, v113
	v_lshlrev_b32_e32 v113, 16, v114
	v_and_b32_e32 v114, 0xffff, v11
	v_or_b32_e32 v10, v0, v9
	v_or_b32_e32 v12, v112, v12
	;; [unrolled: 1-line block ×3, first 2 shown]
	s_delay_alu instid0(VALU_DEP_4)
	v_or_b32_e32 v9, v113, v114
	s_and_saveexec_b32 s0, vcc_lo
	s_cbranch_execz .LBB320_550
; %bb.1080:                             ;   in Loop: Header=BB320_552 Depth=1
	v_cmp_lt_i32_e32 vcc_lo, v18, v35
	v_lshrrev_b32_e32 v102, 16, v12
	v_lshrrev_b32_e32 v9, 16, v9
	;; [unrolled: 1-line block ×3, first 2 shown]
	v_cndmask_b32_e32 v12, 0, v12, vcc_lo
	v_cmp_lt_i32_e32 vcc_lo, v69, v51
	v_lshrrev_b32_e32 v69, 16, v0
	v_cndmask_b32_e32 v18, 0, v102, vcc_lo
	v_cmp_lt_i32_e32 vcc_lo, v68, v51
	v_cndmask_b32_e32 v68, 0, v103, vcc_lo
	v_cmp_lt_i32_e32 vcc_lo, v67, v35
	;; [unrolled: 2-line block ×3, first 2 shown]
	s_delay_alu instid0(VALU_DEP_2) | instskip(SKIP_4) | instid1(VALU_DEP_2)
	v_perm_b32 v10, v68, v10, 0x5040100
	v_cndmask_b32_e32 v66, 0, v69, vcc_lo
	v_cmp_lt_i32_e32 vcc_lo, v65, v35
	v_cndmask_b32_e32 v0, 0, v0, vcc_lo
	v_cmp_lt_i32_e32 vcc_lo, v54, v51
	v_perm_b32 v0, v66, v0, 0x5040100
	v_cndmask_b32_e32 v9, 0, v9, vcc_lo
	v_cmp_lt_i32_e32 vcc_lo, v19, v35
	v_cndmask_b32_e32 v11, 0, v11, vcc_lo
	v_perm_b32 v12, v18, v12, 0x5040100
	s_delay_alu instid0(VALU_DEP_2)
	v_perm_b32 v9, v9, v11, 0x5040100
	s_branch .LBB320_550
.LBB320_1081:
	s_or_b32 exec_lo, exec_lo, s5
	s_load_b32 s0, s[6:7], 0x0
	s_waitcnt lgkmcnt(0)
	v_mov_b32_e32 v13, s0
.LBB320_1082:
	s_or_b32 exec_lo, exec_lo, s3
	ds_bpermute_b32 v0, v21, v32
	ds_bpermute_b32 v1, v21, v55
	;; [unrolled: 1-line block ×8, first 2 shown]
	v_lshrrev_b32_e32 v10, 1, v20
	v_lshl_add_u32 v11, v48, 9, v13
	v_and_b32_e32 v17, 0x3c1, v34
	s_mov_b32 s0, exec_lo
	s_waitcnt lgkmcnt(0)
	s_waitcnt_vscnt null, 0x0
	s_barrier
	buffer_gl0_inv
	v_dual_add_f32 v9, v32, v0 :: v_dual_add_f32 v8, v55, v1
	v_dual_add_f32 v7, v31, v2 :: v_dual_add_f32 v6, v29, v3
	;; [unrolled: 1-line block ×3, first 2 shown]
	v_add_f32_e32 v1, v24, v15
	v_add_f32_e32 v0, v64, v16
	v_cmpx_eq_u32_e32 64, v17
	s_cbranch_execz .LBB320_1084
; %bb.1083:
	v_lshlrev_b32_e32 v12, 2, v10
	s_delay_alu instid0(VALU_DEP_1)
	v_add3_u32 v12, v11, v12, 0xfffffc00
	ds_store_2addr_b32 v12, v9, v8 offset1:16
	ds_store_2addr_b32 v12, v7, v6 offset0:32 offset1:48
	ds_store_2addr_b32 v12, v3, v2 offset0:64 offset1:80
	ds_store_2addr_b32 v12, v1, v0 offset0:96 offset1:112
.LBB320_1084:
	s_or_b32 exec_lo, exec_lo, s0
	v_cmp_eq_u32_e32 vcc_lo, 0, v36
	s_mov_b32 s3, exec_lo
	s_waitcnt lgkmcnt(0)
	s_barrier
	buffer_gl0_inv
	v_cmpx_gt_u32_e32 64, v34
	s_cbranch_execz .LBB320_1095
; %bb.1085:
	s_and_saveexec_b32 s0, vcc_lo
	s_cbranch_execnz .LBB320_1111
; %bb.1086:
	s_or_b32 exec_lo, exec_lo, s0
	s_and_saveexec_b32 s0, vcc_lo
	s_cbranch_execnz .LBB320_1112
.LBB320_1087:
	s_or_b32 exec_lo, exec_lo, s0
	s_and_saveexec_b32 s0, vcc_lo
	s_cbranch_execnz .LBB320_1113
.LBB320_1088:
	s_or_b32 exec_lo, exec_lo, s0
	s_and_saveexec_b32 s0, vcc_lo
	s_cbranch_execnz .LBB320_1114
.LBB320_1089:
	s_or_b32 exec_lo, exec_lo, s0
	s_and_saveexec_b32 s0, vcc_lo
	s_cbranch_execnz .LBB320_1115
.LBB320_1090:
	s_or_b32 exec_lo, exec_lo, s0
	s_and_saveexec_b32 s0, vcc_lo
	s_cbranch_execnz .LBB320_1116
.LBB320_1091:
	s_or_b32 exec_lo, exec_lo, s0
	s_and_saveexec_b32 s0, vcc_lo
	s_cbranch_execnz .LBB320_1117
.LBB320_1092:
	s_or_b32 exec_lo, exec_lo, s0
	s_and_saveexec_b32 s0, vcc_lo
	s_cbranch_execz .LBB320_1094
.LBB320_1093:
	v_lshl_add_u32 v12, v10, 2, v11
	ds_load_b32 v12, v12 offset:448
	s_waitcnt lgkmcnt(0)
	v_add_f32_e32 v0, v0, v12
.LBB320_1094:
	s_or_b32 exec_lo, exec_lo, s0
.LBB320_1095:
	s_delay_alu instid0(SALU_CYCLE_1)
	s_or_b32 exec_lo, exec_lo, s3
	v_and_b32_e32 v12, 0x3e1, v34
	s_mov_b32 s3, exec_lo
	s_barrier
	buffer_gl0_inv
	v_cmpx_eq_u32_e32 32, v12
	s_cbranch_execz .LBB320_1097
; %bb.1096:
	v_lshl_add_u32 v13, v10, 2, v13
	ds_store_2addr_b32 v13, v9, v8 offset1:16
	ds_store_2addr_b32 v13, v7, v6 offset0:32 offset1:48
	ds_store_2addr_b32 v13, v3, v2 offset0:64 offset1:80
	;; [unrolled: 1-line block ×3, first 2 shown]
.LBB320_1097:
	s_or_b32 exec_lo, exec_lo, s3
	s_delay_alu instid0(SALU_CYCLE_1)
	s_mov_b32 s3, exec_lo
	s_waitcnt lgkmcnt(0)
	s_barrier
	buffer_gl0_inv
	v_cmpx_gt_u32_e32 32, v34
	s_cbranch_execz .LBB320_1108
; %bb.1098:
	v_lshl_add_u32 v10, v10, 2, v11
	s_and_saveexec_b32 s0, vcc_lo
	s_cbranch_execnz .LBB320_1118
; %bb.1099:
	s_or_b32 exec_lo, exec_lo, s0
	s_and_saveexec_b32 s0, vcc_lo
	s_cbranch_execnz .LBB320_1119
.LBB320_1100:
	s_or_b32 exec_lo, exec_lo, s0
	s_and_saveexec_b32 s0, vcc_lo
	s_cbranch_execnz .LBB320_1120
.LBB320_1101:
	s_or_b32 exec_lo, exec_lo, s0
	s_and_saveexec_b32 s0, vcc_lo
	s_cbranch_execnz .LBB320_1121
.LBB320_1102:
	s_or_b32 exec_lo, exec_lo, s0
	s_and_saveexec_b32 s0, vcc_lo
	s_cbranch_execnz .LBB320_1122
.LBB320_1103:
	s_or_b32 exec_lo, exec_lo, s0
	s_and_saveexec_b32 s0, vcc_lo
	s_cbranch_execnz .LBB320_1123
.LBB320_1104:
	s_or_b32 exec_lo, exec_lo, s0
	s_and_saveexec_b32 s0, vcc_lo
	s_cbranch_execnz .LBB320_1124
.LBB320_1105:
	s_or_b32 exec_lo, exec_lo, s0
	s_and_saveexec_b32 s0, vcc_lo
	s_cbranch_execz .LBB320_1107
.LBB320_1106:
	ds_load_b32 v10, v10 offset:448
	s_waitcnt lgkmcnt(0)
	v_add_f32_e32 v0, v0, v10
.LBB320_1107:
	s_or_b32 exec_lo, exec_lo, s0
.LBB320_1108:
	s_delay_alu instid0(SALU_CYCLE_1)
	s_or_b32 exec_lo, exec_lo, s3
	v_cmp_eq_u32_e32 vcc_lo, 0, v12
	s_barrier
	buffer_gl0_inv
	s_and_b32 exec_lo, exec_lo, vcc_lo
	s_cbranch_execz .LBB320_1110
; %bb.1109:
	s_lshl_b32 s0, s2, 7
	s_mul_i32 s2, s4, s1
	s_lshl_b32 s4, s14, 7
	s_ashr_i32 s3, s2, 31
	s_ashr_i32 s5, s4, 31
	;; [unrolled: 1-line block ×3, first 2 shown]
	s_lshl_b64 s[2:3], s[2:3], 1
	s_lshl_b64 s[4:5], s[4:5], 1
	;; [unrolled: 1-line block ×3, first 2 shown]
	s_add_u32 s2, s4, s2
	s_addc_u32 s3, s5, s3
	s_add_u32 s0, s2, s0
	s_addc_u32 s1, s3, s1
	v_lshlrev_b32_e32 v10, 1, v33
	v_add_co_u32 v4, vcc_lo, s0, v4
	v_add_co_ci_u32_e32 v5, vcc_lo, s1, v5, vcc_lo
	;;#ASMSTART
	v_cvt_f16_f32 v9, v9;

	;;#ASMEND
	s_delay_alu instid0(VALU_DEP_2) | instskip(NEXT) | instid1(VALU_DEP_2)
	v_add_co_u32 v4, vcc_lo, v4, v10
	v_add_co_ci_u32_e32 v5, vcc_lo, 0, v5, vcc_lo
	flat_store_b16 v[4:5], v9
	;;#ASMSTART
	v_cvt_f16_f32 v8, v8;

	;;#ASMEND
	flat_store_b16 v[4:5], v8 offset:32
	;;#ASMSTART
	v_cvt_f16_f32 v7, v7;

	;;#ASMEND
	flat_store_b16 v[4:5], v7 offset:64
	;; [unrolled: 5-line block ×7, first 2 shown]
.LBB320_1110:
	s_or_b32 exec_lo, exec_lo, s11
	s_clause 0xf
	scratch_load_b32 v63, off, s32 offset:8
	scratch_load_b32 v62, off, s32 offset:12
	scratch_load_b32 v61, off, s32 offset:16
	scratch_load_b32 v60, off, s32 offset:20
	scratch_load_b32 v59, off, s32 offset:24
	scratch_load_b32 v58, off, s32 offset:28
	scratch_load_b32 v57, off, s32 offset:32
	scratch_load_b32 v56, off, s32 offset:36
	scratch_load_b32 v47, off, s32 offset:40
	scratch_load_b32 v46, off, s32 offset:44
	scratch_load_b32 v45, off, s32 offset:48
	scratch_load_b32 v44, off, s32 offset:52
	scratch_load_b32 v43, off, s32 offset:56
	scratch_load_b32 v42, off, s32 offset:60
	scratch_load_b32 v41, off, s32 offset:64
	scratch_load_b32 v40, off, s32 offset:68
	s_waitcnt vmcnt(0) lgkmcnt(0)
	s_setpc_b64 s[30:31]
.LBB320_1111:
	v_lshl_add_u32 v12, v10, 2, v11
	ds_load_b32 v12, v12
	s_waitcnt lgkmcnt(0)
	v_add_f32_e32 v9, v9, v12
	s_or_b32 exec_lo, exec_lo, s0
	s_and_saveexec_b32 s0, vcc_lo
	s_cbranch_execz .LBB320_1087
.LBB320_1112:
	v_lshl_add_u32 v12, v10, 2, v11
	ds_load_b32 v12, v12 offset:64
	s_waitcnt lgkmcnt(0)
	v_add_f32_e32 v8, v8, v12
	s_or_b32 exec_lo, exec_lo, s0
	s_and_saveexec_b32 s0, vcc_lo
	s_cbranch_execz .LBB320_1088
.LBB320_1113:
	v_lshl_add_u32 v12, v10, 2, v11
	ds_load_b32 v12, v12 offset:128
	s_waitcnt lgkmcnt(0)
	v_add_f32_e32 v7, v7, v12
	s_or_b32 exec_lo, exec_lo, s0
	s_and_saveexec_b32 s0, vcc_lo
	s_cbranch_execz .LBB320_1089
.LBB320_1114:
	v_lshl_add_u32 v12, v10, 2, v11
	ds_load_b32 v12, v12 offset:192
	s_waitcnt lgkmcnt(0)
	v_add_f32_e32 v6, v6, v12
	s_or_b32 exec_lo, exec_lo, s0
	s_and_saveexec_b32 s0, vcc_lo
	s_cbranch_execz .LBB320_1090
.LBB320_1115:
	v_lshl_add_u32 v12, v10, 2, v11
	ds_load_b32 v12, v12 offset:256
	s_waitcnt lgkmcnt(0)
	v_add_f32_e32 v3, v3, v12
	s_or_b32 exec_lo, exec_lo, s0
	s_and_saveexec_b32 s0, vcc_lo
	s_cbranch_execz .LBB320_1091
.LBB320_1116:
	v_lshl_add_u32 v12, v10, 2, v11
	ds_load_b32 v12, v12 offset:320
	s_waitcnt lgkmcnt(0)
	v_add_f32_e32 v2, v2, v12
	s_or_b32 exec_lo, exec_lo, s0
	s_and_saveexec_b32 s0, vcc_lo
	s_cbranch_execz .LBB320_1092
.LBB320_1117:
	v_lshl_add_u32 v12, v10, 2, v11
	ds_load_b32 v12, v12 offset:384
	s_waitcnt lgkmcnt(0)
	v_add_f32_e32 v1, v1, v12
	s_or_b32 exec_lo, exec_lo, s0
	s_and_saveexec_b32 s0, vcc_lo
	s_cbranch_execnz .LBB320_1093
	s_branch .LBB320_1094
.LBB320_1118:
	ds_load_b32 v11, v10
	s_waitcnt lgkmcnt(0)
	v_add_f32_e32 v9, v9, v11
	s_or_b32 exec_lo, exec_lo, s0
	s_and_saveexec_b32 s0, vcc_lo
	s_cbranch_execz .LBB320_1100
.LBB320_1119:
	ds_load_b32 v11, v10 offset:64
	s_waitcnt lgkmcnt(0)
	v_add_f32_e32 v8, v8, v11
	s_or_b32 exec_lo, exec_lo, s0
	s_and_saveexec_b32 s0, vcc_lo
	s_cbranch_execz .LBB320_1101
.LBB320_1120:
	ds_load_b32 v11, v10 offset:128
	s_waitcnt lgkmcnt(0)
	v_add_f32_e32 v7, v7, v11
	s_or_b32 exec_lo, exec_lo, s0
	s_and_saveexec_b32 s0, vcc_lo
	s_cbranch_execz .LBB320_1102
.LBB320_1121:
	ds_load_b32 v11, v10 offset:192
	s_waitcnt lgkmcnt(0)
	v_add_f32_e32 v6, v6, v11
	s_or_b32 exec_lo, exec_lo, s0
	s_and_saveexec_b32 s0, vcc_lo
	s_cbranch_execz .LBB320_1103
.LBB320_1122:
	ds_load_b32 v11, v10 offset:256
	s_waitcnt lgkmcnt(0)
	v_add_f32_e32 v3, v3, v11
	s_or_b32 exec_lo, exec_lo, s0
	s_and_saveexec_b32 s0, vcc_lo
	s_cbranch_execz .LBB320_1104
.LBB320_1123:
	ds_load_b32 v11, v10 offset:320
	s_waitcnt lgkmcnt(0)
	v_add_f32_e32 v2, v2, v11
	s_or_b32 exec_lo, exec_lo, s0
	s_and_saveexec_b32 s0, vcc_lo
	s_cbranch_execz .LBB320_1105
.LBB320_1124:
	ds_load_b32 v11, v10 offset:384
	s_waitcnt lgkmcnt(0)
	v_add_f32_e32 v1, v1, v11
	s_or_b32 exec_lo, exec_lo, s0
	s_and_saveexec_b32 s0, vcc_lo
	s_cbranch_execnz .LBB320_1106
	s_branch .LBB320_1107
.Lfunc_end320:
	.size	_ZN4vllm22paged_attention_kernelIthLi128ELi16ELi128ELNS_18Fp8KVCacheDataTypeE1ELb1ELi512EEEvPfS2_PT_PKS3_PKT0_S9_ifPKiSB_iPKfiiiSD_SD_iiiii, .Lfunc_end320-_ZN4vllm22paged_attention_kernelIthLi128ELi16ELi128ELNS_18Fp8KVCacheDataTypeE1ELb1ELi512EEEvPfS2_PT_PKS3_PKT0_S9_ifPKiSB_iPKfiiiSD_SD_iiiii
                                        ; -- End function
	.section	.AMDGPU.csdata,"",@progbits
; Function info:
; codeLenInByte = 42832
; NumSgprs: 35
; NumVgprs: 184
; ScratchSize: 76
; MemoryBound: 0
	.section	.text._ZN4vllm25paged_attention_v2_kernelIthLi128ELi16ELi128ELNS_18Fp8KVCacheDataTypeE1ELb1ELi512EEEvPfS2_PT_PKS3_PKT0_S9_ifPKiSB_iPKfiiiSD_SD_iiiii,"axG",@progbits,_ZN4vllm25paged_attention_v2_kernelIthLi128ELi16ELi128ELNS_18Fp8KVCacheDataTypeE1ELb1ELi512EEEvPfS2_PT_PKS3_PKT0_S9_ifPKiSB_iPKfiiiSD_SD_iiiii,comdat
	.protected	_ZN4vllm25paged_attention_v2_kernelIthLi128ELi16ELi128ELNS_18Fp8KVCacheDataTypeE1ELb1ELi512EEEvPfS2_PT_PKS3_PKT0_S9_ifPKiSB_iPKfiiiSD_SD_iiiii ; -- Begin function _ZN4vllm25paged_attention_v2_kernelIthLi128ELi16ELi128ELNS_18Fp8KVCacheDataTypeE1ELb1ELi512EEEvPfS2_PT_PKS3_PKT0_S9_ifPKiSB_iPKfiiiSD_SD_iiiii
	.globl	_ZN4vllm25paged_attention_v2_kernelIthLi128ELi16ELi128ELNS_18Fp8KVCacheDataTypeE1ELb1ELi512EEEvPfS2_PT_PKS3_PKT0_S9_ifPKiSB_iPKfiiiSD_SD_iiiii
	.p2align	8
	.type	_ZN4vllm25paged_attention_v2_kernelIthLi128ELi16ELi128ELNS_18Fp8KVCacheDataTypeE1ELb1ELi512EEEvPfS2_PT_PKS3_PKT0_S9_ifPKiSB_iPKfiiiSD_SD_iiiii,@function
_ZN4vllm25paged_attention_v2_kernelIthLi128ELi16ELi128ELNS_18Fp8KVCacheDataTypeE1ELb1ELi512EEEvPfS2_PT_PKS3_PKT0_S9_ifPKiSB_iPKfiiiSD_SD_iiiii: ; @_ZN4vllm25paged_attention_v2_kernelIthLi128ELi16ELi128ELNS_18Fp8KVCacheDataTypeE1ELb1ELi512EEEvPfS2_PT_PKS3_PKT0_S9_ifPKiSB_iPKfiiiSD_SD_iiiii
; %bb.0:
	s_mov_b32 s12, s13
	s_clause 0x7
	s_load_b128 s[4:7], s[0:1], 0x78
	s_load_b32 s8, s[0:1], 0x88
	s_load_b256 s[24:31], s[0:1], 0x0
	s_load_b256 s[36:43], s[0:1], 0x20
	s_load_b64 s[2:3], s[0:1], 0x40
	s_load_b64 s[10:11], s[0:1], 0x50
	s_load_b32 s13, s[0:1], 0x48
	s_load_b256 s[16:23], s[0:1], 0x58
	s_mov_b32 s32, 0
	v_mov_b32_e32 v31, v0
	s_waitcnt lgkmcnt(0)
	v_dual_mov_b32 v1, s7 :: v_dual_mov_b32 v2, s8
	v_dual_mov_b32 v0, s24 :: v_dual_mov_b32 v3, s27
	;; [unrolled: 1-line block ×3, first 2 shown]
	v_mov_b32_e32 v6, s30
	scratch_store_b64 off, v[1:2], s32
	v_dual_mov_b32 v1, s25 :: v_dual_mov_b32 v2, s26
	v_dual_mov_b32 v7, s31 :: v_dual_mov_b32 v8, s36
	;; [unrolled: 1-line block ×13, first 2 shown]
	s_add_u32 s8, s0, 0x90
	s_addc_u32 s9, s1, 0
	s_mov_b32 s13, s14
	s_mov_b32 s14, s15
	s_movk_i32 s15, 0x5c
	s_getpc_b64 s[0:1]
	s_add_u32 s0, s0, _ZN4vllm22paged_attention_kernelIthLi128ELi16ELi128ELNS_18Fp8KVCacheDataTypeE1ELb1ELi512EEEvPfS2_PT_PKS3_PKT0_S9_ifPKiSB_iPKfiiiSD_SD_iiiii@rel32@lo+4
	s_addc_u32 s1, s1, _ZN4vllm22paged_attention_kernelIthLi128ELi16ELi128ELNS_18Fp8KVCacheDataTypeE1ELb1ELi512EEEvPfS2_PT_PKS3_PKT0_S9_ifPKiSB_iPKfiiiSD_SD_iiiii@rel32@hi+12
	s_delay_alu instid0(SALU_CYCLE_1)
	s_swappc_b64 s[30:31], s[0:1]
	s_endpgm
	.section	.rodata,"a",@progbits
	.p2align	6, 0x0
	.amdhsa_kernel _ZN4vllm25paged_attention_v2_kernelIthLi128ELi16ELi128ELNS_18Fp8KVCacheDataTypeE1ELb1ELi512EEEvPfS2_PT_PKS3_PKT0_S9_ifPKiSB_iPKfiiiSD_SD_iiiii
		.amdhsa_group_segment_fixed_size 288
		.amdhsa_private_segment_fixed_size 76
		.amdhsa_kernarg_size 400
		.amdhsa_user_sgpr_count 13
		.amdhsa_user_sgpr_dispatch_ptr 0
		.amdhsa_user_sgpr_queue_ptr 0
		.amdhsa_user_sgpr_kernarg_segment_ptr 1
		.amdhsa_user_sgpr_dispatch_id 0
		.amdhsa_user_sgpr_private_segment_size 0
		.amdhsa_wavefront_size32 1
		.amdhsa_uses_dynamic_stack 0
		.amdhsa_enable_private_segment 1
		.amdhsa_system_sgpr_workgroup_id_x 1
		.amdhsa_system_sgpr_workgroup_id_y 1
		.amdhsa_system_sgpr_workgroup_id_z 1
		.amdhsa_system_sgpr_workgroup_info 0
		.amdhsa_system_vgpr_workitem_id 0
		.amdhsa_next_free_vgpr 184
		.amdhsa_next_free_sgpr 44
		.amdhsa_reserve_vcc 1
		.amdhsa_float_round_mode_32 0
		.amdhsa_float_round_mode_16_64 0
		.amdhsa_float_denorm_mode_32 3
		.amdhsa_float_denorm_mode_16_64 3
		.amdhsa_dx10_clamp 1
		.amdhsa_ieee_mode 1
		.amdhsa_fp16_overflow 0
		.amdhsa_workgroup_processor_mode 1
		.amdhsa_memory_ordered 1
		.amdhsa_forward_progress 0
		.amdhsa_shared_vgpr_count 0
		.amdhsa_exception_fp_ieee_invalid_op 0
		.amdhsa_exception_fp_denorm_src 0
		.amdhsa_exception_fp_ieee_div_zero 0
		.amdhsa_exception_fp_ieee_overflow 0
		.amdhsa_exception_fp_ieee_underflow 0
		.amdhsa_exception_fp_ieee_inexact 0
		.amdhsa_exception_int_div_zero 0
	.end_amdhsa_kernel
	.section	.text._ZN4vllm25paged_attention_v2_kernelIthLi128ELi16ELi128ELNS_18Fp8KVCacheDataTypeE1ELb1ELi512EEEvPfS2_PT_PKS3_PKT0_S9_ifPKiSB_iPKfiiiSD_SD_iiiii,"axG",@progbits,_ZN4vllm25paged_attention_v2_kernelIthLi128ELi16ELi128ELNS_18Fp8KVCacheDataTypeE1ELb1ELi512EEEvPfS2_PT_PKS3_PKT0_S9_ifPKiSB_iPKfiiiSD_SD_iiiii,comdat
.Lfunc_end321:
	.size	_ZN4vllm25paged_attention_v2_kernelIthLi128ELi16ELi128ELNS_18Fp8KVCacheDataTypeE1ELb1ELi512EEEvPfS2_PT_PKS3_PKT0_S9_ifPKiSB_iPKfiiiSD_SD_iiiii, .Lfunc_end321-_ZN4vllm25paged_attention_v2_kernelIthLi128ELi16ELi128ELNS_18Fp8KVCacheDataTypeE1ELb1ELi512EEEvPfS2_PT_PKS3_PKT0_S9_ifPKiSB_iPKfiiiSD_SD_iiiii
                                        ; -- End function
	.section	.AMDGPU.csdata,"",@progbits
; Kernel info:
; codeLenInByte = 280
; NumSgprs: 46
; NumVgprs: 184
; ScratchSize: 76
; MemoryBound: 0
; FloatMode: 240
; IeeeMode: 1
; LDSByteSize: 288 bytes/workgroup (compile time only)
; SGPRBlocks: 5
; VGPRBlocks: 22
; NumSGPRsForWavesPerEU: 46
; NumVGPRsForWavesPerEU: 184
; Occupancy: 8
; WaveLimiterHint : 1
; COMPUTE_PGM_RSRC2:SCRATCH_EN: 1
; COMPUTE_PGM_RSRC2:USER_SGPR: 13
; COMPUTE_PGM_RSRC2:TRAP_HANDLER: 0
; COMPUTE_PGM_RSRC2:TGID_X_EN: 1
; COMPUTE_PGM_RSRC2:TGID_Y_EN: 1
; COMPUTE_PGM_RSRC2:TGID_Z_EN: 1
; COMPUTE_PGM_RSRC2:TIDIG_COMP_CNT: 0
	.text
	.p2align	2                               ; -- Begin function _ZN4vllm22paged_attention_kernelIthLi192ELi16ELi128ELNS_18Fp8KVCacheDataTypeE1ELb1ELi512EEEvPfS2_PT_PKS3_PKT0_S9_ifPKiSB_iPKfiiiSD_SD_iiiii
	.type	_ZN4vllm22paged_attention_kernelIthLi192ELi16ELi128ELNS_18Fp8KVCacheDataTypeE1ELb1ELi512EEEvPfS2_PT_PKS3_PKT0_S9_ifPKiSB_iPKfiiiSD_SD_iiiii,@function
_ZN4vllm22paged_attention_kernelIthLi192ELi16ELi128ELNS_18Fp8KVCacheDataTypeE1ELb1ELi512EEEvPfS2_PT_PKS3_PKT0_S9_ifPKiSB_iPKfiiiSD_SD_iiiii: ; @_ZN4vllm22paged_attention_kernelIthLi192ELi16ELi128ELNS_18Fp8KVCacheDataTypeE1ELb1ELi512EEEvPfS2_PT_PKS3_PKT0_S9_ifPKiSB_iPKfiiiSD_SD_iiiii
; %bb.0:
	s_waitcnt vmcnt(0) expcnt(0) lgkmcnt(0)
	s_clause 0x1f
	scratch_store_b32 off, v40, s32 offset:196
	; meta instruction
	scratch_store_b32 off, v41, s32 offset:192
	; meta instruction
	;; [unrolled: 2-line block ×31, first 2 shown]
	scratch_store_b32 off, v95, s32 offset:72
	s_clause 0xf
	scratch_store_b32 off, v104, s32 offset:68
	; meta instruction
	scratch_store_b32 off, v105, s32 offset:64
	; meta instruction
	scratch_store_b32 off, v106, s32 offset:60
	; meta instruction
	scratch_store_b32 off, v107, s32 offset:56
	; meta instruction
	scratch_store_b32 off, v108, s32 offset:52
	; meta instruction
	scratch_store_b32 off, v109, s32 offset:48
	; meta instruction
	scratch_store_b32 off, v110, s32 offset:44
	; meta instruction
	scratch_store_b32 off, v111, s32 offset:40
	; meta instruction
	scratch_store_b32 off, v120, s32 offset:36
	; meta instruction
	scratch_store_b32 off, v121, s32 offset:32
	; meta instruction
	scratch_store_b32 off, v122, s32 offset:28
	; meta instruction
	scratch_store_b32 off, v123, s32 offset:24
	; meta instruction
	scratch_store_b32 off, v124, s32 offset:20
	; meta instruction
	scratch_store_b32 off, v125, s32 offset:16
	; meta instruction
	scratch_store_b32 off, v126, s32 offset:12
	; meta instruction
	scratch_store_b32 off, v127, s32 offset:8
	s_mov_b32 s10, s13
	s_ashr_i32 s11, s13, 31
	s_lshl_b32 s16, s14, 9
	s_lshl_b64 s[0:1], s[10:11], 2
	s_mov_b32 s11, exec_lo
	v_add_co_u32 v16, vcc_lo, v16, s0
	v_add_co_ci_u32_e32 v17, vcc_lo, s1, v17, vcc_lo
	flat_load_b32 v37, v[16:17]
	s_clause 0x1
	scratch_load_b32 v32, off, s32 offset:4
	scratch_load_b32 v33, off, s32
	s_waitcnt vmcnt(2) lgkmcnt(0)
	v_cmpx_lt_i32_e64 s16, v37
	s_cbranch_execz .LBB322_1638
; %bb.1:
	v_sub_nc_u32_e32 v16, 0, v12
	s_clause 0x1
	s_load_b32 s0, s[8:9], 0x10
	s_load_b32 s1, s[8:9], 0x0
	s_mov_b32 s6, s15
	v_mov_b32_e32 v65, 0
	v_max_i32_e32 v16, v12, v16
	s_delay_alu instid0(VALU_DEP_1) | instskip(SKIP_1) | instid1(VALU_DEP_2)
	v_cvt_f32_u32_e32 v17, v16
	v_sub_nc_u32_e32 v34, 0, v16
	v_rcp_iflag_f32_e32 v17, v17
	s_waitcnt lgkmcnt(0)
	s_lshr_b32 s0, s0, 16
	s_delay_alu instid0(SALU_CYCLE_1) | instskip(SKIP_3) | instid1(SALU_CYCLE_1)
	s_cmp_lg_u32 s0, 0
	s_waitcnt_depctr 0xfff
	v_mul_f32_e32 v17, 0x4f7ffffe, v17
	s_cselect_b32 s0, -1, 0
	s_cmp_lg_u32 s0, 0
	s_delay_alu instid0(VALU_DEP_1) | instskip(SKIP_3) | instid1(VALU_DEP_1)
	v_cvt_u32_f32_e32 v17, v17
	s_addc_u32 s15, s1, 0
	s_mov_b32 s1, exec_lo
	s_abs_i32 s0, s15
	v_mul_lo_u32 v34, v34, v17
	s_delay_alu instid0(VALU_DEP_1) | instskip(NEXT) | instid1(VALU_DEP_1)
	v_mul_hi_u32 v34, v17, v34
	v_add_nc_u32_e32 v17, v17, v34
	s_delay_alu instid0(VALU_DEP_1) | instskip(NEXT) | instid1(VALU_DEP_1)
	v_mul_hi_u32 v17, s0, v17
	v_mul_lo_u32 v34, v17, v16
	v_add_nc_u32_e32 v35, 1, v17
	s_delay_alu instid0(VALU_DEP_2) | instskip(SKIP_1) | instid1(VALU_DEP_1)
	v_sub_nc_u32_e32 v34, s0, v34
	s_abs_i32 s0, s12
	v_sub_nc_u32_e32 v36, v34, v16
	v_cmp_ge_u32_e32 vcc_lo, v34, v16
	s_delay_alu instid0(VALU_DEP_2) | instskip(SKIP_1) | instid1(VALU_DEP_2)
	v_dual_cndmask_b32 v17, v17, v35 :: v_dual_cndmask_b32 v34, v34, v36
	v_xor_b32_e32 v35, s15, v12
	v_add_nc_u32_e32 v36, 1, v17
	s_delay_alu instid0(VALU_DEP_3) | instskip(NEXT) | instid1(VALU_DEP_3)
	v_cmp_ge_u32_e32 vcc_lo, v34, v16
	v_ashrrev_i32_e32 v35, 31, v35
	s_delay_alu instid0(VALU_DEP_3) | instskip(NEXT) | instid1(VALU_DEP_1)
	v_cndmask_b32_e32 v16, v17, v36, vcc_lo
	v_xor_b32_e32 v16, v16, v35
	s_delay_alu instid0(VALU_DEP_1) | instskip(NEXT) | instid1(VALU_DEP_1)
	v_sub_nc_u32_e32 v35, v16, v35
	v_sub_nc_u32_e32 v16, 0, v35
	s_delay_alu instid0(VALU_DEP_1) | instskip(NEXT) | instid1(VALU_DEP_1)
	v_max_i32_e32 v34, v35, v16
	v_cvt_f32_u32_e32 v16, v34
	v_sub_nc_u32_e32 v17, 0, v34
	s_delay_alu instid0(VALU_DEP_2) | instskip(SKIP_2) | instid1(VALU_DEP_1)
	v_rcp_iflag_f32_e32 v16, v16
	s_waitcnt_depctr 0xfff
	v_mul_f32_e32 v16, 0x4f7ffffe, v16
	v_cvt_u32_f32_e32 v16, v16
	s_delay_alu instid0(VALU_DEP_1) | instskip(NEXT) | instid1(VALU_DEP_1)
	v_mul_lo_u32 v17, v17, v16
	v_mul_hi_u32 v17, v16, v17
	s_delay_alu instid0(VALU_DEP_1) | instskip(NEXT) | instid1(VALU_DEP_1)
	v_add_nc_u32_e32 v36, v16, v17
	v_mad_u64_u32 v[16:17], null, s0, v36, 0
	v_cmpx_ne_u64_e32 0, v[19:20]
	s_cbranch_execz .LBB322_3
; %bb.2:
	s_ashr_i32 s13, s12, 31
	s_delay_alu instid0(SALU_CYCLE_1) | instskip(NEXT) | instid1(SALU_CYCLE_1)
	s_lshl_b64 s[2:3], s[12:13], 2
	v_add_co_u32 v19, vcc_lo, v19, s2
	v_add_co_ci_u32_e32 v20, vcc_lo, s3, v20, vcc_lo
	flat_load_b32 v65, v[19:20]
.LBB322_3:
	s_or_b32 exec_lo, exec_lo, s1
	v_and_b32_e32 v36, 0x3ff, v31
	v_ashrrev_i32_e32 v16, 31, v35
	s_ashr_i32 s1, s12, 31
	s_mul_i32 s4, s12, 0xc0
	s_mov_b32 s2, exec_lo
	v_lshrrev_b32_e32 v35, 1, v36
	v_and_b32_e32 v38, 1, v36
	v_lshlrev_b32_e32 v53, 3, v36
	v_cmpx_gt_u32_e32 48, v36
	s_cbranch_execz .LBB322_5
; %bb.4:
	v_mul_lo_u32 v19, s10, v21
	s_ashr_i32 s5, s4, 31
	s_delay_alu instid0(SALU_CYCLE_1) | instskip(NEXT) | instid1(VALU_DEP_1)
	s_lshl_b64 s[18:19], s[4:5], 1
	v_ashrrev_i32_e32 v20, 31, v19
	s_delay_alu instid0(VALU_DEP_1) | instskip(NEXT) | instid1(VALU_DEP_1)
	v_lshlrev_b64 v[19:20], 1, v[19:20]
	v_add_co_u32 v6, vcc_lo, v6, v19
	s_delay_alu instid0(VALU_DEP_2) | instskip(SKIP_1) | instid1(VALU_DEP_3)
	v_add_co_ci_u32_e32 v7, vcc_lo, v7, v20, vcc_lo
	v_lshlrev_b32_e32 v19, 3, v35
	v_add_co_u32 v6, vcc_lo, v6, s18
	s_delay_alu instid0(VALU_DEP_3) | instskip(NEXT) | instid1(VALU_DEP_3)
	v_add_co_ci_u32_e32 v7, vcc_lo, s19, v7, vcc_lo
	v_mad_u32_u24 v19, 0xc0, v38, v19
	s_delay_alu instid0(VALU_DEP_3) | instskip(NEXT) | instid1(VALU_DEP_3)
	v_add_co_u32 v6, vcc_lo, v6, v53
	v_add_co_ci_u32_e32 v7, vcc_lo, 0, v7, vcc_lo
	flat_load_b64 v[6:7], v[6:7]
	s_waitcnt vmcnt(0) lgkmcnt(0)
	ds_store_b64 v19, v[6:7]
.LBB322_5:
	s_or_b32 exec_lo, exec_lo, s2
	s_waitcnt vmcnt(0)
	v_sub_nc_u32_e32 v6, 0, v33
	v_mul_lo_u32 v7, v17, v34
	v_add_nc_u32_e32 v20, 1, v17
	v_xor_b32_e32 v49, s1, v16
	s_waitcnt lgkmcnt(0)
	s_waitcnt_vscnt null, 0x0
	v_max_i32_e32 v39, v33, v6
	s_barrier
	buffer_gl0_inv
	v_sub_nc_u32_e32 v19, s0, v7
	v_cvt_f32_u32_e32 v6, v39
	v_sub_nc_u32_e32 v7, 0, v39
	s_mov_b32 s0, exec_lo
	s_delay_alu instid0(VALU_DEP_3) | instskip(NEXT) | instid1(VALU_DEP_3)
	v_cmp_ge_u32_e32 vcc_lo, v19, v34
	v_rcp_iflag_f32_e32 v6, v6
	v_sub_nc_u32_e32 v21, v19, v34
	v_cndmask_b32_e32 v17, v17, v20, vcc_lo
	s_delay_alu instid0(VALU_DEP_2) | instskip(NEXT) | instid1(VALU_DEP_2)
	v_cndmask_b32_e32 v19, v19, v21, vcc_lo
	v_add_nc_u32_e32 v20, 1, v17
	s_waitcnt_depctr 0xfff
	v_mul_f32_e32 v6, 0x4f7ffffe, v6
	v_cmp_ge_u32_e32 vcc_lo, v19, v34
	s_delay_alu instid0(VALU_DEP_2) | instskip(SKIP_1) | instid1(VALU_DEP_2)
	v_cvt_u32_f32_e32 v6, v6
	v_cndmask_b32_e32 v16, v17, v20, vcc_lo
	v_mul_lo_u32 v31, v7, v6
	v_add_nc_u32_e32 v7, -1, v37
	s_delay_alu instid0(VALU_DEP_2) | instskip(NEXT) | instid1(VALU_DEP_2)
	v_mul_hi_u32 v21, v6, v31
	v_sub_nc_u32_e32 v31, 0, v7
	s_delay_alu instid0(VALU_DEP_1) | instskip(NEXT) | instid1(VALU_DEP_3)
	v_max_i32_e32 v19, v7, v31
	v_add_nc_u32_e32 v48, v6, v21
	v_xor_b32_e32 v6, v16, v49
	s_delay_alu instid0(VALU_DEP_2) | instskip(NEXT) | instid1(VALU_DEP_2)
	v_mad_u64_u32 v[16:17], null, v19, v48, 0
	v_sub_nc_u32_e32 v16, v6, v49
                                        ; implicit-def: $vgpr6
	v_cmpx_gt_i32_e32 0, v32
	s_xor_b32 s0, exec_lo, s0
; %bb.6:
	s_delay_alu instid0(VALU_DEP_2) | instskip(NEXT) | instid1(VALU_DEP_1)
	v_mad_u64_u32 v[20:21], null, v28, v12, v[16:17]
                                        ; implicit-def: $vgpr28
	v_mul_lo_u32 v6, v20, v32
                                        ; implicit-def: $vgpr32
	s_delay_alu instid0(VALU_DEP_1)
	v_sub_nc_u32_e32 v6, 1, v6
; %bb.7:
	s_or_saveexec_b32 s0, s0
	v_ashrrev_i32_e32 v12, 31, v7
	v_ashrrev_i32_e32 v50, 31, v33
	s_xor_b32 exec_lo, exec_lo, s0
; %bb.8:
	v_mad_u64_u32 v[20:21], null, s15, v28, s[12:13]
	s_delay_alu instid0(VALU_DEP_1)
	v_mad_u64_u32 v[6:7], null, v20, v32, 1
; %bb.9:
	s_or_b32 exec_lo, exec_lo, s0
	v_mul_lo_u32 v7, v17, v39
	v_xor_b32_e32 v31, v12, v50
	s_clause 0x1
	s_load_b32 s17, s[8:9], 0x14
	s_load_b32 s5, s[8:9], 0x8
	v_mul_lo_u32 v18, s10, v18
	v_lshrrev_b32_e32 v49, 5, v36
	s_lshl_b32 s13, s14, 5
	v_sub_nc_u32_e32 v55, 0, v30
	s_add_i32 s0, s13, 32
	v_sub_nc_u32_e32 v7, v19, v7
	v_add_nc_u32_e32 v19, 1, v17
	v_mbcnt_lo_u32_b32 v66, -1, 0
	s_delay_alu instid0(VALU_DEP_3) | instskip(SKIP_1) | instid1(VALU_DEP_4)
	v_sub_nc_u32_e32 v28, v7, v39
	v_cmp_ge_u32_e32 vcc_lo, v7, v39
	v_dual_cndmask_b32 v17, v17, v19 :: v_dual_add_nc_u32 v20, 15, v37
	s_delay_alu instid0(VALU_DEP_1) | instskip(NEXT) | instid1(VALU_DEP_4)
	v_ashrrev_i32_e32 v21, 31, v20
	v_cndmask_b32_e32 v7, v7, v28, vcc_lo
	s_delay_alu instid0(VALU_DEP_3) | instskip(NEXT) | instid1(VALU_DEP_3)
	v_add_nc_u32_e32 v19, 1, v17
	v_lshrrev_b32_e32 v12, 28, v21
	s_delay_alu instid0(VALU_DEP_3) | instskip(NEXT) | instid1(VALU_DEP_2)
	v_cmp_ge_u32_e32 vcc_lo, v7, v39
	v_dual_mov_b32 v67, 0xff7fffff :: v_dual_add_nc_u32 v20, v20, v12
	s_delay_alu instid0(VALU_DEP_4)
	v_cndmask_b32_e32 v7, v17, v19, vcc_lo
	v_mul_lo_u32 v12, v16, v23
	v_ashrrev_i32_e32 v19, 31, v18
	v_or_b32_e32 v16, s13, v49
	v_ashrrev_i32_e32 v54, 4, v20
	v_xor_b32_e32 v7, v7, v31
	v_lshl_add_u32 v23, v49, 4, s16
	v_lshlrev_b64 v[18:19], 2, v[18:19]
	v_ashrrev_i32_e32 v17, 31, v16
	v_min_i32_e32 v51, s0, v54
	v_sub_nc_u32_e32 v7, v7, v31
	v_ashrrev_i32_e32 v64, 31, v12
	s_delay_alu instid0(VALU_DEP_3) | instskip(NEXT) | instid1(VALU_DEP_3)
	v_cmp_lt_i32_e64 s0, v16, v51
	v_sub_nc_u32_e32 v52, v7, v29
	s_delay_alu instid0(VALU_DEP_2)
	s_and_saveexec_b32 s18, s0
	s_cbranch_execz .LBB322_787
; %bb.10:
	v_max_i32_e32 v68, v30, v55
	v_bfe_u32 v69, v36, 1, 4
	s_ashr_i32 s7, s6, 31
	s_getpc_b64 s[2:3]
	s_add_u32 s2, s2, llvm.amdgcn.dynlds.offset.table@rel32@lo+4
	s_addc_u32 s3, s3, llvm.amdgcn.dynlds.offset.table@rel32@hi+12
	s_lshl_b64 s[8:9], s[6:7], 2
	v_cvt_f32_u32_e32 v7, v68
	v_sub_nc_u32_e32 v31, 0, v68
	s_add_u32 s8, s8, s2
	s_addc_u32 s9, s9, s3
	v_lshlrev_b64 v[20:21], 2, v[16:17]
	v_rcp_iflag_f32_e32 v7, v7
	s_load_b32 s7, s[8:9], 0x0
	v_add_co_u32 v28, s1, v8, v12
	s_delay_alu instid0(VALU_DEP_1) | instskip(NEXT) | instid1(VALU_DEP_3)
	v_add_co_ci_u32_e64 v29, s1, v9, v64, s1
	v_add_co_u32 v83, s2, v18, v20
	s_delay_alu instid0(VALU_DEP_1)
	v_add_co_ci_u32_e64 v84, s2, v19, v21, s2
	s_waitcnt_depctr 0xfff
	v_dual_mul_f32 v7, 0x4f7ffffe, v7 :: v_dual_lshlrev_b32 v32, 4, v69
	v_lshlrev_b32_e32 v33, 2, v69
	v_sub_nc_u32_e32 v34, v69, v37
	v_cmp_eq_u32_e32 vcc_lo, 0, v38
	s_delay_alu instid0(VALU_DEP_4) | instskip(SKIP_1) | instid1(VALU_DEP_1)
	v_cvt_u32_f32_e32 v7, v7
	v_add_co_u32 v20, s2, v28, v32
	v_add_co_ci_u32_e64 v21, s2, 0, v29, s2
	s_delay_alu instid0(VALU_DEP_3)
	v_mul_lo_u32 v31, v31, v7
	v_add_co_u32 v28, s2, v14, v83
	v_dual_mov_b32 v8, 0 :: v_dual_lshlrev_b32 v9, 2, v38
	v_mul_u32_u24_e32 v70, 0xc0, v38
	v_cmp_neq_f32_e64 s1, 0, v65
	v_lshl_add_u32 v71, v49, 4, s16
	v_mul_hi_u32 v31, v7, v31
	v_dual_mov_b32 v80, 0xff7fffff :: v_dual_mov_b32 v67, 0xff7fffff
	v_add_nc_u32_e32 v82, 1, v34
	v_add_co_ci_u32_e64 v29, s2, v15, v84, s2
	v_mov_b32_e32 v84, v16
	v_lshl_or_b32 v81, v49, 6, v33
	v_add_nc_u32_e32 v83, v7, v31
	s_mov_b32 s19, 0
	s_branch .LBB322_13
.LBB322_11:                             ;   in Loop: Header=BB322_13 Depth=1
	s_or_b32 exec_lo, exec_lo, s20
.LBB322_12:                             ;   in Loop: Header=BB322_13 Depth=1
	s_delay_alu instid0(SALU_CYCLE_1) | instskip(SKIP_2) | instid1(VALU_DEP_1)
	s_or_b32 exec_lo, exec_lo, s3
	v_add_nc_u32_e32 v84, 4, v84
	v_add_co_u32 v28, s3, v28, 16
	v_add_co_ci_u32_e64 v29, s3, 0, v29, s3
	s_delay_alu instid0(VALU_DEP_3) | instskip(SKIP_2) | instid1(VALU_DEP_3)
	v_cmp_ge_i32_e64 s2, v84, v51
	v_add_nc_u32_e32 v71, 64, v71
	v_add_nc_u32_e32 v81, 0x100, v81
	s_or_b32 s19, s2, s19
	s_delay_alu instid0(SALU_CYCLE_1)
	s_and_not1_b32 exec_lo, exec_lo, s19
	s_cbranch_execz .LBB322_786
.LBB322_13:                             ; =>This Inner Loop Header: Depth=1
	v_sub_nc_u32_e32 v7, 0, v71
	s_delay_alu instid0(VALU_DEP_1) | instskip(SKIP_1) | instid1(VALU_DEP_1)
	v_max_i32_e32 v7, v71, v7
	s_waitcnt lgkmcnt(0)
	v_mul_hi_u32 v31, v7, v48
	s_delay_alu instid0(VALU_DEP_1) | instskip(NEXT) | instid1(VALU_DEP_1)
	v_mul_lo_u32 v32, v31, v39
	v_sub_nc_u32_e32 v7, v7, v32
	v_add_nc_u32_e32 v32, 1, v31
	s_delay_alu instid0(VALU_DEP_2) | instskip(SKIP_1) | instid1(VALU_DEP_1)
	v_sub_nc_u32_e32 v33, v7, v39
	v_cmp_ge_u32_e64 s2, v7, v39
	v_cndmask_b32_e64 v31, v31, v32, s2
	s_delay_alu instid0(VALU_DEP_3) | instskip(SKIP_1) | instid1(VALU_DEP_3)
	v_cndmask_b32_e64 v7, v7, v33, s2
	v_ashrrev_i32_e32 v32, 31, v71
	v_add_nc_u32_e32 v33, 1, v31
	s_delay_alu instid0(VALU_DEP_3) | instskip(NEXT) | instid1(VALU_DEP_3)
	v_cmp_ge_u32_e64 s2, v7, v39
	v_xor_b32_e32 v32, v32, v50
	s_delay_alu instid0(VALU_DEP_2) | instskip(NEXT) | instid1(VALU_DEP_1)
	v_cndmask_b32_e64 v7, v31, v33, s2
	v_xor_b32_e32 v7, v7, v32
	s_delay_alu instid0(VALU_DEP_1) | instskip(NEXT) | instid1(VALU_DEP_1)
	v_sub_nc_u32_e32 v7, v7, v32
	v_add_nc_u32_e32 v31, v7, v6
	v_cmp_le_i32_e64 s3, v7, v52
	s_delay_alu instid0(VALU_DEP_2) | instskip(NEXT) | instid1(VALU_DEP_1)
	v_sub_nc_u32_e32 v32, 0, v31
	v_max_i32_e32 v32, v31, v32
	v_ashrrev_i32_e32 v31, 31, v31
	s_delay_alu instid0(VALU_DEP_2) | instskip(NEXT) | instid1(VALU_DEP_1)
	v_mul_hi_u32 v33, v32, v83
	v_mul_lo_u32 v33, v33, v68
	s_delay_alu instid0(VALU_DEP_1) | instskip(NEXT) | instid1(VALU_DEP_1)
	v_sub_nc_u32_e32 v32, v32, v33
	v_sub_nc_u32_e32 v33, v32, v68
	v_cmp_ge_u32_e64 s2, v32, v68
	s_delay_alu instid0(VALU_DEP_1) | instskip(NEXT) | instid1(VALU_DEP_1)
	v_cndmask_b32_e64 v32, v32, v33, s2
	v_sub_nc_u32_e32 v33, v32, v68
	v_cmp_ge_u32_e64 s2, v32, v68
	s_delay_alu instid0(VALU_DEP_1) | instskip(NEXT) | instid1(VALU_DEP_1)
	v_cndmask_b32_e64 v32, v32, v33, s2
	v_xor_b32_e32 v32, v32, v31
	s_delay_alu instid0(VALU_DEP_1) | instskip(NEXT) | instid1(VALU_DEP_1)
	v_sub_nc_u32_e32 v31, v32, v31
	v_cmp_ne_u32_e64 s2, 0, v31
	s_delay_alu instid0(VALU_DEP_1) | instskip(NEXT) | instid1(SALU_CYCLE_1)
	s_and_b32 s2, s2, s3
	s_and_b32 s20, vcc_lo, s2
	s_delay_alu instid0(SALU_CYCLE_1)
	s_and_saveexec_b32 s3, s20
	s_cbranch_execz .LBB322_15
; %bb.14:                               ;   in Loop: Header=BB322_13 Depth=1
	s_waitcnt lgkmcnt(0)
	v_add_nc_u32_e32 v7, s7, v81
	ds_store_b32 v7, v80
.LBB322_15:                             ;   in Loop: Header=BB322_13 Depth=1
	s_or_b32 exec_lo, exec_lo, s3
	s_xor_b32 s2, s2, -1
	s_delay_alu instid0(SALU_CYCLE_1)
	s_and_saveexec_b32 s3, s2
	s_cbranch_execz .LBB322_12
; %bb.16:                               ;   in Loop: Header=BB322_13 Depth=1
	flat_load_b32 v7, v[28:29]
	v_mov_b32_e32 v87, 0
	s_mov_b32 s20, exec_lo
	v_mov_b32_e32 v86, 0
	s_waitcnt vmcnt(0) lgkmcnt(0)
	v_mad_i64_i32 v[31:32], null, v7, v22, v[20:21]
	s_delay_alu instid0(VALU_DEP_1) | instskip(NEXT) | instid1(VALU_DEP_1)
	v_add_co_u32 v31, s2, v31, v9
	v_add_co_ci_u32_e64 v32, s2, 0, v32, s2
	flat_load_b32 v98, v[31:32]
	flat_load_b32 v85, v[24:25]
	s_waitcnt vmcnt(1) lgkmcnt(1)
	v_and_b32_e32 v7, 0xff, v98
	s_delay_alu instid0(VALU_DEP_1)
	v_cmpx_ne_u16_e32 0, v7
	s_cbranch_execz .LBB322_24
; %bb.17:                               ;   in Loop: Header=BB322_13 Depth=1
	v_bfrev_b32_e32 v87, 1
	s_mov_b32 s21, exec_lo
	v_cmpx_ne_u16_e32 0x80, v7
	s_cbranch_execz .LBB322_23
; %bb.18:                               ;   in Loop: Header=BB322_13 Depth=1
	v_and_b32_e32 v33, 0x7f, v98
	v_mov_b32_e32 v87, 0x7fc02000
	s_mov_b32 s22, exec_lo
	s_delay_alu instid0(VALU_DEP_2)
	v_cmpx_ne_u32_e32 0x7f, v33
	s_cbranch_execz .LBB322_22
; %bb.19:                               ;   in Loop: Header=BB322_13 Depth=1
	v_and_b32_e32 v7, 7, v98
	v_lshrrev_b32_e32 v87, 3, v33
	v_cmp_gt_u32_e64 s2, 8, v33
	s_delay_alu instid0(VALU_DEP_3) | instskip(NEXT) | instid1(VALU_DEP_2)
	v_dual_mov_b32 v34, v8 :: v_dual_mov_b32 v33, v7
	s_and_saveexec_b32 s23, s2
; %bb.20:                               ;   in Loop: Header=BB322_13 Depth=1
	v_clz_i32_u32_e32 v33, v7
	s_delay_alu instid0(VALU_DEP_1) | instskip(NEXT) | instid1(VALU_DEP_1)
	v_min_u32_e32 v87, 32, v33
	v_subrev_nc_u32_e32 v33, 28, v87
	v_sub_nc_u32_e32 v87, 29, v87
	s_delay_alu instid0(VALU_DEP_2) | instskip(NEXT) | instid1(VALU_DEP_1)
	v_lshlrev_b64 v[33:34], v33, v[7:8]
	v_and_b32_e32 v33, 7, v33
; %bb.21:                               ;   in Loop: Header=BB322_13 Depth=1
	s_or_b32 exec_lo, exec_lo, s23
	v_lshlrev_b32_e32 v7, 8, v98
	v_lshl_add_u32 v34, v87, 10, 0x2000
	s_delay_alu instid0(VALU_DEP_1) | instskip(NEXT) | instid1(VALU_DEP_1)
	v_and_or_b32 v7, 0x8000, v7, v34
	v_lshl_or_b32 v7, v33, 7, v7
	s_delay_alu instid0(VALU_DEP_1)
	v_cvt_f32_f16_e32 v87, v7
.LBB322_22:                             ;   in Loop: Header=BB322_13 Depth=1
	s_or_b32 exec_lo, exec_lo, s22
.LBB322_23:                             ;   in Loop: Header=BB322_13 Depth=1
	s_delay_alu instid0(SALU_CYCLE_1)
	s_or_b32 exec_lo, exec_lo, s21
.LBB322_24:                             ;   in Loop: Header=BB322_13 Depth=1
	s_delay_alu instid0(SALU_CYCLE_1) | instskip(SKIP_2) | instid1(VALU_DEP_1)
	s_or_b32 exec_lo, exec_lo, s20
	v_lshrrev_b16 v7, 8, v98
	s_mov_b32 s20, exec_lo
	v_cmpx_ne_u16_e32 0, v7
	s_cbranch_execz .LBB322_32
; %bb.25:                               ;   in Loop: Header=BB322_13 Depth=1
	v_bfrev_b32_e32 v86, 1
	s_mov_b32 s21, exec_lo
	v_cmpx_ne_u16_e32 0x80, v7
	s_cbranch_execz .LBB322_31
; %bb.26:                               ;   in Loop: Header=BB322_13 Depth=1
	v_and_b32_e32 v96, 0xffff, v7
	v_mov_b32_e32 v86, 0x7fc02000
	s_mov_b32 s22, exec_lo
	s_delay_alu instid0(VALU_DEP_2) | instskip(NEXT) | instid1(VALU_DEP_1)
	v_and_b32_e32 v33, 0x7f, v96
	v_cmpx_ne_u32_e32 0x7f, v33
	s_cbranch_execz .LBB322_30
; %bb.27:                               ;   in Loop: Header=BB322_13 Depth=1
	v_and_b32_e32 v7, 7, v96
	v_lshrrev_b32_e32 v86, 3, v33
	v_cmp_gt_u32_e64 s2, 8, v33
	s_delay_alu instid0(VALU_DEP_3) | instskip(NEXT) | instid1(VALU_DEP_2)
	v_dual_mov_b32 v34, v8 :: v_dual_mov_b32 v33, v7
	s_and_saveexec_b32 s23, s2
; %bb.28:                               ;   in Loop: Header=BB322_13 Depth=1
	v_clz_i32_u32_e32 v33, v7
	s_delay_alu instid0(VALU_DEP_1) | instskip(NEXT) | instid1(VALU_DEP_1)
	v_min_u32_e32 v86, 32, v33
	v_subrev_nc_u32_e32 v33, 28, v86
	v_sub_nc_u32_e32 v86, 29, v86
	s_delay_alu instid0(VALU_DEP_2) | instskip(NEXT) | instid1(VALU_DEP_1)
	v_lshlrev_b64 v[33:34], v33, v[7:8]
	v_and_b32_e32 v33, 7, v33
; %bb.29:                               ;   in Loop: Header=BB322_13 Depth=1
	s_or_b32 exec_lo, exec_lo, s23
	v_lshlrev_b32_e32 v7, 8, v96
	v_lshl_add_u32 v34, v86, 10, 0x2000
	s_delay_alu instid0(VALU_DEP_1) | instskip(NEXT) | instid1(VALU_DEP_1)
	v_and_or_b32 v7, 0x8000, v7, v34
	v_lshl_or_b32 v7, v33, 7, v7
	s_delay_alu instid0(VALU_DEP_1)
	v_cvt_f32_f16_e32 v86, v7
.LBB322_30:                             ;   in Loop: Header=BB322_13 Depth=1
	s_or_b32 exec_lo, exec_lo, s22
.LBB322_31:                             ;   in Loop: Header=BB322_13 Depth=1
	s_delay_alu instid0(SALU_CYCLE_1)
	s_or_b32 exec_lo, exec_lo, s21
.LBB322_32:                             ;   in Loop: Header=BB322_13 Depth=1
	s_delay_alu instid0(SALU_CYCLE_1) | instskip(SKIP_3) | instid1(VALU_DEP_2)
	s_or_b32 exec_lo, exec_lo, s20
	v_lshrrev_b32_e32 v99, 16, v98
	v_mov_b32_e32 v97, 0
	s_mov_b32 s20, exec_lo
	v_dual_mov_b32 v96, 0 :: v_dual_and_b32 v7, 0xff, v99
	s_delay_alu instid0(VALU_DEP_1)
	v_cmpx_ne_u16_e32 0, v7
	s_cbranch_execz .LBB322_40
; %bb.33:                               ;   in Loop: Header=BB322_13 Depth=1
	v_bfrev_b32_e32 v97, 1
	s_mov_b32 s21, exec_lo
	v_cmpx_ne_u16_e32 0x80, v7
	s_cbranch_execz .LBB322_39
; %bb.34:                               ;   in Loop: Header=BB322_13 Depth=1
	v_bfe_u32 v33, v98, 16, 7
	v_mov_b32_e32 v97, 0x7fc02000
	s_mov_b32 s22, exec_lo
	s_delay_alu instid0(VALU_DEP_2)
	v_cmpx_ne_u32_e32 0x7f, v33
	s_cbranch_execz .LBB322_38
; %bb.35:                               ;   in Loop: Header=BB322_13 Depth=1
	v_and_b32_e32 v7, 7, v99
	v_lshrrev_b32_e32 v97, 3, v33
	v_cmp_gt_u32_e64 s2, 8, v33
	s_delay_alu instid0(VALU_DEP_3) | instskip(NEXT) | instid1(VALU_DEP_2)
	v_dual_mov_b32 v34, v8 :: v_dual_mov_b32 v33, v7
	s_and_saveexec_b32 s23, s2
; %bb.36:                               ;   in Loop: Header=BB322_13 Depth=1
	v_clz_i32_u32_e32 v33, v7
	s_delay_alu instid0(VALU_DEP_1) | instskip(NEXT) | instid1(VALU_DEP_1)
	v_min_u32_e32 v97, 32, v33
	v_subrev_nc_u32_e32 v33, 28, v97
	v_sub_nc_u32_e32 v97, 29, v97
	s_delay_alu instid0(VALU_DEP_2) | instskip(NEXT) | instid1(VALU_DEP_1)
	v_lshlrev_b64 v[33:34], v33, v[7:8]
	v_and_b32_e32 v33, 7, v33
; %bb.37:                               ;   in Loop: Header=BB322_13 Depth=1
	s_or_b32 exec_lo, exec_lo, s23
	v_lshlrev_b32_e32 v7, 8, v99
	v_lshl_add_u32 v34, v97, 10, 0x2000
	s_delay_alu instid0(VALU_DEP_1) | instskip(NEXT) | instid1(VALU_DEP_1)
	v_and_or_b32 v7, 0x8000, v7, v34
	v_lshl_or_b32 v7, v33, 7, v7
	s_delay_alu instid0(VALU_DEP_1)
	v_cvt_f32_f16_e32 v97, v7
.LBB322_38:                             ;   in Loop: Header=BB322_13 Depth=1
	s_or_b32 exec_lo, exec_lo, s22
.LBB322_39:                             ;   in Loop: Header=BB322_13 Depth=1
	s_delay_alu instid0(SALU_CYCLE_1)
	s_or_b32 exec_lo, exec_lo, s21
.LBB322_40:                             ;   in Loop: Header=BB322_13 Depth=1
	s_delay_alu instid0(SALU_CYCLE_1) | instskip(NEXT) | instid1(SALU_CYCLE_1)
	s_or_b32 exec_lo, exec_lo, s20
	s_mov_b32 s20, exec_lo
	v_cmpx_lt_u32_e32 0xffffff, v98
	s_cbranch_execz .LBB322_48
; %bb.41:                               ;   in Loop: Header=BB322_13 Depth=1
	v_lshrrev_b32_e32 v98, 24, v98
	v_bfrev_b32_e32 v96, 1
	s_mov_b32 s21, exec_lo
	s_delay_alu instid0(VALU_DEP_2)
	v_cmpx_ne_u32_e32 0x80, v98
	s_cbranch_execz .LBB322_47
; %bb.42:                               ;   in Loop: Header=BB322_13 Depth=1
	v_and_b32_e32 v33, 0x7f, v98
	v_mov_b32_e32 v96, 0x7fc02000
	s_mov_b32 s22, exec_lo
	s_delay_alu instid0(VALU_DEP_2)
	v_cmpx_ne_u32_e32 0x7f, v33
	s_cbranch_execz .LBB322_46
; %bb.43:                               ;   in Loop: Header=BB322_13 Depth=1
	v_and_b32_e32 v7, 7, v98
	v_lshrrev_b32_e32 v96, 3, v33
	v_cmp_gt_u32_e64 s2, 8, v33
	s_delay_alu instid0(VALU_DEP_3) | instskip(NEXT) | instid1(VALU_DEP_2)
	v_dual_mov_b32 v34, v8 :: v_dual_mov_b32 v33, v7
	s_and_saveexec_b32 s23, s2
; %bb.44:                               ;   in Loop: Header=BB322_13 Depth=1
	v_clz_i32_u32_e32 v33, v7
	s_delay_alu instid0(VALU_DEP_1) | instskip(NEXT) | instid1(VALU_DEP_1)
	v_min_u32_e32 v96, 32, v33
	v_subrev_nc_u32_e32 v33, 28, v96
	v_sub_nc_u32_e32 v96, 29, v96
	s_delay_alu instid0(VALU_DEP_2) | instskip(NEXT) | instid1(VALU_DEP_1)
	v_lshlrev_b64 v[33:34], v33, v[7:8]
	v_and_b32_e32 v33, 7, v33
; %bb.45:                               ;   in Loop: Header=BB322_13 Depth=1
	s_or_b32 exec_lo, exec_lo, s23
	v_lshlrev_b32_e32 v7, 8, v98
	v_lshl_add_u32 v34, v96, 10, 0x2000
	s_delay_alu instid0(VALU_DEP_1) | instskip(NEXT) | instid1(VALU_DEP_1)
	v_and_or_b32 v7, 0x8000, v7, v34
	v_lshl_or_b32 v7, v33, 7, v7
	s_delay_alu instid0(VALU_DEP_1)
	v_cvt_f32_f16_e32 v96, v7
.LBB322_46:                             ;   in Loop: Header=BB322_13 Depth=1
	s_or_b32 exec_lo, exec_lo, s22
.LBB322_47:                             ;   in Loop: Header=BB322_13 Depth=1
	s_delay_alu instid0(SALU_CYCLE_1)
	s_or_b32 exec_lo, exec_lo, s21
.LBB322_48:                             ;   in Loop: Header=BB322_13 Depth=1
	s_delay_alu instid0(SALU_CYCLE_1)
	s_or_b32 exec_lo, exec_lo, s20
	flat_load_b32 v102, v[31:32] offset:8
	v_mov_b32_e32 v99, 0
	s_mov_b32 s20, exec_lo
	s_waitcnt vmcnt(0) lgkmcnt(0)
	v_dual_mov_b32 v98, 0 :: v_dual_and_b32 v7, 0xff, v102
	s_delay_alu instid0(VALU_DEP_1)
	v_cmpx_ne_u16_e32 0, v7
	s_cbranch_execz .LBB322_56
; %bb.49:                               ;   in Loop: Header=BB322_13 Depth=1
	v_bfrev_b32_e32 v99, 1
	s_mov_b32 s21, exec_lo
	v_cmpx_ne_u16_e32 0x80, v7
	s_cbranch_execz .LBB322_55
; %bb.50:                               ;   in Loop: Header=BB322_13 Depth=1
	v_and_b32_e32 v33, 0x7f, v102
	v_mov_b32_e32 v99, 0x7fc02000
	s_mov_b32 s22, exec_lo
	s_delay_alu instid0(VALU_DEP_2)
	v_cmpx_ne_u32_e32 0x7f, v33
	s_cbranch_execz .LBB322_54
; %bb.51:                               ;   in Loop: Header=BB322_13 Depth=1
	v_and_b32_e32 v7, 7, v102
	v_lshrrev_b32_e32 v99, 3, v33
	v_cmp_gt_u32_e64 s2, 8, v33
	s_delay_alu instid0(VALU_DEP_3) | instskip(NEXT) | instid1(VALU_DEP_2)
	v_dual_mov_b32 v34, v8 :: v_dual_mov_b32 v33, v7
	s_and_saveexec_b32 s23, s2
; %bb.52:                               ;   in Loop: Header=BB322_13 Depth=1
	v_clz_i32_u32_e32 v33, v7
	s_delay_alu instid0(VALU_DEP_1) | instskip(NEXT) | instid1(VALU_DEP_1)
	v_min_u32_e32 v99, 32, v33
	v_subrev_nc_u32_e32 v33, 28, v99
	v_sub_nc_u32_e32 v99, 29, v99
	s_delay_alu instid0(VALU_DEP_2) | instskip(NEXT) | instid1(VALU_DEP_1)
	v_lshlrev_b64 v[33:34], v33, v[7:8]
	v_and_b32_e32 v33, 7, v33
; %bb.53:                               ;   in Loop: Header=BB322_13 Depth=1
	s_or_b32 exec_lo, exec_lo, s23
	v_lshlrev_b32_e32 v7, 8, v102
	v_lshl_add_u32 v34, v99, 10, 0x2000
	s_delay_alu instid0(VALU_DEP_1) | instskip(NEXT) | instid1(VALU_DEP_1)
	v_and_or_b32 v7, 0x8000, v7, v34
	v_lshl_or_b32 v7, v33, 7, v7
	s_delay_alu instid0(VALU_DEP_1)
	v_cvt_f32_f16_e32 v99, v7
.LBB322_54:                             ;   in Loop: Header=BB322_13 Depth=1
	s_or_b32 exec_lo, exec_lo, s22
.LBB322_55:                             ;   in Loop: Header=BB322_13 Depth=1
	s_delay_alu instid0(SALU_CYCLE_1)
	s_or_b32 exec_lo, exec_lo, s21
.LBB322_56:                             ;   in Loop: Header=BB322_13 Depth=1
	s_delay_alu instid0(SALU_CYCLE_1) | instskip(SKIP_2) | instid1(VALU_DEP_1)
	s_or_b32 exec_lo, exec_lo, s20
	v_lshrrev_b16 v7, 8, v102
	s_mov_b32 s20, exec_lo
	v_cmpx_ne_u16_e32 0, v7
	s_cbranch_execz .LBB322_64
; %bb.57:                               ;   in Loop: Header=BB322_13 Depth=1
	v_bfrev_b32_e32 v98, 1
	s_mov_b32 s21, exec_lo
	v_cmpx_ne_u16_e32 0x80, v7
	s_cbranch_execz .LBB322_63
; %bb.58:                               ;   in Loop: Header=BB322_13 Depth=1
	v_and_b32_e32 v100, 0xffff, v7
	v_mov_b32_e32 v98, 0x7fc02000
	s_mov_b32 s22, exec_lo
	s_delay_alu instid0(VALU_DEP_2) | instskip(NEXT) | instid1(VALU_DEP_1)
	v_and_b32_e32 v33, 0x7f, v100
	v_cmpx_ne_u32_e32 0x7f, v33
	s_cbranch_execz .LBB322_62
; %bb.59:                               ;   in Loop: Header=BB322_13 Depth=1
	v_and_b32_e32 v7, 7, v100
	v_lshrrev_b32_e32 v98, 3, v33
	v_cmp_gt_u32_e64 s2, 8, v33
	s_delay_alu instid0(VALU_DEP_3) | instskip(NEXT) | instid1(VALU_DEP_2)
	v_dual_mov_b32 v34, v8 :: v_dual_mov_b32 v33, v7
	s_and_saveexec_b32 s23, s2
; %bb.60:                               ;   in Loop: Header=BB322_13 Depth=1
	v_clz_i32_u32_e32 v33, v7
	s_delay_alu instid0(VALU_DEP_1) | instskip(NEXT) | instid1(VALU_DEP_1)
	v_min_u32_e32 v98, 32, v33
	v_subrev_nc_u32_e32 v33, 28, v98
	v_sub_nc_u32_e32 v98, 29, v98
	s_delay_alu instid0(VALU_DEP_2) | instskip(NEXT) | instid1(VALU_DEP_1)
	v_lshlrev_b64 v[33:34], v33, v[7:8]
	v_and_b32_e32 v33, 7, v33
; %bb.61:                               ;   in Loop: Header=BB322_13 Depth=1
	s_or_b32 exec_lo, exec_lo, s23
	v_lshlrev_b32_e32 v7, 8, v100
	v_lshl_add_u32 v34, v98, 10, 0x2000
	s_delay_alu instid0(VALU_DEP_1) | instskip(NEXT) | instid1(VALU_DEP_1)
	v_and_or_b32 v7, 0x8000, v7, v34
	v_lshl_or_b32 v7, v33, 7, v7
	s_delay_alu instid0(VALU_DEP_1)
	v_cvt_f32_f16_e32 v98, v7
.LBB322_62:                             ;   in Loop: Header=BB322_13 Depth=1
	s_or_b32 exec_lo, exec_lo, s22
.LBB322_63:                             ;   in Loop: Header=BB322_13 Depth=1
	s_delay_alu instid0(SALU_CYCLE_1)
	s_or_b32 exec_lo, exec_lo, s21
.LBB322_64:                             ;   in Loop: Header=BB322_13 Depth=1
	s_delay_alu instid0(SALU_CYCLE_1) | instskip(SKIP_3) | instid1(VALU_DEP_2)
	s_or_b32 exec_lo, exec_lo, s20
	v_lshrrev_b32_e32 v103, 16, v102
	v_mov_b32_e32 v101, 0
	s_mov_b32 s20, exec_lo
	v_dual_mov_b32 v100, 0 :: v_dual_and_b32 v7, 0xff, v103
	s_delay_alu instid0(VALU_DEP_1)
	v_cmpx_ne_u16_e32 0, v7
	s_cbranch_execz .LBB322_72
; %bb.65:                               ;   in Loop: Header=BB322_13 Depth=1
	v_bfrev_b32_e32 v101, 1
	s_mov_b32 s21, exec_lo
	v_cmpx_ne_u16_e32 0x80, v7
	s_cbranch_execz .LBB322_71
; %bb.66:                               ;   in Loop: Header=BB322_13 Depth=1
	v_bfe_u32 v33, v102, 16, 7
	v_mov_b32_e32 v101, 0x7fc02000
	s_mov_b32 s22, exec_lo
	s_delay_alu instid0(VALU_DEP_2)
	v_cmpx_ne_u32_e32 0x7f, v33
	s_cbranch_execz .LBB322_70
; %bb.67:                               ;   in Loop: Header=BB322_13 Depth=1
	v_and_b32_e32 v7, 7, v103
	v_lshrrev_b32_e32 v101, 3, v33
	v_cmp_gt_u32_e64 s2, 8, v33
	s_delay_alu instid0(VALU_DEP_3) | instskip(NEXT) | instid1(VALU_DEP_2)
	v_dual_mov_b32 v34, v8 :: v_dual_mov_b32 v33, v7
	s_and_saveexec_b32 s23, s2
; %bb.68:                               ;   in Loop: Header=BB322_13 Depth=1
	v_clz_i32_u32_e32 v33, v7
	s_delay_alu instid0(VALU_DEP_1) | instskip(NEXT) | instid1(VALU_DEP_1)
	v_min_u32_e32 v101, 32, v33
	v_subrev_nc_u32_e32 v33, 28, v101
	v_sub_nc_u32_e32 v101, 29, v101
	s_delay_alu instid0(VALU_DEP_2) | instskip(NEXT) | instid1(VALU_DEP_1)
	v_lshlrev_b64 v[33:34], v33, v[7:8]
	v_and_b32_e32 v33, 7, v33
; %bb.69:                               ;   in Loop: Header=BB322_13 Depth=1
	s_or_b32 exec_lo, exec_lo, s23
	v_lshlrev_b32_e32 v7, 8, v103
	v_lshl_add_u32 v34, v101, 10, 0x2000
	s_delay_alu instid0(VALU_DEP_1) | instskip(NEXT) | instid1(VALU_DEP_1)
	v_and_or_b32 v7, 0x8000, v7, v34
	v_lshl_or_b32 v7, v33, 7, v7
	s_delay_alu instid0(VALU_DEP_1)
	v_cvt_f32_f16_e32 v101, v7
.LBB322_70:                             ;   in Loop: Header=BB322_13 Depth=1
	s_or_b32 exec_lo, exec_lo, s22
.LBB322_71:                             ;   in Loop: Header=BB322_13 Depth=1
	s_delay_alu instid0(SALU_CYCLE_1)
	s_or_b32 exec_lo, exec_lo, s21
.LBB322_72:                             ;   in Loop: Header=BB322_13 Depth=1
	s_delay_alu instid0(SALU_CYCLE_1) | instskip(NEXT) | instid1(SALU_CYCLE_1)
	s_or_b32 exec_lo, exec_lo, s20
	s_mov_b32 s20, exec_lo
	v_cmpx_lt_u32_e32 0xffffff, v102
	s_cbranch_execz .LBB322_80
; %bb.73:                               ;   in Loop: Header=BB322_13 Depth=1
	v_lshrrev_b32_e32 v102, 24, v102
	v_bfrev_b32_e32 v100, 1
	s_mov_b32 s21, exec_lo
	s_delay_alu instid0(VALU_DEP_2)
	v_cmpx_ne_u32_e32 0x80, v102
	s_cbranch_execz .LBB322_79
; %bb.74:                               ;   in Loop: Header=BB322_13 Depth=1
	v_and_b32_e32 v33, 0x7f, v102
	v_mov_b32_e32 v100, 0x7fc02000
	s_mov_b32 s22, exec_lo
	s_delay_alu instid0(VALU_DEP_2)
	v_cmpx_ne_u32_e32 0x7f, v33
	s_cbranch_execz .LBB322_78
; %bb.75:                               ;   in Loop: Header=BB322_13 Depth=1
	v_and_b32_e32 v7, 7, v102
	v_lshrrev_b32_e32 v100, 3, v33
	v_cmp_gt_u32_e64 s2, 8, v33
	s_delay_alu instid0(VALU_DEP_3) | instskip(NEXT) | instid1(VALU_DEP_2)
	v_dual_mov_b32 v34, v8 :: v_dual_mov_b32 v33, v7
	s_and_saveexec_b32 s23, s2
; %bb.76:                               ;   in Loop: Header=BB322_13 Depth=1
	v_clz_i32_u32_e32 v33, v7
	s_delay_alu instid0(VALU_DEP_1) | instskip(NEXT) | instid1(VALU_DEP_1)
	v_min_u32_e32 v100, 32, v33
	v_subrev_nc_u32_e32 v33, 28, v100
	v_sub_nc_u32_e32 v100, 29, v100
	s_delay_alu instid0(VALU_DEP_2) | instskip(NEXT) | instid1(VALU_DEP_1)
	v_lshlrev_b64 v[33:34], v33, v[7:8]
	v_and_b32_e32 v33, 7, v33
; %bb.77:                               ;   in Loop: Header=BB322_13 Depth=1
	s_or_b32 exec_lo, exec_lo, s23
	v_lshlrev_b32_e32 v7, 8, v102
	v_lshl_add_u32 v34, v100, 10, 0x2000
	s_delay_alu instid0(VALU_DEP_1) | instskip(NEXT) | instid1(VALU_DEP_1)
	v_and_or_b32 v7, 0x8000, v7, v34
	v_lshl_or_b32 v7, v33, 7, v7
	s_delay_alu instid0(VALU_DEP_1)
	v_cvt_f32_f16_e32 v100, v7
.LBB322_78:                             ;   in Loop: Header=BB322_13 Depth=1
	s_or_b32 exec_lo, exec_lo, s22
.LBB322_79:                             ;   in Loop: Header=BB322_13 Depth=1
	s_delay_alu instid0(SALU_CYCLE_1)
	s_or_b32 exec_lo, exec_lo, s21
.LBB322_80:                             ;   in Loop: Header=BB322_13 Depth=1
	s_delay_alu instid0(SALU_CYCLE_1)
	s_or_b32 exec_lo, exec_lo, s20
	flat_load_b32 v114, v[31:32] offset:256
	v_mov_b32_e32 v103, 0
	s_mov_b32 s20, exec_lo
	s_waitcnt vmcnt(0) lgkmcnt(0)
	v_dual_mov_b32 v102, 0 :: v_dual_and_b32 v7, 0xff, v114
	s_delay_alu instid0(VALU_DEP_1)
	v_cmpx_ne_u16_e32 0, v7
	s_cbranch_execz .LBB322_88
; %bb.81:                               ;   in Loop: Header=BB322_13 Depth=1
	v_bfrev_b32_e32 v103, 1
	s_mov_b32 s21, exec_lo
	v_cmpx_ne_u16_e32 0x80, v7
	s_cbranch_execz .LBB322_87
; %bb.82:                               ;   in Loop: Header=BB322_13 Depth=1
	v_and_b32_e32 v33, 0x7f, v114
	v_mov_b32_e32 v103, 0x7fc02000
	s_mov_b32 s22, exec_lo
	s_delay_alu instid0(VALU_DEP_2)
	v_cmpx_ne_u32_e32 0x7f, v33
	s_cbranch_execz .LBB322_86
; %bb.83:                               ;   in Loop: Header=BB322_13 Depth=1
	v_and_b32_e32 v7, 7, v114
	v_lshrrev_b32_e32 v103, 3, v33
	v_cmp_gt_u32_e64 s2, 8, v33
	s_delay_alu instid0(VALU_DEP_3) | instskip(NEXT) | instid1(VALU_DEP_2)
	v_dual_mov_b32 v34, v8 :: v_dual_mov_b32 v33, v7
	s_and_saveexec_b32 s23, s2
; %bb.84:                               ;   in Loop: Header=BB322_13 Depth=1
	v_clz_i32_u32_e32 v33, v7
	s_delay_alu instid0(VALU_DEP_1) | instskip(NEXT) | instid1(VALU_DEP_1)
	v_min_u32_e32 v103, 32, v33
	v_subrev_nc_u32_e32 v33, 28, v103
	v_sub_nc_u32_e32 v103, 29, v103
	s_delay_alu instid0(VALU_DEP_2) | instskip(NEXT) | instid1(VALU_DEP_1)
	v_lshlrev_b64 v[33:34], v33, v[7:8]
	v_and_b32_e32 v33, 7, v33
; %bb.85:                               ;   in Loop: Header=BB322_13 Depth=1
	s_or_b32 exec_lo, exec_lo, s23
	v_lshlrev_b32_e32 v7, 8, v114
	v_lshl_add_u32 v34, v103, 10, 0x2000
	s_delay_alu instid0(VALU_DEP_1) | instskip(NEXT) | instid1(VALU_DEP_1)
	v_and_or_b32 v7, 0x8000, v7, v34
	v_lshl_or_b32 v7, v33, 7, v7
	s_delay_alu instid0(VALU_DEP_1)
	v_cvt_f32_f16_e32 v103, v7
.LBB322_86:                             ;   in Loop: Header=BB322_13 Depth=1
	s_or_b32 exec_lo, exec_lo, s22
.LBB322_87:                             ;   in Loop: Header=BB322_13 Depth=1
	s_delay_alu instid0(SALU_CYCLE_1)
	s_or_b32 exec_lo, exec_lo, s21
.LBB322_88:                             ;   in Loop: Header=BB322_13 Depth=1
	s_delay_alu instid0(SALU_CYCLE_1) | instskip(SKIP_2) | instid1(VALU_DEP_1)
	s_or_b32 exec_lo, exec_lo, s20
	v_lshrrev_b16 v7, 8, v114
	s_mov_b32 s20, exec_lo
	v_cmpx_ne_u16_e32 0, v7
	s_cbranch_execz .LBB322_96
; %bb.89:                               ;   in Loop: Header=BB322_13 Depth=1
	v_bfrev_b32_e32 v102, 1
	s_mov_b32 s21, exec_lo
	v_cmpx_ne_u16_e32 0x80, v7
	s_cbranch_execz .LBB322_95
; %bb.90:                               ;   in Loop: Header=BB322_13 Depth=1
	v_and_b32_e32 v112, 0xffff, v7
	v_mov_b32_e32 v102, 0x7fc02000
	s_mov_b32 s22, exec_lo
	s_delay_alu instid0(VALU_DEP_2) | instskip(NEXT) | instid1(VALU_DEP_1)
	v_and_b32_e32 v33, 0x7f, v112
	v_cmpx_ne_u32_e32 0x7f, v33
	s_cbranch_execz .LBB322_94
; %bb.91:                               ;   in Loop: Header=BB322_13 Depth=1
	v_and_b32_e32 v7, 7, v112
	v_lshrrev_b32_e32 v102, 3, v33
	v_cmp_gt_u32_e64 s2, 8, v33
	s_delay_alu instid0(VALU_DEP_3) | instskip(NEXT) | instid1(VALU_DEP_2)
	v_dual_mov_b32 v34, v8 :: v_dual_mov_b32 v33, v7
	s_and_saveexec_b32 s23, s2
; %bb.92:                               ;   in Loop: Header=BB322_13 Depth=1
	v_clz_i32_u32_e32 v33, v7
	s_delay_alu instid0(VALU_DEP_1) | instskip(NEXT) | instid1(VALU_DEP_1)
	v_min_u32_e32 v102, 32, v33
	v_subrev_nc_u32_e32 v33, 28, v102
	v_sub_nc_u32_e32 v102, 29, v102
	s_delay_alu instid0(VALU_DEP_2) | instskip(NEXT) | instid1(VALU_DEP_1)
	v_lshlrev_b64 v[33:34], v33, v[7:8]
	v_and_b32_e32 v33, 7, v33
; %bb.93:                               ;   in Loop: Header=BB322_13 Depth=1
	s_or_b32 exec_lo, exec_lo, s23
	v_lshlrev_b32_e32 v7, 8, v112
	v_lshl_add_u32 v34, v102, 10, 0x2000
	s_delay_alu instid0(VALU_DEP_1) | instskip(NEXT) | instid1(VALU_DEP_1)
	v_and_or_b32 v7, 0x8000, v7, v34
	v_lshl_or_b32 v7, v33, 7, v7
	s_delay_alu instid0(VALU_DEP_1)
	v_cvt_f32_f16_e32 v102, v7
.LBB322_94:                             ;   in Loop: Header=BB322_13 Depth=1
	s_or_b32 exec_lo, exec_lo, s22
.LBB322_95:                             ;   in Loop: Header=BB322_13 Depth=1
	s_delay_alu instid0(SALU_CYCLE_1)
	s_or_b32 exec_lo, exec_lo, s21
.LBB322_96:                             ;   in Loop: Header=BB322_13 Depth=1
	s_delay_alu instid0(SALU_CYCLE_1) | instskip(SKIP_3) | instid1(VALU_DEP_2)
	s_or_b32 exec_lo, exec_lo, s20
	v_lshrrev_b32_e32 v115, 16, v114
	v_mov_b32_e32 v113, 0
	s_mov_b32 s20, exec_lo
	v_dual_mov_b32 v112, 0 :: v_dual_and_b32 v7, 0xff, v115
	s_delay_alu instid0(VALU_DEP_1)
	v_cmpx_ne_u16_e32 0, v7
	s_cbranch_execz .LBB322_104
; %bb.97:                               ;   in Loop: Header=BB322_13 Depth=1
	v_bfrev_b32_e32 v113, 1
	s_mov_b32 s21, exec_lo
	v_cmpx_ne_u16_e32 0x80, v7
	s_cbranch_execz .LBB322_103
; %bb.98:                               ;   in Loop: Header=BB322_13 Depth=1
	v_bfe_u32 v33, v114, 16, 7
	v_mov_b32_e32 v113, 0x7fc02000
	s_mov_b32 s22, exec_lo
	s_delay_alu instid0(VALU_DEP_2)
	v_cmpx_ne_u32_e32 0x7f, v33
	s_cbranch_execz .LBB322_102
; %bb.99:                               ;   in Loop: Header=BB322_13 Depth=1
	v_and_b32_e32 v7, 7, v115
	v_lshrrev_b32_e32 v113, 3, v33
	v_cmp_gt_u32_e64 s2, 8, v33
	s_delay_alu instid0(VALU_DEP_3) | instskip(NEXT) | instid1(VALU_DEP_2)
	v_dual_mov_b32 v34, v8 :: v_dual_mov_b32 v33, v7
	s_and_saveexec_b32 s23, s2
; %bb.100:                              ;   in Loop: Header=BB322_13 Depth=1
	v_clz_i32_u32_e32 v33, v7
	s_delay_alu instid0(VALU_DEP_1) | instskip(NEXT) | instid1(VALU_DEP_1)
	v_min_u32_e32 v113, 32, v33
	v_subrev_nc_u32_e32 v33, 28, v113
	v_sub_nc_u32_e32 v113, 29, v113
	s_delay_alu instid0(VALU_DEP_2) | instskip(NEXT) | instid1(VALU_DEP_1)
	v_lshlrev_b64 v[33:34], v33, v[7:8]
	v_and_b32_e32 v33, 7, v33
; %bb.101:                              ;   in Loop: Header=BB322_13 Depth=1
	s_or_b32 exec_lo, exec_lo, s23
	v_lshlrev_b32_e32 v7, 8, v115
	v_lshl_add_u32 v34, v113, 10, 0x2000
	s_delay_alu instid0(VALU_DEP_1) | instskip(NEXT) | instid1(VALU_DEP_1)
	v_and_or_b32 v7, 0x8000, v7, v34
	v_lshl_or_b32 v7, v33, 7, v7
	s_delay_alu instid0(VALU_DEP_1)
	v_cvt_f32_f16_e32 v113, v7
.LBB322_102:                            ;   in Loop: Header=BB322_13 Depth=1
	s_or_b32 exec_lo, exec_lo, s22
.LBB322_103:                            ;   in Loop: Header=BB322_13 Depth=1
	s_delay_alu instid0(SALU_CYCLE_1)
	s_or_b32 exec_lo, exec_lo, s21
.LBB322_104:                            ;   in Loop: Header=BB322_13 Depth=1
	s_delay_alu instid0(SALU_CYCLE_1) | instskip(NEXT) | instid1(SALU_CYCLE_1)
	s_or_b32 exec_lo, exec_lo, s20
	s_mov_b32 s20, exec_lo
	v_cmpx_lt_u32_e32 0xffffff, v114
	s_cbranch_execz .LBB322_112
; %bb.105:                              ;   in Loop: Header=BB322_13 Depth=1
	v_lshrrev_b32_e32 v114, 24, v114
	v_bfrev_b32_e32 v112, 1
	s_mov_b32 s21, exec_lo
	s_delay_alu instid0(VALU_DEP_2)
	v_cmpx_ne_u32_e32 0x80, v114
	s_cbranch_execz .LBB322_111
; %bb.106:                              ;   in Loop: Header=BB322_13 Depth=1
	v_and_b32_e32 v33, 0x7f, v114
	v_mov_b32_e32 v112, 0x7fc02000
	s_mov_b32 s22, exec_lo
	s_delay_alu instid0(VALU_DEP_2)
	v_cmpx_ne_u32_e32 0x7f, v33
	s_cbranch_execz .LBB322_110
; %bb.107:                              ;   in Loop: Header=BB322_13 Depth=1
	v_and_b32_e32 v7, 7, v114
	v_lshrrev_b32_e32 v112, 3, v33
	v_cmp_gt_u32_e64 s2, 8, v33
	s_delay_alu instid0(VALU_DEP_3) | instskip(NEXT) | instid1(VALU_DEP_2)
	v_dual_mov_b32 v34, v8 :: v_dual_mov_b32 v33, v7
	s_and_saveexec_b32 s23, s2
; %bb.108:                              ;   in Loop: Header=BB322_13 Depth=1
	v_clz_i32_u32_e32 v33, v7
	s_delay_alu instid0(VALU_DEP_1) | instskip(NEXT) | instid1(VALU_DEP_1)
	v_min_u32_e32 v112, 32, v33
	v_subrev_nc_u32_e32 v33, 28, v112
	v_sub_nc_u32_e32 v112, 29, v112
	s_delay_alu instid0(VALU_DEP_2) | instskip(NEXT) | instid1(VALU_DEP_1)
	v_lshlrev_b64 v[33:34], v33, v[7:8]
	v_and_b32_e32 v33, 7, v33
; %bb.109:                              ;   in Loop: Header=BB322_13 Depth=1
	s_or_b32 exec_lo, exec_lo, s23
	v_lshlrev_b32_e32 v7, 8, v114
	v_lshl_add_u32 v34, v112, 10, 0x2000
	s_delay_alu instid0(VALU_DEP_1) | instskip(NEXT) | instid1(VALU_DEP_1)
	v_and_or_b32 v7, 0x8000, v7, v34
	v_lshl_or_b32 v7, v33, 7, v7
	s_delay_alu instid0(VALU_DEP_1)
	v_cvt_f32_f16_e32 v112, v7
.LBB322_110:                            ;   in Loop: Header=BB322_13 Depth=1
	s_or_b32 exec_lo, exec_lo, s22
.LBB322_111:                            ;   in Loop: Header=BB322_13 Depth=1
	s_delay_alu instid0(SALU_CYCLE_1)
	s_or_b32 exec_lo, exec_lo, s21
.LBB322_112:                            ;   in Loop: Header=BB322_13 Depth=1
	s_delay_alu instid0(SALU_CYCLE_1)
	s_or_b32 exec_lo, exec_lo, s20
	flat_load_b32 v118, v[31:32] offset:264
	v_mov_b32_e32 v115, 0
	s_mov_b32 s20, exec_lo
	s_waitcnt vmcnt(0) lgkmcnt(0)
	v_dual_mov_b32 v114, 0 :: v_dual_and_b32 v7, 0xff, v118
	s_delay_alu instid0(VALU_DEP_1)
	v_cmpx_ne_u16_e32 0, v7
	s_cbranch_execz .LBB322_120
; %bb.113:                              ;   in Loop: Header=BB322_13 Depth=1
	v_bfrev_b32_e32 v115, 1
	s_mov_b32 s21, exec_lo
	v_cmpx_ne_u16_e32 0x80, v7
	s_cbranch_execz .LBB322_119
; %bb.114:                              ;   in Loop: Header=BB322_13 Depth=1
	v_and_b32_e32 v33, 0x7f, v118
	v_mov_b32_e32 v115, 0x7fc02000
	s_mov_b32 s22, exec_lo
	s_delay_alu instid0(VALU_DEP_2)
	v_cmpx_ne_u32_e32 0x7f, v33
	s_cbranch_execz .LBB322_118
; %bb.115:                              ;   in Loop: Header=BB322_13 Depth=1
	v_and_b32_e32 v7, 7, v118
	v_lshrrev_b32_e32 v115, 3, v33
	v_cmp_gt_u32_e64 s2, 8, v33
	s_delay_alu instid0(VALU_DEP_3) | instskip(NEXT) | instid1(VALU_DEP_2)
	v_dual_mov_b32 v34, v8 :: v_dual_mov_b32 v33, v7
	s_and_saveexec_b32 s23, s2
; %bb.116:                              ;   in Loop: Header=BB322_13 Depth=1
	v_clz_i32_u32_e32 v33, v7
	s_delay_alu instid0(VALU_DEP_1) | instskip(NEXT) | instid1(VALU_DEP_1)
	v_min_u32_e32 v115, 32, v33
	v_subrev_nc_u32_e32 v33, 28, v115
	v_sub_nc_u32_e32 v115, 29, v115
	s_delay_alu instid0(VALU_DEP_2) | instskip(NEXT) | instid1(VALU_DEP_1)
	v_lshlrev_b64 v[33:34], v33, v[7:8]
	v_and_b32_e32 v33, 7, v33
; %bb.117:                              ;   in Loop: Header=BB322_13 Depth=1
	s_or_b32 exec_lo, exec_lo, s23
	v_lshlrev_b32_e32 v7, 8, v118
	v_lshl_add_u32 v34, v115, 10, 0x2000
	s_delay_alu instid0(VALU_DEP_1) | instskip(NEXT) | instid1(VALU_DEP_1)
	v_and_or_b32 v7, 0x8000, v7, v34
	v_lshl_or_b32 v7, v33, 7, v7
	s_delay_alu instid0(VALU_DEP_1)
	v_cvt_f32_f16_e32 v115, v7
.LBB322_118:                            ;   in Loop: Header=BB322_13 Depth=1
	s_or_b32 exec_lo, exec_lo, s22
.LBB322_119:                            ;   in Loop: Header=BB322_13 Depth=1
	s_delay_alu instid0(SALU_CYCLE_1)
	s_or_b32 exec_lo, exec_lo, s21
.LBB322_120:                            ;   in Loop: Header=BB322_13 Depth=1
	s_delay_alu instid0(SALU_CYCLE_1) | instskip(SKIP_2) | instid1(VALU_DEP_1)
	s_or_b32 exec_lo, exec_lo, s20
	v_lshrrev_b16 v7, 8, v118
	s_mov_b32 s20, exec_lo
	v_cmpx_ne_u16_e32 0, v7
	s_cbranch_execz .LBB322_128
; %bb.121:                              ;   in Loop: Header=BB322_13 Depth=1
	v_bfrev_b32_e32 v114, 1
	s_mov_b32 s21, exec_lo
	v_cmpx_ne_u16_e32 0x80, v7
	s_cbranch_execz .LBB322_127
; %bb.122:                              ;   in Loop: Header=BB322_13 Depth=1
	v_and_b32_e32 v116, 0xffff, v7
	v_mov_b32_e32 v114, 0x7fc02000
	s_mov_b32 s22, exec_lo
	s_delay_alu instid0(VALU_DEP_2) | instskip(NEXT) | instid1(VALU_DEP_1)
	v_and_b32_e32 v33, 0x7f, v116
	v_cmpx_ne_u32_e32 0x7f, v33
	s_cbranch_execz .LBB322_126
; %bb.123:                              ;   in Loop: Header=BB322_13 Depth=1
	v_and_b32_e32 v7, 7, v116
	v_lshrrev_b32_e32 v114, 3, v33
	v_cmp_gt_u32_e64 s2, 8, v33
	s_delay_alu instid0(VALU_DEP_3) | instskip(NEXT) | instid1(VALU_DEP_2)
	v_dual_mov_b32 v34, v8 :: v_dual_mov_b32 v33, v7
	s_and_saveexec_b32 s23, s2
; %bb.124:                              ;   in Loop: Header=BB322_13 Depth=1
	v_clz_i32_u32_e32 v33, v7
	s_delay_alu instid0(VALU_DEP_1) | instskip(NEXT) | instid1(VALU_DEP_1)
	v_min_u32_e32 v114, 32, v33
	v_subrev_nc_u32_e32 v33, 28, v114
	v_sub_nc_u32_e32 v114, 29, v114
	s_delay_alu instid0(VALU_DEP_2) | instskip(NEXT) | instid1(VALU_DEP_1)
	v_lshlrev_b64 v[33:34], v33, v[7:8]
	v_and_b32_e32 v33, 7, v33
; %bb.125:                              ;   in Loop: Header=BB322_13 Depth=1
	s_or_b32 exec_lo, exec_lo, s23
	v_lshlrev_b32_e32 v7, 8, v116
	v_lshl_add_u32 v34, v114, 10, 0x2000
	s_delay_alu instid0(VALU_DEP_1) | instskip(NEXT) | instid1(VALU_DEP_1)
	v_and_or_b32 v7, 0x8000, v7, v34
	v_lshl_or_b32 v7, v33, 7, v7
	s_delay_alu instid0(VALU_DEP_1)
	v_cvt_f32_f16_e32 v114, v7
.LBB322_126:                            ;   in Loop: Header=BB322_13 Depth=1
	s_or_b32 exec_lo, exec_lo, s22
.LBB322_127:                            ;   in Loop: Header=BB322_13 Depth=1
	s_delay_alu instid0(SALU_CYCLE_1)
	s_or_b32 exec_lo, exec_lo, s21
.LBB322_128:                            ;   in Loop: Header=BB322_13 Depth=1
	s_delay_alu instid0(SALU_CYCLE_1) | instskip(SKIP_3) | instid1(VALU_DEP_2)
	s_or_b32 exec_lo, exec_lo, s20
	v_lshrrev_b32_e32 v119, 16, v118
	v_mov_b32_e32 v117, 0
	s_mov_b32 s20, exec_lo
	v_dual_mov_b32 v116, 0 :: v_dual_and_b32 v7, 0xff, v119
	s_delay_alu instid0(VALU_DEP_1)
	v_cmpx_ne_u16_e32 0, v7
	s_cbranch_execz .LBB322_136
; %bb.129:                              ;   in Loop: Header=BB322_13 Depth=1
	v_bfrev_b32_e32 v117, 1
	s_mov_b32 s21, exec_lo
	v_cmpx_ne_u16_e32 0x80, v7
	s_cbranch_execz .LBB322_135
; %bb.130:                              ;   in Loop: Header=BB322_13 Depth=1
	v_bfe_u32 v33, v118, 16, 7
	v_mov_b32_e32 v117, 0x7fc02000
	s_mov_b32 s22, exec_lo
	s_delay_alu instid0(VALU_DEP_2)
	v_cmpx_ne_u32_e32 0x7f, v33
	s_cbranch_execz .LBB322_134
; %bb.131:                              ;   in Loop: Header=BB322_13 Depth=1
	v_and_b32_e32 v7, 7, v119
	v_lshrrev_b32_e32 v117, 3, v33
	v_cmp_gt_u32_e64 s2, 8, v33
	s_delay_alu instid0(VALU_DEP_3) | instskip(NEXT) | instid1(VALU_DEP_2)
	v_dual_mov_b32 v34, v8 :: v_dual_mov_b32 v33, v7
	s_and_saveexec_b32 s23, s2
; %bb.132:                              ;   in Loop: Header=BB322_13 Depth=1
	v_clz_i32_u32_e32 v33, v7
	s_delay_alu instid0(VALU_DEP_1) | instskip(NEXT) | instid1(VALU_DEP_1)
	v_min_u32_e32 v117, 32, v33
	v_subrev_nc_u32_e32 v33, 28, v117
	v_sub_nc_u32_e32 v117, 29, v117
	s_delay_alu instid0(VALU_DEP_2) | instskip(NEXT) | instid1(VALU_DEP_1)
	v_lshlrev_b64 v[33:34], v33, v[7:8]
	v_and_b32_e32 v33, 7, v33
; %bb.133:                              ;   in Loop: Header=BB322_13 Depth=1
	s_or_b32 exec_lo, exec_lo, s23
	v_lshlrev_b32_e32 v7, 8, v119
	v_lshl_add_u32 v34, v117, 10, 0x2000
	s_delay_alu instid0(VALU_DEP_1) | instskip(NEXT) | instid1(VALU_DEP_1)
	v_and_or_b32 v7, 0x8000, v7, v34
	v_lshl_or_b32 v7, v33, 7, v7
	s_delay_alu instid0(VALU_DEP_1)
	v_cvt_f32_f16_e32 v117, v7
.LBB322_134:                            ;   in Loop: Header=BB322_13 Depth=1
	s_or_b32 exec_lo, exec_lo, s22
.LBB322_135:                            ;   in Loop: Header=BB322_13 Depth=1
	s_delay_alu instid0(SALU_CYCLE_1)
	s_or_b32 exec_lo, exec_lo, s21
.LBB322_136:                            ;   in Loop: Header=BB322_13 Depth=1
	s_delay_alu instid0(SALU_CYCLE_1) | instskip(NEXT) | instid1(SALU_CYCLE_1)
	s_or_b32 exec_lo, exec_lo, s20
	s_mov_b32 s20, exec_lo
	v_cmpx_lt_u32_e32 0xffffff, v118
	s_cbranch_execz .LBB322_144
; %bb.137:                              ;   in Loop: Header=BB322_13 Depth=1
	v_lshrrev_b32_e32 v118, 24, v118
	v_bfrev_b32_e32 v116, 1
	s_mov_b32 s21, exec_lo
	s_delay_alu instid0(VALU_DEP_2)
	v_cmpx_ne_u32_e32 0x80, v118
	s_cbranch_execz .LBB322_143
; %bb.138:                              ;   in Loop: Header=BB322_13 Depth=1
	v_and_b32_e32 v33, 0x7f, v118
	v_mov_b32_e32 v116, 0x7fc02000
	s_mov_b32 s22, exec_lo
	s_delay_alu instid0(VALU_DEP_2)
	v_cmpx_ne_u32_e32 0x7f, v33
	s_cbranch_execz .LBB322_142
; %bb.139:                              ;   in Loop: Header=BB322_13 Depth=1
	v_and_b32_e32 v7, 7, v118
	v_lshrrev_b32_e32 v116, 3, v33
	v_cmp_gt_u32_e64 s2, 8, v33
	s_delay_alu instid0(VALU_DEP_3) | instskip(NEXT) | instid1(VALU_DEP_2)
	v_dual_mov_b32 v34, v8 :: v_dual_mov_b32 v33, v7
	s_and_saveexec_b32 s23, s2
; %bb.140:                              ;   in Loop: Header=BB322_13 Depth=1
	v_clz_i32_u32_e32 v33, v7
	s_delay_alu instid0(VALU_DEP_1) | instskip(NEXT) | instid1(VALU_DEP_1)
	v_min_u32_e32 v116, 32, v33
	v_subrev_nc_u32_e32 v33, 28, v116
	v_sub_nc_u32_e32 v116, 29, v116
	s_delay_alu instid0(VALU_DEP_2) | instskip(NEXT) | instid1(VALU_DEP_1)
	v_lshlrev_b64 v[33:34], v33, v[7:8]
	v_and_b32_e32 v33, 7, v33
; %bb.141:                              ;   in Loop: Header=BB322_13 Depth=1
	s_or_b32 exec_lo, exec_lo, s23
	v_lshlrev_b32_e32 v7, 8, v118
	v_lshl_add_u32 v34, v116, 10, 0x2000
	s_delay_alu instid0(VALU_DEP_1) | instskip(NEXT) | instid1(VALU_DEP_1)
	v_and_or_b32 v7, 0x8000, v7, v34
	v_lshl_or_b32 v7, v33, 7, v7
	s_delay_alu instid0(VALU_DEP_1)
	v_cvt_f32_f16_e32 v116, v7
.LBB322_142:                            ;   in Loop: Header=BB322_13 Depth=1
	s_or_b32 exec_lo, exec_lo, s22
.LBB322_143:                            ;   in Loop: Header=BB322_13 Depth=1
	s_delay_alu instid0(SALU_CYCLE_1)
	s_or_b32 exec_lo, exec_lo, s21
.LBB322_144:                            ;   in Loop: Header=BB322_13 Depth=1
	s_delay_alu instid0(SALU_CYCLE_1)
	s_or_b32 exec_lo, exec_lo, s20
	flat_load_b32 v130, v[31:32] offset:512
	v_mov_b32_e32 v119, 0
	s_mov_b32 s20, exec_lo
	s_waitcnt vmcnt(0) lgkmcnt(0)
	v_dual_mov_b32 v118, 0 :: v_dual_and_b32 v7, 0xff, v130
	s_delay_alu instid0(VALU_DEP_1)
	v_cmpx_ne_u16_e32 0, v7
	s_cbranch_execz .LBB322_152
; %bb.145:                              ;   in Loop: Header=BB322_13 Depth=1
	v_bfrev_b32_e32 v119, 1
	s_mov_b32 s21, exec_lo
	v_cmpx_ne_u16_e32 0x80, v7
	s_cbranch_execz .LBB322_151
; %bb.146:                              ;   in Loop: Header=BB322_13 Depth=1
	v_and_b32_e32 v33, 0x7f, v130
	v_mov_b32_e32 v119, 0x7fc02000
	s_mov_b32 s22, exec_lo
	s_delay_alu instid0(VALU_DEP_2)
	v_cmpx_ne_u32_e32 0x7f, v33
	s_cbranch_execz .LBB322_150
; %bb.147:                              ;   in Loop: Header=BB322_13 Depth=1
	v_and_b32_e32 v7, 7, v130
	v_lshrrev_b32_e32 v119, 3, v33
	v_cmp_gt_u32_e64 s2, 8, v33
	s_delay_alu instid0(VALU_DEP_3) | instskip(NEXT) | instid1(VALU_DEP_2)
	v_dual_mov_b32 v34, v8 :: v_dual_mov_b32 v33, v7
	s_and_saveexec_b32 s23, s2
; %bb.148:                              ;   in Loop: Header=BB322_13 Depth=1
	v_clz_i32_u32_e32 v33, v7
	s_delay_alu instid0(VALU_DEP_1) | instskip(NEXT) | instid1(VALU_DEP_1)
	v_min_u32_e32 v119, 32, v33
	v_subrev_nc_u32_e32 v33, 28, v119
	v_sub_nc_u32_e32 v119, 29, v119
	s_delay_alu instid0(VALU_DEP_2) | instskip(NEXT) | instid1(VALU_DEP_1)
	v_lshlrev_b64 v[33:34], v33, v[7:8]
	v_and_b32_e32 v33, 7, v33
; %bb.149:                              ;   in Loop: Header=BB322_13 Depth=1
	s_or_b32 exec_lo, exec_lo, s23
	v_lshlrev_b32_e32 v7, 8, v130
	v_lshl_add_u32 v34, v119, 10, 0x2000
	s_delay_alu instid0(VALU_DEP_1) | instskip(NEXT) | instid1(VALU_DEP_1)
	v_and_or_b32 v7, 0x8000, v7, v34
	v_lshl_or_b32 v7, v33, 7, v7
	s_delay_alu instid0(VALU_DEP_1)
	v_cvt_f32_f16_e32 v119, v7
.LBB322_150:                            ;   in Loop: Header=BB322_13 Depth=1
	s_or_b32 exec_lo, exec_lo, s22
.LBB322_151:                            ;   in Loop: Header=BB322_13 Depth=1
	s_delay_alu instid0(SALU_CYCLE_1)
	s_or_b32 exec_lo, exec_lo, s21
.LBB322_152:                            ;   in Loop: Header=BB322_13 Depth=1
	s_delay_alu instid0(SALU_CYCLE_1) | instskip(SKIP_2) | instid1(VALU_DEP_1)
	s_or_b32 exec_lo, exec_lo, s20
	v_lshrrev_b16 v7, 8, v130
	s_mov_b32 s20, exec_lo
	v_cmpx_ne_u16_e32 0, v7
	s_cbranch_execz .LBB322_160
; %bb.153:                              ;   in Loop: Header=BB322_13 Depth=1
	v_bfrev_b32_e32 v118, 1
	s_mov_b32 s21, exec_lo
	v_cmpx_ne_u16_e32 0x80, v7
	s_cbranch_execz .LBB322_159
; %bb.154:                              ;   in Loop: Header=BB322_13 Depth=1
	v_and_b32_e32 v128, 0xffff, v7
	v_mov_b32_e32 v118, 0x7fc02000
	s_mov_b32 s22, exec_lo
	s_delay_alu instid0(VALU_DEP_2) | instskip(NEXT) | instid1(VALU_DEP_1)
	v_and_b32_e32 v33, 0x7f, v128
	v_cmpx_ne_u32_e32 0x7f, v33
	s_cbranch_execz .LBB322_158
; %bb.155:                              ;   in Loop: Header=BB322_13 Depth=1
	v_and_b32_e32 v7, 7, v128
	v_lshrrev_b32_e32 v118, 3, v33
	v_cmp_gt_u32_e64 s2, 8, v33
	s_delay_alu instid0(VALU_DEP_3) | instskip(NEXT) | instid1(VALU_DEP_2)
	v_dual_mov_b32 v34, v8 :: v_dual_mov_b32 v33, v7
	s_and_saveexec_b32 s23, s2
; %bb.156:                              ;   in Loop: Header=BB322_13 Depth=1
	v_clz_i32_u32_e32 v33, v7
	s_delay_alu instid0(VALU_DEP_1) | instskip(NEXT) | instid1(VALU_DEP_1)
	v_min_u32_e32 v118, 32, v33
	v_subrev_nc_u32_e32 v33, 28, v118
	v_sub_nc_u32_e32 v118, 29, v118
	s_delay_alu instid0(VALU_DEP_2) | instskip(NEXT) | instid1(VALU_DEP_1)
	v_lshlrev_b64 v[33:34], v33, v[7:8]
	v_and_b32_e32 v33, 7, v33
; %bb.157:                              ;   in Loop: Header=BB322_13 Depth=1
	s_or_b32 exec_lo, exec_lo, s23
	v_lshlrev_b32_e32 v7, 8, v128
	v_lshl_add_u32 v34, v118, 10, 0x2000
	s_delay_alu instid0(VALU_DEP_1) | instskip(NEXT) | instid1(VALU_DEP_1)
	v_and_or_b32 v7, 0x8000, v7, v34
	v_lshl_or_b32 v7, v33, 7, v7
	s_delay_alu instid0(VALU_DEP_1)
	v_cvt_f32_f16_e32 v118, v7
.LBB322_158:                            ;   in Loop: Header=BB322_13 Depth=1
	s_or_b32 exec_lo, exec_lo, s22
.LBB322_159:                            ;   in Loop: Header=BB322_13 Depth=1
	s_delay_alu instid0(SALU_CYCLE_1)
	s_or_b32 exec_lo, exec_lo, s21
.LBB322_160:                            ;   in Loop: Header=BB322_13 Depth=1
	s_delay_alu instid0(SALU_CYCLE_1) | instskip(SKIP_3) | instid1(VALU_DEP_2)
	s_or_b32 exec_lo, exec_lo, s20
	v_lshrrev_b32_e32 v131, 16, v130
	v_mov_b32_e32 v129, 0
	s_mov_b32 s20, exec_lo
	v_dual_mov_b32 v128, 0 :: v_dual_and_b32 v7, 0xff, v131
	s_delay_alu instid0(VALU_DEP_1)
	v_cmpx_ne_u16_e32 0, v7
	s_cbranch_execz .LBB322_168
; %bb.161:                              ;   in Loop: Header=BB322_13 Depth=1
	v_bfrev_b32_e32 v129, 1
	s_mov_b32 s21, exec_lo
	v_cmpx_ne_u16_e32 0x80, v7
	s_cbranch_execz .LBB322_167
; %bb.162:                              ;   in Loop: Header=BB322_13 Depth=1
	v_bfe_u32 v33, v130, 16, 7
	v_mov_b32_e32 v129, 0x7fc02000
	s_mov_b32 s22, exec_lo
	s_delay_alu instid0(VALU_DEP_2)
	v_cmpx_ne_u32_e32 0x7f, v33
	s_cbranch_execz .LBB322_166
; %bb.163:                              ;   in Loop: Header=BB322_13 Depth=1
	v_and_b32_e32 v7, 7, v131
	v_lshrrev_b32_e32 v129, 3, v33
	v_cmp_gt_u32_e64 s2, 8, v33
	s_delay_alu instid0(VALU_DEP_3) | instskip(NEXT) | instid1(VALU_DEP_2)
	v_dual_mov_b32 v34, v8 :: v_dual_mov_b32 v33, v7
	s_and_saveexec_b32 s23, s2
; %bb.164:                              ;   in Loop: Header=BB322_13 Depth=1
	v_clz_i32_u32_e32 v33, v7
	s_delay_alu instid0(VALU_DEP_1) | instskip(NEXT) | instid1(VALU_DEP_1)
	v_min_u32_e32 v129, 32, v33
	v_subrev_nc_u32_e32 v33, 28, v129
	v_sub_nc_u32_e32 v129, 29, v129
	s_delay_alu instid0(VALU_DEP_2) | instskip(NEXT) | instid1(VALU_DEP_1)
	v_lshlrev_b64 v[33:34], v33, v[7:8]
	v_and_b32_e32 v33, 7, v33
; %bb.165:                              ;   in Loop: Header=BB322_13 Depth=1
	s_or_b32 exec_lo, exec_lo, s23
	v_lshlrev_b32_e32 v7, 8, v131
	v_lshl_add_u32 v34, v129, 10, 0x2000
	s_delay_alu instid0(VALU_DEP_1) | instskip(NEXT) | instid1(VALU_DEP_1)
	v_and_or_b32 v7, 0x8000, v7, v34
	v_lshl_or_b32 v7, v33, 7, v7
	s_delay_alu instid0(VALU_DEP_1)
	v_cvt_f32_f16_e64 v129, v7
.LBB322_166:                            ;   in Loop: Header=BB322_13 Depth=1
	s_or_b32 exec_lo, exec_lo, s22
.LBB322_167:                            ;   in Loop: Header=BB322_13 Depth=1
	s_delay_alu instid0(SALU_CYCLE_1)
	s_or_b32 exec_lo, exec_lo, s21
.LBB322_168:                            ;   in Loop: Header=BB322_13 Depth=1
	s_delay_alu instid0(SALU_CYCLE_1) | instskip(NEXT) | instid1(SALU_CYCLE_1)
	s_or_b32 exec_lo, exec_lo, s20
	s_mov_b32 s20, exec_lo
	v_cmpx_lt_u32_e32 0xffffff, v130
	s_cbranch_execz .LBB322_176
; %bb.169:                              ;   in Loop: Header=BB322_13 Depth=1
	v_lshrrev_b32_e32 v130, 24, v130
	v_bfrev_b32_e32 v128, 1
	s_mov_b32 s21, exec_lo
	s_delay_alu instid0(VALU_DEP_2)
	v_cmpx_ne_u32_e32 0x80, v130
	s_cbranch_execz .LBB322_175
; %bb.170:                              ;   in Loop: Header=BB322_13 Depth=1
	v_and_b32_e32 v33, 0x7f, v130
	v_mov_b32_e32 v128, 0x7fc02000
	s_mov_b32 s22, exec_lo
	s_delay_alu instid0(VALU_DEP_2)
	v_cmpx_ne_u32_e32 0x7f, v33
	s_cbranch_execz .LBB322_174
; %bb.171:                              ;   in Loop: Header=BB322_13 Depth=1
	v_and_b32_e32 v7, 7, v130
	v_lshrrev_b32_e32 v128, 3, v33
	v_cmp_gt_u32_e64 s2, 8, v33
	s_delay_alu instid0(VALU_DEP_3) | instskip(NEXT) | instid1(VALU_DEP_2)
	v_dual_mov_b32 v34, v8 :: v_dual_mov_b32 v33, v7
	s_and_saveexec_b32 s23, s2
; %bb.172:                              ;   in Loop: Header=BB322_13 Depth=1
	v_clz_i32_u32_e32 v33, v7
	s_delay_alu instid0(VALU_DEP_1) | instskip(NEXT) | instid1(VALU_DEP_1)
	v_min_u32_e32 v128, 32, v33
	v_subrev_nc_u32_e32 v33, 28, v128
	v_sub_nc_u32_e32 v128, 29, v128
	s_delay_alu instid0(VALU_DEP_2) | instskip(NEXT) | instid1(VALU_DEP_1)
	v_lshlrev_b64 v[33:34], v33, v[7:8]
	v_and_b32_e32 v33, 7, v33
; %bb.173:                              ;   in Loop: Header=BB322_13 Depth=1
	s_or_b32 exec_lo, exec_lo, s23
	v_lshlrev_b32_e32 v7, 8, v130
	v_lshl_add_u32 v34, v128, 10, 0x2000
	s_delay_alu instid0(VALU_DEP_1) | instskip(NEXT) | instid1(VALU_DEP_1)
	v_and_or_b32 v7, 0x8000, v7, v34
	v_lshl_or_b32 v7, v33, 7, v7
	s_delay_alu instid0(VALU_DEP_1)
	v_cvt_f32_f16_e64 v128, v7
.LBB322_174:                            ;   in Loop: Header=BB322_13 Depth=1
	s_or_b32 exec_lo, exec_lo, s22
.LBB322_175:                            ;   in Loop: Header=BB322_13 Depth=1
	s_delay_alu instid0(SALU_CYCLE_1)
	s_or_b32 exec_lo, exec_lo, s21
.LBB322_176:                            ;   in Loop: Header=BB322_13 Depth=1
	s_delay_alu instid0(SALU_CYCLE_1)
	s_or_b32 exec_lo, exec_lo, s20
	flat_load_b32 v134, v[31:32] offset:520
	v_mov_b32_e32 v131, 0
	s_mov_b32 s20, exec_lo
	s_waitcnt vmcnt(0) lgkmcnt(0)
	v_dual_mov_b32 v130, 0 :: v_dual_and_b32 v7, 0xff, v134
	s_delay_alu instid0(VALU_DEP_1)
	v_cmpx_ne_u16_e32 0, v7
	s_cbranch_execz .LBB322_184
; %bb.177:                              ;   in Loop: Header=BB322_13 Depth=1
	v_bfrev_b32_e32 v131, 1
	s_mov_b32 s21, exec_lo
	v_cmpx_ne_u16_e32 0x80, v7
	s_cbranch_execz .LBB322_183
; %bb.178:                              ;   in Loop: Header=BB322_13 Depth=1
	v_and_b32_e32 v33, 0x7f, v134
	v_mov_b32_e32 v131, 0x7fc02000
	s_mov_b32 s22, exec_lo
	s_delay_alu instid0(VALU_DEP_2)
	v_cmpx_ne_u32_e32 0x7f, v33
	s_cbranch_execz .LBB322_182
; %bb.179:                              ;   in Loop: Header=BB322_13 Depth=1
	v_and_b32_e32 v7, 7, v134
	v_lshrrev_b32_e32 v131, 3, v33
	v_cmp_gt_u32_e64 s2, 8, v33
	s_delay_alu instid0(VALU_DEP_3) | instskip(NEXT) | instid1(VALU_DEP_2)
	v_dual_mov_b32 v34, v8 :: v_dual_mov_b32 v33, v7
	s_and_saveexec_b32 s23, s2
; %bb.180:                              ;   in Loop: Header=BB322_13 Depth=1
	v_clz_i32_u32_e32 v33, v7
	s_delay_alu instid0(VALU_DEP_1) | instskip(NEXT) | instid1(VALU_DEP_1)
	v_min_u32_e32 v131, 32, v33
	v_subrev_nc_u32_e32 v33, 28, v131
	v_sub_nc_u32_e32 v131, 29, v131
	s_delay_alu instid0(VALU_DEP_2) | instskip(NEXT) | instid1(VALU_DEP_1)
	v_lshlrev_b64 v[33:34], v33, v[7:8]
	v_and_b32_e32 v33, 7, v33
; %bb.181:                              ;   in Loop: Header=BB322_13 Depth=1
	s_or_b32 exec_lo, exec_lo, s23
	v_lshlrev_b32_e32 v7, 8, v134
	v_lshl_add_u32 v34, v131, 10, 0x2000
	s_delay_alu instid0(VALU_DEP_1) | instskip(NEXT) | instid1(VALU_DEP_1)
	v_and_or_b32 v7, 0x8000, v7, v34
	v_lshl_or_b32 v7, v33, 7, v7
	s_delay_alu instid0(VALU_DEP_1)
	v_cvt_f32_f16_e64 v131, v7
.LBB322_182:                            ;   in Loop: Header=BB322_13 Depth=1
	s_or_b32 exec_lo, exec_lo, s22
.LBB322_183:                            ;   in Loop: Header=BB322_13 Depth=1
	s_delay_alu instid0(SALU_CYCLE_1)
	s_or_b32 exec_lo, exec_lo, s21
.LBB322_184:                            ;   in Loop: Header=BB322_13 Depth=1
	s_delay_alu instid0(SALU_CYCLE_1) | instskip(SKIP_2) | instid1(VALU_DEP_1)
	s_or_b32 exec_lo, exec_lo, s20
	v_lshrrev_b16 v7, 8, v134
	s_mov_b32 s20, exec_lo
	v_cmpx_ne_u16_e32 0, v7
	s_cbranch_execz .LBB322_192
; %bb.185:                              ;   in Loop: Header=BB322_13 Depth=1
	v_bfrev_b32_e32 v130, 1
	s_mov_b32 s21, exec_lo
	v_cmpx_ne_u16_e32 0x80, v7
	s_cbranch_execz .LBB322_191
; %bb.186:                              ;   in Loop: Header=BB322_13 Depth=1
	v_and_b32_e32 v132, 0xffff, v7
	v_mov_b32_e32 v130, 0x7fc02000
	s_mov_b32 s22, exec_lo
	s_delay_alu instid0(VALU_DEP_2) | instskip(NEXT) | instid1(VALU_DEP_1)
	v_and_b32_e32 v33, 0x7f, v132
	v_cmpx_ne_u32_e32 0x7f, v33
	s_cbranch_execz .LBB322_190
; %bb.187:                              ;   in Loop: Header=BB322_13 Depth=1
	v_and_b32_e32 v7, 7, v132
	v_lshrrev_b32_e32 v130, 3, v33
	v_cmp_gt_u32_e64 s2, 8, v33
	s_delay_alu instid0(VALU_DEP_3) | instskip(NEXT) | instid1(VALU_DEP_2)
	v_dual_mov_b32 v34, v8 :: v_dual_mov_b32 v33, v7
	s_and_saveexec_b32 s23, s2
; %bb.188:                              ;   in Loop: Header=BB322_13 Depth=1
	v_clz_i32_u32_e32 v33, v7
	s_delay_alu instid0(VALU_DEP_1) | instskip(NEXT) | instid1(VALU_DEP_1)
	v_min_u32_e32 v130, 32, v33
	v_subrev_nc_u32_e32 v33, 28, v130
	v_sub_nc_u32_e32 v130, 29, v130
	s_delay_alu instid0(VALU_DEP_2) | instskip(NEXT) | instid1(VALU_DEP_1)
	v_lshlrev_b64 v[33:34], v33, v[7:8]
	v_and_b32_e32 v33, 7, v33
; %bb.189:                              ;   in Loop: Header=BB322_13 Depth=1
	s_or_b32 exec_lo, exec_lo, s23
	v_lshlrev_b32_e32 v7, 8, v132
	v_lshl_add_u32 v34, v130, 10, 0x2000
	s_delay_alu instid0(VALU_DEP_1) | instskip(NEXT) | instid1(VALU_DEP_1)
	v_and_or_b32 v7, 0x8000, v7, v34
	v_lshl_or_b32 v7, v33, 7, v7
	s_delay_alu instid0(VALU_DEP_1)
	v_cvt_f32_f16_e64 v130, v7
.LBB322_190:                            ;   in Loop: Header=BB322_13 Depth=1
	s_or_b32 exec_lo, exec_lo, s22
.LBB322_191:                            ;   in Loop: Header=BB322_13 Depth=1
	s_delay_alu instid0(SALU_CYCLE_1)
	s_or_b32 exec_lo, exec_lo, s21
.LBB322_192:                            ;   in Loop: Header=BB322_13 Depth=1
	s_delay_alu instid0(SALU_CYCLE_1) | instskip(SKIP_3) | instid1(VALU_DEP_2)
	s_or_b32 exec_lo, exec_lo, s20
	v_lshrrev_b32_e32 v135, 16, v134
	v_mov_b32_e32 v133, 0
	s_mov_b32 s20, exec_lo
	v_dual_mov_b32 v132, 0 :: v_dual_and_b32 v7, 0xff, v135
	s_delay_alu instid0(VALU_DEP_1)
	v_cmpx_ne_u16_e32 0, v7
	s_cbranch_execz .LBB322_200
; %bb.193:                              ;   in Loop: Header=BB322_13 Depth=1
	v_bfrev_b32_e32 v133, 1
	s_mov_b32 s21, exec_lo
	v_cmpx_ne_u16_e32 0x80, v7
	s_cbranch_execz .LBB322_199
; %bb.194:                              ;   in Loop: Header=BB322_13 Depth=1
	v_bfe_u32 v33, v134, 16, 7
	v_mov_b32_e32 v133, 0x7fc02000
	s_mov_b32 s22, exec_lo
	s_delay_alu instid0(VALU_DEP_2)
	v_cmpx_ne_u32_e32 0x7f, v33
	s_cbranch_execz .LBB322_198
; %bb.195:                              ;   in Loop: Header=BB322_13 Depth=1
	v_and_b32_e32 v7, 7, v135
	v_lshrrev_b32_e32 v133, 3, v33
	v_cmp_gt_u32_e64 s2, 8, v33
	s_delay_alu instid0(VALU_DEP_3) | instskip(NEXT) | instid1(VALU_DEP_2)
	v_dual_mov_b32 v34, v8 :: v_dual_mov_b32 v33, v7
	s_and_saveexec_b32 s23, s2
; %bb.196:                              ;   in Loop: Header=BB322_13 Depth=1
	v_clz_i32_u32_e32 v33, v7
	s_delay_alu instid0(VALU_DEP_1) | instskip(NEXT) | instid1(VALU_DEP_1)
	v_min_u32_e32 v133, 32, v33
	v_subrev_nc_u32_e32 v33, 28, v133
	v_sub_nc_u32_e32 v133, 29, v133
	s_delay_alu instid0(VALU_DEP_2) | instskip(NEXT) | instid1(VALU_DEP_1)
	v_lshlrev_b64 v[33:34], v33, v[7:8]
	v_and_b32_e32 v33, 7, v33
; %bb.197:                              ;   in Loop: Header=BB322_13 Depth=1
	s_or_b32 exec_lo, exec_lo, s23
	v_lshlrev_b32_e32 v7, 8, v135
	v_lshl_add_u32 v34, v133, 10, 0x2000
	s_delay_alu instid0(VALU_DEP_1) | instskip(NEXT) | instid1(VALU_DEP_1)
	v_and_or_b32 v7, 0x8000, v7, v34
	v_lshl_or_b32 v7, v33, 7, v7
	s_delay_alu instid0(VALU_DEP_1)
	v_cvt_f32_f16_e64 v133, v7
.LBB322_198:                            ;   in Loop: Header=BB322_13 Depth=1
	s_or_b32 exec_lo, exec_lo, s22
.LBB322_199:                            ;   in Loop: Header=BB322_13 Depth=1
	s_delay_alu instid0(SALU_CYCLE_1)
	s_or_b32 exec_lo, exec_lo, s21
.LBB322_200:                            ;   in Loop: Header=BB322_13 Depth=1
	s_delay_alu instid0(SALU_CYCLE_1) | instskip(NEXT) | instid1(SALU_CYCLE_1)
	s_or_b32 exec_lo, exec_lo, s20
	s_mov_b32 s20, exec_lo
	v_cmpx_lt_u32_e32 0xffffff, v134
	s_cbranch_execz .LBB322_208
; %bb.201:                              ;   in Loop: Header=BB322_13 Depth=1
	v_lshrrev_b32_e32 v134, 24, v134
	v_bfrev_b32_e32 v132, 1
	s_mov_b32 s21, exec_lo
	s_delay_alu instid0(VALU_DEP_2)
	v_cmpx_ne_u32_e32 0x80, v134
	s_cbranch_execz .LBB322_207
; %bb.202:                              ;   in Loop: Header=BB322_13 Depth=1
	v_and_b32_e32 v33, 0x7f, v134
	v_mov_b32_e32 v132, 0x7fc02000
	s_mov_b32 s22, exec_lo
	s_delay_alu instid0(VALU_DEP_2)
	v_cmpx_ne_u32_e32 0x7f, v33
	s_cbranch_execz .LBB322_206
; %bb.203:                              ;   in Loop: Header=BB322_13 Depth=1
	v_and_b32_e32 v7, 7, v134
	v_lshrrev_b32_e32 v132, 3, v33
	v_cmp_gt_u32_e64 s2, 8, v33
	s_delay_alu instid0(VALU_DEP_3) | instskip(NEXT) | instid1(VALU_DEP_2)
	v_dual_mov_b32 v34, v8 :: v_dual_mov_b32 v33, v7
	s_and_saveexec_b32 s23, s2
; %bb.204:                              ;   in Loop: Header=BB322_13 Depth=1
	v_clz_i32_u32_e32 v33, v7
	s_delay_alu instid0(VALU_DEP_1) | instskip(NEXT) | instid1(VALU_DEP_1)
	v_min_u32_e32 v132, 32, v33
	v_subrev_nc_u32_e32 v33, 28, v132
	v_sub_nc_u32_e32 v132, 29, v132
	s_delay_alu instid0(VALU_DEP_2) | instskip(NEXT) | instid1(VALU_DEP_1)
	v_lshlrev_b64 v[33:34], v33, v[7:8]
	v_and_b32_e32 v33, 7, v33
; %bb.205:                              ;   in Loop: Header=BB322_13 Depth=1
	s_or_b32 exec_lo, exec_lo, s23
	v_lshlrev_b32_e32 v7, 8, v134
	v_lshl_add_u32 v34, v132, 10, 0x2000
	s_delay_alu instid0(VALU_DEP_1) | instskip(NEXT) | instid1(VALU_DEP_1)
	v_and_or_b32 v7, 0x8000, v7, v34
	v_lshl_or_b32 v7, v33, 7, v7
	s_delay_alu instid0(VALU_DEP_1)
	v_cvt_f32_f16_e64 v132, v7
.LBB322_206:                            ;   in Loop: Header=BB322_13 Depth=1
	s_or_b32 exec_lo, exec_lo, s22
.LBB322_207:                            ;   in Loop: Header=BB322_13 Depth=1
	s_delay_alu instid0(SALU_CYCLE_1)
	s_or_b32 exec_lo, exec_lo, s21
.LBB322_208:                            ;   in Loop: Header=BB322_13 Depth=1
	s_delay_alu instid0(SALU_CYCLE_1)
	s_or_b32 exec_lo, exec_lo, s20
	flat_load_b32 v146, v[31:32] offset:768
	v_mov_b32_e32 v135, 0
	s_mov_b32 s20, exec_lo
	s_waitcnt vmcnt(0) lgkmcnt(0)
	v_dual_mov_b32 v134, 0 :: v_dual_and_b32 v7, 0xff, v146
	s_delay_alu instid0(VALU_DEP_1)
	v_cmpx_ne_u16_e32 0, v7
	s_cbranch_execz .LBB322_216
; %bb.209:                              ;   in Loop: Header=BB322_13 Depth=1
	v_bfrev_b32_e32 v135, 1
	s_mov_b32 s21, exec_lo
	v_cmpx_ne_u16_e32 0x80, v7
	s_cbranch_execz .LBB322_215
; %bb.210:                              ;   in Loop: Header=BB322_13 Depth=1
	v_and_b32_e32 v33, 0x7f, v146
	v_mov_b32_e32 v135, 0x7fc02000
	s_mov_b32 s22, exec_lo
	s_delay_alu instid0(VALU_DEP_2)
	v_cmpx_ne_u32_e32 0x7f, v33
	s_cbranch_execz .LBB322_214
; %bb.211:                              ;   in Loop: Header=BB322_13 Depth=1
	v_and_b32_e32 v7, 7, v146
	v_lshrrev_b32_e32 v135, 3, v33
	v_cmp_gt_u32_e64 s2, 8, v33
	s_delay_alu instid0(VALU_DEP_3) | instskip(NEXT) | instid1(VALU_DEP_2)
	v_dual_mov_b32 v34, v8 :: v_dual_mov_b32 v33, v7
	s_and_saveexec_b32 s23, s2
; %bb.212:                              ;   in Loop: Header=BB322_13 Depth=1
	v_clz_i32_u32_e32 v33, v7
	s_delay_alu instid0(VALU_DEP_1) | instskip(NEXT) | instid1(VALU_DEP_1)
	v_min_u32_e32 v135, 32, v33
	v_subrev_nc_u32_e32 v33, 28, v135
	v_sub_nc_u32_e32 v135, 29, v135
	s_delay_alu instid0(VALU_DEP_2) | instskip(NEXT) | instid1(VALU_DEP_1)
	v_lshlrev_b64 v[33:34], v33, v[7:8]
	v_and_b32_e32 v33, 7, v33
; %bb.213:                              ;   in Loop: Header=BB322_13 Depth=1
	s_or_b32 exec_lo, exec_lo, s23
	v_lshlrev_b32_e32 v7, 8, v146
	v_lshl_add_u32 v34, v135, 10, 0x2000
	s_delay_alu instid0(VALU_DEP_1) | instskip(NEXT) | instid1(VALU_DEP_1)
	v_and_or_b32 v7, 0x8000, v7, v34
	v_lshl_or_b32 v7, v33, 7, v7
	s_delay_alu instid0(VALU_DEP_1)
	v_cvt_f32_f16_e64 v135, v7
.LBB322_214:                            ;   in Loop: Header=BB322_13 Depth=1
	s_or_b32 exec_lo, exec_lo, s22
.LBB322_215:                            ;   in Loop: Header=BB322_13 Depth=1
	s_delay_alu instid0(SALU_CYCLE_1)
	s_or_b32 exec_lo, exec_lo, s21
.LBB322_216:                            ;   in Loop: Header=BB322_13 Depth=1
	s_delay_alu instid0(SALU_CYCLE_1) | instskip(SKIP_2) | instid1(VALU_DEP_1)
	s_or_b32 exec_lo, exec_lo, s20
	v_lshrrev_b16 v7, 8, v146
	s_mov_b32 s20, exec_lo
	v_cmpx_ne_u16_e32 0, v7
	s_cbranch_execz .LBB322_224
; %bb.217:                              ;   in Loop: Header=BB322_13 Depth=1
	v_bfrev_b32_e32 v134, 1
	s_mov_b32 s21, exec_lo
	v_cmpx_ne_u16_e32 0x80, v7
	s_cbranch_execz .LBB322_223
; %bb.218:                              ;   in Loop: Header=BB322_13 Depth=1
	v_and_b32_e32 v144, 0xffff, v7
	v_mov_b32_e32 v134, 0x7fc02000
	s_mov_b32 s22, exec_lo
	s_delay_alu instid0(VALU_DEP_2) | instskip(NEXT) | instid1(VALU_DEP_1)
	v_and_b32_e32 v33, 0x7f, v144
	v_cmpx_ne_u32_e32 0x7f, v33
	s_cbranch_execz .LBB322_222
; %bb.219:                              ;   in Loop: Header=BB322_13 Depth=1
	v_and_b32_e32 v7, 7, v144
	v_lshrrev_b32_e32 v134, 3, v33
	v_cmp_gt_u32_e64 s2, 8, v33
	s_delay_alu instid0(VALU_DEP_3) | instskip(NEXT) | instid1(VALU_DEP_2)
	v_dual_mov_b32 v34, v8 :: v_dual_mov_b32 v33, v7
	s_and_saveexec_b32 s23, s2
; %bb.220:                              ;   in Loop: Header=BB322_13 Depth=1
	v_clz_i32_u32_e32 v33, v7
	s_delay_alu instid0(VALU_DEP_1) | instskip(NEXT) | instid1(VALU_DEP_1)
	v_min_u32_e32 v134, 32, v33
	v_subrev_nc_u32_e32 v33, 28, v134
	v_sub_nc_u32_e32 v134, 29, v134
	s_delay_alu instid0(VALU_DEP_2) | instskip(NEXT) | instid1(VALU_DEP_1)
	v_lshlrev_b64 v[33:34], v33, v[7:8]
	v_and_b32_e32 v33, 7, v33
; %bb.221:                              ;   in Loop: Header=BB322_13 Depth=1
	s_or_b32 exec_lo, exec_lo, s23
	v_lshlrev_b32_e32 v7, 8, v144
	v_lshl_add_u32 v34, v134, 10, 0x2000
	s_delay_alu instid0(VALU_DEP_1) | instskip(NEXT) | instid1(VALU_DEP_1)
	v_and_or_b32 v7, 0x8000, v7, v34
	v_lshl_or_b32 v7, v33, 7, v7
	s_delay_alu instid0(VALU_DEP_1)
	v_cvt_f32_f16_e64 v134, v7
.LBB322_222:                            ;   in Loop: Header=BB322_13 Depth=1
	s_or_b32 exec_lo, exec_lo, s22
.LBB322_223:                            ;   in Loop: Header=BB322_13 Depth=1
	s_delay_alu instid0(SALU_CYCLE_1)
	s_or_b32 exec_lo, exec_lo, s21
.LBB322_224:                            ;   in Loop: Header=BB322_13 Depth=1
	s_delay_alu instid0(SALU_CYCLE_1) | instskip(SKIP_3) | instid1(VALU_DEP_2)
	s_or_b32 exec_lo, exec_lo, s20
	v_lshrrev_b32_e32 v147, 16, v146
	v_mov_b32_e32 v145, 0
	s_mov_b32 s20, exec_lo
	v_dual_mov_b32 v144, 0 :: v_dual_and_b32 v7, 0xff, v147
	s_delay_alu instid0(VALU_DEP_1)
	v_cmpx_ne_u16_e32 0, v7
	s_cbranch_execz .LBB322_232
; %bb.225:                              ;   in Loop: Header=BB322_13 Depth=1
	v_bfrev_b32_e32 v145, 1
	s_mov_b32 s21, exec_lo
	v_cmpx_ne_u16_e32 0x80, v7
	s_cbranch_execz .LBB322_231
; %bb.226:                              ;   in Loop: Header=BB322_13 Depth=1
	v_bfe_u32 v33, v146, 16, 7
	v_mov_b32_e32 v145, 0x7fc02000
	s_mov_b32 s22, exec_lo
	s_delay_alu instid0(VALU_DEP_2)
	v_cmpx_ne_u32_e32 0x7f, v33
	s_cbranch_execz .LBB322_230
; %bb.227:                              ;   in Loop: Header=BB322_13 Depth=1
	v_and_b32_e32 v7, 7, v147
	v_lshrrev_b32_e32 v145, 3, v33
	v_cmp_gt_u32_e64 s2, 8, v33
	s_delay_alu instid0(VALU_DEP_3) | instskip(NEXT) | instid1(VALU_DEP_2)
	v_dual_mov_b32 v34, v8 :: v_dual_mov_b32 v33, v7
	s_and_saveexec_b32 s23, s2
; %bb.228:                              ;   in Loop: Header=BB322_13 Depth=1
	v_clz_i32_u32_e32 v33, v7
	s_delay_alu instid0(VALU_DEP_1) | instskip(NEXT) | instid1(VALU_DEP_1)
	v_min_u32_e32 v145, 32, v33
	v_subrev_nc_u32_e32 v33, 28, v145
	v_sub_nc_u32_e32 v145, 29, v145
	s_delay_alu instid0(VALU_DEP_2) | instskip(NEXT) | instid1(VALU_DEP_1)
	v_lshlrev_b64 v[33:34], v33, v[7:8]
	v_and_b32_e32 v33, 7, v33
; %bb.229:                              ;   in Loop: Header=BB322_13 Depth=1
	s_or_b32 exec_lo, exec_lo, s23
	v_lshlrev_b32_e32 v7, 8, v147
	v_lshl_add_u32 v34, v145, 10, 0x2000
	s_delay_alu instid0(VALU_DEP_1) | instskip(NEXT) | instid1(VALU_DEP_1)
	v_and_or_b32 v7, 0x8000, v7, v34
	v_lshl_or_b32 v7, v33, 7, v7
	s_delay_alu instid0(VALU_DEP_1)
	v_cvt_f32_f16_e64 v145, v7
.LBB322_230:                            ;   in Loop: Header=BB322_13 Depth=1
	s_or_b32 exec_lo, exec_lo, s22
.LBB322_231:                            ;   in Loop: Header=BB322_13 Depth=1
	s_delay_alu instid0(SALU_CYCLE_1)
	s_or_b32 exec_lo, exec_lo, s21
.LBB322_232:                            ;   in Loop: Header=BB322_13 Depth=1
	s_delay_alu instid0(SALU_CYCLE_1) | instskip(NEXT) | instid1(SALU_CYCLE_1)
	s_or_b32 exec_lo, exec_lo, s20
	s_mov_b32 s20, exec_lo
	v_cmpx_lt_u32_e32 0xffffff, v146
	s_cbranch_execz .LBB322_240
; %bb.233:                              ;   in Loop: Header=BB322_13 Depth=1
	v_lshrrev_b32_e32 v146, 24, v146
	v_bfrev_b32_e32 v144, 1
	s_mov_b32 s21, exec_lo
	s_delay_alu instid0(VALU_DEP_2)
	v_cmpx_ne_u32_e32 0x80, v146
	s_cbranch_execz .LBB322_239
; %bb.234:                              ;   in Loop: Header=BB322_13 Depth=1
	v_and_b32_e32 v33, 0x7f, v146
	v_mov_b32_e32 v144, 0x7fc02000
	s_mov_b32 s22, exec_lo
	s_delay_alu instid0(VALU_DEP_2)
	v_cmpx_ne_u32_e32 0x7f, v33
	s_cbranch_execz .LBB322_238
; %bb.235:                              ;   in Loop: Header=BB322_13 Depth=1
	v_and_b32_e32 v7, 7, v146
	v_lshrrev_b32_e32 v144, 3, v33
	v_cmp_gt_u32_e64 s2, 8, v33
	s_delay_alu instid0(VALU_DEP_3) | instskip(NEXT) | instid1(VALU_DEP_2)
	v_dual_mov_b32 v34, v8 :: v_dual_mov_b32 v33, v7
	s_and_saveexec_b32 s23, s2
; %bb.236:                              ;   in Loop: Header=BB322_13 Depth=1
	v_clz_i32_u32_e32 v33, v7
	s_delay_alu instid0(VALU_DEP_1) | instskip(NEXT) | instid1(VALU_DEP_1)
	v_min_u32_e32 v144, 32, v33
	v_subrev_nc_u32_e32 v33, 28, v144
	v_sub_nc_u32_e32 v144, 29, v144
	s_delay_alu instid0(VALU_DEP_2) | instskip(NEXT) | instid1(VALU_DEP_1)
	v_lshlrev_b64 v[33:34], v33, v[7:8]
	v_and_b32_e32 v33, 7, v33
; %bb.237:                              ;   in Loop: Header=BB322_13 Depth=1
	s_or_b32 exec_lo, exec_lo, s23
	v_lshlrev_b32_e32 v7, 8, v146
	v_lshl_add_u32 v34, v144, 10, 0x2000
	s_delay_alu instid0(VALU_DEP_1) | instskip(NEXT) | instid1(VALU_DEP_1)
	v_and_or_b32 v7, 0x8000, v7, v34
	v_lshl_or_b32 v7, v33, 7, v7
	s_delay_alu instid0(VALU_DEP_1)
	v_cvt_f32_f16_e64 v144, v7
.LBB322_238:                            ;   in Loop: Header=BB322_13 Depth=1
	s_or_b32 exec_lo, exec_lo, s22
.LBB322_239:                            ;   in Loop: Header=BB322_13 Depth=1
	s_delay_alu instid0(SALU_CYCLE_1)
	s_or_b32 exec_lo, exec_lo, s21
.LBB322_240:                            ;   in Loop: Header=BB322_13 Depth=1
	s_delay_alu instid0(SALU_CYCLE_1)
	s_or_b32 exec_lo, exec_lo, s20
	flat_load_b32 v150, v[31:32] offset:776
	v_mov_b32_e32 v147, 0
	s_mov_b32 s20, exec_lo
	s_waitcnt vmcnt(0) lgkmcnt(0)
	v_dual_mov_b32 v146, 0 :: v_dual_and_b32 v7, 0xff, v150
	s_delay_alu instid0(VALU_DEP_1)
	v_cmpx_ne_u16_e32 0, v7
	s_cbranch_execz .LBB322_248
; %bb.241:                              ;   in Loop: Header=BB322_13 Depth=1
	v_bfrev_b32_e32 v147, 1
	s_mov_b32 s21, exec_lo
	v_cmpx_ne_u16_e32 0x80, v7
	s_cbranch_execz .LBB322_247
; %bb.242:                              ;   in Loop: Header=BB322_13 Depth=1
	v_and_b32_e32 v33, 0x7f, v150
	v_mov_b32_e32 v147, 0x7fc02000
	s_mov_b32 s22, exec_lo
	s_delay_alu instid0(VALU_DEP_2)
	v_cmpx_ne_u32_e32 0x7f, v33
	s_cbranch_execz .LBB322_246
; %bb.243:                              ;   in Loop: Header=BB322_13 Depth=1
	v_and_b32_e32 v7, 7, v150
	v_lshrrev_b32_e32 v147, 3, v33
	v_cmp_gt_u32_e64 s2, 8, v33
	s_delay_alu instid0(VALU_DEP_3) | instskip(NEXT) | instid1(VALU_DEP_2)
	v_dual_mov_b32 v34, v8 :: v_dual_mov_b32 v33, v7
	s_and_saveexec_b32 s23, s2
; %bb.244:                              ;   in Loop: Header=BB322_13 Depth=1
	v_clz_i32_u32_e32 v33, v7
	s_delay_alu instid0(VALU_DEP_1) | instskip(NEXT) | instid1(VALU_DEP_1)
	v_min_u32_e32 v147, 32, v33
	v_subrev_nc_u32_e32 v33, 28, v147
	v_sub_nc_u32_e32 v147, 29, v147
	s_delay_alu instid0(VALU_DEP_2) | instskip(NEXT) | instid1(VALU_DEP_1)
	v_lshlrev_b64 v[33:34], v33, v[7:8]
	v_and_b32_e32 v33, 7, v33
; %bb.245:                              ;   in Loop: Header=BB322_13 Depth=1
	s_or_b32 exec_lo, exec_lo, s23
	v_lshlrev_b32_e32 v7, 8, v150
	v_lshl_add_u32 v34, v147, 10, 0x2000
	s_delay_alu instid0(VALU_DEP_1) | instskip(NEXT) | instid1(VALU_DEP_1)
	v_and_or_b32 v7, 0x8000, v7, v34
	v_lshl_or_b32 v7, v33, 7, v7
	s_delay_alu instid0(VALU_DEP_1)
	v_cvt_f32_f16_e64 v147, v7
.LBB322_246:                            ;   in Loop: Header=BB322_13 Depth=1
	s_or_b32 exec_lo, exec_lo, s22
.LBB322_247:                            ;   in Loop: Header=BB322_13 Depth=1
	s_delay_alu instid0(SALU_CYCLE_1)
	s_or_b32 exec_lo, exec_lo, s21
.LBB322_248:                            ;   in Loop: Header=BB322_13 Depth=1
	s_delay_alu instid0(SALU_CYCLE_1) | instskip(SKIP_2) | instid1(VALU_DEP_1)
	s_or_b32 exec_lo, exec_lo, s20
	v_lshrrev_b16 v7, 8, v150
	s_mov_b32 s20, exec_lo
	v_cmpx_ne_u16_e32 0, v7
	s_cbranch_execz .LBB322_256
; %bb.249:                              ;   in Loop: Header=BB322_13 Depth=1
	v_bfrev_b32_e32 v146, 1
	s_mov_b32 s21, exec_lo
	v_cmpx_ne_u16_e32 0x80, v7
	s_cbranch_execz .LBB322_255
; %bb.250:                              ;   in Loop: Header=BB322_13 Depth=1
	v_and_b32_e32 v148, 0xffff, v7
	v_mov_b32_e32 v146, 0x7fc02000
	s_mov_b32 s22, exec_lo
	s_delay_alu instid0(VALU_DEP_2) | instskip(NEXT) | instid1(VALU_DEP_1)
	v_and_b32_e32 v33, 0x7f, v148
	v_cmpx_ne_u32_e32 0x7f, v33
	s_cbranch_execz .LBB322_254
; %bb.251:                              ;   in Loop: Header=BB322_13 Depth=1
	v_and_b32_e32 v7, 7, v148
	v_lshrrev_b32_e32 v146, 3, v33
	v_cmp_gt_u32_e64 s2, 8, v33
	s_delay_alu instid0(VALU_DEP_3) | instskip(NEXT) | instid1(VALU_DEP_2)
	v_dual_mov_b32 v34, v8 :: v_dual_mov_b32 v33, v7
	s_and_saveexec_b32 s23, s2
; %bb.252:                              ;   in Loop: Header=BB322_13 Depth=1
	v_clz_i32_u32_e32 v33, v7
	s_delay_alu instid0(VALU_DEP_1) | instskip(NEXT) | instid1(VALU_DEP_1)
	v_min_u32_e32 v146, 32, v33
	v_subrev_nc_u32_e32 v33, 28, v146
	v_sub_nc_u32_e32 v146, 29, v146
	s_delay_alu instid0(VALU_DEP_2) | instskip(NEXT) | instid1(VALU_DEP_1)
	v_lshlrev_b64 v[33:34], v33, v[7:8]
	v_and_b32_e32 v33, 7, v33
; %bb.253:                              ;   in Loop: Header=BB322_13 Depth=1
	s_or_b32 exec_lo, exec_lo, s23
	v_lshlrev_b32_e32 v7, 8, v148
	v_lshl_add_u32 v34, v146, 10, 0x2000
	s_delay_alu instid0(VALU_DEP_1) | instskip(NEXT) | instid1(VALU_DEP_1)
	v_and_or_b32 v7, 0x8000, v7, v34
	v_lshl_or_b32 v7, v33, 7, v7
	s_delay_alu instid0(VALU_DEP_1)
	v_cvt_f32_f16_e64 v146, v7
.LBB322_254:                            ;   in Loop: Header=BB322_13 Depth=1
	s_or_b32 exec_lo, exec_lo, s22
.LBB322_255:                            ;   in Loop: Header=BB322_13 Depth=1
	s_delay_alu instid0(SALU_CYCLE_1)
	s_or_b32 exec_lo, exec_lo, s21
.LBB322_256:                            ;   in Loop: Header=BB322_13 Depth=1
	s_delay_alu instid0(SALU_CYCLE_1) | instskip(SKIP_3) | instid1(VALU_DEP_2)
	s_or_b32 exec_lo, exec_lo, s20
	v_lshrrev_b32_e32 v151, 16, v150
	v_mov_b32_e32 v149, 0
	s_mov_b32 s20, exec_lo
	v_dual_mov_b32 v148, 0 :: v_dual_and_b32 v7, 0xff, v151
	s_delay_alu instid0(VALU_DEP_1)
	v_cmpx_ne_u16_e32 0, v7
	s_cbranch_execz .LBB322_264
; %bb.257:                              ;   in Loop: Header=BB322_13 Depth=1
	v_bfrev_b32_e32 v149, 1
	s_mov_b32 s21, exec_lo
	v_cmpx_ne_u16_e32 0x80, v7
	s_cbranch_execz .LBB322_263
; %bb.258:                              ;   in Loop: Header=BB322_13 Depth=1
	v_bfe_u32 v33, v150, 16, 7
	v_mov_b32_e32 v149, 0x7fc02000
	s_mov_b32 s22, exec_lo
	s_delay_alu instid0(VALU_DEP_2)
	v_cmpx_ne_u32_e32 0x7f, v33
	s_cbranch_execz .LBB322_262
; %bb.259:                              ;   in Loop: Header=BB322_13 Depth=1
	v_and_b32_e32 v7, 7, v151
	v_lshrrev_b32_e32 v149, 3, v33
	v_cmp_gt_u32_e64 s2, 8, v33
	s_delay_alu instid0(VALU_DEP_3) | instskip(NEXT) | instid1(VALU_DEP_2)
	v_dual_mov_b32 v34, v8 :: v_dual_mov_b32 v33, v7
	s_and_saveexec_b32 s23, s2
; %bb.260:                              ;   in Loop: Header=BB322_13 Depth=1
	v_clz_i32_u32_e32 v33, v7
	s_delay_alu instid0(VALU_DEP_1) | instskip(NEXT) | instid1(VALU_DEP_1)
	v_min_u32_e32 v149, 32, v33
	v_subrev_nc_u32_e32 v33, 28, v149
	v_sub_nc_u32_e32 v149, 29, v149
	s_delay_alu instid0(VALU_DEP_2) | instskip(NEXT) | instid1(VALU_DEP_1)
	v_lshlrev_b64 v[33:34], v33, v[7:8]
	v_and_b32_e32 v33, 7, v33
; %bb.261:                              ;   in Loop: Header=BB322_13 Depth=1
	s_or_b32 exec_lo, exec_lo, s23
	v_lshlrev_b32_e32 v7, 8, v151
	v_lshl_add_u32 v34, v149, 10, 0x2000
	s_delay_alu instid0(VALU_DEP_1) | instskip(NEXT) | instid1(VALU_DEP_1)
	v_and_or_b32 v7, 0x8000, v7, v34
	v_lshl_or_b32 v7, v33, 7, v7
	s_delay_alu instid0(VALU_DEP_1)
	v_cvt_f32_f16_e64 v149, v7
.LBB322_262:                            ;   in Loop: Header=BB322_13 Depth=1
	s_or_b32 exec_lo, exec_lo, s22
.LBB322_263:                            ;   in Loop: Header=BB322_13 Depth=1
	s_delay_alu instid0(SALU_CYCLE_1)
	s_or_b32 exec_lo, exec_lo, s21
.LBB322_264:                            ;   in Loop: Header=BB322_13 Depth=1
	s_delay_alu instid0(SALU_CYCLE_1) | instskip(NEXT) | instid1(SALU_CYCLE_1)
	s_or_b32 exec_lo, exec_lo, s20
	s_mov_b32 s20, exec_lo
	v_cmpx_lt_u32_e32 0xffffff, v150
	s_cbranch_execz .LBB322_272
; %bb.265:                              ;   in Loop: Header=BB322_13 Depth=1
	v_lshrrev_b32_e32 v150, 24, v150
	v_bfrev_b32_e32 v148, 1
	s_mov_b32 s21, exec_lo
	s_delay_alu instid0(VALU_DEP_2)
	v_cmpx_ne_u32_e32 0x80, v150
	s_cbranch_execz .LBB322_271
; %bb.266:                              ;   in Loop: Header=BB322_13 Depth=1
	v_and_b32_e32 v33, 0x7f, v150
	v_mov_b32_e32 v148, 0x7fc02000
	s_mov_b32 s22, exec_lo
	s_delay_alu instid0(VALU_DEP_2)
	v_cmpx_ne_u32_e32 0x7f, v33
	s_cbranch_execz .LBB322_270
; %bb.267:                              ;   in Loop: Header=BB322_13 Depth=1
	v_and_b32_e32 v7, 7, v150
	v_lshrrev_b32_e32 v148, 3, v33
	v_cmp_gt_u32_e64 s2, 8, v33
	s_delay_alu instid0(VALU_DEP_3) | instskip(NEXT) | instid1(VALU_DEP_2)
	v_dual_mov_b32 v34, v8 :: v_dual_mov_b32 v33, v7
	s_and_saveexec_b32 s23, s2
; %bb.268:                              ;   in Loop: Header=BB322_13 Depth=1
	v_clz_i32_u32_e32 v33, v7
	s_delay_alu instid0(VALU_DEP_1) | instskip(NEXT) | instid1(VALU_DEP_1)
	v_min_u32_e32 v148, 32, v33
	v_subrev_nc_u32_e32 v33, 28, v148
	v_sub_nc_u32_e32 v148, 29, v148
	s_delay_alu instid0(VALU_DEP_2) | instskip(NEXT) | instid1(VALU_DEP_1)
	v_lshlrev_b64 v[33:34], v33, v[7:8]
	v_and_b32_e32 v33, 7, v33
; %bb.269:                              ;   in Loop: Header=BB322_13 Depth=1
	s_or_b32 exec_lo, exec_lo, s23
	v_lshlrev_b32_e32 v7, 8, v150
	v_lshl_add_u32 v34, v148, 10, 0x2000
	s_delay_alu instid0(VALU_DEP_1) | instskip(NEXT) | instid1(VALU_DEP_1)
	v_and_or_b32 v7, 0x8000, v7, v34
	v_lshl_or_b32 v7, v33, 7, v7
	s_delay_alu instid0(VALU_DEP_1)
	v_cvt_f32_f16_e64 v148, v7
.LBB322_270:                            ;   in Loop: Header=BB322_13 Depth=1
	s_or_b32 exec_lo, exec_lo, s22
.LBB322_271:                            ;   in Loop: Header=BB322_13 Depth=1
	s_delay_alu instid0(SALU_CYCLE_1)
	s_or_b32 exec_lo, exec_lo, s21
.LBB322_272:                            ;   in Loop: Header=BB322_13 Depth=1
	s_delay_alu instid0(SALU_CYCLE_1)
	s_or_b32 exec_lo, exec_lo, s20
	flat_load_b32 v162, v[31:32] offset:1024
	v_mov_b32_e32 v151, 0
	s_mov_b32 s20, exec_lo
	s_waitcnt vmcnt(0) lgkmcnt(0)
	v_dual_mov_b32 v150, 0 :: v_dual_and_b32 v7, 0xff, v162
	s_delay_alu instid0(VALU_DEP_1)
	v_cmpx_ne_u16_e32 0, v7
	s_cbranch_execz .LBB322_280
; %bb.273:                              ;   in Loop: Header=BB322_13 Depth=1
	v_bfrev_b32_e32 v151, 1
	s_mov_b32 s21, exec_lo
	v_cmpx_ne_u16_e32 0x80, v7
	s_cbranch_execz .LBB322_279
; %bb.274:                              ;   in Loop: Header=BB322_13 Depth=1
	v_and_b32_e32 v33, 0x7f, v162
	v_mov_b32_e32 v151, 0x7fc02000
	s_mov_b32 s22, exec_lo
	s_delay_alu instid0(VALU_DEP_2)
	v_cmpx_ne_u32_e32 0x7f, v33
	s_cbranch_execz .LBB322_278
; %bb.275:                              ;   in Loop: Header=BB322_13 Depth=1
	v_and_b32_e32 v7, 7, v162
	v_lshrrev_b32_e32 v151, 3, v33
	v_cmp_gt_u32_e64 s2, 8, v33
	s_delay_alu instid0(VALU_DEP_3) | instskip(NEXT) | instid1(VALU_DEP_2)
	v_dual_mov_b32 v34, v8 :: v_dual_mov_b32 v33, v7
	s_and_saveexec_b32 s23, s2
; %bb.276:                              ;   in Loop: Header=BB322_13 Depth=1
	v_clz_i32_u32_e32 v33, v7
	s_delay_alu instid0(VALU_DEP_1) | instskip(NEXT) | instid1(VALU_DEP_1)
	v_min_u32_e32 v151, 32, v33
	v_subrev_nc_u32_e32 v33, 28, v151
	v_sub_nc_u32_e32 v151, 29, v151
	s_delay_alu instid0(VALU_DEP_2) | instskip(NEXT) | instid1(VALU_DEP_1)
	v_lshlrev_b64 v[33:34], v33, v[7:8]
	v_and_b32_e32 v33, 7, v33
; %bb.277:                              ;   in Loop: Header=BB322_13 Depth=1
	s_or_b32 exec_lo, exec_lo, s23
	v_lshlrev_b32_e32 v7, 8, v162
	v_lshl_add_u32 v34, v151, 10, 0x2000
	s_delay_alu instid0(VALU_DEP_1) | instskip(NEXT) | instid1(VALU_DEP_1)
	v_and_or_b32 v7, 0x8000, v7, v34
	v_lshl_or_b32 v7, v33, 7, v7
	s_delay_alu instid0(VALU_DEP_1)
	v_cvt_f32_f16_e64 v151, v7
.LBB322_278:                            ;   in Loop: Header=BB322_13 Depth=1
	s_or_b32 exec_lo, exec_lo, s22
.LBB322_279:                            ;   in Loop: Header=BB322_13 Depth=1
	s_delay_alu instid0(SALU_CYCLE_1)
	s_or_b32 exec_lo, exec_lo, s21
.LBB322_280:                            ;   in Loop: Header=BB322_13 Depth=1
	s_delay_alu instid0(SALU_CYCLE_1) | instskip(SKIP_2) | instid1(VALU_DEP_1)
	s_or_b32 exec_lo, exec_lo, s20
	v_lshrrev_b16 v7, 8, v162
	s_mov_b32 s20, exec_lo
	v_cmpx_ne_u16_e32 0, v7
	s_cbranch_execz .LBB322_288
; %bb.281:                              ;   in Loop: Header=BB322_13 Depth=1
	v_bfrev_b32_e32 v150, 1
	s_mov_b32 s21, exec_lo
	v_cmpx_ne_u16_e32 0x80, v7
	s_cbranch_execz .LBB322_287
; %bb.282:                              ;   in Loop: Header=BB322_13 Depth=1
	v_and_b32_e32 v160, 0xffff, v7
	v_mov_b32_e32 v150, 0x7fc02000
	s_mov_b32 s22, exec_lo
	s_delay_alu instid0(VALU_DEP_2) | instskip(NEXT) | instid1(VALU_DEP_1)
	v_and_b32_e32 v33, 0x7f, v160
	v_cmpx_ne_u32_e32 0x7f, v33
	s_cbranch_execz .LBB322_286
; %bb.283:                              ;   in Loop: Header=BB322_13 Depth=1
	v_and_b32_e32 v7, 7, v160
	v_lshrrev_b32_e32 v150, 3, v33
	v_cmp_gt_u32_e64 s2, 8, v33
	s_delay_alu instid0(VALU_DEP_3) | instskip(NEXT) | instid1(VALU_DEP_2)
	v_dual_mov_b32 v34, v8 :: v_dual_mov_b32 v33, v7
	s_and_saveexec_b32 s23, s2
; %bb.284:                              ;   in Loop: Header=BB322_13 Depth=1
	v_clz_i32_u32_e32 v33, v7
	s_delay_alu instid0(VALU_DEP_1) | instskip(NEXT) | instid1(VALU_DEP_1)
	v_min_u32_e32 v150, 32, v33
	v_subrev_nc_u32_e32 v33, 28, v150
	v_sub_nc_u32_e32 v150, 29, v150
	s_delay_alu instid0(VALU_DEP_2) | instskip(NEXT) | instid1(VALU_DEP_1)
	v_lshlrev_b64 v[33:34], v33, v[7:8]
	v_and_b32_e32 v33, 7, v33
; %bb.285:                              ;   in Loop: Header=BB322_13 Depth=1
	s_or_b32 exec_lo, exec_lo, s23
	v_lshlrev_b32_e32 v7, 8, v160
	v_lshl_add_u32 v34, v150, 10, 0x2000
	s_delay_alu instid0(VALU_DEP_1) | instskip(NEXT) | instid1(VALU_DEP_1)
	v_and_or_b32 v7, 0x8000, v7, v34
	v_lshl_or_b32 v7, v33, 7, v7
	s_delay_alu instid0(VALU_DEP_1)
	v_cvt_f32_f16_e64 v150, v7
.LBB322_286:                            ;   in Loop: Header=BB322_13 Depth=1
	s_or_b32 exec_lo, exec_lo, s22
.LBB322_287:                            ;   in Loop: Header=BB322_13 Depth=1
	s_delay_alu instid0(SALU_CYCLE_1)
	s_or_b32 exec_lo, exec_lo, s21
.LBB322_288:                            ;   in Loop: Header=BB322_13 Depth=1
	s_delay_alu instid0(SALU_CYCLE_1) | instskip(SKIP_3) | instid1(VALU_DEP_2)
	s_or_b32 exec_lo, exec_lo, s20
	v_lshrrev_b32_e32 v163, 16, v162
	v_mov_b32_e32 v161, 0
	s_mov_b32 s20, exec_lo
	v_dual_mov_b32 v160, 0 :: v_dual_and_b32 v7, 0xff, v163
	s_delay_alu instid0(VALU_DEP_1)
	v_cmpx_ne_u16_e32 0, v7
	s_cbranch_execz .LBB322_296
; %bb.289:                              ;   in Loop: Header=BB322_13 Depth=1
	v_bfrev_b32_e32 v161, 1
	s_mov_b32 s21, exec_lo
	v_cmpx_ne_u16_e32 0x80, v7
	s_cbranch_execz .LBB322_295
; %bb.290:                              ;   in Loop: Header=BB322_13 Depth=1
	v_bfe_u32 v33, v162, 16, 7
	v_mov_b32_e32 v161, 0x7fc02000
	s_mov_b32 s22, exec_lo
	s_delay_alu instid0(VALU_DEP_2)
	v_cmpx_ne_u32_e32 0x7f, v33
	s_cbranch_execz .LBB322_294
; %bb.291:                              ;   in Loop: Header=BB322_13 Depth=1
	v_and_b32_e32 v7, 7, v163
	v_lshrrev_b32_e32 v161, 3, v33
	v_cmp_gt_u32_e64 s2, 8, v33
	s_delay_alu instid0(VALU_DEP_3) | instskip(NEXT) | instid1(VALU_DEP_2)
	v_dual_mov_b32 v34, v8 :: v_dual_mov_b32 v33, v7
	s_and_saveexec_b32 s23, s2
; %bb.292:                              ;   in Loop: Header=BB322_13 Depth=1
	v_clz_i32_u32_e32 v33, v7
	s_delay_alu instid0(VALU_DEP_1) | instskip(NEXT) | instid1(VALU_DEP_1)
	v_min_u32_e32 v161, 32, v33
	v_subrev_nc_u32_e32 v33, 28, v161
	v_sub_nc_u32_e32 v161, 29, v161
	s_delay_alu instid0(VALU_DEP_2) | instskip(NEXT) | instid1(VALU_DEP_1)
	v_lshlrev_b64 v[33:34], v33, v[7:8]
	v_and_b32_e32 v33, 7, v33
; %bb.293:                              ;   in Loop: Header=BB322_13 Depth=1
	s_or_b32 exec_lo, exec_lo, s23
	v_lshlrev_b32_e32 v7, 8, v163
	v_lshl_add_u32 v34, v161, 10, 0x2000
	s_delay_alu instid0(VALU_DEP_1) | instskip(NEXT) | instid1(VALU_DEP_1)
	v_and_or_b32 v7, 0x8000, v7, v34
	v_lshl_or_b32 v7, v33, 7, v7
	s_delay_alu instid0(VALU_DEP_1)
	v_cvt_f32_f16_e64 v161, v7
.LBB322_294:                            ;   in Loop: Header=BB322_13 Depth=1
	s_or_b32 exec_lo, exec_lo, s22
.LBB322_295:                            ;   in Loop: Header=BB322_13 Depth=1
	s_delay_alu instid0(SALU_CYCLE_1)
	s_or_b32 exec_lo, exec_lo, s21
.LBB322_296:                            ;   in Loop: Header=BB322_13 Depth=1
	s_delay_alu instid0(SALU_CYCLE_1) | instskip(NEXT) | instid1(SALU_CYCLE_1)
	s_or_b32 exec_lo, exec_lo, s20
	s_mov_b32 s20, exec_lo
	v_cmpx_lt_u32_e32 0xffffff, v162
	s_cbranch_execz .LBB322_304
; %bb.297:                              ;   in Loop: Header=BB322_13 Depth=1
	v_lshrrev_b32_e32 v162, 24, v162
	v_bfrev_b32_e32 v160, 1
	s_mov_b32 s21, exec_lo
	s_delay_alu instid0(VALU_DEP_2)
	v_cmpx_ne_u32_e32 0x80, v162
	s_cbranch_execz .LBB322_303
; %bb.298:                              ;   in Loop: Header=BB322_13 Depth=1
	v_and_b32_e32 v33, 0x7f, v162
	v_mov_b32_e32 v160, 0x7fc02000
	s_mov_b32 s22, exec_lo
	s_delay_alu instid0(VALU_DEP_2)
	v_cmpx_ne_u32_e32 0x7f, v33
	s_cbranch_execz .LBB322_302
; %bb.299:                              ;   in Loop: Header=BB322_13 Depth=1
	v_and_b32_e32 v7, 7, v162
	v_lshrrev_b32_e32 v160, 3, v33
	v_cmp_gt_u32_e64 s2, 8, v33
	s_delay_alu instid0(VALU_DEP_3) | instskip(NEXT) | instid1(VALU_DEP_2)
	v_dual_mov_b32 v34, v8 :: v_dual_mov_b32 v33, v7
	s_and_saveexec_b32 s23, s2
; %bb.300:                              ;   in Loop: Header=BB322_13 Depth=1
	v_clz_i32_u32_e32 v33, v7
	s_delay_alu instid0(VALU_DEP_1) | instskip(NEXT) | instid1(VALU_DEP_1)
	v_min_u32_e32 v160, 32, v33
	v_subrev_nc_u32_e32 v33, 28, v160
	v_sub_nc_u32_e32 v160, 29, v160
	s_delay_alu instid0(VALU_DEP_2) | instskip(NEXT) | instid1(VALU_DEP_1)
	v_lshlrev_b64 v[33:34], v33, v[7:8]
	v_and_b32_e32 v33, 7, v33
; %bb.301:                              ;   in Loop: Header=BB322_13 Depth=1
	s_or_b32 exec_lo, exec_lo, s23
	v_lshlrev_b32_e32 v7, 8, v162
	v_lshl_add_u32 v34, v160, 10, 0x2000
	s_delay_alu instid0(VALU_DEP_1) | instskip(NEXT) | instid1(VALU_DEP_1)
	v_and_or_b32 v7, 0x8000, v7, v34
	v_lshl_or_b32 v7, v33, 7, v7
	s_delay_alu instid0(VALU_DEP_1)
	v_cvt_f32_f16_e64 v160, v7
.LBB322_302:                            ;   in Loop: Header=BB322_13 Depth=1
	s_or_b32 exec_lo, exec_lo, s22
.LBB322_303:                            ;   in Loop: Header=BB322_13 Depth=1
	s_delay_alu instid0(SALU_CYCLE_1)
	s_or_b32 exec_lo, exec_lo, s21
.LBB322_304:                            ;   in Loop: Header=BB322_13 Depth=1
	s_delay_alu instid0(SALU_CYCLE_1)
	s_or_b32 exec_lo, exec_lo, s20
	flat_load_b32 v166, v[31:32] offset:1032
	v_mov_b32_e32 v163, 0
	s_mov_b32 s20, exec_lo
	s_waitcnt vmcnt(0) lgkmcnt(0)
	v_dual_mov_b32 v162, 0 :: v_dual_and_b32 v7, 0xff, v166
	s_delay_alu instid0(VALU_DEP_1)
	v_cmpx_ne_u16_e32 0, v7
	s_cbranch_execz .LBB322_312
; %bb.305:                              ;   in Loop: Header=BB322_13 Depth=1
	v_bfrev_b32_e32 v163, 1
	s_mov_b32 s21, exec_lo
	v_cmpx_ne_u16_e32 0x80, v7
	s_cbranch_execz .LBB322_311
; %bb.306:                              ;   in Loop: Header=BB322_13 Depth=1
	v_and_b32_e32 v33, 0x7f, v166
	v_mov_b32_e32 v163, 0x7fc02000
	s_mov_b32 s22, exec_lo
	s_delay_alu instid0(VALU_DEP_2)
	v_cmpx_ne_u32_e32 0x7f, v33
	s_cbranch_execz .LBB322_310
; %bb.307:                              ;   in Loop: Header=BB322_13 Depth=1
	v_and_b32_e32 v7, 7, v166
	v_lshrrev_b32_e32 v163, 3, v33
	v_cmp_gt_u32_e64 s2, 8, v33
	s_delay_alu instid0(VALU_DEP_3) | instskip(NEXT) | instid1(VALU_DEP_2)
	v_dual_mov_b32 v34, v8 :: v_dual_mov_b32 v33, v7
	s_and_saveexec_b32 s23, s2
; %bb.308:                              ;   in Loop: Header=BB322_13 Depth=1
	v_clz_i32_u32_e32 v33, v7
	s_delay_alu instid0(VALU_DEP_1) | instskip(NEXT) | instid1(VALU_DEP_1)
	v_min_u32_e32 v163, 32, v33
	v_subrev_nc_u32_e32 v33, 28, v163
	v_sub_nc_u32_e32 v163, 29, v163
	s_delay_alu instid0(VALU_DEP_2) | instskip(NEXT) | instid1(VALU_DEP_1)
	v_lshlrev_b64 v[33:34], v33, v[7:8]
	v_and_b32_e32 v33, 7, v33
; %bb.309:                              ;   in Loop: Header=BB322_13 Depth=1
	s_or_b32 exec_lo, exec_lo, s23
	v_lshlrev_b32_e32 v7, 8, v166
	v_lshl_add_u32 v34, v163, 10, 0x2000
	s_delay_alu instid0(VALU_DEP_1) | instskip(NEXT) | instid1(VALU_DEP_1)
	v_and_or_b32 v7, 0x8000, v7, v34
	v_lshl_or_b32 v7, v33, 7, v7
	s_delay_alu instid0(VALU_DEP_1)
	v_cvt_f32_f16_e64 v163, v7
.LBB322_310:                            ;   in Loop: Header=BB322_13 Depth=1
	s_or_b32 exec_lo, exec_lo, s22
.LBB322_311:                            ;   in Loop: Header=BB322_13 Depth=1
	s_delay_alu instid0(SALU_CYCLE_1)
	s_or_b32 exec_lo, exec_lo, s21
.LBB322_312:                            ;   in Loop: Header=BB322_13 Depth=1
	s_delay_alu instid0(SALU_CYCLE_1) | instskip(SKIP_2) | instid1(VALU_DEP_1)
	s_or_b32 exec_lo, exec_lo, s20
	v_lshrrev_b16 v7, 8, v166
	s_mov_b32 s20, exec_lo
	v_cmpx_ne_u16_e32 0, v7
	s_cbranch_execz .LBB322_320
; %bb.313:                              ;   in Loop: Header=BB322_13 Depth=1
	v_bfrev_b32_e32 v162, 1
	s_mov_b32 s21, exec_lo
	v_cmpx_ne_u16_e32 0x80, v7
	s_cbranch_execz .LBB322_319
; %bb.314:                              ;   in Loop: Header=BB322_13 Depth=1
	v_and_b32_e32 v164, 0xffff, v7
	v_mov_b32_e32 v162, 0x7fc02000
	s_mov_b32 s22, exec_lo
	s_delay_alu instid0(VALU_DEP_2) | instskip(NEXT) | instid1(VALU_DEP_1)
	v_and_b32_e32 v33, 0x7f, v164
	v_cmpx_ne_u32_e32 0x7f, v33
	s_cbranch_execz .LBB322_318
; %bb.315:                              ;   in Loop: Header=BB322_13 Depth=1
	v_and_b32_e32 v7, 7, v164
	v_lshrrev_b32_e32 v162, 3, v33
	v_cmp_gt_u32_e64 s2, 8, v33
	s_delay_alu instid0(VALU_DEP_3) | instskip(NEXT) | instid1(VALU_DEP_2)
	v_dual_mov_b32 v34, v8 :: v_dual_mov_b32 v33, v7
	s_and_saveexec_b32 s23, s2
; %bb.316:                              ;   in Loop: Header=BB322_13 Depth=1
	v_clz_i32_u32_e32 v33, v7
	s_delay_alu instid0(VALU_DEP_1) | instskip(NEXT) | instid1(VALU_DEP_1)
	v_min_u32_e32 v162, 32, v33
	v_subrev_nc_u32_e32 v33, 28, v162
	v_sub_nc_u32_e32 v162, 29, v162
	s_delay_alu instid0(VALU_DEP_2) | instskip(NEXT) | instid1(VALU_DEP_1)
	v_lshlrev_b64 v[33:34], v33, v[7:8]
	v_and_b32_e32 v33, 7, v33
; %bb.317:                              ;   in Loop: Header=BB322_13 Depth=1
	s_or_b32 exec_lo, exec_lo, s23
	v_lshlrev_b32_e32 v7, 8, v164
	v_lshl_add_u32 v34, v162, 10, 0x2000
	s_delay_alu instid0(VALU_DEP_1) | instskip(NEXT) | instid1(VALU_DEP_1)
	v_and_or_b32 v7, 0x8000, v7, v34
	v_lshl_or_b32 v7, v33, 7, v7
	s_delay_alu instid0(VALU_DEP_1)
	v_cvt_f32_f16_e64 v162, v7
.LBB322_318:                            ;   in Loop: Header=BB322_13 Depth=1
	s_or_b32 exec_lo, exec_lo, s22
.LBB322_319:                            ;   in Loop: Header=BB322_13 Depth=1
	s_delay_alu instid0(SALU_CYCLE_1)
	s_or_b32 exec_lo, exec_lo, s21
.LBB322_320:                            ;   in Loop: Header=BB322_13 Depth=1
	s_delay_alu instid0(SALU_CYCLE_1) | instskip(SKIP_3) | instid1(VALU_DEP_2)
	s_or_b32 exec_lo, exec_lo, s20
	v_lshrrev_b32_e32 v167, 16, v166
	v_mov_b32_e32 v165, 0
	s_mov_b32 s20, exec_lo
	v_dual_mov_b32 v164, 0 :: v_dual_and_b32 v7, 0xff, v167
	s_delay_alu instid0(VALU_DEP_1)
	v_cmpx_ne_u16_e32 0, v7
	s_cbranch_execz .LBB322_328
; %bb.321:                              ;   in Loop: Header=BB322_13 Depth=1
	v_bfrev_b32_e32 v165, 1
	s_mov_b32 s21, exec_lo
	v_cmpx_ne_u16_e32 0x80, v7
	s_cbranch_execz .LBB322_327
; %bb.322:                              ;   in Loop: Header=BB322_13 Depth=1
	v_bfe_u32 v33, v166, 16, 7
	v_mov_b32_e32 v165, 0x7fc02000
	s_mov_b32 s22, exec_lo
	s_delay_alu instid0(VALU_DEP_2)
	v_cmpx_ne_u32_e32 0x7f, v33
	s_cbranch_execz .LBB322_326
; %bb.323:                              ;   in Loop: Header=BB322_13 Depth=1
	v_and_b32_e32 v7, 7, v167
	v_lshrrev_b32_e32 v165, 3, v33
	v_cmp_gt_u32_e64 s2, 8, v33
	s_delay_alu instid0(VALU_DEP_3) | instskip(NEXT) | instid1(VALU_DEP_2)
	v_dual_mov_b32 v34, v8 :: v_dual_mov_b32 v33, v7
	s_and_saveexec_b32 s23, s2
; %bb.324:                              ;   in Loop: Header=BB322_13 Depth=1
	v_clz_i32_u32_e32 v33, v7
	s_delay_alu instid0(VALU_DEP_1) | instskip(NEXT) | instid1(VALU_DEP_1)
	v_min_u32_e32 v165, 32, v33
	v_subrev_nc_u32_e32 v33, 28, v165
	v_sub_nc_u32_e32 v165, 29, v165
	s_delay_alu instid0(VALU_DEP_2) | instskip(NEXT) | instid1(VALU_DEP_1)
	v_lshlrev_b64 v[33:34], v33, v[7:8]
	v_and_b32_e32 v33, 7, v33
; %bb.325:                              ;   in Loop: Header=BB322_13 Depth=1
	s_or_b32 exec_lo, exec_lo, s23
	v_lshlrev_b32_e32 v7, 8, v167
	v_lshl_add_u32 v34, v165, 10, 0x2000
	s_delay_alu instid0(VALU_DEP_1) | instskip(NEXT) | instid1(VALU_DEP_1)
	v_and_or_b32 v7, 0x8000, v7, v34
	v_lshl_or_b32 v7, v33, 7, v7
	s_delay_alu instid0(VALU_DEP_1)
	v_cvt_f32_f16_e64 v165, v7
.LBB322_326:                            ;   in Loop: Header=BB322_13 Depth=1
	s_or_b32 exec_lo, exec_lo, s22
.LBB322_327:                            ;   in Loop: Header=BB322_13 Depth=1
	s_delay_alu instid0(SALU_CYCLE_1)
	s_or_b32 exec_lo, exec_lo, s21
.LBB322_328:                            ;   in Loop: Header=BB322_13 Depth=1
	s_delay_alu instid0(SALU_CYCLE_1) | instskip(NEXT) | instid1(SALU_CYCLE_1)
	s_or_b32 exec_lo, exec_lo, s20
	s_mov_b32 s20, exec_lo
	v_cmpx_lt_u32_e32 0xffffff, v166
	s_cbranch_execz .LBB322_336
; %bb.329:                              ;   in Loop: Header=BB322_13 Depth=1
	v_lshrrev_b32_e32 v166, 24, v166
	v_bfrev_b32_e32 v164, 1
	s_mov_b32 s21, exec_lo
	s_delay_alu instid0(VALU_DEP_2)
	v_cmpx_ne_u32_e32 0x80, v166
	s_cbranch_execz .LBB322_335
; %bb.330:                              ;   in Loop: Header=BB322_13 Depth=1
	v_and_b32_e32 v33, 0x7f, v166
	v_mov_b32_e32 v164, 0x7fc02000
	s_mov_b32 s22, exec_lo
	s_delay_alu instid0(VALU_DEP_2)
	v_cmpx_ne_u32_e32 0x7f, v33
	s_cbranch_execz .LBB322_334
; %bb.331:                              ;   in Loop: Header=BB322_13 Depth=1
	v_and_b32_e32 v7, 7, v166
	v_lshrrev_b32_e32 v164, 3, v33
	v_cmp_gt_u32_e64 s2, 8, v33
	s_delay_alu instid0(VALU_DEP_3) | instskip(NEXT) | instid1(VALU_DEP_2)
	v_dual_mov_b32 v34, v8 :: v_dual_mov_b32 v33, v7
	s_and_saveexec_b32 s23, s2
; %bb.332:                              ;   in Loop: Header=BB322_13 Depth=1
	v_clz_i32_u32_e32 v33, v7
	s_delay_alu instid0(VALU_DEP_1) | instskip(NEXT) | instid1(VALU_DEP_1)
	v_min_u32_e32 v164, 32, v33
	v_subrev_nc_u32_e32 v33, 28, v164
	v_sub_nc_u32_e32 v164, 29, v164
	s_delay_alu instid0(VALU_DEP_2) | instskip(NEXT) | instid1(VALU_DEP_1)
	v_lshlrev_b64 v[33:34], v33, v[7:8]
	v_and_b32_e32 v33, 7, v33
; %bb.333:                              ;   in Loop: Header=BB322_13 Depth=1
	s_or_b32 exec_lo, exec_lo, s23
	v_lshlrev_b32_e32 v7, 8, v166
	v_lshl_add_u32 v34, v164, 10, 0x2000
	s_delay_alu instid0(VALU_DEP_1) | instskip(NEXT) | instid1(VALU_DEP_1)
	v_and_or_b32 v7, 0x8000, v7, v34
	v_lshl_or_b32 v7, v33, 7, v7
	s_delay_alu instid0(VALU_DEP_1)
	v_cvt_f32_f16_e64 v164, v7
.LBB322_334:                            ;   in Loop: Header=BB322_13 Depth=1
	s_or_b32 exec_lo, exec_lo, s22
.LBB322_335:                            ;   in Loop: Header=BB322_13 Depth=1
	s_delay_alu instid0(SALU_CYCLE_1)
	s_or_b32 exec_lo, exec_lo, s21
.LBB322_336:                            ;   in Loop: Header=BB322_13 Depth=1
	s_delay_alu instid0(SALU_CYCLE_1)
	s_or_b32 exec_lo, exec_lo, s20
	flat_load_b32 v178, v[31:32] offset:1280
	v_mov_b32_e32 v167, 0
	s_mov_b32 s20, exec_lo
	s_waitcnt vmcnt(0) lgkmcnt(0)
	v_dual_mov_b32 v166, 0 :: v_dual_and_b32 v7, 0xff, v178
	s_delay_alu instid0(VALU_DEP_1)
	v_cmpx_ne_u16_e32 0, v7
	s_cbranch_execz .LBB322_344
; %bb.337:                              ;   in Loop: Header=BB322_13 Depth=1
	v_bfrev_b32_e32 v167, 1
	s_mov_b32 s21, exec_lo
	v_cmpx_ne_u16_e32 0x80, v7
	s_cbranch_execz .LBB322_343
; %bb.338:                              ;   in Loop: Header=BB322_13 Depth=1
	v_and_b32_e32 v33, 0x7f, v178
	v_mov_b32_e32 v167, 0x7fc02000
	s_mov_b32 s22, exec_lo
	s_delay_alu instid0(VALU_DEP_2)
	v_cmpx_ne_u32_e32 0x7f, v33
	s_cbranch_execz .LBB322_342
; %bb.339:                              ;   in Loop: Header=BB322_13 Depth=1
	v_and_b32_e32 v7, 7, v178
	v_lshrrev_b32_e32 v167, 3, v33
	v_cmp_gt_u32_e64 s2, 8, v33
	s_delay_alu instid0(VALU_DEP_3) | instskip(NEXT) | instid1(VALU_DEP_2)
	v_dual_mov_b32 v34, v8 :: v_dual_mov_b32 v33, v7
	s_and_saveexec_b32 s23, s2
; %bb.340:                              ;   in Loop: Header=BB322_13 Depth=1
	v_clz_i32_u32_e32 v33, v7
	s_delay_alu instid0(VALU_DEP_1) | instskip(NEXT) | instid1(VALU_DEP_1)
	v_min_u32_e32 v167, 32, v33
	v_subrev_nc_u32_e32 v33, 28, v167
	v_sub_nc_u32_e32 v167, 29, v167
	s_delay_alu instid0(VALU_DEP_2) | instskip(NEXT) | instid1(VALU_DEP_1)
	v_lshlrev_b64 v[33:34], v33, v[7:8]
	v_and_b32_e32 v33, 7, v33
; %bb.341:                              ;   in Loop: Header=BB322_13 Depth=1
	s_or_b32 exec_lo, exec_lo, s23
	v_lshlrev_b32_e32 v7, 8, v178
	v_lshl_add_u32 v34, v167, 10, 0x2000
	s_delay_alu instid0(VALU_DEP_1) | instskip(NEXT) | instid1(VALU_DEP_1)
	v_and_or_b32 v7, 0x8000, v7, v34
	v_lshl_or_b32 v7, v33, 7, v7
	s_delay_alu instid0(VALU_DEP_1)
	v_cvt_f32_f16_e64 v167, v7
.LBB322_342:                            ;   in Loop: Header=BB322_13 Depth=1
	s_or_b32 exec_lo, exec_lo, s22
.LBB322_343:                            ;   in Loop: Header=BB322_13 Depth=1
	s_delay_alu instid0(SALU_CYCLE_1)
	s_or_b32 exec_lo, exec_lo, s21
.LBB322_344:                            ;   in Loop: Header=BB322_13 Depth=1
	s_delay_alu instid0(SALU_CYCLE_1) | instskip(SKIP_2) | instid1(VALU_DEP_1)
	s_or_b32 exec_lo, exec_lo, s20
	v_lshrrev_b16 v7, 8, v178
	s_mov_b32 s20, exec_lo
	v_cmpx_ne_u16_e32 0, v7
	s_cbranch_execz .LBB322_352
; %bb.345:                              ;   in Loop: Header=BB322_13 Depth=1
	v_bfrev_b32_e32 v166, 1
	s_mov_b32 s21, exec_lo
	v_cmpx_ne_u16_e32 0x80, v7
	s_cbranch_execz .LBB322_351
; %bb.346:                              ;   in Loop: Header=BB322_13 Depth=1
	v_and_b32_e32 v176, 0xffff, v7
	v_mov_b32_e32 v166, 0x7fc02000
	s_mov_b32 s22, exec_lo
	s_delay_alu instid0(VALU_DEP_2) | instskip(NEXT) | instid1(VALU_DEP_1)
	v_and_b32_e32 v33, 0x7f, v176
	v_cmpx_ne_u32_e32 0x7f, v33
	s_cbranch_execz .LBB322_350
; %bb.347:                              ;   in Loop: Header=BB322_13 Depth=1
	v_and_b32_e32 v7, 7, v176
	v_lshrrev_b32_e32 v166, 3, v33
	v_cmp_gt_u32_e64 s2, 8, v33
	s_delay_alu instid0(VALU_DEP_3) | instskip(NEXT) | instid1(VALU_DEP_2)
	v_dual_mov_b32 v34, v8 :: v_dual_mov_b32 v33, v7
	s_and_saveexec_b32 s23, s2
; %bb.348:                              ;   in Loop: Header=BB322_13 Depth=1
	v_clz_i32_u32_e32 v33, v7
	s_delay_alu instid0(VALU_DEP_1) | instskip(NEXT) | instid1(VALU_DEP_1)
	v_min_u32_e32 v166, 32, v33
	v_subrev_nc_u32_e32 v33, 28, v166
	v_sub_nc_u32_e32 v166, 29, v166
	s_delay_alu instid0(VALU_DEP_2) | instskip(NEXT) | instid1(VALU_DEP_1)
	v_lshlrev_b64 v[33:34], v33, v[7:8]
	v_and_b32_e32 v33, 7, v33
; %bb.349:                              ;   in Loop: Header=BB322_13 Depth=1
	s_or_b32 exec_lo, exec_lo, s23
	v_lshlrev_b32_e32 v7, 8, v176
	v_lshl_add_u32 v34, v166, 10, 0x2000
	s_delay_alu instid0(VALU_DEP_1) | instskip(NEXT) | instid1(VALU_DEP_1)
	v_and_or_b32 v7, 0x8000, v7, v34
	v_lshl_or_b32 v7, v33, 7, v7
	s_delay_alu instid0(VALU_DEP_1)
	v_cvt_f32_f16_e64 v166, v7
.LBB322_350:                            ;   in Loop: Header=BB322_13 Depth=1
	s_or_b32 exec_lo, exec_lo, s22
.LBB322_351:                            ;   in Loop: Header=BB322_13 Depth=1
	s_delay_alu instid0(SALU_CYCLE_1)
	s_or_b32 exec_lo, exec_lo, s21
.LBB322_352:                            ;   in Loop: Header=BB322_13 Depth=1
	s_delay_alu instid0(SALU_CYCLE_1) | instskip(SKIP_3) | instid1(VALU_DEP_2)
	s_or_b32 exec_lo, exec_lo, s20
	v_lshrrev_b32_e32 v179, 16, v178
	v_mov_b32_e32 v177, 0
	s_mov_b32 s20, exec_lo
	v_dual_mov_b32 v176, 0 :: v_dual_and_b32 v7, 0xff, v179
	s_delay_alu instid0(VALU_DEP_1)
	v_cmpx_ne_u16_e32 0, v7
	s_cbranch_execz .LBB322_360
; %bb.353:                              ;   in Loop: Header=BB322_13 Depth=1
	v_bfrev_b32_e32 v177, 1
	s_mov_b32 s21, exec_lo
	v_cmpx_ne_u16_e32 0x80, v7
	s_cbranch_execz .LBB322_359
; %bb.354:                              ;   in Loop: Header=BB322_13 Depth=1
	v_bfe_u32 v33, v178, 16, 7
	v_mov_b32_e32 v177, 0x7fc02000
	s_mov_b32 s22, exec_lo
	s_delay_alu instid0(VALU_DEP_2)
	v_cmpx_ne_u32_e32 0x7f, v33
	s_cbranch_execz .LBB322_358
; %bb.355:                              ;   in Loop: Header=BB322_13 Depth=1
	v_and_b32_e32 v7, 7, v179
	v_lshrrev_b32_e32 v177, 3, v33
	v_cmp_gt_u32_e64 s2, 8, v33
	s_delay_alu instid0(VALU_DEP_3) | instskip(NEXT) | instid1(VALU_DEP_2)
	v_dual_mov_b32 v34, v8 :: v_dual_mov_b32 v33, v7
	s_and_saveexec_b32 s23, s2
; %bb.356:                              ;   in Loop: Header=BB322_13 Depth=1
	v_clz_i32_u32_e32 v33, v7
	s_delay_alu instid0(VALU_DEP_1) | instskip(NEXT) | instid1(VALU_DEP_1)
	v_min_u32_e32 v177, 32, v33
	v_subrev_nc_u32_e32 v33, 28, v177
	v_sub_nc_u32_e32 v177, 29, v177
	s_delay_alu instid0(VALU_DEP_2) | instskip(NEXT) | instid1(VALU_DEP_1)
	v_lshlrev_b64 v[33:34], v33, v[7:8]
	v_and_b32_e32 v33, 7, v33
; %bb.357:                              ;   in Loop: Header=BB322_13 Depth=1
	s_or_b32 exec_lo, exec_lo, s23
	v_lshlrev_b32_e32 v7, 8, v179
	v_lshl_add_u32 v34, v177, 10, 0x2000
	s_delay_alu instid0(VALU_DEP_1) | instskip(NEXT) | instid1(VALU_DEP_1)
	v_and_or_b32 v7, 0x8000, v7, v34
	v_lshl_or_b32 v7, v33, 7, v7
	s_delay_alu instid0(VALU_DEP_1)
	v_cvt_f32_f16_e64 v177, v7
.LBB322_358:                            ;   in Loop: Header=BB322_13 Depth=1
	s_or_b32 exec_lo, exec_lo, s22
.LBB322_359:                            ;   in Loop: Header=BB322_13 Depth=1
	s_delay_alu instid0(SALU_CYCLE_1)
	s_or_b32 exec_lo, exec_lo, s21
.LBB322_360:                            ;   in Loop: Header=BB322_13 Depth=1
	s_delay_alu instid0(SALU_CYCLE_1) | instskip(NEXT) | instid1(SALU_CYCLE_1)
	s_or_b32 exec_lo, exec_lo, s20
	s_mov_b32 s20, exec_lo
	v_cmpx_lt_u32_e32 0xffffff, v178
	s_cbranch_execz .LBB322_368
; %bb.361:                              ;   in Loop: Header=BB322_13 Depth=1
	v_lshrrev_b32_e32 v178, 24, v178
	v_bfrev_b32_e32 v176, 1
	s_mov_b32 s21, exec_lo
	s_delay_alu instid0(VALU_DEP_2)
	v_cmpx_ne_u32_e32 0x80, v178
	s_cbranch_execz .LBB322_367
; %bb.362:                              ;   in Loop: Header=BB322_13 Depth=1
	v_and_b32_e32 v33, 0x7f, v178
	v_mov_b32_e32 v176, 0x7fc02000
	s_mov_b32 s22, exec_lo
	s_delay_alu instid0(VALU_DEP_2)
	v_cmpx_ne_u32_e32 0x7f, v33
	s_cbranch_execz .LBB322_366
; %bb.363:                              ;   in Loop: Header=BB322_13 Depth=1
	v_and_b32_e32 v7, 7, v178
	v_lshrrev_b32_e32 v176, 3, v33
	v_cmp_gt_u32_e64 s2, 8, v33
	s_delay_alu instid0(VALU_DEP_3) | instskip(NEXT) | instid1(VALU_DEP_2)
	v_dual_mov_b32 v34, v8 :: v_dual_mov_b32 v33, v7
	s_and_saveexec_b32 s23, s2
; %bb.364:                              ;   in Loop: Header=BB322_13 Depth=1
	v_clz_i32_u32_e32 v33, v7
	s_delay_alu instid0(VALU_DEP_1) | instskip(NEXT) | instid1(VALU_DEP_1)
	v_min_u32_e32 v176, 32, v33
	v_subrev_nc_u32_e32 v33, 28, v176
	v_sub_nc_u32_e32 v176, 29, v176
	s_delay_alu instid0(VALU_DEP_2) | instskip(NEXT) | instid1(VALU_DEP_1)
	v_lshlrev_b64 v[33:34], v33, v[7:8]
	v_and_b32_e32 v33, 7, v33
; %bb.365:                              ;   in Loop: Header=BB322_13 Depth=1
	s_or_b32 exec_lo, exec_lo, s23
	v_lshlrev_b32_e32 v7, 8, v178
	v_lshl_add_u32 v34, v176, 10, 0x2000
	s_delay_alu instid0(VALU_DEP_1) | instskip(NEXT) | instid1(VALU_DEP_1)
	v_and_or_b32 v7, 0x8000, v7, v34
	v_lshl_or_b32 v7, v33, 7, v7
	s_delay_alu instid0(VALU_DEP_1)
	v_cvt_f32_f16_e64 v176, v7
.LBB322_366:                            ;   in Loop: Header=BB322_13 Depth=1
	s_or_b32 exec_lo, exec_lo, s22
.LBB322_367:                            ;   in Loop: Header=BB322_13 Depth=1
	s_delay_alu instid0(SALU_CYCLE_1)
	s_or_b32 exec_lo, exec_lo, s21
.LBB322_368:                            ;   in Loop: Header=BB322_13 Depth=1
	s_delay_alu instid0(SALU_CYCLE_1)
	s_or_b32 exec_lo, exec_lo, s20
	flat_load_b32 v182, v[31:32] offset:1288
	v_mov_b32_e32 v179, 0
	s_mov_b32 s20, exec_lo
	s_waitcnt vmcnt(0) lgkmcnt(0)
	v_dual_mov_b32 v178, 0 :: v_dual_and_b32 v7, 0xff, v182
	s_delay_alu instid0(VALU_DEP_1)
	v_cmpx_ne_u16_e32 0, v7
	s_cbranch_execz .LBB322_376
; %bb.369:                              ;   in Loop: Header=BB322_13 Depth=1
	v_bfrev_b32_e32 v179, 1
	s_mov_b32 s21, exec_lo
	v_cmpx_ne_u16_e32 0x80, v7
	s_cbranch_execz .LBB322_375
; %bb.370:                              ;   in Loop: Header=BB322_13 Depth=1
	v_and_b32_e32 v33, 0x7f, v182
	v_mov_b32_e32 v179, 0x7fc02000
	s_mov_b32 s22, exec_lo
	s_delay_alu instid0(VALU_DEP_2)
	v_cmpx_ne_u32_e32 0x7f, v33
	s_cbranch_execz .LBB322_374
; %bb.371:                              ;   in Loop: Header=BB322_13 Depth=1
	v_and_b32_e32 v7, 7, v182
	v_lshrrev_b32_e32 v179, 3, v33
	v_cmp_gt_u32_e64 s2, 8, v33
	s_delay_alu instid0(VALU_DEP_3) | instskip(NEXT) | instid1(VALU_DEP_2)
	v_dual_mov_b32 v34, v8 :: v_dual_mov_b32 v33, v7
	s_and_saveexec_b32 s23, s2
; %bb.372:                              ;   in Loop: Header=BB322_13 Depth=1
	v_clz_i32_u32_e32 v33, v7
	s_delay_alu instid0(VALU_DEP_1) | instskip(NEXT) | instid1(VALU_DEP_1)
	v_min_u32_e32 v179, 32, v33
	v_subrev_nc_u32_e32 v33, 28, v179
	v_sub_nc_u32_e32 v179, 29, v179
	s_delay_alu instid0(VALU_DEP_2) | instskip(NEXT) | instid1(VALU_DEP_1)
	v_lshlrev_b64 v[33:34], v33, v[7:8]
	v_and_b32_e32 v33, 7, v33
; %bb.373:                              ;   in Loop: Header=BB322_13 Depth=1
	s_or_b32 exec_lo, exec_lo, s23
	v_lshlrev_b32_e32 v7, 8, v182
	v_lshl_add_u32 v34, v179, 10, 0x2000
	s_delay_alu instid0(VALU_DEP_1) | instskip(NEXT) | instid1(VALU_DEP_1)
	v_and_or_b32 v7, 0x8000, v7, v34
	v_lshl_or_b32 v7, v33, 7, v7
	s_delay_alu instid0(VALU_DEP_1)
	v_cvt_f32_f16_e64 v179, v7
.LBB322_374:                            ;   in Loop: Header=BB322_13 Depth=1
	s_or_b32 exec_lo, exec_lo, s22
.LBB322_375:                            ;   in Loop: Header=BB322_13 Depth=1
	s_delay_alu instid0(SALU_CYCLE_1)
	s_or_b32 exec_lo, exec_lo, s21
.LBB322_376:                            ;   in Loop: Header=BB322_13 Depth=1
	s_delay_alu instid0(SALU_CYCLE_1) | instskip(SKIP_2) | instid1(VALU_DEP_1)
	s_or_b32 exec_lo, exec_lo, s20
	v_lshrrev_b16 v7, 8, v182
	s_mov_b32 s20, exec_lo
	v_cmpx_ne_u16_e32 0, v7
	s_cbranch_execz .LBB322_384
; %bb.377:                              ;   in Loop: Header=BB322_13 Depth=1
	v_bfrev_b32_e32 v178, 1
	s_mov_b32 s21, exec_lo
	v_cmpx_ne_u16_e32 0x80, v7
	s_cbranch_execz .LBB322_383
; %bb.378:                              ;   in Loop: Header=BB322_13 Depth=1
	v_and_b32_e32 v180, 0xffff, v7
	v_mov_b32_e32 v178, 0x7fc02000
	s_mov_b32 s22, exec_lo
	s_delay_alu instid0(VALU_DEP_2) | instskip(NEXT) | instid1(VALU_DEP_1)
	v_and_b32_e32 v33, 0x7f, v180
	v_cmpx_ne_u32_e32 0x7f, v33
	s_cbranch_execz .LBB322_382
; %bb.379:                              ;   in Loop: Header=BB322_13 Depth=1
	v_and_b32_e32 v7, 7, v180
	v_lshrrev_b32_e32 v178, 3, v33
	v_cmp_gt_u32_e64 s2, 8, v33
	s_delay_alu instid0(VALU_DEP_3) | instskip(NEXT) | instid1(VALU_DEP_2)
	v_dual_mov_b32 v34, v8 :: v_dual_mov_b32 v33, v7
	s_and_saveexec_b32 s23, s2
; %bb.380:                              ;   in Loop: Header=BB322_13 Depth=1
	v_clz_i32_u32_e32 v33, v7
	s_delay_alu instid0(VALU_DEP_1) | instskip(NEXT) | instid1(VALU_DEP_1)
	v_min_u32_e32 v178, 32, v33
	v_subrev_nc_u32_e32 v33, 28, v178
	v_sub_nc_u32_e32 v178, 29, v178
	s_delay_alu instid0(VALU_DEP_2) | instskip(NEXT) | instid1(VALU_DEP_1)
	v_lshlrev_b64 v[33:34], v33, v[7:8]
	v_and_b32_e32 v33, 7, v33
; %bb.381:                              ;   in Loop: Header=BB322_13 Depth=1
	s_or_b32 exec_lo, exec_lo, s23
	v_lshlrev_b32_e32 v7, 8, v180
	v_lshl_add_u32 v34, v178, 10, 0x2000
	s_delay_alu instid0(VALU_DEP_1) | instskip(NEXT) | instid1(VALU_DEP_1)
	v_and_or_b32 v7, 0x8000, v7, v34
	v_lshl_or_b32 v7, v33, 7, v7
	s_delay_alu instid0(VALU_DEP_1)
	v_cvt_f32_f16_e64 v178, v7
.LBB322_382:                            ;   in Loop: Header=BB322_13 Depth=1
	s_or_b32 exec_lo, exec_lo, s22
.LBB322_383:                            ;   in Loop: Header=BB322_13 Depth=1
	s_delay_alu instid0(SALU_CYCLE_1)
	s_or_b32 exec_lo, exec_lo, s21
.LBB322_384:                            ;   in Loop: Header=BB322_13 Depth=1
	s_delay_alu instid0(SALU_CYCLE_1) | instskip(SKIP_3) | instid1(VALU_DEP_2)
	s_or_b32 exec_lo, exec_lo, s20
	v_lshrrev_b32_e32 v183, 16, v182
	v_mov_b32_e32 v181, 0
	s_mov_b32 s20, exec_lo
	v_dual_mov_b32 v180, 0 :: v_dual_and_b32 v7, 0xff, v183
	s_delay_alu instid0(VALU_DEP_1)
	v_cmpx_ne_u16_e32 0, v7
	s_cbranch_execz .LBB322_392
; %bb.385:                              ;   in Loop: Header=BB322_13 Depth=1
	v_bfrev_b32_e32 v181, 1
	s_mov_b32 s21, exec_lo
	v_cmpx_ne_u16_e32 0x80, v7
	s_cbranch_execz .LBB322_391
; %bb.386:                              ;   in Loop: Header=BB322_13 Depth=1
	v_bfe_u32 v33, v182, 16, 7
	v_mov_b32_e32 v181, 0x7fc02000
	s_mov_b32 s22, exec_lo
	s_delay_alu instid0(VALU_DEP_2)
	v_cmpx_ne_u32_e32 0x7f, v33
	s_cbranch_execz .LBB322_390
; %bb.387:                              ;   in Loop: Header=BB322_13 Depth=1
	v_and_b32_e32 v7, 7, v183
	v_lshrrev_b32_e32 v181, 3, v33
	v_cmp_gt_u32_e64 s2, 8, v33
	s_delay_alu instid0(VALU_DEP_3) | instskip(NEXT) | instid1(VALU_DEP_2)
	v_dual_mov_b32 v34, v8 :: v_dual_mov_b32 v33, v7
	s_and_saveexec_b32 s23, s2
; %bb.388:                              ;   in Loop: Header=BB322_13 Depth=1
	v_clz_i32_u32_e32 v33, v7
	s_delay_alu instid0(VALU_DEP_1) | instskip(NEXT) | instid1(VALU_DEP_1)
	v_min_u32_e32 v181, 32, v33
	v_subrev_nc_u32_e32 v33, 28, v181
	v_sub_nc_u32_e32 v181, 29, v181
	s_delay_alu instid0(VALU_DEP_2) | instskip(NEXT) | instid1(VALU_DEP_1)
	v_lshlrev_b64 v[33:34], v33, v[7:8]
	v_and_b32_e32 v33, 7, v33
; %bb.389:                              ;   in Loop: Header=BB322_13 Depth=1
	s_or_b32 exec_lo, exec_lo, s23
	v_lshlrev_b32_e32 v7, 8, v183
	v_lshl_add_u32 v34, v181, 10, 0x2000
	s_delay_alu instid0(VALU_DEP_1) | instskip(NEXT) | instid1(VALU_DEP_1)
	v_and_or_b32 v7, 0x8000, v7, v34
	v_lshl_or_b32 v7, v33, 7, v7
	s_delay_alu instid0(VALU_DEP_1)
	v_cvt_f32_f16_e64 v181, v7
.LBB322_390:                            ;   in Loop: Header=BB322_13 Depth=1
	s_or_b32 exec_lo, exec_lo, s22
.LBB322_391:                            ;   in Loop: Header=BB322_13 Depth=1
	s_delay_alu instid0(SALU_CYCLE_1)
	s_or_b32 exec_lo, exec_lo, s21
.LBB322_392:                            ;   in Loop: Header=BB322_13 Depth=1
	s_delay_alu instid0(SALU_CYCLE_1) | instskip(NEXT) | instid1(SALU_CYCLE_1)
	s_or_b32 exec_lo, exec_lo, s20
	s_mov_b32 s20, exec_lo
	v_cmpx_lt_u32_e32 0xffffff, v182
	s_cbranch_execz .LBB322_400
; %bb.393:                              ;   in Loop: Header=BB322_13 Depth=1
	v_lshrrev_b32_e32 v182, 24, v182
	v_bfrev_b32_e32 v180, 1
	s_mov_b32 s21, exec_lo
	s_delay_alu instid0(VALU_DEP_2)
	v_cmpx_ne_u32_e32 0x80, v182
	s_cbranch_execz .LBB322_399
; %bb.394:                              ;   in Loop: Header=BB322_13 Depth=1
	v_and_b32_e32 v33, 0x7f, v182
	v_mov_b32_e32 v180, 0x7fc02000
	s_mov_b32 s22, exec_lo
	s_delay_alu instid0(VALU_DEP_2)
	v_cmpx_ne_u32_e32 0x7f, v33
	s_cbranch_execz .LBB322_398
; %bb.395:                              ;   in Loop: Header=BB322_13 Depth=1
	v_and_b32_e32 v7, 7, v182
	v_lshrrev_b32_e32 v180, 3, v33
	v_cmp_gt_u32_e64 s2, 8, v33
	s_delay_alu instid0(VALU_DEP_3) | instskip(NEXT) | instid1(VALU_DEP_2)
	v_dual_mov_b32 v34, v8 :: v_dual_mov_b32 v33, v7
	s_and_saveexec_b32 s23, s2
; %bb.396:                              ;   in Loop: Header=BB322_13 Depth=1
	v_clz_i32_u32_e32 v33, v7
	s_delay_alu instid0(VALU_DEP_1) | instskip(NEXT) | instid1(VALU_DEP_1)
	v_min_u32_e32 v180, 32, v33
	v_subrev_nc_u32_e32 v33, 28, v180
	v_sub_nc_u32_e32 v180, 29, v180
	s_delay_alu instid0(VALU_DEP_2) | instskip(NEXT) | instid1(VALU_DEP_1)
	v_lshlrev_b64 v[33:34], v33, v[7:8]
	v_and_b32_e32 v33, 7, v33
; %bb.397:                              ;   in Loop: Header=BB322_13 Depth=1
	s_or_b32 exec_lo, exec_lo, s23
	v_lshlrev_b32_e32 v7, 8, v182
	v_lshl_add_u32 v34, v180, 10, 0x2000
	s_delay_alu instid0(VALU_DEP_1) | instskip(NEXT) | instid1(VALU_DEP_1)
	v_and_or_b32 v7, 0x8000, v7, v34
	v_lshl_or_b32 v7, v33, 7, v7
	s_delay_alu instid0(VALU_DEP_1)
	v_cvt_f32_f16_e64 v180, v7
.LBB322_398:                            ;   in Loop: Header=BB322_13 Depth=1
	s_or_b32 exec_lo, exec_lo, s22
.LBB322_399:                            ;   in Loop: Header=BB322_13 Depth=1
	s_delay_alu instid0(SALU_CYCLE_1)
	s_or_b32 exec_lo, exec_lo, s21
.LBB322_400:                            ;   in Loop: Header=BB322_13 Depth=1
	s_delay_alu instid0(SALU_CYCLE_1)
	s_or_b32 exec_lo, exec_lo, s20
	flat_load_b32 v42, v[31:32] offset:1536
	v_mov_b32_e32 v183, 0
	s_mov_b32 s20, exec_lo
	s_waitcnt vmcnt(0) lgkmcnt(0)
	v_dual_mov_b32 v182, 0 :: v_dual_and_b32 v7, 0xff, v42
	s_delay_alu instid0(VALU_DEP_1)
	v_cmpx_ne_u16_e32 0, v7
	s_cbranch_execz .LBB322_408
; %bb.401:                              ;   in Loop: Header=BB322_13 Depth=1
	v_bfrev_b32_e32 v183, 1
	s_mov_b32 s21, exec_lo
	v_cmpx_ne_u16_e32 0x80, v7
	s_cbranch_execz .LBB322_407
; %bb.402:                              ;   in Loop: Header=BB322_13 Depth=1
	v_and_b32_e32 v33, 0x7f, v42
	v_mov_b32_e32 v183, 0x7fc02000
	s_mov_b32 s22, exec_lo
	s_delay_alu instid0(VALU_DEP_2)
	v_cmpx_ne_u32_e32 0x7f, v33
	s_cbranch_execz .LBB322_406
; %bb.403:                              ;   in Loop: Header=BB322_13 Depth=1
	v_and_b32_e32 v7, 7, v42
	v_lshrrev_b32_e32 v183, 3, v33
	v_cmp_gt_u32_e64 s2, 8, v33
	s_delay_alu instid0(VALU_DEP_3) | instskip(NEXT) | instid1(VALU_DEP_2)
	v_dual_mov_b32 v34, v8 :: v_dual_mov_b32 v33, v7
	s_and_saveexec_b32 s23, s2
; %bb.404:                              ;   in Loop: Header=BB322_13 Depth=1
	v_clz_i32_u32_e32 v33, v7
	s_delay_alu instid0(VALU_DEP_1) | instskip(NEXT) | instid1(VALU_DEP_1)
	v_min_u32_e32 v183, 32, v33
	v_subrev_nc_u32_e32 v33, 28, v183
	v_sub_nc_u32_e32 v183, 29, v183
	s_delay_alu instid0(VALU_DEP_2) | instskip(NEXT) | instid1(VALU_DEP_1)
	v_lshlrev_b64 v[33:34], v33, v[7:8]
	v_and_b32_e32 v33, 7, v33
; %bb.405:                              ;   in Loop: Header=BB322_13 Depth=1
	s_or_b32 exec_lo, exec_lo, s23
	v_lshlrev_b32_e32 v7, 8, v42
	v_lshl_add_u32 v34, v183, 10, 0x2000
	s_delay_alu instid0(VALU_DEP_1) | instskip(NEXT) | instid1(VALU_DEP_1)
	v_and_or_b32 v7, 0x8000, v7, v34
	v_lshl_or_b32 v7, v33, 7, v7
	s_delay_alu instid0(VALU_DEP_1)
	v_cvt_f32_f16_e64 v183, v7
.LBB322_406:                            ;   in Loop: Header=BB322_13 Depth=1
	s_or_b32 exec_lo, exec_lo, s22
.LBB322_407:                            ;   in Loop: Header=BB322_13 Depth=1
	s_delay_alu instid0(SALU_CYCLE_1)
	s_or_b32 exec_lo, exec_lo, s21
.LBB322_408:                            ;   in Loop: Header=BB322_13 Depth=1
	s_delay_alu instid0(SALU_CYCLE_1) | instskip(SKIP_2) | instid1(VALU_DEP_1)
	s_or_b32 exec_lo, exec_lo, s20
	v_lshrrev_b16 v7, 8, v42
	s_mov_b32 s20, exec_lo
	v_cmpx_ne_u16_e32 0, v7
	s_cbranch_execz .LBB322_416
; %bb.409:                              ;   in Loop: Header=BB322_13 Depth=1
	v_bfrev_b32_e32 v182, 1
	s_mov_b32 s21, exec_lo
	v_cmpx_ne_u16_e32 0x80, v7
	s_cbranch_execz .LBB322_415
; %bb.410:                              ;   in Loop: Header=BB322_13 Depth=1
	v_and_b32_e32 v40, 0xffff, v7
	v_mov_b32_e32 v182, 0x7fc02000
	s_mov_b32 s22, exec_lo
	s_delay_alu instid0(VALU_DEP_2) | instskip(NEXT) | instid1(VALU_DEP_1)
	v_and_b32_e32 v33, 0x7f, v40
	v_cmpx_ne_u32_e32 0x7f, v33
	s_cbranch_execz .LBB322_414
; %bb.411:                              ;   in Loop: Header=BB322_13 Depth=1
	v_and_b32_e32 v7, 7, v40
	v_lshrrev_b32_e32 v182, 3, v33
	v_cmp_gt_u32_e64 s2, 8, v33
	s_delay_alu instid0(VALU_DEP_3) | instskip(NEXT) | instid1(VALU_DEP_2)
	v_dual_mov_b32 v34, v8 :: v_dual_mov_b32 v33, v7
	s_and_saveexec_b32 s23, s2
; %bb.412:                              ;   in Loop: Header=BB322_13 Depth=1
	v_clz_i32_u32_e32 v33, v7
	s_delay_alu instid0(VALU_DEP_1) | instskip(NEXT) | instid1(VALU_DEP_1)
	v_min_u32_e32 v182, 32, v33
	v_subrev_nc_u32_e32 v33, 28, v182
	v_sub_nc_u32_e32 v182, 29, v182
	s_delay_alu instid0(VALU_DEP_2) | instskip(NEXT) | instid1(VALU_DEP_1)
	v_lshlrev_b64 v[33:34], v33, v[7:8]
	v_and_b32_e32 v33, 7, v33
; %bb.413:                              ;   in Loop: Header=BB322_13 Depth=1
	s_or_b32 exec_lo, exec_lo, s23
	v_lshlrev_b32_e32 v7, 8, v40
	v_lshl_add_u32 v34, v182, 10, 0x2000
	s_delay_alu instid0(VALU_DEP_1) | instskip(NEXT) | instid1(VALU_DEP_1)
	v_and_or_b32 v7, 0x8000, v7, v34
	v_lshl_or_b32 v7, v33, 7, v7
	s_delay_alu instid0(VALU_DEP_1)
	v_cvt_f32_f16_e64 v182, v7
.LBB322_414:                            ;   in Loop: Header=BB322_13 Depth=1
	s_or_b32 exec_lo, exec_lo, s22
.LBB322_415:                            ;   in Loop: Header=BB322_13 Depth=1
	s_delay_alu instid0(SALU_CYCLE_1)
	s_or_b32 exec_lo, exec_lo, s21
.LBB322_416:                            ;   in Loop: Header=BB322_13 Depth=1
	s_delay_alu instid0(SALU_CYCLE_1) | instskip(SKIP_3) | instid1(VALU_DEP_2)
	s_or_b32 exec_lo, exec_lo, s20
	v_lshrrev_b32_e32 v43, 16, v42
	v_mov_b32_e32 v41, 0
	s_mov_b32 s20, exec_lo
	v_dual_mov_b32 v40, 0 :: v_dual_and_b32 v7, 0xff, v43
	s_delay_alu instid0(VALU_DEP_1)
	v_cmpx_ne_u16_e32 0, v7
	s_cbranch_execz .LBB322_424
; %bb.417:                              ;   in Loop: Header=BB322_13 Depth=1
	v_bfrev_b32_e32 v41, 1
	s_mov_b32 s21, exec_lo
	v_cmpx_ne_u16_e32 0x80, v7
	s_cbranch_execz .LBB322_423
; %bb.418:                              ;   in Loop: Header=BB322_13 Depth=1
	v_bfe_u32 v33, v42, 16, 7
	v_mov_b32_e32 v41, 0x7fc02000
	s_mov_b32 s22, exec_lo
	s_delay_alu instid0(VALU_DEP_2)
	v_cmpx_ne_u32_e32 0x7f, v33
	s_cbranch_execz .LBB322_422
; %bb.419:                              ;   in Loop: Header=BB322_13 Depth=1
	v_and_b32_e32 v7, 7, v43
	v_lshrrev_b32_e32 v41, 3, v33
	v_cmp_gt_u32_e64 s2, 8, v33
	s_delay_alu instid0(VALU_DEP_3) | instskip(NEXT) | instid1(VALU_DEP_2)
	v_dual_mov_b32 v34, v8 :: v_dual_mov_b32 v33, v7
	s_and_saveexec_b32 s23, s2
; %bb.420:                              ;   in Loop: Header=BB322_13 Depth=1
	v_clz_i32_u32_e32 v33, v7
	s_delay_alu instid0(VALU_DEP_1) | instskip(NEXT) | instid1(VALU_DEP_1)
	v_min_u32_e32 v41, 32, v33
	v_subrev_nc_u32_e32 v33, 28, v41
	v_sub_nc_u32_e32 v41, 29, v41
	s_delay_alu instid0(VALU_DEP_2) | instskip(NEXT) | instid1(VALU_DEP_1)
	v_lshlrev_b64 v[33:34], v33, v[7:8]
	v_and_b32_e32 v33, 7, v33
; %bb.421:                              ;   in Loop: Header=BB322_13 Depth=1
	s_or_b32 exec_lo, exec_lo, s23
	v_lshlrev_b32_e32 v7, 8, v43
	v_lshl_add_u32 v34, v41, 10, 0x2000
	s_delay_alu instid0(VALU_DEP_1) | instskip(NEXT) | instid1(VALU_DEP_1)
	v_and_or_b32 v7, 0x8000, v7, v34
	v_lshl_or_b32 v7, v33, 7, v7
	s_delay_alu instid0(VALU_DEP_1)
	v_cvt_f32_f16_e32 v41, v7
.LBB322_422:                            ;   in Loop: Header=BB322_13 Depth=1
	s_or_b32 exec_lo, exec_lo, s22
.LBB322_423:                            ;   in Loop: Header=BB322_13 Depth=1
	s_delay_alu instid0(SALU_CYCLE_1)
	s_or_b32 exec_lo, exec_lo, s21
.LBB322_424:                            ;   in Loop: Header=BB322_13 Depth=1
	s_delay_alu instid0(SALU_CYCLE_1) | instskip(NEXT) | instid1(SALU_CYCLE_1)
	s_or_b32 exec_lo, exec_lo, s20
	s_mov_b32 s20, exec_lo
	v_cmpx_lt_u32_e32 0xffffff, v42
	s_cbranch_execz .LBB322_432
; %bb.425:                              ;   in Loop: Header=BB322_13 Depth=1
	v_lshrrev_b32_e32 v42, 24, v42
	v_bfrev_b32_e32 v40, 1
	s_mov_b32 s21, exec_lo
	s_delay_alu instid0(VALU_DEP_2)
	v_cmpx_ne_u32_e32 0x80, v42
	s_cbranch_execz .LBB322_431
; %bb.426:                              ;   in Loop: Header=BB322_13 Depth=1
	v_and_b32_e32 v33, 0x7f, v42
	v_mov_b32_e32 v40, 0x7fc02000
	s_mov_b32 s22, exec_lo
	s_delay_alu instid0(VALU_DEP_2)
	v_cmpx_ne_u32_e32 0x7f, v33
	s_cbranch_execz .LBB322_430
; %bb.427:                              ;   in Loop: Header=BB322_13 Depth=1
	v_and_b32_e32 v7, 7, v42
	v_lshrrev_b32_e32 v40, 3, v33
	v_cmp_gt_u32_e64 s2, 8, v33
	s_delay_alu instid0(VALU_DEP_3) | instskip(NEXT) | instid1(VALU_DEP_2)
	v_dual_mov_b32 v34, v8 :: v_dual_mov_b32 v33, v7
	s_and_saveexec_b32 s23, s2
; %bb.428:                              ;   in Loop: Header=BB322_13 Depth=1
	v_clz_i32_u32_e32 v33, v7
	s_delay_alu instid0(VALU_DEP_1) | instskip(NEXT) | instid1(VALU_DEP_1)
	v_min_u32_e32 v40, 32, v33
	v_subrev_nc_u32_e32 v33, 28, v40
	v_sub_nc_u32_e32 v40, 29, v40
	s_delay_alu instid0(VALU_DEP_2) | instskip(NEXT) | instid1(VALU_DEP_1)
	v_lshlrev_b64 v[33:34], v33, v[7:8]
	v_and_b32_e32 v33, 7, v33
; %bb.429:                              ;   in Loop: Header=BB322_13 Depth=1
	s_or_b32 exec_lo, exec_lo, s23
	v_lshlrev_b32_e32 v7, 8, v42
	v_lshl_add_u32 v34, v40, 10, 0x2000
	s_delay_alu instid0(VALU_DEP_1) | instskip(NEXT) | instid1(VALU_DEP_1)
	v_and_or_b32 v7, 0x8000, v7, v34
	v_lshl_or_b32 v7, v33, 7, v7
	s_delay_alu instid0(VALU_DEP_1)
	v_cvt_f32_f16_e32 v40, v7
.LBB322_430:                            ;   in Loop: Header=BB322_13 Depth=1
	s_or_b32 exec_lo, exec_lo, s22
.LBB322_431:                            ;   in Loop: Header=BB322_13 Depth=1
	s_delay_alu instid0(SALU_CYCLE_1)
	s_or_b32 exec_lo, exec_lo, s21
.LBB322_432:                            ;   in Loop: Header=BB322_13 Depth=1
	s_delay_alu instid0(SALU_CYCLE_1)
	s_or_b32 exec_lo, exec_lo, s20
	flat_load_b32 v46, v[31:32] offset:1544
	v_mov_b32_e32 v43, 0
	s_mov_b32 s20, exec_lo
	s_waitcnt vmcnt(0) lgkmcnt(0)
	v_dual_mov_b32 v42, 0 :: v_dual_and_b32 v7, 0xff, v46
	s_delay_alu instid0(VALU_DEP_1)
	v_cmpx_ne_u16_e32 0, v7
	s_cbranch_execz .LBB322_440
; %bb.433:                              ;   in Loop: Header=BB322_13 Depth=1
	v_bfrev_b32_e32 v43, 1
	s_mov_b32 s21, exec_lo
	v_cmpx_ne_u16_e32 0x80, v7
	s_cbranch_execz .LBB322_439
; %bb.434:                              ;   in Loop: Header=BB322_13 Depth=1
	v_and_b32_e32 v33, 0x7f, v46
	v_mov_b32_e32 v43, 0x7fc02000
	s_mov_b32 s22, exec_lo
	s_delay_alu instid0(VALU_DEP_2)
	v_cmpx_ne_u32_e32 0x7f, v33
	s_cbranch_execz .LBB322_438
; %bb.435:                              ;   in Loop: Header=BB322_13 Depth=1
	v_and_b32_e32 v7, 7, v46
	v_lshrrev_b32_e32 v43, 3, v33
	v_cmp_gt_u32_e64 s2, 8, v33
	s_delay_alu instid0(VALU_DEP_3) | instskip(NEXT) | instid1(VALU_DEP_2)
	v_dual_mov_b32 v34, v8 :: v_dual_mov_b32 v33, v7
	s_and_saveexec_b32 s23, s2
; %bb.436:                              ;   in Loop: Header=BB322_13 Depth=1
	v_clz_i32_u32_e32 v33, v7
	s_delay_alu instid0(VALU_DEP_1) | instskip(NEXT) | instid1(VALU_DEP_1)
	v_min_u32_e32 v43, 32, v33
	v_subrev_nc_u32_e32 v33, 28, v43
	v_sub_nc_u32_e32 v43, 29, v43
	s_delay_alu instid0(VALU_DEP_2) | instskip(NEXT) | instid1(VALU_DEP_1)
	v_lshlrev_b64 v[33:34], v33, v[7:8]
	v_and_b32_e32 v33, 7, v33
; %bb.437:                              ;   in Loop: Header=BB322_13 Depth=1
	s_or_b32 exec_lo, exec_lo, s23
	v_lshlrev_b32_e32 v7, 8, v46
	v_lshl_add_u32 v34, v43, 10, 0x2000
	s_delay_alu instid0(VALU_DEP_1) | instskip(NEXT) | instid1(VALU_DEP_1)
	v_and_or_b32 v7, 0x8000, v7, v34
	v_lshl_or_b32 v7, v33, 7, v7
	s_delay_alu instid0(VALU_DEP_1)
	v_cvt_f32_f16_e32 v43, v7
.LBB322_438:                            ;   in Loop: Header=BB322_13 Depth=1
	s_or_b32 exec_lo, exec_lo, s22
.LBB322_439:                            ;   in Loop: Header=BB322_13 Depth=1
	s_delay_alu instid0(SALU_CYCLE_1)
	s_or_b32 exec_lo, exec_lo, s21
.LBB322_440:                            ;   in Loop: Header=BB322_13 Depth=1
	s_delay_alu instid0(SALU_CYCLE_1) | instskip(SKIP_2) | instid1(VALU_DEP_1)
	s_or_b32 exec_lo, exec_lo, s20
	v_lshrrev_b16 v7, 8, v46
	s_mov_b32 s20, exec_lo
	v_cmpx_ne_u16_e32 0, v7
	s_cbranch_execz .LBB322_448
; %bb.441:                              ;   in Loop: Header=BB322_13 Depth=1
	v_bfrev_b32_e32 v42, 1
	s_mov_b32 s21, exec_lo
	v_cmpx_ne_u16_e32 0x80, v7
	s_cbranch_execz .LBB322_447
; %bb.442:                              ;   in Loop: Header=BB322_13 Depth=1
	v_and_b32_e32 v44, 0xffff, v7
	v_mov_b32_e32 v42, 0x7fc02000
	s_mov_b32 s22, exec_lo
	s_delay_alu instid0(VALU_DEP_2) | instskip(NEXT) | instid1(VALU_DEP_1)
	v_and_b32_e32 v33, 0x7f, v44
	v_cmpx_ne_u32_e32 0x7f, v33
	s_cbranch_execz .LBB322_446
; %bb.443:                              ;   in Loop: Header=BB322_13 Depth=1
	v_and_b32_e32 v7, 7, v44
	v_lshrrev_b32_e32 v42, 3, v33
	v_cmp_gt_u32_e64 s2, 8, v33
	s_delay_alu instid0(VALU_DEP_3) | instskip(NEXT) | instid1(VALU_DEP_2)
	v_dual_mov_b32 v34, v8 :: v_dual_mov_b32 v33, v7
	s_and_saveexec_b32 s23, s2
; %bb.444:                              ;   in Loop: Header=BB322_13 Depth=1
	v_clz_i32_u32_e32 v33, v7
	s_delay_alu instid0(VALU_DEP_1) | instskip(NEXT) | instid1(VALU_DEP_1)
	v_min_u32_e32 v42, 32, v33
	v_subrev_nc_u32_e32 v33, 28, v42
	v_sub_nc_u32_e32 v42, 29, v42
	s_delay_alu instid0(VALU_DEP_2) | instskip(NEXT) | instid1(VALU_DEP_1)
	v_lshlrev_b64 v[33:34], v33, v[7:8]
	v_and_b32_e32 v33, 7, v33
; %bb.445:                              ;   in Loop: Header=BB322_13 Depth=1
	s_or_b32 exec_lo, exec_lo, s23
	v_lshlrev_b32_e32 v7, 8, v44
	v_lshl_add_u32 v34, v42, 10, 0x2000
	s_delay_alu instid0(VALU_DEP_1) | instskip(NEXT) | instid1(VALU_DEP_1)
	v_and_or_b32 v7, 0x8000, v7, v34
	v_lshl_or_b32 v7, v33, 7, v7
	s_delay_alu instid0(VALU_DEP_1)
	v_cvt_f32_f16_e32 v42, v7
.LBB322_446:                            ;   in Loop: Header=BB322_13 Depth=1
	s_or_b32 exec_lo, exec_lo, s22
.LBB322_447:                            ;   in Loop: Header=BB322_13 Depth=1
	s_delay_alu instid0(SALU_CYCLE_1)
	s_or_b32 exec_lo, exec_lo, s21
.LBB322_448:                            ;   in Loop: Header=BB322_13 Depth=1
	s_delay_alu instid0(SALU_CYCLE_1) | instskip(SKIP_3) | instid1(VALU_DEP_2)
	s_or_b32 exec_lo, exec_lo, s20
	v_lshrrev_b32_e32 v47, 16, v46
	v_mov_b32_e32 v45, 0
	s_mov_b32 s20, exec_lo
	v_dual_mov_b32 v44, 0 :: v_dual_and_b32 v7, 0xff, v47
	s_delay_alu instid0(VALU_DEP_1)
	v_cmpx_ne_u16_e32 0, v7
	s_cbranch_execz .LBB322_456
; %bb.449:                              ;   in Loop: Header=BB322_13 Depth=1
	v_bfrev_b32_e32 v45, 1
	s_mov_b32 s21, exec_lo
	v_cmpx_ne_u16_e32 0x80, v7
	s_cbranch_execz .LBB322_455
; %bb.450:                              ;   in Loop: Header=BB322_13 Depth=1
	v_bfe_u32 v33, v46, 16, 7
	v_mov_b32_e32 v45, 0x7fc02000
	s_mov_b32 s22, exec_lo
	s_delay_alu instid0(VALU_DEP_2)
	v_cmpx_ne_u32_e32 0x7f, v33
	s_cbranch_execz .LBB322_454
; %bb.451:                              ;   in Loop: Header=BB322_13 Depth=1
	v_and_b32_e32 v7, 7, v47
	v_lshrrev_b32_e32 v45, 3, v33
	v_cmp_gt_u32_e64 s2, 8, v33
	s_delay_alu instid0(VALU_DEP_3) | instskip(NEXT) | instid1(VALU_DEP_2)
	v_dual_mov_b32 v34, v8 :: v_dual_mov_b32 v33, v7
	s_and_saveexec_b32 s23, s2
; %bb.452:                              ;   in Loop: Header=BB322_13 Depth=1
	v_clz_i32_u32_e32 v33, v7
	s_delay_alu instid0(VALU_DEP_1) | instskip(NEXT) | instid1(VALU_DEP_1)
	v_min_u32_e32 v45, 32, v33
	v_subrev_nc_u32_e32 v33, 28, v45
	v_sub_nc_u32_e32 v45, 29, v45
	s_delay_alu instid0(VALU_DEP_2) | instskip(NEXT) | instid1(VALU_DEP_1)
	v_lshlrev_b64 v[33:34], v33, v[7:8]
	v_and_b32_e32 v33, 7, v33
; %bb.453:                              ;   in Loop: Header=BB322_13 Depth=1
	s_or_b32 exec_lo, exec_lo, s23
	v_lshlrev_b32_e32 v7, 8, v47
	v_lshl_add_u32 v34, v45, 10, 0x2000
	s_delay_alu instid0(VALU_DEP_1) | instskip(NEXT) | instid1(VALU_DEP_1)
	v_and_or_b32 v7, 0x8000, v7, v34
	v_lshl_or_b32 v7, v33, 7, v7
	s_delay_alu instid0(VALU_DEP_1)
	v_cvt_f32_f16_e32 v45, v7
.LBB322_454:                            ;   in Loop: Header=BB322_13 Depth=1
	s_or_b32 exec_lo, exec_lo, s22
.LBB322_455:                            ;   in Loop: Header=BB322_13 Depth=1
	s_delay_alu instid0(SALU_CYCLE_1)
	s_or_b32 exec_lo, exec_lo, s21
.LBB322_456:                            ;   in Loop: Header=BB322_13 Depth=1
	s_delay_alu instid0(SALU_CYCLE_1) | instskip(NEXT) | instid1(SALU_CYCLE_1)
	s_or_b32 exec_lo, exec_lo, s20
	s_mov_b32 s20, exec_lo
	v_cmpx_lt_u32_e32 0xffffff, v46
	s_cbranch_execz .LBB322_464
; %bb.457:                              ;   in Loop: Header=BB322_13 Depth=1
	v_lshrrev_b32_e32 v46, 24, v46
	v_bfrev_b32_e32 v44, 1
	s_mov_b32 s21, exec_lo
	s_delay_alu instid0(VALU_DEP_2)
	v_cmpx_ne_u32_e32 0x80, v46
	s_cbranch_execz .LBB322_463
; %bb.458:                              ;   in Loop: Header=BB322_13 Depth=1
	v_and_b32_e32 v33, 0x7f, v46
	v_mov_b32_e32 v44, 0x7fc02000
	s_mov_b32 s22, exec_lo
	s_delay_alu instid0(VALU_DEP_2)
	v_cmpx_ne_u32_e32 0x7f, v33
	s_cbranch_execz .LBB322_462
; %bb.459:                              ;   in Loop: Header=BB322_13 Depth=1
	v_and_b32_e32 v7, 7, v46
	v_lshrrev_b32_e32 v44, 3, v33
	v_cmp_gt_u32_e64 s2, 8, v33
	s_delay_alu instid0(VALU_DEP_3) | instskip(NEXT) | instid1(VALU_DEP_2)
	v_dual_mov_b32 v34, v8 :: v_dual_mov_b32 v33, v7
	s_and_saveexec_b32 s23, s2
; %bb.460:                              ;   in Loop: Header=BB322_13 Depth=1
	v_clz_i32_u32_e32 v33, v7
	s_delay_alu instid0(VALU_DEP_1) | instskip(NEXT) | instid1(VALU_DEP_1)
	v_min_u32_e32 v44, 32, v33
	v_subrev_nc_u32_e32 v33, 28, v44
	v_sub_nc_u32_e32 v44, 29, v44
	s_delay_alu instid0(VALU_DEP_2) | instskip(NEXT) | instid1(VALU_DEP_1)
	v_lshlrev_b64 v[33:34], v33, v[7:8]
	v_and_b32_e32 v33, 7, v33
; %bb.461:                              ;   in Loop: Header=BB322_13 Depth=1
	s_or_b32 exec_lo, exec_lo, s23
	v_lshlrev_b32_e32 v7, 8, v46
	v_lshl_add_u32 v34, v44, 10, 0x2000
	s_delay_alu instid0(VALU_DEP_1) | instskip(NEXT) | instid1(VALU_DEP_1)
	v_and_or_b32 v7, 0x8000, v7, v34
	v_lshl_or_b32 v7, v33, 7, v7
	s_delay_alu instid0(VALU_DEP_1)
	v_cvt_f32_f16_e32 v44, v7
.LBB322_462:                            ;   in Loop: Header=BB322_13 Depth=1
	s_or_b32 exec_lo, exec_lo, s22
.LBB322_463:                            ;   in Loop: Header=BB322_13 Depth=1
	s_delay_alu instid0(SALU_CYCLE_1)
	s_or_b32 exec_lo, exec_lo, s21
.LBB322_464:                            ;   in Loop: Header=BB322_13 Depth=1
	s_delay_alu instid0(SALU_CYCLE_1)
	s_or_b32 exec_lo, exec_lo, s20
	flat_load_b32 v58, v[31:32] offset:1792
	v_mov_b32_e32 v47, 0
	s_mov_b32 s20, exec_lo
	s_waitcnt vmcnt(0) lgkmcnt(0)
	v_dual_mov_b32 v46, 0 :: v_dual_and_b32 v7, 0xff, v58
	s_delay_alu instid0(VALU_DEP_1)
	v_cmpx_ne_u16_e32 0, v7
	s_cbranch_execz .LBB322_472
; %bb.465:                              ;   in Loop: Header=BB322_13 Depth=1
	v_bfrev_b32_e32 v47, 1
	s_mov_b32 s21, exec_lo
	v_cmpx_ne_u16_e32 0x80, v7
	s_cbranch_execz .LBB322_471
; %bb.466:                              ;   in Loop: Header=BB322_13 Depth=1
	v_and_b32_e32 v33, 0x7f, v58
	v_mov_b32_e32 v47, 0x7fc02000
	s_mov_b32 s22, exec_lo
	s_delay_alu instid0(VALU_DEP_2)
	v_cmpx_ne_u32_e32 0x7f, v33
	s_cbranch_execz .LBB322_470
; %bb.467:                              ;   in Loop: Header=BB322_13 Depth=1
	v_and_b32_e32 v7, 7, v58
	v_lshrrev_b32_e32 v47, 3, v33
	v_cmp_gt_u32_e64 s2, 8, v33
	s_delay_alu instid0(VALU_DEP_3) | instskip(NEXT) | instid1(VALU_DEP_2)
	v_dual_mov_b32 v34, v8 :: v_dual_mov_b32 v33, v7
	s_and_saveexec_b32 s23, s2
; %bb.468:                              ;   in Loop: Header=BB322_13 Depth=1
	v_clz_i32_u32_e32 v33, v7
	s_delay_alu instid0(VALU_DEP_1) | instskip(NEXT) | instid1(VALU_DEP_1)
	v_min_u32_e32 v47, 32, v33
	v_subrev_nc_u32_e32 v33, 28, v47
	v_sub_nc_u32_e32 v47, 29, v47
	s_delay_alu instid0(VALU_DEP_2) | instskip(NEXT) | instid1(VALU_DEP_1)
	v_lshlrev_b64 v[33:34], v33, v[7:8]
	v_and_b32_e32 v33, 7, v33
; %bb.469:                              ;   in Loop: Header=BB322_13 Depth=1
	s_or_b32 exec_lo, exec_lo, s23
	v_lshlrev_b32_e32 v7, 8, v58
	v_lshl_add_u32 v34, v47, 10, 0x2000
	s_delay_alu instid0(VALU_DEP_1) | instskip(NEXT) | instid1(VALU_DEP_1)
	v_and_or_b32 v7, 0x8000, v7, v34
	v_lshl_or_b32 v7, v33, 7, v7
	s_delay_alu instid0(VALU_DEP_1)
	v_cvt_f32_f16_e32 v47, v7
.LBB322_470:                            ;   in Loop: Header=BB322_13 Depth=1
	s_or_b32 exec_lo, exec_lo, s22
.LBB322_471:                            ;   in Loop: Header=BB322_13 Depth=1
	s_delay_alu instid0(SALU_CYCLE_1)
	s_or_b32 exec_lo, exec_lo, s21
.LBB322_472:                            ;   in Loop: Header=BB322_13 Depth=1
	s_delay_alu instid0(SALU_CYCLE_1) | instskip(SKIP_2) | instid1(VALU_DEP_1)
	s_or_b32 exec_lo, exec_lo, s20
	v_lshrrev_b16 v7, 8, v58
	s_mov_b32 s20, exec_lo
	v_cmpx_ne_u16_e32 0, v7
	s_cbranch_execz .LBB322_480
; %bb.473:                              ;   in Loop: Header=BB322_13 Depth=1
	v_bfrev_b32_e32 v46, 1
	s_mov_b32 s21, exec_lo
	v_cmpx_ne_u16_e32 0x80, v7
	s_cbranch_execz .LBB322_479
; %bb.474:                              ;   in Loop: Header=BB322_13 Depth=1
	v_and_b32_e32 v56, 0xffff, v7
	v_mov_b32_e32 v46, 0x7fc02000
	s_mov_b32 s22, exec_lo
	s_delay_alu instid0(VALU_DEP_2) | instskip(NEXT) | instid1(VALU_DEP_1)
	v_and_b32_e32 v33, 0x7f, v56
	v_cmpx_ne_u32_e32 0x7f, v33
	s_cbranch_execz .LBB322_478
; %bb.475:                              ;   in Loop: Header=BB322_13 Depth=1
	v_and_b32_e32 v7, 7, v56
	v_lshrrev_b32_e32 v46, 3, v33
	v_cmp_gt_u32_e64 s2, 8, v33
	s_delay_alu instid0(VALU_DEP_3) | instskip(NEXT) | instid1(VALU_DEP_2)
	v_dual_mov_b32 v34, v8 :: v_dual_mov_b32 v33, v7
	s_and_saveexec_b32 s23, s2
; %bb.476:                              ;   in Loop: Header=BB322_13 Depth=1
	v_clz_i32_u32_e32 v33, v7
	s_delay_alu instid0(VALU_DEP_1) | instskip(NEXT) | instid1(VALU_DEP_1)
	v_min_u32_e32 v46, 32, v33
	v_subrev_nc_u32_e32 v33, 28, v46
	v_sub_nc_u32_e32 v46, 29, v46
	s_delay_alu instid0(VALU_DEP_2) | instskip(NEXT) | instid1(VALU_DEP_1)
	v_lshlrev_b64 v[33:34], v33, v[7:8]
	v_and_b32_e32 v33, 7, v33
; %bb.477:                              ;   in Loop: Header=BB322_13 Depth=1
	s_or_b32 exec_lo, exec_lo, s23
	v_lshlrev_b32_e32 v7, 8, v56
	v_lshl_add_u32 v34, v46, 10, 0x2000
	s_delay_alu instid0(VALU_DEP_1) | instskip(NEXT) | instid1(VALU_DEP_1)
	v_and_or_b32 v7, 0x8000, v7, v34
	v_lshl_or_b32 v7, v33, 7, v7
	s_delay_alu instid0(VALU_DEP_1)
	v_cvt_f32_f16_e32 v46, v7
.LBB322_478:                            ;   in Loop: Header=BB322_13 Depth=1
	s_or_b32 exec_lo, exec_lo, s22
.LBB322_479:                            ;   in Loop: Header=BB322_13 Depth=1
	s_delay_alu instid0(SALU_CYCLE_1)
	s_or_b32 exec_lo, exec_lo, s21
.LBB322_480:                            ;   in Loop: Header=BB322_13 Depth=1
	s_delay_alu instid0(SALU_CYCLE_1) | instskip(SKIP_3) | instid1(VALU_DEP_2)
	s_or_b32 exec_lo, exec_lo, s20
	v_lshrrev_b32_e32 v59, 16, v58
	v_mov_b32_e32 v57, 0
	s_mov_b32 s20, exec_lo
	v_dual_mov_b32 v56, 0 :: v_dual_and_b32 v7, 0xff, v59
	s_delay_alu instid0(VALU_DEP_1)
	v_cmpx_ne_u16_e32 0, v7
	s_cbranch_execz .LBB322_488
; %bb.481:                              ;   in Loop: Header=BB322_13 Depth=1
	v_bfrev_b32_e32 v57, 1
	s_mov_b32 s21, exec_lo
	v_cmpx_ne_u16_e32 0x80, v7
	s_cbranch_execz .LBB322_487
; %bb.482:                              ;   in Loop: Header=BB322_13 Depth=1
	v_bfe_u32 v33, v58, 16, 7
	v_mov_b32_e32 v57, 0x7fc02000
	s_mov_b32 s22, exec_lo
	s_delay_alu instid0(VALU_DEP_2)
	v_cmpx_ne_u32_e32 0x7f, v33
	s_cbranch_execz .LBB322_486
; %bb.483:                              ;   in Loop: Header=BB322_13 Depth=1
	v_and_b32_e32 v7, 7, v59
	v_lshrrev_b32_e32 v57, 3, v33
	v_cmp_gt_u32_e64 s2, 8, v33
	s_delay_alu instid0(VALU_DEP_3) | instskip(NEXT) | instid1(VALU_DEP_2)
	v_dual_mov_b32 v34, v8 :: v_dual_mov_b32 v33, v7
	s_and_saveexec_b32 s23, s2
; %bb.484:                              ;   in Loop: Header=BB322_13 Depth=1
	v_clz_i32_u32_e32 v33, v7
	s_delay_alu instid0(VALU_DEP_1) | instskip(NEXT) | instid1(VALU_DEP_1)
	v_min_u32_e32 v57, 32, v33
	v_subrev_nc_u32_e32 v33, 28, v57
	v_sub_nc_u32_e32 v57, 29, v57
	s_delay_alu instid0(VALU_DEP_2) | instskip(NEXT) | instid1(VALU_DEP_1)
	v_lshlrev_b64 v[33:34], v33, v[7:8]
	v_and_b32_e32 v33, 7, v33
; %bb.485:                              ;   in Loop: Header=BB322_13 Depth=1
	s_or_b32 exec_lo, exec_lo, s23
	v_lshlrev_b32_e32 v7, 8, v59
	v_lshl_add_u32 v34, v57, 10, 0x2000
	s_delay_alu instid0(VALU_DEP_1) | instskip(NEXT) | instid1(VALU_DEP_1)
	v_and_or_b32 v7, 0x8000, v7, v34
	v_lshl_or_b32 v7, v33, 7, v7
	s_delay_alu instid0(VALU_DEP_1)
	v_cvt_f32_f16_e32 v57, v7
.LBB322_486:                            ;   in Loop: Header=BB322_13 Depth=1
	s_or_b32 exec_lo, exec_lo, s22
.LBB322_487:                            ;   in Loop: Header=BB322_13 Depth=1
	s_delay_alu instid0(SALU_CYCLE_1)
	s_or_b32 exec_lo, exec_lo, s21
.LBB322_488:                            ;   in Loop: Header=BB322_13 Depth=1
	s_delay_alu instid0(SALU_CYCLE_1) | instskip(NEXT) | instid1(SALU_CYCLE_1)
	s_or_b32 exec_lo, exec_lo, s20
	s_mov_b32 s20, exec_lo
	v_cmpx_lt_u32_e32 0xffffff, v58
	s_cbranch_execz .LBB322_496
; %bb.489:                              ;   in Loop: Header=BB322_13 Depth=1
	v_lshrrev_b32_e32 v58, 24, v58
	v_bfrev_b32_e32 v56, 1
	s_mov_b32 s21, exec_lo
	s_delay_alu instid0(VALU_DEP_2)
	v_cmpx_ne_u32_e32 0x80, v58
	s_cbranch_execz .LBB322_495
; %bb.490:                              ;   in Loop: Header=BB322_13 Depth=1
	v_and_b32_e32 v33, 0x7f, v58
	v_mov_b32_e32 v56, 0x7fc02000
	s_mov_b32 s22, exec_lo
	s_delay_alu instid0(VALU_DEP_2)
	v_cmpx_ne_u32_e32 0x7f, v33
	s_cbranch_execz .LBB322_494
; %bb.491:                              ;   in Loop: Header=BB322_13 Depth=1
	v_and_b32_e32 v7, 7, v58
	v_lshrrev_b32_e32 v56, 3, v33
	v_cmp_gt_u32_e64 s2, 8, v33
	s_delay_alu instid0(VALU_DEP_3) | instskip(NEXT) | instid1(VALU_DEP_2)
	v_dual_mov_b32 v34, v8 :: v_dual_mov_b32 v33, v7
	s_and_saveexec_b32 s23, s2
; %bb.492:                              ;   in Loop: Header=BB322_13 Depth=1
	v_clz_i32_u32_e32 v33, v7
	s_delay_alu instid0(VALU_DEP_1) | instskip(NEXT) | instid1(VALU_DEP_1)
	v_min_u32_e32 v56, 32, v33
	v_subrev_nc_u32_e32 v33, 28, v56
	v_sub_nc_u32_e32 v56, 29, v56
	s_delay_alu instid0(VALU_DEP_2) | instskip(NEXT) | instid1(VALU_DEP_1)
	v_lshlrev_b64 v[33:34], v33, v[7:8]
	v_and_b32_e32 v33, 7, v33
; %bb.493:                              ;   in Loop: Header=BB322_13 Depth=1
	s_or_b32 exec_lo, exec_lo, s23
	v_lshlrev_b32_e32 v7, 8, v58
	v_lshl_add_u32 v34, v56, 10, 0x2000
	s_delay_alu instid0(VALU_DEP_1) | instskip(NEXT) | instid1(VALU_DEP_1)
	v_and_or_b32 v7, 0x8000, v7, v34
	v_lshl_or_b32 v7, v33, 7, v7
	s_delay_alu instid0(VALU_DEP_1)
	v_cvt_f32_f16_e32 v56, v7
.LBB322_494:                            ;   in Loop: Header=BB322_13 Depth=1
	s_or_b32 exec_lo, exec_lo, s22
.LBB322_495:                            ;   in Loop: Header=BB322_13 Depth=1
	s_delay_alu instid0(SALU_CYCLE_1)
	s_or_b32 exec_lo, exec_lo, s21
.LBB322_496:                            ;   in Loop: Header=BB322_13 Depth=1
	s_delay_alu instid0(SALU_CYCLE_1)
	s_or_b32 exec_lo, exec_lo, s20
	flat_load_b32 v62, v[31:32] offset:1800
	v_mov_b32_e32 v59, 0
	s_mov_b32 s20, exec_lo
	s_waitcnt vmcnt(0) lgkmcnt(0)
	v_dual_mov_b32 v58, 0 :: v_dual_and_b32 v7, 0xff, v62
	s_delay_alu instid0(VALU_DEP_1)
	v_cmpx_ne_u16_e32 0, v7
	s_cbranch_execz .LBB322_504
; %bb.497:                              ;   in Loop: Header=BB322_13 Depth=1
	v_bfrev_b32_e32 v59, 1
	s_mov_b32 s21, exec_lo
	v_cmpx_ne_u16_e32 0x80, v7
	s_cbranch_execz .LBB322_503
; %bb.498:                              ;   in Loop: Header=BB322_13 Depth=1
	v_and_b32_e32 v33, 0x7f, v62
	v_mov_b32_e32 v59, 0x7fc02000
	s_mov_b32 s22, exec_lo
	s_delay_alu instid0(VALU_DEP_2)
	v_cmpx_ne_u32_e32 0x7f, v33
	s_cbranch_execz .LBB322_502
; %bb.499:                              ;   in Loop: Header=BB322_13 Depth=1
	v_and_b32_e32 v7, 7, v62
	v_lshrrev_b32_e32 v59, 3, v33
	v_cmp_gt_u32_e64 s2, 8, v33
	s_delay_alu instid0(VALU_DEP_3) | instskip(NEXT) | instid1(VALU_DEP_2)
	v_dual_mov_b32 v34, v8 :: v_dual_mov_b32 v33, v7
	s_and_saveexec_b32 s23, s2
; %bb.500:                              ;   in Loop: Header=BB322_13 Depth=1
	v_clz_i32_u32_e32 v33, v7
	s_delay_alu instid0(VALU_DEP_1) | instskip(NEXT) | instid1(VALU_DEP_1)
	v_min_u32_e32 v59, 32, v33
	v_subrev_nc_u32_e32 v33, 28, v59
	v_sub_nc_u32_e32 v59, 29, v59
	s_delay_alu instid0(VALU_DEP_2) | instskip(NEXT) | instid1(VALU_DEP_1)
	v_lshlrev_b64 v[33:34], v33, v[7:8]
	v_and_b32_e32 v33, 7, v33
; %bb.501:                              ;   in Loop: Header=BB322_13 Depth=1
	s_or_b32 exec_lo, exec_lo, s23
	v_lshlrev_b32_e32 v7, 8, v62
	v_lshl_add_u32 v34, v59, 10, 0x2000
	s_delay_alu instid0(VALU_DEP_1) | instskip(NEXT) | instid1(VALU_DEP_1)
	v_and_or_b32 v7, 0x8000, v7, v34
	v_lshl_or_b32 v7, v33, 7, v7
	s_delay_alu instid0(VALU_DEP_1)
	v_cvt_f32_f16_e32 v59, v7
.LBB322_502:                            ;   in Loop: Header=BB322_13 Depth=1
	s_or_b32 exec_lo, exec_lo, s22
.LBB322_503:                            ;   in Loop: Header=BB322_13 Depth=1
	s_delay_alu instid0(SALU_CYCLE_1)
	s_or_b32 exec_lo, exec_lo, s21
.LBB322_504:                            ;   in Loop: Header=BB322_13 Depth=1
	s_delay_alu instid0(SALU_CYCLE_1) | instskip(SKIP_2) | instid1(VALU_DEP_1)
	s_or_b32 exec_lo, exec_lo, s20
	v_lshrrev_b16 v7, 8, v62
	s_mov_b32 s20, exec_lo
	v_cmpx_ne_u16_e32 0, v7
	s_cbranch_execz .LBB322_512
; %bb.505:                              ;   in Loop: Header=BB322_13 Depth=1
	v_bfrev_b32_e32 v58, 1
	s_mov_b32 s21, exec_lo
	v_cmpx_ne_u16_e32 0x80, v7
	s_cbranch_execz .LBB322_511
; %bb.506:                              ;   in Loop: Header=BB322_13 Depth=1
	v_and_b32_e32 v60, 0xffff, v7
	v_mov_b32_e32 v58, 0x7fc02000
	s_mov_b32 s22, exec_lo
	s_delay_alu instid0(VALU_DEP_2) | instskip(NEXT) | instid1(VALU_DEP_1)
	v_and_b32_e32 v33, 0x7f, v60
	v_cmpx_ne_u32_e32 0x7f, v33
	s_cbranch_execz .LBB322_510
; %bb.507:                              ;   in Loop: Header=BB322_13 Depth=1
	v_and_b32_e32 v7, 7, v60
	v_lshrrev_b32_e32 v58, 3, v33
	v_cmp_gt_u32_e64 s2, 8, v33
	s_delay_alu instid0(VALU_DEP_3) | instskip(NEXT) | instid1(VALU_DEP_2)
	v_dual_mov_b32 v34, v8 :: v_dual_mov_b32 v33, v7
	s_and_saveexec_b32 s23, s2
; %bb.508:                              ;   in Loop: Header=BB322_13 Depth=1
	v_clz_i32_u32_e32 v33, v7
	s_delay_alu instid0(VALU_DEP_1) | instskip(NEXT) | instid1(VALU_DEP_1)
	v_min_u32_e32 v58, 32, v33
	v_subrev_nc_u32_e32 v33, 28, v58
	v_sub_nc_u32_e32 v58, 29, v58
	s_delay_alu instid0(VALU_DEP_2) | instskip(NEXT) | instid1(VALU_DEP_1)
	v_lshlrev_b64 v[33:34], v33, v[7:8]
	v_and_b32_e32 v33, 7, v33
; %bb.509:                              ;   in Loop: Header=BB322_13 Depth=1
	s_or_b32 exec_lo, exec_lo, s23
	v_lshlrev_b32_e32 v7, 8, v60
	v_lshl_add_u32 v34, v58, 10, 0x2000
	s_delay_alu instid0(VALU_DEP_1) | instskip(NEXT) | instid1(VALU_DEP_1)
	v_and_or_b32 v7, 0x8000, v7, v34
	v_lshl_or_b32 v7, v33, 7, v7
	s_delay_alu instid0(VALU_DEP_1)
	v_cvt_f32_f16_e32 v58, v7
.LBB322_510:                            ;   in Loop: Header=BB322_13 Depth=1
	s_or_b32 exec_lo, exec_lo, s22
.LBB322_511:                            ;   in Loop: Header=BB322_13 Depth=1
	s_delay_alu instid0(SALU_CYCLE_1)
	s_or_b32 exec_lo, exec_lo, s21
.LBB322_512:                            ;   in Loop: Header=BB322_13 Depth=1
	s_delay_alu instid0(SALU_CYCLE_1) | instskip(SKIP_3) | instid1(VALU_DEP_2)
	s_or_b32 exec_lo, exec_lo, s20
	v_lshrrev_b32_e32 v63, 16, v62
	v_mov_b32_e32 v61, 0
	s_mov_b32 s20, exec_lo
	v_dual_mov_b32 v60, 0 :: v_dual_and_b32 v7, 0xff, v63
	s_delay_alu instid0(VALU_DEP_1)
	v_cmpx_ne_u16_e32 0, v7
	s_cbranch_execz .LBB322_520
; %bb.513:                              ;   in Loop: Header=BB322_13 Depth=1
	v_bfrev_b32_e32 v61, 1
	s_mov_b32 s21, exec_lo
	v_cmpx_ne_u16_e32 0x80, v7
	s_cbranch_execz .LBB322_519
; %bb.514:                              ;   in Loop: Header=BB322_13 Depth=1
	v_bfe_u32 v33, v62, 16, 7
	v_mov_b32_e32 v61, 0x7fc02000
	s_mov_b32 s22, exec_lo
	s_delay_alu instid0(VALU_DEP_2)
	v_cmpx_ne_u32_e32 0x7f, v33
	s_cbranch_execz .LBB322_518
; %bb.515:                              ;   in Loop: Header=BB322_13 Depth=1
	v_and_b32_e32 v7, 7, v63
	v_lshrrev_b32_e32 v61, 3, v33
	v_cmp_gt_u32_e64 s2, 8, v33
	s_delay_alu instid0(VALU_DEP_3) | instskip(NEXT) | instid1(VALU_DEP_2)
	v_dual_mov_b32 v34, v8 :: v_dual_mov_b32 v33, v7
	s_and_saveexec_b32 s23, s2
; %bb.516:                              ;   in Loop: Header=BB322_13 Depth=1
	v_clz_i32_u32_e32 v33, v7
	s_delay_alu instid0(VALU_DEP_1) | instskip(NEXT) | instid1(VALU_DEP_1)
	v_min_u32_e32 v61, 32, v33
	v_subrev_nc_u32_e32 v33, 28, v61
	v_sub_nc_u32_e32 v61, 29, v61
	s_delay_alu instid0(VALU_DEP_2) | instskip(NEXT) | instid1(VALU_DEP_1)
	v_lshlrev_b64 v[33:34], v33, v[7:8]
	v_and_b32_e32 v33, 7, v33
; %bb.517:                              ;   in Loop: Header=BB322_13 Depth=1
	s_or_b32 exec_lo, exec_lo, s23
	v_lshlrev_b32_e32 v7, 8, v63
	v_lshl_add_u32 v34, v61, 10, 0x2000
	s_delay_alu instid0(VALU_DEP_1) | instskip(NEXT) | instid1(VALU_DEP_1)
	v_and_or_b32 v7, 0x8000, v7, v34
	v_lshl_or_b32 v7, v33, 7, v7
	s_delay_alu instid0(VALU_DEP_1)
	v_cvt_f32_f16_e32 v61, v7
.LBB322_518:                            ;   in Loop: Header=BB322_13 Depth=1
	s_or_b32 exec_lo, exec_lo, s22
.LBB322_519:                            ;   in Loop: Header=BB322_13 Depth=1
	s_delay_alu instid0(SALU_CYCLE_1)
	s_or_b32 exec_lo, exec_lo, s21
.LBB322_520:                            ;   in Loop: Header=BB322_13 Depth=1
	s_delay_alu instid0(SALU_CYCLE_1) | instskip(NEXT) | instid1(SALU_CYCLE_1)
	s_or_b32 exec_lo, exec_lo, s20
	s_mov_b32 s20, exec_lo
	v_cmpx_lt_u32_e32 0xffffff, v62
	s_cbranch_execz .LBB322_528
; %bb.521:                              ;   in Loop: Header=BB322_13 Depth=1
	v_lshrrev_b32_e32 v62, 24, v62
	v_bfrev_b32_e32 v60, 1
	s_mov_b32 s21, exec_lo
	s_delay_alu instid0(VALU_DEP_2)
	v_cmpx_ne_u32_e32 0x80, v62
	s_cbranch_execz .LBB322_527
; %bb.522:                              ;   in Loop: Header=BB322_13 Depth=1
	v_and_b32_e32 v33, 0x7f, v62
	v_mov_b32_e32 v60, 0x7fc02000
	s_mov_b32 s22, exec_lo
	s_delay_alu instid0(VALU_DEP_2)
	v_cmpx_ne_u32_e32 0x7f, v33
	s_cbranch_execz .LBB322_526
; %bb.523:                              ;   in Loop: Header=BB322_13 Depth=1
	v_and_b32_e32 v7, 7, v62
	v_lshrrev_b32_e32 v60, 3, v33
	v_cmp_gt_u32_e64 s2, 8, v33
	s_delay_alu instid0(VALU_DEP_3) | instskip(NEXT) | instid1(VALU_DEP_2)
	v_dual_mov_b32 v34, v8 :: v_dual_mov_b32 v33, v7
	s_and_saveexec_b32 s23, s2
; %bb.524:                              ;   in Loop: Header=BB322_13 Depth=1
	v_clz_i32_u32_e32 v33, v7
	s_delay_alu instid0(VALU_DEP_1) | instskip(NEXT) | instid1(VALU_DEP_1)
	v_min_u32_e32 v60, 32, v33
	v_subrev_nc_u32_e32 v33, 28, v60
	v_sub_nc_u32_e32 v60, 29, v60
	s_delay_alu instid0(VALU_DEP_2) | instskip(NEXT) | instid1(VALU_DEP_1)
	v_lshlrev_b64 v[33:34], v33, v[7:8]
	v_and_b32_e32 v33, 7, v33
; %bb.525:                              ;   in Loop: Header=BB322_13 Depth=1
	s_or_b32 exec_lo, exec_lo, s23
	v_lshlrev_b32_e32 v7, 8, v62
	v_lshl_add_u32 v34, v60, 10, 0x2000
	s_delay_alu instid0(VALU_DEP_1) | instskip(NEXT) | instid1(VALU_DEP_1)
	v_and_or_b32 v7, 0x8000, v7, v34
	v_lshl_or_b32 v7, v33, 7, v7
	s_delay_alu instid0(VALU_DEP_1)
	v_cvt_f32_f16_e32 v60, v7
.LBB322_526:                            ;   in Loop: Header=BB322_13 Depth=1
	s_or_b32 exec_lo, exec_lo, s22
.LBB322_527:                            ;   in Loop: Header=BB322_13 Depth=1
	s_delay_alu instid0(SALU_CYCLE_1)
	s_or_b32 exec_lo, exec_lo, s21
.LBB322_528:                            ;   in Loop: Header=BB322_13 Depth=1
	s_delay_alu instid0(SALU_CYCLE_1)
	s_or_b32 exec_lo, exec_lo, s20
	flat_load_b32 v74, v[31:32] offset:2048
	v_mov_b32_e32 v63, 0
	s_mov_b32 s20, exec_lo
	s_waitcnt vmcnt(0) lgkmcnt(0)
	v_dual_mov_b32 v62, 0 :: v_dual_and_b32 v7, 0xff, v74
	s_delay_alu instid0(VALU_DEP_1)
	v_cmpx_ne_u16_e32 0, v7
	s_cbranch_execz .LBB322_536
; %bb.529:                              ;   in Loop: Header=BB322_13 Depth=1
	v_bfrev_b32_e32 v63, 1
	s_mov_b32 s21, exec_lo
	v_cmpx_ne_u16_e32 0x80, v7
	s_cbranch_execz .LBB322_535
; %bb.530:                              ;   in Loop: Header=BB322_13 Depth=1
	v_and_b32_e32 v33, 0x7f, v74
	v_mov_b32_e32 v63, 0x7fc02000
	s_mov_b32 s22, exec_lo
	s_delay_alu instid0(VALU_DEP_2)
	v_cmpx_ne_u32_e32 0x7f, v33
	s_cbranch_execz .LBB322_534
; %bb.531:                              ;   in Loop: Header=BB322_13 Depth=1
	v_and_b32_e32 v7, 7, v74
	v_lshrrev_b32_e32 v63, 3, v33
	v_cmp_gt_u32_e64 s2, 8, v33
	s_delay_alu instid0(VALU_DEP_3) | instskip(NEXT) | instid1(VALU_DEP_2)
	v_dual_mov_b32 v34, v8 :: v_dual_mov_b32 v33, v7
	s_and_saveexec_b32 s23, s2
; %bb.532:                              ;   in Loop: Header=BB322_13 Depth=1
	v_clz_i32_u32_e32 v33, v7
	s_delay_alu instid0(VALU_DEP_1) | instskip(NEXT) | instid1(VALU_DEP_1)
	v_min_u32_e32 v63, 32, v33
	v_subrev_nc_u32_e32 v33, 28, v63
	v_sub_nc_u32_e32 v63, 29, v63
	s_delay_alu instid0(VALU_DEP_2) | instskip(NEXT) | instid1(VALU_DEP_1)
	v_lshlrev_b64 v[33:34], v33, v[7:8]
	v_and_b32_e32 v33, 7, v33
; %bb.533:                              ;   in Loop: Header=BB322_13 Depth=1
	s_or_b32 exec_lo, exec_lo, s23
	v_lshlrev_b32_e32 v7, 8, v74
	v_lshl_add_u32 v34, v63, 10, 0x2000
	s_delay_alu instid0(VALU_DEP_1) | instskip(NEXT) | instid1(VALU_DEP_1)
	v_and_or_b32 v7, 0x8000, v7, v34
	v_lshl_or_b32 v7, v33, 7, v7
	s_delay_alu instid0(VALU_DEP_1)
	v_cvt_f32_f16_e32 v63, v7
.LBB322_534:                            ;   in Loop: Header=BB322_13 Depth=1
	s_or_b32 exec_lo, exec_lo, s22
.LBB322_535:                            ;   in Loop: Header=BB322_13 Depth=1
	s_delay_alu instid0(SALU_CYCLE_1)
	s_or_b32 exec_lo, exec_lo, s21
.LBB322_536:                            ;   in Loop: Header=BB322_13 Depth=1
	s_delay_alu instid0(SALU_CYCLE_1) | instskip(SKIP_2) | instid1(VALU_DEP_1)
	s_or_b32 exec_lo, exec_lo, s20
	v_lshrrev_b16 v7, 8, v74
	s_mov_b32 s20, exec_lo
	v_cmpx_ne_u16_e32 0, v7
	s_cbranch_execz .LBB322_544
; %bb.537:                              ;   in Loop: Header=BB322_13 Depth=1
	v_bfrev_b32_e32 v62, 1
	s_mov_b32 s21, exec_lo
	v_cmpx_ne_u16_e32 0x80, v7
	s_cbranch_execz .LBB322_543
; %bb.538:                              ;   in Loop: Header=BB322_13 Depth=1
	v_and_b32_e32 v72, 0xffff, v7
	v_mov_b32_e32 v62, 0x7fc02000
	s_mov_b32 s22, exec_lo
	s_delay_alu instid0(VALU_DEP_2) | instskip(NEXT) | instid1(VALU_DEP_1)
	v_and_b32_e32 v33, 0x7f, v72
	v_cmpx_ne_u32_e32 0x7f, v33
	s_cbranch_execz .LBB322_542
; %bb.539:                              ;   in Loop: Header=BB322_13 Depth=1
	v_and_b32_e32 v7, 7, v72
	v_lshrrev_b32_e32 v62, 3, v33
	v_cmp_gt_u32_e64 s2, 8, v33
	s_delay_alu instid0(VALU_DEP_3) | instskip(NEXT) | instid1(VALU_DEP_2)
	v_dual_mov_b32 v34, v8 :: v_dual_mov_b32 v33, v7
	s_and_saveexec_b32 s23, s2
; %bb.540:                              ;   in Loop: Header=BB322_13 Depth=1
	v_clz_i32_u32_e32 v33, v7
	s_delay_alu instid0(VALU_DEP_1) | instskip(NEXT) | instid1(VALU_DEP_1)
	v_min_u32_e32 v62, 32, v33
	v_subrev_nc_u32_e32 v33, 28, v62
	v_sub_nc_u32_e32 v62, 29, v62
	s_delay_alu instid0(VALU_DEP_2) | instskip(NEXT) | instid1(VALU_DEP_1)
	v_lshlrev_b64 v[33:34], v33, v[7:8]
	v_and_b32_e32 v33, 7, v33
; %bb.541:                              ;   in Loop: Header=BB322_13 Depth=1
	s_or_b32 exec_lo, exec_lo, s23
	v_lshlrev_b32_e32 v7, 8, v72
	v_lshl_add_u32 v34, v62, 10, 0x2000
	s_delay_alu instid0(VALU_DEP_1) | instskip(NEXT) | instid1(VALU_DEP_1)
	v_and_or_b32 v7, 0x8000, v7, v34
	v_lshl_or_b32 v7, v33, 7, v7
	s_delay_alu instid0(VALU_DEP_1)
	v_cvt_f32_f16_e32 v62, v7
.LBB322_542:                            ;   in Loop: Header=BB322_13 Depth=1
	s_or_b32 exec_lo, exec_lo, s22
.LBB322_543:                            ;   in Loop: Header=BB322_13 Depth=1
	s_delay_alu instid0(SALU_CYCLE_1)
	s_or_b32 exec_lo, exec_lo, s21
.LBB322_544:                            ;   in Loop: Header=BB322_13 Depth=1
	s_delay_alu instid0(SALU_CYCLE_1) | instskip(SKIP_3) | instid1(VALU_DEP_2)
	s_or_b32 exec_lo, exec_lo, s20
	v_lshrrev_b32_e32 v75, 16, v74
	v_mov_b32_e32 v73, 0
	s_mov_b32 s20, exec_lo
	v_dual_mov_b32 v72, 0 :: v_dual_and_b32 v7, 0xff, v75
	s_delay_alu instid0(VALU_DEP_1)
	v_cmpx_ne_u16_e32 0, v7
	s_cbranch_execz .LBB322_552
; %bb.545:                              ;   in Loop: Header=BB322_13 Depth=1
	v_bfrev_b32_e32 v73, 1
	s_mov_b32 s21, exec_lo
	v_cmpx_ne_u16_e32 0x80, v7
	s_cbranch_execz .LBB322_551
; %bb.546:                              ;   in Loop: Header=BB322_13 Depth=1
	v_bfe_u32 v33, v74, 16, 7
	v_mov_b32_e32 v73, 0x7fc02000
	s_mov_b32 s22, exec_lo
	s_delay_alu instid0(VALU_DEP_2)
	v_cmpx_ne_u32_e32 0x7f, v33
	s_cbranch_execz .LBB322_550
; %bb.547:                              ;   in Loop: Header=BB322_13 Depth=1
	v_and_b32_e32 v7, 7, v75
	v_lshrrev_b32_e32 v73, 3, v33
	v_cmp_gt_u32_e64 s2, 8, v33
	s_delay_alu instid0(VALU_DEP_3) | instskip(NEXT) | instid1(VALU_DEP_2)
	v_dual_mov_b32 v34, v8 :: v_dual_mov_b32 v33, v7
	s_and_saveexec_b32 s23, s2
; %bb.548:                              ;   in Loop: Header=BB322_13 Depth=1
	v_clz_i32_u32_e32 v33, v7
	s_delay_alu instid0(VALU_DEP_1) | instskip(NEXT) | instid1(VALU_DEP_1)
	v_min_u32_e32 v73, 32, v33
	v_subrev_nc_u32_e32 v33, 28, v73
	v_sub_nc_u32_e32 v73, 29, v73
	s_delay_alu instid0(VALU_DEP_2) | instskip(NEXT) | instid1(VALU_DEP_1)
	v_lshlrev_b64 v[33:34], v33, v[7:8]
	v_and_b32_e32 v33, 7, v33
; %bb.549:                              ;   in Loop: Header=BB322_13 Depth=1
	s_or_b32 exec_lo, exec_lo, s23
	v_lshlrev_b32_e32 v7, 8, v75
	v_lshl_add_u32 v34, v73, 10, 0x2000
	s_delay_alu instid0(VALU_DEP_1) | instskip(NEXT) | instid1(VALU_DEP_1)
	v_and_or_b32 v7, 0x8000, v7, v34
	v_lshl_or_b32 v7, v33, 7, v7
	s_delay_alu instid0(VALU_DEP_1)
	v_cvt_f32_f16_e32 v73, v7
.LBB322_550:                            ;   in Loop: Header=BB322_13 Depth=1
	s_or_b32 exec_lo, exec_lo, s22
.LBB322_551:                            ;   in Loop: Header=BB322_13 Depth=1
	s_delay_alu instid0(SALU_CYCLE_1)
	s_or_b32 exec_lo, exec_lo, s21
.LBB322_552:                            ;   in Loop: Header=BB322_13 Depth=1
	s_delay_alu instid0(SALU_CYCLE_1) | instskip(NEXT) | instid1(SALU_CYCLE_1)
	s_or_b32 exec_lo, exec_lo, s20
	s_mov_b32 s20, exec_lo
	v_cmpx_lt_u32_e32 0xffffff, v74
	s_cbranch_execz .LBB322_560
; %bb.553:                              ;   in Loop: Header=BB322_13 Depth=1
	v_lshrrev_b32_e32 v74, 24, v74
	v_bfrev_b32_e32 v72, 1
	s_mov_b32 s21, exec_lo
	s_delay_alu instid0(VALU_DEP_2)
	v_cmpx_ne_u32_e32 0x80, v74
	s_cbranch_execz .LBB322_559
; %bb.554:                              ;   in Loop: Header=BB322_13 Depth=1
	v_and_b32_e32 v33, 0x7f, v74
	v_mov_b32_e32 v72, 0x7fc02000
	s_mov_b32 s22, exec_lo
	s_delay_alu instid0(VALU_DEP_2)
	v_cmpx_ne_u32_e32 0x7f, v33
	s_cbranch_execz .LBB322_558
; %bb.555:                              ;   in Loop: Header=BB322_13 Depth=1
	v_and_b32_e32 v7, 7, v74
	v_lshrrev_b32_e32 v72, 3, v33
	v_cmp_gt_u32_e64 s2, 8, v33
	s_delay_alu instid0(VALU_DEP_3) | instskip(NEXT) | instid1(VALU_DEP_2)
	v_dual_mov_b32 v34, v8 :: v_dual_mov_b32 v33, v7
	s_and_saveexec_b32 s23, s2
; %bb.556:                              ;   in Loop: Header=BB322_13 Depth=1
	v_clz_i32_u32_e32 v33, v7
	s_delay_alu instid0(VALU_DEP_1) | instskip(NEXT) | instid1(VALU_DEP_1)
	v_min_u32_e32 v72, 32, v33
	v_subrev_nc_u32_e32 v33, 28, v72
	v_sub_nc_u32_e32 v72, 29, v72
	s_delay_alu instid0(VALU_DEP_2) | instskip(NEXT) | instid1(VALU_DEP_1)
	v_lshlrev_b64 v[33:34], v33, v[7:8]
	v_and_b32_e32 v33, 7, v33
; %bb.557:                              ;   in Loop: Header=BB322_13 Depth=1
	s_or_b32 exec_lo, exec_lo, s23
	v_lshlrev_b32_e32 v7, 8, v74
	v_lshl_add_u32 v34, v72, 10, 0x2000
	s_delay_alu instid0(VALU_DEP_1) | instskip(NEXT) | instid1(VALU_DEP_1)
	v_and_or_b32 v7, 0x8000, v7, v34
	v_lshl_or_b32 v7, v33, 7, v7
	s_delay_alu instid0(VALU_DEP_1)
	v_cvt_f32_f16_e32 v72, v7
.LBB322_558:                            ;   in Loop: Header=BB322_13 Depth=1
	s_or_b32 exec_lo, exec_lo, s22
.LBB322_559:                            ;   in Loop: Header=BB322_13 Depth=1
	s_delay_alu instid0(SALU_CYCLE_1)
	s_or_b32 exec_lo, exec_lo, s21
.LBB322_560:                            ;   in Loop: Header=BB322_13 Depth=1
	s_delay_alu instid0(SALU_CYCLE_1)
	s_or_b32 exec_lo, exec_lo, s20
	flat_load_b32 v78, v[31:32] offset:2056
	v_mov_b32_e32 v75, 0
	s_mov_b32 s20, exec_lo
	s_waitcnt vmcnt(0) lgkmcnt(0)
	v_dual_mov_b32 v74, 0 :: v_dual_and_b32 v7, 0xff, v78
	s_delay_alu instid0(VALU_DEP_1)
	v_cmpx_ne_u16_e32 0, v7
	s_cbranch_execz .LBB322_568
; %bb.561:                              ;   in Loop: Header=BB322_13 Depth=1
	v_bfrev_b32_e32 v75, 1
	s_mov_b32 s21, exec_lo
	v_cmpx_ne_u16_e32 0x80, v7
	s_cbranch_execz .LBB322_567
; %bb.562:                              ;   in Loop: Header=BB322_13 Depth=1
	v_and_b32_e32 v33, 0x7f, v78
	v_mov_b32_e32 v75, 0x7fc02000
	s_mov_b32 s22, exec_lo
	s_delay_alu instid0(VALU_DEP_2)
	v_cmpx_ne_u32_e32 0x7f, v33
	s_cbranch_execz .LBB322_566
; %bb.563:                              ;   in Loop: Header=BB322_13 Depth=1
	v_and_b32_e32 v7, 7, v78
	v_lshrrev_b32_e32 v75, 3, v33
	v_cmp_gt_u32_e64 s2, 8, v33
	s_delay_alu instid0(VALU_DEP_3) | instskip(NEXT) | instid1(VALU_DEP_2)
	v_dual_mov_b32 v34, v8 :: v_dual_mov_b32 v33, v7
	s_and_saveexec_b32 s23, s2
; %bb.564:                              ;   in Loop: Header=BB322_13 Depth=1
	v_clz_i32_u32_e32 v33, v7
	s_delay_alu instid0(VALU_DEP_1) | instskip(NEXT) | instid1(VALU_DEP_1)
	v_min_u32_e32 v75, 32, v33
	v_subrev_nc_u32_e32 v33, 28, v75
	v_sub_nc_u32_e32 v75, 29, v75
	s_delay_alu instid0(VALU_DEP_2) | instskip(NEXT) | instid1(VALU_DEP_1)
	v_lshlrev_b64 v[33:34], v33, v[7:8]
	v_and_b32_e32 v33, 7, v33
; %bb.565:                              ;   in Loop: Header=BB322_13 Depth=1
	s_or_b32 exec_lo, exec_lo, s23
	v_lshlrev_b32_e32 v7, 8, v78
	v_lshl_add_u32 v34, v75, 10, 0x2000
	s_delay_alu instid0(VALU_DEP_1) | instskip(NEXT) | instid1(VALU_DEP_1)
	v_and_or_b32 v7, 0x8000, v7, v34
	v_lshl_or_b32 v7, v33, 7, v7
	s_delay_alu instid0(VALU_DEP_1)
	v_cvt_f32_f16_e32 v75, v7
.LBB322_566:                            ;   in Loop: Header=BB322_13 Depth=1
	s_or_b32 exec_lo, exec_lo, s22
.LBB322_567:                            ;   in Loop: Header=BB322_13 Depth=1
	s_delay_alu instid0(SALU_CYCLE_1)
	s_or_b32 exec_lo, exec_lo, s21
.LBB322_568:                            ;   in Loop: Header=BB322_13 Depth=1
	s_delay_alu instid0(SALU_CYCLE_1) | instskip(SKIP_2) | instid1(VALU_DEP_1)
	s_or_b32 exec_lo, exec_lo, s20
	v_lshrrev_b16 v7, 8, v78
	s_mov_b32 s20, exec_lo
	v_cmpx_ne_u16_e32 0, v7
	s_cbranch_execz .LBB322_576
; %bb.569:                              ;   in Loop: Header=BB322_13 Depth=1
	v_bfrev_b32_e32 v74, 1
	s_mov_b32 s21, exec_lo
	v_cmpx_ne_u16_e32 0x80, v7
	s_cbranch_execz .LBB322_575
; %bb.570:                              ;   in Loop: Header=BB322_13 Depth=1
	v_and_b32_e32 v76, 0xffff, v7
	v_mov_b32_e32 v74, 0x7fc02000
	s_mov_b32 s22, exec_lo
	s_delay_alu instid0(VALU_DEP_2) | instskip(NEXT) | instid1(VALU_DEP_1)
	v_and_b32_e32 v33, 0x7f, v76
	v_cmpx_ne_u32_e32 0x7f, v33
	s_cbranch_execz .LBB322_574
; %bb.571:                              ;   in Loop: Header=BB322_13 Depth=1
	v_and_b32_e32 v7, 7, v76
	v_lshrrev_b32_e32 v74, 3, v33
	v_cmp_gt_u32_e64 s2, 8, v33
	s_delay_alu instid0(VALU_DEP_3) | instskip(NEXT) | instid1(VALU_DEP_2)
	v_dual_mov_b32 v34, v8 :: v_dual_mov_b32 v33, v7
	s_and_saveexec_b32 s23, s2
; %bb.572:                              ;   in Loop: Header=BB322_13 Depth=1
	v_clz_i32_u32_e32 v33, v7
	s_delay_alu instid0(VALU_DEP_1) | instskip(NEXT) | instid1(VALU_DEP_1)
	v_min_u32_e32 v74, 32, v33
	v_subrev_nc_u32_e32 v33, 28, v74
	v_sub_nc_u32_e32 v74, 29, v74
	s_delay_alu instid0(VALU_DEP_2) | instskip(NEXT) | instid1(VALU_DEP_1)
	v_lshlrev_b64 v[33:34], v33, v[7:8]
	v_and_b32_e32 v33, 7, v33
; %bb.573:                              ;   in Loop: Header=BB322_13 Depth=1
	s_or_b32 exec_lo, exec_lo, s23
	v_lshlrev_b32_e32 v7, 8, v76
	v_lshl_add_u32 v34, v74, 10, 0x2000
	s_delay_alu instid0(VALU_DEP_1) | instskip(NEXT) | instid1(VALU_DEP_1)
	v_and_or_b32 v7, 0x8000, v7, v34
	v_lshl_or_b32 v7, v33, 7, v7
	s_delay_alu instid0(VALU_DEP_1)
	v_cvt_f32_f16_e32 v74, v7
.LBB322_574:                            ;   in Loop: Header=BB322_13 Depth=1
	s_or_b32 exec_lo, exec_lo, s22
.LBB322_575:                            ;   in Loop: Header=BB322_13 Depth=1
	s_delay_alu instid0(SALU_CYCLE_1)
	s_or_b32 exec_lo, exec_lo, s21
.LBB322_576:                            ;   in Loop: Header=BB322_13 Depth=1
	s_delay_alu instid0(SALU_CYCLE_1) | instskip(SKIP_3) | instid1(VALU_DEP_2)
	s_or_b32 exec_lo, exec_lo, s20
	v_lshrrev_b32_e32 v79, 16, v78
	v_mov_b32_e32 v77, 0
	s_mov_b32 s20, exec_lo
	v_dual_mov_b32 v76, 0 :: v_dual_and_b32 v7, 0xff, v79
	s_delay_alu instid0(VALU_DEP_1)
	v_cmpx_ne_u16_e32 0, v7
	s_cbranch_execz .LBB322_584
; %bb.577:                              ;   in Loop: Header=BB322_13 Depth=1
	v_bfrev_b32_e32 v77, 1
	s_mov_b32 s21, exec_lo
	v_cmpx_ne_u16_e32 0x80, v7
	s_cbranch_execz .LBB322_583
; %bb.578:                              ;   in Loop: Header=BB322_13 Depth=1
	v_bfe_u32 v33, v78, 16, 7
	v_mov_b32_e32 v77, 0x7fc02000
	s_mov_b32 s22, exec_lo
	s_delay_alu instid0(VALU_DEP_2)
	v_cmpx_ne_u32_e32 0x7f, v33
	s_cbranch_execz .LBB322_582
; %bb.579:                              ;   in Loop: Header=BB322_13 Depth=1
	v_and_b32_e32 v7, 7, v79
	v_lshrrev_b32_e32 v77, 3, v33
	v_cmp_gt_u32_e64 s2, 8, v33
	s_delay_alu instid0(VALU_DEP_3) | instskip(NEXT) | instid1(VALU_DEP_2)
	v_dual_mov_b32 v34, v8 :: v_dual_mov_b32 v33, v7
	s_and_saveexec_b32 s23, s2
; %bb.580:                              ;   in Loop: Header=BB322_13 Depth=1
	v_clz_i32_u32_e32 v33, v7
	s_delay_alu instid0(VALU_DEP_1) | instskip(NEXT) | instid1(VALU_DEP_1)
	v_min_u32_e32 v77, 32, v33
	v_subrev_nc_u32_e32 v33, 28, v77
	v_sub_nc_u32_e32 v77, 29, v77
	s_delay_alu instid0(VALU_DEP_2) | instskip(NEXT) | instid1(VALU_DEP_1)
	v_lshlrev_b64 v[33:34], v33, v[7:8]
	v_and_b32_e32 v33, 7, v33
; %bb.581:                              ;   in Loop: Header=BB322_13 Depth=1
	s_or_b32 exec_lo, exec_lo, s23
	v_lshlrev_b32_e32 v7, 8, v79
	v_lshl_add_u32 v34, v77, 10, 0x2000
	s_delay_alu instid0(VALU_DEP_1) | instskip(NEXT) | instid1(VALU_DEP_1)
	v_and_or_b32 v7, 0x8000, v7, v34
	v_lshl_or_b32 v7, v33, 7, v7
	s_delay_alu instid0(VALU_DEP_1)
	v_cvt_f32_f16_e32 v77, v7
.LBB322_582:                            ;   in Loop: Header=BB322_13 Depth=1
	s_or_b32 exec_lo, exec_lo, s22
.LBB322_583:                            ;   in Loop: Header=BB322_13 Depth=1
	s_delay_alu instid0(SALU_CYCLE_1)
	s_or_b32 exec_lo, exec_lo, s21
.LBB322_584:                            ;   in Loop: Header=BB322_13 Depth=1
	s_delay_alu instid0(SALU_CYCLE_1) | instskip(NEXT) | instid1(SALU_CYCLE_1)
	s_or_b32 exec_lo, exec_lo, s20
	s_mov_b32 s20, exec_lo
	v_cmpx_lt_u32_e32 0xffffff, v78
	s_cbranch_execz .LBB322_592
; %bb.585:                              ;   in Loop: Header=BB322_13 Depth=1
	v_lshrrev_b32_e32 v78, 24, v78
	v_bfrev_b32_e32 v76, 1
	s_mov_b32 s21, exec_lo
	s_delay_alu instid0(VALU_DEP_2)
	v_cmpx_ne_u32_e32 0x80, v78
	s_cbranch_execz .LBB322_591
; %bb.586:                              ;   in Loop: Header=BB322_13 Depth=1
	v_and_b32_e32 v33, 0x7f, v78
	v_mov_b32_e32 v76, 0x7fc02000
	s_mov_b32 s22, exec_lo
	s_delay_alu instid0(VALU_DEP_2)
	v_cmpx_ne_u32_e32 0x7f, v33
	s_cbranch_execz .LBB322_590
; %bb.587:                              ;   in Loop: Header=BB322_13 Depth=1
	v_and_b32_e32 v7, 7, v78
	v_lshrrev_b32_e32 v76, 3, v33
	v_cmp_gt_u32_e64 s2, 8, v33
	s_delay_alu instid0(VALU_DEP_3) | instskip(NEXT) | instid1(VALU_DEP_2)
	v_dual_mov_b32 v34, v8 :: v_dual_mov_b32 v33, v7
	s_and_saveexec_b32 s23, s2
; %bb.588:                              ;   in Loop: Header=BB322_13 Depth=1
	v_clz_i32_u32_e32 v33, v7
	s_delay_alu instid0(VALU_DEP_1) | instskip(NEXT) | instid1(VALU_DEP_1)
	v_min_u32_e32 v76, 32, v33
	v_subrev_nc_u32_e32 v33, 28, v76
	v_sub_nc_u32_e32 v76, 29, v76
	s_delay_alu instid0(VALU_DEP_2) | instskip(NEXT) | instid1(VALU_DEP_1)
	v_lshlrev_b64 v[33:34], v33, v[7:8]
	v_and_b32_e32 v33, 7, v33
; %bb.589:                              ;   in Loop: Header=BB322_13 Depth=1
	s_or_b32 exec_lo, exec_lo, s23
	v_lshlrev_b32_e32 v7, 8, v78
	v_lshl_add_u32 v34, v76, 10, 0x2000
	s_delay_alu instid0(VALU_DEP_1) | instskip(NEXT) | instid1(VALU_DEP_1)
	v_and_or_b32 v7, 0x8000, v7, v34
	v_lshl_or_b32 v7, v33, 7, v7
	s_delay_alu instid0(VALU_DEP_1)
	v_cvt_f32_f16_e32 v76, v7
.LBB322_590:                            ;   in Loop: Header=BB322_13 Depth=1
	s_or_b32 exec_lo, exec_lo, s22
.LBB322_591:                            ;   in Loop: Header=BB322_13 Depth=1
	s_delay_alu instid0(SALU_CYCLE_1)
	s_or_b32 exec_lo, exec_lo, s21
.LBB322_592:                            ;   in Loop: Header=BB322_13 Depth=1
	s_delay_alu instid0(SALU_CYCLE_1)
	s_or_b32 exec_lo, exec_lo, s20
	flat_load_b32 v90, v[31:32] offset:2304
	v_mov_b32_e32 v79, 0
	s_mov_b32 s20, exec_lo
	s_waitcnt vmcnt(0) lgkmcnt(0)
	v_dual_mov_b32 v78, 0 :: v_dual_and_b32 v7, 0xff, v90
	s_delay_alu instid0(VALU_DEP_1)
	v_cmpx_ne_u16_e32 0, v7
	s_cbranch_execz .LBB322_600
; %bb.593:                              ;   in Loop: Header=BB322_13 Depth=1
	v_bfrev_b32_e32 v79, 1
	s_mov_b32 s21, exec_lo
	v_cmpx_ne_u16_e32 0x80, v7
	s_cbranch_execz .LBB322_599
; %bb.594:                              ;   in Loop: Header=BB322_13 Depth=1
	v_and_b32_e32 v33, 0x7f, v90
	v_mov_b32_e32 v79, 0x7fc02000
	s_mov_b32 s22, exec_lo
	s_delay_alu instid0(VALU_DEP_2)
	v_cmpx_ne_u32_e32 0x7f, v33
	s_cbranch_execz .LBB322_598
; %bb.595:                              ;   in Loop: Header=BB322_13 Depth=1
	v_and_b32_e32 v7, 7, v90
	v_lshrrev_b32_e32 v79, 3, v33
	v_cmp_gt_u32_e64 s2, 8, v33
	s_delay_alu instid0(VALU_DEP_3) | instskip(NEXT) | instid1(VALU_DEP_2)
	v_dual_mov_b32 v34, v8 :: v_dual_mov_b32 v33, v7
	s_and_saveexec_b32 s23, s2
; %bb.596:                              ;   in Loop: Header=BB322_13 Depth=1
	v_clz_i32_u32_e32 v33, v7
	s_delay_alu instid0(VALU_DEP_1) | instskip(NEXT) | instid1(VALU_DEP_1)
	v_min_u32_e32 v79, 32, v33
	v_subrev_nc_u32_e32 v33, 28, v79
	v_sub_nc_u32_e32 v79, 29, v79
	s_delay_alu instid0(VALU_DEP_2) | instskip(NEXT) | instid1(VALU_DEP_1)
	v_lshlrev_b64 v[33:34], v33, v[7:8]
	v_and_b32_e32 v33, 7, v33
; %bb.597:                              ;   in Loop: Header=BB322_13 Depth=1
	s_or_b32 exec_lo, exec_lo, s23
	v_lshlrev_b32_e32 v7, 8, v90
	v_lshl_add_u32 v34, v79, 10, 0x2000
	s_delay_alu instid0(VALU_DEP_1) | instskip(NEXT) | instid1(VALU_DEP_1)
	v_and_or_b32 v7, 0x8000, v7, v34
	v_lshl_or_b32 v7, v33, 7, v7
	s_delay_alu instid0(VALU_DEP_1)
	v_cvt_f32_f16_e32 v79, v7
.LBB322_598:                            ;   in Loop: Header=BB322_13 Depth=1
	s_or_b32 exec_lo, exec_lo, s22
.LBB322_599:                            ;   in Loop: Header=BB322_13 Depth=1
	s_delay_alu instid0(SALU_CYCLE_1)
	s_or_b32 exec_lo, exec_lo, s21
.LBB322_600:                            ;   in Loop: Header=BB322_13 Depth=1
	s_delay_alu instid0(SALU_CYCLE_1) | instskip(SKIP_2) | instid1(VALU_DEP_1)
	s_or_b32 exec_lo, exec_lo, s20
	v_lshrrev_b16 v7, 8, v90
	s_mov_b32 s20, exec_lo
	v_cmpx_ne_u16_e32 0, v7
	s_cbranch_execz .LBB322_608
; %bb.601:                              ;   in Loop: Header=BB322_13 Depth=1
	v_bfrev_b32_e32 v78, 1
	s_mov_b32 s21, exec_lo
	v_cmpx_ne_u16_e32 0x80, v7
	s_cbranch_execz .LBB322_607
; %bb.602:                              ;   in Loop: Header=BB322_13 Depth=1
	v_and_b32_e32 v88, 0xffff, v7
	v_mov_b32_e32 v78, 0x7fc02000
	s_mov_b32 s22, exec_lo
	s_delay_alu instid0(VALU_DEP_2) | instskip(NEXT) | instid1(VALU_DEP_1)
	v_and_b32_e32 v33, 0x7f, v88
	v_cmpx_ne_u32_e32 0x7f, v33
	s_cbranch_execz .LBB322_606
; %bb.603:                              ;   in Loop: Header=BB322_13 Depth=1
	v_and_b32_e32 v7, 7, v88
	v_lshrrev_b32_e32 v78, 3, v33
	v_cmp_gt_u32_e64 s2, 8, v33
	s_delay_alu instid0(VALU_DEP_3) | instskip(NEXT) | instid1(VALU_DEP_2)
	v_dual_mov_b32 v34, v8 :: v_dual_mov_b32 v33, v7
	s_and_saveexec_b32 s23, s2
; %bb.604:                              ;   in Loop: Header=BB322_13 Depth=1
	v_clz_i32_u32_e32 v33, v7
	s_delay_alu instid0(VALU_DEP_1) | instskip(NEXT) | instid1(VALU_DEP_1)
	v_min_u32_e32 v78, 32, v33
	v_subrev_nc_u32_e32 v33, 28, v78
	v_sub_nc_u32_e32 v78, 29, v78
	s_delay_alu instid0(VALU_DEP_2) | instskip(NEXT) | instid1(VALU_DEP_1)
	v_lshlrev_b64 v[33:34], v33, v[7:8]
	v_and_b32_e32 v33, 7, v33
; %bb.605:                              ;   in Loop: Header=BB322_13 Depth=1
	s_or_b32 exec_lo, exec_lo, s23
	v_lshlrev_b32_e32 v7, 8, v88
	v_lshl_add_u32 v34, v78, 10, 0x2000
	s_delay_alu instid0(VALU_DEP_1) | instskip(NEXT) | instid1(VALU_DEP_1)
	v_and_or_b32 v7, 0x8000, v7, v34
	v_lshl_or_b32 v7, v33, 7, v7
	s_delay_alu instid0(VALU_DEP_1)
	v_cvt_f32_f16_e32 v78, v7
.LBB322_606:                            ;   in Loop: Header=BB322_13 Depth=1
	s_or_b32 exec_lo, exec_lo, s22
.LBB322_607:                            ;   in Loop: Header=BB322_13 Depth=1
	s_delay_alu instid0(SALU_CYCLE_1)
	s_or_b32 exec_lo, exec_lo, s21
.LBB322_608:                            ;   in Loop: Header=BB322_13 Depth=1
	s_delay_alu instid0(SALU_CYCLE_1) | instskip(SKIP_3) | instid1(VALU_DEP_2)
	s_or_b32 exec_lo, exec_lo, s20
	v_lshrrev_b32_e32 v91, 16, v90
	v_mov_b32_e32 v89, 0
	s_mov_b32 s20, exec_lo
	v_dual_mov_b32 v88, 0 :: v_dual_and_b32 v7, 0xff, v91
	s_delay_alu instid0(VALU_DEP_1)
	v_cmpx_ne_u16_e32 0, v7
	s_cbranch_execz .LBB322_616
; %bb.609:                              ;   in Loop: Header=BB322_13 Depth=1
	v_bfrev_b32_e32 v89, 1
	s_mov_b32 s21, exec_lo
	v_cmpx_ne_u16_e32 0x80, v7
	s_cbranch_execz .LBB322_615
; %bb.610:                              ;   in Loop: Header=BB322_13 Depth=1
	v_bfe_u32 v33, v90, 16, 7
	v_mov_b32_e32 v89, 0x7fc02000
	s_mov_b32 s22, exec_lo
	s_delay_alu instid0(VALU_DEP_2)
	v_cmpx_ne_u32_e32 0x7f, v33
	s_cbranch_execz .LBB322_614
; %bb.611:                              ;   in Loop: Header=BB322_13 Depth=1
	v_and_b32_e32 v7, 7, v91
	v_lshrrev_b32_e32 v89, 3, v33
	v_cmp_gt_u32_e64 s2, 8, v33
	s_delay_alu instid0(VALU_DEP_3) | instskip(NEXT) | instid1(VALU_DEP_2)
	v_dual_mov_b32 v34, v8 :: v_dual_mov_b32 v33, v7
	s_and_saveexec_b32 s23, s2
; %bb.612:                              ;   in Loop: Header=BB322_13 Depth=1
	v_clz_i32_u32_e32 v33, v7
	s_delay_alu instid0(VALU_DEP_1) | instskip(NEXT) | instid1(VALU_DEP_1)
	v_min_u32_e32 v89, 32, v33
	v_subrev_nc_u32_e32 v33, 28, v89
	v_sub_nc_u32_e32 v89, 29, v89
	s_delay_alu instid0(VALU_DEP_2) | instskip(NEXT) | instid1(VALU_DEP_1)
	v_lshlrev_b64 v[33:34], v33, v[7:8]
	v_and_b32_e32 v33, 7, v33
; %bb.613:                              ;   in Loop: Header=BB322_13 Depth=1
	s_or_b32 exec_lo, exec_lo, s23
	v_lshlrev_b32_e32 v7, 8, v91
	v_lshl_add_u32 v34, v89, 10, 0x2000
	s_delay_alu instid0(VALU_DEP_1) | instskip(NEXT) | instid1(VALU_DEP_1)
	v_and_or_b32 v7, 0x8000, v7, v34
	v_lshl_or_b32 v7, v33, 7, v7
	s_delay_alu instid0(VALU_DEP_1)
	v_cvt_f32_f16_e32 v89, v7
.LBB322_614:                            ;   in Loop: Header=BB322_13 Depth=1
	s_or_b32 exec_lo, exec_lo, s22
.LBB322_615:                            ;   in Loop: Header=BB322_13 Depth=1
	s_delay_alu instid0(SALU_CYCLE_1)
	s_or_b32 exec_lo, exec_lo, s21
.LBB322_616:                            ;   in Loop: Header=BB322_13 Depth=1
	s_delay_alu instid0(SALU_CYCLE_1) | instskip(NEXT) | instid1(SALU_CYCLE_1)
	s_or_b32 exec_lo, exec_lo, s20
	s_mov_b32 s20, exec_lo
	v_cmpx_lt_u32_e32 0xffffff, v90
	s_cbranch_execz .LBB322_624
; %bb.617:                              ;   in Loop: Header=BB322_13 Depth=1
	v_lshrrev_b32_e32 v90, 24, v90
	v_bfrev_b32_e32 v88, 1
	s_mov_b32 s21, exec_lo
	s_delay_alu instid0(VALU_DEP_2)
	v_cmpx_ne_u32_e32 0x80, v90
	s_cbranch_execz .LBB322_623
; %bb.618:                              ;   in Loop: Header=BB322_13 Depth=1
	v_and_b32_e32 v33, 0x7f, v90
	v_mov_b32_e32 v88, 0x7fc02000
	s_mov_b32 s22, exec_lo
	s_delay_alu instid0(VALU_DEP_2)
	v_cmpx_ne_u32_e32 0x7f, v33
	s_cbranch_execz .LBB322_622
; %bb.619:                              ;   in Loop: Header=BB322_13 Depth=1
	v_and_b32_e32 v7, 7, v90
	v_lshrrev_b32_e32 v88, 3, v33
	v_cmp_gt_u32_e64 s2, 8, v33
	s_delay_alu instid0(VALU_DEP_3) | instskip(NEXT) | instid1(VALU_DEP_2)
	v_dual_mov_b32 v34, v8 :: v_dual_mov_b32 v33, v7
	s_and_saveexec_b32 s23, s2
; %bb.620:                              ;   in Loop: Header=BB322_13 Depth=1
	v_clz_i32_u32_e32 v33, v7
	s_delay_alu instid0(VALU_DEP_1) | instskip(NEXT) | instid1(VALU_DEP_1)
	v_min_u32_e32 v88, 32, v33
	v_subrev_nc_u32_e32 v33, 28, v88
	v_sub_nc_u32_e32 v88, 29, v88
	s_delay_alu instid0(VALU_DEP_2) | instskip(NEXT) | instid1(VALU_DEP_1)
	v_lshlrev_b64 v[33:34], v33, v[7:8]
	v_and_b32_e32 v33, 7, v33
; %bb.621:                              ;   in Loop: Header=BB322_13 Depth=1
	s_or_b32 exec_lo, exec_lo, s23
	v_lshlrev_b32_e32 v7, 8, v90
	v_lshl_add_u32 v34, v88, 10, 0x2000
	s_delay_alu instid0(VALU_DEP_1) | instskip(NEXT) | instid1(VALU_DEP_1)
	v_and_or_b32 v7, 0x8000, v7, v34
	v_lshl_or_b32 v7, v33, 7, v7
	s_delay_alu instid0(VALU_DEP_1)
	v_cvt_f32_f16_e32 v88, v7
.LBB322_622:                            ;   in Loop: Header=BB322_13 Depth=1
	s_or_b32 exec_lo, exec_lo, s22
.LBB322_623:                            ;   in Loop: Header=BB322_13 Depth=1
	s_delay_alu instid0(SALU_CYCLE_1)
	s_or_b32 exec_lo, exec_lo, s21
.LBB322_624:                            ;   in Loop: Header=BB322_13 Depth=1
	s_delay_alu instid0(SALU_CYCLE_1)
	s_or_b32 exec_lo, exec_lo, s20
	flat_load_b32 v94, v[31:32] offset:2312
	v_mov_b32_e32 v91, 0
	s_mov_b32 s20, exec_lo
	s_waitcnt vmcnt(0) lgkmcnt(0)
	v_dual_mov_b32 v90, 0 :: v_dual_and_b32 v7, 0xff, v94
	s_delay_alu instid0(VALU_DEP_1)
	v_cmpx_ne_u16_e32 0, v7
	s_cbranch_execz .LBB322_632
; %bb.625:                              ;   in Loop: Header=BB322_13 Depth=1
	v_bfrev_b32_e32 v91, 1
	s_mov_b32 s21, exec_lo
	v_cmpx_ne_u16_e32 0x80, v7
	s_cbranch_execz .LBB322_631
; %bb.626:                              ;   in Loop: Header=BB322_13 Depth=1
	v_and_b32_e32 v33, 0x7f, v94
	v_mov_b32_e32 v91, 0x7fc02000
	s_mov_b32 s22, exec_lo
	s_delay_alu instid0(VALU_DEP_2)
	v_cmpx_ne_u32_e32 0x7f, v33
	s_cbranch_execz .LBB322_630
; %bb.627:                              ;   in Loop: Header=BB322_13 Depth=1
	v_and_b32_e32 v7, 7, v94
	v_lshrrev_b32_e32 v91, 3, v33
	v_cmp_gt_u32_e64 s2, 8, v33
	s_delay_alu instid0(VALU_DEP_3) | instskip(NEXT) | instid1(VALU_DEP_2)
	v_dual_mov_b32 v34, v8 :: v_dual_mov_b32 v33, v7
	s_and_saveexec_b32 s23, s2
; %bb.628:                              ;   in Loop: Header=BB322_13 Depth=1
	v_clz_i32_u32_e32 v33, v7
	s_delay_alu instid0(VALU_DEP_1) | instskip(NEXT) | instid1(VALU_DEP_1)
	v_min_u32_e32 v91, 32, v33
	v_subrev_nc_u32_e32 v33, 28, v91
	v_sub_nc_u32_e32 v91, 29, v91
	s_delay_alu instid0(VALU_DEP_2) | instskip(NEXT) | instid1(VALU_DEP_1)
	v_lshlrev_b64 v[33:34], v33, v[7:8]
	v_and_b32_e32 v33, 7, v33
; %bb.629:                              ;   in Loop: Header=BB322_13 Depth=1
	s_or_b32 exec_lo, exec_lo, s23
	v_lshlrev_b32_e32 v7, 8, v94
	v_lshl_add_u32 v34, v91, 10, 0x2000
	s_delay_alu instid0(VALU_DEP_1) | instskip(NEXT) | instid1(VALU_DEP_1)
	v_and_or_b32 v7, 0x8000, v7, v34
	v_lshl_or_b32 v7, v33, 7, v7
	s_delay_alu instid0(VALU_DEP_1)
	v_cvt_f32_f16_e32 v91, v7
.LBB322_630:                            ;   in Loop: Header=BB322_13 Depth=1
	s_or_b32 exec_lo, exec_lo, s22
.LBB322_631:                            ;   in Loop: Header=BB322_13 Depth=1
	s_delay_alu instid0(SALU_CYCLE_1)
	s_or_b32 exec_lo, exec_lo, s21
.LBB322_632:                            ;   in Loop: Header=BB322_13 Depth=1
	s_delay_alu instid0(SALU_CYCLE_1) | instskip(SKIP_2) | instid1(VALU_DEP_1)
	s_or_b32 exec_lo, exec_lo, s20
	v_lshrrev_b16 v7, 8, v94
	s_mov_b32 s20, exec_lo
	v_cmpx_ne_u16_e32 0, v7
	s_cbranch_execz .LBB322_640
; %bb.633:                              ;   in Loop: Header=BB322_13 Depth=1
	v_bfrev_b32_e32 v90, 1
	s_mov_b32 s21, exec_lo
	v_cmpx_ne_u16_e32 0x80, v7
	s_cbranch_execz .LBB322_639
; %bb.634:                              ;   in Loop: Header=BB322_13 Depth=1
	v_and_b32_e32 v92, 0xffff, v7
	v_mov_b32_e32 v90, 0x7fc02000
	s_mov_b32 s22, exec_lo
	s_delay_alu instid0(VALU_DEP_2) | instskip(NEXT) | instid1(VALU_DEP_1)
	v_and_b32_e32 v33, 0x7f, v92
	v_cmpx_ne_u32_e32 0x7f, v33
	s_cbranch_execz .LBB322_638
; %bb.635:                              ;   in Loop: Header=BB322_13 Depth=1
	v_and_b32_e32 v7, 7, v92
	v_lshrrev_b32_e32 v90, 3, v33
	v_cmp_gt_u32_e64 s2, 8, v33
	s_delay_alu instid0(VALU_DEP_3) | instskip(NEXT) | instid1(VALU_DEP_2)
	v_dual_mov_b32 v34, v8 :: v_dual_mov_b32 v33, v7
	s_and_saveexec_b32 s23, s2
; %bb.636:                              ;   in Loop: Header=BB322_13 Depth=1
	v_clz_i32_u32_e32 v33, v7
	s_delay_alu instid0(VALU_DEP_1) | instskip(NEXT) | instid1(VALU_DEP_1)
	v_min_u32_e32 v90, 32, v33
	v_subrev_nc_u32_e32 v33, 28, v90
	v_sub_nc_u32_e32 v90, 29, v90
	s_delay_alu instid0(VALU_DEP_2) | instskip(NEXT) | instid1(VALU_DEP_1)
	v_lshlrev_b64 v[33:34], v33, v[7:8]
	v_and_b32_e32 v33, 7, v33
; %bb.637:                              ;   in Loop: Header=BB322_13 Depth=1
	s_or_b32 exec_lo, exec_lo, s23
	v_lshlrev_b32_e32 v7, 8, v92
	v_lshl_add_u32 v34, v90, 10, 0x2000
	s_delay_alu instid0(VALU_DEP_1) | instskip(NEXT) | instid1(VALU_DEP_1)
	v_and_or_b32 v7, 0x8000, v7, v34
	v_lshl_or_b32 v7, v33, 7, v7
	s_delay_alu instid0(VALU_DEP_1)
	v_cvt_f32_f16_e32 v90, v7
.LBB322_638:                            ;   in Loop: Header=BB322_13 Depth=1
	s_or_b32 exec_lo, exec_lo, s22
.LBB322_639:                            ;   in Loop: Header=BB322_13 Depth=1
	s_delay_alu instid0(SALU_CYCLE_1)
	s_or_b32 exec_lo, exec_lo, s21
.LBB322_640:                            ;   in Loop: Header=BB322_13 Depth=1
	s_delay_alu instid0(SALU_CYCLE_1) | instskip(SKIP_3) | instid1(VALU_DEP_2)
	s_or_b32 exec_lo, exec_lo, s20
	v_lshrrev_b32_e32 v95, 16, v94
	v_mov_b32_e32 v93, 0
	s_mov_b32 s20, exec_lo
	v_dual_mov_b32 v92, 0 :: v_dual_and_b32 v7, 0xff, v95
	s_delay_alu instid0(VALU_DEP_1)
	v_cmpx_ne_u16_e32 0, v7
	s_cbranch_execz .LBB322_648
; %bb.641:                              ;   in Loop: Header=BB322_13 Depth=1
	v_bfrev_b32_e32 v93, 1
	s_mov_b32 s21, exec_lo
	v_cmpx_ne_u16_e32 0x80, v7
	s_cbranch_execz .LBB322_647
; %bb.642:                              ;   in Loop: Header=BB322_13 Depth=1
	v_bfe_u32 v33, v94, 16, 7
	v_mov_b32_e32 v93, 0x7fc02000
	s_mov_b32 s22, exec_lo
	s_delay_alu instid0(VALU_DEP_2)
	v_cmpx_ne_u32_e32 0x7f, v33
	s_cbranch_execz .LBB322_646
; %bb.643:                              ;   in Loop: Header=BB322_13 Depth=1
	v_and_b32_e32 v7, 7, v95
	v_lshrrev_b32_e32 v93, 3, v33
	v_cmp_gt_u32_e64 s2, 8, v33
	s_delay_alu instid0(VALU_DEP_3) | instskip(NEXT) | instid1(VALU_DEP_2)
	v_dual_mov_b32 v34, v8 :: v_dual_mov_b32 v33, v7
	s_and_saveexec_b32 s23, s2
; %bb.644:                              ;   in Loop: Header=BB322_13 Depth=1
	v_clz_i32_u32_e32 v33, v7
	s_delay_alu instid0(VALU_DEP_1) | instskip(NEXT) | instid1(VALU_DEP_1)
	v_min_u32_e32 v93, 32, v33
	v_subrev_nc_u32_e32 v33, 28, v93
	v_sub_nc_u32_e32 v93, 29, v93
	s_delay_alu instid0(VALU_DEP_2) | instskip(NEXT) | instid1(VALU_DEP_1)
	v_lshlrev_b64 v[33:34], v33, v[7:8]
	v_and_b32_e32 v33, 7, v33
; %bb.645:                              ;   in Loop: Header=BB322_13 Depth=1
	s_or_b32 exec_lo, exec_lo, s23
	v_lshlrev_b32_e32 v7, 8, v95
	v_lshl_add_u32 v34, v93, 10, 0x2000
	s_delay_alu instid0(VALU_DEP_1) | instskip(NEXT) | instid1(VALU_DEP_1)
	v_and_or_b32 v7, 0x8000, v7, v34
	v_lshl_or_b32 v7, v33, 7, v7
	s_delay_alu instid0(VALU_DEP_1)
	v_cvt_f32_f16_e32 v93, v7
.LBB322_646:                            ;   in Loop: Header=BB322_13 Depth=1
	s_or_b32 exec_lo, exec_lo, s22
.LBB322_647:                            ;   in Loop: Header=BB322_13 Depth=1
	s_delay_alu instid0(SALU_CYCLE_1)
	s_or_b32 exec_lo, exec_lo, s21
.LBB322_648:                            ;   in Loop: Header=BB322_13 Depth=1
	s_delay_alu instid0(SALU_CYCLE_1) | instskip(NEXT) | instid1(SALU_CYCLE_1)
	s_or_b32 exec_lo, exec_lo, s20
	s_mov_b32 s20, exec_lo
	v_cmpx_lt_u32_e32 0xffffff, v94
	s_cbranch_execz .LBB322_656
; %bb.649:                              ;   in Loop: Header=BB322_13 Depth=1
	v_lshrrev_b32_e32 v94, 24, v94
	v_bfrev_b32_e32 v92, 1
	s_mov_b32 s21, exec_lo
	s_delay_alu instid0(VALU_DEP_2)
	v_cmpx_ne_u32_e32 0x80, v94
	s_cbranch_execz .LBB322_655
; %bb.650:                              ;   in Loop: Header=BB322_13 Depth=1
	v_and_b32_e32 v33, 0x7f, v94
	v_mov_b32_e32 v92, 0x7fc02000
	s_mov_b32 s22, exec_lo
	s_delay_alu instid0(VALU_DEP_2)
	v_cmpx_ne_u32_e32 0x7f, v33
	s_cbranch_execz .LBB322_654
; %bb.651:                              ;   in Loop: Header=BB322_13 Depth=1
	v_and_b32_e32 v7, 7, v94
	v_lshrrev_b32_e32 v92, 3, v33
	v_cmp_gt_u32_e64 s2, 8, v33
	s_delay_alu instid0(VALU_DEP_3) | instskip(NEXT) | instid1(VALU_DEP_2)
	v_dual_mov_b32 v34, v8 :: v_dual_mov_b32 v33, v7
	s_and_saveexec_b32 s23, s2
; %bb.652:                              ;   in Loop: Header=BB322_13 Depth=1
	v_clz_i32_u32_e32 v33, v7
	s_delay_alu instid0(VALU_DEP_1) | instskip(NEXT) | instid1(VALU_DEP_1)
	v_min_u32_e32 v92, 32, v33
	v_subrev_nc_u32_e32 v33, 28, v92
	v_sub_nc_u32_e32 v92, 29, v92
	s_delay_alu instid0(VALU_DEP_2) | instskip(NEXT) | instid1(VALU_DEP_1)
	v_lshlrev_b64 v[33:34], v33, v[7:8]
	v_and_b32_e32 v33, 7, v33
; %bb.653:                              ;   in Loop: Header=BB322_13 Depth=1
	s_or_b32 exec_lo, exec_lo, s23
	v_lshlrev_b32_e32 v7, 8, v94
	v_lshl_add_u32 v34, v92, 10, 0x2000
	s_delay_alu instid0(VALU_DEP_1) | instskip(NEXT) | instid1(VALU_DEP_1)
	v_and_or_b32 v7, 0x8000, v7, v34
	v_lshl_or_b32 v7, v33, 7, v7
	s_delay_alu instid0(VALU_DEP_1)
	v_cvt_f32_f16_e32 v92, v7
.LBB322_654:                            ;   in Loop: Header=BB322_13 Depth=1
	s_or_b32 exec_lo, exec_lo, s22
.LBB322_655:                            ;   in Loop: Header=BB322_13 Depth=1
	s_delay_alu instid0(SALU_CYCLE_1)
	s_or_b32 exec_lo, exec_lo, s21
.LBB322_656:                            ;   in Loop: Header=BB322_13 Depth=1
	s_delay_alu instid0(SALU_CYCLE_1)
	s_or_b32 exec_lo, exec_lo, s20
	flat_load_b32 v106, v[31:32] offset:2560
	v_mov_b32_e32 v95, 0
	s_mov_b32 s20, exec_lo
	s_waitcnt vmcnt(0) lgkmcnt(0)
	v_dual_mov_b32 v94, 0 :: v_dual_and_b32 v7, 0xff, v106
	s_delay_alu instid0(VALU_DEP_1)
	v_cmpx_ne_u16_e32 0, v7
	s_cbranch_execz .LBB322_664
; %bb.657:                              ;   in Loop: Header=BB322_13 Depth=1
	v_bfrev_b32_e32 v95, 1
	s_mov_b32 s21, exec_lo
	v_cmpx_ne_u16_e32 0x80, v7
	s_cbranch_execz .LBB322_663
; %bb.658:                              ;   in Loop: Header=BB322_13 Depth=1
	v_and_b32_e32 v33, 0x7f, v106
	v_mov_b32_e32 v95, 0x7fc02000
	s_mov_b32 s22, exec_lo
	s_delay_alu instid0(VALU_DEP_2)
	v_cmpx_ne_u32_e32 0x7f, v33
	s_cbranch_execz .LBB322_662
; %bb.659:                              ;   in Loop: Header=BB322_13 Depth=1
	v_and_b32_e32 v7, 7, v106
	v_lshrrev_b32_e32 v95, 3, v33
	v_cmp_gt_u32_e64 s2, 8, v33
	s_delay_alu instid0(VALU_DEP_3) | instskip(NEXT) | instid1(VALU_DEP_2)
	v_dual_mov_b32 v34, v8 :: v_dual_mov_b32 v33, v7
	s_and_saveexec_b32 s23, s2
; %bb.660:                              ;   in Loop: Header=BB322_13 Depth=1
	v_clz_i32_u32_e32 v33, v7
	s_delay_alu instid0(VALU_DEP_1) | instskip(NEXT) | instid1(VALU_DEP_1)
	v_min_u32_e32 v95, 32, v33
	v_subrev_nc_u32_e32 v33, 28, v95
	v_sub_nc_u32_e32 v95, 29, v95
	s_delay_alu instid0(VALU_DEP_2) | instskip(NEXT) | instid1(VALU_DEP_1)
	v_lshlrev_b64 v[33:34], v33, v[7:8]
	v_and_b32_e32 v33, 7, v33
; %bb.661:                              ;   in Loop: Header=BB322_13 Depth=1
	s_or_b32 exec_lo, exec_lo, s23
	v_lshlrev_b32_e32 v7, 8, v106
	v_lshl_add_u32 v34, v95, 10, 0x2000
	s_delay_alu instid0(VALU_DEP_1) | instskip(NEXT) | instid1(VALU_DEP_1)
	v_and_or_b32 v7, 0x8000, v7, v34
	v_lshl_or_b32 v7, v33, 7, v7
	s_delay_alu instid0(VALU_DEP_1)
	v_cvt_f32_f16_e32 v95, v7
.LBB322_662:                            ;   in Loop: Header=BB322_13 Depth=1
	s_or_b32 exec_lo, exec_lo, s22
.LBB322_663:                            ;   in Loop: Header=BB322_13 Depth=1
	s_delay_alu instid0(SALU_CYCLE_1)
	s_or_b32 exec_lo, exec_lo, s21
.LBB322_664:                            ;   in Loop: Header=BB322_13 Depth=1
	s_delay_alu instid0(SALU_CYCLE_1) | instskip(SKIP_2) | instid1(VALU_DEP_1)
	s_or_b32 exec_lo, exec_lo, s20
	v_lshrrev_b16 v7, 8, v106
	s_mov_b32 s20, exec_lo
	v_cmpx_ne_u16_e32 0, v7
	s_cbranch_execz .LBB322_672
; %bb.665:                              ;   in Loop: Header=BB322_13 Depth=1
	v_bfrev_b32_e32 v94, 1
	s_mov_b32 s21, exec_lo
	v_cmpx_ne_u16_e32 0x80, v7
	s_cbranch_execz .LBB322_671
; %bb.666:                              ;   in Loop: Header=BB322_13 Depth=1
	v_and_b32_e32 v104, 0xffff, v7
	v_mov_b32_e32 v94, 0x7fc02000
	s_mov_b32 s22, exec_lo
	s_delay_alu instid0(VALU_DEP_2) | instskip(NEXT) | instid1(VALU_DEP_1)
	v_and_b32_e32 v33, 0x7f, v104
	v_cmpx_ne_u32_e32 0x7f, v33
	s_cbranch_execz .LBB322_670
; %bb.667:                              ;   in Loop: Header=BB322_13 Depth=1
	v_and_b32_e32 v7, 7, v104
	v_lshrrev_b32_e32 v94, 3, v33
	v_cmp_gt_u32_e64 s2, 8, v33
	s_delay_alu instid0(VALU_DEP_3) | instskip(NEXT) | instid1(VALU_DEP_2)
	v_dual_mov_b32 v34, v8 :: v_dual_mov_b32 v33, v7
	s_and_saveexec_b32 s23, s2
; %bb.668:                              ;   in Loop: Header=BB322_13 Depth=1
	v_clz_i32_u32_e32 v33, v7
	s_delay_alu instid0(VALU_DEP_1) | instskip(NEXT) | instid1(VALU_DEP_1)
	v_min_u32_e32 v94, 32, v33
	v_subrev_nc_u32_e32 v33, 28, v94
	v_sub_nc_u32_e32 v94, 29, v94
	s_delay_alu instid0(VALU_DEP_2) | instskip(NEXT) | instid1(VALU_DEP_1)
	v_lshlrev_b64 v[33:34], v33, v[7:8]
	v_and_b32_e32 v33, 7, v33
; %bb.669:                              ;   in Loop: Header=BB322_13 Depth=1
	s_or_b32 exec_lo, exec_lo, s23
	v_lshlrev_b32_e32 v7, 8, v104
	v_lshl_add_u32 v34, v94, 10, 0x2000
	s_delay_alu instid0(VALU_DEP_1) | instskip(NEXT) | instid1(VALU_DEP_1)
	v_and_or_b32 v7, 0x8000, v7, v34
	v_lshl_or_b32 v7, v33, 7, v7
	s_delay_alu instid0(VALU_DEP_1)
	v_cvt_f32_f16_e32 v94, v7
.LBB322_670:                            ;   in Loop: Header=BB322_13 Depth=1
	s_or_b32 exec_lo, exec_lo, s22
.LBB322_671:                            ;   in Loop: Header=BB322_13 Depth=1
	s_delay_alu instid0(SALU_CYCLE_1)
	s_or_b32 exec_lo, exec_lo, s21
.LBB322_672:                            ;   in Loop: Header=BB322_13 Depth=1
	s_delay_alu instid0(SALU_CYCLE_1) | instskip(SKIP_3) | instid1(VALU_DEP_2)
	s_or_b32 exec_lo, exec_lo, s20
	v_lshrrev_b32_e32 v107, 16, v106
	v_mov_b32_e32 v105, 0
	s_mov_b32 s20, exec_lo
	v_dual_mov_b32 v104, 0 :: v_dual_and_b32 v7, 0xff, v107
	s_delay_alu instid0(VALU_DEP_1)
	v_cmpx_ne_u16_e32 0, v7
	s_cbranch_execz .LBB322_680
; %bb.673:                              ;   in Loop: Header=BB322_13 Depth=1
	v_bfrev_b32_e32 v105, 1
	s_mov_b32 s21, exec_lo
	v_cmpx_ne_u16_e32 0x80, v7
	s_cbranch_execz .LBB322_679
; %bb.674:                              ;   in Loop: Header=BB322_13 Depth=1
	v_bfe_u32 v33, v106, 16, 7
	v_mov_b32_e32 v105, 0x7fc02000
	s_mov_b32 s22, exec_lo
	s_delay_alu instid0(VALU_DEP_2)
	v_cmpx_ne_u32_e32 0x7f, v33
	s_cbranch_execz .LBB322_678
; %bb.675:                              ;   in Loop: Header=BB322_13 Depth=1
	v_and_b32_e32 v7, 7, v107
	v_lshrrev_b32_e32 v105, 3, v33
	v_cmp_gt_u32_e64 s2, 8, v33
	s_delay_alu instid0(VALU_DEP_3) | instskip(NEXT) | instid1(VALU_DEP_2)
	v_dual_mov_b32 v34, v8 :: v_dual_mov_b32 v33, v7
	s_and_saveexec_b32 s23, s2
; %bb.676:                              ;   in Loop: Header=BB322_13 Depth=1
	v_clz_i32_u32_e32 v33, v7
	s_delay_alu instid0(VALU_DEP_1) | instskip(NEXT) | instid1(VALU_DEP_1)
	v_min_u32_e32 v105, 32, v33
	v_subrev_nc_u32_e32 v33, 28, v105
	v_sub_nc_u32_e32 v105, 29, v105
	s_delay_alu instid0(VALU_DEP_2) | instskip(NEXT) | instid1(VALU_DEP_1)
	v_lshlrev_b64 v[33:34], v33, v[7:8]
	v_and_b32_e32 v33, 7, v33
; %bb.677:                              ;   in Loop: Header=BB322_13 Depth=1
	s_or_b32 exec_lo, exec_lo, s23
	v_lshlrev_b32_e32 v7, 8, v107
	v_lshl_add_u32 v34, v105, 10, 0x2000
	s_delay_alu instid0(VALU_DEP_1) | instskip(NEXT) | instid1(VALU_DEP_1)
	v_and_or_b32 v7, 0x8000, v7, v34
	v_lshl_or_b32 v7, v33, 7, v7
	s_delay_alu instid0(VALU_DEP_1)
	v_cvt_f32_f16_e32 v105, v7
.LBB322_678:                            ;   in Loop: Header=BB322_13 Depth=1
	s_or_b32 exec_lo, exec_lo, s22
.LBB322_679:                            ;   in Loop: Header=BB322_13 Depth=1
	s_delay_alu instid0(SALU_CYCLE_1)
	s_or_b32 exec_lo, exec_lo, s21
.LBB322_680:                            ;   in Loop: Header=BB322_13 Depth=1
	s_delay_alu instid0(SALU_CYCLE_1) | instskip(NEXT) | instid1(SALU_CYCLE_1)
	s_or_b32 exec_lo, exec_lo, s20
	s_mov_b32 s20, exec_lo
	v_cmpx_lt_u32_e32 0xffffff, v106
	s_cbranch_execz .LBB322_688
; %bb.681:                              ;   in Loop: Header=BB322_13 Depth=1
	v_lshrrev_b32_e32 v106, 24, v106
	v_bfrev_b32_e32 v104, 1
	s_mov_b32 s21, exec_lo
	s_delay_alu instid0(VALU_DEP_2)
	v_cmpx_ne_u32_e32 0x80, v106
	s_cbranch_execz .LBB322_687
; %bb.682:                              ;   in Loop: Header=BB322_13 Depth=1
	v_and_b32_e32 v33, 0x7f, v106
	v_mov_b32_e32 v104, 0x7fc02000
	s_mov_b32 s22, exec_lo
	s_delay_alu instid0(VALU_DEP_2)
	v_cmpx_ne_u32_e32 0x7f, v33
	s_cbranch_execz .LBB322_686
; %bb.683:                              ;   in Loop: Header=BB322_13 Depth=1
	v_and_b32_e32 v7, 7, v106
	v_lshrrev_b32_e32 v104, 3, v33
	v_cmp_gt_u32_e64 s2, 8, v33
	s_delay_alu instid0(VALU_DEP_3) | instskip(NEXT) | instid1(VALU_DEP_2)
	v_dual_mov_b32 v34, v8 :: v_dual_mov_b32 v33, v7
	s_and_saveexec_b32 s23, s2
; %bb.684:                              ;   in Loop: Header=BB322_13 Depth=1
	v_clz_i32_u32_e32 v33, v7
	s_delay_alu instid0(VALU_DEP_1) | instskip(NEXT) | instid1(VALU_DEP_1)
	v_min_u32_e32 v104, 32, v33
	v_subrev_nc_u32_e32 v33, 28, v104
	v_sub_nc_u32_e32 v104, 29, v104
	s_delay_alu instid0(VALU_DEP_2) | instskip(NEXT) | instid1(VALU_DEP_1)
	v_lshlrev_b64 v[33:34], v33, v[7:8]
	v_and_b32_e32 v33, 7, v33
; %bb.685:                              ;   in Loop: Header=BB322_13 Depth=1
	s_or_b32 exec_lo, exec_lo, s23
	v_lshlrev_b32_e32 v7, 8, v106
	v_lshl_add_u32 v34, v104, 10, 0x2000
	s_delay_alu instid0(VALU_DEP_1) | instskip(NEXT) | instid1(VALU_DEP_1)
	v_and_or_b32 v7, 0x8000, v7, v34
	v_lshl_or_b32 v7, v33, 7, v7
	s_delay_alu instid0(VALU_DEP_1)
	v_cvt_f32_f16_e32 v104, v7
.LBB322_686:                            ;   in Loop: Header=BB322_13 Depth=1
	s_or_b32 exec_lo, exec_lo, s22
.LBB322_687:                            ;   in Loop: Header=BB322_13 Depth=1
	s_delay_alu instid0(SALU_CYCLE_1)
	s_or_b32 exec_lo, exec_lo, s21
.LBB322_688:                            ;   in Loop: Header=BB322_13 Depth=1
	s_delay_alu instid0(SALU_CYCLE_1)
	s_or_b32 exec_lo, exec_lo, s20
	flat_load_b32 v110, v[31:32] offset:2568
	v_mov_b32_e32 v107, 0
	s_mov_b32 s20, exec_lo
	s_waitcnt vmcnt(0) lgkmcnt(0)
	v_dual_mov_b32 v106, 0 :: v_dual_and_b32 v7, 0xff, v110
	s_delay_alu instid0(VALU_DEP_1)
	v_cmpx_ne_u16_e32 0, v7
	s_cbranch_execz .LBB322_696
; %bb.689:                              ;   in Loop: Header=BB322_13 Depth=1
	v_bfrev_b32_e32 v107, 1
	s_mov_b32 s21, exec_lo
	v_cmpx_ne_u16_e32 0x80, v7
	s_cbranch_execz .LBB322_695
; %bb.690:                              ;   in Loop: Header=BB322_13 Depth=1
	v_and_b32_e32 v33, 0x7f, v110
	v_mov_b32_e32 v107, 0x7fc02000
	s_mov_b32 s22, exec_lo
	s_delay_alu instid0(VALU_DEP_2)
	v_cmpx_ne_u32_e32 0x7f, v33
	s_cbranch_execz .LBB322_694
; %bb.691:                              ;   in Loop: Header=BB322_13 Depth=1
	v_and_b32_e32 v7, 7, v110
	v_lshrrev_b32_e32 v107, 3, v33
	v_cmp_gt_u32_e64 s2, 8, v33
	s_delay_alu instid0(VALU_DEP_3) | instskip(NEXT) | instid1(VALU_DEP_2)
	v_dual_mov_b32 v34, v8 :: v_dual_mov_b32 v33, v7
	s_and_saveexec_b32 s23, s2
; %bb.692:                              ;   in Loop: Header=BB322_13 Depth=1
	v_clz_i32_u32_e32 v33, v7
	s_delay_alu instid0(VALU_DEP_1) | instskip(NEXT) | instid1(VALU_DEP_1)
	v_min_u32_e32 v107, 32, v33
	v_subrev_nc_u32_e32 v33, 28, v107
	v_sub_nc_u32_e32 v107, 29, v107
	s_delay_alu instid0(VALU_DEP_2) | instskip(NEXT) | instid1(VALU_DEP_1)
	v_lshlrev_b64 v[33:34], v33, v[7:8]
	v_and_b32_e32 v33, 7, v33
; %bb.693:                              ;   in Loop: Header=BB322_13 Depth=1
	s_or_b32 exec_lo, exec_lo, s23
	v_lshlrev_b32_e32 v7, 8, v110
	v_lshl_add_u32 v34, v107, 10, 0x2000
	s_delay_alu instid0(VALU_DEP_1) | instskip(NEXT) | instid1(VALU_DEP_1)
	v_and_or_b32 v7, 0x8000, v7, v34
	v_lshl_or_b32 v7, v33, 7, v7
	s_delay_alu instid0(VALU_DEP_1)
	v_cvt_f32_f16_e32 v107, v7
.LBB322_694:                            ;   in Loop: Header=BB322_13 Depth=1
	s_or_b32 exec_lo, exec_lo, s22
.LBB322_695:                            ;   in Loop: Header=BB322_13 Depth=1
	s_delay_alu instid0(SALU_CYCLE_1)
	s_or_b32 exec_lo, exec_lo, s21
.LBB322_696:                            ;   in Loop: Header=BB322_13 Depth=1
	s_delay_alu instid0(SALU_CYCLE_1) | instskip(SKIP_2) | instid1(VALU_DEP_1)
	s_or_b32 exec_lo, exec_lo, s20
	v_lshrrev_b16 v7, 8, v110
	s_mov_b32 s20, exec_lo
	v_cmpx_ne_u16_e32 0, v7
	s_cbranch_execz .LBB322_704
; %bb.697:                              ;   in Loop: Header=BB322_13 Depth=1
	v_bfrev_b32_e32 v106, 1
	s_mov_b32 s21, exec_lo
	v_cmpx_ne_u16_e32 0x80, v7
	s_cbranch_execz .LBB322_703
; %bb.698:                              ;   in Loop: Header=BB322_13 Depth=1
	v_and_b32_e32 v108, 0xffff, v7
	v_mov_b32_e32 v106, 0x7fc02000
	s_mov_b32 s22, exec_lo
	s_delay_alu instid0(VALU_DEP_2) | instskip(NEXT) | instid1(VALU_DEP_1)
	v_and_b32_e32 v109, 0x7f, v108
	v_cmpx_ne_u32_e32 0x7f, v109
	s_cbranch_execz .LBB322_702
; %bb.699:                              ;   in Loop: Header=BB322_13 Depth=1
	v_and_b32_e32 v7, 7, v108
	v_lshrrev_b32_e32 v106, 3, v109
	v_mov_b32_e32 v34, v8
	s_mov_b32 s23, exec_lo
	s_delay_alu instid0(VALU_DEP_3)
	v_mov_b32_e32 v33, v7
	v_cmpx_gt_u32_e32 8, v109
; %bb.700:                              ;   in Loop: Header=BB322_13 Depth=1
	v_clz_i32_u32_e32 v33, v7
	s_delay_alu instid0(VALU_DEP_1) | instskip(NEXT) | instid1(VALU_DEP_1)
	v_min_u32_e32 v106, 32, v33
	v_subrev_nc_u32_e32 v33, 28, v106
	v_sub_nc_u32_e32 v106, 29, v106
	s_delay_alu instid0(VALU_DEP_2) | instskip(NEXT) | instid1(VALU_DEP_1)
	v_lshlrev_b64 v[33:34], v33, v[7:8]
	v_and_b32_e32 v33, 7, v33
; %bb.701:                              ;   in Loop: Header=BB322_13 Depth=1
	s_or_b32 exec_lo, exec_lo, s23
	v_lshlrev_b32_e32 v7, 8, v108
	v_lshl_add_u32 v34, v106, 10, 0x2000
	s_delay_alu instid0(VALU_DEP_1) | instskip(NEXT) | instid1(VALU_DEP_1)
	v_and_or_b32 v7, 0x8000, v7, v34
	v_lshl_or_b32 v7, v33, 7, v7
	s_delay_alu instid0(VALU_DEP_1)
	v_cvt_f32_f16_e32 v106, v7
.LBB322_702:                            ;   in Loop: Header=BB322_13 Depth=1
	s_or_b32 exec_lo, exec_lo, s22
.LBB322_703:                            ;   in Loop: Header=BB322_13 Depth=1
	s_delay_alu instid0(SALU_CYCLE_1)
	s_or_b32 exec_lo, exec_lo, s21
.LBB322_704:                            ;   in Loop: Header=BB322_13 Depth=1
	s_delay_alu instid0(SALU_CYCLE_1) | instskip(SKIP_3) | instid1(VALU_DEP_2)
	s_or_b32 exec_lo, exec_lo, s20
	v_lshrrev_b32_e32 v111, 16, v110
	v_mov_b32_e32 v109, 0
	s_mov_b32 s20, exec_lo
	v_dual_mov_b32 v108, 0 :: v_dual_and_b32 v7, 0xff, v111
	s_delay_alu instid0(VALU_DEP_1)
	v_cmpx_ne_u16_e32 0, v7
	s_cbranch_execz .LBB322_712
; %bb.705:                              ;   in Loop: Header=BB322_13 Depth=1
	v_bfrev_b32_e32 v109, 1
	s_mov_b32 s21, exec_lo
	v_cmpx_ne_u16_e32 0x80, v7
	s_cbranch_execz .LBB322_711
; %bb.706:                              ;   in Loop: Header=BB322_13 Depth=1
	v_bfe_u32 v120, v110, 16, 7
	v_mov_b32_e32 v109, 0x7fc02000
	s_mov_b32 s22, exec_lo
	s_delay_alu instid0(VALU_DEP_2)
	v_cmpx_ne_u32_e32 0x7f, v120
	s_cbranch_execz .LBB322_710
; %bb.707:                              ;   in Loop: Header=BB322_13 Depth=1
	v_and_b32_e32 v7, 7, v111
	v_lshrrev_b32_e32 v109, 3, v120
	v_mov_b32_e32 v34, v8
	s_mov_b32 s23, exec_lo
	s_delay_alu instid0(VALU_DEP_3)
	v_mov_b32_e32 v33, v7
	v_cmpx_gt_u32_e32 8, v120
; %bb.708:                              ;   in Loop: Header=BB322_13 Depth=1
	v_clz_i32_u32_e32 v33, v7
	s_delay_alu instid0(VALU_DEP_1) | instskip(NEXT) | instid1(VALU_DEP_1)
	v_min_u32_e32 v109, 32, v33
	v_subrev_nc_u32_e32 v33, 28, v109
	v_sub_nc_u32_e32 v109, 29, v109
	s_delay_alu instid0(VALU_DEP_2) | instskip(NEXT) | instid1(VALU_DEP_1)
	v_lshlrev_b64 v[33:34], v33, v[7:8]
	v_and_b32_e32 v33, 7, v33
; %bb.709:                              ;   in Loop: Header=BB322_13 Depth=1
	s_or_b32 exec_lo, exec_lo, s23
	v_lshlrev_b32_e32 v7, 8, v111
	v_lshl_add_u32 v34, v109, 10, 0x2000
	s_delay_alu instid0(VALU_DEP_1) | instskip(NEXT) | instid1(VALU_DEP_1)
	v_and_or_b32 v7, 0x8000, v7, v34
	v_lshl_or_b32 v7, v33, 7, v7
	s_delay_alu instid0(VALU_DEP_1)
	v_cvt_f32_f16_e32 v109, v7
.LBB322_710:                            ;   in Loop: Header=BB322_13 Depth=1
	s_or_b32 exec_lo, exec_lo, s22
.LBB322_711:                            ;   in Loop: Header=BB322_13 Depth=1
	s_delay_alu instid0(SALU_CYCLE_1)
	s_or_b32 exec_lo, exec_lo, s21
.LBB322_712:                            ;   in Loop: Header=BB322_13 Depth=1
	s_delay_alu instid0(SALU_CYCLE_1) | instskip(NEXT) | instid1(SALU_CYCLE_1)
	s_or_b32 exec_lo, exec_lo, s20
	s_mov_b32 s20, exec_lo
	v_cmpx_lt_u32_e32 0xffffff, v110
	s_cbranch_execz .LBB322_720
; %bb.713:                              ;   in Loop: Header=BB322_13 Depth=1
	v_lshrrev_b32_e32 v110, 24, v110
	v_bfrev_b32_e32 v108, 1
	s_mov_b32 s21, exec_lo
	s_delay_alu instid0(VALU_DEP_2)
	v_cmpx_ne_u32_e32 0x80, v110
	s_cbranch_execz .LBB322_719
; %bb.714:                              ;   in Loop: Header=BB322_13 Depth=1
	v_and_b32_e32 v111, 0x7f, v110
	v_mov_b32_e32 v108, 0x7fc02000
	s_mov_b32 s22, exec_lo
	s_delay_alu instid0(VALU_DEP_2)
	v_cmpx_ne_u32_e32 0x7f, v111
	s_cbranch_execz .LBB322_718
; %bb.715:                              ;   in Loop: Header=BB322_13 Depth=1
	v_and_b32_e32 v7, 7, v110
	v_lshrrev_b32_e32 v108, 3, v111
	v_mov_b32_e32 v34, v8
	s_mov_b32 s23, exec_lo
	s_delay_alu instid0(VALU_DEP_3)
	v_mov_b32_e32 v33, v7
	v_cmpx_gt_u32_e32 8, v111
; %bb.716:                              ;   in Loop: Header=BB322_13 Depth=1
	v_clz_i32_u32_e32 v33, v7
	s_delay_alu instid0(VALU_DEP_1) | instskip(NEXT) | instid1(VALU_DEP_1)
	v_min_u32_e32 v108, 32, v33
	v_subrev_nc_u32_e32 v33, 28, v108
	v_sub_nc_u32_e32 v108, 29, v108
	s_delay_alu instid0(VALU_DEP_2) | instskip(NEXT) | instid1(VALU_DEP_1)
	v_lshlrev_b64 v[33:34], v33, v[7:8]
	v_and_b32_e32 v33, 7, v33
; %bb.717:                              ;   in Loop: Header=BB322_13 Depth=1
	s_or_b32 exec_lo, exec_lo, s23
	v_lshlrev_b32_e32 v7, 8, v110
	v_lshl_add_u32 v34, v108, 10, 0x2000
	s_delay_alu instid0(VALU_DEP_1) | instskip(NEXT) | instid1(VALU_DEP_1)
	v_and_or_b32 v7, 0x8000, v7, v34
	v_lshl_or_b32 v7, v33, 7, v7
	s_delay_alu instid0(VALU_DEP_1)
	v_cvt_f32_f16_e32 v108, v7
.LBB322_718:                            ;   in Loop: Header=BB322_13 Depth=1
	s_or_b32 exec_lo, exec_lo, s22
.LBB322_719:                            ;   in Loop: Header=BB322_13 Depth=1
	s_delay_alu instid0(SALU_CYCLE_1)
	s_or_b32 exec_lo, exec_lo, s21
.LBB322_720:                            ;   in Loop: Header=BB322_13 Depth=1
	s_delay_alu instid0(SALU_CYCLE_1)
	s_or_b32 exec_lo, exec_lo, s20
	flat_load_b32 v122, v[31:32] offset:2816
	v_mov_b32_e32 v111, 0
	s_mov_b32 s20, exec_lo
	s_waitcnt vmcnt(0) lgkmcnt(0)
	v_dual_mov_b32 v110, 0 :: v_dual_and_b32 v7, 0xff, v122
	s_delay_alu instid0(VALU_DEP_1)
	v_cmpx_ne_u16_e32 0, v7
	s_cbranch_execz .LBB322_728
; %bb.721:                              ;   in Loop: Header=BB322_13 Depth=1
	v_bfrev_b32_e32 v111, 1
	s_mov_b32 s21, exec_lo
	v_cmpx_ne_u16_e32 0x80, v7
	s_cbranch_execz .LBB322_727
; %bb.722:                              ;   in Loop: Header=BB322_13 Depth=1
	v_and_b32_e32 v120, 0x7f, v122
	v_mov_b32_e32 v111, 0x7fc02000
	s_mov_b32 s22, exec_lo
	s_delay_alu instid0(VALU_DEP_2)
	v_cmpx_ne_u32_e32 0x7f, v120
	s_cbranch_execz .LBB322_726
; %bb.723:                              ;   in Loop: Header=BB322_13 Depth=1
	v_and_b32_e32 v7, 7, v122
	v_lshrrev_b32_e32 v111, 3, v120
	v_mov_b32_e32 v34, v8
	s_mov_b32 s23, exec_lo
	s_delay_alu instid0(VALU_DEP_3)
	v_mov_b32_e32 v33, v7
	v_cmpx_gt_u32_e32 8, v120
; %bb.724:                              ;   in Loop: Header=BB322_13 Depth=1
	v_clz_i32_u32_e32 v33, v7
	s_delay_alu instid0(VALU_DEP_1) | instskip(NEXT) | instid1(VALU_DEP_1)
	v_min_u32_e32 v111, 32, v33
	v_subrev_nc_u32_e32 v33, 28, v111
	v_sub_nc_u32_e32 v111, 29, v111
	s_delay_alu instid0(VALU_DEP_2) | instskip(NEXT) | instid1(VALU_DEP_1)
	v_lshlrev_b64 v[33:34], v33, v[7:8]
	v_and_b32_e32 v33, 7, v33
; %bb.725:                              ;   in Loop: Header=BB322_13 Depth=1
	s_or_b32 exec_lo, exec_lo, s23
	v_lshlrev_b32_e32 v7, 8, v122
	v_lshl_add_u32 v34, v111, 10, 0x2000
	s_delay_alu instid0(VALU_DEP_1) | instskip(NEXT) | instid1(VALU_DEP_1)
	v_and_or_b32 v7, 0x8000, v7, v34
	v_lshl_or_b32 v7, v33, 7, v7
	s_delay_alu instid0(VALU_DEP_1)
	v_cvt_f32_f16_e32 v111, v7
.LBB322_726:                            ;   in Loop: Header=BB322_13 Depth=1
	s_or_b32 exec_lo, exec_lo, s22
.LBB322_727:                            ;   in Loop: Header=BB322_13 Depth=1
	s_delay_alu instid0(SALU_CYCLE_1)
	s_or_b32 exec_lo, exec_lo, s21
.LBB322_728:                            ;   in Loop: Header=BB322_13 Depth=1
	s_delay_alu instid0(SALU_CYCLE_1) | instskip(SKIP_2) | instid1(VALU_DEP_1)
	s_or_b32 exec_lo, exec_lo, s20
	v_lshrrev_b16 v7, 8, v122
	s_mov_b32 s20, exec_lo
	v_cmpx_ne_u16_e32 0, v7
	s_cbranch_execz .LBB322_736
; %bb.729:                              ;   in Loop: Header=BB322_13 Depth=1
	v_bfrev_b32_e32 v110, 1
	s_mov_b32 s21, exec_lo
	v_cmpx_ne_u16_e32 0x80, v7
	s_cbranch_execz .LBB322_735
; %bb.730:                              ;   in Loop: Header=BB322_13 Depth=1
	v_and_b32_e32 v120, 0xffff, v7
	v_mov_b32_e32 v110, 0x7fc02000
	s_mov_b32 s22, exec_lo
	s_delay_alu instid0(VALU_DEP_2) | instskip(NEXT) | instid1(VALU_DEP_1)
	v_and_b32_e32 v121, 0x7f, v120
	v_cmpx_ne_u32_e32 0x7f, v121
	s_cbranch_execz .LBB322_734
; %bb.731:                              ;   in Loop: Header=BB322_13 Depth=1
	v_and_b32_e32 v7, 7, v120
	v_lshrrev_b32_e32 v110, 3, v121
	v_mov_b32_e32 v34, v8
	s_mov_b32 s23, exec_lo
	s_delay_alu instid0(VALU_DEP_3)
	v_mov_b32_e32 v33, v7
	v_cmpx_gt_u32_e32 8, v121
; %bb.732:                              ;   in Loop: Header=BB322_13 Depth=1
	v_clz_i32_u32_e32 v33, v7
	s_delay_alu instid0(VALU_DEP_1) | instskip(NEXT) | instid1(VALU_DEP_1)
	v_min_u32_e32 v110, 32, v33
	v_subrev_nc_u32_e32 v33, 28, v110
	v_sub_nc_u32_e32 v110, 29, v110
	s_delay_alu instid0(VALU_DEP_2) | instskip(NEXT) | instid1(VALU_DEP_1)
	v_lshlrev_b64 v[33:34], v33, v[7:8]
	v_and_b32_e32 v33, 7, v33
; %bb.733:                              ;   in Loop: Header=BB322_13 Depth=1
	s_or_b32 exec_lo, exec_lo, s23
	v_lshlrev_b32_e32 v7, 8, v120
	v_lshl_add_u32 v34, v110, 10, 0x2000
	s_delay_alu instid0(VALU_DEP_1) | instskip(NEXT) | instid1(VALU_DEP_1)
	v_and_or_b32 v7, 0x8000, v7, v34
	v_lshl_or_b32 v7, v33, 7, v7
	s_delay_alu instid0(VALU_DEP_1)
	v_cvt_f32_f16_e32 v110, v7
.LBB322_734:                            ;   in Loop: Header=BB322_13 Depth=1
	s_or_b32 exec_lo, exec_lo, s22
.LBB322_735:                            ;   in Loop: Header=BB322_13 Depth=1
	s_delay_alu instid0(SALU_CYCLE_1)
	s_or_b32 exec_lo, exec_lo, s21
.LBB322_736:                            ;   in Loop: Header=BB322_13 Depth=1
	s_delay_alu instid0(SALU_CYCLE_1) | instskip(SKIP_3) | instid1(VALU_DEP_2)
	s_or_b32 exec_lo, exec_lo, s20
	v_lshrrev_b32_e32 v123, 16, v122
	v_mov_b32_e32 v121, 0
	s_mov_b32 s20, exec_lo
	v_dual_mov_b32 v120, 0 :: v_dual_and_b32 v7, 0xff, v123
	s_delay_alu instid0(VALU_DEP_1)
	v_cmpx_ne_u16_e32 0, v7
	s_cbranch_execz .LBB322_744
; %bb.737:                              ;   in Loop: Header=BB322_13 Depth=1
	v_bfrev_b32_e32 v121, 1
	s_mov_b32 s21, exec_lo
	v_cmpx_ne_u16_e32 0x80, v7
	s_cbranch_execz .LBB322_743
; %bb.738:                              ;   in Loop: Header=BB322_13 Depth=1
	v_bfe_u32 v124, v122, 16, 7
	v_mov_b32_e32 v121, 0x7fc02000
	s_mov_b32 s22, exec_lo
	s_delay_alu instid0(VALU_DEP_2)
	v_cmpx_ne_u32_e32 0x7f, v124
	s_cbranch_execz .LBB322_742
; %bb.739:                              ;   in Loop: Header=BB322_13 Depth=1
	v_and_b32_e32 v7, 7, v123
	v_lshrrev_b32_e32 v121, 3, v124
	v_mov_b32_e32 v34, v8
	s_mov_b32 s23, exec_lo
	s_delay_alu instid0(VALU_DEP_3)
	v_mov_b32_e32 v33, v7
	v_cmpx_gt_u32_e32 8, v124
; %bb.740:                              ;   in Loop: Header=BB322_13 Depth=1
	v_clz_i32_u32_e32 v33, v7
	s_delay_alu instid0(VALU_DEP_1) | instskip(NEXT) | instid1(VALU_DEP_1)
	v_min_u32_e32 v121, 32, v33
	v_subrev_nc_u32_e32 v33, 28, v121
	v_sub_nc_u32_e32 v121, 29, v121
	s_delay_alu instid0(VALU_DEP_2) | instskip(NEXT) | instid1(VALU_DEP_1)
	v_lshlrev_b64 v[33:34], v33, v[7:8]
	v_and_b32_e32 v33, 7, v33
; %bb.741:                              ;   in Loop: Header=BB322_13 Depth=1
	s_or_b32 exec_lo, exec_lo, s23
	v_lshlrev_b32_e32 v7, 8, v123
	v_lshl_add_u32 v34, v121, 10, 0x2000
	s_delay_alu instid0(VALU_DEP_1) | instskip(NEXT) | instid1(VALU_DEP_1)
	v_and_or_b32 v7, 0x8000, v7, v34
	v_lshl_or_b32 v7, v33, 7, v7
	s_delay_alu instid0(VALU_DEP_1)
	v_cvt_f32_f16_e32 v121, v7
.LBB322_742:                            ;   in Loop: Header=BB322_13 Depth=1
	s_or_b32 exec_lo, exec_lo, s22
.LBB322_743:                            ;   in Loop: Header=BB322_13 Depth=1
	s_delay_alu instid0(SALU_CYCLE_1)
	s_or_b32 exec_lo, exec_lo, s21
.LBB322_744:                            ;   in Loop: Header=BB322_13 Depth=1
	s_delay_alu instid0(SALU_CYCLE_1) | instskip(NEXT) | instid1(SALU_CYCLE_1)
	s_or_b32 exec_lo, exec_lo, s20
	s_mov_b32 s20, exec_lo
	v_cmpx_lt_u32_e32 0xffffff, v122
	s_cbranch_execz .LBB322_752
; %bb.745:                              ;   in Loop: Header=BB322_13 Depth=1
	v_lshrrev_b32_e32 v122, 24, v122
	v_bfrev_b32_e32 v120, 1
	s_mov_b32 s21, exec_lo
	s_delay_alu instid0(VALU_DEP_2)
	v_cmpx_ne_u32_e32 0x80, v122
	s_cbranch_execz .LBB322_751
; %bb.746:                              ;   in Loop: Header=BB322_13 Depth=1
	v_and_b32_e32 v123, 0x7f, v122
	v_mov_b32_e32 v120, 0x7fc02000
	s_mov_b32 s22, exec_lo
	s_delay_alu instid0(VALU_DEP_2)
	v_cmpx_ne_u32_e32 0x7f, v123
	s_cbranch_execz .LBB322_750
; %bb.747:                              ;   in Loop: Header=BB322_13 Depth=1
	v_and_b32_e32 v7, 7, v122
	v_lshrrev_b32_e32 v120, 3, v123
	v_mov_b32_e32 v34, v8
	s_mov_b32 s23, exec_lo
	s_delay_alu instid0(VALU_DEP_3)
	v_mov_b32_e32 v33, v7
	v_cmpx_gt_u32_e32 8, v123
; %bb.748:                              ;   in Loop: Header=BB322_13 Depth=1
	v_clz_i32_u32_e32 v33, v7
	s_delay_alu instid0(VALU_DEP_1) | instskip(NEXT) | instid1(VALU_DEP_1)
	v_min_u32_e32 v120, 32, v33
	v_subrev_nc_u32_e32 v33, 28, v120
	v_sub_nc_u32_e32 v120, 29, v120
	s_delay_alu instid0(VALU_DEP_2) | instskip(NEXT) | instid1(VALU_DEP_1)
	v_lshlrev_b64 v[33:34], v33, v[7:8]
	v_and_b32_e32 v33, 7, v33
; %bb.749:                              ;   in Loop: Header=BB322_13 Depth=1
	s_or_b32 exec_lo, exec_lo, s23
	v_lshlrev_b32_e32 v7, 8, v122
	v_lshl_add_u32 v34, v120, 10, 0x2000
	s_delay_alu instid0(VALU_DEP_1) | instskip(NEXT) | instid1(VALU_DEP_1)
	v_and_or_b32 v7, 0x8000, v7, v34
	v_lshl_or_b32 v7, v33, 7, v7
	s_delay_alu instid0(VALU_DEP_1)
	v_cvt_f32_f16_e32 v120, v7
.LBB322_750:                            ;   in Loop: Header=BB322_13 Depth=1
	s_or_b32 exec_lo, exec_lo, s22
.LBB322_751:                            ;   in Loop: Header=BB322_13 Depth=1
	s_delay_alu instid0(SALU_CYCLE_1)
	s_or_b32 exec_lo, exec_lo, s21
.LBB322_752:                            ;   in Loop: Header=BB322_13 Depth=1
	s_delay_alu instid0(SALU_CYCLE_1)
	s_or_b32 exec_lo, exec_lo, s20
	flat_load_b32 v124, v[31:32] offset:2824
	v_mov_b32_e32 v33, 0
	s_mov_b32 s20, exec_lo
	s_waitcnt vmcnt(0) lgkmcnt(0)
	v_dual_mov_b32 v34, 0 :: v_dual_and_b32 v7, 0xff, v124
	s_delay_alu instid0(VALU_DEP_1)
	v_cmpx_ne_u16_e32 0, v7
	s_cbranch_execz .LBB322_760
; %bb.753:                              ;   in Loop: Header=BB322_13 Depth=1
	v_bfrev_b32_e32 v34, 1
	s_mov_b32 s21, exec_lo
	v_cmpx_ne_u16_e32 0x80, v7
	s_cbranch_execz .LBB322_759
; %bb.754:                              ;   in Loop: Header=BB322_13 Depth=1
	v_and_b32_e32 v122, 0x7f, v124
	v_mov_b32_e32 v34, 0x7fc02000
	s_mov_b32 s22, exec_lo
	s_delay_alu instid0(VALU_DEP_2)
	v_cmpx_ne_u32_e32 0x7f, v122
	s_cbranch_execz .LBB322_758
; %bb.755:                              ;   in Loop: Header=BB322_13 Depth=1
	v_and_b32_e32 v7, 7, v124
	v_lshrrev_b32_e32 v34, 3, v122
	v_mov_b32_e32 v32, v8
	s_mov_b32 s23, exec_lo
	s_delay_alu instid0(VALU_DEP_3)
	v_mov_b32_e32 v31, v7
	v_cmpx_gt_u32_e32 8, v122
; %bb.756:                              ;   in Loop: Header=BB322_13 Depth=1
	v_clz_i32_u32_e32 v31, v7
	s_delay_alu instid0(VALU_DEP_1) | instskip(NEXT) | instid1(VALU_DEP_1)
	v_min_u32_e32 v34, 32, v31
	v_subrev_nc_u32_e32 v31, 28, v34
	v_sub_nc_u32_e32 v34, 29, v34
	s_delay_alu instid0(VALU_DEP_2) | instskip(NEXT) | instid1(VALU_DEP_1)
	v_lshlrev_b64 v[31:32], v31, v[7:8]
	v_and_b32_e32 v31, 7, v31
; %bb.757:                              ;   in Loop: Header=BB322_13 Depth=1
	s_or_b32 exec_lo, exec_lo, s23
	v_lshlrev_b32_e32 v7, 8, v124
	v_lshl_add_u32 v32, v34, 10, 0x2000
	s_delay_alu instid0(VALU_DEP_1) | instskip(NEXT) | instid1(VALU_DEP_1)
	v_and_or_b32 v7, 0x8000, v7, v32
	v_lshl_or_b32 v7, v31, 7, v7
	s_delay_alu instid0(VALU_DEP_1)
	v_cvt_f32_f16_e32 v34, v7
.LBB322_758:                            ;   in Loop: Header=BB322_13 Depth=1
	s_or_b32 exec_lo, exec_lo, s22
.LBB322_759:                            ;   in Loop: Header=BB322_13 Depth=1
	s_delay_alu instid0(SALU_CYCLE_1)
	s_or_b32 exec_lo, exec_lo, s21
.LBB322_760:                            ;   in Loop: Header=BB322_13 Depth=1
	s_delay_alu instid0(SALU_CYCLE_1) | instskip(SKIP_2) | instid1(VALU_DEP_1)
	s_or_b32 exec_lo, exec_lo, s20
	v_lshrrev_b16 v7, 8, v124
	s_mov_b32 s20, exec_lo
	v_cmpx_ne_u16_e32 0, v7
	s_cbranch_execz .LBB322_768
; %bb.761:                              ;   in Loop: Header=BB322_13 Depth=1
	v_bfrev_b32_e32 v33, 1
	s_mov_b32 s21, exec_lo
	v_cmpx_ne_u16_e32 0x80, v7
	s_cbranch_execz .LBB322_767
; %bb.762:                              ;   in Loop: Header=BB322_13 Depth=1
	v_and_b32_e32 v122, 0xffff, v7
	v_mov_b32_e32 v33, 0x7fc02000
	s_mov_b32 s22, exec_lo
	s_delay_alu instid0(VALU_DEP_2) | instskip(NEXT) | instid1(VALU_DEP_1)
	v_and_b32_e32 v123, 0x7f, v122
	v_cmpx_ne_u32_e32 0x7f, v123
	s_cbranch_execz .LBB322_766
; %bb.763:                              ;   in Loop: Header=BB322_13 Depth=1
	v_and_b32_e32 v7, 7, v122
	v_lshrrev_b32_e32 v33, 3, v123
	v_mov_b32_e32 v32, v8
	s_mov_b32 s23, exec_lo
	s_delay_alu instid0(VALU_DEP_3)
	v_mov_b32_e32 v31, v7
	v_cmpx_gt_u32_e32 8, v123
; %bb.764:                              ;   in Loop: Header=BB322_13 Depth=1
	v_clz_i32_u32_e32 v31, v7
	s_delay_alu instid0(VALU_DEP_1) | instskip(NEXT) | instid1(VALU_DEP_1)
	v_min_u32_e32 v33, 32, v31
	v_subrev_nc_u32_e32 v31, 28, v33
	v_sub_nc_u32_e32 v33, 29, v33
	s_delay_alu instid0(VALU_DEP_2) | instskip(NEXT) | instid1(VALU_DEP_1)
	v_lshlrev_b64 v[31:32], v31, v[7:8]
	v_and_b32_e32 v31, 7, v31
; %bb.765:                              ;   in Loop: Header=BB322_13 Depth=1
	s_or_b32 exec_lo, exec_lo, s23
	v_lshlrev_b32_e32 v7, 8, v122
	v_lshl_add_u32 v32, v33, 10, 0x2000
	s_delay_alu instid0(VALU_DEP_1) | instskip(NEXT) | instid1(VALU_DEP_1)
	v_and_or_b32 v7, 0x8000, v7, v32
	v_lshl_or_b32 v7, v31, 7, v7
	s_delay_alu instid0(VALU_DEP_1)
	v_cvt_f32_f16_e32 v33, v7
.LBB322_766:                            ;   in Loop: Header=BB322_13 Depth=1
	s_or_b32 exec_lo, exec_lo, s22
.LBB322_767:                            ;   in Loop: Header=BB322_13 Depth=1
	s_delay_alu instid0(SALU_CYCLE_1)
	s_or_b32 exec_lo, exec_lo, s21
.LBB322_768:                            ;   in Loop: Header=BB322_13 Depth=1
	s_delay_alu instid0(SALU_CYCLE_1) | instskip(SKIP_3) | instid1(VALU_DEP_2)
	s_or_b32 exec_lo, exec_lo, s20
	v_lshrrev_b32_e32 v125, 16, v124
	v_mov_b32_e32 v123, 0
	s_mov_b32 s20, exec_lo
	v_dual_mov_b32 v122, 0 :: v_dual_and_b32 v7, 0xff, v125
	s_delay_alu instid0(VALU_DEP_1)
	v_cmpx_ne_u16_e32 0, v7
	s_cbranch_execz .LBB322_776
; %bb.769:                              ;   in Loop: Header=BB322_13 Depth=1
	v_bfrev_b32_e32 v123, 1
	s_mov_b32 s21, exec_lo
	v_cmpx_ne_u16_e32 0x80, v7
	s_cbranch_execz .LBB322_775
; %bb.770:                              ;   in Loop: Header=BB322_13 Depth=1
	v_bfe_u32 v126, v124, 16, 7
	v_mov_b32_e32 v123, 0x7fc02000
	s_mov_b32 s22, exec_lo
	s_delay_alu instid0(VALU_DEP_2)
	v_cmpx_ne_u32_e32 0x7f, v126
	s_cbranch_execz .LBB322_774
; %bb.771:                              ;   in Loop: Header=BB322_13 Depth=1
	v_and_b32_e32 v7, 7, v125
	v_lshrrev_b32_e32 v123, 3, v126
	v_mov_b32_e32 v32, v8
	s_mov_b32 s23, exec_lo
	s_delay_alu instid0(VALU_DEP_3)
	v_mov_b32_e32 v31, v7
	v_cmpx_gt_u32_e32 8, v126
; %bb.772:                              ;   in Loop: Header=BB322_13 Depth=1
	v_clz_i32_u32_e32 v31, v7
	s_delay_alu instid0(VALU_DEP_1) | instskip(NEXT) | instid1(VALU_DEP_1)
	v_min_u32_e32 v123, 32, v31
	v_subrev_nc_u32_e32 v31, 28, v123
	v_sub_nc_u32_e32 v123, 29, v123
	s_delay_alu instid0(VALU_DEP_2) | instskip(NEXT) | instid1(VALU_DEP_1)
	v_lshlrev_b64 v[31:32], v31, v[7:8]
	v_and_b32_e32 v31, 7, v31
; %bb.773:                              ;   in Loop: Header=BB322_13 Depth=1
	s_or_b32 exec_lo, exec_lo, s23
	v_lshlrev_b32_e32 v7, 8, v125
	v_lshl_add_u32 v32, v123, 10, 0x2000
	s_delay_alu instid0(VALU_DEP_1) | instskip(NEXT) | instid1(VALU_DEP_1)
	v_and_or_b32 v7, 0x8000, v7, v32
	v_lshl_or_b32 v7, v31, 7, v7
	s_delay_alu instid0(VALU_DEP_1)
	v_cvt_f32_f16_e32 v123, v7
.LBB322_774:                            ;   in Loop: Header=BB322_13 Depth=1
	s_or_b32 exec_lo, exec_lo, s22
.LBB322_775:                            ;   in Loop: Header=BB322_13 Depth=1
	s_delay_alu instid0(SALU_CYCLE_1)
	s_or_b32 exec_lo, exec_lo, s21
.LBB322_776:                            ;   in Loop: Header=BB322_13 Depth=1
	s_delay_alu instid0(SALU_CYCLE_1) | instskip(NEXT) | instid1(SALU_CYCLE_1)
	s_or_b32 exec_lo, exec_lo, s20
	s_mov_b32 s20, exec_lo
	v_cmpx_lt_u32_e32 0xffffff, v124
	s_cbranch_execz .LBB322_784
; %bb.777:                              ;   in Loop: Header=BB322_13 Depth=1
	v_lshrrev_b32_e32 v124, 24, v124
	v_bfrev_b32_e32 v122, 1
	s_mov_b32 s21, exec_lo
	s_delay_alu instid0(VALU_DEP_2)
	v_cmpx_ne_u32_e32 0x80, v124
	s_cbranch_execz .LBB322_783
; %bb.778:                              ;   in Loop: Header=BB322_13 Depth=1
	v_and_b32_e32 v125, 0x7f, v124
	v_mov_b32_e32 v122, 0x7fc02000
	s_mov_b32 s22, exec_lo
	s_delay_alu instid0(VALU_DEP_2)
	v_cmpx_ne_u32_e32 0x7f, v125
	s_cbranch_execz .LBB322_782
; %bb.779:                              ;   in Loop: Header=BB322_13 Depth=1
	v_and_b32_e32 v7, 7, v124
	v_lshrrev_b32_e32 v122, 3, v125
	v_mov_b32_e32 v32, v8
	s_mov_b32 s23, exec_lo
	s_delay_alu instid0(VALU_DEP_3)
	v_mov_b32_e32 v31, v7
	v_cmpx_gt_u32_e32 8, v125
; %bb.780:                              ;   in Loop: Header=BB322_13 Depth=1
	v_clz_i32_u32_e32 v31, v7
	s_delay_alu instid0(VALU_DEP_1) | instskip(NEXT) | instid1(VALU_DEP_1)
	v_min_u32_e32 v122, 32, v31
	v_subrev_nc_u32_e32 v31, 28, v122
	v_sub_nc_u32_e32 v122, 29, v122
	s_delay_alu instid0(VALU_DEP_2) | instskip(NEXT) | instid1(VALU_DEP_1)
	v_lshlrev_b64 v[31:32], v31, v[7:8]
	v_and_b32_e32 v31, 7, v31
; %bb.781:                              ;   in Loop: Header=BB322_13 Depth=1
	s_or_b32 exec_lo, exec_lo, s23
	v_lshlrev_b32_e32 v7, 8, v124
	v_lshl_add_u32 v32, v122, 10, 0x2000
	s_delay_alu instid0(VALU_DEP_1) | instskip(NEXT) | instid1(VALU_DEP_1)
	v_and_or_b32 v7, 0x8000, v7, v32
	v_lshl_or_b32 v7, v31, 7, v7
	s_delay_alu instid0(VALU_DEP_1)
	v_cvt_f32_f16_e32 v122, v7
.LBB322_782:                            ;   in Loop: Header=BB322_13 Depth=1
	s_or_b32 exec_lo, exec_lo, s22
.LBB322_783:                            ;   in Loop: Header=BB322_13 Depth=1
	s_delay_alu instid0(SALU_CYCLE_1)
	s_or_b32 exec_lo, exec_lo, s21
.LBB322_784:                            ;   in Loop: Header=BB322_13 Depth=1
	s_delay_alu instid0(SALU_CYCLE_1)
	s_or_b32 exec_lo, exec_lo, s20
	ds_load_b64 v[31:32], v70
	v_fma_mixlo_f16 v87, v85, v87, 0
	v_fma_mixlo_f16 v86, v85, v86, 0
	;; [unrolled: 1-line block ×5, first 2 shown]
	v_and_b32_e32 v87, 0xffff, v87
	s_delay_alu instid0(VALU_DEP_4) | instskip(NEXT) | instid1(VALU_DEP_4)
	v_and_b32_e32 v97, 0xffff, v97
	v_and_b32_e32 v96, 0xffff, v96
	s_delay_alu instid0(VALU_DEP_4)
	v_and_b32_e32 v99, 0xffff, v99
	s_waitcnt lgkmcnt(0)
	v_lshrrev_b32_e32 v7, 16, v31
	v_and_b32_e32 v31, 0xffff, v31
	v_lshrrev_b32_e32 v124, 16, v32
	v_and_b32_e32 v32, 0xffff, v32
	;;#ASMSTART
	v_cvt_f32_f16 v125, v31;
	;;#ASMEND
	;;#ASMSTART
	v_cvt_f32_f16 v126, v7;
	;;#ASMEND
	;; [unrolled: 3-line block ×3, first 2 shown]
	v_and_b32_e32 v86, 0xffff, v86
	;;#ASMSTART
	v_cvt_f32_f16 v86, v86;
	;;#ASMEND
	;;#ASMSTART
	v_cvt_f32_f16 v127, v32;
	;;#ASMEND
	;; [unrolled: 3-line block ×5, first 2 shown]
	ds_load_b64 v[31:32], v70 offset:8
	s_waitcnt lgkmcnt(0)
	v_and_b32_e32 v7, 0xffff, v31
	;;#ASMSTART
	v_cvt_f32_f16 v7, v7;
	;;#ASMEND
	v_lshrrev_b32_e32 v31, 16, v31
	;;#ASMSTART
	v_cvt_f32_f16 v31, v31;
	;;#ASMEND
	;;#ASMSTART
	v_cvt_f32_f16 v99, v99;
	;;#ASMEND
	v_mul_f32_e32 v7, v7, v99
	v_fma_mixlo_f16 v99, v85, v110, 0
	s_delay_alu instid0(VALU_DEP_2) | instskip(SKIP_1) | instid1(VALU_DEP_3)
	v_fmac_f32_e32 v7, v125, v87
	v_fma_mixlo_f16 v87, v85, v98, 0
	v_and_b32_e32 v99, 0xffff, v99
	s_delay_alu instid0(VALU_DEP_2) | instskip(SKIP_1) | instid1(VALU_DEP_1)
	v_and_b32_e32 v87, 0xffff, v87
	;;#ASMSTART
	v_cvt_f32_f16 v87, v87;
	;;#ASMEND
	v_mul_f32_e32 v31, v31, v87
	v_fma_mixlo_f16 v87, v85, v101, 0
	s_delay_alu instid0(VALU_DEP_2) | instskip(SKIP_2) | instid1(VALU_DEP_4)
	v_fmac_f32_e32 v31, v126, v86
	v_lshrrev_b32_e32 v86, 16, v32
	v_and_b32_e32 v32, 0xffff, v32
	v_and_b32_e32 v87, 0xffff, v87
	;;#ASMSTART
	v_cvt_f32_f16 v32, v32;
	;;#ASMEND
	;;#ASMSTART
	v_cvt_f32_f16 v86, v86;
	;;#ASMEND
	;; [unrolled: 3-line block ×3, first 2 shown]
	s_delay_alu instid0(VALU_DEP_1) | instskip(SKIP_2) | instid1(VALU_DEP_2)
	v_mul_f32_e32 v32, v32, v87
	v_fma_mixlo_f16 v87, v85, v100, 0
	v_fma_mixlo_f16 v100, v85, v121, 0
	v_dual_fmac_f32 v32, v127, v97 :: v_dual_and_b32 v87, 0xffff, v87
	;;#ASMSTART
	v_cvt_f32_f16 v87, v87;
	;;#ASMEND
	s_delay_alu instid0(VALU_DEP_1) | instskip(SKIP_3) | instid1(VALU_DEP_4)
	v_mul_f32_e32 v86, v86, v87
	v_fma_mixlo_f16 v87, v85, v103, 0
	v_fma_mixlo_f16 v103, v85, v34, 0
	v_and_b32_e32 v100, 0xffff, v100
	v_fmac_f32_e32 v86, v124, v96
	ds_load_b64 v[96:97], v70 offset:16
	v_and_b32_e32 v87, 0xffff, v87
	v_and_b32_e32 v103, 0xffff, v103
	s_waitcnt lgkmcnt(0)
	v_and_b32_e32 v98, 0xffff, v96
	v_lshrrev_b32_e32 v96, 16, v96
	;;#ASMSTART
	v_cvt_f32_f16 v98, v98;
	;;#ASMEND
	;;#ASMSTART
	v_cvt_f32_f16 v96, v96;
	;;#ASMEND
	;; [unrolled: 3-line block ×3, first 2 shown]
	v_fmac_f32_e32 v7, v98, v87
	v_fma_mixlo_f16 v87, v85, v102, 0
	v_fma_mixlo_f16 v102, v85, v120, 0
	s_delay_alu instid0(VALU_DEP_2) | instskip(SKIP_1) | instid1(VALU_DEP_1)
	v_and_b32_e32 v87, 0xffff, v87
	;;#ASMSTART
	v_cvt_f32_f16 v87, v87;
	;;#ASMEND
	v_fmac_f32_e32 v31, v96, v87
	v_lshrrev_b32_e32 v87, 16, v97
	v_and_b32_e32 v96, 0xffff, v97
	v_fma_mixlo_f16 v97, v85, v113, 0
	;;#ASMSTART
	v_cvt_f32_f16 v96, v96;
	;;#ASMEND
	;;#ASMSTART
	v_cvt_f32_f16 v87, v87;
	;;#ASMEND
	v_and_b32_e32 v102, 0xffff, v102
	v_fma_mixlo_f16 v113, v85, v123, 0
	v_and_b32_e32 v97, 0xffff, v97
	;;#ASMSTART
	v_cvt_f32_f16 v97, v97;
	;;#ASMEND
	s_delay_alu instid0(VALU_DEP_1) | instskip(SKIP_3) | instid1(VALU_DEP_3)
	v_fmac_f32_e32 v32, v96, v97
	v_fma_mixlo_f16 v96, v85, v112, 0
	v_fma_mixlo_f16 v112, v85, v33, 0
	v_and_b32_e32 v113, 0xffff, v113
	v_and_b32_e32 v96, 0xffff, v96
	;;#ASMSTART
	v_cvt_f32_f16 v96, v96;
	;;#ASMEND
	s_delay_alu instid0(VALU_DEP_1) | instskip(SKIP_3) | instid1(VALU_DEP_2)
	v_fmac_f32_e32 v86, v87, v96
	ds_load_b64 v[96:97], v70 offset:24
	v_fma_mixlo_f16 v87, v85, v115, 0
	v_and_b32_e32 v112, 0xffff, v112
	v_and_b32_e32 v87, 0xffff, v87
	s_waitcnt lgkmcnt(0)
	v_and_b32_e32 v98, 0xffff, v96
	v_lshrrev_b32_e32 v96, 16, v96
	;;#ASMSTART
	v_cvt_f32_f16 v98, v98;
	;;#ASMEND
	;;#ASMSTART
	v_cvt_f32_f16 v96, v96;
	;;#ASMEND
	;;#ASMSTART
	v_cvt_f32_f16 v87, v87;
	;;#ASMEND
	v_fmac_f32_e32 v7, v98, v87
	v_fma_mixlo_f16 v87, v85, v114, 0
	s_delay_alu instid0(VALU_DEP_1) | instskip(SKIP_1) | instid1(VALU_DEP_1)
	v_and_b32_e32 v87, 0xffff, v87
	;;#ASMSTART
	v_cvt_f32_f16 v87, v87;
	;;#ASMEND
	v_fmac_f32_e32 v31, v96, v87
	v_lshrrev_b32_e32 v87, 16, v97
	v_and_b32_e32 v96, 0xffff, v97
	v_fma_mixlo_f16 v97, v85, v117, 0
	;;#ASMSTART
	v_cvt_f32_f16 v96, v96;
	;;#ASMEND
	;;#ASMSTART
	v_cvt_f32_f16 v87, v87;
	;;#ASMEND
	s_delay_alu instid0(VALU_DEP_1) | instskip(SKIP_1) | instid1(VALU_DEP_1)
	v_and_b32_e32 v97, 0xffff, v97
	;;#ASMSTART
	v_cvt_f32_f16 v97, v97;
	;;#ASMEND
	v_fmac_f32_e32 v32, v96, v97
	v_fma_mixlo_f16 v96, v85, v116, 0
	s_delay_alu instid0(VALU_DEP_1) | instskip(SKIP_1) | instid1(VALU_DEP_1)
	v_and_b32_e32 v96, 0xffff, v96
	;;#ASMSTART
	v_cvt_f32_f16 v96, v96;
	;;#ASMEND
	v_fmac_f32_e32 v86, v87, v96
	ds_load_b64 v[96:97], v70 offset:32
	v_fma_mixlo_f16 v87, v85, v119, 0
	s_delay_alu instid0(VALU_DEP_1)
	v_and_b32_e32 v87, 0xffff, v87
	s_waitcnt lgkmcnt(0)
	v_and_b32_e32 v98, 0xffff, v96
	v_lshrrev_b32_e32 v96, 16, v96
	;;#ASMSTART
	v_cvt_f32_f16 v98, v98;
	;;#ASMEND
	;;#ASMSTART
	v_cvt_f32_f16 v96, v96;
	;;#ASMEND
	;;#ASMSTART
	v_cvt_f32_f16 v87, v87;
	;;#ASMEND
	v_fmac_f32_e32 v7, v98, v87
	v_fma_mixlo_f16 v87, v85, v118, 0
	s_delay_alu instid0(VALU_DEP_1) | instskip(SKIP_1) | instid1(VALU_DEP_1)
	v_and_b32_e32 v87, 0xffff, v87
	;;#ASMSTART
	v_cvt_f32_f16 v87, v87;
	;;#ASMEND
	v_fmac_f32_e32 v31, v96, v87
	v_lshrrev_b32_e32 v87, 16, v97
	v_and_b32_e32 v96, 0xffff, v97
	v_fma_mixlo_f16 v97, v85, v129, 0
	;;#ASMSTART
	v_cvt_f32_f16 v96, v96;
	;;#ASMEND
	;;#ASMSTART
	v_cvt_f32_f16 v87, v87;
	;;#ASMEND
	s_delay_alu instid0(VALU_DEP_1) | instskip(SKIP_1) | instid1(VALU_DEP_1)
	v_and_b32_e32 v97, 0xffff, v97
	;;#ASMSTART
	v_cvt_f32_f16 v97, v97;
	;;#ASMEND
	v_fmac_f32_e32 v32, v96, v97
	v_fma_mixlo_f16 v96, v85, v128, 0
	s_delay_alu instid0(VALU_DEP_1) | instskip(SKIP_1) | instid1(VALU_DEP_1)
	v_and_b32_e32 v96, 0xffff, v96
	;;#ASMSTART
	v_cvt_f32_f16 v96, v96;
	;;#ASMEND
	v_fmac_f32_e32 v86, v87, v96
	ds_load_b64 v[96:97], v70 offset:40
	v_fma_mixlo_f16 v87, v85, v131, 0
	s_delay_alu instid0(VALU_DEP_1)
	;; [unrolled: 46-line block ×18, first 2 shown]
	v_and_b32_e32 v87, 0xffff, v87
	s_waitcnt lgkmcnt(0)
	v_and_b32_e32 v98, 0xffff, v96
	v_lshrrev_b32_e32 v96, 16, v96
	;;#ASMSTART
	v_cvt_f32_f16 v98, v98;
	;;#ASMEND
	;;#ASMSTART
	v_cvt_f32_f16 v96, v96;
	;;#ASMEND
	;; [unrolled: 3-line block ×3, first 2 shown]
	v_fmac_f32_e32 v7, v98, v87
	v_fma_mixlo_f16 v87, v85, v106, 0
	v_and_b32_e32 v101, 0xffff, v97
	v_lshrrev_b32_e32 v97, 16, v97
	v_fma_mixlo_f16 v98, v85, v111, 0
	s_delay_alu instid0(VALU_DEP_4) | instskip(SKIP_1) | instid1(VALU_DEP_1)
	v_and_b32_e32 v87, 0xffff, v87
	;;#ASMSTART
	v_cvt_f32_f16 v87, v87;
	;;#ASMEND
	v_fmac_f32_e32 v31, v96, v87
	v_fma_mixlo_f16 v87, v85, v109, 0
	v_fma_mixlo_f16 v96, v85, v108, 0
	;;#ASMSTART
	v_cvt_f32_f16 v101, v101;
	;;#ASMEND
	;;#ASMSTART
	v_cvt_f32_f16 v97, v97;
	;;#ASMEND
	v_and_b32_e32 v98, 0xffff, v98
	v_and_b32_e32 v87, 0xffff, v87
	;; [unrolled: 1-line block ×3, first 2 shown]
	;;#ASMSTART
	v_cvt_f32_f16 v87, v87;
	;;#ASMEND
	;;#ASMSTART
	v_cvt_f32_f16 v96, v96;
	;;#ASMEND
	ds_load_b64 v[33:34], v70 offset:176
	v_fmac_f32_e32 v32, v101, v87
	v_fmac_f32_e32 v86, v97, v96
	v_fma_mixlo_f16 v85, v85, v122, 0
	s_delay_alu instid0(VALU_DEP_1)
	v_and_b32_e32 v85, 0xffff, v85
	s_waitcnt lgkmcnt(0)
	v_and_b32_e32 v87, 0xffff, v33
	v_lshrrev_b32_e32 v33, 16, v33
	v_lshrrev_b32_e32 v96, 16, v34
	v_and_b32_e32 v34, 0xffff, v34
	;;#ASMSTART
	v_cvt_f32_f16 v87, v87;
	;;#ASMEND
	;;#ASMSTART
	v_cvt_f32_f16 v97, v33;
	;;#ASMEND
	;; [unrolled: 3-line block ×8, first 2 shown]
	ds_load_b64 v[33:34], v70 offset:184
	v_fmac_f32_e32 v7, v87, v98
	v_fmac_f32_e32 v31, v97, v99
	;; [unrolled: 1-line block ×3, first 2 shown]
	s_waitcnt lgkmcnt(0)
	v_dual_fmac_f32 v86, v96, v102 :: v_dual_and_b32 v87, 0xffff, v33
	v_lshrrev_b32_e32 v33, 16, v33
	;;#ASMSTART
	v_cvt_f32_f16 v87, v87;
	;;#ASMEND
	;;#ASMSTART
	v_cvt_f32_f16 v33, v33;
	;;#ASMEND
	;; [unrolled: 3-line block ×4, first 2 shown]
	v_fmac_f32_e32 v7, v87, v97
	v_fmac_f32_e32 v31, v33, v98
	v_lshrrev_b32_e32 v96, 16, v34
	v_and_b32_e32 v34, 0xffff, v34
	;;#ASMSTART
	v_cvt_f32_f16 v33, v34;
	;;#ASMEND
	;;#ASMSTART
	v_cvt_f32_f16 v34, v96;
	;;#ASMEND
	v_add_f32_e32 v7, v7, v31
	v_xor_b32_e32 v31, 1, v66
	;;#ASMSTART
	v_cvt_f32_f16 v87, v113;
	;;#ASMEND
	v_fmac_f32_e32 v32, v33, v87
	;;#ASMSTART
	v_cvt_f32_f16 v33, v85;
	;;#ASMEND
	v_fmac_f32_e32 v86, v34, v33
	v_cmp_gt_i32_e64 s2, 32, v31
	s_delay_alu instid0(VALU_DEP_3) | instskip(NEXT) | instid1(VALU_DEP_2)
	v_add_f32_e32 v7, v7, v32
	v_cndmask_b32_e64 v31, v66, v31, s2
	s_delay_alu instid0(VALU_DEP_2) | instskip(NEXT) | instid1(VALU_DEP_2)
	v_add_f32_e32 v7, v86, v7
	v_lshlrev_b32_e32 v31, 2, v31
	ds_bpermute_b32 v31, v31, v7
	s_and_saveexec_b32 s20, vcc_lo
	s_cbranch_execz .LBB322_11
; %bb.785:                              ;   in Loop: Header=BB322_13 Depth=1
	s_waitcnt lgkmcnt(0)
	v_add_f32_e32 v7, v7, v31
	v_add_nc_u32_e32 v32, v82, v71
	s_load_b32 s21, s[8:9], 0x0
	s_delay_alu instid0(VALU_DEP_1) | instskip(NEXT) | instid1(VALU_DEP_1)
	v_cvt_f32_i32_e32 v32, v32
	v_mul_f32_e32 v32, v65, v32
	s_delay_alu instid0(VALU_DEP_1) | instskip(SKIP_1) | instid1(VALU_DEP_2)
	v_cndmask_b32_e64 v31, 0, v32, s1
	v_max_f32_e32 v32, v67, v67
	v_fmac_f32_e32 v31, v7, v13
	v_add_nc_u32_e32 v7, v69, v71
	s_delay_alu instid0(VALU_DEP_2) | instskip(NEXT) | instid1(VALU_DEP_2)
	v_max_f32_e32 v32, v32, v31
	v_cmp_lt_i32_e64 s2, v7, v37
	s_waitcnt lgkmcnt(0)
	v_add_nc_u32_e32 v7, s21, v81
	s_delay_alu instid0(VALU_DEP_2)
	v_cndmask_b32_e64 v31, 0, v31, s2
	v_cndmask_b32_e64 v67, v67, v32, s2
	ds_store_b32 v7, v31
	s_branch .LBB322_11
.LBB322_786:
	s_or_b32 exec_lo, exec_lo, s19
.LBB322_787:
	s_delay_alu instid0(SALU_CYCLE_1)
	s_or_b32 exec_lo, exec_lo, s18
	v_xor_b32_e32 v7, 16, v66
	v_xor_b32_e32 v8, 8, v66
	s_waitcnt lgkmcnt(0)
	s_lshr_b32 s8, s17, 16
	v_and_b32_e32 v20, 31, v36
	v_lshlrev_b32_e32 v28, 2, v49
	v_cmp_gt_i32_e32 vcc_lo, 32, v7
	v_cndmask_b32_e32 v7, v66, v7, vcc_lo
	v_cmp_gt_i32_e32 vcc_lo, 32, v8
	v_dual_max_f32 v9, v67, v67 :: v_dual_cndmask_b32 v8, v66, v8
	s_delay_alu instid0(VALU_DEP_1) | instskip(NEXT) | instid1(VALU_DEP_4)
	v_lshlrev_b32_e32 v24, 2, v8
	v_lshlrev_b32_e32 v13, 2, v7
	ds_bpermute_b32 v7, v13, v67
	s_waitcnt lgkmcnt(0)
	v_max_f32_e32 v7, v7, v7
	s_delay_alu instid0(VALU_DEP_1) | instskip(SKIP_4) | instid1(VALU_DEP_1)
	v_max_f32_e32 v7, v9, v7
	v_xor_b32_e32 v9, 4, v66
	ds_bpermute_b32 v8, v24, v7
	v_cmp_gt_i32_e32 vcc_lo, 32, v9
	v_cndmask_b32_e32 v9, v66, v9, vcc_lo
	v_lshlrev_b32_e32 v25, 2, v9
	v_xor_b32_e32 v9, 2, v66
	s_delay_alu instid0(VALU_DEP_1) | instskip(SKIP_3) | instid1(VALU_DEP_2)
	v_cmp_gt_i32_e32 vcc_lo, 32, v9
	s_waitcnt lgkmcnt(0)
	v_dual_max_f32 v8, v8, v8 :: v_dual_cndmask_b32 v9, v66, v9
	v_cmp_eq_u32_e32 vcc_lo, 0, v20
	v_max_f32_e32 v7, v7, v8
	s_delay_alu instid0(VALU_DEP_3) | instskip(SKIP_3) | instid1(VALU_DEP_1)
	v_lshlrev_b32_e32 v9, 2, v9
	ds_bpermute_b32 v8, v25, v7
	s_waitcnt lgkmcnt(0)
	v_max_f32_e32 v8, v8, v8
	v_max_f32_e32 v7, v7, v8
	ds_bpermute_b32 v8, v9, v7
	s_and_saveexec_b32 s1, vcc_lo
	s_cbranch_execz .LBB322_789
; %bb.788:
	s_waitcnt lgkmcnt(0)
	v_dual_max_f32 v8, v8, v8 :: v_dual_max_f32 v7, v7, v7
	s_delay_alu instid0(VALU_DEP_1)
	v_max_f32_e32 v7, v7, v8
	ds_store_b32 v28, v7 offset:384
.LBB322_789:
	s_or_b32 exec_lo, exec_lo, s1
	v_cmp_gt_u32_e64 s1, 4, v20
	v_mov_b32_e32 v7, 0xff7fffff
	v_lshlrev_b32_e32 v29, 2, v20
	s_waitcnt lgkmcnt(0)
	s_barrier
	buffer_gl0_inv
	s_and_saveexec_b32 s2, s1
	s_cbranch_execz .LBB322_791
; %bb.790:
	ds_load_b32 v7, v29 offset:384
.LBB322_791:
	s_or_b32 exec_lo, exec_lo, s2
	s_waitcnt lgkmcnt(0)
	ds_bpermute_b32 v8, v9, v7
	v_xor_b32_e32 v21, 1, v66
	v_max_f32_e32 v7, v7, v7
	v_subrev_nc_u32_e32 v32, s13, v51
	v_mov_b32_e32 v31, 0
	s_delay_alu instid0(VALU_DEP_4) | instskip(NEXT) | instid1(VALU_DEP_1)
	v_cmp_gt_i32_e64 s2, 32, v21
	v_cndmask_b32_e64 v21, v66, v21, s2
	s_waitcnt lgkmcnt(0)
	s_delay_alu instid0(VALU_DEP_1) | instskip(NEXT) | instid1(VALU_DEP_1)
	v_dual_max_f32 v8, v8, v8 :: v_dual_lshlrev_b32 v21, 2, v21
	v_max_f32_e32 v7, v7, v8
	ds_bpermute_b32 v8, v21, v7
	s_waitcnt lgkmcnt(0)
	v_max_f32_e32 v8, v8, v8
	s_delay_alu instid0(VALU_DEP_1) | instskip(SKIP_3) | instid1(VALU_DEP_1)
	v_max_f32_e32 v7, v7, v8
	v_lshl_add_u32 v8, v32, 4, s16
	ds_bpermute_b32 v7, v31, v7
	v_min_i32_e32 v8, v8, v37
	v_subrev_nc_u32_e32 v8, s16, v8
	s_delay_alu instid0(VALU_DEP_1) | instskip(NEXT) | instid1(VALU_DEP_1)
	v_cmp_lt_i32_e64 s2, v36, v8
	s_and_saveexec_b32 s9, s2
	s_cbranch_execz .LBB322_795
; %bb.792:
	s_getpc_b64 s[16:17]
	s_add_u32 s16, s16, llvm.amdgcn.dynlds.offset.table@rel32@lo+4
	s_addc_u32 s17, s17, llvm.amdgcn.dynlds.offset.table@rel32@hi+12
	s_ashr_i32 s7, s6, 31
	v_mov_b32_e32 v31, 0
	s_lshl_b64 s[18:19], s[6:7], 2
	v_mov_b32_e32 v33, v36
	s_add_u32 s16, s18, s16
	s_addc_u32 s17, s19, s17
	s_mov_b32 s7, 0
	s_load_b32 s3, s[16:17], 0x0
	s_waitcnt lgkmcnt(0)
	v_lshl_add_u32 v32, v36, 2, s3
	.p2align	6
.LBB322_793:                            ; =>This Inner Loop Header: Depth=1
	ds_load_b32 v34, v32
	v_add_nc_u32_e32 v33, 0x80, v33
	s_delay_alu instid0(VALU_DEP_1) | instskip(NEXT) | instid1(VALU_DEP_1)
	v_cmp_ge_i32_e64 s3, v33, v8
	s_or_b32 s7, s3, s7
	s_waitcnt lgkmcnt(0)
	v_sub_f32_e32 v34, v34, v7
	s_delay_alu instid0(VALU_DEP_1) | instskip(NEXT) | instid1(VALU_DEP_1)
	v_mul_f32_e32 v34, 0x3fb8aa3b, v34
	v_exp_f32_e32 v34, v34
	ds_store_b32 v32, v34
	v_dual_add_f32 v31, v31, v34 :: v_dual_add_nc_u32 v32, 0x200, v32
	s_and_not1_b32 exec_lo, exec_lo, s7
	s_cbranch_execnz .LBB322_793
; %bb.794:
	s_or_b32 exec_lo, exec_lo, s7
.LBB322_795:
	s_delay_alu instid0(SALU_CYCLE_1)
	s_or_b32 exec_lo, exec_lo, s9
	ds_bpermute_b32 v13, v13, v31
	s_waitcnt lgkmcnt(0)
	v_add_f32_e32 v13, v31, v13
	ds_bpermute_b32 v24, v24, v13
	s_waitcnt lgkmcnt(0)
	v_add_f32_e32 v13, v13, v24
	;; [unrolled: 3-line block ×5, first 2 shown]
	s_and_saveexec_b32 s3, vcc_lo
	s_cbranch_execz .LBB322_797
; %bb.796:
	ds_store_b32 v28, v13 offset:400
.LBB322_797:
	s_or_b32 exec_lo, exec_lo, s3
	s_waitcnt lgkmcnt(0)
	s_barrier
	buffer_gl0_inv
	s_and_saveexec_b32 s3, s1
	s_cbranch_execz .LBB322_799
; %bb.798:
	ds_load_b32 v13, v29 offset:400
.LBB322_799:
	s_or_b32 exec_lo, exec_lo, s3
	s_waitcnt lgkmcnt(0)
	ds_bpermute_b32 v9, v9, v13
	s_waitcnt lgkmcnt(0)
	v_add_f32_e32 v9, v13, v9
	ds_bpermute_b32 v13, v21, v9
	s_waitcnt lgkmcnt(0)
	v_add_f32_e32 v9, v9, v13
	v_mov_b32_e32 v13, 0
	ds_bpermute_b32 v9, v13, v9
	s_and_saveexec_b32 s1, s2
	s_cbranch_execz .LBB322_802
; %bb.800:
	s_waitcnt lgkmcnt(0)
	v_add_f32_e32 v24, 0x358637bd, v9
	s_getpc_b64 s[2:3]
	s_add_u32 s2, s2, llvm.amdgcn.dynlds.offset.table@rel32@lo+4
	s_addc_u32 s3, s3, llvm.amdgcn.dynlds.offset.table@rel32@hi+12
	s_ashr_i32 s7, s6, 31
	s_delay_alu instid0(SALU_CYCLE_1) | instskip(SKIP_3) | instid1(VALU_DEP_2)
	s_lshl_b64 s[16:17], s[6:7], 2
	v_div_scale_f32 v13, null, v24, v24, 1.0
	v_div_scale_f32 v29, vcc_lo, 1.0, v24, 1.0
	s_add_u32 s2, s16, s2
	v_rcp_f32_e32 v25, v13
	s_addc_u32 s3, s17, s3
	s_load_b32 s2, s[2:3], 0x0
	s_waitcnt_depctr 0xfff
	v_fma_f32 v28, -v13, v25, 1.0
	s_delay_alu instid0(VALU_DEP_1) | instskip(NEXT) | instid1(VALU_DEP_1)
	v_fmac_f32_e32 v25, v28, v25
	v_mul_f32_e32 v28, v29, v25
	s_delay_alu instid0(VALU_DEP_1) | instskip(NEXT) | instid1(VALU_DEP_1)
	v_fma_f32 v31, -v13, v28, v29
	v_fmac_f32_e32 v28, v31, v25
	s_delay_alu instid0(VALU_DEP_1) | instskip(NEXT) | instid1(VALU_DEP_1)
	v_fma_f32 v13, -v13, v28, v29
	v_div_fmas_f32 v25, v13, v25, v28
	s_waitcnt lgkmcnt(0)
	v_lshl_add_u32 v13, v36, 2, s2
	s_mov_b32 s2, 0
	s_delay_alu instid0(VALU_DEP_2)
	v_div_fixup_f32 v24, v25, v24, 1.0
	v_mov_b32_e32 v25, v36
.LBB322_801:                            ; =>This Inner Loop Header: Depth=1
	ds_load_b32 v28, v13
	s_waitcnt lgkmcnt(0)
	v_dual_mul_f32 v28, v24, v28 :: v_dual_add_nc_u32 v25, 0x80, v25
	s_delay_alu instid0(VALU_DEP_1) | instskip(SKIP_3) | instid1(SALU_CYCLE_1)
	v_cmp_ge_i32_e32 vcc_lo, v25, v8
	ds_store_b32 v13, v28
	v_add_nc_u32_e32 v13, 0x200, v13
	s_or_b32 s2, vcc_lo, s2
	s_and_not1_b32 exec_lo, exec_lo, s2
	s_cbranch_execnz .LBB322_801
.LBB322_802:
	s_or_b32 exec_lo, exec_lo, s1
	v_cmp_ne_u16_e64 s1, s8, 0
	s_waitcnt lgkmcnt(0)
	s_barrier
	buffer_gl0_inv
	s_cmp_lg_u32 s1, 0
	s_addc_u32 s1, s5, 0
	s_mov_b32 s5, exec_lo
	s_mul_i32 s2, s1, s10
	s_delay_alu instid0(SALU_CYCLE_1)
	s_mul_i32 s2, s2, s15
	v_cmpx_eq_u32_e32 0, v36
	s_cbranch_execz .LBB322_804
; %bb.803:
	s_mul_i32 s8, s1, s12
	s_ashr_i32 s15, s14, 31
	s_ashr_i32 s9, s8, 31
	;; [unrolled: 1-line block ×3, first 2 shown]
	s_lshl_b64 s[8:9], s[8:9], 2
	s_lshl_b64 s[12:13], s[14:15], 2
	;; [unrolled: 1-line block ×3, first 2 shown]
	s_add_u32 s3, s12, s8
	s_addc_u32 s7, s13, s9
	s_add_u32 s3, s3, s16
	s_addc_u32 s7, s7, s17
	v_add_co_u32 v2, vcc_lo, s3, v2
	v_add_co_ci_u32_e32 v3, vcc_lo, s7, v3, vcc_lo
	v_add_co_u32 v0, vcc_lo, s3, v0
	v_add_co_ci_u32_e32 v1, vcc_lo, s7, v1, vcc_lo
	flat_store_b32 v[2:3], v7
	flat_store_b32 v[0:1], v9
.LBB322_804:
	s_or_b32 exec_lo, exec_lo, s5
	s_getpc_b64 s[8:9]
	s_add_u32 s8, s8, llvm.amdgcn.dynlds.offset.table@rel32@lo+4
	s_addc_u32 s9, s9, llvm.amdgcn.dynlds.offset.table@rel32@hi+12
	s_ashr_i32 s7, s6, 31
	v_dual_mov_b32 v68, 0 :: v_dual_mov_b32 v67, 0
	s_lshl_b64 s[6:7], s[6:7], 2
	v_dual_mov_b32 v66, 0 :: v_dual_mov_b32 v65, 0
	s_add_u32 s6, s6, s8
	s_addc_u32 s7, s7, s9
	v_dual_mov_b32 v34, 0 :: v_dual_mov_b32 v33, 0
	s_load_b32 s10, s[6:7], 0x0
	v_dual_mov_b32 v32, 0 :: v_dual_mov_b32 v31, 0
	v_dual_mov_b32 v29, 0 :: v_dual_mov_b32 v28, 0
	;; [unrolled: 1-line block ×3, first 2 shown]
	s_mov_b32 s5, 0
	s_waitcnt lgkmcnt(0)
	v_mov_b32_e32 v69, s10
	s_and_saveexec_b32 s3, s0
	s_cbranch_execz .LBB322_1602
; %bb.805:
	v_max_i32_e32 v30, v30, v55
	v_add_co_u32 v2, vcc_lo, v10, v12
	v_add_co_ci_u32_e32 v3, vcc_lo, v11, v64, vcc_lo
	s_delay_alu instid0(VALU_DEP_3) | instskip(SKIP_3) | instid1(VALU_DEP_4)
	v_cvt_f32_u32_e32 v0, v30
	v_sub_nc_u32_e32 v11, 0, v30
	v_dual_mov_b32 v28, 0 :: v_dual_and_b32 v9, 0xf8, v53
	v_dual_mov_b32 v24, 0 :: v_dual_and_b32 v55, 8, v53
	v_rcp_iflag_f32_e32 v0, v0
	v_mov_b32_e32 v25, 0
	v_dual_mov_b32 v53, v37 :: v_dual_lshlrev_b32 v10, 5, v38
	v_lshlrev_b64 v[7:8], 2, v[16:17]
	v_add_co_u32 v2, vcc_lo, v2, v9
	v_add_co_ci_u32_e32 v3, vcc_lo, 0, v3, vcc_lo
	s_delay_alu instid0(VALU_DEP_4) | instskip(NEXT) | instid1(TRANS32_DEP_1)
	v_lshl_or_b32 v9, v49, 6, v10
	v_mul_f32_e32 v0, 0x4f7ffffe, v0
	v_add_co_u32 v7, vcc_lo, v18, v7
	v_add_co_ci_u32_e32 v8, vcc_lo, v19, v8, vcc_lo
	s_delay_alu instid0(VALU_DEP_3) | instskip(NEXT) | instid1(VALU_DEP_3)
	v_cvt_u32_f32_e32 v0, v0
	v_add_co_u32 v7, vcc_lo, v14, v7
	v_dual_mov_b32 v1, 0 :: v_dual_add_nc_u32 v54, -1, v54
	s_delay_alu instid0(VALU_DEP_3)
	v_mul_lo_u32 v11, v11, v0
	v_dual_mov_b32 v29, 0 :: v_dual_mov_b32 v32, 0
	v_dual_mov_b32 v31, 0 :: v_dual_mov_b32 v34, 0
	;; [unrolled: 1-line block ×4, first 2 shown]
	v_mul_hi_u32 v10, v0, v11
	v_mov_b32_e32 v67, 0
	v_add_nc_u32_e32 v17, s10, v9
	v_add_co_ci_u32_e32 v8, vcc_lo, v15, v8, vcc_lo
	s_mov_b32 s8, -1
	s_mov_b32 s9, 0xffffff
	s_delay_alu instid0(VALU_DEP_4)
	v_add_nc_u32_e32 v15, v0, v10
	s_branch .LBB322_808
.LBB322_806:                            ;   in Loop: Header=BB322_808 Depth=1
	s_or_b32 exec_lo, exec_lo, s0
	v_dual_add_f32 v12, v13, v14 :: v_dual_add_f32 v13, v128, v129
	v_add_f32_e32 v14, v118, v119
	v_dual_add_f32 v18, v116, v117 :: v_dual_add_f32 v19, v102, v103
	s_delay_alu instid0(VALU_DEP_3) | instskip(NEXT) | instid1(VALU_DEP_3)
	v_dual_add_f32 v25, v25, v12 :: v_dual_add_f32 v12, v114, v115
	v_dual_add_f32 v28, v28, v13 :: v_dual_add_f32 v29, v29, v14
	v_add_f32_e32 v13, v112, v113
	;;#ASMSTART
	v_pk_mul_f16 v11, v87, v11;

	;;#ASMEND
	;;#ASMSTART
	v_pk_mul_f16 v10, v86, v10;

	;;#ASMEND
	;; [unrolled: 4-line block ×4, first 2 shown]
	;;#ASMSTART
	v_pk_add_f16 v10, v11, v10;

	;;#ASMEND
	;;#ASMSTART
	v_pk_add_f16 v0, v10, v0;

	;;#ASMEND
	;; [unrolled: 4-line block ×3, first 2 shown]
	v_dual_add_f32 v31, v31, v18 :: v_dual_add_f32 v32, v32, v12
	v_dual_add_f32 v12, v100, v101 :: v_dual_and_b32 v9, 0xffff, v0
	v_lshrrev_b32_e32 v0, 16, v0
	;;#ASMSTART
	v_cvt_f32_f16 v9, v9;
	;;#ASMEND
	;;#ASMSTART
	v_cvt_f32_f16 v0, v0;
	;;#ASMEND
	v_dual_add_f32 v33, v33, v13 :: v_dual_add_f32 v34, v34, v19
	v_dual_add_f32 v10, v98, v99 :: v_dual_add_f32 v11, v96, v97
	;; [unrolled: 1-line block ×3, first 2 shown]
	s_delay_alu instid0(VALU_DEP_2) | instskip(NEXT) | instid1(VALU_DEP_2)
	v_dual_add_f32 v65, v65, v12 :: v_dual_add_f32 v66, v66, v10
	v_dual_add_f32 v67, v67, v11 :: v_dual_add_f32 v68, v68, v13
	s_delay_alu instid0(VALU_DEP_3)
	v_add_f32_e32 v24, v24, v0
.LBB322_807:                            ;   in Loop: Header=BB322_808 Depth=1
	s_or_b32 exec_lo, exec_lo, s10
	v_add_nc_u32_e32 v16, 4, v16
	v_add_co_u32 v7, s0, v7, 16
	s_delay_alu instid0(VALU_DEP_1) | instskip(NEXT) | instid1(VALU_DEP_3)
	v_add_co_ci_u32_e64 v8, s0, 0, v8, s0
	v_cmp_ge_i32_e32 vcc_lo, v16, v51
	v_add_nc_u32_e32 v23, 64, v23
	v_add_nc_u32_e32 v17, 0x100, v17
	s_or_b32 s5, vcc_lo, s5
	s_delay_alu instid0(SALU_CYCLE_1)
	s_and_not1_b32 exec_lo, exec_lo, s5
	s_cbranch_execz .LBB322_1601
.LBB322_808:                            ; =>This Inner Loop Header: Depth=1
	v_sub_nc_u32_e32 v0, 0, v23
	s_delay_alu instid0(VALU_DEP_1) | instskip(NEXT) | instid1(VALU_DEP_1)
	v_max_i32_e32 v0, v23, v0
	v_mul_hi_u32 v9, v0, v48
	s_delay_alu instid0(VALU_DEP_1) | instskip(NEXT) | instid1(VALU_DEP_1)
	v_mul_lo_u32 v10, v9, v39
	v_sub_nc_u32_e32 v0, v0, v10
	v_add_nc_u32_e32 v10, 1, v9
	s_delay_alu instid0(VALU_DEP_2) | instskip(SKIP_1) | instid1(VALU_DEP_2)
	v_sub_nc_u32_e32 v11, v0, v39
	v_cmp_ge_u32_e32 vcc_lo, v0, v39
	v_dual_cndmask_b32 v9, v9, v10 :: v_dual_cndmask_b32 v0, v0, v11
	v_ashrrev_i32_e32 v10, 31, v23
	s_delay_alu instid0(VALU_DEP_2) | instskip(NEXT) | instid1(VALU_DEP_3)
	v_add_nc_u32_e32 v11, 1, v9
	v_cmp_ge_u32_e32 vcc_lo, v0, v39
	s_delay_alu instid0(VALU_DEP_3) | instskip(NEXT) | instid1(VALU_DEP_3)
	v_xor_b32_e32 v10, v10, v50
	v_cndmask_b32_e32 v0, v9, v11, vcc_lo
	s_delay_alu instid0(VALU_DEP_1) | instskip(NEXT) | instid1(VALU_DEP_1)
	v_xor_b32_e32 v0, v0, v10
	v_sub_nc_u32_e32 v0, v0, v10
	s_delay_alu instid0(VALU_DEP_1) | instskip(SKIP_1) | instid1(VALU_DEP_2)
	v_add_nc_u32_e32 v9, v0, v6
	v_cmp_gt_i32_e64 s0, v0, v52
	v_sub_nc_u32_e32 v10, 0, v9
	s_delay_alu instid0(VALU_DEP_1) | instskip(NEXT) | instid1(VALU_DEP_1)
	v_max_i32_e32 v10, v9, v10
	v_mul_hi_u32 v11, v10, v15
	s_delay_alu instid0(VALU_DEP_1) | instskip(NEXT) | instid1(VALU_DEP_1)
	v_mul_lo_u32 v11, v11, v30
	v_sub_nc_u32_e32 v10, v10, v11
	s_delay_alu instid0(VALU_DEP_1) | instskip(SKIP_1) | instid1(VALU_DEP_2)
	v_sub_nc_u32_e32 v11, v10, v30
	v_cmp_ge_u32_e32 vcc_lo, v10, v30
	v_cndmask_b32_e32 v10, v10, v11, vcc_lo
	v_ashrrev_i32_e32 v9, 31, v9
	s_delay_alu instid0(VALU_DEP_2) | instskip(SKIP_1) | instid1(VALU_DEP_2)
	v_sub_nc_u32_e32 v11, v10, v30
	v_cmp_ge_u32_e32 vcc_lo, v10, v30
	v_cndmask_b32_e32 v10, v10, v11, vcc_lo
	s_delay_alu instid0(VALU_DEP_1) | instskip(NEXT) | instid1(VALU_DEP_1)
	v_xor_b32_e32 v10, v10, v9
	v_sub_nc_u32_e32 v9, v10, v9
	s_delay_alu instid0(VALU_DEP_1) | instskip(SKIP_1) | instid1(SALU_CYCLE_1)
	v_cmp_eq_u32_e32 vcc_lo, 0, v9
	s_or_b32 s0, vcc_lo, s0
	s_and_saveexec_b32 s10, s0
	s_cbranch_execz .LBB322_807
; %bb.809:                              ;   in Loop: Header=BB322_808 Depth=1
	flat_load_b32 v0, v[7:8]
	ds_load_2addr_b64 v[10:13], v17 offset1:1
	ds_load_2addr_b64 v[96:99], v17 offset0:2 offset1:3
	v_mov_b32_e32 v18, 0
	v_mov_b32_e32 v64, 0
	s_mov_b32 s0, exec_lo
	s_waitcnt lgkmcnt(1)
	;;#ASMSTART
	v_cvt_f16_f32 v80, v10;

	;;#ASMEND
	;;#ASMSTART
	v_cvt_f16_f32 v81, v11;

	;;#ASMEND
	;; [unrolled: 4-line block ×4, first 2 shown]
	s_waitcnt lgkmcnt(0)
	;;#ASMSTART
	v_cvt_f16_f32 v87, v96;

	;;#ASMEND
	;;#ASMSTART
	v_cvt_f16_f32 v85, v97;

	;;#ASMEND
	;; [unrolled: 4-line block ×4, first 2 shown]
	s_waitcnt vmcnt(0)
	v_mad_i64_i32 v[9:10], null, v0, v22, v[2:3]
	flat_load_b64 v[11:12], v[9:10]
	flat_load_b32 v19, v[26:27]
	s_waitcnt vmcnt(1) lgkmcnt(1)
	v_and_b32_e32 v0, 0xff, v11
	s_delay_alu instid0(VALU_DEP_1)
	v_cmpx_ne_u16_e32 0, v0
	s_cbranch_execz .LBB322_817
; %bb.810:                              ;   in Loop: Header=BB322_808 Depth=1
	v_bfrev_b32_e32 v64, 1
	s_mov_b32 s12, exec_lo
	v_cmpx_ne_u16_e32 0x80, v0
	s_cbranch_execz .LBB322_816
; %bb.811:                              ;   in Loop: Header=BB322_808 Depth=1
	v_and_b32_e32 v13, 0x7f, v11
	v_mov_b32_e32 v64, 0x7fc02000
	s_mov_b32 s13, exec_lo
	s_delay_alu instid0(VALU_DEP_2)
	v_cmpx_ne_u32_e32 0x7f, v13
	s_cbranch_execz .LBB322_815
; %bb.812:                              ;   in Loop: Header=BB322_808 Depth=1
	v_lshrrev_b32_e32 v0, 3, v13
	v_cmp_gt_u32_e32 vcc_lo, 8, v13
	v_dual_mov_b32 v14, v12 :: v_dual_mov_b32 v13, v11
	s_and_saveexec_b32 s15, vcc_lo
; %bb.813:                              ;   in Loop: Header=BB322_808 Depth=1
	v_and_b32_e32 v0, 7, v11
	s_delay_alu instid0(VALU_DEP_1) | instskip(NEXT) | instid1(VALU_DEP_1)
	v_clz_i32_u32_e32 v0, v0
	v_min_u32_e32 v0, 32, v0
	s_delay_alu instid0(VALU_DEP_1) | instskip(SKIP_1) | instid1(VALU_DEP_2)
	v_subrev_nc_u32_e32 v13, 28, v0
	v_sub_nc_u32_e32 v0, 29, v0
	v_lshlrev_b64 v[13:14], v13, v[11:12]
; %bb.814:                              ;   in Loop: Header=BB322_808 Depth=1
	s_or_b32 exec_lo, exec_lo, s15
	v_lshlrev_b32_e32 v14, 8, v11
	s_delay_alu instid0(VALU_DEP_3) | instskip(NEXT) | instid1(VALU_DEP_3)
	v_lshl_add_u32 v0, v0, 10, 0x2000
	v_lshlrev_b32_e32 v13, 7, v13
	s_delay_alu instid0(VALU_DEP_2) | instskip(NEXT) | instid1(VALU_DEP_1)
	v_and_or_b32 v0, 0x8000, v14, v0
	v_and_or_b32 v0, 0x380, v13, v0
	s_delay_alu instid0(VALU_DEP_1)
	v_cvt_f32_f16_e32 v64, v0
.LBB322_815:                            ;   in Loop: Header=BB322_808 Depth=1
	s_or_b32 exec_lo, exec_lo, s13
.LBB322_816:                            ;   in Loop: Header=BB322_808 Depth=1
	s_delay_alu instid0(SALU_CYCLE_1)
	s_or_b32 exec_lo, exec_lo, s12
.LBB322_817:                            ;   in Loop: Header=BB322_808 Depth=1
	s_delay_alu instid0(SALU_CYCLE_1) | instskip(SKIP_2) | instid1(VALU_DEP_1)
	s_or_b32 exec_lo, exec_lo, s0
	v_lshrrev_b16 v0, 8, v11
	s_mov_b32 s0, exec_lo
	v_cmpx_ne_u16_e32 0, v0
	s_cbranch_execz .LBB322_825
; %bb.818:                              ;   in Loop: Header=BB322_808 Depth=1
	v_bfrev_b32_e32 v18, 1
	s_mov_b32 s12, exec_lo
	v_cmpx_ne_u16_e32 0x80, v0
	s_cbranch_execz .LBB322_824
; %bb.819:                              ;   in Loop: Header=BB322_808 Depth=1
	v_and_b32_e32 v13, 0xffff, v0
	v_mov_b32_e32 v18, 0x7fc02000
	s_mov_b32 s13, exec_lo
	s_delay_alu instid0(VALU_DEP_2) | instskip(NEXT) | instid1(VALU_DEP_1)
	v_and_b32_e32 v69, 0x7f, v13
	v_cmpx_ne_u32_e32 0x7f, v69
	s_cbranch_execz .LBB322_823
; %bb.820:                              ;   in Loop: Header=BB322_808 Depth=1
	v_and_b32_e32 v0, 7, v13
	v_lshrrev_b32_e32 v14, 3, v69
	s_mov_b32 s15, exec_lo
	v_cmpx_gt_u32_e32 8, v69
; %bb.821:                              ;   in Loop: Header=BB322_808 Depth=1
	s_delay_alu instid0(VALU_DEP_3) | instskip(NEXT) | instid1(VALU_DEP_1)
	v_clz_i32_u32_e32 v14, v0
	v_min_u32_e32 v14, 32, v14
	s_delay_alu instid0(VALU_DEP_1) | instskip(SKIP_1) | instid1(VALU_DEP_2)
	v_subrev_nc_u32_e32 v18, 28, v14
	v_sub_nc_u32_e32 v14, 29, v14
	v_lshlrev_b64 v[69:70], v18, v[0:1]
	s_delay_alu instid0(VALU_DEP_1)
	v_and_b32_e32 v0, 7, v69
; %bb.822:                              ;   in Loop: Header=BB322_808 Depth=1
	s_or_b32 exec_lo, exec_lo, s15
	v_lshlrev_b32_e32 v13, 8, v13
	v_lshl_add_u32 v14, v14, 10, 0x2000
	s_delay_alu instid0(VALU_DEP_1) | instskip(NEXT) | instid1(VALU_DEP_1)
	v_and_or_b32 v13, 0x8000, v13, v14
	v_lshl_or_b32 v0, v0, 7, v13
	s_delay_alu instid0(VALU_DEP_1)
	v_cvt_f32_f16_e32 v18, v0
.LBB322_823:                            ;   in Loop: Header=BB322_808 Depth=1
	s_or_b32 exec_lo, exec_lo, s13
.LBB322_824:                            ;   in Loop: Header=BB322_808 Depth=1
	s_delay_alu instid0(SALU_CYCLE_1)
	s_or_b32 exec_lo, exec_lo, s12
.LBB322_825:                            ;   in Loop: Header=BB322_808 Depth=1
	s_delay_alu instid0(SALU_CYCLE_1) | instskip(SKIP_3) | instid1(VALU_DEP_2)
	s_or_b32 exec_lo, exec_lo, s0
	v_lshrrev_b32_e32 v13, 16, v11
	v_mov_b32_e32 v70, 0
	s_mov_b32 s0, exec_lo
	v_dual_mov_b32 v69, 0 :: v_dual_and_b32 v0, 0xff, v13
	s_delay_alu instid0(VALU_DEP_1)
	v_cmpx_ne_u16_e32 0, v0
	s_cbranch_execz .LBB322_833
; %bb.826:                              ;   in Loop: Header=BB322_808 Depth=1
	v_bfrev_b32_e32 v69, 1
	s_mov_b32 s12, exec_lo
	v_cmpx_ne_u16_e32 0x80, v0
	s_cbranch_execz .LBB322_832
; %bb.827:                              ;   in Loop: Header=BB322_808 Depth=1
	v_bfe_u32 v71, v11, 16, 7
	v_mov_b32_e32 v69, 0x7fc02000
	s_mov_b32 s13, exec_lo
	s_delay_alu instid0(VALU_DEP_2)
	v_cmpx_ne_u32_e32 0x7f, v71
	s_cbranch_execz .LBB322_831
; %bb.828:                              ;   in Loop: Header=BB322_808 Depth=1
	v_and_b32_e32 v0, 7, v13
	v_lshrrev_b32_e32 v14, 3, v71
	s_mov_b32 s15, exec_lo
	v_cmpx_gt_u32_e32 8, v71
; %bb.829:                              ;   in Loop: Header=BB322_808 Depth=1
	s_delay_alu instid0(VALU_DEP_3) | instskip(NEXT) | instid1(VALU_DEP_1)
	v_clz_i32_u32_e32 v14, v0
	v_min_u32_e32 v14, 32, v14
	s_delay_alu instid0(VALU_DEP_1) | instskip(SKIP_1) | instid1(VALU_DEP_2)
	v_subrev_nc_u32_e32 v69, 28, v14
	v_sub_nc_u32_e32 v14, 29, v14
	v_lshlrev_b64 v[83:84], v69, v[0:1]
	s_delay_alu instid0(VALU_DEP_1)
	v_and_b32_e32 v0, 7, v83
; %bb.830:                              ;   in Loop: Header=BB322_808 Depth=1
	s_or_b32 exec_lo, exec_lo, s15
	v_lshlrev_b32_e32 v13, 8, v13
	v_lshl_add_u32 v14, v14, 10, 0x2000
	s_delay_alu instid0(VALU_DEP_1) | instskip(NEXT) | instid1(VALU_DEP_1)
	v_and_or_b32 v13, 0x8000, v13, v14
	v_lshl_or_b32 v0, v0, 7, v13
	s_delay_alu instid0(VALU_DEP_1)
	v_cvt_f32_f16_e32 v69, v0
.LBB322_831:                            ;   in Loop: Header=BB322_808 Depth=1
	s_or_b32 exec_lo, exec_lo, s13
.LBB322_832:                            ;   in Loop: Header=BB322_808 Depth=1
	s_delay_alu instid0(SALU_CYCLE_1)
	s_or_b32 exec_lo, exec_lo, s12
.LBB322_833:                            ;   in Loop: Header=BB322_808 Depth=1
	s_delay_alu instid0(SALU_CYCLE_1) | instskip(NEXT) | instid1(SALU_CYCLE_1)
	s_or_b32 exec_lo, exec_lo, s0
	s_mov_b32 s0, exec_lo
	v_cmpx_lt_u32_e32 0xffffff, v11
	s_cbranch_execz .LBB322_841
; %bb.834:                              ;   in Loop: Header=BB322_808 Depth=1
	v_lshrrev_b32_e32 v13, 24, v11
	v_bfrev_b32_e32 v70, 1
	s_mov_b32 s12, exec_lo
	s_delay_alu instid0(VALU_DEP_2)
	v_cmpx_ne_u32_e32 0x80, v13
	s_cbranch_execz .LBB322_840
; %bb.835:                              ;   in Loop: Header=BB322_808 Depth=1
	v_and_b32_e32 v71, 0x7f, v13
	v_mov_b32_e32 v70, 0x7fc02000
	s_mov_b32 s13, exec_lo
	s_delay_alu instid0(VALU_DEP_2)
	v_cmpx_ne_u32_e32 0x7f, v71
	s_cbranch_execz .LBB322_839
; %bb.836:                              ;   in Loop: Header=BB322_808 Depth=1
	v_and_b32_e32 v0, 7, v13
	v_lshrrev_b32_e32 v14, 3, v71
	s_mov_b32 s15, exec_lo
	v_cmpx_gt_u32_e32 8, v71
; %bb.837:                              ;   in Loop: Header=BB322_808 Depth=1
	s_delay_alu instid0(VALU_DEP_3) | instskip(NEXT) | instid1(VALU_DEP_1)
	v_clz_i32_u32_e32 v14, v0
	v_min_u32_e32 v14, 32, v14
	s_delay_alu instid0(VALU_DEP_1) | instskip(SKIP_1) | instid1(VALU_DEP_2)
	v_subrev_nc_u32_e32 v70, 28, v14
	v_sub_nc_u32_e32 v14, 29, v14
	v_lshlrev_b64 v[70:71], v70, v[0:1]
	s_delay_alu instid0(VALU_DEP_1)
	v_and_b32_e32 v0, 7, v70
; %bb.838:                              ;   in Loop: Header=BB322_808 Depth=1
	s_or_b32 exec_lo, exec_lo, s15
	v_lshlrev_b32_e32 v13, 8, v13
	v_lshl_add_u32 v14, v14, 10, 0x2000
	s_delay_alu instid0(VALU_DEP_1) | instskip(NEXT) | instid1(VALU_DEP_1)
	v_and_or_b32 v13, 0x8000, v13, v14
	v_lshl_or_b32 v0, v0, 7, v13
	s_delay_alu instid0(VALU_DEP_1)
	v_cvt_f32_f16_e32 v70, v0
.LBB322_839:                            ;   in Loop: Header=BB322_808 Depth=1
	s_or_b32 exec_lo, exec_lo, s13
.LBB322_840:                            ;   in Loop: Header=BB322_808 Depth=1
	s_delay_alu instid0(SALU_CYCLE_1)
	s_or_b32 exec_lo, exec_lo, s12
.LBB322_841:                            ;   in Loop: Header=BB322_808 Depth=1
	s_delay_alu instid0(SALU_CYCLE_1) | instskip(SKIP_4) | instid1(VALU_DEP_3)
	s_or_b32 exec_lo, exec_lo, s0
	v_dual_mov_b32 v0, v12 :: v_dual_and_b32 v13, 0xff, v12
	v_mov_b32_e32 v83, 0
	v_mov_b32_e32 v71, 0
	s_mov_b32 s0, exec_lo
	v_cmpx_ne_u16_e32 0, v13
	s_cbranch_execz .LBB322_849
; %bb.842:                              ;   in Loop: Header=BB322_808 Depth=1
	v_bfrev_b32_e32 v71, 1
	s_mov_b32 s12, exec_lo
	v_cmpx_ne_u16_e32 0x80, v13
	s_cbranch_execz .LBB322_848
; %bb.843:                              ;   in Loop: Header=BB322_808 Depth=1
	v_and_b32_e32 v13, 0x7f, v12
	v_mov_b32_e32 v71, 0x7fc02000
	s_mov_b32 s13, exec_lo
	s_delay_alu instid0(VALU_DEP_2)
	v_cmpx_ne_u32_e32 0x7f, v13
	s_cbranch_execz .LBB322_847
; %bb.844:                              ;   in Loop: Header=BB322_808 Depth=1
	v_lshrrev_b32_e32 v71, 3, v13
	v_cmp_gt_u32_e32 vcc_lo, 8, v13
	v_dual_mov_b32 v14, v1 :: v_dual_mov_b32 v13, v0
	s_and_saveexec_b32 s15, vcc_lo
; %bb.845:                              ;   in Loop: Header=BB322_808 Depth=1
	v_and_b32_e32 v13, 7, v12
	s_delay_alu instid0(VALU_DEP_1) | instskip(NEXT) | instid1(VALU_DEP_1)
	v_clz_i32_u32_e32 v13, v13
	v_min_u32_e32 v71, 32, v13
	s_delay_alu instid0(VALU_DEP_1) | instskip(SKIP_1) | instid1(VALU_DEP_2)
	v_subrev_nc_u32_e32 v13, 28, v71
	v_sub_nc_u32_e32 v71, 29, v71
	v_lshlrev_b64 v[13:14], v13, v[0:1]
; %bb.846:                              ;   in Loop: Header=BB322_808 Depth=1
	s_or_b32 exec_lo, exec_lo, s15
	v_lshlrev_b32_e32 v14, 8, v12
	s_delay_alu instid0(VALU_DEP_3) | instskip(NEXT) | instid1(VALU_DEP_3)
	v_lshl_add_u32 v71, v71, 10, 0x2000
	v_lshlrev_b32_e32 v13, 7, v13
	s_delay_alu instid0(VALU_DEP_2) | instskip(NEXT) | instid1(VALU_DEP_1)
	v_and_or_b32 v14, 0x8000, v14, v71
	v_and_or_b32 v13, 0x380, v13, v14
	s_delay_alu instid0(VALU_DEP_1)
	v_cvt_f32_f16_e32 v71, v13
.LBB322_847:                            ;   in Loop: Header=BB322_808 Depth=1
	s_or_b32 exec_lo, exec_lo, s13
.LBB322_848:                            ;   in Loop: Header=BB322_808 Depth=1
	s_delay_alu instid0(SALU_CYCLE_1)
	s_or_b32 exec_lo, exec_lo, s12
.LBB322_849:                            ;   in Loop: Header=BB322_808 Depth=1
	s_delay_alu instid0(SALU_CYCLE_1) | instskip(SKIP_2) | instid1(VALU_DEP_1)
	s_or_b32 exec_lo, exec_lo, s0
	v_lshrrev_b16 v0, 8, v0
	s_mov_b32 s0, exec_lo
	v_cmpx_ne_u16_e32 0, v0
	s_cbranch_execz .LBB322_857
; %bb.850:                              ;   in Loop: Header=BB322_808 Depth=1
	v_bfrev_b32_e32 v83, 1
	s_mov_b32 s12, exec_lo
	v_cmpx_ne_u16_e32 0x80, v0
	s_cbranch_execz .LBB322_856
; %bb.851:                              ;   in Loop: Header=BB322_808 Depth=1
	v_and_b32_e32 v84, 0xffff, v0
	v_mov_b32_e32 v83, 0x7fc02000
	s_mov_b32 s13, exec_lo
	s_delay_alu instid0(VALU_DEP_2) | instskip(NEXT) | instid1(VALU_DEP_1)
	v_and_b32_e32 v13, 0x7f, v84
	v_cmpx_ne_u32_e32 0x7f, v13
	s_cbranch_execz .LBB322_855
; %bb.852:                              ;   in Loop: Header=BB322_808 Depth=1
	v_and_b32_e32 v0, 7, v84
	v_lshrrev_b32_e32 v83, 3, v13
	v_cmp_gt_u32_e32 vcc_lo, 8, v13
	s_delay_alu instid0(VALU_DEP_3)
	v_dual_mov_b32 v14, v1 :: v_dual_mov_b32 v13, v0
	s_and_saveexec_b32 s15, vcc_lo
; %bb.853:                              ;   in Loop: Header=BB322_808 Depth=1
	v_clz_i32_u32_e32 v13, v0
	s_delay_alu instid0(VALU_DEP_1) | instskip(NEXT) | instid1(VALU_DEP_1)
	v_min_u32_e32 v83, 32, v13
	v_subrev_nc_u32_e32 v13, 28, v83
	v_sub_nc_u32_e32 v83, 29, v83
	s_delay_alu instid0(VALU_DEP_2) | instskip(NEXT) | instid1(VALU_DEP_1)
	v_lshlrev_b64 v[13:14], v13, v[0:1]
	v_and_b32_e32 v13, 7, v13
; %bb.854:                              ;   in Loop: Header=BB322_808 Depth=1
	s_or_b32 exec_lo, exec_lo, s15
	v_lshlrev_b32_e32 v0, 8, v84
	v_lshl_add_u32 v14, v83, 10, 0x2000
	s_delay_alu instid0(VALU_DEP_1) | instskip(NEXT) | instid1(VALU_DEP_1)
	v_and_or_b32 v0, 0x8000, v0, v14
	v_lshl_or_b32 v0, v13, 7, v0
	s_delay_alu instid0(VALU_DEP_1)
	v_cvt_f32_f16_e32 v83, v0
.LBB322_855:                            ;   in Loop: Header=BB322_808 Depth=1
	s_or_b32 exec_lo, exec_lo, s13
.LBB322_856:                            ;   in Loop: Header=BB322_808 Depth=1
	s_delay_alu instid0(SALU_CYCLE_1)
	s_or_b32 exec_lo, exec_lo, s12
.LBB322_857:                            ;   in Loop: Header=BB322_808 Depth=1
	s_delay_alu instid0(SALU_CYCLE_1) | instskip(SKIP_3) | instid1(VALU_DEP_2)
	s_or_b32 exec_lo, exec_lo, s0
	v_lshrrev_b32_e32 v98, 16, v12
	v_mov_b32_e32 v84, 0
	s_mov_b32 s0, exec_lo
	v_dual_mov_b32 v13, 0 :: v_dual_and_b32 v0, 0xff, v98
	s_delay_alu instid0(VALU_DEP_1)
	v_cmpx_ne_u16_e32 0, v0
	s_cbranch_execz .LBB322_865
; %bb.858:                              ;   in Loop: Header=BB322_808 Depth=1
	v_bfrev_b32_e32 v13, 1
	s_mov_b32 s12, exec_lo
	v_cmpx_ne_u16_e32 0x80, v0
	s_cbranch_execz .LBB322_864
; %bb.859:                              ;   in Loop: Header=BB322_808 Depth=1
	v_bfe_u32 v14, v12, 16, 7
	v_mov_b32_e32 v13, 0x7fc02000
	s_mov_b32 s13, exec_lo
	s_delay_alu instid0(VALU_DEP_2)
	v_cmpx_ne_u32_e32 0x7f, v14
	s_cbranch_execz .LBB322_863
; %bb.860:                              ;   in Loop: Header=BB322_808 Depth=1
	v_and_b32_e32 v0, 7, v98
	v_lshrrev_b32_e32 v99, 3, v14
	v_cmp_gt_u32_e32 vcc_lo, 8, v14
	s_delay_alu instid0(VALU_DEP_3)
	v_dual_mov_b32 v14, v1 :: v_dual_mov_b32 v13, v0
	s_and_saveexec_b32 s15, vcc_lo
; %bb.861:                              ;   in Loop: Header=BB322_808 Depth=1
	v_clz_i32_u32_e32 v13, v0
	s_delay_alu instid0(VALU_DEP_1) | instskip(NEXT) | instid1(VALU_DEP_1)
	v_min_u32_e32 v99, 32, v13
	v_subrev_nc_u32_e32 v13, 28, v99
	v_sub_nc_u32_e32 v99, 29, v99
	s_delay_alu instid0(VALU_DEP_2) | instskip(NEXT) | instid1(VALU_DEP_1)
	v_lshlrev_b64 v[13:14], v13, v[0:1]
	v_and_b32_e32 v13, 7, v13
; %bb.862:                              ;   in Loop: Header=BB322_808 Depth=1
	s_or_b32 exec_lo, exec_lo, s15
	v_lshlrev_b32_e32 v0, 8, v98
	v_lshl_add_u32 v14, v99, 10, 0x2000
	s_delay_alu instid0(VALU_DEP_1) | instskip(NEXT) | instid1(VALU_DEP_1)
	v_and_or_b32 v0, 0x8000, v0, v14
	v_lshl_or_b32 v0, v13, 7, v0
	s_delay_alu instid0(VALU_DEP_1)
	v_cvt_f32_f16_e32 v13, v0
.LBB322_863:                            ;   in Loop: Header=BB322_808 Depth=1
	s_or_b32 exec_lo, exec_lo, s13
.LBB322_864:                            ;   in Loop: Header=BB322_808 Depth=1
	s_delay_alu instid0(SALU_CYCLE_1)
	s_or_b32 exec_lo, exec_lo, s12
.LBB322_865:                            ;   in Loop: Header=BB322_808 Depth=1
	s_delay_alu instid0(SALU_CYCLE_1) | instskip(NEXT) | instid1(SALU_CYCLE_1)
	s_or_b32 exec_lo, exec_lo, s0
	s_mov_b32 s0, exec_lo
	v_cmpx_lt_u64_e64 s[8:9], v[11:12]
	s_cbranch_execz .LBB322_873
; %bb.866:                              ;   in Loop: Header=BB322_808 Depth=1
	v_lshrrev_b32_e32 v14, 24, v12
	v_bfrev_b32_e32 v84, 1
	s_mov_b32 s12, exec_lo
	s_delay_alu instid0(VALU_DEP_2)
	v_cmpx_ne_u32_e32 0x80, v14
	s_cbranch_execz .LBB322_872
; %bb.867:                              ;   in Loop: Header=BB322_808 Depth=1
	v_and_b32_e32 v11, 0x7f, v14
	v_mov_b32_e32 v84, 0x7fc02000
	s_mov_b32 s13, exec_lo
	s_delay_alu instid0(VALU_DEP_2)
	v_cmpx_ne_u32_e32 0x7f, v11
	s_cbranch_execz .LBB322_871
; %bb.868:                              ;   in Loop: Header=BB322_808 Depth=1
	v_and_b32_e32 v0, 7, v14
	v_lshrrev_b32_e32 v84, 3, v11
	v_cmp_gt_u32_e32 vcc_lo, 8, v11
	s_delay_alu instid0(VALU_DEP_3)
	v_dual_mov_b32 v12, v1 :: v_dual_mov_b32 v11, v0
	s_and_saveexec_b32 s15, vcc_lo
; %bb.869:                              ;   in Loop: Header=BB322_808 Depth=1
	v_clz_i32_u32_e32 v11, v0
	s_delay_alu instid0(VALU_DEP_1) | instskip(NEXT) | instid1(VALU_DEP_1)
	v_min_u32_e32 v84, 32, v11
	v_subrev_nc_u32_e32 v11, 28, v84
	v_sub_nc_u32_e32 v84, 29, v84
	s_delay_alu instid0(VALU_DEP_2) | instskip(NEXT) | instid1(VALU_DEP_1)
	v_lshlrev_b64 v[11:12], v11, v[0:1]
	v_and_b32_e32 v11, 7, v11
; %bb.870:                              ;   in Loop: Header=BB322_808 Depth=1
	s_or_b32 exec_lo, exec_lo, s15
	v_lshlrev_b32_e32 v0, 8, v14
	v_lshl_add_u32 v12, v84, 10, 0x2000
	s_delay_alu instid0(VALU_DEP_1) | instskip(NEXT) | instid1(VALU_DEP_1)
	v_and_or_b32 v0, 0x8000, v0, v12
	v_lshl_or_b32 v0, v11, 7, v0
	s_delay_alu instid0(VALU_DEP_1)
	v_cvt_f32_f16_e32 v84, v0
.LBB322_871:                            ;   in Loop: Header=BB322_808 Depth=1
	s_or_b32 exec_lo, exec_lo, s13
.LBB322_872:                            ;   in Loop: Header=BB322_808 Depth=1
	s_delay_alu instid0(SALU_CYCLE_1)
	s_or_b32 exec_lo, exec_lo, s12
.LBB322_873:                            ;   in Loop: Header=BB322_808 Depth=1
	s_delay_alu instid0(SALU_CYCLE_1)
	s_or_b32 exec_lo, exec_lo, s0
	s_waitcnt vmcnt(0) lgkmcnt(0)
	v_fma_mixlo_f16 v12, v19, v18, 0
	v_fma_mixlo_f16 v0, v19, v70, 0
	;; [unrolled: 1-line block ×5, first 2 shown]
	v_lshlrev_b32_e32 v14, 16, v12
	v_fma_mixlo_f16 v12, v19, v64, 0
	v_fma_mixlo_f16 v64, v19, v83, 0
	;; [unrolled: 1-line block ×3, first 2 shown]
	v_add_nc_u32_e32 v18, v55, v23
	v_lshlrev_b32_e32 v0, 16, v0
	v_and_b32_e32 v11, 0xffff, v11
	v_and_b32_e32 v19, 0xffff, v12
	v_lshlrev_b32_e32 v64, 16, v64
	v_and_b32_e32 v69, 0xffff, v69
	v_lshlrev_b32_e32 v70, 16, v70
	v_and_b32_e32 v71, 0xffff, v13
	v_cmp_eq_u32_e32 vcc_lo, v54, v16
	v_or_b32_e32 v12, v0, v11
	v_or_b32_e32 v14, v14, v19
	;; [unrolled: 1-line block ×4, first 2 shown]
	v_add_nc_u32_e32 v84, 1, v18
	v_or_b32_e32 v83, 3, v18
	v_or_b32_e32 v71, 2, v18
	v_or_b32_e32 v70, 5, v18
	v_or_b32_e32 v69, 4, v18
	v_or_b32_e32 v64, 7, v18
	v_or_b32_e32 v19, 6, v18
	s_and_saveexec_b32 s12, vcc_lo
	s_cbranch_execz .LBB322_875
; %bb.874:                              ;   in Loop: Header=BB322_808 Depth=1
	v_cmp_lt_i32_e64 s0, v18, v37
	v_lshrrev_b32_e32 v98, 16, v14
	v_lshrrev_b32_e32 v99, 16, v12
	;; [unrolled: 1-line block ×4, first 2 shown]
	v_cndmask_b32_e64 v14, 0, v14, s0
	v_cmp_lt_i32_e64 s0, v84, v53
	s_delay_alu instid0(VALU_DEP_1) | instskip(SKIP_1) | instid1(VALU_DEP_2)
	v_cndmask_b32_e64 v98, 0, v98, s0
	v_cmp_lt_i32_e64 s0, v83, v53
	v_perm_b32 v14, v98, v14, 0x5040100
	s_delay_alu instid0(VALU_DEP_2) | instskip(SKIP_1) | instid1(VALU_DEP_1)
	v_cndmask_b32_e64 v99, 0, v99, s0
	v_cmp_lt_i32_e64 s0, v71, v37
	v_cndmask_b32_e64 v12, 0, v12, s0
	v_cmp_lt_i32_e64 s0, v70, v53
	s_delay_alu instid0(VALU_DEP_2) | instskip(NEXT) | instid1(VALU_DEP_2)
	v_perm_b32 v12, v99, v12, 0x5040100
	v_cndmask_b32_e64 v100, 0, v100, s0
	v_cmp_lt_i32_e64 s0, v69, v37
	s_delay_alu instid0(VALU_DEP_1) | instskip(SKIP_1) | instid1(VALU_DEP_2)
	v_cndmask_b32_e64 v0, 0, v0, s0
	v_cmp_lt_i32_e64 s0, v64, v53
	v_perm_b32 v0, v100, v0, 0x5040100
	s_delay_alu instid0(VALU_DEP_2) | instskip(SKIP_1) | instid1(VALU_DEP_1)
	v_cndmask_b32_e64 v11, 0, v11, s0
	v_cmp_lt_i32_e64 s0, v19, v37
	v_cndmask_b32_e64 v13, 0, v13, s0
	s_delay_alu instid0(VALU_DEP_1)
	v_perm_b32 v11, v11, v13, 0x5040100
.LBB322_875:                            ;   in Loop: Header=BB322_808 Depth=1
	s_or_b32 exec_lo, exec_lo, s12
	v_and_b32_e32 v13, 0xffff, v80
	v_and_b32_e32 v80, 0xffff, v86
	;; [unrolled: 1-line block ×4, first 2 shown]
	s_mov_b32 s12, exec_lo
	s_delay_alu instid0(VALU_DEP_3) | instskip(NEXT) | instid1(VALU_DEP_3)
	v_lshl_or_b32 v86, v82, 16, v80
	v_lshl_or_b32 v85, v85, 16, v98
	v_mov_b32_e32 v98, 0
	v_lshl_or_b32 v87, v81, 16, v13
	;;#ASMSTART
	v_pk_mul_f16 v13, v87, v14;

	;;#ASMEND
	;;#ASMSTART
	v_pk_mul_f16 v12, v86, v12;

	;;#ASMEND
	;; [unrolled: 4-line block ×3, first 2 shown]
	v_lshl_or_b32 v82, v96, 16, v97
	v_mov_b32_e32 v97, 0
	;;#ASMSTART
	v_pk_mul_f16 v11, v82, v11;

	;;#ASMEND
	;;#ASMSTART
	v_pk_add_f16 v12, v13, v12;

	;;#ASMEND
	;;#ASMSTART
	v_pk_add_f16 v0, v12, v0;
	;; [unrolled: 4-line block ×3, first 2 shown]

	;;#ASMEND
	v_and_b32_e32 v11, 0xffff, v0
	v_lshrrev_b32_e32 v0, 16, v0
	;;#ASMSTART
	v_cvt_f32_f16 v80, v11;
	;;#ASMEND
	;;#ASMSTART
	v_cvt_f32_f16 v81, v0;
	;;#ASMEND
	flat_load_b64 v[11:12], v[9:10] offset:256
	flat_load_b32 v96, v[26:27]
	s_waitcnt vmcnt(1) lgkmcnt(1)
	v_and_b32_e32 v0, 0xff, v11
	s_delay_alu instid0(VALU_DEP_1)
	v_cmpx_ne_u16_e32 0, v0
	s_cbranch_execz .LBB322_883
; %bb.876:                              ;   in Loop: Header=BB322_808 Depth=1
	v_bfrev_b32_e32 v97, 1
	s_mov_b32 s13, exec_lo
	v_cmpx_ne_u16_e32 0x80, v0
	s_cbranch_execz .LBB322_882
; %bb.877:                              ;   in Loop: Header=BB322_808 Depth=1
	v_and_b32_e32 v13, 0x7f, v11
	v_mov_b32_e32 v97, 0x7fc02000
	s_mov_b32 s15, exec_lo
	s_delay_alu instid0(VALU_DEP_2)
	v_cmpx_ne_u32_e32 0x7f, v13
	s_cbranch_execz .LBB322_881
; %bb.878:                              ;   in Loop: Header=BB322_808 Depth=1
	v_lshrrev_b32_e32 v0, 3, v13
	v_cmp_gt_u32_e64 s0, 8, v13
	v_dual_mov_b32 v14, v12 :: v_dual_mov_b32 v13, v11
	s_delay_alu instid0(VALU_DEP_2)
	s_and_saveexec_b32 s16, s0
; %bb.879:                              ;   in Loop: Header=BB322_808 Depth=1
	v_and_b32_e32 v0, 7, v11
	s_delay_alu instid0(VALU_DEP_1) | instskip(NEXT) | instid1(VALU_DEP_1)
	v_clz_i32_u32_e32 v0, v0
	v_min_u32_e32 v0, 32, v0
	s_delay_alu instid0(VALU_DEP_1) | instskip(SKIP_1) | instid1(VALU_DEP_2)
	v_subrev_nc_u32_e32 v13, 28, v0
	v_sub_nc_u32_e32 v0, 29, v0
	v_lshlrev_b64 v[13:14], v13, v[11:12]
; %bb.880:                              ;   in Loop: Header=BB322_808 Depth=1
	s_or_b32 exec_lo, exec_lo, s16
	v_lshlrev_b32_e32 v14, 8, v11
	s_delay_alu instid0(VALU_DEP_3) | instskip(NEXT) | instid1(VALU_DEP_3)
	v_lshl_add_u32 v0, v0, 10, 0x2000
	v_lshlrev_b32_e32 v13, 7, v13
	s_delay_alu instid0(VALU_DEP_2) | instskip(NEXT) | instid1(VALU_DEP_1)
	v_and_or_b32 v0, 0x8000, v14, v0
	v_and_or_b32 v0, 0x380, v13, v0
	s_delay_alu instid0(VALU_DEP_1)
	v_cvt_f32_f16_e32 v97, v0
.LBB322_881:                            ;   in Loop: Header=BB322_808 Depth=1
	s_or_b32 exec_lo, exec_lo, s15
.LBB322_882:                            ;   in Loop: Header=BB322_808 Depth=1
	s_delay_alu instid0(SALU_CYCLE_1)
	s_or_b32 exec_lo, exec_lo, s13
.LBB322_883:                            ;   in Loop: Header=BB322_808 Depth=1
	s_delay_alu instid0(SALU_CYCLE_1) | instskip(SKIP_2) | instid1(VALU_DEP_1)
	s_or_b32 exec_lo, exec_lo, s12
	v_lshrrev_b16 v0, 8, v11
	s_mov_b32 s12, exec_lo
	v_cmpx_ne_u16_e32 0, v0
	s_cbranch_execz .LBB322_891
; %bb.884:                              ;   in Loop: Header=BB322_808 Depth=1
	v_bfrev_b32_e32 v98, 1
	s_mov_b32 s13, exec_lo
	v_cmpx_ne_u16_e32 0x80, v0
	s_cbranch_execz .LBB322_890
; %bb.885:                              ;   in Loop: Header=BB322_808 Depth=1
	v_and_b32_e32 v99, 0xffff, v0
	v_mov_b32_e32 v98, 0x7fc02000
	s_mov_b32 s15, exec_lo
	s_delay_alu instid0(VALU_DEP_2) | instskip(NEXT) | instid1(VALU_DEP_1)
	v_and_b32_e32 v13, 0x7f, v99
	v_cmpx_ne_u32_e32 0x7f, v13
	s_cbranch_execz .LBB322_889
; %bb.886:                              ;   in Loop: Header=BB322_808 Depth=1
	v_and_b32_e32 v0, 7, v99
	v_lshrrev_b32_e32 v98, 3, v13
	v_cmp_gt_u32_e64 s0, 8, v13
	s_delay_alu instid0(VALU_DEP_3) | instskip(NEXT) | instid1(VALU_DEP_2)
	v_dual_mov_b32 v14, v1 :: v_dual_mov_b32 v13, v0
	s_and_saveexec_b32 s16, s0
; %bb.887:                              ;   in Loop: Header=BB322_808 Depth=1
	v_clz_i32_u32_e32 v13, v0
	s_delay_alu instid0(VALU_DEP_1) | instskip(NEXT) | instid1(VALU_DEP_1)
	v_min_u32_e32 v98, 32, v13
	v_subrev_nc_u32_e32 v13, 28, v98
	v_sub_nc_u32_e32 v98, 29, v98
	s_delay_alu instid0(VALU_DEP_2) | instskip(NEXT) | instid1(VALU_DEP_1)
	v_lshlrev_b64 v[13:14], v13, v[0:1]
	v_and_b32_e32 v13, 7, v13
; %bb.888:                              ;   in Loop: Header=BB322_808 Depth=1
	s_or_b32 exec_lo, exec_lo, s16
	v_lshlrev_b32_e32 v0, 8, v99
	v_lshl_add_u32 v14, v98, 10, 0x2000
	s_delay_alu instid0(VALU_DEP_1) | instskip(NEXT) | instid1(VALU_DEP_1)
	v_and_or_b32 v0, 0x8000, v0, v14
	v_lshl_or_b32 v0, v13, 7, v0
	s_delay_alu instid0(VALU_DEP_1)
	v_cvt_f32_f16_e32 v98, v0
.LBB322_889:                            ;   in Loop: Header=BB322_808 Depth=1
	s_or_b32 exec_lo, exec_lo, s15
.LBB322_890:                            ;   in Loop: Header=BB322_808 Depth=1
	s_delay_alu instid0(SALU_CYCLE_1)
	s_or_b32 exec_lo, exec_lo, s13
.LBB322_891:                            ;   in Loop: Header=BB322_808 Depth=1
	s_delay_alu instid0(SALU_CYCLE_1) | instskip(SKIP_3) | instid1(VALU_DEP_2)
	s_or_b32 exec_lo, exec_lo, s12
	v_lshrrev_b32_e32 v101, 16, v11
	v_mov_b32_e32 v100, 0
	s_mov_b32 s12, exec_lo
	v_dual_mov_b32 v99, 0 :: v_dual_and_b32 v0, 0xff, v101
	s_delay_alu instid0(VALU_DEP_1)
	v_cmpx_ne_u16_e32 0, v0
	s_cbranch_execz .LBB322_899
; %bb.892:                              ;   in Loop: Header=BB322_808 Depth=1
	v_bfrev_b32_e32 v99, 1
	s_mov_b32 s13, exec_lo
	v_cmpx_ne_u16_e32 0x80, v0
	s_cbranch_execz .LBB322_898
; %bb.893:                              ;   in Loop: Header=BB322_808 Depth=1
	v_bfe_u32 v13, v11, 16, 7
	v_mov_b32_e32 v99, 0x7fc02000
	s_mov_b32 s15, exec_lo
	s_delay_alu instid0(VALU_DEP_2)
	v_cmpx_ne_u32_e32 0x7f, v13
	s_cbranch_execz .LBB322_897
; %bb.894:                              ;   in Loop: Header=BB322_808 Depth=1
	v_and_b32_e32 v0, 7, v101
	v_lshrrev_b32_e32 v99, 3, v13
	v_cmp_gt_u32_e64 s0, 8, v13
	s_delay_alu instid0(VALU_DEP_3) | instskip(NEXT) | instid1(VALU_DEP_2)
	v_dual_mov_b32 v14, v1 :: v_dual_mov_b32 v13, v0
	s_and_saveexec_b32 s16, s0
; %bb.895:                              ;   in Loop: Header=BB322_808 Depth=1
	v_clz_i32_u32_e32 v13, v0
	s_delay_alu instid0(VALU_DEP_1) | instskip(NEXT) | instid1(VALU_DEP_1)
	v_min_u32_e32 v99, 32, v13
	v_subrev_nc_u32_e32 v13, 28, v99
	v_sub_nc_u32_e32 v99, 29, v99
	s_delay_alu instid0(VALU_DEP_2) | instskip(NEXT) | instid1(VALU_DEP_1)
	v_lshlrev_b64 v[13:14], v13, v[0:1]
	v_and_b32_e32 v13, 7, v13
; %bb.896:                              ;   in Loop: Header=BB322_808 Depth=1
	s_or_b32 exec_lo, exec_lo, s16
	v_lshlrev_b32_e32 v0, 8, v101
	v_lshl_add_u32 v14, v99, 10, 0x2000
	s_delay_alu instid0(VALU_DEP_1) | instskip(NEXT) | instid1(VALU_DEP_1)
	v_and_or_b32 v0, 0x8000, v0, v14
	v_lshl_or_b32 v0, v13, 7, v0
	s_delay_alu instid0(VALU_DEP_1)
	v_cvt_f32_f16_e32 v99, v0
.LBB322_897:                            ;   in Loop: Header=BB322_808 Depth=1
	s_or_b32 exec_lo, exec_lo, s15
.LBB322_898:                            ;   in Loop: Header=BB322_808 Depth=1
	s_delay_alu instid0(SALU_CYCLE_1)
	s_or_b32 exec_lo, exec_lo, s13
.LBB322_899:                            ;   in Loop: Header=BB322_808 Depth=1
	s_delay_alu instid0(SALU_CYCLE_1) | instskip(NEXT) | instid1(SALU_CYCLE_1)
	s_or_b32 exec_lo, exec_lo, s12
	s_mov_b32 s12, exec_lo
	v_cmpx_lt_u32_e32 0xffffff, v11
	s_cbranch_execz .LBB322_907
; %bb.900:                              ;   in Loop: Header=BB322_808 Depth=1
	v_lshrrev_b32_e32 v101, 24, v11
	v_bfrev_b32_e32 v100, 1
	s_mov_b32 s13, exec_lo
	s_delay_alu instid0(VALU_DEP_2)
	v_cmpx_ne_u32_e32 0x80, v101
	s_cbranch_execz .LBB322_906
; %bb.901:                              ;   in Loop: Header=BB322_808 Depth=1
	v_and_b32_e32 v13, 0x7f, v101
	v_mov_b32_e32 v100, 0x7fc02000
	s_mov_b32 s15, exec_lo
	s_delay_alu instid0(VALU_DEP_2)
	v_cmpx_ne_u32_e32 0x7f, v13
	s_cbranch_execz .LBB322_905
; %bb.902:                              ;   in Loop: Header=BB322_808 Depth=1
	v_and_b32_e32 v0, 7, v101
	v_lshrrev_b32_e32 v100, 3, v13
	v_cmp_gt_u32_e64 s0, 8, v13
	s_delay_alu instid0(VALU_DEP_3) | instskip(NEXT) | instid1(VALU_DEP_2)
	v_dual_mov_b32 v14, v1 :: v_dual_mov_b32 v13, v0
	s_and_saveexec_b32 s16, s0
; %bb.903:                              ;   in Loop: Header=BB322_808 Depth=1
	v_clz_i32_u32_e32 v13, v0
	s_delay_alu instid0(VALU_DEP_1) | instskip(NEXT) | instid1(VALU_DEP_1)
	v_min_u32_e32 v100, 32, v13
	v_subrev_nc_u32_e32 v13, 28, v100
	v_sub_nc_u32_e32 v100, 29, v100
	s_delay_alu instid0(VALU_DEP_2) | instskip(NEXT) | instid1(VALU_DEP_1)
	v_lshlrev_b64 v[13:14], v13, v[0:1]
	v_and_b32_e32 v13, 7, v13
; %bb.904:                              ;   in Loop: Header=BB322_808 Depth=1
	s_or_b32 exec_lo, exec_lo, s16
	v_lshlrev_b32_e32 v0, 8, v101
	v_lshl_add_u32 v14, v100, 10, 0x2000
	s_delay_alu instid0(VALU_DEP_1) | instskip(NEXT) | instid1(VALU_DEP_1)
	v_and_or_b32 v0, 0x8000, v0, v14
	v_lshl_or_b32 v0, v13, 7, v0
	s_delay_alu instid0(VALU_DEP_1)
	v_cvt_f32_f16_e32 v100, v0
.LBB322_905:                            ;   in Loop: Header=BB322_808 Depth=1
	s_or_b32 exec_lo, exec_lo, s15
.LBB322_906:                            ;   in Loop: Header=BB322_808 Depth=1
	s_delay_alu instid0(SALU_CYCLE_1)
	s_or_b32 exec_lo, exec_lo, s13
.LBB322_907:                            ;   in Loop: Header=BB322_808 Depth=1
	s_delay_alu instid0(SALU_CYCLE_1) | instskip(SKIP_3) | instid1(VALU_DEP_2)
	s_or_b32 exec_lo, exec_lo, s12
	v_dual_mov_b32 v0, v12 :: v_dual_and_b32 v13, 0xff, v12
	v_dual_mov_b32 v102, 0 :: v_dual_mov_b32 v101, 0
	s_mov_b32 s12, exec_lo
	v_cmpx_ne_u16_e32 0, v13
	s_cbranch_execz .LBB322_915
; %bb.908:                              ;   in Loop: Header=BB322_808 Depth=1
	v_bfrev_b32_e32 v101, 1
	s_mov_b32 s13, exec_lo
	v_cmpx_ne_u16_e32 0x80, v13
	s_cbranch_execz .LBB322_914
; %bb.909:                              ;   in Loop: Header=BB322_808 Depth=1
	v_and_b32_e32 v13, 0x7f, v12
	v_mov_b32_e32 v101, 0x7fc02000
	s_mov_b32 s15, exec_lo
	s_delay_alu instid0(VALU_DEP_2)
	v_cmpx_ne_u32_e32 0x7f, v13
	s_cbranch_execz .LBB322_913
; %bb.910:                              ;   in Loop: Header=BB322_808 Depth=1
	v_lshrrev_b32_e32 v101, 3, v13
	v_cmp_gt_u32_e64 s0, 8, v13
	v_dual_mov_b32 v14, v1 :: v_dual_mov_b32 v13, v0
	s_delay_alu instid0(VALU_DEP_2)
	s_and_saveexec_b32 s16, s0
; %bb.911:                              ;   in Loop: Header=BB322_808 Depth=1
	v_and_b32_e32 v13, 7, v12
	s_delay_alu instid0(VALU_DEP_1) | instskip(NEXT) | instid1(VALU_DEP_1)
	v_clz_i32_u32_e32 v13, v13
	v_min_u32_e32 v101, 32, v13
	s_delay_alu instid0(VALU_DEP_1) | instskip(SKIP_1) | instid1(VALU_DEP_2)
	v_subrev_nc_u32_e32 v13, 28, v101
	v_sub_nc_u32_e32 v101, 29, v101
	v_lshlrev_b64 v[13:14], v13, v[0:1]
; %bb.912:                              ;   in Loop: Header=BB322_808 Depth=1
	s_or_b32 exec_lo, exec_lo, s16
	v_lshlrev_b32_e32 v14, 8, v12
	s_delay_alu instid0(VALU_DEP_3) | instskip(NEXT) | instid1(VALU_DEP_3)
	v_lshl_add_u32 v101, v101, 10, 0x2000
	v_lshlrev_b32_e32 v13, 7, v13
	s_delay_alu instid0(VALU_DEP_2) | instskip(NEXT) | instid1(VALU_DEP_1)
	v_and_or_b32 v14, 0x8000, v14, v101
	v_and_or_b32 v13, 0x380, v13, v14
	s_delay_alu instid0(VALU_DEP_1)
	v_cvt_f32_f16_e32 v101, v13
.LBB322_913:                            ;   in Loop: Header=BB322_808 Depth=1
	s_or_b32 exec_lo, exec_lo, s15
.LBB322_914:                            ;   in Loop: Header=BB322_808 Depth=1
	s_delay_alu instid0(SALU_CYCLE_1)
	s_or_b32 exec_lo, exec_lo, s13
.LBB322_915:                            ;   in Loop: Header=BB322_808 Depth=1
	s_delay_alu instid0(SALU_CYCLE_1) | instskip(SKIP_2) | instid1(VALU_DEP_1)
	s_or_b32 exec_lo, exec_lo, s12
	v_lshrrev_b16 v0, 8, v0
	s_mov_b32 s12, exec_lo
	v_cmpx_ne_u16_e32 0, v0
	s_cbranch_execz .LBB322_923
; %bb.916:                              ;   in Loop: Header=BB322_808 Depth=1
	v_bfrev_b32_e32 v102, 1
	s_mov_b32 s13, exec_lo
	v_cmpx_ne_u16_e32 0x80, v0
	s_cbranch_execz .LBB322_922
; %bb.917:                              ;   in Loop: Header=BB322_808 Depth=1
	v_and_b32_e32 v103, 0xffff, v0
	v_mov_b32_e32 v102, 0x7fc02000
	s_mov_b32 s15, exec_lo
	s_delay_alu instid0(VALU_DEP_2) | instskip(NEXT) | instid1(VALU_DEP_1)
	v_and_b32_e32 v13, 0x7f, v103
	v_cmpx_ne_u32_e32 0x7f, v13
	s_cbranch_execz .LBB322_921
; %bb.918:                              ;   in Loop: Header=BB322_808 Depth=1
	v_and_b32_e32 v0, 7, v103
	v_lshrrev_b32_e32 v102, 3, v13
	v_cmp_gt_u32_e64 s0, 8, v13
	s_delay_alu instid0(VALU_DEP_3) | instskip(NEXT) | instid1(VALU_DEP_2)
	v_dual_mov_b32 v14, v1 :: v_dual_mov_b32 v13, v0
	s_and_saveexec_b32 s16, s0
; %bb.919:                              ;   in Loop: Header=BB322_808 Depth=1
	v_clz_i32_u32_e32 v13, v0
	s_delay_alu instid0(VALU_DEP_1) | instskip(NEXT) | instid1(VALU_DEP_1)
	v_min_u32_e32 v102, 32, v13
	v_subrev_nc_u32_e32 v13, 28, v102
	v_sub_nc_u32_e32 v102, 29, v102
	s_delay_alu instid0(VALU_DEP_2) | instskip(NEXT) | instid1(VALU_DEP_1)
	v_lshlrev_b64 v[13:14], v13, v[0:1]
	v_and_b32_e32 v13, 7, v13
; %bb.920:                              ;   in Loop: Header=BB322_808 Depth=1
	s_or_b32 exec_lo, exec_lo, s16
	v_lshlrev_b32_e32 v0, 8, v103
	v_lshl_add_u32 v14, v102, 10, 0x2000
	s_delay_alu instid0(VALU_DEP_1) | instskip(NEXT) | instid1(VALU_DEP_1)
	v_and_or_b32 v0, 0x8000, v0, v14
	v_lshl_or_b32 v0, v13, 7, v0
	s_delay_alu instid0(VALU_DEP_1)
	v_cvt_f32_f16_e32 v102, v0
.LBB322_921:                            ;   in Loop: Header=BB322_808 Depth=1
	s_or_b32 exec_lo, exec_lo, s15
.LBB322_922:                            ;   in Loop: Header=BB322_808 Depth=1
	s_delay_alu instid0(SALU_CYCLE_1)
	s_or_b32 exec_lo, exec_lo, s13
.LBB322_923:                            ;   in Loop: Header=BB322_808 Depth=1
	s_delay_alu instid0(SALU_CYCLE_1) | instskip(SKIP_3) | instid1(VALU_DEP_2)
	s_or_b32 exec_lo, exec_lo, s12
	v_lshrrev_b32_e32 v112, 16, v12
	v_mov_b32_e32 v13, 0
	s_mov_b32 s12, exec_lo
	v_dual_mov_b32 v103, 0 :: v_dual_and_b32 v0, 0xff, v112
	s_delay_alu instid0(VALU_DEP_1)
	v_cmpx_ne_u16_e32 0, v0
	s_cbranch_execz .LBB322_931
; %bb.924:                              ;   in Loop: Header=BB322_808 Depth=1
	v_bfrev_b32_e32 v13, 1
	s_mov_b32 s13, exec_lo
	v_cmpx_ne_u16_e32 0x80, v0
	s_cbranch_execz .LBB322_930
; %bb.925:                              ;   in Loop: Header=BB322_808 Depth=1
	v_bfe_u32 v14, v12, 16, 7
	v_mov_b32_e32 v13, 0x7fc02000
	s_mov_b32 s15, exec_lo
	s_delay_alu instid0(VALU_DEP_2)
	v_cmpx_ne_u32_e32 0x7f, v14
	s_cbranch_execz .LBB322_929
; %bb.926:                              ;   in Loop: Header=BB322_808 Depth=1
	v_and_b32_e32 v0, 7, v112
	v_lshrrev_b32_e32 v113, 3, v14
	v_cmp_gt_u32_e64 s0, 8, v14
	s_delay_alu instid0(VALU_DEP_3) | instskip(NEXT) | instid1(VALU_DEP_2)
	v_dual_mov_b32 v14, v1 :: v_dual_mov_b32 v13, v0
	s_and_saveexec_b32 s16, s0
; %bb.927:                              ;   in Loop: Header=BB322_808 Depth=1
	v_clz_i32_u32_e32 v13, v0
	s_delay_alu instid0(VALU_DEP_1) | instskip(NEXT) | instid1(VALU_DEP_1)
	v_min_u32_e32 v113, 32, v13
	v_subrev_nc_u32_e32 v13, 28, v113
	v_sub_nc_u32_e32 v113, 29, v113
	s_delay_alu instid0(VALU_DEP_2) | instskip(NEXT) | instid1(VALU_DEP_1)
	v_lshlrev_b64 v[13:14], v13, v[0:1]
	v_and_b32_e32 v13, 7, v13
; %bb.928:                              ;   in Loop: Header=BB322_808 Depth=1
	s_or_b32 exec_lo, exec_lo, s16
	v_lshlrev_b32_e32 v0, 8, v112
	v_lshl_add_u32 v14, v113, 10, 0x2000
	s_delay_alu instid0(VALU_DEP_1) | instskip(NEXT) | instid1(VALU_DEP_1)
	v_and_or_b32 v0, 0x8000, v0, v14
	v_lshl_or_b32 v0, v13, 7, v0
	s_delay_alu instid0(VALU_DEP_1)
	v_cvt_f32_f16_e32 v13, v0
.LBB322_929:                            ;   in Loop: Header=BB322_808 Depth=1
	s_or_b32 exec_lo, exec_lo, s15
.LBB322_930:                            ;   in Loop: Header=BB322_808 Depth=1
	s_delay_alu instid0(SALU_CYCLE_1)
	s_or_b32 exec_lo, exec_lo, s13
.LBB322_931:                            ;   in Loop: Header=BB322_808 Depth=1
	s_delay_alu instid0(SALU_CYCLE_1) | instskip(NEXT) | instid1(SALU_CYCLE_1)
	s_or_b32 exec_lo, exec_lo, s12
	s_mov_b32 s12, exec_lo
	v_cmpx_lt_u64_e64 s[8:9], v[11:12]
	s_cbranch_execz .LBB322_939
; %bb.932:                              ;   in Loop: Header=BB322_808 Depth=1
	v_lshrrev_b32_e32 v14, 24, v12
	v_bfrev_b32_e32 v103, 1
	s_mov_b32 s13, exec_lo
	s_delay_alu instid0(VALU_DEP_2)
	v_cmpx_ne_u32_e32 0x80, v14
	s_cbranch_execz .LBB322_938
; %bb.933:                              ;   in Loop: Header=BB322_808 Depth=1
	v_and_b32_e32 v11, 0x7f, v14
	v_mov_b32_e32 v103, 0x7fc02000
	s_mov_b32 s15, exec_lo
	s_delay_alu instid0(VALU_DEP_2)
	v_cmpx_ne_u32_e32 0x7f, v11
	s_cbranch_execz .LBB322_937
; %bb.934:                              ;   in Loop: Header=BB322_808 Depth=1
	v_and_b32_e32 v0, 7, v14
	v_lshrrev_b32_e32 v103, 3, v11
	v_cmp_gt_u32_e64 s0, 8, v11
	s_delay_alu instid0(VALU_DEP_3) | instskip(NEXT) | instid1(VALU_DEP_2)
	v_dual_mov_b32 v12, v1 :: v_dual_mov_b32 v11, v0
	s_and_saveexec_b32 s16, s0
; %bb.935:                              ;   in Loop: Header=BB322_808 Depth=1
	v_clz_i32_u32_e32 v11, v0
	s_delay_alu instid0(VALU_DEP_1) | instskip(NEXT) | instid1(VALU_DEP_1)
	v_min_u32_e32 v103, 32, v11
	v_subrev_nc_u32_e32 v11, 28, v103
	v_sub_nc_u32_e32 v103, 29, v103
	s_delay_alu instid0(VALU_DEP_2) | instskip(NEXT) | instid1(VALU_DEP_1)
	v_lshlrev_b64 v[11:12], v11, v[0:1]
	v_and_b32_e32 v11, 7, v11
; %bb.936:                              ;   in Loop: Header=BB322_808 Depth=1
	s_or_b32 exec_lo, exec_lo, s16
	v_lshlrev_b32_e32 v0, 8, v14
	v_lshl_add_u32 v12, v103, 10, 0x2000
	s_delay_alu instid0(VALU_DEP_1) | instskip(NEXT) | instid1(VALU_DEP_1)
	v_and_or_b32 v0, 0x8000, v0, v12
	v_lshl_or_b32 v0, v11, 7, v0
	s_delay_alu instid0(VALU_DEP_1)
	v_cvt_f32_f16_e32 v103, v0
.LBB322_937:                            ;   in Loop: Header=BB322_808 Depth=1
	s_or_b32 exec_lo, exec_lo, s15
.LBB322_938:                            ;   in Loop: Header=BB322_808 Depth=1
	s_delay_alu instid0(SALU_CYCLE_1)
	s_or_b32 exec_lo, exec_lo, s13
.LBB322_939:                            ;   in Loop: Header=BB322_808 Depth=1
	s_delay_alu instid0(SALU_CYCLE_1)
	s_or_b32 exec_lo, exec_lo, s12
	s_waitcnt vmcnt(0) lgkmcnt(0)
	v_fma_mixlo_f16 v12, v96, v98, 0
	v_fma_mixlo_f16 v0, v96, v100, 0
	;; [unrolled: 1-line block ×5, first 2 shown]
	v_lshlrev_b32_e32 v14, 16, v12
	v_fma_mixlo_f16 v99, v96, v101, 0
	v_fma_mixlo_f16 v100, v96, v103, 0
	;; [unrolled: 1-line block ×3, first 2 shown]
	v_lshlrev_b32_e32 v0, 16, v0
	v_and_b32_e32 v11, 0xffff, v11
	v_and_b32_e32 v96, 0xffff, v97
	v_lshlrev_b32_e32 v97, 16, v98
	v_and_b32_e32 v98, 0xffff, v99
	v_lshlrev_b32_e32 v99, 16, v100
	v_and_b32_e32 v100, 0xffff, v12
	v_or_b32_e32 v13, v0, v11
	v_or_b32_e32 v14, v14, v96
	;; [unrolled: 1-line block ×3, first 2 shown]
	s_delay_alu instid0(VALU_DEP_4)
	v_or_b32_e32 v11, v99, v100
	s_and_saveexec_b32 s12, vcc_lo
	s_cbranch_execz .LBB322_941
; %bb.940:                              ;   in Loop: Header=BB322_808 Depth=1
	v_cmp_lt_i32_e64 s0, v18, v37
	v_lshrrev_b32_e32 v96, 16, v14
	v_lshrrev_b32_e32 v97, 16, v13
	;; [unrolled: 1-line block ×4, first 2 shown]
	v_cndmask_b32_e64 v14, 0, v14, s0
	v_cmp_lt_i32_e64 s0, v84, v53
	s_delay_alu instid0(VALU_DEP_1) | instskip(SKIP_1) | instid1(VALU_DEP_2)
	v_cndmask_b32_e64 v96, 0, v96, s0
	v_cmp_lt_i32_e64 s0, v83, v53
	v_perm_b32 v14, v96, v14, 0x5040100
	s_delay_alu instid0(VALU_DEP_2) | instskip(SKIP_1) | instid1(VALU_DEP_1)
	v_cndmask_b32_e64 v97, 0, v97, s0
	v_cmp_lt_i32_e64 s0, v71, v37
	v_cndmask_b32_e64 v13, 0, v13, s0
	v_cmp_lt_i32_e64 s0, v70, v53
	s_delay_alu instid0(VALU_DEP_2) | instskip(NEXT) | instid1(VALU_DEP_2)
	v_perm_b32 v13, v97, v13, 0x5040100
	v_cndmask_b32_e64 v98, 0, v98, s0
	v_cmp_lt_i32_e64 s0, v69, v37
	s_delay_alu instid0(VALU_DEP_1) | instskip(SKIP_1) | instid1(VALU_DEP_2)
	v_cndmask_b32_e64 v0, 0, v0, s0
	v_cmp_lt_i32_e64 s0, v64, v53
	v_perm_b32 v0, v98, v0, 0x5040100
	s_delay_alu instid0(VALU_DEP_2) | instskip(SKIP_1) | instid1(VALU_DEP_1)
	v_cndmask_b32_e64 v11, 0, v11, s0
	v_cmp_lt_i32_e64 s0, v19, v37
	v_cndmask_b32_e64 v12, 0, v12, s0
	s_delay_alu instid0(VALU_DEP_1)
	v_perm_b32 v11, v11, v12, 0x5040100
.LBB322_941:                            ;   in Loop: Header=BB322_808 Depth=1
	s_or_b32 exec_lo, exec_lo, s12
	;;#ASMSTART
	v_pk_mul_f16 v12, v87, v14;

	;;#ASMEND
	;;#ASMSTART
	v_pk_mul_f16 v13, v86, v13;

	;;#ASMEND
	;; [unrolled: 4-line block ×4, first 2 shown]
	;;#ASMSTART
	v_pk_add_f16 v12, v12, v13;

	;;#ASMEND
	;;#ASMSTART
	v_pk_add_f16 v0, v12, v0;

	;;#ASMEND
	;; [unrolled: 4-line block ×3, first 2 shown]
	v_dual_mov_b32 v100, 0 :: v_dual_and_b32 v11, 0xffff, v0
	v_lshrrev_b32_e32 v0, 16, v0
	;;#ASMSTART
	v_cvt_f32_f16 v96, v11;
	;;#ASMEND
	;;#ASMSTART
	v_cvt_f32_f16 v97, v0;
	;;#ASMEND
	flat_load_b64 v[11:12], v[9:10] offset:512
	flat_load_b32 v98, v[26:27]
	s_mov_b32 s12, exec_lo
	s_waitcnt vmcnt(1) lgkmcnt(1)
	v_dual_mov_b32 v99, 0 :: v_dual_and_b32 v0, 0xff, v11
	s_delay_alu instid0(VALU_DEP_1)
	v_cmpx_ne_u16_e32 0, v0
	s_cbranch_execz .LBB322_949
; %bb.942:                              ;   in Loop: Header=BB322_808 Depth=1
	v_bfrev_b32_e32 v99, 1
	s_mov_b32 s13, exec_lo
	v_cmpx_ne_u16_e32 0x80, v0
	s_cbranch_execz .LBB322_948
; %bb.943:                              ;   in Loop: Header=BB322_808 Depth=1
	v_and_b32_e32 v13, 0x7f, v11
	v_mov_b32_e32 v99, 0x7fc02000
	s_mov_b32 s15, exec_lo
	s_delay_alu instid0(VALU_DEP_2)
	v_cmpx_ne_u32_e32 0x7f, v13
	s_cbranch_execz .LBB322_947
; %bb.944:                              ;   in Loop: Header=BB322_808 Depth=1
	v_lshrrev_b32_e32 v0, 3, v13
	v_cmp_gt_u32_e64 s0, 8, v13
	v_dual_mov_b32 v14, v12 :: v_dual_mov_b32 v13, v11
	s_delay_alu instid0(VALU_DEP_2)
	s_and_saveexec_b32 s16, s0
; %bb.945:                              ;   in Loop: Header=BB322_808 Depth=1
	v_and_b32_e32 v0, 7, v11
	s_delay_alu instid0(VALU_DEP_1) | instskip(NEXT) | instid1(VALU_DEP_1)
	v_clz_i32_u32_e32 v0, v0
	v_min_u32_e32 v0, 32, v0
	s_delay_alu instid0(VALU_DEP_1) | instskip(SKIP_1) | instid1(VALU_DEP_2)
	v_subrev_nc_u32_e32 v13, 28, v0
	v_sub_nc_u32_e32 v0, 29, v0
	v_lshlrev_b64 v[13:14], v13, v[11:12]
; %bb.946:                              ;   in Loop: Header=BB322_808 Depth=1
	s_or_b32 exec_lo, exec_lo, s16
	v_lshlrev_b32_e32 v14, 8, v11
	s_delay_alu instid0(VALU_DEP_3) | instskip(NEXT) | instid1(VALU_DEP_3)
	v_lshl_add_u32 v0, v0, 10, 0x2000
	v_lshlrev_b32_e32 v13, 7, v13
	s_delay_alu instid0(VALU_DEP_2) | instskip(NEXT) | instid1(VALU_DEP_1)
	v_and_or_b32 v0, 0x8000, v14, v0
	v_and_or_b32 v0, 0x380, v13, v0
	s_delay_alu instid0(VALU_DEP_1)
	v_cvt_f32_f16_e32 v99, v0
.LBB322_947:                            ;   in Loop: Header=BB322_808 Depth=1
	s_or_b32 exec_lo, exec_lo, s15
.LBB322_948:                            ;   in Loop: Header=BB322_808 Depth=1
	s_delay_alu instid0(SALU_CYCLE_1)
	s_or_b32 exec_lo, exec_lo, s13
.LBB322_949:                            ;   in Loop: Header=BB322_808 Depth=1
	s_delay_alu instid0(SALU_CYCLE_1) | instskip(SKIP_2) | instid1(VALU_DEP_1)
	s_or_b32 exec_lo, exec_lo, s12
	v_lshrrev_b16 v0, 8, v11
	s_mov_b32 s12, exec_lo
	v_cmpx_ne_u16_e32 0, v0
	s_cbranch_execz .LBB322_957
; %bb.950:                              ;   in Loop: Header=BB322_808 Depth=1
	v_bfrev_b32_e32 v100, 1
	s_mov_b32 s13, exec_lo
	v_cmpx_ne_u16_e32 0x80, v0
	s_cbranch_execz .LBB322_956
; %bb.951:                              ;   in Loop: Header=BB322_808 Depth=1
	v_and_b32_e32 v101, 0xffff, v0
	v_mov_b32_e32 v100, 0x7fc02000
	s_mov_b32 s15, exec_lo
	s_delay_alu instid0(VALU_DEP_2) | instskip(NEXT) | instid1(VALU_DEP_1)
	v_and_b32_e32 v13, 0x7f, v101
	v_cmpx_ne_u32_e32 0x7f, v13
	s_cbranch_execz .LBB322_955
; %bb.952:                              ;   in Loop: Header=BB322_808 Depth=1
	v_and_b32_e32 v0, 7, v101
	v_lshrrev_b32_e32 v100, 3, v13
	v_cmp_gt_u32_e64 s0, 8, v13
	s_delay_alu instid0(VALU_DEP_3) | instskip(NEXT) | instid1(VALU_DEP_2)
	v_dual_mov_b32 v14, v1 :: v_dual_mov_b32 v13, v0
	s_and_saveexec_b32 s16, s0
; %bb.953:                              ;   in Loop: Header=BB322_808 Depth=1
	v_clz_i32_u32_e32 v13, v0
	s_delay_alu instid0(VALU_DEP_1) | instskip(NEXT) | instid1(VALU_DEP_1)
	v_min_u32_e32 v100, 32, v13
	v_subrev_nc_u32_e32 v13, 28, v100
	v_sub_nc_u32_e32 v100, 29, v100
	s_delay_alu instid0(VALU_DEP_2) | instskip(NEXT) | instid1(VALU_DEP_1)
	v_lshlrev_b64 v[13:14], v13, v[0:1]
	v_and_b32_e32 v13, 7, v13
; %bb.954:                              ;   in Loop: Header=BB322_808 Depth=1
	s_or_b32 exec_lo, exec_lo, s16
	v_lshlrev_b32_e32 v0, 8, v101
	v_lshl_add_u32 v14, v100, 10, 0x2000
	s_delay_alu instid0(VALU_DEP_1) | instskip(NEXT) | instid1(VALU_DEP_1)
	v_and_or_b32 v0, 0x8000, v0, v14
	v_lshl_or_b32 v0, v13, 7, v0
	s_delay_alu instid0(VALU_DEP_1)
	v_cvt_f32_f16_e32 v100, v0
.LBB322_955:                            ;   in Loop: Header=BB322_808 Depth=1
	s_or_b32 exec_lo, exec_lo, s15
.LBB322_956:                            ;   in Loop: Header=BB322_808 Depth=1
	s_delay_alu instid0(SALU_CYCLE_1)
	s_or_b32 exec_lo, exec_lo, s13
.LBB322_957:                            ;   in Loop: Header=BB322_808 Depth=1
	s_delay_alu instid0(SALU_CYCLE_1) | instskip(SKIP_3) | instid1(VALU_DEP_2)
	s_or_b32 exec_lo, exec_lo, s12
	v_lshrrev_b32_e32 v103, 16, v11
	v_mov_b32_e32 v102, 0
	s_mov_b32 s12, exec_lo
	v_dual_mov_b32 v101, 0 :: v_dual_and_b32 v0, 0xff, v103
	s_delay_alu instid0(VALU_DEP_1)
	v_cmpx_ne_u16_e32 0, v0
	s_cbranch_execz .LBB322_965
; %bb.958:                              ;   in Loop: Header=BB322_808 Depth=1
	v_bfrev_b32_e32 v101, 1
	s_mov_b32 s13, exec_lo
	v_cmpx_ne_u16_e32 0x80, v0
	s_cbranch_execz .LBB322_964
; %bb.959:                              ;   in Loop: Header=BB322_808 Depth=1
	v_bfe_u32 v13, v11, 16, 7
	v_mov_b32_e32 v101, 0x7fc02000
	s_mov_b32 s15, exec_lo
	s_delay_alu instid0(VALU_DEP_2)
	v_cmpx_ne_u32_e32 0x7f, v13
	s_cbranch_execz .LBB322_963
; %bb.960:                              ;   in Loop: Header=BB322_808 Depth=1
	v_and_b32_e32 v0, 7, v103
	v_lshrrev_b32_e32 v101, 3, v13
	v_cmp_gt_u32_e64 s0, 8, v13
	s_delay_alu instid0(VALU_DEP_3) | instskip(NEXT) | instid1(VALU_DEP_2)
	v_dual_mov_b32 v14, v1 :: v_dual_mov_b32 v13, v0
	s_and_saveexec_b32 s16, s0
; %bb.961:                              ;   in Loop: Header=BB322_808 Depth=1
	v_clz_i32_u32_e32 v13, v0
	s_delay_alu instid0(VALU_DEP_1) | instskip(NEXT) | instid1(VALU_DEP_1)
	v_min_u32_e32 v101, 32, v13
	v_subrev_nc_u32_e32 v13, 28, v101
	v_sub_nc_u32_e32 v101, 29, v101
	s_delay_alu instid0(VALU_DEP_2) | instskip(NEXT) | instid1(VALU_DEP_1)
	v_lshlrev_b64 v[13:14], v13, v[0:1]
	v_and_b32_e32 v13, 7, v13
; %bb.962:                              ;   in Loop: Header=BB322_808 Depth=1
	s_or_b32 exec_lo, exec_lo, s16
	v_lshlrev_b32_e32 v0, 8, v103
	v_lshl_add_u32 v14, v101, 10, 0x2000
	s_delay_alu instid0(VALU_DEP_1) | instskip(NEXT) | instid1(VALU_DEP_1)
	v_and_or_b32 v0, 0x8000, v0, v14
	v_lshl_or_b32 v0, v13, 7, v0
	s_delay_alu instid0(VALU_DEP_1)
	v_cvt_f32_f16_e32 v101, v0
.LBB322_963:                            ;   in Loop: Header=BB322_808 Depth=1
	s_or_b32 exec_lo, exec_lo, s15
.LBB322_964:                            ;   in Loop: Header=BB322_808 Depth=1
	s_delay_alu instid0(SALU_CYCLE_1)
	s_or_b32 exec_lo, exec_lo, s13
.LBB322_965:                            ;   in Loop: Header=BB322_808 Depth=1
	s_delay_alu instid0(SALU_CYCLE_1) | instskip(NEXT) | instid1(SALU_CYCLE_1)
	s_or_b32 exec_lo, exec_lo, s12
	s_mov_b32 s12, exec_lo
	v_cmpx_lt_u32_e32 0xffffff, v11
	s_cbranch_execz .LBB322_973
; %bb.966:                              ;   in Loop: Header=BB322_808 Depth=1
	v_lshrrev_b32_e32 v103, 24, v11
	v_bfrev_b32_e32 v102, 1
	s_mov_b32 s13, exec_lo
	s_delay_alu instid0(VALU_DEP_2)
	v_cmpx_ne_u32_e32 0x80, v103
	s_cbranch_execz .LBB322_972
; %bb.967:                              ;   in Loop: Header=BB322_808 Depth=1
	v_and_b32_e32 v13, 0x7f, v103
	v_mov_b32_e32 v102, 0x7fc02000
	s_mov_b32 s15, exec_lo
	s_delay_alu instid0(VALU_DEP_2)
	v_cmpx_ne_u32_e32 0x7f, v13
	s_cbranch_execz .LBB322_971
; %bb.968:                              ;   in Loop: Header=BB322_808 Depth=1
	v_and_b32_e32 v0, 7, v103
	v_lshrrev_b32_e32 v102, 3, v13
	v_cmp_gt_u32_e64 s0, 8, v13
	s_delay_alu instid0(VALU_DEP_3) | instskip(NEXT) | instid1(VALU_DEP_2)
	v_dual_mov_b32 v14, v1 :: v_dual_mov_b32 v13, v0
	s_and_saveexec_b32 s16, s0
; %bb.969:                              ;   in Loop: Header=BB322_808 Depth=1
	v_clz_i32_u32_e32 v13, v0
	s_delay_alu instid0(VALU_DEP_1) | instskip(NEXT) | instid1(VALU_DEP_1)
	v_min_u32_e32 v102, 32, v13
	v_subrev_nc_u32_e32 v13, 28, v102
	v_sub_nc_u32_e32 v102, 29, v102
	s_delay_alu instid0(VALU_DEP_2) | instskip(NEXT) | instid1(VALU_DEP_1)
	v_lshlrev_b64 v[13:14], v13, v[0:1]
	v_and_b32_e32 v13, 7, v13
; %bb.970:                              ;   in Loop: Header=BB322_808 Depth=1
	s_or_b32 exec_lo, exec_lo, s16
	v_lshlrev_b32_e32 v0, 8, v103
	v_lshl_add_u32 v14, v102, 10, 0x2000
	s_delay_alu instid0(VALU_DEP_1) | instskip(NEXT) | instid1(VALU_DEP_1)
	v_and_or_b32 v0, 0x8000, v0, v14
	v_lshl_or_b32 v0, v13, 7, v0
	s_delay_alu instid0(VALU_DEP_1)
	v_cvt_f32_f16_e32 v102, v0
.LBB322_971:                            ;   in Loop: Header=BB322_808 Depth=1
	s_or_b32 exec_lo, exec_lo, s15
.LBB322_972:                            ;   in Loop: Header=BB322_808 Depth=1
	s_delay_alu instid0(SALU_CYCLE_1)
	s_or_b32 exec_lo, exec_lo, s13
.LBB322_973:                            ;   in Loop: Header=BB322_808 Depth=1
	s_delay_alu instid0(SALU_CYCLE_1) | instskip(SKIP_3) | instid1(VALU_DEP_2)
	s_or_b32 exec_lo, exec_lo, s12
	v_dual_mov_b32 v0, v12 :: v_dual_and_b32 v13, 0xff, v12
	v_dual_mov_b32 v112, 0 :: v_dual_mov_b32 v103, 0
	s_mov_b32 s12, exec_lo
	v_cmpx_ne_u16_e32 0, v13
	s_cbranch_execz .LBB322_981
; %bb.974:                              ;   in Loop: Header=BB322_808 Depth=1
	v_bfrev_b32_e32 v103, 1
	s_mov_b32 s13, exec_lo
	v_cmpx_ne_u16_e32 0x80, v13
	s_cbranch_execz .LBB322_980
; %bb.975:                              ;   in Loop: Header=BB322_808 Depth=1
	v_and_b32_e32 v13, 0x7f, v12
	v_mov_b32_e32 v103, 0x7fc02000
	s_mov_b32 s15, exec_lo
	s_delay_alu instid0(VALU_DEP_2)
	v_cmpx_ne_u32_e32 0x7f, v13
	s_cbranch_execz .LBB322_979
; %bb.976:                              ;   in Loop: Header=BB322_808 Depth=1
	v_lshrrev_b32_e32 v103, 3, v13
	v_cmp_gt_u32_e64 s0, 8, v13
	v_dual_mov_b32 v14, v1 :: v_dual_mov_b32 v13, v0
	s_delay_alu instid0(VALU_DEP_2)
	s_and_saveexec_b32 s16, s0
; %bb.977:                              ;   in Loop: Header=BB322_808 Depth=1
	v_and_b32_e32 v13, 7, v12
	s_delay_alu instid0(VALU_DEP_1) | instskip(NEXT) | instid1(VALU_DEP_1)
	v_clz_i32_u32_e32 v13, v13
	v_min_u32_e32 v103, 32, v13
	s_delay_alu instid0(VALU_DEP_1) | instskip(SKIP_1) | instid1(VALU_DEP_2)
	v_subrev_nc_u32_e32 v13, 28, v103
	v_sub_nc_u32_e32 v103, 29, v103
	v_lshlrev_b64 v[13:14], v13, v[0:1]
; %bb.978:                              ;   in Loop: Header=BB322_808 Depth=1
	s_or_b32 exec_lo, exec_lo, s16
	v_lshlrev_b32_e32 v14, 8, v12
	s_delay_alu instid0(VALU_DEP_3) | instskip(NEXT) | instid1(VALU_DEP_3)
	v_lshl_add_u32 v103, v103, 10, 0x2000
	v_lshlrev_b32_e32 v13, 7, v13
	s_delay_alu instid0(VALU_DEP_2) | instskip(NEXT) | instid1(VALU_DEP_1)
	v_and_or_b32 v14, 0x8000, v14, v103
	v_and_or_b32 v13, 0x380, v13, v14
	s_delay_alu instid0(VALU_DEP_1)
	v_cvt_f32_f16_e32 v103, v13
.LBB322_979:                            ;   in Loop: Header=BB322_808 Depth=1
	s_or_b32 exec_lo, exec_lo, s15
.LBB322_980:                            ;   in Loop: Header=BB322_808 Depth=1
	s_delay_alu instid0(SALU_CYCLE_1)
	s_or_b32 exec_lo, exec_lo, s13
.LBB322_981:                            ;   in Loop: Header=BB322_808 Depth=1
	s_delay_alu instid0(SALU_CYCLE_1) | instskip(SKIP_2) | instid1(VALU_DEP_1)
	s_or_b32 exec_lo, exec_lo, s12
	v_lshrrev_b16 v0, 8, v0
	s_mov_b32 s12, exec_lo
	v_cmpx_ne_u16_e32 0, v0
	s_cbranch_execz .LBB322_989
; %bb.982:                              ;   in Loop: Header=BB322_808 Depth=1
	v_bfrev_b32_e32 v112, 1
	s_mov_b32 s13, exec_lo
	v_cmpx_ne_u16_e32 0x80, v0
	s_cbranch_execz .LBB322_988
; %bb.983:                              ;   in Loop: Header=BB322_808 Depth=1
	v_and_b32_e32 v113, 0xffff, v0
	v_mov_b32_e32 v112, 0x7fc02000
	s_mov_b32 s15, exec_lo
	s_delay_alu instid0(VALU_DEP_2) | instskip(NEXT) | instid1(VALU_DEP_1)
	v_and_b32_e32 v13, 0x7f, v113
	v_cmpx_ne_u32_e32 0x7f, v13
	s_cbranch_execz .LBB322_987
; %bb.984:                              ;   in Loop: Header=BB322_808 Depth=1
	v_and_b32_e32 v0, 7, v113
	v_lshrrev_b32_e32 v112, 3, v13
	v_cmp_gt_u32_e64 s0, 8, v13
	s_delay_alu instid0(VALU_DEP_3) | instskip(NEXT) | instid1(VALU_DEP_2)
	v_dual_mov_b32 v14, v1 :: v_dual_mov_b32 v13, v0
	s_and_saveexec_b32 s16, s0
; %bb.985:                              ;   in Loop: Header=BB322_808 Depth=1
	v_clz_i32_u32_e32 v13, v0
	s_delay_alu instid0(VALU_DEP_1) | instskip(NEXT) | instid1(VALU_DEP_1)
	v_min_u32_e32 v112, 32, v13
	v_subrev_nc_u32_e32 v13, 28, v112
	v_sub_nc_u32_e32 v112, 29, v112
	s_delay_alu instid0(VALU_DEP_2) | instskip(NEXT) | instid1(VALU_DEP_1)
	v_lshlrev_b64 v[13:14], v13, v[0:1]
	v_and_b32_e32 v13, 7, v13
; %bb.986:                              ;   in Loop: Header=BB322_808 Depth=1
	s_or_b32 exec_lo, exec_lo, s16
	v_lshlrev_b32_e32 v0, 8, v113
	v_lshl_add_u32 v14, v112, 10, 0x2000
	s_delay_alu instid0(VALU_DEP_1) | instskip(NEXT) | instid1(VALU_DEP_1)
	v_and_or_b32 v0, 0x8000, v0, v14
	v_lshl_or_b32 v0, v13, 7, v0
	s_delay_alu instid0(VALU_DEP_1)
	v_cvt_f32_f16_e32 v112, v0
.LBB322_987:                            ;   in Loop: Header=BB322_808 Depth=1
	s_or_b32 exec_lo, exec_lo, s15
.LBB322_988:                            ;   in Loop: Header=BB322_808 Depth=1
	s_delay_alu instid0(SALU_CYCLE_1)
	s_or_b32 exec_lo, exec_lo, s13
.LBB322_989:                            ;   in Loop: Header=BB322_808 Depth=1
	s_delay_alu instid0(SALU_CYCLE_1) | instskip(SKIP_3) | instid1(VALU_DEP_2)
	s_or_b32 exec_lo, exec_lo, s12
	v_lshrrev_b32_e32 v114, 16, v12
	v_mov_b32_e32 v13, 0
	s_mov_b32 s12, exec_lo
	v_dual_mov_b32 v113, 0 :: v_dual_and_b32 v0, 0xff, v114
	s_delay_alu instid0(VALU_DEP_1)
	v_cmpx_ne_u16_e32 0, v0
	s_cbranch_execz .LBB322_997
; %bb.990:                              ;   in Loop: Header=BB322_808 Depth=1
	v_bfrev_b32_e32 v13, 1
	s_mov_b32 s13, exec_lo
	v_cmpx_ne_u16_e32 0x80, v0
	s_cbranch_execz .LBB322_996
; %bb.991:                              ;   in Loop: Header=BB322_808 Depth=1
	v_bfe_u32 v14, v12, 16, 7
	v_mov_b32_e32 v13, 0x7fc02000
	s_mov_b32 s15, exec_lo
	s_delay_alu instid0(VALU_DEP_2)
	v_cmpx_ne_u32_e32 0x7f, v14
	s_cbranch_execz .LBB322_995
; %bb.992:                              ;   in Loop: Header=BB322_808 Depth=1
	v_and_b32_e32 v0, 7, v114
	v_lshrrev_b32_e32 v115, 3, v14
	v_cmp_gt_u32_e64 s0, 8, v14
	s_delay_alu instid0(VALU_DEP_3) | instskip(NEXT) | instid1(VALU_DEP_2)
	v_dual_mov_b32 v14, v1 :: v_dual_mov_b32 v13, v0
	s_and_saveexec_b32 s16, s0
; %bb.993:                              ;   in Loop: Header=BB322_808 Depth=1
	v_clz_i32_u32_e32 v13, v0
	s_delay_alu instid0(VALU_DEP_1) | instskip(NEXT) | instid1(VALU_DEP_1)
	v_min_u32_e32 v115, 32, v13
	v_subrev_nc_u32_e32 v13, 28, v115
	v_sub_nc_u32_e32 v115, 29, v115
	s_delay_alu instid0(VALU_DEP_2) | instskip(NEXT) | instid1(VALU_DEP_1)
	v_lshlrev_b64 v[13:14], v13, v[0:1]
	v_and_b32_e32 v13, 7, v13
; %bb.994:                              ;   in Loop: Header=BB322_808 Depth=1
	s_or_b32 exec_lo, exec_lo, s16
	v_lshlrev_b32_e32 v0, 8, v114
	v_lshl_add_u32 v14, v115, 10, 0x2000
	s_delay_alu instid0(VALU_DEP_1) | instskip(NEXT) | instid1(VALU_DEP_1)
	v_and_or_b32 v0, 0x8000, v0, v14
	v_lshl_or_b32 v0, v13, 7, v0
	s_delay_alu instid0(VALU_DEP_1)
	v_cvt_f32_f16_e32 v13, v0
.LBB322_995:                            ;   in Loop: Header=BB322_808 Depth=1
	s_or_b32 exec_lo, exec_lo, s15
.LBB322_996:                            ;   in Loop: Header=BB322_808 Depth=1
	s_delay_alu instid0(SALU_CYCLE_1)
	s_or_b32 exec_lo, exec_lo, s13
.LBB322_997:                            ;   in Loop: Header=BB322_808 Depth=1
	s_delay_alu instid0(SALU_CYCLE_1) | instskip(NEXT) | instid1(SALU_CYCLE_1)
	s_or_b32 exec_lo, exec_lo, s12
	s_mov_b32 s12, exec_lo
	v_cmpx_lt_u64_e64 s[8:9], v[11:12]
	s_cbranch_execz .LBB322_1005
; %bb.998:                              ;   in Loop: Header=BB322_808 Depth=1
	v_lshrrev_b32_e32 v14, 24, v12
	v_bfrev_b32_e32 v113, 1
	s_mov_b32 s13, exec_lo
	s_delay_alu instid0(VALU_DEP_2)
	v_cmpx_ne_u32_e32 0x80, v14
	s_cbranch_execz .LBB322_1004
; %bb.999:                              ;   in Loop: Header=BB322_808 Depth=1
	v_and_b32_e32 v11, 0x7f, v14
	v_mov_b32_e32 v113, 0x7fc02000
	s_mov_b32 s15, exec_lo
	s_delay_alu instid0(VALU_DEP_2)
	v_cmpx_ne_u32_e32 0x7f, v11
	s_cbranch_execz .LBB322_1003
; %bb.1000:                             ;   in Loop: Header=BB322_808 Depth=1
	v_and_b32_e32 v0, 7, v14
	v_lshrrev_b32_e32 v113, 3, v11
	v_cmp_gt_u32_e64 s0, 8, v11
	s_delay_alu instid0(VALU_DEP_3) | instskip(NEXT) | instid1(VALU_DEP_2)
	v_dual_mov_b32 v12, v1 :: v_dual_mov_b32 v11, v0
	s_and_saveexec_b32 s16, s0
; %bb.1001:                             ;   in Loop: Header=BB322_808 Depth=1
	v_clz_i32_u32_e32 v11, v0
	s_delay_alu instid0(VALU_DEP_1) | instskip(NEXT) | instid1(VALU_DEP_1)
	v_min_u32_e32 v113, 32, v11
	v_subrev_nc_u32_e32 v11, 28, v113
	v_sub_nc_u32_e32 v113, 29, v113
	s_delay_alu instid0(VALU_DEP_2) | instskip(NEXT) | instid1(VALU_DEP_1)
	v_lshlrev_b64 v[11:12], v11, v[0:1]
	v_and_b32_e32 v11, 7, v11
; %bb.1002:                             ;   in Loop: Header=BB322_808 Depth=1
	s_or_b32 exec_lo, exec_lo, s16
	v_lshlrev_b32_e32 v0, 8, v14
	v_lshl_add_u32 v12, v113, 10, 0x2000
	s_delay_alu instid0(VALU_DEP_1) | instskip(NEXT) | instid1(VALU_DEP_1)
	v_and_or_b32 v0, 0x8000, v0, v12
	v_lshl_or_b32 v0, v11, 7, v0
	s_delay_alu instid0(VALU_DEP_1)
	v_cvt_f32_f16_e32 v113, v0
.LBB322_1003:                           ;   in Loop: Header=BB322_808 Depth=1
	s_or_b32 exec_lo, exec_lo, s15
.LBB322_1004:                           ;   in Loop: Header=BB322_808 Depth=1
	s_delay_alu instid0(SALU_CYCLE_1)
	s_or_b32 exec_lo, exec_lo, s13
.LBB322_1005:                           ;   in Loop: Header=BB322_808 Depth=1
	s_delay_alu instid0(SALU_CYCLE_1)
	s_or_b32 exec_lo, exec_lo, s12
	s_waitcnt vmcnt(0) lgkmcnt(0)
	v_fma_mixlo_f16 v12, v98, v100, 0
	v_fma_mixlo_f16 v0, v98, v102, 0
	;; [unrolled: 1-line block ×5, first 2 shown]
	v_lshlrev_b32_e32 v14, 16, v12
	v_fma_mixlo_f16 v101, v98, v103, 0
	v_fma_mixlo_f16 v102, v98, v113, 0
	;; [unrolled: 1-line block ×3, first 2 shown]
	v_lshlrev_b32_e32 v0, 16, v0
	v_and_b32_e32 v11, 0xffff, v11
	v_and_b32_e32 v98, 0xffff, v99
	v_lshlrev_b32_e32 v99, 16, v100
	v_and_b32_e32 v100, 0xffff, v101
	v_lshlrev_b32_e32 v101, 16, v102
	v_and_b32_e32 v102, 0xffff, v12
	v_or_b32_e32 v13, v0, v11
	v_or_b32_e32 v14, v14, v98
	;; [unrolled: 1-line block ×3, first 2 shown]
	s_delay_alu instid0(VALU_DEP_4)
	v_or_b32_e32 v11, v101, v102
	s_and_saveexec_b32 s12, vcc_lo
	s_cbranch_execz .LBB322_1007
; %bb.1006:                             ;   in Loop: Header=BB322_808 Depth=1
	v_cmp_lt_i32_e64 s0, v18, v37
	v_lshrrev_b32_e32 v98, 16, v14
	v_lshrrev_b32_e32 v99, 16, v13
	;; [unrolled: 1-line block ×4, first 2 shown]
	v_cndmask_b32_e64 v14, 0, v14, s0
	v_cmp_lt_i32_e64 s0, v84, v53
	s_delay_alu instid0(VALU_DEP_1) | instskip(SKIP_1) | instid1(VALU_DEP_2)
	v_cndmask_b32_e64 v98, 0, v98, s0
	v_cmp_lt_i32_e64 s0, v83, v53
	v_perm_b32 v14, v98, v14, 0x5040100
	s_delay_alu instid0(VALU_DEP_2) | instskip(SKIP_1) | instid1(VALU_DEP_1)
	v_cndmask_b32_e64 v99, 0, v99, s0
	v_cmp_lt_i32_e64 s0, v71, v37
	v_cndmask_b32_e64 v13, 0, v13, s0
	v_cmp_lt_i32_e64 s0, v70, v53
	s_delay_alu instid0(VALU_DEP_2) | instskip(NEXT) | instid1(VALU_DEP_2)
	v_perm_b32 v13, v99, v13, 0x5040100
	v_cndmask_b32_e64 v100, 0, v100, s0
	v_cmp_lt_i32_e64 s0, v69, v37
	s_delay_alu instid0(VALU_DEP_1) | instskip(SKIP_1) | instid1(VALU_DEP_2)
	v_cndmask_b32_e64 v0, 0, v0, s0
	v_cmp_lt_i32_e64 s0, v64, v53
	v_perm_b32 v0, v100, v0, 0x5040100
	s_delay_alu instid0(VALU_DEP_2) | instskip(SKIP_1) | instid1(VALU_DEP_1)
	v_cndmask_b32_e64 v11, 0, v11, s0
	v_cmp_lt_i32_e64 s0, v19, v37
	v_cndmask_b32_e64 v12, 0, v12, s0
	s_delay_alu instid0(VALU_DEP_1)
	v_perm_b32 v11, v11, v12, 0x5040100
.LBB322_1007:                           ;   in Loop: Header=BB322_808 Depth=1
	s_or_b32 exec_lo, exec_lo, s12
	;;#ASMSTART
	v_pk_mul_f16 v12, v87, v14;

	;;#ASMEND
	;;#ASMSTART
	v_pk_mul_f16 v13, v86, v13;

	;;#ASMEND
	;; [unrolled: 4-line block ×4, first 2 shown]
	;;#ASMSTART
	v_pk_add_f16 v12, v12, v13;

	;;#ASMEND
	;;#ASMSTART
	v_pk_add_f16 v0, v12, v0;

	;;#ASMEND
	;; [unrolled: 4-line block ×3, first 2 shown]
	v_dual_mov_b32 v102, 0 :: v_dual_and_b32 v11, 0xffff, v0
	v_lshrrev_b32_e32 v0, 16, v0
	;;#ASMSTART
	v_cvt_f32_f16 v98, v11;
	;;#ASMEND
	;;#ASMSTART
	v_cvt_f32_f16 v99, v0;
	;;#ASMEND
	flat_load_b64 v[11:12], v[9:10] offset:768
	flat_load_b32 v100, v[26:27]
	s_mov_b32 s12, exec_lo
	s_waitcnt vmcnt(1) lgkmcnt(1)
	v_dual_mov_b32 v101, 0 :: v_dual_and_b32 v0, 0xff, v11
	s_delay_alu instid0(VALU_DEP_1)
	v_cmpx_ne_u16_e32 0, v0
	s_cbranch_execz .LBB322_1015
; %bb.1008:                             ;   in Loop: Header=BB322_808 Depth=1
	v_bfrev_b32_e32 v101, 1
	s_mov_b32 s13, exec_lo
	v_cmpx_ne_u16_e32 0x80, v0
	s_cbranch_execz .LBB322_1014
; %bb.1009:                             ;   in Loop: Header=BB322_808 Depth=1
	v_and_b32_e32 v13, 0x7f, v11
	v_mov_b32_e32 v101, 0x7fc02000
	s_mov_b32 s15, exec_lo
	s_delay_alu instid0(VALU_DEP_2)
	v_cmpx_ne_u32_e32 0x7f, v13
	s_cbranch_execz .LBB322_1013
; %bb.1010:                             ;   in Loop: Header=BB322_808 Depth=1
	v_lshrrev_b32_e32 v0, 3, v13
	v_cmp_gt_u32_e64 s0, 8, v13
	v_dual_mov_b32 v14, v12 :: v_dual_mov_b32 v13, v11
	s_delay_alu instid0(VALU_DEP_2)
	s_and_saveexec_b32 s16, s0
; %bb.1011:                             ;   in Loop: Header=BB322_808 Depth=1
	v_and_b32_e32 v0, 7, v11
	s_delay_alu instid0(VALU_DEP_1) | instskip(NEXT) | instid1(VALU_DEP_1)
	v_clz_i32_u32_e32 v0, v0
	v_min_u32_e32 v0, 32, v0
	s_delay_alu instid0(VALU_DEP_1) | instskip(SKIP_1) | instid1(VALU_DEP_2)
	v_subrev_nc_u32_e32 v13, 28, v0
	v_sub_nc_u32_e32 v0, 29, v0
	v_lshlrev_b64 v[13:14], v13, v[11:12]
; %bb.1012:                             ;   in Loop: Header=BB322_808 Depth=1
	s_or_b32 exec_lo, exec_lo, s16
	v_lshlrev_b32_e32 v14, 8, v11
	s_delay_alu instid0(VALU_DEP_3) | instskip(NEXT) | instid1(VALU_DEP_3)
	v_lshl_add_u32 v0, v0, 10, 0x2000
	v_lshlrev_b32_e32 v13, 7, v13
	s_delay_alu instid0(VALU_DEP_2) | instskip(NEXT) | instid1(VALU_DEP_1)
	v_and_or_b32 v0, 0x8000, v14, v0
	v_and_or_b32 v0, 0x380, v13, v0
	s_delay_alu instid0(VALU_DEP_1)
	v_cvt_f32_f16_e32 v101, v0
.LBB322_1013:                           ;   in Loop: Header=BB322_808 Depth=1
	s_or_b32 exec_lo, exec_lo, s15
.LBB322_1014:                           ;   in Loop: Header=BB322_808 Depth=1
	s_delay_alu instid0(SALU_CYCLE_1)
	s_or_b32 exec_lo, exec_lo, s13
.LBB322_1015:                           ;   in Loop: Header=BB322_808 Depth=1
	s_delay_alu instid0(SALU_CYCLE_1) | instskip(SKIP_2) | instid1(VALU_DEP_1)
	s_or_b32 exec_lo, exec_lo, s12
	v_lshrrev_b16 v0, 8, v11
	s_mov_b32 s12, exec_lo
	v_cmpx_ne_u16_e32 0, v0
	s_cbranch_execz .LBB322_1023
; %bb.1016:                             ;   in Loop: Header=BB322_808 Depth=1
	v_bfrev_b32_e32 v102, 1
	s_mov_b32 s13, exec_lo
	v_cmpx_ne_u16_e32 0x80, v0
	s_cbranch_execz .LBB322_1022
; %bb.1017:                             ;   in Loop: Header=BB322_808 Depth=1
	v_and_b32_e32 v103, 0xffff, v0
	v_mov_b32_e32 v102, 0x7fc02000
	s_mov_b32 s15, exec_lo
	s_delay_alu instid0(VALU_DEP_2) | instskip(NEXT) | instid1(VALU_DEP_1)
	v_and_b32_e32 v13, 0x7f, v103
	v_cmpx_ne_u32_e32 0x7f, v13
	s_cbranch_execz .LBB322_1021
; %bb.1018:                             ;   in Loop: Header=BB322_808 Depth=1
	v_and_b32_e32 v0, 7, v103
	v_lshrrev_b32_e32 v102, 3, v13
	v_cmp_gt_u32_e64 s0, 8, v13
	s_delay_alu instid0(VALU_DEP_3) | instskip(NEXT) | instid1(VALU_DEP_2)
	v_dual_mov_b32 v14, v1 :: v_dual_mov_b32 v13, v0
	s_and_saveexec_b32 s16, s0
; %bb.1019:                             ;   in Loop: Header=BB322_808 Depth=1
	v_clz_i32_u32_e32 v13, v0
	s_delay_alu instid0(VALU_DEP_1) | instskip(NEXT) | instid1(VALU_DEP_1)
	v_min_u32_e32 v102, 32, v13
	v_subrev_nc_u32_e32 v13, 28, v102
	v_sub_nc_u32_e32 v102, 29, v102
	s_delay_alu instid0(VALU_DEP_2) | instskip(NEXT) | instid1(VALU_DEP_1)
	v_lshlrev_b64 v[13:14], v13, v[0:1]
	v_and_b32_e32 v13, 7, v13
; %bb.1020:                             ;   in Loop: Header=BB322_808 Depth=1
	s_or_b32 exec_lo, exec_lo, s16
	v_lshlrev_b32_e32 v0, 8, v103
	v_lshl_add_u32 v14, v102, 10, 0x2000
	s_delay_alu instid0(VALU_DEP_1) | instskip(NEXT) | instid1(VALU_DEP_1)
	v_and_or_b32 v0, 0x8000, v0, v14
	v_lshl_or_b32 v0, v13, 7, v0
	s_delay_alu instid0(VALU_DEP_1)
	v_cvt_f32_f16_e32 v102, v0
.LBB322_1021:                           ;   in Loop: Header=BB322_808 Depth=1
	s_or_b32 exec_lo, exec_lo, s15
.LBB322_1022:                           ;   in Loop: Header=BB322_808 Depth=1
	s_delay_alu instid0(SALU_CYCLE_1)
	s_or_b32 exec_lo, exec_lo, s13
.LBB322_1023:                           ;   in Loop: Header=BB322_808 Depth=1
	s_delay_alu instid0(SALU_CYCLE_1) | instskip(SKIP_3) | instid1(VALU_DEP_2)
	s_or_b32 exec_lo, exec_lo, s12
	v_lshrrev_b32_e32 v113, 16, v11
	v_mov_b32_e32 v112, 0
	s_mov_b32 s12, exec_lo
	v_dual_mov_b32 v103, 0 :: v_dual_and_b32 v0, 0xff, v113
	s_delay_alu instid0(VALU_DEP_1)
	v_cmpx_ne_u16_e32 0, v0
	s_cbranch_execz .LBB322_1031
; %bb.1024:                             ;   in Loop: Header=BB322_808 Depth=1
	v_bfrev_b32_e32 v103, 1
	s_mov_b32 s13, exec_lo
	v_cmpx_ne_u16_e32 0x80, v0
	s_cbranch_execz .LBB322_1030
; %bb.1025:                             ;   in Loop: Header=BB322_808 Depth=1
	v_bfe_u32 v13, v11, 16, 7
	v_mov_b32_e32 v103, 0x7fc02000
	s_mov_b32 s15, exec_lo
	s_delay_alu instid0(VALU_DEP_2)
	v_cmpx_ne_u32_e32 0x7f, v13
	s_cbranch_execz .LBB322_1029
; %bb.1026:                             ;   in Loop: Header=BB322_808 Depth=1
	v_and_b32_e32 v0, 7, v113
	v_lshrrev_b32_e32 v103, 3, v13
	v_cmp_gt_u32_e64 s0, 8, v13
	s_delay_alu instid0(VALU_DEP_3) | instskip(NEXT) | instid1(VALU_DEP_2)
	v_dual_mov_b32 v14, v1 :: v_dual_mov_b32 v13, v0
	s_and_saveexec_b32 s16, s0
; %bb.1027:                             ;   in Loop: Header=BB322_808 Depth=1
	v_clz_i32_u32_e32 v13, v0
	s_delay_alu instid0(VALU_DEP_1) | instskip(NEXT) | instid1(VALU_DEP_1)
	v_min_u32_e32 v103, 32, v13
	v_subrev_nc_u32_e32 v13, 28, v103
	v_sub_nc_u32_e32 v103, 29, v103
	s_delay_alu instid0(VALU_DEP_2) | instskip(NEXT) | instid1(VALU_DEP_1)
	v_lshlrev_b64 v[13:14], v13, v[0:1]
	v_and_b32_e32 v13, 7, v13
; %bb.1028:                             ;   in Loop: Header=BB322_808 Depth=1
	s_or_b32 exec_lo, exec_lo, s16
	v_lshlrev_b32_e32 v0, 8, v113
	v_lshl_add_u32 v14, v103, 10, 0x2000
	s_delay_alu instid0(VALU_DEP_1) | instskip(NEXT) | instid1(VALU_DEP_1)
	v_and_or_b32 v0, 0x8000, v0, v14
	v_lshl_or_b32 v0, v13, 7, v0
	s_delay_alu instid0(VALU_DEP_1)
	v_cvt_f32_f16_e32 v103, v0
.LBB322_1029:                           ;   in Loop: Header=BB322_808 Depth=1
	s_or_b32 exec_lo, exec_lo, s15
.LBB322_1030:                           ;   in Loop: Header=BB322_808 Depth=1
	s_delay_alu instid0(SALU_CYCLE_1)
	s_or_b32 exec_lo, exec_lo, s13
.LBB322_1031:                           ;   in Loop: Header=BB322_808 Depth=1
	s_delay_alu instid0(SALU_CYCLE_1) | instskip(NEXT) | instid1(SALU_CYCLE_1)
	s_or_b32 exec_lo, exec_lo, s12
	s_mov_b32 s12, exec_lo
	v_cmpx_lt_u32_e32 0xffffff, v11
	s_cbranch_execz .LBB322_1039
; %bb.1032:                             ;   in Loop: Header=BB322_808 Depth=1
	v_lshrrev_b32_e32 v113, 24, v11
	v_bfrev_b32_e32 v112, 1
	s_mov_b32 s13, exec_lo
	s_delay_alu instid0(VALU_DEP_2)
	v_cmpx_ne_u32_e32 0x80, v113
	s_cbranch_execz .LBB322_1038
; %bb.1033:                             ;   in Loop: Header=BB322_808 Depth=1
	v_and_b32_e32 v13, 0x7f, v113
	v_mov_b32_e32 v112, 0x7fc02000
	s_mov_b32 s15, exec_lo
	s_delay_alu instid0(VALU_DEP_2)
	v_cmpx_ne_u32_e32 0x7f, v13
	s_cbranch_execz .LBB322_1037
; %bb.1034:                             ;   in Loop: Header=BB322_808 Depth=1
	v_and_b32_e32 v0, 7, v113
	v_lshrrev_b32_e32 v112, 3, v13
	v_cmp_gt_u32_e64 s0, 8, v13
	s_delay_alu instid0(VALU_DEP_3) | instskip(NEXT) | instid1(VALU_DEP_2)
	v_dual_mov_b32 v14, v1 :: v_dual_mov_b32 v13, v0
	s_and_saveexec_b32 s16, s0
; %bb.1035:                             ;   in Loop: Header=BB322_808 Depth=1
	v_clz_i32_u32_e32 v13, v0
	s_delay_alu instid0(VALU_DEP_1) | instskip(NEXT) | instid1(VALU_DEP_1)
	v_min_u32_e32 v112, 32, v13
	v_subrev_nc_u32_e32 v13, 28, v112
	v_sub_nc_u32_e32 v112, 29, v112
	s_delay_alu instid0(VALU_DEP_2) | instskip(NEXT) | instid1(VALU_DEP_1)
	v_lshlrev_b64 v[13:14], v13, v[0:1]
	v_and_b32_e32 v13, 7, v13
; %bb.1036:                             ;   in Loop: Header=BB322_808 Depth=1
	s_or_b32 exec_lo, exec_lo, s16
	v_lshlrev_b32_e32 v0, 8, v113
	v_lshl_add_u32 v14, v112, 10, 0x2000
	s_delay_alu instid0(VALU_DEP_1) | instskip(NEXT) | instid1(VALU_DEP_1)
	v_and_or_b32 v0, 0x8000, v0, v14
	v_lshl_or_b32 v0, v13, 7, v0
	s_delay_alu instid0(VALU_DEP_1)
	v_cvt_f32_f16_e32 v112, v0
.LBB322_1037:                           ;   in Loop: Header=BB322_808 Depth=1
	s_or_b32 exec_lo, exec_lo, s15
.LBB322_1038:                           ;   in Loop: Header=BB322_808 Depth=1
	s_delay_alu instid0(SALU_CYCLE_1)
	s_or_b32 exec_lo, exec_lo, s13
.LBB322_1039:                           ;   in Loop: Header=BB322_808 Depth=1
	s_delay_alu instid0(SALU_CYCLE_1) | instskip(SKIP_3) | instid1(VALU_DEP_2)
	s_or_b32 exec_lo, exec_lo, s12
	v_dual_mov_b32 v0, v12 :: v_dual_and_b32 v13, 0xff, v12
	v_dual_mov_b32 v114, 0 :: v_dual_mov_b32 v113, 0
	s_mov_b32 s12, exec_lo
	v_cmpx_ne_u16_e32 0, v13
	s_cbranch_execz .LBB322_1047
; %bb.1040:                             ;   in Loop: Header=BB322_808 Depth=1
	v_bfrev_b32_e32 v113, 1
	s_mov_b32 s13, exec_lo
	v_cmpx_ne_u16_e32 0x80, v13
	s_cbranch_execz .LBB322_1046
; %bb.1041:                             ;   in Loop: Header=BB322_808 Depth=1
	v_and_b32_e32 v13, 0x7f, v12
	v_mov_b32_e32 v113, 0x7fc02000
	s_mov_b32 s15, exec_lo
	s_delay_alu instid0(VALU_DEP_2)
	v_cmpx_ne_u32_e32 0x7f, v13
	s_cbranch_execz .LBB322_1045
; %bb.1042:                             ;   in Loop: Header=BB322_808 Depth=1
	v_lshrrev_b32_e32 v113, 3, v13
	v_cmp_gt_u32_e64 s0, 8, v13
	v_dual_mov_b32 v14, v1 :: v_dual_mov_b32 v13, v0
	s_delay_alu instid0(VALU_DEP_2)
	s_and_saveexec_b32 s16, s0
; %bb.1043:                             ;   in Loop: Header=BB322_808 Depth=1
	v_and_b32_e32 v13, 7, v12
	s_delay_alu instid0(VALU_DEP_1) | instskip(NEXT) | instid1(VALU_DEP_1)
	v_clz_i32_u32_e32 v13, v13
	v_min_u32_e32 v113, 32, v13
	s_delay_alu instid0(VALU_DEP_1) | instskip(SKIP_1) | instid1(VALU_DEP_2)
	v_subrev_nc_u32_e32 v13, 28, v113
	v_sub_nc_u32_e32 v113, 29, v113
	v_lshlrev_b64 v[13:14], v13, v[0:1]
; %bb.1044:                             ;   in Loop: Header=BB322_808 Depth=1
	s_or_b32 exec_lo, exec_lo, s16
	v_lshlrev_b32_e32 v14, 8, v12
	s_delay_alu instid0(VALU_DEP_3) | instskip(NEXT) | instid1(VALU_DEP_3)
	v_lshl_add_u32 v113, v113, 10, 0x2000
	v_lshlrev_b32_e32 v13, 7, v13
	s_delay_alu instid0(VALU_DEP_2) | instskip(NEXT) | instid1(VALU_DEP_1)
	v_and_or_b32 v14, 0x8000, v14, v113
	v_and_or_b32 v13, 0x380, v13, v14
	s_delay_alu instid0(VALU_DEP_1)
	v_cvt_f32_f16_e32 v113, v13
.LBB322_1045:                           ;   in Loop: Header=BB322_808 Depth=1
	s_or_b32 exec_lo, exec_lo, s15
.LBB322_1046:                           ;   in Loop: Header=BB322_808 Depth=1
	s_delay_alu instid0(SALU_CYCLE_1)
	s_or_b32 exec_lo, exec_lo, s13
.LBB322_1047:                           ;   in Loop: Header=BB322_808 Depth=1
	s_delay_alu instid0(SALU_CYCLE_1) | instskip(SKIP_2) | instid1(VALU_DEP_1)
	s_or_b32 exec_lo, exec_lo, s12
	v_lshrrev_b16 v0, 8, v0
	s_mov_b32 s12, exec_lo
	v_cmpx_ne_u16_e32 0, v0
	s_cbranch_execz .LBB322_1055
; %bb.1048:                             ;   in Loop: Header=BB322_808 Depth=1
	v_bfrev_b32_e32 v114, 1
	s_mov_b32 s13, exec_lo
	v_cmpx_ne_u16_e32 0x80, v0
	s_cbranch_execz .LBB322_1054
; %bb.1049:                             ;   in Loop: Header=BB322_808 Depth=1
	v_and_b32_e32 v115, 0xffff, v0
	v_mov_b32_e32 v114, 0x7fc02000
	s_mov_b32 s15, exec_lo
	s_delay_alu instid0(VALU_DEP_2) | instskip(NEXT) | instid1(VALU_DEP_1)
	v_and_b32_e32 v13, 0x7f, v115
	v_cmpx_ne_u32_e32 0x7f, v13
	s_cbranch_execz .LBB322_1053
; %bb.1050:                             ;   in Loop: Header=BB322_808 Depth=1
	v_and_b32_e32 v0, 7, v115
	v_lshrrev_b32_e32 v114, 3, v13
	v_cmp_gt_u32_e64 s0, 8, v13
	s_delay_alu instid0(VALU_DEP_3) | instskip(NEXT) | instid1(VALU_DEP_2)
	v_dual_mov_b32 v14, v1 :: v_dual_mov_b32 v13, v0
	s_and_saveexec_b32 s16, s0
; %bb.1051:                             ;   in Loop: Header=BB322_808 Depth=1
	v_clz_i32_u32_e32 v13, v0
	s_delay_alu instid0(VALU_DEP_1) | instskip(NEXT) | instid1(VALU_DEP_1)
	v_min_u32_e32 v114, 32, v13
	v_subrev_nc_u32_e32 v13, 28, v114
	v_sub_nc_u32_e32 v114, 29, v114
	s_delay_alu instid0(VALU_DEP_2) | instskip(NEXT) | instid1(VALU_DEP_1)
	v_lshlrev_b64 v[13:14], v13, v[0:1]
	v_and_b32_e32 v13, 7, v13
; %bb.1052:                             ;   in Loop: Header=BB322_808 Depth=1
	s_or_b32 exec_lo, exec_lo, s16
	v_lshlrev_b32_e32 v0, 8, v115
	v_lshl_add_u32 v14, v114, 10, 0x2000
	s_delay_alu instid0(VALU_DEP_1) | instskip(NEXT) | instid1(VALU_DEP_1)
	v_and_or_b32 v0, 0x8000, v0, v14
	v_lshl_or_b32 v0, v13, 7, v0
	s_delay_alu instid0(VALU_DEP_1)
	v_cvt_f32_f16_e32 v114, v0
.LBB322_1053:                           ;   in Loop: Header=BB322_808 Depth=1
	s_or_b32 exec_lo, exec_lo, s15
.LBB322_1054:                           ;   in Loop: Header=BB322_808 Depth=1
	s_delay_alu instid0(SALU_CYCLE_1)
	s_or_b32 exec_lo, exec_lo, s13
.LBB322_1055:                           ;   in Loop: Header=BB322_808 Depth=1
	s_delay_alu instid0(SALU_CYCLE_1) | instskip(SKIP_3) | instid1(VALU_DEP_2)
	s_or_b32 exec_lo, exec_lo, s12
	v_lshrrev_b32_e32 v116, 16, v12
	v_mov_b32_e32 v13, 0
	s_mov_b32 s12, exec_lo
	v_dual_mov_b32 v115, 0 :: v_dual_and_b32 v0, 0xff, v116
	s_delay_alu instid0(VALU_DEP_1)
	v_cmpx_ne_u16_e32 0, v0
	s_cbranch_execz .LBB322_1063
; %bb.1056:                             ;   in Loop: Header=BB322_808 Depth=1
	v_bfrev_b32_e32 v13, 1
	s_mov_b32 s13, exec_lo
	v_cmpx_ne_u16_e32 0x80, v0
	s_cbranch_execz .LBB322_1062
; %bb.1057:                             ;   in Loop: Header=BB322_808 Depth=1
	v_bfe_u32 v14, v12, 16, 7
	v_mov_b32_e32 v13, 0x7fc02000
	s_mov_b32 s15, exec_lo
	s_delay_alu instid0(VALU_DEP_2)
	v_cmpx_ne_u32_e32 0x7f, v14
	s_cbranch_execz .LBB322_1061
; %bb.1058:                             ;   in Loop: Header=BB322_808 Depth=1
	v_and_b32_e32 v0, 7, v116
	v_lshrrev_b32_e32 v117, 3, v14
	v_cmp_gt_u32_e64 s0, 8, v14
	s_delay_alu instid0(VALU_DEP_3) | instskip(NEXT) | instid1(VALU_DEP_2)
	v_dual_mov_b32 v14, v1 :: v_dual_mov_b32 v13, v0
	s_and_saveexec_b32 s16, s0
; %bb.1059:                             ;   in Loop: Header=BB322_808 Depth=1
	v_clz_i32_u32_e32 v13, v0
	s_delay_alu instid0(VALU_DEP_1) | instskip(NEXT) | instid1(VALU_DEP_1)
	v_min_u32_e32 v117, 32, v13
	v_subrev_nc_u32_e32 v13, 28, v117
	v_sub_nc_u32_e32 v117, 29, v117
	s_delay_alu instid0(VALU_DEP_2) | instskip(NEXT) | instid1(VALU_DEP_1)
	v_lshlrev_b64 v[13:14], v13, v[0:1]
	v_and_b32_e32 v13, 7, v13
; %bb.1060:                             ;   in Loop: Header=BB322_808 Depth=1
	s_or_b32 exec_lo, exec_lo, s16
	v_lshlrev_b32_e32 v0, 8, v116
	v_lshl_add_u32 v14, v117, 10, 0x2000
	s_delay_alu instid0(VALU_DEP_1) | instskip(NEXT) | instid1(VALU_DEP_1)
	v_and_or_b32 v0, 0x8000, v0, v14
	v_lshl_or_b32 v0, v13, 7, v0
	s_delay_alu instid0(VALU_DEP_1)
	v_cvt_f32_f16_e32 v13, v0
.LBB322_1061:                           ;   in Loop: Header=BB322_808 Depth=1
	s_or_b32 exec_lo, exec_lo, s15
.LBB322_1062:                           ;   in Loop: Header=BB322_808 Depth=1
	s_delay_alu instid0(SALU_CYCLE_1)
	s_or_b32 exec_lo, exec_lo, s13
.LBB322_1063:                           ;   in Loop: Header=BB322_808 Depth=1
	s_delay_alu instid0(SALU_CYCLE_1) | instskip(NEXT) | instid1(SALU_CYCLE_1)
	s_or_b32 exec_lo, exec_lo, s12
	s_mov_b32 s12, exec_lo
	v_cmpx_lt_u64_e64 s[8:9], v[11:12]
	s_cbranch_execz .LBB322_1071
; %bb.1064:                             ;   in Loop: Header=BB322_808 Depth=1
	v_lshrrev_b32_e32 v14, 24, v12
	v_bfrev_b32_e32 v115, 1
	s_mov_b32 s13, exec_lo
	s_delay_alu instid0(VALU_DEP_2)
	v_cmpx_ne_u32_e32 0x80, v14
	s_cbranch_execz .LBB322_1070
; %bb.1065:                             ;   in Loop: Header=BB322_808 Depth=1
	v_and_b32_e32 v11, 0x7f, v14
	v_mov_b32_e32 v115, 0x7fc02000
	s_mov_b32 s15, exec_lo
	s_delay_alu instid0(VALU_DEP_2)
	v_cmpx_ne_u32_e32 0x7f, v11
	s_cbranch_execz .LBB322_1069
; %bb.1066:                             ;   in Loop: Header=BB322_808 Depth=1
	v_and_b32_e32 v0, 7, v14
	v_lshrrev_b32_e32 v115, 3, v11
	v_cmp_gt_u32_e64 s0, 8, v11
	s_delay_alu instid0(VALU_DEP_3) | instskip(NEXT) | instid1(VALU_DEP_2)
	v_dual_mov_b32 v12, v1 :: v_dual_mov_b32 v11, v0
	s_and_saveexec_b32 s16, s0
; %bb.1067:                             ;   in Loop: Header=BB322_808 Depth=1
	v_clz_i32_u32_e32 v11, v0
	s_delay_alu instid0(VALU_DEP_1) | instskip(NEXT) | instid1(VALU_DEP_1)
	v_min_u32_e32 v115, 32, v11
	v_subrev_nc_u32_e32 v11, 28, v115
	v_sub_nc_u32_e32 v115, 29, v115
	s_delay_alu instid0(VALU_DEP_2) | instskip(NEXT) | instid1(VALU_DEP_1)
	v_lshlrev_b64 v[11:12], v11, v[0:1]
	v_and_b32_e32 v11, 7, v11
; %bb.1068:                             ;   in Loop: Header=BB322_808 Depth=1
	s_or_b32 exec_lo, exec_lo, s16
	v_lshlrev_b32_e32 v0, 8, v14
	v_lshl_add_u32 v12, v115, 10, 0x2000
	s_delay_alu instid0(VALU_DEP_1) | instskip(NEXT) | instid1(VALU_DEP_1)
	v_and_or_b32 v0, 0x8000, v0, v12
	v_lshl_or_b32 v0, v11, 7, v0
	s_delay_alu instid0(VALU_DEP_1)
	v_cvt_f32_f16_e32 v115, v0
.LBB322_1069:                           ;   in Loop: Header=BB322_808 Depth=1
	s_or_b32 exec_lo, exec_lo, s15
.LBB322_1070:                           ;   in Loop: Header=BB322_808 Depth=1
	s_delay_alu instid0(SALU_CYCLE_1)
	s_or_b32 exec_lo, exec_lo, s13
.LBB322_1071:                           ;   in Loop: Header=BB322_808 Depth=1
	s_delay_alu instid0(SALU_CYCLE_1)
	s_or_b32 exec_lo, exec_lo, s12
	s_waitcnt vmcnt(0) lgkmcnt(0)
	v_fma_mixlo_f16 v12, v100, v102, 0
	v_fma_mixlo_f16 v0, v100, v112, 0
	;; [unrolled: 1-line block ×5, first 2 shown]
	v_lshlrev_b32_e32 v14, 16, v12
	v_fma_mixlo_f16 v103, v100, v113, 0
	v_fma_mixlo_f16 v112, v100, v115, 0
	;; [unrolled: 1-line block ×3, first 2 shown]
	v_lshlrev_b32_e32 v0, 16, v0
	v_and_b32_e32 v11, 0xffff, v11
	v_and_b32_e32 v100, 0xffff, v101
	v_lshlrev_b32_e32 v101, 16, v102
	v_and_b32_e32 v102, 0xffff, v103
	v_lshlrev_b32_e32 v103, 16, v112
	v_and_b32_e32 v112, 0xffff, v12
	v_or_b32_e32 v13, v0, v11
	v_or_b32_e32 v14, v14, v100
	;; [unrolled: 1-line block ×3, first 2 shown]
	s_delay_alu instid0(VALU_DEP_4)
	v_or_b32_e32 v11, v103, v112
	s_and_saveexec_b32 s12, vcc_lo
	s_cbranch_execz .LBB322_1073
; %bb.1072:                             ;   in Loop: Header=BB322_808 Depth=1
	v_cmp_lt_i32_e64 s0, v18, v37
	v_lshrrev_b32_e32 v100, 16, v14
	v_lshrrev_b32_e32 v101, 16, v13
	;; [unrolled: 1-line block ×4, first 2 shown]
	v_cndmask_b32_e64 v14, 0, v14, s0
	v_cmp_lt_i32_e64 s0, v84, v53
	s_delay_alu instid0(VALU_DEP_1) | instskip(SKIP_1) | instid1(VALU_DEP_2)
	v_cndmask_b32_e64 v100, 0, v100, s0
	v_cmp_lt_i32_e64 s0, v83, v53
	v_perm_b32 v14, v100, v14, 0x5040100
	s_delay_alu instid0(VALU_DEP_2) | instskip(SKIP_1) | instid1(VALU_DEP_1)
	v_cndmask_b32_e64 v101, 0, v101, s0
	v_cmp_lt_i32_e64 s0, v71, v37
	v_cndmask_b32_e64 v13, 0, v13, s0
	v_cmp_lt_i32_e64 s0, v70, v53
	s_delay_alu instid0(VALU_DEP_2) | instskip(NEXT) | instid1(VALU_DEP_2)
	v_perm_b32 v13, v101, v13, 0x5040100
	v_cndmask_b32_e64 v102, 0, v102, s0
	v_cmp_lt_i32_e64 s0, v69, v37
	s_delay_alu instid0(VALU_DEP_1) | instskip(SKIP_1) | instid1(VALU_DEP_2)
	v_cndmask_b32_e64 v0, 0, v0, s0
	v_cmp_lt_i32_e64 s0, v64, v53
	v_perm_b32 v0, v102, v0, 0x5040100
	s_delay_alu instid0(VALU_DEP_2) | instskip(SKIP_1) | instid1(VALU_DEP_1)
	v_cndmask_b32_e64 v11, 0, v11, s0
	v_cmp_lt_i32_e64 s0, v19, v37
	v_cndmask_b32_e64 v12, 0, v12, s0
	s_delay_alu instid0(VALU_DEP_1)
	v_perm_b32 v11, v11, v12, 0x5040100
.LBB322_1073:                           ;   in Loop: Header=BB322_808 Depth=1
	s_or_b32 exec_lo, exec_lo, s12
	;;#ASMSTART
	v_pk_mul_f16 v12, v87, v14;

	;;#ASMEND
	;;#ASMSTART
	v_pk_mul_f16 v13, v86, v13;

	;;#ASMEND
	;; [unrolled: 4-line block ×4, first 2 shown]
	;;#ASMSTART
	v_pk_add_f16 v12, v12, v13;

	;;#ASMEND
	;;#ASMSTART
	v_pk_add_f16 v0, v12, v0;

	;;#ASMEND
	;; [unrolled: 4-line block ×3, first 2 shown]
	v_dual_mov_b32 v112, 0 :: v_dual_and_b32 v11, 0xffff, v0
	v_lshrrev_b32_e32 v0, 16, v0
	;;#ASMSTART
	v_cvt_f32_f16 v100, v11;
	;;#ASMEND
	;;#ASMSTART
	v_cvt_f32_f16 v101, v0;
	;;#ASMEND
	flat_load_b64 v[11:12], v[9:10] offset:1024
	flat_load_b32 v102, v[26:27]
	s_mov_b32 s12, exec_lo
	s_waitcnt vmcnt(1) lgkmcnt(1)
	v_dual_mov_b32 v103, 0 :: v_dual_and_b32 v0, 0xff, v11
	s_delay_alu instid0(VALU_DEP_1)
	v_cmpx_ne_u16_e32 0, v0
	s_cbranch_execz .LBB322_1081
; %bb.1074:                             ;   in Loop: Header=BB322_808 Depth=1
	v_bfrev_b32_e32 v103, 1
	s_mov_b32 s13, exec_lo
	v_cmpx_ne_u16_e32 0x80, v0
	s_cbranch_execz .LBB322_1080
; %bb.1075:                             ;   in Loop: Header=BB322_808 Depth=1
	v_and_b32_e32 v13, 0x7f, v11
	v_mov_b32_e32 v103, 0x7fc02000
	s_mov_b32 s15, exec_lo
	s_delay_alu instid0(VALU_DEP_2)
	v_cmpx_ne_u32_e32 0x7f, v13
	s_cbranch_execz .LBB322_1079
; %bb.1076:                             ;   in Loop: Header=BB322_808 Depth=1
	v_lshrrev_b32_e32 v0, 3, v13
	v_cmp_gt_u32_e64 s0, 8, v13
	v_dual_mov_b32 v14, v12 :: v_dual_mov_b32 v13, v11
	s_delay_alu instid0(VALU_DEP_2)
	s_and_saveexec_b32 s16, s0
; %bb.1077:                             ;   in Loop: Header=BB322_808 Depth=1
	v_and_b32_e32 v0, 7, v11
	s_delay_alu instid0(VALU_DEP_1) | instskip(NEXT) | instid1(VALU_DEP_1)
	v_clz_i32_u32_e32 v0, v0
	v_min_u32_e32 v0, 32, v0
	s_delay_alu instid0(VALU_DEP_1) | instskip(SKIP_1) | instid1(VALU_DEP_2)
	v_subrev_nc_u32_e32 v13, 28, v0
	v_sub_nc_u32_e32 v0, 29, v0
	v_lshlrev_b64 v[13:14], v13, v[11:12]
; %bb.1078:                             ;   in Loop: Header=BB322_808 Depth=1
	s_or_b32 exec_lo, exec_lo, s16
	v_lshlrev_b32_e32 v14, 8, v11
	s_delay_alu instid0(VALU_DEP_3) | instskip(NEXT) | instid1(VALU_DEP_3)
	v_lshl_add_u32 v0, v0, 10, 0x2000
	v_lshlrev_b32_e32 v13, 7, v13
	s_delay_alu instid0(VALU_DEP_2) | instskip(NEXT) | instid1(VALU_DEP_1)
	v_and_or_b32 v0, 0x8000, v14, v0
	v_and_or_b32 v0, 0x380, v13, v0
	s_delay_alu instid0(VALU_DEP_1)
	v_cvt_f32_f16_e32 v103, v0
.LBB322_1079:                           ;   in Loop: Header=BB322_808 Depth=1
	s_or_b32 exec_lo, exec_lo, s15
.LBB322_1080:                           ;   in Loop: Header=BB322_808 Depth=1
	s_delay_alu instid0(SALU_CYCLE_1)
	s_or_b32 exec_lo, exec_lo, s13
.LBB322_1081:                           ;   in Loop: Header=BB322_808 Depth=1
	s_delay_alu instid0(SALU_CYCLE_1) | instskip(SKIP_2) | instid1(VALU_DEP_1)
	s_or_b32 exec_lo, exec_lo, s12
	v_lshrrev_b16 v0, 8, v11
	s_mov_b32 s12, exec_lo
	v_cmpx_ne_u16_e32 0, v0
	s_cbranch_execz .LBB322_1089
; %bb.1082:                             ;   in Loop: Header=BB322_808 Depth=1
	v_bfrev_b32_e32 v112, 1
	s_mov_b32 s13, exec_lo
	v_cmpx_ne_u16_e32 0x80, v0
	s_cbranch_execz .LBB322_1088
; %bb.1083:                             ;   in Loop: Header=BB322_808 Depth=1
	v_and_b32_e32 v113, 0xffff, v0
	v_mov_b32_e32 v112, 0x7fc02000
	s_mov_b32 s15, exec_lo
	s_delay_alu instid0(VALU_DEP_2) | instskip(NEXT) | instid1(VALU_DEP_1)
	v_and_b32_e32 v13, 0x7f, v113
	v_cmpx_ne_u32_e32 0x7f, v13
	s_cbranch_execz .LBB322_1087
; %bb.1084:                             ;   in Loop: Header=BB322_808 Depth=1
	v_and_b32_e32 v0, 7, v113
	v_lshrrev_b32_e32 v112, 3, v13
	v_cmp_gt_u32_e64 s0, 8, v13
	s_delay_alu instid0(VALU_DEP_3) | instskip(NEXT) | instid1(VALU_DEP_2)
	v_dual_mov_b32 v14, v1 :: v_dual_mov_b32 v13, v0
	s_and_saveexec_b32 s16, s0
; %bb.1085:                             ;   in Loop: Header=BB322_808 Depth=1
	v_clz_i32_u32_e32 v13, v0
	s_delay_alu instid0(VALU_DEP_1) | instskip(NEXT) | instid1(VALU_DEP_1)
	v_min_u32_e32 v112, 32, v13
	v_subrev_nc_u32_e32 v13, 28, v112
	v_sub_nc_u32_e32 v112, 29, v112
	s_delay_alu instid0(VALU_DEP_2) | instskip(NEXT) | instid1(VALU_DEP_1)
	v_lshlrev_b64 v[13:14], v13, v[0:1]
	v_and_b32_e32 v13, 7, v13
; %bb.1086:                             ;   in Loop: Header=BB322_808 Depth=1
	s_or_b32 exec_lo, exec_lo, s16
	v_lshlrev_b32_e32 v0, 8, v113
	v_lshl_add_u32 v14, v112, 10, 0x2000
	s_delay_alu instid0(VALU_DEP_1) | instskip(NEXT) | instid1(VALU_DEP_1)
	v_and_or_b32 v0, 0x8000, v0, v14
	v_lshl_or_b32 v0, v13, 7, v0
	s_delay_alu instid0(VALU_DEP_1)
	v_cvt_f32_f16_e32 v112, v0
.LBB322_1087:                           ;   in Loop: Header=BB322_808 Depth=1
	s_or_b32 exec_lo, exec_lo, s15
.LBB322_1088:                           ;   in Loop: Header=BB322_808 Depth=1
	s_delay_alu instid0(SALU_CYCLE_1)
	s_or_b32 exec_lo, exec_lo, s13
.LBB322_1089:                           ;   in Loop: Header=BB322_808 Depth=1
	s_delay_alu instid0(SALU_CYCLE_1) | instskip(SKIP_3) | instid1(VALU_DEP_2)
	s_or_b32 exec_lo, exec_lo, s12
	v_lshrrev_b32_e32 v115, 16, v11
	v_mov_b32_e32 v114, 0
	s_mov_b32 s12, exec_lo
	v_dual_mov_b32 v113, 0 :: v_dual_and_b32 v0, 0xff, v115
	s_delay_alu instid0(VALU_DEP_1)
	v_cmpx_ne_u16_e32 0, v0
	s_cbranch_execz .LBB322_1097
; %bb.1090:                             ;   in Loop: Header=BB322_808 Depth=1
	v_bfrev_b32_e32 v113, 1
	s_mov_b32 s13, exec_lo
	v_cmpx_ne_u16_e32 0x80, v0
	s_cbranch_execz .LBB322_1096
; %bb.1091:                             ;   in Loop: Header=BB322_808 Depth=1
	v_bfe_u32 v13, v11, 16, 7
	v_mov_b32_e32 v113, 0x7fc02000
	s_mov_b32 s15, exec_lo
	s_delay_alu instid0(VALU_DEP_2)
	v_cmpx_ne_u32_e32 0x7f, v13
	s_cbranch_execz .LBB322_1095
; %bb.1092:                             ;   in Loop: Header=BB322_808 Depth=1
	v_and_b32_e32 v0, 7, v115
	v_lshrrev_b32_e32 v113, 3, v13
	v_cmp_gt_u32_e64 s0, 8, v13
	s_delay_alu instid0(VALU_DEP_3) | instskip(NEXT) | instid1(VALU_DEP_2)
	v_dual_mov_b32 v14, v1 :: v_dual_mov_b32 v13, v0
	s_and_saveexec_b32 s16, s0
; %bb.1093:                             ;   in Loop: Header=BB322_808 Depth=1
	v_clz_i32_u32_e32 v13, v0
	s_delay_alu instid0(VALU_DEP_1) | instskip(NEXT) | instid1(VALU_DEP_1)
	v_min_u32_e32 v113, 32, v13
	v_subrev_nc_u32_e32 v13, 28, v113
	v_sub_nc_u32_e32 v113, 29, v113
	s_delay_alu instid0(VALU_DEP_2) | instskip(NEXT) | instid1(VALU_DEP_1)
	v_lshlrev_b64 v[13:14], v13, v[0:1]
	v_and_b32_e32 v13, 7, v13
; %bb.1094:                             ;   in Loop: Header=BB322_808 Depth=1
	s_or_b32 exec_lo, exec_lo, s16
	v_lshlrev_b32_e32 v0, 8, v115
	v_lshl_add_u32 v14, v113, 10, 0x2000
	s_delay_alu instid0(VALU_DEP_1) | instskip(NEXT) | instid1(VALU_DEP_1)
	v_and_or_b32 v0, 0x8000, v0, v14
	v_lshl_or_b32 v0, v13, 7, v0
	s_delay_alu instid0(VALU_DEP_1)
	v_cvt_f32_f16_e32 v113, v0
.LBB322_1095:                           ;   in Loop: Header=BB322_808 Depth=1
	s_or_b32 exec_lo, exec_lo, s15
.LBB322_1096:                           ;   in Loop: Header=BB322_808 Depth=1
	s_delay_alu instid0(SALU_CYCLE_1)
	s_or_b32 exec_lo, exec_lo, s13
.LBB322_1097:                           ;   in Loop: Header=BB322_808 Depth=1
	s_delay_alu instid0(SALU_CYCLE_1) | instskip(NEXT) | instid1(SALU_CYCLE_1)
	s_or_b32 exec_lo, exec_lo, s12
	s_mov_b32 s12, exec_lo
	v_cmpx_lt_u32_e32 0xffffff, v11
	s_cbranch_execz .LBB322_1105
; %bb.1098:                             ;   in Loop: Header=BB322_808 Depth=1
	v_lshrrev_b32_e32 v115, 24, v11
	v_bfrev_b32_e32 v114, 1
	s_mov_b32 s13, exec_lo
	s_delay_alu instid0(VALU_DEP_2)
	v_cmpx_ne_u32_e32 0x80, v115
	s_cbranch_execz .LBB322_1104
; %bb.1099:                             ;   in Loop: Header=BB322_808 Depth=1
	v_and_b32_e32 v13, 0x7f, v115
	v_mov_b32_e32 v114, 0x7fc02000
	s_mov_b32 s15, exec_lo
	s_delay_alu instid0(VALU_DEP_2)
	v_cmpx_ne_u32_e32 0x7f, v13
	s_cbranch_execz .LBB322_1103
; %bb.1100:                             ;   in Loop: Header=BB322_808 Depth=1
	v_and_b32_e32 v0, 7, v115
	v_lshrrev_b32_e32 v114, 3, v13
	v_cmp_gt_u32_e64 s0, 8, v13
	s_delay_alu instid0(VALU_DEP_3) | instskip(NEXT) | instid1(VALU_DEP_2)
	v_dual_mov_b32 v14, v1 :: v_dual_mov_b32 v13, v0
	s_and_saveexec_b32 s16, s0
; %bb.1101:                             ;   in Loop: Header=BB322_808 Depth=1
	v_clz_i32_u32_e32 v13, v0
	s_delay_alu instid0(VALU_DEP_1) | instskip(NEXT) | instid1(VALU_DEP_1)
	v_min_u32_e32 v114, 32, v13
	v_subrev_nc_u32_e32 v13, 28, v114
	v_sub_nc_u32_e32 v114, 29, v114
	s_delay_alu instid0(VALU_DEP_2) | instskip(NEXT) | instid1(VALU_DEP_1)
	v_lshlrev_b64 v[13:14], v13, v[0:1]
	v_and_b32_e32 v13, 7, v13
; %bb.1102:                             ;   in Loop: Header=BB322_808 Depth=1
	s_or_b32 exec_lo, exec_lo, s16
	v_lshlrev_b32_e32 v0, 8, v115
	v_lshl_add_u32 v14, v114, 10, 0x2000
	s_delay_alu instid0(VALU_DEP_1) | instskip(NEXT) | instid1(VALU_DEP_1)
	v_and_or_b32 v0, 0x8000, v0, v14
	v_lshl_or_b32 v0, v13, 7, v0
	s_delay_alu instid0(VALU_DEP_1)
	v_cvt_f32_f16_e32 v114, v0
.LBB322_1103:                           ;   in Loop: Header=BB322_808 Depth=1
	s_or_b32 exec_lo, exec_lo, s15
.LBB322_1104:                           ;   in Loop: Header=BB322_808 Depth=1
	s_delay_alu instid0(SALU_CYCLE_1)
	s_or_b32 exec_lo, exec_lo, s13
.LBB322_1105:                           ;   in Loop: Header=BB322_808 Depth=1
	s_delay_alu instid0(SALU_CYCLE_1) | instskip(SKIP_3) | instid1(VALU_DEP_2)
	s_or_b32 exec_lo, exec_lo, s12
	v_dual_mov_b32 v0, v12 :: v_dual_and_b32 v13, 0xff, v12
	v_dual_mov_b32 v116, 0 :: v_dual_mov_b32 v115, 0
	s_mov_b32 s12, exec_lo
	v_cmpx_ne_u16_e32 0, v13
	s_cbranch_execz .LBB322_1113
; %bb.1106:                             ;   in Loop: Header=BB322_808 Depth=1
	v_bfrev_b32_e32 v115, 1
	s_mov_b32 s13, exec_lo
	v_cmpx_ne_u16_e32 0x80, v13
	s_cbranch_execz .LBB322_1112
; %bb.1107:                             ;   in Loop: Header=BB322_808 Depth=1
	v_and_b32_e32 v13, 0x7f, v12
	v_mov_b32_e32 v115, 0x7fc02000
	s_mov_b32 s15, exec_lo
	s_delay_alu instid0(VALU_DEP_2)
	v_cmpx_ne_u32_e32 0x7f, v13
	s_cbranch_execz .LBB322_1111
; %bb.1108:                             ;   in Loop: Header=BB322_808 Depth=1
	v_lshrrev_b32_e32 v115, 3, v13
	v_cmp_gt_u32_e64 s0, 8, v13
	v_dual_mov_b32 v14, v1 :: v_dual_mov_b32 v13, v0
	s_delay_alu instid0(VALU_DEP_2)
	s_and_saveexec_b32 s16, s0
; %bb.1109:                             ;   in Loop: Header=BB322_808 Depth=1
	v_and_b32_e32 v13, 7, v12
	s_delay_alu instid0(VALU_DEP_1) | instskip(NEXT) | instid1(VALU_DEP_1)
	v_clz_i32_u32_e32 v13, v13
	v_min_u32_e32 v115, 32, v13
	s_delay_alu instid0(VALU_DEP_1) | instskip(SKIP_1) | instid1(VALU_DEP_2)
	v_subrev_nc_u32_e32 v13, 28, v115
	v_sub_nc_u32_e32 v115, 29, v115
	v_lshlrev_b64 v[13:14], v13, v[0:1]
; %bb.1110:                             ;   in Loop: Header=BB322_808 Depth=1
	s_or_b32 exec_lo, exec_lo, s16
	v_lshlrev_b32_e32 v14, 8, v12
	s_delay_alu instid0(VALU_DEP_3) | instskip(NEXT) | instid1(VALU_DEP_3)
	v_lshl_add_u32 v115, v115, 10, 0x2000
	v_lshlrev_b32_e32 v13, 7, v13
	s_delay_alu instid0(VALU_DEP_2) | instskip(NEXT) | instid1(VALU_DEP_1)
	v_and_or_b32 v14, 0x8000, v14, v115
	v_and_or_b32 v13, 0x380, v13, v14
	s_delay_alu instid0(VALU_DEP_1)
	v_cvt_f32_f16_e32 v115, v13
.LBB322_1111:                           ;   in Loop: Header=BB322_808 Depth=1
	s_or_b32 exec_lo, exec_lo, s15
.LBB322_1112:                           ;   in Loop: Header=BB322_808 Depth=1
	s_delay_alu instid0(SALU_CYCLE_1)
	s_or_b32 exec_lo, exec_lo, s13
.LBB322_1113:                           ;   in Loop: Header=BB322_808 Depth=1
	s_delay_alu instid0(SALU_CYCLE_1) | instskip(SKIP_2) | instid1(VALU_DEP_1)
	s_or_b32 exec_lo, exec_lo, s12
	v_lshrrev_b16 v0, 8, v0
	s_mov_b32 s12, exec_lo
	v_cmpx_ne_u16_e32 0, v0
	s_cbranch_execz .LBB322_1121
; %bb.1114:                             ;   in Loop: Header=BB322_808 Depth=1
	v_bfrev_b32_e32 v116, 1
	s_mov_b32 s13, exec_lo
	v_cmpx_ne_u16_e32 0x80, v0
	s_cbranch_execz .LBB322_1120
; %bb.1115:                             ;   in Loop: Header=BB322_808 Depth=1
	v_and_b32_e32 v117, 0xffff, v0
	v_mov_b32_e32 v116, 0x7fc02000
	s_mov_b32 s15, exec_lo
	s_delay_alu instid0(VALU_DEP_2) | instskip(NEXT) | instid1(VALU_DEP_1)
	v_and_b32_e32 v13, 0x7f, v117
	v_cmpx_ne_u32_e32 0x7f, v13
	s_cbranch_execz .LBB322_1119
; %bb.1116:                             ;   in Loop: Header=BB322_808 Depth=1
	v_and_b32_e32 v0, 7, v117
	v_lshrrev_b32_e32 v116, 3, v13
	v_cmp_gt_u32_e64 s0, 8, v13
	s_delay_alu instid0(VALU_DEP_3) | instskip(NEXT) | instid1(VALU_DEP_2)
	v_dual_mov_b32 v14, v1 :: v_dual_mov_b32 v13, v0
	s_and_saveexec_b32 s16, s0
; %bb.1117:                             ;   in Loop: Header=BB322_808 Depth=1
	v_clz_i32_u32_e32 v13, v0
	s_delay_alu instid0(VALU_DEP_1) | instskip(NEXT) | instid1(VALU_DEP_1)
	v_min_u32_e32 v116, 32, v13
	v_subrev_nc_u32_e32 v13, 28, v116
	v_sub_nc_u32_e32 v116, 29, v116
	s_delay_alu instid0(VALU_DEP_2) | instskip(NEXT) | instid1(VALU_DEP_1)
	v_lshlrev_b64 v[13:14], v13, v[0:1]
	v_and_b32_e32 v13, 7, v13
; %bb.1118:                             ;   in Loop: Header=BB322_808 Depth=1
	s_or_b32 exec_lo, exec_lo, s16
	v_lshlrev_b32_e32 v0, 8, v117
	v_lshl_add_u32 v14, v116, 10, 0x2000
	s_delay_alu instid0(VALU_DEP_1) | instskip(NEXT) | instid1(VALU_DEP_1)
	v_and_or_b32 v0, 0x8000, v0, v14
	v_lshl_or_b32 v0, v13, 7, v0
	s_delay_alu instid0(VALU_DEP_1)
	v_cvt_f32_f16_e32 v116, v0
.LBB322_1119:                           ;   in Loop: Header=BB322_808 Depth=1
	s_or_b32 exec_lo, exec_lo, s15
.LBB322_1120:                           ;   in Loop: Header=BB322_808 Depth=1
	s_delay_alu instid0(SALU_CYCLE_1)
	s_or_b32 exec_lo, exec_lo, s13
.LBB322_1121:                           ;   in Loop: Header=BB322_808 Depth=1
	s_delay_alu instid0(SALU_CYCLE_1) | instskip(SKIP_3) | instid1(VALU_DEP_2)
	s_or_b32 exec_lo, exec_lo, s12
	v_lshrrev_b32_e32 v118, 16, v12
	v_mov_b32_e32 v13, 0
	s_mov_b32 s12, exec_lo
	v_dual_mov_b32 v117, 0 :: v_dual_and_b32 v0, 0xff, v118
	s_delay_alu instid0(VALU_DEP_1)
	v_cmpx_ne_u16_e32 0, v0
	s_cbranch_execz .LBB322_1129
; %bb.1122:                             ;   in Loop: Header=BB322_808 Depth=1
	v_bfrev_b32_e32 v13, 1
	s_mov_b32 s13, exec_lo
	v_cmpx_ne_u16_e32 0x80, v0
	s_cbranch_execz .LBB322_1128
; %bb.1123:                             ;   in Loop: Header=BB322_808 Depth=1
	v_bfe_u32 v14, v12, 16, 7
	v_mov_b32_e32 v13, 0x7fc02000
	s_mov_b32 s15, exec_lo
	s_delay_alu instid0(VALU_DEP_2)
	v_cmpx_ne_u32_e32 0x7f, v14
	s_cbranch_execz .LBB322_1127
; %bb.1124:                             ;   in Loop: Header=BB322_808 Depth=1
	v_and_b32_e32 v0, 7, v118
	v_lshrrev_b32_e32 v119, 3, v14
	v_cmp_gt_u32_e64 s0, 8, v14
	s_delay_alu instid0(VALU_DEP_3) | instskip(NEXT) | instid1(VALU_DEP_2)
	v_dual_mov_b32 v14, v1 :: v_dual_mov_b32 v13, v0
	s_and_saveexec_b32 s16, s0
; %bb.1125:                             ;   in Loop: Header=BB322_808 Depth=1
	v_clz_i32_u32_e32 v13, v0
	s_delay_alu instid0(VALU_DEP_1) | instskip(NEXT) | instid1(VALU_DEP_1)
	v_min_u32_e32 v119, 32, v13
	v_subrev_nc_u32_e32 v13, 28, v119
	v_sub_nc_u32_e32 v119, 29, v119
	s_delay_alu instid0(VALU_DEP_2) | instskip(NEXT) | instid1(VALU_DEP_1)
	v_lshlrev_b64 v[13:14], v13, v[0:1]
	v_and_b32_e32 v13, 7, v13
; %bb.1126:                             ;   in Loop: Header=BB322_808 Depth=1
	s_or_b32 exec_lo, exec_lo, s16
	v_lshlrev_b32_e32 v0, 8, v118
	v_lshl_add_u32 v14, v119, 10, 0x2000
	s_delay_alu instid0(VALU_DEP_1) | instskip(NEXT) | instid1(VALU_DEP_1)
	v_and_or_b32 v0, 0x8000, v0, v14
	v_lshl_or_b32 v0, v13, 7, v0
	s_delay_alu instid0(VALU_DEP_1)
	v_cvt_f32_f16_e32 v13, v0
.LBB322_1127:                           ;   in Loop: Header=BB322_808 Depth=1
	s_or_b32 exec_lo, exec_lo, s15
.LBB322_1128:                           ;   in Loop: Header=BB322_808 Depth=1
	s_delay_alu instid0(SALU_CYCLE_1)
	s_or_b32 exec_lo, exec_lo, s13
.LBB322_1129:                           ;   in Loop: Header=BB322_808 Depth=1
	s_delay_alu instid0(SALU_CYCLE_1) | instskip(NEXT) | instid1(SALU_CYCLE_1)
	s_or_b32 exec_lo, exec_lo, s12
	s_mov_b32 s12, exec_lo
	v_cmpx_lt_u64_e64 s[8:9], v[11:12]
	s_cbranch_execz .LBB322_1137
; %bb.1130:                             ;   in Loop: Header=BB322_808 Depth=1
	v_lshrrev_b32_e32 v14, 24, v12
	v_bfrev_b32_e32 v117, 1
	s_mov_b32 s13, exec_lo
	s_delay_alu instid0(VALU_DEP_2)
	v_cmpx_ne_u32_e32 0x80, v14
	s_cbranch_execz .LBB322_1136
; %bb.1131:                             ;   in Loop: Header=BB322_808 Depth=1
	v_and_b32_e32 v11, 0x7f, v14
	v_mov_b32_e32 v117, 0x7fc02000
	s_mov_b32 s15, exec_lo
	s_delay_alu instid0(VALU_DEP_2)
	v_cmpx_ne_u32_e32 0x7f, v11
	s_cbranch_execz .LBB322_1135
; %bb.1132:                             ;   in Loop: Header=BB322_808 Depth=1
	v_and_b32_e32 v0, 7, v14
	v_lshrrev_b32_e32 v117, 3, v11
	v_cmp_gt_u32_e64 s0, 8, v11
	s_delay_alu instid0(VALU_DEP_3) | instskip(NEXT) | instid1(VALU_DEP_2)
	v_dual_mov_b32 v12, v1 :: v_dual_mov_b32 v11, v0
	s_and_saveexec_b32 s16, s0
; %bb.1133:                             ;   in Loop: Header=BB322_808 Depth=1
	v_clz_i32_u32_e32 v11, v0
	s_delay_alu instid0(VALU_DEP_1) | instskip(NEXT) | instid1(VALU_DEP_1)
	v_min_u32_e32 v117, 32, v11
	v_subrev_nc_u32_e32 v11, 28, v117
	v_sub_nc_u32_e32 v117, 29, v117
	s_delay_alu instid0(VALU_DEP_2) | instskip(NEXT) | instid1(VALU_DEP_1)
	v_lshlrev_b64 v[11:12], v11, v[0:1]
	v_and_b32_e32 v11, 7, v11
; %bb.1134:                             ;   in Loop: Header=BB322_808 Depth=1
	s_or_b32 exec_lo, exec_lo, s16
	v_lshlrev_b32_e32 v0, 8, v14
	v_lshl_add_u32 v12, v117, 10, 0x2000
	s_delay_alu instid0(VALU_DEP_1) | instskip(NEXT) | instid1(VALU_DEP_1)
	v_and_or_b32 v0, 0x8000, v0, v12
	v_lshl_or_b32 v0, v11, 7, v0
	s_delay_alu instid0(VALU_DEP_1)
	v_cvt_f32_f16_e32 v117, v0
.LBB322_1135:                           ;   in Loop: Header=BB322_808 Depth=1
	s_or_b32 exec_lo, exec_lo, s15
.LBB322_1136:                           ;   in Loop: Header=BB322_808 Depth=1
	s_delay_alu instid0(SALU_CYCLE_1)
	s_or_b32 exec_lo, exec_lo, s13
.LBB322_1137:                           ;   in Loop: Header=BB322_808 Depth=1
	s_delay_alu instid0(SALU_CYCLE_1)
	s_or_b32 exec_lo, exec_lo, s12
	s_waitcnt vmcnt(0) lgkmcnt(0)
	v_fma_mixlo_f16 v12, v102, v112, 0
	v_fma_mixlo_f16 v0, v102, v114, 0
	;; [unrolled: 1-line block ×5, first 2 shown]
	v_lshlrev_b32_e32 v14, 16, v12
	v_fma_mixlo_f16 v113, v102, v115, 0
	v_fma_mixlo_f16 v114, v102, v117, 0
	;; [unrolled: 1-line block ×3, first 2 shown]
	v_lshlrev_b32_e32 v0, 16, v0
	v_and_b32_e32 v11, 0xffff, v11
	v_and_b32_e32 v102, 0xffff, v103
	v_lshlrev_b32_e32 v103, 16, v112
	v_and_b32_e32 v112, 0xffff, v113
	v_lshlrev_b32_e32 v113, 16, v114
	v_and_b32_e32 v114, 0xffff, v12
	v_or_b32_e32 v13, v0, v11
	v_or_b32_e32 v14, v14, v102
	;; [unrolled: 1-line block ×3, first 2 shown]
	s_delay_alu instid0(VALU_DEP_4)
	v_or_b32_e32 v11, v113, v114
	s_and_saveexec_b32 s12, vcc_lo
	s_cbranch_execz .LBB322_1139
; %bb.1138:                             ;   in Loop: Header=BB322_808 Depth=1
	v_cmp_lt_i32_e64 s0, v18, v37
	v_lshrrev_b32_e32 v102, 16, v14
	v_lshrrev_b32_e32 v103, 16, v13
	;; [unrolled: 1-line block ×4, first 2 shown]
	v_cndmask_b32_e64 v14, 0, v14, s0
	v_cmp_lt_i32_e64 s0, v84, v53
	s_delay_alu instid0(VALU_DEP_1) | instskip(SKIP_1) | instid1(VALU_DEP_2)
	v_cndmask_b32_e64 v102, 0, v102, s0
	v_cmp_lt_i32_e64 s0, v83, v53
	v_perm_b32 v14, v102, v14, 0x5040100
	s_delay_alu instid0(VALU_DEP_2) | instskip(SKIP_1) | instid1(VALU_DEP_1)
	v_cndmask_b32_e64 v103, 0, v103, s0
	v_cmp_lt_i32_e64 s0, v71, v37
	v_cndmask_b32_e64 v13, 0, v13, s0
	v_cmp_lt_i32_e64 s0, v70, v53
	s_delay_alu instid0(VALU_DEP_2) | instskip(NEXT) | instid1(VALU_DEP_2)
	v_perm_b32 v13, v103, v13, 0x5040100
	v_cndmask_b32_e64 v112, 0, v112, s0
	v_cmp_lt_i32_e64 s0, v69, v37
	s_delay_alu instid0(VALU_DEP_1) | instskip(SKIP_1) | instid1(VALU_DEP_2)
	v_cndmask_b32_e64 v0, 0, v0, s0
	v_cmp_lt_i32_e64 s0, v64, v53
	v_perm_b32 v0, v112, v0, 0x5040100
	s_delay_alu instid0(VALU_DEP_2) | instskip(SKIP_1) | instid1(VALU_DEP_1)
	v_cndmask_b32_e64 v11, 0, v11, s0
	v_cmp_lt_i32_e64 s0, v19, v37
	v_cndmask_b32_e64 v12, 0, v12, s0
	s_delay_alu instid0(VALU_DEP_1)
	v_perm_b32 v11, v11, v12, 0x5040100
.LBB322_1139:                           ;   in Loop: Header=BB322_808 Depth=1
	s_or_b32 exec_lo, exec_lo, s12
	;;#ASMSTART
	v_pk_mul_f16 v12, v87, v14;

	;;#ASMEND
	;;#ASMSTART
	v_pk_mul_f16 v13, v86, v13;

	;;#ASMEND
	;; [unrolled: 4-line block ×4, first 2 shown]
	;;#ASMSTART
	v_pk_add_f16 v12, v12, v13;

	;;#ASMEND
	;;#ASMSTART
	v_pk_add_f16 v0, v12, v0;

	;;#ASMEND
	;; [unrolled: 4-line block ×3, first 2 shown]
	v_dual_mov_b32 v114, 0 :: v_dual_and_b32 v11, 0xffff, v0
	v_lshrrev_b32_e32 v0, 16, v0
	;;#ASMSTART
	v_cvt_f32_f16 v102, v11;
	;;#ASMEND
	;;#ASMSTART
	v_cvt_f32_f16 v103, v0;
	;;#ASMEND
	flat_load_b64 v[11:12], v[9:10] offset:1280
	flat_load_b32 v112, v[26:27]
	s_mov_b32 s12, exec_lo
	s_waitcnt vmcnt(1) lgkmcnt(1)
	v_dual_mov_b32 v113, 0 :: v_dual_and_b32 v0, 0xff, v11
	s_delay_alu instid0(VALU_DEP_1)
	v_cmpx_ne_u16_e32 0, v0
	s_cbranch_execz .LBB322_1147
; %bb.1140:                             ;   in Loop: Header=BB322_808 Depth=1
	v_bfrev_b32_e32 v113, 1
	s_mov_b32 s13, exec_lo
	v_cmpx_ne_u16_e32 0x80, v0
	s_cbranch_execz .LBB322_1146
; %bb.1141:                             ;   in Loop: Header=BB322_808 Depth=1
	v_and_b32_e32 v13, 0x7f, v11
	v_mov_b32_e32 v113, 0x7fc02000
	s_mov_b32 s15, exec_lo
	s_delay_alu instid0(VALU_DEP_2)
	v_cmpx_ne_u32_e32 0x7f, v13
	s_cbranch_execz .LBB322_1145
; %bb.1142:                             ;   in Loop: Header=BB322_808 Depth=1
	v_lshrrev_b32_e32 v0, 3, v13
	v_cmp_gt_u32_e64 s0, 8, v13
	v_dual_mov_b32 v14, v12 :: v_dual_mov_b32 v13, v11
	s_delay_alu instid0(VALU_DEP_2)
	s_and_saveexec_b32 s16, s0
; %bb.1143:                             ;   in Loop: Header=BB322_808 Depth=1
	v_and_b32_e32 v0, 7, v11
	s_delay_alu instid0(VALU_DEP_1) | instskip(NEXT) | instid1(VALU_DEP_1)
	v_clz_i32_u32_e32 v0, v0
	v_min_u32_e32 v0, 32, v0
	s_delay_alu instid0(VALU_DEP_1) | instskip(SKIP_1) | instid1(VALU_DEP_2)
	v_subrev_nc_u32_e32 v13, 28, v0
	v_sub_nc_u32_e32 v0, 29, v0
	v_lshlrev_b64 v[13:14], v13, v[11:12]
; %bb.1144:                             ;   in Loop: Header=BB322_808 Depth=1
	s_or_b32 exec_lo, exec_lo, s16
	v_lshlrev_b32_e32 v14, 8, v11
	s_delay_alu instid0(VALU_DEP_3) | instskip(NEXT) | instid1(VALU_DEP_3)
	v_lshl_add_u32 v0, v0, 10, 0x2000
	v_lshlrev_b32_e32 v13, 7, v13
	s_delay_alu instid0(VALU_DEP_2) | instskip(NEXT) | instid1(VALU_DEP_1)
	v_and_or_b32 v0, 0x8000, v14, v0
	v_and_or_b32 v0, 0x380, v13, v0
	s_delay_alu instid0(VALU_DEP_1)
	v_cvt_f32_f16_e32 v113, v0
.LBB322_1145:                           ;   in Loop: Header=BB322_808 Depth=1
	s_or_b32 exec_lo, exec_lo, s15
.LBB322_1146:                           ;   in Loop: Header=BB322_808 Depth=1
	s_delay_alu instid0(SALU_CYCLE_1)
	s_or_b32 exec_lo, exec_lo, s13
.LBB322_1147:                           ;   in Loop: Header=BB322_808 Depth=1
	s_delay_alu instid0(SALU_CYCLE_1) | instskip(SKIP_2) | instid1(VALU_DEP_1)
	s_or_b32 exec_lo, exec_lo, s12
	v_lshrrev_b16 v0, 8, v11
	s_mov_b32 s12, exec_lo
	v_cmpx_ne_u16_e32 0, v0
	s_cbranch_execz .LBB322_1155
; %bb.1148:                             ;   in Loop: Header=BB322_808 Depth=1
	v_bfrev_b32_e32 v114, 1
	s_mov_b32 s13, exec_lo
	v_cmpx_ne_u16_e32 0x80, v0
	s_cbranch_execz .LBB322_1154
; %bb.1149:                             ;   in Loop: Header=BB322_808 Depth=1
	v_and_b32_e32 v115, 0xffff, v0
	v_mov_b32_e32 v114, 0x7fc02000
	s_mov_b32 s15, exec_lo
	s_delay_alu instid0(VALU_DEP_2) | instskip(NEXT) | instid1(VALU_DEP_1)
	v_and_b32_e32 v13, 0x7f, v115
	v_cmpx_ne_u32_e32 0x7f, v13
	s_cbranch_execz .LBB322_1153
; %bb.1150:                             ;   in Loop: Header=BB322_808 Depth=1
	v_and_b32_e32 v0, 7, v115
	v_lshrrev_b32_e32 v114, 3, v13
	v_cmp_gt_u32_e64 s0, 8, v13
	s_delay_alu instid0(VALU_DEP_3) | instskip(NEXT) | instid1(VALU_DEP_2)
	v_dual_mov_b32 v14, v1 :: v_dual_mov_b32 v13, v0
	s_and_saveexec_b32 s16, s0
; %bb.1151:                             ;   in Loop: Header=BB322_808 Depth=1
	v_clz_i32_u32_e32 v13, v0
	s_delay_alu instid0(VALU_DEP_1) | instskip(NEXT) | instid1(VALU_DEP_1)
	v_min_u32_e32 v114, 32, v13
	v_subrev_nc_u32_e32 v13, 28, v114
	v_sub_nc_u32_e32 v114, 29, v114
	s_delay_alu instid0(VALU_DEP_2) | instskip(NEXT) | instid1(VALU_DEP_1)
	v_lshlrev_b64 v[13:14], v13, v[0:1]
	v_and_b32_e32 v13, 7, v13
; %bb.1152:                             ;   in Loop: Header=BB322_808 Depth=1
	s_or_b32 exec_lo, exec_lo, s16
	v_lshlrev_b32_e32 v0, 8, v115
	v_lshl_add_u32 v14, v114, 10, 0x2000
	s_delay_alu instid0(VALU_DEP_1) | instskip(NEXT) | instid1(VALU_DEP_1)
	v_and_or_b32 v0, 0x8000, v0, v14
	v_lshl_or_b32 v0, v13, 7, v0
	s_delay_alu instid0(VALU_DEP_1)
	v_cvt_f32_f16_e32 v114, v0
.LBB322_1153:                           ;   in Loop: Header=BB322_808 Depth=1
	s_or_b32 exec_lo, exec_lo, s15
.LBB322_1154:                           ;   in Loop: Header=BB322_808 Depth=1
	s_delay_alu instid0(SALU_CYCLE_1)
	s_or_b32 exec_lo, exec_lo, s13
.LBB322_1155:                           ;   in Loop: Header=BB322_808 Depth=1
	s_delay_alu instid0(SALU_CYCLE_1) | instskip(SKIP_3) | instid1(VALU_DEP_2)
	s_or_b32 exec_lo, exec_lo, s12
	v_lshrrev_b32_e32 v117, 16, v11
	v_mov_b32_e32 v116, 0
	s_mov_b32 s12, exec_lo
	v_dual_mov_b32 v115, 0 :: v_dual_and_b32 v0, 0xff, v117
	s_delay_alu instid0(VALU_DEP_1)
	v_cmpx_ne_u16_e32 0, v0
	s_cbranch_execz .LBB322_1163
; %bb.1156:                             ;   in Loop: Header=BB322_808 Depth=1
	v_bfrev_b32_e32 v115, 1
	s_mov_b32 s13, exec_lo
	v_cmpx_ne_u16_e32 0x80, v0
	s_cbranch_execz .LBB322_1162
; %bb.1157:                             ;   in Loop: Header=BB322_808 Depth=1
	v_bfe_u32 v13, v11, 16, 7
	v_mov_b32_e32 v115, 0x7fc02000
	s_mov_b32 s15, exec_lo
	s_delay_alu instid0(VALU_DEP_2)
	v_cmpx_ne_u32_e32 0x7f, v13
	s_cbranch_execz .LBB322_1161
; %bb.1158:                             ;   in Loop: Header=BB322_808 Depth=1
	v_and_b32_e32 v0, 7, v117
	v_lshrrev_b32_e32 v115, 3, v13
	v_cmp_gt_u32_e64 s0, 8, v13
	s_delay_alu instid0(VALU_DEP_3) | instskip(NEXT) | instid1(VALU_DEP_2)
	v_dual_mov_b32 v14, v1 :: v_dual_mov_b32 v13, v0
	s_and_saveexec_b32 s16, s0
; %bb.1159:                             ;   in Loop: Header=BB322_808 Depth=1
	v_clz_i32_u32_e32 v13, v0
	s_delay_alu instid0(VALU_DEP_1) | instskip(NEXT) | instid1(VALU_DEP_1)
	v_min_u32_e32 v115, 32, v13
	v_subrev_nc_u32_e32 v13, 28, v115
	v_sub_nc_u32_e32 v115, 29, v115
	s_delay_alu instid0(VALU_DEP_2) | instskip(NEXT) | instid1(VALU_DEP_1)
	v_lshlrev_b64 v[13:14], v13, v[0:1]
	v_and_b32_e32 v13, 7, v13
; %bb.1160:                             ;   in Loop: Header=BB322_808 Depth=1
	s_or_b32 exec_lo, exec_lo, s16
	v_lshlrev_b32_e32 v0, 8, v117
	v_lshl_add_u32 v14, v115, 10, 0x2000
	s_delay_alu instid0(VALU_DEP_1) | instskip(NEXT) | instid1(VALU_DEP_1)
	v_and_or_b32 v0, 0x8000, v0, v14
	v_lshl_or_b32 v0, v13, 7, v0
	s_delay_alu instid0(VALU_DEP_1)
	v_cvt_f32_f16_e32 v115, v0
.LBB322_1161:                           ;   in Loop: Header=BB322_808 Depth=1
	s_or_b32 exec_lo, exec_lo, s15
.LBB322_1162:                           ;   in Loop: Header=BB322_808 Depth=1
	s_delay_alu instid0(SALU_CYCLE_1)
	s_or_b32 exec_lo, exec_lo, s13
.LBB322_1163:                           ;   in Loop: Header=BB322_808 Depth=1
	s_delay_alu instid0(SALU_CYCLE_1) | instskip(NEXT) | instid1(SALU_CYCLE_1)
	s_or_b32 exec_lo, exec_lo, s12
	s_mov_b32 s12, exec_lo
	v_cmpx_lt_u32_e32 0xffffff, v11
	s_cbranch_execz .LBB322_1171
; %bb.1164:                             ;   in Loop: Header=BB322_808 Depth=1
	v_lshrrev_b32_e32 v117, 24, v11
	v_bfrev_b32_e32 v116, 1
	s_mov_b32 s13, exec_lo
	s_delay_alu instid0(VALU_DEP_2)
	v_cmpx_ne_u32_e32 0x80, v117
	s_cbranch_execz .LBB322_1170
; %bb.1165:                             ;   in Loop: Header=BB322_808 Depth=1
	v_and_b32_e32 v13, 0x7f, v117
	v_mov_b32_e32 v116, 0x7fc02000
	s_mov_b32 s15, exec_lo
	s_delay_alu instid0(VALU_DEP_2)
	v_cmpx_ne_u32_e32 0x7f, v13
	s_cbranch_execz .LBB322_1169
; %bb.1166:                             ;   in Loop: Header=BB322_808 Depth=1
	v_and_b32_e32 v0, 7, v117
	v_lshrrev_b32_e32 v116, 3, v13
	v_cmp_gt_u32_e64 s0, 8, v13
	s_delay_alu instid0(VALU_DEP_3) | instskip(NEXT) | instid1(VALU_DEP_2)
	v_dual_mov_b32 v14, v1 :: v_dual_mov_b32 v13, v0
	s_and_saveexec_b32 s16, s0
; %bb.1167:                             ;   in Loop: Header=BB322_808 Depth=1
	v_clz_i32_u32_e32 v13, v0
	s_delay_alu instid0(VALU_DEP_1) | instskip(NEXT) | instid1(VALU_DEP_1)
	v_min_u32_e32 v116, 32, v13
	v_subrev_nc_u32_e32 v13, 28, v116
	v_sub_nc_u32_e32 v116, 29, v116
	s_delay_alu instid0(VALU_DEP_2) | instskip(NEXT) | instid1(VALU_DEP_1)
	v_lshlrev_b64 v[13:14], v13, v[0:1]
	v_and_b32_e32 v13, 7, v13
; %bb.1168:                             ;   in Loop: Header=BB322_808 Depth=1
	s_or_b32 exec_lo, exec_lo, s16
	v_lshlrev_b32_e32 v0, 8, v117
	v_lshl_add_u32 v14, v116, 10, 0x2000
	s_delay_alu instid0(VALU_DEP_1) | instskip(NEXT) | instid1(VALU_DEP_1)
	v_and_or_b32 v0, 0x8000, v0, v14
	v_lshl_or_b32 v0, v13, 7, v0
	s_delay_alu instid0(VALU_DEP_1)
	v_cvt_f32_f16_e32 v116, v0
.LBB322_1169:                           ;   in Loop: Header=BB322_808 Depth=1
	s_or_b32 exec_lo, exec_lo, s15
.LBB322_1170:                           ;   in Loop: Header=BB322_808 Depth=1
	s_delay_alu instid0(SALU_CYCLE_1)
	s_or_b32 exec_lo, exec_lo, s13
.LBB322_1171:                           ;   in Loop: Header=BB322_808 Depth=1
	s_delay_alu instid0(SALU_CYCLE_1) | instskip(SKIP_3) | instid1(VALU_DEP_2)
	s_or_b32 exec_lo, exec_lo, s12
	v_dual_mov_b32 v0, v12 :: v_dual_and_b32 v13, 0xff, v12
	v_dual_mov_b32 v118, 0 :: v_dual_mov_b32 v117, 0
	s_mov_b32 s12, exec_lo
	v_cmpx_ne_u16_e32 0, v13
	s_cbranch_execz .LBB322_1179
; %bb.1172:                             ;   in Loop: Header=BB322_808 Depth=1
	v_bfrev_b32_e32 v117, 1
	s_mov_b32 s13, exec_lo
	v_cmpx_ne_u16_e32 0x80, v13
	s_cbranch_execz .LBB322_1178
; %bb.1173:                             ;   in Loop: Header=BB322_808 Depth=1
	v_and_b32_e32 v13, 0x7f, v12
	v_mov_b32_e32 v117, 0x7fc02000
	s_mov_b32 s15, exec_lo
	s_delay_alu instid0(VALU_DEP_2)
	v_cmpx_ne_u32_e32 0x7f, v13
	s_cbranch_execz .LBB322_1177
; %bb.1174:                             ;   in Loop: Header=BB322_808 Depth=1
	v_lshrrev_b32_e32 v117, 3, v13
	v_cmp_gt_u32_e64 s0, 8, v13
	v_dual_mov_b32 v14, v1 :: v_dual_mov_b32 v13, v0
	s_delay_alu instid0(VALU_DEP_2)
	s_and_saveexec_b32 s16, s0
; %bb.1175:                             ;   in Loop: Header=BB322_808 Depth=1
	v_and_b32_e32 v13, 7, v12
	s_delay_alu instid0(VALU_DEP_1) | instskip(NEXT) | instid1(VALU_DEP_1)
	v_clz_i32_u32_e32 v13, v13
	v_min_u32_e32 v117, 32, v13
	s_delay_alu instid0(VALU_DEP_1) | instskip(SKIP_1) | instid1(VALU_DEP_2)
	v_subrev_nc_u32_e32 v13, 28, v117
	v_sub_nc_u32_e32 v117, 29, v117
	v_lshlrev_b64 v[13:14], v13, v[0:1]
; %bb.1176:                             ;   in Loop: Header=BB322_808 Depth=1
	s_or_b32 exec_lo, exec_lo, s16
	v_lshlrev_b32_e32 v14, 8, v12
	s_delay_alu instid0(VALU_DEP_3) | instskip(NEXT) | instid1(VALU_DEP_3)
	v_lshl_add_u32 v117, v117, 10, 0x2000
	v_lshlrev_b32_e32 v13, 7, v13
	s_delay_alu instid0(VALU_DEP_2) | instskip(NEXT) | instid1(VALU_DEP_1)
	v_and_or_b32 v14, 0x8000, v14, v117
	v_and_or_b32 v13, 0x380, v13, v14
	s_delay_alu instid0(VALU_DEP_1)
	v_cvt_f32_f16_e32 v117, v13
.LBB322_1177:                           ;   in Loop: Header=BB322_808 Depth=1
	s_or_b32 exec_lo, exec_lo, s15
.LBB322_1178:                           ;   in Loop: Header=BB322_808 Depth=1
	s_delay_alu instid0(SALU_CYCLE_1)
	s_or_b32 exec_lo, exec_lo, s13
.LBB322_1179:                           ;   in Loop: Header=BB322_808 Depth=1
	s_delay_alu instid0(SALU_CYCLE_1) | instskip(SKIP_2) | instid1(VALU_DEP_1)
	s_or_b32 exec_lo, exec_lo, s12
	v_lshrrev_b16 v0, 8, v0
	s_mov_b32 s12, exec_lo
	v_cmpx_ne_u16_e32 0, v0
	s_cbranch_execz .LBB322_1187
; %bb.1180:                             ;   in Loop: Header=BB322_808 Depth=1
	v_bfrev_b32_e32 v118, 1
	s_mov_b32 s13, exec_lo
	v_cmpx_ne_u16_e32 0x80, v0
	s_cbranch_execz .LBB322_1186
; %bb.1181:                             ;   in Loop: Header=BB322_808 Depth=1
	v_and_b32_e32 v119, 0xffff, v0
	v_mov_b32_e32 v118, 0x7fc02000
	s_mov_b32 s15, exec_lo
	s_delay_alu instid0(VALU_DEP_2) | instskip(NEXT) | instid1(VALU_DEP_1)
	v_and_b32_e32 v13, 0x7f, v119
	v_cmpx_ne_u32_e32 0x7f, v13
	s_cbranch_execz .LBB322_1185
; %bb.1182:                             ;   in Loop: Header=BB322_808 Depth=1
	v_and_b32_e32 v0, 7, v119
	v_lshrrev_b32_e32 v118, 3, v13
	v_cmp_gt_u32_e64 s0, 8, v13
	s_delay_alu instid0(VALU_DEP_3) | instskip(NEXT) | instid1(VALU_DEP_2)
	v_dual_mov_b32 v14, v1 :: v_dual_mov_b32 v13, v0
	s_and_saveexec_b32 s16, s0
; %bb.1183:                             ;   in Loop: Header=BB322_808 Depth=1
	v_clz_i32_u32_e32 v13, v0
	s_delay_alu instid0(VALU_DEP_1) | instskip(NEXT) | instid1(VALU_DEP_1)
	v_min_u32_e32 v118, 32, v13
	v_subrev_nc_u32_e32 v13, 28, v118
	v_sub_nc_u32_e32 v118, 29, v118
	s_delay_alu instid0(VALU_DEP_2) | instskip(NEXT) | instid1(VALU_DEP_1)
	v_lshlrev_b64 v[13:14], v13, v[0:1]
	v_and_b32_e32 v13, 7, v13
; %bb.1184:                             ;   in Loop: Header=BB322_808 Depth=1
	s_or_b32 exec_lo, exec_lo, s16
	v_lshlrev_b32_e32 v0, 8, v119
	v_lshl_add_u32 v14, v118, 10, 0x2000
	s_delay_alu instid0(VALU_DEP_1) | instskip(NEXT) | instid1(VALU_DEP_1)
	v_and_or_b32 v0, 0x8000, v0, v14
	v_lshl_or_b32 v0, v13, 7, v0
	s_delay_alu instid0(VALU_DEP_1)
	v_cvt_f32_f16_e32 v118, v0
.LBB322_1185:                           ;   in Loop: Header=BB322_808 Depth=1
	s_or_b32 exec_lo, exec_lo, s15
.LBB322_1186:                           ;   in Loop: Header=BB322_808 Depth=1
	s_delay_alu instid0(SALU_CYCLE_1)
	s_or_b32 exec_lo, exec_lo, s13
.LBB322_1187:                           ;   in Loop: Header=BB322_808 Depth=1
	s_delay_alu instid0(SALU_CYCLE_1) | instskip(SKIP_3) | instid1(VALU_DEP_2)
	s_or_b32 exec_lo, exec_lo, s12
	v_lshrrev_b32_e32 v128, 16, v12
	v_mov_b32_e32 v13, 0
	s_mov_b32 s12, exec_lo
	v_dual_mov_b32 v119, 0 :: v_dual_and_b32 v0, 0xff, v128
	s_delay_alu instid0(VALU_DEP_1)
	v_cmpx_ne_u16_e32 0, v0
	s_cbranch_execz .LBB322_1195
; %bb.1188:                             ;   in Loop: Header=BB322_808 Depth=1
	v_bfrev_b32_e32 v13, 1
	s_mov_b32 s13, exec_lo
	v_cmpx_ne_u16_e32 0x80, v0
	s_cbranch_execz .LBB322_1194
; %bb.1189:                             ;   in Loop: Header=BB322_808 Depth=1
	v_bfe_u32 v14, v12, 16, 7
	v_mov_b32_e32 v13, 0x7fc02000
	s_mov_b32 s15, exec_lo
	s_delay_alu instid0(VALU_DEP_2)
	v_cmpx_ne_u32_e32 0x7f, v14
	s_cbranch_execz .LBB322_1193
; %bb.1190:                             ;   in Loop: Header=BB322_808 Depth=1
	v_and_b32_e32 v0, 7, v128
	v_lshrrev_b32_e32 v129, 3, v14
	v_cmp_gt_u32_e64 s0, 8, v14
	s_delay_alu instid0(VALU_DEP_3) | instskip(NEXT) | instid1(VALU_DEP_2)
	v_dual_mov_b32 v14, v1 :: v_dual_mov_b32 v13, v0
	s_and_saveexec_b32 s16, s0
; %bb.1191:                             ;   in Loop: Header=BB322_808 Depth=1
	v_clz_i32_u32_e32 v13, v0
	s_delay_alu instid0(VALU_DEP_1) | instskip(NEXT) | instid1(VALU_DEP_1)
	v_min_u32_e32 v129, 32, v13
	v_subrev_nc_u32_e32 v13, 28, v129
	v_sub_nc_u32_e32 v129, 29, v129
	s_delay_alu instid0(VALU_DEP_2) | instskip(NEXT) | instid1(VALU_DEP_1)
	v_lshlrev_b64 v[13:14], v13, v[0:1]
	v_and_b32_e32 v13, 7, v13
; %bb.1192:                             ;   in Loop: Header=BB322_808 Depth=1
	s_or_b32 exec_lo, exec_lo, s16
	v_lshlrev_b32_e32 v0, 8, v128
	v_lshl_add_u32 v14, v129, 10, 0x2000
	s_delay_alu instid0(VALU_DEP_1) | instskip(NEXT) | instid1(VALU_DEP_1)
	v_and_or_b32 v0, 0x8000, v0, v14
	v_lshl_or_b32 v0, v13, 7, v0
	s_delay_alu instid0(VALU_DEP_1)
	v_cvt_f32_f16_e32 v13, v0
.LBB322_1193:                           ;   in Loop: Header=BB322_808 Depth=1
	s_or_b32 exec_lo, exec_lo, s15
.LBB322_1194:                           ;   in Loop: Header=BB322_808 Depth=1
	s_delay_alu instid0(SALU_CYCLE_1)
	s_or_b32 exec_lo, exec_lo, s13
.LBB322_1195:                           ;   in Loop: Header=BB322_808 Depth=1
	s_delay_alu instid0(SALU_CYCLE_1) | instskip(NEXT) | instid1(SALU_CYCLE_1)
	s_or_b32 exec_lo, exec_lo, s12
	s_mov_b32 s12, exec_lo
	v_cmpx_lt_u64_e64 s[8:9], v[11:12]
	s_cbranch_execz .LBB322_1203
; %bb.1196:                             ;   in Loop: Header=BB322_808 Depth=1
	v_lshrrev_b32_e32 v14, 24, v12
	v_bfrev_b32_e32 v119, 1
	s_mov_b32 s13, exec_lo
	s_delay_alu instid0(VALU_DEP_2)
	v_cmpx_ne_u32_e32 0x80, v14
	s_cbranch_execz .LBB322_1202
; %bb.1197:                             ;   in Loop: Header=BB322_808 Depth=1
	v_and_b32_e32 v11, 0x7f, v14
	v_mov_b32_e32 v119, 0x7fc02000
	s_mov_b32 s15, exec_lo
	s_delay_alu instid0(VALU_DEP_2)
	v_cmpx_ne_u32_e32 0x7f, v11
	s_cbranch_execz .LBB322_1201
; %bb.1198:                             ;   in Loop: Header=BB322_808 Depth=1
	v_and_b32_e32 v0, 7, v14
	v_lshrrev_b32_e32 v119, 3, v11
	v_cmp_gt_u32_e64 s0, 8, v11
	s_delay_alu instid0(VALU_DEP_3) | instskip(NEXT) | instid1(VALU_DEP_2)
	v_dual_mov_b32 v12, v1 :: v_dual_mov_b32 v11, v0
	s_and_saveexec_b32 s16, s0
; %bb.1199:                             ;   in Loop: Header=BB322_808 Depth=1
	v_clz_i32_u32_e32 v11, v0
	s_delay_alu instid0(VALU_DEP_1) | instskip(NEXT) | instid1(VALU_DEP_1)
	v_min_u32_e32 v119, 32, v11
	v_subrev_nc_u32_e32 v11, 28, v119
	v_sub_nc_u32_e32 v119, 29, v119
	s_delay_alu instid0(VALU_DEP_2) | instskip(NEXT) | instid1(VALU_DEP_1)
	v_lshlrev_b64 v[11:12], v11, v[0:1]
	v_and_b32_e32 v11, 7, v11
; %bb.1200:                             ;   in Loop: Header=BB322_808 Depth=1
	s_or_b32 exec_lo, exec_lo, s16
	v_lshlrev_b32_e32 v0, 8, v14
	v_lshl_add_u32 v12, v119, 10, 0x2000
	s_delay_alu instid0(VALU_DEP_1) | instskip(NEXT) | instid1(VALU_DEP_1)
	v_and_or_b32 v0, 0x8000, v0, v12
	v_lshl_or_b32 v0, v11, 7, v0
	s_delay_alu instid0(VALU_DEP_1)
	v_cvt_f32_f16_e32 v119, v0
.LBB322_1201:                           ;   in Loop: Header=BB322_808 Depth=1
	s_or_b32 exec_lo, exec_lo, s15
.LBB322_1202:                           ;   in Loop: Header=BB322_808 Depth=1
	s_delay_alu instid0(SALU_CYCLE_1)
	s_or_b32 exec_lo, exec_lo, s13
.LBB322_1203:                           ;   in Loop: Header=BB322_808 Depth=1
	s_delay_alu instid0(SALU_CYCLE_1)
	s_or_b32 exec_lo, exec_lo, s12
	s_waitcnt vmcnt(0) lgkmcnt(0)
	v_fma_mixlo_f16 v12, v112, v114, 0
	v_fma_mixlo_f16 v0, v112, v116, 0
	v_fma_mixlo_f16 v11, v112, v115, 0
	v_fma_mixlo_f16 v113, v112, v113, 0
	v_fma_mixlo_f16 v114, v112, v118, 0
	v_lshlrev_b32_e32 v14, 16, v12
	v_fma_mixlo_f16 v115, v112, v117, 0
	v_fma_mixlo_f16 v116, v112, v119, 0
	v_fma_mixlo_f16 v12, v112, v13, 0
	v_lshlrev_b32_e32 v0, 16, v0
	v_and_b32_e32 v11, 0xffff, v11
	v_and_b32_e32 v112, 0xffff, v113
	v_lshlrev_b32_e32 v113, 16, v114
	v_and_b32_e32 v114, 0xffff, v115
	v_lshlrev_b32_e32 v115, 16, v116
	v_and_b32_e32 v116, 0xffff, v12
	v_or_b32_e32 v13, v0, v11
	v_or_b32_e32 v14, v14, v112
	v_or_b32_e32 v0, v113, v114
	s_delay_alu instid0(VALU_DEP_4)
	v_or_b32_e32 v11, v115, v116
	s_and_saveexec_b32 s12, vcc_lo
	s_cbranch_execz .LBB322_1205
; %bb.1204:                             ;   in Loop: Header=BB322_808 Depth=1
	v_cmp_lt_i32_e64 s0, v18, v37
	v_lshrrev_b32_e32 v112, 16, v14
	v_lshrrev_b32_e32 v113, 16, v13
	;; [unrolled: 1-line block ×4, first 2 shown]
	v_cndmask_b32_e64 v14, 0, v14, s0
	v_cmp_lt_i32_e64 s0, v84, v53
	s_delay_alu instid0(VALU_DEP_1) | instskip(SKIP_1) | instid1(VALU_DEP_2)
	v_cndmask_b32_e64 v112, 0, v112, s0
	v_cmp_lt_i32_e64 s0, v83, v53
	v_perm_b32 v14, v112, v14, 0x5040100
	s_delay_alu instid0(VALU_DEP_2) | instskip(SKIP_1) | instid1(VALU_DEP_1)
	v_cndmask_b32_e64 v113, 0, v113, s0
	v_cmp_lt_i32_e64 s0, v71, v37
	v_cndmask_b32_e64 v13, 0, v13, s0
	v_cmp_lt_i32_e64 s0, v70, v53
	s_delay_alu instid0(VALU_DEP_2) | instskip(NEXT) | instid1(VALU_DEP_2)
	v_perm_b32 v13, v113, v13, 0x5040100
	v_cndmask_b32_e64 v114, 0, v114, s0
	v_cmp_lt_i32_e64 s0, v69, v37
	s_delay_alu instid0(VALU_DEP_1) | instskip(SKIP_1) | instid1(VALU_DEP_2)
	v_cndmask_b32_e64 v0, 0, v0, s0
	v_cmp_lt_i32_e64 s0, v64, v53
	v_perm_b32 v0, v114, v0, 0x5040100
	s_delay_alu instid0(VALU_DEP_2) | instskip(SKIP_1) | instid1(VALU_DEP_1)
	v_cndmask_b32_e64 v11, 0, v11, s0
	v_cmp_lt_i32_e64 s0, v19, v37
	v_cndmask_b32_e64 v12, 0, v12, s0
	s_delay_alu instid0(VALU_DEP_1)
	v_perm_b32 v11, v11, v12, 0x5040100
.LBB322_1205:                           ;   in Loop: Header=BB322_808 Depth=1
	s_or_b32 exec_lo, exec_lo, s12
	;;#ASMSTART
	v_pk_mul_f16 v12, v87, v14;

	;;#ASMEND
	;;#ASMSTART
	v_pk_mul_f16 v13, v86, v13;

	;;#ASMEND
	;; [unrolled: 4-line block ×4, first 2 shown]
	;;#ASMSTART
	v_pk_add_f16 v12, v12, v13;

	;;#ASMEND
	;;#ASMSTART
	v_pk_add_f16 v0, v12, v0;

	;;#ASMEND
	;; [unrolled: 4-line block ×3, first 2 shown]
	v_dual_mov_b32 v116, 0 :: v_dual_and_b32 v11, 0xffff, v0
	v_lshrrev_b32_e32 v0, 16, v0
	;;#ASMSTART
	v_cvt_f32_f16 v112, v11;
	;;#ASMEND
	;;#ASMSTART
	v_cvt_f32_f16 v113, v0;
	;;#ASMEND
	flat_load_b64 v[11:12], v[9:10] offset:1536
	flat_load_b32 v114, v[26:27]
	s_mov_b32 s12, exec_lo
	s_waitcnt vmcnt(1) lgkmcnt(1)
	v_dual_mov_b32 v115, 0 :: v_dual_and_b32 v0, 0xff, v11
	s_delay_alu instid0(VALU_DEP_1)
	v_cmpx_ne_u16_e32 0, v0
	s_cbranch_execz .LBB322_1213
; %bb.1206:                             ;   in Loop: Header=BB322_808 Depth=1
	v_bfrev_b32_e32 v115, 1
	s_mov_b32 s13, exec_lo
	v_cmpx_ne_u16_e32 0x80, v0
	s_cbranch_execz .LBB322_1212
; %bb.1207:                             ;   in Loop: Header=BB322_808 Depth=1
	v_and_b32_e32 v13, 0x7f, v11
	v_mov_b32_e32 v115, 0x7fc02000
	s_mov_b32 s15, exec_lo
	s_delay_alu instid0(VALU_DEP_2)
	v_cmpx_ne_u32_e32 0x7f, v13
	s_cbranch_execz .LBB322_1211
; %bb.1208:                             ;   in Loop: Header=BB322_808 Depth=1
	v_lshrrev_b32_e32 v0, 3, v13
	v_cmp_gt_u32_e64 s0, 8, v13
	v_dual_mov_b32 v14, v12 :: v_dual_mov_b32 v13, v11
	s_delay_alu instid0(VALU_DEP_2)
	s_and_saveexec_b32 s16, s0
; %bb.1209:                             ;   in Loop: Header=BB322_808 Depth=1
	v_and_b32_e32 v0, 7, v11
	s_delay_alu instid0(VALU_DEP_1) | instskip(NEXT) | instid1(VALU_DEP_1)
	v_clz_i32_u32_e32 v0, v0
	v_min_u32_e32 v0, 32, v0
	s_delay_alu instid0(VALU_DEP_1) | instskip(SKIP_1) | instid1(VALU_DEP_2)
	v_subrev_nc_u32_e32 v13, 28, v0
	v_sub_nc_u32_e32 v0, 29, v0
	v_lshlrev_b64 v[13:14], v13, v[11:12]
; %bb.1210:                             ;   in Loop: Header=BB322_808 Depth=1
	s_or_b32 exec_lo, exec_lo, s16
	v_lshlrev_b32_e32 v14, 8, v11
	s_delay_alu instid0(VALU_DEP_3) | instskip(NEXT) | instid1(VALU_DEP_3)
	v_lshl_add_u32 v0, v0, 10, 0x2000
	v_lshlrev_b32_e32 v13, 7, v13
	s_delay_alu instid0(VALU_DEP_2) | instskip(NEXT) | instid1(VALU_DEP_1)
	v_and_or_b32 v0, 0x8000, v14, v0
	v_and_or_b32 v0, 0x380, v13, v0
	s_delay_alu instid0(VALU_DEP_1)
	v_cvt_f32_f16_e32 v115, v0
.LBB322_1211:                           ;   in Loop: Header=BB322_808 Depth=1
	s_or_b32 exec_lo, exec_lo, s15
.LBB322_1212:                           ;   in Loop: Header=BB322_808 Depth=1
	s_delay_alu instid0(SALU_CYCLE_1)
	s_or_b32 exec_lo, exec_lo, s13
.LBB322_1213:                           ;   in Loop: Header=BB322_808 Depth=1
	s_delay_alu instid0(SALU_CYCLE_1) | instskip(SKIP_2) | instid1(VALU_DEP_1)
	s_or_b32 exec_lo, exec_lo, s12
	v_lshrrev_b16 v0, 8, v11
	s_mov_b32 s12, exec_lo
	v_cmpx_ne_u16_e32 0, v0
	s_cbranch_execz .LBB322_1221
; %bb.1214:                             ;   in Loop: Header=BB322_808 Depth=1
	v_bfrev_b32_e32 v116, 1
	s_mov_b32 s13, exec_lo
	v_cmpx_ne_u16_e32 0x80, v0
	s_cbranch_execz .LBB322_1220
; %bb.1215:                             ;   in Loop: Header=BB322_808 Depth=1
	v_and_b32_e32 v117, 0xffff, v0
	v_mov_b32_e32 v116, 0x7fc02000
	s_mov_b32 s15, exec_lo
	s_delay_alu instid0(VALU_DEP_2) | instskip(NEXT) | instid1(VALU_DEP_1)
	v_and_b32_e32 v13, 0x7f, v117
	v_cmpx_ne_u32_e32 0x7f, v13
	s_cbranch_execz .LBB322_1219
; %bb.1216:                             ;   in Loop: Header=BB322_808 Depth=1
	v_and_b32_e32 v0, 7, v117
	v_lshrrev_b32_e32 v116, 3, v13
	v_cmp_gt_u32_e64 s0, 8, v13
	s_delay_alu instid0(VALU_DEP_3) | instskip(NEXT) | instid1(VALU_DEP_2)
	v_dual_mov_b32 v14, v1 :: v_dual_mov_b32 v13, v0
	s_and_saveexec_b32 s16, s0
; %bb.1217:                             ;   in Loop: Header=BB322_808 Depth=1
	v_clz_i32_u32_e32 v13, v0
	s_delay_alu instid0(VALU_DEP_1) | instskip(NEXT) | instid1(VALU_DEP_1)
	v_min_u32_e32 v116, 32, v13
	v_subrev_nc_u32_e32 v13, 28, v116
	v_sub_nc_u32_e32 v116, 29, v116
	s_delay_alu instid0(VALU_DEP_2) | instskip(NEXT) | instid1(VALU_DEP_1)
	v_lshlrev_b64 v[13:14], v13, v[0:1]
	v_and_b32_e32 v13, 7, v13
; %bb.1218:                             ;   in Loop: Header=BB322_808 Depth=1
	s_or_b32 exec_lo, exec_lo, s16
	v_lshlrev_b32_e32 v0, 8, v117
	v_lshl_add_u32 v14, v116, 10, 0x2000
	s_delay_alu instid0(VALU_DEP_1) | instskip(NEXT) | instid1(VALU_DEP_1)
	v_and_or_b32 v0, 0x8000, v0, v14
	v_lshl_or_b32 v0, v13, 7, v0
	s_delay_alu instid0(VALU_DEP_1)
	v_cvt_f32_f16_e32 v116, v0
.LBB322_1219:                           ;   in Loop: Header=BB322_808 Depth=1
	s_or_b32 exec_lo, exec_lo, s15
.LBB322_1220:                           ;   in Loop: Header=BB322_808 Depth=1
	s_delay_alu instid0(SALU_CYCLE_1)
	s_or_b32 exec_lo, exec_lo, s13
.LBB322_1221:                           ;   in Loop: Header=BB322_808 Depth=1
	s_delay_alu instid0(SALU_CYCLE_1) | instskip(SKIP_3) | instid1(VALU_DEP_2)
	s_or_b32 exec_lo, exec_lo, s12
	v_lshrrev_b32_e32 v119, 16, v11
	v_mov_b32_e32 v118, 0
	s_mov_b32 s12, exec_lo
	v_dual_mov_b32 v117, 0 :: v_dual_and_b32 v0, 0xff, v119
	s_delay_alu instid0(VALU_DEP_1)
	v_cmpx_ne_u16_e32 0, v0
	s_cbranch_execz .LBB322_1229
; %bb.1222:                             ;   in Loop: Header=BB322_808 Depth=1
	v_bfrev_b32_e32 v117, 1
	s_mov_b32 s13, exec_lo
	v_cmpx_ne_u16_e32 0x80, v0
	s_cbranch_execz .LBB322_1228
; %bb.1223:                             ;   in Loop: Header=BB322_808 Depth=1
	v_bfe_u32 v13, v11, 16, 7
	v_mov_b32_e32 v117, 0x7fc02000
	s_mov_b32 s15, exec_lo
	s_delay_alu instid0(VALU_DEP_2)
	v_cmpx_ne_u32_e32 0x7f, v13
	s_cbranch_execz .LBB322_1227
; %bb.1224:                             ;   in Loop: Header=BB322_808 Depth=1
	v_and_b32_e32 v0, 7, v119
	v_lshrrev_b32_e32 v117, 3, v13
	v_cmp_gt_u32_e64 s0, 8, v13
	s_delay_alu instid0(VALU_DEP_3) | instskip(NEXT) | instid1(VALU_DEP_2)
	v_dual_mov_b32 v14, v1 :: v_dual_mov_b32 v13, v0
	s_and_saveexec_b32 s16, s0
; %bb.1225:                             ;   in Loop: Header=BB322_808 Depth=1
	v_clz_i32_u32_e32 v13, v0
	s_delay_alu instid0(VALU_DEP_1) | instskip(NEXT) | instid1(VALU_DEP_1)
	v_min_u32_e32 v117, 32, v13
	v_subrev_nc_u32_e32 v13, 28, v117
	v_sub_nc_u32_e32 v117, 29, v117
	s_delay_alu instid0(VALU_DEP_2) | instskip(NEXT) | instid1(VALU_DEP_1)
	v_lshlrev_b64 v[13:14], v13, v[0:1]
	v_and_b32_e32 v13, 7, v13
; %bb.1226:                             ;   in Loop: Header=BB322_808 Depth=1
	s_or_b32 exec_lo, exec_lo, s16
	v_lshlrev_b32_e32 v0, 8, v119
	v_lshl_add_u32 v14, v117, 10, 0x2000
	s_delay_alu instid0(VALU_DEP_1) | instskip(NEXT) | instid1(VALU_DEP_1)
	v_and_or_b32 v0, 0x8000, v0, v14
	v_lshl_or_b32 v0, v13, 7, v0
	s_delay_alu instid0(VALU_DEP_1)
	v_cvt_f32_f16_e32 v117, v0
.LBB322_1227:                           ;   in Loop: Header=BB322_808 Depth=1
	s_or_b32 exec_lo, exec_lo, s15
.LBB322_1228:                           ;   in Loop: Header=BB322_808 Depth=1
	s_delay_alu instid0(SALU_CYCLE_1)
	s_or_b32 exec_lo, exec_lo, s13
.LBB322_1229:                           ;   in Loop: Header=BB322_808 Depth=1
	s_delay_alu instid0(SALU_CYCLE_1) | instskip(NEXT) | instid1(SALU_CYCLE_1)
	s_or_b32 exec_lo, exec_lo, s12
	s_mov_b32 s12, exec_lo
	v_cmpx_lt_u32_e32 0xffffff, v11
	s_cbranch_execz .LBB322_1237
; %bb.1230:                             ;   in Loop: Header=BB322_808 Depth=1
	v_lshrrev_b32_e32 v119, 24, v11
	v_bfrev_b32_e32 v118, 1
	s_mov_b32 s13, exec_lo
	s_delay_alu instid0(VALU_DEP_2)
	v_cmpx_ne_u32_e32 0x80, v119
	s_cbranch_execz .LBB322_1236
; %bb.1231:                             ;   in Loop: Header=BB322_808 Depth=1
	v_and_b32_e32 v13, 0x7f, v119
	v_mov_b32_e32 v118, 0x7fc02000
	s_mov_b32 s15, exec_lo
	s_delay_alu instid0(VALU_DEP_2)
	v_cmpx_ne_u32_e32 0x7f, v13
	s_cbranch_execz .LBB322_1235
; %bb.1232:                             ;   in Loop: Header=BB322_808 Depth=1
	v_and_b32_e32 v0, 7, v119
	v_lshrrev_b32_e32 v118, 3, v13
	v_cmp_gt_u32_e64 s0, 8, v13
	s_delay_alu instid0(VALU_DEP_3) | instskip(NEXT) | instid1(VALU_DEP_2)
	v_dual_mov_b32 v14, v1 :: v_dual_mov_b32 v13, v0
	s_and_saveexec_b32 s16, s0
; %bb.1233:                             ;   in Loop: Header=BB322_808 Depth=1
	v_clz_i32_u32_e32 v13, v0
	s_delay_alu instid0(VALU_DEP_1) | instskip(NEXT) | instid1(VALU_DEP_1)
	v_min_u32_e32 v118, 32, v13
	v_subrev_nc_u32_e32 v13, 28, v118
	v_sub_nc_u32_e32 v118, 29, v118
	s_delay_alu instid0(VALU_DEP_2) | instskip(NEXT) | instid1(VALU_DEP_1)
	v_lshlrev_b64 v[13:14], v13, v[0:1]
	v_and_b32_e32 v13, 7, v13
; %bb.1234:                             ;   in Loop: Header=BB322_808 Depth=1
	s_or_b32 exec_lo, exec_lo, s16
	v_lshlrev_b32_e32 v0, 8, v119
	v_lshl_add_u32 v14, v118, 10, 0x2000
	s_delay_alu instid0(VALU_DEP_1) | instskip(NEXT) | instid1(VALU_DEP_1)
	v_and_or_b32 v0, 0x8000, v0, v14
	v_lshl_or_b32 v0, v13, 7, v0
	s_delay_alu instid0(VALU_DEP_1)
	v_cvt_f32_f16_e32 v118, v0
.LBB322_1235:                           ;   in Loop: Header=BB322_808 Depth=1
	s_or_b32 exec_lo, exec_lo, s15
.LBB322_1236:                           ;   in Loop: Header=BB322_808 Depth=1
	s_delay_alu instid0(SALU_CYCLE_1)
	s_or_b32 exec_lo, exec_lo, s13
.LBB322_1237:                           ;   in Loop: Header=BB322_808 Depth=1
	s_delay_alu instid0(SALU_CYCLE_1) | instskip(SKIP_3) | instid1(VALU_DEP_2)
	s_or_b32 exec_lo, exec_lo, s12
	v_dual_mov_b32 v0, v12 :: v_dual_and_b32 v13, 0xff, v12
	v_dual_mov_b32 v128, 0 :: v_dual_mov_b32 v119, 0
	s_mov_b32 s12, exec_lo
	v_cmpx_ne_u16_e32 0, v13
	s_cbranch_execz .LBB322_1245
; %bb.1238:                             ;   in Loop: Header=BB322_808 Depth=1
	v_bfrev_b32_e32 v119, 1
	s_mov_b32 s13, exec_lo
	v_cmpx_ne_u16_e32 0x80, v13
	s_cbranch_execz .LBB322_1244
; %bb.1239:                             ;   in Loop: Header=BB322_808 Depth=1
	v_and_b32_e32 v13, 0x7f, v12
	v_mov_b32_e32 v119, 0x7fc02000
	s_mov_b32 s15, exec_lo
	s_delay_alu instid0(VALU_DEP_2)
	v_cmpx_ne_u32_e32 0x7f, v13
	s_cbranch_execz .LBB322_1243
; %bb.1240:                             ;   in Loop: Header=BB322_808 Depth=1
	v_lshrrev_b32_e32 v119, 3, v13
	v_cmp_gt_u32_e64 s0, 8, v13
	v_dual_mov_b32 v14, v1 :: v_dual_mov_b32 v13, v0
	s_delay_alu instid0(VALU_DEP_2)
	s_and_saveexec_b32 s16, s0
; %bb.1241:                             ;   in Loop: Header=BB322_808 Depth=1
	v_and_b32_e32 v13, 7, v12
	s_delay_alu instid0(VALU_DEP_1) | instskip(NEXT) | instid1(VALU_DEP_1)
	v_clz_i32_u32_e32 v13, v13
	v_min_u32_e32 v119, 32, v13
	s_delay_alu instid0(VALU_DEP_1) | instskip(SKIP_1) | instid1(VALU_DEP_2)
	v_subrev_nc_u32_e32 v13, 28, v119
	v_sub_nc_u32_e32 v119, 29, v119
	v_lshlrev_b64 v[13:14], v13, v[0:1]
; %bb.1242:                             ;   in Loop: Header=BB322_808 Depth=1
	s_or_b32 exec_lo, exec_lo, s16
	v_lshlrev_b32_e32 v14, 8, v12
	s_delay_alu instid0(VALU_DEP_3) | instskip(NEXT) | instid1(VALU_DEP_3)
	v_lshl_add_u32 v119, v119, 10, 0x2000
	v_lshlrev_b32_e32 v13, 7, v13
	s_delay_alu instid0(VALU_DEP_2) | instskip(NEXT) | instid1(VALU_DEP_1)
	v_and_or_b32 v14, 0x8000, v14, v119
	v_and_or_b32 v13, 0x380, v13, v14
	s_delay_alu instid0(VALU_DEP_1)
	v_cvt_f32_f16_e32 v119, v13
.LBB322_1243:                           ;   in Loop: Header=BB322_808 Depth=1
	s_or_b32 exec_lo, exec_lo, s15
.LBB322_1244:                           ;   in Loop: Header=BB322_808 Depth=1
	s_delay_alu instid0(SALU_CYCLE_1)
	s_or_b32 exec_lo, exec_lo, s13
.LBB322_1245:                           ;   in Loop: Header=BB322_808 Depth=1
	s_delay_alu instid0(SALU_CYCLE_1) | instskip(SKIP_2) | instid1(VALU_DEP_1)
	s_or_b32 exec_lo, exec_lo, s12
	v_lshrrev_b16 v0, 8, v0
	s_mov_b32 s12, exec_lo
	v_cmpx_ne_u16_e32 0, v0
	s_cbranch_execz .LBB322_1253
; %bb.1246:                             ;   in Loop: Header=BB322_808 Depth=1
	v_bfrev_b32_e32 v128, 1
	s_mov_b32 s13, exec_lo
	v_cmpx_ne_u16_e32 0x80, v0
	s_cbranch_execz .LBB322_1252
; %bb.1247:                             ;   in Loop: Header=BB322_808 Depth=1
	v_and_b32_e32 v129, 0xffff, v0
	v_mov_b32_e32 v128, 0x7fc02000
	s_mov_b32 s15, exec_lo
	s_delay_alu instid0(VALU_DEP_2) | instskip(NEXT) | instid1(VALU_DEP_1)
	v_and_b32_e32 v13, 0x7f, v129
	v_cmpx_ne_u32_e32 0x7f, v13
	s_cbranch_execz .LBB322_1251
; %bb.1248:                             ;   in Loop: Header=BB322_808 Depth=1
	v_and_b32_e32 v0, 7, v129
	v_lshrrev_b32_e32 v128, 3, v13
	v_cmp_gt_u32_e64 s0, 8, v13
	s_delay_alu instid0(VALU_DEP_3) | instskip(NEXT) | instid1(VALU_DEP_2)
	v_dual_mov_b32 v14, v1 :: v_dual_mov_b32 v13, v0
	s_and_saveexec_b32 s16, s0
; %bb.1249:                             ;   in Loop: Header=BB322_808 Depth=1
	v_clz_i32_u32_e32 v13, v0
	s_delay_alu instid0(VALU_DEP_1) | instskip(NEXT) | instid1(VALU_DEP_1)
	v_min_u32_e32 v128, 32, v13
	v_subrev_nc_u32_e32 v13, 28, v128
	v_sub_nc_u32_e32 v128, 29, v128
	s_delay_alu instid0(VALU_DEP_2) | instskip(NEXT) | instid1(VALU_DEP_1)
	v_lshlrev_b64 v[13:14], v13, v[0:1]
	v_and_b32_e32 v13, 7, v13
; %bb.1250:                             ;   in Loop: Header=BB322_808 Depth=1
	s_or_b32 exec_lo, exec_lo, s16
	v_lshlrev_b32_e32 v0, 8, v129
	v_lshl_add_u32 v14, v128, 10, 0x2000
	s_delay_alu instid0(VALU_DEP_1) | instskip(NEXT) | instid1(VALU_DEP_1)
	v_and_or_b32 v0, 0x8000, v0, v14
	v_lshl_or_b32 v0, v13, 7, v0
	s_delay_alu instid0(VALU_DEP_1)
	v_cvt_f32_f16_e64 v128, v0
.LBB322_1251:                           ;   in Loop: Header=BB322_808 Depth=1
	s_or_b32 exec_lo, exec_lo, s15
.LBB322_1252:                           ;   in Loop: Header=BB322_808 Depth=1
	s_delay_alu instid0(SALU_CYCLE_1)
	s_or_b32 exec_lo, exec_lo, s13
.LBB322_1253:                           ;   in Loop: Header=BB322_808 Depth=1
	s_delay_alu instid0(SALU_CYCLE_1) | instskip(SKIP_3) | instid1(VALU_DEP_2)
	s_or_b32 exec_lo, exec_lo, s12
	v_lshrrev_b32_e32 v130, 16, v12
	v_mov_b32_e32 v13, 0
	s_mov_b32 s12, exec_lo
	v_dual_mov_b32 v129, 0 :: v_dual_and_b32 v0, 0xff, v130
	s_delay_alu instid0(VALU_DEP_1)
	v_cmpx_ne_u16_e32 0, v0
	s_cbranch_execz .LBB322_1261
; %bb.1254:                             ;   in Loop: Header=BB322_808 Depth=1
	v_bfrev_b32_e32 v13, 1
	s_mov_b32 s13, exec_lo
	v_cmpx_ne_u16_e32 0x80, v0
	s_cbranch_execz .LBB322_1260
; %bb.1255:                             ;   in Loop: Header=BB322_808 Depth=1
	v_bfe_u32 v14, v12, 16, 7
	v_mov_b32_e32 v13, 0x7fc02000
	s_mov_b32 s15, exec_lo
	s_delay_alu instid0(VALU_DEP_2)
	v_cmpx_ne_u32_e32 0x7f, v14
	s_cbranch_execz .LBB322_1259
; %bb.1256:                             ;   in Loop: Header=BB322_808 Depth=1
	v_and_b32_e32 v0, 7, v130
	v_lshrrev_b32_e32 v131, 3, v14
	v_cmp_gt_u32_e64 s0, 8, v14
	s_delay_alu instid0(VALU_DEP_3) | instskip(NEXT) | instid1(VALU_DEP_2)
	v_dual_mov_b32 v14, v1 :: v_dual_mov_b32 v13, v0
	s_and_saveexec_b32 s16, s0
; %bb.1257:                             ;   in Loop: Header=BB322_808 Depth=1
	v_clz_i32_u32_e32 v13, v0
	s_delay_alu instid0(VALU_DEP_1) | instskip(NEXT) | instid1(VALU_DEP_1)
	v_min_u32_e32 v131, 32, v13
	v_subrev_nc_u32_e32 v13, 28, v131
	v_sub_nc_u32_e32 v131, 29, v131
	s_delay_alu instid0(VALU_DEP_2) | instskip(NEXT) | instid1(VALU_DEP_1)
	v_lshlrev_b64 v[13:14], v13, v[0:1]
	v_and_b32_e32 v13, 7, v13
; %bb.1258:                             ;   in Loop: Header=BB322_808 Depth=1
	s_or_b32 exec_lo, exec_lo, s16
	v_lshlrev_b32_e32 v0, 8, v130
	v_lshl_add_u32 v14, v131, 10, 0x2000
	s_delay_alu instid0(VALU_DEP_1) | instskip(NEXT) | instid1(VALU_DEP_1)
	v_and_or_b32 v0, 0x8000, v0, v14
	v_lshl_or_b32 v0, v13, 7, v0
	s_delay_alu instid0(VALU_DEP_1)
	v_cvt_f32_f16_e32 v13, v0
.LBB322_1259:                           ;   in Loop: Header=BB322_808 Depth=1
	s_or_b32 exec_lo, exec_lo, s15
.LBB322_1260:                           ;   in Loop: Header=BB322_808 Depth=1
	s_delay_alu instid0(SALU_CYCLE_1)
	s_or_b32 exec_lo, exec_lo, s13
.LBB322_1261:                           ;   in Loop: Header=BB322_808 Depth=1
	s_delay_alu instid0(SALU_CYCLE_1) | instskip(NEXT) | instid1(SALU_CYCLE_1)
	s_or_b32 exec_lo, exec_lo, s12
	s_mov_b32 s12, exec_lo
	v_cmpx_lt_u64_e64 s[8:9], v[11:12]
	s_cbranch_execz .LBB322_1269
; %bb.1262:                             ;   in Loop: Header=BB322_808 Depth=1
	v_lshrrev_b32_e32 v14, 24, v12
	v_bfrev_b32_e32 v129, 1
	s_mov_b32 s13, exec_lo
	s_delay_alu instid0(VALU_DEP_2)
	v_cmpx_ne_u32_e32 0x80, v14
	s_cbranch_execz .LBB322_1268
; %bb.1263:                             ;   in Loop: Header=BB322_808 Depth=1
	v_and_b32_e32 v11, 0x7f, v14
	v_mov_b32_e32 v129, 0x7fc02000
	s_mov_b32 s15, exec_lo
	s_delay_alu instid0(VALU_DEP_2)
	v_cmpx_ne_u32_e32 0x7f, v11
	s_cbranch_execz .LBB322_1267
; %bb.1264:                             ;   in Loop: Header=BB322_808 Depth=1
	v_and_b32_e32 v0, 7, v14
	v_lshrrev_b32_e32 v129, 3, v11
	v_cmp_gt_u32_e64 s0, 8, v11
	s_delay_alu instid0(VALU_DEP_3) | instskip(NEXT) | instid1(VALU_DEP_2)
	v_dual_mov_b32 v12, v1 :: v_dual_mov_b32 v11, v0
	s_and_saveexec_b32 s16, s0
; %bb.1265:                             ;   in Loop: Header=BB322_808 Depth=1
	v_clz_i32_u32_e32 v11, v0
	s_delay_alu instid0(VALU_DEP_1) | instskip(NEXT) | instid1(VALU_DEP_1)
	v_min_u32_e32 v129, 32, v11
	v_subrev_nc_u32_e32 v11, 28, v129
	v_sub_nc_u32_e32 v129, 29, v129
	s_delay_alu instid0(VALU_DEP_2) | instskip(NEXT) | instid1(VALU_DEP_1)
	v_lshlrev_b64 v[11:12], v11, v[0:1]
	v_and_b32_e32 v11, 7, v11
; %bb.1266:                             ;   in Loop: Header=BB322_808 Depth=1
	s_or_b32 exec_lo, exec_lo, s16
	v_lshlrev_b32_e32 v0, 8, v14
	v_lshl_add_u32 v12, v129, 10, 0x2000
	s_delay_alu instid0(VALU_DEP_1) | instskip(NEXT) | instid1(VALU_DEP_1)
	v_and_or_b32 v0, 0x8000, v0, v12
	v_lshl_or_b32 v0, v11, 7, v0
	s_delay_alu instid0(VALU_DEP_1)
	v_cvt_f32_f16_e64 v129, v0
.LBB322_1267:                           ;   in Loop: Header=BB322_808 Depth=1
	s_or_b32 exec_lo, exec_lo, s15
.LBB322_1268:                           ;   in Loop: Header=BB322_808 Depth=1
	s_delay_alu instid0(SALU_CYCLE_1)
	s_or_b32 exec_lo, exec_lo, s13
.LBB322_1269:                           ;   in Loop: Header=BB322_808 Depth=1
	s_delay_alu instid0(SALU_CYCLE_1)
	s_or_b32 exec_lo, exec_lo, s12
	s_waitcnt vmcnt(0) lgkmcnt(0)
	v_fma_mixlo_f16 v12, v114, v116, 0
	v_fma_mixlo_f16 v0, v114, v118, 0
	;; [unrolled: 1-line block ×5, first 2 shown]
	v_lshlrev_b32_e32 v14, 16, v12
	v_fma_mixlo_f16 v117, v114, v119, 0
	v_fma_mixlo_f16 v118, v114, v129, 0
	;; [unrolled: 1-line block ×3, first 2 shown]
	v_lshlrev_b32_e32 v0, 16, v0
	v_and_b32_e32 v11, 0xffff, v11
	v_and_b32_e32 v114, 0xffff, v115
	v_lshlrev_b32_e32 v115, 16, v116
	v_and_b32_e32 v116, 0xffff, v117
	v_lshlrev_b32_e32 v117, 16, v118
	v_and_b32_e32 v118, 0xffff, v12
	v_or_b32_e32 v13, v0, v11
	v_or_b32_e32 v14, v14, v114
	;; [unrolled: 1-line block ×3, first 2 shown]
	s_delay_alu instid0(VALU_DEP_4)
	v_or_b32_e32 v11, v117, v118
	s_and_saveexec_b32 s12, vcc_lo
	s_cbranch_execz .LBB322_1271
; %bb.1270:                             ;   in Loop: Header=BB322_808 Depth=1
	v_cmp_lt_i32_e64 s0, v18, v37
	v_lshrrev_b32_e32 v114, 16, v14
	v_lshrrev_b32_e32 v115, 16, v13
	;; [unrolled: 1-line block ×4, first 2 shown]
	v_cndmask_b32_e64 v14, 0, v14, s0
	v_cmp_lt_i32_e64 s0, v84, v53
	s_delay_alu instid0(VALU_DEP_1) | instskip(SKIP_1) | instid1(VALU_DEP_2)
	v_cndmask_b32_e64 v114, 0, v114, s0
	v_cmp_lt_i32_e64 s0, v83, v53
	v_perm_b32 v14, v114, v14, 0x5040100
	s_delay_alu instid0(VALU_DEP_2) | instskip(SKIP_1) | instid1(VALU_DEP_1)
	v_cndmask_b32_e64 v115, 0, v115, s0
	v_cmp_lt_i32_e64 s0, v71, v37
	v_cndmask_b32_e64 v13, 0, v13, s0
	v_cmp_lt_i32_e64 s0, v70, v53
	s_delay_alu instid0(VALU_DEP_2) | instskip(NEXT) | instid1(VALU_DEP_2)
	v_perm_b32 v13, v115, v13, 0x5040100
	v_cndmask_b32_e64 v116, 0, v116, s0
	v_cmp_lt_i32_e64 s0, v69, v37
	s_delay_alu instid0(VALU_DEP_1) | instskip(SKIP_1) | instid1(VALU_DEP_2)
	v_cndmask_b32_e64 v0, 0, v0, s0
	v_cmp_lt_i32_e64 s0, v64, v53
	v_perm_b32 v0, v116, v0, 0x5040100
	s_delay_alu instid0(VALU_DEP_2) | instskip(SKIP_1) | instid1(VALU_DEP_1)
	v_cndmask_b32_e64 v11, 0, v11, s0
	v_cmp_lt_i32_e64 s0, v19, v37
	v_cndmask_b32_e64 v12, 0, v12, s0
	s_delay_alu instid0(VALU_DEP_1)
	v_perm_b32 v11, v11, v12, 0x5040100
.LBB322_1271:                           ;   in Loop: Header=BB322_808 Depth=1
	s_or_b32 exec_lo, exec_lo, s12
	;;#ASMSTART
	v_pk_mul_f16 v12, v87, v14;

	;;#ASMEND
	;;#ASMSTART
	v_pk_mul_f16 v13, v86, v13;

	;;#ASMEND
	;; [unrolled: 4-line block ×4, first 2 shown]
	;;#ASMSTART
	v_pk_add_f16 v12, v12, v13;

	;;#ASMEND
	;;#ASMSTART
	v_pk_add_f16 v0, v12, v0;

	;;#ASMEND
	;; [unrolled: 4-line block ×3, first 2 shown]
	v_dual_mov_b32 v118, 0 :: v_dual_and_b32 v11, 0xffff, v0
	v_lshrrev_b32_e32 v0, 16, v0
	;;#ASMSTART
	v_cvt_f32_f16 v114, v11;
	;;#ASMEND
	;;#ASMSTART
	v_cvt_f32_f16 v115, v0;
	;;#ASMEND
	flat_load_b64 v[11:12], v[9:10] offset:1792
	flat_load_b32 v116, v[26:27]
	s_mov_b32 s12, exec_lo
	s_waitcnt vmcnt(1) lgkmcnt(1)
	v_dual_mov_b32 v117, 0 :: v_dual_and_b32 v0, 0xff, v11
	s_delay_alu instid0(VALU_DEP_1)
	v_cmpx_ne_u16_e32 0, v0
	s_cbranch_execz .LBB322_1279
; %bb.1272:                             ;   in Loop: Header=BB322_808 Depth=1
	v_bfrev_b32_e32 v117, 1
	s_mov_b32 s13, exec_lo
	v_cmpx_ne_u16_e32 0x80, v0
	s_cbranch_execz .LBB322_1278
; %bb.1273:                             ;   in Loop: Header=BB322_808 Depth=1
	v_and_b32_e32 v13, 0x7f, v11
	v_mov_b32_e32 v117, 0x7fc02000
	s_mov_b32 s15, exec_lo
	s_delay_alu instid0(VALU_DEP_2)
	v_cmpx_ne_u32_e32 0x7f, v13
	s_cbranch_execz .LBB322_1277
; %bb.1274:                             ;   in Loop: Header=BB322_808 Depth=1
	v_lshrrev_b32_e32 v0, 3, v13
	v_cmp_gt_u32_e64 s0, 8, v13
	v_dual_mov_b32 v14, v12 :: v_dual_mov_b32 v13, v11
	s_delay_alu instid0(VALU_DEP_2)
	s_and_saveexec_b32 s16, s0
; %bb.1275:                             ;   in Loop: Header=BB322_808 Depth=1
	v_and_b32_e32 v0, 7, v11
	s_delay_alu instid0(VALU_DEP_1) | instskip(NEXT) | instid1(VALU_DEP_1)
	v_clz_i32_u32_e32 v0, v0
	v_min_u32_e32 v0, 32, v0
	s_delay_alu instid0(VALU_DEP_1) | instskip(SKIP_1) | instid1(VALU_DEP_2)
	v_subrev_nc_u32_e32 v13, 28, v0
	v_sub_nc_u32_e32 v0, 29, v0
	v_lshlrev_b64 v[13:14], v13, v[11:12]
; %bb.1276:                             ;   in Loop: Header=BB322_808 Depth=1
	s_or_b32 exec_lo, exec_lo, s16
	v_lshlrev_b32_e32 v14, 8, v11
	s_delay_alu instid0(VALU_DEP_3) | instskip(NEXT) | instid1(VALU_DEP_3)
	v_lshl_add_u32 v0, v0, 10, 0x2000
	v_lshlrev_b32_e32 v13, 7, v13
	s_delay_alu instid0(VALU_DEP_2) | instskip(NEXT) | instid1(VALU_DEP_1)
	v_and_or_b32 v0, 0x8000, v14, v0
	v_and_or_b32 v0, 0x380, v13, v0
	s_delay_alu instid0(VALU_DEP_1)
	v_cvt_f32_f16_e32 v117, v0
.LBB322_1277:                           ;   in Loop: Header=BB322_808 Depth=1
	s_or_b32 exec_lo, exec_lo, s15
.LBB322_1278:                           ;   in Loop: Header=BB322_808 Depth=1
	s_delay_alu instid0(SALU_CYCLE_1)
	s_or_b32 exec_lo, exec_lo, s13
.LBB322_1279:                           ;   in Loop: Header=BB322_808 Depth=1
	s_delay_alu instid0(SALU_CYCLE_1) | instskip(SKIP_2) | instid1(VALU_DEP_1)
	s_or_b32 exec_lo, exec_lo, s12
	v_lshrrev_b16 v0, 8, v11
	s_mov_b32 s12, exec_lo
	v_cmpx_ne_u16_e32 0, v0
	s_cbranch_execz .LBB322_1287
; %bb.1280:                             ;   in Loop: Header=BB322_808 Depth=1
	v_bfrev_b32_e32 v118, 1
	s_mov_b32 s13, exec_lo
	v_cmpx_ne_u16_e32 0x80, v0
	s_cbranch_execz .LBB322_1286
; %bb.1281:                             ;   in Loop: Header=BB322_808 Depth=1
	v_and_b32_e32 v119, 0xffff, v0
	v_mov_b32_e32 v118, 0x7fc02000
	s_mov_b32 s15, exec_lo
	s_delay_alu instid0(VALU_DEP_2) | instskip(NEXT) | instid1(VALU_DEP_1)
	v_and_b32_e32 v13, 0x7f, v119
	v_cmpx_ne_u32_e32 0x7f, v13
	s_cbranch_execz .LBB322_1285
; %bb.1282:                             ;   in Loop: Header=BB322_808 Depth=1
	v_and_b32_e32 v0, 7, v119
	v_lshrrev_b32_e32 v118, 3, v13
	v_cmp_gt_u32_e64 s0, 8, v13
	s_delay_alu instid0(VALU_DEP_3) | instskip(NEXT) | instid1(VALU_DEP_2)
	v_dual_mov_b32 v14, v1 :: v_dual_mov_b32 v13, v0
	s_and_saveexec_b32 s16, s0
; %bb.1283:                             ;   in Loop: Header=BB322_808 Depth=1
	v_clz_i32_u32_e32 v13, v0
	s_delay_alu instid0(VALU_DEP_1) | instskip(NEXT) | instid1(VALU_DEP_1)
	v_min_u32_e32 v118, 32, v13
	v_subrev_nc_u32_e32 v13, 28, v118
	v_sub_nc_u32_e32 v118, 29, v118
	s_delay_alu instid0(VALU_DEP_2) | instskip(NEXT) | instid1(VALU_DEP_1)
	v_lshlrev_b64 v[13:14], v13, v[0:1]
	v_and_b32_e32 v13, 7, v13
; %bb.1284:                             ;   in Loop: Header=BB322_808 Depth=1
	s_or_b32 exec_lo, exec_lo, s16
	v_lshlrev_b32_e32 v0, 8, v119
	v_lshl_add_u32 v14, v118, 10, 0x2000
	s_delay_alu instid0(VALU_DEP_1) | instskip(NEXT) | instid1(VALU_DEP_1)
	v_and_or_b32 v0, 0x8000, v0, v14
	v_lshl_or_b32 v0, v13, 7, v0
	s_delay_alu instid0(VALU_DEP_1)
	v_cvt_f32_f16_e32 v118, v0
.LBB322_1285:                           ;   in Loop: Header=BB322_808 Depth=1
	s_or_b32 exec_lo, exec_lo, s15
.LBB322_1286:                           ;   in Loop: Header=BB322_808 Depth=1
	s_delay_alu instid0(SALU_CYCLE_1)
	s_or_b32 exec_lo, exec_lo, s13
.LBB322_1287:                           ;   in Loop: Header=BB322_808 Depth=1
	s_delay_alu instid0(SALU_CYCLE_1) | instskip(SKIP_3) | instid1(VALU_DEP_2)
	s_or_b32 exec_lo, exec_lo, s12
	v_lshrrev_b32_e32 v129, 16, v11
	v_mov_b32_e32 v128, 0
	s_mov_b32 s12, exec_lo
	v_dual_mov_b32 v119, 0 :: v_dual_and_b32 v0, 0xff, v129
	s_delay_alu instid0(VALU_DEP_1)
	v_cmpx_ne_u16_e32 0, v0
	s_cbranch_execz .LBB322_1295
; %bb.1288:                             ;   in Loop: Header=BB322_808 Depth=1
	v_bfrev_b32_e32 v119, 1
	s_mov_b32 s13, exec_lo
	v_cmpx_ne_u16_e32 0x80, v0
	s_cbranch_execz .LBB322_1294
; %bb.1289:                             ;   in Loop: Header=BB322_808 Depth=1
	v_bfe_u32 v13, v11, 16, 7
	v_mov_b32_e32 v119, 0x7fc02000
	s_mov_b32 s15, exec_lo
	s_delay_alu instid0(VALU_DEP_2)
	v_cmpx_ne_u32_e32 0x7f, v13
	s_cbranch_execz .LBB322_1293
; %bb.1290:                             ;   in Loop: Header=BB322_808 Depth=1
	v_and_b32_e32 v0, 7, v129
	v_lshrrev_b32_e32 v119, 3, v13
	v_cmp_gt_u32_e64 s0, 8, v13
	s_delay_alu instid0(VALU_DEP_3) | instskip(NEXT) | instid1(VALU_DEP_2)
	v_dual_mov_b32 v14, v1 :: v_dual_mov_b32 v13, v0
	s_and_saveexec_b32 s16, s0
; %bb.1291:                             ;   in Loop: Header=BB322_808 Depth=1
	v_clz_i32_u32_e32 v13, v0
	s_delay_alu instid0(VALU_DEP_1) | instskip(NEXT) | instid1(VALU_DEP_1)
	v_min_u32_e32 v119, 32, v13
	v_subrev_nc_u32_e32 v13, 28, v119
	v_sub_nc_u32_e32 v119, 29, v119
	s_delay_alu instid0(VALU_DEP_2) | instskip(NEXT) | instid1(VALU_DEP_1)
	v_lshlrev_b64 v[13:14], v13, v[0:1]
	v_and_b32_e32 v13, 7, v13
; %bb.1292:                             ;   in Loop: Header=BB322_808 Depth=1
	s_or_b32 exec_lo, exec_lo, s16
	v_lshlrev_b32_e32 v0, 8, v129
	v_lshl_add_u32 v14, v119, 10, 0x2000
	s_delay_alu instid0(VALU_DEP_1) | instskip(NEXT) | instid1(VALU_DEP_1)
	v_and_or_b32 v0, 0x8000, v0, v14
	v_lshl_or_b32 v0, v13, 7, v0
	s_delay_alu instid0(VALU_DEP_1)
	v_cvt_f32_f16_e32 v119, v0
.LBB322_1293:                           ;   in Loop: Header=BB322_808 Depth=1
	s_or_b32 exec_lo, exec_lo, s15
.LBB322_1294:                           ;   in Loop: Header=BB322_808 Depth=1
	s_delay_alu instid0(SALU_CYCLE_1)
	s_or_b32 exec_lo, exec_lo, s13
.LBB322_1295:                           ;   in Loop: Header=BB322_808 Depth=1
	s_delay_alu instid0(SALU_CYCLE_1) | instskip(NEXT) | instid1(SALU_CYCLE_1)
	s_or_b32 exec_lo, exec_lo, s12
	s_mov_b32 s12, exec_lo
	v_cmpx_lt_u32_e32 0xffffff, v11
	s_cbranch_execz .LBB322_1303
; %bb.1296:                             ;   in Loop: Header=BB322_808 Depth=1
	v_lshrrev_b32_e32 v129, 24, v11
	v_bfrev_b32_e32 v128, 1
	s_mov_b32 s13, exec_lo
	s_delay_alu instid0(VALU_DEP_2)
	v_cmpx_ne_u32_e32 0x80, v129
	s_cbranch_execz .LBB322_1302
; %bb.1297:                             ;   in Loop: Header=BB322_808 Depth=1
	v_and_b32_e32 v13, 0x7f, v129
	v_mov_b32_e32 v128, 0x7fc02000
	s_mov_b32 s15, exec_lo
	s_delay_alu instid0(VALU_DEP_2)
	v_cmpx_ne_u32_e32 0x7f, v13
	s_cbranch_execz .LBB322_1301
; %bb.1298:                             ;   in Loop: Header=BB322_808 Depth=1
	v_and_b32_e32 v0, 7, v129
	v_lshrrev_b32_e32 v128, 3, v13
	v_cmp_gt_u32_e64 s0, 8, v13
	s_delay_alu instid0(VALU_DEP_3) | instskip(NEXT) | instid1(VALU_DEP_2)
	v_dual_mov_b32 v14, v1 :: v_dual_mov_b32 v13, v0
	s_and_saveexec_b32 s16, s0
; %bb.1299:                             ;   in Loop: Header=BB322_808 Depth=1
	v_clz_i32_u32_e32 v13, v0
	s_delay_alu instid0(VALU_DEP_1) | instskip(NEXT) | instid1(VALU_DEP_1)
	v_min_u32_e32 v128, 32, v13
	v_subrev_nc_u32_e32 v13, 28, v128
	v_sub_nc_u32_e32 v128, 29, v128
	s_delay_alu instid0(VALU_DEP_2) | instskip(NEXT) | instid1(VALU_DEP_1)
	v_lshlrev_b64 v[13:14], v13, v[0:1]
	v_and_b32_e32 v13, 7, v13
; %bb.1300:                             ;   in Loop: Header=BB322_808 Depth=1
	s_or_b32 exec_lo, exec_lo, s16
	v_lshlrev_b32_e32 v0, 8, v129
	v_lshl_add_u32 v14, v128, 10, 0x2000
	s_delay_alu instid0(VALU_DEP_1) | instskip(NEXT) | instid1(VALU_DEP_1)
	v_and_or_b32 v0, 0x8000, v0, v14
	v_lshl_or_b32 v0, v13, 7, v0
	s_delay_alu instid0(VALU_DEP_1)
	v_cvt_f32_f16_e64 v128, v0
.LBB322_1301:                           ;   in Loop: Header=BB322_808 Depth=1
	s_or_b32 exec_lo, exec_lo, s15
.LBB322_1302:                           ;   in Loop: Header=BB322_808 Depth=1
	s_delay_alu instid0(SALU_CYCLE_1)
	s_or_b32 exec_lo, exec_lo, s13
.LBB322_1303:                           ;   in Loop: Header=BB322_808 Depth=1
	s_delay_alu instid0(SALU_CYCLE_1) | instskip(SKIP_3) | instid1(VALU_DEP_2)
	s_or_b32 exec_lo, exec_lo, s12
	v_dual_mov_b32 v0, v12 :: v_dual_and_b32 v13, 0xff, v12
	v_dual_mov_b32 v130, 0 :: v_dual_mov_b32 v129, 0
	s_mov_b32 s12, exec_lo
	v_cmpx_ne_u16_e32 0, v13
	s_cbranch_execz .LBB322_1311
; %bb.1304:                             ;   in Loop: Header=BB322_808 Depth=1
	v_bfrev_b32_e32 v129, 1
	s_mov_b32 s13, exec_lo
	v_cmpx_ne_u16_e32 0x80, v13
	s_cbranch_execz .LBB322_1310
; %bb.1305:                             ;   in Loop: Header=BB322_808 Depth=1
	v_and_b32_e32 v13, 0x7f, v12
	v_mov_b32_e32 v129, 0x7fc02000
	s_mov_b32 s15, exec_lo
	s_delay_alu instid0(VALU_DEP_2)
	v_cmpx_ne_u32_e32 0x7f, v13
	s_cbranch_execz .LBB322_1309
; %bb.1306:                             ;   in Loop: Header=BB322_808 Depth=1
	v_lshrrev_b32_e32 v129, 3, v13
	v_cmp_gt_u32_e64 s0, 8, v13
	v_dual_mov_b32 v14, v1 :: v_dual_mov_b32 v13, v0
	s_delay_alu instid0(VALU_DEP_2)
	s_and_saveexec_b32 s16, s0
; %bb.1307:                             ;   in Loop: Header=BB322_808 Depth=1
	v_and_b32_e32 v13, 7, v12
	s_delay_alu instid0(VALU_DEP_1) | instskip(NEXT) | instid1(VALU_DEP_1)
	v_clz_i32_u32_e32 v13, v13
	v_min_u32_e32 v129, 32, v13
	s_delay_alu instid0(VALU_DEP_1) | instskip(SKIP_1) | instid1(VALU_DEP_2)
	v_subrev_nc_u32_e32 v13, 28, v129
	v_sub_nc_u32_e32 v129, 29, v129
	v_lshlrev_b64 v[13:14], v13, v[0:1]
; %bb.1308:                             ;   in Loop: Header=BB322_808 Depth=1
	s_or_b32 exec_lo, exec_lo, s16
	v_lshlrev_b32_e32 v14, 8, v12
	s_delay_alu instid0(VALU_DEP_3) | instskip(NEXT) | instid1(VALU_DEP_3)
	v_lshl_add_u32 v129, v129, 10, 0x2000
	v_lshlrev_b32_e32 v13, 7, v13
	s_delay_alu instid0(VALU_DEP_2) | instskip(NEXT) | instid1(VALU_DEP_1)
	v_and_or_b32 v14, 0x8000, v14, v129
	v_and_or_b32 v13, 0x380, v13, v14
	s_delay_alu instid0(VALU_DEP_1)
	v_cvt_f32_f16_e64 v129, v13
.LBB322_1309:                           ;   in Loop: Header=BB322_808 Depth=1
	s_or_b32 exec_lo, exec_lo, s15
.LBB322_1310:                           ;   in Loop: Header=BB322_808 Depth=1
	s_delay_alu instid0(SALU_CYCLE_1)
	s_or_b32 exec_lo, exec_lo, s13
.LBB322_1311:                           ;   in Loop: Header=BB322_808 Depth=1
	s_delay_alu instid0(SALU_CYCLE_1) | instskip(SKIP_2) | instid1(VALU_DEP_1)
	s_or_b32 exec_lo, exec_lo, s12
	v_lshrrev_b16 v0, 8, v0
	s_mov_b32 s12, exec_lo
	v_cmpx_ne_u16_e32 0, v0
	s_cbranch_execz .LBB322_1319
; %bb.1312:                             ;   in Loop: Header=BB322_808 Depth=1
	v_bfrev_b32_e32 v130, 1
	s_mov_b32 s13, exec_lo
	v_cmpx_ne_u16_e32 0x80, v0
	s_cbranch_execz .LBB322_1318
; %bb.1313:                             ;   in Loop: Header=BB322_808 Depth=1
	v_and_b32_e32 v131, 0xffff, v0
	v_mov_b32_e32 v130, 0x7fc02000
	s_mov_b32 s15, exec_lo
	s_delay_alu instid0(VALU_DEP_2) | instskip(NEXT) | instid1(VALU_DEP_1)
	v_and_b32_e32 v13, 0x7f, v131
	v_cmpx_ne_u32_e32 0x7f, v13
	s_cbranch_execz .LBB322_1317
; %bb.1314:                             ;   in Loop: Header=BB322_808 Depth=1
	v_and_b32_e32 v0, 7, v131
	v_lshrrev_b32_e32 v130, 3, v13
	v_cmp_gt_u32_e64 s0, 8, v13
	s_delay_alu instid0(VALU_DEP_3) | instskip(NEXT) | instid1(VALU_DEP_2)
	v_dual_mov_b32 v14, v1 :: v_dual_mov_b32 v13, v0
	s_and_saveexec_b32 s16, s0
; %bb.1315:                             ;   in Loop: Header=BB322_808 Depth=1
	v_clz_i32_u32_e32 v13, v0
	s_delay_alu instid0(VALU_DEP_1) | instskip(NEXT) | instid1(VALU_DEP_1)
	v_min_u32_e32 v130, 32, v13
	v_subrev_nc_u32_e32 v13, 28, v130
	v_sub_nc_u32_e32 v130, 29, v130
	s_delay_alu instid0(VALU_DEP_2) | instskip(NEXT) | instid1(VALU_DEP_1)
	v_lshlrev_b64 v[13:14], v13, v[0:1]
	v_and_b32_e32 v13, 7, v13
; %bb.1316:                             ;   in Loop: Header=BB322_808 Depth=1
	s_or_b32 exec_lo, exec_lo, s16
	v_lshlrev_b32_e32 v0, 8, v131
	v_lshl_add_u32 v14, v130, 10, 0x2000
	s_delay_alu instid0(VALU_DEP_1) | instskip(NEXT) | instid1(VALU_DEP_1)
	v_and_or_b32 v0, 0x8000, v0, v14
	v_lshl_or_b32 v0, v13, 7, v0
	s_delay_alu instid0(VALU_DEP_1)
	v_cvt_f32_f16_e64 v130, v0
.LBB322_1317:                           ;   in Loop: Header=BB322_808 Depth=1
	s_or_b32 exec_lo, exec_lo, s15
.LBB322_1318:                           ;   in Loop: Header=BB322_808 Depth=1
	s_delay_alu instid0(SALU_CYCLE_1)
	s_or_b32 exec_lo, exec_lo, s13
.LBB322_1319:                           ;   in Loop: Header=BB322_808 Depth=1
	s_delay_alu instid0(SALU_CYCLE_1) | instskip(SKIP_3) | instid1(VALU_DEP_2)
	s_or_b32 exec_lo, exec_lo, s12
	v_lshrrev_b32_e32 v132, 16, v12
	v_mov_b32_e32 v13, 0
	s_mov_b32 s12, exec_lo
	v_dual_mov_b32 v131, 0 :: v_dual_and_b32 v0, 0xff, v132
	s_delay_alu instid0(VALU_DEP_1)
	v_cmpx_ne_u16_e32 0, v0
	s_cbranch_execz .LBB322_1327
; %bb.1320:                             ;   in Loop: Header=BB322_808 Depth=1
	v_bfrev_b32_e32 v13, 1
	s_mov_b32 s13, exec_lo
	v_cmpx_ne_u16_e32 0x80, v0
	s_cbranch_execz .LBB322_1326
; %bb.1321:                             ;   in Loop: Header=BB322_808 Depth=1
	v_bfe_u32 v14, v12, 16, 7
	v_mov_b32_e32 v13, 0x7fc02000
	s_mov_b32 s15, exec_lo
	s_delay_alu instid0(VALU_DEP_2)
	v_cmpx_ne_u32_e32 0x7f, v14
	s_cbranch_execz .LBB322_1325
; %bb.1322:                             ;   in Loop: Header=BB322_808 Depth=1
	v_and_b32_e32 v0, 7, v132
	v_lshrrev_b32_e32 v133, 3, v14
	v_cmp_gt_u32_e64 s0, 8, v14
	s_delay_alu instid0(VALU_DEP_3) | instskip(NEXT) | instid1(VALU_DEP_2)
	v_dual_mov_b32 v14, v1 :: v_dual_mov_b32 v13, v0
	s_and_saveexec_b32 s16, s0
; %bb.1323:                             ;   in Loop: Header=BB322_808 Depth=1
	v_clz_i32_u32_e32 v13, v0
	s_delay_alu instid0(VALU_DEP_1) | instskip(NEXT) | instid1(VALU_DEP_1)
	v_min_u32_e32 v133, 32, v13
	v_subrev_nc_u32_e32 v13, 28, v133
	v_sub_nc_u32_e32 v133, 29, v133
	s_delay_alu instid0(VALU_DEP_2) | instskip(NEXT) | instid1(VALU_DEP_1)
	v_lshlrev_b64 v[13:14], v13, v[0:1]
	v_and_b32_e32 v13, 7, v13
; %bb.1324:                             ;   in Loop: Header=BB322_808 Depth=1
	s_or_b32 exec_lo, exec_lo, s16
	v_lshlrev_b32_e32 v0, 8, v132
	v_lshl_add_u32 v14, v133, 10, 0x2000
	s_delay_alu instid0(VALU_DEP_1) | instskip(NEXT) | instid1(VALU_DEP_1)
	v_and_or_b32 v0, 0x8000, v0, v14
	v_lshl_or_b32 v0, v13, 7, v0
	s_delay_alu instid0(VALU_DEP_1)
	v_cvt_f32_f16_e32 v13, v0
.LBB322_1325:                           ;   in Loop: Header=BB322_808 Depth=1
	s_or_b32 exec_lo, exec_lo, s15
.LBB322_1326:                           ;   in Loop: Header=BB322_808 Depth=1
	s_delay_alu instid0(SALU_CYCLE_1)
	s_or_b32 exec_lo, exec_lo, s13
.LBB322_1327:                           ;   in Loop: Header=BB322_808 Depth=1
	s_delay_alu instid0(SALU_CYCLE_1) | instskip(NEXT) | instid1(SALU_CYCLE_1)
	s_or_b32 exec_lo, exec_lo, s12
	s_mov_b32 s12, exec_lo
	v_cmpx_lt_u64_e64 s[8:9], v[11:12]
	s_cbranch_execz .LBB322_1335
; %bb.1328:                             ;   in Loop: Header=BB322_808 Depth=1
	v_lshrrev_b32_e32 v14, 24, v12
	v_bfrev_b32_e32 v131, 1
	s_mov_b32 s13, exec_lo
	s_delay_alu instid0(VALU_DEP_2)
	v_cmpx_ne_u32_e32 0x80, v14
	s_cbranch_execz .LBB322_1334
; %bb.1329:                             ;   in Loop: Header=BB322_808 Depth=1
	v_and_b32_e32 v11, 0x7f, v14
	v_mov_b32_e32 v131, 0x7fc02000
	s_mov_b32 s15, exec_lo
	s_delay_alu instid0(VALU_DEP_2)
	v_cmpx_ne_u32_e32 0x7f, v11
	s_cbranch_execz .LBB322_1333
; %bb.1330:                             ;   in Loop: Header=BB322_808 Depth=1
	v_and_b32_e32 v0, 7, v14
	v_lshrrev_b32_e32 v131, 3, v11
	v_cmp_gt_u32_e64 s0, 8, v11
	s_delay_alu instid0(VALU_DEP_3) | instskip(NEXT) | instid1(VALU_DEP_2)
	v_dual_mov_b32 v12, v1 :: v_dual_mov_b32 v11, v0
	s_and_saveexec_b32 s16, s0
; %bb.1331:                             ;   in Loop: Header=BB322_808 Depth=1
	v_clz_i32_u32_e32 v11, v0
	s_delay_alu instid0(VALU_DEP_1) | instskip(NEXT) | instid1(VALU_DEP_1)
	v_min_u32_e32 v131, 32, v11
	v_subrev_nc_u32_e32 v11, 28, v131
	v_sub_nc_u32_e32 v131, 29, v131
	s_delay_alu instid0(VALU_DEP_2) | instskip(NEXT) | instid1(VALU_DEP_1)
	v_lshlrev_b64 v[11:12], v11, v[0:1]
	v_and_b32_e32 v11, 7, v11
; %bb.1332:                             ;   in Loop: Header=BB322_808 Depth=1
	s_or_b32 exec_lo, exec_lo, s16
	v_lshlrev_b32_e32 v0, 8, v14
	v_lshl_add_u32 v12, v131, 10, 0x2000
	s_delay_alu instid0(VALU_DEP_1) | instskip(NEXT) | instid1(VALU_DEP_1)
	v_and_or_b32 v0, 0x8000, v0, v12
	v_lshl_or_b32 v0, v11, 7, v0
	s_delay_alu instid0(VALU_DEP_1)
	v_cvt_f32_f16_e64 v131, v0
.LBB322_1333:                           ;   in Loop: Header=BB322_808 Depth=1
	s_or_b32 exec_lo, exec_lo, s15
.LBB322_1334:                           ;   in Loop: Header=BB322_808 Depth=1
	s_delay_alu instid0(SALU_CYCLE_1)
	s_or_b32 exec_lo, exec_lo, s13
.LBB322_1335:                           ;   in Loop: Header=BB322_808 Depth=1
	s_delay_alu instid0(SALU_CYCLE_1)
	s_or_b32 exec_lo, exec_lo, s12
	s_waitcnt vmcnt(0) lgkmcnt(0)
	v_fma_mixlo_f16 v12, v116, v118, 0
	v_fma_mixlo_f16 v0, v116, v128, 0
	;; [unrolled: 1-line block ×5, first 2 shown]
	v_lshlrev_b32_e32 v14, 16, v12
	v_fma_mixlo_f16 v119, v116, v129, 0
	v_fma_mixlo_f16 v128, v116, v131, 0
	;; [unrolled: 1-line block ×3, first 2 shown]
	v_lshlrev_b32_e32 v0, 16, v0
	v_and_b32_e32 v11, 0xffff, v11
	v_and_b32_e32 v116, 0xffff, v117
	v_lshlrev_b32_e32 v117, 16, v118
	v_and_b32_e32 v118, 0xffff, v119
	v_lshlrev_b32_e32 v119, 16, v128
	v_and_b32_e32 v128, 0xffff, v12
	v_or_b32_e32 v13, v0, v11
	v_or_b32_e32 v14, v14, v116
	;; [unrolled: 1-line block ×3, first 2 shown]
	s_delay_alu instid0(VALU_DEP_4)
	v_or_b32_e32 v11, v119, v128
	s_and_saveexec_b32 s12, vcc_lo
	s_cbranch_execz .LBB322_1337
; %bb.1336:                             ;   in Loop: Header=BB322_808 Depth=1
	v_cmp_lt_i32_e64 s0, v18, v37
	v_lshrrev_b32_e32 v116, 16, v14
	v_lshrrev_b32_e32 v117, 16, v13
	;; [unrolled: 1-line block ×4, first 2 shown]
	v_cndmask_b32_e64 v14, 0, v14, s0
	v_cmp_lt_i32_e64 s0, v84, v53
	s_delay_alu instid0(VALU_DEP_1) | instskip(SKIP_1) | instid1(VALU_DEP_2)
	v_cndmask_b32_e64 v116, 0, v116, s0
	v_cmp_lt_i32_e64 s0, v83, v53
	v_perm_b32 v14, v116, v14, 0x5040100
	s_delay_alu instid0(VALU_DEP_2) | instskip(SKIP_1) | instid1(VALU_DEP_1)
	v_cndmask_b32_e64 v117, 0, v117, s0
	v_cmp_lt_i32_e64 s0, v71, v37
	v_cndmask_b32_e64 v13, 0, v13, s0
	v_cmp_lt_i32_e64 s0, v70, v53
	s_delay_alu instid0(VALU_DEP_2) | instskip(NEXT) | instid1(VALU_DEP_2)
	v_perm_b32 v13, v117, v13, 0x5040100
	v_cndmask_b32_e64 v118, 0, v118, s0
	v_cmp_lt_i32_e64 s0, v69, v37
	s_delay_alu instid0(VALU_DEP_1) | instskip(SKIP_1) | instid1(VALU_DEP_2)
	v_cndmask_b32_e64 v0, 0, v0, s0
	v_cmp_lt_i32_e64 s0, v64, v53
	v_perm_b32 v0, v118, v0, 0x5040100
	s_delay_alu instid0(VALU_DEP_2) | instskip(SKIP_1) | instid1(VALU_DEP_1)
	v_cndmask_b32_e64 v11, 0, v11, s0
	v_cmp_lt_i32_e64 s0, v19, v37
	v_cndmask_b32_e64 v12, 0, v12, s0
	s_delay_alu instid0(VALU_DEP_1)
	v_perm_b32 v11, v11, v12, 0x5040100
.LBB322_1337:                           ;   in Loop: Header=BB322_808 Depth=1
	s_or_b32 exec_lo, exec_lo, s12
	;;#ASMSTART
	v_pk_mul_f16 v12, v87, v14;

	;;#ASMEND
	;;#ASMSTART
	v_pk_mul_f16 v13, v86, v13;

	;;#ASMEND
	;;#ASMSTART
	v_pk_mul_f16 v0, v85, v0;

	;;#ASMEND
	;;#ASMSTART
	v_pk_mul_f16 v11, v82, v11;

	;;#ASMEND
	;;#ASMSTART
	v_pk_add_f16 v12, v12, v13;

	;;#ASMEND
	;;#ASMSTART
	v_pk_add_f16 v0, v12, v0;

	;;#ASMEND
	;; [unrolled: 4-line block ×3, first 2 shown]
	v_dual_mov_b32 v128, 0 :: v_dual_and_b32 v11, 0xffff, v0
	v_lshrrev_b32_e32 v0, 16, v0
	;;#ASMSTART
	v_cvt_f32_f16 v116, v11;
	;;#ASMEND
	;;#ASMSTART
	v_cvt_f32_f16 v117, v0;
	;;#ASMEND
	flat_load_b64 v[11:12], v[9:10] offset:2048
	flat_load_b32 v118, v[26:27]
	s_mov_b32 s12, exec_lo
	s_waitcnt vmcnt(1) lgkmcnt(1)
	v_dual_mov_b32 v119, 0 :: v_dual_and_b32 v0, 0xff, v11
	s_delay_alu instid0(VALU_DEP_1)
	v_cmpx_ne_u16_e32 0, v0
	s_cbranch_execz .LBB322_1345
; %bb.1338:                             ;   in Loop: Header=BB322_808 Depth=1
	v_bfrev_b32_e32 v119, 1
	s_mov_b32 s13, exec_lo
	v_cmpx_ne_u16_e32 0x80, v0
	s_cbranch_execz .LBB322_1344
; %bb.1339:                             ;   in Loop: Header=BB322_808 Depth=1
	v_and_b32_e32 v13, 0x7f, v11
	v_mov_b32_e32 v119, 0x7fc02000
	s_mov_b32 s15, exec_lo
	s_delay_alu instid0(VALU_DEP_2)
	v_cmpx_ne_u32_e32 0x7f, v13
	s_cbranch_execz .LBB322_1343
; %bb.1340:                             ;   in Loop: Header=BB322_808 Depth=1
	v_lshrrev_b32_e32 v0, 3, v13
	v_cmp_gt_u32_e64 s0, 8, v13
	v_dual_mov_b32 v14, v12 :: v_dual_mov_b32 v13, v11
	s_delay_alu instid0(VALU_DEP_2)
	s_and_saveexec_b32 s16, s0
; %bb.1341:                             ;   in Loop: Header=BB322_808 Depth=1
	v_and_b32_e32 v0, 7, v11
	s_delay_alu instid0(VALU_DEP_1) | instskip(NEXT) | instid1(VALU_DEP_1)
	v_clz_i32_u32_e32 v0, v0
	v_min_u32_e32 v0, 32, v0
	s_delay_alu instid0(VALU_DEP_1) | instskip(SKIP_1) | instid1(VALU_DEP_2)
	v_subrev_nc_u32_e32 v13, 28, v0
	v_sub_nc_u32_e32 v0, 29, v0
	v_lshlrev_b64 v[13:14], v13, v[11:12]
; %bb.1342:                             ;   in Loop: Header=BB322_808 Depth=1
	s_or_b32 exec_lo, exec_lo, s16
	v_lshlrev_b32_e32 v14, 8, v11
	s_delay_alu instid0(VALU_DEP_3) | instskip(NEXT) | instid1(VALU_DEP_3)
	v_lshl_add_u32 v0, v0, 10, 0x2000
	v_lshlrev_b32_e32 v13, 7, v13
	s_delay_alu instid0(VALU_DEP_2) | instskip(NEXT) | instid1(VALU_DEP_1)
	v_and_or_b32 v0, 0x8000, v14, v0
	v_and_or_b32 v0, 0x380, v13, v0
	s_delay_alu instid0(VALU_DEP_1)
	v_cvt_f32_f16_e32 v119, v0
.LBB322_1343:                           ;   in Loop: Header=BB322_808 Depth=1
	s_or_b32 exec_lo, exec_lo, s15
.LBB322_1344:                           ;   in Loop: Header=BB322_808 Depth=1
	s_delay_alu instid0(SALU_CYCLE_1)
	s_or_b32 exec_lo, exec_lo, s13
.LBB322_1345:                           ;   in Loop: Header=BB322_808 Depth=1
	s_delay_alu instid0(SALU_CYCLE_1) | instskip(SKIP_2) | instid1(VALU_DEP_1)
	s_or_b32 exec_lo, exec_lo, s12
	v_lshrrev_b16 v0, 8, v11
	s_mov_b32 s12, exec_lo
	v_cmpx_ne_u16_e32 0, v0
	s_cbranch_execz .LBB322_1353
; %bb.1346:                             ;   in Loop: Header=BB322_808 Depth=1
	v_bfrev_b32_e32 v128, 1
	s_mov_b32 s13, exec_lo
	v_cmpx_ne_u16_e32 0x80, v0
	s_cbranch_execz .LBB322_1352
; %bb.1347:                             ;   in Loop: Header=BB322_808 Depth=1
	v_and_b32_e32 v129, 0xffff, v0
	v_mov_b32_e32 v128, 0x7fc02000
	s_mov_b32 s15, exec_lo
	s_delay_alu instid0(VALU_DEP_2) | instskip(NEXT) | instid1(VALU_DEP_1)
	v_and_b32_e32 v13, 0x7f, v129
	v_cmpx_ne_u32_e32 0x7f, v13
	s_cbranch_execz .LBB322_1351
; %bb.1348:                             ;   in Loop: Header=BB322_808 Depth=1
	v_and_b32_e32 v0, 7, v129
	v_lshrrev_b32_e32 v128, 3, v13
	v_cmp_gt_u32_e64 s0, 8, v13
	s_delay_alu instid0(VALU_DEP_3) | instskip(NEXT) | instid1(VALU_DEP_2)
	v_dual_mov_b32 v14, v1 :: v_dual_mov_b32 v13, v0
	s_and_saveexec_b32 s16, s0
; %bb.1349:                             ;   in Loop: Header=BB322_808 Depth=1
	v_clz_i32_u32_e32 v13, v0
	s_delay_alu instid0(VALU_DEP_1) | instskip(NEXT) | instid1(VALU_DEP_1)
	v_min_u32_e32 v128, 32, v13
	v_subrev_nc_u32_e32 v13, 28, v128
	v_sub_nc_u32_e32 v128, 29, v128
	s_delay_alu instid0(VALU_DEP_2) | instskip(NEXT) | instid1(VALU_DEP_1)
	v_lshlrev_b64 v[13:14], v13, v[0:1]
	v_and_b32_e32 v13, 7, v13
; %bb.1350:                             ;   in Loop: Header=BB322_808 Depth=1
	s_or_b32 exec_lo, exec_lo, s16
	v_lshlrev_b32_e32 v0, 8, v129
	v_lshl_add_u32 v14, v128, 10, 0x2000
	s_delay_alu instid0(VALU_DEP_1) | instskip(NEXT) | instid1(VALU_DEP_1)
	v_and_or_b32 v0, 0x8000, v0, v14
	v_lshl_or_b32 v0, v13, 7, v0
	s_delay_alu instid0(VALU_DEP_1)
	v_cvt_f32_f16_e64 v128, v0
.LBB322_1351:                           ;   in Loop: Header=BB322_808 Depth=1
	s_or_b32 exec_lo, exec_lo, s15
.LBB322_1352:                           ;   in Loop: Header=BB322_808 Depth=1
	s_delay_alu instid0(SALU_CYCLE_1)
	s_or_b32 exec_lo, exec_lo, s13
.LBB322_1353:                           ;   in Loop: Header=BB322_808 Depth=1
	s_delay_alu instid0(SALU_CYCLE_1) | instskip(SKIP_3) | instid1(VALU_DEP_2)
	s_or_b32 exec_lo, exec_lo, s12
	v_lshrrev_b32_e32 v131, 16, v11
	v_mov_b32_e32 v130, 0
	s_mov_b32 s12, exec_lo
	v_dual_mov_b32 v129, 0 :: v_dual_and_b32 v0, 0xff, v131
	s_delay_alu instid0(VALU_DEP_1)
	v_cmpx_ne_u16_e32 0, v0
	s_cbranch_execz .LBB322_1361
; %bb.1354:                             ;   in Loop: Header=BB322_808 Depth=1
	v_bfrev_b32_e32 v129, 1
	s_mov_b32 s13, exec_lo
	v_cmpx_ne_u16_e32 0x80, v0
	s_cbranch_execz .LBB322_1360
; %bb.1355:                             ;   in Loop: Header=BB322_808 Depth=1
	v_bfe_u32 v13, v11, 16, 7
	v_mov_b32_e32 v129, 0x7fc02000
	s_mov_b32 s15, exec_lo
	s_delay_alu instid0(VALU_DEP_2)
	v_cmpx_ne_u32_e32 0x7f, v13
	s_cbranch_execz .LBB322_1359
; %bb.1356:                             ;   in Loop: Header=BB322_808 Depth=1
	v_and_b32_e32 v0, 7, v131
	v_lshrrev_b32_e32 v129, 3, v13
	v_cmp_gt_u32_e64 s0, 8, v13
	s_delay_alu instid0(VALU_DEP_3) | instskip(NEXT) | instid1(VALU_DEP_2)
	v_dual_mov_b32 v14, v1 :: v_dual_mov_b32 v13, v0
	s_and_saveexec_b32 s16, s0
; %bb.1357:                             ;   in Loop: Header=BB322_808 Depth=1
	v_clz_i32_u32_e32 v13, v0
	s_delay_alu instid0(VALU_DEP_1) | instskip(NEXT) | instid1(VALU_DEP_1)
	v_min_u32_e32 v129, 32, v13
	v_subrev_nc_u32_e32 v13, 28, v129
	v_sub_nc_u32_e32 v129, 29, v129
	s_delay_alu instid0(VALU_DEP_2) | instskip(NEXT) | instid1(VALU_DEP_1)
	v_lshlrev_b64 v[13:14], v13, v[0:1]
	v_and_b32_e32 v13, 7, v13
; %bb.1358:                             ;   in Loop: Header=BB322_808 Depth=1
	s_or_b32 exec_lo, exec_lo, s16
	v_lshlrev_b32_e32 v0, 8, v131
	v_lshl_add_u32 v14, v129, 10, 0x2000
	s_delay_alu instid0(VALU_DEP_1) | instskip(NEXT) | instid1(VALU_DEP_1)
	v_and_or_b32 v0, 0x8000, v0, v14
	v_lshl_or_b32 v0, v13, 7, v0
	s_delay_alu instid0(VALU_DEP_1)
	v_cvt_f32_f16_e64 v129, v0
.LBB322_1359:                           ;   in Loop: Header=BB322_808 Depth=1
	s_or_b32 exec_lo, exec_lo, s15
.LBB322_1360:                           ;   in Loop: Header=BB322_808 Depth=1
	s_delay_alu instid0(SALU_CYCLE_1)
	s_or_b32 exec_lo, exec_lo, s13
.LBB322_1361:                           ;   in Loop: Header=BB322_808 Depth=1
	s_delay_alu instid0(SALU_CYCLE_1) | instskip(NEXT) | instid1(SALU_CYCLE_1)
	s_or_b32 exec_lo, exec_lo, s12
	s_mov_b32 s12, exec_lo
	v_cmpx_lt_u32_e32 0xffffff, v11
	s_cbranch_execz .LBB322_1369
; %bb.1362:                             ;   in Loop: Header=BB322_808 Depth=1
	v_lshrrev_b32_e32 v131, 24, v11
	v_bfrev_b32_e32 v130, 1
	s_mov_b32 s13, exec_lo
	s_delay_alu instid0(VALU_DEP_2)
	v_cmpx_ne_u32_e32 0x80, v131
	s_cbranch_execz .LBB322_1368
; %bb.1363:                             ;   in Loop: Header=BB322_808 Depth=1
	v_and_b32_e32 v13, 0x7f, v131
	v_mov_b32_e32 v130, 0x7fc02000
	s_mov_b32 s15, exec_lo
	s_delay_alu instid0(VALU_DEP_2)
	v_cmpx_ne_u32_e32 0x7f, v13
	s_cbranch_execz .LBB322_1367
; %bb.1364:                             ;   in Loop: Header=BB322_808 Depth=1
	v_and_b32_e32 v0, 7, v131
	v_lshrrev_b32_e32 v130, 3, v13
	v_cmp_gt_u32_e64 s0, 8, v13
	s_delay_alu instid0(VALU_DEP_3) | instskip(NEXT) | instid1(VALU_DEP_2)
	v_dual_mov_b32 v14, v1 :: v_dual_mov_b32 v13, v0
	s_and_saveexec_b32 s16, s0
; %bb.1365:                             ;   in Loop: Header=BB322_808 Depth=1
	v_clz_i32_u32_e32 v13, v0
	s_delay_alu instid0(VALU_DEP_1) | instskip(NEXT) | instid1(VALU_DEP_1)
	v_min_u32_e32 v130, 32, v13
	v_subrev_nc_u32_e32 v13, 28, v130
	v_sub_nc_u32_e32 v130, 29, v130
	s_delay_alu instid0(VALU_DEP_2) | instskip(NEXT) | instid1(VALU_DEP_1)
	v_lshlrev_b64 v[13:14], v13, v[0:1]
	v_and_b32_e32 v13, 7, v13
; %bb.1366:                             ;   in Loop: Header=BB322_808 Depth=1
	s_or_b32 exec_lo, exec_lo, s16
	v_lshlrev_b32_e32 v0, 8, v131
	v_lshl_add_u32 v14, v130, 10, 0x2000
	s_delay_alu instid0(VALU_DEP_1) | instskip(NEXT) | instid1(VALU_DEP_1)
	v_and_or_b32 v0, 0x8000, v0, v14
	v_lshl_or_b32 v0, v13, 7, v0
	s_delay_alu instid0(VALU_DEP_1)
	v_cvt_f32_f16_e64 v130, v0
.LBB322_1367:                           ;   in Loop: Header=BB322_808 Depth=1
	s_or_b32 exec_lo, exec_lo, s15
.LBB322_1368:                           ;   in Loop: Header=BB322_808 Depth=1
	s_delay_alu instid0(SALU_CYCLE_1)
	s_or_b32 exec_lo, exec_lo, s13
.LBB322_1369:                           ;   in Loop: Header=BB322_808 Depth=1
	s_delay_alu instid0(SALU_CYCLE_1) | instskip(SKIP_3) | instid1(VALU_DEP_2)
	s_or_b32 exec_lo, exec_lo, s12
	v_dual_mov_b32 v0, v12 :: v_dual_and_b32 v13, 0xff, v12
	v_dual_mov_b32 v132, 0 :: v_dual_mov_b32 v131, 0
	s_mov_b32 s12, exec_lo
	v_cmpx_ne_u16_e32 0, v13
	s_cbranch_execz .LBB322_1377
; %bb.1370:                             ;   in Loop: Header=BB322_808 Depth=1
	v_bfrev_b32_e32 v131, 1
	s_mov_b32 s13, exec_lo
	v_cmpx_ne_u16_e32 0x80, v13
	s_cbranch_execz .LBB322_1376
; %bb.1371:                             ;   in Loop: Header=BB322_808 Depth=1
	v_and_b32_e32 v13, 0x7f, v12
	v_mov_b32_e32 v131, 0x7fc02000
	s_mov_b32 s15, exec_lo
	s_delay_alu instid0(VALU_DEP_2)
	v_cmpx_ne_u32_e32 0x7f, v13
	s_cbranch_execz .LBB322_1375
; %bb.1372:                             ;   in Loop: Header=BB322_808 Depth=1
	v_lshrrev_b32_e32 v131, 3, v13
	v_cmp_gt_u32_e64 s0, 8, v13
	v_dual_mov_b32 v14, v1 :: v_dual_mov_b32 v13, v0
	s_delay_alu instid0(VALU_DEP_2)
	s_and_saveexec_b32 s16, s0
; %bb.1373:                             ;   in Loop: Header=BB322_808 Depth=1
	v_and_b32_e32 v13, 7, v12
	s_delay_alu instid0(VALU_DEP_1) | instskip(NEXT) | instid1(VALU_DEP_1)
	v_clz_i32_u32_e32 v13, v13
	v_min_u32_e32 v131, 32, v13
	s_delay_alu instid0(VALU_DEP_1) | instskip(SKIP_1) | instid1(VALU_DEP_2)
	v_subrev_nc_u32_e32 v13, 28, v131
	v_sub_nc_u32_e32 v131, 29, v131
	v_lshlrev_b64 v[13:14], v13, v[0:1]
; %bb.1374:                             ;   in Loop: Header=BB322_808 Depth=1
	s_or_b32 exec_lo, exec_lo, s16
	v_lshlrev_b32_e32 v14, 8, v12
	s_delay_alu instid0(VALU_DEP_3) | instskip(NEXT) | instid1(VALU_DEP_3)
	v_lshl_add_u32 v131, v131, 10, 0x2000
	v_lshlrev_b32_e32 v13, 7, v13
	s_delay_alu instid0(VALU_DEP_2) | instskip(NEXT) | instid1(VALU_DEP_1)
	v_and_or_b32 v14, 0x8000, v14, v131
	v_and_or_b32 v13, 0x380, v13, v14
	s_delay_alu instid0(VALU_DEP_1)
	v_cvt_f32_f16_e64 v131, v13
.LBB322_1375:                           ;   in Loop: Header=BB322_808 Depth=1
	s_or_b32 exec_lo, exec_lo, s15
.LBB322_1376:                           ;   in Loop: Header=BB322_808 Depth=1
	s_delay_alu instid0(SALU_CYCLE_1)
	s_or_b32 exec_lo, exec_lo, s13
.LBB322_1377:                           ;   in Loop: Header=BB322_808 Depth=1
	s_delay_alu instid0(SALU_CYCLE_1) | instskip(SKIP_2) | instid1(VALU_DEP_1)
	s_or_b32 exec_lo, exec_lo, s12
	v_lshrrev_b16 v0, 8, v0
	s_mov_b32 s12, exec_lo
	v_cmpx_ne_u16_e32 0, v0
	s_cbranch_execz .LBB322_1385
; %bb.1378:                             ;   in Loop: Header=BB322_808 Depth=1
	v_bfrev_b32_e32 v132, 1
	s_mov_b32 s13, exec_lo
	v_cmpx_ne_u16_e32 0x80, v0
	s_cbranch_execz .LBB322_1384
; %bb.1379:                             ;   in Loop: Header=BB322_808 Depth=1
	v_and_b32_e32 v133, 0xffff, v0
	v_mov_b32_e32 v132, 0x7fc02000
	s_mov_b32 s15, exec_lo
	s_delay_alu instid0(VALU_DEP_2) | instskip(NEXT) | instid1(VALU_DEP_1)
	v_and_b32_e32 v13, 0x7f, v133
	v_cmpx_ne_u32_e32 0x7f, v13
	s_cbranch_execz .LBB322_1383
; %bb.1380:                             ;   in Loop: Header=BB322_808 Depth=1
	v_and_b32_e32 v0, 7, v133
	v_lshrrev_b32_e32 v132, 3, v13
	v_cmp_gt_u32_e64 s0, 8, v13
	s_delay_alu instid0(VALU_DEP_3) | instskip(NEXT) | instid1(VALU_DEP_2)
	v_dual_mov_b32 v14, v1 :: v_dual_mov_b32 v13, v0
	s_and_saveexec_b32 s16, s0
; %bb.1381:                             ;   in Loop: Header=BB322_808 Depth=1
	v_clz_i32_u32_e32 v13, v0
	s_delay_alu instid0(VALU_DEP_1) | instskip(NEXT) | instid1(VALU_DEP_1)
	v_min_u32_e32 v132, 32, v13
	v_subrev_nc_u32_e32 v13, 28, v132
	v_sub_nc_u32_e32 v132, 29, v132
	s_delay_alu instid0(VALU_DEP_2) | instskip(NEXT) | instid1(VALU_DEP_1)
	v_lshlrev_b64 v[13:14], v13, v[0:1]
	v_and_b32_e32 v13, 7, v13
; %bb.1382:                             ;   in Loop: Header=BB322_808 Depth=1
	s_or_b32 exec_lo, exec_lo, s16
	v_lshlrev_b32_e32 v0, 8, v133
	v_lshl_add_u32 v14, v132, 10, 0x2000
	s_delay_alu instid0(VALU_DEP_1) | instskip(NEXT) | instid1(VALU_DEP_1)
	v_and_or_b32 v0, 0x8000, v0, v14
	v_lshl_or_b32 v0, v13, 7, v0
	s_delay_alu instid0(VALU_DEP_1)
	v_cvt_f32_f16_e64 v132, v0
.LBB322_1383:                           ;   in Loop: Header=BB322_808 Depth=1
	s_or_b32 exec_lo, exec_lo, s15
.LBB322_1384:                           ;   in Loop: Header=BB322_808 Depth=1
	s_delay_alu instid0(SALU_CYCLE_1)
	s_or_b32 exec_lo, exec_lo, s13
.LBB322_1385:                           ;   in Loop: Header=BB322_808 Depth=1
	s_delay_alu instid0(SALU_CYCLE_1) | instskip(SKIP_3) | instid1(VALU_DEP_2)
	s_or_b32 exec_lo, exec_lo, s12
	v_lshrrev_b32_e32 v134, 16, v12
	v_mov_b32_e32 v13, 0
	s_mov_b32 s12, exec_lo
	v_dual_mov_b32 v133, 0 :: v_dual_and_b32 v0, 0xff, v134
	s_delay_alu instid0(VALU_DEP_1)
	v_cmpx_ne_u16_e32 0, v0
	s_cbranch_execz .LBB322_1393
; %bb.1386:                             ;   in Loop: Header=BB322_808 Depth=1
	v_bfrev_b32_e32 v13, 1
	s_mov_b32 s13, exec_lo
	v_cmpx_ne_u16_e32 0x80, v0
	s_cbranch_execz .LBB322_1392
; %bb.1387:                             ;   in Loop: Header=BB322_808 Depth=1
	v_bfe_u32 v14, v12, 16, 7
	v_mov_b32_e32 v13, 0x7fc02000
	s_mov_b32 s15, exec_lo
	s_delay_alu instid0(VALU_DEP_2)
	v_cmpx_ne_u32_e32 0x7f, v14
	s_cbranch_execz .LBB322_1391
; %bb.1388:                             ;   in Loop: Header=BB322_808 Depth=1
	v_and_b32_e32 v0, 7, v134
	v_lshrrev_b32_e32 v135, 3, v14
	v_cmp_gt_u32_e64 s0, 8, v14
	s_delay_alu instid0(VALU_DEP_3) | instskip(NEXT) | instid1(VALU_DEP_2)
	v_dual_mov_b32 v14, v1 :: v_dual_mov_b32 v13, v0
	s_and_saveexec_b32 s16, s0
; %bb.1389:                             ;   in Loop: Header=BB322_808 Depth=1
	v_clz_i32_u32_e32 v13, v0
	s_delay_alu instid0(VALU_DEP_1) | instskip(NEXT) | instid1(VALU_DEP_1)
	v_min_u32_e32 v135, 32, v13
	v_subrev_nc_u32_e32 v13, 28, v135
	v_sub_nc_u32_e32 v135, 29, v135
	s_delay_alu instid0(VALU_DEP_2) | instskip(NEXT) | instid1(VALU_DEP_1)
	v_lshlrev_b64 v[13:14], v13, v[0:1]
	v_and_b32_e32 v13, 7, v13
; %bb.1390:                             ;   in Loop: Header=BB322_808 Depth=1
	s_or_b32 exec_lo, exec_lo, s16
	v_lshlrev_b32_e32 v0, 8, v134
	v_lshl_add_u32 v14, v135, 10, 0x2000
	s_delay_alu instid0(VALU_DEP_1) | instskip(NEXT) | instid1(VALU_DEP_1)
	v_and_or_b32 v0, 0x8000, v0, v14
	v_lshl_or_b32 v0, v13, 7, v0
	s_delay_alu instid0(VALU_DEP_1)
	v_cvt_f32_f16_e32 v13, v0
.LBB322_1391:                           ;   in Loop: Header=BB322_808 Depth=1
	s_or_b32 exec_lo, exec_lo, s15
.LBB322_1392:                           ;   in Loop: Header=BB322_808 Depth=1
	s_delay_alu instid0(SALU_CYCLE_1)
	s_or_b32 exec_lo, exec_lo, s13
.LBB322_1393:                           ;   in Loop: Header=BB322_808 Depth=1
	s_delay_alu instid0(SALU_CYCLE_1) | instskip(NEXT) | instid1(SALU_CYCLE_1)
	s_or_b32 exec_lo, exec_lo, s12
	s_mov_b32 s12, exec_lo
	v_cmpx_lt_u64_e64 s[8:9], v[11:12]
	s_cbranch_execz .LBB322_1401
; %bb.1394:                             ;   in Loop: Header=BB322_808 Depth=1
	v_lshrrev_b32_e32 v14, 24, v12
	v_bfrev_b32_e32 v133, 1
	s_mov_b32 s13, exec_lo
	s_delay_alu instid0(VALU_DEP_2)
	v_cmpx_ne_u32_e32 0x80, v14
	s_cbranch_execz .LBB322_1400
; %bb.1395:                             ;   in Loop: Header=BB322_808 Depth=1
	v_and_b32_e32 v11, 0x7f, v14
	v_mov_b32_e32 v133, 0x7fc02000
	s_mov_b32 s15, exec_lo
	s_delay_alu instid0(VALU_DEP_2)
	v_cmpx_ne_u32_e32 0x7f, v11
	s_cbranch_execz .LBB322_1399
; %bb.1396:                             ;   in Loop: Header=BB322_808 Depth=1
	v_and_b32_e32 v0, 7, v14
	v_lshrrev_b32_e32 v133, 3, v11
	v_cmp_gt_u32_e64 s0, 8, v11
	s_delay_alu instid0(VALU_DEP_3) | instskip(NEXT) | instid1(VALU_DEP_2)
	v_dual_mov_b32 v12, v1 :: v_dual_mov_b32 v11, v0
	s_and_saveexec_b32 s16, s0
; %bb.1397:                             ;   in Loop: Header=BB322_808 Depth=1
	v_clz_i32_u32_e32 v11, v0
	s_delay_alu instid0(VALU_DEP_1) | instskip(NEXT) | instid1(VALU_DEP_1)
	v_min_u32_e32 v133, 32, v11
	v_subrev_nc_u32_e32 v11, 28, v133
	v_sub_nc_u32_e32 v133, 29, v133
	s_delay_alu instid0(VALU_DEP_2) | instskip(NEXT) | instid1(VALU_DEP_1)
	v_lshlrev_b64 v[11:12], v11, v[0:1]
	v_and_b32_e32 v11, 7, v11
; %bb.1398:                             ;   in Loop: Header=BB322_808 Depth=1
	s_or_b32 exec_lo, exec_lo, s16
	v_lshlrev_b32_e32 v0, 8, v14
	v_lshl_add_u32 v12, v133, 10, 0x2000
	s_delay_alu instid0(VALU_DEP_1) | instskip(NEXT) | instid1(VALU_DEP_1)
	v_and_or_b32 v0, 0x8000, v0, v12
	v_lshl_or_b32 v0, v11, 7, v0
	s_delay_alu instid0(VALU_DEP_1)
	v_cvt_f32_f16_e64 v133, v0
.LBB322_1399:                           ;   in Loop: Header=BB322_808 Depth=1
	s_or_b32 exec_lo, exec_lo, s15
.LBB322_1400:                           ;   in Loop: Header=BB322_808 Depth=1
	s_delay_alu instid0(SALU_CYCLE_1)
	s_or_b32 exec_lo, exec_lo, s13
.LBB322_1401:                           ;   in Loop: Header=BB322_808 Depth=1
	s_delay_alu instid0(SALU_CYCLE_1)
	s_or_b32 exec_lo, exec_lo, s12
	s_waitcnt vmcnt(0) lgkmcnt(0)
	v_fma_mixlo_f16 v12, v118, v128, 0
	v_fma_mixlo_f16 v0, v118, v130, 0
	;; [unrolled: 1-line block ×5, first 2 shown]
	v_lshlrev_b32_e32 v14, 16, v12
	v_fma_mixlo_f16 v129, v118, v131, 0
	v_fma_mixlo_f16 v130, v118, v133, 0
	;; [unrolled: 1-line block ×3, first 2 shown]
	v_lshlrev_b32_e32 v0, 16, v0
	v_and_b32_e32 v11, 0xffff, v11
	v_and_b32_e32 v118, 0xffff, v119
	v_lshlrev_b32_e32 v119, 16, v128
	v_and_b32_e32 v128, 0xffff, v129
	v_lshlrev_b32_e32 v129, 16, v130
	v_and_b32_e32 v130, 0xffff, v12
	v_or_b32_e32 v13, v0, v11
	v_or_b32_e32 v14, v14, v118
	;; [unrolled: 1-line block ×3, first 2 shown]
	s_delay_alu instid0(VALU_DEP_4)
	v_or_b32_e32 v11, v129, v130
	s_and_saveexec_b32 s12, vcc_lo
	s_cbranch_execz .LBB322_1403
; %bb.1402:                             ;   in Loop: Header=BB322_808 Depth=1
	v_cmp_lt_i32_e64 s0, v18, v37
	v_lshrrev_b32_e32 v118, 16, v14
	v_lshrrev_b32_e32 v119, 16, v13
	;; [unrolled: 1-line block ×4, first 2 shown]
	v_cndmask_b32_e64 v14, 0, v14, s0
	v_cmp_lt_i32_e64 s0, v84, v53
	s_delay_alu instid0(VALU_DEP_1) | instskip(SKIP_1) | instid1(VALU_DEP_2)
	v_cndmask_b32_e64 v118, 0, v118, s0
	v_cmp_lt_i32_e64 s0, v83, v53
	v_perm_b32 v14, v118, v14, 0x5040100
	s_delay_alu instid0(VALU_DEP_2) | instskip(SKIP_1) | instid1(VALU_DEP_1)
	v_cndmask_b32_e64 v119, 0, v119, s0
	v_cmp_lt_i32_e64 s0, v71, v37
	v_cndmask_b32_e64 v13, 0, v13, s0
	v_cmp_lt_i32_e64 s0, v70, v53
	s_delay_alu instid0(VALU_DEP_2) | instskip(NEXT) | instid1(VALU_DEP_2)
	v_perm_b32 v13, v119, v13, 0x5040100
	v_cndmask_b32_e64 v128, 0, v128, s0
	v_cmp_lt_i32_e64 s0, v69, v37
	s_delay_alu instid0(VALU_DEP_1) | instskip(SKIP_1) | instid1(VALU_DEP_2)
	v_cndmask_b32_e64 v0, 0, v0, s0
	v_cmp_lt_i32_e64 s0, v64, v53
	v_perm_b32 v0, v128, v0, 0x5040100
	s_delay_alu instid0(VALU_DEP_2) | instskip(SKIP_1) | instid1(VALU_DEP_1)
	v_cndmask_b32_e64 v11, 0, v11, s0
	v_cmp_lt_i32_e64 s0, v19, v37
	v_cndmask_b32_e64 v12, 0, v12, s0
	s_delay_alu instid0(VALU_DEP_1)
	v_perm_b32 v11, v11, v12, 0x5040100
.LBB322_1403:                           ;   in Loop: Header=BB322_808 Depth=1
	s_or_b32 exec_lo, exec_lo, s12
	;;#ASMSTART
	v_pk_mul_f16 v12, v87, v14;

	;;#ASMEND
	;;#ASMSTART
	v_pk_mul_f16 v13, v86, v13;

	;;#ASMEND
	;; [unrolled: 4-line block ×4, first 2 shown]
	;;#ASMSTART
	v_pk_add_f16 v12, v12, v13;

	;;#ASMEND
	;;#ASMSTART
	v_pk_add_f16 v0, v12, v0;

	;;#ASMEND
	;; [unrolled: 4-line block ×3, first 2 shown]
	v_dual_mov_b32 v130, 0 :: v_dual_and_b32 v11, 0xffff, v0
	v_lshrrev_b32_e32 v0, 16, v0
	;;#ASMSTART
	v_cvt_f32_f16 v118, v11;
	;;#ASMEND
	;;#ASMSTART
	v_cvt_f32_f16 v119, v0;
	;;#ASMEND
	flat_load_b64 v[11:12], v[9:10] offset:2304
	flat_load_b32 v128, v[26:27]
	s_mov_b32 s12, exec_lo
	s_waitcnt vmcnt(1) lgkmcnt(1)
	v_dual_mov_b32 v129, 0 :: v_dual_and_b32 v0, 0xff, v11
	s_delay_alu instid0(VALU_DEP_1)
	v_cmpx_ne_u16_e32 0, v0
	s_cbranch_execz .LBB322_1411
; %bb.1404:                             ;   in Loop: Header=BB322_808 Depth=1
	v_bfrev_b32_e32 v129, 1
	s_mov_b32 s13, exec_lo
	v_cmpx_ne_u16_e32 0x80, v0
	s_cbranch_execz .LBB322_1410
; %bb.1405:                             ;   in Loop: Header=BB322_808 Depth=1
	v_and_b32_e32 v13, 0x7f, v11
	v_mov_b32_e32 v129, 0x7fc02000
	s_mov_b32 s15, exec_lo
	s_delay_alu instid0(VALU_DEP_2)
	v_cmpx_ne_u32_e32 0x7f, v13
	s_cbranch_execz .LBB322_1409
; %bb.1406:                             ;   in Loop: Header=BB322_808 Depth=1
	v_lshrrev_b32_e32 v0, 3, v13
	v_cmp_gt_u32_e64 s0, 8, v13
	v_dual_mov_b32 v14, v12 :: v_dual_mov_b32 v13, v11
	s_delay_alu instid0(VALU_DEP_2)
	s_and_saveexec_b32 s16, s0
; %bb.1407:                             ;   in Loop: Header=BB322_808 Depth=1
	v_and_b32_e32 v0, 7, v11
	s_delay_alu instid0(VALU_DEP_1) | instskip(NEXT) | instid1(VALU_DEP_1)
	v_clz_i32_u32_e32 v0, v0
	v_min_u32_e32 v0, 32, v0
	s_delay_alu instid0(VALU_DEP_1) | instskip(SKIP_1) | instid1(VALU_DEP_2)
	v_subrev_nc_u32_e32 v13, 28, v0
	v_sub_nc_u32_e32 v0, 29, v0
	v_lshlrev_b64 v[13:14], v13, v[11:12]
; %bb.1408:                             ;   in Loop: Header=BB322_808 Depth=1
	s_or_b32 exec_lo, exec_lo, s16
	v_lshlrev_b32_e32 v14, 8, v11
	s_delay_alu instid0(VALU_DEP_3) | instskip(NEXT) | instid1(VALU_DEP_3)
	v_lshl_add_u32 v0, v0, 10, 0x2000
	v_lshlrev_b32_e32 v13, 7, v13
	s_delay_alu instid0(VALU_DEP_2) | instskip(NEXT) | instid1(VALU_DEP_1)
	v_and_or_b32 v0, 0x8000, v14, v0
	v_and_or_b32 v0, 0x380, v13, v0
	s_delay_alu instid0(VALU_DEP_1)
	v_cvt_f32_f16_e64 v129, v0
.LBB322_1409:                           ;   in Loop: Header=BB322_808 Depth=1
	s_or_b32 exec_lo, exec_lo, s15
.LBB322_1410:                           ;   in Loop: Header=BB322_808 Depth=1
	s_delay_alu instid0(SALU_CYCLE_1)
	s_or_b32 exec_lo, exec_lo, s13
.LBB322_1411:                           ;   in Loop: Header=BB322_808 Depth=1
	s_delay_alu instid0(SALU_CYCLE_1) | instskip(SKIP_2) | instid1(VALU_DEP_1)
	s_or_b32 exec_lo, exec_lo, s12
	v_lshrrev_b16 v0, 8, v11
	s_mov_b32 s12, exec_lo
	v_cmpx_ne_u16_e32 0, v0
	s_cbranch_execz .LBB322_1419
; %bb.1412:                             ;   in Loop: Header=BB322_808 Depth=1
	v_bfrev_b32_e32 v130, 1
	s_mov_b32 s13, exec_lo
	v_cmpx_ne_u16_e32 0x80, v0
	s_cbranch_execz .LBB322_1418
; %bb.1413:                             ;   in Loop: Header=BB322_808 Depth=1
	v_and_b32_e32 v131, 0xffff, v0
	v_mov_b32_e32 v130, 0x7fc02000
	s_mov_b32 s15, exec_lo
	s_delay_alu instid0(VALU_DEP_2) | instskip(NEXT) | instid1(VALU_DEP_1)
	v_and_b32_e32 v13, 0x7f, v131
	v_cmpx_ne_u32_e32 0x7f, v13
	s_cbranch_execz .LBB322_1417
; %bb.1414:                             ;   in Loop: Header=BB322_808 Depth=1
	v_and_b32_e32 v0, 7, v131
	v_lshrrev_b32_e32 v130, 3, v13
	v_cmp_gt_u32_e64 s0, 8, v13
	s_delay_alu instid0(VALU_DEP_3) | instskip(NEXT) | instid1(VALU_DEP_2)
	v_dual_mov_b32 v14, v1 :: v_dual_mov_b32 v13, v0
	s_and_saveexec_b32 s16, s0
; %bb.1415:                             ;   in Loop: Header=BB322_808 Depth=1
	v_clz_i32_u32_e32 v13, v0
	s_delay_alu instid0(VALU_DEP_1) | instskip(NEXT) | instid1(VALU_DEP_1)
	v_min_u32_e32 v130, 32, v13
	v_subrev_nc_u32_e32 v13, 28, v130
	v_sub_nc_u32_e32 v130, 29, v130
	s_delay_alu instid0(VALU_DEP_2) | instskip(NEXT) | instid1(VALU_DEP_1)
	v_lshlrev_b64 v[13:14], v13, v[0:1]
	v_and_b32_e32 v13, 7, v13
; %bb.1416:                             ;   in Loop: Header=BB322_808 Depth=1
	s_or_b32 exec_lo, exec_lo, s16
	v_lshlrev_b32_e32 v0, 8, v131
	v_lshl_add_u32 v14, v130, 10, 0x2000
	s_delay_alu instid0(VALU_DEP_1) | instskip(NEXT) | instid1(VALU_DEP_1)
	v_and_or_b32 v0, 0x8000, v0, v14
	v_lshl_or_b32 v0, v13, 7, v0
	s_delay_alu instid0(VALU_DEP_1)
	v_cvt_f32_f16_e64 v130, v0
.LBB322_1417:                           ;   in Loop: Header=BB322_808 Depth=1
	s_or_b32 exec_lo, exec_lo, s15
.LBB322_1418:                           ;   in Loop: Header=BB322_808 Depth=1
	s_delay_alu instid0(SALU_CYCLE_1)
	s_or_b32 exec_lo, exec_lo, s13
.LBB322_1419:                           ;   in Loop: Header=BB322_808 Depth=1
	s_delay_alu instid0(SALU_CYCLE_1) | instskip(SKIP_3) | instid1(VALU_DEP_2)
	s_or_b32 exec_lo, exec_lo, s12
	v_lshrrev_b32_e32 v133, 16, v11
	v_mov_b32_e32 v132, 0
	s_mov_b32 s12, exec_lo
	v_dual_mov_b32 v131, 0 :: v_dual_and_b32 v0, 0xff, v133
	s_delay_alu instid0(VALU_DEP_1)
	v_cmpx_ne_u16_e32 0, v0
	s_cbranch_execz .LBB322_1427
; %bb.1420:                             ;   in Loop: Header=BB322_808 Depth=1
	v_bfrev_b32_e32 v131, 1
	s_mov_b32 s13, exec_lo
	v_cmpx_ne_u16_e32 0x80, v0
	s_cbranch_execz .LBB322_1426
; %bb.1421:                             ;   in Loop: Header=BB322_808 Depth=1
	v_bfe_u32 v13, v11, 16, 7
	v_mov_b32_e32 v131, 0x7fc02000
	s_mov_b32 s15, exec_lo
	s_delay_alu instid0(VALU_DEP_2)
	v_cmpx_ne_u32_e32 0x7f, v13
	s_cbranch_execz .LBB322_1425
; %bb.1422:                             ;   in Loop: Header=BB322_808 Depth=1
	v_and_b32_e32 v0, 7, v133
	v_lshrrev_b32_e32 v131, 3, v13
	v_cmp_gt_u32_e64 s0, 8, v13
	s_delay_alu instid0(VALU_DEP_3) | instskip(NEXT) | instid1(VALU_DEP_2)
	v_dual_mov_b32 v14, v1 :: v_dual_mov_b32 v13, v0
	s_and_saveexec_b32 s16, s0
; %bb.1423:                             ;   in Loop: Header=BB322_808 Depth=1
	v_clz_i32_u32_e32 v13, v0
	s_delay_alu instid0(VALU_DEP_1) | instskip(NEXT) | instid1(VALU_DEP_1)
	v_min_u32_e32 v131, 32, v13
	v_subrev_nc_u32_e32 v13, 28, v131
	v_sub_nc_u32_e32 v131, 29, v131
	s_delay_alu instid0(VALU_DEP_2) | instskip(NEXT) | instid1(VALU_DEP_1)
	v_lshlrev_b64 v[13:14], v13, v[0:1]
	v_and_b32_e32 v13, 7, v13
; %bb.1424:                             ;   in Loop: Header=BB322_808 Depth=1
	s_or_b32 exec_lo, exec_lo, s16
	v_lshlrev_b32_e32 v0, 8, v133
	v_lshl_add_u32 v14, v131, 10, 0x2000
	s_delay_alu instid0(VALU_DEP_1) | instskip(NEXT) | instid1(VALU_DEP_1)
	v_and_or_b32 v0, 0x8000, v0, v14
	v_lshl_or_b32 v0, v13, 7, v0
	s_delay_alu instid0(VALU_DEP_1)
	v_cvt_f32_f16_e64 v131, v0
.LBB322_1425:                           ;   in Loop: Header=BB322_808 Depth=1
	s_or_b32 exec_lo, exec_lo, s15
.LBB322_1426:                           ;   in Loop: Header=BB322_808 Depth=1
	s_delay_alu instid0(SALU_CYCLE_1)
	s_or_b32 exec_lo, exec_lo, s13
.LBB322_1427:                           ;   in Loop: Header=BB322_808 Depth=1
	s_delay_alu instid0(SALU_CYCLE_1) | instskip(NEXT) | instid1(SALU_CYCLE_1)
	s_or_b32 exec_lo, exec_lo, s12
	s_mov_b32 s12, exec_lo
	v_cmpx_lt_u32_e32 0xffffff, v11
	s_cbranch_execz .LBB322_1435
; %bb.1428:                             ;   in Loop: Header=BB322_808 Depth=1
	v_lshrrev_b32_e32 v133, 24, v11
	v_bfrev_b32_e32 v132, 1
	s_mov_b32 s13, exec_lo
	s_delay_alu instid0(VALU_DEP_2)
	v_cmpx_ne_u32_e32 0x80, v133
	s_cbranch_execz .LBB322_1434
; %bb.1429:                             ;   in Loop: Header=BB322_808 Depth=1
	v_and_b32_e32 v13, 0x7f, v133
	v_mov_b32_e32 v132, 0x7fc02000
	s_mov_b32 s15, exec_lo
	s_delay_alu instid0(VALU_DEP_2)
	v_cmpx_ne_u32_e32 0x7f, v13
	s_cbranch_execz .LBB322_1433
; %bb.1430:                             ;   in Loop: Header=BB322_808 Depth=1
	v_and_b32_e32 v0, 7, v133
	v_lshrrev_b32_e32 v132, 3, v13
	v_cmp_gt_u32_e64 s0, 8, v13
	s_delay_alu instid0(VALU_DEP_3) | instskip(NEXT) | instid1(VALU_DEP_2)
	v_dual_mov_b32 v14, v1 :: v_dual_mov_b32 v13, v0
	s_and_saveexec_b32 s16, s0
; %bb.1431:                             ;   in Loop: Header=BB322_808 Depth=1
	v_clz_i32_u32_e32 v13, v0
	s_delay_alu instid0(VALU_DEP_1) | instskip(NEXT) | instid1(VALU_DEP_1)
	v_min_u32_e32 v132, 32, v13
	v_subrev_nc_u32_e32 v13, 28, v132
	v_sub_nc_u32_e32 v132, 29, v132
	s_delay_alu instid0(VALU_DEP_2) | instskip(NEXT) | instid1(VALU_DEP_1)
	v_lshlrev_b64 v[13:14], v13, v[0:1]
	v_and_b32_e32 v13, 7, v13
; %bb.1432:                             ;   in Loop: Header=BB322_808 Depth=1
	s_or_b32 exec_lo, exec_lo, s16
	v_lshlrev_b32_e32 v0, 8, v133
	v_lshl_add_u32 v14, v132, 10, 0x2000
	s_delay_alu instid0(VALU_DEP_1) | instskip(NEXT) | instid1(VALU_DEP_1)
	v_and_or_b32 v0, 0x8000, v0, v14
	v_lshl_or_b32 v0, v13, 7, v0
	s_delay_alu instid0(VALU_DEP_1)
	v_cvt_f32_f16_e64 v132, v0
.LBB322_1433:                           ;   in Loop: Header=BB322_808 Depth=1
	s_or_b32 exec_lo, exec_lo, s15
.LBB322_1434:                           ;   in Loop: Header=BB322_808 Depth=1
	s_delay_alu instid0(SALU_CYCLE_1)
	s_or_b32 exec_lo, exec_lo, s13
.LBB322_1435:                           ;   in Loop: Header=BB322_808 Depth=1
	s_delay_alu instid0(SALU_CYCLE_1) | instskip(SKIP_3) | instid1(VALU_DEP_2)
	s_or_b32 exec_lo, exec_lo, s12
	v_dual_mov_b32 v0, v12 :: v_dual_and_b32 v13, 0xff, v12
	v_dual_mov_b32 v134, 0 :: v_dual_mov_b32 v133, 0
	s_mov_b32 s12, exec_lo
	v_cmpx_ne_u16_e32 0, v13
	s_cbranch_execz .LBB322_1443
; %bb.1436:                             ;   in Loop: Header=BB322_808 Depth=1
	v_bfrev_b32_e32 v133, 1
	s_mov_b32 s13, exec_lo
	v_cmpx_ne_u16_e32 0x80, v13
	s_cbranch_execz .LBB322_1442
; %bb.1437:                             ;   in Loop: Header=BB322_808 Depth=1
	v_and_b32_e32 v13, 0x7f, v12
	v_mov_b32_e32 v133, 0x7fc02000
	s_mov_b32 s15, exec_lo
	s_delay_alu instid0(VALU_DEP_2)
	v_cmpx_ne_u32_e32 0x7f, v13
	s_cbranch_execz .LBB322_1441
; %bb.1438:                             ;   in Loop: Header=BB322_808 Depth=1
	v_lshrrev_b32_e32 v133, 3, v13
	v_cmp_gt_u32_e64 s0, 8, v13
	v_dual_mov_b32 v14, v1 :: v_dual_mov_b32 v13, v0
	s_delay_alu instid0(VALU_DEP_2)
	s_and_saveexec_b32 s16, s0
; %bb.1439:                             ;   in Loop: Header=BB322_808 Depth=1
	v_and_b32_e32 v13, 7, v12
	s_delay_alu instid0(VALU_DEP_1) | instskip(NEXT) | instid1(VALU_DEP_1)
	v_clz_i32_u32_e32 v13, v13
	v_min_u32_e32 v133, 32, v13
	s_delay_alu instid0(VALU_DEP_1) | instskip(SKIP_1) | instid1(VALU_DEP_2)
	v_subrev_nc_u32_e32 v13, 28, v133
	v_sub_nc_u32_e32 v133, 29, v133
	v_lshlrev_b64 v[13:14], v13, v[0:1]
; %bb.1440:                             ;   in Loop: Header=BB322_808 Depth=1
	s_or_b32 exec_lo, exec_lo, s16
	v_lshlrev_b32_e32 v14, 8, v12
	s_delay_alu instid0(VALU_DEP_3) | instskip(NEXT) | instid1(VALU_DEP_3)
	v_lshl_add_u32 v133, v133, 10, 0x2000
	v_lshlrev_b32_e32 v13, 7, v13
	s_delay_alu instid0(VALU_DEP_2) | instskip(NEXT) | instid1(VALU_DEP_1)
	v_and_or_b32 v14, 0x8000, v14, v133
	v_and_or_b32 v13, 0x380, v13, v14
	s_delay_alu instid0(VALU_DEP_1)
	v_cvt_f32_f16_e64 v133, v13
.LBB322_1441:                           ;   in Loop: Header=BB322_808 Depth=1
	s_or_b32 exec_lo, exec_lo, s15
.LBB322_1442:                           ;   in Loop: Header=BB322_808 Depth=1
	s_delay_alu instid0(SALU_CYCLE_1)
	s_or_b32 exec_lo, exec_lo, s13
.LBB322_1443:                           ;   in Loop: Header=BB322_808 Depth=1
	s_delay_alu instid0(SALU_CYCLE_1) | instskip(SKIP_2) | instid1(VALU_DEP_1)
	s_or_b32 exec_lo, exec_lo, s12
	v_lshrrev_b16 v0, 8, v0
	s_mov_b32 s12, exec_lo
	v_cmpx_ne_u16_e32 0, v0
	s_cbranch_execz .LBB322_1451
; %bb.1444:                             ;   in Loop: Header=BB322_808 Depth=1
	v_bfrev_b32_e32 v134, 1
	s_mov_b32 s13, exec_lo
	v_cmpx_ne_u16_e32 0x80, v0
	s_cbranch_execz .LBB322_1450
; %bb.1445:                             ;   in Loop: Header=BB322_808 Depth=1
	v_and_b32_e32 v135, 0xffff, v0
	v_mov_b32_e32 v134, 0x7fc02000
	s_mov_b32 s15, exec_lo
	s_delay_alu instid0(VALU_DEP_2) | instskip(NEXT) | instid1(VALU_DEP_1)
	v_and_b32_e32 v13, 0x7f, v135
	v_cmpx_ne_u32_e32 0x7f, v13
	s_cbranch_execz .LBB322_1449
; %bb.1446:                             ;   in Loop: Header=BB322_808 Depth=1
	v_and_b32_e32 v0, 7, v135
	v_lshrrev_b32_e32 v134, 3, v13
	v_cmp_gt_u32_e64 s0, 8, v13
	s_delay_alu instid0(VALU_DEP_3) | instskip(NEXT) | instid1(VALU_DEP_2)
	v_dual_mov_b32 v14, v1 :: v_dual_mov_b32 v13, v0
	s_and_saveexec_b32 s16, s0
; %bb.1447:                             ;   in Loop: Header=BB322_808 Depth=1
	v_clz_i32_u32_e32 v13, v0
	s_delay_alu instid0(VALU_DEP_1) | instskip(NEXT) | instid1(VALU_DEP_1)
	v_min_u32_e32 v134, 32, v13
	v_subrev_nc_u32_e32 v13, 28, v134
	v_sub_nc_u32_e32 v134, 29, v134
	s_delay_alu instid0(VALU_DEP_2) | instskip(NEXT) | instid1(VALU_DEP_1)
	v_lshlrev_b64 v[13:14], v13, v[0:1]
	v_and_b32_e32 v13, 7, v13
; %bb.1448:                             ;   in Loop: Header=BB322_808 Depth=1
	s_or_b32 exec_lo, exec_lo, s16
	v_lshlrev_b32_e32 v0, 8, v135
	v_lshl_add_u32 v14, v134, 10, 0x2000
	s_delay_alu instid0(VALU_DEP_1) | instskip(NEXT) | instid1(VALU_DEP_1)
	v_and_or_b32 v0, 0x8000, v0, v14
	v_lshl_or_b32 v0, v13, 7, v0
	s_delay_alu instid0(VALU_DEP_1)
	v_cvt_f32_f16_e64 v134, v0
.LBB322_1449:                           ;   in Loop: Header=BB322_808 Depth=1
	s_or_b32 exec_lo, exec_lo, s15
.LBB322_1450:                           ;   in Loop: Header=BB322_808 Depth=1
	s_delay_alu instid0(SALU_CYCLE_1)
	s_or_b32 exec_lo, exec_lo, s13
.LBB322_1451:                           ;   in Loop: Header=BB322_808 Depth=1
	s_delay_alu instid0(SALU_CYCLE_1) | instskip(SKIP_3) | instid1(VALU_DEP_2)
	s_or_b32 exec_lo, exec_lo, s12
	v_lshrrev_b32_e32 v144, 16, v12
	v_mov_b32_e32 v13, 0
	s_mov_b32 s12, exec_lo
	v_dual_mov_b32 v135, 0 :: v_dual_and_b32 v0, 0xff, v144
	s_delay_alu instid0(VALU_DEP_1)
	v_cmpx_ne_u16_e32 0, v0
	s_cbranch_execz .LBB322_1459
; %bb.1452:                             ;   in Loop: Header=BB322_808 Depth=1
	v_bfrev_b32_e32 v13, 1
	s_mov_b32 s13, exec_lo
	v_cmpx_ne_u16_e32 0x80, v0
	s_cbranch_execz .LBB322_1458
; %bb.1453:                             ;   in Loop: Header=BB322_808 Depth=1
	v_bfe_u32 v14, v12, 16, 7
	v_mov_b32_e32 v13, 0x7fc02000
	s_mov_b32 s15, exec_lo
	s_delay_alu instid0(VALU_DEP_2)
	v_cmpx_ne_u32_e32 0x7f, v14
	s_cbranch_execz .LBB322_1457
; %bb.1454:                             ;   in Loop: Header=BB322_808 Depth=1
	v_and_b32_e32 v0, 7, v144
	v_lshrrev_b32_e32 v145, 3, v14
	v_cmp_gt_u32_e64 s0, 8, v14
	s_delay_alu instid0(VALU_DEP_3) | instskip(NEXT) | instid1(VALU_DEP_2)
	v_dual_mov_b32 v14, v1 :: v_dual_mov_b32 v13, v0
	s_and_saveexec_b32 s16, s0
; %bb.1455:                             ;   in Loop: Header=BB322_808 Depth=1
	v_clz_i32_u32_e32 v13, v0
	s_delay_alu instid0(VALU_DEP_1) | instskip(NEXT) | instid1(VALU_DEP_1)
	v_min_u32_e32 v145, 32, v13
	v_subrev_nc_u32_e32 v13, 28, v145
	v_sub_nc_u32_e32 v145, 29, v145
	s_delay_alu instid0(VALU_DEP_2) | instskip(NEXT) | instid1(VALU_DEP_1)
	v_lshlrev_b64 v[13:14], v13, v[0:1]
	v_and_b32_e32 v13, 7, v13
; %bb.1456:                             ;   in Loop: Header=BB322_808 Depth=1
	s_or_b32 exec_lo, exec_lo, s16
	v_lshlrev_b32_e32 v0, 8, v144
	v_lshl_add_u32 v14, v145, 10, 0x2000
	s_delay_alu instid0(VALU_DEP_1) | instskip(NEXT) | instid1(VALU_DEP_1)
	v_and_or_b32 v0, 0x8000, v0, v14
	v_lshl_or_b32 v0, v13, 7, v0
	s_delay_alu instid0(VALU_DEP_1)
	v_cvt_f32_f16_e32 v13, v0
.LBB322_1457:                           ;   in Loop: Header=BB322_808 Depth=1
	s_or_b32 exec_lo, exec_lo, s15
.LBB322_1458:                           ;   in Loop: Header=BB322_808 Depth=1
	s_delay_alu instid0(SALU_CYCLE_1)
	s_or_b32 exec_lo, exec_lo, s13
.LBB322_1459:                           ;   in Loop: Header=BB322_808 Depth=1
	s_delay_alu instid0(SALU_CYCLE_1) | instskip(NEXT) | instid1(SALU_CYCLE_1)
	s_or_b32 exec_lo, exec_lo, s12
	s_mov_b32 s12, exec_lo
	v_cmpx_lt_u64_e64 s[8:9], v[11:12]
	s_cbranch_execz .LBB322_1467
; %bb.1460:                             ;   in Loop: Header=BB322_808 Depth=1
	v_lshrrev_b32_e32 v14, 24, v12
	v_bfrev_b32_e32 v135, 1
	s_mov_b32 s13, exec_lo
	s_delay_alu instid0(VALU_DEP_2)
	v_cmpx_ne_u32_e32 0x80, v14
	s_cbranch_execz .LBB322_1466
; %bb.1461:                             ;   in Loop: Header=BB322_808 Depth=1
	v_and_b32_e32 v11, 0x7f, v14
	v_mov_b32_e32 v135, 0x7fc02000
	s_mov_b32 s15, exec_lo
	s_delay_alu instid0(VALU_DEP_2)
	v_cmpx_ne_u32_e32 0x7f, v11
	s_cbranch_execz .LBB322_1465
; %bb.1462:                             ;   in Loop: Header=BB322_808 Depth=1
	v_and_b32_e32 v0, 7, v14
	v_lshrrev_b32_e32 v135, 3, v11
	v_cmp_gt_u32_e64 s0, 8, v11
	s_delay_alu instid0(VALU_DEP_3) | instskip(NEXT) | instid1(VALU_DEP_2)
	v_dual_mov_b32 v12, v1 :: v_dual_mov_b32 v11, v0
	s_and_saveexec_b32 s16, s0
; %bb.1463:                             ;   in Loop: Header=BB322_808 Depth=1
	v_clz_i32_u32_e32 v11, v0
	s_delay_alu instid0(VALU_DEP_1) | instskip(NEXT) | instid1(VALU_DEP_1)
	v_min_u32_e32 v135, 32, v11
	v_subrev_nc_u32_e32 v11, 28, v135
	v_sub_nc_u32_e32 v135, 29, v135
	s_delay_alu instid0(VALU_DEP_2) | instskip(NEXT) | instid1(VALU_DEP_1)
	v_lshlrev_b64 v[11:12], v11, v[0:1]
	v_and_b32_e32 v11, 7, v11
; %bb.1464:                             ;   in Loop: Header=BB322_808 Depth=1
	s_or_b32 exec_lo, exec_lo, s16
	v_lshlrev_b32_e32 v0, 8, v14
	v_lshl_add_u32 v12, v135, 10, 0x2000
	s_delay_alu instid0(VALU_DEP_1) | instskip(NEXT) | instid1(VALU_DEP_1)
	v_and_or_b32 v0, 0x8000, v0, v12
	v_lshl_or_b32 v0, v11, 7, v0
	s_delay_alu instid0(VALU_DEP_1)
	v_cvt_f32_f16_e64 v135, v0
.LBB322_1465:                           ;   in Loop: Header=BB322_808 Depth=1
	s_or_b32 exec_lo, exec_lo, s15
.LBB322_1466:                           ;   in Loop: Header=BB322_808 Depth=1
	s_delay_alu instid0(SALU_CYCLE_1)
	s_or_b32 exec_lo, exec_lo, s13
.LBB322_1467:                           ;   in Loop: Header=BB322_808 Depth=1
	s_delay_alu instid0(SALU_CYCLE_1)
	s_or_b32 exec_lo, exec_lo, s12
	s_waitcnt vmcnt(0) lgkmcnt(0)
	v_fma_mixlo_f16 v12, v128, v130, 0
	v_fma_mixlo_f16 v0, v128, v132, 0
	;; [unrolled: 1-line block ×5, first 2 shown]
	v_lshlrev_b32_e32 v14, 16, v12
	v_fma_mixlo_f16 v131, v128, v133, 0
	v_fma_mixlo_f16 v132, v128, v135, 0
	;; [unrolled: 1-line block ×3, first 2 shown]
	v_lshlrev_b32_e32 v0, 16, v0
	v_and_b32_e32 v11, 0xffff, v11
	v_and_b32_e32 v128, 0xffff, v129
	v_lshlrev_b32_e32 v129, 16, v130
	v_and_b32_e32 v130, 0xffff, v131
	v_lshlrev_b32_e32 v131, 16, v132
	v_and_b32_e32 v132, 0xffff, v12
	v_or_b32_e32 v13, v0, v11
	v_or_b32_e32 v14, v14, v128
	;; [unrolled: 1-line block ×3, first 2 shown]
	s_delay_alu instid0(VALU_DEP_4)
	v_or_b32_e32 v11, v131, v132
	s_and_saveexec_b32 s12, vcc_lo
	s_cbranch_execz .LBB322_1469
; %bb.1468:                             ;   in Loop: Header=BB322_808 Depth=1
	v_cmp_lt_i32_e64 s0, v18, v37
	v_lshrrev_b32_e32 v128, 16, v14
	v_lshrrev_b32_e32 v129, 16, v13
	;; [unrolled: 1-line block ×4, first 2 shown]
	v_cndmask_b32_e64 v14, 0, v14, s0
	v_cmp_lt_i32_e64 s0, v84, v53
	s_delay_alu instid0(VALU_DEP_1) | instskip(SKIP_1) | instid1(VALU_DEP_2)
	v_cndmask_b32_e64 v128, 0, v128, s0
	v_cmp_lt_i32_e64 s0, v83, v53
	v_perm_b32 v14, v128, v14, 0x5040100
	s_delay_alu instid0(VALU_DEP_2) | instskip(SKIP_1) | instid1(VALU_DEP_1)
	v_cndmask_b32_e64 v129, 0, v129, s0
	v_cmp_lt_i32_e64 s0, v71, v37
	v_cndmask_b32_e64 v13, 0, v13, s0
	v_cmp_lt_i32_e64 s0, v70, v53
	s_delay_alu instid0(VALU_DEP_2) | instskip(NEXT) | instid1(VALU_DEP_2)
	v_perm_b32 v13, v129, v13, 0x5040100
	v_cndmask_b32_e64 v130, 0, v130, s0
	v_cmp_lt_i32_e64 s0, v69, v37
	s_delay_alu instid0(VALU_DEP_1) | instskip(SKIP_1) | instid1(VALU_DEP_2)
	v_cndmask_b32_e64 v0, 0, v0, s0
	v_cmp_lt_i32_e64 s0, v64, v53
	v_perm_b32 v0, v130, v0, 0x5040100
	s_delay_alu instid0(VALU_DEP_2) | instskip(SKIP_1) | instid1(VALU_DEP_1)
	v_cndmask_b32_e64 v11, 0, v11, s0
	v_cmp_lt_i32_e64 s0, v19, v37
	v_cndmask_b32_e64 v12, 0, v12, s0
	s_delay_alu instid0(VALU_DEP_1)
	v_perm_b32 v11, v11, v12, 0x5040100
.LBB322_1469:                           ;   in Loop: Header=BB322_808 Depth=1
	s_or_b32 exec_lo, exec_lo, s12
	;;#ASMSTART
	v_pk_mul_f16 v12, v87, v14;

	;;#ASMEND
	;;#ASMSTART
	v_pk_mul_f16 v13, v86, v13;

	;;#ASMEND
	;; [unrolled: 4-line block ×4, first 2 shown]
	;;#ASMSTART
	v_pk_add_f16 v12, v12, v13;

	;;#ASMEND
	;;#ASMSTART
	v_pk_add_f16 v0, v12, v0;

	;;#ASMEND
	;; [unrolled: 4-line block ×3, first 2 shown]
	v_dual_mov_b32 v132, 0 :: v_dual_and_b32 v11, 0xffff, v0
	v_lshrrev_b32_e32 v0, 16, v0
	;;#ASMSTART
	v_cvt_f32_f16 v128, v11;
	;;#ASMEND
	;;#ASMSTART
	v_cvt_f32_f16 v129, v0;
	;;#ASMEND
	flat_load_b64 v[11:12], v[9:10] offset:2560
	flat_load_b32 v130, v[26:27]
	s_mov_b32 s12, exec_lo
	s_waitcnt vmcnt(1) lgkmcnt(1)
	v_dual_mov_b32 v131, 0 :: v_dual_and_b32 v0, 0xff, v11
	s_delay_alu instid0(VALU_DEP_1)
	v_cmpx_ne_u16_e32 0, v0
	s_cbranch_execz .LBB322_1477
; %bb.1470:                             ;   in Loop: Header=BB322_808 Depth=1
	v_bfrev_b32_e32 v131, 1
	s_mov_b32 s13, exec_lo
	v_cmpx_ne_u16_e32 0x80, v0
	s_cbranch_execz .LBB322_1476
; %bb.1471:                             ;   in Loop: Header=BB322_808 Depth=1
	v_and_b32_e32 v13, 0x7f, v11
	v_mov_b32_e32 v131, 0x7fc02000
	s_mov_b32 s15, exec_lo
	s_delay_alu instid0(VALU_DEP_2)
	v_cmpx_ne_u32_e32 0x7f, v13
	s_cbranch_execz .LBB322_1475
; %bb.1472:                             ;   in Loop: Header=BB322_808 Depth=1
	v_lshrrev_b32_e32 v0, 3, v13
	v_cmp_gt_u32_e64 s0, 8, v13
	v_dual_mov_b32 v14, v12 :: v_dual_mov_b32 v13, v11
	s_delay_alu instid0(VALU_DEP_2)
	s_and_saveexec_b32 s16, s0
; %bb.1473:                             ;   in Loop: Header=BB322_808 Depth=1
	v_and_b32_e32 v0, 7, v11
	s_delay_alu instid0(VALU_DEP_1) | instskip(NEXT) | instid1(VALU_DEP_1)
	v_clz_i32_u32_e32 v0, v0
	v_min_u32_e32 v0, 32, v0
	s_delay_alu instid0(VALU_DEP_1) | instskip(SKIP_1) | instid1(VALU_DEP_2)
	v_subrev_nc_u32_e32 v13, 28, v0
	v_sub_nc_u32_e32 v0, 29, v0
	v_lshlrev_b64 v[13:14], v13, v[11:12]
; %bb.1474:                             ;   in Loop: Header=BB322_808 Depth=1
	s_or_b32 exec_lo, exec_lo, s16
	v_lshlrev_b32_e32 v14, 8, v11
	s_delay_alu instid0(VALU_DEP_3) | instskip(NEXT) | instid1(VALU_DEP_3)
	v_lshl_add_u32 v0, v0, 10, 0x2000
	v_lshlrev_b32_e32 v13, 7, v13
	s_delay_alu instid0(VALU_DEP_2) | instskip(NEXT) | instid1(VALU_DEP_1)
	v_and_or_b32 v0, 0x8000, v14, v0
	v_and_or_b32 v0, 0x380, v13, v0
	s_delay_alu instid0(VALU_DEP_1)
	v_cvt_f32_f16_e64 v131, v0
.LBB322_1475:                           ;   in Loop: Header=BB322_808 Depth=1
	s_or_b32 exec_lo, exec_lo, s15
.LBB322_1476:                           ;   in Loop: Header=BB322_808 Depth=1
	s_delay_alu instid0(SALU_CYCLE_1)
	s_or_b32 exec_lo, exec_lo, s13
.LBB322_1477:                           ;   in Loop: Header=BB322_808 Depth=1
	s_delay_alu instid0(SALU_CYCLE_1) | instskip(SKIP_2) | instid1(VALU_DEP_1)
	s_or_b32 exec_lo, exec_lo, s12
	v_lshrrev_b16 v0, 8, v11
	s_mov_b32 s12, exec_lo
	v_cmpx_ne_u16_e32 0, v0
	s_cbranch_execz .LBB322_1485
; %bb.1478:                             ;   in Loop: Header=BB322_808 Depth=1
	v_bfrev_b32_e32 v132, 1
	s_mov_b32 s13, exec_lo
	v_cmpx_ne_u16_e32 0x80, v0
	s_cbranch_execz .LBB322_1484
; %bb.1479:                             ;   in Loop: Header=BB322_808 Depth=1
	v_and_b32_e32 v133, 0xffff, v0
	v_mov_b32_e32 v132, 0x7fc02000
	s_mov_b32 s15, exec_lo
	s_delay_alu instid0(VALU_DEP_2) | instskip(NEXT) | instid1(VALU_DEP_1)
	v_and_b32_e32 v13, 0x7f, v133
	v_cmpx_ne_u32_e32 0x7f, v13
	s_cbranch_execz .LBB322_1483
; %bb.1480:                             ;   in Loop: Header=BB322_808 Depth=1
	v_and_b32_e32 v0, 7, v133
	v_lshrrev_b32_e32 v132, 3, v13
	v_cmp_gt_u32_e64 s0, 8, v13
	s_delay_alu instid0(VALU_DEP_3) | instskip(NEXT) | instid1(VALU_DEP_2)
	v_dual_mov_b32 v14, v1 :: v_dual_mov_b32 v13, v0
	s_and_saveexec_b32 s16, s0
; %bb.1481:                             ;   in Loop: Header=BB322_808 Depth=1
	v_clz_i32_u32_e32 v13, v0
	s_delay_alu instid0(VALU_DEP_1) | instskip(NEXT) | instid1(VALU_DEP_1)
	v_min_u32_e32 v132, 32, v13
	v_subrev_nc_u32_e32 v13, 28, v132
	v_sub_nc_u32_e32 v132, 29, v132
	s_delay_alu instid0(VALU_DEP_2) | instskip(NEXT) | instid1(VALU_DEP_1)
	v_lshlrev_b64 v[13:14], v13, v[0:1]
	v_and_b32_e32 v13, 7, v13
; %bb.1482:                             ;   in Loop: Header=BB322_808 Depth=1
	s_or_b32 exec_lo, exec_lo, s16
	v_lshlrev_b32_e32 v0, 8, v133
	v_lshl_add_u32 v14, v132, 10, 0x2000
	s_delay_alu instid0(VALU_DEP_1) | instskip(NEXT) | instid1(VALU_DEP_1)
	v_and_or_b32 v0, 0x8000, v0, v14
	v_lshl_or_b32 v0, v13, 7, v0
	s_delay_alu instid0(VALU_DEP_1)
	v_cvt_f32_f16_e64 v132, v0
.LBB322_1483:                           ;   in Loop: Header=BB322_808 Depth=1
	s_or_b32 exec_lo, exec_lo, s15
.LBB322_1484:                           ;   in Loop: Header=BB322_808 Depth=1
	s_delay_alu instid0(SALU_CYCLE_1)
	s_or_b32 exec_lo, exec_lo, s13
.LBB322_1485:                           ;   in Loop: Header=BB322_808 Depth=1
	s_delay_alu instid0(SALU_CYCLE_1) | instskip(SKIP_3) | instid1(VALU_DEP_2)
	s_or_b32 exec_lo, exec_lo, s12
	v_lshrrev_b32_e32 v135, 16, v11
	v_mov_b32_e32 v134, 0
	s_mov_b32 s12, exec_lo
	v_dual_mov_b32 v133, 0 :: v_dual_and_b32 v0, 0xff, v135
	s_delay_alu instid0(VALU_DEP_1)
	v_cmpx_ne_u16_e32 0, v0
	s_cbranch_execz .LBB322_1493
; %bb.1486:                             ;   in Loop: Header=BB322_808 Depth=1
	v_bfrev_b32_e32 v133, 1
	s_mov_b32 s13, exec_lo
	v_cmpx_ne_u16_e32 0x80, v0
	s_cbranch_execz .LBB322_1492
; %bb.1487:                             ;   in Loop: Header=BB322_808 Depth=1
	v_bfe_u32 v13, v11, 16, 7
	v_mov_b32_e32 v133, 0x7fc02000
	s_mov_b32 s15, exec_lo
	s_delay_alu instid0(VALU_DEP_2)
	v_cmpx_ne_u32_e32 0x7f, v13
	s_cbranch_execz .LBB322_1491
; %bb.1488:                             ;   in Loop: Header=BB322_808 Depth=1
	v_and_b32_e32 v0, 7, v135
	v_lshrrev_b32_e32 v133, 3, v13
	v_cmp_gt_u32_e64 s0, 8, v13
	s_delay_alu instid0(VALU_DEP_3) | instskip(NEXT) | instid1(VALU_DEP_2)
	v_dual_mov_b32 v14, v1 :: v_dual_mov_b32 v13, v0
	s_and_saveexec_b32 s16, s0
; %bb.1489:                             ;   in Loop: Header=BB322_808 Depth=1
	v_clz_i32_u32_e32 v13, v0
	s_delay_alu instid0(VALU_DEP_1) | instskip(NEXT) | instid1(VALU_DEP_1)
	v_min_u32_e32 v133, 32, v13
	v_subrev_nc_u32_e32 v13, 28, v133
	v_sub_nc_u32_e32 v133, 29, v133
	s_delay_alu instid0(VALU_DEP_2) | instskip(NEXT) | instid1(VALU_DEP_1)
	v_lshlrev_b64 v[13:14], v13, v[0:1]
	v_and_b32_e32 v13, 7, v13
; %bb.1490:                             ;   in Loop: Header=BB322_808 Depth=1
	s_or_b32 exec_lo, exec_lo, s16
	v_lshlrev_b32_e32 v0, 8, v135
	v_lshl_add_u32 v14, v133, 10, 0x2000
	s_delay_alu instid0(VALU_DEP_1) | instskip(NEXT) | instid1(VALU_DEP_1)
	v_and_or_b32 v0, 0x8000, v0, v14
	v_lshl_or_b32 v0, v13, 7, v0
	s_delay_alu instid0(VALU_DEP_1)
	v_cvt_f32_f16_e64 v133, v0
.LBB322_1491:                           ;   in Loop: Header=BB322_808 Depth=1
	s_or_b32 exec_lo, exec_lo, s15
.LBB322_1492:                           ;   in Loop: Header=BB322_808 Depth=1
	s_delay_alu instid0(SALU_CYCLE_1)
	s_or_b32 exec_lo, exec_lo, s13
.LBB322_1493:                           ;   in Loop: Header=BB322_808 Depth=1
	s_delay_alu instid0(SALU_CYCLE_1) | instskip(NEXT) | instid1(SALU_CYCLE_1)
	s_or_b32 exec_lo, exec_lo, s12
	s_mov_b32 s12, exec_lo
	v_cmpx_lt_u32_e32 0xffffff, v11
	s_cbranch_execz .LBB322_1501
; %bb.1494:                             ;   in Loop: Header=BB322_808 Depth=1
	v_lshrrev_b32_e32 v135, 24, v11
	v_bfrev_b32_e32 v134, 1
	s_mov_b32 s13, exec_lo
	s_delay_alu instid0(VALU_DEP_2)
	v_cmpx_ne_u32_e32 0x80, v135
	s_cbranch_execz .LBB322_1500
; %bb.1495:                             ;   in Loop: Header=BB322_808 Depth=1
	v_and_b32_e32 v13, 0x7f, v135
	v_mov_b32_e32 v134, 0x7fc02000
	s_mov_b32 s15, exec_lo
	s_delay_alu instid0(VALU_DEP_2)
	v_cmpx_ne_u32_e32 0x7f, v13
	s_cbranch_execz .LBB322_1499
; %bb.1496:                             ;   in Loop: Header=BB322_808 Depth=1
	v_and_b32_e32 v0, 7, v135
	v_lshrrev_b32_e32 v134, 3, v13
	v_cmp_gt_u32_e64 s0, 8, v13
	s_delay_alu instid0(VALU_DEP_3) | instskip(NEXT) | instid1(VALU_DEP_2)
	v_dual_mov_b32 v14, v1 :: v_dual_mov_b32 v13, v0
	s_and_saveexec_b32 s16, s0
; %bb.1497:                             ;   in Loop: Header=BB322_808 Depth=1
	v_clz_i32_u32_e32 v13, v0
	s_delay_alu instid0(VALU_DEP_1) | instskip(NEXT) | instid1(VALU_DEP_1)
	v_min_u32_e32 v134, 32, v13
	v_subrev_nc_u32_e32 v13, 28, v134
	v_sub_nc_u32_e32 v134, 29, v134
	s_delay_alu instid0(VALU_DEP_2) | instskip(NEXT) | instid1(VALU_DEP_1)
	v_lshlrev_b64 v[13:14], v13, v[0:1]
	v_and_b32_e32 v13, 7, v13
; %bb.1498:                             ;   in Loop: Header=BB322_808 Depth=1
	s_or_b32 exec_lo, exec_lo, s16
	v_lshlrev_b32_e32 v0, 8, v135
	v_lshl_add_u32 v14, v134, 10, 0x2000
	s_delay_alu instid0(VALU_DEP_1) | instskip(NEXT) | instid1(VALU_DEP_1)
	v_and_or_b32 v0, 0x8000, v0, v14
	v_lshl_or_b32 v0, v13, 7, v0
	s_delay_alu instid0(VALU_DEP_1)
	v_cvt_f32_f16_e64 v134, v0
.LBB322_1499:                           ;   in Loop: Header=BB322_808 Depth=1
	s_or_b32 exec_lo, exec_lo, s15
.LBB322_1500:                           ;   in Loop: Header=BB322_808 Depth=1
	s_delay_alu instid0(SALU_CYCLE_1)
	s_or_b32 exec_lo, exec_lo, s13
.LBB322_1501:                           ;   in Loop: Header=BB322_808 Depth=1
	s_delay_alu instid0(SALU_CYCLE_1) | instskip(SKIP_3) | instid1(VALU_DEP_2)
	s_or_b32 exec_lo, exec_lo, s12
	v_dual_mov_b32 v0, v12 :: v_dual_and_b32 v13, 0xff, v12
	v_dual_mov_b32 v144, 0 :: v_dual_mov_b32 v135, 0
	s_mov_b32 s12, exec_lo
	v_cmpx_ne_u16_e32 0, v13
	s_cbranch_execz .LBB322_1509
; %bb.1502:                             ;   in Loop: Header=BB322_808 Depth=1
	v_bfrev_b32_e32 v135, 1
	s_mov_b32 s13, exec_lo
	v_cmpx_ne_u16_e32 0x80, v13
	s_cbranch_execz .LBB322_1508
; %bb.1503:                             ;   in Loop: Header=BB322_808 Depth=1
	v_and_b32_e32 v13, 0x7f, v12
	v_mov_b32_e32 v135, 0x7fc02000
	s_mov_b32 s15, exec_lo
	s_delay_alu instid0(VALU_DEP_2)
	v_cmpx_ne_u32_e32 0x7f, v13
	s_cbranch_execz .LBB322_1507
; %bb.1504:                             ;   in Loop: Header=BB322_808 Depth=1
	v_lshrrev_b32_e32 v135, 3, v13
	v_cmp_gt_u32_e64 s0, 8, v13
	v_dual_mov_b32 v14, v1 :: v_dual_mov_b32 v13, v0
	s_delay_alu instid0(VALU_DEP_2)
	s_and_saveexec_b32 s16, s0
; %bb.1505:                             ;   in Loop: Header=BB322_808 Depth=1
	v_and_b32_e32 v13, 7, v12
	s_delay_alu instid0(VALU_DEP_1) | instskip(NEXT) | instid1(VALU_DEP_1)
	v_clz_i32_u32_e32 v13, v13
	v_min_u32_e32 v135, 32, v13
	s_delay_alu instid0(VALU_DEP_1) | instskip(SKIP_1) | instid1(VALU_DEP_2)
	v_subrev_nc_u32_e32 v13, 28, v135
	v_sub_nc_u32_e32 v135, 29, v135
	v_lshlrev_b64 v[13:14], v13, v[0:1]
; %bb.1506:                             ;   in Loop: Header=BB322_808 Depth=1
	s_or_b32 exec_lo, exec_lo, s16
	v_lshlrev_b32_e32 v14, 8, v12
	s_delay_alu instid0(VALU_DEP_3) | instskip(NEXT) | instid1(VALU_DEP_3)
	v_lshl_add_u32 v135, v135, 10, 0x2000
	v_lshlrev_b32_e32 v13, 7, v13
	s_delay_alu instid0(VALU_DEP_2) | instskip(NEXT) | instid1(VALU_DEP_1)
	v_and_or_b32 v14, 0x8000, v14, v135
	v_and_or_b32 v13, 0x380, v13, v14
	s_delay_alu instid0(VALU_DEP_1)
	v_cvt_f32_f16_e64 v135, v13
.LBB322_1507:                           ;   in Loop: Header=BB322_808 Depth=1
	s_or_b32 exec_lo, exec_lo, s15
.LBB322_1508:                           ;   in Loop: Header=BB322_808 Depth=1
	s_delay_alu instid0(SALU_CYCLE_1)
	s_or_b32 exec_lo, exec_lo, s13
.LBB322_1509:                           ;   in Loop: Header=BB322_808 Depth=1
	s_delay_alu instid0(SALU_CYCLE_1) | instskip(SKIP_2) | instid1(VALU_DEP_1)
	s_or_b32 exec_lo, exec_lo, s12
	v_lshrrev_b16 v0, 8, v0
	s_mov_b32 s12, exec_lo
	v_cmpx_ne_u16_e32 0, v0
	s_cbranch_execz .LBB322_1517
; %bb.1510:                             ;   in Loop: Header=BB322_808 Depth=1
	v_bfrev_b32_e32 v144, 1
	s_mov_b32 s13, exec_lo
	v_cmpx_ne_u16_e32 0x80, v0
	s_cbranch_execz .LBB322_1516
; %bb.1511:                             ;   in Loop: Header=BB322_808 Depth=1
	v_and_b32_e32 v145, 0xffff, v0
	v_mov_b32_e32 v144, 0x7fc02000
	s_mov_b32 s15, exec_lo
	s_delay_alu instid0(VALU_DEP_2) | instskip(NEXT) | instid1(VALU_DEP_1)
	v_and_b32_e32 v13, 0x7f, v145
	v_cmpx_ne_u32_e32 0x7f, v13
	s_cbranch_execz .LBB322_1515
; %bb.1512:                             ;   in Loop: Header=BB322_808 Depth=1
	v_and_b32_e32 v0, 7, v145
	v_lshrrev_b32_e32 v144, 3, v13
	v_cmp_gt_u32_e64 s0, 8, v13
	s_delay_alu instid0(VALU_DEP_3) | instskip(NEXT) | instid1(VALU_DEP_2)
	v_dual_mov_b32 v14, v1 :: v_dual_mov_b32 v13, v0
	s_and_saveexec_b32 s16, s0
; %bb.1513:                             ;   in Loop: Header=BB322_808 Depth=1
	v_clz_i32_u32_e32 v13, v0
	s_delay_alu instid0(VALU_DEP_1) | instskip(NEXT) | instid1(VALU_DEP_1)
	v_min_u32_e32 v144, 32, v13
	v_subrev_nc_u32_e32 v13, 28, v144
	v_sub_nc_u32_e32 v144, 29, v144
	s_delay_alu instid0(VALU_DEP_2) | instskip(NEXT) | instid1(VALU_DEP_1)
	v_lshlrev_b64 v[13:14], v13, v[0:1]
	v_and_b32_e32 v13, 7, v13
; %bb.1514:                             ;   in Loop: Header=BB322_808 Depth=1
	s_or_b32 exec_lo, exec_lo, s16
	v_lshlrev_b32_e32 v0, 8, v145
	v_lshl_add_u32 v14, v144, 10, 0x2000
	s_delay_alu instid0(VALU_DEP_1) | instskip(NEXT) | instid1(VALU_DEP_1)
	v_and_or_b32 v0, 0x8000, v0, v14
	v_lshl_or_b32 v0, v13, 7, v0
	s_delay_alu instid0(VALU_DEP_1)
	v_cvt_f32_f16_e64 v144, v0
.LBB322_1515:                           ;   in Loop: Header=BB322_808 Depth=1
	s_or_b32 exec_lo, exec_lo, s15
.LBB322_1516:                           ;   in Loop: Header=BB322_808 Depth=1
	s_delay_alu instid0(SALU_CYCLE_1)
	s_or_b32 exec_lo, exec_lo, s13
.LBB322_1517:                           ;   in Loop: Header=BB322_808 Depth=1
	s_delay_alu instid0(SALU_CYCLE_1) | instskip(SKIP_3) | instid1(VALU_DEP_2)
	s_or_b32 exec_lo, exec_lo, s12
	v_lshrrev_b32_e32 v146, 16, v12
	v_mov_b32_e32 v13, 0
	s_mov_b32 s12, exec_lo
	v_dual_mov_b32 v145, 0 :: v_dual_and_b32 v0, 0xff, v146
	s_delay_alu instid0(VALU_DEP_1)
	v_cmpx_ne_u16_e32 0, v0
	s_cbranch_execz .LBB322_1525
; %bb.1518:                             ;   in Loop: Header=BB322_808 Depth=1
	v_bfrev_b32_e32 v13, 1
	s_mov_b32 s13, exec_lo
	v_cmpx_ne_u16_e32 0x80, v0
	s_cbranch_execz .LBB322_1524
; %bb.1519:                             ;   in Loop: Header=BB322_808 Depth=1
	v_bfe_u32 v14, v12, 16, 7
	v_mov_b32_e32 v13, 0x7fc02000
	s_mov_b32 s15, exec_lo
	s_delay_alu instid0(VALU_DEP_2)
	v_cmpx_ne_u32_e32 0x7f, v14
	s_cbranch_execz .LBB322_1523
; %bb.1520:                             ;   in Loop: Header=BB322_808 Depth=1
	v_and_b32_e32 v0, 7, v146
	v_lshrrev_b32_e32 v147, 3, v14
	v_cmp_gt_u32_e64 s0, 8, v14
	s_delay_alu instid0(VALU_DEP_3) | instskip(NEXT) | instid1(VALU_DEP_2)
	v_dual_mov_b32 v14, v1 :: v_dual_mov_b32 v13, v0
	s_and_saveexec_b32 s16, s0
; %bb.1521:                             ;   in Loop: Header=BB322_808 Depth=1
	v_clz_i32_u32_e32 v13, v0
	s_delay_alu instid0(VALU_DEP_1) | instskip(NEXT) | instid1(VALU_DEP_1)
	v_min_u32_e32 v147, 32, v13
	v_subrev_nc_u32_e32 v13, 28, v147
	v_sub_nc_u32_e32 v147, 29, v147
	s_delay_alu instid0(VALU_DEP_2) | instskip(NEXT) | instid1(VALU_DEP_1)
	v_lshlrev_b64 v[13:14], v13, v[0:1]
	v_and_b32_e32 v13, 7, v13
; %bb.1522:                             ;   in Loop: Header=BB322_808 Depth=1
	s_or_b32 exec_lo, exec_lo, s16
	v_lshlrev_b32_e32 v0, 8, v146
	v_lshl_add_u32 v14, v147, 10, 0x2000
	s_delay_alu instid0(VALU_DEP_1) | instskip(NEXT) | instid1(VALU_DEP_1)
	v_and_or_b32 v0, 0x8000, v0, v14
	v_lshl_or_b32 v0, v13, 7, v0
	s_delay_alu instid0(VALU_DEP_1)
	v_cvt_f32_f16_e32 v13, v0
.LBB322_1523:                           ;   in Loop: Header=BB322_808 Depth=1
	s_or_b32 exec_lo, exec_lo, s15
.LBB322_1524:                           ;   in Loop: Header=BB322_808 Depth=1
	s_delay_alu instid0(SALU_CYCLE_1)
	s_or_b32 exec_lo, exec_lo, s13
.LBB322_1525:                           ;   in Loop: Header=BB322_808 Depth=1
	s_delay_alu instid0(SALU_CYCLE_1) | instskip(NEXT) | instid1(SALU_CYCLE_1)
	s_or_b32 exec_lo, exec_lo, s12
	s_mov_b32 s12, exec_lo
	v_cmpx_lt_u64_e64 s[8:9], v[11:12]
	s_cbranch_execz .LBB322_1533
; %bb.1526:                             ;   in Loop: Header=BB322_808 Depth=1
	v_lshrrev_b32_e32 v14, 24, v12
	v_bfrev_b32_e32 v145, 1
	s_mov_b32 s13, exec_lo
	s_delay_alu instid0(VALU_DEP_2)
	v_cmpx_ne_u32_e32 0x80, v14
	s_cbranch_execz .LBB322_1532
; %bb.1527:                             ;   in Loop: Header=BB322_808 Depth=1
	v_and_b32_e32 v11, 0x7f, v14
	v_mov_b32_e32 v145, 0x7fc02000
	s_mov_b32 s15, exec_lo
	s_delay_alu instid0(VALU_DEP_2)
	v_cmpx_ne_u32_e32 0x7f, v11
	s_cbranch_execz .LBB322_1531
; %bb.1528:                             ;   in Loop: Header=BB322_808 Depth=1
	v_and_b32_e32 v0, 7, v14
	v_lshrrev_b32_e32 v145, 3, v11
	v_cmp_gt_u32_e64 s0, 8, v11
	s_delay_alu instid0(VALU_DEP_3) | instskip(NEXT) | instid1(VALU_DEP_2)
	v_dual_mov_b32 v12, v1 :: v_dual_mov_b32 v11, v0
	s_and_saveexec_b32 s16, s0
; %bb.1529:                             ;   in Loop: Header=BB322_808 Depth=1
	v_clz_i32_u32_e32 v11, v0
	s_delay_alu instid0(VALU_DEP_1) | instskip(NEXT) | instid1(VALU_DEP_1)
	v_min_u32_e32 v145, 32, v11
	v_subrev_nc_u32_e32 v11, 28, v145
	v_sub_nc_u32_e32 v145, 29, v145
	s_delay_alu instid0(VALU_DEP_2) | instskip(NEXT) | instid1(VALU_DEP_1)
	v_lshlrev_b64 v[11:12], v11, v[0:1]
	v_and_b32_e32 v11, 7, v11
; %bb.1530:                             ;   in Loop: Header=BB322_808 Depth=1
	s_or_b32 exec_lo, exec_lo, s16
	v_lshlrev_b32_e32 v0, 8, v14
	v_lshl_add_u32 v12, v145, 10, 0x2000
	s_delay_alu instid0(VALU_DEP_1) | instskip(NEXT) | instid1(VALU_DEP_1)
	v_and_or_b32 v0, 0x8000, v0, v12
	v_lshl_or_b32 v0, v11, 7, v0
	s_delay_alu instid0(VALU_DEP_1)
	v_cvt_f32_f16_e64 v145, v0
.LBB322_1531:                           ;   in Loop: Header=BB322_808 Depth=1
	s_or_b32 exec_lo, exec_lo, s15
.LBB322_1532:                           ;   in Loop: Header=BB322_808 Depth=1
	s_delay_alu instid0(SALU_CYCLE_1)
	s_or_b32 exec_lo, exec_lo, s13
.LBB322_1533:                           ;   in Loop: Header=BB322_808 Depth=1
	s_delay_alu instid0(SALU_CYCLE_1)
	s_or_b32 exec_lo, exec_lo, s12
	s_waitcnt vmcnt(0) lgkmcnt(0)
	v_fma_mixlo_f16 v12, v130, v132, 0
	v_fma_mixlo_f16 v0, v130, v134, 0
	;; [unrolled: 1-line block ×5, first 2 shown]
	v_lshlrev_b32_e32 v14, 16, v12
	v_fma_mixlo_f16 v133, v130, v135, 0
	v_fma_mixlo_f16 v134, v130, v145, 0
	;; [unrolled: 1-line block ×3, first 2 shown]
	v_lshlrev_b32_e32 v0, 16, v0
	v_and_b32_e32 v11, 0xffff, v11
	v_and_b32_e32 v130, 0xffff, v131
	v_lshlrev_b32_e32 v131, 16, v132
	v_and_b32_e32 v132, 0xffff, v133
	v_lshlrev_b32_e32 v133, 16, v134
	v_and_b32_e32 v134, 0xffff, v12
	v_or_b32_e32 v13, v0, v11
	v_or_b32_e32 v14, v14, v130
	;; [unrolled: 1-line block ×3, first 2 shown]
	s_delay_alu instid0(VALU_DEP_4)
	v_or_b32_e32 v11, v133, v134
	s_and_saveexec_b32 s12, vcc_lo
	s_cbranch_execz .LBB322_1535
; %bb.1534:                             ;   in Loop: Header=BB322_808 Depth=1
	v_cmp_lt_i32_e64 s0, v18, v37
	v_lshrrev_b32_e32 v130, 16, v14
	v_lshrrev_b32_e32 v131, 16, v13
	;; [unrolled: 1-line block ×4, first 2 shown]
	v_cndmask_b32_e64 v14, 0, v14, s0
	v_cmp_lt_i32_e64 s0, v84, v53
	s_delay_alu instid0(VALU_DEP_1) | instskip(SKIP_1) | instid1(VALU_DEP_2)
	v_cndmask_b32_e64 v130, 0, v130, s0
	v_cmp_lt_i32_e64 s0, v83, v53
	v_perm_b32 v14, v130, v14, 0x5040100
	s_delay_alu instid0(VALU_DEP_2) | instskip(SKIP_1) | instid1(VALU_DEP_1)
	v_cndmask_b32_e64 v131, 0, v131, s0
	v_cmp_lt_i32_e64 s0, v71, v37
	v_cndmask_b32_e64 v13, 0, v13, s0
	v_cmp_lt_i32_e64 s0, v70, v53
	s_delay_alu instid0(VALU_DEP_2) | instskip(NEXT) | instid1(VALU_DEP_2)
	v_perm_b32 v13, v131, v13, 0x5040100
	v_cndmask_b32_e64 v132, 0, v132, s0
	v_cmp_lt_i32_e64 s0, v69, v37
	s_delay_alu instid0(VALU_DEP_1) | instskip(SKIP_1) | instid1(VALU_DEP_2)
	v_cndmask_b32_e64 v0, 0, v0, s0
	v_cmp_lt_i32_e64 s0, v64, v53
	v_perm_b32 v0, v132, v0, 0x5040100
	s_delay_alu instid0(VALU_DEP_2) | instskip(SKIP_1) | instid1(VALU_DEP_1)
	v_cndmask_b32_e64 v11, 0, v11, s0
	v_cmp_lt_i32_e64 s0, v19, v37
	v_cndmask_b32_e64 v12, 0, v12, s0
	s_delay_alu instid0(VALU_DEP_1)
	v_perm_b32 v11, v11, v12, 0x5040100
.LBB322_1535:                           ;   in Loop: Header=BB322_808 Depth=1
	s_or_b32 exec_lo, exec_lo, s12
	;;#ASMSTART
	v_pk_mul_f16 v12, v87, v14;

	;;#ASMEND
	;;#ASMSTART
	v_pk_mul_f16 v13, v86, v13;

	;;#ASMEND
	;; [unrolled: 4-line block ×4, first 2 shown]
	;;#ASMSTART
	v_pk_add_f16 v12, v12, v13;

	;;#ASMEND
	;;#ASMSTART
	v_pk_add_f16 v0, v12, v0;

	;;#ASMEND
	;; [unrolled: 4-line block ×3, first 2 shown]
	v_dual_mov_b32 v132, 0 :: v_dual_and_b32 v11, 0xffff, v0
	v_lshrrev_b32_e32 v0, 16, v0
	;;#ASMSTART
	v_cvt_f32_f16 v13, v11;
	;;#ASMEND
	;;#ASMSTART
	v_cvt_f32_f16 v14, v0;
	;;#ASMEND
	flat_load_b64 v[9:10], v[9:10] offset:2816
	flat_load_b32 v130, v[26:27]
	s_mov_b32 s12, exec_lo
	s_waitcnt vmcnt(1) lgkmcnt(1)
	v_dual_mov_b32 v131, 0 :: v_dual_and_b32 v0, 0xff, v9
	s_delay_alu instid0(VALU_DEP_1)
	v_cmpx_ne_u16_e32 0, v0
	s_cbranch_execz .LBB322_1543
; %bb.1536:                             ;   in Loop: Header=BB322_808 Depth=1
	v_bfrev_b32_e32 v131, 1
	s_mov_b32 s13, exec_lo
	v_cmpx_ne_u16_e32 0x80, v0
	s_cbranch_execz .LBB322_1542
; %bb.1537:                             ;   in Loop: Header=BB322_808 Depth=1
	v_and_b32_e32 v11, 0x7f, v9
	v_mov_b32_e32 v131, 0x7fc02000
	s_mov_b32 s15, exec_lo
	s_delay_alu instid0(VALU_DEP_2)
	v_cmpx_ne_u32_e32 0x7f, v11
	s_cbranch_execz .LBB322_1541
; %bb.1538:                             ;   in Loop: Header=BB322_808 Depth=1
	v_lshrrev_b32_e32 v0, 3, v11
	v_cmp_gt_u32_e64 s0, 8, v11
	v_dual_mov_b32 v12, v10 :: v_dual_mov_b32 v11, v9
	s_delay_alu instid0(VALU_DEP_2)
	s_and_saveexec_b32 s16, s0
; %bb.1539:                             ;   in Loop: Header=BB322_808 Depth=1
	v_and_b32_e32 v0, 7, v9
	s_delay_alu instid0(VALU_DEP_1) | instskip(NEXT) | instid1(VALU_DEP_1)
	v_clz_i32_u32_e32 v0, v0
	v_min_u32_e32 v0, 32, v0
	s_delay_alu instid0(VALU_DEP_1) | instskip(SKIP_1) | instid1(VALU_DEP_2)
	v_subrev_nc_u32_e32 v11, 28, v0
	v_sub_nc_u32_e32 v0, 29, v0
	v_lshlrev_b64 v[11:12], v11, v[9:10]
; %bb.1540:                             ;   in Loop: Header=BB322_808 Depth=1
	s_or_b32 exec_lo, exec_lo, s16
	v_lshlrev_b32_e32 v12, 8, v9
	s_delay_alu instid0(VALU_DEP_3) | instskip(NEXT) | instid1(VALU_DEP_3)
	v_lshl_add_u32 v0, v0, 10, 0x2000
	v_lshlrev_b32_e32 v11, 7, v11
	s_delay_alu instid0(VALU_DEP_2) | instskip(NEXT) | instid1(VALU_DEP_1)
	v_and_or_b32 v0, 0x8000, v12, v0
	v_and_or_b32 v0, 0x380, v11, v0
	s_delay_alu instid0(VALU_DEP_1)
	v_cvt_f32_f16_e64 v131, v0
.LBB322_1541:                           ;   in Loop: Header=BB322_808 Depth=1
	s_or_b32 exec_lo, exec_lo, s15
.LBB322_1542:                           ;   in Loop: Header=BB322_808 Depth=1
	s_delay_alu instid0(SALU_CYCLE_1)
	s_or_b32 exec_lo, exec_lo, s13
.LBB322_1543:                           ;   in Loop: Header=BB322_808 Depth=1
	s_delay_alu instid0(SALU_CYCLE_1) | instskip(SKIP_2) | instid1(VALU_DEP_1)
	s_or_b32 exec_lo, exec_lo, s12
	v_lshrrev_b16 v0, 8, v9
	s_mov_b32 s12, exec_lo
	v_cmpx_ne_u16_e32 0, v0
	s_cbranch_execz .LBB322_1551
; %bb.1544:                             ;   in Loop: Header=BB322_808 Depth=1
	v_bfrev_b32_e32 v132, 1
	s_mov_b32 s13, exec_lo
	v_cmpx_ne_u16_e32 0x80, v0
	s_cbranch_execz .LBB322_1550
; %bb.1545:                             ;   in Loop: Header=BB322_808 Depth=1
	v_and_b32_e32 v133, 0xffff, v0
	v_mov_b32_e32 v132, 0x7fc02000
	s_mov_b32 s15, exec_lo
	s_delay_alu instid0(VALU_DEP_2) | instskip(NEXT) | instid1(VALU_DEP_1)
	v_and_b32_e32 v11, 0x7f, v133
	v_cmpx_ne_u32_e32 0x7f, v11
	s_cbranch_execz .LBB322_1549
; %bb.1546:                             ;   in Loop: Header=BB322_808 Depth=1
	v_and_b32_e32 v0, 7, v133
	v_lshrrev_b32_e32 v132, 3, v11
	v_cmp_gt_u32_e64 s0, 8, v11
	s_delay_alu instid0(VALU_DEP_3) | instskip(NEXT) | instid1(VALU_DEP_2)
	v_dual_mov_b32 v12, v1 :: v_dual_mov_b32 v11, v0
	s_and_saveexec_b32 s16, s0
; %bb.1547:                             ;   in Loop: Header=BB322_808 Depth=1
	v_clz_i32_u32_e32 v11, v0
	s_delay_alu instid0(VALU_DEP_1) | instskip(NEXT) | instid1(VALU_DEP_1)
	v_min_u32_e32 v132, 32, v11
	v_subrev_nc_u32_e32 v11, 28, v132
	v_sub_nc_u32_e32 v132, 29, v132
	s_delay_alu instid0(VALU_DEP_2) | instskip(NEXT) | instid1(VALU_DEP_1)
	v_lshlrev_b64 v[11:12], v11, v[0:1]
	v_and_b32_e32 v11, 7, v11
; %bb.1548:                             ;   in Loop: Header=BB322_808 Depth=1
	s_or_b32 exec_lo, exec_lo, s16
	v_lshlrev_b32_e32 v0, 8, v133
	v_lshl_add_u32 v12, v132, 10, 0x2000
	s_delay_alu instid0(VALU_DEP_1) | instskip(NEXT) | instid1(VALU_DEP_1)
	v_and_or_b32 v0, 0x8000, v0, v12
	v_lshl_or_b32 v0, v11, 7, v0
	s_delay_alu instid0(VALU_DEP_1)
	v_cvt_f32_f16_e64 v132, v0
.LBB322_1549:                           ;   in Loop: Header=BB322_808 Depth=1
	s_or_b32 exec_lo, exec_lo, s15
.LBB322_1550:                           ;   in Loop: Header=BB322_808 Depth=1
	s_delay_alu instid0(SALU_CYCLE_1)
	s_or_b32 exec_lo, exec_lo, s13
.LBB322_1551:                           ;   in Loop: Header=BB322_808 Depth=1
	s_delay_alu instid0(SALU_CYCLE_1) | instskip(SKIP_3) | instid1(VALU_DEP_2)
	s_or_b32 exec_lo, exec_lo, s12
	v_lshrrev_b32_e32 v135, 16, v9
	v_mov_b32_e32 v134, 0
	s_mov_b32 s12, exec_lo
	v_dual_mov_b32 v133, 0 :: v_dual_and_b32 v0, 0xff, v135
	s_delay_alu instid0(VALU_DEP_1)
	v_cmpx_ne_u16_e32 0, v0
	s_cbranch_execz .LBB322_1559
; %bb.1552:                             ;   in Loop: Header=BB322_808 Depth=1
	v_bfrev_b32_e32 v133, 1
	s_mov_b32 s13, exec_lo
	v_cmpx_ne_u16_e32 0x80, v0
	s_cbranch_execz .LBB322_1558
; %bb.1553:                             ;   in Loop: Header=BB322_808 Depth=1
	v_bfe_u32 v11, v9, 16, 7
	v_mov_b32_e32 v133, 0x7fc02000
	s_mov_b32 s15, exec_lo
	s_delay_alu instid0(VALU_DEP_2)
	v_cmpx_ne_u32_e32 0x7f, v11
	s_cbranch_execz .LBB322_1557
; %bb.1554:                             ;   in Loop: Header=BB322_808 Depth=1
	v_and_b32_e32 v0, 7, v135
	v_lshrrev_b32_e32 v133, 3, v11
	v_cmp_gt_u32_e64 s0, 8, v11
	s_delay_alu instid0(VALU_DEP_3) | instskip(NEXT) | instid1(VALU_DEP_2)
	v_dual_mov_b32 v12, v1 :: v_dual_mov_b32 v11, v0
	s_and_saveexec_b32 s16, s0
; %bb.1555:                             ;   in Loop: Header=BB322_808 Depth=1
	v_clz_i32_u32_e32 v11, v0
	s_delay_alu instid0(VALU_DEP_1) | instskip(NEXT) | instid1(VALU_DEP_1)
	v_min_u32_e32 v133, 32, v11
	v_subrev_nc_u32_e32 v11, 28, v133
	v_sub_nc_u32_e32 v133, 29, v133
	s_delay_alu instid0(VALU_DEP_2) | instskip(NEXT) | instid1(VALU_DEP_1)
	v_lshlrev_b64 v[11:12], v11, v[0:1]
	v_and_b32_e32 v11, 7, v11
; %bb.1556:                             ;   in Loop: Header=BB322_808 Depth=1
	s_or_b32 exec_lo, exec_lo, s16
	v_lshlrev_b32_e32 v0, 8, v135
	v_lshl_add_u32 v12, v133, 10, 0x2000
	s_delay_alu instid0(VALU_DEP_1) | instskip(NEXT) | instid1(VALU_DEP_1)
	v_and_or_b32 v0, 0x8000, v0, v12
	v_lshl_or_b32 v0, v11, 7, v0
	s_delay_alu instid0(VALU_DEP_1)
	v_cvt_f32_f16_e64 v133, v0
.LBB322_1557:                           ;   in Loop: Header=BB322_808 Depth=1
	s_or_b32 exec_lo, exec_lo, s15
.LBB322_1558:                           ;   in Loop: Header=BB322_808 Depth=1
	s_delay_alu instid0(SALU_CYCLE_1)
	s_or_b32 exec_lo, exec_lo, s13
.LBB322_1559:                           ;   in Loop: Header=BB322_808 Depth=1
	s_delay_alu instid0(SALU_CYCLE_1) | instskip(NEXT) | instid1(SALU_CYCLE_1)
	s_or_b32 exec_lo, exec_lo, s12
	s_mov_b32 s12, exec_lo
	v_cmpx_lt_u32_e32 0xffffff, v9
	s_cbranch_execz .LBB322_1567
; %bb.1560:                             ;   in Loop: Header=BB322_808 Depth=1
	v_lshrrev_b32_e32 v135, 24, v9
	v_bfrev_b32_e32 v134, 1
	s_mov_b32 s13, exec_lo
	s_delay_alu instid0(VALU_DEP_2)
	v_cmpx_ne_u32_e32 0x80, v135
	s_cbranch_execz .LBB322_1566
; %bb.1561:                             ;   in Loop: Header=BB322_808 Depth=1
	v_and_b32_e32 v11, 0x7f, v135
	v_mov_b32_e32 v134, 0x7fc02000
	s_mov_b32 s15, exec_lo
	s_delay_alu instid0(VALU_DEP_2)
	v_cmpx_ne_u32_e32 0x7f, v11
	s_cbranch_execz .LBB322_1565
; %bb.1562:                             ;   in Loop: Header=BB322_808 Depth=1
	v_and_b32_e32 v0, 7, v135
	v_lshrrev_b32_e32 v134, 3, v11
	v_cmp_gt_u32_e64 s0, 8, v11
	s_delay_alu instid0(VALU_DEP_3) | instskip(NEXT) | instid1(VALU_DEP_2)
	v_dual_mov_b32 v12, v1 :: v_dual_mov_b32 v11, v0
	s_and_saveexec_b32 s16, s0
; %bb.1563:                             ;   in Loop: Header=BB322_808 Depth=1
	v_clz_i32_u32_e32 v11, v0
	s_delay_alu instid0(VALU_DEP_1) | instskip(NEXT) | instid1(VALU_DEP_1)
	v_min_u32_e32 v134, 32, v11
	v_subrev_nc_u32_e32 v11, 28, v134
	v_sub_nc_u32_e32 v134, 29, v134
	s_delay_alu instid0(VALU_DEP_2) | instskip(NEXT) | instid1(VALU_DEP_1)
	v_lshlrev_b64 v[11:12], v11, v[0:1]
	v_and_b32_e32 v11, 7, v11
; %bb.1564:                             ;   in Loop: Header=BB322_808 Depth=1
	s_or_b32 exec_lo, exec_lo, s16
	v_lshlrev_b32_e32 v0, 8, v135
	v_lshl_add_u32 v12, v134, 10, 0x2000
	s_delay_alu instid0(VALU_DEP_1) | instskip(NEXT) | instid1(VALU_DEP_1)
	v_and_or_b32 v0, 0x8000, v0, v12
	v_lshl_or_b32 v0, v11, 7, v0
	s_delay_alu instid0(VALU_DEP_1)
	v_cvt_f32_f16_e64 v134, v0
.LBB322_1565:                           ;   in Loop: Header=BB322_808 Depth=1
	s_or_b32 exec_lo, exec_lo, s15
.LBB322_1566:                           ;   in Loop: Header=BB322_808 Depth=1
	s_delay_alu instid0(SALU_CYCLE_1)
	s_or_b32 exec_lo, exec_lo, s13
.LBB322_1567:                           ;   in Loop: Header=BB322_808 Depth=1
	s_delay_alu instid0(SALU_CYCLE_1) | instskip(SKIP_3) | instid1(VALU_DEP_2)
	s_or_b32 exec_lo, exec_lo, s12
	v_dual_mov_b32 v0, v10 :: v_dual_and_b32 v11, 0xff, v10
	v_dual_mov_b32 v144, 0 :: v_dual_mov_b32 v135, 0
	s_mov_b32 s12, exec_lo
	v_cmpx_ne_u16_e32 0, v11
	s_cbranch_execz .LBB322_1575
; %bb.1568:                             ;   in Loop: Header=BB322_808 Depth=1
	v_bfrev_b32_e32 v135, 1
	s_mov_b32 s13, exec_lo
	v_cmpx_ne_u16_e32 0x80, v11
	s_cbranch_execz .LBB322_1574
; %bb.1569:                             ;   in Loop: Header=BB322_808 Depth=1
	v_and_b32_e32 v11, 0x7f, v10
	v_mov_b32_e32 v135, 0x7fc02000
	s_mov_b32 s15, exec_lo
	s_delay_alu instid0(VALU_DEP_2)
	v_cmpx_ne_u32_e32 0x7f, v11
	s_cbranch_execz .LBB322_1573
; %bb.1570:                             ;   in Loop: Header=BB322_808 Depth=1
	v_lshrrev_b32_e32 v135, 3, v11
	v_cmp_gt_u32_e64 s0, 8, v11
	v_dual_mov_b32 v12, v1 :: v_dual_mov_b32 v11, v0
	s_delay_alu instid0(VALU_DEP_2)
	s_and_saveexec_b32 s16, s0
; %bb.1571:                             ;   in Loop: Header=BB322_808 Depth=1
	v_and_b32_e32 v11, 7, v10
	s_delay_alu instid0(VALU_DEP_1) | instskip(NEXT) | instid1(VALU_DEP_1)
	v_clz_i32_u32_e32 v11, v11
	v_min_u32_e32 v135, 32, v11
	s_delay_alu instid0(VALU_DEP_1) | instskip(SKIP_1) | instid1(VALU_DEP_2)
	v_subrev_nc_u32_e32 v11, 28, v135
	v_sub_nc_u32_e32 v135, 29, v135
	v_lshlrev_b64 v[11:12], v11, v[0:1]
; %bb.1572:                             ;   in Loop: Header=BB322_808 Depth=1
	s_or_b32 exec_lo, exec_lo, s16
	v_lshlrev_b32_e32 v12, 8, v10
	s_delay_alu instid0(VALU_DEP_3) | instskip(NEXT) | instid1(VALU_DEP_3)
	v_lshl_add_u32 v135, v135, 10, 0x2000
	v_lshlrev_b32_e32 v11, 7, v11
	s_delay_alu instid0(VALU_DEP_2) | instskip(NEXT) | instid1(VALU_DEP_1)
	v_and_or_b32 v12, 0x8000, v12, v135
	v_and_or_b32 v11, 0x380, v11, v12
	s_delay_alu instid0(VALU_DEP_1)
	v_cvt_f32_f16_e64 v135, v11
.LBB322_1573:                           ;   in Loop: Header=BB322_808 Depth=1
	s_or_b32 exec_lo, exec_lo, s15
.LBB322_1574:                           ;   in Loop: Header=BB322_808 Depth=1
	s_delay_alu instid0(SALU_CYCLE_1)
	s_or_b32 exec_lo, exec_lo, s13
.LBB322_1575:                           ;   in Loop: Header=BB322_808 Depth=1
	s_delay_alu instid0(SALU_CYCLE_1) | instskip(SKIP_2) | instid1(VALU_DEP_1)
	s_or_b32 exec_lo, exec_lo, s12
	v_lshrrev_b16 v0, 8, v0
	s_mov_b32 s12, exec_lo
	v_cmpx_ne_u16_e32 0, v0
	s_cbranch_execz .LBB322_1583
; %bb.1576:                             ;   in Loop: Header=BB322_808 Depth=1
	v_bfrev_b32_e32 v144, 1
	s_mov_b32 s13, exec_lo
	v_cmpx_ne_u16_e32 0x80, v0
	s_cbranch_execz .LBB322_1582
; %bb.1577:                             ;   in Loop: Header=BB322_808 Depth=1
	v_and_b32_e32 v145, 0xffff, v0
	v_mov_b32_e32 v144, 0x7fc02000
	s_mov_b32 s15, exec_lo
	s_delay_alu instid0(VALU_DEP_2) | instskip(NEXT) | instid1(VALU_DEP_1)
	v_and_b32_e32 v11, 0x7f, v145
	v_cmpx_ne_u32_e32 0x7f, v11
	s_cbranch_execz .LBB322_1581
; %bb.1578:                             ;   in Loop: Header=BB322_808 Depth=1
	v_and_b32_e32 v0, 7, v145
	v_lshrrev_b32_e32 v144, 3, v11
	v_cmp_gt_u32_e64 s0, 8, v11
	s_delay_alu instid0(VALU_DEP_3) | instskip(NEXT) | instid1(VALU_DEP_2)
	v_dual_mov_b32 v12, v1 :: v_dual_mov_b32 v11, v0
	s_and_saveexec_b32 s16, s0
; %bb.1579:                             ;   in Loop: Header=BB322_808 Depth=1
	v_clz_i32_u32_e32 v11, v0
	s_delay_alu instid0(VALU_DEP_1) | instskip(NEXT) | instid1(VALU_DEP_1)
	v_min_u32_e32 v144, 32, v11
	v_subrev_nc_u32_e32 v11, 28, v144
	v_sub_nc_u32_e32 v144, 29, v144
	s_delay_alu instid0(VALU_DEP_2) | instskip(NEXT) | instid1(VALU_DEP_1)
	v_lshlrev_b64 v[11:12], v11, v[0:1]
	v_and_b32_e32 v11, 7, v11
; %bb.1580:                             ;   in Loop: Header=BB322_808 Depth=1
	s_or_b32 exec_lo, exec_lo, s16
	v_lshlrev_b32_e32 v0, 8, v145
	v_lshl_add_u32 v12, v144, 10, 0x2000
	s_delay_alu instid0(VALU_DEP_1) | instskip(NEXT) | instid1(VALU_DEP_1)
	v_and_or_b32 v0, 0x8000, v0, v12
	v_lshl_or_b32 v0, v11, 7, v0
	s_delay_alu instid0(VALU_DEP_1)
	v_cvt_f32_f16_e64 v144, v0
.LBB322_1581:                           ;   in Loop: Header=BB322_808 Depth=1
	s_or_b32 exec_lo, exec_lo, s15
.LBB322_1582:                           ;   in Loop: Header=BB322_808 Depth=1
	s_delay_alu instid0(SALU_CYCLE_1)
	s_or_b32 exec_lo, exec_lo, s13
.LBB322_1583:                           ;   in Loop: Header=BB322_808 Depth=1
	s_delay_alu instid0(SALU_CYCLE_1) | instskip(SKIP_3) | instid1(VALU_DEP_2)
	s_or_b32 exec_lo, exec_lo, s12
	v_lshrrev_b32_e32 v146, 16, v10
	v_mov_b32_e32 v11, 0
	s_mov_b32 s12, exec_lo
	v_dual_mov_b32 v145, 0 :: v_dual_and_b32 v0, 0xff, v146
	s_delay_alu instid0(VALU_DEP_1)
	v_cmpx_ne_u16_e32 0, v0
	s_cbranch_execz .LBB322_1591
; %bb.1584:                             ;   in Loop: Header=BB322_808 Depth=1
	v_bfrev_b32_e32 v11, 1
	s_mov_b32 s13, exec_lo
	v_cmpx_ne_u16_e32 0x80, v0
	s_cbranch_execz .LBB322_1590
; %bb.1585:                             ;   in Loop: Header=BB322_808 Depth=1
	v_bfe_u32 v12, v10, 16, 7
	v_mov_b32_e32 v11, 0x7fc02000
	s_mov_b32 s15, exec_lo
	s_delay_alu instid0(VALU_DEP_2)
	v_cmpx_ne_u32_e32 0x7f, v12
	s_cbranch_execz .LBB322_1589
; %bb.1586:                             ;   in Loop: Header=BB322_808 Depth=1
	v_and_b32_e32 v0, 7, v146
	v_lshrrev_b32_e32 v147, 3, v12
	v_cmp_gt_u32_e64 s0, 8, v12
	s_delay_alu instid0(VALU_DEP_3) | instskip(NEXT) | instid1(VALU_DEP_2)
	v_dual_mov_b32 v12, v1 :: v_dual_mov_b32 v11, v0
	s_and_saveexec_b32 s16, s0
; %bb.1587:                             ;   in Loop: Header=BB322_808 Depth=1
	v_clz_i32_u32_e32 v11, v0
	s_delay_alu instid0(VALU_DEP_1) | instskip(NEXT) | instid1(VALU_DEP_1)
	v_min_u32_e32 v147, 32, v11
	v_subrev_nc_u32_e32 v11, 28, v147
	v_sub_nc_u32_e32 v147, 29, v147
	s_delay_alu instid0(VALU_DEP_2) | instskip(NEXT) | instid1(VALU_DEP_1)
	v_lshlrev_b64 v[11:12], v11, v[0:1]
	v_and_b32_e32 v11, 7, v11
; %bb.1588:                             ;   in Loop: Header=BB322_808 Depth=1
	s_or_b32 exec_lo, exec_lo, s16
	v_lshlrev_b32_e32 v0, 8, v146
	v_lshl_add_u32 v12, v147, 10, 0x2000
	s_delay_alu instid0(VALU_DEP_1) | instskip(NEXT) | instid1(VALU_DEP_1)
	v_and_or_b32 v0, 0x8000, v0, v12
	v_lshl_or_b32 v0, v11, 7, v0
	s_delay_alu instid0(VALU_DEP_1)
	v_cvt_f32_f16_e32 v11, v0
.LBB322_1589:                           ;   in Loop: Header=BB322_808 Depth=1
	s_or_b32 exec_lo, exec_lo, s15
.LBB322_1590:                           ;   in Loop: Header=BB322_808 Depth=1
	s_delay_alu instid0(SALU_CYCLE_1)
	s_or_b32 exec_lo, exec_lo, s13
.LBB322_1591:                           ;   in Loop: Header=BB322_808 Depth=1
	s_delay_alu instid0(SALU_CYCLE_1) | instskip(NEXT) | instid1(SALU_CYCLE_1)
	s_or_b32 exec_lo, exec_lo, s12
	s_mov_b32 s12, exec_lo
	v_cmpx_lt_u64_e64 s[8:9], v[9:10]
	s_cbranch_execz .LBB322_1599
; %bb.1592:                             ;   in Loop: Header=BB322_808 Depth=1
	v_lshrrev_b32_e32 v12, 24, v10
	v_bfrev_b32_e32 v145, 1
	s_mov_b32 s13, exec_lo
	s_delay_alu instid0(VALU_DEP_2)
	v_cmpx_ne_u32_e32 0x80, v12
	s_cbranch_execz .LBB322_1598
; %bb.1593:                             ;   in Loop: Header=BB322_808 Depth=1
	v_and_b32_e32 v9, 0x7f, v12
	v_mov_b32_e32 v145, 0x7fc02000
	s_mov_b32 s15, exec_lo
	s_delay_alu instid0(VALU_DEP_2)
	v_cmpx_ne_u32_e32 0x7f, v9
	s_cbranch_execz .LBB322_1597
; %bb.1594:                             ;   in Loop: Header=BB322_808 Depth=1
	v_and_b32_e32 v0, 7, v12
	v_lshrrev_b32_e32 v145, 3, v9
	v_cmp_gt_u32_e64 s0, 8, v9
	s_delay_alu instid0(VALU_DEP_3) | instskip(NEXT) | instid1(VALU_DEP_2)
	v_dual_mov_b32 v10, v1 :: v_dual_mov_b32 v9, v0
	s_and_saveexec_b32 s16, s0
; %bb.1595:                             ;   in Loop: Header=BB322_808 Depth=1
	v_clz_i32_u32_e32 v9, v0
	s_delay_alu instid0(VALU_DEP_1) | instskip(NEXT) | instid1(VALU_DEP_1)
	v_min_u32_e32 v145, 32, v9
	v_subrev_nc_u32_e32 v9, 28, v145
	v_sub_nc_u32_e32 v145, 29, v145
	s_delay_alu instid0(VALU_DEP_2) | instskip(NEXT) | instid1(VALU_DEP_1)
	v_lshlrev_b64 v[9:10], v9, v[0:1]
	v_and_b32_e32 v9, 7, v9
; %bb.1596:                             ;   in Loop: Header=BB322_808 Depth=1
	s_or_b32 exec_lo, exec_lo, s16
	v_lshlrev_b32_e32 v0, 8, v12
	v_lshl_add_u32 v10, v145, 10, 0x2000
	s_delay_alu instid0(VALU_DEP_1) | instskip(NEXT) | instid1(VALU_DEP_1)
	v_and_or_b32 v0, 0x8000, v0, v10
	v_lshl_or_b32 v0, v9, 7, v0
	s_delay_alu instid0(VALU_DEP_1)
	v_cvt_f32_f16_e64 v145, v0
.LBB322_1597:                           ;   in Loop: Header=BB322_808 Depth=1
	s_or_b32 exec_lo, exec_lo, s15
.LBB322_1598:                           ;   in Loop: Header=BB322_808 Depth=1
	s_delay_alu instid0(SALU_CYCLE_1)
	s_or_b32 exec_lo, exec_lo, s13
.LBB322_1599:                           ;   in Loop: Header=BB322_808 Depth=1
	s_delay_alu instid0(SALU_CYCLE_1)
	s_or_b32 exec_lo, exec_lo, s12
	s_waitcnt vmcnt(0) lgkmcnt(0)
	v_fma_mixlo_f16 v10, v130, v132, 0
	v_fma_mixlo_f16 v0, v130, v134, 0
	;; [unrolled: 1-line block ×5, first 2 shown]
	v_lshlrev_b32_e32 v132, 16, v10
	v_fma_mixlo_f16 v10, v130, v131, 0
	v_fma_mixlo_f16 v131, v130, v144, 0
	;; [unrolled: 1-line block ×3, first 2 shown]
	v_lshlrev_b32_e32 v0, 16, v0
	v_and_b32_e32 v9, 0xffff, v9
	v_and_b32_e32 v11, 0xffff, v10
	v_lshlrev_b32_e32 v130, 16, v131
	v_and_b32_e32 v131, 0xffff, v133
	v_lshlrev_b32_e32 v133, 16, v134
	v_and_b32_e32 v134, 0xffff, v12
	v_or_b32_e32 v10, v0, v9
	v_or_b32_e32 v11, v132, v11
	;; [unrolled: 1-line block ×3, first 2 shown]
	s_delay_alu instid0(VALU_DEP_4)
	v_or_b32_e32 v9, v133, v134
	s_and_saveexec_b32 s0, vcc_lo
	s_cbranch_execz .LBB322_806
; %bb.1600:                             ;   in Loop: Header=BB322_808 Depth=1
	v_cmp_lt_i32_e32 vcc_lo, v18, v37
	v_lshrrev_b32_e32 v130, 16, v11
	v_lshrrev_b32_e32 v131, 16, v10
	v_lshrrev_b32_e32 v9, 16, v9
	v_cndmask_b32_e32 v11, 0, v11, vcc_lo
	v_cmp_lt_i32_e32 vcc_lo, v84, v53
	v_lshrrev_b32_e32 v84, 16, v0
	v_cndmask_b32_e32 v18, 0, v130, vcc_lo
	v_cmp_lt_i32_e32 vcc_lo, v83, v53
	s_delay_alu instid0(VALU_DEP_2) | instskip(SKIP_4) | instid1(VALU_DEP_2)
	v_perm_b32 v11, v18, v11, 0x5040100
	v_cndmask_b32_e32 v83, 0, v131, vcc_lo
	v_cmp_lt_i32_e32 vcc_lo, v71, v37
	v_cndmask_b32_e32 v10, 0, v10, vcc_lo
	v_cmp_lt_i32_e32 vcc_lo, v70, v53
	v_perm_b32 v10, v83, v10, 0x5040100
	v_cndmask_b32_e32 v70, 0, v84, vcc_lo
	v_cmp_lt_i32_e32 vcc_lo, v69, v37
	v_cndmask_b32_e32 v0, 0, v0, vcc_lo
	v_cmp_lt_i32_e32 vcc_lo, v64, v53
	;; [unrolled: 2-line block ×3, first 2 shown]
	s_delay_alu instid0(VALU_DEP_4) | instskip(SKIP_1) | instid1(VALU_DEP_1)
	v_perm_b32 v0, v70, v0, 0x5040100
	v_cndmask_b32_e32 v12, 0, v12, vcc_lo
	v_perm_b32 v9, v9, v12, 0x5040100
	s_branch .LBB322_806
.LBB322_1601:
	s_or_b32 exec_lo, exec_lo, s5
	s_load_b32 s0, s[6:7], 0x0
	s_waitcnt lgkmcnt(0)
	v_mov_b32_e32 v69, s0
.LBB322_1602:
	s_or_b32 exec_lo, exec_lo, s3
	ds_bpermute_b32 v0, v21, v68
	ds_bpermute_b32 v1, v21, v67
	;; [unrolled: 1-line block ×12, first 2 shown]
	s_waitcnt lgkmcnt(0)
	s_waitcnt_vscnt null, 0x0
	s_barrier
	buffer_gl0_inv
	v_dual_add_f32 v13, v68, v0 :: v_dual_add_f32 v12, v67, v1
	v_add_f32_e32 v9, v34, v6
	v_dual_add_f32 v6, v32, v14 :: v_dual_add_f32 v1, v29, v16
	v_and_b32_e32 v16, 0x3c1, v36
	v_lshrrev_b32_e32 v14, 1, v20
	v_dual_add_f32 v11, v66, v2 :: v_dual_add_f32 v10, v65, v3
	v_add_f32_e32 v8, v33, v7
	v_dual_add_f32 v2, v31, v15 :: v_dual_add_f32 v7, v25, v18
	v_add_f32_e32 v0, v28, v17
	v_add_f32_e32 v3, v24, v19
	v_mad_u32_u24 v15, 0x300, v49, v69
	v_cmp_eq_u32_e32 vcc_lo, 64, v16
	v_lshlrev_b32_e32 v16, 2, v14
	s_and_saveexec_b32 s0, vcc_lo
	s_cbranch_execz .LBB322_1604
; %bb.1603:
	s_delay_alu instid0(VALU_DEP_1)
	v_add3_u32 v17, v15, v16, 0xfffffa00
	ds_store_2addr_b32 v17, v13, v12 offset1:16
	ds_store_2addr_b32 v17, v11, v10 offset0:32 offset1:48
	ds_store_2addr_b32 v17, v9, v8 offset0:64 offset1:80
	;; [unrolled: 1-line block ×5, first 2 shown]
.LBB322_1604:
	s_or_b32 exec_lo, exec_lo, s0
	v_cmp_eq_u32_e32 vcc_lo, 0, v38
	s_mov_b32 s3, exec_lo
	s_waitcnt lgkmcnt(0)
	s_barrier
	buffer_gl0_inv
	v_cmpx_gt_u32_e32 64, v36
	s_cbranch_execz .LBB322_1619
; %bb.1605:
	s_and_saveexec_b32 s0, vcc_lo
	s_cbranch_execnz .LBB322_1639
; %bb.1606:
	s_or_b32 exec_lo, exec_lo, s0
	s_and_saveexec_b32 s0, vcc_lo
	s_cbranch_execnz .LBB322_1640
.LBB322_1607:
	s_or_b32 exec_lo, exec_lo, s0
	s_and_saveexec_b32 s0, vcc_lo
	s_cbranch_execnz .LBB322_1641
.LBB322_1608:
	s_or_b32 exec_lo, exec_lo, s0
	s_and_saveexec_b32 s0, vcc_lo
	s_cbranch_execnz .LBB322_1642
.LBB322_1609:
	s_or_b32 exec_lo, exec_lo, s0
	s_and_saveexec_b32 s0, vcc_lo
	s_cbranch_execnz .LBB322_1643
.LBB322_1610:
	s_or_b32 exec_lo, exec_lo, s0
	s_and_saveexec_b32 s0, vcc_lo
	s_cbranch_execnz .LBB322_1644
.LBB322_1611:
	s_or_b32 exec_lo, exec_lo, s0
	s_and_saveexec_b32 s0, vcc_lo
	s_cbranch_execnz .LBB322_1645
.LBB322_1612:
	s_or_b32 exec_lo, exec_lo, s0
	s_and_saveexec_b32 s0, vcc_lo
	s_cbranch_execnz .LBB322_1646
.LBB322_1613:
	s_or_b32 exec_lo, exec_lo, s0
	s_and_saveexec_b32 s0, vcc_lo
	s_cbranch_execnz .LBB322_1647
.LBB322_1614:
	s_or_b32 exec_lo, exec_lo, s0
	s_and_saveexec_b32 s0, vcc_lo
	s_cbranch_execnz .LBB322_1648
.LBB322_1615:
	s_or_b32 exec_lo, exec_lo, s0
	s_and_saveexec_b32 s0, vcc_lo
	s_cbranch_execnz .LBB322_1649
.LBB322_1616:
	s_or_b32 exec_lo, exec_lo, s0
	s_and_saveexec_b32 s0, vcc_lo
	s_cbranch_execz .LBB322_1618
.LBB322_1617:
	v_lshl_add_u32 v17, v14, 2, v15
	ds_load_b32 v17, v17 offset:704
	s_waitcnt lgkmcnt(0)
	v_add_f32_e32 v3, v17, v3
.LBB322_1618:
	s_or_b32 exec_lo, exec_lo, s0
.LBB322_1619:
	s_delay_alu instid0(SALU_CYCLE_1)
	s_or_b32 exec_lo, exec_lo, s3
	v_and_b32_e32 v17, 0x3e1, v36
	s_mov_b32 s3, exec_lo
	s_barrier
	buffer_gl0_inv
	v_cmpx_eq_u32_e32 32, v17
	s_cbranch_execz .LBB322_1621
; %bb.1620:
	v_add3_u32 v16, v15, v16, 0xfffffd00
	ds_store_2addr_b32 v16, v13, v12 offset1:16
	ds_store_2addr_b32 v16, v11, v10 offset0:32 offset1:48
	ds_store_2addr_b32 v16, v9, v8 offset0:64 offset1:80
	;; [unrolled: 1-line block ×5, first 2 shown]
.LBB322_1621:
	s_or_b32 exec_lo, exec_lo, s3
	s_delay_alu instid0(SALU_CYCLE_1)
	s_mov_b32 s3, exec_lo
	s_waitcnt lgkmcnt(0)
	s_barrier
	buffer_gl0_inv
	v_cmpx_gt_u32_e32 32, v36
	s_cbranch_execz .LBB322_1636
; %bb.1622:
	v_lshl_add_u32 v14, v14, 2, v15
	s_and_saveexec_b32 s0, vcc_lo
	s_cbranch_execnz .LBB322_1650
; %bb.1623:
	s_or_b32 exec_lo, exec_lo, s0
	s_and_saveexec_b32 s0, vcc_lo
	s_cbranch_execnz .LBB322_1651
.LBB322_1624:
	s_or_b32 exec_lo, exec_lo, s0
	s_and_saveexec_b32 s0, vcc_lo
	s_cbranch_execnz .LBB322_1652
.LBB322_1625:
	s_or_b32 exec_lo, exec_lo, s0
	s_and_saveexec_b32 s0, vcc_lo
	s_cbranch_execnz .LBB322_1653
.LBB322_1626:
	s_or_b32 exec_lo, exec_lo, s0
	s_and_saveexec_b32 s0, vcc_lo
	s_cbranch_execnz .LBB322_1654
.LBB322_1627:
	s_or_b32 exec_lo, exec_lo, s0
	s_and_saveexec_b32 s0, vcc_lo
	s_cbranch_execnz .LBB322_1655
.LBB322_1628:
	s_or_b32 exec_lo, exec_lo, s0
	s_and_saveexec_b32 s0, vcc_lo
	s_cbranch_execnz .LBB322_1656
.LBB322_1629:
	s_or_b32 exec_lo, exec_lo, s0
	s_and_saveexec_b32 s0, vcc_lo
	s_cbranch_execnz .LBB322_1657
.LBB322_1630:
	s_or_b32 exec_lo, exec_lo, s0
	s_and_saveexec_b32 s0, vcc_lo
	s_cbranch_execnz .LBB322_1658
.LBB322_1631:
	s_or_b32 exec_lo, exec_lo, s0
	s_and_saveexec_b32 s0, vcc_lo
	s_cbranch_execnz .LBB322_1659
.LBB322_1632:
	s_or_b32 exec_lo, exec_lo, s0
	s_and_saveexec_b32 s0, vcc_lo
	s_cbranch_execnz .LBB322_1660
.LBB322_1633:
	s_or_b32 exec_lo, exec_lo, s0
	s_and_saveexec_b32 s0, vcc_lo
	s_cbranch_execz .LBB322_1635
.LBB322_1634:
	ds_load_b32 v14, v14 offset:704
	s_waitcnt lgkmcnt(0)
	v_add_f32_e32 v3, v14, v3
.LBB322_1635:
	s_or_b32 exec_lo, exec_lo, s0
.LBB322_1636:
	s_delay_alu instid0(SALU_CYCLE_1)
	s_or_b32 exec_lo, exec_lo, s3
	v_cmp_eq_u32_e32 vcc_lo, 0, v17
	s_barrier
	buffer_gl0_inv
	s_and_b32 exec_lo, exec_lo, vcc_lo
	s_cbranch_execz .LBB322_1638
; %bb.1637:
	s_mul_i32 s0, s2, 0xc0
	s_mul_i32 s2, s4, s1
	;; [unrolled: 1-line block ×3, first 2 shown]
	s_ashr_i32 s3, s2, 31
	s_ashr_i32 s5, s4, 31
	;; [unrolled: 1-line block ×3, first 2 shown]
	s_lshl_b64 s[2:3], s[2:3], 1
	s_lshl_b64 s[4:5], s[4:5], 1
	;; [unrolled: 1-line block ×3, first 2 shown]
	s_add_u32 s2, s4, s2
	s_addc_u32 s3, s5, s3
	s_add_u32 s0, s2, s0
	s_addc_u32 s1, s3, s1
	v_lshlrev_b32_e32 v14, 1, v35
	v_add_co_u32 v4, vcc_lo, s0, v4
	v_add_co_ci_u32_e32 v5, vcc_lo, s1, v5, vcc_lo
	;;#ASMSTART
	v_cvt_f16_f32 v13, v13;

	;;#ASMEND
	s_delay_alu instid0(VALU_DEP_2) | instskip(NEXT) | instid1(VALU_DEP_2)
	v_add_co_u32 v4, vcc_lo, v4, v14
	v_add_co_ci_u32_e32 v5, vcc_lo, 0, v5, vcc_lo
	flat_store_b16 v[4:5], v13
	;;#ASMSTART
	v_cvt_f16_f32 v12, v12;

	;;#ASMEND
	flat_store_b16 v[4:5], v12 offset:32
	;;#ASMSTART
	v_cvt_f16_f32 v11, v11;

	;;#ASMEND
	flat_store_b16 v[4:5], v11 offset:64
	;;#ASMSTART
	v_cvt_f16_f32 v10, v10;

	;;#ASMEND
	flat_store_b16 v[4:5], v10 offset:96
	;;#ASMSTART
	v_cvt_f16_f32 v9, v9;

	;;#ASMEND
	flat_store_b16 v[4:5], v9 offset:128
	;;#ASMSTART
	v_cvt_f16_f32 v8, v8;

	;;#ASMEND
	flat_store_b16 v[4:5], v8 offset:160
	;;#ASMSTART
	v_cvt_f16_f32 v6, v6;

	;;#ASMEND
	flat_store_b16 v[4:5], v6 offset:192
	;;#ASMSTART
	v_cvt_f16_f32 v2, v2;

	;;#ASMEND
	flat_store_b16 v[4:5], v2 offset:224
	;;#ASMSTART
	v_cvt_f16_f32 v1, v1;

	;;#ASMEND
	flat_store_b16 v[4:5], v1 offset:256
	;;#ASMSTART
	v_cvt_f16_f32 v0, v0;

	;;#ASMEND
	flat_store_b16 v[4:5], v0 offset:288
	;;#ASMSTART
	v_cvt_f16_f32 v0, v7;

	;;#ASMEND
	flat_store_b16 v[4:5], v0 offset:320
	;;#ASMSTART
	v_cvt_f16_f32 v0, v3;

	;;#ASMEND
	flat_store_b16 v[4:5], v0 offset:352
.LBB322_1638:
	s_or_b32 exec_lo, exec_lo, s11
	s_clause 0x1f
	scratch_load_b32 v127, off, s32 offset:8
	scratch_load_b32 v126, off, s32 offset:12
	;; [unrolled: 1-line block ×32, first 2 shown]
	s_clause 0xf
	scratch_load_b32 v63, off, s32 offset:136
	scratch_load_b32 v62, off, s32 offset:140
	;; [unrolled: 1-line block ×16, first 2 shown]
	s_waitcnt vmcnt(0) lgkmcnt(0)
	s_setpc_b64 s[30:31]
.LBB322_1639:
	v_lshl_add_u32 v17, v14, 2, v15
	ds_load_b32 v17, v17
	s_waitcnt lgkmcnt(0)
	v_add_f32_e32 v13, v17, v13
	s_or_b32 exec_lo, exec_lo, s0
	s_and_saveexec_b32 s0, vcc_lo
	s_cbranch_execz .LBB322_1607
.LBB322_1640:
	v_lshl_add_u32 v17, v14, 2, v15
	ds_load_b32 v17, v17 offset:64
	s_waitcnt lgkmcnt(0)
	v_add_f32_e32 v12, v17, v12
	s_or_b32 exec_lo, exec_lo, s0
	s_and_saveexec_b32 s0, vcc_lo
	s_cbranch_execz .LBB322_1608
.LBB322_1641:
	v_lshl_add_u32 v17, v14, 2, v15
	ds_load_b32 v17, v17 offset:128
	s_waitcnt lgkmcnt(0)
	v_add_f32_e32 v11, v17, v11
	s_or_b32 exec_lo, exec_lo, s0
	s_and_saveexec_b32 s0, vcc_lo
	s_cbranch_execz .LBB322_1609
.LBB322_1642:
	v_lshl_add_u32 v17, v14, 2, v15
	ds_load_b32 v17, v17 offset:192
	s_waitcnt lgkmcnt(0)
	v_add_f32_e32 v10, v17, v10
	s_or_b32 exec_lo, exec_lo, s0
	s_and_saveexec_b32 s0, vcc_lo
	s_cbranch_execz .LBB322_1610
.LBB322_1643:
	v_lshl_add_u32 v17, v14, 2, v15
	ds_load_b32 v17, v17 offset:256
	s_waitcnt lgkmcnt(0)
	v_add_f32_e32 v9, v17, v9
	s_or_b32 exec_lo, exec_lo, s0
	s_and_saveexec_b32 s0, vcc_lo
	s_cbranch_execz .LBB322_1611
.LBB322_1644:
	v_lshl_add_u32 v17, v14, 2, v15
	ds_load_b32 v17, v17 offset:320
	s_waitcnt lgkmcnt(0)
	v_add_f32_e32 v8, v17, v8
	s_or_b32 exec_lo, exec_lo, s0
	s_and_saveexec_b32 s0, vcc_lo
	s_cbranch_execz .LBB322_1612
.LBB322_1645:
	v_lshl_add_u32 v17, v14, 2, v15
	ds_load_b32 v17, v17 offset:384
	s_waitcnt lgkmcnt(0)
	v_add_f32_e32 v6, v17, v6
	s_or_b32 exec_lo, exec_lo, s0
	s_and_saveexec_b32 s0, vcc_lo
	s_cbranch_execz .LBB322_1613
.LBB322_1646:
	v_lshl_add_u32 v17, v14, 2, v15
	ds_load_b32 v17, v17 offset:448
	s_waitcnt lgkmcnt(0)
	v_add_f32_e32 v2, v17, v2
	s_or_b32 exec_lo, exec_lo, s0
	s_and_saveexec_b32 s0, vcc_lo
	s_cbranch_execz .LBB322_1614
.LBB322_1647:
	v_lshl_add_u32 v17, v14, 2, v15
	ds_load_b32 v17, v17 offset:512
	s_waitcnt lgkmcnt(0)
	v_add_f32_e32 v1, v17, v1
	s_or_b32 exec_lo, exec_lo, s0
	s_and_saveexec_b32 s0, vcc_lo
	s_cbranch_execz .LBB322_1615
.LBB322_1648:
	v_lshl_add_u32 v17, v14, 2, v15
	ds_load_b32 v17, v17 offset:576
	s_waitcnt lgkmcnt(0)
	v_add_f32_e32 v0, v17, v0
	s_or_b32 exec_lo, exec_lo, s0
	s_and_saveexec_b32 s0, vcc_lo
	s_cbranch_execz .LBB322_1616
.LBB322_1649:
	v_lshl_add_u32 v17, v14, 2, v15
	ds_load_b32 v17, v17 offset:640
	s_waitcnt lgkmcnt(0)
	v_add_f32_e32 v7, v17, v7
	s_or_b32 exec_lo, exec_lo, s0
	s_and_saveexec_b32 s0, vcc_lo
	s_cbranch_execnz .LBB322_1617
	s_branch .LBB322_1618
.LBB322_1650:
	ds_load_b32 v15, v14
	s_waitcnt lgkmcnt(0)
	v_add_f32_e32 v13, v15, v13
	s_or_b32 exec_lo, exec_lo, s0
	s_and_saveexec_b32 s0, vcc_lo
	s_cbranch_execz .LBB322_1624
.LBB322_1651:
	ds_load_b32 v15, v14 offset:64
	s_waitcnt lgkmcnt(0)
	v_add_f32_e32 v12, v15, v12
	s_or_b32 exec_lo, exec_lo, s0
	s_and_saveexec_b32 s0, vcc_lo
	s_cbranch_execz .LBB322_1625
.LBB322_1652:
	ds_load_b32 v15, v14 offset:128
	s_waitcnt lgkmcnt(0)
	v_add_f32_e32 v11, v15, v11
	s_or_b32 exec_lo, exec_lo, s0
	s_and_saveexec_b32 s0, vcc_lo
	s_cbranch_execz .LBB322_1626
.LBB322_1653:
	ds_load_b32 v15, v14 offset:192
	s_waitcnt lgkmcnt(0)
	v_add_f32_e32 v10, v15, v10
	s_or_b32 exec_lo, exec_lo, s0
	s_and_saveexec_b32 s0, vcc_lo
	s_cbranch_execz .LBB322_1627
.LBB322_1654:
	ds_load_b32 v15, v14 offset:256
	s_waitcnt lgkmcnt(0)
	v_add_f32_e32 v9, v15, v9
	s_or_b32 exec_lo, exec_lo, s0
	s_and_saveexec_b32 s0, vcc_lo
	s_cbranch_execz .LBB322_1628
.LBB322_1655:
	ds_load_b32 v15, v14 offset:320
	s_waitcnt lgkmcnt(0)
	v_add_f32_e32 v8, v15, v8
	s_or_b32 exec_lo, exec_lo, s0
	s_and_saveexec_b32 s0, vcc_lo
	s_cbranch_execz .LBB322_1629
.LBB322_1656:
	ds_load_b32 v15, v14 offset:384
	s_waitcnt lgkmcnt(0)
	v_add_f32_e32 v6, v15, v6
	s_or_b32 exec_lo, exec_lo, s0
	s_and_saveexec_b32 s0, vcc_lo
	s_cbranch_execz .LBB322_1630
.LBB322_1657:
	ds_load_b32 v15, v14 offset:448
	s_waitcnt lgkmcnt(0)
	v_add_f32_e32 v2, v15, v2
	s_or_b32 exec_lo, exec_lo, s0
	s_and_saveexec_b32 s0, vcc_lo
	s_cbranch_execz .LBB322_1631
.LBB322_1658:
	ds_load_b32 v15, v14 offset:512
	s_waitcnt lgkmcnt(0)
	v_add_f32_e32 v1, v15, v1
	s_or_b32 exec_lo, exec_lo, s0
	s_and_saveexec_b32 s0, vcc_lo
	s_cbranch_execz .LBB322_1632
.LBB322_1659:
	ds_load_b32 v15, v14 offset:576
	s_waitcnt lgkmcnt(0)
	v_add_f32_e32 v0, v15, v0
	s_or_b32 exec_lo, exec_lo, s0
	s_and_saveexec_b32 s0, vcc_lo
	s_cbranch_execz .LBB322_1633
.LBB322_1660:
	ds_load_b32 v15, v14 offset:640
	s_waitcnt lgkmcnt(0)
	v_add_f32_e32 v7, v15, v7
	s_or_b32 exec_lo, exec_lo, s0
	s_and_saveexec_b32 s0, vcc_lo
	s_cbranch_execnz .LBB322_1634
	s_branch .LBB322_1635
.Lfunc_end322:
	.size	_ZN4vllm22paged_attention_kernelIthLi192ELi16ELi128ELNS_18Fp8KVCacheDataTypeE1ELb1ELi512EEEvPfS2_PT_PKS3_PKT0_S9_ifPKiSB_iPKfiiiSD_SD_iiiii, .Lfunc_end322-_ZN4vllm22paged_attention_kernelIthLi192ELi16ELi128ELNS_18Fp8KVCacheDataTypeE1ELb1ELi512EEEvPfS2_PT_PKS3_PKT0_S9_ifPKiSB_iPKfiiiSD_SD_iiiii
                                        ; -- End function
	.section	.AMDGPU.csdata,"",@progbits
; Function info:
; codeLenInByte = 64744
; NumSgprs: 35
; NumVgprs: 184
; ScratchSize: 204
; MemoryBound: 0
	.section	.text._ZN4vllm25paged_attention_v2_kernelIthLi192ELi16ELi128ELNS_18Fp8KVCacheDataTypeE1ELb1ELi512EEEvPfS2_PT_PKS3_PKT0_S9_ifPKiSB_iPKfiiiSD_SD_iiiii,"axG",@progbits,_ZN4vllm25paged_attention_v2_kernelIthLi192ELi16ELi128ELNS_18Fp8KVCacheDataTypeE1ELb1ELi512EEEvPfS2_PT_PKS3_PKT0_S9_ifPKiSB_iPKfiiiSD_SD_iiiii,comdat
	.protected	_ZN4vllm25paged_attention_v2_kernelIthLi192ELi16ELi128ELNS_18Fp8KVCacheDataTypeE1ELb1ELi512EEEvPfS2_PT_PKS3_PKT0_S9_ifPKiSB_iPKfiiiSD_SD_iiiii ; -- Begin function _ZN4vllm25paged_attention_v2_kernelIthLi192ELi16ELi128ELNS_18Fp8KVCacheDataTypeE1ELb1ELi512EEEvPfS2_PT_PKS3_PKT0_S9_ifPKiSB_iPKfiiiSD_SD_iiiii
	.globl	_ZN4vllm25paged_attention_v2_kernelIthLi192ELi16ELi128ELNS_18Fp8KVCacheDataTypeE1ELb1ELi512EEEvPfS2_PT_PKS3_PKT0_S9_ifPKiSB_iPKfiiiSD_SD_iiiii
	.p2align	8
	.type	_ZN4vllm25paged_attention_v2_kernelIthLi192ELi16ELi128ELNS_18Fp8KVCacheDataTypeE1ELb1ELi512EEEvPfS2_PT_PKS3_PKT0_S9_ifPKiSB_iPKfiiiSD_SD_iiiii,@function
_ZN4vllm25paged_attention_v2_kernelIthLi192ELi16ELi128ELNS_18Fp8KVCacheDataTypeE1ELb1ELi512EEEvPfS2_PT_PKS3_PKT0_S9_ifPKiSB_iPKfiiiSD_SD_iiiii: ; @_ZN4vllm25paged_attention_v2_kernelIthLi192ELi16ELi128ELNS_18Fp8KVCacheDataTypeE1ELb1ELi512EEEvPfS2_PT_PKS3_PKT0_S9_ifPKiSB_iPKfiiiSD_SD_iiiii
; %bb.0:
	s_mov_b32 s12, s13
	s_clause 0x7
	s_load_b128 s[4:7], s[0:1], 0x78
	s_load_b32 s8, s[0:1], 0x88
	s_load_b256 s[24:31], s[0:1], 0x0
	s_load_b256 s[36:43], s[0:1], 0x20
	s_load_b64 s[2:3], s[0:1], 0x40
	s_load_b64 s[10:11], s[0:1], 0x50
	s_load_b32 s13, s[0:1], 0x48
	s_load_b256 s[16:23], s[0:1], 0x58
	s_mov_b32 s32, 0
	v_mov_b32_e32 v31, v0
	s_waitcnt lgkmcnt(0)
	v_dual_mov_b32 v1, s7 :: v_dual_mov_b32 v2, s8
	v_dual_mov_b32 v0, s24 :: v_dual_mov_b32 v3, s27
	;; [unrolled: 1-line block ×3, first 2 shown]
	v_mov_b32_e32 v6, s30
	scratch_store_b64 off, v[1:2], s32
	v_dual_mov_b32 v1, s25 :: v_dual_mov_b32 v2, s26
	v_dual_mov_b32 v7, s31 :: v_dual_mov_b32 v8, s36
	;; [unrolled: 1-line block ×13, first 2 shown]
	s_add_u32 s8, s0, 0x90
	s_addc_u32 s9, s1, 0
	s_mov_b32 s13, s14
	s_mov_b32 s14, s15
	s_movk_i32 s15, 0x60
	s_getpc_b64 s[0:1]
	s_add_u32 s0, s0, _ZN4vllm22paged_attention_kernelIthLi192ELi16ELi128ELNS_18Fp8KVCacheDataTypeE1ELb1ELi512EEEvPfS2_PT_PKS3_PKT0_S9_ifPKiSB_iPKfiiiSD_SD_iiiii@rel32@lo+4
	s_addc_u32 s1, s1, _ZN4vllm22paged_attention_kernelIthLi192ELi16ELi128ELNS_18Fp8KVCacheDataTypeE1ELb1ELi512EEEvPfS2_PT_PKS3_PKT0_S9_ifPKiSB_iPKfiiiSD_SD_iiiii@rel32@hi+12
	s_delay_alu instid0(SALU_CYCLE_1)
	s_swappc_b64 s[30:31], s[0:1]
	s_endpgm
	.section	.rodata,"a",@progbits
	.p2align	6, 0x0
	.amdhsa_kernel _ZN4vllm25paged_attention_v2_kernelIthLi192ELi16ELi128ELNS_18Fp8KVCacheDataTypeE1ELb1ELi512EEEvPfS2_PT_PKS3_PKT0_S9_ifPKiSB_iPKfiiiSD_SD_iiiii
		.amdhsa_group_segment_fixed_size 416
		.amdhsa_private_segment_fixed_size 204
		.amdhsa_kernarg_size 400
		.amdhsa_user_sgpr_count 13
		.amdhsa_user_sgpr_dispatch_ptr 0
		.amdhsa_user_sgpr_queue_ptr 0
		.amdhsa_user_sgpr_kernarg_segment_ptr 1
		.amdhsa_user_sgpr_dispatch_id 0
		.amdhsa_user_sgpr_private_segment_size 0
		.amdhsa_wavefront_size32 1
		.amdhsa_uses_dynamic_stack 0
		.amdhsa_enable_private_segment 1
		.amdhsa_system_sgpr_workgroup_id_x 1
		.amdhsa_system_sgpr_workgroup_id_y 1
		.amdhsa_system_sgpr_workgroup_id_z 1
		.amdhsa_system_sgpr_workgroup_info 0
		.amdhsa_system_vgpr_workitem_id 0
		.amdhsa_next_free_vgpr 184
		.amdhsa_next_free_sgpr 44
		.amdhsa_reserve_vcc 1
		.amdhsa_float_round_mode_32 0
		.amdhsa_float_round_mode_16_64 0
		.amdhsa_float_denorm_mode_32 3
		.amdhsa_float_denorm_mode_16_64 3
		.amdhsa_dx10_clamp 1
		.amdhsa_ieee_mode 1
		.amdhsa_fp16_overflow 0
		.amdhsa_workgroup_processor_mode 1
		.amdhsa_memory_ordered 1
		.amdhsa_forward_progress 0
		.amdhsa_shared_vgpr_count 0
		.amdhsa_exception_fp_ieee_invalid_op 0
		.amdhsa_exception_fp_denorm_src 0
		.amdhsa_exception_fp_ieee_div_zero 0
		.amdhsa_exception_fp_ieee_overflow 0
		.amdhsa_exception_fp_ieee_underflow 0
		.amdhsa_exception_fp_ieee_inexact 0
		.amdhsa_exception_int_div_zero 0
	.end_amdhsa_kernel
	.section	.text._ZN4vllm25paged_attention_v2_kernelIthLi192ELi16ELi128ELNS_18Fp8KVCacheDataTypeE1ELb1ELi512EEEvPfS2_PT_PKS3_PKT0_S9_ifPKiSB_iPKfiiiSD_SD_iiiii,"axG",@progbits,_ZN4vllm25paged_attention_v2_kernelIthLi192ELi16ELi128ELNS_18Fp8KVCacheDataTypeE1ELb1ELi512EEEvPfS2_PT_PKS3_PKT0_S9_ifPKiSB_iPKfiiiSD_SD_iiiii,comdat
.Lfunc_end323:
	.size	_ZN4vllm25paged_attention_v2_kernelIthLi192ELi16ELi128ELNS_18Fp8KVCacheDataTypeE1ELb1ELi512EEEvPfS2_PT_PKS3_PKT0_S9_ifPKiSB_iPKfiiiSD_SD_iiiii, .Lfunc_end323-_ZN4vllm25paged_attention_v2_kernelIthLi192ELi16ELi128ELNS_18Fp8KVCacheDataTypeE1ELb1ELi512EEEvPfS2_PT_PKS3_PKT0_S9_ifPKiSB_iPKfiiiSD_SD_iiiii
                                        ; -- End function
	.section	.AMDGPU.csdata,"",@progbits
; Kernel info:
; codeLenInByte = 280
; NumSgprs: 46
; NumVgprs: 184
; ScratchSize: 204
; MemoryBound: 0
; FloatMode: 240
; IeeeMode: 1
; LDSByteSize: 416 bytes/workgroup (compile time only)
; SGPRBlocks: 5
; VGPRBlocks: 22
; NumSGPRsForWavesPerEU: 46
; NumVGPRsForWavesPerEU: 184
; Occupancy: 8
; WaveLimiterHint : 1
; COMPUTE_PGM_RSRC2:SCRATCH_EN: 1
; COMPUTE_PGM_RSRC2:USER_SGPR: 13
; COMPUTE_PGM_RSRC2:TRAP_HANDLER: 0
; COMPUTE_PGM_RSRC2:TGID_X_EN: 1
; COMPUTE_PGM_RSRC2:TGID_Y_EN: 1
; COMPUTE_PGM_RSRC2:TGID_Z_EN: 1
; COMPUTE_PGM_RSRC2:TIDIG_COMP_CNT: 0
	.text
	.p2align	2                               ; -- Begin function _ZN4vllm22paged_attention_kernelIthLi256ELi16ELi128ELNS_18Fp8KVCacheDataTypeE1ELb1ELi512EEEvPfS2_PT_PKS3_PKT0_S9_ifPKiSB_iPKfiiiSD_SD_iiiii
	.type	_ZN4vllm22paged_attention_kernelIthLi256ELi16ELi128ELNS_18Fp8KVCacheDataTypeE1ELb1ELi512EEEvPfS2_PT_PKS3_PKT0_S9_ifPKiSB_iPKfiiiSD_SD_iiiii,@function
_ZN4vllm22paged_attention_kernelIthLi256ELi16ELi128ELNS_18Fp8KVCacheDataTypeE1ELb1ELi512EEEvPfS2_PT_PKS3_PKT0_S9_ifPKiSB_iPKfiiiSD_SD_iiiii: ; @_ZN4vllm22paged_attention_kernelIthLi256ELi16ELi128ELNS_18Fp8KVCacheDataTypeE1ELb1ELi512EEEvPfS2_PT_PKS3_PKT0_S9_ifPKiSB_iPKfiiiSD_SD_iiiii
; %bb.0:
	s_waitcnt vmcnt(0) expcnt(0) lgkmcnt(0)
	s_clause 0x1f
	scratch_store_b32 off, v40, s32 offset:324
	; meta instruction
	scratch_store_b32 off, v41, s32 offset:320
	; meta instruction
	scratch_store_b32 off, v42, s32 offset:316
	; meta instruction
	scratch_store_b32 off, v43, s32 offset:312
	; meta instruction
	scratch_store_b32 off, v44, s32 offset:308
	; meta instruction
	scratch_store_b32 off, v45, s32 offset:304
	; meta instruction
	scratch_store_b32 off, v46, s32 offset:300
	; meta instruction
	scratch_store_b32 off, v47, s32 offset:296
	; meta instruction
	scratch_store_b32 off, v56, s32 offset:292
	; meta instruction
	scratch_store_b32 off, v57, s32 offset:288
	; meta instruction
	scratch_store_b32 off, v58, s32 offset:284
	; meta instruction
	scratch_store_b32 off, v59, s32 offset:280
	; meta instruction
	scratch_store_b32 off, v60, s32 offset:276
	; meta instruction
	scratch_store_b32 off, v61, s32 offset:272
	; meta instruction
	scratch_store_b32 off, v62, s32 offset:268
	; meta instruction
	scratch_store_b32 off, v63, s32 offset:264
	; meta instruction
	scratch_store_b32 off, v72, s32 offset:260
	; meta instruction
	scratch_store_b32 off, v73, s32 offset:256
	; meta instruction
	scratch_store_b32 off, v74, s32 offset:252
	; meta instruction
	scratch_store_b32 off, v75, s32 offset:248
	; meta instruction
	scratch_store_b32 off, v76, s32 offset:244
	; meta instruction
	scratch_store_b32 off, v77, s32 offset:240
	; meta instruction
	scratch_store_b32 off, v78, s32 offset:236
	; meta instruction
	scratch_store_b32 off, v79, s32 offset:232
	; meta instruction
	scratch_store_b32 off, v88, s32 offset:228
	; meta instruction
	scratch_store_b32 off, v89, s32 offset:224
	; meta instruction
	scratch_store_b32 off, v90, s32 offset:220
	; meta instruction
	scratch_store_b32 off, v91, s32 offset:216
	; meta instruction
	scratch_store_b32 off, v92, s32 offset:212
	; meta instruction
	scratch_store_b32 off, v93, s32 offset:208
	; meta instruction
	scratch_store_b32 off, v94, s32 offset:204
	; meta instruction
	scratch_store_b32 off, v95, s32 offset:200
	s_clause 0x1f
	scratch_store_b32 off, v104, s32 offset:196
	; meta instruction
	scratch_store_b32 off, v105, s32 offset:192
	; meta instruction
	scratch_store_b32 off, v106, s32 offset:188
	; meta instruction
	scratch_store_b32 off, v107, s32 offset:184
	; meta instruction
	scratch_store_b32 off, v108, s32 offset:180
	; meta instruction
	scratch_store_b32 off, v109, s32 offset:176
	; meta instruction
	scratch_store_b32 off, v110, s32 offset:172
	; meta instruction
	scratch_store_b32 off, v111, s32 offset:168
	; meta instruction
	scratch_store_b32 off, v120, s32 offset:164
	; meta instruction
	scratch_store_b32 off, v121, s32 offset:160
	; meta instruction
	scratch_store_b32 off, v122, s32 offset:156
	; meta instruction
	scratch_store_b32 off, v123, s32 offset:152
	; meta instruction
	scratch_store_b32 off, v124, s32 offset:148
	; meta instruction
	scratch_store_b32 off, v125, s32 offset:144
	; meta instruction
	scratch_store_b32 off, v126, s32 offset:140
	; meta instruction
	scratch_store_b32 off, v127, s32 offset:136
	; meta instruction
	scratch_store_b32 off, v136, s32 offset:132
	; meta instruction
	scratch_store_b32 off, v137, s32 offset:128
	; meta instruction
	scratch_store_b32 off, v138, s32 offset:124
	; meta instruction
	scratch_store_b32 off, v139, s32 offset:120
	; meta instruction
	scratch_store_b32 off, v140, s32 offset:116
	; meta instruction
	scratch_store_b32 off, v141, s32 offset:112
	; meta instruction
	scratch_store_b32 off, v142, s32 offset:108
	; meta instruction
	scratch_store_b32 off, v143, s32 offset:104
	; meta instruction
	scratch_store_b32 off, v152, s32 offset:100
	; meta instruction
	scratch_store_b32 off, v153, s32 offset:96
	; meta instruction
	scratch_store_b32 off, v154, s32 offset:92
	; meta instruction
	scratch_store_b32 off, v155, s32 offset:88
	; meta instruction
	scratch_store_b32 off, v156, s32 offset:84
	; meta instruction
	scratch_store_b32 off, v157, s32 offset:80
	; meta instruction
	scratch_store_b32 off, v158, s32 offset:76
	; meta instruction
	scratch_store_b32 off, v159, s32 offset:72
	s_clause 0xf
	scratch_store_b32 off, v168, s32 offset:68
	; meta instruction
	scratch_store_b32 off, v169, s32 offset:64
	; meta instruction
	;; [unrolled: 2-line block ×15, first 2 shown]
	scratch_store_b32 off, v191, s32 offset:8
	s_mov_b32 s16, s13
	s_ashr_i32 s17, s13, 31
	s_mov_b32 s10, s15
	s_lshl_b64 s[0:1], s[16:17], 2
	s_lshl_b32 s15, s14, 9
	v_add_co_u32 v16, vcc_lo, v16, s0
	v_add_co_ci_u32_e32 v17, vcc_lo, s1, v17, vcc_lo
	s_mov_b32 s17, exec_lo
	flat_load_b32 v38, v[16:17]
	s_clause 0x1
	scratch_load_b32 v32, off, s32 offset:4
	scratch_load_b32 v33, off, s32
	s_waitcnt vmcnt(2) lgkmcnt(0)
	v_cmpx_lt_i32_e64 s15, v38
	s_cbranch_execz .LBB324_2166
; %bb.1:
	v_sub_nc_u32_e32 v16, 0, v12
	s_clause 0x1
	s_load_b32 s0, s[8:9], 0x10
	s_load_b32 s1, s[8:9], 0x0
	v_mov_b32_e32 v65, 0
	v_max_i32_e32 v16, v12, v16
	s_delay_alu instid0(VALU_DEP_1) | instskip(SKIP_1) | instid1(VALU_DEP_2)
	v_cvt_f32_u32_e32 v17, v16
	v_sub_nc_u32_e32 v34, 0, v16
	v_rcp_iflag_f32_e32 v17, v17
	s_waitcnt lgkmcnt(0)
	s_lshr_b32 s0, s0, 16
	s_delay_alu instid0(SALU_CYCLE_1) | instskip(SKIP_3) | instid1(SALU_CYCLE_1)
	s_cmp_lg_u32 s0, 0
	s_waitcnt_depctr 0xfff
	v_mul_f32_e32 v17, 0x4f7ffffe, v17
	s_cselect_b32 s0, -1, 0
	s_cmp_lg_u32 s0, 0
	s_delay_alu instid0(VALU_DEP_1) | instskip(SKIP_3) | instid1(VALU_DEP_1)
	v_cvt_u32_f32_e32 v17, v17
	s_addc_u32 s5, s1, 0
	s_abs_i32 s1, s12
	s_abs_i32 s0, s5
	v_mul_lo_u32 v34, v34, v17
	s_delay_alu instid0(VALU_DEP_1) | instskip(NEXT) | instid1(VALU_DEP_1)
	v_mul_hi_u32 v34, v17, v34
	v_add_nc_u32_e32 v17, v17, v34
	s_delay_alu instid0(VALU_DEP_1) | instskip(NEXT) | instid1(VALU_DEP_1)
	v_mul_hi_u32 v17, s0, v17
	v_mul_lo_u32 v34, v17, v16
	v_add_nc_u32_e32 v35, 1, v17
	s_delay_alu instid0(VALU_DEP_2) | instskip(SKIP_1) | instid1(VALU_DEP_1)
	v_sub_nc_u32_e32 v34, s0, v34
	s_mov_b32 s0, exec_lo
	v_sub_nc_u32_e32 v36, v34, v16
	v_cmp_ge_u32_e32 vcc_lo, v34, v16
	s_delay_alu instid0(VALU_DEP_2) | instskip(SKIP_1) | instid1(VALU_DEP_2)
	v_dual_cndmask_b32 v17, v17, v35 :: v_dual_cndmask_b32 v34, v34, v36
	v_xor_b32_e32 v35, s5, v12
	v_add_nc_u32_e32 v36, 1, v17
	s_delay_alu instid0(VALU_DEP_3) | instskip(NEXT) | instid1(VALU_DEP_3)
	v_cmp_ge_u32_e32 vcc_lo, v34, v16
	v_ashrrev_i32_e32 v35, 31, v35
	s_delay_alu instid0(VALU_DEP_3) | instskip(NEXT) | instid1(VALU_DEP_1)
	v_cndmask_b32_e32 v16, v17, v36, vcc_lo
	v_xor_b32_e32 v16, v16, v35
	s_delay_alu instid0(VALU_DEP_1) | instskip(NEXT) | instid1(VALU_DEP_1)
	v_sub_nc_u32_e32 v35, v16, v35
	v_sub_nc_u32_e32 v16, 0, v35
	s_delay_alu instid0(VALU_DEP_1) | instskip(NEXT) | instid1(VALU_DEP_1)
	v_max_i32_e32 v34, v35, v16
	v_cvt_f32_u32_e32 v16, v34
	v_sub_nc_u32_e32 v17, 0, v34
	s_delay_alu instid0(VALU_DEP_2) | instskip(SKIP_2) | instid1(VALU_DEP_1)
	v_rcp_iflag_f32_e32 v16, v16
	s_waitcnt_depctr 0xfff
	v_mul_f32_e32 v16, 0x4f7ffffe, v16
	v_cvt_u32_f32_e32 v16, v16
	s_delay_alu instid0(VALU_DEP_1) | instskip(NEXT) | instid1(VALU_DEP_1)
	v_mul_lo_u32 v17, v17, v16
	v_mul_hi_u32 v17, v16, v17
	s_delay_alu instid0(VALU_DEP_1) | instskip(NEXT) | instid1(VALU_DEP_1)
	v_add_nc_u32_e32 v36, v16, v17
	v_mad_u64_u32 v[16:17], null, s1, v36, 0
	v_cmpx_ne_u64_e32 0, v[19:20]
	s_cbranch_execz .LBB324_3
; %bb.2:
	s_ashr_i32 s13, s12, 31
	s_delay_alu instid0(SALU_CYCLE_1) | instskip(NEXT) | instid1(SALU_CYCLE_1)
	s_lshl_b64 s[2:3], s[12:13], 2
	v_add_co_u32 v19, vcc_lo, v19, s2
	v_add_co_ci_u32_e32 v20, vcc_lo, s3, v20, vcc_lo
	flat_load_b32 v65, v[19:20]
.LBB324_3:
	s_or_b32 exec_lo, exec_lo, s0
	v_and_b32_e32 v36, 0x3ff, v31
	v_ashrrev_i32_e32 v16, 31, v35
	s_ashr_i32 s2, s12, 31
	s_lshl_b32 s6, s12, 8
	s_delay_alu instid0(VALU_DEP_2) | instskip(SKIP_3) | instid1(VALU_DEP_2)
	v_lshrrev_b32_e32 v35, 1, v36
	v_and_b32_e32 v37, 1, v36
	v_cmp_gt_u32_e64 s0, 64, v36
	v_lshlrev_b32_e32 v53, 3, v36
	s_and_saveexec_b32 s3, s0
	s_cbranch_execz .LBB324_5
; %bb.4:
	v_mul_lo_u32 v19, s16, v21
	s_ashr_i32 s7, s6, 31
	s_delay_alu instid0(SALU_CYCLE_1) | instskip(NEXT) | instid1(VALU_DEP_1)
	s_lshl_b64 s[18:19], s[6:7], 1
	v_ashrrev_i32_e32 v20, 31, v19
	s_delay_alu instid0(VALU_DEP_1) | instskip(NEXT) | instid1(VALU_DEP_1)
	v_lshlrev_b64 v[19:20], 1, v[19:20]
	v_add_co_u32 v6, vcc_lo, v6, v19
	s_delay_alu instid0(VALU_DEP_2) | instskip(SKIP_1) | instid1(VALU_DEP_3)
	v_add_co_ci_u32_e32 v7, vcc_lo, v7, v20, vcc_lo
	v_lshlrev_b32_e32 v19, 3, v35
	v_add_co_u32 v6, vcc_lo, v6, s18
	s_delay_alu instid0(VALU_DEP_3) | instskip(NEXT) | instid1(VALU_DEP_3)
	v_add_co_ci_u32_e32 v7, vcc_lo, s19, v7, vcc_lo
	v_lshl_add_u32 v19, v37, 8, v19
	s_delay_alu instid0(VALU_DEP_3) | instskip(NEXT) | instid1(VALU_DEP_3)
	v_add_co_u32 v6, vcc_lo, v6, v53
	v_add_co_ci_u32_e32 v7, vcc_lo, 0, v7, vcc_lo
	flat_load_b64 v[6:7], v[6:7]
	s_waitcnt vmcnt(0) lgkmcnt(0)
	ds_store_b64 v19, v[6:7]
.LBB324_5:
	s_or_b32 exec_lo, exec_lo, s3
	s_waitcnt vmcnt(0)
	v_sub_nc_u32_e32 v6, 0, v33
	v_mul_lo_u32 v7, v17, v34
	v_add_nc_u32_e32 v20, 1, v17
	v_xor_b32_e32 v48, s2, v16
	s_waitcnt lgkmcnt(0)
	s_waitcnt_vscnt null, 0x0
	v_max_i32_e32 v39, v33, v6
	s_barrier
	buffer_gl0_inv
	v_sub_nc_u32_e32 v19, s1, v7
	v_cvt_f32_u32_e32 v6, v39
	v_sub_nc_u32_e32 v7, 0, v39
	s_mov_b32 s1, exec_lo
	s_delay_alu instid0(VALU_DEP_3) | instskip(NEXT) | instid1(VALU_DEP_3)
	v_cmp_ge_u32_e32 vcc_lo, v19, v34
	v_rcp_iflag_f32_e32 v6, v6
	v_sub_nc_u32_e32 v21, v19, v34
	v_cndmask_b32_e32 v17, v17, v20, vcc_lo
	s_delay_alu instid0(VALU_DEP_2) | instskip(NEXT) | instid1(VALU_DEP_2)
	v_cndmask_b32_e32 v19, v19, v21, vcc_lo
	v_add_nc_u32_e32 v20, 1, v17
	s_waitcnt_depctr 0xfff
	v_mul_f32_e32 v6, 0x4f7ffffe, v6
	v_cmp_ge_u32_e32 vcc_lo, v19, v34
	s_delay_alu instid0(VALU_DEP_2) | instskip(SKIP_1) | instid1(VALU_DEP_2)
	v_cvt_u32_f32_e32 v6, v6
	v_cndmask_b32_e32 v16, v17, v20, vcc_lo
	v_mul_lo_u32 v31, v7, v6
	v_add_nc_u32_e32 v7, -1, v38
	s_delay_alu instid0(VALU_DEP_2) | instskip(NEXT) | instid1(VALU_DEP_2)
	v_mul_hi_u32 v21, v6, v31
	v_sub_nc_u32_e32 v31, 0, v7
	s_delay_alu instid0(VALU_DEP_1) | instskip(NEXT) | instid1(VALU_DEP_3)
	v_max_i32_e32 v19, v7, v31
	v_add_nc_u32_e32 v49, v6, v21
	v_xor_b32_e32 v6, v16, v48
	s_delay_alu instid0(VALU_DEP_2) | instskip(NEXT) | instid1(VALU_DEP_2)
	v_mad_u64_u32 v[16:17], null, v19, v49, 0
	v_sub_nc_u32_e32 v16, v6, v48
                                        ; implicit-def: $vgpr6
	v_cmpx_gt_i32_e32 0, v32
	s_xor_b32 s1, exec_lo, s1
; %bb.6:
	s_delay_alu instid0(VALU_DEP_2) | instskip(NEXT) | instid1(VALU_DEP_1)
	v_mad_u64_u32 v[20:21], null, v28, v12, v[16:17]
                                        ; implicit-def: $vgpr28
	v_mul_lo_u32 v6, v20, v32
                                        ; implicit-def: $vgpr32
	s_delay_alu instid0(VALU_DEP_1)
	v_sub_nc_u32_e32 v6, 1, v6
; %bb.7:
	s_or_saveexec_b32 s1, s1
	v_ashrrev_i32_e32 v12, 31, v7
	v_ashrrev_i32_e32 v50, 31, v33
	s_xor_b32 exec_lo, exec_lo, s1
; %bb.8:
	v_mad_u64_u32 v[20:21], null, s5, v28, s[12:13]
	s_delay_alu instid0(VALU_DEP_1)
	v_mad_u64_u32 v[6:7], null, v20, v32, 1
; %bb.9:
	s_or_b32 exec_lo, exec_lo, s1
	v_mul_lo_u32 v7, v17, v39
	v_xor_b32_e32 v31, v12, v50
	s_clause 0x1
	s_load_b32 s18, s[8:9], 0x14
	s_load_b32 s7, s[8:9], 0x8
	v_mul_lo_u32 v18, s16, v18
	v_lshrrev_b32_e32 v48, 5, v36
	s_lshl_b32 s13, s14, 5
	v_sub_nc_u32_e32 v55, 0, v30
	s_add_i32 s1, s13, 32
	v_sub_nc_u32_e32 v7, v19, v7
	v_add_nc_u32_e32 v19, 1, v17
	v_mbcnt_lo_u32_b32 v66, -1, 0
	s_delay_alu instid0(VALU_DEP_3) | instskip(SKIP_1) | instid1(VALU_DEP_4)
	v_sub_nc_u32_e32 v28, v7, v39
	v_cmp_ge_u32_e32 vcc_lo, v7, v39
	v_dual_cndmask_b32 v17, v17, v19 :: v_dual_add_nc_u32 v20, 15, v38
	s_delay_alu instid0(VALU_DEP_1) | instskip(NEXT) | instid1(VALU_DEP_4)
	v_ashrrev_i32_e32 v21, 31, v20
	v_cndmask_b32_e32 v7, v7, v28, vcc_lo
	s_delay_alu instid0(VALU_DEP_3) | instskip(NEXT) | instid1(VALU_DEP_3)
	v_add_nc_u32_e32 v19, 1, v17
	v_lshrrev_b32_e32 v12, 28, v21
	s_delay_alu instid0(VALU_DEP_3) | instskip(NEXT) | instid1(VALU_DEP_2)
	v_cmp_ge_u32_e32 vcc_lo, v7, v39
	v_dual_mov_b32 v67, 0xff7fffff :: v_dual_add_nc_u32 v20, v20, v12
	s_delay_alu instid0(VALU_DEP_4)
	v_cndmask_b32_e32 v7, v17, v19, vcc_lo
	v_mul_lo_u32 v12, v16, v23
	v_ashrrev_i32_e32 v19, 31, v18
	v_or_b32_e32 v16, s13, v48
	v_ashrrev_i32_e32 v54, 4, v20
	v_xor_b32_e32 v7, v7, v31
	v_lshl_add_u32 v23, v48, 4, s15
	v_lshlrev_b64 v[18:19], 2, v[18:19]
	v_ashrrev_i32_e32 v17, 31, v16
	v_min_i32_e32 v51, s1, v54
	v_sub_nc_u32_e32 v7, v7, v31
	v_ashrrev_i32_e32 v64, 31, v12
	s_delay_alu instid0(VALU_DEP_3) | instskip(NEXT) | instid1(VALU_DEP_3)
	v_cmp_lt_i32_e64 s1, v16, v51
	v_sub_nc_u32_e32 v52, v7, v29
	s_delay_alu instid0(VALU_DEP_2)
	s_and_saveexec_b32 s19, s1
	s_cbranch_execz .LBB324_1043
; %bb.10:
	v_max_i32_e32 v68, v30, v55
	s_ashr_i32 s11, s10, 31
	s_getpc_b64 s[8:9]
	s_add_u32 s8, s8, llvm.amdgcn.dynlds.offset.table@rel32@lo+4
	s_addc_u32 s9, s9, llvm.amdgcn.dynlds.offset.table@rel32@hi+12
	s_lshl_b64 s[20:21], s[10:11], 2
	v_bfe_u32 v69, v36, 1, 4
	v_cvt_f32_u32_e32 v7, v68
	v_sub_nc_u32_e32 v31, 0, v68
	s_add_u32 s8, s20, s8
	s_addc_u32 s9, s21, s9
	v_lshlrev_b64 v[20:21], 2, v[16:17]
	v_rcp_iflag_f32_e32 v7, v7
	v_lshlrev_b32_e32 v70, 8, v37
	s_load_b32 s11, s[8:9], 0x0
	v_add_co_u32 v28, s2, v8, v12
	v_lshlrev_b32_e32 v32, 4, v69
	v_add_co_ci_u32_e64 v29, s2, v9, v64, s2
	v_add_co_u32 v83, s3, v18, v20
	s_waitcnt_depctr 0xfff
	v_mul_f32_e32 v7, 0x4f7ffffe, v7
	v_add_co_ci_u32_e64 v84, s3, v19, v21, s3
	v_lshlrev_b32_e32 v33, 2, v69
	v_sub_nc_u32_e32 v34, v69, v38
	s_delay_alu instid0(VALU_DEP_4) | instskip(SKIP_1) | instid1(VALU_DEP_1)
	v_cvt_u32_f32_e32 v7, v7
	v_add_co_u32 v20, s3, v28, v32
	v_add_co_ci_u32_e64 v21, s3, 0, v29, s3
	s_delay_alu instid0(VALU_DEP_3)
	v_mul_lo_u32 v31, v31, v7
	v_add_co_u32 v28, s3, v14, v83
	v_cmp_eq_u32_e32 vcc_lo, 0, v37
	v_dual_mov_b32 v8, 0 :: v_dual_lshlrev_b32 v9, 2, v37
	v_cmp_neq_f32_e64 s2, 0, v65
	v_lshl_add_u32 v71, v48, 4, s15
	v_mul_hi_u32 v31, v7, v31
	v_dual_mov_b32 v80, 0xff7fffff :: v_dual_mov_b32 v67, 0xff7fffff
	v_add_nc_u32_e32 v82, 1, v34
	v_add_co_ci_u32_e64 v29, s3, v15, v84, s3
	v_mov_b32_e32 v84, v16
	v_lshl_or_b32 v81, v48, 6, v33
	v_add_nc_u32_e32 v83, v7, v31
	s_mov_b32 s20, 0
	s_branch .LBB324_13
.LBB324_11:                             ;   in Loop: Header=BB324_13 Depth=1
	s_or_b32 exec_lo, exec_lo, s21
.LBB324_12:                             ;   in Loop: Header=BB324_13 Depth=1
	s_delay_alu instid0(SALU_CYCLE_1) | instskip(SKIP_2) | instid1(VALU_DEP_1)
	s_or_b32 exec_lo, exec_lo, s4
	v_add_nc_u32_e32 v84, 4, v84
	v_add_co_u32 v28, s4, v28, 16
	v_add_co_ci_u32_e64 v29, s4, 0, v29, s4
	s_delay_alu instid0(VALU_DEP_3) | instskip(SKIP_2) | instid1(VALU_DEP_3)
	v_cmp_ge_i32_e64 s3, v84, v51
	v_add_nc_u32_e32 v71, 64, v71
	v_add_nc_u32_e32 v81, 0x100, v81
	s_or_b32 s20, s3, s20
	s_delay_alu instid0(SALU_CYCLE_1)
	s_and_not1_b32 exec_lo, exec_lo, s20
	s_cbranch_execz .LBB324_1042
.LBB324_13:                             ; =>This Inner Loop Header: Depth=1
	v_sub_nc_u32_e32 v7, 0, v71
	s_delay_alu instid0(VALU_DEP_1) | instskip(SKIP_1) | instid1(VALU_DEP_1)
	v_max_i32_e32 v7, v71, v7
	s_waitcnt lgkmcnt(0)
	v_mul_hi_u32 v31, v7, v49
	s_delay_alu instid0(VALU_DEP_1) | instskip(NEXT) | instid1(VALU_DEP_1)
	v_mul_lo_u32 v32, v31, v39
	v_sub_nc_u32_e32 v7, v7, v32
	v_add_nc_u32_e32 v32, 1, v31
	s_delay_alu instid0(VALU_DEP_2) | instskip(SKIP_1) | instid1(VALU_DEP_1)
	v_sub_nc_u32_e32 v33, v7, v39
	v_cmp_ge_u32_e64 s3, v7, v39
	v_cndmask_b32_e64 v31, v31, v32, s3
	s_delay_alu instid0(VALU_DEP_3) | instskip(SKIP_1) | instid1(VALU_DEP_3)
	v_cndmask_b32_e64 v7, v7, v33, s3
	v_ashrrev_i32_e32 v32, 31, v71
	v_add_nc_u32_e32 v33, 1, v31
	s_delay_alu instid0(VALU_DEP_3) | instskip(NEXT) | instid1(VALU_DEP_3)
	v_cmp_ge_u32_e64 s3, v7, v39
	v_xor_b32_e32 v32, v32, v50
	s_delay_alu instid0(VALU_DEP_2) | instskip(NEXT) | instid1(VALU_DEP_1)
	v_cndmask_b32_e64 v7, v31, v33, s3
	v_xor_b32_e32 v7, v7, v32
	s_delay_alu instid0(VALU_DEP_1) | instskip(NEXT) | instid1(VALU_DEP_1)
	v_sub_nc_u32_e32 v7, v7, v32
	v_add_nc_u32_e32 v31, v7, v6
	v_cmp_le_i32_e64 s4, v7, v52
	s_delay_alu instid0(VALU_DEP_2) | instskip(NEXT) | instid1(VALU_DEP_1)
	v_sub_nc_u32_e32 v32, 0, v31
	v_max_i32_e32 v32, v31, v32
	v_ashrrev_i32_e32 v31, 31, v31
	s_delay_alu instid0(VALU_DEP_2) | instskip(NEXT) | instid1(VALU_DEP_1)
	v_mul_hi_u32 v33, v32, v83
	v_mul_lo_u32 v33, v33, v68
	s_delay_alu instid0(VALU_DEP_1) | instskip(NEXT) | instid1(VALU_DEP_1)
	v_sub_nc_u32_e32 v32, v32, v33
	v_sub_nc_u32_e32 v33, v32, v68
	v_cmp_ge_u32_e64 s3, v32, v68
	s_delay_alu instid0(VALU_DEP_1) | instskip(NEXT) | instid1(VALU_DEP_1)
	v_cndmask_b32_e64 v32, v32, v33, s3
	v_sub_nc_u32_e32 v33, v32, v68
	v_cmp_ge_u32_e64 s3, v32, v68
	s_delay_alu instid0(VALU_DEP_1) | instskip(NEXT) | instid1(VALU_DEP_1)
	v_cndmask_b32_e64 v32, v32, v33, s3
	v_xor_b32_e32 v32, v32, v31
	s_delay_alu instid0(VALU_DEP_1) | instskip(NEXT) | instid1(VALU_DEP_1)
	v_sub_nc_u32_e32 v31, v32, v31
	v_cmp_ne_u32_e64 s3, 0, v31
	s_delay_alu instid0(VALU_DEP_1) | instskip(NEXT) | instid1(SALU_CYCLE_1)
	s_and_b32 s3, s3, s4
	s_and_b32 s21, vcc_lo, s3
	s_delay_alu instid0(SALU_CYCLE_1)
	s_and_saveexec_b32 s4, s21
	s_cbranch_execz .LBB324_15
; %bb.14:                               ;   in Loop: Header=BB324_13 Depth=1
	s_waitcnt lgkmcnt(0)
	v_add_nc_u32_e32 v7, s11, v81
	ds_store_b32 v7, v80
.LBB324_15:                             ;   in Loop: Header=BB324_13 Depth=1
	s_or_b32 exec_lo, exec_lo, s4
	s_xor_b32 s3, s3, -1
	s_delay_alu instid0(SALU_CYCLE_1)
	s_and_saveexec_b32 s4, s3
	s_cbranch_execz .LBB324_12
; %bb.16:                               ;   in Loop: Header=BB324_13 Depth=1
	flat_load_b32 v7, v[28:29]
	v_mov_b32_e32 v87, 0
	s_mov_b32 s21, exec_lo
	v_mov_b32_e32 v86, 0
	s_waitcnt vmcnt(0) lgkmcnt(0)
	v_mad_i64_i32 v[31:32], null, v7, v22, v[20:21]
	s_delay_alu instid0(VALU_DEP_1) | instskip(NEXT) | instid1(VALU_DEP_1)
	v_add_co_u32 v31, s3, v31, v9
	v_add_co_ci_u32_e64 v32, s3, 0, v32, s3
	flat_load_b32 v98, v[31:32]
	flat_load_b32 v85, v[24:25]
	s_waitcnt vmcnt(1) lgkmcnt(1)
	v_and_b32_e32 v7, 0xff, v98
	s_delay_alu instid0(VALU_DEP_1)
	v_cmpx_ne_u16_e32 0, v7
	s_cbranch_execz .LBB324_24
; %bb.17:                               ;   in Loop: Header=BB324_13 Depth=1
	v_bfrev_b32_e32 v86, 1
	s_mov_b32 s22, exec_lo
	v_cmpx_ne_u16_e32 0x80, v7
	s_cbranch_execz .LBB324_23
; %bb.18:                               ;   in Loop: Header=BB324_13 Depth=1
	v_and_b32_e32 v33, 0x7f, v98
	v_mov_b32_e32 v86, 0x7fc02000
	s_mov_b32 s23, exec_lo
	s_delay_alu instid0(VALU_DEP_2)
	v_cmpx_ne_u32_e32 0x7f, v33
	s_cbranch_execz .LBB324_22
; %bb.19:                               ;   in Loop: Header=BB324_13 Depth=1
	v_and_b32_e32 v7, 7, v98
	v_lshrrev_b32_e32 v86, 3, v33
	v_cmp_gt_u32_e64 s3, 8, v33
	s_delay_alu instid0(VALU_DEP_3) | instskip(NEXT) | instid1(VALU_DEP_2)
	v_dual_mov_b32 v34, v8 :: v_dual_mov_b32 v33, v7
	s_and_saveexec_b32 s24, s3
; %bb.20:                               ;   in Loop: Header=BB324_13 Depth=1
	v_clz_i32_u32_e32 v33, v7
	s_delay_alu instid0(VALU_DEP_1) | instskip(NEXT) | instid1(VALU_DEP_1)
	v_min_u32_e32 v86, 32, v33
	v_subrev_nc_u32_e32 v33, 28, v86
	v_sub_nc_u32_e32 v86, 29, v86
	s_delay_alu instid0(VALU_DEP_2) | instskip(NEXT) | instid1(VALU_DEP_1)
	v_lshlrev_b64 v[33:34], v33, v[7:8]
	v_and_b32_e32 v33, 7, v33
; %bb.21:                               ;   in Loop: Header=BB324_13 Depth=1
	s_or_b32 exec_lo, exec_lo, s24
	v_lshlrev_b32_e32 v7, 8, v98
	v_lshl_add_u32 v34, v86, 10, 0x2000
	s_delay_alu instid0(VALU_DEP_1) | instskip(NEXT) | instid1(VALU_DEP_1)
	v_and_or_b32 v7, 0x8000, v7, v34
	v_lshl_or_b32 v7, v33, 7, v7
	s_delay_alu instid0(VALU_DEP_1)
	v_cvt_f32_f16_e32 v86, v7
.LBB324_22:                             ;   in Loop: Header=BB324_13 Depth=1
	s_or_b32 exec_lo, exec_lo, s23
.LBB324_23:                             ;   in Loop: Header=BB324_13 Depth=1
	s_delay_alu instid0(SALU_CYCLE_1)
	s_or_b32 exec_lo, exec_lo, s22
.LBB324_24:                             ;   in Loop: Header=BB324_13 Depth=1
	s_delay_alu instid0(SALU_CYCLE_1) | instskip(SKIP_2) | instid1(VALU_DEP_1)
	s_or_b32 exec_lo, exec_lo, s21
	v_lshrrev_b16 v7, 8, v98
	s_mov_b32 s21, exec_lo
	v_cmpx_ne_u16_e32 0, v7
	s_cbranch_execz .LBB324_32
; %bb.25:                               ;   in Loop: Header=BB324_13 Depth=1
	v_bfrev_b32_e32 v87, 1
	s_mov_b32 s22, exec_lo
	v_cmpx_ne_u16_e32 0x80, v7
	s_cbranch_execz .LBB324_31
; %bb.26:                               ;   in Loop: Header=BB324_13 Depth=1
	v_and_b32_e32 v96, 0xffff, v7
	v_mov_b32_e32 v87, 0x7fc02000
	s_mov_b32 s23, exec_lo
	s_delay_alu instid0(VALU_DEP_2) | instskip(NEXT) | instid1(VALU_DEP_1)
	v_and_b32_e32 v33, 0x7f, v96
	v_cmpx_ne_u32_e32 0x7f, v33
	s_cbranch_execz .LBB324_30
; %bb.27:                               ;   in Loop: Header=BB324_13 Depth=1
	v_and_b32_e32 v7, 7, v96
	v_lshrrev_b32_e32 v87, 3, v33
	v_cmp_gt_u32_e64 s3, 8, v33
	s_delay_alu instid0(VALU_DEP_3) | instskip(NEXT) | instid1(VALU_DEP_2)
	v_dual_mov_b32 v34, v8 :: v_dual_mov_b32 v33, v7
	s_and_saveexec_b32 s24, s3
; %bb.28:                               ;   in Loop: Header=BB324_13 Depth=1
	v_clz_i32_u32_e32 v33, v7
	s_delay_alu instid0(VALU_DEP_1) | instskip(NEXT) | instid1(VALU_DEP_1)
	v_min_u32_e32 v87, 32, v33
	v_subrev_nc_u32_e32 v33, 28, v87
	v_sub_nc_u32_e32 v87, 29, v87
	s_delay_alu instid0(VALU_DEP_2) | instskip(NEXT) | instid1(VALU_DEP_1)
	v_lshlrev_b64 v[33:34], v33, v[7:8]
	v_and_b32_e32 v33, 7, v33
; %bb.29:                               ;   in Loop: Header=BB324_13 Depth=1
	s_or_b32 exec_lo, exec_lo, s24
	v_lshlrev_b32_e32 v7, 8, v96
	v_lshl_add_u32 v34, v87, 10, 0x2000
	s_delay_alu instid0(VALU_DEP_1) | instskip(NEXT) | instid1(VALU_DEP_1)
	v_and_or_b32 v7, 0x8000, v7, v34
	v_lshl_or_b32 v7, v33, 7, v7
	s_delay_alu instid0(VALU_DEP_1)
	v_cvt_f32_f16_e32 v87, v7
.LBB324_30:                             ;   in Loop: Header=BB324_13 Depth=1
	s_or_b32 exec_lo, exec_lo, s23
.LBB324_31:                             ;   in Loop: Header=BB324_13 Depth=1
	s_delay_alu instid0(SALU_CYCLE_1)
	s_or_b32 exec_lo, exec_lo, s22
.LBB324_32:                             ;   in Loop: Header=BB324_13 Depth=1
	s_delay_alu instid0(SALU_CYCLE_1) | instskip(SKIP_3) | instid1(VALU_DEP_2)
	s_or_b32 exec_lo, exec_lo, s21
	v_lshrrev_b32_e32 v99, 16, v98
	v_mov_b32_e32 v97, 0
	s_mov_b32 s21, exec_lo
	v_dual_mov_b32 v96, 0 :: v_dual_and_b32 v7, 0xff, v99
	s_delay_alu instid0(VALU_DEP_1)
	v_cmpx_ne_u16_e32 0, v7
	s_cbranch_execz .LBB324_40
; %bb.33:                               ;   in Loop: Header=BB324_13 Depth=1
	v_bfrev_b32_e32 v97, 1
	s_mov_b32 s22, exec_lo
	v_cmpx_ne_u16_e32 0x80, v7
	s_cbranch_execz .LBB324_39
; %bb.34:                               ;   in Loop: Header=BB324_13 Depth=1
	v_bfe_u32 v33, v98, 16, 7
	v_mov_b32_e32 v97, 0x7fc02000
	s_mov_b32 s23, exec_lo
	s_delay_alu instid0(VALU_DEP_2)
	v_cmpx_ne_u32_e32 0x7f, v33
	s_cbranch_execz .LBB324_38
; %bb.35:                               ;   in Loop: Header=BB324_13 Depth=1
	v_and_b32_e32 v7, 7, v99
	v_lshrrev_b32_e32 v97, 3, v33
	v_cmp_gt_u32_e64 s3, 8, v33
	s_delay_alu instid0(VALU_DEP_3) | instskip(NEXT) | instid1(VALU_DEP_2)
	v_dual_mov_b32 v34, v8 :: v_dual_mov_b32 v33, v7
	s_and_saveexec_b32 s24, s3
; %bb.36:                               ;   in Loop: Header=BB324_13 Depth=1
	v_clz_i32_u32_e32 v33, v7
	s_delay_alu instid0(VALU_DEP_1) | instskip(NEXT) | instid1(VALU_DEP_1)
	v_min_u32_e32 v97, 32, v33
	v_subrev_nc_u32_e32 v33, 28, v97
	v_sub_nc_u32_e32 v97, 29, v97
	s_delay_alu instid0(VALU_DEP_2) | instskip(NEXT) | instid1(VALU_DEP_1)
	v_lshlrev_b64 v[33:34], v33, v[7:8]
	v_and_b32_e32 v33, 7, v33
; %bb.37:                               ;   in Loop: Header=BB324_13 Depth=1
	s_or_b32 exec_lo, exec_lo, s24
	v_lshlrev_b32_e32 v7, 8, v99
	v_lshl_add_u32 v34, v97, 10, 0x2000
	s_delay_alu instid0(VALU_DEP_1) | instskip(NEXT) | instid1(VALU_DEP_1)
	v_and_or_b32 v7, 0x8000, v7, v34
	v_lshl_or_b32 v7, v33, 7, v7
	s_delay_alu instid0(VALU_DEP_1)
	v_cvt_f32_f16_e32 v97, v7
.LBB324_38:                             ;   in Loop: Header=BB324_13 Depth=1
	s_or_b32 exec_lo, exec_lo, s23
.LBB324_39:                             ;   in Loop: Header=BB324_13 Depth=1
	s_delay_alu instid0(SALU_CYCLE_1)
	s_or_b32 exec_lo, exec_lo, s22
.LBB324_40:                             ;   in Loop: Header=BB324_13 Depth=1
	s_delay_alu instid0(SALU_CYCLE_1) | instskip(NEXT) | instid1(SALU_CYCLE_1)
	s_or_b32 exec_lo, exec_lo, s21
	s_mov_b32 s21, exec_lo
	v_cmpx_lt_u32_e32 0xffffff, v98
	s_cbranch_execz .LBB324_48
; %bb.41:                               ;   in Loop: Header=BB324_13 Depth=1
	v_lshrrev_b32_e32 v98, 24, v98
	v_bfrev_b32_e32 v96, 1
	s_mov_b32 s22, exec_lo
	s_delay_alu instid0(VALU_DEP_2)
	v_cmpx_ne_u32_e32 0x80, v98
	s_cbranch_execz .LBB324_47
; %bb.42:                               ;   in Loop: Header=BB324_13 Depth=1
	v_and_b32_e32 v33, 0x7f, v98
	v_mov_b32_e32 v96, 0x7fc02000
	s_mov_b32 s23, exec_lo
	s_delay_alu instid0(VALU_DEP_2)
	v_cmpx_ne_u32_e32 0x7f, v33
	s_cbranch_execz .LBB324_46
; %bb.43:                               ;   in Loop: Header=BB324_13 Depth=1
	v_and_b32_e32 v7, 7, v98
	v_lshrrev_b32_e32 v96, 3, v33
	v_cmp_gt_u32_e64 s3, 8, v33
	s_delay_alu instid0(VALU_DEP_3) | instskip(NEXT) | instid1(VALU_DEP_2)
	v_dual_mov_b32 v34, v8 :: v_dual_mov_b32 v33, v7
	s_and_saveexec_b32 s24, s3
; %bb.44:                               ;   in Loop: Header=BB324_13 Depth=1
	v_clz_i32_u32_e32 v33, v7
	s_delay_alu instid0(VALU_DEP_1) | instskip(NEXT) | instid1(VALU_DEP_1)
	v_min_u32_e32 v96, 32, v33
	v_subrev_nc_u32_e32 v33, 28, v96
	v_sub_nc_u32_e32 v96, 29, v96
	s_delay_alu instid0(VALU_DEP_2) | instskip(NEXT) | instid1(VALU_DEP_1)
	v_lshlrev_b64 v[33:34], v33, v[7:8]
	v_and_b32_e32 v33, 7, v33
; %bb.45:                               ;   in Loop: Header=BB324_13 Depth=1
	s_or_b32 exec_lo, exec_lo, s24
	v_lshlrev_b32_e32 v7, 8, v98
	v_lshl_add_u32 v34, v96, 10, 0x2000
	s_delay_alu instid0(VALU_DEP_1) | instskip(NEXT) | instid1(VALU_DEP_1)
	v_and_or_b32 v7, 0x8000, v7, v34
	v_lshl_or_b32 v7, v33, 7, v7
	s_delay_alu instid0(VALU_DEP_1)
	v_cvt_f32_f16_e32 v96, v7
.LBB324_46:                             ;   in Loop: Header=BB324_13 Depth=1
	s_or_b32 exec_lo, exec_lo, s23
.LBB324_47:                             ;   in Loop: Header=BB324_13 Depth=1
	s_delay_alu instid0(SALU_CYCLE_1)
	s_or_b32 exec_lo, exec_lo, s22
.LBB324_48:                             ;   in Loop: Header=BB324_13 Depth=1
	s_delay_alu instid0(SALU_CYCLE_1)
	s_or_b32 exec_lo, exec_lo, s21
	flat_load_b32 v102, v[31:32] offset:8
	v_mov_b32_e32 v99, 0
	s_mov_b32 s21, exec_lo
	s_waitcnt vmcnt(0) lgkmcnt(0)
	v_dual_mov_b32 v98, 0 :: v_dual_and_b32 v7, 0xff, v102
	s_delay_alu instid0(VALU_DEP_1)
	v_cmpx_ne_u16_e32 0, v7
	s_cbranch_execz .LBB324_56
; %bb.49:                               ;   in Loop: Header=BB324_13 Depth=1
	v_bfrev_b32_e32 v98, 1
	s_mov_b32 s22, exec_lo
	v_cmpx_ne_u16_e32 0x80, v7
	s_cbranch_execz .LBB324_55
; %bb.50:                               ;   in Loop: Header=BB324_13 Depth=1
	v_and_b32_e32 v33, 0x7f, v102
	v_mov_b32_e32 v98, 0x7fc02000
	s_mov_b32 s23, exec_lo
	s_delay_alu instid0(VALU_DEP_2)
	v_cmpx_ne_u32_e32 0x7f, v33
	s_cbranch_execz .LBB324_54
; %bb.51:                               ;   in Loop: Header=BB324_13 Depth=1
	v_and_b32_e32 v7, 7, v102
	v_lshrrev_b32_e32 v98, 3, v33
	v_cmp_gt_u32_e64 s3, 8, v33
	s_delay_alu instid0(VALU_DEP_3) | instskip(NEXT) | instid1(VALU_DEP_2)
	v_dual_mov_b32 v34, v8 :: v_dual_mov_b32 v33, v7
	s_and_saveexec_b32 s24, s3
; %bb.52:                               ;   in Loop: Header=BB324_13 Depth=1
	v_clz_i32_u32_e32 v33, v7
	s_delay_alu instid0(VALU_DEP_1) | instskip(NEXT) | instid1(VALU_DEP_1)
	v_min_u32_e32 v98, 32, v33
	v_subrev_nc_u32_e32 v33, 28, v98
	v_sub_nc_u32_e32 v98, 29, v98
	s_delay_alu instid0(VALU_DEP_2) | instskip(NEXT) | instid1(VALU_DEP_1)
	v_lshlrev_b64 v[33:34], v33, v[7:8]
	v_and_b32_e32 v33, 7, v33
; %bb.53:                               ;   in Loop: Header=BB324_13 Depth=1
	s_or_b32 exec_lo, exec_lo, s24
	v_lshlrev_b32_e32 v7, 8, v102
	v_lshl_add_u32 v34, v98, 10, 0x2000
	s_delay_alu instid0(VALU_DEP_1) | instskip(NEXT) | instid1(VALU_DEP_1)
	v_and_or_b32 v7, 0x8000, v7, v34
	v_lshl_or_b32 v7, v33, 7, v7
	s_delay_alu instid0(VALU_DEP_1)
	v_cvt_f32_f16_e32 v98, v7
.LBB324_54:                             ;   in Loop: Header=BB324_13 Depth=1
	s_or_b32 exec_lo, exec_lo, s23
.LBB324_55:                             ;   in Loop: Header=BB324_13 Depth=1
	s_delay_alu instid0(SALU_CYCLE_1)
	s_or_b32 exec_lo, exec_lo, s22
.LBB324_56:                             ;   in Loop: Header=BB324_13 Depth=1
	s_delay_alu instid0(SALU_CYCLE_1) | instskip(SKIP_2) | instid1(VALU_DEP_1)
	s_or_b32 exec_lo, exec_lo, s21
	v_lshrrev_b16 v7, 8, v102
	s_mov_b32 s21, exec_lo
	v_cmpx_ne_u16_e32 0, v7
	s_cbranch_execz .LBB324_64
; %bb.57:                               ;   in Loop: Header=BB324_13 Depth=1
	v_bfrev_b32_e32 v99, 1
	s_mov_b32 s22, exec_lo
	v_cmpx_ne_u16_e32 0x80, v7
	s_cbranch_execz .LBB324_63
; %bb.58:                               ;   in Loop: Header=BB324_13 Depth=1
	v_and_b32_e32 v100, 0xffff, v7
	v_mov_b32_e32 v99, 0x7fc02000
	s_mov_b32 s23, exec_lo
	s_delay_alu instid0(VALU_DEP_2) | instskip(NEXT) | instid1(VALU_DEP_1)
	v_and_b32_e32 v33, 0x7f, v100
	v_cmpx_ne_u32_e32 0x7f, v33
	s_cbranch_execz .LBB324_62
; %bb.59:                               ;   in Loop: Header=BB324_13 Depth=1
	v_and_b32_e32 v7, 7, v100
	v_lshrrev_b32_e32 v99, 3, v33
	v_cmp_gt_u32_e64 s3, 8, v33
	s_delay_alu instid0(VALU_DEP_3) | instskip(NEXT) | instid1(VALU_DEP_2)
	v_dual_mov_b32 v34, v8 :: v_dual_mov_b32 v33, v7
	s_and_saveexec_b32 s24, s3
; %bb.60:                               ;   in Loop: Header=BB324_13 Depth=1
	v_clz_i32_u32_e32 v33, v7
	s_delay_alu instid0(VALU_DEP_1) | instskip(NEXT) | instid1(VALU_DEP_1)
	v_min_u32_e32 v99, 32, v33
	v_subrev_nc_u32_e32 v33, 28, v99
	v_sub_nc_u32_e32 v99, 29, v99
	s_delay_alu instid0(VALU_DEP_2) | instskip(NEXT) | instid1(VALU_DEP_1)
	v_lshlrev_b64 v[33:34], v33, v[7:8]
	v_and_b32_e32 v33, 7, v33
; %bb.61:                               ;   in Loop: Header=BB324_13 Depth=1
	s_or_b32 exec_lo, exec_lo, s24
	v_lshlrev_b32_e32 v7, 8, v100
	v_lshl_add_u32 v34, v99, 10, 0x2000
	s_delay_alu instid0(VALU_DEP_1) | instskip(NEXT) | instid1(VALU_DEP_1)
	v_and_or_b32 v7, 0x8000, v7, v34
	v_lshl_or_b32 v7, v33, 7, v7
	s_delay_alu instid0(VALU_DEP_1)
	v_cvt_f32_f16_e32 v99, v7
.LBB324_62:                             ;   in Loop: Header=BB324_13 Depth=1
	s_or_b32 exec_lo, exec_lo, s23
.LBB324_63:                             ;   in Loop: Header=BB324_13 Depth=1
	s_delay_alu instid0(SALU_CYCLE_1)
	s_or_b32 exec_lo, exec_lo, s22
.LBB324_64:                             ;   in Loop: Header=BB324_13 Depth=1
	s_delay_alu instid0(SALU_CYCLE_1) | instskip(SKIP_3) | instid1(VALU_DEP_2)
	s_or_b32 exec_lo, exec_lo, s21
	v_lshrrev_b32_e32 v103, 16, v102
	v_mov_b32_e32 v101, 0
	s_mov_b32 s21, exec_lo
	v_dual_mov_b32 v100, 0 :: v_dual_and_b32 v7, 0xff, v103
	s_delay_alu instid0(VALU_DEP_1)
	v_cmpx_ne_u16_e32 0, v7
	s_cbranch_execz .LBB324_72
; %bb.65:                               ;   in Loop: Header=BB324_13 Depth=1
	v_bfrev_b32_e32 v101, 1
	s_mov_b32 s22, exec_lo
	v_cmpx_ne_u16_e32 0x80, v7
	s_cbranch_execz .LBB324_71
; %bb.66:                               ;   in Loop: Header=BB324_13 Depth=1
	v_bfe_u32 v33, v102, 16, 7
	v_mov_b32_e32 v101, 0x7fc02000
	s_mov_b32 s23, exec_lo
	s_delay_alu instid0(VALU_DEP_2)
	v_cmpx_ne_u32_e32 0x7f, v33
	s_cbranch_execz .LBB324_70
; %bb.67:                               ;   in Loop: Header=BB324_13 Depth=1
	v_and_b32_e32 v7, 7, v103
	v_lshrrev_b32_e32 v101, 3, v33
	v_cmp_gt_u32_e64 s3, 8, v33
	s_delay_alu instid0(VALU_DEP_3) | instskip(NEXT) | instid1(VALU_DEP_2)
	v_dual_mov_b32 v34, v8 :: v_dual_mov_b32 v33, v7
	s_and_saveexec_b32 s24, s3
; %bb.68:                               ;   in Loop: Header=BB324_13 Depth=1
	v_clz_i32_u32_e32 v33, v7
	s_delay_alu instid0(VALU_DEP_1) | instskip(NEXT) | instid1(VALU_DEP_1)
	v_min_u32_e32 v101, 32, v33
	v_subrev_nc_u32_e32 v33, 28, v101
	v_sub_nc_u32_e32 v101, 29, v101
	s_delay_alu instid0(VALU_DEP_2) | instskip(NEXT) | instid1(VALU_DEP_1)
	v_lshlrev_b64 v[33:34], v33, v[7:8]
	v_and_b32_e32 v33, 7, v33
; %bb.69:                               ;   in Loop: Header=BB324_13 Depth=1
	s_or_b32 exec_lo, exec_lo, s24
	v_lshlrev_b32_e32 v7, 8, v103
	v_lshl_add_u32 v34, v101, 10, 0x2000
	s_delay_alu instid0(VALU_DEP_1) | instskip(NEXT) | instid1(VALU_DEP_1)
	v_and_or_b32 v7, 0x8000, v7, v34
	v_lshl_or_b32 v7, v33, 7, v7
	s_delay_alu instid0(VALU_DEP_1)
	v_cvt_f32_f16_e32 v101, v7
.LBB324_70:                             ;   in Loop: Header=BB324_13 Depth=1
	s_or_b32 exec_lo, exec_lo, s23
.LBB324_71:                             ;   in Loop: Header=BB324_13 Depth=1
	s_delay_alu instid0(SALU_CYCLE_1)
	s_or_b32 exec_lo, exec_lo, s22
.LBB324_72:                             ;   in Loop: Header=BB324_13 Depth=1
	s_delay_alu instid0(SALU_CYCLE_1) | instskip(NEXT) | instid1(SALU_CYCLE_1)
	s_or_b32 exec_lo, exec_lo, s21
	s_mov_b32 s21, exec_lo
	v_cmpx_lt_u32_e32 0xffffff, v102
	s_cbranch_execz .LBB324_80
; %bb.73:                               ;   in Loop: Header=BB324_13 Depth=1
	v_lshrrev_b32_e32 v102, 24, v102
	v_bfrev_b32_e32 v100, 1
	s_mov_b32 s22, exec_lo
	s_delay_alu instid0(VALU_DEP_2)
	v_cmpx_ne_u32_e32 0x80, v102
	s_cbranch_execz .LBB324_79
; %bb.74:                               ;   in Loop: Header=BB324_13 Depth=1
	v_and_b32_e32 v33, 0x7f, v102
	v_mov_b32_e32 v100, 0x7fc02000
	s_mov_b32 s23, exec_lo
	s_delay_alu instid0(VALU_DEP_2)
	v_cmpx_ne_u32_e32 0x7f, v33
	s_cbranch_execz .LBB324_78
; %bb.75:                               ;   in Loop: Header=BB324_13 Depth=1
	v_and_b32_e32 v7, 7, v102
	v_lshrrev_b32_e32 v100, 3, v33
	v_cmp_gt_u32_e64 s3, 8, v33
	s_delay_alu instid0(VALU_DEP_3) | instskip(NEXT) | instid1(VALU_DEP_2)
	v_dual_mov_b32 v34, v8 :: v_dual_mov_b32 v33, v7
	s_and_saveexec_b32 s24, s3
; %bb.76:                               ;   in Loop: Header=BB324_13 Depth=1
	v_clz_i32_u32_e32 v33, v7
	s_delay_alu instid0(VALU_DEP_1) | instskip(NEXT) | instid1(VALU_DEP_1)
	v_min_u32_e32 v100, 32, v33
	v_subrev_nc_u32_e32 v33, 28, v100
	v_sub_nc_u32_e32 v100, 29, v100
	s_delay_alu instid0(VALU_DEP_2) | instskip(NEXT) | instid1(VALU_DEP_1)
	v_lshlrev_b64 v[33:34], v33, v[7:8]
	v_and_b32_e32 v33, 7, v33
; %bb.77:                               ;   in Loop: Header=BB324_13 Depth=1
	s_or_b32 exec_lo, exec_lo, s24
	v_lshlrev_b32_e32 v7, 8, v102
	v_lshl_add_u32 v34, v100, 10, 0x2000
	s_delay_alu instid0(VALU_DEP_1) | instskip(NEXT) | instid1(VALU_DEP_1)
	v_and_or_b32 v7, 0x8000, v7, v34
	v_lshl_or_b32 v7, v33, 7, v7
	s_delay_alu instid0(VALU_DEP_1)
	v_cvt_f32_f16_e32 v100, v7
.LBB324_78:                             ;   in Loop: Header=BB324_13 Depth=1
	s_or_b32 exec_lo, exec_lo, s23
.LBB324_79:                             ;   in Loop: Header=BB324_13 Depth=1
	s_delay_alu instid0(SALU_CYCLE_1)
	s_or_b32 exec_lo, exec_lo, s22
.LBB324_80:                             ;   in Loop: Header=BB324_13 Depth=1
	s_delay_alu instid0(SALU_CYCLE_1)
	s_or_b32 exec_lo, exec_lo, s21
	flat_load_b32 v114, v[31:32] offset:256
	v_mov_b32_e32 v103, 0
	s_mov_b32 s21, exec_lo
	s_waitcnt vmcnt(0) lgkmcnt(0)
	v_dual_mov_b32 v102, 0 :: v_dual_and_b32 v7, 0xff, v114
	s_delay_alu instid0(VALU_DEP_1)
	v_cmpx_ne_u16_e32 0, v7
	s_cbranch_execz .LBB324_88
; %bb.81:                               ;   in Loop: Header=BB324_13 Depth=1
	v_bfrev_b32_e32 v102, 1
	s_mov_b32 s22, exec_lo
	v_cmpx_ne_u16_e32 0x80, v7
	s_cbranch_execz .LBB324_87
; %bb.82:                               ;   in Loop: Header=BB324_13 Depth=1
	v_and_b32_e32 v33, 0x7f, v114
	v_mov_b32_e32 v102, 0x7fc02000
	s_mov_b32 s23, exec_lo
	s_delay_alu instid0(VALU_DEP_2)
	v_cmpx_ne_u32_e32 0x7f, v33
	s_cbranch_execz .LBB324_86
; %bb.83:                               ;   in Loop: Header=BB324_13 Depth=1
	v_and_b32_e32 v7, 7, v114
	v_lshrrev_b32_e32 v102, 3, v33
	v_cmp_gt_u32_e64 s3, 8, v33
	s_delay_alu instid0(VALU_DEP_3) | instskip(NEXT) | instid1(VALU_DEP_2)
	v_dual_mov_b32 v34, v8 :: v_dual_mov_b32 v33, v7
	s_and_saveexec_b32 s24, s3
; %bb.84:                               ;   in Loop: Header=BB324_13 Depth=1
	v_clz_i32_u32_e32 v33, v7
	s_delay_alu instid0(VALU_DEP_1) | instskip(NEXT) | instid1(VALU_DEP_1)
	v_min_u32_e32 v102, 32, v33
	v_subrev_nc_u32_e32 v33, 28, v102
	v_sub_nc_u32_e32 v102, 29, v102
	s_delay_alu instid0(VALU_DEP_2) | instskip(NEXT) | instid1(VALU_DEP_1)
	v_lshlrev_b64 v[33:34], v33, v[7:8]
	v_and_b32_e32 v33, 7, v33
; %bb.85:                               ;   in Loop: Header=BB324_13 Depth=1
	s_or_b32 exec_lo, exec_lo, s24
	v_lshlrev_b32_e32 v7, 8, v114
	v_lshl_add_u32 v34, v102, 10, 0x2000
	s_delay_alu instid0(VALU_DEP_1) | instskip(NEXT) | instid1(VALU_DEP_1)
	v_and_or_b32 v7, 0x8000, v7, v34
	v_lshl_or_b32 v7, v33, 7, v7
	s_delay_alu instid0(VALU_DEP_1)
	v_cvt_f32_f16_e32 v102, v7
.LBB324_86:                             ;   in Loop: Header=BB324_13 Depth=1
	s_or_b32 exec_lo, exec_lo, s23
.LBB324_87:                             ;   in Loop: Header=BB324_13 Depth=1
	s_delay_alu instid0(SALU_CYCLE_1)
	s_or_b32 exec_lo, exec_lo, s22
.LBB324_88:                             ;   in Loop: Header=BB324_13 Depth=1
	s_delay_alu instid0(SALU_CYCLE_1) | instskip(SKIP_2) | instid1(VALU_DEP_1)
	s_or_b32 exec_lo, exec_lo, s21
	v_lshrrev_b16 v7, 8, v114
	s_mov_b32 s21, exec_lo
	v_cmpx_ne_u16_e32 0, v7
	s_cbranch_execz .LBB324_96
; %bb.89:                               ;   in Loop: Header=BB324_13 Depth=1
	v_bfrev_b32_e32 v103, 1
	s_mov_b32 s22, exec_lo
	v_cmpx_ne_u16_e32 0x80, v7
	s_cbranch_execz .LBB324_95
; %bb.90:                               ;   in Loop: Header=BB324_13 Depth=1
	v_and_b32_e32 v112, 0xffff, v7
	v_mov_b32_e32 v103, 0x7fc02000
	s_mov_b32 s23, exec_lo
	s_delay_alu instid0(VALU_DEP_2) | instskip(NEXT) | instid1(VALU_DEP_1)
	v_and_b32_e32 v33, 0x7f, v112
	v_cmpx_ne_u32_e32 0x7f, v33
	s_cbranch_execz .LBB324_94
; %bb.91:                               ;   in Loop: Header=BB324_13 Depth=1
	v_and_b32_e32 v7, 7, v112
	v_lshrrev_b32_e32 v103, 3, v33
	v_cmp_gt_u32_e64 s3, 8, v33
	s_delay_alu instid0(VALU_DEP_3) | instskip(NEXT) | instid1(VALU_DEP_2)
	v_dual_mov_b32 v34, v8 :: v_dual_mov_b32 v33, v7
	s_and_saveexec_b32 s24, s3
; %bb.92:                               ;   in Loop: Header=BB324_13 Depth=1
	v_clz_i32_u32_e32 v33, v7
	s_delay_alu instid0(VALU_DEP_1) | instskip(NEXT) | instid1(VALU_DEP_1)
	v_min_u32_e32 v103, 32, v33
	v_subrev_nc_u32_e32 v33, 28, v103
	v_sub_nc_u32_e32 v103, 29, v103
	s_delay_alu instid0(VALU_DEP_2) | instskip(NEXT) | instid1(VALU_DEP_1)
	v_lshlrev_b64 v[33:34], v33, v[7:8]
	v_and_b32_e32 v33, 7, v33
; %bb.93:                               ;   in Loop: Header=BB324_13 Depth=1
	s_or_b32 exec_lo, exec_lo, s24
	v_lshlrev_b32_e32 v7, 8, v112
	v_lshl_add_u32 v34, v103, 10, 0x2000
	s_delay_alu instid0(VALU_DEP_1) | instskip(NEXT) | instid1(VALU_DEP_1)
	v_and_or_b32 v7, 0x8000, v7, v34
	v_lshl_or_b32 v7, v33, 7, v7
	s_delay_alu instid0(VALU_DEP_1)
	v_cvt_f32_f16_e32 v103, v7
.LBB324_94:                             ;   in Loop: Header=BB324_13 Depth=1
	s_or_b32 exec_lo, exec_lo, s23
.LBB324_95:                             ;   in Loop: Header=BB324_13 Depth=1
	s_delay_alu instid0(SALU_CYCLE_1)
	s_or_b32 exec_lo, exec_lo, s22
.LBB324_96:                             ;   in Loop: Header=BB324_13 Depth=1
	s_delay_alu instid0(SALU_CYCLE_1) | instskip(SKIP_3) | instid1(VALU_DEP_2)
	s_or_b32 exec_lo, exec_lo, s21
	v_lshrrev_b32_e32 v115, 16, v114
	v_mov_b32_e32 v113, 0
	s_mov_b32 s21, exec_lo
	v_dual_mov_b32 v112, 0 :: v_dual_and_b32 v7, 0xff, v115
	s_delay_alu instid0(VALU_DEP_1)
	v_cmpx_ne_u16_e32 0, v7
	s_cbranch_execz .LBB324_104
; %bb.97:                               ;   in Loop: Header=BB324_13 Depth=1
	v_bfrev_b32_e32 v113, 1
	s_mov_b32 s22, exec_lo
	v_cmpx_ne_u16_e32 0x80, v7
	s_cbranch_execz .LBB324_103
; %bb.98:                               ;   in Loop: Header=BB324_13 Depth=1
	v_bfe_u32 v33, v114, 16, 7
	v_mov_b32_e32 v113, 0x7fc02000
	s_mov_b32 s23, exec_lo
	s_delay_alu instid0(VALU_DEP_2)
	v_cmpx_ne_u32_e32 0x7f, v33
	s_cbranch_execz .LBB324_102
; %bb.99:                               ;   in Loop: Header=BB324_13 Depth=1
	v_and_b32_e32 v7, 7, v115
	v_lshrrev_b32_e32 v113, 3, v33
	v_cmp_gt_u32_e64 s3, 8, v33
	s_delay_alu instid0(VALU_DEP_3) | instskip(NEXT) | instid1(VALU_DEP_2)
	v_dual_mov_b32 v34, v8 :: v_dual_mov_b32 v33, v7
	s_and_saveexec_b32 s24, s3
; %bb.100:                              ;   in Loop: Header=BB324_13 Depth=1
	v_clz_i32_u32_e32 v33, v7
	s_delay_alu instid0(VALU_DEP_1) | instskip(NEXT) | instid1(VALU_DEP_1)
	v_min_u32_e32 v113, 32, v33
	v_subrev_nc_u32_e32 v33, 28, v113
	v_sub_nc_u32_e32 v113, 29, v113
	s_delay_alu instid0(VALU_DEP_2) | instskip(NEXT) | instid1(VALU_DEP_1)
	v_lshlrev_b64 v[33:34], v33, v[7:8]
	v_and_b32_e32 v33, 7, v33
; %bb.101:                              ;   in Loop: Header=BB324_13 Depth=1
	s_or_b32 exec_lo, exec_lo, s24
	v_lshlrev_b32_e32 v7, 8, v115
	v_lshl_add_u32 v34, v113, 10, 0x2000
	s_delay_alu instid0(VALU_DEP_1) | instskip(NEXT) | instid1(VALU_DEP_1)
	v_and_or_b32 v7, 0x8000, v7, v34
	v_lshl_or_b32 v7, v33, 7, v7
	s_delay_alu instid0(VALU_DEP_1)
	v_cvt_f32_f16_e32 v113, v7
.LBB324_102:                            ;   in Loop: Header=BB324_13 Depth=1
	s_or_b32 exec_lo, exec_lo, s23
.LBB324_103:                            ;   in Loop: Header=BB324_13 Depth=1
	s_delay_alu instid0(SALU_CYCLE_1)
	s_or_b32 exec_lo, exec_lo, s22
.LBB324_104:                            ;   in Loop: Header=BB324_13 Depth=1
	s_delay_alu instid0(SALU_CYCLE_1) | instskip(NEXT) | instid1(SALU_CYCLE_1)
	s_or_b32 exec_lo, exec_lo, s21
	s_mov_b32 s21, exec_lo
	v_cmpx_lt_u32_e32 0xffffff, v114
	s_cbranch_execz .LBB324_112
; %bb.105:                              ;   in Loop: Header=BB324_13 Depth=1
	v_lshrrev_b32_e32 v114, 24, v114
	v_bfrev_b32_e32 v112, 1
	s_mov_b32 s22, exec_lo
	s_delay_alu instid0(VALU_DEP_2)
	v_cmpx_ne_u32_e32 0x80, v114
	s_cbranch_execz .LBB324_111
; %bb.106:                              ;   in Loop: Header=BB324_13 Depth=1
	v_and_b32_e32 v33, 0x7f, v114
	v_mov_b32_e32 v112, 0x7fc02000
	s_mov_b32 s23, exec_lo
	s_delay_alu instid0(VALU_DEP_2)
	v_cmpx_ne_u32_e32 0x7f, v33
	s_cbranch_execz .LBB324_110
; %bb.107:                              ;   in Loop: Header=BB324_13 Depth=1
	v_and_b32_e32 v7, 7, v114
	v_lshrrev_b32_e32 v112, 3, v33
	v_cmp_gt_u32_e64 s3, 8, v33
	s_delay_alu instid0(VALU_DEP_3) | instskip(NEXT) | instid1(VALU_DEP_2)
	v_dual_mov_b32 v34, v8 :: v_dual_mov_b32 v33, v7
	s_and_saveexec_b32 s24, s3
; %bb.108:                              ;   in Loop: Header=BB324_13 Depth=1
	v_clz_i32_u32_e32 v33, v7
	s_delay_alu instid0(VALU_DEP_1) | instskip(NEXT) | instid1(VALU_DEP_1)
	v_min_u32_e32 v112, 32, v33
	v_subrev_nc_u32_e32 v33, 28, v112
	v_sub_nc_u32_e32 v112, 29, v112
	s_delay_alu instid0(VALU_DEP_2) | instskip(NEXT) | instid1(VALU_DEP_1)
	v_lshlrev_b64 v[33:34], v33, v[7:8]
	v_and_b32_e32 v33, 7, v33
; %bb.109:                              ;   in Loop: Header=BB324_13 Depth=1
	s_or_b32 exec_lo, exec_lo, s24
	v_lshlrev_b32_e32 v7, 8, v114
	v_lshl_add_u32 v34, v112, 10, 0x2000
	s_delay_alu instid0(VALU_DEP_1) | instskip(NEXT) | instid1(VALU_DEP_1)
	v_and_or_b32 v7, 0x8000, v7, v34
	v_lshl_or_b32 v7, v33, 7, v7
	s_delay_alu instid0(VALU_DEP_1)
	v_cvt_f32_f16_e32 v112, v7
.LBB324_110:                            ;   in Loop: Header=BB324_13 Depth=1
	s_or_b32 exec_lo, exec_lo, s23
.LBB324_111:                            ;   in Loop: Header=BB324_13 Depth=1
	s_delay_alu instid0(SALU_CYCLE_1)
	s_or_b32 exec_lo, exec_lo, s22
.LBB324_112:                            ;   in Loop: Header=BB324_13 Depth=1
	s_delay_alu instid0(SALU_CYCLE_1)
	s_or_b32 exec_lo, exec_lo, s21
	flat_load_b32 v118, v[31:32] offset:264
	v_mov_b32_e32 v115, 0
	s_mov_b32 s21, exec_lo
	s_waitcnt vmcnt(0) lgkmcnt(0)
	v_dual_mov_b32 v114, 0 :: v_dual_and_b32 v7, 0xff, v118
	s_delay_alu instid0(VALU_DEP_1)
	v_cmpx_ne_u16_e32 0, v7
	s_cbranch_execz .LBB324_120
; %bb.113:                              ;   in Loop: Header=BB324_13 Depth=1
	v_bfrev_b32_e32 v114, 1
	s_mov_b32 s22, exec_lo
	v_cmpx_ne_u16_e32 0x80, v7
	s_cbranch_execz .LBB324_119
; %bb.114:                              ;   in Loop: Header=BB324_13 Depth=1
	v_and_b32_e32 v33, 0x7f, v118
	v_mov_b32_e32 v114, 0x7fc02000
	s_mov_b32 s23, exec_lo
	s_delay_alu instid0(VALU_DEP_2)
	v_cmpx_ne_u32_e32 0x7f, v33
	s_cbranch_execz .LBB324_118
; %bb.115:                              ;   in Loop: Header=BB324_13 Depth=1
	v_and_b32_e32 v7, 7, v118
	v_lshrrev_b32_e32 v114, 3, v33
	v_cmp_gt_u32_e64 s3, 8, v33
	s_delay_alu instid0(VALU_DEP_3) | instskip(NEXT) | instid1(VALU_DEP_2)
	v_dual_mov_b32 v34, v8 :: v_dual_mov_b32 v33, v7
	s_and_saveexec_b32 s24, s3
; %bb.116:                              ;   in Loop: Header=BB324_13 Depth=1
	v_clz_i32_u32_e32 v33, v7
	s_delay_alu instid0(VALU_DEP_1) | instskip(NEXT) | instid1(VALU_DEP_1)
	v_min_u32_e32 v114, 32, v33
	v_subrev_nc_u32_e32 v33, 28, v114
	v_sub_nc_u32_e32 v114, 29, v114
	s_delay_alu instid0(VALU_DEP_2) | instskip(NEXT) | instid1(VALU_DEP_1)
	v_lshlrev_b64 v[33:34], v33, v[7:8]
	v_and_b32_e32 v33, 7, v33
; %bb.117:                              ;   in Loop: Header=BB324_13 Depth=1
	s_or_b32 exec_lo, exec_lo, s24
	v_lshlrev_b32_e32 v7, 8, v118
	v_lshl_add_u32 v34, v114, 10, 0x2000
	s_delay_alu instid0(VALU_DEP_1) | instskip(NEXT) | instid1(VALU_DEP_1)
	v_and_or_b32 v7, 0x8000, v7, v34
	v_lshl_or_b32 v7, v33, 7, v7
	s_delay_alu instid0(VALU_DEP_1)
	v_cvt_f32_f16_e32 v114, v7
.LBB324_118:                            ;   in Loop: Header=BB324_13 Depth=1
	s_or_b32 exec_lo, exec_lo, s23
.LBB324_119:                            ;   in Loop: Header=BB324_13 Depth=1
	s_delay_alu instid0(SALU_CYCLE_1)
	s_or_b32 exec_lo, exec_lo, s22
.LBB324_120:                            ;   in Loop: Header=BB324_13 Depth=1
	s_delay_alu instid0(SALU_CYCLE_1) | instskip(SKIP_2) | instid1(VALU_DEP_1)
	s_or_b32 exec_lo, exec_lo, s21
	v_lshrrev_b16 v7, 8, v118
	s_mov_b32 s21, exec_lo
	v_cmpx_ne_u16_e32 0, v7
	s_cbranch_execz .LBB324_128
; %bb.121:                              ;   in Loop: Header=BB324_13 Depth=1
	v_bfrev_b32_e32 v115, 1
	s_mov_b32 s22, exec_lo
	v_cmpx_ne_u16_e32 0x80, v7
	s_cbranch_execz .LBB324_127
; %bb.122:                              ;   in Loop: Header=BB324_13 Depth=1
	v_and_b32_e32 v116, 0xffff, v7
	v_mov_b32_e32 v115, 0x7fc02000
	s_mov_b32 s23, exec_lo
	s_delay_alu instid0(VALU_DEP_2) | instskip(NEXT) | instid1(VALU_DEP_1)
	v_and_b32_e32 v33, 0x7f, v116
	v_cmpx_ne_u32_e32 0x7f, v33
	s_cbranch_execz .LBB324_126
; %bb.123:                              ;   in Loop: Header=BB324_13 Depth=1
	v_and_b32_e32 v7, 7, v116
	v_lshrrev_b32_e32 v115, 3, v33
	v_cmp_gt_u32_e64 s3, 8, v33
	s_delay_alu instid0(VALU_DEP_3) | instskip(NEXT) | instid1(VALU_DEP_2)
	v_dual_mov_b32 v34, v8 :: v_dual_mov_b32 v33, v7
	s_and_saveexec_b32 s24, s3
; %bb.124:                              ;   in Loop: Header=BB324_13 Depth=1
	v_clz_i32_u32_e32 v33, v7
	s_delay_alu instid0(VALU_DEP_1) | instskip(NEXT) | instid1(VALU_DEP_1)
	v_min_u32_e32 v115, 32, v33
	v_subrev_nc_u32_e32 v33, 28, v115
	v_sub_nc_u32_e32 v115, 29, v115
	s_delay_alu instid0(VALU_DEP_2) | instskip(NEXT) | instid1(VALU_DEP_1)
	v_lshlrev_b64 v[33:34], v33, v[7:8]
	v_and_b32_e32 v33, 7, v33
; %bb.125:                              ;   in Loop: Header=BB324_13 Depth=1
	s_or_b32 exec_lo, exec_lo, s24
	v_lshlrev_b32_e32 v7, 8, v116
	v_lshl_add_u32 v34, v115, 10, 0x2000
	s_delay_alu instid0(VALU_DEP_1) | instskip(NEXT) | instid1(VALU_DEP_1)
	v_and_or_b32 v7, 0x8000, v7, v34
	v_lshl_or_b32 v7, v33, 7, v7
	s_delay_alu instid0(VALU_DEP_1)
	v_cvt_f32_f16_e32 v115, v7
.LBB324_126:                            ;   in Loop: Header=BB324_13 Depth=1
	s_or_b32 exec_lo, exec_lo, s23
.LBB324_127:                            ;   in Loop: Header=BB324_13 Depth=1
	s_delay_alu instid0(SALU_CYCLE_1)
	s_or_b32 exec_lo, exec_lo, s22
.LBB324_128:                            ;   in Loop: Header=BB324_13 Depth=1
	s_delay_alu instid0(SALU_CYCLE_1) | instskip(SKIP_3) | instid1(VALU_DEP_2)
	s_or_b32 exec_lo, exec_lo, s21
	v_lshrrev_b32_e32 v119, 16, v118
	v_mov_b32_e32 v117, 0
	s_mov_b32 s21, exec_lo
	v_dual_mov_b32 v116, 0 :: v_dual_and_b32 v7, 0xff, v119
	s_delay_alu instid0(VALU_DEP_1)
	v_cmpx_ne_u16_e32 0, v7
	s_cbranch_execz .LBB324_136
; %bb.129:                              ;   in Loop: Header=BB324_13 Depth=1
	v_bfrev_b32_e32 v117, 1
	s_mov_b32 s22, exec_lo
	v_cmpx_ne_u16_e32 0x80, v7
	s_cbranch_execz .LBB324_135
; %bb.130:                              ;   in Loop: Header=BB324_13 Depth=1
	v_bfe_u32 v33, v118, 16, 7
	v_mov_b32_e32 v117, 0x7fc02000
	s_mov_b32 s23, exec_lo
	s_delay_alu instid0(VALU_DEP_2)
	v_cmpx_ne_u32_e32 0x7f, v33
	s_cbranch_execz .LBB324_134
; %bb.131:                              ;   in Loop: Header=BB324_13 Depth=1
	v_and_b32_e32 v7, 7, v119
	v_lshrrev_b32_e32 v117, 3, v33
	v_cmp_gt_u32_e64 s3, 8, v33
	s_delay_alu instid0(VALU_DEP_3) | instskip(NEXT) | instid1(VALU_DEP_2)
	v_dual_mov_b32 v34, v8 :: v_dual_mov_b32 v33, v7
	s_and_saveexec_b32 s24, s3
; %bb.132:                              ;   in Loop: Header=BB324_13 Depth=1
	v_clz_i32_u32_e32 v33, v7
	s_delay_alu instid0(VALU_DEP_1) | instskip(NEXT) | instid1(VALU_DEP_1)
	v_min_u32_e32 v117, 32, v33
	v_subrev_nc_u32_e32 v33, 28, v117
	v_sub_nc_u32_e32 v117, 29, v117
	s_delay_alu instid0(VALU_DEP_2) | instskip(NEXT) | instid1(VALU_DEP_1)
	v_lshlrev_b64 v[33:34], v33, v[7:8]
	v_and_b32_e32 v33, 7, v33
; %bb.133:                              ;   in Loop: Header=BB324_13 Depth=1
	s_or_b32 exec_lo, exec_lo, s24
	v_lshlrev_b32_e32 v7, 8, v119
	v_lshl_add_u32 v34, v117, 10, 0x2000
	s_delay_alu instid0(VALU_DEP_1) | instskip(NEXT) | instid1(VALU_DEP_1)
	v_and_or_b32 v7, 0x8000, v7, v34
	v_lshl_or_b32 v7, v33, 7, v7
	s_delay_alu instid0(VALU_DEP_1)
	v_cvt_f32_f16_e32 v117, v7
.LBB324_134:                            ;   in Loop: Header=BB324_13 Depth=1
	s_or_b32 exec_lo, exec_lo, s23
.LBB324_135:                            ;   in Loop: Header=BB324_13 Depth=1
	s_delay_alu instid0(SALU_CYCLE_1)
	s_or_b32 exec_lo, exec_lo, s22
.LBB324_136:                            ;   in Loop: Header=BB324_13 Depth=1
	s_delay_alu instid0(SALU_CYCLE_1) | instskip(NEXT) | instid1(SALU_CYCLE_1)
	s_or_b32 exec_lo, exec_lo, s21
	s_mov_b32 s21, exec_lo
	v_cmpx_lt_u32_e32 0xffffff, v118
	s_cbranch_execz .LBB324_144
; %bb.137:                              ;   in Loop: Header=BB324_13 Depth=1
	v_lshrrev_b32_e32 v118, 24, v118
	v_bfrev_b32_e32 v116, 1
	s_mov_b32 s22, exec_lo
	s_delay_alu instid0(VALU_DEP_2)
	v_cmpx_ne_u32_e32 0x80, v118
	s_cbranch_execz .LBB324_143
; %bb.138:                              ;   in Loop: Header=BB324_13 Depth=1
	v_and_b32_e32 v33, 0x7f, v118
	v_mov_b32_e32 v116, 0x7fc02000
	s_mov_b32 s23, exec_lo
	s_delay_alu instid0(VALU_DEP_2)
	v_cmpx_ne_u32_e32 0x7f, v33
	s_cbranch_execz .LBB324_142
; %bb.139:                              ;   in Loop: Header=BB324_13 Depth=1
	v_and_b32_e32 v7, 7, v118
	v_lshrrev_b32_e32 v116, 3, v33
	v_cmp_gt_u32_e64 s3, 8, v33
	s_delay_alu instid0(VALU_DEP_3) | instskip(NEXT) | instid1(VALU_DEP_2)
	v_dual_mov_b32 v34, v8 :: v_dual_mov_b32 v33, v7
	s_and_saveexec_b32 s24, s3
; %bb.140:                              ;   in Loop: Header=BB324_13 Depth=1
	v_clz_i32_u32_e32 v33, v7
	s_delay_alu instid0(VALU_DEP_1) | instskip(NEXT) | instid1(VALU_DEP_1)
	v_min_u32_e32 v116, 32, v33
	v_subrev_nc_u32_e32 v33, 28, v116
	v_sub_nc_u32_e32 v116, 29, v116
	s_delay_alu instid0(VALU_DEP_2) | instskip(NEXT) | instid1(VALU_DEP_1)
	v_lshlrev_b64 v[33:34], v33, v[7:8]
	v_and_b32_e32 v33, 7, v33
; %bb.141:                              ;   in Loop: Header=BB324_13 Depth=1
	s_or_b32 exec_lo, exec_lo, s24
	v_lshlrev_b32_e32 v7, 8, v118
	v_lshl_add_u32 v34, v116, 10, 0x2000
	s_delay_alu instid0(VALU_DEP_1) | instskip(NEXT) | instid1(VALU_DEP_1)
	v_and_or_b32 v7, 0x8000, v7, v34
	v_lshl_or_b32 v7, v33, 7, v7
	s_delay_alu instid0(VALU_DEP_1)
	v_cvt_f32_f16_e32 v116, v7
.LBB324_142:                            ;   in Loop: Header=BB324_13 Depth=1
	s_or_b32 exec_lo, exec_lo, s23
.LBB324_143:                            ;   in Loop: Header=BB324_13 Depth=1
	s_delay_alu instid0(SALU_CYCLE_1)
	s_or_b32 exec_lo, exec_lo, s22
.LBB324_144:                            ;   in Loop: Header=BB324_13 Depth=1
	s_delay_alu instid0(SALU_CYCLE_1)
	s_or_b32 exec_lo, exec_lo, s21
	flat_load_b32 v130, v[31:32] offset:512
	v_mov_b32_e32 v119, 0
	s_mov_b32 s21, exec_lo
	s_waitcnt vmcnt(0) lgkmcnt(0)
	v_dual_mov_b32 v118, 0 :: v_dual_and_b32 v7, 0xff, v130
	s_delay_alu instid0(VALU_DEP_1)
	v_cmpx_ne_u16_e32 0, v7
	s_cbranch_execz .LBB324_152
; %bb.145:                              ;   in Loop: Header=BB324_13 Depth=1
	v_bfrev_b32_e32 v118, 1
	s_mov_b32 s22, exec_lo
	v_cmpx_ne_u16_e32 0x80, v7
	s_cbranch_execz .LBB324_151
; %bb.146:                              ;   in Loop: Header=BB324_13 Depth=1
	v_and_b32_e32 v33, 0x7f, v130
	v_mov_b32_e32 v118, 0x7fc02000
	s_mov_b32 s23, exec_lo
	s_delay_alu instid0(VALU_DEP_2)
	v_cmpx_ne_u32_e32 0x7f, v33
	s_cbranch_execz .LBB324_150
; %bb.147:                              ;   in Loop: Header=BB324_13 Depth=1
	v_and_b32_e32 v7, 7, v130
	v_lshrrev_b32_e32 v118, 3, v33
	v_cmp_gt_u32_e64 s3, 8, v33
	s_delay_alu instid0(VALU_DEP_3) | instskip(NEXT) | instid1(VALU_DEP_2)
	v_dual_mov_b32 v34, v8 :: v_dual_mov_b32 v33, v7
	s_and_saveexec_b32 s24, s3
; %bb.148:                              ;   in Loop: Header=BB324_13 Depth=1
	v_clz_i32_u32_e32 v33, v7
	s_delay_alu instid0(VALU_DEP_1) | instskip(NEXT) | instid1(VALU_DEP_1)
	v_min_u32_e32 v118, 32, v33
	v_subrev_nc_u32_e32 v33, 28, v118
	v_sub_nc_u32_e32 v118, 29, v118
	s_delay_alu instid0(VALU_DEP_2) | instskip(NEXT) | instid1(VALU_DEP_1)
	v_lshlrev_b64 v[33:34], v33, v[7:8]
	v_and_b32_e32 v33, 7, v33
; %bb.149:                              ;   in Loop: Header=BB324_13 Depth=1
	s_or_b32 exec_lo, exec_lo, s24
	v_lshlrev_b32_e32 v7, 8, v130
	v_lshl_add_u32 v34, v118, 10, 0x2000
	s_delay_alu instid0(VALU_DEP_1) | instskip(NEXT) | instid1(VALU_DEP_1)
	v_and_or_b32 v7, 0x8000, v7, v34
	v_lshl_or_b32 v7, v33, 7, v7
	s_delay_alu instid0(VALU_DEP_1)
	v_cvt_f32_f16_e32 v118, v7
.LBB324_150:                            ;   in Loop: Header=BB324_13 Depth=1
	s_or_b32 exec_lo, exec_lo, s23
.LBB324_151:                            ;   in Loop: Header=BB324_13 Depth=1
	s_delay_alu instid0(SALU_CYCLE_1)
	s_or_b32 exec_lo, exec_lo, s22
.LBB324_152:                            ;   in Loop: Header=BB324_13 Depth=1
	s_delay_alu instid0(SALU_CYCLE_1) | instskip(SKIP_2) | instid1(VALU_DEP_1)
	s_or_b32 exec_lo, exec_lo, s21
	v_lshrrev_b16 v7, 8, v130
	s_mov_b32 s21, exec_lo
	v_cmpx_ne_u16_e32 0, v7
	s_cbranch_execz .LBB324_160
; %bb.153:                              ;   in Loop: Header=BB324_13 Depth=1
	v_bfrev_b32_e32 v119, 1
	s_mov_b32 s22, exec_lo
	v_cmpx_ne_u16_e32 0x80, v7
	s_cbranch_execz .LBB324_159
; %bb.154:                              ;   in Loop: Header=BB324_13 Depth=1
	v_and_b32_e32 v128, 0xffff, v7
	v_mov_b32_e32 v119, 0x7fc02000
	s_mov_b32 s23, exec_lo
	s_delay_alu instid0(VALU_DEP_2) | instskip(NEXT) | instid1(VALU_DEP_1)
	v_and_b32_e32 v33, 0x7f, v128
	v_cmpx_ne_u32_e32 0x7f, v33
	s_cbranch_execz .LBB324_158
; %bb.155:                              ;   in Loop: Header=BB324_13 Depth=1
	v_and_b32_e32 v7, 7, v128
	v_lshrrev_b32_e32 v119, 3, v33
	v_cmp_gt_u32_e64 s3, 8, v33
	s_delay_alu instid0(VALU_DEP_3) | instskip(NEXT) | instid1(VALU_DEP_2)
	v_dual_mov_b32 v34, v8 :: v_dual_mov_b32 v33, v7
	s_and_saveexec_b32 s24, s3
; %bb.156:                              ;   in Loop: Header=BB324_13 Depth=1
	v_clz_i32_u32_e32 v33, v7
	s_delay_alu instid0(VALU_DEP_1) | instskip(NEXT) | instid1(VALU_DEP_1)
	v_min_u32_e32 v119, 32, v33
	v_subrev_nc_u32_e32 v33, 28, v119
	v_sub_nc_u32_e32 v119, 29, v119
	s_delay_alu instid0(VALU_DEP_2) | instskip(NEXT) | instid1(VALU_DEP_1)
	v_lshlrev_b64 v[33:34], v33, v[7:8]
	v_and_b32_e32 v33, 7, v33
; %bb.157:                              ;   in Loop: Header=BB324_13 Depth=1
	s_or_b32 exec_lo, exec_lo, s24
	v_lshlrev_b32_e32 v7, 8, v128
	v_lshl_add_u32 v34, v119, 10, 0x2000
	s_delay_alu instid0(VALU_DEP_1) | instskip(NEXT) | instid1(VALU_DEP_1)
	v_and_or_b32 v7, 0x8000, v7, v34
	v_lshl_or_b32 v7, v33, 7, v7
	s_delay_alu instid0(VALU_DEP_1)
	v_cvt_f32_f16_e32 v119, v7
.LBB324_158:                            ;   in Loop: Header=BB324_13 Depth=1
	s_or_b32 exec_lo, exec_lo, s23
.LBB324_159:                            ;   in Loop: Header=BB324_13 Depth=1
	s_delay_alu instid0(SALU_CYCLE_1)
	s_or_b32 exec_lo, exec_lo, s22
.LBB324_160:                            ;   in Loop: Header=BB324_13 Depth=1
	s_delay_alu instid0(SALU_CYCLE_1) | instskip(SKIP_3) | instid1(VALU_DEP_2)
	s_or_b32 exec_lo, exec_lo, s21
	v_lshrrev_b32_e32 v131, 16, v130
	v_mov_b32_e32 v129, 0
	s_mov_b32 s21, exec_lo
	v_dual_mov_b32 v128, 0 :: v_dual_and_b32 v7, 0xff, v131
	s_delay_alu instid0(VALU_DEP_1)
	v_cmpx_ne_u16_e32 0, v7
	s_cbranch_execz .LBB324_168
; %bb.161:                              ;   in Loop: Header=BB324_13 Depth=1
	v_bfrev_b32_e32 v129, 1
	s_mov_b32 s22, exec_lo
	v_cmpx_ne_u16_e32 0x80, v7
	s_cbranch_execz .LBB324_167
; %bb.162:                              ;   in Loop: Header=BB324_13 Depth=1
	v_bfe_u32 v33, v130, 16, 7
	v_mov_b32_e32 v129, 0x7fc02000
	s_mov_b32 s23, exec_lo
	s_delay_alu instid0(VALU_DEP_2)
	v_cmpx_ne_u32_e32 0x7f, v33
	s_cbranch_execz .LBB324_166
; %bb.163:                              ;   in Loop: Header=BB324_13 Depth=1
	v_and_b32_e32 v7, 7, v131
	v_lshrrev_b32_e32 v129, 3, v33
	v_cmp_gt_u32_e64 s3, 8, v33
	s_delay_alu instid0(VALU_DEP_3) | instskip(NEXT) | instid1(VALU_DEP_2)
	v_dual_mov_b32 v34, v8 :: v_dual_mov_b32 v33, v7
	s_and_saveexec_b32 s24, s3
; %bb.164:                              ;   in Loop: Header=BB324_13 Depth=1
	v_clz_i32_u32_e32 v33, v7
	s_delay_alu instid0(VALU_DEP_1) | instskip(NEXT) | instid1(VALU_DEP_1)
	v_min_u32_e32 v129, 32, v33
	v_subrev_nc_u32_e32 v33, 28, v129
	v_sub_nc_u32_e32 v129, 29, v129
	s_delay_alu instid0(VALU_DEP_2) | instskip(NEXT) | instid1(VALU_DEP_1)
	v_lshlrev_b64 v[33:34], v33, v[7:8]
	v_and_b32_e32 v33, 7, v33
; %bb.165:                              ;   in Loop: Header=BB324_13 Depth=1
	s_or_b32 exec_lo, exec_lo, s24
	v_lshlrev_b32_e32 v7, 8, v131
	v_lshl_add_u32 v34, v129, 10, 0x2000
	s_delay_alu instid0(VALU_DEP_1) | instskip(NEXT) | instid1(VALU_DEP_1)
	v_and_or_b32 v7, 0x8000, v7, v34
	v_lshl_or_b32 v7, v33, 7, v7
	s_delay_alu instid0(VALU_DEP_1)
	v_cvt_f32_f16_e64 v129, v7
.LBB324_166:                            ;   in Loop: Header=BB324_13 Depth=1
	s_or_b32 exec_lo, exec_lo, s23
.LBB324_167:                            ;   in Loop: Header=BB324_13 Depth=1
	s_delay_alu instid0(SALU_CYCLE_1)
	s_or_b32 exec_lo, exec_lo, s22
.LBB324_168:                            ;   in Loop: Header=BB324_13 Depth=1
	s_delay_alu instid0(SALU_CYCLE_1) | instskip(NEXT) | instid1(SALU_CYCLE_1)
	s_or_b32 exec_lo, exec_lo, s21
	s_mov_b32 s21, exec_lo
	v_cmpx_lt_u32_e32 0xffffff, v130
	s_cbranch_execz .LBB324_176
; %bb.169:                              ;   in Loop: Header=BB324_13 Depth=1
	v_lshrrev_b32_e32 v130, 24, v130
	v_bfrev_b32_e32 v128, 1
	s_mov_b32 s22, exec_lo
	s_delay_alu instid0(VALU_DEP_2)
	v_cmpx_ne_u32_e32 0x80, v130
	s_cbranch_execz .LBB324_175
; %bb.170:                              ;   in Loop: Header=BB324_13 Depth=1
	v_and_b32_e32 v33, 0x7f, v130
	v_mov_b32_e32 v128, 0x7fc02000
	s_mov_b32 s23, exec_lo
	s_delay_alu instid0(VALU_DEP_2)
	v_cmpx_ne_u32_e32 0x7f, v33
	s_cbranch_execz .LBB324_174
; %bb.171:                              ;   in Loop: Header=BB324_13 Depth=1
	v_and_b32_e32 v7, 7, v130
	v_lshrrev_b32_e32 v128, 3, v33
	v_cmp_gt_u32_e64 s3, 8, v33
	s_delay_alu instid0(VALU_DEP_3) | instskip(NEXT) | instid1(VALU_DEP_2)
	v_dual_mov_b32 v34, v8 :: v_dual_mov_b32 v33, v7
	s_and_saveexec_b32 s24, s3
; %bb.172:                              ;   in Loop: Header=BB324_13 Depth=1
	v_clz_i32_u32_e32 v33, v7
	s_delay_alu instid0(VALU_DEP_1) | instskip(NEXT) | instid1(VALU_DEP_1)
	v_min_u32_e32 v128, 32, v33
	v_subrev_nc_u32_e32 v33, 28, v128
	v_sub_nc_u32_e32 v128, 29, v128
	s_delay_alu instid0(VALU_DEP_2) | instskip(NEXT) | instid1(VALU_DEP_1)
	v_lshlrev_b64 v[33:34], v33, v[7:8]
	v_and_b32_e32 v33, 7, v33
; %bb.173:                              ;   in Loop: Header=BB324_13 Depth=1
	s_or_b32 exec_lo, exec_lo, s24
	v_lshlrev_b32_e32 v7, 8, v130
	v_lshl_add_u32 v34, v128, 10, 0x2000
	s_delay_alu instid0(VALU_DEP_1) | instskip(NEXT) | instid1(VALU_DEP_1)
	v_and_or_b32 v7, 0x8000, v7, v34
	v_lshl_or_b32 v7, v33, 7, v7
	s_delay_alu instid0(VALU_DEP_1)
	v_cvt_f32_f16_e64 v128, v7
.LBB324_174:                            ;   in Loop: Header=BB324_13 Depth=1
	s_or_b32 exec_lo, exec_lo, s23
.LBB324_175:                            ;   in Loop: Header=BB324_13 Depth=1
	s_delay_alu instid0(SALU_CYCLE_1)
	s_or_b32 exec_lo, exec_lo, s22
.LBB324_176:                            ;   in Loop: Header=BB324_13 Depth=1
	s_delay_alu instid0(SALU_CYCLE_1)
	s_or_b32 exec_lo, exec_lo, s21
	flat_load_b32 v134, v[31:32] offset:520
	v_mov_b32_e32 v131, 0
	s_mov_b32 s21, exec_lo
	s_waitcnt vmcnt(0) lgkmcnt(0)
	v_dual_mov_b32 v130, 0 :: v_dual_and_b32 v7, 0xff, v134
	s_delay_alu instid0(VALU_DEP_1)
	v_cmpx_ne_u16_e32 0, v7
	s_cbranch_execz .LBB324_184
; %bb.177:                              ;   in Loop: Header=BB324_13 Depth=1
	v_bfrev_b32_e32 v130, 1
	s_mov_b32 s22, exec_lo
	v_cmpx_ne_u16_e32 0x80, v7
	s_cbranch_execz .LBB324_183
; %bb.178:                              ;   in Loop: Header=BB324_13 Depth=1
	v_and_b32_e32 v33, 0x7f, v134
	v_mov_b32_e32 v130, 0x7fc02000
	s_mov_b32 s23, exec_lo
	s_delay_alu instid0(VALU_DEP_2)
	v_cmpx_ne_u32_e32 0x7f, v33
	s_cbranch_execz .LBB324_182
; %bb.179:                              ;   in Loop: Header=BB324_13 Depth=1
	v_and_b32_e32 v7, 7, v134
	v_lshrrev_b32_e32 v130, 3, v33
	v_cmp_gt_u32_e64 s3, 8, v33
	s_delay_alu instid0(VALU_DEP_3) | instskip(NEXT) | instid1(VALU_DEP_2)
	v_dual_mov_b32 v34, v8 :: v_dual_mov_b32 v33, v7
	s_and_saveexec_b32 s24, s3
; %bb.180:                              ;   in Loop: Header=BB324_13 Depth=1
	v_clz_i32_u32_e32 v33, v7
	s_delay_alu instid0(VALU_DEP_1) | instskip(NEXT) | instid1(VALU_DEP_1)
	v_min_u32_e32 v130, 32, v33
	v_subrev_nc_u32_e32 v33, 28, v130
	v_sub_nc_u32_e32 v130, 29, v130
	s_delay_alu instid0(VALU_DEP_2) | instskip(NEXT) | instid1(VALU_DEP_1)
	v_lshlrev_b64 v[33:34], v33, v[7:8]
	v_and_b32_e32 v33, 7, v33
; %bb.181:                              ;   in Loop: Header=BB324_13 Depth=1
	s_or_b32 exec_lo, exec_lo, s24
	v_lshlrev_b32_e32 v7, 8, v134
	v_lshl_add_u32 v34, v130, 10, 0x2000
	s_delay_alu instid0(VALU_DEP_1) | instskip(NEXT) | instid1(VALU_DEP_1)
	v_and_or_b32 v7, 0x8000, v7, v34
	v_lshl_or_b32 v7, v33, 7, v7
	s_delay_alu instid0(VALU_DEP_1)
	v_cvt_f32_f16_e64 v130, v7
.LBB324_182:                            ;   in Loop: Header=BB324_13 Depth=1
	s_or_b32 exec_lo, exec_lo, s23
.LBB324_183:                            ;   in Loop: Header=BB324_13 Depth=1
	s_delay_alu instid0(SALU_CYCLE_1)
	s_or_b32 exec_lo, exec_lo, s22
.LBB324_184:                            ;   in Loop: Header=BB324_13 Depth=1
	s_delay_alu instid0(SALU_CYCLE_1) | instskip(SKIP_2) | instid1(VALU_DEP_1)
	s_or_b32 exec_lo, exec_lo, s21
	v_lshrrev_b16 v7, 8, v134
	s_mov_b32 s21, exec_lo
	v_cmpx_ne_u16_e32 0, v7
	s_cbranch_execz .LBB324_192
; %bb.185:                              ;   in Loop: Header=BB324_13 Depth=1
	v_bfrev_b32_e32 v131, 1
	s_mov_b32 s22, exec_lo
	v_cmpx_ne_u16_e32 0x80, v7
	s_cbranch_execz .LBB324_191
; %bb.186:                              ;   in Loop: Header=BB324_13 Depth=1
	v_and_b32_e32 v132, 0xffff, v7
	v_mov_b32_e32 v131, 0x7fc02000
	s_mov_b32 s23, exec_lo
	s_delay_alu instid0(VALU_DEP_2) | instskip(NEXT) | instid1(VALU_DEP_1)
	v_and_b32_e32 v33, 0x7f, v132
	v_cmpx_ne_u32_e32 0x7f, v33
	s_cbranch_execz .LBB324_190
; %bb.187:                              ;   in Loop: Header=BB324_13 Depth=1
	v_and_b32_e32 v7, 7, v132
	v_lshrrev_b32_e32 v131, 3, v33
	v_cmp_gt_u32_e64 s3, 8, v33
	s_delay_alu instid0(VALU_DEP_3) | instskip(NEXT) | instid1(VALU_DEP_2)
	v_dual_mov_b32 v34, v8 :: v_dual_mov_b32 v33, v7
	s_and_saveexec_b32 s24, s3
; %bb.188:                              ;   in Loop: Header=BB324_13 Depth=1
	v_clz_i32_u32_e32 v33, v7
	s_delay_alu instid0(VALU_DEP_1) | instskip(NEXT) | instid1(VALU_DEP_1)
	v_min_u32_e32 v131, 32, v33
	v_subrev_nc_u32_e32 v33, 28, v131
	v_sub_nc_u32_e32 v131, 29, v131
	s_delay_alu instid0(VALU_DEP_2) | instskip(NEXT) | instid1(VALU_DEP_1)
	v_lshlrev_b64 v[33:34], v33, v[7:8]
	v_and_b32_e32 v33, 7, v33
; %bb.189:                              ;   in Loop: Header=BB324_13 Depth=1
	s_or_b32 exec_lo, exec_lo, s24
	v_lshlrev_b32_e32 v7, 8, v132
	v_lshl_add_u32 v34, v131, 10, 0x2000
	s_delay_alu instid0(VALU_DEP_1) | instskip(NEXT) | instid1(VALU_DEP_1)
	v_and_or_b32 v7, 0x8000, v7, v34
	v_lshl_or_b32 v7, v33, 7, v7
	s_delay_alu instid0(VALU_DEP_1)
	v_cvt_f32_f16_e64 v131, v7
.LBB324_190:                            ;   in Loop: Header=BB324_13 Depth=1
	s_or_b32 exec_lo, exec_lo, s23
.LBB324_191:                            ;   in Loop: Header=BB324_13 Depth=1
	s_delay_alu instid0(SALU_CYCLE_1)
	s_or_b32 exec_lo, exec_lo, s22
.LBB324_192:                            ;   in Loop: Header=BB324_13 Depth=1
	s_delay_alu instid0(SALU_CYCLE_1) | instskip(SKIP_3) | instid1(VALU_DEP_2)
	s_or_b32 exec_lo, exec_lo, s21
	v_lshrrev_b32_e32 v135, 16, v134
	v_mov_b32_e32 v133, 0
	s_mov_b32 s21, exec_lo
	v_dual_mov_b32 v132, 0 :: v_dual_and_b32 v7, 0xff, v135
	s_delay_alu instid0(VALU_DEP_1)
	v_cmpx_ne_u16_e32 0, v7
	s_cbranch_execz .LBB324_200
; %bb.193:                              ;   in Loop: Header=BB324_13 Depth=1
	v_bfrev_b32_e32 v133, 1
	s_mov_b32 s22, exec_lo
	v_cmpx_ne_u16_e32 0x80, v7
	s_cbranch_execz .LBB324_199
; %bb.194:                              ;   in Loop: Header=BB324_13 Depth=1
	v_bfe_u32 v33, v134, 16, 7
	v_mov_b32_e32 v133, 0x7fc02000
	s_mov_b32 s23, exec_lo
	s_delay_alu instid0(VALU_DEP_2)
	v_cmpx_ne_u32_e32 0x7f, v33
	s_cbranch_execz .LBB324_198
; %bb.195:                              ;   in Loop: Header=BB324_13 Depth=1
	v_and_b32_e32 v7, 7, v135
	v_lshrrev_b32_e32 v133, 3, v33
	v_cmp_gt_u32_e64 s3, 8, v33
	s_delay_alu instid0(VALU_DEP_3) | instskip(NEXT) | instid1(VALU_DEP_2)
	v_dual_mov_b32 v34, v8 :: v_dual_mov_b32 v33, v7
	s_and_saveexec_b32 s24, s3
; %bb.196:                              ;   in Loop: Header=BB324_13 Depth=1
	v_clz_i32_u32_e32 v33, v7
	s_delay_alu instid0(VALU_DEP_1) | instskip(NEXT) | instid1(VALU_DEP_1)
	v_min_u32_e32 v133, 32, v33
	v_subrev_nc_u32_e32 v33, 28, v133
	v_sub_nc_u32_e32 v133, 29, v133
	s_delay_alu instid0(VALU_DEP_2) | instskip(NEXT) | instid1(VALU_DEP_1)
	v_lshlrev_b64 v[33:34], v33, v[7:8]
	v_and_b32_e32 v33, 7, v33
; %bb.197:                              ;   in Loop: Header=BB324_13 Depth=1
	s_or_b32 exec_lo, exec_lo, s24
	v_lshlrev_b32_e32 v7, 8, v135
	v_lshl_add_u32 v34, v133, 10, 0x2000
	s_delay_alu instid0(VALU_DEP_1) | instskip(NEXT) | instid1(VALU_DEP_1)
	v_and_or_b32 v7, 0x8000, v7, v34
	v_lshl_or_b32 v7, v33, 7, v7
	s_delay_alu instid0(VALU_DEP_1)
	v_cvt_f32_f16_e64 v133, v7
.LBB324_198:                            ;   in Loop: Header=BB324_13 Depth=1
	s_or_b32 exec_lo, exec_lo, s23
.LBB324_199:                            ;   in Loop: Header=BB324_13 Depth=1
	s_delay_alu instid0(SALU_CYCLE_1)
	s_or_b32 exec_lo, exec_lo, s22
.LBB324_200:                            ;   in Loop: Header=BB324_13 Depth=1
	s_delay_alu instid0(SALU_CYCLE_1) | instskip(NEXT) | instid1(SALU_CYCLE_1)
	s_or_b32 exec_lo, exec_lo, s21
	s_mov_b32 s21, exec_lo
	v_cmpx_lt_u32_e32 0xffffff, v134
	s_cbranch_execz .LBB324_208
; %bb.201:                              ;   in Loop: Header=BB324_13 Depth=1
	v_lshrrev_b32_e32 v134, 24, v134
	v_bfrev_b32_e32 v132, 1
	s_mov_b32 s22, exec_lo
	s_delay_alu instid0(VALU_DEP_2)
	v_cmpx_ne_u32_e32 0x80, v134
	s_cbranch_execz .LBB324_207
; %bb.202:                              ;   in Loop: Header=BB324_13 Depth=1
	v_and_b32_e32 v33, 0x7f, v134
	v_mov_b32_e32 v132, 0x7fc02000
	s_mov_b32 s23, exec_lo
	s_delay_alu instid0(VALU_DEP_2)
	v_cmpx_ne_u32_e32 0x7f, v33
	s_cbranch_execz .LBB324_206
; %bb.203:                              ;   in Loop: Header=BB324_13 Depth=1
	v_and_b32_e32 v7, 7, v134
	v_lshrrev_b32_e32 v132, 3, v33
	v_cmp_gt_u32_e64 s3, 8, v33
	s_delay_alu instid0(VALU_DEP_3) | instskip(NEXT) | instid1(VALU_DEP_2)
	v_dual_mov_b32 v34, v8 :: v_dual_mov_b32 v33, v7
	s_and_saveexec_b32 s24, s3
; %bb.204:                              ;   in Loop: Header=BB324_13 Depth=1
	v_clz_i32_u32_e32 v33, v7
	s_delay_alu instid0(VALU_DEP_1) | instskip(NEXT) | instid1(VALU_DEP_1)
	v_min_u32_e32 v132, 32, v33
	v_subrev_nc_u32_e32 v33, 28, v132
	v_sub_nc_u32_e32 v132, 29, v132
	s_delay_alu instid0(VALU_DEP_2) | instskip(NEXT) | instid1(VALU_DEP_1)
	v_lshlrev_b64 v[33:34], v33, v[7:8]
	v_and_b32_e32 v33, 7, v33
; %bb.205:                              ;   in Loop: Header=BB324_13 Depth=1
	s_or_b32 exec_lo, exec_lo, s24
	v_lshlrev_b32_e32 v7, 8, v134
	v_lshl_add_u32 v34, v132, 10, 0x2000
	s_delay_alu instid0(VALU_DEP_1) | instskip(NEXT) | instid1(VALU_DEP_1)
	v_and_or_b32 v7, 0x8000, v7, v34
	v_lshl_or_b32 v7, v33, 7, v7
	s_delay_alu instid0(VALU_DEP_1)
	v_cvt_f32_f16_e64 v132, v7
.LBB324_206:                            ;   in Loop: Header=BB324_13 Depth=1
	s_or_b32 exec_lo, exec_lo, s23
.LBB324_207:                            ;   in Loop: Header=BB324_13 Depth=1
	s_delay_alu instid0(SALU_CYCLE_1)
	s_or_b32 exec_lo, exec_lo, s22
.LBB324_208:                            ;   in Loop: Header=BB324_13 Depth=1
	s_delay_alu instid0(SALU_CYCLE_1)
	s_or_b32 exec_lo, exec_lo, s21
	flat_load_b32 v146, v[31:32] offset:768
	v_mov_b32_e32 v135, 0
	s_mov_b32 s21, exec_lo
	s_waitcnt vmcnt(0) lgkmcnt(0)
	v_dual_mov_b32 v134, 0 :: v_dual_and_b32 v7, 0xff, v146
	s_delay_alu instid0(VALU_DEP_1)
	v_cmpx_ne_u16_e32 0, v7
	s_cbranch_execz .LBB324_216
; %bb.209:                              ;   in Loop: Header=BB324_13 Depth=1
	v_bfrev_b32_e32 v134, 1
	s_mov_b32 s22, exec_lo
	v_cmpx_ne_u16_e32 0x80, v7
	s_cbranch_execz .LBB324_215
; %bb.210:                              ;   in Loop: Header=BB324_13 Depth=1
	v_and_b32_e32 v33, 0x7f, v146
	v_mov_b32_e32 v134, 0x7fc02000
	s_mov_b32 s23, exec_lo
	s_delay_alu instid0(VALU_DEP_2)
	v_cmpx_ne_u32_e32 0x7f, v33
	s_cbranch_execz .LBB324_214
; %bb.211:                              ;   in Loop: Header=BB324_13 Depth=1
	v_and_b32_e32 v7, 7, v146
	v_lshrrev_b32_e32 v134, 3, v33
	v_cmp_gt_u32_e64 s3, 8, v33
	s_delay_alu instid0(VALU_DEP_3) | instskip(NEXT) | instid1(VALU_DEP_2)
	v_dual_mov_b32 v34, v8 :: v_dual_mov_b32 v33, v7
	s_and_saveexec_b32 s24, s3
; %bb.212:                              ;   in Loop: Header=BB324_13 Depth=1
	v_clz_i32_u32_e32 v33, v7
	s_delay_alu instid0(VALU_DEP_1) | instskip(NEXT) | instid1(VALU_DEP_1)
	v_min_u32_e32 v134, 32, v33
	v_subrev_nc_u32_e32 v33, 28, v134
	v_sub_nc_u32_e32 v134, 29, v134
	s_delay_alu instid0(VALU_DEP_2) | instskip(NEXT) | instid1(VALU_DEP_1)
	v_lshlrev_b64 v[33:34], v33, v[7:8]
	v_and_b32_e32 v33, 7, v33
; %bb.213:                              ;   in Loop: Header=BB324_13 Depth=1
	s_or_b32 exec_lo, exec_lo, s24
	v_lshlrev_b32_e32 v7, 8, v146
	v_lshl_add_u32 v34, v134, 10, 0x2000
	s_delay_alu instid0(VALU_DEP_1) | instskip(NEXT) | instid1(VALU_DEP_1)
	v_and_or_b32 v7, 0x8000, v7, v34
	v_lshl_or_b32 v7, v33, 7, v7
	s_delay_alu instid0(VALU_DEP_1)
	v_cvt_f32_f16_e64 v134, v7
.LBB324_214:                            ;   in Loop: Header=BB324_13 Depth=1
	s_or_b32 exec_lo, exec_lo, s23
.LBB324_215:                            ;   in Loop: Header=BB324_13 Depth=1
	s_delay_alu instid0(SALU_CYCLE_1)
	s_or_b32 exec_lo, exec_lo, s22
.LBB324_216:                            ;   in Loop: Header=BB324_13 Depth=1
	s_delay_alu instid0(SALU_CYCLE_1) | instskip(SKIP_2) | instid1(VALU_DEP_1)
	s_or_b32 exec_lo, exec_lo, s21
	v_lshrrev_b16 v7, 8, v146
	s_mov_b32 s21, exec_lo
	v_cmpx_ne_u16_e32 0, v7
	s_cbranch_execz .LBB324_224
; %bb.217:                              ;   in Loop: Header=BB324_13 Depth=1
	v_bfrev_b32_e32 v135, 1
	s_mov_b32 s22, exec_lo
	v_cmpx_ne_u16_e32 0x80, v7
	s_cbranch_execz .LBB324_223
; %bb.218:                              ;   in Loop: Header=BB324_13 Depth=1
	v_and_b32_e32 v144, 0xffff, v7
	v_mov_b32_e32 v135, 0x7fc02000
	s_mov_b32 s23, exec_lo
	s_delay_alu instid0(VALU_DEP_2) | instskip(NEXT) | instid1(VALU_DEP_1)
	v_and_b32_e32 v33, 0x7f, v144
	v_cmpx_ne_u32_e32 0x7f, v33
	s_cbranch_execz .LBB324_222
; %bb.219:                              ;   in Loop: Header=BB324_13 Depth=1
	v_and_b32_e32 v7, 7, v144
	v_lshrrev_b32_e32 v135, 3, v33
	v_cmp_gt_u32_e64 s3, 8, v33
	s_delay_alu instid0(VALU_DEP_3) | instskip(NEXT) | instid1(VALU_DEP_2)
	v_dual_mov_b32 v34, v8 :: v_dual_mov_b32 v33, v7
	s_and_saveexec_b32 s24, s3
; %bb.220:                              ;   in Loop: Header=BB324_13 Depth=1
	v_clz_i32_u32_e32 v33, v7
	s_delay_alu instid0(VALU_DEP_1) | instskip(NEXT) | instid1(VALU_DEP_1)
	v_min_u32_e32 v135, 32, v33
	v_subrev_nc_u32_e32 v33, 28, v135
	v_sub_nc_u32_e32 v135, 29, v135
	s_delay_alu instid0(VALU_DEP_2) | instskip(NEXT) | instid1(VALU_DEP_1)
	v_lshlrev_b64 v[33:34], v33, v[7:8]
	v_and_b32_e32 v33, 7, v33
; %bb.221:                              ;   in Loop: Header=BB324_13 Depth=1
	s_or_b32 exec_lo, exec_lo, s24
	v_lshlrev_b32_e32 v7, 8, v144
	v_lshl_add_u32 v34, v135, 10, 0x2000
	s_delay_alu instid0(VALU_DEP_1) | instskip(NEXT) | instid1(VALU_DEP_1)
	v_and_or_b32 v7, 0x8000, v7, v34
	v_lshl_or_b32 v7, v33, 7, v7
	s_delay_alu instid0(VALU_DEP_1)
	v_cvt_f32_f16_e64 v135, v7
.LBB324_222:                            ;   in Loop: Header=BB324_13 Depth=1
	s_or_b32 exec_lo, exec_lo, s23
.LBB324_223:                            ;   in Loop: Header=BB324_13 Depth=1
	s_delay_alu instid0(SALU_CYCLE_1)
	s_or_b32 exec_lo, exec_lo, s22
.LBB324_224:                            ;   in Loop: Header=BB324_13 Depth=1
	s_delay_alu instid0(SALU_CYCLE_1) | instskip(SKIP_3) | instid1(VALU_DEP_2)
	s_or_b32 exec_lo, exec_lo, s21
	v_lshrrev_b32_e32 v147, 16, v146
	v_mov_b32_e32 v145, 0
	s_mov_b32 s21, exec_lo
	v_dual_mov_b32 v144, 0 :: v_dual_and_b32 v7, 0xff, v147
	s_delay_alu instid0(VALU_DEP_1)
	v_cmpx_ne_u16_e32 0, v7
	s_cbranch_execz .LBB324_232
; %bb.225:                              ;   in Loop: Header=BB324_13 Depth=1
	v_bfrev_b32_e32 v145, 1
	s_mov_b32 s22, exec_lo
	v_cmpx_ne_u16_e32 0x80, v7
	s_cbranch_execz .LBB324_231
; %bb.226:                              ;   in Loop: Header=BB324_13 Depth=1
	v_bfe_u32 v33, v146, 16, 7
	v_mov_b32_e32 v145, 0x7fc02000
	s_mov_b32 s23, exec_lo
	s_delay_alu instid0(VALU_DEP_2)
	v_cmpx_ne_u32_e32 0x7f, v33
	s_cbranch_execz .LBB324_230
; %bb.227:                              ;   in Loop: Header=BB324_13 Depth=1
	v_and_b32_e32 v7, 7, v147
	v_lshrrev_b32_e32 v145, 3, v33
	v_cmp_gt_u32_e64 s3, 8, v33
	s_delay_alu instid0(VALU_DEP_3) | instskip(NEXT) | instid1(VALU_DEP_2)
	v_dual_mov_b32 v34, v8 :: v_dual_mov_b32 v33, v7
	s_and_saveexec_b32 s24, s3
; %bb.228:                              ;   in Loop: Header=BB324_13 Depth=1
	v_clz_i32_u32_e32 v33, v7
	s_delay_alu instid0(VALU_DEP_1) | instskip(NEXT) | instid1(VALU_DEP_1)
	v_min_u32_e32 v145, 32, v33
	v_subrev_nc_u32_e32 v33, 28, v145
	v_sub_nc_u32_e32 v145, 29, v145
	s_delay_alu instid0(VALU_DEP_2) | instskip(NEXT) | instid1(VALU_DEP_1)
	v_lshlrev_b64 v[33:34], v33, v[7:8]
	v_and_b32_e32 v33, 7, v33
; %bb.229:                              ;   in Loop: Header=BB324_13 Depth=1
	s_or_b32 exec_lo, exec_lo, s24
	v_lshlrev_b32_e32 v7, 8, v147
	v_lshl_add_u32 v34, v145, 10, 0x2000
	s_delay_alu instid0(VALU_DEP_1) | instskip(NEXT) | instid1(VALU_DEP_1)
	v_and_or_b32 v7, 0x8000, v7, v34
	v_lshl_or_b32 v7, v33, 7, v7
	s_delay_alu instid0(VALU_DEP_1)
	v_cvt_f32_f16_e64 v145, v7
.LBB324_230:                            ;   in Loop: Header=BB324_13 Depth=1
	s_or_b32 exec_lo, exec_lo, s23
.LBB324_231:                            ;   in Loop: Header=BB324_13 Depth=1
	s_delay_alu instid0(SALU_CYCLE_1)
	s_or_b32 exec_lo, exec_lo, s22
.LBB324_232:                            ;   in Loop: Header=BB324_13 Depth=1
	s_delay_alu instid0(SALU_CYCLE_1) | instskip(NEXT) | instid1(SALU_CYCLE_1)
	s_or_b32 exec_lo, exec_lo, s21
	s_mov_b32 s21, exec_lo
	v_cmpx_lt_u32_e32 0xffffff, v146
	s_cbranch_execz .LBB324_240
; %bb.233:                              ;   in Loop: Header=BB324_13 Depth=1
	v_lshrrev_b32_e32 v146, 24, v146
	v_bfrev_b32_e32 v144, 1
	s_mov_b32 s22, exec_lo
	s_delay_alu instid0(VALU_DEP_2)
	v_cmpx_ne_u32_e32 0x80, v146
	s_cbranch_execz .LBB324_239
; %bb.234:                              ;   in Loop: Header=BB324_13 Depth=1
	v_and_b32_e32 v33, 0x7f, v146
	v_mov_b32_e32 v144, 0x7fc02000
	s_mov_b32 s23, exec_lo
	s_delay_alu instid0(VALU_DEP_2)
	v_cmpx_ne_u32_e32 0x7f, v33
	s_cbranch_execz .LBB324_238
; %bb.235:                              ;   in Loop: Header=BB324_13 Depth=1
	v_and_b32_e32 v7, 7, v146
	v_lshrrev_b32_e32 v144, 3, v33
	v_cmp_gt_u32_e64 s3, 8, v33
	s_delay_alu instid0(VALU_DEP_3) | instskip(NEXT) | instid1(VALU_DEP_2)
	v_dual_mov_b32 v34, v8 :: v_dual_mov_b32 v33, v7
	s_and_saveexec_b32 s24, s3
; %bb.236:                              ;   in Loop: Header=BB324_13 Depth=1
	v_clz_i32_u32_e32 v33, v7
	s_delay_alu instid0(VALU_DEP_1) | instskip(NEXT) | instid1(VALU_DEP_1)
	v_min_u32_e32 v144, 32, v33
	v_subrev_nc_u32_e32 v33, 28, v144
	v_sub_nc_u32_e32 v144, 29, v144
	s_delay_alu instid0(VALU_DEP_2) | instskip(NEXT) | instid1(VALU_DEP_1)
	v_lshlrev_b64 v[33:34], v33, v[7:8]
	v_and_b32_e32 v33, 7, v33
; %bb.237:                              ;   in Loop: Header=BB324_13 Depth=1
	s_or_b32 exec_lo, exec_lo, s24
	v_lshlrev_b32_e32 v7, 8, v146
	v_lshl_add_u32 v34, v144, 10, 0x2000
	s_delay_alu instid0(VALU_DEP_1) | instskip(NEXT) | instid1(VALU_DEP_1)
	v_and_or_b32 v7, 0x8000, v7, v34
	v_lshl_or_b32 v7, v33, 7, v7
	s_delay_alu instid0(VALU_DEP_1)
	v_cvt_f32_f16_e64 v144, v7
.LBB324_238:                            ;   in Loop: Header=BB324_13 Depth=1
	s_or_b32 exec_lo, exec_lo, s23
.LBB324_239:                            ;   in Loop: Header=BB324_13 Depth=1
	s_delay_alu instid0(SALU_CYCLE_1)
	s_or_b32 exec_lo, exec_lo, s22
.LBB324_240:                            ;   in Loop: Header=BB324_13 Depth=1
	s_delay_alu instid0(SALU_CYCLE_1)
	s_or_b32 exec_lo, exec_lo, s21
	flat_load_b32 v150, v[31:32] offset:776
	v_mov_b32_e32 v147, 0
	s_mov_b32 s21, exec_lo
	s_waitcnt vmcnt(0) lgkmcnt(0)
	v_dual_mov_b32 v146, 0 :: v_dual_and_b32 v7, 0xff, v150
	s_delay_alu instid0(VALU_DEP_1)
	v_cmpx_ne_u16_e32 0, v7
	s_cbranch_execz .LBB324_248
; %bb.241:                              ;   in Loop: Header=BB324_13 Depth=1
	v_bfrev_b32_e32 v146, 1
	s_mov_b32 s22, exec_lo
	v_cmpx_ne_u16_e32 0x80, v7
	s_cbranch_execz .LBB324_247
; %bb.242:                              ;   in Loop: Header=BB324_13 Depth=1
	v_and_b32_e32 v33, 0x7f, v150
	v_mov_b32_e32 v146, 0x7fc02000
	s_mov_b32 s23, exec_lo
	s_delay_alu instid0(VALU_DEP_2)
	v_cmpx_ne_u32_e32 0x7f, v33
	s_cbranch_execz .LBB324_246
; %bb.243:                              ;   in Loop: Header=BB324_13 Depth=1
	v_and_b32_e32 v7, 7, v150
	v_lshrrev_b32_e32 v146, 3, v33
	v_cmp_gt_u32_e64 s3, 8, v33
	s_delay_alu instid0(VALU_DEP_3) | instskip(NEXT) | instid1(VALU_DEP_2)
	v_dual_mov_b32 v34, v8 :: v_dual_mov_b32 v33, v7
	s_and_saveexec_b32 s24, s3
; %bb.244:                              ;   in Loop: Header=BB324_13 Depth=1
	v_clz_i32_u32_e32 v33, v7
	s_delay_alu instid0(VALU_DEP_1) | instskip(NEXT) | instid1(VALU_DEP_1)
	v_min_u32_e32 v146, 32, v33
	v_subrev_nc_u32_e32 v33, 28, v146
	v_sub_nc_u32_e32 v146, 29, v146
	s_delay_alu instid0(VALU_DEP_2) | instskip(NEXT) | instid1(VALU_DEP_1)
	v_lshlrev_b64 v[33:34], v33, v[7:8]
	v_and_b32_e32 v33, 7, v33
; %bb.245:                              ;   in Loop: Header=BB324_13 Depth=1
	s_or_b32 exec_lo, exec_lo, s24
	v_lshlrev_b32_e32 v7, 8, v150
	v_lshl_add_u32 v34, v146, 10, 0x2000
	s_delay_alu instid0(VALU_DEP_1) | instskip(NEXT) | instid1(VALU_DEP_1)
	v_and_or_b32 v7, 0x8000, v7, v34
	v_lshl_or_b32 v7, v33, 7, v7
	s_delay_alu instid0(VALU_DEP_1)
	v_cvt_f32_f16_e64 v146, v7
.LBB324_246:                            ;   in Loop: Header=BB324_13 Depth=1
	s_or_b32 exec_lo, exec_lo, s23
.LBB324_247:                            ;   in Loop: Header=BB324_13 Depth=1
	s_delay_alu instid0(SALU_CYCLE_1)
	s_or_b32 exec_lo, exec_lo, s22
.LBB324_248:                            ;   in Loop: Header=BB324_13 Depth=1
	s_delay_alu instid0(SALU_CYCLE_1) | instskip(SKIP_2) | instid1(VALU_DEP_1)
	s_or_b32 exec_lo, exec_lo, s21
	v_lshrrev_b16 v7, 8, v150
	s_mov_b32 s21, exec_lo
	v_cmpx_ne_u16_e32 0, v7
	s_cbranch_execz .LBB324_256
; %bb.249:                              ;   in Loop: Header=BB324_13 Depth=1
	v_bfrev_b32_e32 v147, 1
	s_mov_b32 s22, exec_lo
	v_cmpx_ne_u16_e32 0x80, v7
	s_cbranch_execz .LBB324_255
; %bb.250:                              ;   in Loop: Header=BB324_13 Depth=1
	v_and_b32_e32 v148, 0xffff, v7
	v_mov_b32_e32 v147, 0x7fc02000
	s_mov_b32 s23, exec_lo
	s_delay_alu instid0(VALU_DEP_2) | instskip(NEXT) | instid1(VALU_DEP_1)
	v_and_b32_e32 v33, 0x7f, v148
	v_cmpx_ne_u32_e32 0x7f, v33
	s_cbranch_execz .LBB324_254
; %bb.251:                              ;   in Loop: Header=BB324_13 Depth=1
	v_and_b32_e32 v7, 7, v148
	v_lshrrev_b32_e32 v147, 3, v33
	v_cmp_gt_u32_e64 s3, 8, v33
	s_delay_alu instid0(VALU_DEP_3) | instskip(NEXT) | instid1(VALU_DEP_2)
	v_dual_mov_b32 v34, v8 :: v_dual_mov_b32 v33, v7
	s_and_saveexec_b32 s24, s3
; %bb.252:                              ;   in Loop: Header=BB324_13 Depth=1
	v_clz_i32_u32_e32 v33, v7
	s_delay_alu instid0(VALU_DEP_1) | instskip(NEXT) | instid1(VALU_DEP_1)
	v_min_u32_e32 v147, 32, v33
	v_subrev_nc_u32_e32 v33, 28, v147
	v_sub_nc_u32_e32 v147, 29, v147
	s_delay_alu instid0(VALU_DEP_2) | instskip(NEXT) | instid1(VALU_DEP_1)
	v_lshlrev_b64 v[33:34], v33, v[7:8]
	v_and_b32_e32 v33, 7, v33
; %bb.253:                              ;   in Loop: Header=BB324_13 Depth=1
	s_or_b32 exec_lo, exec_lo, s24
	v_lshlrev_b32_e32 v7, 8, v148
	v_lshl_add_u32 v34, v147, 10, 0x2000
	s_delay_alu instid0(VALU_DEP_1) | instskip(NEXT) | instid1(VALU_DEP_1)
	v_and_or_b32 v7, 0x8000, v7, v34
	v_lshl_or_b32 v7, v33, 7, v7
	s_delay_alu instid0(VALU_DEP_1)
	v_cvt_f32_f16_e64 v147, v7
.LBB324_254:                            ;   in Loop: Header=BB324_13 Depth=1
	s_or_b32 exec_lo, exec_lo, s23
.LBB324_255:                            ;   in Loop: Header=BB324_13 Depth=1
	s_delay_alu instid0(SALU_CYCLE_1)
	s_or_b32 exec_lo, exec_lo, s22
.LBB324_256:                            ;   in Loop: Header=BB324_13 Depth=1
	s_delay_alu instid0(SALU_CYCLE_1) | instskip(SKIP_3) | instid1(VALU_DEP_2)
	s_or_b32 exec_lo, exec_lo, s21
	v_lshrrev_b32_e32 v151, 16, v150
	v_mov_b32_e32 v149, 0
	s_mov_b32 s21, exec_lo
	v_dual_mov_b32 v148, 0 :: v_dual_and_b32 v7, 0xff, v151
	s_delay_alu instid0(VALU_DEP_1)
	v_cmpx_ne_u16_e32 0, v7
	s_cbranch_execz .LBB324_264
; %bb.257:                              ;   in Loop: Header=BB324_13 Depth=1
	v_bfrev_b32_e32 v149, 1
	s_mov_b32 s22, exec_lo
	v_cmpx_ne_u16_e32 0x80, v7
	s_cbranch_execz .LBB324_263
; %bb.258:                              ;   in Loop: Header=BB324_13 Depth=1
	v_bfe_u32 v33, v150, 16, 7
	v_mov_b32_e32 v149, 0x7fc02000
	s_mov_b32 s23, exec_lo
	s_delay_alu instid0(VALU_DEP_2)
	v_cmpx_ne_u32_e32 0x7f, v33
	s_cbranch_execz .LBB324_262
; %bb.259:                              ;   in Loop: Header=BB324_13 Depth=1
	v_and_b32_e32 v7, 7, v151
	v_lshrrev_b32_e32 v149, 3, v33
	v_cmp_gt_u32_e64 s3, 8, v33
	s_delay_alu instid0(VALU_DEP_3) | instskip(NEXT) | instid1(VALU_DEP_2)
	v_dual_mov_b32 v34, v8 :: v_dual_mov_b32 v33, v7
	s_and_saveexec_b32 s24, s3
; %bb.260:                              ;   in Loop: Header=BB324_13 Depth=1
	v_clz_i32_u32_e32 v33, v7
	s_delay_alu instid0(VALU_DEP_1) | instskip(NEXT) | instid1(VALU_DEP_1)
	v_min_u32_e32 v149, 32, v33
	v_subrev_nc_u32_e32 v33, 28, v149
	v_sub_nc_u32_e32 v149, 29, v149
	s_delay_alu instid0(VALU_DEP_2) | instskip(NEXT) | instid1(VALU_DEP_1)
	v_lshlrev_b64 v[33:34], v33, v[7:8]
	v_and_b32_e32 v33, 7, v33
; %bb.261:                              ;   in Loop: Header=BB324_13 Depth=1
	s_or_b32 exec_lo, exec_lo, s24
	v_lshlrev_b32_e32 v7, 8, v151
	v_lshl_add_u32 v34, v149, 10, 0x2000
	s_delay_alu instid0(VALU_DEP_1) | instskip(NEXT) | instid1(VALU_DEP_1)
	v_and_or_b32 v7, 0x8000, v7, v34
	v_lshl_or_b32 v7, v33, 7, v7
	s_delay_alu instid0(VALU_DEP_1)
	v_cvt_f32_f16_e64 v149, v7
.LBB324_262:                            ;   in Loop: Header=BB324_13 Depth=1
	s_or_b32 exec_lo, exec_lo, s23
.LBB324_263:                            ;   in Loop: Header=BB324_13 Depth=1
	s_delay_alu instid0(SALU_CYCLE_1)
	s_or_b32 exec_lo, exec_lo, s22
.LBB324_264:                            ;   in Loop: Header=BB324_13 Depth=1
	s_delay_alu instid0(SALU_CYCLE_1) | instskip(NEXT) | instid1(SALU_CYCLE_1)
	s_or_b32 exec_lo, exec_lo, s21
	s_mov_b32 s21, exec_lo
	v_cmpx_lt_u32_e32 0xffffff, v150
	s_cbranch_execz .LBB324_272
; %bb.265:                              ;   in Loop: Header=BB324_13 Depth=1
	v_lshrrev_b32_e32 v150, 24, v150
	v_bfrev_b32_e32 v148, 1
	s_mov_b32 s22, exec_lo
	s_delay_alu instid0(VALU_DEP_2)
	v_cmpx_ne_u32_e32 0x80, v150
	s_cbranch_execz .LBB324_271
; %bb.266:                              ;   in Loop: Header=BB324_13 Depth=1
	v_and_b32_e32 v33, 0x7f, v150
	v_mov_b32_e32 v148, 0x7fc02000
	s_mov_b32 s23, exec_lo
	s_delay_alu instid0(VALU_DEP_2)
	v_cmpx_ne_u32_e32 0x7f, v33
	s_cbranch_execz .LBB324_270
; %bb.267:                              ;   in Loop: Header=BB324_13 Depth=1
	v_and_b32_e32 v7, 7, v150
	v_lshrrev_b32_e32 v148, 3, v33
	v_cmp_gt_u32_e64 s3, 8, v33
	s_delay_alu instid0(VALU_DEP_3) | instskip(NEXT) | instid1(VALU_DEP_2)
	v_dual_mov_b32 v34, v8 :: v_dual_mov_b32 v33, v7
	s_and_saveexec_b32 s24, s3
; %bb.268:                              ;   in Loop: Header=BB324_13 Depth=1
	v_clz_i32_u32_e32 v33, v7
	s_delay_alu instid0(VALU_DEP_1) | instskip(NEXT) | instid1(VALU_DEP_1)
	v_min_u32_e32 v148, 32, v33
	v_subrev_nc_u32_e32 v33, 28, v148
	v_sub_nc_u32_e32 v148, 29, v148
	s_delay_alu instid0(VALU_DEP_2) | instskip(NEXT) | instid1(VALU_DEP_1)
	v_lshlrev_b64 v[33:34], v33, v[7:8]
	v_and_b32_e32 v33, 7, v33
; %bb.269:                              ;   in Loop: Header=BB324_13 Depth=1
	s_or_b32 exec_lo, exec_lo, s24
	v_lshlrev_b32_e32 v7, 8, v150
	v_lshl_add_u32 v34, v148, 10, 0x2000
	s_delay_alu instid0(VALU_DEP_1) | instskip(NEXT) | instid1(VALU_DEP_1)
	v_and_or_b32 v7, 0x8000, v7, v34
	v_lshl_or_b32 v7, v33, 7, v7
	s_delay_alu instid0(VALU_DEP_1)
	v_cvt_f32_f16_e64 v148, v7
.LBB324_270:                            ;   in Loop: Header=BB324_13 Depth=1
	s_or_b32 exec_lo, exec_lo, s23
.LBB324_271:                            ;   in Loop: Header=BB324_13 Depth=1
	s_delay_alu instid0(SALU_CYCLE_1)
	s_or_b32 exec_lo, exec_lo, s22
.LBB324_272:                            ;   in Loop: Header=BB324_13 Depth=1
	s_delay_alu instid0(SALU_CYCLE_1)
	s_or_b32 exec_lo, exec_lo, s21
	flat_load_b32 v162, v[31:32] offset:1024
	v_mov_b32_e32 v151, 0
	s_mov_b32 s21, exec_lo
	s_waitcnt vmcnt(0) lgkmcnt(0)
	v_dual_mov_b32 v150, 0 :: v_dual_and_b32 v7, 0xff, v162
	s_delay_alu instid0(VALU_DEP_1)
	v_cmpx_ne_u16_e32 0, v7
	s_cbranch_execz .LBB324_280
; %bb.273:                              ;   in Loop: Header=BB324_13 Depth=1
	v_bfrev_b32_e32 v150, 1
	s_mov_b32 s22, exec_lo
	v_cmpx_ne_u16_e32 0x80, v7
	s_cbranch_execz .LBB324_279
; %bb.274:                              ;   in Loop: Header=BB324_13 Depth=1
	v_and_b32_e32 v33, 0x7f, v162
	v_mov_b32_e32 v150, 0x7fc02000
	s_mov_b32 s23, exec_lo
	s_delay_alu instid0(VALU_DEP_2)
	v_cmpx_ne_u32_e32 0x7f, v33
	s_cbranch_execz .LBB324_278
; %bb.275:                              ;   in Loop: Header=BB324_13 Depth=1
	v_and_b32_e32 v7, 7, v162
	v_lshrrev_b32_e32 v150, 3, v33
	v_cmp_gt_u32_e64 s3, 8, v33
	s_delay_alu instid0(VALU_DEP_3) | instskip(NEXT) | instid1(VALU_DEP_2)
	v_dual_mov_b32 v34, v8 :: v_dual_mov_b32 v33, v7
	s_and_saveexec_b32 s24, s3
; %bb.276:                              ;   in Loop: Header=BB324_13 Depth=1
	v_clz_i32_u32_e32 v33, v7
	s_delay_alu instid0(VALU_DEP_1) | instskip(NEXT) | instid1(VALU_DEP_1)
	v_min_u32_e32 v150, 32, v33
	v_subrev_nc_u32_e32 v33, 28, v150
	v_sub_nc_u32_e32 v150, 29, v150
	s_delay_alu instid0(VALU_DEP_2) | instskip(NEXT) | instid1(VALU_DEP_1)
	v_lshlrev_b64 v[33:34], v33, v[7:8]
	v_and_b32_e32 v33, 7, v33
; %bb.277:                              ;   in Loop: Header=BB324_13 Depth=1
	s_or_b32 exec_lo, exec_lo, s24
	v_lshlrev_b32_e32 v7, 8, v162
	v_lshl_add_u32 v34, v150, 10, 0x2000
	s_delay_alu instid0(VALU_DEP_1) | instskip(NEXT) | instid1(VALU_DEP_1)
	v_and_or_b32 v7, 0x8000, v7, v34
	v_lshl_or_b32 v7, v33, 7, v7
	s_delay_alu instid0(VALU_DEP_1)
	v_cvt_f32_f16_e64 v150, v7
.LBB324_278:                            ;   in Loop: Header=BB324_13 Depth=1
	s_or_b32 exec_lo, exec_lo, s23
.LBB324_279:                            ;   in Loop: Header=BB324_13 Depth=1
	s_delay_alu instid0(SALU_CYCLE_1)
	s_or_b32 exec_lo, exec_lo, s22
.LBB324_280:                            ;   in Loop: Header=BB324_13 Depth=1
	s_delay_alu instid0(SALU_CYCLE_1) | instskip(SKIP_2) | instid1(VALU_DEP_1)
	s_or_b32 exec_lo, exec_lo, s21
	v_lshrrev_b16 v7, 8, v162
	s_mov_b32 s21, exec_lo
	v_cmpx_ne_u16_e32 0, v7
	s_cbranch_execz .LBB324_288
; %bb.281:                              ;   in Loop: Header=BB324_13 Depth=1
	v_bfrev_b32_e32 v151, 1
	s_mov_b32 s22, exec_lo
	v_cmpx_ne_u16_e32 0x80, v7
	s_cbranch_execz .LBB324_287
; %bb.282:                              ;   in Loop: Header=BB324_13 Depth=1
	v_and_b32_e32 v160, 0xffff, v7
	v_mov_b32_e32 v151, 0x7fc02000
	s_mov_b32 s23, exec_lo
	s_delay_alu instid0(VALU_DEP_2) | instskip(NEXT) | instid1(VALU_DEP_1)
	v_and_b32_e32 v33, 0x7f, v160
	v_cmpx_ne_u32_e32 0x7f, v33
	s_cbranch_execz .LBB324_286
; %bb.283:                              ;   in Loop: Header=BB324_13 Depth=1
	v_and_b32_e32 v7, 7, v160
	v_lshrrev_b32_e32 v151, 3, v33
	v_cmp_gt_u32_e64 s3, 8, v33
	s_delay_alu instid0(VALU_DEP_3) | instskip(NEXT) | instid1(VALU_DEP_2)
	v_dual_mov_b32 v34, v8 :: v_dual_mov_b32 v33, v7
	s_and_saveexec_b32 s24, s3
; %bb.284:                              ;   in Loop: Header=BB324_13 Depth=1
	v_clz_i32_u32_e32 v33, v7
	s_delay_alu instid0(VALU_DEP_1) | instskip(NEXT) | instid1(VALU_DEP_1)
	v_min_u32_e32 v151, 32, v33
	v_subrev_nc_u32_e32 v33, 28, v151
	v_sub_nc_u32_e32 v151, 29, v151
	s_delay_alu instid0(VALU_DEP_2) | instskip(NEXT) | instid1(VALU_DEP_1)
	v_lshlrev_b64 v[33:34], v33, v[7:8]
	v_and_b32_e32 v33, 7, v33
; %bb.285:                              ;   in Loop: Header=BB324_13 Depth=1
	s_or_b32 exec_lo, exec_lo, s24
	v_lshlrev_b32_e32 v7, 8, v160
	v_lshl_add_u32 v34, v151, 10, 0x2000
	s_delay_alu instid0(VALU_DEP_1) | instskip(NEXT) | instid1(VALU_DEP_1)
	v_and_or_b32 v7, 0x8000, v7, v34
	v_lshl_or_b32 v7, v33, 7, v7
	s_delay_alu instid0(VALU_DEP_1)
	v_cvt_f32_f16_e64 v151, v7
.LBB324_286:                            ;   in Loop: Header=BB324_13 Depth=1
	s_or_b32 exec_lo, exec_lo, s23
.LBB324_287:                            ;   in Loop: Header=BB324_13 Depth=1
	s_delay_alu instid0(SALU_CYCLE_1)
	s_or_b32 exec_lo, exec_lo, s22
.LBB324_288:                            ;   in Loop: Header=BB324_13 Depth=1
	s_delay_alu instid0(SALU_CYCLE_1) | instskip(SKIP_3) | instid1(VALU_DEP_2)
	s_or_b32 exec_lo, exec_lo, s21
	v_lshrrev_b32_e32 v163, 16, v162
	v_mov_b32_e32 v161, 0
	s_mov_b32 s21, exec_lo
	v_dual_mov_b32 v160, 0 :: v_dual_and_b32 v7, 0xff, v163
	s_delay_alu instid0(VALU_DEP_1)
	v_cmpx_ne_u16_e32 0, v7
	s_cbranch_execz .LBB324_296
; %bb.289:                              ;   in Loop: Header=BB324_13 Depth=1
	v_bfrev_b32_e32 v161, 1
	s_mov_b32 s22, exec_lo
	v_cmpx_ne_u16_e32 0x80, v7
	s_cbranch_execz .LBB324_295
; %bb.290:                              ;   in Loop: Header=BB324_13 Depth=1
	v_bfe_u32 v33, v162, 16, 7
	v_mov_b32_e32 v161, 0x7fc02000
	s_mov_b32 s23, exec_lo
	s_delay_alu instid0(VALU_DEP_2)
	v_cmpx_ne_u32_e32 0x7f, v33
	s_cbranch_execz .LBB324_294
; %bb.291:                              ;   in Loop: Header=BB324_13 Depth=1
	v_and_b32_e32 v7, 7, v163
	v_lshrrev_b32_e32 v161, 3, v33
	v_cmp_gt_u32_e64 s3, 8, v33
	s_delay_alu instid0(VALU_DEP_3) | instskip(NEXT) | instid1(VALU_DEP_2)
	v_dual_mov_b32 v34, v8 :: v_dual_mov_b32 v33, v7
	s_and_saveexec_b32 s24, s3
; %bb.292:                              ;   in Loop: Header=BB324_13 Depth=1
	v_clz_i32_u32_e32 v33, v7
	s_delay_alu instid0(VALU_DEP_1) | instskip(NEXT) | instid1(VALU_DEP_1)
	v_min_u32_e32 v161, 32, v33
	v_subrev_nc_u32_e32 v33, 28, v161
	v_sub_nc_u32_e32 v161, 29, v161
	s_delay_alu instid0(VALU_DEP_2) | instskip(NEXT) | instid1(VALU_DEP_1)
	v_lshlrev_b64 v[33:34], v33, v[7:8]
	v_and_b32_e32 v33, 7, v33
; %bb.293:                              ;   in Loop: Header=BB324_13 Depth=1
	s_or_b32 exec_lo, exec_lo, s24
	v_lshlrev_b32_e32 v7, 8, v163
	v_lshl_add_u32 v34, v161, 10, 0x2000
	s_delay_alu instid0(VALU_DEP_1) | instskip(NEXT) | instid1(VALU_DEP_1)
	v_and_or_b32 v7, 0x8000, v7, v34
	v_lshl_or_b32 v7, v33, 7, v7
	s_delay_alu instid0(VALU_DEP_1)
	v_cvt_f32_f16_e64 v161, v7
.LBB324_294:                            ;   in Loop: Header=BB324_13 Depth=1
	s_or_b32 exec_lo, exec_lo, s23
.LBB324_295:                            ;   in Loop: Header=BB324_13 Depth=1
	s_delay_alu instid0(SALU_CYCLE_1)
	s_or_b32 exec_lo, exec_lo, s22
.LBB324_296:                            ;   in Loop: Header=BB324_13 Depth=1
	s_delay_alu instid0(SALU_CYCLE_1) | instskip(NEXT) | instid1(SALU_CYCLE_1)
	s_or_b32 exec_lo, exec_lo, s21
	s_mov_b32 s21, exec_lo
	v_cmpx_lt_u32_e32 0xffffff, v162
	s_cbranch_execz .LBB324_304
; %bb.297:                              ;   in Loop: Header=BB324_13 Depth=1
	v_lshrrev_b32_e32 v162, 24, v162
	v_bfrev_b32_e32 v160, 1
	s_mov_b32 s22, exec_lo
	s_delay_alu instid0(VALU_DEP_2)
	v_cmpx_ne_u32_e32 0x80, v162
	s_cbranch_execz .LBB324_303
; %bb.298:                              ;   in Loop: Header=BB324_13 Depth=1
	v_and_b32_e32 v33, 0x7f, v162
	v_mov_b32_e32 v160, 0x7fc02000
	s_mov_b32 s23, exec_lo
	s_delay_alu instid0(VALU_DEP_2)
	v_cmpx_ne_u32_e32 0x7f, v33
	s_cbranch_execz .LBB324_302
; %bb.299:                              ;   in Loop: Header=BB324_13 Depth=1
	v_and_b32_e32 v7, 7, v162
	v_lshrrev_b32_e32 v160, 3, v33
	v_cmp_gt_u32_e64 s3, 8, v33
	s_delay_alu instid0(VALU_DEP_3) | instskip(NEXT) | instid1(VALU_DEP_2)
	v_dual_mov_b32 v34, v8 :: v_dual_mov_b32 v33, v7
	s_and_saveexec_b32 s24, s3
; %bb.300:                              ;   in Loop: Header=BB324_13 Depth=1
	v_clz_i32_u32_e32 v33, v7
	s_delay_alu instid0(VALU_DEP_1) | instskip(NEXT) | instid1(VALU_DEP_1)
	v_min_u32_e32 v160, 32, v33
	v_subrev_nc_u32_e32 v33, 28, v160
	v_sub_nc_u32_e32 v160, 29, v160
	s_delay_alu instid0(VALU_DEP_2) | instskip(NEXT) | instid1(VALU_DEP_1)
	v_lshlrev_b64 v[33:34], v33, v[7:8]
	v_and_b32_e32 v33, 7, v33
; %bb.301:                              ;   in Loop: Header=BB324_13 Depth=1
	s_or_b32 exec_lo, exec_lo, s24
	v_lshlrev_b32_e32 v7, 8, v162
	v_lshl_add_u32 v34, v160, 10, 0x2000
	s_delay_alu instid0(VALU_DEP_1) | instskip(NEXT) | instid1(VALU_DEP_1)
	v_and_or_b32 v7, 0x8000, v7, v34
	v_lshl_or_b32 v7, v33, 7, v7
	s_delay_alu instid0(VALU_DEP_1)
	v_cvt_f32_f16_e64 v160, v7
.LBB324_302:                            ;   in Loop: Header=BB324_13 Depth=1
	s_or_b32 exec_lo, exec_lo, s23
.LBB324_303:                            ;   in Loop: Header=BB324_13 Depth=1
	s_delay_alu instid0(SALU_CYCLE_1)
	s_or_b32 exec_lo, exec_lo, s22
.LBB324_304:                            ;   in Loop: Header=BB324_13 Depth=1
	s_delay_alu instid0(SALU_CYCLE_1)
	s_or_b32 exec_lo, exec_lo, s21
	flat_load_b32 v166, v[31:32] offset:1032
	v_mov_b32_e32 v163, 0
	s_mov_b32 s21, exec_lo
	s_waitcnt vmcnt(0) lgkmcnt(0)
	v_dual_mov_b32 v162, 0 :: v_dual_and_b32 v7, 0xff, v166
	s_delay_alu instid0(VALU_DEP_1)
	v_cmpx_ne_u16_e32 0, v7
	s_cbranch_execz .LBB324_312
; %bb.305:                              ;   in Loop: Header=BB324_13 Depth=1
	v_bfrev_b32_e32 v162, 1
	s_mov_b32 s22, exec_lo
	v_cmpx_ne_u16_e32 0x80, v7
	s_cbranch_execz .LBB324_311
; %bb.306:                              ;   in Loop: Header=BB324_13 Depth=1
	v_and_b32_e32 v33, 0x7f, v166
	v_mov_b32_e32 v162, 0x7fc02000
	s_mov_b32 s23, exec_lo
	s_delay_alu instid0(VALU_DEP_2)
	v_cmpx_ne_u32_e32 0x7f, v33
	s_cbranch_execz .LBB324_310
; %bb.307:                              ;   in Loop: Header=BB324_13 Depth=1
	v_and_b32_e32 v7, 7, v166
	v_lshrrev_b32_e32 v162, 3, v33
	v_cmp_gt_u32_e64 s3, 8, v33
	s_delay_alu instid0(VALU_DEP_3) | instskip(NEXT) | instid1(VALU_DEP_2)
	v_dual_mov_b32 v34, v8 :: v_dual_mov_b32 v33, v7
	s_and_saveexec_b32 s24, s3
; %bb.308:                              ;   in Loop: Header=BB324_13 Depth=1
	v_clz_i32_u32_e32 v33, v7
	s_delay_alu instid0(VALU_DEP_1) | instskip(NEXT) | instid1(VALU_DEP_1)
	v_min_u32_e32 v162, 32, v33
	v_subrev_nc_u32_e32 v33, 28, v162
	v_sub_nc_u32_e32 v162, 29, v162
	s_delay_alu instid0(VALU_DEP_2) | instskip(NEXT) | instid1(VALU_DEP_1)
	v_lshlrev_b64 v[33:34], v33, v[7:8]
	v_and_b32_e32 v33, 7, v33
; %bb.309:                              ;   in Loop: Header=BB324_13 Depth=1
	s_or_b32 exec_lo, exec_lo, s24
	v_lshlrev_b32_e32 v7, 8, v166
	v_lshl_add_u32 v34, v162, 10, 0x2000
	s_delay_alu instid0(VALU_DEP_1) | instskip(NEXT) | instid1(VALU_DEP_1)
	v_and_or_b32 v7, 0x8000, v7, v34
	v_lshl_or_b32 v7, v33, 7, v7
	s_delay_alu instid0(VALU_DEP_1)
	v_cvt_f32_f16_e64 v162, v7
.LBB324_310:                            ;   in Loop: Header=BB324_13 Depth=1
	s_or_b32 exec_lo, exec_lo, s23
.LBB324_311:                            ;   in Loop: Header=BB324_13 Depth=1
	s_delay_alu instid0(SALU_CYCLE_1)
	s_or_b32 exec_lo, exec_lo, s22
.LBB324_312:                            ;   in Loop: Header=BB324_13 Depth=1
	s_delay_alu instid0(SALU_CYCLE_1) | instskip(SKIP_2) | instid1(VALU_DEP_1)
	s_or_b32 exec_lo, exec_lo, s21
	v_lshrrev_b16 v7, 8, v166
	s_mov_b32 s21, exec_lo
	v_cmpx_ne_u16_e32 0, v7
	s_cbranch_execz .LBB324_320
; %bb.313:                              ;   in Loop: Header=BB324_13 Depth=1
	v_bfrev_b32_e32 v163, 1
	s_mov_b32 s22, exec_lo
	v_cmpx_ne_u16_e32 0x80, v7
	s_cbranch_execz .LBB324_319
; %bb.314:                              ;   in Loop: Header=BB324_13 Depth=1
	v_and_b32_e32 v164, 0xffff, v7
	v_mov_b32_e32 v163, 0x7fc02000
	s_mov_b32 s23, exec_lo
	s_delay_alu instid0(VALU_DEP_2) | instskip(NEXT) | instid1(VALU_DEP_1)
	v_and_b32_e32 v33, 0x7f, v164
	v_cmpx_ne_u32_e32 0x7f, v33
	s_cbranch_execz .LBB324_318
; %bb.315:                              ;   in Loop: Header=BB324_13 Depth=1
	v_and_b32_e32 v7, 7, v164
	v_lshrrev_b32_e32 v163, 3, v33
	v_cmp_gt_u32_e64 s3, 8, v33
	s_delay_alu instid0(VALU_DEP_3) | instskip(NEXT) | instid1(VALU_DEP_2)
	v_dual_mov_b32 v34, v8 :: v_dual_mov_b32 v33, v7
	s_and_saveexec_b32 s24, s3
; %bb.316:                              ;   in Loop: Header=BB324_13 Depth=1
	v_clz_i32_u32_e32 v33, v7
	s_delay_alu instid0(VALU_DEP_1) | instskip(NEXT) | instid1(VALU_DEP_1)
	v_min_u32_e32 v163, 32, v33
	v_subrev_nc_u32_e32 v33, 28, v163
	v_sub_nc_u32_e32 v163, 29, v163
	s_delay_alu instid0(VALU_DEP_2) | instskip(NEXT) | instid1(VALU_DEP_1)
	v_lshlrev_b64 v[33:34], v33, v[7:8]
	v_and_b32_e32 v33, 7, v33
; %bb.317:                              ;   in Loop: Header=BB324_13 Depth=1
	s_or_b32 exec_lo, exec_lo, s24
	v_lshlrev_b32_e32 v7, 8, v164
	v_lshl_add_u32 v34, v163, 10, 0x2000
	s_delay_alu instid0(VALU_DEP_1) | instskip(NEXT) | instid1(VALU_DEP_1)
	v_and_or_b32 v7, 0x8000, v7, v34
	v_lshl_or_b32 v7, v33, 7, v7
	s_delay_alu instid0(VALU_DEP_1)
	v_cvt_f32_f16_e64 v163, v7
.LBB324_318:                            ;   in Loop: Header=BB324_13 Depth=1
	s_or_b32 exec_lo, exec_lo, s23
.LBB324_319:                            ;   in Loop: Header=BB324_13 Depth=1
	s_delay_alu instid0(SALU_CYCLE_1)
	s_or_b32 exec_lo, exec_lo, s22
.LBB324_320:                            ;   in Loop: Header=BB324_13 Depth=1
	s_delay_alu instid0(SALU_CYCLE_1) | instskip(SKIP_3) | instid1(VALU_DEP_2)
	s_or_b32 exec_lo, exec_lo, s21
	v_lshrrev_b32_e32 v167, 16, v166
	v_mov_b32_e32 v165, 0
	s_mov_b32 s21, exec_lo
	v_dual_mov_b32 v164, 0 :: v_dual_and_b32 v7, 0xff, v167
	s_delay_alu instid0(VALU_DEP_1)
	v_cmpx_ne_u16_e32 0, v7
	s_cbranch_execz .LBB324_328
; %bb.321:                              ;   in Loop: Header=BB324_13 Depth=1
	v_bfrev_b32_e32 v165, 1
	s_mov_b32 s22, exec_lo
	v_cmpx_ne_u16_e32 0x80, v7
	s_cbranch_execz .LBB324_327
; %bb.322:                              ;   in Loop: Header=BB324_13 Depth=1
	v_bfe_u32 v33, v166, 16, 7
	v_mov_b32_e32 v165, 0x7fc02000
	s_mov_b32 s23, exec_lo
	s_delay_alu instid0(VALU_DEP_2)
	v_cmpx_ne_u32_e32 0x7f, v33
	s_cbranch_execz .LBB324_326
; %bb.323:                              ;   in Loop: Header=BB324_13 Depth=1
	v_and_b32_e32 v7, 7, v167
	v_lshrrev_b32_e32 v165, 3, v33
	v_cmp_gt_u32_e64 s3, 8, v33
	s_delay_alu instid0(VALU_DEP_3) | instskip(NEXT) | instid1(VALU_DEP_2)
	v_dual_mov_b32 v34, v8 :: v_dual_mov_b32 v33, v7
	s_and_saveexec_b32 s24, s3
; %bb.324:                              ;   in Loop: Header=BB324_13 Depth=1
	v_clz_i32_u32_e32 v33, v7
	s_delay_alu instid0(VALU_DEP_1) | instskip(NEXT) | instid1(VALU_DEP_1)
	v_min_u32_e32 v165, 32, v33
	v_subrev_nc_u32_e32 v33, 28, v165
	v_sub_nc_u32_e32 v165, 29, v165
	s_delay_alu instid0(VALU_DEP_2) | instskip(NEXT) | instid1(VALU_DEP_1)
	v_lshlrev_b64 v[33:34], v33, v[7:8]
	v_and_b32_e32 v33, 7, v33
; %bb.325:                              ;   in Loop: Header=BB324_13 Depth=1
	s_or_b32 exec_lo, exec_lo, s24
	v_lshlrev_b32_e32 v7, 8, v167
	v_lshl_add_u32 v34, v165, 10, 0x2000
	s_delay_alu instid0(VALU_DEP_1) | instskip(NEXT) | instid1(VALU_DEP_1)
	v_and_or_b32 v7, 0x8000, v7, v34
	v_lshl_or_b32 v7, v33, 7, v7
	s_delay_alu instid0(VALU_DEP_1)
	v_cvt_f32_f16_e64 v165, v7
.LBB324_326:                            ;   in Loop: Header=BB324_13 Depth=1
	s_or_b32 exec_lo, exec_lo, s23
.LBB324_327:                            ;   in Loop: Header=BB324_13 Depth=1
	s_delay_alu instid0(SALU_CYCLE_1)
	s_or_b32 exec_lo, exec_lo, s22
.LBB324_328:                            ;   in Loop: Header=BB324_13 Depth=1
	s_delay_alu instid0(SALU_CYCLE_1) | instskip(NEXT) | instid1(SALU_CYCLE_1)
	s_or_b32 exec_lo, exec_lo, s21
	s_mov_b32 s21, exec_lo
	v_cmpx_lt_u32_e32 0xffffff, v166
	s_cbranch_execz .LBB324_336
; %bb.329:                              ;   in Loop: Header=BB324_13 Depth=1
	v_lshrrev_b32_e32 v166, 24, v166
	v_bfrev_b32_e32 v164, 1
	s_mov_b32 s22, exec_lo
	s_delay_alu instid0(VALU_DEP_2)
	v_cmpx_ne_u32_e32 0x80, v166
	s_cbranch_execz .LBB324_335
; %bb.330:                              ;   in Loop: Header=BB324_13 Depth=1
	v_and_b32_e32 v33, 0x7f, v166
	v_mov_b32_e32 v164, 0x7fc02000
	s_mov_b32 s23, exec_lo
	s_delay_alu instid0(VALU_DEP_2)
	v_cmpx_ne_u32_e32 0x7f, v33
	s_cbranch_execz .LBB324_334
; %bb.331:                              ;   in Loop: Header=BB324_13 Depth=1
	v_and_b32_e32 v7, 7, v166
	v_lshrrev_b32_e32 v164, 3, v33
	v_cmp_gt_u32_e64 s3, 8, v33
	s_delay_alu instid0(VALU_DEP_3) | instskip(NEXT) | instid1(VALU_DEP_2)
	v_dual_mov_b32 v34, v8 :: v_dual_mov_b32 v33, v7
	s_and_saveexec_b32 s24, s3
; %bb.332:                              ;   in Loop: Header=BB324_13 Depth=1
	v_clz_i32_u32_e32 v33, v7
	s_delay_alu instid0(VALU_DEP_1) | instskip(NEXT) | instid1(VALU_DEP_1)
	v_min_u32_e32 v164, 32, v33
	v_subrev_nc_u32_e32 v33, 28, v164
	v_sub_nc_u32_e32 v164, 29, v164
	s_delay_alu instid0(VALU_DEP_2) | instskip(NEXT) | instid1(VALU_DEP_1)
	v_lshlrev_b64 v[33:34], v33, v[7:8]
	v_and_b32_e32 v33, 7, v33
; %bb.333:                              ;   in Loop: Header=BB324_13 Depth=1
	s_or_b32 exec_lo, exec_lo, s24
	v_lshlrev_b32_e32 v7, 8, v166
	v_lshl_add_u32 v34, v164, 10, 0x2000
	s_delay_alu instid0(VALU_DEP_1) | instskip(NEXT) | instid1(VALU_DEP_1)
	v_and_or_b32 v7, 0x8000, v7, v34
	v_lshl_or_b32 v7, v33, 7, v7
	s_delay_alu instid0(VALU_DEP_1)
	v_cvt_f32_f16_e64 v164, v7
.LBB324_334:                            ;   in Loop: Header=BB324_13 Depth=1
	s_or_b32 exec_lo, exec_lo, s23
.LBB324_335:                            ;   in Loop: Header=BB324_13 Depth=1
	s_delay_alu instid0(SALU_CYCLE_1)
	s_or_b32 exec_lo, exec_lo, s22
.LBB324_336:                            ;   in Loop: Header=BB324_13 Depth=1
	s_delay_alu instid0(SALU_CYCLE_1)
	s_or_b32 exec_lo, exec_lo, s21
	flat_load_b32 v178, v[31:32] offset:1280
	v_mov_b32_e32 v167, 0
	s_mov_b32 s21, exec_lo
	s_waitcnt vmcnt(0) lgkmcnt(0)
	v_dual_mov_b32 v166, 0 :: v_dual_and_b32 v7, 0xff, v178
	s_delay_alu instid0(VALU_DEP_1)
	v_cmpx_ne_u16_e32 0, v7
	s_cbranch_execz .LBB324_344
; %bb.337:                              ;   in Loop: Header=BB324_13 Depth=1
	v_bfrev_b32_e32 v166, 1
	s_mov_b32 s22, exec_lo
	v_cmpx_ne_u16_e32 0x80, v7
	s_cbranch_execz .LBB324_343
; %bb.338:                              ;   in Loop: Header=BB324_13 Depth=1
	v_and_b32_e32 v33, 0x7f, v178
	v_mov_b32_e32 v166, 0x7fc02000
	s_mov_b32 s23, exec_lo
	s_delay_alu instid0(VALU_DEP_2)
	v_cmpx_ne_u32_e32 0x7f, v33
	s_cbranch_execz .LBB324_342
; %bb.339:                              ;   in Loop: Header=BB324_13 Depth=1
	v_and_b32_e32 v7, 7, v178
	v_lshrrev_b32_e32 v166, 3, v33
	v_cmp_gt_u32_e64 s3, 8, v33
	s_delay_alu instid0(VALU_DEP_3) | instskip(NEXT) | instid1(VALU_DEP_2)
	v_dual_mov_b32 v34, v8 :: v_dual_mov_b32 v33, v7
	s_and_saveexec_b32 s24, s3
; %bb.340:                              ;   in Loop: Header=BB324_13 Depth=1
	v_clz_i32_u32_e32 v33, v7
	s_delay_alu instid0(VALU_DEP_1) | instskip(NEXT) | instid1(VALU_DEP_1)
	v_min_u32_e32 v166, 32, v33
	v_subrev_nc_u32_e32 v33, 28, v166
	v_sub_nc_u32_e32 v166, 29, v166
	s_delay_alu instid0(VALU_DEP_2) | instskip(NEXT) | instid1(VALU_DEP_1)
	v_lshlrev_b64 v[33:34], v33, v[7:8]
	v_and_b32_e32 v33, 7, v33
; %bb.341:                              ;   in Loop: Header=BB324_13 Depth=1
	s_or_b32 exec_lo, exec_lo, s24
	v_lshlrev_b32_e32 v7, 8, v178
	v_lshl_add_u32 v34, v166, 10, 0x2000
	s_delay_alu instid0(VALU_DEP_1) | instskip(NEXT) | instid1(VALU_DEP_1)
	v_and_or_b32 v7, 0x8000, v7, v34
	v_lshl_or_b32 v7, v33, 7, v7
	s_delay_alu instid0(VALU_DEP_1)
	v_cvt_f32_f16_e64 v166, v7
.LBB324_342:                            ;   in Loop: Header=BB324_13 Depth=1
	s_or_b32 exec_lo, exec_lo, s23
.LBB324_343:                            ;   in Loop: Header=BB324_13 Depth=1
	s_delay_alu instid0(SALU_CYCLE_1)
	s_or_b32 exec_lo, exec_lo, s22
.LBB324_344:                            ;   in Loop: Header=BB324_13 Depth=1
	s_delay_alu instid0(SALU_CYCLE_1) | instskip(SKIP_2) | instid1(VALU_DEP_1)
	s_or_b32 exec_lo, exec_lo, s21
	v_lshrrev_b16 v7, 8, v178
	s_mov_b32 s21, exec_lo
	v_cmpx_ne_u16_e32 0, v7
	s_cbranch_execz .LBB324_352
; %bb.345:                              ;   in Loop: Header=BB324_13 Depth=1
	v_bfrev_b32_e32 v167, 1
	s_mov_b32 s22, exec_lo
	v_cmpx_ne_u16_e32 0x80, v7
	s_cbranch_execz .LBB324_351
; %bb.346:                              ;   in Loop: Header=BB324_13 Depth=1
	v_and_b32_e32 v176, 0xffff, v7
	v_mov_b32_e32 v167, 0x7fc02000
	s_mov_b32 s23, exec_lo
	s_delay_alu instid0(VALU_DEP_2) | instskip(NEXT) | instid1(VALU_DEP_1)
	v_and_b32_e32 v33, 0x7f, v176
	v_cmpx_ne_u32_e32 0x7f, v33
	s_cbranch_execz .LBB324_350
; %bb.347:                              ;   in Loop: Header=BB324_13 Depth=1
	v_and_b32_e32 v7, 7, v176
	v_lshrrev_b32_e32 v167, 3, v33
	v_cmp_gt_u32_e64 s3, 8, v33
	s_delay_alu instid0(VALU_DEP_3) | instskip(NEXT) | instid1(VALU_DEP_2)
	v_dual_mov_b32 v34, v8 :: v_dual_mov_b32 v33, v7
	s_and_saveexec_b32 s24, s3
; %bb.348:                              ;   in Loop: Header=BB324_13 Depth=1
	v_clz_i32_u32_e32 v33, v7
	s_delay_alu instid0(VALU_DEP_1) | instskip(NEXT) | instid1(VALU_DEP_1)
	v_min_u32_e32 v167, 32, v33
	v_subrev_nc_u32_e32 v33, 28, v167
	v_sub_nc_u32_e32 v167, 29, v167
	s_delay_alu instid0(VALU_DEP_2) | instskip(NEXT) | instid1(VALU_DEP_1)
	v_lshlrev_b64 v[33:34], v33, v[7:8]
	v_and_b32_e32 v33, 7, v33
; %bb.349:                              ;   in Loop: Header=BB324_13 Depth=1
	s_or_b32 exec_lo, exec_lo, s24
	v_lshlrev_b32_e32 v7, 8, v176
	v_lshl_add_u32 v34, v167, 10, 0x2000
	s_delay_alu instid0(VALU_DEP_1) | instskip(NEXT) | instid1(VALU_DEP_1)
	v_and_or_b32 v7, 0x8000, v7, v34
	v_lshl_or_b32 v7, v33, 7, v7
	s_delay_alu instid0(VALU_DEP_1)
	v_cvt_f32_f16_e64 v167, v7
.LBB324_350:                            ;   in Loop: Header=BB324_13 Depth=1
	s_or_b32 exec_lo, exec_lo, s23
.LBB324_351:                            ;   in Loop: Header=BB324_13 Depth=1
	s_delay_alu instid0(SALU_CYCLE_1)
	s_or_b32 exec_lo, exec_lo, s22
.LBB324_352:                            ;   in Loop: Header=BB324_13 Depth=1
	s_delay_alu instid0(SALU_CYCLE_1) | instskip(SKIP_3) | instid1(VALU_DEP_2)
	s_or_b32 exec_lo, exec_lo, s21
	v_lshrrev_b32_e32 v179, 16, v178
	v_mov_b32_e32 v177, 0
	s_mov_b32 s21, exec_lo
	v_dual_mov_b32 v176, 0 :: v_dual_and_b32 v7, 0xff, v179
	s_delay_alu instid0(VALU_DEP_1)
	v_cmpx_ne_u16_e32 0, v7
	s_cbranch_execz .LBB324_360
; %bb.353:                              ;   in Loop: Header=BB324_13 Depth=1
	v_bfrev_b32_e32 v177, 1
	s_mov_b32 s22, exec_lo
	v_cmpx_ne_u16_e32 0x80, v7
	s_cbranch_execz .LBB324_359
; %bb.354:                              ;   in Loop: Header=BB324_13 Depth=1
	v_bfe_u32 v33, v178, 16, 7
	v_mov_b32_e32 v177, 0x7fc02000
	s_mov_b32 s23, exec_lo
	s_delay_alu instid0(VALU_DEP_2)
	v_cmpx_ne_u32_e32 0x7f, v33
	s_cbranch_execz .LBB324_358
; %bb.355:                              ;   in Loop: Header=BB324_13 Depth=1
	v_and_b32_e32 v7, 7, v179
	v_lshrrev_b32_e32 v177, 3, v33
	v_cmp_gt_u32_e64 s3, 8, v33
	s_delay_alu instid0(VALU_DEP_3) | instskip(NEXT) | instid1(VALU_DEP_2)
	v_dual_mov_b32 v34, v8 :: v_dual_mov_b32 v33, v7
	s_and_saveexec_b32 s24, s3
; %bb.356:                              ;   in Loop: Header=BB324_13 Depth=1
	v_clz_i32_u32_e32 v33, v7
	s_delay_alu instid0(VALU_DEP_1) | instskip(NEXT) | instid1(VALU_DEP_1)
	v_min_u32_e32 v177, 32, v33
	v_subrev_nc_u32_e32 v33, 28, v177
	v_sub_nc_u32_e32 v177, 29, v177
	s_delay_alu instid0(VALU_DEP_2) | instskip(NEXT) | instid1(VALU_DEP_1)
	v_lshlrev_b64 v[33:34], v33, v[7:8]
	v_and_b32_e32 v33, 7, v33
; %bb.357:                              ;   in Loop: Header=BB324_13 Depth=1
	s_or_b32 exec_lo, exec_lo, s24
	v_lshlrev_b32_e32 v7, 8, v179
	v_lshl_add_u32 v34, v177, 10, 0x2000
	s_delay_alu instid0(VALU_DEP_1) | instskip(NEXT) | instid1(VALU_DEP_1)
	v_and_or_b32 v7, 0x8000, v7, v34
	v_lshl_or_b32 v7, v33, 7, v7
	s_delay_alu instid0(VALU_DEP_1)
	v_cvt_f32_f16_e64 v177, v7
.LBB324_358:                            ;   in Loop: Header=BB324_13 Depth=1
	s_or_b32 exec_lo, exec_lo, s23
.LBB324_359:                            ;   in Loop: Header=BB324_13 Depth=1
	s_delay_alu instid0(SALU_CYCLE_1)
	s_or_b32 exec_lo, exec_lo, s22
.LBB324_360:                            ;   in Loop: Header=BB324_13 Depth=1
	s_delay_alu instid0(SALU_CYCLE_1) | instskip(NEXT) | instid1(SALU_CYCLE_1)
	s_or_b32 exec_lo, exec_lo, s21
	s_mov_b32 s21, exec_lo
	v_cmpx_lt_u32_e32 0xffffff, v178
	s_cbranch_execz .LBB324_368
; %bb.361:                              ;   in Loop: Header=BB324_13 Depth=1
	v_lshrrev_b32_e32 v178, 24, v178
	v_bfrev_b32_e32 v176, 1
	s_mov_b32 s22, exec_lo
	s_delay_alu instid0(VALU_DEP_2)
	v_cmpx_ne_u32_e32 0x80, v178
	s_cbranch_execz .LBB324_367
; %bb.362:                              ;   in Loop: Header=BB324_13 Depth=1
	v_and_b32_e32 v33, 0x7f, v178
	v_mov_b32_e32 v176, 0x7fc02000
	s_mov_b32 s23, exec_lo
	s_delay_alu instid0(VALU_DEP_2)
	v_cmpx_ne_u32_e32 0x7f, v33
	s_cbranch_execz .LBB324_366
; %bb.363:                              ;   in Loop: Header=BB324_13 Depth=1
	v_and_b32_e32 v7, 7, v178
	v_lshrrev_b32_e32 v176, 3, v33
	v_cmp_gt_u32_e64 s3, 8, v33
	s_delay_alu instid0(VALU_DEP_3) | instskip(NEXT) | instid1(VALU_DEP_2)
	v_dual_mov_b32 v34, v8 :: v_dual_mov_b32 v33, v7
	s_and_saveexec_b32 s24, s3
; %bb.364:                              ;   in Loop: Header=BB324_13 Depth=1
	v_clz_i32_u32_e32 v33, v7
	s_delay_alu instid0(VALU_DEP_1) | instskip(NEXT) | instid1(VALU_DEP_1)
	v_min_u32_e32 v176, 32, v33
	v_subrev_nc_u32_e32 v33, 28, v176
	v_sub_nc_u32_e32 v176, 29, v176
	s_delay_alu instid0(VALU_DEP_2) | instskip(NEXT) | instid1(VALU_DEP_1)
	v_lshlrev_b64 v[33:34], v33, v[7:8]
	v_and_b32_e32 v33, 7, v33
; %bb.365:                              ;   in Loop: Header=BB324_13 Depth=1
	s_or_b32 exec_lo, exec_lo, s24
	v_lshlrev_b32_e32 v7, 8, v178
	v_lshl_add_u32 v34, v176, 10, 0x2000
	s_delay_alu instid0(VALU_DEP_1) | instskip(NEXT) | instid1(VALU_DEP_1)
	v_and_or_b32 v7, 0x8000, v7, v34
	v_lshl_or_b32 v7, v33, 7, v7
	s_delay_alu instid0(VALU_DEP_1)
	v_cvt_f32_f16_e64 v176, v7
.LBB324_366:                            ;   in Loop: Header=BB324_13 Depth=1
	s_or_b32 exec_lo, exec_lo, s23
.LBB324_367:                            ;   in Loop: Header=BB324_13 Depth=1
	s_delay_alu instid0(SALU_CYCLE_1)
	s_or_b32 exec_lo, exec_lo, s22
.LBB324_368:                            ;   in Loop: Header=BB324_13 Depth=1
	s_delay_alu instid0(SALU_CYCLE_1)
	s_or_b32 exec_lo, exec_lo, s21
	flat_load_b32 v182, v[31:32] offset:1288
	v_mov_b32_e32 v179, 0
	s_mov_b32 s21, exec_lo
	s_waitcnt vmcnt(0) lgkmcnt(0)
	v_dual_mov_b32 v178, 0 :: v_dual_and_b32 v7, 0xff, v182
	s_delay_alu instid0(VALU_DEP_1)
	v_cmpx_ne_u16_e32 0, v7
	s_cbranch_execz .LBB324_376
; %bb.369:                              ;   in Loop: Header=BB324_13 Depth=1
	v_bfrev_b32_e32 v178, 1
	s_mov_b32 s22, exec_lo
	v_cmpx_ne_u16_e32 0x80, v7
	s_cbranch_execz .LBB324_375
; %bb.370:                              ;   in Loop: Header=BB324_13 Depth=1
	v_and_b32_e32 v33, 0x7f, v182
	v_mov_b32_e32 v178, 0x7fc02000
	s_mov_b32 s23, exec_lo
	s_delay_alu instid0(VALU_DEP_2)
	v_cmpx_ne_u32_e32 0x7f, v33
	s_cbranch_execz .LBB324_374
; %bb.371:                              ;   in Loop: Header=BB324_13 Depth=1
	v_and_b32_e32 v7, 7, v182
	v_lshrrev_b32_e32 v178, 3, v33
	v_cmp_gt_u32_e64 s3, 8, v33
	s_delay_alu instid0(VALU_DEP_3) | instskip(NEXT) | instid1(VALU_DEP_2)
	v_dual_mov_b32 v34, v8 :: v_dual_mov_b32 v33, v7
	s_and_saveexec_b32 s24, s3
; %bb.372:                              ;   in Loop: Header=BB324_13 Depth=1
	v_clz_i32_u32_e32 v33, v7
	s_delay_alu instid0(VALU_DEP_1) | instskip(NEXT) | instid1(VALU_DEP_1)
	v_min_u32_e32 v178, 32, v33
	v_subrev_nc_u32_e32 v33, 28, v178
	v_sub_nc_u32_e32 v178, 29, v178
	s_delay_alu instid0(VALU_DEP_2) | instskip(NEXT) | instid1(VALU_DEP_1)
	v_lshlrev_b64 v[33:34], v33, v[7:8]
	v_and_b32_e32 v33, 7, v33
; %bb.373:                              ;   in Loop: Header=BB324_13 Depth=1
	s_or_b32 exec_lo, exec_lo, s24
	v_lshlrev_b32_e32 v7, 8, v182
	v_lshl_add_u32 v34, v178, 10, 0x2000
	s_delay_alu instid0(VALU_DEP_1) | instskip(NEXT) | instid1(VALU_DEP_1)
	v_and_or_b32 v7, 0x8000, v7, v34
	v_lshl_or_b32 v7, v33, 7, v7
	s_delay_alu instid0(VALU_DEP_1)
	v_cvt_f32_f16_e64 v178, v7
.LBB324_374:                            ;   in Loop: Header=BB324_13 Depth=1
	s_or_b32 exec_lo, exec_lo, s23
.LBB324_375:                            ;   in Loop: Header=BB324_13 Depth=1
	s_delay_alu instid0(SALU_CYCLE_1)
	s_or_b32 exec_lo, exec_lo, s22
.LBB324_376:                            ;   in Loop: Header=BB324_13 Depth=1
	s_delay_alu instid0(SALU_CYCLE_1) | instskip(SKIP_2) | instid1(VALU_DEP_1)
	s_or_b32 exec_lo, exec_lo, s21
	v_lshrrev_b16 v7, 8, v182
	s_mov_b32 s21, exec_lo
	v_cmpx_ne_u16_e32 0, v7
	s_cbranch_execz .LBB324_384
; %bb.377:                              ;   in Loop: Header=BB324_13 Depth=1
	v_bfrev_b32_e32 v179, 1
	s_mov_b32 s22, exec_lo
	v_cmpx_ne_u16_e32 0x80, v7
	s_cbranch_execz .LBB324_383
; %bb.378:                              ;   in Loop: Header=BB324_13 Depth=1
	v_and_b32_e32 v180, 0xffff, v7
	v_mov_b32_e32 v179, 0x7fc02000
	s_mov_b32 s23, exec_lo
	s_delay_alu instid0(VALU_DEP_2) | instskip(NEXT) | instid1(VALU_DEP_1)
	v_and_b32_e32 v33, 0x7f, v180
	v_cmpx_ne_u32_e32 0x7f, v33
	s_cbranch_execz .LBB324_382
; %bb.379:                              ;   in Loop: Header=BB324_13 Depth=1
	v_and_b32_e32 v7, 7, v180
	v_lshrrev_b32_e32 v179, 3, v33
	v_cmp_gt_u32_e64 s3, 8, v33
	s_delay_alu instid0(VALU_DEP_3) | instskip(NEXT) | instid1(VALU_DEP_2)
	v_dual_mov_b32 v34, v8 :: v_dual_mov_b32 v33, v7
	s_and_saveexec_b32 s24, s3
; %bb.380:                              ;   in Loop: Header=BB324_13 Depth=1
	v_clz_i32_u32_e32 v33, v7
	s_delay_alu instid0(VALU_DEP_1) | instskip(NEXT) | instid1(VALU_DEP_1)
	v_min_u32_e32 v179, 32, v33
	v_subrev_nc_u32_e32 v33, 28, v179
	v_sub_nc_u32_e32 v179, 29, v179
	s_delay_alu instid0(VALU_DEP_2) | instskip(NEXT) | instid1(VALU_DEP_1)
	v_lshlrev_b64 v[33:34], v33, v[7:8]
	v_and_b32_e32 v33, 7, v33
; %bb.381:                              ;   in Loop: Header=BB324_13 Depth=1
	s_or_b32 exec_lo, exec_lo, s24
	v_lshlrev_b32_e32 v7, 8, v180
	v_lshl_add_u32 v34, v179, 10, 0x2000
	s_delay_alu instid0(VALU_DEP_1) | instskip(NEXT) | instid1(VALU_DEP_1)
	v_and_or_b32 v7, 0x8000, v7, v34
	v_lshl_or_b32 v7, v33, 7, v7
	s_delay_alu instid0(VALU_DEP_1)
	v_cvt_f32_f16_e64 v179, v7
.LBB324_382:                            ;   in Loop: Header=BB324_13 Depth=1
	s_or_b32 exec_lo, exec_lo, s23
.LBB324_383:                            ;   in Loop: Header=BB324_13 Depth=1
	s_delay_alu instid0(SALU_CYCLE_1)
	s_or_b32 exec_lo, exec_lo, s22
.LBB324_384:                            ;   in Loop: Header=BB324_13 Depth=1
	s_delay_alu instid0(SALU_CYCLE_1) | instskip(SKIP_3) | instid1(VALU_DEP_2)
	s_or_b32 exec_lo, exec_lo, s21
	v_lshrrev_b32_e32 v183, 16, v182
	v_mov_b32_e32 v181, 0
	s_mov_b32 s21, exec_lo
	v_dual_mov_b32 v180, 0 :: v_dual_and_b32 v7, 0xff, v183
	s_delay_alu instid0(VALU_DEP_1)
	v_cmpx_ne_u16_e32 0, v7
	s_cbranch_execz .LBB324_392
; %bb.385:                              ;   in Loop: Header=BB324_13 Depth=1
	v_bfrev_b32_e32 v181, 1
	s_mov_b32 s22, exec_lo
	v_cmpx_ne_u16_e32 0x80, v7
	s_cbranch_execz .LBB324_391
; %bb.386:                              ;   in Loop: Header=BB324_13 Depth=1
	v_bfe_u32 v33, v182, 16, 7
	v_mov_b32_e32 v181, 0x7fc02000
	s_mov_b32 s23, exec_lo
	s_delay_alu instid0(VALU_DEP_2)
	v_cmpx_ne_u32_e32 0x7f, v33
	s_cbranch_execz .LBB324_390
; %bb.387:                              ;   in Loop: Header=BB324_13 Depth=1
	v_and_b32_e32 v7, 7, v183
	v_lshrrev_b32_e32 v181, 3, v33
	v_cmp_gt_u32_e64 s3, 8, v33
	s_delay_alu instid0(VALU_DEP_3) | instskip(NEXT) | instid1(VALU_DEP_2)
	v_dual_mov_b32 v34, v8 :: v_dual_mov_b32 v33, v7
	s_and_saveexec_b32 s24, s3
; %bb.388:                              ;   in Loop: Header=BB324_13 Depth=1
	v_clz_i32_u32_e32 v33, v7
	s_delay_alu instid0(VALU_DEP_1) | instskip(NEXT) | instid1(VALU_DEP_1)
	v_min_u32_e32 v181, 32, v33
	v_subrev_nc_u32_e32 v33, 28, v181
	v_sub_nc_u32_e32 v181, 29, v181
	s_delay_alu instid0(VALU_DEP_2) | instskip(NEXT) | instid1(VALU_DEP_1)
	v_lshlrev_b64 v[33:34], v33, v[7:8]
	v_and_b32_e32 v33, 7, v33
; %bb.389:                              ;   in Loop: Header=BB324_13 Depth=1
	s_or_b32 exec_lo, exec_lo, s24
	v_lshlrev_b32_e32 v7, 8, v183
	v_lshl_add_u32 v34, v181, 10, 0x2000
	s_delay_alu instid0(VALU_DEP_1) | instskip(NEXT) | instid1(VALU_DEP_1)
	v_and_or_b32 v7, 0x8000, v7, v34
	v_lshl_or_b32 v7, v33, 7, v7
	s_delay_alu instid0(VALU_DEP_1)
	v_cvt_f32_f16_e64 v181, v7
.LBB324_390:                            ;   in Loop: Header=BB324_13 Depth=1
	s_or_b32 exec_lo, exec_lo, s23
.LBB324_391:                            ;   in Loop: Header=BB324_13 Depth=1
	s_delay_alu instid0(SALU_CYCLE_1)
	s_or_b32 exec_lo, exec_lo, s22
.LBB324_392:                            ;   in Loop: Header=BB324_13 Depth=1
	s_delay_alu instid0(SALU_CYCLE_1) | instskip(NEXT) | instid1(SALU_CYCLE_1)
	s_or_b32 exec_lo, exec_lo, s21
	s_mov_b32 s21, exec_lo
	v_cmpx_lt_u32_e32 0xffffff, v182
	s_cbranch_execz .LBB324_400
; %bb.393:                              ;   in Loop: Header=BB324_13 Depth=1
	v_lshrrev_b32_e32 v182, 24, v182
	v_bfrev_b32_e32 v180, 1
	s_mov_b32 s22, exec_lo
	s_delay_alu instid0(VALU_DEP_2)
	v_cmpx_ne_u32_e32 0x80, v182
	s_cbranch_execz .LBB324_399
; %bb.394:                              ;   in Loop: Header=BB324_13 Depth=1
	v_and_b32_e32 v33, 0x7f, v182
	v_mov_b32_e32 v180, 0x7fc02000
	s_mov_b32 s23, exec_lo
	s_delay_alu instid0(VALU_DEP_2)
	v_cmpx_ne_u32_e32 0x7f, v33
	s_cbranch_execz .LBB324_398
; %bb.395:                              ;   in Loop: Header=BB324_13 Depth=1
	v_and_b32_e32 v7, 7, v182
	v_lshrrev_b32_e32 v180, 3, v33
	v_cmp_gt_u32_e64 s3, 8, v33
	s_delay_alu instid0(VALU_DEP_3) | instskip(NEXT) | instid1(VALU_DEP_2)
	v_dual_mov_b32 v34, v8 :: v_dual_mov_b32 v33, v7
	s_and_saveexec_b32 s24, s3
; %bb.396:                              ;   in Loop: Header=BB324_13 Depth=1
	v_clz_i32_u32_e32 v33, v7
	s_delay_alu instid0(VALU_DEP_1) | instskip(NEXT) | instid1(VALU_DEP_1)
	v_min_u32_e32 v180, 32, v33
	v_subrev_nc_u32_e32 v33, 28, v180
	v_sub_nc_u32_e32 v180, 29, v180
	s_delay_alu instid0(VALU_DEP_2) | instskip(NEXT) | instid1(VALU_DEP_1)
	v_lshlrev_b64 v[33:34], v33, v[7:8]
	v_and_b32_e32 v33, 7, v33
; %bb.397:                              ;   in Loop: Header=BB324_13 Depth=1
	s_or_b32 exec_lo, exec_lo, s24
	v_lshlrev_b32_e32 v7, 8, v182
	v_lshl_add_u32 v34, v180, 10, 0x2000
	s_delay_alu instid0(VALU_DEP_1) | instskip(NEXT) | instid1(VALU_DEP_1)
	v_and_or_b32 v7, 0x8000, v7, v34
	v_lshl_or_b32 v7, v33, 7, v7
	s_delay_alu instid0(VALU_DEP_1)
	v_cvt_f32_f16_e64 v180, v7
.LBB324_398:                            ;   in Loop: Header=BB324_13 Depth=1
	s_or_b32 exec_lo, exec_lo, s23
.LBB324_399:                            ;   in Loop: Header=BB324_13 Depth=1
	s_delay_alu instid0(SALU_CYCLE_1)
	s_or_b32 exec_lo, exec_lo, s22
.LBB324_400:                            ;   in Loop: Header=BB324_13 Depth=1
	s_delay_alu instid0(SALU_CYCLE_1)
	s_or_b32 exec_lo, exec_lo, s21
	flat_load_b32 v42, v[31:32] offset:1536
	v_mov_b32_e32 v183, 0
	s_mov_b32 s21, exec_lo
	s_waitcnt vmcnt(0) lgkmcnt(0)
	v_dual_mov_b32 v182, 0 :: v_dual_and_b32 v7, 0xff, v42
	s_delay_alu instid0(VALU_DEP_1)
	v_cmpx_ne_u16_e32 0, v7
	s_cbranch_execz .LBB324_408
; %bb.401:                              ;   in Loop: Header=BB324_13 Depth=1
	v_bfrev_b32_e32 v182, 1
	s_mov_b32 s22, exec_lo
	v_cmpx_ne_u16_e32 0x80, v7
	s_cbranch_execz .LBB324_407
; %bb.402:                              ;   in Loop: Header=BB324_13 Depth=1
	v_and_b32_e32 v33, 0x7f, v42
	v_mov_b32_e32 v182, 0x7fc02000
	s_mov_b32 s23, exec_lo
	s_delay_alu instid0(VALU_DEP_2)
	v_cmpx_ne_u32_e32 0x7f, v33
	s_cbranch_execz .LBB324_406
; %bb.403:                              ;   in Loop: Header=BB324_13 Depth=1
	v_and_b32_e32 v7, 7, v42
	v_lshrrev_b32_e32 v182, 3, v33
	v_cmp_gt_u32_e64 s3, 8, v33
	s_delay_alu instid0(VALU_DEP_3) | instskip(NEXT) | instid1(VALU_DEP_2)
	v_dual_mov_b32 v34, v8 :: v_dual_mov_b32 v33, v7
	s_and_saveexec_b32 s24, s3
; %bb.404:                              ;   in Loop: Header=BB324_13 Depth=1
	v_clz_i32_u32_e32 v33, v7
	s_delay_alu instid0(VALU_DEP_1) | instskip(NEXT) | instid1(VALU_DEP_1)
	v_min_u32_e32 v182, 32, v33
	v_subrev_nc_u32_e32 v33, 28, v182
	v_sub_nc_u32_e32 v182, 29, v182
	s_delay_alu instid0(VALU_DEP_2) | instskip(NEXT) | instid1(VALU_DEP_1)
	v_lshlrev_b64 v[33:34], v33, v[7:8]
	v_and_b32_e32 v33, 7, v33
; %bb.405:                              ;   in Loop: Header=BB324_13 Depth=1
	s_or_b32 exec_lo, exec_lo, s24
	v_lshlrev_b32_e32 v7, 8, v42
	v_lshl_add_u32 v34, v182, 10, 0x2000
	s_delay_alu instid0(VALU_DEP_1) | instskip(NEXT) | instid1(VALU_DEP_1)
	v_and_or_b32 v7, 0x8000, v7, v34
	v_lshl_or_b32 v7, v33, 7, v7
	s_delay_alu instid0(VALU_DEP_1)
	v_cvt_f32_f16_e64 v182, v7
.LBB324_406:                            ;   in Loop: Header=BB324_13 Depth=1
	s_or_b32 exec_lo, exec_lo, s23
.LBB324_407:                            ;   in Loop: Header=BB324_13 Depth=1
	s_delay_alu instid0(SALU_CYCLE_1)
	s_or_b32 exec_lo, exec_lo, s22
.LBB324_408:                            ;   in Loop: Header=BB324_13 Depth=1
	s_delay_alu instid0(SALU_CYCLE_1) | instskip(SKIP_2) | instid1(VALU_DEP_1)
	s_or_b32 exec_lo, exec_lo, s21
	v_lshrrev_b16 v7, 8, v42
	s_mov_b32 s21, exec_lo
	v_cmpx_ne_u16_e32 0, v7
	s_cbranch_execz .LBB324_416
; %bb.409:                              ;   in Loop: Header=BB324_13 Depth=1
	v_bfrev_b32_e32 v183, 1
	s_mov_b32 s22, exec_lo
	v_cmpx_ne_u16_e32 0x80, v7
	s_cbranch_execz .LBB324_415
; %bb.410:                              ;   in Loop: Header=BB324_13 Depth=1
	v_and_b32_e32 v40, 0xffff, v7
	v_mov_b32_e32 v183, 0x7fc02000
	s_mov_b32 s23, exec_lo
	s_delay_alu instid0(VALU_DEP_2) | instskip(NEXT) | instid1(VALU_DEP_1)
	v_and_b32_e32 v33, 0x7f, v40
	v_cmpx_ne_u32_e32 0x7f, v33
	s_cbranch_execz .LBB324_414
; %bb.411:                              ;   in Loop: Header=BB324_13 Depth=1
	v_and_b32_e32 v7, 7, v40
	v_lshrrev_b32_e32 v183, 3, v33
	v_cmp_gt_u32_e64 s3, 8, v33
	s_delay_alu instid0(VALU_DEP_3) | instskip(NEXT) | instid1(VALU_DEP_2)
	v_dual_mov_b32 v34, v8 :: v_dual_mov_b32 v33, v7
	s_and_saveexec_b32 s24, s3
; %bb.412:                              ;   in Loop: Header=BB324_13 Depth=1
	v_clz_i32_u32_e32 v33, v7
	s_delay_alu instid0(VALU_DEP_1) | instskip(NEXT) | instid1(VALU_DEP_1)
	v_min_u32_e32 v183, 32, v33
	v_subrev_nc_u32_e32 v33, 28, v183
	v_sub_nc_u32_e32 v183, 29, v183
	s_delay_alu instid0(VALU_DEP_2) | instskip(NEXT) | instid1(VALU_DEP_1)
	v_lshlrev_b64 v[33:34], v33, v[7:8]
	v_and_b32_e32 v33, 7, v33
; %bb.413:                              ;   in Loop: Header=BB324_13 Depth=1
	s_or_b32 exec_lo, exec_lo, s24
	v_lshlrev_b32_e32 v7, 8, v40
	v_lshl_add_u32 v34, v183, 10, 0x2000
	s_delay_alu instid0(VALU_DEP_1) | instskip(NEXT) | instid1(VALU_DEP_1)
	v_and_or_b32 v7, 0x8000, v7, v34
	v_lshl_or_b32 v7, v33, 7, v7
	s_delay_alu instid0(VALU_DEP_1)
	v_cvt_f32_f16_e64 v183, v7
.LBB324_414:                            ;   in Loop: Header=BB324_13 Depth=1
	s_or_b32 exec_lo, exec_lo, s23
.LBB324_415:                            ;   in Loop: Header=BB324_13 Depth=1
	s_delay_alu instid0(SALU_CYCLE_1)
	s_or_b32 exec_lo, exec_lo, s22
.LBB324_416:                            ;   in Loop: Header=BB324_13 Depth=1
	s_delay_alu instid0(SALU_CYCLE_1) | instskip(SKIP_3) | instid1(VALU_DEP_2)
	s_or_b32 exec_lo, exec_lo, s21
	v_lshrrev_b32_e32 v43, 16, v42
	v_mov_b32_e32 v41, 0
	s_mov_b32 s21, exec_lo
	v_dual_mov_b32 v40, 0 :: v_dual_and_b32 v7, 0xff, v43
	s_delay_alu instid0(VALU_DEP_1)
	v_cmpx_ne_u16_e32 0, v7
	s_cbranch_execz .LBB324_424
; %bb.417:                              ;   in Loop: Header=BB324_13 Depth=1
	v_bfrev_b32_e32 v41, 1
	s_mov_b32 s22, exec_lo
	v_cmpx_ne_u16_e32 0x80, v7
	s_cbranch_execz .LBB324_423
; %bb.418:                              ;   in Loop: Header=BB324_13 Depth=1
	v_bfe_u32 v33, v42, 16, 7
	v_mov_b32_e32 v41, 0x7fc02000
	s_mov_b32 s23, exec_lo
	s_delay_alu instid0(VALU_DEP_2)
	v_cmpx_ne_u32_e32 0x7f, v33
	s_cbranch_execz .LBB324_422
; %bb.419:                              ;   in Loop: Header=BB324_13 Depth=1
	v_and_b32_e32 v7, 7, v43
	v_lshrrev_b32_e32 v41, 3, v33
	v_cmp_gt_u32_e64 s3, 8, v33
	s_delay_alu instid0(VALU_DEP_3) | instskip(NEXT) | instid1(VALU_DEP_2)
	v_dual_mov_b32 v34, v8 :: v_dual_mov_b32 v33, v7
	s_and_saveexec_b32 s24, s3
; %bb.420:                              ;   in Loop: Header=BB324_13 Depth=1
	v_clz_i32_u32_e32 v33, v7
	s_delay_alu instid0(VALU_DEP_1) | instskip(NEXT) | instid1(VALU_DEP_1)
	v_min_u32_e32 v41, 32, v33
	v_subrev_nc_u32_e32 v33, 28, v41
	v_sub_nc_u32_e32 v41, 29, v41
	s_delay_alu instid0(VALU_DEP_2) | instskip(NEXT) | instid1(VALU_DEP_1)
	v_lshlrev_b64 v[33:34], v33, v[7:8]
	v_and_b32_e32 v33, 7, v33
; %bb.421:                              ;   in Loop: Header=BB324_13 Depth=1
	s_or_b32 exec_lo, exec_lo, s24
	v_lshlrev_b32_e32 v7, 8, v43
	v_lshl_add_u32 v34, v41, 10, 0x2000
	s_delay_alu instid0(VALU_DEP_1) | instskip(NEXT) | instid1(VALU_DEP_1)
	v_and_or_b32 v7, 0x8000, v7, v34
	v_lshl_or_b32 v7, v33, 7, v7
	s_delay_alu instid0(VALU_DEP_1)
	v_cvt_f32_f16_e32 v41, v7
.LBB324_422:                            ;   in Loop: Header=BB324_13 Depth=1
	s_or_b32 exec_lo, exec_lo, s23
.LBB324_423:                            ;   in Loop: Header=BB324_13 Depth=1
	s_delay_alu instid0(SALU_CYCLE_1)
	s_or_b32 exec_lo, exec_lo, s22
.LBB324_424:                            ;   in Loop: Header=BB324_13 Depth=1
	s_delay_alu instid0(SALU_CYCLE_1) | instskip(NEXT) | instid1(SALU_CYCLE_1)
	s_or_b32 exec_lo, exec_lo, s21
	s_mov_b32 s21, exec_lo
	v_cmpx_lt_u32_e32 0xffffff, v42
	s_cbranch_execz .LBB324_432
; %bb.425:                              ;   in Loop: Header=BB324_13 Depth=1
	v_lshrrev_b32_e32 v42, 24, v42
	v_bfrev_b32_e32 v40, 1
	s_mov_b32 s22, exec_lo
	s_delay_alu instid0(VALU_DEP_2)
	v_cmpx_ne_u32_e32 0x80, v42
	s_cbranch_execz .LBB324_431
; %bb.426:                              ;   in Loop: Header=BB324_13 Depth=1
	v_and_b32_e32 v33, 0x7f, v42
	v_mov_b32_e32 v40, 0x7fc02000
	s_mov_b32 s23, exec_lo
	s_delay_alu instid0(VALU_DEP_2)
	v_cmpx_ne_u32_e32 0x7f, v33
	s_cbranch_execz .LBB324_430
; %bb.427:                              ;   in Loop: Header=BB324_13 Depth=1
	v_and_b32_e32 v7, 7, v42
	v_lshrrev_b32_e32 v40, 3, v33
	v_cmp_gt_u32_e64 s3, 8, v33
	s_delay_alu instid0(VALU_DEP_3) | instskip(NEXT) | instid1(VALU_DEP_2)
	v_dual_mov_b32 v34, v8 :: v_dual_mov_b32 v33, v7
	s_and_saveexec_b32 s24, s3
; %bb.428:                              ;   in Loop: Header=BB324_13 Depth=1
	v_clz_i32_u32_e32 v33, v7
	s_delay_alu instid0(VALU_DEP_1) | instskip(NEXT) | instid1(VALU_DEP_1)
	v_min_u32_e32 v40, 32, v33
	v_subrev_nc_u32_e32 v33, 28, v40
	v_sub_nc_u32_e32 v40, 29, v40
	s_delay_alu instid0(VALU_DEP_2) | instskip(NEXT) | instid1(VALU_DEP_1)
	v_lshlrev_b64 v[33:34], v33, v[7:8]
	v_and_b32_e32 v33, 7, v33
; %bb.429:                              ;   in Loop: Header=BB324_13 Depth=1
	s_or_b32 exec_lo, exec_lo, s24
	v_lshlrev_b32_e32 v7, 8, v42
	v_lshl_add_u32 v34, v40, 10, 0x2000
	s_delay_alu instid0(VALU_DEP_1) | instskip(NEXT) | instid1(VALU_DEP_1)
	v_and_or_b32 v7, 0x8000, v7, v34
	v_lshl_or_b32 v7, v33, 7, v7
	s_delay_alu instid0(VALU_DEP_1)
	v_cvt_f32_f16_e32 v40, v7
.LBB324_430:                            ;   in Loop: Header=BB324_13 Depth=1
	s_or_b32 exec_lo, exec_lo, s23
.LBB324_431:                            ;   in Loop: Header=BB324_13 Depth=1
	s_delay_alu instid0(SALU_CYCLE_1)
	s_or_b32 exec_lo, exec_lo, s22
.LBB324_432:                            ;   in Loop: Header=BB324_13 Depth=1
	s_delay_alu instid0(SALU_CYCLE_1)
	s_or_b32 exec_lo, exec_lo, s21
	flat_load_b32 v46, v[31:32] offset:1544
	v_mov_b32_e32 v43, 0
	s_mov_b32 s21, exec_lo
	s_waitcnt vmcnt(0) lgkmcnt(0)
	v_dual_mov_b32 v42, 0 :: v_dual_and_b32 v7, 0xff, v46
	s_delay_alu instid0(VALU_DEP_1)
	v_cmpx_ne_u16_e32 0, v7
	s_cbranch_execz .LBB324_440
; %bb.433:                              ;   in Loop: Header=BB324_13 Depth=1
	v_bfrev_b32_e32 v42, 1
	s_mov_b32 s22, exec_lo
	v_cmpx_ne_u16_e32 0x80, v7
	s_cbranch_execz .LBB324_439
; %bb.434:                              ;   in Loop: Header=BB324_13 Depth=1
	v_and_b32_e32 v33, 0x7f, v46
	v_mov_b32_e32 v42, 0x7fc02000
	s_mov_b32 s23, exec_lo
	s_delay_alu instid0(VALU_DEP_2)
	v_cmpx_ne_u32_e32 0x7f, v33
	s_cbranch_execz .LBB324_438
; %bb.435:                              ;   in Loop: Header=BB324_13 Depth=1
	v_and_b32_e32 v7, 7, v46
	v_lshrrev_b32_e32 v42, 3, v33
	v_cmp_gt_u32_e64 s3, 8, v33
	s_delay_alu instid0(VALU_DEP_3) | instskip(NEXT) | instid1(VALU_DEP_2)
	v_dual_mov_b32 v34, v8 :: v_dual_mov_b32 v33, v7
	s_and_saveexec_b32 s24, s3
; %bb.436:                              ;   in Loop: Header=BB324_13 Depth=1
	v_clz_i32_u32_e32 v33, v7
	s_delay_alu instid0(VALU_DEP_1) | instskip(NEXT) | instid1(VALU_DEP_1)
	v_min_u32_e32 v42, 32, v33
	v_subrev_nc_u32_e32 v33, 28, v42
	v_sub_nc_u32_e32 v42, 29, v42
	s_delay_alu instid0(VALU_DEP_2) | instskip(NEXT) | instid1(VALU_DEP_1)
	v_lshlrev_b64 v[33:34], v33, v[7:8]
	v_and_b32_e32 v33, 7, v33
; %bb.437:                              ;   in Loop: Header=BB324_13 Depth=1
	s_or_b32 exec_lo, exec_lo, s24
	v_lshlrev_b32_e32 v7, 8, v46
	v_lshl_add_u32 v34, v42, 10, 0x2000
	s_delay_alu instid0(VALU_DEP_1) | instskip(NEXT) | instid1(VALU_DEP_1)
	v_and_or_b32 v7, 0x8000, v7, v34
	v_lshl_or_b32 v7, v33, 7, v7
	s_delay_alu instid0(VALU_DEP_1)
	v_cvt_f32_f16_e32 v42, v7
.LBB324_438:                            ;   in Loop: Header=BB324_13 Depth=1
	s_or_b32 exec_lo, exec_lo, s23
.LBB324_439:                            ;   in Loop: Header=BB324_13 Depth=1
	s_delay_alu instid0(SALU_CYCLE_1)
	s_or_b32 exec_lo, exec_lo, s22
.LBB324_440:                            ;   in Loop: Header=BB324_13 Depth=1
	s_delay_alu instid0(SALU_CYCLE_1) | instskip(SKIP_2) | instid1(VALU_DEP_1)
	s_or_b32 exec_lo, exec_lo, s21
	v_lshrrev_b16 v7, 8, v46
	s_mov_b32 s21, exec_lo
	v_cmpx_ne_u16_e32 0, v7
	s_cbranch_execz .LBB324_448
; %bb.441:                              ;   in Loop: Header=BB324_13 Depth=1
	v_bfrev_b32_e32 v43, 1
	s_mov_b32 s22, exec_lo
	v_cmpx_ne_u16_e32 0x80, v7
	s_cbranch_execz .LBB324_447
; %bb.442:                              ;   in Loop: Header=BB324_13 Depth=1
	v_and_b32_e32 v44, 0xffff, v7
	v_mov_b32_e32 v43, 0x7fc02000
	s_mov_b32 s23, exec_lo
	s_delay_alu instid0(VALU_DEP_2) | instskip(NEXT) | instid1(VALU_DEP_1)
	v_and_b32_e32 v33, 0x7f, v44
	v_cmpx_ne_u32_e32 0x7f, v33
	s_cbranch_execz .LBB324_446
; %bb.443:                              ;   in Loop: Header=BB324_13 Depth=1
	v_and_b32_e32 v7, 7, v44
	v_lshrrev_b32_e32 v43, 3, v33
	v_cmp_gt_u32_e64 s3, 8, v33
	s_delay_alu instid0(VALU_DEP_3) | instskip(NEXT) | instid1(VALU_DEP_2)
	v_dual_mov_b32 v34, v8 :: v_dual_mov_b32 v33, v7
	s_and_saveexec_b32 s24, s3
; %bb.444:                              ;   in Loop: Header=BB324_13 Depth=1
	v_clz_i32_u32_e32 v33, v7
	s_delay_alu instid0(VALU_DEP_1) | instskip(NEXT) | instid1(VALU_DEP_1)
	v_min_u32_e32 v43, 32, v33
	v_subrev_nc_u32_e32 v33, 28, v43
	v_sub_nc_u32_e32 v43, 29, v43
	s_delay_alu instid0(VALU_DEP_2) | instskip(NEXT) | instid1(VALU_DEP_1)
	v_lshlrev_b64 v[33:34], v33, v[7:8]
	v_and_b32_e32 v33, 7, v33
; %bb.445:                              ;   in Loop: Header=BB324_13 Depth=1
	s_or_b32 exec_lo, exec_lo, s24
	v_lshlrev_b32_e32 v7, 8, v44
	v_lshl_add_u32 v34, v43, 10, 0x2000
	s_delay_alu instid0(VALU_DEP_1) | instskip(NEXT) | instid1(VALU_DEP_1)
	v_and_or_b32 v7, 0x8000, v7, v34
	v_lshl_or_b32 v7, v33, 7, v7
	s_delay_alu instid0(VALU_DEP_1)
	v_cvt_f32_f16_e32 v43, v7
.LBB324_446:                            ;   in Loop: Header=BB324_13 Depth=1
	s_or_b32 exec_lo, exec_lo, s23
.LBB324_447:                            ;   in Loop: Header=BB324_13 Depth=1
	s_delay_alu instid0(SALU_CYCLE_1)
	s_or_b32 exec_lo, exec_lo, s22
.LBB324_448:                            ;   in Loop: Header=BB324_13 Depth=1
	s_delay_alu instid0(SALU_CYCLE_1) | instskip(SKIP_3) | instid1(VALU_DEP_2)
	s_or_b32 exec_lo, exec_lo, s21
	v_lshrrev_b32_e32 v47, 16, v46
	v_mov_b32_e32 v45, 0
	s_mov_b32 s21, exec_lo
	v_dual_mov_b32 v44, 0 :: v_dual_and_b32 v7, 0xff, v47
	s_delay_alu instid0(VALU_DEP_1)
	v_cmpx_ne_u16_e32 0, v7
	s_cbranch_execz .LBB324_456
; %bb.449:                              ;   in Loop: Header=BB324_13 Depth=1
	v_bfrev_b32_e32 v45, 1
	s_mov_b32 s22, exec_lo
	v_cmpx_ne_u16_e32 0x80, v7
	s_cbranch_execz .LBB324_455
; %bb.450:                              ;   in Loop: Header=BB324_13 Depth=1
	v_bfe_u32 v33, v46, 16, 7
	v_mov_b32_e32 v45, 0x7fc02000
	s_mov_b32 s23, exec_lo
	s_delay_alu instid0(VALU_DEP_2)
	v_cmpx_ne_u32_e32 0x7f, v33
	s_cbranch_execz .LBB324_454
; %bb.451:                              ;   in Loop: Header=BB324_13 Depth=1
	v_and_b32_e32 v7, 7, v47
	v_lshrrev_b32_e32 v45, 3, v33
	v_cmp_gt_u32_e64 s3, 8, v33
	s_delay_alu instid0(VALU_DEP_3) | instskip(NEXT) | instid1(VALU_DEP_2)
	v_dual_mov_b32 v34, v8 :: v_dual_mov_b32 v33, v7
	s_and_saveexec_b32 s24, s3
; %bb.452:                              ;   in Loop: Header=BB324_13 Depth=1
	v_clz_i32_u32_e32 v33, v7
	s_delay_alu instid0(VALU_DEP_1) | instskip(NEXT) | instid1(VALU_DEP_1)
	v_min_u32_e32 v45, 32, v33
	v_subrev_nc_u32_e32 v33, 28, v45
	v_sub_nc_u32_e32 v45, 29, v45
	s_delay_alu instid0(VALU_DEP_2) | instskip(NEXT) | instid1(VALU_DEP_1)
	v_lshlrev_b64 v[33:34], v33, v[7:8]
	v_and_b32_e32 v33, 7, v33
; %bb.453:                              ;   in Loop: Header=BB324_13 Depth=1
	s_or_b32 exec_lo, exec_lo, s24
	v_lshlrev_b32_e32 v7, 8, v47
	v_lshl_add_u32 v34, v45, 10, 0x2000
	s_delay_alu instid0(VALU_DEP_1) | instskip(NEXT) | instid1(VALU_DEP_1)
	v_and_or_b32 v7, 0x8000, v7, v34
	v_lshl_or_b32 v7, v33, 7, v7
	s_delay_alu instid0(VALU_DEP_1)
	v_cvt_f32_f16_e32 v45, v7
.LBB324_454:                            ;   in Loop: Header=BB324_13 Depth=1
	s_or_b32 exec_lo, exec_lo, s23
.LBB324_455:                            ;   in Loop: Header=BB324_13 Depth=1
	s_delay_alu instid0(SALU_CYCLE_1)
	s_or_b32 exec_lo, exec_lo, s22
.LBB324_456:                            ;   in Loop: Header=BB324_13 Depth=1
	s_delay_alu instid0(SALU_CYCLE_1) | instskip(NEXT) | instid1(SALU_CYCLE_1)
	s_or_b32 exec_lo, exec_lo, s21
	s_mov_b32 s21, exec_lo
	v_cmpx_lt_u32_e32 0xffffff, v46
	s_cbranch_execz .LBB324_464
; %bb.457:                              ;   in Loop: Header=BB324_13 Depth=1
	v_lshrrev_b32_e32 v46, 24, v46
	v_bfrev_b32_e32 v44, 1
	s_mov_b32 s22, exec_lo
	s_delay_alu instid0(VALU_DEP_2)
	v_cmpx_ne_u32_e32 0x80, v46
	s_cbranch_execz .LBB324_463
; %bb.458:                              ;   in Loop: Header=BB324_13 Depth=1
	v_and_b32_e32 v33, 0x7f, v46
	v_mov_b32_e32 v44, 0x7fc02000
	s_mov_b32 s23, exec_lo
	s_delay_alu instid0(VALU_DEP_2)
	v_cmpx_ne_u32_e32 0x7f, v33
	s_cbranch_execz .LBB324_462
; %bb.459:                              ;   in Loop: Header=BB324_13 Depth=1
	v_and_b32_e32 v7, 7, v46
	v_lshrrev_b32_e32 v44, 3, v33
	v_cmp_gt_u32_e64 s3, 8, v33
	s_delay_alu instid0(VALU_DEP_3) | instskip(NEXT) | instid1(VALU_DEP_2)
	v_dual_mov_b32 v34, v8 :: v_dual_mov_b32 v33, v7
	s_and_saveexec_b32 s24, s3
; %bb.460:                              ;   in Loop: Header=BB324_13 Depth=1
	v_clz_i32_u32_e32 v33, v7
	s_delay_alu instid0(VALU_DEP_1) | instskip(NEXT) | instid1(VALU_DEP_1)
	v_min_u32_e32 v44, 32, v33
	v_subrev_nc_u32_e32 v33, 28, v44
	v_sub_nc_u32_e32 v44, 29, v44
	s_delay_alu instid0(VALU_DEP_2) | instskip(NEXT) | instid1(VALU_DEP_1)
	v_lshlrev_b64 v[33:34], v33, v[7:8]
	v_and_b32_e32 v33, 7, v33
; %bb.461:                              ;   in Loop: Header=BB324_13 Depth=1
	s_or_b32 exec_lo, exec_lo, s24
	v_lshlrev_b32_e32 v7, 8, v46
	v_lshl_add_u32 v34, v44, 10, 0x2000
	s_delay_alu instid0(VALU_DEP_1) | instskip(NEXT) | instid1(VALU_DEP_1)
	v_and_or_b32 v7, 0x8000, v7, v34
	v_lshl_or_b32 v7, v33, 7, v7
	s_delay_alu instid0(VALU_DEP_1)
	v_cvt_f32_f16_e32 v44, v7
.LBB324_462:                            ;   in Loop: Header=BB324_13 Depth=1
	s_or_b32 exec_lo, exec_lo, s23
.LBB324_463:                            ;   in Loop: Header=BB324_13 Depth=1
	s_delay_alu instid0(SALU_CYCLE_1)
	s_or_b32 exec_lo, exec_lo, s22
.LBB324_464:                            ;   in Loop: Header=BB324_13 Depth=1
	s_delay_alu instid0(SALU_CYCLE_1)
	s_or_b32 exec_lo, exec_lo, s21
	flat_load_b32 v58, v[31:32] offset:1792
	v_mov_b32_e32 v47, 0
	s_mov_b32 s21, exec_lo
	s_waitcnt vmcnt(0) lgkmcnt(0)
	v_dual_mov_b32 v46, 0 :: v_dual_and_b32 v7, 0xff, v58
	s_delay_alu instid0(VALU_DEP_1)
	v_cmpx_ne_u16_e32 0, v7
	s_cbranch_execz .LBB324_472
; %bb.465:                              ;   in Loop: Header=BB324_13 Depth=1
	v_bfrev_b32_e32 v46, 1
	s_mov_b32 s22, exec_lo
	v_cmpx_ne_u16_e32 0x80, v7
	s_cbranch_execz .LBB324_471
; %bb.466:                              ;   in Loop: Header=BB324_13 Depth=1
	v_and_b32_e32 v33, 0x7f, v58
	v_mov_b32_e32 v46, 0x7fc02000
	s_mov_b32 s23, exec_lo
	s_delay_alu instid0(VALU_DEP_2)
	v_cmpx_ne_u32_e32 0x7f, v33
	s_cbranch_execz .LBB324_470
; %bb.467:                              ;   in Loop: Header=BB324_13 Depth=1
	v_and_b32_e32 v7, 7, v58
	v_lshrrev_b32_e32 v46, 3, v33
	v_cmp_gt_u32_e64 s3, 8, v33
	s_delay_alu instid0(VALU_DEP_3) | instskip(NEXT) | instid1(VALU_DEP_2)
	v_dual_mov_b32 v34, v8 :: v_dual_mov_b32 v33, v7
	s_and_saveexec_b32 s24, s3
; %bb.468:                              ;   in Loop: Header=BB324_13 Depth=1
	v_clz_i32_u32_e32 v33, v7
	s_delay_alu instid0(VALU_DEP_1) | instskip(NEXT) | instid1(VALU_DEP_1)
	v_min_u32_e32 v46, 32, v33
	v_subrev_nc_u32_e32 v33, 28, v46
	v_sub_nc_u32_e32 v46, 29, v46
	s_delay_alu instid0(VALU_DEP_2) | instskip(NEXT) | instid1(VALU_DEP_1)
	v_lshlrev_b64 v[33:34], v33, v[7:8]
	v_and_b32_e32 v33, 7, v33
; %bb.469:                              ;   in Loop: Header=BB324_13 Depth=1
	s_or_b32 exec_lo, exec_lo, s24
	v_lshlrev_b32_e32 v7, 8, v58
	v_lshl_add_u32 v34, v46, 10, 0x2000
	s_delay_alu instid0(VALU_DEP_1) | instskip(NEXT) | instid1(VALU_DEP_1)
	v_and_or_b32 v7, 0x8000, v7, v34
	v_lshl_or_b32 v7, v33, 7, v7
	s_delay_alu instid0(VALU_DEP_1)
	v_cvt_f32_f16_e32 v46, v7
.LBB324_470:                            ;   in Loop: Header=BB324_13 Depth=1
	s_or_b32 exec_lo, exec_lo, s23
.LBB324_471:                            ;   in Loop: Header=BB324_13 Depth=1
	s_delay_alu instid0(SALU_CYCLE_1)
	s_or_b32 exec_lo, exec_lo, s22
.LBB324_472:                            ;   in Loop: Header=BB324_13 Depth=1
	s_delay_alu instid0(SALU_CYCLE_1) | instskip(SKIP_2) | instid1(VALU_DEP_1)
	s_or_b32 exec_lo, exec_lo, s21
	v_lshrrev_b16 v7, 8, v58
	s_mov_b32 s21, exec_lo
	v_cmpx_ne_u16_e32 0, v7
	s_cbranch_execz .LBB324_480
; %bb.473:                              ;   in Loop: Header=BB324_13 Depth=1
	v_bfrev_b32_e32 v47, 1
	s_mov_b32 s22, exec_lo
	v_cmpx_ne_u16_e32 0x80, v7
	s_cbranch_execz .LBB324_479
; %bb.474:                              ;   in Loop: Header=BB324_13 Depth=1
	v_and_b32_e32 v56, 0xffff, v7
	v_mov_b32_e32 v47, 0x7fc02000
	s_mov_b32 s23, exec_lo
	s_delay_alu instid0(VALU_DEP_2) | instskip(NEXT) | instid1(VALU_DEP_1)
	v_and_b32_e32 v33, 0x7f, v56
	v_cmpx_ne_u32_e32 0x7f, v33
	s_cbranch_execz .LBB324_478
; %bb.475:                              ;   in Loop: Header=BB324_13 Depth=1
	v_and_b32_e32 v7, 7, v56
	v_lshrrev_b32_e32 v47, 3, v33
	v_cmp_gt_u32_e64 s3, 8, v33
	s_delay_alu instid0(VALU_DEP_3) | instskip(NEXT) | instid1(VALU_DEP_2)
	v_dual_mov_b32 v34, v8 :: v_dual_mov_b32 v33, v7
	s_and_saveexec_b32 s24, s3
; %bb.476:                              ;   in Loop: Header=BB324_13 Depth=1
	v_clz_i32_u32_e32 v33, v7
	s_delay_alu instid0(VALU_DEP_1) | instskip(NEXT) | instid1(VALU_DEP_1)
	v_min_u32_e32 v47, 32, v33
	v_subrev_nc_u32_e32 v33, 28, v47
	v_sub_nc_u32_e32 v47, 29, v47
	s_delay_alu instid0(VALU_DEP_2) | instskip(NEXT) | instid1(VALU_DEP_1)
	v_lshlrev_b64 v[33:34], v33, v[7:8]
	v_and_b32_e32 v33, 7, v33
; %bb.477:                              ;   in Loop: Header=BB324_13 Depth=1
	s_or_b32 exec_lo, exec_lo, s24
	v_lshlrev_b32_e32 v7, 8, v56
	v_lshl_add_u32 v34, v47, 10, 0x2000
	s_delay_alu instid0(VALU_DEP_1) | instskip(NEXT) | instid1(VALU_DEP_1)
	v_and_or_b32 v7, 0x8000, v7, v34
	v_lshl_or_b32 v7, v33, 7, v7
	s_delay_alu instid0(VALU_DEP_1)
	v_cvt_f32_f16_e32 v47, v7
.LBB324_478:                            ;   in Loop: Header=BB324_13 Depth=1
	s_or_b32 exec_lo, exec_lo, s23
.LBB324_479:                            ;   in Loop: Header=BB324_13 Depth=1
	s_delay_alu instid0(SALU_CYCLE_1)
	s_or_b32 exec_lo, exec_lo, s22
.LBB324_480:                            ;   in Loop: Header=BB324_13 Depth=1
	s_delay_alu instid0(SALU_CYCLE_1) | instskip(SKIP_3) | instid1(VALU_DEP_2)
	s_or_b32 exec_lo, exec_lo, s21
	v_lshrrev_b32_e32 v59, 16, v58
	v_mov_b32_e32 v57, 0
	s_mov_b32 s21, exec_lo
	v_dual_mov_b32 v56, 0 :: v_dual_and_b32 v7, 0xff, v59
	s_delay_alu instid0(VALU_DEP_1)
	v_cmpx_ne_u16_e32 0, v7
	s_cbranch_execz .LBB324_488
; %bb.481:                              ;   in Loop: Header=BB324_13 Depth=1
	v_bfrev_b32_e32 v57, 1
	s_mov_b32 s22, exec_lo
	v_cmpx_ne_u16_e32 0x80, v7
	s_cbranch_execz .LBB324_487
; %bb.482:                              ;   in Loop: Header=BB324_13 Depth=1
	v_bfe_u32 v33, v58, 16, 7
	v_mov_b32_e32 v57, 0x7fc02000
	s_mov_b32 s23, exec_lo
	s_delay_alu instid0(VALU_DEP_2)
	v_cmpx_ne_u32_e32 0x7f, v33
	s_cbranch_execz .LBB324_486
; %bb.483:                              ;   in Loop: Header=BB324_13 Depth=1
	v_and_b32_e32 v7, 7, v59
	v_lshrrev_b32_e32 v57, 3, v33
	v_cmp_gt_u32_e64 s3, 8, v33
	s_delay_alu instid0(VALU_DEP_3) | instskip(NEXT) | instid1(VALU_DEP_2)
	v_dual_mov_b32 v34, v8 :: v_dual_mov_b32 v33, v7
	s_and_saveexec_b32 s24, s3
; %bb.484:                              ;   in Loop: Header=BB324_13 Depth=1
	v_clz_i32_u32_e32 v33, v7
	s_delay_alu instid0(VALU_DEP_1) | instskip(NEXT) | instid1(VALU_DEP_1)
	v_min_u32_e32 v57, 32, v33
	v_subrev_nc_u32_e32 v33, 28, v57
	v_sub_nc_u32_e32 v57, 29, v57
	s_delay_alu instid0(VALU_DEP_2) | instskip(NEXT) | instid1(VALU_DEP_1)
	v_lshlrev_b64 v[33:34], v33, v[7:8]
	v_and_b32_e32 v33, 7, v33
; %bb.485:                              ;   in Loop: Header=BB324_13 Depth=1
	s_or_b32 exec_lo, exec_lo, s24
	v_lshlrev_b32_e32 v7, 8, v59
	v_lshl_add_u32 v34, v57, 10, 0x2000
	s_delay_alu instid0(VALU_DEP_1) | instskip(NEXT) | instid1(VALU_DEP_1)
	v_and_or_b32 v7, 0x8000, v7, v34
	v_lshl_or_b32 v7, v33, 7, v7
	s_delay_alu instid0(VALU_DEP_1)
	v_cvt_f32_f16_e32 v57, v7
.LBB324_486:                            ;   in Loop: Header=BB324_13 Depth=1
	s_or_b32 exec_lo, exec_lo, s23
.LBB324_487:                            ;   in Loop: Header=BB324_13 Depth=1
	s_delay_alu instid0(SALU_CYCLE_1)
	s_or_b32 exec_lo, exec_lo, s22
.LBB324_488:                            ;   in Loop: Header=BB324_13 Depth=1
	s_delay_alu instid0(SALU_CYCLE_1) | instskip(NEXT) | instid1(SALU_CYCLE_1)
	s_or_b32 exec_lo, exec_lo, s21
	s_mov_b32 s21, exec_lo
	v_cmpx_lt_u32_e32 0xffffff, v58
	s_cbranch_execz .LBB324_496
; %bb.489:                              ;   in Loop: Header=BB324_13 Depth=1
	v_lshrrev_b32_e32 v58, 24, v58
	v_bfrev_b32_e32 v56, 1
	s_mov_b32 s22, exec_lo
	s_delay_alu instid0(VALU_DEP_2)
	v_cmpx_ne_u32_e32 0x80, v58
	s_cbranch_execz .LBB324_495
; %bb.490:                              ;   in Loop: Header=BB324_13 Depth=1
	v_and_b32_e32 v33, 0x7f, v58
	v_mov_b32_e32 v56, 0x7fc02000
	s_mov_b32 s23, exec_lo
	s_delay_alu instid0(VALU_DEP_2)
	v_cmpx_ne_u32_e32 0x7f, v33
	s_cbranch_execz .LBB324_494
; %bb.491:                              ;   in Loop: Header=BB324_13 Depth=1
	v_and_b32_e32 v7, 7, v58
	v_lshrrev_b32_e32 v56, 3, v33
	v_cmp_gt_u32_e64 s3, 8, v33
	s_delay_alu instid0(VALU_DEP_3) | instskip(NEXT) | instid1(VALU_DEP_2)
	v_dual_mov_b32 v34, v8 :: v_dual_mov_b32 v33, v7
	s_and_saveexec_b32 s24, s3
; %bb.492:                              ;   in Loop: Header=BB324_13 Depth=1
	v_clz_i32_u32_e32 v33, v7
	s_delay_alu instid0(VALU_DEP_1) | instskip(NEXT) | instid1(VALU_DEP_1)
	v_min_u32_e32 v56, 32, v33
	v_subrev_nc_u32_e32 v33, 28, v56
	v_sub_nc_u32_e32 v56, 29, v56
	s_delay_alu instid0(VALU_DEP_2) | instskip(NEXT) | instid1(VALU_DEP_1)
	v_lshlrev_b64 v[33:34], v33, v[7:8]
	v_and_b32_e32 v33, 7, v33
; %bb.493:                              ;   in Loop: Header=BB324_13 Depth=1
	s_or_b32 exec_lo, exec_lo, s24
	v_lshlrev_b32_e32 v7, 8, v58
	v_lshl_add_u32 v34, v56, 10, 0x2000
	s_delay_alu instid0(VALU_DEP_1) | instskip(NEXT) | instid1(VALU_DEP_1)
	v_and_or_b32 v7, 0x8000, v7, v34
	v_lshl_or_b32 v7, v33, 7, v7
	s_delay_alu instid0(VALU_DEP_1)
	v_cvt_f32_f16_e32 v56, v7
.LBB324_494:                            ;   in Loop: Header=BB324_13 Depth=1
	s_or_b32 exec_lo, exec_lo, s23
.LBB324_495:                            ;   in Loop: Header=BB324_13 Depth=1
	s_delay_alu instid0(SALU_CYCLE_1)
	s_or_b32 exec_lo, exec_lo, s22
.LBB324_496:                            ;   in Loop: Header=BB324_13 Depth=1
	s_delay_alu instid0(SALU_CYCLE_1)
	s_or_b32 exec_lo, exec_lo, s21
	flat_load_b32 v62, v[31:32] offset:1800
	v_mov_b32_e32 v59, 0
	s_mov_b32 s21, exec_lo
	s_waitcnt vmcnt(0) lgkmcnt(0)
	v_dual_mov_b32 v58, 0 :: v_dual_and_b32 v7, 0xff, v62
	s_delay_alu instid0(VALU_DEP_1)
	v_cmpx_ne_u16_e32 0, v7
	s_cbranch_execz .LBB324_504
; %bb.497:                              ;   in Loop: Header=BB324_13 Depth=1
	v_bfrev_b32_e32 v58, 1
	s_mov_b32 s22, exec_lo
	v_cmpx_ne_u16_e32 0x80, v7
	s_cbranch_execz .LBB324_503
; %bb.498:                              ;   in Loop: Header=BB324_13 Depth=1
	v_and_b32_e32 v33, 0x7f, v62
	v_mov_b32_e32 v58, 0x7fc02000
	s_mov_b32 s23, exec_lo
	s_delay_alu instid0(VALU_DEP_2)
	v_cmpx_ne_u32_e32 0x7f, v33
	s_cbranch_execz .LBB324_502
; %bb.499:                              ;   in Loop: Header=BB324_13 Depth=1
	v_and_b32_e32 v7, 7, v62
	v_lshrrev_b32_e32 v58, 3, v33
	v_cmp_gt_u32_e64 s3, 8, v33
	s_delay_alu instid0(VALU_DEP_3) | instskip(NEXT) | instid1(VALU_DEP_2)
	v_dual_mov_b32 v34, v8 :: v_dual_mov_b32 v33, v7
	s_and_saveexec_b32 s24, s3
; %bb.500:                              ;   in Loop: Header=BB324_13 Depth=1
	v_clz_i32_u32_e32 v33, v7
	s_delay_alu instid0(VALU_DEP_1) | instskip(NEXT) | instid1(VALU_DEP_1)
	v_min_u32_e32 v58, 32, v33
	v_subrev_nc_u32_e32 v33, 28, v58
	v_sub_nc_u32_e32 v58, 29, v58
	s_delay_alu instid0(VALU_DEP_2) | instskip(NEXT) | instid1(VALU_DEP_1)
	v_lshlrev_b64 v[33:34], v33, v[7:8]
	v_and_b32_e32 v33, 7, v33
; %bb.501:                              ;   in Loop: Header=BB324_13 Depth=1
	s_or_b32 exec_lo, exec_lo, s24
	v_lshlrev_b32_e32 v7, 8, v62
	v_lshl_add_u32 v34, v58, 10, 0x2000
	s_delay_alu instid0(VALU_DEP_1) | instskip(NEXT) | instid1(VALU_DEP_1)
	v_and_or_b32 v7, 0x8000, v7, v34
	v_lshl_or_b32 v7, v33, 7, v7
	s_delay_alu instid0(VALU_DEP_1)
	v_cvt_f32_f16_e32 v58, v7
.LBB324_502:                            ;   in Loop: Header=BB324_13 Depth=1
	s_or_b32 exec_lo, exec_lo, s23
.LBB324_503:                            ;   in Loop: Header=BB324_13 Depth=1
	s_delay_alu instid0(SALU_CYCLE_1)
	s_or_b32 exec_lo, exec_lo, s22
.LBB324_504:                            ;   in Loop: Header=BB324_13 Depth=1
	s_delay_alu instid0(SALU_CYCLE_1) | instskip(SKIP_2) | instid1(VALU_DEP_1)
	s_or_b32 exec_lo, exec_lo, s21
	v_lshrrev_b16 v7, 8, v62
	s_mov_b32 s21, exec_lo
	v_cmpx_ne_u16_e32 0, v7
	s_cbranch_execz .LBB324_512
; %bb.505:                              ;   in Loop: Header=BB324_13 Depth=1
	v_bfrev_b32_e32 v59, 1
	s_mov_b32 s22, exec_lo
	v_cmpx_ne_u16_e32 0x80, v7
	s_cbranch_execz .LBB324_511
; %bb.506:                              ;   in Loop: Header=BB324_13 Depth=1
	v_and_b32_e32 v60, 0xffff, v7
	v_mov_b32_e32 v59, 0x7fc02000
	s_mov_b32 s23, exec_lo
	s_delay_alu instid0(VALU_DEP_2) | instskip(NEXT) | instid1(VALU_DEP_1)
	v_and_b32_e32 v33, 0x7f, v60
	v_cmpx_ne_u32_e32 0x7f, v33
	s_cbranch_execz .LBB324_510
; %bb.507:                              ;   in Loop: Header=BB324_13 Depth=1
	v_and_b32_e32 v7, 7, v60
	v_lshrrev_b32_e32 v59, 3, v33
	v_cmp_gt_u32_e64 s3, 8, v33
	s_delay_alu instid0(VALU_DEP_3) | instskip(NEXT) | instid1(VALU_DEP_2)
	v_dual_mov_b32 v34, v8 :: v_dual_mov_b32 v33, v7
	s_and_saveexec_b32 s24, s3
; %bb.508:                              ;   in Loop: Header=BB324_13 Depth=1
	v_clz_i32_u32_e32 v33, v7
	s_delay_alu instid0(VALU_DEP_1) | instskip(NEXT) | instid1(VALU_DEP_1)
	v_min_u32_e32 v59, 32, v33
	v_subrev_nc_u32_e32 v33, 28, v59
	v_sub_nc_u32_e32 v59, 29, v59
	s_delay_alu instid0(VALU_DEP_2) | instskip(NEXT) | instid1(VALU_DEP_1)
	v_lshlrev_b64 v[33:34], v33, v[7:8]
	v_and_b32_e32 v33, 7, v33
; %bb.509:                              ;   in Loop: Header=BB324_13 Depth=1
	s_or_b32 exec_lo, exec_lo, s24
	v_lshlrev_b32_e32 v7, 8, v60
	v_lshl_add_u32 v34, v59, 10, 0x2000
	s_delay_alu instid0(VALU_DEP_1) | instskip(NEXT) | instid1(VALU_DEP_1)
	v_and_or_b32 v7, 0x8000, v7, v34
	v_lshl_or_b32 v7, v33, 7, v7
	s_delay_alu instid0(VALU_DEP_1)
	v_cvt_f32_f16_e32 v59, v7
.LBB324_510:                            ;   in Loop: Header=BB324_13 Depth=1
	s_or_b32 exec_lo, exec_lo, s23
.LBB324_511:                            ;   in Loop: Header=BB324_13 Depth=1
	s_delay_alu instid0(SALU_CYCLE_1)
	s_or_b32 exec_lo, exec_lo, s22
.LBB324_512:                            ;   in Loop: Header=BB324_13 Depth=1
	s_delay_alu instid0(SALU_CYCLE_1) | instskip(SKIP_3) | instid1(VALU_DEP_2)
	s_or_b32 exec_lo, exec_lo, s21
	v_lshrrev_b32_e32 v63, 16, v62
	v_mov_b32_e32 v61, 0
	s_mov_b32 s21, exec_lo
	v_dual_mov_b32 v60, 0 :: v_dual_and_b32 v7, 0xff, v63
	s_delay_alu instid0(VALU_DEP_1)
	v_cmpx_ne_u16_e32 0, v7
	s_cbranch_execz .LBB324_520
; %bb.513:                              ;   in Loop: Header=BB324_13 Depth=1
	v_bfrev_b32_e32 v61, 1
	s_mov_b32 s22, exec_lo
	v_cmpx_ne_u16_e32 0x80, v7
	s_cbranch_execz .LBB324_519
; %bb.514:                              ;   in Loop: Header=BB324_13 Depth=1
	v_bfe_u32 v33, v62, 16, 7
	v_mov_b32_e32 v61, 0x7fc02000
	s_mov_b32 s23, exec_lo
	s_delay_alu instid0(VALU_DEP_2)
	v_cmpx_ne_u32_e32 0x7f, v33
	s_cbranch_execz .LBB324_518
; %bb.515:                              ;   in Loop: Header=BB324_13 Depth=1
	v_and_b32_e32 v7, 7, v63
	v_lshrrev_b32_e32 v61, 3, v33
	v_cmp_gt_u32_e64 s3, 8, v33
	s_delay_alu instid0(VALU_DEP_3) | instskip(NEXT) | instid1(VALU_DEP_2)
	v_dual_mov_b32 v34, v8 :: v_dual_mov_b32 v33, v7
	s_and_saveexec_b32 s24, s3
; %bb.516:                              ;   in Loop: Header=BB324_13 Depth=1
	v_clz_i32_u32_e32 v33, v7
	s_delay_alu instid0(VALU_DEP_1) | instskip(NEXT) | instid1(VALU_DEP_1)
	v_min_u32_e32 v61, 32, v33
	v_subrev_nc_u32_e32 v33, 28, v61
	v_sub_nc_u32_e32 v61, 29, v61
	s_delay_alu instid0(VALU_DEP_2) | instskip(NEXT) | instid1(VALU_DEP_1)
	v_lshlrev_b64 v[33:34], v33, v[7:8]
	v_and_b32_e32 v33, 7, v33
; %bb.517:                              ;   in Loop: Header=BB324_13 Depth=1
	s_or_b32 exec_lo, exec_lo, s24
	v_lshlrev_b32_e32 v7, 8, v63
	v_lshl_add_u32 v34, v61, 10, 0x2000
	s_delay_alu instid0(VALU_DEP_1) | instskip(NEXT) | instid1(VALU_DEP_1)
	v_and_or_b32 v7, 0x8000, v7, v34
	v_lshl_or_b32 v7, v33, 7, v7
	s_delay_alu instid0(VALU_DEP_1)
	v_cvt_f32_f16_e32 v61, v7
.LBB324_518:                            ;   in Loop: Header=BB324_13 Depth=1
	s_or_b32 exec_lo, exec_lo, s23
.LBB324_519:                            ;   in Loop: Header=BB324_13 Depth=1
	s_delay_alu instid0(SALU_CYCLE_1)
	s_or_b32 exec_lo, exec_lo, s22
.LBB324_520:                            ;   in Loop: Header=BB324_13 Depth=1
	s_delay_alu instid0(SALU_CYCLE_1) | instskip(NEXT) | instid1(SALU_CYCLE_1)
	s_or_b32 exec_lo, exec_lo, s21
	s_mov_b32 s21, exec_lo
	v_cmpx_lt_u32_e32 0xffffff, v62
	s_cbranch_execz .LBB324_528
; %bb.521:                              ;   in Loop: Header=BB324_13 Depth=1
	v_lshrrev_b32_e32 v62, 24, v62
	v_bfrev_b32_e32 v60, 1
	s_mov_b32 s22, exec_lo
	s_delay_alu instid0(VALU_DEP_2)
	v_cmpx_ne_u32_e32 0x80, v62
	s_cbranch_execz .LBB324_527
; %bb.522:                              ;   in Loop: Header=BB324_13 Depth=1
	v_and_b32_e32 v33, 0x7f, v62
	v_mov_b32_e32 v60, 0x7fc02000
	s_mov_b32 s23, exec_lo
	s_delay_alu instid0(VALU_DEP_2)
	v_cmpx_ne_u32_e32 0x7f, v33
	s_cbranch_execz .LBB324_526
; %bb.523:                              ;   in Loop: Header=BB324_13 Depth=1
	v_and_b32_e32 v7, 7, v62
	v_lshrrev_b32_e32 v60, 3, v33
	v_cmp_gt_u32_e64 s3, 8, v33
	s_delay_alu instid0(VALU_DEP_3) | instskip(NEXT) | instid1(VALU_DEP_2)
	v_dual_mov_b32 v34, v8 :: v_dual_mov_b32 v33, v7
	s_and_saveexec_b32 s24, s3
; %bb.524:                              ;   in Loop: Header=BB324_13 Depth=1
	v_clz_i32_u32_e32 v33, v7
	s_delay_alu instid0(VALU_DEP_1) | instskip(NEXT) | instid1(VALU_DEP_1)
	v_min_u32_e32 v60, 32, v33
	v_subrev_nc_u32_e32 v33, 28, v60
	v_sub_nc_u32_e32 v60, 29, v60
	s_delay_alu instid0(VALU_DEP_2) | instskip(NEXT) | instid1(VALU_DEP_1)
	v_lshlrev_b64 v[33:34], v33, v[7:8]
	v_and_b32_e32 v33, 7, v33
; %bb.525:                              ;   in Loop: Header=BB324_13 Depth=1
	s_or_b32 exec_lo, exec_lo, s24
	v_lshlrev_b32_e32 v7, 8, v62
	v_lshl_add_u32 v34, v60, 10, 0x2000
	s_delay_alu instid0(VALU_DEP_1) | instskip(NEXT) | instid1(VALU_DEP_1)
	v_and_or_b32 v7, 0x8000, v7, v34
	v_lshl_or_b32 v7, v33, 7, v7
	s_delay_alu instid0(VALU_DEP_1)
	v_cvt_f32_f16_e32 v60, v7
.LBB324_526:                            ;   in Loop: Header=BB324_13 Depth=1
	s_or_b32 exec_lo, exec_lo, s23
.LBB324_527:                            ;   in Loop: Header=BB324_13 Depth=1
	s_delay_alu instid0(SALU_CYCLE_1)
	s_or_b32 exec_lo, exec_lo, s22
.LBB324_528:                            ;   in Loop: Header=BB324_13 Depth=1
	s_delay_alu instid0(SALU_CYCLE_1)
	s_or_b32 exec_lo, exec_lo, s21
	flat_load_b32 v74, v[31:32] offset:2048
	v_mov_b32_e32 v63, 0
	s_mov_b32 s21, exec_lo
	s_waitcnt vmcnt(0) lgkmcnt(0)
	v_dual_mov_b32 v62, 0 :: v_dual_and_b32 v7, 0xff, v74
	s_delay_alu instid0(VALU_DEP_1)
	v_cmpx_ne_u16_e32 0, v7
	s_cbranch_execz .LBB324_536
; %bb.529:                              ;   in Loop: Header=BB324_13 Depth=1
	v_bfrev_b32_e32 v62, 1
	s_mov_b32 s22, exec_lo
	v_cmpx_ne_u16_e32 0x80, v7
	s_cbranch_execz .LBB324_535
; %bb.530:                              ;   in Loop: Header=BB324_13 Depth=1
	v_and_b32_e32 v33, 0x7f, v74
	v_mov_b32_e32 v62, 0x7fc02000
	s_mov_b32 s23, exec_lo
	s_delay_alu instid0(VALU_DEP_2)
	v_cmpx_ne_u32_e32 0x7f, v33
	s_cbranch_execz .LBB324_534
; %bb.531:                              ;   in Loop: Header=BB324_13 Depth=1
	v_and_b32_e32 v7, 7, v74
	v_lshrrev_b32_e32 v62, 3, v33
	v_cmp_gt_u32_e64 s3, 8, v33
	s_delay_alu instid0(VALU_DEP_3) | instskip(NEXT) | instid1(VALU_DEP_2)
	v_dual_mov_b32 v34, v8 :: v_dual_mov_b32 v33, v7
	s_and_saveexec_b32 s24, s3
; %bb.532:                              ;   in Loop: Header=BB324_13 Depth=1
	v_clz_i32_u32_e32 v33, v7
	s_delay_alu instid0(VALU_DEP_1) | instskip(NEXT) | instid1(VALU_DEP_1)
	v_min_u32_e32 v62, 32, v33
	v_subrev_nc_u32_e32 v33, 28, v62
	v_sub_nc_u32_e32 v62, 29, v62
	s_delay_alu instid0(VALU_DEP_2) | instskip(NEXT) | instid1(VALU_DEP_1)
	v_lshlrev_b64 v[33:34], v33, v[7:8]
	v_and_b32_e32 v33, 7, v33
; %bb.533:                              ;   in Loop: Header=BB324_13 Depth=1
	s_or_b32 exec_lo, exec_lo, s24
	v_lshlrev_b32_e32 v7, 8, v74
	v_lshl_add_u32 v34, v62, 10, 0x2000
	s_delay_alu instid0(VALU_DEP_1) | instskip(NEXT) | instid1(VALU_DEP_1)
	v_and_or_b32 v7, 0x8000, v7, v34
	v_lshl_or_b32 v7, v33, 7, v7
	s_delay_alu instid0(VALU_DEP_1)
	v_cvt_f32_f16_e32 v62, v7
.LBB324_534:                            ;   in Loop: Header=BB324_13 Depth=1
	s_or_b32 exec_lo, exec_lo, s23
.LBB324_535:                            ;   in Loop: Header=BB324_13 Depth=1
	s_delay_alu instid0(SALU_CYCLE_1)
	s_or_b32 exec_lo, exec_lo, s22
.LBB324_536:                            ;   in Loop: Header=BB324_13 Depth=1
	s_delay_alu instid0(SALU_CYCLE_1) | instskip(SKIP_2) | instid1(VALU_DEP_1)
	s_or_b32 exec_lo, exec_lo, s21
	v_lshrrev_b16 v7, 8, v74
	s_mov_b32 s21, exec_lo
	v_cmpx_ne_u16_e32 0, v7
	s_cbranch_execz .LBB324_544
; %bb.537:                              ;   in Loop: Header=BB324_13 Depth=1
	v_bfrev_b32_e32 v63, 1
	s_mov_b32 s22, exec_lo
	v_cmpx_ne_u16_e32 0x80, v7
	s_cbranch_execz .LBB324_543
; %bb.538:                              ;   in Loop: Header=BB324_13 Depth=1
	v_and_b32_e32 v72, 0xffff, v7
	v_mov_b32_e32 v63, 0x7fc02000
	s_mov_b32 s23, exec_lo
	s_delay_alu instid0(VALU_DEP_2) | instskip(NEXT) | instid1(VALU_DEP_1)
	v_and_b32_e32 v33, 0x7f, v72
	v_cmpx_ne_u32_e32 0x7f, v33
	s_cbranch_execz .LBB324_542
; %bb.539:                              ;   in Loop: Header=BB324_13 Depth=1
	v_and_b32_e32 v7, 7, v72
	v_lshrrev_b32_e32 v63, 3, v33
	v_cmp_gt_u32_e64 s3, 8, v33
	s_delay_alu instid0(VALU_DEP_3) | instskip(NEXT) | instid1(VALU_DEP_2)
	v_dual_mov_b32 v34, v8 :: v_dual_mov_b32 v33, v7
	s_and_saveexec_b32 s24, s3
; %bb.540:                              ;   in Loop: Header=BB324_13 Depth=1
	v_clz_i32_u32_e32 v33, v7
	s_delay_alu instid0(VALU_DEP_1) | instskip(NEXT) | instid1(VALU_DEP_1)
	v_min_u32_e32 v63, 32, v33
	v_subrev_nc_u32_e32 v33, 28, v63
	v_sub_nc_u32_e32 v63, 29, v63
	s_delay_alu instid0(VALU_DEP_2) | instskip(NEXT) | instid1(VALU_DEP_1)
	v_lshlrev_b64 v[33:34], v33, v[7:8]
	v_and_b32_e32 v33, 7, v33
; %bb.541:                              ;   in Loop: Header=BB324_13 Depth=1
	s_or_b32 exec_lo, exec_lo, s24
	v_lshlrev_b32_e32 v7, 8, v72
	v_lshl_add_u32 v34, v63, 10, 0x2000
	s_delay_alu instid0(VALU_DEP_1) | instskip(NEXT) | instid1(VALU_DEP_1)
	v_and_or_b32 v7, 0x8000, v7, v34
	v_lshl_or_b32 v7, v33, 7, v7
	s_delay_alu instid0(VALU_DEP_1)
	v_cvt_f32_f16_e32 v63, v7
.LBB324_542:                            ;   in Loop: Header=BB324_13 Depth=1
	s_or_b32 exec_lo, exec_lo, s23
.LBB324_543:                            ;   in Loop: Header=BB324_13 Depth=1
	s_delay_alu instid0(SALU_CYCLE_1)
	s_or_b32 exec_lo, exec_lo, s22
.LBB324_544:                            ;   in Loop: Header=BB324_13 Depth=1
	s_delay_alu instid0(SALU_CYCLE_1) | instskip(SKIP_3) | instid1(VALU_DEP_2)
	s_or_b32 exec_lo, exec_lo, s21
	v_lshrrev_b32_e32 v75, 16, v74
	v_mov_b32_e32 v73, 0
	s_mov_b32 s21, exec_lo
	v_dual_mov_b32 v72, 0 :: v_dual_and_b32 v7, 0xff, v75
	s_delay_alu instid0(VALU_DEP_1)
	v_cmpx_ne_u16_e32 0, v7
	s_cbranch_execz .LBB324_552
; %bb.545:                              ;   in Loop: Header=BB324_13 Depth=1
	v_bfrev_b32_e32 v73, 1
	s_mov_b32 s22, exec_lo
	v_cmpx_ne_u16_e32 0x80, v7
	s_cbranch_execz .LBB324_551
; %bb.546:                              ;   in Loop: Header=BB324_13 Depth=1
	v_bfe_u32 v33, v74, 16, 7
	v_mov_b32_e32 v73, 0x7fc02000
	s_mov_b32 s23, exec_lo
	s_delay_alu instid0(VALU_DEP_2)
	v_cmpx_ne_u32_e32 0x7f, v33
	s_cbranch_execz .LBB324_550
; %bb.547:                              ;   in Loop: Header=BB324_13 Depth=1
	v_and_b32_e32 v7, 7, v75
	v_lshrrev_b32_e32 v73, 3, v33
	v_cmp_gt_u32_e64 s3, 8, v33
	s_delay_alu instid0(VALU_DEP_3) | instskip(NEXT) | instid1(VALU_DEP_2)
	v_dual_mov_b32 v34, v8 :: v_dual_mov_b32 v33, v7
	s_and_saveexec_b32 s24, s3
; %bb.548:                              ;   in Loop: Header=BB324_13 Depth=1
	v_clz_i32_u32_e32 v33, v7
	s_delay_alu instid0(VALU_DEP_1) | instskip(NEXT) | instid1(VALU_DEP_1)
	v_min_u32_e32 v73, 32, v33
	v_subrev_nc_u32_e32 v33, 28, v73
	v_sub_nc_u32_e32 v73, 29, v73
	s_delay_alu instid0(VALU_DEP_2) | instskip(NEXT) | instid1(VALU_DEP_1)
	v_lshlrev_b64 v[33:34], v33, v[7:8]
	v_and_b32_e32 v33, 7, v33
; %bb.549:                              ;   in Loop: Header=BB324_13 Depth=1
	s_or_b32 exec_lo, exec_lo, s24
	v_lshlrev_b32_e32 v7, 8, v75
	v_lshl_add_u32 v34, v73, 10, 0x2000
	s_delay_alu instid0(VALU_DEP_1) | instskip(NEXT) | instid1(VALU_DEP_1)
	v_and_or_b32 v7, 0x8000, v7, v34
	v_lshl_or_b32 v7, v33, 7, v7
	s_delay_alu instid0(VALU_DEP_1)
	v_cvt_f32_f16_e32 v73, v7
.LBB324_550:                            ;   in Loop: Header=BB324_13 Depth=1
	s_or_b32 exec_lo, exec_lo, s23
.LBB324_551:                            ;   in Loop: Header=BB324_13 Depth=1
	s_delay_alu instid0(SALU_CYCLE_1)
	s_or_b32 exec_lo, exec_lo, s22
.LBB324_552:                            ;   in Loop: Header=BB324_13 Depth=1
	s_delay_alu instid0(SALU_CYCLE_1) | instskip(NEXT) | instid1(SALU_CYCLE_1)
	s_or_b32 exec_lo, exec_lo, s21
	s_mov_b32 s21, exec_lo
	v_cmpx_lt_u32_e32 0xffffff, v74
	s_cbranch_execz .LBB324_560
; %bb.553:                              ;   in Loop: Header=BB324_13 Depth=1
	v_lshrrev_b32_e32 v74, 24, v74
	v_bfrev_b32_e32 v72, 1
	s_mov_b32 s22, exec_lo
	s_delay_alu instid0(VALU_DEP_2)
	v_cmpx_ne_u32_e32 0x80, v74
	s_cbranch_execz .LBB324_559
; %bb.554:                              ;   in Loop: Header=BB324_13 Depth=1
	v_and_b32_e32 v33, 0x7f, v74
	v_mov_b32_e32 v72, 0x7fc02000
	s_mov_b32 s23, exec_lo
	s_delay_alu instid0(VALU_DEP_2)
	v_cmpx_ne_u32_e32 0x7f, v33
	s_cbranch_execz .LBB324_558
; %bb.555:                              ;   in Loop: Header=BB324_13 Depth=1
	v_and_b32_e32 v7, 7, v74
	v_lshrrev_b32_e32 v72, 3, v33
	v_cmp_gt_u32_e64 s3, 8, v33
	s_delay_alu instid0(VALU_DEP_3) | instskip(NEXT) | instid1(VALU_DEP_2)
	v_dual_mov_b32 v34, v8 :: v_dual_mov_b32 v33, v7
	s_and_saveexec_b32 s24, s3
; %bb.556:                              ;   in Loop: Header=BB324_13 Depth=1
	v_clz_i32_u32_e32 v33, v7
	s_delay_alu instid0(VALU_DEP_1) | instskip(NEXT) | instid1(VALU_DEP_1)
	v_min_u32_e32 v72, 32, v33
	v_subrev_nc_u32_e32 v33, 28, v72
	v_sub_nc_u32_e32 v72, 29, v72
	s_delay_alu instid0(VALU_DEP_2) | instskip(NEXT) | instid1(VALU_DEP_1)
	v_lshlrev_b64 v[33:34], v33, v[7:8]
	v_and_b32_e32 v33, 7, v33
; %bb.557:                              ;   in Loop: Header=BB324_13 Depth=1
	s_or_b32 exec_lo, exec_lo, s24
	v_lshlrev_b32_e32 v7, 8, v74
	v_lshl_add_u32 v34, v72, 10, 0x2000
	s_delay_alu instid0(VALU_DEP_1) | instskip(NEXT) | instid1(VALU_DEP_1)
	v_and_or_b32 v7, 0x8000, v7, v34
	v_lshl_or_b32 v7, v33, 7, v7
	s_delay_alu instid0(VALU_DEP_1)
	v_cvt_f32_f16_e32 v72, v7
.LBB324_558:                            ;   in Loop: Header=BB324_13 Depth=1
	s_or_b32 exec_lo, exec_lo, s23
.LBB324_559:                            ;   in Loop: Header=BB324_13 Depth=1
	s_delay_alu instid0(SALU_CYCLE_1)
	s_or_b32 exec_lo, exec_lo, s22
.LBB324_560:                            ;   in Loop: Header=BB324_13 Depth=1
	s_delay_alu instid0(SALU_CYCLE_1)
	s_or_b32 exec_lo, exec_lo, s21
	flat_load_b32 v78, v[31:32] offset:2056
	v_mov_b32_e32 v75, 0
	s_mov_b32 s21, exec_lo
	s_waitcnt vmcnt(0) lgkmcnt(0)
	v_dual_mov_b32 v74, 0 :: v_dual_and_b32 v7, 0xff, v78
	s_delay_alu instid0(VALU_DEP_1)
	v_cmpx_ne_u16_e32 0, v7
	s_cbranch_execz .LBB324_568
; %bb.561:                              ;   in Loop: Header=BB324_13 Depth=1
	v_bfrev_b32_e32 v74, 1
	s_mov_b32 s22, exec_lo
	v_cmpx_ne_u16_e32 0x80, v7
	s_cbranch_execz .LBB324_567
; %bb.562:                              ;   in Loop: Header=BB324_13 Depth=1
	v_and_b32_e32 v33, 0x7f, v78
	v_mov_b32_e32 v74, 0x7fc02000
	s_mov_b32 s23, exec_lo
	s_delay_alu instid0(VALU_DEP_2)
	v_cmpx_ne_u32_e32 0x7f, v33
	s_cbranch_execz .LBB324_566
; %bb.563:                              ;   in Loop: Header=BB324_13 Depth=1
	v_and_b32_e32 v7, 7, v78
	v_lshrrev_b32_e32 v74, 3, v33
	v_cmp_gt_u32_e64 s3, 8, v33
	s_delay_alu instid0(VALU_DEP_3) | instskip(NEXT) | instid1(VALU_DEP_2)
	v_dual_mov_b32 v34, v8 :: v_dual_mov_b32 v33, v7
	s_and_saveexec_b32 s24, s3
; %bb.564:                              ;   in Loop: Header=BB324_13 Depth=1
	v_clz_i32_u32_e32 v33, v7
	s_delay_alu instid0(VALU_DEP_1) | instskip(NEXT) | instid1(VALU_DEP_1)
	v_min_u32_e32 v74, 32, v33
	v_subrev_nc_u32_e32 v33, 28, v74
	v_sub_nc_u32_e32 v74, 29, v74
	s_delay_alu instid0(VALU_DEP_2) | instskip(NEXT) | instid1(VALU_DEP_1)
	v_lshlrev_b64 v[33:34], v33, v[7:8]
	v_and_b32_e32 v33, 7, v33
; %bb.565:                              ;   in Loop: Header=BB324_13 Depth=1
	s_or_b32 exec_lo, exec_lo, s24
	v_lshlrev_b32_e32 v7, 8, v78
	v_lshl_add_u32 v34, v74, 10, 0x2000
	s_delay_alu instid0(VALU_DEP_1) | instskip(NEXT) | instid1(VALU_DEP_1)
	v_and_or_b32 v7, 0x8000, v7, v34
	v_lshl_or_b32 v7, v33, 7, v7
	s_delay_alu instid0(VALU_DEP_1)
	v_cvt_f32_f16_e32 v74, v7
.LBB324_566:                            ;   in Loop: Header=BB324_13 Depth=1
	s_or_b32 exec_lo, exec_lo, s23
.LBB324_567:                            ;   in Loop: Header=BB324_13 Depth=1
	s_delay_alu instid0(SALU_CYCLE_1)
	s_or_b32 exec_lo, exec_lo, s22
.LBB324_568:                            ;   in Loop: Header=BB324_13 Depth=1
	s_delay_alu instid0(SALU_CYCLE_1) | instskip(SKIP_2) | instid1(VALU_DEP_1)
	s_or_b32 exec_lo, exec_lo, s21
	v_lshrrev_b16 v7, 8, v78
	s_mov_b32 s21, exec_lo
	v_cmpx_ne_u16_e32 0, v7
	s_cbranch_execz .LBB324_576
; %bb.569:                              ;   in Loop: Header=BB324_13 Depth=1
	v_bfrev_b32_e32 v75, 1
	s_mov_b32 s22, exec_lo
	v_cmpx_ne_u16_e32 0x80, v7
	s_cbranch_execz .LBB324_575
; %bb.570:                              ;   in Loop: Header=BB324_13 Depth=1
	v_and_b32_e32 v76, 0xffff, v7
	v_mov_b32_e32 v75, 0x7fc02000
	s_mov_b32 s23, exec_lo
	s_delay_alu instid0(VALU_DEP_2) | instskip(NEXT) | instid1(VALU_DEP_1)
	v_and_b32_e32 v33, 0x7f, v76
	v_cmpx_ne_u32_e32 0x7f, v33
	s_cbranch_execz .LBB324_574
; %bb.571:                              ;   in Loop: Header=BB324_13 Depth=1
	v_and_b32_e32 v7, 7, v76
	v_lshrrev_b32_e32 v75, 3, v33
	v_cmp_gt_u32_e64 s3, 8, v33
	s_delay_alu instid0(VALU_DEP_3) | instskip(NEXT) | instid1(VALU_DEP_2)
	v_dual_mov_b32 v34, v8 :: v_dual_mov_b32 v33, v7
	s_and_saveexec_b32 s24, s3
; %bb.572:                              ;   in Loop: Header=BB324_13 Depth=1
	v_clz_i32_u32_e32 v33, v7
	s_delay_alu instid0(VALU_DEP_1) | instskip(NEXT) | instid1(VALU_DEP_1)
	v_min_u32_e32 v75, 32, v33
	v_subrev_nc_u32_e32 v33, 28, v75
	v_sub_nc_u32_e32 v75, 29, v75
	s_delay_alu instid0(VALU_DEP_2) | instskip(NEXT) | instid1(VALU_DEP_1)
	v_lshlrev_b64 v[33:34], v33, v[7:8]
	v_and_b32_e32 v33, 7, v33
; %bb.573:                              ;   in Loop: Header=BB324_13 Depth=1
	s_or_b32 exec_lo, exec_lo, s24
	v_lshlrev_b32_e32 v7, 8, v76
	v_lshl_add_u32 v34, v75, 10, 0x2000
	s_delay_alu instid0(VALU_DEP_1) | instskip(NEXT) | instid1(VALU_DEP_1)
	v_and_or_b32 v7, 0x8000, v7, v34
	v_lshl_or_b32 v7, v33, 7, v7
	s_delay_alu instid0(VALU_DEP_1)
	v_cvt_f32_f16_e32 v75, v7
.LBB324_574:                            ;   in Loop: Header=BB324_13 Depth=1
	s_or_b32 exec_lo, exec_lo, s23
.LBB324_575:                            ;   in Loop: Header=BB324_13 Depth=1
	s_delay_alu instid0(SALU_CYCLE_1)
	s_or_b32 exec_lo, exec_lo, s22
.LBB324_576:                            ;   in Loop: Header=BB324_13 Depth=1
	s_delay_alu instid0(SALU_CYCLE_1) | instskip(SKIP_3) | instid1(VALU_DEP_2)
	s_or_b32 exec_lo, exec_lo, s21
	v_lshrrev_b32_e32 v79, 16, v78
	v_mov_b32_e32 v77, 0
	s_mov_b32 s21, exec_lo
	v_dual_mov_b32 v76, 0 :: v_dual_and_b32 v7, 0xff, v79
	s_delay_alu instid0(VALU_DEP_1)
	v_cmpx_ne_u16_e32 0, v7
	s_cbranch_execz .LBB324_584
; %bb.577:                              ;   in Loop: Header=BB324_13 Depth=1
	v_bfrev_b32_e32 v77, 1
	s_mov_b32 s22, exec_lo
	v_cmpx_ne_u16_e32 0x80, v7
	s_cbranch_execz .LBB324_583
; %bb.578:                              ;   in Loop: Header=BB324_13 Depth=1
	v_bfe_u32 v33, v78, 16, 7
	v_mov_b32_e32 v77, 0x7fc02000
	s_mov_b32 s23, exec_lo
	s_delay_alu instid0(VALU_DEP_2)
	v_cmpx_ne_u32_e32 0x7f, v33
	s_cbranch_execz .LBB324_582
; %bb.579:                              ;   in Loop: Header=BB324_13 Depth=1
	v_and_b32_e32 v7, 7, v79
	v_lshrrev_b32_e32 v77, 3, v33
	v_cmp_gt_u32_e64 s3, 8, v33
	s_delay_alu instid0(VALU_DEP_3) | instskip(NEXT) | instid1(VALU_DEP_2)
	v_dual_mov_b32 v34, v8 :: v_dual_mov_b32 v33, v7
	s_and_saveexec_b32 s24, s3
; %bb.580:                              ;   in Loop: Header=BB324_13 Depth=1
	v_clz_i32_u32_e32 v33, v7
	s_delay_alu instid0(VALU_DEP_1) | instskip(NEXT) | instid1(VALU_DEP_1)
	v_min_u32_e32 v77, 32, v33
	v_subrev_nc_u32_e32 v33, 28, v77
	v_sub_nc_u32_e32 v77, 29, v77
	s_delay_alu instid0(VALU_DEP_2) | instskip(NEXT) | instid1(VALU_DEP_1)
	v_lshlrev_b64 v[33:34], v33, v[7:8]
	v_and_b32_e32 v33, 7, v33
; %bb.581:                              ;   in Loop: Header=BB324_13 Depth=1
	s_or_b32 exec_lo, exec_lo, s24
	v_lshlrev_b32_e32 v7, 8, v79
	v_lshl_add_u32 v34, v77, 10, 0x2000
	s_delay_alu instid0(VALU_DEP_1) | instskip(NEXT) | instid1(VALU_DEP_1)
	v_and_or_b32 v7, 0x8000, v7, v34
	v_lshl_or_b32 v7, v33, 7, v7
	s_delay_alu instid0(VALU_DEP_1)
	v_cvt_f32_f16_e32 v77, v7
.LBB324_582:                            ;   in Loop: Header=BB324_13 Depth=1
	s_or_b32 exec_lo, exec_lo, s23
.LBB324_583:                            ;   in Loop: Header=BB324_13 Depth=1
	s_delay_alu instid0(SALU_CYCLE_1)
	s_or_b32 exec_lo, exec_lo, s22
.LBB324_584:                            ;   in Loop: Header=BB324_13 Depth=1
	s_delay_alu instid0(SALU_CYCLE_1) | instskip(NEXT) | instid1(SALU_CYCLE_1)
	s_or_b32 exec_lo, exec_lo, s21
	s_mov_b32 s21, exec_lo
	v_cmpx_lt_u32_e32 0xffffff, v78
	s_cbranch_execz .LBB324_592
; %bb.585:                              ;   in Loop: Header=BB324_13 Depth=1
	v_lshrrev_b32_e32 v78, 24, v78
	v_bfrev_b32_e32 v76, 1
	s_mov_b32 s22, exec_lo
	s_delay_alu instid0(VALU_DEP_2)
	v_cmpx_ne_u32_e32 0x80, v78
	s_cbranch_execz .LBB324_591
; %bb.586:                              ;   in Loop: Header=BB324_13 Depth=1
	v_and_b32_e32 v33, 0x7f, v78
	v_mov_b32_e32 v76, 0x7fc02000
	s_mov_b32 s23, exec_lo
	s_delay_alu instid0(VALU_DEP_2)
	v_cmpx_ne_u32_e32 0x7f, v33
	s_cbranch_execz .LBB324_590
; %bb.587:                              ;   in Loop: Header=BB324_13 Depth=1
	v_and_b32_e32 v7, 7, v78
	v_lshrrev_b32_e32 v76, 3, v33
	v_cmp_gt_u32_e64 s3, 8, v33
	s_delay_alu instid0(VALU_DEP_3) | instskip(NEXT) | instid1(VALU_DEP_2)
	v_dual_mov_b32 v34, v8 :: v_dual_mov_b32 v33, v7
	s_and_saveexec_b32 s24, s3
; %bb.588:                              ;   in Loop: Header=BB324_13 Depth=1
	v_clz_i32_u32_e32 v33, v7
	s_delay_alu instid0(VALU_DEP_1) | instskip(NEXT) | instid1(VALU_DEP_1)
	v_min_u32_e32 v76, 32, v33
	v_subrev_nc_u32_e32 v33, 28, v76
	v_sub_nc_u32_e32 v76, 29, v76
	s_delay_alu instid0(VALU_DEP_2) | instskip(NEXT) | instid1(VALU_DEP_1)
	v_lshlrev_b64 v[33:34], v33, v[7:8]
	v_and_b32_e32 v33, 7, v33
; %bb.589:                              ;   in Loop: Header=BB324_13 Depth=1
	s_or_b32 exec_lo, exec_lo, s24
	v_lshlrev_b32_e32 v7, 8, v78
	v_lshl_add_u32 v34, v76, 10, 0x2000
	s_delay_alu instid0(VALU_DEP_1) | instskip(NEXT) | instid1(VALU_DEP_1)
	v_and_or_b32 v7, 0x8000, v7, v34
	v_lshl_or_b32 v7, v33, 7, v7
	s_delay_alu instid0(VALU_DEP_1)
	v_cvt_f32_f16_e32 v76, v7
.LBB324_590:                            ;   in Loop: Header=BB324_13 Depth=1
	s_or_b32 exec_lo, exec_lo, s23
.LBB324_591:                            ;   in Loop: Header=BB324_13 Depth=1
	s_delay_alu instid0(SALU_CYCLE_1)
	s_or_b32 exec_lo, exec_lo, s22
.LBB324_592:                            ;   in Loop: Header=BB324_13 Depth=1
	s_delay_alu instid0(SALU_CYCLE_1)
	s_or_b32 exec_lo, exec_lo, s21
	flat_load_b32 v90, v[31:32] offset:2304
	v_mov_b32_e32 v79, 0
	s_mov_b32 s21, exec_lo
	s_waitcnt vmcnt(0) lgkmcnt(0)
	v_dual_mov_b32 v78, 0 :: v_dual_and_b32 v7, 0xff, v90
	s_delay_alu instid0(VALU_DEP_1)
	v_cmpx_ne_u16_e32 0, v7
	s_cbranch_execz .LBB324_600
; %bb.593:                              ;   in Loop: Header=BB324_13 Depth=1
	v_bfrev_b32_e32 v78, 1
	s_mov_b32 s22, exec_lo
	v_cmpx_ne_u16_e32 0x80, v7
	s_cbranch_execz .LBB324_599
; %bb.594:                              ;   in Loop: Header=BB324_13 Depth=1
	v_and_b32_e32 v33, 0x7f, v90
	v_mov_b32_e32 v78, 0x7fc02000
	s_mov_b32 s23, exec_lo
	s_delay_alu instid0(VALU_DEP_2)
	v_cmpx_ne_u32_e32 0x7f, v33
	s_cbranch_execz .LBB324_598
; %bb.595:                              ;   in Loop: Header=BB324_13 Depth=1
	v_and_b32_e32 v7, 7, v90
	v_lshrrev_b32_e32 v78, 3, v33
	v_cmp_gt_u32_e64 s3, 8, v33
	s_delay_alu instid0(VALU_DEP_3) | instskip(NEXT) | instid1(VALU_DEP_2)
	v_dual_mov_b32 v34, v8 :: v_dual_mov_b32 v33, v7
	s_and_saveexec_b32 s24, s3
; %bb.596:                              ;   in Loop: Header=BB324_13 Depth=1
	v_clz_i32_u32_e32 v33, v7
	s_delay_alu instid0(VALU_DEP_1) | instskip(NEXT) | instid1(VALU_DEP_1)
	v_min_u32_e32 v78, 32, v33
	v_subrev_nc_u32_e32 v33, 28, v78
	v_sub_nc_u32_e32 v78, 29, v78
	s_delay_alu instid0(VALU_DEP_2) | instskip(NEXT) | instid1(VALU_DEP_1)
	v_lshlrev_b64 v[33:34], v33, v[7:8]
	v_and_b32_e32 v33, 7, v33
; %bb.597:                              ;   in Loop: Header=BB324_13 Depth=1
	s_or_b32 exec_lo, exec_lo, s24
	v_lshlrev_b32_e32 v7, 8, v90
	v_lshl_add_u32 v34, v78, 10, 0x2000
	s_delay_alu instid0(VALU_DEP_1) | instskip(NEXT) | instid1(VALU_DEP_1)
	v_and_or_b32 v7, 0x8000, v7, v34
	v_lshl_or_b32 v7, v33, 7, v7
	s_delay_alu instid0(VALU_DEP_1)
	v_cvt_f32_f16_e32 v78, v7
.LBB324_598:                            ;   in Loop: Header=BB324_13 Depth=1
	s_or_b32 exec_lo, exec_lo, s23
.LBB324_599:                            ;   in Loop: Header=BB324_13 Depth=1
	s_delay_alu instid0(SALU_CYCLE_1)
	s_or_b32 exec_lo, exec_lo, s22
.LBB324_600:                            ;   in Loop: Header=BB324_13 Depth=1
	s_delay_alu instid0(SALU_CYCLE_1) | instskip(SKIP_2) | instid1(VALU_DEP_1)
	s_or_b32 exec_lo, exec_lo, s21
	v_lshrrev_b16 v7, 8, v90
	s_mov_b32 s21, exec_lo
	v_cmpx_ne_u16_e32 0, v7
	s_cbranch_execz .LBB324_608
; %bb.601:                              ;   in Loop: Header=BB324_13 Depth=1
	v_bfrev_b32_e32 v79, 1
	s_mov_b32 s22, exec_lo
	v_cmpx_ne_u16_e32 0x80, v7
	s_cbranch_execz .LBB324_607
; %bb.602:                              ;   in Loop: Header=BB324_13 Depth=1
	v_and_b32_e32 v88, 0xffff, v7
	v_mov_b32_e32 v79, 0x7fc02000
	s_mov_b32 s23, exec_lo
	s_delay_alu instid0(VALU_DEP_2) | instskip(NEXT) | instid1(VALU_DEP_1)
	v_and_b32_e32 v33, 0x7f, v88
	v_cmpx_ne_u32_e32 0x7f, v33
	s_cbranch_execz .LBB324_606
; %bb.603:                              ;   in Loop: Header=BB324_13 Depth=1
	v_and_b32_e32 v7, 7, v88
	v_lshrrev_b32_e32 v79, 3, v33
	v_cmp_gt_u32_e64 s3, 8, v33
	s_delay_alu instid0(VALU_DEP_3) | instskip(NEXT) | instid1(VALU_DEP_2)
	v_dual_mov_b32 v34, v8 :: v_dual_mov_b32 v33, v7
	s_and_saveexec_b32 s24, s3
; %bb.604:                              ;   in Loop: Header=BB324_13 Depth=1
	v_clz_i32_u32_e32 v33, v7
	s_delay_alu instid0(VALU_DEP_1) | instskip(NEXT) | instid1(VALU_DEP_1)
	v_min_u32_e32 v79, 32, v33
	v_subrev_nc_u32_e32 v33, 28, v79
	v_sub_nc_u32_e32 v79, 29, v79
	s_delay_alu instid0(VALU_DEP_2) | instskip(NEXT) | instid1(VALU_DEP_1)
	v_lshlrev_b64 v[33:34], v33, v[7:8]
	v_and_b32_e32 v33, 7, v33
; %bb.605:                              ;   in Loop: Header=BB324_13 Depth=1
	s_or_b32 exec_lo, exec_lo, s24
	v_lshlrev_b32_e32 v7, 8, v88
	v_lshl_add_u32 v34, v79, 10, 0x2000
	s_delay_alu instid0(VALU_DEP_1) | instskip(NEXT) | instid1(VALU_DEP_1)
	v_and_or_b32 v7, 0x8000, v7, v34
	v_lshl_or_b32 v7, v33, 7, v7
	s_delay_alu instid0(VALU_DEP_1)
	v_cvt_f32_f16_e32 v79, v7
.LBB324_606:                            ;   in Loop: Header=BB324_13 Depth=1
	s_or_b32 exec_lo, exec_lo, s23
.LBB324_607:                            ;   in Loop: Header=BB324_13 Depth=1
	s_delay_alu instid0(SALU_CYCLE_1)
	s_or_b32 exec_lo, exec_lo, s22
.LBB324_608:                            ;   in Loop: Header=BB324_13 Depth=1
	s_delay_alu instid0(SALU_CYCLE_1) | instskip(SKIP_3) | instid1(VALU_DEP_2)
	s_or_b32 exec_lo, exec_lo, s21
	v_lshrrev_b32_e32 v91, 16, v90
	v_mov_b32_e32 v89, 0
	s_mov_b32 s21, exec_lo
	v_dual_mov_b32 v88, 0 :: v_dual_and_b32 v7, 0xff, v91
	s_delay_alu instid0(VALU_DEP_1)
	v_cmpx_ne_u16_e32 0, v7
	s_cbranch_execz .LBB324_616
; %bb.609:                              ;   in Loop: Header=BB324_13 Depth=1
	v_bfrev_b32_e32 v89, 1
	s_mov_b32 s22, exec_lo
	v_cmpx_ne_u16_e32 0x80, v7
	s_cbranch_execz .LBB324_615
; %bb.610:                              ;   in Loop: Header=BB324_13 Depth=1
	v_bfe_u32 v33, v90, 16, 7
	v_mov_b32_e32 v89, 0x7fc02000
	s_mov_b32 s23, exec_lo
	s_delay_alu instid0(VALU_DEP_2)
	v_cmpx_ne_u32_e32 0x7f, v33
	s_cbranch_execz .LBB324_614
; %bb.611:                              ;   in Loop: Header=BB324_13 Depth=1
	v_and_b32_e32 v7, 7, v91
	v_lshrrev_b32_e32 v89, 3, v33
	v_cmp_gt_u32_e64 s3, 8, v33
	s_delay_alu instid0(VALU_DEP_3) | instskip(NEXT) | instid1(VALU_DEP_2)
	v_dual_mov_b32 v34, v8 :: v_dual_mov_b32 v33, v7
	s_and_saveexec_b32 s24, s3
; %bb.612:                              ;   in Loop: Header=BB324_13 Depth=1
	v_clz_i32_u32_e32 v33, v7
	s_delay_alu instid0(VALU_DEP_1) | instskip(NEXT) | instid1(VALU_DEP_1)
	v_min_u32_e32 v89, 32, v33
	v_subrev_nc_u32_e32 v33, 28, v89
	v_sub_nc_u32_e32 v89, 29, v89
	s_delay_alu instid0(VALU_DEP_2) | instskip(NEXT) | instid1(VALU_DEP_1)
	v_lshlrev_b64 v[33:34], v33, v[7:8]
	v_and_b32_e32 v33, 7, v33
; %bb.613:                              ;   in Loop: Header=BB324_13 Depth=1
	s_or_b32 exec_lo, exec_lo, s24
	v_lshlrev_b32_e32 v7, 8, v91
	v_lshl_add_u32 v34, v89, 10, 0x2000
	s_delay_alu instid0(VALU_DEP_1) | instskip(NEXT) | instid1(VALU_DEP_1)
	v_and_or_b32 v7, 0x8000, v7, v34
	v_lshl_or_b32 v7, v33, 7, v7
	s_delay_alu instid0(VALU_DEP_1)
	v_cvt_f32_f16_e32 v89, v7
.LBB324_614:                            ;   in Loop: Header=BB324_13 Depth=1
	s_or_b32 exec_lo, exec_lo, s23
.LBB324_615:                            ;   in Loop: Header=BB324_13 Depth=1
	s_delay_alu instid0(SALU_CYCLE_1)
	s_or_b32 exec_lo, exec_lo, s22
.LBB324_616:                            ;   in Loop: Header=BB324_13 Depth=1
	s_delay_alu instid0(SALU_CYCLE_1) | instskip(NEXT) | instid1(SALU_CYCLE_1)
	s_or_b32 exec_lo, exec_lo, s21
	s_mov_b32 s21, exec_lo
	v_cmpx_lt_u32_e32 0xffffff, v90
	s_cbranch_execz .LBB324_624
; %bb.617:                              ;   in Loop: Header=BB324_13 Depth=1
	v_lshrrev_b32_e32 v90, 24, v90
	v_bfrev_b32_e32 v88, 1
	s_mov_b32 s22, exec_lo
	s_delay_alu instid0(VALU_DEP_2)
	v_cmpx_ne_u32_e32 0x80, v90
	s_cbranch_execz .LBB324_623
; %bb.618:                              ;   in Loop: Header=BB324_13 Depth=1
	v_and_b32_e32 v33, 0x7f, v90
	v_mov_b32_e32 v88, 0x7fc02000
	s_mov_b32 s23, exec_lo
	s_delay_alu instid0(VALU_DEP_2)
	v_cmpx_ne_u32_e32 0x7f, v33
	s_cbranch_execz .LBB324_622
; %bb.619:                              ;   in Loop: Header=BB324_13 Depth=1
	v_and_b32_e32 v7, 7, v90
	v_lshrrev_b32_e32 v88, 3, v33
	v_cmp_gt_u32_e64 s3, 8, v33
	s_delay_alu instid0(VALU_DEP_3) | instskip(NEXT) | instid1(VALU_DEP_2)
	v_dual_mov_b32 v34, v8 :: v_dual_mov_b32 v33, v7
	s_and_saveexec_b32 s24, s3
; %bb.620:                              ;   in Loop: Header=BB324_13 Depth=1
	v_clz_i32_u32_e32 v33, v7
	s_delay_alu instid0(VALU_DEP_1) | instskip(NEXT) | instid1(VALU_DEP_1)
	v_min_u32_e32 v88, 32, v33
	v_subrev_nc_u32_e32 v33, 28, v88
	v_sub_nc_u32_e32 v88, 29, v88
	s_delay_alu instid0(VALU_DEP_2) | instskip(NEXT) | instid1(VALU_DEP_1)
	v_lshlrev_b64 v[33:34], v33, v[7:8]
	v_and_b32_e32 v33, 7, v33
; %bb.621:                              ;   in Loop: Header=BB324_13 Depth=1
	s_or_b32 exec_lo, exec_lo, s24
	v_lshlrev_b32_e32 v7, 8, v90
	v_lshl_add_u32 v34, v88, 10, 0x2000
	s_delay_alu instid0(VALU_DEP_1) | instskip(NEXT) | instid1(VALU_DEP_1)
	v_and_or_b32 v7, 0x8000, v7, v34
	v_lshl_or_b32 v7, v33, 7, v7
	s_delay_alu instid0(VALU_DEP_1)
	v_cvt_f32_f16_e32 v88, v7
.LBB324_622:                            ;   in Loop: Header=BB324_13 Depth=1
	s_or_b32 exec_lo, exec_lo, s23
.LBB324_623:                            ;   in Loop: Header=BB324_13 Depth=1
	s_delay_alu instid0(SALU_CYCLE_1)
	s_or_b32 exec_lo, exec_lo, s22
.LBB324_624:                            ;   in Loop: Header=BB324_13 Depth=1
	s_delay_alu instid0(SALU_CYCLE_1)
	s_or_b32 exec_lo, exec_lo, s21
	flat_load_b32 v94, v[31:32] offset:2312
	v_mov_b32_e32 v91, 0
	s_mov_b32 s21, exec_lo
	s_waitcnt vmcnt(0) lgkmcnt(0)
	v_dual_mov_b32 v90, 0 :: v_dual_and_b32 v7, 0xff, v94
	s_delay_alu instid0(VALU_DEP_1)
	v_cmpx_ne_u16_e32 0, v7
	s_cbranch_execz .LBB324_632
; %bb.625:                              ;   in Loop: Header=BB324_13 Depth=1
	v_bfrev_b32_e32 v90, 1
	s_mov_b32 s22, exec_lo
	v_cmpx_ne_u16_e32 0x80, v7
	s_cbranch_execz .LBB324_631
; %bb.626:                              ;   in Loop: Header=BB324_13 Depth=1
	v_and_b32_e32 v33, 0x7f, v94
	v_mov_b32_e32 v90, 0x7fc02000
	s_mov_b32 s23, exec_lo
	s_delay_alu instid0(VALU_DEP_2)
	v_cmpx_ne_u32_e32 0x7f, v33
	s_cbranch_execz .LBB324_630
; %bb.627:                              ;   in Loop: Header=BB324_13 Depth=1
	v_and_b32_e32 v7, 7, v94
	v_lshrrev_b32_e32 v90, 3, v33
	v_cmp_gt_u32_e64 s3, 8, v33
	s_delay_alu instid0(VALU_DEP_3) | instskip(NEXT) | instid1(VALU_DEP_2)
	v_dual_mov_b32 v34, v8 :: v_dual_mov_b32 v33, v7
	s_and_saveexec_b32 s24, s3
; %bb.628:                              ;   in Loop: Header=BB324_13 Depth=1
	v_clz_i32_u32_e32 v33, v7
	s_delay_alu instid0(VALU_DEP_1) | instskip(NEXT) | instid1(VALU_DEP_1)
	v_min_u32_e32 v90, 32, v33
	v_subrev_nc_u32_e32 v33, 28, v90
	v_sub_nc_u32_e32 v90, 29, v90
	s_delay_alu instid0(VALU_DEP_2) | instskip(NEXT) | instid1(VALU_DEP_1)
	v_lshlrev_b64 v[33:34], v33, v[7:8]
	v_and_b32_e32 v33, 7, v33
; %bb.629:                              ;   in Loop: Header=BB324_13 Depth=1
	s_or_b32 exec_lo, exec_lo, s24
	v_lshlrev_b32_e32 v7, 8, v94
	v_lshl_add_u32 v34, v90, 10, 0x2000
	s_delay_alu instid0(VALU_DEP_1) | instskip(NEXT) | instid1(VALU_DEP_1)
	v_and_or_b32 v7, 0x8000, v7, v34
	v_lshl_or_b32 v7, v33, 7, v7
	s_delay_alu instid0(VALU_DEP_1)
	v_cvt_f32_f16_e32 v90, v7
.LBB324_630:                            ;   in Loop: Header=BB324_13 Depth=1
	s_or_b32 exec_lo, exec_lo, s23
.LBB324_631:                            ;   in Loop: Header=BB324_13 Depth=1
	s_delay_alu instid0(SALU_CYCLE_1)
	s_or_b32 exec_lo, exec_lo, s22
.LBB324_632:                            ;   in Loop: Header=BB324_13 Depth=1
	s_delay_alu instid0(SALU_CYCLE_1) | instskip(SKIP_2) | instid1(VALU_DEP_1)
	s_or_b32 exec_lo, exec_lo, s21
	v_lshrrev_b16 v7, 8, v94
	s_mov_b32 s21, exec_lo
	v_cmpx_ne_u16_e32 0, v7
	s_cbranch_execz .LBB324_640
; %bb.633:                              ;   in Loop: Header=BB324_13 Depth=1
	v_bfrev_b32_e32 v91, 1
	s_mov_b32 s22, exec_lo
	v_cmpx_ne_u16_e32 0x80, v7
	s_cbranch_execz .LBB324_639
; %bb.634:                              ;   in Loop: Header=BB324_13 Depth=1
	v_and_b32_e32 v92, 0xffff, v7
	v_mov_b32_e32 v91, 0x7fc02000
	s_mov_b32 s23, exec_lo
	s_delay_alu instid0(VALU_DEP_2) | instskip(NEXT) | instid1(VALU_DEP_1)
	v_and_b32_e32 v33, 0x7f, v92
	v_cmpx_ne_u32_e32 0x7f, v33
	s_cbranch_execz .LBB324_638
; %bb.635:                              ;   in Loop: Header=BB324_13 Depth=1
	v_and_b32_e32 v7, 7, v92
	v_lshrrev_b32_e32 v91, 3, v33
	v_cmp_gt_u32_e64 s3, 8, v33
	s_delay_alu instid0(VALU_DEP_3) | instskip(NEXT) | instid1(VALU_DEP_2)
	v_dual_mov_b32 v34, v8 :: v_dual_mov_b32 v33, v7
	s_and_saveexec_b32 s24, s3
; %bb.636:                              ;   in Loop: Header=BB324_13 Depth=1
	v_clz_i32_u32_e32 v33, v7
	s_delay_alu instid0(VALU_DEP_1) | instskip(NEXT) | instid1(VALU_DEP_1)
	v_min_u32_e32 v91, 32, v33
	v_subrev_nc_u32_e32 v33, 28, v91
	v_sub_nc_u32_e32 v91, 29, v91
	s_delay_alu instid0(VALU_DEP_2) | instskip(NEXT) | instid1(VALU_DEP_1)
	v_lshlrev_b64 v[33:34], v33, v[7:8]
	v_and_b32_e32 v33, 7, v33
; %bb.637:                              ;   in Loop: Header=BB324_13 Depth=1
	s_or_b32 exec_lo, exec_lo, s24
	v_lshlrev_b32_e32 v7, 8, v92
	v_lshl_add_u32 v34, v91, 10, 0x2000
	s_delay_alu instid0(VALU_DEP_1) | instskip(NEXT) | instid1(VALU_DEP_1)
	v_and_or_b32 v7, 0x8000, v7, v34
	v_lshl_or_b32 v7, v33, 7, v7
	s_delay_alu instid0(VALU_DEP_1)
	v_cvt_f32_f16_e32 v91, v7
.LBB324_638:                            ;   in Loop: Header=BB324_13 Depth=1
	s_or_b32 exec_lo, exec_lo, s23
.LBB324_639:                            ;   in Loop: Header=BB324_13 Depth=1
	s_delay_alu instid0(SALU_CYCLE_1)
	s_or_b32 exec_lo, exec_lo, s22
.LBB324_640:                            ;   in Loop: Header=BB324_13 Depth=1
	s_delay_alu instid0(SALU_CYCLE_1) | instskip(SKIP_3) | instid1(VALU_DEP_2)
	s_or_b32 exec_lo, exec_lo, s21
	v_lshrrev_b32_e32 v95, 16, v94
	v_mov_b32_e32 v93, 0
	s_mov_b32 s21, exec_lo
	v_dual_mov_b32 v92, 0 :: v_dual_and_b32 v7, 0xff, v95
	s_delay_alu instid0(VALU_DEP_1)
	v_cmpx_ne_u16_e32 0, v7
	s_cbranch_execz .LBB324_648
; %bb.641:                              ;   in Loop: Header=BB324_13 Depth=1
	v_bfrev_b32_e32 v93, 1
	s_mov_b32 s22, exec_lo
	v_cmpx_ne_u16_e32 0x80, v7
	s_cbranch_execz .LBB324_647
; %bb.642:                              ;   in Loop: Header=BB324_13 Depth=1
	v_bfe_u32 v33, v94, 16, 7
	v_mov_b32_e32 v93, 0x7fc02000
	s_mov_b32 s23, exec_lo
	s_delay_alu instid0(VALU_DEP_2)
	v_cmpx_ne_u32_e32 0x7f, v33
	s_cbranch_execz .LBB324_646
; %bb.643:                              ;   in Loop: Header=BB324_13 Depth=1
	v_and_b32_e32 v7, 7, v95
	v_lshrrev_b32_e32 v93, 3, v33
	v_cmp_gt_u32_e64 s3, 8, v33
	s_delay_alu instid0(VALU_DEP_3) | instskip(NEXT) | instid1(VALU_DEP_2)
	v_dual_mov_b32 v34, v8 :: v_dual_mov_b32 v33, v7
	s_and_saveexec_b32 s24, s3
; %bb.644:                              ;   in Loop: Header=BB324_13 Depth=1
	v_clz_i32_u32_e32 v33, v7
	s_delay_alu instid0(VALU_DEP_1) | instskip(NEXT) | instid1(VALU_DEP_1)
	v_min_u32_e32 v93, 32, v33
	v_subrev_nc_u32_e32 v33, 28, v93
	v_sub_nc_u32_e32 v93, 29, v93
	s_delay_alu instid0(VALU_DEP_2) | instskip(NEXT) | instid1(VALU_DEP_1)
	v_lshlrev_b64 v[33:34], v33, v[7:8]
	v_and_b32_e32 v33, 7, v33
; %bb.645:                              ;   in Loop: Header=BB324_13 Depth=1
	s_or_b32 exec_lo, exec_lo, s24
	v_lshlrev_b32_e32 v7, 8, v95
	v_lshl_add_u32 v34, v93, 10, 0x2000
	s_delay_alu instid0(VALU_DEP_1) | instskip(NEXT) | instid1(VALU_DEP_1)
	v_and_or_b32 v7, 0x8000, v7, v34
	v_lshl_or_b32 v7, v33, 7, v7
	s_delay_alu instid0(VALU_DEP_1)
	v_cvt_f32_f16_e32 v93, v7
.LBB324_646:                            ;   in Loop: Header=BB324_13 Depth=1
	s_or_b32 exec_lo, exec_lo, s23
.LBB324_647:                            ;   in Loop: Header=BB324_13 Depth=1
	s_delay_alu instid0(SALU_CYCLE_1)
	s_or_b32 exec_lo, exec_lo, s22
.LBB324_648:                            ;   in Loop: Header=BB324_13 Depth=1
	s_delay_alu instid0(SALU_CYCLE_1) | instskip(NEXT) | instid1(SALU_CYCLE_1)
	s_or_b32 exec_lo, exec_lo, s21
	s_mov_b32 s21, exec_lo
	v_cmpx_lt_u32_e32 0xffffff, v94
	s_cbranch_execz .LBB324_656
; %bb.649:                              ;   in Loop: Header=BB324_13 Depth=1
	v_lshrrev_b32_e32 v94, 24, v94
	v_bfrev_b32_e32 v92, 1
	s_mov_b32 s22, exec_lo
	s_delay_alu instid0(VALU_DEP_2)
	v_cmpx_ne_u32_e32 0x80, v94
	s_cbranch_execz .LBB324_655
; %bb.650:                              ;   in Loop: Header=BB324_13 Depth=1
	v_and_b32_e32 v33, 0x7f, v94
	v_mov_b32_e32 v92, 0x7fc02000
	s_mov_b32 s23, exec_lo
	s_delay_alu instid0(VALU_DEP_2)
	v_cmpx_ne_u32_e32 0x7f, v33
	s_cbranch_execz .LBB324_654
; %bb.651:                              ;   in Loop: Header=BB324_13 Depth=1
	v_and_b32_e32 v7, 7, v94
	v_lshrrev_b32_e32 v92, 3, v33
	v_cmp_gt_u32_e64 s3, 8, v33
	s_delay_alu instid0(VALU_DEP_3) | instskip(NEXT) | instid1(VALU_DEP_2)
	v_dual_mov_b32 v34, v8 :: v_dual_mov_b32 v33, v7
	s_and_saveexec_b32 s24, s3
; %bb.652:                              ;   in Loop: Header=BB324_13 Depth=1
	v_clz_i32_u32_e32 v33, v7
	s_delay_alu instid0(VALU_DEP_1) | instskip(NEXT) | instid1(VALU_DEP_1)
	v_min_u32_e32 v92, 32, v33
	v_subrev_nc_u32_e32 v33, 28, v92
	v_sub_nc_u32_e32 v92, 29, v92
	s_delay_alu instid0(VALU_DEP_2) | instskip(NEXT) | instid1(VALU_DEP_1)
	v_lshlrev_b64 v[33:34], v33, v[7:8]
	v_and_b32_e32 v33, 7, v33
; %bb.653:                              ;   in Loop: Header=BB324_13 Depth=1
	s_or_b32 exec_lo, exec_lo, s24
	v_lshlrev_b32_e32 v7, 8, v94
	v_lshl_add_u32 v34, v92, 10, 0x2000
	s_delay_alu instid0(VALU_DEP_1) | instskip(NEXT) | instid1(VALU_DEP_1)
	v_and_or_b32 v7, 0x8000, v7, v34
	v_lshl_or_b32 v7, v33, 7, v7
	s_delay_alu instid0(VALU_DEP_1)
	v_cvt_f32_f16_e32 v92, v7
.LBB324_654:                            ;   in Loop: Header=BB324_13 Depth=1
	s_or_b32 exec_lo, exec_lo, s23
.LBB324_655:                            ;   in Loop: Header=BB324_13 Depth=1
	s_delay_alu instid0(SALU_CYCLE_1)
	s_or_b32 exec_lo, exec_lo, s22
.LBB324_656:                            ;   in Loop: Header=BB324_13 Depth=1
	s_delay_alu instid0(SALU_CYCLE_1)
	s_or_b32 exec_lo, exec_lo, s21
	flat_load_b32 v94, v[31:32] offset:2560
	v_mov_b32_e32 v105, 0
	s_mov_b32 s21, exec_lo
	s_waitcnt vmcnt(0) lgkmcnt(0)
	v_dual_mov_b32 v104, 0 :: v_dual_and_b32 v7, 0xff, v94
	s_delay_alu instid0(VALU_DEP_1)
	v_cmpx_ne_u16_e32 0, v7
	s_cbranch_execz .LBB324_664
; %bb.657:                              ;   in Loop: Header=BB324_13 Depth=1
	v_bfrev_b32_e32 v104, 1
	s_mov_b32 s22, exec_lo
	v_cmpx_ne_u16_e32 0x80, v7
	s_cbranch_execz .LBB324_663
; %bb.658:                              ;   in Loop: Header=BB324_13 Depth=1
	v_and_b32_e32 v33, 0x7f, v94
	v_mov_b32_e32 v104, 0x7fc02000
	s_mov_b32 s23, exec_lo
	s_delay_alu instid0(VALU_DEP_2)
	v_cmpx_ne_u32_e32 0x7f, v33
	s_cbranch_execz .LBB324_662
; %bb.659:                              ;   in Loop: Header=BB324_13 Depth=1
	v_and_b32_e32 v7, 7, v94
	v_lshrrev_b32_e32 v95, 3, v33
	v_cmp_gt_u32_e64 s3, 8, v33
	s_delay_alu instid0(VALU_DEP_3) | instskip(NEXT) | instid1(VALU_DEP_2)
	v_dual_mov_b32 v34, v8 :: v_dual_mov_b32 v33, v7
	s_and_saveexec_b32 s24, s3
; %bb.660:                              ;   in Loop: Header=BB324_13 Depth=1
	v_clz_i32_u32_e32 v33, v7
	s_delay_alu instid0(VALU_DEP_1) | instskip(NEXT) | instid1(VALU_DEP_1)
	v_min_u32_e32 v95, 32, v33
	v_subrev_nc_u32_e32 v33, 28, v95
	v_sub_nc_u32_e32 v95, 29, v95
	s_delay_alu instid0(VALU_DEP_2) | instskip(NEXT) | instid1(VALU_DEP_1)
	v_lshlrev_b64 v[33:34], v33, v[7:8]
	v_and_b32_e32 v33, 7, v33
; %bb.661:                              ;   in Loop: Header=BB324_13 Depth=1
	s_or_b32 exec_lo, exec_lo, s24
	v_lshlrev_b32_e32 v7, 8, v94
	v_lshl_add_u32 v34, v95, 10, 0x2000
	s_delay_alu instid0(VALU_DEP_1) | instskip(NEXT) | instid1(VALU_DEP_1)
	v_and_or_b32 v7, 0x8000, v7, v34
	v_lshl_or_b32 v7, v33, 7, v7
	s_delay_alu instid0(VALU_DEP_1)
	v_cvt_f32_f16_e32 v104, v7
.LBB324_662:                            ;   in Loop: Header=BB324_13 Depth=1
	s_or_b32 exec_lo, exec_lo, s23
.LBB324_663:                            ;   in Loop: Header=BB324_13 Depth=1
	s_delay_alu instid0(SALU_CYCLE_1)
	s_or_b32 exec_lo, exec_lo, s22
.LBB324_664:                            ;   in Loop: Header=BB324_13 Depth=1
	s_delay_alu instid0(SALU_CYCLE_1) | instskip(SKIP_2) | instid1(VALU_DEP_1)
	s_or_b32 exec_lo, exec_lo, s21
	v_lshrrev_b16 v7, 8, v94
	s_mov_b32 s21, exec_lo
	v_cmpx_ne_u16_e32 0, v7
	s_cbranch_execz .LBB324_672
; %bb.665:                              ;   in Loop: Header=BB324_13 Depth=1
	v_bfrev_b32_e32 v105, 1
	s_mov_b32 s22, exec_lo
	v_cmpx_ne_u16_e32 0x80, v7
	s_cbranch_execz .LBB324_671
; %bb.666:                              ;   in Loop: Header=BB324_13 Depth=1
	v_and_b32_e32 v95, 0xffff, v7
	v_mov_b32_e32 v105, 0x7fc02000
	s_mov_b32 s23, exec_lo
	s_delay_alu instid0(VALU_DEP_2) | instskip(NEXT) | instid1(VALU_DEP_1)
	v_and_b32_e32 v33, 0x7f, v95
	v_cmpx_ne_u32_e32 0x7f, v33
	s_cbranch_execz .LBB324_670
; %bb.667:                              ;   in Loop: Header=BB324_13 Depth=1
	v_and_b32_e32 v7, 7, v95
	v_lshrrev_b32_e32 v105, 3, v33
	v_cmp_gt_u32_e64 s3, 8, v33
	s_delay_alu instid0(VALU_DEP_3) | instskip(NEXT) | instid1(VALU_DEP_2)
	v_dual_mov_b32 v34, v8 :: v_dual_mov_b32 v33, v7
	s_and_saveexec_b32 s24, s3
; %bb.668:                              ;   in Loop: Header=BB324_13 Depth=1
	v_clz_i32_u32_e32 v33, v7
	s_delay_alu instid0(VALU_DEP_1) | instskip(NEXT) | instid1(VALU_DEP_1)
	v_min_u32_e32 v105, 32, v33
	v_subrev_nc_u32_e32 v33, 28, v105
	v_sub_nc_u32_e32 v105, 29, v105
	s_delay_alu instid0(VALU_DEP_2) | instskip(NEXT) | instid1(VALU_DEP_1)
	v_lshlrev_b64 v[33:34], v33, v[7:8]
	v_and_b32_e32 v33, 7, v33
; %bb.669:                              ;   in Loop: Header=BB324_13 Depth=1
	s_or_b32 exec_lo, exec_lo, s24
	v_lshlrev_b32_e32 v7, 8, v95
	v_lshl_add_u32 v34, v105, 10, 0x2000
	s_delay_alu instid0(VALU_DEP_1) | instskip(NEXT) | instid1(VALU_DEP_1)
	v_and_or_b32 v7, 0x8000, v7, v34
	v_lshl_or_b32 v7, v33, 7, v7
	s_delay_alu instid0(VALU_DEP_1)
	v_cvt_f32_f16_e32 v105, v7
.LBB324_670:                            ;   in Loop: Header=BB324_13 Depth=1
	s_or_b32 exec_lo, exec_lo, s23
.LBB324_671:                            ;   in Loop: Header=BB324_13 Depth=1
	s_delay_alu instid0(SALU_CYCLE_1)
	s_or_b32 exec_lo, exec_lo, s22
.LBB324_672:                            ;   in Loop: Header=BB324_13 Depth=1
	s_delay_alu instid0(SALU_CYCLE_1) | instskip(SKIP_3) | instid1(VALU_DEP_2)
	s_or_b32 exec_lo, exec_lo, s21
	v_lshrrev_b32_e32 v95, 16, v94
	v_mov_b32_e32 v111, 0
	s_mov_b32 s21, exec_lo
	v_dual_mov_b32 v110, 0 :: v_dual_and_b32 v7, 0xff, v95
	s_delay_alu instid0(VALU_DEP_1)
	v_cmpx_ne_u16_e32 0, v7
	s_cbranch_execz .LBB324_680
; %bb.673:                              ;   in Loop: Header=BB324_13 Depth=1
	v_bfrev_b32_e32 v111, 1
	s_mov_b32 s22, exec_lo
	v_cmpx_ne_u16_e32 0x80, v7
	s_cbranch_execz .LBB324_679
; %bb.674:                              ;   in Loop: Header=BB324_13 Depth=1
	v_bfe_u32 v33, v94, 16, 7
	v_mov_b32_e32 v111, 0x7fc02000
	s_mov_b32 s23, exec_lo
	s_delay_alu instid0(VALU_DEP_2)
	v_cmpx_ne_u32_e32 0x7f, v33
	s_cbranch_execz .LBB324_678
; %bb.675:                              ;   in Loop: Header=BB324_13 Depth=1
	v_and_b32_e32 v7, 7, v95
	v_lshrrev_b32_e32 v106, 3, v33
	v_cmp_gt_u32_e64 s3, 8, v33
	s_delay_alu instid0(VALU_DEP_3) | instskip(NEXT) | instid1(VALU_DEP_2)
	v_dual_mov_b32 v34, v8 :: v_dual_mov_b32 v33, v7
	s_and_saveexec_b32 s24, s3
; %bb.676:                              ;   in Loop: Header=BB324_13 Depth=1
	v_clz_i32_u32_e32 v33, v7
	s_delay_alu instid0(VALU_DEP_1) | instskip(NEXT) | instid1(VALU_DEP_1)
	v_min_u32_e32 v106, 32, v33
	v_subrev_nc_u32_e32 v33, 28, v106
	v_sub_nc_u32_e32 v106, 29, v106
	s_delay_alu instid0(VALU_DEP_2) | instskip(NEXT) | instid1(VALU_DEP_1)
	v_lshlrev_b64 v[33:34], v33, v[7:8]
	v_and_b32_e32 v33, 7, v33
; %bb.677:                              ;   in Loop: Header=BB324_13 Depth=1
	s_or_b32 exec_lo, exec_lo, s24
	v_lshlrev_b32_e32 v7, 8, v95
	v_lshl_add_u32 v34, v106, 10, 0x2000
	s_delay_alu instid0(VALU_DEP_1) | instskip(NEXT) | instid1(VALU_DEP_1)
	v_and_or_b32 v7, 0x8000, v7, v34
	v_lshl_or_b32 v7, v33, 7, v7
	s_delay_alu instid0(VALU_DEP_1)
	v_cvt_f32_f16_e32 v111, v7
.LBB324_678:                            ;   in Loop: Header=BB324_13 Depth=1
	s_or_b32 exec_lo, exec_lo, s23
.LBB324_679:                            ;   in Loop: Header=BB324_13 Depth=1
	s_delay_alu instid0(SALU_CYCLE_1)
	s_or_b32 exec_lo, exec_lo, s22
.LBB324_680:                            ;   in Loop: Header=BB324_13 Depth=1
	s_delay_alu instid0(SALU_CYCLE_1) | instskip(NEXT) | instid1(SALU_CYCLE_1)
	s_or_b32 exec_lo, exec_lo, s21
	s_mov_b32 s21, exec_lo
	v_cmpx_lt_u32_e32 0xffffff, v94
	s_cbranch_execz .LBB324_688
; %bb.681:                              ;   in Loop: Header=BB324_13 Depth=1
	v_lshrrev_b32_e32 v94, 24, v94
	v_bfrev_b32_e32 v110, 1
	s_mov_b32 s22, exec_lo
	s_delay_alu instid0(VALU_DEP_2)
	v_cmpx_ne_u32_e32 0x80, v94
	s_cbranch_execz .LBB324_687
; %bb.682:                              ;   in Loop: Header=BB324_13 Depth=1
	v_and_b32_e32 v33, 0x7f, v94
	v_mov_b32_e32 v110, 0x7fc02000
	s_mov_b32 s23, exec_lo
	s_delay_alu instid0(VALU_DEP_2)
	v_cmpx_ne_u32_e32 0x7f, v33
	s_cbranch_execz .LBB324_686
; %bb.683:                              ;   in Loop: Header=BB324_13 Depth=1
	v_and_b32_e32 v7, 7, v94
	v_lshrrev_b32_e32 v95, 3, v33
	v_cmp_gt_u32_e64 s3, 8, v33
	s_delay_alu instid0(VALU_DEP_3) | instskip(NEXT) | instid1(VALU_DEP_2)
	v_dual_mov_b32 v34, v8 :: v_dual_mov_b32 v33, v7
	s_and_saveexec_b32 s24, s3
; %bb.684:                              ;   in Loop: Header=BB324_13 Depth=1
	v_clz_i32_u32_e32 v33, v7
	s_delay_alu instid0(VALU_DEP_1) | instskip(NEXT) | instid1(VALU_DEP_1)
	v_min_u32_e32 v95, 32, v33
	v_subrev_nc_u32_e32 v33, 28, v95
	v_sub_nc_u32_e32 v95, 29, v95
	s_delay_alu instid0(VALU_DEP_2) | instskip(NEXT) | instid1(VALU_DEP_1)
	v_lshlrev_b64 v[33:34], v33, v[7:8]
	v_and_b32_e32 v33, 7, v33
; %bb.685:                              ;   in Loop: Header=BB324_13 Depth=1
	s_or_b32 exec_lo, exec_lo, s24
	v_lshlrev_b32_e32 v7, 8, v94
	v_lshl_add_u32 v34, v95, 10, 0x2000
	s_delay_alu instid0(VALU_DEP_1) | instskip(NEXT) | instid1(VALU_DEP_1)
	v_and_or_b32 v7, 0x8000, v7, v34
	v_lshl_or_b32 v7, v33, 7, v7
	s_delay_alu instid0(VALU_DEP_1)
	v_cvt_f32_f16_e32 v110, v7
.LBB324_686:                            ;   in Loop: Header=BB324_13 Depth=1
	s_or_b32 exec_lo, exec_lo, s23
.LBB324_687:                            ;   in Loop: Header=BB324_13 Depth=1
	s_delay_alu instid0(SALU_CYCLE_1)
	s_or_b32 exec_lo, exec_lo, s22
.LBB324_688:                            ;   in Loop: Header=BB324_13 Depth=1
	s_delay_alu instid0(SALU_CYCLE_1)
	s_or_b32 exec_lo, exec_lo, s21
	flat_load_b32 v94, v[31:32] offset:2568
	v_mov_b32_e32 v127, 0
	s_mov_b32 s21, exec_lo
	s_waitcnt vmcnt(0) lgkmcnt(0)
	v_dual_mov_b32 v126, 0 :: v_dual_and_b32 v7, 0xff, v94
	s_delay_alu instid0(VALU_DEP_1)
	v_cmpx_ne_u16_e32 0, v7
	s_cbranch_execz .LBB324_696
; %bb.689:                              ;   in Loop: Header=BB324_13 Depth=1
	v_bfrev_b32_e32 v126, 1
	s_mov_b32 s22, exec_lo
	v_cmpx_ne_u16_e32 0x80, v7
	s_cbranch_execz .LBB324_695
; %bb.690:                              ;   in Loop: Header=BB324_13 Depth=1
	v_and_b32_e32 v33, 0x7f, v94
	v_mov_b32_e32 v126, 0x7fc02000
	s_mov_b32 s23, exec_lo
	s_delay_alu instid0(VALU_DEP_2)
	v_cmpx_ne_u32_e32 0x7f, v33
	s_cbranch_execz .LBB324_694
; %bb.691:                              ;   in Loop: Header=BB324_13 Depth=1
	v_and_b32_e32 v7, 7, v94
	v_lshrrev_b32_e32 v95, 3, v33
	v_cmp_gt_u32_e64 s3, 8, v33
	s_delay_alu instid0(VALU_DEP_3) | instskip(NEXT) | instid1(VALU_DEP_2)
	v_dual_mov_b32 v34, v8 :: v_dual_mov_b32 v33, v7
	s_and_saveexec_b32 s24, s3
; %bb.692:                              ;   in Loop: Header=BB324_13 Depth=1
	v_clz_i32_u32_e32 v33, v7
	s_delay_alu instid0(VALU_DEP_1) | instskip(NEXT) | instid1(VALU_DEP_1)
	v_min_u32_e32 v95, 32, v33
	v_subrev_nc_u32_e32 v33, 28, v95
	v_sub_nc_u32_e32 v95, 29, v95
	s_delay_alu instid0(VALU_DEP_2) | instskip(NEXT) | instid1(VALU_DEP_1)
	v_lshlrev_b64 v[33:34], v33, v[7:8]
	v_and_b32_e32 v33, 7, v33
; %bb.693:                              ;   in Loop: Header=BB324_13 Depth=1
	s_or_b32 exec_lo, exec_lo, s24
	v_lshlrev_b32_e32 v7, 8, v94
	v_lshl_add_u32 v34, v95, 10, 0x2000
	s_delay_alu instid0(VALU_DEP_1) | instskip(NEXT) | instid1(VALU_DEP_1)
	v_and_or_b32 v7, 0x8000, v7, v34
	v_lshl_or_b32 v7, v33, 7, v7
	s_delay_alu instid0(VALU_DEP_1)
	v_cvt_f32_f16_e32 v126, v7
.LBB324_694:                            ;   in Loop: Header=BB324_13 Depth=1
	s_or_b32 exec_lo, exec_lo, s23
.LBB324_695:                            ;   in Loop: Header=BB324_13 Depth=1
	s_delay_alu instid0(SALU_CYCLE_1)
	s_or_b32 exec_lo, exec_lo, s22
.LBB324_696:                            ;   in Loop: Header=BB324_13 Depth=1
	s_delay_alu instid0(SALU_CYCLE_1) | instskip(SKIP_2) | instid1(VALU_DEP_1)
	s_or_b32 exec_lo, exec_lo, s21
	v_lshrrev_b16 v7, 8, v94
	s_mov_b32 s21, exec_lo
	v_cmpx_ne_u16_e32 0, v7
	s_cbranch_execz .LBB324_704
; %bb.697:                              ;   in Loop: Header=BB324_13 Depth=1
	v_bfrev_b32_e32 v127, 1
	s_mov_b32 s22, exec_lo
	v_cmpx_ne_u16_e32 0x80, v7
	s_cbranch_execz .LBB324_703
; %bb.698:                              ;   in Loop: Header=BB324_13 Depth=1
	v_and_b32_e32 v95, 0xffff, v7
	v_mov_b32_e32 v127, 0x7fc02000
	s_mov_b32 s23, exec_lo
	s_delay_alu instid0(VALU_DEP_2) | instskip(NEXT) | instid1(VALU_DEP_1)
	v_and_b32_e32 v107, 0x7f, v95
	v_cmpx_ne_u32_e32 0x7f, v107
	s_cbranch_execz .LBB324_702
; %bb.699:                              ;   in Loop: Header=BB324_13 Depth=1
	v_and_b32_e32 v7, 7, v95
	v_lshrrev_b32_e32 v106, 3, v107
	v_mov_b32_e32 v34, v8
	s_mov_b32 s24, exec_lo
	s_delay_alu instid0(VALU_DEP_3)
	v_mov_b32_e32 v33, v7
	v_cmpx_gt_u32_e32 8, v107
; %bb.700:                              ;   in Loop: Header=BB324_13 Depth=1
	v_clz_i32_u32_e32 v33, v7
	s_delay_alu instid0(VALU_DEP_1) | instskip(NEXT) | instid1(VALU_DEP_1)
	v_min_u32_e32 v106, 32, v33
	v_subrev_nc_u32_e32 v33, 28, v106
	v_sub_nc_u32_e32 v106, 29, v106
	s_delay_alu instid0(VALU_DEP_2) | instskip(NEXT) | instid1(VALU_DEP_1)
	v_lshlrev_b64 v[33:34], v33, v[7:8]
	v_and_b32_e32 v33, 7, v33
; %bb.701:                              ;   in Loop: Header=BB324_13 Depth=1
	s_or_b32 exec_lo, exec_lo, s24
	v_lshlrev_b32_e32 v7, 8, v95
	v_lshl_add_u32 v34, v106, 10, 0x2000
	s_delay_alu instid0(VALU_DEP_1) | instskip(NEXT) | instid1(VALU_DEP_1)
	v_and_or_b32 v7, 0x8000, v7, v34
	v_lshl_or_b32 v7, v33, 7, v7
	s_delay_alu instid0(VALU_DEP_1)
	v_cvt_f32_f16_e32 v127, v7
.LBB324_702:                            ;   in Loop: Header=BB324_13 Depth=1
	s_or_b32 exec_lo, exec_lo, s23
.LBB324_703:                            ;   in Loop: Header=BB324_13 Depth=1
	s_delay_alu instid0(SALU_CYCLE_1)
	s_or_b32 exec_lo, exec_lo, s22
.LBB324_704:                            ;   in Loop: Header=BB324_13 Depth=1
	s_delay_alu instid0(SALU_CYCLE_1) | instskip(SKIP_3) | instid1(VALU_DEP_2)
	s_or_b32 exec_lo, exec_lo, s21
	v_lshrrev_b32_e32 v95, 16, v94
	v_mov_b32_e32 v143, 0
	s_mov_b32 s21, exec_lo
	v_dual_mov_b32 v142, 0 :: v_dual_and_b32 v7, 0xff, v95
	s_delay_alu instid0(VALU_DEP_1)
	v_cmpx_ne_u16_e32 0, v7
	s_cbranch_execz .LBB324_712
; %bb.705:                              ;   in Loop: Header=BB324_13 Depth=1
	v_bfrev_b32_e32 v143, 1
	s_mov_b32 s22, exec_lo
	v_cmpx_ne_u16_e32 0x80, v7
	s_cbranch_execz .LBB324_711
; %bb.706:                              ;   in Loop: Header=BB324_13 Depth=1
	v_bfe_u32 v107, v94, 16, 7
	v_mov_b32_e32 v143, 0x7fc02000
	s_mov_b32 s23, exec_lo
	s_delay_alu instid0(VALU_DEP_2)
	v_cmpx_ne_u32_e32 0x7f, v107
	s_cbranch_execz .LBB324_710
; %bb.707:                              ;   in Loop: Header=BB324_13 Depth=1
	v_and_b32_e32 v7, 7, v95
	v_lshrrev_b32_e32 v106, 3, v107
	v_mov_b32_e32 v34, v8
	s_mov_b32 s24, exec_lo
	s_delay_alu instid0(VALU_DEP_3)
	v_mov_b32_e32 v33, v7
	v_cmpx_gt_u32_e32 8, v107
; %bb.708:                              ;   in Loop: Header=BB324_13 Depth=1
	v_clz_i32_u32_e32 v33, v7
	s_delay_alu instid0(VALU_DEP_1) | instskip(NEXT) | instid1(VALU_DEP_1)
	v_min_u32_e32 v106, 32, v33
	v_subrev_nc_u32_e32 v33, 28, v106
	v_sub_nc_u32_e32 v106, 29, v106
	s_delay_alu instid0(VALU_DEP_2) | instskip(NEXT) | instid1(VALU_DEP_1)
	v_lshlrev_b64 v[33:34], v33, v[7:8]
	v_and_b32_e32 v33, 7, v33
; %bb.709:                              ;   in Loop: Header=BB324_13 Depth=1
	s_or_b32 exec_lo, exec_lo, s24
	v_lshlrev_b32_e32 v7, 8, v95
	v_lshl_add_u32 v34, v106, 10, 0x2000
	s_delay_alu instid0(VALU_DEP_1) | instskip(NEXT) | instid1(VALU_DEP_1)
	v_and_or_b32 v7, 0x8000, v7, v34
	v_lshl_or_b32 v7, v33, 7, v7
	s_delay_alu instid0(VALU_DEP_1)
	v_cvt_f32_f16_e64 v143, v7
.LBB324_710:                            ;   in Loop: Header=BB324_13 Depth=1
	s_or_b32 exec_lo, exec_lo, s23
.LBB324_711:                            ;   in Loop: Header=BB324_13 Depth=1
	s_delay_alu instid0(SALU_CYCLE_1)
	s_or_b32 exec_lo, exec_lo, s22
.LBB324_712:                            ;   in Loop: Header=BB324_13 Depth=1
	s_delay_alu instid0(SALU_CYCLE_1) | instskip(NEXT) | instid1(SALU_CYCLE_1)
	s_or_b32 exec_lo, exec_lo, s21
	s_mov_b32 s21, exec_lo
	v_cmpx_lt_u32_e32 0xffffff, v94
	s_cbranch_execz .LBB324_720
; %bb.713:                              ;   in Loop: Header=BB324_13 Depth=1
	v_lshrrev_b32_e32 v94, 24, v94
	v_bfrev_b32_e32 v142, 1
	s_mov_b32 s22, exec_lo
	s_delay_alu instid0(VALU_DEP_2)
	v_cmpx_ne_u32_e32 0x80, v94
	s_cbranch_execz .LBB324_719
; %bb.714:                              ;   in Loop: Header=BB324_13 Depth=1
	v_and_b32_e32 v106, 0x7f, v94
	v_mov_b32_e32 v142, 0x7fc02000
	s_mov_b32 s23, exec_lo
	s_delay_alu instid0(VALU_DEP_2)
	v_cmpx_ne_u32_e32 0x7f, v106
	s_cbranch_execz .LBB324_718
; %bb.715:                              ;   in Loop: Header=BB324_13 Depth=1
	v_and_b32_e32 v7, 7, v94
	v_lshrrev_b32_e32 v95, 3, v106
	v_mov_b32_e32 v34, v8
	s_mov_b32 s24, exec_lo
	s_delay_alu instid0(VALU_DEP_3)
	v_mov_b32_e32 v33, v7
	v_cmpx_gt_u32_e32 8, v106
; %bb.716:                              ;   in Loop: Header=BB324_13 Depth=1
	v_clz_i32_u32_e32 v33, v7
	s_delay_alu instid0(VALU_DEP_1) | instskip(NEXT) | instid1(VALU_DEP_1)
	v_min_u32_e32 v95, 32, v33
	v_subrev_nc_u32_e32 v33, 28, v95
	v_sub_nc_u32_e32 v95, 29, v95
	s_delay_alu instid0(VALU_DEP_2) | instskip(NEXT) | instid1(VALU_DEP_1)
	v_lshlrev_b64 v[33:34], v33, v[7:8]
	v_and_b32_e32 v33, 7, v33
; %bb.717:                              ;   in Loop: Header=BB324_13 Depth=1
	s_or_b32 exec_lo, exec_lo, s24
	v_lshlrev_b32_e32 v7, 8, v94
	v_lshl_add_u32 v34, v95, 10, 0x2000
	s_delay_alu instid0(VALU_DEP_1) | instskip(NEXT) | instid1(VALU_DEP_1)
	v_and_or_b32 v7, 0x8000, v7, v34
	v_lshl_or_b32 v7, v33, 7, v7
	s_delay_alu instid0(VALU_DEP_1)
	v_cvt_f32_f16_e64 v142, v7
.LBB324_718:                            ;   in Loop: Header=BB324_13 Depth=1
	s_or_b32 exec_lo, exec_lo, s23
.LBB324_719:                            ;   in Loop: Header=BB324_13 Depth=1
	s_delay_alu instid0(SALU_CYCLE_1)
	s_or_b32 exec_lo, exec_lo, s22
.LBB324_720:                            ;   in Loop: Header=BB324_13 Depth=1
	s_delay_alu instid0(SALU_CYCLE_1)
	s_or_b32 exec_lo, exec_lo, s21
	flat_load_b32 v94, v[31:32] offset:2816
	v_mov_b32_e32 v159, 0
	s_mov_b32 s21, exec_lo
	s_waitcnt vmcnt(0) lgkmcnt(0)
	v_dual_mov_b32 v158, 0 :: v_dual_and_b32 v7, 0xff, v94
	s_delay_alu instid0(VALU_DEP_1)
	v_cmpx_ne_u16_e32 0, v7
	s_cbranch_execz .LBB324_728
; %bb.721:                              ;   in Loop: Header=BB324_13 Depth=1
	v_bfrev_b32_e32 v158, 1
	s_mov_b32 s22, exec_lo
	v_cmpx_ne_u16_e32 0x80, v7
	s_cbranch_execz .LBB324_727
; %bb.722:                              ;   in Loop: Header=BB324_13 Depth=1
	v_and_b32_e32 v106, 0x7f, v94
	v_mov_b32_e32 v158, 0x7fc02000
	s_mov_b32 s23, exec_lo
	s_delay_alu instid0(VALU_DEP_2)
	v_cmpx_ne_u32_e32 0x7f, v106
	s_cbranch_execz .LBB324_726
; %bb.723:                              ;   in Loop: Header=BB324_13 Depth=1
	v_and_b32_e32 v7, 7, v94
	v_lshrrev_b32_e32 v95, 3, v106
	v_mov_b32_e32 v34, v8
	s_mov_b32 s24, exec_lo
	s_delay_alu instid0(VALU_DEP_3)
	v_mov_b32_e32 v33, v7
	v_cmpx_gt_u32_e32 8, v106
; %bb.724:                              ;   in Loop: Header=BB324_13 Depth=1
	v_clz_i32_u32_e32 v33, v7
	s_delay_alu instid0(VALU_DEP_1) | instskip(NEXT) | instid1(VALU_DEP_1)
	v_min_u32_e32 v95, 32, v33
	v_subrev_nc_u32_e32 v33, 28, v95
	v_sub_nc_u32_e32 v95, 29, v95
	s_delay_alu instid0(VALU_DEP_2) | instskip(NEXT) | instid1(VALU_DEP_1)
	v_lshlrev_b64 v[33:34], v33, v[7:8]
	v_and_b32_e32 v33, 7, v33
; %bb.725:                              ;   in Loop: Header=BB324_13 Depth=1
	s_or_b32 exec_lo, exec_lo, s24
	v_lshlrev_b32_e32 v7, 8, v94
	v_lshl_add_u32 v34, v95, 10, 0x2000
	s_delay_alu instid0(VALU_DEP_1) | instskip(NEXT) | instid1(VALU_DEP_1)
	v_and_or_b32 v7, 0x8000, v7, v34
	v_lshl_or_b32 v7, v33, 7, v7
	s_delay_alu instid0(VALU_DEP_1)
	v_cvt_f32_f16_e64 v158, v7
.LBB324_726:                            ;   in Loop: Header=BB324_13 Depth=1
	s_or_b32 exec_lo, exec_lo, s23
.LBB324_727:                            ;   in Loop: Header=BB324_13 Depth=1
	s_delay_alu instid0(SALU_CYCLE_1)
	s_or_b32 exec_lo, exec_lo, s22
.LBB324_728:                            ;   in Loop: Header=BB324_13 Depth=1
	s_delay_alu instid0(SALU_CYCLE_1) | instskip(SKIP_2) | instid1(VALU_DEP_1)
	s_or_b32 exec_lo, exec_lo, s21
	v_lshrrev_b16 v7, 8, v94
	s_mov_b32 s21, exec_lo
	v_cmpx_ne_u16_e32 0, v7
	s_cbranch_execz .LBB324_736
; %bb.729:                              ;   in Loop: Header=BB324_13 Depth=1
	v_bfrev_b32_e32 v159, 1
	s_mov_b32 s22, exec_lo
	v_cmpx_ne_u16_e32 0x80, v7
	s_cbranch_execz .LBB324_735
; %bb.730:                              ;   in Loop: Header=BB324_13 Depth=1
	v_and_b32_e32 v95, 0xffff, v7
	v_mov_b32_e32 v159, 0x7fc02000
	s_mov_b32 s23, exec_lo
	s_delay_alu instid0(VALU_DEP_2) | instskip(NEXT) | instid1(VALU_DEP_1)
	v_and_b32_e32 v107, 0x7f, v95
	v_cmpx_ne_u32_e32 0x7f, v107
	s_cbranch_execz .LBB324_734
; %bb.731:                              ;   in Loop: Header=BB324_13 Depth=1
	v_and_b32_e32 v7, 7, v95
	v_lshrrev_b32_e32 v106, 3, v107
	v_mov_b32_e32 v34, v8
	s_mov_b32 s24, exec_lo
	s_delay_alu instid0(VALU_DEP_3)
	v_mov_b32_e32 v33, v7
	v_cmpx_gt_u32_e32 8, v107
; %bb.732:                              ;   in Loop: Header=BB324_13 Depth=1
	v_clz_i32_u32_e32 v33, v7
	s_delay_alu instid0(VALU_DEP_1) | instskip(NEXT) | instid1(VALU_DEP_1)
	v_min_u32_e32 v106, 32, v33
	v_subrev_nc_u32_e32 v33, 28, v106
	v_sub_nc_u32_e32 v106, 29, v106
	s_delay_alu instid0(VALU_DEP_2) | instskip(NEXT) | instid1(VALU_DEP_1)
	v_lshlrev_b64 v[33:34], v33, v[7:8]
	v_and_b32_e32 v33, 7, v33
; %bb.733:                              ;   in Loop: Header=BB324_13 Depth=1
	s_or_b32 exec_lo, exec_lo, s24
	v_lshlrev_b32_e32 v7, 8, v95
	v_lshl_add_u32 v34, v106, 10, 0x2000
	s_delay_alu instid0(VALU_DEP_1) | instskip(NEXT) | instid1(VALU_DEP_1)
	v_and_or_b32 v7, 0x8000, v7, v34
	v_lshl_or_b32 v7, v33, 7, v7
	s_delay_alu instid0(VALU_DEP_1)
	v_cvt_f32_f16_e64 v159, v7
.LBB324_734:                            ;   in Loop: Header=BB324_13 Depth=1
	s_or_b32 exec_lo, exec_lo, s23
.LBB324_735:                            ;   in Loop: Header=BB324_13 Depth=1
	s_delay_alu instid0(SALU_CYCLE_1)
	s_or_b32 exec_lo, exec_lo, s22
.LBB324_736:                            ;   in Loop: Header=BB324_13 Depth=1
	s_delay_alu instid0(SALU_CYCLE_1) | instskip(SKIP_3) | instid1(VALU_DEP_2)
	s_or_b32 exec_lo, exec_lo, s21
	v_lshrrev_b32_e32 v95, 16, v94
	v_mov_b32_e32 v175, 0
	s_mov_b32 s21, exec_lo
	v_dual_mov_b32 v174, 0 :: v_dual_and_b32 v7, 0xff, v95
	s_delay_alu instid0(VALU_DEP_1)
	v_cmpx_ne_u16_e32 0, v7
	s_cbranch_execz .LBB324_744
; %bb.737:                              ;   in Loop: Header=BB324_13 Depth=1
	v_bfrev_b32_e32 v175, 1
	s_mov_b32 s22, exec_lo
	v_cmpx_ne_u16_e32 0x80, v7
	s_cbranch_execz .LBB324_743
; %bb.738:                              ;   in Loop: Header=BB324_13 Depth=1
	v_bfe_u32 v107, v94, 16, 7
	v_mov_b32_e32 v175, 0x7fc02000
	s_mov_b32 s23, exec_lo
	s_delay_alu instid0(VALU_DEP_2)
	v_cmpx_ne_u32_e32 0x7f, v107
	s_cbranch_execz .LBB324_742
; %bb.739:                              ;   in Loop: Header=BB324_13 Depth=1
	v_and_b32_e32 v7, 7, v95
	v_lshrrev_b32_e32 v106, 3, v107
	v_mov_b32_e32 v34, v8
	s_mov_b32 s24, exec_lo
	s_delay_alu instid0(VALU_DEP_3)
	v_mov_b32_e32 v33, v7
	v_cmpx_gt_u32_e32 8, v107
; %bb.740:                              ;   in Loop: Header=BB324_13 Depth=1
	v_clz_i32_u32_e32 v33, v7
	s_delay_alu instid0(VALU_DEP_1) | instskip(NEXT) | instid1(VALU_DEP_1)
	v_min_u32_e32 v106, 32, v33
	v_subrev_nc_u32_e32 v33, 28, v106
	v_sub_nc_u32_e32 v106, 29, v106
	s_delay_alu instid0(VALU_DEP_2) | instskip(NEXT) | instid1(VALU_DEP_1)
	v_lshlrev_b64 v[33:34], v33, v[7:8]
	v_and_b32_e32 v33, 7, v33
; %bb.741:                              ;   in Loop: Header=BB324_13 Depth=1
	s_or_b32 exec_lo, exec_lo, s24
	v_lshlrev_b32_e32 v7, 8, v95
	v_lshl_add_u32 v34, v106, 10, 0x2000
	s_delay_alu instid0(VALU_DEP_1) | instskip(NEXT) | instid1(VALU_DEP_1)
	v_and_or_b32 v7, 0x8000, v7, v34
	v_lshl_or_b32 v7, v33, 7, v7
	s_delay_alu instid0(VALU_DEP_1)
	v_cvt_f32_f16_e64 v175, v7
.LBB324_742:                            ;   in Loop: Header=BB324_13 Depth=1
	s_or_b32 exec_lo, exec_lo, s23
.LBB324_743:                            ;   in Loop: Header=BB324_13 Depth=1
	s_delay_alu instid0(SALU_CYCLE_1)
	s_or_b32 exec_lo, exec_lo, s22
.LBB324_744:                            ;   in Loop: Header=BB324_13 Depth=1
	s_delay_alu instid0(SALU_CYCLE_1) | instskip(NEXT) | instid1(SALU_CYCLE_1)
	s_or_b32 exec_lo, exec_lo, s21
	s_mov_b32 s21, exec_lo
	v_cmpx_lt_u32_e32 0xffffff, v94
	s_cbranch_execz .LBB324_752
; %bb.745:                              ;   in Loop: Header=BB324_13 Depth=1
	v_lshrrev_b32_e32 v94, 24, v94
	v_bfrev_b32_e32 v174, 1
	s_mov_b32 s22, exec_lo
	s_delay_alu instid0(VALU_DEP_2)
	v_cmpx_ne_u32_e32 0x80, v94
	s_cbranch_execz .LBB324_751
; %bb.746:                              ;   in Loop: Header=BB324_13 Depth=1
	v_and_b32_e32 v106, 0x7f, v94
	v_mov_b32_e32 v174, 0x7fc02000
	s_mov_b32 s23, exec_lo
	s_delay_alu instid0(VALU_DEP_2)
	v_cmpx_ne_u32_e32 0x7f, v106
	s_cbranch_execz .LBB324_750
; %bb.747:                              ;   in Loop: Header=BB324_13 Depth=1
	v_and_b32_e32 v7, 7, v94
	v_lshrrev_b32_e32 v95, 3, v106
	v_mov_b32_e32 v34, v8
	s_mov_b32 s24, exec_lo
	s_delay_alu instid0(VALU_DEP_3)
	v_mov_b32_e32 v33, v7
	v_cmpx_gt_u32_e32 8, v106
; %bb.748:                              ;   in Loop: Header=BB324_13 Depth=1
	v_clz_i32_u32_e32 v33, v7
	s_delay_alu instid0(VALU_DEP_1) | instskip(NEXT) | instid1(VALU_DEP_1)
	v_min_u32_e32 v95, 32, v33
	v_subrev_nc_u32_e32 v33, 28, v95
	v_sub_nc_u32_e32 v95, 29, v95
	s_delay_alu instid0(VALU_DEP_2) | instskip(NEXT) | instid1(VALU_DEP_1)
	v_lshlrev_b64 v[33:34], v33, v[7:8]
	v_and_b32_e32 v33, 7, v33
; %bb.749:                              ;   in Loop: Header=BB324_13 Depth=1
	s_or_b32 exec_lo, exec_lo, s24
	v_lshlrev_b32_e32 v7, 8, v94
	v_lshl_add_u32 v34, v95, 10, 0x2000
	s_delay_alu instid0(VALU_DEP_1) | instskip(NEXT) | instid1(VALU_DEP_1)
	v_and_or_b32 v7, 0x8000, v7, v34
	v_lshl_or_b32 v7, v33, 7, v7
	s_delay_alu instid0(VALU_DEP_1)
	v_cvt_f32_f16_e64 v174, v7
.LBB324_750:                            ;   in Loop: Header=BB324_13 Depth=1
	s_or_b32 exec_lo, exec_lo, s23
.LBB324_751:                            ;   in Loop: Header=BB324_13 Depth=1
	s_delay_alu instid0(SALU_CYCLE_1)
	s_or_b32 exec_lo, exec_lo, s22
.LBB324_752:                            ;   in Loop: Header=BB324_13 Depth=1
	s_delay_alu instid0(SALU_CYCLE_1)
	s_or_b32 exec_lo, exec_lo, s21
	flat_load_b32 v94, v[31:32] offset:2824
	v_mov_b32_e32 v171, 0
	s_mov_b32 s21, exec_lo
	s_waitcnt vmcnt(0) lgkmcnt(0)
	v_dual_mov_b32 v170, 0 :: v_dual_and_b32 v7, 0xff, v94
	s_delay_alu instid0(VALU_DEP_1)
	v_cmpx_ne_u16_e32 0, v7
	s_cbranch_execz .LBB324_760
; %bb.753:                              ;   in Loop: Header=BB324_13 Depth=1
	v_bfrev_b32_e32 v170, 1
	s_mov_b32 s22, exec_lo
	v_cmpx_ne_u16_e32 0x80, v7
	s_cbranch_execz .LBB324_759
; %bb.754:                              ;   in Loop: Header=BB324_13 Depth=1
	v_and_b32_e32 v106, 0x7f, v94
	v_mov_b32_e32 v170, 0x7fc02000
	s_mov_b32 s23, exec_lo
	s_delay_alu instid0(VALU_DEP_2)
	v_cmpx_ne_u32_e32 0x7f, v106
	s_cbranch_execz .LBB324_758
; %bb.755:                              ;   in Loop: Header=BB324_13 Depth=1
	v_and_b32_e32 v7, 7, v94
	v_lshrrev_b32_e32 v95, 3, v106
	v_mov_b32_e32 v34, v8
	s_mov_b32 s24, exec_lo
	s_delay_alu instid0(VALU_DEP_3)
	v_mov_b32_e32 v33, v7
	v_cmpx_gt_u32_e32 8, v106
; %bb.756:                              ;   in Loop: Header=BB324_13 Depth=1
	v_clz_i32_u32_e32 v33, v7
	s_delay_alu instid0(VALU_DEP_1) | instskip(NEXT) | instid1(VALU_DEP_1)
	v_min_u32_e32 v95, 32, v33
	v_subrev_nc_u32_e32 v33, 28, v95
	v_sub_nc_u32_e32 v95, 29, v95
	s_delay_alu instid0(VALU_DEP_2) | instskip(NEXT) | instid1(VALU_DEP_1)
	v_lshlrev_b64 v[33:34], v33, v[7:8]
	v_and_b32_e32 v33, 7, v33
; %bb.757:                              ;   in Loop: Header=BB324_13 Depth=1
	s_or_b32 exec_lo, exec_lo, s24
	v_lshlrev_b32_e32 v7, 8, v94
	v_lshl_add_u32 v34, v95, 10, 0x2000
	s_delay_alu instid0(VALU_DEP_1) | instskip(NEXT) | instid1(VALU_DEP_1)
	v_and_or_b32 v7, 0x8000, v7, v34
	v_lshl_or_b32 v7, v33, 7, v7
	s_delay_alu instid0(VALU_DEP_1)
	v_cvt_f32_f16_e64 v170, v7
.LBB324_758:                            ;   in Loop: Header=BB324_13 Depth=1
	s_or_b32 exec_lo, exec_lo, s23
.LBB324_759:                            ;   in Loop: Header=BB324_13 Depth=1
	s_delay_alu instid0(SALU_CYCLE_1)
	s_or_b32 exec_lo, exec_lo, s22
.LBB324_760:                            ;   in Loop: Header=BB324_13 Depth=1
	s_delay_alu instid0(SALU_CYCLE_1) | instskip(SKIP_2) | instid1(VALU_DEP_1)
	s_or_b32 exec_lo, exec_lo, s21
	v_lshrrev_b16 v7, 8, v94
	s_mov_b32 s21, exec_lo
	v_cmpx_ne_u16_e32 0, v7
	s_cbranch_execz .LBB324_768
; %bb.761:                              ;   in Loop: Header=BB324_13 Depth=1
	v_bfrev_b32_e32 v171, 1
	s_mov_b32 s22, exec_lo
	v_cmpx_ne_u16_e32 0x80, v7
	s_cbranch_execz .LBB324_767
; %bb.762:                              ;   in Loop: Header=BB324_13 Depth=1
	v_and_b32_e32 v95, 0xffff, v7
	v_mov_b32_e32 v171, 0x7fc02000
	s_mov_b32 s23, exec_lo
	s_delay_alu instid0(VALU_DEP_2) | instskip(NEXT) | instid1(VALU_DEP_1)
	v_and_b32_e32 v107, 0x7f, v95
	v_cmpx_ne_u32_e32 0x7f, v107
	s_cbranch_execz .LBB324_766
; %bb.763:                              ;   in Loop: Header=BB324_13 Depth=1
	v_and_b32_e32 v7, 7, v95
	v_lshrrev_b32_e32 v106, 3, v107
	v_mov_b32_e32 v34, v8
	s_mov_b32 s24, exec_lo
	s_delay_alu instid0(VALU_DEP_3)
	v_mov_b32_e32 v33, v7
	v_cmpx_gt_u32_e32 8, v107
; %bb.764:                              ;   in Loop: Header=BB324_13 Depth=1
	v_clz_i32_u32_e32 v33, v7
	s_delay_alu instid0(VALU_DEP_1) | instskip(NEXT) | instid1(VALU_DEP_1)
	v_min_u32_e32 v106, 32, v33
	v_subrev_nc_u32_e32 v33, 28, v106
	v_sub_nc_u32_e32 v106, 29, v106
	s_delay_alu instid0(VALU_DEP_2) | instskip(NEXT) | instid1(VALU_DEP_1)
	v_lshlrev_b64 v[33:34], v33, v[7:8]
	v_and_b32_e32 v33, 7, v33
; %bb.765:                              ;   in Loop: Header=BB324_13 Depth=1
	s_or_b32 exec_lo, exec_lo, s24
	v_lshlrev_b32_e32 v7, 8, v95
	v_lshl_add_u32 v34, v106, 10, 0x2000
	s_delay_alu instid0(VALU_DEP_1) | instskip(NEXT) | instid1(VALU_DEP_1)
	v_and_or_b32 v7, 0x8000, v7, v34
	v_lshl_or_b32 v7, v33, 7, v7
	s_delay_alu instid0(VALU_DEP_1)
	v_cvt_f32_f16_e64 v171, v7
.LBB324_766:                            ;   in Loop: Header=BB324_13 Depth=1
	s_or_b32 exec_lo, exec_lo, s23
.LBB324_767:                            ;   in Loop: Header=BB324_13 Depth=1
	s_delay_alu instid0(SALU_CYCLE_1)
	s_or_b32 exec_lo, exec_lo, s22
.LBB324_768:                            ;   in Loop: Header=BB324_13 Depth=1
	s_delay_alu instid0(SALU_CYCLE_1) | instskip(SKIP_3) | instid1(VALU_DEP_2)
	s_or_b32 exec_lo, exec_lo, s21
	v_lshrrev_b32_e32 v95, 16, v94
	v_mov_b32_e32 v185, 0
	s_mov_b32 s21, exec_lo
	v_dual_mov_b32 v184, 0 :: v_dual_and_b32 v7, 0xff, v95
	s_delay_alu instid0(VALU_DEP_1)
	v_cmpx_ne_u16_e32 0, v7
	s_cbranch_execz .LBB324_776
; %bb.769:                              ;   in Loop: Header=BB324_13 Depth=1
	v_bfrev_b32_e32 v185, 1
	s_mov_b32 s22, exec_lo
	v_cmpx_ne_u16_e32 0x80, v7
	s_cbranch_execz .LBB324_775
; %bb.770:                              ;   in Loop: Header=BB324_13 Depth=1
	v_bfe_u32 v107, v94, 16, 7
	v_mov_b32_e32 v185, 0x7fc02000
	s_mov_b32 s23, exec_lo
	s_delay_alu instid0(VALU_DEP_2)
	v_cmpx_ne_u32_e32 0x7f, v107
	s_cbranch_execz .LBB324_774
; %bb.771:                              ;   in Loop: Header=BB324_13 Depth=1
	v_and_b32_e32 v7, 7, v95
	v_lshrrev_b32_e32 v106, 3, v107
	v_mov_b32_e32 v34, v8
	s_mov_b32 s24, exec_lo
	s_delay_alu instid0(VALU_DEP_3)
	v_mov_b32_e32 v33, v7
	v_cmpx_gt_u32_e32 8, v107
; %bb.772:                              ;   in Loop: Header=BB324_13 Depth=1
	v_clz_i32_u32_e32 v33, v7
	s_delay_alu instid0(VALU_DEP_1) | instskip(NEXT) | instid1(VALU_DEP_1)
	v_min_u32_e32 v106, 32, v33
	v_subrev_nc_u32_e32 v33, 28, v106
	v_sub_nc_u32_e32 v106, 29, v106
	s_delay_alu instid0(VALU_DEP_2) | instskip(NEXT) | instid1(VALU_DEP_1)
	v_lshlrev_b64 v[33:34], v33, v[7:8]
	v_and_b32_e32 v33, 7, v33
; %bb.773:                              ;   in Loop: Header=BB324_13 Depth=1
	s_or_b32 exec_lo, exec_lo, s24
	v_lshlrev_b32_e32 v7, 8, v95
	v_lshl_add_u32 v34, v106, 10, 0x2000
	s_delay_alu instid0(VALU_DEP_1) | instskip(NEXT) | instid1(VALU_DEP_1)
	v_and_or_b32 v7, 0x8000, v7, v34
	v_lshl_or_b32 v7, v33, 7, v7
	s_delay_alu instid0(VALU_DEP_1)
	v_cvt_f32_f16_e64 v185, v7
.LBB324_774:                            ;   in Loop: Header=BB324_13 Depth=1
	s_or_b32 exec_lo, exec_lo, s23
.LBB324_775:                            ;   in Loop: Header=BB324_13 Depth=1
	s_delay_alu instid0(SALU_CYCLE_1)
	s_or_b32 exec_lo, exec_lo, s22
.LBB324_776:                            ;   in Loop: Header=BB324_13 Depth=1
	s_delay_alu instid0(SALU_CYCLE_1) | instskip(NEXT) | instid1(SALU_CYCLE_1)
	s_or_b32 exec_lo, exec_lo, s21
	s_mov_b32 s21, exec_lo
	v_cmpx_lt_u32_e32 0xffffff, v94
	s_cbranch_execz .LBB324_784
; %bb.777:                              ;   in Loop: Header=BB324_13 Depth=1
	v_lshrrev_b32_e32 v94, 24, v94
	v_bfrev_b32_e32 v184, 1
	s_mov_b32 s22, exec_lo
	s_delay_alu instid0(VALU_DEP_2)
	v_cmpx_ne_u32_e32 0x80, v94
	s_cbranch_execz .LBB324_783
; %bb.778:                              ;   in Loop: Header=BB324_13 Depth=1
	v_and_b32_e32 v106, 0x7f, v94
	v_mov_b32_e32 v184, 0x7fc02000
	s_mov_b32 s23, exec_lo
	s_delay_alu instid0(VALU_DEP_2)
	v_cmpx_ne_u32_e32 0x7f, v106
	s_cbranch_execz .LBB324_782
; %bb.779:                              ;   in Loop: Header=BB324_13 Depth=1
	v_and_b32_e32 v7, 7, v94
	v_lshrrev_b32_e32 v95, 3, v106
	v_mov_b32_e32 v34, v8
	s_mov_b32 s24, exec_lo
	s_delay_alu instid0(VALU_DEP_3)
	v_mov_b32_e32 v33, v7
	v_cmpx_gt_u32_e32 8, v106
; %bb.780:                              ;   in Loop: Header=BB324_13 Depth=1
	v_clz_i32_u32_e32 v33, v7
	s_delay_alu instid0(VALU_DEP_1) | instskip(NEXT) | instid1(VALU_DEP_1)
	v_min_u32_e32 v95, 32, v33
	v_subrev_nc_u32_e32 v33, 28, v95
	v_sub_nc_u32_e32 v95, 29, v95
	s_delay_alu instid0(VALU_DEP_2) | instskip(NEXT) | instid1(VALU_DEP_1)
	v_lshlrev_b64 v[33:34], v33, v[7:8]
	v_and_b32_e32 v33, 7, v33
; %bb.781:                              ;   in Loop: Header=BB324_13 Depth=1
	s_or_b32 exec_lo, exec_lo, s24
	v_lshlrev_b32_e32 v7, 8, v94
	v_lshl_add_u32 v34, v95, 10, 0x2000
	s_delay_alu instid0(VALU_DEP_1) | instskip(NEXT) | instid1(VALU_DEP_1)
	v_and_or_b32 v7, 0x8000, v7, v34
	v_lshl_or_b32 v7, v33, 7, v7
	s_delay_alu instid0(VALU_DEP_1)
	v_cvt_f32_f16_e64 v184, v7
.LBB324_782:                            ;   in Loop: Header=BB324_13 Depth=1
	s_or_b32 exec_lo, exec_lo, s23
.LBB324_783:                            ;   in Loop: Header=BB324_13 Depth=1
	s_delay_alu instid0(SALU_CYCLE_1)
	s_or_b32 exec_lo, exec_lo, s22
.LBB324_784:                            ;   in Loop: Header=BB324_13 Depth=1
	s_delay_alu instid0(SALU_CYCLE_1)
	s_or_b32 exec_lo, exec_lo, s21
	flat_load_b32 v94, v[31:32] offset:3072
	v_mov_b32_e32 v157, 0
	s_mov_b32 s21, exec_lo
	s_waitcnt vmcnt(0) lgkmcnt(0)
	v_dual_mov_b32 v156, 0 :: v_dual_and_b32 v7, 0xff, v94
	s_delay_alu instid0(VALU_DEP_1)
	v_cmpx_ne_u16_e32 0, v7
	s_cbranch_execz .LBB324_792
; %bb.785:                              ;   in Loop: Header=BB324_13 Depth=1
	v_bfrev_b32_e32 v156, 1
	s_mov_b32 s22, exec_lo
	v_cmpx_ne_u16_e32 0x80, v7
	s_cbranch_execz .LBB324_791
; %bb.786:                              ;   in Loop: Header=BB324_13 Depth=1
	v_and_b32_e32 v106, 0x7f, v94
	v_mov_b32_e32 v156, 0x7fc02000
	s_mov_b32 s23, exec_lo
	s_delay_alu instid0(VALU_DEP_2)
	v_cmpx_ne_u32_e32 0x7f, v106
	s_cbranch_execz .LBB324_790
; %bb.787:                              ;   in Loop: Header=BB324_13 Depth=1
	v_and_b32_e32 v7, 7, v94
	v_lshrrev_b32_e32 v95, 3, v106
	v_mov_b32_e32 v34, v8
	s_mov_b32 s24, exec_lo
	s_delay_alu instid0(VALU_DEP_3)
	v_mov_b32_e32 v33, v7
	v_cmpx_gt_u32_e32 8, v106
; %bb.788:                              ;   in Loop: Header=BB324_13 Depth=1
	v_clz_i32_u32_e32 v33, v7
	s_delay_alu instid0(VALU_DEP_1) | instskip(NEXT) | instid1(VALU_DEP_1)
	v_min_u32_e32 v95, 32, v33
	v_subrev_nc_u32_e32 v33, 28, v95
	v_sub_nc_u32_e32 v95, 29, v95
	s_delay_alu instid0(VALU_DEP_2) | instskip(NEXT) | instid1(VALU_DEP_1)
	v_lshlrev_b64 v[33:34], v33, v[7:8]
	v_and_b32_e32 v33, 7, v33
; %bb.789:                              ;   in Loop: Header=BB324_13 Depth=1
	s_or_b32 exec_lo, exec_lo, s24
	v_lshlrev_b32_e32 v7, 8, v94
	v_lshl_add_u32 v34, v95, 10, 0x2000
	s_delay_alu instid0(VALU_DEP_1) | instskip(NEXT) | instid1(VALU_DEP_1)
	v_and_or_b32 v7, 0x8000, v7, v34
	v_lshl_or_b32 v7, v33, 7, v7
	s_delay_alu instid0(VALU_DEP_1)
	v_cvt_f32_f16_e64 v156, v7
.LBB324_790:                            ;   in Loop: Header=BB324_13 Depth=1
	s_or_b32 exec_lo, exec_lo, s23
.LBB324_791:                            ;   in Loop: Header=BB324_13 Depth=1
	s_delay_alu instid0(SALU_CYCLE_1)
	s_or_b32 exec_lo, exec_lo, s22
.LBB324_792:                            ;   in Loop: Header=BB324_13 Depth=1
	s_delay_alu instid0(SALU_CYCLE_1) | instskip(SKIP_2) | instid1(VALU_DEP_1)
	s_or_b32 exec_lo, exec_lo, s21
	v_lshrrev_b16 v7, 8, v94
	s_mov_b32 s21, exec_lo
	v_cmpx_ne_u16_e32 0, v7
	s_cbranch_execz .LBB324_800
; %bb.793:                              ;   in Loop: Header=BB324_13 Depth=1
	v_bfrev_b32_e32 v157, 1
	s_mov_b32 s22, exec_lo
	v_cmpx_ne_u16_e32 0x80, v7
	s_cbranch_execz .LBB324_799
; %bb.794:                              ;   in Loop: Header=BB324_13 Depth=1
	v_and_b32_e32 v95, 0xffff, v7
	v_mov_b32_e32 v157, 0x7fc02000
	s_mov_b32 s23, exec_lo
	s_delay_alu instid0(VALU_DEP_2) | instskip(NEXT) | instid1(VALU_DEP_1)
	v_and_b32_e32 v107, 0x7f, v95
	v_cmpx_ne_u32_e32 0x7f, v107
	s_cbranch_execz .LBB324_798
; %bb.795:                              ;   in Loop: Header=BB324_13 Depth=1
	v_and_b32_e32 v7, 7, v95
	v_lshrrev_b32_e32 v106, 3, v107
	v_mov_b32_e32 v34, v8
	s_mov_b32 s24, exec_lo
	s_delay_alu instid0(VALU_DEP_3)
	v_mov_b32_e32 v33, v7
	v_cmpx_gt_u32_e32 8, v107
; %bb.796:                              ;   in Loop: Header=BB324_13 Depth=1
	v_clz_i32_u32_e32 v33, v7
	s_delay_alu instid0(VALU_DEP_1) | instskip(NEXT) | instid1(VALU_DEP_1)
	v_min_u32_e32 v106, 32, v33
	v_subrev_nc_u32_e32 v33, 28, v106
	v_sub_nc_u32_e32 v106, 29, v106
	s_delay_alu instid0(VALU_DEP_2) | instskip(NEXT) | instid1(VALU_DEP_1)
	v_lshlrev_b64 v[33:34], v33, v[7:8]
	v_and_b32_e32 v33, 7, v33
; %bb.797:                              ;   in Loop: Header=BB324_13 Depth=1
	s_or_b32 exec_lo, exec_lo, s24
	v_lshlrev_b32_e32 v7, 8, v95
	v_lshl_add_u32 v34, v106, 10, 0x2000
	s_delay_alu instid0(VALU_DEP_1) | instskip(NEXT) | instid1(VALU_DEP_1)
	v_and_or_b32 v7, 0x8000, v7, v34
	v_lshl_or_b32 v7, v33, 7, v7
	s_delay_alu instid0(VALU_DEP_1)
	v_cvt_f32_f16_e64 v157, v7
.LBB324_798:                            ;   in Loop: Header=BB324_13 Depth=1
	s_or_b32 exec_lo, exec_lo, s23
.LBB324_799:                            ;   in Loop: Header=BB324_13 Depth=1
	s_delay_alu instid0(SALU_CYCLE_1)
	s_or_b32 exec_lo, exec_lo, s22
.LBB324_800:                            ;   in Loop: Header=BB324_13 Depth=1
	s_delay_alu instid0(SALU_CYCLE_1) | instskip(SKIP_3) | instid1(VALU_DEP_2)
	s_or_b32 exec_lo, exec_lo, s21
	v_lshrrev_b32_e32 v95, 16, v94
	v_mov_b32_e32 v173, 0
	s_mov_b32 s21, exec_lo
	v_dual_mov_b32 v172, 0 :: v_dual_and_b32 v7, 0xff, v95
	s_delay_alu instid0(VALU_DEP_1)
	v_cmpx_ne_u16_e32 0, v7
	s_cbranch_execz .LBB324_808
; %bb.801:                              ;   in Loop: Header=BB324_13 Depth=1
	v_bfrev_b32_e32 v173, 1
	s_mov_b32 s22, exec_lo
	v_cmpx_ne_u16_e32 0x80, v7
	s_cbranch_execz .LBB324_807
; %bb.802:                              ;   in Loop: Header=BB324_13 Depth=1
	v_bfe_u32 v107, v94, 16, 7
	v_mov_b32_e32 v173, 0x7fc02000
	s_mov_b32 s23, exec_lo
	s_delay_alu instid0(VALU_DEP_2)
	v_cmpx_ne_u32_e32 0x7f, v107
	s_cbranch_execz .LBB324_806
; %bb.803:                              ;   in Loop: Header=BB324_13 Depth=1
	v_and_b32_e32 v7, 7, v95
	v_lshrrev_b32_e32 v106, 3, v107
	v_mov_b32_e32 v34, v8
	s_mov_b32 s24, exec_lo
	s_delay_alu instid0(VALU_DEP_3)
	v_mov_b32_e32 v33, v7
	v_cmpx_gt_u32_e32 8, v107
; %bb.804:                              ;   in Loop: Header=BB324_13 Depth=1
	v_clz_i32_u32_e32 v33, v7
	s_delay_alu instid0(VALU_DEP_1) | instskip(NEXT) | instid1(VALU_DEP_1)
	v_min_u32_e32 v106, 32, v33
	v_subrev_nc_u32_e32 v33, 28, v106
	v_sub_nc_u32_e32 v106, 29, v106
	s_delay_alu instid0(VALU_DEP_2) | instskip(NEXT) | instid1(VALU_DEP_1)
	v_lshlrev_b64 v[33:34], v33, v[7:8]
	v_and_b32_e32 v33, 7, v33
; %bb.805:                              ;   in Loop: Header=BB324_13 Depth=1
	s_or_b32 exec_lo, exec_lo, s24
	v_lshlrev_b32_e32 v7, 8, v95
	v_lshl_add_u32 v34, v106, 10, 0x2000
	s_delay_alu instid0(VALU_DEP_1) | instskip(NEXT) | instid1(VALU_DEP_1)
	v_and_or_b32 v7, 0x8000, v7, v34
	v_lshl_or_b32 v7, v33, 7, v7
	s_delay_alu instid0(VALU_DEP_1)
	v_cvt_f32_f16_e64 v173, v7
.LBB324_806:                            ;   in Loop: Header=BB324_13 Depth=1
	s_or_b32 exec_lo, exec_lo, s23
.LBB324_807:                            ;   in Loop: Header=BB324_13 Depth=1
	s_delay_alu instid0(SALU_CYCLE_1)
	s_or_b32 exec_lo, exec_lo, s22
.LBB324_808:                            ;   in Loop: Header=BB324_13 Depth=1
	s_delay_alu instid0(SALU_CYCLE_1) | instskip(NEXT) | instid1(SALU_CYCLE_1)
	s_or_b32 exec_lo, exec_lo, s21
	s_mov_b32 s21, exec_lo
	v_cmpx_lt_u32_e32 0xffffff, v94
	s_cbranch_execz .LBB324_816
; %bb.809:                              ;   in Loop: Header=BB324_13 Depth=1
	v_lshrrev_b32_e32 v94, 24, v94
	v_bfrev_b32_e32 v172, 1
	s_mov_b32 s22, exec_lo
	s_delay_alu instid0(VALU_DEP_2)
	v_cmpx_ne_u32_e32 0x80, v94
	s_cbranch_execz .LBB324_815
; %bb.810:                              ;   in Loop: Header=BB324_13 Depth=1
	v_and_b32_e32 v106, 0x7f, v94
	v_mov_b32_e32 v172, 0x7fc02000
	s_mov_b32 s23, exec_lo
	s_delay_alu instid0(VALU_DEP_2)
	v_cmpx_ne_u32_e32 0x7f, v106
	s_cbranch_execz .LBB324_814
; %bb.811:                              ;   in Loop: Header=BB324_13 Depth=1
	v_and_b32_e32 v7, 7, v94
	v_lshrrev_b32_e32 v95, 3, v106
	v_mov_b32_e32 v34, v8
	s_mov_b32 s24, exec_lo
	s_delay_alu instid0(VALU_DEP_3)
	v_mov_b32_e32 v33, v7
	v_cmpx_gt_u32_e32 8, v106
; %bb.812:                              ;   in Loop: Header=BB324_13 Depth=1
	v_clz_i32_u32_e32 v33, v7
	s_delay_alu instid0(VALU_DEP_1) | instskip(NEXT) | instid1(VALU_DEP_1)
	v_min_u32_e32 v95, 32, v33
	v_subrev_nc_u32_e32 v33, 28, v95
	v_sub_nc_u32_e32 v95, 29, v95
	s_delay_alu instid0(VALU_DEP_2) | instskip(NEXT) | instid1(VALU_DEP_1)
	v_lshlrev_b64 v[33:34], v33, v[7:8]
	v_and_b32_e32 v33, 7, v33
; %bb.813:                              ;   in Loop: Header=BB324_13 Depth=1
	s_or_b32 exec_lo, exec_lo, s24
	v_lshlrev_b32_e32 v7, 8, v94
	v_lshl_add_u32 v34, v95, 10, 0x2000
	s_delay_alu instid0(VALU_DEP_1) | instskip(NEXT) | instid1(VALU_DEP_1)
	v_and_or_b32 v7, 0x8000, v7, v34
	v_lshl_or_b32 v7, v33, 7, v7
	s_delay_alu instid0(VALU_DEP_1)
	v_cvt_f32_f16_e64 v172, v7
.LBB324_814:                            ;   in Loop: Header=BB324_13 Depth=1
	s_or_b32 exec_lo, exec_lo, s23
.LBB324_815:                            ;   in Loop: Header=BB324_13 Depth=1
	s_delay_alu instid0(SALU_CYCLE_1)
	s_or_b32 exec_lo, exec_lo, s22
.LBB324_816:                            ;   in Loop: Header=BB324_13 Depth=1
	s_delay_alu instid0(SALU_CYCLE_1)
	s_or_b32 exec_lo, exec_lo, s21
	flat_load_b32 v94, v[31:32] offset:3080
	v_mov_b32_e32 v153, 0
	s_mov_b32 s21, exec_lo
	s_waitcnt vmcnt(0) lgkmcnt(0)
	v_dual_mov_b32 v152, 0 :: v_dual_and_b32 v7, 0xff, v94
	s_delay_alu instid0(VALU_DEP_1)
	v_cmpx_ne_u16_e32 0, v7
	s_cbranch_execz .LBB324_824
; %bb.817:                              ;   in Loop: Header=BB324_13 Depth=1
	v_bfrev_b32_e32 v152, 1
	s_mov_b32 s22, exec_lo
	v_cmpx_ne_u16_e32 0x80, v7
	s_cbranch_execz .LBB324_823
; %bb.818:                              ;   in Loop: Header=BB324_13 Depth=1
	v_and_b32_e32 v106, 0x7f, v94
	v_mov_b32_e32 v152, 0x7fc02000
	s_mov_b32 s23, exec_lo
	s_delay_alu instid0(VALU_DEP_2)
	v_cmpx_ne_u32_e32 0x7f, v106
	s_cbranch_execz .LBB324_822
; %bb.819:                              ;   in Loop: Header=BB324_13 Depth=1
	v_and_b32_e32 v7, 7, v94
	v_lshrrev_b32_e32 v95, 3, v106
	v_mov_b32_e32 v34, v8
	s_mov_b32 s24, exec_lo
	s_delay_alu instid0(VALU_DEP_3)
	v_mov_b32_e32 v33, v7
	v_cmpx_gt_u32_e32 8, v106
; %bb.820:                              ;   in Loop: Header=BB324_13 Depth=1
	v_clz_i32_u32_e32 v33, v7
	s_delay_alu instid0(VALU_DEP_1) | instskip(NEXT) | instid1(VALU_DEP_1)
	v_min_u32_e32 v95, 32, v33
	v_subrev_nc_u32_e32 v33, 28, v95
	v_sub_nc_u32_e32 v95, 29, v95
	s_delay_alu instid0(VALU_DEP_2) | instskip(NEXT) | instid1(VALU_DEP_1)
	v_lshlrev_b64 v[33:34], v33, v[7:8]
	v_and_b32_e32 v33, 7, v33
; %bb.821:                              ;   in Loop: Header=BB324_13 Depth=1
	s_or_b32 exec_lo, exec_lo, s24
	v_lshlrev_b32_e32 v7, 8, v94
	v_lshl_add_u32 v34, v95, 10, 0x2000
	s_delay_alu instid0(VALU_DEP_1) | instskip(NEXT) | instid1(VALU_DEP_1)
	v_and_or_b32 v7, 0x8000, v7, v34
	v_lshl_or_b32 v7, v33, 7, v7
	s_delay_alu instid0(VALU_DEP_1)
	v_cvt_f32_f16_e64 v152, v7
.LBB324_822:                            ;   in Loop: Header=BB324_13 Depth=1
	s_or_b32 exec_lo, exec_lo, s23
.LBB324_823:                            ;   in Loop: Header=BB324_13 Depth=1
	s_delay_alu instid0(SALU_CYCLE_1)
	s_or_b32 exec_lo, exec_lo, s22
.LBB324_824:                            ;   in Loop: Header=BB324_13 Depth=1
	s_delay_alu instid0(SALU_CYCLE_1) | instskip(SKIP_2) | instid1(VALU_DEP_1)
	s_or_b32 exec_lo, exec_lo, s21
	v_lshrrev_b16 v7, 8, v94
	s_mov_b32 s21, exec_lo
	v_cmpx_ne_u16_e32 0, v7
	s_cbranch_execz .LBB324_832
; %bb.825:                              ;   in Loop: Header=BB324_13 Depth=1
	v_bfrev_b32_e32 v153, 1
	s_mov_b32 s22, exec_lo
	v_cmpx_ne_u16_e32 0x80, v7
	s_cbranch_execz .LBB324_831
; %bb.826:                              ;   in Loop: Header=BB324_13 Depth=1
	v_and_b32_e32 v95, 0xffff, v7
	v_mov_b32_e32 v153, 0x7fc02000
	s_mov_b32 s23, exec_lo
	s_delay_alu instid0(VALU_DEP_2) | instskip(NEXT) | instid1(VALU_DEP_1)
	v_and_b32_e32 v107, 0x7f, v95
	v_cmpx_ne_u32_e32 0x7f, v107
	s_cbranch_execz .LBB324_830
; %bb.827:                              ;   in Loop: Header=BB324_13 Depth=1
	v_and_b32_e32 v7, 7, v95
	v_lshrrev_b32_e32 v106, 3, v107
	v_mov_b32_e32 v34, v8
	s_mov_b32 s24, exec_lo
	s_delay_alu instid0(VALU_DEP_3)
	v_mov_b32_e32 v33, v7
	v_cmpx_gt_u32_e32 8, v107
; %bb.828:                              ;   in Loop: Header=BB324_13 Depth=1
	v_clz_i32_u32_e32 v33, v7
	s_delay_alu instid0(VALU_DEP_1) | instskip(NEXT) | instid1(VALU_DEP_1)
	v_min_u32_e32 v106, 32, v33
	v_subrev_nc_u32_e32 v33, 28, v106
	v_sub_nc_u32_e32 v106, 29, v106
	s_delay_alu instid0(VALU_DEP_2) | instskip(NEXT) | instid1(VALU_DEP_1)
	v_lshlrev_b64 v[33:34], v33, v[7:8]
	v_and_b32_e32 v33, 7, v33
; %bb.829:                              ;   in Loop: Header=BB324_13 Depth=1
	s_or_b32 exec_lo, exec_lo, s24
	v_lshlrev_b32_e32 v7, 8, v95
	v_lshl_add_u32 v34, v106, 10, 0x2000
	s_delay_alu instid0(VALU_DEP_1) | instskip(NEXT) | instid1(VALU_DEP_1)
	v_and_or_b32 v7, 0x8000, v7, v34
	v_lshl_or_b32 v7, v33, 7, v7
	s_delay_alu instid0(VALU_DEP_1)
	v_cvt_f32_f16_e64 v153, v7
.LBB324_830:                            ;   in Loop: Header=BB324_13 Depth=1
	s_or_b32 exec_lo, exec_lo, s23
.LBB324_831:                            ;   in Loop: Header=BB324_13 Depth=1
	s_delay_alu instid0(SALU_CYCLE_1)
	s_or_b32 exec_lo, exec_lo, s22
.LBB324_832:                            ;   in Loop: Header=BB324_13 Depth=1
	s_delay_alu instid0(SALU_CYCLE_1) | instskip(SKIP_3) | instid1(VALU_DEP_2)
	s_or_b32 exec_lo, exec_lo, s21
	v_lshrrev_b32_e32 v95, 16, v94
	v_mov_b32_e32 v169, 0
	s_mov_b32 s21, exec_lo
	v_dual_mov_b32 v168, 0 :: v_dual_and_b32 v7, 0xff, v95
	s_delay_alu instid0(VALU_DEP_1)
	v_cmpx_ne_u16_e32 0, v7
	s_cbranch_execz .LBB324_840
; %bb.833:                              ;   in Loop: Header=BB324_13 Depth=1
	v_bfrev_b32_e32 v169, 1
	s_mov_b32 s22, exec_lo
	v_cmpx_ne_u16_e32 0x80, v7
	s_cbranch_execz .LBB324_839
; %bb.834:                              ;   in Loop: Header=BB324_13 Depth=1
	v_bfe_u32 v106, v94, 16, 7
	v_mov_b32_e32 v169, 0x7fc02000
	s_mov_b32 s23, exec_lo
	s_delay_alu instid0(VALU_DEP_2)
	v_cmpx_ne_u32_e32 0x7f, v106
	s_cbranch_execz .LBB324_838
; %bb.835:                              ;   in Loop: Header=BB324_13 Depth=1
	v_and_b32_e32 v7, 7, v95
	v_mov_b32_e32 v34, v8
	v_lshrrev_b32_e32 v34, 3, v106
	s_mov_b32 s24, exec_lo
	s_delay_alu instid0(VALU_DEP_3)
	v_mov_b32_e32 v33, v7
	v_cmpx_gt_u32_e32 8, v106
; %bb.836:                              ;   in Loop: Header=BB324_13 Depth=1
	v_clz_i32_u32_e32 v33, v7
	s_delay_alu instid0(VALU_DEP_1) | instskip(NEXT) | instid1(VALU_DEP_1)
	v_min_u32_e32 v106, 32, v33
	v_subrev_nc_u32_e32 v33, 28, v106
	s_delay_alu instid0(VALU_DEP_1) | instskip(SKIP_1) | instid1(VALU_DEP_2)
	v_lshlrev_b64 v[33:34], v33, v[7:8]
	v_sub_nc_u32_e32 v34, 29, v106
	v_and_b32_e32 v33, 7, v33
; %bb.837:                              ;   in Loop: Header=BB324_13 Depth=1
	s_or_b32 exec_lo, exec_lo, s24
	v_lshlrev_b32_e32 v7, 8, v95
	s_delay_alu instid0(VALU_DEP_3) | instskip(NEXT) | instid1(VALU_DEP_1)
	v_lshl_add_u32 v34, v34, 10, 0x2000
	v_and_or_b32 v7, 0x8000, v7, v34
	s_delay_alu instid0(VALU_DEP_1) | instskip(NEXT) | instid1(VALU_DEP_1)
	v_lshl_or_b32 v7, v33, 7, v7
	v_cvt_f32_f16_e64 v169, v7
.LBB324_838:                            ;   in Loop: Header=BB324_13 Depth=1
	s_or_b32 exec_lo, exec_lo, s23
.LBB324_839:                            ;   in Loop: Header=BB324_13 Depth=1
	s_delay_alu instid0(SALU_CYCLE_1)
	s_or_b32 exec_lo, exec_lo, s22
.LBB324_840:                            ;   in Loop: Header=BB324_13 Depth=1
	s_delay_alu instid0(SALU_CYCLE_1) | instskip(NEXT) | instid1(SALU_CYCLE_1)
	s_or_b32 exec_lo, exec_lo, s21
	s_mov_b32 s21, exec_lo
	v_cmpx_lt_u32_e32 0xffffff, v94
	s_cbranch_execz .LBB324_848
; %bb.841:                              ;   in Loop: Header=BB324_13 Depth=1
	v_lshrrev_b32_e32 v94, 24, v94
	v_bfrev_b32_e32 v168, 1
	s_mov_b32 s22, exec_lo
	s_delay_alu instid0(VALU_DEP_2)
	v_cmpx_ne_u32_e32 0x80, v94
	s_cbranch_execz .LBB324_847
; %bb.842:                              ;   in Loop: Header=BB324_13 Depth=1
	v_and_b32_e32 v106, 0x7f, v94
	v_mov_b32_e32 v168, 0x7fc02000
	s_mov_b32 s23, exec_lo
	s_delay_alu instid0(VALU_DEP_2)
	v_cmpx_ne_u32_e32 0x7f, v106
	s_cbranch_execz .LBB324_846
; %bb.843:                              ;   in Loop: Header=BB324_13 Depth=1
	v_and_b32_e32 v7, 7, v94
	v_lshrrev_b32_e32 v95, 3, v106
	v_mov_b32_e32 v34, v8
	s_mov_b32 s24, exec_lo
	s_delay_alu instid0(VALU_DEP_3)
	v_mov_b32_e32 v33, v7
	v_cmpx_gt_u32_e32 8, v106
; %bb.844:                              ;   in Loop: Header=BB324_13 Depth=1
	v_clz_i32_u32_e32 v33, v7
	s_delay_alu instid0(VALU_DEP_1) | instskip(NEXT) | instid1(VALU_DEP_1)
	v_min_u32_e32 v95, 32, v33
	v_subrev_nc_u32_e32 v33, 28, v95
	v_sub_nc_u32_e32 v95, 29, v95
	s_delay_alu instid0(VALU_DEP_2) | instskip(NEXT) | instid1(VALU_DEP_1)
	v_lshlrev_b64 v[33:34], v33, v[7:8]
	v_and_b32_e32 v33, 7, v33
; %bb.845:                              ;   in Loop: Header=BB324_13 Depth=1
	s_or_b32 exec_lo, exec_lo, s24
	v_lshlrev_b32_e32 v7, 8, v94
	v_lshl_add_u32 v34, v95, 10, 0x2000
	s_delay_alu instid0(VALU_DEP_1) | instskip(NEXT) | instid1(VALU_DEP_1)
	v_and_or_b32 v7, 0x8000, v7, v34
	v_lshl_or_b32 v7, v33, 7, v7
	s_delay_alu instid0(VALU_DEP_1)
	v_cvt_f32_f16_e64 v168, v7
.LBB324_846:                            ;   in Loop: Header=BB324_13 Depth=1
	s_or_b32 exec_lo, exec_lo, s23
.LBB324_847:                            ;   in Loop: Header=BB324_13 Depth=1
	s_delay_alu instid0(SALU_CYCLE_1)
	s_or_b32 exec_lo, exec_lo, s22
.LBB324_848:                            ;   in Loop: Header=BB324_13 Depth=1
	s_delay_alu instid0(SALU_CYCLE_1)
	s_or_b32 exec_lo, exec_lo, s21
	flat_load_b32 v94, v[31:32] offset:3328
	v_mov_b32_e32 v139, 0
	s_mov_b32 s21, exec_lo
	s_waitcnt vmcnt(0) lgkmcnt(0)
	v_dual_mov_b32 v138, 0 :: v_dual_and_b32 v7, 0xff, v94
	s_delay_alu instid0(VALU_DEP_1)
	v_cmpx_ne_u16_e32 0, v7
	s_cbranch_execz .LBB324_856
; %bb.849:                              ;   in Loop: Header=BB324_13 Depth=1
	v_bfrev_b32_e32 v138, 1
	s_mov_b32 s22, exec_lo
	v_cmpx_ne_u16_e32 0x80, v7
	s_cbranch_execz .LBB324_855
; %bb.850:                              ;   in Loop: Header=BB324_13 Depth=1
	v_and_b32_e32 v106, 0x7f, v94
	v_mov_b32_e32 v138, 0x7fc02000
	s_mov_b32 s23, exec_lo
	s_delay_alu instid0(VALU_DEP_2)
	v_cmpx_ne_u32_e32 0x7f, v106
	s_cbranch_execz .LBB324_854
; %bb.851:                              ;   in Loop: Header=BB324_13 Depth=1
	v_and_b32_e32 v7, 7, v94
	v_lshrrev_b32_e32 v95, 3, v106
	v_mov_b32_e32 v34, v8
	s_mov_b32 s24, exec_lo
	s_delay_alu instid0(VALU_DEP_3)
	v_mov_b32_e32 v33, v7
	v_cmpx_gt_u32_e32 8, v106
; %bb.852:                              ;   in Loop: Header=BB324_13 Depth=1
	v_clz_i32_u32_e32 v33, v7
	s_delay_alu instid0(VALU_DEP_1) | instskip(NEXT) | instid1(VALU_DEP_1)
	v_min_u32_e32 v95, 32, v33
	v_subrev_nc_u32_e32 v33, 28, v95
	v_sub_nc_u32_e32 v95, 29, v95
	s_delay_alu instid0(VALU_DEP_2) | instskip(NEXT) | instid1(VALU_DEP_1)
	v_lshlrev_b64 v[33:34], v33, v[7:8]
	v_and_b32_e32 v33, 7, v33
; %bb.853:                              ;   in Loop: Header=BB324_13 Depth=1
	s_or_b32 exec_lo, exec_lo, s24
	v_lshlrev_b32_e32 v7, 8, v94
	v_lshl_add_u32 v34, v95, 10, 0x2000
	s_delay_alu instid0(VALU_DEP_1) | instskip(NEXT) | instid1(VALU_DEP_1)
	v_and_or_b32 v7, 0x8000, v7, v34
	v_lshl_or_b32 v7, v33, 7, v7
	s_delay_alu instid0(VALU_DEP_1)
	v_cvt_f32_f16_e64 v138, v7
.LBB324_854:                            ;   in Loop: Header=BB324_13 Depth=1
	s_or_b32 exec_lo, exec_lo, s23
.LBB324_855:                            ;   in Loop: Header=BB324_13 Depth=1
	s_delay_alu instid0(SALU_CYCLE_1)
	s_or_b32 exec_lo, exec_lo, s22
.LBB324_856:                            ;   in Loop: Header=BB324_13 Depth=1
	s_delay_alu instid0(SALU_CYCLE_1) | instskip(SKIP_2) | instid1(VALU_DEP_1)
	s_or_b32 exec_lo, exec_lo, s21
	v_lshrrev_b16 v7, 8, v94
	s_mov_b32 s21, exec_lo
	v_cmpx_ne_u16_e32 0, v7
	s_cbranch_execz .LBB324_864
; %bb.857:                              ;   in Loop: Header=BB324_13 Depth=1
	v_bfrev_b32_e32 v139, 1
	s_mov_b32 s22, exec_lo
	v_cmpx_ne_u16_e32 0x80, v7
	s_cbranch_execz .LBB324_863
; %bb.858:                              ;   in Loop: Header=BB324_13 Depth=1
	v_and_b32_e32 v95, 0xffff, v7
	v_mov_b32_e32 v139, 0x7fc02000
	s_mov_b32 s23, exec_lo
	s_delay_alu instid0(VALU_DEP_2) | instskip(NEXT) | instid1(VALU_DEP_1)
	v_and_b32_e32 v107, 0x7f, v95
	v_cmpx_ne_u32_e32 0x7f, v107
	s_cbranch_execz .LBB324_862
; %bb.859:                              ;   in Loop: Header=BB324_13 Depth=1
	v_and_b32_e32 v7, 7, v95
	v_lshrrev_b32_e32 v106, 3, v107
	v_mov_b32_e32 v34, v8
	s_mov_b32 s24, exec_lo
	s_delay_alu instid0(VALU_DEP_3)
	v_mov_b32_e32 v33, v7
	v_cmpx_gt_u32_e32 8, v107
; %bb.860:                              ;   in Loop: Header=BB324_13 Depth=1
	v_clz_i32_u32_e32 v33, v7
	s_delay_alu instid0(VALU_DEP_1) | instskip(NEXT) | instid1(VALU_DEP_1)
	v_min_u32_e32 v106, 32, v33
	v_subrev_nc_u32_e32 v33, 28, v106
	v_sub_nc_u32_e32 v106, 29, v106
	s_delay_alu instid0(VALU_DEP_2) | instskip(NEXT) | instid1(VALU_DEP_1)
	v_lshlrev_b64 v[33:34], v33, v[7:8]
	v_and_b32_e32 v33, 7, v33
; %bb.861:                              ;   in Loop: Header=BB324_13 Depth=1
	s_or_b32 exec_lo, exec_lo, s24
	v_lshlrev_b32_e32 v7, 8, v95
	v_lshl_add_u32 v34, v106, 10, 0x2000
	s_delay_alu instid0(VALU_DEP_1) | instskip(NEXT) | instid1(VALU_DEP_1)
	v_and_or_b32 v7, 0x8000, v7, v34
	v_lshl_or_b32 v7, v33, 7, v7
	s_delay_alu instid0(VALU_DEP_1)
	v_cvt_f32_f16_e64 v139, v7
.LBB324_862:                            ;   in Loop: Header=BB324_13 Depth=1
	s_or_b32 exec_lo, exec_lo, s23
.LBB324_863:                            ;   in Loop: Header=BB324_13 Depth=1
	s_delay_alu instid0(SALU_CYCLE_1)
	s_or_b32 exec_lo, exec_lo, s22
.LBB324_864:                            ;   in Loop: Header=BB324_13 Depth=1
	s_delay_alu instid0(SALU_CYCLE_1) | instskip(SKIP_3) | instid1(VALU_DEP_2)
	s_or_b32 exec_lo, exec_lo, s21
	v_lshrrev_b32_e32 v95, 16, v94
	v_mov_b32_e32 v155, 0
	s_mov_b32 s21, exec_lo
	v_dual_mov_b32 v154, 0 :: v_dual_and_b32 v7, 0xff, v95
	s_delay_alu instid0(VALU_DEP_1)
	v_cmpx_ne_u16_e32 0, v7
	s_cbranch_execz .LBB324_872
; %bb.865:                              ;   in Loop: Header=BB324_13 Depth=1
	v_bfrev_b32_e32 v155, 1
	s_mov_b32 s22, exec_lo
	v_cmpx_ne_u16_e32 0x80, v7
	s_cbranch_execz .LBB324_871
; %bb.866:                              ;   in Loop: Header=BB324_13 Depth=1
	v_bfe_u32 v107, v94, 16, 7
	v_mov_b32_e32 v155, 0x7fc02000
	s_mov_b32 s23, exec_lo
	s_delay_alu instid0(VALU_DEP_2)
	v_cmpx_ne_u32_e32 0x7f, v107
	s_cbranch_execz .LBB324_870
; %bb.867:                              ;   in Loop: Header=BB324_13 Depth=1
	v_and_b32_e32 v7, 7, v95
	v_lshrrev_b32_e32 v106, 3, v107
	v_mov_b32_e32 v34, v8
	s_mov_b32 s24, exec_lo
	s_delay_alu instid0(VALU_DEP_3)
	v_mov_b32_e32 v33, v7
	v_cmpx_gt_u32_e32 8, v107
; %bb.868:                              ;   in Loop: Header=BB324_13 Depth=1
	v_clz_i32_u32_e32 v33, v7
	s_delay_alu instid0(VALU_DEP_1) | instskip(NEXT) | instid1(VALU_DEP_1)
	v_min_u32_e32 v106, 32, v33
	v_subrev_nc_u32_e32 v33, 28, v106
	v_sub_nc_u32_e32 v106, 29, v106
	s_delay_alu instid0(VALU_DEP_2) | instskip(NEXT) | instid1(VALU_DEP_1)
	v_lshlrev_b64 v[33:34], v33, v[7:8]
	v_and_b32_e32 v33, 7, v33
; %bb.869:                              ;   in Loop: Header=BB324_13 Depth=1
	s_or_b32 exec_lo, exec_lo, s24
	v_lshlrev_b32_e32 v7, 8, v95
	v_lshl_add_u32 v34, v106, 10, 0x2000
	s_delay_alu instid0(VALU_DEP_1) | instskip(NEXT) | instid1(VALU_DEP_1)
	v_and_or_b32 v7, 0x8000, v7, v34
	v_lshl_or_b32 v7, v33, 7, v7
	s_delay_alu instid0(VALU_DEP_1)
	v_cvt_f32_f16_e64 v155, v7
.LBB324_870:                            ;   in Loop: Header=BB324_13 Depth=1
	s_or_b32 exec_lo, exec_lo, s23
.LBB324_871:                            ;   in Loop: Header=BB324_13 Depth=1
	s_delay_alu instid0(SALU_CYCLE_1)
	s_or_b32 exec_lo, exec_lo, s22
.LBB324_872:                            ;   in Loop: Header=BB324_13 Depth=1
	s_delay_alu instid0(SALU_CYCLE_1) | instskip(NEXT) | instid1(SALU_CYCLE_1)
	s_or_b32 exec_lo, exec_lo, s21
	s_mov_b32 s21, exec_lo
	v_cmpx_lt_u32_e32 0xffffff, v94
	s_cbranch_execz .LBB324_880
; %bb.873:                              ;   in Loop: Header=BB324_13 Depth=1
	v_lshrrev_b32_e32 v94, 24, v94
	v_bfrev_b32_e32 v154, 1
	s_mov_b32 s22, exec_lo
	s_delay_alu instid0(VALU_DEP_2)
	v_cmpx_ne_u32_e32 0x80, v94
	s_cbranch_execz .LBB324_879
; %bb.874:                              ;   in Loop: Header=BB324_13 Depth=1
	v_and_b32_e32 v106, 0x7f, v94
	v_mov_b32_e32 v154, 0x7fc02000
	s_mov_b32 s23, exec_lo
	s_delay_alu instid0(VALU_DEP_2)
	v_cmpx_ne_u32_e32 0x7f, v106
	s_cbranch_execz .LBB324_878
; %bb.875:                              ;   in Loop: Header=BB324_13 Depth=1
	v_and_b32_e32 v7, 7, v94
	v_lshrrev_b32_e32 v95, 3, v106
	v_mov_b32_e32 v34, v8
	s_mov_b32 s24, exec_lo
	s_delay_alu instid0(VALU_DEP_3)
	v_mov_b32_e32 v33, v7
	v_cmpx_gt_u32_e32 8, v106
; %bb.876:                              ;   in Loop: Header=BB324_13 Depth=1
	v_clz_i32_u32_e32 v33, v7
	s_delay_alu instid0(VALU_DEP_1) | instskip(NEXT) | instid1(VALU_DEP_1)
	v_min_u32_e32 v95, 32, v33
	v_subrev_nc_u32_e32 v33, 28, v95
	v_sub_nc_u32_e32 v95, 29, v95
	s_delay_alu instid0(VALU_DEP_2) | instskip(NEXT) | instid1(VALU_DEP_1)
	v_lshlrev_b64 v[33:34], v33, v[7:8]
	v_and_b32_e32 v33, 7, v33
; %bb.877:                              ;   in Loop: Header=BB324_13 Depth=1
	s_or_b32 exec_lo, exec_lo, s24
	v_lshlrev_b32_e32 v7, 8, v94
	v_lshl_add_u32 v34, v95, 10, 0x2000
	s_delay_alu instid0(VALU_DEP_1) | instskip(NEXT) | instid1(VALU_DEP_1)
	v_and_or_b32 v7, 0x8000, v7, v34
	v_lshl_or_b32 v7, v33, 7, v7
	s_delay_alu instid0(VALU_DEP_1)
	v_cvt_f32_f16_e64 v154, v7
.LBB324_878:                            ;   in Loop: Header=BB324_13 Depth=1
	s_or_b32 exec_lo, exec_lo, s23
.LBB324_879:                            ;   in Loop: Header=BB324_13 Depth=1
	s_delay_alu instid0(SALU_CYCLE_1)
	s_or_b32 exec_lo, exec_lo, s22
.LBB324_880:                            ;   in Loop: Header=BB324_13 Depth=1
	s_delay_alu instid0(SALU_CYCLE_1)
	s_or_b32 exec_lo, exec_lo, s21
	flat_load_b32 v94, v[31:32] offset:3336
	v_mov_b32_e32 v125, 0
	s_mov_b32 s21, exec_lo
	s_waitcnt vmcnt(0) lgkmcnt(0)
	v_dual_mov_b32 v124, 0 :: v_dual_and_b32 v7, 0xff, v94
	s_delay_alu instid0(VALU_DEP_1)
	v_cmpx_ne_u16_e32 0, v7
	s_cbranch_execz .LBB324_888
; %bb.881:                              ;   in Loop: Header=BB324_13 Depth=1
	v_bfrev_b32_e32 v124, 1
	s_mov_b32 s22, exec_lo
	v_cmpx_ne_u16_e32 0x80, v7
	s_cbranch_execz .LBB324_887
; %bb.882:                              ;   in Loop: Header=BB324_13 Depth=1
	v_and_b32_e32 v106, 0x7f, v94
	v_mov_b32_e32 v124, 0x7fc02000
	s_mov_b32 s23, exec_lo
	s_delay_alu instid0(VALU_DEP_2)
	v_cmpx_ne_u32_e32 0x7f, v106
	s_cbranch_execz .LBB324_886
; %bb.883:                              ;   in Loop: Header=BB324_13 Depth=1
	v_and_b32_e32 v7, 7, v94
	v_lshrrev_b32_e32 v95, 3, v106
	v_mov_b32_e32 v34, v8
	s_mov_b32 s24, exec_lo
	s_delay_alu instid0(VALU_DEP_3)
	v_mov_b32_e32 v33, v7
	v_cmpx_gt_u32_e32 8, v106
; %bb.884:                              ;   in Loop: Header=BB324_13 Depth=1
	v_clz_i32_u32_e32 v33, v7
	s_delay_alu instid0(VALU_DEP_1) | instskip(NEXT) | instid1(VALU_DEP_1)
	v_min_u32_e32 v95, 32, v33
	v_subrev_nc_u32_e32 v33, 28, v95
	v_sub_nc_u32_e32 v95, 29, v95
	s_delay_alu instid0(VALU_DEP_2) | instskip(NEXT) | instid1(VALU_DEP_1)
	v_lshlrev_b64 v[33:34], v33, v[7:8]
	v_and_b32_e32 v33, 7, v33
; %bb.885:                              ;   in Loop: Header=BB324_13 Depth=1
	s_or_b32 exec_lo, exec_lo, s24
	v_lshlrev_b32_e32 v7, 8, v94
	v_lshl_add_u32 v34, v95, 10, 0x2000
	s_delay_alu instid0(VALU_DEP_1) | instskip(NEXT) | instid1(VALU_DEP_1)
	v_and_or_b32 v7, 0x8000, v7, v34
	v_lshl_or_b32 v7, v33, 7, v7
	s_delay_alu instid0(VALU_DEP_1)
	v_cvt_f32_f16_e32 v124, v7
.LBB324_886:                            ;   in Loop: Header=BB324_13 Depth=1
	s_or_b32 exec_lo, exec_lo, s23
.LBB324_887:                            ;   in Loop: Header=BB324_13 Depth=1
	s_delay_alu instid0(SALU_CYCLE_1)
	s_or_b32 exec_lo, exec_lo, s22
.LBB324_888:                            ;   in Loop: Header=BB324_13 Depth=1
	s_delay_alu instid0(SALU_CYCLE_1) | instskip(SKIP_2) | instid1(VALU_DEP_1)
	s_or_b32 exec_lo, exec_lo, s21
	v_lshrrev_b16 v7, 8, v94
	s_mov_b32 s21, exec_lo
	v_cmpx_ne_u16_e32 0, v7
	s_cbranch_execz .LBB324_896
; %bb.889:                              ;   in Loop: Header=BB324_13 Depth=1
	v_bfrev_b32_e32 v125, 1
	s_mov_b32 s22, exec_lo
	v_cmpx_ne_u16_e32 0x80, v7
	s_cbranch_execz .LBB324_895
; %bb.890:                              ;   in Loop: Header=BB324_13 Depth=1
	v_and_b32_e32 v95, 0xffff, v7
	v_mov_b32_e32 v125, 0x7fc02000
	s_mov_b32 s23, exec_lo
	s_delay_alu instid0(VALU_DEP_2) | instskip(NEXT) | instid1(VALU_DEP_1)
	v_and_b32_e32 v107, 0x7f, v95
	v_cmpx_ne_u32_e32 0x7f, v107
	s_cbranch_execz .LBB324_894
; %bb.891:                              ;   in Loop: Header=BB324_13 Depth=1
	v_and_b32_e32 v7, 7, v95
	v_lshrrev_b32_e32 v106, 3, v107
	v_mov_b32_e32 v34, v8
	s_mov_b32 s24, exec_lo
	s_delay_alu instid0(VALU_DEP_3)
	v_mov_b32_e32 v33, v7
	v_cmpx_gt_u32_e32 8, v107
; %bb.892:                              ;   in Loop: Header=BB324_13 Depth=1
	v_clz_i32_u32_e32 v33, v7
	s_delay_alu instid0(VALU_DEP_1) | instskip(NEXT) | instid1(VALU_DEP_1)
	v_min_u32_e32 v106, 32, v33
	v_subrev_nc_u32_e32 v33, 28, v106
	v_sub_nc_u32_e32 v106, 29, v106
	s_delay_alu instid0(VALU_DEP_2) | instskip(NEXT) | instid1(VALU_DEP_1)
	v_lshlrev_b64 v[33:34], v33, v[7:8]
	v_and_b32_e32 v33, 7, v33
; %bb.893:                              ;   in Loop: Header=BB324_13 Depth=1
	s_or_b32 exec_lo, exec_lo, s24
	v_lshlrev_b32_e32 v7, 8, v95
	v_lshl_add_u32 v34, v106, 10, 0x2000
	s_delay_alu instid0(VALU_DEP_1) | instskip(NEXT) | instid1(VALU_DEP_1)
	v_and_or_b32 v7, 0x8000, v7, v34
	v_lshl_or_b32 v7, v33, 7, v7
	s_delay_alu instid0(VALU_DEP_1)
	v_cvt_f32_f16_e32 v125, v7
.LBB324_894:                            ;   in Loop: Header=BB324_13 Depth=1
	s_or_b32 exec_lo, exec_lo, s23
.LBB324_895:                            ;   in Loop: Header=BB324_13 Depth=1
	s_delay_alu instid0(SALU_CYCLE_1)
	s_or_b32 exec_lo, exec_lo, s22
.LBB324_896:                            ;   in Loop: Header=BB324_13 Depth=1
	s_delay_alu instid0(SALU_CYCLE_1) | instskip(SKIP_3) | instid1(VALU_DEP_2)
	s_or_b32 exec_lo, exec_lo, s21
	v_lshrrev_b32_e32 v95, 16, v94
	v_mov_b32_e32 v141, 0
	s_mov_b32 s21, exec_lo
	v_dual_mov_b32 v140, 0 :: v_dual_and_b32 v7, 0xff, v95
	s_delay_alu instid0(VALU_DEP_1)
	v_cmpx_ne_u16_e32 0, v7
	s_cbranch_execz .LBB324_904
; %bb.897:                              ;   in Loop: Header=BB324_13 Depth=1
	v_bfrev_b32_e32 v141, 1
	s_mov_b32 s22, exec_lo
	v_cmpx_ne_u16_e32 0x80, v7
	s_cbranch_execz .LBB324_903
; %bb.898:                              ;   in Loop: Header=BB324_13 Depth=1
	v_bfe_u32 v107, v94, 16, 7
	v_mov_b32_e32 v141, 0x7fc02000
	s_mov_b32 s23, exec_lo
	s_delay_alu instid0(VALU_DEP_2)
	v_cmpx_ne_u32_e32 0x7f, v107
	s_cbranch_execz .LBB324_902
; %bb.899:                              ;   in Loop: Header=BB324_13 Depth=1
	v_and_b32_e32 v7, 7, v95
	v_lshrrev_b32_e32 v106, 3, v107
	v_mov_b32_e32 v34, v8
	s_mov_b32 s24, exec_lo
	s_delay_alu instid0(VALU_DEP_3)
	v_mov_b32_e32 v33, v7
	v_cmpx_gt_u32_e32 8, v107
; %bb.900:                              ;   in Loop: Header=BB324_13 Depth=1
	v_clz_i32_u32_e32 v33, v7
	s_delay_alu instid0(VALU_DEP_1) | instskip(NEXT) | instid1(VALU_DEP_1)
	v_min_u32_e32 v106, 32, v33
	v_subrev_nc_u32_e32 v33, 28, v106
	v_sub_nc_u32_e32 v106, 29, v106
	s_delay_alu instid0(VALU_DEP_2) | instskip(NEXT) | instid1(VALU_DEP_1)
	v_lshlrev_b64 v[33:34], v33, v[7:8]
	v_and_b32_e32 v33, 7, v33
; %bb.901:                              ;   in Loop: Header=BB324_13 Depth=1
	s_or_b32 exec_lo, exec_lo, s24
	v_lshlrev_b32_e32 v7, 8, v95
	v_lshl_add_u32 v34, v106, 10, 0x2000
	s_delay_alu instid0(VALU_DEP_1) | instskip(NEXT) | instid1(VALU_DEP_1)
	v_and_or_b32 v7, 0x8000, v7, v34
	v_lshl_or_b32 v7, v33, 7, v7
	s_delay_alu instid0(VALU_DEP_1)
	v_cvt_f32_f16_e64 v141, v7
.LBB324_902:                            ;   in Loop: Header=BB324_13 Depth=1
	s_or_b32 exec_lo, exec_lo, s23
.LBB324_903:                            ;   in Loop: Header=BB324_13 Depth=1
	s_delay_alu instid0(SALU_CYCLE_1)
	s_or_b32 exec_lo, exec_lo, s22
.LBB324_904:                            ;   in Loop: Header=BB324_13 Depth=1
	s_delay_alu instid0(SALU_CYCLE_1) | instskip(NEXT) | instid1(SALU_CYCLE_1)
	s_or_b32 exec_lo, exec_lo, s21
	s_mov_b32 s21, exec_lo
	v_cmpx_lt_u32_e32 0xffffff, v94
	s_cbranch_execz .LBB324_912
; %bb.905:                              ;   in Loop: Header=BB324_13 Depth=1
	v_lshrrev_b32_e32 v94, 24, v94
	v_bfrev_b32_e32 v140, 1
	s_mov_b32 s22, exec_lo
	s_delay_alu instid0(VALU_DEP_2)
	v_cmpx_ne_u32_e32 0x80, v94
	s_cbranch_execz .LBB324_911
; %bb.906:                              ;   in Loop: Header=BB324_13 Depth=1
	v_and_b32_e32 v106, 0x7f, v94
	v_mov_b32_e32 v140, 0x7fc02000
	s_mov_b32 s23, exec_lo
	s_delay_alu instid0(VALU_DEP_2)
	v_cmpx_ne_u32_e32 0x7f, v106
	s_cbranch_execz .LBB324_910
; %bb.907:                              ;   in Loop: Header=BB324_13 Depth=1
	v_and_b32_e32 v7, 7, v94
	v_lshrrev_b32_e32 v95, 3, v106
	v_mov_b32_e32 v34, v8
	s_mov_b32 s24, exec_lo
	s_delay_alu instid0(VALU_DEP_3)
	v_mov_b32_e32 v33, v7
	v_cmpx_gt_u32_e32 8, v106
; %bb.908:                              ;   in Loop: Header=BB324_13 Depth=1
	v_clz_i32_u32_e32 v33, v7
	s_delay_alu instid0(VALU_DEP_1) | instskip(NEXT) | instid1(VALU_DEP_1)
	v_min_u32_e32 v95, 32, v33
	v_subrev_nc_u32_e32 v33, 28, v95
	v_sub_nc_u32_e32 v95, 29, v95
	s_delay_alu instid0(VALU_DEP_2) | instskip(NEXT) | instid1(VALU_DEP_1)
	v_lshlrev_b64 v[33:34], v33, v[7:8]
	v_and_b32_e32 v33, 7, v33
; %bb.909:                              ;   in Loop: Header=BB324_13 Depth=1
	s_or_b32 exec_lo, exec_lo, s24
	v_lshlrev_b32_e32 v7, 8, v94
	v_lshl_add_u32 v34, v95, 10, 0x2000
	s_delay_alu instid0(VALU_DEP_1) | instskip(NEXT) | instid1(VALU_DEP_1)
	v_and_or_b32 v7, 0x8000, v7, v34
	v_lshl_or_b32 v7, v33, 7, v7
	s_delay_alu instid0(VALU_DEP_1)
	v_cvt_f32_f16_e64 v140, v7
.LBB324_910:                            ;   in Loop: Header=BB324_13 Depth=1
	s_or_b32 exec_lo, exec_lo, s23
.LBB324_911:                            ;   in Loop: Header=BB324_13 Depth=1
	s_delay_alu instid0(SALU_CYCLE_1)
	s_or_b32 exec_lo, exec_lo, s22
.LBB324_912:                            ;   in Loop: Header=BB324_13 Depth=1
	s_delay_alu instid0(SALU_CYCLE_1)
	s_or_b32 exec_lo, exec_lo, s21
	flat_load_b32 v94, v[31:32] offset:3584
	v_mov_b32_e32 v121, 0
	s_mov_b32 s21, exec_lo
	s_waitcnt vmcnt(0) lgkmcnt(0)
	v_dual_mov_b32 v120, 0 :: v_dual_and_b32 v7, 0xff, v94
	s_delay_alu instid0(VALU_DEP_1)
	v_cmpx_ne_u16_e32 0, v7
	s_cbranch_execz .LBB324_920
; %bb.913:                              ;   in Loop: Header=BB324_13 Depth=1
	v_bfrev_b32_e32 v120, 1
	s_mov_b32 s22, exec_lo
	v_cmpx_ne_u16_e32 0x80, v7
	s_cbranch_execz .LBB324_919
; %bb.914:                              ;   in Loop: Header=BB324_13 Depth=1
	v_and_b32_e32 v106, 0x7f, v94
	v_mov_b32_e32 v120, 0x7fc02000
	s_mov_b32 s23, exec_lo
	s_delay_alu instid0(VALU_DEP_2)
	v_cmpx_ne_u32_e32 0x7f, v106
	s_cbranch_execz .LBB324_918
; %bb.915:                              ;   in Loop: Header=BB324_13 Depth=1
	v_and_b32_e32 v7, 7, v94
	v_lshrrev_b32_e32 v95, 3, v106
	v_mov_b32_e32 v34, v8
	s_mov_b32 s24, exec_lo
	s_delay_alu instid0(VALU_DEP_3)
	v_mov_b32_e32 v33, v7
	v_cmpx_gt_u32_e32 8, v106
; %bb.916:                              ;   in Loop: Header=BB324_13 Depth=1
	v_clz_i32_u32_e32 v33, v7
	s_delay_alu instid0(VALU_DEP_1) | instskip(NEXT) | instid1(VALU_DEP_1)
	v_min_u32_e32 v95, 32, v33
	v_subrev_nc_u32_e32 v33, 28, v95
	v_sub_nc_u32_e32 v95, 29, v95
	s_delay_alu instid0(VALU_DEP_2) | instskip(NEXT) | instid1(VALU_DEP_1)
	v_lshlrev_b64 v[33:34], v33, v[7:8]
	v_and_b32_e32 v33, 7, v33
; %bb.917:                              ;   in Loop: Header=BB324_13 Depth=1
	s_or_b32 exec_lo, exec_lo, s24
	v_lshlrev_b32_e32 v7, 8, v94
	v_lshl_add_u32 v34, v95, 10, 0x2000
	s_delay_alu instid0(VALU_DEP_1) | instskip(NEXT) | instid1(VALU_DEP_1)
	v_and_or_b32 v7, 0x8000, v7, v34
	v_lshl_or_b32 v7, v33, 7, v7
	s_delay_alu instid0(VALU_DEP_1)
	v_cvt_f32_f16_e32 v120, v7
.LBB324_918:                            ;   in Loop: Header=BB324_13 Depth=1
	s_or_b32 exec_lo, exec_lo, s23
.LBB324_919:                            ;   in Loop: Header=BB324_13 Depth=1
	s_delay_alu instid0(SALU_CYCLE_1)
	s_or_b32 exec_lo, exec_lo, s22
.LBB324_920:                            ;   in Loop: Header=BB324_13 Depth=1
	s_delay_alu instid0(SALU_CYCLE_1) | instskip(SKIP_2) | instid1(VALU_DEP_1)
	s_or_b32 exec_lo, exec_lo, s21
	v_lshrrev_b16 v7, 8, v94
	s_mov_b32 s21, exec_lo
	v_cmpx_ne_u16_e32 0, v7
	s_cbranch_execz .LBB324_928
; %bb.921:                              ;   in Loop: Header=BB324_13 Depth=1
	v_bfrev_b32_e32 v121, 1
	s_mov_b32 s22, exec_lo
	v_cmpx_ne_u16_e32 0x80, v7
	s_cbranch_execz .LBB324_927
; %bb.922:                              ;   in Loop: Header=BB324_13 Depth=1
	v_and_b32_e32 v95, 0xffff, v7
	v_mov_b32_e32 v121, 0x7fc02000
	s_mov_b32 s23, exec_lo
	s_delay_alu instid0(VALU_DEP_2) | instskip(NEXT) | instid1(VALU_DEP_1)
	v_and_b32_e32 v107, 0x7f, v95
	v_cmpx_ne_u32_e32 0x7f, v107
	s_cbranch_execz .LBB324_926
; %bb.923:                              ;   in Loop: Header=BB324_13 Depth=1
	v_and_b32_e32 v7, 7, v95
	v_lshrrev_b32_e32 v106, 3, v107
	v_mov_b32_e32 v34, v8
	s_mov_b32 s24, exec_lo
	s_delay_alu instid0(VALU_DEP_3)
	v_mov_b32_e32 v33, v7
	v_cmpx_gt_u32_e32 8, v107
; %bb.924:                              ;   in Loop: Header=BB324_13 Depth=1
	v_clz_i32_u32_e32 v33, v7
	s_delay_alu instid0(VALU_DEP_1) | instskip(NEXT) | instid1(VALU_DEP_1)
	v_min_u32_e32 v106, 32, v33
	v_subrev_nc_u32_e32 v33, 28, v106
	v_sub_nc_u32_e32 v106, 29, v106
	s_delay_alu instid0(VALU_DEP_2) | instskip(NEXT) | instid1(VALU_DEP_1)
	v_lshlrev_b64 v[33:34], v33, v[7:8]
	v_and_b32_e32 v33, 7, v33
; %bb.925:                              ;   in Loop: Header=BB324_13 Depth=1
	s_or_b32 exec_lo, exec_lo, s24
	v_lshlrev_b32_e32 v7, 8, v95
	v_lshl_add_u32 v34, v106, 10, 0x2000
	s_delay_alu instid0(VALU_DEP_1) | instskip(NEXT) | instid1(VALU_DEP_1)
	v_and_or_b32 v7, 0x8000, v7, v34
	v_lshl_or_b32 v7, v33, 7, v7
	s_delay_alu instid0(VALU_DEP_1)
	v_cvt_f32_f16_e32 v121, v7
.LBB324_926:                            ;   in Loop: Header=BB324_13 Depth=1
	s_or_b32 exec_lo, exec_lo, s23
.LBB324_927:                            ;   in Loop: Header=BB324_13 Depth=1
	s_delay_alu instid0(SALU_CYCLE_1)
	s_or_b32 exec_lo, exec_lo, s22
.LBB324_928:                            ;   in Loop: Header=BB324_13 Depth=1
	s_delay_alu instid0(SALU_CYCLE_1) | instskip(SKIP_3) | instid1(VALU_DEP_2)
	s_or_b32 exec_lo, exec_lo, s21
	v_lshrrev_b32_e32 v95, 16, v94
	v_mov_b32_e32 v137, 0
	s_mov_b32 s21, exec_lo
	v_dual_mov_b32 v136, 0 :: v_dual_and_b32 v7, 0xff, v95
	s_delay_alu instid0(VALU_DEP_1)
	v_cmpx_ne_u16_e32 0, v7
	s_cbranch_execz .LBB324_936
; %bb.929:                              ;   in Loop: Header=BB324_13 Depth=1
	v_bfrev_b32_e32 v137, 1
	s_mov_b32 s22, exec_lo
	v_cmpx_ne_u16_e32 0x80, v7
	s_cbranch_execz .LBB324_935
; %bb.930:                              ;   in Loop: Header=BB324_13 Depth=1
	v_bfe_u32 v107, v94, 16, 7
	v_mov_b32_e32 v137, 0x7fc02000
	s_mov_b32 s23, exec_lo
	s_delay_alu instid0(VALU_DEP_2)
	v_cmpx_ne_u32_e32 0x7f, v107
	s_cbranch_execz .LBB324_934
; %bb.931:                              ;   in Loop: Header=BB324_13 Depth=1
	v_and_b32_e32 v7, 7, v95
	v_lshrrev_b32_e32 v106, 3, v107
	v_mov_b32_e32 v34, v8
	s_mov_b32 s24, exec_lo
	s_delay_alu instid0(VALU_DEP_3)
	v_mov_b32_e32 v33, v7
	v_cmpx_gt_u32_e32 8, v107
; %bb.932:                              ;   in Loop: Header=BB324_13 Depth=1
	v_clz_i32_u32_e32 v33, v7
	s_delay_alu instid0(VALU_DEP_1) | instskip(NEXT) | instid1(VALU_DEP_1)
	v_min_u32_e32 v106, 32, v33
	v_subrev_nc_u32_e32 v33, 28, v106
	v_sub_nc_u32_e32 v106, 29, v106
	s_delay_alu instid0(VALU_DEP_2) | instskip(NEXT) | instid1(VALU_DEP_1)
	v_lshlrev_b64 v[33:34], v33, v[7:8]
	v_and_b32_e32 v33, 7, v33
; %bb.933:                              ;   in Loop: Header=BB324_13 Depth=1
	s_or_b32 exec_lo, exec_lo, s24
	v_lshlrev_b32_e32 v7, 8, v95
	v_lshl_add_u32 v34, v106, 10, 0x2000
	s_delay_alu instid0(VALU_DEP_1) | instskip(NEXT) | instid1(VALU_DEP_1)
	v_and_or_b32 v7, 0x8000, v7, v34
	v_lshl_or_b32 v7, v33, 7, v7
	s_delay_alu instid0(VALU_DEP_1)
	v_cvt_f32_f16_e64 v137, v7
.LBB324_934:                            ;   in Loop: Header=BB324_13 Depth=1
	s_or_b32 exec_lo, exec_lo, s23
.LBB324_935:                            ;   in Loop: Header=BB324_13 Depth=1
	s_delay_alu instid0(SALU_CYCLE_1)
	s_or_b32 exec_lo, exec_lo, s22
.LBB324_936:                            ;   in Loop: Header=BB324_13 Depth=1
	s_delay_alu instid0(SALU_CYCLE_1) | instskip(NEXT) | instid1(SALU_CYCLE_1)
	s_or_b32 exec_lo, exec_lo, s21
	s_mov_b32 s21, exec_lo
	v_cmpx_lt_u32_e32 0xffffff, v94
	s_cbranch_execz .LBB324_944
; %bb.937:                              ;   in Loop: Header=BB324_13 Depth=1
	v_lshrrev_b32_e32 v94, 24, v94
	v_bfrev_b32_e32 v136, 1
	s_mov_b32 s22, exec_lo
	s_delay_alu instid0(VALU_DEP_2)
	v_cmpx_ne_u32_e32 0x80, v94
	s_cbranch_execz .LBB324_943
; %bb.938:                              ;   in Loop: Header=BB324_13 Depth=1
	v_and_b32_e32 v106, 0x7f, v94
	v_mov_b32_e32 v136, 0x7fc02000
	s_mov_b32 s23, exec_lo
	s_delay_alu instid0(VALU_DEP_2)
	v_cmpx_ne_u32_e32 0x7f, v106
	s_cbranch_execz .LBB324_942
; %bb.939:                              ;   in Loop: Header=BB324_13 Depth=1
	v_and_b32_e32 v7, 7, v94
	v_lshrrev_b32_e32 v95, 3, v106
	v_mov_b32_e32 v34, v8
	s_mov_b32 s24, exec_lo
	s_delay_alu instid0(VALU_DEP_3)
	v_mov_b32_e32 v33, v7
	v_cmpx_gt_u32_e32 8, v106
; %bb.940:                              ;   in Loop: Header=BB324_13 Depth=1
	v_clz_i32_u32_e32 v33, v7
	s_delay_alu instid0(VALU_DEP_1) | instskip(NEXT) | instid1(VALU_DEP_1)
	v_min_u32_e32 v95, 32, v33
	v_subrev_nc_u32_e32 v33, 28, v95
	v_sub_nc_u32_e32 v95, 29, v95
	s_delay_alu instid0(VALU_DEP_2) | instskip(NEXT) | instid1(VALU_DEP_1)
	v_lshlrev_b64 v[33:34], v33, v[7:8]
	v_and_b32_e32 v33, 7, v33
; %bb.941:                              ;   in Loop: Header=BB324_13 Depth=1
	s_or_b32 exec_lo, exec_lo, s24
	v_lshlrev_b32_e32 v7, 8, v94
	v_lshl_add_u32 v34, v95, 10, 0x2000
	s_delay_alu instid0(VALU_DEP_1) | instskip(NEXT) | instid1(VALU_DEP_1)
	v_and_or_b32 v7, 0x8000, v7, v34
	v_lshl_or_b32 v7, v33, 7, v7
	s_delay_alu instid0(VALU_DEP_1)
	v_cvt_f32_f16_e64 v136, v7
.LBB324_942:                            ;   in Loop: Header=BB324_13 Depth=1
	s_or_b32 exec_lo, exec_lo, s23
.LBB324_943:                            ;   in Loop: Header=BB324_13 Depth=1
	s_delay_alu instid0(SALU_CYCLE_1)
	s_or_b32 exec_lo, exec_lo, s22
.LBB324_944:                            ;   in Loop: Header=BB324_13 Depth=1
	s_delay_alu instid0(SALU_CYCLE_1)
	s_or_b32 exec_lo, exec_lo, s21
	flat_load_b32 v94, v[31:32] offset:3592
	v_mov_b32_e32 v107, 0
	s_mov_b32 s21, exec_lo
	s_waitcnt vmcnt(0) lgkmcnt(0)
	v_dual_mov_b32 v106, 0 :: v_dual_and_b32 v7, 0xff, v94
	s_delay_alu instid0(VALU_DEP_1)
	v_cmpx_ne_u16_e32 0, v7
	s_cbranch_execz .LBB324_952
; %bb.945:                              ;   in Loop: Header=BB324_13 Depth=1
	v_bfrev_b32_e32 v106, 1
	s_mov_b32 s22, exec_lo
	v_cmpx_ne_u16_e32 0x80, v7
	s_cbranch_execz .LBB324_951
; %bb.946:                              ;   in Loop: Header=BB324_13 Depth=1
	v_and_b32_e32 v108, 0x7f, v94
	v_mov_b32_e32 v106, 0x7fc02000
	s_mov_b32 s23, exec_lo
	s_delay_alu instid0(VALU_DEP_2)
	v_cmpx_ne_u32_e32 0x7f, v108
	s_cbranch_execz .LBB324_950
; %bb.947:                              ;   in Loop: Header=BB324_13 Depth=1
	v_and_b32_e32 v7, 7, v94
	v_lshrrev_b32_e32 v95, 3, v108
	v_mov_b32_e32 v34, v8
	s_mov_b32 s24, exec_lo
	s_delay_alu instid0(VALU_DEP_3)
	v_mov_b32_e32 v33, v7
	v_cmpx_gt_u32_e32 8, v108
; %bb.948:                              ;   in Loop: Header=BB324_13 Depth=1
	v_clz_i32_u32_e32 v33, v7
	s_delay_alu instid0(VALU_DEP_1) | instskip(NEXT) | instid1(VALU_DEP_1)
	v_min_u32_e32 v95, 32, v33
	v_subrev_nc_u32_e32 v33, 28, v95
	v_sub_nc_u32_e32 v95, 29, v95
	s_delay_alu instid0(VALU_DEP_2) | instskip(NEXT) | instid1(VALU_DEP_1)
	v_lshlrev_b64 v[33:34], v33, v[7:8]
	v_and_b32_e32 v33, 7, v33
; %bb.949:                              ;   in Loop: Header=BB324_13 Depth=1
	s_or_b32 exec_lo, exec_lo, s24
	v_lshlrev_b32_e32 v7, 8, v94
	v_lshl_add_u32 v34, v95, 10, 0x2000
	s_delay_alu instid0(VALU_DEP_1) | instskip(NEXT) | instid1(VALU_DEP_1)
	v_and_or_b32 v7, 0x8000, v7, v34
	v_lshl_or_b32 v7, v33, 7, v7
	s_delay_alu instid0(VALU_DEP_1)
	v_cvt_f32_f16_e32 v106, v7
.LBB324_950:                            ;   in Loop: Header=BB324_13 Depth=1
	s_or_b32 exec_lo, exec_lo, s23
.LBB324_951:                            ;   in Loop: Header=BB324_13 Depth=1
	s_delay_alu instid0(SALU_CYCLE_1)
	s_or_b32 exec_lo, exec_lo, s22
.LBB324_952:                            ;   in Loop: Header=BB324_13 Depth=1
	s_delay_alu instid0(SALU_CYCLE_1) | instskip(SKIP_2) | instid1(VALU_DEP_1)
	s_or_b32 exec_lo, exec_lo, s21
	v_lshrrev_b16 v7, 8, v94
	s_mov_b32 s21, exec_lo
	v_cmpx_ne_u16_e32 0, v7
	s_cbranch_execz .LBB324_960
; %bb.953:                              ;   in Loop: Header=BB324_13 Depth=1
	v_bfrev_b32_e32 v107, 1
	s_mov_b32 s22, exec_lo
	v_cmpx_ne_u16_e32 0x80, v7
	s_cbranch_execz .LBB324_959
; %bb.954:                              ;   in Loop: Header=BB324_13 Depth=1
	v_and_b32_e32 v95, 0xffff, v7
	v_mov_b32_e32 v107, 0x7fc02000
	s_mov_b32 s23, exec_lo
	s_delay_alu instid0(VALU_DEP_2) | instskip(NEXT) | instid1(VALU_DEP_1)
	v_and_b32_e32 v108, 0x7f, v95
	v_cmpx_ne_u32_e32 0x7f, v108
	s_cbranch_execz .LBB324_958
; %bb.955:                              ;   in Loop: Header=BB324_13 Depth=1
	v_and_b32_e32 v7, 7, v95
	v_lshrrev_b32_e32 v107, 3, v108
	v_mov_b32_e32 v34, v8
	s_mov_b32 s24, exec_lo
	s_delay_alu instid0(VALU_DEP_3)
	v_mov_b32_e32 v33, v7
	v_cmpx_gt_u32_e32 8, v108
; %bb.956:                              ;   in Loop: Header=BB324_13 Depth=1
	v_clz_i32_u32_e32 v33, v7
	s_delay_alu instid0(VALU_DEP_1) | instskip(NEXT) | instid1(VALU_DEP_1)
	v_min_u32_e32 v107, 32, v33
	v_subrev_nc_u32_e32 v33, 28, v107
	v_sub_nc_u32_e32 v107, 29, v107
	s_delay_alu instid0(VALU_DEP_2) | instskip(NEXT) | instid1(VALU_DEP_1)
	v_lshlrev_b64 v[33:34], v33, v[7:8]
	v_and_b32_e32 v33, 7, v33
; %bb.957:                              ;   in Loop: Header=BB324_13 Depth=1
	s_or_b32 exec_lo, exec_lo, s24
	v_lshlrev_b32_e32 v7, 8, v95
	v_lshl_add_u32 v34, v107, 10, 0x2000
	s_delay_alu instid0(VALU_DEP_1) | instskip(NEXT) | instid1(VALU_DEP_1)
	v_and_or_b32 v7, 0x8000, v7, v34
	v_lshl_or_b32 v7, v33, 7, v7
	s_delay_alu instid0(VALU_DEP_1)
	v_cvt_f32_f16_e32 v107, v7
.LBB324_958:                            ;   in Loop: Header=BB324_13 Depth=1
	s_or_b32 exec_lo, exec_lo, s23
.LBB324_959:                            ;   in Loop: Header=BB324_13 Depth=1
	s_delay_alu instid0(SALU_CYCLE_1)
	s_or_b32 exec_lo, exec_lo, s22
.LBB324_960:                            ;   in Loop: Header=BB324_13 Depth=1
	s_delay_alu instid0(SALU_CYCLE_1) | instskip(SKIP_3) | instid1(VALU_DEP_2)
	s_or_b32 exec_lo, exec_lo, s21
	v_lshrrev_b32_e32 v95, 16, v94
	v_mov_b32_e32 v123, 0
	s_mov_b32 s21, exec_lo
	v_dual_mov_b32 v122, 0 :: v_dual_and_b32 v7, 0xff, v95
	s_delay_alu instid0(VALU_DEP_1)
	v_cmpx_ne_u16_e32 0, v7
	s_cbranch_execz .LBB324_968
; %bb.961:                              ;   in Loop: Header=BB324_13 Depth=1
	v_bfrev_b32_e32 v123, 1
	s_mov_b32 s22, exec_lo
	v_cmpx_ne_u16_e32 0x80, v7
	s_cbranch_execz .LBB324_967
; %bb.962:                              ;   in Loop: Header=BB324_13 Depth=1
	v_bfe_u32 v109, v94, 16, 7
	v_mov_b32_e32 v123, 0x7fc02000
	s_mov_b32 s23, exec_lo
	s_delay_alu instid0(VALU_DEP_2)
	v_cmpx_ne_u32_e32 0x7f, v109
	s_cbranch_execz .LBB324_966
; %bb.963:                              ;   in Loop: Header=BB324_13 Depth=1
	v_and_b32_e32 v7, 7, v95
	v_lshrrev_b32_e32 v108, 3, v109
	v_mov_b32_e32 v34, v8
	s_mov_b32 s24, exec_lo
	s_delay_alu instid0(VALU_DEP_3)
	v_mov_b32_e32 v33, v7
	v_cmpx_gt_u32_e32 8, v109
; %bb.964:                              ;   in Loop: Header=BB324_13 Depth=1
	v_clz_i32_u32_e32 v33, v7
	s_delay_alu instid0(VALU_DEP_1) | instskip(NEXT) | instid1(VALU_DEP_1)
	v_min_u32_e32 v108, 32, v33
	v_subrev_nc_u32_e32 v33, 28, v108
	v_sub_nc_u32_e32 v108, 29, v108
	s_delay_alu instid0(VALU_DEP_2) | instskip(NEXT) | instid1(VALU_DEP_1)
	v_lshlrev_b64 v[33:34], v33, v[7:8]
	v_and_b32_e32 v33, 7, v33
; %bb.965:                              ;   in Loop: Header=BB324_13 Depth=1
	s_or_b32 exec_lo, exec_lo, s24
	v_lshlrev_b32_e32 v7, 8, v95
	v_lshl_add_u32 v34, v108, 10, 0x2000
	s_delay_alu instid0(VALU_DEP_1) | instskip(NEXT) | instid1(VALU_DEP_1)
	v_and_or_b32 v7, 0x8000, v7, v34
	v_lshl_or_b32 v7, v33, 7, v7
	s_delay_alu instid0(VALU_DEP_1)
	v_cvt_f32_f16_e32 v123, v7
.LBB324_966:                            ;   in Loop: Header=BB324_13 Depth=1
	s_or_b32 exec_lo, exec_lo, s23
.LBB324_967:                            ;   in Loop: Header=BB324_13 Depth=1
	s_delay_alu instid0(SALU_CYCLE_1)
	s_or_b32 exec_lo, exec_lo, s22
.LBB324_968:                            ;   in Loop: Header=BB324_13 Depth=1
	s_delay_alu instid0(SALU_CYCLE_1) | instskip(NEXT) | instid1(SALU_CYCLE_1)
	s_or_b32 exec_lo, exec_lo, s21
	s_mov_b32 s21, exec_lo
	v_cmpx_lt_u32_e32 0xffffff, v94
	s_cbranch_execz .LBB324_976
; %bb.969:                              ;   in Loop: Header=BB324_13 Depth=1
	v_lshrrev_b32_e32 v94, 24, v94
	v_bfrev_b32_e32 v122, 1
	s_mov_b32 s22, exec_lo
	s_delay_alu instid0(VALU_DEP_2)
	v_cmpx_ne_u32_e32 0x80, v94
	s_cbranch_execz .LBB324_975
; %bb.970:                              ;   in Loop: Header=BB324_13 Depth=1
	v_and_b32_e32 v108, 0x7f, v94
	v_mov_b32_e32 v122, 0x7fc02000
	s_mov_b32 s23, exec_lo
	s_delay_alu instid0(VALU_DEP_2)
	v_cmpx_ne_u32_e32 0x7f, v108
	s_cbranch_execz .LBB324_974
; %bb.971:                              ;   in Loop: Header=BB324_13 Depth=1
	v_and_b32_e32 v7, 7, v94
	v_lshrrev_b32_e32 v95, 3, v108
	v_mov_b32_e32 v34, v8
	s_mov_b32 s24, exec_lo
	s_delay_alu instid0(VALU_DEP_3)
	v_mov_b32_e32 v33, v7
	v_cmpx_gt_u32_e32 8, v108
; %bb.972:                              ;   in Loop: Header=BB324_13 Depth=1
	v_clz_i32_u32_e32 v33, v7
	s_delay_alu instid0(VALU_DEP_1) | instskip(NEXT) | instid1(VALU_DEP_1)
	v_min_u32_e32 v95, 32, v33
	v_subrev_nc_u32_e32 v33, 28, v95
	v_sub_nc_u32_e32 v95, 29, v95
	s_delay_alu instid0(VALU_DEP_2) | instskip(NEXT) | instid1(VALU_DEP_1)
	v_lshlrev_b64 v[33:34], v33, v[7:8]
	v_and_b32_e32 v33, 7, v33
; %bb.973:                              ;   in Loop: Header=BB324_13 Depth=1
	s_or_b32 exec_lo, exec_lo, s24
	v_lshlrev_b32_e32 v7, 8, v94
	v_lshl_add_u32 v34, v95, 10, 0x2000
	s_delay_alu instid0(VALU_DEP_1) | instskip(NEXT) | instid1(VALU_DEP_1)
	v_and_or_b32 v7, 0x8000, v7, v34
	v_lshl_or_b32 v7, v33, 7, v7
	s_delay_alu instid0(VALU_DEP_1)
	v_cvt_f32_f16_e32 v122, v7
.LBB324_974:                            ;   in Loop: Header=BB324_13 Depth=1
	s_or_b32 exec_lo, exec_lo, s23
.LBB324_975:                            ;   in Loop: Header=BB324_13 Depth=1
	s_delay_alu instid0(SALU_CYCLE_1)
	s_or_b32 exec_lo, exec_lo, s22
.LBB324_976:                            ;   in Loop: Header=BB324_13 Depth=1
	s_delay_alu instid0(SALU_CYCLE_1)
	s_or_b32 exec_lo, exec_lo, s21
	flat_load_b32 v186, v[31:32] offset:3840
	v_mov_b32_e32 v95, 0
	s_mov_b32 s21, exec_lo
	s_waitcnt vmcnt(0) lgkmcnt(0)
	v_dual_mov_b32 v94, 0 :: v_dual_and_b32 v7, 0xff, v186
	s_delay_alu instid0(VALU_DEP_1)
	v_cmpx_ne_u16_e32 0, v7
	s_cbranch_execz .LBB324_984
; %bb.977:                              ;   in Loop: Header=BB324_13 Depth=1
	v_bfrev_b32_e32 v95, 1
	s_mov_b32 s22, exec_lo
	v_cmpx_ne_u16_e32 0x80, v7
	s_cbranch_execz .LBB324_983
; %bb.978:                              ;   in Loop: Header=BB324_13 Depth=1
	v_and_b32_e32 v108, 0x7f, v186
	v_mov_b32_e32 v95, 0x7fc02000
	s_mov_b32 s23, exec_lo
	s_delay_alu instid0(VALU_DEP_2)
	v_cmpx_ne_u32_e32 0x7f, v108
	s_cbranch_execz .LBB324_982
; %bb.979:                              ;   in Loop: Header=BB324_13 Depth=1
	v_and_b32_e32 v7, 7, v186
	v_lshrrev_b32_e32 v95, 3, v108
	v_mov_b32_e32 v34, v8
	s_mov_b32 s24, exec_lo
	s_delay_alu instid0(VALU_DEP_3)
	v_mov_b32_e32 v33, v7
	v_cmpx_gt_u32_e32 8, v108
; %bb.980:                              ;   in Loop: Header=BB324_13 Depth=1
	v_clz_i32_u32_e32 v33, v7
	s_delay_alu instid0(VALU_DEP_1) | instskip(NEXT) | instid1(VALU_DEP_1)
	v_min_u32_e32 v95, 32, v33
	v_subrev_nc_u32_e32 v33, 28, v95
	v_sub_nc_u32_e32 v95, 29, v95
	s_delay_alu instid0(VALU_DEP_2) | instskip(NEXT) | instid1(VALU_DEP_1)
	v_lshlrev_b64 v[33:34], v33, v[7:8]
	v_and_b32_e32 v33, 7, v33
; %bb.981:                              ;   in Loop: Header=BB324_13 Depth=1
	s_or_b32 exec_lo, exec_lo, s24
	v_lshlrev_b32_e32 v7, 8, v186
	v_lshl_add_u32 v34, v95, 10, 0x2000
	s_delay_alu instid0(VALU_DEP_1) | instskip(NEXT) | instid1(VALU_DEP_1)
	v_and_or_b32 v7, 0x8000, v7, v34
	v_lshl_or_b32 v7, v33, 7, v7
	s_delay_alu instid0(VALU_DEP_1)
	v_cvt_f32_f16_e32 v95, v7
.LBB324_982:                            ;   in Loop: Header=BB324_13 Depth=1
	s_or_b32 exec_lo, exec_lo, s23
.LBB324_983:                            ;   in Loop: Header=BB324_13 Depth=1
	s_delay_alu instid0(SALU_CYCLE_1)
	s_or_b32 exec_lo, exec_lo, s22
.LBB324_984:                            ;   in Loop: Header=BB324_13 Depth=1
	s_delay_alu instid0(SALU_CYCLE_1) | instskip(SKIP_2) | instid1(VALU_DEP_1)
	s_or_b32 exec_lo, exec_lo, s21
	v_lshrrev_b16 v7, 8, v186
	s_mov_b32 s21, exec_lo
	v_cmpx_ne_u16_e32 0, v7
	s_cbranch_execz .LBB324_992
; %bb.985:                              ;   in Loop: Header=BB324_13 Depth=1
	v_bfrev_b32_e32 v94, 1
	s_mov_b32 s22, exec_lo
	v_cmpx_ne_u16_e32 0x80, v7
	s_cbranch_execz .LBB324_991
; %bb.986:                              ;   in Loop: Header=BB324_13 Depth=1
	v_and_b32_e32 v108, 0xffff, v7
	v_mov_b32_e32 v94, 0x7fc02000
	s_mov_b32 s23, exec_lo
	s_delay_alu instid0(VALU_DEP_2) | instskip(NEXT) | instid1(VALU_DEP_1)
	v_and_b32_e32 v109, 0x7f, v108
	v_cmpx_ne_u32_e32 0x7f, v109
	s_cbranch_execz .LBB324_990
; %bb.987:                              ;   in Loop: Header=BB324_13 Depth=1
	v_and_b32_e32 v7, 7, v108
	v_lshrrev_b32_e32 v94, 3, v109
	v_mov_b32_e32 v34, v8
	s_mov_b32 s24, exec_lo
	s_delay_alu instid0(VALU_DEP_3)
	v_mov_b32_e32 v33, v7
	v_cmpx_gt_u32_e32 8, v109
; %bb.988:                              ;   in Loop: Header=BB324_13 Depth=1
	v_clz_i32_u32_e32 v33, v7
	s_delay_alu instid0(VALU_DEP_1) | instskip(NEXT) | instid1(VALU_DEP_1)
	v_min_u32_e32 v94, 32, v33
	v_subrev_nc_u32_e32 v33, 28, v94
	v_sub_nc_u32_e32 v94, 29, v94
	s_delay_alu instid0(VALU_DEP_2) | instskip(NEXT) | instid1(VALU_DEP_1)
	v_lshlrev_b64 v[33:34], v33, v[7:8]
	v_and_b32_e32 v33, 7, v33
; %bb.989:                              ;   in Loop: Header=BB324_13 Depth=1
	s_or_b32 exec_lo, exec_lo, s24
	v_lshlrev_b32_e32 v7, 8, v108
	v_lshl_add_u32 v34, v94, 10, 0x2000
	s_delay_alu instid0(VALU_DEP_1) | instskip(NEXT) | instid1(VALU_DEP_1)
	v_and_or_b32 v7, 0x8000, v7, v34
	v_lshl_or_b32 v7, v33, 7, v7
	s_delay_alu instid0(VALU_DEP_1)
	v_cvt_f32_f16_e32 v94, v7
.LBB324_990:                            ;   in Loop: Header=BB324_13 Depth=1
	s_or_b32 exec_lo, exec_lo, s23
.LBB324_991:                            ;   in Loop: Header=BB324_13 Depth=1
	s_delay_alu instid0(SALU_CYCLE_1)
	s_or_b32 exec_lo, exec_lo, s22
.LBB324_992:                            ;   in Loop: Header=BB324_13 Depth=1
	s_delay_alu instid0(SALU_CYCLE_1) | instskip(SKIP_3) | instid1(VALU_DEP_2)
	s_or_b32 exec_lo, exec_lo, s21
	v_lshrrev_b32_e32 v187, 16, v186
	v_mov_b32_e32 v109, 0
	s_mov_b32 s21, exec_lo
	v_dual_mov_b32 v108, 0 :: v_dual_and_b32 v7, 0xff, v187
	s_delay_alu instid0(VALU_DEP_1)
	v_cmpx_ne_u16_e32 0, v7
	s_cbranch_execz .LBB324_1000
; %bb.993:                              ;   in Loop: Header=BB324_13 Depth=1
	v_bfrev_b32_e32 v109, 1
	s_mov_b32 s22, exec_lo
	v_cmpx_ne_u16_e32 0x80, v7
	s_cbranch_execz .LBB324_999
; %bb.994:                              ;   in Loop: Header=BB324_13 Depth=1
	v_bfe_u32 v188, v186, 16, 7
	v_mov_b32_e32 v109, 0x7fc02000
	s_mov_b32 s23, exec_lo
	s_delay_alu instid0(VALU_DEP_2)
	v_cmpx_ne_u32_e32 0x7f, v188
	s_cbranch_execz .LBB324_998
; %bb.995:                              ;   in Loop: Header=BB324_13 Depth=1
	v_and_b32_e32 v7, 7, v187
	v_lshrrev_b32_e32 v109, 3, v188
	v_mov_b32_e32 v34, v8
	s_mov_b32 s24, exec_lo
	s_delay_alu instid0(VALU_DEP_3)
	v_mov_b32_e32 v33, v7
	v_cmpx_gt_u32_e32 8, v188
; %bb.996:                              ;   in Loop: Header=BB324_13 Depth=1
	v_clz_i32_u32_e32 v33, v7
	s_delay_alu instid0(VALU_DEP_1) | instskip(NEXT) | instid1(VALU_DEP_1)
	v_min_u32_e32 v109, 32, v33
	v_subrev_nc_u32_e32 v33, 28, v109
	v_sub_nc_u32_e32 v109, 29, v109
	s_delay_alu instid0(VALU_DEP_2) | instskip(NEXT) | instid1(VALU_DEP_1)
	v_lshlrev_b64 v[33:34], v33, v[7:8]
	v_and_b32_e32 v33, 7, v33
; %bb.997:                              ;   in Loop: Header=BB324_13 Depth=1
	s_or_b32 exec_lo, exec_lo, s24
	v_lshlrev_b32_e32 v7, 8, v187
	v_lshl_add_u32 v34, v109, 10, 0x2000
	s_delay_alu instid0(VALU_DEP_1) | instskip(NEXT) | instid1(VALU_DEP_1)
	v_and_or_b32 v7, 0x8000, v7, v34
	v_lshl_or_b32 v7, v33, 7, v7
	s_delay_alu instid0(VALU_DEP_1)
	v_cvt_f32_f16_e32 v109, v7
.LBB324_998:                            ;   in Loop: Header=BB324_13 Depth=1
	s_or_b32 exec_lo, exec_lo, s23
.LBB324_999:                            ;   in Loop: Header=BB324_13 Depth=1
	s_delay_alu instid0(SALU_CYCLE_1)
	s_or_b32 exec_lo, exec_lo, s22
.LBB324_1000:                           ;   in Loop: Header=BB324_13 Depth=1
	s_delay_alu instid0(SALU_CYCLE_1) | instskip(NEXT) | instid1(SALU_CYCLE_1)
	s_or_b32 exec_lo, exec_lo, s21
	s_mov_b32 s21, exec_lo
	v_cmpx_lt_u32_e32 0xffffff, v186
	s_cbranch_execz .LBB324_1008
; %bb.1001:                             ;   in Loop: Header=BB324_13 Depth=1
	v_lshrrev_b32_e32 v186, 24, v186
	v_bfrev_b32_e32 v108, 1
	s_mov_b32 s22, exec_lo
	s_delay_alu instid0(VALU_DEP_2)
	v_cmpx_ne_u32_e32 0x80, v186
	s_cbranch_execz .LBB324_1007
; %bb.1002:                             ;   in Loop: Header=BB324_13 Depth=1
	v_and_b32_e32 v187, 0x7f, v186
	v_mov_b32_e32 v108, 0x7fc02000
	s_mov_b32 s23, exec_lo
	s_delay_alu instid0(VALU_DEP_2)
	v_cmpx_ne_u32_e32 0x7f, v187
	s_cbranch_execz .LBB324_1006
; %bb.1003:                             ;   in Loop: Header=BB324_13 Depth=1
	v_and_b32_e32 v7, 7, v186
	v_lshrrev_b32_e32 v108, 3, v187
	v_mov_b32_e32 v34, v8
	s_mov_b32 s24, exec_lo
	s_delay_alu instid0(VALU_DEP_3)
	v_mov_b32_e32 v33, v7
	v_cmpx_gt_u32_e32 8, v187
; %bb.1004:                             ;   in Loop: Header=BB324_13 Depth=1
	v_clz_i32_u32_e32 v33, v7
	s_delay_alu instid0(VALU_DEP_1) | instskip(NEXT) | instid1(VALU_DEP_1)
	v_min_u32_e32 v108, 32, v33
	v_subrev_nc_u32_e32 v33, 28, v108
	v_sub_nc_u32_e32 v108, 29, v108
	s_delay_alu instid0(VALU_DEP_2) | instskip(NEXT) | instid1(VALU_DEP_1)
	v_lshlrev_b64 v[33:34], v33, v[7:8]
	v_and_b32_e32 v33, 7, v33
; %bb.1005:                             ;   in Loop: Header=BB324_13 Depth=1
	s_or_b32 exec_lo, exec_lo, s24
	v_lshlrev_b32_e32 v7, 8, v186
	v_lshl_add_u32 v34, v108, 10, 0x2000
	s_delay_alu instid0(VALU_DEP_1) | instskip(NEXT) | instid1(VALU_DEP_1)
	v_and_or_b32 v7, 0x8000, v7, v34
	v_lshl_or_b32 v7, v33, 7, v7
	s_delay_alu instid0(VALU_DEP_1)
	v_cvt_f32_f16_e32 v108, v7
.LBB324_1006:                           ;   in Loop: Header=BB324_13 Depth=1
	s_or_b32 exec_lo, exec_lo, s23
.LBB324_1007:                           ;   in Loop: Header=BB324_13 Depth=1
	s_delay_alu instid0(SALU_CYCLE_1)
	s_or_b32 exec_lo, exec_lo, s22
.LBB324_1008:                           ;   in Loop: Header=BB324_13 Depth=1
	s_delay_alu instid0(SALU_CYCLE_1)
	s_or_b32 exec_lo, exec_lo, s21
	flat_load_b32 v186, v[31:32] offset:3848
	v_mov_b32_e32 v33, 0
	s_mov_b32 s21, exec_lo
	s_waitcnt vmcnt(0) lgkmcnt(0)
	v_dual_mov_b32 v34, 0 :: v_dual_and_b32 v7, 0xff, v186
	s_delay_alu instid0(VALU_DEP_1)
	v_cmpx_ne_u16_e32 0, v7
	s_cbranch_execz .LBB324_1016
; %bb.1009:                             ;   in Loop: Header=BB324_13 Depth=1
	v_bfrev_b32_e32 v33, 1
	s_mov_b32 s22, exec_lo
	v_cmpx_ne_u16_e32 0x80, v7
	s_cbranch_execz .LBB324_1015
; %bb.1010:                             ;   in Loop: Header=BB324_13 Depth=1
	v_and_b32_e32 v187, 0x7f, v186
	v_mov_b32_e32 v33, 0x7fc02000
	s_mov_b32 s23, exec_lo
	s_delay_alu instid0(VALU_DEP_2)
	v_cmpx_ne_u32_e32 0x7f, v187
	s_cbranch_execz .LBB324_1014
; %bb.1011:                             ;   in Loop: Header=BB324_13 Depth=1
	v_and_b32_e32 v7, 7, v186
	v_lshrrev_b32_e32 v33, 3, v187
	v_mov_b32_e32 v32, v8
	s_mov_b32 s24, exec_lo
	s_delay_alu instid0(VALU_DEP_3)
	v_mov_b32_e32 v31, v7
	v_cmpx_gt_u32_e32 8, v187
; %bb.1012:                             ;   in Loop: Header=BB324_13 Depth=1
	v_clz_i32_u32_e32 v31, v7
	s_delay_alu instid0(VALU_DEP_1) | instskip(NEXT) | instid1(VALU_DEP_1)
	v_min_u32_e32 v33, 32, v31
	v_subrev_nc_u32_e32 v31, 28, v33
	v_sub_nc_u32_e32 v33, 29, v33
	s_delay_alu instid0(VALU_DEP_2) | instskip(NEXT) | instid1(VALU_DEP_1)
	v_lshlrev_b64 v[31:32], v31, v[7:8]
	v_and_b32_e32 v31, 7, v31
; %bb.1013:                             ;   in Loop: Header=BB324_13 Depth=1
	s_or_b32 exec_lo, exec_lo, s24
	v_lshlrev_b32_e32 v7, 8, v186
	v_lshl_add_u32 v32, v33, 10, 0x2000
	s_delay_alu instid0(VALU_DEP_1) | instskip(NEXT) | instid1(VALU_DEP_1)
	v_and_or_b32 v7, 0x8000, v7, v32
	v_lshl_or_b32 v7, v31, 7, v7
	s_delay_alu instid0(VALU_DEP_1)
	v_cvt_f32_f16_e32 v33, v7
.LBB324_1014:                           ;   in Loop: Header=BB324_13 Depth=1
	s_or_b32 exec_lo, exec_lo, s23
.LBB324_1015:                           ;   in Loop: Header=BB324_13 Depth=1
	s_delay_alu instid0(SALU_CYCLE_1)
	s_or_b32 exec_lo, exec_lo, s22
.LBB324_1016:                           ;   in Loop: Header=BB324_13 Depth=1
	s_delay_alu instid0(SALU_CYCLE_1) | instskip(SKIP_2) | instid1(VALU_DEP_1)
	s_or_b32 exec_lo, exec_lo, s21
	v_lshrrev_b16 v7, 8, v186
	s_mov_b32 s21, exec_lo
	v_cmpx_ne_u16_e32 0, v7
	s_cbranch_execz .LBB324_1024
; %bb.1017:                             ;   in Loop: Header=BB324_13 Depth=1
	v_bfrev_b32_e32 v34, 1
	s_mov_b32 s22, exec_lo
	v_cmpx_ne_u16_e32 0x80, v7
	s_cbranch_execz .LBB324_1023
; %bb.1018:                             ;   in Loop: Header=BB324_13 Depth=1
	v_and_b32_e32 v187, 0xffff, v7
	v_mov_b32_e32 v34, 0x7fc02000
	s_mov_b32 s23, exec_lo
	s_delay_alu instid0(VALU_DEP_2) | instskip(NEXT) | instid1(VALU_DEP_1)
	v_and_b32_e32 v188, 0x7f, v187
	v_cmpx_ne_u32_e32 0x7f, v188
	s_cbranch_execz .LBB324_1022
; %bb.1019:                             ;   in Loop: Header=BB324_13 Depth=1
	v_and_b32_e32 v7, 7, v187
	v_lshrrev_b32_e32 v34, 3, v188
	v_mov_b32_e32 v32, v8
	s_mov_b32 s24, exec_lo
	s_delay_alu instid0(VALU_DEP_3)
	v_mov_b32_e32 v31, v7
	v_cmpx_gt_u32_e32 8, v188
; %bb.1020:                             ;   in Loop: Header=BB324_13 Depth=1
	v_clz_i32_u32_e32 v31, v7
	s_delay_alu instid0(VALU_DEP_1) | instskip(NEXT) | instid1(VALU_DEP_1)
	v_min_u32_e32 v34, 32, v31
	v_subrev_nc_u32_e32 v31, 28, v34
	v_sub_nc_u32_e32 v34, 29, v34
	s_delay_alu instid0(VALU_DEP_2) | instskip(NEXT) | instid1(VALU_DEP_1)
	v_lshlrev_b64 v[31:32], v31, v[7:8]
	v_and_b32_e32 v31, 7, v31
; %bb.1021:                             ;   in Loop: Header=BB324_13 Depth=1
	s_or_b32 exec_lo, exec_lo, s24
	v_lshlrev_b32_e32 v7, 8, v187
	v_lshl_add_u32 v32, v34, 10, 0x2000
	s_delay_alu instid0(VALU_DEP_1) | instskip(NEXT) | instid1(VALU_DEP_1)
	v_and_or_b32 v7, 0x8000, v7, v32
	v_lshl_or_b32 v7, v31, 7, v7
	s_delay_alu instid0(VALU_DEP_1)
	v_cvt_f32_f16_e32 v34, v7
.LBB324_1022:                           ;   in Loop: Header=BB324_13 Depth=1
	s_or_b32 exec_lo, exec_lo, s23
.LBB324_1023:                           ;   in Loop: Header=BB324_13 Depth=1
	s_delay_alu instid0(SALU_CYCLE_1)
	s_or_b32 exec_lo, exec_lo, s22
.LBB324_1024:                           ;   in Loop: Header=BB324_13 Depth=1
	s_delay_alu instid0(SALU_CYCLE_1) | instskip(SKIP_3) | instid1(VALU_DEP_2)
	s_or_b32 exec_lo, exec_lo, s21
	v_lshrrev_b32_e32 v189, 16, v186
	v_mov_b32_e32 v187, 0
	s_mov_b32 s21, exec_lo
	v_dual_mov_b32 v188, 0 :: v_dual_and_b32 v7, 0xff, v189
	s_delay_alu instid0(VALU_DEP_1)
	v_cmpx_ne_u16_e32 0, v7
	s_cbranch_execz .LBB324_1032
; %bb.1025:                             ;   in Loop: Header=BB324_13 Depth=1
	v_bfrev_b32_e32 v188, 1
	s_mov_b32 s22, exec_lo
	v_cmpx_ne_u16_e32 0x80, v7
	s_cbranch_execz .LBB324_1031
; %bb.1026:                             ;   in Loop: Header=BB324_13 Depth=1
	v_bfe_u32 v190, v186, 16, 7
	v_mov_b32_e32 v188, 0x7fc02000
	s_mov_b32 s23, exec_lo
	s_delay_alu instid0(VALU_DEP_2)
	v_cmpx_ne_u32_e32 0x7f, v190
	s_cbranch_execz .LBB324_1030
; %bb.1027:                             ;   in Loop: Header=BB324_13 Depth=1
	v_and_b32_e32 v7, 7, v189
	v_lshrrev_b32_e32 v188, 3, v190
	v_mov_b32_e32 v32, v8
	s_mov_b32 s24, exec_lo
	s_delay_alu instid0(VALU_DEP_3)
	v_mov_b32_e32 v31, v7
	v_cmpx_gt_u32_e32 8, v190
; %bb.1028:                             ;   in Loop: Header=BB324_13 Depth=1
	v_clz_i32_u32_e32 v31, v7
	s_delay_alu instid0(VALU_DEP_1) | instskip(NEXT) | instid1(VALU_DEP_1)
	v_min_u32_e32 v188, 32, v31
	v_subrev_nc_u32_e32 v31, 28, v188
	v_sub_nc_u32_e32 v188, 29, v188
	s_delay_alu instid0(VALU_DEP_2) | instskip(NEXT) | instid1(VALU_DEP_1)
	v_lshlrev_b64 v[31:32], v31, v[7:8]
	v_and_b32_e32 v31, 7, v31
; %bb.1029:                             ;   in Loop: Header=BB324_13 Depth=1
	s_or_b32 exec_lo, exec_lo, s24
	v_lshlrev_b32_e32 v7, 8, v189
	v_lshl_add_u32 v32, v188, 10, 0x2000
	s_delay_alu instid0(VALU_DEP_1) | instskip(NEXT) | instid1(VALU_DEP_1)
	v_and_or_b32 v7, 0x8000, v7, v32
	v_lshl_or_b32 v7, v31, 7, v7
	s_delay_alu instid0(VALU_DEP_1)
	v_cvt_f32_f16_e64 v188, v7
.LBB324_1030:                           ;   in Loop: Header=BB324_13 Depth=1
	s_or_b32 exec_lo, exec_lo, s23
.LBB324_1031:                           ;   in Loop: Header=BB324_13 Depth=1
	s_delay_alu instid0(SALU_CYCLE_1)
	s_or_b32 exec_lo, exec_lo, s22
.LBB324_1032:                           ;   in Loop: Header=BB324_13 Depth=1
	s_delay_alu instid0(SALU_CYCLE_1) | instskip(NEXT) | instid1(SALU_CYCLE_1)
	s_or_b32 exec_lo, exec_lo, s21
	s_mov_b32 s21, exec_lo
	v_cmpx_lt_u32_e32 0xffffff, v186
	s_cbranch_execz .LBB324_1040
; %bb.1033:                             ;   in Loop: Header=BB324_13 Depth=1
	v_lshrrev_b32_e32 v186, 24, v186
	v_bfrev_b32_e32 v187, 1
	s_mov_b32 s22, exec_lo
	s_delay_alu instid0(VALU_DEP_2)
	v_cmpx_ne_u32_e32 0x80, v186
	s_cbranch_execz .LBB324_1039
; %bb.1034:                             ;   in Loop: Header=BB324_13 Depth=1
	v_and_b32_e32 v189, 0x7f, v186
	v_mov_b32_e32 v187, 0x7fc02000
	s_mov_b32 s23, exec_lo
	s_delay_alu instid0(VALU_DEP_2)
	v_cmpx_ne_u32_e32 0x7f, v189
	s_cbranch_execz .LBB324_1038
; %bb.1035:                             ;   in Loop: Header=BB324_13 Depth=1
	v_and_b32_e32 v7, 7, v186
	v_lshrrev_b32_e32 v187, 3, v189
	v_mov_b32_e32 v32, v8
	s_mov_b32 s24, exec_lo
	s_delay_alu instid0(VALU_DEP_3)
	v_mov_b32_e32 v31, v7
	v_cmpx_gt_u32_e32 8, v189
; %bb.1036:                             ;   in Loop: Header=BB324_13 Depth=1
	v_clz_i32_u32_e32 v31, v7
	s_delay_alu instid0(VALU_DEP_1) | instskip(NEXT) | instid1(VALU_DEP_1)
	v_min_u32_e32 v187, 32, v31
	v_subrev_nc_u32_e32 v31, 28, v187
	v_sub_nc_u32_e32 v187, 29, v187
	s_delay_alu instid0(VALU_DEP_2) | instskip(NEXT) | instid1(VALU_DEP_1)
	v_lshlrev_b64 v[31:32], v31, v[7:8]
	v_and_b32_e32 v31, 7, v31
; %bb.1037:                             ;   in Loop: Header=BB324_13 Depth=1
	s_or_b32 exec_lo, exec_lo, s24
	v_lshlrev_b32_e32 v7, 8, v186
	v_lshl_add_u32 v32, v187, 10, 0x2000
	s_delay_alu instid0(VALU_DEP_1) | instskip(NEXT) | instid1(VALU_DEP_1)
	v_and_or_b32 v7, 0x8000, v7, v32
	v_lshl_or_b32 v7, v31, 7, v7
	s_delay_alu instid0(VALU_DEP_1)
	v_cvt_f32_f16_e64 v187, v7
.LBB324_1038:                           ;   in Loop: Header=BB324_13 Depth=1
	s_or_b32 exec_lo, exec_lo, s23
.LBB324_1039:                           ;   in Loop: Header=BB324_13 Depth=1
	s_delay_alu instid0(SALU_CYCLE_1)
	s_or_b32 exec_lo, exec_lo, s22
.LBB324_1040:                           ;   in Loop: Header=BB324_13 Depth=1
	s_delay_alu instid0(SALU_CYCLE_1) | instskip(NEXT) | instid1(VALU_DEP_1)
	s_or_b32 exec_lo, exec_lo, s21
	v_fma_mixlo_f16 v32, v85, v187, 0
	ds_load_b64 v[186:187], v70
	v_fma_mixlo_f16 v7, v85, v108, 0
	v_fma_mixlo_f16 v108, v85, v107, 0
	;; [unrolled: 1-line block ×127, first 2 shown]
	s_waitcnt lgkmcnt(0)
	v_lshrrev_b32_e32 v85, 16, v186
	v_and_b32_e32 v96, 0xffff, v186
	;;#ASMSTART
	v_cvt_f32_f16 v186, v96;
	;;#ASMEND
	;;#ASMSTART
	v_cvt_f32_f16 v188, v85;
	;;#ASMEND
	v_and_b32_e32 v85, 0xffff, v101
	;;#ASMSTART
	v_cvt_f32_f16 v101, v85;
	;;#ASMEND
	v_and_b32_e32 v85, 0xffff, v100
	;;#ASMSTART
	v_cvt_f32_f16 v100, v85;
	;;#ASMEND
	v_lshrrev_b32_e32 v85, 16, v187
	v_and_b32_e32 v96, 0xffff, v187
	;;#ASMSTART
	v_cvt_f32_f16 v187, v96;
	;;#ASMEND
	;;#ASMSTART
	v_cvt_f32_f16 v189, v85;
	;;#ASMEND
	v_and_b32_e32 v85, 0xffff, v97
	;;#ASMSTART
	v_cvt_f32_f16 v190, v85;
	;;#ASMEND
	v_and_b32_e32 v85, 0xffff, v87
	;;#ASMSTART
	v_cvt_f32_f16 v191, v85;
	;;#ASMEND
	ds_load_b64 v[96:97], v70 offset:8
	v_and_b32_e32 v112, 0xffff, v112
	v_and_b32_e32 v98, 0xffff, v98
	;; [unrolled: 1-line block ×7, first 2 shown]
	s_waitcnt lgkmcnt(0)
	v_lshrrev_b32_e32 v85, 16, v96
	v_and_b32_e32 v87, 0xffff, v96
	;;#ASMSTART
	v_cvt_f32_f16 v87, v87;
	;;#ASMEND
	;;#ASMSTART
	v_cvt_f32_f16 v96, v85;
	;;#ASMEND
	v_and_b32_e32 v85, 0xffff, v113
	;;#ASMSTART
	v_cvt_f32_f16 v85, v85;
	;;#ASMEND
	;;#ASMSTART
	v_cvt_f32_f16 v112, v112;
	;;#ASMEND
	s_delay_alu instid0(VALU_DEP_1)
	v_mul_f32_e32 v85, v87, v85
	v_mul_f32_e32 v87, v96, v112
	v_lshrrev_b32_e32 v96, 16, v97
	v_and_b32_e32 v97, 0xffff, v97
	;;#ASMSTART
	v_cvt_f32_f16 v97, v97;
	;;#ASMEND
	v_fmac_f32_e32 v85, v186, v101
	v_fmac_f32_e32 v87, v188, v100
	;;#ASMSTART
	v_cvt_f32_f16 v100, v96;
	;;#ASMEND
	v_and_b32_e32 v96, 0xffff, v99
	;;#ASMSTART
	v_cvt_f32_f16 v96, v96;
	;;#ASMEND
	;;#ASMSTART
	v_cvt_f32_f16 v98, v98;
	;;#ASMEND
	s_delay_alu instid0(VALU_DEP_1)
	v_dual_mul_f32 v96, v97, v96 :: v_dual_mul_f32 v97, v100, v98
	ds_load_b64 v[98:99], v70 offset:16
	v_dual_fmac_f32 v96, v187, v190 :: v_dual_and_b32 v101, 0xffff, v117
	v_fmac_f32_e32 v97, v189, v191
	s_waitcnt lgkmcnt(0)
	v_lshrrev_b32_e32 v100, 16, v98
	v_and_b32_e32 v98, 0xffff, v98
	;;#ASMSTART
	v_cvt_f32_f16 v98, v98;
	;;#ASMEND
	;;#ASMSTART
	v_cvt_f32_f16 v100, v100;
	;;#ASMEND
	;;#ASMSTART
	v_cvt_f32_f16 v101, v101;
	;;#ASMEND
	s_delay_alu instid0(VALU_DEP_1) | instskip(SKIP_3) | instid1(VALU_DEP_3)
	v_dual_fmac_f32 v85, v98, v101 :: v_dual_and_b32 v112, 0xffff, v116
	v_lshrrev_b32_e32 v98, 16, v99
	v_and_b32_e32 v99, 0xffff, v99
	;;#ASMSTART
	v_cvt_f32_f16 v112, v112;
	;;#ASMEND
	v_dual_fmac_f32 v87, v100, v112 :: v_dual_and_b32 v100, 0xffff, v103
	;;#ASMSTART
	v_cvt_f32_f16 v99, v99;
	;;#ASMEND
	;;#ASMSTART
	v_cvt_f32_f16 v98, v98;
	;;#ASMEND
	v_and_b32_e32 v101, 0xffff, v102
	;;#ASMSTART
	v_cvt_f32_f16 v100, v100;
	;;#ASMEND
	;;#ASMSTART
	v_cvt_f32_f16 v101, v101;
	;;#ASMEND
	s_delay_alu instid0(VALU_DEP_1)
	v_dual_fmac_f32 v96, v99, v100 :: v_dual_fmac_f32 v97, v98, v101
	ds_load_b64 v[98:99], v70 offset:24
	v_and_b32_e32 v101, 0xffff, v129
	s_waitcnt lgkmcnt(0)
	v_lshrrev_b32_e32 v100, 16, v98
	v_and_b32_e32 v98, 0xffff, v98
	;;#ASMSTART
	v_cvt_f32_f16 v98, v98;
	;;#ASMEND
	;;#ASMSTART
	v_cvt_f32_f16 v100, v100;
	;;#ASMEND
	;;#ASMSTART
	v_cvt_f32_f16 v101, v101;
	;;#ASMEND
	s_delay_alu instid0(VALU_DEP_1) | instskip(SKIP_3) | instid1(VALU_DEP_3)
	v_dual_fmac_f32 v85, v98, v101 :: v_dual_and_b32 v102, 0xffff, v128
	v_lshrrev_b32_e32 v98, 16, v99
	v_and_b32_e32 v99, 0xffff, v99
	;;#ASMSTART
	v_cvt_f32_f16 v102, v102;
	;;#ASMEND
	v_dual_fmac_f32 v87, v100, v102 :: v_dual_and_b32 v100, 0xffff, v115
	;;#ASMSTART
	v_cvt_f32_f16 v99, v99;
	;;#ASMEND
	;;#ASMSTART
	v_cvt_f32_f16 v98, v98;
	;;#ASMEND
	v_and_b32_e32 v101, 0xffff, v114
	;;#ASMSTART
	v_cvt_f32_f16 v100, v100;
	;;#ASMEND
	;;#ASMSTART
	v_cvt_f32_f16 v101, v101;
	;;#ASMEND
	s_delay_alu instid0(VALU_DEP_1)
	v_dual_fmac_f32 v96, v99, v100 :: v_dual_fmac_f32 v97, v98, v101
	ds_load_b64 v[98:99], v70 offset:32
	v_and_b32_e32 v101, 0xffff, v133
	;; [unrolled: 37-line block ×28, first 2 shown]
	s_waitcnt lgkmcnt(0)
	v_lshrrev_b32_e32 v100, 16, v98
	v_and_b32_e32 v98, 0xffff, v98
	;;#ASMSTART
	v_cvt_f32_f16 v98, v98;
	;;#ASMEND
	;;#ASMSTART
	v_cvt_f32_f16 v100, v100;
	;;#ASMEND
	;;#ASMSTART
	v_cvt_f32_f16 v101, v101;
	;;#ASMEND
	s_delay_alu instid0(VALU_DEP_1)
	v_dual_fmac_f32 v85, v98, v101 :: v_dual_and_b32 v102, 0xffff, v94
	v_lshrrev_b32_e32 v98, 16, v99
	v_and_b32_e32 v99, 0xffff, v99
	;;#ASMSTART
	v_cvt_f32_f16 v102, v102;
	;;#ASMEND
	;;#ASMSTART
	v_cvt_f32_f16 v99, v99;
	;;#ASMEND
	;; [unrolled: 3-line block ×5, first 2 shown]
	v_fmac_f32_e32 v96, v99, v31
	v_fmac_f32_e32 v97, v98, v7
	ds_load_b64 v[98:99], v70 offset:248
	v_fmac_f32_e32 v87, v100, v102
	v_and_b32_e32 v34, 0xffff, v34
	s_waitcnt lgkmcnt(0)
	v_and_b32_e32 v31, 0xffff, v98
	v_lshrrev_b32_e32 v7, 16, v98
	;;#ASMSTART
	v_cvt_f32_f16 v31, v31;
	;;#ASMEND
	;;#ASMSTART
	v_cvt_f32_f16 v7, v7;
	;;#ASMEND
	;; [unrolled: 3-line block ×3, first 2 shown]
	v_fmac_f32_e32 v85, v31, v86
	v_and_b32_e32 v31, 0xffff, v99
	;;#ASMSTART
	v_cvt_f32_f16 v34, v34;
	;;#ASMEND
	v_fmac_f32_e32 v87, v7, v34
	v_lshrrev_b32_e32 v7, 16, v99
	;;#ASMSTART
	v_cvt_f32_f16 v31, v31;
	;;#ASMEND
	;;#ASMSTART
	v_cvt_f32_f16 v7, v7;
	;;#ASMEND
	;; [unrolled: 3-line block ×3, first 2 shown]
	v_fmac_f32_e32 v96, v31, v33
	v_xor_b32_e32 v31, 1, v66
	;;#ASMSTART
	v_cvt_f32_f16 v32, v32;
	;;#ASMEND
	v_fmac_f32_e32 v97, v7, v32
	v_add_f32_e32 v7, v85, v87
	s_delay_alu instid0(VALU_DEP_3) | instskip(NEXT) | instid1(VALU_DEP_2)
	v_cmp_gt_i32_e64 s3, 32, v31
	v_add_f32_e32 v7, v7, v96
	s_delay_alu instid0(VALU_DEP_2) | instskip(NEXT) | instid1(VALU_DEP_2)
	v_cndmask_b32_e64 v31, v66, v31, s3
	v_add_f32_e32 v7, v97, v7
	s_delay_alu instid0(VALU_DEP_2)
	v_lshlrev_b32_e32 v31, 2, v31
	ds_bpermute_b32 v31, v31, v7
	s_and_saveexec_b32 s21, vcc_lo
	s_cbranch_execz .LBB324_11
; %bb.1041:                             ;   in Loop: Header=BB324_13 Depth=1
	s_waitcnt lgkmcnt(0)
	v_add_f32_e32 v7, v7, v31
	v_add_nc_u32_e32 v32, v82, v71
	s_load_b32 s22, s[8:9], 0x0
	s_delay_alu instid0(VALU_DEP_1) | instskip(NEXT) | instid1(VALU_DEP_1)
	v_cvt_f32_i32_e32 v32, v32
	v_mul_f32_e32 v32, v65, v32
	s_delay_alu instid0(VALU_DEP_1) | instskip(SKIP_1) | instid1(VALU_DEP_2)
	v_cndmask_b32_e64 v31, 0, v32, s2
	v_max_f32_e32 v32, v67, v67
	v_fmac_f32_e32 v31, v7, v13
	v_add_nc_u32_e32 v7, v69, v71
	s_delay_alu instid0(VALU_DEP_2) | instskip(NEXT) | instid1(VALU_DEP_2)
	v_max_f32_e32 v32, v32, v31
	v_cmp_lt_i32_e64 s3, v7, v38
	s_waitcnt lgkmcnt(0)
	v_add_nc_u32_e32 v7, s22, v81
	s_delay_alu instid0(VALU_DEP_2)
	v_cndmask_b32_e64 v31, 0, v31, s3
	v_cndmask_b32_e64 v67, v67, v32, s3
	ds_store_b32 v7, v31
	s_branch .LBB324_11
.LBB324_1042:
	s_or_b32 exec_lo, exec_lo, s20
.LBB324_1043:
	s_delay_alu instid0(SALU_CYCLE_1)
	s_or_b32 exec_lo, exec_lo, s19
	v_xor_b32_e32 v7, 16, v66
	v_xor_b32_e32 v8, 8, v66
	s_waitcnt lgkmcnt(0)
	s_lshr_b32 s8, s18, 16
	v_and_b32_e32 v20, 31, v36
	v_lshlrev_b32_e32 v28, 2, v48
	v_cmp_gt_i32_e32 vcc_lo, 32, v7
	v_cndmask_b32_e32 v7, v66, v7, vcc_lo
	v_cmp_gt_i32_e32 vcc_lo, 32, v8
	v_dual_max_f32 v9, v67, v67 :: v_dual_cndmask_b32 v8, v66, v8
	s_delay_alu instid0(VALU_DEP_1) | instskip(NEXT) | instid1(VALU_DEP_4)
	v_lshlrev_b32_e32 v24, 2, v8
	v_lshlrev_b32_e32 v13, 2, v7
	ds_bpermute_b32 v7, v13, v67
	s_waitcnt lgkmcnt(0)
	v_max_f32_e32 v7, v7, v7
	s_delay_alu instid0(VALU_DEP_1) | instskip(SKIP_4) | instid1(VALU_DEP_1)
	v_max_f32_e32 v7, v9, v7
	v_xor_b32_e32 v9, 4, v66
	ds_bpermute_b32 v8, v24, v7
	v_cmp_gt_i32_e32 vcc_lo, 32, v9
	v_cndmask_b32_e32 v9, v66, v9, vcc_lo
	v_lshlrev_b32_e32 v25, 2, v9
	v_xor_b32_e32 v9, 2, v66
	s_delay_alu instid0(VALU_DEP_1) | instskip(SKIP_3) | instid1(VALU_DEP_2)
	v_cmp_gt_i32_e32 vcc_lo, 32, v9
	s_waitcnt lgkmcnt(0)
	v_dual_max_f32 v8, v8, v8 :: v_dual_cndmask_b32 v9, v66, v9
	v_cmp_eq_u32_e32 vcc_lo, 0, v20
	v_max_f32_e32 v7, v7, v8
	s_delay_alu instid0(VALU_DEP_3) | instskip(SKIP_3) | instid1(VALU_DEP_1)
	v_lshlrev_b32_e32 v9, 2, v9
	ds_bpermute_b32 v8, v25, v7
	s_waitcnt lgkmcnt(0)
	v_max_f32_e32 v8, v8, v8
	v_max_f32_e32 v7, v7, v8
	ds_bpermute_b32 v8, v9, v7
	s_and_saveexec_b32 s2, vcc_lo
	s_cbranch_execz .LBB324_1045
; %bb.1044:
	s_waitcnt lgkmcnt(0)
	v_dual_max_f32 v8, v8, v8 :: v_dual_max_f32 v7, v7, v7
	s_delay_alu instid0(VALU_DEP_1)
	v_max_f32_e32 v7, v7, v8
	ds_store_b32 v28, v7 offset:512
.LBB324_1045:
	s_or_b32 exec_lo, exec_lo, s2
	v_cmp_gt_u32_e64 s2, 4, v20
	v_mov_b32_e32 v7, 0xff7fffff
	v_lshlrev_b32_e32 v29, 2, v20
	s_waitcnt lgkmcnt(0)
	s_barrier
	buffer_gl0_inv
	s_and_saveexec_b32 s3, s2
	s_cbranch_execz .LBB324_1047
; %bb.1046:
	ds_load_b32 v7, v29 offset:512
.LBB324_1047:
	s_or_b32 exec_lo, exec_lo, s3
	s_waitcnt lgkmcnt(0)
	ds_bpermute_b32 v8, v9, v7
	v_xor_b32_e32 v21, 1, v66
	v_max_f32_e32 v7, v7, v7
	v_subrev_nc_u32_e32 v32, s13, v51
	v_mov_b32_e32 v31, 0
	s_delay_alu instid0(VALU_DEP_4) | instskip(NEXT) | instid1(VALU_DEP_1)
	v_cmp_gt_i32_e64 s3, 32, v21
	v_cndmask_b32_e64 v21, v66, v21, s3
	s_waitcnt lgkmcnt(0)
	s_delay_alu instid0(VALU_DEP_1) | instskip(NEXT) | instid1(VALU_DEP_1)
	v_dual_max_f32 v8, v8, v8 :: v_dual_lshlrev_b32 v21, 2, v21
	v_max_f32_e32 v7, v7, v8
	ds_bpermute_b32 v8, v21, v7
	s_waitcnt lgkmcnt(0)
	v_max_f32_e32 v8, v8, v8
	s_delay_alu instid0(VALU_DEP_1) | instskip(SKIP_3) | instid1(VALU_DEP_1)
	v_max_f32_e32 v7, v7, v8
	v_lshl_add_u32 v8, v32, 4, s15
	ds_bpermute_b32 v7, v31, v7
	v_min_i32_e32 v8, v8, v38
	v_subrev_nc_u32_e32 v8, s15, v8
	s_delay_alu instid0(VALU_DEP_1) | instskip(NEXT) | instid1(VALU_DEP_1)
	v_cmp_lt_i32_e64 s3, v36, v8
	s_and_saveexec_b32 s9, s3
	s_cbranch_execz .LBB324_1051
; %bb.1048:
	s_getpc_b64 s[18:19]
	s_add_u32 s18, s18, llvm.amdgcn.dynlds.offset.table@rel32@lo+4
	s_addc_u32 s19, s19, llvm.amdgcn.dynlds.offset.table@rel32@hi+12
	s_ashr_i32 s11, s10, 31
	v_mov_b32_e32 v31, 0
	s_lshl_b64 s[20:21], s[10:11], 2
	v_mov_b32_e32 v33, v36
	s_add_u32 s18, s20, s18
	s_addc_u32 s19, s21, s19
	s_mov_b32 s11, 0
	s_load_b32 s4, s[18:19], 0x0
	s_waitcnt lgkmcnt(0)
	v_lshl_add_u32 v32, v36, 2, s4
	.p2align	6
.LBB324_1049:                           ; =>This Inner Loop Header: Depth=1
	ds_load_b32 v34, v32
	v_add_nc_u32_e32 v33, 0x80, v33
	s_delay_alu instid0(VALU_DEP_1) | instskip(NEXT) | instid1(VALU_DEP_1)
	v_cmp_ge_i32_e64 s4, v33, v8
	s_or_b32 s11, s4, s11
	s_waitcnt lgkmcnt(0)
	v_sub_f32_e32 v34, v34, v7
	s_delay_alu instid0(VALU_DEP_1) | instskip(NEXT) | instid1(VALU_DEP_1)
	v_mul_f32_e32 v34, 0x3fb8aa3b, v34
	v_exp_f32_e32 v34, v34
	ds_store_b32 v32, v34
	v_dual_add_f32 v31, v31, v34 :: v_dual_add_nc_u32 v32, 0x200, v32
	s_and_not1_b32 exec_lo, exec_lo, s11
	s_cbranch_execnz .LBB324_1049
; %bb.1050:
	s_or_b32 exec_lo, exec_lo, s11
.LBB324_1051:
	s_delay_alu instid0(SALU_CYCLE_1)
	s_or_b32 exec_lo, exec_lo, s9
	ds_bpermute_b32 v13, v13, v31
	s_waitcnt lgkmcnt(0)
	v_add_f32_e32 v13, v31, v13
	ds_bpermute_b32 v24, v24, v13
	s_waitcnt lgkmcnt(0)
	v_add_f32_e32 v13, v13, v24
	;; [unrolled: 3-line block ×5, first 2 shown]
	s_and_saveexec_b32 s4, vcc_lo
	s_cbranch_execz .LBB324_1053
; %bb.1052:
	ds_store_b32 v28, v13 offset:528
.LBB324_1053:
	s_or_b32 exec_lo, exec_lo, s4
	s_waitcnt lgkmcnt(0)
	s_barrier
	buffer_gl0_inv
	s_and_saveexec_b32 s4, s2
	s_cbranch_execz .LBB324_1055
; %bb.1054:
	ds_load_b32 v13, v29 offset:528
.LBB324_1055:
	s_or_b32 exec_lo, exec_lo, s4
	s_waitcnt lgkmcnt(0)
	ds_bpermute_b32 v9, v9, v13
	s_waitcnt lgkmcnt(0)
	v_add_f32_e32 v9, v13, v9
	ds_bpermute_b32 v13, v21, v9
	s_waitcnt lgkmcnt(0)
	v_add_f32_e32 v9, v9, v13
	v_mov_b32_e32 v13, 0
	ds_bpermute_b32 v9, v13, v9
	s_and_saveexec_b32 s2, s3
	s_cbranch_execz .LBB324_1058
; %bb.1056:
	s_waitcnt lgkmcnt(0)
	v_add_f32_e32 v24, 0x358637bd, v9
	s_getpc_b64 s[18:19]
	s_add_u32 s18, s18, llvm.amdgcn.dynlds.offset.table@rel32@lo+4
	s_addc_u32 s19, s19, llvm.amdgcn.dynlds.offset.table@rel32@hi+12
	s_ashr_i32 s11, s10, 31
	s_delay_alu instid0(SALU_CYCLE_1) | instskip(SKIP_3) | instid1(VALU_DEP_2)
	s_lshl_b64 s[20:21], s[10:11], 2
	v_div_scale_f32 v13, null, v24, v24, 1.0
	v_div_scale_f32 v29, vcc_lo, 1.0, v24, 1.0
	s_add_u32 s18, s20, s18
	v_rcp_f32_e32 v25, v13
	s_addc_u32 s19, s21, s19
	s_load_b32 s3, s[18:19], 0x0
	s_waitcnt_depctr 0xfff
	v_fma_f32 v28, -v13, v25, 1.0
	s_delay_alu instid0(VALU_DEP_1) | instskip(NEXT) | instid1(VALU_DEP_1)
	v_fmac_f32_e32 v25, v28, v25
	v_mul_f32_e32 v28, v29, v25
	s_delay_alu instid0(VALU_DEP_1) | instskip(NEXT) | instid1(VALU_DEP_1)
	v_fma_f32 v31, -v13, v28, v29
	v_fmac_f32_e32 v28, v31, v25
	s_delay_alu instid0(VALU_DEP_1) | instskip(NEXT) | instid1(VALU_DEP_1)
	v_fma_f32 v13, -v13, v28, v29
	v_div_fmas_f32 v25, v13, v25, v28
	s_waitcnt lgkmcnt(0)
	v_lshl_add_u32 v13, v36, 2, s3
	s_mov_b32 s3, 0
	s_delay_alu instid0(VALU_DEP_2)
	v_div_fixup_f32 v24, v25, v24, 1.0
	v_mov_b32_e32 v25, v36
.LBB324_1057:                           ; =>This Inner Loop Header: Depth=1
	ds_load_b32 v28, v13
	s_waitcnt lgkmcnt(0)
	v_dual_mul_f32 v28, v24, v28 :: v_dual_add_nc_u32 v25, 0x80, v25
	s_delay_alu instid0(VALU_DEP_1) | instskip(SKIP_3) | instid1(SALU_CYCLE_1)
	v_cmp_ge_i32_e32 vcc_lo, v25, v8
	ds_store_b32 v13, v28
	v_add_nc_u32_e32 v13, 0x200, v13
	s_or_b32 s3, vcc_lo, s3
	s_and_not1_b32 exec_lo, exec_lo, s3
	s_cbranch_execnz .LBB324_1057
.LBB324_1058:
	s_or_b32 exec_lo, exec_lo, s2
	v_cmp_ne_u16_e64 s2, s8, 0
	s_mov_b32 s4, exec_lo
	s_waitcnt lgkmcnt(0)
	s_barrier
	buffer_gl0_inv
	s_cmp_lg_u32 s2, 0
	s_addc_u32 s7, s7, 0
	s_delay_alu instid0(SALU_CYCLE_1) | instskip(NEXT) | instid1(SALU_CYCLE_1)
	s_mul_i32 s2, s7, s16
	s_mul_i32 s2, s2, s5
	v_cmpx_eq_u32_e32 0, v36
	s_cbranch_execz .LBB324_1060
; %bb.1059:
	s_mul_i32 s8, s7, s12
	s_ashr_i32 s15, s14, 31
	s_ashr_i32 s9, s8, 31
	;; [unrolled: 1-line block ×3, first 2 shown]
	s_lshl_b64 s[8:9], s[8:9], 2
	s_lshl_b64 s[12:13], s[14:15], 2
	;; [unrolled: 1-line block ×3, first 2 shown]
	s_add_u32 s3, s12, s8
	s_addc_u32 s5, s13, s9
	s_add_u32 s3, s3, s18
	s_addc_u32 s5, s5, s19
	v_add_co_u32 v2, vcc_lo, s3, v2
	v_add_co_ci_u32_e32 v3, vcc_lo, s5, v3, vcc_lo
	v_add_co_u32 v0, vcc_lo, s3, v0
	v_add_co_ci_u32_e32 v1, vcc_lo, s5, v1, vcc_lo
	flat_store_b32 v[2:3], v7
	flat_store_b32 v[0:1], v9
.LBB324_1060:
	s_or_b32 exec_lo, exec_lo, s4
	s_ashr_i32 s11, s10, 31
	s_getpc_b64 s[4:5]
	s_add_u32 s4, s4, llvm.amdgcn.dynlds.offset.table@rel32@lo+4
	s_addc_u32 s5, s5, llvm.amdgcn.dynlds.offset.table@rel32@hi+12
	s_lshl_b64 s[8:9], s[10:11], 2
	v_dual_mov_b32 v80, 0 :: v_dual_mov_b32 v71, 0
	v_dual_mov_b32 v70, 0 :: v_dual_mov_b32 v69, 0
	;; [unrolled: 1-line block ×8, first 2 shown]
	s_add_u32 s4, s8, s4
	s_addc_u32 s5, s9, s5
	s_mov_b32 s10, 0
	s_and_saveexec_b32 s3, s1
	s_cbranch_execz .LBB324_2122
; %bb.1061:
	v_max_i32_e32 v30, v30, v55
	v_add_co_u32 v2, vcc_lo, v10, v12
	v_add_co_ci_u32_e32 v3, vcc_lo, v11, v64, vcc_lo
	s_delay_alu instid0(VALU_DEP_3) | instskip(SKIP_3) | instid1(VALU_DEP_3)
	v_cvt_f32_u32_e32 v0, v30
	v_sub_nc_u32_e32 v11, 0, v30
	s_load_b32 s1, s[4:5], 0x0
	v_dual_mov_b32 v24, 0 :: v_dual_and_b32 v9, 0xf8, v53
	v_rcp_iflag_f32_e32 v0, v0
	v_and_b32_e32 v55, 8, v53
	v_lshlrev_b64 v[7:8], 2, v[16:17]
	v_dual_mov_b32 v53, v38 :: v_dual_lshlrev_b32 v10, 5, v37
	v_add_co_u32 v2, vcc_lo, v2, v9
	v_add_co_ci_u32_e32 v3, vcc_lo, 0, v3, vcc_lo
	s_delay_alu instid0(VALU_DEP_4) | instskip(NEXT) | instid1(TRANS32_DEP_1)
	v_add_co_u32 v7, vcc_lo, v18, v7
	v_mul_f32_e32 v0, 0x4f7ffffe, v0
	v_add_co_ci_u32_e32 v8, vcc_lo, v19, v8, vcc_lo
	v_lshl_or_b32 v10, v48, 6, v10
	s_delay_alu instid0(VALU_DEP_4) | instskip(NEXT) | instid1(VALU_DEP_4)
	v_add_co_u32 v7, vcc_lo, v14, v7
	v_cvt_u32_f32_e32 v0, v0
	v_dual_mov_b32 v1, 0 :: v_dual_add_nc_u32 v54, -1, v54
	v_dual_mov_b32 v25, 0 :: v_dual_mov_b32 v28, 0
	s_delay_alu instid0(VALU_DEP_3)
	v_mul_lo_u32 v11, v11, v0
	v_dual_mov_b32 v29, 0 :: v_dual_mov_b32 v32, 0
	v_dual_mov_b32 v31, 0 :: v_dual_mov_b32 v34, 0
	;; [unrolled: 1-line block ×4, first 2 shown]
	v_mul_hi_u32 v9, v0, v11
	v_add_co_ci_u32_e32 v8, vcc_lo, v15, v8, vcc_lo
	s_waitcnt lgkmcnt(0)
	v_dual_mov_b32 v70, 0 :: v_dual_add_nc_u32 v15, s1, v10
	v_mov_b32_e32 v67, 0
	v_mov_b32_e32 v69, 0
	;; [unrolled: 1-line block ×3, first 2 shown]
	v_dual_mov_b32 v80, 0 :: v_dual_add_nc_u32 v17, v0, v9
	s_mov_b32 s8, -1
	s_mov_b32 s9, 0xffffff
	s_branch .LBB324_1064
.LBB324_1062:                           ;   in Loop: Header=BB324_1064 Depth=1
	s_or_b32 exec_lo, exec_lo, s1
	v_dual_add_f32 v12, v13, v14 :: v_dual_add_f32 v13, v148, v149
	v_add_f32_e32 v14, v146, v147
	v_dual_add_f32 v18, v144, v145 :: v_dual_add_f32 v19, v134, v135
	s_delay_alu instid0(VALU_DEP_3) | instskip(NEXT) | instid1(VALU_DEP_3)
	v_dual_add_f32 v25, v25, v12 :: v_dual_add_f32 v12, v132, v133
	v_dual_add_f32 v29, v29, v14 :: v_dual_add_f32 v28, v28, v13
	s_delay_alu instid0(VALU_DEP_3) | instskip(NEXT) | instid1(VALU_DEP_3)
	v_dual_add_f32 v31, v31, v18 :: v_dual_add_f32 v32, v32, v19
	v_dual_add_f32 v33, v33, v12 :: v_dual_add_f32 v12, v130, v131
	;; [unrolled: 1-line block ×3, first 2 shown]
	;;#ASMSTART
	v_pk_mul_f16 v11, v97, v11;

	;;#ASMEND
	;;#ASMSTART
	v_pk_mul_f16 v10, v87, v10;

	;;#ASMEND
	;; [unrolled: 4-line block ×3, first 2 shown]
	s_delay_alu instid0(VALU_DEP_1)
	v_add_f32_e32 v65, v65, v13
	;;#ASMSTART
	v_pk_mul_f16 v9, v85, v9;

	;;#ASMEND
	;;#ASMSTART
	v_pk_add_f16 v10, v11, v10;

	;;#ASMEND
	;;#ASMSTART
	v_pk_add_f16 v0, v10, v0;
	;; [unrolled: 4-line block ×3, first 2 shown]

	;;#ASMEND
	v_dual_add_f32 v66, v66, v14 :: v_dual_and_b32 v9, 0xffff, v0
	v_lshrrev_b32_e32 v0, 16, v0
	;;#ASMSTART
	v_cvt_f32_f16 v9, v9;
	;;#ASMEND
	;;#ASMSTART
	v_cvt_f32_f16 v0, v0;
	;;#ASMEND
	v_dual_add_f32 v18, v116, v117 :: v_dual_add_f32 v19, v114, v115
	v_add_f32_e32 v34, v34, v12
	v_dual_add_f32 v10, v102, v103 :: v_dual_add_f32 v11, v100, v101
	v_add_f32_e32 v12, v112, v113
	;; [unrolled: 2-line block ×3, first 2 shown]
	s_delay_alu instid0(VALU_DEP_4) | instskip(NEXT) | instid1(VALU_DEP_4)
	v_dual_add_f32 v70, v70, v10 :: v_dual_add_f32 v71, v71, v11
	v_dual_add_f32 v68, v68, v19 :: v_dual_add_f32 v69, v69, v12
	s_delay_alu instid0(VALU_DEP_4)
	v_add_f32_e32 v80, v80, v13
	v_add_f32_e32 v24, v24, v0
.LBB324_1063:                           ;   in Loop: Header=BB324_1064 Depth=1
	s_or_b32 exec_lo, exec_lo, s11
	v_add_nc_u32_e32 v16, 4, v16
	v_add_co_u32 v7, s1, v7, 16
	s_delay_alu instid0(VALU_DEP_1) | instskip(NEXT) | instid1(VALU_DEP_3)
	v_add_co_ci_u32_e64 v8, s1, 0, v8, s1
	v_cmp_ge_i32_e32 vcc_lo, v16, v51
	v_add_nc_u32_e32 v23, 64, v23
	v_add_nc_u32_e32 v15, 0x100, v15
	s_or_b32 s10, vcc_lo, s10
	s_delay_alu instid0(SALU_CYCLE_1)
	s_and_not1_b32 exec_lo, exec_lo, s10
	s_cbranch_execz .LBB324_2121
.LBB324_1064:                           ; =>This Inner Loop Header: Depth=1
	v_sub_nc_u32_e32 v0, 0, v23
	s_delay_alu instid0(VALU_DEP_1) | instskip(NEXT) | instid1(VALU_DEP_1)
	v_max_i32_e32 v0, v23, v0
	v_mul_hi_u32 v9, v0, v49
	s_delay_alu instid0(VALU_DEP_1) | instskip(NEXT) | instid1(VALU_DEP_1)
	v_mul_lo_u32 v10, v9, v39
	v_sub_nc_u32_e32 v0, v0, v10
	v_add_nc_u32_e32 v10, 1, v9
	s_delay_alu instid0(VALU_DEP_2) | instskip(SKIP_1) | instid1(VALU_DEP_2)
	v_sub_nc_u32_e32 v11, v0, v39
	v_cmp_ge_u32_e32 vcc_lo, v0, v39
	v_dual_cndmask_b32 v9, v9, v10 :: v_dual_cndmask_b32 v0, v0, v11
	v_ashrrev_i32_e32 v10, 31, v23
	s_delay_alu instid0(VALU_DEP_2) | instskip(NEXT) | instid1(VALU_DEP_3)
	v_add_nc_u32_e32 v11, 1, v9
	v_cmp_ge_u32_e32 vcc_lo, v0, v39
	s_delay_alu instid0(VALU_DEP_3) | instskip(NEXT) | instid1(VALU_DEP_3)
	v_xor_b32_e32 v10, v10, v50
	v_cndmask_b32_e32 v0, v9, v11, vcc_lo
	s_delay_alu instid0(VALU_DEP_1) | instskip(NEXT) | instid1(VALU_DEP_1)
	v_xor_b32_e32 v0, v0, v10
	v_sub_nc_u32_e32 v0, v0, v10
	s_delay_alu instid0(VALU_DEP_1) | instskip(SKIP_1) | instid1(VALU_DEP_2)
	v_add_nc_u32_e32 v9, v0, v6
	v_cmp_gt_i32_e64 s1, v0, v52
	v_sub_nc_u32_e32 v10, 0, v9
	s_delay_alu instid0(VALU_DEP_1) | instskip(NEXT) | instid1(VALU_DEP_1)
	v_max_i32_e32 v10, v9, v10
	v_mul_hi_u32 v11, v10, v17
	s_delay_alu instid0(VALU_DEP_1) | instskip(NEXT) | instid1(VALU_DEP_1)
	v_mul_lo_u32 v11, v11, v30
	v_sub_nc_u32_e32 v10, v10, v11
	s_delay_alu instid0(VALU_DEP_1) | instskip(SKIP_1) | instid1(VALU_DEP_2)
	v_sub_nc_u32_e32 v11, v10, v30
	v_cmp_ge_u32_e32 vcc_lo, v10, v30
	v_cndmask_b32_e32 v10, v10, v11, vcc_lo
	v_ashrrev_i32_e32 v9, 31, v9
	s_delay_alu instid0(VALU_DEP_2) | instskip(SKIP_1) | instid1(VALU_DEP_2)
	v_sub_nc_u32_e32 v11, v10, v30
	v_cmp_ge_u32_e32 vcc_lo, v10, v30
	v_cndmask_b32_e32 v10, v10, v11, vcc_lo
	s_delay_alu instid0(VALU_DEP_1) | instskip(NEXT) | instid1(VALU_DEP_1)
	v_xor_b32_e32 v10, v10, v9
	v_sub_nc_u32_e32 v9, v10, v9
	s_delay_alu instid0(VALU_DEP_1) | instskip(SKIP_1) | instid1(SALU_CYCLE_1)
	v_cmp_eq_u32_e32 vcc_lo, 0, v9
	s_or_b32 s1, vcc_lo, s1
	s_and_saveexec_b32 s11, s1
	s_cbranch_execz .LBB324_1063
; %bb.1065:                             ;   in Loop: Header=BB324_1064 Depth=1
	flat_load_b32 v0, v[7:8]
	ds_load_2addr_b64 v[10:13], v15 offset1:1
	ds_load_2addr_b64 v[97:100], v15 offset0:2 offset1:3
	v_mov_b32_e32 v18, 0
	s_mov_b32 s1, exec_lo
	s_waitcnt lgkmcnt(1)
	;;#ASMSTART
	v_cvt_f16_f32 v64, v10;

	;;#ASMEND
	;;#ASMSTART
	v_cvt_f16_f32 v82, v11;

	;;#ASMEND
	;; [unrolled: 4-line block ×4, first 2 shown]
	s_waitcnt lgkmcnt(0)
	;;#ASMSTART
	v_cvt_f16_f32 v97, v97;

	;;#ASMEND
	;;#ASMSTART
	v_cvt_f16_f32 v86, v98;

	;;#ASMEND
	;; [unrolled: 4-line block ×4, first 2 shown]
	v_mov_b32_e32 v81, 0
	s_waitcnt vmcnt(0)
	v_mad_i64_i32 v[9:10], null, v0, v22, v[2:3]
	flat_load_b64 v[11:12], v[9:10]
	flat_load_b32 v19, v[26:27]
	s_waitcnt vmcnt(1) lgkmcnt(1)
	v_and_b32_e32 v0, 0xff, v11
	s_delay_alu instid0(VALU_DEP_1)
	v_cmpx_ne_u16_e32 0, v0
	s_cbranch_execz .LBB324_1073
; %bb.1066:                             ;   in Loop: Header=BB324_1064 Depth=1
	v_bfrev_b32_e32 v81, 1
	s_mov_b32 s12, exec_lo
	v_cmpx_ne_u16_e32 0x80, v0
	s_cbranch_execz .LBB324_1072
; %bb.1067:                             ;   in Loop: Header=BB324_1064 Depth=1
	v_and_b32_e32 v13, 0x7f, v11
	v_mov_b32_e32 v81, 0x7fc02000
	s_mov_b32 s13, exec_lo
	s_delay_alu instid0(VALU_DEP_2)
	v_cmpx_ne_u32_e32 0x7f, v13
	s_cbranch_execz .LBB324_1071
; %bb.1068:                             ;   in Loop: Header=BB324_1064 Depth=1
	v_lshrrev_b32_e32 v0, 3, v13
	v_cmp_gt_u32_e32 vcc_lo, 8, v13
	v_dual_mov_b32 v14, v12 :: v_dual_mov_b32 v13, v11
	s_and_saveexec_b32 s15, vcc_lo
; %bb.1069:                             ;   in Loop: Header=BB324_1064 Depth=1
	v_and_b32_e32 v0, 7, v11
	s_delay_alu instid0(VALU_DEP_1) | instskip(NEXT) | instid1(VALU_DEP_1)
	v_clz_i32_u32_e32 v0, v0
	v_min_u32_e32 v0, 32, v0
	s_delay_alu instid0(VALU_DEP_1) | instskip(SKIP_1) | instid1(VALU_DEP_2)
	v_subrev_nc_u32_e32 v13, 28, v0
	v_sub_nc_u32_e32 v0, 29, v0
	v_lshlrev_b64 v[13:14], v13, v[11:12]
; %bb.1070:                             ;   in Loop: Header=BB324_1064 Depth=1
	s_or_b32 exec_lo, exec_lo, s15
	v_lshlrev_b32_e32 v14, 8, v11
	s_delay_alu instid0(VALU_DEP_3) | instskip(NEXT) | instid1(VALU_DEP_3)
	v_lshl_add_u32 v0, v0, 10, 0x2000
	v_lshlrev_b32_e32 v13, 7, v13
	s_delay_alu instid0(VALU_DEP_2) | instskip(NEXT) | instid1(VALU_DEP_1)
	v_and_or_b32 v0, 0x8000, v14, v0
	v_and_or_b32 v0, 0x380, v13, v0
	s_delay_alu instid0(VALU_DEP_1)
	v_cvt_f32_f16_e32 v81, v0
.LBB324_1071:                           ;   in Loop: Header=BB324_1064 Depth=1
	s_or_b32 exec_lo, exec_lo, s13
.LBB324_1072:                           ;   in Loop: Header=BB324_1064 Depth=1
	s_delay_alu instid0(SALU_CYCLE_1)
	s_or_b32 exec_lo, exec_lo, s12
.LBB324_1073:                           ;   in Loop: Header=BB324_1064 Depth=1
	s_delay_alu instid0(SALU_CYCLE_1) | instskip(SKIP_2) | instid1(VALU_DEP_1)
	s_or_b32 exec_lo, exec_lo, s1
	v_lshrrev_b16 v0, 8, v11
	s_mov_b32 s1, exec_lo
	v_cmpx_ne_u16_e32 0, v0
	s_cbranch_execz .LBB324_1081
; %bb.1074:                             ;   in Loop: Header=BB324_1064 Depth=1
	v_bfrev_b32_e32 v18, 1
	s_mov_b32 s12, exec_lo
	v_cmpx_ne_u16_e32 0x80, v0
	s_cbranch_execz .LBB324_1080
; %bb.1075:                             ;   in Loop: Header=BB324_1064 Depth=1
	v_and_b32_e32 v83, 0xffff, v0
	v_mov_b32_e32 v18, 0x7fc02000
	s_mov_b32 s13, exec_lo
	s_delay_alu instid0(VALU_DEP_2) | instskip(NEXT) | instid1(VALU_DEP_1)
	v_and_b32_e32 v13, 0x7f, v83
	v_cmpx_ne_u32_e32 0x7f, v13
	s_cbranch_execz .LBB324_1079
; %bb.1076:                             ;   in Loop: Header=BB324_1064 Depth=1
	v_and_b32_e32 v0, 7, v83
	v_lshrrev_b32_e32 v18, 3, v13
	v_cmp_gt_u32_e32 vcc_lo, 8, v13
	s_delay_alu instid0(VALU_DEP_3)
	v_dual_mov_b32 v14, v1 :: v_dual_mov_b32 v13, v0
	s_and_saveexec_b32 s15, vcc_lo
; %bb.1077:                             ;   in Loop: Header=BB324_1064 Depth=1
	v_clz_i32_u32_e32 v13, v0
	s_delay_alu instid0(VALU_DEP_1) | instskip(NEXT) | instid1(VALU_DEP_1)
	v_min_u32_e32 v18, 32, v13
	v_subrev_nc_u32_e32 v13, 28, v18
	v_sub_nc_u32_e32 v18, 29, v18
	s_delay_alu instid0(VALU_DEP_2) | instskip(NEXT) | instid1(VALU_DEP_1)
	v_lshlrev_b64 v[13:14], v13, v[0:1]
	v_and_b32_e32 v13, 7, v13
; %bb.1078:                             ;   in Loop: Header=BB324_1064 Depth=1
	s_or_b32 exec_lo, exec_lo, s15
	v_lshlrev_b32_e32 v0, 8, v83
	v_lshl_add_u32 v14, v18, 10, 0x2000
	s_delay_alu instid0(VALU_DEP_1) | instskip(NEXT) | instid1(VALU_DEP_1)
	v_and_or_b32 v0, 0x8000, v0, v14
	v_lshl_or_b32 v0, v13, 7, v0
	s_delay_alu instid0(VALU_DEP_1)
	v_cvt_f32_f16_e32 v18, v0
.LBB324_1079:                           ;   in Loop: Header=BB324_1064 Depth=1
	s_or_b32 exec_lo, exec_lo, s13
.LBB324_1080:                           ;   in Loop: Header=BB324_1064 Depth=1
	s_delay_alu instid0(SALU_CYCLE_1)
	s_or_b32 exec_lo, exec_lo, s12
.LBB324_1081:                           ;   in Loop: Header=BB324_1064 Depth=1
	s_delay_alu instid0(SALU_CYCLE_1) | instskip(SKIP_3) | instid1(VALU_DEP_2)
	s_or_b32 exec_lo, exec_lo, s1
	v_lshrrev_b32_e32 v96, 16, v11
	v_mov_b32_e32 v84, 0
	s_mov_b32 s1, exec_lo
	v_dual_mov_b32 v83, 0 :: v_dual_and_b32 v0, 0xff, v96
	s_delay_alu instid0(VALU_DEP_1)
	v_cmpx_ne_u16_e32 0, v0
	s_cbranch_execz .LBB324_1089
; %bb.1082:                             ;   in Loop: Header=BB324_1064 Depth=1
	v_bfrev_b32_e32 v83, 1
	s_mov_b32 s12, exec_lo
	v_cmpx_ne_u16_e32 0x80, v0
	s_cbranch_execz .LBB324_1088
; %bb.1083:                             ;   in Loop: Header=BB324_1064 Depth=1
	v_bfe_u32 v13, v11, 16, 7
	v_mov_b32_e32 v83, 0x7fc02000
	s_mov_b32 s13, exec_lo
	s_delay_alu instid0(VALU_DEP_2)
	v_cmpx_ne_u32_e32 0x7f, v13
	s_cbranch_execz .LBB324_1087
; %bb.1084:                             ;   in Loop: Header=BB324_1064 Depth=1
	v_and_b32_e32 v0, 7, v96
	v_lshrrev_b32_e32 v83, 3, v13
	v_cmp_gt_u32_e32 vcc_lo, 8, v13
	s_delay_alu instid0(VALU_DEP_3)
	v_dual_mov_b32 v14, v1 :: v_dual_mov_b32 v13, v0
	s_and_saveexec_b32 s15, vcc_lo
; %bb.1085:                             ;   in Loop: Header=BB324_1064 Depth=1
	v_clz_i32_u32_e32 v13, v0
	s_delay_alu instid0(VALU_DEP_1) | instskip(NEXT) | instid1(VALU_DEP_1)
	v_min_u32_e32 v83, 32, v13
	v_subrev_nc_u32_e32 v13, 28, v83
	v_sub_nc_u32_e32 v83, 29, v83
	s_delay_alu instid0(VALU_DEP_2) | instskip(NEXT) | instid1(VALU_DEP_1)
	v_lshlrev_b64 v[13:14], v13, v[0:1]
	v_and_b32_e32 v13, 7, v13
; %bb.1086:                             ;   in Loop: Header=BB324_1064 Depth=1
	s_or_b32 exec_lo, exec_lo, s15
	v_lshlrev_b32_e32 v0, 8, v96
	v_lshl_add_u32 v14, v83, 10, 0x2000
	s_delay_alu instid0(VALU_DEP_1) | instskip(NEXT) | instid1(VALU_DEP_1)
	v_and_or_b32 v0, 0x8000, v0, v14
	v_lshl_or_b32 v0, v13, 7, v0
	s_delay_alu instid0(VALU_DEP_1)
	v_cvt_f32_f16_e32 v83, v0
.LBB324_1087:                           ;   in Loop: Header=BB324_1064 Depth=1
	s_or_b32 exec_lo, exec_lo, s13
.LBB324_1088:                           ;   in Loop: Header=BB324_1064 Depth=1
	s_delay_alu instid0(SALU_CYCLE_1)
	s_or_b32 exec_lo, exec_lo, s12
.LBB324_1089:                           ;   in Loop: Header=BB324_1064 Depth=1
	s_delay_alu instid0(SALU_CYCLE_1) | instskip(NEXT) | instid1(SALU_CYCLE_1)
	s_or_b32 exec_lo, exec_lo, s1
	s_mov_b32 s1, exec_lo
	v_cmpx_lt_u32_e32 0xffffff, v11
	s_cbranch_execz .LBB324_1097
; %bb.1090:                             ;   in Loop: Header=BB324_1064 Depth=1
	v_lshrrev_b32_e32 v96, 24, v11
	v_bfrev_b32_e32 v84, 1
	s_mov_b32 s12, exec_lo
	s_delay_alu instid0(VALU_DEP_2)
	v_cmpx_ne_u32_e32 0x80, v96
	s_cbranch_execz .LBB324_1096
; %bb.1091:                             ;   in Loop: Header=BB324_1064 Depth=1
	v_and_b32_e32 v13, 0x7f, v96
	v_mov_b32_e32 v84, 0x7fc02000
	s_mov_b32 s13, exec_lo
	s_delay_alu instid0(VALU_DEP_2)
	v_cmpx_ne_u32_e32 0x7f, v13
	s_cbranch_execz .LBB324_1095
; %bb.1092:                             ;   in Loop: Header=BB324_1064 Depth=1
	v_and_b32_e32 v0, 7, v96
	v_lshrrev_b32_e32 v84, 3, v13
	v_cmp_gt_u32_e32 vcc_lo, 8, v13
	s_delay_alu instid0(VALU_DEP_3)
	v_dual_mov_b32 v14, v1 :: v_dual_mov_b32 v13, v0
	s_and_saveexec_b32 s15, vcc_lo
; %bb.1093:                             ;   in Loop: Header=BB324_1064 Depth=1
	v_clz_i32_u32_e32 v13, v0
	s_delay_alu instid0(VALU_DEP_1) | instskip(NEXT) | instid1(VALU_DEP_1)
	v_min_u32_e32 v84, 32, v13
	v_subrev_nc_u32_e32 v13, 28, v84
	v_sub_nc_u32_e32 v84, 29, v84
	s_delay_alu instid0(VALU_DEP_2) | instskip(NEXT) | instid1(VALU_DEP_1)
	v_lshlrev_b64 v[13:14], v13, v[0:1]
	v_and_b32_e32 v13, 7, v13
; %bb.1094:                             ;   in Loop: Header=BB324_1064 Depth=1
	s_or_b32 exec_lo, exec_lo, s15
	v_lshlrev_b32_e32 v0, 8, v96
	v_lshl_add_u32 v14, v84, 10, 0x2000
	s_delay_alu instid0(VALU_DEP_1) | instskip(NEXT) | instid1(VALU_DEP_1)
	v_and_or_b32 v0, 0x8000, v0, v14
	v_lshl_or_b32 v0, v13, 7, v0
	s_delay_alu instid0(VALU_DEP_1)
	v_cvt_f32_f16_e32 v84, v0
.LBB324_1095:                           ;   in Loop: Header=BB324_1064 Depth=1
	s_or_b32 exec_lo, exec_lo, s13
.LBB324_1096:                           ;   in Loop: Header=BB324_1064 Depth=1
	s_delay_alu instid0(SALU_CYCLE_1)
	s_or_b32 exec_lo, exec_lo, s12
.LBB324_1097:                           ;   in Loop: Header=BB324_1064 Depth=1
	s_delay_alu instid0(SALU_CYCLE_1) | instskip(SKIP_4) | instid1(VALU_DEP_3)
	s_or_b32 exec_lo, exec_lo, s1
	v_dual_mov_b32 v0, v12 :: v_dual_and_b32 v13, 0xff, v12
	v_mov_b32_e32 v98, 0
	v_mov_b32_e32 v96, 0
	s_mov_b32 s1, exec_lo
	v_cmpx_ne_u16_e32 0, v13
	s_cbranch_execz .LBB324_1105
; %bb.1098:                             ;   in Loop: Header=BB324_1064 Depth=1
	v_bfrev_b32_e32 v96, 1
	s_mov_b32 s12, exec_lo
	v_cmpx_ne_u16_e32 0x80, v13
	s_cbranch_execz .LBB324_1104
; %bb.1099:                             ;   in Loop: Header=BB324_1064 Depth=1
	v_and_b32_e32 v13, 0x7f, v12
	v_mov_b32_e32 v96, 0x7fc02000
	s_mov_b32 s13, exec_lo
	s_delay_alu instid0(VALU_DEP_2)
	v_cmpx_ne_u32_e32 0x7f, v13
	s_cbranch_execz .LBB324_1103
; %bb.1100:                             ;   in Loop: Header=BB324_1064 Depth=1
	v_lshrrev_b32_e32 v96, 3, v13
	v_cmp_gt_u32_e32 vcc_lo, 8, v13
	v_dual_mov_b32 v14, v1 :: v_dual_mov_b32 v13, v0
	s_and_saveexec_b32 s15, vcc_lo
; %bb.1101:                             ;   in Loop: Header=BB324_1064 Depth=1
	v_and_b32_e32 v13, 7, v12
	s_delay_alu instid0(VALU_DEP_1) | instskip(NEXT) | instid1(VALU_DEP_1)
	v_clz_i32_u32_e32 v13, v13
	v_min_u32_e32 v96, 32, v13
	s_delay_alu instid0(VALU_DEP_1) | instskip(SKIP_1) | instid1(VALU_DEP_2)
	v_subrev_nc_u32_e32 v13, 28, v96
	v_sub_nc_u32_e32 v96, 29, v96
	v_lshlrev_b64 v[13:14], v13, v[0:1]
; %bb.1102:                             ;   in Loop: Header=BB324_1064 Depth=1
	s_or_b32 exec_lo, exec_lo, s15
	v_lshlrev_b32_e32 v14, 8, v12
	s_delay_alu instid0(VALU_DEP_3) | instskip(NEXT) | instid1(VALU_DEP_3)
	v_lshl_add_u32 v96, v96, 10, 0x2000
	v_lshlrev_b32_e32 v13, 7, v13
	s_delay_alu instid0(VALU_DEP_2) | instskip(NEXT) | instid1(VALU_DEP_1)
	v_and_or_b32 v14, 0x8000, v14, v96
	v_and_or_b32 v13, 0x380, v13, v14
	s_delay_alu instid0(VALU_DEP_1)
	v_cvt_f32_f16_e32 v96, v13
.LBB324_1103:                           ;   in Loop: Header=BB324_1064 Depth=1
	s_or_b32 exec_lo, exec_lo, s13
.LBB324_1104:                           ;   in Loop: Header=BB324_1064 Depth=1
	s_delay_alu instid0(SALU_CYCLE_1)
	s_or_b32 exec_lo, exec_lo, s12
.LBB324_1105:                           ;   in Loop: Header=BB324_1064 Depth=1
	s_delay_alu instid0(SALU_CYCLE_1) | instskip(SKIP_2) | instid1(VALU_DEP_1)
	s_or_b32 exec_lo, exec_lo, s1
	v_lshrrev_b16 v0, 8, v0
	s_mov_b32 s1, exec_lo
	v_cmpx_ne_u16_e32 0, v0
	s_cbranch_execz .LBB324_1113
; %bb.1106:                             ;   in Loop: Header=BB324_1064 Depth=1
	v_bfrev_b32_e32 v98, 1
	s_mov_b32 s12, exec_lo
	v_cmpx_ne_u16_e32 0x80, v0
	s_cbranch_execz .LBB324_1112
; %bb.1107:                             ;   in Loop: Header=BB324_1064 Depth=1
	v_and_b32_e32 v99, 0xffff, v0
	v_mov_b32_e32 v98, 0x7fc02000
	s_mov_b32 s13, exec_lo
	s_delay_alu instid0(VALU_DEP_2) | instskip(NEXT) | instid1(VALU_DEP_1)
	v_and_b32_e32 v13, 0x7f, v99
	v_cmpx_ne_u32_e32 0x7f, v13
	s_cbranch_execz .LBB324_1111
; %bb.1108:                             ;   in Loop: Header=BB324_1064 Depth=1
	v_and_b32_e32 v0, 7, v99
	v_lshrrev_b32_e32 v98, 3, v13
	v_cmp_gt_u32_e32 vcc_lo, 8, v13
	s_delay_alu instid0(VALU_DEP_3)
	v_dual_mov_b32 v14, v1 :: v_dual_mov_b32 v13, v0
	s_and_saveexec_b32 s15, vcc_lo
; %bb.1109:                             ;   in Loop: Header=BB324_1064 Depth=1
	v_clz_i32_u32_e32 v13, v0
	s_delay_alu instid0(VALU_DEP_1) | instskip(NEXT) | instid1(VALU_DEP_1)
	v_min_u32_e32 v98, 32, v13
	v_subrev_nc_u32_e32 v13, 28, v98
	v_sub_nc_u32_e32 v98, 29, v98
	s_delay_alu instid0(VALU_DEP_2) | instskip(NEXT) | instid1(VALU_DEP_1)
	v_lshlrev_b64 v[13:14], v13, v[0:1]
	v_and_b32_e32 v13, 7, v13
; %bb.1110:                             ;   in Loop: Header=BB324_1064 Depth=1
	s_or_b32 exec_lo, exec_lo, s15
	v_lshlrev_b32_e32 v0, 8, v99
	v_lshl_add_u32 v14, v98, 10, 0x2000
	s_delay_alu instid0(VALU_DEP_1) | instskip(NEXT) | instid1(VALU_DEP_1)
	v_and_or_b32 v0, 0x8000, v0, v14
	v_lshl_or_b32 v0, v13, 7, v0
	s_delay_alu instid0(VALU_DEP_1)
	v_cvt_f32_f16_e32 v98, v0
.LBB324_1111:                           ;   in Loop: Header=BB324_1064 Depth=1
	s_or_b32 exec_lo, exec_lo, s13
.LBB324_1112:                           ;   in Loop: Header=BB324_1064 Depth=1
	s_delay_alu instid0(SALU_CYCLE_1)
	s_or_b32 exec_lo, exec_lo, s12
.LBB324_1113:                           ;   in Loop: Header=BB324_1064 Depth=1
	s_delay_alu instid0(SALU_CYCLE_1) | instskip(SKIP_3) | instid1(VALU_DEP_2)
	s_or_b32 exec_lo, exec_lo, s1
	v_lshrrev_b32_e32 v102, 16, v12
	v_mov_b32_e32 v13, 0
	s_mov_b32 s1, exec_lo
	v_dual_mov_b32 v99, 0 :: v_dual_and_b32 v0, 0xff, v102
	s_delay_alu instid0(VALU_DEP_1)
	v_cmpx_ne_u16_e32 0, v0
	s_cbranch_execz .LBB324_1121
; %bb.1114:                             ;   in Loop: Header=BB324_1064 Depth=1
	v_bfrev_b32_e32 v13, 1
	s_mov_b32 s12, exec_lo
	v_cmpx_ne_u16_e32 0x80, v0
	s_cbranch_execz .LBB324_1120
; %bb.1115:                             ;   in Loop: Header=BB324_1064 Depth=1
	v_bfe_u32 v14, v12, 16, 7
	v_mov_b32_e32 v13, 0x7fc02000
	s_mov_b32 s13, exec_lo
	s_delay_alu instid0(VALU_DEP_2)
	v_cmpx_ne_u32_e32 0x7f, v14
	s_cbranch_execz .LBB324_1119
; %bb.1116:                             ;   in Loop: Header=BB324_1064 Depth=1
	v_and_b32_e32 v0, 7, v102
	v_lshrrev_b32_e32 v103, 3, v14
	v_cmp_gt_u32_e32 vcc_lo, 8, v14
	s_delay_alu instid0(VALU_DEP_3)
	v_dual_mov_b32 v14, v1 :: v_dual_mov_b32 v13, v0
	s_and_saveexec_b32 s15, vcc_lo
; %bb.1117:                             ;   in Loop: Header=BB324_1064 Depth=1
	v_clz_i32_u32_e32 v13, v0
	s_delay_alu instid0(VALU_DEP_1) | instskip(NEXT) | instid1(VALU_DEP_1)
	v_min_u32_e32 v103, 32, v13
	v_subrev_nc_u32_e32 v13, 28, v103
	v_sub_nc_u32_e32 v103, 29, v103
	s_delay_alu instid0(VALU_DEP_2) | instskip(NEXT) | instid1(VALU_DEP_1)
	v_lshlrev_b64 v[13:14], v13, v[0:1]
	v_and_b32_e32 v13, 7, v13
; %bb.1118:                             ;   in Loop: Header=BB324_1064 Depth=1
	s_or_b32 exec_lo, exec_lo, s15
	v_lshlrev_b32_e32 v0, 8, v102
	v_lshl_add_u32 v14, v103, 10, 0x2000
	s_delay_alu instid0(VALU_DEP_1) | instskip(NEXT) | instid1(VALU_DEP_1)
	v_and_or_b32 v0, 0x8000, v0, v14
	v_lshl_or_b32 v0, v13, 7, v0
	s_delay_alu instid0(VALU_DEP_1)
	v_cvt_f32_f16_e32 v13, v0
.LBB324_1119:                           ;   in Loop: Header=BB324_1064 Depth=1
	s_or_b32 exec_lo, exec_lo, s13
.LBB324_1120:                           ;   in Loop: Header=BB324_1064 Depth=1
	s_delay_alu instid0(SALU_CYCLE_1)
	s_or_b32 exec_lo, exec_lo, s12
.LBB324_1121:                           ;   in Loop: Header=BB324_1064 Depth=1
	s_delay_alu instid0(SALU_CYCLE_1) | instskip(NEXT) | instid1(SALU_CYCLE_1)
	s_or_b32 exec_lo, exec_lo, s1
	s_mov_b32 s1, exec_lo
	v_cmpx_lt_u64_e64 s[8:9], v[11:12]
	s_cbranch_execz .LBB324_1129
; %bb.1122:                             ;   in Loop: Header=BB324_1064 Depth=1
	v_lshrrev_b32_e32 v14, 24, v12
	v_bfrev_b32_e32 v99, 1
	s_mov_b32 s12, exec_lo
	s_delay_alu instid0(VALU_DEP_2)
	v_cmpx_ne_u32_e32 0x80, v14
	s_cbranch_execz .LBB324_1128
; %bb.1123:                             ;   in Loop: Header=BB324_1064 Depth=1
	v_and_b32_e32 v11, 0x7f, v14
	v_mov_b32_e32 v99, 0x7fc02000
	s_mov_b32 s13, exec_lo
	s_delay_alu instid0(VALU_DEP_2)
	v_cmpx_ne_u32_e32 0x7f, v11
	s_cbranch_execz .LBB324_1127
; %bb.1124:                             ;   in Loop: Header=BB324_1064 Depth=1
	v_and_b32_e32 v0, 7, v14
	v_lshrrev_b32_e32 v99, 3, v11
	v_cmp_gt_u32_e32 vcc_lo, 8, v11
	s_delay_alu instid0(VALU_DEP_3)
	v_dual_mov_b32 v12, v1 :: v_dual_mov_b32 v11, v0
	s_and_saveexec_b32 s15, vcc_lo
; %bb.1125:                             ;   in Loop: Header=BB324_1064 Depth=1
	v_clz_i32_u32_e32 v11, v0
	s_delay_alu instid0(VALU_DEP_1) | instskip(NEXT) | instid1(VALU_DEP_1)
	v_min_u32_e32 v99, 32, v11
	v_subrev_nc_u32_e32 v11, 28, v99
	v_sub_nc_u32_e32 v99, 29, v99
	s_delay_alu instid0(VALU_DEP_2) | instskip(NEXT) | instid1(VALU_DEP_1)
	v_lshlrev_b64 v[11:12], v11, v[0:1]
	v_and_b32_e32 v11, 7, v11
; %bb.1126:                             ;   in Loop: Header=BB324_1064 Depth=1
	s_or_b32 exec_lo, exec_lo, s15
	v_lshlrev_b32_e32 v0, 8, v14
	v_lshl_add_u32 v12, v99, 10, 0x2000
	s_delay_alu instid0(VALU_DEP_1) | instskip(NEXT) | instid1(VALU_DEP_1)
	v_and_or_b32 v0, 0x8000, v0, v12
	v_lshl_or_b32 v0, v11, 7, v0
	s_delay_alu instid0(VALU_DEP_1)
	v_cvt_f32_f16_e32 v99, v0
.LBB324_1127:                           ;   in Loop: Header=BB324_1064 Depth=1
	s_or_b32 exec_lo, exec_lo, s13
.LBB324_1128:                           ;   in Loop: Header=BB324_1064 Depth=1
	s_delay_alu instid0(SALU_CYCLE_1)
	s_or_b32 exec_lo, exec_lo, s12
.LBB324_1129:                           ;   in Loop: Header=BB324_1064 Depth=1
	s_delay_alu instid0(SALU_CYCLE_1)
	s_or_b32 exec_lo, exec_lo, s1
	s_waitcnt vmcnt(0) lgkmcnt(0)
	v_fma_mixlo_f16 v12, v19, v18, 0
	v_fma_mixlo_f16 v0, v19, v84, 0
	;; [unrolled: 1-line block ×5, first 2 shown]
	v_lshlrev_b32_e32 v14, 16, v12
	v_fma_mixlo_f16 v12, v19, v81, 0
	v_fma_mixlo_f16 v81, v19, v98, 0
	;; [unrolled: 1-line block ×3, first 2 shown]
	v_add_nc_u32_e32 v18, v55, v23
	v_lshlrev_b32_e32 v0, 16, v0
	v_and_b32_e32 v11, 0xffff, v11
	v_and_b32_e32 v19, 0xffff, v12
	v_lshlrev_b32_e32 v81, 16, v81
	v_and_b32_e32 v83, 0xffff, v83
	v_lshlrev_b32_e32 v84, 16, v84
	v_and_b32_e32 v96, 0xffff, v13
	v_cmp_eq_u32_e32 vcc_lo, v54, v16
	v_or_b32_e32 v12, v0, v11
	v_or_b32_e32 v14, v14, v19
	;; [unrolled: 1-line block ×4, first 2 shown]
	v_add_nc_u32_e32 v99, 1, v18
	v_or_b32_e32 v98, 3, v18
	v_or_b32_e32 v96, 2, v18
	;; [unrolled: 1-line block ×6, first 2 shown]
	s_and_saveexec_b32 s12, vcc_lo
	s_cbranch_execz .LBB324_1131
; %bb.1130:                             ;   in Loop: Header=BB324_1064 Depth=1
	v_cmp_lt_i32_e64 s1, v18, v38
	v_lshrrev_b32_e32 v102, 16, v14
	v_lshrrev_b32_e32 v103, 16, v12
	;; [unrolled: 1-line block ×4, first 2 shown]
	v_cndmask_b32_e64 v14, 0, v14, s1
	v_cmp_lt_i32_e64 s1, v99, v53
	s_delay_alu instid0(VALU_DEP_1) | instskip(SKIP_1) | instid1(VALU_DEP_2)
	v_cndmask_b32_e64 v102, 0, v102, s1
	v_cmp_lt_i32_e64 s1, v98, v53
	v_perm_b32 v14, v102, v14, 0x5040100
	s_delay_alu instid0(VALU_DEP_2) | instskip(SKIP_1) | instid1(VALU_DEP_1)
	v_cndmask_b32_e64 v103, 0, v103, s1
	v_cmp_lt_i32_e64 s1, v96, v38
	v_cndmask_b32_e64 v12, 0, v12, s1
	v_cmp_lt_i32_e64 s1, v84, v53
	s_delay_alu instid0(VALU_DEP_2) | instskip(NEXT) | instid1(VALU_DEP_2)
	v_perm_b32 v12, v103, v12, 0x5040100
	v_cndmask_b32_e64 v112, 0, v112, s1
	v_cmp_lt_i32_e64 s1, v83, v38
	s_delay_alu instid0(VALU_DEP_1) | instskip(SKIP_1) | instid1(VALU_DEP_2)
	v_cndmask_b32_e64 v0, 0, v0, s1
	v_cmp_lt_i32_e64 s1, v81, v53
	v_perm_b32 v0, v112, v0, 0x5040100
	s_delay_alu instid0(VALU_DEP_2) | instskip(SKIP_1) | instid1(VALU_DEP_1)
	v_cndmask_b32_e64 v11, 0, v11, s1
	v_cmp_lt_i32_e64 s1, v19, v38
	v_cndmask_b32_e64 v13, 0, v13, s1
	s_delay_alu instid0(VALU_DEP_1)
	v_perm_b32 v11, v11, v13, 0x5040100
.LBB324_1131:                           ;   in Loop: Header=BB324_1064 Depth=1
	s_or_b32 exec_lo, exec_lo, s12
	v_and_b32_e32 v13, 0xffff, v64
	v_and_b32_e32 v64, 0xffff, v87
	;; [unrolled: 1-line block ×4, first 2 shown]
	s_mov_b32 s12, exec_lo
	s_delay_alu instid0(VALU_DEP_3) | instskip(NEXT) | instid1(VALU_DEP_3)
	v_lshl_or_b32 v87, v85, 16, v64
	v_lshl_or_b32 v86, v86, 16, v102
	v_mov_b32_e32 v102, 0
	v_lshl_or_b32 v97, v82, 16, v13
	;;#ASMSTART
	v_pk_mul_f16 v13, v97, v14;

	;;#ASMEND
	;;#ASMSTART
	v_pk_mul_f16 v12, v87, v12;

	;;#ASMEND
	;; [unrolled: 4-line block ×3, first 2 shown]
	v_lshl_or_b32 v85, v100, 16, v101
	v_mov_b32_e32 v101, 0
	;;#ASMSTART
	v_pk_mul_f16 v11, v85, v11;

	;;#ASMEND
	;;#ASMSTART
	v_pk_add_f16 v12, v13, v12;

	;;#ASMEND
	;;#ASMSTART
	v_pk_add_f16 v0, v12, v0;
	;; [unrolled: 4-line block ×3, first 2 shown]

	;;#ASMEND
	v_and_b32_e32 v11, 0xffff, v0
	v_lshrrev_b32_e32 v0, 16, v0
	;;#ASMSTART
	v_cvt_f32_f16 v64, v11;
	;;#ASMEND
	;;#ASMSTART
	v_cvt_f32_f16 v82, v0;
	;;#ASMEND
	flat_load_b64 v[11:12], v[9:10] offset:256
	flat_load_b32 v100, v[26:27]
	s_waitcnt vmcnt(1) lgkmcnt(1)
	v_and_b32_e32 v0, 0xff, v11
	s_delay_alu instid0(VALU_DEP_1)
	v_cmpx_ne_u16_e32 0, v0
	s_cbranch_execz .LBB324_1139
; %bb.1132:                             ;   in Loop: Header=BB324_1064 Depth=1
	v_bfrev_b32_e32 v101, 1
	s_mov_b32 s13, exec_lo
	v_cmpx_ne_u16_e32 0x80, v0
	s_cbranch_execz .LBB324_1138
; %bb.1133:                             ;   in Loop: Header=BB324_1064 Depth=1
	v_and_b32_e32 v13, 0x7f, v11
	v_mov_b32_e32 v101, 0x7fc02000
	s_mov_b32 s15, exec_lo
	s_delay_alu instid0(VALU_DEP_2)
	v_cmpx_ne_u32_e32 0x7f, v13
	s_cbranch_execz .LBB324_1137
; %bb.1134:                             ;   in Loop: Header=BB324_1064 Depth=1
	v_lshrrev_b32_e32 v0, 3, v13
	v_cmp_gt_u32_e64 s1, 8, v13
	v_dual_mov_b32 v14, v12 :: v_dual_mov_b32 v13, v11
	s_delay_alu instid0(VALU_DEP_2)
	s_and_saveexec_b32 s16, s1
; %bb.1135:                             ;   in Loop: Header=BB324_1064 Depth=1
	v_and_b32_e32 v0, 7, v11
	s_delay_alu instid0(VALU_DEP_1) | instskip(NEXT) | instid1(VALU_DEP_1)
	v_clz_i32_u32_e32 v0, v0
	v_min_u32_e32 v0, 32, v0
	s_delay_alu instid0(VALU_DEP_1) | instskip(SKIP_1) | instid1(VALU_DEP_2)
	v_subrev_nc_u32_e32 v13, 28, v0
	v_sub_nc_u32_e32 v0, 29, v0
	v_lshlrev_b64 v[13:14], v13, v[11:12]
; %bb.1136:                             ;   in Loop: Header=BB324_1064 Depth=1
	s_or_b32 exec_lo, exec_lo, s16
	v_lshlrev_b32_e32 v14, 8, v11
	s_delay_alu instid0(VALU_DEP_3) | instskip(NEXT) | instid1(VALU_DEP_3)
	v_lshl_add_u32 v0, v0, 10, 0x2000
	v_lshlrev_b32_e32 v13, 7, v13
	s_delay_alu instid0(VALU_DEP_2) | instskip(NEXT) | instid1(VALU_DEP_1)
	v_and_or_b32 v0, 0x8000, v14, v0
	v_and_or_b32 v0, 0x380, v13, v0
	s_delay_alu instid0(VALU_DEP_1)
	v_cvt_f32_f16_e32 v101, v0
.LBB324_1137:                           ;   in Loop: Header=BB324_1064 Depth=1
	s_or_b32 exec_lo, exec_lo, s15
.LBB324_1138:                           ;   in Loop: Header=BB324_1064 Depth=1
	s_delay_alu instid0(SALU_CYCLE_1)
	s_or_b32 exec_lo, exec_lo, s13
.LBB324_1139:                           ;   in Loop: Header=BB324_1064 Depth=1
	s_delay_alu instid0(SALU_CYCLE_1) | instskip(SKIP_2) | instid1(VALU_DEP_1)
	s_or_b32 exec_lo, exec_lo, s12
	v_lshrrev_b16 v0, 8, v11
	s_mov_b32 s12, exec_lo
	v_cmpx_ne_u16_e32 0, v0
	s_cbranch_execz .LBB324_1147
; %bb.1140:                             ;   in Loop: Header=BB324_1064 Depth=1
	v_bfrev_b32_e32 v102, 1
	s_mov_b32 s13, exec_lo
	v_cmpx_ne_u16_e32 0x80, v0
	s_cbranch_execz .LBB324_1146
; %bb.1141:                             ;   in Loop: Header=BB324_1064 Depth=1
	v_and_b32_e32 v103, 0xffff, v0
	v_mov_b32_e32 v102, 0x7fc02000
	s_mov_b32 s15, exec_lo
	s_delay_alu instid0(VALU_DEP_2) | instskip(NEXT) | instid1(VALU_DEP_1)
	v_and_b32_e32 v13, 0x7f, v103
	v_cmpx_ne_u32_e32 0x7f, v13
	s_cbranch_execz .LBB324_1145
; %bb.1142:                             ;   in Loop: Header=BB324_1064 Depth=1
	v_and_b32_e32 v0, 7, v103
	v_lshrrev_b32_e32 v102, 3, v13
	v_cmp_gt_u32_e64 s1, 8, v13
	s_delay_alu instid0(VALU_DEP_3) | instskip(NEXT) | instid1(VALU_DEP_2)
	v_dual_mov_b32 v14, v1 :: v_dual_mov_b32 v13, v0
	s_and_saveexec_b32 s16, s1
; %bb.1143:                             ;   in Loop: Header=BB324_1064 Depth=1
	v_clz_i32_u32_e32 v13, v0
	s_delay_alu instid0(VALU_DEP_1) | instskip(NEXT) | instid1(VALU_DEP_1)
	v_min_u32_e32 v102, 32, v13
	v_subrev_nc_u32_e32 v13, 28, v102
	v_sub_nc_u32_e32 v102, 29, v102
	s_delay_alu instid0(VALU_DEP_2) | instskip(NEXT) | instid1(VALU_DEP_1)
	v_lshlrev_b64 v[13:14], v13, v[0:1]
	v_and_b32_e32 v13, 7, v13
; %bb.1144:                             ;   in Loop: Header=BB324_1064 Depth=1
	s_or_b32 exec_lo, exec_lo, s16
	v_lshlrev_b32_e32 v0, 8, v103
	v_lshl_add_u32 v14, v102, 10, 0x2000
	s_delay_alu instid0(VALU_DEP_1) | instskip(NEXT) | instid1(VALU_DEP_1)
	v_and_or_b32 v0, 0x8000, v0, v14
	v_lshl_or_b32 v0, v13, 7, v0
	s_delay_alu instid0(VALU_DEP_1)
	v_cvt_f32_f16_e32 v102, v0
.LBB324_1145:                           ;   in Loop: Header=BB324_1064 Depth=1
	s_or_b32 exec_lo, exec_lo, s15
.LBB324_1146:                           ;   in Loop: Header=BB324_1064 Depth=1
	s_delay_alu instid0(SALU_CYCLE_1)
	s_or_b32 exec_lo, exec_lo, s13
.LBB324_1147:                           ;   in Loop: Header=BB324_1064 Depth=1
	s_delay_alu instid0(SALU_CYCLE_1) | instskip(SKIP_3) | instid1(VALU_DEP_2)
	s_or_b32 exec_lo, exec_lo, s12
	v_lshrrev_b32_e32 v113, 16, v11
	v_mov_b32_e32 v112, 0
	s_mov_b32 s12, exec_lo
	v_dual_mov_b32 v103, 0 :: v_dual_and_b32 v0, 0xff, v113
	s_delay_alu instid0(VALU_DEP_1)
	v_cmpx_ne_u16_e32 0, v0
	s_cbranch_execz .LBB324_1155
; %bb.1148:                             ;   in Loop: Header=BB324_1064 Depth=1
	v_bfrev_b32_e32 v103, 1
	s_mov_b32 s13, exec_lo
	v_cmpx_ne_u16_e32 0x80, v0
	s_cbranch_execz .LBB324_1154
; %bb.1149:                             ;   in Loop: Header=BB324_1064 Depth=1
	v_bfe_u32 v13, v11, 16, 7
	v_mov_b32_e32 v103, 0x7fc02000
	s_mov_b32 s15, exec_lo
	s_delay_alu instid0(VALU_DEP_2)
	v_cmpx_ne_u32_e32 0x7f, v13
	s_cbranch_execz .LBB324_1153
; %bb.1150:                             ;   in Loop: Header=BB324_1064 Depth=1
	v_and_b32_e32 v0, 7, v113
	v_lshrrev_b32_e32 v103, 3, v13
	v_cmp_gt_u32_e64 s1, 8, v13
	s_delay_alu instid0(VALU_DEP_3) | instskip(NEXT) | instid1(VALU_DEP_2)
	v_dual_mov_b32 v14, v1 :: v_dual_mov_b32 v13, v0
	s_and_saveexec_b32 s16, s1
; %bb.1151:                             ;   in Loop: Header=BB324_1064 Depth=1
	v_clz_i32_u32_e32 v13, v0
	s_delay_alu instid0(VALU_DEP_1) | instskip(NEXT) | instid1(VALU_DEP_1)
	v_min_u32_e32 v103, 32, v13
	v_subrev_nc_u32_e32 v13, 28, v103
	v_sub_nc_u32_e32 v103, 29, v103
	s_delay_alu instid0(VALU_DEP_2) | instskip(NEXT) | instid1(VALU_DEP_1)
	v_lshlrev_b64 v[13:14], v13, v[0:1]
	v_and_b32_e32 v13, 7, v13
; %bb.1152:                             ;   in Loop: Header=BB324_1064 Depth=1
	s_or_b32 exec_lo, exec_lo, s16
	v_lshlrev_b32_e32 v0, 8, v113
	v_lshl_add_u32 v14, v103, 10, 0x2000
	s_delay_alu instid0(VALU_DEP_1) | instskip(NEXT) | instid1(VALU_DEP_1)
	v_and_or_b32 v0, 0x8000, v0, v14
	v_lshl_or_b32 v0, v13, 7, v0
	s_delay_alu instid0(VALU_DEP_1)
	v_cvt_f32_f16_e32 v103, v0
.LBB324_1153:                           ;   in Loop: Header=BB324_1064 Depth=1
	s_or_b32 exec_lo, exec_lo, s15
.LBB324_1154:                           ;   in Loop: Header=BB324_1064 Depth=1
	s_delay_alu instid0(SALU_CYCLE_1)
	s_or_b32 exec_lo, exec_lo, s13
.LBB324_1155:                           ;   in Loop: Header=BB324_1064 Depth=1
	s_delay_alu instid0(SALU_CYCLE_1) | instskip(NEXT) | instid1(SALU_CYCLE_1)
	s_or_b32 exec_lo, exec_lo, s12
	s_mov_b32 s12, exec_lo
	v_cmpx_lt_u32_e32 0xffffff, v11
	s_cbranch_execz .LBB324_1163
; %bb.1156:                             ;   in Loop: Header=BB324_1064 Depth=1
	v_lshrrev_b32_e32 v113, 24, v11
	v_bfrev_b32_e32 v112, 1
	s_mov_b32 s13, exec_lo
	s_delay_alu instid0(VALU_DEP_2)
	v_cmpx_ne_u32_e32 0x80, v113
	s_cbranch_execz .LBB324_1162
; %bb.1157:                             ;   in Loop: Header=BB324_1064 Depth=1
	v_and_b32_e32 v13, 0x7f, v113
	v_mov_b32_e32 v112, 0x7fc02000
	s_mov_b32 s15, exec_lo
	s_delay_alu instid0(VALU_DEP_2)
	v_cmpx_ne_u32_e32 0x7f, v13
	s_cbranch_execz .LBB324_1161
; %bb.1158:                             ;   in Loop: Header=BB324_1064 Depth=1
	v_and_b32_e32 v0, 7, v113
	v_lshrrev_b32_e32 v112, 3, v13
	v_cmp_gt_u32_e64 s1, 8, v13
	s_delay_alu instid0(VALU_DEP_3) | instskip(NEXT) | instid1(VALU_DEP_2)
	v_dual_mov_b32 v14, v1 :: v_dual_mov_b32 v13, v0
	s_and_saveexec_b32 s16, s1
; %bb.1159:                             ;   in Loop: Header=BB324_1064 Depth=1
	v_clz_i32_u32_e32 v13, v0
	s_delay_alu instid0(VALU_DEP_1) | instskip(NEXT) | instid1(VALU_DEP_1)
	v_min_u32_e32 v112, 32, v13
	v_subrev_nc_u32_e32 v13, 28, v112
	v_sub_nc_u32_e32 v112, 29, v112
	s_delay_alu instid0(VALU_DEP_2) | instskip(NEXT) | instid1(VALU_DEP_1)
	v_lshlrev_b64 v[13:14], v13, v[0:1]
	v_and_b32_e32 v13, 7, v13
; %bb.1160:                             ;   in Loop: Header=BB324_1064 Depth=1
	s_or_b32 exec_lo, exec_lo, s16
	v_lshlrev_b32_e32 v0, 8, v113
	v_lshl_add_u32 v14, v112, 10, 0x2000
	s_delay_alu instid0(VALU_DEP_1) | instskip(NEXT) | instid1(VALU_DEP_1)
	v_and_or_b32 v0, 0x8000, v0, v14
	v_lshl_or_b32 v0, v13, 7, v0
	s_delay_alu instid0(VALU_DEP_1)
	v_cvt_f32_f16_e32 v112, v0
.LBB324_1161:                           ;   in Loop: Header=BB324_1064 Depth=1
	s_or_b32 exec_lo, exec_lo, s15
.LBB324_1162:                           ;   in Loop: Header=BB324_1064 Depth=1
	s_delay_alu instid0(SALU_CYCLE_1)
	s_or_b32 exec_lo, exec_lo, s13
.LBB324_1163:                           ;   in Loop: Header=BB324_1064 Depth=1
	s_delay_alu instid0(SALU_CYCLE_1) | instskip(SKIP_3) | instid1(VALU_DEP_2)
	s_or_b32 exec_lo, exec_lo, s12
	v_dual_mov_b32 v0, v12 :: v_dual_and_b32 v13, 0xff, v12
	v_dual_mov_b32 v114, 0 :: v_dual_mov_b32 v113, 0
	s_mov_b32 s12, exec_lo
	v_cmpx_ne_u16_e32 0, v13
	s_cbranch_execz .LBB324_1171
; %bb.1164:                             ;   in Loop: Header=BB324_1064 Depth=1
	v_bfrev_b32_e32 v113, 1
	s_mov_b32 s13, exec_lo
	v_cmpx_ne_u16_e32 0x80, v13
	s_cbranch_execz .LBB324_1170
; %bb.1165:                             ;   in Loop: Header=BB324_1064 Depth=1
	v_and_b32_e32 v13, 0x7f, v12
	v_mov_b32_e32 v113, 0x7fc02000
	s_mov_b32 s15, exec_lo
	s_delay_alu instid0(VALU_DEP_2)
	v_cmpx_ne_u32_e32 0x7f, v13
	s_cbranch_execz .LBB324_1169
; %bb.1166:                             ;   in Loop: Header=BB324_1064 Depth=1
	v_lshrrev_b32_e32 v113, 3, v13
	v_cmp_gt_u32_e64 s1, 8, v13
	v_dual_mov_b32 v14, v1 :: v_dual_mov_b32 v13, v0
	s_delay_alu instid0(VALU_DEP_2)
	s_and_saveexec_b32 s16, s1
; %bb.1167:                             ;   in Loop: Header=BB324_1064 Depth=1
	v_and_b32_e32 v13, 7, v12
	s_delay_alu instid0(VALU_DEP_1) | instskip(NEXT) | instid1(VALU_DEP_1)
	v_clz_i32_u32_e32 v13, v13
	v_min_u32_e32 v113, 32, v13
	s_delay_alu instid0(VALU_DEP_1) | instskip(SKIP_1) | instid1(VALU_DEP_2)
	v_subrev_nc_u32_e32 v13, 28, v113
	v_sub_nc_u32_e32 v113, 29, v113
	v_lshlrev_b64 v[13:14], v13, v[0:1]
; %bb.1168:                             ;   in Loop: Header=BB324_1064 Depth=1
	s_or_b32 exec_lo, exec_lo, s16
	v_lshlrev_b32_e32 v14, 8, v12
	s_delay_alu instid0(VALU_DEP_3) | instskip(NEXT) | instid1(VALU_DEP_3)
	v_lshl_add_u32 v113, v113, 10, 0x2000
	v_lshlrev_b32_e32 v13, 7, v13
	s_delay_alu instid0(VALU_DEP_2) | instskip(NEXT) | instid1(VALU_DEP_1)
	v_and_or_b32 v14, 0x8000, v14, v113
	v_and_or_b32 v13, 0x380, v13, v14
	s_delay_alu instid0(VALU_DEP_1)
	v_cvt_f32_f16_e32 v113, v13
.LBB324_1169:                           ;   in Loop: Header=BB324_1064 Depth=1
	s_or_b32 exec_lo, exec_lo, s15
.LBB324_1170:                           ;   in Loop: Header=BB324_1064 Depth=1
	s_delay_alu instid0(SALU_CYCLE_1)
	s_or_b32 exec_lo, exec_lo, s13
.LBB324_1171:                           ;   in Loop: Header=BB324_1064 Depth=1
	s_delay_alu instid0(SALU_CYCLE_1) | instskip(SKIP_2) | instid1(VALU_DEP_1)
	s_or_b32 exec_lo, exec_lo, s12
	v_lshrrev_b16 v0, 8, v0
	s_mov_b32 s12, exec_lo
	v_cmpx_ne_u16_e32 0, v0
	s_cbranch_execz .LBB324_1179
; %bb.1172:                             ;   in Loop: Header=BB324_1064 Depth=1
	v_bfrev_b32_e32 v114, 1
	s_mov_b32 s13, exec_lo
	v_cmpx_ne_u16_e32 0x80, v0
	s_cbranch_execz .LBB324_1178
; %bb.1173:                             ;   in Loop: Header=BB324_1064 Depth=1
	v_and_b32_e32 v115, 0xffff, v0
	v_mov_b32_e32 v114, 0x7fc02000
	s_mov_b32 s15, exec_lo
	s_delay_alu instid0(VALU_DEP_2) | instskip(NEXT) | instid1(VALU_DEP_1)
	v_and_b32_e32 v13, 0x7f, v115
	v_cmpx_ne_u32_e32 0x7f, v13
	s_cbranch_execz .LBB324_1177
; %bb.1174:                             ;   in Loop: Header=BB324_1064 Depth=1
	v_and_b32_e32 v0, 7, v115
	v_lshrrev_b32_e32 v114, 3, v13
	v_cmp_gt_u32_e64 s1, 8, v13
	s_delay_alu instid0(VALU_DEP_3) | instskip(NEXT) | instid1(VALU_DEP_2)
	v_dual_mov_b32 v14, v1 :: v_dual_mov_b32 v13, v0
	s_and_saveexec_b32 s16, s1
; %bb.1175:                             ;   in Loop: Header=BB324_1064 Depth=1
	v_clz_i32_u32_e32 v13, v0
	s_delay_alu instid0(VALU_DEP_1) | instskip(NEXT) | instid1(VALU_DEP_1)
	v_min_u32_e32 v114, 32, v13
	v_subrev_nc_u32_e32 v13, 28, v114
	v_sub_nc_u32_e32 v114, 29, v114
	s_delay_alu instid0(VALU_DEP_2) | instskip(NEXT) | instid1(VALU_DEP_1)
	v_lshlrev_b64 v[13:14], v13, v[0:1]
	v_and_b32_e32 v13, 7, v13
; %bb.1176:                             ;   in Loop: Header=BB324_1064 Depth=1
	s_or_b32 exec_lo, exec_lo, s16
	v_lshlrev_b32_e32 v0, 8, v115
	v_lshl_add_u32 v14, v114, 10, 0x2000
	s_delay_alu instid0(VALU_DEP_1) | instskip(NEXT) | instid1(VALU_DEP_1)
	v_and_or_b32 v0, 0x8000, v0, v14
	v_lshl_or_b32 v0, v13, 7, v0
	s_delay_alu instid0(VALU_DEP_1)
	v_cvt_f32_f16_e32 v114, v0
.LBB324_1177:                           ;   in Loop: Header=BB324_1064 Depth=1
	s_or_b32 exec_lo, exec_lo, s15
.LBB324_1178:                           ;   in Loop: Header=BB324_1064 Depth=1
	s_delay_alu instid0(SALU_CYCLE_1)
	s_or_b32 exec_lo, exec_lo, s13
.LBB324_1179:                           ;   in Loop: Header=BB324_1064 Depth=1
	s_delay_alu instid0(SALU_CYCLE_1) | instskip(SKIP_3) | instid1(VALU_DEP_2)
	s_or_b32 exec_lo, exec_lo, s12
	v_lshrrev_b32_e32 v116, 16, v12
	v_mov_b32_e32 v13, 0
	s_mov_b32 s12, exec_lo
	v_dual_mov_b32 v115, 0 :: v_dual_and_b32 v0, 0xff, v116
	s_delay_alu instid0(VALU_DEP_1)
	v_cmpx_ne_u16_e32 0, v0
	s_cbranch_execz .LBB324_1187
; %bb.1180:                             ;   in Loop: Header=BB324_1064 Depth=1
	v_bfrev_b32_e32 v13, 1
	s_mov_b32 s13, exec_lo
	v_cmpx_ne_u16_e32 0x80, v0
	s_cbranch_execz .LBB324_1186
; %bb.1181:                             ;   in Loop: Header=BB324_1064 Depth=1
	v_bfe_u32 v14, v12, 16, 7
	v_mov_b32_e32 v13, 0x7fc02000
	s_mov_b32 s15, exec_lo
	s_delay_alu instid0(VALU_DEP_2)
	v_cmpx_ne_u32_e32 0x7f, v14
	s_cbranch_execz .LBB324_1185
; %bb.1182:                             ;   in Loop: Header=BB324_1064 Depth=1
	v_and_b32_e32 v0, 7, v116
	v_lshrrev_b32_e32 v117, 3, v14
	v_cmp_gt_u32_e64 s1, 8, v14
	s_delay_alu instid0(VALU_DEP_3) | instskip(NEXT) | instid1(VALU_DEP_2)
	v_dual_mov_b32 v14, v1 :: v_dual_mov_b32 v13, v0
	s_and_saveexec_b32 s16, s1
; %bb.1183:                             ;   in Loop: Header=BB324_1064 Depth=1
	v_clz_i32_u32_e32 v13, v0
	s_delay_alu instid0(VALU_DEP_1) | instskip(NEXT) | instid1(VALU_DEP_1)
	v_min_u32_e32 v117, 32, v13
	v_subrev_nc_u32_e32 v13, 28, v117
	v_sub_nc_u32_e32 v117, 29, v117
	s_delay_alu instid0(VALU_DEP_2) | instskip(NEXT) | instid1(VALU_DEP_1)
	v_lshlrev_b64 v[13:14], v13, v[0:1]
	v_and_b32_e32 v13, 7, v13
; %bb.1184:                             ;   in Loop: Header=BB324_1064 Depth=1
	s_or_b32 exec_lo, exec_lo, s16
	v_lshlrev_b32_e32 v0, 8, v116
	v_lshl_add_u32 v14, v117, 10, 0x2000
	s_delay_alu instid0(VALU_DEP_1) | instskip(NEXT) | instid1(VALU_DEP_1)
	v_and_or_b32 v0, 0x8000, v0, v14
	v_lshl_or_b32 v0, v13, 7, v0
	s_delay_alu instid0(VALU_DEP_1)
	v_cvt_f32_f16_e32 v13, v0
.LBB324_1185:                           ;   in Loop: Header=BB324_1064 Depth=1
	s_or_b32 exec_lo, exec_lo, s15
.LBB324_1186:                           ;   in Loop: Header=BB324_1064 Depth=1
	s_delay_alu instid0(SALU_CYCLE_1)
	s_or_b32 exec_lo, exec_lo, s13
.LBB324_1187:                           ;   in Loop: Header=BB324_1064 Depth=1
	s_delay_alu instid0(SALU_CYCLE_1) | instskip(NEXT) | instid1(SALU_CYCLE_1)
	s_or_b32 exec_lo, exec_lo, s12
	s_mov_b32 s12, exec_lo
	v_cmpx_lt_u64_e64 s[8:9], v[11:12]
	s_cbranch_execz .LBB324_1195
; %bb.1188:                             ;   in Loop: Header=BB324_1064 Depth=1
	v_lshrrev_b32_e32 v14, 24, v12
	v_bfrev_b32_e32 v115, 1
	s_mov_b32 s13, exec_lo
	s_delay_alu instid0(VALU_DEP_2)
	v_cmpx_ne_u32_e32 0x80, v14
	s_cbranch_execz .LBB324_1194
; %bb.1189:                             ;   in Loop: Header=BB324_1064 Depth=1
	v_and_b32_e32 v11, 0x7f, v14
	v_mov_b32_e32 v115, 0x7fc02000
	s_mov_b32 s15, exec_lo
	s_delay_alu instid0(VALU_DEP_2)
	v_cmpx_ne_u32_e32 0x7f, v11
	s_cbranch_execz .LBB324_1193
; %bb.1190:                             ;   in Loop: Header=BB324_1064 Depth=1
	v_and_b32_e32 v0, 7, v14
	v_lshrrev_b32_e32 v115, 3, v11
	v_cmp_gt_u32_e64 s1, 8, v11
	s_delay_alu instid0(VALU_DEP_3) | instskip(NEXT) | instid1(VALU_DEP_2)
	v_dual_mov_b32 v12, v1 :: v_dual_mov_b32 v11, v0
	s_and_saveexec_b32 s16, s1
; %bb.1191:                             ;   in Loop: Header=BB324_1064 Depth=1
	v_clz_i32_u32_e32 v11, v0
	s_delay_alu instid0(VALU_DEP_1) | instskip(NEXT) | instid1(VALU_DEP_1)
	v_min_u32_e32 v115, 32, v11
	v_subrev_nc_u32_e32 v11, 28, v115
	v_sub_nc_u32_e32 v115, 29, v115
	s_delay_alu instid0(VALU_DEP_2) | instskip(NEXT) | instid1(VALU_DEP_1)
	v_lshlrev_b64 v[11:12], v11, v[0:1]
	v_and_b32_e32 v11, 7, v11
; %bb.1192:                             ;   in Loop: Header=BB324_1064 Depth=1
	s_or_b32 exec_lo, exec_lo, s16
	v_lshlrev_b32_e32 v0, 8, v14
	v_lshl_add_u32 v12, v115, 10, 0x2000
	s_delay_alu instid0(VALU_DEP_1) | instskip(NEXT) | instid1(VALU_DEP_1)
	v_and_or_b32 v0, 0x8000, v0, v12
	v_lshl_or_b32 v0, v11, 7, v0
	s_delay_alu instid0(VALU_DEP_1)
	v_cvt_f32_f16_e32 v115, v0
.LBB324_1193:                           ;   in Loop: Header=BB324_1064 Depth=1
	s_or_b32 exec_lo, exec_lo, s15
.LBB324_1194:                           ;   in Loop: Header=BB324_1064 Depth=1
	s_delay_alu instid0(SALU_CYCLE_1)
	s_or_b32 exec_lo, exec_lo, s13
.LBB324_1195:                           ;   in Loop: Header=BB324_1064 Depth=1
	s_delay_alu instid0(SALU_CYCLE_1)
	s_or_b32 exec_lo, exec_lo, s12
	s_waitcnt vmcnt(0) lgkmcnt(0)
	v_fma_mixlo_f16 v12, v100, v102, 0
	v_fma_mixlo_f16 v0, v100, v112, 0
	;; [unrolled: 1-line block ×5, first 2 shown]
	v_lshlrev_b32_e32 v14, 16, v12
	v_fma_mixlo_f16 v103, v100, v113, 0
	v_fma_mixlo_f16 v112, v100, v115, 0
	;; [unrolled: 1-line block ×3, first 2 shown]
	v_lshlrev_b32_e32 v0, 16, v0
	v_and_b32_e32 v11, 0xffff, v11
	v_and_b32_e32 v100, 0xffff, v101
	v_lshlrev_b32_e32 v101, 16, v102
	v_and_b32_e32 v102, 0xffff, v103
	v_lshlrev_b32_e32 v103, 16, v112
	v_and_b32_e32 v112, 0xffff, v12
	v_or_b32_e32 v13, v0, v11
	v_or_b32_e32 v14, v14, v100
	;; [unrolled: 1-line block ×3, first 2 shown]
	s_delay_alu instid0(VALU_DEP_4)
	v_or_b32_e32 v11, v103, v112
	s_and_saveexec_b32 s12, vcc_lo
	s_cbranch_execz .LBB324_1197
; %bb.1196:                             ;   in Loop: Header=BB324_1064 Depth=1
	v_cmp_lt_i32_e64 s1, v18, v38
	v_lshrrev_b32_e32 v100, 16, v14
	v_lshrrev_b32_e32 v101, 16, v13
	;; [unrolled: 1-line block ×4, first 2 shown]
	v_cndmask_b32_e64 v14, 0, v14, s1
	v_cmp_lt_i32_e64 s1, v99, v53
	s_delay_alu instid0(VALU_DEP_1) | instskip(SKIP_1) | instid1(VALU_DEP_2)
	v_cndmask_b32_e64 v100, 0, v100, s1
	v_cmp_lt_i32_e64 s1, v98, v53
	v_perm_b32 v14, v100, v14, 0x5040100
	s_delay_alu instid0(VALU_DEP_2) | instskip(SKIP_1) | instid1(VALU_DEP_1)
	v_cndmask_b32_e64 v101, 0, v101, s1
	v_cmp_lt_i32_e64 s1, v96, v38
	v_cndmask_b32_e64 v13, 0, v13, s1
	v_cmp_lt_i32_e64 s1, v84, v53
	s_delay_alu instid0(VALU_DEP_2) | instskip(NEXT) | instid1(VALU_DEP_2)
	v_perm_b32 v13, v101, v13, 0x5040100
	v_cndmask_b32_e64 v102, 0, v102, s1
	v_cmp_lt_i32_e64 s1, v83, v38
	s_delay_alu instid0(VALU_DEP_1) | instskip(SKIP_1) | instid1(VALU_DEP_2)
	v_cndmask_b32_e64 v0, 0, v0, s1
	v_cmp_lt_i32_e64 s1, v81, v53
	v_perm_b32 v0, v102, v0, 0x5040100
	s_delay_alu instid0(VALU_DEP_2) | instskip(SKIP_1) | instid1(VALU_DEP_1)
	v_cndmask_b32_e64 v11, 0, v11, s1
	v_cmp_lt_i32_e64 s1, v19, v38
	v_cndmask_b32_e64 v12, 0, v12, s1
	s_delay_alu instid0(VALU_DEP_1)
	v_perm_b32 v11, v11, v12, 0x5040100
.LBB324_1197:                           ;   in Loop: Header=BB324_1064 Depth=1
	s_or_b32 exec_lo, exec_lo, s12
	;;#ASMSTART
	v_pk_mul_f16 v12, v97, v14;

	;;#ASMEND
	;;#ASMSTART
	v_pk_mul_f16 v13, v87, v13;

	;;#ASMEND
	;; [unrolled: 4-line block ×4, first 2 shown]
	;;#ASMSTART
	v_pk_add_f16 v12, v12, v13;

	;;#ASMEND
	;;#ASMSTART
	v_pk_add_f16 v0, v12, v0;

	;;#ASMEND
	;; [unrolled: 4-line block ×3, first 2 shown]
	v_dual_mov_b32 v112, 0 :: v_dual_and_b32 v11, 0xffff, v0
	v_lshrrev_b32_e32 v0, 16, v0
	;;#ASMSTART
	v_cvt_f32_f16 v100, v11;
	;;#ASMEND
	;;#ASMSTART
	v_cvt_f32_f16 v101, v0;
	;;#ASMEND
	flat_load_b64 v[11:12], v[9:10] offset:512
	flat_load_b32 v102, v[26:27]
	s_mov_b32 s12, exec_lo
	s_waitcnt vmcnt(1) lgkmcnt(1)
	v_dual_mov_b32 v103, 0 :: v_dual_and_b32 v0, 0xff, v11
	s_delay_alu instid0(VALU_DEP_1)
	v_cmpx_ne_u16_e32 0, v0
	s_cbranch_execz .LBB324_1205
; %bb.1198:                             ;   in Loop: Header=BB324_1064 Depth=1
	v_bfrev_b32_e32 v103, 1
	s_mov_b32 s13, exec_lo
	v_cmpx_ne_u16_e32 0x80, v0
	s_cbranch_execz .LBB324_1204
; %bb.1199:                             ;   in Loop: Header=BB324_1064 Depth=1
	v_and_b32_e32 v13, 0x7f, v11
	v_mov_b32_e32 v103, 0x7fc02000
	s_mov_b32 s15, exec_lo
	s_delay_alu instid0(VALU_DEP_2)
	v_cmpx_ne_u32_e32 0x7f, v13
	s_cbranch_execz .LBB324_1203
; %bb.1200:                             ;   in Loop: Header=BB324_1064 Depth=1
	v_lshrrev_b32_e32 v0, 3, v13
	v_cmp_gt_u32_e64 s1, 8, v13
	v_dual_mov_b32 v14, v12 :: v_dual_mov_b32 v13, v11
	s_delay_alu instid0(VALU_DEP_2)
	s_and_saveexec_b32 s16, s1
; %bb.1201:                             ;   in Loop: Header=BB324_1064 Depth=1
	v_and_b32_e32 v0, 7, v11
	s_delay_alu instid0(VALU_DEP_1) | instskip(NEXT) | instid1(VALU_DEP_1)
	v_clz_i32_u32_e32 v0, v0
	v_min_u32_e32 v0, 32, v0
	s_delay_alu instid0(VALU_DEP_1) | instskip(SKIP_1) | instid1(VALU_DEP_2)
	v_subrev_nc_u32_e32 v13, 28, v0
	v_sub_nc_u32_e32 v0, 29, v0
	v_lshlrev_b64 v[13:14], v13, v[11:12]
; %bb.1202:                             ;   in Loop: Header=BB324_1064 Depth=1
	s_or_b32 exec_lo, exec_lo, s16
	v_lshlrev_b32_e32 v14, 8, v11
	s_delay_alu instid0(VALU_DEP_3) | instskip(NEXT) | instid1(VALU_DEP_3)
	v_lshl_add_u32 v0, v0, 10, 0x2000
	v_lshlrev_b32_e32 v13, 7, v13
	s_delay_alu instid0(VALU_DEP_2) | instskip(NEXT) | instid1(VALU_DEP_1)
	v_and_or_b32 v0, 0x8000, v14, v0
	v_and_or_b32 v0, 0x380, v13, v0
	s_delay_alu instid0(VALU_DEP_1)
	v_cvt_f32_f16_e32 v103, v0
.LBB324_1203:                           ;   in Loop: Header=BB324_1064 Depth=1
	s_or_b32 exec_lo, exec_lo, s15
.LBB324_1204:                           ;   in Loop: Header=BB324_1064 Depth=1
	s_delay_alu instid0(SALU_CYCLE_1)
	s_or_b32 exec_lo, exec_lo, s13
.LBB324_1205:                           ;   in Loop: Header=BB324_1064 Depth=1
	s_delay_alu instid0(SALU_CYCLE_1) | instskip(SKIP_2) | instid1(VALU_DEP_1)
	s_or_b32 exec_lo, exec_lo, s12
	v_lshrrev_b16 v0, 8, v11
	s_mov_b32 s12, exec_lo
	v_cmpx_ne_u16_e32 0, v0
	s_cbranch_execz .LBB324_1213
; %bb.1206:                             ;   in Loop: Header=BB324_1064 Depth=1
	v_bfrev_b32_e32 v112, 1
	s_mov_b32 s13, exec_lo
	v_cmpx_ne_u16_e32 0x80, v0
	s_cbranch_execz .LBB324_1212
; %bb.1207:                             ;   in Loop: Header=BB324_1064 Depth=1
	v_and_b32_e32 v113, 0xffff, v0
	v_mov_b32_e32 v112, 0x7fc02000
	s_mov_b32 s15, exec_lo
	s_delay_alu instid0(VALU_DEP_2) | instskip(NEXT) | instid1(VALU_DEP_1)
	v_and_b32_e32 v13, 0x7f, v113
	v_cmpx_ne_u32_e32 0x7f, v13
	s_cbranch_execz .LBB324_1211
; %bb.1208:                             ;   in Loop: Header=BB324_1064 Depth=1
	v_and_b32_e32 v0, 7, v113
	v_lshrrev_b32_e32 v112, 3, v13
	v_cmp_gt_u32_e64 s1, 8, v13
	s_delay_alu instid0(VALU_DEP_3) | instskip(NEXT) | instid1(VALU_DEP_2)
	v_dual_mov_b32 v14, v1 :: v_dual_mov_b32 v13, v0
	s_and_saveexec_b32 s16, s1
; %bb.1209:                             ;   in Loop: Header=BB324_1064 Depth=1
	v_clz_i32_u32_e32 v13, v0
	s_delay_alu instid0(VALU_DEP_1) | instskip(NEXT) | instid1(VALU_DEP_1)
	v_min_u32_e32 v112, 32, v13
	v_subrev_nc_u32_e32 v13, 28, v112
	v_sub_nc_u32_e32 v112, 29, v112
	s_delay_alu instid0(VALU_DEP_2) | instskip(NEXT) | instid1(VALU_DEP_1)
	v_lshlrev_b64 v[13:14], v13, v[0:1]
	v_and_b32_e32 v13, 7, v13
; %bb.1210:                             ;   in Loop: Header=BB324_1064 Depth=1
	s_or_b32 exec_lo, exec_lo, s16
	v_lshlrev_b32_e32 v0, 8, v113
	v_lshl_add_u32 v14, v112, 10, 0x2000
	s_delay_alu instid0(VALU_DEP_1) | instskip(NEXT) | instid1(VALU_DEP_1)
	v_and_or_b32 v0, 0x8000, v0, v14
	v_lshl_or_b32 v0, v13, 7, v0
	s_delay_alu instid0(VALU_DEP_1)
	v_cvt_f32_f16_e32 v112, v0
.LBB324_1211:                           ;   in Loop: Header=BB324_1064 Depth=1
	s_or_b32 exec_lo, exec_lo, s15
.LBB324_1212:                           ;   in Loop: Header=BB324_1064 Depth=1
	s_delay_alu instid0(SALU_CYCLE_1)
	s_or_b32 exec_lo, exec_lo, s13
.LBB324_1213:                           ;   in Loop: Header=BB324_1064 Depth=1
	s_delay_alu instid0(SALU_CYCLE_1) | instskip(SKIP_3) | instid1(VALU_DEP_2)
	s_or_b32 exec_lo, exec_lo, s12
	v_lshrrev_b32_e32 v115, 16, v11
	v_mov_b32_e32 v114, 0
	s_mov_b32 s12, exec_lo
	v_dual_mov_b32 v113, 0 :: v_dual_and_b32 v0, 0xff, v115
	s_delay_alu instid0(VALU_DEP_1)
	v_cmpx_ne_u16_e32 0, v0
	s_cbranch_execz .LBB324_1221
; %bb.1214:                             ;   in Loop: Header=BB324_1064 Depth=1
	v_bfrev_b32_e32 v113, 1
	s_mov_b32 s13, exec_lo
	v_cmpx_ne_u16_e32 0x80, v0
	s_cbranch_execz .LBB324_1220
; %bb.1215:                             ;   in Loop: Header=BB324_1064 Depth=1
	v_bfe_u32 v13, v11, 16, 7
	v_mov_b32_e32 v113, 0x7fc02000
	s_mov_b32 s15, exec_lo
	s_delay_alu instid0(VALU_DEP_2)
	v_cmpx_ne_u32_e32 0x7f, v13
	s_cbranch_execz .LBB324_1219
; %bb.1216:                             ;   in Loop: Header=BB324_1064 Depth=1
	v_and_b32_e32 v0, 7, v115
	v_lshrrev_b32_e32 v113, 3, v13
	v_cmp_gt_u32_e64 s1, 8, v13
	s_delay_alu instid0(VALU_DEP_3) | instskip(NEXT) | instid1(VALU_DEP_2)
	v_dual_mov_b32 v14, v1 :: v_dual_mov_b32 v13, v0
	s_and_saveexec_b32 s16, s1
; %bb.1217:                             ;   in Loop: Header=BB324_1064 Depth=1
	v_clz_i32_u32_e32 v13, v0
	s_delay_alu instid0(VALU_DEP_1) | instskip(NEXT) | instid1(VALU_DEP_1)
	v_min_u32_e32 v113, 32, v13
	v_subrev_nc_u32_e32 v13, 28, v113
	v_sub_nc_u32_e32 v113, 29, v113
	s_delay_alu instid0(VALU_DEP_2) | instskip(NEXT) | instid1(VALU_DEP_1)
	v_lshlrev_b64 v[13:14], v13, v[0:1]
	v_and_b32_e32 v13, 7, v13
; %bb.1218:                             ;   in Loop: Header=BB324_1064 Depth=1
	s_or_b32 exec_lo, exec_lo, s16
	v_lshlrev_b32_e32 v0, 8, v115
	v_lshl_add_u32 v14, v113, 10, 0x2000
	s_delay_alu instid0(VALU_DEP_1) | instskip(NEXT) | instid1(VALU_DEP_1)
	v_and_or_b32 v0, 0x8000, v0, v14
	v_lshl_or_b32 v0, v13, 7, v0
	s_delay_alu instid0(VALU_DEP_1)
	v_cvt_f32_f16_e32 v113, v0
.LBB324_1219:                           ;   in Loop: Header=BB324_1064 Depth=1
	s_or_b32 exec_lo, exec_lo, s15
.LBB324_1220:                           ;   in Loop: Header=BB324_1064 Depth=1
	s_delay_alu instid0(SALU_CYCLE_1)
	s_or_b32 exec_lo, exec_lo, s13
.LBB324_1221:                           ;   in Loop: Header=BB324_1064 Depth=1
	s_delay_alu instid0(SALU_CYCLE_1) | instskip(NEXT) | instid1(SALU_CYCLE_1)
	s_or_b32 exec_lo, exec_lo, s12
	s_mov_b32 s12, exec_lo
	v_cmpx_lt_u32_e32 0xffffff, v11
	s_cbranch_execz .LBB324_1229
; %bb.1222:                             ;   in Loop: Header=BB324_1064 Depth=1
	v_lshrrev_b32_e32 v115, 24, v11
	v_bfrev_b32_e32 v114, 1
	s_mov_b32 s13, exec_lo
	s_delay_alu instid0(VALU_DEP_2)
	v_cmpx_ne_u32_e32 0x80, v115
	s_cbranch_execz .LBB324_1228
; %bb.1223:                             ;   in Loop: Header=BB324_1064 Depth=1
	v_and_b32_e32 v13, 0x7f, v115
	v_mov_b32_e32 v114, 0x7fc02000
	s_mov_b32 s15, exec_lo
	s_delay_alu instid0(VALU_DEP_2)
	v_cmpx_ne_u32_e32 0x7f, v13
	s_cbranch_execz .LBB324_1227
; %bb.1224:                             ;   in Loop: Header=BB324_1064 Depth=1
	v_and_b32_e32 v0, 7, v115
	v_lshrrev_b32_e32 v114, 3, v13
	v_cmp_gt_u32_e64 s1, 8, v13
	s_delay_alu instid0(VALU_DEP_3) | instskip(NEXT) | instid1(VALU_DEP_2)
	v_dual_mov_b32 v14, v1 :: v_dual_mov_b32 v13, v0
	s_and_saveexec_b32 s16, s1
; %bb.1225:                             ;   in Loop: Header=BB324_1064 Depth=1
	v_clz_i32_u32_e32 v13, v0
	s_delay_alu instid0(VALU_DEP_1) | instskip(NEXT) | instid1(VALU_DEP_1)
	v_min_u32_e32 v114, 32, v13
	v_subrev_nc_u32_e32 v13, 28, v114
	v_sub_nc_u32_e32 v114, 29, v114
	s_delay_alu instid0(VALU_DEP_2) | instskip(NEXT) | instid1(VALU_DEP_1)
	v_lshlrev_b64 v[13:14], v13, v[0:1]
	v_and_b32_e32 v13, 7, v13
; %bb.1226:                             ;   in Loop: Header=BB324_1064 Depth=1
	s_or_b32 exec_lo, exec_lo, s16
	v_lshlrev_b32_e32 v0, 8, v115
	v_lshl_add_u32 v14, v114, 10, 0x2000
	s_delay_alu instid0(VALU_DEP_1) | instskip(NEXT) | instid1(VALU_DEP_1)
	v_and_or_b32 v0, 0x8000, v0, v14
	v_lshl_or_b32 v0, v13, 7, v0
	s_delay_alu instid0(VALU_DEP_1)
	v_cvt_f32_f16_e32 v114, v0
.LBB324_1227:                           ;   in Loop: Header=BB324_1064 Depth=1
	s_or_b32 exec_lo, exec_lo, s15
.LBB324_1228:                           ;   in Loop: Header=BB324_1064 Depth=1
	s_delay_alu instid0(SALU_CYCLE_1)
	s_or_b32 exec_lo, exec_lo, s13
.LBB324_1229:                           ;   in Loop: Header=BB324_1064 Depth=1
	s_delay_alu instid0(SALU_CYCLE_1) | instskip(SKIP_3) | instid1(VALU_DEP_2)
	s_or_b32 exec_lo, exec_lo, s12
	v_dual_mov_b32 v0, v12 :: v_dual_and_b32 v13, 0xff, v12
	v_dual_mov_b32 v116, 0 :: v_dual_mov_b32 v115, 0
	s_mov_b32 s12, exec_lo
	v_cmpx_ne_u16_e32 0, v13
	s_cbranch_execz .LBB324_1237
; %bb.1230:                             ;   in Loop: Header=BB324_1064 Depth=1
	v_bfrev_b32_e32 v115, 1
	s_mov_b32 s13, exec_lo
	v_cmpx_ne_u16_e32 0x80, v13
	s_cbranch_execz .LBB324_1236
; %bb.1231:                             ;   in Loop: Header=BB324_1064 Depth=1
	v_and_b32_e32 v13, 0x7f, v12
	v_mov_b32_e32 v115, 0x7fc02000
	s_mov_b32 s15, exec_lo
	s_delay_alu instid0(VALU_DEP_2)
	v_cmpx_ne_u32_e32 0x7f, v13
	s_cbranch_execz .LBB324_1235
; %bb.1232:                             ;   in Loop: Header=BB324_1064 Depth=1
	v_lshrrev_b32_e32 v115, 3, v13
	v_cmp_gt_u32_e64 s1, 8, v13
	v_dual_mov_b32 v14, v1 :: v_dual_mov_b32 v13, v0
	s_delay_alu instid0(VALU_DEP_2)
	s_and_saveexec_b32 s16, s1
; %bb.1233:                             ;   in Loop: Header=BB324_1064 Depth=1
	v_and_b32_e32 v13, 7, v12
	s_delay_alu instid0(VALU_DEP_1) | instskip(NEXT) | instid1(VALU_DEP_1)
	v_clz_i32_u32_e32 v13, v13
	v_min_u32_e32 v115, 32, v13
	s_delay_alu instid0(VALU_DEP_1) | instskip(SKIP_1) | instid1(VALU_DEP_2)
	v_subrev_nc_u32_e32 v13, 28, v115
	v_sub_nc_u32_e32 v115, 29, v115
	v_lshlrev_b64 v[13:14], v13, v[0:1]
; %bb.1234:                             ;   in Loop: Header=BB324_1064 Depth=1
	s_or_b32 exec_lo, exec_lo, s16
	v_lshlrev_b32_e32 v14, 8, v12
	s_delay_alu instid0(VALU_DEP_3) | instskip(NEXT) | instid1(VALU_DEP_3)
	v_lshl_add_u32 v115, v115, 10, 0x2000
	v_lshlrev_b32_e32 v13, 7, v13
	s_delay_alu instid0(VALU_DEP_2) | instskip(NEXT) | instid1(VALU_DEP_1)
	v_and_or_b32 v14, 0x8000, v14, v115
	v_and_or_b32 v13, 0x380, v13, v14
	s_delay_alu instid0(VALU_DEP_1)
	v_cvt_f32_f16_e32 v115, v13
.LBB324_1235:                           ;   in Loop: Header=BB324_1064 Depth=1
	s_or_b32 exec_lo, exec_lo, s15
.LBB324_1236:                           ;   in Loop: Header=BB324_1064 Depth=1
	s_delay_alu instid0(SALU_CYCLE_1)
	s_or_b32 exec_lo, exec_lo, s13
.LBB324_1237:                           ;   in Loop: Header=BB324_1064 Depth=1
	s_delay_alu instid0(SALU_CYCLE_1) | instskip(SKIP_2) | instid1(VALU_DEP_1)
	s_or_b32 exec_lo, exec_lo, s12
	v_lshrrev_b16 v0, 8, v0
	s_mov_b32 s12, exec_lo
	v_cmpx_ne_u16_e32 0, v0
	s_cbranch_execz .LBB324_1245
; %bb.1238:                             ;   in Loop: Header=BB324_1064 Depth=1
	v_bfrev_b32_e32 v116, 1
	s_mov_b32 s13, exec_lo
	v_cmpx_ne_u16_e32 0x80, v0
	s_cbranch_execz .LBB324_1244
; %bb.1239:                             ;   in Loop: Header=BB324_1064 Depth=1
	v_and_b32_e32 v117, 0xffff, v0
	v_mov_b32_e32 v116, 0x7fc02000
	s_mov_b32 s15, exec_lo
	s_delay_alu instid0(VALU_DEP_2) | instskip(NEXT) | instid1(VALU_DEP_1)
	v_and_b32_e32 v13, 0x7f, v117
	v_cmpx_ne_u32_e32 0x7f, v13
	s_cbranch_execz .LBB324_1243
; %bb.1240:                             ;   in Loop: Header=BB324_1064 Depth=1
	v_and_b32_e32 v0, 7, v117
	v_lshrrev_b32_e32 v116, 3, v13
	v_cmp_gt_u32_e64 s1, 8, v13
	s_delay_alu instid0(VALU_DEP_3) | instskip(NEXT) | instid1(VALU_DEP_2)
	v_dual_mov_b32 v14, v1 :: v_dual_mov_b32 v13, v0
	s_and_saveexec_b32 s16, s1
; %bb.1241:                             ;   in Loop: Header=BB324_1064 Depth=1
	v_clz_i32_u32_e32 v13, v0
	s_delay_alu instid0(VALU_DEP_1) | instskip(NEXT) | instid1(VALU_DEP_1)
	v_min_u32_e32 v116, 32, v13
	v_subrev_nc_u32_e32 v13, 28, v116
	v_sub_nc_u32_e32 v116, 29, v116
	s_delay_alu instid0(VALU_DEP_2) | instskip(NEXT) | instid1(VALU_DEP_1)
	v_lshlrev_b64 v[13:14], v13, v[0:1]
	v_and_b32_e32 v13, 7, v13
; %bb.1242:                             ;   in Loop: Header=BB324_1064 Depth=1
	s_or_b32 exec_lo, exec_lo, s16
	v_lshlrev_b32_e32 v0, 8, v117
	v_lshl_add_u32 v14, v116, 10, 0x2000
	s_delay_alu instid0(VALU_DEP_1) | instskip(NEXT) | instid1(VALU_DEP_1)
	v_and_or_b32 v0, 0x8000, v0, v14
	v_lshl_or_b32 v0, v13, 7, v0
	s_delay_alu instid0(VALU_DEP_1)
	v_cvt_f32_f16_e32 v116, v0
.LBB324_1243:                           ;   in Loop: Header=BB324_1064 Depth=1
	s_or_b32 exec_lo, exec_lo, s15
.LBB324_1244:                           ;   in Loop: Header=BB324_1064 Depth=1
	s_delay_alu instid0(SALU_CYCLE_1)
	s_or_b32 exec_lo, exec_lo, s13
.LBB324_1245:                           ;   in Loop: Header=BB324_1064 Depth=1
	s_delay_alu instid0(SALU_CYCLE_1) | instskip(SKIP_3) | instid1(VALU_DEP_2)
	s_or_b32 exec_lo, exec_lo, s12
	v_lshrrev_b32_e32 v118, 16, v12
	v_mov_b32_e32 v13, 0
	s_mov_b32 s12, exec_lo
	v_dual_mov_b32 v117, 0 :: v_dual_and_b32 v0, 0xff, v118
	s_delay_alu instid0(VALU_DEP_1)
	v_cmpx_ne_u16_e32 0, v0
	s_cbranch_execz .LBB324_1253
; %bb.1246:                             ;   in Loop: Header=BB324_1064 Depth=1
	v_bfrev_b32_e32 v13, 1
	s_mov_b32 s13, exec_lo
	v_cmpx_ne_u16_e32 0x80, v0
	s_cbranch_execz .LBB324_1252
; %bb.1247:                             ;   in Loop: Header=BB324_1064 Depth=1
	v_bfe_u32 v14, v12, 16, 7
	v_mov_b32_e32 v13, 0x7fc02000
	s_mov_b32 s15, exec_lo
	s_delay_alu instid0(VALU_DEP_2)
	v_cmpx_ne_u32_e32 0x7f, v14
	s_cbranch_execz .LBB324_1251
; %bb.1248:                             ;   in Loop: Header=BB324_1064 Depth=1
	v_and_b32_e32 v0, 7, v118
	v_lshrrev_b32_e32 v119, 3, v14
	v_cmp_gt_u32_e64 s1, 8, v14
	s_delay_alu instid0(VALU_DEP_3) | instskip(NEXT) | instid1(VALU_DEP_2)
	v_dual_mov_b32 v14, v1 :: v_dual_mov_b32 v13, v0
	s_and_saveexec_b32 s16, s1
; %bb.1249:                             ;   in Loop: Header=BB324_1064 Depth=1
	v_clz_i32_u32_e32 v13, v0
	s_delay_alu instid0(VALU_DEP_1) | instskip(NEXT) | instid1(VALU_DEP_1)
	v_min_u32_e32 v119, 32, v13
	v_subrev_nc_u32_e32 v13, 28, v119
	v_sub_nc_u32_e32 v119, 29, v119
	s_delay_alu instid0(VALU_DEP_2) | instskip(NEXT) | instid1(VALU_DEP_1)
	v_lshlrev_b64 v[13:14], v13, v[0:1]
	v_and_b32_e32 v13, 7, v13
; %bb.1250:                             ;   in Loop: Header=BB324_1064 Depth=1
	s_or_b32 exec_lo, exec_lo, s16
	v_lshlrev_b32_e32 v0, 8, v118
	v_lshl_add_u32 v14, v119, 10, 0x2000
	s_delay_alu instid0(VALU_DEP_1) | instskip(NEXT) | instid1(VALU_DEP_1)
	v_and_or_b32 v0, 0x8000, v0, v14
	v_lshl_or_b32 v0, v13, 7, v0
	s_delay_alu instid0(VALU_DEP_1)
	v_cvt_f32_f16_e32 v13, v0
.LBB324_1251:                           ;   in Loop: Header=BB324_1064 Depth=1
	s_or_b32 exec_lo, exec_lo, s15
.LBB324_1252:                           ;   in Loop: Header=BB324_1064 Depth=1
	s_delay_alu instid0(SALU_CYCLE_1)
	s_or_b32 exec_lo, exec_lo, s13
.LBB324_1253:                           ;   in Loop: Header=BB324_1064 Depth=1
	s_delay_alu instid0(SALU_CYCLE_1) | instskip(NEXT) | instid1(SALU_CYCLE_1)
	s_or_b32 exec_lo, exec_lo, s12
	s_mov_b32 s12, exec_lo
	v_cmpx_lt_u64_e64 s[8:9], v[11:12]
	s_cbranch_execz .LBB324_1261
; %bb.1254:                             ;   in Loop: Header=BB324_1064 Depth=1
	v_lshrrev_b32_e32 v14, 24, v12
	v_bfrev_b32_e32 v117, 1
	s_mov_b32 s13, exec_lo
	s_delay_alu instid0(VALU_DEP_2)
	v_cmpx_ne_u32_e32 0x80, v14
	s_cbranch_execz .LBB324_1260
; %bb.1255:                             ;   in Loop: Header=BB324_1064 Depth=1
	v_and_b32_e32 v11, 0x7f, v14
	v_mov_b32_e32 v117, 0x7fc02000
	s_mov_b32 s15, exec_lo
	s_delay_alu instid0(VALU_DEP_2)
	v_cmpx_ne_u32_e32 0x7f, v11
	s_cbranch_execz .LBB324_1259
; %bb.1256:                             ;   in Loop: Header=BB324_1064 Depth=1
	v_and_b32_e32 v0, 7, v14
	v_lshrrev_b32_e32 v117, 3, v11
	v_cmp_gt_u32_e64 s1, 8, v11
	s_delay_alu instid0(VALU_DEP_3) | instskip(NEXT) | instid1(VALU_DEP_2)
	v_dual_mov_b32 v12, v1 :: v_dual_mov_b32 v11, v0
	s_and_saveexec_b32 s16, s1
; %bb.1257:                             ;   in Loop: Header=BB324_1064 Depth=1
	v_clz_i32_u32_e32 v11, v0
	s_delay_alu instid0(VALU_DEP_1) | instskip(NEXT) | instid1(VALU_DEP_1)
	v_min_u32_e32 v117, 32, v11
	v_subrev_nc_u32_e32 v11, 28, v117
	v_sub_nc_u32_e32 v117, 29, v117
	s_delay_alu instid0(VALU_DEP_2) | instskip(NEXT) | instid1(VALU_DEP_1)
	v_lshlrev_b64 v[11:12], v11, v[0:1]
	v_and_b32_e32 v11, 7, v11
; %bb.1258:                             ;   in Loop: Header=BB324_1064 Depth=1
	s_or_b32 exec_lo, exec_lo, s16
	v_lshlrev_b32_e32 v0, 8, v14
	v_lshl_add_u32 v12, v117, 10, 0x2000
	s_delay_alu instid0(VALU_DEP_1) | instskip(NEXT) | instid1(VALU_DEP_1)
	v_and_or_b32 v0, 0x8000, v0, v12
	v_lshl_or_b32 v0, v11, 7, v0
	s_delay_alu instid0(VALU_DEP_1)
	v_cvt_f32_f16_e32 v117, v0
.LBB324_1259:                           ;   in Loop: Header=BB324_1064 Depth=1
	s_or_b32 exec_lo, exec_lo, s15
.LBB324_1260:                           ;   in Loop: Header=BB324_1064 Depth=1
	s_delay_alu instid0(SALU_CYCLE_1)
	s_or_b32 exec_lo, exec_lo, s13
.LBB324_1261:                           ;   in Loop: Header=BB324_1064 Depth=1
	s_delay_alu instid0(SALU_CYCLE_1)
	s_or_b32 exec_lo, exec_lo, s12
	s_waitcnt vmcnt(0) lgkmcnt(0)
	v_fma_mixlo_f16 v12, v102, v112, 0
	v_fma_mixlo_f16 v0, v102, v114, 0
	;; [unrolled: 1-line block ×5, first 2 shown]
	v_lshlrev_b32_e32 v14, 16, v12
	v_fma_mixlo_f16 v113, v102, v115, 0
	v_fma_mixlo_f16 v114, v102, v117, 0
	;; [unrolled: 1-line block ×3, first 2 shown]
	v_lshlrev_b32_e32 v0, 16, v0
	v_and_b32_e32 v11, 0xffff, v11
	v_and_b32_e32 v102, 0xffff, v103
	v_lshlrev_b32_e32 v103, 16, v112
	v_and_b32_e32 v112, 0xffff, v113
	v_lshlrev_b32_e32 v113, 16, v114
	v_and_b32_e32 v114, 0xffff, v12
	v_or_b32_e32 v13, v0, v11
	v_or_b32_e32 v14, v14, v102
	;; [unrolled: 1-line block ×3, first 2 shown]
	s_delay_alu instid0(VALU_DEP_4)
	v_or_b32_e32 v11, v113, v114
	s_and_saveexec_b32 s12, vcc_lo
	s_cbranch_execz .LBB324_1263
; %bb.1262:                             ;   in Loop: Header=BB324_1064 Depth=1
	v_cmp_lt_i32_e64 s1, v18, v38
	v_lshrrev_b32_e32 v102, 16, v14
	v_lshrrev_b32_e32 v103, 16, v13
	;; [unrolled: 1-line block ×4, first 2 shown]
	v_cndmask_b32_e64 v14, 0, v14, s1
	v_cmp_lt_i32_e64 s1, v99, v53
	s_delay_alu instid0(VALU_DEP_1) | instskip(SKIP_1) | instid1(VALU_DEP_2)
	v_cndmask_b32_e64 v102, 0, v102, s1
	v_cmp_lt_i32_e64 s1, v98, v53
	v_perm_b32 v14, v102, v14, 0x5040100
	s_delay_alu instid0(VALU_DEP_2) | instskip(SKIP_1) | instid1(VALU_DEP_1)
	v_cndmask_b32_e64 v103, 0, v103, s1
	v_cmp_lt_i32_e64 s1, v96, v38
	v_cndmask_b32_e64 v13, 0, v13, s1
	v_cmp_lt_i32_e64 s1, v84, v53
	s_delay_alu instid0(VALU_DEP_2) | instskip(NEXT) | instid1(VALU_DEP_2)
	v_perm_b32 v13, v103, v13, 0x5040100
	v_cndmask_b32_e64 v112, 0, v112, s1
	v_cmp_lt_i32_e64 s1, v83, v38
	s_delay_alu instid0(VALU_DEP_1) | instskip(SKIP_1) | instid1(VALU_DEP_2)
	v_cndmask_b32_e64 v0, 0, v0, s1
	v_cmp_lt_i32_e64 s1, v81, v53
	v_perm_b32 v0, v112, v0, 0x5040100
	s_delay_alu instid0(VALU_DEP_2) | instskip(SKIP_1) | instid1(VALU_DEP_1)
	v_cndmask_b32_e64 v11, 0, v11, s1
	v_cmp_lt_i32_e64 s1, v19, v38
	v_cndmask_b32_e64 v12, 0, v12, s1
	s_delay_alu instid0(VALU_DEP_1)
	v_perm_b32 v11, v11, v12, 0x5040100
.LBB324_1263:                           ;   in Loop: Header=BB324_1064 Depth=1
	s_or_b32 exec_lo, exec_lo, s12
	;;#ASMSTART
	v_pk_mul_f16 v12, v97, v14;

	;;#ASMEND
	;;#ASMSTART
	v_pk_mul_f16 v13, v87, v13;

	;;#ASMEND
	;; [unrolled: 4-line block ×4, first 2 shown]
	;;#ASMSTART
	v_pk_add_f16 v12, v12, v13;

	;;#ASMEND
	;;#ASMSTART
	v_pk_add_f16 v0, v12, v0;

	;;#ASMEND
	;; [unrolled: 4-line block ×3, first 2 shown]
	v_dual_mov_b32 v114, 0 :: v_dual_and_b32 v11, 0xffff, v0
	v_lshrrev_b32_e32 v0, 16, v0
	;;#ASMSTART
	v_cvt_f32_f16 v102, v11;
	;;#ASMEND
	;;#ASMSTART
	v_cvt_f32_f16 v103, v0;
	;;#ASMEND
	flat_load_b64 v[11:12], v[9:10] offset:768
	flat_load_b32 v112, v[26:27]
	s_mov_b32 s12, exec_lo
	s_waitcnt vmcnt(1) lgkmcnt(1)
	v_dual_mov_b32 v113, 0 :: v_dual_and_b32 v0, 0xff, v11
	s_delay_alu instid0(VALU_DEP_1)
	v_cmpx_ne_u16_e32 0, v0
	s_cbranch_execz .LBB324_1271
; %bb.1264:                             ;   in Loop: Header=BB324_1064 Depth=1
	v_bfrev_b32_e32 v113, 1
	s_mov_b32 s13, exec_lo
	v_cmpx_ne_u16_e32 0x80, v0
	s_cbranch_execz .LBB324_1270
; %bb.1265:                             ;   in Loop: Header=BB324_1064 Depth=1
	v_and_b32_e32 v13, 0x7f, v11
	v_mov_b32_e32 v113, 0x7fc02000
	s_mov_b32 s15, exec_lo
	s_delay_alu instid0(VALU_DEP_2)
	v_cmpx_ne_u32_e32 0x7f, v13
	s_cbranch_execz .LBB324_1269
; %bb.1266:                             ;   in Loop: Header=BB324_1064 Depth=1
	v_lshrrev_b32_e32 v0, 3, v13
	v_cmp_gt_u32_e64 s1, 8, v13
	v_dual_mov_b32 v14, v12 :: v_dual_mov_b32 v13, v11
	s_delay_alu instid0(VALU_DEP_2)
	s_and_saveexec_b32 s16, s1
; %bb.1267:                             ;   in Loop: Header=BB324_1064 Depth=1
	v_and_b32_e32 v0, 7, v11
	s_delay_alu instid0(VALU_DEP_1) | instskip(NEXT) | instid1(VALU_DEP_1)
	v_clz_i32_u32_e32 v0, v0
	v_min_u32_e32 v0, 32, v0
	s_delay_alu instid0(VALU_DEP_1) | instskip(SKIP_1) | instid1(VALU_DEP_2)
	v_subrev_nc_u32_e32 v13, 28, v0
	v_sub_nc_u32_e32 v0, 29, v0
	v_lshlrev_b64 v[13:14], v13, v[11:12]
; %bb.1268:                             ;   in Loop: Header=BB324_1064 Depth=1
	s_or_b32 exec_lo, exec_lo, s16
	v_lshlrev_b32_e32 v14, 8, v11
	s_delay_alu instid0(VALU_DEP_3) | instskip(NEXT) | instid1(VALU_DEP_3)
	v_lshl_add_u32 v0, v0, 10, 0x2000
	v_lshlrev_b32_e32 v13, 7, v13
	s_delay_alu instid0(VALU_DEP_2) | instskip(NEXT) | instid1(VALU_DEP_1)
	v_and_or_b32 v0, 0x8000, v14, v0
	v_and_or_b32 v0, 0x380, v13, v0
	s_delay_alu instid0(VALU_DEP_1)
	v_cvt_f32_f16_e32 v113, v0
.LBB324_1269:                           ;   in Loop: Header=BB324_1064 Depth=1
	s_or_b32 exec_lo, exec_lo, s15
.LBB324_1270:                           ;   in Loop: Header=BB324_1064 Depth=1
	s_delay_alu instid0(SALU_CYCLE_1)
	s_or_b32 exec_lo, exec_lo, s13
.LBB324_1271:                           ;   in Loop: Header=BB324_1064 Depth=1
	s_delay_alu instid0(SALU_CYCLE_1) | instskip(SKIP_2) | instid1(VALU_DEP_1)
	s_or_b32 exec_lo, exec_lo, s12
	v_lshrrev_b16 v0, 8, v11
	s_mov_b32 s12, exec_lo
	v_cmpx_ne_u16_e32 0, v0
	s_cbranch_execz .LBB324_1279
; %bb.1272:                             ;   in Loop: Header=BB324_1064 Depth=1
	v_bfrev_b32_e32 v114, 1
	s_mov_b32 s13, exec_lo
	v_cmpx_ne_u16_e32 0x80, v0
	s_cbranch_execz .LBB324_1278
; %bb.1273:                             ;   in Loop: Header=BB324_1064 Depth=1
	v_and_b32_e32 v115, 0xffff, v0
	v_mov_b32_e32 v114, 0x7fc02000
	s_mov_b32 s15, exec_lo
	s_delay_alu instid0(VALU_DEP_2) | instskip(NEXT) | instid1(VALU_DEP_1)
	v_and_b32_e32 v13, 0x7f, v115
	v_cmpx_ne_u32_e32 0x7f, v13
	s_cbranch_execz .LBB324_1277
; %bb.1274:                             ;   in Loop: Header=BB324_1064 Depth=1
	v_and_b32_e32 v0, 7, v115
	v_lshrrev_b32_e32 v114, 3, v13
	v_cmp_gt_u32_e64 s1, 8, v13
	s_delay_alu instid0(VALU_DEP_3) | instskip(NEXT) | instid1(VALU_DEP_2)
	v_dual_mov_b32 v14, v1 :: v_dual_mov_b32 v13, v0
	s_and_saveexec_b32 s16, s1
; %bb.1275:                             ;   in Loop: Header=BB324_1064 Depth=1
	v_clz_i32_u32_e32 v13, v0
	s_delay_alu instid0(VALU_DEP_1) | instskip(NEXT) | instid1(VALU_DEP_1)
	v_min_u32_e32 v114, 32, v13
	v_subrev_nc_u32_e32 v13, 28, v114
	v_sub_nc_u32_e32 v114, 29, v114
	s_delay_alu instid0(VALU_DEP_2) | instskip(NEXT) | instid1(VALU_DEP_1)
	v_lshlrev_b64 v[13:14], v13, v[0:1]
	v_and_b32_e32 v13, 7, v13
; %bb.1276:                             ;   in Loop: Header=BB324_1064 Depth=1
	s_or_b32 exec_lo, exec_lo, s16
	v_lshlrev_b32_e32 v0, 8, v115
	v_lshl_add_u32 v14, v114, 10, 0x2000
	s_delay_alu instid0(VALU_DEP_1) | instskip(NEXT) | instid1(VALU_DEP_1)
	v_and_or_b32 v0, 0x8000, v0, v14
	v_lshl_or_b32 v0, v13, 7, v0
	s_delay_alu instid0(VALU_DEP_1)
	v_cvt_f32_f16_e32 v114, v0
.LBB324_1277:                           ;   in Loop: Header=BB324_1064 Depth=1
	s_or_b32 exec_lo, exec_lo, s15
.LBB324_1278:                           ;   in Loop: Header=BB324_1064 Depth=1
	s_delay_alu instid0(SALU_CYCLE_1)
	s_or_b32 exec_lo, exec_lo, s13
.LBB324_1279:                           ;   in Loop: Header=BB324_1064 Depth=1
	s_delay_alu instid0(SALU_CYCLE_1) | instskip(SKIP_3) | instid1(VALU_DEP_2)
	s_or_b32 exec_lo, exec_lo, s12
	v_lshrrev_b32_e32 v117, 16, v11
	v_mov_b32_e32 v116, 0
	s_mov_b32 s12, exec_lo
	v_dual_mov_b32 v115, 0 :: v_dual_and_b32 v0, 0xff, v117
	s_delay_alu instid0(VALU_DEP_1)
	v_cmpx_ne_u16_e32 0, v0
	s_cbranch_execz .LBB324_1287
; %bb.1280:                             ;   in Loop: Header=BB324_1064 Depth=1
	v_bfrev_b32_e32 v115, 1
	s_mov_b32 s13, exec_lo
	v_cmpx_ne_u16_e32 0x80, v0
	s_cbranch_execz .LBB324_1286
; %bb.1281:                             ;   in Loop: Header=BB324_1064 Depth=1
	v_bfe_u32 v13, v11, 16, 7
	v_mov_b32_e32 v115, 0x7fc02000
	s_mov_b32 s15, exec_lo
	s_delay_alu instid0(VALU_DEP_2)
	v_cmpx_ne_u32_e32 0x7f, v13
	s_cbranch_execz .LBB324_1285
; %bb.1282:                             ;   in Loop: Header=BB324_1064 Depth=1
	v_and_b32_e32 v0, 7, v117
	v_lshrrev_b32_e32 v115, 3, v13
	v_cmp_gt_u32_e64 s1, 8, v13
	s_delay_alu instid0(VALU_DEP_3) | instskip(NEXT) | instid1(VALU_DEP_2)
	v_dual_mov_b32 v14, v1 :: v_dual_mov_b32 v13, v0
	s_and_saveexec_b32 s16, s1
; %bb.1283:                             ;   in Loop: Header=BB324_1064 Depth=1
	v_clz_i32_u32_e32 v13, v0
	s_delay_alu instid0(VALU_DEP_1) | instskip(NEXT) | instid1(VALU_DEP_1)
	v_min_u32_e32 v115, 32, v13
	v_subrev_nc_u32_e32 v13, 28, v115
	v_sub_nc_u32_e32 v115, 29, v115
	s_delay_alu instid0(VALU_DEP_2) | instskip(NEXT) | instid1(VALU_DEP_1)
	v_lshlrev_b64 v[13:14], v13, v[0:1]
	v_and_b32_e32 v13, 7, v13
; %bb.1284:                             ;   in Loop: Header=BB324_1064 Depth=1
	s_or_b32 exec_lo, exec_lo, s16
	v_lshlrev_b32_e32 v0, 8, v117
	v_lshl_add_u32 v14, v115, 10, 0x2000
	s_delay_alu instid0(VALU_DEP_1) | instskip(NEXT) | instid1(VALU_DEP_1)
	v_and_or_b32 v0, 0x8000, v0, v14
	v_lshl_or_b32 v0, v13, 7, v0
	s_delay_alu instid0(VALU_DEP_1)
	v_cvt_f32_f16_e32 v115, v0
.LBB324_1285:                           ;   in Loop: Header=BB324_1064 Depth=1
	s_or_b32 exec_lo, exec_lo, s15
.LBB324_1286:                           ;   in Loop: Header=BB324_1064 Depth=1
	s_delay_alu instid0(SALU_CYCLE_1)
	s_or_b32 exec_lo, exec_lo, s13
.LBB324_1287:                           ;   in Loop: Header=BB324_1064 Depth=1
	s_delay_alu instid0(SALU_CYCLE_1) | instskip(NEXT) | instid1(SALU_CYCLE_1)
	s_or_b32 exec_lo, exec_lo, s12
	s_mov_b32 s12, exec_lo
	v_cmpx_lt_u32_e32 0xffffff, v11
	s_cbranch_execz .LBB324_1295
; %bb.1288:                             ;   in Loop: Header=BB324_1064 Depth=1
	v_lshrrev_b32_e32 v117, 24, v11
	v_bfrev_b32_e32 v116, 1
	s_mov_b32 s13, exec_lo
	s_delay_alu instid0(VALU_DEP_2)
	v_cmpx_ne_u32_e32 0x80, v117
	s_cbranch_execz .LBB324_1294
; %bb.1289:                             ;   in Loop: Header=BB324_1064 Depth=1
	v_and_b32_e32 v13, 0x7f, v117
	v_mov_b32_e32 v116, 0x7fc02000
	s_mov_b32 s15, exec_lo
	s_delay_alu instid0(VALU_DEP_2)
	v_cmpx_ne_u32_e32 0x7f, v13
	s_cbranch_execz .LBB324_1293
; %bb.1290:                             ;   in Loop: Header=BB324_1064 Depth=1
	v_and_b32_e32 v0, 7, v117
	v_lshrrev_b32_e32 v116, 3, v13
	v_cmp_gt_u32_e64 s1, 8, v13
	s_delay_alu instid0(VALU_DEP_3) | instskip(NEXT) | instid1(VALU_DEP_2)
	v_dual_mov_b32 v14, v1 :: v_dual_mov_b32 v13, v0
	s_and_saveexec_b32 s16, s1
; %bb.1291:                             ;   in Loop: Header=BB324_1064 Depth=1
	v_clz_i32_u32_e32 v13, v0
	s_delay_alu instid0(VALU_DEP_1) | instskip(NEXT) | instid1(VALU_DEP_1)
	v_min_u32_e32 v116, 32, v13
	v_subrev_nc_u32_e32 v13, 28, v116
	v_sub_nc_u32_e32 v116, 29, v116
	s_delay_alu instid0(VALU_DEP_2) | instskip(NEXT) | instid1(VALU_DEP_1)
	v_lshlrev_b64 v[13:14], v13, v[0:1]
	v_and_b32_e32 v13, 7, v13
; %bb.1292:                             ;   in Loop: Header=BB324_1064 Depth=1
	s_or_b32 exec_lo, exec_lo, s16
	v_lshlrev_b32_e32 v0, 8, v117
	v_lshl_add_u32 v14, v116, 10, 0x2000
	s_delay_alu instid0(VALU_DEP_1) | instskip(NEXT) | instid1(VALU_DEP_1)
	v_and_or_b32 v0, 0x8000, v0, v14
	v_lshl_or_b32 v0, v13, 7, v0
	s_delay_alu instid0(VALU_DEP_1)
	v_cvt_f32_f16_e32 v116, v0
.LBB324_1293:                           ;   in Loop: Header=BB324_1064 Depth=1
	s_or_b32 exec_lo, exec_lo, s15
.LBB324_1294:                           ;   in Loop: Header=BB324_1064 Depth=1
	s_delay_alu instid0(SALU_CYCLE_1)
	s_or_b32 exec_lo, exec_lo, s13
.LBB324_1295:                           ;   in Loop: Header=BB324_1064 Depth=1
	s_delay_alu instid0(SALU_CYCLE_1) | instskip(SKIP_3) | instid1(VALU_DEP_2)
	s_or_b32 exec_lo, exec_lo, s12
	v_dual_mov_b32 v0, v12 :: v_dual_and_b32 v13, 0xff, v12
	v_dual_mov_b32 v118, 0 :: v_dual_mov_b32 v117, 0
	s_mov_b32 s12, exec_lo
	v_cmpx_ne_u16_e32 0, v13
	s_cbranch_execz .LBB324_1303
; %bb.1296:                             ;   in Loop: Header=BB324_1064 Depth=1
	v_bfrev_b32_e32 v117, 1
	s_mov_b32 s13, exec_lo
	v_cmpx_ne_u16_e32 0x80, v13
	s_cbranch_execz .LBB324_1302
; %bb.1297:                             ;   in Loop: Header=BB324_1064 Depth=1
	v_and_b32_e32 v13, 0x7f, v12
	v_mov_b32_e32 v117, 0x7fc02000
	s_mov_b32 s15, exec_lo
	s_delay_alu instid0(VALU_DEP_2)
	v_cmpx_ne_u32_e32 0x7f, v13
	s_cbranch_execz .LBB324_1301
; %bb.1298:                             ;   in Loop: Header=BB324_1064 Depth=1
	v_lshrrev_b32_e32 v117, 3, v13
	v_cmp_gt_u32_e64 s1, 8, v13
	v_dual_mov_b32 v14, v1 :: v_dual_mov_b32 v13, v0
	s_delay_alu instid0(VALU_DEP_2)
	s_and_saveexec_b32 s16, s1
; %bb.1299:                             ;   in Loop: Header=BB324_1064 Depth=1
	v_and_b32_e32 v13, 7, v12
	s_delay_alu instid0(VALU_DEP_1) | instskip(NEXT) | instid1(VALU_DEP_1)
	v_clz_i32_u32_e32 v13, v13
	v_min_u32_e32 v117, 32, v13
	s_delay_alu instid0(VALU_DEP_1) | instskip(SKIP_1) | instid1(VALU_DEP_2)
	v_subrev_nc_u32_e32 v13, 28, v117
	v_sub_nc_u32_e32 v117, 29, v117
	v_lshlrev_b64 v[13:14], v13, v[0:1]
; %bb.1300:                             ;   in Loop: Header=BB324_1064 Depth=1
	s_or_b32 exec_lo, exec_lo, s16
	v_lshlrev_b32_e32 v14, 8, v12
	s_delay_alu instid0(VALU_DEP_3) | instskip(NEXT) | instid1(VALU_DEP_3)
	v_lshl_add_u32 v117, v117, 10, 0x2000
	v_lshlrev_b32_e32 v13, 7, v13
	s_delay_alu instid0(VALU_DEP_2) | instskip(NEXT) | instid1(VALU_DEP_1)
	v_and_or_b32 v14, 0x8000, v14, v117
	v_and_or_b32 v13, 0x380, v13, v14
	s_delay_alu instid0(VALU_DEP_1)
	v_cvt_f32_f16_e32 v117, v13
.LBB324_1301:                           ;   in Loop: Header=BB324_1064 Depth=1
	s_or_b32 exec_lo, exec_lo, s15
.LBB324_1302:                           ;   in Loop: Header=BB324_1064 Depth=1
	s_delay_alu instid0(SALU_CYCLE_1)
	s_or_b32 exec_lo, exec_lo, s13
.LBB324_1303:                           ;   in Loop: Header=BB324_1064 Depth=1
	s_delay_alu instid0(SALU_CYCLE_1) | instskip(SKIP_2) | instid1(VALU_DEP_1)
	s_or_b32 exec_lo, exec_lo, s12
	v_lshrrev_b16 v0, 8, v0
	s_mov_b32 s12, exec_lo
	v_cmpx_ne_u16_e32 0, v0
	s_cbranch_execz .LBB324_1311
; %bb.1304:                             ;   in Loop: Header=BB324_1064 Depth=1
	v_bfrev_b32_e32 v118, 1
	s_mov_b32 s13, exec_lo
	v_cmpx_ne_u16_e32 0x80, v0
	s_cbranch_execz .LBB324_1310
; %bb.1305:                             ;   in Loop: Header=BB324_1064 Depth=1
	v_and_b32_e32 v119, 0xffff, v0
	v_mov_b32_e32 v118, 0x7fc02000
	s_mov_b32 s15, exec_lo
	s_delay_alu instid0(VALU_DEP_2) | instskip(NEXT) | instid1(VALU_DEP_1)
	v_and_b32_e32 v13, 0x7f, v119
	v_cmpx_ne_u32_e32 0x7f, v13
	s_cbranch_execz .LBB324_1309
; %bb.1306:                             ;   in Loop: Header=BB324_1064 Depth=1
	v_and_b32_e32 v0, 7, v119
	v_lshrrev_b32_e32 v118, 3, v13
	v_cmp_gt_u32_e64 s1, 8, v13
	s_delay_alu instid0(VALU_DEP_3) | instskip(NEXT) | instid1(VALU_DEP_2)
	v_dual_mov_b32 v14, v1 :: v_dual_mov_b32 v13, v0
	s_and_saveexec_b32 s16, s1
; %bb.1307:                             ;   in Loop: Header=BB324_1064 Depth=1
	v_clz_i32_u32_e32 v13, v0
	s_delay_alu instid0(VALU_DEP_1) | instskip(NEXT) | instid1(VALU_DEP_1)
	v_min_u32_e32 v118, 32, v13
	v_subrev_nc_u32_e32 v13, 28, v118
	v_sub_nc_u32_e32 v118, 29, v118
	s_delay_alu instid0(VALU_DEP_2) | instskip(NEXT) | instid1(VALU_DEP_1)
	v_lshlrev_b64 v[13:14], v13, v[0:1]
	v_and_b32_e32 v13, 7, v13
; %bb.1308:                             ;   in Loop: Header=BB324_1064 Depth=1
	s_or_b32 exec_lo, exec_lo, s16
	v_lshlrev_b32_e32 v0, 8, v119
	v_lshl_add_u32 v14, v118, 10, 0x2000
	s_delay_alu instid0(VALU_DEP_1) | instskip(NEXT) | instid1(VALU_DEP_1)
	v_and_or_b32 v0, 0x8000, v0, v14
	v_lshl_or_b32 v0, v13, 7, v0
	s_delay_alu instid0(VALU_DEP_1)
	v_cvt_f32_f16_e32 v118, v0
.LBB324_1309:                           ;   in Loop: Header=BB324_1064 Depth=1
	s_or_b32 exec_lo, exec_lo, s15
.LBB324_1310:                           ;   in Loop: Header=BB324_1064 Depth=1
	s_delay_alu instid0(SALU_CYCLE_1)
	s_or_b32 exec_lo, exec_lo, s13
.LBB324_1311:                           ;   in Loop: Header=BB324_1064 Depth=1
	s_delay_alu instid0(SALU_CYCLE_1) | instskip(SKIP_3) | instid1(VALU_DEP_2)
	s_or_b32 exec_lo, exec_lo, s12
	v_lshrrev_b32_e32 v128, 16, v12
	v_mov_b32_e32 v13, 0
	s_mov_b32 s12, exec_lo
	v_dual_mov_b32 v119, 0 :: v_dual_and_b32 v0, 0xff, v128
	s_delay_alu instid0(VALU_DEP_1)
	v_cmpx_ne_u16_e32 0, v0
	s_cbranch_execz .LBB324_1319
; %bb.1312:                             ;   in Loop: Header=BB324_1064 Depth=1
	v_bfrev_b32_e32 v13, 1
	s_mov_b32 s13, exec_lo
	v_cmpx_ne_u16_e32 0x80, v0
	s_cbranch_execz .LBB324_1318
; %bb.1313:                             ;   in Loop: Header=BB324_1064 Depth=1
	v_bfe_u32 v14, v12, 16, 7
	v_mov_b32_e32 v13, 0x7fc02000
	s_mov_b32 s15, exec_lo
	s_delay_alu instid0(VALU_DEP_2)
	v_cmpx_ne_u32_e32 0x7f, v14
	s_cbranch_execz .LBB324_1317
; %bb.1314:                             ;   in Loop: Header=BB324_1064 Depth=1
	v_and_b32_e32 v0, 7, v128
	v_lshrrev_b32_e32 v129, 3, v14
	v_cmp_gt_u32_e64 s1, 8, v14
	s_delay_alu instid0(VALU_DEP_3) | instskip(NEXT) | instid1(VALU_DEP_2)
	v_dual_mov_b32 v14, v1 :: v_dual_mov_b32 v13, v0
	s_and_saveexec_b32 s16, s1
; %bb.1315:                             ;   in Loop: Header=BB324_1064 Depth=1
	v_clz_i32_u32_e32 v13, v0
	s_delay_alu instid0(VALU_DEP_1) | instskip(NEXT) | instid1(VALU_DEP_1)
	v_min_u32_e32 v129, 32, v13
	v_subrev_nc_u32_e32 v13, 28, v129
	v_sub_nc_u32_e32 v129, 29, v129
	s_delay_alu instid0(VALU_DEP_2) | instskip(NEXT) | instid1(VALU_DEP_1)
	v_lshlrev_b64 v[13:14], v13, v[0:1]
	v_and_b32_e32 v13, 7, v13
; %bb.1316:                             ;   in Loop: Header=BB324_1064 Depth=1
	s_or_b32 exec_lo, exec_lo, s16
	v_lshlrev_b32_e32 v0, 8, v128
	v_lshl_add_u32 v14, v129, 10, 0x2000
	s_delay_alu instid0(VALU_DEP_1) | instskip(NEXT) | instid1(VALU_DEP_1)
	v_and_or_b32 v0, 0x8000, v0, v14
	v_lshl_or_b32 v0, v13, 7, v0
	s_delay_alu instid0(VALU_DEP_1)
	v_cvt_f32_f16_e32 v13, v0
.LBB324_1317:                           ;   in Loop: Header=BB324_1064 Depth=1
	s_or_b32 exec_lo, exec_lo, s15
.LBB324_1318:                           ;   in Loop: Header=BB324_1064 Depth=1
	s_delay_alu instid0(SALU_CYCLE_1)
	s_or_b32 exec_lo, exec_lo, s13
.LBB324_1319:                           ;   in Loop: Header=BB324_1064 Depth=1
	s_delay_alu instid0(SALU_CYCLE_1) | instskip(NEXT) | instid1(SALU_CYCLE_1)
	s_or_b32 exec_lo, exec_lo, s12
	s_mov_b32 s12, exec_lo
	v_cmpx_lt_u64_e64 s[8:9], v[11:12]
	s_cbranch_execz .LBB324_1327
; %bb.1320:                             ;   in Loop: Header=BB324_1064 Depth=1
	v_lshrrev_b32_e32 v14, 24, v12
	v_bfrev_b32_e32 v119, 1
	s_mov_b32 s13, exec_lo
	s_delay_alu instid0(VALU_DEP_2)
	v_cmpx_ne_u32_e32 0x80, v14
	s_cbranch_execz .LBB324_1326
; %bb.1321:                             ;   in Loop: Header=BB324_1064 Depth=1
	v_and_b32_e32 v11, 0x7f, v14
	v_mov_b32_e32 v119, 0x7fc02000
	s_mov_b32 s15, exec_lo
	s_delay_alu instid0(VALU_DEP_2)
	v_cmpx_ne_u32_e32 0x7f, v11
	s_cbranch_execz .LBB324_1325
; %bb.1322:                             ;   in Loop: Header=BB324_1064 Depth=1
	v_and_b32_e32 v0, 7, v14
	v_lshrrev_b32_e32 v119, 3, v11
	v_cmp_gt_u32_e64 s1, 8, v11
	s_delay_alu instid0(VALU_DEP_3) | instskip(NEXT) | instid1(VALU_DEP_2)
	v_dual_mov_b32 v12, v1 :: v_dual_mov_b32 v11, v0
	s_and_saveexec_b32 s16, s1
; %bb.1323:                             ;   in Loop: Header=BB324_1064 Depth=1
	v_clz_i32_u32_e32 v11, v0
	s_delay_alu instid0(VALU_DEP_1) | instskip(NEXT) | instid1(VALU_DEP_1)
	v_min_u32_e32 v119, 32, v11
	v_subrev_nc_u32_e32 v11, 28, v119
	v_sub_nc_u32_e32 v119, 29, v119
	s_delay_alu instid0(VALU_DEP_2) | instskip(NEXT) | instid1(VALU_DEP_1)
	v_lshlrev_b64 v[11:12], v11, v[0:1]
	v_and_b32_e32 v11, 7, v11
; %bb.1324:                             ;   in Loop: Header=BB324_1064 Depth=1
	s_or_b32 exec_lo, exec_lo, s16
	v_lshlrev_b32_e32 v0, 8, v14
	v_lshl_add_u32 v12, v119, 10, 0x2000
	s_delay_alu instid0(VALU_DEP_1) | instskip(NEXT) | instid1(VALU_DEP_1)
	v_and_or_b32 v0, 0x8000, v0, v12
	v_lshl_or_b32 v0, v11, 7, v0
	s_delay_alu instid0(VALU_DEP_1)
	v_cvt_f32_f16_e32 v119, v0
.LBB324_1325:                           ;   in Loop: Header=BB324_1064 Depth=1
	s_or_b32 exec_lo, exec_lo, s15
.LBB324_1326:                           ;   in Loop: Header=BB324_1064 Depth=1
	s_delay_alu instid0(SALU_CYCLE_1)
	s_or_b32 exec_lo, exec_lo, s13
.LBB324_1327:                           ;   in Loop: Header=BB324_1064 Depth=1
	s_delay_alu instid0(SALU_CYCLE_1)
	s_or_b32 exec_lo, exec_lo, s12
	s_waitcnt vmcnt(0) lgkmcnt(0)
	v_fma_mixlo_f16 v12, v112, v114, 0
	v_fma_mixlo_f16 v0, v112, v116, 0
	;; [unrolled: 1-line block ×5, first 2 shown]
	v_lshlrev_b32_e32 v14, 16, v12
	v_fma_mixlo_f16 v115, v112, v117, 0
	v_fma_mixlo_f16 v116, v112, v119, 0
	;; [unrolled: 1-line block ×3, first 2 shown]
	v_lshlrev_b32_e32 v0, 16, v0
	v_and_b32_e32 v11, 0xffff, v11
	v_and_b32_e32 v112, 0xffff, v113
	v_lshlrev_b32_e32 v113, 16, v114
	v_and_b32_e32 v114, 0xffff, v115
	v_lshlrev_b32_e32 v115, 16, v116
	v_and_b32_e32 v116, 0xffff, v12
	v_or_b32_e32 v13, v0, v11
	v_or_b32_e32 v14, v14, v112
	;; [unrolled: 1-line block ×3, first 2 shown]
	s_delay_alu instid0(VALU_DEP_4)
	v_or_b32_e32 v11, v115, v116
	s_and_saveexec_b32 s12, vcc_lo
	s_cbranch_execz .LBB324_1329
; %bb.1328:                             ;   in Loop: Header=BB324_1064 Depth=1
	v_cmp_lt_i32_e64 s1, v18, v38
	v_lshrrev_b32_e32 v112, 16, v14
	v_lshrrev_b32_e32 v113, 16, v13
	;; [unrolled: 1-line block ×4, first 2 shown]
	v_cndmask_b32_e64 v14, 0, v14, s1
	v_cmp_lt_i32_e64 s1, v99, v53
	s_delay_alu instid0(VALU_DEP_1) | instskip(SKIP_1) | instid1(VALU_DEP_2)
	v_cndmask_b32_e64 v112, 0, v112, s1
	v_cmp_lt_i32_e64 s1, v98, v53
	v_perm_b32 v14, v112, v14, 0x5040100
	s_delay_alu instid0(VALU_DEP_2) | instskip(SKIP_1) | instid1(VALU_DEP_1)
	v_cndmask_b32_e64 v113, 0, v113, s1
	v_cmp_lt_i32_e64 s1, v96, v38
	v_cndmask_b32_e64 v13, 0, v13, s1
	v_cmp_lt_i32_e64 s1, v84, v53
	s_delay_alu instid0(VALU_DEP_2) | instskip(NEXT) | instid1(VALU_DEP_2)
	v_perm_b32 v13, v113, v13, 0x5040100
	v_cndmask_b32_e64 v114, 0, v114, s1
	v_cmp_lt_i32_e64 s1, v83, v38
	s_delay_alu instid0(VALU_DEP_1) | instskip(SKIP_1) | instid1(VALU_DEP_2)
	v_cndmask_b32_e64 v0, 0, v0, s1
	v_cmp_lt_i32_e64 s1, v81, v53
	v_perm_b32 v0, v114, v0, 0x5040100
	s_delay_alu instid0(VALU_DEP_2) | instskip(SKIP_1) | instid1(VALU_DEP_1)
	v_cndmask_b32_e64 v11, 0, v11, s1
	v_cmp_lt_i32_e64 s1, v19, v38
	v_cndmask_b32_e64 v12, 0, v12, s1
	s_delay_alu instid0(VALU_DEP_1)
	v_perm_b32 v11, v11, v12, 0x5040100
.LBB324_1329:                           ;   in Loop: Header=BB324_1064 Depth=1
	s_or_b32 exec_lo, exec_lo, s12
	;;#ASMSTART
	v_pk_mul_f16 v12, v97, v14;

	;;#ASMEND
	;;#ASMSTART
	v_pk_mul_f16 v13, v87, v13;

	;;#ASMEND
	;; [unrolled: 4-line block ×4, first 2 shown]
	;;#ASMSTART
	v_pk_add_f16 v12, v12, v13;

	;;#ASMEND
	;;#ASMSTART
	v_pk_add_f16 v0, v12, v0;

	;;#ASMEND
	;; [unrolled: 4-line block ×3, first 2 shown]
	v_dual_mov_b32 v116, 0 :: v_dual_and_b32 v11, 0xffff, v0
	v_lshrrev_b32_e32 v0, 16, v0
	;;#ASMSTART
	v_cvt_f32_f16 v112, v11;
	;;#ASMEND
	;;#ASMSTART
	v_cvt_f32_f16 v113, v0;
	;;#ASMEND
	flat_load_b64 v[11:12], v[9:10] offset:1024
	flat_load_b32 v114, v[26:27]
	s_mov_b32 s12, exec_lo
	s_waitcnt vmcnt(1) lgkmcnt(1)
	v_dual_mov_b32 v115, 0 :: v_dual_and_b32 v0, 0xff, v11
	s_delay_alu instid0(VALU_DEP_1)
	v_cmpx_ne_u16_e32 0, v0
	s_cbranch_execz .LBB324_1337
; %bb.1330:                             ;   in Loop: Header=BB324_1064 Depth=1
	v_bfrev_b32_e32 v115, 1
	s_mov_b32 s13, exec_lo
	v_cmpx_ne_u16_e32 0x80, v0
	s_cbranch_execz .LBB324_1336
; %bb.1331:                             ;   in Loop: Header=BB324_1064 Depth=1
	v_and_b32_e32 v13, 0x7f, v11
	v_mov_b32_e32 v115, 0x7fc02000
	s_mov_b32 s15, exec_lo
	s_delay_alu instid0(VALU_DEP_2)
	v_cmpx_ne_u32_e32 0x7f, v13
	s_cbranch_execz .LBB324_1335
; %bb.1332:                             ;   in Loop: Header=BB324_1064 Depth=1
	v_lshrrev_b32_e32 v0, 3, v13
	v_cmp_gt_u32_e64 s1, 8, v13
	v_dual_mov_b32 v14, v12 :: v_dual_mov_b32 v13, v11
	s_delay_alu instid0(VALU_DEP_2)
	s_and_saveexec_b32 s16, s1
; %bb.1333:                             ;   in Loop: Header=BB324_1064 Depth=1
	v_and_b32_e32 v0, 7, v11
	s_delay_alu instid0(VALU_DEP_1) | instskip(NEXT) | instid1(VALU_DEP_1)
	v_clz_i32_u32_e32 v0, v0
	v_min_u32_e32 v0, 32, v0
	s_delay_alu instid0(VALU_DEP_1) | instskip(SKIP_1) | instid1(VALU_DEP_2)
	v_subrev_nc_u32_e32 v13, 28, v0
	v_sub_nc_u32_e32 v0, 29, v0
	v_lshlrev_b64 v[13:14], v13, v[11:12]
; %bb.1334:                             ;   in Loop: Header=BB324_1064 Depth=1
	s_or_b32 exec_lo, exec_lo, s16
	v_lshlrev_b32_e32 v14, 8, v11
	s_delay_alu instid0(VALU_DEP_3) | instskip(NEXT) | instid1(VALU_DEP_3)
	v_lshl_add_u32 v0, v0, 10, 0x2000
	v_lshlrev_b32_e32 v13, 7, v13
	s_delay_alu instid0(VALU_DEP_2) | instskip(NEXT) | instid1(VALU_DEP_1)
	v_and_or_b32 v0, 0x8000, v14, v0
	v_and_or_b32 v0, 0x380, v13, v0
	s_delay_alu instid0(VALU_DEP_1)
	v_cvt_f32_f16_e32 v115, v0
.LBB324_1335:                           ;   in Loop: Header=BB324_1064 Depth=1
	s_or_b32 exec_lo, exec_lo, s15
.LBB324_1336:                           ;   in Loop: Header=BB324_1064 Depth=1
	s_delay_alu instid0(SALU_CYCLE_1)
	s_or_b32 exec_lo, exec_lo, s13
.LBB324_1337:                           ;   in Loop: Header=BB324_1064 Depth=1
	s_delay_alu instid0(SALU_CYCLE_1) | instskip(SKIP_2) | instid1(VALU_DEP_1)
	s_or_b32 exec_lo, exec_lo, s12
	v_lshrrev_b16 v0, 8, v11
	s_mov_b32 s12, exec_lo
	v_cmpx_ne_u16_e32 0, v0
	s_cbranch_execz .LBB324_1345
; %bb.1338:                             ;   in Loop: Header=BB324_1064 Depth=1
	v_bfrev_b32_e32 v116, 1
	s_mov_b32 s13, exec_lo
	v_cmpx_ne_u16_e32 0x80, v0
	s_cbranch_execz .LBB324_1344
; %bb.1339:                             ;   in Loop: Header=BB324_1064 Depth=1
	v_and_b32_e32 v117, 0xffff, v0
	v_mov_b32_e32 v116, 0x7fc02000
	s_mov_b32 s15, exec_lo
	s_delay_alu instid0(VALU_DEP_2) | instskip(NEXT) | instid1(VALU_DEP_1)
	v_and_b32_e32 v13, 0x7f, v117
	v_cmpx_ne_u32_e32 0x7f, v13
	s_cbranch_execz .LBB324_1343
; %bb.1340:                             ;   in Loop: Header=BB324_1064 Depth=1
	v_and_b32_e32 v0, 7, v117
	v_lshrrev_b32_e32 v116, 3, v13
	v_cmp_gt_u32_e64 s1, 8, v13
	s_delay_alu instid0(VALU_DEP_3) | instskip(NEXT) | instid1(VALU_DEP_2)
	v_dual_mov_b32 v14, v1 :: v_dual_mov_b32 v13, v0
	s_and_saveexec_b32 s16, s1
; %bb.1341:                             ;   in Loop: Header=BB324_1064 Depth=1
	v_clz_i32_u32_e32 v13, v0
	s_delay_alu instid0(VALU_DEP_1) | instskip(NEXT) | instid1(VALU_DEP_1)
	v_min_u32_e32 v116, 32, v13
	v_subrev_nc_u32_e32 v13, 28, v116
	v_sub_nc_u32_e32 v116, 29, v116
	s_delay_alu instid0(VALU_DEP_2) | instskip(NEXT) | instid1(VALU_DEP_1)
	v_lshlrev_b64 v[13:14], v13, v[0:1]
	v_and_b32_e32 v13, 7, v13
; %bb.1342:                             ;   in Loop: Header=BB324_1064 Depth=1
	s_or_b32 exec_lo, exec_lo, s16
	v_lshlrev_b32_e32 v0, 8, v117
	v_lshl_add_u32 v14, v116, 10, 0x2000
	s_delay_alu instid0(VALU_DEP_1) | instskip(NEXT) | instid1(VALU_DEP_1)
	v_and_or_b32 v0, 0x8000, v0, v14
	v_lshl_or_b32 v0, v13, 7, v0
	s_delay_alu instid0(VALU_DEP_1)
	v_cvt_f32_f16_e32 v116, v0
.LBB324_1343:                           ;   in Loop: Header=BB324_1064 Depth=1
	s_or_b32 exec_lo, exec_lo, s15
.LBB324_1344:                           ;   in Loop: Header=BB324_1064 Depth=1
	s_delay_alu instid0(SALU_CYCLE_1)
	s_or_b32 exec_lo, exec_lo, s13
.LBB324_1345:                           ;   in Loop: Header=BB324_1064 Depth=1
	s_delay_alu instid0(SALU_CYCLE_1) | instskip(SKIP_3) | instid1(VALU_DEP_2)
	s_or_b32 exec_lo, exec_lo, s12
	v_lshrrev_b32_e32 v119, 16, v11
	v_mov_b32_e32 v118, 0
	s_mov_b32 s12, exec_lo
	v_dual_mov_b32 v117, 0 :: v_dual_and_b32 v0, 0xff, v119
	s_delay_alu instid0(VALU_DEP_1)
	v_cmpx_ne_u16_e32 0, v0
	s_cbranch_execz .LBB324_1353
; %bb.1346:                             ;   in Loop: Header=BB324_1064 Depth=1
	v_bfrev_b32_e32 v117, 1
	s_mov_b32 s13, exec_lo
	v_cmpx_ne_u16_e32 0x80, v0
	s_cbranch_execz .LBB324_1352
; %bb.1347:                             ;   in Loop: Header=BB324_1064 Depth=1
	v_bfe_u32 v13, v11, 16, 7
	v_mov_b32_e32 v117, 0x7fc02000
	s_mov_b32 s15, exec_lo
	s_delay_alu instid0(VALU_DEP_2)
	v_cmpx_ne_u32_e32 0x7f, v13
	s_cbranch_execz .LBB324_1351
; %bb.1348:                             ;   in Loop: Header=BB324_1064 Depth=1
	v_and_b32_e32 v0, 7, v119
	v_lshrrev_b32_e32 v117, 3, v13
	v_cmp_gt_u32_e64 s1, 8, v13
	s_delay_alu instid0(VALU_DEP_3) | instskip(NEXT) | instid1(VALU_DEP_2)
	v_dual_mov_b32 v14, v1 :: v_dual_mov_b32 v13, v0
	s_and_saveexec_b32 s16, s1
; %bb.1349:                             ;   in Loop: Header=BB324_1064 Depth=1
	v_clz_i32_u32_e32 v13, v0
	s_delay_alu instid0(VALU_DEP_1) | instskip(NEXT) | instid1(VALU_DEP_1)
	v_min_u32_e32 v117, 32, v13
	v_subrev_nc_u32_e32 v13, 28, v117
	v_sub_nc_u32_e32 v117, 29, v117
	s_delay_alu instid0(VALU_DEP_2) | instskip(NEXT) | instid1(VALU_DEP_1)
	v_lshlrev_b64 v[13:14], v13, v[0:1]
	v_and_b32_e32 v13, 7, v13
; %bb.1350:                             ;   in Loop: Header=BB324_1064 Depth=1
	s_or_b32 exec_lo, exec_lo, s16
	v_lshlrev_b32_e32 v0, 8, v119
	v_lshl_add_u32 v14, v117, 10, 0x2000
	s_delay_alu instid0(VALU_DEP_1) | instskip(NEXT) | instid1(VALU_DEP_1)
	v_and_or_b32 v0, 0x8000, v0, v14
	v_lshl_or_b32 v0, v13, 7, v0
	s_delay_alu instid0(VALU_DEP_1)
	v_cvt_f32_f16_e32 v117, v0
.LBB324_1351:                           ;   in Loop: Header=BB324_1064 Depth=1
	s_or_b32 exec_lo, exec_lo, s15
.LBB324_1352:                           ;   in Loop: Header=BB324_1064 Depth=1
	s_delay_alu instid0(SALU_CYCLE_1)
	s_or_b32 exec_lo, exec_lo, s13
.LBB324_1353:                           ;   in Loop: Header=BB324_1064 Depth=1
	s_delay_alu instid0(SALU_CYCLE_1) | instskip(NEXT) | instid1(SALU_CYCLE_1)
	s_or_b32 exec_lo, exec_lo, s12
	s_mov_b32 s12, exec_lo
	v_cmpx_lt_u32_e32 0xffffff, v11
	s_cbranch_execz .LBB324_1361
; %bb.1354:                             ;   in Loop: Header=BB324_1064 Depth=1
	v_lshrrev_b32_e32 v119, 24, v11
	v_bfrev_b32_e32 v118, 1
	s_mov_b32 s13, exec_lo
	s_delay_alu instid0(VALU_DEP_2)
	v_cmpx_ne_u32_e32 0x80, v119
	s_cbranch_execz .LBB324_1360
; %bb.1355:                             ;   in Loop: Header=BB324_1064 Depth=1
	v_and_b32_e32 v13, 0x7f, v119
	v_mov_b32_e32 v118, 0x7fc02000
	s_mov_b32 s15, exec_lo
	s_delay_alu instid0(VALU_DEP_2)
	v_cmpx_ne_u32_e32 0x7f, v13
	s_cbranch_execz .LBB324_1359
; %bb.1356:                             ;   in Loop: Header=BB324_1064 Depth=1
	v_and_b32_e32 v0, 7, v119
	v_lshrrev_b32_e32 v118, 3, v13
	v_cmp_gt_u32_e64 s1, 8, v13
	s_delay_alu instid0(VALU_DEP_3) | instskip(NEXT) | instid1(VALU_DEP_2)
	v_dual_mov_b32 v14, v1 :: v_dual_mov_b32 v13, v0
	s_and_saveexec_b32 s16, s1
; %bb.1357:                             ;   in Loop: Header=BB324_1064 Depth=1
	v_clz_i32_u32_e32 v13, v0
	s_delay_alu instid0(VALU_DEP_1) | instskip(NEXT) | instid1(VALU_DEP_1)
	v_min_u32_e32 v118, 32, v13
	v_subrev_nc_u32_e32 v13, 28, v118
	v_sub_nc_u32_e32 v118, 29, v118
	s_delay_alu instid0(VALU_DEP_2) | instskip(NEXT) | instid1(VALU_DEP_1)
	v_lshlrev_b64 v[13:14], v13, v[0:1]
	v_and_b32_e32 v13, 7, v13
; %bb.1358:                             ;   in Loop: Header=BB324_1064 Depth=1
	s_or_b32 exec_lo, exec_lo, s16
	v_lshlrev_b32_e32 v0, 8, v119
	v_lshl_add_u32 v14, v118, 10, 0x2000
	s_delay_alu instid0(VALU_DEP_1) | instskip(NEXT) | instid1(VALU_DEP_1)
	v_and_or_b32 v0, 0x8000, v0, v14
	v_lshl_or_b32 v0, v13, 7, v0
	s_delay_alu instid0(VALU_DEP_1)
	v_cvt_f32_f16_e32 v118, v0
.LBB324_1359:                           ;   in Loop: Header=BB324_1064 Depth=1
	s_or_b32 exec_lo, exec_lo, s15
.LBB324_1360:                           ;   in Loop: Header=BB324_1064 Depth=1
	s_delay_alu instid0(SALU_CYCLE_1)
	s_or_b32 exec_lo, exec_lo, s13
.LBB324_1361:                           ;   in Loop: Header=BB324_1064 Depth=1
	s_delay_alu instid0(SALU_CYCLE_1) | instskip(SKIP_3) | instid1(VALU_DEP_2)
	s_or_b32 exec_lo, exec_lo, s12
	v_dual_mov_b32 v0, v12 :: v_dual_and_b32 v13, 0xff, v12
	v_dual_mov_b32 v128, 0 :: v_dual_mov_b32 v119, 0
	s_mov_b32 s12, exec_lo
	v_cmpx_ne_u16_e32 0, v13
	s_cbranch_execz .LBB324_1369
; %bb.1362:                             ;   in Loop: Header=BB324_1064 Depth=1
	v_bfrev_b32_e32 v119, 1
	s_mov_b32 s13, exec_lo
	v_cmpx_ne_u16_e32 0x80, v13
	s_cbranch_execz .LBB324_1368
; %bb.1363:                             ;   in Loop: Header=BB324_1064 Depth=1
	v_and_b32_e32 v13, 0x7f, v12
	v_mov_b32_e32 v119, 0x7fc02000
	s_mov_b32 s15, exec_lo
	s_delay_alu instid0(VALU_DEP_2)
	v_cmpx_ne_u32_e32 0x7f, v13
	s_cbranch_execz .LBB324_1367
; %bb.1364:                             ;   in Loop: Header=BB324_1064 Depth=1
	v_lshrrev_b32_e32 v119, 3, v13
	v_cmp_gt_u32_e64 s1, 8, v13
	v_dual_mov_b32 v14, v1 :: v_dual_mov_b32 v13, v0
	s_delay_alu instid0(VALU_DEP_2)
	s_and_saveexec_b32 s16, s1
; %bb.1365:                             ;   in Loop: Header=BB324_1064 Depth=1
	v_and_b32_e32 v13, 7, v12
	s_delay_alu instid0(VALU_DEP_1) | instskip(NEXT) | instid1(VALU_DEP_1)
	v_clz_i32_u32_e32 v13, v13
	v_min_u32_e32 v119, 32, v13
	s_delay_alu instid0(VALU_DEP_1) | instskip(SKIP_1) | instid1(VALU_DEP_2)
	v_subrev_nc_u32_e32 v13, 28, v119
	v_sub_nc_u32_e32 v119, 29, v119
	v_lshlrev_b64 v[13:14], v13, v[0:1]
; %bb.1366:                             ;   in Loop: Header=BB324_1064 Depth=1
	s_or_b32 exec_lo, exec_lo, s16
	v_lshlrev_b32_e32 v14, 8, v12
	s_delay_alu instid0(VALU_DEP_3) | instskip(NEXT) | instid1(VALU_DEP_3)
	v_lshl_add_u32 v119, v119, 10, 0x2000
	v_lshlrev_b32_e32 v13, 7, v13
	s_delay_alu instid0(VALU_DEP_2) | instskip(NEXT) | instid1(VALU_DEP_1)
	v_and_or_b32 v14, 0x8000, v14, v119
	v_and_or_b32 v13, 0x380, v13, v14
	s_delay_alu instid0(VALU_DEP_1)
	v_cvt_f32_f16_e32 v119, v13
.LBB324_1367:                           ;   in Loop: Header=BB324_1064 Depth=1
	s_or_b32 exec_lo, exec_lo, s15
.LBB324_1368:                           ;   in Loop: Header=BB324_1064 Depth=1
	s_delay_alu instid0(SALU_CYCLE_1)
	s_or_b32 exec_lo, exec_lo, s13
.LBB324_1369:                           ;   in Loop: Header=BB324_1064 Depth=1
	s_delay_alu instid0(SALU_CYCLE_1) | instskip(SKIP_2) | instid1(VALU_DEP_1)
	s_or_b32 exec_lo, exec_lo, s12
	v_lshrrev_b16 v0, 8, v0
	s_mov_b32 s12, exec_lo
	v_cmpx_ne_u16_e32 0, v0
	s_cbranch_execz .LBB324_1377
; %bb.1370:                             ;   in Loop: Header=BB324_1064 Depth=1
	v_bfrev_b32_e32 v128, 1
	s_mov_b32 s13, exec_lo
	v_cmpx_ne_u16_e32 0x80, v0
	s_cbranch_execz .LBB324_1376
; %bb.1371:                             ;   in Loop: Header=BB324_1064 Depth=1
	v_and_b32_e32 v129, 0xffff, v0
	v_mov_b32_e32 v128, 0x7fc02000
	s_mov_b32 s15, exec_lo
	s_delay_alu instid0(VALU_DEP_2) | instskip(NEXT) | instid1(VALU_DEP_1)
	v_and_b32_e32 v13, 0x7f, v129
	v_cmpx_ne_u32_e32 0x7f, v13
	s_cbranch_execz .LBB324_1375
; %bb.1372:                             ;   in Loop: Header=BB324_1064 Depth=1
	v_and_b32_e32 v0, 7, v129
	v_lshrrev_b32_e32 v128, 3, v13
	v_cmp_gt_u32_e64 s1, 8, v13
	s_delay_alu instid0(VALU_DEP_3) | instskip(NEXT) | instid1(VALU_DEP_2)
	v_dual_mov_b32 v14, v1 :: v_dual_mov_b32 v13, v0
	s_and_saveexec_b32 s16, s1
; %bb.1373:                             ;   in Loop: Header=BB324_1064 Depth=1
	v_clz_i32_u32_e32 v13, v0
	s_delay_alu instid0(VALU_DEP_1) | instskip(NEXT) | instid1(VALU_DEP_1)
	v_min_u32_e32 v128, 32, v13
	v_subrev_nc_u32_e32 v13, 28, v128
	v_sub_nc_u32_e32 v128, 29, v128
	s_delay_alu instid0(VALU_DEP_2) | instskip(NEXT) | instid1(VALU_DEP_1)
	v_lshlrev_b64 v[13:14], v13, v[0:1]
	v_and_b32_e32 v13, 7, v13
; %bb.1374:                             ;   in Loop: Header=BB324_1064 Depth=1
	s_or_b32 exec_lo, exec_lo, s16
	v_lshlrev_b32_e32 v0, 8, v129
	v_lshl_add_u32 v14, v128, 10, 0x2000
	s_delay_alu instid0(VALU_DEP_1) | instskip(NEXT) | instid1(VALU_DEP_1)
	v_and_or_b32 v0, 0x8000, v0, v14
	v_lshl_or_b32 v0, v13, 7, v0
	s_delay_alu instid0(VALU_DEP_1)
	v_cvt_f32_f16_e64 v128, v0
.LBB324_1375:                           ;   in Loop: Header=BB324_1064 Depth=1
	s_or_b32 exec_lo, exec_lo, s15
.LBB324_1376:                           ;   in Loop: Header=BB324_1064 Depth=1
	s_delay_alu instid0(SALU_CYCLE_1)
	s_or_b32 exec_lo, exec_lo, s13
.LBB324_1377:                           ;   in Loop: Header=BB324_1064 Depth=1
	s_delay_alu instid0(SALU_CYCLE_1) | instskip(SKIP_3) | instid1(VALU_DEP_2)
	s_or_b32 exec_lo, exec_lo, s12
	v_lshrrev_b32_e32 v130, 16, v12
	v_mov_b32_e32 v13, 0
	s_mov_b32 s12, exec_lo
	v_dual_mov_b32 v129, 0 :: v_dual_and_b32 v0, 0xff, v130
	s_delay_alu instid0(VALU_DEP_1)
	v_cmpx_ne_u16_e32 0, v0
	s_cbranch_execz .LBB324_1385
; %bb.1378:                             ;   in Loop: Header=BB324_1064 Depth=1
	v_bfrev_b32_e32 v13, 1
	s_mov_b32 s13, exec_lo
	v_cmpx_ne_u16_e32 0x80, v0
	s_cbranch_execz .LBB324_1384
; %bb.1379:                             ;   in Loop: Header=BB324_1064 Depth=1
	v_bfe_u32 v14, v12, 16, 7
	v_mov_b32_e32 v13, 0x7fc02000
	s_mov_b32 s15, exec_lo
	s_delay_alu instid0(VALU_DEP_2)
	v_cmpx_ne_u32_e32 0x7f, v14
	s_cbranch_execz .LBB324_1383
; %bb.1380:                             ;   in Loop: Header=BB324_1064 Depth=1
	v_and_b32_e32 v0, 7, v130
	v_lshrrev_b32_e32 v131, 3, v14
	v_cmp_gt_u32_e64 s1, 8, v14
	s_delay_alu instid0(VALU_DEP_3) | instskip(NEXT) | instid1(VALU_DEP_2)
	v_dual_mov_b32 v14, v1 :: v_dual_mov_b32 v13, v0
	s_and_saveexec_b32 s16, s1
; %bb.1381:                             ;   in Loop: Header=BB324_1064 Depth=1
	v_clz_i32_u32_e32 v13, v0
	s_delay_alu instid0(VALU_DEP_1) | instskip(NEXT) | instid1(VALU_DEP_1)
	v_min_u32_e32 v131, 32, v13
	v_subrev_nc_u32_e32 v13, 28, v131
	v_sub_nc_u32_e32 v131, 29, v131
	s_delay_alu instid0(VALU_DEP_2) | instskip(NEXT) | instid1(VALU_DEP_1)
	v_lshlrev_b64 v[13:14], v13, v[0:1]
	v_and_b32_e32 v13, 7, v13
; %bb.1382:                             ;   in Loop: Header=BB324_1064 Depth=1
	s_or_b32 exec_lo, exec_lo, s16
	v_lshlrev_b32_e32 v0, 8, v130
	v_lshl_add_u32 v14, v131, 10, 0x2000
	s_delay_alu instid0(VALU_DEP_1) | instskip(NEXT) | instid1(VALU_DEP_1)
	v_and_or_b32 v0, 0x8000, v0, v14
	v_lshl_or_b32 v0, v13, 7, v0
	s_delay_alu instid0(VALU_DEP_1)
	v_cvt_f32_f16_e32 v13, v0
.LBB324_1383:                           ;   in Loop: Header=BB324_1064 Depth=1
	s_or_b32 exec_lo, exec_lo, s15
.LBB324_1384:                           ;   in Loop: Header=BB324_1064 Depth=1
	s_delay_alu instid0(SALU_CYCLE_1)
	s_or_b32 exec_lo, exec_lo, s13
.LBB324_1385:                           ;   in Loop: Header=BB324_1064 Depth=1
	s_delay_alu instid0(SALU_CYCLE_1) | instskip(NEXT) | instid1(SALU_CYCLE_1)
	s_or_b32 exec_lo, exec_lo, s12
	s_mov_b32 s12, exec_lo
	v_cmpx_lt_u64_e64 s[8:9], v[11:12]
	s_cbranch_execz .LBB324_1393
; %bb.1386:                             ;   in Loop: Header=BB324_1064 Depth=1
	v_lshrrev_b32_e32 v14, 24, v12
	v_bfrev_b32_e32 v129, 1
	s_mov_b32 s13, exec_lo
	s_delay_alu instid0(VALU_DEP_2)
	v_cmpx_ne_u32_e32 0x80, v14
	s_cbranch_execz .LBB324_1392
; %bb.1387:                             ;   in Loop: Header=BB324_1064 Depth=1
	v_and_b32_e32 v11, 0x7f, v14
	v_mov_b32_e32 v129, 0x7fc02000
	s_mov_b32 s15, exec_lo
	s_delay_alu instid0(VALU_DEP_2)
	v_cmpx_ne_u32_e32 0x7f, v11
	s_cbranch_execz .LBB324_1391
; %bb.1388:                             ;   in Loop: Header=BB324_1064 Depth=1
	v_and_b32_e32 v0, 7, v14
	v_lshrrev_b32_e32 v129, 3, v11
	v_cmp_gt_u32_e64 s1, 8, v11
	s_delay_alu instid0(VALU_DEP_3) | instskip(NEXT) | instid1(VALU_DEP_2)
	v_dual_mov_b32 v12, v1 :: v_dual_mov_b32 v11, v0
	s_and_saveexec_b32 s16, s1
; %bb.1389:                             ;   in Loop: Header=BB324_1064 Depth=1
	v_clz_i32_u32_e32 v11, v0
	s_delay_alu instid0(VALU_DEP_1) | instskip(NEXT) | instid1(VALU_DEP_1)
	v_min_u32_e32 v129, 32, v11
	v_subrev_nc_u32_e32 v11, 28, v129
	v_sub_nc_u32_e32 v129, 29, v129
	s_delay_alu instid0(VALU_DEP_2) | instskip(NEXT) | instid1(VALU_DEP_1)
	v_lshlrev_b64 v[11:12], v11, v[0:1]
	v_and_b32_e32 v11, 7, v11
; %bb.1390:                             ;   in Loop: Header=BB324_1064 Depth=1
	s_or_b32 exec_lo, exec_lo, s16
	v_lshlrev_b32_e32 v0, 8, v14
	v_lshl_add_u32 v12, v129, 10, 0x2000
	s_delay_alu instid0(VALU_DEP_1) | instskip(NEXT) | instid1(VALU_DEP_1)
	v_and_or_b32 v0, 0x8000, v0, v12
	v_lshl_or_b32 v0, v11, 7, v0
	s_delay_alu instid0(VALU_DEP_1)
	v_cvt_f32_f16_e64 v129, v0
.LBB324_1391:                           ;   in Loop: Header=BB324_1064 Depth=1
	s_or_b32 exec_lo, exec_lo, s15
.LBB324_1392:                           ;   in Loop: Header=BB324_1064 Depth=1
	s_delay_alu instid0(SALU_CYCLE_1)
	s_or_b32 exec_lo, exec_lo, s13
.LBB324_1393:                           ;   in Loop: Header=BB324_1064 Depth=1
	s_delay_alu instid0(SALU_CYCLE_1)
	s_or_b32 exec_lo, exec_lo, s12
	s_waitcnt vmcnt(0) lgkmcnt(0)
	v_fma_mixlo_f16 v12, v114, v116, 0
	v_fma_mixlo_f16 v0, v114, v118, 0
	;; [unrolled: 1-line block ×5, first 2 shown]
	v_lshlrev_b32_e32 v14, 16, v12
	v_fma_mixlo_f16 v117, v114, v119, 0
	v_fma_mixlo_f16 v118, v114, v129, 0
	;; [unrolled: 1-line block ×3, first 2 shown]
	v_lshlrev_b32_e32 v0, 16, v0
	v_and_b32_e32 v11, 0xffff, v11
	v_and_b32_e32 v114, 0xffff, v115
	v_lshlrev_b32_e32 v115, 16, v116
	v_and_b32_e32 v116, 0xffff, v117
	v_lshlrev_b32_e32 v117, 16, v118
	v_and_b32_e32 v118, 0xffff, v12
	v_or_b32_e32 v13, v0, v11
	v_or_b32_e32 v14, v14, v114
	;; [unrolled: 1-line block ×3, first 2 shown]
	s_delay_alu instid0(VALU_DEP_4)
	v_or_b32_e32 v11, v117, v118
	s_and_saveexec_b32 s12, vcc_lo
	s_cbranch_execz .LBB324_1395
; %bb.1394:                             ;   in Loop: Header=BB324_1064 Depth=1
	v_cmp_lt_i32_e64 s1, v18, v38
	v_lshrrev_b32_e32 v114, 16, v14
	v_lshrrev_b32_e32 v115, 16, v13
	;; [unrolled: 1-line block ×4, first 2 shown]
	v_cndmask_b32_e64 v14, 0, v14, s1
	v_cmp_lt_i32_e64 s1, v99, v53
	s_delay_alu instid0(VALU_DEP_1) | instskip(SKIP_1) | instid1(VALU_DEP_2)
	v_cndmask_b32_e64 v114, 0, v114, s1
	v_cmp_lt_i32_e64 s1, v98, v53
	v_perm_b32 v14, v114, v14, 0x5040100
	s_delay_alu instid0(VALU_DEP_2) | instskip(SKIP_1) | instid1(VALU_DEP_1)
	v_cndmask_b32_e64 v115, 0, v115, s1
	v_cmp_lt_i32_e64 s1, v96, v38
	v_cndmask_b32_e64 v13, 0, v13, s1
	v_cmp_lt_i32_e64 s1, v84, v53
	s_delay_alu instid0(VALU_DEP_2) | instskip(NEXT) | instid1(VALU_DEP_2)
	v_perm_b32 v13, v115, v13, 0x5040100
	v_cndmask_b32_e64 v116, 0, v116, s1
	v_cmp_lt_i32_e64 s1, v83, v38
	s_delay_alu instid0(VALU_DEP_1) | instskip(SKIP_1) | instid1(VALU_DEP_2)
	v_cndmask_b32_e64 v0, 0, v0, s1
	v_cmp_lt_i32_e64 s1, v81, v53
	v_perm_b32 v0, v116, v0, 0x5040100
	s_delay_alu instid0(VALU_DEP_2) | instskip(SKIP_1) | instid1(VALU_DEP_1)
	v_cndmask_b32_e64 v11, 0, v11, s1
	v_cmp_lt_i32_e64 s1, v19, v38
	v_cndmask_b32_e64 v12, 0, v12, s1
	s_delay_alu instid0(VALU_DEP_1)
	v_perm_b32 v11, v11, v12, 0x5040100
.LBB324_1395:                           ;   in Loop: Header=BB324_1064 Depth=1
	s_or_b32 exec_lo, exec_lo, s12
	;;#ASMSTART
	v_pk_mul_f16 v12, v97, v14;

	;;#ASMEND
	;;#ASMSTART
	v_pk_mul_f16 v13, v87, v13;

	;;#ASMEND
	;; [unrolled: 4-line block ×4, first 2 shown]
	;;#ASMSTART
	v_pk_add_f16 v12, v12, v13;

	;;#ASMEND
	;;#ASMSTART
	v_pk_add_f16 v0, v12, v0;

	;;#ASMEND
	;; [unrolled: 4-line block ×3, first 2 shown]
	v_dual_mov_b32 v118, 0 :: v_dual_and_b32 v11, 0xffff, v0
	v_lshrrev_b32_e32 v0, 16, v0
	;;#ASMSTART
	v_cvt_f32_f16 v114, v11;
	;;#ASMEND
	;;#ASMSTART
	v_cvt_f32_f16 v115, v0;
	;;#ASMEND
	flat_load_b64 v[11:12], v[9:10] offset:1280
	flat_load_b32 v116, v[26:27]
	s_mov_b32 s12, exec_lo
	s_waitcnt vmcnt(1) lgkmcnt(1)
	v_dual_mov_b32 v117, 0 :: v_dual_and_b32 v0, 0xff, v11
	s_delay_alu instid0(VALU_DEP_1)
	v_cmpx_ne_u16_e32 0, v0
	s_cbranch_execz .LBB324_1403
; %bb.1396:                             ;   in Loop: Header=BB324_1064 Depth=1
	v_bfrev_b32_e32 v117, 1
	s_mov_b32 s13, exec_lo
	v_cmpx_ne_u16_e32 0x80, v0
	s_cbranch_execz .LBB324_1402
; %bb.1397:                             ;   in Loop: Header=BB324_1064 Depth=1
	v_and_b32_e32 v13, 0x7f, v11
	v_mov_b32_e32 v117, 0x7fc02000
	s_mov_b32 s15, exec_lo
	s_delay_alu instid0(VALU_DEP_2)
	v_cmpx_ne_u32_e32 0x7f, v13
	s_cbranch_execz .LBB324_1401
; %bb.1398:                             ;   in Loop: Header=BB324_1064 Depth=1
	v_lshrrev_b32_e32 v0, 3, v13
	v_cmp_gt_u32_e64 s1, 8, v13
	v_dual_mov_b32 v14, v12 :: v_dual_mov_b32 v13, v11
	s_delay_alu instid0(VALU_DEP_2)
	s_and_saveexec_b32 s16, s1
; %bb.1399:                             ;   in Loop: Header=BB324_1064 Depth=1
	v_and_b32_e32 v0, 7, v11
	s_delay_alu instid0(VALU_DEP_1) | instskip(NEXT) | instid1(VALU_DEP_1)
	v_clz_i32_u32_e32 v0, v0
	v_min_u32_e32 v0, 32, v0
	s_delay_alu instid0(VALU_DEP_1) | instskip(SKIP_1) | instid1(VALU_DEP_2)
	v_subrev_nc_u32_e32 v13, 28, v0
	v_sub_nc_u32_e32 v0, 29, v0
	v_lshlrev_b64 v[13:14], v13, v[11:12]
; %bb.1400:                             ;   in Loop: Header=BB324_1064 Depth=1
	s_or_b32 exec_lo, exec_lo, s16
	v_lshlrev_b32_e32 v14, 8, v11
	s_delay_alu instid0(VALU_DEP_3) | instskip(NEXT) | instid1(VALU_DEP_3)
	v_lshl_add_u32 v0, v0, 10, 0x2000
	v_lshlrev_b32_e32 v13, 7, v13
	s_delay_alu instid0(VALU_DEP_2) | instskip(NEXT) | instid1(VALU_DEP_1)
	v_and_or_b32 v0, 0x8000, v14, v0
	v_and_or_b32 v0, 0x380, v13, v0
	s_delay_alu instid0(VALU_DEP_1)
	v_cvt_f32_f16_e32 v117, v0
.LBB324_1401:                           ;   in Loop: Header=BB324_1064 Depth=1
	s_or_b32 exec_lo, exec_lo, s15
.LBB324_1402:                           ;   in Loop: Header=BB324_1064 Depth=1
	s_delay_alu instid0(SALU_CYCLE_1)
	s_or_b32 exec_lo, exec_lo, s13
.LBB324_1403:                           ;   in Loop: Header=BB324_1064 Depth=1
	s_delay_alu instid0(SALU_CYCLE_1) | instskip(SKIP_2) | instid1(VALU_DEP_1)
	s_or_b32 exec_lo, exec_lo, s12
	v_lshrrev_b16 v0, 8, v11
	s_mov_b32 s12, exec_lo
	v_cmpx_ne_u16_e32 0, v0
	s_cbranch_execz .LBB324_1411
; %bb.1404:                             ;   in Loop: Header=BB324_1064 Depth=1
	v_bfrev_b32_e32 v118, 1
	s_mov_b32 s13, exec_lo
	v_cmpx_ne_u16_e32 0x80, v0
	s_cbranch_execz .LBB324_1410
; %bb.1405:                             ;   in Loop: Header=BB324_1064 Depth=1
	v_and_b32_e32 v119, 0xffff, v0
	v_mov_b32_e32 v118, 0x7fc02000
	s_mov_b32 s15, exec_lo
	s_delay_alu instid0(VALU_DEP_2) | instskip(NEXT) | instid1(VALU_DEP_1)
	v_and_b32_e32 v13, 0x7f, v119
	v_cmpx_ne_u32_e32 0x7f, v13
	s_cbranch_execz .LBB324_1409
; %bb.1406:                             ;   in Loop: Header=BB324_1064 Depth=1
	v_and_b32_e32 v0, 7, v119
	v_lshrrev_b32_e32 v118, 3, v13
	v_cmp_gt_u32_e64 s1, 8, v13
	s_delay_alu instid0(VALU_DEP_3) | instskip(NEXT) | instid1(VALU_DEP_2)
	v_dual_mov_b32 v14, v1 :: v_dual_mov_b32 v13, v0
	s_and_saveexec_b32 s16, s1
; %bb.1407:                             ;   in Loop: Header=BB324_1064 Depth=1
	v_clz_i32_u32_e32 v13, v0
	s_delay_alu instid0(VALU_DEP_1) | instskip(NEXT) | instid1(VALU_DEP_1)
	v_min_u32_e32 v118, 32, v13
	v_subrev_nc_u32_e32 v13, 28, v118
	v_sub_nc_u32_e32 v118, 29, v118
	s_delay_alu instid0(VALU_DEP_2) | instskip(NEXT) | instid1(VALU_DEP_1)
	v_lshlrev_b64 v[13:14], v13, v[0:1]
	v_and_b32_e32 v13, 7, v13
; %bb.1408:                             ;   in Loop: Header=BB324_1064 Depth=1
	s_or_b32 exec_lo, exec_lo, s16
	v_lshlrev_b32_e32 v0, 8, v119
	v_lshl_add_u32 v14, v118, 10, 0x2000
	s_delay_alu instid0(VALU_DEP_1) | instskip(NEXT) | instid1(VALU_DEP_1)
	v_and_or_b32 v0, 0x8000, v0, v14
	v_lshl_or_b32 v0, v13, 7, v0
	s_delay_alu instid0(VALU_DEP_1)
	v_cvt_f32_f16_e32 v118, v0
.LBB324_1409:                           ;   in Loop: Header=BB324_1064 Depth=1
	s_or_b32 exec_lo, exec_lo, s15
.LBB324_1410:                           ;   in Loop: Header=BB324_1064 Depth=1
	s_delay_alu instid0(SALU_CYCLE_1)
	s_or_b32 exec_lo, exec_lo, s13
.LBB324_1411:                           ;   in Loop: Header=BB324_1064 Depth=1
	s_delay_alu instid0(SALU_CYCLE_1) | instskip(SKIP_3) | instid1(VALU_DEP_2)
	s_or_b32 exec_lo, exec_lo, s12
	v_lshrrev_b32_e32 v129, 16, v11
	v_mov_b32_e32 v128, 0
	s_mov_b32 s12, exec_lo
	v_dual_mov_b32 v119, 0 :: v_dual_and_b32 v0, 0xff, v129
	s_delay_alu instid0(VALU_DEP_1)
	v_cmpx_ne_u16_e32 0, v0
	s_cbranch_execz .LBB324_1419
; %bb.1412:                             ;   in Loop: Header=BB324_1064 Depth=1
	v_bfrev_b32_e32 v119, 1
	s_mov_b32 s13, exec_lo
	v_cmpx_ne_u16_e32 0x80, v0
	s_cbranch_execz .LBB324_1418
; %bb.1413:                             ;   in Loop: Header=BB324_1064 Depth=1
	v_bfe_u32 v13, v11, 16, 7
	v_mov_b32_e32 v119, 0x7fc02000
	s_mov_b32 s15, exec_lo
	s_delay_alu instid0(VALU_DEP_2)
	v_cmpx_ne_u32_e32 0x7f, v13
	s_cbranch_execz .LBB324_1417
; %bb.1414:                             ;   in Loop: Header=BB324_1064 Depth=1
	v_and_b32_e32 v0, 7, v129
	v_lshrrev_b32_e32 v119, 3, v13
	v_cmp_gt_u32_e64 s1, 8, v13
	s_delay_alu instid0(VALU_DEP_3) | instskip(NEXT) | instid1(VALU_DEP_2)
	v_dual_mov_b32 v14, v1 :: v_dual_mov_b32 v13, v0
	s_and_saveexec_b32 s16, s1
; %bb.1415:                             ;   in Loop: Header=BB324_1064 Depth=1
	v_clz_i32_u32_e32 v13, v0
	s_delay_alu instid0(VALU_DEP_1) | instskip(NEXT) | instid1(VALU_DEP_1)
	v_min_u32_e32 v119, 32, v13
	v_subrev_nc_u32_e32 v13, 28, v119
	v_sub_nc_u32_e32 v119, 29, v119
	s_delay_alu instid0(VALU_DEP_2) | instskip(NEXT) | instid1(VALU_DEP_1)
	v_lshlrev_b64 v[13:14], v13, v[0:1]
	v_and_b32_e32 v13, 7, v13
; %bb.1416:                             ;   in Loop: Header=BB324_1064 Depth=1
	s_or_b32 exec_lo, exec_lo, s16
	v_lshlrev_b32_e32 v0, 8, v129
	v_lshl_add_u32 v14, v119, 10, 0x2000
	s_delay_alu instid0(VALU_DEP_1) | instskip(NEXT) | instid1(VALU_DEP_1)
	v_and_or_b32 v0, 0x8000, v0, v14
	v_lshl_or_b32 v0, v13, 7, v0
	s_delay_alu instid0(VALU_DEP_1)
	v_cvt_f32_f16_e32 v119, v0
.LBB324_1417:                           ;   in Loop: Header=BB324_1064 Depth=1
	s_or_b32 exec_lo, exec_lo, s15
.LBB324_1418:                           ;   in Loop: Header=BB324_1064 Depth=1
	s_delay_alu instid0(SALU_CYCLE_1)
	s_or_b32 exec_lo, exec_lo, s13
.LBB324_1419:                           ;   in Loop: Header=BB324_1064 Depth=1
	s_delay_alu instid0(SALU_CYCLE_1) | instskip(NEXT) | instid1(SALU_CYCLE_1)
	s_or_b32 exec_lo, exec_lo, s12
	s_mov_b32 s12, exec_lo
	v_cmpx_lt_u32_e32 0xffffff, v11
	s_cbranch_execz .LBB324_1427
; %bb.1420:                             ;   in Loop: Header=BB324_1064 Depth=1
	v_lshrrev_b32_e32 v129, 24, v11
	v_bfrev_b32_e32 v128, 1
	s_mov_b32 s13, exec_lo
	s_delay_alu instid0(VALU_DEP_2)
	v_cmpx_ne_u32_e32 0x80, v129
	s_cbranch_execz .LBB324_1426
; %bb.1421:                             ;   in Loop: Header=BB324_1064 Depth=1
	v_and_b32_e32 v13, 0x7f, v129
	v_mov_b32_e32 v128, 0x7fc02000
	s_mov_b32 s15, exec_lo
	s_delay_alu instid0(VALU_DEP_2)
	v_cmpx_ne_u32_e32 0x7f, v13
	s_cbranch_execz .LBB324_1425
; %bb.1422:                             ;   in Loop: Header=BB324_1064 Depth=1
	v_and_b32_e32 v0, 7, v129
	v_lshrrev_b32_e32 v128, 3, v13
	v_cmp_gt_u32_e64 s1, 8, v13
	s_delay_alu instid0(VALU_DEP_3) | instskip(NEXT) | instid1(VALU_DEP_2)
	v_dual_mov_b32 v14, v1 :: v_dual_mov_b32 v13, v0
	s_and_saveexec_b32 s16, s1
; %bb.1423:                             ;   in Loop: Header=BB324_1064 Depth=1
	v_clz_i32_u32_e32 v13, v0
	s_delay_alu instid0(VALU_DEP_1) | instskip(NEXT) | instid1(VALU_DEP_1)
	v_min_u32_e32 v128, 32, v13
	v_subrev_nc_u32_e32 v13, 28, v128
	v_sub_nc_u32_e32 v128, 29, v128
	s_delay_alu instid0(VALU_DEP_2) | instskip(NEXT) | instid1(VALU_DEP_1)
	v_lshlrev_b64 v[13:14], v13, v[0:1]
	v_and_b32_e32 v13, 7, v13
; %bb.1424:                             ;   in Loop: Header=BB324_1064 Depth=1
	s_or_b32 exec_lo, exec_lo, s16
	v_lshlrev_b32_e32 v0, 8, v129
	v_lshl_add_u32 v14, v128, 10, 0x2000
	s_delay_alu instid0(VALU_DEP_1) | instskip(NEXT) | instid1(VALU_DEP_1)
	v_and_or_b32 v0, 0x8000, v0, v14
	v_lshl_or_b32 v0, v13, 7, v0
	s_delay_alu instid0(VALU_DEP_1)
	v_cvt_f32_f16_e64 v128, v0
.LBB324_1425:                           ;   in Loop: Header=BB324_1064 Depth=1
	s_or_b32 exec_lo, exec_lo, s15
.LBB324_1426:                           ;   in Loop: Header=BB324_1064 Depth=1
	s_delay_alu instid0(SALU_CYCLE_1)
	s_or_b32 exec_lo, exec_lo, s13
.LBB324_1427:                           ;   in Loop: Header=BB324_1064 Depth=1
	s_delay_alu instid0(SALU_CYCLE_1) | instskip(SKIP_3) | instid1(VALU_DEP_2)
	s_or_b32 exec_lo, exec_lo, s12
	v_dual_mov_b32 v0, v12 :: v_dual_and_b32 v13, 0xff, v12
	v_dual_mov_b32 v130, 0 :: v_dual_mov_b32 v129, 0
	s_mov_b32 s12, exec_lo
	v_cmpx_ne_u16_e32 0, v13
	s_cbranch_execz .LBB324_1435
; %bb.1428:                             ;   in Loop: Header=BB324_1064 Depth=1
	v_bfrev_b32_e32 v129, 1
	s_mov_b32 s13, exec_lo
	v_cmpx_ne_u16_e32 0x80, v13
	s_cbranch_execz .LBB324_1434
; %bb.1429:                             ;   in Loop: Header=BB324_1064 Depth=1
	v_and_b32_e32 v13, 0x7f, v12
	v_mov_b32_e32 v129, 0x7fc02000
	s_mov_b32 s15, exec_lo
	s_delay_alu instid0(VALU_DEP_2)
	v_cmpx_ne_u32_e32 0x7f, v13
	s_cbranch_execz .LBB324_1433
; %bb.1430:                             ;   in Loop: Header=BB324_1064 Depth=1
	v_lshrrev_b32_e32 v129, 3, v13
	v_cmp_gt_u32_e64 s1, 8, v13
	v_dual_mov_b32 v14, v1 :: v_dual_mov_b32 v13, v0
	s_delay_alu instid0(VALU_DEP_2)
	s_and_saveexec_b32 s16, s1
; %bb.1431:                             ;   in Loop: Header=BB324_1064 Depth=1
	v_and_b32_e32 v13, 7, v12
	s_delay_alu instid0(VALU_DEP_1) | instskip(NEXT) | instid1(VALU_DEP_1)
	v_clz_i32_u32_e32 v13, v13
	v_min_u32_e32 v129, 32, v13
	s_delay_alu instid0(VALU_DEP_1) | instskip(SKIP_1) | instid1(VALU_DEP_2)
	v_subrev_nc_u32_e32 v13, 28, v129
	v_sub_nc_u32_e32 v129, 29, v129
	v_lshlrev_b64 v[13:14], v13, v[0:1]
; %bb.1432:                             ;   in Loop: Header=BB324_1064 Depth=1
	s_or_b32 exec_lo, exec_lo, s16
	v_lshlrev_b32_e32 v14, 8, v12
	s_delay_alu instid0(VALU_DEP_3) | instskip(NEXT) | instid1(VALU_DEP_3)
	v_lshl_add_u32 v129, v129, 10, 0x2000
	v_lshlrev_b32_e32 v13, 7, v13
	s_delay_alu instid0(VALU_DEP_2) | instskip(NEXT) | instid1(VALU_DEP_1)
	v_and_or_b32 v14, 0x8000, v14, v129
	v_and_or_b32 v13, 0x380, v13, v14
	s_delay_alu instid0(VALU_DEP_1)
	v_cvt_f32_f16_e64 v129, v13
.LBB324_1433:                           ;   in Loop: Header=BB324_1064 Depth=1
	s_or_b32 exec_lo, exec_lo, s15
.LBB324_1434:                           ;   in Loop: Header=BB324_1064 Depth=1
	s_delay_alu instid0(SALU_CYCLE_1)
	s_or_b32 exec_lo, exec_lo, s13
.LBB324_1435:                           ;   in Loop: Header=BB324_1064 Depth=1
	s_delay_alu instid0(SALU_CYCLE_1) | instskip(SKIP_2) | instid1(VALU_DEP_1)
	s_or_b32 exec_lo, exec_lo, s12
	v_lshrrev_b16 v0, 8, v0
	s_mov_b32 s12, exec_lo
	v_cmpx_ne_u16_e32 0, v0
	s_cbranch_execz .LBB324_1443
; %bb.1436:                             ;   in Loop: Header=BB324_1064 Depth=1
	v_bfrev_b32_e32 v130, 1
	s_mov_b32 s13, exec_lo
	v_cmpx_ne_u16_e32 0x80, v0
	s_cbranch_execz .LBB324_1442
; %bb.1437:                             ;   in Loop: Header=BB324_1064 Depth=1
	v_and_b32_e32 v131, 0xffff, v0
	v_mov_b32_e32 v130, 0x7fc02000
	s_mov_b32 s15, exec_lo
	s_delay_alu instid0(VALU_DEP_2) | instskip(NEXT) | instid1(VALU_DEP_1)
	v_and_b32_e32 v13, 0x7f, v131
	v_cmpx_ne_u32_e32 0x7f, v13
	s_cbranch_execz .LBB324_1441
; %bb.1438:                             ;   in Loop: Header=BB324_1064 Depth=1
	v_and_b32_e32 v0, 7, v131
	v_lshrrev_b32_e32 v130, 3, v13
	v_cmp_gt_u32_e64 s1, 8, v13
	s_delay_alu instid0(VALU_DEP_3) | instskip(NEXT) | instid1(VALU_DEP_2)
	v_dual_mov_b32 v14, v1 :: v_dual_mov_b32 v13, v0
	s_and_saveexec_b32 s16, s1
; %bb.1439:                             ;   in Loop: Header=BB324_1064 Depth=1
	v_clz_i32_u32_e32 v13, v0
	s_delay_alu instid0(VALU_DEP_1) | instskip(NEXT) | instid1(VALU_DEP_1)
	v_min_u32_e32 v130, 32, v13
	v_subrev_nc_u32_e32 v13, 28, v130
	v_sub_nc_u32_e32 v130, 29, v130
	s_delay_alu instid0(VALU_DEP_2) | instskip(NEXT) | instid1(VALU_DEP_1)
	v_lshlrev_b64 v[13:14], v13, v[0:1]
	v_and_b32_e32 v13, 7, v13
; %bb.1440:                             ;   in Loop: Header=BB324_1064 Depth=1
	s_or_b32 exec_lo, exec_lo, s16
	v_lshlrev_b32_e32 v0, 8, v131
	v_lshl_add_u32 v14, v130, 10, 0x2000
	s_delay_alu instid0(VALU_DEP_1) | instskip(NEXT) | instid1(VALU_DEP_1)
	v_and_or_b32 v0, 0x8000, v0, v14
	v_lshl_or_b32 v0, v13, 7, v0
	s_delay_alu instid0(VALU_DEP_1)
	v_cvt_f32_f16_e64 v130, v0
.LBB324_1441:                           ;   in Loop: Header=BB324_1064 Depth=1
	s_or_b32 exec_lo, exec_lo, s15
.LBB324_1442:                           ;   in Loop: Header=BB324_1064 Depth=1
	s_delay_alu instid0(SALU_CYCLE_1)
	s_or_b32 exec_lo, exec_lo, s13
.LBB324_1443:                           ;   in Loop: Header=BB324_1064 Depth=1
	s_delay_alu instid0(SALU_CYCLE_1) | instskip(SKIP_3) | instid1(VALU_DEP_2)
	s_or_b32 exec_lo, exec_lo, s12
	v_lshrrev_b32_e32 v132, 16, v12
	v_mov_b32_e32 v13, 0
	s_mov_b32 s12, exec_lo
	v_dual_mov_b32 v131, 0 :: v_dual_and_b32 v0, 0xff, v132
	s_delay_alu instid0(VALU_DEP_1)
	v_cmpx_ne_u16_e32 0, v0
	s_cbranch_execz .LBB324_1451
; %bb.1444:                             ;   in Loop: Header=BB324_1064 Depth=1
	v_bfrev_b32_e32 v13, 1
	s_mov_b32 s13, exec_lo
	v_cmpx_ne_u16_e32 0x80, v0
	s_cbranch_execz .LBB324_1450
; %bb.1445:                             ;   in Loop: Header=BB324_1064 Depth=1
	v_bfe_u32 v14, v12, 16, 7
	v_mov_b32_e32 v13, 0x7fc02000
	s_mov_b32 s15, exec_lo
	s_delay_alu instid0(VALU_DEP_2)
	v_cmpx_ne_u32_e32 0x7f, v14
	s_cbranch_execz .LBB324_1449
; %bb.1446:                             ;   in Loop: Header=BB324_1064 Depth=1
	v_and_b32_e32 v0, 7, v132
	v_lshrrev_b32_e32 v133, 3, v14
	v_cmp_gt_u32_e64 s1, 8, v14
	s_delay_alu instid0(VALU_DEP_3) | instskip(NEXT) | instid1(VALU_DEP_2)
	v_dual_mov_b32 v14, v1 :: v_dual_mov_b32 v13, v0
	s_and_saveexec_b32 s16, s1
; %bb.1447:                             ;   in Loop: Header=BB324_1064 Depth=1
	v_clz_i32_u32_e32 v13, v0
	s_delay_alu instid0(VALU_DEP_1) | instskip(NEXT) | instid1(VALU_DEP_1)
	v_min_u32_e32 v133, 32, v13
	v_subrev_nc_u32_e32 v13, 28, v133
	v_sub_nc_u32_e32 v133, 29, v133
	s_delay_alu instid0(VALU_DEP_2) | instskip(NEXT) | instid1(VALU_DEP_1)
	v_lshlrev_b64 v[13:14], v13, v[0:1]
	v_and_b32_e32 v13, 7, v13
; %bb.1448:                             ;   in Loop: Header=BB324_1064 Depth=1
	s_or_b32 exec_lo, exec_lo, s16
	v_lshlrev_b32_e32 v0, 8, v132
	v_lshl_add_u32 v14, v133, 10, 0x2000
	s_delay_alu instid0(VALU_DEP_1) | instskip(NEXT) | instid1(VALU_DEP_1)
	v_and_or_b32 v0, 0x8000, v0, v14
	v_lshl_or_b32 v0, v13, 7, v0
	s_delay_alu instid0(VALU_DEP_1)
	v_cvt_f32_f16_e32 v13, v0
.LBB324_1449:                           ;   in Loop: Header=BB324_1064 Depth=1
	s_or_b32 exec_lo, exec_lo, s15
.LBB324_1450:                           ;   in Loop: Header=BB324_1064 Depth=1
	s_delay_alu instid0(SALU_CYCLE_1)
	s_or_b32 exec_lo, exec_lo, s13
.LBB324_1451:                           ;   in Loop: Header=BB324_1064 Depth=1
	s_delay_alu instid0(SALU_CYCLE_1) | instskip(NEXT) | instid1(SALU_CYCLE_1)
	s_or_b32 exec_lo, exec_lo, s12
	s_mov_b32 s12, exec_lo
	v_cmpx_lt_u64_e64 s[8:9], v[11:12]
	s_cbranch_execz .LBB324_1459
; %bb.1452:                             ;   in Loop: Header=BB324_1064 Depth=1
	v_lshrrev_b32_e32 v14, 24, v12
	v_bfrev_b32_e32 v131, 1
	s_mov_b32 s13, exec_lo
	s_delay_alu instid0(VALU_DEP_2)
	v_cmpx_ne_u32_e32 0x80, v14
	s_cbranch_execz .LBB324_1458
; %bb.1453:                             ;   in Loop: Header=BB324_1064 Depth=1
	v_and_b32_e32 v11, 0x7f, v14
	v_mov_b32_e32 v131, 0x7fc02000
	s_mov_b32 s15, exec_lo
	s_delay_alu instid0(VALU_DEP_2)
	v_cmpx_ne_u32_e32 0x7f, v11
	s_cbranch_execz .LBB324_1457
; %bb.1454:                             ;   in Loop: Header=BB324_1064 Depth=1
	v_and_b32_e32 v0, 7, v14
	v_lshrrev_b32_e32 v131, 3, v11
	v_cmp_gt_u32_e64 s1, 8, v11
	s_delay_alu instid0(VALU_DEP_3) | instskip(NEXT) | instid1(VALU_DEP_2)
	v_dual_mov_b32 v12, v1 :: v_dual_mov_b32 v11, v0
	s_and_saveexec_b32 s16, s1
; %bb.1455:                             ;   in Loop: Header=BB324_1064 Depth=1
	v_clz_i32_u32_e32 v11, v0
	s_delay_alu instid0(VALU_DEP_1) | instskip(NEXT) | instid1(VALU_DEP_1)
	v_min_u32_e32 v131, 32, v11
	v_subrev_nc_u32_e32 v11, 28, v131
	v_sub_nc_u32_e32 v131, 29, v131
	s_delay_alu instid0(VALU_DEP_2) | instskip(NEXT) | instid1(VALU_DEP_1)
	v_lshlrev_b64 v[11:12], v11, v[0:1]
	v_and_b32_e32 v11, 7, v11
; %bb.1456:                             ;   in Loop: Header=BB324_1064 Depth=1
	s_or_b32 exec_lo, exec_lo, s16
	v_lshlrev_b32_e32 v0, 8, v14
	v_lshl_add_u32 v12, v131, 10, 0x2000
	s_delay_alu instid0(VALU_DEP_1) | instskip(NEXT) | instid1(VALU_DEP_1)
	v_and_or_b32 v0, 0x8000, v0, v12
	v_lshl_or_b32 v0, v11, 7, v0
	s_delay_alu instid0(VALU_DEP_1)
	v_cvt_f32_f16_e64 v131, v0
.LBB324_1457:                           ;   in Loop: Header=BB324_1064 Depth=1
	s_or_b32 exec_lo, exec_lo, s15
.LBB324_1458:                           ;   in Loop: Header=BB324_1064 Depth=1
	s_delay_alu instid0(SALU_CYCLE_1)
	s_or_b32 exec_lo, exec_lo, s13
.LBB324_1459:                           ;   in Loop: Header=BB324_1064 Depth=1
	s_delay_alu instid0(SALU_CYCLE_1)
	s_or_b32 exec_lo, exec_lo, s12
	s_waitcnt vmcnt(0) lgkmcnt(0)
	v_fma_mixlo_f16 v12, v116, v118, 0
	v_fma_mixlo_f16 v0, v116, v128, 0
	;; [unrolled: 1-line block ×5, first 2 shown]
	v_lshlrev_b32_e32 v14, 16, v12
	v_fma_mixlo_f16 v119, v116, v129, 0
	v_fma_mixlo_f16 v128, v116, v131, 0
	;; [unrolled: 1-line block ×3, first 2 shown]
	v_lshlrev_b32_e32 v0, 16, v0
	v_and_b32_e32 v11, 0xffff, v11
	v_and_b32_e32 v116, 0xffff, v117
	v_lshlrev_b32_e32 v117, 16, v118
	v_and_b32_e32 v118, 0xffff, v119
	v_lshlrev_b32_e32 v119, 16, v128
	v_and_b32_e32 v128, 0xffff, v12
	v_or_b32_e32 v13, v0, v11
	v_or_b32_e32 v14, v14, v116
	;; [unrolled: 1-line block ×3, first 2 shown]
	s_delay_alu instid0(VALU_DEP_4)
	v_or_b32_e32 v11, v119, v128
	s_and_saveexec_b32 s12, vcc_lo
	s_cbranch_execz .LBB324_1461
; %bb.1460:                             ;   in Loop: Header=BB324_1064 Depth=1
	v_cmp_lt_i32_e64 s1, v18, v38
	v_lshrrev_b32_e32 v116, 16, v14
	v_lshrrev_b32_e32 v117, 16, v13
	;; [unrolled: 1-line block ×4, first 2 shown]
	v_cndmask_b32_e64 v14, 0, v14, s1
	v_cmp_lt_i32_e64 s1, v99, v53
	s_delay_alu instid0(VALU_DEP_1) | instskip(SKIP_1) | instid1(VALU_DEP_2)
	v_cndmask_b32_e64 v116, 0, v116, s1
	v_cmp_lt_i32_e64 s1, v98, v53
	v_perm_b32 v14, v116, v14, 0x5040100
	s_delay_alu instid0(VALU_DEP_2) | instskip(SKIP_1) | instid1(VALU_DEP_1)
	v_cndmask_b32_e64 v117, 0, v117, s1
	v_cmp_lt_i32_e64 s1, v96, v38
	v_cndmask_b32_e64 v13, 0, v13, s1
	v_cmp_lt_i32_e64 s1, v84, v53
	s_delay_alu instid0(VALU_DEP_2) | instskip(NEXT) | instid1(VALU_DEP_2)
	v_perm_b32 v13, v117, v13, 0x5040100
	v_cndmask_b32_e64 v118, 0, v118, s1
	v_cmp_lt_i32_e64 s1, v83, v38
	s_delay_alu instid0(VALU_DEP_1) | instskip(SKIP_1) | instid1(VALU_DEP_2)
	v_cndmask_b32_e64 v0, 0, v0, s1
	v_cmp_lt_i32_e64 s1, v81, v53
	v_perm_b32 v0, v118, v0, 0x5040100
	s_delay_alu instid0(VALU_DEP_2) | instskip(SKIP_1) | instid1(VALU_DEP_1)
	v_cndmask_b32_e64 v11, 0, v11, s1
	v_cmp_lt_i32_e64 s1, v19, v38
	v_cndmask_b32_e64 v12, 0, v12, s1
	s_delay_alu instid0(VALU_DEP_1)
	v_perm_b32 v11, v11, v12, 0x5040100
.LBB324_1461:                           ;   in Loop: Header=BB324_1064 Depth=1
	s_or_b32 exec_lo, exec_lo, s12
	;;#ASMSTART
	v_pk_mul_f16 v12, v97, v14;

	;;#ASMEND
	;;#ASMSTART
	v_pk_mul_f16 v13, v87, v13;

	;;#ASMEND
	;; [unrolled: 4-line block ×4, first 2 shown]
	;;#ASMSTART
	v_pk_add_f16 v12, v12, v13;

	;;#ASMEND
	;;#ASMSTART
	v_pk_add_f16 v0, v12, v0;

	;;#ASMEND
	;; [unrolled: 4-line block ×3, first 2 shown]
	v_dual_mov_b32 v128, 0 :: v_dual_and_b32 v11, 0xffff, v0
	v_lshrrev_b32_e32 v0, 16, v0
	;;#ASMSTART
	v_cvt_f32_f16 v116, v11;
	;;#ASMEND
	;;#ASMSTART
	v_cvt_f32_f16 v117, v0;
	;;#ASMEND
	flat_load_b64 v[11:12], v[9:10] offset:1536
	flat_load_b32 v118, v[26:27]
	s_mov_b32 s12, exec_lo
	s_waitcnt vmcnt(1) lgkmcnt(1)
	v_dual_mov_b32 v119, 0 :: v_dual_and_b32 v0, 0xff, v11
	s_delay_alu instid0(VALU_DEP_1)
	v_cmpx_ne_u16_e32 0, v0
	s_cbranch_execz .LBB324_1469
; %bb.1462:                             ;   in Loop: Header=BB324_1064 Depth=1
	v_bfrev_b32_e32 v119, 1
	s_mov_b32 s13, exec_lo
	v_cmpx_ne_u16_e32 0x80, v0
	s_cbranch_execz .LBB324_1468
; %bb.1463:                             ;   in Loop: Header=BB324_1064 Depth=1
	v_and_b32_e32 v13, 0x7f, v11
	v_mov_b32_e32 v119, 0x7fc02000
	s_mov_b32 s15, exec_lo
	s_delay_alu instid0(VALU_DEP_2)
	v_cmpx_ne_u32_e32 0x7f, v13
	s_cbranch_execz .LBB324_1467
; %bb.1464:                             ;   in Loop: Header=BB324_1064 Depth=1
	v_lshrrev_b32_e32 v0, 3, v13
	v_cmp_gt_u32_e64 s1, 8, v13
	v_dual_mov_b32 v14, v12 :: v_dual_mov_b32 v13, v11
	s_delay_alu instid0(VALU_DEP_2)
	s_and_saveexec_b32 s16, s1
; %bb.1465:                             ;   in Loop: Header=BB324_1064 Depth=1
	v_and_b32_e32 v0, 7, v11
	s_delay_alu instid0(VALU_DEP_1) | instskip(NEXT) | instid1(VALU_DEP_1)
	v_clz_i32_u32_e32 v0, v0
	v_min_u32_e32 v0, 32, v0
	s_delay_alu instid0(VALU_DEP_1) | instskip(SKIP_1) | instid1(VALU_DEP_2)
	v_subrev_nc_u32_e32 v13, 28, v0
	v_sub_nc_u32_e32 v0, 29, v0
	v_lshlrev_b64 v[13:14], v13, v[11:12]
; %bb.1466:                             ;   in Loop: Header=BB324_1064 Depth=1
	s_or_b32 exec_lo, exec_lo, s16
	v_lshlrev_b32_e32 v14, 8, v11
	s_delay_alu instid0(VALU_DEP_3) | instskip(NEXT) | instid1(VALU_DEP_3)
	v_lshl_add_u32 v0, v0, 10, 0x2000
	v_lshlrev_b32_e32 v13, 7, v13
	s_delay_alu instid0(VALU_DEP_2) | instskip(NEXT) | instid1(VALU_DEP_1)
	v_and_or_b32 v0, 0x8000, v14, v0
	v_and_or_b32 v0, 0x380, v13, v0
	s_delay_alu instid0(VALU_DEP_1)
	v_cvt_f32_f16_e32 v119, v0
.LBB324_1467:                           ;   in Loop: Header=BB324_1064 Depth=1
	s_or_b32 exec_lo, exec_lo, s15
.LBB324_1468:                           ;   in Loop: Header=BB324_1064 Depth=1
	s_delay_alu instid0(SALU_CYCLE_1)
	s_or_b32 exec_lo, exec_lo, s13
.LBB324_1469:                           ;   in Loop: Header=BB324_1064 Depth=1
	s_delay_alu instid0(SALU_CYCLE_1) | instskip(SKIP_2) | instid1(VALU_DEP_1)
	s_or_b32 exec_lo, exec_lo, s12
	v_lshrrev_b16 v0, 8, v11
	s_mov_b32 s12, exec_lo
	v_cmpx_ne_u16_e32 0, v0
	s_cbranch_execz .LBB324_1477
; %bb.1470:                             ;   in Loop: Header=BB324_1064 Depth=1
	v_bfrev_b32_e32 v128, 1
	s_mov_b32 s13, exec_lo
	v_cmpx_ne_u16_e32 0x80, v0
	s_cbranch_execz .LBB324_1476
; %bb.1471:                             ;   in Loop: Header=BB324_1064 Depth=1
	v_and_b32_e32 v129, 0xffff, v0
	v_mov_b32_e32 v128, 0x7fc02000
	s_mov_b32 s15, exec_lo
	s_delay_alu instid0(VALU_DEP_2) | instskip(NEXT) | instid1(VALU_DEP_1)
	v_and_b32_e32 v13, 0x7f, v129
	v_cmpx_ne_u32_e32 0x7f, v13
	s_cbranch_execz .LBB324_1475
; %bb.1472:                             ;   in Loop: Header=BB324_1064 Depth=1
	v_and_b32_e32 v0, 7, v129
	v_lshrrev_b32_e32 v128, 3, v13
	v_cmp_gt_u32_e64 s1, 8, v13
	s_delay_alu instid0(VALU_DEP_3) | instskip(NEXT) | instid1(VALU_DEP_2)
	v_dual_mov_b32 v14, v1 :: v_dual_mov_b32 v13, v0
	s_and_saveexec_b32 s16, s1
; %bb.1473:                             ;   in Loop: Header=BB324_1064 Depth=1
	v_clz_i32_u32_e32 v13, v0
	s_delay_alu instid0(VALU_DEP_1) | instskip(NEXT) | instid1(VALU_DEP_1)
	v_min_u32_e32 v128, 32, v13
	v_subrev_nc_u32_e32 v13, 28, v128
	v_sub_nc_u32_e32 v128, 29, v128
	s_delay_alu instid0(VALU_DEP_2) | instskip(NEXT) | instid1(VALU_DEP_1)
	v_lshlrev_b64 v[13:14], v13, v[0:1]
	v_and_b32_e32 v13, 7, v13
; %bb.1474:                             ;   in Loop: Header=BB324_1064 Depth=1
	s_or_b32 exec_lo, exec_lo, s16
	v_lshlrev_b32_e32 v0, 8, v129
	v_lshl_add_u32 v14, v128, 10, 0x2000
	s_delay_alu instid0(VALU_DEP_1) | instskip(NEXT) | instid1(VALU_DEP_1)
	v_and_or_b32 v0, 0x8000, v0, v14
	v_lshl_or_b32 v0, v13, 7, v0
	s_delay_alu instid0(VALU_DEP_1)
	v_cvt_f32_f16_e64 v128, v0
.LBB324_1475:                           ;   in Loop: Header=BB324_1064 Depth=1
	s_or_b32 exec_lo, exec_lo, s15
.LBB324_1476:                           ;   in Loop: Header=BB324_1064 Depth=1
	s_delay_alu instid0(SALU_CYCLE_1)
	s_or_b32 exec_lo, exec_lo, s13
.LBB324_1477:                           ;   in Loop: Header=BB324_1064 Depth=1
	s_delay_alu instid0(SALU_CYCLE_1) | instskip(SKIP_3) | instid1(VALU_DEP_2)
	s_or_b32 exec_lo, exec_lo, s12
	v_lshrrev_b32_e32 v131, 16, v11
	v_mov_b32_e32 v130, 0
	s_mov_b32 s12, exec_lo
	v_dual_mov_b32 v129, 0 :: v_dual_and_b32 v0, 0xff, v131
	s_delay_alu instid0(VALU_DEP_1)
	v_cmpx_ne_u16_e32 0, v0
	s_cbranch_execz .LBB324_1485
; %bb.1478:                             ;   in Loop: Header=BB324_1064 Depth=1
	v_bfrev_b32_e32 v129, 1
	s_mov_b32 s13, exec_lo
	v_cmpx_ne_u16_e32 0x80, v0
	s_cbranch_execz .LBB324_1484
; %bb.1479:                             ;   in Loop: Header=BB324_1064 Depth=1
	v_bfe_u32 v13, v11, 16, 7
	v_mov_b32_e32 v129, 0x7fc02000
	s_mov_b32 s15, exec_lo
	s_delay_alu instid0(VALU_DEP_2)
	v_cmpx_ne_u32_e32 0x7f, v13
	s_cbranch_execz .LBB324_1483
; %bb.1480:                             ;   in Loop: Header=BB324_1064 Depth=1
	v_and_b32_e32 v0, 7, v131
	v_lshrrev_b32_e32 v129, 3, v13
	v_cmp_gt_u32_e64 s1, 8, v13
	s_delay_alu instid0(VALU_DEP_3) | instskip(NEXT) | instid1(VALU_DEP_2)
	v_dual_mov_b32 v14, v1 :: v_dual_mov_b32 v13, v0
	s_and_saveexec_b32 s16, s1
; %bb.1481:                             ;   in Loop: Header=BB324_1064 Depth=1
	v_clz_i32_u32_e32 v13, v0
	s_delay_alu instid0(VALU_DEP_1) | instskip(NEXT) | instid1(VALU_DEP_1)
	v_min_u32_e32 v129, 32, v13
	v_subrev_nc_u32_e32 v13, 28, v129
	v_sub_nc_u32_e32 v129, 29, v129
	s_delay_alu instid0(VALU_DEP_2) | instskip(NEXT) | instid1(VALU_DEP_1)
	v_lshlrev_b64 v[13:14], v13, v[0:1]
	v_and_b32_e32 v13, 7, v13
; %bb.1482:                             ;   in Loop: Header=BB324_1064 Depth=1
	s_or_b32 exec_lo, exec_lo, s16
	v_lshlrev_b32_e32 v0, 8, v131
	v_lshl_add_u32 v14, v129, 10, 0x2000
	s_delay_alu instid0(VALU_DEP_1) | instskip(NEXT) | instid1(VALU_DEP_1)
	v_and_or_b32 v0, 0x8000, v0, v14
	v_lshl_or_b32 v0, v13, 7, v0
	s_delay_alu instid0(VALU_DEP_1)
	v_cvt_f32_f16_e64 v129, v0
.LBB324_1483:                           ;   in Loop: Header=BB324_1064 Depth=1
	s_or_b32 exec_lo, exec_lo, s15
.LBB324_1484:                           ;   in Loop: Header=BB324_1064 Depth=1
	s_delay_alu instid0(SALU_CYCLE_1)
	s_or_b32 exec_lo, exec_lo, s13
.LBB324_1485:                           ;   in Loop: Header=BB324_1064 Depth=1
	s_delay_alu instid0(SALU_CYCLE_1) | instskip(NEXT) | instid1(SALU_CYCLE_1)
	s_or_b32 exec_lo, exec_lo, s12
	s_mov_b32 s12, exec_lo
	v_cmpx_lt_u32_e32 0xffffff, v11
	s_cbranch_execz .LBB324_1493
; %bb.1486:                             ;   in Loop: Header=BB324_1064 Depth=1
	v_lshrrev_b32_e32 v131, 24, v11
	v_bfrev_b32_e32 v130, 1
	s_mov_b32 s13, exec_lo
	s_delay_alu instid0(VALU_DEP_2)
	v_cmpx_ne_u32_e32 0x80, v131
	s_cbranch_execz .LBB324_1492
; %bb.1487:                             ;   in Loop: Header=BB324_1064 Depth=1
	v_and_b32_e32 v13, 0x7f, v131
	v_mov_b32_e32 v130, 0x7fc02000
	s_mov_b32 s15, exec_lo
	s_delay_alu instid0(VALU_DEP_2)
	v_cmpx_ne_u32_e32 0x7f, v13
	s_cbranch_execz .LBB324_1491
; %bb.1488:                             ;   in Loop: Header=BB324_1064 Depth=1
	v_and_b32_e32 v0, 7, v131
	v_lshrrev_b32_e32 v130, 3, v13
	v_cmp_gt_u32_e64 s1, 8, v13
	s_delay_alu instid0(VALU_DEP_3) | instskip(NEXT) | instid1(VALU_DEP_2)
	v_dual_mov_b32 v14, v1 :: v_dual_mov_b32 v13, v0
	s_and_saveexec_b32 s16, s1
; %bb.1489:                             ;   in Loop: Header=BB324_1064 Depth=1
	v_clz_i32_u32_e32 v13, v0
	s_delay_alu instid0(VALU_DEP_1) | instskip(NEXT) | instid1(VALU_DEP_1)
	v_min_u32_e32 v130, 32, v13
	v_subrev_nc_u32_e32 v13, 28, v130
	v_sub_nc_u32_e32 v130, 29, v130
	s_delay_alu instid0(VALU_DEP_2) | instskip(NEXT) | instid1(VALU_DEP_1)
	v_lshlrev_b64 v[13:14], v13, v[0:1]
	v_and_b32_e32 v13, 7, v13
; %bb.1490:                             ;   in Loop: Header=BB324_1064 Depth=1
	s_or_b32 exec_lo, exec_lo, s16
	v_lshlrev_b32_e32 v0, 8, v131
	v_lshl_add_u32 v14, v130, 10, 0x2000
	s_delay_alu instid0(VALU_DEP_1) | instskip(NEXT) | instid1(VALU_DEP_1)
	v_and_or_b32 v0, 0x8000, v0, v14
	v_lshl_or_b32 v0, v13, 7, v0
	s_delay_alu instid0(VALU_DEP_1)
	v_cvt_f32_f16_e64 v130, v0
.LBB324_1491:                           ;   in Loop: Header=BB324_1064 Depth=1
	s_or_b32 exec_lo, exec_lo, s15
.LBB324_1492:                           ;   in Loop: Header=BB324_1064 Depth=1
	s_delay_alu instid0(SALU_CYCLE_1)
	s_or_b32 exec_lo, exec_lo, s13
.LBB324_1493:                           ;   in Loop: Header=BB324_1064 Depth=1
	s_delay_alu instid0(SALU_CYCLE_1) | instskip(SKIP_3) | instid1(VALU_DEP_2)
	s_or_b32 exec_lo, exec_lo, s12
	v_dual_mov_b32 v0, v12 :: v_dual_and_b32 v13, 0xff, v12
	v_dual_mov_b32 v132, 0 :: v_dual_mov_b32 v131, 0
	s_mov_b32 s12, exec_lo
	v_cmpx_ne_u16_e32 0, v13
	s_cbranch_execz .LBB324_1501
; %bb.1494:                             ;   in Loop: Header=BB324_1064 Depth=1
	v_bfrev_b32_e32 v131, 1
	s_mov_b32 s13, exec_lo
	v_cmpx_ne_u16_e32 0x80, v13
	s_cbranch_execz .LBB324_1500
; %bb.1495:                             ;   in Loop: Header=BB324_1064 Depth=1
	v_and_b32_e32 v13, 0x7f, v12
	v_mov_b32_e32 v131, 0x7fc02000
	s_mov_b32 s15, exec_lo
	s_delay_alu instid0(VALU_DEP_2)
	v_cmpx_ne_u32_e32 0x7f, v13
	s_cbranch_execz .LBB324_1499
; %bb.1496:                             ;   in Loop: Header=BB324_1064 Depth=1
	v_lshrrev_b32_e32 v131, 3, v13
	v_cmp_gt_u32_e64 s1, 8, v13
	v_dual_mov_b32 v14, v1 :: v_dual_mov_b32 v13, v0
	s_delay_alu instid0(VALU_DEP_2)
	s_and_saveexec_b32 s16, s1
; %bb.1497:                             ;   in Loop: Header=BB324_1064 Depth=1
	v_and_b32_e32 v13, 7, v12
	s_delay_alu instid0(VALU_DEP_1) | instskip(NEXT) | instid1(VALU_DEP_1)
	v_clz_i32_u32_e32 v13, v13
	v_min_u32_e32 v131, 32, v13
	s_delay_alu instid0(VALU_DEP_1) | instskip(SKIP_1) | instid1(VALU_DEP_2)
	v_subrev_nc_u32_e32 v13, 28, v131
	v_sub_nc_u32_e32 v131, 29, v131
	v_lshlrev_b64 v[13:14], v13, v[0:1]
; %bb.1498:                             ;   in Loop: Header=BB324_1064 Depth=1
	s_or_b32 exec_lo, exec_lo, s16
	v_lshlrev_b32_e32 v14, 8, v12
	s_delay_alu instid0(VALU_DEP_3) | instskip(NEXT) | instid1(VALU_DEP_3)
	v_lshl_add_u32 v131, v131, 10, 0x2000
	v_lshlrev_b32_e32 v13, 7, v13
	s_delay_alu instid0(VALU_DEP_2) | instskip(NEXT) | instid1(VALU_DEP_1)
	v_and_or_b32 v14, 0x8000, v14, v131
	v_and_or_b32 v13, 0x380, v13, v14
	s_delay_alu instid0(VALU_DEP_1)
	v_cvt_f32_f16_e64 v131, v13
.LBB324_1499:                           ;   in Loop: Header=BB324_1064 Depth=1
	s_or_b32 exec_lo, exec_lo, s15
.LBB324_1500:                           ;   in Loop: Header=BB324_1064 Depth=1
	s_delay_alu instid0(SALU_CYCLE_1)
	s_or_b32 exec_lo, exec_lo, s13
.LBB324_1501:                           ;   in Loop: Header=BB324_1064 Depth=1
	s_delay_alu instid0(SALU_CYCLE_1) | instskip(SKIP_2) | instid1(VALU_DEP_1)
	s_or_b32 exec_lo, exec_lo, s12
	v_lshrrev_b16 v0, 8, v0
	s_mov_b32 s12, exec_lo
	v_cmpx_ne_u16_e32 0, v0
	s_cbranch_execz .LBB324_1509
; %bb.1502:                             ;   in Loop: Header=BB324_1064 Depth=1
	v_bfrev_b32_e32 v132, 1
	s_mov_b32 s13, exec_lo
	v_cmpx_ne_u16_e32 0x80, v0
	s_cbranch_execz .LBB324_1508
; %bb.1503:                             ;   in Loop: Header=BB324_1064 Depth=1
	v_and_b32_e32 v133, 0xffff, v0
	v_mov_b32_e32 v132, 0x7fc02000
	s_mov_b32 s15, exec_lo
	s_delay_alu instid0(VALU_DEP_2) | instskip(NEXT) | instid1(VALU_DEP_1)
	v_and_b32_e32 v13, 0x7f, v133
	v_cmpx_ne_u32_e32 0x7f, v13
	s_cbranch_execz .LBB324_1507
; %bb.1504:                             ;   in Loop: Header=BB324_1064 Depth=1
	v_and_b32_e32 v0, 7, v133
	v_lshrrev_b32_e32 v132, 3, v13
	v_cmp_gt_u32_e64 s1, 8, v13
	s_delay_alu instid0(VALU_DEP_3) | instskip(NEXT) | instid1(VALU_DEP_2)
	v_dual_mov_b32 v14, v1 :: v_dual_mov_b32 v13, v0
	s_and_saveexec_b32 s16, s1
; %bb.1505:                             ;   in Loop: Header=BB324_1064 Depth=1
	v_clz_i32_u32_e32 v13, v0
	s_delay_alu instid0(VALU_DEP_1) | instskip(NEXT) | instid1(VALU_DEP_1)
	v_min_u32_e32 v132, 32, v13
	v_subrev_nc_u32_e32 v13, 28, v132
	v_sub_nc_u32_e32 v132, 29, v132
	s_delay_alu instid0(VALU_DEP_2) | instskip(NEXT) | instid1(VALU_DEP_1)
	v_lshlrev_b64 v[13:14], v13, v[0:1]
	v_and_b32_e32 v13, 7, v13
; %bb.1506:                             ;   in Loop: Header=BB324_1064 Depth=1
	s_or_b32 exec_lo, exec_lo, s16
	v_lshlrev_b32_e32 v0, 8, v133
	v_lshl_add_u32 v14, v132, 10, 0x2000
	s_delay_alu instid0(VALU_DEP_1) | instskip(NEXT) | instid1(VALU_DEP_1)
	v_and_or_b32 v0, 0x8000, v0, v14
	v_lshl_or_b32 v0, v13, 7, v0
	s_delay_alu instid0(VALU_DEP_1)
	v_cvt_f32_f16_e64 v132, v0
.LBB324_1507:                           ;   in Loop: Header=BB324_1064 Depth=1
	s_or_b32 exec_lo, exec_lo, s15
.LBB324_1508:                           ;   in Loop: Header=BB324_1064 Depth=1
	s_delay_alu instid0(SALU_CYCLE_1)
	s_or_b32 exec_lo, exec_lo, s13
.LBB324_1509:                           ;   in Loop: Header=BB324_1064 Depth=1
	s_delay_alu instid0(SALU_CYCLE_1) | instskip(SKIP_3) | instid1(VALU_DEP_2)
	s_or_b32 exec_lo, exec_lo, s12
	v_lshrrev_b32_e32 v134, 16, v12
	v_mov_b32_e32 v13, 0
	s_mov_b32 s12, exec_lo
	v_dual_mov_b32 v133, 0 :: v_dual_and_b32 v0, 0xff, v134
	s_delay_alu instid0(VALU_DEP_1)
	v_cmpx_ne_u16_e32 0, v0
	s_cbranch_execz .LBB324_1517
; %bb.1510:                             ;   in Loop: Header=BB324_1064 Depth=1
	v_bfrev_b32_e32 v13, 1
	s_mov_b32 s13, exec_lo
	v_cmpx_ne_u16_e32 0x80, v0
	s_cbranch_execz .LBB324_1516
; %bb.1511:                             ;   in Loop: Header=BB324_1064 Depth=1
	v_bfe_u32 v14, v12, 16, 7
	v_mov_b32_e32 v13, 0x7fc02000
	s_mov_b32 s15, exec_lo
	s_delay_alu instid0(VALU_DEP_2)
	v_cmpx_ne_u32_e32 0x7f, v14
	s_cbranch_execz .LBB324_1515
; %bb.1512:                             ;   in Loop: Header=BB324_1064 Depth=1
	v_and_b32_e32 v0, 7, v134
	v_lshrrev_b32_e32 v135, 3, v14
	v_cmp_gt_u32_e64 s1, 8, v14
	s_delay_alu instid0(VALU_DEP_3) | instskip(NEXT) | instid1(VALU_DEP_2)
	v_dual_mov_b32 v14, v1 :: v_dual_mov_b32 v13, v0
	s_and_saveexec_b32 s16, s1
; %bb.1513:                             ;   in Loop: Header=BB324_1064 Depth=1
	v_clz_i32_u32_e32 v13, v0
	s_delay_alu instid0(VALU_DEP_1) | instskip(NEXT) | instid1(VALU_DEP_1)
	v_min_u32_e32 v135, 32, v13
	v_subrev_nc_u32_e32 v13, 28, v135
	v_sub_nc_u32_e32 v135, 29, v135
	s_delay_alu instid0(VALU_DEP_2) | instskip(NEXT) | instid1(VALU_DEP_1)
	v_lshlrev_b64 v[13:14], v13, v[0:1]
	v_and_b32_e32 v13, 7, v13
; %bb.1514:                             ;   in Loop: Header=BB324_1064 Depth=1
	s_or_b32 exec_lo, exec_lo, s16
	v_lshlrev_b32_e32 v0, 8, v134
	v_lshl_add_u32 v14, v135, 10, 0x2000
	s_delay_alu instid0(VALU_DEP_1) | instskip(NEXT) | instid1(VALU_DEP_1)
	v_and_or_b32 v0, 0x8000, v0, v14
	v_lshl_or_b32 v0, v13, 7, v0
	s_delay_alu instid0(VALU_DEP_1)
	v_cvt_f32_f16_e32 v13, v0
.LBB324_1515:                           ;   in Loop: Header=BB324_1064 Depth=1
	s_or_b32 exec_lo, exec_lo, s15
.LBB324_1516:                           ;   in Loop: Header=BB324_1064 Depth=1
	s_delay_alu instid0(SALU_CYCLE_1)
	s_or_b32 exec_lo, exec_lo, s13
.LBB324_1517:                           ;   in Loop: Header=BB324_1064 Depth=1
	s_delay_alu instid0(SALU_CYCLE_1) | instskip(NEXT) | instid1(SALU_CYCLE_1)
	s_or_b32 exec_lo, exec_lo, s12
	s_mov_b32 s12, exec_lo
	v_cmpx_lt_u64_e64 s[8:9], v[11:12]
	s_cbranch_execz .LBB324_1525
; %bb.1518:                             ;   in Loop: Header=BB324_1064 Depth=1
	v_lshrrev_b32_e32 v14, 24, v12
	v_bfrev_b32_e32 v133, 1
	s_mov_b32 s13, exec_lo
	s_delay_alu instid0(VALU_DEP_2)
	v_cmpx_ne_u32_e32 0x80, v14
	s_cbranch_execz .LBB324_1524
; %bb.1519:                             ;   in Loop: Header=BB324_1064 Depth=1
	v_and_b32_e32 v11, 0x7f, v14
	v_mov_b32_e32 v133, 0x7fc02000
	s_mov_b32 s15, exec_lo
	s_delay_alu instid0(VALU_DEP_2)
	v_cmpx_ne_u32_e32 0x7f, v11
	s_cbranch_execz .LBB324_1523
; %bb.1520:                             ;   in Loop: Header=BB324_1064 Depth=1
	v_and_b32_e32 v0, 7, v14
	v_lshrrev_b32_e32 v133, 3, v11
	v_cmp_gt_u32_e64 s1, 8, v11
	s_delay_alu instid0(VALU_DEP_3) | instskip(NEXT) | instid1(VALU_DEP_2)
	v_dual_mov_b32 v12, v1 :: v_dual_mov_b32 v11, v0
	s_and_saveexec_b32 s16, s1
; %bb.1521:                             ;   in Loop: Header=BB324_1064 Depth=1
	v_clz_i32_u32_e32 v11, v0
	s_delay_alu instid0(VALU_DEP_1) | instskip(NEXT) | instid1(VALU_DEP_1)
	v_min_u32_e32 v133, 32, v11
	v_subrev_nc_u32_e32 v11, 28, v133
	v_sub_nc_u32_e32 v133, 29, v133
	s_delay_alu instid0(VALU_DEP_2) | instskip(NEXT) | instid1(VALU_DEP_1)
	v_lshlrev_b64 v[11:12], v11, v[0:1]
	v_and_b32_e32 v11, 7, v11
; %bb.1522:                             ;   in Loop: Header=BB324_1064 Depth=1
	s_or_b32 exec_lo, exec_lo, s16
	v_lshlrev_b32_e32 v0, 8, v14
	v_lshl_add_u32 v12, v133, 10, 0x2000
	s_delay_alu instid0(VALU_DEP_1) | instskip(NEXT) | instid1(VALU_DEP_1)
	v_and_or_b32 v0, 0x8000, v0, v12
	v_lshl_or_b32 v0, v11, 7, v0
	s_delay_alu instid0(VALU_DEP_1)
	v_cvt_f32_f16_e64 v133, v0
.LBB324_1523:                           ;   in Loop: Header=BB324_1064 Depth=1
	s_or_b32 exec_lo, exec_lo, s15
.LBB324_1524:                           ;   in Loop: Header=BB324_1064 Depth=1
	s_delay_alu instid0(SALU_CYCLE_1)
	s_or_b32 exec_lo, exec_lo, s13
.LBB324_1525:                           ;   in Loop: Header=BB324_1064 Depth=1
	s_delay_alu instid0(SALU_CYCLE_1)
	s_or_b32 exec_lo, exec_lo, s12
	s_waitcnt vmcnt(0) lgkmcnt(0)
	v_fma_mixlo_f16 v12, v118, v128, 0
	v_fma_mixlo_f16 v0, v118, v130, 0
	;; [unrolled: 1-line block ×5, first 2 shown]
	v_lshlrev_b32_e32 v14, 16, v12
	v_fma_mixlo_f16 v129, v118, v131, 0
	v_fma_mixlo_f16 v130, v118, v133, 0
	;; [unrolled: 1-line block ×3, first 2 shown]
	v_lshlrev_b32_e32 v0, 16, v0
	v_and_b32_e32 v11, 0xffff, v11
	v_and_b32_e32 v118, 0xffff, v119
	v_lshlrev_b32_e32 v119, 16, v128
	v_and_b32_e32 v128, 0xffff, v129
	v_lshlrev_b32_e32 v129, 16, v130
	v_and_b32_e32 v130, 0xffff, v12
	v_or_b32_e32 v13, v0, v11
	v_or_b32_e32 v14, v14, v118
	;; [unrolled: 1-line block ×3, first 2 shown]
	s_delay_alu instid0(VALU_DEP_4)
	v_or_b32_e32 v11, v129, v130
	s_and_saveexec_b32 s12, vcc_lo
	s_cbranch_execz .LBB324_1527
; %bb.1526:                             ;   in Loop: Header=BB324_1064 Depth=1
	v_cmp_lt_i32_e64 s1, v18, v38
	v_lshrrev_b32_e32 v118, 16, v14
	v_lshrrev_b32_e32 v119, 16, v13
	;; [unrolled: 1-line block ×4, first 2 shown]
	v_cndmask_b32_e64 v14, 0, v14, s1
	v_cmp_lt_i32_e64 s1, v99, v53
	s_delay_alu instid0(VALU_DEP_1) | instskip(SKIP_1) | instid1(VALU_DEP_2)
	v_cndmask_b32_e64 v118, 0, v118, s1
	v_cmp_lt_i32_e64 s1, v98, v53
	v_perm_b32 v14, v118, v14, 0x5040100
	s_delay_alu instid0(VALU_DEP_2) | instskip(SKIP_1) | instid1(VALU_DEP_1)
	v_cndmask_b32_e64 v119, 0, v119, s1
	v_cmp_lt_i32_e64 s1, v96, v38
	v_cndmask_b32_e64 v13, 0, v13, s1
	v_cmp_lt_i32_e64 s1, v84, v53
	s_delay_alu instid0(VALU_DEP_2) | instskip(NEXT) | instid1(VALU_DEP_2)
	v_perm_b32 v13, v119, v13, 0x5040100
	v_cndmask_b32_e64 v128, 0, v128, s1
	v_cmp_lt_i32_e64 s1, v83, v38
	s_delay_alu instid0(VALU_DEP_1) | instskip(SKIP_1) | instid1(VALU_DEP_2)
	v_cndmask_b32_e64 v0, 0, v0, s1
	v_cmp_lt_i32_e64 s1, v81, v53
	v_perm_b32 v0, v128, v0, 0x5040100
	s_delay_alu instid0(VALU_DEP_2) | instskip(SKIP_1) | instid1(VALU_DEP_1)
	v_cndmask_b32_e64 v11, 0, v11, s1
	v_cmp_lt_i32_e64 s1, v19, v38
	v_cndmask_b32_e64 v12, 0, v12, s1
	s_delay_alu instid0(VALU_DEP_1)
	v_perm_b32 v11, v11, v12, 0x5040100
.LBB324_1527:                           ;   in Loop: Header=BB324_1064 Depth=1
	s_or_b32 exec_lo, exec_lo, s12
	;;#ASMSTART
	v_pk_mul_f16 v12, v97, v14;

	;;#ASMEND
	;;#ASMSTART
	v_pk_mul_f16 v13, v87, v13;

	;;#ASMEND
	;;#ASMSTART
	v_pk_mul_f16 v0, v86, v0;

	;;#ASMEND
	;;#ASMSTART
	v_pk_mul_f16 v11, v85, v11;

	;;#ASMEND
	;;#ASMSTART
	v_pk_add_f16 v12, v12, v13;

	;;#ASMEND
	;;#ASMSTART
	v_pk_add_f16 v0, v12, v0;

	;;#ASMEND
	;;#ASMSTART
	v_pk_add_f16 v0, v0, v11;

	;;#ASMEND
	v_dual_mov_b32 v130, 0 :: v_dual_and_b32 v11, 0xffff, v0
	v_lshrrev_b32_e32 v0, 16, v0
	;;#ASMSTART
	v_cvt_f32_f16 v118, v11;
	;;#ASMEND
	;;#ASMSTART
	v_cvt_f32_f16 v119, v0;
	;;#ASMEND
	flat_load_b64 v[11:12], v[9:10] offset:1792
	flat_load_b32 v128, v[26:27]
	s_mov_b32 s12, exec_lo
	s_waitcnt vmcnt(1) lgkmcnt(1)
	v_dual_mov_b32 v129, 0 :: v_dual_and_b32 v0, 0xff, v11
	s_delay_alu instid0(VALU_DEP_1)
	v_cmpx_ne_u16_e32 0, v0
	s_cbranch_execz .LBB324_1535
; %bb.1528:                             ;   in Loop: Header=BB324_1064 Depth=1
	v_bfrev_b32_e32 v129, 1
	s_mov_b32 s13, exec_lo
	v_cmpx_ne_u16_e32 0x80, v0
	s_cbranch_execz .LBB324_1534
; %bb.1529:                             ;   in Loop: Header=BB324_1064 Depth=1
	v_and_b32_e32 v13, 0x7f, v11
	v_mov_b32_e32 v129, 0x7fc02000
	s_mov_b32 s15, exec_lo
	s_delay_alu instid0(VALU_DEP_2)
	v_cmpx_ne_u32_e32 0x7f, v13
	s_cbranch_execz .LBB324_1533
; %bb.1530:                             ;   in Loop: Header=BB324_1064 Depth=1
	v_lshrrev_b32_e32 v0, 3, v13
	v_cmp_gt_u32_e64 s1, 8, v13
	v_dual_mov_b32 v14, v12 :: v_dual_mov_b32 v13, v11
	s_delay_alu instid0(VALU_DEP_2)
	s_and_saveexec_b32 s16, s1
; %bb.1531:                             ;   in Loop: Header=BB324_1064 Depth=1
	v_and_b32_e32 v0, 7, v11
	s_delay_alu instid0(VALU_DEP_1) | instskip(NEXT) | instid1(VALU_DEP_1)
	v_clz_i32_u32_e32 v0, v0
	v_min_u32_e32 v0, 32, v0
	s_delay_alu instid0(VALU_DEP_1) | instskip(SKIP_1) | instid1(VALU_DEP_2)
	v_subrev_nc_u32_e32 v13, 28, v0
	v_sub_nc_u32_e32 v0, 29, v0
	v_lshlrev_b64 v[13:14], v13, v[11:12]
; %bb.1532:                             ;   in Loop: Header=BB324_1064 Depth=1
	s_or_b32 exec_lo, exec_lo, s16
	v_lshlrev_b32_e32 v14, 8, v11
	s_delay_alu instid0(VALU_DEP_3) | instskip(NEXT) | instid1(VALU_DEP_3)
	v_lshl_add_u32 v0, v0, 10, 0x2000
	v_lshlrev_b32_e32 v13, 7, v13
	s_delay_alu instid0(VALU_DEP_2) | instskip(NEXT) | instid1(VALU_DEP_1)
	v_and_or_b32 v0, 0x8000, v14, v0
	v_and_or_b32 v0, 0x380, v13, v0
	s_delay_alu instid0(VALU_DEP_1)
	v_cvt_f32_f16_e64 v129, v0
.LBB324_1533:                           ;   in Loop: Header=BB324_1064 Depth=1
	s_or_b32 exec_lo, exec_lo, s15
.LBB324_1534:                           ;   in Loop: Header=BB324_1064 Depth=1
	s_delay_alu instid0(SALU_CYCLE_1)
	s_or_b32 exec_lo, exec_lo, s13
.LBB324_1535:                           ;   in Loop: Header=BB324_1064 Depth=1
	s_delay_alu instid0(SALU_CYCLE_1) | instskip(SKIP_2) | instid1(VALU_DEP_1)
	s_or_b32 exec_lo, exec_lo, s12
	v_lshrrev_b16 v0, 8, v11
	s_mov_b32 s12, exec_lo
	v_cmpx_ne_u16_e32 0, v0
	s_cbranch_execz .LBB324_1543
; %bb.1536:                             ;   in Loop: Header=BB324_1064 Depth=1
	v_bfrev_b32_e32 v130, 1
	s_mov_b32 s13, exec_lo
	v_cmpx_ne_u16_e32 0x80, v0
	s_cbranch_execz .LBB324_1542
; %bb.1537:                             ;   in Loop: Header=BB324_1064 Depth=1
	v_and_b32_e32 v131, 0xffff, v0
	v_mov_b32_e32 v130, 0x7fc02000
	s_mov_b32 s15, exec_lo
	s_delay_alu instid0(VALU_DEP_2) | instskip(NEXT) | instid1(VALU_DEP_1)
	v_and_b32_e32 v13, 0x7f, v131
	v_cmpx_ne_u32_e32 0x7f, v13
	s_cbranch_execz .LBB324_1541
; %bb.1538:                             ;   in Loop: Header=BB324_1064 Depth=1
	v_and_b32_e32 v0, 7, v131
	v_lshrrev_b32_e32 v130, 3, v13
	v_cmp_gt_u32_e64 s1, 8, v13
	s_delay_alu instid0(VALU_DEP_3) | instskip(NEXT) | instid1(VALU_DEP_2)
	v_dual_mov_b32 v14, v1 :: v_dual_mov_b32 v13, v0
	s_and_saveexec_b32 s16, s1
; %bb.1539:                             ;   in Loop: Header=BB324_1064 Depth=1
	v_clz_i32_u32_e32 v13, v0
	s_delay_alu instid0(VALU_DEP_1) | instskip(NEXT) | instid1(VALU_DEP_1)
	v_min_u32_e32 v130, 32, v13
	v_subrev_nc_u32_e32 v13, 28, v130
	v_sub_nc_u32_e32 v130, 29, v130
	s_delay_alu instid0(VALU_DEP_2) | instskip(NEXT) | instid1(VALU_DEP_1)
	v_lshlrev_b64 v[13:14], v13, v[0:1]
	v_and_b32_e32 v13, 7, v13
; %bb.1540:                             ;   in Loop: Header=BB324_1064 Depth=1
	s_or_b32 exec_lo, exec_lo, s16
	v_lshlrev_b32_e32 v0, 8, v131
	v_lshl_add_u32 v14, v130, 10, 0x2000
	s_delay_alu instid0(VALU_DEP_1) | instskip(NEXT) | instid1(VALU_DEP_1)
	v_and_or_b32 v0, 0x8000, v0, v14
	v_lshl_or_b32 v0, v13, 7, v0
	s_delay_alu instid0(VALU_DEP_1)
	v_cvt_f32_f16_e64 v130, v0
.LBB324_1541:                           ;   in Loop: Header=BB324_1064 Depth=1
	s_or_b32 exec_lo, exec_lo, s15
.LBB324_1542:                           ;   in Loop: Header=BB324_1064 Depth=1
	s_delay_alu instid0(SALU_CYCLE_1)
	s_or_b32 exec_lo, exec_lo, s13
.LBB324_1543:                           ;   in Loop: Header=BB324_1064 Depth=1
	s_delay_alu instid0(SALU_CYCLE_1) | instskip(SKIP_3) | instid1(VALU_DEP_2)
	s_or_b32 exec_lo, exec_lo, s12
	v_lshrrev_b32_e32 v133, 16, v11
	v_mov_b32_e32 v132, 0
	s_mov_b32 s12, exec_lo
	v_dual_mov_b32 v131, 0 :: v_dual_and_b32 v0, 0xff, v133
	s_delay_alu instid0(VALU_DEP_1)
	v_cmpx_ne_u16_e32 0, v0
	s_cbranch_execz .LBB324_1551
; %bb.1544:                             ;   in Loop: Header=BB324_1064 Depth=1
	v_bfrev_b32_e32 v131, 1
	s_mov_b32 s13, exec_lo
	v_cmpx_ne_u16_e32 0x80, v0
	s_cbranch_execz .LBB324_1550
; %bb.1545:                             ;   in Loop: Header=BB324_1064 Depth=1
	v_bfe_u32 v13, v11, 16, 7
	v_mov_b32_e32 v131, 0x7fc02000
	s_mov_b32 s15, exec_lo
	s_delay_alu instid0(VALU_DEP_2)
	v_cmpx_ne_u32_e32 0x7f, v13
	s_cbranch_execz .LBB324_1549
; %bb.1546:                             ;   in Loop: Header=BB324_1064 Depth=1
	v_and_b32_e32 v0, 7, v133
	v_lshrrev_b32_e32 v131, 3, v13
	v_cmp_gt_u32_e64 s1, 8, v13
	s_delay_alu instid0(VALU_DEP_3) | instskip(NEXT) | instid1(VALU_DEP_2)
	v_dual_mov_b32 v14, v1 :: v_dual_mov_b32 v13, v0
	s_and_saveexec_b32 s16, s1
; %bb.1547:                             ;   in Loop: Header=BB324_1064 Depth=1
	v_clz_i32_u32_e32 v13, v0
	s_delay_alu instid0(VALU_DEP_1) | instskip(NEXT) | instid1(VALU_DEP_1)
	v_min_u32_e32 v131, 32, v13
	v_subrev_nc_u32_e32 v13, 28, v131
	v_sub_nc_u32_e32 v131, 29, v131
	s_delay_alu instid0(VALU_DEP_2) | instskip(NEXT) | instid1(VALU_DEP_1)
	v_lshlrev_b64 v[13:14], v13, v[0:1]
	v_and_b32_e32 v13, 7, v13
; %bb.1548:                             ;   in Loop: Header=BB324_1064 Depth=1
	s_or_b32 exec_lo, exec_lo, s16
	v_lshlrev_b32_e32 v0, 8, v133
	v_lshl_add_u32 v14, v131, 10, 0x2000
	s_delay_alu instid0(VALU_DEP_1) | instskip(NEXT) | instid1(VALU_DEP_1)
	v_and_or_b32 v0, 0x8000, v0, v14
	v_lshl_or_b32 v0, v13, 7, v0
	s_delay_alu instid0(VALU_DEP_1)
	v_cvt_f32_f16_e64 v131, v0
.LBB324_1549:                           ;   in Loop: Header=BB324_1064 Depth=1
	s_or_b32 exec_lo, exec_lo, s15
.LBB324_1550:                           ;   in Loop: Header=BB324_1064 Depth=1
	s_delay_alu instid0(SALU_CYCLE_1)
	s_or_b32 exec_lo, exec_lo, s13
.LBB324_1551:                           ;   in Loop: Header=BB324_1064 Depth=1
	s_delay_alu instid0(SALU_CYCLE_1) | instskip(NEXT) | instid1(SALU_CYCLE_1)
	s_or_b32 exec_lo, exec_lo, s12
	s_mov_b32 s12, exec_lo
	v_cmpx_lt_u32_e32 0xffffff, v11
	s_cbranch_execz .LBB324_1559
; %bb.1552:                             ;   in Loop: Header=BB324_1064 Depth=1
	v_lshrrev_b32_e32 v133, 24, v11
	v_bfrev_b32_e32 v132, 1
	s_mov_b32 s13, exec_lo
	s_delay_alu instid0(VALU_DEP_2)
	v_cmpx_ne_u32_e32 0x80, v133
	s_cbranch_execz .LBB324_1558
; %bb.1553:                             ;   in Loop: Header=BB324_1064 Depth=1
	v_and_b32_e32 v13, 0x7f, v133
	v_mov_b32_e32 v132, 0x7fc02000
	s_mov_b32 s15, exec_lo
	s_delay_alu instid0(VALU_DEP_2)
	v_cmpx_ne_u32_e32 0x7f, v13
	s_cbranch_execz .LBB324_1557
; %bb.1554:                             ;   in Loop: Header=BB324_1064 Depth=1
	v_and_b32_e32 v0, 7, v133
	v_lshrrev_b32_e32 v132, 3, v13
	v_cmp_gt_u32_e64 s1, 8, v13
	s_delay_alu instid0(VALU_DEP_3) | instskip(NEXT) | instid1(VALU_DEP_2)
	v_dual_mov_b32 v14, v1 :: v_dual_mov_b32 v13, v0
	s_and_saveexec_b32 s16, s1
; %bb.1555:                             ;   in Loop: Header=BB324_1064 Depth=1
	v_clz_i32_u32_e32 v13, v0
	s_delay_alu instid0(VALU_DEP_1) | instskip(NEXT) | instid1(VALU_DEP_1)
	v_min_u32_e32 v132, 32, v13
	v_subrev_nc_u32_e32 v13, 28, v132
	v_sub_nc_u32_e32 v132, 29, v132
	s_delay_alu instid0(VALU_DEP_2) | instskip(NEXT) | instid1(VALU_DEP_1)
	v_lshlrev_b64 v[13:14], v13, v[0:1]
	v_and_b32_e32 v13, 7, v13
; %bb.1556:                             ;   in Loop: Header=BB324_1064 Depth=1
	s_or_b32 exec_lo, exec_lo, s16
	v_lshlrev_b32_e32 v0, 8, v133
	v_lshl_add_u32 v14, v132, 10, 0x2000
	s_delay_alu instid0(VALU_DEP_1) | instskip(NEXT) | instid1(VALU_DEP_1)
	v_and_or_b32 v0, 0x8000, v0, v14
	v_lshl_or_b32 v0, v13, 7, v0
	s_delay_alu instid0(VALU_DEP_1)
	v_cvt_f32_f16_e64 v132, v0
.LBB324_1557:                           ;   in Loop: Header=BB324_1064 Depth=1
	s_or_b32 exec_lo, exec_lo, s15
.LBB324_1558:                           ;   in Loop: Header=BB324_1064 Depth=1
	s_delay_alu instid0(SALU_CYCLE_1)
	s_or_b32 exec_lo, exec_lo, s13
.LBB324_1559:                           ;   in Loop: Header=BB324_1064 Depth=1
	s_delay_alu instid0(SALU_CYCLE_1) | instskip(SKIP_3) | instid1(VALU_DEP_2)
	s_or_b32 exec_lo, exec_lo, s12
	v_dual_mov_b32 v0, v12 :: v_dual_and_b32 v13, 0xff, v12
	v_dual_mov_b32 v134, 0 :: v_dual_mov_b32 v133, 0
	s_mov_b32 s12, exec_lo
	v_cmpx_ne_u16_e32 0, v13
	s_cbranch_execz .LBB324_1567
; %bb.1560:                             ;   in Loop: Header=BB324_1064 Depth=1
	v_bfrev_b32_e32 v133, 1
	s_mov_b32 s13, exec_lo
	v_cmpx_ne_u16_e32 0x80, v13
	s_cbranch_execz .LBB324_1566
; %bb.1561:                             ;   in Loop: Header=BB324_1064 Depth=1
	v_and_b32_e32 v13, 0x7f, v12
	v_mov_b32_e32 v133, 0x7fc02000
	s_mov_b32 s15, exec_lo
	s_delay_alu instid0(VALU_DEP_2)
	v_cmpx_ne_u32_e32 0x7f, v13
	s_cbranch_execz .LBB324_1565
; %bb.1562:                             ;   in Loop: Header=BB324_1064 Depth=1
	v_lshrrev_b32_e32 v133, 3, v13
	v_cmp_gt_u32_e64 s1, 8, v13
	v_dual_mov_b32 v14, v1 :: v_dual_mov_b32 v13, v0
	s_delay_alu instid0(VALU_DEP_2)
	s_and_saveexec_b32 s16, s1
; %bb.1563:                             ;   in Loop: Header=BB324_1064 Depth=1
	v_and_b32_e32 v13, 7, v12
	s_delay_alu instid0(VALU_DEP_1) | instskip(NEXT) | instid1(VALU_DEP_1)
	v_clz_i32_u32_e32 v13, v13
	v_min_u32_e32 v133, 32, v13
	s_delay_alu instid0(VALU_DEP_1) | instskip(SKIP_1) | instid1(VALU_DEP_2)
	v_subrev_nc_u32_e32 v13, 28, v133
	v_sub_nc_u32_e32 v133, 29, v133
	v_lshlrev_b64 v[13:14], v13, v[0:1]
; %bb.1564:                             ;   in Loop: Header=BB324_1064 Depth=1
	s_or_b32 exec_lo, exec_lo, s16
	v_lshlrev_b32_e32 v14, 8, v12
	s_delay_alu instid0(VALU_DEP_3) | instskip(NEXT) | instid1(VALU_DEP_3)
	v_lshl_add_u32 v133, v133, 10, 0x2000
	v_lshlrev_b32_e32 v13, 7, v13
	s_delay_alu instid0(VALU_DEP_2) | instskip(NEXT) | instid1(VALU_DEP_1)
	v_and_or_b32 v14, 0x8000, v14, v133
	v_and_or_b32 v13, 0x380, v13, v14
	s_delay_alu instid0(VALU_DEP_1)
	v_cvt_f32_f16_e64 v133, v13
.LBB324_1565:                           ;   in Loop: Header=BB324_1064 Depth=1
	s_or_b32 exec_lo, exec_lo, s15
.LBB324_1566:                           ;   in Loop: Header=BB324_1064 Depth=1
	s_delay_alu instid0(SALU_CYCLE_1)
	s_or_b32 exec_lo, exec_lo, s13
.LBB324_1567:                           ;   in Loop: Header=BB324_1064 Depth=1
	s_delay_alu instid0(SALU_CYCLE_1) | instskip(SKIP_2) | instid1(VALU_DEP_1)
	s_or_b32 exec_lo, exec_lo, s12
	v_lshrrev_b16 v0, 8, v0
	s_mov_b32 s12, exec_lo
	v_cmpx_ne_u16_e32 0, v0
	s_cbranch_execz .LBB324_1575
; %bb.1568:                             ;   in Loop: Header=BB324_1064 Depth=1
	v_bfrev_b32_e32 v134, 1
	s_mov_b32 s13, exec_lo
	v_cmpx_ne_u16_e32 0x80, v0
	s_cbranch_execz .LBB324_1574
; %bb.1569:                             ;   in Loop: Header=BB324_1064 Depth=1
	v_and_b32_e32 v135, 0xffff, v0
	v_mov_b32_e32 v134, 0x7fc02000
	s_mov_b32 s15, exec_lo
	s_delay_alu instid0(VALU_DEP_2) | instskip(NEXT) | instid1(VALU_DEP_1)
	v_and_b32_e32 v13, 0x7f, v135
	v_cmpx_ne_u32_e32 0x7f, v13
	s_cbranch_execz .LBB324_1573
; %bb.1570:                             ;   in Loop: Header=BB324_1064 Depth=1
	v_and_b32_e32 v0, 7, v135
	v_lshrrev_b32_e32 v134, 3, v13
	v_cmp_gt_u32_e64 s1, 8, v13
	s_delay_alu instid0(VALU_DEP_3) | instskip(NEXT) | instid1(VALU_DEP_2)
	v_dual_mov_b32 v14, v1 :: v_dual_mov_b32 v13, v0
	s_and_saveexec_b32 s16, s1
; %bb.1571:                             ;   in Loop: Header=BB324_1064 Depth=1
	v_clz_i32_u32_e32 v13, v0
	s_delay_alu instid0(VALU_DEP_1) | instskip(NEXT) | instid1(VALU_DEP_1)
	v_min_u32_e32 v134, 32, v13
	v_subrev_nc_u32_e32 v13, 28, v134
	v_sub_nc_u32_e32 v134, 29, v134
	s_delay_alu instid0(VALU_DEP_2) | instskip(NEXT) | instid1(VALU_DEP_1)
	v_lshlrev_b64 v[13:14], v13, v[0:1]
	v_and_b32_e32 v13, 7, v13
; %bb.1572:                             ;   in Loop: Header=BB324_1064 Depth=1
	s_or_b32 exec_lo, exec_lo, s16
	v_lshlrev_b32_e32 v0, 8, v135
	v_lshl_add_u32 v14, v134, 10, 0x2000
	s_delay_alu instid0(VALU_DEP_1) | instskip(NEXT) | instid1(VALU_DEP_1)
	v_and_or_b32 v0, 0x8000, v0, v14
	v_lshl_or_b32 v0, v13, 7, v0
	s_delay_alu instid0(VALU_DEP_1)
	v_cvt_f32_f16_e64 v134, v0
.LBB324_1573:                           ;   in Loop: Header=BB324_1064 Depth=1
	s_or_b32 exec_lo, exec_lo, s15
.LBB324_1574:                           ;   in Loop: Header=BB324_1064 Depth=1
	s_delay_alu instid0(SALU_CYCLE_1)
	s_or_b32 exec_lo, exec_lo, s13
.LBB324_1575:                           ;   in Loop: Header=BB324_1064 Depth=1
	s_delay_alu instid0(SALU_CYCLE_1) | instskip(SKIP_3) | instid1(VALU_DEP_2)
	s_or_b32 exec_lo, exec_lo, s12
	v_lshrrev_b32_e32 v144, 16, v12
	v_mov_b32_e32 v13, 0
	s_mov_b32 s12, exec_lo
	v_dual_mov_b32 v135, 0 :: v_dual_and_b32 v0, 0xff, v144
	s_delay_alu instid0(VALU_DEP_1)
	v_cmpx_ne_u16_e32 0, v0
	s_cbranch_execz .LBB324_1583
; %bb.1576:                             ;   in Loop: Header=BB324_1064 Depth=1
	v_bfrev_b32_e32 v13, 1
	s_mov_b32 s13, exec_lo
	v_cmpx_ne_u16_e32 0x80, v0
	s_cbranch_execz .LBB324_1582
; %bb.1577:                             ;   in Loop: Header=BB324_1064 Depth=1
	v_bfe_u32 v14, v12, 16, 7
	v_mov_b32_e32 v13, 0x7fc02000
	s_mov_b32 s15, exec_lo
	s_delay_alu instid0(VALU_DEP_2)
	v_cmpx_ne_u32_e32 0x7f, v14
	s_cbranch_execz .LBB324_1581
; %bb.1578:                             ;   in Loop: Header=BB324_1064 Depth=1
	v_and_b32_e32 v0, 7, v144
	v_lshrrev_b32_e32 v145, 3, v14
	v_cmp_gt_u32_e64 s1, 8, v14
	s_delay_alu instid0(VALU_DEP_3) | instskip(NEXT) | instid1(VALU_DEP_2)
	v_dual_mov_b32 v14, v1 :: v_dual_mov_b32 v13, v0
	s_and_saveexec_b32 s16, s1
; %bb.1579:                             ;   in Loop: Header=BB324_1064 Depth=1
	v_clz_i32_u32_e32 v13, v0
	s_delay_alu instid0(VALU_DEP_1) | instskip(NEXT) | instid1(VALU_DEP_1)
	v_min_u32_e32 v145, 32, v13
	v_subrev_nc_u32_e32 v13, 28, v145
	v_sub_nc_u32_e32 v145, 29, v145
	s_delay_alu instid0(VALU_DEP_2) | instskip(NEXT) | instid1(VALU_DEP_1)
	v_lshlrev_b64 v[13:14], v13, v[0:1]
	v_and_b32_e32 v13, 7, v13
; %bb.1580:                             ;   in Loop: Header=BB324_1064 Depth=1
	s_or_b32 exec_lo, exec_lo, s16
	v_lshlrev_b32_e32 v0, 8, v144
	v_lshl_add_u32 v14, v145, 10, 0x2000
	s_delay_alu instid0(VALU_DEP_1) | instskip(NEXT) | instid1(VALU_DEP_1)
	v_and_or_b32 v0, 0x8000, v0, v14
	v_lshl_or_b32 v0, v13, 7, v0
	s_delay_alu instid0(VALU_DEP_1)
	v_cvt_f32_f16_e32 v13, v0
.LBB324_1581:                           ;   in Loop: Header=BB324_1064 Depth=1
	s_or_b32 exec_lo, exec_lo, s15
.LBB324_1582:                           ;   in Loop: Header=BB324_1064 Depth=1
	s_delay_alu instid0(SALU_CYCLE_1)
	s_or_b32 exec_lo, exec_lo, s13
.LBB324_1583:                           ;   in Loop: Header=BB324_1064 Depth=1
	s_delay_alu instid0(SALU_CYCLE_1) | instskip(NEXT) | instid1(SALU_CYCLE_1)
	s_or_b32 exec_lo, exec_lo, s12
	s_mov_b32 s12, exec_lo
	v_cmpx_lt_u64_e64 s[8:9], v[11:12]
	s_cbranch_execz .LBB324_1591
; %bb.1584:                             ;   in Loop: Header=BB324_1064 Depth=1
	v_lshrrev_b32_e32 v14, 24, v12
	v_bfrev_b32_e32 v135, 1
	s_mov_b32 s13, exec_lo
	s_delay_alu instid0(VALU_DEP_2)
	v_cmpx_ne_u32_e32 0x80, v14
	s_cbranch_execz .LBB324_1590
; %bb.1585:                             ;   in Loop: Header=BB324_1064 Depth=1
	v_and_b32_e32 v11, 0x7f, v14
	v_mov_b32_e32 v135, 0x7fc02000
	s_mov_b32 s15, exec_lo
	s_delay_alu instid0(VALU_DEP_2)
	v_cmpx_ne_u32_e32 0x7f, v11
	s_cbranch_execz .LBB324_1589
; %bb.1586:                             ;   in Loop: Header=BB324_1064 Depth=1
	v_and_b32_e32 v0, 7, v14
	v_lshrrev_b32_e32 v135, 3, v11
	v_cmp_gt_u32_e64 s1, 8, v11
	s_delay_alu instid0(VALU_DEP_3) | instskip(NEXT) | instid1(VALU_DEP_2)
	v_dual_mov_b32 v12, v1 :: v_dual_mov_b32 v11, v0
	s_and_saveexec_b32 s16, s1
; %bb.1587:                             ;   in Loop: Header=BB324_1064 Depth=1
	v_clz_i32_u32_e32 v11, v0
	s_delay_alu instid0(VALU_DEP_1) | instskip(NEXT) | instid1(VALU_DEP_1)
	v_min_u32_e32 v135, 32, v11
	v_subrev_nc_u32_e32 v11, 28, v135
	v_sub_nc_u32_e32 v135, 29, v135
	s_delay_alu instid0(VALU_DEP_2) | instskip(NEXT) | instid1(VALU_DEP_1)
	v_lshlrev_b64 v[11:12], v11, v[0:1]
	v_and_b32_e32 v11, 7, v11
; %bb.1588:                             ;   in Loop: Header=BB324_1064 Depth=1
	s_or_b32 exec_lo, exec_lo, s16
	v_lshlrev_b32_e32 v0, 8, v14
	v_lshl_add_u32 v12, v135, 10, 0x2000
	s_delay_alu instid0(VALU_DEP_1) | instskip(NEXT) | instid1(VALU_DEP_1)
	v_and_or_b32 v0, 0x8000, v0, v12
	v_lshl_or_b32 v0, v11, 7, v0
	s_delay_alu instid0(VALU_DEP_1)
	v_cvt_f32_f16_e64 v135, v0
.LBB324_1589:                           ;   in Loop: Header=BB324_1064 Depth=1
	s_or_b32 exec_lo, exec_lo, s15
.LBB324_1590:                           ;   in Loop: Header=BB324_1064 Depth=1
	s_delay_alu instid0(SALU_CYCLE_1)
	s_or_b32 exec_lo, exec_lo, s13
.LBB324_1591:                           ;   in Loop: Header=BB324_1064 Depth=1
	s_delay_alu instid0(SALU_CYCLE_1)
	s_or_b32 exec_lo, exec_lo, s12
	s_waitcnt vmcnt(0) lgkmcnt(0)
	v_fma_mixlo_f16 v12, v128, v130, 0
	v_fma_mixlo_f16 v0, v128, v132, 0
	;; [unrolled: 1-line block ×5, first 2 shown]
	v_lshlrev_b32_e32 v14, 16, v12
	v_fma_mixlo_f16 v131, v128, v133, 0
	v_fma_mixlo_f16 v132, v128, v135, 0
	;; [unrolled: 1-line block ×3, first 2 shown]
	v_lshlrev_b32_e32 v0, 16, v0
	v_and_b32_e32 v11, 0xffff, v11
	v_and_b32_e32 v128, 0xffff, v129
	v_lshlrev_b32_e32 v129, 16, v130
	v_and_b32_e32 v130, 0xffff, v131
	v_lshlrev_b32_e32 v131, 16, v132
	v_and_b32_e32 v132, 0xffff, v12
	v_or_b32_e32 v13, v0, v11
	v_or_b32_e32 v14, v14, v128
	;; [unrolled: 1-line block ×3, first 2 shown]
	s_delay_alu instid0(VALU_DEP_4)
	v_or_b32_e32 v11, v131, v132
	s_and_saveexec_b32 s12, vcc_lo
	s_cbranch_execz .LBB324_1593
; %bb.1592:                             ;   in Loop: Header=BB324_1064 Depth=1
	v_cmp_lt_i32_e64 s1, v18, v38
	v_lshrrev_b32_e32 v128, 16, v14
	v_lshrrev_b32_e32 v129, 16, v13
	;; [unrolled: 1-line block ×4, first 2 shown]
	v_cndmask_b32_e64 v14, 0, v14, s1
	v_cmp_lt_i32_e64 s1, v99, v53
	s_delay_alu instid0(VALU_DEP_1) | instskip(SKIP_1) | instid1(VALU_DEP_2)
	v_cndmask_b32_e64 v128, 0, v128, s1
	v_cmp_lt_i32_e64 s1, v98, v53
	v_perm_b32 v14, v128, v14, 0x5040100
	s_delay_alu instid0(VALU_DEP_2) | instskip(SKIP_1) | instid1(VALU_DEP_1)
	v_cndmask_b32_e64 v129, 0, v129, s1
	v_cmp_lt_i32_e64 s1, v96, v38
	v_cndmask_b32_e64 v13, 0, v13, s1
	v_cmp_lt_i32_e64 s1, v84, v53
	s_delay_alu instid0(VALU_DEP_2) | instskip(NEXT) | instid1(VALU_DEP_2)
	v_perm_b32 v13, v129, v13, 0x5040100
	v_cndmask_b32_e64 v130, 0, v130, s1
	v_cmp_lt_i32_e64 s1, v83, v38
	s_delay_alu instid0(VALU_DEP_1) | instskip(SKIP_1) | instid1(VALU_DEP_2)
	v_cndmask_b32_e64 v0, 0, v0, s1
	v_cmp_lt_i32_e64 s1, v81, v53
	v_perm_b32 v0, v130, v0, 0x5040100
	s_delay_alu instid0(VALU_DEP_2) | instskip(SKIP_1) | instid1(VALU_DEP_1)
	v_cndmask_b32_e64 v11, 0, v11, s1
	v_cmp_lt_i32_e64 s1, v19, v38
	v_cndmask_b32_e64 v12, 0, v12, s1
	s_delay_alu instid0(VALU_DEP_1)
	v_perm_b32 v11, v11, v12, 0x5040100
.LBB324_1593:                           ;   in Loop: Header=BB324_1064 Depth=1
	s_or_b32 exec_lo, exec_lo, s12
	;;#ASMSTART
	v_pk_mul_f16 v12, v97, v14;

	;;#ASMEND
	;;#ASMSTART
	v_pk_mul_f16 v13, v87, v13;

	;;#ASMEND
	;; [unrolled: 4-line block ×4, first 2 shown]
	;;#ASMSTART
	v_pk_add_f16 v12, v12, v13;

	;;#ASMEND
	;;#ASMSTART
	v_pk_add_f16 v0, v12, v0;

	;;#ASMEND
	;;#ASMSTART
	v_pk_add_f16 v0, v0, v11;

	;;#ASMEND
	v_dual_mov_b32 v132, 0 :: v_dual_and_b32 v11, 0xffff, v0
	v_lshrrev_b32_e32 v0, 16, v0
	;;#ASMSTART
	v_cvt_f32_f16 v128, v11;
	;;#ASMEND
	;;#ASMSTART
	v_cvt_f32_f16 v129, v0;
	;;#ASMEND
	flat_load_b64 v[11:12], v[9:10] offset:2048
	flat_load_b32 v130, v[26:27]
	s_mov_b32 s12, exec_lo
	s_waitcnt vmcnt(1) lgkmcnt(1)
	v_dual_mov_b32 v131, 0 :: v_dual_and_b32 v0, 0xff, v11
	s_delay_alu instid0(VALU_DEP_1)
	v_cmpx_ne_u16_e32 0, v0
	s_cbranch_execz .LBB324_1601
; %bb.1594:                             ;   in Loop: Header=BB324_1064 Depth=1
	v_bfrev_b32_e32 v131, 1
	s_mov_b32 s13, exec_lo
	v_cmpx_ne_u16_e32 0x80, v0
	s_cbranch_execz .LBB324_1600
; %bb.1595:                             ;   in Loop: Header=BB324_1064 Depth=1
	v_and_b32_e32 v13, 0x7f, v11
	v_mov_b32_e32 v131, 0x7fc02000
	s_mov_b32 s15, exec_lo
	s_delay_alu instid0(VALU_DEP_2)
	v_cmpx_ne_u32_e32 0x7f, v13
	s_cbranch_execz .LBB324_1599
; %bb.1596:                             ;   in Loop: Header=BB324_1064 Depth=1
	v_lshrrev_b32_e32 v0, 3, v13
	v_cmp_gt_u32_e64 s1, 8, v13
	v_dual_mov_b32 v14, v12 :: v_dual_mov_b32 v13, v11
	s_delay_alu instid0(VALU_DEP_2)
	s_and_saveexec_b32 s16, s1
; %bb.1597:                             ;   in Loop: Header=BB324_1064 Depth=1
	v_and_b32_e32 v0, 7, v11
	s_delay_alu instid0(VALU_DEP_1) | instskip(NEXT) | instid1(VALU_DEP_1)
	v_clz_i32_u32_e32 v0, v0
	v_min_u32_e32 v0, 32, v0
	s_delay_alu instid0(VALU_DEP_1) | instskip(SKIP_1) | instid1(VALU_DEP_2)
	v_subrev_nc_u32_e32 v13, 28, v0
	v_sub_nc_u32_e32 v0, 29, v0
	v_lshlrev_b64 v[13:14], v13, v[11:12]
; %bb.1598:                             ;   in Loop: Header=BB324_1064 Depth=1
	s_or_b32 exec_lo, exec_lo, s16
	v_lshlrev_b32_e32 v14, 8, v11
	s_delay_alu instid0(VALU_DEP_3) | instskip(NEXT) | instid1(VALU_DEP_3)
	v_lshl_add_u32 v0, v0, 10, 0x2000
	v_lshlrev_b32_e32 v13, 7, v13
	s_delay_alu instid0(VALU_DEP_2) | instskip(NEXT) | instid1(VALU_DEP_1)
	v_and_or_b32 v0, 0x8000, v14, v0
	v_and_or_b32 v0, 0x380, v13, v0
	s_delay_alu instid0(VALU_DEP_1)
	v_cvt_f32_f16_e64 v131, v0
.LBB324_1599:                           ;   in Loop: Header=BB324_1064 Depth=1
	s_or_b32 exec_lo, exec_lo, s15
.LBB324_1600:                           ;   in Loop: Header=BB324_1064 Depth=1
	s_delay_alu instid0(SALU_CYCLE_1)
	s_or_b32 exec_lo, exec_lo, s13
.LBB324_1601:                           ;   in Loop: Header=BB324_1064 Depth=1
	s_delay_alu instid0(SALU_CYCLE_1) | instskip(SKIP_2) | instid1(VALU_DEP_1)
	s_or_b32 exec_lo, exec_lo, s12
	v_lshrrev_b16 v0, 8, v11
	s_mov_b32 s12, exec_lo
	v_cmpx_ne_u16_e32 0, v0
	s_cbranch_execz .LBB324_1609
; %bb.1602:                             ;   in Loop: Header=BB324_1064 Depth=1
	v_bfrev_b32_e32 v132, 1
	s_mov_b32 s13, exec_lo
	v_cmpx_ne_u16_e32 0x80, v0
	s_cbranch_execz .LBB324_1608
; %bb.1603:                             ;   in Loop: Header=BB324_1064 Depth=1
	v_and_b32_e32 v133, 0xffff, v0
	v_mov_b32_e32 v132, 0x7fc02000
	s_mov_b32 s15, exec_lo
	s_delay_alu instid0(VALU_DEP_2) | instskip(NEXT) | instid1(VALU_DEP_1)
	v_and_b32_e32 v13, 0x7f, v133
	v_cmpx_ne_u32_e32 0x7f, v13
	s_cbranch_execz .LBB324_1607
; %bb.1604:                             ;   in Loop: Header=BB324_1064 Depth=1
	v_and_b32_e32 v0, 7, v133
	v_lshrrev_b32_e32 v132, 3, v13
	v_cmp_gt_u32_e64 s1, 8, v13
	s_delay_alu instid0(VALU_DEP_3) | instskip(NEXT) | instid1(VALU_DEP_2)
	v_dual_mov_b32 v14, v1 :: v_dual_mov_b32 v13, v0
	s_and_saveexec_b32 s16, s1
; %bb.1605:                             ;   in Loop: Header=BB324_1064 Depth=1
	v_clz_i32_u32_e32 v13, v0
	s_delay_alu instid0(VALU_DEP_1) | instskip(NEXT) | instid1(VALU_DEP_1)
	v_min_u32_e32 v132, 32, v13
	v_subrev_nc_u32_e32 v13, 28, v132
	v_sub_nc_u32_e32 v132, 29, v132
	s_delay_alu instid0(VALU_DEP_2) | instskip(NEXT) | instid1(VALU_DEP_1)
	v_lshlrev_b64 v[13:14], v13, v[0:1]
	v_and_b32_e32 v13, 7, v13
; %bb.1606:                             ;   in Loop: Header=BB324_1064 Depth=1
	s_or_b32 exec_lo, exec_lo, s16
	v_lshlrev_b32_e32 v0, 8, v133
	v_lshl_add_u32 v14, v132, 10, 0x2000
	s_delay_alu instid0(VALU_DEP_1) | instskip(NEXT) | instid1(VALU_DEP_1)
	v_and_or_b32 v0, 0x8000, v0, v14
	v_lshl_or_b32 v0, v13, 7, v0
	s_delay_alu instid0(VALU_DEP_1)
	v_cvt_f32_f16_e64 v132, v0
.LBB324_1607:                           ;   in Loop: Header=BB324_1064 Depth=1
	s_or_b32 exec_lo, exec_lo, s15
.LBB324_1608:                           ;   in Loop: Header=BB324_1064 Depth=1
	s_delay_alu instid0(SALU_CYCLE_1)
	s_or_b32 exec_lo, exec_lo, s13
.LBB324_1609:                           ;   in Loop: Header=BB324_1064 Depth=1
	s_delay_alu instid0(SALU_CYCLE_1) | instskip(SKIP_3) | instid1(VALU_DEP_2)
	s_or_b32 exec_lo, exec_lo, s12
	v_lshrrev_b32_e32 v135, 16, v11
	v_mov_b32_e32 v134, 0
	s_mov_b32 s12, exec_lo
	v_dual_mov_b32 v133, 0 :: v_dual_and_b32 v0, 0xff, v135
	s_delay_alu instid0(VALU_DEP_1)
	v_cmpx_ne_u16_e32 0, v0
	s_cbranch_execz .LBB324_1617
; %bb.1610:                             ;   in Loop: Header=BB324_1064 Depth=1
	v_bfrev_b32_e32 v133, 1
	s_mov_b32 s13, exec_lo
	v_cmpx_ne_u16_e32 0x80, v0
	s_cbranch_execz .LBB324_1616
; %bb.1611:                             ;   in Loop: Header=BB324_1064 Depth=1
	v_bfe_u32 v13, v11, 16, 7
	v_mov_b32_e32 v133, 0x7fc02000
	s_mov_b32 s15, exec_lo
	s_delay_alu instid0(VALU_DEP_2)
	v_cmpx_ne_u32_e32 0x7f, v13
	s_cbranch_execz .LBB324_1615
; %bb.1612:                             ;   in Loop: Header=BB324_1064 Depth=1
	v_and_b32_e32 v0, 7, v135
	v_lshrrev_b32_e32 v133, 3, v13
	v_cmp_gt_u32_e64 s1, 8, v13
	s_delay_alu instid0(VALU_DEP_3) | instskip(NEXT) | instid1(VALU_DEP_2)
	v_dual_mov_b32 v14, v1 :: v_dual_mov_b32 v13, v0
	s_and_saveexec_b32 s16, s1
; %bb.1613:                             ;   in Loop: Header=BB324_1064 Depth=1
	v_clz_i32_u32_e32 v13, v0
	s_delay_alu instid0(VALU_DEP_1) | instskip(NEXT) | instid1(VALU_DEP_1)
	v_min_u32_e32 v133, 32, v13
	v_subrev_nc_u32_e32 v13, 28, v133
	v_sub_nc_u32_e32 v133, 29, v133
	s_delay_alu instid0(VALU_DEP_2) | instskip(NEXT) | instid1(VALU_DEP_1)
	v_lshlrev_b64 v[13:14], v13, v[0:1]
	v_and_b32_e32 v13, 7, v13
; %bb.1614:                             ;   in Loop: Header=BB324_1064 Depth=1
	s_or_b32 exec_lo, exec_lo, s16
	v_lshlrev_b32_e32 v0, 8, v135
	v_lshl_add_u32 v14, v133, 10, 0x2000
	s_delay_alu instid0(VALU_DEP_1) | instskip(NEXT) | instid1(VALU_DEP_1)
	v_and_or_b32 v0, 0x8000, v0, v14
	v_lshl_or_b32 v0, v13, 7, v0
	s_delay_alu instid0(VALU_DEP_1)
	v_cvt_f32_f16_e64 v133, v0
.LBB324_1615:                           ;   in Loop: Header=BB324_1064 Depth=1
	s_or_b32 exec_lo, exec_lo, s15
.LBB324_1616:                           ;   in Loop: Header=BB324_1064 Depth=1
	s_delay_alu instid0(SALU_CYCLE_1)
	s_or_b32 exec_lo, exec_lo, s13
.LBB324_1617:                           ;   in Loop: Header=BB324_1064 Depth=1
	s_delay_alu instid0(SALU_CYCLE_1) | instskip(NEXT) | instid1(SALU_CYCLE_1)
	s_or_b32 exec_lo, exec_lo, s12
	s_mov_b32 s12, exec_lo
	v_cmpx_lt_u32_e32 0xffffff, v11
	s_cbranch_execz .LBB324_1625
; %bb.1618:                             ;   in Loop: Header=BB324_1064 Depth=1
	v_lshrrev_b32_e32 v135, 24, v11
	v_bfrev_b32_e32 v134, 1
	s_mov_b32 s13, exec_lo
	s_delay_alu instid0(VALU_DEP_2)
	v_cmpx_ne_u32_e32 0x80, v135
	s_cbranch_execz .LBB324_1624
; %bb.1619:                             ;   in Loop: Header=BB324_1064 Depth=1
	v_and_b32_e32 v13, 0x7f, v135
	v_mov_b32_e32 v134, 0x7fc02000
	s_mov_b32 s15, exec_lo
	s_delay_alu instid0(VALU_DEP_2)
	v_cmpx_ne_u32_e32 0x7f, v13
	s_cbranch_execz .LBB324_1623
; %bb.1620:                             ;   in Loop: Header=BB324_1064 Depth=1
	v_and_b32_e32 v0, 7, v135
	v_lshrrev_b32_e32 v134, 3, v13
	v_cmp_gt_u32_e64 s1, 8, v13
	s_delay_alu instid0(VALU_DEP_3) | instskip(NEXT) | instid1(VALU_DEP_2)
	v_dual_mov_b32 v14, v1 :: v_dual_mov_b32 v13, v0
	s_and_saveexec_b32 s16, s1
; %bb.1621:                             ;   in Loop: Header=BB324_1064 Depth=1
	v_clz_i32_u32_e32 v13, v0
	s_delay_alu instid0(VALU_DEP_1) | instskip(NEXT) | instid1(VALU_DEP_1)
	v_min_u32_e32 v134, 32, v13
	v_subrev_nc_u32_e32 v13, 28, v134
	v_sub_nc_u32_e32 v134, 29, v134
	s_delay_alu instid0(VALU_DEP_2) | instskip(NEXT) | instid1(VALU_DEP_1)
	v_lshlrev_b64 v[13:14], v13, v[0:1]
	v_and_b32_e32 v13, 7, v13
; %bb.1622:                             ;   in Loop: Header=BB324_1064 Depth=1
	s_or_b32 exec_lo, exec_lo, s16
	v_lshlrev_b32_e32 v0, 8, v135
	v_lshl_add_u32 v14, v134, 10, 0x2000
	s_delay_alu instid0(VALU_DEP_1) | instskip(NEXT) | instid1(VALU_DEP_1)
	v_and_or_b32 v0, 0x8000, v0, v14
	v_lshl_or_b32 v0, v13, 7, v0
	s_delay_alu instid0(VALU_DEP_1)
	v_cvt_f32_f16_e64 v134, v0
.LBB324_1623:                           ;   in Loop: Header=BB324_1064 Depth=1
	s_or_b32 exec_lo, exec_lo, s15
.LBB324_1624:                           ;   in Loop: Header=BB324_1064 Depth=1
	s_delay_alu instid0(SALU_CYCLE_1)
	s_or_b32 exec_lo, exec_lo, s13
.LBB324_1625:                           ;   in Loop: Header=BB324_1064 Depth=1
	s_delay_alu instid0(SALU_CYCLE_1) | instskip(SKIP_3) | instid1(VALU_DEP_2)
	s_or_b32 exec_lo, exec_lo, s12
	v_dual_mov_b32 v0, v12 :: v_dual_and_b32 v13, 0xff, v12
	v_dual_mov_b32 v144, 0 :: v_dual_mov_b32 v135, 0
	s_mov_b32 s12, exec_lo
	v_cmpx_ne_u16_e32 0, v13
	s_cbranch_execz .LBB324_1633
; %bb.1626:                             ;   in Loop: Header=BB324_1064 Depth=1
	v_bfrev_b32_e32 v135, 1
	s_mov_b32 s13, exec_lo
	v_cmpx_ne_u16_e32 0x80, v13
	s_cbranch_execz .LBB324_1632
; %bb.1627:                             ;   in Loop: Header=BB324_1064 Depth=1
	v_and_b32_e32 v13, 0x7f, v12
	v_mov_b32_e32 v135, 0x7fc02000
	s_mov_b32 s15, exec_lo
	s_delay_alu instid0(VALU_DEP_2)
	v_cmpx_ne_u32_e32 0x7f, v13
	s_cbranch_execz .LBB324_1631
; %bb.1628:                             ;   in Loop: Header=BB324_1064 Depth=1
	v_lshrrev_b32_e32 v135, 3, v13
	v_cmp_gt_u32_e64 s1, 8, v13
	v_dual_mov_b32 v14, v1 :: v_dual_mov_b32 v13, v0
	s_delay_alu instid0(VALU_DEP_2)
	s_and_saveexec_b32 s16, s1
; %bb.1629:                             ;   in Loop: Header=BB324_1064 Depth=1
	v_and_b32_e32 v13, 7, v12
	s_delay_alu instid0(VALU_DEP_1) | instskip(NEXT) | instid1(VALU_DEP_1)
	v_clz_i32_u32_e32 v13, v13
	v_min_u32_e32 v135, 32, v13
	s_delay_alu instid0(VALU_DEP_1) | instskip(SKIP_1) | instid1(VALU_DEP_2)
	v_subrev_nc_u32_e32 v13, 28, v135
	v_sub_nc_u32_e32 v135, 29, v135
	v_lshlrev_b64 v[13:14], v13, v[0:1]
; %bb.1630:                             ;   in Loop: Header=BB324_1064 Depth=1
	s_or_b32 exec_lo, exec_lo, s16
	v_lshlrev_b32_e32 v14, 8, v12
	s_delay_alu instid0(VALU_DEP_3) | instskip(NEXT) | instid1(VALU_DEP_3)
	v_lshl_add_u32 v135, v135, 10, 0x2000
	v_lshlrev_b32_e32 v13, 7, v13
	s_delay_alu instid0(VALU_DEP_2) | instskip(NEXT) | instid1(VALU_DEP_1)
	v_and_or_b32 v14, 0x8000, v14, v135
	v_and_or_b32 v13, 0x380, v13, v14
	s_delay_alu instid0(VALU_DEP_1)
	v_cvt_f32_f16_e64 v135, v13
.LBB324_1631:                           ;   in Loop: Header=BB324_1064 Depth=1
	s_or_b32 exec_lo, exec_lo, s15
.LBB324_1632:                           ;   in Loop: Header=BB324_1064 Depth=1
	s_delay_alu instid0(SALU_CYCLE_1)
	s_or_b32 exec_lo, exec_lo, s13
.LBB324_1633:                           ;   in Loop: Header=BB324_1064 Depth=1
	s_delay_alu instid0(SALU_CYCLE_1) | instskip(SKIP_2) | instid1(VALU_DEP_1)
	s_or_b32 exec_lo, exec_lo, s12
	v_lshrrev_b16 v0, 8, v0
	s_mov_b32 s12, exec_lo
	v_cmpx_ne_u16_e32 0, v0
	s_cbranch_execz .LBB324_1641
; %bb.1634:                             ;   in Loop: Header=BB324_1064 Depth=1
	v_bfrev_b32_e32 v144, 1
	s_mov_b32 s13, exec_lo
	v_cmpx_ne_u16_e32 0x80, v0
	s_cbranch_execz .LBB324_1640
; %bb.1635:                             ;   in Loop: Header=BB324_1064 Depth=1
	v_and_b32_e32 v145, 0xffff, v0
	v_mov_b32_e32 v144, 0x7fc02000
	s_mov_b32 s15, exec_lo
	s_delay_alu instid0(VALU_DEP_2) | instskip(NEXT) | instid1(VALU_DEP_1)
	v_and_b32_e32 v13, 0x7f, v145
	v_cmpx_ne_u32_e32 0x7f, v13
	s_cbranch_execz .LBB324_1639
; %bb.1636:                             ;   in Loop: Header=BB324_1064 Depth=1
	v_and_b32_e32 v0, 7, v145
	v_lshrrev_b32_e32 v144, 3, v13
	v_cmp_gt_u32_e64 s1, 8, v13
	s_delay_alu instid0(VALU_DEP_3) | instskip(NEXT) | instid1(VALU_DEP_2)
	v_dual_mov_b32 v14, v1 :: v_dual_mov_b32 v13, v0
	s_and_saveexec_b32 s16, s1
; %bb.1637:                             ;   in Loop: Header=BB324_1064 Depth=1
	v_clz_i32_u32_e32 v13, v0
	s_delay_alu instid0(VALU_DEP_1) | instskip(NEXT) | instid1(VALU_DEP_1)
	v_min_u32_e32 v144, 32, v13
	v_subrev_nc_u32_e32 v13, 28, v144
	v_sub_nc_u32_e32 v144, 29, v144
	s_delay_alu instid0(VALU_DEP_2) | instskip(NEXT) | instid1(VALU_DEP_1)
	v_lshlrev_b64 v[13:14], v13, v[0:1]
	v_and_b32_e32 v13, 7, v13
; %bb.1638:                             ;   in Loop: Header=BB324_1064 Depth=1
	s_or_b32 exec_lo, exec_lo, s16
	v_lshlrev_b32_e32 v0, 8, v145
	v_lshl_add_u32 v14, v144, 10, 0x2000
	s_delay_alu instid0(VALU_DEP_1) | instskip(NEXT) | instid1(VALU_DEP_1)
	v_and_or_b32 v0, 0x8000, v0, v14
	v_lshl_or_b32 v0, v13, 7, v0
	s_delay_alu instid0(VALU_DEP_1)
	v_cvt_f32_f16_e64 v144, v0
.LBB324_1639:                           ;   in Loop: Header=BB324_1064 Depth=1
	s_or_b32 exec_lo, exec_lo, s15
.LBB324_1640:                           ;   in Loop: Header=BB324_1064 Depth=1
	s_delay_alu instid0(SALU_CYCLE_1)
	s_or_b32 exec_lo, exec_lo, s13
.LBB324_1641:                           ;   in Loop: Header=BB324_1064 Depth=1
	s_delay_alu instid0(SALU_CYCLE_1) | instskip(SKIP_3) | instid1(VALU_DEP_2)
	s_or_b32 exec_lo, exec_lo, s12
	v_lshrrev_b32_e32 v146, 16, v12
	v_mov_b32_e32 v13, 0
	s_mov_b32 s12, exec_lo
	v_dual_mov_b32 v145, 0 :: v_dual_and_b32 v0, 0xff, v146
	s_delay_alu instid0(VALU_DEP_1)
	v_cmpx_ne_u16_e32 0, v0
	s_cbranch_execz .LBB324_1649
; %bb.1642:                             ;   in Loop: Header=BB324_1064 Depth=1
	v_bfrev_b32_e32 v13, 1
	s_mov_b32 s13, exec_lo
	v_cmpx_ne_u16_e32 0x80, v0
	s_cbranch_execz .LBB324_1648
; %bb.1643:                             ;   in Loop: Header=BB324_1064 Depth=1
	v_bfe_u32 v14, v12, 16, 7
	v_mov_b32_e32 v13, 0x7fc02000
	s_mov_b32 s15, exec_lo
	s_delay_alu instid0(VALU_DEP_2)
	v_cmpx_ne_u32_e32 0x7f, v14
	s_cbranch_execz .LBB324_1647
; %bb.1644:                             ;   in Loop: Header=BB324_1064 Depth=1
	v_and_b32_e32 v0, 7, v146
	v_lshrrev_b32_e32 v147, 3, v14
	v_cmp_gt_u32_e64 s1, 8, v14
	s_delay_alu instid0(VALU_DEP_3) | instskip(NEXT) | instid1(VALU_DEP_2)
	v_dual_mov_b32 v14, v1 :: v_dual_mov_b32 v13, v0
	s_and_saveexec_b32 s16, s1
; %bb.1645:                             ;   in Loop: Header=BB324_1064 Depth=1
	v_clz_i32_u32_e32 v13, v0
	s_delay_alu instid0(VALU_DEP_1) | instskip(NEXT) | instid1(VALU_DEP_1)
	v_min_u32_e32 v147, 32, v13
	v_subrev_nc_u32_e32 v13, 28, v147
	v_sub_nc_u32_e32 v147, 29, v147
	s_delay_alu instid0(VALU_DEP_2) | instskip(NEXT) | instid1(VALU_DEP_1)
	v_lshlrev_b64 v[13:14], v13, v[0:1]
	v_and_b32_e32 v13, 7, v13
; %bb.1646:                             ;   in Loop: Header=BB324_1064 Depth=1
	s_or_b32 exec_lo, exec_lo, s16
	v_lshlrev_b32_e32 v0, 8, v146
	v_lshl_add_u32 v14, v147, 10, 0x2000
	s_delay_alu instid0(VALU_DEP_1) | instskip(NEXT) | instid1(VALU_DEP_1)
	v_and_or_b32 v0, 0x8000, v0, v14
	v_lshl_or_b32 v0, v13, 7, v0
	s_delay_alu instid0(VALU_DEP_1)
	v_cvt_f32_f16_e32 v13, v0
.LBB324_1647:                           ;   in Loop: Header=BB324_1064 Depth=1
	s_or_b32 exec_lo, exec_lo, s15
.LBB324_1648:                           ;   in Loop: Header=BB324_1064 Depth=1
	s_delay_alu instid0(SALU_CYCLE_1)
	s_or_b32 exec_lo, exec_lo, s13
.LBB324_1649:                           ;   in Loop: Header=BB324_1064 Depth=1
	s_delay_alu instid0(SALU_CYCLE_1) | instskip(NEXT) | instid1(SALU_CYCLE_1)
	s_or_b32 exec_lo, exec_lo, s12
	s_mov_b32 s12, exec_lo
	v_cmpx_lt_u64_e64 s[8:9], v[11:12]
	s_cbranch_execz .LBB324_1657
; %bb.1650:                             ;   in Loop: Header=BB324_1064 Depth=1
	v_lshrrev_b32_e32 v14, 24, v12
	v_bfrev_b32_e32 v145, 1
	s_mov_b32 s13, exec_lo
	s_delay_alu instid0(VALU_DEP_2)
	v_cmpx_ne_u32_e32 0x80, v14
	s_cbranch_execz .LBB324_1656
; %bb.1651:                             ;   in Loop: Header=BB324_1064 Depth=1
	v_and_b32_e32 v11, 0x7f, v14
	v_mov_b32_e32 v145, 0x7fc02000
	s_mov_b32 s15, exec_lo
	s_delay_alu instid0(VALU_DEP_2)
	v_cmpx_ne_u32_e32 0x7f, v11
	s_cbranch_execz .LBB324_1655
; %bb.1652:                             ;   in Loop: Header=BB324_1064 Depth=1
	v_and_b32_e32 v0, 7, v14
	v_lshrrev_b32_e32 v145, 3, v11
	v_cmp_gt_u32_e64 s1, 8, v11
	s_delay_alu instid0(VALU_DEP_3) | instskip(NEXT) | instid1(VALU_DEP_2)
	v_dual_mov_b32 v12, v1 :: v_dual_mov_b32 v11, v0
	s_and_saveexec_b32 s16, s1
; %bb.1653:                             ;   in Loop: Header=BB324_1064 Depth=1
	v_clz_i32_u32_e32 v11, v0
	s_delay_alu instid0(VALU_DEP_1) | instskip(NEXT) | instid1(VALU_DEP_1)
	v_min_u32_e32 v145, 32, v11
	v_subrev_nc_u32_e32 v11, 28, v145
	v_sub_nc_u32_e32 v145, 29, v145
	s_delay_alu instid0(VALU_DEP_2) | instskip(NEXT) | instid1(VALU_DEP_1)
	v_lshlrev_b64 v[11:12], v11, v[0:1]
	v_and_b32_e32 v11, 7, v11
; %bb.1654:                             ;   in Loop: Header=BB324_1064 Depth=1
	s_or_b32 exec_lo, exec_lo, s16
	v_lshlrev_b32_e32 v0, 8, v14
	v_lshl_add_u32 v12, v145, 10, 0x2000
	s_delay_alu instid0(VALU_DEP_1) | instskip(NEXT) | instid1(VALU_DEP_1)
	v_and_or_b32 v0, 0x8000, v0, v12
	v_lshl_or_b32 v0, v11, 7, v0
	s_delay_alu instid0(VALU_DEP_1)
	v_cvt_f32_f16_e64 v145, v0
.LBB324_1655:                           ;   in Loop: Header=BB324_1064 Depth=1
	s_or_b32 exec_lo, exec_lo, s15
.LBB324_1656:                           ;   in Loop: Header=BB324_1064 Depth=1
	s_delay_alu instid0(SALU_CYCLE_1)
	s_or_b32 exec_lo, exec_lo, s13
.LBB324_1657:                           ;   in Loop: Header=BB324_1064 Depth=1
	s_delay_alu instid0(SALU_CYCLE_1)
	s_or_b32 exec_lo, exec_lo, s12
	s_waitcnt vmcnt(0) lgkmcnt(0)
	v_fma_mixlo_f16 v12, v130, v132, 0
	v_fma_mixlo_f16 v0, v130, v134, 0
	;; [unrolled: 1-line block ×5, first 2 shown]
	v_lshlrev_b32_e32 v14, 16, v12
	v_fma_mixlo_f16 v133, v130, v135, 0
	v_fma_mixlo_f16 v134, v130, v145, 0
	;; [unrolled: 1-line block ×3, first 2 shown]
	v_lshlrev_b32_e32 v0, 16, v0
	v_and_b32_e32 v11, 0xffff, v11
	v_and_b32_e32 v130, 0xffff, v131
	v_lshlrev_b32_e32 v131, 16, v132
	v_and_b32_e32 v132, 0xffff, v133
	v_lshlrev_b32_e32 v133, 16, v134
	v_and_b32_e32 v134, 0xffff, v12
	v_or_b32_e32 v13, v0, v11
	v_or_b32_e32 v14, v14, v130
	;; [unrolled: 1-line block ×3, first 2 shown]
	s_delay_alu instid0(VALU_DEP_4)
	v_or_b32_e32 v11, v133, v134
	s_and_saveexec_b32 s12, vcc_lo
	s_cbranch_execz .LBB324_1659
; %bb.1658:                             ;   in Loop: Header=BB324_1064 Depth=1
	v_cmp_lt_i32_e64 s1, v18, v38
	v_lshrrev_b32_e32 v130, 16, v14
	v_lshrrev_b32_e32 v131, 16, v13
	;; [unrolled: 1-line block ×4, first 2 shown]
	v_cndmask_b32_e64 v14, 0, v14, s1
	v_cmp_lt_i32_e64 s1, v99, v53
	s_delay_alu instid0(VALU_DEP_1) | instskip(SKIP_1) | instid1(VALU_DEP_2)
	v_cndmask_b32_e64 v130, 0, v130, s1
	v_cmp_lt_i32_e64 s1, v98, v53
	v_perm_b32 v14, v130, v14, 0x5040100
	s_delay_alu instid0(VALU_DEP_2) | instskip(SKIP_1) | instid1(VALU_DEP_1)
	v_cndmask_b32_e64 v131, 0, v131, s1
	v_cmp_lt_i32_e64 s1, v96, v38
	v_cndmask_b32_e64 v13, 0, v13, s1
	v_cmp_lt_i32_e64 s1, v84, v53
	s_delay_alu instid0(VALU_DEP_2) | instskip(NEXT) | instid1(VALU_DEP_2)
	v_perm_b32 v13, v131, v13, 0x5040100
	v_cndmask_b32_e64 v132, 0, v132, s1
	v_cmp_lt_i32_e64 s1, v83, v38
	s_delay_alu instid0(VALU_DEP_1) | instskip(SKIP_1) | instid1(VALU_DEP_2)
	v_cndmask_b32_e64 v0, 0, v0, s1
	v_cmp_lt_i32_e64 s1, v81, v53
	v_perm_b32 v0, v132, v0, 0x5040100
	s_delay_alu instid0(VALU_DEP_2) | instskip(SKIP_1) | instid1(VALU_DEP_1)
	v_cndmask_b32_e64 v11, 0, v11, s1
	v_cmp_lt_i32_e64 s1, v19, v38
	v_cndmask_b32_e64 v12, 0, v12, s1
	s_delay_alu instid0(VALU_DEP_1)
	v_perm_b32 v11, v11, v12, 0x5040100
.LBB324_1659:                           ;   in Loop: Header=BB324_1064 Depth=1
	s_or_b32 exec_lo, exec_lo, s12
	;;#ASMSTART
	v_pk_mul_f16 v12, v97, v14;

	;;#ASMEND
	;;#ASMSTART
	v_pk_mul_f16 v13, v87, v13;

	;;#ASMEND
	;; [unrolled: 4-line block ×4, first 2 shown]
	;;#ASMSTART
	v_pk_add_f16 v12, v12, v13;

	;;#ASMEND
	;;#ASMSTART
	v_pk_add_f16 v0, v12, v0;

	;;#ASMEND
	;; [unrolled: 4-line block ×3, first 2 shown]
	v_dual_mov_b32 v134, 0 :: v_dual_and_b32 v11, 0xffff, v0
	v_lshrrev_b32_e32 v0, 16, v0
	;;#ASMSTART
	v_cvt_f32_f16 v130, v11;
	;;#ASMEND
	;;#ASMSTART
	v_cvt_f32_f16 v131, v0;
	;;#ASMEND
	flat_load_b64 v[11:12], v[9:10] offset:2304
	flat_load_b32 v132, v[26:27]
	s_mov_b32 s12, exec_lo
	s_waitcnt vmcnt(1) lgkmcnt(1)
	v_dual_mov_b32 v133, 0 :: v_dual_and_b32 v0, 0xff, v11
	s_delay_alu instid0(VALU_DEP_1)
	v_cmpx_ne_u16_e32 0, v0
	s_cbranch_execz .LBB324_1667
; %bb.1660:                             ;   in Loop: Header=BB324_1064 Depth=1
	v_bfrev_b32_e32 v133, 1
	s_mov_b32 s13, exec_lo
	v_cmpx_ne_u16_e32 0x80, v0
	s_cbranch_execz .LBB324_1666
; %bb.1661:                             ;   in Loop: Header=BB324_1064 Depth=1
	v_and_b32_e32 v13, 0x7f, v11
	v_mov_b32_e32 v133, 0x7fc02000
	s_mov_b32 s15, exec_lo
	s_delay_alu instid0(VALU_DEP_2)
	v_cmpx_ne_u32_e32 0x7f, v13
	s_cbranch_execz .LBB324_1665
; %bb.1662:                             ;   in Loop: Header=BB324_1064 Depth=1
	v_lshrrev_b32_e32 v0, 3, v13
	v_cmp_gt_u32_e64 s1, 8, v13
	v_dual_mov_b32 v14, v12 :: v_dual_mov_b32 v13, v11
	s_delay_alu instid0(VALU_DEP_2)
	s_and_saveexec_b32 s16, s1
; %bb.1663:                             ;   in Loop: Header=BB324_1064 Depth=1
	v_and_b32_e32 v0, 7, v11
	s_delay_alu instid0(VALU_DEP_1) | instskip(NEXT) | instid1(VALU_DEP_1)
	v_clz_i32_u32_e32 v0, v0
	v_min_u32_e32 v0, 32, v0
	s_delay_alu instid0(VALU_DEP_1) | instskip(SKIP_1) | instid1(VALU_DEP_2)
	v_subrev_nc_u32_e32 v13, 28, v0
	v_sub_nc_u32_e32 v0, 29, v0
	v_lshlrev_b64 v[13:14], v13, v[11:12]
; %bb.1664:                             ;   in Loop: Header=BB324_1064 Depth=1
	s_or_b32 exec_lo, exec_lo, s16
	v_lshlrev_b32_e32 v14, 8, v11
	s_delay_alu instid0(VALU_DEP_3) | instskip(NEXT) | instid1(VALU_DEP_3)
	v_lshl_add_u32 v0, v0, 10, 0x2000
	v_lshlrev_b32_e32 v13, 7, v13
	s_delay_alu instid0(VALU_DEP_2) | instskip(NEXT) | instid1(VALU_DEP_1)
	v_and_or_b32 v0, 0x8000, v14, v0
	v_and_or_b32 v0, 0x380, v13, v0
	s_delay_alu instid0(VALU_DEP_1)
	v_cvt_f32_f16_e64 v133, v0
.LBB324_1665:                           ;   in Loop: Header=BB324_1064 Depth=1
	s_or_b32 exec_lo, exec_lo, s15
.LBB324_1666:                           ;   in Loop: Header=BB324_1064 Depth=1
	s_delay_alu instid0(SALU_CYCLE_1)
	s_or_b32 exec_lo, exec_lo, s13
.LBB324_1667:                           ;   in Loop: Header=BB324_1064 Depth=1
	s_delay_alu instid0(SALU_CYCLE_1) | instskip(SKIP_2) | instid1(VALU_DEP_1)
	s_or_b32 exec_lo, exec_lo, s12
	v_lshrrev_b16 v0, 8, v11
	s_mov_b32 s12, exec_lo
	v_cmpx_ne_u16_e32 0, v0
	s_cbranch_execz .LBB324_1675
; %bb.1668:                             ;   in Loop: Header=BB324_1064 Depth=1
	v_bfrev_b32_e32 v134, 1
	s_mov_b32 s13, exec_lo
	v_cmpx_ne_u16_e32 0x80, v0
	s_cbranch_execz .LBB324_1674
; %bb.1669:                             ;   in Loop: Header=BB324_1064 Depth=1
	v_and_b32_e32 v135, 0xffff, v0
	v_mov_b32_e32 v134, 0x7fc02000
	s_mov_b32 s15, exec_lo
	s_delay_alu instid0(VALU_DEP_2) | instskip(NEXT) | instid1(VALU_DEP_1)
	v_and_b32_e32 v13, 0x7f, v135
	v_cmpx_ne_u32_e32 0x7f, v13
	s_cbranch_execz .LBB324_1673
; %bb.1670:                             ;   in Loop: Header=BB324_1064 Depth=1
	v_and_b32_e32 v0, 7, v135
	v_lshrrev_b32_e32 v134, 3, v13
	v_cmp_gt_u32_e64 s1, 8, v13
	s_delay_alu instid0(VALU_DEP_3) | instskip(NEXT) | instid1(VALU_DEP_2)
	v_dual_mov_b32 v14, v1 :: v_dual_mov_b32 v13, v0
	s_and_saveexec_b32 s16, s1
; %bb.1671:                             ;   in Loop: Header=BB324_1064 Depth=1
	v_clz_i32_u32_e32 v13, v0
	s_delay_alu instid0(VALU_DEP_1) | instskip(NEXT) | instid1(VALU_DEP_1)
	v_min_u32_e32 v134, 32, v13
	v_subrev_nc_u32_e32 v13, 28, v134
	v_sub_nc_u32_e32 v134, 29, v134
	s_delay_alu instid0(VALU_DEP_2) | instskip(NEXT) | instid1(VALU_DEP_1)
	v_lshlrev_b64 v[13:14], v13, v[0:1]
	v_and_b32_e32 v13, 7, v13
; %bb.1672:                             ;   in Loop: Header=BB324_1064 Depth=1
	s_or_b32 exec_lo, exec_lo, s16
	v_lshlrev_b32_e32 v0, 8, v135
	v_lshl_add_u32 v14, v134, 10, 0x2000
	s_delay_alu instid0(VALU_DEP_1) | instskip(NEXT) | instid1(VALU_DEP_1)
	v_and_or_b32 v0, 0x8000, v0, v14
	v_lshl_or_b32 v0, v13, 7, v0
	s_delay_alu instid0(VALU_DEP_1)
	v_cvt_f32_f16_e64 v134, v0
.LBB324_1673:                           ;   in Loop: Header=BB324_1064 Depth=1
	s_or_b32 exec_lo, exec_lo, s15
.LBB324_1674:                           ;   in Loop: Header=BB324_1064 Depth=1
	s_delay_alu instid0(SALU_CYCLE_1)
	s_or_b32 exec_lo, exec_lo, s13
.LBB324_1675:                           ;   in Loop: Header=BB324_1064 Depth=1
	s_delay_alu instid0(SALU_CYCLE_1) | instskip(SKIP_3) | instid1(VALU_DEP_2)
	s_or_b32 exec_lo, exec_lo, s12
	v_lshrrev_b32_e32 v145, 16, v11
	v_mov_b32_e32 v144, 0
	s_mov_b32 s12, exec_lo
	v_dual_mov_b32 v135, 0 :: v_dual_and_b32 v0, 0xff, v145
	s_delay_alu instid0(VALU_DEP_1)
	v_cmpx_ne_u16_e32 0, v0
	s_cbranch_execz .LBB324_1683
; %bb.1676:                             ;   in Loop: Header=BB324_1064 Depth=1
	v_bfrev_b32_e32 v135, 1
	s_mov_b32 s13, exec_lo
	v_cmpx_ne_u16_e32 0x80, v0
	s_cbranch_execz .LBB324_1682
; %bb.1677:                             ;   in Loop: Header=BB324_1064 Depth=1
	v_bfe_u32 v13, v11, 16, 7
	v_mov_b32_e32 v135, 0x7fc02000
	s_mov_b32 s15, exec_lo
	s_delay_alu instid0(VALU_DEP_2)
	v_cmpx_ne_u32_e32 0x7f, v13
	s_cbranch_execz .LBB324_1681
; %bb.1678:                             ;   in Loop: Header=BB324_1064 Depth=1
	v_and_b32_e32 v0, 7, v145
	v_lshrrev_b32_e32 v135, 3, v13
	v_cmp_gt_u32_e64 s1, 8, v13
	s_delay_alu instid0(VALU_DEP_3) | instskip(NEXT) | instid1(VALU_DEP_2)
	v_dual_mov_b32 v14, v1 :: v_dual_mov_b32 v13, v0
	s_and_saveexec_b32 s16, s1
; %bb.1679:                             ;   in Loop: Header=BB324_1064 Depth=1
	v_clz_i32_u32_e32 v13, v0
	s_delay_alu instid0(VALU_DEP_1) | instskip(NEXT) | instid1(VALU_DEP_1)
	v_min_u32_e32 v135, 32, v13
	v_subrev_nc_u32_e32 v13, 28, v135
	v_sub_nc_u32_e32 v135, 29, v135
	s_delay_alu instid0(VALU_DEP_2) | instskip(NEXT) | instid1(VALU_DEP_1)
	v_lshlrev_b64 v[13:14], v13, v[0:1]
	v_and_b32_e32 v13, 7, v13
; %bb.1680:                             ;   in Loop: Header=BB324_1064 Depth=1
	s_or_b32 exec_lo, exec_lo, s16
	v_lshlrev_b32_e32 v0, 8, v145
	v_lshl_add_u32 v14, v135, 10, 0x2000
	s_delay_alu instid0(VALU_DEP_1) | instskip(NEXT) | instid1(VALU_DEP_1)
	v_and_or_b32 v0, 0x8000, v0, v14
	v_lshl_or_b32 v0, v13, 7, v0
	s_delay_alu instid0(VALU_DEP_1)
	v_cvt_f32_f16_e64 v135, v0
.LBB324_1681:                           ;   in Loop: Header=BB324_1064 Depth=1
	s_or_b32 exec_lo, exec_lo, s15
.LBB324_1682:                           ;   in Loop: Header=BB324_1064 Depth=1
	s_delay_alu instid0(SALU_CYCLE_1)
	s_or_b32 exec_lo, exec_lo, s13
.LBB324_1683:                           ;   in Loop: Header=BB324_1064 Depth=1
	s_delay_alu instid0(SALU_CYCLE_1) | instskip(NEXT) | instid1(SALU_CYCLE_1)
	s_or_b32 exec_lo, exec_lo, s12
	s_mov_b32 s12, exec_lo
	v_cmpx_lt_u32_e32 0xffffff, v11
	s_cbranch_execz .LBB324_1691
; %bb.1684:                             ;   in Loop: Header=BB324_1064 Depth=1
	v_lshrrev_b32_e32 v145, 24, v11
	v_bfrev_b32_e32 v144, 1
	s_mov_b32 s13, exec_lo
	s_delay_alu instid0(VALU_DEP_2)
	v_cmpx_ne_u32_e32 0x80, v145
	s_cbranch_execz .LBB324_1690
; %bb.1685:                             ;   in Loop: Header=BB324_1064 Depth=1
	v_and_b32_e32 v13, 0x7f, v145
	v_mov_b32_e32 v144, 0x7fc02000
	s_mov_b32 s15, exec_lo
	s_delay_alu instid0(VALU_DEP_2)
	v_cmpx_ne_u32_e32 0x7f, v13
	s_cbranch_execz .LBB324_1689
; %bb.1686:                             ;   in Loop: Header=BB324_1064 Depth=1
	v_and_b32_e32 v0, 7, v145
	v_lshrrev_b32_e32 v144, 3, v13
	v_cmp_gt_u32_e64 s1, 8, v13
	s_delay_alu instid0(VALU_DEP_3) | instskip(NEXT) | instid1(VALU_DEP_2)
	v_dual_mov_b32 v14, v1 :: v_dual_mov_b32 v13, v0
	s_and_saveexec_b32 s16, s1
; %bb.1687:                             ;   in Loop: Header=BB324_1064 Depth=1
	v_clz_i32_u32_e32 v13, v0
	s_delay_alu instid0(VALU_DEP_1) | instskip(NEXT) | instid1(VALU_DEP_1)
	v_min_u32_e32 v144, 32, v13
	v_subrev_nc_u32_e32 v13, 28, v144
	v_sub_nc_u32_e32 v144, 29, v144
	s_delay_alu instid0(VALU_DEP_2) | instskip(NEXT) | instid1(VALU_DEP_1)
	v_lshlrev_b64 v[13:14], v13, v[0:1]
	v_and_b32_e32 v13, 7, v13
; %bb.1688:                             ;   in Loop: Header=BB324_1064 Depth=1
	s_or_b32 exec_lo, exec_lo, s16
	v_lshlrev_b32_e32 v0, 8, v145
	v_lshl_add_u32 v14, v144, 10, 0x2000
	s_delay_alu instid0(VALU_DEP_1) | instskip(NEXT) | instid1(VALU_DEP_1)
	v_and_or_b32 v0, 0x8000, v0, v14
	v_lshl_or_b32 v0, v13, 7, v0
	s_delay_alu instid0(VALU_DEP_1)
	v_cvt_f32_f16_e64 v144, v0
.LBB324_1689:                           ;   in Loop: Header=BB324_1064 Depth=1
	s_or_b32 exec_lo, exec_lo, s15
.LBB324_1690:                           ;   in Loop: Header=BB324_1064 Depth=1
	s_delay_alu instid0(SALU_CYCLE_1)
	s_or_b32 exec_lo, exec_lo, s13
.LBB324_1691:                           ;   in Loop: Header=BB324_1064 Depth=1
	s_delay_alu instid0(SALU_CYCLE_1) | instskip(SKIP_3) | instid1(VALU_DEP_2)
	s_or_b32 exec_lo, exec_lo, s12
	v_dual_mov_b32 v0, v12 :: v_dual_and_b32 v13, 0xff, v12
	v_dual_mov_b32 v146, 0 :: v_dual_mov_b32 v145, 0
	s_mov_b32 s12, exec_lo
	v_cmpx_ne_u16_e32 0, v13
	s_cbranch_execz .LBB324_1699
; %bb.1692:                             ;   in Loop: Header=BB324_1064 Depth=1
	v_bfrev_b32_e32 v145, 1
	s_mov_b32 s13, exec_lo
	v_cmpx_ne_u16_e32 0x80, v13
	s_cbranch_execz .LBB324_1698
; %bb.1693:                             ;   in Loop: Header=BB324_1064 Depth=1
	v_and_b32_e32 v13, 0x7f, v12
	v_mov_b32_e32 v145, 0x7fc02000
	s_mov_b32 s15, exec_lo
	s_delay_alu instid0(VALU_DEP_2)
	v_cmpx_ne_u32_e32 0x7f, v13
	s_cbranch_execz .LBB324_1697
; %bb.1694:                             ;   in Loop: Header=BB324_1064 Depth=1
	v_lshrrev_b32_e32 v145, 3, v13
	v_cmp_gt_u32_e64 s1, 8, v13
	v_dual_mov_b32 v14, v1 :: v_dual_mov_b32 v13, v0
	s_delay_alu instid0(VALU_DEP_2)
	s_and_saveexec_b32 s16, s1
; %bb.1695:                             ;   in Loop: Header=BB324_1064 Depth=1
	v_and_b32_e32 v13, 7, v12
	s_delay_alu instid0(VALU_DEP_1) | instskip(NEXT) | instid1(VALU_DEP_1)
	v_clz_i32_u32_e32 v13, v13
	v_min_u32_e32 v145, 32, v13
	s_delay_alu instid0(VALU_DEP_1) | instskip(SKIP_1) | instid1(VALU_DEP_2)
	v_subrev_nc_u32_e32 v13, 28, v145
	v_sub_nc_u32_e32 v145, 29, v145
	v_lshlrev_b64 v[13:14], v13, v[0:1]
; %bb.1696:                             ;   in Loop: Header=BB324_1064 Depth=1
	s_or_b32 exec_lo, exec_lo, s16
	v_lshlrev_b32_e32 v14, 8, v12
	s_delay_alu instid0(VALU_DEP_3) | instskip(NEXT) | instid1(VALU_DEP_3)
	v_lshl_add_u32 v145, v145, 10, 0x2000
	v_lshlrev_b32_e32 v13, 7, v13
	s_delay_alu instid0(VALU_DEP_2) | instskip(NEXT) | instid1(VALU_DEP_1)
	v_and_or_b32 v14, 0x8000, v14, v145
	v_and_or_b32 v13, 0x380, v13, v14
	s_delay_alu instid0(VALU_DEP_1)
	v_cvt_f32_f16_e64 v145, v13
.LBB324_1697:                           ;   in Loop: Header=BB324_1064 Depth=1
	s_or_b32 exec_lo, exec_lo, s15
.LBB324_1698:                           ;   in Loop: Header=BB324_1064 Depth=1
	s_delay_alu instid0(SALU_CYCLE_1)
	s_or_b32 exec_lo, exec_lo, s13
.LBB324_1699:                           ;   in Loop: Header=BB324_1064 Depth=1
	s_delay_alu instid0(SALU_CYCLE_1) | instskip(SKIP_2) | instid1(VALU_DEP_1)
	s_or_b32 exec_lo, exec_lo, s12
	v_lshrrev_b16 v0, 8, v0
	s_mov_b32 s12, exec_lo
	v_cmpx_ne_u16_e32 0, v0
	s_cbranch_execz .LBB324_1707
; %bb.1700:                             ;   in Loop: Header=BB324_1064 Depth=1
	v_bfrev_b32_e32 v146, 1
	s_mov_b32 s13, exec_lo
	v_cmpx_ne_u16_e32 0x80, v0
	s_cbranch_execz .LBB324_1706
; %bb.1701:                             ;   in Loop: Header=BB324_1064 Depth=1
	v_and_b32_e32 v147, 0xffff, v0
	v_mov_b32_e32 v146, 0x7fc02000
	s_mov_b32 s15, exec_lo
	s_delay_alu instid0(VALU_DEP_2) | instskip(NEXT) | instid1(VALU_DEP_1)
	v_and_b32_e32 v13, 0x7f, v147
	v_cmpx_ne_u32_e32 0x7f, v13
	s_cbranch_execz .LBB324_1705
; %bb.1702:                             ;   in Loop: Header=BB324_1064 Depth=1
	v_and_b32_e32 v0, 7, v147
	v_lshrrev_b32_e32 v146, 3, v13
	v_cmp_gt_u32_e64 s1, 8, v13
	s_delay_alu instid0(VALU_DEP_3) | instskip(NEXT) | instid1(VALU_DEP_2)
	v_dual_mov_b32 v14, v1 :: v_dual_mov_b32 v13, v0
	s_and_saveexec_b32 s16, s1
; %bb.1703:                             ;   in Loop: Header=BB324_1064 Depth=1
	v_clz_i32_u32_e32 v13, v0
	s_delay_alu instid0(VALU_DEP_1) | instskip(NEXT) | instid1(VALU_DEP_1)
	v_min_u32_e32 v146, 32, v13
	v_subrev_nc_u32_e32 v13, 28, v146
	v_sub_nc_u32_e32 v146, 29, v146
	s_delay_alu instid0(VALU_DEP_2) | instskip(NEXT) | instid1(VALU_DEP_1)
	v_lshlrev_b64 v[13:14], v13, v[0:1]
	v_and_b32_e32 v13, 7, v13
; %bb.1704:                             ;   in Loop: Header=BB324_1064 Depth=1
	s_or_b32 exec_lo, exec_lo, s16
	v_lshlrev_b32_e32 v0, 8, v147
	v_lshl_add_u32 v14, v146, 10, 0x2000
	s_delay_alu instid0(VALU_DEP_1) | instskip(NEXT) | instid1(VALU_DEP_1)
	v_and_or_b32 v0, 0x8000, v0, v14
	v_lshl_or_b32 v0, v13, 7, v0
	s_delay_alu instid0(VALU_DEP_1)
	v_cvt_f32_f16_e64 v146, v0
.LBB324_1705:                           ;   in Loop: Header=BB324_1064 Depth=1
	s_or_b32 exec_lo, exec_lo, s15
.LBB324_1706:                           ;   in Loop: Header=BB324_1064 Depth=1
	s_delay_alu instid0(SALU_CYCLE_1)
	s_or_b32 exec_lo, exec_lo, s13
.LBB324_1707:                           ;   in Loop: Header=BB324_1064 Depth=1
	s_delay_alu instid0(SALU_CYCLE_1) | instskip(SKIP_3) | instid1(VALU_DEP_2)
	s_or_b32 exec_lo, exec_lo, s12
	v_lshrrev_b32_e32 v148, 16, v12
	v_mov_b32_e32 v13, 0
	s_mov_b32 s12, exec_lo
	v_dual_mov_b32 v147, 0 :: v_dual_and_b32 v0, 0xff, v148
	s_delay_alu instid0(VALU_DEP_1)
	v_cmpx_ne_u16_e32 0, v0
	s_cbranch_execz .LBB324_1715
; %bb.1708:                             ;   in Loop: Header=BB324_1064 Depth=1
	v_bfrev_b32_e32 v13, 1
	s_mov_b32 s13, exec_lo
	v_cmpx_ne_u16_e32 0x80, v0
	s_cbranch_execz .LBB324_1714
; %bb.1709:                             ;   in Loop: Header=BB324_1064 Depth=1
	v_bfe_u32 v14, v12, 16, 7
	v_mov_b32_e32 v13, 0x7fc02000
	s_mov_b32 s15, exec_lo
	s_delay_alu instid0(VALU_DEP_2)
	v_cmpx_ne_u32_e32 0x7f, v14
	s_cbranch_execz .LBB324_1713
; %bb.1710:                             ;   in Loop: Header=BB324_1064 Depth=1
	v_and_b32_e32 v0, 7, v148
	v_lshrrev_b32_e32 v149, 3, v14
	v_cmp_gt_u32_e64 s1, 8, v14
	s_delay_alu instid0(VALU_DEP_3) | instskip(NEXT) | instid1(VALU_DEP_2)
	v_dual_mov_b32 v14, v1 :: v_dual_mov_b32 v13, v0
	s_and_saveexec_b32 s16, s1
; %bb.1711:                             ;   in Loop: Header=BB324_1064 Depth=1
	v_clz_i32_u32_e32 v13, v0
	s_delay_alu instid0(VALU_DEP_1) | instskip(NEXT) | instid1(VALU_DEP_1)
	v_min_u32_e32 v149, 32, v13
	v_subrev_nc_u32_e32 v13, 28, v149
	v_sub_nc_u32_e32 v149, 29, v149
	s_delay_alu instid0(VALU_DEP_2) | instskip(NEXT) | instid1(VALU_DEP_1)
	v_lshlrev_b64 v[13:14], v13, v[0:1]
	v_and_b32_e32 v13, 7, v13
; %bb.1712:                             ;   in Loop: Header=BB324_1064 Depth=1
	s_or_b32 exec_lo, exec_lo, s16
	v_lshlrev_b32_e32 v0, 8, v148
	v_lshl_add_u32 v14, v149, 10, 0x2000
	s_delay_alu instid0(VALU_DEP_1) | instskip(NEXT) | instid1(VALU_DEP_1)
	v_and_or_b32 v0, 0x8000, v0, v14
	v_lshl_or_b32 v0, v13, 7, v0
	s_delay_alu instid0(VALU_DEP_1)
	v_cvt_f32_f16_e32 v13, v0
.LBB324_1713:                           ;   in Loop: Header=BB324_1064 Depth=1
	s_or_b32 exec_lo, exec_lo, s15
.LBB324_1714:                           ;   in Loop: Header=BB324_1064 Depth=1
	s_delay_alu instid0(SALU_CYCLE_1)
	s_or_b32 exec_lo, exec_lo, s13
.LBB324_1715:                           ;   in Loop: Header=BB324_1064 Depth=1
	s_delay_alu instid0(SALU_CYCLE_1) | instskip(NEXT) | instid1(SALU_CYCLE_1)
	s_or_b32 exec_lo, exec_lo, s12
	s_mov_b32 s12, exec_lo
	v_cmpx_lt_u64_e64 s[8:9], v[11:12]
	s_cbranch_execz .LBB324_1723
; %bb.1716:                             ;   in Loop: Header=BB324_1064 Depth=1
	v_lshrrev_b32_e32 v14, 24, v12
	v_bfrev_b32_e32 v147, 1
	s_mov_b32 s13, exec_lo
	s_delay_alu instid0(VALU_DEP_2)
	v_cmpx_ne_u32_e32 0x80, v14
	s_cbranch_execz .LBB324_1722
; %bb.1717:                             ;   in Loop: Header=BB324_1064 Depth=1
	v_and_b32_e32 v11, 0x7f, v14
	v_mov_b32_e32 v147, 0x7fc02000
	s_mov_b32 s15, exec_lo
	s_delay_alu instid0(VALU_DEP_2)
	v_cmpx_ne_u32_e32 0x7f, v11
	s_cbranch_execz .LBB324_1721
; %bb.1718:                             ;   in Loop: Header=BB324_1064 Depth=1
	v_and_b32_e32 v0, 7, v14
	v_lshrrev_b32_e32 v147, 3, v11
	v_cmp_gt_u32_e64 s1, 8, v11
	s_delay_alu instid0(VALU_DEP_3) | instskip(NEXT) | instid1(VALU_DEP_2)
	v_dual_mov_b32 v12, v1 :: v_dual_mov_b32 v11, v0
	s_and_saveexec_b32 s16, s1
; %bb.1719:                             ;   in Loop: Header=BB324_1064 Depth=1
	v_clz_i32_u32_e32 v11, v0
	s_delay_alu instid0(VALU_DEP_1) | instskip(NEXT) | instid1(VALU_DEP_1)
	v_min_u32_e32 v147, 32, v11
	v_subrev_nc_u32_e32 v11, 28, v147
	v_sub_nc_u32_e32 v147, 29, v147
	s_delay_alu instid0(VALU_DEP_2) | instskip(NEXT) | instid1(VALU_DEP_1)
	v_lshlrev_b64 v[11:12], v11, v[0:1]
	v_and_b32_e32 v11, 7, v11
; %bb.1720:                             ;   in Loop: Header=BB324_1064 Depth=1
	s_or_b32 exec_lo, exec_lo, s16
	v_lshlrev_b32_e32 v0, 8, v14
	v_lshl_add_u32 v12, v147, 10, 0x2000
	s_delay_alu instid0(VALU_DEP_1) | instskip(NEXT) | instid1(VALU_DEP_1)
	v_and_or_b32 v0, 0x8000, v0, v12
	v_lshl_or_b32 v0, v11, 7, v0
	s_delay_alu instid0(VALU_DEP_1)
	v_cvt_f32_f16_e64 v147, v0
.LBB324_1721:                           ;   in Loop: Header=BB324_1064 Depth=1
	s_or_b32 exec_lo, exec_lo, s15
.LBB324_1722:                           ;   in Loop: Header=BB324_1064 Depth=1
	s_delay_alu instid0(SALU_CYCLE_1)
	s_or_b32 exec_lo, exec_lo, s13
.LBB324_1723:                           ;   in Loop: Header=BB324_1064 Depth=1
	s_delay_alu instid0(SALU_CYCLE_1)
	s_or_b32 exec_lo, exec_lo, s12
	s_waitcnt vmcnt(0) lgkmcnt(0)
	v_fma_mixlo_f16 v12, v132, v134, 0
	v_fma_mixlo_f16 v0, v132, v144, 0
	v_fma_mixlo_f16 v11, v132, v135, 0
	v_fma_mixlo_f16 v133, v132, v133, 0
	v_fma_mixlo_f16 v134, v132, v146, 0
	v_lshlrev_b32_e32 v14, 16, v12
	v_fma_mixlo_f16 v135, v132, v145, 0
	v_fma_mixlo_f16 v144, v132, v147, 0
	v_fma_mixlo_f16 v12, v132, v13, 0
	v_lshlrev_b32_e32 v0, 16, v0
	v_and_b32_e32 v11, 0xffff, v11
	v_and_b32_e32 v132, 0xffff, v133
	v_lshlrev_b32_e32 v133, 16, v134
	v_and_b32_e32 v134, 0xffff, v135
	v_lshlrev_b32_e32 v135, 16, v144
	v_and_b32_e32 v144, 0xffff, v12
	v_or_b32_e32 v13, v0, v11
	v_or_b32_e32 v14, v14, v132
	;; [unrolled: 1-line block ×3, first 2 shown]
	s_delay_alu instid0(VALU_DEP_4)
	v_or_b32_e32 v11, v135, v144
	s_and_saveexec_b32 s12, vcc_lo
	s_cbranch_execz .LBB324_1725
; %bb.1724:                             ;   in Loop: Header=BB324_1064 Depth=1
	v_cmp_lt_i32_e64 s1, v18, v38
	v_lshrrev_b32_e32 v132, 16, v14
	v_lshrrev_b32_e32 v133, 16, v13
	v_lshrrev_b32_e32 v134, 16, v0
	v_lshrrev_b32_e32 v11, 16, v11
	v_cndmask_b32_e64 v14, 0, v14, s1
	v_cmp_lt_i32_e64 s1, v99, v53
	s_delay_alu instid0(VALU_DEP_1) | instskip(SKIP_1) | instid1(VALU_DEP_2)
	v_cndmask_b32_e64 v132, 0, v132, s1
	v_cmp_lt_i32_e64 s1, v98, v53
	v_perm_b32 v14, v132, v14, 0x5040100
	s_delay_alu instid0(VALU_DEP_2) | instskip(SKIP_1) | instid1(VALU_DEP_1)
	v_cndmask_b32_e64 v133, 0, v133, s1
	v_cmp_lt_i32_e64 s1, v96, v38
	v_cndmask_b32_e64 v13, 0, v13, s1
	v_cmp_lt_i32_e64 s1, v84, v53
	s_delay_alu instid0(VALU_DEP_2) | instskip(NEXT) | instid1(VALU_DEP_2)
	v_perm_b32 v13, v133, v13, 0x5040100
	v_cndmask_b32_e64 v134, 0, v134, s1
	v_cmp_lt_i32_e64 s1, v83, v38
	s_delay_alu instid0(VALU_DEP_1) | instskip(SKIP_1) | instid1(VALU_DEP_2)
	v_cndmask_b32_e64 v0, 0, v0, s1
	v_cmp_lt_i32_e64 s1, v81, v53
	v_perm_b32 v0, v134, v0, 0x5040100
	s_delay_alu instid0(VALU_DEP_2) | instskip(SKIP_1) | instid1(VALU_DEP_1)
	v_cndmask_b32_e64 v11, 0, v11, s1
	v_cmp_lt_i32_e64 s1, v19, v38
	v_cndmask_b32_e64 v12, 0, v12, s1
	s_delay_alu instid0(VALU_DEP_1)
	v_perm_b32 v11, v11, v12, 0x5040100
.LBB324_1725:                           ;   in Loop: Header=BB324_1064 Depth=1
	s_or_b32 exec_lo, exec_lo, s12
	;;#ASMSTART
	v_pk_mul_f16 v12, v97, v14;

	;;#ASMEND
	;;#ASMSTART
	v_pk_mul_f16 v13, v87, v13;

	;;#ASMEND
	;; [unrolled: 4-line block ×4, first 2 shown]
	;;#ASMSTART
	v_pk_add_f16 v12, v12, v13;

	;;#ASMEND
	;;#ASMSTART
	v_pk_add_f16 v0, v12, v0;

	;;#ASMEND
	;; [unrolled: 4-line block ×3, first 2 shown]
	v_dual_mov_b32 v144, 0 :: v_dual_and_b32 v11, 0xffff, v0
	v_lshrrev_b32_e32 v0, 16, v0
	;;#ASMSTART
	v_cvt_f32_f16 v132, v11;
	;;#ASMEND
	;;#ASMSTART
	v_cvt_f32_f16 v133, v0;
	;;#ASMEND
	flat_load_b64 v[11:12], v[9:10] offset:2560
	flat_load_b32 v134, v[26:27]
	s_mov_b32 s12, exec_lo
	s_waitcnt vmcnt(1) lgkmcnt(1)
	v_dual_mov_b32 v135, 0 :: v_dual_and_b32 v0, 0xff, v11
	s_delay_alu instid0(VALU_DEP_1)
	v_cmpx_ne_u16_e32 0, v0
	s_cbranch_execz .LBB324_1733
; %bb.1726:                             ;   in Loop: Header=BB324_1064 Depth=1
	v_bfrev_b32_e32 v135, 1
	s_mov_b32 s13, exec_lo
	v_cmpx_ne_u16_e32 0x80, v0
	s_cbranch_execz .LBB324_1732
; %bb.1727:                             ;   in Loop: Header=BB324_1064 Depth=1
	v_and_b32_e32 v13, 0x7f, v11
	v_mov_b32_e32 v135, 0x7fc02000
	s_mov_b32 s15, exec_lo
	s_delay_alu instid0(VALU_DEP_2)
	v_cmpx_ne_u32_e32 0x7f, v13
	s_cbranch_execz .LBB324_1731
; %bb.1728:                             ;   in Loop: Header=BB324_1064 Depth=1
	v_lshrrev_b32_e32 v0, 3, v13
	v_cmp_gt_u32_e64 s1, 8, v13
	v_dual_mov_b32 v14, v12 :: v_dual_mov_b32 v13, v11
	s_delay_alu instid0(VALU_DEP_2)
	s_and_saveexec_b32 s16, s1
; %bb.1729:                             ;   in Loop: Header=BB324_1064 Depth=1
	v_and_b32_e32 v0, 7, v11
	s_delay_alu instid0(VALU_DEP_1) | instskip(NEXT) | instid1(VALU_DEP_1)
	v_clz_i32_u32_e32 v0, v0
	v_min_u32_e32 v0, 32, v0
	s_delay_alu instid0(VALU_DEP_1) | instskip(SKIP_1) | instid1(VALU_DEP_2)
	v_subrev_nc_u32_e32 v13, 28, v0
	v_sub_nc_u32_e32 v0, 29, v0
	v_lshlrev_b64 v[13:14], v13, v[11:12]
; %bb.1730:                             ;   in Loop: Header=BB324_1064 Depth=1
	s_or_b32 exec_lo, exec_lo, s16
	v_lshlrev_b32_e32 v14, 8, v11
	s_delay_alu instid0(VALU_DEP_3) | instskip(NEXT) | instid1(VALU_DEP_3)
	v_lshl_add_u32 v0, v0, 10, 0x2000
	v_lshlrev_b32_e32 v13, 7, v13
	s_delay_alu instid0(VALU_DEP_2) | instskip(NEXT) | instid1(VALU_DEP_1)
	v_and_or_b32 v0, 0x8000, v14, v0
	v_and_or_b32 v0, 0x380, v13, v0
	s_delay_alu instid0(VALU_DEP_1)
	v_cvt_f32_f16_e64 v135, v0
.LBB324_1731:                           ;   in Loop: Header=BB324_1064 Depth=1
	s_or_b32 exec_lo, exec_lo, s15
.LBB324_1732:                           ;   in Loop: Header=BB324_1064 Depth=1
	s_delay_alu instid0(SALU_CYCLE_1)
	s_or_b32 exec_lo, exec_lo, s13
.LBB324_1733:                           ;   in Loop: Header=BB324_1064 Depth=1
	s_delay_alu instid0(SALU_CYCLE_1) | instskip(SKIP_2) | instid1(VALU_DEP_1)
	s_or_b32 exec_lo, exec_lo, s12
	v_lshrrev_b16 v0, 8, v11
	s_mov_b32 s12, exec_lo
	v_cmpx_ne_u16_e32 0, v0
	s_cbranch_execz .LBB324_1741
; %bb.1734:                             ;   in Loop: Header=BB324_1064 Depth=1
	v_bfrev_b32_e32 v144, 1
	s_mov_b32 s13, exec_lo
	v_cmpx_ne_u16_e32 0x80, v0
	s_cbranch_execz .LBB324_1740
; %bb.1735:                             ;   in Loop: Header=BB324_1064 Depth=1
	v_and_b32_e32 v145, 0xffff, v0
	v_mov_b32_e32 v144, 0x7fc02000
	s_mov_b32 s15, exec_lo
	s_delay_alu instid0(VALU_DEP_2) | instskip(NEXT) | instid1(VALU_DEP_1)
	v_and_b32_e32 v13, 0x7f, v145
	v_cmpx_ne_u32_e32 0x7f, v13
	s_cbranch_execz .LBB324_1739
; %bb.1736:                             ;   in Loop: Header=BB324_1064 Depth=1
	v_and_b32_e32 v0, 7, v145
	v_lshrrev_b32_e32 v144, 3, v13
	v_cmp_gt_u32_e64 s1, 8, v13
	s_delay_alu instid0(VALU_DEP_3) | instskip(NEXT) | instid1(VALU_DEP_2)
	v_dual_mov_b32 v14, v1 :: v_dual_mov_b32 v13, v0
	s_and_saveexec_b32 s16, s1
; %bb.1737:                             ;   in Loop: Header=BB324_1064 Depth=1
	v_clz_i32_u32_e32 v13, v0
	s_delay_alu instid0(VALU_DEP_1) | instskip(NEXT) | instid1(VALU_DEP_1)
	v_min_u32_e32 v144, 32, v13
	v_subrev_nc_u32_e32 v13, 28, v144
	v_sub_nc_u32_e32 v144, 29, v144
	s_delay_alu instid0(VALU_DEP_2) | instskip(NEXT) | instid1(VALU_DEP_1)
	v_lshlrev_b64 v[13:14], v13, v[0:1]
	v_and_b32_e32 v13, 7, v13
; %bb.1738:                             ;   in Loop: Header=BB324_1064 Depth=1
	s_or_b32 exec_lo, exec_lo, s16
	v_lshlrev_b32_e32 v0, 8, v145
	v_lshl_add_u32 v14, v144, 10, 0x2000
	s_delay_alu instid0(VALU_DEP_1) | instskip(NEXT) | instid1(VALU_DEP_1)
	v_and_or_b32 v0, 0x8000, v0, v14
	v_lshl_or_b32 v0, v13, 7, v0
	s_delay_alu instid0(VALU_DEP_1)
	v_cvt_f32_f16_e64 v144, v0
.LBB324_1739:                           ;   in Loop: Header=BB324_1064 Depth=1
	s_or_b32 exec_lo, exec_lo, s15
.LBB324_1740:                           ;   in Loop: Header=BB324_1064 Depth=1
	s_delay_alu instid0(SALU_CYCLE_1)
	s_or_b32 exec_lo, exec_lo, s13
.LBB324_1741:                           ;   in Loop: Header=BB324_1064 Depth=1
	s_delay_alu instid0(SALU_CYCLE_1) | instskip(SKIP_3) | instid1(VALU_DEP_2)
	s_or_b32 exec_lo, exec_lo, s12
	v_lshrrev_b32_e32 v147, 16, v11
	v_mov_b32_e32 v146, 0
	s_mov_b32 s12, exec_lo
	v_dual_mov_b32 v145, 0 :: v_dual_and_b32 v0, 0xff, v147
	s_delay_alu instid0(VALU_DEP_1)
	v_cmpx_ne_u16_e32 0, v0
	s_cbranch_execz .LBB324_1749
; %bb.1742:                             ;   in Loop: Header=BB324_1064 Depth=1
	v_bfrev_b32_e32 v145, 1
	s_mov_b32 s13, exec_lo
	v_cmpx_ne_u16_e32 0x80, v0
	s_cbranch_execz .LBB324_1748
; %bb.1743:                             ;   in Loop: Header=BB324_1064 Depth=1
	v_bfe_u32 v13, v11, 16, 7
	v_mov_b32_e32 v145, 0x7fc02000
	s_mov_b32 s15, exec_lo
	s_delay_alu instid0(VALU_DEP_2)
	v_cmpx_ne_u32_e32 0x7f, v13
	s_cbranch_execz .LBB324_1747
; %bb.1744:                             ;   in Loop: Header=BB324_1064 Depth=1
	v_and_b32_e32 v0, 7, v147
	v_lshrrev_b32_e32 v145, 3, v13
	v_cmp_gt_u32_e64 s1, 8, v13
	s_delay_alu instid0(VALU_DEP_3) | instskip(NEXT) | instid1(VALU_DEP_2)
	v_dual_mov_b32 v14, v1 :: v_dual_mov_b32 v13, v0
	s_and_saveexec_b32 s16, s1
; %bb.1745:                             ;   in Loop: Header=BB324_1064 Depth=1
	v_clz_i32_u32_e32 v13, v0
	s_delay_alu instid0(VALU_DEP_1) | instskip(NEXT) | instid1(VALU_DEP_1)
	v_min_u32_e32 v145, 32, v13
	v_subrev_nc_u32_e32 v13, 28, v145
	v_sub_nc_u32_e32 v145, 29, v145
	s_delay_alu instid0(VALU_DEP_2) | instskip(NEXT) | instid1(VALU_DEP_1)
	v_lshlrev_b64 v[13:14], v13, v[0:1]
	v_and_b32_e32 v13, 7, v13
; %bb.1746:                             ;   in Loop: Header=BB324_1064 Depth=1
	s_or_b32 exec_lo, exec_lo, s16
	v_lshlrev_b32_e32 v0, 8, v147
	v_lshl_add_u32 v14, v145, 10, 0x2000
	s_delay_alu instid0(VALU_DEP_1) | instskip(NEXT) | instid1(VALU_DEP_1)
	v_and_or_b32 v0, 0x8000, v0, v14
	v_lshl_or_b32 v0, v13, 7, v0
	s_delay_alu instid0(VALU_DEP_1)
	v_cvt_f32_f16_e64 v145, v0
.LBB324_1747:                           ;   in Loop: Header=BB324_1064 Depth=1
	s_or_b32 exec_lo, exec_lo, s15
.LBB324_1748:                           ;   in Loop: Header=BB324_1064 Depth=1
	s_delay_alu instid0(SALU_CYCLE_1)
	s_or_b32 exec_lo, exec_lo, s13
.LBB324_1749:                           ;   in Loop: Header=BB324_1064 Depth=1
	s_delay_alu instid0(SALU_CYCLE_1) | instskip(NEXT) | instid1(SALU_CYCLE_1)
	s_or_b32 exec_lo, exec_lo, s12
	s_mov_b32 s12, exec_lo
	v_cmpx_lt_u32_e32 0xffffff, v11
	s_cbranch_execz .LBB324_1757
; %bb.1750:                             ;   in Loop: Header=BB324_1064 Depth=1
	v_lshrrev_b32_e32 v147, 24, v11
	v_bfrev_b32_e32 v146, 1
	s_mov_b32 s13, exec_lo
	s_delay_alu instid0(VALU_DEP_2)
	v_cmpx_ne_u32_e32 0x80, v147
	s_cbranch_execz .LBB324_1756
; %bb.1751:                             ;   in Loop: Header=BB324_1064 Depth=1
	v_and_b32_e32 v13, 0x7f, v147
	v_mov_b32_e32 v146, 0x7fc02000
	s_mov_b32 s15, exec_lo
	s_delay_alu instid0(VALU_DEP_2)
	v_cmpx_ne_u32_e32 0x7f, v13
	s_cbranch_execz .LBB324_1755
; %bb.1752:                             ;   in Loop: Header=BB324_1064 Depth=1
	v_and_b32_e32 v0, 7, v147
	v_lshrrev_b32_e32 v146, 3, v13
	v_cmp_gt_u32_e64 s1, 8, v13
	s_delay_alu instid0(VALU_DEP_3) | instskip(NEXT) | instid1(VALU_DEP_2)
	v_dual_mov_b32 v14, v1 :: v_dual_mov_b32 v13, v0
	s_and_saveexec_b32 s16, s1
; %bb.1753:                             ;   in Loop: Header=BB324_1064 Depth=1
	v_clz_i32_u32_e32 v13, v0
	s_delay_alu instid0(VALU_DEP_1) | instskip(NEXT) | instid1(VALU_DEP_1)
	v_min_u32_e32 v146, 32, v13
	v_subrev_nc_u32_e32 v13, 28, v146
	v_sub_nc_u32_e32 v146, 29, v146
	s_delay_alu instid0(VALU_DEP_2) | instskip(NEXT) | instid1(VALU_DEP_1)
	v_lshlrev_b64 v[13:14], v13, v[0:1]
	v_and_b32_e32 v13, 7, v13
; %bb.1754:                             ;   in Loop: Header=BB324_1064 Depth=1
	s_or_b32 exec_lo, exec_lo, s16
	v_lshlrev_b32_e32 v0, 8, v147
	v_lshl_add_u32 v14, v146, 10, 0x2000
	s_delay_alu instid0(VALU_DEP_1) | instskip(NEXT) | instid1(VALU_DEP_1)
	v_and_or_b32 v0, 0x8000, v0, v14
	v_lshl_or_b32 v0, v13, 7, v0
	s_delay_alu instid0(VALU_DEP_1)
	v_cvt_f32_f16_e64 v146, v0
.LBB324_1755:                           ;   in Loop: Header=BB324_1064 Depth=1
	s_or_b32 exec_lo, exec_lo, s15
.LBB324_1756:                           ;   in Loop: Header=BB324_1064 Depth=1
	s_delay_alu instid0(SALU_CYCLE_1)
	s_or_b32 exec_lo, exec_lo, s13
.LBB324_1757:                           ;   in Loop: Header=BB324_1064 Depth=1
	s_delay_alu instid0(SALU_CYCLE_1) | instskip(SKIP_3) | instid1(VALU_DEP_2)
	s_or_b32 exec_lo, exec_lo, s12
	v_dual_mov_b32 v0, v12 :: v_dual_and_b32 v13, 0xff, v12
	v_dual_mov_b32 v148, 0 :: v_dual_mov_b32 v147, 0
	s_mov_b32 s12, exec_lo
	v_cmpx_ne_u16_e32 0, v13
	s_cbranch_execz .LBB324_1765
; %bb.1758:                             ;   in Loop: Header=BB324_1064 Depth=1
	v_bfrev_b32_e32 v147, 1
	s_mov_b32 s13, exec_lo
	v_cmpx_ne_u16_e32 0x80, v13
	s_cbranch_execz .LBB324_1764
; %bb.1759:                             ;   in Loop: Header=BB324_1064 Depth=1
	v_and_b32_e32 v13, 0x7f, v12
	v_mov_b32_e32 v147, 0x7fc02000
	s_mov_b32 s15, exec_lo
	s_delay_alu instid0(VALU_DEP_2)
	v_cmpx_ne_u32_e32 0x7f, v13
	s_cbranch_execz .LBB324_1763
; %bb.1760:                             ;   in Loop: Header=BB324_1064 Depth=1
	v_lshrrev_b32_e32 v147, 3, v13
	v_cmp_gt_u32_e64 s1, 8, v13
	v_dual_mov_b32 v14, v1 :: v_dual_mov_b32 v13, v0
	s_delay_alu instid0(VALU_DEP_2)
	s_and_saveexec_b32 s16, s1
; %bb.1761:                             ;   in Loop: Header=BB324_1064 Depth=1
	v_and_b32_e32 v13, 7, v12
	s_delay_alu instid0(VALU_DEP_1) | instskip(NEXT) | instid1(VALU_DEP_1)
	v_clz_i32_u32_e32 v13, v13
	v_min_u32_e32 v147, 32, v13
	s_delay_alu instid0(VALU_DEP_1) | instskip(SKIP_1) | instid1(VALU_DEP_2)
	v_subrev_nc_u32_e32 v13, 28, v147
	v_sub_nc_u32_e32 v147, 29, v147
	v_lshlrev_b64 v[13:14], v13, v[0:1]
; %bb.1762:                             ;   in Loop: Header=BB324_1064 Depth=1
	s_or_b32 exec_lo, exec_lo, s16
	v_lshlrev_b32_e32 v14, 8, v12
	s_delay_alu instid0(VALU_DEP_3) | instskip(NEXT) | instid1(VALU_DEP_3)
	v_lshl_add_u32 v147, v147, 10, 0x2000
	v_lshlrev_b32_e32 v13, 7, v13
	s_delay_alu instid0(VALU_DEP_2) | instskip(NEXT) | instid1(VALU_DEP_1)
	v_and_or_b32 v14, 0x8000, v14, v147
	v_and_or_b32 v13, 0x380, v13, v14
	s_delay_alu instid0(VALU_DEP_1)
	v_cvt_f32_f16_e64 v147, v13
.LBB324_1763:                           ;   in Loop: Header=BB324_1064 Depth=1
	s_or_b32 exec_lo, exec_lo, s15
.LBB324_1764:                           ;   in Loop: Header=BB324_1064 Depth=1
	s_delay_alu instid0(SALU_CYCLE_1)
	s_or_b32 exec_lo, exec_lo, s13
.LBB324_1765:                           ;   in Loop: Header=BB324_1064 Depth=1
	s_delay_alu instid0(SALU_CYCLE_1) | instskip(SKIP_2) | instid1(VALU_DEP_1)
	s_or_b32 exec_lo, exec_lo, s12
	v_lshrrev_b16 v0, 8, v0
	s_mov_b32 s12, exec_lo
	v_cmpx_ne_u16_e32 0, v0
	s_cbranch_execz .LBB324_1773
; %bb.1766:                             ;   in Loop: Header=BB324_1064 Depth=1
	v_bfrev_b32_e32 v148, 1
	s_mov_b32 s13, exec_lo
	v_cmpx_ne_u16_e32 0x80, v0
	s_cbranch_execz .LBB324_1772
; %bb.1767:                             ;   in Loop: Header=BB324_1064 Depth=1
	v_and_b32_e32 v149, 0xffff, v0
	v_mov_b32_e32 v148, 0x7fc02000
	s_mov_b32 s15, exec_lo
	s_delay_alu instid0(VALU_DEP_2) | instskip(NEXT) | instid1(VALU_DEP_1)
	v_and_b32_e32 v13, 0x7f, v149
	v_cmpx_ne_u32_e32 0x7f, v13
	s_cbranch_execz .LBB324_1771
; %bb.1768:                             ;   in Loop: Header=BB324_1064 Depth=1
	v_and_b32_e32 v0, 7, v149
	v_lshrrev_b32_e32 v148, 3, v13
	v_cmp_gt_u32_e64 s1, 8, v13
	s_delay_alu instid0(VALU_DEP_3) | instskip(NEXT) | instid1(VALU_DEP_2)
	v_dual_mov_b32 v14, v1 :: v_dual_mov_b32 v13, v0
	s_and_saveexec_b32 s16, s1
; %bb.1769:                             ;   in Loop: Header=BB324_1064 Depth=1
	v_clz_i32_u32_e32 v13, v0
	s_delay_alu instid0(VALU_DEP_1) | instskip(NEXT) | instid1(VALU_DEP_1)
	v_min_u32_e32 v148, 32, v13
	v_subrev_nc_u32_e32 v13, 28, v148
	v_sub_nc_u32_e32 v148, 29, v148
	s_delay_alu instid0(VALU_DEP_2) | instskip(NEXT) | instid1(VALU_DEP_1)
	v_lshlrev_b64 v[13:14], v13, v[0:1]
	v_and_b32_e32 v13, 7, v13
; %bb.1770:                             ;   in Loop: Header=BB324_1064 Depth=1
	s_or_b32 exec_lo, exec_lo, s16
	v_lshlrev_b32_e32 v0, 8, v149
	v_lshl_add_u32 v14, v148, 10, 0x2000
	s_delay_alu instid0(VALU_DEP_1) | instskip(NEXT) | instid1(VALU_DEP_1)
	v_and_or_b32 v0, 0x8000, v0, v14
	v_lshl_or_b32 v0, v13, 7, v0
	s_delay_alu instid0(VALU_DEP_1)
	v_cvt_f32_f16_e64 v148, v0
.LBB324_1771:                           ;   in Loop: Header=BB324_1064 Depth=1
	s_or_b32 exec_lo, exec_lo, s15
.LBB324_1772:                           ;   in Loop: Header=BB324_1064 Depth=1
	s_delay_alu instid0(SALU_CYCLE_1)
	s_or_b32 exec_lo, exec_lo, s13
.LBB324_1773:                           ;   in Loop: Header=BB324_1064 Depth=1
	s_delay_alu instid0(SALU_CYCLE_1) | instskip(SKIP_3) | instid1(VALU_DEP_2)
	s_or_b32 exec_lo, exec_lo, s12
	v_lshrrev_b32_e32 v150, 16, v12
	v_mov_b32_e32 v13, 0
	s_mov_b32 s12, exec_lo
	v_dual_mov_b32 v149, 0 :: v_dual_and_b32 v0, 0xff, v150
	s_delay_alu instid0(VALU_DEP_1)
	v_cmpx_ne_u16_e32 0, v0
	s_cbranch_execz .LBB324_1781
; %bb.1774:                             ;   in Loop: Header=BB324_1064 Depth=1
	v_bfrev_b32_e32 v13, 1
	s_mov_b32 s13, exec_lo
	v_cmpx_ne_u16_e32 0x80, v0
	s_cbranch_execz .LBB324_1780
; %bb.1775:                             ;   in Loop: Header=BB324_1064 Depth=1
	v_bfe_u32 v14, v12, 16, 7
	v_mov_b32_e32 v13, 0x7fc02000
	s_mov_b32 s15, exec_lo
	s_delay_alu instid0(VALU_DEP_2)
	v_cmpx_ne_u32_e32 0x7f, v14
	s_cbranch_execz .LBB324_1779
; %bb.1776:                             ;   in Loop: Header=BB324_1064 Depth=1
	v_and_b32_e32 v0, 7, v150
	v_lshrrev_b32_e32 v151, 3, v14
	v_cmp_gt_u32_e64 s1, 8, v14
	s_delay_alu instid0(VALU_DEP_3) | instskip(NEXT) | instid1(VALU_DEP_2)
	v_dual_mov_b32 v14, v1 :: v_dual_mov_b32 v13, v0
	s_and_saveexec_b32 s16, s1
; %bb.1777:                             ;   in Loop: Header=BB324_1064 Depth=1
	v_clz_i32_u32_e32 v13, v0
	s_delay_alu instid0(VALU_DEP_1) | instskip(NEXT) | instid1(VALU_DEP_1)
	v_min_u32_e32 v151, 32, v13
	v_subrev_nc_u32_e32 v13, 28, v151
	v_sub_nc_u32_e32 v151, 29, v151
	s_delay_alu instid0(VALU_DEP_2) | instskip(NEXT) | instid1(VALU_DEP_1)
	v_lshlrev_b64 v[13:14], v13, v[0:1]
	v_and_b32_e32 v13, 7, v13
; %bb.1778:                             ;   in Loop: Header=BB324_1064 Depth=1
	s_or_b32 exec_lo, exec_lo, s16
	v_lshlrev_b32_e32 v0, 8, v150
	v_lshl_add_u32 v14, v151, 10, 0x2000
	s_delay_alu instid0(VALU_DEP_1) | instskip(NEXT) | instid1(VALU_DEP_1)
	v_and_or_b32 v0, 0x8000, v0, v14
	v_lshl_or_b32 v0, v13, 7, v0
	s_delay_alu instid0(VALU_DEP_1)
	v_cvt_f32_f16_e32 v13, v0
.LBB324_1779:                           ;   in Loop: Header=BB324_1064 Depth=1
	s_or_b32 exec_lo, exec_lo, s15
.LBB324_1780:                           ;   in Loop: Header=BB324_1064 Depth=1
	s_delay_alu instid0(SALU_CYCLE_1)
	s_or_b32 exec_lo, exec_lo, s13
.LBB324_1781:                           ;   in Loop: Header=BB324_1064 Depth=1
	s_delay_alu instid0(SALU_CYCLE_1) | instskip(NEXT) | instid1(SALU_CYCLE_1)
	s_or_b32 exec_lo, exec_lo, s12
	s_mov_b32 s12, exec_lo
	v_cmpx_lt_u64_e64 s[8:9], v[11:12]
	s_cbranch_execz .LBB324_1789
; %bb.1782:                             ;   in Loop: Header=BB324_1064 Depth=1
	v_lshrrev_b32_e32 v14, 24, v12
	v_bfrev_b32_e32 v149, 1
	s_mov_b32 s13, exec_lo
	s_delay_alu instid0(VALU_DEP_2)
	v_cmpx_ne_u32_e32 0x80, v14
	s_cbranch_execz .LBB324_1788
; %bb.1783:                             ;   in Loop: Header=BB324_1064 Depth=1
	v_and_b32_e32 v11, 0x7f, v14
	v_mov_b32_e32 v149, 0x7fc02000
	s_mov_b32 s15, exec_lo
	s_delay_alu instid0(VALU_DEP_2)
	v_cmpx_ne_u32_e32 0x7f, v11
	s_cbranch_execz .LBB324_1787
; %bb.1784:                             ;   in Loop: Header=BB324_1064 Depth=1
	v_and_b32_e32 v0, 7, v14
	v_lshrrev_b32_e32 v149, 3, v11
	v_cmp_gt_u32_e64 s1, 8, v11
	s_delay_alu instid0(VALU_DEP_3) | instskip(NEXT) | instid1(VALU_DEP_2)
	v_dual_mov_b32 v12, v1 :: v_dual_mov_b32 v11, v0
	s_and_saveexec_b32 s16, s1
; %bb.1785:                             ;   in Loop: Header=BB324_1064 Depth=1
	v_clz_i32_u32_e32 v11, v0
	s_delay_alu instid0(VALU_DEP_1) | instskip(NEXT) | instid1(VALU_DEP_1)
	v_min_u32_e32 v149, 32, v11
	v_subrev_nc_u32_e32 v11, 28, v149
	v_sub_nc_u32_e32 v149, 29, v149
	s_delay_alu instid0(VALU_DEP_2) | instskip(NEXT) | instid1(VALU_DEP_1)
	v_lshlrev_b64 v[11:12], v11, v[0:1]
	v_and_b32_e32 v11, 7, v11
; %bb.1786:                             ;   in Loop: Header=BB324_1064 Depth=1
	s_or_b32 exec_lo, exec_lo, s16
	v_lshlrev_b32_e32 v0, 8, v14
	v_lshl_add_u32 v12, v149, 10, 0x2000
	s_delay_alu instid0(VALU_DEP_1) | instskip(NEXT) | instid1(VALU_DEP_1)
	v_and_or_b32 v0, 0x8000, v0, v12
	v_lshl_or_b32 v0, v11, 7, v0
	s_delay_alu instid0(VALU_DEP_1)
	v_cvt_f32_f16_e64 v149, v0
.LBB324_1787:                           ;   in Loop: Header=BB324_1064 Depth=1
	s_or_b32 exec_lo, exec_lo, s15
.LBB324_1788:                           ;   in Loop: Header=BB324_1064 Depth=1
	s_delay_alu instid0(SALU_CYCLE_1)
	s_or_b32 exec_lo, exec_lo, s13
.LBB324_1789:                           ;   in Loop: Header=BB324_1064 Depth=1
	s_delay_alu instid0(SALU_CYCLE_1)
	s_or_b32 exec_lo, exec_lo, s12
	s_waitcnt vmcnt(0) lgkmcnt(0)
	v_fma_mixlo_f16 v12, v134, v144, 0
	v_fma_mixlo_f16 v0, v134, v146, 0
	;; [unrolled: 1-line block ×5, first 2 shown]
	v_lshlrev_b32_e32 v14, 16, v12
	v_fma_mixlo_f16 v145, v134, v147, 0
	v_fma_mixlo_f16 v146, v134, v149, 0
	;; [unrolled: 1-line block ×3, first 2 shown]
	v_lshlrev_b32_e32 v0, 16, v0
	v_and_b32_e32 v11, 0xffff, v11
	v_and_b32_e32 v134, 0xffff, v135
	v_lshlrev_b32_e32 v135, 16, v144
	v_and_b32_e32 v144, 0xffff, v145
	v_lshlrev_b32_e32 v145, 16, v146
	v_and_b32_e32 v146, 0xffff, v12
	v_or_b32_e32 v13, v0, v11
	v_or_b32_e32 v14, v14, v134
	;; [unrolled: 1-line block ×3, first 2 shown]
	s_delay_alu instid0(VALU_DEP_4)
	v_or_b32_e32 v11, v145, v146
	s_and_saveexec_b32 s12, vcc_lo
	s_cbranch_execz .LBB324_1791
; %bb.1790:                             ;   in Loop: Header=BB324_1064 Depth=1
	v_cmp_lt_i32_e64 s1, v18, v38
	v_lshrrev_b32_e32 v134, 16, v14
	v_lshrrev_b32_e32 v135, 16, v13
	;; [unrolled: 1-line block ×4, first 2 shown]
	v_cndmask_b32_e64 v14, 0, v14, s1
	v_cmp_lt_i32_e64 s1, v99, v53
	s_delay_alu instid0(VALU_DEP_1) | instskip(SKIP_1) | instid1(VALU_DEP_2)
	v_cndmask_b32_e64 v134, 0, v134, s1
	v_cmp_lt_i32_e64 s1, v98, v53
	v_perm_b32 v14, v134, v14, 0x5040100
	s_delay_alu instid0(VALU_DEP_2) | instskip(SKIP_1) | instid1(VALU_DEP_1)
	v_cndmask_b32_e64 v135, 0, v135, s1
	v_cmp_lt_i32_e64 s1, v96, v38
	v_cndmask_b32_e64 v13, 0, v13, s1
	v_cmp_lt_i32_e64 s1, v84, v53
	s_delay_alu instid0(VALU_DEP_2) | instskip(NEXT) | instid1(VALU_DEP_2)
	v_perm_b32 v13, v135, v13, 0x5040100
	v_cndmask_b32_e64 v144, 0, v144, s1
	v_cmp_lt_i32_e64 s1, v83, v38
	s_delay_alu instid0(VALU_DEP_1) | instskip(SKIP_1) | instid1(VALU_DEP_2)
	v_cndmask_b32_e64 v0, 0, v0, s1
	v_cmp_lt_i32_e64 s1, v81, v53
	v_perm_b32 v0, v144, v0, 0x5040100
	s_delay_alu instid0(VALU_DEP_2) | instskip(SKIP_1) | instid1(VALU_DEP_1)
	v_cndmask_b32_e64 v11, 0, v11, s1
	v_cmp_lt_i32_e64 s1, v19, v38
	v_cndmask_b32_e64 v12, 0, v12, s1
	s_delay_alu instid0(VALU_DEP_1)
	v_perm_b32 v11, v11, v12, 0x5040100
.LBB324_1791:                           ;   in Loop: Header=BB324_1064 Depth=1
	s_or_b32 exec_lo, exec_lo, s12
	;;#ASMSTART
	v_pk_mul_f16 v12, v97, v14;

	;;#ASMEND
	;;#ASMSTART
	v_pk_mul_f16 v13, v87, v13;

	;;#ASMEND
	;; [unrolled: 4-line block ×4, first 2 shown]
	;;#ASMSTART
	v_pk_add_f16 v12, v12, v13;

	;;#ASMEND
	;;#ASMSTART
	v_pk_add_f16 v0, v12, v0;

	;;#ASMEND
	;; [unrolled: 4-line block ×3, first 2 shown]
	v_dual_mov_b32 v146, 0 :: v_dual_and_b32 v11, 0xffff, v0
	v_lshrrev_b32_e32 v0, 16, v0
	;;#ASMSTART
	v_cvt_f32_f16 v134, v11;
	;;#ASMEND
	;;#ASMSTART
	v_cvt_f32_f16 v135, v0;
	;;#ASMEND
	flat_load_b64 v[11:12], v[9:10] offset:2816
	flat_load_b32 v144, v[26:27]
	s_mov_b32 s12, exec_lo
	s_waitcnt vmcnt(1) lgkmcnt(1)
	v_dual_mov_b32 v145, 0 :: v_dual_and_b32 v0, 0xff, v11
	s_delay_alu instid0(VALU_DEP_1)
	v_cmpx_ne_u16_e32 0, v0
	s_cbranch_execz .LBB324_1799
; %bb.1792:                             ;   in Loop: Header=BB324_1064 Depth=1
	v_bfrev_b32_e32 v145, 1
	s_mov_b32 s13, exec_lo
	v_cmpx_ne_u16_e32 0x80, v0
	s_cbranch_execz .LBB324_1798
; %bb.1793:                             ;   in Loop: Header=BB324_1064 Depth=1
	v_and_b32_e32 v13, 0x7f, v11
	v_mov_b32_e32 v145, 0x7fc02000
	s_mov_b32 s15, exec_lo
	s_delay_alu instid0(VALU_DEP_2)
	v_cmpx_ne_u32_e32 0x7f, v13
	s_cbranch_execz .LBB324_1797
; %bb.1794:                             ;   in Loop: Header=BB324_1064 Depth=1
	v_lshrrev_b32_e32 v0, 3, v13
	v_cmp_gt_u32_e64 s1, 8, v13
	v_dual_mov_b32 v14, v12 :: v_dual_mov_b32 v13, v11
	s_delay_alu instid0(VALU_DEP_2)
	s_and_saveexec_b32 s16, s1
; %bb.1795:                             ;   in Loop: Header=BB324_1064 Depth=1
	v_and_b32_e32 v0, 7, v11
	s_delay_alu instid0(VALU_DEP_1) | instskip(NEXT) | instid1(VALU_DEP_1)
	v_clz_i32_u32_e32 v0, v0
	v_min_u32_e32 v0, 32, v0
	s_delay_alu instid0(VALU_DEP_1) | instskip(SKIP_1) | instid1(VALU_DEP_2)
	v_subrev_nc_u32_e32 v13, 28, v0
	v_sub_nc_u32_e32 v0, 29, v0
	v_lshlrev_b64 v[13:14], v13, v[11:12]
; %bb.1796:                             ;   in Loop: Header=BB324_1064 Depth=1
	s_or_b32 exec_lo, exec_lo, s16
	v_lshlrev_b32_e32 v14, 8, v11
	s_delay_alu instid0(VALU_DEP_3) | instskip(NEXT) | instid1(VALU_DEP_3)
	v_lshl_add_u32 v0, v0, 10, 0x2000
	v_lshlrev_b32_e32 v13, 7, v13
	s_delay_alu instid0(VALU_DEP_2) | instskip(NEXT) | instid1(VALU_DEP_1)
	v_and_or_b32 v0, 0x8000, v14, v0
	v_and_or_b32 v0, 0x380, v13, v0
	s_delay_alu instid0(VALU_DEP_1)
	v_cvt_f32_f16_e64 v145, v0
.LBB324_1797:                           ;   in Loop: Header=BB324_1064 Depth=1
	s_or_b32 exec_lo, exec_lo, s15
.LBB324_1798:                           ;   in Loop: Header=BB324_1064 Depth=1
	s_delay_alu instid0(SALU_CYCLE_1)
	s_or_b32 exec_lo, exec_lo, s13
.LBB324_1799:                           ;   in Loop: Header=BB324_1064 Depth=1
	s_delay_alu instid0(SALU_CYCLE_1) | instskip(SKIP_2) | instid1(VALU_DEP_1)
	s_or_b32 exec_lo, exec_lo, s12
	v_lshrrev_b16 v0, 8, v11
	s_mov_b32 s12, exec_lo
	v_cmpx_ne_u16_e32 0, v0
	s_cbranch_execz .LBB324_1807
; %bb.1800:                             ;   in Loop: Header=BB324_1064 Depth=1
	v_bfrev_b32_e32 v146, 1
	s_mov_b32 s13, exec_lo
	v_cmpx_ne_u16_e32 0x80, v0
	s_cbranch_execz .LBB324_1806
; %bb.1801:                             ;   in Loop: Header=BB324_1064 Depth=1
	v_and_b32_e32 v147, 0xffff, v0
	v_mov_b32_e32 v146, 0x7fc02000
	s_mov_b32 s15, exec_lo
	s_delay_alu instid0(VALU_DEP_2) | instskip(NEXT) | instid1(VALU_DEP_1)
	v_and_b32_e32 v13, 0x7f, v147
	v_cmpx_ne_u32_e32 0x7f, v13
	s_cbranch_execz .LBB324_1805
; %bb.1802:                             ;   in Loop: Header=BB324_1064 Depth=1
	v_and_b32_e32 v0, 7, v147
	v_lshrrev_b32_e32 v146, 3, v13
	v_cmp_gt_u32_e64 s1, 8, v13
	s_delay_alu instid0(VALU_DEP_3) | instskip(NEXT) | instid1(VALU_DEP_2)
	v_dual_mov_b32 v14, v1 :: v_dual_mov_b32 v13, v0
	s_and_saveexec_b32 s16, s1
; %bb.1803:                             ;   in Loop: Header=BB324_1064 Depth=1
	v_clz_i32_u32_e32 v13, v0
	s_delay_alu instid0(VALU_DEP_1) | instskip(NEXT) | instid1(VALU_DEP_1)
	v_min_u32_e32 v146, 32, v13
	v_subrev_nc_u32_e32 v13, 28, v146
	v_sub_nc_u32_e32 v146, 29, v146
	s_delay_alu instid0(VALU_DEP_2) | instskip(NEXT) | instid1(VALU_DEP_1)
	v_lshlrev_b64 v[13:14], v13, v[0:1]
	v_and_b32_e32 v13, 7, v13
; %bb.1804:                             ;   in Loop: Header=BB324_1064 Depth=1
	s_or_b32 exec_lo, exec_lo, s16
	v_lshlrev_b32_e32 v0, 8, v147
	v_lshl_add_u32 v14, v146, 10, 0x2000
	s_delay_alu instid0(VALU_DEP_1) | instskip(NEXT) | instid1(VALU_DEP_1)
	v_and_or_b32 v0, 0x8000, v0, v14
	v_lshl_or_b32 v0, v13, 7, v0
	s_delay_alu instid0(VALU_DEP_1)
	v_cvt_f32_f16_e64 v146, v0
.LBB324_1805:                           ;   in Loop: Header=BB324_1064 Depth=1
	s_or_b32 exec_lo, exec_lo, s15
.LBB324_1806:                           ;   in Loop: Header=BB324_1064 Depth=1
	s_delay_alu instid0(SALU_CYCLE_1)
	s_or_b32 exec_lo, exec_lo, s13
.LBB324_1807:                           ;   in Loop: Header=BB324_1064 Depth=1
	s_delay_alu instid0(SALU_CYCLE_1) | instskip(SKIP_3) | instid1(VALU_DEP_2)
	s_or_b32 exec_lo, exec_lo, s12
	v_lshrrev_b32_e32 v149, 16, v11
	v_mov_b32_e32 v148, 0
	s_mov_b32 s12, exec_lo
	v_dual_mov_b32 v147, 0 :: v_dual_and_b32 v0, 0xff, v149
	s_delay_alu instid0(VALU_DEP_1)
	v_cmpx_ne_u16_e32 0, v0
	s_cbranch_execz .LBB324_1815
; %bb.1808:                             ;   in Loop: Header=BB324_1064 Depth=1
	v_bfrev_b32_e32 v147, 1
	s_mov_b32 s13, exec_lo
	v_cmpx_ne_u16_e32 0x80, v0
	s_cbranch_execz .LBB324_1814
; %bb.1809:                             ;   in Loop: Header=BB324_1064 Depth=1
	v_bfe_u32 v13, v11, 16, 7
	v_mov_b32_e32 v147, 0x7fc02000
	s_mov_b32 s15, exec_lo
	s_delay_alu instid0(VALU_DEP_2)
	v_cmpx_ne_u32_e32 0x7f, v13
	s_cbranch_execz .LBB324_1813
; %bb.1810:                             ;   in Loop: Header=BB324_1064 Depth=1
	v_and_b32_e32 v0, 7, v149
	v_lshrrev_b32_e32 v147, 3, v13
	v_cmp_gt_u32_e64 s1, 8, v13
	s_delay_alu instid0(VALU_DEP_3) | instskip(NEXT) | instid1(VALU_DEP_2)
	v_dual_mov_b32 v14, v1 :: v_dual_mov_b32 v13, v0
	s_and_saveexec_b32 s16, s1
; %bb.1811:                             ;   in Loop: Header=BB324_1064 Depth=1
	v_clz_i32_u32_e32 v13, v0
	s_delay_alu instid0(VALU_DEP_1) | instskip(NEXT) | instid1(VALU_DEP_1)
	v_min_u32_e32 v147, 32, v13
	v_subrev_nc_u32_e32 v13, 28, v147
	v_sub_nc_u32_e32 v147, 29, v147
	s_delay_alu instid0(VALU_DEP_2) | instskip(NEXT) | instid1(VALU_DEP_1)
	v_lshlrev_b64 v[13:14], v13, v[0:1]
	v_and_b32_e32 v13, 7, v13
; %bb.1812:                             ;   in Loop: Header=BB324_1064 Depth=1
	s_or_b32 exec_lo, exec_lo, s16
	v_lshlrev_b32_e32 v0, 8, v149
	v_lshl_add_u32 v14, v147, 10, 0x2000
	s_delay_alu instid0(VALU_DEP_1) | instskip(NEXT) | instid1(VALU_DEP_1)
	v_and_or_b32 v0, 0x8000, v0, v14
	v_lshl_or_b32 v0, v13, 7, v0
	s_delay_alu instid0(VALU_DEP_1)
	v_cvt_f32_f16_e64 v147, v0
.LBB324_1813:                           ;   in Loop: Header=BB324_1064 Depth=1
	s_or_b32 exec_lo, exec_lo, s15
.LBB324_1814:                           ;   in Loop: Header=BB324_1064 Depth=1
	s_delay_alu instid0(SALU_CYCLE_1)
	s_or_b32 exec_lo, exec_lo, s13
.LBB324_1815:                           ;   in Loop: Header=BB324_1064 Depth=1
	s_delay_alu instid0(SALU_CYCLE_1) | instskip(NEXT) | instid1(SALU_CYCLE_1)
	s_or_b32 exec_lo, exec_lo, s12
	s_mov_b32 s12, exec_lo
	v_cmpx_lt_u32_e32 0xffffff, v11
	s_cbranch_execz .LBB324_1823
; %bb.1816:                             ;   in Loop: Header=BB324_1064 Depth=1
	v_lshrrev_b32_e32 v149, 24, v11
	v_bfrev_b32_e32 v148, 1
	s_mov_b32 s13, exec_lo
	s_delay_alu instid0(VALU_DEP_2)
	v_cmpx_ne_u32_e32 0x80, v149
	s_cbranch_execz .LBB324_1822
; %bb.1817:                             ;   in Loop: Header=BB324_1064 Depth=1
	v_and_b32_e32 v13, 0x7f, v149
	v_mov_b32_e32 v148, 0x7fc02000
	s_mov_b32 s15, exec_lo
	s_delay_alu instid0(VALU_DEP_2)
	v_cmpx_ne_u32_e32 0x7f, v13
	s_cbranch_execz .LBB324_1821
; %bb.1818:                             ;   in Loop: Header=BB324_1064 Depth=1
	v_and_b32_e32 v0, 7, v149
	v_lshrrev_b32_e32 v148, 3, v13
	v_cmp_gt_u32_e64 s1, 8, v13
	s_delay_alu instid0(VALU_DEP_3) | instskip(NEXT) | instid1(VALU_DEP_2)
	v_dual_mov_b32 v14, v1 :: v_dual_mov_b32 v13, v0
	s_and_saveexec_b32 s16, s1
; %bb.1819:                             ;   in Loop: Header=BB324_1064 Depth=1
	v_clz_i32_u32_e32 v13, v0
	s_delay_alu instid0(VALU_DEP_1) | instskip(NEXT) | instid1(VALU_DEP_1)
	v_min_u32_e32 v148, 32, v13
	v_subrev_nc_u32_e32 v13, 28, v148
	v_sub_nc_u32_e32 v148, 29, v148
	s_delay_alu instid0(VALU_DEP_2) | instskip(NEXT) | instid1(VALU_DEP_1)
	v_lshlrev_b64 v[13:14], v13, v[0:1]
	v_and_b32_e32 v13, 7, v13
; %bb.1820:                             ;   in Loop: Header=BB324_1064 Depth=1
	s_or_b32 exec_lo, exec_lo, s16
	v_lshlrev_b32_e32 v0, 8, v149
	v_lshl_add_u32 v14, v148, 10, 0x2000
	s_delay_alu instid0(VALU_DEP_1) | instskip(NEXT) | instid1(VALU_DEP_1)
	v_and_or_b32 v0, 0x8000, v0, v14
	v_lshl_or_b32 v0, v13, 7, v0
	s_delay_alu instid0(VALU_DEP_1)
	v_cvt_f32_f16_e64 v148, v0
.LBB324_1821:                           ;   in Loop: Header=BB324_1064 Depth=1
	s_or_b32 exec_lo, exec_lo, s15
.LBB324_1822:                           ;   in Loop: Header=BB324_1064 Depth=1
	s_delay_alu instid0(SALU_CYCLE_1)
	s_or_b32 exec_lo, exec_lo, s13
.LBB324_1823:                           ;   in Loop: Header=BB324_1064 Depth=1
	s_delay_alu instid0(SALU_CYCLE_1) | instskip(SKIP_3) | instid1(VALU_DEP_2)
	s_or_b32 exec_lo, exec_lo, s12
	v_dual_mov_b32 v0, v12 :: v_dual_and_b32 v13, 0xff, v12
	v_dual_mov_b32 v150, 0 :: v_dual_mov_b32 v149, 0
	s_mov_b32 s12, exec_lo
	v_cmpx_ne_u16_e32 0, v13
	s_cbranch_execz .LBB324_1831
; %bb.1824:                             ;   in Loop: Header=BB324_1064 Depth=1
	v_bfrev_b32_e32 v149, 1
	s_mov_b32 s13, exec_lo
	v_cmpx_ne_u16_e32 0x80, v13
	s_cbranch_execz .LBB324_1830
; %bb.1825:                             ;   in Loop: Header=BB324_1064 Depth=1
	v_and_b32_e32 v13, 0x7f, v12
	v_mov_b32_e32 v149, 0x7fc02000
	s_mov_b32 s15, exec_lo
	s_delay_alu instid0(VALU_DEP_2)
	v_cmpx_ne_u32_e32 0x7f, v13
	s_cbranch_execz .LBB324_1829
; %bb.1826:                             ;   in Loop: Header=BB324_1064 Depth=1
	v_lshrrev_b32_e32 v149, 3, v13
	v_cmp_gt_u32_e64 s1, 8, v13
	v_dual_mov_b32 v14, v1 :: v_dual_mov_b32 v13, v0
	s_delay_alu instid0(VALU_DEP_2)
	s_and_saveexec_b32 s16, s1
; %bb.1827:                             ;   in Loop: Header=BB324_1064 Depth=1
	v_and_b32_e32 v13, 7, v12
	s_delay_alu instid0(VALU_DEP_1) | instskip(NEXT) | instid1(VALU_DEP_1)
	v_clz_i32_u32_e32 v13, v13
	v_min_u32_e32 v149, 32, v13
	s_delay_alu instid0(VALU_DEP_1) | instskip(SKIP_1) | instid1(VALU_DEP_2)
	v_subrev_nc_u32_e32 v13, 28, v149
	v_sub_nc_u32_e32 v149, 29, v149
	v_lshlrev_b64 v[13:14], v13, v[0:1]
; %bb.1828:                             ;   in Loop: Header=BB324_1064 Depth=1
	s_or_b32 exec_lo, exec_lo, s16
	v_lshlrev_b32_e32 v14, 8, v12
	s_delay_alu instid0(VALU_DEP_3) | instskip(NEXT) | instid1(VALU_DEP_3)
	v_lshl_add_u32 v149, v149, 10, 0x2000
	v_lshlrev_b32_e32 v13, 7, v13
	s_delay_alu instid0(VALU_DEP_2) | instskip(NEXT) | instid1(VALU_DEP_1)
	v_and_or_b32 v14, 0x8000, v14, v149
	v_and_or_b32 v13, 0x380, v13, v14
	s_delay_alu instid0(VALU_DEP_1)
	v_cvt_f32_f16_e64 v149, v13
.LBB324_1829:                           ;   in Loop: Header=BB324_1064 Depth=1
	s_or_b32 exec_lo, exec_lo, s15
.LBB324_1830:                           ;   in Loop: Header=BB324_1064 Depth=1
	s_delay_alu instid0(SALU_CYCLE_1)
	s_or_b32 exec_lo, exec_lo, s13
.LBB324_1831:                           ;   in Loop: Header=BB324_1064 Depth=1
	s_delay_alu instid0(SALU_CYCLE_1) | instskip(SKIP_2) | instid1(VALU_DEP_1)
	s_or_b32 exec_lo, exec_lo, s12
	v_lshrrev_b16 v0, 8, v0
	s_mov_b32 s12, exec_lo
	v_cmpx_ne_u16_e32 0, v0
	s_cbranch_execz .LBB324_1839
; %bb.1832:                             ;   in Loop: Header=BB324_1064 Depth=1
	v_bfrev_b32_e32 v150, 1
	s_mov_b32 s13, exec_lo
	v_cmpx_ne_u16_e32 0x80, v0
	s_cbranch_execz .LBB324_1838
; %bb.1833:                             ;   in Loop: Header=BB324_1064 Depth=1
	v_and_b32_e32 v151, 0xffff, v0
	v_mov_b32_e32 v150, 0x7fc02000
	s_mov_b32 s15, exec_lo
	s_delay_alu instid0(VALU_DEP_2) | instskip(NEXT) | instid1(VALU_DEP_1)
	v_and_b32_e32 v13, 0x7f, v151
	v_cmpx_ne_u32_e32 0x7f, v13
	s_cbranch_execz .LBB324_1837
; %bb.1834:                             ;   in Loop: Header=BB324_1064 Depth=1
	v_and_b32_e32 v0, 7, v151
	v_lshrrev_b32_e32 v150, 3, v13
	v_cmp_gt_u32_e64 s1, 8, v13
	s_delay_alu instid0(VALU_DEP_3) | instskip(NEXT) | instid1(VALU_DEP_2)
	v_dual_mov_b32 v14, v1 :: v_dual_mov_b32 v13, v0
	s_and_saveexec_b32 s16, s1
; %bb.1835:                             ;   in Loop: Header=BB324_1064 Depth=1
	v_clz_i32_u32_e32 v13, v0
	s_delay_alu instid0(VALU_DEP_1) | instskip(NEXT) | instid1(VALU_DEP_1)
	v_min_u32_e32 v150, 32, v13
	v_subrev_nc_u32_e32 v13, 28, v150
	v_sub_nc_u32_e32 v150, 29, v150
	s_delay_alu instid0(VALU_DEP_2) | instskip(NEXT) | instid1(VALU_DEP_1)
	v_lshlrev_b64 v[13:14], v13, v[0:1]
	v_and_b32_e32 v13, 7, v13
; %bb.1836:                             ;   in Loop: Header=BB324_1064 Depth=1
	s_or_b32 exec_lo, exec_lo, s16
	v_lshlrev_b32_e32 v0, 8, v151
	v_lshl_add_u32 v14, v150, 10, 0x2000
	s_delay_alu instid0(VALU_DEP_1) | instskip(NEXT) | instid1(VALU_DEP_1)
	v_and_or_b32 v0, 0x8000, v0, v14
	v_lshl_or_b32 v0, v13, 7, v0
	s_delay_alu instid0(VALU_DEP_1)
	v_cvt_f32_f16_e64 v150, v0
.LBB324_1837:                           ;   in Loop: Header=BB324_1064 Depth=1
	s_or_b32 exec_lo, exec_lo, s15
.LBB324_1838:                           ;   in Loop: Header=BB324_1064 Depth=1
	s_delay_alu instid0(SALU_CYCLE_1)
	s_or_b32 exec_lo, exec_lo, s13
.LBB324_1839:                           ;   in Loop: Header=BB324_1064 Depth=1
	s_delay_alu instid0(SALU_CYCLE_1) | instskip(SKIP_3) | instid1(VALU_DEP_2)
	s_or_b32 exec_lo, exec_lo, s12
	v_lshrrev_b32_e32 v160, 16, v12
	v_mov_b32_e32 v13, 0
	s_mov_b32 s12, exec_lo
	v_dual_mov_b32 v151, 0 :: v_dual_and_b32 v0, 0xff, v160
	s_delay_alu instid0(VALU_DEP_1)
	v_cmpx_ne_u16_e32 0, v0
	s_cbranch_execz .LBB324_1847
; %bb.1840:                             ;   in Loop: Header=BB324_1064 Depth=1
	v_bfrev_b32_e32 v13, 1
	s_mov_b32 s13, exec_lo
	v_cmpx_ne_u16_e32 0x80, v0
	s_cbranch_execz .LBB324_1846
; %bb.1841:                             ;   in Loop: Header=BB324_1064 Depth=1
	v_bfe_u32 v14, v12, 16, 7
	v_mov_b32_e32 v13, 0x7fc02000
	s_mov_b32 s15, exec_lo
	s_delay_alu instid0(VALU_DEP_2)
	v_cmpx_ne_u32_e32 0x7f, v14
	s_cbranch_execz .LBB324_1845
; %bb.1842:                             ;   in Loop: Header=BB324_1064 Depth=1
	v_and_b32_e32 v0, 7, v160
	v_lshrrev_b32_e32 v161, 3, v14
	v_cmp_gt_u32_e64 s1, 8, v14
	s_delay_alu instid0(VALU_DEP_3) | instskip(NEXT) | instid1(VALU_DEP_2)
	v_dual_mov_b32 v14, v1 :: v_dual_mov_b32 v13, v0
	s_and_saveexec_b32 s16, s1
; %bb.1843:                             ;   in Loop: Header=BB324_1064 Depth=1
	v_clz_i32_u32_e32 v13, v0
	s_delay_alu instid0(VALU_DEP_1) | instskip(NEXT) | instid1(VALU_DEP_1)
	v_min_u32_e32 v161, 32, v13
	v_subrev_nc_u32_e32 v13, 28, v161
	v_sub_nc_u32_e32 v161, 29, v161
	s_delay_alu instid0(VALU_DEP_2) | instskip(NEXT) | instid1(VALU_DEP_1)
	v_lshlrev_b64 v[13:14], v13, v[0:1]
	v_and_b32_e32 v13, 7, v13
; %bb.1844:                             ;   in Loop: Header=BB324_1064 Depth=1
	s_or_b32 exec_lo, exec_lo, s16
	v_lshlrev_b32_e32 v0, 8, v160
	v_lshl_add_u32 v14, v161, 10, 0x2000
	s_delay_alu instid0(VALU_DEP_1) | instskip(NEXT) | instid1(VALU_DEP_1)
	v_and_or_b32 v0, 0x8000, v0, v14
	v_lshl_or_b32 v0, v13, 7, v0
	s_delay_alu instid0(VALU_DEP_1)
	v_cvt_f32_f16_e32 v13, v0
.LBB324_1845:                           ;   in Loop: Header=BB324_1064 Depth=1
	s_or_b32 exec_lo, exec_lo, s15
.LBB324_1846:                           ;   in Loop: Header=BB324_1064 Depth=1
	s_delay_alu instid0(SALU_CYCLE_1)
	s_or_b32 exec_lo, exec_lo, s13
.LBB324_1847:                           ;   in Loop: Header=BB324_1064 Depth=1
	s_delay_alu instid0(SALU_CYCLE_1) | instskip(NEXT) | instid1(SALU_CYCLE_1)
	s_or_b32 exec_lo, exec_lo, s12
	s_mov_b32 s12, exec_lo
	v_cmpx_lt_u64_e64 s[8:9], v[11:12]
	s_cbranch_execz .LBB324_1855
; %bb.1848:                             ;   in Loop: Header=BB324_1064 Depth=1
	v_lshrrev_b32_e32 v14, 24, v12
	v_bfrev_b32_e32 v151, 1
	s_mov_b32 s13, exec_lo
	s_delay_alu instid0(VALU_DEP_2)
	v_cmpx_ne_u32_e32 0x80, v14
	s_cbranch_execz .LBB324_1854
; %bb.1849:                             ;   in Loop: Header=BB324_1064 Depth=1
	v_and_b32_e32 v11, 0x7f, v14
	v_mov_b32_e32 v151, 0x7fc02000
	s_mov_b32 s15, exec_lo
	s_delay_alu instid0(VALU_DEP_2)
	v_cmpx_ne_u32_e32 0x7f, v11
	s_cbranch_execz .LBB324_1853
; %bb.1850:                             ;   in Loop: Header=BB324_1064 Depth=1
	v_and_b32_e32 v0, 7, v14
	v_lshrrev_b32_e32 v151, 3, v11
	v_cmp_gt_u32_e64 s1, 8, v11
	s_delay_alu instid0(VALU_DEP_3) | instskip(NEXT) | instid1(VALU_DEP_2)
	v_dual_mov_b32 v12, v1 :: v_dual_mov_b32 v11, v0
	s_and_saveexec_b32 s16, s1
; %bb.1851:                             ;   in Loop: Header=BB324_1064 Depth=1
	v_clz_i32_u32_e32 v11, v0
	s_delay_alu instid0(VALU_DEP_1) | instskip(NEXT) | instid1(VALU_DEP_1)
	v_min_u32_e32 v151, 32, v11
	v_subrev_nc_u32_e32 v11, 28, v151
	v_sub_nc_u32_e32 v151, 29, v151
	s_delay_alu instid0(VALU_DEP_2) | instskip(NEXT) | instid1(VALU_DEP_1)
	v_lshlrev_b64 v[11:12], v11, v[0:1]
	v_and_b32_e32 v11, 7, v11
; %bb.1852:                             ;   in Loop: Header=BB324_1064 Depth=1
	s_or_b32 exec_lo, exec_lo, s16
	v_lshlrev_b32_e32 v0, 8, v14
	v_lshl_add_u32 v12, v151, 10, 0x2000
	s_delay_alu instid0(VALU_DEP_1) | instskip(NEXT) | instid1(VALU_DEP_1)
	v_and_or_b32 v0, 0x8000, v0, v12
	v_lshl_or_b32 v0, v11, 7, v0
	s_delay_alu instid0(VALU_DEP_1)
	v_cvt_f32_f16_e64 v151, v0
.LBB324_1853:                           ;   in Loop: Header=BB324_1064 Depth=1
	s_or_b32 exec_lo, exec_lo, s15
.LBB324_1854:                           ;   in Loop: Header=BB324_1064 Depth=1
	s_delay_alu instid0(SALU_CYCLE_1)
	s_or_b32 exec_lo, exec_lo, s13
.LBB324_1855:                           ;   in Loop: Header=BB324_1064 Depth=1
	s_delay_alu instid0(SALU_CYCLE_1)
	s_or_b32 exec_lo, exec_lo, s12
	s_waitcnt vmcnt(0) lgkmcnt(0)
	v_fma_mixlo_f16 v12, v144, v146, 0
	v_fma_mixlo_f16 v0, v144, v148, 0
	;; [unrolled: 1-line block ×5, first 2 shown]
	v_lshlrev_b32_e32 v14, 16, v12
	v_fma_mixlo_f16 v147, v144, v149, 0
	v_fma_mixlo_f16 v148, v144, v151, 0
	;; [unrolled: 1-line block ×3, first 2 shown]
	v_lshlrev_b32_e32 v0, 16, v0
	v_and_b32_e32 v11, 0xffff, v11
	v_and_b32_e32 v144, 0xffff, v145
	v_lshlrev_b32_e32 v145, 16, v146
	v_and_b32_e32 v146, 0xffff, v147
	v_lshlrev_b32_e32 v147, 16, v148
	v_and_b32_e32 v148, 0xffff, v12
	v_or_b32_e32 v13, v0, v11
	v_or_b32_e32 v14, v14, v144
	;; [unrolled: 1-line block ×3, first 2 shown]
	s_delay_alu instid0(VALU_DEP_4)
	v_or_b32_e32 v11, v147, v148
	s_and_saveexec_b32 s12, vcc_lo
	s_cbranch_execz .LBB324_1857
; %bb.1856:                             ;   in Loop: Header=BB324_1064 Depth=1
	v_cmp_lt_i32_e64 s1, v18, v38
	v_lshrrev_b32_e32 v144, 16, v14
	v_lshrrev_b32_e32 v145, 16, v13
	;; [unrolled: 1-line block ×4, first 2 shown]
	v_cndmask_b32_e64 v14, 0, v14, s1
	v_cmp_lt_i32_e64 s1, v99, v53
	s_delay_alu instid0(VALU_DEP_1) | instskip(SKIP_1) | instid1(VALU_DEP_2)
	v_cndmask_b32_e64 v144, 0, v144, s1
	v_cmp_lt_i32_e64 s1, v98, v53
	v_perm_b32 v14, v144, v14, 0x5040100
	s_delay_alu instid0(VALU_DEP_2) | instskip(SKIP_1) | instid1(VALU_DEP_1)
	v_cndmask_b32_e64 v145, 0, v145, s1
	v_cmp_lt_i32_e64 s1, v96, v38
	v_cndmask_b32_e64 v13, 0, v13, s1
	v_cmp_lt_i32_e64 s1, v84, v53
	s_delay_alu instid0(VALU_DEP_2) | instskip(NEXT) | instid1(VALU_DEP_2)
	v_perm_b32 v13, v145, v13, 0x5040100
	v_cndmask_b32_e64 v146, 0, v146, s1
	v_cmp_lt_i32_e64 s1, v83, v38
	s_delay_alu instid0(VALU_DEP_1) | instskip(SKIP_1) | instid1(VALU_DEP_2)
	v_cndmask_b32_e64 v0, 0, v0, s1
	v_cmp_lt_i32_e64 s1, v81, v53
	v_perm_b32 v0, v146, v0, 0x5040100
	s_delay_alu instid0(VALU_DEP_2) | instskip(SKIP_1) | instid1(VALU_DEP_1)
	v_cndmask_b32_e64 v11, 0, v11, s1
	v_cmp_lt_i32_e64 s1, v19, v38
	v_cndmask_b32_e64 v12, 0, v12, s1
	s_delay_alu instid0(VALU_DEP_1)
	v_perm_b32 v11, v11, v12, 0x5040100
.LBB324_1857:                           ;   in Loop: Header=BB324_1064 Depth=1
	s_or_b32 exec_lo, exec_lo, s12
	;;#ASMSTART
	v_pk_mul_f16 v12, v97, v14;

	;;#ASMEND
	;;#ASMSTART
	v_pk_mul_f16 v13, v87, v13;

	;;#ASMEND
	;; [unrolled: 4-line block ×4, first 2 shown]
	;;#ASMSTART
	v_pk_add_f16 v12, v12, v13;

	;;#ASMEND
	;;#ASMSTART
	v_pk_add_f16 v0, v12, v0;

	;;#ASMEND
	;;#ASMSTART
	v_pk_add_f16 v0, v0, v11;

	;;#ASMEND
	v_dual_mov_b32 v148, 0 :: v_dual_and_b32 v11, 0xffff, v0
	v_lshrrev_b32_e32 v0, 16, v0
	;;#ASMSTART
	v_cvt_f32_f16 v144, v11;
	;;#ASMEND
	;;#ASMSTART
	v_cvt_f32_f16 v145, v0;
	;;#ASMEND
	flat_load_b64 v[11:12], v[9:10] offset:3072
	flat_load_b32 v146, v[26:27]
	s_mov_b32 s12, exec_lo
	s_waitcnt vmcnt(1) lgkmcnt(1)
	v_dual_mov_b32 v147, 0 :: v_dual_and_b32 v0, 0xff, v11
	s_delay_alu instid0(VALU_DEP_1)
	v_cmpx_ne_u16_e32 0, v0
	s_cbranch_execz .LBB324_1865
; %bb.1858:                             ;   in Loop: Header=BB324_1064 Depth=1
	v_bfrev_b32_e32 v147, 1
	s_mov_b32 s13, exec_lo
	v_cmpx_ne_u16_e32 0x80, v0
	s_cbranch_execz .LBB324_1864
; %bb.1859:                             ;   in Loop: Header=BB324_1064 Depth=1
	v_and_b32_e32 v13, 0x7f, v11
	v_mov_b32_e32 v147, 0x7fc02000
	s_mov_b32 s15, exec_lo
	s_delay_alu instid0(VALU_DEP_2)
	v_cmpx_ne_u32_e32 0x7f, v13
	s_cbranch_execz .LBB324_1863
; %bb.1860:                             ;   in Loop: Header=BB324_1064 Depth=1
	v_lshrrev_b32_e32 v0, 3, v13
	v_cmp_gt_u32_e64 s1, 8, v13
	v_dual_mov_b32 v14, v12 :: v_dual_mov_b32 v13, v11
	s_delay_alu instid0(VALU_DEP_2)
	s_and_saveexec_b32 s16, s1
; %bb.1861:                             ;   in Loop: Header=BB324_1064 Depth=1
	v_and_b32_e32 v0, 7, v11
	s_delay_alu instid0(VALU_DEP_1) | instskip(NEXT) | instid1(VALU_DEP_1)
	v_clz_i32_u32_e32 v0, v0
	v_min_u32_e32 v0, 32, v0
	s_delay_alu instid0(VALU_DEP_1) | instskip(SKIP_1) | instid1(VALU_DEP_2)
	v_subrev_nc_u32_e32 v13, 28, v0
	v_sub_nc_u32_e32 v0, 29, v0
	v_lshlrev_b64 v[13:14], v13, v[11:12]
; %bb.1862:                             ;   in Loop: Header=BB324_1064 Depth=1
	s_or_b32 exec_lo, exec_lo, s16
	v_lshlrev_b32_e32 v14, 8, v11
	s_delay_alu instid0(VALU_DEP_3) | instskip(NEXT) | instid1(VALU_DEP_3)
	v_lshl_add_u32 v0, v0, 10, 0x2000
	v_lshlrev_b32_e32 v13, 7, v13
	s_delay_alu instid0(VALU_DEP_2) | instskip(NEXT) | instid1(VALU_DEP_1)
	v_and_or_b32 v0, 0x8000, v14, v0
	v_and_or_b32 v0, 0x380, v13, v0
	s_delay_alu instid0(VALU_DEP_1)
	v_cvt_f32_f16_e64 v147, v0
.LBB324_1863:                           ;   in Loop: Header=BB324_1064 Depth=1
	s_or_b32 exec_lo, exec_lo, s15
.LBB324_1864:                           ;   in Loop: Header=BB324_1064 Depth=1
	s_delay_alu instid0(SALU_CYCLE_1)
	s_or_b32 exec_lo, exec_lo, s13
.LBB324_1865:                           ;   in Loop: Header=BB324_1064 Depth=1
	s_delay_alu instid0(SALU_CYCLE_1) | instskip(SKIP_2) | instid1(VALU_DEP_1)
	s_or_b32 exec_lo, exec_lo, s12
	v_lshrrev_b16 v0, 8, v11
	s_mov_b32 s12, exec_lo
	v_cmpx_ne_u16_e32 0, v0
	s_cbranch_execz .LBB324_1873
; %bb.1866:                             ;   in Loop: Header=BB324_1064 Depth=1
	v_bfrev_b32_e32 v148, 1
	s_mov_b32 s13, exec_lo
	v_cmpx_ne_u16_e32 0x80, v0
	s_cbranch_execz .LBB324_1872
; %bb.1867:                             ;   in Loop: Header=BB324_1064 Depth=1
	v_and_b32_e32 v149, 0xffff, v0
	v_mov_b32_e32 v148, 0x7fc02000
	s_mov_b32 s15, exec_lo
	s_delay_alu instid0(VALU_DEP_2) | instskip(NEXT) | instid1(VALU_DEP_1)
	v_and_b32_e32 v13, 0x7f, v149
	v_cmpx_ne_u32_e32 0x7f, v13
	s_cbranch_execz .LBB324_1871
; %bb.1868:                             ;   in Loop: Header=BB324_1064 Depth=1
	v_and_b32_e32 v0, 7, v149
	v_lshrrev_b32_e32 v148, 3, v13
	v_cmp_gt_u32_e64 s1, 8, v13
	s_delay_alu instid0(VALU_DEP_3) | instskip(NEXT) | instid1(VALU_DEP_2)
	v_dual_mov_b32 v14, v1 :: v_dual_mov_b32 v13, v0
	s_and_saveexec_b32 s16, s1
; %bb.1869:                             ;   in Loop: Header=BB324_1064 Depth=1
	v_clz_i32_u32_e32 v13, v0
	s_delay_alu instid0(VALU_DEP_1) | instskip(NEXT) | instid1(VALU_DEP_1)
	v_min_u32_e32 v148, 32, v13
	v_subrev_nc_u32_e32 v13, 28, v148
	v_sub_nc_u32_e32 v148, 29, v148
	s_delay_alu instid0(VALU_DEP_2) | instskip(NEXT) | instid1(VALU_DEP_1)
	v_lshlrev_b64 v[13:14], v13, v[0:1]
	v_and_b32_e32 v13, 7, v13
; %bb.1870:                             ;   in Loop: Header=BB324_1064 Depth=1
	s_or_b32 exec_lo, exec_lo, s16
	v_lshlrev_b32_e32 v0, 8, v149
	v_lshl_add_u32 v14, v148, 10, 0x2000
	s_delay_alu instid0(VALU_DEP_1) | instskip(NEXT) | instid1(VALU_DEP_1)
	v_and_or_b32 v0, 0x8000, v0, v14
	v_lshl_or_b32 v0, v13, 7, v0
	s_delay_alu instid0(VALU_DEP_1)
	v_cvt_f32_f16_e64 v148, v0
.LBB324_1871:                           ;   in Loop: Header=BB324_1064 Depth=1
	s_or_b32 exec_lo, exec_lo, s15
.LBB324_1872:                           ;   in Loop: Header=BB324_1064 Depth=1
	s_delay_alu instid0(SALU_CYCLE_1)
	s_or_b32 exec_lo, exec_lo, s13
.LBB324_1873:                           ;   in Loop: Header=BB324_1064 Depth=1
	s_delay_alu instid0(SALU_CYCLE_1) | instskip(SKIP_3) | instid1(VALU_DEP_2)
	s_or_b32 exec_lo, exec_lo, s12
	v_lshrrev_b32_e32 v151, 16, v11
	v_mov_b32_e32 v150, 0
	s_mov_b32 s12, exec_lo
	v_dual_mov_b32 v149, 0 :: v_dual_and_b32 v0, 0xff, v151
	s_delay_alu instid0(VALU_DEP_1)
	v_cmpx_ne_u16_e32 0, v0
	s_cbranch_execz .LBB324_1881
; %bb.1874:                             ;   in Loop: Header=BB324_1064 Depth=1
	v_bfrev_b32_e32 v149, 1
	s_mov_b32 s13, exec_lo
	v_cmpx_ne_u16_e32 0x80, v0
	s_cbranch_execz .LBB324_1880
; %bb.1875:                             ;   in Loop: Header=BB324_1064 Depth=1
	v_bfe_u32 v13, v11, 16, 7
	v_mov_b32_e32 v149, 0x7fc02000
	s_mov_b32 s15, exec_lo
	s_delay_alu instid0(VALU_DEP_2)
	v_cmpx_ne_u32_e32 0x7f, v13
	s_cbranch_execz .LBB324_1879
; %bb.1876:                             ;   in Loop: Header=BB324_1064 Depth=1
	v_and_b32_e32 v0, 7, v151
	v_lshrrev_b32_e32 v149, 3, v13
	v_cmp_gt_u32_e64 s1, 8, v13
	s_delay_alu instid0(VALU_DEP_3) | instskip(NEXT) | instid1(VALU_DEP_2)
	v_dual_mov_b32 v14, v1 :: v_dual_mov_b32 v13, v0
	s_and_saveexec_b32 s16, s1
; %bb.1877:                             ;   in Loop: Header=BB324_1064 Depth=1
	v_clz_i32_u32_e32 v13, v0
	s_delay_alu instid0(VALU_DEP_1) | instskip(NEXT) | instid1(VALU_DEP_1)
	v_min_u32_e32 v149, 32, v13
	v_subrev_nc_u32_e32 v13, 28, v149
	v_sub_nc_u32_e32 v149, 29, v149
	s_delay_alu instid0(VALU_DEP_2) | instskip(NEXT) | instid1(VALU_DEP_1)
	v_lshlrev_b64 v[13:14], v13, v[0:1]
	v_and_b32_e32 v13, 7, v13
; %bb.1878:                             ;   in Loop: Header=BB324_1064 Depth=1
	s_or_b32 exec_lo, exec_lo, s16
	v_lshlrev_b32_e32 v0, 8, v151
	v_lshl_add_u32 v14, v149, 10, 0x2000
	s_delay_alu instid0(VALU_DEP_1) | instskip(NEXT) | instid1(VALU_DEP_1)
	v_and_or_b32 v0, 0x8000, v0, v14
	v_lshl_or_b32 v0, v13, 7, v0
	s_delay_alu instid0(VALU_DEP_1)
	v_cvt_f32_f16_e64 v149, v0
.LBB324_1879:                           ;   in Loop: Header=BB324_1064 Depth=1
	s_or_b32 exec_lo, exec_lo, s15
.LBB324_1880:                           ;   in Loop: Header=BB324_1064 Depth=1
	s_delay_alu instid0(SALU_CYCLE_1)
	s_or_b32 exec_lo, exec_lo, s13
.LBB324_1881:                           ;   in Loop: Header=BB324_1064 Depth=1
	s_delay_alu instid0(SALU_CYCLE_1) | instskip(NEXT) | instid1(SALU_CYCLE_1)
	s_or_b32 exec_lo, exec_lo, s12
	s_mov_b32 s12, exec_lo
	v_cmpx_lt_u32_e32 0xffffff, v11
	s_cbranch_execz .LBB324_1889
; %bb.1882:                             ;   in Loop: Header=BB324_1064 Depth=1
	v_lshrrev_b32_e32 v151, 24, v11
	v_bfrev_b32_e32 v150, 1
	s_mov_b32 s13, exec_lo
	s_delay_alu instid0(VALU_DEP_2)
	v_cmpx_ne_u32_e32 0x80, v151
	s_cbranch_execz .LBB324_1888
; %bb.1883:                             ;   in Loop: Header=BB324_1064 Depth=1
	v_and_b32_e32 v13, 0x7f, v151
	v_mov_b32_e32 v150, 0x7fc02000
	s_mov_b32 s15, exec_lo
	s_delay_alu instid0(VALU_DEP_2)
	v_cmpx_ne_u32_e32 0x7f, v13
	s_cbranch_execz .LBB324_1887
; %bb.1884:                             ;   in Loop: Header=BB324_1064 Depth=1
	v_and_b32_e32 v0, 7, v151
	v_lshrrev_b32_e32 v150, 3, v13
	v_cmp_gt_u32_e64 s1, 8, v13
	s_delay_alu instid0(VALU_DEP_3) | instskip(NEXT) | instid1(VALU_DEP_2)
	v_dual_mov_b32 v14, v1 :: v_dual_mov_b32 v13, v0
	s_and_saveexec_b32 s16, s1
; %bb.1885:                             ;   in Loop: Header=BB324_1064 Depth=1
	v_clz_i32_u32_e32 v13, v0
	s_delay_alu instid0(VALU_DEP_1) | instskip(NEXT) | instid1(VALU_DEP_1)
	v_min_u32_e32 v150, 32, v13
	v_subrev_nc_u32_e32 v13, 28, v150
	v_sub_nc_u32_e32 v150, 29, v150
	s_delay_alu instid0(VALU_DEP_2) | instskip(NEXT) | instid1(VALU_DEP_1)
	v_lshlrev_b64 v[13:14], v13, v[0:1]
	v_and_b32_e32 v13, 7, v13
; %bb.1886:                             ;   in Loop: Header=BB324_1064 Depth=1
	s_or_b32 exec_lo, exec_lo, s16
	v_lshlrev_b32_e32 v0, 8, v151
	v_lshl_add_u32 v14, v150, 10, 0x2000
	s_delay_alu instid0(VALU_DEP_1) | instskip(NEXT) | instid1(VALU_DEP_1)
	v_and_or_b32 v0, 0x8000, v0, v14
	v_lshl_or_b32 v0, v13, 7, v0
	s_delay_alu instid0(VALU_DEP_1)
	v_cvt_f32_f16_e64 v150, v0
.LBB324_1887:                           ;   in Loop: Header=BB324_1064 Depth=1
	s_or_b32 exec_lo, exec_lo, s15
.LBB324_1888:                           ;   in Loop: Header=BB324_1064 Depth=1
	s_delay_alu instid0(SALU_CYCLE_1)
	s_or_b32 exec_lo, exec_lo, s13
.LBB324_1889:                           ;   in Loop: Header=BB324_1064 Depth=1
	s_delay_alu instid0(SALU_CYCLE_1) | instskip(SKIP_3) | instid1(VALU_DEP_2)
	s_or_b32 exec_lo, exec_lo, s12
	v_dual_mov_b32 v0, v12 :: v_dual_and_b32 v13, 0xff, v12
	v_dual_mov_b32 v160, 0 :: v_dual_mov_b32 v151, 0
	s_mov_b32 s12, exec_lo
	v_cmpx_ne_u16_e32 0, v13
	s_cbranch_execz .LBB324_1897
; %bb.1890:                             ;   in Loop: Header=BB324_1064 Depth=1
	v_bfrev_b32_e32 v151, 1
	s_mov_b32 s13, exec_lo
	v_cmpx_ne_u16_e32 0x80, v13
	s_cbranch_execz .LBB324_1896
; %bb.1891:                             ;   in Loop: Header=BB324_1064 Depth=1
	v_and_b32_e32 v13, 0x7f, v12
	v_mov_b32_e32 v151, 0x7fc02000
	s_mov_b32 s15, exec_lo
	s_delay_alu instid0(VALU_DEP_2)
	v_cmpx_ne_u32_e32 0x7f, v13
	s_cbranch_execz .LBB324_1895
; %bb.1892:                             ;   in Loop: Header=BB324_1064 Depth=1
	v_lshrrev_b32_e32 v151, 3, v13
	v_cmp_gt_u32_e64 s1, 8, v13
	v_dual_mov_b32 v14, v1 :: v_dual_mov_b32 v13, v0
	s_delay_alu instid0(VALU_DEP_2)
	s_and_saveexec_b32 s16, s1
; %bb.1893:                             ;   in Loop: Header=BB324_1064 Depth=1
	v_and_b32_e32 v13, 7, v12
	s_delay_alu instid0(VALU_DEP_1) | instskip(NEXT) | instid1(VALU_DEP_1)
	v_clz_i32_u32_e32 v13, v13
	v_min_u32_e32 v151, 32, v13
	s_delay_alu instid0(VALU_DEP_1) | instskip(SKIP_1) | instid1(VALU_DEP_2)
	v_subrev_nc_u32_e32 v13, 28, v151
	v_sub_nc_u32_e32 v151, 29, v151
	v_lshlrev_b64 v[13:14], v13, v[0:1]
; %bb.1894:                             ;   in Loop: Header=BB324_1064 Depth=1
	s_or_b32 exec_lo, exec_lo, s16
	v_lshlrev_b32_e32 v14, 8, v12
	s_delay_alu instid0(VALU_DEP_3) | instskip(NEXT) | instid1(VALU_DEP_3)
	v_lshl_add_u32 v151, v151, 10, 0x2000
	v_lshlrev_b32_e32 v13, 7, v13
	s_delay_alu instid0(VALU_DEP_2) | instskip(NEXT) | instid1(VALU_DEP_1)
	v_and_or_b32 v14, 0x8000, v14, v151
	v_and_or_b32 v13, 0x380, v13, v14
	s_delay_alu instid0(VALU_DEP_1)
	v_cvt_f32_f16_e64 v151, v13
.LBB324_1895:                           ;   in Loop: Header=BB324_1064 Depth=1
	s_or_b32 exec_lo, exec_lo, s15
.LBB324_1896:                           ;   in Loop: Header=BB324_1064 Depth=1
	s_delay_alu instid0(SALU_CYCLE_1)
	s_or_b32 exec_lo, exec_lo, s13
.LBB324_1897:                           ;   in Loop: Header=BB324_1064 Depth=1
	s_delay_alu instid0(SALU_CYCLE_1) | instskip(SKIP_2) | instid1(VALU_DEP_1)
	s_or_b32 exec_lo, exec_lo, s12
	v_lshrrev_b16 v0, 8, v0
	s_mov_b32 s12, exec_lo
	v_cmpx_ne_u16_e32 0, v0
	s_cbranch_execz .LBB324_1905
; %bb.1898:                             ;   in Loop: Header=BB324_1064 Depth=1
	v_bfrev_b32_e32 v160, 1
	s_mov_b32 s13, exec_lo
	v_cmpx_ne_u16_e32 0x80, v0
	s_cbranch_execz .LBB324_1904
; %bb.1899:                             ;   in Loop: Header=BB324_1064 Depth=1
	v_and_b32_e32 v161, 0xffff, v0
	v_mov_b32_e32 v160, 0x7fc02000
	s_mov_b32 s15, exec_lo
	s_delay_alu instid0(VALU_DEP_2) | instskip(NEXT) | instid1(VALU_DEP_1)
	v_and_b32_e32 v13, 0x7f, v161
	v_cmpx_ne_u32_e32 0x7f, v13
	s_cbranch_execz .LBB324_1903
; %bb.1900:                             ;   in Loop: Header=BB324_1064 Depth=1
	v_and_b32_e32 v0, 7, v161
	v_lshrrev_b32_e32 v160, 3, v13
	v_cmp_gt_u32_e64 s1, 8, v13
	s_delay_alu instid0(VALU_DEP_3) | instskip(NEXT) | instid1(VALU_DEP_2)
	v_dual_mov_b32 v14, v1 :: v_dual_mov_b32 v13, v0
	s_and_saveexec_b32 s16, s1
; %bb.1901:                             ;   in Loop: Header=BB324_1064 Depth=1
	v_clz_i32_u32_e32 v13, v0
	s_delay_alu instid0(VALU_DEP_1) | instskip(NEXT) | instid1(VALU_DEP_1)
	v_min_u32_e32 v160, 32, v13
	v_subrev_nc_u32_e32 v13, 28, v160
	v_sub_nc_u32_e32 v160, 29, v160
	s_delay_alu instid0(VALU_DEP_2) | instskip(NEXT) | instid1(VALU_DEP_1)
	v_lshlrev_b64 v[13:14], v13, v[0:1]
	v_and_b32_e32 v13, 7, v13
; %bb.1902:                             ;   in Loop: Header=BB324_1064 Depth=1
	s_or_b32 exec_lo, exec_lo, s16
	v_lshlrev_b32_e32 v0, 8, v161
	v_lshl_add_u32 v14, v160, 10, 0x2000
	s_delay_alu instid0(VALU_DEP_1) | instskip(NEXT) | instid1(VALU_DEP_1)
	v_and_or_b32 v0, 0x8000, v0, v14
	v_lshl_or_b32 v0, v13, 7, v0
	s_delay_alu instid0(VALU_DEP_1)
	v_cvt_f32_f16_e64 v160, v0
.LBB324_1903:                           ;   in Loop: Header=BB324_1064 Depth=1
	s_or_b32 exec_lo, exec_lo, s15
.LBB324_1904:                           ;   in Loop: Header=BB324_1064 Depth=1
	s_delay_alu instid0(SALU_CYCLE_1)
	s_or_b32 exec_lo, exec_lo, s13
.LBB324_1905:                           ;   in Loop: Header=BB324_1064 Depth=1
	s_delay_alu instid0(SALU_CYCLE_1) | instskip(SKIP_3) | instid1(VALU_DEP_2)
	s_or_b32 exec_lo, exec_lo, s12
	v_lshrrev_b32_e32 v162, 16, v12
	v_mov_b32_e32 v13, 0
	s_mov_b32 s12, exec_lo
	v_dual_mov_b32 v161, 0 :: v_dual_and_b32 v0, 0xff, v162
	s_delay_alu instid0(VALU_DEP_1)
	v_cmpx_ne_u16_e32 0, v0
	s_cbranch_execz .LBB324_1913
; %bb.1906:                             ;   in Loop: Header=BB324_1064 Depth=1
	v_bfrev_b32_e32 v13, 1
	s_mov_b32 s13, exec_lo
	v_cmpx_ne_u16_e32 0x80, v0
	s_cbranch_execz .LBB324_1912
; %bb.1907:                             ;   in Loop: Header=BB324_1064 Depth=1
	v_bfe_u32 v14, v12, 16, 7
	v_mov_b32_e32 v13, 0x7fc02000
	s_mov_b32 s15, exec_lo
	s_delay_alu instid0(VALU_DEP_2)
	v_cmpx_ne_u32_e32 0x7f, v14
	s_cbranch_execz .LBB324_1911
; %bb.1908:                             ;   in Loop: Header=BB324_1064 Depth=1
	v_and_b32_e32 v0, 7, v162
	v_lshrrev_b32_e32 v163, 3, v14
	v_cmp_gt_u32_e64 s1, 8, v14
	s_delay_alu instid0(VALU_DEP_3) | instskip(NEXT) | instid1(VALU_DEP_2)
	v_dual_mov_b32 v14, v1 :: v_dual_mov_b32 v13, v0
	s_and_saveexec_b32 s16, s1
; %bb.1909:                             ;   in Loop: Header=BB324_1064 Depth=1
	v_clz_i32_u32_e32 v13, v0
	s_delay_alu instid0(VALU_DEP_1) | instskip(NEXT) | instid1(VALU_DEP_1)
	v_min_u32_e32 v163, 32, v13
	v_subrev_nc_u32_e32 v13, 28, v163
	v_sub_nc_u32_e32 v163, 29, v163
	s_delay_alu instid0(VALU_DEP_2) | instskip(NEXT) | instid1(VALU_DEP_1)
	v_lshlrev_b64 v[13:14], v13, v[0:1]
	v_and_b32_e32 v13, 7, v13
; %bb.1910:                             ;   in Loop: Header=BB324_1064 Depth=1
	s_or_b32 exec_lo, exec_lo, s16
	v_lshlrev_b32_e32 v0, 8, v162
	v_lshl_add_u32 v14, v163, 10, 0x2000
	s_delay_alu instid0(VALU_DEP_1) | instskip(NEXT) | instid1(VALU_DEP_1)
	v_and_or_b32 v0, 0x8000, v0, v14
	v_lshl_or_b32 v0, v13, 7, v0
	s_delay_alu instid0(VALU_DEP_1)
	v_cvt_f32_f16_e32 v13, v0
.LBB324_1911:                           ;   in Loop: Header=BB324_1064 Depth=1
	s_or_b32 exec_lo, exec_lo, s15
.LBB324_1912:                           ;   in Loop: Header=BB324_1064 Depth=1
	s_delay_alu instid0(SALU_CYCLE_1)
	s_or_b32 exec_lo, exec_lo, s13
.LBB324_1913:                           ;   in Loop: Header=BB324_1064 Depth=1
	s_delay_alu instid0(SALU_CYCLE_1) | instskip(NEXT) | instid1(SALU_CYCLE_1)
	s_or_b32 exec_lo, exec_lo, s12
	s_mov_b32 s12, exec_lo
	v_cmpx_lt_u64_e64 s[8:9], v[11:12]
	s_cbranch_execz .LBB324_1921
; %bb.1914:                             ;   in Loop: Header=BB324_1064 Depth=1
	v_lshrrev_b32_e32 v14, 24, v12
	v_bfrev_b32_e32 v161, 1
	s_mov_b32 s13, exec_lo
	s_delay_alu instid0(VALU_DEP_2)
	v_cmpx_ne_u32_e32 0x80, v14
	s_cbranch_execz .LBB324_1920
; %bb.1915:                             ;   in Loop: Header=BB324_1064 Depth=1
	v_and_b32_e32 v162, 0x7f, v14
	v_mov_b32_e32 v161, 0x7fc02000
	s_mov_b32 s15, exec_lo
	s_delay_alu instid0(VALU_DEP_2)
	v_cmpx_ne_u32_e32 0x7f, v162
	s_cbranch_execz .LBB324_1919
; %bb.1916:                             ;   in Loop: Header=BB324_1064 Depth=1
	v_and_b32_e32 v0, 7, v14
	v_lshrrev_b32_e32 v161, 3, v162
	v_mov_b32_e32 v12, v1
	s_mov_b32 s16, exec_lo
	s_delay_alu instid0(VALU_DEP_3)
	v_mov_b32_e32 v11, v0
	v_cmpx_gt_u32_e32 8, v162
; %bb.1917:                             ;   in Loop: Header=BB324_1064 Depth=1
	v_clz_i32_u32_e32 v11, v0
	s_delay_alu instid0(VALU_DEP_1) | instskip(NEXT) | instid1(VALU_DEP_1)
	v_min_u32_e32 v161, 32, v11
	v_subrev_nc_u32_e32 v11, 28, v161
	v_sub_nc_u32_e32 v161, 29, v161
	s_delay_alu instid0(VALU_DEP_2) | instskip(NEXT) | instid1(VALU_DEP_1)
	v_lshlrev_b64 v[11:12], v11, v[0:1]
	v_and_b32_e32 v11, 7, v11
; %bb.1918:                             ;   in Loop: Header=BB324_1064 Depth=1
	s_or_b32 exec_lo, exec_lo, s16
	v_lshlrev_b32_e32 v0, 8, v14
	v_lshl_add_u32 v12, v161, 10, 0x2000
	s_delay_alu instid0(VALU_DEP_1) | instskip(NEXT) | instid1(VALU_DEP_1)
	v_and_or_b32 v0, 0x8000, v0, v12
	v_lshl_or_b32 v0, v11, 7, v0
	s_delay_alu instid0(VALU_DEP_1)
	v_cvt_f32_f16_e64 v161, v0
.LBB324_1919:                           ;   in Loop: Header=BB324_1064 Depth=1
	s_or_b32 exec_lo, exec_lo, s15
.LBB324_1920:                           ;   in Loop: Header=BB324_1064 Depth=1
	s_delay_alu instid0(SALU_CYCLE_1)
	s_or_b32 exec_lo, exec_lo, s13
.LBB324_1921:                           ;   in Loop: Header=BB324_1064 Depth=1
	s_delay_alu instid0(SALU_CYCLE_1)
	s_or_b32 exec_lo, exec_lo, s12
	s_waitcnt vmcnt(0) lgkmcnt(0)
	v_fma_mixlo_f16 v12, v146, v148, 0
	v_fma_mixlo_f16 v0, v146, v150, 0
	;; [unrolled: 1-line block ×5, first 2 shown]
	v_lshlrev_b32_e32 v14, 16, v12
	v_fma_mixlo_f16 v149, v146, v151, 0
	v_fma_mixlo_f16 v150, v146, v161, 0
	;; [unrolled: 1-line block ×3, first 2 shown]
	v_lshlrev_b32_e32 v0, 16, v0
	v_and_b32_e32 v11, 0xffff, v11
	v_and_b32_e32 v146, 0xffff, v147
	v_lshlrev_b32_e32 v147, 16, v148
	v_and_b32_e32 v148, 0xffff, v149
	v_lshlrev_b32_e32 v149, 16, v150
	v_and_b32_e32 v150, 0xffff, v12
	v_or_b32_e32 v13, v0, v11
	v_or_b32_e32 v14, v14, v146
	;; [unrolled: 1-line block ×3, first 2 shown]
	s_delay_alu instid0(VALU_DEP_4)
	v_or_b32_e32 v11, v149, v150
	s_and_saveexec_b32 s12, vcc_lo
	s_cbranch_execz .LBB324_1923
; %bb.1922:                             ;   in Loop: Header=BB324_1064 Depth=1
	v_cmp_lt_i32_e64 s1, v18, v38
	v_lshrrev_b32_e32 v146, 16, v14
	v_lshrrev_b32_e32 v147, 16, v13
	;; [unrolled: 1-line block ×4, first 2 shown]
	v_cndmask_b32_e64 v14, 0, v14, s1
	v_cmp_lt_i32_e64 s1, v99, v53
	s_delay_alu instid0(VALU_DEP_1) | instskip(SKIP_1) | instid1(VALU_DEP_2)
	v_cndmask_b32_e64 v146, 0, v146, s1
	v_cmp_lt_i32_e64 s1, v98, v53
	v_perm_b32 v14, v146, v14, 0x5040100
	s_delay_alu instid0(VALU_DEP_2) | instskip(SKIP_1) | instid1(VALU_DEP_1)
	v_cndmask_b32_e64 v147, 0, v147, s1
	v_cmp_lt_i32_e64 s1, v96, v38
	v_cndmask_b32_e64 v13, 0, v13, s1
	v_cmp_lt_i32_e64 s1, v84, v53
	s_delay_alu instid0(VALU_DEP_2) | instskip(NEXT) | instid1(VALU_DEP_2)
	v_perm_b32 v13, v147, v13, 0x5040100
	v_cndmask_b32_e64 v148, 0, v148, s1
	v_cmp_lt_i32_e64 s1, v83, v38
	s_delay_alu instid0(VALU_DEP_1) | instskip(SKIP_1) | instid1(VALU_DEP_2)
	v_cndmask_b32_e64 v0, 0, v0, s1
	v_cmp_lt_i32_e64 s1, v81, v53
	v_perm_b32 v0, v148, v0, 0x5040100
	s_delay_alu instid0(VALU_DEP_2) | instskip(SKIP_1) | instid1(VALU_DEP_1)
	v_cndmask_b32_e64 v11, 0, v11, s1
	v_cmp_lt_i32_e64 s1, v19, v38
	v_cndmask_b32_e64 v12, 0, v12, s1
	s_delay_alu instid0(VALU_DEP_1)
	v_perm_b32 v11, v11, v12, 0x5040100
.LBB324_1923:                           ;   in Loop: Header=BB324_1064 Depth=1
	s_or_b32 exec_lo, exec_lo, s12
	;;#ASMSTART
	v_pk_mul_f16 v12, v97, v14;

	;;#ASMEND
	;;#ASMSTART
	v_pk_mul_f16 v13, v87, v13;

	;;#ASMEND
	;; [unrolled: 4-line block ×4, first 2 shown]
	;;#ASMSTART
	v_pk_add_f16 v12, v12, v13;

	;;#ASMEND
	;;#ASMSTART
	v_pk_add_f16 v0, v12, v0;

	;;#ASMEND
	;; [unrolled: 4-line block ×3, first 2 shown]
	v_dual_mov_b32 v150, 0 :: v_dual_and_b32 v11, 0xffff, v0
	v_lshrrev_b32_e32 v0, 16, v0
	;;#ASMSTART
	v_cvt_f32_f16 v146, v11;
	;;#ASMEND
	;;#ASMSTART
	v_cvt_f32_f16 v147, v0;
	;;#ASMEND
	flat_load_b64 v[11:12], v[9:10] offset:3328
	flat_load_b32 v148, v[26:27]
	s_mov_b32 s12, exec_lo
	s_waitcnt vmcnt(1) lgkmcnt(1)
	v_dual_mov_b32 v149, 0 :: v_dual_and_b32 v0, 0xff, v11
	s_delay_alu instid0(VALU_DEP_1)
	v_cmpx_ne_u16_e32 0, v0
	s_cbranch_execz .LBB324_1931
; %bb.1924:                             ;   in Loop: Header=BB324_1064 Depth=1
	v_bfrev_b32_e32 v149, 1
	s_mov_b32 s13, exec_lo
	v_cmpx_ne_u16_e32 0x80, v0
	s_cbranch_execz .LBB324_1930
; %bb.1925:                             ;   in Loop: Header=BB324_1064 Depth=1
	v_and_b32_e32 v13, 0x7f, v11
	v_mov_b32_e32 v149, 0x7fc02000
	s_mov_b32 s15, exec_lo
	s_delay_alu instid0(VALU_DEP_2)
	v_cmpx_ne_u32_e32 0x7f, v13
	s_cbranch_execz .LBB324_1929
; %bb.1926:                             ;   in Loop: Header=BB324_1064 Depth=1
	v_lshrrev_b32_e32 v0, 3, v13
	v_cmp_gt_u32_e64 s1, 8, v13
	v_dual_mov_b32 v14, v12 :: v_dual_mov_b32 v13, v11
	s_delay_alu instid0(VALU_DEP_2)
	s_and_saveexec_b32 s16, s1
; %bb.1927:                             ;   in Loop: Header=BB324_1064 Depth=1
	v_and_b32_e32 v0, 7, v11
	s_delay_alu instid0(VALU_DEP_1) | instskip(NEXT) | instid1(VALU_DEP_1)
	v_clz_i32_u32_e32 v0, v0
	v_min_u32_e32 v0, 32, v0
	s_delay_alu instid0(VALU_DEP_1) | instskip(SKIP_1) | instid1(VALU_DEP_2)
	v_subrev_nc_u32_e32 v13, 28, v0
	v_sub_nc_u32_e32 v0, 29, v0
	v_lshlrev_b64 v[13:14], v13, v[11:12]
; %bb.1928:                             ;   in Loop: Header=BB324_1064 Depth=1
	s_or_b32 exec_lo, exec_lo, s16
	v_lshlrev_b32_e32 v14, 8, v11
	s_delay_alu instid0(VALU_DEP_3) | instskip(NEXT) | instid1(VALU_DEP_3)
	v_lshl_add_u32 v0, v0, 10, 0x2000
	v_lshlrev_b32_e32 v13, 7, v13
	s_delay_alu instid0(VALU_DEP_2) | instskip(NEXT) | instid1(VALU_DEP_1)
	v_and_or_b32 v0, 0x8000, v14, v0
	v_and_or_b32 v0, 0x380, v13, v0
	s_delay_alu instid0(VALU_DEP_1)
	v_cvt_f32_f16_e64 v149, v0
.LBB324_1929:                           ;   in Loop: Header=BB324_1064 Depth=1
	s_or_b32 exec_lo, exec_lo, s15
.LBB324_1930:                           ;   in Loop: Header=BB324_1064 Depth=1
	s_delay_alu instid0(SALU_CYCLE_1)
	s_or_b32 exec_lo, exec_lo, s13
.LBB324_1931:                           ;   in Loop: Header=BB324_1064 Depth=1
	s_delay_alu instid0(SALU_CYCLE_1) | instskip(SKIP_2) | instid1(VALU_DEP_1)
	s_or_b32 exec_lo, exec_lo, s12
	v_lshrrev_b16 v0, 8, v11
	s_mov_b32 s12, exec_lo
	v_cmpx_ne_u16_e32 0, v0
	s_cbranch_execz .LBB324_1939
; %bb.1932:                             ;   in Loop: Header=BB324_1064 Depth=1
	v_bfrev_b32_e32 v150, 1
	s_mov_b32 s13, exec_lo
	v_cmpx_ne_u16_e32 0x80, v0
	s_cbranch_execz .LBB324_1938
; %bb.1933:                             ;   in Loop: Header=BB324_1064 Depth=1
	v_and_b32_e32 v151, 0xffff, v0
	v_mov_b32_e32 v150, 0x7fc02000
	s_mov_b32 s15, exec_lo
	s_delay_alu instid0(VALU_DEP_2) | instskip(NEXT) | instid1(VALU_DEP_1)
	v_and_b32_e32 v160, 0x7f, v151
	v_cmpx_ne_u32_e32 0x7f, v160
	s_cbranch_execz .LBB324_1937
; %bb.1934:                             ;   in Loop: Header=BB324_1064 Depth=1
	v_and_b32_e32 v0, 7, v151
	v_lshrrev_b32_e32 v150, 3, v160
	v_mov_b32_e32 v14, v1
	s_mov_b32 s16, exec_lo
	s_delay_alu instid0(VALU_DEP_3)
	v_mov_b32_e32 v13, v0
	v_cmpx_gt_u32_e32 8, v160
; %bb.1935:                             ;   in Loop: Header=BB324_1064 Depth=1
	v_clz_i32_u32_e32 v13, v0
	s_delay_alu instid0(VALU_DEP_1) | instskip(NEXT) | instid1(VALU_DEP_1)
	v_min_u32_e32 v150, 32, v13
	v_subrev_nc_u32_e32 v13, 28, v150
	v_sub_nc_u32_e32 v150, 29, v150
	s_delay_alu instid0(VALU_DEP_2) | instskip(NEXT) | instid1(VALU_DEP_1)
	v_lshlrev_b64 v[13:14], v13, v[0:1]
	v_and_b32_e32 v13, 7, v13
; %bb.1936:                             ;   in Loop: Header=BB324_1064 Depth=1
	s_or_b32 exec_lo, exec_lo, s16
	v_lshlrev_b32_e32 v0, 8, v151
	v_lshl_add_u32 v14, v150, 10, 0x2000
	s_delay_alu instid0(VALU_DEP_1) | instskip(NEXT) | instid1(VALU_DEP_1)
	v_and_or_b32 v0, 0x8000, v0, v14
	v_lshl_or_b32 v0, v13, 7, v0
	s_delay_alu instid0(VALU_DEP_1)
	v_cvt_f32_f16_e64 v150, v0
.LBB324_1937:                           ;   in Loop: Header=BB324_1064 Depth=1
	s_or_b32 exec_lo, exec_lo, s15
.LBB324_1938:                           ;   in Loop: Header=BB324_1064 Depth=1
	s_delay_alu instid0(SALU_CYCLE_1)
	s_or_b32 exec_lo, exec_lo, s13
.LBB324_1939:                           ;   in Loop: Header=BB324_1064 Depth=1
	s_delay_alu instid0(SALU_CYCLE_1) | instskip(SKIP_3) | instid1(VALU_DEP_2)
	s_or_b32 exec_lo, exec_lo, s12
	v_lshrrev_b32_e32 v161, 16, v11
	v_mov_b32_e32 v160, 0
	s_mov_b32 s12, exec_lo
	v_dual_mov_b32 v151, 0 :: v_dual_and_b32 v0, 0xff, v161
	s_delay_alu instid0(VALU_DEP_1)
	v_cmpx_ne_u16_e32 0, v0
	s_cbranch_execz .LBB324_1947
; %bb.1940:                             ;   in Loop: Header=BB324_1064 Depth=1
	v_bfrev_b32_e32 v151, 1
	s_mov_b32 s13, exec_lo
	v_cmpx_ne_u16_e32 0x80, v0
	s_cbranch_execz .LBB324_1946
; %bb.1941:                             ;   in Loop: Header=BB324_1064 Depth=1
	v_bfe_u32 v162, v11, 16, 7
	v_mov_b32_e32 v151, 0x7fc02000
	s_mov_b32 s15, exec_lo
	s_delay_alu instid0(VALU_DEP_2)
	v_cmpx_ne_u32_e32 0x7f, v162
	s_cbranch_execz .LBB324_1945
; %bb.1942:                             ;   in Loop: Header=BB324_1064 Depth=1
	v_and_b32_e32 v0, 7, v161
	v_lshrrev_b32_e32 v151, 3, v162
	v_mov_b32_e32 v14, v1
	s_mov_b32 s16, exec_lo
	s_delay_alu instid0(VALU_DEP_3)
	v_mov_b32_e32 v13, v0
	v_cmpx_gt_u32_e32 8, v162
; %bb.1943:                             ;   in Loop: Header=BB324_1064 Depth=1
	v_clz_i32_u32_e32 v13, v0
	s_delay_alu instid0(VALU_DEP_1) | instskip(NEXT) | instid1(VALU_DEP_1)
	v_min_u32_e32 v151, 32, v13
	v_subrev_nc_u32_e32 v13, 28, v151
	v_sub_nc_u32_e32 v151, 29, v151
	s_delay_alu instid0(VALU_DEP_2) | instskip(NEXT) | instid1(VALU_DEP_1)
	v_lshlrev_b64 v[13:14], v13, v[0:1]
	v_and_b32_e32 v13, 7, v13
; %bb.1944:                             ;   in Loop: Header=BB324_1064 Depth=1
	s_or_b32 exec_lo, exec_lo, s16
	v_lshlrev_b32_e32 v0, 8, v161
	v_lshl_add_u32 v14, v151, 10, 0x2000
	s_delay_alu instid0(VALU_DEP_1) | instskip(NEXT) | instid1(VALU_DEP_1)
	v_and_or_b32 v0, 0x8000, v0, v14
	v_lshl_or_b32 v0, v13, 7, v0
	s_delay_alu instid0(VALU_DEP_1)
	v_cvt_f32_f16_e64 v151, v0
.LBB324_1945:                           ;   in Loop: Header=BB324_1064 Depth=1
	s_or_b32 exec_lo, exec_lo, s15
.LBB324_1946:                           ;   in Loop: Header=BB324_1064 Depth=1
	s_delay_alu instid0(SALU_CYCLE_1)
	s_or_b32 exec_lo, exec_lo, s13
.LBB324_1947:                           ;   in Loop: Header=BB324_1064 Depth=1
	s_delay_alu instid0(SALU_CYCLE_1) | instskip(NEXT) | instid1(SALU_CYCLE_1)
	s_or_b32 exec_lo, exec_lo, s12
	s_mov_b32 s12, exec_lo
	v_cmpx_lt_u32_e32 0xffffff, v11
	s_cbranch_execz .LBB324_1955
; %bb.1948:                             ;   in Loop: Header=BB324_1064 Depth=1
	v_lshrrev_b32_e32 v161, 24, v11
	v_bfrev_b32_e32 v160, 1
	s_mov_b32 s13, exec_lo
	s_delay_alu instid0(VALU_DEP_2)
	v_cmpx_ne_u32_e32 0x80, v161
	s_cbranch_execz .LBB324_1954
; %bb.1949:                             ;   in Loop: Header=BB324_1064 Depth=1
	v_and_b32_e32 v162, 0x7f, v161
	v_mov_b32_e32 v160, 0x7fc02000
	s_mov_b32 s15, exec_lo
	s_delay_alu instid0(VALU_DEP_2)
	v_cmpx_ne_u32_e32 0x7f, v162
	s_cbranch_execz .LBB324_1953
; %bb.1950:                             ;   in Loop: Header=BB324_1064 Depth=1
	v_and_b32_e32 v0, 7, v161
	v_lshrrev_b32_e32 v160, 3, v162
	v_mov_b32_e32 v14, v1
	s_mov_b32 s16, exec_lo
	s_delay_alu instid0(VALU_DEP_3)
	v_mov_b32_e32 v13, v0
	v_cmpx_gt_u32_e32 8, v162
; %bb.1951:                             ;   in Loop: Header=BB324_1064 Depth=1
	v_clz_i32_u32_e32 v13, v0
	s_delay_alu instid0(VALU_DEP_1) | instskip(NEXT) | instid1(VALU_DEP_1)
	v_min_u32_e32 v160, 32, v13
	v_subrev_nc_u32_e32 v13, 28, v160
	v_sub_nc_u32_e32 v160, 29, v160
	s_delay_alu instid0(VALU_DEP_2) | instskip(NEXT) | instid1(VALU_DEP_1)
	v_lshlrev_b64 v[13:14], v13, v[0:1]
	v_and_b32_e32 v13, 7, v13
; %bb.1952:                             ;   in Loop: Header=BB324_1064 Depth=1
	s_or_b32 exec_lo, exec_lo, s16
	v_lshlrev_b32_e32 v0, 8, v161
	v_lshl_add_u32 v14, v160, 10, 0x2000
	s_delay_alu instid0(VALU_DEP_1) | instskip(NEXT) | instid1(VALU_DEP_1)
	v_and_or_b32 v0, 0x8000, v0, v14
	v_lshl_or_b32 v0, v13, 7, v0
	s_delay_alu instid0(VALU_DEP_1)
	v_cvt_f32_f16_e64 v160, v0
.LBB324_1953:                           ;   in Loop: Header=BB324_1064 Depth=1
	s_or_b32 exec_lo, exec_lo, s15
.LBB324_1954:                           ;   in Loop: Header=BB324_1064 Depth=1
	s_delay_alu instid0(SALU_CYCLE_1)
	s_or_b32 exec_lo, exec_lo, s13
.LBB324_1955:                           ;   in Loop: Header=BB324_1064 Depth=1
	s_delay_alu instid0(SALU_CYCLE_1) | instskip(SKIP_3) | instid1(VALU_DEP_2)
	s_or_b32 exec_lo, exec_lo, s12
	v_dual_mov_b32 v0, v12 :: v_dual_and_b32 v13, 0xff, v12
	v_dual_mov_b32 v162, 0 :: v_dual_mov_b32 v161, 0
	s_mov_b32 s12, exec_lo
	v_cmpx_ne_u16_e32 0, v13
	s_cbranch_execz .LBB324_1963
; %bb.1956:                             ;   in Loop: Header=BB324_1064 Depth=1
	v_bfrev_b32_e32 v161, 1
	s_mov_b32 s13, exec_lo
	v_cmpx_ne_u16_e32 0x80, v13
	s_cbranch_execz .LBB324_1962
; %bb.1957:                             ;   in Loop: Header=BB324_1064 Depth=1
	v_and_b32_e32 v163, 0x7f, v12
	v_mov_b32_e32 v161, 0x7fc02000
	s_mov_b32 s15, exec_lo
	s_delay_alu instid0(VALU_DEP_2)
	v_cmpx_ne_u32_e32 0x7f, v163
	s_cbranch_execz .LBB324_1961
; %bb.1958:                             ;   in Loop: Header=BB324_1064 Depth=1
	v_dual_mov_b32 v14, v1 :: v_dual_mov_b32 v13, v0
	v_lshrrev_b32_e32 v14, 3, v163
	s_mov_b32 s16, exec_lo
	v_cmpx_gt_u32_e32 8, v163
; %bb.1959:                             ;   in Loop: Header=BB324_1064 Depth=1
	v_and_b32_e32 v13, 7, v12
	s_delay_alu instid0(VALU_DEP_1) | instskip(NEXT) | instid1(VALU_DEP_1)
	v_clz_i32_u32_e32 v13, v13
	v_min_u32_e32 v161, 32, v13
	s_delay_alu instid0(VALU_DEP_1) | instskip(NEXT) | instid1(VALU_DEP_1)
	v_subrev_nc_u32_e32 v13, 28, v161
	v_lshlrev_b64 v[13:14], v13, v[0:1]
	v_sub_nc_u32_e32 v14, 29, v161
; %bb.1960:                             ;   in Loop: Header=BB324_1064 Depth=1
	s_or_b32 exec_lo, exec_lo, s16
	v_lshlrev_b32_e32 v161, 8, v12
	s_delay_alu instid0(VALU_DEP_2) | instskip(NEXT) | instid1(VALU_DEP_4)
	v_lshl_add_u32 v14, v14, 10, 0x2000
	v_lshlrev_b32_e32 v13, 7, v13
	s_delay_alu instid0(VALU_DEP_2) | instskip(NEXT) | instid1(VALU_DEP_1)
	v_and_or_b32 v14, 0x8000, v161, v14
	v_and_or_b32 v13, 0x380, v13, v14
	s_delay_alu instid0(VALU_DEP_1)
	v_cvt_f32_f16_e64 v161, v13
.LBB324_1961:                           ;   in Loop: Header=BB324_1064 Depth=1
	s_or_b32 exec_lo, exec_lo, s15
.LBB324_1962:                           ;   in Loop: Header=BB324_1064 Depth=1
	s_delay_alu instid0(SALU_CYCLE_1)
	s_or_b32 exec_lo, exec_lo, s13
.LBB324_1963:                           ;   in Loop: Header=BB324_1064 Depth=1
	s_delay_alu instid0(SALU_CYCLE_1) | instskip(SKIP_2) | instid1(VALU_DEP_1)
	s_or_b32 exec_lo, exec_lo, s12
	v_lshrrev_b16 v0, 8, v0
	s_mov_b32 s12, exec_lo
	v_cmpx_ne_u16_e32 0, v0
	s_cbranch_execz .LBB324_1971
; %bb.1964:                             ;   in Loop: Header=BB324_1064 Depth=1
	v_bfrev_b32_e32 v162, 1
	s_mov_b32 s13, exec_lo
	v_cmpx_ne_u16_e32 0x80, v0
	s_cbranch_execz .LBB324_1970
; %bb.1965:                             ;   in Loop: Header=BB324_1064 Depth=1
	v_and_b32_e32 v163, 0xffff, v0
	v_mov_b32_e32 v162, 0x7fc02000
	s_mov_b32 s15, exec_lo
	s_delay_alu instid0(VALU_DEP_2) | instskip(NEXT) | instid1(VALU_DEP_1)
	v_and_b32_e32 v164, 0x7f, v163
	v_cmpx_ne_u32_e32 0x7f, v164
	s_cbranch_execz .LBB324_1969
; %bb.1966:                             ;   in Loop: Header=BB324_1064 Depth=1
	v_and_b32_e32 v0, 7, v163
	v_lshrrev_b32_e32 v162, 3, v164
	v_mov_b32_e32 v14, v1
	s_mov_b32 s16, exec_lo
	s_delay_alu instid0(VALU_DEP_3)
	v_mov_b32_e32 v13, v0
	v_cmpx_gt_u32_e32 8, v164
; %bb.1967:                             ;   in Loop: Header=BB324_1064 Depth=1
	v_clz_i32_u32_e32 v13, v0
	s_delay_alu instid0(VALU_DEP_1) | instskip(NEXT) | instid1(VALU_DEP_1)
	v_min_u32_e32 v162, 32, v13
	v_subrev_nc_u32_e32 v13, 28, v162
	v_sub_nc_u32_e32 v162, 29, v162
	s_delay_alu instid0(VALU_DEP_2) | instskip(NEXT) | instid1(VALU_DEP_1)
	v_lshlrev_b64 v[13:14], v13, v[0:1]
	v_and_b32_e32 v13, 7, v13
; %bb.1968:                             ;   in Loop: Header=BB324_1064 Depth=1
	s_or_b32 exec_lo, exec_lo, s16
	v_lshlrev_b32_e32 v0, 8, v163
	v_lshl_add_u32 v14, v162, 10, 0x2000
	s_delay_alu instid0(VALU_DEP_1) | instskip(NEXT) | instid1(VALU_DEP_1)
	v_and_or_b32 v0, 0x8000, v0, v14
	v_lshl_or_b32 v0, v13, 7, v0
	s_delay_alu instid0(VALU_DEP_1)
	v_cvt_f32_f16_e64 v162, v0
.LBB324_1969:                           ;   in Loop: Header=BB324_1064 Depth=1
	s_or_b32 exec_lo, exec_lo, s15
.LBB324_1970:                           ;   in Loop: Header=BB324_1064 Depth=1
	s_delay_alu instid0(SALU_CYCLE_1)
	s_or_b32 exec_lo, exec_lo, s13
.LBB324_1971:                           ;   in Loop: Header=BB324_1064 Depth=1
	s_delay_alu instid0(SALU_CYCLE_1) | instskip(SKIP_3) | instid1(VALU_DEP_2)
	s_or_b32 exec_lo, exec_lo, s12
	v_lshrrev_b32_e32 v164, 16, v12
	v_mov_b32_e32 v13, 0
	s_mov_b32 s12, exec_lo
	v_dual_mov_b32 v163, 0 :: v_dual_and_b32 v0, 0xff, v164
	s_delay_alu instid0(VALU_DEP_1)
	v_cmpx_ne_u16_e32 0, v0
	s_cbranch_execz .LBB324_1979
; %bb.1972:                             ;   in Loop: Header=BB324_1064 Depth=1
	v_bfrev_b32_e32 v13, 1
	s_mov_b32 s13, exec_lo
	v_cmpx_ne_u16_e32 0x80, v0
	s_cbranch_execz .LBB324_1978
; %bb.1973:                             ;   in Loop: Header=BB324_1064 Depth=1
	v_bfe_u32 v166, v12, 16, 7
	v_mov_b32_e32 v13, 0x7fc02000
	s_mov_b32 s15, exec_lo
	s_delay_alu instid0(VALU_DEP_2)
	v_cmpx_ne_u32_e32 0x7f, v166
	s_cbranch_execz .LBB324_1977
; %bb.1974:                             ;   in Loop: Header=BB324_1064 Depth=1
	v_and_b32_e32 v0, 7, v164
	v_lshrrev_b32_e32 v165, 3, v166
	v_mov_b32_e32 v14, v1
	s_mov_b32 s16, exec_lo
	s_delay_alu instid0(VALU_DEP_3)
	v_mov_b32_e32 v13, v0
	v_cmpx_gt_u32_e32 8, v166
; %bb.1975:                             ;   in Loop: Header=BB324_1064 Depth=1
	v_clz_i32_u32_e32 v13, v0
	s_delay_alu instid0(VALU_DEP_1) | instskip(NEXT) | instid1(VALU_DEP_1)
	v_min_u32_e32 v165, 32, v13
	v_subrev_nc_u32_e32 v13, 28, v165
	v_sub_nc_u32_e32 v165, 29, v165
	s_delay_alu instid0(VALU_DEP_2) | instskip(NEXT) | instid1(VALU_DEP_1)
	v_lshlrev_b64 v[13:14], v13, v[0:1]
	v_and_b32_e32 v13, 7, v13
; %bb.1976:                             ;   in Loop: Header=BB324_1064 Depth=1
	s_or_b32 exec_lo, exec_lo, s16
	v_lshlrev_b32_e32 v0, 8, v164
	v_lshl_add_u32 v14, v165, 10, 0x2000
	s_delay_alu instid0(VALU_DEP_1) | instskip(NEXT) | instid1(VALU_DEP_1)
	v_and_or_b32 v0, 0x8000, v0, v14
	v_lshl_or_b32 v0, v13, 7, v0
	s_delay_alu instid0(VALU_DEP_1)
	v_cvt_f32_f16_e32 v13, v0
.LBB324_1977:                           ;   in Loop: Header=BB324_1064 Depth=1
	s_or_b32 exec_lo, exec_lo, s15
.LBB324_1978:                           ;   in Loop: Header=BB324_1064 Depth=1
	s_delay_alu instid0(SALU_CYCLE_1)
	s_or_b32 exec_lo, exec_lo, s13
.LBB324_1979:                           ;   in Loop: Header=BB324_1064 Depth=1
	s_delay_alu instid0(SALU_CYCLE_1) | instskip(NEXT) | instid1(SALU_CYCLE_1)
	s_or_b32 exec_lo, exec_lo, s12
	s_mov_b32 s12, exec_lo
	v_cmpx_lt_u64_e64 s[8:9], v[11:12]
	s_cbranch_execz .LBB324_1987
; %bb.1980:                             ;   in Loop: Header=BB324_1064 Depth=1
	v_lshrrev_b32_e32 v14, 24, v12
	v_bfrev_b32_e32 v163, 1
	s_mov_b32 s13, exec_lo
	s_delay_alu instid0(VALU_DEP_2)
	v_cmpx_ne_u32_e32 0x80, v14
	s_cbranch_execz .LBB324_1986
; %bb.1981:                             ;   in Loop: Header=BB324_1064 Depth=1
	v_and_b32_e32 v164, 0x7f, v14
	v_mov_b32_e32 v163, 0x7fc02000
	s_mov_b32 s15, exec_lo
	s_delay_alu instid0(VALU_DEP_2)
	v_cmpx_ne_u32_e32 0x7f, v164
	s_cbranch_execz .LBB324_1985
; %bb.1982:                             ;   in Loop: Header=BB324_1064 Depth=1
	v_and_b32_e32 v0, 7, v14
	v_lshrrev_b32_e32 v163, 3, v164
	v_mov_b32_e32 v12, v1
	s_mov_b32 s16, exec_lo
	s_delay_alu instid0(VALU_DEP_3)
	v_mov_b32_e32 v11, v0
	v_cmpx_gt_u32_e32 8, v164
; %bb.1983:                             ;   in Loop: Header=BB324_1064 Depth=1
	v_clz_i32_u32_e32 v11, v0
	s_delay_alu instid0(VALU_DEP_1) | instskip(NEXT) | instid1(VALU_DEP_1)
	v_min_u32_e32 v163, 32, v11
	v_subrev_nc_u32_e32 v11, 28, v163
	v_sub_nc_u32_e32 v163, 29, v163
	s_delay_alu instid0(VALU_DEP_2) | instskip(NEXT) | instid1(VALU_DEP_1)
	v_lshlrev_b64 v[11:12], v11, v[0:1]
	v_and_b32_e32 v11, 7, v11
; %bb.1984:                             ;   in Loop: Header=BB324_1064 Depth=1
	s_or_b32 exec_lo, exec_lo, s16
	v_lshlrev_b32_e32 v0, 8, v14
	v_lshl_add_u32 v12, v163, 10, 0x2000
	s_delay_alu instid0(VALU_DEP_1) | instskip(NEXT) | instid1(VALU_DEP_1)
	v_and_or_b32 v0, 0x8000, v0, v12
	v_lshl_or_b32 v0, v11, 7, v0
	s_delay_alu instid0(VALU_DEP_1)
	v_cvt_f32_f16_e64 v163, v0
.LBB324_1985:                           ;   in Loop: Header=BB324_1064 Depth=1
	s_or_b32 exec_lo, exec_lo, s15
.LBB324_1986:                           ;   in Loop: Header=BB324_1064 Depth=1
	s_delay_alu instid0(SALU_CYCLE_1)
	s_or_b32 exec_lo, exec_lo, s13
.LBB324_1987:                           ;   in Loop: Header=BB324_1064 Depth=1
	s_delay_alu instid0(SALU_CYCLE_1)
	s_or_b32 exec_lo, exec_lo, s12
	s_waitcnt vmcnt(0) lgkmcnt(0)
	v_fma_mixlo_f16 v12, v148, v150, 0
	v_fma_mixlo_f16 v0, v148, v160, 0
	;; [unrolled: 1-line block ×5, first 2 shown]
	v_lshlrev_b32_e32 v14, 16, v12
	v_fma_mixlo_f16 v151, v148, v161, 0
	v_fma_mixlo_f16 v160, v148, v163, 0
	v_fma_mixlo_f16 v12, v148, v13, 0
	v_lshlrev_b32_e32 v0, 16, v0
	v_and_b32_e32 v11, 0xffff, v11
	v_and_b32_e32 v148, 0xffff, v149
	v_lshlrev_b32_e32 v149, 16, v150
	v_and_b32_e32 v150, 0xffff, v151
	v_lshlrev_b32_e32 v151, 16, v160
	v_and_b32_e32 v160, 0xffff, v12
	v_or_b32_e32 v13, v0, v11
	v_or_b32_e32 v14, v14, v148
	;; [unrolled: 1-line block ×3, first 2 shown]
	s_delay_alu instid0(VALU_DEP_4)
	v_or_b32_e32 v11, v151, v160
	s_and_saveexec_b32 s12, vcc_lo
	s_cbranch_execz .LBB324_1989
; %bb.1988:                             ;   in Loop: Header=BB324_1064 Depth=1
	v_cmp_lt_i32_e64 s1, v18, v38
	v_lshrrev_b32_e32 v148, 16, v14
	v_lshrrev_b32_e32 v149, 16, v13
	;; [unrolled: 1-line block ×4, first 2 shown]
	v_cndmask_b32_e64 v14, 0, v14, s1
	v_cmp_lt_i32_e64 s1, v99, v53
	s_delay_alu instid0(VALU_DEP_1) | instskip(SKIP_1) | instid1(VALU_DEP_2)
	v_cndmask_b32_e64 v148, 0, v148, s1
	v_cmp_lt_i32_e64 s1, v98, v53
	v_perm_b32 v14, v148, v14, 0x5040100
	s_delay_alu instid0(VALU_DEP_2) | instskip(SKIP_1) | instid1(VALU_DEP_1)
	v_cndmask_b32_e64 v149, 0, v149, s1
	v_cmp_lt_i32_e64 s1, v96, v38
	v_cndmask_b32_e64 v13, 0, v13, s1
	v_cmp_lt_i32_e64 s1, v84, v53
	s_delay_alu instid0(VALU_DEP_2) | instskip(NEXT) | instid1(VALU_DEP_2)
	v_perm_b32 v13, v149, v13, 0x5040100
	v_cndmask_b32_e64 v150, 0, v150, s1
	v_cmp_lt_i32_e64 s1, v83, v38
	s_delay_alu instid0(VALU_DEP_1) | instskip(SKIP_1) | instid1(VALU_DEP_2)
	v_cndmask_b32_e64 v0, 0, v0, s1
	v_cmp_lt_i32_e64 s1, v81, v53
	v_perm_b32 v0, v150, v0, 0x5040100
	s_delay_alu instid0(VALU_DEP_2) | instskip(SKIP_1) | instid1(VALU_DEP_1)
	v_cndmask_b32_e64 v11, 0, v11, s1
	v_cmp_lt_i32_e64 s1, v19, v38
	v_cndmask_b32_e64 v12, 0, v12, s1
	s_delay_alu instid0(VALU_DEP_1)
	v_perm_b32 v11, v11, v12, 0x5040100
.LBB324_1989:                           ;   in Loop: Header=BB324_1064 Depth=1
	s_or_b32 exec_lo, exec_lo, s12
	;;#ASMSTART
	v_pk_mul_f16 v12, v97, v14;

	;;#ASMEND
	;;#ASMSTART
	v_pk_mul_f16 v13, v87, v13;

	;;#ASMEND
	;; [unrolled: 4-line block ×4, first 2 shown]
	;;#ASMSTART
	v_pk_add_f16 v12, v12, v13;

	;;#ASMEND
	;;#ASMSTART
	v_pk_add_f16 v0, v12, v0;

	;;#ASMEND
	;; [unrolled: 4-line block ×3, first 2 shown]
	v_dual_mov_b32 v160, 0 :: v_dual_and_b32 v11, 0xffff, v0
	v_lshrrev_b32_e32 v0, 16, v0
	;;#ASMSTART
	v_cvt_f32_f16 v148, v11;
	;;#ASMEND
	;;#ASMSTART
	v_cvt_f32_f16 v149, v0;
	;;#ASMEND
	flat_load_b64 v[11:12], v[9:10] offset:3584
	flat_load_b32 v150, v[26:27]
	s_mov_b32 s12, exec_lo
	s_waitcnt vmcnt(1) lgkmcnt(1)
	v_dual_mov_b32 v151, 0 :: v_dual_and_b32 v0, 0xff, v11
	s_delay_alu instid0(VALU_DEP_1)
	v_cmpx_ne_u16_e32 0, v0
	s_cbranch_execz .LBB324_1997
; %bb.1990:                             ;   in Loop: Header=BB324_1064 Depth=1
	v_bfrev_b32_e32 v151, 1
	s_mov_b32 s13, exec_lo
	v_cmpx_ne_u16_e32 0x80, v0
	s_cbranch_execz .LBB324_1996
; %bb.1991:                             ;   in Loop: Header=BB324_1064 Depth=1
	v_and_b32_e32 v13, 0x7f, v11
	v_mov_b32_e32 v151, 0x7fc02000
	s_mov_b32 s15, exec_lo
	s_delay_alu instid0(VALU_DEP_2)
	v_cmpx_ne_u32_e32 0x7f, v13
	s_cbranch_execz .LBB324_1995
; %bb.1992:                             ;   in Loop: Header=BB324_1064 Depth=1
	v_lshrrev_b32_e32 v0, 3, v13
	v_cmp_gt_u32_e64 s1, 8, v13
	v_dual_mov_b32 v14, v12 :: v_dual_mov_b32 v13, v11
	s_delay_alu instid0(VALU_DEP_2)
	s_and_saveexec_b32 s16, s1
; %bb.1993:                             ;   in Loop: Header=BB324_1064 Depth=1
	v_and_b32_e32 v0, 7, v11
	s_delay_alu instid0(VALU_DEP_1) | instskip(NEXT) | instid1(VALU_DEP_1)
	v_clz_i32_u32_e32 v0, v0
	v_min_u32_e32 v0, 32, v0
	s_delay_alu instid0(VALU_DEP_1) | instskip(SKIP_1) | instid1(VALU_DEP_2)
	v_subrev_nc_u32_e32 v13, 28, v0
	v_sub_nc_u32_e32 v0, 29, v0
	v_lshlrev_b64 v[13:14], v13, v[11:12]
; %bb.1994:                             ;   in Loop: Header=BB324_1064 Depth=1
	s_or_b32 exec_lo, exec_lo, s16
	v_lshlrev_b32_e32 v14, 8, v11
	s_delay_alu instid0(VALU_DEP_3) | instskip(NEXT) | instid1(VALU_DEP_3)
	v_lshl_add_u32 v0, v0, 10, 0x2000
	v_lshlrev_b32_e32 v13, 7, v13
	s_delay_alu instid0(VALU_DEP_2) | instskip(NEXT) | instid1(VALU_DEP_1)
	v_and_or_b32 v0, 0x8000, v14, v0
	v_and_or_b32 v0, 0x380, v13, v0
	s_delay_alu instid0(VALU_DEP_1)
	v_cvt_f32_f16_e64 v151, v0
.LBB324_1995:                           ;   in Loop: Header=BB324_1064 Depth=1
	s_or_b32 exec_lo, exec_lo, s15
.LBB324_1996:                           ;   in Loop: Header=BB324_1064 Depth=1
	s_delay_alu instid0(SALU_CYCLE_1)
	s_or_b32 exec_lo, exec_lo, s13
.LBB324_1997:                           ;   in Loop: Header=BB324_1064 Depth=1
	s_delay_alu instid0(SALU_CYCLE_1) | instskip(SKIP_2) | instid1(VALU_DEP_1)
	s_or_b32 exec_lo, exec_lo, s12
	v_lshrrev_b16 v0, 8, v11
	s_mov_b32 s12, exec_lo
	v_cmpx_ne_u16_e32 0, v0
	s_cbranch_execz .LBB324_2005
; %bb.1998:                             ;   in Loop: Header=BB324_1064 Depth=1
	v_bfrev_b32_e32 v160, 1
	s_mov_b32 s13, exec_lo
	v_cmpx_ne_u16_e32 0x80, v0
	s_cbranch_execz .LBB324_2004
; %bb.1999:                             ;   in Loop: Header=BB324_1064 Depth=1
	v_and_b32_e32 v161, 0xffff, v0
	v_mov_b32_e32 v160, 0x7fc02000
	s_mov_b32 s15, exec_lo
	s_delay_alu instid0(VALU_DEP_2) | instskip(NEXT) | instid1(VALU_DEP_1)
	v_and_b32_e32 v162, 0x7f, v161
	v_cmpx_ne_u32_e32 0x7f, v162
	s_cbranch_execz .LBB324_2003
; %bb.2000:                             ;   in Loop: Header=BB324_1064 Depth=1
	v_and_b32_e32 v0, 7, v161
	v_lshrrev_b32_e32 v160, 3, v162
	v_mov_b32_e32 v14, v1
	s_mov_b32 s16, exec_lo
	s_delay_alu instid0(VALU_DEP_3)
	v_mov_b32_e32 v13, v0
	v_cmpx_gt_u32_e32 8, v162
; %bb.2001:                             ;   in Loop: Header=BB324_1064 Depth=1
	v_clz_i32_u32_e32 v13, v0
	s_delay_alu instid0(VALU_DEP_1) | instskip(NEXT) | instid1(VALU_DEP_1)
	v_min_u32_e32 v160, 32, v13
	v_subrev_nc_u32_e32 v13, 28, v160
	v_sub_nc_u32_e32 v160, 29, v160
	s_delay_alu instid0(VALU_DEP_2) | instskip(NEXT) | instid1(VALU_DEP_1)
	v_lshlrev_b64 v[13:14], v13, v[0:1]
	v_and_b32_e32 v13, 7, v13
; %bb.2002:                             ;   in Loop: Header=BB324_1064 Depth=1
	s_or_b32 exec_lo, exec_lo, s16
	v_lshlrev_b32_e32 v0, 8, v161
	v_lshl_add_u32 v14, v160, 10, 0x2000
	s_delay_alu instid0(VALU_DEP_1) | instskip(NEXT) | instid1(VALU_DEP_1)
	v_and_or_b32 v0, 0x8000, v0, v14
	v_lshl_or_b32 v0, v13, 7, v0
	s_delay_alu instid0(VALU_DEP_1)
	v_cvt_f32_f16_e64 v160, v0
.LBB324_2003:                           ;   in Loop: Header=BB324_1064 Depth=1
	s_or_b32 exec_lo, exec_lo, s15
.LBB324_2004:                           ;   in Loop: Header=BB324_1064 Depth=1
	s_delay_alu instid0(SALU_CYCLE_1)
	s_or_b32 exec_lo, exec_lo, s13
.LBB324_2005:                           ;   in Loop: Header=BB324_1064 Depth=1
	s_delay_alu instid0(SALU_CYCLE_1) | instskip(SKIP_3) | instid1(VALU_DEP_2)
	s_or_b32 exec_lo, exec_lo, s12
	v_lshrrev_b32_e32 v163, 16, v11
	v_mov_b32_e32 v162, 0
	s_mov_b32 s12, exec_lo
	v_dual_mov_b32 v161, 0 :: v_dual_and_b32 v0, 0xff, v163
	s_delay_alu instid0(VALU_DEP_1)
	v_cmpx_ne_u16_e32 0, v0
	s_cbranch_execz .LBB324_2013
; %bb.2006:                             ;   in Loop: Header=BB324_1064 Depth=1
	v_bfrev_b32_e32 v161, 1
	s_mov_b32 s13, exec_lo
	v_cmpx_ne_u16_e32 0x80, v0
	s_cbranch_execz .LBB324_2012
; %bb.2007:                             ;   in Loop: Header=BB324_1064 Depth=1
	v_bfe_u32 v164, v11, 16, 7
	v_mov_b32_e32 v161, 0x7fc02000
	s_mov_b32 s15, exec_lo
	s_delay_alu instid0(VALU_DEP_2)
	v_cmpx_ne_u32_e32 0x7f, v164
	s_cbranch_execz .LBB324_2011
; %bb.2008:                             ;   in Loop: Header=BB324_1064 Depth=1
	v_and_b32_e32 v0, 7, v163
	v_lshrrev_b32_e32 v161, 3, v164
	v_mov_b32_e32 v14, v1
	s_mov_b32 s16, exec_lo
	s_delay_alu instid0(VALU_DEP_3)
	v_mov_b32_e32 v13, v0
	v_cmpx_gt_u32_e32 8, v164
; %bb.2009:                             ;   in Loop: Header=BB324_1064 Depth=1
	v_clz_i32_u32_e32 v13, v0
	s_delay_alu instid0(VALU_DEP_1) | instskip(NEXT) | instid1(VALU_DEP_1)
	v_min_u32_e32 v161, 32, v13
	v_subrev_nc_u32_e32 v13, 28, v161
	v_sub_nc_u32_e32 v161, 29, v161
	s_delay_alu instid0(VALU_DEP_2) | instskip(NEXT) | instid1(VALU_DEP_1)
	v_lshlrev_b64 v[13:14], v13, v[0:1]
	v_and_b32_e32 v13, 7, v13
; %bb.2010:                             ;   in Loop: Header=BB324_1064 Depth=1
	s_or_b32 exec_lo, exec_lo, s16
	v_lshlrev_b32_e32 v0, 8, v163
	v_lshl_add_u32 v14, v161, 10, 0x2000
	s_delay_alu instid0(VALU_DEP_1) | instskip(NEXT) | instid1(VALU_DEP_1)
	v_and_or_b32 v0, 0x8000, v0, v14
	v_lshl_or_b32 v0, v13, 7, v0
	s_delay_alu instid0(VALU_DEP_1)
	v_cvt_f32_f16_e64 v161, v0
.LBB324_2011:                           ;   in Loop: Header=BB324_1064 Depth=1
	s_or_b32 exec_lo, exec_lo, s15
.LBB324_2012:                           ;   in Loop: Header=BB324_1064 Depth=1
	s_delay_alu instid0(SALU_CYCLE_1)
	s_or_b32 exec_lo, exec_lo, s13
.LBB324_2013:                           ;   in Loop: Header=BB324_1064 Depth=1
	s_delay_alu instid0(SALU_CYCLE_1) | instskip(NEXT) | instid1(SALU_CYCLE_1)
	s_or_b32 exec_lo, exec_lo, s12
	s_mov_b32 s12, exec_lo
	v_cmpx_lt_u32_e32 0xffffff, v11
	s_cbranch_execz .LBB324_2021
; %bb.2014:                             ;   in Loop: Header=BB324_1064 Depth=1
	v_lshrrev_b32_e32 v163, 24, v11
	v_bfrev_b32_e32 v162, 1
	s_mov_b32 s13, exec_lo
	s_delay_alu instid0(VALU_DEP_2)
	v_cmpx_ne_u32_e32 0x80, v163
	s_cbranch_execz .LBB324_2020
; %bb.2015:                             ;   in Loop: Header=BB324_1064 Depth=1
	v_and_b32_e32 v164, 0x7f, v163
	v_mov_b32_e32 v162, 0x7fc02000
	s_mov_b32 s15, exec_lo
	s_delay_alu instid0(VALU_DEP_2)
	v_cmpx_ne_u32_e32 0x7f, v164
	s_cbranch_execz .LBB324_2019
; %bb.2016:                             ;   in Loop: Header=BB324_1064 Depth=1
	v_and_b32_e32 v0, 7, v163
	v_lshrrev_b32_e32 v162, 3, v164
	v_mov_b32_e32 v14, v1
	s_mov_b32 s16, exec_lo
	s_delay_alu instid0(VALU_DEP_3)
	v_mov_b32_e32 v13, v0
	v_cmpx_gt_u32_e32 8, v164
; %bb.2017:                             ;   in Loop: Header=BB324_1064 Depth=1
	v_clz_i32_u32_e32 v13, v0
	s_delay_alu instid0(VALU_DEP_1) | instskip(NEXT) | instid1(VALU_DEP_1)
	v_min_u32_e32 v162, 32, v13
	v_subrev_nc_u32_e32 v13, 28, v162
	v_sub_nc_u32_e32 v162, 29, v162
	s_delay_alu instid0(VALU_DEP_2) | instskip(NEXT) | instid1(VALU_DEP_1)
	v_lshlrev_b64 v[13:14], v13, v[0:1]
	v_and_b32_e32 v13, 7, v13
; %bb.2018:                             ;   in Loop: Header=BB324_1064 Depth=1
	s_or_b32 exec_lo, exec_lo, s16
	v_lshlrev_b32_e32 v0, 8, v163
	v_lshl_add_u32 v14, v162, 10, 0x2000
	s_delay_alu instid0(VALU_DEP_1) | instskip(NEXT) | instid1(VALU_DEP_1)
	v_and_or_b32 v0, 0x8000, v0, v14
	v_lshl_or_b32 v0, v13, 7, v0
	s_delay_alu instid0(VALU_DEP_1)
	v_cvt_f32_f16_e64 v162, v0
.LBB324_2019:                           ;   in Loop: Header=BB324_1064 Depth=1
	s_or_b32 exec_lo, exec_lo, s15
.LBB324_2020:                           ;   in Loop: Header=BB324_1064 Depth=1
	s_delay_alu instid0(SALU_CYCLE_1)
	s_or_b32 exec_lo, exec_lo, s13
.LBB324_2021:                           ;   in Loop: Header=BB324_1064 Depth=1
	s_delay_alu instid0(SALU_CYCLE_1) | instskip(SKIP_3) | instid1(VALU_DEP_2)
	s_or_b32 exec_lo, exec_lo, s12
	v_dual_mov_b32 v0, v12 :: v_dual_and_b32 v13, 0xff, v12
	v_dual_mov_b32 v164, 0 :: v_dual_mov_b32 v163, 0
	s_mov_b32 s12, exec_lo
	v_cmpx_ne_u16_e32 0, v13
	s_cbranch_execz .LBB324_2029
; %bb.2022:                             ;   in Loop: Header=BB324_1064 Depth=1
	v_bfrev_b32_e32 v163, 1
	s_mov_b32 s13, exec_lo
	v_cmpx_ne_u16_e32 0x80, v13
	s_cbranch_execz .LBB324_2028
; %bb.2023:                             ;   in Loop: Header=BB324_1064 Depth=1
	v_and_b32_e32 v165, 0x7f, v12
	v_mov_b32_e32 v163, 0x7fc02000
	s_mov_b32 s15, exec_lo
	s_delay_alu instid0(VALU_DEP_2)
	v_cmpx_ne_u32_e32 0x7f, v165
	s_cbranch_execz .LBB324_2027
; %bb.2024:                             ;   in Loop: Header=BB324_1064 Depth=1
	v_dual_mov_b32 v14, v1 :: v_dual_mov_b32 v13, v0
	v_lshrrev_b32_e32 v14, 3, v165
	s_mov_b32 s16, exec_lo
	v_cmpx_gt_u32_e32 8, v165
; %bb.2025:                             ;   in Loop: Header=BB324_1064 Depth=1
	v_and_b32_e32 v13, 7, v12
	s_delay_alu instid0(VALU_DEP_1) | instskip(NEXT) | instid1(VALU_DEP_1)
	v_clz_i32_u32_e32 v13, v13
	v_min_u32_e32 v163, 32, v13
	s_delay_alu instid0(VALU_DEP_1) | instskip(NEXT) | instid1(VALU_DEP_1)
	v_subrev_nc_u32_e32 v13, 28, v163
	v_lshlrev_b64 v[13:14], v13, v[0:1]
	v_sub_nc_u32_e32 v14, 29, v163
; %bb.2026:                             ;   in Loop: Header=BB324_1064 Depth=1
	s_or_b32 exec_lo, exec_lo, s16
	v_lshlrev_b32_e32 v163, 8, v12
	s_delay_alu instid0(VALU_DEP_2) | instskip(NEXT) | instid1(VALU_DEP_4)
	v_lshl_add_u32 v14, v14, 10, 0x2000
	v_lshlrev_b32_e32 v13, 7, v13
	s_delay_alu instid0(VALU_DEP_2) | instskip(NEXT) | instid1(VALU_DEP_1)
	v_and_or_b32 v14, 0x8000, v163, v14
	v_and_or_b32 v13, 0x380, v13, v14
	s_delay_alu instid0(VALU_DEP_1)
	v_cvt_f32_f16_e64 v163, v13
.LBB324_2027:                           ;   in Loop: Header=BB324_1064 Depth=1
	s_or_b32 exec_lo, exec_lo, s15
.LBB324_2028:                           ;   in Loop: Header=BB324_1064 Depth=1
	s_delay_alu instid0(SALU_CYCLE_1)
	s_or_b32 exec_lo, exec_lo, s13
.LBB324_2029:                           ;   in Loop: Header=BB324_1064 Depth=1
	s_delay_alu instid0(SALU_CYCLE_1) | instskip(SKIP_2) | instid1(VALU_DEP_1)
	s_or_b32 exec_lo, exec_lo, s12
	v_lshrrev_b16 v0, 8, v0
	s_mov_b32 s12, exec_lo
	v_cmpx_ne_u16_e32 0, v0
	s_cbranch_execz .LBB324_2037
; %bb.2030:                             ;   in Loop: Header=BB324_1064 Depth=1
	v_bfrev_b32_e32 v164, 1
	s_mov_b32 s13, exec_lo
	v_cmpx_ne_u16_e32 0x80, v0
	s_cbranch_execz .LBB324_2036
; %bb.2031:                             ;   in Loop: Header=BB324_1064 Depth=1
	v_and_b32_e32 v165, 0xffff, v0
	v_mov_b32_e32 v164, 0x7fc02000
	s_mov_b32 s15, exec_lo
	s_delay_alu instid0(VALU_DEP_2) | instskip(NEXT) | instid1(VALU_DEP_1)
	v_and_b32_e32 v166, 0x7f, v165
	v_cmpx_ne_u32_e32 0x7f, v166
	s_cbranch_execz .LBB324_2035
; %bb.2032:                             ;   in Loop: Header=BB324_1064 Depth=1
	v_and_b32_e32 v0, 7, v165
	v_lshrrev_b32_e32 v164, 3, v166
	v_mov_b32_e32 v14, v1
	s_mov_b32 s16, exec_lo
	s_delay_alu instid0(VALU_DEP_3)
	v_mov_b32_e32 v13, v0
	v_cmpx_gt_u32_e32 8, v166
; %bb.2033:                             ;   in Loop: Header=BB324_1064 Depth=1
	v_clz_i32_u32_e32 v13, v0
	s_delay_alu instid0(VALU_DEP_1) | instskip(NEXT) | instid1(VALU_DEP_1)
	v_min_u32_e32 v164, 32, v13
	v_subrev_nc_u32_e32 v13, 28, v164
	v_sub_nc_u32_e32 v164, 29, v164
	s_delay_alu instid0(VALU_DEP_2) | instskip(NEXT) | instid1(VALU_DEP_1)
	v_lshlrev_b64 v[13:14], v13, v[0:1]
	v_and_b32_e32 v13, 7, v13
; %bb.2034:                             ;   in Loop: Header=BB324_1064 Depth=1
	s_or_b32 exec_lo, exec_lo, s16
	v_lshlrev_b32_e32 v0, 8, v165
	v_lshl_add_u32 v14, v164, 10, 0x2000
	s_delay_alu instid0(VALU_DEP_1) | instskip(NEXT) | instid1(VALU_DEP_1)
	v_and_or_b32 v0, 0x8000, v0, v14
	v_lshl_or_b32 v0, v13, 7, v0
	s_delay_alu instid0(VALU_DEP_1)
	v_cvt_f32_f16_e64 v164, v0
.LBB324_2035:                           ;   in Loop: Header=BB324_1064 Depth=1
	s_or_b32 exec_lo, exec_lo, s15
.LBB324_2036:                           ;   in Loop: Header=BB324_1064 Depth=1
	s_delay_alu instid0(SALU_CYCLE_1)
	s_or_b32 exec_lo, exec_lo, s13
.LBB324_2037:                           ;   in Loop: Header=BB324_1064 Depth=1
	s_delay_alu instid0(SALU_CYCLE_1) | instskip(SKIP_3) | instid1(VALU_DEP_2)
	s_or_b32 exec_lo, exec_lo, s12
	v_lshrrev_b32_e32 v166, 16, v12
	v_mov_b32_e32 v13, 0
	s_mov_b32 s12, exec_lo
	v_dual_mov_b32 v165, 0 :: v_dual_and_b32 v0, 0xff, v166
	s_delay_alu instid0(VALU_DEP_1)
	v_cmpx_ne_u16_e32 0, v0
	s_cbranch_execz .LBB324_2045
; %bb.2038:                             ;   in Loop: Header=BB324_1064 Depth=1
	v_bfrev_b32_e32 v13, 1
	s_mov_b32 s13, exec_lo
	v_cmpx_ne_u16_e32 0x80, v0
	s_cbranch_execz .LBB324_2044
; %bb.2039:                             ;   in Loop: Header=BB324_1064 Depth=1
	v_bfe_u32 v176, v12, 16, 7
	v_mov_b32_e32 v13, 0x7fc02000
	s_mov_b32 s15, exec_lo
	s_delay_alu instid0(VALU_DEP_2)
	v_cmpx_ne_u32_e32 0x7f, v176
	s_cbranch_execz .LBB324_2043
; %bb.2040:                             ;   in Loop: Header=BB324_1064 Depth=1
	v_and_b32_e32 v0, 7, v166
	v_lshrrev_b32_e32 v167, 3, v176
	v_mov_b32_e32 v14, v1
	s_mov_b32 s16, exec_lo
	s_delay_alu instid0(VALU_DEP_3)
	v_mov_b32_e32 v13, v0
	v_cmpx_gt_u32_e32 8, v176
; %bb.2041:                             ;   in Loop: Header=BB324_1064 Depth=1
	v_clz_i32_u32_e32 v13, v0
	s_delay_alu instid0(VALU_DEP_1) | instskip(NEXT) | instid1(VALU_DEP_1)
	v_min_u32_e32 v167, 32, v13
	v_subrev_nc_u32_e32 v13, 28, v167
	v_sub_nc_u32_e32 v167, 29, v167
	s_delay_alu instid0(VALU_DEP_2) | instskip(NEXT) | instid1(VALU_DEP_1)
	v_lshlrev_b64 v[13:14], v13, v[0:1]
	v_and_b32_e32 v13, 7, v13
; %bb.2042:                             ;   in Loop: Header=BB324_1064 Depth=1
	s_or_b32 exec_lo, exec_lo, s16
	v_lshlrev_b32_e32 v0, 8, v166
	v_lshl_add_u32 v14, v167, 10, 0x2000
	s_delay_alu instid0(VALU_DEP_1) | instskip(NEXT) | instid1(VALU_DEP_1)
	v_and_or_b32 v0, 0x8000, v0, v14
	v_lshl_or_b32 v0, v13, 7, v0
	s_delay_alu instid0(VALU_DEP_1)
	v_cvt_f32_f16_e32 v13, v0
.LBB324_2043:                           ;   in Loop: Header=BB324_1064 Depth=1
	s_or_b32 exec_lo, exec_lo, s15
.LBB324_2044:                           ;   in Loop: Header=BB324_1064 Depth=1
	s_delay_alu instid0(SALU_CYCLE_1)
	s_or_b32 exec_lo, exec_lo, s13
.LBB324_2045:                           ;   in Loop: Header=BB324_1064 Depth=1
	s_delay_alu instid0(SALU_CYCLE_1) | instskip(NEXT) | instid1(SALU_CYCLE_1)
	s_or_b32 exec_lo, exec_lo, s12
	s_mov_b32 s12, exec_lo
	v_cmpx_lt_u64_e64 s[8:9], v[11:12]
	s_cbranch_execz .LBB324_2053
; %bb.2046:                             ;   in Loop: Header=BB324_1064 Depth=1
	v_lshrrev_b32_e32 v14, 24, v12
	v_bfrev_b32_e32 v165, 1
	s_mov_b32 s13, exec_lo
	s_delay_alu instid0(VALU_DEP_2)
	v_cmpx_ne_u32_e32 0x80, v14
	s_cbranch_execz .LBB324_2052
; %bb.2047:                             ;   in Loop: Header=BB324_1064 Depth=1
	v_and_b32_e32 v166, 0x7f, v14
	v_mov_b32_e32 v165, 0x7fc02000
	s_mov_b32 s15, exec_lo
	s_delay_alu instid0(VALU_DEP_2)
	v_cmpx_ne_u32_e32 0x7f, v166
	s_cbranch_execz .LBB324_2051
; %bb.2048:                             ;   in Loop: Header=BB324_1064 Depth=1
	v_and_b32_e32 v0, 7, v14
	v_lshrrev_b32_e32 v165, 3, v166
	v_mov_b32_e32 v12, v1
	s_mov_b32 s16, exec_lo
	s_delay_alu instid0(VALU_DEP_3)
	v_mov_b32_e32 v11, v0
	v_cmpx_gt_u32_e32 8, v166
; %bb.2049:                             ;   in Loop: Header=BB324_1064 Depth=1
	v_clz_i32_u32_e32 v11, v0
	s_delay_alu instid0(VALU_DEP_1) | instskip(NEXT) | instid1(VALU_DEP_1)
	v_min_u32_e32 v165, 32, v11
	v_subrev_nc_u32_e32 v11, 28, v165
	v_sub_nc_u32_e32 v165, 29, v165
	s_delay_alu instid0(VALU_DEP_2) | instskip(NEXT) | instid1(VALU_DEP_1)
	v_lshlrev_b64 v[11:12], v11, v[0:1]
	v_and_b32_e32 v11, 7, v11
; %bb.2050:                             ;   in Loop: Header=BB324_1064 Depth=1
	s_or_b32 exec_lo, exec_lo, s16
	v_lshlrev_b32_e32 v0, 8, v14
	v_lshl_add_u32 v12, v165, 10, 0x2000
	s_delay_alu instid0(VALU_DEP_1) | instskip(NEXT) | instid1(VALU_DEP_1)
	v_and_or_b32 v0, 0x8000, v0, v12
	v_lshl_or_b32 v0, v11, 7, v0
	s_delay_alu instid0(VALU_DEP_1)
	v_cvt_f32_f16_e64 v165, v0
.LBB324_2051:                           ;   in Loop: Header=BB324_1064 Depth=1
	s_or_b32 exec_lo, exec_lo, s15
.LBB324_2052:                           ;   in Loop: Header=BB324_1064 Depth=1
	s_delay_alu instid0(SALU_CYCLE_1)
	s_or_b32 exec_lo, exec_lo, s13
.LBB324_2053:                           ;   in Loop: Header=BB324_1064 Depth=1
	s_delay_alu instid0(SALU_CYCLE_1)
	s_or_b32 exec_lo, exec_lo, s12
	s_waitcnt vmcnt(0) lgkmcnt(0)
	v_fma_mixlo_f16 v12, v150, v160, 0
	v_fma_mixlo_f16 v0, v150, v162, 0
	;; [unrolled: 1-line block ×5, first 2 shown]
	v_lshlrev_b32_e32 v14, 16, v12
	v_fma_mixlo_f16 v161, v150, v163, 0
	v_fma_mixlo_f16 v162, v150, v165, 0
	;; [unrolled: 1-line block ×3, first 2 shown]
	v_lshlrev_b32_e32 v0, 16, v0
	v_and_b32_e32 v11, 0xffff, v11
	v_and_b32_e32 v150, 0xffff, v151
	v_lshlrev_b32_e32 v151, 16, v160
	v_and_b32_e32 v160, 0xffff, v161
	v_lshlrev_b32_e32 v161, 16, v162
	v_and_b32_e32 v162, 0xffff, v12
	v_or_b32_e32 v13, v0, v11
	v_or_b32_e32 v14, v14, v150
	;; [unrolled: 1-line block ×3, first 2 shown]
	s_delay_alu instid0(VALU_DEP_4)
	v_or_b32_e32 v11, v161, v162
	s_and_saveexec_b32 s12, vcc_lo
	s_cbranch_execz .LBB324_2055
; %bb.2054:                             ;   in Loop: Header=BB324_1064 Depth=1
	v_cmp_lt_i32_e64 s1, v18, v38
	v_lshrrev_b32_e32 v150, 16, v14
	v_lshrrev_b32_e32 v151, 16, v13
	;; [unrolled: 1-line block ×4, first 2 shown]
	v_cndmask_b32_e64 v14, 0, v14, s1
	v_cmp_lt_i32_e64 s1, v99, v53
	s_delay_alu instid0(VALU_DEP_1) | instskip(SKIP_1) | instid1(VALU_DEP_2)
	v_cndmask_b32_e64 v150, 0, v150, s1
	v_cmp_lt_i32_e64 s1, v98, v53
	v_perm_b32 v14, v150, v14, 0x5040100
	s_delay_alu instid0(VALU_DEP_2) | instskip(SKIP_1) | instid1(VALU_DEP_1)
	v_cndmask_b32_e64 v151, 0, v151, s1
	v_cmp_lt_i32_e64 s1, v96, v38
	v_cndmask_b32_e64 v13, 0, v13, s1
	v_cmp_lt_i32_e64 s1, v84, v53
	s_delay_alu instid0(VALU_DEP_2) | instskip(NEXT) | instid1(VALU_DEP_2)
	v_perm_b32 v13, v151, v13, 0x5040100
	v_cndmask_b32_e64 v160, 0, v160, s1
	v_cmp_lt_i32_e64 s1, v83, v38
	s_delay_alu instid0(VALU_DEP_1) | instskip(SKIP_1) | instid1(VALU_DEP_2)
	v_cndmask_b32_e64 v0, 0, v0, s1
	v_cmp_lt_i32_e64 s1, v81, v53
	v_perm_b32 v0, v160, v0, 0x5040100
	s_delay_alu instid0(VALU_DEP_2) | instskip(SKIP_1) | instid1(VALU_DEP_1)
	v_cndmask_b32_e64 v11, 0, v11, s1
	v_cmp_lt_i32_e64 s1, v19, v38
	v_cndmask_b32_e64 v12, 0, v12, s1
	s_delay_alu instid0(VALU_DEP_1)
	v_perm_b32 v11, v11, v12, 0x5040100
.LBB324_2055:                           ;   in Loop: Header=BB324_1064 Depth=1
	s_or_b32 exec_lo, exec_lo, s12
	;;#ASMSTART
	v_pk_mul_f16 v12, v97, v14;

	;;#ASMEND
	;;#ASMSTART
	v_pk_mul_f16 v13, v87, v13;

	;;#ASMEND
	;; [unrolled: 4-line block ×4, first 2 shown]
	;;#ASMSTART
	v_pk_add_f16 v12, v12, v13;

	;;#ASMEND
	;;#ASMSTART
	v_pk_add_f16 v0, v12, v0;

	;;#ASMEND
	;; [unrolled: 4-line block ×3, first 2 shown]
	v_dual_mov_b32 v160, 0 :: v_dual_and_b32 v11, 0xffff, v0
	v_lshrrev_b32_e32 v0, 16, v0
	;;#ASMSTART
	v_cvt_f32_f16 v13, v11;
	;;#ASMEND
	;;#ASMSTART
	v_cvt_f32_f16 v14, v0;
	;;#ASMEND
	flat_load_b64 v[9:10], v[9:10] offset:3840
	flat_load_b32 v150, v[26:27]
	s_mov_b32 s12, exec_lo
	s_waitcnt vmcnt(1) lgkmcnt(1)
	v_dual_mov_b32 v151, 0 :: v_dual_and_b32 v0, 0xff, v9
	s_delay_alu instid0(VALU_DEP_1)
	v_cmpx_ne_u16_e32 0, v0
	s_cbranch_execz .LBB324_2063
; %bb.2056:                             ;   in Loop: Header=BB324_1064 Depth=1
	v_bfrev_b32_e32 v151, 1
	s_mov_b32 s13, exec_lo
	v_cmpx_ne_u16_e32 0x80, v0
	s_cbranch_execz .LBB324_2062
; %bb.2057:                             ;   in Loop: Header=BB324_1064 Depth=1
	v_and_b32_e32 v11, 0x7f, v9
	v_mov_b32_e32 v151, 0x7fc02000
	s_mov_b32 s15, exec_lo
	s_delay_alu instid0(VALU_DEP_2)
	v_cmpx_ne_u32_e32 0x7f, v11
	s_cbranch_execz .LBB324_2061
; %bb.2058:                             ;   in Loop: Header=BB324_1064 Depth=1
	v_lshrrev_b32_e32 v0, 3, v11
	v_cmp_gt_u32_e64 s1, 8, v11
	v_dual_mov_b32 v12, v10 :: v_dual_mov_b32 v11, v9
	s_delay_alu instid0(VALU_DEP_2)
	s_and_saveexec_b32 s16, s1
; %bb.2059:                             ;   in Loop: Header=BB324_1064 Depth=1
	v_and_b32_e32 v0, 7, v9
	s_delay_alu instid0(VALU_DEP_1) | instskip(NEXT) | instid1(VALU_DEP_1)
	v_clz_i32_u32_e32 v0, v0
	v_min_u32_e32 v0, 32, v0
	s_delay_alu instid0(VALU_DEP_1) | instskip(SKIP_1) | instid1(VALU_DEP_2)
	v_subrev_nc_u32_e32 v11, 28, v0
	v_sub_nc_u32_e32 v0, 29, v0
	v_lshlrev_b64 v[11:12], v11, v[9:10]
; %bb.2060:                             ;   in Loop: Header=BB324_1064 Depth=1
	s_or_b32 exec_lo, exec_lo, s16
	v_lshlrev_b32_e32 v12, 8, v9
	s_delay_alu instid0(VALU_DEP_3) | instskip(NEXT) | instid1(VALU_DEP_3)
	v_lshl_add_u32 v0, v0, 10, 0x2000
	v_lshlrev_b32_e32 v11, 7, v11
	s_delay_alu instid0(VALU_DEP_2) | instskip(NEXT) | instid1(VALU_DEP_1)
	v_and_or_b32 v0, 0x8000, v12, v0
	v_and_or_b32 v0, 0x380, v11, v0
	s_delay_alu instid0(VALU_DEP_1)
	v_cvt_f32_f16_e64 v151, v0
.LBB324_2061:                           ;   in Loop: Header=BB324_1064 Depth=1
	s_or_b32 exec_lo, exec_lo, s15
.LBB324_2062:                           ;   in Loop: Header=BB324_1064 Depth=1
	s_delay_alu instid0(SALU_CYCLE_1)
	s_or_b32 exec_lo, exec_lo, s13
.LBB324_2063:                           ;   in Loop: Header=BB324_1064 Depth=1
	s_delay_alu instid0(SALU_CYCLE_1) | instskip(SKIP_2) | instid1(VALU_DEP_1)
	s_or_b32 exec_lo, exec_lo, s12
	v_lshrrev_b16 v0, 8, v9
	s_mov_b32 s12, exec_lo
	v_cmpx_ne_u16_e32 0, v0
	s_cbranch_execz .LBB324_2071
; %bb.2064:                             ;   in Loop: Header=BB324_1064 Depth=1
	v_bfrev_b32_e32 v160, 1
	s_mov_b32 s13, exec_lo
	v_cmpx_ne_u16_e32 0x80, v0
	s_cbranch_execz .LBB324_2070
; %bb.2065:                             ;   in Loop: Header=BB324_1064 Depth=1
	v_and_b32_e32 v161, 0xffff, v0
	v_mov_b32_e32 v160, 0x7fc02000
	s_mov_b32 s15, exec_lo
	s_delay_alu instid0(VALU_DEP_2) | instskip(NEXT) | instid1(VALU_DEP_1)
	v_and_b32_e32 v162, 0x7f, v161
	v_cmpx_ne_u32_e32 0x7f, v162
	s_cbranch_execz .LBB324_2069
; %bb.2066:                             ;   in Loop: Header=BB324_1064 Depth=1
	v_and_b32_e32 v0, 7, v161
	v_lshrrev_b32_e32 v160, 3, v162
	v_mov_b32_e32 v12, v1
	s_mov_b32 s16, exec_lo
	s_delay_alu instid0(VALU_DEP_3)
	v_mov_b32_e32 v11, v0
	v_cmpx_gt_u32_e32 8, v162
; %bb.2067:                             ;   in Loop: Header=BB324_1064 Depth=1
	v_clz_i32_u32_e32 v11, v0
	s_delay_alu instid0(VALU_DEP_1) | instskip(NEXT) | instid1(VALU_DEP_1)
	v_min_u32_e32 v160, 32, v11
	v_subrev_nc_u32_e32 v11, 28, v160
	v_sub_nc_u32_e32 v160, 29, v160
	s_delay_alu instid0(VALU_DEP_2) | instskip(NEXT) | instid1(VALU_DEP_1)
	v_lshlrev_b64 v[11:12], v11, v[0:1]
	v_and_b32_e32 v11, 7, v11
; %bb.2068:                             ;   in Loop: Header=BB324_1064 Depth=1
	s_or_b32 exec_lo, exec_lo, s16
	v_lshlrev_b32_e32 v0, 8, v161
	v_lshl_add_u32 v12, v160, 10, 0x2000
	s_delay_alu instid0(VALU_DEP_1) | instskip(NEXT) | instid1(VALU_DEP_1)
	v_and_or_b32 v0, 0x8000, v0, v12
	v_lshl_or_b32 v0, v11, 7, v0
	s_delay_alu instid0(VALU_DEP_1)
	v_cvt_f32_f16_e64 v160, v0
.LBB324_2069:                           ;   in Loop: Header=BB324_1064 Depth=1
	s_or_b32 exec_lo, exec_lo, s15
.LBB324_2070:                           ;   in Loop: Header=BB324_1064 Depth=1
	s_delay_alu instid0(SALU_CYCLE_1)
	s_or_b32 exec_lo, exec_lo, s13
.LBB324_2071:                           ;   in Loop: Header=BB324_1064 Depth=1
	s_delay_alu instid0(SALU_CYCLE_1) | instskip(SKIP_3) | instid1(VALU_DEP_2)
	s_or_b32 exec_lo, exec_lo, s12
	v_lshrrev_b32_e32 v163, 16, v9
	v_mov_b32_e32 v162, 0
	s_mov_b32 s12, exec_lo
	v_dual_mov_b32 v161, 0 :: v_dual_and_b32 v0, 0xff, v163
	s_delay_alu instid0(VALU_DEP_1)
	v_cmpx_ne_u16_e32 0, v0
	s_cbranch_execz .LBB324_2079
; %bb.2072:                             ;   in Loop: Header=BB324_1064 Depth=1
	v_bfrev_b32_e32 v161, 1
	s_mov_b32 s13, exec_lo
	v_cmpx_ne_u16_e32 0x80, v0
	s_cbranch_execz .LBB324_2078
; %bb.2073:                             ;   in Loop: Header=BB324_1064 Depth=1
	v_bfe_u32 v164, v9, 16, 7
	v_mov_b32_e32 v161, 0x7fc02000
	s_mov_b32 s15, exec_lo
	s_delay_alu instid0(VALU_DEP_2)
	v_cmpx_ne_u32_e32 0x7f, v164
	s_cbranch_execz .LBB324_2077
; %bb.2074:                             ;   in Loop: Header=BB324_1064 Depth=1
	v_and_b32_e32 v0, 7, v163
	v_lshrrev_b32_e32 v161, 3, v164
	v_mov_b32_e32 v12, v1
	s_mov_b32 s16, exec_lo
	s_delay_alu instid0(VALU_DEP_3)
	v_mov_b32_e32 v11, v0
	v_cmpx_gt_u32_e32 8, v164
; %bb.2075:                             ;   in Loop: Header=BB324_1064 Depth=1
	v_clz_i32_u32_e32 v11, v0
	s_delay_alu instid0(VALU_DEP_1) | instskip(NEXT) | instid1(VALU_DEP_1)
	v_min_u32_e32 v161, 32, v11
	v_subrev_nc_u32_e32 v11, 28, v161
	v_sub_nc_u32_e32 v161, 29, v161
	s_delay_alu instid0(VALU_DEP_2) | instskip(NEXT) | instid1(VALU_DEP_1)
	v_lshlrev_b64 v[11:12], v11, v[0:1]
	v_and_b32_e32 v11, 7, v11
; %bb.2076:                             ;   in Loop: Header=BB324_1064 Depth=1
	s_or_b32 exec_lo, exec_lo, s16
	v_lshlrev_b32_e32 v0, 8, v163
	v_lshl_add_u32 v12, v161, 10, 0x2000
	s_delay_alu instid0(VALU_DEP_1) | instskip(NEXT) | instid1(VALU_DEP_1)
	v_and_or_b32 v0, 0x8000, v0, v12
	v_lshl_or_b32 v0, v11, 7, v0
	s_delay_alu instid0(VALU_DEP_1)
	v_cvt_f32_f16_e64 v161, v0
.LBB324_2077:                           ;   in Loop: Header=BB324_1064 Depth=1
	s_or_b32 exec_lo, exec_lo, s15
.LBB324_2078:                           ;   in Loop: Header=BB324_1064 Depth=1
	s_delay_alu instid0(SALU_CYCLE_1)
	s_or_b32 exec_lo, exec_lo, s13
.LBB324_2079:                           ;   in Loop: Header=BB324_1064 Depth=1
	s_delay_alu instid0(SALU_CYCLE_1) | instskip(NEXT) | instid1(SALU_CYCLE_1)
	s_or_b32 exec_lo, exec_lo, s12
	s_mov_b32 s12, exec_lo
	v_cmpx_lt_u32_e32 0xffffff, v9
	s_cbranch_execz .LBB324_2087
; %bb.2080:                             ;   in Loop: Header=BB324_1064 Depth=1
	v_lshrrev_b32_e32 v163, 24, v9
	v_bfrev_b32_e32 v162, 1
	s_mov_b32 s13, exec_lo
	s_delay_alu instid0(VALU_DEP_2)
	v_cmpx_ne_u32_e32 0x80, v163
	s_cbranch_execz .LBB324_2086
; %bb.2081:                             ;   in Loop: Header=BB324_1064 Depth=1
	v_and_b32_e32 v164, 0x7f, v163
	v_mov_b32_e32 v162, 0x7fc02000
	s_mov_b32 s15, exec_lo
	s_delay_alu instid0(VALU_DEP_2)
	v_cmpx_ne_u32_e32 0x7f, v164
	s_cbranch_execz .LBB324_2085
; %bb.2082:                             ;   in Loop: Header=BB324_1064 Depth=1
	v_and_b32_e32 v0, 7, v163
	v_lshrrev_b32_e32 v162, 3, v164
	v_mov_b32_e32 v12, v1
	s_mov_b32 s16, exec_lo
	s_delay_alu instid0(VALU_DEP_3)
	v_mov_b32_e32 v11, v0
	v_cmpx_gt_u32_e32 8, v164
; %bb.2083:                             ;   in Loop: Header=BB324_1064 Depth=1
	v_clz_i32_u32_e32 v11, v0
	s_delay_alu instid0(VALU_DEP_1) | instskip(NEXT) | instid1(VALU_DEP_1)
	v_min_u32_e32 v162, 32, v11
	v_subrev_nc_u32_e32 v11, 28, v162
	v_sub_nc_u32_e32 v162, 29, v162
	s_delay_alu instid0(VALU_DEP_2) | instskip(NEXT) | instid1(VALU_DEP_1)
	v_lshlrev_b64 v[11:12], v11, v[0:1]
	v_and_b32_e32 v11, 7, v11
; %bb.2084:                             ;   in Loop: Header=BB324_1064 Depth=1
	s_or_b32 exec_lo, exec_lo, s16
	v_lshlrev_b32_e32 v0, 8, v163
	v_lshl_add_u32 v12, v162, 10, 0x2000
	s_delay_alu instid0(VALU_DEP_1) | instskip(NEXT) | instid1(VALU_DEP_1)
	v_and_or_b32 v0, 0x8000, v0, v12
	v_lshl_or_b32 v0, v11, 7, v0
	s_delay_alu instid0(VALU_DEP_1)
	v_cvt_f32_f16_e64 v162, v0
.LBB324_2085:                           ;   in Loop: Header=BB324_1064 Depth=1
	s_or_b32 exec_lo, exec_lo, s15
.LBB324_2086:                           ;   in Loop: Header=BB324_1064 Depth=1
	s_delay_alu instid0(SALU_CYCLE_1)
	s_or_b32 exec_lo, exec_lo, s13
.LBB324_2087:                           ;   in Loop: Header=BB324_1064 Depth=1
	s_delay_alu instid0(SALU_CYCLE_1) | instskip(SKIP_3) | instid1(VALU_DEP_2)
	s_or_b32 exec_lo, exec_lo, s12
	v_dual_mov_b32 v0, v10 :: v_dual_and_b32 v11, 0xff, v10
	v_dual_mov_b32 v164, 0 :: v_dual_mov_b32 v163, 0
	s_mov_b32 s12, exec_lo
	v_cmpx_ne_u16_e32 0, v11
	s_cbranch_execz .LBB324_2095
; %bb.2088:                             ;   in Loop: Header=BB324_1064 Depth=1
	v_bfrev_b32_e32 v163, 1
	s_mov_b32 s13, exec_lo
	v_cmpx_ne_u16_e32 0x80, v11
	s_cbranch_execz .LBB324_2094
; %bb.2089:                             ;   in Loop: Header=BB324_1064 Depth=1
	v_and_b32_e32 v165, 0x7f, v10
	v_mov_b32_e32 v163, 0x7fc02000
	s_mov_b32 s15, exec_lo
	s_delay_alu instid0(VALU_DEP_2)
	v_cmpx_ne_u32_e32 0x7f, v165
	s_cbranch_execz .LBB324_2093
; %bb.2090:                             ;   in Loop: Header=BB324_1064 Depth=1
	v_dual_mov_b32 v12, v1 :: v_dual_mov_b32 v11, v0
	v_lshrrev_b32_e32 v12, 3, v165
	s_mov_b32 s16, exec_lo
	v_cmpx_gt_u32_e32 8, v165
; %bb.2091:                             ;   in Loop: Header=BB324_1064 Depth=1
	v_and_b32_e32 v11, 7, v10
	s_delay_alu instid0(VALU_DEP_1) | instskip(NEXT) | instid1(VALU_DEP_1)
	v_clz_i32_u32_e32 v11, v11
	v_min_u32_e32 v163, 32, v11
	s_delay_alu instid0(VALU_DEP_1) | instskip(NEXT) | instid1(VALU_DEP_1)
	v_subrev_nc_u32_e32 v11, 28, v163
	v_lshlrev_b64 v[11:12], v11, v[0:1]
	v_sub_nc_u32_e32 v12, 29, v163
; %bb.2092:                             ;   in Loop: Header=BB324_1064 Depth=1
	s_or_b32 exec_lo, exec_lo, s16
	v_lshlrev_b32_e32 v163, 8, v10
	s_delay_alu instid0(VALU_DEP_2) | instskip(NEXT) | instid1(VALU_DEP_4)
	v_lshl_add_u32 v12, v12, 10, 0x2000
	v_lshlrev_b32_e32 v11, 7, v11
	s_delay_alu instid0(VALU_DEP_2) | instskip(NEXT) | instid1(VALU_DEP_1)
	v_and_or_b32 v12, 0x8000, v163, v12
	v_and_or_b32 v11, 0x380, v11, v12
	s_delay_alu instid0(VALU_DEP_1)
	v_cvt_f32_f16_e64 v163, v11
.LBB324_2093:                           ;   in Loop: Header=BB324_1064 Depth=1
	s_or_b32 exec_lo, exec_lo, s15
.LBB324_2094:                           ;   in Loop: Header=BB324_1064 Depth=1
	s_delay_alu instid0(SALU_CYCLE_1)
	s_or_b32 exec_lo, exec_lo, s13
.LBB324_2095:                           ;   in Loop: Header=BB324_1064 Depth=1
	s_delay_alu instid0(SALU_CYCLE_1) | instskip(SKIP_2) | instid1(VALU_DEP_1)
	s_or_b32 exec_lo, exec_lo, s12
	v_lshrrev_b16 v0, 8, v0
	s_mov_b32 s12, exec_lo
	v_cmpx_ne_u16_e32 0, v0
	s_cbranch_execz .LBB324_2103
; %bb.2096:                             ;   in Loop: Header=BB324_1064 Depth=1
	v_bfrev_b32_e32 v164, 1
	s_mov_b32 s13, exec_lo
	v_cmpx_ne_u16_e32 0x80, v0
	s_cbranch_execz .LBB324_2102
; %bb.2097:                             ;   in Loop: Header=BB324_1064 Depth=1
	v_and_b32_e32 v165, 0xffff, v0
	v_mov_b32_e32 v164, 0x7fc02000
	s_mov_b32 s15, exec_lo
	s_delay_alu instid0(VALU_DEP_2) | instskip(NEXT) | instid1(VALU_DEP_1)
	v_and_b32_e32 v166, 0x7f, v165
	v_cmpx_ne_u32_e32 0x7f, v166
	s_cbranch_execz .LBB324_2101
; %bb.2098:                             ;   in Loop: Header=BB324_1064 Depth=1
	v_and_b32_e32 v0, 7, v165
	v_lshrrev_b32_e32 v164, 3, v166
	v_mov_b32_e32 v12, v1
	s_mov_b32 s16, exec_lo
	s_delay_alu instid0(VALU_DEP_3)
	v_mov_b32_e32 v11, v0
	v_cmpx_gt_u32_e32 8, v166
; %bb.2099:                             ;   in Loop: Header=BB324_1064 Depth=1
	v_clz_i32_u32_e32 v11, v0
	s_delay_alu instid0(VALU_DEP_1) | instskip(NEXT) | instid1(VALU_DEP_1)
	v_min_u32_e32 v164, 32, v11
	v_subrev_nc_u32_e32 v11, 28, v164
	v_sub_nc_u32_e32 v164, 29, v164
	s_delay_alu instid0(VALU_DEP_2) | instskip(NEXT) | instid1(VALU_DEP_1)
	v_lshlrev_b64 v[11:12], v11, v[0:1]
	v_and_b32_e32 v11, 7, v11
; %bb.2100:                             ;   in Loop: Header=BB324_1064 Depth=1
	s_or_b32 exec_lo, exec_lo, s16
	v_lshlrev_b32_e32 v0, 8, v165
	v_lshl_add_u32 v12, v164, 10, 0x2000
	s_delay_alu instid0(VALU_DEP_1) | instskip(NEXT) | instid1(VALU_DEP_1)
	v_and_or_b32 v0, 0x8000, v0, v12
	v_lshl_or_b32 v0, v11, 7, v0
	s_delay_alu instid0(VALU_DEP_1)
	v_cvt_f32_f16_e64 v164, v0
.LBB324_2101:                           ;   in Loop: Header=BB324_1064 Depth=1
	s_or_b32 exec_lo, exec_lo, s15
.LBB324_2102:                           ;   in Loop: Header=BB324_1064 Depth=1
	s_delay_alu instid0(SALU_CYCLE_1)
	s_or_b32 exec_lo, exec_lo, s13
.LBB324_2103:                           ;   in Loop: Header=BB324_1064 Depth=1
	s_delay_alu instid0(SALU_CYCLE_1) | instskip(SKIP_3) | instid1(VALU_DEP_2)
	s_or_b32 exec_lo, exec_lo, s12
	v_lshrrev_b32_e32 v166, 16, v10
	v_mov_b32_e32 v11, 0
	s_mov_b32 s12, exec_lo
	v_dual_mov_b32 v165, 0 :: v_dual_and_b32 v0, 0xff, v166
	s_delay_alu instid0(VALU_DEP_1)
	v_cmpx_ne_u16_e32 0, v0
	s_cbranch_execz .LBB324_2111
; %bb.2104:                             ;   in Loop: Header=BB324_1064 Depth=1
	v_bfrev_b32_e32 v11, 1
	s_mov_b32 s13, exec_lo
	v_cmpx_ne_u16_e32 0x80, v0
	s_cbranch_execz .LBB324_2110
; %bb.2105:                             ;   in Loop: Header=BB324_1064 Depth=1
	v_bfe_u32 v176, v10, 16, 7
	v_mov_b32_e32 v11, 0x7fc02000
	s_mov_b32 s15, exec_lo
	s_delay_alu instid0(VALU_DEP_2)
	v_cmpx_ne_u32_e32 0x7f, v176
	s_cbranch_execz .LBB324_2109
; %bb.2106:                             ;   in Loop: Header=BB324_1064 Depth=1
	v_and_b32_e32 v0, 7, v166
	v_lshrrev_b32_e32 v167, 3, v176
	v_mov_b32_e32 v12, v1
	s_mov_b32 s16, exec_lo
	s_delay_alu instid0(VALU_DEP_3)
	v_mov_b32_e32 v11, v0
	v_cmpx_gt_u32_e32 8, v176
; %bb.2107:                             ;   in Loop: Header=BB324_1064 Depth=1
	v_clz_i32_u32_e32 v11, v0
	s_delay_alu instid0(VALU_DEP_1) | instskip(NEXT) | instid1(VALU_DEP_1)
	v_min_u32_e32 v167, 32, v11
	v_subrev_nc_u32_e32 v11, 28, v167
	v_sub_nc_u32_e32 v167, 29, v167
	s_delay_alu instid0(VALU_DEP_2) | instskip(NEXT) | instid1(VALU_DEP_1)
	v_lshlrev_b64 v[11:12], v11, v[0:1]
	v_and_b32_e32 v11, 7, v11
; %bb.2108:                             ;   in Loop: Header=BB324_1064 Depth=1
	s_or_b32 exec_lo, exec_lo, s16
	v_lshlrev_b32_e32 v0, 8, v166
	v_lshl_add_u32 v12, v167, 10, 0x2000
	s_delay_alu instid0(VALU_DEP_1) | instskip(NEXT) | instid1(VALU_DEP_1)
	v_and_or_b32 v0, 0x8000, v0, v12
	v_lshl_or_b32 v0, v11, 7, v0
	s_delay_alu instid0(VALU_DEP_1)
	v_cvt_f32_f16_e32 v11, v0
.LBB324_2109:                           ;   in Loop: Header=BB324_1064 Depth=1
	s_or_b32 exec_lo, exec_lo, s15
.LBB324_2110:                           ;   in Loop: Header=BB324_1064 Depth=1
	s_delay_alu instid0(SALU_CYCLE_1)
	s_or_b32 exec_lo, exec_lo, s13
.LBB324_2111:                           ;   in Loop: Header=BB324_1064 Depth=1
	s_delay_alu instid0(SALU_CYCLE_1) | instskip(NEXT) | instid1(SALU_CYCLE_1)
	s_or_b32 exec_lo, exec_lo, s12
	s_mov_b32 s12, exec_lo
	v_cmpx_lt_u64_e64 s[8:9], v[9:10]
	s_cbranch_execz .LBB324_2119
; %bb.2112:                             ;   in Loop: Header=BB324_1064 Depth=1
	v_lshrrev_b32_e32 v12, 24, v10
	v_bfrev_b32_e32 v165, 1
	s_mov_b32 s13, exec_lo
	s_delay_alu instid0(VALU_DEP_2)
	v_cmpx_ne_u32_e32 0x80, v12
	s_cbranch_execz .LBB324_2118
; %bb.2113:                             ;   in Loop: Header=BB324_1064 Depth=1
	v_and_b32_e32 v166, 0x7f, v12
	v_mov_b32_e32 v165, 0x7fc02000
	s_mov_b32 s15, exec_lo
	s_delay_alu instid0(VALU_DEP_2)
	v_cmpx_ne_u32_e32 0x7f, v166
	s_cbranch_execz .LBB324_2117
; %bb.2114:                             ;   in Loop: Header=BB324_1064 Depth=1
	v_and_b32_e32 v0, 7, v12
	v_lshrrev_b32_e32 v165, 3, v166
	v_mov_b32_e32 v10, v1
	s_mov_b32 s16, exec_lo
	s_delay_alu instid0(VALU_DEP_3)
	v_mov_b32_e32 v9, v0
	v_cmpx_gt_u32_e32 8, v166
; %bb.2115:                             ;   in Loop: Header=BB324_1064 Depth=1
	v_clz_i32_u32_e32 v9, v0
	s_delay_alu instid0(VALU_DEP_1) | instskip(NEXT) | instid1(VALU_DEP_1)
	v_min_u32_e32 v165, 32, v9
	v_subrev_nc_u32_e32 v9, 28, v165
	v_sub_nc_u32_e32 v165, 29, v165
	s_delay_alu instid0(VALU_DEP_2) | instskip(NEXT) | instid1(VALU_DEP_1)
	v_lshlrev_b64 v[9:10], v9, v[0:1]
	v_and_b32_e32 v9, 7, v9
; %bb.2116:                             ;   in Loop: Header=BB324_1064 Depth=1
	s_or_b32 exec_lo, exec_lo, s16
	v_lshlrev_b32_e32 v0, 8, v12
	v_lshl_add_u32 v10, v165, 10, 0x2000
	s_delay_alu instid0(VALU_DEP_1) | instskip(NEXT) | instid1(VALU_DEP_1)
	v_and_or_b32 v0, 0x8000, v0, v10
	v_lshl_or_b32 v0, v9, 7, v0
	s_delay_alu instid0(VALU_DEP_1)
	v_cvt_f32_f16_e64 v165, v0
.LBB324_2117:                           ;   in Loop: Header=BB324_1064 Depth=1
	s_or_b32 exec_lo, exec_lo, s15
.LBB324_2118:                           ;   in Loop: Header=BB324_1064 Depth=1
	s_delay_alu instid0(SALU_CYCLE_1)
	s_or_b32 exec_lo, exec_lo, s13
.LBB324_2119:                           ;   in Loop: Header=BB324_1064 Depth=1
	s_delay_alu instid0(SALU_CYCLE_1)
	s_or_b32 exec_lo, exec_lo, s12
	s_waitcnt vmcnt(0) lgkmcnt(0)
	v_fma_mixlo_f16 v10, v150, v160, 0
	v_fma_mixlo_f16 v0, v150, v162, 0
	;; [unrolled: 1-line block ×5, first 2 shown]
	v_lshlrev_b32_e32 v160, 16, v10
	v_fma_mixlo_f16 v10, v150, v151, 0
	v_fma_mixlo_f16 v151, v150, v164, 0
	;; [unrolled: 1-line block ×3, first 2 shown]
	v_lshlrev_b32_e32 v0, 16, v0
	v_and_b32_e32 v9, 0xffff, v9
	v_and_b32_e32 v11, 0xffff, v10
	v_lshlrev_b32_e32 v150, 16, v151
	v_and_b32_e32 v151, 0xffff, v161
	v_lshlrev_b32_e32 v161, 16, v162
	v_and_b32_e32 v162, 0xffff, v12
	v_or_b32_e32 v10, v0, v9
	v_or_b32_e32 v11, v160, v11
	;; [unrolled: 1-line block ×3, first 2 shown]
	s_delay_alu instid0(VALU_DEP_4)
	v_or_b32_e32 v9, v161, v162
	s_and_saveexec_b32 s1, vcc_lo
	s_cbranch_execz .LBB324_1062
; %bb.2120:                             ;   in Loop: Header=BB324_1064 Depth=1
	v_cmp_lt_i32_e32 vcc_lo, v18, v38
	v_lshrrev_b32_e32 v150, 16, v11
	v_lshrrev_b32_e32 v151, 16, v10
	;; [unrolled: 1-line block ×3, first 2 shown]
	v_cndmask_b32_e32 v11, 0, v11, vcc_lo
	v_cmp_lt_i32_e32 vcc_lo, v99, v53
	v_lshrrev_b32_e32 v99, 16, v0
	v_cndmask_b32_e32 v18, 0, v150, vcc_lo
	v_cmp_lt_i32_e32 vcc_lo, v98, v53
	s_delay_alu instid0(VALU_DEP_2)
	v_perm_b32 v11, v18, v11, 0x5040100
	v_cndmask_b32_e32 v98, 0, v151, vcc_lo
	v_cmp_lt_i32_e32 vcc_lo, v96, v38
	v_cndmask_b32_e32 v10, 0, v10, vcc_lo
	v_cmp_lt_i32_e32 vcc_lo, v84, v53
	;; [unrolled: 2-line block ×4, first 2 shown]
	s_delay_alu instid0(VALU_DEP_2) | instskip(SKIP_4) | instid1(VALU_DEP_1)
	v_perm_b32 v0, v84, v0, 0x5040100
	v_cndmask_b32_e32 v9, 0, v9, vcc_lo
	v_cmp_lt_i32_e32 vcc_lo, v19, v38
	v_perm_b32 v10, v98, v10, 0x5040100
	v_cndmask_b32_e32 v12, 0, v12, vcc_lo
	v_perm_b32 v9, v9, v12, 0x5040100
	s_branch .LBB324_1062
.LBB324_2121:
	s_or_b32 exec_lo, exec_lo, s10
.LBB324_2122:
	s_delay_alu instid0(SALU_CYCLE_1)
	s_or_b32 exec_lo, exec_lo, s3
	ds_bpermute_b32 v0, v21, v80
	ds_bpermute_b32 v1, v21, v71
	;; [unrolled: 1-line block ×16, first 2 shown]
	s_waitcnt lgkmcnt(0)
	s_waitcnt_vscnt null, 0x0
	s_barrier
	buffer_gl0_inv
	s_load_b32 s1, s[4:5], 0x0
	v_dual_add_f32 v17, v80, v0 :: v_dual_add_f32 v16, v71, v1
	v_dual_add_f32 v15, v70, v2 :: v_dual_add_f32 v14, v69, v3
	v_dual_add_f32 v13, v68, v6 :: v_dual_add_f32 v12, v67, v7
	v_dual_add_f32 v11, v66, v8 :: v_dual_add_f32 v10, v65, v9
	v_dual_add_f32 v9, v34, v18 :: v_dual_add_f32 v8, v33, v19
	v_dual_add_f32 v7, v32, v22 :: v_dual_add_f32 v6, v31, v23
	v_dual_add_f32 v3, v29, v26 :: v_dual_and_b32 v22, 0x3c1, v36
	v_dual_add_f32 v1, v28, v27 :: v_dual_add_f32 v2, v25, v30
	v_add_f32_e32 v0, v24, v21
	v_lshrrev_b32_e32 v18, 1, v20
	s_mov_b32 s3, exec_lo
	s_waitcnt lgkmcnt(0)
	v_lshl_add_u32 v19, v48, 10, s1
	v_cmpx_eq_u32_e32 64, v22
	s_cbranch_execz .LBB324_2124
; %bb.2123:
	v_lshlrev_b32_e32 v20, 2, v18
	s_delay_alu instid0(VALU_DEP_1)
	v_add3_u32 v20, v19, v20, 0xfffff800
	ds_store_2addr_b32 v20, v17, v16 offset1:16
	ds_store_2addr_b32 v20, v15, v14 offset0:32 offset1:48
	ds_store_2addr_b32 v20, v13, v12 offset0:64 offset1:80
	;; [unrolled: 1-line block ×7, first 2 shown]
.LBB324_2124:
	s_or_b32 exec_lo, exec_lo, s3
	v_cmp_eq_u32_e32 vcc_lo, 0, v37
	s_waitcnt lgkmcnt(0)
	s_barrier
	buffer_gl0_inv
	s_and_saveexec_b32 s3, s0
	s_cbranch_execz .LBB324_2143
; %bb.2125:
	s_and_saveexec_b32 s0, vcc_lo
	s_cbranch_execnz .LBB324_2167
; %bb.2126:
	s_or_b32 exec_lo, exec_lo, s0
	s_and_saveexec_b32 s0, vcc_lo
	s_cbranch_execnz .LBB324_2168
.LBB324_2127:
	s_or_b32 exec_lo, exec_lo, s0
	s_and_saveexec_b32 s0, vcc_lo
	s_cbranch_execnz .LBB324_2169
.LBB324_2128:
	s_or_b32 exec_lo, exec_lo, s0
	s_and_saveexec_b32 s0, vcc_lo
	s_cbranch_execnz .LBB324_2170
.LBB324_2129:
	s_or_b32 exec_lo, exec_lo, s0
	s_and_saveexec_b32 s0, vcc_lo
	s_cbranch_execnz .LBB324_2171
.LBB324_2130:
	s_or_b32 exec_lo, exec_lo, s0
	s_and_saveexec_b32 s0, vcc_lo
	s_cbranch_execnz .LBB324_2172
.LBB324_2131:
	s_or_b32 exec_lo, exec_lo, s0
	s_and_saveexec_b32 s0, vcc_lo
	s_cbranch_execnz .LBB324_2173
.LBB324_2132:
	s_or_b32 exec_lo, exec_lo, s0
	s_and_saveexec_b32 s0, vcc_lo
	s_cbranch_execnz .LBB324_2174
.LBB324_2133:
	s_or_b32 exec_lo, exec_lo, s0
	s_and_saveexec_b32 s0, vcc_lo
	s_cbranch_execnz .LBB324_2175
.LBB324_2134:
	s_or_b32 exec_lo, exec_lo, s0
	s_and_saveexec_b32 s0, vcc_lo
	s_cbranch_execnz .LBB324_2176
.LBB324_2135:
	s_or_b32 exec_lo, exec_lo, s0
	s_and_saveexec_b32 s0, vcc_lo
	s_cbranch_execnz .LBB324_2177
.LBB324_2136:
	s_or_b32 exec_lo, exec_lo, s0
	s_and_saveexec_b32 s0, vcc_lo
	s_cbranch_execnz .LBB324_2178
.LBB324_2137:
	s_or_b32 exec_lo, exec_lo, s0
	s_and_saveexec_b32 s0, vcc_lo
	s_cbranch_execnz .LBB324_2179
.LBB324_2138:
	s_or_b32 exec_lo, exec_lo, s0
	s_and_saveexec_b32 s0, vcc_lo
	s_cbranch_execnz .LBB324_2180
.LBB324_2139:
	s_or_b32 exec_lo, exec_lo, s0
	s_and_saveexec_b32 s0, vcc_lo
	s_cbranch_execnz .LBB324_2181
.LBB324_2140:
	s_or_b32 exec_lo, exec_lo, s0
	s_and_saveexec_b32 s0, vcc_lo
	s_cbranch_execz .LBB324_2142
.LBB324_2141:
	v_lshl_add_u32 v20, v18, 2, v19
	ds_load_b32 v20, v20 offset:960
	s_waitcnt lgkmcnt(0)
	v_add_f32_e32 v0, v20, v0
.LBB324_2142:
	s_or_b32 exec_lo, exec_lo, s0
.LBB324_2143:
	s_delay_alu instid0(SALU_CYCLE_1)
	s_or_b32 exec_lo, exec_lo, s3
	v_and_b32_e32 v20, 0x3e1, v36
	s_mov_b32 s3, exec_lo
	s_barrier
	buffer_gl0_inv
	v_cmpx_eq_u32_e32 32, v20
	s_cbranch_execz .LBB324_2145
; %bb.2144:
	v_lshl_add_u32 v21, v18, 2, s1
	ds_store_2addr_b32 v21, v17, v16 offset1:16
	ds_store_2addr_b32 v21, v15, v14 offset0:32 offset1:48
	ds_store_2addr_b32 v21, v13, v12 offset0:64 offset1:80
	;; [unrolled: 1-line block ×7, first 2 shown]
.LBB324_2145:
	s_or_b32 exec_lo, exec_lo, s3
	s_delay_alu instid0(SALU_CYCLE_1)
	s_mov_b32 s1, exec_lo
	s_waitcnt lgkmcnt(0)
	s_barrier
	buffer_gl0_inv
	v_cmpx_gt_u32_e32 32, v36
	s_cbranch_execz .LBB324_2164
; %bb.2146:
	v_lshl_add_u32 v18, v18, 2, v19
	s_and_saveexec_b32 s0, vcc_lo
	s_cbranch_execnz .LBB324_2182
; %bb.2147:
	s_or_b32 exec_lo, exec_lo, s0
	s_and_saveexec_b32 s0, vcc_lo
	s_cbranch_execnz .LBB324_2183
.LBB324_2148:
	s_or_b32 exec_lo, exec_lo, s0
	s_and_saveexec_b32 s0, vcc_lo
	s_cbranch_execnz .LBB324_2184
.LBB324_2149:
	s_or_b32 exec_lo, exec_lo, s0
	s_and_saveexec_b32 s0, vcc_lo
	s_cbranch_execnz .LBB324_2185
.LBB324_2150:
	s_or_b32 exec_lo, exec_lo, s0
	s_and_saveexec_b32 s0, vcc_lo
	s_cbranch_execnz .LBB324_2186
.LBB324_2151:
	s_or_b32 exec_lo, exec_lo, s0
	s_and_saveexec_b32 s0, vcc_lo
	s_cbranch_execnz .LBB324_2187
.LBB324_2152:
	s_or_b32 exec_lo, exec_lo, s0
	s_and_saveexec_b32 s0, vcc_lo
	s_cbranch_execnz .LBB324_2188
.LBB324_2153:
	s_or_b32 exec_lo, exec_lo, s0
	s_and_saveexec_b32 s0, vcc_lo
	s_cbranch_execnz .LBB324_2189
.LBB324_2154:
	s_or_b32 exec_lo, exec_lo, s0
	s_and_saveexec_b32 s0, vcc_lo
	s_cbranch_execnz .LBB324_2190
.LBB324_2155:
	s_or_b32 exec_lo, exec_lo, s0
	s_and_saveexec_b32 s0, vcc_lo
	s_cbranch_execnz .LBB324_2191
.LBB324_2156:
	s_or_b32 exec_lo, exec_lo, s0
	s_and_saveexec_b32 s0, vcc_lo
	s_cbranch_execnz .LBB324_2192
.LBB324_2157:
	s_or_b32 exec_lo, exec_lo, s0
	s_and_saveexec_b32 s0, vcc_lo
	s_cbranch_execnz .LBB324_2193
.LBB324_2158:
	s_or_b32 exec_lo, exec_lo, s0
	s_and_saveexec_b32 s0, vcc_lo
	s_cbranch_execnz .LBB324_2194
.LBB324_2159:
	s_or_b32 exec_lo, exec_lo, s0
	s_and_saveexec_b32 s0, vcc_lo
	s_cbranch_execnz .LBB324_2195
.LBB324_2160:
	s_or_b32 exec_lo, exec_lo, s0
	s_and_saveexec_b32 s0, vcc_lo
	s_cbranch_execnz .LBB324_2196
.LBB324_2161:
	s_or_b32 exec_lo, exec_lo, s0
	s_and_saveexec_b32 s0, vcc_lo
	s_cbranch_execz .LBB324_2163
.LBB324_2162:
	ds_load_b32 v18, v18 offset:960
	s_waitcnt lgkmcnt(0)
	v_add_f32_e32 v0, v18, v0
.LBB324_2163:
	s_or_b32 exec_lo, exec_lo, s0
.LBB324_2164:
	s_delay_alu instid0(SALU_CYCLE_1)
	s_or_b32 exec_lo, exec_lo, s1
	v_cmp_eq_u32_e32 vcc_lo, 0, v20
	s_barrier
	buffer_gl0_inv
	s_and_b32 exec_lo, exec_lo, vcc_lo
	s_cbranch_execz .LBB324_2166
; %bb.2165:
	s_lshl_b32 s0, s2, 8
	s_mul_i32 s2, s6, s7
	s_lshl_b32 s4, s14, 8
	s_ashr_i32 s3, s2, 31
	s_ashr_i32 s5, s4, 31
	;; [unrolled: 1-line block ×3, first 2 shown]
	s_lshl_b64 s[2:3], s[2:3], 1
	s_lshl_b64 s[4:5], s[4:5], 1
	;; [unrolled: 1-line block ×3, first 2 shown]
	s_add_u32 s2, s4, s2
	s_addc_u32 s3, s5, s3
	s_add_u32 s0, s2, s0
	s_addc_u32 s1, s3, s1
	v_lshlrev_b32_e32 v18, 1, v35
	v_add_co_u32 v4, vcc_lo, s0, v4
	v_add_co_ci_u32_e32 v5, vcc_lo, s1, v5, vcc_lo
	;;#ASMSTART
	v_cvt_f16_f32 v17, v17;

	;;#ASMEND
	s_delay_alu instid0(VALU_DEP_2) | instskip(NEXT) | instid1(VALU_DEP_2)
	v_add_co_u32 v4, vcc_lo, v4, v18
	v_add_co_ci_u32_e32 v5, vcc_lo, 0, v5, vcc_lo
	flat_store_b16 v[4:5], v17
	;;#ASMSTART
	v_cvt_f16_f32 v16, v16;

	;;#ASMEND
	flat_store_b16 v[4:5], v16 offset:32
	;;#ASMSTART
	v_cvt_f16_f32 v15, v15;

	;;#ASMEND
	flat_store_b16 v[4:5], v15 offset:64
	;;#ASMSTART
	v_cvt_f16_f32 v14, v14;

	;;#ASMEND
	flat_store_b16 v[4:5], v14 offset:96
	;;#ASMSTART
	v_cvt_f16_f32 v13, v13;

	;;#ASMEND
	flat_store_b16 v[4:5], v13 offset:128
	;;#ASMSTART
	v_cvt_f16_f32 v12, v12;

	;;#ASMEND
	flat_store_b16 v[4:5], v12 offset:160
	;;#ASMSTART
	v_cvt_f16_f32 v11, v11;

	;;#ASMEND
	flat_store_b16 v[4:5], v11 offset:192
	;;#ASMSTART
	v_cvt_f16_f32 v10, v10;

	;;#ASMEND
	flat_store_b16 v[4:5], v10 offset:224
	;;#ASMSTART
	v_cvt_f16_f32 v9, v9;

	;;#ASMEND
	flat_store_b16 v[4:5], v9 offset:256
	;;#ASMSTART
	v_cvt_f16_f32 v8, v8;

	;;#ASMEND
	flat_store_b16 v[4:5], v8 offset:288
	;;#ASMSTART
	v_cvt_f16_f32 v7, v7;

	;;#ASMEND
	flat_store_b16 v[4:5], v7 offset:320
	;;#ASMSTART
	v_cvt_f16_f32 v6, v6;

	;;#ASMEND
	flat_store_b16 v[4:5], v6 offset:352
	;;#ASMSTART
	v_cvt_f16_f32 v3, v3;

	;;#ASMEND
	flat_store_b16 v[4:5], v3 offset:384
	;;#ASMSTART
	v_cvt_f16_f32 v1, v1;

	;;#ASMEND
	flat_store_b16 v[4:5], v1 offset:416
	;;#ASMSTART
	v_cvt_f16_f32 v1, v2;

	;;#ASMEND
	flat_store_b16 v[4:5], v1 offset:448
	;;#ASMSTART
	v_cvt_f16_f32 v0, v0;

	;;#ASMEND
	flat_store_b16 v[4:5], v0 offset:480
.LBB324_2166:
	s_or_b32 exec_lo, exec_lo, s17
	s_clause 0x1f
	scratch_load_b32 v191, off, s32 offset:8
	scratch_load_b32 v190, off, s32 offset:12
	;; [unrolled: 1-line block ×32, first 2 shown]
	s_clause 0x1f
	scratch_load_b32 v127, off, s32 offset:136
	scratch_load_b32 v126, off, s32 offset:140
	;; [unrolled: 1-line block ×32, first 2 shown]
	s_clause 0xf
	scratch_load_b32 v63, off, s32 offset:264
	scratch_load_b32 v62, off, s32 offset:268
	;; [unrolled: 1-line block ×16, first 2 shown]
	s_waitcnt vmcnt(0) lgkmcnt(0)
	s_setpc_b64 s[30:31]
.LBB324_2167:
	v_lshl_add_u32 v20, v18, 2, v19
	ds_load_b32 v20, v20
	s_waitcnt lgkmcnt(0)
	v_add_f32_e32 v17, v20, v17
	s_or_b32 exec_lo, exec_lo, s0
	s_and_saveexec_b32 s0, vcc_lo
	s_cbranch_execz .LBB324_2127
.LBB324_2168:
	v_lshl_add_u32 v20, v18, 2, v19
	ds_load_b32 v20, v20 offset:64
	s_waitcnt lgkmcnt(0)
	v_add_f32_e32 v16, v20, v16
	s_or_b32 exec_lo, exec_lo, s0
	s_and_saveexec_b32 s0, vcc_lo
	s_cbranch_execz .LBB324_2128
.LBB324_2169:
	v_lshl_add_u32 v20, v18, 2, v19
	ds_load_b32 v20, v20 offset:128
	s_waitcnt lgkmcnt(0)
	v_add_f32_e32 v15, v20, v15
	s_or_b32 exec_lo, exec_lo, s0
	s_and_saveexec_b32 s0, vcc_lo
	s_cbranch_execz .LBB324_2129
.LBB324_2170:
	v_lshl_add_u32 v20, v18, 2, v19
	ds_load_b32 v20, v20 offset:192
	s_waitcnt lgkmcnt(0)
	v_add_f32_e32 v14, v20, v14
	s_or_b32 exec_lo, exec_lo, s0
	s_and_saveexec_b32 s0, vcc_lo
	s_cbranch_execz .LBB324_2130
.LBB324_2171:
	v_lshl_add_u32 v20, v18, 2, v19
	ds_load_b32 v20, v20 offset:256
	s_waitcnt lgkmcnt(0)
	v_add_f32_e32 v13, v20, v13
	s_or_b32 exec_lo, exec_lo, s0
	s_and_saveexec_b32 s0, vcc_lo
	s_cbranch_execz .LBB324_2131
.LBB324_2172:
	v_lshl_add_u32 v20, v18, 2, v19
	ds_load_b32 v20, v20 offset:320
	s_waitcnt lgkmcnt(0)
	v_add_f32_e32 v12, v20, v12
	s_or_b32 exec_lo, exec_lo, s0
	s_and_saveexec_b32 s0, vcc_lo
	s_cbranch_execz .LBB324_2132
.LBB324_2173:
	v_lshl_add_u32 v20, v18, 2, v19
	ds_load_b32 v20, v20 offset:384
	s_waitcnt lgkmcnt(0)
	v_add_f32_e32 v11, v20, v11
	s_or_b32 exec_lo, exec_lo, s0
	s_and_saveexec_b32 s0, vcc_lo
	s_cbranch_execz .LBB324_2133
.LBB324_2174:
	v_lshl_add_u32 v20, v18, 2, v19
	ds_load_b32 v20, v20 offset:448
	s_waitcnt lgkmcnt(0)
	v_add_f32_e32 v10, v20, v10
	s_or_b32 exec_lo, exec_lo, s0
	s_and_saveexec_b32 s0, vcc_lo
	s_cbranch_execz .LBB324_2134
.LBB324_2175:
	v_lshl_add_u32 v20, v18, 2, v19
	ds_load_b32 v20, v20 offset:512
	s_waitcnt lgkmcnt(0)
	v_add_f32_e32 v9, v20, v9
	s_or_b32 exec_lo, exec_lo, s0
	s_and_saveexec_b32 s0, vcc_lo
	s_cbranch_execz .LBB324_2135
.LBB324_2176:
	v_lshl_add_u32 v20, v18, 2, v19
	ds_load_b32 v20, v20 offset:576
	s_waitcnt lgkmcnt(0)
	v_add_f32_e32 v8, v20, v8
	s_or_b32 exec_lo, exec_lo, s0
	s_and_saveexec_b32 s0, vcc_lo
	s_cbranch_execz .LBB324_2136
.LBB324_2177:
	v_lshl_add_u32 v20, v18, 2, v19
	ds_load_b32 v20, v20 offset:640
	s_waitcnt lgkmcnt(0)
	v_add_f32_e32 v7, v20, v7
	s_or_b32 exec_lo, exec_lo, s0
	s_and_saveexec_b32 s0, vcc_lo
	s_cbranch_execz .LBB324_2137
.LBB324_2178:
	v_lshl_add_u32 v20, v18, 2, v19
	ds_load_b32 v20, v20 offset:704
	s_waitcnt lgkmcnt(0)
	v_add_f32_e32 v6, v20, v6
	s_or_b32 exec_lo, exec_lo, s0
	s_and_saveexec_b32 s0, vcc_lo
	s_cbranch_execz .LBB324_2138
.LBB324_2179:
	v_lshl_add_u32 v20, v18, 2, v19
	ds_load_b32 v20, v20 offset:768
	s_waitcnt lgkmcnt(0)
	v_add_f32_e32 v3, v20, v3
	s_or_b32 exec_lo, exec_lo, s0
	s_and_saveexec_b32 s0, vcc_lo
	s_cbranch_execz .LBB324_2139
.LBB324_2180:
	v_lshl_add_u32 v20, v18, 2, v19
	ds_load_b32 v20, v20 offset:832
	s_waitcnt lgkmcnt(0)
	v_add_f32_e32 v1, v20, v1
	s_or_b32 exec_lo, exec_lo, s0
	s_and_saveexec_b32 s0, vcc_lo
	s_cbranch_execz .LBB324_2140
.LBB324_2181:
	v_lshl_add_u32 v20, v18, 2, v19
	ds_load_b32 v20, v20 offset:896
	s_waitcnt lgkmcnt(0)
	v_add_f32_e32 v2, v20, v2
	s_or_b32 exec_lo, exec_lo, s0
	s_and_saveexec_b32 s0, vcc_lo
	s_cbranch_execnz .LBB324_2141
	s_branch .LBB324_2142
.LBB324_2182:
	ds_load_b32 v19, v18
	s_waitcnt lgkmcnt(0)
	v_add_f32_e32 v17, v19, v17
	s_or_b32 exec_lo, exec_lo, s0
	s_and_saveexec_b32 s0, vcc_lo
	s_cbranch_execz .LBB324_2148
.LBB324_2183:
	ds_load_b32 v19, v18 offset:64
	s_waitcnt lgkmcnt(0)
	v_add_f32_e32 v16, v19, v16
	s_or_b32 exec_lo, exec_lo, s0
	s_and_saveexec_b32 s0, vcc_lo
	s_cbranch_execz .LBB324_2149
.LBB324_2184:
	ds_load_b32 v19, v18 offset:128
	s_waitcnt lgkmcnt(0)
	v_add_f32_e32 v15, v19, v15
	s_or_b32 exec_lo, exec_lo, s0
	s_and_saveexec_b32 s0, vcc_lo
	s_cbranch_execz .LBB324_2150
.LBB324_2185:
	ds_load_b32 v19, v18 offset:192
	s_waitcnt lgkmcnt(0)
	v_add_f32_e32 v14, v19, v14
	s_or_b32 exec_lo, exec_lo, s0
	s_and_saveexec_b32 s0, vcc_lo
	s_cbranch_execz .LBB324_2151
.LBB324_2186:
	ds_load_b32 v19, v18 offset:256
	s_waitcnt lgkmcnt(0)
	v_add_f32_e32 v13, v19, v13
	s_or_b32 exec_lo, exec_lo, s0
	s_and_saveexec_b32 s0, vcc_lo
	s_cbranch_execz .LBB324_2152
.LBB324_2187:
	ds_load_b32 v19, v18 offset:320
	s_waitcnt lgkmcnt(0)
	v_add_f32_e32 v12, v19, v12
	s_or_b32 exec_lo, exec_lo, s0
	s_and_saveexec_b32 s0, vcc_lo
	s_cbranch_execz .LBB324_2153
.LBB324_2188:
	ds_load_b32 v19, v18 offset:384
	s_waitcnt lgkmcnt(0)
	v_add_f32_e32 v11, v19, v11
	s_or_b32 exec_lo, exec_lo, s0
	s_and_saveexec_b32 s0, vcc_lo
	s_cbranch_execz .LBB324_2154
.LBB324_2189:
	ds_load_b32 v19, v18 offset:448
	s_waitcnt lgkmcnt(0)
	v_add_f32_e32 v10, v19, v10
	s_or_b32 exec_lo, exec_lo, s0
	s_and_saveexec_b32 s0, vcc_lo
	s_cbranch_execz .LBB324_2155
.LBB324_2190:
	ds_load_b32 v19, v18 offset:512
	s_waitcnt lgkmcnt(0)
	v_add_f32_e32 v9, v19, v9
	s_or_b32 exec_lo, exec_lo, s0
	s_and_saveexec_b32 s0, vcc_lo
	s_cbranch_execz .LBB324_2156
.LBB324_2191:
	ds_load_b32 v19, v18 offset:576
	s_waitcnt lgkmcnt(0)
	v_add_f32_e32 v8, v19, v8
	s_or_b32 exec_lo, exec_lo, s0
	s_and_saveexec_b32 s0, vcc_lo
	s_cbranch_execz .LBB324_2157
.LBB324_2192:
	ds_load_b32 v19, v18 offset:640
	s_waitcnt lgkmcnt(0)
	v_add_f32_e32 v7, v19, v7
	s_or_b32 exec_lo, exec_lo, s0
	s_and_saveexec_b32 s0, vcc_lo
	s_cbranch_execz .LBB324_2158
.LBB324_2193:
	ds_load_b32 v19, v18 offset:704
	s_waitcnt lgkmcnt(0)
	v_add_f32_e32 v6, v19, v6
	s_or_b32 exec_lo, exec_lo, s0
	s_and_saveexec_b32 s0, vcc_lo
	s_cbranch_execz .LBB324_2159
.LBB324_2194:
	ds_load_b32 v19, v18 offset:768
	s_waitcnt lgkmcnt(0)
	v_add_f32_e32 v3, v19, v3
	s_or_b32 exec_lo, exec_lo, s0
	s_and_saveexec_b32 s0, vcc_lo
	s_cbranch_execz .LBB324_2160
.LBB324_2195:
	ds_load_b32 v19, v18 offset:832
	s_waitcnt lgkmcnt(0)
	v_add_f32_e32 v1, v19, v1
	s_or_b32 exec_lo, exec_lo, s0
	s_and_saveexec_b32 s0, vcc_lo
	s_cbranch_execz .LBB324_2161
.LBB324_2196:
	ds_load_b32 v19, v18 offset:896
	s_waitcnt lgkmcnt(0)
	v_add_f32_e32 v2, v19, v2
	s_or_b32 exec_lo, exec_lo, s0
	s_and_saveexec_b32 s0, vcc_lo
	s_cbranch_execnz .LBB324_2162
	s_branch .LBB324_2163
.Lfunc_end324:
	.size	_ZN4vllm22paged_attention_kernelIthLi256ELi16ELi128ELNS_18Fp8KVCacheDataTypeE1ELb1ELi512EEEvPfS2_PT_PKS3_PKT0_S9_ifPKiSB_iPKfiiiSD_SD_iiiii, .Lfunc_end324-_ZN4vllm22paged_attention_kernelIthLi256ELi16ELi128ELNS_18Fp8KVCacheDataTypeE1ELb1ELi512EEEvPfS2_PT_PKS3_PKT0_S9_ifPKiSB_iPKfiiiSD_SD_iiiii
                                        ; -- End function
	.section	.AMDGPU.csdata,"",@progbits
; Function info:
; codeLenInByte = 84956
; NumSgprs: 35
; NumVgprs: 192
; ScratchSize: 332
; MemoryBound: 0
	.section	.text._ZN4vllm25paged_attention_v2_kernelIthLi256ELi16ELi128ELNS_18Fp8KVCacheDataTypeE1ELb1ELi512EEEvPfS2_PT_PKS3_PKT0_S9_ifPKiSB_iPKfiiiSD_SD_iiiii,"axG",@progbits,_ZN4vllm25paged_attention_v2_kernelIthLi256ELi16ELi128ELNS_18Fp8KVCacheDataTypeE1ELb1ELi512EEEvPfS2_PT_PKS3_PKT0_S9_ifPKiSB_iPKfiiiSD_SD_iiiii,comdat
	.protected	_ZN4vllm25paged_attention_v2_kernelIthLi256ELi16ELi128ELNS_18Fp8KVCacheDataTypeE1ELb1ELi512EEEvPfS2_PT_PKS3_PKT0_S9_ifPKiSB_iPKfiiiSD_SD_iiiii ; -- Begin function _ZN4vllm25paged_attention_v2_kernelIthLi256ELi16ELi128ELNS_18Fp8KVCacheDataTypeE1ELb1ELi512EEEvPfS2_PT_PKS3_PKT0_S9_ifPKiSB_iPKfiiiSD_SD_iiiii
	.globl	_ZN4vllm25paged_attention_v2_kernelIthLi256ELi16ELi128ELNS_18Fp8KVCacheDataTypeE1ELb1ELi512EEEvPfS2_PT_PKS3_PKT0_S9_ifPKiSB_iPKfiiiSD_SD_iiiii
	.p2align	8
	.type	_ZN4vllm25paged_attention_v2_kernelIthLi256ELi16ELi128ELNS_18Fp8KVCacheDataTypeE1ELb1ELi512EEEvPfS2_PT_PKS3_PKT0_S9_ifPKiSB_iPKfiiiSD_SD_iiiii,@function
_ZN4vllm25paged_attention_v2_kernelIthLi256ELi16ELi128ELNS_18Fp8KVCacheDataTypeE1ELb1ELi512EEEvPfS2_PT_PKS3_PKT0_S9_ifPKiSB_iPKfiiiSD_SD_iiiii: ; @_ZN4vllm25paged_attention_v2_kernelIthLi256ELi16ELi128ELNS_18Fp8KVCacheDataTypeE1ELb1ELi512EEEvPfS2_PT_PKS3_PKT0_S9_ifPKiSB_iPKfiiiSD_SD_iiiii
; %bb.0:
	s_mov_b32 s12, s13
	s_clause 0x7
	s_load_b128 s[4:7], s[0:1], 0x78
	s_load_b32 s8, s[0:1], 0x88
	s_load_b256 s[24:31], s[0:1], 0x0
	s_load_b256 s[36:43], s[0:1], 0x20
	s_load_b64 s[2:3], s[0:1], 0x40
	s_load_b64 s[10:11], s[0:1], 0x50
	s_load_b32 s13, s[0:1], 0x48
	s_load_b256 s[16:23], s[0:1], 0x58
	s_mov_b32 s32, 0
	v_mov_b32_e32 v31, v0
	s_waitcnt lgkmcnt(0)
	v_dual_mov_b32 v1, s7 :: v_dual_mov_b32 v2, s8
	v_dual_mov_b32 v0, s24 :: v_dual_mov_b32 v3, s27
	;; [unrolled: 1-line block ×3, first 2 shown]
	v_mov_b32_e32 v6, s30
	scratch_store_b64 off, v[1:2], s32
	v_dual_mov_b32 v1, s25 :: v_dual_mov_b32 v2, s26
	v_dual_mov_b32 v7, s31 :: v_dual_mov_b32 v8, s36
	;; [unrolled: 1-line block ×13, first 2 shown]
	s_add_u32 s8, s0, 0x90
	s_addc_u32 s9, s1, 0
	s_mov_b32 s13, s14
	s_mov_b32 s14, s15
	s_movk_i32 s15, 0x66
	s_getpc_b64 s[0:1]
	s_add_u32 s0, s0, _ZN4vllm22paged_attention_kernelIthLi256ELi16ELi128ELNS_18Fp8KVCacheDataTypeE1ELb1ELi512EEEvPfS2_PT_PKS3_PKT0_S9_ifPKiSB_iPKfiiiSD_SD_iiiii@rel32@lo+4
	s_addc_u32 s1, s1, _ZN4vllm22paged_attention_kernelIthLi256ELi16ELi128ELNS_18Fp8KVCacheDataTypeE1ELb1ELi512EEEvPfS2_PT_PKS3_PKT0_S9_ifPKiSB_iPKfiiiSD_SD_iiiii@rel32@hi+12
	s_delay_alu instid0(SALU_CYCLE_1)
	s_swappc_b64 s[30:31], s[0:1]
	s_endpgm
	.section	.rodata,"a",@progbits
	.p2align	6, 0x0
	.amdhsa_kernel _ZN4vllm25paged_attention_v2_kernelIthLi256ELi16ELi128ELNS_18Fp8KVCacheDataTypeE1ELb1ELi512EEEvPfS2_PT_PKS3_PKT0_S9_ifPKiSB_iPKfiiiSD_SD_iiiii
		.amdhsa_group_segment_fixed_size 544
		.amdhsa_private_segment_fixed_size 332
		.amdhsa_kernarg_size 400
		.amdhsa_user_sgpr_count 13
		.amdhsa_user_sgpr_dispatch_ptr 0
		.amdhsa_user_sgpr_queue_ptr 0
		.amdhsa_user_sgpr_kernarg_segment_ptr 1
		.amdhsa_user_sgpr_dispatch_id 0
		.amdhsa_user_sgpr_private_segment_size 0
		.amdhsa_wavefront_size32 1
		.amdhsa_uses_dynamic_stack 0
		.amdhsa_enable_private_segment 1
		.amdhsa_system_sgpr_workgroup_id_x 1
		.amdhsa_system_sgpr_workgroup_id_y 1
		.amdhsa_system_sgpr_workgroup_id_z 1
		.amdhsa_system_sgpr_workgroup_info 0
		.amdhsa_system_vgpr_workitem_id 0
		.amdhsa_next_free_vgpr 192
		.amdhsa_next_free_sgpr 44
		.amdhsa_reserve_vcc 1
		.amdhsa_float_round_mode_32 0
		.amdhsa_float_round_mode_16_64 0
		.amdhsa_float_denorm_mode_32 3
		.amdhsa_float_denorm_mode_16_64 3
		.amdhsa_dx10_clamp 1
		.amdhsa_ieee_mode 1
		.amdhsa_fp16_overflow 0
		.amdhsa_workgroup_processor_mode 1
		.amdhsa_memory_ordered 1
		.amdhsa_forward_progress 0
		.amdhsa_shared_vgpr_count 0
		.amdhsa_exception_fp_ieee_invalid_op 0
		.amdhsa_exception_fp_denorm_src 0
		.amdhsa_exception_fp_ieee_div_zero 0
		.amdhsa_exception_fp_ieee_overflow 0
		.amdhsa_exception_fp_ieee_underflow 0
		.amdhsa_exception_fp_ieee_inexact 0
		.amdhsa_exception_int_div_zero 0
	.end_amdhsa_kernel
	.section	.text._ZN4vllm25paged_attention_v2_kernelIthLi256ELi16ELi128ELNS_18Fp8KVCacheDataTypeE1ELb1ELi512EEEvPfS2_PT_PKS3_PKT0_S9_ifPKiSB_iPKfiiiSD_SD_iiiii,"axG",@progbits,_ZN4vllm25paged_attention_v2_kernelIthLi256ELi16ELi128ELNS_18Fp8KVCacheDataTypeE1ELb1ELi512EEEvPfS2_PT_PKS3_PKT0_S9_ifPKiSB_iPKfiiiSD_SD_iiiii,comdat
.Lfunc_end325:
	.size	_ZN4vllm25paged_attention_v2_kernelIthLi256ELi16ELi128ELNS_18Fp8KVCacheDataTypeE1ELb1ELi512EEEvPfS2_PT_PKS3_PKT0_S9_ifPKiSB_iPKfiiiSD_SD_iiiii, .Lfunc_end325-_ZN4vllm25paged_attention_v2_kernelIthLi256ELi16ELi128ELNS_18Fp8KVCacheDataTypeE1ELb1ELi512EEEvPfS2_PT_PKS3_PKT0_S9_ifPKiSB_iPKfiiiSD_SD_iiiii
                                        ; -- End function
	.section	.AMDGPU.csdata,"",@progbits
; Kernel info:
; codeLenInByte = 280
; NumSgprs: 46
; NumVgprs: 192
; ScratchSize: 332
; MemoryBound: 0
; FloatMode: 240
; IeeeMode: 1
; LDSByteSize: 544 bytes/workgroup (compile time only)
; SGPRBlocks: 5
; VGPRBlocks: 23
; NumSGPRsForWavesPerEU: 46
; NumVGPRsForWavesPerEU: 192
; Occupancy: 8
; WaveLimiterHint : 1
; COMPUTE_PGM_RSRC2:SCRATCH_EN: 1
; COMPUTE_PGM_RSRC2:USER_SGPR: 13
; COMPUTE_PGM_RSRC2:TRAP_HANDLER: 0
; COMPUTE_PGM_RSRC2:TGID_X_EN: 1
; COMPUTE_PGM_RSRC2:TGID_Y_EN: 1
; COMPUTE_PGM_RSRC2:TGID_Z_EN: 1
; COMPUTE_PGM_RSRC2:TIDIG_COMP_CNT: 0
	.section	.text._ZN4vllm25paged_attention_v2_kernelIthLi32ELi16ELi128ELNS_18Fp8KVCacheDataTypeE1ELb0ELi512EEEvPfS2_PT_PKS3_PKT0_S9_ifPKiSB_iPKfiiiSD_SD_iiiii,"axG",@progbits,_ZN4vllm25paged_attention_v2_kernelIthLi32ELi16ELi128ELNS_18Fp8KVCacheDataTypeE1ELb0ELi512EEEvPfS2_PT_PKS3_PKT0_S9_ifPKiSB_iPKfiiiSD_SD_iiiii,comdat
	.protected	_ZN4vllm25paged_attention_v2_kernelIthLi32ELi16ELi128ELNS_18Fp8KVCacheDataTypeE1ELb0ELi512EEEvPfS2_PT_PKS3_PKT0_S9_ifPKiSB_iPKfiiiSD_SD_iiiii ; -- Begin function _ZN4vllm25paged_attention_v2_kernelIthLi32ELi16ELi128ELNS_18Fp8KVCacheDataTypeE1ELb0ELi512EEEvPfS2_PT_PKS3_PKT0_S9_ifPKiSB_iPKfiiiSD_SD_iiiii
	.globl	_ZN4vllm25paged_attention_v2_kernelIthLi32ELi16ELi128ELNS_18Fp8KVCacheDataTypeE1ELb0ELi512EEEvPfS2_PT_PKS3_PKT0_S9_ifPKiSB_iPKfiiiSD_SD_iiiii
	.p2align	8
	.type	_ZN4vllm25paged_attention_v2_kernelIthLi32ELi16ELi128ELNS_18Fp8KVCacheDataTypeE1ELb0ELi512EEEvPfS2_PT_PKS3_PKT0_S9_ifPKiSB_iPKfiiiSD_SD_iiiii,@function
_ZN4vllm25paged_attention_v2_kernelIthLi32ELi16ELi128ELNS_18Fp8KVCacheDataTypeE1ELb0ELi512EEEvPfS2_PT_PKS3_PKT0_S9_ifPKiSB_iPKfiiiSD_SD_iiiii: ; @_ZN4vllm25paged_attention_v2_kernelIthLi32ELi16ELi128ELNS_18Fp8KVCacheDataTypeE1ELb0ELi512EEEvPfS2_PT_PKS3_PKT0_S9_ifPKiSB_iPKfiiiSD_SD_iiiii
; %bb.0:
	s_load_b64 s[2:3], s[0:1], 0x40
	s_mov_b32 s22, s15
	s_ashr_i32 s15, s14, 31
	s_delay_alu instid0(SALU_CYCLE_1)
	s_lshl_b64 s[4:5], s[14:15], 2
	s_waitcnt lgkmcnt(0)
	s_add_u32 s2, s2, s4
	s_addc_u32 s3, s3, s5
	s_lshl_b32 s33, s22, 9
	s_load_b32 s15, s[2:3], 0x0
	s_waitcnt lgkmcnt(0)
	s_cmp_ge_i32 s33, s15
	s_cbranch_scc1 .LBB326_304
; %bb.1:
	s_clause 0x1
	s_load_b32 s23, s[0:1], 0x90
	s_load_b64 s[34:35], s[0:1], 0x30
	s_mov_b32 s24, s13
	s_waitcnt lgkmcnt(0)
	s_abs_i32 s5, s23
	s_abs_i32 s2, s34
	s_delay_alu instid0(SALU_CYCLE_1) | instskip(SKIP_1) | instid1(VALU_DEP_1)
	v_cvt_f32_u32_e32 v1, s2
	s_sub_i32 s4, 0, s2
	v_rcp_iflag_f32_e32 v1, v1
	s_waitcnt_depctr 0xfff
	v_mul_f32_e32 v1, 0x4f7ffffe, v1
	s_delay_alu instid0(VALU_DEP_1) | instskip(NEXT) | instid1(VALU_DEP_1)
	v_cvt_u32_f32_e32 v1, v1
	v_readfirstlane_b32 s3, v1
	s_delay_alu instid0(VALU_DEP_1) | instskip(NEXT) | instid1(SALU_CYCLE_1)
	s_mul_i32 s4, s4, s3
	s_mul_hi_u32 s4, s3, s4
	s_delay_alu instid0(SALU_CYCLE_1)
	s_add_i32 s3, s3, s4
	s_xor_b32 s4, s23, s34
	s_mul_hi_u32 s3, s5, s3
	s_ashr_i32 s4, s4, 31
	s_mul_i32 s6, s3, s2
	s_mov_b32 s34, 0
	s_sub_i32 s5, s5, s6
	s_add_i32 s6, s3, 1
	s_sub_i32 s7, s5, s2
	s_cmp_ge_u32 s5, s2
	s_cselect_b32 s3, s6, s3
	s_cselect_b32 s5, s7, s5
	s_add_i32 s6, s3, 1
	s_cmp_ge_u32 s5, s2
	s_cselect_b32 s2, s6, s3
	s_delay_alu instid0(SALU_CYCLE_1) | instskip(NEXT) | instid1(SALU_CYCLE_1)
	s_xor_b32 s2, s2, s4
	s_sub_i32 s7, s2, s4
	s_load_b64 s[2:3], s[0:1], 0x50
	s_abs_i32 s4, s7
	s_delay_alu instid0(SALU_CYCLE_1) | instskip(SKIP_1) | instid1(VALU_DEP_1)
	v_cvt_f32_u32_e32 v1, s4
	s_sub_i32 s6, 0, s4
	v_rcp_iflag_f32_e32 v1, v1
	s_waitcnt_depctr 0xfff
	v_mul_f32_e32 v1, 0x4f7ffffe, v1
	s_delay_alu instid0(VALU_DEP_1) | instskip(NEXT) | instid1(VALU_DEP_1)
	v_cvt_u32_f32_e32 v1, v1
	v_readfirstlane_b32 s5, v1
	s_delay_alu instid0(VALU_DEP_1) | instskip(NEXT) | instid1(SALU_CYCLE_1)
	s_mul_i32 s6, s6, s5
	s_mul_hi_u32 s8, s5, s6
	s_abs_i32 s6, s13
	s_add_i32 s5, s5, s8
	s_waitcnt lgkmcnt(0)
	s_cmp_eq_u64 s[2:3], 0
	s_mul_hi_u32 s5, s6, s5
	s_cbranch_scc1 .LBB326_3
; %bb.2:
	s_ashr_i32 s25, s24, 31
	s_delay_alu instid0(SALU_CYCLE_1) | instskip(NEXT) | instid1(SALU_CYCLE_1)
	s_lshl_b64 s[8:9], s[24:25], 2
	s_add_u32 s2, s2, s8
	s_addc_u32 s3, s3, s9
	s_load_b32 s34, s[2:3], 0x0
.LBB326_3:
	s_load_b128 s[8:11], s[0:1], 0x58
	v_lshrrev_b32_e32 v12, 1, v0
	v_and_b32_e32 v13, 1, v0
	v_lshlrev_b32_e32 v11, 3, v0
	s_ashr_i32 s2, s24, 31
	s_ashr_i32 s3, s7, 31
	s_lshl_b32 s12, s24, 5
	s_mov_b32 s7, exec_lo
	v_cmpx_gt_u32_e32 8, v0
	s_cbranch_execz .LBB326_5
; %bb.4:
	s_load_b64 s[16:17], s[0:1], 0x18
	s_waitcnt lgkmcnt(0)
	s_mul_i32 s18, s14, s8
	v_lshlrev_b32_e32 v3, 3, v12
	s_ashr_i32 s19, s18, 31
	s_delay_alu instid0(SALU_CYCLE_1) | instskip(NEXT) | instid1(VALU_DEP_1)
	s_lshl_b64 s[18:19], s[18:19], 1
	v_lshl_add_u32 v3, v13, 5, v3
	s_add_u32 s8, s16, s18
	s_addc_u32 s11, s17, s19
	s_ashr_i32 s13, s12, 31
	s_delay_alu instid0(SALU_CYCLE_1) | instskip(NEXT) | instid1(SALU_CYCLE_1)
	s_lshl_b64 s[16:17], s[12:13], 1
	s_add_u32 s16, s8, s16
	s_addc_u32 s17, s11, s17
	global_load_b64 v[1:2], v11, s[16:17]
	s_waitcnt vmcnt(0)
	ds_store_b64 v3, v[1:2]
.LBB326_5:
	s_or_b32 exec_lo, exec_lo, s7
	s_add_i32 s7, s15, 15
	s_waitcnt lgkmcnt(0)
	s_lshl_b32 s8, s22, 5
	s_ashr_i32 s11, s7, 31
	s_xor_b32 s2, s2, s3
	s_lshr_b32 s11, s11, 28
	s_add_i32 s3, s8, 32
	s_add_i32 s7, s7, s11
	s_clause 0x1
	s_load_b64 s[26:27], s[0:1], 0x38
	s_load_b32 s11, s[0:1], 0x48
	s_ashr_i32 s25, s7, 4
	s_mul_i32 s7, s5, s4
	s_min_i32 s13, s3, s25
	s_sub_i32 s3, s6, s7
	s_add_i32 s6, s5, 1
	s_sub_i32 s7, s3, s4
	s_cmp_ge_u32 s3, s4
	v_lshrrev_b32_e32 v14, 5, v0
	s_cselect_b32 s5, s6, s5
	s_cselect_b32 s3, s7, s3
	s_add_i32 s6, s5, 1
	s_cmp_ge_u32 s3, s4
	v_or_b32_e32 v1, s8, v14
	s_cselect_b32 s3, s6, s5
	v_mbcnt_lo_u32_b32 v18, -1, 0
	s_xor_b32 s3, s3, s2
	s_mov_b32 s4, exec_lo
	s_sub_i32 s3, s3, s2
	v_cmp_gt_i32_e64 s2, s13, v1
	s_waitcnt lgkmcnt(0)
	s_mul_i32 s28, s14, s11
	s_delay_alu instid0(SALU_CYCLE_1)
	s_ashr_i32 s29, s28, 31
	s_barrier
	buffer_gl0_inv
                                        ; implicit-def: $sgpr37
                                        ; implicit-def: $vgpr17
	v_cmpx_le_i32_e64 s13, v1
	s_xor_b32 s4, exec_lo, s4
; %bb.6:
	v_mbcnt_lo_u32_b32 v18, -1, 0
	v_mov_b32_e32 v17, 32
	s_mov_b32 s37, 0xff7fffff
; %bb.7:
	s_or_saveexec_b32 s36, s4
	s_clause 0x4
	s_load_b128 s[16:19], s[0:1], 0x0
	s_load_b64 s[20:21], s[0:1], 0x10
	s_load_b32 s11, s[0:1], 0x98
	s_load_b64 s[30:31], s[0:1], 0x28
	s_load_b128 s[4:7], s[0:1], 0x68
	v_dual_mov_b32 v16, s37 :: v_dual_lshlrev_b32 v15, 4, v14
	v_ashrrev_i32_e32 v2, 31, v1
	s_mul_i32 s10, s3, s10
	s_xor_b32 exec_lo, exec_lo, s36
	s_cbranch_execz .LBB326_141
; %bb.8:
	s_load_b64 s[38:39], s[0:1], 0x20
	v_bfe_u32 v3, v0, 1, 4
	s_ashr_i32 s1, s10, 31
	v_lshlrev_b64 v[7:8], 2, v[1:2]
	v_dual_mov_b32 v16, 0xff7fffff :: v_dual_lshlrev_b32 v19, 2, v13
	s_delay_alu instid0(VALU_DEP_3) | instskip(SKIP_2) | instid1(VALU_DEP_3)
	v_dual_mov_b32 v4, 0 :: v_dual_lshlrev_b32 v5, 2, v3
	v_dual_mov_b32 v23, v1 :: v_dual_lshlrev_b32 v6, 4, v3
	;; [unrolled: 1-line block ×3, first 2 shown]
	v_lshl_or_b32 v5, v14, 6, v5
	v_cmp_eq_u32_e32 vcc_lo, 0, v13
	v_cmp_neq_f32_e64 s0, s34, 0
	v_add3_u32 v21, s33, v15, v3
	s_delay_alu instid0(VALU_DEP_4)
	v_add_nc_u32_e32 v22, 0x60, v5
	s_waitcnt lgkmcnt(0)
	s_add_u32 s3, s38, s10
	s_addc_u32 s1, s39, s1
	s_lshl_b64 s[38:39], s[28:29], 2
	v_add_co_u32 v5, s3, s3, v6
	s_sub_i32 s37, 1, s15
	v_add_co_ci_u32_e64 v6, null, s1, 0, s3
	s_add_u32 s1, s26, s38
	s_addc_u32 s3, s27, s39
	v_add_co_u32 v7, s1, s1, v7
	s_delay_alu instid0(VALU_DEP_1)
	v_add_co_ci_u32_e64 v8, s1, s3, v8, s1
	s_mov_b32 s39, s9
	s_mov_b32 s38, 0
	s_branch .LBB326_10
.LBB326_9:                              ;   in Loop: Header=BB326_10 Depth=1
	s_or_b32 exec_lo, exec_lo, s3
	v_add_nc_u32_e32 v23, 4, v23
	v_add_co_u32 v7, s3, v7, 16
	v_add_nc_u32_e32 v21, 64, v21
	v_add_nc_u32_e32 v22, 0x100, v22
	s_delay_alu instid0(VALU_DEP_4) | instskip(SKIP_1) | instid1(VALU_DEP_2)
	v_cmp_le_i32_e64 s1, s13, v23
	v_add_co_ci_u32_e64 v8, s3, 0, v8, s3
	s_or_b32 s38, s1, s38
	s_delay_alu instid0(SALU_CYCLE_1)
	s_and_not1_b32 exec_lo, exec_lo, s38
	s_cbranch_execz .LBB326_140
.LBB326_10:                             ; =>This Inner Loop Header: Depth=1
	global_load_b32 v3, v[7:8], off
	v_mov_b32_e32 v25, 0
	s_mov_b32 s3, exec_lo
	s_waitcnt vmcnt(0) lgkmcnt(0)
	v_mad_i64_i32 v[9:10], null, v3, s39, v[5:6]
	s_delay_alu instid0(VALU_DEP_1) | instskip(NEXT) | instid1(VALU_DEP_1)
	v_add_co_u32 v9, s1, v9, v19
	v_add_co_ci_u32_e64 v10, s1, 0, v10, s1
	global_load_b32 v30, v[9:10], off
	global_load_b32 v24, v4, s[4:5]
	s_waitcnt vmcnt(1)
	v_and_b32_e32 v3, 0xff, v30
	s_delay_alu instid0(VALU_DEP_1)
	v_cmpx_ne_u16_e32 0, v3
	s_cbranch_execz .LBB326_18
; %bb.11:                               ;   in Loop: Header=BB326_10 Depth=1
	v_bfrev_b32_e32 v25, 1
	s_mov_b32 s40, exec_lo
	v_cmpx_ne_u16_e32 0x80, v3
	s_cbranch_execz .LBB326_17
; %bb.12:                               ;   in Loop: Header=BB326_10 Depth=1
	v_and_b32_e32 v26, 0x7f, v30
	v_mov_b32_e32 v25, 0x7fc02000
	s_mov_b32 s41, exec_lo
	s_delay_alu instid0(VALU_DEP_2)
	v_cmpx_ne_u32_e32 0x7f, v26
	s_cbranch_execz .LBB326_16
; %bb.13:                               ;   in Loop: Header=BB326_10 Depth=1
	v_and_b32_e32 v3, 7, v30
	v_lshrrev_b32_e32 v25, 3, v26
	s_mov_b32 s42, exec_lo
	v_cmpx_gt_u32_e32 8, v26
; %bb.14:                               ;   in Loop: Header=BB326_10 Depth=1
	s_delay_alu instid0(VALU_DEP_3) | instskip(NEXT) | instid1(VALU_DEP_1)
	v_clz_i32_u32_e32 v25, v3
	v_min_u32_e32 v25, 32, v25
	s_delay_alu instid0(VALU_DEP_1) | instskip(SKIP_1) | instid1(VALU_DEP_2)
	v_subrev_nc_u32_e32 v26, 28, v25
	v_sub_nc_u32_e32 v25, 29, v25
	v_lshlrev_b64 v[26:27], v26, v[3:4]
	s_delay_alu instid0(VALU_DEP_1)
	v_and_b32_e32 v3, 7, v26
; %bb.15:                               ;   in Loop: Header=BB326_10 Depth=1
	s_or_b32 exec_lo, exec_lo, s42
	v_lshlrev_b32_e32 v26, 8, v30
	v_lshl_add_u32 v25, v25, 10, 0x2000
	s_delay_alu instid0(VALU_DEP_1) | instskip(NEXT) | instid1(VALU_DEP_1)
	v_and_or_b32 v25, 0x8000, v26, v25
	v_lshl_or_b32 v3, v3, 7, v25
	s_delay_alu instid0(VALU_DEP_1)
	v_cvt_f32_f16_e32 v25, v3
.LBB326_16:                             ;   in Loop: Header=BB326_10 Depth=1
	s_or_b32 exec_lo, exec_lo, s41
.LBB326_17:                             ;   in Loop: Header=BB326_10 Depth=1
	s_delay_alu instid0(SALU_CYCLE_1)
	s_or_b32 exec_lo, exec_lo, s40
.LBB326_18:                             ;   in Loop: Header=BB326_10 Depth=1
	s_delay_alu instid0(SALU_CYCLE_1) | instskip(SKIP_3) | instid1(VALU_DEP_2)
	s_or_b32 exec_lo, exec_lo, s3
	v_lshrrev_b16 v3, 8, v30
	v_dual_mov_b32 v26, 0 :: v_dual_mov_b32 v27, 0
	s_mov_b32 s3, exec_lo
	v_cmpx_ne_u16_e32 0, v3
	s_cbranch_execz .LBB326_26
; %bb.19:                               ;   in Loop: Header=BB326_10 Depth=1
	v_bfrev_b32_e32 v27, 1
	s_mov_b32 s40, exec_lo
	v_cmpx_ne_u16_e32 0x80, v3
	s_cbranch_execz .LBB326_25
; %bb.20:                               ;   in Loop: Header=BB326_10 Depth=1
	v_and_b32_e32 v28, 0xffff, v3
	v_mov_b32_e32 v27, 0x7fc02000
	s_mov_b32 s41, exec_lo
	s_delay_alu instid0(VALU_DEP_2) | instskip(NEXT) | instid1(VALU_DEP_1)
	v_and_b32_e32 v29, 0x7f, v28
	v_cmpx_ne_u32_e32 0x7f, v29
	s_cbranch_execz .LBB326_24
; %bb.21:                               ;   in Loop: Header=BB326_10 Depth=1
	v_and_b32_e32 v3, 7, v28
	v_lshrrev_b32_e32 v27, 3, v29
	s_mov_b32 s42, exec_lo
	v_cmpx_gt_u32_e32 8, v29
; %bb.22:                               ;   in Loop: Header=BB326_10 Depth=1
	s_delay_alu instid0(VALU_DEP_3) | instskip(NEXT) | instid1(VALU_DEP_1)
	v_clz_i32_u32_e32 v27, v3
	v_min_u32_e32 v27, 32, v27
	s_delay_alu instid0(VALU_DEP_1) | instskip(SKIP_1) | instid1(VALU_DEP_2)
	v_subrev_nc_u32_e32 v29, 28, v27
	v_sub_nc_u32_e32 v27, 29, v27
	v_lshlrev_b64 v[31:32], v29, v[3:4]
	s_delay_alu instid0(VALU_DEP_1)
	v_and_b32_e32 v3, 7, v31
; %bb.23:                               ;   in Loop: Header=BB326_10 Depth=1
	s_or_b32 exec_lo, exec_lo, s42
	v_lshlrev_b32_e32 v28, 8, v28
	v_lshl_add_u32 v27, v27, 10, 0x2000
	s_delay_alu instid0(VALU_DEP_1) | instskip(NEXT) | instid1(VALU_DEP_1)
	v_and_or_b32 v27, 0x8000, v28, v27
	v_lshl_or_b32 v3, v3, 7, v27
	s_delay_alu instid0(VALU_DEP_1)
	v_cvt_f32_f16_e32 v27, v3
.LBB326_24:                             ;   in Loop: Header=BB326_10 Depth=1
	s_or_b32 exec_lo, exec_lo, s41
.LBB326_25:                             ;   in Loop: Header=BB326_10 Depth=1
	s_delay_alu instid0(SALU_CYCLE_1)
	s_or_b32 exec_lo, exec_lo, s40
.LBB326_26:                             ;   in Loop: Header=BB326_10 Depth=1
	s_delay_alu instid0(SALU_CYCLE_1) | instskip(SKIP_2) | instid1(VALU_DEP_1)
	s_or_b32 exec_lo, exec_lo, s3
	v_lshrrev_b32_e32 v28, 16, v30
	s_mov_b32 s3, exec_lo
	v_and_b32_e32 v3, 0xff, v28
	s_delay_alu instid0(VALU_DEP_1)
	v_cmpx_ne_u16_e32 0, v3
	s_cbranch_execz .LBB326_34
; %bb.27:                               ;   in Loop: Header=BB326_10 Depth=1
	v_bfrev_b32_e32 v26, 1
	s_mov_b32 s40, exec_lo
	v_cmpx_ne_u16_e32 0x80, v3
	s_cbranch_execz .LBB326_33
; %bb.28:                               ;   in Loop: Header=BB326_10 Depth=1
	v_bfe_u32 v29, v30, 16, 7
	v_mov_b32_e32 v26, 0x7fc02000
	s_mov_b32 s41, exec_lo
	s_delay_alu instid0(VALU_DEP_2)
	v_cmpx_ne_u32_e32 0x7f, v29
	s_cbranch_execz .LBB326_32
; %bb.29:                               ;   in Loop: Header=BB326_10 Depth=1
	v_and_b32_e32 v3, 7, v28
	v_lshrrev_b32_e32 v26, 3, v29
	s_mov_b32 s42, exec_lo
	v_cmpx_gt_u32_e32 8, v29
; %bb.30:                               ;   in Loop: Header=BB326_10 Depth=1
	s_delay_alu instid0(VALU_DEP_3) | instskip(NEXT) | instid1(VALU_DEP_1)
	v_clz_i32_u32_e32 v26, v3
	v_min_u32_e32 v26, 32, v26
	s_delay_alu instid0(VALU_DEP_1) | instskip(SKIP_1) | instid1(VALU_DEP_2)
	v_subrev_nc_u32_e32 v29, 28, v26
	v_sub_nc_u32_e32 v26, 29, v26
	v_lshlrev_b64 v[31:32], v29, v[3:4]
	s_delay_alu instid0(VALU_DEP_1)
	v_and_b32_e32 v3, 7, v31
; %bb.31:                               ;   in Loop: Header=BB326_10 Depth=1
	s_or_b32 exec_lo, exec_lo, s42
	v_lshlrev_b32_e32 v28, 8, v28
	v_lshl_add_u32 v26, v26, 10, 0x2000
	s_delay_alu instid0(VALU_DEP_1) | instskip(NEXT) | instid1(VALU_DEP_1)
	v_and_or_b32 v26, 0x8000, v28, v26
	v_lshl_or_b32 v3, v3, 7, v26
	s_delay_alu instid0(VALU_DEP_1)
	v_cvt_f32_f16_e32 v26, v3
.LBB326_32:                             ;   in Loop: Header=BB326_10 Depth=1
	s_or_b32 exec_lo, exec_lo, s41
.LBB326_33:                             ;   in Loop: Header=BB326_10 Depth=1
	s_delay_alu instid0(SALU_CYCLE_1)
	s_or_b32 exec_lo, exec_lo, s40
.LBB326_34:                             ;   in Loop: Header=BB326_10 Depth=1
	s_delay_alu instid0(SALU_CYCLE_1)
	s_or_b32 exec_lo, exec_lo, s3
	v_dual_mov_b32 v28, 0 :: v_dual_mov_b32 v29, 0
	s_mov_b32 s3, exec_lo
	v_cmpx_lt_u32_e32 0xffffff, v30
	s_cbranch_execz .LBB326_42
; %bb.35:                               ;   in Loop: Header=BB326_10 Depth=1
	v_lshrrev_b32_e32 v30, 24, v30
	v_bfrev_b32_e32 v29, 1
	s_mov_b32 s40, exec_lo
	s_delay_alu instid0(VALU_DEP_2)
	v_cmpx_ne_u32_e32 0x80, v30
	s_cbranch_execz .LBB326_41
; %bb.36:                               ;   in Loop: Header=BB326_10 Depth=1
	v_and_b32_e32 v31, 0x7f, v30
	v_mov_b32_e32 v29, 0x7fc02000
	s_mov_b32 s41, exec_lo
	s_delay_alu instid0(VALU_DEP_2)
	v_cmpx_ne_u32_e32 0x7f, v31
	s_cbranch_execz .LBB326_40
; %bb.37:                               ;   in Loop: Header=BB326_10 Depth=1
	v_and_b32_e32 v3, 7, v30
	v_lshrrev_b32_e32 v29, 3, v31
	s_mov_b32 s42, exec_lo
	v_cmpx_gt_u32_e32 8, v31
; %bb.38:                               ;   in Loop: Header=BB326_10 Depth=1
	s_delay_alu instid0(VALU_DEP_3) | instskip(NEXT) | instid1(VALU_DEP_1)
	v_clz_i32_u32_e32 v29, v3
	v_min_u32_e32 v29, 32, v29
	s_delay_alu instid0(VALU_DEP_1) | instskip(SKIP_1) | instid1(VALU_DEP_2)
	v_subrev_nc_u32_e32 v31, 28, v29
	v_sub_nc_u32_e32 v29, 29, v29
	v_lshlrev_b64 v[31:32], v31, v[3:4]
	s_delay_alu instid0(VALU_DEP_1)
	v_and_b32_e32 v3, 7, v31
; %bb.39:                               ;   in Loop: Header=BB326_10 Depth=1
	s_or_b32 exec_lo, exec_lo, s42
	v_lshlrev_b32_e32 v30, 8, v30
	v_lshl_add_u32 v29, v29, 10, 0x2000
	s_delay_alu instid0(VALU_DEP_1) | instskip(NEXT) | instid1(VALU_DEP_1)
	v_and_or_b32 v29, 0x8000, v30, v29
	v_lshl_or_b32 v3, v3, 7, v29
	s_delay_alu instid0(VALU_DEP_1)
	v_cvt_f32_f16_e32 v29, v3
.LBB326_40:                             ;   in Loop: Header=BB326_10 Depth=1
	s_or_b32 exec_lo, exec_lo, s41
.LBB326_41:                             ;   in Loop: Header=BB326_10 Depth=1
	s_delay_alu instid0(SALU_CYCLE_1)
	s_or_b32 exec_lo, exec_lo, s40
.LBB326_42:                             ;   in Loop: Header=BB326_10 Depth=1
	s_delay_alu instid0(SALU_CYCLE_1) | instskip(SKIP_4) | instid1(VALU_DEP_1)
	s_or_b32 exec_lo, exec_lo, s3
	global_load_b32 v34, v[9:10], off offset:8
	s_mov_b32 s3, exec_lo
	s_waitcnt vmcnt(0)
	v_and_b32_e32 v3, 0xff, v34
	v_cmpx_ne_u16_e32 0, v3
	s_cbranch_execz .LBB326_50
; %bb.43:                               ;   in Loop: Header=BB326_10 Depth=1
	v_bfrev_b32_e32 v28, 1
	s_mov_b32 s40, exec_lo
	v_cmpx_ne_u16_e32 0x80, v3
	s_cbranch_execz .LBB326_49
; %bb.44:                               ;   in Loop: Header=BB326_10 Depth=1
	v_and_b32_e32 v30, 0x7f, v34
	v_mov_b32_e32 v28, 0x7fc02000
	s_mov_b32 s41, exec_lo
	s_delay_alu instid0(VALU_DEP_2)
	v_cmpx_ne_u32_e32 0x7f, v30
	s_cbranch_execz .LBB326_48
; %bb.45:                               ;   in Loop: Header=BB326_10 Depth=1
	v_and_b32_e32 v3, 7, v34
	v_lshrrev_b32_e32 v28, 3, v30
	s_mov_b32 s42, exec_lo
	v_cmpx_gt_u32_e32 8, v30
; %bb.46:                               ;   in Loop: Header=BB326_10 Depth=1
	s_delay_alu instid0(VALU_DEP_3) | instskip(NEXT) | instid1(VALU_DEP_1)
	v_clz_i32_u32_e32 v28, v3
	v_min_u32_e32 v28, 32, v28
	s_delay_alu instid0(VALU_DEP_1) | instskip(SKIP_1) | instid1(VALU_DEP_2)
	v_subrev_nc_u32_e32 v30, 28, v28
	v_sub_nc_u32_e32 v28, 29, v28
	v_lshlrev_b64 v[30:31], v30, v[3:4]
	s_delay_alu instid0(VALU_DEP_1)
	v_and_b32_e32 v3, 7, v30
; %bb.47:                               ;   in Loop: Header=BB326_10 Depth=1
	s_or_b32 exec_lo, exec_lo, s42
	v_lshlrev_b32_e32 v30, 8, v34
	v_lshl_add_u32 v28, v28, 10, 0x2000
	s_delay_alu instid0(VALU_DEP_1) | instskip(NEXT) | instid1(VALU_DEP_1)
	v_and_or_b32 v28, 0x8000, v30, v28
	v_lshl_or_b32 v3, v3, 7, v28
	s_delay_alu instid0(VALU_DEP_1)
	v_cvt_f32_f16_e32 v28, v3
.LBB326_48:                             ;   in Loop: Header=BB326_10 Depth=1
	s_or_b32 exec_lo, exec_lo, s41
.LBB326_49:                             ;   in Loop: Header=BB326_10 Depth=1
	s_delay_alu instid0(SALU_CYCLE_1)
	s_or_b32 exec_lo, exec_lo, s40
.LBB326_50:                             ;   in Loop: Header=BB326_10 Depth=1
	s_delay_alu instid0(SALU_CYCLE_1) | instskip(SKIP_3) | instid1(VALU_DEP_2)
	s_or_b32 exec_lo, exec_lo, s3
	v_lshrrev_b16 v3, 8, v34
	v_dual_mov_b32 v30, 0 :: v_dual_mov_b32 v31, 0
	s_mov_b32 s3, exec_lo
	v_cmpx_ne_u16_e32 0, v3
	s_cbranch_execz .LBB326_58
; %bb.51:                               ;   in Loop: Header=BB326_10 Depth=1
	v_bfrev_b32_e32 v31, 1
	s_mov_b32 s40, exec_lo
	v_cmpx_ne_u16_e32 0x80, v3
	s_cbranch_execz .LBB326_57
; %bb.52:                               ;   in Loop: Header=BB326_10 Depth=1
	v_and_b32_e32 v32, 0xffff, v3
	v_mov_b32_e32 v31, 0x7fc02000
	s_mov_b32 s41, exec_lo
	s_delay_alu instid0(VALU_DEP_2) | instskip(NEXT) | instid1(VALU_DEP_1)
	v_and_b32_e32 v33, 0x7f, v32
	v_cmpx_ne_u32_e32 0x7f, v33
	s_cbranch_execz .LBB326_56
; %bb.53:                               ;   in Loop: Header=BB326_10 Depth=1
	v_and_b32_e32 v3, 7, v32
	v_lshrrev_b32_e32 v31, 3, v33
	s_mov_b32 s42, exec_lo
	v_cmpx_gt_u32_e32 8, v33
; %bb.54:                               ;   in Loop: Header=BB326_10 Depth=1
	s_delay_alu instid0(VALU_DEP_3) | instskip(NEXT) | instid1(VALU_DEP_1)
	v_clz_i32_u32_e32 v31, v3
	v_min_u32_e32 v31, 32, v31
	s_delay_alu instid0(VALU_DEP_1) | instskip(SKIP_1) | instid1(VALU_DEP_2)
	v_subrev_nc_u32_e32 v33, 28, v31
	v_sub_nc_u32_e32 v31, 29, v31
	v_lshlrev_b64 v[35:36], v33, v[3:4]
	s_delay_alu instid0(VALU_DEP_1)
	v_and_b32_e32 v3, 7, v35
; %bb.55:                               ;   in Loop: Header=BB326_10 Depth=1
	s_or_b32 exec_lo, exec_lo, s42
	v_lshlrev_b32_e32 v32, 8, v32
	v_lshl_add_u32 v31, v31, 10, 0x2000
	s_delay_alu instid0(VALU_DEP_1) | instskip(NEXT) | instid1(VALU_DEP_1)
	v_and_or_b32 v31, 0x8000, v32, v31
	v_lshl_or_b32 v3, v3, 7, v31
	s_delay_alu instid0(VALU_DEP_1)
	v_cvt_f32_f16_e32 v31, v3
.LBB326_56:                             ;   in Loop: Header=BB326_10 Depth=1
	s_or_b32 exec_lo, exec_lo, s41
.LBB326_57:                             ;   in Loop: Header=BB326_10 Depth=1
	s_delay_alu instid0(SALU_CYCLE_1)
	s_or_b32 exec_lo, exec_lo, s40
.LBB326_58:                             ;   in Loop: Header=BB326_10 Depth=1
	s_delay_alu instid0(SALU_CYCLE_1) | instskip(SKIP_2) | instid1(VALU_DEP_1)
	s_or_b32 exec_lo, exec_lo, s3
	v_lshrrev_b32_e32 v32, 16, v34
	s_mov_b32 s3, exec_lo
	v_and_b32_e32 v3, 0xff, v32
	s_delay_alu instid0(VALU_DEP_1)
	v_cmpx_ne_u16_e32 0, v3
	s_cbranch_execz .LBB326_66
; %bb.59:                               ;   in Loop: Header=BB326_10 Depth=1
	v_bfrev_b32_e32 v30, 1
	s_mov_b32 s40, exec_lo
	v_cmpx_ne_u16_e32 0x80, v3
	s_cbranch_execz .LBB326_65
; %bb.60:                               ;   in Loop: Header=BB326_10 Depth=1
	v_bfe_u32 v33, v34, 16, 7
	v_mov_b32_e32 v30, 0x7fc02000
	s_mov_b32 s41, exec_lo
	s_delay_alu instid0(VALU_DEP_2)
	v_cmpx_ne_u32_e32 0x7f, v33
	s_cbranch_execz .LBB326_64
; %bb.61:                               ;   in Loop: Header=BB326_10 Depth=1
	v_and_b32_e32 v3, 7, v32
	v_lshrrev_b32_e32 v30, 3, v33
	s_mov_b32 s42, exec_lo
	v_cmpx_gt_u32_e32 8, v33
; %bb.62:                               ;   in Loop: Header=BB326_10 Depth=1
	s_delay_alu instid0(VALU_DEP_3) | instskip(NEXT) | instid1(VALU_DEP_1)
	v_clz_i32_u32_e32 v30, v3
	v_min_u32_e32 v30, 32, v30
	s_delay_alu instid0(VALU_DEP_1) | instskip(SKIP_1) | instid1(VALU_DEP_2)
	v_subrev_nc_u32_e32 v33, 28, v30
	v_sub_nc_u32_e32 v30, 29, v30
	v_lshlrev_b64 v[35:36], v33, v[3:4]
	s_delay_alu instid0(VALU_DEP_1)
	v_and_b32_e32 v3, 7, v35
; %bb.63:                               ;   in Loop: Header=BB326_10 Depth=1
	s_or_b32 exec_lo, exec_lo, s42
	v_lshlrev_b32_e32 v32, 8, v32
	v_lshl_add_u32 v30, v30, 10, 0x2000
	s_delay_alu instid0(VALU_DEP_1) | instskip(NEXT) | instid1(VALU_DEP_1)
	v_and_or_b32 v30, 0x8000, v32, v30
	v_lshl_or_b32 v3, v3, 7, v30
	s_delay_alu instid0(VALU_DEP_1)
	v_cvt_f32_f16_e32 v30, v3
.LBB326_64:                             ;   in Loop: Header=BB326_10 Depth=1
	s_or_b32 exec_lo, exec_lo, s41
.LBB326_65:                             ;   in Loop: Header=BB326_10 Depth=1
	s_delay_alu instid0(SALU_CYCLE_1)
	s_or_b32 exec_lo, exec_lo, s40
.LBB326_66:                             ;   in Loop: Header=BB326_10 Depth=1
	s_delay_alu instid0(SALU_CYCLE_1)
	s_or_b32 exec_lo, exec_lo, s3
	v_dual_mov_b32 v32, 0 :: v_dual_mov_b32 v33, 0
	s_mov_b32 s3, exec_lo
	v_cmpx_lt_u32_e32 0xffffff, v34
	s_cbranch_execz .LBB326_74
; %bb.67:                               ;   in Loop: Header=BB326_10 Depth=1
	v_lshrrev_b32_e32 v34, 24, v34
	v_bfrev_b32_e32 v33, 1
	s_mov_b32 s40, exec_lo
	s_delay_alu instid0(VALU_DEP_2)
	v_cmpx_ne_u32_e32 0x80, v34
	s_cbranch_execz .LBB326_73
; %bb.68:                               ;   in Loop: Header=BB326_10 Depth=1
	v_and_b32_e32 v35, 0x7f, v34
	v_mov_b32_e32 v33, 0x7fc02000
	s_mov_b32 s41, exec_lo
	s_delay_alu instid0(VALU_DEP_2)
	v_cmpx_ne_u32_e32 0x7f, v35
	s_cbranch_execz .LBB326_72
; %bb.69:                               ;   in Loop: Header=BB326_10 Depth=1
	v_and_b32_e32 v3, 7, v34
	v_lshrrev_b32_e32 v33, 3, v35
	s_mov_b32 s42, exec_lo
	v_cmpx_gt_u32_e32 8, v35
; %bb.70:                               ;   in Loop: Header=BB326_10 Depth=1
	s_delay_alu instid0(VALU_DEP_3) | instskip(NEXT) | instid1(VALU_DEP_1)
	v_clz_i32_u32_e32 v33, v3
	v_min_u32_e32 v33, 32, v33
	s_delay_alu instid0(VALU_DEP_1) | instskip(SKIP_1) | instid1(VALU_DEP_2)
	v_subrev_nc_u32_e32 v35, 28, v33
	v_sub_nc_u32_e32 v33, 29, v33
	v_lshlrev_b64 v[35:36], v35, v[3:4]
	s_delay_alu instid0(VALU_DEP_1)
	v_and_b32_e32 v3, 7, v35
; %bb.71:                               ;   in Loop: Header=BB326_10 Depth=1
	s_or_b32 exec_lo, exec_lo, s42
	v_lshlrev_b32_e32 v34, 8, v34
	v_lshl_add_u32 v33, v33, 10, 0x2000
	s_delay_alu instid0(VALU_DEP_1) | instskip(NEXT) | instid1(VALU_DEP_1)
	v_and_or_b32 v33, 0x8000, v34, v33
	v_lshl_or_b32 v3, v3, 7, v33
	s_delay_alu instid0(VALU_DEP_1)
	v_cvt_f32_f16_e32 v33, v3
.LBB326_72:                             ;   in Loop: Header=BB326_10 Depth=1
	s_or_b32 exec_lo, exec_lo, s41
.LBB326_73:                             ;   in Loop: Header=BB326_10 Depth=1
	s_delay_alu instid0(SALU_CYCLE_1)
	s_or_b32 exec_lo, exec_lo, s40
.LBB326_74:                             ;   in Loop: Header=BB326_10 Depth=1
	s_delay_alu instid0(SALU_CYCLE_1) | instskip(SKIP_4) | instid1(VALU_DEP_1)
	s_or_b32 exec_lo, exec_lo, s3
	global_load_b32 v38, v[9:10], off offset:256
	s_mov_b32 s3, exec_lo
	s_waitcnt vmcnt(0)
	v_and_b32_e32 v3, 0xff, v38
	v_cmpx_ne_u16_e32 0, v3
	s_cbranch_execz .LBB326_82
; %bb.75:                               ;   in Loop: Header=BB326_10 Depth=1
	v_bfrev_b32_e32 v32, 1
	s_mov_b32 s40, exec_lo
	v_cmpx_ne_u16_e32 0x80, v3
	s_cbranch_execz .LBB326_81
; %bb.76:                               ;   in Loop: Header=BB326_10 Depth=1
	v_and_b32_e32 v34, 0x7f, v38
	v_mov_b32_e32 v32, 0x7fc02000
	s_mov_b32 s41, exec_lo
	s_delay_alu instid0(VALU_DEP_2)
	v_cmpx_ne_u32_e32 0x7f, v34
	s_cbranch_execz .LBB326_80
; %bb.77:                               ;   in Loop: Header=BB326_10 Depth=1
	v_and_b32_e32 v3, 7, v38
	v_lshrrev_b32_e32 v32, 3, v34
	s_mov_b32 s42, exec_lo
	v_cmpx_gt_u32_e32 8, v34
; %bb.78:                               ;   in Loop: Header=BB326_10 Depth=1
	s_delay_alu instid0(VALU_DEP_3) | instskip(NEXT) | instid1(VALU_DEP_1)
	v_clz_i32_u32_e32 v32, v3
	v_min_u32_e32 v32, 32, v32
	s_delay_alu instid0(VALU_DEP_1) | instskip(SKIP_1) | instid1(VALU_DEP_2)
	v_subrev_nc_u32_e32 v34, 28, v32
	v_sub_nc_u32_e32 v32, 29, v32
	v_lshlrev_b64 v[34:35], v34, v[3:4]
	s_delay_alu instid0(VALU_DEP_1)
	v_and_b32_e32 v3, 7, v34
; %bb.79:                               ;   in Loop: Header=BB326_10 Depth=1
	s_or_b32 exec_lo, exec_lo, s42
	v_lshlrev_b32_e32 v34, 8, v38
	v_lshl_add_u32 v32, v32, 10, 0x2000
	s_delay_alu instid0(VALU_DEP_1) | instskip(NEXT) | instid1(VALU_DEP_1)
	v_and_or_b32 v32, 0x8000, v34, v32
	v_lshl_or_b32 v3, v3, 7, v32
	s_delay_alu instid0(VALU_DEP_1)
	v_cvt_f32_f16_e32 v32, v3
.LBB326_80:                             ;   in Loop: Header=BB326_10 Depth=1
	s_or_b32 exec_lo, exec_lo, s41
.LBB326_81:                             ;   in Loop: Header=BB326_10 Depth=1
	s_delay_alu instid0(SALU_CYCLE_1)
	s_or_b32 exec_lo, exec_lo, s40
.LBB326_82:                             ;   in Loop: Header=BB326_10 Depth=1
	s_delay_alu instid0(SALU_CYCLE_1) | instskip(SKIP_3) | instid1(VALU_DEP_2)
	s_or_b32 exec_lo, exec_lo, s3
	v_lshrrev_b16 v3, 8, v38
	v_dual_mov_b32 v34, 0 :: v_dual_mov_b32 v35, 0
	s_mov_b32 s3, exec_lo
	v_cmpx_ne_u16_e32 0, v3
	s_cbranch_execz .LBB326_90
; %bb.83:                               ;   in Loop: Header=BB326_10 Depth=1
	v_bfrev_b32_e32 v35, 1
	s_mov_b32 s40, exec_lo
	v_cmpx_ne_u16_e32 0x80, v3
	s_cbranch_execz .LBB326_89
; %bb.84:                               ;   in Loop: Header=BB326_10 Depth=1
	v_and_b32_e32 v36, 0xffff, v3
	v_mov_b32_e32 v35, 0x7fc02000
	s_mov_b32 s41, exec_lo
	s_delay_alu instid0(VALU_DEP_2) | instskip(NEXT) | instid1(VALU_DEP_1)
	v_and_b32_e32 v37, 0x7f, v36
	v_cmpx_ne_u32_e32 0x7f, v37
	s_cbranch_execz .LBB326_88
; %bb.85:                               ;   in Loop: Header=BB326_10 Depth=1
	v_and_b32_e32 v3, 7, v36
	v_lshrrev_b32_e32 v35, 3, v37
	s_mov_b32 s42, exec_lo
	v_cmpx_gt_u32_e32 8, v37
; %bb.86:                               ;   in Loop: Header=BB326_10 Depth=1
	s_delay_alu instid0(VALU_DEP_3) | instskip(NEXT) | instid1(VALU_DEP_1)
	v_clz_i32_u32_e32 v35, v3
	v_min_u32_e32 v35, 32, v35
	s_delay_alu instid0(VALU_DEP_1) | instskip(SKIP_1) | instid1(VALU_DEP_2)
	v_subrev_nc_u32_e32 v37, 28, v35
	v_sub_nc_u32_e32 v35, 29, v35
	v_lshlrev_b64 v[39:40], v37, v[3:4]
	s_delay_alu instid0(VALU_DEP_1)
	v_and_b32_e32 v3, 7, v39
; %bb.87:                               ;   in Loop: Header=BB326_10 Depth=1
	s_or_b32 exec_lo, exec_lo, s42
	v_lshlrev_b32_e32 v36, 8, v36
	v_lshl_add_u32 v35, v35, 10, 0x2000
	s_delay_alu instid0(VALU_DEP_1) | instskip(NEXT) | instid1(VALU_DEP_1)
	v_and_or_b32 v35, 0x8000, v36, v35
	v_lshl_or_b32 v3, v3, 7, v35
	s_delay_alu instid0(VALU_DEP_1)
	v_cvt_f32_f16_e32 v35, v3
.LBB326_88:                             ;   in Loop: Header=BB326_10 Depth=1
	s_or_b32 exec_lo, exec_lo, s41
.LBB326_89:                             ;   in Loop: Header=BB326_10 Depth=1
	s_delay_alu instid0(SALU_CYCLE_1)
	s_or_b32 exec_lo, exec_lo, s40
.LBB326_90:                             ;   in Loop: Header=BB326_10 Depth=1
	s_delay_alu instid0(SALU_CYCLE_1) | instskip(SKIP_2) | instid1(VALU_DEP_1)
	s_or_b32 exec_lo, exec_lo, s3
	v_lshrrev_b32_e32 v36, 16, v38
	s_mov_b32 s3, exec_lo
	v_and_b32_e32 v3, 0xff, v36
	s_delay_alu instid0(VALU_DEP_1)
	v_cmpx_ne_u16_e32 0, v3
	s_cbranch_execz .LBB326_98
; %bb.91:                               ;   in Loop: Header=BB326_10 Depth=1
	v_bfrev_b32_e32 v34, 1
	s_mov_b32 s40, exec_lo
	v_cmpx_ne_u16_e32 0x80, v3
	s_cbranch_execz .LBB326_97
; %bb.92:                               ;   in Loop: Header=BB326_10 Depth=1
	v_bfe_u32 v37, v38, 16, 7
	v_mov_b32_e32 v34, 0x7fc02000
	s_mov_b32 s41, exec_lo
	s_delay_alu instid0(VALU_DEP_2)
	v_cmpx_ne_u32_e32 0x7f, v37
	s_cbranch_execz .LBB326_96
; %bb.93:                               ;   in Loop: Header=BB326_10 Depth=1
	v_and_b32_e32 v3, 7, v36
	v_lshrrev_b32_e32 v34, 3, v37
	s_mov_b32 s42, exec_lo
	v_cmpx_gt_u32_e32 8, v37
; %bb.94:                               ;   in Loop: Header=BB326_10 Depth=1
	s_delay_alu instid0(VALU_DEP_3) | instskip(NEXT) | instid1(VALU_DEP_1)
	v_clz_i32_u32_e32 v34, v3
	v_min_u32_e32 v34, 32, v34
	s_delay_alu instid0(VALU_DEP_1) | instskip(SKIP_1) | instid1(VALU_DEP_2)
	v_subrev_nc_u32_e32 v37, 28, v34
	v_sub_nc_u32_e32 v34, 29, v34
	v_lshlrev_b64 v[39:40], v37, v[3:4]
	s_delay_alu instid0(VALU_DEP_1)
	v_and_b32_e32 v3, 7, v39
; %bb.95:                               ;   in Loop: Header=BB326_10 Depth=1
	s_or_b32 exec_lo, exec_lo, s42
	v_lshlrev_b32_e32 v36, 8, v36
	v_lshl_add_u32 v34, v34, 10, 0x2000
	s_delay_alu instid0(VALU_DEP_1) | instskip(NEXT) | instid1(VALU_DEP_1)
	v_and_or_b32 v34, 0x8000, v36, v34
	v_lshl_or_b32 v3, v3, 7, v34
	s_delay_alu instid0(VALU_DEP_1)
	v_cvt_f32_f16_e32 v34, v3
.LBB326_96:                             ;   in Loop: Header=BB326_10 Depth=1
	s_or_b32 exec_lo, exec_lo, s41
.LBB326_97:                             ;   in Loop: Header=BB326_10 Depth=1
	s_delay_alu instid0(SALU_CYCLE_1)
	s_or_b32 exec_lo, exec_lo, s40
.LBB326_98:                             ;   in Loop: Header=BB326_10 Depth=1
	s_delay_alu instid0(SALU_CYCLE_1)
	s_or_b32 exec_lo, exec_lo, s3
	v_dual_mov_b32 v36, 0 :: v_dual_mov_b32 v37, 0
	s_mov_b32 s3, exec_lo
	v_cmpx_lt_u32_e32 0xffffff, v38
	s_cbranch_execz .LBB326_106
; %bb.99:                               ;   in Loop: Header=BB326_10 Depth=1
	v_lshrrev_b32_e32 v38, 24, v38
	v_bfrev_b32_e32 v37, 1
	s_mov_b32 s40, exec_lo
	s_delay_alu instid0(VALU_DEP_2)
	v_cmpx_ne_u32_e32 0x80, v38
	s_cbranch_execz .LBB326_105
; %bb.100:                              ;   in Loop: Header=BB326_10 Depth=1
	v_and_b32_e32 v39, 0x7f, v38
	v_mov_b32_e32 v37, 0x7fc02000
	s_mov_b32 s41, exec_lo
	s_delay_alu instid0(VALU_DEP_2)
	v_cmpx_ne_u32_e32 0x7f, v39
	s_cbranch_execz .LBB326_104
; %bb.101:                              ;   in Loop: Header=BB326_10 Depth=1
	v_and_b32_e32 v3, 7, v38
	v_lshrrev_b32_e32 v37, 3, v39
	s_mov_b32 s42, exec_lo
	v_cmpx_gt_u32_e32 8, v39
; %bb.102:                              ;   in Loop: Header=BB326_10 Depth=1
	s_delay_alu instid0(VALU_DEP_3) | instskip(NEXT) | instid1(VALU_DEP_1)
	v_clz_i32_u32_e32 v37, v3
	v_min_u32_e32 v37, 32, v37
	s_delay_alu instid0(VALU_DEP_1) | instskip(SKIP_1) | instid1(VALU_DEP_2)
	v_subrev_nc_u32_e32 v39, 28, v37
	v_sub_nc_u32_e32 v37, 29, v37
	v_lshlrev_b64 v[39:40], v39, v[3:4]
	s_delay_alu instid0(VALU_DEP_1)
	v_and_b32_e32 v3, 7, v39
; %bb.103:                              ;   in Loop: Header=BB326_10 Depth=1
	s_or_b32 exec_lo, exec_lo, s42
	v_lshlrev_b32_e32 v38, 8, v38
	v_lshl_add_u32 v37, v37, 10, 0x2000
	s_delay_alu instid0(VALU_DEP_1) | instskip(NEXT) | instid1(VALU_DEP_1)
	v_and_or_b32 v37, 0x8000, v38, v37
	v_lshl_or_b32 v3, v3, 7, v37
	s_delay_alu instid0(VALU_DEP_1)
	v_cvt_f32_f16_e32 v37, v3
.LBB326_104:                            ;   in Loop: Header=BB326_10 Depth=1
	s_or_b32 exec_lo, exec_lo, s41
.LBB326_105:                            ;   in Loop: Header=BB326_10 Depth=1
	s_delay_alu instid0(SALU_CYCLE_1)
	s_or_b32 exec_lo, exec_lo, s40
.LBB326_106:                            ;   in Loop: Header=BB326_10 Depth=1
	s_delay_alu instid0(SALU_CYCLE_1) | instskip(SKIP_4) | instid1(VALU_DEP_1)
	s_or_b32 exec_lo, exec_lo, s3
	global_load_b32 v38, v[9:10], off offset:264
	s_mov_b32 s3, exec_lo
	s_waitcnt vmcnt(0)
	v_and_b32_e32 v3, 0xff, v38
	v_cmpx_ne_u16_e32 0, v3
	s_cbranch_execz .LBB326_114
; %bb.107:                              ;   in Loop: Header=BB326_10 Depth=1
	v_bfrev_b32_e32 v36, 1
	s_mov_b32 s40, exec_lo
	v_cmpx_ne_u16_e32 0x80, v3
	s_cbranch_execz .LBB326_113
; %bb.108:                              ;   in Loop: Header=BB326_10 Depth=1
	v_and_b32_e32 v10, 0x7f, v38
	v_mov_b32_e32 v36, 0x7fc02000
	s_mov_b32 s41, exec_lo
	s_delay_alu instid0(VALU_DEP_2)
	v_cmpx_ne_u32_e32 0x7f, v10
	s_cbranch_execz .LBB326_112
; %bb.109:                              ;   in Loop: Header=BB326_10 Depth=1
	v_and_b32_e32 v3, 7, v38
	v_lshrrev_b32_e32 v9, 3, v10
	s_mov_b32 s42, exec_lo
	v_cmpx_gt_u32_e32 8, v10
; %bb.110:                              ;   in Loop: Header=BB326_10 Depth=1
	s_delay_alu instid0(VALU_DEP_3) | instskip(NEXT) | instid1(VALU_DEP_1)
	v_clz_i32_u32_e32 v9, v3
	v_min_u32_e32 v9, 32, v9
	s_delay_alu instid0(VALU_DEP_1) | instskip(SKIP_1) | instid1(VALU_DEP_2)
	v_subrev_nc_u32_e32 v10, 28, v9
	v_sub_nc_u32_e32 v9, 29, v9
	v_lshlrev_b64 v[39:40], v10, v[3:4]
	s_delay_alu instid0(VALU_DEP_1)
	v_and_b32_e32 v3, 7, v39
; %bb.111:                              ;   in Loop: Header=BB326_10 Depth=1
	s_or_b32 exec_lo, exec_lo, s42
	v_lshlrev_b32_e32 v10, 8, v38
	v_lshl_add_u32 v9, v9, 10, 0x2000
	s_delay_alu instid0(VALU_DEP_1) | instskip(NEXT) | instid1(VALU_DEP_1)
	v_and_or_b32 v9, 0x8000, v10, v9
	v_lshl_or_b32 v3, v3, 7, v9
	s_delay_alu instid0(VALU_DEP_1)
	v_cvt_f32_f16_e32 v36, v3
.LBB326_112:                            ;   in Loop: Header=BB326_10 Depth=1
	s_or_b32 exec_lo, exec_lo, s41
.LBB326_113:                            ;   in Loop: Header=BB326_10 Depth=1
	s_delay_alu instid0(SALU_CYCLE_1)
	s_or_b32 exec_lo, exec_lo, s40
.LBB326_114:                            ;   in Loop: Header=BB326_10 Depth=1
	s_delay_alu instid0(SALU_CYCLE_1) | instskip(SKIP_3) | instid1(VALU_DEP_2)
	s_or_b32 exec_lo, exec_lo, s3
	v_lshrrev_b16 v3, 8, v38
	v_dual_mov_b32 v9, 0 :: v_dual_mov_b32 v10, 0
	s_mov_b32 s3, exec_lo
	v_cmpx_ne_u16_e32 0, v3
	s_cbranch_execz .LBB326_122
; %bb.115:                              ;   in Loop: Header=BB326_10 Depth=1
	v_bfrev_b32_e32 v10, 1
	s_mov_b32 s40, exec_lo
	v_cmpx_ne_u16_e32 0x80, v3
	s_cbranch_execz .LBB326_121
; %bb.116:                              ;   in Loop: Header=BB326_10 Depth=1
	v_and_b32_e32 v39, 0xffff, v3
	v_mov_b32_e32 v10, 0x7fc02000
	s_mov_b32 s41, exec_lo
	s_delay_alu instid0(VALU_DEP_2) | instskip(NEXT) | instid1(VALU_DEP_1)
	v_and_b32_e32 v40, 0x7f, v39
	v_cmpx_ne_u32_e32 0x7f, v40
	s_cbranch_execz .LBB326_120
; %bb.117:                              ;   in Loop: Header=BB326_10 Depth=1
	v_and_b32_e32 v3, 7, v39
	v_lshrrev_b32_e32 v10, 3, v40
	s_mov_b32 s42, exec_lo
	v_cmpx_gt_u32_e32 8, v40
; %bb.118:                              ;   in Loop: Header=BB326_10 Depth=1
	s_delay_alu instid0(VALU_DEP_3) | instskip(NEXT) | instid1(VALU_DEP_1)
	v_clz_i32_u32_e32 v10, v3
	v_min_u32_e32 v10, 32, v10
	s_delay_alu instid0(VALU_DEP_1) | instskip(SKIP_1) | instid1(VALU_DEP_2)
	v_subrev_nc_u32_e32 v40, 28, v10
	v_sub_nc_u32_e32 v10, 29, v10
	v_lshlrev_b64 v[40:41], v40, v[3:4]
	s_delay_alu instid0(VALU_DEP_1)
	v_and_b32_e32 v3, 7, v40
; %bb.119:                              ;   in Loop: Header=BB326_10 Depth=1
	s_or_b32 exec_lo, exec_lo, s42
	v_lshlrev_b32_e32 v39, 8, v39
	v_lshl_add_u32 v10, v10, 10, 0x2000
	s_delay_alu instid0(VALU_DEP_1) | instskip(NEXT) | instid1(VALU_DEP_1)
	v_and_or_b32 v10, 0x8000, v39, v10
	v_lshl_or_b32 v3, v3, 7, v10
	s_delay_alu instid0(VALU_DEP_1)
	v_cvt_f32_f16_e32 v10, v3
.LBB326_120:                            ;   in Loop: Header=BB326_10 Depth=1
	s_or_b32 exec_lo, exec_lo, s41
.LBB326_121:                            ;   in Loop: Header=BB326_10 Depth=1
	s_delay_alu instid0(SALU_CYCLE_1)
	s_or_b32 exec_lo, exec_lo, s40
.LBB326_122:                            ;   in Loop: Header=BB326_10 Depth=1
	s_delay_alu instid0(SALU_CYCLE_1) | instskip(SKIP_2) | instid1(VALU_DEP_1)
	s_or_b32 exec_lo, exec_lo, s3
	v_lshrrev_b32_e32 v39, 16, v38
	s_mov_b32 s3, exec_lo
	v_and_b32_e32 v3, 0xff, v39
	s_delay_alu instid0(VALU_DEP_1)
	v_cmpx_ne_u16_e32 0, v3
	s_cbranch_execz .LBB326_130
; %bb.123:                              ;   in Loop: Header=BB326_10 Depth=1
	v_bfrev_b32_e32 v9, 1
	s_mov_b32 s40, exec_lo
	v_cmpx_ne_u16_e32 0x80, v3
	s_cbranch_execz .LBB326_129
; %bb.124:                              ;   in Loop: Header=BB326_10 Depth=1
	v_bfe_u32 v40, v38, 16, 7
	v_mov_b32_e32 v9, 0x7fc02000
	s_mov_b32 s41, exec_lo
	s_delay_alu instid0(VALU_DEP_2)
	v_cmpx_ne_u32_e32 0x7f, v40
	s_cbranch_execz .LBB326_128
; %bb.125:                              ;   in Loop: Header=BB326_10 Depth=1
	v_and_b32_e32 v3, 7, v39
	v_lshrrev_b32_e32 v9, 3, v40
	s_mov_b32 s42, exec_lo
	v_cmpx_gt_u32_e32 8, v40
; %bb.126:                              ;   in Loop: Header=BB326_10 Depth=1
	s_delay_alu instid0(VALU_DEP_3) | instskip(NEXT) | instid1(VALU_DEP_1)
	v_clz_i32_u32_e32 v9, v3
	v_min_u32_e32 v9, 32, v9
	s_delay_alu instid0(VALU_DEP_1) | instskip(SKIP_1) | instid1(VALU_DEP_2)
	v_subrev_nc_u32_e32 v40, 28, v9
	v_sub_nc_u32_e32 v9, 29, v9
	v_lshlrev_b64 v[40:41], v40, v[3:4]
	s_delay_alu instid0(VALU_DEP_1)
	v_and_b32_e32 v3, 7, v40
; %bb.127:                              ;   in Loop: Header=BB326_10 Depth=1
	s_or_b32 exec_lo, exec_lo, s42
	v_lshlrev_b32_e32 v39, 8, v39
	v_lshl_add_u32 v9, v9, 10, 0x2000
	s_delay_alu instid0(VALU_DEP_1) | instskip(NEXT) | instid1(VALU_DEP_1)
	v_and_or_b32 v9, 0x8000, v39, v9
	v_lshl_or_b32 v3, v3, 7, v9
	s_delay_alu instid0(VALU_DEP_1)
	v_cvt_f32_f16_e32 v9, v3
.LBB326_128:                            ;   in Loop: Header=BB326_10 Depth=1
	s_or_b32 exec_lo, exec_lo, s41
.LBB326_129:                            ;   in Loop: Header=BB326_10 Depth=1
	s_delay_alu instid0(SALU_CYCLE_1)
	s_or_b32 exec_lo, exec_lo, s40
.LBB326_130:                            ;   in Loop: Header=BB326_10 Depth=1
	s_delay_alu instid0(SALU_CYCLE_1)
	s_or_b32 exec_lo, exec_lo, s3
	v_mov_b32_e32 v3, 0
	s_mov_b32 s3, exec_lo
	v_cmpx_lt_u32_e32 0xffffff, v38
	s_cbranch_execz .LBB326_138
; %bb.131:                              ;   in Loop: Header=BB326_10 Depth=1
	v_lshrrev_b32_e32 v38, 24, v38
	v_bfrev_b32_e32 v3, 1
	s_mov_b32 s40, exec_lo
	s_delay_alu instid0(VALU_DEP_2)
	v_cmpx_ne_u32_e32 0x80, v38
	s_cbranch_execz .LBB326_137
; %bb.132:                              ;   in Loop: Header=BB326_10 Depth=1
	v_and_b32_e32 v40, 0x7f, v38
	v_mov_b32_e32 v3, 0x7fc02000
	s_mov_b32 s41, exec_lo
	s_delay_alu instid0(VALU_DEP_2)
	v_cmpx_ne_u32_e32 0x7f, v40
	s_cbranch_execz .LBB326_136
; %bb.133:                              ;   in Loop: Header=BB326_10 Depth=1
	v_and_b32_e32 v3, 7, v38
	v_lshrrev_b32_e32 v39, 3, v40
	s_mov_b32 s42, exec_lo
	v_cmpx_gt_u32_e32 8, v40
; %bb.134:                              ;   in Loop: Header=BB326_10 Depth=1
	s_delay_alu instid0(VALU_DEP_3) | instskip(NEXT) | instid1(VALU_DEP_1)
	v_clz_i32_u32_e32 v39, v3
	v_min_u32_e32 v39, 32, v39
	s_delay_alu instid0(VALU_DEP_1) | instskip(SKIP_1) | instid1(VALU_DEP_2)
	v_subrev_nc_u32_e32 v40, 28, v39
	v_sub_nc_u32_e32 v39, 29, v39
	v_lshlrev_b64 v[40:41], v40, v[3:4]
	s_delay_alu instid0(VALU_DEP_1)
	v_and_b32_e32 v3, 7, v40
; %bb.135:                              ;   in Loop: Header=BB326_10 Depth=1
	s_or_b32 exec_lo, exec_lo, s42
	v_lshlrev_b32_e32 v38, 8, v38
	v_lshl_add_u32 v39, v39, 10, 0x2000
	s_delay_alu instid0(VALU_DEP_1) | instskip(NEXT) | instid1(VALU_DEP_1)
	v_and_or_b32 v38, 0x8000, v38, v39
	v_lshl_or_b32 v3, v3, 7, v38
	s_delay_alu instid0(VALU_DEP_1)
	v_cvt_f32_f16_e32 v3, v3
.LBB326_136:                            ;   in Loop: Header=BB326_10 Depth=1
	s_or_b32 exec_lo, exec_lo, s41
.LBB326_137:                            ;   in Loop: Header=BB326_10 Depth=1
	s_delay_alu instid0(SALU_CYCLE_1)
	s_or_b32 exec_lo, exec_lo, s40
.LBB326_138:                            ;   in Loop: Header=BB326_10 Depth=1
	s_delay_alu instid0(SALU_CYCLE_1)
	s_or_b32 exec_lo, exec_lo, s3
	ds_load_b64 v[38:39], v20
	v_fma_mixlo_f16 v25, v24, v25, 0
	v_fma_mixlo_f16 v27, v24, v27, 0
	;; [unrolled: 1-line block ×5, first 2 shown]
	v_and_b32_e32 v25, 0xffff, v25
	v_and_b32_e32 v27, 0xffff, v27
	;; [unrolled: 1-line block ×3, first 2 shown]
	v_fma_mixlo_f16 v31, v24, v31, 0
	v_fma_mixlo_f16 v30, v24, v30, 0
	;; [unrolled: 1-line block ×5, first 2 shown]
	v_and_b32_e32 v31, 0xffff, v31
	v_fma_mixlo_f16 v34, v24, v34, 0
	v_fma_mixlo_f16 v37, v24, v37, 0
	v_and_b32_e32 v32, 0xffff, v32
	v_fma_mixlo_f16 v36, v24, v36, 0
	v_fma_mixlo_f16 v10, v24, v10, 0
	s_waitcnt lgkmcnt(0)
	v_and_b32_e32 v40, 0xffff, v38
	v_lshrrev_b32_e32 v38, 16, v38
	v_lshrrev_b32_e32 v41, 16, v39
	v_and_b32_e32 v39, 0xffff, v39
	;;#ASMSTART
	v_cvt_f32_f16 v40, v40;
	;;#ASMEND
	;;#ASMSTART
	v_cvt_f32_f16 v38, v38;
	;;#ASMEND
	;; [unrolled: 3-line block ×3, first 2 shown]
	v_and_b32_e32 v29, 0xffff, v29
	;;#ASMSTART
	v_cvt_f32_f16 v27, v27;
	;;#ASMEND
	;;#ASMSTART
	v_cvt_f32_f16 v39, v39;
	;;#ASMEND
	;; [unrolled: 3-line block ×5, first 2 shown]
	ds_load_b64 v[25:26], v20 offset:8
	v_and_b32_e32 v28, 0xffff, v28
	v_and_b32_e32 v30, 0xffff, v30
	v_and_b32_e32 v34, 0xffff, v34
	v_and_b32_e32 v37, 0xffff, v37
	v_fma_mixlo_f16 v9, v24, v9, 0
	v_fma_mixlo_f16 v3, v24, v3, 0
	v_and_b32_e32 v24, 0xffff, v36
	v_and_b32_e32 v10, 0xffff, v10
	s_delay_alu instid0(VALU_DEP_4)
	v_and_b32_e32 v9, 0xffff, v9
	s_waitcnt lgkmcnt(0)
	v_and_b32_e32 v44, 0xffff, v25
	v_lshrrev_b32_e32 v45, 16, v26
	v_lshrrev_b32_e32 v25, 16, v25
	v_and_b32_e32 v26, 0xffff, v26
	;;#ASMSTART
	v_cvt_f32_f16 v44, v44;
	;;#ASMEND
	;;#ASMSTART
	v_cvt_f32_f16 v46, v25;
	;;#ASMEND
	;;#ASMSTART
	v_cvt_f32_f16 v28, v28;
	;;#ASMEND
	;;#ASMSTART
	v_cvt_f32_f16 v31, v31;
	;;#ASMEND
	;;#ASMSTART
	v_cvt_f32_f16 v47, v26;
	;;#ASMEND
	;;#ASMSTART
	v_cvt_f32_f16 v45, v45;
	;;#ASMEND
	;;#ASMSTART
	v_cvt_f32_f16 v30, v30;
	;;#ASMEND
	v_dual_mul_f32 v30, v47, v30 :: v_dual_and_b32 v33, 0xffff, v33
	v_dual_mul_f32 v28, v44, v28 :: v_dual_mul_f32 v31, v46, v31
	s_delay_alu instid0(VALU_DEP_2) | instskip(SKIP_4) | instid1(VALU_DEP_1)
	v_fmac_f32_e32 v30, v39, v43
	;;#ASMSTART
	v_cvt_f32_f16 v33, v33;
	;;#ASMEND
	ds_load_b64 v[25:26], v20 offset:16
	v_dual_fmac_f32 v28, v40, v42 :: v_dual_fmac_f32 v31, v38, v27
	v_mul_f32_e32 v33, v45, v33
	v_fmac_f32_e32 v33, v41, v29
	s_waitcnt lgkmcnt(0)
	v_and_b32_e32 v48, 0xffff, v25
	v_lshrrev_b32_e32 v25, 16, v25
	v_lshrrev_b32_e32 v49, 16, v26
	v_and_b32_e32 v26, 0xffff, v26
	;;#ASMSTART
	v_cvt_f32_f16 v48, v48;
	;;#ASMEND
	;;#ASMSTART
	v_cvt_f32_f16 v50, v25;
	;;#ASMEND
	;; [unrolled: 3-line block ×3, first 2 shown]
	v_dual_fmac_f32 v28, v48, v32 :: v_dual_and_b32 v35, 0xffff, v35
	;;#ASMSTART
	v_cvt_f32_f16 v35, v35;
	;;#ASMEND
	;;#ASMSTART
	v_cvt_f32_f16 v51, v26;
	;;#ASMEND
	;; [unrolled: 3-line block ×5, first 2 shown]
	ds_load_b64 v[25:26], v20 offset:24
	v_dual_fmac_f32 v31, v50, v35 :: v_dual_fmac_f32 v30, v51, v34
	v_fmac_f32_e32 v33, v49, v37
	s_waitcnt lgkmcnt(0)
	v_and_b32_e32 v27, 0xffff, v25
	v_lshrrev_b32_e32 v25, 16, v25
	;;#ASMSTART
	v_cvt_f32_f16 v27, v27;
	;;#ASMEND
	;;#ASMSTART
	v_cvt_f32_f16 v25, v25;
	;;#ASMEND
	;; [unrolled: 3-line block ×3, first 2 shown]
	v_fmac_f32_e32 v28, v27, v24
	;;#ASMSTART
	v_cvt_f32_f16 v10, v10;
	;;#ASMEND
	v_lshrrev_b32_e32 v29, 16, v26
	v_and_b32_e32 v26, 0xffff, v26
	v_fmac_f32_e32 v31, v25, v10
	;;#ASMSTART
	v_cvt_f32_f16 v10, v26;
	;;#ASMEND
	;;#ASMSTART
	v_cvt_f32_f16 v24, v29;
	;;#ASMEND
	;; [unrolled: 3-line block ×3, first 2 shown]
	v_dual_fmac_f32 v30, v10, v9 :: v_dual_and_b32 v3, 0xffff, v3
	v_xor_b32_e32 v10, 1, v18
	v_add_f32_e32 v9, v28, v31
	;;#ASMSTART
	v_cvt_f32_f16 v3, v3;
	;;#ASMEND
	s_delay_alu instid0(VALU_DEP_3) | instskip(NEXT) | instid1(VALU_DEP_3)
	v_fmac_f32_e32 v33, v24, v3
	v_cmp_gt_i32_e64 s1, 32, v10
	s_delay_alu instid0(VALU_DEP_3) | instskip(NEXT) | instid1(VALU_DEP_2)
	v_add_f32_e32 v3, v9, v30
	v_cndmask_b32_e64 v9, v18, v10, s1
	s_delay_alu instid0(VALU_DEP_2) | instskip(NEXT) | instid1(VALU_DEP_2)
	v_add_f32_e32 v3, v33, v3
	v_lshlrev_b32_e32 v9, 2, v9
	ds_bpermute_b32 v9, v9, v3
	s_and_saveexec_b32 s3, vcc_lo
	s_cbranch_execz .LBB326_9
; %bb.139:                              ;   in Loop: Header=BB326_10 Depth=1
	s_waitcnt lgkmcnt(0)
	v_add_f32_e32 v3, v3, v9
	v_add_nc_u32_e32 v10, s37, v21
	v_cmp_gt_i32_e64 s1, s15, v21
	s_delay_alu instid0(VALU_DEP_2) | instskip(NEXT) | instid1(VALU_DEP_1)
	v_cvt_f32_i32_e32 v10, v10
	v_mul_f32_e32 v10, s34, v10
	s_delay_alu instid0(VALU_DEP_1) | instskip(NEXT) | instid1(VALU_DEP_1)
	v_cndmask_b32_e64 v9, 0, v10, s0
	v_dual_max_f32 v10, v16, v16 :: v_dual_fmac_f32 v9, s35, v3
	s_delay_alu instid0(VALU_DEP_1) | instskip(SKIP_1) | instid1(VALU_DEP_2)
	v_max_f32_e32 v3, v10, v9
	v_cndmask_b32_e64 v9, 0, v9, s1
	v_cndmask_b32_e64 v16, v16, v3, s1
	ds_store_b32 v22, v9
	s_branch .LBB326_9
.LBB326_140:
	s_or_b32 exec_lo, exec_lo, s38
.LBB326_141:
	s_delay_alu instid0(SALU_CYCLE_1)
	s_or_b32 exec_lo, exec_lo, s36
	v_xor_b32_e32 v3, 16, v18
	v_xor_b32_e32 v4, 8, v18
	v_max_f32_e32 v7, v16, v16
	s_waitcnt lgkmcnt(0)
	v_lshlrev_b32_e32 v9, 2, v14
	v_cmp_lt_i32_e32 vcc_lo, v3, v17
	v_cndmask_b32_e32 v3, v18, v3, vcc_lo
	v_cmp_lt_i32_e32 vcc_lo, v4, v17
	v_cndmask_b32_e32 v4, v18, v4, vcc_lo
	s_delay_alu instid0(VALU_DEP_1) | instskip(NEXT) | instid1(VALU_DEP_4)
	v_lshlrev_b32_e32 v6, 2, v4
	v_lshlrev_b32_e32 v5, 2, v3
	ds_bpermute_b32 v3, v5, v16
	s_waitcnt lgkmcnt(0)
	v_dual_max_f32 v3, v3, v3 :: v_dual_and_b32 v16, 31, v0
	s_delay_alu instid0(VALU_DEP_1)
	v_max_f32_e32 v3, v7, v3
	v_xor_b32_e32 v7, 4, v18
	ds_bpermute_b32 v4, v6, v3
	v_cmp_lt_i32_e32 vcc_lo, v7, v17
	s_waitcnt lgkmcnt(0)
	v_dual_cndmask_b32 v7, v18, v7 :: v_dual_max_f32 v4, v4, v4
	s_delay_alu instid0(VALU_DEP_1) | instskip(SKIP_1) | instid1(VALU_DEP_3)
	v_lshlrev_b32_e32 v8, 2, v7
	v_xor_b32_e32 v7, 2, v18
	v_max_f32_e32 v3, v3, v4
	s_delay_alu instid0(VALU_DEP_2)
	v_cmp_lt_i32_e32 vcc_lo, v7, v17
	ds_bpermute_b32 v4, v8, v3
	v_cndmask_b32_e32 v7, v18, v7, vcc_lo
	v_cmp_eq_u32_e32 vcc_lo, 0, v16
	s_waitcnt lgkmcnt(0)
	v_max_f32_e32 v4, v4, v4
	s_delay_alu instid0(VALU_DEP_1)
	v_dual_max_f32 v3, v3, v4 :: v_dual_lshlrev_b32 v4, 2, v7
	ds_bpermute_b32 v7, v4, v3
	s_and_saveexec_b32 s0, vcc_lo
	s_cbranch_execz .LBB326_143
; %bb.142:
	s_waitcnt lgkmcnt(0)
	v_max_f32_e32 v7, v7, v7
	v_max_f32_e32 v3, v3, v3
	s_delay_alu instid0(VALU_DEP_1)
	v_max_f32_e32 v3, v3, v7
	ds_store_b32 v9, v3 offset:64
.LBB326_143:
	s_or_b32 exec_lo, exec_lo, s0
	v_cmp_gt_u32_e64 s0, 4, v16
	v_dual_mov_b32 v3, 0xff7fffff :: v_dual_lshlrev_b32 v10, 2, v16
	s_waitcnt lgkmcnt(0)
	s_barrier
	buffer_gl0_inv
	s_and_saveexec_b32 s1, s0
	s_cbranch_execz .LBB326_145
; %bb.144:
	ds_load_b32 v3, v10 offset:64
.LBB326_145:
	s_or_b32 exec_lo, exec_lo, s1
	s_waitcnt lgkmcnt(0)
	ds_bpermute_b32 v7, v4, v3
	v_xor_b32_e32 v19, 1, v18
	v_max_f32_e32 v3, v3, v3
	s_delay_alu instid0(VALU_DEP_2) | instskip(NEXT) | instid1(VALU_DEP_1)
	v_cmp_lt_i32_e64 s1, v19, v17
	v_cndmask_b32_e64 v17, v18, v19, s1
	v_lshlrev_b32_e32 v18, 2, v18
	s_sub_i32 s1, s13, s8
	v_mov_b32_e32 v19, 0
	s_lshl_b32 s1, s1, 4
	v_lshlrev_b32_e32 v17, 2, v17
	s_add_i32 s1, s1, s33
	v_and_b32_e32 v18, 0xffffff80, v18
	s_min_i32 s1, s1, s15
	s_waitcnt lgkmcnt(0)
	v_max_f32_e32 v7, v7, v7
	s_sub_i32 s4, s1, s33
	s_delay_alu instid0(SALU_CYCLE_1) | instskip(NEXT) | instid1(VALU_DEP_2)
	v_cmp_gt_i32_e64 s1, s4, v0
	v_max_f32_e32 v3, v3, v7
	ds_bpermute_b32 v7, v17, v3
	s_waitcnt lgkmcnt(0)
	v_max_f32_e32 v7, v7, v7
	s_delay_alu instid0(VALU_DEP_1)
	v_max_f32_e32 v3, v3, v7
	v_lshl_add_u32 v7, v0, 2, 0x60
	ds_bpermute_b32 v3, v18, v3
	s_and_saveexec_b32 s5, s1
	s_cbranch_execz .LBB326_149
; %bb.146:
	v_lshl_add_u32 v20, v0, 2, 0x60
	v_mov_b32_e32 v19, 0
	v_mov_b32_e32 v21, v0
	s_mov_b32 s34, 0
	.p2align	6
.LBB326_147:                            ; =>This Inner Loop Header: Depth=1
	ds_load_b32 v22, v20
	v_add_nc_u32_e32 v21, 0x80, v21
	s_delay_alu instid0(VALU_DEP_1) | instskip(NEXT) | instid1(VALU_DEP_1)
	v_cmp_le_i32_e64 s3, s4, v21
	s_or_b32 s34, s3, s34
	s_waitcnt lgkmcnt(0)
	v_sub_f32_e32 v22, v22, v3
	s_delay_alu instid0(VALU_DEP_1) | instskip(NEXT) | instid1(VALU_DEP_1)
	v_mul_f32_e32 v22, 0x3fb8aa3b, v22
	v_exp_f32_e32 v22, v22
	ds_store_b32 v20, v22
	v_dual_add_f32 v19, v19, v22 :: v_dual_add_nc_u32 v20, 0x200, v20
	s_and_not1_b32 exec_lo, exec_lo, s34
	s_cbranch_execnz .LBB326_147
; %bb.148:
	s_or_b32 exec_lo, exec_lo, s34
.LBB326_149:
	s_delay_alu instid0(SALU_CYCLE_1)
	s_or_b32 exec_lo, exec_lo, s5
	ds_bpermute_b32 v5, v5, v19
	s_waitcnt lgkmcnt(0)
	v_add_f32_e32 v5, v19, v5
	ds_bpermute_b32 v6, v6, v5
	s_waitcnt lgkmcnt(0)
	v_add_f32_e32 v5, v5, v6
	;; [unrolled: 3-line block ×5, first 2 shown]
	s_and_saveexec_b32 s3, vcc_lo
	s_cbranch_execz .LBB326_151
; %bb.150:
	ds_store_b32 v9, v5 offset:80
.LBB326_151:
	s_or_b32 exec_lo, exec_lo, s3
	s_waitcnt lgkmcnt(0)
	s_barrier
	buffer_gl0_inv
	s_and_saveexec_b32 s3, s0
	s_cbranch_execz .LBB326_153
; %bb.152:
	ds_load_b32 v5, v10 offset:80
.LBB326_153:
	s_or_b32 exec_lo, exec_lo, s3
	s_waitcnt lgkmcnt(0)
	ds_bpermute_b32 v4, v4, v5
	s_waitcnt lgkmcnt(0)
	v_add_f32_e32 v4, v5, v4
	ds_bpermute_b32 v5, v17, v4
	s_waitcnt lgkmcnt(0)
	v_add_f32_e32 v4, v4, v5
	ds_bpermute_b32 v4, v18, v4
	s_and_saveexec_b32 s0, s1
	s_cbranch_execz .LBB326_156
; %bb.154:
	s_waitcnt lgkmcnt(0)
	v_add_f32_e32 v5, 0x358637bd, v4
	s_mov_b32 s1, 0
	s_delay_alu instid0(VALU_DEP_1) | instskip(SKIP_1) | instid1(VALU_DEP_2)
	v_div_scale_f32 v6, null, v5, v5, 1.0
	v_div_scale_f32 v10, vcc_lo, 1.0, v5, 1.0
	v_rcp_f32_e32 v8, v6
	s_waitcnt_depctr 0xfff
	v_fma_f32 v9, -v6, v8, 1.0
	s_delay_alu instid0(VALU_DEP_1) | instskip(NEXT) | instid1(VALU_DEP_1)
	v_fmac_f32_e32 v8, v9, v8
	v_mul_f32_e32 v9, v10, v8
	s_delay_alu instid0(VALU_DEP_1) | instskip(NEXT) | instid1(VALU_DEP_1)
	v_fma_f32 v18, -v6, v9, v10
	v_fmac_f32_e32 v9, v18, v8
	s_delay_alu instid0(VALU_DEP_1) | instskip(NEXT) | instid1(VALU_DEP_1)
	v_fma_f32 v6, -v6, v9, v10
	v_div_fmas_f32 v6, v6, v8, v9
	s_delay_alu instid0(VALU_DEP_1)
	v_div_fixup_f32 v5, v6, v5, 1.0
	v_mov_b32_e32 v6, v0
.LBB326_155:                            ; =>This Inner Loop Header: Depth=1
	ds_load_b32 v8, v7
	v_add_nc_u32_e32 v6, 0x80, v6
	s_delay_alu instid0(VALU_DEP_1)
	v_cmp_le_i32_e32 vcc_lo, s4, v6
	s_or_b32 s1, vcc_lo, s1
	s_waitcnt lgkmcnt(0)
	v_mul_f32_e32 v8, v5, v8
	ds_store_b32 v7, v8
	v_add_nc_u32_e32 v7, 0x200, v7
	s_and_not1_b32 exec_lo, exec_lo, s1
	s_cbranch_execnz .LBB326_155
.LBB326_156:
	s_or_b32 exec_lo, exec_lo, s0
	s_mul_i32 s0, s11, s14
	s_waitcnt lgkmcnt(0)
	s_mul_i32 s4, s0, s23
	s_mov_b32 s0, exec_lo
	s_barrier
	buffer_gl0_inv
	v_cmpx_eq_u32_e32 0, v0
	s_cbranch_execz .LBB326_158
; %bb.157:
	s_ashr_i32 s5, s4, 31
	s_mul_i32 s36, s11, s24
	s_lshl_b64 s[34:35], s[4:5], 2
	v_mov_b32_e32 v5, 0
	s_add_u32 s1, s18, s34
	s_addc_u32 s3, s19, s35
	s_ashr_i32 s37, s36, 31
	s_delay_alu instid0(SALU_CYCLE_1) | instskip(NEXT) | instid1(SALU_CYCLE_1)
	s_lshl_b64 s[18:19], s[36:37], 2
	s_add_u32 s1, s1, s18
	s_addc_u32 s3, s3, s19
	s_ashr_i32 s23, s22, 31
	s_delay_alu instid0(SALU_CYCLE_1) | instskip(NEXT) | instid1(SALU_CYCLE_1)
	s_lshl_b64 s[22:23], s[22:23], 2
	s_add_u32 s36, s1, s22
	s_addc_u32 s37, s3, s23
	s_add_u32 s1, s16, s34
	s_addc_u32 s3, s17, s35
	;; [unrolled: 2-line block ×4, first 2 shown]
	s_clause 0x1
	global_store_b32 v5, v3, s[36:37]
	global_store_b32 v5, v4, s[16:17]
.LBB326_158:
	s_or_b32 exec_lo, exec_lo, s0
	v_dual_mov_b32 v19, 0 :: v_dual_mov_b32 v18, 0
	s_mov_b32 s5, 0
	s_and_saveexec_b32 s1, s2
	s_cbranch_execz .LBB326_286
; %bb.159:
	v_dual_mov_b32 v3, 0 :: v_dual_and_b32 v6, 8, v11
	v_dual_mov_b32 v19, 0 :: v_dual_lshlrev_b32 v4, 5, v13
	v_dual_mov_b32 v18, 0 :: v_dual_and_b32 v5, 0xf8, v11
	s_ashr_i32 s0, s10, 31
	s_add_u32 s10, s30, s10
	v_add3_u32 v15, s33, v15, v6
	v_lshlrev_b64 v[6:7], 2, v[1:2]
	s_addc_u32 s0, s31, s0
	v_lshl_or_b32 v8, v14, 6, v4
	v_add_co_u32 v4, s10, s10, v5
	s_lshl_b64 s[16:17], s[28:29], 2
	s_add_i32 s25, s25, -1
	v_add_co_ci_u32_e64 v5, null, s0, 0, s10
	s_add_u32 s0, s26, s16
	s_addc_u32 s10, s27, s17
	v_add_co_u32 v6, vcc_lo, s0, v6
	v_add_nc_u32_e32 v20, 0x60, v8
	v_add_co_ci_u32_e32 v7, vcc_lo, s10, v7, vcc_lo
	s_mov_b32 s2, -1
	s_mov_b32 s3, 0xffffff
	s_mov_b32 s10, s15
	s_branch .LBB326_161
.LBB326_160:                            ;   in Loop: Header=BB326_161 Depth=1
	s_or_b32 exec_lo, exec_lo, s0
	;;#ASMSTART
	v_pk_mul_f16 v9, v29, v33;

	;;#ASMEND
	;;#ASMSTART
	v_pk_mul_f16 v10, v28, v32;

	;;#ASMEND
	;; [unrolled: 4-line block ×4, first 2 shown]
	;;#ASMSTART
	v_pk_add_f16 v9, v9, v10;

	;;#ASMEND
	;;#ASMSTART
	v_pk_add_f16 v2, v9, v2;

	;;#ASMEND
	;; [unrolled: 4-line block ×3, first 2 shown]
	v_dual_add_f32 v9, v30, v31 :: v_dual_and_b32 v8, 0xffff, v2
	v_lshrrev_b32_e32 v2, 16, v2
	;;#ASMSTART
	v_cvt_f32_f16 v8, v8;
	;;#ASMEND
	;;#ASMSTART
	v_cvt_f32_f16 v2, v2;
	;;#ASMEND
	s_delay_alu instid0(VALU_DEP_1) | instskip(SKIP_1) | instid1(VALU_DEP_2)
	v_dual_add_f32 v2, v8, v2 :: v_dual_add_nc_u32 v1, 4, v1
	v_add_co_u32 v6, s0, v6, 16
	v_dual_add_f32 v18, v18, v9 :: v_dual_add_f32 v19, v19, v2
	s_delay_alu instid0(VALU_DEP_3) | instskip(SKIP_4) | instid1(SALU_CYCLE_1)
	v_cmp_le_i32_e32 vcc_lo, s13, v1
	v_add_nc_u32_e32 v15, 64, v15
	v_add_nc_u32_e32 v20, 0x100, v20
	v_add_co_ci_u32_e64 v7, s0, 0, v7, s0
	s_or_b32 s5, vcc_lo, s5
	s_and_not1_b32 exec_lo, exec_lo, s5
	s_cbranch_execz .LBB326_285
.LBB326_161:                            ; =>This Inner Loop Header: Depth=1
	global_load_b32 v2, v[6:7], off
	ds_load_2addr_b64 v[21:24], v20 offset1:1
	ds_load_2addr_b64 v[32:35], v20 offset0:2 offset1:3
	s_mov_b32 s0, exec_lo
	s_waitcnt lgkmcnt(1)
	;;#ASMSTART
	v_cvt_f16_f32 v26, v21;

	;;#ASMEND
	;;#ASMSTART
	v_cvt_f16_f32 v27, v22;

	;;#ASMEND
	;; [unrolled: 4-line block ×4, first 2 shown]
	s_waitcnt lgkmcnt(0)
	;;#ASMSTART
	v_cvt_f16_f32 v32, v32;

	;;#ASMEND
	;;#ASMSTART
	v_cvt_f16_f32 v30, v33;

	;;#ASMEND
	;;#ASMSTART
	v_cvt_f16_f32 v33, v34;

	;;#ASMEND
	;;#ASMSTART
	v_cvt_f16_f32 v31, v35;

	;;#ASMEND
	v_mov_b32_e32 v22, 0
	s_waitcnt vmcnt(0)
	v_mad_i64_i32 v[8:9], null, v2, s9, v[4:5]
	global_load_b64 v[10:11], v[8:9], off
	global_load_b32 v21, v3, s[6:7]
	s_waitcnt vmcnt(1)
	v_and_b32_e32 v2, 0xff, v10
	s_delay_alu instid0(VALU_DEP_1)
	v_cmpx_ne_u16_e32 0, v2
	s_cbranch_execz .LBB326_167
; %bb.162:                              ;   in Loop: Header=BB326_161 Depth=1
	v_bfrev_b32_e32 v22, 1
	s_mov_b32 s14, exec_lo
	v_cmpx_ne_u16_e32 0x80, v2
	s_cbranch_execz .LBB326_166
; %bb.163:                              ;   in Loop: Header=BB326_161 Depth=1
	v_and_b32_e32 v2, 0x7f, v10
	v_mov_b32_e32 v22, 0x7fc02000
	s_mov_b32 s16, exec_lo
	s_delay_alu instid0(VALU_DEP_2)
	v_cmpx_ne_u32_e32 0x7f, v2
	s_cbranch_execz .LBB326_165
; %bb.164:                              ;   in Loop: Header=BB326_161 Depth=1
	v_and_b32_e32 v22, 7, v10
	v_cmp_gt_u32_e32 vcc_lo, 8, v2
	v_lshrrev_b32_e32 v23, 3, v2
	s_delay_alu instid0(VALU_DEP_3) | instskip(NEXT) | instid1(VALU_DEP_1)
	v_clz_i32_u32_e32 v22, v22
	v_min_u32_e32 v22, 32, v22
	s_delay_alu instid0(VALU_DEP_1) | instskip(SKIP_1) | instid1(VALU_DEP_2)
	v_subrev_nc_u32_e32 v24, 28, v22
	v_sub_nc_u32_e32 v22, 29, v22
	v_cndmask_b32_e32 v2, 0, v24, vcc_lo
	s_delay_alu instid0(VALU_DEP_2) | instskip(NEXT) | instid1(VALU_DEP_2)
	v_cndmask_b32_e32 v24, v23, v22, vcc_lo
	v_lshlrev_b64 v[22:23], v2, v[10:11]
	v_lshlrev_b32_e32 v2, 8, v10
	s_delay_alu instid0(VALU_DEP_3) | instskip(NEXT) | instid1(VALU_DEP_3)
	v_lshl_add_u32 v23, v24, 10, 0x2000
	v_lshlrev_b32_e32 v22, 7, v22
	s_delay_alu instid0(VALU_DEP_2) | instskip(NEXT) | instid1(VALU_DEP_1)
	v_and_or_b32 v2, 0x8000, v2, v23
	v_and_or_b32 v2, 0x380, v22, v2
	s_delay_alu instid0(VALU_DEP_1)
	v_cvt_f32_f16_e32 v22, v2
.LBB326_165:                            ;   in Loop: Header=BB326_161 Depth=1
	s_or_b32 exec_lo, exec_lo, s16
.LBB326_166:                            ;   in Loop: Header=BB326_161 Depth=1
	s_delay_alu instid0(SALU_CYCLE_1)
	s_or_b32 exec_lo, exec_lo, s14
.LBB326_167:                            ;   in Loop: Header=BB326_161 Depth=1
	s_delay_alu instid0(SALU_CYCLE_1) | instskip(SKIP_3) | instid1(VALU_DEP_2)
	s_or_b32 exec_lo, exec_lo, s0
	v_lshrrev_b16 v2, 8, v10
	v_dual_mov_b32 v24, 0 :: v_dual_mov_b32 v23, 0
	s_mov_b32 s0, exec_lo
	v_cmpx_ne_u16_e32 0, v2
	s_cbranch_execz .LBB326_175
; %bb.168:                              ;   in Loop: Header=BB326_161 Depth=1
	v_bfrev_b32_e32 v23, 1
	s_mov_b32 s14, exec_lo
	v_cmpx_ne_u16_e32 0x80, v2
	s_cbranch_execz .LBB326_174
; %bb.169:                              ;   in Loop: Header=BB326_161 Depth=1
	v_and_b32_e32 v25, 0xffff, v2
	v_mov_b32_e32 v23, 0x7fc02000
	s_mov_b32 s16, exec_lo
	s_delay_alu instid0(VALU_DEP_2) | instskip(NEXT) | instid1(VALU_DEP_1)
	v_and_b32_e32 v34, 0x7f, v25
	v_cmpx_ne_u32_e32 0x7f, v34
	s_cbranch_execz .LBB326_173
; %bb.170:                              ;   in Loop: Header=BB326_161 Depth=1
	v_and_b32_e32 v2, 7, v25
	v_lshrrev_b32_e32 v23, 3, v34
	s_mov_b32 s17, exec_lo
	v_cmpx_gt_u32_e32 8, v34
; %bb.171:                              ;   in Loop: Header=BB326_161 Depth=1
	s_delay_alu instid0(VALU_DEP_3) | instskip(NEXT) | instid1(VALU_DEP_1)
	v_clz_i32_u32_e32 v23, v2
	v_min_u32_e32 v23, 32, v23
	s_delay_alu instid0(VALU_DEP_1) | instskip(SKIP_1) | instid1(VALU_DEP_2)
	v_subrev_nc_u32_e32 v34, 28, v23
	v_sub_nc_u32_e32 v23, 29, v23
	v_lshlrev_b64 v[34:35], v34, v[2:3]
	s_delay_alu instid0(VALU_DEP_1)
	v_and_b32_e32 v2, 7, v34
; %bb.172:                              ;   in Loop: Header=BB326_161 Depth=1
	s_or_b32 exec_lo, exec_lo, s17
	v_lshlrev_b32_e32 v25, 8, v25
	v_lshl_add_u32 v23, v23, 10, 0x2000
	s_delay_alu instid0(VALU_DEP_1) | instskip(NEXT) | instid1(VALU_DEP_1)
	v_and_or_b32 v23, 0x8000, v25, v23
	v_lshl_or_b32 v2, v2, 7, v23
	s_delay_alu instid0(VALU_DEP_1)
	v_cvt_f32_f16_e32 v23, v2
.LBB326_173:                            ;   in Loop: Header=BB326_161 Depth=1
	s_or_b32 exec_lo, exec_lo, s16
.LBB326_174:                            ;   in Loop: Header=BB326_161 Depth=1
	s_delay_alu instid0(SALU_CYCLE_1)
	s_or_b32 exec_lo, exec_lo, s14
.LBB326_175:                            ;   in Loop: Header=BB326_161 Depth=1
	s_delay_alu instid0(SALU_CYCLE_1) | instskip(SKIP_2) | instid1(VALU_DEP_1)
	s_or_b32 exec_lo, exec_lo, s0
	v_lshrrev_b32_e32 v25, 16, v10
	s_mov_b32 s0, exec_lo
	v_and_b32_e32 v2, 0xff, v25
	s_delay_alu instid0(VALU_DEP_1)
	v_cmpx_ne_u16_e32 0, v2
	s_cbranch_execz .LBB326_183
; %bb.176:                              ;   in Loop: Header=BB326_161 Depth=1
	v_bfrev_b32_e32 v24, 1
	s_mov_b32 s14, exec_lo
	v_cmpx_ne_u16_e32 0x80, v2
	s_cbranch_execz .LBB326_182
; %bb.177:                              ;   in Loop: Header=BB326_161 Depth=1
	v_bfe_u32 v34, v10, 16, 7
	v_mov_b32_e32 v24, 0x7fc02000
	s_mov_b32 s16, exec_lo
	s_delay_alu instid0(VALU_DEP_2)
	v_cmpx_ne_u32_e32 0x7f, v34
	s_cbranch_execz .LBB326_181
; %bb.178:                              ;   in Loop: Header=BB326_161 Depth=1
	v_and_b32_e32 v2, 7, v25
	v_lshrrev_b32_e32 v24, 3, v34
	s_mov_b32 s17, exec_lo
	v_cmpx_gt_u32_e32 8, v34
; %bb.179:                              ;   in Loop: Header=BB326_161 Depth=1
	s_delay_alu instid0(VALU_DEP_3) | instskip(NEXT) | instid1(VALU_DEP_1)
	v_clz_i32_u32_e32 v24, v2
	v_min_u32_e32 v24, 32, v24
	s_delay_alu instid0(VALU_DEP_1) | instskip(SKIP_1) | instid1(VALU_DEP_2)
	v_subrev_nc_u32_e32 v34, 28, v24
	v_sub_nc_u32_e32 v24, 29, v24
	v_lshlrev_b64 v[34:35], v34, v[2:3]
	s_delay_alu instid0(VALU_DEP_1)
	v_and_b32_e32 v2, 7, v34
; %bb.180:                              ;   in Loop: Header=BB326_161 Depth=1
	s_or_b32 exec_lo, exec_lo, s17
	v_lshlrev_b32_e32 v25, 8, v25
	v_lshl_add_u32 v24, v24, 10, 0x2000
	s_delay_alu instid0(VALU_DEP_1) | instskip(NEXT) | instid1(VALU_DEP_1)
	v_and_or_b32 v24, 0x8000, v25, v24
	v_lshl_or_b32 v2, v2, 7, v24
	s_delay_alu instid0(VALU_DEP_1)
	v_cvt_f32_f16_e32 v24, v2
.LBB326_181:                            ;   in Loop: Header=BB326_161 Depth=1
	s_or_b32 exec_lo, exec_lo, s16
.LBB326_182:                            ;   in Loop: Header=BB326_161 Depth=1
	s_delay_alu instid0(SALU_CYCLE_1)
	s_or_b32 exec_lo, exec_lo, s14
.LBB326_183:                            ;   in Loop: Header=BB326_161 Depth=1
	s_delay_alu instid0(SALU_CYCLE_1)
	s_or_b32 exec_lo, exec_lo, s0
	v_dual_mov_b32 v25, 0 :: v_dual_mov_b32 v34, 0
	s_mov_b32 s0, exec_lo
	v_cmpx_lt_u32_e32 0xffffff, v10
	s_cbranch_execz .LBB326_191
; %bb.184:                              ;   in Loop: Header=BB326_161 Depth=1
	v_lshrrev_b32_e32 v35, 24, v10
	v_bfrev_b32_e32 v34, 1
	s_mov_b32 s14, exec_lo
	s_delay_alu instid0(VALU_DEP_2)
	v_cmpx_ne_u32_e32 0x80, v35
	s_cbranch_execz .LBB326_190
; %bb.185:                              ;   in Loop: Header=BB326_161 Depth=1
	v_and_b32_e32 v36, 0x7f, v35
	v_mov_b32_e32 v34, 0x7fc02000
	s_mov_b32 s16, exec_lo
	s_delay_alu instid0(VALU_DEP_2)
	v_cmpx_ne_u32_e32 0x7f, v36
	s_cbranch_execz .LBB326_189
; %bb.186:                              ;   in Loop: Header=BB326_161 Depth=1
	v_and_b32_e32 v2, 7, v35
	v_lshrrev_b32_e32 v34, 3, v36
	s_mov_b32 s17, exec_lo
	v_cmpx_gt_u32_e32 8, v36
; %bb.187:                              ;   in Loop: Header=BB326_161 Depth=1
	s_delay_alu instid0(VALU_DEP_3) | instskip(NEXT) | instid1(VALU_DEP_1)
	v_clz_i32_u32_e32 v34, v2
	v_min_u32_e32 v34, 32, v34
	s_delay_alu instid0(VALU_DEP_1) | instskip(SKIP_1) | instid1(VALU_DEP_2)
	v_subrev_nc_u32_e32 v36, 28, v34
	v_sub_nc_u32_e32 v34, 29, v34
	v_lshlrev_b64 v[36:37], v36, v[2:3]
	s_delay_alu instid0(VALU_DEP_1)
	v_and_b32_e32 v2, 7, v36
; %bb.188:                              ;   in Loop: Header=BB326_161 Depth=1
	s_or_b32 exec_lo, exec_lo, s17
	v_lshlrev_b32_e32 v35, 8, v35
	v_lshl_add_u32 v34, v34, 10, 0x2000
	s_delay_alu instid0(VALU_DEP_1) | instskip(NEXT) | instid1(VALU_DEP_1)
	v_and_or_b32 v34, 0x8000, v35, v34
	v_lshl_or_b32 v2, v2, 7, v34
	s_delay_alu instid0(VALU_DEP_1)
	v_cvt_f32_f16_e32 v34, v2
.LBB326_189:                            ;   in Loop: Header=BB326_161 Depth=1
	s_or_b32 exec_lo, exec_lo, s16
.LBB326_190:                            ;   in Loop: Header=BB326_161 Depth=1
	s_delay_alu instid0(SALU_CYCLE_1)
	s_or_b32 exec_lo, exec_lo, s14
.LBB326_191:                            ;   in Loop: Header=BB326_161 Depth=1
	s_delay_alu instid0(SALU_CYCLE_1) | instskip(SKIP_2) | instid1(VALU_DEP_1)
	s_or_b32 exec_lo, exec_lo, s0
	v_dual_mov_b32 v2, v11 :: v_dual_and_b32 v35, 0xff, v11
	s_mov_b32 s0, exec_lo
	v_cmpx_ne_u16_e32 0, v35
	s_cbranch_execz .LBB326_197
; %bb.192:                              ;   in Loop: Header=BB326_161 Depth=1
	v_bfrev_b32_e32 v25, 1
	s_mov_b32 s14, exec_lo
	v_cmpx_ne_u16_e32 0x80, v35
	s_cbranch_execz .LBB326_196
; %bb.193:                              ;   in Loop: Header=BB326_161 Depth=1
	v_and_b32_e32 v35, 0x7f, v11
	v_mov_b32_e32 v25, 0x7fc02000
	s_mov_b32 s16, exec_lo
	s_delay_alu instid0(VALU_DEP_2)
	v_cmpx_ne_u32_e32 0x7f, v35
	s_cbranch_execz .LBB326_195
; %bb.194:                              ;   in Loop: Header=BB326_161 Depth=1
	v_and_b32_e32 v25, 7, v11
	v_cmp_gt_u32_e32 vcc_lo, 8, v35
	v_lshrrev_b32_e32 v36, 3, v35
	s_delay_alu instid0(VALU_DEP_3) | instskip(NEXT) | instid1(VALU_DEP_1)
	v_clz_i32_u32_e32 v25, v25
	v_min_u32_e32 v25, 32, v25
	s_delay_alu instid0(VALU_DEP_1) | instskip(SKIP_1) | instid1(VALU_DEP_2)
	v_subrev_nc_u32_e32 v37, 28, v25
	v_sub_nc_u32_e32 v25, 29, v25
	v_cndmask_b32_e32 v35, 0, v37, vcc_lo
	s_delay_alu instid0(VALU_DEP_2) | instskip(NEXT) | instid1(VALU_DEP_2)
	v_cndmask_b32_e32 v25, v36, v25, vcc_lo
	v_lshlrev_b64 v[35:36], v35, v[2:3]
	v_lshlrev_b32_e32 v36, 8, v11
	s_delay_alu instid0(VALU_DEP_3) | instskip(NEXT) | instid1(VALU_DEP_3)
	v_lshl_add_u32 v25, v25, 10, 0x2000
	v_lshlrev_b32_e32 v35, 7, v35
	s_delay_alu instid0(VALU_DEP_2) | instskip(NEXT) | instid1(VALU_DEP_1)
	v_and_or_b32 v25, 0x8000, v36, v25
	v_and_or_b32 v25, 0x380, v35, v25
	s_delay_alu instid0(VALU_DEP_1)
	v_cvt_f32_f16_e32 v25, v25
.LBB326_195:                            ;   in Loop: Header=BB326_161 Depth=1
	s_or_b32 exec_lo, exec_lo, s16
.LBB326_196:                            ;   in Loop: Header=BB326_161 Depth=1
	s_delay_alu instid0(SALU_CYCLE_1)
	s_or_b32 exec_lo, exec_lo, s14
.LBB326_197:                            ;   in Loop: Header=BB326_161 Depth=1
	s_delay_alu instid0(SALU_CYCLE_1) | instskip(SKIP_3) | instid1(VALU_DEP_2)
	s_or_b32 exec_lo, exec_lo, s0
	v_lshrrev_b16 v2, 8, v2
	v_dual_mov_b32 v35, 0 :: v_dual_mov_b32 v36, 0
	s_mov_b32 s0, exec_lo
	v_cmpx_ne_u16_e32 0, v2
	s_cbranch_execz .LBB326_205
; %bb.198:                              ;   in Loop: Header=BB326_161 Depth=1
	v_bfrev_b32_e32 v36, 1
	s_mov_b32 s14, exec_lo
	v_cmpx_ne_u16_e32 0x80, v2
	s_cbranch_execz .LBB326_204
; %bb.199:                              ;   in Loop: Header=BB326_161 Depth=1
	v_and_b32_e32 v37, 0xffff, v2
	v_mov_b32_e32 v36, 0x7fc02000
	s_mov_b32 s16, exec_lo
	s_delay_alu instid0(VALU_DEP_2) | instskip(NEXT) | instid1(VALU_DEP_1)
	v_and_b32_e32 v38, 0x7f, v37
	v_cmpx_ne_u32_e32 0x7f, v38
	s_cbranch_execz .LBB326_203
; %bb.200:                              ;   in Loop: Header=BB326_161 Depth=1
	v_and_b32_e32 v2, 7, v37
	v_lshrrev_b32_e32 v36, 3, v38
	s_mov_b32 s17, exec_lo
	v_cmpx_gt_u32_e32 8, v38
; %bb.201:                              ;   in Loop: Header=BB326_161 Depth=1
	s_delay_alu instid0(VALU_DEP_3) | instskip(NEXT) | instid1(VALU_DEP_1)
	v_clz_i32_u32_e32 v36, v2
	v_min_u32_e32 v36, 32, v36
	s_delay_alu instid0(VALU_DEP_1) | instskip(SKIP_1) | instid1(VALU_DEP_2)
	v_subrev_nc_u32_e32 v38, 28, v36
	v_sub_nc_u32_e32 v36, 29, v36
	v_lshlrev_b64 v[38:39], v38, v[2:3]
	s_delay_alu instid0(VALU_DEP_1)
	v_and_b32_e32 v2, 7, v38
; %bb.202:                              ;   in Loop: Header=BB326_161 Depth=1
	s_or_b32 exec_lo, exec_lo, s17
	v_lshlrev_b32_e32 v37, 8, v37
	v_lshl_add_u32 v36, v36, 10, 0x2000
	s_delay_alu instid0(VALU_DEP_1) | instskip(NEXT) | instid1(VALU_DEP_1)
	v_and_or_b32 v36, 0x8000, v37, v36
	v_lshl_or_b32 v2, v2, 7, v36
	s_delay_alu instid0(VALU_DEP_1)
	v_cvt_f32_f16_e32 v36, v2
.LBB326_203:                            ;   in Loop: Header=BB326_161 Depth=1
	s_or_b32 exec_lo, exec_lo, s16
.LBB326_204:                            ;   in Loop: Header=BB326_161 Depth=1
	s_delay_alu instid0(SALU_CYCLE_1)
	s_or_b32 exec_lo, exec_lo, s14
.LBB326_205:                            ;   in Loop: Header=BB326_161 Depth=1
	s_delay_alu instid0(SALU_CYCLE_1) | instskip(SKIP_2) | instid1(VALU_DEP_1)
	s_or_b32 exec_lo, exec_lo, s0
	v_lshrrev_b32_e32 v37, 16, v11
	s_mov_b32 s0, exec_lo
	v_and_b32_e32 v2, 0xff, v37
	s_delay_alu instid0(VALU_DEP_1)
	v_cmpx_ne_u16_e32 0, v2
	s_cbranch_execz .LBB326_213
; %bb.206:                              ;   in Loop: Header=BB326_161 Depth=1
	v_bfrev_b32_e32 v35, 1
	s_mov_b32 s14, exec_lo
	v_cmpx_ne_u16_e32 0x80, v2
	s_cbranch_execz .LBB326_212
; %bb.207:                              ;   in Loop: Header=BB326_161 Depth=1
	v_bfe_u32 v38, v11, 16, 7
	v_mov_b32_e32 v35, 0x7fc02000
	s_mov_b32 s16, exec_lo
	s_delay_alu instid0(VALU_DEP_2)
	v_cmpx_ne_u32_e32 0x7f, v38
	s_cbranch_execz .LBB326_211
; %bb.208:                              ;   in Loop: Header=BB326_161 Depth=1
	v_and_b32_e32 v2, 7, v37
	v_lshrrev_b32_e32 v35, 3, v38
	s_mov_b32 s17, exec_lo
	v_cmpx_gt_u32_e32 8, v38
; %bb.209:                              ;   in Loop: Header=BB326_161 Depth=1
	s_delay_alu instid0(VALU_DEP_3) | instskip(NEXT) | instid1(VALU_DEP_1)
	v_clz_i32_u32_e32 v35, v2
	v_min_u32_e32 v35, 32, v35
	s_delay_alu instid0(VALU_DEP_1) | instskip(SKIP_1) | instid1(VALU_DEP_2)
	v_subrev_nc_u32_e32 v38, 28, v35
	v_sub_nc_u32_e32 v35, 29, v35
	v_lshlrev_b64 v[38:39], v38, v[2:3]
	s_delay_alu instid0(VALU_DEP_1)
	v_and_b32_e32 v2, 7, v38
; %bb.210:                              ;   in Loop: Header=BB326_161 Depth=1
	s_or_b32 exec_lo, exec_lo, s17
	v_lshlrev_b32_e32 v37, 8, v37
	v_lshl_add_u32 v35, v35, 10, 0x2000
	s_delay_alu instid0(VALU_DEP_1) | instskip(NEXT) | instid1(VALU_DEP_1)
	v_and_or_b32 v35, 0x8000, v37, v35
	v_lshl_or_b32 v2, v2, 7, v35
	s_delay_alu instid0(VALU_DEP_1)
	v_cvt_f32_f16_e32 v35, v2
.LBB326_211:                            ;   in Loop: Header=BB326_161 Depth=1
	s_or_b32 exec_lo, exec_lo, s16
.LBB326_212:                            ;   in Loop: Header=BB326_161 Depth=1
	s_delay_alu instid0(SALU_CYCLE_1)
	s_or_b32 exec_lo, exec_lo, s14
.LBB326_213:                            ;   in Loop: Header=BB326_161 Depth=1
	s_delay_alu instid0(SALU_CYCLE_1)
	s_or_b32 exec_lo, exec_lo, s0
	v_mov_b32_e32 v2, 0
	s_mov_b32 s0, exec_lo
	v_cmpx_lt_u64_e64 s[2:3], v[10:11]
	s_cbranch_execz .LBB326_221
; %bb.214:                              ;   in Loop: Header=BB326_161 Depth=1
	v_lshrrev_b32_e32 v10, 24, v11
	v_bfrev_b32_e32 v2, 1
	s_mov_b32 s14, exec_lo
	s_delay_alu instid0(VALU_DEP_2)
	v_cmpx_ne_u32_e32 0x80, v10
	s_cbranch_execz .LBB326_220
; %bb.215:                              ;   in Loop: Header=BB326_161 Depth=1
	v_and_b32_e32 v37, 0x7f, v10
	v_mov_b32_e32 v2, 0x7fc02000
	s_mov_b32 s16, exec_lo
	s_delay_alu instid0(VALU_DEP_2)
	v_cmpx_ne_u32_e32 0x7f, v37
	s_cbranch_execz .LBB326_219
; %bb.216:                              ;   in Loop: Header=BB326_161 Depth=1
	v_and_b32_e32 v2, 7, v10
	v_lshrrev_b32_e32 v11, 3, v37
	s_mov_b32 s17, exec_lo
	v_cmpx_gt_u32_e32 8, v37
; %bb.217:                              ;   in Loop: Header=BB326_161 Depth=1
	s_delay_alu instid0(VALU_DEP_3) | instskip(NEXT) | instid1(VALU_DEP_1)
	v_clz_i32_u32_e32 v11, v2
	v_min_u32_e32 v11, 32, v11
	s_delay_alu instid0(VALU_DEP_1) | instskip(SKIP_1) | instid1(VALU_DEP_2)
	v_subrev_nc_u32_e32 v37, 28, v11
	v_sub_nc_u32_e32 v11, 29, v11
	v_lshlrev_b64 v[37:38], v37, v[2:3]
	s_delay_alu instid0(VALU_DEP_1)
	v_and_b32_e32 v2, 7, v37
; %bb.218:                              ;   in Loop: Header=BB326_161 Depth=1
	s_or_b32 exec_lo, exec_lo, s17
	v_lshlrev_b32_e32 v10, 8, v10
	v_lshl_add_u32 v11, v11, 10, 0x2000
	s_delay_alu instid0(VALU_DEP_1) | instskip(NEXT) | instid1(VALU_DEP_1)
	v_and_or_b32 v10, 0x8000, v10, v11
	v_lshl_or_b32 v2, v2, 7, v10
	s_delay_alu instid0(VALU_DEP_1)
	v_cvt_f32_f16_e32 v2, v2
.LBB326_219:                            ;   in Loop: Header=BB326_161 Depth=1
	s_or_b32 exec_lo, exec_lo, s16
.LBB326_220:                            ;   in Loop: Header=BB326_161 Depth=1
	s_delay_alu instid0(SALU_CYCLE_1)
	s_or_b32 exec_lo, exec_lo, s14
.LBB326_221:                            ;   in Loop: Header=BB326_161 Depth=1
	s_delay_alu instid0(SALU_CYCLE_1)
	s_or_b32 exec_lo, exec_lo, s0
	s_waitcnt vmcnt(0)
	v_fma_mixlo_f16 v10, v21, v34, 0
	v_fma_mixlo_f16 v11, v21, v24, 0
	;; [unrolled: 1-line block ×8, first 2 shown]
	v_lshlrev_b32_e32 v10, 16, v10
	v_and_b32_e32 v11, 0xffff, v11
	v_lshlrev_b32_e32 v23, 16, v23
	v_and_b32_e32 v21, 0xffff, v22
	;; [unrolled: 2-line block ×4, first 2 shown]
	v_cmp_eq_u32_e32 vcc_lo, s25, v1
	v_or_b32_e32 v35, v10, v11
	v_or_b32_e32 v37, v23, v21
	;; [unrolled: 1-line block ×4, first 2 shown]
	v_add_nc_u32_e32 v25, 1, v15
	v_or_b32_e32 v24, 3, v15
	v_or_b32_e32 v23, 2, v15
	;; [unrolled: 1-line block ×6, first 2 shown]
	s_and_saveexec_b32 s14, vcc_lo
	s_cbranch_execz .LBB326_223
; %bb.222:                              ;   in Loop: Header=BB326_161 Depth=1
	v_cmp_gt_i32_e64 s0, s15, v15
	v_lshrrev_b32_e32 v38, 16, v37
	v_lshrrev_b32_e32 v39, 16, v35
	;; [unrolled: 1-line block ×4, first 2 shown]
	v_cndmask_b32_e64 v37, 0, v37, s0
	v_cmp_gt_i32_e64 s0, s10, v25
	s_delay_alu instid0(VALU_DEP_1) | instskip(SKIP_1) | instid1(VALU_DEP_2)
	v_cndmask_b32_e64 v38, 0, v38, s0
	v_cmp_gt_i32_e64 s0, s10, v24
	v_perm_b32 v37, v38, v37, 0x5040100
	s_delay_alu instid0(VALU_DEP_2) | instskip(SKIP_1) | instid1(VALU_DEP_1)
	v_cndmask_b32_e64 v39, 0, v39, s0
	v_cmp_gt_i32_e64 s0, s15, v23
	v_cndmask_b32_e64 v35, 0, v35, s0
	v_cmp_gt_i32_e64 s0, s10, v22
	s_delay_alu instid0(VALU_DEP_2) | instskip(NEXT) | instid1(VALU_DEP_2)
	v_perm_b32 v35, v39, v35, 0x5040100
	v_cndmask_b32_e64 v40, 0, v40, s0
	v_cmp_gt_i32_e64 s0, s15, v21
	s_delay_alu instid0(VALU_DEP_1) | instskip(SKIP_1) | instid1(VALU_DEP_2)
	v_cndmask_b32_e64 v2, 0, v2, s0
	v_cmp_gt_i32_e64 s0, s10, v11
	v_perm_b32 v2, v40, v2, 0x5040100
	s_delay_alu instid0(VALU_DEP_2) | instskip(SKIP_1) | instid1(VALU_DEP_1)
	v_cndmask_b32_e64 v34, 0, v34, s0
	v_cmp_gt_i32_e64 s0, s15, v10
	v_cndmask_b32_e64 v36, 0, v36, s0
	s_delay_alu instid0(VALU_DEP_1)
	v_perm_b32 v34, v34, v36, 0x5040100
.LBB326_223:                            ;   in Loop: Header=BB326_161 Depth=1
	s_or_b32 exec_lo, exec_lo, s14
	v_and_b32_e32 v26, 0xffff, v26
	v_and_b32_e32 v36, 0xffff, v29
	;; [unrolled: 1-line block ×4, first 2 shown]
	s_mov_b32 s14, exec_lo
	v_lshl_or_b32 v29, v27, 16, v26
	v_lshl_or_b32 v28, v28, 16, v36
	;; [unrolled: 1-line block ×4, first 2 shown]
	;;#ASMSTART
	v_pk_mul_f16 v30, v29, v37;

	;;#ASMEND
	;;#ASMSTART
	v_pk_mul_f16 v31, v28, v35;

	;;#ASMEND
	;; [unrolled: 4-line block ×4, first 2 shown]
	v_mov_b32_e32 v34, 0
	;;#ASMSTART
	v_pk_add_f16 v30, v30, v31;

	;;#ASMEND
	;;#ASMSTART
	v_pk_add_f16 v2, v30, v2;

	;;#ASMEND
	;; [unrolled: 4-line block ×3, first 2 shown]
	v_and_b32_e32 v30, 0xffff, v2
	v_lshrrev_b32_e32 v2, 16, v2
	;;#ASMSTART
	v_cvt_f32_f16 v30, v30;
	;;#ASMEND
	;;#ASMSTART
	v_cvt_f32_f16 v31, v2;
	;;#ASMEND
	global_load_b64 v[8:9], v[8:9], off offset:256
	global_load_b32 v32, v3, s[6:7]
	s_waitcnt vmcnt(1)
	v_dual_mov_b32 v33, 0 :: v_dual_and_b32 v2, 0xff, v8
	s_delay_alu instid0(VALU_DEP_1)
	v_cmpx_ne_u16_e32 0, v2
	s_cbranch_execz .LBB326_229
; %bb.224:                              ;   in Loop: Header=BB326_161 Depth=1
	v_bfrev_b32_e32 v33, 1
	s_mov_b32 s16, exec_lo
	v_cmpx_ne_u16_e32 0x80, v2
	s_cbranch_execz .LBB326_228
; %bb.225:                              ;   in Loop: Header=BB326_161 Depth=1
	v_and_b32_e32 v2, 0x7f, v8
	v_mov_b32_e32 v33, 0x7fc02000
	s_mov_b32 s17, exec_lo
	s_delay_alu instid0(VALU_DEP_2)
	v_cmpx_ne_u32_e32 0x7f, v2
	s_cbranch_execz .LBB326_227
; %bb.226:                              ;   in Loop: Header=BB326_161 Depth=1
	v_and_b32_e32 v33, 7, v8
	v_cmp_gt_u32_e64 s0, 8, v2
	v_lshrrev_b32_e32 v35, 3, v2
	s_delay_alu instid0(VALU_DEP_3) | instskip(NEXT) | instid1(VALU_DEP_1)
	v_clz_i32_u32_e32 v33, v33
	v_min_u32_e32 v33, 32, v33
	s_delay_alu instid0(VALU_DEP_1) | instskip(SKIP_1) | instid1(VALU_DEP_2)
	v_subrev_nc_u32_e32 v36, 28, v33
	v_sub_nc_u32_e32 v33, 29, v33
	v_cndmask_b32_e64 v2, 0, v36, s0
	s_delay_alu instid0(VALU_DEP_2) | instskip(NEXT) | instid1(VALU_DEP_2)
	v_cndmask_b32_e64 v33, v35, v33, s0
	v_lshlrev_b64 v[35:36], v2, v[8:9]
	v_lshlrev_b32_e32 v2, 8, v8
	s_delay_alu instid0(VALU_DEP_3) | instskip(NEXT) | instid1(VALU_DEP_3)
	v_lshl_add_u32 v33, v33, 10, 0x2000
	v_lshlrev_b32_e32 v35, 7, v35
	s_delay_alu instid0(VALU_DEP_2) | instskip(NEXT) | instid1(VALU_DEP_1)
	v_and_or_b32 v2, 0x8000, v2, v33
	v_and_or_b32 v2, 0x380, v35, v2
	s_delay_alu instid0(VALU_DEP_1)
	v_cvt_f32_f16_e32 v33, v2
.LBB326_227:                            ;   in Loop: Header=BB326_161 Depth=1
	s_or_b32 exec_lo, exec_lo, s17
.LBB326_228:                            ;   in Loop: Header=BB326_161 Depth=1
	s_delay_alu instid0(SALU_CYCLE_1)
	s_or_b32 exec_lo, exec_lo, s16
.LBB326_229:                            ;   in Loop: Header=BB326_161 Depth=1
	s_delay_alu instid0(SALU_CYCLE_1) | instskip(SKIP_2) | instid1(VALU_DEP_1)
	s_or_b32 exec_lo, exec_lo, s14
	v_lshrrev_b16 v2, 8, v8
	s_mov_b32 s14, exec_lo
	v_cmpx_ne_u16_e32 0, v2
	s_cbranch_execz .LBB326_237
; %bb.230:                              ;   in Loop: Header=BB326_161 Depth=1
	v_bfrev_b32_e32 v34, 1
	s_mov_b32 s16, exec_lo
	v_cmpx_ne_u16_e32 0x80, v2
	s_cbranch_execz .LBB326_236
; %bb.231:                              ;   in Loop: Header=BB326_161 Depth=1
	v_and_b32_e32 v35, 0xffff, v2
	v_mov_b32_e32 v34, 0x7fc02000
	s_mov_b32 s17, exec_lo
	s_delay_alu instid0(VALU_DEP_2) | instskip(NEXT) | instid1(VALU_DEP_1)
	v_and_b32_e32 v36, 0x7f, v35
	v_cmpx_ne_u32_e32 0x7f, v36
	s_cbranch_execz .LBB326_235
; %bb.232:                              ;   in Loop: Header=BB326_161 Depth=1
	v_and_b32_e32 v2, 7, v35
	v_lshrrev_b32_e32 v34, 3, v36
	s_mov_b32 s18, exec_lo
	v_cmpx_gt_u32_e32 8, v36
; %bb.233:                              ;   in Loop: Header=BB326_161 Depth=1
	s_delay_alu instid0(VALU_DEP_3) | instskip(NEXT) | instid1(VALU_DEP_1)
	v_clz_i32_u32_e32 v34, v2
	v_min_u32_e32 v34, 32, v34
	s_delay_alu instid0(VALU_DEP_1) | instskip(SKIP_1) | instid1(VALU_DEP_2)
	v_subrev_nc_u32_e32 v36, 28, v34
	v_sub_nc_u32_e32 v34, 29, v34
	v_lshlrev_b64 v[36:37], v36, v[2:3]
	s_delay_alu instid0(VALU_DEP_1)
	v_and_b32_e32 v2, 7, v36
; %bb.234:                              ;   in Loop: Header=BB326_161 Depth=1
	s_or_b32 exec_lo, exec_lo, s18
	v_lshlrev_b32_e32 v35, 8, v35
	v_lshl_add_u32 v34, v34, 10, 0x2000
	s_delay_alu instid0(VALU_DEP_1) | instskip(NEXT) | instid1(VALU_DEP_1)
	v_and_or_b32 v34, 0x8000, v35, v34
	v_lshl_or_b32 v2, v2, 7, v34
	s_delay_alu instid0(VALU_DEP_1)
	v_cvt_f32_f16_e32 v34, v2
.LBB326_235:                            ;   in Loop: Header=BB326_161 Depth=1
	s_or_b32 exec_lo, exec_lo, s17
.LBB326_236:                            ;   in Loop: Header=BB326_161 Depth=1
	s_delay_alu instid0(SALU_CYCLE_1)
	s_or_b32 exec_lo, exec_lo, s16
.LBB326_237:                            ;   in Loop: Header=BB326_161 Depth=1
	s_delay_alu instid0(SALU_CYCLE_1) | instskip(SKIP_3) | instid1(VALU_DEP_2)
	s_or_b32 exec_lo, exec_lo, s14
	v_lshrrev_b32_e32 v37, 16, v8
	v_mov_b32_e32 v36, 0
	s_mov_b32 s14, exec_lo
	v_dual_mov_b32 v35, 0 :: v_dual_and_b32 v2, 0xff, v37
	s_delay_alu instid0(VALU_DEP_1)
	v_cmpx_ne_u16_e32 0, v2
	s_cbranch_execz .LBB326_245
; %bb.238:                              ;   in Loop: Header=BB326_161 Depth=1
	v_bfrev_b32_e32 v35, 1
	s_mov_b32 s16, exec_lo
	v_cmpx_ne_u16_e32 0x80, v2
	s_cbranch_execz .LBB326_244
; %bb.239:                              ;   in Loop: Header=BB326_161 Depth=1
	v_bfe_u32 v38, v8, 16, 7
	v_mov_b32_e32 v35, 0x7fc02000
	s_mov_b32 s17, exec_lo
	s_delay_alu instid0(VALU_DEP_2)
	v_cmpx_ne_u32_e32 0x7f, v38
	s_cbranch_execz .LBB326_243
; %bb.240:                              ;   in Loop: Header=BB326_161 Depth=1
	v_and_b32_e32 v2, 7, v37
	v_lshrrev_b32_e32 v35, 3, v38
	s_mov_b32 s18, exec_lo
	v_cmpx_gt_u32_e32 8, v38
; %bb.241:                              ;   in Loop: Header=BB326_161 Depth=1
	s_delay_alu instid0(VALU_DEP_3) | instskip(NEXT) | instid1(VALU_DEP_1)
	v_clz_i32_u32_e32 v35, v2
	v_min_u32_e32 v35, 32, v35
	s_delay_alu instid0(VALU_DEP_1) | instskip(SKIP_1) | instid1(VALU_DEP_2)
	v_subrev_nc_u32_e32 v38, 28, v35
	v_sub_nc_u32_e32 v35, 29, v35
	v_lshlrev_b64 v[38:39], v38, v[2:3]
	s_delay_alu instid0(VALU_DEP_1)
	v_and_b32_e32 v2, 7, v38
; %bb.242:                              ;   in Loop: Header=BB326_161 Depth=1
	s_or_b32 exec_lo, exec_lo, s18
	v_lshlrev_b32_e32 v37, 8, v37
	v_lshl_add_u32 v35, v35, 10, 0x2000
	s_delay_alu instid0(VALU_DEP_1) | instskip(NEXT) | instid1(VALU_DEP_1)
	v_and_or_b32 v35, 0x8000, v37, v35
	v_lshl_or_b32 v2, v2, 7, v35
	s_delay_alu instid0(VALU_DEP_1)
	v_cvt_f32_f16_e32 v35, v2
.LBB326_243:                            ;   in Loop: Header=BB326_161 Depth=1
	s_or_b32 exec_lo, exec_lo, s17
.LBB326_244:                            ;   in Loop: Header=BB326_161 Depth=1
	s_delay_alu instid0(SALU_CYCLE_1)
	s_or_b32 exec_lo, exec_lo, s16
.LBB326_245:                            ;   in Loop: Header=BB326_161 Depth=1
	s_delay_alu instid0(SALU_CYCLE_1) | instskip(NEXT) | instid1(SALU_CYCLE_1)
	s_or_b32 exec_lo, exec_lo, s14
	s_mov_b32 s14, exec_lo
	v_cmpx_lt_u32_e32 0xffffff, v8
	s_cbranch_execz .LBB326_253
; %bb.246:                              ;   in Loop: Header=BB326_161 Depth=1
	v_lshrrev_b32_e32 v37, 24, v8
	v_bfrev_b32_e32 v36, 1
	s_mov_b32 s16, exec_lo
	s_delay_alu instid0(VALU_DEP_2)
	v_cmpx_ne_u32_e32 0x80, v37
	s_cbranch_execz .LBB326_252
; %bb.247:                              ;   in Loop: Header=BB326_161 Depth=1
	v_and_b32_e32 v38, 0x7f, v37
	v_mov_b32_e32 v36, 0x7fc02000
	s_mov_b32 s17, exec_lo
	s_delay_alu instid0(VALU_DEP_2)
	v_cmpx_ne_u32_e32 0x7f, v38
	s_cbranch_execz .LBB326_251
; %bb.248:                              ;   in Loop: Header=BB326_161 Depth=1
	v_and_b32_e32 v2, 7, v37
	v_lshrrev_b32_e32 v36, 3, v38
	s_mov_b32 s18, exec_lo
	v_cmpx_gt_u32_e32 8, v38
; %bb.249:                              ;   in Loop: Header=BB326_161 Depth=1
	s_delay_alu instid0(VALU_DEP_3) | instskip(NEXT) | instid1(VALU_DEP_1)
	v_clz_i32_u32_e32 v36, v2
	v_min_u32_e32 v36, 32, v36
	s_delay_alu instid0(VALU_DEP_1) | instskip(SKIP_1) | instid1(VALU_DEP_2)
	v_subrev_nc_u32_e32 v38, 28, v36
	v_sub_nc_u32_e32 v36, 29, v36
	v_lshlrev_b64 v[38:39], v38, v[2:3]
	s_delay_alu instid0(VALU_DEP_1)
	v_and_b32_e32 v2, 7, v38
; %bb.250:                              ;   in Loop: Header=BB326_161 Depth=1
	s_or_b32 exec_lo, exec_lo, s18
	v_lshlrev_b32_e32 v37, 8, v37
	v_lshl_add_u32 v36, v36, 10, 0x2000
	s_delay_alu instid0(VALU_DEP_1) | instskip(NEXT) | instid1(VALU_DEP_1)
	v_and_or_b32 v36, 0x8000, v37, v36
	v_lshl_or_b32 v2, v2, 7, v36
	s_delay_alu instid0(VALU_DEP_1)
	v_cvt_f32_f16_e32 v36, v2
.LBB326_251:                            ;   in Loop: Header=BB326_161 Depth=1
	s_or_b32 exec_lo, exec_lo, s17
.LBB326_252:                            ;   in Loop: Header=BB326_161 Depth=1
	s_delay_alu instid0(SALU_CYCLE_1)
	s_or_b32 exec_lo, exec_lo, s16
.LBB326_253:                            ;   in Loop: Header=BB326_161 Depth=1
	s_delay_alu instid0(SALU_CYCLE_1) | instskip(SKIP_3) | instid1(VALU_DEP_2)
	s_or_b32 exec_lo, exec_lo, s14
	v_dual_mov_b32 v2, v9 :: v_dual_and_b32 v39, 0xff, v9
	v_dual_mov_b32 v38, 0 :: v_dual_mov_b32 v37, 0
	s_mov_b32 s14, exec_lo
	v_cmpx_ne_u16_e32 0, v39
	s_cbranch_execz .LBB326_259
; %bb.254:                              ;   in Loop: Header=BB326_161 Depth=1
	v_bfrev_b32_e32 v37, 1
	s_mov_b32 s16, exec_lo
	v_cmpx_ne_u16_e32 0x80, v39
	s_cbranch_execz .LBB326_258
; %bb.255:                              ;   in Loop: Header=BB326_161 Depth=1
	v_and_b32_e32 v39, 0x7f, v9
	v_mov_b32_e32 v37, 0x7fc02000
	s_mov_b32 s17, exec_lo
	s_delay_alu instid0(VALU_DEP_2)
	v_cmpx_ne_u32_e32 0x7f, v39
	s_cbranch_execz .LBB326_257
; %bb.256:                              ;   in Loop: Header=BB326_161 Depth=1
	v_and_b32_e32 v37, 7, v9
	v_cmp_gt_u32_e64 s0, 8, v39
	v_lshrrev_b32_e32 v40, 3, v39
	s_delay_alu instid0(VALU_DEP_3) | instskip(NEXT) | instid1(VALU_DEP_1)
	v_clz_i32_u32_e32 v37, v37
	v_min_u32_e32 v37, 32, v37
	s_delay_alu instid0(VALU_DEP_1) | instskip(SKIP_1) | instid1(VALU_DEP_2)
	v_subrev_nc_u32_e32 v41, 28, v37
	v_sub_nc_u32_e32 v37, 29, v37
	v_cndmask_b32_e64 v39, 0, v41, s0
	s_delay_alu instid0(VALU_DEP_2) | instskip(NEXT) | instid1(VALU_DEP_2)
	v_cndmask_b32_e64 v37, v40, v37, s0
	v_lshlrev_b64 v[39:40], v39, v[2:3]
	v_lshlrev_b32_e32 v40, 8, v9
	s_delay_alu instid0(VALU_DEP_3) | instskip(NEXT) | instid1(VALU_DEP_3)
	v_lshl_add_u32 v37, v37, 10, 0x2000
	v_lshlrev_b32_e32 v39, 7, v39
	s_delay_alu instid0(VALU_DEP_2) | instskip(NEXT) | instid1(VALU_DEP_1)
	v_and_or_b32 v37, 0x8000, v40, v37
	v_and_or_b32 v37, 0x380, v39, v37
	s_delay_alu instid0(VALU_DEP_1)
	v_cvt_f32_f16_e32 v37, v37
.LBB326_257:                            ;   in Loop: Header=BB326_161 Depth=1
	s_or_b32 exec_lo, exec_lo, s17
.LBB326_258:                            ;   in Loop: Header=BB326_161 Depth=1
	s_delay_alu instid0(SALU_CYCLE_1)
	s_or_b32 exec_lo, exec_lo, s16
.LBB326_259:                            ;   in Loop: Header=BB326_161 Depth=1
	s_delay_alu instid0(SALU_CYCLE_1) | instskip(SKIP_2) | instid1(VALU_DEP_1)
	s_or_b32 exec_lo, exec_lo, s14
	v_lshrrev_b16 v2, 8, v2
	s_mov_b32 s14, exec_lo
	v_cmpx_ne_u16_e32 0, v2
	s_cbranch_execz .LBB326_267
; %bb.260:                              ;   in Loop: Header=BB326_161 Depth=1
	v_bfrev_b32_e32 v38, 1
	s_mov_b32 s16, exec_lo
	v_cmpx_ne_u16_e32 0x80, v2
	s_cbranch_execz .LBB326_266
; %bb.261:                              ;   in Loop: Header=BB326_161 Depth=1
	v_and_b32_e32 v39, 0xffff, v2
	v_mov_b32_e32 v38, 0x7fc02000
	s_mov_b32 s17, exec_lo
	s_delay_alu instid0(VALU_DEP_2) | instskip(NEXT) | instid1(VALU_DEP_1)
	v_and_b32_e32 v40, 0x7f, v39
	v_cmpx_ne_u32_e32 0x7f, v40
	s_cbranch_execz .LBB326_265
; %bb.262:                              ;   in Loop: Header=BB326_161 Depth=1
	v_and_b32_e32 v2, 7, v39
	v_lshrrev_b32_e32 v38, 3, v40
	s_mov_b32 s18, exec_lo
	v_cmpx_gt_u32_e32 8, v40
; %bb.263:                              ;   in Loop: Header=BB326_161 Depth=1
	s_delay_alu instid0(VALU_DEP_3) | instskip(NEXT) | instid1(VALU_DEP_1)
	v_clz_i32_u32_e32 v38, v2
	v_min_u32_e32 v38, 32, v38
	s_delay_alu instid0(VALU_DEP_1) | instskip(SKIP_1) | instid1(VALU_DEP_2)
	v_subrev_nc_u32_e32 v40, 28, v38
	v_sub_nc_u32_e32 v38, 29, v38
	v_lshlrev_b64 v[40:41], v40, v[2:3]
	s_delay_alu instid0(VALU_DEP_1)
	v_and_b32_e32 v2, 7, v40
; %bb.264:                              ;   in Loop: Header=BB326_161 Depth=1
	s_or_b32 exec_lo, exec_lo, s18
	v_lshlrev_b32_e32 v39, 8, v39
	v_lshl_add_u32 v38, v38, 10, 0x2000
	s_delay_alu instid0(VALU_DEP_1) | instskip(NEXT) | instid1(VALU_DEP_1)
	v_and_or_b32 v38, 0x8000, v39, v38
	v_lshl_or_b32 v2, v2, 7, v38
	s_delay_alu instid0(VALU_DEP_1)
	v_cvt_f32_f16_e32 v38, v2
.LBB326_265:                            ;   in Loop: Header=BB326_161 Depth=1
	s_or_b32 exec_lo, exec_lo, s17
.LBB326_266:                            ;   in Loop: Header=BB326_161 Depth=1
	s_delay_alu instid0(SALU_CYCLE_1)
	s_or_b32 exec_lo, exec_lo, s16
.LBB326_267:                            ;   in Loop: Header=BB326_161 Depth=1
	s_delay_alu instid0(SALU_CYCLE_1) | instskip(SKIP_3) | instid1(VALU_DEP_2)
	s_or_b32 exec_lo, exec_lo, s14
	v_lshrrev_b32_e32 v41, 16, v9
	v_mov_b32_e32 v40, 0
	s_mov_b32 s14, exec_lo
	v_dual_mov_b32 v39, 0 :: v_dual_and_b32 v2, 0xff, v41
	s_delay_alu instid0(VALU_DEP_1)
	v_cmpx_ne_u16_e32 0, v2
	s_cbranch_execz .LBB326_275
; %bb.268:                              ;   in Loop: Header=BB326_161 Depth=1
	v_bfrev_b32_e32 v39, 1
	s_mov_b32 s16, exec_lo
	v_cmpx_ne_u16_e32 0x80, v2
	s_cbranch_execz .LBB326_274
; %bb.269:                              ;   in Loop: Header=BB326_161 Depth=1
	v_bfe_u32 v42, v9, 16, 7
	v_mov_b32_e32 v39, 0x7fc02000
	s_mov_b32 s17, exec_lo
	s_delay_alu instid0(VALU_DEP_2)
	v_cmpx_ne_u32_e32 0x7f, v42
	s_cbranch_execz .LBB326_273
; %bb.270:                              ;   in Loop: Header=BB326_161 Depth=1
	v_and_b32_e32 v2, 7, v41
	v_lshrrev_b32_e32 v39, 3, v42
	s_mov_b32 s18, exec_lo
	v_cmpx_gt_u32_e32 8, v42
; %bb.271:                              ;   in Loop: Header=BB326_161 Depth=1
	s_delay_alu instid0(VALU_DEP_3) | instskip(NEXT) | instid1(VALU_DEP_1)
	v_clz_i32_u32_e32 v39, v2
	v_min_u32_e32 v39, 32, v39
	s_delay_alu instid0(VALU_DEP_1) | instskip(SKIP_1) | instid1(VALU_DEP_2)
	v_subrev_nc_u32_e32 v42, 28, v39
	v_sub_nc_u32_e32 v39, 29, v39
	v_lshlrev_b64 v[42:43], v42, v[2:3]
	s_delay_alu instid0(VALU_DEP_1)
	v_and_b32_e32 v2, 7, v42
; %bb.272:                              ;   in Loop: Header=BB326_161 Depth=1
	s_or_b32 exec_lo, exec_lo, s18
	v_lshlrev_b32_e32 v41, 8, v41
	v_lshl_add_u32 v39, v39, 10, 0x2000
	s_delay_alu instid0(VALU_DEP_1) | instskip(NEXT) | instid1(VALU_DEP_1)
	v_and_or_b32 v39, 0x8000, v41, v39
	v_lshl_or_b32 v2, v2, 7, v39
	s_delay_alu instid0(VALU_DEP_1)
	v_cvt_f32_f16_e32 v39, v2
.LBB326_273:                            ;   in Loop: Header=BB326_161 Depth=1
	s_or_b32 exec_lo, exec_lo, s17
.LBB326_274:                            ;   in Loop: Header=BB326_161 Depth=1
	s_delay_alu instid0(SALU_CYCLE_1)
	s_or_b32 exec_lo, exec_lo, s16
.LBB326_275:                            ;   in Loop: Header=BB326_161 Depth=1
	s_delay_alu instid0(SALU_CYCLE_1) | instskip(NEXT) | instid1(SALU_CYCLE_1)
	s_or_b32 exec_lo, exec_lo, s14
	s_mov_b32 s14, exec_lo
	v_cmpx_lt_u64_e64 s[2:3], v[8:9]
	s_cbranch_execz .LBB326_283
; %bb.276:                              ;   in Loop: Header=BB326_161 Depth=1
	v_lshrrev_b32_e32 v8, 24, v9
	v_bfrev_b32_e32 v40, 1
	s_mov_b32 s16, exec_lo
	s_delay_alu instid0(VALU_DEP_2)
	v_cmpx_ne_u32_e32 0x80, v8
	s_cbranch_execz .LBB326_282
; %bb.277:                              ;   in Loop: Header=BB326_161 Depth=1
	v_and_b32_e32 v41, 0x7f, v8
	v_mov_b32_e32 v40, 0x7fc02000
	s_mov_b32 s17, exec_lo
	s_delay_alu instid0(VALU_DEP_2)
	v_cmpx_ne_u32_e32 0x7f, v41
	s_cbranch_execz .LBB326_281
; %bb.278:                              ;   in Loop: Header=BB326_161 Depth=1
	v_and_b32_e32 v2, 7, v8
	v_lshrrev_b32_e32 v9, 3, v41
	s_mov_b32 s18, exec_lo
	v_cmpx_gt_u32_e32 8, v41
; %bb.279:                              ;   in Loop: Header=BB326_161 Depth=1
	s_delay_alu instid0(VALU_DEP_3) | instskip(NEXT) | instid1(VALU_DEP_1)
	v_clz_i32_u32_e32 v9, v2
	v_min_u32_e32 v9, 32, v9
	s_delay_alu instid0(VALU_DEP_1) | instskip(SKIP_1) | instid1(VALU_DEP_2)
	v_subrev_nc_u32_e32 v40, 28, v9
	v_sub_nc_u32_e32 v9, 29, v9
	v_lshlrev_b64 v[40:41], v40, v[2:3]
	s_delay_alu instid0(VALU_DEP_1)
	v_and_b32_e32 v2, 7, v40
; %bb.280:                              ;   in Loop: Header=BB326_161 Depth=1
	s_or_b32 exec_lo, exec_lo, s18
	v_lshlrev_b32_e32 v8, 8, v8
	v_lshl_add_u32 v9, v9, 10, 0x2000
	s_delay_alu instid0(VALU_DEP_1) | instskip(NEXT) | instid1(VALU_DEP_1)
	v_and_or_b32 v8, 0x8000, v8, v9
	v_lshl_or_b32 v2, v2, 7, v8
	s_delay_alu instid0(VALU_DEP_1)
	v_cvt_f32_f16_e32 v40, v2
.LBB326_281:                            ;   in Loop: Header=BB326_161 Depth=1
	s_or_b32 exec_lo, exec_lo, s17
.LBB326_282:                            ;   in Loop: Header=BB326_161 Depth=1
	s_delay_alu instid0(SALU_CYCLE_1)
	s_or_b32 exec_lo, exec_lo, s16
.LBB326_283:                            ;   in Loop: Header=BB326_161 Depth=1
	s_delay_alu instid0(SALU_CYCLE_1)
	s_or_b32 exec_lo, exec_lo, s14
	s_waitcnt vmcnt(0)
	v_fma_mixlo_f16 v9, v32, v34, 0
	v_fma_mixlo_f16 v2, v32, v36, 0
	;; [unrolled: 1-line block ×5, first 2 shown]
	v_lshlrev_b32_e32 v34, 16, v9
	v_fma_mixlo_f16 v36, v32, v37, 0
	v_fma_mixlo_f16 v37, v32, v40, 0
	;; [unrolled: 1-line block ×3, first 2 shown]
	v_lshlrev_b32_e32 v2, 16, v2
	v_and_b32_e32 v8, 0xffff, v8
	v_and_b32_e32 v33, 0xffff, v33
	v_lshlrev_b32_e32 v35, 16, v35
	v_and_b32_e32 v36, 0xffff, v36
	v_lshlrev_b32_e32 v37, 16, v37
	v_and_b32_e32 v38, 0xffff, v9
	v_or_b32_e32 v32, v2, v8
	v_or_b32_e32 v33, v34, v33
	;; [unrolled: 1-line block ×3, first 2 shown]
	s_delay_alu instid0(VALU_DEP_4)
	v_or_b32_e32 v8, v37, v38
	s_and_saveexec_b32 s0, vcc_lo
	s_cbranch_execz .LBB326_160
; %bb.284:                              ;   in Loop: Header=BB326_161 Depth=1
	v_cmp_gt_i32_e32 vcc_lo, s15, v15
	v_lshrrev_b32_e32 v34, 16, v33
	v_lshrrev_b32_e32 v35, 16, v32
	;; [unrolled: 1-line block ×3, first 2 shown]
	v_cndmask_b32_e32 v33, 0, v33, vcc_lo
	v_cmp_gt_i32_e32 vcc_lo, s10, v25
	v_cndmask_b32_e32 v25, 0, v34, vcc_lo
	v_cmp_gt_i32_e32 vcc_lo, s10, v24
	v_lshrrev_b32_e32 v34, 16, v2
	v_cndmask_b32_e32 v24, 0, v35, vcc_lo
	v_cmp_gt_i32_e32 vcc_lo, s15, v23
	v_cndmask_b32_e32 v23, 0, v32, vcc_lo
	v_cmp_gt_i32_e32 vcc_lo, s10, v22
	;; [unrolled: 2-line block ×3, first 2 shown]
	s_delay_alu instid0(VALU_DEP_4)
	v_perm_b32 v32, v24, v23, 0x5040100
	v_cndmask_b32_e32 v2, 0, v2, vcc_lo
	v_cmp_gt_i32_e32 vcc_lo, s10, v11
	v_cndmask_b32_e32 v8, 0, v8, vcc_lo
	v_cmp_gt_i32_e32 vcc_lo, s15, v10
	v_perm_b32 v33, v25, v33, 0x5040100
	v_cndmask_b32_e32 v9, 0, v9, vcc_lo
	v_perm_b32 v2, v22, v2, 0x5040100
	s_delay_alu instid0(VALU_DEP_2)
	v_perm_b32 v8, v8, v9, 0x5040100
	s_branch .LBB326_160
.LBB326_285:
	s_or_b32 exec_lo, exec_lo, s5
.LBB326_286:
	s_delay_alu instid0(SALU_CYCLE_1)
	s_or_b32 exec_lo, exec_lo, s1
	ds_bpermute_b32 v1, v17, v18
	ds_bpermute_b32 v4, v17, v19
	v_and_b32_e32 v5, 0x3c1, v0
	v_lshrrev_b32_e32 v3, 1, v16
	s_mov_b32 s0, exec_lo
	s_waitcnt lgkmcnt(0)
	s_waitcnt_vscnt null, 0x0
	s_barrier
	buffer_gl0_inv
	v_dual_add_f32 v2, v18, v1 :: v_dual_add_f32 v1, v19, v4
	v_cmpx_eq_u32_e32 64, v5
	s_cbranch_execz .LBB326_288
; %bb.287:
	v_lshl_add_u32 v4, v14, 7, 0x60
	v_lshlrev_b32_e32 v5, 2, v3
	s_delay_alu instid0(VALU_DEP_1)
	v_add3_u32 v4, v4, v5, 0xffffff00
	ds_store_2addr_b32 v4, v2, v1 offset1:16
.LBB326_288:
	s_or_b32 exec_lo, exec_lo, s0
	v_and_b32_e32 v4, 0x3e0, v0
	v_cmp_eq_u32_e32 vcc_lo, 0, v13
	s_mov_b32 s1, exec_lo
	s_waitcnt lgkmcnt(0)
	s_barrier
	v_lshl_add_u32 v4, v4, 2, 0x60
	buffer_gl0_inv
	v_cmpx_gt_u32_e32 64, v0
	s_cbranch_execz .LBB326_294
; %bb.289:
	s_and_saveexec_b32 s0, vcc_lo
	s_cbranch_execz .LBB326_291
; %bb.290:
	v_lshl_add_u32 v5, v3, 2, v4
	ds_load_b32 v5, v5
	s_waitcnt lgkmcnt(0)
	v_add_f32_e32 v2, v2, v5
.LBB326_291:
	s_or_b32 exec_lo, exec_lo, s0
	s_and_saveexec_b32 s0, vcc_lo
	s_cbranch_execz .LBB326_293
; %bb.292:
	v_lshl_add_u32 v5, v3, 2, v4
	ds_load_b32 v5, v5 offset:64
	s_waitcnt lgkmcnt(0)
	v_add_f32_e32 v1, v1, v5
.LBB326_293:
	s_or_b32 exec_lo, exec_lo, s0
.LBB326_294:
	s_delay_alu instid0(SALU_CYCLE_1)
	s_or_b32 exec_lo, exec_lo, s1
	v_and_b32_e32 v5, 0x3e1, v0
	s_mov_b32 s1, exec_lo
	s_barrier
	buffer_gl0_inv
	v_cmpx_eq_u32_e32 32, v5
	s_cbranch_execz .LBB326_296
; %bb.295:
	v_lshl_add_u32 v6, v3, 2, 0x60
	ds_store_2addr_b32 v6, v2, v1 offset1:16
.LBB326_296:
	s_or_b32 exec_lo, exec_lo, s1
	s_delay_alu instid0(SALU_CYCLE_1)
	s_mov_b32 s1, exec_lo
	s_waitcnt lgkmcnt(0)
	s_barrier
	buffer_gl0_inv
	v_cmpx_gt_u32_e32 32, v0
	s_cbranch_execz .LBB326_302
; %bb.297:
	v_lshl_add_u32 v0, v3, 2, v4
	s_and_saveexec_b32 s0, vcc_lo
	s_cbranch_execz .LBB326_299
; %bb.298:
	ds_load_b32 v3, v0
	s_waitcnt lgkmcnt(0)
	v_add_f32_e32 v2, v2, v3
.LBB326_299:
	s_or_b32 exec_lo, exec_lo, s0
	s_and_saveexec_b32 s0, vcc_lo
	s_cbranch_execz .LBB326_301
; %bb.300:
	ds_load_b32 v0, v0 offset:64
	s_waitcnt lgkmcnt(0)
	v_add_f32_e32 v1, v1, v0
.LBB326_301:
	s_or_b32 exec_lo, exec_lo, s0
.LBB326_302:
	s_delay_alu instid0(SALU_CYCLE_1)
	s_or_b32 exec_lo, exec_lo, s1
	s_barrier
	buffer_gl0_inv
	s_mov_b32 s0, exec_lo
	v_cmpx_eq_u32_e32 0, v5
	s_cbranch_execz .LBB326_304
; %bb.303:
	s_lshl_b32 s0, s4, 5
	s_mul_i32 s2, s11, s12
	s_ashr_i32 s1, s0, 31
	v_lshlrev_b32_e32 v0, 1, v12
	s_lshl_b64 s[0:1], s[0:1], 1
	;;#ASMSTART
	v_cvt_f16_f32 v2, v2;

	;;#ASMEND
	s_add_u32 s4, s20, s0
	s_addc_u32 s5, s21, s1
	s_ashr_i32 s3, s2, 31
	s_delay_alu instid0(SALU_CYCLE_1) | instskip(NEXT) | instid1(SALU_CYCLE_1)
	s_lshl_b64 s[0:1], s[2:3], 1
	s_add_u32 s2, s4, s0
	s_addc_u32 s3, s5, s1
	s_ashr_i32 s9, s8, 31
	s_delay_alu instid0(SALU_CYCLE_1) | instskip(NEXT) | instid1(SALU_CYCLE_1)
	s_lshl_b64 s[0:1], s[8:9], 1
	s_add_u32 s0, s2, s0
	s_addc_u32 s1, s3, s1
	global_store_b16 v0, v2, s[0:1]
	;;#ASMSTART
	v_cvt_f16_f32 v1, v1;

	;;#ASMEND
	global_store_b16 v0, v1, s[0:1] offset:32
.LBB326_304:
	s_nop 0
	s_sendmsg sendmsg(MSG_DEALLOC_VGPRS)
	s_endpgm
	.section	.rodata,"a",@progbits
	.p2align	6, 0x0
	.amdhsa_kernel _ZN4vllm25paged_attention_v2_kernelIthLi32ELi16ELi128ELNS_18Fp8KVCacheDataTypeE1ELb0ELi512EEEvPfS2_PT_PKS3_PKT0_S9_ifPKiSB_iPKfiiiSD_SD_iiiii
		.amdhsa_group_segment_fixed_size 96
		.amdhsa_private_segment_fixed_size 0
		.amdhsa_kernarg_size 400
		.amdhsa_user_sgpr_count 13
		.amdhsa_user_sgpr_dispatch_ptr 0
		.amdhsa_user_sgpr_queue_ptr 0
		.amdhsa_user_sgpr_kernarg_segment_ptr 1
		.amdhsa_user_sgpr_dispatch_id 0
		.amdhsa_user_sgpr_private_segment_size 0
		.amdhsa_wavefront_size32 1
		.amdhsa_uses_dynamic_stack 0
		.amdhsa_enable_private_segment 0
		.amdhsa_system_sgpr_workgroup_id_x 1
		.amdhsa_system_sgpr_workgroup_id_y 1
		.amdhsa_system_sgpr_workgroup_id_z 1
		.amdhsa_system_sgpr_workgroup_info 0
		.amdhsa_system_vgpr_workitem_id 0
		.amdhsa_next_free_vgpr 52
		.amdhsa_next_free_sgpr 43
		.amdhsa_reserve_vcc 1
		.amdhsa_float_round_mode_32 0
		.amdhsa_float_round_mode_16_64 0
		.amdhsa_float_denorm_mode_32 3
		.amdhsa_float_denorm_mode_16_64 3
		.amdhsa_dx10_clamp 1
		.amdhsa_ieee_mode 1
		.amdhsa_fp16_overflow 0
		.amdhsa_workgroup_processor_mode 1
		.amdhsa_memory_ordered 1
		.amdhsa_forward_progress 0
		.amdhsa_shared_vgpr_count 0
		.amdhsa_exception_fp_ieee_invalid_op 0
		.amdhsa_exception_fp_denorm_src 0
		.amdhsa_exception_fp_ieee_div_zero 0
		.amdhsa_exception_fp_ieee_overflow 0
		.amdhsa_exception_fp_ieee_underflow 0
		.amdhsa_exception_fp_ieee_inexact 0
		.amdhsa_exception_int_div_zero 0
	.end_amdhsa_kernel
	.section	.text._ZN4vllm25paged_attention_v2_kernelIthLi32ELi16ELi128ELNS_18Fp8KVCacheDataTypeE1ELb0ELi512EEEvPfS2_PT_PKS3_PKT0_S9_ifPKiSB_iPKfiiiSD_SD_iiiii,"axG",@progbits,_ZN4vllm25paged_attention_v2_kernelIthLi32ELi16ELi128ELNS_18Fp8KVCacheDataTypeE1ELb0ELi512EEEvPfS2_PT_PKS3_PKT0_S9_ifPKiSB_iPKfiiiSD_SD_iiiii,comdat
.Lfunc_end326:
	.size	_ZN4vllm25paged_attention_v2_kernelIthLi32ELi16ELi128ELNS_18Fp8KVCacheDataTypeE1ELb0ELi512EEEvPfS2_PT_PKS3_PKT0_S9_ifPKiSB_iPKfiiiSD_SD_iiiii, .Lfunc_end326-_ZN4vllm25paged_attention_v2_kernelIthLi32ELi16ELi128ELNS_18Fp8KVCacheDataTypeE1ELb0ELi512EEEvPfS2_PT_PKS3_PKT0_S9_ifPKiSB_iPKfiiiSD_SD_iiiii
                                        ; -- End function
	.section	.AMDGPU.csdata,"",@progbits
; Kernel info:
; codeLenInByte = 12492
; NumSgprs: 45
; NumVgprs: 52
; ScratchSize: 0
; MemoryBound: 0
; FloatMode: 240
; IeeeMode: 1
; LDSByteSize: 96 bytes/workgroup (compile time only)
; SGPRBlocks: 5
; VGPRBlocks: 6
; NumSGPRsForWavesPerEU: 45
; NumVGPRsForWavesPerEU: 52
; Occupancy: 16
; WaveLimiterHint : 1
; COMPUTE_PGM_RSRC2:SCRATCH_EN: 0
; COMPUTE_PGM_RSRC2:USER_SGPR: 13
; COMPUTE_PGM_RSRC2:TRAP_HANDLER: 0
; COMPUTE_PGM_RSRC2:TGID_X_EN: 1
; COMPUTE_PGM_RSRC2:TGID_Y_EN: 1
; COMPUTE_PGM_RSRC2:TGID_Z_EN: 1
; COMPUTE_PGM_RSRC2:TIDIG_COMP_CNT: 0
	.section	.text._ZN4vllm25paged_attention_v2_kernelIthLi64ELi16ELi128ELNS_18Fp8KVCacheDataTypeE1ELb0ELi512EEEvPfS2_PT_PKS3_PKT0_S9_ifPKiSB_iPKfiiiSD_SD_iiiii,"axG",@progbits,_ZN4vllm25paged_attention_v2_kernelIthLi64ELi16ELi128ELNS_18Fp8KVCacheDataTypeE1ELb0ELi512EEEvPfS2_PT_PKS3_PKT0_S9_ifPKiSB_iPKfiiiSD_SD_iiiii,comdat
	.protected	_ZN4vllm25paged_attention_v2_kernelIthLi64ELi16ELi128ELNS_18Fp8KVCacheDataTypeE1ELb0ELi512EEEvPfS2_PT_PKS3_PKT0_S9_ifPKiSB_iPKfiiiSD_SD_iiiii ; -- Begin function _ZN4vllm25paged_attention_v2_kernelIthLi64ELi16ELi128ELNS_18Fp8KVCacheDataTypeE1ELb0ELi512EEEvPfS2_PT_PKS3_PKT0_S9_ifPKiSB_iPKfiiiSD_SD_iiiii
	.globl	_ZN4vllm25paged_attention_v2_kernelIthLi64ELi16ELi128ELNS_18Fp8KVCacheDataTypeE1ELb0ELi512EEEvPfS2_PT_PKS3_PKT0_S9_ifPKiSB_iPKfiiiSD_SD_iiiii
	.p2align	8
	.type	_ZN4vllm25paged_attention_v2_kernelIthLi64ELi16ELi128ELNS_18Fp8KVCacheDataTypeE1ELb0ELi512EEEvPfS2_PT_PKS3_PKT0_S9_ifPKiSB_iPKfiiiSD_SD_iiiii,@function
_ZN4vllm25paged_attention_v2_kernelIthLi64ELi16ELi128ELNS_18Fp8KVCacheDataTypeE1ELb0ELi512EEEvPfS2_PT_PKS3_PKT0_S9_ifPKiSB_iPKfiiiSD_SD_iiiii: ; @_ZN4vllm25paged_attention_v2_kernelIthLi64ELi16ELi128ELNS_18Fp8KVCacheDataTypeE1ELb0ELi512EEEvPfS2_PT_PKS3_PKT0_S9_ifPKiSB_iPKfiiiSD_SD_iiiii
; %bb.0:
	s_load_b64 s[2:3], s[0:1], 0x40
	s_mov_b32 s12, s15
	s_ashr_i32 s15, s14, 31
	s_delay_alu instid0(SALU_CYCLE_1)
	s_lshl_b64 s[4:5], s[14:15], 2
	s_waitcnt lgkmcnt(0)
	s_add_u32 s2, s2, s4
	s_addc_u32 s3, s3, s5
	s_lshl_b32 s33, s12, 9
	s_load_b32 s15, s[2:3], 0x0
	s_waitcnt lgkmcnt(0)
	s_cmp_ge_i32 s33, s15
	s_cbranch_scc1 .LBB327_558
; %bb.1:
	s_mov_b32 s24, s13
	s_clause 0x1
	s_load_b32 s13, s[0:1], 0x90
	s_load_b64 s[34:35], s[0:1], 0x30
	s_waitcnt lgkmcnt(0)
	s_abs_i32 s5, s13
	s_abs_i32 s2, s34
	s_delay_alu instid0(SALU_CYCLE_1) | instskip(SKIP_1) | instid1(VALU_DEP_1)
	v_cvt_f32_u32_e32 v1, s2
	s_sub_i32 s4, 0, s2
	v_rcp_iflag_f32_e32 v1, v1
	s_waitcnt_depctr 0xfff
	v_mul_f32_e32 v1, 0x4f7ffffe, v1
	s_delay_alu instid0(VALU_DEP_1) | instskip(NEXT) | instid1(VALU_DEP_1)
	v_cvt_u32_f32_e32 v1, v1
	v_readfirstlane_b32 s3, v1
	s_delay_alu instid0(VALU_DEP_1) | instskip(NEXT) | instid1(SALU_CYCLE_1)
	s_mul_i32 s4, s4, s3
	s_mul_hi_u32 s4, s3, s4
	s_delay_alu instid0(SALU_CYCLE_1)
	s_add_i32 s3, s3, s4
	s_xor_b32 s4, s13, s34
	s_mul_hi_u32 s3, s5, s3
	s_ashr_i32 s4, s4, 31
	s_mul_i32 s6, s3, s2
	s_mov_b32 s34, 0
	s_sub_i32 s5, s5, s6
	s_add_i32 s6, s3, 1
	s_sub_i32 s7, s5, s2
	s_cmp_ge_u32 s5, s2
	s_cselect_b32 s3, s6, s3
	s_cselect_b32 s5, s7, s5
	s_add_i32 s6, s3, 1
	s_cmp_ge_u32 s5, s2
	s_cselect_b32 s2, s6, s3
	s_delay_alu instid0(SALU_CYCLE_1) | instskip(NEXT) | instid1(SALU_CYCLE_1)
	s_xor_b32 s2, s2, s4
	s_sub_i32 s7, s2, s4
	s_load_b64 s[2:3], s[0:1], 0x50
	s_abs_i32 s4, s7
	s_delay_alu instid0(SALU_CYCLE_1) | instskip(SKIP_1) | instid1(VALU_DEP_1)
	v_cvt_f32_u32_e32 v1, s4
	s_sub_i32 s6, 0, s4
	v_rcp_iflag_f32_e32 v1, v1
	s_waitcnt_depctr 0xfff
	v_mul_f32_e32 v1, 0x4f7ffffe, v1
	s_delay_alu instid0(VALU_DEP_1) | instskip(NEXT) | instid1(VALU_DEP_1)
	v_cvt_u32_f32_e32 v1, v1
	v_readfirstlane_b32 s5, v1
	s_delay_alu instid0(VALU_DEP_1) | instskip(NEXT) | instid1(SALU_CYCLE_1)
	s_mul_i32 s6, s6, s5
	s_mul_hi_u32 s8, s5, s6
	s_abs_i32 s6, s24
	s_add_i32 s5, s5, s8
	s_waitcnt lgkmcnt(0)
	s_cmp_eq_u64 s[2:3], 0
	s_mul_hi_u32 s5, s6, s5
	s_cbranch_scc1 .LBB327_3
; %bb.2:
	s_ashr_i32 s25, s24, 31
	s_delay_alu instid0(SALU_CYCLE_1) | instskip(NEXT) | instid1(SALU_CYCLE_1)
	s_lshl_b64 s[8:9], s[24:25], 2
	s_add_u32 s2, s2, s8
	s_addc_u32 s3, s3, s9
	s_load_b32 s34, s[2:3], 0x0
.LBB327_3:
	s_load_b128 s[8:11], s[0:1], 0x58
	v_lshrrev_b32_e32 v12, 1, v0
	v_and_b32_e32 v13, 1, v0
	v_lshlrev_b32_e32 v11, 3, v0
	s_ashr_i32 s2, s24, 31
	s_ashr_i32 s3, s7, 31
	s_lshl_b32 s20, s24, 6
	s_mov_b32 s7, exec_lo
	v_cmpx_gt_u32_e32 16, v0
	s_cbranch_execz .LBB327_5
; %bb.4:
	s_load_b64 s[16:17], s[0:1], 0x18
	s_waitcnt lgkmcnt(0)
	s_mul_i32 s18, s14, s8
	v_lshlrev_b32_e32 v3, 3, v12
	s_ashr_i32 s19, s18, 31
	s_delay_alu instid0(SALU_CYCLE_1) | instskip(NEXT) | instid1(VALU_DEP_1)
	s_lshl_b64 s[18:19], s[18:19], 1
	v_lshl_add_u32 v3, v13, 6, v3
	s_add_u32 s8, s16, s18
	s_addc_u32 s11, s17, s19
	s_ashr_i32 s21, s20, 31
	s_delay_alu instid0(SALU_CYCLE_1) | instskip(NEXT) | instid1(SALU_CYCLE_1)
	s_lshl_b64 s[16:17], s[20:21], 1
	s_add_u32 s16, s8, s16
	s_addc_u32 s17, s11, s17
	global_load_b64 v[1:2], v11, s[16:17]
	s_waitcnt vmcnt(0)
	ds_store_b64 v3, v[1:2]
.LBB327_5:
	s_or_b32 exec_lo, exec_lo, s7
	s_add_i32 s7, s15, 15
	s_lshl_b32 s25, s12, 5
	s_waitcnt lgkmcnt(0)
	s_ashr_i32 s8, s7, 31
	s_xor_b32 s2, s2, s3
	s_lshr_b32 s8, s8, 28
	s_add_i32 s3, s25, 32
	s_add_i32 s7, s7, s8
	s_clause 0x1
	s_load_b64 s[26:27], s[0:1], 0x38
	s_load_b32 s8, s[0:1], 0x48
	s_ashr_i32 s21, s7, 4
	s_mul_i32 s7, s5, s4
	s_min_i32 s11, s3, s21
	s_sub_i32 s3, s6, s7
	s_add_i32 s6, s5, 1
	s_sub_i32 s7, s3, s4
	s_cmp_ge_u32 s3, s4
	v_lshrrev_b32_e32 v14, 5, v0
	s_cselect_b32 s5, s6, s5
	s_cselect_b32 s3, s7, s3
	s_add_i32 s6, s5, 1
	s_cmp_ge_u32 s3, s4
	v_or_b32_e32 v1, s25, v14
	s_cselect_b32 s3, s6, s5
	v_mbcnt_lo_u32_b32 v18, -1, 0
	s_xor_b32 s3, s3, s2
	s_mov_b32 s4, exec_lo
	s_sub_i32 s3, s3, s2
	v_cmp_gt_i32_e64 s2, s11, v1
	s_waitcnt lgkmcnt(0)
	s_mul_i32 s28, s14, s8
	s_delay_alu instid0(SALU_CYCLE_1)
	s_ashr_i32 s29, s28, 31
	s_barrier
	buffer_gl0_inv
                                        ; implicit-def: $sgpr37
                                        ; implicit-def: $vgpr17
	v_cmpx_le_i32_e64 s11, v1
	s_xor_b32 s4, exec_lo, s4
; %bb.6:
	v_mbcnt_lo_u32_b32 v18, -1, 0
	v_mov_b32_e32 v17, 32
	s_mov_b32 s37, 0xff7fffff
; %bb.7:
	s_or_saveexec_b32 s36, s4
	s_clause 0x4
	s_load_b128 s[16:19], s[0:1], 0x0
	s_load_b64 s[22:23], s[0:1], 0x10
	s_load_b32 s8, s[0:1], 0x98
	s_load_b64 s[30:31], s[0:1], 0x28
	s_load_b128 s[4:7], s[0:1], 0x68
	v_dual_mov_b32 v16, s37 :: v_dual_lshlrev_b32 v15, 4, v14
	v_ashrrev_i32_e32 v2, 31, v1
	s_mul_i32 s10, s3, s10
	s_xor_b32 exec_lo, exec_lo, s36
	s_cbranch_execz .LBB327_269
; %bb.8:
	s_load_b64 s[38:39], s[0:1], 0x20
	v_bfe_u32 v3, v0, 1, 4
	s_ashr_i32 s1, s10, 31
	v_lshlrev_b64 v[7:8], 2, v[1:2]
	v_dual_mov_b32 v16, 0xff7fffff :: v_dual_lshlrev_b32 v19, 2, v13
	s_delay_alu instid0(VALU_DEP_3) | instskip(SKIP_2) | instid1(VALU_DEP_3)
	v_dual_mov_b32 v4, 0 :: v_dual_lshlrev_b32 v5, 2, v3
	v_dual_mov_b32 v23, v1 :: v_dual_lshlrev_b32 v6, 4, v3
	;; [unrolled: 1-line block ×3, first 2 shown]
	v_lshl_or_b32 v5, v14, 6, v5
	v_cmp_eq_u32_e32 vcc_lo, 0, v13
	v_cmp_neq_f32_e64 s0, s34, 0
	v_add3_u32 v21, s33, v15, v3
	s_delay_alu instid0(VALU_DEP_4)
	v_add_nc_u32_e32 v22, 0xa0, v5
	s_waitcnt lgkmcnt(0)
	s_add_u32 s3, s38, s10
	s_addc_u32 s1, s39, s1
	s_lshl_b64 s[38:39], s[28:29], 2
	v_add_co_u32 v5, s3, s3, v6
	s_sub_i32 s37, 1, s15
	v_add_co_ci_u32_e64 v6, null, s1, 0, s3
	s_add_u32 s1, s26, s38
	s_addc_u32 s3, s27, s39
	v_add_co_u32 v7, s1, s1, v7
	s_delay_alu instid0(VALU_DEP_1)
	v_add_co_ci_u32_e64 v8, s1, s3, v8, s1
	s_mov_b32 s39, s9
	s_mov_b32 s38, 0
	s_branch .LBB327_10
.LBB327_9:                              ;   in Loop: Header=BB327_10 Depth=1
	s_or_b32 exec_lo, exec_lo, s3
	v_add_nc_u32_e32 v23, 4, v23
	v_add_co_u32 v7, s3, v7, 16
	v_add_nc_u32_e32 v21, 64, v21
	v_add_nc_u32_e32 v22, 0x100, v22
	s_delay_alu instid0(VALU_DEP_4) | instskip(SKIP_1) | instid1(VALU_DEP_2)
	v_cmp_le_i32_e64 s1, s11, v23
	v_add_co_ci_u32_e64 v8, s3, 0, v8, s3
	s_or_b32 s38, s1, s38
	s_delay_alu instid0(SALU_CYCLE_1)
	s_and_not1_b32 exec_lo, exec_lo, s38
	s_cbranch_execz .LBB327_268
.LBB327_10:                             ; =>This Inner Loop Header: Depth=1
	global_load_b32 v3, v[7:8], off
	v_mov_b32_e32 v25, 0
	s_mov_b32 s3, exec_lo
	s_waitcnt vmcnt(0) lgkmcnt(0)
	v_mad_i64_i32 v[9:10], null, v3, s39, v[5:6]
	s_delay_alu instid0(VALU_DEP_1) | instskip(NEXT) | instid1(VALU_DEP_1)
	v_add_co_u32 v9, s1, v9, v19
	v_add_co_ci_u32_e64 v10, s1, 0, v10, s1
	global_load_b32 v30, v[9:10], off
	global_load_b32 v24, v4, s[4:5]
	s_waitcnt vmcnt(1)
	v_and_b32_e32 v3, 0xff, v30
	s_delay_alu instid0(VALU_DEP_1)
	v_cmpx_ne_u16_e32 0, v3
	s_cbranch_execz .LBB327_18
; %bb.11:                               ;   in Loop: Header=BB327_10 Depth=1
	v_bfrev_b32_e32 v25, 1
	s_mov_b32 s40, exec_lo
	v_cmpx_ne_u16_e32 0x80, v3
	s_cbranch_execz .LBB327_17
; %bb.12:                               ;   in Loop: Header=BB327_10 Depth=1
	v_and_b32_e32 v26, 0x7f, v30
	v_mov_b32_e32 v25, 0x7fc02000
	s_mov_b32 s41, exec_lo
	s_delay_alu instid0(VALU_DEP_2)
	v_cmpx_ne_u32_e32 0x7f, v26
	s_cbranch_execz .LBB327_16
; %bb.13:                               ;   in Loop: Header=BB327_10 Depth=1
	v_and_b32_e32 v3, 7, v30
	v_lshrrev_b32_e32 v25, 3, v26
	s_mov_b32 s42, exec_lo
	v_cmpx_gt_u32_e32 8, v26
; %bb.14:                               ;   in Loop: Header=BB327_10 Depth=1
	s_delay_alu instid0(VALU_DEP_3) | instskip(NEXT) | instid1(VALU_DEP_1)
	v_clz_i32_u32_e32 v25, v3
	v_min_u32_e32 v25, 32, v25
	s_delay_alu instid0(VALU_DEP_1) | instskip(SKIP_1) | instid1(VALU_DEP_2)
	v_subrev_nc_u32_e32 v26, 28, v25
	v_sub_nc_u32_e32 v25, 29, v25
	v_lshlrev_b64 v[26:27], v26, v[3:4]
	s_delay_alu instid0(VALU_DEP_1)
	v_and_b32_e32 v3, 7, v26
; %bb.15:                               ;   in Loop: Header=BB327_10 Depth=1
	s_or_b32 exec_lo, exec_lo, s42
	v_lshlrev_b32_e32 v26, 8, v30
	v_lshl_add_u32 v25, v25, 10, 0x2000
	s_delay_alu instid0(VALU_DEP_1) | instskip(NEXT) | instid1(VALU_DEP_1)
	v_and_or_b32 v25, 0x8000, v26, v25
	v_lshl_or_b32 v3, v3, 7, v25
	s_delay_alu instid0(VALU_DEP_1)
	v_cvt_f32_f16_e32 v25, v3
.LBB327_16:                             ;   in Loop: Header=BB327_10 Depth=1
	s_or_b32 exec_lo, exec_lo, s41
.LBB327_17:                             ;   in Loop: Header=BB327_10 Depth=1
	s_delay_alu instid0(SALU_CYCLE_1)
	s_or_b32 exec_lo, exec_lo, s40
.LBB327_18:                             ;   in Loop: Header=BB327_10 Depth=1
	s_delay_alu instid0(SALU_CYCLE_1) | instskip(SKIP_3) | instid1(VALU_DEP_2)
	s_or_b32 exec_lo, exec_lo, s3
	v_lshrrev_b16 v3, 8, v30
	v_dual_mov_b32 v26, 0 :: v_dual_mov_b32 v27, 0
	s_mov_b32 s3, exec_lo
	v_cmpx_ne_u16_e32 0, v3
	s_cbranch_execz .LBB327_26
; %bb.19:                               ;   in Loop: Header=BB327_10 Depth=1
	v_bfrev_b32_e32 v27, 1
	s_mov_b32 s40, exec_lo
	v_cmpx_ne_u16_e32 0x80, v3
	s_cbranch_execz .LBB327_25
; %bb.20:                               ;   in Loop: Header=BB327_10 Depth=1
	v_and_b32_e32 v28, 0xffff, v3
	v_mov_b32_e32 v27, 0x7fc02000
	s_mov_b32 s41, exec_lo
	s_delay_alu instid0(VALU_DEP_2) | instskip(NEXT) | instid1(VALU_DEP_1)
	v_and_b32_e32 v29, 0x7f, v28
	v_cmpx_ne_u32_e32 0x7f, v29
	s_cbranch_execz .LBB327_24
; %bb.21:                               ;   in Loop: Header=BB327_10 Depth=1
	v_and_b32_e32 v3, 7, v28
	v_lshrrev_b32_e32 v27, 3, v29
	s_mov_b32 s42, exec_lo
	v_cmpx_gt_u32_e32 8, v29
; %bb.22:                               ;   in Loop: Header=BB327_10 Depth=1
	s_delay_alu instid0(VALU_DEP_3) | instskip(NEXT) | instid1(VALU_DEP_1)
	v_clz_i32_u32_e32 v27, v3
	v_min_u32_e32 v27, 32, v27
	s_delay_alu instid0(VALU_DEP_1) | instskip(SKIP_1) | instid1(VALU_DEP_2)
	v_subrev_nc_u32_e32 v29, 28, v27
	v_sub_nc_u32_e32 v27, 29, v27
	v_lshlrev_b64 v[31:32], v29, v[3:4]
	s_delay_alu instid0(VALU_DEP_1)
	v_and_b32_e32 v3, 7, v31
; %bb.23:                               ;   in Loop: Header=BB327_10 Depth=1
	s_or_b32 exec_lo, exec_lo, s42
	v_lshlrev_b32_e32 v28, 8, v28
	v_lshl_add_u32 v27, v27, 10, 0x2000
	s_delay_alu instid0(VALU_DEP_1) | instskip(NEXT) | instid1(VALU_DEP_1)
	v_and_or_b32 v27, 0x8000, v28, v27
	v_lshl_or_b32 v3, v3, 7, v27
	s_delay_alu instid0(VALU_DEP_1)
	v_cvt_f32_f16_e32 v27, v3
.LBB327_24:                             ;   in Loop: Header=BB327_10 Depth=1
	s_or_b32 exec_lo, exec_lo, s41
.LBB327_25:                             ;   in Loop: Header=BB327_10 Depth=1
	s_delay_alu instid0(SALU_CYCLE_1)
	s_or_b32 exec_lo, exec_lo, s40
.LBB327_26:                             ;   in Loop: Header=BB327_10 Depth=1
	s_delay_alu instid0(SALU_CYCLE_1) | instskip(SKIP_2) | instid1(VALU_DEP_1)
	s_or_b32 exec_lo, exec_lo, s3
	v_lshrrev_b32_e32 v28, 16, v30
	s_mov_b32 s3, exec_lo
	v_and_b32_e32 v3, 0xff, v28
	s_delay_alu instid0(VALU_DEP_1)
	v_cmpx_ne_u16_e32 0, v3
	s_cbranch_execz .LBB327_34
; %bb.27:                               ;   in Loop: Header=BB327_10 Depth=1
	v_bfrev_b32_e32 v26, 1
	s_mov_b32 s40, exec_lo
	v_cmpx_ne_u16_e32 0x80, v3
	s_cbranch_execz .LBB327_33
; %bb.28:                               ;   in Loop: Header=BB327_10 Depth=1
	v_bfe_u32 v29, v30, 16, 7
	v_mov_b32_e32 v26, 0x7fc02000
	s_mov_b32 s41, exec_lo
	s_delay_alu instid0(VALU_DEP_2)
	v_cmpx_ne_u32_e32 0x7f, v29
	s_cbranch_execz .LBB327_32
; %bb.29:                               ;   in Loop: Header=BB327_10 Depth=1
	v_and_b32_e32 v3, 7, v28
	v_lshrrev_b32_e32 v26, 3, v29
	s_mov_b32 s42, exec_lo
	v_cmpx_gt_u32_e32 8, v29
; %bb.30:                               ;   in Loop: Header=BB327_10 Depth=1
	s_delay_alu instid0(VALU_DEP_3) | instskip(NEXT) | instid1(VALU_DEP_1)
	v_clz_i32_u32_e32 v26, v3
	v_min_u32_e32 v26, 32, v26
	s_delay_alu instid0(VALU_DEP_1) | instskip(SKIP_1) | instid1(VALU_DEP_2)
	v_subrev_nc_u32_e32 v29, 28, v26
	v_sub_nc_u32_e32 v26, 29, v26
	v_lshlrev_b64 v[31:32], v29, v[3:4]
	s_delay_alu instid0(VALU_DEP_1)
	v_and_b32_e32 v3, 7, v31
; %bb.31:                               ;   in Loop: Header=BB327_10 Depth=1
	s_or_b32 exec_lo, exec_lo, s42
	v_lshlrev_b32_e32 v28, 8, v28
	v_lshl_add_u32 v26, v26, 10, 0x2000
	s_delay_alu instid0(VALU_DEP_1) | instskip(NEXT) | instid1(VALU_DEP_1)
	v_and_or_b32 v26, 0x8000, v28, v26
	v_lshl_or_b32 v3, v3, 7, v26
	s_delay_alu instid0(VALU_DEP_1)
	v_cvt_f32_f16_e32 v26, v3
.LBB327_32:                             ;   in Loop: Header=BB327_10 Depth=1
	s_or_b32 exec_lo, exec_lo, s41
.LBB327_33:                             ;   in Loop: Header=BB327_10 Depth=1
	s_delay_alu instid0(SALU_CYCLE_1)
	s_or_b32 exec_lo, exec_lo, s40
.LBB327_34:                             ;   in Loop: Header=BB327_10 Depth=1
	s_delay_alu instid0(SALU_CYCLE_1)
	s_or_b32 exec_lo, exec_lo, s3
	v_dual_mov_b32 v28, 0 :: v_dual_mov_b32 v29, 0
	s_mov_b32 s3, exec_lo
	v_cmpx_lt_u32_e32 0xffffff, v30
	s_cbranch_execz .LBB327_42
; %bb.35:                               ;   in Loop: Header=BB327_10 Depth=1
	v_lshrrev_b32_e32 v30, 24, v30
	v_bfrev_b32_e32 v29, 1
	s_mov_b32 s40, exec_lo
	s_delay_alu instid0(VALU_DEP_2)
	v_cmpx_ne_u32_e32 0x80, v30
	s_cbranch_execz .LBB327_41
; %bb.36:                               ;   in Loop: Header=BB327_10 Depth=1
	v_and_b32_e32 v31, 0x7f, v30
	v_mov_b32_e32 v29, 0x7fc02000
	s_mov_b32 s41, exec_lo
	s_delay_alu instid0(VALU_DEP_2)
	v_cmpx_ne_u32_e32 0x7f, v31
	s_cbranch_execz .LBB327_40
; %bb.37:                               ;   in Loop: Header=BB327_10 Depth=1
	v_and_b32_e32 v3, 7, v30
	v_lshrrev_b32_e32 v29, 3, v31
	s_mov_b32 s42, exec_lo
	v_cmpx_gt_u32_e32 8, v31
; %bb.38:                               ;   in Loop: Header=BB327_10 Depth=1
	s_delay_alu instid0(VALU_DEP_3) | instskip(NEXT) | instid1(VALU_DEP_1)
	v_clz_i32_u32_e32 v29, v3
	v_min_u32_e32 v29, 32, v29
	s_delay_alu instid0(VALU_DEP_1) | instskip(SKIP_1) | instid1(VALU_DEP_2)
	v_subrev_nc_u32_e32 v31, 28, v29
	v_sub_nc_u32_e32 v29, 29, v29
	v_lshlrev_b64 v[31:32], v31, v[3:4]
	s_delay_alu instid0(VALU_DEP_1)
	v_and_b32_e32 v3, 7, v31
; %bb.39:                               ;   in Loop: Header=BB327_10 Depth=1
	s_or_b32 exec_lo, exec_lo, s42
	v_lshlrev_b32_e32 v30, 8, v30
	v_lshl_add_u32 v29, v29, 10, 0x2000
	s_delay_alu instid0(VALU_DEP_1) | instskip(NEXT) | instid1(VALU_DEP_1)
	v_and_or_b32 v29, 0x8000, v30, v29
	v_lshl_or_b32 v3, v3, 7, v29
	s_delay_alu instid0(VALU_DEP_1)
	v_cvt_f32_f16_e32 v29, v3
.LBB327_40:                             ;   in Loop: Header=BB327_10 Depth=1
	s_or_b32 exec_lo, exec_lo, s41
.LBB327_41:                             ;   in Loop: Header=BB327_10 Depth=1
	s_delay_alu instid0(SALU_CYCLE_1)
	s_or_b32 exec_lo, exec_lo, s40
.LBB327_42:                             ;   in Loop: Header=BB327_10 Depth=1
	s_delay_alu instid0(SALU_CYCLE_1) | instskip(SKIP_4) | instid1(VALU_DEP_1)
	s_or_b32 exec_lo, exec_lo, s3
	global_load_b32 v34, v[9:10], off offset:8
	s_mov_b32 s3, exec_lo
	s_waitcnt vmcnt(0)
	v_and_b32_e32 v3, 0xff, v34
	v_cmpx_ne_u16_e32 0, v3
	s_cbranch_execz .LBB327_50
; %bb.43:                               ;   in Loop: Header=BB327_10 Depth=1
	v_bfrev_b32_e32 v28, 1
	s_mov_b32 s40, exec_lo
	v_cmpx_ne_u16_e32 0x80, v3
	s_cbranch_execz .LBB327_49
; %bb.44:                               ;   in Loop: Header=BB327_10 Depth=1
	v_and_b32_e32 v30, 0x7f, v34
	v_mov_b32_e32 v28, 0x7fc02000
	s_mov_b32 s41, exec_lo
	s_delay_alu instid0(VALU_DEP_2)
	v_cmpx_ne_u32_e32 0x7f, v30
	s_cbranch_execz .LBB327_48
; %bb.45:                               ;   in Loop: Header=BB327_10 Depth=1
	v_and_b32_e32 v3, 7, v34
	v_lshrrev_b32_e32 v28, 3, v30
	s_mov_b32 s42, exec_lo
	v_cmpx_gt_u32_e32 8, v30
; %bb.46:                               ;   in Loop: Header=BB327_10 Depth=1
	s_delay_alu instid0(VALU_DEP_3) | instskip(NEXT) | instid1(VALU_DEP_1)
	v_clz_i32_u32_e32 v28, v3
	v_min_u32_e32 v28, 32, v28
	s_delay_alu instid0(VALU_DEP_1) | instskip(SKIP_1) | instid1(VALU_DEP_2)
	v_subrev_nc_u32_e32 v30, 28, v28
	v_sub_nc_u32_e32 v28, 29, v28
	v_lshlrev_b64 v[30:31], v30, v[3:4]
	s_delay_alu instid0(VALU_DEP_1)
	v_and_b32_e32 v3, 7, v30
; %bb.47:                               ;   in Loop: Header=BB327_10 Depth=1
	s_or_b32 exec_lo, exec_lo, s42
	v_lshlrev_b32_e32 v30, 8, v34
	v_lshl_add_u32 v28, v28, 10, 0x2000
	s_delay_alu instid0(VALU_DEP_1) | instskip(NEXT) | instid1(VALU_DEP_1)
	v_and_or_b32 v28, 0x8000, v30, v28
	v_lshl_or_b32 v3, v3, 7, v28
	s_delay_alu instid0(VALU_DEP_1)
	v_cvt_f32_f16_e32 v28, v3
.LBB327_48:                             ;   in Loop: Header=BB327_10 Depth=1
	s_or_b32 exec_lo, exec_lo, s41
.LBB327_49:                             ;   in Loop: Header=BB327_10 Depth=1
	s_delay_alu instid0(SALU_CYCLE_1)
	s_or_b32 exec_lo, exec_lo, s40
.LBB327_50:                             ;   in Loop: Header=BB327_10 Depth=1
	s_delay_alu instid0(SALU_CYCLE_1) | instskip(SKIP_3) | instid1(VALU_DEP_2)
	s_or_b32 exec_lo, exec_lo, s3
	v_lshrrev_b16 v3, 8, v34
	v_dual_mov_b32 v30, 0 :: v_dual_mov_b32 v31, 0
	s_mov_b32 s3, exec_lo
	v_cmpx_ne_u16_e32 0, v3
	s_cbranch_execz .LBB327_58
; %bb.51:                               ;   in Loop: Header=BB327_10 Depth=1
	v_bfrev_b32_e32 v31, 1
	s_mov_b32 s40, exec_lo
	v_cmpx_ne_u16_e32 0x80, v3
	s_cbranch_execz .LBB327_57
; %bb.52:                               ;   in Loop: Header=BB327_10 Depth=1
	v_and_b32_e32 v32, 0xffff, v3
	v_mov_b32_e32 v31, 0x7fc02000
	s_mov_b32 s41, exec_lo
	s_delay_alu instid0(VALU_DEP_2) | instskip(NEXT) | instid1(VALU_DEP_1)
	v_and_b32_e32 v33, 0x7f, v32
	v_cmpx_ne_u32_e32 0x7f, v33
	s_cbranch_execz .LBB327_56
; %bb.53:                               ;   in Loop: Header=BB327_10 Depth=1
	v_and_b32_e32 v3, 7, v32
	v_lshrrev_b32_e32 v31, 3, v33
	s_mov_b32 s42, exec_lo
	v_cmpx_gt_u32_e32 8, v33
; %bb.54:                               ;   in Loop: Header=BB327_10 Depth=1
	s_delay_alu instid0(VALU_DEP_3) | instskip(NEXT) | instid1(VALU_DEP_1)
	v_clz_i32_u32_e32 v31, v3
	v_min_u32_e32 v31, 32, v31
	s_delay_alu instid0(VALU_DEP_1) | instskip(SKIP_1) | instid1(VALU_DEP_2)
	v_subrev_nc_u32_e32 v33, 28, v31
	v_sub_nc_u32_e32 v31, 29, v31
	v_lshlrev_b64 v[35:36], v33, v[3:4]
	s_delay_alu instid0(VALU_DEP_1)
	v_and_b32_e32 v3, 7, v35
; %bb.55:                               ;   in Loop: Header=BB327_10 Depth=1
	s_or_b32 exec_lo, exec_lo, s42
	v_lshlrev_b32_e32 v32, 8, v32
	v_lshl_add_u32 v31, v31, 10, 0x2000
	s_delay_alu instid0(VALU_DEP_1) | instskip(NEXT) | instid1(VALU_DEP_1)
	v_and_or_b32 v31, 0x8000, v32, v31
	v_lshl_or_b32 v3, v3, 7, v31
	s_delay_alu instid0(VALU_DEP_1)
	v_cvt_f32_f16_e32 v31, v3
.LBB327_56:                             ;   in Loop: Header=BB327_10 Depth=1
	s_or_b32 exec_lo, exec_lo, s41
.LBB327_57:                             ;   in Loop: Header=BB327_10 Depth=1
	s_delay_alu instid0(SALU_CYCLE_1)
	s_or_b32 exec_lo, exec_lo, s40
.LBB327_58:                             ;   in Loop: Header=BB327_10 Depth=1
	s_delay_alu instid0(SALU_CYCLE_1) | instskip(SKIP_2) | instid1(VALU_DEP_1)
	s_or_b32 exec_lo, exec_lo, s3
	v_lshrrev_b32_e32 v32, 16, v34
	s_mov_b32 s3, exec_lo
	v_and_b32_e32 v3, 0xff, v32
	s_delay_alu instid0(VALU_DEP_1)
	v_cmpx_ne_u16_e32 0, v3
	s_cbranch_execz .LBB327_66
; %bb.59:                               ;   in Loop: Header=BB327_10 Depth=1
	v_bfrev_b32_e32 v30, 1
	s_mov_b32 s40, exec_lo
	v_cmpx_ne_u16_e32 0x80, v3
	s_cbranch_execz .LBB327_65
; %bb.60:                               ;   in Loop: Header=BB327_10 Depth=1
	v_bfe_u32 v33, v34, 16, 7
	v_mov_b32_e32 v30, 0x7fc02000
	s_mov_b32 s41, exec_lo
	s_delay_alu instid0(VALU_DEP_2)
	v_cmpx_ne_u32_e32 0x7f, v33
	s_cbranch_execz .LBB327_64
; %bb.61:                               ;   in Loop: Header=BB327_10 Depth=1
	v_and_b32_e32 v3, 7, v32
	v_lshrrev_b32_e32 v30, 3, v33
	s_mov_b32 s42, exec_lo
	v_cmpx_gt_u32_e32 8, v33
; %bb.62:                               ;   in Loop: Header=BB327_10 Depth=1
	s_delay_alu instid0(VALU_DEP_3) | instskip(NEXT) | instid1(VALU_DEP_1)
	v_clz_i32_u32_e32 v30, v3
	v_min_u32_e32 v30, 32, v30
	s_delay_alu instid0(VALU_DEP_1) | instskip(SKIP_1) | instid1(VALU_DEP_2)
	v_subrev_nc_u32_e32 v33, 28, v30
	v_sub_nc_u32_e32 v30, 29, v30
	v_lshlrev_b64 v[35:36], v33, v[3:4]
	s_delay_alu instid0(VALU_DEP_1)
	v_and_b32_e32 v3, 7, v35
; %bb.63:                               ;   in Loop: Header=BB327_10 Depth=1
	s_or_b32 exec_lo, exec_lo, s42
	v_lshlrev_b32_e32 v32, 8, v32
	v_lshl_add_u32 v30, v30, 10, 0x2000
	s_delay_alu instid0(VALU_DEP_1) | instskip(NEXT) | instid1(VALU_DEP_1)
	v_and_or_b32 v30, 0x8000, v32, v30
	v_lshl_or_b32 v3, v3, 7, v30
	s_delay_alu instid0(VALU_DEP_1)
	v_cvt_f32_f16_e32 v30, v3
.LBB327_64:                             ;   in Loop: Header=BB327_10 Depth=1
	s_or_b32 exec_lo, exec_lo, s41
.LBB327_65:                             ;   in Loop: Header=BB327_10 Depth=1
	s_delay_alu instid0(SALU_CYCLE_1)
	s_or_b32 exec_lo, exec_lo, s40
.LBB327_66:                             ;   in Loop: Header=BB327_10 Depth=1
	s_delay_alu instid0(SALU_CYCLE_1)
	s_or_b32 exec_lo, exec_lo, s3
	v_dual_mov_b32 v32, 0 :: v_dual_mov_b32 v33, 0
	s_mov_b32 s3, exec_lo
	v_cmpx_lt_u32_e32 0xffffff, v34
	s_cbranch_execz .LBB327_74
; %bb.67:                               ;   in Loop: Header=BB327_10 Depth=1
	v_lshrrev_b32_e32 v34, 24, v34
	v_bfrev_b32_e32 v33, 1
	s_mov_b32 s40, exec_lo
	s_delay_alu instid0(VALU_DEP_2)
	v_cmpx_ne_u32_e32 0x80, v34
	s_cbranch_execz .LBB327_73
; %bb.68:                               ;   in Loop: Header=BB327_10 Depth=1
	v_and_b32_e32 v35, 0x7f, v34
	v_mov_b32_e32 v33, 0x7fc02000
	s_mov_b32 s41, exec_lo
	s_delay_alu instid0(VALU_DEP_2)
	v_cmpx_ne_u32_e32 0x7f, v35
	s_cbranch_execz .LBB327_72
; %bb.69:                               ;   in Loop: Header=BB327_10 Depth=1
	v_and_b32_e32 v3, 7, v34
	v_lshrrev_b32_e32 v33, 3, v35
	s_mov_b32 s42, exec_lo
	v_cmpx_gt_u32_e32 8, v35
; %bb.70:                               ;   in Loop: Header=BB327_10 Depth=1
	s_delay_alu instid0(VALU_DEP_3) | instskip(NEXT) | instid1(VALU_DEP_1)
	v_clz_i32_u32_e32 v33, v3
	v_min_u32_e32 v33, 32, v33
	s_delay_alu instid0(VALU_DEP_1) | instskip(SKIP_1) | instid1(VALU_DEP_2)
	v_subrev_nc_u32_e32 v35, 28, v33
	v_sub_nc_u32_e32 v33, 29, v33
	v_lshlrev_b64 v[35:36], v35, v[3:4]
	s_delay_alu instid0(VALU_DEP_1)
	v_and_b32_e32 v3, 7, v35
; %bb.71:                               ;   in Loop: Header=BB327_10 Depth=1
	s_or_b32 exec_lo, exec_lo, s42
	v_lshlrev_b32_e32 v34, 8, v34
	v_lshl_add_u32 v33, v33, 10, 0x2000
	s_delay_alu instid0(VALU_DEP_1) | instskip(NEXT) | instid1(VALU_DEP_1)
	v_and_or_b32 v33, 0x8000, v34, v33
	v_lshl_or_b32 v3, v3, 7, v33
	s_delay_alu instid0(VALU_DEP_1)
	v_cvt_f32_f16_e32 v33, v3
.LBB327_72:                             ;   in Loop: Header=BB327_10 Depth=1
	s_or_b32 exec_lo, exec_lo, s41
.LBB327_73:                             ;   in Loop: Header=BB327_10 Depth=1
	s_delay_alu instid0(SALU_CYCLE_1)
	s_or_b32 exec_lo, exec_lo, s40
.LBB327_74:                             ;   in Loop: Header=BB327_10 Depth=1
	s_delay_alu instid0(SALU_CYCLE_1) | instskip(SKIP_4) | instid1(VALU_DEP_1)
	s_or_b32 exec_lo, exec_lo, s3
	global_load_b32 v38, v[9:10], off offset:256
	s_mov_b32 s3, exec_lo
	s_waitcnt vmcnt(0)
	v_and_b32_e32 v3, 0xff, v38
	v_cmpx_ne_u16_e32 0, v3
	s_cbranch_execz .LBB327_82
; %bb.75:                               ;   in Loop: Header=BB327_10 Depth=1
	v_bfrev_b32_e32 v32, 1
	s_mov_b32 s40, exec_lo
	v_cmpx_ne_u16_e32 0x80, v3
	s_cbranch_execz .LBB327_81
; %bb.76:                               ;   in Loop: Header=BB327_10 Depth=1
	v_and_b32_e32 v34, 0x7f, v38
	v_mov_b32_e32 v32, 0x7fc02000
	s_mov_b32 s41, exec_lo
	s_delay_alu instid0(VALU_DEP_2)
	v_cmpx_ne_u32_e32 0x7f, v34
	s_cbranch_execz .LBB327_80
; %bb.77:                               ;   in Loop: Header=BB327_10 Depth=1
	v_and_b32_e32 v3, 7, v38
	v_lshrrev_b32_e32 v32, 3, v34
	s_mov_b32 s42, exec_lo
	v_cmpx_gt_u32_e32 8, v34
; %bb.78:                               ;   in Loop: Header=BB327_10 Depth=1
	s_delay_alu instid0(VALU_DEP_3) | instskip(NEXT) | instid1(VALU_DEP_1)
	v_clz_i32_u32_e32 v32, v3
	v_min_u32_e32 v32, 32, v32
	s_delay_alu instid0(VALU_DEP_1) | instskip(SKIP_1) | instid1(VALU_DEP_2)
	v_subrev_nc_u32_e32 v34, 28, v32
	v_sub_nc_u32_e32 v32, 29, v32
	v_lshlrev_b64 v[34:35], v34, v[3:4]
	s_delay_alu instid0(VALU_DEP_1)
	v_and_b32_e32 v3, 7, v34
; %bb.79:                               ;   in Loop: Header=BB327_10 Depth=1
	s_or_b32 exec_lo, exec_lo, s42
	v_lshlrev_b32_e32 v34, 8, v38
	v_lshl_add_u32 v32, v32, 10, 0x2000
	s_delay_alu instid0(VALU_DEP_1) | instskip(NEXT) | instid1(VALU_DEP_1)
	v_and_or_b32 v32, 0x8000, v34, v32
	v_lshl_or_b32 v3, v3, 7, v32
	s_delay_alu instid0(VALU_DEP_1)
	v_cvt_f32_f16_e32 v32, v3
.LBB327_80:                             ;   in Loop: Header=BB327_10 Depth=1
	s_or_b32 exec_lo, exec_lo, s41
.LBB327_81:                             ;   in Loop: Header=BB327_10 Depth=1
	s_delay_alu instid0(SALU_CYCLE_1)
	s_or_b32 exec_lo, exec_lo, s40
.LBB327_82:                             ;   in Loop: Header=BB327_10 Depth=1
	s_delay_alu instid0(SALU_CYCLE_1) | instskip(SKIP_3) | instid1(VALU_DEP_2)
	s_or_b32 exec_lo, exec_lo, s3
	v_lshrrev_b16 v3, 8, v38
	v_dual_mov_b32 v34, 0 :: v_dual_mov_b32 v35, 0
	s_mov_b32 s3, exec_lo
	v_cmpx_ne_u16_e32 0, v3
	s_cbranch_execz .LBB327_90
; %bb.83:                               ;   in Loop: Header=BB327_10 Depth=1
	v_bfrev_b32_e32 v35, 1
	s_mov_b32 s40, exec_lo
	v_cmpx_ne_u16_e32 0x80, v3
	s_cbranch_execz .LBB327_89
; %bb.84:                               ;   in Loop: Header=BB327_10 Depth=1
	v_and_b32_e32 v36, 0xffff, v3
	v_mov_b32_e32 v35, 0x7fc02000
	s_mov_b32 s41, exec_lo
	s_delay_alu instid0(VALU_DEP_2) | instskip(NEXT) | instid1(VALU_DEP_1)
	v_and_b32_e32 v37, 0x7f, v36
	v_cmpx_ne_u32_e32 0x7f, v37
	s_cbranch_execz .LBB327_88
; %bb.85:                               ;   in Loop: Header=BB327_10 Depth=1
	v_and_b32_e32 v3, 7, v36
	v_lshrrev_b32_e32 v35, 3, v37
	s_mov_b32 s42, exec_lo
	v_cmpx_gt_u32_e32 8, v37
; %bb.86:                               ;   in Loop: Header=BB327_10 Depth=1
	s_delay_alu instid0(VALU_DEP_3) | instskip(NEXT) | instid1(VALU_DEP_1)
	v_clz_i32_u32_e32 v35, v3
	v_min_u32_e32 v35, 32, v35
	s_delay_alu instid0(VALU_DEP_1) | instskip(SKIP_1) | instid1(VALU_DEP_2)
	v_subrev_nc_u32_e32 v37, 28, v35
	v_sub_nc_u32_e32 v35, 29, v35
	v_lshlrev_b64 v[39:40], v37, v[3:4]
	s_delay_alu instid0(VALU_DEP_1)
	v_and_b32_e32 v3, 7, v39
; %bb.87:                               ;   in Loop: Header=BB327_10 Depth=1
	s_or_b32 exec_lo, exec_lo, s42
	v_lshlrev_b32_e32 v36, 8, v36
	v_lshl_add_u32 v35, v35, 10, 0x2000
	s_delay_alu instid0(VALU_DEP_1) | instskip(NEXT) | instid1(VALU_DEP_1)
	v_and_or_b32 v35, 0x8000, v36, v35
	v_lshl_or_b32 v3, v3, 7, v35
	s_delay_alu instid0(VALU_DEP_1)
	v_cvt_f32_f16_e32 v35, v3
.LBB327_88:                             ;   in Loop: Header=BB327_10 Depth=1
	s_or_b32 exec_lo, exec_lo, s41
.LBB327_89:                             ;   in Loop: Header=BB327_10 Depth=1
	s_delay_alu instid0(SALU_CYCLE_1)
	s_or_b32 exec_lo, exec_lo, s40
.LBB327_90:                             ;   in Loop: Header=BB327_10 Depth=1
	s_delay_alu instid0(SALU_CYCLE_1) | instskip(SKIP_2) | instid1(VALU_DEP_1)
	s_or_b32 exec_lo, exec_lo, s3
	v_lshrrev_b32_e32 v36, 16, v38
	s_mov_b32 s3, exec_lo
	v_and_b32_e32 v3, 0xff, v36
	s_delay_alu instid0(VALU_DEP_1)
	v_cmpx_ne_u16_e32 0, v3
	s_cbranch_execz .LBB327_98
; %bb.91:                               ;   in Loop: Header=BB327_10 Depth=1
	v_bfrev_b32_e32 v34, 1
	s_mov_b32 s40, exec_lo
	v_cmpx_ne_u16_e32 0x80, v3
	s_cbranch_execz .LBB327_97
; %bb.92:                               ;   in Loop: Header=BB327_10 Depth=1
	v_bfe_u32 v37, v38, 16, 7
	v_mov_b32_e32 v34, 0x7fc02000
	s_mov_b32 s41, exec_lo
	s_delay_alu instid0(VALU_DEP_2)
	v_cmpx_ne_u32_e32 0x7f, v37
	s_cbranch_execz .LBB327_96
; %bb.93:                               ;   in Loop: Header=BB327_10 Depth=1
	v_and_b32_e32 v3, 7, v36
	v_lshrrev_b32_e32 v34, 3, v37
	s_mov_b32 s42, exec_lo
	v_cmpx_gt_u32_e32 8, v37
; %bb.94:                               ;   in Loop: Header=BB327_10 Depth=1
	s_delay_alu instid0(VALU_DEP_3) | instskip(NEXT) | instid1(VALU_DEP_1)
	v_clz_i32_u32_e32 v34, v3
	v_min_u32_e32 v34, 32, v34
	s_delay_alu instid0(VALU_DEP_1) | instskip(SKIP_1) | instid1(VALU_DEP_2)
	v_subrev_nc_u32_e32 v37, 28, v34
	v_sub_nc_u32_e32 v34, 29, v34
	v_lshlrev_b64 v[39:40], v37, v[3:4]
	s_delay_alu instid0(VALU_DEP_1)
	v_and_b32_e32 v3, 7, v39
; %bb.95:                               ;   in Loop: Header=BB327_10 Depth=1
	s_or_b32 exec_lo, exec_lo, s42
	v_lshlrev_b32_e32 v36, 8, v36
	v_lshl_add_u32 v34, v34, 10, 0x2000
	s_delay_alu instid0(VALU_DEP_1) | instskip(NEXT) | instid1(VALU_DEP_1)
	v_and_or_b32 v34, 0x8000, v36, v34
	v_lshl_or_b32 v3, v3, 7, v34
	s_delay_alu instid0(VALU_DEP_1)
	v_cvt_f32_f16_e32 v34, v3
.LBB327_96:                             ;   in Loop: Header=BB327_10 Depth=1
	s_or_b32 exec_lo, exec_lo, s41
.LBB327_97:                             ;   in Loop: Header=BB327_10 Depth=1
	s_delay_alu instid0(SALU_CYCLE_1)
	s_or_b32 exec_lo, exec_lo, s40
.LBB327_98:                             ;   in Loop: Header=BB327_10 Depth=1
	s_delay_alu instid0(SALU_CYCLE_1)
	s_or_b32 exec_lo, exec_lo, s3
	v_dual_mov_b32 v36, 0 :: v_dual_mov_b32 v37, 0
	s_mov_b32 s3, exec_lo
	v_cmpx_lt_u32_e32 0xffffff, v38
	s_cbranch_execz .LBB327_106
; %bb.99:                               ;   in Loop: Header=BB327_10 Depth=1
	v_lshrrev_b32_e32 v38, 24, v38
	v_bfrev_b32_e32 v37, 1
	s_mov_b32 s40, exec_lo
	s_delay_alu instid0(VALU_DEP_2)
	v_cmpx_ne_u32_e32 0x80, v38
	s_cbranch_execz .LBB327_105
; %bb.100:                              ;   in Loop: Header=BB327_10 Depth=1
	v_and_b32_e32 v39, 0x7f, v38
	v_mov_b32_e32 v37, 0x7fc02000
	s_mov_b32 s41, exec_lo
	s_delay_alu instid0(VALU_DEP_2)
	v_cmpx_ne_u32_e32 0x7f, v39
	s_cbranch_execz .LBB327_104
; %bb.101:                              ;   in Loop: Header=BB327_10 Depth=1
	v_and_b32_e32 v3, 7, v38
	v_lshrrev_b32_e32 v37, 3, v39
	s_mov_b32 s42, exec_lo
	v_cmpx_gt_u32_e32 8, v39
; %bb.102:                              ;   in Loop: Header=BB327_10 Depth=1
	s_delay_alu instid0(VALU_DEP_3) | instskip(NEXT) | instid1(VALU_DEP_1)
	v_clz_i32_u32_e32 v37, v3
	v_min_u32_e32 v37, 32, v37
	s_delay_alu instid0(VALU_DEP_1) | instskip(SKIP_1) | instid1(VALU_DEP_2)
	v_subrev_nc_u32_e32 v39, 28, v37
	v_sub_nc_u32_e32 v37, 29, v37
	v_lshlrev_b64 v[39:40], v39, v[3:4]
	s_delay_alu instid0(VALU_DEP_1)
	v_and_b32_e32 v3, 7, v39
; %bb.103:                              ;   in Loop: Header=BB327_10 Depth=1
	s_or_b32 exec_lo, exec_lo, s42
	v_lshlrev_b32_e32 v38, 8, v38
	v_lshl_add_u32 v37, v37, 10, 0x2000
	s_delay_alu instid0(VALU_DEP_1) | instskip(NEXT) | instid1(VALU_DEP_1)
	v_and_or_b32 v37, 0x8000, v38, v37
	v_lshl_or_b32 v3, v3, 7, v37
	s_delay_alu instid0(VALU_DEP_1)
	v_cvt_f32_f16_e32 v37, v3
.LBB327_104:                            ;   in Loop: Header=BB327_10 Depth=1
	s_or_b32 exec_lo, exec_lo, s41
.LBB327_105:                            ;   in Loop: Header=BB327_10 Depth=1
	s_delay_alu instid0(SALU_CYCLE_1)
	s_or_b32 exec_lo, exec_lo, s40
.LBB327_106:                            ;   in Loop: Header=BB327_10 Depth=1
	s_delay_alu instid0(SALU_CYCLE_1) | instskip(SKIP_4) | instid1(VALU_DEP_1)
	s_or_b32 exec_lo, exec_lo, s3
	global_load_b32 v42, v[9:10], off offset:264
	s_mov_b32 s3, exec_lo
	s_waitcnt vmcnt(0)
	v_and_b32_e32 v3, 0xff, v42
	v_cmpx_ne_u16_e32 0, v3
	s_cbranch_execz .LBB327_114
; %bb.107:                              ;   in Loop: Header=BB327_10 Depth=1
	v_bfrev_b32_e32 v36, 1
	s_mov_b32 s40, exec_lo
	v_cmpx_ne_u16_e32 0x80, v3
	s_cbranch_execz .LBB327_113
; %bb.108:                              ;   in Loop: Header=BB327_10 Depth=1
	v_and_b32_e32 v38, 0x7f, v42
	v_mov_b32_e32 v36, 0x7fc02000
	s_mov_b32 s41, exec_lo
	s_delay_alu instid0(VALU_DEP_2)
	v_cmpx_ne_u32_e32 0x7f, v38
	s_cbranch_execz .LBB327_112
; %bb.109:                              ;   in Loop: Header=BB327_10 Depth=1
	v_and_b32_e32 v3, 7, v42
	v_lshrrev_b32_e32 v36, 3, v38
	s_mov_b32 s42, exec_lo
	v_cmpx_gt_u32_e32 8, v38
; %bb.110:                              ;   in Loop: Header=BB327_10 Depth=1
	s_delay_alu instid0(VALU_DEP_3) | instskip(NEXT) | instid1(VALU_DEP_1)
	v_clz_i32_u32_e32 v36, v3
	v_min_u32_e32 v36, 32, v36
	s_delay_alu instid0(VALU_DEP_1) | instskip(SKIP_1) | instid1(VALU_DEP_2)
	v_subrev_nc_u32_e32 v38, 28, v36
	v_sub_nc_u32_e32 v36, 29, v36
	v_lshlrev_b64 v[38:39], v38, v[3:4]
	s_delay_alu instid0(VALU_DEP_1)
	v_and_b32_e32 v3, 7, v38
; %bb.111:                              ;   in Loop: Header=BB327_10 Depth=1
	s_or_b32 exec_lo, exec_lo, s42
	v_lshlrev_b32_e32 v38, 8, v42
	v_lshl_add_u32 v36, v36, 10, 0x2000
	s_delay_alu instid0(VALU_DEP_1) | instskip(NEXT) | instid1(VALU_DEP_1)
	v_and_or_b32 v36, 0x8000, v38, v36
	v_lshl_or_b32 v3, v3, 7, v36
	s_delay_alu instid0(VALU_DEP_1)
	v_cvt_f32_f16_e32 v36, v3
.LBB327_112:                            ;   in Loop: Header=BB327_10 Depth=1
	s_or_b32 exec_lo, exec_lo, s41
.LBB327_113:                            ;   in Loop: Header=BB327_10 Depth=1
	s_delay_alu instid0(SALU_CYCLE_1)
	s_or_b32 exec_lo, exec_lo, s40
.LBB327_114:                            ;   in Loop: Header=BB327_10 Depth=1
	s_delay_alu instid0(SALU_CYCLE_1) | instskip(SKIP_3) | instid1(VALU_DEP_2)
	s_or_b32 exec_lo, exec_lo, s3
	v_lshrrev_b16 v3, 8, v42
	v_dual_mov_b32 v38, 0 :: v_dual_mov_b32 v39, 0
	s_mov_b32 s3, exec_lo
	v_cmpx_ne_u16_e32 0, v3
	s_cbranch_execz .LBB327_122
; %bb.115:                              ;   in Loop: Header=BB327_10 Depth=1
	v_bfrev_b32_e32 v39, 1
	s_mov_b32 s40, exec_lo
	v_cmpx_ne_u16_e32 0x80, v3
	s_cbranch_execz .LBB327_121
; %bb.116:                              ;   in Loop: Header=BB327_10 Depth=1
	v_and_b32_e32 v40, 0xffff, v3
	v_mov_b32_e32 v39, 0x7fc02000
	s_mov_b32 s41, exec_lo
	s_delay_alu instid0(VALU_DEP_2) | instskip(NEXT) | instid1(VALU_DEP_1)
	v_and_b32_e32 v41, 0x7f, v40
	v_cmpx_ne_u32_e32 0x7f, v41
	s_cbranch_execz .LBB327_120
; %bb.117:                              ;   in Loop: Header=BB327_10 Depth=1
	v_and_b32_e32 v3, 7, v40
	v_lshrrev_b32_e32 v39, 3, v41
	s_mov_b32 s42, exec_lo
	v_cmpx_gt_u32_e32 8, v41
; %bb.118:                              ;   in Loop: Header=BB327_10 Depth=1
	s_delay_alu instid0(VALU_DEP_3) | instskip(NEXT) | instid1(VALU_DEP_1)
	v_clz_i32_u32_e32 v39, v3
	v_min_u32_e32 v39, 32, v39
	s_delay_alu instid0(VALU_DEP_1) | instskip(SKIP_1) | instid1(VALU_DEP_2)
	v_subrev_nc_u32_e32 v41, 28, v39
	v_sub_nc_u32_e32 v39, 29, v39
	v_lshlrev_b64 v[43:44], v41, v[3:4]
	s_delay_alu instid0(VALU_DEP_1)
	v_and_b32_e32 v3, 7, v43
; %bb.119:                              ;   in Loop: Header=BB327_10 Depth=1
	s_or_b32 exec_lo, exec_lo, s42
	v_lshlrev_b32_e32 v40, 8, v40
	v_lshl_add_u32 v39, v39, 10, 0x2000
	s_delay_alu instid0(VALU_DEP_1) | instskip(NEXT) | instid1(VALU_DEP_1)
	v_and_or_b32 v39, 0x8000, v40, v39
	v_lshl_or_b32 v3, v3, 7, v39
	s_delay_alu instid0(VALU_DEP_1)
	v_cvt_f32_f16_e32 v39, v3
.LBB327_120:                            ;   in Loop: Header=BB327_10 Depth=1
	s_or_b32 exec_lo, exec_lo, s41
.LBB327_121:                            ;   in Loop: Header=BB327_10 Depth=1
	s_delay_alu instid0(SALU_CYCLE_1)
	s_or_b32 exec_lo, exec_lo, s40
.LBB327_122:                            ;   in Loop: Header=BB327_10 Depth=1
	s_delay_alu instid0(SALU_CYCLE_1) | instskip(SKIP_2) | instid1(VALU_DEP_1)
	s_or_b32 exec_lo, exec_lo, s3
	v_lshrrev_b32_e32 v40, 16, v42
	s_mov_b32 s3, exec_lo
	v_and_b32_e32 v3, 0xff, v40
	s_delay_alu instid0(VALU_DEP_1)
	v_cmpx_ne_u16_e32 0, v3
	s_cbranch_execz .LBB327_130
; %bb.123:                              ;   in Loop: Header=BB327_10 Depth=1
	v_bfrev_b32_e32 v38, 1
	s_mov_b32 s40, exec_lo
	v_cmpx_ne_u16_e32 0x80, v3
	s_cbranch_execz .LBB327_129
; %bb.124:                              ;   in Loop: Header=BB327_10 Depth=1
	v_bfe_u32 v41, v42, 16, 7
	v_mov_b32_e32 v38, 0x7fc02000
	s_mov_b32 s41, exec_lo
	s_delay_alu instid0(VALU_DEP_2)
	v_cmpx_ne_u32_e32 0x7f, v41
	s_cbranch_execz .LBB327_128
; %bb.125:                              ;   in Loop: Header=BB327_10 Depth=1
	v_and_b32_e32 v3, 7, v40
	v_lshrrev_b32_e32 v38, 3, v41
	s_mov_b32 s42, exec_lo
	v_cmpx_gt_u32_e32 8, v41
; %bb.126:                              ;   in Loop: Header=BB327_10 Depth=1
	s_delay_alu instid0(VALU_DEP_3) | instskip(NEXT) | instid1(VALU_DEP_1)
	v_clz_i32_u32_e32 v38, v3
	v_min_u32_e32 v38, 32, v38
	s_delay_alu instid0(VALU_DEP_1) | instskip(SKIP_1) | instid1(VALU_DEP_2)
	v_subrev_nc_u32_e32 v41, 28, v38
	v_sub_nc_u32_e32 v38, 29, v38
	v_lshlrev_b64 v[43:44], v41, v[3:4]
	s_delay_alu instid0(VALU_DEP_1)
	v_and_b32_e32 v3, 7, v43
; %bb.127:                              ;   in Loop: Header=BB327_10 Depth=1
	s_or_b32 exec_lo, exec_lo, s42
	v_lshlrev_b32_e32 v40, 8, v40
	v_lshl_add_u32 v38, v38, 10, 0x2000
	s_delay_alu instid0(VALU_DEP_1) | instskip(NEXT) | instid1(VALU_DEP_1)
	v_and_or_b32 v38, 0x8000, v40, v38
	v_lshl_or_b32 v3, v3, 7, v38
	s_delay_alu instid0(VALU_DEP_1)
	v_cvt_f32_f16_e32 v38, v3
.LBB327_128:                            ;   in Loop: Header=BB327_10 Depth=1
	s_or_b32 exec_lo, exec_lo, s41
.LBB327_129:                            ;   in Loop: Header=BB327_10 Depth=1
	s_delay_alu instid0(SALU_CYCLE_1)
	s_or_b32 exec_lo, exec_lo, s40
.LBB327_130:                            ;   in Loop: Header=BB327_10 Depth=1
	s_delay_alu instid0(SALU_CYCLE_1)
	s_or_b32 exec_lo, exec_lo, s3
	v_dual_mov_b32 v40, 0 :: v_dual_mov_b32 v41, 0
	s_mov_b32 s3, exec_lo
	v_cmpx_lt_u32_e32 0xffffff, v42
	s_cbranch_execz .LBB327_138
; %bb.131:                              ;   in Loop: Header=BB327_10 Depth=1
	v_lshrrev_b32_e32 v42, 24, v42
	v_bfrev_b32_e32 v41, 1
	s_mov_b32 s40, exec_lo
	s_delay_alu instid0(VALU_DEP_2)
	v_cmpx_ne_u32_e32 0x80, v42
	s_cbranch_execz .LBB327_137
; %bb.132:                              ;   in Loop: Header=BB327_10 Depth=1
	v_and_b32_e32 v43, 0x7f, v42
	v_mov_b32_e32 v41, 0x7fc02000
	s_mov_b32 s41, exec_lo
	s_delay_alu instid0(VALU_DEP_2)
	v_cmpx_ne_u32_e32 0x7f, v43
	s_cbranch_execz .LBB327_136
; %bb.133:                              ;   in Loop: Header=BB327_10 Depth=1
	v_and_b32_e32 v3, 7, v42
	v_lshrrev_b32_e32 v41, 3, v43
	s_mov_b32 s42, exec_lo
	v_cmpx_gt_u32_e32 8, v43
; %bb.134:                              ;   in Loop: Header=BB327_10 Depth=1
	s_delay_alu instid0(VALU_DEP_3) | instskip(NEXT) | instid1(VALU_DEP_1)
	v_clz_i32_u32_e32 v41, v3
	v_min_u32_e32 v41, 32, v41
	s_delay_alu instid0(VALU_DEP_1) | instskip(SKIP_1) | instid1(VALU_DEP_2)
	v_subrev_nc_u32_e32 v43, 28, v41
	v_sub_nc_u32_e32 v41, 29, v41
	v_lshlrev_b64 v[43:44], v43, v[3:4]
	s_delay_alu instid0(VALU_DEP_1)
	v_and_b32_e32 v3, 7, v43
; %bb.135:                              ;   in Loop: Header=BB327_10 Depth=1
	s_or_b32 exec_lo, exec_lo, s42
	v_lshlrev_b32_e32 v42, 8, v42
	v_lshl_add_u32 v41, v41, 10, 0x2000
	s_delay_alu instid0(VALU_DEP_1) | instskip(NEXT) | instid1(VALU_DEP_1)
	v_and_or_b32 v41, 0x8000, v42, v41
	v_lshl_or_b32 v3, v3, 7, v41
	s_delay_alu instid0(VALU_DEP_1)
	v_cvt_f32_f16_e32 v41, v3
.LBB327_136:                            ;   in Loop: Header=BB327_10 Depth=1
	s_or_b32 exec_lo, exec_lo, s41
.LBB327_137:                            ;   in Loop: Header=BB327_10 Depth=1
	s_delay_alu instid0(SALU_CYCLE_1)
	s_or_b32 exec_lo, exec_lo, s40
.LBB327_138:                            ;   in Loop: Header=BB327_10 Depth=1
	s_delay_alu instid0(SALU_CYCLE_1) | instskip(SKIP_4) | instid1(VALU_DEP_1)
	s_or_b32 exec_lo, exec_lo, s3
	global_load_b32 v46, v[9:10], off offset:512
	s_mov_b32 s3, exec_lo
	s_waitcnt vmcnt(0)
	v_and_b32_e32 v3, 0xff, v46
	v_cmpx_ne_u16_e32 0, v3
	s_cbranch_execz .LBB327_146
; %bb.139:                              ;   in Loop: Header=BB327_10 Depth=1
	v_bfrev_b32_e32 v40, 1
	s_mov_b32 s40, exec_lo
	v_cmpx_ne_u16_e32 0x80, v3
	s_cbranch_execz .LBB327_145
; %bb.140:                              ;   in Loop: Header=BB327_10 Depth=1
	v_and_b32_e32 v42, 0x7f, v46
	v_mov_b32_e32 v40, 0x7fc02000
	s_mov_b32 s41, exec_lo
	s_delay_alu instid0(VALU_DEP_2)
	v_cmpx_ne_u32_e32 0x7f, v42
	s_cbranch_execz .LBB327_144
; %bb.141:                              ;   in Loop: Header=BB327_10 Depth=1
	v_and_b32_e32 v3, 7, v46
	v_lshrrev_b32_e32 v40, 3, v42
	s_mov_b32 s42, exec_lo
	v_cmpx_gt_u32_e32 8, v42
; %bb.142:                              ;   in Loop: Header=BB327_10 Depth=1
	s_delay_alu instid0(VALU_DEP_3) | instskip(NEXT) | instid1(VALU_DEP_1)
	v_clz_i32_u32_e32 v40, v3
	v_min_u32_e32 v40, 32, v40
	s_delay_alu instid0(VALU_DEP_1) | instskip(SKIP_1) | instid1(VALU_DEP_2)
	v_subrev_nc_u32_e32 v42, 28, v40
	v_sub_nc_u32_e32 v40, 29, v40
	v_lshlrev_b64 v[42:43], v42, v[3:4]
	s_delay_alu instid0(VALU_DEP_1)
	v_and_b32_e32 v3, 7, v42
; %bb.143:                              ;   in Loop: Header=BB327_10 Depth=1
	s_or_b32 exec_lo, exec_lo, s42
	v_lshlrev_b32_e32 v42, 8, v46
	v_lshl_add_u32 v40, v40, 10, 0x2000
	s_delay_alu instid0(VALU_DEP_1) | instskip(NEXT) | instid1(VALU_DEP_1)
	v_and_or_b32 v40, 0x8000, v42, v40
	v_lshl_or_b32 v3, v3, 7, v40
	s_delay_alu instid0(VALU_DEP_1)
	v_cvt_f32_f16_e32 v40, v3
.LBB327_144:                            ;   in Loop: Header=BB327_10 Depth=1
	s_or_b32 exec_lo, exec_lo, s41
.LBB327_145:                            ;   in Loop: Header=BB327_10 Depth=1
	s_delay_alu instid0(SALU_CYCLE_1)
	s_or_b32 exec_lo, exec_lo, s40
.LBB327_146:                            ;   in Loop: Header=BB327_10 Depth=1
	s_delay_alu instid0(SALU_CYCLE_1) | instskip(SKIP_3) | instid1(VALU_DEP_2)
	s_or_b32 exec_lo, exec_lo, s3
	v_lshrrev_b16 v3, 8, v46
	v_dual_mov_b32 v42, 0 :: v_dual_mov_b32 v43, 0
	s_mov_b32 s3, exec_lo
	v_cmpx_ne_u16_e32 0, v3
	s_cbranch_execz .LBB327_154
; %bb.147:                              ;   in Loop: Header=BB327_10 Depth=1
	v_bfrev_b32_e32 v43, 1
	s_mov_b32 s40, exec_lo
	v_cmpx_ne_u16_e32 0x80, v3
	s_cbranch_execz .LBB327_153
; %bb.148:                              ;   in Loop: Header=BB327_10 Depth=1
	v_and_b32_e32 v44, 0xffff, v3
	v_mov_b32_e32 v43, 0x7fc02000
	s_mov_b32 s41, exec_lo
	s_delay_alu instid0(VALU_DEP_2) | instskip(NEXT) | instid1(VALU_DEP_1)
	v_and_b32_e32 v45, 0x7f, v44
	v_cmpx_ne_u32_e32 0x7f, v45
	s_cbranch_execz .LBB327_152
; %bb.149:                              ;   in Loop: Header=BB327_10 Depth=1
	v_and_b32_e32 v3, 7, v44
	v_lshrrev_b32_e32 v43, 3, v45
	s_mov_b32 s42, exec_lo
	v_cmpx_gt_u32_e32 8, v45
; %bb.150:                              ;   in Loop: Header=BB327_10 Depth=1
	s_delay_alu instid0(VALU_DEP_3) | instskip(NEXT) | instid1(VALU_DEP_1)
	v_clz_i32_u32_e32 v43, v3
	v_min_u32_e32 v43, 32, v43
	s_delay_alu instid0(VALU_DEP_1) | instskip(SKIP_1) | instid1(VALU_DEP_2)
	v_subrev_nc_u32_e32 v45, 28, v43
	v_sub_nc_u32_e32 v43, 29, v43
	v_lshlrev_b64 v[47:48], v45, v[3:4]
	s_delay_alu instid0(VALU_DEP_1)
	v_and_b32_e32 v3, 7, v47
; %bb.151:                              ;   in Loop: Header=BB327_10 Depth=1
	s_or_b32 exec_lo, exec_lo, s42
	v_lshlrev_b32_e32 v44, 8, v44
	v_lshl_add_u32 v43, v43, 10, 0x2000
	s_delay_alu instid0(VALU_DEP_1) | instskip(NEXT) | instid1(VALU_DEP_1)
	v_and_or_b32 v43, 0x8000, v44, v43
	v_lshl_or_b32 v3, v3, 7, v43
	s_delay_alu instid0(VALU_DEP_1)
	v_cvt_f32_f16_e32 v43, v3
.LBB327_152:                            ;   in Loop: Header=BB327_10 Depth=1
	s_or_b32 exec_lo, exec_lo, s41
.LBB327_153:                            ;   in Loop: Header=BB327_10 Depth=1
	s_delay_alu instid0(SALU_CYCLE_1)
	s_or_b32 exec_lo, exec_lo, s40
.LBB327_154:                            ;   in Loop: Header=BB327_10 Depth=1
	s_delay_alu instid0(SALU_CYCLE_1) | instskip(SKIP_2) | instid1(VALU_DEP_1)
	s_or_b32 exec_lo, exec_lo, s3
	v_lshrrev_b32_e32 v44, 16, v46
	s_mov_b32 s3, exec_lo
	v_and_b32_e32 v3, 0xff, v44
	s_delay_alu instid0(VALU_DEP_1)
	v_cmpx_ne_u16_e32 0, v3
	s_cbranch_execz .LBB327_162
; %bb.155:                              ;   in Loop: Header=BB327_10 Depth=1
	v_bfrev_b32_e32 v42, 1
	s_mov_b32 s40, exec_lo
	v_cmpx_ne_u16_e32 0x80, v3
	s_cbranch_execz .LBB327_161
; %bb.156:                              ;   in Loop: Header=BB327_10 Depth=1
	v_bfe_u32 v45, v46, 16, 7
	v_mov_b32_e32 v42, 0x7fc02000
	s_mov_b32 s41, exec_lo
	s_delay_alu instid0(VALU_DEP_2)
	v_cmpx_ne_u32_e32 0x7f, v45
	s_cbranch_execz .LBB327_160
; %bb.157:                              ;   in Loop: Header=BB327_10 Depth=1
	v_and_b32_e32 v3, 7, v44
	v_lshrrev_b32_e32 v42, 3, v45
	s_mov_b32 s42, exec_lo
	v_cmpx_gt_u32_e32 8, v45
; %bb.158:                              ;   in Loop: Header=BB327_10 Depth=1
	s_delay_alu instid0(VALU_DEP_3) | instskip(NEXT) | instid1(VALU_DEP_1)
	v_clz_i32_u32_e32 v42, v3
	v_min_u32_e32 v42, 32, v42
	s_delay_alu instid0(VALU_DEP_1) | instskip(SKIP_1) | instid1(VALU_DEP_2)
	v_subrev_nc_u32_e32 v45, 28, v42
	v_sub_nc_u32_e32 v42, 29, v42
	v_lshlrev_b64 v[47:48], v45, v[3:4]
	s_delay_alu instid0(VALU_DEP_1)
	v_and_b32_e32 v3, 7, v47
; %bb.159:                              ;   in Loop: Header=BB327_10 Depth=1
	s_or_b32 exec_lo, exec_lo, s42
	v_lshlrev_b32_e32 v44, 8, v44
	v_lshl_add_u32 v42, v42, 10, 0x2000
	s_delay_alu instid0(VALU_DEP_1) | instskip(NEXT) | instid1(VALU_DEP_1)
	v_and_or_b32 v42, 0x8000, v44, v42
	v_lshl_or_b32 v3, v3, 7, v42
	s_delay_alu instid0(VALU_DEP_1)
	v_cvt_f32_f16_e32 v42, v3
.LBB327_160:                            ;   in Loop: Header=BB327_10 Depth=1
	s_or_b32 exec_lo, exec_lo, s41
.LBB327_161:                            ;   in Loop: Header=BB327_10 Depth=1
	s_delay_alu instid0(SALU_CYCLE_1)
	s_or_b32 exec_lo, exec_lo, s40
.LBB327_162:                            ;   in Loop: Header=BB327_10 Depth=1
	s_delay_alu instid0(SALU_CYCLE_1)
	s_or_b32 exec_lo, exec_lo, s3
	v_dual_mov_b32 v44, 0 :: v_dual_mov_b32 v45, 0
	s_mov_b32 s3, exec_lo
	v_cmpx_lt_u32_e32 0xffffff, v46
	s_cbranch_execz .LBB327_170
; %bb.163:                              ;   in Loop: Header=BB327_10 Depth=1
	v_lshrrev_b32_e32 v46, 24, v46
	v_bfrev_b32_e32 v45, 1
	s_mov_b32 s40, exec_lo
	s_delay_alu instid0(VALU_DEP_2)
	v_cmpx_ne_u32_e32 0x80, v46
	s_cbranch_execz .LBB327_169
; %bb.164:                              ;   in Loop: Header=BB327_10 Depth=1
	v_and_b32_e32 v47, 0x7f, v46
	v_mov_b32_e32 v45, 0x7fc02000
	s_mov_b32 s41, exec_lo
	s_delay_alu instid0(VALU_DEP_2)
	v_cmpx_ne_u32_e32 0x7f, v47
	s_cbranch_execz .LBB327_168
; %bb.165:                              ;   in Loop: Header=BB327_10 Depth=1
	v_and_b32_e32 v3, 7, v46
	v_lshrrev_b32_e32 v45, 3, v47
	s_mov_b32 s42, exec_lo
	v_cmpx_gt_u32_e32 8, v47
; %bb.166:                              ;   in Loop: Header=BB327_10 Depth=1
	s_delay_alu instid0(VALU_DEP_3) | instskip(NEXT) | instid1(VALU_DEP_1)
	v_clz_i32_u32_e32 v45, v3
	v_min_u32_e32 v45, 32, v45
	s_delay_alu instid0(VALU_DEP_1) | instskip(SKIP_1) | instid1(VALU_DEP_2)
	v_subrev_nc_u32_e32 v47, 28, v45
	v_sub_nc_u32_e32 v45, 29, v45
	v_lshlrev_b64 v[47:48], v47, v[3:4]
	s_delay_alu instid0(VALU_DEP_1)
	v_and_b32_e32 v3, 7, v47
; %bb.167:                              ;   in Loop: Header=BB327_10 Depth=1
	s_or_b32 exec_lo, exec_lo, s42
	v_lshlrev_b32_e32 v46, 8, v46
	v_lshl_add_u32 v45, v45, 10, 0x2000
	s_delay_alu instid0(VALU_DEP_1) | instskip(NEXT) | instid1(VALU_DEP_1)
	v_and_or_b32 v45, 0x8000, v46, v45
	v_lshl_or_b32 v3, v3, 7, v45
	s_delay_alu instid0(VALU_DEP_1)
	v_cvt_f32_f16_e32 v45, v3
.LBB327_168:                            ;   in Loop: Header=BB327_10 Depth=1
	s_or_b32 exec_lo, exec_lo, s41
.LBB327_169:                            ;   in Loop: Header=BB327_10 Depth=1
	s_delay_alu instid0(SALU_CYCLE_1)
	s_or_b32 exec_lo, exec_lo, s40
.LBB327_170:                            ;   in Loop: Header=BB327_10 Depth=1
	s_delay_alu instid0(SALU_CYCLE_1) | instskip(SKIP_4) | instid1(VALU_DEP_1)
	s_or_b32 exec_lo, exec_lo, s3
	global_load_b32 v50, v[9:10], off offset:520
	s_mov_b32 s3, exec_lo
	s_waitcnt vmcnt(0)
	v_and_b32_e32 v3, 0xff, v50
	v_cmpx_ne_u16_e32 0, v3
	s_cbranch_execz .LBB327_178
; %bb.171:                              ;   in Loop: Header=BB327_10 Depth=1
	v_bfrev_b32_e32 v44, 1
	s_mov_b32 s40, exec_lo
	v_cmpx_ne_u16_e32 0x80, v3
	s_cbranch_execz .LBB327_177
; %bb.172:                              ;   in Loop: Header=BB327_10 Depth=1
	v_and_b32_e32 v46, 0x7f, v50
	v_mov_b32_e32 v44, 0x7fc02000
	s_mov_b32 s41, exec_lo
	s_delay_alu instid0(VALU_DEP_2)
	v_cmpx_ne_u32_e32 0x7f, v46
	s_cbranch_execz .LBB327_176
; %bb.173:                              ;   in Loop: Header=BB327_10 Depth=1
	v_and_b32_e32 v3, 7, v50
	v_lshrrev_b32_e32 v44, 3, v46
	s_mov_b32 s42, exec_lo
	v_cmpx_gt_u32_e32 8, v46
; %bb.174:                              ;   in Loop: Header=BB327_10 Depth=1
	s_delay_alu instid0(VALU_DEP_3) | instskip(NEXT) | instid1(VALU_DEP_1)
	v_clz_i32_u32_e32 v44, v3
	v_min_u32_e32 v44, 32, v44
	s_delay_alu instid0(VALU_DEP_1) | instskip(SKIP_1) | instid1(VALU_DEP_2)
	v_subrev_nc_u32_e32 v46, 28, v44
	v_sub_nc_u32_e32 v44, 29, v44
	v_lshlrev_b64 v[46:47], v46, v[3:4]
	s_delay_alu instid0(VALU_DEP_1)
	v_and_b32_e32 v3, 7, v46
; %bb.175:                              ;   in Loop: Header=BB327_10 Depth=1
	s_or_b32 exec_lo, exec_lo, s42
	v_lshlrev_b32_e32 v46, 8, v50
	v_lshl_add_u32 v44, v44, 10, 0x2000
	s_delay_alu instid0(VALU_DEP_1) | instskip(NEXT) | instid1(VALU_DEP_1)
	v_and_or_b32 v44, 0x8000, v46, v44
	v_lshl_or_b32 v3, v3, 7, v44
	s_delay_alu instid0(VALU_DEP_1)
	v_cvt_f32_f16_e32 v44, v3
.LBB327_176:                            ;   in Loop: Header=BB327_10 Depth=1
	s_or_b32 exec_lo, exec_lo, s41
.LBB327_177:                            ;   in Loop: Header=BB327_10 Depth=1
	s_delay_alu instid0(SALU_CYCLE_1)
	s_or_b32 exec_lo, exec_lo, s40
.LBB327_178:                            ;   in Loop: Header=BB327_10 Depth=1
	s_delay_alu instid0(SALU_CYCLE_1) | instskip(SKIP_3) | instid1(VALU_DEP_2)
	s_or_b32 exec_lo, exec_lo, s3
	v_lshrrev_b16 v3, 8, v50
	v_dual_mov_b32 v46, 0 :: v_dual_mov_b32 v47, 0
	s_mov_b32 s3, exec_lo
	v_cmpx_ne_u16_e32 0, v3
	s_cbranch_execz .LBB327_186
; %bb.179:                              ;   in Loop: Header=BB327_10 Depth=1
	v_bfrev_b32_e32 v47, 1
	s_mov_b32 s40, exec_lo
	v_cmpx_ne_u16_e32 0x80, v3
	s_cbranch_execz .LBB327_185
; %bb.180:                              ;   in Loop: Header=BB327_10 Depth=1
	v_and_b32_e32 v48, 0xffff, v3
	v_mov_b32_e32 v47, 0x7fc02000
	s_mov_b32 s41, exec_lo
	s_delay_alu instid0(VALU_DEP_2) | instskip(NEXT) | instid1(VALU_DEP_1)
	v_and_b32_e32 v49, 0x7f, v48
	v_cmpx_ne_u32_e32 0x7f, v49
	s_cbranch_execz .LBB327_184
; %bb.181:                              ;   in Loop: Header=BB327_10 Depth=1
	v_and_b32_e32 v3, 7, v48
	v_lshrrev_b32_e32 v47, 3, v49
	s_mov_b32 s42, exec_lo
	v_cmpx_gt_u32_e32 8, v49
; %bb.182:                              ;   in Loop: Header=BB327_10 Depth=1
	s_delay_alu instid0(VALU_DEP_3) | instskip(NEXT) | instid1(VALU_DEP_1)
	v_clz_i32_u32_e32 v47, v3
	v_min_u32_e32 v47, 32, v47
	s_delay_alu instid0(VALU_DEP_1) | instskip(SKIP_1) | instid1(VALU_DEP_2)
	v_subrev_nc_u32_e32 v49, 28, v47
	v_sub_nc_u32_e32 v47, 29, v47
	v_lshlrev_b64 v[51:52], v49, v[3:4]
	s_delay_alu instid0(VALU_DEP_1)
	v_and_b32_e32 v3, 7, v51
; %bb.183:                              ;   in Loop: Header=BB327_10 Depth=1
	s_or_b32 exec_lo, exec_lo, s42
	v_lshlrev_b32_e32 v48, 8, v48
	v_lshl_add_u32 v47, v47, 10, 0x2000
	s_delay_alu instid0(VALU_DEP_1) | instskip(NEXT) | instid1(VALU_DEP_1)
	v_and_or_b32 v47, 0x8000, v48, v47
	v_lshl_or_b32 v3, v3, 7, v47
	s_delay_alu instid0(VALU_DEP_1)
	v_cvt_f32_f16_e32 v47, v3
.LBB327_184:                            ;   in Loop: Header=BB327_10 Depth=1
	s_or_b32 exec_lo, exec_lo, s41
.LBB327_185:                            ;   in Loop: Header=BB327_10 Depth=1
	s_delay_alu instid0(SALU_CYCLE_1)
	s_or_b32 exec_lo, exec_lo, s40
.LBB327_186:                            ;   in Loop: Header=BB327_10 Depth=1
	s_delay_alu instid0(SALU_CYCLE_1) | instskip(SKIP_2) | instid1(VALU_DEP_1)
	s_or_b32 exec_lo, exec_lo, s3
	v_lshrrev_b32_e32 v48, 16, v50
	s_mov_b32 s3, exec_lo
	v_and_b32_e32 v3, 0xff, v48
	s_delay_alu instid0(VALU_DEP_1)
	v_cmpx_ne_u16_e32 0, v3
	s_cbranch_execz .LBB327_194
; %bb.187:                              ;   in Loop: Header=BB327_10 Depth=1
	v_bfrev_b32_e32 v46, 1
	s_mov_b32 s40, exec_lo
	v_cmpx_ne_u16_e32 0x80, v3
	s_cbranch_execz .LBB327_193
; %bb.188:                              ;   in Loop: Header=BB327_10 Depth=1
	v_bfe_u32 v49, v50, 16, 7
	v_mov_b32_e32 v46, 0x7fc02000
	s_mov_b32 s41, exec_lo
	s_delay_alu instid0(VALU_DEP_2)
	v_cmpx_ne_u32_e32 0x7f, v49
	s_cbranch_execz .LBB327_192
; %bb.189:                              ;   in Loop: Header=BB327_10 Depth=1
	v_and_b32_e32 v3, 7, v48
	v_lshrrev_b32_e32 v46, 3, v49
	s_mov_b32 s42, exec_lo
	v_cmpx_gt_u32_e32 8, v49
; %bb.190:                              ;   in Loop: Header=BB327_10 Depth=1
	s_delay_alu instid0(VALU_DEP_3) | instskip(NEXT) | instid1(VALU_DEP_1)
	v_clz_i32_u32_e32 v46, v3
	v_min_u32_e32 v46, 32, v46
	s_delay_alu instid0(VALU_DEP_1) | instskip(SKIP_1) | instid1(VALU_DEP_2)
	v_subrev_nc_u32_e32 v49, 28, v46
	v_sub_nc_u32_e32 v46, 29, v46
	v_lshlrev_b64 v[51:52], v49, v[3:4]
	s_delay_alu instid0(VALU_DEP_1)
	v_and_b32_e32 v3, 7, v51
; %bb.191:                              ;   in Loop: Header=BB327_10 Depth=1
	s_or_b32 exec_lo, exec_lo, s42
	v_lshlrev_b32_e32 v48, 8, v48
	v_lshl_add_u32 v46, v46, 10, 0x2000
	s_delay_alu instid0(VALU_DEP_1) | instskip(NEXT) | instid1(VALU_DEP_1)
	v_and_or_b32 v46, 0x8000, v48, v46
	v_lshl_or_b32 v3, v3, 7, v46
	s_delay_alu instid0(VALU_DEP_1)
	v_cvt_f32_f16_e32 v46, v3
.LBB327_192:                            ;   in Loop: Header=BB327_10 Depth=1
	s_or_b32 exec_lo, exec_lo, s41
.LBB327_193:                            ;   in Loop: Header=BB327_10 Depth=1
	s_delay_alu instid0(SALU_CYCLE_1)
	s_or_b32 exec_lo, exec_lo, s40
.LBB327_194:                            ;   in Loop: Header=BB327_10 Depth=1
	s_delay_alu instid0(SALU_CYCLE_1)
	s_or_b32 exec_lo, exec_lo, s3
	v_dual_mov_b32 v49, 0 :: v_dual_mov_b32 v48, 0
	s_mov_b32 s3, exec_lo
	v_cmpx_lt_u32_e32 0xffffff, v50
	s_cbranch_execz .LBB327_202
; %bb.195:                              ;   in Loop: Header=BB327_10 Depth=1
	v_lshrrev_b32_e32 v50, 24, v50
	v_bfrev_b32_e32 v48, 1
	s_mov_b32 s40, exec_lo
	s_delay_alu instid0(VALU_DEP_2)
	v_cmpx_ne_u32_e32 0x80, v50
	s_cbranch_execz .LBB327_201
; %bb.196:                              ;   in Loop: Header=BB327_10 Depth=1
	v_and_b32_e32 v51, 0x7f, v50
	v_mov_b32_e32 v48, 0x7fc02000
	s_mov_b32 s41, exec_lo
	s_delay_alu instid0(VALU_DEP_2)
	v_cmpx_ne_u32_e32 0x7f, v51
	s_cbranch_execz .LBB327_200
; %bb.197:                              ;   in Loop: Header=BB327_10 Depth=1
	v_and_b32_e32 v3, 7, v50
	v_lshrrev_b32_e32 v48, 3, v51
	s_mov_b32 s42, exec_lo
	v_cmpx_gt_u32_e32 8, v51
; %bb.198:                              ;   in Loop: Header=BB327_10 Depth=1
	s_delay_alu instid0(VALU_DEP_3) | instskip(NEXT) | instid1(VALU_DEP_1)
	v_clz_i32_u32_e32 v48, v3
	v_min_u32_e32 v48, 32, v48
	s_delay_alu instid0(VALU_DEP_1) | instskip(SKIP_1) | instid1(VALU_DEP_2)
	v_subrev_nc_u32_e32 v51, 28, v48
	v_sub_nc_u32_e32 v48, 29, v48
	v_lshlrev_b64 v[51:52], v51, v[3:4]
	s_delay_alu instid0(VALU_DEP_1)
	v_and_b32_e32 v3, 7, v51
; %bb.199:                              ;   in Loop: Header=BB327_10 Depth=1
	s_or_b32 exec_lo, exec_lo, s42
	v_lshlrev_b32_e32 v50, 8, v50
	v_lshl_add_u32 v48, v48, 10, 0x2000
	s_delay_alu instid0(VALU_DEP_1) | instskip(NEXT) | instid1(VALU_DEP_1)
	v_and_or_b32 v48, 0x8000, v50, v48
	v_lshl_or_b32 v3, v3, 7, v48
	s_delay_alu instid0(VALU_DEP_1)
	v_cvt_f32_f16_e32 v48, v3
.LBB327_200:                            ;   in Loop: Header=BB327_10 Depth=1
	s_or_b32 exec_lo, exec_lo, s41
.LBB327_201:                            ;   in Loop: Header=BB327_10 Depth=1
	s_delay_alu instid0(SALU_CYCLE_1)
	s_or_b32 exec_lo, exec_lo, s40
.LBB327_202:                            ;   in Loop: Header=BB327_10 Depth=1
	s_delay_alu instid0(SALU_CYCLE_1) | instskip(SKIP_4) | instid1(VALU_DEP_1)
	s_or_b32 exec_lo, exec_lo, s3
	global_load_b32 v54, v[9:10], off offset:768
	s_mov_b32 s3, exec_lo
	s_waitcnt vmcnt(0)
	v_and_b32_e32 v3, 0xff, v54
	v_cmpx_ne_u16_e32 0, v3
	s_cbranch_execz .LBB327_210
; %bb.203:                              ;   in Loop: Header=BB327_10 Depth=1
	v_bfrev_b32_e32 v49, 1
	s_mov_b32 s40, exec_lo
	v_cmpx_ne_u16_e32 0x80, v3
	s_cbranch_execz .LBB327_209
; %bb.204:                              ;   in Loop: Header=BB327_10 Depth=1
	v_and_b32_e32 v50, 0x7f, v54
	v_mov_b32_e32 v49, 0x7fc02000
	s_mov_b32 s41, exec_lo
	s_delay_alu instid0(VALU_DEP_2)
	v_cmpx_ne_u32_e32 0x7f, v50
	s_cbranch_execz .LBB327_208
; %bb.205:                              ;   in Loop: Header=BB327_10 Depth=1
	v_and_b32_e32 v3, 7, v54
	v_lshrrev_b32_e32 v49, 3, v50
	s_mov_b32 s42, exec_lo
	v_cmpx_gt_u32_e32 8, v50
; %bb.206:                              ;   in Loop: Header=BB327_10 Depth=1
	s_delay_alu instid0(VALU_DEP_3) | instskip(NEXT) | instid1(VALU_DEP_1)
	v_clz_i32_u32_e32 v49, v3
	v_min_u32_e32 v49, 32, v49
	s_delay_alu instid0(VALU_DEP_1) | instskip(SKIP_1) | instid1(VALU_DEP_2)
	v_subrev_nc_u32_e32 v50, 28, v49
	v_sub_nc_u32_e32 v49, 29, v49
	v_lshlrev_b64 v[50:51], v50, v[3:4]
	s_delay_alu instid0(VALU_DEP_1)
	v_and_b32_e32 v3, 7, v50
; %bb.207:                              ;   in Loop: Header=BB327_10 Depth=1
	s_or_b32 exec_lo, exec_lo, s42
	v_lshlrev_b32_e32 v50, 8, v54
	v_lshl_add_u32 v49, v49, 10, 0x2000
	s_delay_alu instid0(VALU_DEP_1) | instskip(NEXT) | instid1(VALU_DEP_1)
	v_and_or_b32 v49, 0x8000, v50, v49
	v_lshl_or_b32 v3, v3, 7, v49
	s_delay_alu instid0(VALU_DEP_1)
	v_cvt_f32_f16_e32 v49, v3
.LBB327_208:                            ;   in Loop: Header=BB327_10 Depth=1
	s_or_b32 exec_lo, exec_lo, s41
.LBB327_209:                            ;   in Loop: Header=BB327_10 Depth=1
	s_delay_alu instid0(SALU_CYCLE_1)
	s_or_b32 exec_lo, exec_lo, s40
.LBB327_210:                            ;   in Loop: Header=BB327_10 Depth=1
	s_delay_alu instid0(SALU_CYCLE_1) | instskip(SKIP_3) | instid1(VALU_DEP_2)
	s_or_b32 exec_lo, exec_lo, s3
	v_lshrrev_b16 v3, 8, v54
	v_dual_mov_b32 v50, 0 :: v_dual_mov_b32 v51, 0
	s_mov_b32 s3, exec_lo
	v_cmpx_ne_u16_e32 0, v3
	s_cbranch_execz .LBB327_218
; %bb.211:                              ;   in Loop: Header=BB327_10 Depth=1
	v_bfrev_b32_e32 v51, 1
	s_mov_b32 s40, exec_lo
	v_cmpx_ne_u16_e32 0x80, v3
	s_cbranch_execz .LBB327_217
; %bb.212:                              ;   in Loop: Header=BB327_10 Depth=1
	v_and_b32_e32 v52, 0xffff, v3
	v_mov_b32_e32 v51, 0x7fc02000
	s_mov_b32 s41, exec_lo
	s_delay_alu instid0(VALU_DEP_2) | instskip(NEXT) | instid1(VALU_DEP_1)
	v_and_b32_e32 v53, 0x7f, v52
	v_cmpx_ne_u32_e32 0x7f, v53
	s_cbranch_execz .LBB327_216
; %bb.213:                              ;   in Loop: Header=BB327_10 Depth=1
	v_and_b32_e32 v3, 7, v52
	v_lshrrev_b32_e32 v51, 3, v53
	s_mov_b32 s42, exec_lo
	v_cmpx_gt_u32_e32 8, v53
; %bb.214:                              ;   in Loop: Header=BB327_10 Depth=1
	s_delay_alu instid0(VALU_DEP_3) | instskip(NEXT) | instid1(VALU_DEP_1)
	v_clz_i32_u32_e32 v51, v3
	v_min_u32_e32 v51, 32, v51
	s_delay_alu instid0(VALU_DEP_1) | instskip(SKIP_1) | instid1(VALU_DEP_2)
	v_subrev_nc_u32_e32 v53, 28, v51
	v_sub_nc_u32_e32 v51, 29, v51
	v_lshlrev_b64 v[55:56], v53, v[3:4]
	s_delay_alu instid0(VALU_DEP_1)
	v_and_b32_e32 v3, 7, v55
; %bb.215:                              ;   in Loop: Header=BB327_10 Depth=1
	s_or_b32 exec_lo, exec_lo, s42
	v_lshlrev_b32_e32 v52, 8, v52
	v_lshl_add_u32 v51, v51, 10, 0x2000
	s_delay_alu instid0(VALU_DEP_1) | instskip(NEXT) | instid1(VALU_DEP_1)
	v_and_or_b32 v51, 0x8000, v52, v51
	v_lshl_or_b32 v3, v3, 7, v51
	s_delay_alu instid0(VALU_DEP_1)
	v_cvt_f32_f16_e32 v51, v3
.LBB327_216:                            ;   in Loop: Header=BB327_10 Depth=1
	s_or_b32 exec_lo, exec_lo, s41
.LBB327_217:                            ;   in Loop: Header=BB327_10 Depth=1
	s_delay_alu instid0(SALU_CYCLE_1)
	s_or_b32 exec_lo, exec_lo, s40
.LBB327_218:                            ;   in Loop: Header=BB327_10 Depth=1
	s_delay_alu instid0(SALU_CYCLE_1) | instskip(SKIP_2) | instid1(VALU_DEP_1)
	s_or_b32 exec_lo, exec_lo, s3
	v_lshrrev_b32_e32 v52, 16, v54
	s_mov_b32 s3, exec_lo
	v_and_b32_e32 v3, 0xff, v52
	s_delay_alu instid0(VALU_DEP_1)
	v_cmpx_ne_u16_e32 0, v3
	s_cbranch_execz .LBB327_226
; %bb.219:                              ;   in Loop: Header=BB327_10 Depth=1
	v_bfrev_b32_e32 v50, 1
	s_mov_b32 s40, exec_lo
	v_cmpx_ne_u16_e32 0x80, v3
	s_cbranch_execz .LBB327_225
; %bb.220:                              ;   in Loop: Header=BB327_10 Depth=1
	v_bfe_u32 v53, v54, 16, 7
	v_mov_b32_e32 v50, 0x7fc02000
	s_mov_b32 s41, exec_lo
	s_delay_alu instid0(VALU_DEP_2)
	v_cmpx_ne_u32_e32 0x7f, v53
	s_cbranch_execz .LBB327_224
; %bb.221:                              ;   in Loop: Header=BB327_10 Depth=1
	v_and_b32_e32 v3, 7, v52
	v_lshrrev_b32_e32 v50, 3, v53
	s_mov_b32 s42, exec_lo
	v_cmpx_gt_u32_e32 8, v53
; %bb.222:                              ;   in Loop: Header=BB327_10 Depth=1
	s_delay_alu instid0(VALU_DEP_3) | instskip(NEXT) | instid1(VALU_DEP_1)
	v_clz_i32_u32_e32 v50, v3
	v_min_u32_e32 v50, 32, v50
	s_delay_alu instid0(VALU_DEP_1) | instskip(SKIP_1) | instid1(VALU_DEP_2)
	v_subrev_nc_u32_e32 v53, 28, v50
	v_sub_nc_u32_e32 v50, 29, v50
	v_lshlrev_b64 v[55:56], v53, v[3:4]
	s_delay_alu instid0(VALU_DEP_1)
	v_and_b32_e32 v3, 7, v55
; %bb.223:                              ;   in Loop: Header=BB327_10 Depth=1
	s_or_b32 exec_lo, exec_lo, s42
	v_lshlrev_b32_e32 v52, 8, v52
	v_lshl_add_u32 v50, v50, 10, 0x2000
	s_delay_alu instid0(VALU_DEP_1) | instskip(NEXT) | instid1(VALU_DEP_1)
	v_and_or_b32 v50, 0x8000, v52, v50
	v_lshl_or_b32 v3, v3, 7, v50
	s_delay_alu instid0(VALU_DEP_1)
	v_cvt_f32_f16_e32 v50, v3
.LBB327_224:                            ;   in Loop: Header=BB327_10 Depth=1
	s_or_b32 exec_lo, exec_lo, s41
.LBB327_225:                            ;   in Loop: Header=BB327_10 Depth=1
	s_delay_alu instid0(SALU_CYCLE_1)
	s_or_b32 exec_lo, exec_lo, s40
.LBB327_226:                            ;   in Loop: Header=BB327_10 Depth=1
	s_delay_alu instid0(SALU_CYCLE_1)
	s_or_b32 exec_lo, exec_lo, s3
	v_dual_mov_b32 v52, 0 :: v_dual_mov_b32 v53, 0
	s_mov_b32 s3, exec_lo
	v_cmpx_lt_u32_e32 0xffffff, v54
	s_cbranch_execz .LBB327_234
; %bb.227:                              ;   in Loop: Header=BB327_10 Depth=1
	v_lshrrev_b32_e32 v54, 24, v54
	v_bfrev_b32_e32 v53, 1
	s_mov_b32 s40, exec_lo
	s_delay_alu instid0(VALU_DEP_2)
	v_cmpx_ne_u32_e32 0x80, v54
	s_cbranch_execz .LBB327_233
; %bb.228:                              ;   in Loop: Header=BB327_10 Depth=1
	v_and_b32_e32 v55, 0x7f, v54
	v_mov_b32_e32 v53, 0x7fc02000
	s_mov_b32 s41, exec_lo
	s_delay_alu instid0(VALU_DEP_2)
	v_cmpx_ne_u32_e32 0x7f, v55
	s_cbranch_execz .LBB327_232
; %bb.229:                              ;   in Loop: Header=BB327_10 Depth=1
	v_and_b32_e32 v3, 7, v54
	v_lshrrev_b32_e32 v53, 3, v55
	s_mov_b32 s42, exec_lo
	v_cmpx_gt_u32_e32 8, v55
; %bb.230:                              ;   in Loop: Header=BB327_10 Depth=1
	s_delay_alu instid0(VALU_DEP_3) | instskip(NEXT) | instid1(VALU_DEP_1)
	v_clz_i32_u32_e32 v53, v3
	v_min_u32_e32 v53, 32, v53
	s_delay_alu instid0(VALU_DEP_1) | instskip(SKIP_1) | instid1(VALU_DEP_2)
	v_subrev_nc_u32_e32 v55, 28, v53
	v_sub_nc_u32_e32 v53, 29, v53
	v_lshlrev_b64 v[55:56], v55, v[3:4]
	s_delay_alu instid0(VALU_DEP_1)
	v_and_b32_e32 v3, 7, v55
; %bb.231:                              ;   in Loop: Header=BB327_10 Depth=1
	s_or_b32 exec_lo, exec_lo, s42
	v_lshlrev_b32_e32 v54, 8, v54
	v_lshl_add_u32 v53, v53, 10, 0x2000
	s_delay_alu instid0(VALU_DEP_1) | instskip(NEXT) | instid1(VALU_DEP_1)
	v_and_or_b32 v53, 0x8000, v54, v53
	v_lshl_or_b32 v3, v3, 7, v53
	s_delay_alu instid0(VALU_DEP_1)
	v_cvt_f32_f16_e32 v53, v3
.LBB327_232:                            ;   in Loop: Header=BB327_10 Depth=1
	s_or_b32 exec_lo, exec_lo, s41
.LBB327_233:                            ;   in Loop: Header=BB327_10 Depth=1
	s_delay_alu instid0(SALU_CYCLE_1)
	s_or_b32 exec_lo, exec_lo, s40
.LBB327_234:                            ;   in Loop: Header=BB327_10 Depth=1
	s_delay_alu instid0(SALU_CYCLE_1) | instskip(SKIP_4) | instid1(VALU_DEP_1)
	s_or_b32 exec_lo, exec_lo, s3
	global_load_b32 v54, v[9:10], off offset:776
	s_mov_b32 s3, exec_lo
	s_waitcnt vmcnt(0)
	v_and_b32_e32 v3, 0xff, v54
	v_cmpx_ne_u16_e32 0, v3
	s_cbranch_execz .LBB327_242
; %bb.235:                              ;   in Loop: Header=BB327_10 Depth=1
	v_bfrev_b32_e32 v52, 1
	s_mov_b32 s40, exec_lo
	v_cmpx_ne_u16_e32 0x80, v3
	s_cbranch_execz .LBB327_241
; %bb.236:                              ;   in Loop: Header=BB327_10 Depth=1
	v_and_b32_e32 v10, 0x7f, v54
	v_mov_b32_e32 v52, 0x7fc02000
	s_mov_b32 s41, exec_lo
	s_delay_alu instid0(VALU_DEP_2)
	v_cmpx_ne_u32_e32 0x7f, v10
	s_cbranch_execz .LBB327_240
; %bb.237:                              ;   in Loop: Header=BB327_10 Depth=1
	v_and_b32_e32 v3, 7, v54
	v_lshrrev_b32_e32 v9, 3, v10
	s_mov_b32 s42, exec_lo
	v_cmpx_gt_u32_e32 8, v10
; %bb.238:                              ;   in Loop: Header=BB327_10 Depth=1
	s_delay_alu instid0(VALU_DEP_3) | instskip(NEXT) | instid1(VALU_DEP_1)
	v_clz_i32_u32_e32 v9, v3
	v_min_u32_e32 v9, 32, v9
	s_delay_alu instid0(VALU_DEP_1) | instskip(SKIP_1) | instid1(VALU_DEP_2)
	v_subrev_nc_u32_e32 v10, 28, v9
	v_sub_nc_u32_e32 v9, 29, v9
	v_lshlrev_b64 v[55:56], v10, v[3:4]
	s_delay_alu instid0(VALU_DEP_1)
	v_and_b32_e32 v3, 7, v55
; %bb.239:                              ;   in Loop: Header=BB327_10 Depth=1
	s_or_b32 exec_lo, exec_lo, s42
	v_lshlrev_b32_e32 v10, 8, v54
	v_lshl_add_u32 v9, v9, 10, 0x2000
	s_delay_alu instid0(VALU_DEP_1) | instskip(NEXT) | instid1(VALU_DEP_1)
	v_and_or_b32 v9, 0x8000, v10, v9
	v_lshl_or_b32 v3, v3, 7, v9
	s_delay_alu instid0(VALU_DEP_1)
	v_cvt_f32_f16_e32 v52, v3
.LBB327_240:                            ;   in Loop: Header=BB327_10 Depth=1
	s_or_b32 exec_lo, exec_lo, s41
.LBB327_241:                            ;   in Loop: Header=BB327_10 Depth=1
	s_delay_alu instid0(SALU_CYCLE_1)
	s_or_b32 exec_lo, exec_lo, s40
.LBB327_242:                            ;   in Loop: Header=BB327_10 Depth=1
	s_delay_alu instid0(SALU_CYCLE_1) | instskip(SKIP_3) | instid1(VALU_DEP_2)
	s_or_b32 exec_lo, exec_lo, s3
	v_lshrrev_b16 v3, 8, v54
	v_dual_mov_b32 v9, 0 :: v_dual_mov_b32 v10, 0
	s_mov_b32 s3, exec_lo
	v_cmpx_ne_u16_e32 0, v3
	s_cbranch_execz .LBB327_250
; %bb.243:                              ;   in Loop: Header=BB327_10 Depth=1
	v_bfrev_b32_e32 v10, 1
	s_mov_b32 s40, exec_lo
	v_cmpx_ne_u16_e32 0x80, v3
	s_cbranch_execz .LBB327_249
; %bb.244:                              ;   in Loop: Header=BB327_10 Depth=1
	v_and_b32_e32 v55, 0xffff, v3
	v_mov_b32_e32 v10, 0x7fc02000
	s_mov_b32 s41, exec_lo
	s_delay_alu instid0(VALU_DEP_2) | instskip(NEXT) | instid1(VALU_DEP_1)
	v_and_b32_e32 v56, 0x7f, v55
	v_cmpx_ne_u32_e32 0x7f, v56
	s_cbranch_execz .LBB327_248
; %bb.245:                              ;   in Loop: Header=BB327_10 Depth=1
	v_and_b32_e32 v3, 7, v55
	v_lshrrev_b32_e32 v10, 3, v56
	s_mov_b32 s42, exec_lo
	v_cmpx_gt_u32_e32 8, v56
; %bb.246:                              ;   in Loop: Header=BB327_10 Depth=1
	s_delay_alu instid0(VALU_DEP_3) | instskip(NEXT) | instid1(VALU_DEP_1)
	v_clz_i32_u32_e32 v10, v3
	v_min_u32_e32 v10, 32, v10
	s_delay_alu instid0(VALU_DEP_1) | instskip(SKIP_1) | instid1(VALU_DEP_2)
	v_subrev_nc_u32_e32 v56, 28, v10
	v_sub_nc_u32_e32 v10, 29, v10
	v_lshlrev_b64 v[56:57], v56, v[3:4]
	s_delay_alu instid0(VALU_DEP_1)
	v_and_b32_e32 v3, 7, v56
; %bb.247:                              ;   in Loop: Header=BB327_10 Depth=1
	s_or_b32 exec_lo, exec_lo, s42
	v_lshlrev_b32_e32 v55, 8, v55
	v_lshl_add_u32 v10, v10, 10, 0x2000
	s_delay_alu instid0(VALU_DEP_1) | instskip(NEXT) | instid1(VALU_DEP_1)
	v_and_or_b32 v10, 0x8000, v55, v10
	v_lshl_or_b32 v3, v3, 7, v10
	s_delay_alu instid0(VALU_DEP_1)
	v_cvt_f32_f16_e32 v10, v3
.LBB327_248:                            ;   in Loop: Header=BB327_10 Depth=1
	s_or_b32 exec_lo, exec_lo, s41
.LBB327_249:                            ;   in Loop: Header=BB327_10 Depth=1
	s_delay_alu instid0(SALU_CYCLE_1)
	s_or_b32 exec_lo, exec_lo, s40
.LBB327_250:                            ;   in Loop: Header=BB327_10 Depth=1
	s_delay_alu instid0(SALU_CYCLE_1) | instskip(SKIP_2) | instid1(VALU_DEP_1)
	s_or_b32 exec_lo, exec_lo, s3
	v_lshrrev_b32_e32 v55, 16, v54
	s_mov_b32 s3, exec_lo
	v_and_b32_e32 v3, 0xff, v55
	s_delay_alu instid0(VALU_DEP_1)
	v_cmpx_ne_u16_e32 0, v3
	s_cbranch_execz .LBB327_258
; %bb.251:                              ;   in Loop: Header=BB327_10 Depth=1
	v_bfrev_b32_e32 v9, 1
	s_mov_b32 s40, exec_lo
	v_cmpx_ne_u16_e32 0x80, v3
	s_cbranch_execz .LBB327_257
; %bb.252:                              ;   in Loop: Header=BB327_10 Depth=1
	v_bfe_u32 v56, v54, 16, 7
	v_mov_b32_e32 v9, 0x7fc02000
	s_mov_b32 s41, exec_lo
	s_delay_alu instid0(VALU_DEP_2)
	v_cmpx_ne_u32_e32 0x7f, v56
	s_cbranch_execz .LBB327_256
; %bb.253:                              ;   in Loop: Header=BB327_10 Depth=1
	v_and_b32_e32 v3, 7, v55
	v_lshrrev_b32_e32 v9, 3, v56
	s_mov_b32 s42, exec_lo
	v_cmpx_gt_u32_e32 8, v56
; %bb.254:                              ;   in Loop: Header=BB327_10 Depth=1
	s_delay_alu instid0(VALU_DEP_3) | instskip(NEXT) | instid1(VALU_DEP_1)
	v_clz_i32_u32_e32 v9, v3
	v_min_u32_e32 v9, 32, v9
	s_delay_alu instid0(VALU_DEP_1) | instskip(SKIP_1) | instid1(VALU_DEP_2)
	v_subrev_nc_u32_e32 v56, 28, v9
	v_sub_nc_u32_e32 v9, 29, v9
	v_lshlrev_b64 v[56:57], v56, v[3:4]
	s_delay_alu instid0(VALU_DEP_1)
	v_and_b32_e32 v3, 7, v56
; %bb.255:                              ;   in Loop: Header=BB327_10 Depth=1
	s_or_b32 exec_lo, exec_lo, s42
	v_lshlrev_b32_e32 v55, 8, v55
	v_lshl_add_u32 v9, v9, 10, 0x2000
	s_delay_alu instid0(VALU_DEP_1) | instskip(NEXT) | instid1(VALU_DEP_1)
	v_and_or_b32 v9, 0x8000, v55, v9
	v_lshl_or_b32 v3, v3, 7, v9
	s_delay_alu instid0(VALU_DEP_1)
	v_cvt_f32_f16_e32 v9, v3
.LBB327_256:                            ;   in Loop: Header=BB327_10 Depth=1
	s_or_b32 exec_lo, exec_lo, s41
.LBB327_257:                            ;   in Loop: Header=BB327_10 Depth=1
	s_delay_alu instid0(SALU_CYCLE_1)
	s_or_b32 exec_lo, exec_lo, s40
.LBB327_258:                            ;   in Loop: Header=BB327_10 Depth=1
	s_delay_alu instid0(SALU_CYCLE_1)
	s_or_b32 exec_lo, exec_lo, s3
	v_mov_b32_e32 v3, 0
	s_mov_b32 s3, exec_lo
	v_cmpx_lt_u32_e32 0xffffff, v54
	s_cbranch_execz .LBB327_266
; %bb.259:                              ;   in Loop: Header=BB327_10 Depth=1
	v_lshrrev_b32_e32 v54, 24, v54
	v_bfrev_b32_e32 v3, 1
	s_mov_b32 s40, exec_lo
	s_delay_alu instid0(VALU_DEP_2)
	v_cmpx_ne_u32_e32 0x80, v54
	s_cbranch_execz .LBB327_265
; %bb.260:                              ;   in Loop: Header=BB327_10 Depth=1
	v_and_b32_e32 v56, 0x7f, v54
	v_mov_b32_e32 v3, 0x7fc02000
	s_mov_b32 s41, exec_lo
	s_delay_alu instid0(VALU_DEP_2)
	v_cmpx_ne_u32_e32 0x7f, v56
	s_cbranch_execz .LBB327_264
; %bb.261:                              ;   in Loop: Header=BB327_10 Depth=1
	v_and_b32_e32 v3, 7, v54
	v_lshrrev_b32_e32 v55, 3, v56
	s_mov_b32 s42, exec_lo
	v_cmpx_gt_u32_e32 8, v56
; %bb.262:                              ;   in Loop: Header=BB327_10 Depth=1
	s_delay_alu instid0(VALU_DEP_3) | instskip(NEXT) | instid1(VALU_DEP_1)
	v_clz_i32_u32_e32 v55, v3
	v_min_u32_e32 v55, 32, v55
	s_delay_alu instid0(VALU_DEP_1) | instskip(SKIP_1) | instid1(VALU_DEP_2)
	v_subrev_nc_u32_e32 v56, 28, v55
	v_sub_nc_u32_e32 v55, 29, v55
	v_lshlrev_b64 v[56:57], v56, v[3:4]
	s_delay_alu instid0(VALU_DEP_1)
	v_and_b32_e32 v3, 7, v56
; %bb.263:                              ;   in Loop: Header=BB327_10 Depth=1
	s_or_b32 exec_lo, exec_lo, s42
	v_lshlrev_b32_e32 v54, 8, v54
	v_lshl_add_u32 v55, v55, 10, 0x2000
	s_delay_alu instid0(VALU_DEP_1) | instskip(NEXT) | instid1(VALU_DEP_1)
	v_and_or_b32 v54, 0x8000, v54, v55
	v_lshl_or_b32 v3, v3, 7, v54
	s_delay_alu instid0(VALU_DEP_1)
	v_cvt_f32_f16_e32 v3, v3
.LBB327_264:                            ;   in Loop: Header=BB327_10 Depth=1
	s_or_b32 exec_lo, exec_lo, s41
.LBB327_265:                            ;   in Loop: Header=BB327_10 Depth=1
	s_delay_alu instid0(SALU_CYCLE_1)
	s_or_b32 exec_lo, exec_lo, s40
.LBB327_266:                            ;   in Loop: Header=BB327_10 Depth=1
	s_delay_alu instid0(SALU_CYCLE_1)
	s_or_b32 exec_lo, exec_lo, s3
	ds_load_b64 v[54:55], v20
	v_fma_mixlo_f16 v25, v24, v25, 0
	v_fma_mixlo_f16 v27, v24, v27, 0
	;; [unrolled: 1-line block ×5, first 2 shown]
	v_and_b32_e32 v25, 0xffff, v25
	v_and_b32_e32 v27, 0xffff, v27
	;; [unrolled: 1-line block ×3, first 2 shown]
	v_fma_mixlo_f16 v31, v24, v31, 0
	v_fma_mixlo_f16 v30, v24, v30, 0
	;; [unrolled: 1-line block ×5, first 2 shown]
	v_and_b32_e32 v31, 0xffff, v31
	v_fma_mixlo_f16 v34, v24, v34, 0
	v_fma_mixlo_f16 v37, v24, v37, 0
	v_and_b32_e32 v32, 0xffff, v32
	v_fma_mixlo_f16 v36, v24, v36, 0
	v_fma_mixlo_f16 v39, v24, v39, 0
	s_waitcnt lgkmcnt(0)
	v_and_b32_e32 v56, 0xffff, v54
	v_lshrrev_b32_e32 v54, 16, v54
	v_lshrrev_b32_e32 v57, 16, v55
	v_and_b32_e32 v55, 0xffff, v55
	;;#ASMSTART
	v_cvt_f32_f16 v56, v56;
	;;#ASMEND
	;;#ASMSTART
	v_cvt_f32_f16 v54, v54;
	;;#ASMEND
	;; [unrolled: 3-line block ×3, first 2 shown]
	v_and_b32_e32 v29, 0xffff, v29
	;;#ASMSTART
	v_cvt_f32_f16 v27, v27;
	;;#ASMEND
	;;#ASMSTART
	v_cvt_f32_f16 v55, v55;
	;;#ASMEND
	;; [unrolled: 3-line block ×5, first 2 shown]
	ds_load_b64 v[25:26], v20 offset:8
	v_and_b32_e32 v28, 0xffff, v28
	v_and_b32_e32 v30, 0xffff, v30
	;; [unrolled: 1-line block ×3, first 2 shown]
	v_fma_mixlo_f16 v38, v24, v38, 0
	v_fma_mixlo_f16 v41, v24, v41, 0
	v_and_b32_e32 v36, 0xffff, v36
	v_fma_mixlo_f16 v40, v24, v40, 0
	v_fma_mixlo_f16 v43, v24, v43, 0
	v_and_b32_e32 v38, 0xffff, v38
	;; [unrolled: 3-line block ×5, first 2 shown]
	v_fma_mixlo_f16 v51, v24, v51, 0
	s_waitcnt lgkmcnt(0)
	v_and_b32_e32 v60, 0xffff, v25
	v_lshrrev_b32_e32 v61, 16, v26
	v_lshrrev_b32_e32 v25, 16, v25
	v_and_b32_e32 v26, 0xffff, v26
	;;#ASMSTART
	v_cvt_f32_f16 v60, v60;
	;;#ASMEND
	;;#ASMSTART
	v_cvt_f32_f16 v62, v25;
	;;#ASMEND
	;; [unrolled: 3-line block ×7, first 2 shown]
	v_dual_mul_f32 v30, v63, v30 :: v_dual_and_b32 v33, 0xffff, v33
	v_mul_f32_e32 v28, v60, v28
	v_and_b32_e32 v46, 0xffff, v46
	v_and_b32_e32 v48, 0xffff, v48
	s_delay_alu instid0(VALU_DEP_4)
	v_fmac_f32_e32 v30, v55, v59
	;;#ASMSTART
	v_cvt_f32_f16 v33, v33;
	;;#ASMEND
	ds_load_b64 v[25:26], v20 offset:16
	v_dual_fmac_f32 v28, v56, v58 :: v_dual_mul_f32 v31, v62, v31
	v_fma_mixlo_f16 v49, v24, v49, 0
	v_fma_mixlo_f16 v50, v24, v50, 0
	;; [unrolled: 1-line block ×4, first 2 shown]
	v_fmac_f32_e32 v31, v54, v27
	v_mul_f32_e32 v33, v61, v33
	v_fma_mixlo_f16 v53, v24, v53, 0
	v_fma_mixlo_f16 v52, v24, v9, 0
	;; [unrolled: 1-line block ×3, first 2 shown]
	v_and_b32_e32 v24, 0xffff, v51
	v_and_b32_e32 v27, 0xffff, v10
	v_fmac_f32_e32 v33, v57, v29
	s_delay_alu instid0(VALU_DEP_4)
	v_and_b32_e32 v3, 0xffff, v3
	s_waitcnt lgkmcnt(0)
	v_and_b32_e32 v64, 0xffff, v25
	v_lshrrev_b32_e32 v25, 16, v25
	v_lshrrev_b32_e32 v65, 16, v26
	;;#ASMSTART
	v_cvt_f32_f16 v64, v64;
	;;#ASMEND
	;;#ASMSTART
	v_cvt_f32_f16 v66, v25;
	;;#ASMEND
	;; [unrolled: 3-line block ×3, first 2 shown]
	v_dual_fmac_f32 v28, v64, v32 :: v_dual_and_b32 v35, 0xffff, v35
	v_and_b32_e32 v26, 0xffff, v26
	;;#ASMSTART
	v_cvt_f32_f16 v35, v35;
	;;#ASMEND
	;;#ASMSTART
	v_cvt_f32_f16 v67, v26;
	;;#ASMEND
	;; [unrolled: 3-line block ×4, first 2 shown]
	v_dual_fmac_f32 v30, v67, v34 :: v_dual_and_b32 v37, 0xffff, v37
	;;#ASMSTART
	v_cvt_f32_f16 v37, v37;
	;;#ASMEND
	ds_load_b64 v[25:26], v20 offset:24
	v_fmac_f32_e32 v31, v66, v35
	v_fmac_f32_e32 v33, v65, v37
	s_waitcnt lgkmcnt(0)
	v_and_b32_e32 v68, 0xffff, v25
	v_lshrrev_b32_e32 v25, 16, v25
	v_lshrrev_b32_e32 v69, 16, v26
	;;#ASMSTART
	v_cvt_f32_f16 v68, v68;
	;;#ASMEND
	;;#ASMSTART
	v_cvt_f32_f16 v70, v25;
	;;#ASMEND
	;; [unrolled: 3-line block ×3, first 2 shown]
	v_dual_fmac_f32 v28, v68, v36 :: v_dual_and_b32 v39, 0xffff, v39
	v_and_b32_e32 v26, 0xffff, v26
	;;#ASMSTART
	v_cvt_f32_f16 v39, v39;
	;;#ASMEND
	;;#ASMSTART
	v_cvt_f32_f16 v71, v26;
	;;#ASMEND
	;; [unrolled: 3-line block ×4, first 2 shown]
	v_dual_fmac_f32 v30, v71, v38 :: v_dual_and_b32 v41, 0xffff, v41
	;;#ASMSTART
	v_cvt_f32_f16 v41, v41;
	;;#ASMEND
	ds_load_b64 v[25:26], v20 offset:32
	v_fmac_f32_e32 v31, v70, v39
	v_dual_fmac_f32 v33, v69, v41 :: v_dual_and_b32 v36, 0xffff, v80
	s_waitcnt lgkmcnt(0)
	v_and_b32_e32 v72, 0xffff, v25
	v_lshrrev_b32_e32 v25, 16, v25
	v_lshrrev_b32_e32 v73, 16, v26
	;;#ASMSTART
	v_cvt_f32_f16 v72, v72;
	;;#ASMEND
	;;#ASMSTART
	v_cvt_f32_f16 v74, v25;
	;;#ASMEND
	;; [unrolled: 3-line block ×3, first 2 shown]
	v_dual_fmac_f32 v28, v72, v40 :: v_dual_and_b32 v43, 0xffff, v43
	v_and_b32_e32 v26, 0xffff, v26
	;;#ASMSTART
	v_cvt_f32_f16 v43, v43;
	;;#ASMEND
	;;#ASMSTART
	v_cvt_f32_f16 v75, v26;
	;;#ASMEND
	;;#ASMSTART
	v_cvt_f32_f16 v73, v73;
	;;#ASMEND
	;;#ASMSTART
	v_cvt_f32_f16 v42, v42;
	;;#ASMEND
	v_dual_fmac_f32 v30, v75, v42 :: v_dual_and_b32 v45, 0xffff, v45
	;;#ASMSTART
	v_cvt_f32_f16 v45, v45;
	;;#ASMEND
	ds_load_b64 v[25:26], v20 offset:40
	v_fmac_f32_e32 v31, v74, v43
	v_fmac_f32_e32 v33, v73, v45
	s_waitcnt lgkmcnt(0)
	v_and_b32_e32 v76, 0xffff, v25
	v_lshrrev_b32_e32 v25, 16, v25
	v_lshrrev_b32_e32 v77, 16, v26
	v_and_b32_e32 v26, 0xffff, v26
	;;#ASMSTART
	v_cvt_f32_f16 v76, v76;
	;;#ASMEND
	;;#ASMSTART
	v_cvt_f32_f16 v78, v25;
	;;#ASMEND
	;; [unrolled: 3-line block ×3, first 2 shown]
	v_dual_fmac_f32 v28, v76, v44 :: v_dual_and_b32 v47, 0xffff, v47
	;;#ASMSTART
	v_cvt_f32_f16 v47, v47;
	;;#ASMEND
	;;#ASMSTART
	v_cvt_f32_f16 v79, v26;
	;;#ASMEND
	;; [unrolled: 3-line block ×5, first 2 shown]
	ds_load_b64 v[25:26], v20 offset:48
	v_dual_fmac_f32 v30, v79, v46 :: v_dual_and_b32 v9, 0xffff, v49
	v_and_b32_e32 v49, 0xffff, v50
	v_dual_fmac_f32 v31, v78, v47 :: v_dual_and_b32 v50, 0xffff, v53
	s_waitcnt lgkmcnt(0)
	v_dual_fmac_f32 v33, v77, v48 :: v_dual_and_b32 v10, 0xffff, v25
	v_lshrrev_b32_e32 v25, 16, v25
	v_lshrrev_b32_e32 v29, 16, v26
	v_and_b32_e32 v26, 0xffff, v26
	;;#ASMSTART
	v_cvt_f32_f16 v32, v10;
	;;#ASMEND
	;;#ASMSTART
	v_cvt_f32_f16 v25, v25;
	;;#ASMEND
	;; [unrolled: 3-line block ×8, first 2 shown]
	ds_load_b64 v[9:10], v20 offset:56
	v_dual_fmac_f32 v28, v32, v34 :: v_dual_fmac_f32 v31, v25, v24
	v_dual_fmac_f32 v30, v26, v35 :: v_dual_fmac_f32 v33, v29, v49
	s_waitcnt lgkmcnt(0)
	v_and_b32_e32 v24, 0xffff, v9
	v_lshrrev_b32_e32 v9, 16, v9
	v_lshrrev_b32_e32 v25, 16, v10
	v_and_b32_e32 v10, 0xffff, v10
	;;#ASMSTART
	v_cvt_f32_f16 v24, v24;
	;;#ASMEND
	;;#ASMSTART
	v_cvt_f32_f16 v9, v9;
	;;#ASMEND
	;; [unrolled: 3-line block ×3, first 2 shown]
	v_dual_fmac_f32 v28, v24, v26 :: v_dual_and_b32 v37, 0xffff, v52
	;;#ASMSTART
	v_cvt_f32_f16 v27, v36;
	;;#ASMEND
	v_fmac_f32_e32 v31, v9, v27
	;;#ASMSTART
	v_cvt_f32_f16 v9, v10;
	;;#ASMEND
	;;#ASMSTART
	v_cvt_f32_f16 v10, v25;
	;;#ASMEND
	;; [unrolled: 3-line block ×3, first 2 shown]
	v_fmac_f32_e32 v30, v9, v24
	v_xor_b32_e32 v24, 1, v18
	v_add_f32_e32 v9, v28, v31
	;;#ASMSTART
	v_cvt_f32_f16 v3, v3;
	;;#ASMEND
	v_fmac_f32_e32 v33, v10, v3
	s_delay_alu instid0(VALU_DEP_3) | instskip(NEXT) | instid1(VALU_DEP_3)
	v_cmp_gt_i32_e64 s1, 32, v24
	v_add_f32_e32 v3, v9, v30
	s_delay_alu instid0(VALU_DEP_2) | instskip(NEXT) | instid1(VALU_DEP_2)
	v_cndmask_b32_e64 v9, v18, v24, s1
	v_add_f32_e32 v3, v33, v3
	s_delay_alu instid0(VALU_DEP_2)
	v_lshlrev_b32_e32 v9, 2, v9
	ds_bpermute_b32 v9, v9, v3
	s_and_saveexec_b32 s3, vcc_lo
	s_cbranch_execz .LBB327_9
; %bb.267:                              ;   in Loop: Header=BB327_10 Depth=1
	s_waitcnt lgkmcnt(0)
	v_add_f32_e32 v3, v3, v9
	v_add_nc_u32_e32 v10, s37, v21
	v_cmp_gt_i32_e64 s1, s15, v21
	s_delay_alu instid0(VALU_DEP_2) | instskip(NEXT) | instid1(VALU_DEP_1)
	v_cvt_f32_i32_e32 v10, v10
	v_mul_f32_e32 v10, s34, v10
	s_delay_alu instid0(VALU_DEP_1) | instskip(NEXT) | instid1(VALU_DEP_1)
	v_cndmask_b32_e64 v9, 0, v10, s0
	v_dual_max_f32 v10, v16, v16 :: v_dual_fmac_f32 v9, s35, v3
	s_delay_alu instid0(VALU_DEP_1) | instskip(SKIP_1) | instid1(VALU_DEP_2)
	v_max_f32_e32 v3, v10, v9
	v_cndmask_b32_e64 v9, 0, v9, s1
	v_cndmask_b32_e64 v16, v16, v3, s1
	ds_store_b32 v22, v9
	s_branch .LBB327_9
.LBB327_268:
	s_or_b32 exec_lo, exec_lo, s38
.LBB327_269:
	s_delay_alu instid0(SALU_CYCLE_1)
	s_or_b32 exec_lo, exec_lo, s36
	v_xor_b32_e32 v3, 16, v18
	v_xor_b32_e32 v4, 8, v18
	v_max_f32_e32 v7, v16, v16
	s_waitcnt lgkmcnt(0)
	v_lshlrev_b32_e32 v9, 2, v14
	v_cmp_lt_i32_e32 vcc_lo, v3, v17
	v_cndmask_b32_e32 v3, v18, v3, vcc_lo
	v_cmp_lt_i32_e32 vcc_lo, v4, v17
	v_cndmask_b32_e32 v4, v18, v4, vcc_lo
	s_delay_alu instid0(VALU_DEP_1) | instskip(NEXT) | instid1(VALU_DEP_4)
	v_lshlrev_b32_e32 v6, 2, v4
	v_lshlrev_b32_e32 v5, 2, v3
	ds_bpermute_b32 v3, v5, v16
	s_waitcnt lgkmcnt(0)
	v_dual_max_f32 v3, v3, v3 :: v_dual_and_b32 v16, 31, v0
	s_delay_alu instid0(VALU_DEP_1)
	v_max_f32_e32 v3, v7, v3
	v_xor_b32_e32 v7, 4, v18
	ds_bpermute_b32 v4, v6, v3
	v_cmp_lt_i32_e32 vcc_lo, v7, v17
	s_waitcnt lgkmcnt(0)
	v_dual_cndmask_b32 v7, v18, v7 :: v_dual_max_f32 v4, v4, v4
	s_delay_alu instid0(VALU_DEP_1) | instskip(SKIP_1) | instid1(VALU_DEP_3)
	v_lshlrev_b32_e32 v8, 2, v7
	v_xor_b32_e32 v7, 2, v18
	v_max_f32_e32 v3, v3, v4
	s_delay_alu instid0(VALU_DEP_2)
	v_cmp_lt_i32_e32 vcc_lo, v7, v17
	ds_bpermute_b32 v4, v8, v3
	v_cndmask_b32_e32 v7, v18, v7, vcc_lo
	v_cmp_eq_u32_e32 vcc_lo, 0, v16
	s_waitcnt lgkmcnt(0)
	v_max_f32_e32 v4, v4, v4
	s_delay_alu instid0(VALU_DEP_1)
	v_dual_max_f32 v3, v3, v4 :: v_dual_lshlrev_b32 v4, 2, v7
	ds_bpermute_b32 v7, v4, v3
	s_and_saveexec_b32 s0, vcc_lo
	s_cbranch_execz .LBB327_271
; %bb.270:
	s_waitcnt lgkmcnt(0)
	v_max_f32_e32 v7, v7, v7
	v_max_f32_e32 v3, v3, v3
	s_delay_alu instid0(VALU_DEP_1)
	v_max_f32_e32 v3, v3, v7
	ds_store_b32 v9, v3 offset:128
.LBB327_271:
	s_or_b32 exec_lo, exec_lo, s0
	v_cmp_gt_u32_e64 s0, 4, v16
	v_dual_mov_b32 v3, 0xff7fffff :: v_dual_lshlrev_b32 v10, 2, v16
	s_waitcnt lgkmcnt(0)
	s_barrier
	buffer_gl0_inv
	s_and_saveexec_b32 s1, s0
	s_cbranch_execz .LBB327_273
; %bb.272:
	ds_load_b32 v3, v10 offset:128
.LBB327_273:
	s_or_b32 exec_lo, exec_lo, s1
	s_waitcnt lgkmcnt(0)
	ds_bpermute_b32 v7, v4, v3
	v_xor_b32_e32 v19, 1, v18
	v_max_f32_e32 v3, v3, v3
	s_delay_alu instid0(VALU_DEP_2) | instskip(NEXT) | instid1(VALU_DEP_1)
	v_cmp_lt_i32_e64 s1, v19, v17
	v_cndmask_b32_e64 v17, v18, v19, s1
	v_lshlrev_b32_e32 v18, 2, v18
	s_sub_i32 s1, s11, s25
	v_mov_b32_e32 v19, 0
	s_lshl_b32 s1, s1, 4
	v_lshlrev_b32_e32 v17, 2, v17
	s_add_i32 s1, s1, s33
	v_and_b32_e32 v18, 0xffffff80, v18
	s_min_i32 s1, s1, s15
	s_waitcnt lgkmcnt(0)
	v_max_f32_e32 v7, v7, v7
	s_sub_i32 s4, s1, s33
	s_delay_alu instid0(SALU_CYCLE_1) | instskip(NEXT) | instid1(VALU_DEP_2)
	v_cmp_gt_i32_e64 s1, s4, v0
	v_max_f32_e32 v3, v3, v7
	ds_bpermute_b32 v7, v17, v3
	s_waitcnt lgkmcnt(0)
	v_max_f32_e32 v7, v7, v7
	s_delay_alu instid0(VALU_DEP_1)
	v_max_f32_e32 v3, v3, v7
	v_lshl_add_u32 v7, v0, 2, 0xa0
	ds_bpermute_b32 v3, v18, v3
	s_and_saveexec_b32 s5, s1
	s_cbranch_execz .LBB327_277
; %bb.274:
	v_lshl_add_u32 v20, v0, 2, 0xa0
	v_mov_b32_e32 v19, 0
	v_mov_b32_e32 v21, v0
	s_mov_b32 s25, 0
	.p2align	6
.LBB327_275:                            ; =>This Inner Loop Header: Depth=1
	ds_load_b32 v22, v20
	v_add_nc_u32_e32 v21, 0x80, v21
	s_delay_alu instid0(VALU_DEP_1) | instskip(NEXT) | instid1(VALU_DEP_1)
	v_cmp_le_i32_e64 s3, s4, v21
	s_or_b32 s25, s3, s25
	s_waitcnt lgkmcnt(0)
	v_sub_f32_e32 v22, v22, v3
	s_delay_alu instid0(VALU_DEP_1) | instskip(NEXT) | instid1(VALU_DEP_1)
	v_mul_f32_e32 v22, 0x3fb8aa3b, v22
	v_exp_f32_e32 v22, v22
	ds_store_b32 v20, v22
	v_dual_add_f32 v19, v19, v22 :: v_dual_add_nc_u32 v20, 0x200, v20
	s_and_not1_b32 exec_lo, exec_lo, s25
	s_cbranch_execnz .LBB327_275
; %bb.276:
	s_or_b32 exec_lo, exec_lo, s25
.LBB327_277:
	s_delay_alu instid0(SALU_CYCLE_1)
	s_or_b32 exec_lo, exec_lo, s5
	ds_bpermute_b32 v5, v5, v19
	s_waitcnt lgkmcnt(0)
	v_add_f32_e32 v5, v19, v5
	ds_bpermute_b32 v6, v6, v5
	s_waitcnt lgkmcnt(0)
	v_add_f32_e32 v5, v5, v6
	;; [unrolled: 3-line block ×5, first 2 shown]
	s_and_saveexec_b32 s3, vcc_lo
	s_cbranch_execz .LBB327_279
; %bb.278:
	ds_store_b32 v9, v5 offset:144
.LBB327_279:
	s_or_b32 exec_lo, exec_lo, s3
	s_waitcnt lgkmcnt(0)
	s_barrier
	buffer_gl0_inv
	s_and_saveexec_b32 s3, s0
	s_cbranch_execz .LBB327_281
; %bb.280:
	ds_load_b32 v5, v10 offset:144
.LBB327_281:
	s_or_b32 exec_lo, exec_lo, s3
	s_waitcnt lgkmcnt(0)
	ds_bpermute_b32 v4, v4, v5
	s_waitcnt lgkmcnt(0)
	v_add_f32_e32 v4, v5, v4
	ds_bpermute_b32 v5, v17, v4
	s_waitcnt lgkmcnt(0)
	v_add_f32_e32 v4, v4, v5
	ds_bpermute_b32 v4, v18, v4
	s_and_saveexec_b32 s0, s1
	s_cbranch_execz .LBB327_284
; %bb.282:
	s_waitcnt lgkmcnt(0)
	v_add_f32_e32 v5, 0x358637bd, v4
	s_mov_b32 s1, 0
	s_delay_alu instid0(VALU_DEP_1) | instskip(SKIP_1) | instid1(VALU_DEP_2)
	v_div_scale_f32 v6, null, v5, v5, 1.0
	v_div_scale_f32 v10, vcc_lo, 1.0, v5, 1.0
	v_rcp_f32_e32 v8, v6
	s_waitcnt_depctr 0xfff
	v_fma_f32 v9, -v6, v8, 1.0
	s_delay_alu instid0(VALU_DEP_1) | instskip(NEXT) | instid1(VALU_DEP_1)
	v_fmac_f32_e32 v8, v9, v8
	v_mul_f32_e32 v9, v10, v8
	s_delay_alu instid0(VALU_DEP_1) | instskip(NEXT) | instid1(VALU_DEP_1)
	v_fma_f32 v18, -v6, v9, v10
	v_fmac_f32_e32 v9, v18, v8
	s_delay_alu instid0(VALU_DEP_1) | instskip(NEXT) | instid1(VALU_DEP_1)
	v_fma_f32 v6, -v6, v9, v10
	v_div_fmas_f32 v6, v6, v8, v9
	s_delay_alu instid0(VALU_DEP_1)
	v_div_fixup_f32 v5, v6, v5, 1.0
	v_mov_b32_e32 v6, v0
.LBB327_283:                            ; =>This Inner Loop Header: Depth=1
	ds_load_b32 v8, v7
	v_add_nc_u32_e32 v6, 0x80, v6
	s_delay_alu instid0(VALU_DEP_1)
	v_cmp_le_i32_e32 vcc_lo, s4, v6
	s_or_b32 s1, vcc_lo, s1
	s_waitcnt lgkmcnt(0)
	v_mul_f32_e32 v8, v5, v8
	ds_store_b32 v7, v8
	v_add_nc_u32_e32 v7, 0x200, v7
	s_and_not1_b32 exec_lo, exec_lo, s1
	s_cbranch_execnz .LBB327_283
.LBB327_284:
	s_or_b32 exec_lo, exec_lo, s0
	s_mul_i32 s0, s8, s14
	s_waitcnt lgkmcnt(0)
	s_mul_i32 s4, s0, s13
	s_mov_b32 s0, exec_lo
	s_barrier
	buffer_gl0_inv
	v_cmpx_eq_u32_e32 0, v0
	s_cbranch_execz .LBB327_286
; %bb.285:
	s_ashr_i32 s5, s4, 31
	s_mul_i32 s24, s8, s24
	s_lshl_b64 s[34:35], s[4:5], 2
	v_mov_b32_e32 v5, 0
	s_add_u32 s1, s18, s34
	s_addc_u32 s3, s19, s35
	s_ashr_i32 s25, s24, 31
	s_delay_alu instid0(SALU_CYCLE_1) | instskip(NEXT) | instid1(SALU_CYCLE_1)
	s_lshl_b64 s[18:19], s[24:25], 2
	s_add_u32 s1, s1, s18
	s_addc_u32 s3, s3, s19
	s_ashr_i32 s13, s12, 31
	s_delay_alu instid0(SALU_CYCLE_1) | instskip(NEXT) | instid1(SALU_CYCLE_1)
	s_lshl_b64 s[24:25], s[12:13], 2
	s_add_u32 s36, s1, s24
	s_addc_u32 s37, s3, s25
	s_add_u32 s1, s16, s34
	s_addc_u32 s3, s17, s35
	;; [unrolled: 2-line block ×4, first 2 shown]
	s_clause 0x1
	global_store_b32 v5, v3, s[36:37]
	global_store_b32 v5, v4, s[16:17]
.LBB327_286:
	s_or_b32 exec_lo, exec_lo, s0
	v_dual_mov_b32 v19, 0 :: v_dual_mov_b32 v20, 0
	v_dual_mov_b32 v21, 0 :: v_dual_mov_b32 v18, 0
	s_mov_b32 s5, 0
	s_and_saveexec_b32 s1, s2
	s_cbranch_execz .LBB327_538
; %bb.287:
	v_dual_mov_b32 v3, 0 :: v_dual_and_b32 v6, 8, v11
	v_dual_mov_b32 v21, 0 :: v_dual_lshlrev_b32 v4, 5, v13
	v_dual_mov_b32 v18, 0 :: v_dual_and_b32 v5, 0xf8, v11
	s_ashr_i32 s0, s10, 31
	s_add_u32 s10, s30, s10
	v_add3_u32 v15, s33, v15, v6
	v_lshlrev_b64 v[6:7], 2, v[1:2]
	s_addc_u32 s0, s31, s0
	v_lshl_or_b32 v8, v14, 6, v4
	v_add_co_u32 v4, s10, s10, v5
	s_lshl_b64 s[16:17], s[28:29], 2
	s_add_i32 s21, s21, -1
	v_add_co_ci_u32_e64 v5, null, s0, 0, s10
	s_add_u32 s0, s26, s16
	s_addc_u32 s10, s27, s17
	v_add_co_u32 v6, vcc_lo, s0, v6
	v_dual_mov_b32 v19, 0 :: v_dual_add_nc_u32 v22, 0xa0, v8
	v_add_co_ci_u32_e32 v7, vcc_lo, s10, v7, vcc_lo
	v_mov_b32_e32 v20, 0
	s_mov_b32 s2, -1
	s_mov_b32 s3, 0xffffff
	s_mov_b32 s10, s15
	s_branch .LBB327_289
.LBB327_288:                            ;   in Loop: Header=BB327_289 Depth=1
	s_or_b32 exec_lo, exec_lo, s0
	;;#ASMSTART
	v_pk_mul_f16 v23, v33, v39;

	;;#ASMEND
	;;#ASMSTART
	v_pk_mul_f16 v9, v32, v9;

	;;#ASMEND
	;; [unrolled: 4-line block ×4, first 2 shown]
	;;#ASMSTART
	v_pk_add_f16 v9, v23, v9;

	;;#ASMEND
	;;#ASMSTART
	v_pk_add_f16 v2, v9, v2;

	;;#ASMEND
	;; [unrolled: 4-line block ×3, first 2 shown]
	v_dual_add_f32 v9, v34, v35 :: v_dual_and_b32 v8, 0xffff, v2
	v_lshrrev_b32_e32 v2, 16, v2
	v_dual_add_f32 v23, v36, v37 :: v_dual_add_f32 v10, v10, v11
	v_add_nc_u32_e32 v1, 4, v1
	;;#ASMSTART
	v_cvt_f32_f16 v8, v8;
	;;#ASMEND
	;;#ASMSTART
	v_cvt_f32_f16 v2, v2;
	;;#ASMEND
	s_delay_alu instid0(VALU_DEP_2) | instskip(SKIP_3) | instid1(VALU_DEP_4)
	v_dual_add_f32 v2, v8, v2 :: v_dual_add_f32 v21, v21, v23
	v_add_f32_e32 v20, v20, v10
	v_cmp_le_i32_e32 vcc_lo, s11, v1
	v_add_co_u32 v6, s0, v6, 16
	v_dual_add_f32 v18, v18, v9 :: v_dual_add_f32 v19, v19, v2
	v_add_nc_u32_e32 v15, 64, v15
	v_add_nc_u32_e32 v22, 0x100, v22
	v_add_co_ci_u32_e64 v7, s0, 0, v7, s0
	s_or_b32 s5, vcc_lo, s5
	s_delay_alu instid0(SALU_CYCLE_1)
	s_and_not1_b32 exec_lo, exec_lo, s5
	s_cbranch_execz .LBB327_537
.LBB327_289:                            ; =>This Inner Loop Header: Depth=1
	global_load_b32 v2, v[6:7], off
	ds_load_2addr_b64 v[23:26], v22 offset1:1
	ds_load_2addr_b64 v[36:39], v22 offset0:2 offset1:3
	s_mov_b32 s0, exec_lo
	s_waitcnt lgkmcnt(1)
	;;#ASMSTART
	v_cvt_f16_f32 v30, v23;

	;;#ASMEND
	;;#ASMSTART
	v_cvt_f16_f32 v31, v24;

	;;#ASMEND
	;; [unrolled: 4-line block ×4, first 2 shown]
	s_waitcnt lgkmcnt(0)
	;;#ASMSTART
	v_cvt_f16_f32 v36, v36;

	;;#ASMEND
	;;#ASMSTART
	v_cvt_f16_f32 v34, v37;

	;;#ASMEND
	;; [unrolled: 4-line block ×4, first 2 shown]
	v_mov_b32_e32 v24, 0
	s_waitcnt vmcnt(0)
	v_mad_i64_i32 v[8:9], null, v2, s9, v[4:5]
	global_load_b64 v[10:11], v[8:9], off
	global_load_b32 v23, v3, s[6:7]
	s_waitcnt vmcnt(1)
	v_and_b32_e32 v2, 0xff, v10
	s_delay_alu instid0(VALU_DEP_1)
	v_cmpx_ne_u16_e32 0, v2
	s_cbranch_execz .LBB327_295
; %bb.290:                              ;   in Loop: Header=BB327_289 Depth=1
	v_bfrev_b32_e32 v24, 1
	s_mov_b32 s13, exec_lo
	v_cmpx_ne_u16_e32 0x80, v2
	s_cbranch_execz .LBB327_294
; %bb.291:                              ;   in Loop: Header=BB327_289 Depth=1
	v_and_b32_e32 v2, 0x7f, v10
	v_mov_b32_e32 v24, 0x7fc02000
	s_mov_b32 s14, exec_lo
	s_delay_alu instid0(VALU_DEP_2)
	v_cmpx_ne_u32_e32 0x7f, v2
	s_cbranch_execz .LBB327_293
; %bb.292:                              ;   in Loop: Header=BB327_289 Depth=1
	v_and_b32_e32 v24, 7, v10
	v_cmp_gt_u32_e32 vcc_lo, 8, v2
	v_lshrrev_b32_e32 v25, 3, v2
	s_delay_alu instid0(VALU_DEP_3) | instskip(NEXT) | instid1(VALU_DEP_1)
	v_clz_i32_u32_e32 v24, v24
	v_min_u32_e32 v24, 32, v24
	s_delay_alu instid0(VALU_DEP_1) | instskip(SKIP_1) | instid1(VALU_DEP_2)
	v_subrev_nc_u32_e32 v26, 28, v24
	v_sub_nc_u32_e32 v24, 29, v24
	v_cndmask_b32_e32 v2, 0, v26, vcc_lo
	s_delay_alu instid0(VALU_DEP_2) | instskip(NEXT) | instid1(VALU_DEP_2)
	v_cndmask_b32_e32 v26, v25, v24, vcc_lo
	v_lshlrev_b64 v[24:25], v2, v[10:11]
	v_lshlrev_b32_e32 v2, 8, v10
	s_delay_alu instid0(VALU_DEP_3) | instskip(NEXT) | instid1(VALU_DEP_3)
	v_lshl_add_u32 v25, v26, 10, 0x2000
	v_lshlrev_b32_e32 v24, 7, v24
	s_delay_alu instid0(VALU_DEP_2) | instskip(NEXT) | instid1(VALU_DEP_1)
	v_and_or_b32 v2, 0x8000, v2, v25
	v_and_or_b32 v2, 0x380, v24, v2
	s_delay_alu instid0(VALU_DEP_1)
	v_cvt_f32_f16_e32 v24, v2
.LBB327_293:                            ;   in Loop: Header=BB327_289 Depth=1
	s_or_b32 exec_lo, exec_lo, s14
.LBB327_294:                            ;   in Loop: Header=BB327_289 Depth=1
	s_delay_alu instid0(SALU_CYCLE_1)
	s_or_b32 exec_lo, exec_lo, s13
.LBB327_295:                            ;   in Loop: Header=BB327_289 Depth=1
	s_delay_alu instid0(SALU_CYCLE_1) | instskip(SKIP_3) | instid1(VALU_DEP_2)
	s_or_b32 exec_lo, exec_lo, s0
	v_lshrrev_b16 v2, 8, v10
	v_dual_mov_b32 v26, 0 :: v_dual_mov_b32 v25, 0
	s_mov_b32 s0, exec_lo
	v_cmpx_ne_u16_e32 0, v2
	s_cbranch_execz .LBB327_303
; %bb.296:                              ;   in Loop: Header=BB327_289 Depth=1
	v_bfrev_b32_e32 v25, 1
	s_mov_b32 s13, exec_lo
	v_cmpx_ne_u16_e32 0x80, v2
	s_cbranch_execz .LBB327_302
; %bb.297:                              ;   in Loop: Header=BB327_289 Depth=1
	v_and_b32_e32 v27, 0xffff, v2
	v_mov_b32_e32 v25, 0x7fc02000
	s_mov_b32 s14, exec_lo
	s_delay_alu instid0(VALU_DEP_2) | instskip(NEXT) | instid1(VALU_DEP_1)
	v_and_b32_e32 v28, 0x7f, v27
	v_cmpx_ne_u32_e32 0x7f, v28
	s_cbranch_execz .LBB327_301
; %bb.298:                              ;   in Loop: Header=BB327_289 Depth=1
	v_and_b32_e32 v2, 7, v27
	v_lshrrev_b32_e32 v25, 3, v28
	s_mov_b32 s16, exec_lo
	v_cmpx_gt_u32_e32 8, v28
; %bb.299:                              ;   in Loop: Header=BB327_289 Depth=1
	s_delay_alu instid0(VALU_DEP_3) | instskip(NEXT) | instid1(VALU_DEP_1)
	v_clz_i32_u32_e32 v25, v2
	v_min_u32_e32 v25, 32, v25
	s_delay_alu instid0(VALU_DEP_1) | instskip(SKIP_1) | instid1(VALU_DEP_2)
	v_subrev_nc_u32_e32 v28, 28, v25
	v_sub_nc_u32_e32 v25, 29, v25
	v_lshlrev_b64 v[28:29], v28, v[2:3]
	s_delay_alu instid0(VALU_DEP_1)
	v_and_b32_e32 v2, 7, v28
; %bb.300:                              ;   in Loop: Header=BB327_289 Depth=1
	s_or_b32 exec_lo, exec_lo, s16
	v_lshlrev_b32_e32 v27, 8, v27
	v_lshl_add_u32 v25, v25, 10, 0x2000
	s_delay_alu instid0(VALU_DEP_1) | instskip(NEXT) | instid1(VALU_DEP_1)
	v_and_or_b32 v25, 0x8000, v27, v25
	v_lshl_or_b32 v2, v2, 7, v25
	s_delay_alu instid0(VALU_DEP_1)
	v_cvt_f32_f16_e32 v25, v2
.LBB327_301:                            ;   in Loop: Header=BB327_289 Depth=1
	s_or_b32 exec_lo, exec_lo, s14
.LBB327_302:                            ;   in Loop: Header=BB327_289 Depth=1
	s_delay_alu instid0(SALU_CYCLE_1)
	s_or_b32 exec_lo, exec_lo, s13
.LBB327_303:                            ;   in Loop: Header=BB327_289 Depth=1
	s_delay_alu instid0(SALU_CYCLE_1) | instskip(SKIP_2) | instid1(VALU_DEP_1)
	s_or_b32 exec_lo, exec_lo, s0
	v_lshrrev_b32_e32 v27, 16, v10
	s_mov_b32 s0, exec_lo
	v_and_b32_e32 v2, 0xff, v27
	s_delay_alu instid0(VALU_DEP_1)
	v_cmpx_ne_u16_e32 0, v2
	s_cbranch_execz .LBB327_311
; %bb.304:                              ;   in Loop: Header=BB327_289 Depth=1
	v_bfrev_b32_e32 v26, 1
	s_mov_b32 s13, exec_lo
	v_cmpx_ne_u16_e32 0x80, v2
	s_cbranch_execz .LBB327_310
; %bb.305:                              ;   in Loop: Header=BB327_289 Depth=1
	v_bfe_u32 v28, v10, 16, 7
	v_mov_b32_e32 v26, 0x7fc02000
	s_mov_b32 s14, exec_lo
	s_delay_alu instid0(VALU_DEP_2)
	v_cmpx_ne_u32_e32 0x7f, v28
	s_cbranch_execz .LBB327_309
; %bb.306:                              ;   in Loop: Header=BB327_289 Depth=1
	v_and_b32_e32 v2, 7, v27
	v_lshrrev_b32_e32 v26, 3, v28
	s_mov_b32 s16, exec_lo
	v_cmpx_gt_u32_e32 8, v28
; %bb.307:                              ;   in Loop: Header=BB327_289 Depth=1
	s_delay_alu instid0(VALU_DEP_3) | instskip(NEXT) | instid1(VALU_DEP_1)
	v_clz_i32_u32_e32 v26, v2
	v_min_u32_e32 v26, 32, v26
	s_delay_alu instid0(VALU_DEP_1) | instskip(SKIP_1) | instid1(VALU_DEP_2)
	v_subrev_nc_u32_e32 v28, 28, v26
	v_sub_nc_u32_e32 v26, 29, v26
	v_lshlrev_b64 v[28:29], v28, v[2:3]
	s_delay_alu instid0(VALU_DEP_1)
	v_and_b32_e32 v2, 7, v28
; %bb.308:                              ;   in Loop: Header=BB327_289 Depth=1
	s_or_b32 exec_lo, exec_lo, s16
	v_lshlrev_b32_e32 v27, 8, v27
	v_lshl_add_u32 v26, v26, 10, 0x2000
	s_delay_alu instid0(VALU_DEP_1) | instskip(NEXT) | instid1(VALU_DEP_1)
	v_and_or_b32 v26, 0x8000, v27, v26
	v_lshl_or_b32 v2, v2, 7, v26
	s_delay_alu instid0(VALU_DEP_1)
	v_cvt_f32_f16_e32 v26, v2
.LBB327_309:                            ;   in Loop: Header=BB327_289 Depth=1
	s_or_b32 exec_lo, exec_lo, s14
.LBB327_310:                            ;   in Loop: Header=BB327_289 Depth=1
	s_delay_alu instid0(SALU_CYCLE_1)
	s_or_b32 exec_lo, exec_lo, s13
.LBB327_311:                            ;   in Loop: Header=BB327_289 Depth=1
	s_delay_alu instid0(SALU_CYCLE_1)
	s_or_b32 exec_lo, exec_lo, s0
	v_dual_mov_b32 v27, 0 :: v_dual_mov_b32 v28, 0
	s_mov_b32 s0, exec_lo
	v_cmpx_lt_u32_e32 0xffffff, v10
	s_cbranch_execz .LBB327_319
; %bb.312:                              ;   in Loop: Header=BB327_289 Depth=1
	v_lshrrev_b32_e32 v29, 24, v10
	v_bfrev_b32_e32 v28, 1
	s_mov_b32 s13, exec_lo
	s_delay_alu instid0(VALU_DEP_2)
	v_cmpx_ne_u32_e32 0x80, v29
	s_cbranch_execz .LBB327_318
; %bb.313:                              ;   in Loop: Header=BB327_289 Depth=1
	v_and_b32_e32 v38, 0x7f, v29
	v_mov_b32_e32 v28, 0x7fc02000
	s_mov_b32 s14, exec_lo
	s_delay_alu instid0(VALU_DEP_2)
	v_cmpx_ne_u32_e32 0x7f, v38
	s_cbranch_execz .LBB327_317
; %bb.314:                              ;   in Loop: Header=BB327_289 Depth=1
	v_and_b32_e32 v2, 7, v29
	v_lshrrev_b32_e32 v28, 3, v38
	s_mov_b32 s16, exec_lo
	v_cmpx_gt_u32_e32 8, v38
; %bb.315:                              ;   in Loop: Header=BB327_289 Depth=1
	s_delay_alu instid0(VALU_DEP_3) | instskip(NEXT) | instid1(VALU_DEP_1)
	v_clz_i32_u32_e32 v28, v2
	v_min_u32_e32 v28, 32, v28
	s_delay_alu instid0(VALU_DEP_1) | instskip(SKIP_1) | instid1(VALU_DEP_2)
	v_subrev_nc_u32_e32 v38, 28, v28
	v_sub_nc_u32_e32 v28, 29, v28
	v_lshlrev_b64 v[38:39], v38, v[2:3]
	s_delay_alu instid0(VALU_DEP_1)
	v_and_b32_e32 v2, 7, v38
; %bb.316:                              ;   in Loop: Header=BB327_289 Depth=1
	s_or_b32 exec_lo, exec_lo, s16
	v_lshlrev_b32_e32 v29, 8, v29
	v_lshl_add_u32 v28, v28, 10, 0x2000
	s_delay_alu instid0(VALU_DEP_1) | instskip(NEXT) | instid1(VALU_DEP_1)
	v_and_or_b32 v28, 0x8000, v29, v28
	v_lshl_or_b32 v2, v2, 7, v28
	s_delay_alu instid0(VALU_DEP_1)
	v_cvt_f32_f16_e32 v28, v2
.LBB327_317:                            ;   in Loop: Header=BB327_289 Depth=1
	s_or_b32 exec_lo, exec_lo, s14
.LBB327_318:                            ;   in Loop: Header=BB327_289 Depth=1
	s_delay_alu instid0(SALU_CYCLE_1)
	s_or_b32 exec_lo, exec_lo, s13
.LBB327_319:                            ;   in Loop: Header=BB327_289 Depth=1
	s_delay_alu instid0(SALU_CYCLE_1) | instskip(SKIP_2) | instid1(VALU_DEP_1)
	s_or_b32 exec_lo, exec_lo, s0
	v_dual_mov_b32 v2, v11 :: v_dual_and_b32 v29, 0xff, v11
	s_mov_b32 s0, exec_lo
	v_cmpx_ne_u16_e32 0, v29
	s_cbranch_execz .LBB327_325
; %bb.320:                              ;   in Loop: Header=BB327_289 Depth=1
	v_bfrev_b32_e32 v27, 1
	s_mov_b32 s13, exec_lo
	v_cmpx_ne_u16_e32 0x80, v29
	s_cbranch_execz .LBB327_324
; %bb.321:                              ;   in Loop: Header=BB327_289 Depth=1
	v_and_b32_e32 v29, 0x7f, v11
	v_mov_b32_e32 v27, 0x7fc02000
	s_mov_b32 s14, exec_lo
	s_delay_alu instid0(VALU_DEP_2)
	v_cmpx_ne_u32_e32 0x7f, v29
	s_cbranch_execz .LBB327_323
; %bb.322:                              ;   in Loop: Header=BB327_289 Depth=1
	v_and_b32_e32 v27, 7, v11
	v_cmp_gt_u32_e32 vcc_lo, 8, v29
	v_lshrrev_b32_e32 v38, 3, v29
	s_delay_alu instid0(VALU_DEP_3) | instskip(NEXT) | instid1(VALU_DEP_1)
	v_clz_i32_u32_e32 v27, v27
	v_min_u32_e32 v27, 32, v27
	s_delay_alu instid0(VALU_DEP_1) | instskip(SKIP_1) | instid1(VALU_DEP_2)
	v_subrev_nc_u32_e32 v39, 28, v27
	v_sub_nc_u32_e32 v27, 29, v27
	v_cndmask_b32_e32 v29, 0, v39, vcc_lo
	s_delay_alu instid0(VALU_DEP_2) | instskip(NEXT) | instid1(VALU_DEP_2)
	v_cndmask_b32_e32 v27, v38, v27, vcc_lo
	v_lshlrev_b64 v[38:39], v29, v[2:3]
	v_lshlrev_b32_e32 v29, 8, v11
	s_delay_alu instid0(VALU_DEP_3) | instskip(NEXT) | instid1(VALU_DEP_3)
	v_lshl_add_u32 v27, v27, 10, 0x2000
	v_lshlrev_b32_e32 v38, 7, v38
	s_delay_alu instid0(VALU_DEP_2) | instskip(NEXT) | instid1(VALU_DEP_1)
	v_and_or_b32 v27, 0x8000, v29, v27
	v_and_or_b32 v27, 0x380, v38, v27
	s_delay_alu instid0(VALU_DEP_1)
	v_cvt_f32_f16_e32 v27, v27
.LBB327_323:                            ;   in Loop: Header=BB327_289 Depth=1
	s_or_b32 exec_lo, exec_lo, s14
.LBB327_324:                            ;   in Loop: Header=BB327_289 Depth=1
	s_delay_alu instid0(SALU_CYCLE_1)
	s_or_b32 exec_lo, exec_lo, s13
.LBB327_325:                            ;   in Loop: Header=BB327_289 Depth=1
	s_delay_alu instid0(SALU_CYCLE_1) | instskip(SKIP_3) | instid1(VALU_DEP_2)
	s_or_b32 exec_lo, exec_lo, s0
	v_lshrrev_b16 v2, 8, v2
	v_dual_mov_b32 v29, 0 :: v_dual_mov_b32 v38, 0
	s_mov_b32 s0, exec_lo
	v_cmpx_ne_u16_e32 0, v2
	s_cbranch_execz .LBB327_333
; %bb.326:                              ;   in Loop: Header=BB327_289 Depth=1
	v_bfrev_b32_e32 v38, 1
	s_mov_b32 s13, exec_lo
	v_cmpx_ne_u16_e32 0x80, v2
	s_cbranch_execz .LBB327_332
; %bb.327:                              ;   in Loop: Header=BB327_289 Depth=1
	v_and_b32_e32 v39, 0xffff, v2
	v_mov_b32_e32 v38, 0x7fc02000
	s_mov_b32 s14, exec_lo
	s_delay_alu instid0(VALU_DEP_2) | instskip(NEXT) | instid1(VALU_DEP_1)
	v_and_b32_e32 v40, 0x7f, v39
	v_cmpx_ne_u32_e32 0x7f, v40
	s_cbranch_execz .LBB327_331
; %bb.328:                              ;   in Loop: Header=BB327_289 Depth=1
	v_and_b32_e32 v2, 7, v39
	v_lshrrev_b32_e32 v38, 3, v40
	s_mov_b32 s16, exec_lo
	v_cmpx_gt_u32_e32 8, v40
; %bb.329:                              ;   in Loop: Header=BB327_289 Depth=1
	s_delay_alu instid0(VALU_DEP_3) | instskip(NEXT) | instid1(VALU_DEP_1)
	v_clz_i32_u32_e32 v38, v2
	v_min_u32_e32 v38, 32, v38
	s_delay_alu instid0(VALU_DEP_1) | instskip(SKIP_1) | instid1(VALU_DEP_2)
	v_subrev_nc_u32_e32 v40, 28, v38
	v_sub_nc_u32_e32 v38, 29, v38
	v_lshlrev_b64 v[40:41], v40, v[2:3]
	s_delay_alu instid0(VALU_DEP_1)
	v_and_b32_e32 v2, 7, v40
; %bb.330:                              ;   in Loop: Header=BB327_289 Depth=1
	s_or_b32 exec_lo, exec_lo, s16
	v_lshlrev_b32_e32 v39, 8, v39
	v_lshl_add_u32 v38, v38, 10, 0x2000
	s_delay_alu instid0(VALU_DEP_1) | instskip(NEXT) | instid1(VALU_DEP_1)
	v_and_or_b32 v38, 0x8000, v39, v38
	v_lshl_or_b32 v2, v2, 7, v38
	s_delay_alu instid0(VALU_DEP_1)
	v_cvt_f32_f16_e32 v38, v2
.LBB327_331:                            ;   in Loop: Header=BB327_289 Depth=1
	s_or_b32 exec_lo, exec_lo, s14
.LBB327_332:                            ;   in Loop: Header=BB327_289 Depth=1
	s_delay_alu instid0(SALU_CYCLE_1)
	s_or_b32 exec_lo, exec_lo, s13
.LBB327_333:                            ;   in Loop: Header=BB327_289 Depth=1
	s_delay_alu instid0(SALU_CYCLE_1) | instskip(SKIP_2) | instid1(VALU_DEP_1)
	s_or_b32 exec_lo, exec_lo, s0
	v_lshrrev_b32_e32 v39, 16, v11
	s_mov_b32 s0, exec_lo
	v_and_b32_e32 v2, 0xff, v39
	s_delay_alu instid0(VALU_DEP_1)
	v_cmpx_ne_u16_e32 0, v2
	s_cbranch_execz .LBB327_341
; %bb.334:                              ;   in Loop: Header=BB327_289 Depth=1
	v_bfrev_b32_e32 v29, 1
	s_mov_b32 s13, exec_lo
	v_cmpx_ne_u16_e32 0x80, v2
	s_cbranch_execz .LBB327_340
; %bb.335:                              ;   in Loop: Header=BB327_289 Depth=1
	v_bfe_u32 v40, v11, 16, 7
	v_mov_b32_e32 v29, 0x7fc02000
	s_mov_b32 s14, exec_lo
	s_delay_alu instid0(VALU_DEP_2)
	v_cmpx_ne_u32_e32 0x7f, v40
	s_cbranch_execz .LBB327_339
; %bb.336:                              ;   in Loop: Header=BB327_289 Depth=1
	v_and_b32_e32 v2, 7, v39
	v_lshrrev_b32_e32 v29, 3, v40
	s_mov_b32 s16, exec_lo
	v_cmpx_gt_u32_e32 8, v40
; %bb.337:                              ;   in Loop: Header=BB327_289 Depth=1
	s_delay_alu instid0(VALU_DEP_3) | instskip(NEXT) | instid1(VALU_DEP_1)
	v_clz_i32_u32_e32 v29, v2
	v_min_u32_e32 v29, 32, v29
	s_delay_alu instid0(VALU_DEP_1) | instskip(SKIP_1) | instid1(VALU_DEP_2)
	v_subrev_nc_u32_e32 v40, 28, v29
	v_sub_nc_u32_e32 v29, 29, v29
	v_lshlrev_b64 v[40:41], v40, v[2:3]
	s_delay_alu instid0(VALU_DEP_1)
	v_and_b32_e32 v2, 7, v40
; %bb.338:                              ;   in Loop: Header=BB327_289 Depth=1
	s_or_b32 exec_lo, exec_lo, s16
	v_lshlrev_b32_e32 v39, 8, v39
	v_lshl_add_u32 v29, v29, 10, 0x2000
	s_delay_alu instid0(VALU_DEP_1) | instskip(NEXT) | instid1(VALU_DEP_1)
	v_and_or_b32 v29, 0x8000, v39, v29
	v_lshl_or_b32 v2, v2, 7, v29
	s_delay_alu instid0(VALU_DEP_1)
	v_cvt_f32_f16_e32 v29, v2
.LBB327_339:                            ;   in Loop: Header=BB327_289 Depth=1
	s_or_b32 exec_lo, exec_lo, s14
.LBB327_340:                            ;   in Loop: Header=BB327_289 Depth=1
	s_delay_alu instid0(SALU_CYCLE_1)
	s_or_b32 exec_lo, exec_lo, s13
.LBB327_341:                            ;   in Loop: Header=BB327_289 Depth=1
	s_delay_alu instid0(SALU_CYCLE_1)
	s_or_b32 exec_lo, exec_lo, s0
	v_mov_b32_e32 v2, 0
	s_mov_b32 s0, exec_lo
	v_cmpx_lt_u64_e64 s[2:3], v[10:11]
	s_cbranch_execz .LBB327_349
; %bb.342:                              ;   in Loop: Header=BB327_289 Depth=1
	v_lshrrev_b32_e32 v10, 24, v11
	v_bfrev_b32_e32 v2, 1
	s_mov_b32 s13, exec_lo
	s_delay_alu instid0(VALU_DEP_2)
	v_cmpx_ne_u32_e32 0x80, v10
	s_cbranch_execz .LBB327_348
; %bb.343:                              ;   in Loop: Header=BB327_289 Depth=1
	v_and_b32_e32 v39, 0x7f, v10
	v_mov_b32_e32 v2, 0x7fc02000
	s_mov_b32 s14, exec_lo
	s_delay_alu instid0(VALU_DEP_2)
	v_cmpx_ne_u32_e32 0x7f, v39
	s_cbranch_execz .LBB327_347
; %bb.344:                              ;   in Loop: Header=BB327_289 Depth=1
	v_and_b32_e32 v2, 7, v10
	v_lshrrev_b32_e32 v11, 3, v39
	s_mov_b32 s16, exec_lo
	v_cmpx_gt_u32_e32 8, v39
; %bb.345:                              ;   in Loop: Header=BB327_289 Depth=1
	s_delay_alu instid0(VALU_DEP_3) | instskip(NEXT) | instid1(VALU_DEP_1)
	v_clz_i32_u32_e32 v11, v2
	v_min_u32_e32 v11, 32, v11
	s_delay_alu instid0(VALU_DEP_1) | instskip(SKIP_1) | instid1(VALU_DEP_2)
	v_subrev_nc_u32_e32 v39, 28, v11
	v_sub_nc_u32_e32 v11, 29, v11
	v_lshlrev_b64 v[39:40], v39, v[2:3]
	s_delay_alu instid0(VALU_DEP_1)
	v_and_b32_e32 v2, 7, v39
; %bb.346:                              ;   in Loop: Header=BB327_289 Depth=1
	s_or_b32 exec_lo, exec_lo, s16
	v_lshlrev_b32_e32 v10, 8, v10
	v_lshl_add_u32 v11, v11, 10, 0x2000
	s_delay_alu instid0(VALU_DEP_1) | instskip(NEXT) | instid1(VALU_DEP_1)
	v_and_or_b32 v10, 0x8000, v10, v11
	v_lshl_or_b32 v2, v2, 7, v10
	s_delay_alu instid0(VALU_DEP_1)
	v_cvt_f32_f16_e32 v2, v2
.LBB327_347:                            ;   in Loop: Header=BB327_289 Depth=1
	s_or_b32 exec_lo, exec_lo, s14
.LBB327_348:                            ;   in Loop: Header=BB327_289 Depth=1
	s_delay_alu instid0(SALU_CYCLE_1)
	s_or_b32 exec_lo, exec_lo, s13
.LBB327_349:                            ;   in Loop: Header=BB327_289 Depth=1
	s_delay_alu instid0(SALU_CYCLE_1)
	s_or_b32 exec_lo, exec_lo, s0
	s_waitcnt vmcnt(0)
	v_fma_mixlo_f16 v10, v23, v28, 0
	v_fma_mixlo_f16 v11, v23, v26, 0
	;; [unrolled: 1-line block ×8, first 2 shown]
	v_lshlrev_b32_e32 v10, 16, v10
	v_and_b32_e32 v11, 0xffff, v11
	v_lshlrev_b32_e32 v25, 16, v25
	v_and_b32_e32 v23, 0xffff, v24
	;; [unrolled: 2-line block ×4, first 2 shown]
	v_cmp_eq_u32_e32 vcc_lo, s21, v1
	v_or_b32_e32 v11, v10, v11
	v_or_b32_e32 v39, v25, v23
	;; [unrolled: 1-line block ×4, first 2 shown]
	v_add_nc_u32_e32 v29, 1, v15
	v_or_b32_e32 v28, 3, v15
	v_or_b32_e32 v27, 2, v15
	;; [unrolled: 1-line block ×6, first 2 shown]
	s_and_saveexec_b32 s13, vcc_lo
	s_cbranch_execz .LBB327_351
; %bb.350:                              ;   in Loop: Header=BB327_289 Depth=1
	v_cmp_gt_i32_e64 s0, s15, v15
	v_lshrrev_b32_e32 v40, 16, v39
	v_lshrrev_b32_e32 v41, 16, v11
	;; [unrolled: 1-line block ×4, first 2 shown]
	v_cndmask_b32_e64 v39, 0, v39, s0
	v_cmp_gt_i32_e64 s0, s10, v29
	s_delay_alu instid0(VALU_DEP_1) | instskip(SKIP_1) | instid1(VALU_DEP_2)
	v_cndmask_b32_e64 v40, 0, v40, s0
	v_cmp_gt_i32_e64 s0, s10, v28
	v_perm_b32 v39, v40, v39, 0x5040100
	s_delay_alu instid0(VALU_DEP_2) | instskip(SKIP_1) | instid1(VALU_DEP_1)
	v_cndmask_b32_e64 v41, 0, v41, s0
	v_cmp_gt_i32_e64 s0, s15, v27
	v_cndmask_b32_e64 v11, 0, v11, s0
	v_cmp_gt_i32_e64 s0, s10, v26
	s_delay_alu instid0(VALU_DEP_2) | instskip(NEXT) | instid1(VALU_DEP_2)
	v_perm_b32 v11, v41, v11, 0x5040100
	v_cndmask_b32_e64 v42, 0, v42, s0
	v_cmp_gt_i32_e64 s0, s15, v25
	s_delay_alu instid0(VALU_DEP_1) | instskip(SKIP_1) | instid1(VALU_DEP_2)
	v_cndmask_b32_e64 v2, 0, v2, s0
	v_cmp_gt_i32_e64 s0, s10, v24
	v_perm_b32 v2, v42, v2, 0x5040100
	s_delay_alu instid0(VALU_DEP_2) | instskip(SKIP_1) | instid1(VALU_DEP_1)
	v_cndmask_b32_e64 v10, 0, v10, s0
	v_cmp_gt_i32_e64 s0, s15, v23
	v_cndmask_b32_e64 v38, 0, v38, s0
	s_delay_alu instid0(VALU_DEP_1)
	v_perm_b32 v10, v10, v38, 0x5040100
.LBB327_351:                            ;   in Loop: Header=BB327_289 Depth=1
	s_or_b32 exec_lo, exec_lo, s13
	v_and_b32_e32 v30, 0xffff, v30
	v_and_b32_e32 v38, 0xffff, v33
	;; [unrolled: 1-line block ×4, first 2 shown]
	s_mov_b32 s13, exec_lo
	v_lshl_or_b32 v33, v31, 16, v30
	v_lshl_or_b32 v32, v32, 16, v38
	v_mov_b32_e32 v38, 0
	v_lshl_or_b32 v31, v34, 16, v36
	;;#ASMSTART
	v_pk_mul_f16 v34, v33, v39;

	;;#ASMEND
	;;#ASMSTART
	v_pk_mul_f16 v11, v32, v11;

	;;#ASMEND
	;; [unrolled: 4-line block ×3, first 2 shown]
	v_lshl_or_b32 v30, v35, 16, v37
	;;#ASMSTART
	v_pk_mul_f16 v10, v30, v10;

	;;#ASMEND
	;;#ASMSTART
	v_pk_add_f16 v11, v34, v11;

	;;#ASMEND
	;;#ASMSTART
	v_pk_add_f16 v2, v11, v2;
	;; [unrolled: 4-line block ×3, first 2 shown]

	;;#ASMEND
	v_and_b32_e32 v10, 0xffff, v2
	v_lshrrev_b32_e32 v2, 16, v2
	;;#ASMSTART
	v_cvt_f32_f16 v34, v10;
	;;#ASMEND
	;;#ASMSTART
	v_cvt_f32_f16 v35, v2;
	;;#ASMEND
	global_load_b64 v[10:11], v[8:9], off offset:256
	global_load_b32 v36, v3, s[6:7]
	s_waitcnt vmcnt(1)
	v_dual_mov_b32 v37, 0 :: v_dual_and_b32 v2, 0xff, v10
	s_delay_alu instid0(VALU_DEP_1)
	v_cmpx_ne_u16_e32 0, v2
	s_cbranch_execz .LBB327_357
; %bb.352:                              ;   in Loop: Header=BB327_289 Depth=1
	v_bfrev_b32_e32 v37, 1
	s_mov_b32 s14, exec_lo
	v_cmpx_ne_u16_e32 0x80, v2
	s_cbranch_execz .LBB327_356
; %bb.353:                              ;   in Loop: Header=BB327_289 Depth=1
	v_and_b32_e32 v2, 0x7f, v10
	v_mov_b32_e32 v37, 0x7fc02000
	s_mov_b32 s16, exec_lo
	s_delay_alu instid0(VALU_DEP_2)
	v_cmpx_ne_u32_e32 0x7f, v2
	s_cbranch_execz .LBB327_355
; %bb.354:                              ;   in Loop: Header=BB327_289 Depth=1
	v_and_b32_e32 v37, 7, v10
	v_cmp_gt_u32_e64 s0, 8, v2
	v_lshrrev_b32_e32 v39, 3, v2
	s_delay_alu instid0(VALU_DEP_3) | instskip(NEXT) | instid1(VALU_DEP_1)
	v_clz_i32_u32_e32 v37, v37
	v_min_u32_e32 v37, 32, v37
	s_delay_alu instid0(VALU_DEP_1) | instskip(SKIP_1) | instid1(VALU_DEP_2)
	v_subrev_nc_u32_e32 v40, 28, v37
	v_sub_nc_u32_e32 v37, 29, v37
	v_cndmask_b32_e64 v2, 0, v40, s0
	s_delay_alu instid0(VALU_DEP_2) | instskip(NEXT) | instid1(VALU_DEP_2)
	v_cndmask_b32_e64 v37, v39, v37, s0
	v_lshlrev_b64 v[39:40], v2, v[10:11]
	v_lshlrev_b32_e32 v2, 8, v10
	s_delay_alu instid0(VALU_DEP_3) | instskip(NEXT) | instid1(VALU_DEP_3)
	v_lshl_add_u32 v37, v37, 10, 0x2000
	v_lshlrev_b32_e32 v39, 7, v39
	s_delay_alu instid0(VALU_DEP_2) | instskip(NEXT) | instid1(VALU_DEP_1)
	v_and_or_b32 v2, 0x8000, v2, v37
	v_and_or_b32 v2, 0x380, v39, v2
	s_delay_alu instid0(VALU_DEP_1)
	v_cvt_f32_f16_e32 v37, v2
.LBB327_355:                            ;   in Loop: Header=BB327_289 Depth=1
	s_or_b32 exec_lo, exec_lo, s16
.LBB327_356:                            ;   in Loop: Header=BB327_289 Depth=1
	s_delay_alu instid0(SALU_CYCLE_1)
	s_or_b32 exec_lo, exec_lo, s14
.LBB327_357:                            ;   in Loop: Header=BB327_289 Depth=1
	s_delay_alu instid0(SALU_CYCLE_1) | instskip(SKIP_2) | instid1(VALU_DEP_1)
	s_or_b32 exec_lo, exec_lo, s13
	v_lshrrev_b16 v2, 8, v10
	s_mov_b32 s13, exec_lo
	v_cmpx_ne_u16_e32 0, v2
	s_cbranch_execz .LBB327_365
; %bb.358:                              ;   in Loop: Header=BB327_289 Depth=1
	v_bfrev_b32_e32 v38, 1
	s_mov_b32 s14, exec_lo
	v_cmpx_ne_u16_e32 0x80, v2
	s_cbranch_execz .LBB327_364
; %bb.359:                              ;   in Loop: Header=BB327_289 Depth=1
	v_and_b32_e32 v39, 0xffff, v2
	v_mov_b32_e32 v38, 0x7fc02000
	s_mov_b32 s16, exec_lo
	s_delay_alu instid0(VALU_DEP_2) | instskip(NEXT) | instid1(VALU_DEP_1)
	v_and_b32_e32 v40, 0x7f, v39
	v_cmpx_ne_u32_e32 0x7f, v40
	s_cbranch_execz .LBB327_363
; %bb.360:                              ;   in Loop: Header=BB327_289 Depth=1
	v_and_b32_e32 v2, 7, v39
	v_lshrrev_b32_e32 v38, 3, v40
	s_mov_b32 s17, exec_lo
	v_cmpx_gt_u32_e32 8, v40
; %bb.361:                              ;   in Loop: Header=BB327_289 Depth=1
	s_delay_alu instid0(VALU_DEP_3) | instskip(NEXT) | instid1(VALU_DEP_1)
	v_clz_i32_u32_e32 v38, v2
	v_min_u32_e32 v38, 32, v38
	s_delay_alu instid0(VALU_DEP_1) | instskip(SKIP_1) | instid1(VALU_DEP_2)
	v_subrev_nc_u32_e32 v40, 28, v38
	v_sub_nc_u32_e32 v38, 29, v38
	v_lshlrev_b64 v[40:41], v40, v[2:3]
	s_delay_alu instid0(VALU_DEP_1)
	v_and_b32_e32 v2, 7, v40
; %bb.362:                              ;   in Loop: Header=BB327_289 Depth=1
	s_or_b32 exec_lo, exec_lo, s17
	v_lshlrev_b32_e32 v39, 8, v39
	v_lshl_add_u32 v38, v38, 10, 0x2000
	s_delay_alu instid0(VALU_DEP_1) | instskip(NEXT) | instid1(VALU_DEP_1)
	v_and_or_b32 v38, 0x8000, v39, v38
	v_lshl_or_b32 v2, v2, 7, v38
	s_delay_alu instid0(VALU_DEP_1)
	v_cvt_f32_f16_e32 v38, v2
.LBB327_363:                            ;   in Loop: Header=BB327_289 Depth=1
	s_or_b32 exec_lo, exec_lo, s16
.LBB327_364:                            ;   in Loop: Header=BB327_289 Depth=1
	s_delay_alu instid0(SALU_CYCLE_1)
	s_or_b32 exec_lo, exec_lo, s14
.LBB327_365:                            ;   in Loop: Header=BB327_289 Depth=1
	s_delay_alu instid0(SALU_CYCLE_1) | instskip(SKIP_3) | instid1(VALU_DEP_2)
	s_or_b32 exec_lo, exec_lo, s13
	v_lshrrev_b32_e32 v41, 16, v10
	v_mov_b32_e32 v40, 0
	s_mov_b32 s13, exec_lo
	v_dual_mov_b32 v39, 0 :: v_dual_and_b32 v2, 0xff, v41
	s_delay_alu instid0(VALU_DEP_1)
	v_cmpx_ne_u16_e32 0, v2
	s_cbranch_execz .LBB327_373
; %bb.366:                              ;   in Loop: Header=BB327_289 Depth=1
	v_bfrev_b32_e32 v39, 1
	s_mov_b32 s14, exec_lo
	v_cmpx_ne_u16_e32 0x80, v2
	s_cbranch_execz .LBB327_372
; %bb.367:                              ;   in Loop: Header=BB327_289 Depth=1
	v_bfe_u32 v42, v10, 16, 7
	v_mov_b32_e32 v39, 0x7fc02000
	s_mov_b32 s16, exec_lo
	s_delay_alu instid0(VALU_DEP_2)
	v_cmpx_ne_u32_e32 0x7f, v42
	s_cbranch_execz .LBB327_371
; %bb.368:                              ;   in Loop: Header=BB327_289 Depth=1
	v_and_b32_e32 v2, 7, v41
	v_lshrrev_b32_e32 v39, 3, v42
	s_mov_b32 s17, exec_lo
	v_cmpx_gt_u32_e32 8, v42
; %bb.369:                              ;   in Loop: Header=BB327_289 Depth=1
	s_delay_alu instid0(VALU_DEP_3) | instskip(NEXT) | instid1(VALU_DEP_1)
	v_clz_i32_u32_e32 v39, v2
	v_min_u32_e32 v39, 32, v39
	s_delay_alu instid0(VALU_DEP_1) | instskip(SKIP_1) | instid1(VALU_DEP_2)
	v_subrev_nc_u32_e32 v42, 28, v39
	v_sub_nc_u32_e32 v39, 29, v39
	v_lshlrev_b64 v[42:43], v42, v[2:3]
	s_delay_alu instid0(VALU_DEP_1)
	v_and_b32_e32 v2, 7, v42
; %bb.370:                              ;   in Loop: Header=BB327_289 Depth=1
	s_or_b32 exec_lo, exec_lo, s17
	v_lshlrev_b32_e32 v41, 8, v41
	v_lshl_add_u32 v39, v39, 10, 0x2000
	s_delay_alu instid0(VALU_DEP_1) | instskip(NEXT) | instid1(VALU_DEP_1)
	v_and_or_b32 v39, 0x8000, v41, v39
	v_lshl_or_b32 v2, v2, 7, v39
	s_delay_alu instid0(VALU_DEP_1)
	v_cvt_f32_f16_e32 v39, v2
.LBB327_371:                            ;   in Loop: Header=BB327_289 Depth=1
	s_or_b32 exec_lo, exec_lo, s16
.LBB327_372:                            ;   in Loop: Header=BB327_289 Depth=1
	s_delay_alu instid0(SALU_CYCLE_1)
	s_or_b32 exec_lo, exec_lo, s14
.LBB327_373:                            ;   in Loop: Header=BB327_289 Depth=1
	s_delay_alu instid0(SALU_CYCLE_1) | instskip(NEXT) | instid1(SALU_CYCLE_1)
	s_or_b32 exec_lo, exec_lo, s13
	s_mov_b32 s13, exec_lo
	v_cmpx_lt_u32_e32 0xffffff, v10
	s_cbranch_execz .LBB327_381
; %bb.374:                              ;   in Loop: Header=BB327_289 Depth=1
	v_lshrrev_b32_e32 v41, 24, v10
	v_bfrev_b32_e32 v40, 1
	s_mov_b32 s14, exec_lo
	s_delay_alu instid0(VALU_DEP_2)
	v_cmpx_ne_u32_e32 0x80, v41
	s_cbranch_execz .LBB327_380
; %bb.375:                              ;   in Loop: Header=BB327_289 Depth=1
	v_and_b32_e32 v42, 0x7f, v41
	v_mov_b32_e32 v40, 0x7fc02000
	s_mov_b32 s16, exec_lo
	s_delay_alu instid0(VALU_DEP_2)
	v_cmpx_ne_u32_e32 0x7f, v42
	s_cbranch_execz .LBB327_379
; %bb.376:                              ;   in Loop: Header=BB327_289 Depth=1
	v_and_b32_e32 v2, 7, v41
	v_lshrrev_b32_e32 v40, 3, v42
	s_mov_b32 s17, exec_lo
	v_cmpx_gt_u32_e32 8, v42
; %bb.377:                              ;   in Loop: Header=BB327_289 Depth=1
	s_delay_alu instid0(VALU_DEP_3) | instskip(NEXT) | instid1(VALU_DEP_1)
	v_clz_i32_u32_e32 v40, v2
	v_min_u32_e32 v40, 32, v40
	s_delay_alu instid0(VALU_DEP_1) | instskip(SKIP_1) | instid1(VALU_DEP_2)
	v_subrev_nc_u32_e32 v42, 28, v40
	v_sub_nc_u32_e32 v40, 29, v40
	v_lshlrev_b64 v[42:43], v42, v[2:3]
	s_delay_alu instid0(VALU_DEP_1)
	v_and_b32_e32 v2, 7, v42
; %bb.378:                              ;   in Loop: Header=BB327_289 Depth=1
	s_or_b32 exec_lo, exec_lo, s17
	v_lshlrev_b32_e32 v41, 8, v41
	v_lshl_add_u32 v40, v40, 10, 0x2000
	s_delay_alu instid0(VALU_DEP_1) | instskip(NEXT) | instid1(VALU_DEP_1)
	v_and_or_b32 v40, 0x8000, v41, v40
	v_lshl_or_b32 v2, v2, 7, v40
	s_delay_alu instid0(VALU_DEP_1)
	v_cvt_f32_f16_e32 v40, v2
.LBB327_379:                            ;   in Loop: Header=BB327_289 Depth=1
	s_or_b32 exec_lo, exec_lo, s16
.LBB327_380:                            ;   in Loop: Header=BB327_289 Depth=1
	s_delay_alu instid0(SALU_CYCLE_1)
	s_or_b32 exec_lo, exec_lo, s14
.LBB327_381:                            ;   in Loop: Header=BB327_289 Depth=1
	s_delay_alu instid0(SALU_CYCLE_1) | instskip(SKIP_3) | instid1(VALU_DEP_2)
	s_or_b32 exec_lo, exec_lo, s13
	v_dual_mov_b32 v2, v11 :: v_dual_and_b32 v43, 0xff, v11
	v_dual_mov_b32 v42, 0 :: v_dual_mov_b32 v41, 0
	s_mov_b32 s13, exec_lo
	v_cmpx_ne_u16_e32 0, v43
	s_cbranch_execz .LBB327_387
; %bb.382:                              ;   in Loop: Header=BB327_289 Depth=1
	v_bfrev_b32_e32 v41, 1
	s_mov_b32 s14, exec_lo
	v_cmpx_ne_u16_e32 0x80, v43
	s_cbranch_execz .LBB327_386
; %bb.383:                              ;   in Loop: Header=BB327_289 Depth=1
	v_and_b32_e32 v43, 0x7f, v11
	v_mov_b32_e32 v41, 0x7fc02000
	s_mov_b32 s16, exec_lo
	s_delay_alu instid0(VALU_DEP_2)
	v_cmpx_ne_u32_e32 0x7f, v43
	s_cbranch_execz .LBB327_385
; %bb.384:                              ;   in Loop: Header=BB327_289 Depth=1
	v_and_b32_e32 v41, 7, v11
	v_cmp_gt_u32_e64 s0, 8, v43
	v_lshrrev_b32_e32 v44, 3, v43
	s_delay_alu instid0(VALU_DEP_3) | instskip(NEXT) | instid1(VALU_DEP_1)
	v_clz_i32_u32_e32 v41, v41
	v_min_u32_e32 v41, 32, v41
	s_delay_alu instid0(VALU_DEP_1) | instskip(SKIP_1) | instid1(VALU_DEP_2)
	v_subrev_nc_u32_e32 v45, 28, v41
	v_sub_nc_u32_e32 v41, 29, v41
	v_cndmask_b32_e64 v43, 0, v45, s0
	s_delay_alu instid0(VALU_DEP_2) | instskip(NEXT) | instid1(VALU_DEP_2)
	v_cndmask_b32_e64 v41, v44, v41, s0
	v_lshlrev_b64 v[43:44], v43, v[2:3]
	v_lshlrev_b32_e32 v44, 8, v11
	s_delay_alu instid0(VALU_DEP_3) | instskip(NEXT) | instid1(VALU_DEP_3)
	v_lshl_add_u32 v41, v41, 10, 0x2000
	v_lshlrev_b32_e32 v43, 7, v43
	s_delay_alu instid0(VALU_DEP_2) | instskip(NEXT) | instid1(VALU_DEP_1)
	v_and_or_b32 v41, 0x8000, v44, v41
	v_and_or_b32 v41, 0x380, v43, v41
	s_delay_alu instid0(VALU_DEP_1)
	v_cvt_f32_f16_e32 v41, v41
.LBB327_385:                            ;   in Loop: Header=BB327_289 Depth=1
	s_or_b32 exec_lo, exec_lo, s16
.LBB327_386:                            ;   in Loop: Header=BB327_289 Depth=1
	s_delay_alu instid0(SALU_CYCLE_1)
	s_or_b32 exec_lo, exec_lo, s14
.LBB327_387:                            ;   in Loop: Header=BB327_289 Depth=1
	s_delay_alu instid0(SALU_CYCLE_1) | instskip(SKIP_2) | instid1(VALU_DEP_1)
	s_or_b32 exec_lo, exec_lo, s13
	v_lshrrev_b16 v2, 8, v2
	s_mov_b32 s13, exec_lo
	v_cmpx_ne_u16_e32 0, v2
	s_cbranch_execz .LBB327_395
; %bb.388:                              ;   in Loop: Header=BB327_289 Depth=1
	v_bfrev_b32_e32 v42, 1
	s_mov_b32 s14, exec_lo
	v_cmpx_ne_u16_e32 0x80, v2
	s_cbranch_execz .LBB327_394
; %bb.389:                              ;   in Loop: Header=BB327_289 Depth=1
	v_and_b32_e32 v43, 0xffff, v2
	v_mov_b32_e32 v42, 0x7fc02000
	s_mov_b32 s16, exec_lo
	s_delay_alu instid0(VALU_DEP_2) | instskip(NEXT) | instid1(VALU_DEP_1)
	v_and_b32_e32 v44, 0x7f, v43
	v_cmpx_ne_u32_e32 0x7f, v44
	s_cbranch_execz .LBB327_393
; %bb.390:                              ;   in Loop: Header=BB327_289 Depth=1
	v_and_b32_e32 v2, 7, v43
	v_lshrrev_b32_e32 v42, 3, v44
	s_mov_b32 s17, exec_lo
	v_cmpx_gt_u32_e32 8, v44
; %bb.391:                              ;   in Loop: Header=BB327_289 Depth=1
	s_delay_alu instid0(VALU_DEP_3) | instskip(NEXT) | instid1(VALU_DEP_1)
	v_clz_i32_u32_e32 v42, v2
	v_min_u32_e32 v42, 32, v42
	s_delay_alu instid0(VALU_DEP_1) | instskip(SKIP_1) | instid1(VALU_DEP_2)
	v_subrev_nc_u32_e32 v44, 28, v42
	v_sub_nc_u32_e32 v42, 29, v42
	v_lshlrev_b64 v[44:45], v44, v[2:3]
	s_delay_alu instid0(VALU_DEP_1)
	v_and_b32_e32 v2, 7, v44
; %bb.392:                              ;   in Loop: Header=BB327_289 Depth=1
	s_or_b32 exec_lo, exec_lo, s17
	v_lshlrev_b32_e32 v43, 8, v43
	v_lshl_add_u32 v42, v42, 10, 0x2000
	s_delay_alu instid0(VALU_DEP_1) | instskip(NEXT) | instid1(VALU_DEP_1)
	v_and_or_b32 v42, 0x8000, v43, v42
	v_lshl_or_b32 v2, v2, 7, v42
	s_delay_alu instid0(VALU_DEP_1)
	v_cvt_f32_f16_e32 v42, v2
.LBB327_393:                            ;   in Loop: Header=BB327_289 Depth=1
	s_or_b32 exec_lo, exec_lo, s16
.LBB327_394:                            ;   in Loop: Header=BB327_289 Depth=1
	s_delay_alu instid0(SALU_CYCLE_1)
	s_or_b32 exec_lo, exec_lo, s14
.LBB327_395:                            ;   in Loop: Header=BB327_289 Depth=1
	s_delay_alu instid0(SALU_CYCLE_1) | instskip(SKIP_3) | instid1(VALU_DEP_2)
	s_or_b32 exec_lo, exec_lo, s13
	v_lshrrev_b32_e32 v45, 16, v11
	v_mov_b32_e32 v44, 0
	s_mov_b32 s13, exec_lo
	v_dual_mov_b32 v43, 0 :: v_dual_and_b32 v2, 0xff, v45
	s_delay_alu instid0(VALU_DEP_1)
	v_cmpx_ne_u16_e32 0, v2
	s_cbranch_execz .LBB327_403
; %bb.396:                              ;   in Loop: Header=BB327_289 Depth=1
	v_bfrev_b32_e32 v43, 1
	s_mov_b32 s14, exec_lo
	v_cmpx_ne_u16_e32 0x80, v2
	s_cbranch_execz .LBB327_402
; %bb.397:                              ;   in Loop: Header=BB327_289 Depth=1
	v_bfe_u32 v46, v11, 16, 7
	v_mov_b32_e32 v43, 0x7fc02000
	s_mov_b32 s16, exec_lo
	s_delay_alu instid0(VALU_DEP_2)
	v_cmpx_ne_u32_e32 0x7f, v46
	s_cbranch_execz .LBB327_401
; %bb.398:                              ;   in Loop: Header=BB327_289 Depth=1
	v_and_b32_e32 v2, 7, v45
	v_lshrrev_b32_e32 v43, 3, v46
	s_mov_b32 s17, exec_lo
	v_cmpx_gt_u32_e32 8, v46
; %bb.399:                              ;   in Loop: Header=BB327_289 Depth=1
	s_delay_alu instid0(VALU_DEP_3) | instskip(NEXT) | instid1(VALU_DEP_1)
	v_clz_i32_u32_e32 v43, v2
	v_min_u32_e32 v43, 32, v43
	s_delay_alu instid0(VALU_DEP_1) | instskip(SKIP_1) | instid1(VALU_DEP_2)
	v_subrev_nc_u32_e32 v46, 28, v43
	v_sub_nc_u32_e32 v43, 29, v43
	v_lshlrev_b64 v[46:47], v46, v[2:3]
	s_delay_alu instid0(VALU_DEP_1)
	v_and_b32_e32 v2, 7, v46
; %bb.400:                              ;   in Loop: Header=BB327_289 Depth=1
	s_or_b32 exec_lo, exec_lo, s17
	v_lshlrev_b32_e32 v45, 8, v45
	v_lshl_add_u32 v43, v43, 10, 0x2000
	s_delay_alu instid0(VALU_DEP_1) | instskip(NEXT) | instid1(VALU_DEP_1)
	v_and_or_b32 v43, 0x8000, v45, v43
	v_lshl_or_b32 v2, v2, 7, v43
	s_delay_alu instid0(VALU_DEP_1)
	v_cvt_f32_f16_e32 v43, v2
.LBB327_401:                            ;   in Loop: Header=BB327_289 Depth=1
	s_or_b32 exec_lo, exec_lo, s16
.LBB327_402:                            ;   in Loop: Header=BB327_289 Depth=1
	s_delay_alu instid0(SALU_CYCLE_1)
	s_or_b32 exec_lo, exec_lo, s14
.LBB327_403:                            ;   in Loop: Header=BB327_289 Depth=1
	s_delay_alu instid0(SALU_CYCLE_1) | instskip(NEXT) | instid1(SALU_CYCLE_1)
	s_or_b32 exec_lo, exec_lo, s13
	s_mov_b32 s13, exec_lo
	v_cmpx_lt_u64_e64 s[2:3], v[10:11]
	s_cbranch_execz .LBB327_411
; %bb.404:                              ;   in Loop: Header=BB327_289 Depth=1
	v_lshrrev_b32_e32 v10, 24, v11
	v_bfrev_b32_e32 v44, 1
	s_mov_b32 s14, exec_lo
	s_delay_alu instid0(VALU_DEP_2)
	v_cmpx_ne_u32_e32 0x80, v10
	s_cbranch_execz .LBB327_410
; %bb.405:                              ;   in Loop: Header=BB327_289 Depth=1
	v_and_b32_e32 v45, 0x7f, v10
	v_mov_b32_e32 v44, 0x7fc02000
	s_mov_b32 s16, exec_lo
	s_delay_alu instid0(VALU_DEP_2)
	v_cmpx_ne_u32_e32 0x7f, v45
	s_cbranch_execz .LBB327_409
; %bb.406:                              ;   in Loop: Header=BB327_289 Depth=1
	v_and_b32_e32 v2, 7, v10
	v_lshrrev_b32_e32 v11, 3, v45
	s_mov_b32 s17, exec_lo
	v_cmpx_gt_u32_e32 8, v45
; %bb.407:                              ;   in Loop: Header=BB327_289 Depth=1
	s_delay_alu instid0(VALU_DEP_3) | instskip(NEXT) | instid1(VALU_DEP_1)
	v_clz_i32_u32_e32 v11, v2
	v_min_u32_e32 v11, 32, v11
	s_delay_alu instid0(VALU_DEP_1) | instskip(SKIP_1) | instid1(VALU_DEP_2)
	v_subrev_nc_u32_e32 v44, 28, v11
	v_sub_nc_u32_e32 v11, 29, v11
	v_lshlrev_b64 v[44:45], v44, v[2:3]
	s_delay_alu instid0(VALU_DEP_1)
	v_and_b32_e32 v2, 7, v44
; %bb.408:                              ;   in Loop: Header=BB327_289 Depth=1
	s_or_b32 exec_lo, exec_lo, s17
	v_lshlrev_b32_e32 v10, 8, v10
	v_lshl_add_u32 v11, v11, 10, 0x2000
	s_delay_alu instid0(VALU_DEP_1) | instskip(NEXT) | instid1(VALU_DEP_1)
	v_and_or_b32 v10, 0x8000, v10, v11
	v_lshl_or_b32 v2, v2, 7, v10
	s_delay_alu instid0(VALU_DEP_1)
	v_cvt_f32_f16_e32 v44, v2
.LBB327_409:                            ;   in Loop: Header=BB327_289 Depth=1
	s_or_b32 exec_lo, exec_lo, s16
.LBB327_410:                            ;   in Loop: Header=BB327_289 Depth=1
	s_delay_alu instid0(SALU_CYCLE_1)
	s_or_b32 exec_lo, exec_lo, s14
.LBB327_411:                            ;   in Loop: Header=BB327_289 Depth=1
	s_delay_alu instid0(SALU_CYCLE_1)
	s_or_b32 exec_lo, exec_lo, s13
	s_waitcnt vmcnt(0)
	v_fma_mixlo_f16 v11, v36, v38, 0
	v_fma_mixlo_f16 v2, v36, v40, 0
	;; [unrolled: 1-line block ×5, first 2 shown]
	v_lshlrev_b32_e32 v38, 16, v11
	v_fma_mixlo_f16 v40, v36, v41, 0
	v_fma_mixlo_f16 v41, v36, v44, 0
	;; [unrolled: 1-line block ×3, first 2 shown]
	v_lshlrev_b32_e32 v2, 16, v2
	v_and_b32_e32 v10, 0xffff, v10
	v_and_b32_e32 v37, 0xffff, v37
	v_lshlrev_b32_e32 v39, 16, v39
	v_and_b32_e32 v40, 0xffff, v40
	v_lshlrev_b32_e32 v41, 16, v41
	v_and_b32_e32 v42, 0xffff, v11
	v_or_b32_e32 v36, v2, v10
	v_or_b32_e32 v37, v38, v37
	;; [unrolled: 1-line block ×3, first 2 shown]
	s_delay_alu instid0(VALU_DEP_4)
	v_or_b32_e32 v10, v41, v42
	s_and_saveexec_b32 s13, vcc_lo
	s_cbranch_execz .LBB327_413
; %bb.412:                              ;   in Loop: Header=BB327_289 Depth=1
	v_cmp_gt_i32_e64 s0, s15, v15
	v_lshrrev_b32_e32 v38, 16, v37
	v_lshrrev_b32_e32 v39, 16, v36
	;; [unrolled: 1-line block ×4, first 2 shown]
	v_cndmask_b32_e64 v37, 0, v37, s0
	v_cmp_gt_i32_e64 s0, s10, v29
	s_delay_alu instid0(VALU_DEP_1) | instskip(SKIP_1) | instid1(VALU_DEP_2)
	v_cndmask_b32_e64 v38, 0, v38, s0
	v_cmp_gt_i32_e64 s0, s10, v28
	v_perm_b32 v37, v38, v37, 0x5040100
	s_delay_alu instid0(VALU_DEP_2) | instskip(SKIP_1) | instid1(VALU_DEP_1)
	v_cndmask_b32_e64 v39, 0, v39, s0
	v_cmp_gt_i32_e64 s0, s15, v27
	v_cndmask_b32_e64 v36, 0, v36, s0
	v_cmp_gt_i32_e64 s0, s10, v26
	s_delay_alu instid0(VALU_DEP_2) | instskip(NEXT) | instid1(VALU_DEP_2)
	v_perm_b32 v36, v39, v36, 0x5040100
	v_cndmask_b32_e64 v40, 0, v40, s0
	v_cmp_gt_i32_e64 s0, s15, v25
	s_delay_alu instid0(VALU_DEP_1) | instskip(SKIP_1) | instid1(VALU_DEP_2)
	v_cndmask_b32_e64 v2, 0, v2, s0
	v_cmp_gt_i32_e64 s0, s10, v24
	v_perm_b32 v2, v40, v2, 0x5040100
	s_delay_alu instid0(VALU_DEP_2) | instskip(SKIP_1) | instid1(VALU_DEP_1)
	v_cndmask_b32_e64 v10, 0, v10, s0
	v_cmp_gt_i32_e64 s0, s15, v23
	v_cndmask_b32_e64 v11, 0, v11, s0
	s_delay_alu instid0(VALU_DEP_1)
	v_perm_b32 v10, v10, v11, 0x5040100
.LBB327_413:                            ;   in Loop: Header=BB327_289 Depth=1
	s_or_b32 exec_lo, exec_lo, s13
	;;#ASMSTART
	v_pk_mul_f16 v11, v33, v37;

	;;#ASMEND
	;;#ASMSTART
	v_pk_mul_f16 v36, v32, v36;

	;;#ASMEND
	;; [unrolled: 4-line block ×4, first 2 shown]
	;;#ASMSTART
	v_pk_add_f16 v11, v11, v36;

	;;#ASMEND
	;;#ASMSTART
	v_pk_add_f16 v2, v11, v2;

	;;#ASMEND
	;; [unrolled: 4-line block ×3, first 2 shown]
	v_dual_mov_b32 v39, 0 :: v_dual_and_b32 v10, 0xffff, v2
	v_lshrrev_b32_e32 v2, 16, v2
	;;#ASMSTART
	v_cvt_f32_f16 v36, v10;
	;;#ASMEND
	;;#ASMSTART
	v_cvt_f32_f16 v37, v2;
	;;#ASMEND
	global_load_b64 v[10:11], v[8:9], off offset:512
	global_load_b32 v38, v3, s[6:7]
	v_mov_b32_e32 v40, 0
	s_mov_b32 s13, exec_lo
	s_waitcnt vmcnt(1)
	v_and_b32_e32 v2, 0xff, v10
	s_delay_alu instid0(VALU_DEP_1)
	v_cmpx_ne_u16_e32 0, v2
	s_cbranch_execz .LBB327_419
; %bb.414:                              ;   in Loop: Header=BB327_289 Depth=1
	v_bfrev_b32_e32 v39, 1
	s_mov_b32 s14, exec_lo
	v_cmpx_ne_u16_e32 0x80, v2
	s_cbranch_execz .LBB327_418
; %bb.415:                              ;   in Loop: Header=BB327_289 Depth=1
	v_and_b32_e32 v2, 0x7f, v10
	v_mov_b32_e32 v39, 0x7fc02000
	s_mov_b32 s16, exec_lo
	s_delay_alu instid0(VALU_DEP_2)
	v_cmpx_ne_u32_e32 0x7f, v2
	s_cbranch_execz .LBB327_417
; %bb.416:                              ;   in Loop: Header=BB327_289 Depth=1
	v_and_b32_e32 v39, 7, v10
	v_cmp_gt_u32_e64 s0, 8, v2
	v_lshrrev_b32_e32 v41, 3, v2
	s_delay_alu instid0(VALU_DEP_3) | instskip(NEXT) | instid1(VALU_DEP_1)
	v_clz_i32_u32_e32 v39, v39
	v_min_u32_e32 v39, 32, v39
	s_delay_alu instid0(VALU_DEP_1) | instskip(SKIP_1) | instid1(VALU_DEP_2)
	v_subrev_nc_u32_e32 v42, 28, v39
	v_sub_nc_u32_e32 v39, 29, v39
	v_cndmask_b32_e64 v2, 0, v42, s0
	s_delay_alu instid0(VALU_DEP_2) | instskip(NEXT) | instid1(VALU_DEP_2)
	v_cndmask_b32_e64 v39, v41, v39, s0
	v_lshlrev_b64 v[41:42], v2, v[10:11]
	v_lshlrev_b32_e32 v2, 8, v10
	s_delay_alu instid0(VALU_DEP_3) | instskip(NEXT) | instid1(VALU_DEP_3)
	v_lshl_add_u32 v39, v39, 10, 0x2000
	v_lshlrev_b32_e32 v41, 7, v41
	s_delay_alu instid0(VALU_DEP_2) | instskip(NEXT) | instid1(VALU_DEP_1)
	v_and_or_b32 v2, 0x8000, v2, v39
	v_and_or_b32 v2, 0x380, v41, v2
	s_delay_alu instid0(VALU_DEP_1)
	v_cvt_f32_f16_e32 v39, v2
.LBB327_417:                            ;   in Loop: Header=BB327_289 Depth=1
	s_or_b32 exec_lo, exec_lo, s16
.LBB327_418:                            ;   in Loop: Header=BB327_289 Depth=1
	s_delay_alu instid0(SALU_CYCLE_1)
	s_or_b32 exec_lo, exec_lo, s14
.LBB327_419:                            ;   in Loop: Header=BB327_289 Depth=1
	s_delay_alu instid0(SALU_CYCLE_1) | instskip(SKIP_2) | instid1(VALU_DEP_1)
	s_or_b32 exec_lo, exec_lo, s13
	v_lshrrev_b16 v2, 8, v10
	s_mov_b32 s13, exec_lo
	v_cmpx_ne_u16_e32 0, v2
	s_cbranch_execz .LBB327_427
; %bb.420:                              ;   in Loop: Header=BB327_289 Depth=1
	v_bfrev_b32_e32 v40, 1
	s_mov_b32 s14, exec_lo
	v_cmpx_ne_u16_e32 0x80, v2
	s_cbranch_execz .LBB327_426
; %bb.421:                              ;   in Loop: Header=BB327_289 Depth=1
	v_and_b32_e32 v41, 0xffff, v2
	v_mov_b32_e32 v40, 0x7fc02000
	s_mov_b32 s16, exec_lo
	s_delay_alu instid0(VALU_DEP_2) | instskip(NEXT) | instid1(VALU_DEP_1)
	v_and_b32_e32 v42, 0x7f, v41
	v_cmpx_ne_u32_e32 0x7f, v42
	s_cbranch_execz .LBB327_425
; %bb.422:                              ;   in Loop: Header=BB327_289 Depth=1
	v_and_b32_e32 v2, 7, v41
	v_lshrrev_b32_e32 v40, 3, v42
	s_mov_b32 s17, exec_lo
	v_cmpx_gt_u32_e32 8, v42
; %bb.423:                              ;   in Loop: Header=BB327_289 Depth=1
	s_delay_alu instid0(VALU_DEP_3) | instskip(NEXT) | instid1(VALU_DEP_1)
	v_clz_i32_u32_e32 v40, v2
	v_min_u32_e32 v40, 32, v40
	s_delay_alu instid0(VALU_DEP_1) | instskip(SKIP_1) | instid1(VALU_DEP_2)
	v_subrev_nc_u32_e32 v42, 28, v40
	v_sub_nc_u32_e32 v40, 29, v40
	v_lshlrev_b64 v[42:43], v42, v[2:3]
	s_delay_alu instid0(VALU_DEP_1)
	v_and_b32_e32 v2, 7, v42
; %bb.424:                              ;   in Loop: Header=BB327_289 Depth=1
	s_or_b32 exec_lo, exec_lo, s17
	v_lshlrev_b32_e32 v41, 8, v41
	v_lshl_add_u32 v40, v40, 10, 0x2000
	s_delay_alu instid0(VALU_DEP_1) | instskip(NEXT) | instid1(VALU_DEP_1)
	v_and_or_b32 v40, 0x8000, v41, v40
	v_lshl_or_b32 v2, v2, 7, v40
	s_delay_alu instid0(VALU_DEP_1)
	v_cvt_f32_f16_e32 v40, v2
.LBB327_425:                            ;   in Loop: Header=BB327_289 Depth=1
	s_or_b32 exec_lo, exec_lo, s16
.LBB327_426:                            ;   in Loop: Header=BB327_289 Depth=1
	s_delay_alu instid0(SALU_CYCLE_1)
	s_or_b32 exec_lo, exec_lo, s14
.LBB327_427:                            ;   in Loop: Header=BB327_289 Depth=1
	s_delay_alu instid0(SALU_CYCLE_1) | instskip(SKIP_3) | instid1(VALU_DEP_2)
	s_or_b32 exec_lo, exec_lo, s13
	v_lshrrev_b32_e32 v43, 16, v10
	v_mov_b32_e32 v42, 0
	s_mov_b32 s13, exec_lo
	v_dual_mov_b32 v41, 0 :: v_dual_and_b32 v2, 0xff, v43
	s_delay_alu instid0(VALU_DEP_1)
	v_cmpx_ne_u16_e32 0, v2
	s_cbranch_execz .LBB327_435
; %bb.428:                              ;   in Loop: Header=BB327_289 Depth=1
	v_bfrev_b32_e32 v41, 1
	s_mov_b32 s14, exec_lo
	v_cmpx_ne_u16_e32 0x80, v2
	s_cbranch_execz .LBB327_434
; %bb.429:                              ;   in Loop: Header=BB327_289 Depth=1
	v_bfe_u32 v44, v10, 16, 7
	v_mov_b32_e32 v41, 0x7fc02000
	s_mov_b32 s16, exec_lo
	s_delay_alu instid0(VALU_DEP_2)
	v_cmpx_ne_u32_e32 0x7f, v44
	s_cbranch_execz .LBB327_433
; %bb.430:                              ;   in Loop: Header=BB327_289 Depth=1
	v_and_b32_e32 v2, 7, v43
	v_lshrrev_b32_e32 v41, 3, v44
	s_mov_b32 s17, exec_lo
	v_cmpx_gt_u32_e32 8, v44
; %bb.431:                              ;   in Loop: Header=BB327_289 Depth=1
	s_delay_alu instid0(VALU_DEP_3) | instskip(NEXT) | instid1(VALU_DEP_1)
	v_clz_i32_u32_e32 v41, v2
	v_min_u32_e32 v41, 32, v41
	s_delay_alu instid0(VALU_DEP_1) | instskip(SKIP_1) | instid1(VALU_DEP_2)
	v_subrev_nc_u32_e32 v44, 28, v41
	v_sub_nc_u32_e32 v41, 29, v41
	v_lshlrev_b64 v[44:45], v44, v[2:3]
	s_delay_alu instid0(VALU_DEP_1)
	v_and_b32_e32 v2, 7, v44
; %bb.432:                              ;   in Loop: Header=BB327_289 Depth=1
	s_or_b32 exec_lo, exec_lo, s17
	v_lshlrev_b32_e32 v43, 8, v43
	v_lshl_add_u32 v41, v41, 10, 0x2000
	s_delay_alu instid0(VALU_DEP_1) | instskip(NEXT) | instid1(VALU_DEP_1)
	v_and_or_b32 v41, 0x8000, v43, v41
	v_lshl_or_b32 v2, v2, 7, v41
	s_delay_alu instid0(VALU_DEP_1)
	v_cvt_f32_f16_e32 v41, v2
.LBB327_433:                            ;   in Loop: Header=BB327_289 Depth=1
	s_or_b32 exec_lo, exec_lo, s16
.LBB327_434:                            ;   in Loop: Header=BB327_289 Depth=1
	s_delay_alu instid0(SALU_CYCLE_1)
	s_or_b32 exec_lo, exec_lo, s14
.LBB327_435:                            ;   in Loop: Header=BB327_289 Depth=1
	s_delay_alu instid0(SALU_CYCLE_1) | instskip(NEXT) | instid1(SALU_CYCLE_1)
	s_or_b32 exec_lo, exec_lo, s13
	s_mov_b32 s13, exec_lo
	v_cmpx_lt_u32_e32 0xffffff, v10
	s_cbranch_execz .LBB327_443
; %bb.436:                              ;   in Loop: Header=BB327_289 Depth=1
	v_lshrrev_b32_e32 v43, 24, v10
	v_bfrev_b32_e32 v42, 1
	s_mov_b32 s14, exec_lo
	s_delay_alu instid0(VALU_DEP_2)
	v_cmpx_ne_u32_e32 0x80, v43
	s_cbranch_execz .LBB327_442
; %bb.437:                              ;   in Loop: Header=BB327_289 Depth=1
	v_and_b32_e32 v44, 0x7f, v43
	v_mov_b32_e32 v42, 0x7fc02000
	s_mov_b32 s16, exec_lo
	s_delay_alu instid0(VALU_DEP_2)
	v_cmpx_ne_u32_e32 0x7f, v44
	s_cbranch_execz .LBB327_441
; %bb.438:                              ;   in Loop: Header=BB327_289 Depth=1
	v_and_b32_e32 v2, 7, v43
	v_lshrrev_b32_e32 v42, 3, v44
	s_mov_b32 s17, exec_lo
	v_cmpx_gt_u32_e32 8, v44
; %bb.439:                              ;   in Loop: Header=BB327_289 Depth=1
	s_delay_alu instid0(VALU_DEP_3) | instskip(NEXT) | instid1(VALU_DEP_1)
	v_clz_i32_u32_e32 v42, v2
	v_min_u32_e32 v42, 32, v42
	s_delay_alu instid0(VALU_DEP_1) | instskip(SKIP_1) | instid1(VALU_DEP_2)
	v_subrev_nc_u32_e32 v44, 28, v42
	v_sub_nc_u32_e32 v42, 29, v42
	v_lshlrev_b64 v[44:45], v44, v[2:3]
	s_delay_alu instid0(VALU_DEP_1)
	v_and_b32_e32 v2, 7, v44
; %bb.440:                              ;   in Loop: Header=BB327_289 Depth=1
	s_or_b32 exec_lo, exec_lo, s17
	v_lshlrev_b32_e32 v43, 8, v43
	v_lshl_add_u32 v42, v42, 10, 0x2000
	s_delay_alu instid0(VALU_DEP_1) | instskip(NEXT) | instid1(VALU_DEP_1)
	v_and_or_b32 v42, 0x8000, v43, v42
	v_lshl_or_b32 v2, v2, 7, v42
	s_delay_alu instid0(VALU_DEP_1)
	v_cvt_f32_f16_e32 v42, v2
.LBB327_441:                            ;   in Loop: Header=BB327_289 Depth=1
	s_or_b32 exec_lo, exec_lo, s16
.LBB327_442:                            ;   in Loop: Header=BB327_289 Depth=1
	s_delay_alu instid0(SALU_CYCLE_1)
	s_or_b32 exec_lo, exec_lo, s14
.LBB327_443:                            ;   in Loop: Header=BB327_289 Depth=1
	s_delay_alu instid0(SALU_CYCLE_1) | instskip(SKIP_3) | instid1(VALU_DEP_2)
	s_or_b32 exec_lo, exec_lo, s13
	v_dual_mov_b32 v2, v11 :: v_dual_and_b32 v45, 0xff, v11
	v_dual_mov_b32 v44, 0 :: v_dual_mov_b32 v43, 0
	s_mov_b32 s13, exec_lo
	v_cmpx_ne_u16_e32 0, v45
	s_cbranch_execz .LBB327_449
; %bb.444:                              ;   in Loop: Header=BB327_289 Depth=1
	v_bfrev_b32_e32 v43, 1
	s_mov_b32 s14, exec_lo
	v_cmpx_ne_u16_e32 0x80, v45
	s_cbranch_execz .LBB327_448
; %bb.445:                              ;   in Loop: Header=BB327_289 Depth=1
	v_and_b32_e32 v45, 0x7f, v11
	v_mov_b32_e32 v43, 0x7fc02000
	s_mov_b32 s16, exec_lo
	s_delay_alu instid0(VALU_DEP_2)
	v_cmpx_ne_u32_e32 0x7f, v45
	s_cbranch_execz .LBB327_447
; %bb.446:                              ;   in Loop: Header=BB327_289 Depth=1
	v_and_b32_e32 v43, 7, v11
	v_cmp_gt_u32_e64 s0, 8, v45
	v_lshrrev_b32_e32 v46, 3, v45
	s_delay_alu instid0(VALU_DEP_3) | instskip(NEXT) | instid1(VALU_DEP_1)
	v_clz_i32_u32_e32 v43, v43
	v_min_u32_e32 v43, 32, v43
	s_delay_alu instid0(VALU_DEP_1) | instskip(SKIP_1) | instid1(VALU_DEP_2)
	v_subrev_nc_u32_e32 v47, 28, v43
	v_sub_nc_u32_e32 v43, 29, v43
	v_cndmask_b32_e64 v45, 0, v47, s0
	s_delay_alu instid0(VALU_DEP_2) | instskip(NEXT) | instid1(VALU_DEP_2)
	v_cndmask_b32_e64 v43, v46, v43, s0
	v_lshlrev_b64 v[45:46], v45, v[2:3]
	v_lshlrev_b32_e32 v46, 8, v11
	s_delay_alu instid0(VALU_DEP_3) | instskip(NEXT) | instid1(VALU_DEP_3)
	v_lshl_add_u32 v43, v43, 10, 0x2000
	v_lshlrev_b32_e32 v45, 7, v45
	s_delay_alu instid0(VALU_DEP_2) | instskip(NEXT) | instid1(VALU_DEP_1)
	v_and_or_b32 v43, 0x8000, v46, v43
	v_and_or_b32 v43, 0x380, v45, v43
	s_delay_alu instid0(VALU_DEP_1)
	v_cvt_f32_f16_e32 v43, v43
.LBB327_447:                            ;   in Loop: Header=BB327_289 Depth=1
	s_or_b32 exec_lo, exec_lo, s16
.LBB327_448:                            ;   in Loop: Header=BB327_289 Depth=1
	s_delay_alu instid0(SALU_CYCLE_1)
	s_or_b32 exec_lo, exec_lo, s14
.LBB327_449:                            ;   in Loop: Header=BB327_289 Depth=1
	s_delay_alu instid0(SALU_CYCLE_1) | instskip(SKIP_2) | instid1(VALU_DEP_1)
	s_or_b32 exec_lo, exec_lo, s13
	v_lshrrev_b16 v2, 8, v2
	s_mov_b32 s13, exec_lo
	v_cmpx_ne_u16_e32 0, v2
	s_cbranch_execz .LBB327_457
; %bb.450:                              ;   in Loop: Header=BB327_289 Depth=1
	v_bfrev_b32_e32 v44, 1
	s_mov_b32 s14, exec_lo
	v_cmpx_ne_u16_e32 0x80, v2
	s_cbranch_execz .LBB327_456
; %bb.451:                              ;   in Loop: Header=BB327_289 Depth=1
	v_and_b32_e32 v45, 0xffff, v2
	v_mov_b32_e32 v44, 0x7fc02000
	s_mov_b32 s16, exec_lo
	s_delay_alu instid0(VALU_DEP_2) | instskip(NEXT) | instid1(VALU_DEP_1)
	v_and_b32_e32 v46, 0x7f, v45
	v_cmpx_ne_u32_e32 0x7f, v46
	s_cbranch_execz .LBB327_455
; %bb.452:                              ;   in Loop: Header=BB327_289 Depth=1
	v_and_b32_e32 v2, 7, v45
	v_lshrrev_b32_e32 v44, 3, v46
	s_mov_b32 s17, exec_lo
	v_cmpx_gt_u32_e32 8, v46
; %bb.453:                              ;   in Loop: Header=BB327_289 Depth=1
	s_delay_alu instid0(VALU_DEP_3) | instskip(NEXT) | instid1(VALU_DEP_1)
	v_clz_i32_u32_e32 v44, v2
	v_min_u32_e32 v44, 32, v44
	s_delay_alu instid0(VALU_DEP_1) | instskip(SKIP_1) | instid1(VALU_DEP_2)
	v_subrev_nc_u32_e32 v46, 28, v44
	v_sub_nc_u32_e32 v44, 29, v44
	v_lshlrev_b64 v[46:47], v46, v[2:3]
	s_delay_alu instid0(VALU_DEP_1)
	v_and_b32_e32 v2, 7, v46
; %bb.454:                              ;   in Loop: Header=BB327_289 Depth=1
	s_or_b32 exec_lo, exec_lo, s17
	v_lshlrev_b32_e32 v45, 8, v45
	v_lshl_add_u32 v44, v44, 10, 0x2000
	s_delay_alu instid0(VALU_DEP_1) | instskip(NEXT) | instid1(VALU_DEP_1)
	v_and_or_b32 v44, 0x8000, v45, v44
	v_lshl_or_b32 v2, v2, 7, v44
	s_delay_alu instid0(VALU_DEP_1)
	v_cvt_f32_f16_e32 v44, v2
.LBB327_455:                            ;   in Loop: Header=BB327_289 Depth=1
	s_or_b32 exec_lo, exec_lo, s16
.LBB327_456:                            ;   in Loop: Header=BB327_289 Depth=1
	s_delay_alu instid0(SALU_CYCLE_1)
	s_or_b32 exec_lo, exec_lo, s14
.LBB327_457:                            ;   in Loop: Header=BB327_289 Depth=1
	s_delay_alu instid0(SALU_CYCLE_1) | instskip(SKIP_3) | instid1(VALU_DEP_2)
	s_or_b32 exec_lo, exec_lo, s13
	v_lshrrev_b32_e32 v47, 16, v11
	v_mov_b32_e32 v46, 0
	s_mov_b32 s13, exec_lo
	v_dual_mov_b32 v45, 0 :: v_dual_and_b32 v2, 0xff, v47
	s_delay_alu instid0(VALU_DEP_1)
	v_cmpx_ne_u16_e32 0, v2
	s_cbranch_execz .LBB327_465
; %bb.458:                              ;   in Loop: Header=BB327_289 Depth=1
	v_bfrev_b32_e32 v45, 1
	s_mov_b32 s14, exec_lo
	v_cmpx_ne_u16_e32 0x80, v2
	s_cbranch_execz .LBB327_464
; %bb.459:                              ;   in Loop: Header=BB327_289 Depth=1
	v_bfe_u32 v48, v11, 16, 7
	v_mov_b32_e32 v45, 0x7fc02000
	s_mov_b32 s16, exec_lo
	s_delay_alu instid0(VALU_DEP_2)
	v_cmpx_ne_u32_e32 0x7f, v48
	s_cbranch_execz .LBB327_463
; %bb.460:                              ;   in Loop: Header=BB327_289 Depth=1
	v_and_b32_e32 v2, 7, v47
	v_lshrrev_b32_e32 v45, 3, v48
	s_mov_b32 s17, exec_lo
	v_cmpx_gt_u32_e32 8, v48
; %bb.461:                              ;   in Loop: Header=BB327_289 Depth=1
	s_delay_alu instid0(VALU_DEP_3) | instskip(NEXT) | instid1(VALU_DEP_1)
	v_clz_i32_u32_e32 v45, v2
	v_min_u32_e32 v45, 32, v45
	s_delay_alu instid0(VALU_DEP_1) | instskip(SKIP_1) | instid1(VALU_DEP_2)
	v_subrev_nc_u32_e32 v48, 28, v45
	v_sub_nc_u32_e32 v45, 29, v45
	v_lshlrev_b64 v[48:49], v48, v[2:3]
	s_delay_alu instid0(VALU_DEP_1)
	v_and_b32_e32 v2, 7, v48
; %bb.462:                              ;   in Loop: Header=BB327_289 Depth=1
	s_or_b32 exec_lo, exec_lo, s17
	v_lshlrev_b32_e32 v47, 8, v47
	v_lshl_add_u32 v45, v45, 10, 0x2000
	s_delay_alu instid0(VALU_DEP_1) | instskip(NEXT) | instid1(VALU_DEP_1)
	v_and_or_b32 v45, 0x8000, v47, v45
	v_lshl_or_b32 v2, v2, 7, v45
	s_delay_alu instid0(VALU_DEP_1)
	v_cvt_f32_f16_e32 v45, v2
.LBB327_463:                            ;   in Loop: Header=BB327_289 Depth=1
	s_or_b32 exec_lo, exec_lo, s16
.LBB327_464:                            ;   in Loop: Header=BB327_289 Depth=1
	s_delay_alu instid0(SALU_CYCLE_1)
	s_or_b32 exec_lo, exec_lo, s14
.LBB327_465:                            ;   in Loop: Header=BB327_289 Depth=1
	s_delay_alu instid0(SALU_CYCLE_1) | instskip(NEXT) | instid1(SALU_CYCLE_1)
	s_or_b32 exec_lo, exec_lo, s13
	s_mov_b32 s13, exec_lo
	v_cmpx_lt_u64_e64 s[2:3], v[10:11]
	s_cbranch_execz .LBB327_473
; %bb.466:                              ;   in Loop: Header=BB327_289 Depth=1
	v_lshrrev_b32_e32 v10, 24, v11
	v_bfrev_b32_e32 v46, 1
	s_mov_b32 s14, exec_lo
	s_delay_alu instid0(VALU_DEP_2)
	v_cmpx_ne_u32_e32 0x80, v10
	s_cbranch_execz .LBB327_472
; %bb.467:                              ;   in Loop: Header=BB327_289 Depth=1
	v_and_b32_e32 v47, 0x7f, v10
	v_mov_b32_e32 v46, 0x7fc02000
	s_mov_b32 s16, exec_lo
	s_delay_alu instid0(VALU_DEP_2)
	v_cmpx_ne_u32_e32 0x7f, v47
	s_cbranch_execz .LBB327_471
; %bb.468:                              ;   in Loop: Header=BB327_289 Depth=1
	v_and_b32_e32 v2, 7, v10
	v_lshrrev_b32_e32 v11, 3, v47
	s_mov_b32 s17, exec_lo
	v_cmpx_gt_u32_e32 8, v47
; %bb.469:                              ;   in Loop: Header=BB327_289 Depth=1
	s_delay_alu instid0(VALU_DEP_3) | instskip(NEXT) | instid1(VALU_DEP_1)
	v_clz_i32_u32_e32 v11, v2
	v_min_u32_e32 v11, 32, v11
	s_delay_alu instid0(VALU_DEP_1) | instskip(SKIP_1) | instid1(VALU_DEP_2)
	v_subrev_nc_u32_e32 v46, 28, v11
	v_sub_nc_u32_e32 v11, 29, v11
	v_lshlrev_b64 v[46:47], v46, v[2:3]
	s_delay_alu instid0(VALU_DEP_1)
	v_and_b32_e32 v2, 7, v46
; %bb.470:                              ;   in Loop: Header=BB327_289 Depth=1
	s_or_b32 exec_lo, exec_lo, s17
	v_lshlrev_b32_e32 v10, 8, v10
	v_lshl_add_u32 v11, v11, 10, 0x2000
	s_delay_alu instid0(VALU_DEP_1) | instskip(NEXT) | instid1(VALU_DEP_1)
	v_and_or_b32 v10, 0x8000, v10, v11
	v_lshl_or_b32 v2, v2, 7, v10
	s_delay_alu instid0(VALU_DEP_1)
	v_cvt_f32_f16_e32 v46, v2
.LBB327_471:                            ;   in Loop: Header=BB327_289 Depth=1
	s_or_b32 exec_lo, exec_lo, s16
.LBB327_472:                            ;   in Loop: Header=BB327_289 Depth=1
	s_delay_alu instid0(SALU_CYCLE_1)
	s_or_b32 exec_lo, exec_lo, s14
.LBB327_473:                            ;   in Loop: Header=BB327_289 Depth=1
	s_delay_alu instid0(SALU_CYCLE_1)
	s_or_b32 exec_lo, exec_lo, s13
	s_waitcnt vmcnt(0)
	v_fma_mixlo_f16 v11, v38, v40, 0
	v_fma_mixlo_f16 v2, v38, v42, 0
	;; [unrolled: 1-line block ×5, first 2 shown]
	v_lshlrev_b32_e32 v40, 16, v11
	v_fma_mixlo_f16 v42, v38, v43, 0
	v_fma_mixlo_f16 v43, v38, v46, 0
	;; [unrolled: 1-line block ×3, first 2 shown]
	v_lshlrev_b32_e32 v2, 16, v2
	v_and_b32_e32 v10, 0xffff, v10
	v_and_b32_e32 v39, 0xffff, v39
	v_lshlrev_b32_e32 v41, 16, v41
	v_and_b32_e32 v42, 0xffff, v42
	v_lshlrev_b32_e32 v43, 16, v43
	v_and_b32_e32 v44, 0xffff, v11
	v_or_b32_e32 v38, v2, v10
	v_or_b32_e32 v39, v40, v39
	;; [unrolled: 1-line block ×3, first 2 shown]
	s_delay_alu instid0(VALU_DEP_4)
	v_or_b32_e32 v10, v43, v44
	s_and_saveexec_b32 s13, vcc_lo
	s_cbranch_execz .LBB327_475
; %bb.474:                              ;   in Loop: Header=BB327_289 Depth=1
	v_cmp_gt_i32_e64 s0, s15, v15
	v_lshrrev_b32_e32 v40, 16, v39
	v_lshrrev_b32_e32 v41, 16, v38
	;; [unrolled: 1-line block ×4, first 2 shown]
	v_cndmask_b32_e64 v39, 0, v39, s0
	v_cmp_gt_i32_e64 s0, s10, v29
	s_delay_alu instid0(VALU_DEP_1) | instskip(SKIP_1) | instid1(VALU_DEP_2)
	v_cndmask_b32_e64 v40, 0, v40, s0
	v_cmp_gt_i32_e64 s0, s10, v28
	v_perm_b32 v39, v40, v39, 0x5040100
	s_delay_alu instid0(VALU_DEP_2) | instskip(SKIP_1) | instid1(VALU_DEP_1)
	v_cndmask_b32_e64 v41, 0, v41, s0
	v_cmp_gt_i32_e64 s0, s15, v27
	v_cndmask_b32_e64 v38, 0, v38, s0
	v_cmp_gt_i32_e64 s0, s10, v26
	s_delay_alu instid0(VALU_DEP_2) | instskip(NEXT) | instid1(VALU_DEP_2)
	v_perm_b32 v38, v41, v38, 0x5040100
	v_cndmask_b32_e64 v42, 0, v42, s0
	v_cmp_gt_i32_e64 s0, s15, v25
	s_delay_alu instid0(VALU_DEP_1) | instskip(SKIP_1) | instid1(VALU_DEP_2)
	v_cndmask_b32_e64 v2, 0, v2, s0
	v_cmp_gt_i32_e64 s0, s10, v24
	v_perm_b32 v2, v42, v2, 0x5040100
	s_delay_alu instid0(VALU_DEP_2) | instskip(SKIP_1) | instid1(VALU_DEP_1)
	v_cndmask_b32_e64 v10, 0, v10, s0
	v_cmp_gt_i32_e64 s0, s15, v23
	v_cndmask_b32_e64 v11, 0, v11, s0
	s_delay_alu instid0(VALU_DEP_1)
	v_perm_b32 v10, v10, v11, 0x5040100
.LBB327_475:                            ;   in Loop: Header=BB327_289 Depth=1
	s_or_b32 exec_lo, exec_lo, s13
	;;#ASMSTART
	v_pk_mul_f16 v11, v33, v39;

	;;#ASMEND
	;;#ASMSTART
	v_pk_mul_f16 v38, v32, v38;

	;;#ASMEND
	;; [unrolled: 4-line block ×4, first 2 shown]
	;;#ASMSTART
	v_pk_add_f16 v11, v11, v38;

	;;#ASMEND
	;;#ASMSTART
	v_pk_add_f16 v2, v11, v2;

	;;#ASMEND
	;; [unrolled: 4-line block ×3, first 2 shown]
	v_dual_mov_b32 v39, 0 :: v_dual_and_b32 v10, 0xffff, v2
	v_lshrrev_b32_e32 v2, 16, v2
	;;#ASMSTART
	v_cvt_f32_f16 v10, v10;
	;;#ASMEND
	;;#ASMSTART
	v_cvt_f32_f16 v11, v2;
	;;#ASMEND
	global_load_b64 v[8:9], v[8:9], off offset:768
	global_load_b32 v38, v3, s[6:7]
	v_mov_b32_e32 v40, 0
	s_mov_b32 s13, exec_lo
	s_waitcnt vmcnt(1)
	v_and_b32_e32 v2, 0xff, v8
	s_delay_alu instid0(VALU_DEP_1)
	v_cmpx_ne_u16_e32 0, v2
	s_cbranch_execz .LBB327_481
; %bb.476:                              ;   in Loop: Header=BB327_289 Depth=1
	v_bfrev_b32_e32 v39, 1
	s_mov_b32 s14, exec_lo
	v_cmpx_ne_u16_e32 0x80, v2
	s_cbranch_execz .LBB327_480
; %bb.477:                              ;   in Loop: Header=BB327_289 Depth=1
	v_and_b32_e32 v2, 0x7f, v8
	v_mov_b32_e32 v39, 0x7fc02000
	s_mov_b32 s16, exec_lo
	s_delay_alu instid0(VALU_DEP_2)
	v_cmpx_ne_u32_e32 0x7f, v2
	s_cbranch_execz .LBB327_479
; %bb.478:                              ;   in Loop: Header=BB327_289 Depth=1
	v_and_b32_e32 v39, 7, v8
	v_cmp_gt_u32_e64 s0, 8, v2
	v_lshrrev_b32_e32 v41, 3, v2
	s_delay_alu instid0(VALU_DEP_3) | instskip(NEXT) | instid1(VALU_DEP_1)
	v_clz_i32_u32_e32 v39, v39
	v_min_u32_e32 v39, 32, v39
	s_delay_alu instid0(VALU_DEP_1) | instskip(SKIP_1) | instid1(VALU_DEP_2)
	v_subrev_nc_u32_e32 v42, 28, v39
	v_sub_nc_u32_e32 v39, 29, v39
	v_cndmask_b32_e64 v2, 0, v42, s0
	s_delay_alu instid0(VALU_DEP_2) | instskip(NEXT) | instid1(VALU_DEP_2)
	v_cndmask_b32_e64 v39, v41, v39, s0
	v_lshlrev_b64 v[41:42], v2, v[8:9]
	v_lshlrev_b32_e32 v2, 8, v8
	s_delay_alu instid0(VALU_DEP_3) | instskip(NEXT) | instid1(VALU_DEP_3)
	v_lshl_add_u32 v39, v39, 10, 0x2000
	v_lshlrev_b32_e32 v41, 7, v41
	s_delay_alu instid0(VALU_DEP_2) | instskip(NEXT) | instid1(VALU_DEP_1)
	v_and_or_b32 v2, 0x8000, v2, v39
	v_and_or_b32 v2, 0x380, v41, v2
	s_delay_alu instid0(VALU_DEP_1)
	v_cvt_f32_f16_e32 v39, v2
.LBB327_479:                            ;   in Loop: Header=BB327_289 Depth=1
	s_or_b32 exec_lo, exec_lo, s16
.LBB327_480:                            ;   in Loop: Header=BB327_289 Depth=1
	s_delay_alu instid0(SALU_CYCLE_1)
	s_or_b32 exec_lo, exec_lo, s14
.LBB327_481:                            ;   in Loop: Header=BB327_289 Depth=1
	s_delay_alu instid0(SALU_CYCLE_1) | instskip(SKIP_2) | instid1(VALU_DEP_1)
	s_or_b32 exec_lo, exec_lo, s13
	v_lshrrev_b16 v2, 8, v8
	s_mov_b32 s13, exec_lo
	v_cmpx_ne_u16_e32 0, v2
	s_cbranch_execz .LBB327_489
; %bb.482:                              ;   in Loop: Header=BB327_289 Depth=1
	v_bfrev_b32_e32 v40, 1
	s_mov_b32 s14, exec_lo
	v_cmpx_ne_u16_e32 0x80, v2
	s_cbranch_execz .LBB327_488
; %bb.483:                              ;   in Loop: Header=BB327_289 Depth=1
	v_and_b32_e32 v41, 0xffff, v2
	v_mov_b32_e32 v40, 0x7fc02000
	s_mov_b32 s16, exec_lo
	s_delay_alu instid0(VALU_DEP_2) | instskip(NEXT) | instid1(VALU_DEP_1)
	v_and_b32_e32 v42, 0x7f, v41
	v_cmpx_ne_u32_e32 0x7f, v42
	s_cbranch_execz .LBB327_487
; %bb.484:                              ;   in Loop: Header=BB327_289 Depth=1
	v_and_b32_e32 v2, 7, v41
	v_lshrrev_b32_e32 v40, 3, v42
	s_mov_b32 s17, exec_lo
	v_cmpx_gt_u32_e32 8, v42
; %bb.485:                              ;   in Loop: Header=BB327_289 Depth=1
	s_delay_alu instid0(VALU_DEP_3) | instskip(NEXT) | instid1(VALU_DEP_1)
	v_clz_i32_u32_e32 v40, v2
	v_min_u32_e32 v40, 32, v40
	s_delay_alu instid0(VALU_DEP_1) | instskip(SKIP_1) | instid1(VALU_DEP_2)
	v_subrev_nc_u32_e32 v42, 28, v40
	v_sub_nc_u32_e32 v40, 29, v40
	v_lshlrev_b64 v[42:43], v42, v[2:3]
	s_delay_alu instid0(VALU_DEP_1)
	v_and_b32_e32 v2, 7, v42
; %bb.486:                              ;   in Loop: Header=BB327_289 Depth=1
	s_or_b32 exec_lo, exec_lo, s17
	v_lshlrev_b32_e32 v41, 8, v41
	v_lshl_add_u32 v40, v40, 10, 0x2000
	s_delay_alu instid0(VALU_DEP_1) | instskip(NEXT) | instid1(VALU_DEP_1)
	v_and_or_b32 v40, 0x8000, v41, v40
	v_lshl_or_b32 v2, v2, 7, v40
	s_delay_alu instid0(VALU_DEP_1)
	v_cvt_f32_f16_e32 v40, v2
.LBB327_487:                            ;   in Loop: Header=BB327_289 Depth=1
	s_or_b32 exec_lo, exec_lo, s16
.LBB327_488:                            ;   in Loop: Header=BB327_289 Depth=1
	s_delay_alu instid0(SALU_CYCLE_1)
	s_or_b32 exec_lo, exec_lo, s14
.LBB327_489:                            ;   in Loop: Header=BB327_289 Depth=1
	s_delay_alu instid0(SALU_CYCLE_1) | instskip(SKIP_3) | instid1(VALU_DEP_2)
	s_or_b32 exec_lo, exec_lo, s13
	v_lshrrev_b32_e32 v43, 16, v8
	v_mov_b32_e32 v42, 0
	s_mov_b32 s13, exec_lo
	v_dual_mov_b32 v41, 0 :: v_dual_and_b32 v2, 0xff, v43
	s_delay_alu instid0(VALU_DEP_1)
	v_cmpx_ne_u16_e32 0, v2
	s_cbranch_execz .LBB327_497
; %bb.490:                              ;   in Loop: Header=BB327_289 Depth=1
	v_bfrev_b32_e32 v41, 1
	s_mov_b32 s14, exec_lo
	v_cmpx_ne_u16_e32 0x80, v2
	s_cbranch_execz .LBB327_496
; %bb.491:                              ;   in Loop: Header=BB327_289 Depth=1
	v_bfe_u32 v44, v8, 16, 7
	v_mov_b32_e32 v41, 0x7fc02000
	s_mov_b32 s16, exec_lo
	s_delay_alu instid0(VALU_DEP_2)
	v_cmpx_ne_u32_e32 0x7f, v44
	s_cbranch_execz .LBB327_495
; %bb.492:                              ;   in Loop: Header=BB327_289 Depth=1
	v_and_b32_e32 v2, 7, v43
	v_lshrrev_b32_e32 v41, 3, v44
	s_mov_b32 s17, exec_lo
	v_cmpx_gt_u32_e32 8, v44
; %bb.493:                              ;   in Loop: Header=BB327_289 Depth=1
	s_delay_alu instid0(VALU_DEP_3) | instskip(NEXT) | instid1(VALU_DEP_1)
	v_clz_i32_u32_e32 v41, v2
	v_min_u32_e32 v41, 32, v41
	s_delay_alu instid0(VALU_DEP_1) | instskip(SKIP_1) | instid1(VALU_DEP_2)
	v_subrev_nc_u32_e32 v44, 28, v41
	v_sub_nc_u32_e32 v41, 29, v41
	v_lshlrev_b64 v[44:45], v44, v[2:3]
	s_delay_alu instid0(VALU_DEP_1)
	v_and_b32_e32 v2, 7, v44
; %bb.494:                              ;   in Loop: Header=BB327_289 Depth=1
	s_or_b32 exec_lo, exec_lo, s17
	v_lshlrev_b32_e32 v43, 8, v43
	v_lshl_add_u32 v41, v41, 10, 0x2000
	s_delay_alu instid0(VALU_DEP_1) | instskip(NEXT) | instid1(VALU_DEP_1)
	v_and_or_b32 v41, 0x8000, v43, v41
	v_lshl_or_b32 v2, v2, 7, v41
	s_delay_alu instid0(VALU_DEP_1)
	v_cvt_f32_f16_e32 v41, v2
.LBB327_495:                            ;   in Loop: Header=BB327_289 Depth=1
	s_or_b32 exec_lo, exec_lo, s16
.LBB327_496:                            ;   in Loop: Header=BB327_289 Depth=1
	s_delay_alu instid0(SALU_CYCLE_1)
	s_or_b32 exec_lo, exec_lo, s14
.LBB327_497:                            ;   in Loop: Header=BB327_289 Depth=1
	s_delay_alu instid0(SALU_CYCLE_1) | instskip(NEXT) | instid1(SALU_CYCLE_1)
	s_or_b32 exec_lo, exec_lo, s13
	s_mov_b32 s13, exec_lo
	v_cmpx_lt_u32_e32 0xffffff, v8
	s_cbranch_execz .LBB327_505
; %bb.498:                              ;   in Loop: Header=BB327_289 Depth=1
	v_lshrrev_b32_e32 v43, 24, v8
	v_bfrev_b32_e32 v42, 1
	s_mov_b32 s14, exec_lo
	s_delay_alu instid0(VALU_DEP_2)
	v_cmpx_ne_u32_e32 0x80, v43
	s_cbranch_execz .LBB327_504
; %bb.499:                              ;   in Loop: Header=BB327_289 Depth=1
	v_and_b32_e32 v44, 0x7f, v43
	v_mov_b32_e32 v42, 0x7fc02000
	s_mov_b32 s16, exec_lo
	s_delay_alu instid0(VALU_DEP_2)
	v_cmpx_ne_u32_e32 0x7f, v44
	s_cbranch_execz .LBB327_503
; %bb.500:                              ;   in Loop: Header=BB327_289 Depth=1
	v_and_b32_e32 v2, 7, v43
	v_lshrrev_b32_e32 v42, 3, v44
	s_mov_b32 s17, exec_lo
	v_cmpx_gt_u32_e32 8, v44
; %bb.501:                              ;   in Loop: Header=BB327_289 Depth=1
	s_delay_alu instid0(VALU_DEP_3) | instskip(NEXT) | instid1(VALU_DEP_1)
	v_clz_i32_u32_e32 v42, v2
	v_min_u32_e32 v42, 32, v42
	s_delay_alu instid0(VALU_DEP_1) | instskip(SKIP_1) | instid1(VALU_DEP_2)
	v_subrev_nc_u32_e32 v44, 28, v42
	v_sub_nc_u32_e32 v42, 29, v42
	v_lshlrev_b64 v[44:45], v44, v[2:3]
	s_delay_alu instid0(VALU_DEP_1)
	v_and_b32_e32 v2, 7, v44
; %bb.502:                              ;   in Loop: Header=BB327_289 Depth=1
	s_or_b32 exec_lo, exec_lo, s17
	v_lshlrev_b32_e32 v43, 8, v43
	v_lshl_add_u32 v42, v42, 10, 0x2000
	s_delay_alu instid0(VALU_DEP_1) | instskip(NEXT) | instid1(VALU_DEP_1)
	v_and_or_b32 v42, 0x8000, v43, v42
	v_lshl_or_b32 v2, v2, 7, v42
	s_delay_alu instid0(VALU_DEP_1)
	v_cvt_f32_f16_e32 v42, v2
.LBB327_503:                            ;   in Loop: Header=BB327_289 Depth=1
	s_or_b32 exec_lo, exec_lo, s16
.LBB327_504:                            ;   in Loop: Header=BB327_289 Depth=1
	s_delay_alu instid0(SALU_CYCLE_1)
	s_or_b32 exec_lo, exec_lo, s14
.LBB327_505:                            ;   in Loop: Header=BB327_289 Depth=1
	s_delay_alu instid0(SALU_CYCLE_1) | instskip(SKIP_3) | instid1(VALU_DEP_2)
	s_or_b32 exec_lo, exec_lo, s13
	v_dual_mov_b32 v2, v9 :: v_dual_and_b32 v45, 0xff, v9
	v_dual_mov_b32 v44, 0 :: v_dual_mov_b32 v43, 0
	s_mov_b32 s13, exec_lo
	v_cmpx_ne_u16_e32 0, v45
	s_cbranch_execz .LBB327_511
; %bb.506:                              ;   in Loop: Header=BB327_289 Depth=1
	v_bfrev_b32_e32 v43, 1
	s_mov_b32 s14, exec_lo
	v_cmpx_ne_u16_e32 0x80, v45
	s_cbranch_execz .LBB327_510
; %bb.507:                              ;   in Loop: Header=BB327_289 Depth=1
	v_and_b32_e32 v45, 0x7f, v9
	v_mov_b32_e32 v43, 0x7fc02000
	s_mov_b32 s16, exec_lo
	s_delay_alu instid0(VALU_DEP_2)
	v_cmpx_ne_u32_e32 0x7f, v45
	s_cbranch_execz .LBB327_509
; %bb.508:                              ;   in Loop: Header=BB327_289 Depth=1
	v_and_b32_e32 v43, 7, v9
	v_cmp_gt_u32_e64 s0, 8, v45
	v_lshrrev_b32_e32 v46, 3, v45
	s_delay_alu instid0(VALU_DEP_3) | instskip(NEXT) | instid1(VALU_DEP_1)
	v_clz_i32_u32_e32 v43, v43
	v_min_u32_e32 v43, 32, v43
	s_delay_alu instid0(VALU_DEP_1) | instskip(SKIP_1) | instid1(VALU_DEP_2)
	v_subrev_nc_u32_e32 v47, 28, v43
	v_sub_nc_u32_e32 v43, 29, v43
	v_cndmask_b32_e64 v45, 0, v47, s0
	s_delay_alu instid0(VALU_DEP_2) | instskip(NEXT) | instid1(VALU_DEP_2)
	v_cndmask_b32_e64 v43, v46, v43, s0
	v_lshlrev_b64 v[45:46], v45, v[2:3]
	v_lshlrev_b32_e32 v46, 8, v9
	s_delay_alu instid0(VALU_DEP_3) | instskip(NEXT) | instid1(VALU_DEP_3)
	v_lshl_add_u32 v43, v43, 10, 0x2000
	v_lshlrev_b32_e32 v45, 7, v45
	s_delay_alu instid0(VALU_DEP_2) | instskip(NEXT) | instid1(VALU_DEP_1)
	v_and_or_b32 v43, 0x8000, v46, v43
	v_and_or_b32 v43, 0x380, v45, v43
	s_delay_alu instid0(VALU_DEP_1)
	v_cvt_f32_f16_e32 v43, v43
.LBB327_509:                            ;   in Loop: Header=BB327_289 Depth=1
	s_or_b32 exec_lo, exec_lo, s16
.LBB327_510:                            ;   in Loop: Header=BB327_289 Depth=1
	s_delay_alu instid0(SALU_CYCLE_1)
	s_or_b32 exec_lo, exec_lo, s14
.LBB327_511:                            ;   in Loop: Header=BB327_289 Depth=1
	s_delay_alu instid0(SALU_CYCLE_1) | instskip(SKIP_2) | instid1(VALU_DEP_1)
	s_or_b32 exec_lo, exec_lo, s13
	v_lshrrev_b16 v2, 8, v2
	s_mov_b32 s13, exec_lo
	v_cmpx_ne_u16_e32 0, v2
	s_cbranch_execz .LBB327_519
; %bb.512:                              ;   in Loop: Header=BB327_289 Depth=1
	v_bfrev_b32_e32 v44, 1
	s_mov_b32 s14, exec_lo
	v_cmpx_ne_u16_e32 0x80, v2
	s_cbranch_execz .LBB327_518
; %bb.513:                              ;   in Loop: Header=BB327_289 Depth=1
	v_and_b32_e32 v45, 0xffff, v2
	v_mov_b32_e32 v44, 0x7fc02000
	s_mov_b32 s16, exec_lo
	s_delay_alu instid0(VALU_DEP_2) | instskip(NEXT) | instid1(VALU_DEP_1)
	v_and_b32_e32 v46, 0x7f, v45
	v_cmpx_ne_u32_e32 0x7f, v46
	s_cbranch_execz .LBB327_517
; %bb.514:                              ;   in Loop: Header=BB327_289 Depth=1
	v_and_b32_e32 v2, 7, v45
	v_lshrrev_b32_e32 v44, 3, v46
	s_mov_b32 s17, exec_lo
	v_cmpx_gt_u32_e32 8, v46
; %bb.515:                              ;   in Loop: Header=BB327_289 Depth=1
	s_delay_alu instid0(VALU_DEP_3) | instskip(NEXT) | instid1(VALU_DEP_1)
	v_clz_i32_u32_e32 v44, v2
	v_min_u32_e32 v44, 32, v44
	s_delay_alu instid0(VALU_DEP_1) | instskip(SKIP_1) | instid1(VALU_DEP_2)
	v_subrev_nc_u32_e32 v46, 28, v44
	v_sub_nc_u32_e32 v44, 29, v44
	v_lshlrev_b64 v[46:47], v46, v[2:3]
	s_delay_alu instid0(VALU_DEP_1)
	v_and_b32_e32 v2, 7, v46
; %bb.516:                              ;   in Loop: Header=BB327_289 Depth=1
	s_or_b32 exec_lo, exec_lo, s17
	v_lshlrev_b32_e32 v45, 8, v45
	v_lshl_add_u32 v44, v44, 10, 0x2000
	s_delay_alu instid0(VALU_DEP_1) | instskip(NEXT) | instid1(VALU_DEP_1)
	v_and_or_b32 v44, 0x8000, v45, v44
	v_lshl_or_b32 v2, v2, 7, v44
	s_delay_alu instid0(VALU_DEP_1)
	v_cvt_f32_f16_e32 v44, v2
.LBB327_517:                            ;   in Loop: Header=BB327_289 Depth=1
	s_or_b32 exec_lo, exec_lo, s16
.LBB327_518:                            ;   in Loop: Header=BB327_289 Depth=1
	s_delay_alu instid0(SALU_CYCLE_1)
	s_or_b32 exec_lo, exec_lo, s14
.LBB327_519:                            ;   in Loop: Header=BB327_289 Depth=1
	s_delay_alu instid0(SALU_CYCLE_1) | instskip(SKIP_3) | instid1(VALU_DEP_2)
	s_or_b32 exec_lo, exec_lo, s13
	v_lshrrev_b32_e32 v47, 16, v9
	v_mov_b32_e32 v46, 0
	s_mov_b32 s13, exec_lo
	v_dual_mov_b32 v45, 0 :: v_dual_and_b32 v2, 0xff, v47
	s_delay_alu instid0(VALU_DEP_1)
	v_cmpx_ne_u16_e32 0, v2
	s_cbranch_execz .LBB327_527
; %bb.520:                              ;   in Loop: Header=BB327_289 Depth=1
	v_bfrev_b32_e32 v45, 1
	s_mov_b32 s14, exec_lo
	v_cmpx_ne_u16_e32 0x80, v2
	s_cbranch_execz .LBB327_526
; %bb.521:                              ;   in Loop: Header=BB327_289 Depth=1
	v_bfe_u32 v48, v9, 16, 7
	v_mov_b32_e32 v45, 0x7fc02000
	s_mov_b32 s16, exec_lo
	s_delay_alu instid0(VALU_DEP_2)
	v_cmpx_ne_u32_e32 0x7f, v48
	s_cbranch_execz .LBB327_525
; %bb.522:                              ;   in Loop: Header=BB327_289 Depth=1
	v_and_b32_e32 v2, 7, v47
	v_lshrrev_b32_e32 v45, 3, v48
	s_mov_b32 s17, exec_lo
	v_cmpx_gt_u32_e32 8, v48
; %bb.523:                              ;   in Loop: Header=BB327_289 Depth=1
	s_delay_alu instid0(VALU_DEP_3) | instskip(NEXT) | instid1(VALU_DEP_1)
	v_clz_i32_u32_e32 v45, v2
	v_min_u32_e32 v45, 32, v45
	s_delay_alu instid0(VALU_DEP_1) | instskip(SKIP_1) | instid1(VALU_DEP_2)
	v_subrev_nc_u32_e32 v48, 28, v45
	v_sub_nc_u32_e32 v45, 29, v45
	v_lshlrev_b64 v[48:49], v48, v[2:3]
	s_delay_alu instid0(VALU_DEP_1)
	v_and_b32_e32 v2, 7, v48
; %bb.524:                              ;   in Loop: Header=BB327_289 Depth=1
	s_or_b32 exec_lo, exec_lo, s17
	v_lshlrev_b32_e32 v47, 8, v47
	v_lshl_add_u32 v45, v45, 10, 0x2000
	s_delay_alu instid0(VALU_DEP_1) | instskip(NEXT) | instid1(VALU_DEP_1)
	v_and_or_b32 v45, 0x8000, v47, v45
	v_lshl_or_b32 v2, v2, 7, v45
	s_delay_alu instid0(VALU_DEP_1)
	v_cvt_f32_f16_e32 v45, v2
.LBB327_525:                            ;   in Loop: Header=BB327_289 Depth=1
	s_or_b32 exec_lo, exec_lo, s16
.LBB327_526:                            ;   in Loop: Header=BB327_289 Depth=1
	s_delay_alu instid0(SALU_CYCLE_1)
	s_or_b32 exec_lo, exec_lo, s14
.LBB327_527:                            ;   in Loop: Header=BB327_289 Depth=1
	s_delay_alu instid0(SALU_CYCLE_1) | instskip(NEXT) | instid1(SALU_CYCLE_1)
	s_or_b32 exec_lo, exec_lo, s13
	s_mov_b32 s13, exec_lo
	v_cmpx_lt_u64_e64 s[2:3], v[8:9]
	s_cbranch_execz .LBB327_535
; %bb.528:                              ;   in Loop: Header=BB327_289 Depth=1
	v_lshrrev_b32_e32 v8, 24, v9
	v_bfrev_b32_e32 v46, 1
	s_mov_b32 s14, exec_lo
	s_delay_alu instid0(VALU_DEP_2)
	v_cmpx_ne_u32_e32 0x80, v8
	s_cbranch_execz .LBB327_534
; %bb.529:                              ;   in Loop: Header=BB327_289 Depth=1
	v_and_b32_e32 v47, 0x7f, v8
	v_mov_b32_e32 v46, 0x7fc02000
	s_mov_b32 s16, exec_lo
	s_delay_alu instid0(VALU_DEP_2)
	v_cmpx_ne_u32_e32 0x7f, v47
	s_cbranch_execz .LBB327_533
; %bb.530:                              ;   in Loop: Header=BB327_289 Depth=1
	v_and_b32_e32 v2, 7, v8
	v_lshrrev_b32_e32 v9, 3, v47
	s_mov_b32 s17, exec_lo
	v_cmpx_gt_u32_e32 8, v47
; %bb.531:                              ;   in Loop: Header=BB327_289 Depth=1
	s_delay_alu instid0(VALU_DEP_3) | instskip(NEXT) | instid1(VALU_DEP_1)
	v_clz_i32_u32_e32 v9, v2
	v_min_u32_e32 v9, 32, v9
	s_delay_alu instid0(VALU_DEP_1) | instskip(SKIP_1) | instid1(VALU_DEP_2)
	v_subrev_nc_u32_e32 v46, 28, v9
	v_sub_nc_u32_e32 v9, 29, v9
	v_lshlrev_b64 v[46:47], v46, v[2:3]
	s_delay_alu instid0(VALU_DEP_1)
	v_and_b32_e32 v2, 7, v46
; %bb.532:                              ;   in Loop: Header=BB327_289 Depth=1
	s_or_b32 exec_lo, exec_lo, s17
	v_lshlrev_b32_e32 v8, 8, v8
	v_lshl_add_u32 v9, v9, 10, 0x2000
	s_delay_alu instid0(VALU_DEP_1) | instskip(NEXT) | instid1(VALU_DEP_1)
	v_and_or_b32 v8, 0x8000, v8, v9
	v_lshl_or_b32 v2, v2, 7, v8
	s_delay_alu instid0(VALU_DEP_1)
	v_cvt_f32_f16_e32 v46, v2
.LBB327_533:                            ;   in Loop: Header=BB327_289 Depth=1
	s_or_b32 exec_lo, exec_lo, s16
.LBB327_534:                            ;   in Loop: Header=BB327_289 Depth=1
	s_delay_alu instid0(SALU_CYCLE_1)
	s_or_b32 exec_lo, exec_lo, s14
.LBB327_535:                            ;   in Loop: Header=BB327_289 Depth=1
	s_delay_alu instid0(SALU_CYCLE_1)
	s_or_b32 exec_lo, exec_lo, s13
	s_waitcnt vmcnt(0)
	v_fma_mixlo_f16 v9, v38, v40, 0
	v_fma_mixlo_f16 v2, v38, v42, 0
	;; [unrolled: 1-line block ×5, first 2 shown]
	v_lshlrev_b32_e32 v40, 16, v9
	v_fma_mixlo_f16 v9, v38, v39, 0
	v_fma_mixlo_f16 v39, v38, v44, 0
	v_fma_mixlo_f16 v38, v38, v45, 0
	v_lshlrev_b32_e32 v2, 16, v2
	v_and_b32_e32 v8, 0xffff, v8
	v_and_b32_e32 v43, 0xffff, v9
	v_lshlrev_b32_e32 v44, 16, v39
	v_and_b32_e32 v41, 0xffff, v41
	v_lshlrev_b32_e32 v42, 16, v42
	v_and_b32_e32 v45, 0xffff, v38
	v_or_b32_e32 v9, v2, v8
	v_or_b32_e32 v39, v40, v43
	;; [unrolled: 1-line block ×3, first 2 shown]
	s_delay_alu instid0(VALU_DEP_4)
	v_or_b32_e32 v8, v42, v45
	s_and_saveexec_b32 s0, vcc_lo
	s_cbranch_execz .LBB327_288
; %bb.536:                              ;   in Loop: Header=BB327_289 Depth=1
	v_cmp_gt_i32_e32 vcc_lo, s15, v15
	v_lshrrev_b32_e32 v40, 16, v39
	v_lshrrev_b32_e32 v41, 16, v9
	v_lshrrev_b32_e32 v8, 16, v8
	v_cndmask_b32_e32 v39, 0, v39, vcc_lo
	v_cmp_gt_i32_e32 vcc_lo, s10, v29
	v_cndmask_b32_e32 v29, 0, v40, vcc_lo
	v_cmp_gt_i32_e32 vcc_lo, s10, v28
	v_lshrrev_b32_e32 v40, 16, v2
	v_cndmask_b32_e32 v28, 0, v41, vcc_lo
	v_cmp_gt_i32_e32 vcc_lo, s15, v27
	v_cndmask_b32_e32 v9, 0, v9, vcc_lo
	v_cmp_gt_i32_e32 vcc_lo, s10, v26
	v_cndmask_b32_e32 v26, 0, v40, vcc_lo
	v_cmp_gt_i32_e32 vcc_lo, s15, v25
	s_delay_alu instid0(VALU_DEP_4) | instskip(SKIP_3) | instid1(VALU_DEP_3)
	v_perm_b32 v9, v28, v9, 0x5040100
	v_cndmask_b32_e32 v2, 0, v2, vcc_lo
	v_cmp_gt_i32_e32 vcc_lo, s10, v24
	v_perm_b32 v39, v29, v39, 0x5040100
	v_perm_b32 v2, v26, v2, 0x5040100
	v_cndmask_b32_e32 v8, 0, v8, vcc_lo
	v_cmp_gt_i32_e32 vcc_lo, s15, v23
	v_cndmask_b32_e32 v23, 0, v38, vcc_lo
	s_delay_alu instid0(VALU_DEP_1)
	v_perm_b32 v8, v8, v23, 0x5040100
	s_branch .LBB327_288
.LBB327_537:
	s_or_b32 exec_lo, exec_lo, s5
.LBB327_538:
	s_delay_alu instid0(SALU_CYCLE_1)
	s_or_b32 exec_lo, exec_lo, s1
	ds_bpermute_b32 v1, v17, v18
	ds_bpermute_b32 v2, v17, v21
	;; [unrolled: 1-line block ×4, first 2 shown]
	v_lshrrev_b32_e32 v5, 1, v16
	v_lshl_add_u32 v6, v14, 8, 0xa0
	v_and_b32_e32 v9, 0x3c1, v0
	s_mov_b32 s0, exec_lo
	s_waitcnt lgkmcnt(0)
	s_waitcnt_vscnt null, 0x0
	s_barrier
	buffer_gl0_inv
	v_dual_add_f32 v4, v18, v1 :: v_dual_add_f32 v3, v21, v2
	v_dual_add_f32 v2, v20, v7 :: v_dual_add_f32 v1, v19, v8
	v_cmpx_eq_u32_e32 64, v9
	s_cbranch_execz .LBB327_540
; %bb.539:
	v_lshlrev_b32_e32 v7, 2, v5
	s_delay_alu instid0(VALU_DEP_1)
	v_add3_u32 v7, v6, v7, 0xfffffe00
	ds_store_2addr_b32 v7, v4, v3 offset1:16
	ds_store_2addr_b32 v7, v2, v1 offset0:32 offset1:48
.LBB327_540:
	s_or_b32 exec_lo, exec_lo, s0
	v_cmp_eq_u32_e32 vcc_lo, 0, v13
	s_mov_b32 s1, exec_lo
	s_waitcnt lgkmcnt(0)
	s_barrier
	buffer_gl0_inv
	v_cmpx_gt_u32_e32 64, v0
	s_cbranch_execz .LBB327_547
; %bb.541:
	s_and_saveexec_b32 s0, vcc_lo
	s_cbranch_execnz .LBB327_559
; %bb.542:
	s_or_b32 exec_lo, exec_lo, s0
	s_and_saveexec_b32 s0, vcc_lo
	s_cbranch_execnz .LBB327_560
.LBB327_543:
	s_or_b32 exec_lo, exec_lo, s0
	s_and_saveexec_b32 s0, vcc_lo
	s_cbranch_execnz .LBB327_561
.LBB327_544:
	s_or_b32 exec_lo, exec_lo, s0
	s_and_saveexec_b32 s0, vcc_lo
	s_cbranch_execz .LBB327_546
.LBB327_545:
	v_lshl_add_u32 v7, v5, 2, v6
	ds_load_b32 v7, v7 offset:192
	s_waitcnt lgkmcnt(0)
	v_add_f32_e32 v1, v1, v7
.LBB327_546:
	s_or_b32 exec_lo, exec_lo, s0
.LBB327_547:
	s_delay_alu instid0(SALU_CYCLE_1)
	s_or_b32 exec_lo, exec_lo, s1
	v_and_b32_e32 v7, 0x3e1, v0
	s_mov_b32 s1, exec_lo
	s_barrier
	buffer_gl0_inv
	v_cmpx_eq_u32_e32 32, v7
	s_cbranch_execz .LBB327_549
; %bb.548:
	v_lshl_add_u32 v8, v5, 2, 0xa0
	ds_store_2addr_b32 v8, v4, v3 offset1:16
	ds_store_2addr_b32 v8, v2, v1 offset0:32 offset1:48
.LBB327_549:
	s_or_b32 exec_lo, exec_lo, s1
	s_delay_alu instid0(SALU_CYCLE_1)
	s_mov_b32 s1, exec_lo
	s_waitcnt lgkmcnt(0)
	s_barrier
	buffer_gl0_inv
	v_cmpx_gt_u32_e32 32, v0
	s_cbranch_execz .LBB327_556
; %bb.550:
	v_lshl_add_u32 v0, v5, 2, v6
	s_and_saveexec_b32 s0, vcc_lo
	s_cbranch_execnz .LBB327_562
; %bb.551:
	s_or_b32 exec_lo, exec_lo, s0
	s_and_saveexec_b32 s0, vcc_lo
	s_cbranch_execnz .LBB327_563
.LBB327_552:
	s_or_b32 exec_lo, exec_lo, s0
	s_and_saveexec_b32 s0, vcc_lo
	s_cbranch_execnz .LBB327_564
.LBB327_553:
	s_or_b32 exec_lo, exec_lo, s0
	s_and_saveexec_b32 s0, vcc_lo
	s_cbranch_execz .LBB327_555
.LBB327_554:
	ds_load_b32 v0, v0 offset:192
	s_waitcnt lgkmcnt(0)
	v_add_f32_e32 v1, v1, v0
.LBB327_555:
	s_or_b32 exec_lo, exec_lo, s0
.LBB327_556:
	s_delay_alu instid0(SALU_CYCLE_1)
	s_or_b32 exec_lo, exec_lo, s1
	s_barrier
	buffer_gl0_inv
	s_mov_b32 s0, exec_lo
	v_cmpx_eq_u32_e32 0, v7
	s_cbranch_execz .LBB327_558
; %bb.557:
	s_lshl_b32 s0, s4, 6
	s_mul_i32 s2, s8, s20
	s_ashr_i32 s1, s0, 31
	v_lshlrev_b32_e32 v0, 1, v12
	s_lshl_b64 s[0:1], s[0:1], 1
	;;#ASMSTART
	v_cvt_f16_f32 v4, v4;

	;;#ASMEND
	s_add_u32 s4, s22, s0
	s_addc_u32 s5, s23, s1
	s_ashr_i32 s3, s2, 31
	s_delay_alu instid0(SALU_CYCLE_1) | instskip(NEXT) | instid1(SALU_CYCLE_1)
	s_lshl_b64 s[0:1], s[2:3], 1
	s_add_u32 s2, s4, s0
	s_addc_u32 s3, s5, s1
	s_lshl_b32 s0, s12, 6
	s_delay_alu instid0(SALU_CYCLE_1) | instskip(NEXT) | instid1(SALU_CYCLE_1)
	s_ashr_i32 s1, s0, 31
	s_lshl_b64 s[0:1], s[0:1], 1
	s_delay_alu instid0(SALU_CYCLE_1)
	s_add_u32 s0, s2, s0
	s_addc_u32 s1, s3, s1
	global_store_b16 v0, v4, s[0:1]
	;;#ASMSTART
	v_cvt_f16_f32 v3, v3;

	;;#ASMEND
	global_store_b16 v0, v3, s[0:1] offset:32
	;;#ASMSTART
	v_cvt_f16_f32 v2, v2;

	;;#ASMEND
	global_store_b16 v0, v2, s[0:1] offset:64
	;; [unrolled: 5-line block ×3, first 2 shown]
.LBB327_558:
	s_nop 0
	s_sendmsg sendmsg(MSG_DEALLOC_VGPRS)
	s_endpgm
.LBB327_559:
	v_lshl_add_u32 v7, v5, 2, v6
	ds_load_b32 v7, v7
	s_waitcnt lgkmcnt(0)
	v_add_f32_e32 v4, v4, v7
	s_or_b32 exec_lo, exec_lo, s0
	s_and_saveexec_b32 s0, vcc_lo
	s_cbranch_execz .LBB327_543
.LBB327_560:
	v_lshl_add_u32 v7, v5, 2, v6
	ds_load_b32 v7, v7 offset:64
	s_waitcnt lgkmcnt(0)
	v_add_f32_e32 v3, v3, v7
	s_or_b32 exec_lo, exec_lo, s0
	s_and_saveexec_b32 s0, vcc_lo
	s_cbranch_execz .LBB327_544
.LBB327_561:
	v_lshl_add_u32 v7, v5, 2, v6
	ds_load_b32 v7, v7 offset:128
	s_waitcnt lgkmcnt(0)
	v_add_f32_e32 v2, v2, v7
	s_or_b32 exec_lo, exec_lo, s0
	s_and_saveexec_b32 s0, vcc_lo
	s_cbranch_execnz .LBB327_545
	s_branch .LBB327_546
.LBB327_562:
	ds_load_b32 v5, v0
	s_waitcnt lgkmcnt(0)
	v_add_f32_e32 v4, v4, v5
	s_or_b32 exec_lo, exec_lo, s0
	s_and_saveexec_b32 s0, vcc_lo
	s_cbranch_execz .LBB327_552
.LBB327_563:
	ds_load_b32 v5, v0 offset:64
	s_waitcnt lgkmcnt(0)
	v_add_f32_e32 v3, v3, v5
	s_or_b32 exec_lo, exec_lo, s0
	s_and_saveexec_b32 s0, vcc_lo
	s_cbranch_execz .LBB327_553
.LBB327_564:
	ds_load_b32 v5, v0 offset:128
	s_waitcnt lgkmcnt(0)
	v_add_f32_e32 v2, v2, v5
	s_or_b32 exec_lo, exec_lo, s0
	s_and_saveexec_b32 s0, vcc_lo
	s_cbranch_execnz .LBB327_554
	s_branch .LBB327_555
	.section	.rodata,"a",@progbits
	.p2align	6, 0x0
	.amdhsa_kernel _ZN4vllm25paged_attention_v2_kernelIthLi64ELi16ELi128ELNS_18Fp8KVCacheDataTypeE1ELb0ELi512EEEvPfS2_PT_PKS3_PKT0_S9_ifPKiSB_iPKfiiiSD_SD_iiiii
		.amdhsa_group_segment_fixed_size 160
		.amdhsa_private_segment_fixed_size 0
		.amdhsa_kernarg_size 400
		.amdhsa_user_sgpr_count 13
		.amdhsa_user_sgpr_dispatch_ptr 0
		.amdhsa_user_sgpr_queue_ptr 0
		.amdhsa_user_sgpr_kernarg_segment_ptr 1
		.amdhsa_user_sgpr_dispatch_id 0
		.amdhsa_user_sgpr_private_segment_size 0
		.amdhsa_wavefront_size32 1
		.amdhsa_uses_dynamic_stack 0
		.amdhsa_enable_private_segment 0
		.amdhsa_system_sgpr_workgroup_id_x 1
		.amdhsa_system_sgpr_workgroup_id_y 1
		.amdhsa_system_sgpr_workgroup_id_z 1
		.amdhsa_system_sgpr_workgroup_info 0
		.amdhsa_system_vgpr_workitem_id 0
		.amdhsa_next_free_vgpr 81
		.amdhsa_next_free_sgpr 43
		.amdhsa_reserve_vcc 1
		.amdhsa_float_round_mode_32 0
		.amdhsa_float_round_mode_16_64 0
		.amdhsa_float_denorm_mode_32 3
		.amdhsa_float_denorm_mode_16_64 3
		.amdhsa_dx10_clamp 1
		.amdhsa_ieee_mode 1
		.amdhsa_fp16_overflow 0
		.amdhsa_workgroup_processor_mode 1
		.amdhsa_memory_ordered 1
		.amdhsa_forward_progress 0
		.amdhsa_shared_vgpr_count 0
		.amdhsa_exception_fp_ieee_invalid_op 0
		.amdhsa_exception_fp_denorm_src 0
		.amdhsa_exception_fp_ieee_div_zero 0
		.amdhsa_exception_fp_ieee_overflow 0
		.amdhsa_exception_fp_ieee_underflow 0
		.amdhsa_exception_fp_ieee_inexact 0
		.amdhsa_exception_int_div_zero 0
	.end_amdhsa_kernel
	.section	.text._ZN4vllm25paged_attention_v2_kernelIthLi64ELi16ELi128ELNS_18Fp8KVCacheDataTypeE1ELb0ELi512EEEvPfS2_PT_PKS3_PKT0_S9_ifPKiSB_iPKfiiiSD_SD_iiiii,"axG",@progbits,_ZN4vllm25paged_attention_v2_kernelIthLi64ELi16ELi128ELNS_18Fp8KVCacheDataTypeE1ELb0ELi512EEEvPfS2_PT_PKS3_PKT0_S9_ifPKiSB_iPKfiiiSD_SD_iiiii,comdat
.Lfunc_end327:
	.size	_ZN4vllm25paged_attention_v2_kernelIthLi64ELi16ELi128ELNS_18Fp8KVCacheDataTypeE1ELb0ELi512EEEvPfS2_PT_PKS3_PKT0_S9_ifPKiSB_iPKfiiiSD_SD_iiiii, .Lfunc_end327-_ZN4vllm25paged_attention_v2_kernelIthLi64ELi16ELi128ELNS_18Fp8KVCacheDataTypeE1ELb0ELi512EEEvPfS2_PT_PKS3_PKT0_S9_ifPKiSB_iPKfiiiSD_SD_iiiii
                                        ; -- End function
	.section	.AMDGPU.csdata,"",@progbits
; Kernel info:
; codeLenInByte = 22032
; NumSgprs: 45
; NumVgprs: 81
; ScratchSize: 0
; MemoryBound: 0
; FloatMode: 240
; IeeeMode: 1
; LDSByteSize: 160 bytes/workgroup (compile time only)
; SGPRBlocks: 5
; VGPRBlocks: 10
; NumSGPRsForWavesPerEU: 45
; NumVGPRsForWavesPerEU: 81
; Occupancy: 16
; WaveLimiterHint : 1
; COMPUTE_PGM_RSRC2:SCRATCH_EN: 0
; COMPUTE_PGM_RSRC2:USER_SGPR: 13
; COMPUTE_PGM_RSRC2:TRAP_HANDLER: 0
; COMPUTE_PGM_RSRC2:TGID_X_EN: 1
; COMPUTE_PGM_RSRC2:TGID_Y_EN: 1
; COMPUTE_PGM_RSRC2:TGID_Z_EN: 1
; COMPUTE_PGM_RSRC2:TIDIG_COMP_CNT: 0
	.section	.text._ZN4vllm25paged_attention_v2_kernelIthLi80ELi16ELi128ELNS_18Fp8KVCacheDataTypeE1ELb0ELi512EEEvPfS2_PT_PKS3_PKT0_S9_ifPKiSB_iPKfiiiSD_SD_iiiii,"axG",@progbits,_ZN4vllm25paged_attention_v2_kernelIthLi80ELi16ELi128ELNS_18Fp8KVCacheDataTypeE1ELb0ELi512EEEvPfS2_PT_PKS3_PKT0_S9_ifPKiSB_iPKfiiiSD_SD_iiiii,comdat
	.protected	_ZN4vllm25paged_attention_v2_kernelIthLi80ELi16ELi128ELNS_18Fp8KVCacheDataTypeE1ELb0ELi512EEEvPfS2_PT_PKS3_PKT0_S9_ifPKiSB_iPKfiiiSD_SD_iiiii ; -- Begin function _ZN4vllm25paged_attention_v2_kernelIthLi80ELi16ELi128ELNS_18Fp8KVCacheDataTypeE1ELb0ELi512EEEvPfS2_PT_PKS3_PKT0_S9_ifPKiSB_iPKfiiiSD_SD_iiiii
	.globl	_ZN4vllm25paged_attention_v2_kernelIthLi80ELi16ELi128ELNS_18Fp8KVCacheDataTypeE1ELb0ELi512EEEvPfS2_PT_PKS3_PKT0_S9_ifPKiSB_iPKfiiiSD_SD_iiiii
	.p2align	8
	.type	_ZN4vllm25paged_attention_v2_kernelIthLi80ELi16ELi128ELNS_18Fp8KVCacheDataTypeE1ELb0ELi512EEEvPfS2_PT_PKS3_PKT0_S9_ifPKiSB_iPKfiiiSD_SD_iiiii,@function
_ZN4vllm25paged_attention_v2_kernelIthLi80ELi16ELi128ELNS_18Fp8KVCacheDataTypeE1ELb0ELi512EEEvPfS2_PT_PKS3_PKT0_S9_ifPKiSB_iPKfiiiSD_SD_iiiii: ; @_ZN4vllm25paged_attention_v2_kernelIthLi80ELi16ELi128ELNS_18Fp8KVCacheDataTypeE1ELb0ELi512EEEvPfS2_PT_PKS3_PKT0_S9_ifPKiSB_iPKfiiiSD_SD_iiiii
; %bb.0:
	s_load_b64 s[2:3], s[0:1], 0x40
	s_mov_b32 s12, s15
	s_ashr_i32 s15, s14, 31
	s_delay_alu instid0(SALU_CYCLE_1)
	s_lshl_b64 s[4:5], s[14:15], 2
	s_waitcnt lgkmcnt(0)
	s_add_u32 s2, s2, s4
	s_addc_u32 s3, s3, s5
	s_lshl_b32 s33, s12, 9
	s_load_b32 s15, s[2:3], 0x0
	s_waitcnt lgkmcnt(0)
	s_cmp_ge_i32 s33, s15
	s_cbranch_scc1 .LBB328_686
; %bb.1:
	s_mov_b32 s24, s13
	s_clause 0x1
	s_load_b32 s13, s[0:1], 0x90
	s_load_b64 s[34:35], s[0:1], 0x30
	s_waitcnt lgkmcnt(0)
	s_abs_i32 s5, s13
	s_abs_i32 s2, s34
	s_delay_alu instid0(SALU_CYCLE_1) | instskip(SKIP_1) | instid1(VALU_DEP_1)
	v_cvt_f32_u32_e32 v1, s2
	s_sub_i32 s4, 0, s2
	v_rcp_iflag_f32_e32 v1, v1
	s_waitcnt_depctr 0xfff
	v_mul_f32_e32 v1, 0x4f7ffffe, v1
	s_delay_alu instid0(VALU_DEP_1) | instskip(NEXT) | instid1(VALU_DEP_1)
	v_cvt_u32_f32_e32 v1, v1
	v_readfirstlane_b32 s3, v1
	s_delay_alu instid0(VALU_DEP_1) | instskip(NEXT) | instid1(SALU_CYCLE_1)
	s_mul_i32 s4, s4, s3
	s_mul_hi_u32 s4, s3, s4
	s_delay_alu instid0(SALU_CYCLE_1)
	s_add_i32 s3, s3, s4
	s_xor_b32 s4, s13, s34
	s_mul_hi_u32 s3, s5, s3
	s_ashr_i32 s4, s4, 31
	s_mul_i32 s6, s3, s2
	s_mov_b32 s34, 0
	s_sub_i32 s5, s5, s6
	s_add_i32 s6, s3, 1
	s_sub_i32 s7, s5, s2
	s_cmp_ge_u32 s5, s2
	s_cselect_b32 s3, s6, s3
	s_cselect_b32 s5, s7, s5
	s_add_i32 s6, s3, 1
	s_cmp_ge_u32 s5, s2
	s_cselect_b32 s2, s6, s3
	s_delay_alu instid0(SALU_CYCLE_1) | instskip(NEXT) | instid1(SALU_CYCLE_1)
	s_xor_b32 s2, s2, s4
	s_sub_i32 s7, s2, s4
	s_load_b64 s[2:3], s[0:1], 0x50
	s_abs_i32 s4, s7
	s_delay_alu instid0(SALU_CYCLE_1) | instskip(SKIP_1) | instid1(VALU_DEP_1)
	v_cvt_f32_u32_e32 v1, s4
	s_sub_i32 s6, 0, s4
	v_rcp_iflag_f32_e32 v1, v1
	s_waitcnt_depctr 0xfff
	v_mul_f32_e32 v1, 0x4f7ffffe, v1
	s_delay_alu instid0(VALU_DEP_1) | instskip(NEXT) | instid1(VALU_DEP_1)
	v_cvt_u32_f32_e32 v1, v1
	v_readfirstlane_b32 s5, v1
	s_delay_alu instid0(VALU_DEP_1) | instskip(NEXT) | instid1(SALU_CYCLE_1)
	s_mul_i32 s6, s6, s5
	s_mul_hi_u32 s8, s5, s6
	s_abs_i32 s6, s24
	s_add_i32 s5, s5, s8
	s_waitcnt lgkmcnt(0)
	s_cmp_eq_u64 s[2:3], 0
	s_mul_hi_u32 s5, s6, s5
	s_cbranch_scc1 .LBB328_3
; %bb.2:
	s_ashr_i32 s25, s24, 31
	s_delay_alu instid0(SALU_CYCLE_1) | instskip(NEXT) | instid1(SALU_CYCLE_1)
	s_lshl_b64 s[8:9], s[24:25], 2
	s_add_u32 s2, s2, s8
	s_addc_u32 s3, s3, s9
	s_load_b32 s34, s[2:3], 0x0
.LBB328_3:
	s_load_b128 s[8:11], s[0:1], 0x58
	v_lshrrev_b32_e32 v12, 1, v0
	v_and_b32_e32 v13, 1, v0
	v_lshlrev_b32_e32 v11, 3, v0
	s_ashr_i32 s2, s24, 31
	s_ashr_i32 s3, s7, 31
	s_mul_i32 s20, s24, 0x50
	s_mov_b32 s7, exec_lo
	v_cmpx_gt_u32_e32 20, v0
	s_cbranch_execz .LBB328_5
; %bb.4:
	s_load_b64 s[16:17], s[0:1], 0x18
	s_waitcnt lgkmcnt(0)
	s_mul_i32 s18, s14, s8
	v_lshlrev_b32_e32 v3, 3, v12
	s_ashr_i32 s19, s18, 31
	s_delay_alu instid0(SALU_CYCLE_1) | instskip(NEXT) | instid1(VALU_DEP_1)
	s_lshl_b64 s[18:19], s[18:19], 1
	v_mad_u32_u24 v3, 0x50, v13, v3
	s_add_u32 s8, s16, s18
	s_addc_u32 s11, s17, s19
	s_ashr_i32 s21, s20, 31
	s_delay_alu instid0(SALU_CYCLE_1) | instskip(NEXT) | instid1(SALU_CYCLE_1)
	s_lshl_b64 s[16:17], s[20:21], 1
	s_add_u32 s16, s8, s16
	s_addc_u32 s17, s11, s17
	global_load_b64 v[1:2], v11, s[16:17]
	s_waitcnt vmcnt(0)
	ds_store_b64 v3, v[1:2]
.LBB328_5:
	s_or_b32 exec_lo, exec_lo, s7
	s_add_i32 s7, s15, 15
	s_lshl_b32 s25, s12, 5
	s_waitcnt lgkmcnt(0)
	s_ashr_i32 s8, s7, 31
	s_xor_b32 s2, s2, s3
	s_lshr_b32 s8, s8, 28
	s_add_i32 s3, s25, 32
	s_add_i32 s7, s7, s8
	s_clause 0x1
	s_load_b64 s[26:27], s[0:1], 0x38
	s_load_b32 s8, s[0:1], 0x48
	s_ashr_i32 s21, s7, 4
	s_mul_i32 s7, s5, s4
	s_min_i32 s11, s3, s21
	s_sub_i32 s3, s6, s7
	s_add_i32 s6, s5, 1
	s_sub_i32 s7, s3, s4
	s_cmp_ge_u32 s3, s4
	v_lshrrev_b32_e32 v14, 5, v0
	s_cselect_b32 s5, s6, s5
	s_cselect_b32 s3, s7, s3
	s_add_i32 s6, s5, 1
	s_cmp_ge_u32 s3, s4
	v_or_b32_e32 v1, s25, v14
	s_cselect_b32 s3, s6, s5
	v_mbcnt_lo_u32_b32 v18, -1, 0
	s_xor_b32 s3, s3, s2
	s_mov_b32 s4, exec_lo
	s_sub_i32 s3, s3, s2
	v_cmp_gt_i32_e64 s2, s11, v1
	s_waitcnt lgkmcnt(0)
	s_mul_i32 s28, s14, s8
	s_delay_alu instid0(SALU_CYCLE_1)
	s_ashr_i32 s29, s28, 31
	s_barrier
	buffer_gl0_inv
                                        ; implicit-def: $sgpr37
                                        ; implicit-def: $vgpr17
	v_cmpx_le_i32_e64 s11, v1
	s_xor_b32 s4, exec_lo, s4
; %bb.6:
	v_mbcnt_lo_u32_b32 v18, -1, 0
	v_mov_b32_e32 v17, 32
	s_mov_b32 s37, 0xff7fffff
; %bb.7:
	s_or_saveexec_b32 s36, s4
	s_clause 0x4
	s_load_b128 s[16:19], s[0:1], 0x0
	s_load_b64 s[22:23], s[0:1], 0x10
	s_load_b32 s8, s[0:1], 0x98
	s_load_b64 s[30:31], s[0:1], 0x28
	s_load_b128 s[4:7], s[0:1], 0x68
	v_dual_mov_b32 v16, s37 :: v_dual_lshlrev_b32 v15, 4, v14
	v_ashrrev_i32_e32 v2, 31, v1
	s_mul_i32 s10, s3, s10
	s_xor_b32 exec_lo, exec_lo, s36
	s_cbranch_execz .LBB328_333
; %bb.8:
	s_load_b64 s[38:39], s[0:1], 0x20
	v_bfe_u32 v3, v0, 1, 4
	s_ashr_i32 s1, s10, 31
	v_lshlrev_b64 v[7:8], 2, v[1:2]
	v_dual_mov_b32 v16, 0xff7fffff :: v_dual_lshlrev_b32 v19, 2, v13
	s_delay_alu instid0(VALU_DEP_3) | instskip(SKIP_2) | instid1(VALU_DEP_3)
	v_dual_mov_b32 v4, 0 :: v_dual_lshlrev_b32 v5, 2, v3
	v_dual_mov_b32 v17, 32 :: v_dual_lshlrev_b32 v6, 4, v3
	v_mul_u32_u24_e32 v20, 0x50, v13
	v_lshl_or_b32 v5, v14, 6, v5
	v_cmp_eq_u32_e32 vcc_lo, 0, v13
	v_cmp_neq_f32_e64 s0, s34, 0
	v_add3_u32 v21, s33, v15, v3
	s_delay_alu instid0(VALU_DEP_4)
	v_dual_mov_b32 v23, v1 :: v_dual_add_nc_u32 v22, 0xc0, v5
	s_waitcnt lgkmcnt(0)
	s_add_u32 s3, s38, s10
	s_addc_u32 s1, s39, s1
	s_lshl_b64 s[38:39], s[28:29], 2
	v_add_co_u32 v5, s3, s3, v6
	s_sub_i32 s37, 1, s15
	v_add_co_ci_u32_e64 v6, null, s1, 0, s3
	s_add_u32 s1, s26, s38
	s_addc_u32 s3, s27, s39
	v_add_co_u32 v7, s1, s1, v7
	s_delay_alu instid0(VALU_DEP_1)
	v_add_co_ci_u32_e64 v8, s1, s3, v8, s1
	s_mov_b32 s39, s9
	s_mov_b32 s38, 0
	s_branch .LBB328_10
.LBB328_9:                              ;   in Loop: Header=BB328_10 Depth=1
	s_or_b32 exec_lo, exec_lo, s3
	v_add_nc_u32_e32 v23, 4, v23
	v_add_co_u32 v7, s3, v7, 16
	v_add_nc_u32_e32 v21, 64, v21
	v_add_nc_u32_e32 v22, 0x100, v22
	s_delay_alu instid0(VALU_DEP_4) | instskip(SKIP_1) | instid1(VALU_DEP_2)
	v_cmp_le_i32_e64 s1, s11, v23
	v_add_co_ci_u32_e64 v8, s3, 0, v8, s3
	s_or_b32 s38, s1, s38
	s_delay_alu instid0(SALU_CYCLE_1)
	s_and_not1_b32 exec_lo, exec_lo, s38
	s_cbranch_execz .LBB328_332
.LBB328_10:                             ; =>This Inner Loop Header: Depth=1
	global_load_b32 v3, v[7:8], off
	v_mov_b32_e32 v25, 0
	s_mov_b32 s3, exec_lo
	s_waitcnt vmcnt(0) lgkmcnt(0)
	v_mad_i64_i32 v[9:10], null, v3, s39, v[5:6]
	s_delay_alu instid0(VALU_DEP_1) | instskip(NEXT) | instid1(VALU_DEP_1)
	v_add_co_u32 v9, s1, v9, v19
	v_add_co_ci_u32_e64 v10, s1, 0, v10, s1
	global_load_b32 v30, v[9:10], off
	global_load_b32 v24, v4, s[4:5]
	s_waitcnt vmcnt(1)
	v_and_b32_e32 v3, 0xff, v30
	s_delay_alu instid0(VALU_DEP_1)
	v_cmpx_ne_u16_e32 0, v3
	s_cbranch_execz .LBB328_18
; %bb.11:                               ;   in Loop: Header=BB328_10 Depth=1
	v_bfrev_b32_e32 v25, 1
	s_mov_b32 s40, exec_lo
	v_cmpx_ne_u16_e32 0x80, v3
	s_cbranch_execz .LBB328_17
; %bb.12:                               ;   in Loop: Header=BB328_10 Depth=1
	v_and_b32_e32 v26, 0x7f, v30
	v_mov_b32_e32 v25, 0x7fc02000
	s_mov_b32 s41, exec_lo
	s_delay_alu instid0(VALU_DEP_2)
	v_cmpx_ne_u32_e32 0x7f, v26
	s_cbranch_execz .LBB328_16
; %bb.13:                               ;   in Loop: Header=BB328_10 Depth=1
	v_and_b32_e32 v3, 7, v30
	v_lshrrev_b32_e32 v25, 3, v26
	s_mov_b32 s42, exec_lo
	v_cmpx_gt_u32_e32 8, v26
; %bb.14:                               ;   in Loop: Header=BB328_10 Depth=1
	s_delay_alu instid0(VALU_DEP_3) | instskip(NEXT) | instid1(VALU_DEP_1)
	v_clz_i32_u32_e32 v25, v3
	v_min_u32_e32 v25, 32, v25
	s_delay_alu instid0(VALU_DEP_1) | instskip(SKIP_1) | instid1(VALU_DEP_2)
	v_subrev_nc_u32_e32 v26, 28, v25
	v_sub_nc_u32_e32 v25, 29, v25
	v_lshlrev_b64 v[26:27], v26, v[3:4]
	s_delay_alu instid0(VALU_DEP_1)
	v_and_b32_e32 v3, 7, v26
; %bb.15:                               ;   in Loop: Header=BB328_10 Depth=1
	s_or_b32 exec_lo, exec_lo, s42
	v_lshlrev_b32_e32 v26, 8, v30
	v_lshl_add_u32 v25, v25, 10, 0x2000
	s_delay_alu instid0(VALU_DEP_1) | instskip(NEXT) | instid1(VALU_DEP_1)
	v_and_or_b32 v25, 0x8000, v26, v25
	v_lshl_or_b32 v3, v3, 7, v25
	s_delay_alu instid0(VALU_DEP_1)
	v_cvt_f32_f16_e32 v25, v3
.LBB328_16:                             ;   in Loop: Header=BB328_10 Depth=1
	s_or_b32 exec_lo, exec_lo, s41
.LBB328_17:                             ;   in Loop: Header=BB328_10 Depth=1
	s_delay_alu instid0(SALU_CYCLE_1)
	s_or_b32 exec_lo, exec_lo, s40
.LBB328_18:                             ;   in Loop: Header=BB328_10 Depth=1
	s_delay_alu instid0(SALU_CYCLE_1) | instskip(SKIP_3) | instid1(VALU_DEP_2)
	s_or_b32 exec_lo, exec_lo, s3
	v_lshrrev_b16 v3, 8, v30
	v_dual_mov_b32 v26, 0 :: v_dual_mov_b32 v27, 0
	s_mov_b32 s3, exec_lo
	v_cmpx_ne_u16_e32 0, v3
	s_cbranch_execz .LBB328_26
; %bb.19:                               ;   in Loop: Header=BB328_10 Depth=1
	v_bfrev_b32_e32 v27, 1
	s_mov_b32 s40, exec_lo
	v_cmpx_ne_u16_e32 0x80, v3
	s_cbranch_execz .LBB328_25
; %bb.20:                               ;   in Loop: Header=BB328_10 Depth=1
	v_and_b32_e32 v28, 0xffff, v3
	v_mov_b32_e32 v27, 0x7fc02000
	s_mov_b32 s41, exec_lo
	s_delay_alu instid0(VALU_DEP_2) | instskip(NEXT) | instid1(VALU_DEP_1)
	v_and_b32_e32 v29, 0x7f, v28
	v_cmpx_ne_u32_e32 0x7f, v29
	s_cbranch_execz .LBB328_24
; %bb.21:                               ;   in Loop: Header=BB328_10 Depth=1
	v_and_b32_e32 v3, 7, v28
	v_lshrrev_b32_e32 v27, 3, v29
	s_mov_b32 s42, exec_lo
	v_cmpx_gt_u32_e32 8, v29
; %bb.22:                               ;   in Loop: Header=BB328_10 Depth=1
	s_delay_alu instid0(VALU_DEP_3) | instskip(NEXT) | instid1(VALU_DEP_1)
	v_clz_i32_u32_e32 v27, v3
	v_min_u32_e32 v27, 32, v27
	s_delay_alu instid0(VALU_DEP_1) | instskip(SKIP_1) | instid1(VALU_DEP_2)
	v_subrev_nc_u32_e32 v29, 28, v27
	v_sub_nc_u32_e32 v27, 29, v27
	v_lshlrev_b64 v[31:32], v29, v[3:4]
	s_delay_alu instid0(VALU_DEP_1)
	v_and_b32_e32 v3, 7, v31
; %bb.23:                               ;   in Loop: Header=BB328_10 Depth=1
	s_or_b32 exec_lo, exec_lo, s42
	v_lshlrev_b32_e32 v28, 8, v28
	v_lshl_add_u32 v27, v27, 10, 0x2000
	s_delay_alu instid0(VALU_DEP_1) | instskip(NEXT) | instid1(VALU_DEP_1)
	v_and_or_b32 v27, 0x8000, v28, v27
	v_lshl_or_b32 v3, v3, 7, v27
	s_delay_alu instid0(VALU_DEP_1)
	v_cvt_f32_f16_e32 v27, v3
.LBB328_24:                             ;   in Loop: Header=BB328_10 Depth=1
	s_or_b32 exec_lo, exec_lo, s41
.LBB328_25:                             ;   in Loop: Header=BB328_10 Depth=1
	s_delay_alu instid0(SALU_CYCLE_1)
	s_or_b32 exec_lo, exec_lo, s40
.LBB328_26:                             ;   in Loop: Header=BB328_10 Depth=1
	s_delay_alu instid0(SALU_CYCLE_1) | instskip(SKIP_2) | instid1(VALU_DEP_1)
	s_or_b32 exec_lo, exec_lo, s3
	v_lshrrev_b32_e32 v28, 16, v30
	s_mov_b32 s3, exec_lo
	v_and_b32_e32 v3, 0xff, v28
	s_delay_alu instid0(VALU_DEP_1)
	v_cmpx_ne_u16_e32 0, v3
	s_cbranch_execz .LBB328_34
; %bb.27:                               ;   in Loop: Header=BB328_10 Depth=1
	v_bfrev_b32_e32 v26, 1
	s_mov_b32 s40, exec_lo
	v_cmpx_ne_u16_e32 0x80, v3
	s_cbranch_execz .LBB328_33
; %bb.28:                               ;   in Loop: Header=BB328_10 Depth=1
	v_bfe_u32 v29, v30, 16, 7
	v_mov_b32_e32 v26, 0x7fc02000
	s_mov_b32 s41, exec_lo
	s_delay_alu instid0(VALU_DEP_2)
	v_cmpx_ne_u32_e32 0x7f, v29
	s_cbranch_execz .LBB328_32
; %bb.29:                               ;   in Loop: Header=BB328_10 Depth=1
	v_and_b32_e32 v3, 7, v28
	v_lshrrev_b32_e32 v26, 3, v29
	s_mov_b32 s42, exec_lo
	v_cmpx_gt_u32_e32 8, v29
; %bb.30:                               ;   in Loop: Header=BB328_10 Depth=1
	s_delay_alu instid0(VALU_DEP_3) | instskip(NEXT) | instid1(VALU_DEP_1)
	v_clz_i32_u32_e32 v26, v3
	v_min_u32_e32 v26, 32, v26
	s_delay_alu instid0(VALU_DEP_1) | instskip(SKIP_1) | instid1(VALU_DEP_2)
	v_subrev_nc_u32_e32 v29, 28, v26
	v_sub_nc_u32_e32 v26, 29, v26
	v_lshlrev_b64 v[31:32], v29, v[3:4]
	s_delay_alu instid0(VALU_DEP_1)
	v_and_b32_e32 v3, 7, v31
; %bb.31:                               ;   in Loop: Header=BB328_10 Depth=1
	s_or_b32 exec_lo, exec_lo, s42
	v_lshlrev_b32_e32 v28, 8, v28
	v_lshl_add_u32 v26, v26, 10, 0x2000
	s_delay_alu instid0(VALU_DEP_1) | instskip(NEXT) | instid1(VALU_DEP_1)
	v_and_or_b32 v26, 0x8000, v28, v26
	v_lshl_or_b32 v3, v3, 7, v26
	s_delay_alu instid0(VALU_DEP_1)
	v_cvt_f32_f16_e32 v26, v3
.LBB328_32:                             ;   in Loop: Header=BB328_10 Depth=1
	s_or_b32 exec_lo, exec_lo, s41
.LBB328_33:                             ;   in Loop: Header=BB328_10 Depth=1
	s_delay_alu instid0(SALU_CYCLE_1)
	s_or_b32 exec_lo, exec_lo, s40
.LBB328_34:                             ;   in Loop: Header=BB328_10 Depth=1
	s_delay_alu instid0(SALU_CYCLE_1)
	s_or_b32 exec_lo, exec_lo, s3
	v_dual_mov_b32 v28, 0 :: v_dual_mov_b32 v29, 0
	s_mov_b32 s3, exec_lo
	v_cmpx_lt_u32_e32 0xffffff, v30
	s_cbranch_execz .LBB328_42
; %bb.35:                               ;   in Loop: Header=BB328_10 Depth=1
	v_lshrrev_b32_e32 v30, 24, v30
	v_bfrev_b32_e32 v29, 1
	s_mov_b32 s40, exec_lo
	s_delay_alu instid0(VALU_DEP_2)
	v_cmpx_ne_u32_e32 0x80, v30
	s_cbranch_execz .LBB328_41
; %bb.36:                               ;   in Loop: Header=BB328_10 Depth=1
	v_and_b32_e32 v31, 0x7f, v30
	v_mov_b32_e32 v29, 0x7fc02000
	s_mov_b32 s41, exec_lo
	s_delay_alu instid0(VALU_DEP_2)
	v_cmpx_ne_u32_e32 0x7f, v31
	s_cbranch_execz .LBB328_40
; %bb.37:                               ;   in Loop: Header=BB328_10 Depth=1
	v_and_b32_e32 v3, 7, v30
	v_lshrrev_b32_e32 v29, 3, v31
	s_mov_b32 s42, exec_lo
	v_cmpx_gt_u32_e32 8, v31
; %bb.38:                               ;   in Loop: Header=BB328_10 Depth=1
	s_delay_alu instid0(VALU_DEP_3) | instskip(NEXT) | instid1(VALU_DEP_1)
	v_clz_i32_u32_e32 v29, v3
	v_min_u32_e32 v29, 32, v29
	s_delay_alu instid0(VALU_DEP_1) | instskip(SKIP_1) | instid1(VALU_DEP_2)
	v_subrev_nc_u32_e32 v31, 28, v29
	v_sub_nc_u32_e32 v29, 29, v29
	v_lshlrev_b64 v[31:32], v31, v[3:4]
	s_delay_alu instid0(VALU_DEP_1)
	v_and_b32_e32 v3, 7, v31
; %bb.39:                               ;   in Loop: Header=BB328_10 Depth=1
	s_or_b32 exec_lo, exec_lo, s42
	v_lshlrev_b32_e32 v30, 8, v30
	v_lshl_add_u32 v29, v29, 10, 0x2000
	s_delay_alu instid0(VALU_DEP_1) | instskip(NEXT) | instid1(VALU_DEP_1)
	v_and_or_b32 v29, 0x8000, v30, v29
	v_lshl_or_b32 v3, v3, 7, v29
	s_delay_alu instid0(VALU_DEP_1)
	v_cvt_f32_f16_e32 v29, v3
.LBB328_40:                             ;   in Loop: Header=BB328_10 Depth=1
	s_or_b32 exec_lo, exec_lo, s41
.LBB328_41:                             ;   in Loop: Header=BB328_10 Depth=1
	s_delay_alu instid0(SALU_CYCLE_1)
	s_or_b32 exec_lo, exec_lo, s40
.LBB328_42:                             ;   in Loop: Header=BB328_10 Depth=1
	s_delay_alu instid0(SALU_CYCLE_1) | instskip(SKIP_4) | instid1(VALU_DEP_1)
	s_or_b32 exec_lo, exec_lo, s3
	global_load_b32 v34, v[9:10], off offset:8
	s_mov_b32 s3, exec_lo
	s_waitcnt vmcnt(0)
	v_and_b32_e32 v3, 0xff, v34
	v_cmpx_ne_u16_e32 0, v3
	s_cbranch_execz .LBB328_50
; %bb.43:                               ;   in Loop: Header=BB328_10 Depth=1
	v_bfrev_b32_e32 v28, 1
	s_mov_b32 s40, exec_lo
	v_cmpx_ne_u16_e32 0x80, v3
	s_cbranch_execz .LBB328_49
; %bb.44:                               ;   in Loop: Header=BB328_10 Depth=1
	v_and_b32_e32 v30, 0x7f, v34
	v_mov_b32_e32 v28, 0x7fc02000
	s_mov_b32 s41, exec_lo
	s_delay_alu instid0(VALU_DEP_2)
	v_cmpx_ne_u32_e32 0x7f, v30
	s_cbranch_execz .LBB328_48
; %bb.45:                               ;   in Loop: Header=BB328_10 Depth=1
	v_and_b32_e32 v3, 7, v34
	v_lshrrev_b32_e32 v28, 3, v30
	s_mov_b32 s42, exec_lo
	v_cmpx_gt_u32_e32 8, v30
; %bb.46:                               ;   in Loop: Header=BB328_10 Depth=1
	s_delay_alu instid0(VALU_DEP_3) | instskip(NEXT) | instid1(VALU_DEP_1)
	v_clz_i32_u32_e32 v28, v3
	v_min_u32_e32 v28, 32, v28
	s_delay_alu instid0(VALU_DEP_1) | instskip(SKIP_1) | instid1(VALU_DEP_2)
	v_subrev_nc_u32_e32 v30, 28, v28
	v_sub_nc_u32_e32 v28, 29, v28
	v_lshlrev_b64 v[30:31], v30, v[3:4]
	s_delay_alu instid0(VALU_DEP_1)
	v_and_b32_e32 v3, 7, v30
; %bb.47:                               ;   in Loop: Header=BB328_10 Depth=1
	s_or_b32 exec_lo, exec_lo, s42
	v_lshlrev_b32_e32 v30, 8, v34
	v_lshl_add_u32 v28, v28, 10, 0x2000
	s_delay_alu instid0(VALU_DEP_1) | instskip(NEXT) | instid1(VALU_DEP_1)
	v_and_or_b32 v28, 0x8000, v30, v28
	v_lshl_or_b32 v3, v3, 7, v28
	s_delay_alu instid0(VALU_DEP_1)
	v_cvt_f32_f16_e32 v28, v3
.LBB328_48:                             ;   in Loop: Header=BB328_10 Depth=1
	s_or_b32 exec_lo, exec_lo, s41
.LBB328_49:                             ;   in Loop: Header=BB328_10 Depth=1
	s_delay_alu instid0(SALU_CYCLE_1)
	s_or_b32 exec_lo, exec_lo, s40
.LBB328_50:                             ;   in Loop: Header=BB328_10 Depth=1
	s_delay_alu instid0(SALU_CYCLE_1) | instskip(SKIP_3) | instid1(VALU_DEP_2)
	s_or_b32 exec_lo, exec_lo, s3
	v_lshrrev_b16 v3, 8, v34
	v_dual_mov_b32 v30, 0 :: v_dual_mov_b32 v31, 0
	s_mov_b32 s3, exec_lo
	v_cmpx_ne_u16_e32 0, v3
	s_cbranch_execz .LBB328_58
; %bb.51:                               ;   in Loop: Header=BB328_10 Depth=1
	v_bfrev_b32_e32 v31, 1
	s_mov_b32 s40, exec_lo
	v_cmpx_ne_u16_e32 0x80, v3
	s_cbranch_execz .LBB328_57
; %bb.52:                               ;   in Loop: Header=BB328_10 Depth=1
	v_and_b32_e32 v32, 0xffff, v3
	v_mov_b32_e32 v31, 0x7fc02000
	s_mov_b32 s41, exec_lo
	s_delay_alu instid0(VALU_DEP_2) | instskip(NEXT) | instid1(VALU_DEP_1)
	v_and_b32_e32 v33, 0x7f, v32
	v_cmpx_ne_u32_e32 0x7f, v33
	s_cbranch_execz .LBB328_56
; %bb.53:                               ;   in Loop: Header=BB328_10 Depth=1
	v_and_b32_e32 v3, 7, v32
	v_lshrrev_b32_e32 v31, 3, v33
	s_mov_b32 s42, exec_lo
	v_cmpx_gt_u32_e32 8, v33
; %bb.54:                               ;   in Loop: Header=BB328_10 Depth=1
	s_delay_alu instid0(VALU_DEP_3) | instskip(NEXT) | instid1(VALU_DEP_1)
	v_clz_i32_u32_e32 v31, v3
	v_min_u32_e32 v31, 32, v31
	s_delay_alu instid0(VALU_DEP_1) | instskip(SKIP_1) | instid1(VALU_DEP_2)
	v_subrev_nc_u32_e32 v33, 28, v31
	v_sub_nc_u32_e32 v31, 29, v31
	v_lshlrev_b64 v[35:36], v33, v[3:4]
	s_delay_alu instid0(VALU_DEP_1)
	v_and_b32_e32 v3, 7, v35
; %bb.55:                               ;   in Loop: Header=BB328_10 Depth=1
	s_or_b32 exec_lo, exec_lo, s42
	v_lshlrev_b32_e32 v32, 8, v32
	v_lshl_add_u32 v31, v31, 10, 0x2000
	s_delay_alu instid0(VALU_DEP_1) | instskip(NEXT) | instid1(VALU_DEP_1)
	v_and_or_b32 v31, 0x8000, v32, v31
	v_lshl_or_b32 v3, v3, 7, v31
	s_delay_alu instid0(VALU_DEP_1)
	v_cvt_f32_f16_e32 v31, v3
.LBB328_56:                             ;   in Loop: Header=BB328_10 Depth=1
	s_or_b32 exec_lo, exec_lo, s41
.LBB328_57:                             ;   in Loop: Header=BB328_10 Depth=1
	s_delay_alu instid0(SALU_CYCLE_1)
	s_or_b32 exec_lo, exec_lo, s40
.LBB328_58:                             ;   in Loop: Header=BB328_10 Depth=1
	s_delay_alu instid0(SALU_CYCLE_1) | instskip(SKIP_2) | instid1(VALU_DEP_1)
	s_or_b32 exec_lo, exec_lo, s3
	v_lshrrev_b32_e32 v32, 16, v34
	s_mov_b32 s3, exec_lo
	v_and_b32_e32 v3, 0xff, v32
	s_delay_alu instid0(VALU_DEP_1)
	v_cmpx_ne_u16_e32 0, v3
	s_cbranch_execz .LBB328_66
; %bb.59:                               ;   in Loop: Header=BB328_10 Depth=1
	v_bfrev_b32_e32 v30, 1
	s_mov_b32 s40, exec_lo
	v_cmpx_ne_u16_e32 0x80, v3
	s_cbranch_execz .LBB328_65
; %bb.60:                               ;   in Loop: Header=BB328_10 Depth=1
	v_bfe_u32 v33, v34, 16, 7
	v_mov_b32_e32 v30, 0x7fc02000
	s_mov_b32 s41, exec_lo
	s_delay_alu instid0(VALU_DEP_2)
	v_cmpx_ne_u32_e32 0x7f, v33
	s_cbranch_execz .LBB328_64
; %bb.61:                               ;   in Loop: Header=BB328_10 Depth=1
	v_and_b32_e32 v3, 7, v32
	v_lshrrev_b32_e32 v30, 3, v33
	s_mov_b32 s42, exec_lo
	v_cmpx_gt_u32_e32 8, v33
; %bb.62:                               ;   in Loop: Header=BB328_10 Depth=1
	s_delay_alu instid0(VALU_DEP_3) | instskip(NEXT) | instid1(VALU_DEP_1)
	v_clz_i32_u32_e32 v30, v3
	v_min_u32_e32 v30, 32, v30
	s_delay_alu instid0(VALU_DEP_1) | instskip(SKIP_1) | instid1(VALU_DEP_2)
	v_subrev_nc_u32_e32 v33, 28, v30
	v_sub_nc_u32_e32 v30, 29, v30
	v_lshlrev_b64 v[35:36], v33, v[3:4]
	s_delay_alu instid0(VALU_DEP_1)
	v_and_b32_e32 v3, 7, v35
; %bb.63:                               ;   in Loop: Header=BB328_10 Depth=1
	s_or_b32 exec_lo, exec_lo, s42
	v_lshlrev_b32_e32 v32, 8, v32
	v_lshl_add_u32 v30, v30, 10, 0x2000
	s_delay_alu instid0(VALU_DEP_1) | instskip(NEXT) | instid1(VALU_DEP_1)
	v_and_or_b32 v30, 0x8000, v32, v30
	v_lshl_or_b32 v3, v3, 7, v30
	s_delay_alu instid0(VALU_DEP_1)
	v_cvt_f32_f16_e32 v30, v3
.LBB328_64:                             ;   in Loop: Header=BB328_10 Depth=1
	s_or_b32 exec_lo, exec_lo, s41
.LBB328_65:                             ;   in Loop: Header=BB328_10 Depth=1
	s_delay_alu instid0(SALU_CYCLE_1)
	s_or_b32 exec_lo, exec_lo, s40
.LBB328_66:                             ;   in Loop: Header=BB328_10 Depth=1
	s_delay_alu instid0(SALU_CYCLE_1)
	s_or_b32 exec_lo, exec_lo, s3
	v_dual_mov_b32 v32, 0 :: v_dual_mov_b32 v33, 0
	s_mov_b32 s3, exec_lo
	v_cmpx_lt_u32_e32 0xffffff, v34
	s_cbranch_execz .LBB328_74
; %bb.67:                               ;   in Loop: Header=BB328_10 Depth=1
	v_lshrrev_b32_e32 v34, 24, v34
	v_bfrev_b32_e32 v33, 1
	s_mov_b32 s40, exec_lo
	s_delay_alu instid0(VALU_DEP_2)
	v_cmpx_ne_u32_e32 0x80, v34
	s_cbranch_execz .LBB328_73
; %bb.68:                               ;   in Loop: Header=BB328_10 Depth=1
	v_and_b32_e32 v35, 0x7f, v34
	v_mov_b32_e32 v33, 0x7fc02000
	s_mov_b32 s41, exec_lo
	s_delay_alu instid0(VALU_DEP_2)
	v_cmpx_ne_u32_e32 0x7f, v35
	s_cbranch_execz .LBB328_72
; %bb.69:                               ;   in Loop: Header=BB328_10 Depth=1
	v_and_b32_e32 v3, 7, v34
	v_lshrrev_b32_e32 v33, 3, v35
	s_mov_b32 s42, exec_lo
	v_cmpx_gt_u32_e32 8, v35
; %bb.70:                               ;   in Loop: Header=BB328_10 Depth=1
	s_delay_alu instid0(VALU_DEP_3) | instskip(NEXT) | instid1(VALU_DEP_1)
	v_clz_i32_u32_e32 v33, v3
	v_min_u32_e32 v33, 32, v33
	s_delay_alu instid0(VALU_DEP_1) | instskip(SKIP_1) | instid1(VALU_DEP_2)
	v_subrev_nc_u32_e32 v35, 28, v33
	v_sub_nc_u32_e32 v33, 29, v33
	v_lshlrev_b64 v[35:36], v35, v[3:4]
	s_delay_alu instid0(VALU_DEP_1)
	v_and_b32_e32 v3, 7, v35
; %bb.71:                               ;   in Loop: Header=BB328_10 Depth=1
	s_or_b32 exec_lo, exec_lo, s42
	v_lshlrev_b32_e32 v34, 8, v34
	v_lshl_add_u32 v33, v33, 10, 0x2000
	s_delay_alu instid0(VALU_DEP_1) | instskip(NEXT) | instid1(VALU_DEP_1)
	v_and_or_b32 v33, 0x8000, v34, v33
	v_lshl_or_b32 v3, v3, 7, v33
	s_delay_alu instid0(VALU_DEP_1)
	v_cvt_f32_f16_e32 v33, v3
.LBB328_72:                             ;   in Loop: Header=BB328_10 Depth=1
	s_or_b32 exec_lo, exec_lo, s41
.LBB328_73:                             ;   in Loop: Header=BB328_10 Depth=1
	s_delay_alu instid0(SALU_CYCLE_1)
	s_or_b32 exec_lo, exec_lo, s40
.LBB328_74:                             ;   in Loop: Header=BB328_10 Depth=1
	s_delay_alu instid0(SALU_CYCLE_1) | instskip(SKIP_4) | instid1(VALU_DEP_1)
	s_or_b32 exec_lo, exec_lo, s3
	global_load_b32 v38, v[9:10], off offset:256
	s_mov_b32 s3, exec_lo
	s_waitcnt vmcnt(0)
	v_and_b32_e32 v3, 0xff, v38
	v_cmpx_ne_u16_e32 0, v3
	s_cbranch_execz .LBB328_82
; %bb.75:                               ;   in Loop: Header=BB328_10 Depth=1
	v_bfrev_b32_e32 v32, 1
	s_mov_b32 s40, exec_lo
	v_cmpx_ne_u16_e32 0x80, v3
	s_cbranch_execz .LBB328_81
; %bb.76:                               ;   in Loop: Header=BB328_10 Depth=1
	v_and_b32_e32 v34, 0x7f, v38
	v_mov_b32_e32 v32, 0x7fc02000
	s_mov_b32 s41, exec_lo
	s_delay_alu instid0(VALU_DEP_2)
	v_cmpx_ne_u32_e32 0x7f, v34
	s_cbranch_execz .LBB328_80
; %bb.77:                               ;   in Loop: Header=BB328_10 Depth=1
	v_and_b32_e32 v3, 7, v38
	v_lshrrev_b32_e32 v32, 3, v34
	s_mov_b32 s42, exec_lo
	v_cmpx_gt_u32_e32 8, v34
; %bb.78:                               ;   in Loop: Header=BB328_10 Depth=1
	s_delay_alu instid0(VALU_DEP_3) | instskip(NEXT) | instid1(VALU_DEP_1)
	v_clz_i32_u32_e32 v32, v3
	v_min_u32_e32 v32, 32, v32
	s_delay_alu instid0(VALU_DEP_1) | instskip(SKIP_1) | instid1(VALU_DEP_2)
	v_subrev_nc_u32_e32 v34, 28, v32
	v_sub_nc_u32_e32 v32, 29, v32
	v_lshlrev_b64 v[34:35], v34, v[3:4]
	s_delay_alu instid0(VALU_DEP_1)
	v_and_b32_e32 v3, 7, v34
; %bb.79:                               ;   in Loop: Header=BB328_10 Depth=1
	s_or_b32 exec_lo, exec_lo, s42
	v_lshlrev_b32_e32 v34, 8, v38
	v_lshl_add_u32 v32, v32, 10, 0x2000
	s_delay_alu instid0(VALU_DEP_1) | instskip(NEXT) | instid1(VALU_DEP_1)
	v_and_or_b32 v32, 0x8000, v34, v32
	v_lshl_or_b32 v3, v3, 7, v32
	s_delay_alu instid0(VALU_DEP_1)
	v_cvt_f32_f16_e32 v32, v3
.LBB328_80:                             ;   in Loop: Header=BB328_10 Depth=1
	s_or_b32 exec_lo, exec_lo, s41
.LBB328_81:                             ;   in Loop: Header=BB328_10 Depth=1
	s_delay_alu instid0(SALU_CYCLE_1)
	s_or_b32 exec_lo, exec_lo, s40
.LBB328_82:                             ;   in Loop: Header=BB328_10 Depth=1
	s_delay_alu instid0(SALU_CYCLE_1) | instskip(SKIP_3) | instid1(VALU_DEP_2)
	s_or_b32 exec_lo, exec_lo, s3
	v_lshrrev_b16 v3, 8, v38
	v_dual_mov_b32 v34, 0 :: v_dual_mov_b32 v35, 0
	s_mov_b32 s3, exec_lo
	v_cmpx_ne_u16_e32 0, v3
	s_cbranch_execz .LBB328_90
; %bb.83:                               ;   in Loop: Header=BB328_10 Depth=1
	v_bfrev_b32_e32 v35, 1
	s_mov_b32 s40, exec_lo
	v_cmpx_ne_u16_e32 0x80, v3
	s_cbranch_execz .LBB328_89
; %bb.84:                               ;   in Loop: Header=BB328_10 Depth=1
	v_and_b32_e32 v36, 0xffff, v3
	v_mov_b32_e32 v35, 0x7fc02000
	s_mov_b32 s41, exec_lo
	s_delay_alu instid0(VALU_DEP_2) | instskip(NEXT) | instid1(VALU_DEP_1)
	v_and_b32_e32 v37, 0x7f, v36
	v_cmpx_ne_u32_e32 0x7f, v37
	s_cbranch_execz .LBB328_88
; %bb.85:                               ;   in Loop: Header=BB328_10 Depth=1
	v_and_b32_e32 v3, 7, v36
	v_lshrrev_b32_e32 v35, 3, v37
	s_mov_b32 s42, exec_lo
	v_cmpx_gt_u32_e32 8, v37
; %bb.86:                               ;   in Loop: Header=BB328_10 Depth=1
	s_delay_alu instid0(VALU_DEP_3) | instskip(NEXT) | instid1(VALU_DEP_1)
	v_clz_i32_u32_e32 v35, v3
	v_min_u32_e32 v35, 32, v35
	s_delay_alu instid0(VALU_DEP_1) | instskip(SKIP_1) | instid1(VALU_DEP_2)
	v_subrev_nc_u32_e32 v37, 28, v35
	v_sub_nc_u32_e32 v35, 29, v35
	v_lshlrev_b64 v[39:40], v37, v[3:4]
	s_delay_alu instid0(VALU_DEP_1)
	v_and_b32_e32 v3, 7, v39
; %bb.87:                               ;   in Loop: Header=BB328_10 Depth=1
	s_or_b32 exec_lo, exec_lo, s42
	v_lshlrev_b32_e32 v36, 8, v36
	v_lshl_add_u32 v35, v35, 10, 0x2000
	s_delay_alu instid0(VALU_DEP_1) | instskip(NEXT) | instid1(VALU_DEP_1)
	v_and_or_b32 v35, 0x8000, v36, v35
	v_lshl_or_b32 v3, v3, 7, v35
	s_delay_alu instid0(VALU_DEP_1)
	v_cvt_f32_f16_e32 v35, v3
.LBB328_88:                             ;   in Loop: Header=BB328_10 Depth=1
	s_or_b32 exec_lo, exec_lo, s41
.LBB328_89:                             ;   in Loop: Header=BB328_10 Depth=1
	s_delay_alu instid0(SALU_CYCLE_1)
	s_or_b32 exec_lo, exec_lo, s40
.LBB328_90:                             ;   in Loop: Header=BB328_10 Depth=1
	s_delay_alu instid0(SALU_CYCLE_1) | instskip(SKIP_2) | instid1(VALU_DEP_1)
	s_or_b32 exec_lo, exec_lo, s3
	v_lshrrev_b32_e32 v36, 16, v38
	s_mov_b32 s3, exec_lo
	v_and_b32_e32 v3, 0xff, v36
	s_delay_alu instid0(VALU_DEP_1)
	v_cmpx_ne_u16_e32 0, v3
	s_cbranch_execz .LBB328_98
; %bb.91:                               ;   in Loop: Header=BB328_10 Depth=1
	v_bfrev_b32_e32 v34, 1
	s_mov_b32 s40, exec_lo
	v_cmpx_ne_u16_e32 0x80, v3
	s_cbranch_execz .LBB328_97
; %bb.92:                               ;   in Loop: Header=BB328_10 Depth=1
	v_bfe_u32 v37, v38, 16, 7
	v_mov_b32_e32 v34, 0x7fc02000
	s_mov_b32 s41, exec_lo
	s_delay_alu instid0(VALU_DEP_2)
	v_cmpx_ne_u32_e32 0x7f, v37
	s_cbranch_execz .LBB328_96
; %bb.93:                               ;   in Loop: Header=BB328_10 Depth=1
	v_and_b32_e32 v3, 7, v36
	v_lshrrev_b32_e32 v34, 3, v37
	s_mov_b32 s42, exec_lo
	v_cmpx_gt_u32_e32 8, v37
; %bb.94:                               ;   in Loop: Header=BB328_10 Depth=1
	s_delay_alu instid0(VALU_DEP_3) | instskip(NEXT) | instid1(VALU_DEP_1)
	v_clz_i32_u32_e32 v34, v3
	v_min_u32_e32 v34, 32, v34
	s_delay_alu instid0(VALU_DEP_1) | instskip(SKIP_1) | instid1(VALU_DEP_2)
	v_subrev_nc_u32_e32 v37, 28, v34
	v_sub_nc_u32_e32 v34, 29, v34
	v_lshlrev_b64 v[39:40], v37, v[3:4]
	s_delay_alu instid0(VALU_DEP_1)
	v_and_b32_e32 v3, 7, v39
; %bb.95:                               ;   in Loop: Header=BB328_10 Depth=1
	s_or_b32 exec_lo, exec_lo, s42
	v_lshlrev_b32_e32 v36, 8, v36
	v_lshl_add_u32 v34, v34, 10, 0x2000
	s_delay_alu instid0(VALU_DEP_1) | instskip(NEXT) | instid1(VALU_DEP_1)
	v_and_or_b32 v34, 0x8000, v36, v34
	v_lshl_or_b32 v3, v3, 7, v34
	s_delay_alu instid0(VALU_DEP_1)
	v_cvt_f32_f16_e32 v34, v3
.LBB328_96:                             ;   in Loop: Header=BB328_10 Depth=1
	s_or_b32 exec_lo, exec_lo, s41
.LBB328_97:                             ;   in Loop: Header=BB328_10 Depth=1
	s_delay_alu instid0(SALU_CYCLE_1)
	s_or_b32 exec_lo, exec_lo, s40
.LBB328_98:                             ;   in Loop: Header=BB328_10 Depth=1
	s_delay_alu instid0(SALU_CYCLE_1)
	s_or_b32 exec_lo, exec_lo, s3
	v_dual_mov_b32 v36, 0 :: v_dual_mov_b32 v37, 0
	s_mov_b32 s3, exec_lo
	v_cmpx_lt_u32_e32 0xffffff, v38
	s_cbranch_execz .LBB328_106
; %bb.99:                               ;   in Loop: Header=BB328_10 Depth=1
	v_lshrrev_b32_e32 v38, 24, v38
	v_bfrev_b32_e32 v37, 1
	s_mov_b32 s40, exec_lo
	s_delay_alu instid0(VALU_DEP_2)
	v_cmpx_ne_u32_e32 0x80, v38
	s_cbranch_execz .LBB328_105
; %bb.100:                              ;   in Loop: Header=BB328_10 Depth=1
	v_and_b32_e32 v39, 0x7f, v38
	v_mov_b32_e32 v37, 0x7fc02000
	s_mov_b32 s41, exec_lo
	s_delay_alu instid0(VALU_DEP_2)
	v_cmpx_ne_u32_e32 0x7f, v39
	s_cbranch_execz .LBB328_104
; %bb.101:                              ;   in Loop: Header=BB328_10 Depth=1
	v_and_b32_e32 v3, 7, v38
	v_lshrrev_b32_e32 v37, 3, v39
	s_mov_b32 s42, exec_lo
	v_cmpx_gt_u32_e32 8, v39
; %bb.102:                              ;   in Loop: Header=BB328_10 Depth=1
	s_delay_alu instid0(VALU_DEP_3) | instskip(NEXT) | instid1(VALU_DEP_1)
	v_clz_i32_u32_e32 v37, v3
	v_min_u32_e32 v37, 32, v37
	s_delay_alu instid0(VALU_DEP_1) | instskip(SKIP_1) | instid1(VALU_DEP_2)
	v_subrev_nc_u32_e32 v39, 28, v37
	v_sub_nc_u32_e32 v37, 29, v37
	v_lshlrev_b64 v[39:40], v39, v[3:4]
	s_delay_alu instid0(VALU_DEP_1)
	v_and_b32_e32 v3, 7, v39
; %bb.103:                              ;   in Loop: Header=BB328_10 Depth=1
	s_or_b32 exec_lo, exec_lo, s42
	v_lshlrev_b32_e32 v38, 8, v38
	v_lshl_add_u32 v37, v37, 10, 0x2000
	s_delay_alu instid0(VALU_DEP_1) | instskip(NEXT) | instid1(VALU_DEP_1)
	v_and_or_b32 v37, 0x8000, v38, v37
	v_lshl_or_b32 v3, v3, 7, v37
	s_delay_alu instid0(VALU_DEP_1)
	v_cvt_f32_f16_e32 v37, v3
.LBB328_104:                            ;   in Loop: Header=BB328_10 Depth=1
	s_or_b32 exec_lo, exec_lo, s41
.LBB328_105:                            ;   in Loop: Header=BB328_10 Depth=1
	s_delay_alu instid0(SALU_CYCLE_1)
	s_or_b32 exec_lo, exec_lo, s40
.LBB328_106:                            ;   in Loop: Header=BB328_10 Depth=1
	s_delay_alu instid0(SALU_CYCLE_1) | instskip(SKIP_4) | instid1(VALU_DEP_1)
	s_or_b32 exec_lo, exec_lo, s3
	global_load_b32 v42, v[9:10], off offset:264
	s_mov_b32 s3, exec_lo
	s_waitcnt vmcnt(0)
	v_and_b32_e32 v3, 0xff, v42
	v_cmpx_ne_u16_e32 0, v3
	s_cbranch_execz .LBB328_114
; %bb.107:                              ;   in Loop: Header=BB328_10 Depth=1
	v_bfrev_b32_e32 v36, 1
	s_mov_b32 s40, exec_lo
	v_cmpx_ne_u16_e32 0x80, v3
	s_cbranch_execz .LBB328_113
; %bb.108:                              ;   in Loop: Header=BB328_10 Depth=1
	v_and_b32_e32 v38, 0x7f, v42
	v_mov_b32_e32 v36, 0x7fc02000
	s_mov_b32 s41, exec_lo
	s_delay_alu instid0(VALU_DEP_2)
	v_cmpx_ne_u32_e32 0x7f, v38
	s_cbranch_execz .LBB328_112
; %bb.109:                              ;   in Loop: Header=BB328_10 Depth=1
	v_and_b32_e32 v3, 7, v42
	v_lshrrev_b32_e32 v36, 3, v38
	s_mov_b32 s42, exec_lo
	v_cmpx_gt_u32_e32 8, v38
; %bb.110:                              ;   in Loop: Header=BB328_10 Depth=1
	s_delay_alu instid0(VALU_DEP_3) | instskip(NEXT) | instid1(VALU_DEP_1)
	v_clz_i32_u32_e32 v36, v3
	v_min_u32_e32 v36, 32, v36
	s_delay_alu instid0(VALU_DEP_1) | instskip(SKIP_1) | instid1(VALU_DEP_2)
	v_subrev_nc_u32_e32 v38, 28, v36
	v_sub_nc_u32_e32 v36, 29, v36
	v_lshlrev_b64 v[38:39], v38, v[3:4]
	s_delay_alu instid0(VALU_DEP_1)
	v_and_b32_e32 v3, 7, v38
; %bb.111:                              ;   in Loop: Header=BB328_10 Depth=1
	s_or_b32 exec_lo, exec_lo, s42
	v_lshlrev_b32_e32 v38, 8, v42
	v_lshl_add_u32 v36, v36, 10, 0x2000
	s_delay_alu instid0(VALU_DEP_1) | instskip(NEXT) | instid1(VALU_DEP_1)
	v_and_or_b32 v36, 0x8000, v38, v36
	v_lshl_or_b32 v3, v3, 7, v36
	s_delay_alu instid0(VALU_DEP_1)
	v_cvt_f32_f16_e32 v36, v3
.LBB328_112:                            ;   in Loop: Header=BB328_10 Depth=1
	s_or_b32 exec_lo, exec_lo, s41
.LBB328_113:                            ;   in Loop: Header=BB328_10 Depth=1
	s_delay_alu instid0(SALU_CYCLE_1)
	s_or_b32 exec_lo, exec_lo, s40
.LBB328_114:                            ;   in Loop: Header=BB328_10 Depth=1
	s_delay_alu instid0(SALU_CYCLE_1) | instskip(SKIP_3) | instid1(VALU_DEP_2)
	s_or_b32 exec_lo, exec_lo, s3
	v_lshrrev_b16 v3, 8, v42
	v_dual_mov_b32 v38, 0 :: v_dual_mov_b32 v39, 0
	s_mov_b32 s3, exec_lo
	v_cmpx_ne_u16_e32 0, v3
	s_cbranch_execz .LBB328_122
; %bb.115:                              ;   in Loop: Header=BB328_10 Depth=1
	v_bfrev_b32_e32 v39, 1
	s_mov_b32 s40, exec_lo
	v_cmpx_ne_u16_e32 0x80, v3
	s_cbranch_execz .LBB328_121
; %bb.116:                              ;   in Loop: Header=BB328_10 Depth=1
	v_and_b32_e32 v40, 0xffff, v3
	v_mov_b32_e32 v39, 0x7fc02000
	s_mov_b32 s41, exec_lo
	s_delay_alu instid0(VALU_DEP_2) | instskip(NEXT) | instid1(VALU_DEP_1)
	v_and_b32_e32 v41, 0x7f, v40
	v_cmpx_ne_u32_e32 0x7f, v41
	s_cbranch_execz .LBB328_120
; %bb.117:                              ;   in Loop: Header=BB328_10 Depth=1
	v_and_b32_e32 v3, 7, v40
	v_lshrrev_b32_e32 v39, 3, v41
	s_mov_b32 s42, exec_lo
	v_cmpx_gt_u32_e32 8, v41
; %bb.118:                              ;   in Loop: Header=BB328_10 Depth=1
	s_delay_alu instid0(VALU_DEP_3) | instskip(NEXT) | instid1(VALU_DEP_1)
	v_clz_i32_u32_e32 v39, v3
	v_min_u32_e32 v39, 32, v39
	s_delay_alu instid0(VALU_DEP_1) | instskip(SKIP_1) | instid1(VALU_DEP_2)
	v_subrev_nc_u32_e32 v41, 28, v39
	v_sub_nc_u32_e32 v39, 29, v39
	v_lshlrev_b64 v[43:44], v41, v[3:4]
	s_delay_alu instid0(VALU_DEP_1)
	v_and_b32_e32 v3, 7, v43
; %bb.119:                              ;   in Loop: Header=BB328_10 Depth=1
	s_or_b32 exec_lo, exec_lo, s42
	v_lshlrev_b32_e32 v40, 8, v40
	v_lshl_add_u32 v39, v39, 10, 0x2000
	s_delay_alu instid0(VALU_DEP_1) | instskip(NEXT) | instid1(VALU_DEP_1)
	v_and_or_b32 v39, 0x8000, v40, v39
	v_lshl_or_b32 v3, v3, 7, v39
	s_delay_alu instid0(VALU_DEP_1)
	v_cvt_f32_f16_e32 v39, v3
.LBB328_120:                            ;   in Loop: Header=BB328_10 Depth=1
	s_or_b32 exec_lo, exec_lo, s41
.LBB328_121:                            ;   in Loop: Header=BB328_10 Depth=1
	s_delay_alu instid0(SALU_CYCLE_1)
	s_or_b32 exec_lo, exec_lo, s40
.LBB328_122:                            ;   in Loop: Header=BB328_10 Depth=1
	s_delay_alu instid0(SALU_CYCLE_1) | instskip(SKIP_2) | instid1(VALU_DEP_1)
	s_or_b32 exec_lo, exec_lo, s3
	v_lshrrev_b32_e32 v40, 16, v42
	s_mov_b32 s3, exec_lo
	v_and_b32_e32 v3, 0xff, v40
	s_delay_alu instid0(VALU_DEP_1)
	v_cmpx_ne_u16_e32 0, v3
	s_cbranch_execz .LBB328_130
; %bb.123:                              ;   in Loop: Header=BB328_10 Depth=1
	v_bfrev_b32_e32 v38, 1
	s_mov_b32 s40, exec_lo
	v_cmpx_ne_u16_e32 0x80, v3
	s_cbranch_execz .LBB328_129
; %bb.124:                              ;   in Loop: Header=BB328_10 Depth=1
	v_bfe_u32 v41, v42, 16, 7
	v_mov_b32_e32 v38, 0x7fc02000
	s_mov_b32 s41, exec_lo
	s_delay_alu instid0(VALU_DEP_2)
	v_cmpx_ne_u32_e32 0x7f, v41
	s_cbranch_execz .LBB328_128
; %bb.125:                              ;   in Loop: Header=BB328_10 Depth=1
	v_and_b32_e32 v3, 7, v40
	v_lshrrev_b32_e32 v38, 3, v41
	s_mov_b32 s42, exec_lo
	v_cmpx_gt_u32_e32 8, v41
; %bb.126:                              ;   in Loop: Header=BB328_10 Depth=1
	s_delay_alu instid0(VALU_DEP_3) | instskip(NEXT) | instid1(VALU_DEP_1)
	v_clz_i32_u32_e32 v38, v3
	v_min_u32_e32 v38, 32, v38
	s_delay_alu instid0(VALU_DEP_1) | instskip(SKIP_1) | instid1(VALU_DEP_2)
	v_subrev_nc_u32_e32 v41, 28, v38
	v_sub_nc_u32_e32 v38, 29, v38
	v_lshlrev_b64 v[43:44], v41, v[3:4]
	s_delay_alu instid0(VALU_DEP_1)
	v_and_b32_e32 v3, 7, v43
; %bb.127:                              ;   in Loop: Header=BB328_10 Depth=1
	s_or_b32 exec_lo, exec_lo, s42
	v_lshlrev_b32_e32 v40, 8, v40
	v_lshl_add_u32 v38, v38, 10, 0x2000
	s_delay_alu instid0(VALU_DEP_1) | instskip(NEXT) | instid1(VALU_DEP_1)
	v_and_or_b32 v38, 0x8000, v40, v38
	v_lshl_or_b32 v3, v3, 7, v38
	s_delay_alu instid0(VALU_DEP_1)
	v_cvt_f32_f16_e32 v38, v3
.LBB328_128:                            ;   in Loop: Header=BB328_10 Depth=1
	s_or_b32 exec_lo, exec_lo, s41
.LBB328_129:                            ;   in Loop: Header=BB328_10 Depth=1
	s_delay_alu instid0(SALU_CYCLE_1)
	s_or_b32 exec_lo, exec_lo, s40
.LBB328_130:                            ;   in Loop: Header=BB328_10 Depth=1
	s_delay_alu instid0(SALU_CYCLE_1)
	s_or_b32 exec_lo, exec_lo, s3
	v_dual_mov_b32 v40, 0 :: v_dual_mov_b32 v41, 0
	s_mov_b32 s3, exec_lo
	v_cmpx_lt_u32_e32 0xffffff, v42
	s_cbranch_execz .LBB328_138
; %bb.131:                              ;   in Loop: Header=BB328_10 Depth=1
	v_lshrrev_b32_e32 v42, 24, v42
	v_bfrev_b32_e32 v41, 1
	s_mov_b32 s40, exec_lo
	s_delay_alu instid0(VALU_DEP_2)
	v_cmpx_ne_u32_e32 0x80, v42
	s_cbranch_execz .LBB328_137
; %bb.132:                              ;   in Loop: Header=BB328_10 Depth=1
	v_and_b32_e32 v43, 0x7f, v42
	v_mov_b32_e32 v41, 0x7fc02000
	s_mov_b32 s41, exec_lo
	s_delay_alu instid0(VALU_DEP_2)
	v_cmpx_ne_u32_e32 0x7f, v43
	s_cbranch_execz .LBB328_136
; %bb.133:                              ;   in Loop: Header=BB328_10 Depth=1
	v_and_b32_e32 v3, 7, v42
	v_lshrrev_b32_e32 v41, 3, v43
	s_mov_b32 s42, exec_lo
	v_cmpx_gt_u32_e32 8, v43
; %bb.134:                              ;   in Loop: Header=BB328_10 Depth=1
	s_delay_alu instid0(VALU_DEP_3) | instskip(NEXT) | instid1(VALU_DEP_1)
	v_clz_i32_u32_e32 v41, v3
	v_min_u32_e32 v41, 32, v41
	s_delay_alu instid0(VALU_DEP_1) | instskip(SKIP_1) | instid1(VALU_DEP_2)
	v_subrev_nc_u32_e32 v43, 28, v41
	v_sub_nc_u32_e32 v41, 29, v41
	v_lshlrev_b64 v[43:44], v43, v[3:4]
	s_delay_alu instid0(VALU_DEP_1)
	v_and_b32_e32 v3, 7, v43
; %bb.135:                              ;   in Loop: Header=BB328_10 Depth=1
	s_or_b32 exec_lo, exec_lo, s42
	v_lshlrev_b32_e32 v42, 8, v42
	v_lshl_add_u32 v41, v41, 10, 0x2000
	s_delay_alu instid0(VALU_DEP_1) | instskip(NEXT) | instid1(VALU_DEP_1)
	v_and_or_b32 v41, 0x8000, v42, v41
	v_lshl_or_b32 v3, v3, 7, v41
	s_delay_alu instid0(VALU_DEP_1)
	v_cvt_f32_f16_e32 v41, v3
.LBB328_136:                            ;   in Loop: Header=BB328_10 Depth=1
	s_or_b32 exec_lo, exec_lo, s41
.LBB328_137:                            ;   in Loop: Header=BB328_10 Depth=1
	s_delay_alu instid0(SALU_CYCLE_1)
	s_or_b32 exec_lo, exec_lo, s40
.LBB328_138:                            ;   in Loop: Header=BB328_10 Depth=1
	s_delay_alu instid0(SALU_CYCLE_1) | instskip(SKIP_4) | instid1(VALU_DEP_1)
	s_or_b32 exec_lo, exec_lo, s3
	global_load_b32 v46, v[9:10], off offset:512
	s_mov_b32 s3, exec_lo
	s_waitcnt vmcnt(0)
	v_and_b32_e32 v3, 0xff, v46
	v_cmpx_ne_u16_e32 0, v3
	s_cbranch_execz .LBB328_146
; %bb.139:                              ;   in Loop: Header=BB328_10 Depth=1
	v_bfrev_b32_e32 v40, 1
	s_mov_b32 s40, exec_lo
	v_cmpx_ne_u16_e32 0x80, v3
	s_cbranch_execz .LBB328_145
; %bb.140:                              ;   in Loop: Header=BB328_10 Depth=1
	v_and_b32_e32 v42, 0x7f, v46
	v_mov_b32_e32 v40, 0x7fc02000
	s_mov_b32 s41, exec_lo
	s_delay_alu instid0(VALU_DEP_2)
	v_cmpx_ne_u32_e32 0x7f, v42
	s_cbranch_execz .LBB328_144
; %bb.141:                              ;   in Loop: Header=BB328_10 Depth=1
	v_and_b32_e32 v3, 7, v46
	v_lshrrev_b32_e32 v40, 3, v42
	s_mov_b32 s42, exec_lo
	v_cmpx_gt_u32_e32 8, v42
; %bb.142:                              ;   in Loop: Header=BB328_10 Depth=1
	s_delay_alu instid0(VALU_DEP_3) | instskip(NEXT) | instid1(VALU_DEP_1)
	v_clz_i32_u32_e32 v40, v3
	v_min_u32_e32 v40, 32, v40
	s_delay_alu instid0(VALU_DEP_1) | instskip(SKIP_1) | instid1(VALU_DEP_2)
	v_subrev_nc_u32_e32 v42, 28, v40
	v_sub_nc_u32_e32 v40, 29, v40
	v_lshlrev_b64 v[42:43], v42, v[3:4]
	s_delay_alu instid0(VALU_DEP_1)
	v_and_b32_e32 v3, 7, v42
; %bb.143:                              ;   in Loop: Header=BB328_10 Depth=1
	s_or_b32 exec_lo, exec_lo, s42
	v_lshlrev_b32_e32 v42, 8, v46
	v_lshl_add_u32 v40, v40, 10, 0x2000
	s_delay_alu instid0(VALU_DEP_1) | instskip(NEXT) | instid1(VALU_DEP_1)
	v_and_or_b32 v40, 0x8000, v42, v40
	v_lshl_or_b32 v3, v3, 7, v40
	s_delay_alu instid0(VALU_DEP_1)
	v_cvt_f32_f16_e32 v40, v3
.LBB328_144:                            ;   in Loop: Header=BB328_10 Depth=1
	s_or_b32 exec_lo, exec_lo, s41
.LBB328_145:                            ;   in Loop: Header=BB328_10 Depth=1
	s_delay_alu instid0(SALU_CYCLE_1)
	s_or_b32 exec_lo, exec_lo, s40
.LBB328_146:                            ;   in Loop: Header=BB328_10 Depth=1
	s_delay_alu instid0(SALU_CYCLE_1) | instskip(SKIP_3) | instid1(VALU_DEP_2)
	s_or_b32 exec_lo, exec_lo, s3
	v_lshrrev_b16 v3, 8, v46
	v_dual_mov_b32 v42, 0 :: v_dual_mov_b32 v43, 0
	s_mov_b32 s3, exec_lo
	v_cmpx_ne_u16_e32 0, v3
	s_cbranch_execz .LBB328_154
; %bb.147:                              ;   in Loop: Header=BB328_10 Depth=1
	v_bfrev_b32_e32 v43, 1
	s_mov_b32 s40, exec_lo
	v_cmpx_ne_u16_e32 0x80, v3
	s_cbranch_execz .LBB328_153
; %bb.148:                              ;   in Loop: Header=BB328_10 Depth=1
	v_and_b32_e32 v44, 0xffff, v3
	v_mov_b32_e32 v43, 0x7fc02000
	s_mov_b32 s41, exec_lo
	s_delay_alu instid0(VALU_DEP_2) | instskip(NEXT) | instid1(VALU_DEP_1)
	v_and_b32_e32 v45, 0x7f, v44
	v_cmpx_ne_u32_e32 0x7f, v45
	s_cbranch_execz .LBB328_152
; %bb.149:                              ;   in Loop: Header=BB328_10 Depth=1
	v_and_b32_e32 v3, 7, v44
	v_lshrrev_b32_e32 v43, 3, v45
	s_mov_b32 s42, exec_lo
	v_cmpx_gt_u32_e32 8, v45
; %bb.150:                              ;   in Loop: Header=BB328_10 Depth=1
	s_delay_alu instid0(VALU_DEP_3) | instskip(NEXT) | instid1(VALU_DEP_1)
	v_clz_i32_u32_e32 v43, v3
	v_min_u32_e32 v43, 32, v43
	s_delay_alu instid0(VALU_DEP_1) | instskip(SKIP_1) | instid1(VALU_DEP_2)
	v_subrev_nc_u32_e32 v45, 28, v43
	v_sub_nc_u32_e32 v43, 29, v43
	v_lshlrev_b64 v[47:48], v45, v[3:4]
	s_delay_alu instid0(VALU_DEP_1)
	v_and_b32_e32 v3, 7, v47
; %bb.151:                              ;   in Loop: Header=BB328_10 Depth=1
	s_or_b32 exec_lo, exec_lo, s42
	v_lshlrev_b32_e32 v44, 8, v44
	v_lshl_add_u32 v43, v43, 10, 0x2000
	s_delay_alu instid0(VALU_DEP_1) | instskip(NEXT) | instid1(VALU_DEP_1)
	v_and_or_b32 v43, 0x8000, v44, v43
	v_lshl_or_b32 v3, v3, 7, v43
	s_delay_alu instid0(VALU_DEP_1)
	v_cvt_f32_f16_e32 v43, v3
.LBB328_152:                            ;   in Loop: Header=BB328_10 Depth=1
	s_or_b32 exec_lo, exec_lo, s41
.LBB328_153:                            ;   in Loop: Header=BB328_10 Depth=1
	s_delay_alu instid0(SALU_CYCLE_1)
	s_or_b32 exec_lo, exec_lo, s40
.LBB328_154:                            ;   in Loop: Header=BB328_10 Depth=1
	s_delay_alu instid0(SALU_CYCLE_1) | instskip(SKIP_2) | instid1(VALU_DEP_1)
	s_or_b32 exec_lo, exec_lo, s3
	v_lshrrev_b32_e32 v44, 16, v46
	s_mov_b32 s3, exec_lo
	v_and_b32_e32 v3, 0xff, v44
	s_delay_alu instid0(VALU_DEP_1)
	v_cmpx_ne_u16_e32 0, v3
	s_cbranch_execz .LBB328_162
; %bb.155:                              ;   in Loop: Header=BB328_10 Depth=1
	v_bfrev_b32_e32 v42, 1
	s_mov_b32 s40, exec_lo
	v_cmpx_ne_u16_e32 0x80, v3
	s_cbranch_execz .LBB328_161
; %bb.156:                              ;   in Loop: Header=BB328_10 Depth=1
	v_bfe_u32 v45, v46, 16, 7
	v_mov_b32_e32 v42, 0x7fc02000
	s_mov_b32 s41, exec_lo
	s_delay_alu instid0(VALU_DEP_2)
	v_cmpx_ne_u32_e32 0x7f, v45
	s_cbranch_execz .LBB328_160
; %bb.157:                              ;   in Loop: Header=BB328_10 Depth=1
	v_and_b32_e32 v3, 7, v44
	v_lshrrev_b32_e32 v42, 3, v45
	s_mov_b32 s42, exec_lo
	v_cmpx_gt_u32_e32 8, v45
; %bb.158:                              ;   in Loop: Header=BB328_10 Depth=1
	s_delay_alu instid0(VALU_DEP_3) | instskip(NEXT) | instid1(VALU_DEP_1)
	v_clz_i32_u32_e32 v42, v3
	v_min_u32_e32 v42, 32, v42
	s_delay_alu instid0(VALU_DEP_1) | instskip(SKIP_1) | instid1(VALU_DEP_2)
	v_subrev_nc_u32_e32 v45, 28, v42
	v_sub_nc_u32_e32 v42, 29, v42
	v_lshlrev_b64 v[47:48], v45, v[3:4]
	s_delay_alu instid0(VALU_DEP_1)
	v_and_b32_e32 v3, 7, v47
; %bb.159:                              ;   in Loop: Header=BB328_10 Depth=1
	s_or_b32 exec_lo, exec_lo, s42
	v_lshlrev_b32_e32 v44, 8, v44
	v_lshl_add_u32 v42, v42, 10, 0x2000
	s_delay_alu instid0(VALU_DEP_1) | instskip(NEXT) | instid1(VALU_DEP_1)
	v_and_or_b32 v42, 0x8000, v44, v42
	v_lshl_or_b32 v3, v3, 7, v42
	s_delay_alu instid0(VALU_DEP_1)
	v_cvt_f32_f16_e32 v42, v3
.LBB328_160:                            ;   in Loop: Header=BB328_10 Depth=1
	s_or_b32 exec_lo, exec_lo, s41
.LBB328_161:                            ;   in Loop: Header=BB328_10 Depth=1
	s_delay_alu instid0(SALU_CYCLE_1)
	s_or_b32 exec_lo, exec_lo, s40
.LBB328_162:                            ;   in Loop: Header=BB328_10 Depth=1
	s_delay_alu instid0(SALU_CYCLE_1)
	s_or_b32 exec_lo, exec_lo, s3
	v_dual_mov_b32 v44, 0 :: v_dual_mov_b32 v45, 0
	s_mov_b32 s3, exec_lo
	v_cmpx_lt_u32_e32 0xffffff, v46
	s_cbranch_execz .LBB328_170
; %bb.163:                              ;   in Loop: Header=BB328_10 Depth=1
	v_lshrrev_b32_e32 v46, 24, v46
	v_bfrev_b32_e32 v45, 1
	s_mov_b32 s40, exec_lo
	s_delay_alu instid0(VALU_DEP_2)
	v_cmpx_ne_u32_e32 0x80, v46
	s_cbranch_execz .LBB328_169
; %bb.164:                              ;   in Loop: Header=BB328_10 Depth=1
	v_and_b32_e32 v47, 0x7f, v46
	v_mov_b32_e32 v45, 0x7fc02000
	s_mov_b32 s41, exec_lo
	s_delay_alu instid0(VALU_DEP_2)
	v_cmpx_ne_u32_e32 0x7f, v47
	s_cbranch_execz .LBB328_168
; %bb.165:                              ;   in Loop: Header=BB328_10 Depth=1
	v_and_b32_e32 v3, 7, v46
	v_lshrrev_b32_e32 v45, 3, v47
	s_mov_b32 s42, exec_lo
	v_cmpx_gt_u32_e32 8, v47
; %bb.166:                              ;   in Loop: Header=BB328_10 Depth=1
	s_delay_alu instid0(VALU_DEP_3) | instskip(NEXT) | instid1(VALU_DEP_1)
	v_clz_i32_u32_e32 v45, v3
	v_min_u32_e32 v45, 32, v45
	s_delay_alu instid0(VALU_DEP_1) | instskip(SKIP_1) | instid1(VALU_DEP_2)
	v_subrev_nc_u32_e32 v47, 28, v45
	v_sub_nc_u32_e32 v45, 29, v45
	v_lshlrev_b64 v[47:48], v47, v[3:4]
	s_delay_alu instid0(VALU_DEP_1)
	v_and_b32_e32 v3, 7, v47
; %bb.167:                              ;   in Loop: Header=BB328_10 Depth=1
	s_or_b32 exec_lo, exec_lo, s42
	v_lshlrev_b32_e32 v46, 8, v46
	v_lshl_add_u32 v45, v45, 10, 0x2000
	s_delay_alu instid0(VALU_DEP_1) | instskip(NEXT) | instid1(VALU_DEP_1)
	v_and_or_b32 v45, 0x8000, v46, v45
	v_lshl_or_b32 v3, v3, 7, v45
	s_delay_alu instid0(VALU_DEP_1)
	v_cvt_f32_f16_e32 v45, v3
.LBB328_168:                            ;   in Loop: Header=BB328_10 Depth=1
	s_or_b32 exec_lo, exec_lo, s41
.LBB328_169:                            ;   in Loop: Header=BB328_10 Depth=1
	s_delay_alu instid0(SALU_CYCLE_1)
	s_or_b32 exec_lo, exec_lo, s40
.LBB328_170:                            ;   in Loop: Header=BB328_10 Depth=1
	s_delay_alu instid0(SALU_CYCLE_1) | instskip(SKIP_4) | instid1(VALU_DEP_1)
	s_or_b32 exec_lo, exec_lo, s3
	global_load_b32 v50, v[9:10], off offset:520
	s_mov_b32 s3, exec_lo
	s_waitcnt vmcnt(0)
	v_and_b32_e32 v3, 0xff, v50
	v_cmpx_ne_u16_e32 0, v3
	s_cbranch_execz .LBB328_178
; %bb.171:                              ;   in Loop: Header=BB328_10 Depth=1
	v_bfrev_b32_e32 v44, 1
	s_mov_b32 s40, exec_lo
	v_cmpx_ne_u16_e32 0x80, v3
	s_cbranch_execz .LBB328_177
; %bb.172:                              ;   in Loop: Header=BB328_10 Depth=1
	v_and_b32_e32 v46, 0x7f, v50
	v_mov_b32_e32 v44, 0x7fc02000
	s_mov_b32 s41, exec_lo
	s_delay_alu instid0(VALU_DEP_2)
	v_cmpx_ne_u32_e32 0x7f, v46
	s_cbranch_execz .LBB328_176
; %bb.173:                              ;   in Loop: Header=BB328_10 Depth=1
	v_and_b32_e32 v3, 7, v50
	v_lshrrev_b32_e32 v44, 3, v46
	s_mov_b32 s42, exec_lo
	v_cmpx_gt_u32_e32 8, v46
; %bb.174:                              ;   in Loop: Header=BB328_10 Depth=1
	s_delay_alu instid0(VALU_DEP_3) | instskip(NEXT) | instid1(VALU_DEP_1)
	v_clz_i32_u32_e32 v44, v3
	v_min_u32_e32 v44, 32, v44
	s_delay_alu instid0(VALU_DEP_1) | instskip(SKIP_1) | instid1(VALU_DEP_2)
	v_subrev_nc_u32_e32 v46, 28, v44
	v_sub_nc_u32_e32 v44, 29, v44
	v_lshlrev_b64 v[46:47], v46, v[3:4]
	s_delay_alu instid0(VALU_DEP_1)
	v_and_b32_e32 v3, 7, v46
; %bb.175:                              ;   in Loop: Header=BB328_10 Depth=1
	s_or_b32 exec_lo, exec_lo, s42
	v_lshlrev_b32_e32 v46, 8, v50
	v_lshl_add_u32 v44, v44, 10, 0x2000
	s_delay_alu instid0(VALU_DEP_1) | instskip(NEXT) | instid1(VALU_DEP_1)
	v_and_or_b32 v44, 0x8000, v46, v44
	v_lshl_or_b32 v3, v3, 7, v44
	s_delay_alu instid0(VALU_DEP_1)
	v_cvt_f32_f16_e32 v44, v3
.LBB328_176:                            ;   in Loop: Header=BB328_10 Depth=1
	s_or_b32 exec_lo, exec_lo, s41
.LBB328_177:                            ;   in Loop: Header=BB328_10 Depth=1
	s_delay_alu instid0(SALU_CYCLE_1)
	s_or_b32 exec_lo, exec_lo, s40
.LBB328_178:                            ;   in Loop: Header=BB328_10 Depth=1
	s_delay_alu instid0(SALU_CYCLE_1) | instskip(SKIP_3) | instid1(VALU_DEP_2)
	s_or_b32 exec_lo, exec_lo, s3
	v_lshrrev_b16 v3, 8, v50
	v_dual_mov_b32 v46, 0 :: v_dual_mov_b32 v47, 0
	s_mov_b32 s3, exec_lo
	v_cmpx_ne_u16_e32 0, v3
	s_cbranch_execz .LBB328_186
; %bb.179:                              ;   in Loop: Header=BB328_10 Depth=1
	v_bfrev_b32_e32 v47, 1
	s_mov_b32 s40, exec_lo
	v_cmpx_ne_u16_e32 0x80, v3
	s_cbranch_execz .LBB328_185
; %bb.180:                              ;   in Loop: Header=BB328_10 Depth=1
	v_and_b32_e32 v48, 0xffff, v3
	v_mov_b32_e32 v47, 0x7fc02000
	s_mov_b32 s41, exec_lo
	s_delay_alu instid0(VALU_DEP_2) | instskip(NEXT) | instid1(VALU_DEP_1)
	v_and_b32_e32 v49, 0x7f, v48
	v_cmpx_ne_u32_e32 0x7f, v49
	s_cbranch_execz .LBB328_184
; %bb.181:                              ;   in Loop: Header=BB328_10 Depth=1
	v_and_b32_e32 v3, 7, v48
	v_lshrrev_b32_e32 v47, 3, v49
	s_mov_b32 s42, exec_lo
	v_cmpx_gt_u32_e32 8, v49
; %bb.182:                              ;   in Loop: Header=BB328_10 Depth=1
	s_delay_alu instid0(VALU_DEP_3) | instskip(NEXT) | instid1(VALU_DEP_1)
	v_clz_i32_u32_e32 v47, v3
	v_min_u32_e32 v47, 32, v47
	s_delay_alu instid0(VALU_DEP_1) | instskip(SKIP_1) | instid1(VALU_DEP_2)
	v_subrev_nc_u32_e32 v49, 28, v47
	v_sub_nc_u32_e32 v47, 29, v47
	v_lshlrev_b64 v[51:52], v49, v[3:4]
	s_delay_alu instid0(VALU_DEP_1)
	v_and_b32_e32 v3, 7, v51
; %bb.183:                              ;   in Loop: Header=BB328_10 Depth=1
	s_or_b32 exec_lo, exec_lo, s42
	v_lshlrev_b32_e32 v48, 8, v48
	v_lshl_add_u32 v47, v47, 10, 0x2000
	s_delay_alu instid0(VALU_DEP_1) | instskip(NEXT) | instid1(VALU_DEP_1)
	v_and_or_b32 v47, 0x8000, v48, v47
	v_lshl_or_b32 v3, v3, 7, v47
	s_delay_alu instid0(VALU_DEP_1)
	v_cvt_f32_f16_e32 v47, v3
.LBB328_184:                            ;   in Loop: Header=BB328_10 Depth=1
	s_or_b32 exec_lo, exec_lo, s41
.LBB328_185:                            ;   in Loop: Header=BB328_10 Depth=1
	s_delay_alu instid0(SALU_CYCLE_1)
	s_or_b32 exec_lo, exec_lo, s40
.LBB328_186:                            ;   in Loop: Header=BB328_10 Depth=1
	s_delay_alu instid0(SALU_CYCLE_1) | instskip(SKIP_2) | instid1(VALU_DEP_1)
	s_or_b32 exec_lo, exec_lo, s3
	v_lshrrev_b32_e32 v48, 16, v50
	s_mov_b32 s3, exec_lo
	v_and_b32_e32 v3, 0xff, v48
	s_delay_alu instid0(VALU_DEP_1)
	v_cmpx_ne_u16_e32 0, v3
	s_cbranch_execz .LBB328_194
; %bb.187:                              ;   in Loop: Header=BB328_10 Depth=1
	v_bfrev_b32_e32 v46, 1
	s_mov_b32 s40, exec_lo
	v_cmpx_ne_u16_e32 0x80, v3
	s_cbranch_execz .LBB328_193
; %bb.188:                              ;   in Loop: Header=BB328_10 Depth=1
	v_bfe_u32 v49, v50, 16, 7
	v_mov_b32_e32 v46, 0x7fc02000
	s_mov_b32 s41, exec_lo
	s_delay_alu instid0(VALU_DEP_2)
	v_cmpx_ne_u32_e32 0x7f, v49
	s_cbranch_execz .LBB328_192
; %bb.189:                              ;   in Loop: Header=BB328_10 Depth=1
	v_and_b32_e32 v3, 7, v48
	v_lshrrev_b32_e32 v46, 3, v49
	s_mov_b32 s42, exec_lo
	v_cmpx_gt_u32_e32 8, v49
; %bb.190:                              ;   in Loop: Header=BB328_10 Depth=1
	s_delay_alu instid0(VALU_DEP_3) | instskip(NEXT) | instid1(VALU_DEP_1)
	v_clz_i32_u32_e32 v46, v3
	v_min_u32_e32 v46, 32, v46
	s_delay_alu instid0(VALU_DEP_1) | instskip(SKIP_1) | instid1(VALU_DEP_2)
	v_subrev_nc_u32_e32 v49, 28, v46
	v_sub_nc_u32_e32 v46, 29, v46
	v_lshlrev_b64 v[51:52], v49, v[3:4]
	s_delay_alu instid0(VALU_DEP_1)
	v_and_b32_e32 v3, 7, v51
; %bb.191:                              ;   in Loop: Header=BB328_10 Depth=1
	s_or_b32 exec_lo, exec_lo, s42
	v_lshlrev_b32_e32 v48, 8, v48
	v_lshl_add_u32 v46, v46, 10, 0x2000
	s_delay_alu instid0(VALU_DEP_1) | instskip(NEXT) | instid1(VALU_DEP_1)
	v_and_or_b32 v46, 0x8000, v48, v46
	v_lshl_or_b32 v3, v3, 7, v46
	s_delay_alu instid0(VALU_DEP_1)
	v_cvt_f32_f16_e32 v46, v3
.LBB328_192:                            ;   in Loop: Header=BB328_10 Depth=1
	s_or_b32 exec_lo, exec_lo, s41
.LBB328_193:                            ;   in Loop: Header=BB328_10 Depth=1
	s_delay_alu instid0(SALU_CYCLE_1)
	s_or_b32 exec_lo, exec_lo, s40
.LBB328_194:                            ;   in Loop: Header=BB328_10 Depth=1
	s_delay_alu instid0(SALU_CYCLE_1)
	s_or_b32 exec_lo, exec_lo, s3
	v_dual_mov_b32 v48, 0 :: v_dual_mov_b32 v49, 0
	s_mov_b32 s3, exec_lo
	v_cmpx_lt_u32_e32 0xffffff, v50
	s_cbranch_execz .LBB328_202
; %bb.195:                              ;   in Loop: Header=BB328_10 Depth=1
	v_lshrrev_b32_e32 v50, 24, v50
	v_bfrev_b32_e32 v49, 1
	s_mov_b32 s40, exec_lo
	s_delay_alu instid0(VALU_DEP_2)
	v_cmpx_ne_u32_e32 0x80, v50
	s_cbranch_execz .LBB328_201
; %bb.196:                              ;   in Loop: Header=BB328_10 Depth=1
	v_and_b32_e32 v51, 0x7f, v50
	v_mov_b32_e32 v49, 0x7fc02000
	s_mov_b32 s41, exec_lo
	s_delay_alu instid0(VALU_DEP_2)
	v_cmpx_ne_u32_e32 0x7f, v51
	s_cbranch_execz .LBB328_200
; %bb.197:                              ;   in Loop: Header=BB328_10 Depth=1
	v_and_b32_e32 v3, 7, v50
	v_lshrrev_b32_e32 v49, 3, v51
	s_mov_b32 s42, exec_lo
	v_cmpx_gt_u32_e32 8, v51
; %bb.198:                              ;   in Loop: Header=BB328_10 Depth=1
	s_delay_alu instid0(VALU_DEP_3) | instskip(NEXT) | instid1(VALU_DEP_1)
	v_clz_i32_u32_e32 v49, v3
	v_min_u32_e32 v49, 32, v49
	s_delay_alu instid0(VALU_DEP_1) | instskip(SKIP_1) | instid1(VALU_DEP_2)
	v_subrev_nc_u32_e32 v51, 28, v49
	v_sub_nc_u32_e32 v49, 29, v49
	v_lshlrev_b64 v[51:52], v51, v[3:4]
	s_delay_alu instid0(VALU_DEP_1)
	v_and_b32_e32 v3, 7, v51
; %bb.199:                              ;   in Loop: Header=BB328_10 Depth=1
	s_or_b32 exec_lo, exec_lo, s42
	v_lshlrev_b32_e32 v50, 8, v50
	v_lshl_add_u32 v49, v49, 10, 0x2000
	s_delay_alu instid0(VALU_DEP_1) | instskip(NEXT) | instid1(VALU_DEP_1)
	v_and_or_b32 v49, 0x8000, v50, v49
	v_lshl_or_b32 v3, v3, 7, v49
	s_delay_alu instid0(VALU_DEP_1)
	v_cvt_f32_f16_e32 v49, v3
.LBB328_200:                            ;   in Loop: Header=BB328_10 Depth=1
	s_or_b32 exec_lo, exec_lo, s41
.LBB328_201:                            ;   in Loop: Header=BB328_10 Depth=1
	s_delay_alu instid0(SALU_CYCLE_1)
	s_or_b32 exec_lo, exec_lo, s40
.LBB328_202:                            ;   in Loop: Header=BB328_10 Depth=1
	s_delay_alu instid0(SALU_CYCLE_1) | instskip(SKIP_4) | instid1(VALU_DEP_1)
	s_or_b32 exec_lo, exec_lo, s3
	global_load_b32 v54, v[9:10], off offset:768
	s_mov_b32 s3, exec_lo
	s_waitcnt vmcnt(0)
	v_and_b32_e32 v3, 0xff, v54
	v_cmpx_ne_u16_e32 0, v3
	s_cbranch_execz .LBB328_210
; %bb.203:                              ;   in Loop: Header=BB328_10 Depth=1
	v_bfrev_b32_e32 v48, 1
	s_mov_b32 s40, exec_lo
	v_cmpx_ne_u16_e32 0x80, v3
	s_cbranch_execz .LBB328_209
; %bb.204:                              ;   in Loop: Header=BB328_10 Depth=1
	v_and_b32_e32 v50, 0x7f, v54
	v_mov_b32_e32 v48, 0x7fc02000
	s_mov_b32 s41, exec_lo
	s_delay_alu instid0(VALU_DEP_2)
	v_cmpx_ne_u32_e32 0x7f, v50
	s_cbranch_execz .LBB328_208
; %bb.205:                              ;   in Loop: Header=BB328_10 Depth=1
	v_and_b32_e32 v3, 7, v54
	v_lshrrev_b32_e32 v48, 3, v50
	s_mov_b32 s42, exec_lo
	v_cmpx_gt_u32_e32 8, v50
; %bb.206:                              ;   in Loop: Header=BB328_10 Depth=1
	s_delay_alu instid0(VALU_DEP_3) | instskip(NEXT) | instid1(VALU_DEP_1)
	v_clz_i32_u32_e32 v48, v3
	v_min_u32_e32 v48, 32, v48
	s_delay_alu instid0(VALU_DEP_1) | instskip(SKIP_1) | instid1(VALU_DEP_2)
	v_subrev_nc_u32_e32 v50, 28, v48
	v_sub_nc_u32_e32 v48, 29, v48
	v_lshlrev_b64 v[50:51], v50, v[3:4]
	s_delay_alu instid0(VALU_DEP_1)
	v_and_b32_e32 v3, 7, v50
; %bb.207:                              ;   in Loop: Header=BB328_10 Depth=1
	s_or_b32 exec_lo, exec_lo, s42
	v_lshlrev_b32_e32 v50, 8, v54
	v_lshl_add_u32 v48, v48, 10, 0x2000
	s_delay_alu instid0(VALU_DEP_1) | instskip(NEXT) | instid1(VALU_DEP_1)
	v_and_or_b32 v48, 0x8000, v50, v48
	v_lshl_or_b32 v3, v3, 7, v48
	s_delay_alu instid0(VALU_DEP_1)
	v_cvt_f32_f16_e32 v48, v3
.LBB328_208:                            ;   in Loop: Header=BB328_10 Depth=1
	s_or_b32 exec_lo, exec_lo, s41
.LBB328_209:                            ;   in Loop: Header=BB328_10 Depth=1
	s_delay_alu instid0(SALU_CYCLE_1)
	s_or_b32 exec_lo, exec_lo, s40
.LBB328_210:                            ;   in Loop: Header=BB328_10 Depth=1
	s_delay_alu instid0(SALU_CYCLE_1) | instskip(SKIP_3) | instid1(VALU_DEP_2)
	s_or_b32 exec_lo, exec_lo, s3
	v_lshrrev_b16 v3, 8, v54
	v_dual_mov_b32 v50, 0 :: v_dual_mov_b32 v51, 0
	s_mov_b32 s3, exec_lo
	v_cmpx_ne_u16_e32 0, v3
	s_cbranch_execz .LBB328_218
; %bb.211:                              ;   in Loop: Header=BB328_10 Depth=1
	v_bfrev_b32_e32 v51, 1
	s_mov_b32 s40, exec_lo
	v_cmpx_ne_u16_e32 0x80, v3
	s_cbranch_execz .LBB328_217
; %bb.212:                              ;   in Loop: Header=BB328_10 Depth=1
	v_and_b32_e32 v52, 0xffff, v3
	v_mov_b32_e32 v51, 0x7fc02000
	s_mov_b32 s41, exec_lo
	s_delay_alu instid0(VALU_DEP_2) | instskip(NEXT) | instid1(VALU_DEP_1)
	v_and_b32_e32 v53, 0x7f, v52
	v_cmpx_ne_u32_e32 0x7f, v53
	s_cbranch_execz .LBB328_216
; %bb.213:                              ;   in Loop: Header=BB328_10 Depth=1
	v_and_b32_e32 v3, 7, v52
	v_lshrrev_b32_e32 v51, 3, v53
	s_mov_b32 s42, exec_lo
	v_cmpx_gt_u32_e32 8, v53
; %bb.214:                              ;   in Loop: Header=BB328_10 Depth=1
	s_delay_alu instid0(VALU_DEP_3) | instskip(NEXT) | instid1(VALU_DEP_1)
	v_clz_i32_u32_e32 v51, v3
	v_min_u32_e32 v51, 32, v51
	s_delay_alu instid0(VALU_DEP_1) | instskip(SKIP_1) | instid1(VALU_DEP_2)
	v_subrev_nc_u32_e32 v53, 28, v51
	v_sub_nc_u32_e32 v51, 29, v51
	v_lshlrev_b64 v[55:56], v53, v[3:4]
	s_delay_alu instid0(VALU_DEP_1)
	v_and_b32_e32 v3, 7, v55
; %bb.215:                              ;   in Loop: Header=BB328_10 Depth=1
	s_or_b32 exec_lo, exec_lo, s42
	v_lshlrev_b32_e32 v52, 8, v52
	v_lshl_add_u32 v51, v51, 10, 0x2000
	s_delay_alu instid0(VALU_DEP_1) | instskip(NEXT) | instid1(VALU_DEP_1)
	v_and_or_b32 v51, 0x8000, v52, v51
	v_lshl_or_b32 v3, v3, 7, v51
	s_delay_alu instid0(VALU_DEP_1)
	v_cvt_f32_f16_e32 v51, v3
.LBB328_216:                            ;   in Loop: Header=BB328_10 Depth=1
	s_or_b32 exec_lo, exec_lo, s41
.LBB328_217:                            ;   in Loop: Header=BB328_10 Depth=1
	s_delay_alu instid0(SALU_CYCLE_1)
	s_or_b32 exec_lo, exec_lo, s40
.LBB328_218:                            ;   in Loop: Header=BB328_10 Depth=1
	s_delay_alu instid0(SALU_CYCLE_1) | instskip(SKIP_2) | instid1(VALU_DEP_1)
	s_or_b32 exec_lo, exec_lo, s3
	v_lshrrev_b32_e32 v52, 16, v54
	s_mov_b32 s3, exec_lo
	v_and_b32_e32 v3, 0xff, v52
	s_delay_alu instid0(VALU_DEP_1)
	v_cmpx_ne_u16_e32 0, v3
	s_cbranch_execz .LBB328_226
; %bb.219:                              ;   in Loop: Header=BB328_10 Depth=1
	v_bfrev_b32_e32 v50, 1
	s_mov_b32 s40, exec_lo
	v_cmpx_ne_u16_e32 0x80, v3
	s_cbranch_execz .LBB328_225
; %bb.220:                              ;   in Loop: Header=BB328_10 Depth=1
	v_bfe_u32 v53, v54, 16, 7
	v_mov_b32_e32 v50, 0x7fc02000
	s_mov_b32 s41, exec_lo
	s_delay_alu instid0(VALU_DEP_2)
	v_cmpx_ne_u32_e32 0x7f, v53
	s_cbranch_execz .LBB328_224
; %bb.221:                              ;   in Loop: Header=BB328_10 Depth=1
	v_and_b32_e32 v3, 7, v52
	v_lshrrev_b32_e32 v50, 3, v53
	s_mov_b32 s42, exec_lo
	v_cmpx_gt_u32_e32 8, v53
; %bb.222:                              ;   in Loop: Header=BB328_10 Depth=1
	s_delay_alu instid0(VALU_DEP_3) | instskip(NEXT) | instid1(VALU_DEP_1)
	v_clz_i32_u32_e32 v50, v3
	v_min_u32_e32 v50, 32, v50
	s_delay_alu instid0(VALU_DEP_1) | instskip(SKIP_1) | instid1(VALU_DEP_2)
	v_subrev_nc_u32_e32 v53, 28, v50
	v_sub_nc_u32_e32 v50, 29, v50
	v_lshlrev_b64 v[55:56], v53, v[3:4]
	s_delay_alu instid0(VALU_DEP_1)
	v_and_b32_e32 v3, 7, v55
; %bb.223:                              ;   in Loop: Header=BB328_10 Depth=1
	s_or_b32 exec_lo, exec_lo, s42
	v_lshlrev_b32_e32 v52, 8, v52
	v_lshl_add_u32 v50, v50, 10, 0x2000
	s_delay_alu instid0(VALU_DEP_1) | instskip(NEXT) | instid1(VALU_DEP_1)
	v_and_or_b32 v50, 0x8000, v52, v50
	v_lshl_or_b32 v3, v3, 7, v50
	s_delay_alu instid0(VALU_DEP_1)
	v_cvt_f32_f16_e32 v50, v3
.LBB328_224:                            ;   in Loop: Header=BB328_10 Depth=1
	s_or_b32 exec_lo, exec_lo, s41
.LBB328_225:                            ;   in Loop: Header=BB328_10 Depth=1
	s_delay_alu instid0(SALU_CYCLE_1)
	s_or_b32 exec_lo, exec_lo, s40
.LBB328_226:                            ;   in Loop: Header=BB328_10 Depth=1
	s_delay_alu instid0(SALU_CYCLE_1)
	s_or_b32 exec_lo, exec_lo, s3
	v_dual_mov_b32 v52, 0 :: v_dual_mov_b32 v53, 0
	s_mov_b32 s3, exec_lo
	v_cmpx_lt_u32_e32 0xffffff, v54
	s_cbranch_execz .LBB328_234
; %bb.227:                              ;   in Loop: Header=BB328_10 Depth=1
	v_lshrrev_b32_e32 v54, 24, v54
	v_bfrev_b32_e32 v53, 1
	s_mov_b32 s40, exec_lo
	s_delay_alu instid0(VALU_DEP_2)
	v_cmpx_ne_u32_e32 0x80, v54
	s_cbranch_execz .LBB328_233
; %bb.228:                              ;   in Loop: Header=BB328_10 Depth=1
	v_and_b32_e32 v55, 0x7f, v54
	v_mov_b32_e32 v53, 0x7fc02000
	s_mov_b32 s41, exec_lo
	s_delay_alu instid0(VALU_DEP_2)
	v_cmpx_ne_u32_e32 0x7f, v55
	s_cbranch_execz .LBB328_232
; %bb.229:                              ;   in Loop: Header=BB328_10 Depth=1
	v_and_b32_e32 v3, 7, v54
	v_lshrrev_b32_e32 v53, 3, v55
	s_mov_b32 s42, exec_lo
	v_cmpx_gt_u32_e32 8, v55
; %bb.230:                              ;   in Loop: Header=BB328_10 Depth=1
	s_delay_alu instid0(VALU_DEP_3) | instskip(NEXT) | instid1(VALU_DEP_1)
	v_clz_i32_u32_e32 v53, v3
	v_min_u32_e32 v53, 32, v53
	s_delay_alu instid0(VALU_DEP_1) | instskip(SKIP_1) | instid1(VALU_DEP_2)
	v_subrev_nc_u32_e32 v55, 28, v53
	v_sub_nc_u32_e32 v53, 29, v53
	v_lshlrev_b64 v[55:56], v55, v[3:4]
	s_delay_alu instid0(VALU_DEP_1)
	v_and_b32_e32 v3, 7, v55
; %bb.231:                              ;   in Loop: Header=BB328_10 Depth=1
	s_or_b32 exec_lo, exec_lo, s42
	v_lshlrev_b32_e32 v54, 8, v54
	v_lshl_add_u32 v53, v53, 10, 0x2000
	s_delay_alu instid0(VALU_DEP_1) | instskip(NEXT) | instid1(VALU_DEP_1)
	v_and_or_b32 v53, 0x8000, v54, v53
	v_lshl_or_b32 v3, v3, 7, v53
	s_delay_alu instid0(VALU_DEP_1)
	v_cvt_f32_f16_e32 v53, v3
.LBB328_232:                            ;   in Loop: Header=BB328_10 Depth=1
	s_or_b32 exec_lo, exec_lo, s41
.LBB328_233:                            ;   in Loop: Header=BB328_10 Depth=1
	s_delay_alu instid0(SALU_CYCLE_1)
	s_or_b32 exec_lo, exec_lo, s40
.LBB328_234:                            ;   in Loop: Header=BB328_10 Depth=1
	s_delay_alu instid0(SALU_CYCLE_1) | instskip(SKIP_4) | instid1(VALU_DEP_1)
	s_or_b32 exec_lo, exec_lo, s3
	global_load_b32 v58, v[9:10], off offset:776
	s_mov_b32 s3, exec_lo
	s_waitcnt vmcnt(0)
	v_and_b32_e32 v3, 0xff, v58
	v_cmpx_ne_u16_e32 0, v3
	s_cbranch_execz .LBB328_242
; %bb.235:                              ;   in Loop: Header=BB328_10 Depth=1
	v_bfrev_b32_e32 v52, 1
	s_mov_b32 s40, exec_lo
	v_cmpx_ne_u16_e32 0x80, v3
	s_cbranch_execz .LBB328_241
; %bb.236:                              ;   in Loop: Header=BB328_10 Depth=1
	v_and_b32_e32 v54, 0x7f, v58
	v_mov_b32_e32 v52, 0x7fc02000
	s_mov_b32 s41, exec_lo
	s_delay_alu instid0(VALU_DEP_2)
	v_cmpx_ne_u32_e32 0x7f, v54
	s_cbranch_execz .LBB328_240
; %bb.237:                              ;   in Loop: Header=BB328_10 Depth=1
	v_and_b32_e32 v3, 7, v58
	v_lshrrev_b32_e32 v52, 3, v54
	s_mov_b32 s42, exec_lo
	v_cmpx_gt_u32_e32 8, v54
; %bb.238:                              ;   in Loop: Header=BB328_10 Depth=1
	s_delay_alu instid0(VALU_DEP_3) | instskip(NEXT) | instid1(VALU_DEP_1)
	v_clz_i32_u32_e32 v52, v3
	v_min_u32_e32 v52, 32, v52
	s_delay_alu instid0(VALU_DEP_1) | instskip(SKIP_1) | instid1(VALU_DEP_2)
	v_subrev_nc_u32_e32 v54, 28, v52
	v_sub_nc_u32_e32 v52, 29, v52
	v_lshlrev_b64 v[54:55], v54, v[3:4]
	s_delay_alu instid0(VALU_DEP_1)
	v_and_b32_e32 v3, 7, v54
; %bb.239:                              ;   in Loop: Header=BB328_10 Depth=1
	s_or_b32 exec_lo, exec_lo, s42
	v_lshlrev_b32_e32 v54, 8, v58
	v_lshl_add_u32 v52, v52, 10, 0x2000
	s_delay_alu instid0(VALU_DEP_1) | instskip(NEXT) | instid1(VALU_DEP_1)
	v_and_or_b32 v52, 0x8000, v54, v52
	v_lshl_or_b32 v3, v3, 7, v52
	s_delay_alu instid0(VALU_DEP_1)
	v_cvt_f32_f16_e32 v52, v3
.LBB328_240:                            ;   in Loop: Header=BB328_10 Depth=1
	s_or_b32 exec_lo, exec_lo, s41
.LBB328_241:                            ;   in Loop: Header=BB328_10 Depth=1
	s_delay_alu instid0(SALU_CYCLE_1)
	s_or_b32 exec_lo, exec_lo, s40
.LBB328_242:                            ;   in Loop: Header=BB328_10 Depth=1
	s_delay_alu instid0(SALU_CYCLE_1) | instskip(SKIP_3) | instid1(VALU_DEP_2)
	s_or_b32 exec_lo, exec_lo, s3
	v_lshrrev_b16 v3, 8, v58
	v_dual_mov_b32 v54, 0 :: v_dual_mov_b32 v55, 0
	s_mov_b32 s3, exec_lo
	v_cmpx_ne_u16_e32 0, v3
	s_cbranch_execz .LBB328_250
; %bb.243:                              ;   in Loop: Header=BB328_10 Depth=1
	v_bfrev_b32_e32 v55, 1
	s_mov_b32 s40, exec_lo
	v_cmpx_ne_u16_e32 0x80, v3
	s_cbranch_execz .LBB328_249
; %bb.244:                              ;   in Loop: Header=BB328_10 Depth=1
	v_and_b32_e32 v56, 0xffff, v3
	v_mov_b32_e32 v55, 0x7fc02000
	s_mov_b32 s41, exec_lo
	s_delay_alu instid0(VALU_DEP_2) | instskip(NEXT) | instid1(VALU_DEP_1)
	v_and_b32_e32 v57, 0x7f, v56
	v_cmpx_ne_u32_e32 0x7f, v57
	s_cbranch_execz .LBB328_248
; %bb.245:                              ;   in Loop: Header=BB328_10 Depth=1
	v_and_b32_e32 v3, 7, v56
	v_lshrrev_b32_e32 v55, 3, v57
	s_mov_b32 s42, exec_lo
	v_cmpx_gt_u32_e32 8, v57
; %bb.246:                              ;   in Loop: Header=BB328_10 Depth=1
	s_delay_alu instid0(VALU_DEP_3) | instskip(NEXT) | instid1(VALU_DEP_1)
	v_clz_i32_u32_e32 v55, v3
	v_min_u32_e32 v55, 32, v55
	s_delay_alu instid0(VALU_DEP_1) | instskip(SKIP_1) | instid1(VALU_DEP_2)
	v_subrev_nc_u32_e32 v57, 28, v55
	v_sub_nc_u32_e32 v55, 29, v55
	v_lshlrev_b64 v[59:60], v57, v[3:4]
	s_delay_alu instid0(VALU_DEP_1)
	v_and_b32_e32 v3, 7, v59
; %bb.247:                              ;   in Loop: Header=BB328_10 Depth=1
	s_or_b32 exec_lo, exec_lo, s42
	v_lshlrev_b32_e32 v56, 8, v56
	v_lshl_add_u32 v55, v55, 10, 0x2000
	s_delay_alu instid0(VALU_DEP_1) | instskip(NEXT) | instid1(VALU_DEP_1)
	v_and_or_b32 v55, 0x8000, v56, v55
	v_lshl_or_b32 v3, v3, 7, v55
	s_delay_alu instid0(VALU_DEP_1)
	v_cvt_f32_f16_e32 v55, v3
.LBB328_248:                            ;   in Loop: Header=BB328_10 Depth=1
	s_or_b32 exec_lo, exec_lo, s41
.LBB328_249:                            ;   in Loop: Header=BB328_10 Depth=1
	s_delay_alu instid0(SALU_CYCLE_1)
	s_or_b32 exec_lo, exec_lo, s40
.LBB328_250:                            ;   in Loop: Header=BB328_10 Depth=1
	s_delay_alu instid0(SALU_CYCLE_1) | instskip(SKIP_2) | instid1(VALU_DEP_1)
	s_or_b32 exec_lo, exec_lo, s3
	v_lshrrev_b32_e32 v56, 16, v58
	s_mov_b32 s3, exec_lo
	v_and_b32_e32 v3, 0xff, v56
	s_delay_alu instid0(VALU_DEP_1)
	v_cmpx_ne_u16_e32 0, v3
	s_cbranch_execz .LBB328_258
; %bb.251:                              ;   in Loop: Header=BB328_10 Depth=1
	v_bfrev_b32_e32 v54, 1
	s_mov_b32 s40, exec_lo
	v_cmpx_ne_u16_e32 0x80, v3
	s_cbranch_execz .LBB328_257
; %bb.252:                              ;   in Loop: Header=BB328_10 Depth=1
	v_bfe_u32 v57, v58, 16, 7
	v_mov_b32_e32 v54, 0x7fc02000
	s_mov_b32 s41, exec_lo
	s_delay_alu instid0(VALU_DEP_2)
	v_cmpx_ne_u32_e32 0x7f, v57
	s_cbranch_execz .LBB328_256
; %bb.253:                              ;   in Loop: Header=BB328_10 Depth=1
	v_and_b32_e32 v3, 7, v56
	v_lshrrev_b32_e32 v54, 3, v57
	s_mov_b32 s42, exec_lo
	v_cmpx_gt_u32_e32 8, v57
; %bb.254:                              ;   in Loop: Header=BB328_10 Depth=1
	s_delay_alu instid0(VALU_DEP_3) | instskip(NEXT) | instid1(VALU_DEP_1)
	v_clz_i32_u32_e32 v54, v3
	v_min_u32_e32 v54, 32, v54
	s_delay_alu instid0(VALU_DEP_1) | instskip(SKIP_1) | instid1(VALU_DEP_2)
	v_subrev_nc_u32_e32 v57, 28, v54
	v_sub_nc_u32_e32 v54, 29, v54
	v_lshlrev_b64 v[59:60], v57, v[3:4]
	s_delay_alu instid0(VALU_DEP_1)
	v_and_b32_e32 v3, 7, v59
; %bb.255:                              ;   in Loop: Header=BB328_10 Depth=1
	s_or_b32 exec_lo, exec_lo, s42
	v_lshlrev_b32_e32 v56, 8, v56
	v_lshl_add_u32 v54, v54, 10, 0x2000
	s_delay_alu instid0(VALU_DEP_1) | instskip(NEXT) | instid1(VALU_DEP_1)
	v_and_or_b32 v54, 0x8000, v56, v54
	v_lshl_or_b32 v3, v3, 7, v54
	s_delay_alu instid0(VALU_DEP_1)
	v_cvt_f32_f16_e32 v54, v3
.LBB328_256:                            ;   in Loop: Header=BB328_10 Depth=1
	s_or_b32 exec_lo, exec_lo, s41
.LBB328_257:                            ;   in Loop: Header=BB328_10 Depth=1
	s_delay_alu instid0(SALU_CYCLE_1)
	s_or_b32 exec_lo, exec_lo, s40
.LBB328_258:                            ;   in Loop: Header=BB328_10 Depth=1
	s_delay_alu instid0(SALU_CYCLE_1)
	s_or_b32 exec_lo, exec_lo, s3
	v_dual_mov_b32 v57, 0 :: v_dual_mov_b32 v56, 0
	s_mov_b32 s3, exec_lo
	v_cmpx_lt_u32_e32 0xffffff, v58
	s_cbranch_execz .LBB328_266
; %bb.259:                              ;   in Loop: Header=BB328_10 Depth=1
	v_lshrrev_b32_e32 v58, 24, v58
	v_bfrev_b32_e32 v56, 1
	s_mov_b32 s40, exec_lo
	s_delay_alu instid0(VALU_DEP_2)
	v_cmpx_ne_u32_e32 0x80, v58
	s_cbranch_execz .LBB328_265
; %bb.260:                              ;   in Loop: Header=BB328_10 Depth=1
	v_and_b32_e32 v59, 0x7f, v58
	v_mov_b32_e32 v56, 0x7fc02000
	s_mov_b32 s41, exec_lo
	s_delay_alu instid0(VALU_DEP_2)
	v_cmpx_ne_u32_e32 0x7f, v59
	s_cbranch_execz .LBB328_264
; %bb.261:                              ;   in Loop: Header=BB328_10 Depth=1
	v_and_b32_e32 v3, 7, v58
	v_lshrrev_b32_e32 v56, 3, v59
	s_mov_b32 s42, exec_lo
	v_cmpx_gt_u32_e32 8, v59
; %bb.262:                              ;   in Loop: Header=BB328_10 Depth=1
	s_delay_alu instid0(VALU_DEP_3) | instskip(NEXT) | instid1(VALU_DEP_1)
	v_clz_i32_u32_e32 v56, v3
	v_min_u32_e32 v56, 32, v56
	s_delay_alu instid0(VALU_DEP_1) | instskip(SKIP_1) | instid1(VALU_DEP_2)
	v_subrev_nc_u32_e32 v59, 28, v56
	v_sub_nc_u32_e32 v56, 29, v56
	v_lshlrev_b64 v[59:60], v59, v[3:4]
	s_delay_alu instid0(VALU_DEP_1)
	v_and_b32_e32 v3, 7, v59
; %bb.263:                              ;   in Loop: Header=BB328_10 Depth=1
	s_or_b32 exec_lo, exec_lo, s42
	v_lshlrev_b32_e32 v58, 8, v58
	v_lshl_add_u32 v56, v56, 10, 0x2000
	s_delay_alu instid0(VALU_DEP_1) | instskip(NEXT) | instid1(VALU_DEP_1)
	v_and_or_b32 v56, 0x8000, v58, v56
	v_lshl_or_b32 v3, v3, 7, v56
	s_delay_alu instid0(VALU_DEP_1)
	v_cvt_f32_f16_e32 v56, v3
.LBB328_264:                            ;   in Loop: Header=BB328_10 Depth=1
	s_or_b32 exec_lo, exec_lo, s41
.LBB328_265:                            ;   in Loop: Header=BB328_10 Depth=1
	s_delay_alu instid0(SALU_CYCLE_1)
	s_or_b32 exec_lo, exec_lo, s40
.LBB328_266:                            ;   in Loop: Header=BB328_10 Depth=1
	s_delay_alu instid0(SALU_CYCLE_1) | instskip(SKIP_4) | instid1(VALU_DEP_1)
	s_or_b32 exec_lo, exec_lo, s3
	global_load_b32 v62, v[9:10], off offset:1024
	s_mov_b32 s3, exec_lo
	s_waitcnt vmcnt(0)
	v_and_b32_e32 v3, 0xff, v62
	v_cmpx_ne_u16_e32 0, v3
	s_cbranch_execz .LBB328_274
; %bb.267:                              ;   in Loop: Header=BB328_10 Depth=1
	v_bfrev_b32_e32 v57, 1
	s_mov_b32 s40, exec_lo
	v_cmpx_ne_u16_e32 0x80, v3
	s_cbranch_execz .LBB328_273
; %bb.268:                              ;   in Loop: Header=BB328_10 Depth=1
	v_and_b32_e32 v58, 0x7f, v62
	v_mov_b32_e32 v57, 0x7fc02000
	s_mov_b32 s41, exec_lo
	s_delay_alu instid0(VALU_DEP_2)
	v_cmpx_ne_u32_e32 0x7f, v58
	s_cbranch_execz .LBB328_272
; %bb.269:                              ;   in Loop: Header=BB328_10 Depth=1
	v_and_b32_e32 v3, 7, v62
	v_lshrrev_b32_e32 v57, 3, v58
	s_mov_b32 s42, exec_lo
	v_cmpx_gt_u32_e32 8, v58
; %bb.270:                              ;   in Loop: Header=BB328_10 Depth=1
	s_delay_alu instid0(VALU_DEP_3) | instskip(NEXT) | instid1(VALU_DEP_1)
	v_clz_i32_u32_e32 v57, v3
	v_min_u32_e32 v57, 32, v57
	s_delay_alu instid0(VALU_DEP_1) | instskip(SKIP_1) | instid1(VALU_DEP_2)
	v_subrev_nc_u32_e32 v58, 28, v57
	v_sub_nc_u32_e32 v57, 29, v57
	v_lshlrev_b64 v[58:59], v58, v[3:4]
	s_delay_alu instid0(VALU_DEP_1)
	v_and_b32_e32 v3, 7, v58
; %bb.271:                              ;   in Loop: Header=BB328_10 Depth=1
	s_or_b32 exec_lo, exec_lo, s42
	v_lshlrev_b32_e32 v58, 8, v62
	v_lshl_add_u32 v57, v57, 10, 0x2000
	s_delay_alu instid0(VALU_DEP_1) | instskip(NEXT) | instid1(VALU_DEP_1)
	v_and_or_b32 v57, 0x8000, v58, v57
	v_lshl_or_b32 v3, v3, 7, v57
	s_delay_alu instid0(VALU_DEP_1)
	v_cvt_f32_f16_e32 v57, v3
.LBB328_272:                            ;   in Loop: Header=BB328_10 Depth=1
	s_or_b32 exec_lo, exec_lo, s41
.LBB328_273:                            ;   in Loop: Header=BB328_10 Depth=1
	s_delay_alu instid0(SALU_CYCLE_1)
	s_or_b32 exec_lo, exec_lo, s40
.LBB328_274:                            ;   in Loop: Header=BB328_10 Depth=1
	s_delay_alu instid0(SALU_CYCLE_1) | instskip(SKIP_3) | instid1(VALU_DEP_2)
	s_or_b32 exec_lo, exec_lo, s3
	v_lshrrev_b16 v3, 8, v62
	v_dual_mov_b32 v58, 0 :: v_dual_mov_b32 v59, 0
	s_mov_b32 s3, exec_lo
	v_cmpx_ne_u16_e32 0, v3
	s_cbranch_execz .LBB328_282
; %bb.275:                              ;   in Loop: Header=BB328_10 Depth=1
	v_bfrev_b32_e32 v59, 1
	s_mov_b32 s40, exec_lo
	v_cmpx_ne_u16_e32 0x80, v3
	s_cbranch_execz .LBB328_281
; %bb.276:                              ;   in Loop: Header=BB328_10 Depth=1
	v_and_b32_e32 v60, 0xffff, v3
	v_mov_b32_e32 v59, 0x7fc02000
	s_mov_b32 s41, exec_lo
	s_delay_alu instid0(VALU_DEP_2) | instskip(NEXT) | instid1(VALU_DEP_1)
	v_and_b32_e32 v61, 0x7f, v60
	v_cmpx_ne_u32_e32 0x7f, v61
	s_cbranch_execz .LBB328_280
; %bb.277:                              ;   in Loop: Header=BB328_10 Depth=1
	v_and_b32_e32 v3, 7, v60
	v_lshrrev_b32_e32 v59, 3, v61
	s_mov_b32 s42, exec_lo
	v_cmpx_gt_u32_e32 8, v61
; %bb.278:                              ;   in Loop: Header=BB328_10 Depth=1
	s_delay_alu instid0(VALU_DEP_3) | instskip(NEXT) | instid1(VALU_DEP_1)
	v_clz_i32_u32_e32 v59, v3
	v_min_u32_e32 v59, 32, v59
	s_delay_alu instid0(VALU_DEP_1) | instskip(SKIP_1) | instid1(VALU_DEP_2)
	v_subrev_nc_u32_e32 v61, 28, v59
	v_sub_nc_u32_e32 v59, 29, v59
	v_lshlrev_b64 v[63:64], v61, v[3:4]
	s_delay_alu instid0(VALU_DEP_1)
	v_and_b32_e32 v3, 7, v63
; %bb.279:                              ;   in Loop: Header=BB328_10 Depth=1
	s_or_b32 exec_lo, exec_lo, s42
	v_lshlrev_b32_e32 v60, 8, v60
	v_lshl_add_u32 v59, v59, 10, 0x2000
	s_delay_alu instid0(VALU_DEP_1) | instskip(NEXT) | instid1(VALU_DEP_1)
	v_and_or_b32 v59, 0x8000, v60, v59
	v_lshl_or_b32 v3, v3, 7, v59
	s_delay_alu instid0(VALU_DEP_1)
	v_cvt_f32_f16_e32 v59, v3
.LBB328_280:                            ;   in Loop: Header=BB328_10 Depth=1
	s_or_b32 exec_lo, exec_lo, s41
.LBB328_281:                            ;   in Loop: Header=BB328_10 Depth=1
	s_delay_alu instid0(SALU_CYCLE_1)
	s_or_b32 exec_lo, exec_lo, s40
.LBB328_282:                            ;   in Loop: Header=BB328_10 Depth=1
	s_delay_alu instid0(SALU_CYCLE_1) | instskip(SKIP_2) | instid1(VALU_DEP_1)
	s_or_b32 exec_lo, exec_lo, s3
	v_lshrrev_b32_e32 v60, 16, v62
	s_mov_b32 s3, exec_lo
	v_and_b32_e32 v3, 0xff, v60
	s_delay_alu instid0(VALU_DEP_1)
	v_cmpx_ne_u16_e32 0, v3
	s_cbranch_execz .LBB328_290
; %bb.283:                              ;   in Loop: Header=BB328_10 Depth=1
	v_bfrev_b32_e32 v58, 1
	s_mov_b32 s40, exec_lo
	v_cmpx_ne_u16_e32 0x80, v3
	s_cbranch_execz .LBB328_289
; %bb.284:                              ;   in Loop: Header=BB328_10 Depth=1
	v_bfe_u32 v61, v62, 16, 7
	v_mov_b32_e32 v58, 0x7fc02000
	s_mov_b32 s41, exec_lo
	s_delay_alu instid0(VALU_DEP_2)
	v_cmpx_ne_u32_e32 0x7f, v61
	s_cbranch_execz .LBB328_288
; %bb.285:                              ;   in Loop: Header=BB328_10 Depth=1
	v_and_b32_e32 v3, 7, v60
	v_lshrrev_b32_e32 v58, 3, v61
	s_mov_b32 s42, exec_lo
	v_cmpx_gt_u32_e32 8, v61
; %bb.286:                              ;   in Loop: Header=BB328_10 Depth=1
	s_delay_alu instid0(VALU_DEP_3) | instskip(NEXT) | instid1(VALU_DEP_1)
	v_clz_i32_u32_e32 v58, v3
	v_min_u32_e32 v58, 32, v58
	s_delay_alu instid0(VALU_DEP_1) | instskip(SKIP_1) | instid1(VALU_DEP_2)
	v_subrev_nc_u32_e32 v61, 28, v58
	v_sub_nc_u32_e32 v58, 29, v58
	v_lshlrev_b64 v[63:64], v61, v[3:4]
	s_delay_alu instid0(VALU_DEP_1)
	v_and_b32_e32 v3, 7, v63
; %bb.287:                              ;   in Loop: Header=BB328_10 Depth=1
	s_or_b32 exec_lo, exec_lo, s42
	v_lshlrev_b32_e32 v60, 8, v60
	v_lshl_add_u32 v58, v58, 10, 0x2000
	s_delay_alu instid0(VALU_DEP_1) | instskip(NEXT) | instid1(VALU_DEP_1)
	v_and_or_b32 v58, 0x8000, v60, v58
	v_lshl_or_b32 v3, v3, 7, v58
	s_delay_alu instid0(VALU_DEP_1)
	v_cvt_f32_f16_e32 v58, v3
.LBB328_288:                            ;   in Loop: Header=BB328_10 Depth=1
	s_or_b32 exec_lo, exec_lo, s41
.LBB328_289:                            ;   in Loop: Header=BB328_10 Depth=1
	s_delay_alu instid0(SALU_CYCLE_1)
	s_or_b32 exec_lo, exec_lo, s40
.LBB328_290:                            ;   in Loop: Header=BB328_10 Depth=1
	s_delay_alu instid0(SALU_CYCLE_1)
	s_or_b32 exec_lo, exec_lo, s3
	v_dual_mov_b32 v60, 0 :: v_dual_mov_b32 v61, 0
	s_mov_b32 s3, exec_lo
	v_cmpx_lt_u32_e32 0xffffff, v62
	s_cbranch_execz .LBB328_298
; %bb.291:                              ;   in Loop: Header=BB328_10 Depth=1
	v_lshrrev_b32_e32 v62, 24, v62
	v_bfrev_b32_e32 v61, 1
	s_mov_b32 s40, exec_lo
	s_delay_alu instid0(VALU_DEP_2)
	v_cmpx_ne_u32_e32 0x80, v62
	s_cbranch_execz .LBB328_297
; %bb.292:                              ;   in Loop: Header=BB328_10 Depth=1
	v_and_b32_e32 v63, 0x7f, v62
	v_mov_b32_e32 v61, 0x7fc02000
	s_mov_b32 s41, exec_lo
	s_delay_alu instid0(VALU_DEP_2)
	v_cmpx_ne_u32_e32 0x7f, v63
	s_cbranch_execz .LBB328_296
; %bb.293:                              ;   in Loop: Header=BB328_10 Depth=1
	v_and_b32_e32 v3, 7, v62
	v_lshrrev_b32_e32 v61, 3, v63
	s_mov_b32 s42, exec_lo
	v_cmpx_gt_u32_e32 8, v63
; %bb.294:                              ;   in Loop: Header=BB328_10 Depth=1
	s_delay_alu instid0(VALU_DEP_3) | instskip(NEXT) | instid1(VALU_DEP_1)
	v_clz_i32_u32_e32 v61, v3
	v_min_u32_e32 v61, 32, v61
	s_delay_alu instid0(VALU_DEP_1) | instskip(SKIP_1) | instid1(VALU_DEP_2)
	v_subrev_nc_u32_e32 v63, 28, v61
	v_sub_nc_u32_e32 v61, 29, v61
	v_lshlrev_b64 v[63:64], v63, v[3:4]
	s_delay_alu instid0(VALU_DEP_1)
	v_and_b32_e32 v3, 7, v63
; %bb.295:                              ;   in Loop: Header=BB328_10 Depth=1
	s_or_b32 exec_lo, exec_lo, s42
	v_lshlrev_b32_e32 v62, 8, v62
	v_lshl_add_u32 v61, v61, 10, 0x2000
	s_delay_alu instid0(VALU_DEP_1) | instskip(NEXT) | instid1(VALU_DEP_1)
	v_and_or_b32 v61, 0x8000, v62, v61
	v_lshl_or_b32 v3, v3, 7, v61
	s_delay_alu instid0(VALU_DEP_1)
	v_cvt_f32_f16_e32 v61, v3
.LBB328_296:                            ;   in Loop: Header=BB328_10 Depth=1
	s_or_b32 exec_lo, exec_lo, s41
.LBB328_297:                            ;   in Loop: Header=BB328_10 Depth=1
	s_delay_alu instid0(SALU_CYCLE_1)
	s_or_b32 exec_lo, exec_lo, s40
.LBB328_298:                            ;   in Loop: Header=BB328_10 Depth=1
	s_delay_alu instid0(SALU_CYCLE_1) | instskip(SKIP_4) | instid1(VALU_DEP_1)
	s_or_b32 exec_lo, exec_lo, s3
	global_load_b32 v62, v[9:10], off offset:1032
	s_mov_b32 s3, exec_lo
	s_waitcnt vmcnt(0)
	v_and_b32_e32 v3, 0xff, v62
	v_cmpx_ne_u16_e32 0, v3
	s_cbranch_execz .LBB328_306
; %bb.299:                              ;   in Loop: Header=BB328_10 Depth=1
	v_bfrev_b32_e32 v60, 1
	s_mov_b32 s40, exec_lo
	v_cmpx_ne_u16_e32 0x80, v3
	s_cbranch_execz .LBB328_305
; %bb.300:                              ;   in Loop: Header=BB328_10 Depth=1
	v_and_b32_e32 v10, 0x7f, v62
	v_mov_b32_e32 v60, 0x7fc02000
	s_mov_b32 s41, exec_lo
	s_delay_alu instid0(VALU_DEP_2)
	v_cmpx_ne_u32_e32 0x7f, v10
	s_cbranch_execz .LBB328_304
; %bb.301:                              ;   in Loop: Header=BB328_10 Depth=1
	v_and_b32_e32 v3, 7, v62
	v_lshrrev_b32_e32 v9, 3, v10
	s_mov_b32 s42, exec_lo
	v_cmpx_gt_u32_e32 8, v10
; %bb.302:                              ;   in Loop: Header=BB328_10 Depth=1
	s_delay_alu instid0(VALU_DEP_3) | instskip(NEXT) | instid1(VALU_DEP_1)
	v_clz_i32_u32_e32 v9, v3
	v_min_u32_e32 v9, 32, v9
	s_delay_alu instid0(VALU_DEP_1) | instskip(SKIP_1) | instid1(VALU_DEP_2)
	v_subrev_nc_u32_e32 v10, 28, v9
	v_sub_nc_u32_e32 v9, 29, v9
	v_lshlrev_b64 v[63:64], v10, v[3:4]
	s_delay_alu instid0(VALU_DEP_1)
	v_and_b32_e32 v3, 7, v63
; %bb.303:                              ;   in Loop: Header=BB328_10 Depth=1
	s_or_b32 exec_lo, exec_lo, s42
	v_lshlrev_b32_e32 v10, 8, v62
	v_lshl_add_u32 v9, v9, 10, 0x2000
	s_delay_alu instid0(VALU_DEP_1) | instskip(NEXT) | instid1(VALU_DEP_1)
	v_and_or_b32 v9, 0x8000, v10, v9
	v_lshl_or_b32 v3, v3, 7, v9
	s_delay_alu instid0(VALU_DEP_1)
	v_cvt_f32_f16_e32 v60, v3
.LBB328_304:                            ;   in Loop: Header=BB328_10 Depth=1
	s_or_b32 exec_lo, exec_lo, s41
.LBB328_305:                            ;   in Loop: Header=BB328_10 Depth=1
	s_delay_alu instid0(SALU_CYCLE_1)
	s_or_b32 exec_lo, exec_lo, s40
.LBB328_306:                            ;   in Loop: Header=BB328_10 Depth=1
	s_delay_alu instid0(SALU_CYCLE_1) | instskip(SKIP_3) | instid1(VALU_DEP_2)
	s_or_b32 exec_lo, exec_lo, s3
	v_lshrrev_b16 v3, 8, v62
	v_dual_mov_b32 v9, 0 :: v_dual_mov_b32 v10, 0
	s_mov_b32 s3, exec_lo
	v_cmpx_ne_u16_e32 0, v3
	s_cbranch_execz .LBB328_314
; %bb.307:                              ;   in Loop: Header=BB328_10 Depth=1
	v_bfrev_b32_e32 v10, 1
	s_mov_b32 s40, exec_lo
	v_cmpx_ne_u16_e32 0x80, v3
	s_cbranch_execz .LBB328_313
; %bb.308:                              ;   in Loop: Header=BB328_10 Depth=1
	v_and_b32_e32 v63, 0xffff, v3
	v_mov_b32_e32 v10, 0x7fc02000
	s_mov_b32 s41, exec_lo
	s_delay_alu instid0(VALU_DEP_2) | instskip(NEXT) | instid1(VALU_DEP_1)
	v_and_b32_e32 v64, 0x7f, v63
	v_cmpx_ne_u32_e32 0x7f, v64
	s_cbranch_execz .LBB328_312
; %bb.309:                              ;   in Loop: Header=BB328_10 Depth=1
	v_and_b32_e32 v3, 7, v63
	v_lshrrev_b32_e32 v10, 3, v64
	s_mov_b32 s42, exec_lo
	v_cmpx_gt_u32_e32 8, v64
; %bb.310:                              ;   in Loop: Header=BB328_10 Depth=1
	s_delay_alu instid0(VALU_DEP_3) | instskip(NEXT) | instid1(VALU_DEP_1)
	v_clz_i32_u32_e32 v10, v3
	v_min_u32_e32 v10, 32, v10
	s_delay_alu instid0(VALU_DEP_1) | instskip(SKIP_1) | instid1(VALU_DEP_2)
	v_subrev_nc_u32_e32 v64, 28, v10
	v_sub_nc_u32_e32 v10, 29, v10
	v_lshlrev_b64 v[64:65], v64, v[3:4]
	s_delay_alu instid0(VALU_DEP_1)
	v_and_b32_e32 v3, 7, v64
; %bb.311:                              ;   in Loop: Header=BB328_10 Depth=1
	s_or_b32 exec_lo, exec_lo, s42
	v_lshlrev_b32_e32 v63, 8, v63
	v_lshl_add_u32 v10, v10, 10, 0x2000
	s_delay_alu instid0(VALU_DEP_1) | instskip(NEXT) | instid1(VALU_DEP_1)
	v_and_or_b32 v10, 0x8000, v63, v10
	v_lshl_or_b32 v3, v3, 7, v10
	s_delay_alu instid0(VALU_DEP_1)
	v_cvt_f32_f16_e32 v10, v3
.LBB328_312:                            ;   in Loop: Header=BB328_10 Depth=1
	s_or_b32 exec_lo, exec_lo, s41
.LBB328_313:                            ;   in Loop: Header=BB328_10 Depth=1
	s_delay_alu instid0(SALU_CYCLE_1)
	s_or_b32 exec_lo, exec_lo, s40
.LBB328_314:                            ;   in Loop: Header=BB328_10 Depth=1
	s_delay_alu instid0(SALU_CYCLE_1) | instskip(SKIP_2) | instid1(VALU_DEP_1)
	s_or_b32 exec_lo, exec_lo, s3
	v_lshrrev_b32_e32 v63, 16, v62
	s_mov_b32 s3, exec_lo
	v_and_b32_e32 v3, 0xff, v63
	s_delay_alu instid0(VALU_DEP_1)
	v_cmpx_ne_u16_e32 0, v3
	s_cbranch_execz .LBB328_322
; %bb.315:                              ;   in Loop: Header=BB328_10 Depth=1
	v_bfrev_b32_e32 v9, 1
	s_mov_b32 s40, exec_lo
	v_cmpx_ne_u16_e32 0x80, v3
	s_cbranch_execz .LBB328_321
; %bb.316:                              ;   in Loop: Header=BB328_10 Depth=1
	v_bfe_u32 v64, v62, 16, 7
	v_mov_b32_e32 v9, 0x7fc02000
	s_mov_b32 s41, exec_lo
	s_delay_alu instid0(VALU_DEP_2)
	v_cmpx_ne_u32_e32 0x7f, v64
	s_cbranch_execz .LBB328_320
; %bb.317:                              ;   in Loop: Header=BB328_10 Depth=1
	v_and_b32_e32 v3, 7, v63
	v_lshrrev_b32_e32 v9, 3, v64
	s_mov_b32 s42, exec_lo
	v_cmpx_gt_u32_e32 8, v64
; %bb.318:                              ;   in Loop: Header=BB328_10 Depth=1
	s_delay_alu instid0(VALU_DEP_3) | instskip(NEXT) | instid1(VALU_DEP_1)
	v_clz_i32_u32_e32 v9, v3
	v_min_u32_e32 v9, 32, v9
	s_delay_alu instid0(VALU_DEP_1) | instskip(SKIP_1) | instid1(VALU_DEP_2)
	v_subrev_nc_u32_e32 v64, 28, v9
	v_sub_nc_u32_e32 v9, 29, v9
	v_lshlrev_b64 v[64:65], v64, v[3:4]
	s_delay_alu instid0(VALU_DEP_1)
	v_and_b32_e32 v3, 7, v64
; %bb.319:                              ;   in Loop: Header=BB328_10 Depth=1
	s_or_b32 exec_lo, exec_lo, s42
	v_lshlrev_b32_e32 v63, 8, v63
	v_lshl_add_u32 v9, v9, 10, 0x2000
	s_delay_alu instid0(VALU_DEP_1) | instskip(NEXT) | instid1(VALU_DEP_1)
	v_and_or_b32 v9, 0x8000, v63, v9
	v_lshl_or_b32 v3, v3, 7, v9
	s_delay_alu instid0(VALU_DEP_1)
	v_cvt_f32_f16_e32 v9, v3
.LBB328_320:                            ;   in Loop: Header=BB328_10 Depth=1
	s_or_b32 exec_lo, exec_lo, s41
.LBB328_321:                            ;   in Loop: Header=BB328_10 Depth=1
	s_delay_alu instid0(SALU_CYCLE_1)
	s_or_b32 exec_lo, exec_lo, s40
.LBB328_322:                            ;   in Loop: Header=BB328_10 Depth=1
	s_delay_alu instid0(SALU_CYCLE_1)
	s_or_b32 exec_lo, exec_lo, s3
	v_mov_b32_e32 v3, 0
	s_mov_b32 s3, exec_lo
	v_cmpx_lt_u32_e32 0xffffff, v62
	s_cbranch_execz .LBB328_330
; %bb.323:                              ;   in Loop: Header=BB328_10 Depth=1
	v_lshrrev_b32_e32 v62, 24, v62
	v_bfrev_b32_e32 v3, 1
	s_mov_b32 s40, exec_lo
	s_delay_alu instid0(VALU_DEP_2)
	v_cmpx_ne_u32_e32 0x80, v62
	s_cbranch_execz .LBB328_329
; %bb.324:                              ;   in Loop: Header=BB328_10 Depth=1
	v_and_b32_e32 v64, 0x7f, v62
	v_mov_b32_e32 v3, 0x7fc02000
	s_mov_b32 s41, exec_lo
	s_delay_alu instid0(VALU_DEP_2)
	v_cmpx_ne_u32_e32 0x7f, v64
	s_cbranch_execz .LBB328_328
; %bb.325:                              ;   in Loop: Header=BB328_10 Depth=1
	v_and_b32_e32 v3, 7, v62
	v_lshrrev_b32_e32 v63, 3, v64
	s_mov_b32 s42, exec_lo
	v_cmpx_gt_u32_e32 8, v64
; %bb.326:                              ;   in Loop: Header=BB328_10 Depth=1
	s_delay_alu instid0(VALU_DEP_3) | instskip(NEXT) | instid1(VALU_DEP_1)
	v_clz_i32_u32_e32 v63, v3
	v_min_u32_e32 v63, 32, v63
	s_delay_alu instid0(VALU_DEP_1) | instskip(SKIP_1) | instid1(VALU_DEP_2)
	v_subrev_nc_u32_e32 v64, 28, v63
	v_sub_nc_u32_e32 v63, 29, v63
	v_lshlrev_b64 v[64:65], v64, v[3:4]
	s_delay_alu instid0(VALU_DEP_1)
	v_and_b32_e32 v3, 7, v64
; %bb.327:                              ;   in Loop: Header=BB328_10 Depth=1
	s_or_b32 exec_lo, exec_lo, s42
	v_lshlrev_b32_e32 v62, 8, v62
	v_lshl_add_u32 v63, v63, 10, 0x2000
	s_delay_alu instid0(VALU_DEP_1) | instskip(NEXT) | instid1(VALU_DEP_1)
	v_and_or_b32 v62, 0x8000, v62, v63
	v_lshl_or_b32 v3, v3, 7, v62
	s_delay_alu instid0(VALU_DEP_1)
	v_cvt_f32_f16_e32 v3, v3
.LBB328_328:                            ;   in Loop: Header=BB328_10 Depth=1
	s_or_b32 exec_lo, exec_lo, s41
.LBB328_329:                            ;   in Loop: Header=BB328_10 Depth=1
	s_delay_alu instid0(SALU_CYCLE_1)
	s_or_b32 exec_lo, exec_lo, s40
.LBB328_330:                            ;   in Loop: Header=BB328_10 Depth=1
	s_delay_alu instid0(SALU_CYCLE_1)
	s_or_b32 exec_lo, exec_lo, s3
	ds_load_b64 v[62:63], v20
	v_fma_mixlo_f16 v25, v24, v25, 0
	v_fma_mixlo_f16 v27, v24, v27, 0
	;; [unrolled: 1-line block ×5, first 2 shown]
	v_and_b32_e32 v25, 0xffff, v25
	v_and_b32_e32 v27, 0xffff, v27
	;; [unrolled: 1-line block ×3, first 2 shown]
	v_fma_mixlo_f16 v31, v24, v31, 0
	v_fma_mixlo_f16 v30, v24, v30, 0
	;; [unrolled: 1-line block ×5, first 2 shown]
	v_and_b32_e32 v31, 0xffff, v31
	v_fma_mixlo_f16 v34, v24, v34, 0
	v_fma_mixlo_f16 v37, v24, v37, 0
	v_and_b32_e32 v32, 0xffff, v32
	v_fma_mixlo_f16 v36, v24, v36, 0
	v_fma_mixlo_f16 v39, v24, v39, 0
	s_waitcnt lgkmcnt(0)
	v_and_b32_e32 v64, 0xffff, v62
	v_lshrrev_b32_e32 v62, 16, v62
	v_lshrrev_b32_e32 v65, 16, v63
	v_and_b32_e32 v63, 0xffff, v63
	;;#ASMSTART
	v_cvt_f32_f16 v64, v64;
	;;#ASMEND
	;;#ASMSTART
	v_cvt_f32_f16 v62, v62;
	;;#ASMEND
	;; [unrolled: 3-line block ×3, first 2 shown]
	v_and_b32_e32 v29, 0xffff, v29
	;;#ASMSTART
	v_cvt_f32_f16 v27, v27;
	;;#ASMEND
	;;#ASMSTART
	v_cvt_f32_f16 v63, v63;
	;;#ASMEND
	;;#ASMSTART
	v_cvt_f32_f16 v65, v65;
	;;#ASMEND
	;;#ASMSTART
	v_cvt_f32_f16 v67, v26;
	;;#ASMEND
	;;#ASMSTART
	v_cvt_f32_f16 v29, v29;
	;;#ASMEND
	ds_load_b64 v[25:26], v20 offset:8
	v_and_b32_e32 v28, 0xffff, v28
	v_and_b32_e32 v30, 0xffff, v30
	v_and_b32_e32 v34, 0xffff, v34
	v_fma_mixlo_f16 v38, v24, v38, 0
	v_fma_mixlo_f16 v41, v24, v41, 0
	v_and_b32_e32 v36, 0xffff, v36
	v_fma_mixlo_f16 v40, v24, v40, 0
	v_fma_mixlo_f16 v43, v24, v43, 0
	v_and_b32_e32 v38, 0xffff, v38
	;; [unrolled: 3-line block ×5, first 2 shown]
	v_fma_mixlo_f16 v48, v24, v48, 0
	s_waitcnt lgkmcnt(0)
	v_and_b32_e32 v68, 0xffff, v25
	v_lshrrev_b32_e32 v69, 16, v26
	v_lshrrev_b32_e32 v25, 16, v25
	v_and_b32_e32 v26, 0xffff, v26
	;;#ASMSTART
	v_cvt_f32_f16 v68, v68;
	;;#ASMEND
	;;#ASMSTART
	v_cvt_f32_f16 v70, v25;
	;;#ASMEND
	;; [unrolled: 3-line block ×7, first 2 shown]
	v_dual_mul_f32 v30, v71, v30 :: v_dual_and_b32 v33, 0xffff, v33
	v_mul_f32_e32 v28, v68, v28
	v_and_b32_e32 v46, 0xffff, v46
	v_fma_mixlo_f16 v51, v24, v51, 0
	s_delay_alu instid0(VALU_DEP_4)
	v_fmac_f32_e32 v30, v63, v67
	;;#ASMSTART
	v_cvt_f32_f16 v33, v33;
	;;#ASMEND
	ds_load_b64 v[25:26], v20 offset:16
	v_fmac_f32_e32 v28, v64, v66
	v_fma_mixlo_f16 v50, v24, v50, 0
	v_fma_mixlo_f16 v53, v24, v53, 0
	v_and_b32_e32 v48, 0xffff, v48
	v_and_b32_e32 v51, 0xffff, v51
	v_fma_mixlo_f16 v57, v24, v57, 0
	v_and_b32_e32 v50, 0xffff, v50
	v_fma_mixlo_f16 v55, v24, v55, 0
	v_fma_mixlo_f16 v52, v24, v52, 0
	;; [unrolled: 1-line block ×11, first 2 shown]
	v_and_b32_e32 v9, 0xffff, v52
	s_waitcnt lgkmcnt(0)
	v_and_b32_e32 v72, 0xffff, v25
	v_lshrrev_b32_e32 v25, 16, v25
	v_lshrrev_b32_e32 v73, 16, v26
	;;#ASMSTART
	v_cvt_f32_f16 v72, v72;
	;;#ASMEND
	;;#ASMSTART
	v_cvt_f32_f16 v74, v25;
	;;#ASMEND
	;; [unrolled: 3-line block ×3, first 2 shown]
	v_dual_fmac_f32 v28, v72, v32 :: v_dual_and_b32 v35, 0xffff, v35
	v_and_b32_e32 v26, 0xffff, v26
	;;#ASMSTART
	v_cvt_f32_f16 v35, v35;
	;;#ASMEND
	;;#ASMSTART
	v_cvt_f32_f16 v75, v26;
	;;#ASMEND
	;; [unrolled: 3-line block ×4, first 2 shown]
	v_dual_fmac_f32 v30, v75, v34 :: v_dual_and_b32 v37, 0xffff, v37
	;;#ASMSTART
	v_cvt_f32_f16 v37, v37;
	;;#ASMEND
	ds_load_b64 v[25:26], v20 offset:24
	v_and_b32_e32 v10, 0xffff, v55
	v_and_b32_e32 v24, 0xffff, v54
	;; [unrolled: 1-line block ×3, first 2 shown]
	v_dual_mul_f32 v31, v70, v31 :: v_dual_and_b32 v54, 0xffff, v57
	v_and_b32_e32 v55, 0xffff, v59
	v_dual_mul_f32 v33, v69, v33 :: v_dual_and_b32 v32, 0xffff, v60
	v_and_b32_e32 v3, 0xffff, v3
	s_delay_alu instid0(VALU_DEP_4) | instskip(SKIP_1) | instid1(VALU_DEP_4)
	v_fmac_f32_e32 v31, v62, v27
	v_and_b32_e32 v27, 0xffff, v58
	v_fmac_f32_e32 v33, v65, v29
	s_delay_alu instid0(VALU_DEP_3) | instskip(NEXT) | instid1(VALU_DEP_2)
	v_fmac_f32_e32 v31, v74, v35
	v_fmac_f32_e32 v33, v73, v37
	s_waitcnt lgkmcnt(0)
	v_and_b32_e32 v76, 0xffff, v25
	v_lshrrev_b32_e32 v25, 16, v25
	v_lshrrev_b32_e32 v77, 16, v26
	;;#ASMSTART
	v_cvt_f32_f16 v76, v76;
	;;#ASMEND
	;;#ASMSTART
	v_cvt_f32_f16 v78, v25;
	;;#ASMEND
	;; [unrolled: 3-line block ×3, first 2 shown]
	v_dual_fmac_f32 v28, v76, v36 :: v_dual_and_b32 v39, 0xffff, v39
	v_and_b32_e32 v26, 0xffff, v26
	;;#ASMSTART
	v_cvt_f32_f16 v39, v39;
	;;#ASMEND
	;;#ASMSTART
	v_cvt_f32_f16 v79, v26;
	;;#ASMEND
	;; [unrolled: 3-line block ×4, first 2 shown]
	v_dual_fmac_f32 v30, v79, v38 :: v_dual_and_b32 v41, 0xffff, v41
	;;#ASMSTART
	v_cvt_f32_f16 v41, v41;
	;;#ASMEND
	ds_load_b64 v[25:26], v20 offset:32
	v_fmac_f32_e32 v31, v78, v39
	v_fmac_f32_e32 v33, v77, v41
	v_and_b32_e32 v41, 0xffff, v93
	s_waitcnt lgkmcnt(0)
	v_and_b32_e32 v80, 0xffff, v25
	v_lshrrev_b32_e32 v25, 16, v25
	v_lshrrev_b32_e32 v81, 16, v26
	;;#ASMSTART
	v_cvt_f32_f16 v80, v80;
	;;#ASMEND
	;;#ASMSTART
	v_cvt_f32_f16 v82, v25;
	;;#ASMEND
	;; [unrolled: 3-line block ×3, first 2 shown]
	v_dual_fmac_f32 v28, v80, v40 :: v_dual_and_b32 v43, 0xffff, v43
	v_and_b32_e32 v26, 0xffff, v26
	;;#ASMSTART
	v_cvt_f32_f16 v43, v43;
	;;#ASMEND
	;;#ASMSTART
	v_cvt_f32_f16 v83, v26;
	;;#ASMEND
	;; [unrolled: 3-line block ×4, first 2 shown]
	v_dual_fmac_f32 v30, v83, v42 :: v_dual_and_b32 v45, 0xffff, v45
	;;#ASMSTART
	v_cvt_f32_f16 v45, v45;
	;;#ASMEND
	ds_load_b64 v[25:26], v20 offset:40
	v_fmac_f32_e32 v31, v82, v43
	v_dual_fmac_f32 v33, v81, v45 :: v_dual_and_b32 v40, 0xffff, v92
	s_waitcnt lgkmcnt(0)
	v_and_b32_e32 v84, 0xffff, v25
	v_lshrrev_b32_e32 v25, 16, v25
	v_lshrrev_b32_e32 v85, 16, v26
	;;#ASMSTART
	v_cvt_f32_f16 v84, v84;
	;;#ASMEND
	;;#ASMSTART
	v_cvt_f32_f16 v86, v25;
	;;#ASMEND
	;; [unrolled: 3-line block ×3, first 2 shown]
	v_dual_fmac_f32 v28, v84, v44 :: v_dual_and_b32 v47, 0xffff, v47
	v_and_b32_e32 v26, 0xffff, v26
	;;#ASMSTART
	v_cvt_f32_f16 v47, v47;
	;;#ASMEND
	;;#ASMSTART
	v_cvt_f32_f16 v87, v26;
	;;#ASMEND
	;; [unrolled: 3-line block ×4, first 2 shown]
	v_dual_fmac_f32 v30, v87, v46 :: v_dual_and_b32 v49, 0xffff, v49
	;;#ASMSTART
	v_cvt_f32_f16 v49, v49;
	;;#ASMEND
	ds_load_b64 v[25:26], v20 offset:48
	v_fmac_f32_e32 v31, v86, v47
	v_fmac_f32_e32 v33, v85, v49
	s_waitcnt lgkmcnt(0)
	v_and_b32_e32 v88, 0xffff, v25
	v_lshrrev_b32_e32 v25, 16, v25
	v_lshrrev_b32_e32 v89, 16, v26
	v_and_b32_e32 v26, 0xffff, v26
	;;#ASMSTART
	v_cvt_f32_f16 v88, v88;
	;;#ASMEND
	;;#ASMSTART
	v_cvt_f32_f16 v90, v25;
	;;#ASMEND
	;; [unrolled: 3-line block ×3, first 2 shown]
	v_dual_fmac_f32 v28, v88, v48 :: v_dual_and_b32 v53, 0xffff, v53
	;;#ASMSTART
	v_cvt_f32_f16 v51, v51;
	;;#ASMEND
	;;#ASMSTART
	v_cvt_f32_f16 v91, v26;
	;;#ASMEND
	;; [unrolled: 3-line block ×5, first 2 shown]
	ds_load_b64 v[25:26], v20 offset:56
	v_dual_fmac_f32 v30, v91, v50 :: v_dual_fmac_f32 v31, v90, v51
	v_fmac_f32_e32 v33, v89, v53
	s_waitcnt lgkmcnt(0)
	v_and_b32_e32 v56, 0xffff, v25
	v_lshrrev_b32_e32 v25, 16, v25
	v_lshrrev_b32_e32 v57, 16, v26
	v_and_b32_e32 v26, 0xffff, v26
	;;#ASMSTART
	v_cvt_f32_f16 v56, v56;
	;;#ASMEND
	;;#ASMSTART
	v_cvt_f32_f16 v25, v25;
	;;#ASMEND
	;; [unrolled: 3-line block ×3, first 2 shown]
	v_fmac_f32_e32 v28, v56, v59
	;;#ASMSTART
	v_cvt_f32_f16 v68, v10;
	;;#ASMEND
	;;#ASMSTART
	v_cvt_f32_f16 v26, v26;
	;;#ASMEND
	;; [unrolled: 3-line block ×5, first 2 shown]
	ds_load_b64 v[9:10], v20 offset:64
	v_fmac_f32_e32 v30, v26, v24
	v_fmac_f32_e32 v31, v25, v68
	s_waitcnt lgkmcnt(0)
	v_dual_fmac_f32 v33, v57, v52 :: v_dual_and_b32 v34, 0xffff, v9
	v_lshrrev_b32_e32 v35, 16, v10
	v_lshrrev_b32_e32 v9, 16, v9
	v_and_b32_e32 v10, 0xffff, v10
	;;#ASMSTART
	v_cvt_f32_f16 v34, v34;
	;;#ASMEND
	;;#ASMSTART
	v_cvt_f32_f16 v36, v9;
	;;#ASMEND
	;; [unrolled: 3-line block ×7, first 2 shown]
	v_dual_fmac_f32 v30, v39, v27 :: v_dual_and_b32 v29, 0xffff, v61
	;;#ASMSTART
	v_cvt_f32_f16 v29, v29;
	;;#ASMEND
	ds_load_b64 v[9:10], v20 offset:72
	v_dual_fmac_f32 v28, v34, v37 :: v_dual_fmac_f32 v31, v36, v38
	v_fmac_f32_e32 v33, v35, v29
	s_waitcnt lgkmcnt(0)
	v_and_b32_e32 v24, 0xffff, v9
	v_lshrrev_b32_e32 v9, 16, v9
	v_lshrrev_b32_e32 v25, 16, v10
	v_and_b32_e32 v10, 0xffff, v10
	;;#ASMSTART
	v_cvt_f32_f16 v24, v24;
	;;#ASMEND
	;;#ASMSTART
	v_cvt_f32_f16 v9, v9;
	;;#ASMEND
	;; [unrolled: 3-line block ×4, first 2 shown]
	v_dual_fmac_f32 v28, v24, v26 :: v_dual_fmac_f32 v31, v9, v27
	;;#ASMSTART
	v_cvt_f32_f16 v9, v10;
	;;#ASMEND
	;;#ASMSTART
	v_cvt_f32_f16 v10, v25;
	;;#ASMEND
	;; [unrolled: 3-line block ×3, first 2 shown]
	v_fmac_f32_e32 v30, v9, v24
	v_xor_b32_e32 v24, 1, v18
	v_add_f32_e32 v9, v28, v31
	;;#ASMSTART
	v_cvt_f32_f16 v3, v3;
	;;#ASMEND
	v_fmac_f32_e32 v33, v10, v3
	s_delay_alu instid0(VALU_DEP_3) | instskip(NEXT) | instid1(VALU_DEP_3)
	v_cmp_gt_i32_e64 s1, 32, v24
	v_add_f32_e32 v3, v9, v30
	s_delay_alu instid0(VALU_DEP_2) | instskip(NEXT) | instid1(VALU_DEP_2)
	v_cndmask_b32_e64 v9, v18, v24, s1
	v_add_f32_e32 v3, v33, v3
	s_delay_alu instid0(VALU_DEP_2)
	v_lshlrev_b32_e32 v9, 2, v9
	ds_bpermute_b32 v9, v9, v3
	s_and_saveexec_b32 s3, vcc_lo
	s_cbranch_execz .LBB328_9
; %bb.331:                              ;   in Loop: Header=BB328_10 Depth=1
	s_waitcnt lgkmcnt(0)
	v_add_f32_e32 v3, v3, v9
	v_add_nc_u32_e32 v10, s37, v21
	v_cmp_gt_i32_e64 s1, s15, v21
	s_delay_alu instid0(VALU_DEP_2) | instskip(NEXT) | instid1(VALU_DEP_1)
	v_cvt_f32_i32_e32 v10, v10
	v_mul_f32_e32 v10, s34, v10
	s_delay_alu instid0(VALU_DEP_1) | instskip(NEXT) | instid1(VALU_DEP_1)
	v_cndmask_b32_e64 v9, 0, v10, s0
	v_dual_max_f32 v10, v16, v16 :: v_dual_fmac_f32 v9, s35, v3
	s_delay_alu instid0(VALU_DEP_1) | instskip(SKIP_1) | instid1(VALU_DEP_2)
	v_max_f32_e32 v3, v10, v9
	v_cndmask_b32_e64 v9, 0, v9, s1
	v_cndmask_b32_e64 v16, v16, v3, s1
	ds_store_b32 v22, v9
	s_branch .LBB328_9
.LBB328_332:
	s_or_b32 exec_lo, exec_lo, s38
.LBB328_333:
	s_delay_alu instid0(SALU_CYCLE_1)
	s_or_b32 exec_lo, exec_lo, s36
	v_xor_b32_e32 v3, 16, v18
	v_xor_b32_e32 v4, 8, v18
	v_max_f32_e32 v7, v16, v16
	s_waitcnt lgkmcnt(0)
	v_lshlrev_b32_e32 v9, 2, v14
	v_cmp_lt_i32_e32 vcc_lo, v3, v17
	v_cndmask_b32_e32 v3, v18, v3, vcc_lo
	v_cmp_lt_i32_e32 vcc_lo, v4, v17
	v_cndmask_b32_e32 v4, v18, v4, vcc_lo
	s_delay_alu instid0(VALU_DEP_1) | instskip(NEXT) | instid1(VALU_DEP_4)
	v_lshlrev_b32_e32 v6, 2, v4
	v_lshlrev_b32_e32 v5, 2, v3
	ds_bpermute_b32 v3, v5, v16
	s_waitcnt lgkmcnt(0)
	v_dual_max_f32 v3, v3, v3 :: v_dual_and_b32 v16, 31, v0
	s_delay_alu instid0(VALU_DEP_1)
	v_max_f32_e32 v3, v7, v3
	v_xor_b32_e32 v7, 4, v18
	ds_bpermute_b32 v4, v6, v3
	v_cmp_lt_i32_e32 vcc_lo, v7, v17
	s_waitcnt lgkmcnt(0)
	v_dual_cndmask_b32 v7, v18, v7 :: v_dual_max_f32 v4, v4, v4
	s_delay_alu instid0(VALU_DEP_1) | instskip(SKIP_1) | instid1(VALU_DEP_3)
	v_lshlrev_b32_e32 v8, 2, v7
	v_xor_b32_e32 v7, 2, v18
	v_max_f32_e32 v3, v3, v4
	s_delay_alu instid0(VALU_DEP_2)
	v_cmp_lt_i32_e32 vcc_lo, v7, v17
	ds_bpermute_b32 v4, v8, v3
	v_cndmask_b32_e32 v7, v18, v7, vcc_lo
	v_cmp_eq_u32_e32 vcc_lo, 0, v16
	s_waitcnt lgkmcnt(0)
	v_max_f32_e32 v4, v4, v4
	s_delay_alu instid0(VALU_DEP_1)
	v_dual_max_f32 v3, v3, v4 :: v_dual_lshlrev_b32 v4, 2, v7
	ds_bpermute_b32 v7, v4, v3
	s_and_saveexec_b32 s0, vcc_lo
	s_cbranch_execz .LBB328_335
; %bb.334:
	s_waitcnt lgkmcnt(0)
	v_max_f32_e32 v7, v7, v7
	v_max_f32_e32 v3, v3, v3
	s_delay_alu instid0(VALU_DEP_1)
	v_max_f32_e32 v3, v3, v7
	ds_store_b32 v9, v3 offset:160
.LBB328_335:
	s_or_b32 exec_lo, exec_lo, s0
	v_cmp_gt_u32_e64 s0, 4, v16
	v_dual_mov_b32 v3, 0xff7fffff :: v_dual_lshlrev_b32 v10, 2, v16
	s_waitcnt lgkmcnt(0)
	s_barrier
	buffer_gl0_inv
	s_and_saveexec_b32 s1, s0
	s_cbranch_execz .LBB328_337
; %bb.336:
	ds_load_b32 v3, v10 offset:160
.LBB328_337:
	s_or_b32 exec_lo, exec_lo, s1
	s_waitcnt lgkmcnt(0)
	ds_bpermute_b32 v7, v4, v3
	v_xor_b32_e32 v19, 1, v18
	v_max_f32_e32 v3, v3, v3
	s_delay_alu instid0(VALU_DEP_2) | instskip(NEXT) | instid1(VALU_DEP_1)
	v_cmp_lt_i32_e64 s1, v19, v17
	v_cndmask_b32_e64 v17, v18, v19, s1
	v_lshlrev_b32_e32 v18, 2, v18
	s_sub_i32 s1, s11, s25
	v_mov_b32_e32 v19, 0
	s_lshl_b32 s1, s1, 4
	v_lshlrev_b32_e32 v17, 2, v17
	s_add_i32 s1, s1, s33
	v_and_b32_e32 v18, 0xffffff80, v18
	s_min_i32 s1, s1, s15
	s_waitcnt lgkmcnt(0)
	v_max_f32_e32 v7, v7, v7
	s_sub_i32 s4, s1, s33
	s_delay_alu instid0(SALU_CYCLE_1) | instskip(NEXT) | instid1(VALU_DEP_2)
	v_cmp_gt_i32_e64 s1, s4, v0
	v_max_f32_e32 v3, v3, v7
	ds_bpermute_b32 v7, v17, v3
	s_waitcnt lgkmcnt(0)
	v_max_f32_e32 v7, v7, v7
	s_delay_alu instid0(VALU_DEP_1)
	v_max_f32_e32 v3, v3, v7
	v_lshl_add_u32 v7, v0, 2, 0xc0
	ds_bpermute_b32 v3, v18, v3
	s_and_saveexec_b32 s5, s1
	s_cbranch_execz .LBB328_341
; %bb.338:
	v_lshl_add_u32 v20, v0, 2, 0xc0
	v_mov_b32_e32 v19, 0
	v_mov_b32_e32 v21, v0
	s_mov_b32 s25, 0
	.p2align	6
.LBB328_339:                            ; =>This Inner Loop Header: Depth=1
	ds_load_b32 v22, v20
	v_add_nc_u32_e32 v21, 0x80, v21
	s_delay_alu instid0(VALU_DEP_1) | instskip(NEXT) | instid1(VALU_DEP_1)
	v_cmp_le_i32_e64 s3, s4, v21
	s_or_b32 s25, s3, s25
	s_waitcnt lgkmcnt(0)
	v_sub_f32_e32 v22, v22, v3
	s_delay_alu instid0(VALU_DEP_1) | instskip(NEXT) | instid1(VALU_DEP_1)
	v_mul_f32_e32 v22, 0x3fb8aa3b, v22
	v_exp_f32_e32 v22, v22
	ds_store_b32 v20, v22
	v_dual_add_f32 v19, v19, v22 :: v_dual_add_nc_u32 v20, 0x200, v20
	s_and_not1_b32 exec_lo, exec_lo, s25
	s_cbranch_execnz .LBB328_339
; %bb.340:
	s_or_b32 exec_lo, exec_lo, s25
.LBB328_341:
	s_delay_alu instid0(SALU_CYCLE_1)
	s_or_b32 exec_lo, exec_lo, s5
	ds_bpermute_b32 v5, v5, v19
	s_waitcnt lgkmcnt(0)
	v_add_f32_e32 v5, v19, v5
	ds_bpermute_b32 v6, v6, v5
	s_waitcnt lgkmcnt(0)
	v_add_f32_e32 v5, v5, v6
	;; [unrolled: 3-line block ×5, first 2 shown]
	s_and_saveexec_b32 s3, vcc_lo
	s_cbranch_execz .LBB328_343
; %bb.342:
	ds_store_b32 v9, v5 offset:176
.LBB328_343:
	s_or_b32 exec_lo, exec_lo, s3
	s_waitcnt lgkmcnt(0)
	s_barrier
	buffer_gl0_inv
	s_and_saveexec_b32 s3, s0
	s_cbranch_execz .LBB328_345
; %bb.344:
	ds_load_b32 v5, v10 offset:176
.LBB328_345:
	s_or_b32 exec_lo, exec_lo, s3
	s_waitcnt lgkmcnt(0)
	ds_bpermute_b32 v4, v4, v5
	s_waitcnt lgkmcnt(0)
	v_add_f32_e32 v4, v5, v4
	ds_bpermute_b32 v5, v17, v4
	s_waitcnt lgkmcnt(0)
	v_add_f32_e32 v4, v4, v5
	ds_bpermute_b32 v4, v18, v4
	s_and_saveexec_b32 s0, s1
	s_cbranch_execz .LBB328_348
; %bb.346:
	s_waitcnt lgkmcnt(0)
	v_add_f32_e32 v5, 0x358637bd, v4
	s_mov_b32 s1, 0
	s_delay_alu instid0(VALU_DEP_1) | instskip(SKIP_1) | instid1(VALU_DEP_2)
	v_div_scale_f32 v6, null, v5, v5, 1.0
	v_div_scale_f32 v10, vcc_lo, 1.0, v5, 1.0
	v_rcp_f32_e32 v8, v6
	s_waitcnt_depctr 0xfff
	v_fma_f32 v9, -v6, v8, 1.0
	s_delay_alu instid0(VALU_DEP_1) | instskip(NEXT) | instid1(VALU_DEP_1)
	v_fmac_f32_e32 v8, v9, v8
	v_mul_f32_e32 v9, v10, v8
	s_delay_alu instid0(VALU_DEP_1) | instskip(NEXT) | instid1(VALU_DEP_1)
	v_fma_f32 v18, -v6, v9, v10
	v_fmac_f32_e32 v9, v18, v8
	s_delay_alu instid0(VALU_DEP_1) | instskip(NEXT) | instid1(VALU_DEP_1)
	v_fma_f32 v6, -v6, v9, v10
	v_div_fmas_f32 v6, v6, v8, v9
	s_delay_alu instid0(VALU_DEP_1)
	v_div_fixup_f32 v5, v6, v5, 1.0
	v_mov_b32_e32 v6, v0
.LBB328_347:                            ; =>This Inner Loop Header: Depth=1
	ds_load_b32 v8, v7
	v_add_nc_u32_e32 v6, 0x80, v6
	s_delay_alu instid0(VALU_DEP_1)
	v_cmp_le_i32_e32 vcc_lo, s4, v6
	s_or_b32 s1, vcc_lo, s1
	s_waitcnt lgkmcnt(0)
	v_mul_f32_e32 v8, v5, v8
	ds_store_b32 v7, v8
	v_add_nc_u32_e32 v7, 0x200, v7
	s_and_not1_b32 exec_lo, exec_lo, s1
	s_cbranch_execnz .LBB328_347
.LBB328_348:
	s_or_b32 exec_lo, exec_lo, s0
	s_mul_i32 s0, s8, s14
	s_waitcnt lgkmcnt(0)
	s_mul_i32 s4, s0, s13
	s_mov_b32 s0, exec_lo
	s_barrier
	buffer_gl0_inv
	v_cmpx_eq_u32_e32 0, v0
	s_cbranch_execz .LBB328_350
; %bb.349:
	s_ashr_i32 s5, s4, 31
	s_mul_i32 s24, s8, s24
	s_lshl_b64 s[34:35], s[4:5], 2
	v_mov_b32_e32 v5, 0
	s_add_u32 s1, s18, s34
	s_addc_u32 s3, s19, s35
	s_ashr_i32 s25, s24, 31
	s_delay_alu instid0(SALU_CYCLE_1) | instskip(NEXT) | instid1(SALU_CYCLE_1)
	s_lshl_b64 s[18:19], s[24:25], 2
	s_add_u32 s1, s1, s18
	s_addc_u32 s3, s3, s19
	s_ashr_i32 s13, s12, 31
	s_delay_alu instid0(SALU_CYCLE_1) | instskip(NEXT) | instid1(SALU_CYCLE_1)
	s_lshl_b64 s[24:25], s[12:13], 2
	s_add_u32 s36, s1, s24
	s_addc_u32 s37, s3, s25
	s_add_u32 s1, s16, s34
	s_addc_u32 s3, s17, s35
	;; [unrolled: 2-line block ×4, first 2 shown]
	s_clause 0x1
	global_store_b32 v5, v3, s[36:37]
	global_store_b32 v5, v4, s[16:17]
.LBB328_350:
	s_or_b32 exec_lo, exec_lo, s0
	v_dual_mov_b32 v19, 0 :: v_dual_mov_b32 v20, 0
	v_dual_mov_b32 v21, 0 :: v_dual_mov_b32 v22, 0
	v_mov_b32_e32 v18, 0
	s_mov_b32 s5, 0
	s_and_saveexec_b32 s1, s2
	s_cbranch_execz .LBB328_664
; %bb.351:
	v_dual_mov_b32 v3, 0 :: v_dual_and_b32 v6, 8, v11
	v_dual_mov_b32 v21, 0 :: v_dual_lshlrev_b32 v4, 5, v13
	v_dual_mov_b32 v18, 0 :: v_dual_and_b32 v5, 0xf8, v11
	s_ashr_i32 s0, s10, 31
	s_add_u32 s10, s30, s10
	v_add3_u32 v15, s33, v15, v6
	v_lshlrev_b64 v[6:7], 2, v[1:2]
	s_addc_u32 s0, s31, s0
	v_lshl_or_b32 v8, v14, 6, v4
	v_add_co_u32 v4, s10, s10, v5
	s_lshl_b64 s[16:17], s[28:29], 2
	s_add_i32 s21, s21, -1
	v_add_co_ci_u32_e64 v5, null, s0, 0, s10
	s_add_u32 s0, s26, s16
	s_addc_u32 s10, s27, s17
	v_add_co_u32 v6, vcc_lo, s0, v6
	v_dual_mov_b32 v22, 0 :: v_dual_add_nc_u32 v23, 0xc0, v8
	v_add_co_ci_u32_e32 v7, vcc_lo, s10, v7, vcc_lo
	v_dual_mov_b32 v20, 0 :: v_dual_mov_b32 v19, 0
	s_mov_b32 s2, -1
	s_mov_b32 s3, 0xffffff
	s_mov_b32 s10, s15
	s_branch .LBB328_353
.LBB328_352:                            ;   in Loop: Header=BB328_353 Depth=1
	s_or_b32 exec_lo, exec_lo, s0
	v_add_f32_e32 v24, v35, v36
	;;#ASMSTART
	v_pk_mul_f16 v25, v34, v42;

	;;#ASMEND
	;;#ASMSTART
	v_pk_mul_f16 v9, v33, v9;

	;;#ASMEND
	;; [unrolled: 4-line block ×4, first 2 shown]
	;;#ASMSTART
	v_pk_add_f16 v9, v25, v9;

	;;#ASMEND
	;;#ASMSTART
	v_pk_add_f16 v2, v9, v2;

	;;#ASMEND
	v_dual_add_f32 v9, v37, v38 :: v_dual_add_f32 v18, v18, v24
	v_dual_add_f32 v24, v39, v40 :: v_dual_add_nc_u32 v1, 4, v1
	v_add_nc_u32_e32 v15, 64, v15
	;;#ASMSTART
	v_pk_add_f16 v2, v2, v8;

	;;#ASMEND
	v_and_b32_e32 v8, 0xffff, v2
	v_lshrrev_b32_e32 v2, 16, v2
	v_add_f32_e32 v21, v21, v24
	;;#ASMSTART
	v_cvt_f32_f16 v8, v8;
	;;#ASMEND
	;;#ASMSTART
	v_cvt_f32_f16 v2, v2;
	;;#ASMEND
	s_delay_alu instid0(VALU_DEP_2) | instskip(SKIP_3) | instid1(VALU_DEP_4)
	v_dual_add_f32 v2, v8, v2 :: v_dual_add_nc_u32 v23, 0x100, v23
	v_add_f32_e32 v10, v10, v11
	v_cmp_le_i32_e32 vcc_lo, s11, v1
	v_add_co_u32 v6, s0, v6, 16
	v_dual_add_f32 v19, v19, v2 :: v_dual_add_f32 v22, v22, v9
	s_delay_alu instid0(VALU_DEP_4) | instskip(SKIP_2) | instid1(SALU_CYCLE_1)
	v_add_f32_e32 v20, v20, v10
	v_add_co_ci_u32_e64 v7, s0, 0, v7, s0
	s_or_b32 s5, vcc_lo, s5
	s_and_not1_b32 exec_lo, exec_lo, s5
	s_cbranch_execz .LBB328_663
.LBB328_353:                            ; =>This Inner Loop Header: Depth=1
	global_load_b32 v2, v[6:7], off
	ds_load_2addr_b64 v[24:27], v23 offset1:1
	ds_load_2addr_b64 v[37:40], v23 offset0:2 offset1:3
	s_mov_b32 s0, exec_lo
	s_waitcnt lgkmcnt(1)
	;;#ASMSTART
	v_cvt_f16_f32 v31, v24;

	;;#ASMEND
	;;#ASMSTART
	v_cvt_f16_f32 v32, v25;

	;;#ASMEND
	;; [unrolled: 4-line block ×4, first 2 shown]
	s_waitcnt lgkmcnt(0)
	;;#ASMSTART
	v_cvt_f16_f32 v37, v37;

	;;#ASMEND
	;;#ASMSTART
	v_cvt_f16_f32 v35, v38;

	;;#ASMEND
	;; [unrolled: 4-line block ×4, first 2 shown]
	v_mov_b32_e32 v25, 0
	s_waitcnt vmcnt(0)
	v_mad_i64_i32 v[8:9], null, v2, s9, v[4:5]
	global_load_b64 v[10:11], v[8:9], off
	global_load_b32 v24, v3, s[6:7]
	s_waitcnt vmcnt(1)
	v_and_b32_e32 v2, 0xff, v10
	s_delay_alu instid0(VALU_DEP_1)
	v_cmpx_ne_u16_e32 0, v2
	s_cbranch_execz .LBB328_359
; %bb.354:                              ;   in Loop: Header=BB328_353 Depth=1
	v_bfrev_b32_e32 v25, 1
	s_mov_b32 s13, exec_lo
	v_cmpx_ne_u16_e32 0x80, v2
	s_cbranch_execz .LBB328_358
; %bb.355:                              ;   in Loop: Header=BB328_353 Depth=1
	v_and_b32_e32 v2, 0x7f, v10
	v_mov_b32_e32 v25, 0x7fc02000
	s_mov_b32 s14, exec_lo
	s_delay_alu instid0(VALU_DEP_2)
	v_cmpx_ne_u32_e32 0x7f, v2
	s_cbranch_execz .LBB328_357
; %bb.356:                              ;   in Loop: Header=BB328_353 Depth=1
	v_cmp_gt_u32_e32 vcc_lo, 8, v2
	v_and_b32_e32 v25, 7, v10
	v_lshrrev_b32_e32 v26, 3, v2
	s_delay_alu instid0(VALU_DEP_2) | instskip(NEXT) | instid1(VALU_DEP_1)
	v_clz_i32_u32_e32 v25, v25
	v_min_u32_e32 v25, 32, v25
	s_delay_alu instid0(VALU_DEP_1) | instskip(SKIP_1) | instid1(VALU_DEP_1)
	v_subrev_nc_u32_e32 v27, 28, v25
	v_sub_nc_u32_e32 v25, 29, v25
	v_dual_cndmask_b32 v2, 0, v27 :: v_dual_cndmask_b32 v27, v26, v25
	s_delay_alu instid0(VALU_DEP_1) | instskip(SKIP_1) | instid1(VALU_DEP_3)
	v_lshlrev_b64 v[25:26], v2, v[10:11]
	v_lshlrev_b32_e32 v2, 8, v10
	v_lshl_add_u32 v26, v27, 10, 0x2000
	s_delay_alu instid0(VALU_DEP_3) | instskip(NEXT) | instid1(VALU_DEP_2)
	v_lshlrev_b32_e32 v25, 7, v25
	v_and_or_b32 v2, 0x8000, v2, v26
	s_delay_alu instid0(VALU_DEP_1) | instskip(NEXT) | instid1(VALU_DEP_1)
	v_and_or_b32 v2, 0x380, v25, v2
	v_cvt_f32_f16_e32 v25, v2
.LBB328_357:                            ;   in Loop: Header=BB328_353 Depth=1
	s_or_b32 exec_lo, exec_lo, s14
.LBB328_358:                            ;   in Loop: Header=BB328_353 Depth=1
	s_delay_alu instid0(SALU_CYCLE_1)
	s_or_b32 exec_lo, exec_lo, s13
.LBB328_359:                            ;   in Loop: Header=BB328_353 Depth=1
	s_delay_alu instid0(SALU_CYCLE_1) | instskip(SKIP_3) | instid1(VALU_DEP_2)
	s_or_b32 exec_lo, exec_lo, s0
	v_lshrrev_b16 v2, 8, v10
	v_dual_mov_b32 v27, 0 :: v_dual_mov_b32 v26, 0
	s_mov_b32 s0, exec_lo
	v_cmpx_ne_u16_e32 0, v2
	s_cbranch_execz .LBB328_367
; %bb.360:                              ;   in Loop: Header=BB328_353 Depth=1
	v_bfrev_b32_e32 v26, 1
	s_mov_b32 s13, exec_lo
	v_cmpx_ne_u16_e32 0x80, v2
	s_cbranch_execz .LBB328_366
; %bb.361:                              ;   in Loop: Header=BB328_353 Depth=1
	v_and_b32_e32 v28, 0xffff, v2
	v_mov_b32_e32 v26, 0x7fc02000
	s_mov_b32 s14, exec_lo
	s_delay_alu instid0(VALU_DEP_2) | instskip(NEXT) | instid1(VALU_DEP_1)
	v_and_b32_e32 v29, 0x7f, v28
	v_cmpx_ne_u32_e32 0x7f, v29
	s_cbranch_execz .LBB328_365
; %bb.362:                              ;   in Loop: Header=BB328_353 Depth=1
	v_and_b32_e32 v2, 7, v28
	v_lshrrev_b32_e32 v26, 3, v29
	s_mov_b32 s16, exec_lo
	v_cmpx_gt_u32_e32 8, v29
; %bb.363:                              ;   in Loop: Header=BB328_353 Depth=1
	s_delay_alu instid0(VALU_DEP_3) | instskip(NEXT) | instid1(VALU_DEP_1)
	v_clz_i32_u32_e32 v26, v2
	v_min_u32_e32 v26, 32, v26
	s_delay_alu instid0(VALU_DEP_1) | instskip(SKIP_1) | instid1(VALU_DEP_2)
	v_subrev_nc_u32_e32 v29, 28, v26
	v_sub_nc_u32_e32 v26, 29, v26
	v_lshlrev_b64 v[29:30], v29, v[2:3]
	s_delay_alu instid0(VALU_DEP_1)
	v_and_b32_e32 v2, 7, v29
; %bb.364:                              ;   in Loop: Header=BB328_353 Depth=1
	s_or_b32 exec_lo, exec_lo, s16
	v_lshlrev_b32_e32 v28, 8, v28
	v_lshl_add_u32 v26, v26, 10, 0x2000
	s_delay_alu instid0(VALU_DEP_1) | instskip(NEXT) | instid1(VALU_DEP_1)
	v_and_or_b32 v26, 0x8000, v28, v26
	v_lshl_or_b32 v2, v2, 7, v26
	s_delay_alu instid0(VALU_DEP_1)
	v_cvt_f32_f16_e32 v26, v2
.LBB328_365:                            ;   in Loop: Header=BB328_353 Depth=1
	s_or_b32 exec_lo, exec_lo, s14
.LBB328_366:                            ;   in Loop: Header=BB328_353 Depth=1
	s_delay_alu instid0(SALU_CYCLE_1)
	s_or_b32 exec_lo, exec_lo, s13
.LBB328_367:                            ;   in Loop: Header=BB328_353 Depth=1
	s_delay_alu instid0(SALU_CYCLE_1) | instskip(SKIP_2) | instid1(VALU_DEP_1)
	s_or_b32 exec_lo, exec_lo, s0
	v_lshrrev_b32_e32 v28, 16, v10
	s_mov_b32 s0, exec_lo
	v_and_b32_e32 v2, 0xff, v28
	s_delay_alu instid0(VALU_DEP_1)
	v_cmpx_ne_u16_e32 0, v2
	s_cbranch_execz .LBB328_375
; %bb.368:                              ;   in Loop: Header=BB328_353 Depth=1
	v_bfrev_b32_e32 v27, 1
	s_mov_b32 s13, exec_lo
	v_cmpx_ne_u16_e32 0x80, v2
	s_cbranch_execz .LBB328_374
; %bb.369:                              ;   in Loop: Header=BB328_353 Depth=1
	v_bfe_u32 v29, v10, 16, 7
	v_mov_b32_e32 v27, 0x7fc02000
	s_mov_b32 s14, exec_lo
	s_delay_alu instid0(VALU_DEP_2)
	v_cmpx_ne_u32_e32 0x7f, v29
	s_cbranch_execz .LBB328_373
; %bb.370:                              ;   in Loop: Header=BB328_353 Depth=1
	v_and_b32_e32 v2, 7, v28
	v_lshrrev_b32_e32 v27, 3, v29
	s_mov_b32 s16, exec_lo
	v_cmpx_gt_u32_e32 8, v29
; %bb.371:                              ;   in Loop: Header=BB328_353 Depth=1
	s_delay_alu instid0(VALU_DEP_3) | instskip(NEXT) | instid1(VALU_DEP_1)
	v_clz_i32_u32_e32 v27, v2
	v_min_u32_e32 v27, 32, v27
	s_delay_alu instid0(VALU_DEP_1) | instskip(SKIP_1) | instid1(VALU_DEP_2)
	v_subrev_nc_u32_e32 v29, 28, v27
	v_sub_nc_u32_e32 v27, 29, v27
	v_lshlrev_b64 v[29:30], v29, v[2:3]
	s_delay_alu instid0(VALU_DEP_1)
	v_and_b32_e32 v2, 7, v29
; %bb.372:                              ;   in Loop: Header=BB328_353 Depth=1
	s_or_b32 exec_lo, exec_lo, s16
	v_lshlrev_b32_e32 v28, 8, v28
	v_lshl_add_u32 v27, v27, 10, 0x2000
	s_delay_alu instid0(VALU_DEP_1) | instskip(NEXT) | instid1(VALU_DEP_1)
	v_and_or_b32 v27, 0x8000, v28, v27
	v_lshl_or_b32 v2, v2, 7, v27
	s_delay_alu instid0(VALU_DEP_1)
	v_cvt_f32_f16_e32 v27, v2
.LBB328_373:                            ;   in Loop: Header=BB328_353 Depth=1
	s_or_b32 exec_lo, exec_lo, s14
.LBB328_374:                            ;   in Loop: Header=BB328_353 Depth=1
	s_delay_alu instid0(SALU_CYCLE_1)
	s_or_b32 exec_lo, exec_lo, s13
.LBB328_375:                            ;   in Loop: Header=BB328_353 Depth=1
	s_delay_alu instid0(SALU_CYCLE_1)
	s_or_b32 exec_lo, exec_lo, s0
	v_dual_mov_b32 v28, 0 :: v_dual_mov_b32 v29, 0
	s_mov_b32 s0, exec_lo
	v_cmpx_lt_u32_e32 0xffffff, v10
	s_cbranch_execz .LBB328_383
; %bb.376:                              ;   in Loop: Header=BB328_353 Depth=1
	v_lshrrev_b32_e32 v30, 24, v10
	v_bfrev_b32_e32 v29, 1
	s_mov_b32 s13, exec_lo
	s_delay_alu instid0(VALU_DEP_2)
	v_cmpx_ne_u32_e32 0x80, v30
	s_cbranch_execz .LBB328_382
; %bb.377:                              ;   in Loop: Header=BB328_353 Depth=1
	v_and_b32_e32 v39, 0x7f, v30
	v_mov_b32_e32 v29, 0x7fc02000
	s_mov_b32 s14, exec_lo
	s_delay_alu instid0(VALU_DEP_2)
	v_cmpx_ne_u32_e32 0x7f, v39
	s_cbranch_execz .LBB328_381
; %bb.378:                              ;   in Loop: Header=BB328_353 Depth=1
	v_and_b32_e32 v2, 7, v30
	v_lshrrev_b32_e32 v29, 3, v39
	s_mov_b32 s16, exec_lo
	v_cmpx_gt_u32_e32 8, v39
; %bb.379:                              ;   in Loop: Header=BB328_353 Depth=1
	s_delay_alu instid0(VALU_DEP_3) | instskip(NEXT) | instid1(VALU_DEP_1)
	v_clz_i32_u32_e32 v29, v2
	v_min_u32_e32 v29, 32, v29
	s_delay_alu instid0(VALU_DEP_1) | instskip(SKIP_1) | instid1(VALU_DEP_2)
	v_subrev_nc_u32_e32 v39, 28, v29
	v_sub_nc_u32_e32 v29, 29, v29
	v_lshlrev_b64 v[39:40], v39, v[2:3]
	s_delay_alu instid0(VALU_DEP_1)
	v_and_b32_e32 v2, 7, v39
; %bb.380:                              ;   in Loop: Header=BB328_353 Depth=1
	s_or_b32 exec_lo, exec_lo, s16
	v_lshlrev_b32_e32 v30, 8, v30
	v_lshl_add_u32 v29, v29, 10, 0x2000
	s_delay_alu instid0(VALU_DEP_1) | instskip(NEXT) | instid1(VALU_DEP_1)
	v_and_or_b32 v29, 0x8000, v30, v29
	v_lshl_or_b32 v2, v2, 7, v29
	s_delay_alu instid0(VALU_DEP_1)
	v_cvt_f32_f16_e32 v29, v2
.LBB328_381:                            ;   in Loop: Header=BB328_353 Depth=1
	s_or_b32 exec_lo, exec_lo, s14
.LBB328_382:                            ;   in Loop: Header=BB328_353 Depth=1
	s_delay_alu instid0(SALU_CYCLE_1)
	s_or_b32 exec_lo, exec_lo, s13
.LBB328_383:                            ;   in Loop: Header=BB328_353 Depth=1
	s_delay_alu instid0(SALU_CYCLE_1) | instskip(SKIP_3) | instid1(VALU_DEP_2)
	s_or_b32 exec_lo, exec_lo, s0
	v_and_b32_e32 v30, 0xff, v11
	v_mov_b32_e32 v2, v11
	s_mov_b32 s0, exec_lo
	v_cmpx_ne_u16_e32 0, v30
	s_cbranch_execz .LBB328_389
; %bb.384:                              ;   in Loop: Header=BB328_353 Depth=1
	v_bfrev_b32_e32 v28, 1
	s_mov_b32 s13, exec_lo
	v_cmpx_ne_u16_e32 0x80, v30
	s_cbranch_execz .LBB328_388
; %bb.385:                              ;   in Loop: Header=BB328_353 Depth=1
	v_and_b32_e32 v30, 0x7f, v11
	v_mov_b32_e32 v28, 0x7fc02000
	s_mov_b32 s14, exec_lo
	s_delay_alu instid0(VALU_DEP_2)
	v_cmpx_ne_u32_e32 0x7f, v30
	s_cbranch_execz .LBB328_387
; %bb.386:                              ;   in Loop: Header=BB328_353 Depth=1
	v_and_b32_e32 v28, 7, v11
	v_cmp_gt_u32_e32 vcc_lo, 8, v30
	v_lshrrev_b32_e32 v39, 3, v30
	s_delay_alu instid0(VALU_DEP_3) | instskip(NEXT) | instid1(VALU_DEP_1)
	v_clz_i32_u32_e32 v28, v28
	v_min_u32_e32 v28, 32, v28
	s_delay_alu instid0(VALU_DEP_1) | instskip(SKIP_1) | instid1(VALU_DEP_2)
	v_subrev_nc_u32_e32 v40, 28, v28
	v_sub_nc_u32_e32 v28, 29, v28
	v_cndmask_b32_e32 v30, 0, v40, vcc_lo
	s_delay_alu instid0(VALU_DEP_2) | instskip(NEXT) | instid1(VALU_DEP_2)
	v_cndmask_b32_e32 v28, v39, v28, vcc_lo
	v_lshlrev_b64 v[39:40], v30, v[2:3]
	v_lshlrev_b32_e32 v30, 8, v11
	s_delay_alu instid0(VALU_DEP_3) | instskip(NEXT) | instid1(VALU_DEP_3)
	v_lshl_add_u32 v28, v28, 10, 0x2000
	v_lshlrev_b32_e32 v39, 7, v39
	s_delay_alu instid0(VALU_DEP_2) | instskip(NEXT) | instid1(VALU_DEP_1)
	v_and_or_b32 v28, 0x8000, v30, v28
	v_and_or_b32 v28, 0x380, v39, v28
	s_delay_alu instid0(VALU_DEP_1)
	v_cvt_f32_f16_e32 v28, v28
.LBB328_387:                            ;   in Loop: Header=BB328_353 Depth=1
	s_or_b32 exec_lo, exec_lo, s14
.LBB328_388:                            ;   in Loop: Header=BB328_353 Depth=1
	s_delay_alu instid0(SALU_CYCLE_1)
	s_or_b32 exec_lo, exec_lo, s13
.LBB328_389:                            ;   in Loop: Header=BB328_353 Depth=1
	s_delay_alu instid0(SALU_CYCLE_1) | instskip(SKIP_3) | instid1(VALU_DEP_2)
	s_or_b32 exec_lo, exec_lo, s0
	v_lshrrev_b16 v2, 8, v2
	v_dual_mov_b32 v30, 0 :: v_dual_mov_b32 v39, 0
	s_mov_b32 s0, exec_lo
	v_cmpx_ne_u16_e32 0, v2
	s_cbranch_execz .LBB328_397
; %bb.390:                              ;   in Loop: Header=BB328_353 Depth=1
	v_bfrev_b32_e32 v39, 1
	s_mov_b32 s13, exec_lo
	v_cmpx_ne_u16_e32 0x80, v2
	s_cbranch_execz .LBB328_396
; %bb.391:                              ;   in Loop: Header=BB328_353 Depth=1
	v_and_b32_e32 v40, 0xffff, v2
	v_mov_b32_e32 v39, 0x7fc02000
	s_mov_b32 s14, exec_lo
	s_delay_alu instid0(VALU_DEP_2) | instskip(NEXT) | instid1(VALU_DEP_1)
	v_and_b32_e32 v41, 0x7f, v40
	v_cmpx_ne_u32_e32 0x7f, v41
	s_cbranch_execz .LBB328_395
; %bb.392:                              ;   in Loop: Header=BB328_353 Depth=1
	v_and_b32_e32 v2, 7, v40
	v_lshrrev_b32_e32 v39, 3, v41
	s_mov_b32 s16, exec_lo
	v_cmpx_gt_u32_e32 8, v41
; %bb.393:                              ;   in Loop: Header=BB328_353 Depth=1
	s_delay_alu instid0(VALU_DEP_3) | instskip(NEXT) | instid1(VALU_DEP_1)
	v_clz_i32_u32_e32 v39, v2
	v_min_u32_e32 v39, 32, v39
	s_delay_alu instid0(VALU_DEP_1) | instskip(SKIP_1) | instid1(VALU_DEP_2)
	v_subrev_nc_u32_e32 v41, 28, v39
	v_sub_nc_u32_e32 v39, 29, v39
	v_lshlrev_b64 v[41:42], v41, v[2:3]
	s_delay_alu instid0(VALU_DEP_1)
	v_and_b32_e32 v2, 7, v41
; %bb.394:                              ;   in Loop: Header=BB328_353 Depth=1
	s_or_b32 exec_lo, exec_lo, s16
	v_lshlrev_b32_e32 v40, 8, v40
	v_lshl_add_u32 v39, v39, 10, 0x2000
	s_delay_alu instid0(VALU_DEP_1) | instskip(NEXT) | instid1(VALU_DEP_1)
	v_and_or_b32 v39, 0x8000, v40, v39
	v_lshl_or_b32 v2, v2, 7, v39
	s_delay_alu instid0(VALU_DEP_1)
	v_cvt_f32_f16_e32 v39, v2
.LBB328_395:                            ;   in Loop: Header=BB328_353 Depth=1
	s_or_b32 exec_lo, exec_lo, s14
.LBB328_396:                            ;   in Loop: Header=BB328_353 Depth=1
	s_delay_alu instid0(SALU_CYCLE_1)
	s_or_b32 exec_lo, exec_lo, s13
.LBB328_397:                            ;   in Loop: Header=BB328_353 Depth=1
	s_delay_alu instid0(SALU_CYCLE_1) | instskip(SKIP_2) | instid1(VALU_DEP_1)
	s_or_b32 exec_lo, exec_lo, s0
	v_lshrrev_b32_e32 v40, 16, v11
	s_mov_b32 s0, exec_lo
	v_and_b32_e32 v2, 0xff, v40
	s_delay_alu instid0(VALU_DEP_1)
	v_cmpx_ne_u16_e32 0, v2
	s_cbranch_execz .LBB328_405
; %bb.398:                              ;   in Loop: Header=BB328_353 Depth=1
	v_bfrev_b32_e32 v30, 1
	s_mov_b32 s13, exec_lo
	v_cmpx_ne_u16_e32 0x80, v2
	s_cbranch_execz .LBB328_404
; %bb.399:                              ;   in Loop: Header=BB328_353 Depth=1
	v_bfe_u32 v41, v11, 16, 7
	v_mov_b32_e32 v30, 0x7fc02000
	s_mov_b32 s14, exec_lo
	s_delay_alu instid0(VALU_DEP_2)
	v_cmpx_ne_u32_e32 0x7f, v41
	s_cbranch_execz .LBB328_403
; %bb.400:                              ;   in Loop: Header=BB328_353 Depth=1
	v_and_b32_e32 v2, 7, v40
	v_lshrrev_b32_e32 v30, 3, v41
	s_mov_b32 s16, exec_lo
	v_cmpx_gt_u32_e32 8, v41
; %bb.401:                              ;   in Loop: Header=BB328_353 Depth=1
	s_delay_alu instid0(VALU_DEP_3) | instskip(NEXT) | instid1(VALU_DEP_1)
	v_clz_i32_u32_e32 v30, v2
	v_min_u32_e32 v30, 32, v30
	s_delay_alu instid0(VALU_DEP_1) | instskip(SKIP_1) | instid1(VALU_DEP_2)
	v_subrev_nc_u32_e32 v41, 28, v30
	v_sub_nc_u32_e32 v30, 29, v30
	v_lshlrev_b64 v[41:42], v41, v[2:3]
	s_delay_alu instid0(VALU_DEP_1)
	v_and_b32_e32 v2, 7, v41
; %bb.402:                              ;   in Loop: Header=BB328_353 Depth=1
	s_or_b32 exec_lo, exec_lo, s16
	v_lshlrev_b32_e32 v40, 8, v40
	v_lshl_add_u32 v30, v30, 10, 0x2000
	s_delay_alu instid0(VALU_DEP_1) | instskip(NEXT) | instid1(VALU_DEP_1)
	v_and_or_b32 v30, 0x8000, v40, v30
	v_lshl_or_b32 v2, v2, 7, v30
	s_delay_alu instid0(VALU_DEP_1)
	v_cvt_f32_f16_e32 v30, v2
.LBB328_403:                            ;   in Loop: Header=BB328_353 Depth=1
	s_or_b32 exec_lo, exec_lo, s14
.LBB328_404:                            ;   in Loop: Header=BB328_353 Depth=1
	s_delay_alu instid0(SALU_CYCLE_1)
	s_or_b32 exec_lo, exec_lo, s13
.LBB328_405:                            ;   in Loop: Header=BB328_353 Depth=1
	s_delay_alu instid0(SALU_CYCLE_1)
	s_or_b32 exec_lo, exec_lo, s0
	v_mov_b32_e32 v2, 0
	s_mov_b32 s0, exec_lo
	v_cmpx_lt_u64_e64 s[2:3], v[10:11]
	s_cbranch_execz .LBB328_413
; %bb.406:                              ;   in Loop: Header=BB328_353 Depth=1
	v_lshrrev_b32_e32 v10, 24, v11
	v_bfrev_b32_e32 v2, 1
	s_mov_b32 s13, exec_lo
	s_delay_alu instid0(VALU_DEP_2)
	v_cmpx_ne_u32_e32 0x80, v10
	s_cbranch_execz .LBB328_412
; %bb.407:                              ;   in Loop: Header=BB328_353 Depth=1
	v_and_b32_e32 v40, 0x7f, v10
	v_mov_b32_e32 v2, 0x7fc02000
	s_mov_b32 s14, exec_lo
	s_delay_alu instid0(VALU_DEP_2)
	v_cmpx_ne_u32_e32 0x7f, v40
	s_cbranch_execz .LBB328_411
; %bb.408:                              ;   in Loop: Header=BB328_353 Depth=1
	v_and_b32_e32 v2, 7, v10
	v_lshrrev_b32_e32 v11, 3, v40
	s_mov_b32 s16, exec_lo
	v_cmpx_gt_u32_e32 8, v40
; %bb.409:                              ;   in Loop: Header=BB328_353 Depth=1
	s_delay_alu instid0(VALU_DEP_3) | instskip(NEXT) | instid1(VALU_DEP_1)
	v_clz_i32_u32_e32 v11, v2
	v_min_u32_e32 v11, 32, v11
	s_delay_alu instid0(VALU_DEP_1) | instskip(SKIP_1) | instid1(VALU_DEP_2)
	v_subrev_nc_u32_e32 v40, 28, v11
	v_sub_nc_u32_e32 v11, 29, v11
	v_lshlrev_b64 v[40:41], v40, v[2:3]
	s_delay_alu instid0(VALU_DEP_1)
	v_and_b32_e32 v2, 7, v40
; %bb.410:                              ;   in Loop: Header=BB328_353 Depth=1
	s_or_b32 exec_lo, exec_lo, s16
	v_lshlrev_b32_e32 v10, 8, v10
	v_lshl_add_u32 v11, v11, 10, 0x2000
	s_delay_alu instid0(VALU_DEP_1) | instskip(NEXT) | instid1(VALU_DEP_1)
	v_and_or_b32 v10, 0x8000, v10, v11
	v_lshl_or_b32 v2, v2, 7, v10
	s_delay_alu instid0(VALU_DEP_1)
	v_cvt_f32_f16_e32 v2, v2
.LBB328_411:                            ;   in Loop: Header=BB328_353 Depth=1
	s_or_b32 exec_lo, exec_lo, s14
.LBB328_412:                            ;   in Loop: Header=BB328_353 Depth=1
	s_delay_alu instid0(SALU_CYCLE_1)
	s_or_b32 exec_lo, exec_lo, s13
.LBB328_413:                            ;   in Loop: Header=BB328_353 Depth=1
	s_delay_alu instid0(SALU_CYCLE_1)
	s_or_b32 exec_lo, exec_lo, s0
	s_waitcnt vmcnt(0)
	v_fma_mixlo_f16 v10, v24, v29, 0
	v_fma_mixlo_f16 v11, v24, v27, 0
	;; [unrolled: 1-line block ×8, first 2 shown]
	v_lshlrev_b32_e32 v10, 16, v10
	v_and_b32_e32 v11, 0xffff, v11
	v_lshlrev_b32_e32 v26, 16, v26
	v_and_b32_e32 v24, 0xffff, v25
	;; [unrolled: 2-line block ×4, first 2 shown]
	v_cmp_eq_u32_e32 vcc_lo, s21, v1
	v_or_b32_e32 v11, v10, v11
	v_or_b32_e32 v40, v26, v24
	;; [unrolled: 1-line block ×4, first 2 shown]
	v_add_nc_u32_e32 v30, 1, v15
	v_or_b32_e32 v29, 3, v15
	v_or_b32_e32 v28, 2, v15
	;; [unrolled: 1-line block ×6, first 2 shown]
	s_and_saveexec_b32 s13, vcc_lo
	s_cbranch_execz .LBB328_415
; %bb.414:                              ;   in Loop: Header=BB328_353 Depth=1
	v_cmp_gt_i32_e64 s0, s15, v15
	v_lshrrev_b32_e32 v41, 16, v40
	v_lshrrev_b32_e32 v42, 16, v11
	;; [unrolled: 1-line block ×4, first 2 shown]
	v_cndmask_b32_e64 v40, 0, v40, s0
	v_cmp_gt_i32_e64 s0, s10, v30
	s_delay_alu instid0(VALU_DEP_1) | instskip(SKIP_1) | instid1(VALU_DEP_2)
	v_cndmask_b32_e64 v41, 0, v41, s0
	v_cmp_gt_i32_e64 s0, s10, v29
	v_perm_b32 v40, v41, v40, 0x5040100
	s_delay_alu instid0(VALU_DEP_2) | instskip(SKIP_1) | instid1(VALU_DEP_1)
	v_cndmask_b32_e64 v42, 0, v42, s0
	v_cmp_gt_i32_e64 s0, s15, v28
	v_cndmask_b32_e64 v11, 0, v11, s0
	v_cmp_gt_i32_e64 s0, s10, v27
	s_delay_alu instid0(VALU_DEP_2) | instskip(NEXT) | instid1(VALU_DEP_2)
	v_perm_b32 v11, v42, v11, 0x5040100
	v_cndmask_b32_e64 v43, 0, v43, s0
	v_cmp_gt_i32_e64 s0, s15, v26
	s_delay_alu instid0(VALU_DEP_1) | instskip(SKIP_1) | instid1(VALU_DEP_2)
	v_cndmask_b32_e64 v2, 0, v2, s0
	v_cmp_gt_i32_e64 s0, s10, v25
	v_perm_b32 v2, v43, v2, 0x5040100
	s_delay_alu instid0(VALU_DEP_2) | instskip(SKIP_1) | instid1(VALU_DEP_1)
	v_cndmask_b32_e64 v10, 0, v10, s0
	v_cmp_gt_i32_e64 s0, s15, v24
	v_cndmask_b32_e64 v39, 0, v39, s0
	s_delay_alu instid0(VALU_DEP_1)
	v_perm_b32 v10, v10, v39, 0x5040100
.LBB328_415:                            ;   in Loop: Header=BB328_353 Depth=1
	s_or_b32 exec_lo, exec_lo, s13
	v_and_b32_e32 v31, 0xffff, v31
	v_and_b32_e32 v39, 0xffff, v34
	;; [unrolled: 1-line block ×4, first 2 shown]
	s_mov_b32 s13, exec_lo
	v_lshl_or_b32 v34, v32, 16, v31
	v_lshl_or_b32 v33, v33, 16, v39
	v_mov_b32_e32 v39, 0
	v_lshl_or_b32 v32, v35, 16, v37
	;;#ASMSTART
	v_pk_mul_f16 v35, v34, v40;

	;;#ASMEND
	;;#ASMSTART
	v_pk_mul_f16 v11, v33, v11;

	;;#ASMEND
	;; [unrolled: 4-line block ×3, first 2 shown]
	v_lshl_or_b32 v31, v36, 16, v38
	;;#ASMSTART
	v_pk_mul_f16 v10, v31, v10;

	;;#ASMEND
	;;#ASMSTART
	v_pk_add_f16 v11, v35, v11;

	;;#ASMEND
	;;#ASMSTART
	v_pk_add_f16 v2, v11, v2;

	;;#ASMEND
	;;#ASMSTART
	v_pk_add_f16 v2, v2, v10;

	;;#ASMEND
	v_and_b32_e32 v10, 0xffff, v2
	v_lshrrev_b32_e32 v2, 16, v2
	;;#ASMSTART
	v_cvt_f32_f16 v35, v10;
	;;#ASMEND
	;;#ASMSTART
	v_cvt_f32_f16 v36, v2;
	;;#ASMEND
	global_load_b64 v[10:11], v[8:9], off offset:256
	global_load_b32 v37, v3, s[6:7]
	v_mov_b32_e32 v38, 0
	s_waitcnt vmcnt(1)
	v_and_b32_e32 v2, 0xff, v10
	s_delay_alu instid0(VALU_DEP_1)
	v_cmpx_ne_u16_e32 0, v2
	s_cbranch_execz .LBB328_421
; %bb.416:                              ;   in Loop: Header=BB328_353 Depth=1
	v_bfrev_b32_e32 v38, 1
	s_mov_b32 s14, exec_lo
	v_cmpx_ne_u16_e32 0x80, v2
	s_cbranch_execz .LBB328_420
; %bb.417:                              ;   in Loop: Header=BB328_353 Depth=1
	v_and_b32_e32 v2, 0x7f, v10
	v_mov_b32_e32 v38, 0x7fc02000
	s_mov_b32 s16, exec_lo
	s_delay_alu instid0(VALU_DEP_2)
	v_cmpx_ne_u32_e32 0x7f, v2
	s_cbranch_execz .LBB328_419
; %bb.418:                              ;   in Loop: Header=BB328_353 Depth=1
	v_and_b32_e32 v38, 7, v10
	v_cmp_gt_u32_e64 s0, 8, v2
	v_lshrrev_b32_e32 v40, 3, v2
	s_delay_alu instid0(VALU_DEP_3) | instskip(NEXT) | instid1(VALU_DEP_1)
	v_clz_i32_u32_e32 v38, v38
	v_min_u32_e32 v38, 32, v38
	s_delay_alu instid0(VALU_DEP_1) | instskip(SKIP_1) | instid1(VALU_DEP_2)
	v_subrev_nc_u32_e32 v41, 28, v38
	v_sub_nc_u32_e32 v38, 29, v38
	v_cndmask_b32_e64 v2, 0, v41, s0
	s_delay_alu instid0(VALU_DEP_2) | instskip(NEXT) | instid1(VALU_DEP_2)
	v_cndmask_b32_e64 v38, v40, v38, s0
	v_lshlrev_b64 v[40:41], v2, v[10:11]
	v_lshlrev_b32_e32 v2, 8, v10
	s_delay_alu instid0(VALU_DEP_3) | instskip(NEXT) | instid1(VALU_DEP_3)
	v_lshl_add_u32 v38, v38, 10, 0x2000
	v_lshlrev_b32_e32 v40, 7, v40
	s_delay_alu instid0(VALU_DEP_2) | instskip(NEXT) | instid1(VALU_DEP_1)
	v_and_or_b32 v2, 0x8000, v2, v38
	v_and_or_b32 v2, 0x380, v40, v2
	s_delay_alu instid0(VALU_DEP_1)
	v_cvt_f32_f16_e32 v38, v2
.LBB328_419:                            ;   in Loop: Header=BB328_353 Depth=1
	s_or_b32 exec_lo, exec_lo, s16
.LBB328_420:                            ;   in Loop: Header=BB328_353 Depth=1
	s_delay_alu instid0(SALU_CYCLE_1)
	s_or_b32 exec_lo, exec_lo, s14
.LBB328_421:                            ;   in Loop: Header=BB328_353 Depth=1
	s_delay_alu instid0(SALU_CYCLE_1) | instskip(SKIP_2) | instid1(VALU_DEP_1)
	s_or_b32 exec_lo, exec_lo, s13
	v_lshrrev_b16 v2, 8, v10
	s_mov_b32 s13, exec_lo
	v_cmpx_ne_u16_e32 0, v2
	s_cbranch_execz .LBB328_429
; %bb.422:                              ;   in Loop: Header=BB328_353 Depth=1
	v_bfrev_b32_e32 v39, 1
	s_mov_b32 s14, exec_lo
	v_cmpx_ne_u16_e32 0x80, v2
	s_cbranch_execz .LBB328_428
; %bb.423:                              ;   in Loop: Header=BB328_353 Depth=1
	v_and_b32_e32 v40, 0xffff, v2
	v_mov_b32_e32 v39, 0x7fc02000
	s_mov_b32 s16, exec_lo
	s_delay_alu instid0(VALU_DEP_2) | instskip(NEXT) | instid1(VALU_DEP_1)
	v_and_b32_e32 v41, 0x7f, v40
	v_cmpx_ne_u32_e32 0x7f, v41
	s_cbranch_execz .LBB328_427
; %bb.424:                              ;   in Loop: Header=BB328_353 Depth=1
	v_and_b32_e32 v2, 7, v40
	v_lshrrev_b32_e32 v39, 3, v41
	s_mov_b32 s17, exec_lo
	v_cmpx_gt_u32_e32 8, v41
; %bb.425:                              ;   in Loop: Header=BB328_353 Depth=1
	s_delay_alu instid0(VALU_DEP_3) | instskip(NEXT) | instid1(VALU_DEP_1)
	v_clz_i32_u32_e32 v39, v2
	v_min_u32_e32 v39, 32, v39
	s_delay_alu instid0(VALU_DEP_1) | instskip(SKIP_1) | instid1(VALU_DEP_2)
	v_subrev_nc_u32_e32 v41, 28, v39
	v_sub_nc_u32_e32 v39, 29, v39
	v_lshlrev_b64 v[41:42], v41, v[2:3]
	s_delay_alu instid0(VALU_DEP_1)
	v_and_b32_e32 v2, 7, v41
; %bb.426:                              ;   in Loop: Header=BB328_353 Depth=1
	s_or_b32 exec_lo, exec_lo, s17
	v_lshlrev_b32_e32 v40, 8, v40
	v_lshl_add_u32 v39, v39, 10, 0x2000
	s_delay_alu instid0(VALU_DEP_1) | instskip(NEXT) | instid1(VALU_DEP_1)
	v_and_or_b32 v39, 0x8000, v40, v39
	v_lshl_or_b32 v2, v2, 7, v39
	s_delay_alu instid0(VALU_DEP_1)
	v_cvt_f32_f16_e32 v39, v2
.LBB328_427:                            ;   in Loop: Header=BB328_353 Depth=1
	s_or_b32 exec_lo, exec_lo, s16
.LBB328_428:                            ;   in Loop: Header=BB328_353 Depth=1
	s_delay_alu instid0(SALU_CYCLE_1)
	s_or_b32 exec_lo, exec_lo, s14
.LBB328_429:                            ;   in Loop: Header=BB328_353 Depth=1
	s_delay_alu instid0(SALU_CYCLE_1) | instskip(SKIP_3) | instid1(VALU_DEP_2)
	s_or_b32 exec_lo, exec_lo, s13
	v_lshrrev_b32_e32 v42, 16, v10
	v_mov_b32_e32 v40, 0
	s_mov_b32 s13, exec_lo
	v_dual_mov_b32 v41, 0 :: v_dual_and_b32 v2, 0xff, v42
	s_delay_alu instid0(VALU_DEP_1)
	v_cmpx_ne_u16_e32 0, v2
	s_cbranch_execz .LBB328_437
; %bb.430:                              ;   in Loop: Header=BB328_353 Depth=1
	v_bfrev_b32_e32 v40, 1
	s_mov_b32 s14, exec_lo
	v_cmpx_ne_u16_e32 0x80, v2
	s_cbranch_execz .LBB328_436
; %bb.431:                              ;   in Loop: Header=BB328_353 Depth=1
	v_bfe_u32 v43, v10, 16, 7
	v_mov_b32_e32 v40, 0x7fc02000
	s_mov_b32 s16, exec_lo
	s_delay_alu instid0(VALU_DEP_2)
	v_cmpx_ne_u32_e32 0x7f, v43
	s_cbranch_execz .LBB328_435
; %bb.432:                              ;   in Loop: Header=BB328_353 Depth=1
	v_and_b32_e32 v2, 7, v42
	v_lshrrev_b32_e32 v40, 3, v43
	s_mov_b32 s17, exec_lo
	v_cmpx_gt_u32_e32 8, v43
; %bb.433:                              ;   in Loop: Header=BB328_353 Depth=1
	s_delay_alu instid0(VALU_DEP_3) | instskip(NEXT) | instid1(VALU_DEP_1)
	v_clz_i32_u32_e32 v40, v2
	v_min_u32_e32 v40, 32, v40
	s_delay_alu instid0(VALU_DEP_1) | instskip(SKIP_1) | instid1(VALU_DEP_2)
	v_subrev_nc_u32_e32 v43, 28, v40
	v_sub_nc_u32_e32 v40, 29, v40
	v_lshlrev_b64 v[43:44], v43, v[2:3]
	s_delay_alu instid0(VALU_DEP_1)
	v_and_b32_e32 v2, 7, v43
; %bb.434:                              ;   in Loop: Header=BB328_353 Depth=1
	s_or_b32 exec_lo, exec_lo, s17
	v_lshlrev_b32_e32 v42, 8, v42
	v_lshl_add_u32 v40, v40, 10, 0x2000
	s_delay_alu instid0(VALU_DEP_1) | instskip(NEXT) | instid1(VALU_DEP_1)
	v_and_or_b32 v40, 0x8000, v42, v40
	v_lshl_or_b32 v2, v2, 7, v40
	s_delay_alu instid0(VALU_DEP_1)
	v_cvt_f32_f16_e32 v40, v2
.LBB328_435:                            ;   in Loop: Header=BB328_353 Depth=1
	s_or_b32 exec_lo, exec_lo, s16
.LBB328_436:                            ;   in Loop: Header=BB328_353 Depth=1
	s_delay_alu instid0(SALU_CYCLE_1)
	s_or_b32 exec_lo, exec_lo, s14
.LBB328_437:                            ;   in Loop: Header=BB328_353 Depth=1
	s_delay_alu instid0(SALU_CYCLE_1) | instskip(NEXT) | instid1(SALU_CYCLE_1)
	s_or_b32 exec_lo, exec_lo, s13
	s_mov_b32 s13, exec_lo
	v_cmpx_lt_u32_e32 0xffffff, v10
	s_cbranch_execz .LBB328_445
; %bb.438:                              ;   in Loop: Header=BB328_353 Depth=1
	v_lshrrev_b32_e32 v42, 24, v10
	v_bfrev_b32_e32 v41, 1
	s_mov_b32 s14, exec_lo
	s_delay_alu instid0(VALU_DEP_2)
	v_cmpx_ne_u32_e32 0x80, v42
	s_cbranch_execz .LBB328_444
; %bb.439:                              ;   in Loop: Header=BB328_353 Depth=1
	v_and_b32_e32 v43, 0x7f, v42
	v_mov_b32_e32 v41, 0x7fc02000
	s_mov_b32 s16, exec_lo
	s_delay_alu instid0(VALU_DEP_2)
	v_cmpx_ne_u32_e32 0x7f, v43
	s_cbranch_execz .LBB328_443
; %bb.440:                              ;   in Loop: Header=BB328_353 Depth=1
	v_and_b32_e32 v2, 7, v42
	v_lshrrev_b32_e32 v41, 3, v43
	s_mov_b32 s17, exec_lo
	v_cmpx_gt_u32_e32 8, v43
; %bb.441:                              ;   in Loop: Header=BB328_353 Depth=1
	s_delay_alu instid0(VALU_DEP_3) | instskip(NEXT) | instid1(VALU_DEP_1)
	v_clz_i32_u32_e32 v41, v2
	v_min_u32_e32 v41, 32, v41
	s_delay_alu instid0(VALU_DEP_1) | instskip(SKIP_1) | instid1(VALU_DEP_2)
	v_subrev_nc_u32_e32 v43, 28, v41
	v_sub_nc_u32_e32 v41, 29, v41
	v_lshlrev_b64 v[43:44], v43, v[2:3]
	s_delay_alu instid0(VALU_DEP_1)
	v_and_b32_e32 v2, 7, v43
; %bb.442:                              ;   in Loop: Header=BB328_353 Depth=1
	s_or_b32 exec_lo, exec_lo, s17
	v_lshlrev_b32_e32 v42, 8, v42
	v_lshl_add_u32 v41, v41, 10, 0x2000
	s_delay_alu instid0(VALU_DEP_1) | instskip(NEXT) | instid1(VALU_DEP_1)
	v_and_or_b32 v41, 0x8000, v42, v41
	v_lshl_or_b32 v2, v2, 7, v41
	s_delay_alu instid0(VALU_DEP_1)
	v_cvt_f32_f16_e32 v41, v2
.LBB328_443:                            ;   in Loop: Header=BB328_353 Depth=1
	s_or_b32 exec_lo, exec_lo, s16
.LBB328_444:                            ;   in Loop: Header=BB328_353 Depth=1
	s_delay_alu instid0(SALU_CYCLE_1)
	s_or_b32 exec_lo, exec_lo, s14
.LBB328_445:                            ;   in Loop: Header=BB328_353 Depth=1
	s_delay_alu instid0(SALU_CYCLE_1) | instskip(SKIP_4) | instid1(VALU_DEP_3)
	s_or_b32 exec_lo, exec_lo, s13
	v_dual_mov_b32 v43, 0 :: v_dual_and_b32 v44, 0xff, v11
	v_mov_b32_e32 v2, v11
	v_mov_b32_e32 v42, 0
	s_mov_b32 s13, exec_lo
	v_cmpx_ne_u16_e32 0, v44
	s_cbranch_execz .LBB328_451
; %bb.446:                              ;   in Loop: Header=BB328_353 Depth=1
	v_bfrev_b32_e32 v42, 1
	s_mov_b32 s14, exec_lo
	v_cmpx_ne_u16_e32 0x80, v44
	s_cbranch_execz .LBB328_450
; %bb.447:                              ;   in Loop: Header=BB328_353 Depth=1
	v_and_b32_e32 v44, 0x7f, v11
	v_mov_b32_e32 v42, 0x7fc02000
	s_mov_b32 s16, exec_lo
	s_delay_alu instid0(VALU_DEP_2)
	v_cmpx_ne_u32_e32 0x7f, v44
	s_cbranch_execz .LBB328_449
; %bb.448:                              ;   in Loop: Header=BB328_353 Depth=1
	v_and_b32_e32 v42, 7, v11
	v_cmp_gt_u32_e64 s0, 8, v44
	v_lshrrev_b32_e32 v45, 3, v44
	s_delay_alu instid0(VALU_DEP_3) | instskip(NEXT) | instid1(VALU_DEP_1)
	v_clz_i32_u32_e32 v42, v42
	v_min_u32_e32 v42, 32, v42
	s_delay_alu instid0(VALU_DEP_1) | instskip(SKIP_1) | instid1(VALU_DEP_2)
	v_subrev_nc_u32_e32 v46, 28, v42
	v_sub_nc_u32_e32 v42, 29, v42
	v_cndmask_b32_e64 v44, 0, v46, s0
	s_delay_alu instid0(VALU_DEP_2) | instskip(NEXT) | instid1(VALU_DEP_2)
	v_cndmask_b32_e64 v42, v45, v42, s0
	v_lshlrev_b64 v[44:45], v44, v[2:3]
	v_lshlrev_b32_e32 v45, 8, v11
	s_delay_alu instid0(VALU_DEP_3) | instskip(NEXT) | instid1(VALU_DEP_3)
	v_lshl_add_u32 v42, v42, 10, 0x2000
	v_lshlrev_b32_e32 v44, 7, v44
	s_delay_alu instid0(VALU_DEP_2) | instskip(NEXT) | instid1(VALU_DEP_1)
	v_and_or_b32 v42, 0x8000, v45, v42
	v_and_or_b32 v42, 0x380, v44, v42
	s_delay_alu instid0(VALU_DEP_1)
	v_cvt_f32_f16_e32 v42, v42
.LBB328_449:                            ;   in Loop: Header=BB328_353 Depth=1
	s_or_b32 exec_lo, exec_lo, s16
.LBB328_450:                            ;   in Loop: Header=BB328_353 Depth=1
	s_delay_alu instid0(SALU_CYCLE_1)
	s_or_b32 exec_lo, exec_lo, s14
.LBB328_451:                            ;   in Loop: Header=BB328_353 Depth=1
	s_delay_alu instid0(SALU_CYCLE_1) | instskip(SKIP_2) | instid1(VALU_DEP_1)
	s_or_b32 exec_lo, exec_lo, s13
	v_lshrrev_b16 v2, 8, v2
	s_mov_b32 s13, exec_lo
	v_cmpx_ne_u16_e32 0, v2
	s_cbranch_execz .LBB328_459
; %bb.452:                              ;   in Loop: Header=BB328_353 Depth=1
	v_bfrev_b32_e32 v43, 1
	s_mov_b32 s14, exec_lo
	v_cmpx_ne_u16_e32 0x80, v2
	s_cbranch_execz .LBB328_458
; %bb.453:                              ;   in Loop: Header=BB328_353 Depth=1
	v_and_b32_e32 v44, 0xffff, v2
	v_mov_b32_e32 v43, 0x7fc02000
	s_mov_b32 s16, exec_lo
	s_delay_alu instid0(VALU_DEP_2) | instskip(NEXT) | instid1(VALU_DEP_1)
	v_and_b32_e32 v45, 0x7f, v44
	v_cmpx_ne_u32_e32 0x7f, v45
	s_cbranch_execz .LBB328_457
; %bb.454:                              ;   in Loop: Header=BB328_353 Depth=1
	v_and_b32_e32 v2, 7, v44
	v_lshrrev_b32_e32 v43, 3, v45
	s_mov_b32 s17, exec_lo
	v_cmpx_gt_u32_e32 8, v45
; %bb.455:                              ;   in Loop: Header=BB328_353 Depth=1
	s_delay_alu instid0(VALU_DEP_3) | instskip(NEXT) | instid1(VALU_DEP_1)
	v_clz_i32_u32_e32 v43, v2
	v_min_u32_e32 v43, 32, v43
	s_delay_alu instid0(VALU_DEP_1) | instskip(SKIP_1) | instid1(VALU_DEP_2)
	v_subrev_nc_u32_e32 v45, 28, v43
	v_sub_nc_u32_e32 v43, 29, v43
	v_lshlrev_b64 v[45:46], v45, v[2:3]
	s_delay_alu instid0(VALU_DEP_1)
	v_and_b32_e32 v2, 7, v45
; %bb.456:                              ;   in Loop: Header=BB328_353 Depth=1
	s_or_b32 exec_lo, exec_lo, s17
	v_lshlrev_b32_e32 v44, 8, v44
	v_lshl_add_u32 v43, v43, 10, 0x2000
	s_delay_alu instid0(VALU_DEP_1) | instskip(NEXT) | instid1(VALU_DEP_1)
	v_and_or_b32 v43, 0x8000, v44, v43
	v_lshl_or_b32 v2, v2, 7, v43
	s_delay_alu instid0(VALU_DEP_1)
	v_cvt_f32_f16_e32 v43, v2
.LBB328_457:                            ;   in Loop: Header=BB328_353 Depth=1
	s_or_b32 exec_lo, exec_lo, s16
.LBB328_458:                            ;   in Loop: Header=BB328_353 Depth=1
	s_delay_alu instid0(SALU_CYCLE_1)
	s_or_b32 exec_lo, exec_lo, s14
.LBB328_459:                            ;   in Loop: Header=BB328_353 Depth=1
	s_delay_alu instid0(SALU_CYCLE_1) | instskip(SKIP_3) | instid1(VALU_DEP_2)
	s_or_b32 exec_lo, exec_lo, s13
	v_lshrrev_b32_e32 v46, 16, v11
	v_mov_b32_e32 v44, 0
	s_mov_b32 s13, exec_lo
	v_dual_mov_b32 v45, 0 :: v_dual_and_b32 v2, 0xff, v46
	s_delay_alu instid0(VALU_DEP_1)
	v_cmpx_ne_u16_e32 0, v2
	s_cbranch_execz .LBB328_467
; %bb.460:                              ;   in Loop: Header=BB328_353 Depth=1
	v_bfrev_b32_e32 v44, 1
	s_mov_b32 s14, exec_lo
	v_cmpx_ne_u16_e32 0x80, v2
	s_cbranch_execz .LBB328_466
; %bb.461:                              ;   in Loop: Header=BB328_353 Depth=1
	v_bfe_u32 v47, v11, 16, 7
	v_mov_b32_e32 v44, 0x7fc02000
	s_mov_b32 s16, exec_lo
	s_delay_alu instid0(VALU_DEP_2)
	v_cmpx_ne_u32_e32 0x7f, v47
	s_cbranch_execz .LBB328_465
; %bb.462:                              ;   in Loop: Header=BB328_353 Depth=1
	v_and_b32_e32 v2, 7, v46
	v_lshrrev_b32_e32 v44, 3, v47
	s_mov_b32 s17, exec_lo
	v_cmpx_gt_u32_e32 8, v47
; %bb.463:                              ;   in Loop: Header=BB328_353 Depth=1
	s_delay_alu instid0(VALU_DEP_3) | instskip(NEXT) | instid1(VALU_DEP_1)
	v_clz_i32_u32_e32 v44, v2
	v_min_u32_e32 v44, 32, v44
	s_delay_alu instid0(VALU_DEP_1) | instskip(SKIP_1) | instid1(VALU_DEP_2)
	v_subrev_nc_u32_e32 v47, 28, v44
	v_sub_nc_u32_e32 v44, 29, v44
	v_lshlrev_b64 v[47:48], v47, v[2:3]
	s_delay_alu instid0(VALU_DEP_1)
	v_and_b32_e32 v2, 7, v47
; %bb.464:                              ;   in Loop: Header=BB328_353 Depth=1
	s_or_b32 exec_lo, exec_lo, s17
	v_lshlrev_b32_e32 v46, 8, v46
	v_lshl_add_u32 v44, v44, 10, 0x2000
	s_delay_alu instid0(VALU_DEP_1) | instskip(NEXT) | instid1(VALU_DEP_1)
	v_and_or_b32 v44, 0x8000, v46, v44
	v_lshl_or_b32 v2, v2, 7, v44
	s_delay_alu instid0(VALU_DEP_1)
	v_cvt_f32_f16_e32 v44, v2
.LBB328_465:                            ;   in Loop: Header=BB328_353 Depth=1
	s_or_b32 exec_lo, exec_lo, s16
.LBB328_466:                            ;   in Loop: Header=BB328_353 Depth=1
	s_delay_alu instid0(SALU_CYCLE_1)
	s_or_b32 exec_lo, exec_lo, s14
.LBB328_467:                            ;   in Loop: Header=BB328_353 Depth=1
	s_delay_alu instid0(SALU_CYCLE_1) | instskip(NEXT) | instid1(SALU_CYCLE_1)
	s_or_b32 exec_lo, exec_lo, s13
	s_mov_b32 s13, exec_lo
	v_cmpx_lt_u64_e64 s[2:3], v[10:11]
	s_cbranch_execz .LBB328_475
; %bb.468:                              ;   in Loop: Header=BB328_353 Depth=1
	v_lshrrev_b32_e32 v10, 24, v11
	v_bfrev_b32_e32 v45, 1
	s_mov_b32 s14, exec_lo
	s_delay_alu instid0(VALU_DEP_2)
	v_cmpx_ne_u32_e32 0x80, v10
	s_cbranch_execz .LBB328_474
; %bb.469:                              ;   in Loop: Header=BB328_353 Depth=1
	v_and_b32_e32 v46, 0x7f, v10
	v_mov_b32_e32 v45, 0x7fc02000
	s_mov_b32 s16, exec_lo
	s_delay_alu instid0(VALU_DEP_2)
	v_cmpx_ne_u32_e32 0x7f, v46
	s_cbranch_execz .LBB328_473
; %bb.470:                              ;   in Loop: Header=BB328_353 Depth=1
	v_and_b32_e32 v2, 7, v10
	v_lshrrev_b32_e32 v11, 3, v46
	s_mov_b32 s17, exec_lo
	v_cmpx_gt_u32_e32 8, v46
; %bb.471:                              ;   in Loop: Header=BB328_353 Depth=1
	s_delay_alu instid0(VALU_DEP_3) | instskip(NEXT) | instid1(VALU_DEP_1)
	v_clz_i32_u32_e32 v11, v2
	v_min_u32_e32 v11, 32, v11
	s_delay_alu instid0(VALU_DEP_1) | instskip(SKIP_1) | instid1(VALU_DEP_2)
	v_subrev_nc_u32_e32 v45, 28, v11
	v_sub_nc_u32_e32 v11, 29, v11
	v_lshlrev_b64 v[45:46], v45, v[2:3]
	s_delay_alu instid0(VALU_DEP_1)
	v_and_b32_e32 v2, 7, v45
; %bb.472:                              ;   in Loop: Header=BB328_353 Depth=1
	s_or_b32 exec_lo, exec_lo, s17
	v_lshlrev_b32_e32 v10, 8, v10
	v_lshl_add_u32 v11, v11, 10, 0x2000
	s_delay_alu instid0(VALU_DEP_1) | instskip(NEXT) | instid1(VALU_DEP_1)
	v_and_or_b32 v10, 0x8000, v10, v11
	v_lshl_or_b32 v2, v2, 7, v10
	s_delay_alu instid0(VALU_DEP_1)
	v_cvt_f32_f16_e32 v45, v2
.LBB328_473:                            ;   in Loop: Header=BB328_353 Depth=1
	s_or_b32 exec_lo, exec_lo, s16
.LBB328_474:                            ;   in Loop: Header=BB328_353 Depth=1
	s_delay_alu instid0(SALU_CYCLE_1)
	s_or_b32 exec_lo, exec_lo, s14
.LBB328_475:                            ;   in Loop: Header=BB328_353 Depth=1
	s_delay_alu instid0(SALU_CYCLE_1)
	s_or_b32 exec_lo, exec_lo, s13
	s_waitcnt vmcnt(0)
	v_fma_mixlo_f16 v11, v37, v39, 0
	v_fma_mixlo_f16 v2, v37, v41, 0
	;; [unrolled: 1-line block ×5, first 2 shown]
	v_lshlrev_b32_e32 v39, 16, v11
	v_fma_mixlo_f16 v41, v37, v42, 0
	v_fma_mixlo_f16 v42, v37, v45, 0
	;; [unrolled: 1-line block ×3, first 2 shown]
	v_lshlrev_b32_e32 v2, 16, v2
	v_and_b32_e32 v10, 0xffff, v10
	v_and_b32_e32 v38, 0xffff, v38
	v_lshlrev_b32_e32 v40, 16, v40
	v_and_b32_e32 v41, 0xffff, v41
	v_lshlrev_b32_e32 v42, 16, v42
	v_and_b32_e32 v43, 0xffff, v11
	v_or_b32_e32 v37, v2, v10
	v_or_b32_e32 v38, v39, v38
	;; [unrolled: 1-line block ×3, first 2 shown]
	s_delay_alu instid0(VALU_DEP_4)
	v_or_b32_e32 v10, v42, v43
	s_and_saveexec_b32 s13, vcc_lo
	s_cbranch_execz .LBB328_477
; %bb.476:                              ;   in Loop: Header=BB328_353 Depth=1
	v_cmp_gt_i32_e64 s0, s15, v15
	v_lshrrev_b32_e32 v39, 16, v38
	v_lshrrev_b32_e32 v40, 16, v37
	;; [unrolled: 1-line block ×4, first 2 shown]
	v_cndmask_b32_e64 v38, 0, v38, s0
	v_cmp_gt_i32_e64 s0, s10, v30
	s_delay_alu instid0(VALU_DEP_1) | instskip(SKIP_1) | instid1(VALU_DEP_2)
	v_cndmask_b32_e64 v39, 0, v39, s0
	v_cmp_gt_i32_e64 s0, s10, v29
	v_perm_b32 v38, v39, v38, 0x5040100
	s_delay_alu instid0(VALU_DEP_2) | instskip(SKIP_1) | instid1(VALU_DEP_1)
	v_cndmask_b32_e64 v40, 0, v40, s0
	v_cmp_gt_i32_e64 s0, s15, v28
	v_cndmask_b32_e64 v37, 0, v37, s0
	v_cmp_gt_i32_e64 s0, s10, v27
	s_delay_alu instid0(VALU_DEP_2) | instskip(NEXT) | instid1(VALU_DEP_2)
	v_perm_b32 v37, v40, v37, 0x5040100
	v_cndmask_b32_e64 v41, 0, v41, s0
	v_cmp_gt_i32_e64 s0, s15, v26
	s_delay_alu instid0(VALU_DEP_1) | instskip(SKIP_1) | instid1(VALU_DEP_2)
	v_cndmask_b32_e64 v2, 0, v2, s0
	v_cmp_gt_i32_e64 s0, s10, v25
	v_perm_b32 v2, v41, v2, 0x5040100
	s_delay_alu instid0(VALU_DEP_2) | instskip(SKIP_1) | instid1(VALU_DEP_1)
	v_cndmask_b32_e64 v10, 0, v10, s0
	v_cmp_gt_i32_e64 s0, s15, v24
	v_cndmask_b32_e64 v11, 0, v11, s0
	s_delay_alu instid0(VALU_DEP_1)
	v_perm_b32 v10, v10, v11, 0x5040100
.LBB328_477:                            ;   in Loop: Header=BB328_353 Depth=1
	s_or_b32 exec_lo, exec_lo, s13
	;;#ASMSTART
	v_pk_mul_f16 v11, v34, v38;

	;;#ASMEND
	;;#ASMSTART
	v_pk_mul_f16 v37, v33, v37;

	;;#ASMEND
	;; [unrolled: 4-line block ×4, first 2 shown]
	;;#ASMSTART
	v_pk_add_f16 v11, v11, v37;

	;;#ASMEND
	;;#ASMSTART
	v_pk_add_f16 v2, v11, v2;

	;;#ASMEND
	;; [unrolled: 4-line block ×3, first 2 shown]
	v_dual_mov_b32 v41, 0 :: v_dual_and_b32 v10, 0xffff, v2
	v_lshrrev_b32_e32 v2, 16, v2
	;;#ASMSTART
	v_cvt_f32_f16 v37, v10;
	;;#ASMEND
	;;#ASMSTART
	v_cvt_f32_f16 v38, v2;
	;;#ASMEND
	global_load_b64 v[10:11], v[8:9], off offset:512
	global_load_b32 v39, v3, s[6:7]
	v_mov_b32_e32 v40, 0
	s_mov_b32 s13, exec_lo
	s_waitcnt vmcnt(1)
	v_and_b32_e32 v2, 0xff, v10
	s_delay_alu instid0(VALU_DEP_1)
	v_cmpx_ne_u16_e32 0, v2
	s_cbranch_execz .LBB328_483
; %bb.478:                              ;   in Loop: Header=BB328_353 Depth=1
	v_bfrev_b32_e32 v40, 1
	s_mov_b32 s14, exec_lo
	v_cmpx_ne_u16_e32 0x80, v2
	s_cbranch_execz .LBB328_482
; %bb.479:                              ;   in Loop: Header=BB328_353 Depth=1
	v_and_b32_e32 v2, 0x7f, v10
	v_mov_b32_e32 v40, 0x7fc02000
	s_mov_b32 s16, exec_lo
	s_delay_alu instid0(VALU_DEP_2)
	v_cmpx_ne_u32_e32 0x7f, v2
	s_cbranch_execz .LBB328_481
; %bb.480:                              ;   in Loop: Header=BB328_353 Depth=1
	v_and_b32_e32 v40, 7, v10
	v_cmp_gt_u32_e64 s0, 8, v2
	v_lshrrev_b32_e32 v42, 3, v2
	s_delay_alu instid0(VALU_DEP_3) | instskip(NEXT) | instid1(VALU_DEP_1)
	v_clz_i32_u32_e32 v40, v40
	v_min_u32_e32 v40, 32, v40
	s_delay_alu instid0(VALU_DEP_1) | instskip(SKIP_1) | instid1(VALU_DEP_2)
	v_subrev_nc_u32_e32 v43, 28, v40
	v_sub_nc_u32_e32 v40, 29, v40
	v_cndmask_b32_e64 v2, 0, v43, s0
	s_delay_alu instid0(VALU_DEP_2) | instskip(NEXT) | instid1(VALU_DEP_2)
	v_cndmask_b32_e64 v40, v42, v40, s0
	v_lshlrev_b64 v[42:43], v2, v[10:11]
	v_lshlrev_b32_e32 v2, 8, v10
	s_delay_alu instid0(VALU_DEP_3) | instskip(NEXT) | instid1(VALU_DEP_3)
	v_lshl_add_u32 v40, v40, 10, 0x2000
	v_lshlrev_b32_e32 v42, 7, v42
	s_delay_alu instid0(VALU_DEP_2) | instskip(NEXT) | instid1(VALU_DEP_1)
	v_and_or_b32 v2, 0x8000, v2, v40
	v_and_or_b32 v2, 0x380, v42, v2
	s_delay_alu instid0(VALU_DEP_1)
	v_cvt_f32_f16_e32 v40, v2
.LBB328_481:                            ;   in Loop: Header=BB328_353 Depth=1
	s_or_b32 exec_lo, exec_lo, s16
.LBB328_482:                            ;   in Loop: Header=BB328_353 Depth=1
	s_delay_alu instid0(SALU_CYCLE_1)
	s_or_b32 exec_lo, exec_lo, s14
.LBB328_483:                            ;   in Loop: Header=BB328_353 Depth=1
	s_delay_alu instid0(SALU_CYCLE_1) | instskip(SKIP_2) | instid1(VALU_DEP_1)
	s_or_b32 exec_lo, exec_lo, s13
	v_lshrrev_b16 v2, 8, v10
	s_mov_b32 s13, exec_lo
	v_cmpx_ne_u16_e32 0, v2
	s_cbranch_execz .LBB328_491
; %bb.484:                              ;   in Loop: Header=BB328_353 Depth=1
	v_bfrev_b32_e32 v41, 1
	s_mov_b32 s14, exec_lo
	v_cmpx_ne_u16_e32 0x80, v2
	s_cbranch_execz .LBB328_490
; %bb.485:                              ;   in Loop: Header=BB328_353 Depth=1
	v_and_b32_e32 v42, 0xffff, v2
	v_mov_b32_e32 v41, 0x7fc02000
	s_mov_b32 s16, exec_lo
	s_delay_alu instid0(VALU_DEP_2) | instskip(NEXT) | instid1(VALU_DEP_1)
	v_and_b32_e32 v43, 0x7f, v42
	v_cmpx_ne_u32_e32 0x7f, v43
	s_cbranch_execz .LBB328_489
; %bb.486:                              ;   in Loop: Header=BB328_353 Depth=1
	v_and_b32_e32 v2, 7, v42
	v_lshrrev_b32_e32 v41, 3, v43
	s_mov_b32 s17, exec_lo
	v_cmpx_gt_u32_e32 8, v43
; %bb.487:                              ;   in Loop: Header=BB328_353 Depth=1
	s_delay_alu instid0(VALU_DEP_3) | instskip(NEXT) | instid1(VALU_DEP_1)
	v_clz_i32_u32_e32 v41, v2
	v_min_u32_e32 v41, 32, v41
	s_delay_alu instid0(VALU_DEP_1) | instskip(SKIP_1) | instid1(VALU_DEP_2)
	v_subrev_nc_u32_e32 v43, 28, v41
	v_sub_nc_u32_e32 v41, 29, v41
	v_lshlrev_b64 v[43:44], v43, v[2:3]
	s_delay_alu instid0(VALU_DEP_1)
	v_and_b32_e32 v2, 7, v43
; %bb.488:                              ;   in Loop: Header=BB328_353 Depth=1
	s_or_b32 exec_lo, exec_lo, s17
	v_lshlrev_b32_e32 v42, 8, v42
	v_lshl_add_u32 v41, v41, 10, 0x2000
	s_delay_alu instid0(VALU_DEP_1) | instskip(NEXT) | instid1(VALU_DEP_1)
	v_and_or_b32 v41, 0x8000, v42, v41
	v_lshl_or_b32 v2, v2, 7, v41
	s_delay_alu instid0(VALU_DEP_1)
	v_cvt_f32_f16_e32 v41, v2
.LBB328_489:                            ;   in Loop: Header=BB328_353 Depth=1
	s_or_b32 exec_lo, exec_lo, s16
.LBB328_490:                            ;   in Loop: Header=BB328_353 Depth=1
	s_delay_alu instid0(SALU_CYCLE_1)
	s_or_b32 exec_lo, exec_lo, s14
.LBB328_491:                            ;   in Loop: Header=BB328_353 Depth=1
	s_delay_alu instid0(SALU_CYCLE_1) | instskip(SKIP_3) | instid1(VALU_DEP_2)
	s_or_b32 exec_lo, exec_lo, s13
	v_lshrrev_b32_e32 v44, 16, v10
	v_mov_b32_e32 v42, 0
	s_mov_b32 s13, exec_lo
	v_dual_mov_b32 v43, 0 :: v_dual_and_b32 v2, 0xff, v44
	s_delay_alu instid0(VALU_DEP_1)
	v_cmpx_ne_u16_e32 0, v2
	s_cbranch_execz .LBB328_499
; %bb.492:                              ;   in Loop: Header=BB328_353 Depth=1
	v_bfrev_b32_e32 v42, 1
	s_mov_b32 s14, exec_lo
	v_cmpx_ne_u16_e32 0x80, v2
	s_cbranch_execz .LBB328_498
; %bb.493:                              ;   in Loop: Header=BB328_353 Depth=1
	v_bfe_u32 v45, v10, 16, 7
	v_mov_b32_e32 v42, 0x7fc02000
	s_mov_b32 s16, exec_lo
	s_delay_alu instid0(VALU_DEP_2)
	v_cmpx_ne_u32_e32 0x7f, v45
	s_cbranch_execz .LBB328_497
; %bb.494:                              ;   in Loop: Header=BB328_353 Depth=1
	v_and_b32_e32 v2, 7, v44
	v_lshrrev_b32_e32 v42, 3, v45
	s_mov_b32 s17, exec_lo
	v_cmpx_gt_u32_e32 8, v45
; %bb.495:                              ;   in Loop: Header=BB328_353 Depth=1
	s_delay_alu instid0(VALU_DEP_3) | instskip(NEXT) | instid1(VALU_DEP_1)
	v_clz_i32_u32_e32 v42, v2
	v_min_u32_e32 v42, 32, v42
	s_delay_alu instid0(VALU_DEP_1) | instskip(SKIP_1) | instid1(VALU_DEP_2)
	v_subrev_nc_u32_e32 v45, 28, v42
	v_sub_nc_u32_e32 v42, 29, v42
	v_lshlrev_b64 v[45:46], v45, v[2:3]
	s_delay_alu instid0(VALU_DEP_1)
	v_and_b32_e32 v2, 7, v45
; %bb.496:                              ;   in Loop: Header=BB328_353 Depth=1
	s_or_b32 exec_lo, exec_lo, s17
	v_lshlrev_b32_e32 v44, 8, v44
	v_lshl_add_u32 v42, v42, 10, 0x2000
	s_delay_alu instid0(VALU_DEP_1) | instskip(NEXT) | instid1(VALU_DEP_1)
	v_and_or_b32 v42, 0x8000, v44, v42
	v_lshl_or_b32 v2, v2, 7, v42
	s_delay_alu instid0(VALU_DEP_1)
	v_cvt_f32_f16_e32 v42, v2
.LBB328_497:                            ;   in Loop: Header=BB328_353 Depth=1
	s_or_b32 exec_lo, exec_lo, s16
.LBB328_498:                            ;   in Loop: Header=BB328_353 Depth=1
	s_delay_alu instid0(SALU_CYCLE_1)
	s_or_b32 exec_lo, exec_lo, s14
.LBB328_499:                            ;   in Loop: Header=BB328_353 Depth=1
	s_delay_alu instid0(SALU_CYCLE_1) | instskip(NEXT) | instid1(SALU_CYCLE_1)
	s_or_b32 exec_lo, exec_lo, s13
	s_mov_b32 s13, exec_lo
	v_cmpx_lt_u32_e32 0xffffff, v10
	s_cbranch_execz .LBB328_507
; %bb.500:                              ;   in Loop: Header=BB328_353 Depth=1
	v_lshrrev_b32_e32 v44, 24, v10
	v_bfrev_b32_e32 v43, 1
	s_mov_b32 s14, exec_lo
	s_delay_alu instid0(VALU_DEP_2)
	v_cmpx_ne_u32_e32 0x80, v44
	s_cbranch_execz .LBB328_506
; %bb.501:                              ;   in Loop: Header=BB328_353 Depth=1
	v_and_b32_e32 v45, 0x7f, v44
	v_mov_b32_e32 v43, 0x7fc02000
	s_mov_b32 s16, exec_lo
	s_delay_alu instid0(VALU_DEP_2)
	v_cmpx_ne_u32_e32 0x7f, v45
	s_cbranch_execz .LBB328_505
; %bb.502:                              ;   in Loop: Header=BB328_353 Depth=1
	v_and_b32_e32 v2, 7, v44
	v_lshrrev_b32_e32 v43, 3, v45
	s_mov_b32 s17, exec_lo
	v_cmpx_gt_u32_e32 8, v45
; %bb.503:                              ;   in Loop: Header=BB328_353 Depth=1
	s_delay_alu instid0(VALU_DEP_3) | instskip(NEXT) | instid1(VALU_DEP_1)
	v_clz_i32_u32_e32 v43, v2
	v_min_u32_e32 v43, 32, v43
	s_delay_alu instid0(VALU_DEP_1) | instskip(SKIP_1) | instid1(VALU_DEP_2)
	v_subrev_nc_u32_e32 v45, 28, v43
	v_sub_nc_u32_e32 v43, 29, v43
	v_lshlrev_b64 v[45:46], v45, v[2:3]
	s_delay_alu instid0(VALU_DEP_1)
	v_and_b32_e32 v2, 7, v45
; %bb.504:                              ;   in Loop: Header=BB328_353 Depth=1
	s_or_b32 exec_lo, exec_lo, s17
	v_lshlrev_b32_e32 v44, 8, v44
	v_lshl_add_u32 v43, v43, 10, 0x2000
	s_delay_alu instid0(VALU_DEP_1) | instskip(NEXT) | instid1(VALU_DEP_1)
	v_and_or_b32 v43, 0x8000, v44, v43
	v_lshl_or_b32 v2, v2, 7, v43
	s_delay_alu instid0(VALU_DEP_1)
	v_cvt_f32_f16_e32 v43, v2
.LBB328_505:                            ;   in Loop: Header=BB328_353 Depth=1
	s_or_b32 exec_lo, exec_lo, s16
.LBB328_506:                            ;   in Loop: Header=BB328_353 Depth=1
	s_delay_alu instid0(SALU_CYCLE_1)
	s_or_b32 exec_lo, exec_lo, s14
.LBB328_507:                            ;   in Loop: Header=BB328_353 Depth=1
	s_delay_alu instid0(SALU_CYCLE_1) | instskip(SKIP_4) | instid1(VALU_DEP_3)
	s_or_b32 exec_lo, exec_lo, s13
	v_dual_mov_b32 v45, 0 :: v_dual_and_b32 v46, 0xff, v11
	v_mov_b32_e32 v2, v11
	v_mov_b32_e32 v44, 0
	s_mov_b32 s13, exec_lo
	v_cmpx_ne_u16_e32 0, v46
	s_cbranch_execz .LBB328_513
; %bb.508:                              ;   in Loop: Header=BB328_353 Depth=1
	v_bfrev_b32_e32 v44, 1
	s_mov_b32 s14, exec_lo
	v_cmpx_ne_u16_e32 0x80, v46
	s_cbranch_execz .LBB328_512
; %bb.509:                              ;   in Loop: Header=BB328_353 Depth=1
	v_and_b32_e32 v46, 0x7f, v11
	v_mov_b32_e32 v44, 0x7fc02000
	s_mov_b32 s16, exec_lo
	s_delay_alu instid0(VALU_DEP_2)
	v_cmpx_ne_u32_e32 0x7f, v46
	s_cbranch_execz .LBB328_511
; %bb.510:                              ;   in Loop: Header=BB328_353 Depth=1
	v_and_b32_e32 v44, 7, v11
	v_cmp_gt_u32_e64 s0, 8, v46
	v_lshrrev_b32_e32 v47, 3, v46
	s_delay_alu instid0(VALU_DEP_3) | instskip(NEXT) | instid1(VALU_DEP_1)
	v_clz_i32_u32_e32 v44, v44
	v_min_u32_e32 v44, 32, v44
	s_delay_alu instid0(VALU_DEP_1) | instskip(SKIP_1) | instid1(VALU_DEP_2)
	v_subrev_nc_u32_e32 v48, 28, v44
	v_sub_nc_u32_e32 v44, 29, v44
	v_cndmask_b32_e64 v46, 0, v48, s0
	s_delay_alu instid0(VALU_DEP_2) | instskip(NEXT) | instid1(VALU_DEP_2)
	v_cndmask_b32_e64 v44, v47, v44, s0
	v_lshlrev_b64 v[46:47], v46, v[2:3]
	v_lshlrev_b32_e32 v47, 8, v11
	s_delay_alu instid0(VALU_DEP_3) | instskip(NEXT) | instid1(VALU_DEP_3)
	v_lshl_add_u32 v44, v44, 10, 0x2000
	v_lshlrev_b32_e32 v46, 7, v46
	s_delay_alu instid0(VALU_DEP_2) | instskip(NEXT) | instid1(VALU_DEP_1)
	v_and_or_b32 v44, 0x8000, v47, v44
	v_and_or_b32 v44, 0x380, v46, v44
	s_delay_alu instid0(VALU_DEP_1)
	v_cvt_f32_f16_e32 v44, v44
.LBB328_511:                            ;   in Loop: Header=BB328_353 Depth=1
	s_or_b32 exec_lo, exec_lo, s16
.LBB328_512:                            ;   in Loop: Header=BB328_353 Depth=1
	s_delay_alu instid0(SALU_CYCLE_1)
	s_or_b32 exec_lo, exec_lo, s14
.LBB328_513:                            ;   in Loop: Header=BB328_353 Depth=1
	s_delay_alu instid0(SALU_CYCLE_1) | instskip(SKIP_2) | instid1(VALU_DEP_1)
	s_or_b32 exec_lo, exec_lo, s13
	v_lshrrev_b16 v2, 8, v2
	s_mov_b32 s13, exec_lo
	v_cmpx_ne_u16_e32 0, v2
	s_cbranch_execz .LBB328_521
; %bb.514:                              ;   in Loop: Header=BB328_353 Depth=1
	v_bfrev_b32_e32 v45, 1
	s_mov_b32 s14, exec_lo
	v_cmpx_ne_u16_e32 0x80, v2
	s_cbranch_execz .LBB328_520
; %bb.515:                              ;   in Loop: Header=BB328_353 Depth=1
	v_and_b32_e32 v46, 0xffff, v2
	v_mov_b32_e32 v45, 0x7fc02000
	s_mov_b32 s16, exec_lo
	s_delay_alu instid0(VALU_DEP_2) | instskip(NEXT) | instid1(VALU_DEP_1)
	v_and_b32_e32 v47, 0x7f, v46
	v_cmpx_ne_u32_e32 0x7f, v47
	s_cbranch_execz .LBB328_519
; %bb.516:                              ;   in Loop: Header=BB328_353 Depth=1
	v_and_b32_e32 v2, 7, v46
	v_lshrrev_b32_e32 v45, 3, v47
	s_mov_b32 s17, exec_lo
	v_cmpx_gt_u32_e32 8, v47
; %bb.517:                              ;   in Loop: Header=BB328_353 Depth=1
	s_delay_alu instid0(VALU_DEP_3) | instskip(NEXT) | instid1(VALU_DEP_1)
	v_clz_i32_u32_e32 v45, v2
	v_min_u32_e32 v45, 32, v45
	s_delay_alu instid0(VALU_DEP_1) | instskip(SKIP_1) | instid1(VALU_DEP_2)
	v_subrev_nc_u32_e32 v47, 28, v45
	v_sub_nc_u32_e32 v45, 29, v45
	v_lshlrev_b64 v[47:48], v47, v[2:3]
	s_delay_alu instid0(VALU_DEP_1)
	v_and_b32_e32 v2, 7, v47
; %bb.518:                              ;   in Loop: Header=BB328_353 Depth=1
	s_or_b32 exec_lo, exec_lo, s17
	v_lshlrev_b32_e32 v46, 8, v46
	v_lshl_add_u32 v45, v45, 10, 0x2000
	s_delay_alu instid0(VALU_DEP_1) | instskip(NEXT) | instid1(VALU_DEP_1)
	v_and_or_b32 v45, 0x8000, v46, v45
	v_lshl_or_b32 v2, v2, 7, v45
	s_delay_alu instid0(VALU_DEP_1)
	v_cvt_f32_f16_e32 v45, v2
.LBB328_519:                            ;   in Loop: Header=BB328_353 Depth=1
	s_or_b32 exec_lo, exec_lo, s16
.LBB328_520:                            ;   in Loop: Header=BB328_353 Depth=1
	s_delay_alu instid0(SALU_CYCLE_1)
	s_or_b32 exec_lo, exec_lo, s14
.LBB328_521:                            ;   in Loop: Header=BB328_353 Depth=1
	s_delay_alu instid0(SALU_CYCLE_1) | instskip(SKIP_3) | instid1(VALU_DEP_2)
	s_or_b32 exec_lo, exec_lo, s13
	v_lshrrev_b32_e32 v48, 16, v11
	v_mov_b32_e32 v46, 0
	s_mov_b32 s13, exec_lo
	v_dual_mov_b32 v47, 0 :: v_dual_and_b32 v2, 0xff, v48
	s_delay_alu instid0(VALU_DEP_1)
	v_cmpx_ne_u16_e32 0, v2
	s_cbranch_execz .LBB328_529
; %bb.522:                              ;   in Loop: Header=BB328_353 Depth=1
	v_bfrev_b32_e32 v46, 1
	s_mov_b32 s14, exec_lo
	v_cmpx_ne_u16_e32 0x80, v2
	s_cbranch_execz .LBB328_528
; %bb.523:                              ;   in Loop: Header=BB328_353 Depth=1
	v_bfe_u32 v49, v11, 16, 7
	v_mov_b32_e32 v46, 0x7fc02000
	s_mov_b32 s16, exec_lo
	s_delay_alu instid0(VALU_DEP_2)
	v_cmpx_ne_u32_e32 0x7f, v49
	s_cbranch_execz .LBB328_527
; %bb.524:                              ;   in Loop: Header=BB328_353 Depth=1
	v_and_b32_e32 v2, 7, v48
	v_lshrrev_b32_e32 v46, 3, v49
	s_mov_b32 s17, exec_lo
	v_cmpx_gt_u32_e32 8, v49
; %bb.525:                              ;   in Loop: Header=BB328_353 Depth=1
	s_delay_alu instid0(VALU_DEP_3) | instskip(NEXT) | instid1(VALU_DEP_1)
	v_clz_i32_u32_e32 v46, v2
	v_min_u32_e32 v46, 32, v46
	s_delay_alu instid0(VALU_DEP_1) | instskip(SKIP_1) | instid1(VALU_DEP_2)
	v_subrev_nc_u32_e32 v49, 28, v46
	v_sub_nc_u32_e32 v46, 29, v46
	v_lshlrev_b64 v[49:50], v49, v[2:3]
	s_delay_alu instid0(VALU_DEP_1)
	v_and_b32_e32 v2, 7, v49
; %bb.526:                              ;   in Loop: Header=BB328_353 Depth=1
	s_or_b32 exec_lo, exec_lo, s17
	v_lshlrev_b32_e32 v48, 8, v48
	v_lshl_add_u32 v46, v46, 10, 0x2000
	s_delay_alu instid0(VALU_DEP_1) | instskip(NEXT) | instid1(VALU_DEP_1)
	v_and_or_b32 v46, 0x8000, v48, v46
	v_lshl_or_b32 v2, v2, 7, v46
	s_delay_alu instid0(VALU_DEP_1)
	v_cvt_f32_f16_e32 v46, v2
.LBB328_527:                            ;   in Loop: Header=BB328_353 Depth=1
	s_or_b32 exec_lo, exec_lo, s16
.LBB328_528:                            ;   in Loop: Header=BB328_353 Depth=1
	s_delay_alu instid0(SALU_CYCLE_1)
	s_or_b32 exec_lo, exec_lo, s14
.LBB328_529:                            ;   in Loop: Header=BB328_353 Depth=1
	s_delay_alu instid0(SALU_CYCLE_1) | instskip(NEXT) | instid1(SALU_CYCLE_1)
	s_or_b32 exec_lo, exec_lo, s13
	s_mov_b32 s13, exec_lo
	v_cmpx_lt_u64_e64 s[2:3], v[10:11]
	s_cbranch_execz .LBB328_537
; %bb.530:                              ;   in Loop: Header=BB328_353 Depth=1
	v_lshrrev_b32_e32 v10, 24, v11
	v_bfrev_b32_e32 v47, 1
	s_mov_b32 s14, exec_lo
	s_delay_alu instid0(VALU_DEP_2)
	v_cmpx_ne_u32_e32 0x80, v10
	s_cbranch_execz .LBB328_536
; %bb.531:                              ;   in Loop: Header=BB328_353 Depth=1
	v_and_b32_e32 v48, 0x7f, v10
	v_mov_b32_e32 v47, 0x7fc02000
	s_mov_b32 s16, exec_lo
	s_delay_alu instid0(VALU_DEP_2)
	v_cmpx_ne_u32_e32 0x7f, v48
	s_cbranch_execz .LBB328_535
; %bb.532:                              ;   in Loop: Header=BB328_353 Depth=1
	v_and_b32_e32 v2, 7, v10
	v_lshrrev_b32_e32 v11, 3, v48
	s_mov_b32 s17, exec_lo
	v_cmpx_gt_u32_e32 8, v48
; %bb.533:                              ;   in Loop: Header=BB328_353 Depth=1
	s_delay_alu instid0(VALU_DEP_3) | instskip(NEXT) | instid1(VALU_DEP_1)
	v_clz_i32_u32_e32 v11, v2
	v_min_u32_e32 v11, 32, v11
	s_delay_alu instid0(VALU_DEP_1) | instskip(SKIP_1) | instid1(VALU_DEP_2)
	v_subrev_nc_u32_e32 v47, 28, v11
	v_sub_nc_u32_e32 v11, 29, v11
	v_lshlrev_b64 v[47:48], v47, v[2:3]
	s_delay_alu instid0(VALU_DEP_1)
	v_and_b32_e32 v2, 7, v47
; %bb.534:                              ;   in Loop: Header=BB328_353 Depth=1
	s_or_b32 exec_lo, exec_lo, s17
	v_lshlrev_b32_e32 v10, 8, v10
	v_lshl_add_u32 v11, v11, 10, 0x2000
	s_delay_alu instid0(VALU_DEP_1) | instskip(NEXT) | instid1(VALU_DEP_1)
	v_and_or_b32 v10, 0x8000, v10, v11
	v_lshl_or_b32 v2, v2, 7, v10
	s_delay_alu instid0(VALU_DEP_1)
	v_cvt_f32_f16_e32 v47, v2
.LBB328_535:                            ;   in Loop: Header=BB328_353 Depth=1
	s_or_b32 exec_lo, exec_lo, s16
.LBB328_536:                            ;   in Loop: Header=BB328_353 Depth=1
	s_delay_alu instid0(SALU_CYCLE_1)
	s_or_b32 exec_lo, exec_lo, s14
.LBB328_537:                            ;   in Loop: Header=BB328_353 Depth=1
	s_delay_alu instid0(SALU_CYCLE_1)
	s_or_b32 exec_lo, exec_lo, s13
	s_waitcnt vmcnt(0)
	v_fma_mixlo_f16 v11, v39, v41, 0
	v_fma_mixlo_f16 v2, v39, v43, 0
	;; [unrolled: 1-line block ×5, first 2 shown]
	v_lshlrev_b32_e32 v41, 16, v11
	v_fma_mixlo_f16 v43, v39, v44, 0
	v_fma_mixlo_f16 v44, v39, v47, 0
	;; [unrolled: 1-line block ×3, first 2 shown]
	v_lshlrev_b32_e32 v2, 16, v2
	v_and_b32_e32 v10, 0xffff, v10
	v_and_b32_e32 v40, 0xffff, v40
	v_lshlrev_b32_e32 v42, 16, v42
	v_and_b32_e32 v43, 0xffff, v43
	v_lshlrev_b32_e32 v44, 16, v44
	v_and_b32_e32 v45, 0xffff, v11
	v_or_b32_e32 v39, v2, v10
	v_or_b32_e32 v40, v41, v40
	v_or_b32_e32 v2, v42, v43
	s_delay_alu instid0(VALU_DEP_4)
	v_or_b32_e32 v10, v44, v45
	s_and_saveexec_b32 s13, vcc_lo
	s_cbranch_execz .LBB328_539
; %bb.538:                              ;   in Loop: Header=BB328_353 Depth=1
	v_cmp_gt_i32_e64 s0, s15, v15
	v_lshrrev_b32_e32 v41, 16, v40
	v_lshrrev_b32_e32 v42, 16, v39
	;; [unrolled: 1-line block ×4, first 2 shown]
	v_cndmask_b32_e64 v40, 0, v40, s0
	v_cmp_gt_i32_e64 s0, s10, v30
	s_delay_alu instid0(VALU_DEP_1) | instskip(SKIP_1) | instid1(VALU_DEP_2)
	v_cndmask_b32_e64 v41, 0, v41, s0
	v_cmp_gt_i32_e64 s0, s10, v29
	v_perm_b32 v40, v41, v40, 0x5040100
	s_delay_alu instid0(VALU_DEP_2) | instskip(SKIP_1) | instid1(VALU_DEP_1)
	v_cndmask_b32_e64 v42, 0, v42, s0
	v_cmp_gt_i32_e64 s0, s15, v28
	v_cndmask_b32_e64 v39, 0, v39, s0
	v_cmp_gt_i32_e64 s0, s10, v27
	s_delay_alu instid0(VALU_DEP_2) | instskip(NEXT) | instid1(VALU_DEP_2)
	v_perm_b32 v39, v42, v39, 0x5040100
	v_cndmask_b32_e64 v43, 0, v43, s0
	v_cmp_gt_i32_e64 s0, s15, v26
	s_delay_alu instid0(VALU_DEP_1) | instskip(SKIP_1) | instid1(VALU_DEP_2)
	v_cndmask_b32_e64 v2, 0, v2, s0
	v_cmp_gt_i32_e64 s0, s10, v25
	v_perm_b32 v2, v43, v2, 0x5040100
	s_delay_alu instid0(VALU_DEP_2) | instskip(SKIP_1) | instid1(VALU_DEP_1)
	v_cndmask_b32_e64 v10, 0, v10, s0
	v_cmp_gt_i32_e64 s0, s15, v24
	v_cndmask_b32_e64 v11, 0, v11, s0
	s_delay_alu instid0(VALU_DEP_1)
	v_perm_b32 v10, v10, v11, 0x5040100
.LBB328_539:                            ;   in Loop: Header=BB328_353 Depth=1
	s_or_b32 exec_lo, exec_lo, s13
	;;#ASMSTART
	v_pk_mul_f16 v11, v34, v40;

	;;#ASMEND
	;;#ASMSTART
	v_pk_mul_f16 v39, v33, v39;

	;;#ASMEND
	;; [unrolled: 4-line block ×4, first 2 shown]
	;;#ASMSTART
	v_pk_add_f16 v11, v11, v39;

	;;#ASMEND
	;;#ASMSTART
	v_pk_add_f16 v2, v11, v2;

	;;#ASMEND
	;; [unrolled: 4-line block ×3, first 2 shown]
	v_dual_mov_b32 v43, 0 :: v_dual_and_b32 v10, 0xffff, v2
	v_lshrrev_b32_e32 v2, 16, v2
	;;#ASMSTART
	v_cvt_f32_f16 v39, v10;
	;;#ASMEND
	;;#ASMSTART
	v_cvt_f32_f16 v40, v2;
	;;#ASMEND
	global_load_b64 v[10:11], v[8:9], off offset:768
	global_load_b32 v41, v3, s[6:7]
	v_mov_b32_e32 v42, 0
	s_mov_b32 s13, exec_lo
	s_waitcnt vmcnt(1)
	v_and_b32_e32 v2, 0xff, v10
	s_delay_alu instid0(VALU_DEP_1)
	v_cmpx_ne_u16_e32 0, v2
	s_cbranch_execz .LBB328_545
; %bb.540:                              ;   in Loop: Header=BB328_353 Depth=1
	v_bfrev_b32_e32 v42, 1
	s_mov_b32 s14, exec_lo
	v_cmpx_ne_u16_e32 0x80, v2
	s_cbranch_execz .LBB328_544
; %bb.541:                              ;   in Loop: Header=BB328_353 Depth=1
	v_and_b32_e32 v2, 0x7f, v10
	v_mov_b32_e32 v42, 0x7fc02000
	s_mov_b32 s16, exec_lo
	s_delay_alu instid0(VALU_DEP_2)
	v_cmpx_ne_u32_e32 0x7f, v2
	s_cbranch_execz .LBB328_543
; %bb.542:                              ;   in Loop: Header=BB328_353 Depth=1
	v_and_b32_e32 v42, 7, v10
	v_cmp_gt_u32_e64 s0, 8, v2
	v_lshrrev_b32_e32 v44, 3, v2
	s_delay_alu instid0(VALU_DEP_3) | instskip(NEXT) | instid1(VALU_DEP_1)
	v_clz_i32_u32_e32 v42, v42
	v_min_u32_e32 v42, 32, v42
	s_delay_alu instid0(VALU_DEP_1) | instskip(SKIP_1) | instid1(VALU_DEP_2)
	v_subrev_nc_u32_e32 v45, 28, v42
	v_sub_nc_u32_e32 v42, 29, v42
	v_cndmask_b32_e64 v2, 0, v45, s0
	s_delay_alu instid0(VALU_DEP_2) | instskip(NEXT) | instid1(VALU_DEP_2)
	v_cndmask_b32_e64 v42, v44, v42, s0
	v_lshlrev_b64 v[44:45], v2, v[10:11]
	v_lshlrev_b32_e32 v2, 8, v10
	s_delay_alu instid0(VALU_DEP_3) | instskip(NEXT) | instid1(VALU_DEP_3)
	v_lshl_add_u32 v42, v42, 10, 0x2000
	v_lshlrev_b32_e32 v44, 7, v44
	s_delay_alu instid0(VALU_DEP_2) | instskip(NEXT) | instid1(VALU_DEP_1)
	v_and_or_b32 v2, 0x8000, v2, v42
	v_and_or_b32 v2, 0x380, v44, v2
	s_delay_alu instid0(VALU_DEP_1)
	v_cvt_f32_f16_e32 v42, v2
.LBB328_543:                            ;   in Loop: Header=BB328_353 Depth=1
	s_or_b32 exec_lo, exec_lo, s16
.LBB328_544:                            ;   in Loop: Header=BB328_353 Depth=1
	s_delay_alu instid0(SALU_CYCLE_1)
	s_or_b32 exec_lo, exec_lo, s14
.LBB328_545:                            ;   in Loop: Header=BB328_353 Depth=1
	s_delay_alu instid0(SALU_CYCLE_1) | instskip(SKIP_2) | instid1(VALU_DEP_1)
	s_or_b32 exec_lo, exec_lo, s13
	v_lshrrev_b16 v2, 8, v10
	s_mov_b32 s13, exec_lo
	v_cmpx_ne_u16_e32 0, v2
	s_cbranch_execz .LBB328_553
; %bb.546:                              ;   in Loop: Header=BB328_353 Depth=1
	v_bfrev_b32_e32 v43, 1
	s_mov_b32 s14, exec_lo
	v_cmpx_ne_u16_e32 0x80, v2
	s_cbranch_execz .LBB328_552
; %bb.547:                              ;   in Loop: Header=BB328_353 Depth=1
	v_and_b32_e32 v44, 0xffff, v2
	v_mov_b32_e32 v43, 0x7fc02000
	s_mov_b32 s16, exec_lo
	s_delay_alu instid0(VALU_DEP_2) | instskip(NEXT) | instid1(VALU_DEP_1)
	v_and_b32_e32 v45, 0x7f, v44
	v_cmpx_ne_u32_e32 0x7f, v45
	s_cbranch_execz .LBB328_551
; %bb.548:                              ;   in Loop: Header=BB328_353 Depth=1
	v_and_b32_e32 v2, 7, v44
	v_lshrrev_b32_e32 v43, 3, v45
	s_mov_b32 s17, exec_lo
	v_cmpx_gt_u32_e32 8, v45
; %bb.549:                              ;   in Loop: Header=BB328_353 Depth=1
	s_delay_alu instid0(VALU_DEP_3) | instskip(NEXT) | instid1(VALU_DEP_1)
	v_clz_i32_u32_e32 v43, v2
	v_min_u32_e32 v43, 32, v43
	s_delay_alu instid0(VALU_DEP_1) | instskip(SKIP_1) | instid1(VALU_DEP_2)
	v_subrev_nc_u32_e32 v45, 28, v43
	v_sub_nc_u32_e32 v43, 29, v43
	v_lshlrev_b64 v[45:46], v45, v[2:3]
	s_delay_alu instid0(VALU_DEP_1)
	v_and_b32_e32 v2, 7, v45
; %bb.550:                              ;   in Loop: Header=BB328_353 Depth=1
	s_or_b32 exec_lo, exec_lo, s17
	v_lshlrev_b32_e32 v44, 8, v44
	v_lshl_add_u32 v43, v43, 10, 0x2000
	s_delay_alu instid0(VALU_DEP_1) | instskip(NEXT) | instid1(VALU_DEP_1)
	v_and_or_b32 v43, 0x8000, v44, v43
	v_lshl_or_b32 v2, v2, 7, v43
	s_delay_alu instid0(VALU_DEP_1)
	v_cvt_f32_f16_e32 v43, v2
.LBB328_551:                            ;   in Loop: Header=BB328_353 Depth=1
	s_or_b32 exec_lo, exec_lo, s16
.LBB328_552:                            ;   in Loop: Header=BB328_353 Depth=1
	s_delay_alu instid0(SALU_CYCLE_1)
	s_or_b32 exec_lo, exec_lo, s14
.LBB328_553:                            ;   in Loop: Header=BB328_353 Depth=1
	s_delay_alu instid0(SALU_CYCLE_1) | instskip(SKIP_3) | instid1(VALU_DEP_2)
	s_or_b32 exec_lo, exec_lo, s13
	v_lshrrev_b32_e32 v46, 16, v10
	v_mov_b32_e32 v44, 0
	s_mov_b32 s13, exec_lo
	v_dual_mov_b32 v45, 0 :: v_dual_and_b32 v2, 0xff, v46
	s_delay_alu instid0(VALU_DEP_1)
	v_cmpx_ne_u16_e32 0, v2
	s_cbranch_execz .LBB328_561
; %bb.554:                              ;   in Loop: Header=BB328_353 Depth=1
	v_bfrev_b32_e32 v44, 1
	s_mov_b32 s14, exec_lo
	v_cmpx_ne_u16_e32 0x80, v2
	s_cbranch_execz .LBB328_560
; %bb.555:                              ;   in Loop: Header=BB328_353 Depth=1
	v_bfe_u32 v47, v10, 16, 7
	v_mov_b32_e32 v44, 0x7fc02000
	s_mov_b32 s16, exec_lo
	s_delay_alu instid0(VALU_DEP_2)
	v_cmpx_ne_u32_e32 0x7f, v47
	s_cbranch_execz .LBB328_559
; %bb.556:                              ;   in Loop: Header=BB328_353 Depth=1
	v_and_b32_e32 v2, 7, v46
	v_lshrrev_b32_e32 v44, 3, v47
	s_mov_b32 s17, exec_lo
	v_cmpx_gt_u32_e32 8, v47
; %bb.557:                              ;   in Loop: Header=BB328_353 Depth=1
	s_delay_alu instid0(VALU_DEP_3) | instskip(NEXT) | instid1(VALU_DEP_1)
	v_clz_i32_u32_e32 v44, v2
	v_min_u32_e32 v44, 32, v44
	s_delay_alu instid0(VALU_DEP_1) | instskip(SKIP_1) | instid1(VALU_DEP_2)
	v_subrev_nc_u32_e32 v47, 28, v44
	v_sub_nc_u32_e32 v44, 29, v44
	v_lshlrev_b64 v[47:48], v47, v[2:3]
	s_delay_alu instid0(VALU_DEP_1)
	v_and_b32_e32 v2, 7, v47
; %bb.558:                              ;   in Loop: Header=BB328_353 Depth=1
	s_or_b32 exec_lo, exec_lo, s17
	v_lshlrev_b32_e32 v46, 8, v46
	v_lshl_add_u32 v44, v44, 10, 0x2000
	s_delay_alu instid0(VALU_DEP_1) | instskip(NEXT) | instid1(VALU_DEP_1)
	v_and_or_b32 v44, 0x8000, v46, v44
	v_lshl_or_b32 v2, v2, 7, v44
	s_delay_alu instid0(VALU_DEP_1)
	v_cvt_f32_f16_e32 v44, v2
.LBB328_559:                            ;   in Loop: Header=BB328_353 Depth=1
	s_or_b32 exec_lo, exec_lo, s16
.LBB328_560:                            ;   in Loop: Header=BB328_353 Depth=1
	s_delay_alu instid0(SALU_CYCLE_1)
	s_or_b32 exec_lo, exec_lo, s14
.LBB328_561:                            ;   in Loop: Header=BB328_353 Depth=1
	s_delay_alu instid0(SALU_CYCLE_1) | instskip(NEXT) | instid1(SALU_CYCLE_1)
	s_or_b32 exec_lo, exec_lo, s13
	s_mov_b32 s13, exec_lo
	v_cmpx_lt_u32_e32 0xffffff, v10
	s_cbranch_execz .LBB328_569
; %bb.562:                              ;   in Loop: Header=BB328_353 Depth=1
	v_lshrrev_b32_e32 v46, 24, v10
	v_bfrev_b32_e32 v45, 1
	s_mov_b32 s14, exec_lo
	s_delay_alu instid0(VALU_DEP_2)
	v_cmpx_ne_u32_e32 0x80, v46
	s_cbranch_execz .LBB328_568
; %bb.563:                              ;   in Loop: Header=BB328_353 Depth=1
	v_and_b32_e32 v47, 0x7f, v46
	v_mov_b32_e32 v45, 0x7fc02000
	s_mov_b32 s16, exec_lo
	s_delay_alu instid0(VALU_DEP_2)
	v_cmpx_ne_u32_e32 0x7f, v47
	s_cbranch_execz .LBB328_567
; %bb.564:                              ;   in Loop: Header=BB328_353 Depth=1
	v_and_b32_e32 v2, 7, v46
	v_lshrrev_b32_e32 v45, 3, v47
	s_mov_b32 s17, exec_lo
	v_cmpx_gt_u32_e32 8, v47
; %bb.565:                              ;   in Loop: Header=BB328_353 Depth=1
	s_delay_alu instid0(VALU_DEP_3) | instskip(NEXT) | instid1(VALU_DEP_1)
	v_clz_i32_u32_e32 v45, v2
	v_min_u32_e32 v45, 32, v45
	s_delay_alu instid0(VALU_DEP_1) | instskip(SKIP_1) | instid1(VALU_DEP_2)
	v_subrev_nc_u32_e32 v47, 28, v45
	v_sub_nc_u32_e32 v45, 29, v45
	v_lshlrev_b64 v[47:48], v47, v[2:3]
	s_delay_alu instid0(VALU_DEP_1)
	v_and_b32_e32 v2, 7, v47
; %bb.566:                              ;   in Loop: Header=BB328_353 Depth=1
	s_or_b32 exec_lo, exec_lo, s17
	v_lshlrev_b32_e32 v46, 8, v46
	v_lshl_add_u32 v45, v45, 10, 0x2000
	s_delay_alu instid0(VALU_DEP_1) | instskip(NEXT) | instid1(VALU_DEP_1)
	v_and_or_b32 v45, 0x8000, v46, v45
	v_lshl_or_b32 v2, v2, 7, v45
	s_delay_alu instid0(VALU_DEP_1)
	v_cvt_f32_f16_e32 v45, v2
.LBB328_567:                            ;   in Loop: Header=BB328_353 Depth=1
	s_or_b32 exec_lo, exec_lo, s16
.LBB328_568:                            ;   in Loop: Header=BB328_353 Depth=1
	s_delay_alu instid0(SALU_CYCLE_1)
	s_or_b32 exec_lo, exec_lo, s14
.LBB328_569:                            ;   in Loop: Header=BB328_353 Depth=1
	s_delay_alu instid0(SALU_CYCLE_1) | instskip(SKIP_4) | instid1(VALU_DEP_3)
	s_or_b32 exec_lo, exec_lo, s13
	v_dual_mov_b32 v47, 0 :: v_dual_and_b32 v48, 0xff, v11
	v_mov_b32_e32 v2, v11
	v_mov_b32_e32 v46, 0
	s_mov_b32 s13, exec_lo
	v_cmpx_ne_u16_e32 0, v48
	s_cbranch_execz .LBB328_575
; %bb.570:                              ;   in Loop: Header=BB328_353 Depth=1
	v_bfrev_b32_e32 v46, 1
	s_mov_b32 s14, exec_lo
	v_cmpx_ne_u16_e32 0x80, v48
	s_cbranch_execz .LBB328_574
; %bb.571:                              ;   in Loop: Header=BB328_353 Depth=1
	v_and_b32_e32 v48, 0x7f, v11
	v_mov_b32_e32 v46, 0x7fc02000
	s_mov_b32 s16, exec_lo
	s_delay_alu instid0(VALU_DEP_2)
	v_cmpx_ne_u32_e32 0x7f, v48
	s_cbranch_execz .LBB328_573
; %bb.572:                              ;   in Loop: Header=BB328_353 Depth=1
	v_and_b32_e32 v46, 7, v11
	v_cmp_gt_u32_e64 s0, 8, v48
	v_lshrrev_b32_e32 v49, 3, v48
	s_delay_alu instid0(VALU_DEP_3) | instskip(NEXT) | instid1(VALU_DEP_1)
	v_clz_i32_u32_e32 v46, v46
	v_min_u32_e32 v46, 32, v46
	s_delay_alu instid0(VALU_DEP_1) | instskip(SKIP_1) | instid1(VALU_DEP_2)
	v_subrev_nc_u32_e32 v50, 28, v46
	v_sub_nc_u32_e32 v46, 29, v46
	v_cndmask_b32_e64 v48, 0, v50, s0
	s_delay_alu instid0(VALU_DEP_2) | instskip(NEXT) | instid1(VALU_DEP_2)
	v_cndmask_b32_e64 v46, v49, v46, s0
	v_lshlrev_b64 v[48:49], v48, v[2:3]
	v_lshlrev_b32_e32 v49, 8, v11
	s_delay_alu instid0(VALU_DEP_3) | instskip(NEXT) | instid1(VALU_DEP_3)
	v_lshl_add_u32 v46, v46, 10, 0x2000
	v_lshlrev_b32_e32 v48, 7, v48
	s_delay_alu instid0(VALU_DEP_2) | instskip(NEXT) | instid1(VALU_DEP_1)
	v_and_or_b32 v46, 0x8000, v49, v46
	v_and_or_b32 v46, 0x380, v48, v46
	s_delay_alu instid0(VALU_DEP_1)
	v_cvt_f32_f16_e32 v46, v46
.LBB328_573:                            ;   in Loop: Header=BB328_353 Depth=1
	s_or_b32 exec_lo, exec_lo, s16
.LBB328_574:                            ;   in Loop: Header=BB328_353 Depth=1
	s_delay_alu instid0(SALU_CYCLE_1)
	s_or_b32 exec_lo, exec_lo, s14
.LBB328_575:                            ;   in Loop: Header=BB328_353 Depth=1
	s_delay_alu instid0(SALU_CYCLE_1) | instskip(SKIP_2) | instid1(VALU_DEP_1)
	s_or_b32 exec_lo, exec_lo, s13
	v_lshrrev_b16 v2, 8, v2
	s_mov_b32 s13, exec_lo
	v_cmpx_ne_u16_e32 0, v2
	s_cbranch_execz .LBB328_583
; %bb.576:                              ;   in Loop: Header=BB328_353 Depth=1
	v_bfrev_b32_e32 v47, 1
	s_mov_b32 s14, exec_lo
	v_cmpx_ne_u16_e32 0x80, v2
	s_cbranch_execz .LBB328_582
; %bb.577:                              ;   in Loop: Header=BB328_353 Depth=1
	v_and_b32_e32 v48, 0xffff, v2
	v_mov_b32_e32 v47, 0x7fc02000
	s_mov_b32 s16, exec_lo
	s_delay_alu instid0(VALU_DEP_2) | instskip(NEXT) | instid1(VALU_DEP_1)
	v_and_b32_e32 v49, 0x7f, v48
	v_cmpx_ne_u32_e32 0x7f, v49
	s_cbranch_execz .LBB328_581
; %bb.578:                              ;   in Loop: Header=BB328_353 Depth=1
	v_and_b32_e32 v2, 7, v48
	v_lshrrev_b32_e32 v47, 3, v49
	s_mov_b32 s17, exec_lo
	v_cmpx_gt_u32_e32 8, v49
; %bb.579:                              ;   in Loop: Header=BB328_353 Depth=1
	s_delay_alu instid0(VALU_DEP_3) | instskip(NEXT) | instid1(VALU_DEP_1)
	v_clz_i32_u32_e32 v47, v2
	v_min_u32_e32 v47, 32, v47
	s_delay_alu instid0(VALU_DEP_1) | instskip(SKIP_1) | instid1(VALU_DEP_2)
	v_subrev_nc_u32_e32 v49, 28, v47
	v_sub_nc_u32_e32 v47, 29, v47
	v_lshlrev_b64 v[49:50], v49, v[2:3]
	s_delay_alu instid0(VALU_DEP_1)
	v_and_b32_e32 v2, 7, v49
; %bb.580:                              ;   in Loop: Header=BB328_353 Depth=1
	s_or_b32 exec_lo, exec_lo, s17
	v_lshlrev_b32_e32 v48, 8, v48
	v_lshl_add_u32 v47, v47, 10, 0x2000
	s_delay_alu instid0(VALU_DEP_1) | instskip(NEXT) | instid1(VALU_DEP_1)
	v_and_or_b32 v47, 0x8000, v48, v47
	v_lshl_or_b32 v2, v2, 7, v47
	s_delay_alu instid0(VALU_DEP_1)
	v_cvt_f32_f16_e32 v47, v2
.LBB328_581:                            ;   in Loop: Header=BB328_353 Depth=1
	s_or_b32 exec_lo, exec_lo, s16
.LBB328_582:                            ;   in Loop: Header=BB328_353 Depth=1
	s_delay_alu instid0(SALU_CYCLE_1)
	s_or_b32 exec_lo, exec_lo, s14
.LBB328_583:                            ;   in Loop: Header=BB328_353 Depth=1
	s_delay_alu instid0(SALU_CYCLE_1) | instskip(SKIP_3) | instid1(VALU_DEP_2)
	s_or_b32 exec_lo, exec_lo, s13
	v_lshrrev_b32_e32 v50, 16, v11
	v_mov_b32_e32 v48, 0
	s_mov_b32 s13, exec_lo
	v_dual_mov_b32 v49, 0 :: v_dual_and_b32 v2, 0xff, v50
	s_delay_alu instid0(VALU_DEP_1)
	v_cmpx_ne_u16_e32 0, v2
	s_cbranch_execz .LBB328_591
; %bb.584:                              ;   in Loop: Header=BB328_353 Depth=1
	v_bfrev_b32_e32 v48, 1
	s_mov_b32 s14, exec_lo
	v_cmpx_ne_u16_e32 0x80, v2
	s_cbranch_execz .LBB328_590
; %bb.585:                              ;   in Loop: Header=BB328_353 Depth=1
	v_bfe_u32 v51, v11, 16, 7
	v_mov_b32_e32 v48, 0x7fc02000
	s_mov_b32 s16, exec_lo
	s_delay_alu instid0(VALU_DEP_2)
	v_cmpx_ne_u32_e32 0x7f, v51
	s_cbranch_execz .LBB328_589
; %bb.586:                              ;   in Loop: Header=BB328_353 Depth=1
	v_and_b32_e32 v2, 7, v50
	v_lshrrev_b32_e32 v48, 3, v51
	s_mov_b32 s17, exec_lo
	v_cmpx_gt_u32_e32 8, v51
; %bb.587:                              ;   in Loop: Header=BB328_353 Depth=1
	s_delay_alu instid0(VALU_DEP_3) | instskip(NEXT) | instid1(VALU_DEP_1)
	v_clz_i32_u32_e32 v48, v2
	v_min_u32_e32 v48, 32, v48
	s_delay_alu instid0(VALU_DEP_1) | instskip(SKIP_1) | instid1(VALU_DEP_2)
	v_subrev_nc_u32_e32 v51, 28, v48
	v_sub_nc_u32_e32 v48, 29, v48
	v_lshlrev_b64 v[51:52], v51, v[2:3]
	s_delay_alu instid0(VALU_DEP_1)
	v_and_b32_e32 v2, 7, v51
; %bb.588:                              ;   in Loop: Header=BB328_353 Depth=1
	s_or_b32 exec_lo, exec_lo, s17
	v_lshlrev_b32_e32 v50, 8, v50
	v_lshl_add_u32 v48, v48, 10, 0x2000
	s_delay_alu instid0(VALU_DEP_1) | instskip(NEXT) | instid1(VALU_DEP_1)
	v_and_or_b32 v48, 0x8000, v50, v48
	v_lshl_or_b32 v2, v2, 7, v48
	s_delay_alu instid0(VALU_DEP_1)
	v_cvt_f32_f16_e32 v48, v2
.LBB328_589:                            ;   in Loop: Header=BB328_353 Depth=1
	s_or_b32 exec_lo, exec_lo, s16
.LBB328_590:                            ;   in Loop: Header=BB328_353 Depth=1
	s_delay_alu instid0(SALU_CYCLE_1)
	s_or_b32 exec_lo, exec_lo, s14
.LBB328_591:                            ;   in Loop: Header=BB328_353 Depth=1
	s_delay_alu instid0(SALU_CYCLE_1) | instskip(NEXT) | instid1(SALU_CYCLE_1)
	s_or_b32 exec_lo, exec_lo, s13
	s_mov_b32 s13, exec_lo
	v_cmpx_lt_u64_e64 s[2:3], v[10:11]
	s_cbranch_execz .LBB328_599
; %bb.592:                              ;   in Loop: Header=BB328_353 Depth=1
	v_lshrrev_b32_e32 v10, 24, v11
	v_bfrev_b32_e32 v49, 1
	s_mov_b32 s14, exec_lo
	s_delay_alu instid0(VALU_DEP_2)
	v_cmpx_ne_u32_e32 0x80, v10
	s_cbranch_execz .LBB328_598
; %bb.593:                              ;   in Loop: Header=BB328_353 Depth=1
	v_and_b32_e32 v50, 0x7f, v10
	v_mov_b32_e32 v49, 0x7fc02000
	s_mov_b32 s16, exec_lo
	s_delay_alu instid0(VALU_DEP_2)
	v_cmpx_ne_u32_e32 0x7f, v50
	s_cbranch_execz .LBB328_597
; %bb.594:                              ;   in Loop: Header=BB328_353 Depth=1
	v_and_b32_e32 v2, 7, v10
	v_lshrrev_b32_e32 v11, 3, v50
	s_mov_b32 s17, exec_lo
	v_cmpx_gt_u32_e32 8, v50
; %bb.595:                              ;   in Loop: Header=BB328_353 Depth=1
	s_delay_alu instid0(VALU_DEP_3) | instskip(NEXT) | instid1(VALU_DEP_1)
	v_clz_i32_u32_e32 v11, v2
	v_min_u32_e32 v11, 32, v11
	s_delay_alu instid0(VALU_DEP_1) | instskip(SKIP_1) | instid1(VALU_DEP_2)
	v_subrev_nc_u32_e32 v49, 28, v11
	v_sub_nc_u32_e32 v11, 29, v11
	v_lshlrev_b64 v[49:50], v49, v[2:3]
	s_delay_alu instid0(VALU_DEP_1)
	v_and_b32_e32 v2, 7, v49
; %bb.596:                              ;   in Loop: Header=BB328_353 Depth=1
	s_or_b32 exec_lo, exec_lo, s17
	v_lshlrev_b32_e32 v10, 8, v10
	v_lshl_add_u32 v11, v11, 10, 0x2000
	s_delay_alu instid0(VALU_DEP_1) | instskip(NEXT) | instid1(VALU_DEP_1)
	v_and_or_b32 v10, 0x8000, v10, v11
	v_lshl_or_b32 v2, v2, 7, v10
	s_delay_alu instid0(VALU_DEP_1)
	v_cvt_f32_f16_e32 v49, v2
.LBB328_597:                            ;   in Loop: Header=BB328_353 Depth=1
	s_or_b32 exec_lo, exec_lo, s16
.LBB328_598:                            ;   in Loop: Header=BB328_353 Depth=1
	s_delay_alu instid0(SALU_CYCLE_1)
	s_or_b32 exec_lo, exec_lo, s14
.LBB328_599:                            ;   in Loop: Header=BB328_353 Depth=1
	s_delay_alu instid0(SALU_CYCLE_1)
	s_or_b32 exec_lo, exec_lo, s13
	s_waitcnt vmcnt(0)
	v_fma_mixlo_f16 v11, v41, v43, 0
	v_fma_mixlo_f16 v2, v41, v45, 0
	;; [unrolled: 1-line block ×5, first 2 shown]
	v_lshlrev_b32_e32 v43, 16, v11
	v_fma_mixlo_f16 v45, v41, v46, 0
	v_fma_mixlo_f16 v46, v41, v49, 0
	v_fma_mixlo_f16 v11, v41, v48, 0
	v_lshlrev_b32_e32 v2, 16, v2
	v_and_b32_e32 v10, 0xffff, v10
	v_and_b32_e32 v42, 0xffff, v42
	v_lshlrev_b32_e32 v44, 16, v44
	v_and_b32_e32 v45, 0xffff, v45
	v_lshlrev_b32_e32 v46, 16, v46
	v_and_b32_e32 v47, 0xffff, v11
	v_or_b32_e32 v41, v2, v10
	v_or_b32_e32 v42, v43, v42
	;; [unrolled: 1-line block ×3, first 2 shown]
	s_delay_alu instid0(VALU_DEP_4)
	v_or_b32_e32 v10, v46, v47
	s_and_saveexec_b32 s13, vcc_lo
	s_cbranch_execz .LBB328_601
; %bb.600:                              ;   in Loop: Header=BB328_353 Depth=1
	v_cmp_gt_i32_e64 s0, s15, v15
	v_lshrrev_b32_e32 v43, 16, v42
	v_lshrrev_b32_e32 v44, 16, v41
	v_lshrrev_b32_e32 v45, 16, v2
	v_lshrrev_b32_e32 v10, 16, v10
	v_cndmask_b32_e64 v42, 0, v42, s0
	v_cmp_gt_i32_e64 s0, s10, v30
	s_delay_alu instid0(VALU_DEP_1) | instskip(SKIP_1) | instid1(VALU_DEP_2)
	v_cndmask_b32_e64 v43, 0, v43, s0
	v_cmp_gt_i32_e64 s0, s10, v29
	v_perm_b32 v42, v43, v42, 0x5040100
	s_delay_alu instid0(VALU_DEP_2) | instskip(SKIP_1) | instid1(VALU_DEP_1)
	v_cndmask_b32_e64 v44, 0, v44, s0
	v_cmp_gt_i32_e64 s0, s15, v28
	v_cndmask_b32_e64 v41, 0, v41, s0
	v_cmp_gt_i32_e64 s0, s10, v27
	s_delay_alu instid0(VALU_DEP_2) | instskip(NEXT) | instid1(VALU_DEP_2)
	v_perm_b32 v41, v44, v41, 0x5040100
	v_cndmask_b32_e64 v45, 0, v45, s0
	v_cmp_gt_i32_e64 s0, s15, v26
	s_delay_alu instid0(VALU_DEP_1) | instskip(SKIP_1) | instid1(VALU_DEP_2)
	v_cndmask_b32_e64 v2, 0, v2, s0
	v_cmp_gt_i32_e64 s0, s10, v25
	v_perm_b32 v2, v45, v2, 0x5040100
	s_delay_alu instid0(VALU_DEP_2) | instskip(SKIP_1) | instid1(VALU_DEP_1)
	v_cndmask_b32_e64 v10, 0, v10, s0
	v_cmp_gt_i32_e64 s0, s15, v24
	v_cndmask_b32_e64 v11, 0, v11, s0
	s_delay_alu instid0(VALU_DEP_1)
	v_perm_b32 v10, v10, v11, 0x5040100
.LBB328_601:                            ;   in Loop: Header=BB328_353 Depth=1
	s_or_b32 exec_lo, exec_lo, s13
	;;#ASMSTART
	v_pk_mul_f16 v11, v34, v42;

	;;#ASMEND
	;;#ASMSTART
	v_pk_mul_f16 v41, v33, v41;

	;;#ASMEND
	;; [unrolled: 4-line block ×4, first 2 shown]
	;;#ASMSTART
	v_pk_add_f16 v11, v11, v41;

	;;#ASMEND
	;;#ASMSTART
	v_pk_add_f16 v2, v11, v2;

	;;#ASMEND
	;; [unrolled: 4-line block ×3, first 2 shown]
	v_dual_mov_b32 v43, 0 :: v_dual_and_b32 v10, 0xffff, v2
	v_lshrrev_b32_e32 v2, 16, v2
	;;#ASMSTART
	v_cvt_f32_f16 v10, v10;
	;;#ASMEND
	;;#ASMSTART
	v_cvt_f32_f16 v11, v2;
	;;#ASMEND
	global_load_b64 v[8:9], v[8:9], off offset:1024
	global_load_b32 v41, v3, s[6:7]
	v_mov_b32_e32 v42, 0
	s_mov_b32 s13, exec_lo
	s_waitcnt vmcnt(1)
	v_and_b32_e32 v2, 0xff, v8
	s_delay_alu instid0(VALU_DEP_1)
	v_cmpx_ne_u16_e32 0, v2
	s_cbranch_execz .LBB328_607
; %bb.602:                              ;   in Loop: Header=BB328_353 Depth=1
	v_bfrev_b32_e32 v42, 1
	s_mov_b32 s14, exec_lo
	v_cmpx_ne_u16_e32 0x80, v2
	s_cbranch_execz .LBB328_606
; %bb.603:                              ;   in Loop: Header=BB328_353 Depth=1
	v_and_b32_e32 v2, 0x7f, v8
	v_mov_b32_e32 v42, 0x7fc02000
	s_mov_b32 s16, exec_lo
	s_delay_alu instid0(VALU_DEP_2)
	v_cmpx_ne_u32_e32 0x7f, v2
	s_cbranch_execz .LBB328_605
; %bb.604:                              ;   in Loop: Header=BB328_353 Depth=1
	v_and_b32_e32 v42, 7, v8
	v_cmp_gt_u32_e64 s0, 8, v2
	v_lshrrev_b32_e32 v44, 3, v2
	s_delay_alu instid0(VALU_DEP_3) | instskip(NEXT) | instid1(VALU_DEP_1)
	v_clz_i32_u32_e32 v42, v42
	v_min_u32_e32 v42, 32, v42
	s_delay_alu instid0(VALU_DEP_1) | instskip(SKIP_1) | instid1(VALU_DEP_2)
	v_subrev_nc_u32_e32 v45, 28, v42
	v_sub_nc_u32_e32 v42, 29, v42
	v_cndmask_b32_e64 v2, 0, v45, s0
	s_delay_alu instid0(VALU_DEP_2) | instskip(NEXT) | instid1(VALU_DEP_2)
	v_cndmask_b32_e64 v42, v44, v42, s0
	v_lshlrev_b64 v[44:45], v2, v[8:9]
	v_lshlrev_b32_e32 v2, 8, v8
	s_delay_alu instid0(VALU_DEP_3) | instskip(NEXT) | instid1(VALU_DEP_3)
	v_lshl_add_u32 v42, v42, 10, 0x2000
	v_lshlrev_b32_e32 v44, 7, v44
	s_delay_alu instid0(VALU_DEP_2) | instskip(NEXT) | instid1(VALU_DEP_1)
	v_and_or_b32 v2, 0x8000, v2, v42
	v_and_or_b32 v2, 0x380, v44, v2
	s_delay_alu instid0(VALU_DEP_1)
	v_cvt_f32_f16_e32 v42, v2
.LBB328_605:                            ;   in Loop: Header=BB328_353 Depth=1
	s_or_b32 exec_lo, exec_lo, s16
.LBB328_606:                            ;   in Loop: Header=BB328_353 Depth=1
	s_delay_alu instid0(SALU_CYCLE_1)
	s_or_b32 exec_lo, exec_lo, s14
.LBB328_607:                            ;   in Loop: Header=BB328_353 Depth=1
	s_delay_alu instid0(SALU_CYCLE_1) | instskip(SKIP_2) | instid1(VALU_DEP_1)
	s_or_b32 exec_lo, exec_lo, s13
	v_lshrrev_b16 v2, 8, v8
	s_mov_b32 s13, exec_lo
	v_cmpx_ne_u16_e32 0, v2
	s_cbranch_execz .LBB328_615
; %bb.608:                              ;   in Loop: Header=BB328_353 Depth=1
	v_bfrev_b32_e32 v43, 1
	s_mov_b32 s14, exec_lo
	v_cmpx_ne_u16_e32 0x80, v2
	s_cbranch_execz .LBB328_614
; %bb.609:                              ;   in Loop: Header=BB328_353 Depth=1
	v_and_b32_e32 v44, 0xffff, v2
	v_mov_b32_e32 v43, 0x7fc02000
	s_mov_b32 s16, exec_lo
	s_delay_alu instid0(VALU_DEP_2) | instskip(NEXT) | instid1(VALU_DEP_1)
	v_and_b32_e32 v45, 0x7f, v44
	v_cmpx_ne_u32_e32 0x7f, v45
	s_cbranch_execz .LBB328_613
; %bb.610:                              ;   in Loop: Header=BB328_353 Depth=1
	v_and_b32_e32 v2, 7, v44
	v_lshrrev_b32_e32 v43, 3, v45
	s_mov_b32 s17, exec_lo
	v_cmpx_gt_u32_e32 8, v45
; %bb.611:                              ;   in Loop: Header=BB328_353 Depth=1
	s_delay_alu instid0(VALU_DEP_3) | instskip(NEXT) | instid1(VALU_DEP_1)
	v_clz_i32_u32_e32 v43, v2
	v_min_u32_e32 v43, 32, v43
	s_delay_alu instid0(VALU_DEP_1) | instskip(SKIP_1) | instid1(VALU_DEP_2)
	v_subrev_nc_u32_e32 v45, 28, v43
	v_sub_nc_u32_e32 v43, 29, v43
	v_lshlrev_b64 v[45:46], v45, v[2:3]
	s_delay_alu instid0(VALU_DEP_1)
	v_and_b32_e32 v2, 7, v45
; %bb.612:                              ;   in Loop: Header=BB328_353 Depth=1
	s_or_b32 exec_lo, exec_lo, s17
	v_lshlrev_b32_e32 v44, 8, v44
	v_lshl_add_u32 v43, v43, 10, 0x2000
	s_delay_alu instid0(VALU_DEP_1) | instskip(NEXT) | instid1(VALU_DEP_1)
	v_and_or_b32 v43, 0x8000, v44, v43
	v_lshl_or_b32 v2, v2, 7, v43
	s_delay_alu instid0(VALU_DEP_1)
	v_cvt_f32_f16_e32 v43, v2
.LBB328_613:                            ;   in Loop: Header=BB328_353 Depth=1
	s_or_b32 exec_lo, exec_lo, s16
.LBB328_614:                            ;   in Loop: Header=BB328_353 Depth=1
	s_delay_alu instid0(SALU_CYCLE_1)
	s_or_b32 exec_lo, exec_lo, s14
.LBB328_615:                            ;   in Loop: Header=BB328_353 Depth=1
	s_delay_alu instid0(SALU_CYCLE_1) | instskip(SKIP_3) | instid1(VALU_DEP_2)
	s_or_b32 exec_lo, exec_lo, s13
	v_lshrrev_b32_e32 v46, 16, v8
	v_mov_b32_e32 v44, 0
	s_mov_b32 s13, exec_lo
	v_dual_mov_b32 v45, 0 :: v_dual_and_b32 v2, 0xff, v46
	s_delay_alu instid0(VALU_DEP_1)
	v_cmpx_ne_u16_e32 0, v2
	s_cbranch_execz .LBB328_623
; %bb.616:                              ;   in Loop: Header=BB328_353 Depth=1
	v_bfrev_b32_e32 v44, 1
	s_mov_b32 s14, exec_lo
	v_cmpx_ne_u16_e32 0x80, v2
	s_cbranch_execz .LBB328_622
; %bb.617:                              ;   in Loop: Header=BB328_353 Depth=1
	v_bfe_u32 v47, v8, 16, 7
	v_mov_b32_e32 v44, 0x7fc02000
	s_mov_b32 s16, exec_lo
	s_delay_alu instid0(VALU_DEP_2)
	v_cmpx_ne_u32_e32 0x7f, v47
	s_cbranch_execz .LBB328_621
; %bb.618:                              ;   in Loop: Header=BB328_353 Depth=1
	v_and_b32_e32 v2, 7, v46
	v_lshrrev_b32_e32 v44, 3, v47
	s_mov_b32 s17, exec_lo
	v_cmpx_gt_u32_e32 8, v47
; %bb.619:                              ;   in Loop: Header=BB328_353 Depth=1
	s_delay_alu instid0(VALU_DEP_3) | instskip(NEXT) | instid1(VALU_DEP_1)
	v_clz_i32_u32_e32 v44, v2
	v_min_u32_e32 v44, 32, v44
	s_delay_alu instid0(VALU_DEP_1) | instskip(SKIP_1) | instid1(VALU_DEP_2)
	v_subrev_nc_u32_e32 v47, 28, v44
	v_sub_nc_u32_e32 v44, 29, v44
	v_lshlrev_b64 v[47:48], v47, v[2:3]
	s_delay_alu instid0(VALU_DEP_1)
	v_and_b32_e32 v2, 7, v47
; %bb.620:                              ;   in Loop: Header=BB328_353 Depth=1
	s_or_b32 exec_lo, exec_lo, s17
	v_lshlrev_b32_e32 v46, 8, v46
	v_lshl_add_u32 v44, v44, 10, 0x2000
	s_delay_alu instid0(VALU_DEP_1) | instskip(NEXT) | instid1(VALU_DEP_1)
	v_and_or_b32 v44, 0x8000, v46, v44
	v_lshl_or_b32 v2, v2, 7, v44
	s_delay_alu instid0(VALU_DEP_1)
	v_cvt_f32_f16_e32 v44, v2
.LBB328_621:                            ;   in Loop: Header=BB328_353 Depth=1
	s_or_b32 exec_lo, exec_lo, s16
.LBB328_622:                            ;   in Loop: Header=BB328_353 Depth=1
	s_delay_alu instid0(SALU_CYCLE_1)
	s_or_b32 exec_lo, exec_lo, s14
.LBB328_623:                            ;   in Loop: Header=BB328_353 Depth=1
	s_delay_alu instid0(SALU_CYCLE_1) | instskip(NEXT) | instid1(SALU_CYCLE_1)
	s_or_b32 exec_lo, exec_lo, s13
	s_mov_b32 s13, exec_lo
	v_cmpx_lt_u32_e32 0xffffff, v8
	s_cbranch_execz .LBB328_631
; %bb.624:                              ;   in Loop: Header=BB328_353 Depth=1
	v_lshrrev_b32_e32 v46, 24, v8
	v_bfrev_b32_e32 v45, 1
	s_mov_b32 s14, exec_lo
	s_delay_alu instid0(VALU_DEP_2)
	v_cmpx_ne_u32_e32 0x80, v46
	s_cbranch_execz .LBB328_630
; %bb.625:                              ;   in Loop: Header=BB328_353 Depth=1
	v_and_b32_e32 v47, 0x7f, v46
	v_mov_b32_e32 v45, 0x7fc02000
	s_mov_b32 s16, exec_lo
	s_delay_alu instid0(VALU_DEP_2)
	v_cmpx_ne_u32_e32 0x7f, v47
	s_cbranch_execz .LBB328_629
; %bb.626:                              ;   in Loop: Header=BB328_353 Depth=1
	v_and_b32_e32 v2, 7, v46
	v_lshrrev_b32_e32 v45, 3, v47
	s_mov_b32 s17, exec_lo
	v_cmpx_gt_u32_e32 8, v47
; %bb.627:                              ;   in Loop: Header=BB328_353 Depth=1
	s_delay_alu instid0(VALU_DEP_3) | instskip(NEXT) | instid1(VALU_DEP_1)
	v_clz_i32_u32_e32 v45, v2
	v_min_u32_e32 v45, 32, v45
	s_delay_alu instid0(VALU_DEP_1) | instskip(SKIP_1) | instid1(VALU_DEP_2)
	v_subrev_nc_u32_e32 v47, 28, v45
	v_sub_nc_u32_e32 v45, 29, v45
	v_lshlrev_b64 v[47:48], v47, v[2:3]
	s_delay_alu instid0(VALU_DEP_1)
	v_and_b32_e32 v2, 7, v47
; %bb.628:                              ;   in Loop: Header=BB328_353 Depth=1
	s_or_b32 exec_lo, exec_lo, s17
	v_lshlrev_b32_e32 v46, 8, v46
	v_lshl_add_u32 v45, v45, 10, 0x2000
	s_delay_alu instid0(VALU_DEP_1) | instskip(NEXT) | instid1(VALU_DEP_1)
	v_and_or_b32 v45, 0x8000, v46, v45
	v_lshl_or_b32 v2, v2, 7, v45
	s_delay_alu instid0(VALU_DEP_1)
	v_cvt_f32_f16_e32 v45, v2
.LBB328_629:                            ;   in Loop: Header=BB328_353 Depth=1
	s_or_b32 exec_lo, exec_lo, s16
.LBB328_630:                            ;   in Loop: Header=BB328_353 Depth=1
	s_delay_alu instid0(SALU_CYCLE_1)
	s_or_b32 exec_lo, exec_lo, s14
.LBB328_631:                            ;   in Loop: Header=BB328_353 Depth=1
	s_delay_alu instid0(SALU_CYCLE_1) | instskip(SKIP_4) | instid1(VALU_DEP_3)
	s_or_b32 exec_lo, exec_lo, s13
	v_dual_mov_b32 v47, 0 :: v_dual_and_b32 v48, 0xff, v9
	v_mov_b32_e32 v2, v9
	v_mov_b32_e32 v46, 0
	s_mov_b32 s13, exec_lo
	v_cmpx_ne_u16_e32 0, v48
	s_cbranch_execz .LBB328_637
; %bb.632:                              ;   in Loop: Header=BB328_353 Depth=1
	v_bfrev_b32_e32 v46, 1
	s_mov_b32 s14, exec_lo
	v_cmpx_ne_u16_e32 0x80, v48
	s_cbranch_execz .LBB328_636
; %bb.633:                              ;   in Loop: Header=BB328_353 Depth=1
	v_and_b32_e32 v48, 0x7f, v9
	v_mov_b32_e32 v46, 0x7fc02000
	s_mov_b32 s16, exec_lo
	s_delay_alu instid0(VALU_DEP_2)
	v_cmpx_ne_u32_e32 0x7f, v48
	s_cbranch_execz .LBB328_635
; %bb.634:                              ;   in Loop: Header=BB328_353 Depth=1
	v_and_b32_e32 v46, 7, v9
	v_cmp_gt_u32_e64 s0, 8, v48
	v_lshrrev_b32_e32 v49, 3, v48
	s_delay_alu instid0(VALU_DEP_3) | instskip(NEXT) | instid1(VALU_DEP_1)
	v_clz_i32_u32_e32 v46, v46
	v_min_u32_e32 v46, 32, v46
	s_delay_alu instid0(VALU_DEP_1) | instskip(SKIP_1) | instid1(VALU_DEP_2)
	v_subrev_nc_u32_e32 v50, 28, v46
	v_sub_nc_u32_e32 v46, 29, v46
	v_cndmask_b32_e64 v48, 0, v50, s0
	s_delay_alu instid0(VALU_DEP_2) | instskip(NEXT) | instid1(VALU_DEP_2)
	v_cndmask_b32_e64 v46, v49, v46, s0
	v_lshlrev_b64 v[48:49], v48, v[2:3]
	v_lshlrev_b32_e32 v49, 8, v9
	s_delay_alu instid0(VALU_DEP_3) | instskip(NEXT) | instid1(VALU_DEP_3)
	v_lshl_add_u32 v46, v46, 10, 0x2000
	v_lshlrev_b32_e32 v48, 7, v48
	s_delay_alu instid0(VALU_DEP_2) | instskip(NEXT) | instid1(VALU_DEP_1)
	v_and_or_b32 v46, 0x8000, v49, v46
	v_and_or_b32 v46, 0x380, v48, v46
	s_delay_alu instid0(VALU_DEP_1)
	v_cvt_f32_f16_e32 v46, v46
.LBB328_635:                            ;   in Loop: Header=BB328_353 Depth=1
	s_or_b32 exec_lo, exec_lo, s16
.LBB328_636:                            ;   in Loop: Header=BB328_353 Depth=1
	s_delay_alu instid0(SALU_CYCLE_1)
	s_or_b32 exec_lo, exec_lo, s14
.LBB328_637:                            ;   in Loop: Header=BB328_353 Depth=1
	s_delay_alu instid0(SALU_CYCLE_1) | instskip(SKIP_2) | instid1(VALU_DEP_1)
	s_or_b32 exec_lo, exec_lo, s13
	v_lshrrev_b16 v2, 8, v2
	s_mov_b32 s13, exec_lo
	v_cmpx_ne_u16_e32 0, v2
	s_cbranch_execz .LBB328_645
; %bb.638:                              ;   in Loop: Header=BB328_353 Depth=1
	v_bfrev_b32_e32 v47, 1
	s_mov_b32 s14, exec_lo
	v_cmpx_ne_u16_e32 0x80, v2
	s_cbranch_execz .LBB328_644
; %bb.639:                              ;   in Loop: Header=BB328_353 Depth=1
	v_and_b32_e32 v48, 0xffff, v2
	v_mov_b32_e32 v47, 0x7fc02000
	s_mov_b32 s16, exec_lo
	s_delay_alu instid0(VALU_DEP_2) | instskip(NEXT) | instid1(VALU_DEP_1)
	v_and_b32_e32 v49, 0x7f, v48
	v_cmpx_ne_u32_e32 0x7f, v49
	s_cbranch_execz .LBB328_643
; %bb.640:                              ;   in Loop: Header=BB328_353 Depth=1
	v_and_b32_e32 v2, 7, v48
	v_lshrrev_b32_e32 v47, 3, v49
	s_mov_b32 s17, exec_lo
	v_cmpx_gt_u32_e32 8, v49
; %bb.641:                              ;   in Loop: Header=BB328_353 Depth=1
	s_delay_alu instid0(VALU_DEP_3) | instskip(NEXT) | instid1(VALU_DEP_1)
	v_clz_i32_u32_e32 v47, v2
	v_min_u32_e32 v47, 32, v47
	s_delay_alu instid0(VALU_DEP_1) | instskip(SKIP_1) | instid1(VALU_DEP_2)
	v_subrev_nc_u32_e32 v49, 28, v47
	v_sub_nc_u32_e32 v47, 29, v47
	v_lshlrev_b64 v[49:50], v49, v[2:3]
	s_delay_alu instid0(VALU_DEP_1)
	v_and_b32_e32 v2, 7, v49
; %bb.642:                              ;   in Loop: Header=BB328_353 Depth=1
	s_or_b32 exec_lo, exec_lo, s17
	v_lshlrev_b32_e32 v48, 8, v48
	v_lshl_add_u32 v47, v47, 10, 0x2000
	s_delay_alu instid0(VALU_DEP_1) | instskip(NEXT) | instid1(VALU_DEP_1)
	v_and_or_b32 v47, 0x8000, v48, v47
	v_lshl_or_b32 v2, v2, 7, v47
	s_delay_alu instid0(VALU_DEP_1)
	v_cvt_f32_f16_e32 v47, v2
.LBB328_643:                            ;   in Loop: Header=BB328_353 Depth=1
	s_or_b32 exec_lo, exec_lo, s16
.LBB328_644:                            ;   in Loop: Header=BB328_353 Depth=1
	s_delay_alu instid0(SALU_CYCLE_1)
	s_or_b32 exec_lo, exec_lo, s14
.LBB328_645:                            ;   in Loop: Header=BB328_353 Depth=1
	s_delay_alu instid0(SALU_CYCLE_1) | instskip(SKIP_3) | instid1(VALU_DEP_2)
	s_or_b32 exec_lo, exec_lo, s13
	v_lshrrev_b32_e32 v50, 16, v9
	v_mov_b32_e32 v48, 0
	s_mov_b32 s13, exec_lo
	v_dual_mov_b32 v49, 0 :: v_dual_and_b32 v2, 0xff, v50
	s_delay_alu instid0(VALU_DEP_1)
	v_cmpx_ne_u16_e32 0, v2
	s_cbranch_execz .LBB328_653
; %bb.646:                              ;   in Loop: Header=BB328_353 Depth=1
	v_bfrev_b32_e32 v48, 1
	s_mov_b32 s14, exec_lo
	v_cmpx_ne_u16_e32 0x80, v2
	s_cbranch_execz .LBB328_652
; %bb.647:                              ;   in Loop: Header=BB328_353 Depth=1
	v_bfe_u32 v51, v9, 16, 7
	v_mov_b32_e32 v48, 0x7fc02000
	s_mov_b32 s16, exec_lo
	s_delay_alu instid0(VALU_DEP_2)
	v_cmpx_ne_u32_e32 0x7f, v51
	s_cbranch_execz .LBB328_651
; %bb.648:                              ;   in Loop: Header=BB328_353 Depth=1
	v_and_b32_e32 v2, 7, v50
	v_lshrrev_b32_e32 v48, 3, v51
	s_mov_b32 s17, exec_lo
	v_cmpx_gt_u32_e32 8, v51
; %bb.649:                              ;   in Loop: Header=BB328_353 Depth=1
	s_delay_alu instid0(VALU_DEP_3) | instskip(NEXT) | instid1(VALU_DEP_1)
	v_clz_i32_u32_e32 v48, v2
	v_min_u32_e32 v48, 32, v48
	s_delay_alu instid0(VALU_DEP_1) | instskip(SKIP_1) | instid1(VALU_DEP_2)
	v_subrev_nc_u32_e32 v51, 28, v48
	v_sub_nc_u32_e32 v48, 29, v48
	v_lshlrev_b64 v[51:52], v51, v[2:3]
	s_delay_alu instid0(VALU_DEP_1)
	v_and_b32_e32 v2, 7, v51
; %bb.650:                              ;   in Loop: Header=BB328_353 Depth=1
	s_or_b32 exec_lo, exec_lo, s17
	v_lshlrev_b32_e32 v50, 8, v50
	v_lshl_add_u32 v48, v48, 10, 0x2000
	s_delay_alu instid0(VALU_DEP_1) | instskip(NEXT) | instid1(VALU_DEP_1)
	v_and_or_b32 v48, 0x8000, v50, v48
	v_lshl_or_b32 v2, v2, 7, v48
	s_delay_alu instid0(VALU_DEP_1)
	v_cvt_f32_f16_e32 v48, v2
.LBB328_651:                            ;   in Loop: Header=BB328_353 Depth=1
	s_or_b32 exec_lo, exec_lo, s16
.LBB328_652:                            ;   in Loop: Header=BB328_353 Depth=1
	s_delay_alu instid0(SALU_CYCLE_1)
	s_or_b32 exec_lo, exec_lo, s14
.LBB328_653:                            ;   in Loop: Header=BB328_353 Depth=1
	s_delay_alu instid0(SALU_CYCLE_1) | instskip(NEXT) | instid1(SALU_CYCLE_1)
	s_or_b32 exec_lo, exec_lo, s13
	s_mov_b32 s13, exec_lo
	v_cmpx_lt_u64_e64 s[2:3], v[8:9]
	s_cbranch_execz .LBB328_661
; %bb.654:                              ;   in Loop: Header=BB328_353 Depth=1
	v_lshrrev_b32_e32 v8, 24, v9
	v_bfrev_b32_e32 v49, 1
	s_mov_b32 s14, exec_lo
	s_delay_alu instid0(VALU_DEP_2)
	v_cmpx_ne_u32_e32 0x80, v8
	s_cbranch_execz .LBB328_660
; %bb.655:                              ;   in Loop: Header=BB328_353 Depth=1
	v_and_b32_e32 v50, 0x7f, v8
	v_mov_b32_e32 v49, 0x7fc02000
	s_mov_b32 s16, exec_lo
	s_delay_alu instid0(VALU_DEP_2)
	v_cmpx_ne_u32_e32 0x7f, v50
	s_cbranch_execz .LBB328_659
; %bb.656:                              ;   in Loop: Header=BB328_353 Depth=1
	v_and_b32_e32 v2, 7, v8
	v_lshrrev_b32_e32 v9, 3, v50
	s_mov_b32 s17, exec_lo
	v_cmpx_gt_u32_e32 8, v50
; %bb.657:                              ;   in Loop: Header=BB328_353 Depth=1
	s_delay_alu instid0(VALU_DEP_3) | instskip(NEXT) | instid1(VALU_DEP_1)
	v_clz_i32_u32_e32 v9, v2
	v_min_u32_e32 v9, 32, v9
	s_delay_alu instid0(VALU_DEP_1) | instskip(SKIP_1) | instid1(VALU_DEP_2)
	v_subrev_nc_u32_e32 v49, 28, v9
	v_sub_nc_u32_e32 v9, 29, v9
	v_lshlrev_b64 v[49:50], v49, v[2:3]
	s_delay_alu instid0(VALU_DEP_1)
	v_and_b32_e32 v2, 7, v49
; %bb.658:                              ;   in Loop: Header=BB328_353 Depth=1
	s_or_b32 exec_lo, exec_lo, s17
	v_lshlrev_b32_e32 v8, 8, v8
	v_lshl_add_u32 v9, v9, 10, 0x2000
	s_delay_alu instid0(VALU_DEP_1) | instskip(NEXT) | instid1(VALU_DEP_1)
	v_and_or_b32 v8, 0x8000, v8, v9
	v_lshl_or_b32 v2, v2, 7, v8
	s_delay_alu instid0(VALU_DEP_1)
	v_cvt_f32_f16_e32 v49, v2
.LBB328_659:                            ;   in Loop: Header=BB328_353 Depth=1
	s_or_b32 exec_lo, exec_lo, s16
.LBB328_660:                            ;   in Loop: Header=BB328_353 Depth=1
	s_delay_alu instid0(SALU_CYCLE_1)
	s_or_b32 exec_lo, exec_lo, s14
.LBB328_661:                            ;   in Loop: Header=BB328_353 Depth=1
	s_delay_alu instid0(SALU_CYCLE_1)
	s_or_b32 exec_lo, exec_lo, s13
	s_waitcnt vmcnt(0)
	v_fma_mixlo_f16 v9, v41, v43, 0
	v_fma_mixlo_f16 v2, v41, v45, 0
	;; [unrolled: 1-line block ×5, first 2 shown]
	v_lshlrev_b32_e32 v43, 16, v9
	v_fma_mixlo_f16 v9, v41, v42, 0
	v_fma_mixlo_f16 v42, v41, v47, 0
	;; [unrolled: 1-line block ×3, first 2 shown]
	v_lshlrev_b32_e32 v2, 16, v2
	v_and_b32_e32 v8, 0xffff, v8
	v_and_b32_e32 v46, 0xffff, v9
	v_lshlrev_b32_e32 v47, 16, v42
	v_and_b32_e32 v44, 0xffff, v44
	v_lshlrev_b32_e32 v45, 16, v45
	v_and_b32_e32 v48, 0xffff, v41
	v_or_b32_e32 v9, v2, v8
	v_or_b32_e32 v42, v43, v46
	;; [unrolled: 1-line block ×3, first 2 shown]
	s_delay_alu instid0(VALU_DEP_4)
	v_or_b32_e32 v8, v45, v48
	s_and_saveexec_b32 s0, vcc_lo
	s_cbranch_execz .LBB328_352
; %bb.662:                              ;   in Loop: Header=BB328_353 Depth=1
	v_cmp_gt_i32_e32 vcc_lo, s15, v15
	v_lshrrev_b32_e32 v43, 16, v42
	v_lshrrev_b32_e32 v44, 16, v9
	;; [unrolled: 1-line block ×3, first 2 shown]
	v_cndmask_b32_e32 v42, 0, v42, vcc_lo
	v_cmp_gt_i32_e32 vcc_lo, s10, v30
	v_cndmask_b32_e32 v30, 0, v43, vcc_lo
	v_cmp_gt_i32_e32 vcc_lo, s10, v29
	v_lshrrev_b32_e32 v43, 16, v2
	v_cndmask_b32_e32 v29, 0, v44, vcc_lo
	v_cmp_gt_i32_e32 vcc_lo, s15, v28
	v_cndmask_b32_e32 v9, 0, v9, vcc_lo
	v_cmp_gt_i32_e32 vcc_lo, s10, v27
	v_perm_b32 v42, v30, v42, 0x5040100
	s_delay_alu instid0(VALU_DEP_3) | instskip(SKIP_4) | instid1(VALU_DEP_2)
	v_perm_b32 v9, v29, v9, 0x5040100
	v_cndmask_b32_e32 v27, 0, v43, vcc_lo
	v_cmp_gt_i32_e32 vcc_lo, s15, v26
	v_cndmask_b32_e32 v2, 0, v2, vcc_lo
	v_cmp_gt_i32_e32 vcc_lo, s10, v25
	v_perm_b32 v2, v27, v2, 0x5040100
	v_cndmask_b32_e32 v8, 0, v8, vcc_lo
	v_cmp_gt_i32_e32 vcc_lo, s15, v24
	v_cndmask_b32_e32 v24, 0, v41, vcc_lo
	s_delay_alu instid0(VALU_DEP_1)
	v_perm_b32 v8, v8, v24, 0x5040100
	s_branch .LBB328_352
.LBB328_663:
	s_or_b32 exec_lo, exec_lo, s5
.LBB328_664:
	s_delay_alu instid0(SALU_CYCLE_1)
	s_or_b32 exec_lo, exec_lo, s1
	ds_bpermute_b32 v1, v17, v18
	ds_bpermute_b32 v2, v17, v22
	;; [unrolled: 1-line block ×5, first 2 shown]
	v_and_b32_e32 v4, 0x3c1, v0
	v_lshrrev_b32_e32 v6, 1, v16
	s_movk_i32 s0, 0x140
	s_waitcnt lgkmcnt(0)
	s_waitcnt_vscnt null, 0x0
	v_mad_u32_u24 v7, v14, s0, 0xc0
	s_barrier
	buffer_gl0_inv
	v_add_f32_e32 v5, v18, v1
	v_cmp_eq_u32_e32 vcc_lo, 64, v4
	v_dual_add_f32 v4, v22, v2 :: v_dual_add_f32 v3, v21, v3
	v_dual_add_f32 v2, v20, v8 :: v_dual_add_f32 v1, v19, v9
	v_lshlrev_b32_e32 v8, 2, v6
	s_and_saveexec_b32 s0, vcc_lo
	s_cbranch_execz .LBB328_666
; %bb.665:
	s_delay_alu instid0(VALU_DEP_1)
	v_add3_u32 v9, v7, v8, 0xfffffd80
	ds_store_2addr_b32 v9, v5, v4 offset1:16
	ds_store_2addr_b32 v9, v3, v2 offset0:32 offset1:48
	ds_store_b32 v9, v1 offset:256
.LBB328_666:
	s_or_b32 exec_lo, exec_lo, s0
	v_cmp_eq_u32_e32 vcc_lo, 0, v13
	s_mov_b32 s1, exec_lo
	s_waitcnt lgkmcnt(0)
	s_barrier
	buffer_gl0_inv
	v_cmpx_gt_u32_e32 64, v0
	s_cbranch_execz .LBB328_674
; %bb.667:
	s_and_saveexec_b32 s0, vcc_lo
	s_cbranch_execnz .LBB328_687
; %bb.668:
	s_or_b32 exec_lo, exec_lo, s0
	s_and_saveexec_b32 s0, vcc_lo
	s_cbranch_execnz .LBB328_688
.LBB328_669:
	s_or_b32 exec_lo, exec_lo, s0
	s_and_saveexec_b32 s0, vcc_lo
	s_cbranch_execnz .LBB328_689
.LBB328_670:
	s_or_b32 exec_lo, exec_lo, s0
	s_and_saveexec_b32 s0, vcc_lo
	s_cbranch_execnz .LBB328_690
.LBB328_671:
	s_or_b32 exec_lo, exec_lo, s0
	s_and_saveexec_b32 s0, vcc_lo
	s_cbranch_execz .LBB328_673
.LBB328_672:
	v_lshl_add_u32 v9, v6, 2, v7
	ds_load_b32 v9, v9 offset:256
	s_waitcnt lgkmcnt(0)
	v_add_f32_e32 v1, v1, v9
.LBB328_673:
	s_or_b32 exec_lo, exec_lo, s0
.LBB328_674:
	s_delay_alu instid0(SALU_CYCLE_1)
	s_or_b32 exec_lo, exec_lo, s1
	v_and_b32_e32 v9, 0x3e1, v0
	s_mov_b32 s1, exec_lo
	s_barrier
	buffer_gl0_inv
	v_cmpx_eq_u32_e32 32, v9
	s_cbranch_execz .LBB328_676
; %bb.675:
	v_add3_u32 v8, v7, v8, 0xfffffec0
	ds_store_2addr_b32 v8, v5, v4 offset1:16
	ds_store_2addr_b32 v8, v3, v2 offset0:32 offset1:48
	ds_store_b32 v8, v1 offset:256
.LBB328_676:
	s_or_b32 exec_lo, exec_lo, s1
	s_delay_alu instid0(SALU_CYCLE_1)
	s_mov_b32 s1, exec_lo
	s_waitcnt lgkmcnt(0)
	s_barrier
	buffer_gl0_inv
	v_cmpx_gt_u32_e32 32, v0
	s_cbranch_execz .LBB328_684
; %bb.677:
	v_lshl_add_u32 v0, v6, 2, v7
	s_and_saveexec_b32 s0, vcc_lo
	s_cbranch_execnz .LBB328_691
; %bb.678:
	s_or_b32 exec_lo, exec_lo, s0
	s_and_saveexec_b32 s0, vcc_lo
	s_cbranch_execnz .LBB328_692
.LBB328_679:
	s_or_b32 exec_lo, exec_lo, s0
	s_and_saveexec_b32 s0, vcc_lo
	s_cbranch_execnz .LBB328_693
.LBB328_680:
	s_or_b32 exec_lo, exec_lo, s0
	s_and_saveexec_b32 s0, vcc_lo
	s_cbranch_execnz .LBB328_694
.LBB328_681:
	s_or_b32 exec_lo, exec_lo, s0
	s_and_saveexec_b32 s0, vcc_lo
	s_cbranch_execz .LBB328_683
.LBB328_682:
	ds_load_b32 v0, v0 offset:256
	s_waitcnt lgkmcnt(0)
	v_add_f32_e32 v1, v1, v0
.LBB328_683:
	s_or_b32 exec_lo, exec_lo, s0
.LBB328_684:
	s_delay_alu instid0(SALU_CYCLE_1)
	s_or_b32 exec_lo, exec_lo, s1
	s_barrier
	buffer_gl0_inv
	s_mov_b32 s0, exec_lo
	v_cmpx_eq_u32_e32 0, v9
	s_cbranch_execz .LBB328_686
; %bb.685:
	s_mul_i32 s0, s4, 0x50
	s_mul_i32 s2, s8, s20
	s_ashr_i32 s1, s0, 31
	v_lshlrev_b32_e32 v0, 1, v12
	s_lshl_b64 s[0:1], s[0:1], 1
	;;#ASMSTART
	v_cvt_f16_f32 v5, v5;

	;;#ASMEND
	s_add_u32 s4, s22, s0
	s_addc_u32 s5, s23, s1
	s_ashr_i32 s3, s2, 31
	s_delay_alu instid0(SALU_CYCLE_1) | instskip(SKIP_4) | instid1(SALU_CYCLE_1)
	s_lshl_b64 s[0:1], s[2:3], 1
	s_mul_i32 s2, s12, 0x50
	s_add_u32 s4, s4, s0
	s_addc_u32 s5, s5, s1
	s_ashr_i32 s3, s2, 31
	s_lshl_b64 s[0:1], s[2:3], 1
	s_delay_alu instid0(SALU_CYCLE_1)
	s_add_u32 s0, s4, s0
	s_addc_u32 s1, s5, s1
	global_store_b16 v0, v5, s[0:1]
	;;#ASMSTART
	v_cvt_f16_f32 v4, v4;

	;;#ASMEND
	global_store_b16 v0, v4, s[0:1] offset:32
	;;#ASMSTART
	v_cvt_f16_f32 v3, v3;

	;;#ASMEND
	global_store_b16 v0, v3, s[0:1] offset:64
	;;#ASMSTART
	v_cvt_f16_f32 v2, v2;

	;;#ASMEND
	global_store_b16 v0, v2, s[0:1] offset:96
	;;#ASMSTART
	v_cvt_f16_f32 v1, v1;

	;;#ASMEND
	global_store_b16 v0, v1, s[0:1] offset:128
.LBB328_686:
	s_nop 0
	s_sendmsg sendmsg(MSG_DEALLOC_VGPRS)
	s_endpgm
.LBB328_687:
	v_lshl_add_u32 v9, v6, 2, v7
	ds_load_b32 v9, v9
	s_waitcnt lgkmcnt(0)
	v_add_f32_e32 v5, v5, v9
	s_or_b32 exec_lo, exec_lo, s0
	s_and_saveexec_b32 s0, vcc_lo
	s_cbranch_execz .LBB328_669
.LBB328_688:
	v_lshl_add_u32 v9, v6, 2, v7
	ds_load_b32 v9, v9 offset:64
	s_waitcnt lgkmcnt(0)
	v_add_f32_e32 v4, v4, v9
	s_or_b32 exec_lo, exec_lo, s0
	s_and_saveexec_b32 s0, vcc_lo
	s_cbranch_execz .LBB328_670
.LBB328_689:
	v_lshl_add_u32 v9, v6, 2, v7
	ds_load_b32 v9, v9 offset:128
	s_waitcnt lgkmcnt(0)
	v_add_f32_e32 v3, v3, v9
	s_or_b32 exec_lo, exec_lo, s0
	s_and_saveexec_b32 s0, vcc_lo
	s_cbranch_execz .LBB328_671
.LBB328_690:
	v_lshl_add_u32 v9, v6, 2, v7
	ds_load_b32 v9, v9 offset:192
	s_waitcnt lgkmcnt(0)
	v_add_f32_e32 v2, v2, v9
	s_or_b32 exec_lo, exec_lo, s0
	s_and_saveexec_b32 s0, vcc_lo
	s_cbranch_execnz .LBB328_672
	s_branch .LBB328_673
.LBB328_691:
	ds_load_b32 v6, v0
	s_waitcnt lgkmcnt(0)
	v_add_f32_e32 v5, v5, v6
	s_or_b32 exec_lo, exec_lo, s0
	s_and_saveexec_b32 s0, vcc_lo
	s_cbranch_execz .LBB328_679
.LBB328_692:
	ds_load_b32 v6, v0 offset:64
	s_waitcnt lgkmcnt(0)
	v_add_f32_e32 v4, v4, v6
	s_or_b32 exec_lo, exec_lo, s0
	s_and_saveexec_b32 s0, vcc_lo
	s_cbranch_execz .LBB328_680
.LBB328_693:
	ds_load_b32 v6, v0 offset:128
	s_waitcnt lgkmcnt(0)
	v_add_f32_e32 v3, v3, v6
	s_or_b32 exec_lo, exec_lo, s0
	s_and_saveexec_b32 s0, vcc_lo
	s_cbranch_execz .LBB328_681
.LBB328_694:
	ds_load_b32 v6, v0 offset:192
	s_waitcnt lgkmcnt(0)
	v_add_f32_e32 v2, v2, v6
	s_or_b32 exec_lo, exec_lo, s0
	s_and_saveexec_b32 s0, vcc_lo
	s_cbranch_execnz .LBB328_682
	s_branch .LBB328_683
	.section	.rodata,"a",@progbits
	.p2align	6, 0x0
	.amdhsa_kernel _ZN4vllm25paged_attention_v2_kernelIthLi80ELi16ELi128ELNS_18Fp8KVCacheDataTypeE1ELb0ELi512EEEvPfS2_PT_PKS3_PKT0_S9_ifPKiSB_iPKfiiiSD_SD_iiiii
		.amdhsa_group_segment_fixed_size 192
		.amdhsa_private_segment_fixed_size 0
		.amdhsa_kernarg_size 400
		.amdhsa_user_sgpr_count 13
		.amdhsa_user_sgpr_dispatch_ptr 0
		.amdhsa_user_sgpr_queue_ptr 0
		.amdhsa_user_sgpr_kernarg_segment_ptr 1
		.amdhsa_user_sgpr_dispatch_id 0
		.amdhsa_user_sgpr_private_segment_size 0
		.amdhsa_wavefront_size32 1
		.amdhsa_uses_dynamic_stack 0
		.amdhsa_enable_private_segment 0
		.amdhsa_system_sgpr_workgroup_id_x 1
		.amdhsa_system_sgpr_workgroup_id_y 1
		.amdhsa_system_sgpr_workgroup_id_z 1
		.amdhsa_system_sgpr_workgroup_info 0
		.amdhsa_system_vgpr_workitem_id 0
		.amdhsa_next_free_vgpr 94
		.amdhsa_next_free_sgpr 43
		.amdhsa_reserve_vcc 1
		.amdhsa_float_round_mode_32 0
		.amdhsa_float_round_mode_16_64 0
		.amdhsa_float_denorm_mode_32 3
		.amdhsa_float_denorm_mode_16_64 3
		.amdhsa_dx10_clamp 1
		.amdhsa_ieee_mode 1
		.amdhsa_fp16_overflow 0
		.amdhsa_workgroup_processor_mode 1
		.amdhsa_memory_ordered 1
		.amdhsa_forward_progress 0
		.amdhsa_shared_vgpr_count 0
		.amdhsa_exception_fp_ieee_invalid_op 0
		.amdhsa_exception_fp_denorm_src 0
		.amdhsa_exception_fp_ieee_div_zero 0
		.amdhsa_exception_fp_ieee_overflow 0
		.amdhsa_exception_fp_ieee_underflow 0
		.amdhsa_exception_fp_ieee_inexact 0
		.amdhsa_exception_int_div_zero 0
	.end_amdhsa_kernel
	.section	.text._ZN4vllm25paged_attention_v2_kernelIthLi80ELi16ELi128ELNS_18Fp8KVCacheDataTypeE1ELb0ELi512EEEvPfS2_PT_PKS3_PKT0_S9_ifPKiSB_iPKfiiiSD_SD_iiiii,"axG",@progbits,_ZN4vllm25paged_attention_v2_kernelIthLi80ELi16ELi128ELNS_18Fp8KVCacheDataTypeE1ELb0ELi512EEEvPfS2_PT_PKS3_PKT0_S9_ifPKiSB_iPKfiiiSD_SD_iiiii,comdat
.Lfunc_end328:
	.size	_ZN4vllm25paged_attention_v2_kernelIthLi80ELi16ELi128ELNS_18Fp8KVCacheDataTypeE1ELb0ELi512EEEvPfS2_PT_PKS3_PKT0_S9_ifPKiSB_iPKfiiiSD_SD_iiiii, .Lfunc_end328-_ZN4vllm25paged_attention_v2_kernelIthLi80ELi16ELi128ELNS_18Fp8KVCacheDataTypeE1ELb0ELi512EEEvPfS2_PT_PKS3_PKT0_S9_ifPKiSB_iPKfiiiSD_SD_iiiii
                                        ; -- End function
	.section	.AMDGPU.csdata,"",@progbits
; Kernel info:
; codeLenInByte = 26820
; NumSgprs: 45
; NumVgprs: 94
; ScratchSize: 0
; MemoryBound: 0
; FloatMode: 240
; IeeeMode: 1
; LDSByteSize: 192 bytes/workgroup (compile time only)
; SGPRBlocks: 5
; VGPRBlocks: 11
; NumSGPRsForWavesPerEU: 45
; NumVGPRsForWavesPerEU: 94
; Occupancy: 16
; WaveLimiterHint : 1
; COMPUTE_PGM_RSRC2:SCRATCH_EN: 0
; COMPUTE_PGM_RSRC2:USER_SGPR: 13
; COMPUTE_PGM_RSRC2:TRAP_HANDLER: 0
; COMPUTE_PGM_RSRC2:TGID_X_EN: 1
; COMPUTE_PGM_RSRC2:TGID_Y_EN: 1
; COMPUTE_PGM_RSRC2:TGID_Z_EN: 1
; COMPUTE_PGM_RSRC2:TIDIG_COMP_CNT: 0
	.text
	.p2align	2                               ; -- Begin function _ZN4vllm22paged_attention_kernelIthLi96ELi16ELi128ELNS_18Fp8KVCacheDataTypeE1ELb0ELi512EEEvPfS2_PT_PKS3_PKT0_S9_ifPKiSB_iPKfiiiSD_SD_iiiii
	.type	_ZN4vllm22paged_attention_kernelIthLi96ELi16ELi128ELNS_18Fp8KVCacheDataTypeE1ELb0ELi512EEEvPfS2_PT_PKS3_PKT0_S9_ifPKiSB_iPKfiiiSD_SD_iiiii,@function
_ZN4vllm22paged_attention_kernelIthLi96ELi16ELi128ELNS_18Fp8KVCacheDataTypeE1ELb0ELi512EEEvPfS2_PT_PKS3_PKT0_S9_ifPKiSB_iPKfiiiSD_SD_iiiii: ; @_ZN4vllm22paged_attention_kernelIthLi96ELi16ELi128ELNS_18Fp8KVCacheDataTypeE1ELb0ELi512EEEvPfS2_PT_PKS3_PKT0_S9_ifPKiSB_iPKfiiiSD_SD_iiiii
; %bb.0:
	s_waitcnt vmcnt(0) expcnt(0) lgkmcnt(0)
	s_mov_b32 s10, s13
	s_ashr_i32 s11, s13, 31
	s_lshl_b32 s16, s14, 9
	s_lshl_b64 s[0:1], s[10:11], 2
	s_mov_b32 s11, exec_lo
	v_add_co_u32 v16, vcc_lo, v16, s0
	v_add_co_ci_u32_e32 v17, vcc_lo, s1, v17, vcc_lo
	flat_load_b32 v32, v[16:17]
	s_waitcnt vmcnt(0) lgkmcnt(0)
	v_cmpx_lt_i32_e64 s16, v32
	s_cbranch_execz .LBB329_840
; %bb.1:
	v_sub_nc_u32_e32 v16, 0, v12
	s_clause 0x1
	s_load_b32 s0, s[8:9], 0x10
	s_load_b32 s1, s[8:9], 0x0
	s_mov_b32 s6, s15
	v_mov_b32_e32 v48, 0
	v_max_i32_e32 v16, v12, v16
	s_delay_alu instid0(VALU_DEP_1) | instskip(SKIP_1) | instid1(VALU_DEP_2)
	v_cvt_f32_u32_e32 v17, v16
	v_sub_nc_u32_e32 v28, 0, v16
	v_rcp_iflag_f32_e32 v17, v17
	s_waitcnt lgkmcnt(0)
	s_lshr_b32 s0, s0, 16
	s_delay_alu instid0(SALU_CYCLE_1) | instskip(SKIP_3) | instid1(SALU_CYCLE_1)
	s_cmp_lg_u32 s0, 0
	s_waitcnt_depctr 0xfff
	v_mul_f32_e32 v17, 0x4f7ffffe, v17
	s_cselect_b32 s0, -1, 0
	s_cmp_lg_u32 s0, 0
	s_delay_alu instid0(VALU_DEP_1)
	v_cvt_u32_f32_e32 v17, v17
	s_addc_u32 s15, s1, 0
	s_mov_b32 s1, exec_lo
	s_abs_i32 s0, s15
	v_xor_b32_e32 v12, s15, v12
	v_mul_lo_u32 v28, v28, v17
	s_delay_alu instid0(VALU_DEP_2) | instskip(NEXT) | instid1(VALU_DEP_2)
	v_ashrrev_i32_e32 v12, 31, v12
	v_mul_hi_u32 v28, v17, v28
	s_delay_alu instid0(VALU_DEP_1) | instskip(NEXT) | instid1(VALU_DEP_1)
	v_add_nc_u32_e32 v17, v17, v28
	v_mul_hi_u32 v17, s0, v17
	s_delay_alu instid0(VALU_DEP_1) | instskip(SKIP_1) | instid1(VALU_DEP_2)
	v_mul_lo_u32 v28, v17, v16
	v_add_nc_u32_e32 v29, 1, v17
	v_sub_nc_u32_e32 v28, s0, v28
	s_abs_i32 s0, s12
	s_delay_alu instid0(VALU_DEP_1) | instskip(SKIP_1) | instid1(VALU_DEP_2)
	v_sub_nc_u32_e32 v30, v28, v16
	v_cmp_ge_u32_e32 vcc_lo, v28, v16
	v_dual_cndmask_b32 v17, v17, v29 :: v_dual_cndmask_b32 v28, v28, v30
	s_delay_alu instid0(VALU_DEP_1) | instskip(NEXT) | instid1(VALU_DEP_2)
	v_add_nc_u32_e32 v29, 1, v17
	v_cmp_ge_u32_e32 vcc_lo, v28, v16
	s_delay_alu instid0(VALU_DEP_2) | instskip(NEXT) | instid1(VALU_DEP_1)
	v_cndmask_b32_e32 v16, v17, v29, vcc_lo
	v_xor_b32_e32 v16, v16, v12
	s_delay_alu instid0(VALU_DEP_1) | instskip(NEXT) | instid1(VALU_DEP_1)
	v_sub_nc_u32_e32 v12, v16, v12
	v_sub_nc_u32_e32 v16, 0, v12
	s_delay_alu instid0(VALU_DEP_1) | instskip(NEXT) | instid1(VALU_DEP_1)
	v_max_i32_e32 v28, v12, v16
	v_cvt_f32_u32_e32 v16, v28
	v_sub_nc_u32_e32 v17, 0, v28
	s_delay_alu instid0(VALU_DEP_2) | instskip(SKIP_2) | instid1(VALU_DEP_1)
	v_rcp_iflag_f32_e32 v16, v16
	s_waitcnt_depctr 0xfff
	v_mul_f32_e32 v16, 0x4f7ffffe, v16
	v_cvt_u32_f32_e32 v16, v16
	s_delay_alu instid0(VALU_DEP_1) | instskip(NEXT) | instid1(VALU_DEP_1)
	v_mul_lo_u32 v17, v17, v16
	v_mul_hi_u32 v17, v16, v17
	s_delay_alu instid0(VALU_DEP_1) | instskip(NEXT) | instid1(VALU_DEP_1)
	v_add_nc_u32_e32 v29, v16, v17
	v_mad_u64_u32 v[16:17], null, s0, v29, 0
	v_cmpx_ne_u64_e32 0, v[19:20]
	s_cbranch_execz .LBB329_3
; %bb.2:
	s_ashr_i32 s13, s12, 31
	s_delay_alu instid0(SALU_CYCLE_1) | instskip(NEXT) | instid1(SALU_CYCLE_1)
	s_lshl_b64 s[2:3], s[12:13], 2
	v_add_co_u32 v19, vcc_lo, v19, s2
	v_add_co_ci_u32_e32 v20, vcc_lo, s3, v20, vcc_lo
	flat_load_b32 v48, v[19:20]
.LBB329_3:
	s_or_b32 exec_lo, exec_lo, s1
	v_and_b32_e32 v31, 0x3ff, v31
	v_ashrrev_i32_e32 v16, 31, v12
	s_ashr_i32 s1, s12, 31
	s_mul_i32 s4, s12, 0x60
	s_mov_b32 s2, exec_lo
	v_lshrrev_b32_e32 v30, 1, v31
	v_and_b32_e32 v33, 1, v31
	v_lshlrev_b32_e32 v12, 3, v31
	v_cmpx_gt_u32_e32 24, v31
	s_cbranch_execz .LBB329_5
; %bb.4:
	v_mul_lo_u32 v19, s10, v21
	s_ashr_i32 s5, s4, 31
	s_delay_alu instid0(SALU_CYCLE_1) | instskip(NEXT) | instid1(VALU_DEP_1)
	s_lshl_b64 s[18:19], s[4:5], 1
	v_ashrrev_i32_e32 v20, 31, v19
	s_delay_alu instid0(VALU_DEP_1) | instskip(NEXT) | instid1(VALU_DEP_1)
	v_lshlrev_b64 v[19:20], 1, v[19:20]
	v_add_co_u32 v6, vcc_lo, v6, v19
	s_delay_alu instid0(VALU_DEP_2) | instskip(SKIP_1) | instid1(VALU_DEP_3)
	v_add_co_ci_u32_e32 v7, vcc_lo, v7, v20, vcc_lo
	v_lshlrev_b32_e32 v19, 3, v30
	v_add_co_u32 v6, vcc_lo, v6, s18
	s_delay_alu instid0(VALU_DEP_3) | instskip(NEXT) | instid1(VALU_DEP_3)
	v_add_co_ci_u32_e32 v7, vcc_lo, s19, v7, vcc_lo
	v_mad_u32_u24 v19, 0x60, v33, v19
	s_delay_alu instid0(VALU_DEP_3) | instskip(NEXT) | instid1(VALU_DEP_3)
	v_add_co_u32 v6, vcc_lo, v6, v12
	v_add_co_ci_u32_e32 v7, vcc_lo, 0, v7, vcc_lo
	flat_load_b64 v[6:7], v[6:7]
	s_waitcnt vmcnt(0) lgkmcnt(0)
	ds_store_b64 v19, v[6:7]
.LBB329_5:
	s_or_b32 exec_lo, exec_lo, s2
	v_mul_lo_u32 v6, v17, v28
	v_add_nc_u32_e32 v20, 1, v17
	v_lshrrev_b32_e32 v34, 5, v31
	s_lshl_b32 s13, s14, 5
	v_mbcnt_lo_u32_b32 v39, -1, 0
	s_waitcnt vmcnt(0) lgkmcnt(0)
	s_waitcnt_vscnt null, 0x0
	s_barrier
	buffer_gl0_inv
	v_sub_nc_u32_e32 v6, s0, v6
	s_add_i32 s0, s13, 32
                                        ; implicit-def: $vgpr49
	s_delay_alu instid0(VALU_DEP_1) | instskip(SKIP_1) | instid1(VALU_DEP_2)
	v_sub_nc_u32_e32 v21, v6, v28
	v_cmp_ge_u32_e32 vcc_lo, v6, v28
	v_dual_cndmask_b32 v6, v6, v21 :: v_dual_add_nc_u32 v7, 15, v32
	s_delay_alu instid0(VALU_DEP_1)
	v_ashrrev_i32_e32 v19, 31, v7
	v_cndmask_b32_e32 v17, v17, v20, vcc_lo
	v_xor_b32_e32 v20, s1, v16
	v_mul_lo_u32 v16, s10, v18
	v_cmp_ge_u32_e32 vcc_lo, v6, v28
	v_lshrrev_b32_e32 v19, 28, v19
	v_or_b32_e32 v6, s13, v34
                                        ; implicit-def: $sgpr1
	s_delay_alu instid0(VALU_DEP_2) | instskip(SKIP_1) | instid1(VALU_DEP_2)
	v_add_nc_u32_e32 v7, v7, v19
	v_add_nc_u32_e32 v19, 1, v17
	v_ashrrev_i32_e32 v36, 4, v7
	s_delay_alu instid0(VALU_DEP_2) | instskip(SKIP_1) | instid1(VALU_DEP_3)
	v_cndmask_b32_e32 v7, v17, v19, vcc_lo
	v_ashrrev_i32_e32 v17, 31, v16
	v_min_i32_e32 v35, s0, v36
	s_delay_alu instid0(VALU_DEP_3) | instskip(NEXT) | instid1(VALU_DEP_2)
	v_xor_b32_e32 v7, v7, v20
	v_cmp_ge_i32_e64 s0, v6, v35
	s_delay_alu instid0(VALU_DEP_2) | instskip(NEXT) | instid1(VALU_DEP_2)
	v_sub_nc_u32_e32 v7, v7, v20
	s_and_saveexec_b32 s2, s0
	s_delay_alu instid0(SALU_CYCLE_1)
	s_xor_b32 s2, exec_lo, s2
; %bb.6:
	v_mbcnt_lo_u32_b32 v39, -1, 0
	v_mov_b32_e32 v49, 32
	s_mov_b32 s1, 0xff7fffff
                                        ; implicit-def: $vgpr48
                                        ; implicit-def: $vgpr13
                                        ; implicit-def: $vgpr24
                                        ; implicit-def: $vgpr8
                                        ; implicit-def: $vgpr9
; %bb.7:
	s_or_saveexec_b32 s17, s2
	s_clause 0x1
	s_load_b32 s18, s[8:9], 0x14
	s_load_b32 s5, s[8:9], 0x8
	v_mul_lo_u32 v37, v7, v23
	v_lshlrev_b64 v[16:17], 2, v[16:17]
	v_dual_mov_b32 v50, s1 :: v_dual_lshlrev_b32 v23, 4, v34
	v_ashrrev_i32_e32 v7, 31, v6
	s_delay_alu instid0(VALU_DEP_4)
	v_ashrrev_i32_e32 v38, 31, v37
	s_xor_b32 exec_lo, exec_lo, s17
	s_cbranch_execz .LBB329_397
; %bb.8:
	v_bfe_u32 v28, v31, 1, 4
	v_lshlrev_b64 v[20:21], 2, v[6:7]
	v_add_co_u32 v8, vcc_lo, v8, v37
	v_add_co_ci_u32_e32 v19, vcc_lo, v9, v38, vcc_lo
	s_delay_alu instid0(VALU_DEP_4) | instskip(SKIP_2) | instid1(VALU_DEP_2)
	v_dual_mov_b32 v9, 0 :: v_dual_lshlrev_b32 v18, 4, v28
	v_dual_mov_b32 v64, v6 :: v_dual_lshlrev_b32 v29, 2, v28
	s_ashr_i32 s7, s6, 31
	v_add_co_u32 v18, vcc_lo, v8, v18
	v_add_co_u32 v8, s2, v16, v20
	s_delay_alu instid0(VALU_DEP_1) | instskip(SKIP_1) | instid1(VALU_DEP_3)
	v_add_co_ci_u32_e64 v21, s2, v17, v21, s2
	v_add_co_ci_u32_e32 v19, vcc_lo, 0, v19, vcc_lo
	v_add_co_u32 v20, s2, v14, v8
	v_dual_mov_b32 v50, 0xff7fffff :: v_dual_lshlrev_b32 v51, 2, v33
	v_mul_u32_u24_e32 v52, 0x60, v33
	v_cmp_eq_u32_e32 vcc_lo, 0, v33
	v_cmp_neq_f32_e64 s1, 0, v48
	s_lshl_b64 s[8:9], s[6:7], 2
	v_add_co_ci_u32_e64 v21, s2, v15, v21, s2
	v_sub_nc_u32_e32 v53, 1, v32
	v_add3_u32 v54, s16, v23, v28
	v_lshl_or_b32 v55, v34, 6, v29
	v_mov_b32_e32 v49, 32
	s_getpc_b64 s[20:21]
	s_add_u32 s20, s20, llvm.amdgcn.dynlds.offset.table@rel32@lo+4
	s_addc_u32 s21, s21, llvm.amdgcn.dynlds.offset.table@rel32@hi+12
	s_add_u32 s8, s8, s20
	s_mov_b32 s7, 0
	s_addc_u32 s9, s9, s21
	s_branch .LBB329_10
.LBB329_9:                              ;   in Loop: Header=BB329_10 Depth=1
	s_or_b32 exec_lo, exec_lo, s3
	v_add_nc_u32_e32 v64, 4, v64
	v_add_co_u32 v20, s3, v20, 16
	s_delay_alu instid0(VALU_DEP_1) | instskip(NEXT) | instid1(VALU_DEP_3)
	v_add_co_ci_u32_e64 v21, s3, 0, v21, s3
	v_cmp_ge_i32_e64 s2, v64, v35
	v_add_nc_u32_e32 v54, 64, v54
	v_add_nc_u32_e32 v55, 0x100, v55
	s_delay_alu instid0(VALU_DEP_3) | instskip(NEXT) | instid1(SALU_CYCLE_1)
	s_or_b32 s7, s2, s7
	s_and_not1_b32 exec_lo, exec_lo, s7
	s_cbranch_execz .LBB329_396
.LBB329_10:                             ; =>This Inner Loop Header: Depth=1
	flat_load_b32 v8, v[20:21]
	v_mov_b32_e32 v66, 0
	s_mov_b32 s3, exec_lo
	s_waitcnt vmcnt(0) lgkmcnt(0)
	v_mad_i64_i32 v[28:29], null, v8, v22, v[18:19]
	s_delay_alu instid0(VALU_DEP_1) | instskip(NEXT) | instid1(VALU_DEP_1)
	v_add_co_u32 v28, s2, v28, v51
	v_add_co_ci_u32_e64 v29, s2, 0, v29, s2
	flat_load_b32 v71, v[28:29]
	flat_load_b32 v65, v[24:25]
	s_waitcnt vmcnt(1) lgkmcnt(1)
	v_and_b32_e32 v8, 0xff, v71
	s_delay_alu instid0(VALU_DEP_1)
	v_cmpx_ne_u16_e32 0, v8
	s_cbranch_execz .LBB329_18
; %bb.11:                               ;   in Loop: Header=BB329_10 Depth=1
	v_bfrev_b32_e32 v66, 1
	s_mov_b32 s19, exec_lo
	v_cmpx_ne_u16_e32 0x80, v8
	s_cbranch_execz .LBB329_17
; %bb.12:                               ;   in Loop: Header=BB329_10 Depth=1
	v_and_b32_e32 v67, 0x7f, v71
	v_mov_b32_e32 v66, 0x7fc02000
	s_mov_b32 s20, exec_lo
	s_delay_alu instid0(VALU_DEP_2)
	v_cmpx_ne_u32_e32 0x7f, v67
	s_cbranch_execz .LBB329_16
; %bb.13:                               ;   in Loop: Header=BB329_10 Depth=1
	v_and_b32_e32 v8, 7, v71
	v_lshrrev_b32_e32 v66, 3, v67
	s_mov_b32 s21, exec_lo
	v_cmpx_gt_u32_e32 8, v67
; %bb.14:                               ;   in Loop: Header=BB329_10 Depth=1
	s_delay_alu instid0(VALU_DEP_3) | instskip(NEXT) | instid1(VALU_DEP_1)
	v_clz_i32_u32_e32 v66, v8
	v_min_u32_e32 v66, 32, v66
	s_delay_alu instid0(VALU_DEP_1) | instskip(SKIP_1) | instid1(VALU_DEP_2)
	v_subrev_nc_u32_e32 v67, 28, v66
	v_sub_nc_u32_e32 v66, 29, v66
	v_lshlrev_b64 v[67:68], v67, v[8:9]
	s_delay_alu instid0(VALU_DEP_1)
	v_and_b32_e32 v8, 7, v67
; %bb.15:                               ;   in Loop: Header=BB329_10 Depth=1
	s_or_b32 exec_lo, exec_lo, s21
	v_lshlrev_b32_e32 v67, 8, v71
	v_lshl_add_u32 v66, v66, 10, 0x2000
	s_delay_alu instid0(VALU_DEP_1) | instskip(NEXT) | instid1(VALU_DEP_1)
	v_and_or_b32 v66, 0x8000, v67, v66
	v_lshl_or_b32 v8, v8, 7, v66
	s_delay_alu instid0(VALU_DEP_1)
	v_cvt_f32_f16_e32 v66, v8
.LBB329_16:                             ;   in Loop: Header=BB329_10 Depth=1
	s_or_b32 exec_lo, exec_lo, s20
.LBB329_17:                             ;   in Loop: Header=BB329_10 Depth=1
	s_delay_alu instid0(SALU_CYCLE_1)
	s_or_b32 exec_lo, exec_lo, s19
.LBB329_18:                             ;   in Loop: Header=BB329_10 Depth=1
	s_delay_alu instid0(SALU_CYCLE_1) | instskip(SKIP_3) | instid1(VALU_DEP_2)
	s_or_b32 exec_lo, exec_lo, s3
	v_lshrrev_b16 v8, 8, v71
	v_dual_mov_b32 v67, 0 :: v_dual_mov_b32 v68, 0
	s_mov_b32 s3, exec_lo
	v_cmpx_ne_u16_e32 0, v8
	s_cbranch_execz .LBB329_26
; %bb.19:                               ;   in Loop: Header=BB329_10 Depth=1
	v_bfrev_b32_e32 v68, 1
	s_mov_b32 s19, exec_lo
	v_cmpx_ne_u16_e32 0x80, v8
	s_cbranch_execz .LBB329_25
; %bb.20:                               ;   in Loop: Header=BB329_10 Depth=1
	v_and_b32_e32 v69, 0xffff, v8
	v_mov_b32_e32 v68, 0x7fc02000
	s_mov_b32 s20, exec_lo
	s_delay_alu instid0(VALU_DEP_2) | instskip(NEXT) | instid1(VALU_DEP_1)
	v_and_b32_e32 v70, 0x7f, v69
	v_cmpx_ne_u32_e32 0x7f, v70
	s_cbranch_execz .LBB329_24
; %bb.21:                               ;   in Loop: Header=BB329_10 Depth=1
	v_and_b32_e32 v8, 7, v69
	v_lshrrev_b32_e32 v68, 3, v70
	s_mov_b32 s21, exec_lo
	v_cmpx_gt_u32_e32 8, v70
; %bb.22:                               ;   in Loop: Header=BB329_10 Depth=1
	s_delay_alu instid0(VALU_DEP_3) | instskip(NEXT) | instid1(VALU_DEP_1)
	v_clz_i32_u32_e32 v68, v8
	v_min_u32_e32 v68, 32, v68
	s_delay_alu instid0(VALU_DEP_1) | instskip(SKIP_1) | instid1(VALU_DEP_2)
	v_subrev_nc_u32_e32 v70, 28, v68
	v_sub_nc_u32_e32 v68, 29, v68
	v_lshlrev_b64 v[80:81], v70, v[8:9]
	s_delay_alu instid0(VALU_DEP_1)
	v_and_b32_e32 v8, 7, v80
; %bb.23:                               ;   in Loop: Header=BB329_10 Depth=1
	s_or_b32 exec_lo, exec_lo, s21
	v_lshlrev_b32_e32 v69, 8, v69
	v_lshl_add_u32 v68, v68, 10, 0x2000
	s_delay_alu instid0(VALU_DEP_1) | instskip(NEXT) | instid1(VALU_DEP_1)
	v_and_or_b32 v68, 0x8000, v69, v68
	v_lshl_or_b32 v8, v8, 7, v68
	s_delay_alu instid0(VALU_DEP_1)
	v_cvt_f32_f16_e32 v68, v8
.LBB329_24:                             ;   in Loop: Header=BB329_10 Depth=1
	s_or_b32 exec_lo, exec_lo, s20
.LBB329_25:                             ;   in Loop: Header=BB329_10 Depth=1
	s_delay_alu instid0(SALU_CYCLE_1)
	s_or_b32 exec_lo, exec_lo, s19
.LBB329_26:                             ;   in Loop: Header=BB329_10 Depth=1
	s_delay_alu instid0(SALU_CYCLE_1) | instskip(SKIP_2) | instid1(VALU_DEP_1)
	s_or_b32 exec_lo, exec_lo, s3
	v_lshrrev_b32_e32 v69, 16, v71
	s_mov_b32 s3, exec_lo
	v_and_b32_e32 v8, 0xff, v69
	s_delay_alu instid0(VALU_DEP_1)
	v_cmpx_ne_u16_e32 0, v8
	s_cbranch_execz .LBB329_34
; %bb.27:                               ;   in Loop: Header=BB329_10 Depth=1
	v_bfrev_b32_e32 v67, 1
	s_mov_b32 s19, exec_lo
	v_cmpx_ne_u16_e32 0x80, v8
	s_cbranch_execz .LBB329_33
; %bb.28:                               ;   in Loop: Header=BB329_10 Depth=1
	v_bfe_u32 v70, v71, 16, 7
	v_mov_b32_e32 v67, 0x7fc02000
	s_mov_b32 s20, exec_lo
	s_delay_alu instid0(VALU_DEP_2)
	v_cmpx_ne_u32_e32 0x7f, v70
	s_cbranch_execz .LBB329_32
; %bb.29:                               ;   in Loop: Header=BB329_10 Depth=1
	v_and_b32_e32 v8, 7, v69
	v_lshrrev_b32_e32 v67, 3, v70
	s_mov_b32 s21, exec_lo
	v_cmpx_gt_u32_e32 8, v70
; %bb.30:                               ;   in Loop: Header=BB329_10 Depth=1
	s_delay_alu instid0(VALU_DEP_3) | instskip(NEXT) | instid1(VALU_DEP_1)
	v_clz_i32_u32_e32 v67, v8
	v_min_u32_e32 v67, 32, v67
	s_delay_alu instid0(VALU_DEP_1) | instskip(SKIP_1) | instid1(VALU_DEP_2)
	v_subrev_nc_u32_e32 v70, 28, v67
	v_sub_nc_u32_e32 v67, 29, v67
	v_lshlrev_b64 v[80:81], v70, v[8:9]
	s_delay_alu instid0(VALU_DEP_1)
	v_and_b32_e32 v8, 7, v80
; %bb.31:                               ;   in Loop: Header=BB329_10 Depth=1
	s_or_b32 exec_lo, exec_lo, s21
	v_lshlrev_b32_e32 v69, 8, v69
	v_lshl_add_u32 v67, v67, 10, 0x2000
	s_delay_alu instid0(VALU_DEP_1) | instskip(NEXT) | instid1(VALU_DEP_1)
	v_and_or_b32 v67, 0x8000, v69, v67
	v_lshl_or_b32 v8, v8, 7, v67
	s_delay_alu instid0(VALU_DEP_1)
	v_cvt_f32_f16_e32 v67, v8
.LBB329_32:                             ;   in Loop: Header=BB329_10 Depth=1
	s_or_b32 exec_lo, exec_lo, s20
.LBB329_33:                             ;   in Loop: Header=BB329_10 Depth=1
	s_delay_alu instid0(SALU_CYCLE_1)
	s_or_b32 exec_lo, exec_lo, s19
.LBB329_34:                             ;   in Loop: Header=BB329_10 Depth=1
	s_delay_alu instid0(SALU_CYCLE_1)
	s_or_b32 exec_lo, exec_lo, s3
	v_dual_mov_b32 v70, 0 :: v_dual_mov_b32 v69, 0
	s_mov_b32 s3, exec_lo
	v_cmpx_lt_u32_e32 0xffffff, v71
	s_cbranch_execz .LBB329_42
; %bb.35:                               ;   in Loop: Header=BB329_10 Depth=1
	v_lshrrev_b32_e32 v71, 24, v71
	v_bfrev_b32_e32 v69, 1
	s_mov_b32 s19, exec_lo
	s_delay_alu instid0(VALU_DEP_2)
	v_cmpx_ne_u32_e32 0x80, v71
	s_cbranch_execz .LBB329_41
; %bb.36:                               ;   in Loop: Header=BB329_10 Depth=1
	v_and_b32_e32 v80, 0x7f, v71
	v_mov_b32_e32 v69, 0x7fc02000
	s_mov_b32 s20, exec_lo
	s_delay_alu instid0(VALU_DEP_2)
	v_cmpx_ne_u32_e32 0x7f, v80
	s_cbranch_execz .LBB329_40
; %bb.37:                               ;   in Loop: Header=BB329_10 Depth=1
	v_and_b32_e32 v8, 7, v71
	v_lshrrev_b32_e32 v69, 3, v80
	s_mov_b32 s21, exec_lo
	v_cmpx_gt_u32_e32 8, v80
; %bb.38:                               ;   in Loop: Header=BB329_10 Depth=1
	s_delay_alu instid0(VALU_DEP_3) | instskip(NEXT) | instid1(VALU_DEP_1)
	v_clz_i32_u32_e32 v69, v8
	v_min_u32_e32 v69, 32, v69
	s_delay_alu instid0(VALU_DEP_1) | instskip(SKIP_1) | instid1(VALU_DEP_2)
	v_subrev_nc_u32_e32 v80, 28, v69
	v_sub_nc_u32_e32 v69, 29, v69
	v_lshlrev_b64 v[80:81], v80, v[8:9]
	s_delay_alu instid0(VALU_DEP_1)
	v_and_b32_e32 v8, 7, v80
; %bb.39:                               ;   in Loop: Header=BB329_10 Depth=1
	s_or_b32 exec_lo, exec_lo, s21
	v_lshlrev_b32_e32 v71, 8, v71
	v_lshl_add_u32 v69, v69, 10, 0x2000
	s_delay_alu instid0(VALU_DEP_1) | instskip(NEXT) | instid1(VALU_DEP_1)
	v_and_or_b32 v69, 0x8000, v71, v69
	v_lshl_or_b32 v8, v8, 7, v69
	s_delay_alu instid0(VALU_DEP_1)
	v_cvt_f32_f16_e32 v69, v8
.LBB329_40:                             ;   in Loop: Header=BB329_10 Depth=1
	s_or_b32 exec_lo, exec_lo, s20
.LBB329_41:                             ;   in Loop: Header=BB329_10 Depth=1
	s_delay_alu instid0(SALU_CYCLE_1)
	s_or_b32 exec_lo, exec_lo, s19
.LBB329_42:                             ;   in Loop: Header=BB329_10 Depth=1
	s_delay_alu instid0(SALU_CYCLE_1) | instskip(SKIP_4) | instid1(VALU_DEP_1)
	s_or_b32 exec_lo, exec_lo, s3
	flat_load_b32 v83, v[28:29] offset:8
	s_mov_b32 s3, exec_lo
	s_waitcnt vmcnt(0) lgkmcnt(0)
	v_and_b32_e32 v8, 0xff, v83
	v_cmpx_ne_u16_e32 0, v8
	s_cbranch_execz .LBB329_50
; %bb.43:                               ;   in Loop: Header=BB329_10 Depth=1
	v_bfrev_b32_e32 v70, 1
	s_mov_b32 s19, exec_lo
	v_cmpx_ne_u16_e32 0x80, v8
	s_cbranch_execz .LBB329_49
; %bb.44:                               ;   in Loop: Header=BB329_10 Depth=1
	v_and_b32_e32 v71, 0x7f, v83
	v_mov_b32_e32 v70, 0x7fc02000
	s_mov_b32 s20, exec_lo
	s_delay_alu instid0(VALU_DEP_2)
	v_cmpx_ne_u32_e32 0x7f, v71
	s_cbranch_execz .LBB329_48
; %bb.45:                               ;   in Loop: Header=BB329_10 Depth=1
	v_and_b32_e32 v8, 7, v83
	v_lshrrev_b32_e32 v70, 3, v71
	s_mov_b32 s21, exec_lo
	v_cmpx_gt_u32_e32 8, v71
; %bb.46:                               ;   in Loop: Header=BB329_10 Depth=1
	s_delay_alu instid0(VALU_DEP_3) | instskip(NEXT) | instid1(VALU_DEP_1)
	v_clz_i32_u32_e32 v70, v8
	v_min_u32_e32 v70, 32, v70
	s_delay_alu instid0(VALU_DEP_1) | instskip(SKIP_1) | instid1(VALU_DEP_2)
	v_subrev_nc_u32_e32 v71, 28, v70
	v_sub_nc_u32_e32 v70, 29, v70
	v_lshlrev_b64 v[80:81], v71, v[8:9]
	s_delay_alu instid0(VALU_DEP_1)
	v_and_b32_e32 v8, 7, v80
; %bb.47:                               ;   in Loop: Header=BB329_10 Depth=1
	s_or_b32 exec_lo, exec_lo, s21
	v_lshlrev_b32_e32 v71, 8, v83
	v_lshl_add_u32 v70, v70, 10, 0x2000
	s_delay_alu instid0(VALU_DEP_1) | instskip(NEXT) | instid1(VALU_DEP_1)
	v_and_or_b32 v70, 0x8000, v71, v70
	v_lshl_or_b32 v8, v8, 7, v70
	s_delay_alu instid0(VALU_DEP_1)
	v_cvt_f32_f16_e32 v70, v8
.LBB329_48:                             ;   in Loop: Header=BB329_10 Depth=1
	s_or_b32 exec_lo, exec_lo, s20
.LBB329_49:                             ;   in Loop: Header=BB329_10 Depth=1
	s_delay_alu instid0(SALU_CYCLE_1)
	s_or_b32 exec_lo, exec_lo, s19
.LBB329_50:                             ;   in Loop: Header=BB329_10 Depth=1
	s_delay_alu instid0(SALU_CYCLE_1) | instskip(SKIP_3) | instid1(VALU_DEP_2)
	s_or_b32 exec_lo, exec_lo, s3
	v_lshrrev_b16 v8, 8, v83
	v_dual_mov_b32 v71, 0 :: v_dual_mov_b32 v80, 0
	s_mov_b32 s3, exec_lo
	v_cmpx_ne_u16_e32 0, v8
	s_cbranch_execz .LBB329_58
; %bb.51:                               ;   in Loop: Header=BB329_10 Depth=1
	v_bfrev_b32_e32 v80, 1
	s_mov_b32 s19, exec_lo
	v_cmpx_ne_u16_e32 0x80, v8
	s_cbranch_execz .LBB329_57
; %bb.52:                               ;   in Loop: Header=BB329_10 Depth=1
	v_and_b32_e32 v81, 0xffff, v8
	v_mov_b32_e32 v80, 0x7fc02000
	s_mov_b32 s20, exec_lo
	s_delay_alu instid0(VALU_DEP_2) | instskip(NEXT) | instid1(VALU_DEP_1)
	v_and_b32_e32 v82, 0x7f, v81
	v_cmpx_ne_u32_e32 0x7f, v82
	s_cbranch_execz .LBB329_56
; %bb.53:                               ;   in Loop: Header=BB329_10 Depth=1
	v_and_b32_e32 v8, 7, v81
	v_lshrrev_b32_e32 v80, 3, v82
	s_mov_b32 s21, exec_lo
	v_cmpx_gt_u32_e32 8, v82
; %bb.54:                               ;   in Loop: Header=BB329_10 Depth=1
	s_delay_alu instid0(VALU_DEP_3) | instskip(NEXT) | instid1(VALU_DEP_1)
	v_clz_i32_u32_e32 v80, v8
	v_min_u32_e32 v80, 32, v80
	s_delay_alu instid0(VALU_DEP_1) | instskip(SKIP_1) | instid1(VALU_DEP_2)
	v_subrev_nc_u32_e32 v82, 28, v80
	v_sub_nc_u32_e32 v80, 29, v80
	v_lshlrev_b64 v[84:85], v82, v[8:9]
	s_delay_alu instid0(VALU_DEP_1)
	v_and_b32_e32 v8, 7, v84
; %bb.55:                               ;   in Loop: Header=BB329_10 Depth=1
	s_or_b32 exec_lo, exec_lo, s21
	v_lshlrev_b32_e32 v81, 8, v81
	v_lshl_add_u32 v80, v80, 10, 0x2000
	s_delay_alu instid0(VALU_DEP_1) | instskip(NEXT) | instid1(VALU_DEP_1)
	v_and_or_b32 v80, 0x8000, v81, v80
	v_lshl_or_b32 v8, v8, 7, v80
	s_delay_alu instid0(VALU_DEP_1)
	v_cvt_f32_f16_e32 v80, v8
.LBB329_56:                             ;   in Loop: Header=BB329_10 Depth=1
	s_or_b32 exec_lo, exec_lo, s20
.LBB329_57:                             ;   in Loop: Header=BB329_10 Depth=1
	s_delay_alu instid0(SALU_CYCLE_1)
	s_or_b32 exec_lo, exec_lo, s19
.LBB329_58:                             ;   in Loop: Header=BB329_10 Depth=1
	s_delay_alu instid0(SALU_CYCLE_1) | instskip(SKIP_2) | instid1(VALU_DEP_1)
	s_or_b32 exec_lo, exec_lo, s3
	v_lshrrev_b32_e32 v81, 16, v83
	s_mov_b32 s3, exec_lo
	v_and_b32_e32 v8, 0xff, v81
	s_delay_alu instid0(VALU_DEP_1)
	v_cmpx_ne_u16_e32 0, v8
	s_cbranch_execz .LBB329_66
; %bb.59:                               ;   in Loop: Header=BB329_10 Depth=1
	v_bfrev_b32_e32 v71, 1
	s_mov_b32 s19, exec_lo
	v_cmpx_ne_u16_e32 0x80, v8
	s_cbranch_execz .LBB329_65
; %bb.60:                               ;   in Loop: Header=BB329_10 Depth=1
	v_bfe_u32 v82, v83, 16, 7
	v_mov_b32_e32 v71, 0x7fc02000
	s_mov_b32 s20, exec_lo
	s_delay_alu instid0(VALU_DEP_2)
	v_cmpx_ne_u32_e32 0x7f, v82
	s_cbranch_execz .LBB329_64
; %bb.61:                               ;   in Loop: Header=BB329_10 Depth=1
	v_and_b32_e32 v8, 7, v81
	v_lshrrev_b32_e32 v71, 3, v82
	s_mov_b32 s21, exec_lo
	v_cmpx_gt_u32_e32 8, v82
; %bb.62:                               ;   in Loop: Header=BB329_10 Depth=1
	s_delay_alu instid0(VALU_DEP_3) | instskip(NEXT) | instid1(VALU_DEP_1)
	v_clz_i32_u32_e32 v71, v8
	v_min_u32_e32 v71, 32, v71
	s_delay_alu instid0(VALU_DEP_1) | instskip(SKIP_1) | instid1(VALU_DEP_2)
	v_subrev_nc_u32_e32 v82, 28, v71
	v_sub_nc_u32_e32 v71, 29, v71
	v_lshlrev_b64 v[84:85], v82, v[8:9]
	s_delay_alu instid0(VALU_DEP_1)
	v_and_b32_e32 v8, 7, v84
; %bb.63:                               ;   in Loop: Header=BB329_10 Depth=1
	s_or_b32 exec_lo, exec_lo, s21
	v_lshlrev_b32_e32 v81, 8, v81
	v_lshl_add_u32 v71, v71, 10, 0x2000
	s_delay_alu instid0(VALU_DEP_1) | instskip(NEXT) | instid1(VALU_DEP_1)
	v_and_or_b32 v71, 0x8000, v81, v71
	v_lshl_or_b32 v8, v8, 7, v71
	s_delay_alu instid0(VALU_DEP_1)
	v_cvt_f32_f16_e32 v71, v8
.LBB329_64:                             ;   in Loop: Header=BB329_10 Depth=1
	s_or_b32 exec_lo, exec_lo, s20
.LBB329_65:                             ;   in Loop: Header=BB329_10 Depth=1
	s_delay_alu instid0(SALU_CYCLE_1)
	s_or_b32 exec_lo, exec_lo, s19
.LBB329_66:                             ;   in Loop: Header=BB329_10 Depth=1
	s_delay_alu instid0(SALU_CYCLE_1)
	s_or_b32 exec_lo, exec_lo, s3
	v_dual_mov_b32 v82, 0 :: v_dual_mov_b32 v81, 0
	s_mov_b32 s3, exec_lo
	v_cmpx_lt_u32_e32 0xffffff, v83
	s_cbranch_execz .LBB329_74
; %bb.67:                               ;   in Loop: Header=BB329_10 Depth=1
	v_lshrrev_b32_e32 v83, 24, v83
	v_bfrev_b32_e32 v81, 1
	s_mov_b32 s19, exec_lo
	s_delay_alu instid0(VALU_DEP_2)
	v_cmpx_ne_u32_e32 0x80, v83
	s_cbranch_execz .LBB329_73
; %bb.68:                               ;   in Loop: Header=BB329_10 Depth=1
	v_and_b32_e32 v84, 0x7f, v83
	v_mov_b32_e32 v81, 0x7fc02000
	s_mov_b32 s20, exec_lo
	s_delay_alu instid0(VALU_DEP_2)
	v_cmpx_ne_u32_e32 0x7f, v84
	s_cbranch_execz .LBB329_72
; %bb.69:                               ;   in Loop: Header=BB329_10 Depth=1
	v_and_b32_e32 v8, 7, v83
	v_lshrrev_b32_e32 v81, 3, v84
	s_mov_b32 s21, exec_lo
	v_cmpx_gt_u32_e32 8, v84
; %bb.70:                               ;   in Loop: Header=BB329_10 Depth=1
	s_delay_alu instid0(VALU_DEP_3) | instskip(NEXT) | instid1(VALU_DEP_1)
	v_clz_i32_u32_e32 v81, v8
	v_min_u32_e32 v81, 32, v81
	s_delay_alu instid0(VALU_DEP_1) | instskip(SKIP_1) | instid1(VALU_DEP_2)
	v_subrev_nc_u32_e32 v84, 28, v81
	v_sub_nc_u32_e32 v81, 29, v81
	v_lshlrev_b64 v[84:85], v84, v[8:9]
	s_delay_alu instid0(VALU_DEP_1)
	v_and_b32_e32 v8, 7, v84
; %bb.71:                               ;   in Loop: Header=BB329_10 Depth=1
	s_or_b32 exec_lo, exec_lo, s21
	v_lshlrev_b32_e32 v83, 8, v83
	v_lshl_add_u32 v81, v81, 10, 0x2000
	s_delay_alu instid0(VALU_DEP_1) | instskip(NEXT) | instid1(VALU_DEP_1)
	v_and_or_b32 v81, 0x8000, v83, v81
	v_lshl_or_b32 v8, v8, 7, v81
	s_delay_alu instid0(VALU_DEP_1)
	v_cvt_f32_f16_e32 v81, v8
.LBB329_72:                             ;   in Loop: Header=BB329_10 Depth=1
	s_or_b32 exec_lo, exec_lo, s20
.LBB329_73:                             ;   in Loop: Header=BB329_10 Depth=1
	s_delay_alu instid0(SALU_CYCLE_1)
	s_or_b32 exec_lo, exec_lo, s19
.LBB329_74:                             ;   in Loop: Header=BB329_10 Depth=1
	s_delay_alu instid0(SALU_CYCLE_1) | instskip(SKIP_4) | instid1(VALU_DEP_1)
	s_or_b32 exec_lo, exec_lo, s3
	flat_load_b32 v87, v[28:29] offset:256
	s_mov_b32 s3, exec_lo
	s_waitcnt vmcnt(0) lgkmcnt(0)
	v_and_b32_e32 v8, 0xff, v87
	v_cmpx_ne_u16_e32 0, v8
	s_cbranch_execz .LBB329_82
; %bb.75:                               ;   in Loop: Header=BB329_10 Depth=1
	v_bfrev_b32_e32 v82, 1
	s_mov_b32 s19, exec_lo
	v_cmpx_ne_u16_e32 0x80, v8
	s_cbranch_execz .LBB329_81
; %bb.76:                               ;   in Loop: Header=BB329_10 Depth=1
	v_and_b32_e32 v83, 0x7f, v87
	v_mov_b32_e32 v82, 0x7fc02000
	s_mov_b32 s20, exec_lo
	s_delay_alu instid0(VALU_DEP_2)
	v_cmpx_ne_u32_e32 0x7f, v83
	s_cbranch_execz .LBB329_80
; %bb.77:                               ;   in Loop: Header=BB329_10 Depth=1
	v_and_b32_e32 v8, 7, v87
	v_lshrrev_b32_e32 v82, 3, v83
	s_mov_b32 s21, exec_lo
	v_cmpx_gt_u32_e32 8, v83
; %bb.78:                               ;   in Loop: Header=BB329_10 Depth=1
	s_delay_alu instid0(VALU_DEP_3) | instskip(NEXT) | instid1(VALU_DEP_1)
	v_clz_i32_u32_e32 v82, v8
	v_min_u32_e32 v82, 32, v82
	s_delay_alu instid0(VALU_DEP_1) | instskip(SKIP_1) | instid1(VALU_DEP_2)
	v_subrev_nc_u32_e32 v83, 28, v82
	v_sub_nc_u32_e32 v82, 29, v82
	v_lshlrev_b64 v[83:84], v83, v[8:9]
	s_delay_alu instid0(VALU_DEP_1)
	v_and_b32_e32 v8, 7, v83
; %bb.79:                               ;   in Loop: Header=BB329_10 Depth=1
	s_or_b32 exec_lo, exec_lo, s21
	v_lshlrev_b32_e32 v83, 8, v87
	v_lshl_add_u32 v82, v82, 10, 0x2000
	s_delay_alu instid0(VALU_DEP_1) | instskip(NEXT) | instid1(VALU_DEP_1)
	v_and_or_b32 v82, 0x8000, v83, v82
	v_lshl_or_b32 v8, v8, 7, v82
	s_delay_alu instid0(VALU_DEP_1)
	v_cvt_f32_f16_e32 v82, v8
.LBB329_80:                             ;   in Loop: Header=BB329_10 Depth=1
	s_or_b32 exec_lo, exec_lo, s20
.LBB329_81:                             ;   in Loop: Header=BB329_10 Depth=1
	s_delay_alu instid0(SALU_CYCLE_1)
	s_or_b32 exec_lo, exec_lo, s19
.LBB329_82:                             ;   in Loop: Header=BB329_10 Depth=1
	s_delay_alu instid0(SALU_CYCLE_1) | instskip(SKIP_3) | instid1(VALU_DEP_2)
	s_or_b32 exec_lo, exec_lo, s3
	v_lshrrev_b16 v8, 8, v87
	v_dual_mov_b32 v83, 0 :: v_dual_mov_b32 v84, 0
	s_mov_b32 s3, exec_lo
	v_cmpx_ne_u16_e32 0, v8
	s_cbranch_execz .LBB329_90
; %bb.83:                               ;   in Loop: Header=BB329_10 Depth=1
	v_bfrev_b32_e32 v84, 1
	s_mov_b32 s19, exec_lo
	v_cmpx_ne_u16_e32 0x80, v8
	s_cbranch_execz .LBB329_89
; %bb.84:                               ;   in Loop: Header=BB329_10 Depth=1
	v_and_b32_e32 v85, 0xffff, v8
	v_mov_b32_e32 v84, 0x7fc02000
	s_mov_b32 s20, exec_lo
	s_delay_alu instid0(VALU_DEP_2) | instskip(NEXT) | instid1(VALU_DEP_1)
	v_and_b32_e32 v86, 0x7f, v85
	v_cmpx_ne_u32_e32 0x7f, v86
	s_cbranch_execz .LBB329_88
; %bb.85:                               ;   in Loop: Header=BB329_10 Depth=1
	v_and_b32_e32 v8, 7, v85
	v_lshrrev_b32_e32 v84, 3, v86
	s_mov_b32 s21, exec_lo
	v_cmpx_gt_u32_e32 8, v86
; %bb.86:                               ;   in Loop: Header=BB329_10 Depth=1
	s_delay_alu instid0(VALU_DEP_3) | instskip(NEXT) | instid1(VALU_DEP_1)
	v_clz_i32_u32_e32 v84, v8
	v_min_u32_e32 v84, 32, v84
	s_delay_alu instid0(VALU_DEP_1) | instskip(SKIP_1) | instid1(VALU_DEP_2)
	v_subrev_nc_u32_e32 v86, 28, v84
	v_sub_nc_u32_e32 v84, 29, v84
	v_lshlrev_b64 v[96:97], v86, v[8:9]
	s_delay_alu instid0(VALU_DEP_1)
	v_and_b32_e32 v8, 7, v96
; %bb.87:                               ;   in Loop: Header=BB329_10 Depth=1
	s_or_b32 exec_lo, exec_lo, s21
	v_lshlrev_b32_e32 v85, 8, v85
	v_lshl_add_u32 v84, v84, 10, 0x2000
	s_delay_alu instid0(VALU_DEP_1) | instskip(NEXT) | instid1(VALU_DEP_1)
	v_and_or_b32 v84, 0x8000, v85, v84
	v_lshl_or_b32 v8, v8, 7, v84
	s_delay_alu instid0(VALU_DEP_1)
	v_cvt_f32_f16_e32 v84, v8
.LBB329_88:                             ;   in Loop: Header=BB329_10 Depth=1
	s_or_b32 exec_lo, exec_lo, s20
.LBB329_89:                             ;   in Loop: Header=BB329_10 Depth=1
	s_delay_alu instid0(SALU_CYCLE_1)
	s_or_b32 exec_lo, exec_lo, s19
.LBB329_90:                             ;   in Loop: Header=BB329_10 Depth=1
	s_delay_alu instid0(SALU_CYCLE_1) | instskip(SKIP_2) | instid1(VALU_DEP_1)
	s_or_b32 exec_lo, exec_lo, s3
	v_lshrrev_b32_e32 v85, 16, v87
	s_mov_b32 s3, exec_lo
	v_and_b32_e32 v8, 0xff, v85
	s_delay_alu instid0(VALU_DEP_1)
	v_cmpx_ne_u16_e32 0, v8
	s_cbranch_execz .LBB329_98
; %bb.91:                               ;   in Loop: Header=BB329_10 Depth=1
	v_bfrev_b32_e32 v83, 1
	s_mov_b32 s19, exec_lo
	v_cmpx_ne_u16_e32 0x80, v8
	s_cbranch_execz .LBB329_97
; %bb.92:                               ;   in Loop: Header=BB329_10 Depth=1
	v_bfe_u32 v86, v87, 16, 7
	v_mov_b32_e32 v83, 0x7fc02000
	s_mov_b32 s20, exec_lo
	s_delay_alu instid0(VALU_DEP_2)
	v_cmpx_ne_u32_e32 0x7f, v86
	s_cbranch_execz .LBB329_96
; %bb.93:                               ;   in Loop: Header=BB329_10 Depth=1
	v_and_b32_e32 v8, 7, v85
	v_lshrrev_b32_e32 v83, 3, v86
	s_mov_b32 s21, exec_lo
	v_cmpx_gt_u32_e32 8, v86
; %bb.94:                               ;   in Loop: Header=BB329_10 Depth=1
	s_delay_alu instid0(VALU_DEP_3) | instskip(NEXT) | instid1(VALU_DEP_1)
	v_clz_i32_u32_e32 v83, v8
	v_min_u32_e32 v83, 32, v83
	s_delay_alu instid0(VALU_DEP_1) | instskip(SKIP_1) | instid1(VALU_DEP_2)
	v_subrev_nc_u32_e32 v86, 28, v83
	v_sub_nc_u32_e32 v83, 29, v83
	v_lshlrev_b64 v[96:97], v86, v[8:9]
	s_delay_alu instid0(VALU_DEP_1)
	v_and_b32_e32 v8, 7, v96
; %bb.95:                               ;   in Loop: Header=BB329_10 Depth=1
	s_or_b32 exec_lo, exec_lo, s21
	v_lshlrev_b32_e32 v85, 8, v85
	v_lshl_add_u32 v83, v83, 10, 0x2000
	s_delay_alu instid0(VALU_DEP_1) | instskip(NEXT) | instid1(VALU_DEP_1)
	v_and_or_b32 v83, 0x8000, v85, v83
	v_lshl_or_b32 v8, v8, 7, v83
	s_delay_alu instid0(VALU_DEP_1)
	v_cvt_f32_f16_e32 v83, v8
.LBB329_96:                             ;   in Loop: Header=BB329_10 Depth=1
	s_or_b32 exec_lo, exec_lo, s20
.LBB329_97:                             ;   in Loop: Header=BB329_10 Depth=1
	s_delay_alu instid0(SALU_CYCLE_1)
	s_or_b32 exec_lo, exec_lo, s19
.LBB329_98:                             ;   in Loop: Header=BB329_10 Depth=1
	s_delay_alu instid0(SALU_CYCLE_1)
	s_or_b32 exec_lo, exec_lo, s3
	v_dual_mov_b32 v86, 0 :: v_dual_mov_b32 v85, 0
	s_mov_b32 s3, exec_lo
	v_cmpx_lt_u32_e32 0xffffff, v87
	s_cbranch_execz .LBB329_106
; %bb.99:                               ;   in Loop: Header=BB329_10 Depth=1
	v_lshrrev_b32_e32 v87, 24, v87
	v_bfrev_b32_e32 v85, 1
	s_mov_b32 s19, exec_lo
	s_delay_alu instid0(VALU_DEP_2)
	v_cmpx_ne_u32_e32 0x80, v87
	s_cbranch_execz .LBB329_105
; %bb.100:                              ;   in Loop: Header=BB329_10 Depth=1
	v_and_b32_e32 v96, 0x7f, v87
	v_mov_b32_e32 v85, 0x7fc02000
	s_mov_b32 s20, exec_lo
	s_delay_alu instid0(VALU_DEP_2)
	v_cmpx_ne_u32_e32 0x7f, v96
	s_cbranch_execz .LBB329_104
; %bb.101:                              ;   in Loop: Header=BB329_10 Depth=1
	v_and_b32_e32 v8, 7, v87
	v_lshrrev_b32_e32 v85, 3, v96
	s_mov_b32 s21, exec_lo
	v_cmpx_gt_u32_e32 8, v96
; %bb.102:                              ;   in Loop: Header=BB329_10 Depth=1
	s_delay_alu instid0(VALU_DEP_3) | instskip(NEXT) | instid1(VALU_DEP_1)
	v_clz_i32_u32_e32 v85, v8
	v_min_u32_e32 v85, 32, v85
	s_delay_alu instid0(VALU_DEP_1) | instskip(SKIP_1) | instid1(VALU_DEP_2)
	v_subrev_nc_u32_e32 v96, 28, v85
	v_sub_nc_u32_e32 v85, 29, v85
	v_lshlrev_b64 v[96:97], v96, v[8:9]
	s_delay_alu instid0(VALU_DEP_1)
	v_and_b32_e32 v8, 7, v96
; %bb.103:                              ;   in Loop: Header=BB329_10 Depth=1
	s_or_b32 exec_lo, exec_lo, s21
	v_lshlrev_b32_e32 v87, 8, v87
	v_lshl_add_u32 v85, v85, 10, 0x2000
	s_delay_alu instid0(VALU_DEP_1) | instskip(NEXT) | instid1(VALU_DEP_1)
	v_and_or_b32 v85, 0x8000, v87, v85
	v_lshl_or_b32 v8, v8, 7, v85
	s_delay_alu instid0(VALU_DEP_1)
	v_cvt_f32_f16_e32 v85, v8
.LBB329_104:                            ;   in Loop: Header=BB329_10 Depth=1
	s_or_b32 exec_lo, exec_lo, s20
.LBB329_105:                            ;   in Loop: Header=BB329_10 Depth=1
	s_delay_alu instid0(SALU_CYCLE_1)
	s_or_b32 exec_lo, exec_lo, s19
.LBB329_106:                            ;   in Loop: Header=BB329_10 Depth=1
	s_delay_alu instid0(SALU_CYCLE_1) | instskip(SKIP_4) | instid1(VALU_DEP_1)
	s_or_b32 exec_lo, exec_lo, s3
	flat_load_b32 v99, v[28:29] offset:264
	s_mov_b32 s3, exec_lo
	s_waitcnt vmcnt(0) lgkmcnt(0)
	v_and_b32_e32 v8, 0xff, v99
	v_cmpx_ne_u16_e32 0, v8
	s_cbranch_execz .LBB329_114
; %bb.107:                              ;   in Loop: Header=BB329_10 Depth=1
	v_bfrev_b32_e32 v86, 1
	s_mov_b32 s19, exec_lo
	v_cmpx_ne_u16_e32 0x80, v8
	s_cbranch_execz .LBB329_113
; %bb.108:                              ;   in Loop: Header=BB329_10 Depth=1
	v_and_b32_e32 v87, 0x7f, v99
	v_mov_b32_e32 v86, 0x7fc02000
	s_mov_b32 s20, exec_lo
	s_delay_alu instid0(VALU_DEP_2)
	v_cmpx_ne_u32_e32 0x7f, v87
	s_cbranch_execz .LBB329_112
; %bb.109:                              ;   in Loop: Header=BB329_10 Depth=1
	v_and_b32_e32 v8, 7, v99
	v_lshrrev_b32_e32 v86, 3, v87
	s_mov_b32 s21, exec_lo
	v_cmpx_gt_u32_e32 8, v87
; %bb.110:                              ;   in Loop: Header=BB329_10 Depth=1
	s_delay_alu instid0(VALU_DEP_3) | instskip(NEXT) | instid1(VALU_DEP_1)
	v_clz_i32_u32_e32 v86, v8
	v_min_u32_e32 v86, 32, v86
	s_delay_alu instid0(VALU_DEP_1) | instskip(SKIP_1) | instid1(VALU_DEP_2)
	v_subrev_nc_u32_e32 v87, 28, v86
	v_sub_nc_u32_e32 v86, 29, v86
	v_lshlrev_b64 v[96:97], v87, v[8:9]
	s_delay_alu instid0(VALU_DEP_1)
	v_and_b32_e32 v8, 7, v96
; %bb.111:                              ;   in Loop: Header=BB329_10 Depth=1
	s_or_b32 exec_lo, exec_lo, s21
	v_lshlrev_b32_e32 v87, 8, v99
	v_lshl_add_u32 v86, v86, 10, 0x2000
	s_delay_alu instid0(VALU_DEP_1) | instskip(NEXT) | instid1(VALU_DEP_1)
	v_and_or_b32 v86, 0x8000, v87, v86
	v_lshl_or_b32 v8, v8, 7, v86
	s_delay_alu instid0(VALU_DEP_1)
	v_cvt_f32_f16_e32 v86, v8
.LBB329_112:                            ;   in Loop: Header=BB329_10 Depth=1
	s_or_b32 exec_lo, exec_lo, s20
.LBB329_113:                            ;   in Loop: Header=BB329_10 Depth=1
	s_delay_alu instid0(SALU_CYCLE_1)
	s_or_b32 exec_lo, exec_lo, s19
.LBB329_114:                            ;   in Loop: Header=BB329_10 Depth=1
	s_delay_alu instid0(SALU_CYCLE_1) | instskip(SKIP_3) | instid1(VALU_DEP_2)
	s_or_b32 exec_lo, exec_lo, s3
	v_lshrrev_b16 v8, 8, v99
	v_dual_mov_b32 v87, 0 :: v_dual_mov_b32 v96, 0
	s_mov_b32 s3, exec_lo
	v_cmpx_ne_u16_e32 0, v8
	s_cbranch_execz .LBB329_122
; %bb.115:                              ;   in Loop: Header=BB329_10 Depth=1
	v_bfrev_b32_e32 v96, 1
	s_mov_b32 s19, exec_lo
	v_cmpx_ne_u16_e32 0x80, v8
	s_cbranch_execz .LBB329_121
; %bb.116:                              ;   in Loop: Header=BB329_10 Depth=1
	v_and_b32_e32 v97, 0xffff, v8
	v_mov_b32_e32 v96, 0x7fc02000
	s_mov_b32 s20, exec_lo
	s_delay_alu instid0(VALU_DEP_2) | instskip(NEXT) | instid1(VALU_DEP_1)
	v_and_b32_e32 v98, 0x7f, v97
	v_cmpx_ne_u32_e32 0x7f, v98
	s_cbranch_execz .LBB329_120
; %bb.117:                              ;   in Loop: Header=BB329_10 Depth=1
	v_and_b32_e32 v8, 7, v97
	v_lshrrev_b32_e32 v96, 3, v98
	s_mov_b32 s21, exec_lo
	v_cmpx_gt_u32_e32 8, v98
; %bb.118:                              ;   in Loop: Header=BB329_10 Depth=1
	s_delay_alu instid0(VALU_DEP_3) | instskip(NEXT) | instid1(VALU_DEP_1)
	v_clz_i32_u32_e32 v96, v8
	v_min_u32_e32 v96, 32, v96
	s_delay_alu instid0(VALU_DEP_1) | instskip(SKIP_1) | instid1(VALU_DEP_2)
	v_subrev_nc_u32_e32 v98, 28, v96
	v_sub_nc_u32_e32 v96, 29, v96
	v_lshlrev_b64 v[100:101], v98, v[8:9]
	s_delay_alu instid0(VALU_DEP_1)
	v_and_b32_e32 v8, 7, v100
; %bb.119:                              ;   in Loop: Header=BB329_10 Depth=1
	s_or_b32 exec_lo, exec_lo, s21
	v_lshlrev_b32_e32 v97, 8, v97
	v_lshl_add_u32 v96, v96, 10, 0x2000
	s_delay_alu instid0(VALU_DEP_1) | instskip(NEXT) | instid1(VALU_DEP_1)
	v_and_or_b32 v96, 0x8000, v97, v96
	v_lshl_or_b32 v8, v8, 7, v96
	s_delay_alu instid0(VALU_DEP_1)
	v_cvt_f32_f16_e32 v96, v8
.LBB329_120:                            ;   in Loop: Header=BB329_10 Depth=1
	s_or_b32 exec_lo, exec_lo, s20
.LBB329_121:                            ;   in Loop: Header=BB329_10 Depth=1
	s_delay_alu instid0(SALU_CYCLE_1)
	s_or_b32 exec_lo, exec_lo, s19
.LBB329_122:                            ;   in Loop: Header=BB329_10 Depth=1
	s_delay_alu instid0(SALU_CYCLE_1) | instskip(SKIP_2) | instid1(VALU_DEP_1)
	s_or_b32 exec_lo, exec_lo, s3
	v_lshrrev_b32_e32 v97, 16, v99
	s_mov_b32 s3, exec_lo
	v_and_b32_e32 v8, 0xff, v97
	s_delay_alu instid0(VALU_DEP_1)
	v_cmpx_ne_u16_e32 0, v8
	s_cbranch_execz .LBB329_130
; %bb.123:                              ;   in Loop: Header=BB329_10 Depth=1
	v_bfrev_b32_e32 v87, 1
	s_mov_b32 s19, exec_lo
	v_cmpx_ne_u16_e32 0x80, v8
	s_cbranch_execz .LBB329_129
; %bb.124:                              ;   in Loop: Header=BB329_10 Depth=1
	v_bfe_u32 v98, v99, 16, 7
	v_mov_b32_e32 v87, 0x7fc02000
	s_mov_b32 s20, exec_lo
	s_delay_alu instid0(VALU_DEP_2)
	v_cmpx_ne_u32_e32 0x7f, v98
	s_cbranch_execz .LBB329_128
; %bb.125:                              ;   in Loop: Header=BB329_10 Depth=1
	v_and_b32_e32 v8, 7, v97
	v_lshrrev_b32_e32 v87, 3, v98
	s_mov_b32 s21, exec_lo
	v_cmpx_gt_u32_e32 8, v98
; %bb.126:                              ;   in Loop: Header=BB329_10 Depth=1
	s_delay_alu instid0(VALU_DEP_3) | instskip(NEXT) | instid1(VALU_DEP_1)
	v_clz_i32_u32_e32 v87, v8
	v_min_u32_e32 v87, 32, v87
	s_delay_alu instid0(VALU_DEP_1) | instskip(SKIP_1) | instid1(VALU_DEP_2)
	v_subrev_nc_u32_e32 v98, 28, v87
	v_sub_nc_u32_e32 v87, 29, v87
	v_lshlrev_b64 v[100:101], v98, v[8:9]
	s_delay_alu instid0(VALU_DEP_1)
	v_and_b32_e32 v8, 7, v100
; %bb.127:                              ;   in Loop: Header=BB329_10 Depth=1
	s_or_b32 exec_lo, exec_lo, s21
	v_lshlrev_b32_e32 v97, 8, v97
	v_lshl_add_u32 v87, v87, 10, 0x2000
	s_delay_alu instid0(VALU_DEP_1) | instskip(NEXT) | instid1(VALU_DEP_1)
	v_and_or_b32 v87, 0x8000, v97, v87
	v_lshl_or_b32 v8, v8, 7, v87
	s_delay_alu instid0(VALU_DEP_1)
	v_cvt_f32_f16_e32 v87, v8
.LBB329_128:                            ;   in Loop: Header=BB329_10 Depth=1
	s_or_b32 exec_lo, exec_lo, s20
.LBB329_129:                            ;   in Loop: Header=BB329_10 Depth=1
	s_delay_alu instid0(SALU_CYCLE_1)
	s_or_b32 exec_lo, exec_lo, s19
.LBB329_130:                            ;   in Loop: Header=BB329_10 Depth=1
	s_delay_alu instid0(SALU_CYCLE_1)
	s_or_b32 exec_lo, exec_lo, s3
	v_dual_mov_b32 v98, 0 :: v_dual_mov_b32 v97, 0
	s_mov_b32 s3, exec_lo
	v_cmpx_lt_u32_e32 0xffffff, v99
	s_cbranch_execz .LBB329_138
; %bb.131:                              ;   in Loop: Header=BB329_10 Depth=1
	v_lshrrev_b32_e32 v99, 24, v99
	v_bfrev_b32_e32 v97, 1
	s_mov_b32 s19, exec_lo
	s_delay_alu instid0(VALU_DEP_2)
	v_cmpx_ne_u32_e32 0x80, v99
	s_cbranch_execz .LBB329_137
; %bb.132:                              ;   in Loop: Header=BB329_10 Depth=1
	v_and_b32_e32 v100, 0x7f, v99
	v_mov_b32_e32 v97, 0x7fc02000
	s_mov_b32 s20, exec_lo
	s_delay_alu instid0(VALU_DEP_2)
	v_cmpx_ne_u32_e32 0x7f, v100
	s_cbranch_execz .LBB329_136
; %bb.133:                              ;   in Loop: Header=BB329_10 Depth=1
	v_and_b32_e32 v8, 7, v99
	v_lshrrev_b32_e32 v97, 3, v100
	s_mov_b32 s21, exec_lo
	v_cmpx_gt_u32_e32 8, v100
; %bb.134:                              ;   in Loop: Header=BB329_10 Depth=1
	s_delay_alu instid0(VALU_DEP_3) | instskip(NEXT) | instid1(VALU_DEP_1)
	v_clz_i32_u32_e32 v97, v8
	v_min_u32_e32 v97, 32, v97
	s_delay_alu instid0(VALU_DEP_1) | instskip(SKIP_1) | instid1(VALU_DEP_2)
	v_subrev_nc_u32_e32 v100, 28, v97
	v_sub_nc_u32_e32 v97, 29, v97
	v_lshlrev_b64 v[100:101], v100, v[8:9]
	s_delay_alu instid0(VALU_DEP_1)
	v_and_b32_e32 v8, 7, v100
; %bb.135:                              ;   in Loop: Header=BB329_10 Depth=1
	s_or_b32 exec_lo, exec_lo, s21
	v_lshlrev_b32_e32 v99, 8, v99
	v_lshl_add_u32 v97, v97, 10, 0x2000
	s_delay_alu instid0(VALU_DEP_1) | instskip(NEXT) | instid1(VALU_DEP_1)
	v_and_or_b32 v97, 0x8000, v99, v97
	v_lshl_or_b32 v8, v8, 7, v97
	s_delay_alu instid0(VALU_DEP_1)
	v_cvt_f32_f16_e32 v97, v8
.LBB329_136:                            ;   in Loop: Header=BB329_10 Depth=1
	s_or_b32 exec_lo, exec_lo, s20
.LBB329_137:                            ;   in Loop: Header=BB329_10 Depth=1
	s_delay_alu instid0(SALU_CYCLE_1)
	s_or_b32 exec_lo, exec_lo, s19
.LBB329_138:                            ;   in Loop: Header=BB329_10 Depth=1
	s_delay_alu instid0(SALU_CYCLE_1) | instskip(SKIP_4) | instid1(VALU_DEP_1)
	s_or_b32 exec_lo, exec_lo, s3
	flat_load_b32 v103, v[28:29] offset:512
	s_mov_b32 s3, exec_lo
	s_waitcnt vmcnt(0) lgkmcnt(0)
	v_and_b32_e32 v8, 0xff, v103
	v_cmpx_ne_u16_e32 0, v8
	s_cbranch_execz .LBB329_146
; %bb.139:                              ;   in Loop: Header=BB329_10 Depth=1
	v_bfrev_b32_e32 v98, 1
	s_mov_b32 s19, exec_lo
	v_cmpx_ne_u16_e32 0x80, v8
	s_cbranch_execz .LBB329_145
; %bb.140:                              ;   in Loop: Header=BB329_10 Depth=1
	v_and_b32_e32 v99, 0x7f, v103
	v_mov_b32_e32 v98, 0x7fc02000
	s_mov_b32 s20, exec_lo
	s_delay_alu instid0(VALU_DEP_2)
	v_cmpx_ne_u32_e32 0x7f, v99
	s_cbranch_execz .LBB329_144
; %bb.141:                              ;   in Loop: Header=BB329_10 Depth=1
	v_and_b32_e32 v8, 7, v103
	v_lshrrev_b32_e32 v98, 3, v99
	s_mov_b32 s21, exec_lo
	v_cmpx_gt_u32_e32 8, v99
; %bb.142:                              ;   in Loop: Header=BB329_10 Depth=1
	s_delay_alu instid0(VALU_DEP_3) | instskip(NEXT) | instid1(VALU_DEP_1)
	v_clz_i32_u32_e32 v98, v8
	v_min_u32_e32 v98, 32, v98
	s_delay_alu instid0(VALU_DEP_1) | instskip(SKIP_1) | instid1(VALU_DEP_2)
	v_subrev_nc_u32_e32 v99, 28, v98
	v_sub_nc_u32_e32 v98, 29, v98
	v_lshlrev_b64 v[99:100], v99, v[8:9]
	s_delay_alu instid0(VALU_DEP_1)
	v_and_b32_e32 v8, 7, v99
; %bb.143:                              ;   in Loop: Header=BB329_10 Depth=1
	s_or_b32 exec_lo, exec_lo, s21
	v_lshlrev_b32_e32 v99, 8, v103
	v_lshl_add_u32 v98, v98, 10, 0x2000
	s_delay_alu instid0(VALU_DEP_1) | instskip(NEXT) | instid1(VALU_DEP_1)
	v_and_or_b32 v98, 0x8000, v99, v98
	v_lshl_or_b32 v8, v8, 7, v98
	s_delay_alu instid0(VALU_DEP_1)
	v_cvt_f32_f16_e32 v98, v8
.LBB329_144:                            ;   in Loop: Header=BB329_10 Depth=1
	s_or_b32 exec_lo, exec_lo, s20
.LBB329_145:                            ;   in Loop: Header=BB329_10 Depth=1
	s_delay_alu instid0(SALU_CYCLE_1)
	s_or_b32 exec_lo, exec_lo, s19
.LBB329_146:                            ;   in Loop: Header=BB329_10 Depth=1
	s_delay_alu instid0(SALU_CYCLE_1) | instskip(SKIP_3) | instid1(VALU_DEP_2)
	s_or_b32 exec_lo, exec_lo, s3
	v_lshrrev_b16 v8, 8, v103
	v_dual_mov_b32 v99, 0 :: v_dual_mov_b32 v100, 0
	s_mov_b32 s3, exec_lo
	v_cmpx_ne_u16_e32 0, v8
	s_cbranch_execz .LBB329_154
; %bb.147:                              ;   in Loop: Header=BB329_10 Depth=1
	v_bfrev_b32_e32 v100, 1
	s_mov_b32 s19, exec_lo
	v_cmpx_ne_u16_e32 0x80, v8
	s_cbranch_execz .LBB329_153
; %bb.148:                              ;   in Loop: Header=BB329_10 Depth=1
	v_and_b32_e32 v101, 0xffff, v8
	v_mov_b32_e32 v100, 0x7fc02000
	s_mov_b32 s20, exec_lo
	s_delay_alu instid0(VALU_DEP_2) | instskip(NEXT) | instid1(VALU_DEP_1)
	v_and_b32_e32 v102, 0x7f, v101
	v_cmpx_ne_u32_e32 0x7f, v102
	s_cbranch_execz .LBB329_152
; %bb.149:                              ;   in Loop: Header=BB329_10 Depth=1
	v_and_b32_e32 v8, 7, v101
	v_lshrrev_b32_e32 v100, 3, v102
	s_mov_b32 s21, exec_lo
	v_cmpx_gt_u32_e32 8, v102
; %bb.150:                              ;   in Loop: Header=BB329_10 Depth=1
	s_delay_alu instid0(VALU_DEP_3) | instskip(NEXT) | instid1(VALU_DEP_1)
	v_clz_i32_u32_e32 v100, v8
	v_min_u32_e32 v100, 32, v100
	s_delay_alu instid0(VALU_DEP_1) | instskip(SKIP_1) | instid1(VALU_DEP_2)
	v_subrev_nc_u32_e32 v102, 28, v100
	v_sub_nc_u32_e32 v100, 29, v100
	v_lshlrev_b64 v[112:113], v102, v[8:9]
	s_delay_alu instid0(VALU_DEP_1)
	v_and_b32_e32 v8, 7, v112
; %bb.151:                              ;   in Loop: Header=BB329_10 Depth=1
	s_or_b32 exec_lo, exec_lo, s21
	v_lshlrev_b32_e32 v101, 8, v101
	v_lshl_add_u32 v100, v100, 10, 0x2000
	s_delay_alu instid0(VALU_DEP_1) | instskip(NEXT) | instid1(VALU_DEP_1)
	v_and_or_b32 v100, 0x8000, v101, v100
	v_lshl_or_b32 v8, v8, 7, v100
	s_delay_alu instid0(VALU_DEP_1)
	v_cvt_f32_f16_e32 v100, v8
.LBB329_152:                            ;   in Loop: Header=BB329_10 Depth=1
	s_or_b32 exec_lo, exec_lo, s20
.LBB329_153:                            ;   in Loop: Header=BB329_10 Depth=1
	s_delay_alu instid0(SALU_CYCLE_1)
	s_or_b32 exec_lo, exec_lo, s19
.LBB329_154:                            ;   in Loop: Header=BB329_10 Depth=1
	s_delay_alu instid0(SALU_CYCLE_1) | instskip(SKIP_2) | instid1(VALU_DEP_1)
	s_or_b32 exec_lo, exec_lo, s3
	v_lshrrev_b32_e32 v101, 16, v103
	s_mov_b32 s3, exec_lo
	v_and_b32_e32 v8, 0xff, v101
	s_delay_alu instid0(VALU_DEP_1)
	v_cmpx_ne_u16_e32 0, v8
	s_cbranch_execz .LBB329_162
; %bb.155:                              ;   in Loop: Header=BB329_10 Depth=1
	v_bfrev_b32_e32 v99, 1
	s_mov_b32 s19, exec_lo
	v_cmpx_ne_u16_e32 0x80, v8
	s_cbranch_execz .LBB329_161
; %bb.156:                              ;   in Loop: Header=BB329_10 Depth=1
	v_bfe_u32 v102, v103, 16, 7
	v_mov_b32_e32 v99, 0x7fc02000
	s_mov_b32 s20, exec_lo
	s_delay_alu instid0(VALU_DEP_2)
	v_cmpx_ne_u32_e32 0x7f, v102
	s_cbranch_execz .LBB329_160
; %bb.157:                              ;   in Loop: Header=BB329_10 Depth=1
	v_and_b32_e32 v8, 7, v101
	v_lshrrev_b32_e32 v99, 3, v102
	s_mov_b32 s21, exec_lo
	v_cmpx_gt_u32_e32 8, v102
; %bb.158:                              ;   in Loop: Header=BB329_10 Depth=1
	s_delay_alu instid0(VALU_DEP_3) | instskip(NEXT) | instid1(VALU_DEP_1)
	v_clz_i32_u32_e32 v99, v8
	v_min_u32_e32 v99, 32, v99
	s_delay_alu instid0(VALU_DEP_1) | instskip(SKIP_1) | instid1(VALU_DEP_2)
	v_subrev_nc_u32_e32 v102, 28, v99
	v_sub_nc_u32_e32 v99, 29, v99
	v_lshlrev_b64 v[112:113], v102, v[8:9]
	s_delay_alu instid0(VALU_DEP_1)
	v_and_b32_e32 v8, 7, v112
; %bb.159:                              ;   in Loop: Header=BB329_10 Depth=1
	s_or_b32 exec_lo, exec_lo, s21
	v_lshlrev_b32_e32 v101, 8, v101
	v_lshl_add_u32 v99, v99, 10, 0x2000
	s_delay_alu instid0(VALU_DEP_1) | instskip(NEXT) | instid1(VALU_DEP_1)
	v_and_or_b32 v99, 0x8000, v101, v99
	v_lshl_or_b32 v8, v8, 7, v99
	s_delay_alu instid0(VALU_DEP_1)
	v_cvt_f32_f16_e32 v99, v8
.LBB329_160:                            ;   in Loop: Header=BB329_10 Depth=1
	s_or_b32 exec_lo, exec_lo, s20
.LBB329_161:                            ;   in Loop: Header=BB329_10 Depth=1
	s_delay_alu instid0(SALU_CYCLE_1)
	s_or_b32 exec_lo, exec_lo, s19
.LBB329_162:                            ;   in Loop: Header=BB329_10 Depth=1
	s_delay_alu instid0(SALU_CYCLE_1)
	s_or_b32 exec_lo, exec_lo, s3
	v_dual_mov_b32 v102, 0 :: v_dual_mov_b32 v101, 0
	s_mov_b32 s3, exec_lo
	v_cmpx_lt_u32_e32 0xffffff, v103
	s_cbranch_execz .LBB329_170
; %bb.163:                              ;   in Loop: Header=BB329_10 Depth=1
	v_lshrrev_b32_e32 v103, 24, v103
	v_bfrev_b32_e32 v101, 1
	s_mov_b32 s19, exec_lo
	s_delay_alu instid0(VALU_DEP_2)
	v_cmpx_ne_u32_e32 0x80, v103
	s_cbranch_execz .LBB329_169
; %bb.164:                              ;   in Loop: Header=BB329_10 Depth=1
	v_and_b32_e32 v112, 0x7f, v103
	v_mov_b32_e32 v101, 0x7fc02000
	s_mov_b32 s20, exec_lo
	s_delay_alu instid0(VALU_DEP_2)
	v_cmpx_ne_u32_e32 0x7f, v112
	s_cbranch_execz .LBB329_168
; %bb.165:                              ;   in Loop: Header=BB329_10 Depth=1
	v_and_b32_e32 v8, 7, v103
	v_lshrrev_b32_e32 v101, 3, v112
	s_mov_b32 s21, exec_lo
	v_cmpx_gt_u32_e32 8, v112
; %bb.166:                              ;   in Loop: Header=BB329_10 Depth=1
	s_delay_alu instid0(VALU_DEP_3) | instskip(NEXT) | instid1(VALU_DEP_1)
	v_clz_i32_u32_e32 v101, v8
	v_min_u32_e32 v101, 32, v101
	s_delay_alu instid0(VALU_DEP_1) | instskip(SKIP_1) | instid1(VALU_DEP_2)
	v_subrev_nc_u32_e32 v112, 28, v101
	v_sub_nc_u32_e32 v101, 29, v101
	v_lshlrev_b64 v[112:113], v112, v[8:9]
	s_delay_alu instid0(VALU_DEP_1)
	v_and_b32_e32 v8, 7, v112
; %bb.167:                              ;   in Loop: Header=BB329_10 Depth=1
	s_or_b32 exec_lo, exec_lo, s21
	v_lshlrev_b32_e32 v103, 8, v103
	v_lshl_add_u32 v101, v101, 10, 0x2000
	s_delay_alu instid0(VALU_DEP_1) | instskip(NEXT) | instid1(VALU_DEP_1)
	v_and_or_b32 v101, 0x8000, v103, v101
	v_lshl_or_b32 v8, v8, 7, v101
	s_delay_alu instid0(VALU_DEP_1)
	v_cvt_f32_f16_e32 v101, v8
.LBB329_168:                            ;   in Loop: Header=BB329_10 Depth=1
	s_or_b32 exec_lo, exec_lo, s20
.LBB329_169:                            ;   in Loop: Header=BB329_10 Depth=1
	s_delay_alu instid0(SALU_CYCLE_1)
	s_or_b32 exec_lo, exec_lo, s19
.LBB329_170:                            ;   in Loop: Header=BB329_10 Depth=1
	s_delay_alu instid0(SALU_CYCLE_1) | instskip(SKIP_4) | instid1(VALU_DEP_1)
	s_or_b32 exec_lo, exec_lo, s3
	flat_load_b32 v115, v[28:29] offset:520
	s_mov_b32 s3, exec_lo
	s_waitcnt vmcnt(0) lgkmcnt(0)
	v_and_b32_e32 v8, 0xff, v115
	v_cmpx_ne_u16_e32 0, v8
	s_cbranch_execz .LBB329_178
; %bb.171:                              ;   in Loop: Header=BB329_10 Depth=1
	v_bfrev_b32_e32 v102, 1
	s_mov_b32 s19, exec_lo
	v_cmpx_ne_u16_e32 0x80, v8
	s_cbranch_execz .LBB329_177
; %bb.172:                              ;   in Loop: Header=BB329_10 Depth=1
	v_and_b32_e32 v103, 0x7f, v115
	v_mov_b32_e32 v102, 0x7fc02000
	s_mov_b32 s20, exec_lo
	s_delay_alu instid0(VALU_DEP_2)
	v_cmpx_ne_u32_e32 0x7f, v103
	s_cbranch_execz .LBB329_176
; %bb.173:                              ;   in Loop: Header=BB329_10 Depth=1
	v_and_b32_e32 v8, 7, v115
	v_lshrrev_b32_e32 v102, 3, v103
	s_mov_b32 s21, exec_lo
	v_cmpx_gt_u32_e32 8, v103
; %bb.174:                              ;   in Loop: Header=BB329_10 Depth=1
	s_delay_alu instid0(VALU_DEP_3) | instskip(NEXT) | instid1(VALU_DEP_1)
	v_clz_i32_u32_e32 v102, v8
	v_min_u32_e32 v102, 32, v102
	s_delay_alu instid0(VALU_DEP_1) | instskip(SKIP_1) | instid1(VALU_DEP_2)
	v_subrev_nc_u32_e32 v103, 28, v102
	v_sub_nc_u32_e32 v102, 29, v102
	v_lshlrev_b64 v[112:113], v103, v[8:9]
	s_delay_alu instid0(VALU_DEP_1)
	v_and_b32_e32 v8, 7, v112
; %bb.175:                              ;   in Loop: Header=BB329_10 Depth=1
	s_or_b32 exec_lo, exec_lo, s21
	v_lshlrev_b32_e32 v103, 8, v115
	v_lshl_add_u32 v102, v102, 10, 0x2000
	s_delay_alu instid0(VALU_DEP_1) | instskip(NEXT) | instid1(VALU_DEP_1)
	v_and_or_b32 v102, 0x8000, v103, v102
	v_lshl_or_b32 v8, v8, 7, v102
	s_delay_alu instid0(VALU_DEP_1)
	v_cvt_f32_f16_e32 v102, v8
.LBB329_176:                            ;   in Loop: Header=BB329_10 Depth=1
	s_or_b32 exec_lo, exec_lo, s20
.LBB329_177:                            ;   in Loop: Header=BB329_10 Depth=1
	s_delay_alu instid0(SALU_CYCLE_1)
	s_or_b32 exec_lo, exec_lo, s19
.LBB329_178:                            ;   in Loop: Header=BB329_10 Depth=1
	s_delay_alu instid0(SALU_CYCLE_1) | instskip(SKIP_3) | instid1(VALU_DEP_2)
	s_or_b32 exec_lo, exec_lo, s3
	v_lshrrev_b16 v8, 8, v115
	v_dual_mov_b32 v103, 0 :: v_dual_mov_b32 v112, 0
	s_mov_b32 s3, exec_lo
	v_cmpx_ne_u16_e32 0, v8
	s_cbranch_execz .LBB329_186
; %bb.179:                              ;   in Loop: Header=BB329_10 Depth=1
	v_bfrev_b32_e32 v112, 1
	s_mov_b32 s19, exec_lo
	v_cmpx_ne_u16_e32 0x80, v8
	s_cbranch_execz .LBB329_185
; %bb.180:                              ;   in Loop: Header=BB329_10 Depth=1
	v_and_b32_e32 v113, 0xffff, v8
	v_mov_b32_e32 v112, 0x7fc02000
	s_mov_b32 s20, exec_lo
	s_delay_alu instid0(VALU_DEP_2) | instskip(NEXT) | instid1(VALU_DEP_1)
	v_and_b32_e32 v114, 0x7f, v113
	v_cmpx_ne_u32_e32 0x7f, v114
	s_cbranch_execz .LBB329_184
; %bb.181:                              ;   in Loop: Header=BB329_10 Depth=1
	v_and_b32_e32 v8, 7, v113
	v_lshrrev_b32_e32 v112, 3, v114
	s_mov_b32 s21, exec_lo
	v_cmpx_gt_u32_e32 8, v114
; %bb.182:                              ;   in Loop: Header=BB329_10 Depth=1
	s_delay_alu instid0(VALU_DEP_3) | instskip(NEXT) | instid1(VALU_DEP_1)
	v_clz_i32_u32_e32 v112, v8
	v_min_u32_e32 v112, 32, v112
	s_delay_alu instid0(VALU_DEP_1) | instskip(SKIP_1) | instid1(VALU_DEP_2)
	v_subrev_nc_u32_e32 v114, 28, v112
	v_sub_nc_u32_e32 v112, 29, v112
	v_lshlrev_b64 v[116:117], v114, v[8:9]
	s_delay_alu instid0(VALU_DEP_1)
	v_and_b32_e32 v8, 7, v116
; %bb.183:                              ;   in Loop: Header=BB329_10 Depth=1
	s_or_b32 exec_lo, exec_lo, s21
	v_lshlrev_b32_e32 v113, 8, v113
	v_lshl_add_u32 v112, v112, 10, 0x2000
	s_delay_alu instid0(VALU_DEP_1) | instskip(NEXT) | instid1(VALU_DEP_1)
	v_and_or_b32 v112, 0x8000, v113, v112
	v_lshl_or_b32 v8, v8, 7, v112
	s_delay_alu instid0(VALU_DEP_1)
	v_cvt_f32_f16_e32 v112, v8
.LBB329_184:                            ;   in Loop: Header=BB329_10 Depth=1
	s_or_b32 exec_lo, exec_lo, s20
.LBB329_185:                            ;   in Loop: Header=BB329_10 Depth=1
	s_delay_alu instid0(SALU_CYCLE_1)
	s_or_b32 exec_lo, exec_lo, s19
.LBB329_186:                            ;   in Loop: Header=BB329_10 Depth=1
	s_delay_alu instid0(SALU_CYCLE_1) | instskip(SKIP_2) | instid1(VALU_DEP_1)
	s_or_b32 exec_lo, exec_lo, s3
	v_lshrrev_b32_e32 v113, 16, v115
	s_mov_b32 s3, exec_lo
	v_and_b32_e32 v8, 0xff, v113
	s_delay_alu instid0(VALU_DEP_1)
	v_cmpx_ne_u16_e32 0, v8
	s_cbranch_execz .LBB329_194
; %bb.187:                              ;   in Loop: Header=BB329_10 Depth=1
	v_bfrev_b32_e32 v103, 1
	s_mov_b32 s19, exec_lo
	v_cmpx_ne_u16_e32 0x80, v8
	s_cbranch_execz .LBB329_193
; %bb.188:                              ;   in Loop: Header=BB329_10 Depth=1
	v_bfe_u32 v114, v115, 16, 7
	v_mov_b32_e32 v103, 0x7fc02000
	s_mov_b32 s20, exec_lo
	s_delay_alu instid0(VALU_DEP_2)
	v_cmpx_ne_u32_e32 0x7f, v114
	s_cbranch_execz .LBB329_192
; %bb.189:                              ;   in Loop: Header=BB329_10 Depth=1
	v_and_b32_e32 v8, 7, v113
	v_lshrrev_b32_e32 v103, 3, v114
	s_mov_b32 s21, exec_lo
	v_cmpx_gt_u32_e32 8, v114
; %bb.190:                              ;   in Loop: Header=BB329_10 Depth=1
	s_delay_alu instid0(VALU_DEP_3) | instskip(NEXT) | instid1(VALU_DEP_1)
	v_clz_i32_u32_e32 v103, v8
	v_min_u32_e32 v103, 32, v103
	s_delay_alu instid0(VALU_DEP_1) | instskip(SKIP_1) | instid1(VALU_DEP_2)
	v_subrev_nc_u32_e32 v114, 28, v103
	v_sub_nc_u32_e32 v103, 29, v103
	v_lshlrev_b64 v[116:117], v114, v[8:9]
	s_delay_alu instid0(VALU_DEP_1)
	v_and_b32_e32 v8, 7, v116
; %bb.191:                              ;   in Loop: Header=BB329_10 Depth=1
	s_or_b32 exec_lo, exec_lo, s21
	v_lshlrev_b32_e32 v113, 8, v113
	v_lshl_add_u32 v103, v103, 10, 0x2000
	s_delay_alu instid0(VALU_DEP_1) | instskip(NEXT) | instid1(VALU_DEP_1)
	v_and_or_b32 v103, 0x8000, v113, v103
	v_lshl_or_b32 v8, v8, 7, v103
	s_delay_alu instid0(VALU_DEP_1)
	v_cvt_f32_f16_e32 v103, v8
.LBB329_192:                            ;   in Loop: Header=BB329_10 Depth=1
	s_or_b32 exec_lo, exec_lo, s20
.LBB329_193:                            ;   in Loop: Header=BB329_10 Depth=1
	s_delay_alu instid0(SALU_CYCLE_1)
	s_or_b32 exec_lo, exec_lo, s19
.LBB329_194:                            ;   in Loop: Header=BB329_10 Depth=1
	s_delay_alu instid0(SALU_CYCLE_1)
	s_or_b32 exec_lo, exec_lo, s3
	v_dual_mov_b32 v114, 0 :: v_dual_mov_b32 v113, 0
	s_mov_b32 s3, exec_lo
	v_cmpx_lt_u32_e32 0xffffff, v115
	s_cbranch_execz .LBB329_202
; %bb.195:                              ;   in Loop: Header=BB329_10 Depth=1
	v_lshrrev_b32_e32 v115, 24, v115
	v_bfrev_b32_e32 v113, 1
	s_mov_b32 s19, exec_lo
	s_delay_alu instid0(VALU_DEP_2)
	v_cmpx_ne_u32_e32 0x80, v115
	s_cbranch_execz .LBB329_201
; %bb.196:                              ;   in Loop: Header=BB329_10 Depth=1
	v_and_b32_e32 v116, 0x7f, v115
	v_mov_b32_e32 v113, 0x7fc02000
	s_mov_b32 s20, exec_lo
	s_delay_alu instid0(VALU_DEP_2)
	v_cmpx_ne_u32_e32 0x7f, v116
	s_cbranch_execz .LBB329_200
; %bb.197:                              ;   in Loop: Header=BB329_10 Depth=1
	v_and_b32_e32 v8, 7, v115
	v_lshrrev_b32_e32 v113, 3, v116
	s_mov_b32 s21, exec_lo
	v_cmpx_gt_u32_e32 8, v116
; %bb.198:                              ;   in Loop: Header=BB329_10 Depth=1
	s_delay_alu instid0(VALU_DEP_3) | instskip(NEXT) | instid1(VALU_DEP_1)
	v_clz_i32_u32_e32 v113, v8
	v_min_u32_e32 v113, 32, v113
	s_delay_alu instid0(VALU_DEP_1) | instskip(SKIP_1) | instid1(VALU_DEP_2)
	v_subrev_nc_u32_e32 v116, 28, v113
	v_sub_nc_u32_e32 v113, 29, v113
	v_lshlrev_b64 v[116:117], v116, v[8:9]
	s_delay_alu instid0(VALU_DEP_1)
	v_and_b32_e32 v8, 7, v116
; %bb.199:                              ;   in Loop: Header=BB329_10 Depth=1
	s_or_b32 exec_lo, exec_lo, s21
	v_lshlrev_b32_e32 v115, 8, v115
	v_lshl_add_u32 v113, v113, 10, 0x2000
	s_delay_alu instid0(VALU_DEP_1) | instskip(NEXT) | instid1(VALU_DEP_1)
	v_and_or_b32 v113, 0x8000, v115, v113
	v_lshl_or_b32 v8, v8, 7, v113
	s_delay_alu instid0(VALU_DEP_1)
	v_cvt_f32_f16_e32 v113, v8
.LBB329_200:                            ;   in Loop: Header=BB329_10 Depth=1
	s_or_b32 exec_lo, exec_lo, s20
.LBB329_201:                            ;   in Loop: Header=BB329_10 Depth=1
	s_delay_alu instid0(SALU_CYCLE_1)
	s_or_b32 exec_lo, exec_lo, s19
.LBB329_202:                            ;   in Loop: Header=BB329_10 Depth=1
	s_delay_alu instid0(SALU_CYCLE_1) | instskip(SKIP_4) | instid1(VALU_DEP_1)
	s_or_b32 exec_lo, exec_lo, s3
	flat_load_b32 v119, v[28:29] offset:768
	s_mov_b32 s3, exec_lo
	s_waitcnt vmcnt(0) lgkmcnt(0)
	v_and_b32_e32 v8, 0xff, v119
	v_cmpx_ne_u16_e32 0, v8
	s_cbranch_execz .LBB329_210
; %bb.203:                              ;   in Loop: Header=BB329_10 Depth=1
	v_bfrev_b32_e32 v114, 1
	s_mov_b32 s19, exec_lo
	v_cmpx_ne_u16_e32 0x80, v8
	s_cbranch_execz .LBB329_209
; %bb.204:                              ;   in Loop: Header=BB329_10 Depth=1
	v_and_b32_e32 v115, 0x7f, v119
	v_mov_b32_e32 v114, 0x7fc02000
	s_mov_b32 s20, exec_lo
	s_delay_alu instid0(VALU_DEP_2)
	v_cmpx_ne_u32_e32 0x7f, v115
	s_cbranch_execz .LBB329_208
; %bb.205:                              ;   in Loop: Header=BB329_10 Depth=1
	v_and_b32_e32 v8, 7, v119
	v_lshrrev_b32_e32 v114, 3, v115
	s_mov_b32 s21, exec_lo
	v_cmpx_gt_u32_e32 8, v115
; %bb.206:                              ;   in Loop: Header=BB329_10 Depth=1
	s_delay_alu instid0(VALU_DEP_3) | instskip(NEXT) | instid1(VALU_DEP_1)
	v_clz_i32_u32_e32 v114, v8
	v_min_u32_e32 v114, 32, v114
	s_delay_alu instid0(VALU_DEP_1) | instskip(SKIP_1) | instid1(VALU_DEP_2)
	v_subrev_nc_u32_e32 v115, 28, v114
	v_sub_nc_u32_e32 v114, 29, v114
	v_lshlrev_b64 v[115:116], v115, v[8:9]
	s_delay_alu instid0(VALU_DEP_1)
	v_and_b32_e32 v8, 7, v115
; %bb.207:                              ;   in Loop: Header=BB329_10 Depth=1
	s_or_b32 exec_lo, exec_lo, s21
	v_lshlrev_b32_e32 v115, 8, v119
	v_lshl_add_u32 v114, v114, 10, 0x2000
	s_delay_alu instid0(VALU_DEP_1) | instskip(NEXT) | instid1(VALU_DEP_1)
	v_and_or_b32 v114, 0x8000, v115, v114
	v_lshl_or_b32 v8, v8, 7, v114
	s_delay_alu instid0(VALU_DEP_1)
	v_cvt_f32_f16_e32 v114, v8
.LBB329_208:                            ;   in Loop: Header=BB329_10 Depth=1
	s_or_b32 exec_lo, exec_lo, s20
.LBB329_209:                            ;   in Loop: Header=BB329_10 Depth=1
	s_delay_alu instid0(SALU_CYCLE_1)
	s_or_b32 exec_lo, exec_lo, s19
.LBB329_210:                            ;   in Loop: Header=BB329_10 Depth=1
	s_delay_alu instid0(SALU_CYCLE_1) | instskip(SKIP_3) | instid1(VALU_DEP_2)
	s_or_b32 exec_lo, exec_lo, s3
	v_lshrrev_b16 v8, 8, v119
	v_dual_mov_b32 v115, 0 :: v_dual_mov_b32 v116, 0
	s_mov_b32 s3, exec_lo
	v_cmpx_ne_u16_e32 0, v8
	s_cbranch_execz .LBB329_218
; %bb.211:                              ;   in Loop: Header=BB329_10 Depth=1
	v_bfrev_b32_e32 v116, 1
	s_mov_b32 s19, exec_lo
	v_cmpx_ne_u16_e32 0x80, v8
	s_cbranch_execz .LBB329_217
; %bb.212:                              ;   in Loop: Header=BB329_10 Depth=1
	v_and_b32_e32 v117, 0xffff, v8
	v_mov_b32_e32 v116, 0x7fc02000
	s_mov_b32 s20, exec_lo
	s_delay_alu instid0(VALU_DEP_2) | instskip(NEXT) | instid1(VALU_DEP_1)
	v_and_b32_e32 v118, 0x7f, v117
	v_cmpx_ne_u32_e32 0x7f, v118
	s_cbranch_execz .LBB329_216
; %bb.213:                              ;   in Loop: Header=BB329_10 Depth=1
	v_and_b32_e32 v8, 7, v117
	v_lshrrev_b32_e32 v116, 3, v118
	s_mov_b32 s21, exec_lo
	v_cmpx_gt_u32_e32 8, v118
; %bb.214:                              ;   in Loop: Header=BB329_10 Depth=1
	s_delay_alu instid0(VALU_DEP_3) | instskip(NEXT) | instid1(VALU_DEP_1)
	v_clz_i32_u32_e32 v116, v8
	v_min_u32_e32 v116, 32, v116
	s_delay_alu instid0(VALU_DEP_1) | instskip(SKIP_1) | instid1(VALU_DEP_2)
	v_subrev_nc_u32_e32 v118, 28, v116
	v_sub_nc_u32_e32 v116, 29, v116
	v_lshlrev_b64 v[128:129], v118, v[8:9]
	s_delay_alu instid0(VALU_DEP_1)
	v_and_b32_e32 v8, 7, v128
; %bb.215:                              ;   in Loop: Header=BB329_10 Depth=1
	s_or_b32 exec_lo, exec_lo, s21
	v_lshlrev_b32_e32 v117, 8, v117
	v_lshl_add_u32 v116, v116, 10, 0x2000
	s_delay_alu instid0(VALU_DEP_1) | instskip(NEXT) | instid1(VALU_DEP_1)
	v_and_or_b32 v116, 0x8000, v117, v116
	v_lshl_or_b32 v8, v8, 7, v116
	s_delay_alu instid0(VALU_DEP_1)
	v_cvt_f32_f16_e32 v116, v8
.LBB329_216:                            ;   in Loop: Header=BB329_10 Depth=1
	s_or_b32 exec_lo, exec_lo, s20
.LBB329_217:                            ;   in Loop: Header=BB329_10 Depth=1
	s_delay_alu instid0(SALU_CYCLE_1)
	s_or_b32 exec_lo, exec_lo, s19
.LBB329_218:                            ;   in Loop: Header=BB329_10 Depth=1
	s_delay_alu instid0(SALU_CYCLE_1) | instskip(SKIP_2) | instid1(VALU_DEP_1)
	s_or_b32 exec_lo, exec_lo, s3
	v_lshrrev_b32_e32 v117, 16, v119
	s_mov_b32 s3, exec_lo
	v_and_b32_e32 v8, 0xff, v117
	s_delay_alu instid0(VALU_DEP_1)
	v_cmpx_ne_u16_e32 0, v8
	s_cbranch_execz .LBB329_226
; %bb.219:                              ;   in Loop: Header=BB329_10 Depth=1
	v_bfrev_b32_e32 v115, 1
	s_mov_b32 s19, exec_lo
	v_cmpx_ne_u16_e32 0x80, v8
	s_cbranch_execz .LBB329_225
; %bb.220:                              ;   in Loop: Header=BB329_10 Depth=1
	v_bfe_u32 v118, v119, 16, 7
	v_mov_b32_e32 v115, 0x7fc02000
	s_mov_b32 s20, exec_lo
	s_delay_alu instid0(VALU_DEP_2)
	v_cmpx_ne_u32_e32 0x7f, v118
	s_cbranch_execz .LBB329_224
; %bb.221:                              ;   in Loop: Header=BB329_10 Depth=1
	v_and_b32_e32 v8, 7, v117
	v_lshrrev_b32_e32 v115, 3, v118
	s_mov_b32 s21, exec_lo
	v_cmpx_gt_u32_e32 8, v118
; %bb.222:                              ;   in Loop: Header=BB329_10 Depth=1
	s_delay_alu instid0(VALU_DEP_3) | instskip(NEXT) | instid1(VALU_DEP_1)
	v_clz_i32_u32_e32 v115, v8
	v_min_u32_e32 v115, 32, v115
	s_delay_alu instid0(VALU_DEP_1) | instskip(SKIP_1) | instid1(VALU_DEP_2)
	v_subrev_nc_u32_e32 v118, 28, v115
	v_sub_nc_u32_e32 v115, 29, v115
	v_lshlrev_b64 v[128:129], v118, v[8:9]
	s_delay_alu instid0(VALU_DEP_1)
	v_and_b32_e32 v8, 7, v128
; %bb.223:                              ;   in Loop: Header=BB329_10 Depth=1
	s_or_b32 exec_lo, exec_lo, s21
	v_lshlrev_b32_e32 v117, 8, v117
	v_lshl_add_u32 v115, v115, 10, 0x2000
	s_delay_alu instid0(VALU_DEP_1) | instskip(NEXT) | instid1(VALU_DEP_1)
	v_and_or_b32 v115, 0x8000, v117, v115
	v_lshl_or_b32 v8, v8, 7, v115
	s_delay_alu instid0(VALU_DEP_1)
	v_cvt_f32_f16_e32 v115, v8
.LBB329_224:                            ;   in Loop: Header=BB329_10 Depth=1
	s_or_b32 exec_lo, exec_lo, s20
.LBB329_225:                            ;   in Loop: Header=BB329_10 Depth=1
	s_delay_alu instid0(SALU_CYCLE_1)
	s_or_b32 exec_lo, exec_lo, s19
.LBB329_226:                            ;   in Loop: Header=BB329_10 Depth=1
	s_delay_alu instid0(SALU_CYCLE_1)
	s_or_b32 exec_lo, exec_lo, s3
	v_dual_mov_b32 v118, 0 :: v_dual_mov_b32 v117, 0
	s_mov_b32 s3, exec_lo
	v_cmpx_lt_u32_e32 0xffffff, v119
	s_cbranch_execz .LBB329_234
; %bb.227:                              ;   in Loop: Header=BB329_10 Depth=1
	v_lshrrev_b32_e32 v119, 24, v119
	v_bfrev_b32_e32 v117, 1
	s_mov_b32 s19, exec_lo
	s_delay_alu instid0(VALU_DEP_2)
	v_cmpx_ne_u32_e32 0x80, v119
	s_cbranch_execz .LBB329_233
; %bb.228:                              ;   in Loop: Header=BB329_10 Depth=1
	v_and_b32_e32 v128, 0x7f, v119
	v_mov_b32_e32 v117, 0x7fc02000
	s_mov_b32 s20, exec_lo
	s_delay_alu instid0(VALU_DEP_2)
	v_cmpx_ne_u32_e32 0x7f, v128
	s_cbranch_execz .LBB329_232
; %bb.229:                              ;   in Loop: Header=BB329_10 Depth=1
	v_and_b32_e32 v8, 7, v119
	v_lshrrev_b32_e32 v117, 3, v128
	s_mov_b32 s21, exec_lo
	v_cmpx_gt_u32_e32 8, v128
; %bb.230:                              ;   in Loop: Header=BB329_10 Depth=1
	s_delay_alu instid0(VALU_DEP_3) | instskip(NEXT) | instid1(VALU_DEP_1)
	v_clz_i32_u32_e32 v117, v8
	v_min_u32_e32 v117, 32, v117
	s_delay_alu instid0(VALU_DEP_1) | instskip(SKIP_1) | instid1(VALU_DEP_2)
	v_subrev_nc_u32_e32 v128, 28, v117
	v_sub_nc_u32_e32 v117, 29, v117
	v_lshlrev_b64 v[128:129], v128, v[8:9]
	s_delay_alu instid0(VALU_DEP_1)
	v_and_b32_e32 v8, 7, v128
; %bb.231:                              ;   in Loop: Header=BB329_10 Depth=1
	s_or_b32 exec_lo, exec_lo, s21
	v_lshlrev_b32_e32 v119, 8, v119
	v_lshl_add_u32 v117, v117, 10, 0x2000
	s_delay_alu instid0(VALU_DEP_1) | instskip(NEXT) | instid1(VALU_DEP_1)
	v_and_or_b32 v117, 0x8000, v119, v117
	v_lshl_or_b32 v8, v8, 7, v117
	s_delay_alu instid0(VALU_DEP_1)
	v_cvt_f32_f16_e32 v117, v8
.LBB329_232:                            ;   in Loop: Header=BB329_10 Depth=1
	s_or_b32 exec_lo, exec_lo, s20
.LBB329_233:                            ;   in Loop: Header=BB329_10 Depth=1
	s_delay_alu instid0(SALU_CYCLE_1)
	s_or_b32 exec_lo, exec_lo, s19
.LBB329_234:                            ;   in Loop: Header=BB329_10 Depth=1
	s_delay_alu instid0(SALU_CYCLE_1) | instskip(SKIP_4) | instid1(VALU_DEP_1)
	s_or_b32 exec_lo, exec_lo, s3
	flat_load_b32 v131, v[28:29] offset:776
	s_mov_b32 s3, exec_lo
	s_waitcnt vmcnt(0) lgkmcnt(0)
	v_and_b32_e32 v8, 0xff, v131
	v_cmpx_ne_u16_e32 0, v8
	s_cbranch_execz .LBB329_242
; %bb.235:                              ;   in Loop: Header=BB329_10 Depth=1
	v_bfrev_b32_e32 v118, 1
	s_mov_b32 s19, exec_lo
	v_cmpx_ne_u16_e32 0x80, v8
	s_cbranch_execz .LBB329_241
; %bb.236:                              ;   in Loop: Header=BB329_10 Depth=1
	v_and_b32_e32 v119, 0x7f, v131
	v_mov_b32_e32 v118, 0x7fc02000
	s_mov_b32 s20, exec_lo
	s_delay_alu instid0(VALU_DEP_2)
	v_cmpx_ne_u32_e32 0x7f, v119
	s_cbranch_execz .LBB329_240
; %bb.237:                              ;   in Loop: Header=BB329_10 Depth=1
	v_and_b32_e32 v8, 7, v131
	v_lshrrev_b32_e32 v118, 3, v119
	s_mov_b32 s21, exec_lo
	v_cmpx_gt_u32_e32 8, v119
; %bb.238:                              ;   in Loop: Header=BB329_10 Depth=1
	s_delay_alu instid0(VALU_DEP_3) | instskip(NEXT) | instid1(VALU_DEP_1)
	v_clz_i32_u32_e32 v118, v8
	v_min_u32_e32 v118, 32, v118
	s_delay_alu instid0(VALU_DEP_1) | instskip(SKIP_1) | instid1(VALU_DEP_2)
	v_subrev_nc_u32_e32 v119, 28, v118
	v_sub_nc_u32_e32 v118, 29, v118
	v_lshlrev_b64 v[128:129], v119, v[8:9]
	s_delay_alu instid0(VALU_DEP_1)
	v_and_b32_e32 v8, 7, v128
; %bb.239:                              ;   in Loop: Header=BB329_10 Depth=1
	s_or_b32 exec_lo, exec_lo, s21
	v_lshlrev_b32_e32 v119, 8, v131
	v_lshl_add_u32 v118, v118, 10, 0x2000
	s_delay_alu instid0(VALU_DEP_1) | instskip(NEXT) | instid1(VALU_DEP_1)
	v_and_or_b32 v118, 0x8000, v119, v118
	v_lshl_or_b32 v8, v8, 7, v118
	s_delay_alu instid0(VALU_DEP_1)
	v_cvt_f32_f16_e32 v118, v8
.LBB329_240:                            ;   in Loop: Header=BB329_10 Depth=1
	s_or_b32 exec_lo, exec_lo, s20
.LBB329_241:                            ;   in Loop: Header=BB329_10 Depth=1
	s_delay_alu instid0(SALU_CYCLE_1)
	s_or_b32 exec_lo, exec_lo, s19
.LBB329_242:                            ;   in Loop: Header=BB329_10 Depth=1
	s_delay_alu instid0(SALU_CYCLE_1) | instskip(SKIP_3) | instid1(VALU_DEP_2)
	s_or_b32 exec_lo, exec_lo, s3
	v_lshrrev_b16 v8, 8, v131
	v_dual_mov_b32 v119, 0 :: v_dual_mov_b32 v128, 0
	s_mov_b32 s3, exec_lo
	v_cmpx_ne_u16_e32 0, v8
	s_cbranch_execz .LBB329_250
; %bb.243:                              ;   in Loop: Header=BB329_10 Depth=1
	v_bfrev_b32_e32 v128, 1
	s_mov_b32 s19, exec_lo
	v_cmpx_ne_u16_e32 0x80, v8
	s_cbranch_execz .LBB329_249
; %bb.244:                              ;   in Loop: Header=BB329_10 Depth=1
	v_and_b32_e32 v129, 0xffff, v8
	v_mov_b32_e32 v128, 0x7fc02000
	s_mov_b32 s20, exec_lo
	s_delay_alu instid0(VALU_DEP_2) | instskip(NEXT) | instid1(VALU_DEP_1)
	v_and_b32_e32 v130, 0x7f, v129
	v_cmpx_ne_u32_e32 0x7f, v130
	s_cbranch_execz .LBB329_248
; %bb.245:                              ;   in Loop: Header=BB329_10 Depth=1
	v_and_b32_e32 v8, 7, v129
	v_lshrrev_b32_e32 v128, 3, v130
	s_mov_b32 s21, exec_lo
	v_cmpx_gt_u32_e32 8, v130
; %bb.246:                              ;   in Loop: Header=BB329_10 Depth=1
	s_delay_alu instid0(VALU_DEP_3) | instskip(NEXT) | instid1(VALU_DEP_1)
	v_clz_i32_u32_e32 v128, v8
	v_min_u32_e32 v128, 32, v128
	s_delay_alu instid0(VALU_DEP_1) | instskip(SKIP_1) | instid1(VALU_DEP_2)
	v_subrev_nc_u32_e32 v130, 28, v128
	v_sub_nc_u32_e32 v128, 29, v128
	v_lshlrev_b64 v[132:133], v130, v[8:9]
	s_delay_alu instid0(VALU_DEP_1)
	v_and_b32_e32 v8, 7, v132
; %bb.247:                              ;   in Loop: Header=BB329_10 Depth=1
	s_or_b32 exec_lo, exec_lo, s21
	v_lshlrev_b32_e32 v129, 8, v129
	v_lshl_add_u32 v128, v128, 10, 0x2000
	s_delay_alu instid0(VALU_DEP_1) | instskip(NEXT) | instid1(VALU_DEP_1)
	v_and_or_b32 v128, 0x8000, v129, v128
	v_lshl_or_b32 v8, v8, 7, v128
	s_delay_alu instid0(VALU_DEP_1)
	v_cvt_f32_f16_e64 v128, v8
.LBB329_248:                            ;   in Loop: Header=BB329_10 Depth=1
	s_or_b32 exec_lo, exec_lo, s20
.LBB329_249:                            ;   in Loop: Header=BB329_10 Depth=1
	s_delay_alu instid0(SALU_CYCLE_1)
	s_or_b32 exec_lo, exec_lo, s19
.LBB329_250:                            ;   in Loop: Header=BB329_10 Depth=1
	s_delay_alu instid0(SALU_CYCLE_1) | instskip(SKIP_2) | instid1(VALU_DEP_1)
	s_or_b32 exec_lo, exec_lo, s3
	v_lshrrev_b32_e32 v129, 16, v131
	s_mov_b32 s3, exec_lo
	v_and_b32_e32 v8, 0xff, v129
	s_delay_alu instid0(VALU_DEP_1)
	v_cmpx_ne_u16_e32 0, v8
	s_cbranch_execz .LBB329_258
; %bb.251:                              ;   in Loop: Header=BB329_10 Depth=1
	v_bfrev_b32_e32 v119, 1
	s_mov_b32 s19, exec_lo
	v_cmpx_ne_u16_e32 0x80, v8
	s_cbranch_execz .LBB329_257
; %bb.252:                              ;   in Loop: Header=BB329_10 Depth=1
	v_bfe_u32 v130, v131, 16, 7
	v_mov_b32_e32 v119, 0x7fc02000
	s_mov_b32 s20, exec_lo
	s_delay_alu instid0(VALU_DEP_2)
	v_cmpx_ne_u32_e32 0x7f, v130
	s_cbranch_execz .LBB329_256
; %bb.253:                              ;   in Loop: Header=BB329_10 Depth=1
	v_and_b32_e32 v8, 7, v129
	v_lshrrev_b32_e32 v119, 3, v130
	s_mov_b32 s21, exec_lo
	v_cmpx_gt_u32_e32 8, v130
; %bb.254:                              ;   in Loop: Header=BB329_10 Depth=1
	s_delay_alu instid0(VALU_DEP_3) | instskip(NEXT) | instid1(VALU_DEP_1)
	v_clz_i32_u32_e32 v119, v8
	v_min_u32_e32 v119, 32, v119
	s_delay_alu instid0(VALU_DEP_1) | instskip(SKIP_1) | instid1(VALU_DEP_2)
	v_subrev_nc_u32_e32 v130, 28, v119
	v_sub_nc_u32_e32 v119, 29, v119
	v_lshlrev_b64 v[132:133], v130, v[8:9]
	s_delay_alu instid0(VALU_DEP_1)
	v_and_b32_e32 v8, 7, v132
; %bb.255:                              ;   in Loop: Header=BB329_10 Depth=1
	s_or_b32 exec_lo, exec_lo, s21
	v_lshlrev_b32_e32 v129, 8, v129
	v_lshl_add_u32 v119, v119, 10, 0x2000
	s_delay_alu instid0(VALU_DEP_1) | instskip(NEXT) | instid1(VALU_DEP_1)
	v_and_or_b32 v119, 0x8000, v129, v119
	v_lshl_or_b32 v8, v8, 7, v119
	s_delay_alu instid0(VALU_DEP_1)
	v_cvt_f32_f16_e32 v119, v8
.LBB329_256:                            ;   in Loop: Header=BB329_10 Depth=1
	s_or_b32 exec_lo, exec_lo, s20
.LBB329_257:                            ;   in Loop: Header=BB329_10 Depth=1
	s_delay_alu instid0(SALU_CYCLE_1)
	s_or_b32 exec_lo, exec_lo, s19
.LBB329_258:                            ;   in Loop: Header=BB329_10 Depth=1
	s_delay_alu instid0(SALU_CYCLE_1)
	s_or_b32 exec_lo, exec_lo, s3
	v_dual_mov_b32 v130, 0 :: v_dual_mov_b32 v129, 0
	s_mov_b32 s3, exec_lo
	v_cmpx_lt_u32_e32 0xffffff, v131
	s_cbranch_execz .LBB329_266
; %bb.259:                              ;   in Loop: Header=BB329_10 Depth=1
	v_lshrrev_b32_e32 v131, 24, v131
	v_bfrev_b32_e32 v129, 1
	s_mov_b32 s19, exec_lo
	s_delay_alu instid0(VALU_DEP_2)
	v_cmpx_ne_u32_e32 0x80, v131
	s_cbranch_execz .LBB329_265
; %bb.260:                              ;   in Loop: Header=BB329_10 Depth=1
	v_and_b32_e32 v132, 0x7f, v131
	v_mov_b32_e32 v129, 0x7fc02000
	s_mov_b32 s20, exec_lo
	s_delay_alu instid0(VALU_DEP_2)
	v_cmpx_ne_u32_e32 0x7f, v132
	s_cbranch_execz .LBB329_264
; %bb.261:                              ;   in Loop: Header=BB329_10 Depth=1
	v_and_b32_e32 v8, 7, v131
	v_lshrrev_b32_e32 v129, 3, v132
	s_mov_b32 s21, exec_lo
	v_cmpx_gt_u32_e32 8, v132
; %bb.262:                              ;   in Loop: Header=BB329_10 Depth=1
	s_delay_alu instid0(VALU_DEP_3) | instskip(NEXT) | instid1(VALU_DEP_1)
	v_clz_i32_u32_e32 v129, v8
	v_min_u32_e32 v129, 32, v129
	s_delay_alu instid0(VALU_DEP_1) | instskip(SKIP_1) | instid1(VALU_DEP_2)
	v_subrev_nc_u32_e32 v132, 28, v129
	v_sub_nc_u32_e32 v129, 29, v129
	v_lshlrev_b64 v[132:133], v132, v[8:9]
	s_delay_alu instid0(VALU_DEP_1)
	v_and_b32_e32 v8, 7, v132
; %bb.263:                              ;   in Loop: Header=BB329_10 Depth=1
	s_or_b32 exec_lo, exec_lo, s21
	v_lshlrev_b32_e32 v131, 8, v131
	v_lshl_add_u32 v129, v129, 10, 0x2000
	s_delay_alu instid0(VALU_DEP_1) | instskip(NEXT) | instid1(VALU_DEP_1)
	v_and_or_b32 v129, 0x8000, v131, v129
	v_lshl_or_b32 v8, v8, 7, v129
	s_delay_alu instid0(VALU_DEP_1)
	v_cvt_f32_f16_e64 v129, v8
.LBB329_264:                            ;   in Loop: Header=BB329_10 Depth=1
	s_or_b32 exec_lo, exec_lo, s20
.LBB329_265:                            ;   in Loop: Header=BB329_10 Depth=1
	s_delay_alu instid0(SALU_CYCLE_1)
	s_or_b32 exec_lo, exec_lo, s19
.LBB329_266:                            ;   in Loop: Header=BB329_10 Depth=1
	s_delay_alu instid0(SALU_CYCLE_1) | instskip(SKIP_4) | instid1(VALU_DEP_1)
	s_or_b32 exec_lo, exec_lo, s3
	flat_load_b32 v135, v[28:29] offset:1024
	s_mov_b32 s3, exec_lo
	s_waitcnt vmcnt(0) lgkmcnt(0)
	v_and_b32_e32 v8, 0xff, v135
	v_cmpx_ne_u16_e32 0, v8
	s_cbranch_execz .LBB329_274
; %bb.267:                              ;   in Loop: Header=BB329_10 Depth=1
	v_bfrev_b32_e32 v130, 1
	s_mov_b32 s19, exec_lo
	v_cmpx_ne_u16_e32 0x80, v8
	s_cbranch_execz .LBB329_273
; %bb.268:                              ;   in Loop: Header=BB329_10 Depth=1
	v_and_b32_e32 v131, 0x7f, v135
	v_mov_b32_e32 v130, 0x7fc02000
	s_mov_b32 s20, exec_lo
	s_delay_alu instid0(VALU_DEP_2)
	v_cmpx_ne_u32_e32 0x7f, v131
	s_cbranch_execz .LBB329_272
; %bb.269:                              ;   in Loop: Header=BB329_10 Depth=1
	v_and_b32_e32 v8, 7, v135
	v_lshrrev_b32_e32 v130, 3, v131
	s_mov_b32 s21, exec_lo
	v_cmpx_gt_u32_e32 8, v131
; %bb.270:                              ;   in Loop: Header=BB329_10 Depth=1
	s_delay_alu instid0(VALU_DEP_3) | instskip(NEXT) | instid1(VALU_DEP_1)
	v_clz_i32_u32_e32 v130, v8
	v_min_u32_e32 v130, 32, v130
	s_delay_alu instid0(VALU_DEP_1) | instskip(SKIP_1) | instid1(VALU_DEP_2)
	v_subrev_nc_u32_e32 v131, 28, v130
	v_sub_nc_u32_e32 v130, 29, v130
	v_lshlrev_b64 v[131:132], v131, v[8:9]
	s_delay_alu instid0(VALU_DEP_1)
	v_and_b32_e32 v8, 7, v131
; %bb.271:                              ;   in Loop: Header=BB329_10 Depth=1
	s_or_b32 exec_lo, exec_lo, s21
	v_lshlrev_b32_e32 v131, 8, v135
	v_lshl_add_u32 v130, v130, 10, 0x2000
	s_delay_alu instid0(VALU_DEP_1) | instskip(NEXT) | instid1(VALU_DEP_1)
	v_and_or_b32 v130, 0x8000, v131, v130
	v_lshl_or_b32 v8, v8, 7, v130
	s_delay_alu instid0(VALU_DEP_1)
	v_cvt_f32_f16_e64 v130, v8
.LBB329_272:                            ;   in Loop: Header=BB329_10 Depth=1
	s_or_b32 exec_lo, exec_lo, s20
.LBB329_273:                            ;   in Loop: Header=BB329_10 Depth=1
	s_delay_alu instid0(SALU_CYCLE_1)
	s_or_b32 exec_lo, exec_lo, s19
.LBB329_274:                            ;   in Loop: Header=BB329_10 Depth=1
	s_delay_alu instid0(SALU_CYCLE_1) | instskip(SKIP_3) | instid1(VALU_DEP_2)
	s_or_b32 exec_lo, exec_lo, s3
	v_lshrrev_b16 v8, 8, v135
	v_dual_mov_b32 v131, 0 :: v_dual_mov_b32 v132, 0
	s_mov_b32 s3, exec_lo
	v_cmpx_ne_u16_e32 0, v8
	s_cbranch_execz .LBB329_282
; %bb.275:                              ;   in Loop: Header=BB329_10 Depth=1
	v_bfrev_b32_e32 v132, 1
	s_mov_b32 s19, exec_lo
	v_cmpx_ne_u16_e32 0x80, v8
	s_cbranch_execz .LBB329_281
; %bb.276:                              ;   in Loop: Header=BB329_10 Depth=1
	v_and_b32_e32 v133, 0xffff, v8
	v_mov_b32_e32 v132, 0x7fc02000
	s_mov_b32 s20, exec_lo
	s_delay_alu instid0(VALU_DEP_2) | instskip(NEXT) | instid1(VALU_DEP_1)
	v_and_b32_e32 v134, 0x7f, v133
	v_cmpx_ne_u32_e32 0x7f, v134
	s_cbranch_execz .LBB329_280
; %bb.277:                              ;   in Loop: Header=BB329_10 Depth=1
	v_and_b32_e32 v8, 7, v133
	v_lshrrev_b32_e32 v132, 3, v134
	s_mov_b32 s21, exec_lo
	v_cmpx_gt_u32_e32 8, v134
; %bb.278:                              ;   in Loop: Header=BB329_10 Depth=1
	s_delay_alu instid0(VALU_DEP_3) | instskip(NEXT) | instid1(VALU_DEP_1)
	v_clz_i32_u32_e32 v132, v8
	v_min_u32_e32 v132, 32, v132
	s_delay_alu instid0(VALU_DEP_1) | instskip(SKIP_1) | instid1(VALU_DEP_2)
	v_subrev_nc_u32_e32 v134, 28, v132
	v_sub_nc_u32_e32 v132, 29, v132
	v_lshlrev_b64 v[144:145], v134, v[8:9]
	s_delay_alu instid0(VALU_DEP_1)
	v_and_b32_e32 v8, 7, v144
; %bb.279:                              ;   in Loop: Header=BB329_10 Depth=1
	s_or_b32 exec_lo, exec_lo, s21
	v_lshlrev_b32_e32 v133, 8, v133
	v_lshl_add_u32 v132, v132, 10, 0x2000
	s_delay_alu instid0(VALU_DEP_1) | instskip(NEXT) | instid1(VALU_DEP_1)
	v_and_or_b32 v132, 0x8000, v133, v132
	v_lshl_or_b32 v8, v8, 7, v132
	s_delay_alu instid0(VALU_DEP_1)
	v_cvt_f32_f16_e64 v132, v8
.LBB329_280:                            ;   in Loop: Header=BB329_10 Depth=1
	s_or_b32 exec_lo, exec_lo, s20
.LBB329_281:                            ;   in Loop: Header=BB329_10 Depth=1
	s_delay_alu instid0(SALU_CYCLE_1)
	s_or_b32 exec_lo, exec_lo, s19
.LBB329_282:                            ;   in Loop: Header=BB329_10 Depth=1
	s_delay_alu instid0(SALU_CYCLE_1) | instskip(SKIP_2) | instid1(VALU_DEP_1)
	s_or_b32 exec_lo, exec_lo, s3
	v_lshrrev_b32_e32 v133, 16, v135
	s_mov_b32 s3, exec_lo
	v_and_b32_e32 v8, 0xff, v133
	s_delay_alu instid0(VALU_DEP_1)
	v_cmpx_ne_u16_e32 0, v8
	s_cbranch_execz .LBB329_290
; %bb.283:                              ;   in Loop: Header=BB329_10 Depth=1
	v_bfrev_b32_e32 v131, 1
	s_mov_b32 s19, exec_lo
	v_cmpx_ne_u16_e32 0x80, v8
	s_cbranch_execz .LBB329_289
; %bb.284:                              ;   in Loop: Header=BB329_10 Depth=1
	v_bfe_u32 v134, v135, 16, 7
	v_mov_b32_e32 v131, 0x7fc02000
	s_mov_b32 s20, exec_lo
	s_delay_alu instid0(VALU_DEP_2)
	v_cmpx_ne_u32_e32 0x7f, v134
	s_cbranch_execz .LBB329_288
; %bb.285:                              ;   in Loop: Header=BB329_10 Depth=1
	v_and_b32_e32 v8, 7, v133
	v_lshrrev_b32_e32 v131, 3, v134
	s_mov_b32 s21, exec_lo
	v_cmpx_gt_u32_e32 8, v134
; %bb.286:                              ;   in Loop: Header=BB329_10 Depth=1
	s_delay_alu instid0(VALU_DEP_3) | instskip(NEXT) | instid1(VALU_DEP_1)
	v_clz_i32_u32_e32 v131, v8
	v_min_u32_e32 v131, 32, v131
	s_delay_alu instid0(VALU_DEP_1) | instskip(SKIP_1) | instid1(VALU_DEP_2)
	v_subrev_nc_u32_e32 v134, 28, v131
	v_sub_nc_u32_e32 v131, 29, v131
	v_lshlrev_b64 v[144:145], v134, v[8:9]
	s_delay_alu instid0(VALU_DEP_1)
	v_and_b32_e32 v8, 7, v144
; %bb.287:                              ;   in Loop: Header=BB329_10 Depth=1
	s_or_b32 exec_lo, exec_lo, s21
	v_lshlrev_b32_e32 v133, 8, v133
	v_lshl_add_u32 v131, v131, 10, 0x2000
	s_delay_alu instid0(VALU_DEP_1) | instskip(NEXT) | instid1(VALU_DEP_1)
	v_and_or_b32 v131, 0x8000, v133, v131
	v_lshl_or_b32 v8, v8, 7, v131
	s_delay_alu instid0(VALU_DEP_1)
	v_cvt_f32_f16_e64 v131, v8
.LBB329_288:                            ;   in Loop: Header=BB329_10 Depth=1
	s_or_b32 exec_lo, exec_lo, s20
.LBB329_289:                            ;   in Loop: Header=BB329_10 Depth=1
	s_delay_alu instid0(SALU_CYCLE_1)
	s_or_b32 exec_lo, exec_lo, s19
.LBB329_290:                            ;   in Loop: Header=BB329_10 Depth=1
	s_delay_alu instid0(SALU_CYCLE_1)
	s_or_b32 exec_lo, exec_lo, s3
	v_dual_mov_b32 v134, 0 :: v_dual_mov_b32 v133, 0
	s_mov_b32 s3, exec_lo
	v_cmpx_lt_u32_e32 0xffffff, v135
	s_cbranch_execz .LBB329_298
; %bb.291:                              ;   in Loop: Header=BB329_10 Depth=1
	v_lshrrev_b32_e32 v135, 24, v135
	v_bfrev_b32_e32 v133, 1
	s_mov_b32 s19, exec_lo
	s_delay_alu instid0(VALU_DEP_2)
	v_cmpx_ne_u32_e32 0x80, v135
	s_cbranch_execz .LBB329_297
; %bb.292:                              ;   in Loop: Header=BB329_10 Depth=1
	v_and_b32_e32 v144, 0x7f, v135
	v_mov_b32_e32 v133, 0x7fc02000
	s_mov_b32 s20, exec_lo
	s_delay_alu instid0(VALU_DEP_2)
	v_cmpx_ne_u32_e32 0x7f, v144
	s_cbranch_execz .LBB329_296
; %bb.293:                              ;   in Loop: Header=BB329_10 Depth=1
	v_and_b32_e32 v8, 7, v135
	v_lshrrev_b32_e32 v133, 3, v144
	s_mov_b32 s21, exec_lo
	v_cmpx_gt_u32_e32 8, v144
; %bb.294:                              ;   in Loop: Header=BB329_10 Depth=1
	s_delay_alu instid0(VALU_DEP_3) | instskip(NEXT) | instid1(VALU_DEP_1)
	v_clz_i32_u32_e32 v133, v8
	v_min_u32_e32 v133, 32, v133
	s_delay_alu instid0(VALU_DEP_1) | instskip(SKIP_1) | instid1(VALU_DEP_2)
	v_subrev_nc_u32_e32 v144, 28, v133
	v_sub_nc_u32_e32 v133, 29, v133
	v_lshlrev_b64 v[144:145], v144, v[8:9]
	s_delay_alu instid0(VALU_DEP_1)
	v_and_b32_e32 v8, 7, v144
; %bb.295:                              ;   in Loop: Header=BB329_10 Depth=1
	s_or_b32 exec_lo, exec_lo, s21
	v_lshlrev_b32_e32 v135, 8, v135
	v_lshl_add_u32 v133, v133, 10, 0x2000
	s_delay_alu instid0(VALU_DEP_1) | instskip(NEXT) | instid1(VALU_DEP_1)
	v_and_or_b32 v133, 0x8000, v135, v133
	v_lshl_or_b32 v8, v8, 7, v133
	s_delay_alu instid0(VALU_DEP_1)
	v_cvt_f32_f16_e64 v133, v8
.LBB329_296:                            ;   in Loop: Header=BB329_10 Depth=1
	s_or_b32 exec_lo, exec_lo, s20
.LBB329_297:                            ;   in Loop: Header=BB329_10 Depth=1
	s_delay_alu instid0(SALU_CYCLE_1)
	s_or_b32 exec_lo, exec_lo, s19
.LBB329_298:                            ;   in Loop: Header=BB329_10 Depth=1
	s_delay_alu instid0(SALU_CYCLE_1) | instskip(SKIP_4) | instid1(VALU_DEP_1)
	s_or_b32 exec_lo, exec_lo, s3
	flat_load_b32 v146, v[28:29] offset:1032
	s_mov_b32 s3, exec_lo
	s_waitcnt vmcnt(0) lgkmcnt(0)
	v_and_b32_e32 v8, 0xff, v146
	v_cmpx_ne_u16_e32 0, v8
	s_cbranch_execz .LBB329_306
; %bb.299:                              ;   in Loop: Header=BB329_10 Depth=1
	v_bfrev_b32_e32 v134, 1
	s_mov_b32 s19, exec_lo
	v_cmpx_ne_u16_e32 0x80, v8
	s_cbranch_execz .LBB329_305
; %bb.300:                              ;   in Loop: Header=BB329_10 Depth=1
	v_and_b32_e32 v135, 0x7f, v146
	v_mov_b32_e32 v134, 0x7fc02000
	s_mov_b32 s20, exec_lo
	s_delay_alu instid0(VALU_DEP_2)
	v_cmpx_ne_u32_e32 0x7f, v135
	s_cbranch_execz .LBB329_304
; %bb.301:                              ;   in Loop: Header=BB329_10 Depth=1
	v_and_b32_e32 v8, 7, v146
	v_lshrrev_b32_e32 v134, 3, v135
	s_mov_b32 s21, exec_lo
	v_cmpx_gt_u32_e32 8, v135
; %bb.302:                              ;   in Loop: Header=BB329_10 Depth=1
	s_delay_alu instid0(VALU_DEP_3) | instskip(NEXT) | instid1(VALU_DEP_1)
	v_clz_i32_u32_e32 v134, v8
	v_min_u32_e32 v134, 32, v134
	s_delay_alu instid0(VALU_DEP_1) | instskip(SKIP_1) | instid1(VALU_DEP_2)
	v_subrev_nc_u32_e32 v135, 28, v134
	v_sub_nc_u32_e32 v134, 29, v134
	v_lshlrev_b64 v[144:145], v135, v[8:9]
	s_delay_alu instid0(VALU_DEP_1)
	v_and_b32_e32 v8, 7, v144
; %bb.303:                              ;   in Loop: Header=BB329_10 Depth=1
	s_or_b32 exec_lo, exec_lo, s21
	v_lshlrev_b32_e32 v135, 8, v146
	v_lshl_add_u32 v134, v134, 10, 0x2000
	s_delay_alu instid0(VALU_DEP_1) | instskip(NEXT) | instid1(VALU_DEP_1)
	v_and_or_b32 v134, 0x8000, v135, v134
	v_lshl_or_b32 v8, v8, 7, v134
	s_delay_alu instid0(VALU_DEP_1)
	v_cvt_f32_f16_e64 v134, v8
.LBB329_304:                            ;   in Loop: Header=BB329_10 Depth=1
	s_or_b32 exec_lo, exec_lo, s20
.LBB329_305:                            ;   in Loop: Header=BB329_10 Depth=1
	s_delay_alu instid0(SALU_CYCLE_1)
	s_or_b32 exec_lo, exec_lo, s19
.LBB329_306:                            ;   in Loop: Header=BB329_10 Depth=1
	s_delay_alu instid0(SALU_CYCLE_1) | instskip(SKIP_3) | instid1(VALU_DEP_2)
	s_or_b32 exec_lo, exec_lo, s3
	v_lshrrev_b16 v8, 8, v146
	v_dual_mov_b32 v135, 0 :: v_dual_mov_b32 v144, 0
	s_mov_b32 s3, exec_lo
	v_cmpx_ne_u16_e32 0, v8
	s_cbranch_execz .LBB329_314
; %bb.307:                              ;   in Loop: Header=BB329_10 Depth=1
	v_bfrev_b32_e32 v144, 1
	s_mov_b32 s19, exec_lo
	v_cmpx_ne_u16_e32 0x80, v8
	s_cbranch_execz .LBB329_313
; %bb.308:                              ;   in Loop: Header=BB329_10 Depth=1
	v_and_b32_e32 v145, 0xffff, v8
	v_mov_b32_e32 v144, 0x7fc02000
	s_mov_b32 s20, exec_lo
	s_delay_alu instid0(VALU_DEP_2) | instskip(NEXT) | instid1(VALU_DEP_1)
	v_and_b32_e32 v147, 0x7f, v145
	v_cmpx_ne_u32_e32 0x7f, v147
	s_cbranch_execz .LBB329_312
; %bb.309:                              ;   in Loop: Header=BB329_10 Depth=1
	v_and_b32_e32 v8, 7, v145
	v_lshrrev_b32_e32 v144, 3, v147
	s_mov_b32 s21, exec_lo
	v_cmpx_gt_u32_e32 8, v147
; %bb.310:                              ;   in Loop: Header=BB329_10 Depth=1
	s_delay_alu instid0(VALU_DEP_3) | instskip(NEXT) | instid1(VALU_DEP_1)
	v_clz_i32_u32_e32 v144, v8
	v_min_u32_e32 v144, 32, v144
	s_delay_alu instid0(VALU_DEP_1) | instskip(SKIP_1) | instid1(VALU_DEP_2)
	v_subrev_nc_u32_e32 v147, 28, v144
	v_sub_nc_u32_e32 v144, 29, v144
	v_lshlrev_b64 v[147:148], v147, v[8:9]
	s_delay_alu instid0(VALU_DEP_1)
	v_and_b32_e32 v8, 7, v147
; %bb.311:                              ;   in Loop: Header=BB329_10 Depth=1
	s_or_b32 exec_lo, exec_lo, s21
	v_lshlrev_b32_e32 v145, 8, v145
	v_lshl_add_u32 v144, v144, 10, 0x2000
	s_delay_alu instid0(VALU_DEP_1) | instskip(NEXT) | instid1(VALU_DEP_1)
	v_and_or_b32 v144, 0x8000, v145, v144
	v_lshl_or_b32 v8, v8, 7, v144
	s_delay_alu instid0(VALU_DEP_1)
	v_cvt_f32_f16_e64 v144, v8
.LBB329_312:                            ;   in Loop: Header=BB329_10 Depth=1
	s_or_b32 exec_lo, exec_lo, s20
.LBB329_313:                            ;   in Loop: Header=BB329_10 Depth=1
	s_delay_alu instid0(SALU_CYCLE_1)
	s_or_b32 exec_lo, exec_lo, s19
.LBB329_314:                            ;   in Loop: Header=BB329_10 Depth=1
	s_delay_alu instid0(SALU_CYCLE_1) | instskip(SKIP_2) | instid1(VALU_DEP_1)
	s_or_b32 exec_lo, exec_lo, s3
	v_lshrrev_b32_e32 v145, 16, v146
	s_mov_b32 s3, exec_lo
	v_and_b32_e32 v8, 0xff, v145
	s_delay_alu instid0(VALU_DEP_1)
	v_cmpx_ne_u16_e32 0, v8
	s_cbranch_execz .LBB329_322
; %bb.315:                              ;   in Loop: Header=BB329_10 Depth=1
	v_bfrev_b32_e32 v135, 1
	s_mov_b32 s19, exec_lo
	v_cmpx_ne_u16_e32 0x80, v8
	s_cbranch_execz .LBB329_321
; %bb.316:                              ;   in Loop: Header=BB329_10 Depth=1
	v_bfe_u32 v147, v146, 16, 7
	v_mov_b32_e32 v135, 0x7fc02000
	s_mov_b32 s20, exec_lo
	s_delay_alu instid0(VALU_DEP_2)
	v_cmpx_ne_u32_e32 0x7f, v147
	s_cbranch_execz .LBB329_320
; %bb.317:                              ;   in Loop: Header=BB329_10 Depth=1
	v_and_b32_e32 v8, 7, v145
	v_lshrrev_b32_e32 v135, 3, v147
	s_mov_b32 s21, exec_lo
	v_cmpx_gt_u32_e32 8, v147
; %bb.318:                              ;   in Loop: Header=BB329_10 Depth=1
	s_delay_alu instid0(VALU_DEP_3) | instskip(NEXT) | instid1(VALU_DEP_1)
	v_clz_i32_u32_e32 v135, v8
	v_min_u32_e32 v135, 32, v135
	s_delay_alu instid0(VALU_DEP_1) | instskip(SKIP_1) | instid1(VALU_DEP_2)
	v_subrev_nc_u32_e32 v147, 28, v135
	v_sub_nc_u32_e32 v135, 29, v135
	v_lshlrev_b64 v[147:148], v147, v[8:9]
	s_delay_alu instid0(VALU_DEP_1)
	v_and_b32_e32 v8, 7, v147
; %bb.319:                              ;   in Loop: Header=BB329_10 Depth=1
	s_or_b32 exec_lo, exec_lo, s21
	v_lshlrev_b32_e32 v145, 8, v145
	v_lshl_add_u32 v135, v135, 10, 0x2000
	s_delay_alu instid0(VALU_DEP_1) | instskip(NEXT) | instid1(VALU_DEP_1)
	v_and_or_b32 v135, 0x8000, v145, v135
	v_lshl_or_b32 v8, v8, 7, v135
	s_delay_alu instid0(VALU_DEP_1)
	v_cvt_f32_f16_e64 v135, v8
.LBB329_320:                            ;   in Loop: Header=BB329_10 Depth=1
	s_or_b32 exec_lo, exec_lo, s20
.LBB329_321:                            ;   in Loop: Header=BB329_10 Depth=1
	s_delay_alu instid0(SALU_CYCLE_1)
	s_or_b32 exec_lo, exec_lo, s19
.LBB329_322:                            ;   in Loop: Header=BB329_10 Depth=1
	s_delay_alu instid0(SALU_CYCLE_1)
	s_or_b32 exec_lo, exec_lo, s3
	v_mov_b32_e32 v145, 0
	v_mov_b32_e32 v147, 0
	s_mov_b32 s3, exec_lo
	v_cmpx_lt_u32_e32 0xffffff, v146
	s_cbranch_execz .LBB329_330
; %bb.323:                              ;   in Loop: Header=BB329_10 Depth=1
	v_lshrrev_b32_e32 v146, 24, v146
	v_bfrev_b32_e32 v147, 1
	s_mov_b32 s19, exec_lo
	s_delay_alu instid0(VALU_DEP_2)
	v_cmpx_ne_u32_e32 0x80, v146
	s_cbranch_execz .LBB329_329
; %bb.324:                              ;   in Loop: Header=BB329_10 Depth=1
	v_and_b32_e32 v148, 0x7f, v146
	v_mov_b32_e32 v147, 0x7fc02000
	s_mov_b32 s20, exec_lo
	s_delay_alu instid0(VALU_DEP_2)
	v_cmpx_ne_u32_e32 0x7f, v148
	s_cbranch_execz .LBB329_328
; %bb.325:                              ;   in Loop: Header=BB329_10 Depth=1
	v_and_b32_e32 v8, 7, v146
	v_lshrrev_b32_e32 v147, 3, v148
	s_mov_b32 s21, exec_lo
	v_cmpx_gt_u32_e32 8, v148
; %bb.326:                              ;   in Loop: Header=BB329_10 Depth=1
	s_delay_alu instid0(VALU_DEP_3) | instskip(NEXT) | instid1(VALU_DEP_1)
	v_clz_i32_u32_e32 v147, v8
	v_min_u32_e32 v147, 32, v147
	s_delay_alu instid0(VALU_DEP_1) | instskip(SKIP_1) | instid1(VALU_DEP_2)
	v_subrev_nc_u32_e32 v148, 28, v147
	v_sub_nc_u32_e32 v147, 29, v147
	v_lshlrev_b64 v[148:149], v148, v[8:9]
	s_delay_alu instid0(VALU_DEP_1)
	v_and_b32_e32 v8, 7, v148
; %bb.327:                              ;   in Loop: Header=BB329_10 Depth=1
	s_or_b32 exec_lo, exec_lo, s21
	v_lshlrev_b32_e32 v146, 8, v146
	v_lshl_add_u32 v147, v147, 10, 0x2000
	s_delay_alu instid0(VALU_DEP_1) | instskip(NEXT) | instid1(VALU_DEP_1)
	v_and_or_b32 v146, 0x8000, v146, v147
	v_lshl_or_b32 v8, v8, 7, v146
	s_delay_alu instid0(VALU_DEP_1)
	v_cvt_f32_f16_e64 v147, v8
.LBB329_328:                            ;   in Loop: Header=BB329_10 Depth=1
	s_or_b32 exec_lo, exec_lo, s20
.LBB329_329:                            ;   in Loop: Header=BB329_10 Depth=1
	s_delay_alu instid0(SALU_CYCLE_1)
	s_or_b32 exec_lo, exec_lo, s19
.LBB329_330:                            ;   in Loop: Header=BB329_10 Depth=1
	s_delay_alu instid0(SALU_CYCLE_1) | instskip(SKIP_4) | instid1(VALU_DEP_1)
	s_or_b32 exec_lo, exec_lo, s3
	flat_load_b32 v149, v[28:29] offset:1280
	s_mov_b32 s3, exec_lo
	s_waitcnt vmcnt(0) lgkmcnt(0)
	v_and_b32_e32 v8, 0xff, v149
	v_cmpx_ne_u16_e32 0, v8
	s_cbranch_execz .LBB329_338
; %bb.331:                              ;   in Loop: Header=BB329_10 Depth=1
	v_bfrev_b32_e32 v145, 1
	s_mov_b32 s19, exec_lo
	v_cmpx_ne_u16_e32 0x80, v8
	s_cbranch_execz .LBB329_337
; %bb.332:                              ;   in Loop: Header=BB329_10 Depth=1
	v_and_b32_e32 v146, 0x7f, v149
	v_mov_b32_e32 v145, 0x7fc02000
	s_mov_b32 s20, exec_lo
	s_delay_alu instid0(VALU_DEP_2)
	v_cmpx_ne_u32_e32 0x7f, v146
	s_cbranch_execz .LBB329_336
; %bb.333:                              ;   in Loop: Header=BB329_10 Depth=1
	v_and_b32_e32 v8, 7, v149
	v_lshrrev_b32_e32 v145, 3, v146
	s_mov_b32 s21, exec_lo
	v_cmpx_gt_u32_e32 8, v146
; %bb.334:                              ;   in Loop: Header=BB329_10 Depth=1
	s_delay_alu instid0(VALU_DEP_3) | instskip(NEXT) | instid1(VALU_DEP_1)
	v_clz_i32_u32_e32 v145, v8
	v_min_u32_e32 v145, 32, v145
	s_delay_alu instid0(VALU_DEP_1) | instskip(SKIP_1) | instid1(VALU_DEP_2)
	v_subrev_nc_u32_e32 v146, 28, v145
	v_sub_nc_u32_e32 v145, 29, v145
	v_lshlrev_b64 v[150:151], v146, v[8:9]
	s_delay_alu instid0(VALU_DEP_1)
	v_and_b32_e32 v8, 7, v150
; %bb.335:                              ;   in Loop: Header=BB329_10 Depth=1
	s_or_b32 exec_lo, exec_lo, s21
	v_lshlrev_b32_e32 v146, 8, v149
	v_lshl_add_u32 v145, v145, 10, 0x2000
	s_delay_alu instid0(VALU_DEP_1) | instskip(NEXT) | instid1(VALU_DEP_1)
	v_and_or_b32 v145, 0x8000, v146, v145
	v_lshl_or_b32 v8, v8, 7, v145
	s_delay_alu instid0(VALU_DEP_1)
	v_cvt_f32_f16_e64 v145, v8
.LBB329_336:                            ;   in Loop: Header=BB329_10 Depth=1
	s_or_b32 exec_lo, exec_lo, s20
.LBB329_337:                            ;   in Loop: Header=BB329_10 Depth=1
	s_delay_alu instid0(SALU_CYCLE_1)
	s_or_b32 exec_lo, exec_lo, s19
.LBB329_338:                            ;   in Loop: Header=BB329_10 Depth=1
	s_delay_alu instid0(SALU_CYCLE_1) | instskip(SKIP_4) | instid1(VALU_DEP_3)
	s_or_b32 exec_lo, exec_lo, s3
	v_lshrrev_b16 v8, 8, v149
	v_mov_b32_e32 v146, 0
	v_mov_b32_e32 v148, 0
	s_mov_b32 s3, exec_lo
	v_cmpx_ne_u16_e32 0, v8
	s_cbranch_execz .LBB329_346
; %bb.339:                              ;   in Loop: Header=BB329_10 Depth=1
	v_bfrev_b32_e32 v148, 1
	s_mov_b32 s19, exec_lo
	v_cmpx_ne_u16_e32 0x80, v8
	s_cbranch_execz .LBB329_345
; %bb.340:                              ;   in Loop: Header=BB329_10 Depth=1
	v_and_b32_e32 v150, 0xffff, v8
	v_mov_b32_e32 v148, 0x7fc02000
	s_mov_b32 s20, exec_lo
	s_delay_alu instid0(VALU_DEP_2) | instskip(NEXT) | instid1(VALU_DEP_1)
	v_and_b32_e32 v151, 0x7f, v150
	v_cmpx_ne_u32_e32 0x7f, v151
	s_cbranch_execz .LBB329_344
; %bb.341:                              ;   in Loop: Header=BB329_10 Depth=1
	v_and_b32_e32 v8, 7, v150
	v_lshrrev_b32_e32 v148, 3, v151
	s_mov_b32 s21, exec_lo
	v_cmpx_gt_u32_e32 8, v151
; %bb.342:                              ;   in Loop: Header=BB329_10 Depth=1
	s_delay_alu instid0(VALU_DEP_3) | instskip(NEXT) | instid1(VALU_DEP_1)
	v_clz_i32_u32_e32 v148, v8
	v_min_u32_e32 v148, 32, v148
	s_delay_alu instid0(VALU_DEP_1) | instskip(SKIP_1) | instid1(VALU_DEP_2)
	v_subrev_nc_u32_e32 v151, 28, v148
	v_sub_nc_u32_e32 v148, 29, v148
	v_lshlrev_b64 v[160:161], v151, v[8:9]
	s_delay_alu instid0(VALU_DEP_1)
	v_and_b32_e32 v8, 7, v160
; %bb.343:                              ;   in Loop: Header=BB329_10 Depth=1
	s_or_b32 exec_lo, exec_lo, s21
	v_lshlrev_b32_e32 v150, 8, v150
	v_lshl_add_u32 v148, v148, 10, 0x2000
	s_delay_alu instid0(VALU_DEP_1) | instskip(NEXT) | instid1(VALU_DEP_1)
	v_and_or_b32 v148, 0x8000, v150, v148
	v_lshl_or_b32 v8, v8, 7, v148
	s_delay_alu instid0(VALU_DEP_1)
	v_cvt_f32_f16_e64 v148, v8
.LBB329_344:                            ;   in Loop: Header=BB329_10 Depth=1
	s_or_b32 exec_lo, exec_lo, s20
.LBB329_345:                            ;   in Loop: Header=BB329_10 Depth=1
	s_delay_alu instid0(SALU_CYCLE_1)
	s_or_b32 exec_lo, exec_lo, s19
.LBB329_346:                            ;   in Loop: Header=BB329_10 Depth=1
	s_delay_alu instid0(SALU_CYCLE_1) | instskip(SKIP_2) | instid1(VALU_DEP_1)
	s_or_b32 exec_lo, exec_lo, s3
	v_lshrrev_b32_e32 v150, 16, v149
	s_mov_b32 s3, exec_lo
	v_and_b32_e32 v8, 0xff, v150
	s_delay_alu instid0(VALU_DEP_1)
	v_cmpx_ne_u16_e32 0, v8
	s_cbranch_execz .LBB329_354
; %bb.347:                              ;   in Loop: Header=BB329_10 Depth=1
	v_bfrev_b32_e32 v146, 1
	s_mov_b32 s19, exec_lo
	v_cmpx_ne_u16_e32 0x80, v8
	s_cbranch_execz .LBB329_353
; %bb.348:                              ;   in Loop: Header=BB329_10 Depth=1
	v_bfe_u32 v151, v149, 16, 7
	v_mov_b32_e32 v146, 0x7fc02000
	s_mov_b32 s20, exec_lo
	s_delay_alu instid0(VALU_DEP_2)
	v_cmpx_ne_u32_e32 0x7f, v151
	s_cbranch_execz .LBB329_352
; %bb.349:                              ;   in Loop: Header=BB329_10 Depth=1
	v_and_b32_e32 v8, 7, v150
	v_lshrrev_b32_e32 v146, 3, v151
	s_mov_b32 s21, exec_lo
	v_cmpx_gt_u32_e32 8, v151
; %bb.350:                              ;   in Loop: Header=BB329_10 Depth=1
	s_delay_alu instid0(VALU_DEP_3) | instskip(NEXT) | instid1(VALU_DEP_1)
	v_clz_i32_u32_e32 v146, v8
	v_min_u32_e32 v146, 32, v146
	s_delay_alu instid0(VALU_DEP_1) | instskip(SKIP_1) | instid1(VALU_DEP_2)
	v_subrev_nc_u32_e32 v151, 28, v146
	v_sub_nc_u32_e32 v146, 29, v146
	v_lshlrev_b64 v[160:161], v151, v[8:9]
	s_delay_alu instid0(VALU_DEP_1)
	v_and_b32_e32 v8, 7, v160
; %bb.351:                              ;   in Loop: Header=BB329_10 Depth=1
	s_or_b32 exec_lo, exec_lo, s21
	v_lshlrev_b32_e32 v150, 8, v150
	v_lshl_add_u32 v146, v146, 10, 0x2000
	s_delay_alu instid0(VALU_DEP_1) | instskip(NEXT) | instid1(VALU_DEP_1)
	v_and_or_b32 v146, 0x8000, v150, v146
	v_lshl_or_b32 v8, v8, 7, v146
	s_delay_alu instid0(VALU_DEP_1)
	v_cvt_f32_f16_e64 v146, v8
.LBB329_352:                            ;   in Loop: Header=BB329_10 Depth=1
	s_or_b32 exec_lo, exec_lo, s20
.LBB329_353:                            ;   in Loop: Header=BB329_10 Depth=1
	s_delay_alu instid0(SALU_CYCLE_1)
	s_or_b32 exec_lo, exec_lo, s19
.LBB329_354:                            ;   in Loop: Header=BB329_10 Depth=1
	s_delay_alu instid0(SALU_CYCLE_1)
	s_or_b32 exec_lo, exec_lo, s3
	v_dual_mov_b32 v151, 0 :: v_dual_mov_b32 v150, 0
	s_mov_b32 s3, exec_lo
	v_cmpx_lt_u32_e32 0xffffff, v149
	s_cbranch_execz .LBB329_362
; %bb.355:                              ;   in Loop: Header=BB329_10 Depth=1
	v_lshrrev_b32_e32 v149, 24, v149
	v_bfrev_b32_e32 v150, 1
	s_mov_b32 s19, exec_lo
	s_delay_alu instid0(VALU_DEP_2)
	v_cmpx_ne_u32_e32 0x80, v149
	s_cbranch_execz .LBB329_361
; %bb.356:                              ;   in Loop: Header=BB329_10 Depth=1
	v_and_b32_e32 v160, 0x7f, v149
	v_mov_b32_e32 v150, 0x7fc02000
	s_mov_b32 s20, exec_lo
	s_delay_alu instid0(VALU_DEP_2)
	v_cmpx_ne_u32_e32 0x7f, v160
	s_cbranch_execz .LBB329_360
; %bb.357:                              ;   in Loop: Header=BB329_10 Depth=1
	v_and_b32_e32 v8, 7, v149
	v_lshrrev_b32_e32 v150, 3, v160
	s_mov_b32 s21, exec_lo
	v_cmpx_gt_u32_e32 8, v160
; %bb.358:                              ;   in Loop: Header=BB329_10 Depth=1
	s_delay_alu instid0(VALU_DEP_3) | instskip(NEXT) | instid1(VALU_DEP_1)
	v_clz_i32_u32_e32 v150, v8
	v_min_u32_e32 v150, 32, v150
	s_delay_alu instid0(VALU_DEP_1) | instskip(SKIP_1) | instid1(VALU_DEP_2)
	v_subrev_nc_u32_e32 v160, 28, v150
	v_sub_nc_u32_e32 v150, 29, v150
	v_lshlrev_b64 v[160:161], v160, v[8:9]
	s_delay_alu instid0(VALU_DEP_1)
	v_and_b32_e32 v8, 7, v160
; %bb.359:                              ;   in Loop: Header=BB329_10 Depth=1
	s_or_b32 exec_lo, exec_lo, s21
	v_lshlrev_b32_e32 v149, 8, v149
	v_lshl_add_u32 v150, v150, 10, 0x2000
	s_delay_alu instid0(VALU_DEP_1) | instskip(NEXT) | instid1(VALU_DEP_1)
	v_and_or_b32 v149, 0x8000, v149, v150
	v_lshl_or_b32 v8, v8, 7, v149
	s_delay_alu instid0(VALU_DEP_1)
	v_cvt_f32_f16_e64 v150, v8
.LBB329_360:                            ;   in Loop: Header=BB329_10 Depth=1
	s_or_b32 exec_lo, exec_lo, s20
.LBB329_361:                            ;   in Loop: Header=BB329_10 Depth=1
	s_delay_alu instid0(SALU_CYCLE_1)
	s_or_b32 exec_lo, exec_lo, s19
.LBB329_362:                            ;   in Loop: Header=BB329_10 Depth=1
	s_delay_alu instid0(SALU_CYCLE_1) | instskip(SKIP_4) | instid1(VALU_DEP_1)
	s_or_b32 exec_lo, exec_lo, s3
	flat_load_b32 v28, v[28:29] offset:1288
	s_mov_b32 s3, exec_lo
	s_waitcnt vmcnt(0) lgkmcnt(0)
	v_and_b32_e32 v8, 0xff, v28
	v_cmpx_ne_u16_e32 0, v8
	s_cbranch_execz .LBB329_370
; %bb.363:                              ;   in Loop: Header=BB329_10 Depth=1
	v_bfrev_b32_e32 v151, 1
	s_mov_b32 s19, exec_lo
	v_cmpx_ne_u16_e32 0x80, v8
	s_cbranch_execz .LBB329_369
; %bb.364:                              ;   in Loop: Header=BB329_10 Depth=1
	v_and_b32_e32 v149, 0x7f, v28
	v_mov_b32_e32 v151, 0x7fc02000
	s_mov_b32 s20, exec_lo
	s_delay_alu instid0(VALU_DEP_2)
	v_cmpx_ne_u32_e32 0x7f, v149
	s_cbranch_execz .LBB329_368
; %bb.365:                              ;   in Loop: Header=BB329_10 Depth=1
	v_and_b32_e32 v8, 7, v28
	v_lshrrev_b32_e32 v29, 3, v149
	s_mov_b32 s21, exec_lo
	v_cmpx_gt_u32_e32 8, v149
; %bb.366:                              ;   in Loop: Header=BB329_10 Depth=1
	s_delay_alu instid0(VALU_DEP_3) | instskip(NEXT) | instid1(VALU_DEP_1)
	v_clz_i32_u32_e32 v29, v8
	v_min_u32_e32 v29, 32, v29
	s_delay_alu instid0(VALU_DEP_1) | instskip(SKIP_1) | instid1(VALU_DEP_2)
	v_subrev_nc_u32_e32 v149, 28, v29
	v_sub_nc_u32_e32 v29, 29, v29
	v_lshlrev_b64 v[160:161], v149, v[8:9]
	s_delay_alu instid0(VALU_DEP_1)
	v_and_b32_e32 v8, 7, v160
; %bb.367:                              ;   in Loop: Header=BB329_10 Depth=1
	s_or_b32 exec_lo, exec_lo, s21
	v_lshlrev_b32_e32 v149, 8, v28
	v_lshl_add_u32 v29, v29, 10, 0x2000
	s_delay_alu instid0(VALU_DEP_1) | instskip(NEXT) | instid1(VALU_DEP_1)
	v_and_or_b32 v29, 0x8000, v149, v29
	v_lshl_or_b32 v8, v8, 7, v29
	s_delay_alu instid0(VALU_DEP_1)
	v_cvt_f32_f16_e64 v151, v8
.LBB329_368:                            ;   in Loop: Header=BB329_10 Depth=1
	s_or_b32 exec_lo, exec_lo, s20
.LBB329_369:                            ;   in Loop: Header=BB329_10 Depth=1
	s_delay_alu instid0(SALU_CYCLE_1)
	s_or_b32 exec_lo, exec_lo, s19
.LBB329_370:                            ;   in Loop: Header=BB329_10 Depth=1
	s_delay_alu instid0(SALU_CYCLE_1) | instskip(SKIP_3) | instid1(VALU_DEP_2)
	s_or_b32 exec_lo, exec_lo, s3
	v_lshrrev_b16 v8, 8, v28
	v_dual_mov_b32 v160, 0 :: v_dual_mov_b32 v29, 0
	s_mov_b32 s3, exec_lo
	v_cmpx_ne_u16_e32 0, v8
	s_cbranch_execz .LBB329_378
; %bb.371:                              ;   in Loop: Header=BB329_10 Depth=1
	v_bfrev_b32_e32 v29, 1
	s_mov_b32 s19, exec_lo
	v_cmpx_ne_u16_e32 0x80, v8
	s_cbranch_execz .LBB329_377
; %bb.372:                              ;   in Loop: Header=BB329_10 Depth=1
	v_and_b32_e32 v149, 0xffff, v8
	v_mov_b32_e32 v29, 0x7fc02000
	s_mov_b32 s20, exec_lo
	s_delay_alu instid0(VALU_DEP_2) | instskip(NEXT) | instid1(VALU_DEP_1)
	v_and_b32_e32 v161, 0x7f, v149
	v_cmpx_ne_u32_e32 0x7f, v161
	s_cbranch_execz .LBB329_376
; %bb.373:                              ;   in Loop: Header=BB329_10 Depth=1
	v_and_b32_e32 v8, 7, v149
	v_lshrrev_b32_e32 v29, 3, v161
	s_mov_b32 s21, exec_lo
	v_cmpx_gt_u32_e32 8, v161
; %bb.374:                              ;   in Loop: Header=BB329_10 Depth=1
	s_delay_alu instid0(VALU_DEP_3) | instskip(NEXT) | instid1(VALU_DEP_1)
	v_clz_i32_u32_e32 v29, v8
	v_min_u32_e32 v29, 32, v29
	s_delay_alu instid0(VALU_DEP_1) | instskip(SKIP_1) | instid1(VALU_DEP_2)
	v_subrev_nc_u32_e32 v161, 28, v29
	v_sub_nc_u32_e32 v29, 29, v29
	v_lshlrev_b64 v[161:162], v161, v[8:9]
	s_delay_alu instid0(VALU_DEP_1)
	v_and_b32_e32 v8, 7, v161
; %bb.375:                              ;   in Loop: Header=BB329_10 Depth=1
	s_or_b32 exec_lo, exec_lo, s21
	v_lshlrev_b32_e32 v149, 8, v149
	v_lshl_add_u32 v29, v29, 10, 0x2000
	s_delay_alu instid0(VALU_DEP_1) | instskip(NEXT) | instid1(VALU_DEP_1)
	v_and_or_b32 v29, 0x8000, v149, v29
	v_lshl_or_b32 v8, v8, 7, v29
	s_delay_alu instid0(VALU_DEP_1)
	v_cvt_f32_f16_e32 v29, v8
.LBB329_376:                            ;   in Loop: Header=BB329_10 Depth=1
	s_or_b32 exec_lo, exec_lo, s20
.LBB329_377:                            ;   in Loop: Header=BB329_10 Depth=1
	s_delay_alu instid0(SALU_CYCLE_1)
	s_or_b32 exec_lo, exec_lo, s19
.LBB329_378:                            ;   in Loop: Header=BB329_10 Depth=1
	s_delay_alu instid0(SALU_CYCLE_1) | instskip(SKIP_2) | instid1(VALU_DEP_1)
	s_or_b32 exec_lo, exec_lo, s3
	v_lshrrev_b32_e32 v149, 16, v28
	s_mov_b32 s3, exec_lo
	v_and_b32_e32 v8, 0xff, v149
	s_delay_alu instid0(VALU_DEP_1)
	v_cmpx_ne_u16_e32 0, v8
	s_cbranch_execz .LBB329_386
; %bb.379:                              ;   in Loop: Header=BB329_10 Depth=1
	v_bfrev_b32_e32 v160, 1
	s_mov_b32 s19, exec_lo
	v_cmpx_ne_u16_e32 0x80, v8
	s_cbranch_execz .LBB329_385
; %bb.380:                              ;   in Loop: Header=BB329_10 Depth=1
	v_bfe_u32 v161, v28, 16, 7
	v_mov_b32_e32 v160, 0x7fc02000
	s_mov_b32 s20, exec_lo
	s_delay_alu instid0(VALU_DEP_2)
	v_cmpx_ne_u32_e32 0x7f, v161
	s_cbranch_execz .LBB329_384
; %bb.381:                              ;   in Loop: Header=BB329_10 Depth=1
	v_and_b32_e32 v8, 7, v149
	v_lshrrev_b32_e32 v160, 3, v161
	s_mov_b32 s21, exec_lo
	v_cmpx_gt_u32_e32 8, v161
; %bb.382:                              ;   in Loop: Header=BB329_10 Depth=1
	s_delay_alu instid0(VALU_DEP_3) | instskip(NEXT) | instid1(VALU_DEP_1)
	v_clz_i32_u32_e32 v160, v8
	v_min_u32_e32 v160, 32, v160
	s_delay_alu instid0(VALU_DEP_1) | instskip(SKIP_1) | instid1(VALU_DEP_2)
	v_subrev_nc_u32_e32 v161, 28, v160
	v_sub_nc_u32_e32 v160, 29, v160
	v_lshlrev_b64 v[161:162], v161, v[8:9]
	s_delay_alu instid0(VALU_DEP_1)
	v_and_b32_e32 v8, 7, v161
; %bb.383:                              ;   in Loop: Header=BB329_10 Depth=1
	s_or_b32 exec_lo, exec_lo, s21
	v_lshlrev_b32_e32 v149, 8, v149
	v_lshl_add_u32 v160, v160, 10, 0x2000
	s_delay_alu instid0(VALU_DEP_1) | instskip(NEXT) | instid1(VALU_DEP_1)
	v_and_or_b32 v149, 0x8000, v149, v160
	v_lshl_or_b32 v8, v8, 7, v149
	s_delay_alu instid0(VALU_DEP_1)
	v_cvt_f32_f16_e64 v160, v8
.LBB329_384:                            ;   in Loop: Header=BB329_10 Depth=1
	s_or_b32 exec_lo, exec_lo, s20
.LBB329_385:                            ;   in Loop: Header=BB329_10 Depth=1
	s_delay_alu instid0(SALU_CYCLE_1)
	s_or_b32 exec_lo, exec_lo, s19
.LBB329_386:                            ;   in Loop: Header=BB329_10 Depth=1
	s_delay_alu instid0(SALU_CYCLE_1)
	s_or_b32 exec_lo, exec_lo, s3
	v_mov_b32_e32 v8, 0
	s_mov_b32 s3, exec_lo
	v_cmpx_lt_u32_e32 0xffffff, v28
	s_cbranch_execz .LBB329_394
; %bb.387:                              ;   in Loop: Header=BB329_10 Depth=1
	v_lshrrev_b32_e32 v28, 24, v28
	v_bfrev_b32_e32 v8, 1
	s_mov_b32 s19, exec_lo
	s_delay_alu instid0(VALU_DEP_2)
	v_cmpx_ne_u32_e32 0x80, v28
	s_cbranch_execz .LBB329_393
; %bb.388:                              ;   in Loop: Header=BB329_10 Depth=1
	v_and_b32_e32 v161, 0x7f, v28
	v_mov_b32_e32 v8, 0x7fc02000
	s_mov_b32 s20, exec_lo
	s_delay_alu instid0(VALU_DEP_2)
	v_cmpx_ne_u32_e32 0x7f, v161
	s_cbranch_execz .LBB329_392
; %bb.389:                              ;   in Loop: Header=BB329_10 Depth=1
	v_and_b32_e32 v8, 7, v28
	v_lshrrev_b32_e32 v149, 3, v161
	s_mov_b32 s21, exec_lo
	v_cmpx_gt_u32_e32 8, v161
; %bb.390:                              ;   in Loop: Header=BB329_10 Depth=1
	s_delay_alu instid0(VALU_DEP_3) | instskip(NEXT) | instid1(VALU_DEP_1)
	v_clz_i32_u32_e32 v149, v8
	v_min_u32_e32 v149, 32, v149
	s_delay_alu instid0(VALU_DEP_1) | instskip(SKIP_1) | instid1(VALU_DEP_2)
	v_subrev_nc_u32_e32 v161, 28, v149
	v_sub_nc_u32_e32 v149, 29, v149
	v_lshlrev_b64 v[161:162], v161, v[8:9]
	s_delay_alu instid0(VALU_DEP_1)
	v_and_b32_e32 v8, 7, v161
; %bb.391:                              ;   in Loop: Header=BB329_10 Depth=1
	s_or_b32 exec_lo, exec_lo, s21
	v_lshlrev_b32_e32 v28, 8, v28
	v_lshl_add_u32 v149, v149, 10, 0x2000
	s_delay_alu instid0(VALU_DEP_1) | instskip(NEXT) | instid1(VALU_DEP_1)
	v_and_or_b32 v28, 0x8000, v28, v149
	v_lshl_or_b32 v8, v8, 7, v28
	s_delay_alu instid0(VALU_DEP_1)
	v_cvt_f32_f16_e32 v8, v8
.LBB329_392:                            ;   in Loop: Header=BB329_10 Depth=1
	s_or_b32 exec_lo, exec_lo, s20
.LBB329_393:                            ;   in Loop: Header=BB329_10 Depth=1
	s_delay_alu instid0(SALU_CYCLE_1)
	s_or_b32 exec_lo, exec_lo, s19
.LBB329_394:                            ;   in Loop: Header=BB329_10 Depth=1
	s_delay_alu instid0(SALU_CYCLE_1)
	s_or_b32 exec_lo, exec_lo, s3
	v_fma_mixlo_f16 v149, v65, v145, 0
	v_fma_mixlo_f16 v145, v65, v150, 0
	;; [unrolled: 1-line block ×12, first 2 shown]
	ds_load_b64 v[67:68], v52
	v_fma_mixlo_f16 v161, v65, v66, 0
	v_fma_mixlo_f16 v148, v65, v148, 0
	;; [unrolled: 1-line block ×36, first 2 shown]
	s_waitcnt lgkmcnt(0)
	v_lshrrev_b32_e32 v65, 16, v67
	v_and_b32_e32 v67, 0xffff, v67
	;;#ASMSTART
	v_cvt_f32_f16 v151, v67;
	;;#ASMEND
	;;#ASMSTART
	v_cvt_f32_f16 v160, v65;
	;;#ASMEND
	v_and_b32_e32 v65, 0xffff, v161
	;;#ASMSTART
	v_cvt_f32_f16 v161, v65;
	;;#ASMEND
	v_and_b32_e32 v65, 0xffff, v117
	;;#ASMSTART
	v_cvt_f32_f16 v117, v65;
	;;#ASMEND
	v_lshrrev_b32_e32 v65, 16, v68
	v_and_b32_e32 v67, 0xffff, v68
	;;#ASMSTART
	v_cvt_f32_f16 v163, v67;
	;;#ASMEND
	;;#ASMSTART
	v_cvt_f32_f16 v164, v65;
	;;#ASMEND
	v_and_b32_e32 v65, 0xffff, v162
	;;#ASMSTART
	v_cvt_f32_f16 v162, v65;
	;;#ASMEND
	v_and_b32_e32 v65, 0xffff, v69
	;;#ASMSTART
	v_cvt_f32_f16 v165, v65;
	;;#ASMEND
	ds_load_b64 v[67:68], v52 offset:8
	v_and_b32_e32 v29, 0xffff, v29
	v_and_b32_e32 v66, 0xffff, v66
	;; [unrolled: 1-line block ×4, first 2 shown]
	s_waitcnt lgkmcnt(0)
	v_lshrrev_b32_e32 v65, 16, v67
	v_and_b32_e32 v67, 0xffff, v67
	;;#ASMSTART
	v_cvt_f32_f16 v67, v67;
	;;#ASMEND
	;;#ASMSTART
	v_cvt_f32_f16 v69, v65;
	;;#ASMEND
	v_and_b32_e32 v65, 0xffff, v70
	;;#ASMSTART
	v_cvt_f32_f16 v65, v65;
	;;#ASMEND
	s_delay_alu instid0(VALU_DEP_1) | instskip(SKIP_1) | instid1(VALU_DEP_1)
	v_dual_mul_f32 v65, v67, v65 :: v_dual_and_b32 v70, 0xffff, v80
	;;#ASMSTART
	v_cvt_f32_f16 v70, v70;
	;;#ASMEND
	v_dual_mul_f32 v67, v69, v70 :: v_dual_and_b32 v70, 0xffff, v71
	v_lshrrev_b32_e32 v69, 16, v68
	s_delay_alu instid0(VALU_DEP_3)
	v_dual_fmac_f32 v65, v151, v161 :: v_dual_and_b32 v68, 0xffff, v68
	v_and_b32_e32 v71, 0xffff, v81
	;;#ASMSTART
	v_cvt_f32_f16 v68, v68;
	;;#ASMEND
	;;#ASMSTART
	v_cvt_f32_f16 v69, v69;
	;;#ASMEND
	;; [unrolled: 3-line block ×4, first 2 shown]
	v_dual_mul_f32 v68, v68, v70 :: v_dual_mul_f32 v69, v69, v71
	ds_load_b64 v[70:71], v52 offset:16
	v_fmac_f32_e32 v67, v160, v117
	v_and_b32_e32 v81, 0xffff, v82
	v_fmac_f32_e32 v68, v163, v162
	v_dual_fmac_f32 v69, v164, v165 :: v_dual_and_b32 v82, 0xffff, v84
	s_waitcnt lgkmcnt(0)
	v_lshrrev_b32_e32 v80, 16, v70
	v_and_b32_e32 v70, 0xffff, v70
	;;#ASMSTART
	v_cvt_f32_f16 v70, v70;
	;;#ASMEND
	;;#ASMSTART
	v_cvt_f32_f16 v80, v80;
	;;#ASMEND
	;;#ASMSTART
	v_cvt_f32_f16 v81, v81;
	;;#ASMEND
	s_delay_alu instid0(VALU_DEP_1)
	v_fmac_f32_e32 v65, v70, v81
	v_lshrrev_b32_e32 v70, 16, v71
	v_and_b32_e32 v71, 0xffff, v71
	;;#ASMSTART
	v_cvt_f32_f16 v82, v82;
	;;#ASMEND
	v_dual_fmac_f32 v67, v80, v82 :: v_dual_and_b32 v82, 0xffff, v96
	;;#ASMSTART
	v_cvt_f32_f16 v71, v71;
	;;#ASMEND
	;;#ASMSTART
	v_cvt_f32_f16 v70, v70;
	;;#ASMEND
	v_and_b32_e32 v80, 0xffff, v83
	v_and_b32_e32 v81, 0xffff, v85
	;;#ASMSTART
	v_cvt_f32_f16 v80, v80;
	;;#ASMEND
	;;#ASMSTART
	v_cvt_f32_f16 v81, v81;
	;;#ASMEND
	s_delay_alu instid0(VALU_DEP_1)
	v_dual_fmac_f32 v68, v71, v80 :: v_dual_fmac_f32 v69, v70, v81
	ds_load_b64 v[70:71], v52 offset:24
	v_and_b32_e32 v81, 0xffff, v86
	s_waitcnt lgkmcnt(0)
	v_lshrrev_b32_e32 v80, 16, v70
	v_and_b32_e32 v70, 0xffff, v70
	;;#ASMSTART
	v_cvt_f32_f16 v70, v70;
	;;#ASMEND
	;;#ASMSTART
	v_cvt_f32_f16 v80, v80;
	;;#ASMEND
	;;#ASMSTART
	v_cvt_f32_f16 v81, v81;
	;;#ASMEND
	s_delay_alu instid0(VALU_DEP_1)
	v_fmac_f32_e32 v65, v70, v81
	v_lshrrev_b32_e32 v70, 16, v71
	v_and_b32_e32 v71, 0xffff, v71
	;;#ASMSTART
	v_cvt_f32_f16 v82, v82;
	;;#ASMEND
	v_dual_fmac_f32 v67, v80, v82 :: v_dual_and_b32 v82, 0xffff, v100
	;;#ASMSTART
	v_cvt_f32_f16 v71, v71;
	;;#ASMEND
	;;#ASMSTART
	v_cvt_f32_f16 v70, v70;
	;;#ASMEND
	v_and_b32_e32 v80, 0xffff, v87
	v_and_b32_e32 v81, 0xffff, v97
	;;#ASMSTART
	v_cvt_f32_f16 v80, v80;
	;;#ASMEND
	;;#ASMSTART
	v_cvt_f32_f16 v81, v81;
	;;#ASMEND
	s_delay_alu instid0(VALU_DEP_1)
	v_dual_fmac_f32 v68, v71, v80 :: v_dual_fmac_f32 v69, v70, v81
	ds_load_b64 v[70:71], v52 offset:32
	v_and_b32_e32 v81, 0xffff, v98
	;; [unrolled: 38-line block ×8, first 2 shown]
	s_waitcnt lgkmcnt(0)
	v_lshrrev_b32_e32 v80, 16, v70
	v_and_b32_e32 v70, 0xffff, v70
	;;#ASMSTART
	v_cvt_f32_f16 v70, v70;
	;;#ASMEND
	;;#ASMSTART
	v_cvt_f32_f16 v80, v80;
	;;#ASMEND
	;; [unrolled: 3-line block ×3, first 2 shown]
	s_delay_alu instid0(VALU_DEP_1)
	v_fmac_f32_e32 v65, v70, v81
	v_lshrrev_b32_e32 v70, 16, v71
	v_and_b32_e32 v71, 0xffff, v71
	;;#ASMSTART
	v_cvt_f32_f16 v82, v82;
	;;#ASMEND
	v_fmac_f32_e32 v67, v80, v82
	;;#ASMSTART
	v_cvt_f32_f16 v71, v71;
	;;#ASMEND
	;;#ASMSTART
	v_cvt_f32_f16 v70, v70;
	;;#ASMEND
	v_and_b32_e32 v80, 0xffff, v146
	v_and_b32_e32 v81, 0xffff, v145
	;;#ASMSTART
	v_cvt_f32_f16 v80, v80;
	;;#ASMEND
	;;#ASMSTART
	v_cvt_f32_f16 v81, v81;
	;;#ASMEND
	s_delay_alu instid0(VALU_DEP_1)
	v_dual_fmac_f32 v68, v71, v80 :: v_dual_fmac_f32 v69, v70, v81
	ds_load_b64 v[70:71], v52 offset:88
	s_waitcnt lgkmcnt(0)
	v_lshrrev_b32_e32 v80, 16, v70
	v_and_b32_e32 v70, 0xffff, v70
	;;#ASMSTART
	v_cvt_f32_f16 v70, v70;
	;;#ASMEND
	;;#ASMSTART
	v_cvt_f32_f16 v80, v80;
	;;#ASMEND
	;; [unrolled: 3-line block ×4, first 2 shown]
	v_dual_fmac_f32 v65, v70, v66 :: v_dual_and_b32 v66, 0xffff, v71
	v_fmac_f32_e32 v67, v80, v29
	v_lshrrev_b32_e32 v29, 16, v71
	;;#ASMSTART
	v_cvt_f32_f16 v66, v66;
	;;#ASMEND
	;;#ASMSTART
	v_cvt_f32_f16 v29, v29;
	;;#ASMEND
	;; [unrolled: 3-line block ×3, first 2 shown]
	v_fmac_f32_e32 v68, v66, v28
	v_xor_b32_e32 v28, 1, v39
	;;#ASMSTART
	v_cvt_f32_f16 v8, v8;
	;;#ASMEND
	v_fmac_f32_e32 v69, v29, v8
	v_add_f32_e32 v8, v65, v67
	s_delay_alu instid0(VALU_DEP_3) | instskip(NEXT) | instid1(VALU_DEP_2)
	v_cmp_gt_i32_e64 s2, 32, v28
	v_add_f32_e32 v8, v8, v68
	s_delay_alu instid0(VALU_DEP_2) | instskip(NEXT) | instid1(VALU_DEP_2)
	v_cndmask_b32_e64 v28, v39, v28, s2
	v_add_f32_e32 v8, v69, v8
	s_delay_alu instid0(VALU_DEP_2)
	v_lshlrev_b32_e32 v28, 2, v28
	ds_bpermute_b32 v28, v28, v8
	s_and_saveexec_b32 s3, vcc_lo
	s_cbranch_execz .LBB329_9
; %bb.395:                              ;   in Loop: Header=BB329_10 Depth=1
	s_waitcnt lgkmcnt(0)
	v_dual_add_f32 v8, v8, v28 :: v_dual_add_nc_u32 v29, v53, v54
	s_load_b32 s19, s[8:9], 0x0
	v_cmp_lt_i32_e64 s2, v54, v32
	s_delay_alu instid0(VALU_DEP_2) | instskip(NEXT) | instid1(VALU_DEP_1)
	v_cvt_f32_i32_e32 v29, v29
	v_mul_f32_e32 v29, v48, v29
	s_delay_alu instid0(VALU_DEP_1) | instskip(NEXT) | instid1(VALU_DEP_1)
	v_cndmask_b32_e64 v28, 0, v29, s1
	v_dual_max_f32 v29, v50, v50 :: v_dual_fmac_f32 v28, v8, v13
	s_waitcnt lgkmcnt(0)
	s_delay_alu instid0(VALU_DEP_1) | instskip(SKIP_1) | instid1(VALU_DEP_2)
	v_dual_max_f32 v8, v29, v28 :: v_dual_add_nc_u32 v29, s19, v55
	v_cndmask_b32_e64 v28, 0, v28, s2
	v_cndmask_b32_e64 v50, v50, v8, s2
	ds_store_b32 v29, v28
	s_branch .LBB329_9
.LBB329_396:
	s_or_b32 exec_lo, exec_lo, s7
.LBB329_397:
	s_delay_alu instid0(SALU_CYCLE_1)
	s_or_b32 exec_lo, exec_lo, s17
	v_xor_b32_e32 v8, 16, v39
	v_xor_b32_e32 v9, 8, v39
	s_waitcnt lgkmcnt(0)
	s_lshr_b32 s8, s18, 16
	v_dual_max_f32 v13, v50, v50 :: v_dual_and_b32 v18, 31, v31
	v_cmp_lt_i32_e32 vcc_lo, v8, v49
	v_dual_cndmask_b32 v8, v39, v8 :: v_dual_lshlrev_b32 v25, 2, v34
	v_cmp_lt_i32_e32 vcc_lo, v9, v49
	s_delay_alu instid0(VALU_DEP_2) | instskip(SKIP_3) | instid1(VALU_DEP_1)
	v_dual_cndmask_b32 v9, v39, v9 :: v_dual_lshlrev_b32 v20, 2, v8
	ds_bpermute_b32 v8, v20, v50
	s_waitcnt lgkmcnt(0)
	v_dual_max_f32 v8, v8, v8 :: v_dual_lshlrev_b32 v21, 2, v9
	v_max_f32_e32 v8, v13, v8
	v_xor_b32_e32 v13, 4, v39
	s_delay_alu instid0(VALU_DEP_1) | instskip(SKIP_4) | instid1(VALU_DEP_1)
	v_cmp_lt_i32_e32 vcc_lo, v13, v49
	v_cndmask_b32_e32 v13, v39, v13, vcc_lo
	ds_bpermute_b32 v9, v21, v8
	v_lshlrev_b32_e32 v24, 2, v13
	v_xor_b32_e32 v13, 2, v39
	v_cmp_lt_i32_e32 vcc_lo, v13, v49
	v_cndmask_b32_e32 v13, v39, v13, vcc_lo
	v_cmp_eq_u32_e32 vcc_lo, 0, v18
	s_waitcnt lgkmcnt(0)
	v_max_f32_e32 v9, v9, v9
	s_delay_alu instid0(VALU_DEP_3) | instskip(NEXT) | instid1(VALU_DEP_2)
	v_lshlrev_b32_e32 v13, 2, v13
	v_max_f32_e32 v8, v8, v9
	ds_bpermute_b32 v9, v24, v8
	s_waitcnt lgkmcnt(0)
	v_max_f32_e32 v9, v9, v9
	s_delay_alu instid0(VALU_DEP_1)
	v_max_f32_e32 v8, v8, v9
	ds_bpermute_b32 v9, v13, v8
	s_and_saveexec_b32 s1, vcc_lo
	s_cbranch_execz .LBB329_399
; %bb.398:
	s_waitcnt lgkmcnt(0)
	v_dual_max_f32 v9, v9, v9 :: v_dual_max_f32 v8, v8, v8
	s_delay_alu instid0(VALU_DEP_1)
	v_max_f32_e32 v8, v8, v9
	ds_store_b32 v25, v8 offset:192
.LBB329_399:
	s_or_b32 exec_lo, exec_lo, s1
	v_cmp_gt_u32_e64 s1, 4, v18
	v_mov_b32_e32 v8, 0xff7fffff
	v_lshlrev_b32_e32 v28, 2, v18
	s_waitcnt lgkmcnt(0)
	s_barrier
	buffer_gl0_inv
	s_and_saveexec_b32 s2, s1
	s_cbranch_execz .LBB329_401
; %bb.400:
	ds_load_b32 v8, v28 offset:192
.LBB329_401:
	s_or_b32 exec_lo, exec_lo, s2
	s_waitcnt lgkmcnt(0)
	ds_bpermute_b32 v9, v13, v8
	v_xor_b32_e32 v19, 1, v39
	v_max_f32_e32 v8, v8, v8
	s_delay_alu instid0(VALU_DEP_2) | instskip(NEXT) | instid1(VALU_DEP_1)
	v_cmp_lt_i32_e64 s2, v19, v49
	v_cndmask_b32_e64 v19, v39, v19, s2
	s_waitcnt lgkmcnt(0)
	v_max_f32_e32 v9, v9, v9
	s_delay_alu instid0(VALU_DEP_1)
	v_dual_max_f32 v8, v8, v9 :: v_dual_lshlrev_b32 v19, 2, v19
	ds_bpermute_b32 v9, v19, v8
	s_waitcnt lgkmcnt(0)
	v_max_f32_e32 v9, v9, v9
	v_lshlrev_b32_e32 v29, 2, v39
	v_subrev_nc_u32_e32 v39, s13, v35
	s_delay_alu instid0(VALU_DEP_3) | instskip(NEXT) | instid1(VALU_DEP_3)
	v_max_f32_e32 v8, v8, v9
	v_and_b32_e32 v29, 0xffffff80, v29
	s_delay_alu instid0(VALU_DEP_3) | instskip(SKIP_3) | instid1(VALU_DEP_1)
	v_lshl_add_u32 v9, v39, 4, s16
	v_mov_b32_e32 v39, 0
	ds_bpermute_b32 v8, v29, v8
	v_min_i32_e32 v9, v9, v32
	v_subrev_nc_u32_e32 v9, s16, v9
	s_delay_alu instid0(VALU_DEP_1) | instskip(NEXT) | instid1(VALU_DEP_1)
	v_cmp_lt_i32_e64 s2, v31, v9
	s_and_saveexec_b32 s9, s2
	s_cbranch_execz .LBB329_405
; %bb.402:
	s_getpc_b64 s[18:19]
	s_add_u32 s18, s18, llvm.amdgcn.dynlds.offset.table@rel32@lo+4
	s_addc_u32 s19, s19, llvm.amdgcn.dynlds.offset.table@rel32@hi+12
	s_ashr_i32 s7, s6, 31
	v_mov_b32_e32 v39, 0
	s_lshl_b64 s[20:21], s[6:7], 2
	v_mov_b32_e32 v49, v31
	s_add_u32 s18, s20, s18
	s_addc_u32 s19, s21, s19
	s_mov_b32 s7, 0
	s_load_b32 s3, s[18:19], 0x0
	s_waitcnt lgkmcnt(0)
	v_lshl_add_u32 v48, v31, 2, s3
	.p2align	6
.LBB329_403:                            ; =>This Inner Loop Header: Depth=1
	ds_load_b32 v50, v48
	v_add_nc_u32_e32 v49, 0x80, v49
	s_delay_alu instid0(VALU_DEP_1) | instskip(NEXT) | instid1(VALU_DEP_1)
	v_cmp_ge_i32_e64 s3, v49, v9
	s_or_b32 s7, s3, s7
	s_waitcnt lgkmcnt(0)
	v_sub_f32_e32 v50, v50, v8
	s_delay_alu instid0(VALU_DEP_1) | instskip(NEXT) | instid1(VALU_DEP_1)
	v_mul_f32_e32 v50, 0x3fb8aa3b, v50
	v_exp_f32_e32 v50, v50
	ds_store_b32 v48, v50
	v_dual_add_f32 v39, v39, v50 :: v_dual_add_nc_u32 v48, 0x200, v48
	s_and_not1_b32 exec_lo, exec_lo, s7
	s_cbranch_execnz .LBB329_403
; %bb.404:
	s_or_b32 exec_lo, exec_lo, s7
.LBB329_405:
	s_delay_alu instid0(SALU_CYCLE_1)
	s_or_b32 exec_lo, exec_lo, s9
	ds_bpermute_b32 v20, v20, v39
	s_waitcnt lgkmcnt(0)
	v_add_f32_e32 v20, v39, v20
	ds_bpermute_b32 v21, v21, v20
	s_waitcnt lgkmcnt(0)
	v_add_f32_e32 v20, v20, v21
	;; [unrolled: 3-line block ×5, first 2 shown]
	s_and_saveexec_b32 s3, vcc_lo
	s_cbranch_execz .LBB329_407
; %bb.406:
	ds_store_b32 v25, v20 offset:208
.LBB329_407:
	s_or_b32 exec_lo, exec_lo, s3
	s_waitcnt lgkmcnt(0)
	s_barrier
	buffer_gl0_inv
	s_and_saveexec_b32 s3, s1
	s_cbranch_execz .LBB329_409
; %bb.408:
	ds_load_b32 v20, v28 offset:208
.LBB329_409:
	s_or_b32 exec_lo, exec_lo, s3
	s_waitcnt lgkmcnt(0)
	ds_bpermute_b32 v13, v13, v20
	s_waitcnt lgkmcnt(0)
	v_add_f32_e32 v13, v20, v13
	ds_bpermute_b32 v20, v19, v13
	s_waitcnt lgkmcnt(0)
	v_add_f32_e32 v13, v13, v20
	ds_bpermute_b32 v13, v29, v13
	s_and_saveexec_b32 s1, s2
	s_cbranch_execz .LBB329_412
; %bb.410:
	s_waitcnt lgkmcnt(0)
	v_add_f32_e32 v21, 0x358637bd, v13
	s_getpc_b64 s[2:3]
	s_add_u32 s2, s2, llvm.amdgcn.dynlds.offset.table@rel32@lo+4
	s_addc_u32 s3, s3, llvm.amdgcn.dynlds.offset.table@rel32@hi+12
	s_ashr_i32 s7, s6, 31
	s_delay_alu instid0(SALU_CYCLE_1) | instskip(SKIP_4) | instid1(VALU_DEP_1)
	s_lshl_b64 s[18:19], s[6:7], 2
	v_div_scale_f32 v20, null, v21, v21, 1.0
	s_add_u32 s2, s18, s2
	s_addc_u32 s3, s19, s3
	s_load_b32 s2, s[2:3], 0x0
	v_rcp_f32_e32 v24, v20
	s_waitcnt_depctr 0xfff
	v_fma_f32 v25, -v20, v24, 1.0
	s_delay_alu instid0(VALU_DEP_1) | instskip(SKIP_1) | instid1(VALU_DEP_1)
	v_fmac_f32_e32 v24, v25, v24
	v_div_scale_f32 v28, vcc_lo, 1.0, v21, 1.0
	v_mul_f32_e32 v25, v28, v24
	s_delay_alu instid0(VALU_DEP_1) | instskip(NEXT) | instid1(VALU_DEP_1)
	v_fma_f32 v29, -v20, v25, v28
	v_fmac_f32_e32 v25, v29, v24
	s_delay_alu instid0(VALU_DEP_1) | instskip(NEXT) | instid1(VALU_DEP_1)
	v_fma_f32 v20, -v20, v25, v28
	v_div_fmas_f32 v24, v20, v24, v25
	s_waitcnt lgkmcnt(0)
	v_lshl_add_u32 v20, v31, 2, s2
	s_mov_b32 s2, 0
	s_delay_alu instid0(VALU_DEP_2)
	v_div_fixup_f32 v21, v24, v21, 1.0
	v_mov_b32_e32 v24, v31
.LBB329_411:                            ; =>This Inner Loop Header: Depth=1
	ds_load_b32 v25, v20
	s_waitcnt lgkmcnt(0)
	v_dual_mul_f32 v25, v21, v25 :: v_dual_add_nc_u32 v24, 0x80, v24
	s_delay_alu instid0(VALU_DEP_1) | instskip(SKIP_3) | instid1(SALU_CYCLE_1)
	v_cmp_ge_i32_e32 vcc_lo, v24, v9
	ds_store_b32 v20, v25
	v_add_nc_u32_e32 v20, 0x200, v20
	s_or_b32 s2, vcc_lo, s2
	s_and_not1_b32 exec_lo, exec_lo, s2
	s_cbranch_execnz .LBB329_411
.LBB329_412:
	s_or_b32 exec_lo, exec_lo, s1
	v_cmp_ne_u16_e64 s1, s8, 0
	s_waitcnt lgkmcnt(0)
	s_barrier
	buffer_gl0_inv
	s_cmp_lg_u32 s1, 0
	s_addc_u32 s1, s5, 0
	s_mov_b32 s5, exec_lo
	s_mul_i32 s2, s1, s10
	s_delay_alu instid0(SALU_CYCLE_1)
	s_mul_i32 s2, s2, s15
	v_cmpx_eq_u32_e32 0, v31
	s_cbranch_execz .LBB329_414
; %bb.413:
	s_mul_i32 s8, s1, s12
	s_ashr_i32 s15, s14, 31
	s_ashr_i32 s9, s8, 31
	;; [unrolled: 1-line block ×3, first 2 shown]
	s_lshl_b64 s[8:9], s[8:9], 2
	s_lshl_b64 s[12:13], s[14:15], 2
	s_lshl_b64 s[18:19], s[2:3], 2
	s_add_u32 s3, s12, s8
	s_addc_u32 s7, s13, s9
	s_add_u32 s3, s3, s18
	s_addc_u32 s7, s7, s19
	v_add_co_u32 v2, vcc_lo, s3, v2
	v_add_co_ci_u32_e32 v3, vcc_lo, s7, v3, vcc_lo
	v_add_co_u32 v0, vcc_lo, s3, v0
	v_add_co_ci_u32_e32 v1, vcc_lo, s7, v1, vcc_lo
	flat_store_b32 v[2:3], v8
	flat_store_b32 v[0:1], v13
.LBB329_414:
	s_or_b32 exec_lo, exec_lo, s5
                                        ; implicit-def: $sgpr5
	s_and_saveexec_b32 s3, s0
	s_delay_alu instid0(SALU_CYCLE_1)
	s_xor_b32 s0, exec_lo, s3
; %bb.415:
	s_ashr_i32 s7, s6, 31
	s_mov_b32 s5, 0
                                        ; implicit-def: $vgpr32
                                        ; implicit-def: $vgpr36
                                        ; implicit-def: $vgpr35
                                        ; implicit-def: $vgpr6
                                        ; implicit-def: $vgpr10
                                        ; implicit-def: $vgpr11
                                        ; implicit-def: $vgpr14
                                        ; implicit-def: $vgpr15
                                        ; implicit-def: $vgpr22
                                        ; implicit-def: $vgpr26_vgpr27
                                        ; implicit-def: $vgpr37
                                        ; implicit-def: $vgpr38
                                        ; implicit-def: $vgpr16_vgpr17
                                        ; implicit-def: $vgpr23
                                        ; implicit-def: $vgpr12
; %bb.416:
	s_or_saveexec_b32 s3, s0
	v_dual_mov_b32 v21, s5 :: v_dual_mov_b32 v0, s6
	v_dual_mov_b32 v1, s7 :: v_dual_mov_b32 v24, s5
	;; [unrolled: 1-line block ×4, first 2 shown]
	s_xor_b32 exec_lo, exec_lo, s3
	s_cbranch_execz .LBB329_816
; %bb.417:
	s_getpc_b64 s[8:9]
	s_add_u32 s8, s8, llvm.amdgcn.dynlds.offset.table@rel32@lo+4
	s_addc_u32 s9, s9, llvm.amdgcn.dynlds.offset.table@rel32@hi+12
	s_ashr_i32 s7, s6, 31
	v_add_co_u32 v2, vcc_lo, v10, v37
	s_lshl_b64 s[12:13], s[6:7], 2
	v_dual_mov_b32 v20, 0 :: v_dual_and_b32 v9, 0xf8, v12
	s_add_u32 s8, s12, s8
	s_addc_u32 s9, s13, s9
	v_add_co_ci_u32_e32 v3, vcc_lo, v11, v38, vcc_lo
	s_load_b32 s0, s[8:9], 0x0
	v_lshlrev_b64 v[7:8], 2, v[6:7]
	v_add_co_u32 v2, vcc_lo, v2, v9
	v_dual_mov_b32 v28, 0 :: v_dual_lshlrev_b32 v9, 5, v33
	v_add_co_ci_u32_e32 v3, vcc_lo, 0, v3, vcc_lo
	s_delay_alu instid0(VALU_DEP_4) | instskip(SKIP_3) | instid1(VALU_DEP_4)
	v_add_co_u32 v7, vcc_lo, v16, v7
	v_dual_mov_b32 v1, 0 :: v_dual_and_b32 v0, 8, v12
	v_add_co_ci_u32_e32 v8, vcc_lo, v17, v8, vcc_lo
	v_lshl_or_b32 v9, v34, 6, v9
	v_add_co_u32 v7, vcc_lo, v14, v7
	v_dual_mov_b32 v37, v32 :: v_dual_add_nc_u32 v36, -1, v36
	s_delay_alu instid0(VALU_DEP_4)
	v_add_co_ci_u32_e32 v8, vcc_lo, v15, v8, vcc_lo
	v_add3_u32 v15, s16, v23, v0
	s_waitcnt lgkmcnt(0)
	v_dual_mov_b32 v29, 0 :: v_dual_add_nc_u32 v16, s0, v9
	v_dual_mov_b32 v25, 0 :: v_dual_mov_b32 v24, 0
	v_mov_b32_e32 v21, 0
	s_mov_b32 s8, -1
	s_mov_b32 s9, 0xffffff
	s_mov_b32 s5, 0
	s_branch .LBB329_419
.LBB329_418:                            ;   in Loop: Header=BB329_419 Depth=1
	s_or_b32 exec_lo, exec_lo, s0
	;;#ASMSTART
	v_pk_mul_f16 v12, v54, v12;

	;;#ASMEND
	;;#ASMSTART
	v_pk_mul_f16 v10, v53, v10;

	;;#ASMEND
	v_add_f32_e32 v11, v55, v64
	;;#ASMSTART
	v_pk_mul_f16 v0, v52, v0;

	;;#ASMEND
	;;#ASMSTART
	v_pk_mul_f16 v9, v51, v9;

	;;#ASMEND
	;;#ASMSTART
	v_pk_add_f16 v10, v12, v10;

	;;#ASMEND
	v_add_f32_e32 v12, v13, v14
	v_dual_add_f32 v17, v65, v66 :: v_dual_add_f32 v20, v20, v11
	;;#ASMSTART
	v_pk_add_f16 v0, v10, v0;

	;;#ASMEND
	v_add_f32_e32 v10, v67, v68
	;;#ASMSTART
	v_pk_add_f16 v0, v0, v9;

	;;#ASMEND
	s_delay_alu instid0(VALU_DEP_2)
	v_add_f32_e32 v29, v29, v17
	v_and_b32_e32 v9, 0xffff, v0
	v_lshrrev_b32_e32 v0, 16, v0
	v_add_f32_e32 v28, v28, v10
	v_dual_add_f32 v11, v69, v70 :: v_dual_add_f32 v24, v24, v12
	v_add_nc_u32_e32 v6, 4, v6
	;;#ASMSTART
	v_cvt_f32_f16 v9, v9;
	;;#ASMEND
	;;#ASMSTART
	v_cvt_f32_f16 v0, v0;
	;;#ASMEND
	s_delay_alu instid0(VALU_DEP_2) | instskip(SKIP_3) | instid1(VALU_DEP_3)
	v_add_f32_e32 v25, v25, v11
	v_dual_add_f32 v0, v9, v0 :: v_dual_add_nc_u32 v15, 64, v15
	v_cmp_ge_i32_e32 vcc_lo, v6, v35
	v_add_co_u32 v7, s0, v7, 16
	v_add_f32_e32 v21, v21, v0
	v_add_co_ci_u32_e64 v8, s0, 0, v8, s0
	v_add_nc_u32_e32 v16, 0x100, v16
	s_or_b32 s5, vcc_lo, s5
	s_delay_alu instid0(SALU_CYCLE_1)
	s_and_not1_b32 exec_lo, exec_lo, s5
	s_cbranch_execz .LBB329_815
.LBB329_419:                            ; =>This Inner Loop Header: Depth=1
	flat_load_b32 v0, v[7:8]
	ds_load_2addr_b64 v[10:13], v16 offset1:1
	ds_load_2addr_b64 v[65:68], v16 offset0:2 offset1:3
	s_mov_b32 s0, exec_lo
	s_waitcnt lgkmcnt(1)
	;;#ASMSTART
	v_cvt_f16_f32 v51, v10;

	;;#ASMEND
	;;#ASMSTART
	v_cvt_f16_f32 v52, v11;

	;;#ASMEND
	;; [unrolled: 4-line block ×4, first 2 shown]
	s_waitcnt lgkmcnt(0)
	;;#ASMSTART
	v_cvt_f16_f32 v65, v65;

	;;#ASMEND
	;;#ASMSTART
	v_cvt_f16_f32 v55, v66;

	;;#ASMEND
	;; [unrolled: 4-line block ×4, first 2 shown]
	v_mov_b32_e32 v23, 0
	s_waitcnt vmcnt(0)
	v_mad_i64_i32 v[9:10], null, v0, v22, v[2:3]
	flat_load_b64 v[11:12], v[9:10]
	flat_load_b32 v17, v[26:27]
	s_waitcnt vmcnt(1) lgkmcnt(1)
	v_and_b32_e32 v0, 0xff, v11
	s_delay_alu instid0(VALU_DEP_1)
	v_cmpx_ne_u16_e32 0, v0
	s_cbranch_execz .LBB329_427
; %bb.420:                              ;   in Loop: Header=BB329_419 Depth=1
	v_bfrev_b32_e32 v23, 1
	s_mov_b32 s10, exec_lo
	v_cmpx_ne_u16_e32 0x80, v0
	s_cbranch_execz .LBB329_426
; %bb.421:                              ;   in Loop: Header=BB329_419 Depth=1
	v_and_b32_e32 v13, 0x7f, v11
	v_mov_b32_e32 v23, 0x7fc02000
	s_mov_b32 s12, exec_lo
	s_delay_alu instid0(VALU_DEP_2)
	v_cmpx_ne_u32_e32 0x7f, v13
	s_cbranch_execz .LBB329_425
; %bb.422:                              ;   in Loop: Header=BB329_419 Depth=1
	v_lshrrev_b32_e32 v0, 3, v13
	v_cmp_gt_u32_e32 vcc_lo, 8, v13
	v_dual_mov_b32 v14, v12 :: v_dual_mov_b32 v13, v11
	s_and_saveexec_b32 s13, vcc_lo
; %bb.423:                              ;   in Loop: Header=BB329_419 Depth=1
	v_and_b32_e32 v0, 7, v11
	s_delay_alu instid0(VALU_DEP_1) | instskip(NEXT) | instid1(VALU_DEP_1)
	v_clz_i32_u32_e32 v0, v0
	v_min_u32_e32 v0, 32, v0
	s_delay_alu instid0(VALU_DEP_1) | instskip(SKIP_1) | instid1(VALU_DEP_2)
	v_subrev_nc_u32_e32 v13, 28, v0
	v_sub_nc_u32_e32 v0, 29, v0
	v_lshlrev_b64 v[13:14], v13, v[11:12]
; %bb.424:                              ;   in Loop: Header=BB329_419 Depth=1
	s_or_b32 exec_lo, exec_lo, s13
	v_lshlrev_b32_e32 v14, 8, v11
	s_delay_alu instid0(VALU_DEP_3) | instskip(NEXT) | instid1(VALU_DEP_3)
	v_lshl_add_u32 v0, v0, 10, 0x2000
	v_lshlrev_b32_e32 v13, 7, v13
	s_delay_alu instid0(VALU_DEP_2) | instskip(NEXT) | instid1(VALU_DEP_1)
	v_and_or_b32 v0, 0x8000, v14, v0
	v_and_or_b32 v0, 0x380, v13, v0
	s_delay_alu instid0(VALU_DEP_1)
	v_cvt_f32_f16_e32 v23, v0
.LBB329_425:                            ;   in Loop: Header=BB329_419 Depth=1
	s_or_b32 exec_lo, exec_lo, s12
.LBB329_426:                            ;   in Loop: Header=BB329_419 Depth=1
	s_delay_alu instid0(SALU_CYCLE_1)
	s_or_b32 exec_lo, exec_lo, s10
.LBB329_427:                            ;   in Loop: Header=BB329_419 Depth=1
	s_delay_alu instid0(SALU_CYCLE_1) | instskip(SKIP_3) | instid1(VALU_DEP_2)
	s_or_b32 exec_lo, exec_lo, s0
	v_lshrrev_b16 v0, 8, v11
	v_dual_mov_b32 v39, 0 :: v_dual_mov_b32 v38, 0
	s_mov_b32 s0, exec_lo
	v_cmpx_ne_u16_e32 0, v0
	s_cbranch_execz .LBB329_435
; %bb.428:                              ;   in Loop: Header=BB329_419 Depth=1
	v_bfrev_b32_e32 v38, 1
	s_mov_b32 s10, exec_lo
	v_cmpx_ne_u16_e32 0x80, v0
	s_cbranch_execz .LBB329_434
; %bb.429:                              ;   in Loop: Header=BB329_419 Depth=1
	v_and_b32_e32 v13, 0xffff, v0
	v_mov_b32_e32 v38, 0x7fc02000
	s_mov_b32 s12, exec_lo
	s_delay_alu instid0(VALU_DEP_2) | instskip(NEXT) | instid1(VALU_DEP_1)
	v_and_b32_e32 v48, 0x7f, v13
	v_cmpx_ne_u32_e32 0x7f, v48
	s_cbranch_execz .LBB329_433
; %bb.430:                              ;   in Loop: Header=BB329_419 Depth=1
	v_and_b32_e32 v0, 7, v13
	v_lshrrev_b32_e32 v14, 3, v48
	s_mov_b32 s13, exec_lo
	v_cmpx_gt_u32_e32 8, v48
; %bb.431:                              ;   in Loop: Header=BB329_419 Depth=1
	s_delay_alu instid0(VALU_DEP_3) | instskip(NEXT) | instid1(VALU_DEP_1)
	v_clz_i32_u32_e32 v14, v0
	v_min_u32_e32 v14, 32, v14
	s_delay_alu instid0(VALU_DEP_1) | instskip(SKIP_1) | instid1(VALU_DEP_2)
	v_subrev_nc_u32_e32 v38, 28, v14
	v_sub_nc_u32_e32 v14, 29, v14
	v_lshlrev_b64 v[48:49], v38, v[0:1]
	s_delay_alu instid0(VALU_DEP_1)
	v_and_b32_e32 v0, 7, v48
; %bb.432:                              ;   in Loop: Header=BB329_419 Depth=1
	s_or_b32 exec_lo, exec_lo, s13
	v_lshlrev_b32_e32 v13, 8, v13
	v_lshl_add_u32 v14, v14, 10, 0x2000
	s_delay_alu instid0(VALU_DEP_1) | instskip(NEXT) | instid1(VALU_DEP_1)
	v_and_or_b32 v13, 0x8000, v13, v14
	v_lshl_or_b32 v0, v0, 7, v13
	s_delay_alu instid0(VALU_DEP_1)
	v_cvt_f32_f16_e32 v38, v0
.LBB329_433:                            ;   in Loop: Header=BB329_419 Depth=1
	s_or_b32 exec_lo, exec_lo, s12
.LBB329_434:                            ;   in Loop: Header=BB329_419 Depth=1
	s_delay_alu instid0(SALU_CYCLE_1)
	s_or_b32 exec_lo, exec_lo, s10
.LBB329_435:                            ;   in Loop: Header=BB329_419 Depth=1
	s_delay_alu instid0(SALU_CYCLE_1) | instskip(SKIP_2) | instid1(VALU_DEP_1)
	s_or_b32 exec_lo, exec_lo, s0
	v_lshrrev_b32_e32 v13, 16, v11
	s_mov_b32 s0, exec_lo
	v_and_b32_e32 v0, 0xff, v13
	s_delay_alu instid0(VALU_DEP_1)
	v_cmpx_ne_u16_e32 0, v0
	s_cbranch_execz .LBB329_443
; %bb.436:                              ;   in Loop: Header=BB329_419 Depth=1
	v_bfrev_b32_e32 v39, 1
	s_mov_b32 s10, exec_lo
	v_cmpx_ne_u16_e32 0x80, v0
	s_cbranch_execz .LBB329_442
; %bb.437:                              ;   in Loop: Header=BB329_419 Depth=1
	v_bfe_u32 v48, v11, 16, 7
	v_mov_b32_e32 v39, 0x7fc02000
	s_mov_b32 s12, exec_lo
	s_delay_alu instid0(VALU_DEP_2)
	v_cmpx_ne_u32_e32 0x7f, v48
	s_cbranch_execz .LBB329_441
; %bb.438:                              ;   in Loop: Header=BB329_419 Depth=1
	v_and_b32_e32 v0, 7, v13
	v_lshrrev_b32_e32 v14, 3, v48
	s_mov_b32 s13, exec_lo
	v_cmpx_gt_u32_e32 8, v48
; %bb.439:                              ;   in Loop: Header=BB329_419 Depth=1
	s_delay_alu instid0(VALU_DEP_3) | instskip(NEXT) | instid1(VALU_DEP_1)
	v_clz_i32_u32_e32 v14, v0
	v_min_u32_e32 v14, 32, v14
	s_delay_alu instid0(VALU_DEP_1) | instskip(SKIP_1) | instid1(VALU_DEP_2)
	v_subrev_nc_u32_e32 v39, 28, v14
	v_sub_nc_u32_e32 v14, 29, v14
	v_lshlrev_b64 v[48:49], v39, v[0:1]
	s_delay_alu instid0(VALU_DEP_1)
	v_and_b32_e32 v0, 7, v48
; %bb.440:                              ;   in Loop: Header=BB329_419 Depth=1
	s_or_b32 exec_lo, exec_lo, s13
	v_lshlrev_b32_e32 v13, 8, v13
	v_lshl_add_u32 v14, v14, 10, 0x2000
	s_delay_alu instid0(VALU_DEP_1) | instskip(NEXT) | instid1(VALU_DEP_1)
	v_and_or_b32 v13, 0x8000, v13, v14
	v_lshl_or_b32 v0, v0, 7, v13
	s_delay_alu instid0(VALU_DEP_1)
	v_cvt_f32_f16_e32 v39, v0
.LBB329_441:                            ;   in Loop: Header=BB329_419 Depth=1
	s_or_b32 exec_lo, exec_lo, s12
.LBB329_442:                            ;   in Loop: Header=BB329_419 Depth=1
	s_delay_alu instid0(SALU_CYCLE_1)
	s_or_b32 exec_lo, exec_lo, s10
.LBB329_443:                            ;   in Loop: Header=BB329_419 Depth=1
	s_delay_alu instid0(SALU_CYCLE_1)
	s_or_b32 exec_lo, exec_lo, s0
	v_dual_mov_b32 v13, 0 :: v_dual_mov_b32 v48, 0
	s_mov_b32 s0, exec_lo
	v_cmpx_lt_u32_e32 0xffffff, v11
	s_cbranch_execz .LBB329_451
; %bb.444:                              ;   in Loop: Header=BB329_419 Depth=1
	v_lshrrev_b32_e32 v14, 24, v11
	v_bfrev_b32_e32 v48, 1
	s_mov_b32 s10, exec_lo
	s_delay_alu instid0(VALU_DEP_2)
	v_cmpx_ne_u32_e32 0x80, v14
	s_cbranch_execz .LBB329_450
; %bb.445:                              ;   in Loop: Header=BB329_419 Depth=1
	v_and_b32_e32 v49, 0x7f, v14
	v_mov_b32_e32 v48, 0x7fc02000
	s_mov_b32 s12, exec_lo
	s_delay_alu instid0(VALU_DEP_2)
	v_cmpx_ne_u32_e32 0x7f, v49
	s_cbranch_execz .LBB329_449
; %bb.446:                              ;   in Loop: Header=BB329_419 Depth=1
	v_and_b32_e32 v0, 7, v14
	v_lshrrev_b32_e32 v48, 3, v49
	s_mov_b32 s13, exec_lo
	v_cmpx_gt_u32_e32 8, v49
; %bb.447:                              ;   in Loop: Header=BB329_419 Depth=1
	s_delay_alu instid0(VALU_DEP_3) | instskip(NEXT) | instid1(VALU_DEP_1)
	v_clz_i32_u32_e32 v48, v0
	v_min_u32_e32 v48, 32, v48
	s_delay_alu instid0(VALU_DEP_1) | instskip(SKIP_1) | instid1(VALU_DEP_2)
	v_subrev_nc_u32_e32 v49, 28, v48
	v_sub_nc_u32_e32 v48, 29, v48
	v_lshlrev_b64 v[49:50], v49, v[0:1]
	s_delay_alu instid0(VALU_DEP_1)
	v_and_b32_e32 v0, 7, v49
; %bb.448:                              ;   in Loop: Header=BB329_419 Depth=1
	s_or_b32 exec_lo, exec_lo, s13
	v_lshlrev_b32_e32 v14, 8, v14
	v_lshl_add_u32 v48, v48, 10, 0x2000
	s_delay_alu instid0(VALU_DEP_1) | instskip(NEXT) | instid1(VALU_DEP_1)
	v_and_or_b32 v14, 0x8000, v14, v48
	v_lshl_or_b32 v0, v0, 7, v14
	s_delay_alu instid0(VALU_DEP_1)
	v_cvt_f32_f16_e32 v48, v0
.LBB329_449:                            ;   in Loop: Header=BB329_419 Depth=1
	s_or_b32 exec_lo, exec_lo, s12
.LBB329_450:                            ;   in Loop: Header=BB329_419 Depth=1
	s_delay_alu instid0(SALU_CYCLE_1)
	s_or_b32 exec_lo, exec_lo, s10
.LBB329_451:                            ;   in Loop: Header=BB329_419 Depth=1
	s_delay_alu instid0(SALU_CYCLE_1) | instskip(SKIP_3) | instid1(VALU_DEP_2)
	s_or_b32 exec_lo, exec_lo, s0
	v_and_b32_e32 v14, 0xff, v12
	v_mov_b32_e32 v0, v12
	s_mov_b32 s0, exec_lo
	v_cmpx_ne_u16_e32 0, v14
	s_cbranch_execz .LBB329_459
; %bb.452:                              ;   in Loop: Header=BB329_419 Depth=1
	v_bfrev_b32_e32 v13, 1
	s_mov_b32 s10, exec_lo
	v_cmpx_ne_u16_e32 0x80, v14
	s_cbranch_execz .LBB329_458
; %bb.453:                              ;   in Loop: Header=BB329_419 Depth=1
	v_and_b32_e32 v14, 0x7f, v12
	v_mov_b32_e32 v13, 0x7fc02000
	s_mov_b32 s12, exec_lo
	s_delay_alu instid0(VALU_DEP_2)
	v_cmpx_ne_u32_e32 0x7f, v14
	s_cbranch_execz .LBB329_457
; %bb.454:                              ;   in Loop: Header=BB329_419 Depth=1
	v_lshrrev_b32_e32 v49, 3, v14
	v_cmp_gt_u32_e32 vcc_lo, 8, v14
	v_dual_mov_b32 v14, v1 :: v_dual_mov_b32 v13, v0
	s_and_saveexec_b32 s13, vcc_lo
; %bb.455:                              ;   in Loop: Header=BB329_419 Depth=1
	v_and_b32_e32 v13, 7, v12
	s_delay_alu instid0(VALU_DEP_1) | instskip(NEXT) | instid1(VALU_DEP_1)
	v_clz_i32_u32_e32 v13, v13
	v_min_u32_e32 v49, 32, v13
	s_delay_alu instid0(VALU_DEP_1) | instskip(SKIP_1) | instid1(VALU_DEP_2)
	v_subrev_nc_u32_e32 v13, 28, v49
	v_sub_nc_u32_e32 v49, 29, v49
	v_lshlrev_b64 v[13:14], v13, v[0:1]
; %bb.456:                              ;   in Loop: Header=BB329_419 Depth=1
	s_or_b32 exec_lo, exec_lo, s13
	v_lshlrev_b32_e32 v14, 8, v12
	s_delay_alu instid0(VALU_DEP_3) | instskip(NEXT) | instid1(VALU_DEP_3)
	v_lshl_add_u32 v49, v49, 10, 0x2000
	v_lshlrev_b32_e32 v13, 7, v13
	s_delay_alu instid0(VALU_DEP_2) | instskip(NEXT) | instid1(VALU_DEP_1)
	v_and_or_b32 v14, 0x8000, v14, v49
	v_and_or_b32 v13, 0x380, v13, v14
	s_delay_alu instid0(VALU_DEP_1)
	v_cvt_f32_f16_e32 v13, v13
.LBB329_457:                            ;   in Loop: Header=BB329_419 Depth=1
	s_or_b32 exec_lo, exec_lo, s12
.LBB329_458:                            ;   in Loop: Header=BB329_419 Depth=1
	s_delay_alu instid0(SALU_CYCLE_1)
	s_or_b32 exec_lo, exec_lo, s10
.LBB329_459:                            ;   in Loop: Header=BB329_419 Depth=1
	s_delay_alu instid0(SALU_CYCLE_1) | instskip(SKIP_3) | instid1(VALU_DEP_2)
	s_or_b32 exec_lo, exec_lo, s0
	v_lshrrev_b16 v0, 8, v0
	v_dual_mov_b32 v14, 0 :: v_dual_mov_b32 v49, 0
	s_mov_b32 s0, exec_lo
	v_cmpx_ne_u16_e32 0, v0
	s_cbranch_execz .LBB329_467
; %bb.460:                              ;   in Loop: Header=BB329_419 Depth=1
	v_bfrev_b32_e32 v49, 1
	s_mov_b32 s10, exec_lo
	v_cmpx_ne_u16_e32 0x80, v0
	s_cbranch_execz .LBB329_466
; %bb.461:                              ;   in Loop: Header=BB329_419 Depth=1
	v_and_b32_e32 v50, 0xffff, v0
	v_mov_b32_e32 v49, 0x7fc02000
	s_mov_b32 s12, exec_lo
	s_delay_alu instid0(VALU_DEP_2) | instskip(NEXT) | instid1(VALU_DEP_1)
	v_and_b32_e32 v67, 0x7f, v50
	v_cmpx_ne_u32_e32 0x7f, v67
	s_cbranch_execz .LBB329_465
; %bb.462:                              ;   in Loop: Header=BB329_419 Depth=1
	v_and_b32_e32 v0, 7, v50
	v_lshrrev_b32_e32 v49, 3, v67
	s_mov_b32 s13, exec_lo
	v_cmpx_gt_u32_e32 8, v67
; %bb.463:                              ;   in Loop: Header=BB329_419 Depth=1
	s_delay_alu instid0(VALU_DEP_3) | instskip(NEXT) | instid1(VALU_DEP_1)
	v_clz_i32_u32_e32 v49, v0
	v_min_u32_e32 v49, 32, v49
	s_delay_alu instid0(VALU_DEP_1) | instskip(SKIP_1) | instid1(VALU_DEP_2)
	v_subrev_nc_u32_e32 v67, 28, v49
	v_sub_nc_u32_e32 v49, 29, v49
	v_lshlrev_b64 v[67:68], v67, v[0:1]
	s_delay_alu instid0(VALU_DEP_1)
	v_and_b32_e32 v0, 7, v67
; %bb.464:                              ;   in Loop: Header=BB329_419 Depth=1
	s_or_b32 exec_lo, exec_lo, s13
	v_lshlrev_b32_e32 v50, 8, v50
	v_lshl_add_u32 v49, v49, 10, 0x2000
	s_delay_alu instid0(VALU_DEP_1) | instskip(NEXT) | instid1(VALU_DEP_1)
	v_and_or_b32 v49, 0x8000, v50, v49
	v_lshl_or_b32 v0, v0, 7, v49
	s_delay_alu instid0(VALU_DEP_1)
	v_cvt_f32_f16_e32 v49, v0
.LBB329_465:                            ;   in Loop: Header=BB329_419 Depth=1
	s_or_b32 exec_lo, exec_lo, s12
.LBB329_466:                            ;   in Loop: Header=BB329_419 Depth=1
	s_delay_alu instid0(SALU_CYCLE_1)
	s_or_b32 exec_lo, exec_lo, s10
.LBB329_467:                            ;   in Loop: Header=BB329_419 Depth=1
	s_delay_alu instid0(SALU_CYCLE_1) | instskip(SKIP_2) | instid1(VALU_DEP_1)
	s_or_b32 exec_lo, exec_lo, s0
	v_lshrrev_b32_e32 v50, 16, v12
	s_mov_b32 s0, exec_lo
	v_and_b32_e32 v0, 0xff, v50
	s_delay_alu instid0(VALU_DEP_1)
	v_cmpx_ne_u16_e32 0, v0
	s_cbranch_execz .LBB329_475
; %bb.468:                              ;   in Loop: Header=BB329_419 Depth=1
	v_bfrev_b32_e32 v14, 1
	s_mov_b32 s10, exec_lo
	v_cmpx_ne_u16_e32 0x80, v0
	s_cbranch_execz .LBB329_474
; %bb.469:                              ;   in Loop: Header=BB329_419 Depth=1
	v_bfe_u32 v67, v12, 16, 7
	v_mov_b32_e32 v14, 0x7fc02000
	s_mov_b32 s12, exec_lo
	s_delay_alu instid0(VALU_DEP_2)
	v_cmpx_ne_u32_e32 0x7f, v67
	s_cbranch_execz .LBB329_473
; %bb.470:                              ;   in Loop: Header=BB329_419 Depth=1
	v_and_b32_e32 v0, 7, v50
	v_lshrrev_b32_e32 v14, 3, v67
	s_mov_b32 s13, exec_lo
	v_cmpx_gt_u32_e32 8, v67
; %bb.471:                              ;   in Loop: Header=BB329_419 Depth=1
	s_delay_alu instid0(VALU_DEP_3) | instskip(NEXT) | instid1(VALU_DEP_1)
	v_clz_i32_u32_e32 v14, v0
	v_min_u32_e32 v14, 32, v14
	s_delay_alu instid0(VALU_DEP_1) | instskip(SKIP_1) | instid1(VALU_DEP_2)
	v_subrev_nc_u32_e32 v67, 28, v14
	v_sub_nc_u32_e32 v14, 29, v14
	v_lshlrev_b64 v[67:68], v67, v[0:1]
	s_delay_alu instid0(VALU_DEP_1)
	v_and_b32_e32 v0, 7, v67
; %bb.472:                              ;   in Loop: Header=BB329_419 Depth=1
	s_or_b32 exec_lo, exec_lo, s13
	v_lshlrev_b32_e32 v50, 8, v50
	v_lshl_add_u32 v14, v14, 10, 0x2000
	s_delay_alu instid0(VALU_DEP_1) | instskip(NEXT) | instid1(VALU_DEP_1)
	v_and_or_b32 v14, 0x8000, v50, v14
	v_lshl_or_b32 v0, v0, 7, v14
	s_delay_alu instid0(VALU_DEP_1)
	v_cvt_f32_f16_e32 v14, v0
.LBB329_473:                            ;   in Loop: Header=BB329_419 Depth=1
	s_or_b32 exec_lo, exec_lo, s12
.LBB329_474:                            ;   in Loop: Header=BB329_419 Depth=1
	s_delay_alu instid0(SALU_CYCLE_1)
	s_or_b32 exec_lo, exec_lo, s10
.LBB329_475:                            ;   in Loop: Header=BB329_419 Depth=1
	s_delay_alu instid0(SALU_CYCLE_1)
	s_or_b32 exec_lo, exec_lo, s0
	v_mov_b32_e32 v0, 0
	s_mov_b32 s0, exec_lo
	v_cmpx_lt_u64_e64 s[8:9], v[11:12]
	s_cbranch_execz .LBB329_483
; %bb.476:                              ;   in Loop: Header=BB329_419 Depth=1
	v_lshrrev_b32_e32 v11, 24, v12
	v_bfrev_b32_e32 v0, 1
	s_mov_b32 s10, exec_lo
	s_delay_alu instid0(VALU_DEP_2)
	v_cmpx_ne_u32_e32 0x80, v11
	s_cbranch_execz .LBB329_482
; %bb.477:                              ;   in Loop: Header=BB329_419 Depth=1
	v_and_b32_e32 v50, 0x7f, v11
	v_mov_b32_e32 v0, 0x7fc02000
	s_mov_b32 s12, exec_lo
	s_delay_alu instid0(VALU_DEP_2)
	v_cmpx_ne_u32_e32 0x7f, v50
	s_cbranch_execz .LBB329_481
; %bb.478:                              ;   in Loop: Header=BB329_419 Depth=1
	v_and_b32_e32 v0, 7, v11
	v_lshrrev_b32_e32 v12, 3, v50
	s_mov_b32 s13, exec_lo
	v_cmpx_gt_u32_e32 8, v50
; %bb.479:                              ;   in Loop: Header=BB329_419 Depth=1
	s_delay_alu instid0(VALU_DEP_3) | instskip(NEXT) | instid1(VALU_DEP_1)
	v_clz_i32_u32_e32 v12, v0
	v_min_u32_e32 v12, 32, v12
	s_delay_alu instid0(VALU_DEP_1) | instskip(SKIP_1) | instid1(VALU_DEP_2)
	v_subrev_nc_u32_e32 v50, 28, v12
	v_sub_nc_u32_e32 v12, 29, v12
	v_lshlrev_b64 v[67:68], v50, v[0:1]
	s_delay_alu instid0(VALU_DEP_1)
	v_and_b32_e32 v0, 7, v67
; %bb.480:                              ;   in Loop: Header=BB329_419 Depth=1
	s_or_b32 exec_lo, exec_lo, s13
	v_lshlrev_b32_e32 v11, 8, v11
	v_lshl_add_u32 v12, v12, 10, 0x2000
	s_delay_alu instid0(VALU_DEP_1) | instskip(NEXT) | instid1(VALU_DEP_1)
	v_and_or_b32 v11, 0x8000, v11, v12
	v_lshl_or_b32 v0, v0, 7, v11
	s_delay_alu instid0(VALU_DEP_1)
	v_cvt_f32_f16_e32 v0, v0
.LBB329_481:                            ;   in Loop: Header=BB329_419 Depth=1
	s_or_b32 exec_lo, exec_lo, s12
.LBB329_482:                            ;   in Loop: Header=BB329_419 Depth=1
	s_delay_alu instid0(SALU_CYCLE_1)
	s_or_b32 exec_lo, exec_lo, s10
.LBB329_483:                            ;   in Loop: Header=BB329_419 Depth=1
	s_delay_alu instid0(SALU_CYCLE_1)
	s_or_b32 exec_lo, exec_lo, s0
	s_waitcnt vmcnt(0) lgkmcnt(0)
	v_fma_mixlo_f16 v11, v17, v48, 0
	v_fma_mixlo_f16 v12, v17, v39, 0
	;; [unrolled: 1-line block ×8, first 2 shown]
	v_lshlrev_b32_e32 v11, 16, v11
	v_and_b32_e32 v12, 0xffff, v12
	v_lshlrev_b32_e32 v38, 16, v38
	v_and_b32_e32 v14, 0xffff, v23
	;; [unrolled: 2-line block ×4, first 2 shown]
	v_cmp_eq_u32_e32 vcc_lo, v36, v6
	v_or_b32_e32 v12, v11, v12
	v_or_b32_e32 v14, v38, v14
	;; [unrolled: 1-line block ×4, first 2 shown]
	v_add_nc_u32_e32 v50, 1, v15
	v_or_b32_e32 v49, 3, v15
	v_or_b32_e32 v48, 2, v15
	;; [unrolled: 1-line block ×6, first 2 shown]
	s_and_saveexec_b32 s10, vcc_lo
	s_cbranch_execz .LBB329_485
; %bb.484:                              ;   in Loop: Header=BB329_419 Depth=1
	v_cmp_lt_i32_e64 s0, v15, v32
	v_lshrrev_b32_e32 v67, 16, v14
	v_lshrrev_b32_e32 v68, 16, v12
	;; [unrolled: 1-line block ×4, first 2 shown]
	v_cndmask_b32_e64 v14, 0, v14, s0
	v_cmp_lt_i32_e64 s0, v50, v37
	s_delay_alu instid0(VALU_DEP_1) | instskip(SKIP_1) | instid1(VALU_DEP_2)
	v_cndmask_b32_e64 v67, 0, v67, s0
	v_cmp_lt_i32_e64 s0, v49, v37
	v_perm_b32 v14, v67, v14, 0x5040100
	s_delay_alu instid0(VALU_DEP_2) | instskip(SKIP_1) | instid1(VALU_DEP_1)
	v_cndmask_b32_e64 v68, 0, v68, s0
	v_cmp_lt_i32_e64 s0, v48, v32
	v_cndmask_b32_e64 v12, 0, v12, s0
	v_cmp_lt_i32_e64 s0, v39, v37
	s_delay_alu instid0(VALU_DEP_2) | instskip(NEXT) | instid1(VALU_DEP_2)
	v_perm_b32 v12, v68, v12, 0x5040100
	v_cndmask_b32_e64 v69, 0, v69, s0
	v_cmp_lt_i32_e64 s0, v38, v32
	s_delay_alu instid0(VALU_DEP_1) | instskip(SKIP_1) | instid1(VALU_DEP_2)
	v_cndmask_b32_e64 v0, 0, v0, s0
	v_cmp_lt_i32_e64 s0, v23, v37
	v_perm_b32 v0, v69, v0, 0x5040100
	s_delay_alu instid0(VALU_DEP_2) | instskip(SKIP_1) | instid1(VALU_DEP_1)
	v_cndmask_b32_e64 v11, 0, v11, s0
	v_cmp_lt_i32_e64 s0, v17, v32
	v_cndmask_b32_e64 v13, 0, v13, s0
	s_delay_alu instid0(VALU_DEP_1)
	v_perm_b32 v11, v11, v13, 0x5040100
.LBB329_485:                            ;   in Loop: Header=BB329_419 Depth=1
	s_or_b32 exec_lo, exec_lo, s10
	v_and_b32_e32 v13, 0xffff, v51
	v_and_b32_e32 v51, 0xffff, v54
	v_and_b32_e32 v65, 0xffff, v65
	v_dual_mov_b32 v67, 0 :: v_dual_and_b32 v66, 0xffff, v66
	s_mov_b32 s10, exec_lo
	s_delay_alu instid0(VALU_DEP_3) | instskip(NEXT) | instid1(VALU_DEP_2)
	v_lshl_or_b32 v53, v53, 16, v51
	v_lshl_or_b32 v51, v64, 16, v66
	v_mov_b32_e32 v66, 0
	v_lshl_or_b32 v54, v52, 16, v13
	v_lshl_or_b32 v52, v55, 16, v65
	;;#ASMSTART
	v_pk_mul_f16 v13, v54, v14;

	;;#ASMEND
	;;#ASMSTART
	v_pk_mul_f16 v12, v53, v12;

	;;#ASMEND
	;; [unrolled: 4-line block ×4, first 2 shown]
	;;#ASMSTART
	v_pk_add_f16 v12, v13, v12;

	;;#ASMEND
	;;#ASMSTART
	v_pk_add_f16 v0, v12, v0;

	;;#ASMEND
	;; [unrolled: 4-line block ×3, first 2 shown]
	v_and_b32_e32 v11, 0xffff, v0
	v_lshrrev_b32_e32 v0, 16, v0
	;;#ASMSTART
	v_cvt_f32_f16 v55, v11;
	;;#ASMEND
	;;#ASMSTART
	v_cvt_f32_f16 v64, v0;
	;;#ASMEND
	flat_load_b64 v[11:12], v[9:10] offset:256
	flat_load_b32 v65, v[26:27]
	s_waitcnt vmcnt(1) lgkmcnt(1)
	v_and_b32_e32 v0, 0xff, v11
	s_delay_alu instid0(VALU_DEP_1)
	v_cmpx_ne_u16_e32 0, v0
	s_cbranch_execz .LBB329_493
; %bb.486:                              ;   in Loop: Header=BB329_419 Depth=1
	v_bfrev_b32_e32 v66, 1
	s_mov_b32 s12, exec_lo
	v_cmpx_ne_u16_e32 0x80, v0
	s_cbranch_execz .LBB329_492
; %bb.487:                              ;   in Loop: Header=BB329_419 Depth=1
	v_and_b32_e32 v13, 0x7f, v11
	v_mov_b32_e32 v66, 0x7fc02000
	s_mov_b32 s13, exec_lo
	s_delay_alu instid0(VALU_DEP_2)
	v_cmpx_ne_u32_e32 0x7f, v13
	s_cbranch_execz .LBB329_491
; %bb.488:                              ;   in Loop: Header=BB329_419 Depth=1
	v_lshrrev_b32_e32 v0, 3, v13
	v_cmp_gt_u32_e64 s0, 8, v13
	v_dual_mov_b32 v14, v12 :: v_dual_mov_b32 v13, v11
	s_delay_alu instid0(VALU_DEP_2)
	s_and_saveexec_b32 s15, s0
; %bb.489:                              ;   in Loop: Header=BB329_419 Depth=1
	v_and_b32_e32 v0, 7, v11
	s_delay_alu instid0(VALU_DEP_1) | instskip(NEXT) | instid1(VALU_DEP_1)
	v_clz_i32_u32_e32 v0, v0
	v_min_u32_e32 v0, 32, v0
	s_delay_alu instid0(VALU_DEP_1) | instskip(SKIP_1) | instid1(VALU_DEP_2)
	v_subrev_nc_u32_e32 v13, 28, v0
	v_sub_nc_u32_e32 v0, 29, v0
	v_lshlrev_b64 v[13:14], v13, v[11:12]
; %bb.490:                              ;   in Loop: Header=BB329_419 Depth=1
	s_or_b32 exec_lo, exec_lo, s15
	v_lshlrev_b32_e32 v14, 8, v11
	s_delay_alu instid0(VALU_DEP_3) | instskip(NEXT) | instid1(VALU_DEP_3)
	v_lshl_add_u32 v0, v0, 10, 0x2000
	v_lshlrev_b32_e32 v13, 7, v13
	s_delay_alu instid0(VALU_DEP_2) | instskip(NEXT) | instid1(VALU_DEP_1)
	v_and_or_b32 v0, 0x8000, v14, v0
	v_and_or_b32 v0, 0x380, v13, v0
	s_delay_alu instid0(VALU_DEP_1)
	v_cvt_f32_f16_e32 v66, v0
.LBB329_491:                            ;   in Loop: Header=BB329_419 Depth=1
	s_or_b32 exec_lo, exec_lo, s13
.LBB329_492:                            ;   in Loop: Header=BB329_419 Depth=1
	s_delay_alu instid0(SALU_CYCLE_1)
	s_or_b32 exec_lo, exec_lo, s12
.LBB329_493:                            ;   in Loop: Header=BB329_419 Depth=1
	s_delay_alu instid0(SALU_CYCLE_1) | instskip(SKIP_2) | instid1(VALU_DEP_1)
	s_or_b32 exec_lo, exec_lo, s10
	v_lshrrev_b16 v0, 8, v11
	s_mov_b32 s10, exec_lo
	v_cmpx_ne_u16_e32 0, v0
	s_cbranch_execz .LBB329_501
; %bb.494:                              ;   in Loop: Header=BB329_419 Depth=1
	v_bfrev_b32_e32 v67, 1
	s_mov_b32 s12, exec_lo
	v_cmpx_ne_u16_e32 0x80, v0
	s_cbranch_execz .LBB329_500
; %bb.495:                              ;   in Loop: Header=BB329_419 Depth=1
	v_and_b32_e32 v13, 0xffff, v0
	v_mov_b32_e32 v67, 0x7fc02000
	s_mov_b32 s13, exec_lo
	s_delay_alu instid0(VALU_DEP_2) | instskip(NEXT) | instid1(VALU_DEP_1)
	v_and_b32_e32 v68, 0x7f, v13
	v_cmpx_ne_u32_e32 0x7f, v68
	s_cbranch_execz .LBB329_499
; %bb.496:                              ;   in Loop: Header=BB329_419 Depth=1
	v_and_b32_e32 v0, 7, v13
	v_lshrrev_b32_e32 v14, 3, v68
	s_mov_b32 s15, exec_lo
	v_cmpx_gt_u32_e32 8, v68
; %bb.497:                              ;   in Loop: Header=BB329_419 Depth=1
	s_delay_alu instid0(VALU_DEP_3) | instskip(NEXT) | instid1(VALU_DEP_1)
	v_clz_i32_u32_e32 v14, v0
	v_min_u32_e32 v14, 32, v14
	s_delay_alu instid0(VALU_DEP_1) | instskip(SKIP_1) | instid1(VALU_DEP_2)
	v_subrev_nc_u32_e32 v67, 28, v14
	v_sub_nc_u32_e32 v14, 29, v14
	v_lshlrev_b64 v[67:68], v67, v[0:1]
	s_delay_alu instid0(VALU_DEP_1)
	v_and_b32_e32 v0, 7, v67
; %bb.498:                              ;   in Loop: Header=BB329_419 Depth=1
	s_or_b32 exec_lo, exec_lo, s15
	v_lshlrev_b32_e32 v13, 8, v13
	v_lshl_add_u32 v14, v14, 10, 0x2000
	s_delay_alu instid0(VALU_DEP_1) | instskip(NEXT) | instid1(VALU_DEP_1)
	v_and_or_b32 v13, 0x8000, v13, v14
	v_lshl_or_b32 v0, v0, 7, v13
	s_delay_alu instid0(VALU_DEP_1)
	v_cvt_f32_f16_e32 v67, v0
.LBB329_499:                            ;   in Loop: Header=BB329_419 Depth=1
	s_or_b32 exec_lo, exec_lo, s13
.LBB329_500:                            ;   in Loop: Header=BB329_419 Depth=1
	s_delay_alu instid0(SALU_CYCLE_1)
	s_or_b32 exec_lo, exec_lo, s12
.LBB329_501:                            ;   in Loop: Header=BB329_419 Depth=1
	s_delay_alu instid0(SALU_CYCLE_1) | instskip(SKIP_3) | instid1(VALU_DEP_2)
	s_or_b32 exec_lo, exec_lo, s10
	v_lshrrev_b32_e32 v13, 16, v11
	v_mov_b32_e32 v68, 0
	s_mov_b32 s10, exec_lo
	v_dual_mov_b32 v69, 0 :: v_dual_and_b32 v0, 0xff, v13
	s_delay_alu instid0(VALU_DEP_1)
	v_cmpx_ne_u16_e32 0, v0
	s_cbranch_execz .LBB329_509
; %bb.502:                              ;   in Loop: Header=BB329_419 Depth=1
	v_bfrev_b32_e32 v68, 1
	s_mov_b32 s12, exec_lo
	v_cmpx_ne_u16_e32 0x80, v0
	s_cbranch_execz .LBB329_508
; %bb.503:                              ;   in Loop: Header=BB329_419 Depth=1
	v_bfe_u32 v70, v11, 16, 7
	v_mov_b32_e32 v68, 0x7fc02000
	s_mov_b32 s13, exec_lo
	s_delay_alu instid0(VALU_DEP_2)
	v_cmpx_ne_u32_e32 0x7f, v70
	s_cbranch_execz .LBB329_507
; %bb.504:                              ;   in Loop: Header=BB329_419 Depth=1
	v_and_b32_e32 v0, 7, v13
	v_lshrrev_b32_e32 v14, 3, v70
	s_mov_b32 s15, exec_lo
	v_cmpx_gt_u32_e32 8, v70
; %bb.505:                              ;   in Loop: Header=BB329_419 Depth=1
	s_delay_alu instid0(VALU_DEP_3) | instskip(NEXT) | instid1(VALU_DEP_1)
	v_clz_i32_u32_e32 v14, v0
	v_min_u32_e32 v14, 32, v14
	s_delay_alu instid0(VALU_DEP_1) | instskip(SKIP_1) | instid1(VALU_DEP_2)
	v_subrev_nc_u32_e32 v68, 28, v14
	v_sub_nc_u32_e32 v14, 29, v14
	v_lshlrev_b64 v[70:71], v68, v[0:1]
	s_delay_alu instid0(VALU_DEP_1)
	v_and_b32_e32 v0, 7, v70
; %bb.506:                              ;   in Loop: Header=BB329_419 Depth=1
	s_or_b32 exec_lo, exec_lo, s15
	v_lshlrev_b32_e32 v13, 8, v13
	v_lshl_add_u32 v14, v14, 10, 0x2000
	s_delay_alu instid0(VALU_DEP_1) | instskip(NEXT) | instid1(VALU_DEP_1)
	v_and_or_b32 v13, 0x8000, v13, v14
	v_lshl_or_b32 v0, v0, 7, v13
	s_delay_alu instid0(VALU_DEP_1)
	v_cvt_f32_f16_e32 v68, v0
.LBB329_507:                            ;   in Loop: Header=BB329_419 Depth=1
	s_or_b32 exec_lo, exec_lo, s13
.LBB329_508:                            ;   in Loop: Header=BB329_419 Depth=1
	s_delay_alu instid0(SALU_CYCLE_1)
	s_or_b32 exec_lo, exec_lo, s12
.LBB329_509:                            ;   in Loop: Header=BB329_419 Depth=1
	s_delay_alu instid0(SALU_CYCLE_1) | instskip(NEXT) | instid1(SALU_CYCLE_1)
	s_or_b32 exec_lo, exec_lo, s10
	s_mov_b32 s10, exec_lo
	v_cmpx_lt_u32_e32 0xffffff, v11
	s_cbranch_execz .LBB329_517
; %bb.510:                              ;   in Loop: Header=BB329_419 Depth=1
	v_lshrrev_b32_e32 v13, 24, v11
	v_bfrev_b32_e32 v69, 1
	s_mov_b32 s12, exec_lo
	s_delay_alu instid0(VALU_DEP_2)
	v_cmpx_ne_u32_e32 0x80, v13
	s_cbranch_execz .LBB329_516
; %bb.511:                              ;   in Loop: Header=BB329_419 Depth=1
	v_and_b32_e32 v70, 0x7f, v13
	v_mov_b32_e32 v69, 0x7fc02000
	s_mov_b32 s13, exec_lo
	s_delay_alu instid0(VALU_DEP_2)
	v_cmpx_ne_u32_e32 0x7f, v70
	s_cbranch_execz .LBB329_515
; %bb.512:                              ;   in Loop: Header=BB329_419 Depth=1
	v_and_b32_e32 v0, 7, v13
	v_lshrrev_b32_e32 v14, 3, v70
	s_mov_b32 s15, exec_lo
	v_cmpx_gt_u32_e32 8, v70
; %bb.513:                              ;   in Loop: Header=BB329_419 Depth=1
	s_delay_alu instid0(VALU_DEP_3) | instskip(NEXT) | instid1(VALU_DEP_1)
	v_clz_i32_u32_e32 v14, v0
	v_min_u32_e32 v14, 32, v14
	s_delay_alu instid0(VALU_DEP_1) | instskip(SKIP_1) | instid1(VALU_DEP_2)
	v_subrev_nc_u32_e32 v69, 28, v14
	v_sub_nc_u32_e32 v14, 29, v14
	v_lshlrev_b64 v[69:70], v69, v[0:1]
	s_delay_alu instid0(VALU_DEP_1)
	v_and_b32_e32 v0, 7, v69
; %bb.514:                              ;   in Loop: Header=BB329_419 Depth=1
	s_or_b32 exec_lo, exec_lo, s15
	v_lshlrev_b32_e32 v13, 8, v13
	v_lshl_add_u32 v14, v14, 10, 0x2000
	s_delay_alu instid0(VALU_DEP_1) | instskip(NEXT) | instid1(VALU_DEP_1)
	v_and_or_b32 v13, 0x8000, v13, v14
	v_lshl_or_b32 v0, v0, 7, v13
	s_delay_alu instid0(VALU_DEP_1)
	v_cvt_f32_f16_e32 v69, v0
.LBB329_515:                            ;   in Loop: Header=BB329_419 Depth=1
	s_or_b32 exec_lo, exec_lo, s13
.LBB329_516:                            ;   in Loop: Header=BB329_419 Depth=1
	s_delay_alu instid0(SALU_CYCLE_1)
	s_or_b32 exec_lo, exec_lo, s12
.LBB329_517:                            ;   in Loop: Header=BB329_419 Depth=1
	s_delay_alu instid0(SALU_CYCLE_1) | instskip(SKIP_4) | instid1(VALU_DEP_3)
	s_or_b32 exec_lo, exec_lo, s10
	v_dual_mov_b32 v13, 0 :: v_dual_and_b32 v14, 0xff, v12
	v_mov_b32_e32 v0, v12
	v_mov_b32_e32 v70, 0
	s_mov_b32 s10, exec_lo
	v_cmpx_ne_u16_e32 0, v14
	s_cbranch_execz .LBB329_525
; %bb.518:                              ;   in Loop: Header=BB329_419 Depth=1
	v_bfrev_b32_e32 v13, 1
	s_mov_b32 s12, exec_lo
	v_cmpx_ne_u16_e32 0x80, v14
	s_cbranch_execz .LBB329_524
; %bb.519:                              ;   in Loop: Header=BB329_419 Depth=1
	v_and_b32_e32 v14, 0x7f, v12
	v_mov_b32_e32 v13, 0x7fc02000
	s_mov_b32 s13, exec_lo
	s_delay_alu instid0(VALU_DEP_2)
	v_cmpx_ne_u32_e32 0x7f, v14
	s_cbranch_execz .LBB329_523
; %bb.520:                              ;   in Loop: Header=BB329_419 Depth=1
	v_lshrrev_b32_e32 v71, 3, v14
	v_cmp_gt_u32_e64 s0, 8, v14
	v_dual_mov_b32 v14, v1 :: v_dual_mov_b32 v13, v0
	s_delay_alu instid0(VALU_DEP_2)
	s_and_saveexec_b32 s15, s0
; %bb.521:                              ;   in Loop: Header=BB329_419 Depth=1
	v_and_b32_e32 v13, 7, v12
	s_delay_alu instid0(VALU_DEP_1) | instskip(NEXT) | instid1(VALU_DEP_1)
	v_clz_i32_u32_e32 v13, v13
	v_min_u32_e32 v71, 32, v13
	s_delay_alu instid0(VALU_DEP_1) | instskip(SKIP_1) | instid1(VALU_DEP_2)
	v_subrev_nc_u32_e32 v13, 28, v71
	v_sub_nc_u32_e32 v71, 29, v71
	v_lshlrev_b64 v[13:14], v13, v[0:1]
; %bb.522:                              ;   in Loop: Header=BB329_419 Depth=1
	s_or_b32 exec_lo, exec_lo, s15
	v_lshlrev_b32_e32 v14, 8, v12
	s_delay_alu instid0(VALU_DEP_3) | instskip(NEXT) | instid1(VALU_DEP_3)
	v_lshl_add_u32 v71, v71, 10, 0x2000
	v_lshlrev_b32_e32 v13, 7, v13
	s_delay_alu instid0(VALU_DEP_2) | instskip(NEXT) | instid1(VALU_DEP_1)
	v_and_or_b32 v14, 0x8000, v14, v71
	v_and_or_b32 v13, 0x380, v13, v14
	s_delay_alu instid0(VALU_DEP_1)
	v_cvt_f32_f16_e32 v13, v13
.LBB329_523:                            ;   in Loop: Header=BB329_419 Depth=1
	s_or_b32 exec_lo, exec_lo, s13
.LBB329_524:                            ;   in Loop: Header=BB329_419 Depth=1
	s_delay_alu instid0(SALU_CYCLE_1)
	s_or_b32 exec_lo, exec_lo, s12
.LBB329_525:                            ;   in Loop: Header=BB329_419 Depth=1
	s_delay_alu instid0(SALU_CYCLE_1) | instskip(SKIP_2) | instid1(VALU_DEP_1)
	s_or_b32 exec_lo, exec_lo, s10
	v_lshrrev_b16 v0, 8, v0
	s_mov_b32 s10, exec_lo
	v_cmpx_ne_u16_e32 0, v0
	s_cbranch_execz .LBB329_533
; %bb.526:                              ;   in Loop: Header=BB329_419 Depth=1
	v_bfrev_b32_e32 v70, 1
	s_mov_b32 s12, exec_lo
	v_cmpx_ne_u16_e32 0x80, v0
	s_cbranch_execz .LBB329_532
; %bb.527:                              ;   in Loop: Header=BB329_419 Depth=1
	v_and_b32_e32 v14, 0xffff, v0
	v_mov_b32_e32 v70, 0x7fc02000
	s_mov_b32 s13, exec_lo
	s_delay_alu instid0(VALU_DEP_2) | instskip(NEXT) | instid1(VALU_DEP_1)
	v_and_b32_e32 v71, 0x7f, v14
	v_cmpx_ne_u32_e32 0x7f, v71
	s_cbranch_execz .LBB329_531
; %bb.528:                              ;   in Loop: Header=BB329_419 Depth=1
	v_and_b32_e32 v0, 7, v14
	v_lshrrev_b32_e32 v70, 3, v71
	s_mov_b32 s15, exec_lo
	v_cmpx_gt_u32_e32 8, v71
; %bb.529:                              ;   in Loop: Header=BB329_419 Depth=1
	s_delay_alu instid0(VALU_DEP_3) | instskip(NEXT) | instid1(VALU_DEP_1)
	v_clz_i32_u32_e32 v70, v0
	v_min_u32_e32 v70, 32, v70
	s_delay_alu instid0(VALU_DEP_1) | instskip(SKIP_1) | instid1(VALU_DEP_2)
	v_subrev_nc_u32_e32 v71, 28, v70
	v_sub_nc_u32_e32 v70, 29, v70
	v_lshlrev_b64 v[80:81], v71, v[0:1]
	s_delay_alu instid0(VALU_DEP_1)
	v_and_b32_e32 v0, 7, v80
; %bb.530:                              ;   in Loop: Header=BB329_419 Depth=1
	s_or_b32 exec_lo, exec_lo, s15
	v_lshlrev_b32_e32 v14, 8, v14
	v_lshl_add_u32 v70, v70, 10, 0x2000
	s_delay_alu instid0(VALU_DEP_1) | instskip(NEXT) | instid1(VALU_DEP_1)
	v_and_or_b32 v14, 0x8000, v14, v70
	v_lshl_or_b32 v0, v0, 7, v14
	s_delay_alu instid0(VALU_DEP_1)
	v_cvt_f32_f16_e32 v70, v0
.LBB329_531:                            ;   in Loop: Header=BB329_419 Depth=1
	s_or_b32 exec_lo, exec_lo, s13
.LBB329_532:                            ;   in Loop: Header=BB329_419 Depth=1
	s_delay_alu instid0(SALU_CYCLE_1)
	s_or_b32 exec_lo, exec_lo, s12
.LBB329_533:                            ;   in Loop: Header=BB329_419 Depth=1
	s_delay_alu instid0(SALU_CYCLE_1) | instskip(SKIP_3) | instid1(VALU_DEP_2)
	s_or_b32 exec_lo, exec_lo, s10
	v_lshrrev_b32_e32 v80, 16, v12
	v_mov_b32_e32 v14, 0
	s_mov_b32 s10, exec_lo
	v_dual_mov_b32 v71, 0 :: v_dual_and_b32 v0, 0xff, v80
	s_delay_alu instid0(VALU_DEP_1)
	v_cmpx_ne_u16_e32 0, v0
	s_cbranch_execz .LBB329_541
; %bb.534:                              ;   in Loop: Header=BB329_419 Depth=1
	v_bfrev_b32_e32 v14, 1
	s_mov_b32 s12, exec_lo
	v_cmpx_ne_u16_e32 0x80, v0
	s_cbranch_execz .LBB329_540
; %bb.535:                              ;   in Loop: Header=BB329_419 Depth=1
	v_bfe_u32 v81, v12, 16, 7
	v_mov_b32_e32 v14, 0x7fc02000
	s_mov_b32 s13, exec_lo
	s_delay_alu instid0(VALU_DEP_2)
	v_cmpx_ne_u32_e32 0x7f, v81
	s_cbranch_execz .LBB329_539
; %bb.536:                              ;   in Loop: Header=BB329_419 Depth=1
	v_and_b32_e32 v0, 7, v80
	v_lshrrev_b32_e32 v14, 3, v81
	s_mov_b32 s15, exec_lo
	v_cmpx_gt_u32_e32 8, v81
; %bb.537:                              ;   in Loop: Header=BB329_419 Depth=1
	s_delay_alu instid0(VALU_DEP_3) | instskip(NEXT) | instid1(VALU_DEP_1)
	v_clz_i32_u32_e32 v14, v0
	v_min_u32_e32 v14, 32, v14
	s_delay_alu instid0(VALU_DEP_1) | instskip(SKIP_1) | instid1(VALU_DEP_2)
	v_subrev_nc_u32_e32 v81, 28, v14
	v_sub_nc_u32_e32 v14, 29, v14
	v_lshlrev_b64 v[81:82], v81, v[0:1]
	s_delay_alu instid0(VALU_DEP_1)
	v_and_b32_e32 v0, 7, v81
; %bb.538:                              ;   in Loop: Header=BB329_419 Depth=1
	s_or_b32 exec_lo, exec_lo, s15
	v_lshlrev_b32_e32 v80, 8, v80
	v_lshl_add_u32 v14, v14, 10, 0x2000
	s_delay_alu instid0(VALU_DEP_1) | instskip(NEXT) | instid1(VALU_DEP_1)
	v_and_or_b32 v14, 0x8000, v80, v14
	v_lshl_or_b32 v0, v0, 7, v14
	s_delay_alu instid0(VALU_DEP_1)
	v_cvt_f32_f16_e32 v14, v0
.LBB329_539:                            ;   in Loop: Header=BB329_419 Depth=1
	s_or_b32 exec_lo, exec_lo, s13
.LBB329_540:                            ;   in Loop: Header=BB329_419 Depth=1
	s_delay_alu instid0(SALU_CYCLE_1)
	s_or_b32 exec_lo, exec_lo, s12
.LBB329_541:                            ;   in Loop: Header=BB329_419 Depth=1
	s_delay_alu instid0(SALU_CYCLE_1) | instskip(NEXT) | instid1(SALU_CYCLE_1)
	s_or_b32 exec_lo, exec_lo, s10
	s_mov_b32 s10, exec_lo
	v_cmpx_lt_u64_e64 s[8:9], v[11:12]
	s_cbranch_execz .LBB329_549
; %bb.542:                              ;   in Loop: Header=BB329_419 Depth=1
	v_lshrrev_b32_e32 v11, 24, v12
	v_bfrev_b32_e32 v71, 1
	s_mov_b32 s12, exec_lo
	s_delay_alu instid0(VALU_DEP_2)
	v_cmpx_ne_u32_e32 0x80, v11
	s_cbranch_execz .LBB329_548
; %bb.543:                              ;   in Loop: Header=BB329_419 Depth=1
	v_and_b32_e32 v80, 0x7f, v11
	v_mov_b32_e32 v71, 0x7fc02000
	s_mov_b32 s13, exec_lo
	s_delay_alu instid0(VALU_DEP_2)
	v_cmpx_ne_u32_e32 0x7f, v80
	s_cbranch_execz .LBB329_547
; %bb.544:                              ;   in Loop: Header=BB329_419 Depth=1
	v_and_b32_e32 v0, 7, v11
	v_lshrrev_b32_e32 v12, 3, v80
	s_mov_b32 s15, exec_lo
	v_cmpx_gt_u32_e32 8, v80
; %bb.545:                              ;   in Loop: Header=BB329_419 Depth=1
	s_delay_alu instid0(VALU_DEP_3) | instskip(NEXT) | instid1(VALU_DEP_1)
	v_clz_i32_u32_e32 v12, v0
	v_min_u32_e32 v12, 32, v12
	s_delay_alu instid0(VALU_DEP_1) | instskip(SKIP_1) | instid1(VALU_DEP_2)
	v_subrev_nc_u32_e32 v71, 28, v12
	v_sub_nc_u32_e32 v12, 29, v12
	v_lshlrev_b64 v[80:81], v71, v[0:1]
	s_delay_alu instid0(VALU_DEP_1)
	v_and_b32_e32 v0, 7, v80
; %bb.546:                              ;   in Loop: Header=BB329_419 Depth=1
	s_or_b32 exec_lo, exec_lo, s15
	v_lshlrev_b32_e32 v11, 8, v11
	v_lshl_add_u32 v12, v12, 10, 0x2000
	s_delay_alu instid0(VALU_DEP_1) | instskip(NEXT) | instid1(VALU_DEP_1)
	v_and_or_b32 v11, 0x8000, v11, v12
	v_lshl_or_b32 v0, v0, 7, v11
	s_delay_alu instid0(VALU_DEP_1)
	v_cvt_f32_f16_e32 v71, v0
.LBB329_547:                            ;   in Loop: Header=BB329_419 Depth=1
	s_or_b32 exec_lo, exec_lo, s13
.LBB329_548:                            ;   in Loop: Header=BB329_419 Depth=1
	s_delay_alu instid0(SALU_CYCLE_1)
	s_or_b32 exec_lo, exec_lo, s12
.LBB329_549:                            ;   in Loop: Header=BB329_419 Depth=1
	s_delay_alu instid0(SALU_CYCLE_1)
	s_or_b32 exec_lo, exec_lo, s10
	s_waitcnt vmcnt(0) lgkmcnt(0)
	v_fma_mixlo_f16 v12, v65, v67, 0
	v_fma_mixlo_f16 v0, v65, v69, 0
	;; [unrolled: 1-line block ×5, first 2 shown]
	v_lshlrev_b32_e32 v67, 16, v12
	v_fma_mixlo_f16 v13, v65, v13, 0
	v_fma_mixlo_f16 v69, v65, v71, 0
	;; [unrolled: 1-line block ×3, first 2 shown]
	v_lshlrev_b32_e32 v0, 16, v0
	v_and_b32_e32 v11, 0xffff, v11
	v_and_b32_e32 v14, 0xffff, v66
	v_lshlrev_b32_e32 v65, 16, v68
	v_and_b32_e32 v66, 0xffff, v13
	v_lshlrev_b32_e32 v68, 16, v69
	v_and_b32_e32 v69, 0xffff, v12
	v_or_b32_e32 v13, v0, v11
	v_or_b32_e32 v14, v67, v14
	v_or_b32_e32 v0, v65, v66
	s_delay_alu instid0(VALU_DEP_4)
	v_or_b32_e32 v11, v68, v69
	s_and_saveexec_b32 s10, vcc_lo
	s_cbranch_execz .LBB329_551
; %bb.550:                              ;   in Loop: Header=BB329_419 Depth=1
	v_cmp_lt_i32_e64 s0, v15, v32
	v_lshrrev_b32_e32 v65, 16, v14
	v_lshrrev_b32_e32 v66, 16, v13
	;; [unrolled: 1-line block ×4, first 2 shown]
	v_cndmask_b32_e64 v14, 0, v14, s0
	v_cmp_lt_i32_e64 s0, v50, v37
	s_delay_alu instid0(VALU_DEP_1) | instskip(SKIP_1) | instid1(VALU_DEP_2)
	v_cndmask_b32_e64 v65, 0, v65, s0
	v_cmp_lt_i32_e64 s0, v49, v37
	v_perm_b32 v14, v65, v14, 0x5040100
	s_delay_alu instid0(VALU_DEP_2) | instskip(SKIP_1) | instid1(VALU_DEP_1)
	v_cndmask_b32_e64 v66, 0, v66, s0
	v_cmp_lt_i32_e64 s0, v48, v32
	v_cndmask_b32_e64 v13, 0, v13, s0
	v_cmp_lt_i32_e64 s0, v39, v37
	s_delay_alu instid0(VALU_DEP_2) | instskip(NEXT) | instid1(VALU_DEP_2)
	v_perm_b32 v13, v66, v13, 0x5040100
	v_cndmask_b32_e64 v67, 0, v67, s0
	v_cmp_lt_i32_e64 s0, v38, v32
	s_delay_alu instid0(VALU_DEP_1) | instskip(SKIP_1) | instid1(VALU_DEP_2)
	v_cndmask_b32_e64 v0, 0, v0, s0
	v_cmp_lt_i32_e64 s0, v23, v37
	v_perm_b32 v0, v67, v0, 0x5040100
	s_delay_alu instid0(VALU_DEP_2) | instskip(SKIP_1) | instid1(VALU_DEP_1)
	v_cndmask_b32_e64 v11, 0, v11, s0
	v_cmp_lt_i32_e64 s0, v17, v32
	v_cndmask_b32_e64 v12, 0, v12, s0
	s_delay_alu instid0(VALU_DEP_1)
	v_perm_b32 v11, v11, v12, 0x5040100
.LBB329_551:                            ;   in Loop: Header=BB329_419 Depth=1
	s_or_b32 exec_lo, exec_lo, s10
	;;#ASMSTART
	v_pk_mul_f16 v12, v54, v14;

	;;#ASMEND
	;;#ASMSTART
	v_pk_mul_f16 v13, v53, v13;

	;;#ASMEND
	;; [unrolled: 4-line block ×4, first 2 shown]
	;;#ASMSTART
	v_pk_add_f16 v12, v12, v13;

	;;#ASMEND
	;;#ASMSTART
	v_pk_add_f16 v0, v12, v0;

	;;#ASMEND
	;; [unrolled: 4-line block ×3, first 2 shown]
	v_dual_mov_b32 v68, 0 :: v_dual_and_b32 v11, 0xffff, v0
	v_lshrrev_b32_e32 v0, 16, v0
	;;#ASMSTART
	v_cvt_f32_f16 v65, v11;
	;;#ASMEND
	;;#ASMSTART
	v_cvt_f32_f16 v66, v0;
	;;#ASMEND
	flat_load_b64 v[11:12], v[9:10] offset:512
	flat_load_b32 v67, v[26:27]
	s_mov_b32 s10, exec_lo
	s_waitcnt vmcnt(1) lgkmcnt(1)
	v_dual_mov_b32 v69, 0 :: v_dual_and_b32 v0, 0xff, v11
	s_delay_alu instid0(VALU_DEP_1)
	v_cmpx_ne_u16_e32 0, v0
	s_cbranch_execz .LBB329_559
; %bb.552:                              ;   in Loop: Header=BB329_419 Depth=1
	v_bfrev_b32_e32 v68, 1
	s_mov_b32 s12, exec_lo
	v_cmpx_ne_u16_e32 0x80, v0
	s_cbranch_execz .LBB329_558
; %bb.553:                              ;   in Loop: Header=BB329_419 Depth=1
	v_and_b32_e32 v13, 0x7f, v11
	v_mov_b32_e32 v68, 0x7fc02000
	s_mov_b32 s13, exec_lo
	s_delay_alu instid0(VALU_DEP_2)
	v_cmpx_ne_u32_e32 0x7f, v13
	s_cbranch_execz .LBB329_557
; %bb.554:                              ;   in Loop: Header=BB329_419 Depth=1
	v_lshrrev_b32_e32 v0, 3, v13
	v_cmp_gt_u32_e64 s0, 8, v13
	v_dual_mov_b32 v14, v12 :: v_dual_mov_b32 v13, v11
	s_delay_alu instid0(VALU_DEP_2)
	s_and_saveexec_b32 s15, s0
; %bb.555:                              ;   in Loop: Header=BB329_419 Depth=1
	v_and_b32_e32 v0, 7, v11
	s_delay_alu instid0(VALU_DEP_1) | instskip(NEXT) | instid1(VALU_DEP_1)
	v_clz_i32_u32_e32 v0, v0
	v_min_u32_e32 v0, 32, v0
	s_delay_alu instid0(VALU_DEP_1) | instskip(SKIP_1) | instid1(VALU_DEP_2)
	v_subrev_nc_u32_e32 v13, 28, v0
	v_sub_nc_u32_e32 v0, 29, v0
	v_lshlrev_b64 v[13:14], v13, v[11:12]
; %bb.556:                              ;   in Loop: Header=BB329_419 Depth=1
	s_or_b32 exec_lo, exec_lo, s15
	v_lshlrev_b32_e32 v14, 8, v11
	s_delay_alu instid0(VALU_DEP_3) | instskip(NEXT) | instid1(VALU_DEP_3)
	v_lshl_add_u32 v0, v0, 10, 0x2000
	v_lshlrev_b32_e32 v13, 7, v13
	s_delay_alu instid0(VALU_DEP_2) | instskip(NEXT) | instid1(VALU_DEP_1)
	v_and_or_b32 v0, 0x8000, v14, v0
	v_and_or_b32 v0, 0x380, v13, v0
	s_delay_alu instid0(VALU_DEP_1)
	v_cvt_f32_f16_e32 v68, v0
.LBB329_557:                            ;   in Loop: Header=BB329_419 Depth=1
	s_or_b32 exec_lo, exec_lo, s13
.LBB329_558:                            ;   in Loop: Header=BB329_419 Depth=1
	s_delay_alu instid0(SALU_CYCLE_1)
	s_or_b32 exec_lo, exec_lo, s12
.LBB329_559:                            ;   in Loop: Header=BB329_419 Depth=1
	s_delay_alu instid0(SALU_CYCLE_1) | instskip(SKIP_2) | instid1(VALU_DEP_1)
	s_or_b32 exec_lo, exec_lo, s10
	v_lshrrev_b16 v0, 8, v11
	s_mov_b32 s10, exec_lo
	v_cmpx_ne_u16_e32 0, v0
	s_cbranch_execz .LBB329_567
; %bb.560:                              ;   in Loop: Header=BB329_419 Depth=1
	v_bfrev_b32_e32 v69, 1
	s_mov_b32 s12, exec_lo
	v_cmpx_ne_u16_e32 0x80, v0
	s_cbranch_execz .LBB329_566
; %bb.561:                              ;   in Loop: Header=BB329_419 Depth=1
	v_and_b32_e32 v13, 0xffff, v0
	v_mov_b32_e32 v69, 0x7fc02000
	s_mov_b32 s13, exec_lo
	s_delay_alu instid0(VALU_DEP_2) | instskip(NEXT) | instid1(VALU_DEP_1)
	v_and_b32_e32 v70, 0x7f, v13
	v_cmpx_ne_u32_e32 0x7f, v70
	s_cbranch_execz .LBB329_565
; %bb.562:                              ;   in Loop: Header=BB329_419 Depth=1
	v_and_b32_e32 v0, 7, v13
	v_lshrrev_b32_e32 v14, 3, v70
	s_mov_b32 s15, exec_lo
	v_cmpx_gt_u32_e32 8, v70
; %bb.563:                              ;   in Loop: Header=BB329_419 Depth=1
	s_delay_alu instid0(VALU_DEP_3) | instskip(NEXT) | instid1(VALU_DEP_1)
	v_clz_i32_u32_e32 v14, v0
	v_min_u32_e32 v14, 32, v14
	s_delay_alu instid0(VALU_DEP_1) | instskip(SKIP_1) | instid1(VALU_DEP_2)
	v_subrev_nc_u32_e32 v69, 28, v14
	v_sub_nc_u32_e32 v14, 29, v14
	v_lshlrev_b64 v[69:70], v69, v[0:1]
	s_delay_alu instid0(VALU_DEP_1)
	v_and_b32_e32 v0, 7, v69
; %bb.564:                              ;   in Loop: Header=BB329_419 Depth=1
	s_or_b32 exec_lo, exec_lo, s15
	v_lshlrev_b32_e32 v13, 8, v13
	v_lshl_add_u32 v14, v14, 10, 0x2000
	s_delay_alu instid0(VALU_DEP_1) | instskip(NEXT) | instid1(VALU_DEP_1)
	v_and_or_b32 v13, 0x8000, v13, v14
	v_lshl_or_b32 v0, v0, 7, v13
	s_delay_alu instid0(VALU_DEP_1)
	v_cvt_f32_f16_e32 v69, v0
.LBB329_565:                            ;   in Loop: Header=BB329_419 Depth=1
	s_or_b32 exec_lo, exec_lo, s13
.LBB329_566:                            ;   in Loop: Header=BB329_419 Depth=1
	s_delay_alu instid0(SALU_CYCLE_1)
	s_or_b32 exec_lo, exec_lo, s12
.LBB329_567:                            ;   in Loop: Header=BB329_419 Depth=1
	s_delay_alu instid0(SALU_CYCLE_1) | instskip(SKIP_3) | instid1(VALU_DEP_2)
	s_or_b32 exec_lo, exec_lo, s10
	v_lshrrev_b32_e32 v13, 16, v11
	v_mov_b32_e32 v70, 0
	s_mov_b32 s10, exec_lo
	v_dual_mov_b32 v71, 0 :: v_dual_and_b32 v0, 0xff, v13
	s_delay_alu instid0(VALU_DEP_1)
	v_cmpx_ne_u16_e32 0, v0
	s_cbranch_execz .LBB329_575
; %bb.568:                              ;   in Loop: Header=BB329_419 Depth=1
	v_bfrev_b32_e32 v70, 1
	s_mov_b32 s12, exec_lo
	v_cmpx_ne_u16_e32 0x80, v0
	s_cbranch_execz .LBB329_574
; %bb.569:                              ;   in Loop: Header=BB329_419 Depth=1
	v_bfe_u32 v80, v11, 16, 7
	v_mov_b32_e32 v70, 0x7fc02000
	s_mov_b32 s13, exec_lo
	s_delay_alu instid0(VALU_DEP_2)
	v_cmpx_ne_u32_e32 0x7f, v80
	s_cbranch_execz .LBB329_573
; %bb.570:                              ;   in Loop: Header=BB329_419 Depth=1
	v_and_b32_e32 v0, 7, v13
	v_lshrrev_b32_e32 v14, 3, v80
	s_mov_b32 s15, exec_lo
	v_cmpx_gt_u32_e32 8, v80
; %bb.571:                              ;   in Loop: Header=BB329_419 Depth=1
	s_delay_alu instid0(VALU_DEP_3) | instskip(NEXT) | instid1(VALU_DEP_1)
	v_clz_i32_u32_e32 v14, v0
	v_min_u32_e32 v14, 32, v14
	s_delay_alu instid0(VALU_DEP_1) | instskip(SKIP_1) | instid1(VALU_DEP_2)
	v_subrev_nc_u32_e32 v70, 28, v14
	v_sub_nc_u32_e32 v14, 29, v14
	v_lshlrev_b64 v[80:81], v70, v[0:1]
	s_delay_alu instid0(VALU_DEP_1)
	v_and_b32_e32 v0, 7, v80
; %bb.572:                              ;   in Loop: Header=BB329_419 Depth=1
	s_or_b32 exec_lo, exec_lo, s15
	v_lshlrev_b32_e32 v13, 8, v13
	v_lshl_add_u32 v14, v14, 10, 0x2000
	s_delay_alu instid0(VALU_DEP_1) | instskip(NEXT) | instid1(VALU_DEP_1)
	v_and_or_b32 v13, 0x8000, v13, v14
	v_lshl_or_b32 v0, v0, 7, v13
	s_delay_alu instid0(VALU_DEP_1)
	v_cvt_f32_f16_e32 v70, v0
.LBB329_573:                            ;   in Loop: Header=BB329_419 Depth=1
	s_or_b32 exec_lo, exec_lo, s13
.LBB329_574:                            ;   in Loop: Header=BB329_419 Depth=1
	s_delay_alu instid0(SALU_CYCLE_1)
	s_or_b32 exec_lo, exec_lo, s12
.LBB329_575:                            ;   in Loop: Header=BB329_419 Depth=1
	s_delay_alu instid0(SALU_CYCLE_1) | instskip(NEXT) | instid1(SALU_CYCLE_1)
	s_or_b32 exec_lo, exec_lo, s10
	s_mov_b32 s10, exec_lo
	v_cmpx_lt_u32_e32 0xffffff, v11
	s_cbranch_execz .LBB329_583
; %bb.576:                              ;   in Loop: Header=BB329_419 Depth=1
	v_lshrrev_b32_e32 v13, 24, v11
	v_bfrev_b32_e32 v71, 1
	s_mov_b32 s12, exec_lo
	s_delay_alu instid0(VALU_DEP_2)
	v_cmpx_ne_u32_e32 0x80, v13
	s_cbranch_execz .LBB329_582
; %bb.577:                              ;   in Loop: Header=BB329_419 Depth=1
	v_and_b32_e32 v80, 0x7f, v13
	v_mov_b32_e32 v71, 0x7fc02000
	s_mov_b32 s13, exec_lo
	s_delay_alu instid0(VALU_DEP_2)
	v_cmpx_ne_u32_e32 0x7f, v80
	s_cbranch_execz .LBB329_581
; %bb.578:                              ;   in Loop: Header=BB329_419 Depth=1
	v_and_b32_e32 v0, 7, v13
	v_lshrrev_b32_e32 v14, 3, v80
	s_mov_b32 s15, exec_lo
	v_cmpx_gt_u32_e32 8, v80
; %bb.579:                              ;   in Loop: Header=BB329_419 Depth=1
	s_delay_alu instid0(VALU_DEP_3) | instskip(NEXT) | instid1(VALU_DEP_1)
	v_clz_i32_u32_e32 v14, v0
	v_min_u32_e32 v14, 32, v14
	s_delay_alu instid0(VALU_DEP_1) | instskip(SKIP_1) | instid1(VALU_DEP_2)
	v_subrev_nc_u32_e32 v71, 28, v14
	v_sub_nc_u32_e32 v14, 29, v14
	v_lshlrev_b64 v[80:81], v71, v[0:1]
	s_delay_alu instid0(VALU_DEP_1)
	v_and_b32_e32 v0, 7, v80
; %bb.580:                              ;   in Loop: Header=BB329_419 Depth=1
	s_or_b32 exec_lo, exec_lo, s15
	v_lshlrev_b32_e32 v13, 8, v13
	v_lshl_add_u32 v14, v14, 10, 0x2000
	s_delay_alu instid0(VALU_DEP_1) | instskip(NEXT) | instid1(VALU_DEP_1)
	v_and_or_b32 v13, 0x8000, v13, v14
	v_lshl_or_b32 v0, v0, 7, v13
	s_delay_alu instid0(VALU_DEP_1)
	v_cvt_f32_f16_e32 v71, v0
.LBB329_581:                            ;   in Loop: Header=BB329_419 Depth=1
	s_or_b32 exec_lo, exec_lo, s13
.LBB329_582:                            ;   in Loop: Header=BB329_419 Depth=1
	s_delay_alu instid0(SALU_CYCLE_1)
	s_or_b32 exec_lo, exec_lo, s12
.LBB329_583:                            ;   in Loop: Header=BB329_419 Depth=1
	s_delay_alu instid0(SALU_CYCLE_1) | instskip(SKIP_4) | instid1(VALU_DEP_3)
	s_or_b32 exec_lo, exec_lo, s10
	v_dual_mov_b32 v13, 0 :: v_dual_and_b32 v14, 0xff, v12
	v_mov_b32_e32 v0, v12
	v_mov_b32_e32 v80, 0
	s_mov_b32 s10, exec_lo
	v_cmpx_ne_u16_e32 0, v14
	s_cbranch_execz .LBB329_591
; %bb.584:                              ;   in Loop: Header=BB329_419 Depth=1
	v_bfrev_b32_e32 v13, 1
	s_mov_b32 s12, exec_lo
	v_cmpx_ne_u16_e32 0x80, v14
	s_cbranch_execz .LBB329_590
; %bb.585:                              ;   in Loop: Header=BB329_419 Depth=1
	v_and_b32_e32 v14, 0x7f, v12
	v_mov_b32_e32 v13, 0x7fc02000
	s_mov_b32 s13, exec_lo
	s_delay_alu instid0(VALU_DEP_2)
	v_cmpx_ne_u32_e32 0x7f, v14
	s_cbranch_execz .LBB329_589
; %bb.586:                              ;   in Loop: Header=BB329_419 Depth=1
	v_lshrrev_b32_e32 v81, 3, v14
	v_cmp_gt_u32_e64 s0, 8, v14
	v_dual_mov_b32 v14, v1 :: v_dual_mov_b32 v13, v0
	s_delay_alu instid0(VALU_DEP_2)
	s_and_saveexec_b32 s15, s0
; %bb.587:                              ;   in Loop: Header=BB329_419 Depth=1
	v_and_b32_e32 v13, 7, v12
	s_delay_alu instid0(VALU_DEP_1) | instskip(NEXT) | instid1(VALU_DEP_1)
	v_clz_i32_u32_e32 v13, v13
	v_min_u32_e32 v81, 32, v13
	s_delay_alu instid0(VALU_DEP_1) | instskip(SKIP_1) | instid1(VALU_DEP_2)
	v_subrev_nc_u32_e32 v13, 28, v81
	v_sub_nc_u32_e32 v81, 29, v81
	v_lshlrev_b64 v[13:14], v13, v[0:1]
; %bb.588:                              ;   in Loop: Header=BB329_419 Depth=1
	s_or_b32 exec_lo, exec_lo, s15
	v_lshlrev_b32_e32 v14, 8, v12
	s_delay_alu instid0(VALU_DEP_3) | instskip(NEXT) | instid1(VALU_DEP_3)
	v_lshl_add_u32 v81, v81, 10, 0x2000
	v_lshlrev_b32_e32 v13, 7, v13
	s_delay_alu instid0(VALU_DEP_2) | instskip(NEXT) | instid1(VALU_DEP_1)
	v_and_or_b32 v14, 0x8000, v14, v81
	v_and_or_b32 v13, 0x380, v13, v14
	s_delay_alu instid0(VALU_DEP_1)
	v_cvt_f32_f16_e32 v13, v13
.LBB329_589:                            ;   in Loop: Header=BB329_419 Depth=1
	s_or_b32 exec_lo, exec_lo, s13
.LBB329_590:                            ;   in Loop: Header=BB329_419 Depth=1
	s_delay_alu instid0(SALU_CYCLE_1)
	s_or_b32 exec_lo, exec_lo, s12
.LBB329_591:                            ;   in Loop: Header=BB329_419 Depth=1
	s_delay_alu instid0(SALU_CYCLE_1) | instskip(SKIP_2) | instid1(VALU_DEP_1)
	s_or_b32 exec_lo, exec_lo, s10
	v_lshrrev_b16 v0, 8, v0
	s_mov_b32 s10, exec_lo
	v_cmpx_ne_u16_e32 0, v0
	s_cbranch_execz .LBB329_599
; %bb.592:                              ;   in Loop: Header=BB329_419 Depth=1
	v_bfrev_b32_e32 v80, 1
	s_mov_b32 s12, exec_lo
	v_cmpx_ne_u16_e32 0x80, v0
	s_cbranch_execz .LBB329_598
; %bb.593:                              ;   in Loop: Header=BB329_419 Depth=1
	v_and_b32_e32 v14, 0xffff, v0
	v_mov_b32_e32 v80, 0x7fc02000
	s_mov_b32 s13, exec_lo
	s_delay_alu instid0(VALU_DEP_2) | instskip(NEXT) | instid1(VALU_DEP_1)
	v_and_b32_e32 v81, 0x7f, v14
	v_cmpx_ne_u32_e32 0x7f, v81
	s_cbranch_execz .LBB329_597
; %bb.594:                              ;   in Loop: Header=BB329_419 Depth=1
	v_and_b32_e32 v0, 7, v14
	v_lshrrev_b32_e32 v80, 3, v81
	s_mov_b32 s15, exec_lo
	v_cmpx_gt_u32_e32 8, v81
; %bb.595:                              ;   in Loop: Header=BB329_419 Depth=1
	s_delay_alu instid0(VALU_DEP_3) | instskip(NEXT) | instid1(VALU_DEP_1)
	v_clz_i32_u32_e32 v80, v0
	v_min_u32_e32 v80, 32, v80
	s_delay_alu instid0(VALU_DEP_1) | instskip(SKIP_1) | instid1(VALU_DEP_2)
	v_subrev_nc_u32_e32 v81, 28, v80
	v_sub_nc_u32_e32 v80, 29, v80
	v_lshlrev_b64 v[81:82], v81, v[0:1]
	s_delay_alu instid0(VALU_DEP_1)
	v_and_b32_e32 v0, 7, v81
; %bb.596:                              ;   in Loop: Header=BB329_419 Depth=1
	s_or_b32 exec_lo, exec_lo, s15
	v_lshlrev_b32_e32 v14, 8, v14
	v_lshl_add_u32 v80, v80, 10, 0x2000
	s_delay_alu instid0(VALU_DEP_1) | instskip(NEXT) | instid1(VALU_DEP_1)
	v_and_or_b32 v14, 0x8000, v14, v80
	v_lshl_or_b32 v0, v0, 7, v14
	s_delay_alu instid0(VALU_DEP_1)
	v_cvt_f32_f16_e32 v80, v0
.LBB329_597:                            ;   in Loop: Header=BB329_419 Depth=1
	s_or_b32 exec_lo, exec_lo, s13
.LBB329_598:                            ;   in Loop: Header=BB329_419 Depth=1
	s_delay_alu instid0(SALU_CYCLE_1)
	s_or_b32 exec_lo, exec_lo, s12
.LBB329_599:                            ;   in Loop: Header=BB329_419 Depth=1
	s_delay_alu instid0(SALU_CYCLE_1) | instskip(SKIP_3) | instid1(VALU_DEP_2)
	s_or_b32 exec_lo, exec_lo, s10
	v_lshrrev_b32_e32 v82, 16, v12
	v_mov_b32_e32 v14, 0
	s_mov_b32 s10, exec_lo
	v_dual_mov_b32 v81, 0 :: v_dual_and_b32 v0, 0xff, v82
	s_delay_alu instid0(VALU_DEP_1)
	v_cmpx_ne_u16_e32 0, v0
	s_cbranch_execz .LBB329_607
; %bb.600:                              ;   in Loop: Header=BB329_419 Depth=1
	v_bfrev_b32_e32 v14, 1
	s_mov_b32 s12, exec_lo
	v_cmpx_ne_u16_e32 0x80, v0
	s_cbranch_execz .LBB329_606
; %bb.601:                              ;   in Loop: Header=BB329_419 Depth=1
	v_bfe_u32 v83, v12, 16, 7
	v_mov_b32_e32 v14, 0x7fc02000
	s_mov_b32 s13, exec_lo
	s_delay_alu instid0(VALU_DEP_2)
	v_cmpx_ne_u32_e32 0x7f, v83
	s_cbranch_execz .LBB329_605
; %bb.602:                              ;   in Loop: Header=BB329_419 Depth=1
	v_and_b32_e32 v0, 7, v82
	v_lshrrev_b32_e32 v14, 3, v83
	s_mov_b32 s15, exec_lo
	v_cmpx_gt_u32_e32 8, v83
; %bb.603:                              ;   in Loop: Header=BB329_419 Depth=1
	s_delay_alu instid0(VALU_DEP_3) | instskip(NEXT) | instid1(VALU_DEP_1)
	v_clz_i32_u32_e32 v14, v0
	v_min_u32_e32 v14, 32, v14
	s_delay_alu instid0(VALU_DEP_1) | instskip(SKIP_1) | instid1(VALU_DEP_2)
	v_subrev_nc_u32_e32 v83, 28, v14
	v_sub_nc_u32_e32 v14, 29, v14
	v_lshlrev_b64 v[83:84], v83, v[0:1]
	s_delay_alu instid0(VALU_DEP_1)
	v_and_b32_e32 v0, 7, v83
; %bb.604:                              ;   in Loop: Header=BB329_419 Depth=1
	s_or_b32 exec_lo, exec_lo, s15
	v_lshlrev_b32_e32 v82, 8, v82
	v_lshl_add_u32 v14, v14, 10, 0x2000
	s_delay_alu instid0(VALU_DEP_1) | instskip(NEXT) | instid1(VALU_DEP_1)
	v_and_or_b32 v14, 0x8000, v82, v14
	v_lshl_or_b32 v0, v0, 7, v14
	s_delay_alu instid0(VALU_DEP_1)
	v_cvt_f32_f16_e32 v14, v0
.LBB329_605:                            ;   in Loop: Header=BB329_419 Depth=1
	s_or_b32 exec_lo, exec_lo, s13
.LBB329_606:                            ;   in Loop: Header=BB329_419 Depth=1
	s_delay_alu instid0(SALU_CYCLE_1)
	s_or_b32 exec_lo, exec_lo, s12
.LBB329_607:                            ;   in Loop: Header=BB329_419 Depth=1
	s_delay_alu instid0(SALU_CYCLE_1) | instskip(NEXT) | instid1(SALU_CYCLE_1)
	s_or_b32 exec_lo, exec_lo, s10
	s_mov_b32 s10, exec_lo
	v_cmpx_lt_u64_e64 s[8:9], v[11:12]
	s_cbranch_execz .LBB329_615
; %bb.608:                              ;   in Loop: Header=BB329_419 Depth=1
	v_lshrrev_b32_e32 v11, 24, v12
	v_bfrev_b32_e32 v81, 1
	s_mov_b32 s12, exec_lo
	s_delay_alu instid0(VALU_DEP_2)
	v_cmpx_ne_u32_e32 0x80, v11
	s_cbranch_execz .LBB329_614
; %bb.609:                              ;   in Loop: Header=BB329_419 Depth=1
	v_and_b32_e32 v82, 0x7f, v11
	v_mov_b32_e32 v81, 0x7fc02000
	s_mov_b32 s13, exec_lo
	s_delay_alu instid0(VALU_DEP_2)
	v_cmpx_ne_u32_e32 0x7f, v82
	s_cbranch_execz .LBB329_613
; %bb.610:                              ;   in Loop: Header=BB329_419 Depth=1
	v_and_b32_e32 v0, 7, v11
	v_lshrrev_b32_e32 v12, 3, v82
	s_mov_b32 s15, exec_lo
	v_cmpx_gt_u32_e32 8, v82
; %bb.611:                              ;   in Loop: Header=BB329_419 Depth=1
	s_delay_alu instid0(VALU_DEP_3) | instskip(NEXT) | instid1(VALU_DEP_1)
	v_clz_i32_u32_e32 v12, v0
	v_min_u32_e32 v12, 32, v12
	s_delay_alu instid0(VALU_DEP_1) | instskip(SKIP_1) | instid1(VALU_DEP_2)
	v_subrev_nc_u32_e32 v81, 28, v12
	v_sub_nc_u32_e32 v12, 29, v12
	v_lshlrev_b64 v[81:82], v81, v[0:1]
	s_delay_alu instid0(VALU_DEP_1)
	v_and_b32_e32 v0, 7, v81
; %bb.612:                              ;   in Loop: Header=BB329_419 Depth=1
	s_or_b32 exec_lo, exec_lo, s15
	v_lshlrev_b32_e32 v11, 8, v11
	v_lshl_add_u32 v12, v12, 10, 0x2000
	s_delay_alu instid0(VALU_DEP_1) | instskip(NEXT) | instid1(VALU_DEP_1)
	v_and_or_b32 v11, 0x8000, v11, v12
	v_lshl_or_b32 v0, v0, 7, v11
	s_delay_alu instid0(VALU_DEP_1)
	v_cvt_f32_f16_e32 v81, v0
.LBB329_613:                            ;   in Loop: Header=BB329_419 Depth=1
	s_or_b32 exec_lo, exec_lo, s13
.LBB329_614:                            ;   in Loop: Header=BB329_419 Depth=1
	s_delay_alu instid0(SALU_CYCLE_1)
	s_or_b32 exec_lo, exec_lo, s12
.LBB329_615:                            ;   in Loop: Header=BB329_419 Depth=1
	s_delay_alu instid0(SALU_CYCLE_1)
	s_or_b32 exec_lo, exec_lo, s10
	s_waitcnt vmcnt(0) lgkmcnt(0)
	v_fma_mixlo_f16 v12, v67, v69, 0
	v_fma_mixlo_f16 v0, v67, v71, 0
	;; [unrolled: 1-line block ×5, first 2 shown]
	v_lshlrev_b32_e32 v69, 16, v12
	v_fma_mixlo_f16 v13, v67, v13, 0
	v_fma_mixlo_f16 v71, v67, v81, 0
	;; [unrolled: 1-line block ×3, first 2 shown]
	v_lshlrev_b32_e32 v0, 16, v0
	v_and_b32_e32 v11, 0xffff, v11
	v_and_b32_e32 v14, 0xffff, v68
	v_lshlrev_b32_e32 v67, 16, v70
	v_and_b32_e32 v68, 0xffff, v13
	v_lshlrev_b32_e32 v70, 16, v71
	v_and_b32_e32 v71, 0xffff, v12
	v_or_b32_e32 v13, v0, v11
	v_or_b32_e32 v14, v69, v14
	;; [unrolled: 1-line block ×3, first 2 shown]
	s_delay_alu instid0(VALU_DEP_4)
	v_or_b32_e32 v11, v70, v71
	s_and_saveexec_b32 s10, vcc_lo
	s_cbranch_execz .LBB329_617
; %bb.616:                              ;   in Loop: Header=BB329_419 Depth=1
	v_cmp_lt_i32_e64 s0, v15, v32
	v_lshrrev_b32_e32 v67, 16, v14
	v_lshrrev_b32_e32 v68, 16, v13
	;; [unrolled: 1-line block ×4, first 2 shown]
	v_cndmask_b32_e64 v14, 0, v14, s0
	v_cmp_lt_i32_e64 s0, v50, v37
	s_delay_alu instid0(VALU_DEP_1) | instskip(SKIP_1) | instid1(VALU_DEP_2)
	v_cndmask_b32_e64 v67, 0, v67, s0
	v_cmp_lt_i32_e64 s0, v49, v37
	v_perm_b32 v14, v67, v14, 0x5040100
	s_delay_alu instid0(VALU_DEP_2) | instskip(SKIP_1) | instid1(VALU_DEP_1)
	v_cndmask_b32_e64 v68, 0, v68, s0
	v_cmp_lt_i32_e64 s0, v48, v32
	v_cndmask_b32_e64 v13, 0, v13, s0
	v_cmp_lt_i32_e64 s0, v39, v37
	s_delay_alu instid0(VALU_DEP_2) | instskip(NEXT) | instid1(VALU_DEP_2)
	v_perm_b32 v13, v68, v13, 0x5040100
	v_cndmask_b32_e64 v69, 0, v69, s0
	v_cmp_lt_i32_e64 s0, v38, v32
	s_delay_alu instid0(VALU_DEP_1) | instskip(SKIP_1) | instid1(VALU_DEP_2)
	v_cndmask_b32_e64 v0, 0, v0, s0
	v_cmp_lt_i32_e64 s0, v23, v37
	v_perm_b32 v0, v69, v0, 0x5040100
	s_delay_alu instid0(VALU_DEP_2) | instskip(SKIP_1) | instid1(VALU_DEP_1)
	v_cndmask_b32_e64 v11, 0, v11, s0
	v_cmp_lt_i32_e64 s0, v17, v32
	v_cndmask_b32_e64 v12, 0, v12, s0
	s_delay_alu instid0(VALU_DEP_1)
	v_perm_b32 v11, v11, v12, 0x5040100
.LBB329_617:                            ;   in Loop: Header=BB329_419 Depth=1
	s_or_b32 exec_lo, exec_lo, s10
	;;#ASMSTART
	v_pk_mul_f16 v12, v54, v14;

	;;#ASMEND
	;;#ASMSTART
	v_pk_mul_f16 v13, v53, v13;

	;;#ASMEND
	;; [unrolled: 4-line block ×4, first 2 shown]
	;;#ASMSTART
	v_pk_add_f16 v12, v12, v13;

	;;#ASMEND
	;;#ASMSTART
	v_pk_add_f16 v0, v12, v0;

	;;#ASMEND
	;;#ASMSTART
	v_pk_add_f16 v0, v0, v11;

	;;#ASMEND
	v_dual_mov_b32 v70, 0 :: v_dual_and_b32 v11, 0xffff, v0
	v_lshrrev_b32_e32 v0, 16, v0
	;;#ASMSTART
	v_cvt_f32_f16 v67, v11;
	;;#ASMEND
	;;#ASMSTART
	v_cvt_f32_f16 v68, v0;
	;;#ASMEND
	flat_load_b64 v[11:12], v[9:10] offset:768
	flat_load_b32 v69, v[26:27]
	s_mov_b32 s10, exec_lo
	s_waitcnt vmcnt(1) lgkmcnt(1)
	v_dual_mov_b32 v71, 0 :: v_dual_and_b32 v0, 0xff, v11
	s_delay_alu instid0(VALU_DEP_1)
	v_cmpx_ne_u16_e32 0, v0
	s_cbranch_execz .LBB329_625
; %bb.618:                              ;   in Loop: Header=BB329_419 Depth=1
	v_bfrev_b32_e32 v70, 1
	s_mov_b32 s12, exec_lo
	v_cmpx_ne_u16_e32 0x80, v0
	s_cbranch_execz .LBB329_624
; %bb.619:                              ;   in Loop: Header=BB329_419 Depth=1
	v_and_b32_e32 v13, 0x7f, v11
	v_mov_b32_e32 v70, 0x7fc02000
	s_mov_b32 s13, exec_lo
	s_delay_alu instid0(VALU_DEP_2)
	v_cmpx_ne_u32_e32 0x7f, v13
	s_cbranch_execz .LBB329_623
; %bb.620:                              ;   in Loop: Header=BB329_419 Depth=1
	v_lshrrev_b32_e32 v0, 3, v13
	v_cmp_gt_u32_e64 s0, 8, v13
	v_dual_mov_b32 v14, v12 :: v_dual_mov_b32 v13, v11
	s_delay_alu instid0(VALU_DEP_2)
	s_and_saveexec_b32 s15, s0
; %bb.621:                              ;   in Loop: Header=BB329_419 Depth=1
	v_and_b32_e32 v0, 7, v11
	s_delay_alu instid0(VALU_DEP_1) | instskip(NEXT) | instid1(VALU_DEP_1)
	v_clz_i32_u32_e32 v0, v0
	v_min_u32_e32 v0, 32, v0
	s_delay_alu instid0(VALU_DEP_1) | instskip(SKIP_1) | instid1(VALU_DEP_2)
	v_subrev_nc_u32_e32 v13, 28, v0
	v_sub_nc_u32_e32 v0, 29, v0
	v_lshlrev_b64 v[13:14], v13, v[11:12]
; %bb.622:                              ;   in Loop: Header=BB329_419 Depth=1
	s_or_b32 exec_lo, exec_lo, s15
	v_lshlrev_b32_e32 v14, 8, v11
	s_delay_alu instid0(VALU_DEP_3) | instskip(NEXT) | instid1(VALU_DEP_3)
	v_lshl_add_u32 v0, v0, 10, 0x2000
	v_lshlrev_b32_e32 v13, 7, v13
	s_delay_alu instid0(VALU_DEP_2) | instskip(NEXT) | instid1(VALU_DEP_1)
	v_and_or_b32 v0, 0x8000, v14, v0
	v_and_or_b32 v0, 0x380, v13, v0
	s_delay_alu instid0(VALU_DEP_1)
	v_cvt_f32_f16_e32 v70, v0
.LBB329_623:                            ;   in Loop: Header=BB329_419 Depth=1
	s_or_b32 exec_lo, exec_lo, s13
.LBB329_624:                            ;   in Loop: Header=BB329_419 Depth=1
	s_delay_alu instid0(SALU_CYCLE_1)
	s_or_b32 exec_lo, exec_lo, s12
.LBB329_625:                            ;   in Loop: Header=BB329_419 Depth=1
	s_delay_alu instid0(SALU_CYCLE_1) | instskip(SKIP_2) | instid1(VALU_DEP_1)
	s_or_b32 exec_lo, exec_lo, s10
	v_lshrrev_b16 v0, 8, v11
	s_mov_b32 s10, exec_lo
	v_cmpx_ne_u16_e32 0, v0
	s_cbranch_execz .LBB329_633
; %bb.626:                              ;   in Loop: Header=BB329_419 Depth=1
	v_bfrev_b32_e32 v71, 1
	s_mov_b32 s12, exec_lo
	v_cmpx_ne_u16_e32 0x80, v0
	s_cbranch_execz .LBB329_632
; %bb.627:                              ;   in Loop: Header=BB329_419 Depth=1
	v_and_b32_e32 v13, 0xffff, v0
	v_mov_b32_e32 v71, 0x7fc02000
	s_mov_b32 s13, exec_lo
	s_delay_alu instid0(VALU_DEP_2) | instskip(NEXT) | instid1(VALU_DEP_1)
	v_and_b32_e32 v80, 0x7f, v13
	v_cmpx_ne_u32_e32 0x7f, v80
	s_cbranch_execz .LBB329_631
; %bb.628:                              ;   in Loop: Header=BB329_419 Depth=1
	v_and_b32_e32 v0, 7, v13
	v_lshrrev_b32_e32 v14, 3, v80
	s_mov_b32 s15, exec_lo
	v_cmpx_gt_u32_e32 8, v80
; %bb.629:                              ;   in Loop: Header=BB329_419 Depth=1
	s_delay_alu instid0(VALU_DEP_3) | instskip(NEXT) | instid1(VALU_DEP_1)
	v_clz_i32_u32_e32 v14, v0
	v_min_u32_e32 v14, 32, v14
	s_delay_alu instid0(VALU_DEP_1) | instskip(SKIP_1) | instid1(VALU_DEP_2)
	v_subrev_nc_u32_e32 v71, 28, v14
	v_sub_nc_u32_e32 v14, 29, v14
	v_lshlrev_b64 v[80:81], v71, v[0:1]
	s_delay_alu instid0(VALU_DEP_1)
	v_and_b32_e32 v0, 7, v80
; %bb.630:                              ;   in Loop: Header=BB329_419 Depth=1
	s_or_b32 exec_lo, exec_lo, s15
	v_lshlrev_b32_e32 v13, 8, v13
	v_lshl_add_u32 v14, v14, 10, 0x2000
	s_delay_alu instid0(VALU_DEP_1) | instskip(NEXT) | instid1(VALU_DEP_1)
	v_and_or_b32 v13, 0x8000, v13, v14
	v_lshl_or_b32 v0, v0, 7, v13
	s_delay_alu instid0(VALU_DEP_1)
	v_cvt_f32_f16_e32 v71, v0
.LBB329_631:                            ;   in Loop: Header=BB329_419 Depth=1
	s_or_b32 exec_lo, exec_lo, s13
.LBB329_632:                            ;   in Loop: Header=BB329_419 Depth=1
	s_delay_alu instid0(SALU_CYCLE_1)
	s_or_b32 exec_lo, exec_lo, s12
.LBB329_633:                            ;   in Loop: Header=BB329_419 Depth=1
	s_delay_alu instid0(SALU_CYCLE_1) | instskip(SKIP_3) | instid1(VALU_DEP_2)
	s_or_b32 exec_lo, exec_lo, s10
	v_lshrrev_b32_e32 v13, 16, v11
	v_mov_b32_e32 v80, 0
	s_mov_b32 s10, exec_lo
	v_dual_mov_b32 v81, 0 :: v_dual_and_b32 v0, 0xff, v13
	s_delay_alu instid0(VALU_DEP_1)
	v_cmpx_ne_u16_e32 0, v0
	s_cbranch_execz .LBB329_641
; %bb.634:                              ;   in Loop: Header=BB329_419 Depth=1
	v_bfrev_b32_e32 v80, 1
	s_mov_b32 s12, exec_lo
	v_cmpx_ne_u16_e32 0x80, v0
	s_cbranch_execz .LBB329_640
; %bb.635:                              ;   in Loop: Header=BB329_419 Depth=1
	v_bfe_u32 v82, v11, 16, 7
	v_mov_b32_e32 v80, 0x7fc02000
	s_mov_b32 s13, exec_lo
	s_delay_alu instid0(VALU_DEP_2)
	v_cmpx_ne_u32_e32 0x7f, v82
	s_cbranch_execz .LBB329_639
; %bb.636:                              ;   in Loop: Header=BB329_419 Depth=1
	v_and_b32_e32 v0, 7, v13
	v_lshrrev_b32_e32 v14, 3, v82
	s_mov_b32 s15, exec_lo
	v_cmpx_gt_u32_e32 8, v82
; %bb.637:                              ;   in Loop: Header=BB329_419 Depth=1
	s_delay_alu instid0(VALU_DEP_3) | instskip(NEXT) | instid1(VALU_DEP_1)
	v_clz_i32_u32_e32 v14, v0
	v_min_u32_e32 v14, 32, v14
	s_delay_alu instid0(VALU_DEP_1) | instskip(SKIP_1) | instid1(VALU_DEP_2)
	v_subrev_nc_u32_e32 v80, 28, v14
	v_sub_nc_u32_e32 v14, 29, v14
	v_lshlrev_b64 v[82:83], v80, v[0:1]
	s_delay_alu instid0(VALU_DEP_1)
	v_and_b32_e32 v0, 7, v82
; %bb.638:                              ;   in Loop: Header=BB329_419 Depth=1
	s_or_b32 exec_lo, exec_lo, s15
	v_lshlrev_b32_e32 v13, 8, v13
	v_lshl_add_u32 v14, v14, 10, 0x2000
	s_delay_alu instid0(VALU_DEP_1) | instskip(NEXT) | instid1(VALU_DEP_1)
	v_and_or_b32 v13, 0x8000, v13, v14
	v_lshl_or_b32 v0, v0, 7, v13
	s_delay_alu instid0(VALU_DEP_1)
	v_cvt_f32_f16_e32 v80, v0
.LBB329_639:                            ;   in Loop: Header=BB329_419 Depth=1
	s_or_b32 exec_lo, exec_lo, s13
.LBB329_640:                            ;   in Loop: Header=BB329_419 Depth=1
	s_delay_alu instid0(SALU_CYCLE_1)
	s_or_b32 exec_lo, exec_lo, s12
.LBB329_641:                            ;   in Loop: Header=BB329_419 Depth=1
	s_delay_alu instid0(SALU_CYCLE_1) | instskip(NEXT) | instid1(SALU_CYCLE_1)
	s_or_b32 exec_lo, exec_lo, s10
	s_mov_b32 s10, exec_lo
	v_cmpx_lt_u32_e32 0xffffff, v11
	s_cbranch_execz .LBB329_649
; %bb.642:                              ;   in Loop: Header=BB329_419 Depth=1
	v_lshrrev_b32_e32 v13, 24, v11
	v_bfrev_b32_e32 v81, 1
	s_mov_b32 s12, exec_lo
	s_delay_alu instid0(VALU_DEP_2)
	v_cmpx_ne_u32_e32 0x80, v13
	s_cbranch_execz .LBB329_648
; %bb.643:                              ;   in Loop: Header=BB329_419 Depth=1
	v_and_b32_e32 v82, 0x7f, v13
	v_mov_b32_e32 v81, 0x7fc02000
	s_mov_b32 s13, exec_lo
	s_delay_alu instid0(VALU_DEP_2)
	v_cmpx_ne_u32_e32 0x7f, v82
	s_cbranch_execz .LBB329_647
; %bb.644:                              ;   in Loop: Header=BB329_419 Depth=1
	v_and_b32_e32 v0, 7, v13
	v_lshrrev_b32_e32 v14, 3, v82
	s_mov_b32 s15, exec_lo
	v_cmpx_gt_u32_e32 8, v82
; %bb.645:                              ;   in Loop: Header=BB329_419 Depth=1
	s_delay_alu instid0(VALU_DEP_3) | instskip(NEXT) | instid1(VALU_DEP_1)
	v_clz_i32_u32_e32 v14, v0
	v_min_u32_e32 v14, 32, v14
	s_delay_alu instid0(VALU_DEP_1) | instskip(SKIP_1) | instid1(VALU_DEP_2)
	v_subrev_nc_u32_e32 v81, 28, v14
	v_sub_nc_u32_e32 v14, 29, v14
	v_lshlrev_b64 v[81:82], v81, v[0:1]
	s_delay_alu instid0(VALU_DEP_1)
	v_and_b32_e32 v0, 7, v81
; %bb.646:                              ;   in Loop: Header=BB329_419 Depth=1
	s_or_b32 exec_lo, exec_lo, s15
	v_lshlrev_b32_e32 v13, 8, v13
	v_lshl_add_u32 v14, v14, 10, 0x2000
	s_delay_alu instid0(VALU_DEP_1) | instskip(NEXT) | instid1(VALU_DEP_1)
	v_and_or_b32 v13, 0x8000, v13, v14
	v_lshl_or_b32 v0, v0, 7, v13
	s_delay_alu instid0(VALU_DEP_1)
	v_cvt_f32_f16_e32 v81, v0
.LBB329_647:                            ;   in Loop: Header=BB329_419 Depth=1
	s_or_b32 exec_lo, exec_lo, s13
.LBB329_648:                            ;   in Loop: Header=BB329_419 Depth=1
	s_delay_alu instid0(SALU_CYCLE_1)
	s_or_b32 exec_lo, exec_lo, s12
.LBB329_649:                            ;   in Loop: Header=BB329_419 Depth=1
	s_delay_alu instid0(SALU_CYCLE_1) | instskip(SKIP_4) | instid1(VALU_DEP_3)
	s_or_b32 exec_lo, exec_lo, s10
	v_dual_mov_b32 v13, 0 :: v_dual_and_b32 v14, 0xff, v12
	v_mov_b32_e32 v0, v12
	v_mov_b32_e32 v82, 0
	s_mov_b32 s10, exec_lo
	v_cmpx_ne_u16_e32 0, v14
	s_cbranch_execz .LBB329_657
; %bb.650:                              ;   in Loop: Header=BB329_419 Depth=1
	v_bfrev_b32_e32 v13, 1
	s_mov_b32 s12, exec_lo
	v_cmpx_ne_u16_e32 0x80, v14
	s_cbranch_execz .LBB329_656
; %bb.651:                              ;   in Loop: Header=BB329_419 Depth=1
	v_and_b32_e32 v14, 0x7f, v12
	v_mov_b32_e32 v13, 0x7fc02000
	s_mov_b32 s13, exec_lo
	s_delay_alu instid0(VALU_DEP_2)
	v_cmpx_ne_u32_e32 0x7f, v14
	s_cbranch_execz .LBB329_655
; %bb.652:                              ;   in Loop: Header=BB329_419 Depth=1
	v_lshrrev_b32_e32 v83, 3, v14
	v_cmp_gt_u32_e64 s0, 8, v14
	v_dual_mov_b32 v14, v1 :: v_dual_mov_b32 v13, v0
	s_delay_alu instid0(VALU_DEP_2)
	s_and_saveexec_b32 s15, s0
; %bb.653:                              ;   in Loop: Header=BB329_419 Depth=1
	v_and_b32_e32 v13, 7, v12
	s_delay_alu instid0(VALU_DEP_1) | instskip(NEXT) | instid1(VALU_DEP_1)
	v_clz_i32_u32_e32 v13, v13
	v_min_u32_e32 v83, 32, v13
	s_delay_alu instid0(VALU_DEP_1) | instskip(SKIP_1) | instid1(VALU_DEP_2)
	v_subrev_nc_u32_e32 v13, 28, v83
	v_sub_nc_u32_e32 v83, 29, v83
	v_lshlrev_b64 v[13:14], v13, v[0:1]
; %bb.654:                              ;   in Loop: Header=BB329_419 Depth=1
	s_or_b32 exec_lo, exec_lo, s15
	v_lshlrev_b32_e32 v14, 8, v12
	s_delay_alu instid0(VALU_DEP_3) | instskip(NEXT) | instid1(VALU_DEP_3)
	v_lshl_add_u32 v83, v83, 10, 0x2000
	v_lshlrev_b32_e32 v13, 7, v13
	s_delay_alu instid0(VALU_DEP_2) | instskip(NEXT) | instid1(VALU_DEP_1)
	v_and_or_b32 v14, 0x8000, v14, v83
	v_and_or_b32 v13, 0x380, v13, v14
	s_delay_alu instid0(VALU_DEP_1)
	v_cvt_f32_f16_e32 v13, v13
.LBB329_655:                            ;   in Loop: Header=BB329_419 Depth=1
	s_or_b32 exec_lo, exec_lo, s13
.LBB329_656:                            ;   in Loop: Header=BB329_419 Depth=1
	s_delay_alu instid0(SALU_CYCLE_1)
	s_or_b32 exec_lo, exec_lo, s12
.LBB329_657:                            ;   in Loop: Header=BB329_419 Depth=1
	s_delay_alu instid0(SALU_CYCLE_1) | instskip(SKIP_2) | instid1(VALU_DEP_1)
	s_or_b32 exec_lo, exec_lo, s10
	v_lshrrev_b16 v0, 8, v0
	s_mov_b32 s10, exec_lo
	v_cmpx_ne_u16_e32 0, v0
	s_cbranch_execz .LBB329_665
; %bb.658:                              ;   in Loop: Header=BB329_419 Depth=1
	v_bfrev_b32_e32 v82, 1
	s_mov_b32 s12, exec_lo
	v_cmpx_ne_u16_e32 0x80, v0
	s_cbranch_execz .LBB329_664
; %bb.659:                              ;   in Loop: Header=BB329_419 Depth=1
	v_and_b32_e32 v14, 0xffff, v0
	v_mov_b32_e32 v82, 0x7fc02000
	s_mov_b32 s13, exec_lo
	s_delay_alu instid0(VALU_DEP_2) | instskip(NEXT) | instid1(VALU_DEP_1)
	v_and_b32_e32 v83, 0x7f, v14
	v_cmpx_ne_u32_e32 0x7f, v83
	s_cbranch_execz .LBB329_663
; %bb.660:                              ;   in Loop: Header=BB329_419 Depth=1
	v_and_b32_e32 v0, 7, v14
	v_lshrrev_b32_e32 v82, 3, v83
	s_mov_b32 s15, exec_lo
	v_cmpx_gt_u32_e32 8, v83
; %bb.661:                              ;   in Loop: Header=BB329_419 Depth=1
	s_delay_alu instid0(VALU_DEP_3) | instskip(NEXT) | instid1(VALU_DEP_1)
	v_clz_i32_u32_e32 v82, v0
	v_min_u32_e32 v82, 32, v82
	s_delay_alu instid0(VALU_DEP_1) | instskip(SKIP_1) | instid1(VALU_DEP_2)
	v_subrev_nc_u32_e32 v83, 28, v82
	v_sub_nc_u32_e32 v82, 29, v82
	v_lshlrev_b64 v[83:84], v83, v[0:1]
	s_delay_alu instid0(VALU_DEP_1)
	v_and_b32_e32 v0, 7, v83
; %bb.662:                              ;   in Loop: Header=BB329_419 Depth=1
	s_or_b32 exec_lo, exec_lo, s15
	v_lshlrev_b32_e32 v14, 8, v14
	v_lshl_add_u32 v82, v82, 10, 0x2000
	s_delay_alu instid0(VALU_DEP_1) | instskip(NEXT) | instid1(VALU_DEP_1)
	v_and_or_b32 v14, 0x8000, v14, v82
	v_lshl_or_b32 v0, v0, 7, v14
	s_delay_alu instid0(VALU_DEP_1)
	v_cvt_f32_f16_e32 v82, v0
.LBB329_663:                            ;   in Loop: Header=BB329_419 Depth=1
	s_or_b32 exec_lo, exec_lo, s13
.LBB329_664:                            ;   in Loop: Header=BB329_419 Depth=1
	s_delay_alu instid0(SALU_CYCLE_1)
	s_or_b32 exec_lo, exec_lo, s12
.LBB329_665:                            ;   in Loop: Header=BB329_419 Depth=1
	s_delay_alu instid0(SALU_CYCLE_1) | instskip(SKIP_3) | instid1(VALU_DEP_2)
	s_or_b32 exec_lo, exec_lo, s10
	v_lshrrev_b32_e32 v84, 16, v12
	v_mov_b32_e32 v14, 0
	s_mov_b32 s10, exec_lo
	v_dual_mov_b32 v83, 0 :: v_dual_and_b32 v0, 0xff, v84
	s_delay_alu instid0(VALU_DEP_1)
	v_cmpx_ne_u16_e32 0, v0
	s_cbranch_execz .LBB329_673
; %bb.666:                              ;   in Loop: Header=BB329_419 Depth=1
	v_bfrev_b32_e32 v14, 1
	s_mov_b32 s12, exec_lo
	v_cmpx_ne_u16_e32 0x80, v0
	s_cbranch_execz .LBB329_672
; %bb.667:                              ;   in Loop: Header=BB329_419 Depth=1
	v_bfe_u32 v85, v12, 16, 7
	v_mov_b32_e32 v14, 0x7fc02000
	s_mov_b32 s13, exec_lo
	s_delay_alu instid0(VALU_DEP_2)
	v_cmpx_ne_u32_e32 0x7f, v85
	s_cbranch_execz .LBB329_671
; %bb.668:                              ;   in Loop: Header=BB329_419 Depth=1
	v_and_b32_e32 v0, 7, v84
	v_lshrrev_b32_e32 v14, 3, v85
	s_mov_b32 s15, exec_lo
	v_cmpx_gt_u32_e32 8, v85
; %bb.669:                              ;   in Loop: Header=BB329_419 Depth=1
	s_delay_alu instid0(VALU_DEP_3) | instskip(NEXT) | instid1(VALU_DEP_1)
	v_clz_i32_u32_e32 v14, v0
	v_min_u32_e32 v14, 32, v14
	s_delay_alu instid0(VALU_DEP_1) | instskip(SKIP_1) | instid1(VALU_DEP_2)
	v_subrev_nc_u32_e32 v85, 28, v14
	v_sub_nc_u32_e32 v14, 29, v14
	v_lshlrev_b64 v[85:86], v85, v[0:1]
	s_delay_alu instid0(VALU_DEP_1)
	v_and_b32_e32 v0, 7, v85
; %bb.670:                              ;   in Loop: Header=BB329_419 Depth=1
	s_or_b32 exec_lo, exec_lo, s15
	v_lshlrev_b32_e32 v84, 8, v84
	v_lshl_add_u32 v14, v14, 10, 0x2000
	s_delay_alu instid0(VALU_DEP_1) | instskip(NEXT) | instid1(VALU_DEP_1)
	v_and_or_b32 v14, 0x8000, v84, v14
	v_lshl_or_b32 v0, v0, 7, v14
	s_delay_alu instid0(VALU_DEP_1)
	v_cvt_f32_f16_e32 v14, v0
.LBB329_671:                            ;   in Loop: Header=BB329_419 Depth=1
	s_or_b32 exec_lo, exec_lo, s13
.LBB329_672:                            ;   in Loop: Header=BB329_419 Depth=1
	s_delay_alu instid0(SALU_CYCLE_1)
	s_or_b32 exec_lo, exec_lo, s12
.LBB329_673:                            ;   in Loop: Header=BB329_419 Depth=1
	s_delay_alu instid0(SALU_CYCLE_1) | instskip(NEXT) | instid1(SALU_CYCLE_1)
	s_or_b32 exec_lo, exec_lo, s10
	s_mov_b32 s10, exec_lo
	v_cmpx_lt_u64_e64 s[8:9], v[11:12]
	s_cbranch_execz .LBB329_681
; %bb.674:                              ;   in Loop: Header=BB329_419 Depth=1
	v_lshrrev_b32_e32 v11, 24, v12
	v_bfrev_b32_e32 v83, 1
	s_mov_b32 s12, exec_lo
	s_delay_alu instid0(VALU_DEP_2)
	v_cmpx_ne_u32_e32 0x80, v11
	s_cbranch_execz .LBB329_680
; %bb.675:                              ;   in Loop: Header=BB329_419 Depth=1
	v_and_b32_e32 v84, 0x7f, v11
	v_mov_b32_e32 v83, 0x7fc02000
	s_mov_b32 s13, exec_lo
	s_delay_alu instid0(VALU_DEP_2)
	v_cmpx_ne_u32_e32 0x7f, v84
	s_cbranch_execz .LBB329_679
; %bb.676:                              ;   in Loop: Header=BB329_419 Depth=1
	v_and_b32_e32 v0, 7, v11
	v_lshrrev_b32_e32 v12, 3, v84
	s_mov_b32 s15, exec_lo
	v_cmpx_gt_u32_e32 8, v84
; %bb.677:                              ;   in Loop: Header=BB329_419 Depth=1
	s_delay_alu instid0(VALU_DEP_3) | instskip(NEXT) | instid1(VALU_DEP_1)
	v_clz_i32_u32_e32 v12, v0
	v_min_u32_e32 v12, 32, v12
	s_delay_alu instid0(VALU_DEP_1) | instskip(SKIP_1) | instid1(VALU_DEP_2)
	v_subrev_nc_u32_e32 v83, 28, v12
	v_sub_nc_u32_e32 v12, 29, v12
	v_lshlrev_b64 v[83:84], v83, v[0:1]
	s_delay_alu instid0(VALU_DEP_1)
	v_and_b32_e32 v0, 7, v83
; %bb.678:                              ;   in Loop: Header=BB329_419 Depth=1
	s_or_b32 exec_lo, exec_lo, s15
	v_lshlrev_b32_e32 v11, 8, v11
	v_lshl_add_u32 v12, v12, 10, 0x2000
	s_delay_alu instid0(VALU_DEP_1) | instskip(NEXT) | instid1(VALU_DEP_1)
	v_and_or_b32 v11, 0x8000, v11, v12
	v_lshl_or_b32 v0, v0, 7, v11
	s_delay_alu instid0(VALU_DEP_1)
	v_cvt_f32_f16_e32 v83, v0
.LBB329_679:                            ;   in Loop: Header=BB329_419 Depth=1
	s_or_b32 exec_lo, exec_lo, s13
.LBB329_680:                            ;   in Loop: Header=BB329_419 Depth=1
	s_delay_alu instid0(SALU_CYCLE_1)
	s_or_b32 exec_lo, exec_lo, s12
.LBB329_681:                            ;   in Loop: Header=BB329_419 Depth=1
	s_delay_alu instid0(SALU_CYCLE_1)
	s_or_b32 exec_lo, exec_lo, s10
	s_waitcnt vmcnt(0) lgkmcnt(0)
	v_fma_mixlo_f16 v12, v69, v71, 0
	v_fma_mixlo_f16 v0, v69, v81, 0
	;; [unrolled: 1-line block ×5, first 2 shown]
	v_lshlrev_b32_e32 v71, 16, v12
	v_fma_mixlo_f16 v13, v69, v13, 0
	v_fma_mixlo_f16 v81, v69, v83, 0
	;; [unrolled: 1-line block ×3, first 2 shown]
	v_lshlrev_b32_e32 v0, 16, v0
	v_and_b32_e32 v11, 0xffff, v11
	v_and_b32_e32 v14, 0xffff, v70
	v_lshlrev_b32_e32 v69, 16, v80
	v_and_b32_e32 v70, 0xffff, v13
	v_lshlrev_b32_e32 v80, 16, v81
	v_and_b32_e32 v81, 0xffff, v12
	v_or_b32_e32 v13, v0, v11
	v_or_b32_e32 v14, v71, v14
	;; [unrolled: 1-line block ×3, first 2 shown]
	s_delay_alu instid0(VALU_DEP_4)
	v_or_b32_e32 v11, v80, v81
	s_and_saveexec_b32 s10, vcc_lo
	s_cbranch_execz .LBB329_683
; %bb.682:                              ;   in Loop: Header=BB329_419 Depth=1
	v_cmp_lt_i32_e64 s0, v15, v32
	v_lshrrev_b32_e32 v69, 16, v14
	v_lshrrev_b32_e32 v70, 16, v13
	;; [unrolled: 1-line block ×4, first 2 shown]
	v_cndmask_b32_e64 v14, 0, v14, s0
	v_cmp_lt_i32_e64 s0, v50, v37
	s_delay_alu instid0(VALU_DEP_1) | instskip(SKIP_1) | instid1(VALU_DEP_2)
	v_cndmask_b32_e64 v69, 0, v69, s0
	v_cmp_lt_i32_e64 s0, v49, v37
	v_perm_b32 v14, v69, v14, 0x5040100
	s_delay_alu instid0(VALU_DEP_2) | instskip(SKIP_1) | instid1(VALU_DEP_1)
	v_cndmask_b32_e64 v70, 0, v70, s0
	v_cmp_lt_i32_e64 s0, v48, v32
	v_cndmask_b32_e64 v13, 0, v13, s0
	v_cmp_lt_i32_e64 s0, v39, v37
	s_delay_alu instid0(VALU_DEP_2) | instskip(NEXT) | instid1(VALU_DEP_2)
	v_perm_b32 v13, v70, v13, 0x5040100
	v_cndmask_b32_e64 v71, 0, v71, s0
	v_cmp_lt_i32_e64 s0, v38, v32
	s_delay_alu instid0(VALU_DEP_1) | instskip(SKIP_1) | instid1(VALU_DEP_2)
	v_cndmask_b32_e64 v0, 0, v0, s0
	v_cmp_lt_i32_e64 s0, v23, v37
	v_perm_b32 v0, v71, v0, 0x5040100
	s_delay_alu instid0(VALU_DEP_2) | instskip(SKIP_1) | instid1(VALU_DEP_1)
	v_cndmask_b32_e64 v11, 0, v11, s0
	v_cmp_lt_i32_e64 s0, v17, v32
	v_cndmask_b32_e64 v12, 0, v12, s0
	s_delay_alu instid0(VALU_DEP_1)
	v_perm_b32 v11, v11, v12, 0x5040100
.LBB329_683:                            ;   in Loop: Header=BB329_419 Depth=1
	s_or_b32 exec_lo, exec_lo, s10
	;;#ASMSTART
	v_pk_mul_f16 v12, v54, v14;

	;;#ASMEND
	;;#ASMSTART
	v_pk_mul_f16 v13, v53, v13;

	;;#ASMEND
	;; [unrolled: 4-line block ×4, first 2 shown]
	;;#ASMSTART
	v_pk_add_f16 v12, v12, v13;

	;;#ASMEND
	;;#ASMSTART
	v_pk_add_f16 v0, v12, v0;

	;;#ASMEND
	;; [unrolled: 4-line block ×3, first 2 shown]
	v_dual_mov_b32 v80, 0 :: v_dual_and_b32 v11, 0xffff, v0
	v_lshrrev_b32_e32 v0, 16, v0
	;;#ASMSTART
	v_cvt_f32_f16 v69, v11;
	;;#ASMEND
	;;#ASMSTART
	v_cvt_f32_f16 v70, v0;
	;;#ASMEND
	flat_load_b64 v[11:12], v[9:10] offset:1024
	flat_load_b32 v71, v[26:27]
	s_mov_b32 s10, exec_lo
	s_waitcnt vmcnt(1) lgkmcnt(1)
	v_dual_mov_b32 v81, 0 :: v_dual_and_b32 v0, 0xff, v11
	s_delay_alu instid0(VALU_DEP_1)
	v_cmpx_ne_u16_e32 0, v0
	s_cbranch_execz .LBB329_691
; %bb.684:                              ;   in Loop: Header=BB329_419 Depth=1
	v_bfrev_b32_e32 v80, 1
	s_mov_b32 s12, exec_lo
	v_cmpx_ne_u16_e32 0x80, v0
	s_cbranch_execz .LBB329_690
; %bb.685:                              ;   in Loop: Header=BB329_419 Depth=1
	v_and_b32_e32 v13, 0x7f, v11
	v_mov_b32_e32 v80, 0x7fc02000
	s_mov_b32 s13, exec_lo
	s_delay_alu instid0(VALU_DEP_2)
	v_cmpx_ne_u32_e32 0x7f, v13
	s_cbranch_execz .LBB329_689
; %bb.686:                              ;   in Loop: Header=BB329_419 Depth=1
	v_lshrrev_b32_e32 v0, 3, v13
	v_cmp_gt_u32_e64 s0, 8, v13
	v_dual_mov_b32 v14, v12 :: v_dual_mov_b32 v13, v11
	s_delay_alu instid0(VALU_DEP_2)
	s_and_saveexec_b32 s15, s0
; %bb.687:                              ;   in Loop: Header=BB329_419 Depth=1
	v_and_b32_e32 v0, 7, v11
	s_delay_alu instid0(VALU_DEP_1) | instskip(NEXT) | instid1(VALU_DEP_1)
	v_clz_i32_u32_e32 v0, v0
	v_min_u32_e32 v0, 32, v0
	s_delay_alu instid0(VALU_DEP_1) | instskip(SKIP_1) | instid1(VALU_DEP_2)
	v_subrev_nc_u32_e32 v13, 28, v0
	v_sub_nc_u32_e32 v0, 29, v0
	v_lshlrev_b64 v[13:14], v13, v[11:12]
; %bb.688:                              ;   in Loop: Header=BB329_419 Depth=1
	s_or_b32 exec_lo, exec_lo, s15
	v_lshlrev_b32_e32 v14, 8, v11
	s_delay_alu instid0(VALU_DEP_3) | instskip(NEXT) | instid1(VALU_DEP_3)
	v_lshl_add_u32 v0, v0, 10, 0x2000
	v_lshlrev_b32_e32 v13, 7, v13
	s_delay_alu instid0(VALU_DEP_2) | instskip(NEXT) | instid1(VALU_DEP_1)
	v_and_or_b32 v0, 0x8000, v14, v0
	v_and_or_b32 v0, 0x380, v13, v0
	s_delay_alu instid0(VALU_DEP_1)
	v_cvt_f32_f16_e32 v80, v0
.LBB329_689:                            ;   in Loop: Header=BB329_419 Depth=1
	s_or_b32 exec_lo, exec_lo, s13
.LBB329_690:                            ;   in Loop: Header=BB329_419 Depth=1
	s_delay_alu instid0(SALU_CYCLE_1)
	s_or_b32 exec_lo, exec_lo, s12
.LBB329_691:                            ;   in Loop: Header=BB329_419 Depth=1
	s_delay_alu instid0(SALU_CYCLE_1) | instskip(SKIP_2) | instid1(VALU_DEP_1)
	s_or_b32 exec_lo, exec_lo, s10
	v_lshrrev_b16 v0, 8, v11
	s_mov_b32 s10, exec_lo
	v_cmpx_ne_u16_e32 0, v0
	s_cbranch_execz .LBB329_699
; %bb.692:                              ;   in Loop: Header=BB329_419 Depth=1
	v_bfrev_b32_e32 v81, 1
	s_mov_b32 s12, exec_lo
	v_cmpx_ne_u16_e32 0x80, v0
	s_cbranch_execz .LBB329_698
; %bb.693:                              ;   in Loop: Header=BB329_419 Depth=1
	v_and_b32_e32 v13, 0xffff, v0
	v_mov_b32_e32 v81, 0x7fc02000
	s_mov_b32 s13, exec_lo
	s_delay_alu instid0(VALU_DEP_2) | instskip(NEXT) | instid1(VALU_DEP_1)
	v_and_b32_e32 v82, 0x7f, v13
	v_cmpx_ne_u32_e32 0x7f, v82
	s_cbranch_execz .LBB329_697
; %bb.694:                              ;   in Loop: Header=BB329_419 Depth=1
	v_and_b32_e32 v0, 7, v13
	v_lshrrev_b32_e32 v14, 3, v82
	s_mov_b32 s15, exec_lo
	v_cmpx_gt_u32_e32 8, v82
; %bb.695:                              ;   in Loop: Header=BB329_419 Depth=1
	s_delay_alu instid0(VALU_DEP_3) | instskip(NEXT) | instid1(VALU_DEP_1)
	v_clz_i32_u32_e32 v14, v0
	v_min_u32_e32 v14, 32, v14
	s_delay_alu instid0(VALU_DEP_1) | instskip(SKIP_1) | instid1(VALU_DEP_2)
	v_subrev_nc_u32_e32 v81, 28, v14
	v_sub_nc_u32_e32 v14, 29, v14
	v_lshlrev_b64 v[81:82], v81, v[0:1]
	s_delay_alu instid0(VALU_DEP_1)
	v_and_b32_e32 v0, 7, v81
; %bb.696:                              ;   in Loop: Header=BB329_419 Depth=1
	s_or_b32 exec_lo, exec_lo, s15
	v_lshlrev_b32_e32 v13, 8, v13
	v_lshl_add_u32 v14, v14, 10, 0x2000
	s_delay_alu instid0(VALU_DEP_1) | instskip(NEXT) | instid1(VALU_DEP_1)
	v_and_or_b32 v13, 0x8000, v13, v14
	v_lshl_or_b32 v0, v0, 7, v13
	s_delay_alu instid0(VALU_DEP_1)
	v_cvt_f32_f16_e32 v81, v0
.LBB329_697:                            ;   in Loop: Header=BB329_419 Depth=1
	s_or_b32 exec_lo, exec_lo, s13
.LBB329_698:                            ;   in Loop: Header=BB329_419 Depth=1
	s_delay_alu instid0(SALU_CYCLE_1)
	s_or_b32 exec_lo, exec_lo, s12
.LBB329_699:                            ;   in Loop: Header=BB329_419 Depth=1
	s_delay_alu instid0(SALU_CYCLE_1) | instskip(SKIP_3) | instid1(VALU_DEP_2)
	s_or_b32 exec_lo, exec_lo, s10
	v_lshrrev_b32_e32 v13, 16, v11
	v_mov_b32_e32 v82, 0
	s_mov_b32 s10, exec_lo
	v_dual_mov_b32 v83, 0 :: v_dual_and_b32 v0, 0xff, v13
	s_delay_alu instid0(VALU_DEP_1)
	v_cmpx_ne_u16_e32 0, v0
	s_cbranch_execz .LBB329_707
; %bb.700:                              ;   in Loop: Header=BB329_419 Depth=1
	v_bfrev_b32_e32 v82, 1
	s_mov_b32 s12, exec_lo
	v_cmpx_ne_u16_e32 0x80, v0
	s_cbranch_execz .LBB329_706
; %bb.701:                              ;   in Loop: Header=BB329_419 Depth=1
	v_bfe_u32 v84, v11, 16, 7
	v_mov_b32_e32 v82, 0x7fc02000
	s_mov_b32 s13, exec_lo
	s_delay_alu instid0(VALU_DEP_2)
	v_cmpx_ne_u32_e32 0x7f, v84
	s_cbranch_execz .LBB329_705
; %bb.702:                              ;   in Loop: Header=BB329_419 Depth=1
	v_and_b32_e32 v0, 7, v13
	v_lshrrev_b32_e32 v14, 3, v84
	s_mov_b32 s15, exec_lo
	v_cmpx_gt_u32_e32 8, v84
; %bb.703:                              ;   in Loop: Header=BB329_419 Depth=1
	s_delay_alu instid0(VALU_DEP_3) | instskip(NEXT) | instid1(VALU_DEP_1)
	v_clz_i32_u32_e32 v14, v0
	v_min_u32_e32 v14, 32, v14
	s_delay_alu instid0(VALU_DEP_1) | instskip(SKIP_1) | instid1(VALU_DEP_2)
	v_subrev_nc_u32_e32 v82, 28, v14
	v_sub_nc_u32_e32 v14, 29, v14
	v_lshlrev_b64 v[84:85], v82, v[0:1]
	s_delay_alu instid0(VALU_DEP_1)
	v_and_b32_e32 v0, 7, v84
; %bb.704:                              ;   in Loop: Header=BB329_419 Depth=1
	s_or_b32 exec_lo, exec_lo, s15
	v_lshlrev_b32_e32 v13, 8, v13
	v_lshl_add_u32 v14, v14, 10, 0x2000
	s_delay_alu instid0(VALU_DEP_1) | instskip(NEXT) | instid1(VALU_DEP_1)
	v_and_or_b32 v13, 0x8000, v13, v14
	v_lshl_or_b32 v0, v0, 7, v13
	s_delay_alu instid0(VALU_DEP_1)
	v_cvt_f32_f16_e32 v82, v0
.LBB329_705:                            ;   in Loop: Header=BB329_419 Depth=1
	s_or_b32 exec_lo, exec_lo, s13
.LBB329_706:                            ;   in Loop: Header=BB329_419 Depth=1
	s_delay_alu instid0(SALU_CYCLE_1)
	s_or_b32 exec_lo, exec_lo, s12
.LBB329_707:                            ;   in Loop: Header=BB329_419 Depth=1
	s_delay_alu instid0(SALU_CYCLE_1) | instskip(NEXT) | instid1(SALU_CYCLE_1)
	s_or_b32 exec_lo, exec_lo, s10
	s_mov_b32 s10, exec_lo
	v_cmpx_lt_u32_e32 0xffffff, v11
	s_cbranch_execz .LBB329_715
; %bb.708:                              ;   in Loop: Header=BB329_419 Depth=1
	v_lshrrev_b32_e32 v13, 24, v11
	v_bfrev_b32_e32 v83, 1
	s_mov_b32 s12, exec_lo
	s_delay_alu instid0(VALU_DEP_2)
	v_cmpx_ne_u32_e32 0x80, v13
	s_cbranch_execz .LBB329_714
; %bb.709:                              ;   in Loop: Header=BB329_419 Depth=1
	v_and_b32_e32 v84, 0x7f, v13
	v_mov_b32_e32 v83, 0x7fc02000
	s_mov_b32 s13, exec_lo
	s_delay_alu instid0(VALU_DEP_2)
	v_cmpx_ne_u32_e32 0x7f, v84
	s_cbranch_execz .LBB329_713
; %bb.710:                              ;   in Loop: Header=BB329_419 Depth=1
	v_and_b32_e32 v0, 7, v13
	v_lshrrev_b32_e32 v14, 3, v84
	s_mov_b32 s15, exec_lo
	v_cmpx_gt_u32_e32 8, v84
; %bb.711:                              ;   in Loop: Header=BB329_419 Depth=1
	s_delay_alu instid0(VALU_DEP_3) | instskip(NEXT) | instid1(VALU_DEP_1)
	v_clz_i32_u32_e32 v14, v0
	v_min_u32_e32 v14, 32, v14
	s_delay_alu instid0(VALU_DEP_1) | instskip(SKIP_1) | instid1(VALU_DEP_2)
	v_subrev_nc_u32_e32 v83, 28, v14
	v_sub_nc_u32_e32 v14, 29, v14
	v_lshlrev_b64 v[83:84], v83, v[0:1]
	s_delay_alu instid0(VALU_DEP_1)
	v_and_b32_e32 v0, 7, v83
; %bb.712:                              ;   in Loop: Header=BB329_419 Depth=1
	s_or_b32 exec_lo, exec_lo, s15
	v_lshlrev_b32_e32 v13, 8, v13
	v_lshl_add_u32 v14, v14, 10, 0x2000
	s_delay_alu instid0(VALU_DEP_1) | instskip(NEXT) | instid1(VALU_DEP_1)
	v_and_or_b32 v13, 0x8000, v13, v14
	v_lshl_or_b32 v0, v0, 7, v13
	s_delay_alu instid0(VALU_DEP_1)
	v_cvt_f32_f16_e32 v83, v0
.LBB329_713:                            ;   in Loop: Header=BB329_419 Depth=1
	s_or_b32 exec_lo, exec_lo, s13
.LBB329_714:                            ;   in Loop: Header=BB329_419 Depth=1
	s_delay_alu instid0(SALU_CYCLE_1)
	s_or_b32 exec_lo, exec_lo, s12
.LBB329_715:                            ;   in Loop: Header=BB329_419 Depth=1
	s_delay_alu instid0(SALU_CYCLE_1) | instskip(SKIP_4) | instid1(VALU_DEP_3)
	s_or_b32 exec_lo, exec_lo, s10
	v_dual_mov_b32 v13, 0 :: v_dual_and_b32 v14, 0xff, v12
	v_mov_b32_e32 v0, v12
	v_mov_b32_e32 v84, 0
	s_mov_b32 s10, exec_lo
	v_cmpx_ne_u16_e32 0, v14
	s_cbranch_execz .LBB329_723
; %bb.716:                              ;   in Loop: Header=BB329_419 Depth=1
	v_bfrev_b32_e32 v13, 1
	s_mov_b32 s12, exec_lo
	v_cmpx_ne_u16_e32 0x80, v14
	s_cbranch_execz .LBB329_722
; %bb.717:                              ;   in Loop: Header=BB329_419 Depth=1
	v_and_b32_e32 v14, 0x7f, v12
	v_mov_b32_e32 v13, 0x7fc02000
	s_mov_b32 s13, exec_lo
	s_delay_alu instid0(VALU_DEP_2)
	v_cmpx_ne_u32_e32 0x7f, v14
	s_cbranch_execz .LBB329_721
; %bb.718:                              ;   in Loop: Header=BB329_419 Depth=1
	v_lshrrev_b32_e32 v85, 3, v14
	v_cmp_gt_u32_e64 s0, 8, v14
	v_dual_mov_b32 v14, v1 :: v_dual_mov_b32 v13, v0
	s_delay_alu instid0(VALU_DEP_2)
	s_and_saveexec_b32 s15, s0
; %bb.719:                              ;   in Loop: Header=BB329_419 Depth=1
	v_and_b32_e32 v13, 7, v12
	s_delay_alu instid0(VALU_DEP_1) | instskip(NEXT) | instid1(VALU_DEP_1)
	v_clz_i32_u32_e32 v13, v13
	v_min_u32_e32 v85, 32, v13
	s_delay_alu instid0(VALU_DEP_1) | instskip(SKIP_1) | instid1(VALU_DEP_2)
	v_subrev_nc_u32_e32 v13, 28, v85
	v_sub_nc_u32_e32 v85, 29, v85
	v_lshlrev_b64 v[13:14], v13, v[0:1]
; %bb.720:                              ;   in Loop: Header=BB329_419 Depth=1
	s_or_b32 exec_lo, exec_lo, s15
	v_lshlrev_b32_e32 v14, 8, v12
	s_delay_alu instid0(VALU_DEP_3) | instskip(NEXT) | instid1(VALU_DEP_3)
	v_lshl_add_u32 v85, v85, 10, 0x2000
	v_lshlrev_b32_e32 v13, 7, v13
	s_delay_alu instid0(VALU_DEP_2) | instskip(NEXT) | instid1(VALU_DEP_1)
	v_and_or_b32 v14, 0x8000, v14, v85
	v_and_or_b32 v13, 0x380, v13, v14
	s_delay_alu instid0(VALU_DEP_1)
	v_cvt_f32_f16_e32 v13, v13
.LBB329_721:                            ;   in Loop: Header=BB329_419 Depth=1
	s_or_b32 exec_lo, exec_lo, s13
.LBB329_722:                            ;   in Loop: Header=BB329_419 Depth=1
	s_delay_alu instid0(SALU_CYCLE_1)
	s_or_b32 exec_lo, exec_lo, s12
.LBB329_723:                            ;   in Loop: Header=BB329_419 Depth=1
	s_delay_alu instid0(SALU_CYCLE_1) | instskip(SKIP_2) | instid1(VALU_DEP_1)
	s_or_b32 exec_lo, exec_lo, s10
	v_lshrrev_b16 v0, 8, v0
	s_mov_b32 s10, exec_lo
	v_cmpx_ne_u16_e32 0, v0
	s_cbranch_execz .LBB329_731
; %bb.724:                              ;   in Loop: Header=BB329_419 Depth=1
	v_bfrev_b32_e32 v84, 1
	s_mov_b32 s12, exec_lo
	v_cmpx_ne_u16_e32 0x80, v0
	s_cbranch_execz .LBB329_730
; %bb.725:                              ;   in Loop: Header=BB329_419 Depth=1
	v_and_b32_e32 v14, 0xffff, v0
	v_mov_b32_e32 v84, 0x7fc02000
	s_mov_b32 s13, exec_lo
	s_delay_alu instid0(VALU_DEP_2) | instskip(NEXT) | instid1(VALU_DEP_1)
	v_and_b32_e32 v85, 0x7f, v14
	v_cmpx_ne_u32_e32 0x7f, v85
	s_cbranch_execz .LBB329_729
; %bb.726:                              ;   in Loop: Header=BB329_419 Depth=1
	v_and_b32_e32 v0, 7, v14
	v_lshrrev_b32_e32 v84, 3, v85
	s_mov_b32 s15, exec_lo
	v_cmpx_gt_u32_e32 8, v85
; %bb.727:                              ;   in Loop: Header=BB329_419 Depth=1
	s_delay_alu instid0(VALU_DEP_3) | instskip(NEXT) | instid1(VALU_DEP_1)
	v_clz_i32_u32_e32 v84, v0
	v_min_u32_e32 v84, 32, v84
	s_delay_alu instid0(VALU_DEP_1) | instskip(SKIP_1) | instid1(VALU_DEP_2)
	v_subrev_nc_u32_e32 v85, 28, v84
	v_sub_nc_u32_e32 v84, 29, v84
	v_lshlrev_b64 v[85:86], v85, v[0:1]
	s_delay_alu instid0(VALU_DEP_1)
	v_and_b32_e32 v0, 7, v85
; %bb.728:                              ;   in Loop: Header=BB329_419 Depth=1
	s_or_b32 exec_lo, exec_lo, s15
	v_lshlrev_b32_e32 v14, 8, v14
	v_lshl_add_u32 v84, v84, 10, 0x2000
	s_delay_alu instid0(VALU_DEP_1) | instskip(NEXT) | instid1(VALU_DEP_1)
	v_and_or_b32 v14, 0x8000, v14, v84
	v_lshl_or_b32 v0, v0, 7, v14
	s_delay_alu instid0(VALU_DEP_1)
	v_cvt_f32_f16_e32 v84, v0
.LBB329_729:                            ;   in Loop: Header=BB329_419 Depth=1
	s_or_b32 exec_lo, exec_lo, s13
.LBB329_730:                            ;   in Loop: Header=BB329_419 Depth=1
	s_delay_alu instid0(SALU_CYCLE_1)
	s_or_b32 exec_lo, exec_lo, s12
.LBB329_731:                            ;   in Loop: Header=BB329_419 Depth=1
	s_delay_alu instid0(SALU_CYCLE_1) | instskip(SKIP_3) | instid1(VALU_DEP_2)
	s_or_b32 exec_lo, exec_lo, s10
	v_lshrrev_b32_e32 v86, 16, v12
	v_mov_b32_e32 v14, 0
	s_mov_b32 s10, exec_lo
	v_dual_mov_b32 v85, 0 :: v_dual_and_b32 v0, 0xff, v86
	s_delay_alu instid0(VALU_DEP_1)
	v_cmpx_ne_u16_e32 0, v0
	s_cbranch_execz .LBB329_739
; %bb.732:                              ;   in Loop: Header=BB329_419 Depth=1
	v_bfrev_b32_e32 v14, 1
	s_mov_b32 s12, exec_lo
	v_cmpx_ne_u16_e32 0x80, v0
	s_cbranch_execz .LBB329_738
; %bb.733:                              ;   in Loop: Header=BB329_419 Depth=1
	v_bfe_u32 v87, v12, 16, 7
	v_mov_b32_e32 v14, 0x7fc02000
	s_mov_b32 s13, exec_lo
	s_delay_alu instid0(VALU_DEP_2)
	v_cmpx_ne_u32_e32 0x7f, v87
	s_cbranch_execz .LBB329_737
; %bb.734:                              ;   in Loop: Header=BB329_419 Depth=1
	v_and_b32_e32 v0, 7, v86
	v_lshrrev_b32_e32 v14, 3, v87
	s_mov_b32 s15, exec_lo
	v_cmpx_gt_u32_e32 8, v87
; %bb.735:                              ;   in Loop: Header=BB329_419 Depth=1
	s_delay_alu instid0(VALU_DEP_3) | instskip(NEXT) | instid1(VALU_DEP_1)
	v_clz_i32_u32_e32 v14, v0
	v_min_u32_e32 v14, 32, v14
	s_delay_alu instid0(VALU_DEP_1) | instskip(SKIP_1) | instid1(VALU_DEP_2)
	v_subrev_nc_u32_e32 v87, 28, v14
	v_sub_nc_u32_e32 v14, 29, v14
	v_lshlrev_b64 v[96:97], v87, v[0:1]
	s_delay_alu instid0(VALU_DEP_1)
	v_and_b32_e32 v0, 7, v96
; %bb.736:                              ;   in Loop: Header=BB329_419 Depth=1
	s_or_b32 exec_lo, exec_lo, s15
	v_lshlrev_b32_e32 v86, 8, v86
	v_lshl_add_u32 v14, v14, 10, 0x2000
	s_delay_alu instid0(VALU_DEP_1) | instskip(NEXT) | instid1(VALU_DEP_1)
	v_and_or_b32 v14, 0x8000, v86, v14
	v_lshl_or_b32 v0, v0, 7, v14
	s_delay_alu instid0(VALU_DEP_1)
	v_cvt_f32_f16_e32 v14, v0
.LBB329_737:                            ;   in Loop: Header=BB329_419 Depth=1
	s_or_b32 exec_lo, exec_lo, s13
.LBB329_738:                            ;   in Loop: Header=BB329_419 Depth=1
	s_delay_alu instid0(SALU_CYCLE_1)
	s_or_b32 exec_lo, exec_lo, s12
.LBB329_739:                            ;   in Loop: Header=BB329_419 Depth=1
	s_delay_alu instid0(SALU_CYCLE_1) | instskip(NEXT) | instid1(SALU_CYCLE_1)
	s_or_b32 exec_lo, exec_lo, s10
	s_mov_b32 s10, exec_lo
	v_cmpx_lt_u64_e64 s[8:9], v[11:12]
	s_cbranch_execz .LBB329_747
; %bb.740:                              ;   in Loop: Header=BB329_419 Depth=1
	v_lshrrev_b32_e32 v11, 24, v12
	v_bfrev_b32_e32 v85, 1
	s_mov_b32 s12, exec_lo
	s_delay_alu instid0(VALU_DEP_2)
	v_cmpx_ne_u32_e32 0x80, v11
	s_cbranch_execz .LBB329_746
; %bb.741:                              ;   in Loop: Header=BB329_419 Depth=1
	v_and_b32_e32 v86, 0x7f, v11
	v_mov_b32_e32 v85, 0x7fc02000
	s_mov_b32 s13, exec_lo
	s_delay_alu instid0(VALU_DEP_2)
	v_cmpx_ne_u32_e32 0x7f, v86
	s_cbranch_execz .LBB329_745
; %bb.742:                              ;   in Loop: Header=BB329_419 Depth=1
	v_and_b32_e32 v0, 7, v11
	v_lshrrev_b32_e32 v12, 3, v86
	s_mov_b32 s15, exec_lo
	v_cmpx_gt_u32_e32 8, v86
; %bb.743:                              ;   in Loop: Header=BB329_419 Depth=1
	s_delay_alu instid0(VALU_DEP_3) | instskip(NEXT) | instid1(VALU_DEP_1)
	v_clz_i32_u32_e32 v12, v0
	v_min_u32_e32 v12, 32, v12
	s_delay_alu instid0(VALU_DEP_1) | instskip(SKIP_1) | instid1(VALU_DEP_2)
	v_subrev_nc_u32_e32 v85, 28, v12
	v_sub_nc_u32_e32 v12, 29, v12
	v_lshlrev_b64 v[85:86], v85, v[0:1]
	s_delay_alu instid0(VALU_DEP_1)
	v_and_b32_e32 v0, 7, v85
; %bb.744:                              ;   in Loop: Header=BB329_419 Depth=1
	s_or_b32 exec_lo, exec_lo, s15
	v_lshlrev_b32_e32 v11, 8, v11
	v_lshl_add_u32 v12, v12, 10, 0x2000
	s_delay_alu instid0(VALU_DEP_1) | instskip(NEXT) | instid1(VALU_DEP_1)
	v_and_or_b32 v11, 0x8000, v11, v12
	v_lshl_or_b32 v0, v0, 7, v11
	s_delay_alu instid0(VALU_DEP_1)
	v_cvt_f32_f16_e32 v85, v0
.LBB329_745:                            ;   in Loop: Header=BB329_419 Depth=1
	s_or_b32 exec_lo, exec_lo, s13
.LBB329_746:                            ;   in Loop: Header=BB329_419 Depth=1
	s_delay_alu instid0(SALU_CYCLE_1)
	s_or_b32 exec_lo, exec_lo, s12
.LBB329_747:                            ;   in Loop: Header=BB329_419 Depth=1
	s_delay_alu instid0(SALU_CYCLE_1)
	s_or_b32 exec_lo, exec_lo, s10
	s_waitcnt vmcnt(0) lgkmcnt(0)
	v_fma_mixlo_f16 v12, v71, v81, 0
	v_fma_mixlo_f16 v0, v71, v83, 0
	;; [unrolled: 1-line block ×5, first 2 shown]
	v_lshlrev_b32_e32 v81, 16, v12
	v_fma_mixlo_f16 v13, v71, v13, 0
	v_fma_mixlo_f16 v83, v71, v85, 0
	;; [unrolled: 1-line block ×3, first 2 shown]
	v_lshlrev_b32_e32 v0, 16, v0
	v_and_b32_e32 v11, 0xffff, v11
	v_and_b32_e32 v14, 0xffff, v80
	v_lshlrev_b32_e32 v71, 16, v82
	v_and_b32_e32 v80, 0xffff, v13
	v_lshlrev_b32_e32 v82, 16, v83
	v_and_b32_e32 v83, 0xffff, v12
	v_or_b32_e32 v13, v0, v11
	v_or_b32_e32 v14, v81, v14
	;; [unrolled: 1-line block ×3, first 2 shown]
	s_delay_alu instid0(VALU_DEP_4)
	v_or_b32_e32 v11, v82, v83
	s_and_saveexec_b32 s10, vcc_lo
	s_cbranch_execz .LBB329_749
; %bb.748:                              ;   in Loop: Header=BB329_419 Depth=1
	v_cmp_lt_i32_e64 s0, v15, v32
	v_lshrrev_b32_e32 v71, 16, v14
	v_lshrrev_b32_e32 v80, 16, v13
	;; [unrolled: 1-line block ×4, first 2 shown]
	v_cndmask_b32_e64 v14, 0, v14, s0
	v_cmp_lt_i32_e64 s0, v50, v37
	s_delay_alu instid0(VALU_DEP_1) | instskip(SKIP_1) | instid1(VALU_DEP_2)
	v_cndmask_b32_e64 v71, 0, v71, s0
	v_cmp_lt_i32_e64 s0, v49, v37
	v_perm_b32 v14, v71, v14, 0x5040100
	s_delay_alu instid0(VALU_DEP_2) | instskip(SKIP_1) | instid1(VALU_DEP_1)
	v_cndmask_b32_e64 v80, 0, v80, s0
	v_cmp_lt_i32_e64 s0, v48, v32
	v_cndmask_b32_e64 v13, 0, v13, s0
	v_cmp_lt_i32_e64 s0, v39, v37
	s_delay_alu instid0(VALU_DEP_2) | instskip(NEXT) | instid1(VALU_DEP_2)
	v_perm_b32 v13, v80, v13, 0x5040100
	v_cndmask_b32_e64 v81, 0, v81, s0
	v_cmp_lt_i32_e64 s0, v38, v32
	s_delay_alu instid0(VALU_DEP_1) | instskip(SKIP_1) | instid1(VALU_DEP_2)
	v_cndmask_b32_e64 v0, 0, v0, s0
	v_cmp_lt_i32_e64 s0, v23, v37
	v_perm_b32 v0, v81, v0, 0x5040100
	s_delay_alu instid0(VALU_DEP_2) | instskip(SKIP_1) | instid1(VALU_DEP_1)
	v_cndmask_b32_e64 v11, 0, v11, s0
	v_cmp_lt_i32_e64 s0, v17, v32
	v_cndmask_b32_e64 v12, 0, v12, s0
	s_delay_alu instid0(VALU_DEP_1)
	v_perm_b32 v11, v11, v12, 0x5040100
.LBB329_749:                            ;   in Loop: Header=BB329_419 Depth=1
	s_or_b32 exec_lo, exec_lo, s10
	;;#ASMSTART
	v_pk_mul_f16 v12, v54, v14;

	;;#ASMEND
	;;#ASMSTART
	v_pk_mul_f16 v13, v53, v13;

	;;#ASMEND
	;; [unrolled: 4-line block ×4, first 2 shown]
	;;#ASMSTART
	v_pk_add_f16 v12, v12, v13;

	;;#ASMEND
	;;#ASMSTART
	v_pk_add_f16 v0, v12, v0;

	;;#ASMEND
	;; [unrolled: 4-line block ×3, first 2 shown]
	v_dual_mov_b32 v80, 0 :: v_dual_and_b32 v11, 0xffff, v0
	v_lshrrev_b32_e32 v0, 16, v0
	;;#ASMSTART
	v_cvt_f32_f16 v13, v11;
	;;#ASMEND
	;;#ASMSTART
	v_cvt_f32_f16 v14, v0;
	;;#ASMEND
	flat_load_b64 v[9:10], v[9:10] offset:1280
	flat_load_b32 v71, v[26:27]
	s_mov_b32 s10, exec_lo
	s_waitcnt vmcnt(1) lgkmcnt(1)
	v_dual_mov_b32 v81, 0 :: v_dual_and_b32 v0, 0xff, v9
	s_delay_alu instid0(VALU_DEP_1)
	v_cmpx_ne_u16_e32 0, v0
	s_cbranch_execz .LBB329_757
; %bb.750:                              ;   in Loop: Header=BB329_419 Depth=1
	v_bfrev_b32_e32 v80, 1
	s_mov_b32 s12, exec_lo
	v_cmpx_ne_u16_e32 0x80, v0
	s_cbranch_execz .LBB329_756
; %bb.751:                              ;   in Loop: Header=BB329_419 Depth=1
	v_and_b32_e32 v11, 0x7f, v9
	v_mov_b32_e32 v80, 0x7fc02000
	s_mov_b32 s13, exec_lo
	s_delay_alu instid0(VALU_DEP_2)
	v_cmpx_ne_u32_e32 0x7f, v11
	s_cbranch_execz .LBB329_755
; %bb.752:                              ;   in Loop: Header=BB329_419 Depth=1
	v_lshrrev_b32_e32 v0, 3, v11
	v_cmp_gt_u32_e64 s0, 8, v11
	v_dual_mov_b32 v12, v10 :: v_dual_mov_b32 v11, v9
	s_delay_alu instid0(VALU_DEP_2)
	s_and_saveexec_b32 s15, s0
; %bb.753:                              ;   in Loop: Header=BB329_419 Depth=1
	v_and_b32_e32 v0, 7, v9
	s_delay_alu instid0(VALU_DEP_1) | instskip(NEXT) | instid1(VALU_DEP_1)
	v_clz_i32_u32_e32 v0, v0
	v_min_u32_e32 v0, 32, v0
	s_delay_alu instid0(VALU_DEP_1) | instskip(SKIP_1) | instid1(VALU_DEP_2)
	v_subrev_nc_u32_e32 v11, 28, v0
	v_sub_nc_u32_e32 v0, 29, v0
	v_lshlrev_b64 v[11:12], v11, v[9:10]
; %bb.754:                              ;   in Loop: Header=BB329_419 Depth=1
	s_or_b32 exec_lo, exec_lo, s15
	v_lshlrev_b32_e32 v12, 8, v9
	s_delay_alu instid0(VALU_DEP_3) | instskip(NEXT) | instid1(VALU_DEP_3)
	v_lshl_add_u32 v0, v0, 10, 0x2000
	v_lshlrev_b32_e32 v11, 7, v11
	s_delay_alu instid0(VALU_DEP_2) | instskip(NEXT) | instid1(VALU_DEP_1)
	v_and_or_b32 v0, 0x8000, v12, v0
	v_and_or_b32 v0, 0x380, v11, v0
	s_delay_alu instid0(VALU_DEP_1)
	v_cvt_f32_f16_e32 v80, v0
.LBB329_755:                            ;   in Loop: Header=BB329_419 Depth=1
	s_or_b32 exec_lo, exec_lo, s13
.LBB329_756:                            ;   in Loop: Header=BB329_419 Depth=1
	s_delay_alu instid0(SALU_CYCLE_1)
	s_or_b32 exec_lo, exec_lo, s12
.LBB329_757:                            ;   in Loop: Header=BB329_419 Depth=1
	s_delay_alu instid0(SALU_CYCLE_1) | instskip(SKIP_2) | instid1(VALU_DEP_1)
	s_or_b32 exec_lo, exec_lo, s10
	v_lshrrev_b16 v0, 8, v9
	s_mov_b32 s10, exec_lo
	v_cmpx_ne_u16_e32 0, v0
	s_cbranch_execz .LBB329_765
; %bb.758:                              ;   in Loop: Header=BB329_419 Depth=1
	v_bfrev_b32_e32 v81, 1
	s_mov_b32 s12, exec_lo
	v_cmpx_ne_u16_e32 0x80, v0
	s_cbranch_execz .LBB329_764
; %bb.759:                              ;   in Loop: Header=BB329_419 Depth=1
	v_and_b32_e32 v11, 0xffff, v0
	v_mov_b32_e32 v81, 0x7fc02000
	s_mov_b32 s13, exec_lo
	s_delay_alu instid0(VALU_DEP_2) | instskip(NEXT) | instid1(VALU_DEP_1)
	v_and_b32_e32 v82, 0x7f, v11
	v_cmpx_ne_u32_e32 0x7f, v82
	s_cbranch_execz .LBB329_763
; %bb.760:                              ;   in Loop: Header=BB329_419 Depth=1
	v_and_b32_e32 v0, 7, v11
	v_lshrrev_b32_e32 v12, 3, v82
	s_mov_b32 s15, exec_lo
	v_cmpx_gt_u32_e32 8, v82
; %bb.761:                              ;   in Loop: Header=BB329_419 Depth=1
	s_delay_alu instid0(VALU_DEP_3) | instskip(NEXT) | instid1(VALU_DEP_1)
	v_clz_i32_u32_e32 v12, v0
	v_min_u32_e32 v12, 32, v12
	s_delay_alu instid0(VALU_DEP_1) | instskip(SKIP_1) | instid1(VALU_DEP_2)
	v_subrev_nc_u32_e32 v81, 28, v12
	v_sub_nc_u32_e32 v12, 29, v12
	v_lshlrev_b64 v[81:82], v81, v[0:1]
	s_delay_alu instid0(VALU_DEP_1)
	v_and_b32_e32 v0, 7, v81
; %bb.762:                              ;   in Loop: Header=BB329_419 Depth=1
	s_or_b32 exec_lo, exec_lo, s15
	v_lshlrev_b32_e32 v11, 8, v11
	v_lshl_add_u32 v12, v12, 10, 0x2000
	s_delay_alu instid0(VALU_DEP_1) | instskip(NEXT) | instid1(VALU_DEP_1)
	v_and_or_b32 v11, 0x8000, v11, v12
	v_lshl_or_b32 v0, v0, 7, v11
	s_delay_alu instid0(VALU_DEP_1)
	v_cvt_f32_f16_e32 v81, v0
.LBB329_763:                            ;   in Loop: Header=BB329_419 Depth=1
	s_or_b32 exec_lo, exec_lo, s13
.LBB329_764:                            ;   in Loop: Header=BB329_419 Depth=1
	s_delay_alu instid0(SALU_CYCLE_1)
	s_or_b32 exec_lo, exec_lo, s12
.LBB329_765:                            ;   in Loop: Header=BB329_419 Depth=1
	s_delay_alu instid0(SALU_CYCLE_1) | instskip(SKIP_3) | instid1(VALU_DEP_2)
	s_or_b32 exec_lo, exec_lo, s10
	v_lshrrev_b32_e32 v11, 16, v9
	v_mov_b32_e32 v82, 0
	s_mov_b32 s10, exec_lo
	v_dual_mov_b32 v83, 0 :: v_dual_and_b32 v0, 0xff, v11
	s_delay_alu instid0(VALU_DEP_1)
	v_cmpx_ne_u16_e32 0, v0
	s_cbranch_execz .LBB329_773
; %bb.766:                              ;   in Loop: Header=BB329_419 Depth=1
	v_bfrev_b32_e32 v82, 1
	s_mov_b32 s12, exec_lo
	v_cmpx_ne_u16_e32 0x80, v0
	s_cbranch_execz .LBB329_772
; %bb.767:                              ;   in Loop: Header=BB329_419 Depth=1
	v_bfe_u32 v84, v9, 16, 7
	v_mov_b32_e32 v82, 0x7fc02000
	s_mov_b32 s13, exec_lo
	s_delay_alu instid0(VALU_DEP_2)
	v_cmpx_ne_u32_e32 0x7f, v84
	s_cbranch_execz .LBB329_771
; %bb.768:                              ;   in Loop: Header=BB329_419 Depth=1
	v_and_b32_e32 v0, 7, v11
	v_lshrrev_b32_e32 v12, 3, v84
	s_mov_b32 s15, exec_lo
	v_cmpx_gt_u32_e32 8, v84
; %bb.769:                              ;   in Loop: Header=BB329_419 Depth=1
	s_delay_alu instid0(VALU_DEP_3) | instskip(NEXT) | instid1(VALU_DEP_1)
	v_clz_i32_u32_e32 v12, v0
	v_min_u32_e32 v12, 32, v12
	s_delay_alu instid0(VALU_DEP_1) | instskip(SKIP_1) | instid1(VALU_DEP_2)
	v_subrev_nc_u32_e32 v82, 28, v12
	v_sub_nc_u32_e32 v12, 29, v12
	v_lshlrev_b64 v[84:85], v82, v[0:1]
	s_delay_alu instid0(VALU_DEP_1)
	v_and_b32_e32 v0, 7, v84
; %bb.770:                              ;   in Loop: Header=BB329_419 Depth=1
	s_or_b32 exec_lo, exec_lo, s15
	v_lshlrev_b32_e32 v11, 8, v11
	v_lshl_add_u32 v12, v12, 10, 0x2000
	s_delay_alu instid0(VALU_DEP_1) | instskip(NEXT) | instid1(VALU_DEP_1)
	v_and_or_b32 v11, 0x8000, v11, v12
	v_lshl_or_b32 v0, v0, 7, v11
	s_delay_alu instid0(VALU_DEP_1)
	v_cvt_f32_f16_e32 v82, v0
.LBB329_771:                            ;   in Loop: Header=BB329_419 Depth=1
	s_or_b32 exec_lo, exec_lo, s13
.LBB329_772:                            ;   in Loop: Header=BB329_419 Depth=1
	s_delay_alu instid0(SALU_CYCLE_1)
	s_or_b32 exec_lo, exec_lo, s12
.LBB329_773:                            ;   in Loop: Header=BB329_419 Depth=1
	s_delay_alu instid0(SALU_CYCLE_1) | instskip(NEXT) | instid1(SALU_CYCLE_1)
	s_or_b32 exec_lo, exec_lo, s10
	s_mov_b32 s10, exec_lo
	v_cmpx_lt_u32_e32 0xffffff, v9
	s_cbranch_execz .LBB329_781
; %bb.774:                              ;   in Loop: Header=BB329_419 Depth=1
	v_lshrrev_b32_e32 v11, 24, v9
	v_bfrev_b32_e32 v83, 1
	s_mov_b32 s12, exec_lo
	s_delay_alu instid0(VALU_DEP_2)
	v_cmpx_ne_u32_e32 0x80, v11
	s_cbranch_execz .LBB329_780
; %bb.775:                              ;   in Loop: Header=BB329_419 Depth=1
	v_and_b32_e32 v84, 0x7f, v11
	v_mov_b32_e32 v83, 0x7fc02000
	s_mov_b32 s13, exec_lo
	s_delay_alu instid0(VALU_DEP_2)
	v_cmpx_ne_u32_e32 0x7f, v84
	s_cbranch_execz .LBB329_779
; %bb.776:                              ;   in Loop: Header=BB329_419 Depth=1
	v_and_b32_e32 v0, 7, v11
	v_lshrrev_b32_e32 v12, 3, v84
	s_mov_b32 s15, exec_lo
	v_cmpx_gt_u32_e32 8, v84
; %bb.777:                              ;   in Loop: Header=BB329_419 Depth=1
	s_delay_alu instid0(VALU_DEP_3) | instskip(NEXT) | instid1(VALU_DEP_1)
	v_clz_i32_u32_e32 v12, v0
	v_min_u32_e32 v12, 32, v12
	s_delay_alu instid0(VALU_DEP_1) | instskip(SKIP_1) | instid1(VALU_DEP_2)
	v_subrev_nc_u32_e32 v83, 28, v12
	v_sub_nc_u32_e32 v12, 29, v12
	v_lshlrev_b64 v[83:84], v83, v[0:1]
	s_delay_alu instid0(VALU_DEP_1)
	v_and_b32_e32 v0, 7, v83
; %bb.778:                              ;   in Loop: Header=BB329_419 Depth=1
	s_or_b32 exec_lo, exec_lo, s15
	v_lshlrev_b32_e32 v11, 8, v11
	v_lshl_add_u32 v12, v12, 10, 0x2000
	s_delay_alu instid0(VALU_DEP_1) | instskip(NEXT) | instid1(VALU_DEP_1)
	v_and_or_b32 v11, 0x8000, v11, v12
	v_lshl_or_b32 v0, v0, 7, v11
	s_delay_alu instid0(VALU_DEP_1)
	v_cvt_f32_f16_e32 v83, v0
.LBB329_779:                            ;   in Loop: Header=BB329_419 Depth=1
	s_or_b32 exec_lo, exec_lo, s13
.LBB329_780:                            ;   in Loop: Header=BB329_419 Depth=1
	s_delay_alu instid0(SALU_CYCLE_1)
	s_or_b32 exec_lo, exec_lo, s12
.LBB329_781:                            ;   in Loop: Header=BB329_419 Depth=1
	s_delay_alu instid0(SALU_CYCLE_1) | instskip(SKIP_4) | instid1(VALU_DEP_3)
	s_or_b32 exec_lo, exec_lo, s10
	v_dual_mov_b32 v11, 0 :: v_dual_and_b32 v12, 0xff, v10
	v_mov_b32_e32 v0, v10
	v_mov_b32_e32 v84, 0
	s_mov_b32 s10, exec_lo
	v_cmpx_ne_u16_e32 0, v12
	s_cbranch_execz .LBB329_789
; %bb.782:                              ;   in Loop: Header=BB329_419 Depth=1
	v_bfrev_b32_e32 v11, 1
	s_mov_b32 s12, exec_lo
	v_cmpx_ne_u16_e32 0x80, v12
	s_cbranch_execz .LBB329_788
; %bb.783:                              ;   in Loop: Header=BB329_419 Depth=1
	v_and_b32_e32 v12, 0x7f, v10
	v_mov_b32_e32 v11, 0x7fc02000
	s_mov_b32 s13, exec_lo
	s_delay_alu instid0(VALU_DEP_2)
	v_cmpx_ne_u32_e32 0x7f, v12
	s_cbranch_execz .LBB329_787
; %bb.784:                              ;   in Loop: Header=BB329_419 Depth=1
	v_lshrrev_b32_e32 v85, 3, v12
	v_cmp_gt_u32_e64 s0, 8, v12
	v_dual_mov_b32 v12, v1 :: v_dual_mov_b32 v11, v0
	s_delay_alu instid0(VALU_DEP_2)
	s_and_saveexec_b32 s15, s0
; %bb.785:                              ;   in Loop: Header=BB329_419 Depth=1
	v_and_b32_e32 v11, 7, v10
	s_delay_alu instid0(VALU_DEP_1) | instskip(NEXT) | instid1(VALU_DEP_1)
	v_clz_i32_u32_e32 v11, v11
	v_min_u32_e32 v85, 32, v11
	s_delay_alu instid0(VALU_DEP_1) | instskip(SKIP_1) | instid1(VALU_DEP_2)
	v_subrev_nc_u32_e32 v11, 28, v85
	v_sub_nc_u32_e32 v85, 29, v85
	v_lshlrev_b64 v[11:12], v11, v[0:1]
; %bb.786:                              ;   in Loop: Header=BB329_419 Depth=1
	s_or_b32 exec_lo, exec_lo, s15
	v_lshlrev_b32_e32 v12, 8, v10
	s_delay_alu instid0(VALU_DEP_3) | instskip(NEXT) | instid1(VALU_DEP_3)
	v_lshl_add_u32 v85, v85, 10, 0x2000
	v_lshlrev_b32_e32 v11, 7, v11
	s_delay_alu instid0(VALU_DEP_2) | instskip(NEXT) | instid1(VALU_DEP_1)
	v_and_or_b32 v12, 0x8000, v12, v85
	v_and_or_b32 v11, 0x380, v11, v12
	s_delay_alu instid0(VALU_DEP_1)
	v_cvt_f32_f16_e32 v11, v11
.LBB329_787:                            ;   in Loop: Header=BB329_419 Depth=1
	s_or_b32 exec_lo, exec_lo, s13
.LBB329_788:                            ;   in Loop: Header=BB329_419 Depth=1
	s_delay_alu instid0(SALU_CYCLE_1)
	s_or_b32 exec_lo, exec_lo, s12
.LBB329_789:                            ;   in Loop: Header=BB329_419 Depth=1
	s_delay_alu instid0(SALU_CYCLE_1) | instskip(SKIP_2) | instid1(VALU_DEP_1)
	s_or_b32 exec_lo, exec_lo, s10
	v_lshrrev_b16 v0, 8, v0
	s_mov_b32 s10, exec_lo
	v_cmpx_ne_u16_e32 0, v0
	s_cbranch_execz .LBB329_797
; %bb.790:                              ;   in Loop: Header=BB329_419 Depth=1
	v_bfrev_b32_e32 v84, 1
	s_mov_b32 s12, exec_lo
	v_cmpx_ne_u16_e32 0x80, v0
	s_cbranch_execz .LBB329_796
; %bb.791:                              ;   in Loop: Header=BB329_419 Depth=1
	v_and_b32_e32 v12, 0xffff, v0
	v_mov_b32_e32 v84, 0x7fc02000
	s_mov_b32 s13, exec_lo
	s_delay_alu instid0(VALU_DEP_2) | instskip(NEXT) | instid1(VALU_DEP_1)
	v_and_b32_e32 v85, 0x7f, v12
	v_cmpx_ne_u32_e32 0x7f, v85
	s_cbranch_execz .LBB329_795
; %bb.792:                              ;   in Loop: Header=BB329_419 Depth=1
	v_and_b32_e32 v0, 7, v12
	v_lshrrev_b32_e32 v84, 3, v85
	s_mov_b32 s15, exec_lo
	v_cmpx_gt_u32_e32 8, v85
; %bb.793:                              ;   in Loop: Header=BB329_419 Depth=1
	s_delay_alu instid0(VALU_DEP_3) | instskip(NEXT) | instid1(VALU_DEP_1)
	v_clz_i32_u32_e32 v84, v0
	v_min_u32_e32 v84, 32, v84
	s_delay_alu instid0(VALU_DEP_1) | instskip(SKIP_1) | instid1(VALU_DEP_2)
	v_subrev_nc_u32_e32 v85, 28, v84
	v_sub_nc_u32_e32 v84, 29, v84
	v_lshlrev_b64 v[85:86], v85, v[0:1]
	s_delay_alu instid0(VALU_DEP_1)
	v_and_b32_e32 v0, 7, v85
; %bb.794:                              ;   in Loop: Header=BB329_419 Depth=1
	s_or_b32 exec_lo, exec_lo, s15
	v_lshlrev_b32_e32 v12, 8, v12
	v_lshl_add_u32 v84, v84, 10, 0x2000
	s_delay_alu instid0(VALU_DEP_1) | instskip(NEXT) | instid1(VALU_DEP_1)
	v_and_or_b32 v12, 0x8000, v12, v84
	v_lshl_or_b32 v0, v0, 7, v12
	s_delay_alu instid0(VALU_DEP_1)
	v_cvt_f32_f16_e32 v84, v0
.LBB329_795:                            ;   in Loop: Header=BB329_419 Depth=1
	s_or_b32 exec_lo, exec_lo, s13
.LBB329_796:                            ;   in Loop: Header=BB329_419 Depth=1
	s_delay_alu instid0(SALU_CYCLE_1)
	s_or_b32 exec_lo, exec_lo, s12
.LBB329_797:                            ;   in Loop: Header=BB329_419 Depth=1
	s_delay_alu instid0(SALU_CYCLE_1) | instskip(SKIP_3) | instid1(VALU_DEP_2)
	s_or_b32 exec_lo, exec_lo, s10
	v_lshrrev_b32_e32 v86, 16, v10
	v_mov_b32_e32 v12, 0
	s_mov_b32 s10, exec_lo
	v_dual_mov_b32 v85, 0 :: v_dual_and_b32 v0, 0xff, v86
	s_delay_alu instid0(VALU_DEP_1)
	v_cmpx_ne_u16_e32 0, v0
	s_cbranch_execz .LBB329_805
; %bb.798:                              ;   in Loop: Header=BB329_419 Depth=1
	v_bfrev_b32_e32 v12, 1
	s_mov_b32 s12, exec_lo
	v_cmpx_ne_u16_e32 0x80, v0
	s_cbranch_execz .LBB329_804
; %bb.799:                              ;   in Loop: Header=BB329_419 Depth=1
	v_bfe_u32 v87, v10, 16, 7
	v_mov_b32_e32 v12, 0x7fc02000
	s_mov_b32 s13, exec_lo
	s_delay_alu instid0(VALU_DEP_2)
	v_cmpx_ne_u32_e32 0x7f, v87
	s_cbranch_execz .LBB329_803
; %bb.800:                              ;   in Loop: Header=BB329_419 Depth=1
	v_and_b32_e32 v0, 7, v86
	v_lshrrev_b32_e32 v12, 3, v87
	s_mov_b32 s15, exec_lo
	v_cmpx_gt_u32_e32 8, v87
; %bb.801:                              ;   in Loop: Header=BB329_419 Depth=1
	s_delay_alu instid0(VALU_DEP_3) | instskip(NEXT) | instid1(VALU_DEP_1)
	v_clz_i32_u32_e32 v12, v0
	v_min_u32_e32 v12, 32, v12
	s_delay_alu instid0(VALU_DEP_1) | instskip(SKIP_1) | instid1(VALU_DEP_2)
	v_subrev_nc_u32_e32 v87, 28, v12
	v_sub_nc_u32_e32 v12, 29, v12
	v_lshlrev_b64 v[96:97], v87, v[0:1]
	s_delay_alu instid0(VALU_DEP_1)
	v_and_b32_e32 v0, 7, v96
; %bb.802:                              ;   in Loop: Header=BB329_419 Depth=1
	s_or_b32 exec_lo, exec_lo, s15
	v_lshlrev_b32_e32 v86, 8, v86
	v_lshl_add_u32 v12, v12, 10, 0x2000
	s_delay_alu instid0(VALU_DEP_1) | instskip(NEXT) | instid1(VALU_DEP_1)
	v_and_or_b32 v12, 0x8000, v86, v12
	v_lshl_or_b32 v0, v0, 7, v12
	s_delay_alu instid0(VALU_DEP_1)
	v_cvt_f32_f16_e32 v12, v0
.LBB329_803:                            ;   in Loop: Header=BB329_419 Depth=1
	s_or_b32 exec_lo, exec_lo, s13
.LBB329_804:                            ;   in Loop: Header=BB329_419 Depth=1
	s_delay_alu instid0(SALU_CYCLE_1)
	s_or_b32 exec_lo, exec_lo, s12
.LBB329_805:                            ;   in Loop: Header=BB329_419 Depth=1
	s_delay_alu instid0(SALU_CYCLE_1) | instskip(NEXT) | instid1(SALU_CYCLE_1)
	s_or_b32 exec_lo, exec_lo, s10
	s_mov_b32 s10, exec_lo
	v_cmpx_lt_u64_e64 s[8:9], v[9:10]
	s_cbranch_execz .LBB329_813
; %bb.806:                              ;   in Loop: Header=BB329_419 Depth=1
	v_lshrrev_b32_e32 v9, 24, v10
	v_bfrev_b32_e32 v85, 1
	s_mov_b32 s12, exec_lo
	s_delay_alu instid0(VALU_DEP_2)
	v_cmpx_ne_u32_e32 0x80, v9
	s_cbranch_execz .LBB329_812
; %bb.807:                              ;   in Loop: Header=BB329_419 Depth=1
	v_and_b32_e32 v86, 0x7f, v9
	v_mov_b32_e32 v85, 0x7fc02000
	s_mov_b32 s13, exec_lo
	s_delay_alu instid0(VALU_DEP_2)
	v_cmpx_ne_u32_e32 0x7f, v86
	s_cbranch_execz .LBB329_811
; %bb.808:                              ;   in Loop: Header=BB329_419 Depth=1
	v_and_b32_e32 v0, 7, v9
	v_lshrrev_b32_e32 v10, 3, v86
	s_mov_b32 s15, exec_lo
	v_cmpx_gt_u32_e32 8, v86
; %bb.809:                              ;   in Loop: Header=BB329_419 Depth=1
	s_delay_alu instid0(VALU_DEP_3) | instskip(NEXT) | instid1(VALU_DEP_1)
	v_clz_i32_u32_e32 v10, v0
	v_min_u32_e32 v10, 32, v10
	s_delay_alu instid0(VALU_DEP_1) | instskip(SKIP_1) | instid1(VALU_DEP_2)
	v_subrev_nc_u32_e32 v85, 28, v10
	v_sub_nc_u32_e32 v10, 29, v10
	v_lshlrev_b64 v[85:86], v85, v[0:1]
	s_delay_alu instid0(VALU_DEP_1)
	v_and_b32_e32 v0, 7, v85
; %bb.810:                              ;   in Loop: Header=BB329_419 Depth=1
	s_or_b32 exec_lo, exec_lo, s15
	v_lshlrev_b32_e32 v9, 8, v9
	v_lshl_add_u32 v10, v10, 10, 0x2000
	s_delay_alu instid0(VALU_DEP_1) | instskip(NEXT) | instid1(VALU_DEP_1)
	v_and_or_b32 v9, 0x8000, v9, v10
	v_lshl_or_b32 v0, v0, 7, v9
	s_delay_alu instid0(VALU_DEP_1)
	v_cvt_f32_f16_e32 v85, v0
.LBB329_811:                            ;   in Loop: Header=BB329_419 Depth=1
	s_or_b32 exec_lo, exec_lo, s13
.LBB329_812:                            ;   in Loop: Header=BB329_419 Depth=1
	s_delay_alu instid0(SALU_CYCLE_1)
	s_or_b32 exec_lo, exec_lo, s12
.LBB329_813:                            ;   in Loop: Header=BB329_419 Depth=1
	s_delay_alu instid0(SALU_CYCLE_1)
	s_or_b32 exec_lo, exec_lo, s10
	s_waitcnt vmcnt(0) lgkmcnt(0)
	v_fma_mixlo_f16 v10, v71, v81, 0
	v_fma_mixlo_f16 v0, v71, v83, 0
	;; [unrolled: 1-line block ×5, first 2 shown]
	v_lshlrev_b32_e32 v81, 16, v10
	v_fma_mixlo_f16 v10, v71, v80, 0
	v_fma_mixlo_f16 v80, v71, v84, 0
	;; [unrolled: 1-line block ×3, first 2 shown]
	v_lshlrev_b32_e32 v0, 16, v0
	v_and_b32_e32 v9, 0xffff, v9
	v_and_b32_e32 v12, 0xffff, v10
	v_lshlrev_b32_e32 v71, 16, v80
	v_and_b32_e32 v80, 0xffff, v82
	v_lshlrev_b32_e32 v82, 16, v83
	v_and_b32_e32 v83, 0xffff, v11
	v_or_b32_e32 v10, v0, v9
	v_or_b32_e32 v12, v81, v12
	;; [unrolled: 1-line block ×3, first 2 shown]
	s_delay_alu instid0(VALU_DEP_4)
	v_or_b32_e32 v9, v82, v83
	s_and_saveexec_b32 s0, vcc_lo
	s_cbranch_execz .LBB329_418
; %bb.814:                              ;   in Loop: Header=BB329_419 Depth=1
	v_cmp_lt_i32_e32 vcc_lo, v15, v32
	v_lshrrev_b32_e32 v71, 16, v12
	v_lshrrev_b32_e32 v80, 16, v10
	;; [unrolled: 1-line block ×3, first 2 shown]
	v_cndmask_b32_e32 v12, 0, v12, vcc_lo
	v_cmp_lt_i32_e32 vcc_lo, v50, v37
	v_cndmask_b32_e32 v50, 0, v71, vcc_lo
	v_cmp_lt_i32_e32 vcc_lo, v49, v37
	v_lshrrev_b32_e32 v71, 16, v0
	v_cndmask_b32_e32 v49, 0, v80, vcc_lo
	v_cmp_lt_i32_e32 vcc_lo, v48, v32
	v_cndmask_b32_e32 v10, 0, v10, vcc_lo
	v_cmp_lt_i32_e32 vcc_lo, v39, v37
	;; [unrolled: 2-line block ×3, first 2 shown]
	v_perm_b32 v12, v50, v12, 0x5040100
	v_cndmask_b32_e32 v0, 0, v0, vcc_lo
	v_cmp_lt_i32_e32 vcc_lo, v23, v37
	v_cndmask_b32_e32 v9, 0, v9, vcc_lo
	v_cmp_lt_i32_e32 vcc_lo, v17, v32
	v_perm_b32 v10, v49, v10, 0x5040100
	v_cndmask_b32_e32 v11, 0, v11, vcc_lo
	v_perm_b32 v0, v39, v0, 0x5040100
	s_delay_alu instid0(VALU_DEP_2)
	v_perm_b32 v9, v9, v11, 0x5040100
	s_branch .LBB329_418
.LBB329_815:
	s_or_b32 exec_lo, exec_lo, s5
	v_dual_mov_b32 v0, s6 :: v_dual_mov_b32 v1, s7
.LBB329_816:
	s_or_b32 exec_lo, exec_lo, s3
	s_delay_alu instid0(VALU_DEP_1)
	v_lshlrev_b64 v[0:1], 2, v[0:1]
	s_getpc_b64 s[6:7]
	s_add_u32 s6, s6, llvm.amdgcn.dynlds.offset.table@rel32@lo+4
	s_addc_u32 s7, s7, llvm.amdgcn.dynlds.offset.table@rel32@hi+12
	s_waitcnt lgkmcnt(0)
	s_waitcnt_vscnt null, 0x0
	s_barrier
	buffer_gl0_inv
	ds_bpermute_b32 v2, v19, v28
	v_add_co_u32 v0, vcc_lo, v0, s6
	v_add_co_ci_u32_e32 v1, vcc_lo, s7, v1, vcc_lo
	ds_bpermute_b32 v10, v19, v25
	ds_bpermute_b32 v11, v19, v24
	;; [unrolled: 1-line block ×3, first 2 shown]
	global_load_b32 v9, v[0:1], off
	ds_bpermute_b32 v0, v19, v20
	ds_bpermute_b32 v1, v19, v29
	v_and_b32_e32 v3, 0x3c1, v31
	v_lshrrev_b32_e32 v8, 1, v18
	s_waitcnt lgkmcnt(0)
	v_dual_add_f32 v7, v20, v0 :: v_dual_add_f32 v6, v29, v1
	s_delay_alu instid0(VALU_DEP_3)
	v_cmp_eq_u32_e32 vcc_lo, 64, v3
	v_dual_add_f32 v3, v28, v2 :: v_dual_add_f32 v0, v21, v12
	v_dual_add_f32 v2, v25, v10 :: v_dual_add_f32 v1, v24, v11
	v_lshlrev_b32_e32 v10, 2, v8
	s_waitcnt vmcnt(0)
	v_mad_u32_u24 v9, 0x180, v34, v9
	s_and_saveexec_b32 s0, vcc_lo
	s_cbranch_execz .LBB329_818
; %bb.817:
	s_delay_alu instid0(VALU_DEP_1)
	v_add3_u32 v11, v9, v10, 0xfffffd00
	ds_store_2addr_b32 v11, v7, v6 offset1:16
	ds_store_2addr_b32 v11, v3, v2 offset0:32 offset1:48
	ds_store_2addr_b32 v11, v1, v0 offset0:64 offset1:80
.LBB329_818:
	s_or_b32 exec_lo, exec_lo, s0
	v_cmp_eq_u32_e32 vcc_lo, 0, v33
	s_mov_b32 s3, exec_lo
	s_waitcnt lgkmcnt(0)
	s_barrier
	buffer_gl0_inv
	v_cmpx_gt_u32_e32 64, v31
	s_cbranch_execz .LBB329_827
; %bb.819:
	s_and_saveexec_b32 s0, vcc_lo
	s_cbranch_execnz .LBB329_841
; %bb.820:
	s_or_b32 exec_lo, exec_lo, s0
	s_and_saveexec_b32 s0, vcc_lo
	s_cbranch_execnz .LBB329_842
.LBB329_821:
	s_or_b32 exec_lo, exec_lo, s0
	s_and_saveexec_b32 s0, vcc_lo
	s_cbranch_execnz .LBB329_843
.LBB329_822:
	s_or_b32 exec_lo, exec_lo, s0
	s_and_saveexec_b32 s0, vcc_lo
	s_cbranch_execnz .LBB329_844
.LBB329_823:
	s_or_b32 exec_lo, exec_lo, s0
	s_and_saveexec_b32 s0, vcc_lo
	s_cbranch_execnz .LBB329_845
.LBB329_824:
	s_or_b32 exec_lo, exec_lo, s0
	s_and_saveexec_b32 s0, vcc_lo
	s_cbranch_execz .LBB329_826
.LBB329_825:
	v_lshl_add_u32 v11, v8, 2, v9
	ds_load_b32 v11, v11 offset:320
	s_waitcnt lgkmcnt(0)
	v_add_f32_e32 v0, v0, v11
.LBB329_826:
	s_or_b32 exec_lo, exec_lo, s0
.LBB329_827:
	s_delay_alu instid0(SALU_CYCLE_1)
	s_or_b32 exec_lo, exec_lo, s3
	v_and_b32_e32 v11, 0x3e1, v31
	s_mov_b32 s3, exec_lo
	s_barrier
	buffer_gl0_inv
	v_cmpx_eq_u32_e32 32, v11
	s_cbranch_execz .LBB329_829
; %bb.828:
	v_add3_u32 v10, v9, v10, 0xfffffe80
	ds_store_2addr_b32 v10, v7, v6 offset1:16
	ds_store_2addr_b32 v10, v3, v2 offset0:32 offset1:48
	ds_store_2addr_b32 v10, v1, v0 offset0:64 offset1:80
.LBB329_829:
	s_or_b32 exec_lo, exec_lo, s3
	s_delay_alu instid0(SALU_CYCLE_1)
	s_mov_b32 s3, exec_lo
	s_waitcnt lgkmcnt(0)
	s_barrier
	buffer_gl0_inv
	v_cmpx_gt_u32_e32 32, v31
	s_cbranch_execz .LBB329_838
; %bb.830:
	v_lshl_add_u32 v8, v8, 2, v9
	s_and_saveexec_b32 s0, vcc_lo
	s_cbranch_execnz .LBB329_846
; %bb.831:
	s_or_b32 exec_lo, exec_lo, s0
	s_and_saveexec_b32 s0, vcc_lo
	s_cbranch_execnz .LBB329_847
.LBB329_832:
	s_or_b32 exec_lo, exec_lo, s0
	s_and_saveexec_b32 s0, vcc_lo
	s_cbranch_execnz .LBB329_848
.LBB329_833:
	s_or_b32 exec_lo, exec_lo, s0
	s_and_saveexec_b32 s0, vcc_lo
	s_cbranch_execnz .LBB329_849
.LBB329_834:
	s_or_b32 exec_lo, exec_lo, s0
	s_and_saveexec_b32 s0, vcc_lo
	s_cbranch_execnz .LBB329_850
.LBB329_835:
	s_or_b32 exec_lo, exec_lo, s0
	s_and_saveexec_b32 s0, vcc_lo
	s_cbranch_execz .LBB329_837
.LBB329_836:
	ds_load_b32 v8, v8 offset:320
	s_waitcnt lgkmcnt(0)
	v_add_f32_e32 v0, v0, v8
.LBB329_837:
	s_or_b32 exec_lo, exec_lo, s0
.LBB329_838:
	s_delay_alu instid0(SALU_CYCLE_1)
	s_or_b32 exec_lo, exec_lo, s3
	v_cmp_eq_u32_e32 vcc_lo, 0, v11
	s_barrier
	buffer_gl0_inv
	s_and_b32 exec_lo, exec_lo, vcc_lo
	s_cbranch_execz .LBB329_840
; %bb.839:
	s_mul_i32 s0, s2, 0x60
	s_mul_i32 s2, s4, s1
	;; [unrolled: 1-line block ×3, first 2 shown]
	s_ashr_i32 s3, s2, 31
	s_ashr_i32 s5, s4, 31
	;; [unrolled: 1-line block ×3, first 2 shown]
	s_lshl_b64 s[2:3], s[2:3], 1
	s_lshl_b64 s[4:5], s[4:5], 1
	;; [unrolled: 1-line block ×3, first 2 shown]
	s_add_u32 s2, s4, s2
	s_addc_u32 s3, s5, s3
	s_add_u32 s0, s2, s0
	s_addc_u32 s1, s3, s1
	v_lshlrev_b32_e32 v8, 1, v30
	v_add_co_u32 v4, vcc_lo, s0, v4
	v_add_co_ci_u32_e32 v5, vcc_lo, s1, v5, vcc_lo
	;;#ASMSTART
	v_cvt_f16_f32 v7, v7;

	;;#ASMEND
	s_delay_alu instid0(VALU_DEP_2) | instskip(NEXT) | instid1(VALU_DEP_2)
	v_add_co_u32 v4, vcc_lo, v4, v8
	v_add_co_ci_u32_e32 v5, vcc_lo, 0, v5, vcc_lo
	flat_store_b16 v[4:5], v7
	;;#ASMSTART
	v_cvt_f16_f32 v6, v6;

	;;#ASMEND
	flat_store_b16 v[4:5], v6 offset:32
	;;#ASMSTART
	v_cvt_f16_f32 v3, v3;

	;;#ASMEND
	flat_store_b16 v[4:5], v3 offset:64
	;; [unrolled: 5-line block ×5, first 2 shown]
.LBB329_840:
	s_or_b32 exec_lo, exec_lo, s11
	s_waitcnt lgkmcnt(0)
	s_setpc_b64 s[30:31]
.LBB329_841:
	v_lshl_add_u32 v11, v8, 2, v9
	ds_load_b32 v11, v11
	s_waitcnt lgkmcnt(0)
	v_add_f32_e32 v7, v7, v11
	s_or_b32 exec_lo, exec_lo, s0
	s_and_saveexec_b32 s0, vcc_lo
	s_cbranch_execz .LBB329_821
.LBB329_842:
	v_lshl_add_u32 v11, v8, 2, v9
	ds_load_b32 v11, v11 offset:64
	s_waitcnt lgkmcnt(0)
	v_add_f32_e32 v6, v6, v11
	s_or_b32 exec_lo, exec_lo, s0
	s_and_saveexec_b32 s0, vcc_lo
	s_cbranch_execz .LBB329_822
.LBB329_843:
	v_lshl_add_u32 v11, v8, 2, v9
	ds_load_b32 v11, v11 offset:128
	s_waitcnt lgkmcnt(0)
	v_add_f32_e32 v3, v3, v11
	s_or_b32 exec_lo, exec_lo, s0
	s_and_saveexec_b32 s0, vcc_lo
	s_cbranch_execz .LBB329_823
.LBB329_844:
	v_lshl_add_u32 v11, v8, 2, v9
	ds_load_b32 v11, v11 offset:192
	s_waitcnt lgkmcnt(0)
	v_add_f32_e32 v2, v2, v11
	s_or_b32 exec_lo, exec_lo, s0
	s_and_saveexec_b32 s0, vcc_lo
	s_cbranch_execz .LBB329_824
.LBB329_845:
	v_lshl_add_u32 v11, v8, 2, v9
	ds_load_b32 v11, v11 offset:256
	s_waitcnt lgkmcnt(0)
	v_add_f32_e32 v1, v1, v11
	s_or_b32 exec_lo, exec_lo, s0
	s_and_saveexec_b32 s0, vcc_lo
	s_cbranch_execnz .LBB329_825
	s_branch .LBB329_826
.LBB329_846:
	ds_load_b32 v9, v8
	s_waitcnt lgkmcnt(0)
	v_add_f32_e32 v7, v7, v9
	s_or_b32 exec_lo, exec_lo, s0
	s_and_saveexec_b32 s0, vcc_lo
	s_cbranch_execz .LBB329_832
.LBB329_847:
	ds_load_b32 v9, v8 offset:64
	s_waitcnt lgkmcnt(0)
	v_add_f32_e32 v6, v6, v9
	s_or_b32 exec_lo, exec_lo, s0
	s_and_saveexec_b32 s0, vcc_lo
	s_cbranch_execz .LBB329_833
.LBB329_848:
	ds_load_b32 v9, v8 offset:128
	s_waitcnt lgkmcnt(0)
	v_add_f32_e32 v3, v3, v9
	s_or_b32 exec_lo, exec_lo, s0
	s_and_saveexec_b32 s0, vcc_lo
	s_cbranch_execz .LBB329_834
.LBB329_849:
	ds_load_b32 v9, v8 offset:192
	s_waitcnt lgkmcnt(0)
	v_add_f32_e32 v2, v2, v9
	s_or_b32 exec_lo, exec_lo, s0
	s_and_saveexec_b32 s0, vcc_lo
	s_cbranch_execz .LBB329_835
.LBB329_850:
	ds_load_b32 v9, v8 offset:256
	s_waitcnt lgkmcnt(0)
	v_add_f32_e32 v1, v1, v9
	s_or_b32 exec_lo, exec_lo, s0
	s_and_saveexec_b32 s0, vcc_lo
	s_cbranch_execnz .LBB329_836
	s_branch .LBB329_837
.Lfunc_end329:
	.size	_ZN4vllm22paged_attention_kernelIthLi96ELi16ELi128ELNS_18Fp8KVCacheDataTypeE1ELb0ELi512EEEvPfS2_PT_PKS3_PKT0_S9_ifPKiSB_iPKfiiiSD_SD_iiiii, .Lfunc_end329-_ZN4vllm22paged_attention_kernelIthLi96ELi16ELi128ELNS_18Fp8KVCacheDataTypeE1ELb0ELi512EEEvPfS2_PT_PKS3_PKT0_S9_ifPKiSB_iPKfiiiSD_SD_iiiii
                                        ; -- End function
	.section	.AMDGPU.csdata,"",@progbits
; Function info:
; codeLenInByte = 32092
; NumSgprs: 34
; NumVgprs: 166
; ScratchSize: 0
; MemoryBound: 0
	.section	.text._ZN4vllm25paged_attention_v2_kernelIthLi96ELi16ELi128ELNS_18Fp8KVCacheDataTypeE1ELb0ELi512EEEvPfS2_PT_PKS3_PKT0_S9_ifPKiSB_iPKfiiiSD_SD_iiiii,"axG",@progbits,_ZN4vllm25paged_attention_v2_kernelIthLi96ELi16ELi128ELNS_18Fp8KVCacheDataTypeE1ELb0ELi512EEEvPfS2_PT_PKS3_PKT0_S9_ifPKiSB_iPKfiiiSD_SD_iiiii,comdat
	.protected	_ZN4vllm25paged_attention_v2_kernelIthLi96ELi16ELi128ELNS_18Fp8KVCacheDataTypeE1ELb0ELi512EEEvPfS2_PT_PKS3_PKT0_S9_ifPKiSB_iPKfiiiSD_SD_iiiii ; -- Begin function _ZN4vllm25paged_attention_v2_kernelIthLi96ELi16ELi128ELNS_18Fp8KVCacheDataTypeE1ELb0ELi512EEEvPfS2_PT_PKS3_PKT0_S9_ifPKiSB_iPKfiiiSD_SD_iiiii
	.globl	_ZN4vllm25paged_attention_v2_kernelIthLi96ELi16ELi128ELNS_18Fp8KVCacheDataTypeE1ELb0ELi512EEEvPfS2_PT_PKS3_PKT0_S9_ifPKiSB_iPKfiiiSD_SD_iiiii
	.p2align	8
	.type	_ZN4vllm25paged_attention_v2_kernelIthLi96ELi16ELi128ELNS_18Fp8KVCacheDataTypeE1ELb0ELi512EEEvPfS2_PT_PKS3_PKT0_S9_ifPKiSB_iPKfiiiSD_SD_iiiii,@function
_ZN4vllm25paged_attention_v2_kernelIthLi96ELi16ELi128ELNS_18Fp8KVCacheDataTypeE1ELb0ELi512EEEvPfS2_PT_PKS3_PKT0_S9_ifPKiSB_iPKfiiiSD_SD_iiiii: ; @_ZN4vllm25paged_attention_v2_kernelIthLi96ELi16ELi128ELNS_18Fp8KVCacheDataTypeE1ELb0ELi512EEEvPfS2_PT_PKS3_PKT0_S9_ifPKiSB_iPKfiiiSD_SD_iiiii
; %bb.0:
	s_clause 0x5
	s_load_b256 s[24:31], s[0:1], 0x0
	s_load_b256 s[16:23], s[0:1], 0x20
	s_load_b64 s[2:3], s[0:1], 0x40
	s_load_b64 s[4:5], s[0:1], 0x50
	s_load_b32 s6, s[0:1], 0x48
	s_load_b256 s[36:43], s[0:1], 0x58
	v_mov_b32_e32 v31, v0
	s_add_u32 s8, s0, 0x90
	s_mov_b32 s12, s13
	s_addc_u32 s9, s1, 0
	s_mov_b32 s13, s14
	s_mov_b32 s14, s15
	s_movk_i32 s15, 0x6f
	s_mov_b32 s32, 0
	s_getpc_b64 s[0:1]
	s_add_u32 s0, s0, _ZN4vllm22paged_attention_kernelIthLi96ELi16ELi128ELNS_18Fp8KVCacheDataTypeE1ELb0ELi512EEEvPfS2_PT_PKS3_PKT0_S9_ifPKiSB_iPKfiiiSD_SD_iiiii@rel32@lo+4
	s_addc_u32 s1, s1, _ZN4vllm22paged_attention_kernelIthLi96ELi16ELi128ELNS_18Fp8KVCacheDataTypeE1ELb0ELi512EEEvPfS2_PT_PKS3_PKT0_S9_ifPKiSB_iPKfiiiSD_SD_iiiii@rel32@hi+12
	s_waitcnt lgkmcnt(0)
	v_dual_mov_b32 v0, s24 :: v_dual_mov_b32 v1, s25
	v_dual_mov_b32 v2, s26 :: v_dual_mov_b32 v3, s27
	;; [unrolled: 1-line block ×14, first 2 shown]
	s_swappc_b64 s[30:31], s[0:1]
	s_endpgm
	.section	.rodata,"a",@progbits
	.p2align	6, 0x0
	.amdhsa_kernel _ZN4vllm25paged_attention_v2_kernelIthLi96ELi16ELi128ELNS_18Fp8KVCacheDataTypeE1ELb0ELi512EEEvPfS2_PT_PKS3_PKT0_S9_ifPKiSB_iPKfiiiSD_SD_iiiii
		.amdhsa_group_segment_fixed_size 224
		.amdhsa_private_segment_fixed_size 0
		.amdhsa_kernarg_size 400
		.amdhsa_user_sgpr_count 13
		.amdhsa_user_sgpr_dispatch_ptr 0
		.amdhsa_user_sgpr_queue_ptr 0
		.amdhsa_user_sgpr_kernarg_segment_ptr 1
		.amdhsa_user_sgpr_dispatch_id 0
		.amdhsa_user_sgpr_private_segment_size 0
		.amdhsa_wavefront_size32 1
		.amdhsa_uses_dynamic_stack 0
		.amdhsa_enable_private_segment 0
		.amdhsa_system_sgpr_workgroup_id_x 1
		.amdhsa_system_sgpr_workgroup_id_y 1
		.amdhsa_system_sgpr_workgroup_id_z 1
		.amdhsa_system_sgpr_workgroup_info 0
		.amdhsa_system_vgpr_workitem_id 0
		.amdhsa_next_free_vgpr 166
		.amdhsa_next_free_sgpr 44
		.amdhsa_reserve_vcc 1
		.amdhsa_float_round_mode_32 0
		.amdhsa_float_round_mode_16_64 0
		.amdhsa_float_denorm_mode_32 3
		.amdhsa_float_denorm_mode_16_64 3
		.amdhsa_dx10_clamp 1
		.amdhsa_ieee_mode 1
		.amdhsa_fp16_overflow 0
		.amdhsa_workgroup_processor_mode 1
		.amdhsa_memory_ordered 1
		.amdhsa_forward_progress 0
		.amdhsa_shared_vgpr_count 0
		.amdhsa_exception_fp_ieee_invalid_op 0
		.amdhsa_exception_fp_denorm_src 0
		.amdhsa_exception_fp_ieee_div_zero 0
		.amdhsa_exception_fp_ieee_overflow 0
		.amdhsa_exception_fp_ieee_underflow 0
		.amdhsa_exception_fp_ieee_inexact 0
		.amdhsa_exception_int_div_zero 0
	.end_amdhsa_kernel
	.section	.text._ZN4vllm25paged_attention_v2_kernelIthLi96ELi16ELi128ELNS_18Fp8KVCacheDataTypeE1ELb0ELi512EEEvPfS2_PT_PKS3_PKT0_S9_ifPKiSB_iPKfiiiSD_SD_iiiii,"axG",@progbits,_ZN4vllm25paged_attention_v2_kernelIthLi96ELi16ELi128ELNS_18Fp8KVCacheDataTypeE1ELb0ELi512EEEvPfS2_PT_PKS3_PKT0_S9_ifPKiSB_iPKfiiiSD_SD_iiiii,comdat
.Lfunc_end330:
	.size	_ZN4vllm25paged_attention_v2_kernelIthLi96ELi16ELi128ELNS_18Fp8KVCacheDataTypeE1ELb0ELi512EEEvPfS2_PT_PKS3_PKT0_S9_ifPKiSB_iPKfiiiSD_SD_iiiii, .Lfunc_end330-_ZN4vllm25paged_attention_v2_kernelIthLi96ELi16ELi128ELNS_18Fp8KVCacheDataTypeE1ELb0ELi512EEEvPfS2_PT_PKS3_PKT0_S9_ifPKiSB_iPKfiiiSD_SD_iiiii
                                        ; -- End function
	.section	.AMDGPU.csdata,"",@progbits
; Kernel info:
; codeLenInByte = 232
; NumSgprs: 46
; NumVgprs: 166
; ScratchSize: 0
; MemoryBound: 0
; FloatMode: 240
; IeeeMode: 1
; LDSByteSize: 224 bytes/workgroup (compile time only)
; SGPRBlocks: 5
; VGPRBlocks: 20
; NumSGPRsForWavesPerEU: 46
; NumVGPRsForWavesPerEU: 166
; Occupancy: 9
; WaveLimiterHint : 1
; COMPUTE_PGM_RSRC2:SCRATCH_EN: 0
; COMPUTE_PGM_RSRC2:USER_SGPR: 13
; COMPUTE_PGM_RSRC2:TRAP_HANDLER: 0
; COMPUTE_PGM_RSRC2:TGID_X_EN: 1
; COMPUTE_PGM_RSRC2:TGID_Y_EN: 1
; COMPUTE_PGM_RSRC2:TGID_Z_EN: 1
; COMPUTE_PGM_RSRC2:TIDIG_COMP_CNT: 0
	.text
	.p2align	2                               ; -- Begin function _ZN4vllm22paged_attention_kernelIthLi112ELi16ELi128ELNS_18Fp8KVCacheDataTypeE1ELb0ELi512EEEvPfS2_PT_PKS3_PKT0_S9_ifPKiSB_iPKfiiiSD_SD_iiiii
	.type	_ZN4vllm22paged_attention_kernelIthLi112ELi16ELi128ELNS_18Fp8KVCacheDataTypeE1ELb0ELi512EEEvPfS2_PT_PKS3_PKT0_S9_ifPKiSB_iPKfiiiSD_SD_iiiii,@function
_ZN4vllm22paged_attention_kernelIthLi112ELi16ELi128ELNS_18Fp8KVCacheDataTypeE1ELb0ELi512EEEvPfS2_PT_PKS3_PKT0_S9_ifPKiSB_iPKfiiiSD_SD_iiiii: ; @_ZN4vllm22paged_attention_kernelIthLi112ELi16ELi128ELNS_18Fp8KVCacheDataTypeE1ELb0ELi512EEEvPfS2_PT_PKS3_PKT0_S9_ifPKiSB_iPKfiiiSD_SD_iiiii
; %bb.0:
	s_waitcnt vmcnt(0) expcnt(0) lgkmcnt(0)
	s_mov_b32 s10, s13
	s_ashr_i32 s11, s13, 31
	s_lshl_b32 s16, s14, 9
	s_lshl_b64 s[0:1], s[10:11], 2
	s_mov_b32 s11, exec_lo
	v_add_co_u32 v16, vcc_lo, v16, s0
	v_add_co_ci_u32_e32 v17, vcc_lo, s1, v17, vcc_lo
	flat_load_b32 v33, v[16:17]
	s_waitcnt vmcnt(0) lgkmcnt(0)
	v_cmpx_lt_i32_e64 s16, v33
	s_cbranch_execz .LBB331_972
; %bb.1:
	v_sub_nc_u32_e32 v16, 0, v12
	s_clause 0x1
	s_load_b32 s0, s[8:9], 0x10
	s_load_b32 s1, s[8:9], 0x0
	s_mov_b32 s6, s15
	v_mov_b32_e32 v48, 0
	v_max_i32_e32 v16, v12, v16
	s_delay_alu instid0(VALU_DEP_1) | instskip(SKIP_1) | instid1(VALU_DEP_2)
	v_cvt_f32_u32_e32 v17, v16
	v_sub_nc_u32_e32 v28, 0, v16
	v_rcp_iflag_f32_e32 v17, v17
	s_waitcnt lgkmcnt(0)
	s_lshr_b32 s0, s0, 16
	s_delay_alu instid0(SALU_CYCLE_1) | instskip(SKIP_3) | instid1(SALU_CYCLE_1)
	s_cmp_lg_u32 s0, 0
	s_waitcnt_depctr 0xfff
	v_mul_f32_e32 v17, 0x4f7ffffe, v17
	s_cselect_b32 s0, -1, 0
	s_cmp_lg_u32 s0, 0
	s_delay_alu instid0(VALU_DEP_1)
	v_cvt_u32_f32_e32 v17, v17
	s_addc_u32 s15, s1, 0
	s_mov_b32 s1, exec_lo
	s_abs_i32 s0, s15
	v_xor_b32_e32 v12, s15, v12
	v_mul_lo_u32 v28, v28, v17
	s_delay_alu instid0(VALU_DEP_2) | instskip(NEXT) | instid1(VALU_DEP_2)
	v_ashrrev_i32_e32 v12, 31, v12
	v_mul_hi_u32 v28, v17, v28
	s_delay_alu instid0(VALU_DEP_1) | instskip(NEXT) | instid1(VALU_DEP_1)
	v_add_nc_u32_e32 v17, v17, v28
	v_mul_hi_u32 v17, s0, v17
	s_delay_alu instid0(VALU_DEP_1) | instskip(SKIP_1) | instid1(VALU_DEP_2)
	v_mul_lo_u32 v28, v17, v16
	v_add_nc_u32_e32 v29, 1, v17
	v_sub_nc_u32_e32 v28, s0, v28
	s_abs_i32 s0, s12
	s_delay_alu instid0(VALU_DEP_1) | instskip(SKIP_1) | instid1(VALU_DEP_2)
	v_sub_nc_u32_e32 v30, v28, v16
	v_cmp_ge_u32_e32 vcc_lo, v28, v16
	v_dual_cndmask_b32 v17, v17, v29 :: v_dual_cndmask_b32 v28, v28, v30
	s_delay_alu instid0(VALU_DEP_1) | instskip(NEXT) | instid1(VALU_DEP_2)
	v_add_nc_u32_e32 v29, 1, v17
	v_cmp_ge_u32_e32 vcc_lo, v28, v16
	s_delay_alu instid0(VALU_DEP_2) | instskip(NEXT) | instid1(VALU_DEP_1)
	v_cndmask_b32_e32 v16, v17, v29, vcc_lo
	v_xor_b32_e32 v16, v16, v12
	s_delay_alu instid0(VALU_DEP_1) | instskip(NEXT) | instid1(VALU_DEP_1)
	v_sub_nc_u32_e32 v12, v16, v12
	v_sub_nc_u32_e32 v16, 0, v12
	s_delay_alu instid0(VALU_DEP_1) | instskip(NEXT) | instid1(VALU_DEP_1)
	v_max_i32_e32 v28, v12, v16
	v_cvt_f32_u32_e32 v16, v28
	v_sub_nc_u32_e32 v17, 0, v28
	s_delay_alu instid0(VALU_DEP_2) | instskip(SKIP_2) | instid1(VALU_DEP_1)
	v_rcp_iflag_f32_e32 v16, v16
	s_waitcnt_depctr 0xfff
	v_mul_f32_e32 v16, 0x4f7ffffe, v16
	v_cvt_u32_f32_e32 v16, v16
	s_delay_alu instid0(VALU_DEP_1) | instskip(NEXT) | instid1(VALU_DEP_1)
	v_mul_lo_u32 v17, v17, v16
	v_mul_hi_u32 v17, v16, v17
	s_delay_alu instid0(VALU_DEP_1) | instskip(NEXT) | instid1(VALU_DEP_1)
	v_add_nc_u32_e32 v29, v16, v17
	v_mad_u64_u32 v[16:17], null, s0, v29, 0
	v_cmpx_ne_u64_e32 0, v[19:20]
	s_cbranch_execz .LBB331_3
; %bb.2:
	s_ashr_i32 s13, s12, 31
	s_delay_alu instid0(SALU_CYCLE_1) | instskip(NEXT) | instid1(SALU_CYCLE_1)
	s_lshl_b64 s[2:3], s[12:13], 2
	v_add_co_u32 v19, vcc_lo, v19, s2
	v_add_co_ci_u32_e32 v20, vcc_lo, s3, v20, vcc_lo
	flat_load_b32 v48, v[19:20]
.LBB331_3:
	s_or_b32 exec_lo, exec_lo, s1
	v_and_b32_e32 v31, 0x3ff, v31
	v_ashrrev_i32_e32 v16, 31, v12
	s_ashr_i32 s1, s12, 31
	s_mul_i32 s4, s12, 0x70
	s_mov_b32 s2, exec_lo
	v_lshrrev_b32_e32 v30, 1, v31
	v_and_b32_e32 v32, 1, v31
	v_lshlrev_b32_e32 v12, 3, v31
	v_cmpx_gt_u32_e32 28, v31
	s_cbranch_execz .LBB331_5
; %bb.4:
	v_mul_lo_u32 v19, s10, v21
	s_ashr_i32 s5, s4, 31
	s_delay_alu instid0(SALU_CYCLE_1) | instskip(NEXT) | instid1(VALU_DEP_1)
	s_lshl_b64 s[18:19], s[4:5], 1
	v_ashrrev_i32_e32 v20, 31, v19
	s_delay_alu instid0(VALU_DEP_1) | instskip(NEXT) | instid1(VALU_DEP_1)
	v_lshlrev_b64 v[19:20], 1, v[19:20]
	v_add_co_u32 v6, vcc_lo, v6, v19
	s_delay_alu instid0(VALU_DEP_2) | instskip(SKIP_1) | instid1(VALU_DEP_3)
	v_add_co_ci_u32_e32 v7, vcc_lo, v7, v20, vcc_lo
	v_lshlrev_b32_e32 v19, 3, v30
	v_add_co_u32 v6, vcc_lo, v6, s18
	s_delay_alu instid0(VALU_DEP_3) | instskip(NEXT) | instid1(VALU_DEP_3)
	v_add_co_ci_u32_e32 v7, vcc_lo, s19, v7, vcc_lo
	v_mad_u32_u24 v19, 0x70, v32, v19
	s_delay_alu instid0(VALU_DEP_3) | instskip(NEXT) | instid1(VALU_DEP_3)
	v_add_co_u32 v6, vcc_lo, v6, v12
	v_add_co_ci_u32_e32 v7, vcc_lo, 0, v7, vcc_lo
	flat_load_b64 v[6:7], v[6:7]
	s_waitcnt vmcnt(0) lgkmcnt(0)
	ds_store_b64 v19, v[6:7]
.LBB331_5:
	s_or_b32 exec_lo, exec_lo, s2
	v_mul_lo_u32 v6, v17, v28
	v_add_nc_u32_e32 v7, 15, v33
	v_add_nc_u32_e32 v20, 1, v17
	v_lshrrev_b32_e32 v34, 5, v31
	s_lshl_b32 s13, s14, 5
	v_mbcnt_lo_u32_b32 v39, -1, 0
	v_ashrrev_i32_e32 v19, 31, v7
	s_waitcnt vmcnt(0) lgkmcnt(0)
	s_waitcnt_vscnt null, 0x0
	v_sub_nc_u32_e32 v6, s0, v6
	s_add_i32 s0, s13, 32
	s_barrier
	v_lshrrev_b32_e32 v19, 28, v19
	buffer_gl0_inv
	v_sub_nc_u32_e32 v21, v6, v28
	v_cmp_ge_u32_e32 vcc_lo, v6, v28
                                        ; implicit-def: $vgpr49
	v_add_nc_u32_e32 v7, v7, v19
	s_delay_alu instid0(VALU_DEP_3) | instskip(SKIP_1) | instid1(VALU_DEP_3)
	v_dual_cndmask_b32 v17, v17, v20 :: v_dual_cndmask_b32 v6, v6, v21
	v_xor_b32_e32 v20, s1, v16
	v_ashrrev_i32_e32 v36, 4, v7
	v_mul_lo_u32 v16, s10, v18
	s_delay_alu instid0(VALU_DEP_4) | instskip(SKIP_3) | instid1(VALU_DEP_4)
	v_add_nc_u32_e32 v19, 1, v17
	v_cmp_ge_u32_e32 vcc_lo, v6, v28
	v_or_b32_e32 v6, s13, v34
	v_min_i32_e32 v35, s0, v36
                                        ; implicit-def: $sgpr1
	v_cndmask_b32_e32 v7, v17, v19, vcc_lo
	v_ashrrev_i32_e32 v17, 31, v16
	s_delay_alu instid0(VALU_DEP_3) | instskip(NEXT) | instid1(VALU_DEP_3)
	v_cmp_ge_i32_e64 s0, v6, v35
	v_xor_b32_e32 v7, v7, v20
	s_delay_alu instid0(VALU_DEP_1) | instskip(NEXT) | instid1(VALU_DEP_3)
	v_sub_nc_u32_e32 v7, v7, v20
	s_and_saveexec_b32 s2, s0
	s_delay_alu instid0(SALU_CYCLE_1)
	s_xor_b32 s2, exec_lo, s2
; %bb.6:
	v_mbcnt_lo_u32_b32 v39, -1, 0
	v_mov_b32_e32 v49, 32
	s_mov_b32 s1, 0xff7fffff
                                        ; implicit-def: $vgpr48
                                        ; implicit-def: $vgpr13
                                        ; implicit-def: $vgpr24
                                        ; implicit-def: $vgpr8
                                        ; implicit-def: $vgpr9
; %bb.7:
	s_or_saveexec_b32 s17, s2
	s_clause 0x1
	s_load_b32 s18, s[8:9], 0x14
	s_load_b32 s5, s[8:9], 0x8
	v_mul_lo_u32 v37, v7, v23
	v_lshlrev_b64 v[16:17], 2, v[16:17]
	v_dual_mov_b32 v50, s1 :: v_dual_lshlrev_b32 v23, 4, v34
	v_ashrrev_i32_e32 v7, 31, v6
	s_delay_alu instid0(VALU_DEP_4)
	v_ashrrev_i32_e32 v38, 31, v37
	s_xor_b32 exec_lo, exec_lo, s17
	s_cbranch_execz .LBB331_461
; %bb.8:
	v_bfe_u32 v28, v31, 1, 4
	v_lshlrev_b64 v[20:21], 2, v[6:7]
	v_add_co_u32 v8, vcc_lo, v8, v37
	v_add_co_ci_u32_e32 v19, vcc_lo, v9, v38, vcc_lo
	s_delay_alu instid0(VALU_DEP_4) | instskip(SKIP_2) | instid1(VALU_DEP_2)
	v_dual_mov_b32 v9, 0 :: v_dual_lshlrev_b32 v18, 4, v28
	v_dual_mov_b32 v64, v6 :: v_dual_lshlrev_b32 v29, 2, v28
	s_ashr_i32 s7, s6, 31
	v_add_co_u32 v18, vcc_lo, v8, v18
	v_add_co_u32 v8, s2, v16, v20
	s_delay_alu instid0(VALU_DEP_1) | instskip(SKIP_1) | instid1(VALU_DEP_3)
	v_add_co_ci_u32_e64 v21, s2, v17, v21, s2
	v_add_co_ci_u32_e32 v19, vcc_lo, 0, v19, vcc_lo
	v_add_co_u32 v20, s2, v14, v8
	v_dual_mov_b32 v50, 0xff7fffff :: v_dual_lshlrev_b32 v51, 2, v32
	v_mul_u32_u24_e32 v52, 0x70, v32
	v_cmp_eq_u32_e32 vcc_lo, 0, v32
	v_cmp_neq_f32_e64 s1, 0, v48
	s_lshl_b64 s[8:9], s[6:7], 2
	v_add_co_ci_u32_e64 v21, s2, v15, v21, s2
	v_sub_nc_u32_e32 v53, 1, v33
	v_add3_u32 v54, s16, v23, v28
	v_lshl_or_b32 v55, v34, 6, v29
	v_mov_b32_e32 v49, 32
	s_getpc_b64 s[20:21]
	s_add_u32 s20, s20, llvm.amdgcn.dynlds.offset.table@rel32@lo+4
	s_addc_u32 s21, s21, llvm.amdgcn.dynlds.offset.table@rel32@hi+12
	s_add_u32 s8, s8, s20
	s_mov_b32 s7, 0
	s_addc_u32 s9, s9, s21
	s_branch .LBB331_10
.LBB331_9:                              ;   in Loop: Header=BB331_10 Depth=1
	s_or_b32 exec_lo, exec_lo, s3
	v_add_nc_u32_e32 v64, 4, v64
	v_add_co_u32 v20, s3, v20, 16
	s_delay_alu instid0(VALU_DEP_1) | instskip(NEXT) | instid1(VALU_DEP_3)
	v_add_co_ci_u32_e64 v21, s3, 0, v21, s3
	v_cmp_ge_i32_e64 s2, v64, v35
	v_add_nc_u32_e32 v54, 64, v54
	v_add_nc_u32_e32 v55, 0x100, v55
	s_delay_alu instid0(VALU_DEP_3) | instskip(NEXT) | instid1(SALU_CYCLE_1)
	s_or_b32 s7, s2, s7
	s_and_not1_b32 exec_lo, exec_lo, s7
	s_cbranch_execz .LBB331_460
.LBB331_10:                             ; =>This Inner Loop Header: Depth=1
	flat_load_b32 v8, v[20:21]
	v_mov_b32_e32 v66, 0
	s_mov_b32 s3, exec_lo
	s_waitcnt vmcnt(0) lgkmcnt(0)
	v_mad_i64_i32 v[28:29], null, v8, v22, v[18:19]
	s_delay_alu instid0(VALU_DEP_1) | instskip(NEXT) | instid1(VALU_DEP_1)
	v_add_co_u32 v28, s2, v28, v51
	v_add_co_ci_u32_e64 v29, s2, 0, v29, s2
	flat_load_b32 v71, v[28:29]
	flat_load_b32 v65, v[24:25]
	s_waitcnt vmcnt(1) lgkmcnt(1)
	v_and_b32_e32 v8, 0xff, v71
	s_delay_alu instid0(VALU_DEP_1)
	v_cmpx_ne_u16_e32 0, v8
	s_cbranch_execz .LBB331_18
; %bb.11:                               ;   in Loop: Header=BB331_10 Depth=1
	v_bfrev_b32_e32 v66, 1
	s_mov_b32 s19, exec_lo
	v_cmpx_ne_u16_e32 0x80, v8
	s_cbranch_execz .LBB331_17
; %bb.12:                               ;   in Loop: Header=BB331_10 Depth=1
	v_and_b32_e32 v67, 0x7f, v71
	v_mov_b32_e32 v66, 0x7fc02000
	s_mov_b32 s20, exec_lo
	s_delay_alu instid0(VALU_DEP_2)
	v_cmpx_ne_u32_e32 0x7f, v67
	s_cbranch_execz .LBB331_16
; %bb.13:                               ;   in Loop: Header=BB331_10 Depth=1
	v_and_b32_e32 v8, 7, v71
	v_lshrrev_b32_e32 v66, 3, v67
	s_mov_b32 s21, exec_lo
	v_cmpx_gt_u32_e32 8, v67
; %bb.14:                               ;   in Loop: Header=BB331_10 Depth=1
	s_delay_alu instid0(VALU_DEP_3) | instskip(NEXT) | instid1(VALU_DEP_1)
	v_clz_i32_u32_e32 v66, v8
	v_min_u32_e32 v66, 32, v66
	s_delay_alu instid0(VALU_DEP_1) | instskip(SKIP_1) | instid1(VALU_DEP_2)
	v_subrev_nc_u32_e32 v67, 28, v66
	v_sub_nc_u32_e32 v66, 29, v66
	v_lshlrev_b64 v[67:68], v67, v[8:9]
	s_delay_alu instid0(VALU_DEP_1)
	v_and_b32_e32 v8, 7, v67
; %bb.15:                               ;   in Loop: Header=BB331_10 Depth=1
	s_or_b32 exec_lo, exec_lo, s21
	v_lshlrev_b32_e32 v67, 8, v71
	v_lshl_add_u32 v66, v66, 10, 0x2000
	s_delay_alu instid0(VALU_DEP_1) | instskip(NEXT) | instid1(VALU_DEP_1)
	v_and_or_b32 v66, 0x8000, v67, v66
	v_lshl_or_b32 v8, v8, 7, v66
	s_delay_alu instid0(VALU_DEP_1)
	v_cvt_f32_f16_e32 v66, v8
.LBB331_16:                             ;   in Loop: Header=BB331_10 Depth=1
	s_or_b32 exec_lo, exec_lo, s20
.LBB331_17:                             ;   in Loop: Header=BB331_10 Depth=1
	s_delay_alu instid0(SALU_CYCLE_1)
	s_or_b32 exec_lo, exec_lo, s19
.LBB331_18:                             ;   in Loop: Header=BB331_10 Depth=1
	s_delay_alu instid0(SALU_CYCLE_1) | instskip(SKIP_3) | instid1(VALU_DEP_2)
	s_or_b32 exec_lo, exec_lo, s3
	v_lshrrev_b16 v8, 8, v71
	v_dual_mov_b32 v67, 0 :: v_dual_mov_b32 v68, 0
	s_mov_b32 s3, exec_lo
	v_cmpx_ne_u16_e32 0, v8
	s_cbranch_execz .LBB331_26
; %bb.19:                               ;   in Loop: Header=BB331_10 Depth=1
	v_bfrev_b32_e32 v68, 1
	s_mov_b32 s19, exec_lo
	v_cmpx_ne_u16_e32 0x80, v8
	s_cbranch_execz .LBB331_25
; %bb.20:                               ;   in Loop: Header=BB331_10 Depth=1
	v_and_b32_e32 v69, 0xffff, v8
	v_mov_b32_e32 v68, 0x7fc02000
	s_mov_b32 s20, exec_lo
	s_delay_alu instid0(VALU_DEP_2) | instskip(NEXT) | instid1(VALU_DEP_1)
	v_and_b32_e32 v70, 0x7f, v69
	v_cmpx_ne_u32_e32 0x7f, v70
	s_cbranch_execz .LBB331_24
; %bb.21:                               ;   in Loop: Header=BB331_10 Depth=1
	v_and_b32_e32 v8, 7, v69
	v_lshrrev_b32_e32 v68, 3, v70
	s_mov_b32 s21, exec_lo
	v_cmpx_gt_u32_e32 8, v70
; %bb.22:                               ;   in Loop: Header=BB331_10 Depth=1
	s_delay_alu instid0(VALU_DEP_3) | instskip(NEXT) | instid1(VALU_DEP_1)
	v_clz_i32_u32_e32 v68, v8
	v_min_u32_e32 v68, 32, v68
	s_delay_alu instid0(VALU_DEP_1) | instskip(SKIP_1) | instid1(VALU_DEP_2)
	v_subrev_nc_u32_e32 v70, 28, v68
	v_sub_nc_u32_e32 v68, 29, v68
	v_lshlrev_b64 v[80:81], v70, v[8:9]
	s_delay_alu instid0(VALU_DEP_1)
	v_and_b32_e32 v8, 7, v80
; %bb.23:                               ;   in Loop: Header=BB331_10 Depth=1
	s_or_b32 exec_lo, exec_lo, s21
	v_lshlrev_b32_e32 v69, 8, v69
	v_lshl_add_u32 v68, v68, 10, 0x2000
	s_delay_alu instid0(VALU_DEP_1) | instskip(NEXT) | instid1(VALU_DEP_1)
	v_and_or_b32 v68, 0x8000, v69, v68
	v_lshl_or_b32 v8, v8, 7, v68
	s_delay_alu instid0(VALU_DEP_1)
	v_cvt_f32_f16_e32 v68, v8
.LBB331_24:                             ;   in Loop: Header=BB331_10 Depth=1
	s_or_b32 exec_lo, exec_lo, s20
.LBB331_25:                             ;   in Loop: Header=BB331_10 Depth=1
	s_delay_alu instid0(SALU_CYCLE_1)
	s_or_b32 exec_lo, exec_lo, s19
.LBB331_26:                             ;   in Loop: Header=BB331_10 Depth=1
	s_delay_alu instid0(SALU_CYCLE_1) | instskip(SKIP_2) | instid1(VALU_DEP_1)
	s_or_b32 exec_lo, exec_lo, s3
	v_lshrrev_b32_e32 v69, 16, v71
	s_mov_b32 s3, exec_lo
	v_and_b32_e32 v8, 0xff, v69
	s_delay_alu instid0(VALU_DEP_1)
	v_cmpx_ne_u16_e32 0, v8
	s_cbranch_execz .LBB331_34
; %bb.27:                               ;   in Loop: Header=BB331_10 Depth=1
	v_bfrev_b32_e32 v67, 1
	s_mov_b32 s19, exec_lo
	v_cmpx_ne_u16_e32 0x80, v8
	s_cbranch_execz .LBB331_33
; %bb.28:                               ;   in Loop: Header=BB331_10 Depth=1
	v_bfe_u32 v70, v71, 16, 7
	v_mov_b32_e32 v67, 0x7fc02000
	s_mov_b32 s20, exec_lo
	s_delay_alu instid0(VALU_DEP_2)
	v_cmpx_ne_u32_e32 0x7f, v70
	s_cbranch_execz .LBB331_32
; %bb.29:                               ;   in Loop: Header=BB331_10 Depth=1
	v_and_b32_e32 v8, 7, v69
	v_lshrrev_b32_e32 v67, 3, v70
	s_mov_b32 s21, exec_lo
	v_cmpx_gt_u32_e32 8, v70
; %bb.30:                               ;   in Loop: Header=BB331_10 Depth=1
	s_delay_alu instid0(VALU_DEP_3) | instskip(NEXT) | instid1(VALU_DEP_1)
	v_clz_i32_u32_e32 v67, v8
	v_min_u32_e32 v67, 32, v67
	s_delay_alu instid0(VALU_DEP_1) | instskip(SKIP_1) | instid1(VALU_DEP_2)
	v_subrev_nc_u32_e32 v70, 28, v67
	v_sub_nc_u32_e32 v67, 29, v67
	v_lshlrev_b64 v[80:81], v70, v[8:9]
	s_delay_alu instid0(VALU_DEP_1)
	v_and_b32_e32 v8, 7, v80
; %bb.31:                               ;   in Loop: Header=BB331_10 Depth=1
	s_or_b32 exec_lo, exec_lo, s21
	v_lshlrev_b32_e32 v69, 8, v69
	v_lshl_add_u32 v67, v67, 10, 0x2000
	s_delay_alu instid0(VALU_DEP_1) | instskip(NEXT) | instid1(VALU_DEP_1)
	v_and_or_b32 v67, 0x8000, v69, v67
	v_lshl_or_b32 v8, v8, 7, v67
	s_delay_alu instid0(VALU_DEP_1)
	v_cvt_f32_f16_e32 v67, v8
.LBB331_32:                             ;   in Loop: Header=BB331_10 Depth=1
	s_or_b32 exec_lo, exec_lo, s20
.LBB331_33:                             ;   in Loop: Header=BB331_10 Depth=1
	s_delay_alu instid0(SALU_CYCLE_1)
	s_or_b32 exec_lo, exec_lo, s19
.LBB331_34:                             ;   in Loop: Header=BB331_10 Depth=1
	s_delay_alu instid0(SALU_CYCLE_1)
	s_or_b32 exec_lo, exec_lo, s3
	v_dual_mov_b32 v70, 0 :: v_dual_mov_b32 v69, 0
	s_mov_b32 s3, exec_lo
	v_cmpx_lt_u32_e32 0xffffff, v71
	s_cbranch_execz .LBB331_42
; %bb.35:                               ;   in Loop: Header=BB331_10 Depth=1
	v_lshrrev_b32_e32 v71, 24, v71
	v_bfrev_b32_e32 v69, 1
	s_mov_b32 s19, exec_lo
	s_delay_alu instid0(VALU_DEP_2)
	v_cmpx_ne_u32_e32 0x80, v71
	s_cbranch_execz .LBB331_41
; %bb.36:                               ;   in Loop: Header=BB331_10 Depth=1
	v_and_b32_e32 v80, 0x7f, v71
	v_mov_b32_e32 v69, 0x7fc02000
	s_mov_b32 s20, exec_lo
	s_delay_alu instid0(VALU_DEP_2)
	v_cmpx_ne_u32_e32 0x7f, v80
	s_cbranch_execz .LBB331_40
; %bb.37:                               ;   in Loop: Header=BB331_10 Depth=1
	v_and_b32_e32 v8, 7, v71
	v_lshrrev_b32_e32 v69, 3, v80
	s_mov_b32 s21, exec_lo
	v_cmpx_gt_u32_e32 8, v80
; %bb.38:                               ;   in Loop: Header=BB331_10 Depth=1
	s_delay_alu instid0(VALU_DEP_3) | instskip(NEXT) | instid1(VALU_DEP_1)
	v_clz_i32_u32_e32 v69, v8
	v_min_u32_e32 v69, 32, v69
	s_delay_alu instid0(VALU_DEP_1) | instskip(SKIP_1) | instid1(VALU_DEP_2)
	v_subrev_nc_u32_e32 v80, 28, v69
	v_sub_nc_u32_e32 v69, 29, v69
	v_lshlrev_b64 v[80:81], v80, v[8:9]
	s_delay_alu instid0(VALU_DEP_1)
	v_and_b32_e32 v8, 7, v80
; %bb.39:                               ;   in Loop: Header=BB331_10 Depth=1
	s_or_b32 exec_lo, exec_lo, s21
	v_lshlrev_b32_e32 v71, 8, v71
	v_lshl_add_u32 v69, v69, 10, 0x2000
	s_delay_alu instid0(VALU_DEP_1) | instskip(NEXT) | instid1(VALU_DEP_1)
	v_and_or_b32 v69, 0x8000, v71, v69
	v_lshl_or_b32 v8, v8, 7, v69
	s_delay_alu instid0(VALU_DEP_1)
	v_cvt_f32_f16_e32 v69, v8
.LBB331_40:                             ;   in Loop: Header=BB331_10 Depth=1
	s_or_b32 exec_lo, exec_lo, s20
.LBB331_41:                             ;   in Loop: Header=BB331_10 Depth=1
	s_delay_alu instid0(SALU_CYCLE_1)
	s_or_b32 exec_lo, exec_lo, s19
.LBB331_42:                             ;   in Loop: Header=BB331_10 Depth=1
	s_delay_alu instid0(SALU_CYCLE_1) | instskip(SKIP_4) | instid1(VALU_DEP_1)
	s_or_b32 exec_lo, exec_lo, s3
	flat_load_b32 v83, v[28:29] offset:8
	s_mov_b32 s3, exec_lo
	s_waitcnt vmcnt(0) lgkmcnt(0)
	v_and_b32_e32 v8, 0xff, v83
	v_cmpx_ne_u16_e32 0, v8
	s_cbranch_execz .LBB331_50
; %bb.43:                               ;   in Loop: Header=BB331_10 Depth=1
	v_bfrev_b32_e32 v70, 1
	s_mov_b32 s19, exec_lo
	v_cmpx_ne_u16_e32 0x80, v8
	s_cbranch_execz .LBB331_49
; %bb.44:                               ;   in Loop: Header=BB331_10 Depth=1
	v_and_b32_e32 v71, 0x7f, v83
	v_mov_b32_e32 v70, 0x7fc02000
	s_mov_b32 s20, exec_lo
	s_delay_alu instid0(VALU_DEP_2)
	v_cmpx_ne_u32_e32 0x7f, v71
	s_cbranch_execz .LBB331_48
; %bb.45:                               ;   in Loop: Header=BB331_10 Depth=1
	v_and_b32_e32 v8, 7, v83
	v_lshrrev_b32_e32 v70, 3, v71
	s_mov_b32 s21, exec_lo
	v_cmpx_gt_u32_e32 8, v71
; %bb.46:                               ;   in Loop: Header=BB331_10 Depth=1
	s_delay_alu instid0(VALU_DEP_3) | instskip(NEXT) | instid1(VALU_DEP_1)
	v_clz_i32_u32_e32 v70, v8
	v_min_u32_e32 v70, 32, v70
	s_delay_alu instid0(VALU_DEP_1) | instskip(SKIP_1) | instid1(VALU_DEP_2)
	v_subrev_nc_u32_e32 v71, 28, v70
	v_sub_nc_u32_e32 v70, 29, v70
	v_lshlrev_b64 v[80:81], v71, v[8:9]
	s_delay_alu instid0(VALU_DEP_1)
	v_and_b32_e32 v8, 7, v80
; %bb.47:                               ;   in Loop: Header=BB331_10 Depth=1
	s_or_b32 exec_lo, exec_lo, s21
	v_lshlrev_b32_e32 v71, 8, v83
	v_lshl_add_u32 v70, v70, 10, 0x2000
	s_delay_alu instid0(VALU_DEP_1) | instskip(NEXT) | instid1(VALU_DEP_1)
	v_and_or_b32 v70, 0x8000, v71, v70
	v_lshl_or_b32 v8, v8, 7, v70
	s_delay_alu instid0(VALU_DEP_1)
	v_cvt_f32_f16_e32 v70, v8
.LBB331_48:                             ;   in Loop: Header=BB331_10 Depth=1
	s_or_b32 exec_lo, exec_lo, s20
.LBB331_49:                             ;   in Loop: Header=BB331_10 Depth=1
	s_delay_alu instid0(SALU_CYCLE_1)
	s_or_b32 exec_lo, exec_lo, s19
.LBB331_50:                             ;   in Loop: Header=BB331_10 Depth=1
	s_delay_alu instid0(SALU_CYCLE_1) | instskip(SKIP_3) | instid1(VALU_DEP_2)
	s_or_b32 exec_lo, exec_lo, s3
	v_lshrrev_b16 v8, 8, v83
	v_dual_mov_b32 v71, 0 :: v_dual_mov_b32 v80, 0
	s_mov_b32 s3, exec_lo
	v_cmpx_ne_u16_e32 0, v8
	s_cbranch_execz .LBB331_58
; %bb.51:                               ;   in Loop: Header=BB331_10 Depth=1
	v_bfrev_b32_e32 v80, 1
	s_mov_b32 s19, exec_lo
	v_cmpx_ne_u16_e32 0x80, v8
	s_cbranch_execz .LBB331_57
; %bb.52:                               ;   in Loop: Header=BB331_10 Depth=1
	v_and_b32_e32 v81, 0xffff, v8
	v_mov_b32_e32 v80, 0x7fc02000
	s_mov_b32 s20, exec_lo
	s_delay_alu instid0(VALU_DEP_2) | instskip(NEXT) | instid1(VALU_DEP_1)
	v_and_b32_e32 v82, 0x7f, v81
	v_cmpx_ne_u32_e32 0x7f, v82
	s_cbranch_execz .LBB331_56
; %bb.53:                               ;   in Loop: Header=BB331_10 Depth=1
	v_and_b32_e32 v8, 7, v81
	v_lshrrev_b32_e32 v80, 3, v82
	s_mov_b32 s21, exec_lo
	v_cmpx_gt_u32_e32 8, v82
; %bb.54:                               ;   in Loop: Header=BB331_10 Depth=1
	s_delay_alu instid0(VALU_DEP_3) | instskip(NEXT) | instid1(VALU_DEP_1)
	v_clz_i32_u32_e32 v80, v8
	v_min_u32_e32 v80, 32, v80
	s_delay_alu instid0(VALU_DEP_1) | instskip(SKIP_1) | instid1(VALU_DEP_2)
	v_subrev_nc_u32_e32 v82, 28, v80
	v_sub_nc_u32_e32 v80, 29, v80
	v_lshlrev_b64 v[84:85], v82, v[8:9]
	s_delay_alu instid0(VALU_DEP_1)
	v_and_b32_e32 v8, 7, v84
; %bb.55:                               ;   in Loop: Header=BB331_10 Depth=1
	s_or_b32 exec_lo, exec_lo, s21
	v_lshlrev_b32_e32 v81, 8, v81
	v_lshl_add_u32 v80, v80, 10, 0x2000
	s_delay_alu instid0(VALU_DEP_1) | instskip(NEXT) | instid1(VALU_DEP_1)
	v_and_or_b32 v80, 0x8000, v81, v80
	v_lshl_or_b32 v8, v8, 7, v80
	s_delay_alu instid0(VALU_DEP_1)
	v_cvt_f32_f16_e32 v80, v8
.LBB331_56:                             ;   in Loop: Header=BB331_10 Depth=1
	s_or_b32 exec_lo, exec_lo, s20
.LBB331_57:                             ;   in Loop: Header=BB331_10 Depth=1
	s_delay_alu instid0(SALU_CYCLE_1)
	s_or_b32 exec_lo, exec_lo, s19
.LBB331_58:                             ;   in Loop: Header=BB331_10 Depth=1
	s_delay_alu instid0(SALU_CYCLE_1) | instskip(SKIP_2) | instid1(VALU_DEP_1)
	s_or_b32 exec_lo, exec_lo, s3
	v_lshrrev_b32_e32 v81, 16, v83
	s_mov_b32 s3, exec_lo
	v_and_b32_e32 v8, 0xff, v81
	s_delay_alu instid0(VALU_DEP_1)
	v_cmpx_ne_u16_e32 0, v8
	s_cbranch_execz .LBB331_66
; %bb.59:                               ;   in Loop: Header=BB331_10 Depth=1
	v_bfrev_b32_e32 v71, 1
	s_mov_b32 s19, exec_lo
	v_cmpx_ne_u16_e32 0x80, v8
	s_cbranch_execz .LBB331_65
; %bb.60:                               ;   in Loop: Header=BB331_10 Depth=1
	v_bfe_u32 v82, v83, 16, 7
	v_mov_b32_e32 v71, 0x7fc02000
	s_mov_b32 s20, exec_lo
	s_delay_alu instid0(VALU_DEP_2)
	v_cmpx_ne_u32_e32 0x7f, v82
	s_cbranch_execz .LBB331_64
; %bb.61:                               ;   in Loop: Header=BB331_10 Depth=1
	v_and_b32_e32 v8, 7, v81
	v_lshrrev_b32_e32 v71, 3, v82
	s_mov_b32 s21, exec_lo
	v_cmpx_gt_u32_e32 8, v82
; %bb.62:                               ;   in Loop: Header=BB331_10 Depth=1
	s_delay_alu instid0(VALU_DEP_3) | instskip(NEXT) | instid1(VALU_DEP_1)
	v_clz_i32_u32_e32 v71, v8
	v_min_u32_e32 v71, 32, v71
	s_delay_alu instid0(VALU_DEP_1) | instskip(SKIP_1) | instid1(VALU_DEP_2)
	v_subrev_nc_u32_e32 v82, 28, v71
	v_sub_nc_u32_e32 v71, 29, v71
	v_lshlrev_b64 v[84:85], v82, v[8:9]
	s_delay_alu instid0(VALU_DEP_1)
	v_and_b32_e32 v8, 7, v84
; %bb.63:                               ;   in Loop: Header=BB331_10 Depth=1
	s_or_b32 exec_lo, exec_lo, s21
	v_lshlrev_b32_e32 v81, 8, v81
	v_lshl_add_u32 v71, v71, 10, 0x2000
	s_delay_alu instid0(VALU_DEP_1) | instskip(NEXT) | instid1(VALU_DEP_1)
	v_and_or_b32 v71, 0x8000, v81, v71
	v_lshl_or_b32 v8, v8, 7, v71
	s_delay_alu instid0(VALU_DEP_1)
	v_cvt_f32_f16_e32 v71, v8
.LBB331_64:                             ;   in Loop: Header=BB331_10 Depth=1
	s_or_b32 exec_lo, exec_lo, s20
.LBB331_65:                             ;   in Loop: Header=BB331_10 Depth=1
	s_delay_alu instid0(SALU_CYCLE_1)
	s_or_b32 exec_lo, exec_lo, s19
.LBB331_66:                             ;   in Loop: Header=BB331_10 Depth=1
	s_delay_alu instid0(SALU_CYCLE_1)
	s_or_b32 exec_lo, exec_lo, s3
	v_dual_mov_b32 v82, 0 :: v_dual_mov_b32 v81, 0
	s_mov_b32 s3, exec_lo
	v_cmpx_lt_u32_e32 0xffffff, v83
	s_cbranch_execz .LBB331_74
; %bb.67:                               ;   in Loop: Header=BB331_10 Depth=1
	v_lshrrev_b32_e32 v83, 24, v83
	v_bfrev_b32_e32 v81, 1
	s_mov_b32 s19, exec_lo
	s_delay_alu instid0(VALU_DEP_2)
	v_cmpx_ne_u32_e32 0x80, v83
	s_cbranch_execz .LBB331_73
; %bb.68:                               ;   in Loop: Header=BB331_10 Depth=1
	v_and_b32_e32 v84, 0x7f, v83
	v_mov_b32_e32 v81, 0x7fc02000
	s_mov_b32 s20, exec_lo
	s_delay_alu instid0(VALU_DEP_2)
	v_cmpx_ne_u32_e32 0x7f, v84
	s_cbranch_execz .LBB331_72
; %bb.69:                               ;   in Loop: Header=BB331_10 Depth=1
	v_and_b32_e32 v8, 7, v83
	v_lshrrev_b32_e32 v81, 3, v84
	s_mov_b32 s21, exec_lo
	v_cmpx_gt_u32_e32 8, v84
; %bb.70:                               ;   in Loop: Header=BB331_10 Depth=1
	s_delay_alu instid0(VALU_DEP_3) | instskip(NEXT) | instid1(VALU_DEP_1)
	v_clz_i32_u32_e32 v81, v8
	v_min_u32_e32 v81, 32, v81
	s_delay_alu instid0(VALU_DEP_1) | instskip(SKIP_1) | instid1(VALU_DEP_2)
	v_subrev_nc_u32_e32 v84, 28, v81
	v_sub_nc_u32_e32 v81, 29, v81
	v_lshlrev_b64 v[84:85], v84, v[8:9]
	s_delay_alu instid0(VALU_DEP_1)
	v_and_b32_e32 v8, 7, v84
; %bb.71:                               ;   in Loop: Header=BB331_10 Depth=1
	s_or_b32 exec_lo, exec_lo, s21
	v_lshlrev_b32_e32 v83, 8, v83
	v_lshl_add_u32 v81, v81, 10, 0x2000
	s_delay_alu instid0(VALU_DEP_1) | instskip(NEXT) | instid1(VALU_DEP_1)
	v_and_or_b32 v81, 0x8000, v83, v81
	v_lshl_or_b32 v8, v8, 7, v81
	s_delay_alu instid0(VALU_DEP_1)
	v_cvt_f32_f16_e32 v81, v8
.LBB331_72:                             ;   in Loop: Header=BB331_10 Depth=1
	s_or_b32 exec_lo, exec_lo, s20
.LBB331_73:                             ;   in Loop: Header=BB331_10 Depth=1
	s_delay_alu instid0(SALU_CYCLE_1)
	s_or_b32 exec_lo, exec_lo, s19
.LBB331_74:                             ;   in Loop: Header=BB331_10 Depth=1
	s_delay_alu instid0(SALU_CYCLE_1) | instskip(SKIP_4) | instid1(VALU_DEP_1)
	s_or_b32 exec_lo, exec_lo, s3
	flat_load_b32 v87, v[28:29] offset:256
	s_mov_b32 s3, exec_lo
	s_waitcnt vmcnt(0) lgkmcnt(0)
	v_and_b32_e32 v8, 0xff, v87
	v_cmpx_ne_u16_e32 0, v8
	s_cbranch_execz .LBB331_82
; %bb.75:                               ;   in Loop: Header=BB331_10 Depth=1
	v_bfrev_b32_e32 v82, 1
	s_mov_b32 s19, exec_lo
	v_cmpx_ne_u16_e32 0x80, v8
	s_cbranch_execz .LBB331_81
; %bb.76:                               ;   in Loop: Header=BB331_10 Depth=1
	v_and_b32_e32 v83, 0x7f, v87
	v_mov_b32_e32 v82, 0x7fc02000
	s_mov_b32 s20, exec_lo
	s_delay_alu instid0(VALU_DEP_2)
	v_cmpx_ne_u32_e32 0x7f, v83
	s_cbranch_execz .LBB331_80
; %bb.77:                               ;   in Loop: Header=BB331_10 Depth=1
	v_and_b32_e32 v8, 7, v87
	v_lshrrev_b32_e32 v82, 3, v83
	s_mov_b32 s21, exec_lo
	v_cmpx_gt_u32_e32 8, v83
; %bb.78:                               ;   in Loop: Header=BB331_10 Depth=1
	s_delay_alu instid0(VALU_DEP_3) | instskip(NEXT) | instid1(VALU_DEP_1)
	v_clz_i32_u32_e32 v82, v8
	v_min_u32_e32 v82, 32, v82
	s_delay_alu instid0(VALU_DEP_1) | instskip(SKIP_1) | instid1(VALU_DEP_2)
	v_subrev_nc_u32_e32 v83, 28, v82
	v_sub_nc_u32_e32 v82, 29, v82
	v_lshlrev_b64 v[83:84], v83, v[8:9]
	s_delay_alu instid0(VALU_DEP_1)
	v_and_b32_e32 v8, 7, v83
; %bb.79:                               ;   in Loop: Header=BB331_10 Depth=1
	s_or_b32 exec_lo, exec_lo, s21
	v_lshlrev_b32_e32 v83, 8, v87
	v_lshl_add_u32 v82, v82, 10, 0x2000
	s_delay_alu instid0(VALU_DEP_1) | instskip(NEXT) | instid1(VALU_DEP_1)
	v_and_or_b32 v82, 0x8000, v83, v82
	v_lshl_or_b32 v8, v8, 7, v82
	s_delay_alu instid0(VALU_DEP_1)
	v_cvt_f32_f16_e32 v82, v8
.LBB331_80:                             ;   in Loop: Header=BB331_10 Depth=1
	s_or_b32 exec_lo, exec_lo, s20
.LBB331_81:                             ;   in Loop: Header=BB331_10 Depth=1
	s_delay_alu instid0(SALU_CYCLE_1)
	s_or_b32 exec_lo, exec_lo, s19
.LBB331_82:                             ;   in Loop: Header=BB331_10 Depth=1
	s_delay_alu instid0(SALU_CYCLE_1) | instskip(SKIP_3) | instid1(VALU_DEP_2)
	s_or_b32 exec_lo, exec_lo, s3
	v_lshrrev_b16 v8, 8, v87
	v_dual_mov_b32 v83, 0 :: v_dual_mov_b32 v84, 0
	s_mov_b32 s3, exec_lo
	v_cmpx_ne_u16_e32 0, v8
	s_cbranch_execz .LBB331_90
; %bb.83:                               ;   in Loop: Header=BB331_10 Depth=1
	v_bfrev_b32_e32 v84, 1
	s_mov_b32 s19, exec_lo
	v_cmpx_ne_u16_e32 0x80, v8
	s_cbranch_execz .LBB331_89
; %bb.84:                               ;   in Loop: Header=BB331_10 Depth=1
	v_and_b32_e32 v85, 0xffff, v8
	v_mov_b32_e32 v84, 0x7fc02000
	s_mov_b32 s20, exec_lo
	s_delay_alu instid0(VALU_DEP_2) | instskip(NEXT) | instid1(VALU_DEP_1)
	v_and_b32_e32 v86, 0x7f, v85
	v_cmpx_ne_u32_e32 0x7f, v86
	s_cbranch_execz .LBB331_88
; %bb.85:                               ;   in Loop: Header=BB331_10 Depth=1
	v_and_b32_e32 v8, 7, v85
	v_lshrrev_b32_e32 v84, 3, v86
	s_mov_b32 s21, exec_lo
	v_cmpx_gt_u32_e32 8, v86
; %bb.86:                               ;   in Loop: Header=BB331_10 Depth=1
	s_delay_alu instid0(VALU_DEP_3) | instskip(NEXT) | instid1(VALU_DEP_1)
	v_clz_i32_u32_e32 v84, v8
	v_min_u32_e32 v84, 32, v84
	s_delay_alu instid0(VALU_DEP_1) | instskip(SKIP_1) | instid1(VALU_DEP_2)
	v_subrev_nc_u32_e32 v86, 28, v84
	v_sub_nc_u32_e32 v84, 29, v84
	v_lshlrev_b64 v[96:97], v86, v[8:9]
	s_delay_alu instid0(VALU_DEP_1)
	v_and_b32_e32 v8, 7, v96
; %bb.87:                               ;   in Loop: Header=BB331_10 Depth=1
	s_or_b32 exec_lo, exec_lo, s21
	v_lshlrev_b32_e32 v85, 8, v85
	v_lshl_add_u32 v84, v84, 10, 0x2000
	s_delay_alu instid0(VALU_DEP_1) | instskip(NEXT) | instid1(VALU_DEP_1)
	v_and_or_b32 v84, 0x8000, v85, v84
	v_lshl_or_b32 v8, v8, 7, v84
	s_delay_alu instid0(VALU_DEP_1)
	v_cvt_f32_f16_e32 v84, v8
.LBB331_88:                             ;   in Loop: Header=BB331_10 Depth=1
	s_or_b32 exec_lo, exec_lo, s20
.LBB331_89:                             ;   in Loop: Header=BB331_10 Depth=1
	s_delay_alu instid0(SALU_CYCLE_1)
	s_or_b32 exec_lo, exec_lo, s19
.LBB331_90:                             ;   in Loop: Header=BB331_10 Depth=1
	s_delay_alu instid0(SALU_CYCLE_1) | instskip(SKIP_2) | instid1(VALU_DEP_1)
	s_or_b32 exec_lo, exec_lo, s3
	v_lshrrev_b32_e32 v85, 16, v87
	s_mov_b32 s3, exec_lo
	v_and_b32_e32 v8, 0xff, v85
	s_delay_alu instid0(VALU_DEP_1)
	v_cmpx_ne_u16_e32 0, v8
	s_cbranch_execz .LBB331_98
; %bb.91:                               ;   in Loop: Header=BB331_10 Depth=1
	v_bfrev_b32_e32 v83, 1
	s_mov_b32 s19, exec_lo
	v_cmpx_ne_u16_e32 0x80, v8
	s_cbranch_execz .LBB331_97
; %bb.92:                               ;   in Loop: Header=BB331_10 Depth=1
	v_bfe_u32 v86, v87, 16, 7
	v_mov_b32_e32 v83, 0x7fc02000
	s_mov_b32 s20, exec_lo
	s_delay_alu instid0(VALU_DEP_2)
	v_cmpx_ne_u32_e32 0x7f, v86
	s_cbranch_execz .LBB331_96
; %bb.93:                               ;   in Loop: Header=BB331_10 Depth=1
	v_and_b32_e32 v8, 7, v85
	v_lshrrev_b32_e32 v83, 3, v86
	s_mov_b32 s21, exec_lo
	v_cmpx_gt_u32_e32 8, v86
; %bb.94:                               ;   in Loop: Header=BB331_10 Depth=1
	s_delay_alu instid0(VALU_DEP_3) | instskip(NEXT) | instid1(VALU_DEP_1)
	v_clz_i32_u32_e32 v83, v8
	v_min_u32_e32 v83, 32, v83
	s_delay_alu instid0(VALU_DEP_1) | instskip(SKIP_1) | instid1(VALU_DEP_2)
	v_subrev_nc_u32_e32 v86, 28, v83
	v_sub_nc_u32_e32 v83, 29, v83
	v_lshlrev_b64 v[96:97], v86, v[8:9]
	s_delay_alu instid0(VALU_DEP_1)
	v_and_b32_e32 v8, 7, v96
; %bb.95:                               ;   in Loop: Header=BB331_10 Depth=1
	s_or_b32 exec_lo, exec_lo, s21
	v_lshlrev_b32_e32 v85, 8, v85
	v_lshl_add_u32 v83, v83, 10, 0x2000
	s_delay_alu instid0(VALU_DEP_1) | instskip(NEXT) | instid1(VALU_DEP_1)
	v_and_or_b32 v83, 0x8000, v85, v83
	v_lshl_or_b32 v8, v8, 7, v83
	s_delay_alu instid0(VALU_DEP_1)
	v_cvt_f32_f16_e32 v83, v8
.LBB331_96:                             ;   in Loop: Header=BB331_10 Depth=1
	s_or_b32 exec_lo, exec_lo, s20
.LBB331_97:                             ;   in Loop: Header=BB331_10 Depth=1
	s_delay_alu instid0(SALU_CYCLE_1)
	s_or_b32 exec_lo, exec_lo, s19
.LBB331_98:                             ;   in Loop: Header=BB331_10 Depth=1
	s_delay_alu instid0(SALU_CYCLE_1)
	s_or_b32 exec_lo, exec_lo, s3
	v_dual_mov_b32 v86, 0 :: v_dual_mov_b32 v85, 0
	s_mov_b32 s3, exec_lo
	v_cmpx_lt_u32_e32 0xffffff, v87
	s_cbranch_execz .LBB331_106
; %bb.99:                               ;   in Loop: Header=BB331_10 Depth=1
	v_lshrrev_b32_e32 v87, 24, v87
	v_bfrev_b32_e32 v85, 1
	s_mov_b32 s19, exec_lo
	s_delay_alu instid0(VALU_DEP_2)
	v_cmpx_ne_u32_e32 0x80, v87
	s_cbranch_execz .LBB331_105
; %bb.100:                              ;   in Loop: Header=BB331_10 Depth=1
	v_and_b32_e32 v96, 0x7f, v87
	v_mov_b32_e32 v85, 0x7fc02000
	s_mov_b32 s20, exec_lo
	s_delay_alu instid0(VALU_DEP_2)
	v_cmpx_ne_u32_e32 0x7f, v96
	s_cbranch_execz .LBB331_104
; %bb.101:                              ;   in Loop: Header=BB331_10 Depth=1
	v_and_b32_e32 v8, 7, v87
	v_lshrrev_b32_e32 v85, 3, v96
	s_mov_b32 s21, exec_lo
	v_cmpx_gt_u32_e32 8, v96
; %bb.102:                              ;   in Loop: Header=BB331_10 Depth=1
	s_delay_alu instid0(VALU_DEP_3) | instskip(NEXT) | instid1(VALU_DEP_1)
	v_clz_i32_u32_e32 v85, v8
	v_min_u32_e32 v85, 32, v85
	s_delay_alu instid0(VALU_DEP_1) | instskip(SKIP_1) | instid1(VALU_DEP_2)
	v_subrev_nc_u32_e32 v96, 28, v85
	v_sub_nc_u32_e32 v85, 29, v85
	v_lshlrev_b64 v[96:97], v96, v[8:9]
	s_delay_alu instid0(VALU_DEP_1)
	v_and_b32_e32 v8, 7, v96
; %bb.103:                              ;   in Loop: Header=BB331_10 Depth=1
	s_or_b32 exec_lo, exec_lo, s21
	v_lshlrev_b32_e32 v87, 8, v87
	v_lshl_add_u32 v85, v85, 10, 0x2000
	s_delay_alu instid0(VALU_DEP_1) | instskip(NEXT) | instid1(VALU_DEP_1)
	v_and_or_b32 v85, 0x8000, v87, v85
	v_lshl_or_b32 v8, v8, 7, v85
	s_delay_alu instid0(VALU_DEP_1)
	v_cvt_f32_f16_e32 v85, v8
.LBB331_104:                            ;   in Loop: Header=BB331_10 Depth=1
	s_or_b32 exec_lo, exec_lo, s20
.LBB331_105:                            ;   in Loop: Header=BB331_10 Depth=1
	s_delay_alu instid0(SALU_CYCLE_1)
	s_or_b32 exec_lo, exec_lo, s19
.LBB331_106:                            ;   in Loop: Header=BB331_10 Depth=1
	s_delay_alu instid0(SALU_CYCLE_1) | instskip(SKIP_4) | instid1(VALU_DEP_1)
	s_or_b32 exec_lo, exec_lo, s3
	flat_load_b32 v99, v[28:29] offset:264
	s_mov_b32 s3, exec_lo
	s_waitcnt vmcnt(0) lgkmcnt(0)
	v_and_b32_e32 v8, 0xff, v99
	v_cmpx_ne_u16_e32 0, v8
	s_cbranch_execz .LBB331_114
; %bb.107:                              ;   in Loop: Header=BB331_10 Depth=1
	v_bfrev_b32_e32 v86, 1
	s_mov_b32 s19, exec_lo
	v_cmpx_ne_u16_e32 0x80, v8
	s_cbranch_execz .LBB331_113
; %bb.108:                              ;   in Loop: Header=BB331_10 Depth=1
	v_and_b32_e32 v87, 0x7f, v99
	v_mov_b32_e32 v86, 0x7fc02000
	s_mov_b32 s20, exec_lo
	s_delay_alu instid0(VALU_DEP_2)
	v_cmpx_ne_u32_e32 0x7f, v87
	s_cbranch_execz .LBB331_112
; %bb.109:                              ;   in Loop: Header=BB331_10 Depth=1
	v_and_b32_e32 v8, 7, v99
	v_lshrrev_b32_e32 v86, 3, v87
	s_mov_b32 s21, exec_lo
	v_cmpx_gt_u32_e32 8, v87
; %bb.110:                              ;   in Loop: Header=BB331_10 Depth=1
	s_delay_alu instid0(VALU_DEP_3) | instskip(NEXT) | instid1(VALU_DEP_1)
	v_clz_i32_u32_e32 v86, v8
	v_min_u32_e32 v86, 32, v86
	s_delay_alu instid0(VALU_DEP_1) | instskip(SKIP_1) | instid1(VALU_DEP_2)
	v_subrev_nc_u32_e32 v87, 28, v86
	v_sub_nc_u32_e32 v86, 29, v86
	v_lshlrev_b64 v[96:97], v87, v[8:9]
	s_delay_alu instid0(VALU_DEP_1)
	v_and_b32_e32 v8, 7, v96
; %bb.111:                              ;   in Loop: Header=BB331_10 Depth=1
	s_or_b32 exec_lo, exec_lo, s21
	v_lshlrev_b32_e32 v87, 8, v99
	v_lshl_add_u32 v86, v86, 10, 0x2000
	s_delay_alu instid0(VALU_DEP_1) | instskip(NEXT) | instid1(VALU_DEP_1)
	v_and_or_b32 v86, 0x8000, v87, v86
	v_lshl_or_b32 v8, v8, 7, v86
	s_delay_alu instid0(VALU_DEP_1)
	v_cvt_f32_f16_e32 v86, v8
.LBB331_112:                            ;   in Loop: Header=BB331_10 Depth=1
	s_or_b32 exec_lo, exec_lo, s20
.LBB331_113:                            ;   in Loop: Header=BB331_10 Depth=1
	s_delay_alu instid0(SALU_CYCLE_1)
	s_or_b32 exec_lo, exec_lo, s19
.LBB331_114:                            ;   in Loop: Header=BB331_10 Depth=1
	s_delay_alu instid0(SALU_CYCLE_1) | instskip(SKIP_3) | instid1(VALU_DEP_2)
	s_or_b32 exec_lo, exec_lo, s3
	v_lshrrev_b16 v8, 8, v99
	v_dual_mov_b32 v87, 0 :: v_dual_mov_b32 v96, 0
	s_mov_b32 s3, exec_lo
	v_cmpx_ne_u16_e32 0, v8
	s_cbranch_execz .LBB331_122
; %bb.115:                              ;   in Loop: Header=BB331_10 Depth=1
	v_bfrev_b32_e32 v96, 1
	s_mov_b32 s19, exec_lo
	v_cmpx_ne_u16_e32 0x80, v8
	s_cbranch_execz .LBB331_121
; %bb.116:                              ;   in Loop: Header=BB331_10 Depth=1
	v_and_b32_e32 v97, 0xffff, v8
	v_mov_b32_e32 v96, 0x7fc02000
	s_mov_b32 s20, exec_lo
	s_delay_alu instid0(VALU_DEP_2) | instskip(NEXT) | instid1(VALU_DEP_1)
	v_and_b32_e32 v98, 0x7f, v97
	v_cmpx_ne_u32_e32 0x7f, v98
	s_cbranch_execz .LBB331_120
; %bb.117:                              ;   in Loop: Header=BB331_10 Depth=1
	v_and_b32_e32 v8, 7, v97
	v_lshrrev_b32_e32 v96, 3, v98
	s_mov_b32 s21, exec_lo
	v_cmpx_gt_u32_e32 8, v98
; %bb.118:                              ;   in Loop: Header=BB331_10 Depth=1
	s_delay_alu instid0(VALU_DEP_3) | instskip(NEXT) | instid1(VALU_DEP_1)
	v_clz_i32_u32_e32 v96, v8
	v_min_u32_e32 v96, 32, v96
	s_delay_alu instid0(VALU_DEP_1) | instskip(SKIP_1) | instid1(VALU_DEP_2)
	v_subrev_nc_u32_e32 v98, 28, v96
	v_sub_nc_u32_e32 v96, 29, v96
	v_lshlrev_b64 v[100:101], v98, v[8:9]
	s_delay_alu instid0(VALU_DEP_1)
	v_and_b32_e32 v8, 7, v100
; %bb.119:                              ;   in Loop: Header=BB331_10 Depth=1
	s_or_b32 exec_lo, exec_lo, s21
	v_lshlrev_b32_e32 v97, 8, v97
	v_lshl_add_u32 v96, v96, 10, 0x2000
	s_delay_alu instid0(VALU_DEP_1) | instskip(NEXT) | instid1(VALU_DEP_1)
	v_and_or_b32 v96, 0x8000, v97, v96
	v_lshl_or_b32 v8, v8, 7, v96
	s_delay_alu instid0(VALU_DEP_1)
	v_cvt_f32_f16_e32 v96, v8
.LBB331_120:                            ;   in Loop: Header=BB331_10 Depth=1
	s_or_b32 exec_lo, exec_lo, s20
.LBB331_121:                            ;   in Loop: Header=BB331_10 Depth=1
	s_delay_alu instid0(SALU_CYCLE_1)
	s_or_b32 exec_lo, exec_lo, s19
.LBB331_122:                            ;   in Loop: Header=BB331_10 Depth=1
	s_delay_alu instid0(SALU_CYCLE_1) | instskip(SKIP_2) | instid1(VALU_DEP_1)
	s_or_b32 exec_lo, exec_lo, s3
	v_lshrrev_b32_e32 v97, 16, v99
	s_mov_b32 s3, exec_lo
	v_and_b32_e32 v8, 0xff, v97
	s_delay_alu instid0(VALU_DEP_1)
	v_cmpx_ne_u16_e32 0, v8
	s_cbranch_execz .LBB331_130
; %bb.123:                              ;   in Loop: Header=BB331_10 Depth=1
	v_bfrev_b32_e32 v87, 1
	s_mov_b32 s19, exec_lo
	v_cmpx_ne_u16_e32 0x80, v8
	s_cbranch_execz .LBB331_129
; %bb.124:                              ;   in Loop: Header=BB331_10 Depth=1
	v_bfe_u32 v98, v99, 16, 7
	v_mov_b32_e32 v87, 0x7fc02000
	s_mov_b32 s20, exec_lo
	s_delay_alu instid0(VALU_DEP_2)
	v_cmpx_ne_u32_e32 0x7f, v98
	s_cbranch_execz .LBB331_128
; %bb.125:                              ;   in Loop: Header=BB331_10 Depth=1
	v_and_b32_e32 v8, 7, v97
	v_lshrrev_b32_e32 v87, 3, v98
	s_mov_b32 s21, exec_lo
	v_cmpx_gt_u32_e32 8, v98
; %bb.126:                              ;   in Loop: Header=BB331_10 Depth=1
	s_delay_alu instid0(VALU_DEP_3) | instskip(NEXT) | instid1(VALU_DEP_1)
	v_clz_i32_u32_e32 v87, v8
	v_min_u32_e32 v87, 32, v87
	s_delay_alu instid0(VALU_DEP_1) | instskip(SKIP_1) | instid1(VALU_DEP_2)
	v_subrev_nc_u32_e32 v98, 28, v87
	v_sub_nc_u32_e32 v87, 29, v87
	v_lshlrev_b64 v[100:101], v98, v[8:9]
	s_delay_alu instid0(VALU_DEP_1)
	v_and_b32_e32 v8, 7, v100
; %bb.127:                              ;   in Loop: Header=BB331_10 Depth=1
	s_or_b32 exec_lo, exec_lo, s21
	v_lshlrev_b32_e32 v97, 8, v97
	v_lshl_add_u32 v87, v87, 10, 0x2000
	s_delay_alu instid0(VALU_DEP_1) | instskip(NEXT) | instid1(VALU_DEP_1)
	v_and_or_b32 v87, 0x8000, v97, v87
	v_lshl_or_b32 v8, v8, 7, v87
	s_delay_alu instid0(VALU_DEP_1)
	v_cvt_f32_f16_e32 v87, v8
.LBB331_128:                            ;   in Loop: Header=BB331_10 Depth=1
	s_or_b32 exec_lo, exec_lo, s20
.LBB331_129:                            ;   in Loop: Header=BB331_10 Depth=1
	s_delay_alu instid0(SALU_CYCLE_1)
	s_or_b32 exec_lo, exec_lo, s19
.LBB331_130:                            ;   in Loop: Header=BB331_10 Depth=1
	s_delay_alu instid0(SALU_CYCLE_1)
	s_or_b32 exec_lo, exec_lo, s3
	v_dual_mov_b32 v98, 0 :: v_dual_mov_b32 v97, 0
	s_mov_b32 s3, exec_lo
	v_cmpx_lt_u32_e32 0xffffff, v99
	s_cbranch_execz .LBB331_138
; %bb.131:                              ;   in Loop: Header=BB331_10 Depth=1
	v_lshrrev_b32_e32 v99, 24, v99
	v_bfrev_b32_e32 v97, 1
	s_mov_b32 s19, exec_lo
	s_delay_alu instid0(VALU_DEP_2)
	v_cmpx_ne_u32_e32 0x80, v99
	s_cbranch_execz .LBB331_137
; %bb.132:                              ;   in Loop: Header=BB331_10 Depth=1
	v_and_b32_e32 v100, 0x7f, v99
	v_mov_b32_e32 v97, 0x7fc02000
	s_mov_b32 s20, exec_lo
	s_delay_alu instid0(VALU_DEP_2)
	v_cmpx_ne_u32_e32 0x7f, v100
	s_cbranch_execz .LBB331_136
; %bb.133:                              ;   in Loop: Header=BB331_10 Depth=1
	v_and_b32_e32 v8, 7, v99
	v_lshrrev_b32_e32 v97, 3, v100
	s_mov_b32 s21, exec_lo
	v_cmpx_gt_u32_e32 8, v100
; %bb.134:                              ;   in Loop: Header=BB331_10 Depth=1
	s_delay_alu instid0(VALU_DEP_3) | instskip(NEXT) | instid1(VALU_DEP_1)
	v_clz_i32_u32_e32 v97, v8
	v_min_u32_e32 v97, 32, v97
	s_delay_alu instid0(VALU_DEP_1) | instskip(SKIP_1) | instid1(VALU_DEP_2)
	v_subrev_nc_u32_e32 v100, 28, v97
	v_sub_nc_u32_e32 v97, 29, v97
	v_lshlrev_b64 v[100:101], v100, v[8:9]
	s_delay_alu instid0(VALU_DEP_1)
	v_and_b32_e32 v8, 7, v100
; %bb.135:                              ;   in Loop: Header=BB331_10 Depth=1
	s_or_b32 exec_lo, exec_lo, s21
	v_lshlrev_b32_e32 v99, 8, v99
	v_lshl_add_u32 v97, v97, 10, 0x2000
	s_delay_alu instid0(VALU_DEP_1) | instskip(NEXT) | instid1(VALU_DEP_1)
	v_and_or_b32 v97, 0x8000, v99, v97
	v_lshl_or_b32 v8, v8, 7, v97
	s_delay_alu instid0(VALU_DEP_1)
	v_cvt_f32_f16_e32 v97, v8
.LBB331_136:                            ;   in Loop: Header=BB331_10 Depth=1
	s_or_b32 exec_lo, exec_lo, s20
.LBB331_137:                            ;   in Loop: Header=BB331_10 Depth=1
	s_delay_alu instid0(SALU_CYCLE_1)
	s_or_b32 exec_lo, exec_lo, s19
.LBB331_138:                            ;   in Loop: Header=BB331_10 Depth=1
	s_delay_alu instid0(SALU_CYCLE_1) | instskip(SKIP_4) | instid1(VALU_DEP_1)
	s_or_b32 exec_lo, exec_lo, s3
	flat_load_b32 v103, v[28:29] offset:512
	s_mov_b32 s3, exec_lo
	s_waitcnt vmcnt(0) lgkmcnt(0)
	v_and_b32_e32 v8, 0xff, v103
	v_cmpx_ne_u16_e32 0, v8
	s_cbranch_execz .LBB331_146
; %bb.139:                              ;   in Loop: Header=BB331_10 Depth=1
	v_bfrev_b32_e32 v98, 1
	s_mov_b32 s19, exec_lo
	v_cmpx_ne_u16_e32 0x80, v8
	s_cbranch_execz .LBB331_145
; %bb.140:                              ;   in Loop: Header=BB331_10 Depth=1
	v_and_b32_e32 v99, 0x7f, v103
	v_mov_b32_e32 v98, 0x7fc02000
	s_mov_b32 s20, exec_lo
	s_delay_alu instid0(VALU_DEP_2)
	v_cmpx_ne_u32_e32 0x7f, v99
	s_cbranch_execz .LBB331_144
; %bb.141:                              ;   in Loop: Header=BB331_10 Depth=1
	v_and_b32_e32 v8, 7, v103
	v_lshrrev_b32_e32 v98, 3, v99
	s_mov_b32 s21, exec_lo
	v_cmpx_gt_u32_e32 8, v99
; %bb.142:                              ;   in Loop: Header=BB331_10 Depth=1
	s_delay_alu instid0(VALU_DEP_3) | instskip(NEXT) | instid1(VALU_DEP_1)
	v_clz_i32_u32_e32 v98, v8
	v_min_u32_e32 v98, 32, v98
	s_delay_alu instid0(VALU_DEP_1) | instskip(SKIP_1) | instid1(VALU_DEP_2)
	v_subrev_nc_u32_e32 v99, 28, v98
	v_sub_nc_u32_e32 v98, 29, v98
	v_lshlrev_b64 v[99:100], v99, v[8:9]
	s_delay_alu instid0(VALU_DEP_1)
	v_and_b32_e32 v8, 7, v99
; %bb.143:                              ;   in Loop: Header=BB331_10 Depth=1
	s_or_b32 exec_lo, exec_lo, s21
	v_lshlrev_b32_e32 v99, 8, v103
	v_lshl_add_u32 v98, v98, 10, 0x2000
	s_delay_alu instid0(VALU_DEP_1) | instskip(NEXT) | instid1(VALU_DEP_1)
	v_and_or_b32 v98, 0x8000, v99, v98
	v_lshl_or_b32 v8, v8, 7, v98
	s_delay_alu instid0(VALU_DEP_1)
	v_cvt_f32_f16_e32 v98, v8
.LBB331_144:                            ;   in Loop: Header=BB331_10 Depth=1
	s_or_b32 exec_lo, exec_lo, s20
.LBB331_145:                            ;   in Loop: Header=BB331_10 Depth=1
	s_delay_alu instid0(SALU_CYCLE_1)
	s_or_b32 exec_lo, exec_lo, s19
.LBB331_146:                            ;   in Loop: Header=BB331_10 Depth=1
	s_delay_alu instid0(SALU_CYCLE_1) | instskip(SKIP_3) | instid1(VALU_DEP_2)
	s_or_b32 exec_lo, exec_lo, s3
	v_lshrrev_b16 v8, 8, v103
	v_dual_mov_b32 v99, 0 :: v_dual_mov_b32 v100, 0
	s_mov_b32 s3, exec_lo
	v_cmpx_ne_u16_e32 0, v8
	s_cbranch_execz .LBB331_154
; %bb.147:                              ;   in Loop: Header=BB331_10 Depth=1
	v_bfrev_b32_e32 v100, 1
	s_mov_b32 s19, exec_lo
	v_cmpx_ne_u16_e32 0x80, v8
	s_cbranch_execz .LBB331_153
; %bb.148:                              ;   in Loop: Header=BB331_10 Depth=1
	v_and_b32_e32 v101, 0xffff, v8
	v_mov_b32_e32 v100, 0x7fc02000
	s_mov_b32 s20, exec_lo
	s_delay_alu instid0(VALU_DEP_2) | instskip(NEXT) | instid1(VALU_DEP_1)
	v_and_b32_e32 v102, 0x7f, v101
	v_cmpx_ne_u32_e32 0x7f, v102
	s_cbranch_execz .LBB331_152
; %bb.149:                              ;   in Loop: Header=BB331_10 Depth=1
	v_and_b32_e32 v8, 7, v101
	v_lshrrev_b32_e32 v100, 3, v102
	s_mov_b32 s21, exec_lo
	v_cmpx_gt_u32_e32 8, v102
; %bb.150:                              ;   in Loop: Header=BB331_10 Depth=1
	s_delay_alu instid0(VALU_DEP_3) | instskip(NEXT) | instid1(VALU_DEP_1)
	v_clz_i32_u32_e32 v100, v8
	v_min_u32_e32 v100, 32, v100
	s_delay_alu instid0(VALU_DEP_1) | instskip(SKIP_1) | instid1(VALU_DEP_2)
	v_subrev_nc_u32_e32 v102, 28, v100
	v_sub_nc_u32_e32 v100, 29, v100
	v_lshlrev_b64 v[112:113], v102, v[8:9]
	s_delay_alu instid0(VALU_DEP_1)
	v_and_b32_e32 v8, 7, v112
; %bb.151:                              ;   in Loop: Header=BB331_10 Depth=1
	s_or_b32 exec_lo, exec_lo, s21
	v_lshlrev_b32_e32 v101, 8, v101
	v_lshl_add_u32 v100, v100, 10, 0x2000
	s_delay_alu instid0(VALU_DEP_1) | instskip(NEXT) | instid1(VALU_DEP_1)
	v_and_or_b32 v100, 0x8000, v101, v100
	v_lshl_or_b32 v8, v8, 7, v100
	s_delay_alu instid0(VALU_DEP_1)
	v_cvt_f32_f16_e32 v100, v8
.LBB331_152:                            ;   in Loop: Header=BB331_10 Depth=1
	s_or_b32 exec_lo, exec_lo, s20
.LBB331_153:                            ;   in Loop: Header=BB331_10 Depth=1
	s_delay_alu instid0(SALU_CYCLE_1)
	s_or_b32 exec_lo, exec_lo, s19
.LBB331_154:                            ;   in Loop: Header=BB331_10 Depth=1
	s_delay_alu instid0(SALU_CYCLE_1) | instskip(SKIP_2) | instid1(VALU_DEP_1)
	s_or_b32 exec_lo, exec_lo, s3
	v_lshrrev_b32_e32 v101, 16, v103
	s_mov_b32 s3, exec_lo
	v_and_b32_e32 v8, 0xff, v101
	s_delay_alu instid0(VALU_DEP_1)
	v_cmpx_ne_u16_e32 0, v8
	s_cbranch_execz .LBB331_162
; %bb.155:                              ;   in Loop: Header=BB331_10 Depth=1
	v_bfrev_b32_e32 v99, 1
	s_mov_b32 s19, exec_lo
	v_cmpx_ne_u16_e32 0x80, v8
	s_cbranch_execz .LBB331_161
; %bb.156:                              ;   in Loop: Header=BB331_10 Depth=1
	v_bfe_u32 v102, v103, 16, 7
	v_mov_b32_e32 v99, 0x7fc02000
	s_mov_b32 s20, exec_lo
	s_delay_alu instid0(VALU_DEP_2)
	v_cmpx_ne_u32_e32 0x7f, v102
	s_cbranch_execz .LBB331_160
; %bb.157:                              ;   in Loop: Header=BB331_10 Depth=1
	v_and_b32_e32 v8, 7, v101
	v_lshrrev_b32_e32 v99, 3, v102
	s_mov_b32 s21, exec_lo
	v_cmpx_gt_u32_e32 8, v102
; %bb.158:                              ;   in Loop: Header=BB331_10 Depth=1
	s_delay_alu instid0(VALU_DEP_3) | instskip(NEXT) | instid1(VALU_DEP_1)
	v_clz_i32_u32_e32 v99, v8
	v_min_u32_e32 v99, 32, v99
	s_delay_alu instid0(VALU_DEP_1) | instskip(SKIP_1) | instid1(VALU_DEP_2)
	v_subrev_nc_u32_e32 v102, 28, v99
	v_sub_nc_u32_e32 v99, 29, v99
	v_lshlrev_b64 v[112:113], v102, v[8:9]
	s_delay_alu instid0(VALU_DEP_1)
	v_and_b32_e32 v8, 7, v112
; %bb.159:                              ;   in Loop: Header=BB331_10 Depth=1
	s_or_b32 exec_lo, exec_lo, s21
	v_lshlrev_b32_e32 v101, 8, v101
	v_lshl_add_u32 v99, v99, 10, 0x2000
	s_delay_alu instid0(VALU_DEP_1) | instskip(NEXT) | instid1(VALU_DEP_1)
	v_and_or_b32 v99, 0x8000, v101, v99
	v_lshl_or_b32 v8, v8, 7, v99
	s_delay_alu instid0(VALU_DEP_1)
	v_cvt_f32_f16_e32 v99, v8
.LBB331_160:                            ;   in Loop: Header=BB331_10 Depth=1
	s_or_b32 exec_lo, exec_lo, s20
.LBB331_161:                            ;   in Loop: Header=BB331_10 Depth=1
	s_delay_alu instid0(SALU_CYCLE_1)
	s_or_b32 exec_lo, exec_lo, s19
.LBB331_162:                            ;   in Loop: Header=BB331_10 Depth=1
	s_delay_alu instid0(SALU_CYCLE_1)
	s_or_b32 exec_lo, exec_lo, s3
	v_dual_mov_b32 v102, 0 :: v_dual_mov_b32 v101, 0
	s_mov_b32 s3, exec_lo
	v_cmpx_lt_u32_e32 0xffffff, v103
	s_cbranch_execz .LBB331_170
; %bb.163:                              ;   in Loop: Header=BB331_10 Depth=1
	v_lshrrev_b32_e32 v103, 24, v103
	v_bfrev_b32_e32 v101, 1
	s_mov_b32 s19, exec_lo
	s_delay_alu instid0(VALU_DEP_2)
	v_cmpx_ne_u32_e32 0x80, v103
	s_cbranch_execz .LBB331_169
; %bb.164:                              ;   in Loop: Header=BB331_10 Depth=1
	v_and_b32_e32 v112, 0x7f, v103
	v_mov_b32_e32 v101, 0x7fc02000
	s_mov_b32 s20, exec_lo
	s_delay_alu instid0(VALU_DEP_2)
	v_cmpx_ne_u32_e32 0x7f, v112
	s_cbranch_execz .LBB331_168
; %bb.165:                              ;   in Loop: Header=BB331_10 Depth=1
	v_and_b32_e32 v8, 7, v103
	v_lshrrev_b32_e32 v101, 3, v112
	s_mov_b32 s21, exec_lo
	v_cmpx_gt_u32_e32 8, v112
; %bb.166:                              ;   in Loop: Header=BB331_10 Depth=1
	s_delay_alu instid0(VALU_DEP_3) | instskip(NEXT) | instid1(VALU_DEP_1)
	v_clz_i32_u32_e32 v101, v8
	v_min_u32_e32 v101, 32, v101
	s_delay_alu instid0(VALU_DEP_1) | instskip(SKIP_1) | instid1(VALU_DEP_2)
	v_subrev_nc_u32_e32 v112, 28, v101
	v_sub_nc_u32_e32 v101, 29, v101
	v_lshlrev_b64 v[112:113], v112, v[8:9]
	s_delay_alu instid0(VALU_DEP_1)
	v_and_b32_e32 v8, 7, v112
; %bb.167:                              ;   in Loop: Header=BB331_10 Depth=1
	s_or_b32 exec_lo, exec_lo, s21
	v_lshlrev_b32_e32 v103, 8, v103
	v_lshl_add_u32 v101, v101, 10, 0x2000
	s_delay_alu instid0(VALU_DEP_1) | instskip(NEXT) | instid1(VALU_DEP_1)
	v_and_or_b32 v101, 0x8000, v103, v101
	v_lshl_or_b32 v8, v8, 7, v101
	s_delay_alu instid0(VALU_DEP_1)
	v_cvt_f32_f16_e32 v101, v8
.LBB331_168:                            ;   in Loop: Header=BB331_10 Depth=1
	s_or_b32 exec_lo, exec_lo, s20
.LBB331_169:                            ;   in Loop: Header=BB331_10 Depth=1
	s_delay_alu instid0(SALU_CYCLE_1)
	s_or_b32 exec_lo, exec_lo, s19
.LBB331_170:                            ;   in Loop: Header=BB331_10 Depth=1
	s_delay_alu instid0(SALU_CYCLE_1) | instskip(SKIP_4) | instid1(VALU_DEP_1)
	s_or_b32 exec_lo, exec_lo, s3
	flat_load_b32 v115, v[28:29] offset:520
	s_mov_b32 s3, exec_lo
	s_waitcnt vmcnt(0) lgkmcnt(0)
	v_and_b32_e32 v8, 0xff, v115
	v_cmpx_ne_u16_e32 0, v8
	s_cbranch_execz .LBB331_178
; %bb.171:                              ;   in Loop: Header=BB331_10 Depth=1
	v_bfrev_b32_e32 v102, 1
	s_mov_b32 s19, exec_lo
	v_cmpx_ne_u16_e32 0x80, v8
	s_cbranch_execz .LBB331_177
; %bb.172:                              ;   in Loop: Header=BB331_10 Depth=1
	v_and_b32_e32 v103, 0x7f, v115
	v_mov_b32_e32 v102, 0x7fc02000
	s_mov_b32 s20, exec_lo
	s_delay_alu instid0(VALU_DEP_2)
	v_cmpx_ne_u32_e32 0x7f, v103
	s_cbranch_execz .LBB331_176
; %bb.173:                              ;   in Loop: Header=BB331_10 Depth=1
	v_and_b32_e32 v8, 7, v115
	v_lshrrev_b32_e32 v102, 3, v103
	s_mov_b32 s21, exec_lo
	v_cmpx_gt_u32_e32 8, v103
; %bb.174:                              ;   in Loop: Header=BB331_10 Depth=1
	s_delay_alu instid0(VALU_DEP_3) | instskip(NEXT) | instid1(VALU_DEP_1)
	v_clz_i32_u32_e32 v102, v8
	v_min_u32_e32 v102, 32, v102
	s_delay_alu instid0(VALU_DEP_1) | instskip(SKIP_1) | instid1(VALU_DEP_2)
	v_subrev_nc_u32_e32 v103, 28, v102
	v_sub_nc_u32_e32 v102, 29, v102
	v_lshlrev_b64 v[112:113], v103, v[8:9]
	s_delay_alu instid0(VALU_DEP_1)
	v_and_b32_e32 v8, 7, v112
; %bb.175:                              ;   in Loop: Header=BB331_10 Depth=1
	s_or_b32 exec_lo, exec_lo, s21
	v_lshlrev_b32_e32 v103, 8, v115
	v_lshl_add_u32 v102, v102, 10, 0x2000
	s_delay_alu instid0(VALU_DEP_1) | instskip(NEXT) | instid1(VALU_DEP_1)
	v_and_or_b32 v102, 0x8000, v103, v102
	v_lshl_or_b32 v8, v8, 7, v102
	s_delay_alu instid0(VALU_DEP_1)
	v_cvt_f32_f16_e32 v102, v8
.LBB331_176:                            ;   in Loop: Header=BB331_10 Depth=1
	s_or_b32 exec_lo, exec_lo, s20
.LBB331_177:                            ;   in Loop: Header=BB331_10 Depth=1
	s_delay_alu instid0(SALU_CYCLE_1)
	s_or_b32 exec_lo, exec_lo, s19
.LBB331_178:                            ;   in Loop: Header=BB331_10 Depth=1
	s_delay_alu instid0(SALU_CYCLE_1) | instskip(SKIP_3) | instid1(VALU_DEP_2)
	s_or_b32 exec_lo, exec_lo, s3
	v_lshrrev_b16 v8, 8, v115
	v_dual_mov_b32 v103, 0 :: v_dual_mov_b32 v112, 0
	s_mov_b32 s3, exec_lo
	v_cmpx_ne_u16_e32 0, v8
	s_cbranch_execz .LBB331_186
; %bb.179:                              ;   in Loop: Header=BB331_10 Depth=1
	v_bfrev_b32_e32 v112, 1
	s_mov_b32 s19, exec_lo
	v_cmpx_ne_u16_e32 0x80, v8
	s_cbranch_execz .LBB331_185
; %bb.180:                              ;   in Loop: Header=BB331_10 Depth=1
	v_and_b32_e32 v113, 0xffff, v8
	v_mov_b32_e32 v112, 0x7fc02000
	s_mov_b32 s20, exec_lo
	s_delay_alu instid0(VALU_DEP_2) | instskip(NEXT) | instid1(VALU_DEP_1)
	v_and_b32_e32 v114, 0x7f, v113
	v_cmpx_ne_u32_e32 0x7f, v114
	s_cbranch_execz .LBB331_184
; %bb.181:                              ;   in Loop: Header=BB331_10 Depth=1
	v_and_b32_e32 v8, 7, v113
	v_lshrrev_b32_e32 v112, 3, v114
	s_mov_b32 s21, exec_lo
	v_cmpx_gt_u32_e32 8, v114
; %bb.182:                              ;   in Loop: Header=BB331_10 Depth=1
	s_delay_alu instid0(VALU_DEP_3) | instskip(NEXT) | instid1(VALU_DEP_1)
	v_clz_i32_u32_e32 v112, v8
	v_min_u32_e32 v112, 32, v112
	s_delay_alu instid0(VALU_DEP_1) | instskip(SKIP_1) | instid1(VALU_DEP_2)
	v_subrev_nc_u32_e32 v114, 28, v112
	v_sub_nc_u32_e32 v112, 29, v112
	v_lshlrev_b64 v[116:117], v114, v[8:9]
	s_delay_alu instid0(VALU_DEP_1)
	v_and_b32_e32 v8, 7, v116
; %bb.183:                              ;   in Loop: Header=BB331_10 Depth=1
	s_or_b32 exec_lo, exec_lo, s21
	v_lshlrev_b32_e32 v113, 8, v113
	v_lshl_add_u32 v112, v112, 10, 0x2000
	s_delay_alu instid0(VALU_DEP_1) | instskip(NEXT) | instid1(VALU_DEP_1)
	v_and_or_b32 v112, 0x8000, v113, v112
	v_lshl_or_b32 v8, v8, 7, v112
	s_delay_alu instid0(VALU_DEP_1)
	v_cvt_f32_f16_e32 v112, v8
.LBB331_184:                            ;   in Loop: Header=BB331_10 Depth=1
	s_or_b32 exec_lo, exec_lo, s20
.LBB331_185:                            ;   in Loop: Header=BB331_10 Depth=1
	s_delay_alu instid0(SALU_CYCLE_1)
	s_or_b32 exec_lo, exec_lo, s19
.LBB331_186:                            ;   in Loop: Header=BB331_10 Depth=1
	s_delay_alu instid0(SALU_CYCLE_1) | instskip(SKIP_2) | instid1(VALU_DEP_1)
	s_or_b32 exec_lo, exec_lo, s3
	v_lshrrev_b32_e32 v113, 16, v115
	s_mov_b32 s3, exec_lo
	v_and_b32_e32 v8, 0xff, v113
	s_delay_alu instid0(VALU_DEP_1)
	v_cmpx_ne_u16_e32 0, v8
	s_cbranch_execz .LBB331_194
; %bb.187:                              ;   in Loop: Header=BB331_10 Depth=1
	v_bfrev_b32_e32 v103, 1
	s_mov_b32 s19, exec_lo
	v_cmpx_ne_u16_e32 0x80, v8
	s_cbranch_execz .LBB331_193
; %bb.188:                              ;   in Loop: Header=BB331_10 Depth=1
	v_bfe_u32 v114, v115, 16, 7
	v_mov_b32_e32 v103, 0x7fc02000
	s_mov_b32 s20, exec_lo
	s_delay_alu instid0(VALU_DEP_2)
	v_cmpx_ne_u32_e32 0x7f, v114
	s_cbranch_execz .LBB331_192
; %bb.189:                              ;   in Loop: Header=BB331_10 Depth=1
	v_and_b32_e32 v8, 7, v113
	v_lshrrev_b32_e32 v103, 3, v114
	s_mov_b32 s21, exec_lo
	v_cmpx_gt_u32_e32 8, v114
; %bb.190:                              ;   in Loop: Header=BB331_10 Depth=1
	s_delay_alu instid0(VALU_DEP_3) | instskip(NEXT) | instid1(VALU_DEP_1)
	v_clz_i32_u32_e32 v103, v8
	v_min_u32_e32 v103, 32, v103
	s_delay_alu instid0(VALU_DEP_1) | instskip(SKIP_1) | instid1(VALU_DEP_2)
	v_subrev_nc_u32_e32 v114, 28, v103
	v_sub_nc_u32_e32 v103, 29, v103
	v_lshlrev_b64 v[116:117], v114, v[8:9]
	s_delay_alu instid0(VALU_DEP_1)
	v_and_b32_e32 v8, 7, v116
; %bb.191:                              ;   in Loop: Header=BB331_10 Depth=1
	s_or_b32 exec_lo, exec_lo, s21
	v_lshlrev_b32_e32 v113, 8, v113
	v_lshl_add_u32 v103, v103, 10, 0x2000
	s_delay_alu instid0(VALU_DEP_1) | instskip(NEXT) | instid1(VALU_DEP_1)
	v_and_or_b32 v103, 0x8000, v113, v103
	v_lshl_or_b32 v8, v8, 7, v103
	s_delay_alu instid0(VALU_DEP_1)
	v_cvt_f32_f16_e32 v103, v8
.LBB331_192:                            ;   in Loop: Header=BB331_10 Depth=1
	s_or_b32 exec_lo, exec_lo, s20
.LBB331_193:                            ;   in Loop: Header=BB331_10 Depth=1
	s_delay_alu instid0(SALU_CYCLE_1)
	s_or_b32 exec_lo, exec_lo, s19
.LBB331_194:                            ;   in Loop: Header=BB331_10 Depth=1
	s_delay_alu instid0(SALU_CYCLE_1)
	s_or_b32 exec_lo, exec_lo, s3
	v_dual_mov_b32 v114, 0 :: v_dual_mov_b32 v113, 0
	s_mov_b32 s3, exec_lo
	v_cmpx_lt_u32_e32 0xffffff, v115
	s_cbranch_execz .LBB331_202
; %bb.195:                              ;   in Loop: Header=BB331_10 Depth=1
	v_lshrrev_b32_e32 v115, 24, v115
	v_bfrev_b32_e32 v113, 1
	s_mov_b32 s19, exec_lo
	s_delay_alu instid0(VALU_DEP_2)
	v_cmpx_ne_u32_e32 0x80, v115
	s_cbranch_execz .LBB331_201
; %bb.196:                              ;   in Loop: Header=BB331_10 Depth=1
	v_and_b32_e32 v116, 0x7f, v115
	v_mov_b32_e32 v113, 0x7fc02000
	s_mov_b32 s20, exec_lo
	s_delay_alu instid0(VALU_DEP_2)
	v_cmpx_ne_u32_e32 0x7f, v116
	s_cbranch_execz .LBB331_200
; %bb.197:                              ;   in Loop: Header=BB331_10 Depth=1
	v_and_b32_e32 v8, 7, v115
	v_lshrrev_b32_e32 v113, 3, v116
	s_mov_b32 s21, exec_lo
	v_cmpx_gt_u32_e32 8, v116
; %bb.198:                              ;   in Loop: Header=BB331_10 Depth=1
	s_delay_alu instid0(VALU_DEP_3) | instskip(NEXT) | instid1(VALU_DEP_1)
	v_clz_i32_u32_e32 v113, v8
	v_min_u32_e32 v113, 32, v113
	s_delay_alu instid0(VALU_DEP_1) | instskip(SKIP_1) | instid1(VALU_DEP_2)
	v_subrev_nc_u32_e32 v116, 28, v113
	v_sub_nc_u32_e32 v113, 29, v113
	v_lshlrev_b64 v[116:117], v116, v[8:9]
	s_delay_alu instid0(VALU_DEP_1)
	v_and_b32_e32 v8, 7, v116
; %bb.199:                              ;   in Loop: Header=BB331_10 Depth=1
	s_or_b32 exec_lo, exec_lo, s21
	v_lshlrev_b32_e32 v115, 8, v115
	v_lshl_add_u32 v113, v113, 10, 0x2000
	s_delay_alu instid0(VALU_DEP_1) | instskip(NEXT) | instid1(VALU_DEP_1)
	v_and_or_b32 v113, 0x8000, v115, v113
	v_lshl_or_b32 v8, v8, 7, v113
	s_delay_alu instid0(VALU_DEP_1)
	v_cvt_f32_f16_e32 v113, v8
.LBB331_200:                            ;   in Loop: Header=BB331_10 Depth=1
	s_or_b32 exec_lo, exec_lo, s20
.LBB331_201:                            ;   in Loop: Header=BB331_10 Depth=1
	s_delay_alu instid0(SALU_CYCLE_1)
	s_or_b32 exec_lo, exec_lo, s19
.LBB331_202:                            ;   in Loop: Header=BB331_10 Depth=1
	s_delay_alu instid0(SALU_CYCLE_1) | instskip(SKIP_4) | instid1(VALU_DEP_1)
	s_or_b32 exec_lo, exec_lo, s3
	flat_load_b32 v119, v[28:29] offset:768
	s_mov_b32 s3, exec_lo
	s_waitcnt vmcnt(0) lgkmcnt(0)
	v_and_b32_e32 v8, 0xff, v119
	v_cmpx_ne_u16_e32 0, v8
	s_cbranch_execz .LBB331_210
; %bb.203:                              ;   in Loop: Header=BB331_10 Depth=1
	v_bfrev_b32_e32 v114, 1
	s_mov_b32 s19, exec_lo
	v_cmpx_ne_u16_e32 0x80, v8
	s_cbranch_execz .LBB331_209
; %bb.204:                              ;   in Loop: Header=BB331_10 Depth=1
	v_and_b32_e32 v115, 0x7f, v119
	v_mov_b32_e32 v114, 0x7fc02000
	s_mov_b32 s20, exec_lo
	s_delay_alu instid0(VALU_DEP_2)
	v_cmpx_ne_u32_e32 0x7f, v115
	s_cbranch_execz .LBB331_208
; %bb.205:                              ;   in Loop: Header=BB331_10 Depth=1
	v_and_b32_e32 v8, 7, v119
	v_lshrrev_b32_e32 v114, 3, v115
	s_mov_b32 s21, exec_lo
	v_cmpx_gt_u32_e32 8, v115
; %bb.206:                              ;   in Loop: Header=BB331_10 Depth=1
	s_delay_alu instid0(VALU_DEP_3) | instskip(NEXT) | instid1(VALU_DEP_1)
	v_clz_i32_u32_e32 v114, v8
	v_min_u32_e32 v114, 32, v114
	s_delay_alu instid0(VALU_DEP_1) | instskip(SKIP_1) | instid1(VALU_DEP_2)
	v_subrev_nc_u32_e32 v115, 28, v114
	v_sub_nc_u32_e32 v114, 29, v114
	v_lshlrev_b64 v[115:116], v115, v[8:9]
	s_delay_alu instid0(VALU_DEP_1)
	v_and_b32_e32 v8, 7, v115
; %bb.207:                              ;   in Loop: Header=BB331_10 Depth=1
	s_or_b32 exec_lo, exec_lo, s21
	v_lshlrev_b32_e32 v115, 8, v119
	v_lshl_add_u32 v114, v114, 10, 0x2000
	s_delay_alu instid0(VALU_DEP_1) | instskip(NEXT) | instid1(VALU_DEP_1)
	v_and_or_b32 v114, 0x8000, v115, v114
	v_lshl_or_b32 v8, v8, 7, v114
	s_delay_alu instid0(VALU_DEP_1)
	v_cvt_f32_f16_e32 v114, v8
.LBB331_208:                            ;   in Loop: Header=BB331_10 Depth=1
	s_or_b32 exec_lo, exec_lo, s20
.LBB331_209:                            ;   in Loop: Header=BB331_10 Depth=1
	s_delay_alu instid0(SALU_CYCLE_1)
	s_or_b32 exec_lo, exec_lo, s19
.LBB331_210:                            ;   in Loop: Header=BB331_10 Depth=1
	s_delay_alu instid0(SALU_CYCLE_1) | instskip(SKIP_3) | instid1(VALU_DEP_2)
	s_or_b32 exec_lo, exec_lo, s3
	v_lshrrev_b16 v8, 8, v119
	v_dual_mov_b32 v115, 0 :: v_dual_mov_b32 v116, 0
	s_mov_b32 s3, exec_lo
	v_cmpx_ne_u16_e32 0, v8
	s_cbranch_execz .LBB331_218
; %bb.211:                              ;   in Loop: Header=BB331_10 Depth=1
	v_bfrev_b32_e32 v116, 1
	s_mov_b32 s19, exec_lo
	v_cmpx_ne_u16_e32 0x80, v8
	s_cbranch_execz .LBB331_217
; %bb.212:                              ;   in Loop: Header=BB331_10 Depth=1
	v_and_b32_e32 v117, 0xffff, v8
	v_mov_b32_e32 v116, 0x7fc02000
	s_mov_b32 s20, exec_lo
	s_delay_alu instid0(VALU_DEP_2) | instskip(NEXT) | instid1(VALU_DEP_1)
	v_and_b32_e32 v118, 0x7f, v117
	v_cmpx_ne_u32_e32 0x7f, v118
	s_cbranch_execz .LBB331_216
; %bb.213:                              ;   in Loop: Header=BB331_10 Depth=1
	v_and_b32_e32 v8, 7, v117
	v_lshrrev_b32_e32 v116, 3, v118
	s_mov_b32 s21, exec_lo
	v_cmpx_gt_u32_e32 8, v118
; %bb.214:                              ;   in Loop: Header=BB331_10 Depth=1
	s_delay_alu instid0(VALU_DEP_3) | instskip(NEXT) | instid1(VALU_DEP_1)
	v_clz_i32_u32_e32 v116, v8
	v_min_u32_e32 v116, 32, v116
	s_delay_alu instid0(VALU_DEP_1) | instskip(SKIP_1) | instid1(VALU_DEP_2)
	v_subrev_nc_u32_e32 v118, 28, v116
	v_sub_nc_u32_e32 v116, 29, v116
	v_lshlrev_b64 v[128:129], v118, v[8:9]
	s_delay_alu instid0(VALU_DEP_1)
	v_and_b32_e32 v8, 7, v128
; %bb.215:                              ;   in Loop: Header=BB331_10 Depth=1
	s_or_b32 exec_lo, exec_lo, s21
	v_lshlrev_b32_e32 v117, 8, v117
	v_lshl_add_u32 v116, v116, 10, 0x2000
	s_delay_alu instid0(VALU_DEP_1) | instskip(NEXT) | instid1(VALU_DEP_1)
	v_and_or_b32 v116, 0x8000, v117, v116
	v_lshl_or_b32 v8, v8, 7, v116
	s_delay_alu instid0(VALU_DEP_1)
	v_cvt_f32_f16_e32 v116, v8
.LBB331_216:                            ;   in Loop: Header=BB331_10 Depth=1
	s_or_b32 exec_lo, exec_lo, s20
.LBB331_217:                            ;   in Loop: Header=BB331_10 Depth=1
	s_delay_alu instid0(SALU_CYCLE_1)
	s_or_b32 exec_lo, exec_lo, s19
.LBB331_218:                            ;   in Loop: Header=BB331_10 Depth=1
	s_delay_alu instid0(SALU_CYCLE_1) | instskip(SKIP_2) | instid1(VALU_DEP_1)
	s_or_b32 exec_lo, exec_lo, s3
	v_lshrrev_b32_e32 v117, 16, v119
	s_mov_b32 s3, exec_lo
	v_and_b32_e32 v8, 0xff, v117
	s_delay_alu instid0(VALU_DEP_1)
	v_cmpx_ne_u16_e32 0, v8
	s_cbranch_execz .LBB331_226
; %bb.219:                              ;   in Loop: Header=BB331_10 Depth=1
	v_bfrev_b32_e32 v115, 1
	s_mov_b32 s19, exec_lo
	v_cmpx_ne_u16_e32 0x80, v8
	s_cbranch_execz .LBB331_225
; %bb.220:                              ;   in Loop: Header=BB331_10 Depth=1
	v_bfe_u32 v118, v119, 16, 7
	v_mov_b32_e32 v115, 0x7fc02000
	s_mov_b32 s20, exec_lo
	s_delay_alu instid0(VALU_DEP_2)
	v_cmpx_ne_u32_e32 0x7f, v118
	s_cbranch_execz .LBB331_224
; %bb.221:                              ;   in Loop: Header=BB331_10 Depth=1
	v_and_b32_e32 v8, 7, v117
	v_lshrrev_b32_e32 v115, 3, v118
	s_mov_b32 s21, exec_lo
	v_cmpx_gt_u32_e32 8, v118
; %bb.222:                              ;   in Loop: Header=BB331_10 Depth=1
	s_delay_alu instid0(VALU_DEP_3) | instskip(NEXT) | instid1(VALU_DEP_1)
	v_clz_i32_u32_e32 v115, v8
	v_min_u32_e32 v115, 32, v115
	s_delay_alu instid0(VALU_DEP_1) | instskip(SKIP_1) | instid1(VALU_DEP_2)
	v_subrev_nc_u32_e32 v118, 28, v115
	v_sub_nc_u32_e32 v115, 29, v115
	v_lshlrev_b64 v[128:129], v118, v[8:9]
	s_delay_alu instid0(VALU_DEP_1)
	v_and_b32_e32 v8, 7, v128
; %bb.223:                              ;   in Loop: Header=BB331_10 Depth=1
	s_or_b32 exec_lo, exec_lo, s21
	v_lshlrev_b32_e32 v117, 8, v117
	v_lshl_add_u32 v115, v115, 10, 0x2000
	s_delay_alu instid0(VALU_DEP_1) | instskip(NEXT) | instid1(VALU_DEP_1)
	v_and_or_b32 v115, 0x8000, v117, v115
	v_lshl_or_b32 v8, v8, 7, v115
	s_delay_alu instid0(VALU_DEP_1)
	v_cvt_f32_f16_e32 v115, v8
.LBB331_224:                            ;   in Loop: Header=BB331_10 Depth=1
	s_or_b32 exec_lo, exec_lo, s20
.LBB331_225:                            ;   in Loop: Header=BB331_10 Depth=1
	s_delay_alu instid0(SALU_CYCLE_1)
	s_or_b32 exec_lo, exec_lo, s19
.LBB331_226:                            ;   in Loop: Header=BB331_10 Depth=1
	s_delay_alu instid0(SALU_CYCLE_1)
	s_or_b32 exec_lo, exec_lo, s3
	v_dual_mov_b32 v118, 0 :: v_dual_mov_b32 v117, 0
	s_mov_b32 s3, exec_lo
	v_cmpx_lt_u32_e32 0xffffff, v119
	s_cbranch_execz .LBB331_234
; %bb.227:                              ;   in Loop: Header=BB331_10 Depth=1
	v_lshrrev_b32_e32 v119, 24, v119
	v_bfrev_b32_e32 v117, 1
	s_mov_b32 s19, exec_lo
	s_delay_alu instid0(VALU_DEP_2)
	v_cmpx_ne_u32_e32 0x80, v119
	s_cbranch_execz .LBB331_233
; %bb.228:                              ;   in Loop: Header=BB331_10 Depth=1
	v_and_b32_e32 v128, 0x7f, v119
	v_mov_b32_e32 v117, 0x7fc02000
	s_mov_b32 s20, exec_lo
	s_delay_alu instid0(VALU_DEP_2)
	v_cmpx_ne_u32_e32 0x7f, v128
	s_cbranch_execz .LBB331_232
; %bb.229:                              ;   in Loop: Header=BB331_10 Depth=1
	v_and_b32_e32 v8, 7, v119
	v_lshrrev_b32_e32 v117, 3, v128
	s_mov_b32 s21, exec_lo
	v_cmpx_gt_u32_e32 8, v128
; %bb.230:                              ;   in Loop: Header=BB331_10 Depth=1
	s_delay_alu instid0(VALU_DEP_3) | instskip(NEXT) | instid1(VALU_DEP_1)
	v_clz_i32_u32_e32 v117, v8
	v_min_u32_e32 v117, 32, v117
	s_delay_alu instid0(VALU_DEP_1) | instskip(SKIP_1) | instid1(VALU_DEP_2)
	v_subrev_nc_u32_e32 v128, 28, v117
	v_sub_nc_u32_e32 v117, 29, v117
	v_lshlrev_b64 v[128:129], v128, v[8:9]
	s_delay_alu instid0(VALU_DEP_1)
	v_and_b32_e32 v8, 7, v128
; %bb.231:                              ;   in Loop: Header=BB331_10 Depth=1
	s_or_b32 exec_lo, exec_lo, s21
	v_lshlrev_b32_e32 v119, 8, v119
	v_lshl_add_u32 v117, v117, 10, 0x2000
	s_delay_alu instid0(VALU_DEP_1) | instskip(NEXT) | instid1(VALU_DEP_1)
	v_and_or_b32 v117, 0x8000, v119, v117
	v_lshl_or_b32 v8, v8, 7, v117
	s_delay_alu instid0(VALU_DEP_1)
	v_cvt_f32_f16_e32 v117, v8
.LBB331_232:                            ;   in Loop: Header=BB331_10 Depth=1
	s_or_b32 exec_lo, exec_lo, s20
.LBB331_233:                            ;   in Loop: Header=BB331_10 Depth=1
	s_delay_alu instid0(SALU_CYCLE_1)
	s_or_b32 exec_lo, exec_lo, s19
.LBB331_234:                            ;   in Loop: Header=BB331_10 Depth=1
	s_delay_alu instid0(SALU_CYCLE_1) | instskip(SKIP_4) | instid1(VALU_DEP_1)
	s_or_b32 exec_lo, exec_lo, s3
	flat_load_b32 v131, v[28:29] offset:776
	s_mov_b32 s3, exec_lo
	s_waitcnt vmcnt(0) lgkmcnt(0)
	v_and_b32_e32 v8, 0xff, v131
	v_cmpx_ne_u16_e32 0, v8
	s_cbranch_execz .LBB331_242
; %bb.235:                              ;   in Loop: Header=BB331_10 Depth=1
	v_bfrev_b32_e32 v118, 1
	s_mov_b32 s19, exec_lo
	v_cmpx_ne_u16_e32 0x80, v8
	s_cbranch_execz .LBB331_241
; %bb.236:                              ;   in Loop: Header=BB331_10 Depth=1
	v_and_b32_e32 v119, 0x7f, v131
	v_mov_b32_e32 v118, 0x7fc02000
	s_mov_b32 s20, exec_lo
	s_delay_alu instid0(VALU_DEP_2)
	v_cmpx_ne_u32_e32 0x7f, v119
	s_cbranch_execz .LBB331_240
; %bb.237:                              ;   in Loop: Header=BB331_10 Depth=1
	v_and_b32_e32 v8, 7, v131
	v_lshrrev_b32_e32 v118, 3, v119
	s_mov_b32 s21, exec_lo
	v_cmpx_gt_u32_e32 8, v119
; %bb.238:                              ;   in Loop: Header=BB331_10 Depth=1
	s_delay_alu instid0(VALU_DEP_3) | instskip(NEXT) | instid1(VALU_DEP_1)
	v_clz_i32_u32_e32 v118, v8
	v_min_u32_e32 v118, 32, v118
	s_delay_alu instid0(VALU_DEP_1) | instskip(SKIP_1) | instid1(VALU_DEP_2)
	v_subrev_nc_u32_e32 v119, 28, v118
	v_sub_nc_u32_e32 v118, 29, v118
	v_lshlrev_b64 v[128:129], v119, v[8:9]
	s_delay_alu instid0(VALU_DEP_1)
	v_and_b32_e32 v8, 7, v128
; %bb.239:                              ;   in Loop: Header=BB331_10 Depth=1
	s_or_b32 exec_lo, exec_lo, s21
	v_lshlrev_b32_e32 v119, 8, v131
	v_lshl_add_u32 v118, v118, 10, 0x2000
	s_delay_alu instid0(VALU_DEP_1) | instskip(NEXT) | instid1(VALU_DEP_1)
	v_and_or_b32 v118, 0x8000, v119, v118
	v_lshl_or_b32 v8, v8, 7, v118
	s_delay_alu instid0(VALU_DEP_1)
	v_cvt_f32_f16_e32 v118, v8
.LBB331_240:                            ;   in Loop: Header=BB331_10 Depth=1
	s_or_b32 exec_lo, exec_lo, s20
.LBB331_241:                            ;   in Loop: Header=BB331_10 Depth=1
	s_delay_alu instid0(SALU_CYCLE_1)
	s_or_b32 exec_lo, exec_lo, s19
.LBB331_242:                            ;   in Loop: Header=BB331_10 Depth=1
	s_delay_alu instid0(SALU_CYCLE_1) | instskip(SKIP_3) | instid1(VALU_DEP_2)
	s_or_b32 exec_lo, exec_lo, s3
	v_lshrrev_b16 v8, 8, v131
	v_dual_mov_b32 v119, 0 :: v_dual_mov_b32 v128, 0
	s_mov_b32 s3, exec_lo
	v_cmpx_ne_u16_e32 0, v8
	s_cbranch_execz .LBB331_250
; %bb.243:                              ;   in Loop: Header=BB331_10 Depth=1
	v_bfrev_b32_e32 v128, 1
	s_mov_b32 s19, exec_lo
	v_cmpx_ne_u16_e32 0x80, v8
	s_cbranch_execz .LBB331_249
; %bb.244:                              ;   in Loop: Header=BB331_10 Depth=1
	v_and_b32_e32 v129, 0xffff, v8
	v_mov_b32_e32 v128, 0x7fc02000
	s_mov_b32 s20, exec_lo
	s_delay_alu instid0(VALU_DEP_2) | instskip(NEXT) | instid1(VALU_DEP_1)
	v_and_b32_e32 v130, 0x7f, v129
	v_cmpx_ne_u32_e32 0x7f, v130
	s_cbranch_execz .LBB331_248
; %bb.245:                              ;   in Loop: Header=BB331_10 Depth=1
	v_and_b32_e32 v8, 7, v129
	v_lshrrev_b32_e32 v128, 3, v130
	s_mov_b32 s21, exec_lo
	v_cmpx_gt_u32_e32 8, v130
; %bb.246:                              ;   in Loop: Header=BB331_10 Depth=1
	s_delay_alu instid0(VALU_DEP_3) | instskip(NEXT) | instid1(VALU_DEP_1)
	v_clz_i32_u32_e32 v128, v8
	v_min_u32_e32 v128, 32, v128
	s_delay_alu instid0(VALU_DEP_1) | instskip(SKIP_1) | instid1(VALU_DEP_2)
	v_subrev_nc_u32_e32 v130, 28, v128
	v_sub_nc_u32_e32 v128, 29, v128
	v_lshlrev_b64 v[132:133], v130, v[8:9]
	s_delay_alu instid0(VALU_DEP_1)
	v_and_b32_e32 v8, 7, v132
; %bb.247:                              ;   in Loop: Header=BB331_10 Depth=1
	s_or_b32 exec_lo, exec_lo, s21
	v_lshlrev_b32_e32 v129, 8, v129
	v_lshl_add_u32 v128, v128, 10, 0x2000
	s_delay_alu instid0(VALU_DEP_1) | instskip(NEXT) | instid1(VALU_DEP_1)
	v_and_or_b32 v128, 0x8000, v129, v128
	v_lshl_or_b32 v8, v8, 7, v128
	s_delay_alu instid0(VALU_DEP_1)
	v_cvt_f32_f16_e64 v128, v8
.LBB331_248:                            ;   in Loop: Header=BB331_10 Depth=1
	s_or_b32 exec_lo, exec_lo, s20
.LBB331_249:                            ;   in Loop: Header=BB331_10 Depth=1
	s_delay_alu instid0(SALU_CYCLE_1)
	s_or_b32 exec_lo, exec_lo, s19
.LBB331_250:                            ;   in Loop: Header=BB331_10 Depth=1
	s_delay_alu instid0(SALU_CYCLE_1) | instskip(SKIP_2) | instid1(VALU_DEP_1)
	s_or_b32 exec_lo, exec_lo, s3
	v_lshrrev_b32_e32 v129, 16, v131
	s_mov_b32 s3, exec_lo
	v_and_b32_e32 v8, 0xff, v129
	s_delay_alu instid0(VALU_DEP_1)
	v_cmpx_ne_u16_e32 0, v8
	s_cbranch_execz .LBB331_258
; %bb.251:                              ;   in Loop: Header=BB331_10 Depth=1
	v_bfrev_b32_e32 v119, 1
	s_mov_b32 s19, exec_lo
	v_cmpx_ne_u16_e32 0x80, v8
	s_cbranch_execz .LBB331_257
; %bb.252:                              ;   in Loop: Header=BB331_10 Depth=1
	v_bfe_u32 v130, v131, 16, 7
	v_mov_b32_e32 v119, 0x7fc02000
	s_mov_b32 s20, exec_lo
	s_delay_alu instid0(VALU_DEP_2)
	v_cmpx_ne_u32_e32 0x7f, v130
	s_cbranch_execz .LBB331_256
; %bb.253:                              ;   in Loop: Header=BB331_10 Depth=1
	v_and_b32_e32 v8, 7, v129
	v_lshrrev_b32_e32 v119, 3, v130
	s_mov_b32 s21, exec_lo
	v_cmpx_gt_u32_e32 8, v130
; %bb.254:                              ;   in Loop: Header=BB331_10 Depth=1
	s_delay_alu instid0(VALU_DEP_3) | instskip(NEXT) | instid1(VALU_DEP_1)
	v_clz_i32_u32_e32 v119, v8
	v_min_u32_e32 v119, 32, v119
	s_delay_alu instid0(VALU_DEP_1) | instskip(SKIP_1) | instid1(VALU_DEP_2)
	v_subrev_nc_u32_e32 v130, 28, v119
	v_sub_nc_u32_e32 v119, 29, v119
	v_lshlrev_b64 v[132:133], v130, v[8:9]
	s_delay_alu instid0(VALU_DEP_1)
	v_and_b32_e32 v8, 7, v132
; %bb.255:                              ;   in Loop: Header=BB331_10 Depth=1
	s_or_b32 exec_lo, exec_lo, s21
	v_lshlrev_b32_e32 v129, 8, v129
	v_lshl_add_u32 v119, v119, 10, 0x2000
	s_delay_alu instid0(VALU_DEP_1) | instskip(NEXT) | instid1(VALU_DEP_1)
	v_and_or_b32 v119, 0x8000, v129, v119
	v_lshl_or_b32 v8, v8, 7, v119
	s_delay_alu instid0(VALU_DEP_1)
	v_cvt_f32_f16_e32 v119, v8
.LBB331_256:                            ;   in Loop: Header=BB331_10 Depth=1
	s_or_b32 exec_lo, exec_lo, s20
.LBB331_257:                            ;   in Loop: Header=BB331_10 Depth=1
	s_delay_alu instid0(SALU_CYCLE_1)
	s_or_b32 exec_lo, exec_lo, s19
.LBB331_258:                            ;   in Loop: Header=BB331_10 Depth=1
	s_delay_alu instid0(SALU_CYCLE_1)
	s_or_b32 exec_lo, exec_lo, s3
	v_dual_mov_b32 v130, 0 :: v_dual_mov_b32 v129, 0
	s_mov_b32 s3, exec_lo
	v_cmpx_lt_u32_e32 0xffffff, v131
	s_cbranch_execz .LBB331_266
; %bb.259:                              ;   in Loop: Header=BB331_10 Depth=1
	v_lshrrev_b32_e32 v131, 24, v131
	v_bfrev_b32_e32 v129, 1
	s_mov_b32 s19, exec_lo
	s_delay_alu instid0(VALU_DEP_2)
	v_cmpx_ne_u32_e32 0x80, v131
	s_cbranch_execz .LBB331_265
; %bb.260:                              ;   in Loop: Header=BB331_10 Depth=1
	v_and_b32_e32 v132, 0x7f, v131
	v_mov_b32_e32 v129, 0x7fc02000
	s_mov_b32 s20, exec_lo
	s_delay_alu instid0(VALU_DEP_2)
	v_cmpx_ne_u32_e32 0x7f, v132
	s_cbranch_execz .LBB331_264
; %bb.261:                              ;   in Loop: Header=BB331_10 Depth=1
	v_and_b32_e32 v8, 7, v131
	v_lshrrev_b32_e32 v129, 3, v132
	s_mov_b32 s21, exec_lo
	v_cmpx_gt_u32_e32 8, v132
; %bb.262:                              ;   in Loop: Header=BB331_10 Depth=1
	s_delay_alu instid0(VALU_DEP_3) | instskip(NEXT) | instid1(VALU_DEP_1)
	v_clz_i32_u32_e32 v129, v8
	v_min_u32_e32 v129, 32, v129
	s_delay_alu instid0(VALU_DEP_1) | instskip(SKIP_1) | instid1(VALU_DEP_2)
	v_subrev_nc_u32_e32 v132, 28, v129
	v_sub_nc_u32_e32 v129, 29, v129
	v_lshlrev_b64 v[132:133], v132, v[8:9]
	s_delay_alu instid0(VALU_DEP_1)
	v_and_b32_e32 v8, 7, v132
; %bb.263:                              ;   in Loop: Header=BB331_10 Depth=1
	s_or_b32 exec_lo, exec_lo, s21
	v_lshlrev_b32_e32 v131, 8, v131
	v_lshl_add_u32 v129, v129, 10, 0x2000
	s_delay_alu instid0(VALU_DEP_1) | instskip(NEXT) | instid1(VALU_DEP_1)
	v_and_or_b32 v129, 0x8000, v131, v129
	v_lshl_or_b32 v8, v8, 7, v129
	s_delay_alu instid0(VALU_DEP_1)
	v_cvt_f32_f16_e64 v129, v8
.LBB331_264:                            ;   in Loop: Header=BB331_10 Depth=1
	s_or_b32 exec_lo, exec_lo, s20
.LBB331_265:                            ;   in Loop: Header=BB331_10 Depth=1
	s_delay_alu instid0(SALU_CYCLE_1)
	s_or_b32 exec_lo, exec_lo, s19
.LBB331_266:                            ;   in Loop: Header=BB331_10 Depth=1
	s_delay_alu instid0(SALU_CYCLE_1) | instskip(SKIP_4) | instid1(VALU_DEP_1)
	s_or_b32 exec_lo, exec_lo, s3
	flat_load_b32 v135, v[28:29] offset:1024
	s_mov_b32 s3, exec_lo
	s_waitcnt vmcnt(0) lgkmcnt(0)
	v_and_b32_e32 v8, 0xff, v135
	v_cmpx_ne_u16_e32 0, v8
	s_cbranch_execz .LBB331_274
; %bb.267:                              ;   in Loop: Header=BB331_10 Depth=1
	v_bfrev_b32_e32 v130, 1
	s_mov_b32 s19, exec_lo
	v_cmpx_ne_u16_e32 0x80, v8
	s_cbranch_execz .LBB331_273
; %bb.268:                              ;   in Loop: Header=BB331_10 Depth=1
	v_and_b32_e32 v131, 0x7f, v135
	v_mov_b32_e32 v130, 0x7fc02000
	s_mov_b32 s20, exec_lo
	s_delay_alu instid0(VALU_DEP_2)
	v_cmpx_ne_u32_e32 0x7f, v131
	s_cbranch_execz .LBB331_272
; %bb.269:                              ;   in Loop: Header=BB331_10 Depth=1
	v_and_b32_e32 v8, 7, v135
	v_lshrrev_b32_e32 v130, 3, v131
	s_mov_b32 s21, exec_lo
	v_cmpx_gt_u32_e32 8, v131
; %bb.270:                              ;   in Loop: Header=BB331_10 Depth=1
	s_delay_alu instid0(VALU_DEP_3) | instskip(NEXT) | instid1(VALU_DEP_1)
	v_clz_i32_u32_e32 v130, v8
	v_min_u32_e32 v130, 32, v130
	s_delay_alu instid0(VALU_DEP_1) | instskip(SKIP_1) | instid1(VALU_DEP_2)
	v_subrev_nc_u32_e32 v131, 28, v130
	v_sub_nc_u32_e32 v130, 29, v130
	v_lshlrev_b64 v[131:132], v131, v[8:9]
	s_delay_alu instid0(VALU_DEP_1)
	v_and_b32_e32 v8, 7, v131
; %bb.271:                              ;   in Loop: Header=BB331_10 Depth=1
	s_or_b32 exec_lo, exec_lo, s21
	v_lshlrev_b32_e32 v131, 8, v135
	v_lshl_add_u32 v130, v130, 10, 0x2000
	s_delay_alu instid0(VALU_DEP_1) | instskip(NEXT) | instid1(VALU_DEP_1)
	v_and_or_b32 v130, 0x8000, v131, v130
	v_lshl_or_b32 v8, v8, 7, v130
	s_delay_alu instid0(VALU_DEP_1)
	v_cvt_f32_f16_e64 v130, v8
.LBB331_272:                            ;   in Loop: Header=BB331_10 Depth=1
	s_or_b32 exec_lo, exec_lo, s20
.LBB331_273:                            ;   in Loop: Header=BB331_10 Depth=1
	s_delay_alu instid0(SALU_CYCLE_1)
	s_or_b32 exec_lo, exec_lo, s19
.LBB331_274:                            ;   in Loop: Header=BB331_10 Depth=1
	s_delay_alu instid0(SALU_CYCLE_1) | instskip(SKIP_3) | instid1(VALU_DEP_2)
	s_or_b32 exec_lo, exec_lo, s3
	v_lshrrev_b16 v8, 8, v135
	v_dual_mov_b32 v131, 0 :: v_dual_mov_b32 v132, 0
	s_mov_b32 s3, exec_lo
	v_cmpx_ne_u16_e32 0, v8
	s_cbranch_execz .LBB331_282
; %bb.275:                              ;   in Loop: Header=BB331_10 Depth=1
	v_bfrev_b32_e32 v132, 1
	s_mov_b32 s19, exec_lo
	v_cmpx_ne_u16_e32 0x80, v8
	s_cbranch_execz .LBB331_281
; %bb.276:                              ;   in Loop: Header=BB331_10 Depth=1
	v_and_b32_e32 v133, 0xffff, v8
	v_mov_b32_e32 v132, 0x7fc02000
	s_mov_b32 s20, exec_lo
	s_delay_alu instid0(VALU_DEP_2) | instskip(NEXT) | instid1(VALU_DEP_1)
	v_and_b32_e32 v134, 0x7f, v133
	v_cmpx_ne_u32_e32 0x7f, v134
	s_cbranch_execz .LBB331_280
; %bb.277:                              ;   in Loop: Header=BB331_10 Depth=1
	v_and_b32_e32 v8, 7, v133
	v_lshrrev_b32_e32 v132, 3, v134
	s_mov_b32 s21, exec_lo
	v_cmpx_gt_u32_e32 8, v134
; %bb.278:                              ;   in Loop: Header=BB331_10 Depth=1
	s_delay_alu instid0(VALU_DEP_3) | instskip(NEXT) | instid1(VALU_DEP_1)
	v_clz_i32_u32_e32 v132, v8
	v_min_u32_e32 v132, 32, v132
	s_delay_alu instid0(VALU_DEP_1) | instskip(SKIP_1) | instid1(VALU_DEP_2)
	v_subrev_nc_u32_e32 v134, 28, v132
	v_sub_nc_u32_e32 v132, 29, v132
	v_lshlrev_b64 v[144:145], v134, v[8:9]
	s_delay_alu instid0(VALU_DEP_1)
	v_and_b32_e32 v8, 7, v144
; %bb.279:                              ;   in Loop: Header=BB331_10 Depth=1
	s_or_b32 exec_lo, exec_lo, s21
	v_lshlrev_b32_e32 v133, 8, v133
	v_lshl_add_u32 v132, v132, 10, 0x2000
	s_delay_alu instid0(VALU_DEP_1) | instskip(NEXT) | instid1(VALU_DEP_1)
	v_and_or_b32 v132, 0x8000, v133, v132
	v_lshl_or_b32 v8, v8, 7, v132
	s_delay_alu instid0(VALU_DEP_1)
	v_cvt_f32_f16_e64 v132, v8
.LBB331_280:                            ;   in Loop: Header=BB331_10 Depth=1
	s_or_b32 exec_lo, exec_lo, s20
.LBB331_281:                            ;   in Loop: Header=BB331_10 Depth=1
	s_delay_alu instid0(SALU_CYCLE_1)
	s_or_b32 exec_lo, exec_lo, s19
.LBB331_282:                            ;   in Loop: Header=BB331_10 Depth=1
	s_delay_alu instid0(SALU_CYCLE_1) | instskip(SKIP_2) | instid1(VALU_DEP_1)
	s_or_b32 exec_lo, exec_lo, s3
	v_lshrrev_b32_e32 v133, 16, v135
	s_mov_b32 s3, exec_lo
	v_and_b32_e32 v8, 0xff, v133
	s_delay_alu instid0(VALU_DEP_1)
	v_cmpx_ne_u16_e32 0, v8
	s_cbranch_execz .LBB331_290
; %bb.283:                              ;   in Loop: Header=BB331_10 Depth=1
	v_bfrev_b32_e32 v131, 1
	s_mov_b32 s19, exec_lo
	v_cmpx_ne_u16_e32 0x80, v8
	s_cbranch_execz .LBB331_289
; %bb.284:                              ;   in Loop: Header=BB331_10 Depth=1
	v_bfe_u32 v134, v135, 16, 7
	v_mov_b32_e32 v131, 0x7fc02000
	s_mov_b32 s20, exec_lo
	s_delay_alu instid0(VALU_DEP_2)
	v_cmpx_ne_u32_e32 0x7f, v134
	s_cbranch_execz .LBB331_288
; %bb.285:                              ;   in Loop: Header=BB331_10 Depth=1
	v_and_b32_e32 v8, 7, v133
	v_lshrrev_b32_e32 v131, 3, v134
	s_mov_b32 s21, exec_lo
	v_cmpx_gt_u32_e32 8, v134
; %bb.286:                              ;   in Loop: Header=BB331_10 Depth=1
	s_delay_alu instid0(VALU_DEP_3) | instskip(NEXT) | instid1(VALU_DEP_1)
	v_clz_i32_u32_e32 v131, v8
	v_min_u32_e32 v131, 32, v131
	s_delay_alu instid0(VALU_DEP_1) | instskip(SKIP_1) | instid1(VALU_DEP_2)
	v_subrev_nc_u32_e32 v134, 28, v131
	v_sub_nc_u32_e32 v131, 29, v131
	v_lshlrev_b64 v[144:145], v134, v[8:9]
	s_delay_alu instid0(VALU_DEP_1)
	v_and_b32_e32 v8, 7, v144
; %bb.287:                              ;   in Loop: Header=BB331_10 Depth=1
	s_or_b32 exec_lo, exec_lo, s21
	v_lshlrev_b32_e32 v133, 8, v133
	v_lshl_add_u32 v131, v131, 10, 0x2000
	s_delay_alu instid0(VALU_DEP_1) | instskip(NEXT) | instid1(VALU_DEP_1)
	v_and_or_b32 v131, 0x8000, v133, v131
	v_lshl_or_b32 v8, v8, 7, v131
	s_delay_alu instid0(VALU_DEP_1)
	v_cvt_f32_f16_e64 v131, v8
.LBB331_288:                            ;   in Loop: Header=BB331_10 Depth=1
	s_or_b32 exec_lo, exec_lo, s20
.LBB331_289:                            ;   in Loop: Header=BB331_10 Depth=1
	s_delay_alu instid0(SALU_CYCLE_1)
	s_or_b32 exec_lo, exec_lo, s19
.LBB331_290:                            ;   in Loop: Header=BB331_10 Depth=1
	s_delay_alu instid0(SALU_CYCLE_1)
	s_or_b32 exec_lo, exec_lo, s3
	v_dual_mov_b32 v134, 0 :: v_dual_mov_b32 v133, 0
	s_mov_b32 s3, exec_lo
	v_cmpx_lt_u32_e32 0xffffff, v135
	s_cbranch_execz .LBB331_298
; %bb.291:                              ;   in Loop: Header=BB331_10 Depth=1
	v_lshrrev_b32_e32 v135, 24, v135
	v_bfrev_b32_e32 v133, 1
	s_mov_b32 s19, exec_lo
	s_delay_alu instid0(VALU_DEP_2)
	v_cmpx_ne_u32_e32 0x80, v135
	s_cbranch_execz .LBB331_297
; %bb.292:                              ;   in Loop: Header=BB331_10 Depth=1
	v_and_b32_e32 v144, 0x7f, v135
	v_mov_b32_e32 v133, 0x7fc02000
	s_mov_b32 s20, exec_lo
	s_delay_alu instid0(VALU_DEP_2)
	v_cmpx_ne_u32_e32 0x7f, v144
	s_cbranch_execz .LBB331_296
; %bb.293:                              ;   in Loop: Header=BB331_10 Depth=1
	v_and_b32_e32 v8, 7, v135
	v_lshrrev_b32_e32 v133, 3, v144
	s_mov_b32 s21, exec_lo
	v_cmpx_gt_u32_e32 8, v144
; %bb.294:                              ;   in Loop: Header=BB331_10 Depth=1
	s_delay_alu instid0(VALU_DEP_3) | instskip(NEXT) | instid1(VALU_DEP_1)
	v_clz_i32_u32_e32 v133, v8
	v_min_u32_e32 v133, 32, v133
	s_delay_alu instid0(VALU_DEP_1) | instskip(SKIP_1) | instid1(VALU_DEP_2)
	v_subrev_nc_u32_e32 v144, 28, v133
	v_sub_nc_u32_e32 v133, 29, v133
	v_lshlrev_b64 v[144:145], v144, v[8:9]
	s_delay_alu instid0(VALU_DEP_1)
	v_and_b32_e32 v8, 7, v144
; %bb.295:                              ;   in Loop: Header=BB331_10 Depth=1
	s_or_b32 exec_lo, exec_lo, s21
	v_lshlrev_b32_e32 v135, 8, v135
	v_lshl_add_u32 v133, v133, 10, 0x2000
	s_delay_alu instid0(VALU_DEP_1) | instskip(NEXT) | instid1(VALU_DEP_1)
	v_and_or_b32 v133, 0x8000, v135, v133
	v_lshl_or_b32 v8, v8, 7, v133
	s_delay_alu instid0(VALU_DEP_1)
	v_cvt_f32_f16_e64 v133, v8
.LBB331_296:                            ;   in Loop: Header=BB331_10 Depth=1
	s_or_b32 exec_lo, exec_lo, s20
.LBB331_297:                            ;   in Loop: Header=BB331_10 Depth=1
	s_delay_alu instid0(SALU_CYCLE_1)
	s_or_b32 exec_lo, exec_lo, s19
.LBB331_298:                            ;   in Loop: Header=BB331_10 Depth=1
	s_delay_alu instid0(SALU_CYCLE_1) | instskip(SKIP_4) | instid1(VALU_DEP_1)
	s_or_b32 exec_lo, exec_lo, s3
	flat_load_b32 v147, v[28:29] offset:1032
	s_mov_b32 s3, exec_lo
	s_waitcnt vmcnt(0) lgkmcnt(0)
	v_and_b32_e32 v8, 0xff, v147
	v_cmpx_ne_u16_e32 0, v8
	s_cbranch_execz .LBB331_306
; %bb.299:                              ;   in Loop: Header=BB331_10 Depth=1
	v_bfrev_b32_e32 v134, 1
	s_mov_b32 s19, exec_lo
	v_cmpx_ne_u16_e32 0x80, v8
	s_cbranch_execz .LBB331_305
; %bb.300:                              ;   in Loop: Header=BB331_10 Depth=1
	v_and_b32_e32 v135, 0x7f, v147
	v_mov_b32_e32 v134, 0x7fc02000
	s_mov_b32 s20, exec_lo
	s_delay_alu instid0(VALU_DEP_2)
	v_cmpx_ne_u32_e32 0x7f, v135
	s_cbranch_execz .LBB331_304
; %bb.301:                              ;   in Loop: Header=BB331_10 Depth=1
	v_and_b32_e32 v8, 7, v147
	v_lshrrev_b32_e32 v134, 3, v135
	s_mov_b32 s21, exec_lo
	v_cmpx_gt_u32_e32 8, v135
; %bb.302:                              ;   in Loop: Header=BB331_10 Depth=1
	s_delay_alu instid0(VALU_DEP_3) | instskip(NEXT) | instid1(VALU_DEP_1)
	v_clz_i32_u32_e32 v134, v8
	v_min_u32_e32 v134, 32, v134
	s_delay_alu instid0(VALU_DEP_1) | instskip(SKIP_1) | instid1(VALU_DEP_2)
	v_subrev_nc_u32_e32 v135, 28, v134
	v_sub_nc_u32_e32 v134, 29, v134
	v_lshlrev_b64 v[144:145], v135, v[8:9]
	s_delay_alu instid0(VALU_DEP_1)
	v_and_b32_e32 v8, 7, v144
; %bb.303:                              ;   in Loop: Header=BB331_10 Depth=1
	s_or_b32 exec_lo, exec_lo, s21
	v_lshlrev_b32_e32 v135, 8, v147
	v_lshl_add_u32 v134, v134, 10, 0x2000
	s_delay_alu instid0(VALU_DEP_1) | instskip(NEXT) | instid1(VALU_DEP_1)
	v_and_or_b32 v134, 0x8000, v135, v134
	v_lshl_or_b32 v8, v8, 7, v134
	s_delay_alu instid0(VALU_DEP_1)
	v_cvt_f32_f16_e64 v134, v8
.LBB331_304:                            ;   in Loop: Header=BB331_10 Depth=1
	s_or_b32 exec_lo, exec_lo, s20
.LBB331_305:                            ;   in Loop: Header=BB331_10 Depth=1
	s_delay_alu instid0(SALU_CYCLE_1)
	s_or_b32 exec_lo, exec_lo, s19
.LBB331_306:                            ;   in Loop: Header=BB331_10 Depth=1
	s_delay_alu instid0(SALU_CYCLE_1) | instskip(SKIP_3) | instid1(VALU_DEP_2)
	s_or_b32 exec_lo, exec_lo, s3
	v_lshrrev_b16 v8, 8, v147
	v_dual_mov_b32 v135, 0 :: v_dual_mov_b32 v144, 0
	s_mov_b32 s3, exec_lo
	v_cmpx_ne_u16_e32 0, v8
	s_cbranch_execz .LBB331_314
; %bb.307:                              ;   in Loop: Header=BB331_10 Depth=1
	v_bfrev_b32_e32 v144, 1
	s_mov_b32 s19, exec_lo
	v_cmpx_ne_u16_e32 0x80, v8
	s_cbranch_execz .LBB331_313
; %bb.308:                              ;   in Loop: Header=BB331_10 Depth=1
	v_and_b32_e32 v145, 0xffff, v8
	v_mov_b32_e32 v144, 0x7fc02000
	s_mov_b32 s20, exec_lo
	s_delay_alu instid0(VALU_DEP_2) | instskip(NEXT) | instid1(VALU_DEP_1)
	v_and_b32_e32 v146, 0x7f, v145
	v_cmpx_ne_u32_e32 0x7f, v146
	s_cbranch_execz .LBB331_312
; %bb.309:                              ;   in Loop: Header=BB331_10 Depth=1
	v_and_b32_e32 v8, 7, v145
	v_lshrrev_b32_e32 v144, 3, v146
	s_mov_b32 s21, exec_lo
	v_cmpx_gt_u32_e32 8, v146
; %bb.310:                              ;   in Loop: Header=BB331_10 Depth=1
	s_delay_alu instid0(VALU_DEP_3) | instskip(NEXT) | instid1(VALU_DEP_1)
	v_clz_i32_u32_e32 v144, v8
	v_min_u32_e32 v144, 32, v144
	s_delay_alu instid0(VALU_DEP_1) | instskip(SKIP_1) | instid1(VALU_DEP_2)
	v_subrev_nc_u32_e32 v146, 28, v144
	v_sub_nc_u32_e32 v144, 29, v144
	v_lshlrev_b64 v[148:149], v146, v[8:9]
	s_delay_alu instid0(VALU_DEP_1)
	v_and_b32_e32 v8, 7, v148
; %bb.311:                              ;   in Loop: Header=BB331_10 Depth=1
	s_or_b32 exec_lo, exec_lo, s21
	v_lshlrev_b32_e32 v145, 8, v145
	v_lshl_add_u32 v144, v144, 10, 0x2000
	s_delay_alu instid0(VALU_DEP_1) | instskip(NEXT) | instid1(VALU_DEP_1)
	v_and_or_b32 v144, 0x8000, v145, v144
	v_lshl_or_b32 v8, v8, 7, v144
	s_delay_alu instid0(VALU_DEP_1)
	v_cvt_f32_f16_e64 v144, v8
.LBB331_312:                            ;   in Loop: Header=BB331_10 Depth=1
	s_or_b32 exec_lo, exec_lo, s20
.LBB331_313:                            ;   in Loop: Header=BB331_10 Depth=1
	s_delay_alu instid0(SALU_CYCLE_1)
	s_or_b32 exec_lo, exec_lo, s19
.LBB331_314:                            ;   in Loop: Header=BB331_10 Depth=1
	s_delay_alu instid0(SALU_CYCLE_1) | instskip(SKIP_2) | instid1(VALU_DEP_1)
	s_or_b32 exec_lo, exec_lo, s3
	v_lshrrev_b32_e32 v145, 16, v147
	s_mov_b32 s3, exec_lo
	v_and_b32_e32 v8, 0xff, v145
	s_delay_alu instid0(VALU_DEP_1)
	v_cmpx_ne_u16_e32 0, v8
	s_cbranch_execz .LBB331_322
; %bb.315:                              ;   in Loop: Header=BB331_10 Depth=1
	v_bfrev_b32_e32 v135, 1
	s_mov_b32 s19, exec_lo
	v_cmpx_ne_u16_e32 0x80, v8
	s_cbranch_execz .LBB331_321
; %bb.316:                              ;   in Loop: Header=BB331_10 Depth=1
	v_bfe_u32 v146, v147, 16, 7
	v_mov_b32_e32 v135, 0x7fc02000
	s_mov_b32 s20, exec_lo
	s_delay_alu instid0(VALU_DEP_2)
	v_cmpx_ne_u32_e32 0x7f, v146
	s_cbranch_execz .LBB331_320
; %bb.317:                              ;   in Loop: Header=BB331_10 Depth=1
	v_and_b32_e32 v8, 7, v145
	v_lshrrev_b32_e32 v135, 3, v146
	s_mov_b32 s21, exec_lo
	v_cmpx_gt_u32_e32 8, v146
; %bb.318:                              ;   in Loop: Header=BB331_10 Depth=1
	s_delay_alu instid0(VALU_DEP_3) | instskip(NEXT) | instid1(VALU_DEP_1)
	v_clz_i32_u32_e32 v135, v8
	v_min_u32_e32 v135, 32, v135
	s_delay_alu instid0(VALU_DEP_1) | instskip(SKIP_1) | instid1(VALU_DEP_2)
	v_subrev_nc_u32_e32 v146, 28, v135
	v_sub_nc_u32_e32 v135, 29, v135
	v_lshlrev_b64 v[148:149], v146, v[8:9]
	s_delay_alu instid0(VALU_DEP_1)
	v_and_b32_e32 v8, 7, v148
; %bb.319:                              ;   in Loop: Header=BB331_10 Depth=1
	s_or_b32 exec_lo, exec_lo, s21
	v_lshlrev_b32_e32 v145, 8, v145
	v_lshl_add_u32 v135, v135, 10, 0x2000
	s_delay_alu instid0(VALU_DEP_1) | instskip(NEXT) | instid1(VALU_DEP_1)
	v_and_or_b32 v135, 0x8000, v145, v135
	v_lshl_or_b32 v8, v8, 7, v135
	s_delay_alu instid0(VALU_DEP_1)
	v_cvt_f32_f16_e64 v135, v8
.LBB331_320:                            ;   in Loop: Header=BB331_10 Depth=1
	s_or_b32 exec_lo, exec_lo, s20
.LBB331_321:                            ;   in Loop: Header=BB331_10 Depth=1
	s_delay_alu instid0(SALU_CYCLE_1)
	s_or_b32 exec_lo, exec_lo, s19
.LBB331_322:                            ;   in Loop: Header=BB331_10 Depth=1
	s_delay_alu instid0(SALU_CYCLE_1)
	s_or_b32 exec_lo, exec_lo, s3
	v_dual_mov_b32 v146, 0 :: v_dual_mov_b32 v145, 0
	s_mov_b32 s3, exec_lo
	v_cmpx_lt_u32_e32 0xffffff, v147
	s_cbranch_execz .LBB331_330
; %bb.323:                              ;   in Loop: Header=BB331_10 Depth=1
	v_lshrrev_b32_e32 v147, 24, v147
	v_bfrev_b32_e32 v145, 1
	s_mov_b32 s19, exec_lo
	s_delay_alu instid0(VALU_DEP_2)
	v_cmpx_ne_u32_e32 0x80, v147
	s_cbranch_execz .LBB331_329
; %bb.324:                              ;   in Loop: Header=BB331_10 Depth=1
	v_and_b32_e32 v148, 0x7f, v147
	v_mov_b32_e32 v145, 0x7fc02000
	s_mov_b32 s20, exec_lo
	s_delay_alu instid0(VALU_DEP_2)
	v_cmpx_ne_u32_e32 0x7f, v148
	s_cbranch_execz .LBB331_328
; %bb.325:                              ;   in Loop: Header=BB331_10 Depth=1
	v_and_b32_e32 v8, 7, v147
	v_lshrrev_b32_e32 v145, 3, v148
	s_mov_b32 s21, exec_lo
	v_cmpx_gt_u32_e32 8, v148
; %bb.326:                              ;   in Loop: Header=BB331_10 Depth=1
	s_delay_alu instid0(VALU_DEP_3) | instskip(NEXT) | instid1(VALU_DEP_1)
	v_clz_i32_u32_e32 v145, v8
	v_min_u32_e32 v145, 32, v145
	s_delay_alu instid0(VALU_DEP_1) | instskip(SKIP_1) | instid1(VALU_DEP_2)
	v_subrev_nc_u32_e32 v148, 28, v145
	v_sub_nc_u32_e32 v145, 29, v145
	v_lshlrev_b64 v[148:149], v148, v[8:9]
	s_delay_alu instid0(VALU_DEP_1)
	v_and_b32_e32 v8, 7, v148
; %bb.327:                              ;   in Loop: Header=BB331_10 Depth=1
	s_or_b32 exec_lo, exec_lo, s21
	v_lshlrev_b32_e32 v147, 8, v147
	v_lshl_add_u32 v145, v145, 10, 0x2000
	s_delay_alu instid0(VALU_DEP_1) | instskip(NEXT) | instid1(VALU_DEP_1)
	v_and_or_b32 v145, 0x8000, v147, v145
	v_lshl_or_b32 v8, v8, 7, v145
	s_delay_alu instid0(VALU_DEP_1)
	v_cvt_f32_f16_e64 v145, v8
.LBB331_328:                            ;   in Loop: Header=BB331_10 Depth=1
	s_or_b32 exec_lo, exec_lo, s20
.LBB331_329:                            ;   in Loop: Header=BB331_10 Depth=1
	s_delay_alu instid0(SALU_CYCLE_1)
	s_or_b32 exec_lo, exec_lo, s19
.LBB331_330:                            ;   in Loop: Header=BB331_10 Depth=1
	s_delay_alu instid0(SALU_CYCLE_1) | instskip(SKIP_4) | instid1(VALU_DEP_1)
	s_or_b32 exec_lo, exec_lo, s3
	flat_load_b32 v151, v[28:29] offset:1280
	s_mov_b32 s3, exec_lo
	s_waitcnt vmcnt(0) lgkmcnt(0)
	v_and_b32_e32 v8, 0xff, v151
	v_cmpx_ne_u16_e32 0, v8
	s_cbranch_execz .LBB331_338
; %bb.331:                              ;   in Loop: Header=BB331_10 Depth=1
	v_bfrev_b32_e32 v146, 1
	s_mov_b32 s19, exec_lo
	v_cmpx_ne_u16_e32 0x80, v8
	s_cbranch_execz .LBB331_337
; %bb.332:                              ;   in Loop: Header=BB331_10 Depth=1
	v_and_b32_e32 v147, 0x7f, v151
	v_mov_b32_e32 v146, 0x7fc02000
	s_mov_b32 s20, exec_lo
	s_delay_alu instid0(VALU_DEP_2)
	v_cmpx_ne_u32_e32 0x7f, v147
	s_cbranch_execz .LBB331_336
; %bb.333:                              ;   in Loop: Header=BB331_10 Depth=1
	v_and_b32_e32 v8, 7, v151
	v_lshrrev_b32_e32 v146, 3, v147
	s_mov_b32 s21, exec_lo
	v_cmpx_gt_u32_e32 8, v147
; %bb.334:                              ;   in Loop: Header=BB331_10 Depth=1
	s_delay_alu instid0(VALU_DEP_3) | instskip(NEXT) | instid1(VALU_DEP_1)
	v_clz_i32_u32_e32 v146, v8
	v_min_u32_e32 v146, 32, v146
	s_delay_alu instid0(VALU_DEP_1) | instskip(SKIP_1) | instid1(VALU_DEP_2)
	v_subrev_nc_u32_e32 v147, 28, v146
	v_sub_nc_u32_e32 v146, 29, v146
	v_lshlrev_b64 v[147:148], v147, v[8:9]
	s_delay_alu instid0(VALU_DEP_1)
	v_and_b32_e32 v8, 7, v147
; %bb.335:                              ;   in Loop: Header=BB331_10 Depth=1
	s_or_b32 exec_lo, exec_lo, s21
	v_lshlrev_b32_e32 v147, 8, v151
	v_lshl_add_u32 v146, v146, 10, 0x2000
	s_delay_alu instid0(VALU_DEP_1) | instskip(NEXT) | instid1(VALU_DEP_1)
	v_and_or_b32 v146, 0x8000, v147, v146
	v_lshl_or_b32 v8, v8, 7, v146
	s_delay_alu instid0(VALU_DEP_1)
	v_cvt_f32_f16_e64 v146, v8
.LBB331_336:                            ;   in Loop: Header=BB331_10 Depth=1
	s_or_b32 exec_lo, exec_lo, s20
.LBB331_337:                            ;   in Loop: Header=BB331_10 Depth=1
	s_delay_alu instid0(SALU_CYCLE_1)
	s_or_b32 exec_lo, exec_lo, s19
.LBB331_338:                            ;   in Loop: Header=BB331_10 Depth=1
	s_delay_alu instid0(SALU_CYCLE_1) | instskip(SKIP_3) | instid1(VALU_DEP_2)
	s_or_b32 exec_lo, exec_lo, s3
	v_lshrrev_b16 v8, 8, v151
	v_dual_mov_b32 v147, 0 :: v_dual_mov_b32 v148, 0
	s_mov_b32 s3, exec_lo
	v_cmpx_ne_u16_e32 0, v8
	s_cbranch_execz .LBB331_346
; %bb.339:                              ;   in Loop: Header=BB331_10 Depth=1
	v_bfrev_b32_e32 v148, 1
	s_mov_b32 s19, exec_lo
	v_cmpx_ne_u16_e32 0x80, v8
	s_cbranch_execz .LBB331_345
; %bb.340:                              ;   in Loop: Header=BB331_10 Depth=1
	v_and_b32_e32 v149, 0xffff, v8
	v_mov_b32_e32 v148, 0x7fc02000
	s_mov_b32 s20, exec_lo
	s_delay_alu instid0(VALU_DEP_2) | instskip(NEXT) | instid1(VALU_DEP_1)
	v_and_b32_e32 v150, 0x7f, v149
	v_cmpx_ne_u32_e32 0x7f, v150
	s_cbranch_execz .LBB331_344
; %bb.341:                              ;   in Loop: Header=BB331_10 Depth=1
	v_and_b32_e32 v8, 7, v149
	v_lshrrev_b32_e32 v148, 3, v150
	s_mov_b32 s21, exec_lo
	v_cmpx_gt_u32_e32 8, v150
; %bb.342:                              ;   in Loop: Header=BB331_10 Depth=1
	s_delay_alu instid0(VALU_DEP_3) | instskip(NEXT) | instid1(VALU_DEP_1)
	v_clz_i32_u32_e32 v148, v8
	v_min_u32_e32 v148, 32, v148
	s_delay_alu instid0(VALU_DEP_1) | instskip(SKIP_1) | instid1(VALU_DEP_2)
	v_subrev_nc_u32_e32 v150, 28, v148
	v_sub_nc_u32_e32 v148, 29, v148
	v_lshlrev_b64 v[160:161], v150, v[8:9]
	s_delay_alu instid0(VALU_DEP_1)
	v_and_b32_e32 v8, 7, v160
; %bb.343:                              ;   in Loop: Header=BB331_10 Depth=1
	s_or_b32 exec_lo, exec_lo, s21
	v_lshlrev_b32_e32 v149, 8, v149
	v_lshl_add_u32 v148, v148, 10, 0x2000
	s_delay_alu instid0(VALU_DEP_1) | instskip(NEXT) | instid1(VALU_DEP_1)
	v_and_or_b32 v148, 0x8000, v149, v148
	v_lshl_or_b32 v8, v8, 7, v148
	s_delay_alu instid0(VALU_DEP_1)
	v_cvt_f32_f16_e64 v148, v8
.LBB331_344:                            ;   in Loop: Header=BB331_10 Depth=1
	s_or_b32 exec_lo, exec_lo, s20
.LBB331_345:                            ;   in Loop: Header=BB331_10 Depth=1
	s_delay_alu instid0(SALU_CYCLE_1)
	s_or_b32 exec_lo, exec_lo, s19
.LBB331_346:                            ;   in Loop: Header=BB331_10 Depth=1
	s_delay_alu instid0(SALU_CYCLE_1) | instskip(SKIP_2) | instid1(VALU_DEP_1)
	s_or_b32 exec_lo, exec_lo, s3
	v_lshrrev_b32_e32 v149, 16, v151
	s_mov_b32 s3, exec_lo
	v_and_b32_e32 v8, 0xff, v149
	s_delay_alu instid0(VALU_DEP_1)
	v_cmpx_ne_u16_e32 0, v8
	s_cbranch_execz .LBB331_354
; %bb.347:                              ;   in Loop: Header=BB331_10 Depth=1
	v_bfrev_b32_e32 v147, 1
	s_mov_b32 s19, exec_lo
	v_cmpx_ne_u16_e32 0x80, v8
	s_cbranch_execz .LBB331_353
; %bb.348:                              ;   in Loop: Header=BB331_10 Depth=1
	v_bfe_u32 v150, v151, 16, 7
	v_mov_b32_e32 v147, 0x7fc02000
	s_mov_b32 s20, exec_lo
	s_delay_alu instid0(VALU_DEP_2)
	v_cmpx_ne_u32_e32 0x7f, v150
	s_cbranch_execz .LBB331_352
; %bb.349:                              ;   in Loop: Header=BB331_10 Depth=1
	v_and_b32_e32 v8, 7, v149
	v_lshrrev_b32_e32 v147, 3, v150
	s_mov_b32 s21, exec_lo
	v_cmpx_gt_u32_e32 8, v150
; %bb.350:                              ;   in Loop: Header=BB331_10 Depth=1
	s_delay_alu instid0(VALU_DEP_3) | instskip(NEXT) | instid1(VALU_DEP_1)
	v_clz_i32_u32_e32 v147, v8
	v_min_u32_e32 v147, 32, v147
	s_delay_alu instid0(VALU_DEP_1) | instskip(SKIP_1) | instid1(VALU_DEP_2)
	v_subrev_nc_u32_e32 v150, 28, v147
	v_sub_nc_u32_e32 v147, 29, v147
	v_lshlrev_b64 v[160:161], v150, v[8:9]
	s_delay_alu instid0(VALU_DEP_1)
	v_and_b32_e32 v8, 7, v160
; %bb.351:                              ;   in Loop: Header=BB331_10 Depth=1
	s_or_b32 exec_lo, exec_lo, s21
	v_lshlrev_b32_e32 v149, 8, v149
	v_lshl_add_u32 v147, v147, 10, 0x2000
	s_delay_alu instid0(VALU_DEP_1) | instskip(NEXT) | instid1(VALU_DEP_1)
	v_and_or_b32 v147, 0x8000, v149, v147
	v_lshl_or_b32 v8, v8, 7, v147
	s_delay_alu instid0(VALU_DEP_1)
	v_cvt_f32_f16_e64 v147, v8
.LBB331_352:                            ;   in Loop: Header=BB331_10 Depth=1
	s_or_b32 exec_lo, exec_lo, s20
.LBB331_353:                            ;   in Loop: Header=BB331_10 Depth=1
	s_delay_alu instid0(SALU_CYCLE_1)
	s_or_b32 exec_lo, exec_lo, s19
.LBB331_354:                            ;   in Loop: Header=BB331_10 Depth=1
	s_delay_alu instid0(SALU_CYCLE_1)
	s_or_b32 exec_lo, exec_lo, s3
	v_dual_mov_b32 v150, 0 :: v_dual_mov_b32 v149, 0
	s_mov_b32 s3, exec_lo
	v_cmpx_lt_u32_e32 0xffffff, v151
	s_cbranch_execz .LBB331_362
; %bb.355:                              ;   in Loop: Header=BB331_10 Depth=1
	v_lshrrev_b32_e32 v151, 24, v151
	v_bfrev_b32_e32 v149, 1
	s_mov_b32 s19, exec_lo
	s_delay_alu instid0(VALU_DEP_2)
	v_cmpx_ne_u32_e32 0x80, v151
	s_cbranch_execz .LBB331_361
; %bb.356:                              ;   in Loop: Header=BB331_10 Depth=1
	v_and_b32_e32 v160, 0x7f, v151
	v_mov_b32_e32 v149, 0x7fc02000
	s_mov_b32 s20, exec_lo
	s_delay_alu instid0(VALU_DEP_2)
	v_cmpx_ne_u32_e32 0x7f, v160
	s_cbranch_execz .LBB331_360
; %bb.357:                              ;   in Loop: Header=BB331_10 Depth=1
	v_and_b32_e32 v8, 7, v151
	v_lshrrev_b32_e32 v149, 3, v160
	s_mov_b32 s21, exec_lo
	v_cmpx_gt_u32_e32 8, v160
; %bb.358:                              ;   in Loop: Header=BB331_10 Depth=1
	s_delay_alu instid0(VALU_DEP_3) | instskip(NEXT) | instid1(VALU_DEP_1)
	v_clz_i32_u32_e32 v149, v8
	v_min_u32_e32 v149, 32, v149
	s_delay_alu instid0(VALU_DEP_1) | instskip(SKIP_1) | instid1(VALU_DEP_2)
	v_subrev_nc_u32_e32 v160, 28, v149
	v_sub_nc_u32_e32 v149, 29, v149
	v_lshlrev_b64 v[160:161], v160, v[8:9]
	s_delay_alu instid0(VALU_DEP_1)
	v_and_b32_e32 v8, 7, v160
; %bb.359:                              ;   in Loop: Header=BB331_10 Depth=1
	s_or_b32 exec_lo, exec_lo, s21
	v_lshlrev_b32_e32 v151, 8, v151
	v_lshl_add_u32 v149, v149, 10, 0x2000
	s_delay_alu instid0(VALU_DEP_1) | instskip(NEXT) | instid1(VALU_DEP_1)
	v_and_or_b32 v149, 0x8000, v151, v149
	v_lshl_or_b32 v8, v8, 7, v149
	s_delay_alu instid0(VALU_DEP_1)
	v_cvt_f32_f16_e64 v149, v8
.LBB331_360:                            ;   in Loop: Header=BB331_10 Depth=1
	s_or_b32 exec_lo, exec_lo, s20
.LBB331_361:                            ;   in Loop: Header=BB331_10 Depth=1
	s_delay_alu instid0(SALU_CYCLE_1)
	s_or_b32 exec_lo, exec_lo, s19
.LBB331_362:                            ;   in Loop: Header=BB331_10 Depth=1
	s_delay_alu instid0(SALU_CYCLE_1) | instskip(SKIP_4) | instid1(VALU_DEP_1)
	s_or_b32 exec_lo, exec_lo, s3
	flat_load_b32 v162, v[28:29] offset:1288
	s_mov_b32 s3, exec_lo
	s_waitcnt vmcnt(0) lgkmcnt(0)
	v_and_b32_e32 v8, 0xff, v162
	v_cmpx_ne_u16_e32 0, v8
	s_cbranch_execz .LBB331_370
; %bb.363:                              ;   in Loop: Header=BB331_10 Depth=1
	v_bfrev_b32_e32 v150, 1
	s_mov_b32 s19, exec_lo
	v_cmpx_ne_u16_e32 0x80, v8
	s_cbranch_execz .LBB331_369
; %bb.364:                              ;   in Loop: Header=BB331_10 Depth=1
	v_and_b32_e32 v151, 0x7f, v162
	v_mov_b32_e32 v150, 0x7fc02000
	s_mov_b32 s20, exec_lo
	s_delay_alu instid0(VALU_DEP_2)
	v_cmpx_ne_u32_e32 0x7f, v151
	s_cbranch_execz .LBB331_368
; %bb.365:                              ;   in Loop: Header=BB331_10 Depth=1
	v_and_b32_e32 v8, 7, v162
	v_lshrrev_b32_e32 v150, 3, v151
	s_mov_b32 s21, exec_lo
	v_cmpx_gt_u32_e32 8, v151
; %bb.366:                              ;   in Loop: Header=BB331_10 Depth=1
	s_delay_alu instid0(VALU_DEP_3) | instskip(NEXT) | instid1(VALU_DEP_1)
	v_clz_i32_u32_e32 v150, v8
	v_min_u32_e32 v150, 32, v150
	s_delay_alu instid0(VALU_DEP_1) | instskip(SKIP_1) | instid1(VALU_DEP_2)
	v_subrev_nc_u32_e32 v151, 28, v150
	v_sub_nc_u32_e32 v150, 29, v150
	v_lshlrev_b64 v[160:161], v151, v[8:9]
	s_delay_alu instid0(VALU_DEP_1)
	v_and_b32_e32 v8, 7, v160
; %bb.367:                              ;   in Loop: Header=BB331_10 Depth=1
	s_or_b32 exec_lo, exec_lo, s21
	v_lshlrev_b32_e32 v151, 8, v162
	v_lshl_add_u32 v150, v150, 10, 0x2000
	s_delay_alu instid0(VALU_DEP_1) | instskip(NEXT) | instid1(VALU_DEP_1)
	v_and_or_b32 v150, 0x8000, v151, v150
	v_lshl_or_b32 v8, v8, 7, v150
	s_delay_alu instid0(VALU_DEP_1)
	v_cvt_f32_f16_e64 v150, v8
.LBB331_368:                            ;   in Loop: Header=BB331_10 Depth=1
	s_or_b32 exec_lo, exec_lo, s20
.LBB331_369:                            ;   in Loop: Header=BB331_10 Depth=1
	s_delay_alu instid0(SALU_CYCLE_1)
	s_or_b32 exec_lo, exec_lo, s19
.LBB331_370:                            ;   in Loop: Header=BB331_10 Depth=1
	s_delay_alu instid0(SALU_CYCLE_1) | instskip(SKIP_3) | instid1(VALU_DEP_2)
	s_or_b32 exec_lo, exec_lo, s3
	v_lshrrev_b16 v8, 8, v162
	v_dual_mov_b32 v160, 0 :: v_dual_mov_b32 v161, 0
	s_mov_b32 s3, exec_lo
	v_cmpx_ne_u16_e32 0, v8
	s_cbranch_execz .LBB331_378
; %bb.371:                              ;   in Loop: Header=BB331_10 Depth=1
	v_bfrev_b32_e32 v161, 1
	s_mov_b32 s19, exec_lo
	v_cmpx_ne_u16_e32 0x80, v8
	s_cbranch_execz .LBB331_377
; %bb.372:                              ;   in Loop: Header=BB331_10 Depth=1
	v_and_b32_e32 v151, 0xffff, v8
	v_mov_b32_e32 v161, 0x7fc02000
	s_mov_b32 s20, exec_lo
	s_delay_alu instid0(VALU_DEP_2) | instskip(NEXT) | instid1(VALU_DEP_1)
	v_and_b32_e32 v163, 0x7f, v151
	v_cmpx_ne_u32_e32 0x7f, v163
	s_cbranch_execz .LBB331_376
; %bb.373:                              ;   in Loop: Header=BB331_10 Depth=1
	v_and_b32_e32 v8, 7, v151
	v_lshrrev_b32_e32 v161, 3, v163
	s_mov_b32 s21, exec_lo
	v_cmpx_gt_u32_e32 8, v163
; %bb.374:                              ;   in Loop: Header=BB331_10 Depth=1
	s_delay_alu instid0(VALU_DEP_3) | instskip(NEXT) | instid1(VALU_DEP_1)
	v_clz_i32_u32_e32 v161, v8
	v_min_u32_e32 v161, 32, v161
	s_delay_alu instid0(VALU_DEP_1) | instskip(SKIP_1) | instid1(VALU_DEP_2)
	v_subrev_nc_u32_e32 v163, 28, v161
	v_sub_nc_u32_e32 v161, 29, v161
	v_lshlrev_b64 v[163:164], v163, v[8:9]
	s_delay_alu instid0(VALU_DEP_1)
	v_and_b32_e32 v8, 7, v163
; %bb.375:                              ;   in Loop: Header=BB331_10 Depth=1
	s_or_b32 exec_lo, exec_lo, s21
	v_lshlrev_b32_e32 v151, 8, v151
	v_lshl_add_u32 v161, v161, 10, 0x2000
	s_delay_alu instid0(VALU_DEP_1) | instskip(NEXT) | instid1(VALU_DEP_1)
	v_and_or_b32 v151, 0x8000, v151, v161
	v_lshl_or_b32 v8, v8, 7, v151
	s_delay_alu instid0(VALU_DEP_1)
	v_cvt_f32_f16_e64 v161, v8
.LBB331_376:                            ;   in Loop: Header=BB331_10 Depth=1
	s_or_b32 exec_lo, exec_lo, s20
.LBB331_377:                            ;   in Loop: Header=BB331_10 Depth=1
	s_delay_alu instid0(SALU_CYCLE_1)
	s_or_b32 exec_lo, exec_lo, s19
.LBB331_378:                            ;   in Loop: Header=BB331_10 Depth=1
	s_delay_alu instid0(SALU_CYCLE_1) | instskip(SKIP_2) | instid1(VALU_DEP_1)
	s_or_b32 exec_lo, exec_lo, s3
	v_lshrrev_b32_e32 v151, 16, v162
	s_mov_b32 s3, exec_lo
	v_and_b32_e32 v8, 0xff, v151
	s_delay_alu instid0(VALU_DEP_1)
	v_cmpx_ne_u16_e32 0, v8
	s_cbranch_execz .LBB331_386
; %bb.379:                              ;   in Loop: Header=BB331_10 Depth=1
	v_bfrev_b32_e32 v160, 1
	s_mov_b32 s19, exec_lo
	v_cmpx_ne_u16_e32 0x80, v8
	s_cbranch_execz .LBB331_385
; %bb.380:                              ;   in Loop: Header=BB331_10 Depth=1
	v_bfe_u32 v163, v162, 16, 7
	v_mov_b32_e32 v160, 0x7fc02000
	s_mov_b32 s20, exec_lo
	s_delay_alu instid0(VALU_DEP_2)
	v_cmpx_ne_u32_e32 0x7f, v163
	s_cbranch_execz .LBB331_384
; %bb.381:                              ;   in Loop: Header=BB331_10 Depth=1
	v_and_b32_e32 v8, 7, v151
	v_lshrrev_b32_e32 v160, 3, v163
	s_mov_b32 s21, exec_lo
	v_cmpx_gt_u32_e32 8, v163
; %bb.382:                              ;   in Loop: Header=BB331_10 Depth=1
	s_delay_alu instid0(VALU_DEP_3) | instskip(NEXT) | instid1(VALU_DEP_1)
	v_clz_i32_u32_e32 v160, v8
	v_min_u32_e32 v160, 32, v160
	s_delay_alu instid0(VALU_DEP_1) | instskip(SKIP_1) | instid1(VALU_DEP_2)
	v_subrev_nc_u32_e32 v163, 28, v160
	v_sub_nc_u32_e32 v160, 29, v160
	v_lshlrev_b64 v[163:164], v163, v[8:9]
	s_delay_alu instid0(VALU_DEP_1)
	v_and_b32_e32 v8, 7, v163
; %bb.383:                              ;   in Loop: Header=BB331_10 Depth=1
	s_or_b32 exec_lo, exec_lo, s21
	v_lshlrev_b32_e32 v151, 8, v151
	v_lshl_add_u32 v160, v160, 10, 0x2000
	s_delay_alu instid0(VALU_DEP_1) | instskip(NEXT) | instid1(VALU_DEP_1)
	v_and_or_b32 v151, 0x8000, v151, v160
	v_lshl_or_b32 v8, v8, 7, v151
	s_delay_alu instid0(VALU_DEP_1)
	v_cvt_f32_f16_e64 v160, v8
.LBB331_384:                            ;   in Loop: Header=BB331_10 Depth=1
	s_or_b32 exec_lo, exec_lo, s20
.LBB331_385:                            ;   in Loop: Header=BB331_10 Depth=1
	s_delay_alu instid0(SALU_CYCLE_1)
	s_or_b32 exec_lo, exec_lo, s19
.LBB331_386:                            ;   in Loop: Header=BB331_10 Depth=1
	s_delay_alu instid0(SALU_CYCLE_1)
	s_or_b32 exec_lo, exec_lo, s3
	v_mov_b32_e32 v151, 0
	v_mov_b32_e32 v165, 0
	s_mov_b32 s3, exec_lo
	v_cmpx_lt_u32_e32 0xffffff, v162
	s_cbranch_execz .LBB331_394
; %bb.387:                              ;   in Loop: Header=BB331_10 Depth=1
	v_lshrrev_b32_e32 v162, 24, v162
	v_bfrev_b32_e32 v165, 1
	s_mov_b32 s19, exec_lo
	s_delay_alu instid0(VALU_DEP_2)
	v_cmpx_ne_u32_e32 0x80, v162
	s_cbranch_execz .LBB331_393
; %bb.388:                              ;   in Loop: Header=BB331_10 Depth=1
	v_and_b32_e32 v164, 0x7f, v162
	v_mov_b32_e32 v165, 0x7fc02000
	s_mov_b32 s20, exec_lo
	s_delay_alu instid0(VALU_DEP_2)
	v_cmpx_ne_u32_e32 0x7f, v164
	s_cbranch_execz .LBB331_392
; %bb.389:                              ;   in Loop: Header=BB331_10 Depth=1
	v_and_b32_e32 v8, 7, v162
	v_lshrrev_b32_e32 v163, 3, v164
	s_mov_b32 s21, exec_lo
	v_cmpx_gt_u32_e32 8, v164
; %bb.390:                              ;   in Loop: Header=BB331_10 Depth=1
	s_delay_alu instid0(VALU_DEP_3) | instskip(NEXT) | instid1(VALU_DEP_1)
	v_clz_i32_u32_e32 v163, v8
	v_min_u32_e32 v163, 32, v163
	s_delay_alu instid0(VALU_DEP_1) | instskip(SKIP_1) | instid1(VALU_DEP_2)
	v_subrev_nc_u32_e32 v164, 28, v163
	v_sub_nc_u32_e32 v163, 29, v163
	v_lshlrev_b64 v[164:165], v164, v[8:9]
	s_delay_alu instid0(VALU_DEP_1)
	v_and_b32_e32 v8, 7, v164
; %bb.391:                              ;   in Loop: Header=BB331_10 Depth=1
	s_or_b32 exec_lo, exec_lo, s21
	v_lshlrev_b32_e32 v162, 8, v162
	v_lshl_add_u32 v163, v163, 10, 0x2000
	s_delay_alu instid0(VALU_DEP_1) | instskip(NEXT) | instid1(VALU_DEP_1)
	v_and_or_b32 v162, 0x8000, v162, v163
	v_lshl_or_b32 v8, v8, 7, v162
	s_delay_alu instid0(VALU_DEP_1)
	v_cvt_f32_f16_e64 v165, v8
.LBB331_392:                            ;   in Loop: Header=BB331_10 Depth=1
	s_or_b32 exec_lo, exec_lo, s20
.LBB331_393:                            ;   in Loop: Header=BB331_10 Depth=1
	s_delay_alu instid0(SALU_CYCLE_1)
	s_or_b32 exec_lo, exec_lo, s19
.LBB331_394:                            ;   in Loop: Header=BB331_10 Depth=1
	s_delay_alu instid0(SALU_CYCLE_1) | instskip(SKIP_4) | instid1(VALU_DEP_1)
	s_or_b32 exec_lo, exec_lo, s3
	flat_load_b32 v163, v[28:29] offset:1536
	s_mov_b32 s3, exec_lo
	s_waitcnt vmcnt(0) lgkmcnt(0)
	v_and_b32_e32 v8, 0xff, v163
	v_cmpx_ne_u16_e32 0, v8
	s_cbranch_execz .LBB331_402
; %bb.395:                              ;   in Loop: Header=BB331_10 Depth=1
	v_bfrev_b32_e32 v151, 1
	s_mov_b32 s19, exec_lo
	v_cmpx_ne_u16_e32 0x80, v8
	s_cbranch_execz .LBB331_401
; %bb.396:                              ;   in Loop: Header=BB331_10 Depth=1
	v_and_b32_e32 v162, 0x7f, v163
	v_mov_b32_e32 v151, 0x7fc02000
	s_mov_b32 s20, exec_lo
	s_delay_alu instid0(VALU_DEP_2)
	v_cmpx_ne_u32_e32 0x7f, v162
	s_cbranch_execz .LBB331_400
; %bb.397:                              ;   in Loop: Header=BB331_10 Depth=1
	v_and_b32_e32 v8, 7, v163
	v_lshrrev_b32_e32 v151, 3, v162
	s_mov_b32 s21, exec_lo
	v_cmpx_gt_u32_e32 8, v162
; %bb.398:                              ;   in Loop: Header=BB331_10 Depth=1
	s_delay_alu instid0(VALU_DEP_3) | instskip(NEXT) | instid1(VALU_DEP_1)
	v_clz_i32_u32_e32 v151, v8
	v_min_u32_e32 v151, 32, v151
	s_delay_alu instid0(VALU_DEP_1) | instskip(SKIP_1) | instid1(VALU_DEP_2)
	v_subrev_nc_u32_e32 v162, 28, v151
	v_sub_nc_u32_e32 v151, 29, v151
	v_lshlrev_b64 v[166:167], v162, v[8:9]
	s_delay_alu instid0(VALU_DEP_1)
	v_and_b32_e32 v8, 7, v166
; %bb.399:                              ;   in Loop: Header=BB331_10 Depth=1
	s_or_b32 exec_lo, exec_lo, s21
	v_lshlrev_b32_e32 v162, 8, v163
	v_lshl_add_u32 v151, v151, 10, 0x2000
	s_delay_alu instid0(VALU_DEP_1) | instskip(NEXT) | instid1(VALU_DEP_1)
	v_and_or_b32 v151, 0x8000, v162, v151
	v_lshl_or_b32 v8, v8, 7, v151
	s_delay_alu instid0(VALU_DEP_1)
	v_cvt_f32_f16_e64 v151, v8
.LBB331_400:                            ;   in Loop: Header=BB331_10 Depth=1
	s_or_b32 exec_lo, exec_lo, s20
.LBB331_401:                            ;   in Loop: Header=BB331_10 Depth=1
	s_delay_alu instid0(SALU_CYCLE_1)
	s_or_b32 exec_lo, exec_lo, s19
.LBB331_402:                            ;   in Loop: Header=BB331_10 Depth=1
	s_delay_alu instid0(SALU_CYCLE_1) | instskip(SKIP_4) | instid1(VALU_DEP_3)
	s_or_b32 exec_lo, exec_lo, s3
	v_lshrrev_b16 v8, 8, v163
	v_mov_b32_e32 v164, 0
	v_mov_b32_e32 v162, 0
	s_mov_b32 s3, exec_lo
	v_cmpx_ne_u16_e32 0, v8
	s_cbranch_execz .LBB331_410
; %bb.403:                              ;   in Loop: Header=BB331_10 Depth=1
	v_bfrev_b32_e32 v162, 1
	s_mov_b32 s19, exec_lo
	v_cmpx_ne_u16_e32 0x80, v8
	s_cbranch_execz .LBB331_409
; %bb.404:                              ;   in Loop: Header=BB331_10 Depth=1
	v_and_b32_e32 v166, 0xffff, v8
	v_mov_b32_e32 v162, 0x7fc02000
	s_mov_b32 s20, exec_lo
	s_delay_alu instid0(VALU_DEP_2) | instskip(NEXT) | instid1(VALU_DEP_1)
	v_and_b32_e32 v167, 0x7f, v166
	v_cmpx_ne_u32_e32 0x7f, v167
	s_cbranch_execz .LBB331_408
; %bb.405:                              ;   in Loop: Header=BB331_10 Depth=1
	v_and_b32_e32 v8, 7, v166
	v_lshrrev_b32_e32 v162, 3, v167
	s_mov_b32 s21, exec_lo
	v_cmpx_gt_u32_e32 8, v167
; %bb.406:                              ;   in Loop: Header=BB331_10 Depth=1
	s_delay_alu instid0(VALU_DEP_3) | instskip(NEXT) | instid1(VALU_DEP_1)
	v_clz_i32_u32_e32 v162, v8
	v_min_u32_e32 v162, 32, v162
	s_delay_alu instid0(VALU_DEP_1) | instskip(SKIP_1) | instid1(VALU_DEP_2)
	v_subrev_nc_u32_e32 v167, 28, v162
	v_sub_nc_u32_e32 v162, 29, v162
	v_lshlrev_b64 v[176:177], v167, v[8:9]
	s_delay_alu instid0(VALU_DEP_1)
	v_and_b32_e32 v8, 7, v176
; %bb.407:                              ;   in Loop: Header=BB331_10 Depth=1
	s_or_b32 exec_lo, exec_lo, s21
	v_lshlrev_b32_e32 v166, 8, v166
	v_lshl_add_u32 v162, v162, 10, 0x2000
	s_delay_alu instid0(VALU_DEP_1) | instskip(NEXT) | instid1(VALU_DEP_1)
	v_and_or_b32 v162, 0x8000, v166, v162
	v_lshl_or_b32 v8, v8, 7, v162
	s_delay_alu instid0(VALU_DEP_1)
	v_cvt_f32_f16_e64 v162, v8
.LBB331_408:                            ;   in Loop: Header=BB331_10 Depth=1
	s_or_b32 exec_lo, exec_lo, s20
.LBB331_409:                            ;   in Loop: Header=BB331_10 Depth=1
	s_delay_alu instid0(SALU_CYCLE_1)
	s_or_b32 exec_lo, exec_lo, s19
.LBB331_410:                            ;   in Loop: Header=BB331_10 Depth=1
	s_delay_alu instid0(SALU_CYCLE_1) | instskip(SKIP_2) | instid1(VALU_DEP_1)
	s_or_b32 exec_lo, exec_lo, s3
	v_lshrrev_b32_e32 v166, 16, v163
	s_mov_b32 s3, exec_lo
	v_and_b32_e32 v8, 0xff, v166
	s_delay_alu instid0(VALU_DEP_1)
	v_cmpx_ne_u16_e32 0, v8
	s_cbranch_execz .LBB331_418
; %bb.411:                              ;   in Loop: Header=BB331_10 Depth=1
	v_bfrev_b32_e32 v164, 1
	s_mov_b32 s19, exec_lo
	v_cmpx_ne_u16_e32 0x80, v8
	s_cbranch_execz .LBB331_417
; %bb.412:                              ;   in Loop: Header=BB331_10 Depth=1
	v_bfe_u32 v167, v163, 16, 7
	v_mov_b32_e32 v164, 0x7fc02000
	s_mov_b32 s20, exec_lo
	s_delay_alu instid0(VALU_DEP_2)
	v_cmpx_ne_u32_e32 0x7f, v167
	s_cbranch_execz .LBB331_416
; %bb.413:                              ;   in Loop: Header=BB331_10 Depth=1
	v_and_b32_e32 v8, 7, v166
	v_lshrrev_b32_e32 v164, 3, v167
	s_mov_b32 s21, exec_lo
	v_cmpx_gt_u32_e32 8, v167
; %bb.414:                              ;   in Loop: Header=BB331_10 Depth=1
	s_delay_alu instid0(VALU_DEP_3) | instskip(NEXT) | instid1(VALU_DEP_1)
	v_clz_i32_u32_e32 v164, v8
	v_min_u32_e32 v164, 32, v164
	s_delay_alu instid0(VALU_DEP_1) | instskip(SKIP_1) | instid1(VALU_DEP_2)
	v_subrev_nc_u32_e32 v167, 28, v164
	v_sub_nc_u32_e32 v164, 29, v164
	v_lshlrev_b64 v[176:177], v167, v[8:9]
	s_delay_alu instid0(VALU_DEP_1)
	v_and_b32_e32 v8, 7, v176
; %bb.415:                              ;   in Loop: Header=BB331_10 Depth=1
	s_or_b32 exec_lo, exec_lo, s21
	v_lshlrev_b32_e32 v166, 8, v166
	v_lshl_add_u32 v164, v164, 10, 0x2000
	s_delay_alu instid0(VALU_DEP_1) | instskip(NEXT) | instid1(VALU_DEP_1)
	v_and_or_b32 v164, 0x8000, v166, v164
	v_lshl_or_b32 v8, v8, 7, v164
	s_delay_alu instid0(VALU_DEP_1)
	v_cvt_f32_f16_e64 v164, v8
.LBB331_416:                            ;   in Loop: Header=BB331_10 Depth=1
	s_or_b32 exec_lo, exec_lo, s20
.LBB331_417:                            ;   in Loop: Header=BB331_10 Depth=1
	s_delay_alu instid0(SALU_CYCLE_1)
	s_or_b32 exec_lo, exec_lo, s19
.LBB331_418:                            ;   in Loop: Header=BB331_10 Depth=1
	s_delay_alu instid0(SALU_CYCLE_1)
	s_or_b32 exec_lo, exec_lo, s3
	v_dual_mov_b32 v166, 0 :: v_dual_mov_b32 v167, 0
	s_mov_b32 s3, exec_lo
	v_cmpx_lt_u32_e32 0xffffff, v163
	s_cbranch_execz .LBB331_426
; %bb.419:                              ;   in Loop: Header=BB331_10 Depth=1
	v_lshrrev_b32_e32 v163, 24, v163
	v_bfrev_b32_e32 v167, 1
	s_mov_b32 s19, exec_lo
	s_delay_alu instid0(VALU_DEP_2)
	v_cmpx_ne_u32_e32 0x80, v163
	s_cbranch_execz .LBB331_425
; %bb.420:                              ;   in Loop: Header=BB331_10 Depth=1
	v_and_b32_e32 v176, 0x7f, v163
	v_mov_b32_e32 v167, 0x7fc02000
	s_mov_b32 s20, exec_lo
	s_delay_alu instid0(VALU_DEP_2)
	v_cmpx_ne_u32_e32 0x7f, v176
	s_cbranch_execz .LBB331_424
; %bb.421:                              ;   in Loop: Header=BB331_10 Depth=1
	v_and_b32_e32 v8, 7, v163
	v_lshrrev_b32_e32 v167, 3, v176
	s_mov_b32 s21, exec_lo
	v_cmpx_gt_u32_e32 8, v176
; %bb.422:                              ;   in Loop: Header=BB331_10 Depth=1
	s_delay_alu instid0(VALU_DEP_3) | instskip(NEXT) | instid1(VALU_DEP_1)
	v_clz_i32_u32_e32 v167, v8
	v_min_u32_e32 v167, 32, v167
	s_delay_alu instid0(VALU_DEP_1) | instskip(SKIP_1) | instid1(VALU_DEP_2)
	v_subrev_nc_u32_e32 v176, 28, v167
	v_sub_nc_u32_e32 v167, 29, v167
	v_lshlrev_b64 v[176:177], v176, v[8:9]
	s_delay_alu instid0(VALU_DEP_1)
	v_and_b32_e32 v8, 7, v176
; %bb.423:                              ;   in Loop: Header=BB331_10 Depth=1
	s_or_b32 exec_lo, exec_lo, s21
	v_lshlrev_b32_e32 v163, 8, v163
	v_lshl_add_u32 v167, v167, 10, 0x2000
	s_delay_alu instid0(VALU_DEP_1) | instskip(NEXT) | instid1(VALU_DEP_1)
	v_and_or_b32 v163, 0x8000, v163, v167
	v_lshl_or_b32 v8, v8, 7, v163
	s_delay_alu instid0(VALU_DEP_1)
	v_cvt_f32_f16_e64 v167, v8
.LBB331_424:                            ;   in Loop: Header=BB331_10 Depth=1
	s_or_b32 exec_lo, exec_lo, s20
.LBB331_425:                            ;   in Loop: Header=BB331_10 Depth=1
	s_delay_alu instid0(SALU_CYCLE_1)
	s_or_b32 exec_lo, exec_lo, s19
.LBB331_426:                            ;   in Loop: Header=BB331_10 Depth=1
	s_delay_alu instid0(SALU_CYCLE_1) | instskip(SKIP_4) | instid1(VALU_DEP_1)
	s_or_b32 exec_lo, exec_lo, s3
	flat_load_b32 v29, v[28:29] offset:1544
	s_mov_b32 s3, exec_lo
	s_waitcnt vmcnt(0) lgkmcnt(0)
	v_and_b32_e32 v8, 0xff, v29
	v_cmpx_ne_u16_e32 0, v8
	s_cbranch_execz .LBB331_434
; %bb.427:                              ;   in Loop: Header=BB331_10 Depth=1
	v_bfrev_b32_e32 v166, 1
	s_mov_b32 s19, exec_lo
	v_cmpx_ne_u16_e32 0x80, v8
	s_cbranch_execz .LBB331_433
; %bb.428:                              ;   in Loop: Header=BB331_10 Depth=1
	v_and_b32_e32 v163, 0x7f, v29
	v_mov_b32_e32 v166, 0x7fc02000
	s_mov_b32 s20, exec_lo
	s_delay_alu instid0(VALU_DEP_2)
	v_cmpx_ne_u32_e32 0x7f, v163
	s_cbranch_execz .LBB331_432
; %bb.429:                              ;   in Loop: Header=BB331_10 Depth=1
	v_and_b32_e32 v8, 7, v29
	v_lshrrev_b32_e32 v28, 3, v163
	s_mov_b32 s21, exec_lo
	v_cmpx_gt_u32_e32 8, v163
; %bb.430:                              ;   in Loop: Header=BB331_10 Depth=1
	s_delay_alu instid0(VALU_DEP_3) | instskip(NEXT) | instid1(VALU_DEP_1)
	v_clz_i32_u32_e32 v28, v8
	v_min_u32_e32 v28, 32, v28
	s_delay_alu instid0(VALU_DEP_1) | instskip(SKIP_1) | instid1(VALU_DEP_2)
	v_subrev_nc_u32_e32 v163, 28, v28
	v_sub_nc_u32_e32 v28, 29, v28
	v_lshlrev_b64 v[176:177], v163, v[8:9]
	s_delay_alu instid0(VALU_DEP_1)
	v_and_b32_e32 v8, 7, v176
; %bb.431:                              ;   in Loop: Header=BB331_10 Depth=1
	s_or_b32 exec_lo, exec_lo, s21
	v_lshlrev_b32_e32 v163, 8, v29
	v_lshl_add_u32 v28, v28, 10, 0x2000
	s_delay_alu instid0(VALU_DEP_1) | instskip(NEXT) | instid1(VALU_DEP_1)
	v_and_or_b32 v28, 0x8000, v163, v28
	v_lshl_or_b32 v8, v8, 7, v28
	s_delay_alu instid0(VALU_DEP_1)
	v_cvt_f32_f16_e64 v166, v8
.LBB331_432:                            ;   in Loop: Header=BB331_10 Depth=1
	s_or_b32 exec_lo, exec_lo, s20
.LBB331_433:                            ;   in Loop: Header=BB331_10 Depth=1
	s_delay_alu instid0(SALU_CYCLE_1)
	s_or_b32 exec_lo, exec_lo, s19
.LBB331_434:                            ;   in Loop: Header=BB331_10 Depth=1
	s_delay_alu instid0(SALU_CYCLE_1) | instskip(SKIP_4) | instid1(VALU_DEP_3)
	s_or_b32 exec_lo, exec_lo, s3
	v_lshrrev_b16 v8, 8, v29
	v_mov_b32_e32 v28, 0
	v_mov_b32_e32 v176, 0
	s_mov_b32 s3, exec_lo
	v_cmpx_ne_u16_e32 0, v8
	s_cbranch_execz .LBB331_442
; %bb.435:                              ;   in Loop: Header=BB331_10 Depth=1
	v_bfrev_b32_e32 v176, 1
	s_mov_b32 s19, exec_lo
	v_cmpx_ne_u16_e32 0x80, v8
	s_cbranch_execz .LBB331_441
; %bb.436:                              ;   in Loop: Header=BB331_10 Depth=1
	v_and_b32_e32 v163, 0xffff, v8
	v_mov_b32_e32 v176, 0x7fc02000
	s_mov_b32 s20, exec_lo
	s_delay_alu instid0(VALU_DEP_2) | instskip(NEXT) | instid1(VALU_DEP_1)
	v_and_b32_e32 v177, 0x7f, v163
	v_cmpx_ne_u32_e32 0x7f, v177
	s_cbranch_execz .LBB331_440
; %bb.437:                              ;   in Loop: Header=BB331_10 Depth=1
	v_and_b32_e32 v8, 7, v163
	v_lshrrev_b32_e32 v176, 3, v177
	s_mov_b32 s21, exec_lo
	v_cmpx_gt_u32_e32 8, v177
; %bb.438:                              ;   in Loop: Header=BB331_10 Depth=1
	s_delay_alu instid0(VALU_DEP_3) | instskip(NEXT) | instid1(VALU_DEP_1)
	v_clz_i32_u32_e32 v176, v8
	v_min_u32_e32 v176, 32, v176
	s_delay_alu instid0(VALU_DEP_1) | instskip(SKIP_1) | instid1(VALU_DEP_2)
	v_subrev_nc_u32_e32 v177, 28, v176
	v_sub_nc_u32_e32 v176, 29, v176
	v_lshlrev_b64 v[177:178], v177, v[8:9]
	s_delay_alu instid0(VALU_DEP_1)
	v_and_b32_e32 v8, 7, v177
; %bb.439:                              ;   in Loop: Header=BB331_10 Depth=1
	s_or_b32 exec_lo, exec_lo, s21
	v_lshlrev_b32_e32 v163, 8, v163
	v_lshl_add_u32 v176, v176, 10, 0x2000
	s_delay_alu instid0(VALU_DEP_1) | instskip(NEXT) | instid1(VALU_DEP_1)
	v_and_or_b32 v163, 0x8000, v163, v176
	v_lshl_or_b32 v8, v8, 7, v163
	s_delay_alu instid0(VALU_DEP_1)
	v_cvt_f32_f16_e64 v176, v8
.LBB331_440:                            ;   in Loop: Header=BB331_10 Depth=1
	s_or_b32 exec_lo, exec_lo, s20
.LBB331_441:                            ;   in Loop: Header=BB331_10 Depth=1
	s_delay_alu instid0(SALU_CYCLE_1)
	s_or_b32 exec_lo, exec_lo, s19
.LBB331_442:                            ;   in Loop: Header=BB331_10 Depth=1
	s_delay_alu instid0(SALU_CYCLE_1) | instskip(SKIP_2) | instid1(VALU_DEP_1)
	s_or_b32 exec_lo, exec_lo, s3
	v_lshrrev_b32_e32 v163, 16, v29
	s_mov_b32 s3, exec_lo
	v_and_b32_e32 v8, 0xff, v163
	s_delay_alu instid0(VALU_DEP_1)
	v_cmpx_ne_u16_e32 0, v8
	s_cbranch_execz .LBB331_450
; %bb.443:                              ;   in Loop: Header=BB331_10 Depth=1
	v_bfrev_b32_e32 v28, 1
	s_mov_b32 s19, exec_lo
	v_cmpx_ne_u16_e32 0x80, v8
	s_cbranch_execz .LBB331_449
; %bb.444:                              ;   in Loop: Header=BB331_10 Depth=1
	v_bfe_u32 v177, v29, 16, 7
	v_mov_b32_e32 v28, 0x7fc02000
	s_mov_b32 s20, exec_lo
	s_delay_alu instid0(VALU_DEP_2)
	v_cmpx_ne_u32_e32 0x7f, v177
	s_cbranch_execz .LBB331_448
; %bb.445:                              ;   in Loop: Header=BB331_10 Depth=1
	v_and_b32_e32 v8, 7, v163
	v_lshrrev_b32_e32 v28, 3, v177
	s_mov_b32 s21, exec_lo
	v_cmpx_gt_u32_e32 8, v177
; %bb.446:                              ;   in Loop: Header=BB331_10 Depth=1
	s_delay_alu instid0(VALU_DEP_3) | instskip(NEXT) | instid1(VALU_DEP_1)
	v_clz_i32_u32_e32 v28, v8
	v_min_u32_e32 v28, 32, v28
	s_delay_alu instid0(VALU_DEP_1) | instskip(SKIP_1) | instid1(VALU_DEP_2)
	v_subrev_nc_u32_e32 v177, 28, v28
	v_sub_nc_u32_e32 v28, 29, v28
	v_lshlrev_b64 v[177:178], v177, v[8:9]
	s_delay_alu instid0(VALU_DEP_1)
	v_and_b32_e32 v8, 7, v177
; %bb.447:                              ;   in Loop: Header=BB331_10 Depth=1
	s_or_b32 exec_lo, exec_lo, s21
	v_lshlrev_b32_e32 v163, 8, v163
	v_lshl_add_u32 v28, v28, 10, 0x2000
	s_delay_alu instid0(VALU_DEP_1) | instskip(NEXT) | instid1(VALU_DEP_1)
	v_and_or_b32 v28, 0x8000, v163, v28
	v_lshl_or_b32 v8, v8, 7, v28
	s_delay_alu instid0(VALU_DEP_1)
	v_cvt_f32_f16_e32 v28, v8
.LBB331_448:                            ;   in Loop: Header=BB331_10 Depth=1
	s_or_b32 exec_lo, exec_lo, s20
.LBB331_449:                            ;   in Loop: Header=BB331_10 Depth=1
	s_delay_alu instid0(SALU_CYCLE_1)
	s_or_b32 exec_lo, exec_lo, s19
.LBB331_450:                            ;   in Loop: Header=BB331_10 Depth=1
	s_delay_alu instid0(SALU_CYCLE_1)
	s_or_b32 exec_lo, exec_lo, s3
	v_mov_b32_e32 v8, 0
	s_mov_b32 s3, exec_lo
	v_cmpx_lt_u32_e32 0xffffff, v29
	s_cbranch_execz .LBB331_458
; %bb.451:                              ;   in Loop: Header=BB331_10 Depth=1
	v_lshrrev_b32_e32 v29, 24, v29
	v_bfrev_b32_e32 v8, 1
	s_mov_b32 s19, exec_lo
	s_delay_alu instid0(VALU_DEP_2)
	v_cmpx_ne_u32_e32 0x80, v29
	s_cbranch_execz .LBB331_457
; %bb.452:                              ;   in Loop: Header=BB331_10 Depth=1
	v_and_b32_e32 v177, 0x7f, v29
	v_mov_b32_e32 v8, 0x7fc02000
	s_mov_b32 s20, exec_lo
	s_delay_alu instid0(VALU_DEP_2)
	v_cmpx_ne_u32_e32 0x7f, v177
	s_cbranch_execz .LBB331_456
; %bb.453:                              ;   in Loop: Header=BB331_10 Depth=1
	v_and_b32_e32 v8, 7, v29
	v_lshrrev_b32_e32 v163, 3, v177
	s_mov_b32 s21, exec_lo
	v_cmpx_gt_u32_e32 8, v177
; %bb.454:                              ;   in Loop: Header=BB331_10 Depth=1
	s_delay_alu instid0(VALU_DEP_3) | instskip(NEXT) | instid1(VALU_DEP_1)
	v_clz_i32_u32_e32 v163, v8
	v_min_u32_e32 v163, 32, v163
	s_delay_alu instid0(VALU_DEP_1) | instskip(SKIP_1) | instid1(VALU_DEP_2)
	v_subrev_nc_u32_e32 v177, 28, v163
	v_sub_nc_u32_e32 v163, 29, v163
	v_lshlrev_b64 v[177:178], v177, v[8:9]
	s_delay_alu instid0(VALU_DEP_1)
	v_and_b32_e32 v8, 7, v177
; %bb.455:                              ;   in Loop: Header=BB331_10 Depth=1
	s_or_b32 exec_lo, exec_lo, s21
	v_lshlrev_b32_e32 v29, 8, v29
	v_lshl_add_u32 v163, v163, 10, 0x2000
	s_delay_alu instid0(VALU_DEP_1) | instskip(NEXT) | instid1(VALU_DEP_1)
	v_and_or_b32 v29, 0x8000, v29, v163
	v_lshl_or_b32 v8, v8, 7, v29
	s_delay_alu instid0(VALU_DEP_1)
	v_cvt_f32_f16_e32 v8, v8
.LBB331_456:                            ;   in Loop: Header=BB331_10 Depth=1
	s_or_b32 exec_lo, exec_lo, s20
.LBB331_457:                            ;   in Loop: Header=BB331_10 Depth=1
	s_delay_alu instid0(SALU_CYCLE_1)
	s_or_b32 exec_lo, exec_lo, s19
.LBB331_458:                            ;   in Loop: Header=BB331_10 Depth=1
	s_delay_alu instid0(SALU_CYCLE_1)
	s_or_b32 exec_lo, exec_lo, s3
	v_fma_mixlo_f16 v163, v65, v151, 0
	v_fma_mixlo_f16 v151, v65, v164, 0
	;; [unrolled: 1-line block ×18, first 2 shown]
	ds_load_b64 v[68:69], v52
	v_fma_mixlo_f16 v29, v65, v167, 0
	v_fma_mixlo_f16 v167, v65, v66, 0
	;; [unrolled: 1-line block ×38, first 2 shown]
	s_waitcnt lgkmcnt(0)
	v_lshrrev_b32_e32 v65, 16, v68
	v_and_b32_e32 v68, 0xffff, v68
	;;#ASMSTART
	v_cvt_f32_f16 v166, v68;
	;;#ASMEND
	;;#ASMSTART
	v_cvt_f32_f16 v176, v65;
	;;#ASMEND
	v_and_b32_e32 v65, 0xffff, v167
	;;#ASMSTART
	v_cvt_f32_f16 v167, v65;
	;;#ASMEND
	v_and_b32_e32 v65, 0xffff, v113
	;;#ASMSTART
	v_cvt_f32_f16 v113, v65;
	;;#ASMEND
	v_lshrrev_b32_e32 v65, 16, v69
	v_and_b32_e32 v68, 0xffff, v69
	;;#ASMSTART
	v_cvt_f32_f16 v179, v68;
	;;#ASMEND
	;;#ASMSTART
	v_cvt_f32_f16 v180, v65;
	;;#ASMEND
	v_and_b32_e32 v65, 0xffff, v177
	;;#ASMSTART
	v_cvt_f32_f16 v177, v65;
	;;#ASMEND
	v_and_b32_e32 v65, 0xffff, v178
	;;#ASMSTART
	v_cvt_f32_f16 v178, v65;
	;;#ASMEND
	ds_load_b64 v[68:69], v52 offset:8
	v_and_b32_e32 v71, 0xffff, v71
	v_and_b32_e32 v29, 0xffff, v29
	;; [unrolled: 1-line block ×6, first 2 shown]
	s_waitcnt lgkmcnt(0)
	v_lshrrev_b32_e32 v65, 16, v68
	v_and_b32_e32 v68, 0xffff, v68
	;;#ASMSTART
	v_cvt_f32_f16 v68, v68;
	;;#ASMEND
	;;#ASMSTART
	v_cvt_f32_f16 v181, v65;
	;;#ASMEND
	v_and_b32_e32 v65, 0xffff, v70
	;;#ASMSTART
	v_cvt_f32_f16 v65, v65;
	;;#ASMEND
	s_delay_alu instid0(VALU_DEP_1) | instskip(SKIP_1) | instid1(VALU_DEP_1)
	v_dual_mul_f32 v65, v68, v65 :: v_dual_and_b32 v70, 0xffff, v80
	;;#ASMSTART
	v_cvt_f32_f16 v70, v70;
	;;#ASMEND
	v_mul_f32_e32 v68, v181, v70
	v_lshrrev_b32_e32 v70, 16, v69
	v_and_b32_e32 v69, 0xffff, v69
	v_and_b32_e32 v80, 0xffff, v81
	;;#ASMSTART
	v_cvt_f32_f16 v69, v69;
	;;#ASMEND
	;;#ASMSTART
	v_cvt_f32_f16 v70, v70;
	;;#ASMEND
	;;#ASMSTART
	v_cvt_f32_f16 v71, v71;
	;;#ASMEND
	;;#ASMSTART
	v_cvt_f32_f16 v80, v80;
	;;#ASMEND
	v_mul_f32_e32 v70, v70, v80
	ds_load_b64 v[80:81], v52 offset:16
	v_mul_f32_e32 v69, v69, v71
	v_dual_fmac_f32 v65, v166, v167 :: v_dual_fmac_f32 v68, v176, v113
	s_delay_alu instid0(VALU_DEP_2)
	v_dual_fmac_f32 v70, v180, v178 :: v_dual_fmac_f32 v69, v179, v177
	v_and_b32_e32 v82, 0xffff, v82
	s_waitcnt lgkmcnt(0)
	v_lshrrev_b32_e32 v71, 16, v80
	v_and_b32_e32 v80, 0xffff, v80
	;;#ASMSTART
	v_cvt_f32_f16 v80, v80;
	;;#ASMEND
	;;#ASMSTART
	v_cvt_f32_f16 v71, v71;
	;;#ASMEND
	;; [unrolled: 3-line block ×3, first 2 shown]
	s_delay_alu instid0(VALU_DEP_1) | instskip(SKIP_1) | instid1(VALU_DEP_1)
	v_dual_fmac_f32 v65, v80, v82 :: v_dual_and_b32 v84, 0xffff, v84
	;;#ASMSTART
	v_cvt_f32_f16 v84, v84;
	;;#ASMEND
	v_fmac_f32_e32 v68, v71, v84
	v_lshrrev_b32_e32 v71, 16, v81
	v_and_b32_e32 v80, 0xffff, v81
	v_and_b32_e32 v81, 0xffff, v83
	;;#ASMSTART
	v_cvt_f32_f16 v80, v80;
	;;#ASMEND
	;;#ASMSTART
	v_cvt_f32_f16 v71, v71;
	;;#ASMEND
	;;#ASMSTART
	v_cvt_f32_f16 v81, v81;
	;;#ASMEND
	v_and_b32_e32 v82, 0xffff, v85
	;;#ASMSTART
	v_cvt_f32_f16 v82, v82;
	;;#ASMEND
	v_fmac_f32_e32 v69, v80, v81
	ds_load_b64 v[80:81], v52 offset:24
	v_fmac_f32_e32 v70, v71, v82
	v_and_b32_e32 v82, 0xffff, v86
	v_and_b32_e32 v83, 0xffff, v96
	s_waitcnt lgkmcnt(0)
	v_lshrrev_b32_e32 v71, 16, v80
	v_and_b32_e32 v80, 0xffff, v80
	;;#ASMSTART
	v_cvt_f32_f16 v80, v80;
	;;#ASMEND
	;;#ASMSTART
	v_cvt_f32_f16 v71, v71;
	;;#ASMEND
	;;#ASMSTART
	v_cvt_f32_f16 v82, v82;
	;;#ASMEND
	;;#ASMSTART
	v_cvt_f32_f16 v83, v83;
	;;#ASMEND
	v_dual_fmac_f32 v65, v80, v82 :: v_dual_fmac_f32 v68, v71, v83
	v_lshrrev_b32_e32 v71, 16, v81
	v_and_b32_e32 v80, 0xffff, v81
	v_and_b32_e32 v81, 0xffff, v87
	;;#ASMSTART
	v_cvt_f32_f16 v80, v80;
	;;#ASMEND
	;;#ASMSTART
	v_cvt_f32_f16 v71, v71;
	;;#ASMEND
	;;#ASMSTART
	v_cvt_f32_f16 v81, v81;
	;;#ASMEND
	v_and_b32_e32 v82, 0xffff, v97
	;;#ASMSTART
	v_cvt_f32_f16 v82, v82;
	;;#ASMEND
	v_fmac_f32_e32 v69, v80, v81
	ds_load_b64 v[80:81], v52 offset:32
	v_fmac_f32_e32 v70, v71, v82
	v_and_b32_e32 v82, 0xffff, v98
	v_and_b32_e32 v83, 0xffff, v100
	s_waitcnt lgkmcnt(0)
	v_lshrrev_b32_e32 v71, 16, v80
	v_and_b32_e32 v80, 0xffff, v80
	;;#ASMSTART
	v_cvt_f32_f16 v80, v80;
	;;#ASMEND
	;;#ASMSTART
	v_cvt_f32_f16 v71, v71;
	;;#ASMEND
	;;#ASMSTART
	v_cvt_f32_f16 v82, v82;
	;;#ASMEND
	;;#ASMSTART
	v_cvt_f32_f16 v83, v83;
	;;#ASMEND
	v_dual_fmac_f32 v65, v80, v82 :: v_dual_fmac_f32 v68, v71, v83
	;; [unrolled: 37-line block ×3, first 2 shown]
	v_lshrrev_b32_e32 v71, 16, v81
	v_and_b32_e32 v80, 0xffff, v81
	v_and_b32_e32 v81, 0xffff, v103
	;;#ASMSTART
	v_cvt_f32_f16 v80, v80;
	;;#ASMEND
	;;#ASMSTART
	v_cvt_f32_f16 v71, v71;
	;;#ASMEND
	;;#ASMSTART
	v_cvt_f32_f16 v81, v81;
	;;#ASMEND
	s_delay_alu instid0(VALU_DEP_1)
	v_dual_fmac_f32 v69, v80, v81 :: v_dual_and_b32 v82, 0xffff, v102
	;;#ASMSTART
	v_cvt_f32_f16 v82, v82;
	;;#ASMEND
	ds_load_b64 v[80:81], v52 offset:48
	v_fmac_f32_e32 v70, v71, v82
	v_and_b32_e32 v82, 0xffff, v129
	v_and_b32_e32 v83, 0xffff, v116
	s_waitcnt lgkmcnt(0)
	v_lshrrev_b32_e32 v71, 16, v80
	v_and_b32_e32 v80, 0xffff, v80
	;;#ASMSTART
	v_cvt_f32_f16 v80, v80;
	;;#ASMEND
	;;#ASMSTART
	v_cvt_f32_f16 v71, v71;
	;;#ASMEND
	;;#ASMSTART
	v_cvt_f32_f16 v82, v82;
	;;#ASMEND
	;;#ASMSTART
	v_cvt_f32_f16 v83, v83;
	;;#ASMEND
	v_dual_fmac_f32 v65, v80, v82 :: v_dual_fmac_f32 v68, v71, v83
	v_lshrrev_b32_e32 v71, 16, v81
	v_and_b32_e32 v80, 0xffff, v81
	v_and_b32_e32 v81, 0xffff, v115
	;;#ASMSTART
	v_cvt_f32_f16 v80, v80;
	;;#ASMEND
	;;#ASMSTART
	v_cvt_f32_f16 v71, v71;
	;;#ASMEND
	;;#ASMSTART
	v_cvt_f32_f16 v81, v81;
	;;#ASMEND
	s_delay_alu instid0(VALU_DEP_1)
	v_dual_fmac_f32 v69, v80, v81 :: v_dual_and_b32 v82, 0xffff, v114
	;;#ASMSTART
	v_cvt_f32_f16 v82, v82;
	;;#ASMEND
	ds_load_b64 v[80:81], v52 offset:56
	v_fmac_f32_e32 v70, v71, v82
	v_and_b32_e32 v82, 0xffff, v133
	v_and_b32_e32 v83, 0xffff, v128
	s_waitcnt lgkmcnt(0)
	v_lshrrev_b32_e32 v71, 16, v80
	v_and_b32_e32 v80, 0xffff, v80
	;;#ASMSTART
	v_cvt_f32_f16 v80, v80;
	;;#ASMEND
	;;#ASMSTART
	v_cvt_f32_f16 v71, v71;
	;;#ASMEND
	;;#ASMSTART
	v_cvt_f32_f16 v82, v82;
	;;#ASMEND
	;;#ASMSTART
	v_cvt_f32_f16 v83, v83;
	;;#ASMEND
	v_dual_fmac_f32 v65, v80, v82 :: v_dual_fmac_f32 v68, v71, v83
	;; [unrolled: 37-line block ×6, first 2 shown]
	v_lshrrev_b32_e32 v71, 16, v81
	v_and_b32_e32 v80, 0xffff, v81
	v_and_b32_e32 v81, 0xffff, v160
	;;#ASMSTART
	v_cvt_f32_f16 v80, v80;
	;;#ASMEND
	;;#ASMSTART
	v_cvt_f32_f16 v71, v71;
	;;#ASMEND
	;; [unrolled: 3-line block ×3, first 2 shown]
	s_delay_alu instid0(VALU_DEP_1)
	v_dual_fmac_f32 v69, v80, v81 :: v_dual_and_b32 v82, 0xffff, v150
	;;#ASMSTART
	v_cvt_f32_f16 v82, v82;
	;;#ASMEND
	ds_load_b64 v[80:81], v52 offset:96
	v_fmac_f32_e32 v70, v71, v82
	v_and_b32_e32 v82, 0xffff, v163
	v_and_b32_e32 v83, 0xffff, v162
	s_waitcnt lgkmcnt(0)
	v_lshrrev_b32_e32 v71, 16, v80
	v_and_b32_e32 v80, 0xffff, v80
	;;#ASMSTART
	v_cvt_f32_f16 v80, v80;
	;;#ASMEND
	;;#ASMSTART
	v_cvt_f32_f16 v71, v71;
	;;#ASMEND
	;; [unrolled: 3-line block ×4, first 2 shown]
	v_dual_fmac_f32 v65, v80, v82 :: v_dual_and_b32 v80, 0xffff, v81
	v_fmac_f32_e32 v68, v71, v83
	v_lshrrev_b32_e32 v71, 16, v81
	v_and_b32_e32 v81, 0xffff, v151
	;;#ASMSTART
	v_cvt_f32_f16 v80, v80;
	;;#ASMEND
	;;#ASMSTART
	v_cvt_f32_f16 v71, v71;
	;;#ASMEND
	;; [unrolled: 3-line block ×4, first 2 shown]
	v_fmac_f32_e32 v69, v80, v81
	ds_load_b64 v[80:81], v52 offset:104
	v_fmac_f32_e32 v70, v71, v29
	s_waitcnt lgkmcnt(0)
	v_lshrrev_b32_e32 v29, 16, v80
	v_and_b32_e32 v71, 0xffff, v80
	;;#ASMSTART
	v_cvt_f32_f16 v71, v71;
	;;#ASMEND
	;;#ASMSTART
	v_cvt_f32_f16 v29, v29;
	;;#ASMEND
	;; [unrolled: 3-line block ×4, first 2 shown]
	v_fmac_f32_e32 v68, v29, v66
	v_lshrrev_b32_e32 v29, 16, v81
	v_and_b32_e32 v66, 0xffff, v81
	;;#ASMSTART
	v_cvt_f32_f16 v66, v66;
	;;#ASMEND
	;;#ASMSTART
	v_cvt_f32_f16 v29, v29;
	;;#ASMEND
	;; [unrolled: 3-line block ×3, first 2 shown]
	v_fmac_f32_e32 v65, v71, v67
	v_fmac_f32_e32 v69, v66, v28
	v_xor_b32_e32 v28, 1, v39
	;;#ASMSTART
	v_cvt_f32_f16 v8, v8;
	;;#ASMEND
	v_fmac_f32_e32 v70, v29, v8
	v_add_f32_e32 v8, v65, v68
	s_delay_alu instid0(VALU_DEP_3) | instskip(NEXT) | instid1(VALU_DEP_2)
	v_cmp_gt_i32_e64 s2, 32, v28
	v_add_f32_e32 v8, v8, v69
	s_delay_alu instid0(VALU_DEP_2) | instskip(NEXT) | instid1(VALU_DEP_2)
	v_cndmask_b32_e64 v28, v39, v28, s2
	v_add_f32_e32 v8, v70, v8
	s_delay_alu instid0(VALU_DEP_2)
	v_lshlrev_b32_e32 v28, 2, v28
	ds_bpermute_b32 v28, v28, v8
	s_and_saveexec_b32 s3, vcc_lo
	s_cbranch_execz .LBB331_9
; %bb.459:                              ;   in Loop: Header=BB331_10 Depth=1
	s_waitcnt lgkmcnt(0)
	v_dual_add_f32 v8, v8, v28 :: v_dual_add_nc_u32 v29, v53, v54
	s_load_b32 s19, s[8:9], 0x0
	v_cmp_lt_i32_e64 s2, v54, v33
	s_delay_alu instid0(VALU_DEP_2) | instskip(NEXT) | instid1(VALU_DEP_1)
	v_cvt_f32_i32_e32 v29, v29
	v_mul_f32_e32 v29, v48, v29
	s_delay_alu instid0(VALU_DEP_1) | instskip(NEXT) | instid1(VALU_DEP_1)
	v_cndmask_b32_e64 v28, 0, v29, s1
	v_dual_max_f32 v29, v50, v50 :: v_dual_fmac_f32 v28, v8, v13
	s_waitcnt lgkmcnt(0)
	s_delay_alu instid0(VALU_DEP_1) | instskip(SKIP_1) | instid1(VALU_DEP_2)
	v_dual_max_f32 v8, v29, v28 :: v_dual_add_nc_u32 v29, s19, v55
	v_cndmask_b32_e64 v28, 0, v28, s2
	v_cndmask_b32_e64 v50, v50, v8, s2
	ds_store_b32 v29, v28
	s_branch .LBB331_9
.LBB331_460:
	s_or_b32 exec_lo, exec_lo, s7
.LBB331_461:
	s_delay_alu instid0(SALU_CYCLE_1)
	s_or_b32 exec_lo, exec_lo, s17
	v_xor_b32_e32 v8, 16, v39
	v_xor_b32_e32 v9, 8, v39
	s_waitcnt lgkmcnt(0)
	s_lshr_b32 s8, s18, 16
	v_dual_max_f32 v13, v50, v50 :: v_dual_and_b32 v18, 31, v31
	v_cmp_lt_i32_e32 vcc_lo, v8, v49
	v_dual_cndmask_b32 v8, v39, v8 :: v_dual_lshlrev_b32 v25, 2, v34
	v_cmp_lt_i32_e32 vcc_lo, v9, v49
	s_delay_alu instid0(VALU_DEP_2) | instskip(SKIP_3) | instid1(VALU_DEP_1)
	v_dual_cndmask_b32 v9, v39, v9 :: v_dual_lshlrev_b32 v20, 2, v8
	ds_bpermute_b32 v8, v20, v50
	s_waitcnt lgkmcnt(0)
	v_dual_max_f32 v8, v8, v8 :: v_dual_lshlrev_b32 v21, 2, v9
	v_max_f32_e32 v8, v13, v8
	v_xor_b32_e32 v13, 4, v39
	s_delay_alu instid0(VALU_DEP_1) | instskip(SKIP_4) | instid1(VALU_DEP_1)
	v_cmp_lt_i32_e32 vcc_lo, v13, v49
	v_cndmask_b32_e32 v13, v39, v13, vcc_lo
	ds_bpermute_b32 v9, v21, v8
	v_lshlrev_b32_e32 v24, 2, v13
	v_xor_b32_e32 v13, 2, v39
	v_cmp_lt_i32_e32 vcc_lo, v13, v49
	v_cndmask_b32_e32 v13, v39, v13, vcc_lo
	v_cmp_eq_u32_e32 vcc_lo, 0, v18
	s_waitcnt lgkmcnt(0)
	v_max_f32_e32 v9, v9, v9
	s_delay_alu instid0(VALU_DEP_3) | instskip(NEXT) | instid1(VALU_DEP_2)
	v_lshlrev_b32_e32 v13, 2, v13
	v_max_f32_e32 v8, v8, v9
	ds_bpermute_b32 v9, v24, v8
	s_waitcnt lgkmcnt(0)
	v_max_f32_e32 v9, v9, v9
	s_delay_alu instid0(VALU_DEP_1)
	v_max_f32_e32 v8, v8, v9
	ds_bpermute_b32 v9, v13, v8
	s_and_saveexec_b32 s1, vcc_lo
	s_cbranch_execz .LBB331_463
; %bb.462:
	s_waitcnt lgkmcnt(0)
	v_dual_max_f32 v9, v9, v9 :: v_dual_max_f32 v8, v8, v8
	s_delay_alu instid0(VALU_DEP_1)
	v_max_f32_e32 v8, v8, v9
	ds_store_b32 v25, v8 offset:224
.LBB331_463:
	s_or_b32 exec_lo, exec_lo, s1
	v_cmp_gt_u32_e64 s1, 4, v18
	v_mov_b32_e32 v8, 0xff7fffff
	v_lshlrev_b32_e32 v28, 2, v18
	s_waitcnt lgkmcnt(0)
	s_barrier
	buffer_gl0_inv
	s_and_saveexec_b32 s2, s1
	s_cbranch_execz .LBB331_465
; %bb.464:
	ds_load_b32 v8, v28 offset:224
.LBB331_465:
	s_or_b32 exec_lo, exec_lo, s2
	s_waitcnt lgkmcnt(0)
	ds_bpermute_b32 v9, v13, v8
	v_xor_b32_e32 v19, 1, v39
	v_max_f32_e32 v8, v8, v8
	s_delay_alu instid0(VALU_DEP_2) | instskip(NEXT) | instid1(VALU_DEP_1)
	v_cmp_lt_i32_e64 s2, v19, v49
	v_cndmask_b32_e64 v19, v39, v19, s2
	s_waitcnt lgkmcnt(0)
	v_max_f32_e32 v9, v9, v9
	s_delay_alu instid0(VALU_DEP_1)
	v_dual_max_f32 v8, v8, v9 :: v_dual_lshlrev_b32 v19, 2, v19
	ds_bpermute_b32 v9, v19, v8
	s_waitcnt lgkmcnt(0)
	v_max_f32_e32 v9, v9, v9
	v_lshlrev_b32_e32 v29, 2, v39
	v_subrev_nc_u32_e32 v39, s13, v35
	s_delay_alu instid0(VALU_DEP_3) | instskip(NEXT) | instid1(VALU_DEP_3)
	v_max_f32_e32 v8, v8, v9
	v_and_b32_e32 v29, 0xffffff80, v29
	s_delay_alu instid0(VALU_DEP_3) | instskip(SKIP_3) | instid1(VALU_DEP_1)
	v_lshl_add_u32 v9, v39, 4, s16
	v_mov_b32_e32 v39, 0
	ds_bpermute_b32 v8, v29, v8
	v_min_i32_e32 v9, v9, v33
	v_subrev_nc_u32_e32 v9, s16, v9
	s_delay_alu instid0(VALU_DEP_1) | instskip(NEXT) | instid1(VALU_DEP_1)
	v_cmp_lt_i32_e64 s2, v31, v9
	s_and_saveexec_b32 s9, s2
	s_cbranch_execz .LBB331_469
; %bb.466:
	s_getpc_b64 s[18:19]
	s_add_u32 s18, s18, llvm.amdgcn.dynlds.offset.table@rel32@lo+4
	s_addc_u32 s19, s19, llvm.amdgcn.dynlds.offset.table@rel32@hi+12
	s_ashr_i32 s7, s6, 31
	v_mov_b32_e32 v39, 0
	s_lshl_b64 s[20:21], s[6:7], 2
	v_mov_b32_e32 v49, v31
	s_add_u32 s18, s20, s18
	s_addc_u32 s19, s21, s19
	s_mov_b32 s7, 0
	s_load_b32 s3, s[18:19], 0x0
	s_waitcnt lgkmcnt(0)
	v_lshl_add_u32 v48, v31, 2, s3
	.p2align	6
.LBB331_467:                            ; =>This Inner Loop Header: Depth=1
	ds_load_b32 v50, v48
	v_add_nc_u32_e32 v49, 0x80, v49
	s_delay_alu instid0(VALU_DEP_1) | instskip(NEXT) | instid1(VALU_DEP_1)
	v_cmp_ge_i32_e64 s3, v49, v9
	s_or_b32 s7, s3, s7
	s_waitcnt lgkmcnt(0)
	v_sub_f32_e32 v50, v50, v8
	s_delay_alu instid0(VALU_DEP_1) | instskip(NEXT) | instid1(VALU_DEP_1)
	v_mul_f32_e32 v50, 0x3fb8aa3b, v50
	v_exp_f32_e32 v50, v50
	ds_store_b32 v48, v50
	v_dual_add_f32 v39, v39, v50 :: v_dual_add_nc_u32 v48, 0x200, v48
	s_and_not1_b32 exec_lo, exec_lo, s7
	s_cbranch_execnz .LBB331_467
; %bb.468:
	s_or_b32 exec_lo, exec_lo, s7
.LBB331_469:
	s_delay_alu instid0(SALU_CYCLE_1)
	s_or_b32 exec_lo, exec_lo, s9
	ds_bpermute_b32 v20, v20, v39
	s_waitcnt lgkmcnt(0)
	v_add_f32_e32 v20, v39, v20
	ds_bpermute_b32 v21, v21, v20
	s_waitcnt lgkmcnt(0)
	v_add_f32_e32 v20, v20, v21
	;; [unrolled: 3-line block ×5, first 2 shown]
	s_and_saveexec_b32 s3, vcc_lo
	s_cbranch_execz .LBB331_471
; %bb.470:
	ds_store_b32 v25, v20 offset:240
.LBB331_471:
	s_or_b32 exec_lo, exec_lo, s3
	s_waitcnt lgkmcnt(0)
	s_barrier
	buffer_gl0_inv
	s_and_saveexec_b32 s3, s1
	s_cbranch_execz .LBB331_473
; %bb.472:
	ds_load_b32 v20, v28 offset:240
.LBB331_473:
	s_or_b32 exec_lo, exec_lo, s3
	s_waitcnt lgkmcnt(0)
	ds_bpermute_b32 v13, v13, v20
	s_waitcnt lgkmcnt(0)
	v_add_f32_e32 v13, v20, v13
	ds_bpermute_b32 v20, v19, v13
	s_waitcnt lgkmcnt(0)
	v_add_f32_e32 v13, v13, v20
	ds_bpermute_b32 v13, v29, v13
	s_and_saveexec_b32 s1, s2
	s_cbranch_execz .LBB331_476
; %bb.474:
	s_waitcnt lgkmcnt(0)
	v_add_f32_e32 v21, 0x358637bd, v13
	s_getpc_b64 s[2:3]
	s_add_u32 s2, s2, llvm.amdgcn.dynlds.offset.table@rel32@lo+4
	s_addc_u32 s3, s3, llvm.amdgcn.dynlds.offset.table@rel32@hi+12
	s_ashr_i32 s7, s6, 31
	s_delay_alu instid0(SALU_CYCLE_1) | instskip(SKIP_4) | instid1(VALU_DEP_1)
	s_lshl_b64 s[18:19], s[6:7], 2
	v_div_scale_f32 v20, null, v21, v21, 1.0
	s_add_u32 s2, s18, s2
	s_addc_u32 s3, s19, s3
	s_load_b32 s2, s[2:3], 0x0
	v_rcp_f32_e32 v24, v20
	s_waitcnt_depctr 0xfff
	v_fma_f32 v25, -v20, v24, 1.0
	s_delay_alu instid0(VALU_DEP_1) | instskip(SKIP_1) | instid1(VALU_DEP_1)
	v_fmac_f32_e32 v24, v25, v24
	v_div_scale_f32 v28, vcc_lo, 1.0, v21, 1.0
	v_mul_f32_e32 v25, v28, v24
	s_delay_alu instid0(VALU_DEP_1) | instskip(NEXT) | instid1(VALU_DEP_1)
	v_fma_f32 v29, -v20, v25, v28
	v_fmac_f32_e32 v25, v29, v24
	s_delay_alu instid0(VALU_DEP_1) | instskip(NEXT) | instid1(VALU_DEP_1)
	v_fma_f32 v20, -v20, v25, v28
	v_div_fmas_f32 v24, v20, v24, v25
	s_waitcnt lgkmcnt(0)
	v_lshl_add_u32 v20, v31, 2, s2
	s_mov_b32 s2, 0
	s_delay_alu instid0(VALU_DEP_2)
	v_div_fixup_f32 v21, v24, v21, 1.0
	v_mov_b32_e32 v24, v31
.LBB331_475:                            ; =>This Inner Loop Header: Depth=1
	ds_load_b32 v25, v20
	s_waitcnt lgkmcnt(0)
	v_dual_mul_f32 v25, v21, v25 :: v_dual_add_nc_u32 v24, 0x80, v24
	s_delay_alu instid0(VALU_DEP_1) | instskip(SKIP_3) | instid1(SALU_CYCLE_1)
	v_cmp_ge_i32_e32 vcc_lo, v24, v9
	ds_store_b32 v20, v25
	v_add_nc_u32_e32 v20, 0x200, v20
	s_or_b32 s2, vcc_lo, s2
	s_and_not1_b32 exec_lo, exec_lo, s2
	s_cbranch_execnz .LBB331_475
.LBB331_476:
	s_or_b32 exec_lo, exec_lo, s1
	v_cmp_ne_u16_e64 s1, s8, 0
	s_waitcnt lgkmcnt(0)
	s_barrier
	buffer_gl0_inv
	s_cmp_lg_u32 s1, 0
	s_addc_u32 s1, s5, 0
	s_mov_b32 s5, exec_lo
	s_mul_i32 s2, s1, s10
	s_delay_alu instid0(SALU_CYCLE_1)
	s_mul_i32 s2, s2, s15
	v_cmpx_eq_u32_e32 0, v31
	s_cbranch_execz .LBB331_478
; %bb.477:
	s_mul_i32 s8, s1, s12
	s_ashr_i32 s15, s14, 31
	s_ashr_i32 s9, s8, 31
	;; [unrolled: 1-line block ×3, first 2 shown]
	s_lshl_b64 s[8:9], s[8:9], 2
	s_lshl_b64 s[12:13], s[14:15], 2
	;; [unrolled: 1-line block ×3, first 2 shown]
	s_add_u32 s3, s12, s8
	s_addc_u32 s7, s13, s9
	s_add_u32 s3, s3, s18
	s_addc_u32 s7, s7, s19
	v_add_co_u32 v2, vcc_lo, s3, v2
	v_add_co_ci_u32_e32 v3, vcc_lo, s7, v3, vcc_lo
	v_add_co_u32 v0, vcc_lo, s3, v0
	v_add_co_ci_u32_e32 v1, vcc_lo, s7, v1, vcc_lo
	flat_store_b32 v[2:3], v8
	flat_store_b32 v[0:1], v13
.LBB331_478:
	s_or_b32 exec_lo, exec_lo, s5
                                        ; implicit-def: $sgpr5
	s_and_saveexec_b32 s3, s0
	s_delay_alu instid0(SALU_CYCLE_1)
	s_xor_b32 s0, exec_lo, s3
; %bb.479:
	s_ashr_i32 s7, s6, 31
	s_mov_b32 s5, 0
                                        ; implicit-def: $vgpr33
                                        ; implicit-def: $vgpr36
                                        ; implicit-def: $vgpr35
                                        ; implicit-def: $vgpr6
                                        ; implicit-def: $vgpr10
                                        ; implicit-def: $vgpr11
                                        ; implicit-def: $vgpr14
                                        ; implicit-def: $vgpr15
                                        ; implicit-def: $vgpr22
                                        ; implicit-def: $vgpr26_vgpr27
                                        ; implicit-def: $vgpr37
                                        ; implicit-def: $vgpr38
                                        ; implicit-def: $vgpr16_vgpr17
                                        ; implicit-def: $vgpr23
                                        ; implicit-def: $vgpr12
; %bb.480:
	s_or_saveexec_b32 s3, s0
	v_dual_mov_b32 v21, s5 :: v_dual_mov_b32 v0, s6
	v_dual_mov_b32 v1, s7 :: v_dual_mov_b32 v24, s5
	;; [unrolled: 1-line block ×4, first 2 shown]
	v_mov_b32_e32 v39, s5
	s_xor_b32 exec_lo, exec_lo, s3
	s_cbranch_execz .LBB331_946
; %bb.481:
	s_getpc_b64 s[8:9]
	s_add_u32 s8, s8, llvm.amdgcn.dynlds.offset.table@rel32@lo+4
	s_addc_u32 s9, s9, llvm.amdgcn.dynlds.offset.table@rel32@hi+12
	s_ashr_i32 s7, s6, 31
	v_add_co_u32 v2, vcc_lo, v10, v37
	s_lshl_b64 s[12:13], s[6:7], 2
	v_dual_mov_b32 v20, 0 :: v_dual_and_b32 v9, 0xf8, v12
	s_add_u32 s8, s12, s8
	s_addc_u32 s9, s13, s9
	v_add_co_ci_u32_e32 v3, vcc_lo, v11, v38, vcc_lo
	s_load_b32 s0, s[8:9], 0x0
	v_lshlrev_b64 v[7:8], 2, v[6:7]
	v_add_co_u32 v2, vcc_lo, v2, v9
	v_dual_mov_b32 v28, 0 :: v_dual_lshlrev_b32 v9, 5, v32
	v_add_co_ci_u32_e32 v3, vcc_lo, 0, v3, vcc_lo
	s_delay_alu instid0(VALU_DEP_4) | instskip(SKIP_3) | instid1(VALU_DEP_4)
	v_add_co_u32 v7, vcc_lo, v16, v7
	v_dual_mov_b32 v1, 0 :: v_dual_and_b32 v0, 8, v12
	v_add_co_ci_u32_e32 v8, vcc_lo, v17, v8, vcc_lo
	v_lshl_or_b32 v9, v34, 6, v9
	v_add_co_u32 v7, vcc_lo, v14, v7
	v_dual_mov_b32 v37, v33 :: v_dual_add_nc_u32 v36, -1, v36
	s_delay_alu instid0(VALU_DEP_4)
	v_add_co_ci_u32_e32 v8, vcc_lo, v15, v8, vcc_lo
	v_add3_u32 v15, s16, v23, v0
	s_waitcnt lgkmcnt(0)
	v_dual_mov_b32 v39, 0 :: v_dual_add_nc_u32 v16, s0, v9
	v_dual_mov_b32 v29, 0 :: v_dual_mov_b32 v24, 0
	v_mov_b32_e32 v25, 0
	v_mov_b32_e32 v21, 0
	s_mov_b32 s8, -1
	s_mov_b32 s9, 0xffffff
	s_mov_b32 s5, 0
	s_branch .LBB331_483
.LBB331_482:                            ;   in Loop: Header=BB331_483 Depth=1
	s_or_b32 exec_lo, exec_lo, s0
	v_add_f32_e32 v11, v64, v65
	v_add_f32_e32 v17, v66, v67
	v_add_co_u32 v7, s0, v7, 16
	s_delay_alu instid0(VALU_DEP_1) | instskip(NEXT) | instid1(VALU_DEP_4)
	v_add_co_ci_u32_e64 v8, s0, 0, v8, s0
	v_add_f32_e32 v20, v20, v11
	;;#ASMSTART
	v_pk_mul_f16 v11, v55, v12;

	;;#ASMEND
	;;#ASMSTART
	v_pk_mul_f16 v10, v54, v10;

	;;#ASMEND
	;; [unrolled: 4-line block ×4, first 2 shown]
	;;#ASMSTART
	v_pk_add_f16 v10, v11, v10;

	;;#ASMEND
	;;#ASMSTART
	v_pk_add_f16 v0, v10, v0;

	;;#ASMEND
	v_add_f32_e32 v10, v70, v71
	;;#ASMSTART
	v_pk_add_f16 v0, v0, v9;

	;;#ASMEND
	v_and_b32_e32 v9, 0xffff, v0
	v_lshrrev_b32_e32 v0, 16, v0
	v_add_nc_u32_e32 v6, 4, v6
	v_add_f32_e32 v28, v28, v10
	;;#ASMSTART
	v_cvt_f32_f16 v9, v9;
	;;#ASMEND
	;;#ASMSTART
	v_cvt_f32_f16 v0, v0;
	;;#ASMEND
	v_dual_add_f32 v23, v68, v69 :: v_dual_add_f32 v0, v9, v0
	v_dual_add_f32 v11, v80, v81 :: v_dual_add_nc_u32 v16, 0x100, v16
	v_add_f32_e32 v12, v13, v14
	s_delay_alu instid0(VALU_DEP_3) | instskip(SKIP_2) | instid1(VALU_DEP_4)
	v_add_f32_e32 v29, v29, v23
	v_cmp_ge_i32_e32 vcc_lo, v6, v35
	v_add_f32_e32 v39, v39, v17
	v_dual_add_f32 v25, v25, v11 :: v_dual_add_f32 v24, v24, v12
	v_add_f32_e32 v21, v21, v0
	v_add_nc_u32_e32 v15, 64, v15
	s_or_b32 s5, vcc_lo, s5
	s_delay_alu instid0(SALU_CYCLE_1)
	s_and_not1_b32 exec_lo, exec_lo, s5
	s_cbranch_execz .LBB331_945
.LBB331_483:                            ; =>This Inner Loop Header: Depth=1
	flat_load_b32 v0, v[7:8]
	ds_load_2addr_b64 v[10:13], v16 offset1:1
	ds_load_2addr_b64 v[48:51], v16 offset0:2 offset1:3
	s_mov_b32 s0, exec_lo
	s_waitcnt lgkmcnt(1)
	;;#ASMSTART
	v_cvt_f16_f32 v52, v10;

	;;#ASMEND
	;;#ASMSTART
	v_cvt_f16_f32 v53, v11;

	;;#ASMEND
	;; [unrolled: 4-line block ×4, first 2 shown]
	s_waitcnt lgkmcnt(0)
	;;#ASMSTART
	v_cvt_f16_f32 v66, v48;

	;;#ASMEND
	;;#ASMSTART
	v_cvt_f16_f32 v64, v49;

	;;#ASMEND
	;; [unrolled: 4-line block ×4, first 2 shown]
	v_mov_b32_e32 v23, 0
	s_waitcnt vmcnt(0)
	v_mad_i64_i32 v[9:10], null, v0, v22, v[2:3]
	flat_load_b64 v[11:12], v[9:10]
	flat_load_b32 v17, v[26:27]
	s_waitcnt vmcnt(1) lgkmcnt(1)
	v_and_b32_e32 v0, 0xff, v11
	s_delay_alu instid0(VALU_DEP_1)
	v_cmpx_ne_u16_e32 0, v0
	s_cbranch_execz .LBB331_491
; %bb.484:                              ;   in Loop: Header=BB331_483 Depth=1
	v_bfrev_b32_e32 v23, 1
	s_mov_b32 s10, exec_lo
	v_cmpx_ne_u16_e32 0x80, v0
	s_cbranch_execz .LBB331_490
; %bb.485:                              ;   in Loop: Header=BB331_483 Depth=1
	v_and_b32_e32 v13, 0x7f, v11
	v_mov_b32_e32 v23, 0x7fc02000
	s_mov_b32 s12, exec_lo
	s_delay_alu instid0(VALU_DEP_2)
	v_cmpx_ne_u32_e32 0x7f, v13
	s_cbranch_execz .LBB331_489
; %bb.486:                              ;   in Loop: Header=BB331_483 Depth=1
	v_lshrrev_b32_e32 v0, 3, v13
	v_cmp_gt_u32_e32 vcc_lo, 8, v13
	v_dual_mov_b32 v14, v12 :: v_dual_mov_b32 v13, v11
	s_and_saveexec_b32 s13, vcc_lo
; %bb.487:                              ;   in Loop: Header=BB331_483 Depth=1
	v_and_b32_e32 v0, 7, v11
	s_delay_alu instid0(VALU_DEP_1) | instskip(NEXT) | instid1(VALU_DEP_1)
	v_clz_i32_u32_e32 v0, v0
	v_min_u32_e32 v0, 32, v0
	s_delay_alu instid0(VALU_DEP_1) | instskip(SKIP_1) | instid1(VALU_DEP_2)
	v_subrev_nc_u32_e32 v13, 28, v0
	v_sub_nc_u32_e32 v0, 29, v0
	v_lshlrev_b64 v[13:14], v13, v[11:12]
; %bb.488:                              ;   in Loop: Header=BB331_483 Depth=1
	s_or_b32 exec_lo, exec_lo, s13
	v_lshlrev_b32_e32 v14, 8, v11
	s_delay_alu instid0(VALU_DEP_3) | instskip(NEXT) | instid1(VALU_DEP_3)
	v_lshl_add_u32 v0, v0, 10, 0x2000
	v_lshlrev_b32_e32 v13, 7, v13
	s_delay_alu instid0(VALU_DEP_2) | instskip(NEXT) | instid1(VALU_DEP_1)
	v_and_or_b32 v0, 0x8000, v14, v0
	v_and_or_b32 v0, 0x380, v13, v0
	s_delay_alu instid0(VALU_DEP_1)
	v_cvt_f32_f16_e32 v23, v0
.LBB331_489:                            ;   in Loop: Header=BB331_483 Depth=1
	s_or_b32 exec_lo, exec_lo, s12
.LBB331_490:                            ;   in Loop: Header=BB331_483 Depth=1
	s_delay_alu instid0(SALU_CYCLE_1)
	s_or_b32 exec_lo, exec_lo, s10
.LBB331_491:                            ;   in Loop: Header=BB331_483 Depth=1
	s_delay_alu instid0(SALU_CYCLE_1) | instskip(SKIP_4) | instid1(VALU_DEP_3)
	s_or_b32 exec_lo, exec_lo, s0
	v_lshrrev_b16 v0, 8, v11
	v_mov_b32_e32 v48, 0
	v_mov_b32_e32 v38, 0
	s_mov_b32 s0, exec_lo
	v_cmpx_ne_u16_e32 0, v0
	s_cbranch_execz .LBB331_499
; %bb.492:                              ;   in Loop: Header=BB331_483 Depth=1
	v_bfrev_b32_e32 v38, 1
	s_mov_b32 s10, exec_lo
	v_cmpx_ne_u16_e32 0x80, v0
	s_cbranch_execz .LBB331_498
; %bb.493:                              ;   in Loop: Header=BB331_483 Depth=1
	v_and_b32_e32 v13, 0xffff, v0
	v_mov_b32_e32 v38, 0x7fc02000
	s_mov_b32 s12, exec_lo
	s_delay_alu instid0(VALU_DEP_2) | instskip(NEXT) | instid1(VALU_DEP_1)
	v_and_b32_e32 v49, 0x7f, v13
	v_cmpx_ne_u32_e32 0x7f, v49
	s_cbranch_execz .LBB331_497
; %bb.494:                              ;   in Loop: Header=BB331_483 Depth=1
	v_and_b32_e32 v0, 7, v13
	v_lshrrev_b32_e32 v14, 3, v49
	s_mov_b32 s13, exec_lo
	v_cmpx_gt_u32_e32 8, v49
; %bb.495:                              ;   in Loop: Header=BB331_483 Depth=1
	s_delay_alu instid0(VALU_DEP_3) | instskip(NEXT) | instid1(VALU_DEP_1)
	v_clz_i32_u32_e32 v14, v0
	v_min_u32_e32 v14, 32, v14
	s_delay_alu instid0(VALU_DEP_1) | instskip(SKIP_1) | instid1(VALU_DEP_2)
	v_subrev_nc_u32_e32 v38, 28, v14
	v_sub_nc_u32_e32 v14, 29, v14
	v_lshlrev_b64 v[49:50], v38, v[0:1]
	s_delay_alu instid0(VALU_DEP_1)
	v_and_b32_e32 v0, 7, v49
; %bb.496:                              ;   in Loop: Header=BB331_483 Depth=1
	s_or_b32 exec_lo, exec_lo, s13
	v_lshlrev_b32_e32 v13, 8, v13
	v_lshl_add_u32 v14, v14, 10, 0x2000
	s_delay_alu instid0(VALU_DEP_1) | instskip(NEXT) | instid1(VALU_DEP_1)
	v_and_or_b32 v13, 0x8000, v13, v14
	v_lshl_or_b32 v0, v0, 7, v13
	s_delay_alu instid0(VALU_DEP_1)
	v_cvt_f32_f16_e32 v38, v0
.LBB331_497:                            ;   in Loop: Header=BB331_483 Depth=1
	s_or_b32 exec_lo, exec_lo, s12
.LBB331_498:                            ;   in Loop: Header=BB331_483 Depth=1
	s_delay_alu instid0(SALU_CYCLE_1)
	s_or_b32 exec_lo, exec_lo, s10
.LBB331_499:                            ;   in Loop: Header=BB331_483 Depth=1
	s_delay_alu instid0(SALU_CYCLE_1) | instskip(SKIP_2) | instid1(VALU_DEP_1)
	s_or_b32 exec_lo, exec_lo, s0
	v_lshrrev_b32_e32 v13, 16, v11
	s_mov_b32 s0, exec_lo
	v_and_b32_e32 v0, 0xff, v13
	s_delay_alu instid0(VALU_DEP_1)
	v_cmpx_ne_u16_e32 0, v0
	s_cbranch_execz .LBB331_507
; %bb.500:                              ;   in Loop: Header=BB331_483 Depth=1
	v_bfrev_b32_e32 v48, 1
	s_mov_b32 s10, exec_lo
	v_cmpx_ne_u16_e32 0x80, v0
	s_cbranch_execz .LBB331_506
; %bb.501:                              ;   in Loop: Header=BB331_483 Depth=1
	v_bfe_u32 v49, v11, 16, 7
	v_mov_b32_e32 v48, 0x7fc02000
	s_mov_b32 s12, exec_lo
	s_delay_alu instid0(VALU_DEP_2)
	v_cmpx_ne_u32_e32 0x7f, v49
	s_cbranch_execz .LBB331_505
; %bb.502:                              ;   in Loop: Header=BB331_483 Depth=1
	v_and_b32_e32 v0, 7, v13
	v_lshrrev_b32_e32 v14, 3, v49
	s_mov_b32 s13, exec_lo
	v_cmpx_gt_u32_e32 8, v49
; %bb.503:                              ;   in Loop: Header=BB331_483 Depth=1
	s_delay_alu instid0(VALU_DEP_3) | instskip(NEXT) | instid1(VALU_DEP_1)
	v_clz_i32_u32_e32 v14, v0
	v_min_u32_e32 v14, 32, v14
	s_delay_alu instid0(VALU_DEP_1) | instskip(SKIP_1) | instid1(VALU_DEP_2)
	v_subrev_nc_u32_e32 v48, 28, v14
	v_sub_nc_u32_e32 v14, 29, v14
	v_lshlrev_b64 v[48:49], v48, v[0:1]
	s_delay_alu instid0(VALU_DEP_1)
	v_and_b32_e32 v0, 7, v48
; %bb.504:                              ;   in Loop: Header=BB331_483 Depth=1
	s_or_b32 exec_lo, exec_lo, s13
	v_lshlrev_b32_e32 v13, 8, v13
	v_lshl_add_u32 v14, v14, 10, 0x2000
	s_delay_alu instid0(VALU_DEP_1) | instskip(NEXT) | instid1(VALU_DEP_1)
	v_and_or_b32 v13, 0x8000, v13, v14
	v_lshl_or_b32 v0, v0, 7, v13
	s_delay_alu instid0(VALU_DEP_1)
	v_cvt_f32_f16_e32 v48, v0
.LBB331_505:                            ;   in Loop: Header=BB331_483 Depth=1
	s_or_b32 exec_lo, exec_lo, s12
.LBB331_506:                            ;   in Loop: Header=BB331_483 Depth=1
	s_delay_alu instid0(SALU_CYCLE_1)
	s_or_b32 exec_lo, exec_lo, s10
.LBB331_507:                            ;   in Loop: Header=BB331_483 Depth=1
	s_delay_alu instid0(SALU_CYCLE_1)
	s_or_b32 exec_lo, exec_lo, s0
	v_mov_b32_e32 v13, 0
	v_mov_b32_e32 v49, 0
	s_mov_b32 s0, exec_lo
	v_cmpx_lt_u32_e32 0xffffff, v11
	s_cbranch_execz .LBB331_515
; %bb.508:                              ;   in Loop: Header=BB331_483 Depth=1
	v_lshrrev_b32_e32 v14, 24, v11
	v_bfrev_b32_e32 v49, 1
	s_mov_b32 s10, exec_lo
	s_delay_alu instid0(VALU_DEP_2)
	v_cmpx_ne_u32_e32 0x80, v14
	s_cbranch_execz .LBB331_514
; %bb.509:                              ;   in Loop: Header=BB331_483 Depth=1
	v_and_b32_e32 v50, 0x7f, v14
	v_mov_b32_e32 v49, 0x7fc02000
	s_mov_b32 s12, exec_lo
	s_delay_alu instid0(VALU_DEP_2)
	v_cmpx_ne_u32_e32 0x7f, v50
	s_cbranch_execz .LBB331_513
; %bb.510:                              ;   in Loop: Header=BB331_483 Depth=1
	v_and_b32_e32 v0, 7, v14
	v_lshrrev_b32_e32 v49, 3, v50
	s_mov_b32 s13, exec_lo
	v_cmpx_gt_u32_e32 8, v50
; %bb.511:                              ;   in Loop: Header=BB331_483 Depth=1
	s_delay_alu instid0(VALU_DEP_3) | instskip(NEXT) | instid1(VALU_DEP_1)
	v_clz_i32_u32_e32 v49, v0
	v_min_u32_e32 v49, 32, v49
	s_delay_alu instid0(VALU_DEP_1) | instskip(SKIP_1) | instid1(VALU_DEP_2)
	v_subrev_nc_u32_e32 v50, 28, v49
	v_sub_nc_u32_e32 v49, 29, v49
	v_lshlrev_b64 v[50:51], v50, v[0:1]
	s_delay_alu instid0(VALU_DEP_1)
	v_and_b32_e32 v0, 7, v50
; %bb.512:                              ;   in Loop: Header=BB331_483 Depth=1
	s_or_b32 exec_lo, exec_lo, s13
	v_lshlrev_b32_e32 v14, 8, v14
	v_lshl_add_u32 v49, v49, 10, 0x2000
	s_delay_alu instid0(VALU_DEP_1) | instskip(NEXT) | instid1(VALU_DEP_1)
	v_and_or_b32 v14, 0x8000, v14, v49
	v_lshl_or_b32 v0, v0, 7, v14
	s_delay_alu instid0(VALU_DEP_1)
	v_cvt_f32_f16_e32 v49, v0
.LBB331_513:                            ;   in Loop: Header=BB331_483 Depth=1
	s_or_b32 exec_lo, exec_lo, s12
.LBB331_514:                            ;   in Loop: Header=BB331_483 Depth=1
	s_delay_alu instid0(SALU_CYCLE_1)
	s_or_b32 exec_lo, exec_lo, s10
.LBB331_515:                            ;   in Loop: Header=BB331_483 Depth=1
	s_delay_alu instid0(SALU_CYCLE_1) | instskip(SKIP_3) | instid1(VALU_DEP_2)
	s_or_b32 exec_lo, exec_lo, s0
	v_and_b32_e32 v14, 0xff, v12
	v_mov_b32_e32 v0, v12
	s_mov_b32 s0, exec_lo
	v_cmpx_ne_u16_e32 0, v14
	s_cbranch_execz .LBB331_523
; %bb.516:                              ;   in Loop: Header=BB331_483 Depth=1
	v_bfrev_b32_e32 v13, 1
	s_mov_b32 s10, exec_lo
	v_cmpx_ne_u16_e32 0x80, v14
	s_cbranch_execz .LBB331_522
; %bb.517:                              ;   in Loop: Header=BB331_483 Depth=1
	v_and_b32_e32 v14, 0x7f, v12
	v_mov_b32_e32 v13, 0x7fc02000
	s_mov_b32 s12, exec_lo
	s_delay_alu instid0(VALU_DEP_2)
	v_cmpx_ne_u32_e32 0x7f, v14
	s_cbranch_execz .LBB331_521
; %bb.518:                              ;   in Loop: Header=BB331_483 Depth=1
	v_lshrrev_b32_e32 v50, 3, v14
	v_cmp_gt_u32_e32 vcc_lo, 8, v14
	v_dual_mov_b32 v14, v1 :: v_dual_mov_b32 v13, v0
	s_and_saveexec_b32 s13, vcc_lo
; %bb.519:                              ;   in Loop: Header=BB331_483 Depth=1
	v_and_b32_e32 v13, 7, v12
	s_delay_alu instid0(VALU_DEP_1) | instskip(NEXT) | instid1(VALU_DEP_1)
	v_clz_i32_u32_e32 v13, v13
	v_min_u32_e32 v50, 32, v13
	s_delay_alu instid0(VALU_DEP_1) | instskip(SKIP_1) | instid1(VALU_DEP_2)
	v_subrev_nc_u32_e32 v13, 28, v50
	v_sub_nc_u32_e32 v50, 29, v50
	v_lshlrev_b64 v[13:14], v13, v[0:1]
; %bb.520:                              ;   in Loop: Header=BB331_483 Depth=1
	s_or_b32 exec_lo, exec_lo, s13
	v_lshlrev_b32_e32 v14, 8, v12
	s_delay_alu instid0(VALU_DEP_3) | instskip(NEXT) | instid1(VALU_DEP_3)
	v_lshl_add_u32 v50, v50, 10, 0x2000
	v_lshlrev_b32_e32 v13, 7, v13
	s_delay_alu instid0(VALU_DEP_2) | instskip(NEXT) | instid1(VALU_DEP_1)
	v_and_or_b32 v14, 0x8000, v14, v50
	v_and_or_b32 v13, 0x380, v13, v14
	s_delay_alu instid0(VALU_DEP_1)
	v_cvt_f32_f16_e32 v13, v13
.LBB331_521:                            ;   in Loop: Header=BB331_483 Depth=1
	s_or_b32 exec_lo, exec_lo, s12
.LBB331_522:                            ;   in Loop: Header=BB331_483 Depth=1
	s_delay_alu instid0(SALU_CYCLE_1)
	s_or_b32 exec_lo, exec_lo, s10
.LBB331_523:                            ;   in Loop: Header=BB331_483 Depth=1
	s_delay_alu instid0(SALU_CYCLE_1) | instskip(SKIP_4) | instid1(VALU_DEP_3)
	s_or_b32 exec_lo, exec_lo, s0
	v_lshrrev_b16 v0, 8, v0
	v_mov_b32_e32 v14, 0
	v_mov_b32_e32 v50, 0
	s_mov_b32 s0, exec_lo
	v_cmpx_ne_u16_e32 0, v0
	s_cbranch_execz .LBB331_531
; %bb.524:                              ;   in Loop: Header=BB331_483 Depth=1
	v_bfrev_b32_e32 v50, 1
	s_mov_b32 s10, exec_lo
	v_cmpx_ne_u16_e32 0x80, v0
	s_cbranch_execz .LBB331_530
; %bb.525:                              ;   in Loop: Header=BB331_483 Depth=1
	v_and_b32_e32 v51, 0xffff, v0
	v_mov_b32_e32 v50, 0x7fc02000
	s_mov_b32 s12, exec_lo
	s_delay_alu instid0(VALU_DEP_2) | instskip(NEXT) | instid1(VALU_DEP_1)
	v_and_b32_e32 v68, 0x7f, v51
	v_cmpx_ne_u32_e32 0x7f, v68
	s_cbranch_execz .LBB331_529
; %bb.526:                              ;   in Loop: Header=BB331_483 Depth=1
	v_and_b32_e32 v0, 7, v51
	v_lshrrev_b32_e32 v50, 3, v68
	s_mov_b32 s13, exec_lo
	v_cmpx_gt_u32_e32 8, v68
; %bb.527:                              ;   in Loop: Header=BB331_483 Depth=1
	s_delay_alu instid0(VALU_DEP_3) | instskip(NEXT) | instid1(VALU_DEP_1)
	v_clz_i32_u32_e32 v50, v0
	v_min_u32_e32 v50, 32, v50
	s_delay_alu instid0(VALU_DEP_1) | instskip(SKIP_1) | instid1(VALU_DEP_2)
	v_subrev_nc_u32_e32 v68, 28, v50
	v_sub_nc_u32_e32 v50, 29, v50
	v_lshlrev_b64 v[68:69], v68, v[0:1]
	s_delay_alu instid0(VALU_DEP_1)
	v_and_b32_e32 v0, 7, v68
; %bb.528:                              ;   in Loop: Header=BB331_483 Depth=1
	s_or_b32 exec_lo, exec_lo, s13
	v_lshlrev_b32_e32 v51, 8, v51
	v_lshl_add_u32 v50, v50, 10, 0x2000
	s_delay_alu instid0(VALU_DEP_1) | instskip(NEXT) | instid1(VALU_DEP_1)
	v_and_or_b32 v50, 0x8000, v51, v50
	v_lshl_or_b32 v0, v0, 7, v50
	s_delay_alu instid0(VALU_DEP_1)
	v_cvt_f32_f16_e32 v50, v0
.LBB331_529:                            ;   in Loop: Header=BB331_483 Depth=1
	s_or_b32 exec_lo, exec_lo, s12
.LBB331_530:                            ;   in Loop: Header=BB331_483 Depth=1
	s_delay_alu instid0(SALU_CYCLE_1)
	s_or_b32 exec_lo, exec_lo, s10
.LBB331_531:                            ;   in Loop: Header=BB331_483 Depth=1
	s_delay_alu instid0(SALU_CYCLE_1) | instskip(SKIP_2) | instid1(VALU_DEP_1)
	s_or_b32 exec_lo, exec_lo, s0
	v_lshrrev_b32_e32 v51, 16, v12
	s_mov_b32 s0, exec_lo
	v_and_b32_e32 v0, 0xff, v51
	s_delay_alu instid0(VALU_DEP_1)
	v_cmpx_ne_u16_e32 0, v0
	s_cbranch_execz .LBB331_539
; %bb.532:                              ;   in Loop: Header=BB331_483 Depth=1
	v_bfrev_b32_e32 v14, 1
	s_mov_b32 s10, exec_lo
	v_cmpx_ne_u16_e32 0x80, v0
	s_cbranch_execz .LBB331_538
; %bb.533:                              ;   in Loop: Header=BB331_483 Depth=1
	v_bfe_u32 v68, v12, 16, 7
	v_mov_b32_e32 v14, 0x7fc02000
	s_mov_b32 s12, exec_lo
	s_delay_alu instid0(VALU_DEP_2)
	v_cmpx_ne_u32_e32 0x7f, v68
	s_cbranch_execz .LBB331_537
; %bb.534:                              ;   in Loop: Header=BB331_483 Depth=1
	v_and_b32_e32 v0, 7, v51
	v_lshrrev_b32_e32 v14, 3, v68
	s_mov_b32 s13, exec_lo
	v_cmpx_gt_u32_e32 8, v68
; %bb.535:                              ;   in Loop: Header=BB331_483 Depth=1
	s_delay_alu instid0(VALU_DEP_3) | instskip(NEXT) | instid1(VALU_DEP_1)
	v_clz_i32_u32_e32 v14, v0
	v_min_u32_e32 v14, 32, v14
	s_delay_alu instid0(VALU_DEP_1) | instskip(SKIP_1) | instid1(VALU_DEP_2)
	v_subrev_nc_u32_e32 v68, 28, v14
	v_sub_nc_u32_e32 v14, 29, v14
	v_lshlrev_b64 v[68:69], v68, v[0:1]
	s_delay_alu instid0(VALU_DEP_1)
	v_and_b32_e32 v0, 7, v68
; %bb.536:                              ;   in Loop: Header=BB331_483 Depth=1
	s_or_b32 exec_lo, exec_lo, s13
	v_lshlrev_b32_e32 v51, 8, v51
	v_lshl_add_u32 v14, v14, 10, 0x2000
	s_delay_alu instid0(VALU_DEP_1) | instskip(NEXT) | instid1(VALU_DEP_1)
	v_and_or_b32 v14, 0x8000, v51, v14
	v_lshl_or_b32 v0, v0, 7, v14
	s_delay_alu instid0(VALU_DEP_1)
	v_cvt_f32_f16_e32 v14, v0
.LBB331_537:                            ;   in Loop: Header=BB331_483 Depth=1
	s_or_b32 exec_lo, exec_lo, s12
.LBB331_538:                            ;   in Loop: Header=BB331_483 Depth=1
	s_delay_alu instid0(SALU_CYCLE_1)
	s_or_b32 exec_lo, exec_lo, s10
.LBB331_539:                            ;   in Loop: Header=BB331_483 Depth=1
	s_delay_alu instid0(SALU_CYCLE_1)
	s_or_b32 exec_lo, exec_lo, s0
	v_mov_b32_e32 v0, 0
	s_mov_b32 s0, exec_lo
	v_cmpx_lt_u64_e64 s[8:9], v[11:12]
	s_cbranch_execz .LBB331_547
; %bb.540:                              ;   in Loop: Header=BB331_483 Depth=1
	v_lshrrev_b32_e32 v11, 24, v12
	v_bfrev_b32_e32 v0, 1
	s_mov_b32 s10, exec_lo
	s_delay_alu instid0(VALU_DEP_2)
	v_cmpx_ne_u32_e32 0x80, v11
	s_cbranch_execz .LBB331_546
; %bb.541:                              ;   in Loop: Header=BB331_483 Depth=1
	v_and_b32_e32 v51, 0x7f, v11
	v_mov_b32_e32 v0, 0x7fc02000
	s_mov_b32 s12, exec_lo
	s_delay_alu instid0(VALU_DEP_2)
	v_cmpx_ne_u32_e32 0x7f, v51
	s_cbranch_execz .LBB331_545
; %bb.542:                              ;   in Loop: Header=BB331_483 Depth=1
	v_and_b32_e32 v0, 7, v11
	v_lshrrev_b32_e32 v12, 3, v51
	s_mov_b32 s13, exec_lo
	v_cmpx_gt_u32_e32 8, v51
; %bb.543:                              ;   in Loop: Header=BB331_483 Depth=1
	s_delay_alu instid0(VALU_DEP_3) | instskip(NEXT) | instid1(VALU_DEP_1)
	v_clz_i32_u32_e32 v12, v0
	v_min_u32_e32 v12, 32, v12
	s_delay_alu instid0(VALU_DEP_1) | instskip(SKIP_1) | instid1(VALU_DEP_2)
	v_subrev_nc_u32_e32 v51, 28, v12
	v_sub_nc_u32_e32 v12, 29, v12
	v_lshlrev_b64 v[68:69], v51, v[0:1]
	s_delay_alu instid0(VALU_DEP_1)
	v_and_b32_e32 v0, 7, v68
; %bb.544:                              ;   in Loop: Header=BB331_483 Depth=1
	s_or_b32 exec_lo, exec_lo, s13
	v_lshlrev_b32_e32 v11, 8, v11
	v_lshl_add_u32 v12, v12, 10, 0x2000
	s_delay_alu instid0(VALU_DEP_1) | instskip(NEXT) | instid1(VALU_DEP_1)
	v_and_or_b32 v11, 0x8000, v11, v12
	v_lshl_or_b32 v0, v0, 7, v11
	s_delay_alu instid0(VALU_DEP_1)
	v_cvt_f32_f16_e32 v0, v0
.LBB331_545:                            ;   in Loop: Header=BB331_483 Depth=1
	s_or_b32 exec_lo, exec_lo, s12
.LBB331_546:                            ;   in Loop: Header=BB331_483 Depth=1
	s_delay_alu instid0(SALU_CYCLE_1)
	s_or_b32 exec_lo, exec_lo, s10
.LBB331_547:                            ;   in Loop: Header=BB331_483 Depth=1
	s_delay_alu instid0(SALU_CYCLE_1)
	s_or_b32 exec_lo, exec_lo, s0
	s_waitcnt vmcnt(0) lgkmcnt(0)
	v_fma_mixlo_f16 v11, v17, v49, 0
	v_fma_mixlo_f16 v12, v17, v48, 0
	;; [unrolled: 1-line block ×8, first 2 shown]
	v_lshlrev_b32_e32 v11, 16, v11
	v_and_b32_e32 v12, 0xffff, v12
	v_lshlrev_b32_e32 v38, 16, v38
	v_and_b32_e32 v14, 0xffff, v23
	;; [unrolled: 2-line block ×4, first 2 shown]
	v_cmp_eq_u32_e32 vcc_lo, v36, v6
	v_or_b32_e32 v12, v11, v12
	v_or_b32_e32 v14, v38, v14
	;; [unrolled: 1-line block ×4, first 2 shown]
	v_add_nc_u32_e32 v51, 1, v15
	v_or_b32_e32 v50, 3, v15
	v_or_b32_e32 v49, 2, v15
	v_or_b32_e32 v48, 5, v15
	v_or_b32_e32 v38, 4, v15
	v_or_b32_e32 v23, 7, v15
	v_or_b32_e32 v17, 6, v15
	s_and_saveexec_b32 s10, vcc_lo
	s_cbranch_execz .LBB331_549
; %bb.548:                              ;   in Loop: Header=BB331_483 Depth=1
	v_cmp_lt_i32_e64 s0, v15, v33
	v_lshrrev_b32_e32 v68, 16, v14
	v_lshrrev_b32_e32 v69, 16, v12
	;; [unrolled: 1-line block ×4, first 2 shown]
	v_cndmask_b32_e64 v14, 0, v14, s0
	v_cmp_lt_i32_e64 s0, v51, v37
	s_delay_alu instid0(VALU_DEP_1) | instskip(SKIP_1) | instid1(VALU_DEP_2)
	v_cndmask_b32_e64 v68, 0, v68, s0
	v_cmp_lt_i32_e64 s0, v50, v37
	v_perm_b32 v14, v68, v14, 0x5040100
	s_delay_alu instid0(VALU_DEP_2) | instskip(SKIP_1) | instid1(VALU_DEP_1)
	v_cndmask_b32_e64 v69, 0, v69, s0
	v_cmp_lt_i32_e64 s0, v49, v33
	v_cndmask_b32_e64 v12, 0, v12, s0
	v_cmp_lt_i32_e64 s0, v48, v37
	s_delay_alu instid0(VALU_DEP_2) | instskip(NEXT) | instid1(VALU_DEP_2)
	v_perm_b32 v12, v69, v12, 0x5040100
	v_cndmask_b32_e64 v70, 0, v70, s0
	v_cmp_lt_i32_e64 s0, v38, v33
	s_delay_alu instid0(VALU_DEP_1) | instskip(SKIP_1) | instid1(VALU_DEP_2)
	v_cndmask_b32_e64 v0, 0, v0, s0
	v_cmp_lt_i32_e64 s0, v23, v37
	v_perm_b32 v0, v70, v0, 0x5040100
	s_delay_alu instid0(VALU_DEP_2) | instskip(SKIP_1) | instid1(VALU_DEP_1)
	v_cndmask_b32_e64 v11, 0, v11, s0
	v_cmp_lt_i32_e64 s0, v17, v33
	v_cndmask_b32_e64 v13, 0, v13, s0
	s_delay_alu instid0(VALU_DEP_1)
	v_perm_b32 v11, v11, v13, 0x5040100
.LBB331_549:                            ;   in Loop: Header=BB331_483 Depth=1
	s_or_b32 exec_lo, exec_lo, s10
	v_dual_mov_b32 v68, 0 :: v_dual_and_b32 v13, 0xffff, v52
	v_and_b32_e32 v52, 0xffff, v55
	v_and_b32_e32 v66, 0xffff, v66
	;; [unrolled: 1-line block ×3, first 2 shown]
	s_delay_alu instid0(VALU_DEP_4)
	v_lshl_or_b32 v55, v53, 16, v13
	;;#ASMSTART
	v_pk_mul_f16 v13, v55, v14;

	;;#ASMEND
	v_lshl_or_b32 v54, v54, 16, v52
	v_lshl_or_b32 v53, v64, 16, v66
	;;#ASMSTART
	v_pk_mul_f16 v12, v54, v12;

	;;#ASMEND
	;;#ASMSTART
	v_pk_mul_f16 v0, v53, v0;

	;;#ASMEND
	v_lshl_or_b32 v52, v65, 16, v67
	v_mov_b32_e32 v67, 0
	;;#ASMSTART
	v_pk_mul_f16 v11, v52, v11;

	;;#ASMEND
	;;#ASMSTART
	v_pk_add_f16 v12, v13, v12;

	;;#ASMEND
	;;#ASMSTART
	v_pk_add_f16 v0, v12, v0;
	;; [unrolled: 4-line block ×3, first 2 shown]

	;;#ASMEND
	v_and_b32_e32 v11, 0xffff, v0
	v_lshrrev_b32_e32 v0, 16, v0
	;;#ASMSTART
	v_cvt_f32_f16 v64, v11;
	;;#ASMEND
	;;#ASMSTART
	v_cvt_f32_f16 v65, v0;
	;;#ASMEND
	flat_load_b64 v[11:12], v[9:10] offset:256
	flat_load_b32 v66, v[26:27]
	s_mov_b32 s10, exec_lo
	s_waitcnt vmcnt(1) lgkmcnt(1)
	v_and_b32_e32 v0, 0xff, v11
	s_delay_alu instid0(VALU_DEP_1)
	v_cmpx_ne_u16_e32 0, v0
	s_cbranch_execz .LBB331_557
; %bb.550:                              ;   in Loop: Header=BB331_483 Depth=1
	v_bfrev_b32_e32 v67, 1
	s_mov_b32 s12, exec_lo
	v_cmpx_ne_u16_e32 0x80, v0
	s_cbranch_execz .LBB331_556
; %bb.551:                              ;   in Loop: Header=BB331_483 Depth=1
	v_and_b32_e32 v13, 0x7f, v11
	v_mov_b32_e32 v67, 0x7fc02000
	s_mov_b32 s13, exec_lo
	s_delay_alu instid0(VALU_DEP_2)
	v_cmpx_ne_u32_e32 0x7f, v13
	s_cbranch_execz .LBB331_555
; %bb.552:                              ;   in Loop: Header=BB331_483 Depth=1
	v_lshrrev_b32_e32 v0, 3, v13
	v_cmp_gt_u32_e64 s0, 8, v13
	v_dual_mov_b32 v14, v12 :: v_dual_mov_b32 v13, v11
	s_delay_alu instid0(VALU_DEP_2)
	s_and_saveexec_b32 s15, s0
; %bb.553:                              ;   in Loop: Header=BB331_483 Depth=1
	v_and_b32_e32 v0, 7, v11
	s_delay_alu instid0(VALU_DEP_1) | instskip(NEXT) | instid1(VALU_DEP_1)
	v_clz_i32_u32_e32 v0, v0
	v_min_u32_e32 v0, 32, v0
	s_delay_alu instid0(VALU_DEP_1) | instskip(SKIP_1) | instid1(VALU_DEP_2)
	v_subrev_nc_u32_e32 v13, 28, v0
	v_sub_nc_u32_e32 v0, 29, v0
	v_lshlrev_b64 v[13:14], v13, v[11:12]
; %bb.554:                              ;   in Loop: Header=BB331_483 Depth=1
	s_or_b32 exec_lo, exec_lo, s15
	v_lshlrev_b32_e32 v14, 8, v11
	s_delay_alu instid0(VALU_DEP_3) | instskip(NEXT) | instid1(VALU_DEP_3)
	v_lshl_add_u32 v0, v0, 10, 0x2000
	v_lshlrev_b32_e32 v13, 7, v13
	s_delay_alu instid0(VALU_DEP_2) | instskip(NEXT) | instid1(VALU_DEP_1)
	v_and_or_b32 v0, 0x8000, v14, v0
	v_and_or_b32 v0, 0x380, v13, v0
	s_delay_alu instid0(VALU_DEP_1)
	v_cvt_f32_f16_e32 v67, v0
.LBB331_555:                            ;   in Loop: Header=BB331_483 Depth=1
	s_or_b32 exec_lo, exec_lo, s13
.LBB331_556:                            ;   in Loop: Header=BB331_483 Depth=1
	s_delay_alu instid0(SALU_CYCLE_1)
	s_or_b32 exec_lo, exec_lo, s12
.LBB331_557:                            ;   in Loop: Header=BB331_483 Depth=1
	s_delay_alu instid0(SALU_CYCLE_1) | instskip(SKIP_2) | instid1(VALU_DEP_1)
	s_or_b32 exec_lo, exec_lo, s10
	v_lshrrev_b16 v0, 8, v11
	s_mov_b32 s10, exec_lo
	v_cmpx_ne_u16_e32 0, v0
	s_cbranch_execz .LBB331_565
; %bb.558:                              ;   in Loop: Header=BB331_483 Depth=1
	v_bfrev_b32_e32 v68, 1
	s_mov_b32 s12, exec_lo
	v_cmpx_ne_u16_e32 0x80, v0
	s_cbranch_execz .LBB331_564
; %bb.559:                              ;   in Loop: Header=BB331_483 Depth=1
	v_and_b32_e32 v13, 0xffff, v0
	v_mov_b32_e32 v68, 0x7fc02000
	s_mov_b32 s13, exec_lo
	s_delay_alu instid0(VALU_DEP_2) | instskip(NEXT) | instid1(VALU_DEP_1)
	v_and_b32_e32 v69, 0x7f, v13
	v_cmpx_ne_u32_e32 0x7f, v69
	s_cbranch_execz .LBB331_563
; %bb.560:                              ;   in Loop: Header=BB331_483 Depth=1
	v_and_b32_e32 v0, 7, v13
	v_lshrrev_b32_e32 v14, 3, v69
	s_mov_b32 s15, exec_lo
	v_cmpx_gt_u32_e32 8, v69
; %bb.561:                              ;   in Loop: Header=BB331_483 Depth=1
	s_delay_alu instid0(VALU_DEP_3) | instskip(NEXT) | instid1(VALU_DEP_1)
	v_clz_i32_u32_e32 v14, v0
	v_min_u32_e32 v14, 32, v14
	s_delay_alu instid0(VALU_DEP_1) | instskip(SKIP_1) | instid1(VALU_DEP_2)
	v_subrev_nc_u32_e32 v68, 28, v14
	v_sub_nc_u32_e32 v14, 29, v14
	v_lshlrev_b64 v[68:69], v68, v[0:1]
	s_delay_alu instid0(VALU_DEP_1)
	v_and_b32_e32 v0, 7, v68
; %bb.562:                              ;   in Loop: Header=BB331_483 Depth=1
	s_or_b32 exec_lo, exec_lo, s15
	v_lshlrev_b32_e32 v13, 8, v13
	v_lshl_add_u32 v14, v14, 10, 0x2000
	s_delay_alu instid0(VALU_DEP_1) | instskip(NEXT) | instid1(VALU_DEP_1)
	v_and_or_b32 v13, 0x8000, v13, v14
	v_lshl_or_b32 v0, v0, 7, v13
	s_delay_alu instid0(VALU_DEP_1)
	v_cvt_f32_f16_e32 v68, v0
.LBB331_563:                            ;   in Loop: Header=BB331_483 Depth=1
	s_or_b32 exec_lo, exec_lo, s13
.LBB331_564:                            ;   in Loop: Header=BB331_483 Depth=1
	s_delay_alu instid0(SALU_CYCLE_1)
	s_or_b32 exec_lo, exec_lo, s12
.LBB331_565:                            ;   in Loop: Header=BB331_483 Depth=1
	s_delay_alu instid0(SALU_CYCLE_1) | instskip(SKIP_3) | instid1(VALU_DEP_2)
	s_or_b32 exec_lo, exec_lo, s10
	v_lshrrev_b32_e32 v13, 16, v11
	v_mov_b32_e32 v70, 0
	s_mov_b32 s10, exec_lo
	v_dual_mov_b32 v69, 0 :: v_dual_and_b32 v0, 0xff, v13
	s_delay_alu instid0(VALU_DEP_1)
	v_cmpx_ne_u16_e32 0, v0
	s_cbranch_execz .LBB331_573
; %bb.566:                              ;   in Loop: Header=BB331_483 Depth=1
	v_bfrev_b32_e32 v69, 1
	s_mov_b32 s12, exec_lo
	v_cmpx_ne_u16_e32 0x80, v0
	s_cbranch_execz .LBB331_572
; %bb.567:                              ;   in Loop: Header=BB331_483 Depth=1
	v_bfe_u32 v71, v11, 16, 7
	v_mov_b32_e32 v69, 0x7fc02000
	s_mov_b32 s13, exec_lo
	s_delay_alu instid0(VALU_DEP_2)
	v_cmpx_ne_u32_e32 0x7f, v71
	s_cbranch_execz .LBB331_571
; %bb.568:                              ;   in Loop: Header=BB331_483 Depth=1
	v_and_b32_e32 v0, 7, v13
	v_lshrrev_b32_e32 v14, 3, v71
	s_mov_b32 s15, exec_lo
	v_cmpx_gt_u32_e32 8, v71
; %bb.569:                              ;   in Loop: Header=BB331_483 Depth=1
	s_delay_alu instid0(VALU_DEP_3) | instskip(NEXT) | instid1(VALU_DEP_1)
	v_clz_i32_u32_e32 v14, v0
	v_min_u32_e32 v14, 32, v14
	s_delay_alu instid0(VALU_DEP_1) | instskip(SKIP_1) | instid1(VALU_DEP_2)
	v_subrev_nc_u32_e32 v69, 28, v14
	v_sub_nc_u32_e32 v14, 29, v14
	v_lshlrev_b64 v[80:81], v69, v[0:1]
	s_delay_alu instid0(VALU_DEP_1)
	v_and_b32_e32 v0, 7, v80
; %bb.570:                              ;   in Loop: Header=BB331_483 Depth=1
	s_or_b32 exec_lo, exec_lo, s15
	v_lshlrev_b32_e32 v13, 8, v13
	v_lshl_add_u32 v14, v14, 10, 0x2000
	s_delay_alu instid0(VALU_DEP_1) | instskip(NEXT) | instid1(VALU_DEP_1)
	v_and_or_b32 v13, 0x8000, v13, v14
	v_lshl_or_b32 v0, v0, 7, v13
	s_delay_alu instid0(VALU_DEP_1)
	v_cvt_f32_f16_e32 v69, v0
.LBB331_571:                            ;   in Loop: Header=BB331_483 Depth=1
	s_or_b32 exec_lo, exec_lo, s13
.LBB331_572:                            ;   in Loop: Header=BB331_483 Depth=1
	s_delay_alu instid0(SALU_CYCLE_1)
	s_or_b32 exec_lo, exec_lo, s12
.LBB331_573:                            ;   in Loop: Header=BB331_483 Depth=1
	s_delay_alu instid0(SALU_CYCLE_1) | instskip(NEXT) | instid1(SALU_CYCLE_1)
	s_or_b32 exec_lo, exec_lo, s10
	s_mov_b32 s10, exec_lo
	v_cmpx_lt_u32_e32 0xffffff, v11
	s_cbranch_execz .LBB331_581
; %bb.574:                              ;   in Loop: Header=BB331_483 Depth=1
	v_lshrrev_b32_e32 v13, 24, v11
	v_bfrev_b32_e32 v70, 1
	s_mov_b32 s12, exec_lo
	s_delay_alu instid0(VALU_DEP_2)
	v_cmpx_ne_u32_e32 0x80, v13
	s_cbranch_execz .LBB331_580
; %bb.575:                              ;   in Loop: Header=BB331_483 Depth=1
	v_and_b32_e32 v71, 0x7f, v13
	v_mov_b32_e32 v70, 0x7fc02000
	s_mov_b32 s13, exec_lo
	s_delay_alu instid0(VALU_DEP_2)
	v_cmpx_ne_u32_e32 0x7f, v71
	s_cbranch_execz .LBB331_579
; %bb.576:                              ;   in Loop: Header=BB331_483 Depth=1
	v_and_b32_e32 v0, 7, v13
	v_lshrrev_b32_e32 v14, 3, v71
	s_mov_b32 s15, exec_lo
	v_cmpx_gt_u32_e32 8, v71
; %bb.577:                              ;   in Loop: Header=BB331_483 Depth=1
	s_delay_alu instid0(VALU_DEP_3) | instskip(NEXT) | instid1(VALU_DEP_1)
	v_clz_i32_u32_e32 v14, v0
	v_min_u32_e32 v14, 32, v14
	s_delay_alu instid0(VALU_DEP_1) | instskip(SKIP_1) | instid1(VALU_DEP_2)
	v_subrev_nc_u32_e32 v70, 28, v14
	v_sub_nc_u32_e32 v14, 29, v14
	v_lshlrev_b64 v[70:71], v70, v[0:1]
	s_delay_alu instid0(VALU_DEP_1)
	v_and_b32_e32 v0, 7, v70
; %bb.578:                              ;   in Loop: Header=BB331_483 Depth=1
	s_or_b32 exec_lo, exec_lo, s15
	v_lshlrev_b32_e32 v13, 8, v13
	v_lshl_add_u32 v14, v14, 10, 0x2000
	s_delay_alu instid0(VALU_DEP_1) | instskip(NEXT) | instid1(VALU_DEP_1)
	v_and_or_b32 v13, 0x8000, v13, v14
	v_lshl_or_b32 v0, v0, 7, v13
	s_delay_alu instid0(VALU_DEP_1)
	v_cvt_f32_f16_e32 v70, v0
.LBB331_579:                            ;   in Loop: Header=BB331_483 Depth=1
	s_or_b32 exec_lo, exec_lo, s13
.LBB331_580:                            ;   in Loop: Header=BB331_483 Depth=1
	s_delay_alu instid0(SALU_CYCLE_1)
	s_or_b32 exec_lo, exec_lo, s12
.LBB331_581:                            ;   in Loop: Header=BB331_483 Depth=1
	s_delay_alu instid0(SALU_CYCLE_1) | instskip(SKIP_3) | instid1(VALU_DEP_2)
	s_or_b32 exec_lo, exec_lo, s10
	v_dual_mov_b32 v71, 0 :: v_dual_and_b32 v14, 0xff, v12
	v_dual_mov_b32 v0, v12 :: v_dual_mov_b32 v13, 0
	s_mov_b32 s10, exec_lo
	v_cmpx_ne_u16_e32 0, v14
	s_cbranch_execz .LBB331_589
; %bb.582:                              ;   in Loop: Header=BB331_483 Depth=1
	v_bfrev_b32_e32 v13, 1
	s_mov_b32 s12, exec_lo
	v_cmpx_ne_u16_e32 0x80, v14
	s_cbranch_execz .LBB331_588
; %bb.583:                              ;   in Loop: Header=BB331_483 Depth=1
	v_and_b32_e32 v14, 0x7f, v12
	v_mov_b32_e32 v13, 0x7fc02000
	s_mov_b32 s13, exec_lo
	s_delay_alu instid0(VALU_DEP_2)
	v_cmpx_ne_u32_e32 0x7f, v14
	s_cbranch_execz .LBB331_587
; %bb.584:                              ;   in Loop: Header=BB331_483 Depth=1
	v_lshrrev_b32_e32 v80, 3, v14
	v_cmp_gt_u32_e64 s0, 8, v14
	v_dual_mov_b32 v14, v1 :: v_dual_mov_b32 v13, v0
	s_delay_alu instid0(VALU_DEP_2)
	s_and_saveexec_b32 s15, s0
; %bb.585:                              ;   in Loop: Header=BB331_483 Depth=1
	v_and_b32_e32 v13, 7, v12
	s_delay_alu instid0(VALU_DEP_1) | instskip(NEXT) | instid1(VALU_DEP_1)
	v_clz_i32_u32_e32 v13, v13
	v_min_u32_e32 v80, 32, v13
	s_delay_alu instid0(VALU_DEP_1) | instskip(SKIP_1) | instid1(VALU_DEP_2)
	v_subrev_nc_u32_e32 v13, 28, v80
	v_sub_nc_u32_e32 v80, 29, v80
	v_lshlrev_b64 v[13:14], v13, v[0:1]
; %bb.586:                              ;   in Loop: Header=BB331_483 Depth=1
	s_or_b32 exec_lo, exec_lo, s15
	v_lshlrev_b32_e32 v14, 8, v12
	s_delay_alu instid0(VALU_DEP_3) | instskip(NEXT) | instid1(VALU_DEP_3)
	v_lshl_add_u32 v80, v80, 10, 0x2000
	v_lshlrev_b32_e32 v13, 7, v13
	s_delay_alu instid0(VALU_DEP_2) | instskip(NEXT) | instid1(VALU_DEP_1)
	v_and_or_b32 v14, 0x8000, v14, v80
	v_and_or_b32 v13, 0x380, v13, v14
	s_delay_alu instid0(VALU_DEP_1)
	v_cvt_f32_f16_e32 v13, v13
.LBB331_587:                            ;   in Loop: Header=BB331_483 Depth=1
	s_or_b32 exec_lo, exec_lo, s13
.LBB331_588:                            ;   in Loop: Header=BB331_483 Depth=1
	s_delay_alu instid0(SALU_CYCLE_1)
	s_or_b32 exec_lo, exec_lo, s12
.LBB331_589:                            ;   in Loop: Header=BB331_483 Depth=1
	s_delay_alu instid0(SALU_CYCLE_1) | instskip(SKIP_2) | instid1(VALU_DEP_1)
	s_or_b32 exec_lo, exec_lo, s10
	v_lshrrev_b16 v0, 8, v0
	s_mov_b32 s10, exec_lo
	v_cmpx_ne_u16_e32 0, v0
	s_cbranch_execz .LBB331_597
; %bb.590:                              ;   in Loop: Header=BB331_483 Depth=1
	v_bfrev_b32_e32 v71, 1
	s_mov_b32 s12, exec_lo
	v_cmpx_ne_u16_e32 0x80, v0
	s_cbranch_execz .LBB331_596
; %bb.591:                              ;   in Loop: Header=BB331_483 Depth=1
	v_and_b32_e32 v14, 0xffff, v0
	v_mov_b32_e32 v71, 0x7fc02000
	s_mov_b32 s13, exec_lo
	s_delay_alu instid0(VALU_DEP_2) | instskip(NEXT) | instid1(VALU_DEP_1)
	v_and_b32_e32 v80, 0x7f, v14
	v_cmpx_ne_u32_e32 0x7f, v80
	s_cbranch_execz .LBB331_595
; %bb.592:                              ;   in Loop: Header=BB331_483 Depth=1
	v_and_b32_e32 v0, 7, v14
	v_lshrrev_b32_e32 v71, 3, v80
	s_mov_b32 s15, exec_lo
	v_cmpx_gt_u32_e32 8, v80
; %bb.593:                              ;   in Loop: Header=BB331_483 Depth=1
	s_delay_alu instid0(VALU_DEP_3) | instskip(NEXT) | instid1(VALU_DEP_1)
	v_clz_i32_u32_e32 v71, v0
	v_min_u32_e32 v71, 32, v71
	s_delay_alu instid0(VALU_DEP_1) | instskip(SKIP_1) | instid1(VALU_DEP_2)
	v_subrev_nc_u32_e32 v80, 28, v71
	v_sub_nc_u32_e32 v71, 29, v71
	v_lshlrev_b64 v[80:81], v80, v[0:1]
	s_delay_alu instid0(VALU_DEP_1)
	v_and_b32_e32 v0, 7, v80
; %bb.594:                              ;   in Loop: Header=BB331_483 Depth=1
	s_or_b32 exec_lo, exec_lo, s15
	v_lshlrev_b32_e32 v14, 8, v14
	v_lshl_add_u32 v71, v71, 10, 0x2000
	s_delay_alu instid0(VALU_DEP_1) | instskip(NEXT) | instid1(VALU_DEP_1)
	v_and_or_b32 v14, 0x8000, v14, v71
	v_lshl_or_b32 v0, v0, 7, v14
	s_delay_alu instid0(VALU_DEP_1)
	v_cvt_f32_f16_e32 v71, v0
.LBB331_595:                            ;   in Loop: Header=BB331_483 Depth=1
	s_or_b32 exec_lo, exec_lo, s13
.LBB331_596:                            ;   in Loop: Header=BB331_483 Depth=1
	s_delay_alu instid0(SALU_CYCLE_1)
	s_or_b32 exec_lo, exec_lo, s12
.LBB331_597:                            ;   in Loop: Header=BB331_483 Depth=1
	s_delay_alu instid0(SALU_CYCLE_1) | instskip(SKIP_4) | instid1(VALU_DEP_3)
	s_or_b32 exec_lo, exec_lo, s10
	v_lshrrev_b32_e32 v81, 16, v12
	v_mov_b32_e32 v80, 0
	v_mov_b32_e32 v14, 0
	s_mov_b32 s10, exec_lo
	v_and_b32_e32 v0, 0xff, v81
	s_delay_alu instid0(VALU_DEP_1)
	v_cmpx_ne_u16_e32 0, v0
	s_cbranch_execz .LBB331_605
; %bb.598:                              ;   in Loop: Header=BB331_483 Depth=1
	v_bfrev_b32_e32 v14, 1
	s_mov_b32 s12, exec_lo
	v_cmpx_ne_u16_e32 0x80, v0
	s_cbranch_execz .LBB331_604
; %bb.599:                              ;   in Loop: Header=BB331_483 Depth=1
	v_bfe_u32 v82, v12, 16, 7
	v_mov_b32_e32 v14, 0x7fc02000
	s_mov_b32 s13, exec_lo
	s_delay_alu instid0(VALU_DEP_2)
	v_cmpx_ne_u32_e32 0x7f, v82
	s_cbranch_execz .LBB331_603
; %bb.600:                              ;   in Loop: Header=BB331_483 Depth=1
	v_and_b32_e32 v0, 7, v81
	v_lshrrev_b32_e32 v14, 3, v82
	s_mov_b32 s15, exec_lo
	v_cmpx_gt_u32_e32 8, v82
; %bb.601:                              ;   in Loop: Header=BB331_483 Depth=1
	s_delay_alu instid0(VALU_DEP_3) | instskip(NEXT) | instid1(VALU_DEP_1)
	v_clz_i32_u32_e32 v14, v0
	v_min_u32_e32 v14, 32, v14
	s_delay_alu instid0(VALU_DEP_1) | instskip(SKIP_1) | instid1(VALU_DEP_2)
	v_subrev_nc_u32_e32 v82, 28, v14
	v_sub_nc_u32_e32 v14, 29, v14
	v_lshlrev_b64 v[82:83], v82, v[0:1]
	s_delay_alu instid0(VALU_DEP_1)
	v_and_b32_e32 v0, 7, v82
; %bb.602:                              ;   in Loop: Header=BB331_483 Depth=1
	s_or_b32 exec_lo, exec_lo, s15
	v_lshlrev_b32_e32 v81, 8, v81
	v_lshl_add_u32 v14, v14, 10, 0x2000
	s_delay_alu instid0(VALU_DEP_1) | instskip(NEXT) | instid1(VALU_DEP_1)
	v_and_or_b32 v14, 0x8000, v81, v14
	v_lshl_or_b32 v0, v0, 7, v14
	s_delay_alu instid0(VALU_DEP_1)
	v_cvt_f32_f16_e32 v14, v0
.LBB331_603:                            ;   in Loop: Header=BB331_483 Depth=1
	s_or_b32 exec_lo, exec_lo, s13
.LBB331_604:                            ;   in Loop: Header=BB331_483 Depth=1
	s_delay_alu instid0(SALU_CYCLE_1)
	s_or_b32 exec_lo, exec_lo, s12
.LBB331_605:                            ;   in Loop: Header=BB331_483 Depth=1
	s_delay_alu instid0(SALU_CYCLE_1) | instskip(NEXT) | instid1(SALU_CYCLE_1)
	s_or_b32 exec_lo, exec_lo, s10
	s_mov_b32 s10, exec_lo
	v_cmpx_lt_u64_e64 s[8:9], v[11:12]
	s_cbranch_execz .LBB331_613
; %bb.606:                              ;   in Loop: Header=BB331_483 Depth=1
	v_lshrrev_b32_e32 v11, 24, v12
	v_bfrev_b32_e32 v80, 1
	s_mov_b32 s12, exec_lo
	s_delay_alu instid0(VALU_DEP_2)
	v_cmpx_ne_u32_e32 0x80, v11
	s_cbranch_execz .LBB331_612
; %bb.607:                              ;   in Loop: Header=BB331_483 Depth=1
	v_and_b32_e32 v81, 0x7f, v11
	v_mov_b32_e32 v80, 0x7fc02000
	s_mov_b32 s13, exec_lo
	s_delay_alu instid0(VALU_DEP_2)
	v_cmpx_ne_u32_e32 0x7f, v81
	s_cbranch_execz .LBB331_611
; %bb.608:                              ;   in Loop: Header=BB331_483 Depth=1
	v_and_b32_e32 v0, 7, v11
	v_lshrrev_b32_e32 v12, 3, v81
	s_mov_b32 s15, exec_lo
	v_cmpx_gt_u32_e32 8, v81
; %bb.609:                              ;   in Loop: Header=BB331_483 Depth=1
	s_delay_alu instid0(VALU_DEP_3) | instskip(NEXT) | instid1(VALU_DEP_1)
	v_clz_i32_u32_e32 v12, v0
	v_min_u32_e32 v12, 32, v12
	s_delay_alu instid0(VALU_DEP_1) | instskip(SKIP_1) | instid1(VALU_DEP_2)
	v_subrev_nc_u32_e32 v80, 28, v12
	v_sub_nc_u32_e32 v12, 29, v12
	v_lshlrev_b64 v[80:81], v80, v[0:1]
	s_delay_alu instid0(VALU_DEP_1)
	v_and_b32_e32 v0, 7, v80
; %bb.610:                              ;   in Loop: Header=BB331_483 Depth=1
	s_or_b32 exec_lo, exec_lo, s15
	v_lshlrev_b32_e32 v11, 8, v11
	v_lshl_add_u32 v12, v12, 10, 0x2000
	s_delay_alu instid0(VALU_DEP_1) | instskip(NEXT) | instid1(VALU_DEP_1)
	v_and_or_b32 v11, 0x8000, v11, v12
	v_lshl_or_b32 v0, v0, 7, v11
	s_delay_alu instid0(VALU_DEP_1)
	v_cvt_f32_f16_e32 v80, v0
.LBB331_611:                            ;   in Loop: Header=BB331_483 Depth=1
	s_or_b32 exec_lo, exec_lo, s13
.LBB331_612:                            ;   in Loop: Header=BB331_483 Depth=1
	s_delay_alu instid0(SALU_CYCLE_1)
	s_or_b32 exec_lo, exec_lo, s12
.LBB331_613:                            ;   in Loop: Header=BB331_483 Depth=1
	s_delay_alu instid0(SALU_CYCLE_1)
	s_or_b32 exec_lo, exec_lo, s10
	s_waitcnt vmcnt(0) lgkmcnt(0)
	v_fma_mixlo_f16 v12, v66, v68, 0
	v_fma_mixlo_f16 v0, v66, v70, 0
	;; [unrolled: 1-line block ×5, first 2 shown]
	v_lshlrev_b32_e32 v68, 16, v12
	v_fma_mixlo_f16 v13, v66, v13, 0
	v_fma_mixlo_f16 v70, v66, v80, 0
	;; [unrolled: 1-line block ×3, first 2 shown]
	v_lshlrev_b32_e32 v0, 16, v0
	v_and_b32_e32 v11, 0xffff, v11
	v_and_b32_e32 v14, 0xffff, v67
	v_lshlrev_b32_e32 v66, 16, v69
	v_and_b32_e32 v67, 0xffff, v13
	v_lshlrev_b32_e32 v69, 16, v70
	v_and_b32_e32 v70, 0xffff, v12
	v_or_b32_e32 v13, v0, v11
	v_or_b32_e32 v14, v68, v14
	;; [unrolled: 1-line block ×3, first 2 shown]
	s_delay_alu instid0(VALU_DEP_4)
	v_or_b32_e32 v11, v69, v70
	s_and_saveexec_b32 s10, vcc_lo
	s_cbranch_execz .LBB331_615
; %bb.614:                              ;   in Loop: Header=BB331_483 Depth=1
	v_cmp_lt_i32_e64 s0, v15, v33
	v_lshrrev_b32_e32 v66, 16, v14
	v_lshrrev_b32_e32 v67, 16, v13
	;; [unrolled: 1-line block ×4, first 2 shown]
	v_cndmask_b32_e64 v14, 0, v14, s0
	v_cmp_lt_i32_e64 s0, v51, v37
	s_delay_alu instid0(VALU_DEP_1) | instskip(SKIP_1) | instid1(VALU_DEP_2)
	v_cndmask_b32_e64 v66, 0, v66, s0
	v_cmp_lt_i32_e64 s0, v50, v37
	v_perm_b32 v14, v66, v14, 0x5040100
	s_delay_alu instid0(VALU_DEP_2) | instskip(SKIP_1) | instid1(VALU_DEP_1)
	v_cndmask_b32_e64 v67, 0, v67, s0
	v_cmp_lt_i32_e64 s0, v49, v33
	v_cndmask_b32_e64 v13, 0, v13, s0
	v_cmp_lt_i32_e64 s0, v48, v37
	s_delay_alu instid0(VALU_DEP_2) | instskip(NEXT) | instid1(VALU_DEP_2)
	v_perm_b32 v13, v67, v13, 0x5040100
	v_cndmask_b32_e64 v68, 0, v68, s0
	v_cmp_lt_i32_e64 s0, v38, v33
	s_delay_alu instid0(VALU_DEP_1) | instskip(SKIP_1) | instid1(VALU_DEP_2)
	v_cndmask_b32_e64 v0, 0, v0, s0
	v_cmp_lt_i32_e64 s0, v23, v37
	v_perm_b32 v0, v68, v0, 0x5040100
	s_delay_alu instid0(VALU_DEP_2) | instskip(SKIP_1) | instid1(VALU_DEP_1)
	v_cndmask_b32_e64 v11, 0, v11, s0
	v_cmp_lt_i32_e64 s0, v17, v33
	v_cndmask_b32_e64 v12, 0, v12, s0
	s_delay_alu instid0(VALU_DEP_1)
	v_perm_b32 v11, v11, v12, 0x5040100
.LBB331_615:                            ;   in Loop: Header=BB331_483 Depth=1
	s_or_b32 exec_lo, exec_lo, s10
	;;#ASMSTART
	v_pk_mul_f16 v12, v55, v14;

	;;#ASMEND
	;;#ASMSTART
	v_pk_mul_f16 v13, v54, v13;

	;;#ASMEND
	;; [unrolled: 4-line block ×4, first 2 shown]
	;;#ASMSTART
	v_pk_add_f16 v12, v12, v13;

	;;#ASMEND
	;;#ASMSTART
	v_pk_add_f16 v0, v12, v0;

	;;#ASMEND
	;; [unrolled: 4-line block ×3, first 2 shown]
	v_dual_mov_b32 v70, 0 :: v_dual_and_b32 v11, 0xffff, v0
	v_lshrrev_b32_e32 v0, 16, v0
	;;#ASMSTART
	v_cvt_f32_f16 v66, v11;
	;;#ASMEND
	;;#ASMSTART
	v_cvt_f32_f16 v67, v0;
	;;#ASMEND
	flat_load_b64 v[11:12], v[9:10] offset:512
	flat_load_b32 v68, v[26:27]
	s_mov_b32 s10, exec_lo
	s_waitcnt vmcnt(1) lgkmcnt(1)
	v_dual_mov_b32 v69, 0 :: v_dual_and_b32 v0, 0xff, v11
	s_delay_alu instid0(VALU_DEP_1)
	v_cmpx_ne_u16_e32 0, v0
	s_cbranch_execz .LBB331_623
; %bb.616:                              ;   in Loop: Header=BB331_483 Depth=1
	v_bfrev_b32_e32 v69, 1
	s_mov_b32 s12, exec_lo
	v_cmpx_ne_u16_e32 0x80, v0
	s_cbranch_execz .LBB331_622
; %bb.617:                              ;   in Loop: Header=BB331_483 Depth=1
	v_and_b32_e32 v13, 0x7f, v11
	v_mov_b32_e32 v69, 0x7fc02000
	s_mov_b32 s13, exec_lo
	s_delay_alu instid0(VALU_DEP_2)
	v_cmpx_ne_u32_e32 0x7f, v13
	s_cbranch_execz .LBB331_621
; %bb.618:                              ;   in Loop: Header=BB331_483 Depth=1
	v_lshrrev_b32_e32 v0, 3, v13
	v_cmp_gt_u32_e64 s0, 8, v13
	v_dual_mov_b32 v14, v12 :: v_dual_mov_b32 v13, v11
	s_delay_alu instid0(VALU_DEP_2)
	s_and_saveexec_b32 s15, s0
; %bb.619:                              ;   in Loop: Header=BB331_483 Depth=1
	v_and_b32_e32 v0, 7, v11
	s_delay_alu instid0(VALU_DEP_1) | instskip(NEXT) | instid1(VALU_DEP_1)
	v_clz_i32_u32_e32 v0, v0
	v_min_u32_e32 v0, 32, v0
	s_delay_alu instid0(VALU_DEP_1) | instskip(SKIP_1) | instid1(VALU_DEP_2)
	v_subrev_nc_u32_e32 v13, 28, v0
	v_sub_nc_u32_e32 v0, 29, v0
	v_lshlrev_b64 v[13:14], v13, v[11:12]
; %bb.620:                              ;   in Loop: Header=BB331_483 Depth=1
	s_or_b32 exec_lo, exec_lo, s15
	v_lshlrev_b32_e32 v14, 8, v11
	s_delay_alu instid0(VALU_DEP_3) | instskip(NEXT) | instid1(VALU_DEP_3)
	v_lshl_add_u32 v0, v0, 10, 0x2000
	v_lshlrev_b32_e32 v13, 7, v13
	s_delay_alu instid0(VALU_DEP_2) | instskip(NEXT) | instid1(VALU_DEP_1)
	v_and_or_b32 v0, 0x8000, v14, v0
	v_and_or_b32 v0, 0x380, v13, v0
	s_delay_alu instid0(VALU_DEP_1)
	v_cvt_f32_f16_e32 v69, v0
.LBB331_621:                            ;   in Loop: Header=BB331_483 Depth=1
	s_or_b32 exec_lo, exec_lo, s13
.LBB331_622:                            ;   in Loop: Header=BB331_483 Depth=1
	s_delay_alu instid0(SALU_CYCLE_1)
	s_or_b32 exec_lo, exec_lo, s12
.LBB331_623:                            ;   in Loop: Header=BB331_483 Depth=1
	s_delay_alu instid0(SALU_CYCLE_1) | instskip(SKIP_2) | instid1(VALU_DEP_1)
	s_or_b32 exec_lo, exec_lo, s10
	v_lshrrev_b16 v0, 8, v11
	s_mov_b32 s10, exec_lo
	v_cmpx_ne_u16_e32 0, v0
	s_cbranch_execz .LBB331_631
; %bb.624:                              ;   in Loop: Header=BB331_483 Depth=1
	v_bfrev_b32_e32 v70, 1
	s_mov_b32 s12, exec_lo
	v_cmpx_ne_u16_e32 0x80, v0
	s_cbranch_execz .LBB331_630
; %bb.625:                              ;   in Loop: Header=BB331_483 Depth=1
	v_and_b32_e32 v13, 0xffff, v0
	v_mov_b32_e32 v70, 0x7fc02000
	s_mov_b32 s13, exec_lo
	s_delay_alu instid0(VALU_DEP_2) | instskip(NEXT) | instid1(VALU_DEP_1)
	v_and_b32_e32 v71, 0x7f, v13
	v_cmpx_ne_u32_e32 0x7f, v71
	s_cbranch_execz .LBB331_629
; %bb.626:                              ;   in Loop: Header=BB331_483 Depth=1
	v_and_b32_e32 v0, 7, v13
	v_lshrrev_b32_e32 v14, 3, v71
	s_mov_b32 s15, exec_lo
	v_cmpx_gt_u32_e32 8, v71
; %bb.627:                              ;   in Loop: Header=BB331_483 Depth=1
	s_delay_alu instid0(VALU_DEP_3) | instskip(NEXT) | instid1(VALU_DEP_1)
	v_clz_i32_u32_e32 v14, v0
	v_min_u32_e32 v14, 32, v14
	s_delay_alu instid0(VALU_DEP_1) | instskip(SKIP_1) | instid1(VALU_DEP_2)
	v_subrev_nc_u32_e32 v70, 28, v14
	v_sub_nc_u32_e32 v14, 29, v14
	v_lshlrev_b64 v[70:71], v70, v[0:1]
	s_delay_alu instid0(VALU_DEP_1)
	v_and_b32_e32 v0, 7, v70
; %bb.628:                              ;   in Loop: Header=BB331_483 Depth=1
	s_or_b32 exec_lo, exec_lo, s15
	v_lshlrev_b32_e32 v13, 8, v13
	v_lshl_add_u32 v14, v14, 10, 0x2000
	s_delay_alu instid0(VALU_DEP_1) | instskip(NEXT) | instid1(VALU_DEP_1)
	v_and_or_b32 v13, 0x8000, v13, v14
	v_lshl_or_b32 v0, v0, 7, v13
	s_delay_alu instid0(VALU_DEP_1)
	v_cvt_f32_f16_e32 v70, v0
.LBB331_629:                            ;   in Loop: Header=BB331_483 Depth=1
	s_or_b32 exec_lo, exec_lo, s13
.LBB331_630:                            ;   in Loop: Header=BB331_483 Depth=1
	s_delay_alu instid0(SALU_CYCLE_1)
	s_or_b32 exec_lo, exec_lo, s12
.LBB331_631:                            ;   in Loop: Header=BB331_483 Depth=1
	s_delay_alu instid0(SALU_CYCLE_1) | instskip(SKIP_3) | instid1(VALU_DEP_2)
	s_or_b32 exec_lo, exec_lo, s10
	v_lshrrev_b32_e32 v13, 16, v11
	v_mov_b32_e32 v80, 0
	s_mov_b32 s10, exec_lo
	v_dual_mov_b32 v71, 0 :: v_dual_and_b32 v0, 0xff, v13
	s_delay_alu instid0(VALU_DEP_1)
	v_cmpx_ne_u16_e32 0, v0
	s_cbranch_execz .LBB331_639
; %bb.632:                              ;   in Loop: Header=BB331_483 Depth=1
	v_bfrev_b32_e32 v71, 1
	s_mov_b32 s12, exec_lo
	v_cmpx_ne_u16_e32 0x80, v0
	s_cbranch_execz .LBB331_638
; %bb.633:                              ;   in Loop: Header=BB331_483 Depth=1
	v_bfe_u32 v81, v11, 16, 7
	v_mov_b32_e32 v71, 0x7fc02000
	s_mov_b32 s13, exec_lo
	s_delay_alu instid0(VALU_DEP_2)
	v_cmpx_ne_u32_e32 0x7f, v81
	s_cbranch_execz .LBB331_637
; %bb.634:                              ;   in Loop: Header=BB331_483 Depth=1
	v_and_b32_e32 v0, 7, v13
	v_lshrrev_b32_e32 v14, 3, v81
	s_mov_b32 s15, exec_lo
	v_cmpx_gt_u32_e32 8, v81
; %bb.635:                              ;   in Loop: Header=BB331_483 Depth=1
	s_delay_alu instid0(VALU_DEP_3) | instskip(NEXT) | instid1(VALU_DEP_1)
	v_clz_i32_u32_e32 v14, v0
	v_min_u32_e32 v14, 32, v14
	s_delay_alu instid0(VALU_DEP_1) | instskip(SKIP_1) | instid1(VALU_DEP_2)
	v_subrev_nc_u32_e32 v71, 28, v14
	v_sub_nc_u32_e32 v14, 29, v14
	v_lshlrev_b64 v[81:82], v71, v[0:1]
	s_delay_alu instid0(VALU_DEP_1)
	v_and_b32_e32 v0, 7, v81
; %bb.636:                              ;   in Loop: Header=BB331_483 Depth=1
	s_or_b32 exec_lo, exec_lo, s15
	v_lshlrev_b32_e32 v13, 8, v13
	v_lshl_add_u32 v14, v14, 10, 0x2000
	s_delay_alu instid0(VALU_DEP_1) | instskip(NEXT) | instid1(VALU_DEP_1)
	v_and_or_b32 v13, 0x8000, v13, v14
	v_lshl_or_b32 v0, v0, 7, v13
	s_delay_alu instid0(VALU_DEP_1)
	v_cvt_f32_f16_e32 v71, v0
.LBB331_637:                            ;   in Loop: Header=BB331_483 Depth=1
	s_or_b32 exec_lo, exec_lo, s13
.LBB331_638:                            ;   in Loop: Header=BB331_483 Depth=1
	s_delay_alu instid0(SALU_CYCLE_1)
	s_or_b32 exec_lo, exec_lo, s12
.LBB331_639:                            ;   in Loop: Header=BB331_483 Depth=1
	s_delay_alu instid0(SALU_CYCLE_1) | instskip(NEXT) | instid1(SALU_CYCLE_1)
	s_or_b32 exec_lo, exec_lo, s10
	s_mov_b32 s10, exec_lo
	v_cmpx_lt_u32_e32 0xffffff, v11
	s_cbranch_execz .LBB331_647
; %bb.640:                              ;   in Loop: Header=BB331_483 Depth=1
	v_lshrrev_b32_e32 v13, 24, v11
	v_bfrev_b32_e32 v80, 1
	s_mov_b32 s12, exec_lo
	s_delay_alu instid0(VALU_DEP_2)
	v_cmpx_ne_u32_e32 0x80, v13
	s_cbranch_execz .LBB331_646
; %bb.641:                              ;   in Loop: Header=BB331_483 Depth=1
	v_and_b32_e32 v81, 0x7f, v13
	v_mov_b32_e32 v80, 0x7fc02000
	s_mov_b32 s13, exec_lo
	s_delay_alu instid0(VALU_DEP_2)
	v_cmpx_ne_u32_e32 0x7f, v81
	s_cbranch_execz .LBB331_645
; %bb.642:                              ;   in Loop: Header=BB331_483 Depth=1
	v_and_b32_e32 v0, 7, v13
	v_lshrrev_b32_e32 v14, 3, v81
	s_mov_b32 s15, exec_lo
	v_cmpx_gt_u32_e32 8, v81
; %bb.643:                              ;   in Loop: Header=BB331_483 Depth=1
	s_delay_alu instid0(VALU_DEP_3) | instskip(NEXT) | instid1(VALU_DEP_1)
	v_clz_i32_u32_e32 v14, v0
	v_min_u32_e32 v14, 32, v14
	s_delay_alu instid0(VALU_DEP_1) | instskip(SKIP_1) | instid1(VALU_DEP_2)
	v_subrev_nc_u32_e32 v80, 28, v14
	v_sub_nc_u32_e32 v14, 29, v14
	v_lshlrev_b64 v[80:81], v80, v[0:1]
	s_delay_alu instid0(VALU_DEP_1)
	v_and_b32_e32 v0, 7, v80
; %bb.644:                              ;   in Loop: Header=BB331_483 Depth=1
	s_or_b32 exec_lo, exec_lo, s15
	v_lshlrev_b32_e32 v13, 8, v13
	v_lshl_add_u32 v14, v14, 10, 0x2000
	s_delay_alu instid0(VALU_DEP_1) | instskip(NEXT) | instid1(VALU_DEP_1)
	v_and_or_b32 v13, 0x8000, v13, v14
	v_lshl_or_b32 v0, v0, 7, v13
	s_delay_alu instid0(VALU_DEP_1)
	v_cvt_f32_f16_e32 v80, v0
.LBB331_645:                            ;   in Loop: Header=BB331_483 Depth=1
	s_or_b32 exec_lo, exec_lo, s13
.LBB331_646:                            ;   in Loop: Header=BB331_483 Depth=1
	s_delay_alu instid0(SALU_CYCLE_1)
	s_or_b32 exec_lo, exec_lo, s12
.LBB331_647:                            ;   in Loop: Header=BB331_483 Depth=1
	s_delay_alu instid0(SALU_CYCLE_1) | instskip(SKIP_3) | instid1(VALU_DEP_2)
	s_or_b32 exec_lo, exec_lo, s10
	v_dual_mov_b32 v81, 0 :: v_dual_and_b32 v14, 0xff, v12
	v_dual_mov_b32 v0, v12 :: v_dual_mov_b32 v13, 0
	s_mov_b32 s10, exec_lo
	v_cmpx_ne_u16_e32 0, v14
	s_cbranch_execz .LBB331_655
; %bb.648:                              ;   in Loop: Header=BB331_483 Depth=1
	v_bfrev_b32_e32 v13, 1
	s_mov_b32 s12, exec_lo
	v_cmpx_ne_u16_e32 0x80, v14
	s_cbranch_execz .LBB331_654
; %bb.649:                              ;   in Loop: Header=BB331_483 Depth=1
	v_and_b32_e32 v14, 0x7f, v12
	v_mov_b32_e32 v13, 0x7fc02000
	s_mov_b32 s13, exec_lo
	s_delay_alu instid0(VALU_DEP_2)
	v_cmpx_ne_u32_e32 0x7f, v14
	s_cbranch_execz .LBB331_653
; %bb.650:                              ;   in Loop: Header=BB331_483 Depth=1
	v_lshrrev_b32_e32 v82, 3, v14
	v_cmp_gt_u32_e64 s0, 8, v14
	v_dual_mov_b32 v14, v1 :: v_dual_mov_b32 v13, v0
	s_delay_alu instid0(VALU_DEP_2)
	s_and_saveexec_b32 s15, s0
; %bb.651:                              ;   in Loop: Header=BB331_483 Depth=1
	v_and_b32_e32 v13, 7, v12
	s_delay_alu instid0(VALU_DEP_1) | instskip(NEXT) | instid1(VALU_DEP_1)
	v_clz_i32_u32_e32 v13, v13
	v_min_u32_e32 v82, 32, v13
	s_delay_alu instid0(VALU_DEP_1) | instskip(SKIP_1) | instid1(VALU_DEP_2)
	v_subrev_nc_u32_e32 v13, 28, v82
	v_sub_nc_u32_e32 v82, 29, v82
	v_lshlrev_b64 v[13:14], v13, v[0:1]
; %bb.652:                              ;   in Loop: Header=BB331_483 Depth=1
	s_or_b32 exec_lo, exec_lo, s15
	v_lshlrev_b32_e32 v14, 8, v12
	s_delay_alu instid0(VALU_DEP_3) | instskip(NEXT) | instid1(VALU_DEP_3)
	v_lshl_add_u32 v82, v82, 10, 0x2000
	v_lshlrev_b32_e32 v13, 7, v13
	s_delay_alu instid0(VALU_DEP_2) | instskip(NEXT) | instid1(VALU_DEP_1)
	v_and_or_b32 v14, 0x8000, v14, v82
	v_and_or_b32 v13, 0x380, v13, v14
	s_delay_alu instid0(VALU_DEP_1)
	v_cvt_f32_f16_e32 v13, v13
.LBB331_653:                            ;   in Loop: Header=BB331_483 Depth=1
	s_or_b32 exec_lo, exec_lo, s13
.LBB331_654:                            ;   in Loop: Header=BB331_483 Depth=1
	s_delay_alu instid0(SALU_CYCLE_1)
	s_or_b32 exec_lo, exec_lo, s12
.LBB331_655:                            ;   in Loop: Header=BB331_483 Depth=1
	s_delay_alu instid0(SALU_CYCLE_1) | instskip(SKIP_2) | instid1(VALU_DEP_1)
	s_or_b32 exec_lo, exec_lo, s10
	v_lshrrev_b16 v0, 8, v0
	s_mov_b32 s10, exec_lo
	v_cmpx_ne_u16_e32 0, v0
	s_cbranch_execz .LBB331_663
; %bb.656:                              ;   in Loop: Header=BB331_483 Depth=1
	v_bfrev_b32_e32 v81, 1
	s_mov_b32 s12, exec_lo
	v_cmpx_ne_u16_e32 0x80, v0
	s_cbranch_execz .LBB331_662
; %bb.657:                              ;   in Loop: Header=BB331_483 Depth=1
	v_and_b32_e32 v14, 0xffff, v0
	v_mov_b32_e32 v81, 0x7fc02000
	s_mov_b32 s13, exec_lo
	s_delay_alu instid0(VALU_DEP_2) | instskip(NEXT) | instid1(VALU_DEP_1)
	v_and_b32_e32 v82, 0x7f, v14
	v_cmpx_ne_u32_e32 0x7f, v82
	s_cbranch_execz .LBB331_661
; %bb.658:                              ;   in Loop: Header=BB331_483 Depth=1
	v_and_b32_e32 v0, 7, v14
	v_lshrrev_b32_e32 v81, 3, v82
	s_mov_b32 s15, exec_lo
	v_cmpx_gt_u32_e32 8, v82
; %bb.659:                              ;   in Loop: Header=BB331_483 Depth=1
	s_delay_alu instid0(VALU_DEP_3) | instskip(NEXT) | instid1(VALU_DEP_1)
	v_clz_i32_u32_e32 v81, v0
	v_min_u32_e32 v81, 32, v81
	s_delay_alu instid0(VALU_DEP_1) | instskip(SKIP_1) | instid1(VALU_DEP_2)
	v_subrev_nc_u32_e32 v82, 28, v81
	v_sub_nc_u32_e32 v81, 29, v81
	v_lshlrev_b64 v[82:83], v82, v[0:1]
	s_delay_alu instid0(VALU_DEP_1)
	v_and_b32_e32 v0, 7, v82
; %bb.660:                              ;   in Loop: Header=BB331_483 Depth=1
	s_or_b32 exec_lo, exec_lo, s15
	v_lshlrev_b32_e32 v14, 8, v14
	v_lshl_add_u32 v81, v81, 10, 0x2000
	s_delay_alu instid0(VALU_DEP_1) | instskip(NEXT) | instid1(VALU_DEP_1)
	v_and_or_b32 v14, 0x8000, v14, v81
	v_lshl_or_b32 v0, v0, 7, v14
	s_delay_alu instid0(VALU_DEP_1)
	v_cvt_f32_f16_e32 v81, v0
.LBB331_661:                            ;   in Loop: Header=BB331_483 Depth=1
	s_or_b32 exec_lo, exec_lo, s13
.LBB331_662:                            ;   in Loop: Header=BB331_483 Depth=1
	s_delay_alu instid0(SALU_CYCLE_1)
	s_or_b32 exec_lo, exec_lo, s12
.LBB331_663:                            ;   in Loop: Header=BB331_483 Depth=1
	s_delay_alu instid0(SALU_CYCLE_1) | instskip(SKIP_4) | instid1(VALU_DEP_3)
	s_or_b32 exec_lo, exec_lo, s10
	v_lshrrev_b32_e32 v83, 16, v12
	v_mov_b32_e32 v82, 0
	v_mov_b32_e32 v14, 0
	s_mov_b32 s10, exec_lo
	v_and_b32_e32 v0, 0xff, v83
	s_delay_alu instid0(VALU_DEP_1)
	v_cmpx_ne_u16_e32 0, v0
	s_cbranch_execz .LBB331_671
; %bb.664:                              ;   in Loop: Header=BB331_483 Depth=1
	v_bfrev_b32_e32 v14, 1
	s_mov_b32 s12, exec_lo
	v_cmpx_ne_u16_e32 0x80, v0
	s_cbranch_execz .LBB331_670
; %bb.665:                              ;   in Loop: Header=BB331_483 Depth=1
	v_bfe_u32 v84, v12, 16, 7
	v_mov_b32_e32 v14, 0x7fc02000
	s_mov_b32 s13, exec_lo
	s_delay_alu instid0(VALU_DEP_2)
	v_cmpx_ne_u32_e32 0x7f, v84
	s_cbranch_execz .LBB331_669
; %bb.666:                              ;   in Loop: Header=BB331_483 Depth=1
	v_and_b32_e32 v0, 7, v83
	v_lshrrev_b32_e32 v14, 3, v84
	s_mov_b32 s15, exec_lo
	v_cmpx_gt_u32_e32 8, v84
; %bb.667:                              ;   in Loop: Header=BB331_483 Depth=1
	s_delay_alu instid0(VALU_DEP_3) | instskip(NEXT) | instid1(VALU_DEP_1)
	v_clz_i32_u32_e32 v14, v0
	v_min_u32_e32 v14, 32, v14
	s_delay_alu instid0(VALU_DEP_1) | instskip(SKIP_1) | instid1(VALU_DEP_2)
	v_subrev_nc_u32_e32 v84, 28, v14
	v_sub_nc_u32_e32 v14, 29, v14
	v_lshlrev_b64 v[84:85], v84, v[0:1]
	s_delay_alu instid0(VALU_DEP_1)
	v_and_b32_e32 v0, 7, v84
; %bb.668:                              ;   in Loop: Header=BB331_483 Depth=1
	s_or_b32 exec_lo, exec_lo, s15
	v_lshlrev_b32_e32 v83, 8, v83
	v_lshl_add_u32 v14, v14, 10, 0x2000
	s_delay_alu instid0(VALU_DEP_1) | instskip(NEXT) | instid1(VALU_DEP_1)
	v_and_or_b32 v14, 0x8000, v83, v14
	v_lshl_or_b32 v0, v0, 7, v14
	s_delay_alu instid0(VALU_DEP_1)
	v_cvt_f32_f16_e32 v14, v0
.LBB331_669:                            ;   in Loop: Header=BB331_483 Depth=1
	s_or_b32 exec_lo, exec_lo, s13
.LBB331_670:                            ;   in Loop: Header=BB331_483 Depth=1
	s_delay_alu instid0(SALU_CYCLE_1)
	s_or_b32 exec_lo, exec_lo, s12
.LBB331_671:                            ;   in Loop: Header=BB331_483 Depth=1
	s_delay_alu instid0(SALU_CYCLE_1) | instskip(NEXT) | instid1(SALU_CYCLE_1)
	s_or_b32 exec_lo, exec_lo, s10
	s_mov_b32 s10, exec_lo
	v_cmpx_lt_u64_e64 s[8:9], v[11:12]
	s_cbranch_execz .LBB331_679
; %bb.672:                              ;   in Loop: Header=BB331_483 Depth=1
	v_lshrrev_b32_e32 v11, 24, v12
	v_bfrev_b32_e32 v82, 1
	s_mov_b32 s12, exec_lo
	s_delay_alu instid0(VALU_DEP_2)
	v_cmpx_ne_u32_e32 0x80, v11
	s_cbranch_execz .LBB331_678
; %bb.673:                              ;   in Loop: Header=BB331_483 Depth=1
	v_and_b32_e32 v83, 0x7f, v11
	v_mov_b32_e32 v82, 0x7fc02000
	s_mov_b32 s13, exec_lo
	s_delay_alu instid0(VALU_DEP_2)
	v_cmpx_ne_u32_e32 0x7f, v83
	s_cbranch_execz .LBB331_677
; %bb.674:                              ;   in Loop: Header=BB331_483 Depth=1
	v_and_b32_e32 v0, 7, v11
	v_lshrrev_b32_e32 v12, 3, v83
	s_mov_b32 s15, exec_lo
	v_cmpx_gt_u32_e32 8, v83
; %bb.675:                              ;   in Loop: Header=BB331_483 Depth=1
	s_delay_alu instid0(VALU_DEP_3) | instskip(NEXT) | instid1(VALU_DEP_1)
	v_clz_i32_u32_e32 v12, v0
	v_min_u32_e32 v12, 32, v12
	s_delay_alu instid0(VALU_DEP_1) | instskip(SKIP_1) | instid1(VALU_DEP_2)
	v_subrev_nc_u32_e32 v82, 28, v12
	v_sub_nc_u32_e32 v12, 29, v12
	v_lshlrev_b64 v[82:83], v82, v[0:1]
	s_delay_alu instid0(VALU_DEP_1)
	v_and_b32_e32 v0, 7, v82
; %bb.676:                              ;   in Loop: Header=BB331_483 Depth=1
	s_or_b32 exec_lo, exec_lo, s15
	v_lshlrev_b32_e32 v11, 8, v11
	v_lshl_add_u32 v12, v12, 10, 0x2000
	s_delay_alu instid0(VALU_DEP_1) | instskip(NEXT) | instid1(VALU_DEP_1)
	v_and_or_b32 v11, 0x8000, v11, v12
	v_lshl_or_b32 v0, v0, 7, v11
	s_delay_alu instid0(VALU_DEP_1)
	v_cvt_f32_f16_e32 v82, v0
.LBB331_677:                            ;   in Loop: Header=BB331_483 Depth=1
	s_or_b32 exec_lo, exec_lo, s13
.LBB331_678:                            ;   in Loop: Header=BB331_483 Depth=1
	s_delay_alu instid0(SALU_CYCLE_1)
	s_or_b32 exec_lo, exec_lo, s12
.LBB331_679:                            ;   in Loop: Header=BB331_483 Depth=1
	s_delay_alu instid0(SALU_CYCLE_1)
	s_or_b32 exec_lo, exec_lo, s10
	s_waitcnt vmcnt(0) lgkmcnt(0)
	v_fma_mixlo_f16 v12, v68, v70, 0
	v_fma_mixlo_f16 v0, v68, v80, 0
	;; [unrolled: 1-line block ×5, first 2 shown]
	v_lshlrev_b32_e32 v70, 16, v12
	v_fma_mixlo_f16 v13, v68, v13, 0
	v_fma_mixlo_f16 v80, v68, v82, 0
	;; [unrolled: 1-line block ×3, first 2 shown]
	v_lshlrev_b32_e32 v0, 16, v0
	v_and_b32_e32 v11, 0xffff, v11
	v_and_b32_e32 v14, 0xffff, v69
	v_lshlrev_b32_e32 v68, 16, v71
	v_and_b32_e32 v69, 0xffff, v13
	v_lshlrev_b32_e32 v71, 16, v80
	v_and_b32_e32 v80, 0xffff, v12
	v_or_b32_e32 v13, v0, v11
	v_or_b32_e32 v14, v70, v14
	;; [unrolled: 1-line block ×3, first 2 shown]
	s_delay_alu instid0(VALU_DEP_4)
	v_or_b32_e32 v11, v71, v80
	s_and_saveexec_b32 s10, vcc_lo
	s_cbranch_execz .LBB331_681
; %bb.680:                              ;   in Loop: Header=BB331_483 Depth=1
	v_cmp_lt_i32_e64 s0, v15, v33
	v_lshrrev_b32_e32 v68, 16, v14
	v_lshrrev_b32_e32 v69, 16, v13
	;; [unrolled: 1-line block ×4, first 2 shown]
	v_cndmask_b32_e64 v14, 0, v14, s0
	v_cmp_lt_i32_e64 s0, v51, v37
	s_delay_alu instid0(VALU_DEP_1) | instskip(SKIP_1) | instid1(VALU_DEP_2)
	v_cndmask_b32_e64 v68, 0, v68, s0
	v_cmp_lt_i32_e64 s0, v50, v37
	v_perm_b32 v14, v68, v14, 0x5040100
	s_delay_alu instid0(VALU_DEP_2) | instskip(SKIP_1) | instid1(VALU_DEP_1)
	v_cndmask_b32_e64 v69, 0, v69, s0
	v_cmp_lt_i32_e64 s0, v49, v33
	v_cndmask_b32_e64 v13, 0, v13, s0
	v_cmp_lt_i32_e64 s0, v48, v37
	s_delay_alu instid0(VALU_DEP_2) | instskip(NEXT) | instid1(VALU_DEP_2)
	v_perm_b32 v13, v69, v13, 0x5040100
	v_cndmask_b32_e64 v70, 0, v70, s0
	v_cmp_lt_i32_e64 s0, v38, v33
	s_delay_alu instid0(VALU_DEP_1) | instskip(SKIP_1) | instid1(VALU_DEP_2)
	v_cndmask_b32_e64 v0, 0, v0, s0
	v_cmp_lt_i32_e64 s0, v23, v37
	v_perm_b32 v0, v70, v0, 0x5040100
	s_delay_alu instid0(VALU_DEP_2) | instskip(SKIP_1) | instid1(VALU_DEP_1)
	v_cndmask_b32_e64 v11, 0, v11, s0
	v_cmp_lt_i32_e64 s0, v17, v33
	v_cndmask_b32_e64 v12, 0, v12, s0
	s_delay_alu instid0(VALU_DEP_1)
	v_perm_b32 v11, v11, v12, 0x5040100
.LBB331_681:                            ;   in Loop: Header=BB331_483 Depth=1
	s_or_b32 exec_lo, exec_lo, s10
	;;#ASMSTART
	v_pk_mul_f16 v12, v55, v14;

	;;#ASMEND
	;;#ASMSTART
	v_pk_mul_f16 v13, v54, v13;

	;;#ASMEND
	;; [unrolled: 4-line block ×4, first 2 shown]
	;;#ASMSTART
	v_pk_add_f16 v12, v12, v13;

	;;#ASMEND
	;;#ASMSTART
	v_pk_add_f16 v0, v12, v0;

	;;#ASMEND
	;; [unrolled: 4-line block ×3, first 2 shown]
	v_dual_mov_b32 v80, 0 :: v_dual_and_b32 v11, 0xffff, v0
	v_lshrrev_b32_e32 v0, 16, v0
	;;#ASMSTART
	v_cvt_f32_f16 v68, v11;
	;;#ASMEND
	;;#ASMSTART
	v_cvt_f32_f16 v69, v0;
	;;#ASMEND
	flat_load_b64 v[11:12], v[9:10] offset:768
	flat_load_b32 v70, v[26:27]
	s_mov_b32 s10, exec_lo
	s_waitcnt vmcnt(1) lgkmcnt(1)
	v_dual_mov_b32 v71, 0 :: v_dual_and_b32 v0, 0xff, v11
	s_delay_alu instid0(VALU_DEP_1)
	v_cmpx_ne_u16_e32 0, v0
	s_cbranch_execz .LBB331_689
; %bb.682:                              ;   in Loop: Header=BB331_483 Depth=1
	v_bfrev_b32_e32 v71, 1
	s_mov_b32 s12, exec_lo
	v_cmpx_ne_u16_e32 0x80, v0
	s_cbranch_execz .LBB331_688
; %bb.683:                              ;   in Loop: Header=BB331_483 Depth=1
	v_and_b32_e32 v13, 0x7f, v11
	v_mov_b32_e32 v71, 0x7fc02000
	s_mov_b32 s13, exec_lo
	s_delay_alu instid0(VALU_DEP_2)
	v_cmpx_ne_u32_e32 0x7f, v13
	s_cbranch_execz .LBB331_687
; %bb.684:                              ;   in Loop: Header=BB331_483 Depth=1
	v_lshrrev_b32_e32 v0, 3, v13
	v_cmp_gt_u32_e64 s0, 8, v13
	v_dual_mov_b32 v14, v12 :: v_dual_mov_b32 v13, v11
	s_delay_alu instid0(VALU_DEP_2)
	s_and_saveexec_b32 s15, s0
; %bb.685:                              ;   in Loop: Header=BB331_483 Depth=1
	v_and_b32_e32 v0, 7, v11
	s_delay_alu instid0(VALU_DEP_1) | instskip(NEXT) | instid1(VALU_DEP_1)
	v_clz_i32_u32_e32 v0, v0
	v_min_u32_e32 v0, 32, v0
	s_delay_alu instid0(VALU_DEP_1) | instskip(SKIP_1) | instid1(VALU_DEP_2)
	v_subrev_nc_u32_e32 v13, 28, v0
	v_sub_nc_u32_e32 v0, 29, v0
	v_lshlrev_b64 v[13:14], v13, v[11:12]
; %bb.686:                              ;   in Loop: Header=BB331_483 Depth=1
	s_or_b32 exec_lo, exec_lo, s15
	v_lshlrev_b32_e32 v14, 8, v11
	s_delay_alu instid0(VALU_DEP_3) | instskip(NEXT) | instid1(VALU_DEP_3)
	v_lshl_add_u32 v0, v0, 10, 0x2000
	v_lshlrev_b32_e32 v13, 7, v13
	s_delay_alu instid0(VALU_DEP_2) | instskip(NEXT) | instid1(VALU_DEP_1)
	v_and_or_b32 v0, 0x8000, v14, v0
	v_and_or_b32 v0, 0x380, v13, v0
	s_delay_alu instid0(VALU_DEP_1)
	v_cvt_f32_f16_e32 v71, v0
.LBB331_687:                            ;   in Loop: Header=BB331_483 Depth=1
	s_or_b32 exec_lo, exec_lo, s13
.LBB331_688:                            ;   in Loop: Header=BB331_483 Depth=1
	s_delay_alu instid0(SALU_CYCLE_1)
	s_or_b32 exec_lo, exec_lo, s12
.LBB331_689:                            ;   in Loop: Header=BB331_483 Depth=1
	s_delay_alu instid0(SALU_CYCLE_1) | instskip(SKIP_2) | instid1(VALU_DEP_1)
	s_or_b32 exec_lo, exec_lo, s10
	v_lshrrev_b16 v0, 8, v11
	s_mov_b32 s10, exec_lo
	v_cmpx_ne_u16_e32 0, v0
	s_cbranch_execz .LBB331_697
; %bb.690:                              ;   in Loop: Header=BB331_483 Depth=1
	v_bfrev_b32_e32 v80, 1
	s_mov_b32 s12, exec_lo
	v_cmpx_ne_u16_e32 0x80, v0
	s_cbranch_execz .LBB331_696
; %bb.691:                              ;   in Loop: Header=BB331_483 Depth=1
	v_and_b32_e32 v13, 0xffff, v0
	v_mov_b32_e32 v80, 0x7fc02000
	s_mov_b32 s13, exec_lo
	s_delay_alu instid0(VALU_DEP_2) | instskip(NEXT) | instid1(VALU_DEP_1)
	v_and_b32_e32 v81, 0x7f, v13
	v_cmpx_ne_u32_e32 0x7f, v81
	s_cbranch_execz .LBB331_695
; %bb.692:                              ;   in Loop: Header=BB331_483 Depth=1
	v_and_b32_e32 v0, 7, v13
	v_lshrrev_b32_e32 v14, 3, v81
	s_mov_b32 s15, exec_lo
	v_cmpx_gt_u32_e32 8, v81
; %bb.693:                              ;   in Loop: Header=BB331_483 Depth=1
	s_delay_alu instid0(VALU_DEP_3) | instskip(NEXT) | instid1(VALU_DEP_1)
	v_clz_i32_u32_e32 v14, v0
	v_min_u32_e32 v14, 32, v14
	s_delay_alu instid0(VALU_DEP_1) | instskip(SKIP_1) | instid1(VALU_DEP_2)
	v_subrev_nc_u32_e32 v80, 28, v14
	v_sub_nc_u32_e32 v14, 29, v14
	v_lshlrev_b64 v[80:81], v80, v[0:1]
	s_delay_alu instid0(VALU_DEP_1)
	v_and_b32_e32 v0, 7, v80
; %bb.694:                              ;   in Loop: Header=BB331_483 Depth=1
	s_or_b32 exec_lo, exec_lo, s15
	v_lshlrev_b32_e32 v13, 8, v13
	v_lshl_add_u32 v14, v14, 10, 0x2000
	s_delay_alu instid0(VALU_DEP_1) | instskip(NEXT) | instid1(VALU_DEP_1)
	v_and_or_b32 v13, 0x8000, v13, v14
	v_lshl_or_b32 v0, v0, 7, v13
	s_delay_alu instid0(VALU_DEP_1)
	v_cvt_f32_f16_e32 v80, v0
.LBB331_695:                            ;   in Loop: Header=BB331_483 Depth=1
	s_or_b32 exec_lo, exec_lo, s13
.LBB331_696:                            ;   in Loop: Header=BB331_483 Depth=1
	s_delay_alu instid0(SALU_CYCLE_1)
	s_or_b32 exec_lo, exec_lo, s12
.LBB331_697:                            ;   in Loop: Header=BB331_483 Depth=1
	s_delay_alu instid0(SALU_CYCLE_1) | instskip(SKIP_3) | instid1(VALU_DEP_2)
	s_or_b32 exec_lo, exec_lo, s10
	v_lshrrev_b32_e32 v13, 16, v11
	v_mov_b32_e32 v82, 0
	s_mov_b32 s10, exec_lo
	v_dual_mov_b32 v81, 0 :: v_dual_and_b32 v0, 0xff, v13
	s_delay_alu instid0(VALU_DEP_1)
	v_cmpx_ne_u16_e32 0, v0
	s_cbranch_execz .LBB331_705
; %bb.698:                              ;   in Loop: Header=BB331_483 Depth=1
	v_bfrev_b32_e32 v81, 1
	s_mov_b32 s12, exec_lo
	v_cmpx_ne_u16_e32 0x80, v0
	s_cbranch_execz .LBB331_704
; %bb.699:                              ;   in Loop: Header=BB331_483 Depth=1
	v_bfe_u32 v83, v11, 16, 7
	v_mov_b32_e32 v81, 0x7fc02000
	s_mov_b32 s13, exec_lo
	s_delay_alu instid0(VALU_DEP_2)
	v_cmpx_ne_u32_e32 0x7f, v83
	s_cbranch_execz .LBB331_703
; %bb.700:                              ;   in Loop: Header=BB331_483 Depth=1
	v_and_b32_e32 v0, 7, v13
	v_lshrrev_b32_e32 v14, 3, v83
	s_mov_b32 s15, exec_lo
	v_cmpx_gt_u32_e32 8, v83
; %bb.701:                              ;   in Loop: Header=BB331_483 Depth=1
	s_delay_alu instid0(VALU_DEP_3) | instskip(NEXT) | instid1(VALU_DEP_1)
	v_clz_i32_u32_e32 v14, v0
	v_min_u32_e32 v14, 32, v14
	s_delay_alu instid0(VALU_DEP_1) | instskip(SKIP_1) | instid1(VALU_DEP_2)
	v_subrev_nc_u32_e32 v81, 28, v14
	v_sub_nc_u32_e32 v14, 29, v14
	v_lshlrev_b64 v[83:84], v81, v[0:1]
	s_delay_alu instid0(VALU_DEP_1)
	v_and_b32_e32 v0, 7, v83
; %bb.702:                              ;   in Loop: Header=BB331_483 Depth=1
	s_or_b32 exec_lo, exec_lo, s15
	v_lshlrev_b32_e32 v13, 8, v13
	v_lshl_add_u32 v14, v14, 10, 0x2000
	s_delay_alu instid0(VALU_DEP_1) | instskip(NEXT) | instid1(VALU_DEP_1)
	v_and_or_b32 v13, 0x8000, v13, v14
	v_lshl_or_b32 v0, v0, 7, v13
	s_delay_alu instid0(VALU_DEP_1)
	v_cvt_f32_f16_e32 v81, v0
.LBB331_703:                            ;   in Loop: Header=BB331_483 Depth=1
	s_or_b32 exec_lo, exec_lo, s13
.LBB331_704:                            ;   in Loop: Header=BB331_483 Depth=1
	s_delay_alu instid0(SALU_CYCLE_1)
	s_or_b32 exec_lo, exec_lo, s12
.LBB331_705:                            ;   in Loop: Header=BB331_483 Depth=1
	s_delay_alu instid0(SALU_CYCLE_1) | instskip(NEXT) | instid1(SALU_CYCLE_1)
	s_or_b32 exec_lo, exec_lo, s10
	s_mov_b32 s10, exec_lo
	v_cmpx_lt_u32_e32 0xffffff, v11
	s_cbranch_execz .LBB331_713
; %bb.706:                              ;   in Loop: Header=BB331_483 Depth=1
	v_lshrrev_b32_e32 v13, 24, v11
	v_bfrev_b32_e32 v82, 1
	s_mov_b32 s12, exec_lo
	s_delay_alu instid0(VALU_DEP_2)
	v_cmpx_ne_u32_e32 0x80, v13
	s_cbranch_execz .LBB331_712
; %bb.707:                              ;   in Loop: Header=BB331_483 Depth=1
	v_and_b32_e32 v83, 0x7f, v13
	v_mov_b32_e32 v82, 0x7fc02000
	s_mov_b32 s13, exec_lo
	s_delay_alu instid0(VALU_DEP_2)
	v_cmpx_ne_u32_e32 0x7f, v83
	s_cbranch_execz .LBB331_711
; %bb.708:                              ;   in Loop: Header=BB331_483 Depth=1
	v_and_b32_e32 v0, 7, v13
	v_lshrrev_b32_e32 v14, 3, v83
	s_mov_b32 s15, exec_lo
	v_cmpx_gt_u32_e32 8, v83
; %bb.709:                              ;   in Loop: Header=BB331_483 Depth=1
	s_delay_alu instid0(VALU_DEP_3) | instskip(NEXT) | instid1(VALU_DEP_1)
	v_clz_i32_u32_e32 v14, v0
	v_min_u32_e32 v14, 32, v14
	s_delay_alu instid0(VALU_DEP_1) | instskip(SKIP_1) | instid1(VALU_DEP_2)
	v_subrev_nc_u32_e32 v82, 28, v14
	v_sub_nc_u32_e32 v14, 29, v14
	v_lshlrev_b64 v[82:83], v82, v[0:1]
	s_delay_alu instid0(VALU_DEP_1)
	v_and_b32_e32 v0, 7, v82
; %bb.710:                              ;   in Loop: Header=BB331_483 Depth=1
	s_or_b32 exec_lo, exec_lo, s15
	v_lshlrev_b32_e32 v13, 8, v13
	v_lshl_add_u32 v14, v14, 10, 0x2000
	s_delay_alu instid0(VALU_DEP_1) | instskip(NEXT) | instid1(VALU_DEP_1)
	v_and_or_b32 v13, 0x8000, v13, v14
	v_lshl_or_b32 v0, v0, 7, v13
	s_delay_alu instid0(VALU_DEP_1)
	v_cvt_f32_f16_e32 v82, v0
.LBB331_711:                            ;   in Loop: Header=BB331_483 Depth=1
	s_or_b32 exec_lo, exec_lo, s13
.LBB331_712:                            ;   in Loop: Header=BB331_483 Depth=1
	s_delay_alu instid0(SALU_CYCLE_1)
	s_or_b32 exec_lo, exec_lo, s12
.LBB331_713:                            ;   in Loop: Header=BB331_483 Depth=1
	s_delay_alu instid0(SALU_CYCLE_1) | instskip(SKIP_3) | instid1(VALU_DEP_2)
	s_or_b32 exec_lo, exec_lo, s10
	v_dual_mov_b32 v83, 0 :: v_dual_and_b32 v14, 0xff, v12
	v_dual_mov_b32 v0, v12 :: v_dual_mov_b32 v13, 0
	s_mov_b32 s10, exec_lo
	v_cmpx_ne_u16_e32 0, v14
	s_cbranch_execz .LBB331_721
; %bb.714:                              ;   in Loop: Header=BB331_483 Depth=1
	v_bfrev_b32_e32 v13, 1
	s_mov_b32 s12, exec_lo
	v_cmpx_ne_u16_e32 0x80, v14
	s_cbranch_execz .LBB331_720
; %bb.715:                              ;   in Loop: Header=BB331_483 Depth=1
	v_and_b32_e32 v14, 0x7f, v12
	v_mov_b32_e32 v13, 0x7fc02000
	s_mov_b32 s13, exec_lo
	s_delay_alu instid0(VALU_DEP_2)
	v_cmpx_ne_u32_e32 0x7f, v14
	s_cbranch_execz .LBB331_719
; %bb.716:                              ;   in Loop: Header=BB331_483 Depth=1
	v_lshrrev_b32_e32 v84, 3, v14
	v_cmp_gt_u32_e64 s0, 8, v14
	v_dual_mov_b32 v14, v1 :: v_dual_mov_b32 v13, v0
	s_delay_alu instid0(VALU_DEP_2)
	s_and_saveexec_b32 s15, s0
; %bb.717:                              ;   in Loop: Header=BB331_483 Depth=1
	v_and_b32_e32 v13, 7, v12
	s_delay_alu instid0(VALU_DEP_1) | instskip(NEXT) | instid1(VALU_DEP_1)
	v_clz_i32_u32_e32 v13, v13
	v_min_u32_e32 v84, 32, v13
	s_delay_alu instid0(VALU_DEP_1) | instskip(SKIP_1) | instid1(VALU_DEP_2)
	v_subrev_nc_u32_e32 v13, 28, v84
	v_sub_nc_u32_e32 v84, 29, v84
	v_lshlrev_b64 v[13:14], v13, v[0:1]
; %bb.718:                              ;   in Loop: Header=BB331_483 Depth=1
	s_or_b32 exec_lo, exec_lo, s15
	v_lshlrev_b32_e32 v14, 8, v12
	s_delay_alu instid0(VALU_DEP_3) | instskip(NEXT) | instid1(VALU_DEP_3)
	v_lshl_add_u32 v84, v84, 10, 0x2000
	v_lshlrev_b32_e32 v13, 7, v13
	s_delay_alu instid0(VALU_DEP_2) | instskip(NEXT) | instid1(VALU_DEP_1)
	v_and_or_b32 v14, 0x8000, v14, v84
	v_and_or_b32 v13, 0x380, v13, v14
	s_delay_alu instid0(VALU_DEP_1)
	v_cvt_f32_f16_e32 v13, v13
.LBB331_719:                            ;   in Loop: Header=BB331_483 Depth=1
	s_or_b32 exec_lo, exec_lo, s13
.LBB331_720:                            ;   in Loop: Header=BB331_483 Depth=1
	s_delay_alu instid0(SALU_CYCLE_1)
	s_or_b32 exec_lo, exec_lo, s12
.LBB331_721:                            ;   in Loop: Header=BB331_483 Depth=1
	s_delay_alu instid0(SALU_CYCLE_1) | instskip(SKIP_2) | instid1(VALU_DEP_1)
	s_or_b32 exec_lo, exec_lo, s10
	v_lshrrev_b16 v0, 8, v0
	s_mov_b32 s10, exec_lo
	v_cmpx_ne_u16_e32 0, v0
	s_cbranch_execz .LBB331_729
; %bb.722:                              ;   in Loop: Header=BB331_483 Depth=1
	v_bfrev_b32_e32 v83, 1
	s_mov_b32 s12, exec_lo
	v_cmpx_ne_u16_e32 0x80, v0
	s_cbranch_execz .LBB331_728
; %bb.723:                              ;   in Loop: Header=BB331_483 Depth=1
	v_and_b32_e32 v14, 0xffff, v0
	v_mov_b32_e32 v83, 0x7fc02000
	s_mov_b32 s13, exec_lo
	s_delay_alu instid0(VALU_DEP_2) | instskip(NEXT) | instid1(VALU_DEP_1)
	v_and_b32_e32 v84, 0x7f, v14
	v_cmpx_ne_u32_e32 0x7f, v84
	s_cbranch_execz .LBB331_727
; %bb.724:                              ;   in Loop: Header=BB331_483 Depth=1
	v_and_b32_e32 v0, 7, v14
	v_lshrrev_b32_e32 v83, 3, v84
	s_mov_b32 s15, exec_lo
	v_cmpx_gt_u32_e32 8, v84
; %bb.725:                              ;   in Loop: Header=BB331_483 Depth=1
	s_delay_alu instid0(VALU_DEP_3) | instskip(NEXT) | instid1(VALU_DEP_1)
	v_clz_i32_u32_e32 v83, v0
	v_min_u32_e32 v83, 32, v83
	s_delay_alu instid0(VALU_DEP_1) | instskip(SKIP_1) | instid1(VALU_DEP_2)
	v_subrev_nc_u32_e32 v84, 28, v83
	v_sub_nc_u32_e32 v83, 29, v83
	v_lshlrev_b64 v[84:85], v84, v[0:1]
	s_delay_alu instid0(VALU_DEP_1)
	v_and_b32_e32 v0, 7, v84
; %bb.726:                              ;   in Loop: Header=BB331_483 Depth=1
	s_or_b32 exec_lo, exec_lo, s15
	v_lshlrev_b32_e32 v14, 8, v14
	v_lshl_add_u32 v83, v83, 10, 0x2000
	s_delay_alu instid0(VALU_DEP_1) | instskip(NEXT) | instid1(VALU_DEP_1)
	v_and_or_b32 v14, 0x8000, v14, v83
	v_lshl_or_b32 v0, v0, 7, v14
	s_delay_alu instid0(VALU_DEP_1)
	v_cvt_f32_f16_e32 v83, v0
.LBB331_727:                            ;   in Loop: Header=BB331_483 Depth=1
	s_or_b32 exec_lo, exec_lo, s13
.LBB331_728:                            ;   in Loop: Header=BB331_483 Depth=1
	s_delay_alu instid0(SALU_CYCLE_1)
	s_or_b32 exec_lo, exec_lo, s12
.LBB331_729:                            ;   in Loop: Header=BB331_483 Depth=1
	s_delay_alu instid0(SALU_CYCLE_1) | instskip(SKIP_4) | instid1(VALU_DEP_3)
	s_or_b32 exec_lo, exec_lo, s10
	v_lshrrev_b32_e32 v85, 16, v12
	v_mov_b32_e32 v84, 0
	v_mov_b32_e32 v14, 0
	s_mov_b32 s10, exec_lo
	v_and_b32_e32 v0, 0xff, v85
	s_delay_alu instid0(VALU_DEP_1)
	v_cmpx_ne_u16_e32 0, v0
	s_cbranch_execz .LBB331_737
; %bb.730:                              ;   in Loop: Header=BB331_483 Depth=1
	v_bfrev_b32_e32 v14, 1
	s_mov_b32 s12, exec_lo
	v_cmpx_ne_u16_e32 0x80, v0
	s_cbranch_execz .LBB331_736
; %bb.731:                              ;   in Loop: Header=BB331_483 Depth=1
	v_bfe_u32 v86, v12, 16, 7
	v_mov_b32_e32 v14, 0x7fc02000
	s_mov_b32 s13, exec_lo
	s_delay_alu instid0(VALU_DEP_2)
	v_cmpx_ne_u32_e32 0x7f, v86
	s_cbranch_execz .LBB331_735
; %bb.732:                              ;   in Loop: Header=BB331_483 Depth=1
	v_and_b32_e32 v0, 7, v85
	v_lshrrev_b32_e32 v14, 3, v86
	s_mov_b32 s15, exec_lo
	v_cmpx_gt_u32_e32 8, v86
; %bb.733:                              ;   in Loop: Header=BB331_483 Depth=1
	s_delay_alu instid0(VALU_DEP_3) | instskip(NEXT) | instid1(VALU_DEP_1)
	v_clz_i32_u32_e32 v14, v0
	v_min_u32_e32 v14, 32, v14
	s_delay_alu instid0(VALU_DEP_1) | instskip(SKIP_1) | instid1(VALU_DEP_2)
	v_subrev_nc_u32_e32 v86, 28, v14
	v_sub_nc_u32_e32 v14, 29, v14
	v_lshlrev_b64 v[86:87], v86, v[0:1]
	s_delay_alu instid0(VALU_DEP_1)
	v_and_b32_e32 v0, 7, v86
; %bb.734:                              ;   in Loop: Header=BB331_483 Depth=1
	s_or_b32 exec_lo, exec_lo, s15
	v_lshlrev_b32_e32 v85, 8, v85
	v_lshl_add_u32 v14, v14, 10, 0x2000
	s_delay_alu instid0(VALU_DEP_1) | instskip(NEXT) | instid1(VALU_DEP_1)
	v_and_or_b32 v14, 0x8000, v85, v14
	v_lshl_or_b32 v0, v0, 7, v14
	s_delay_alu instid0(VALU_DEP_1)
	v_cvt_f32_f16_e32 v14, v0
.LBB331_735:                            ;   in Loop: Header=BB331_483 Depth=1
	s_or_b32 exec_lo, exec_lo, s13
.LBB331_736:                            ;   in Loop: Header=BB331_483 Depth=1
	s_delay_alu instid0(SALU_CYCLE_1)
	s_or_b32 exec_lo, exec_lo, s12
.LBB331_737:                            ;   in Loop: Header=BB331_483 Depth=1
	s_delay_alu instid0(SALU_CYCLE_1) | instskip(NEXT) | instid1(SALU_CYCLE_1)
	s_or_b32 exec_lo, exec_lo, s10
	s_mov_b32 s10, exec_lo
	v_cmpx_lt_u64_e64 s[8:9], v[11:12]
	s_cbranch_execz .LBB331_745
; %bb.738:                              ;   in Loop: Header=BB331_483 Depth=1
	v_lshrrev_b32_e32 v11, 24, v12
	v_bfrev_b32_e32 v84, 1
	s_mov_b32 s12, exec_lo
	s_delay_alu instid0(VALU_DEP_2)
	v_cmpx_ne_u32_e32 0x80, v11
	s_cbranch_execz .LBB331_744
; %bb.739:                              ;   in Loop: Header=BB331_483 Depth=1
	v_and_b32_e32 v85, 0x7f, v11
	v_mov_b32_e32 v84, 0x7fc02000
	s_mov_b32 s13, exec_lo
	s_delay_alu instid0(VALU_DEP_2)
	v_cmpx_ne_u32_e32 0x7f, v85
	s_cbranch_execz .LBB331_743
; %bb.740:                              ;   in Loop: Header=BB331_483 Depth=1
	v_and_b32_e32 v0, 7, v11
	v_lshrrev_b32_e32 v12, 3, v85
	s_mov_b32 s15, exec_lo
	v_cmpx_gt_u32_e32 8, v85
; %bb.741:                              ;   in Loop: Header=BB331_483 Depth=1
	s_delay_alu instid0(VALU_DEP_3) | instskip(NEXT) | instid1(VALU_DEP_1)
	v_clz_i32_u32_e32 v12, v0
	v_min_u32_e32 v12, 32, v12
	s_delay_alu instid0(VALU_DEP_1) | instskip(SKIP_1) | instid1(VALU_DEP_2)
	v_subrev_nc_u32_e32 v84, 28, v12
	v_sub_nc_u32_e32 v12, 29, v12
	v_lshlrev_b64 v[84:85], v84, v[0:1]
	s_delay_alu instid0(VALU_DEP_1)
	v_and_b32_e32 v0, 7, v84
; %bb.742:                              ;   in Loop: Header=BB331_483 Depth=1
	s_or_b32 exec_lo, exec_lo, s15
	v_lshlrev_b32_e32 v11, 8, v11
	v_lshl_add_u32 v12, v12, 10, 0x2000
	s_delay_alu instid0(VALU_DEP_1) | instskip(NEXT) | instid1(VALU_DEP_1)
	v_and_or_b32 v11, 0x8000, v11, v12
	v_lshl_or_b32 v0, v0, 7, v11
	s_delay_alu instid0(VALU_DEP_1)
	v_cvt_f32_f16_e32 v84, v0
.LBB331_743:                            ;   in Loop: Header=BB331_483 Depth=1
	s_or_b32 exec_lo, exec_lo, s13
.LBB331_744:                            ;   in Loop: Header=BB331_483 Depth=1
	s_delay_alu instid0(SALU_CYCLE_1)
	s_or_b32 exec_lo, exec_lo, s12
.LBB331_745:                            ;   in Loop: Header=BB331_483 Depth=1
	s_delay_alu instid0(SALU_CYCLE_1)
	s_or_b32 exec_lo, exec_lo, s10
	s_waitcnt vmcnt(0) lgkmcnt(0)
	v_fma_mixlo_f16 v12, v70, v80, 0
	v_fma_mixlo_f16 v0, v70, v82, 0
	;; [unrolled: 1-line block ×5, first 2 shown]
	v_lshlrev_b32_e32 v80, 16, v12
	v_fma_mixlo_f16 v13, v70, v13, 0
	v_fma_mixlo_f16 v82, v70, v84, 0
	;; [unrolled: 1-line block ×3, first 2 shown]
	v_lshlrev_b32_e32 v0, 16, v0
	v_and_b32_e32 v11, 0xffff, v11
	v_and_b32_e32 v14, 0xffff, v71
	v_lshlrev_b32_e32 v70, 16, v81
	v_and_b32_e32 v71, 0xffff, v13
	v_lshlrev_b32_e32 v81, 16, v82
	v_and_b32_e32 v82, 0xffff, v12
	v_or_b32_e32 v13, v0, v11
	v_or_b32_e32 v14, v80, v14
	;; [unrolled: 1-line block ×3, first 2 shown]
	s_delay_alu instid0(VALU_DEP_4)
	v_or_b32_e32 v11, v81, v82
	s_and_saveexec_b32 s10, vcc_lo
	s_cbranch_execz .LBB331_747
; %bb.746:                              ;   in Loop: Header=BB331_483 Depth=1
	v_cmp_lt_i32_e64 s0, v15, v33
	v_lshrrev_b32_e32 v70, 16, v14
	v_lshrrev_b32_e32 v71, 16, v13
	;; [unrolled: 1-line block ×4, first 2 shown]
	v_cndmask_b32_e64 v14, 0, v14, s0
	v_cmp_lt_i32_e64 s0, v51, v37
	s_delay_alu instid0(VALU_DEP_1) | instskip(SKIP_1) | instid1(VALU_DEP_2)
	v_cndmask_b32_e64 v70, 0, v70, s0
	v_cmp_lt_i32_e64 s0, v50, v37
	v_perm_b32 v14, v70, v14, 0x5040100
	s_delay_alu instid0(VALU_DEP_2) | instskip(SKIP_1) | instid1(VALU_DEP_1)
	v_cndmask_b32_e64 v71, 0, v71, s0
	v_cmp_lt_i32_e64 s0, v49, v33
	v_cndmask_b32_e64 v13, 0, v13, s0
	v_cmp_lt_i32_e64 s0, v48, v37
	s_delay_alu instid0(VALU_DEP_2) | instskip(NEXT) | instid1(VALU_DEP_2)
	v_perm_b32 v13, v71, v13, 0x5040100
	v_cndmask_b32_e64 v80, 0, v80, s0
	v_cmp_lt_i32_e64 s0, v38, v33
	s_delay_alu instid0(VALU_DEP_1) | instskip(SKIP_1) | instid1(VALU_DEP_2)
	v_cndmask_b32_e64 v0, 0, v0, s0
	v_cmp_lt_i32_e64 s0, v23, v37
	v_perm_b32 v0, v80, v0, 0x5040100
	s_delay_alu instid0(VALU_DEP_2) | instskip(SKIP_1) | instid1(VALU_DEP_1)
	v_cndmask_b32_e64 v11, 0, v11, s0
	v_cmp_lt_i32_e64 s0, v17, v33
	v_cndmask_b32_e64 v12, 0, v12, s0
	s_delay_alu instid0(VALU_DEP_1)
	v_perm_b32 v11, v11, v12, 0x5040100
.LBB331_747:                            ;   in Loop: Header=BB331_483 Depth=1
	s_or_b32 exec_lo, exec_lo, s10
	;;#ASMSTART
	v_pk_mul_f16 v12, v55, v14;

	;;#ASMEND
	;;#ASMSTART
	v_pk_mul_f16 v13, v54, v13;

	;;#ASMEND
	;; [unrolled: 4-line block ×4, first 2 shown]
	;;#ASMSTART
	v_pk_add_f16 v12, v12, v13;

	;;#ASMEND
	;;#ASMSTART
	v_pk_add_f16 v0, v12, v0;

	;;#ASMEND
	;;#ASMSTART
	v_pk_add_f16 v0, v0, v11;

	;;#ASMEND
	v_dual_mov_b32 v82, 0 :: v_dual_and_b32 v11, 0xffff, v0
	v_lshrrev_b32_e32 v0, 16, v0
	;;#ASMSTART
	v_cvt_f32_f16 v70, v11;
	;;#ASMEND
	;;#ASMSTART
	v_cvt_f32_f16 v71, v0;
	;;#ASMEND
	flat_load_b64 v[11:12], v[9:10] offset:1024
	flat_load_b32 v80, v[26:27]
	s_mov_b32 s10, exec_lo
	s_waitcnt vmcnt(1) lgkmcnt(1)
	v_dual_mov_b32 v81, 0 :: v_dual_and_b32 v0, 0xff, v11
	s_delay_alu instid0(VALU_DEP_1)
	v_cmpx_ne_u16_e32 0, v0
	s_cbranch_execz .LBB331_755
; %bb.748:                              ;   in Loop: Header=BB331_483 Depth=1
	v_bfrev_b32_e32 v81, 1
	s_mov_b32 s12, exec_lo
	v_cmpx_ne_u16_e32 0x80, v0
	s_cbranch_execz .LBB331_754
; %bb.749:                              ;   in Loop: Header=BB331_483 Depth=1
	v_and_b32_e32 v13, 0x7f, v11
	v_mov_b32_e32 v81, 0x7fc02000
	s_mov_b32 s13, exec_lo
	s_delay_alu instid0(VALU_DEP_2)
	v_cmpx_ne_u32_e32 0x7f, v13
	s_cbranch_execz .LBB331_753
; %bb.750:                              ;   in Loop: Header=BB331_483 Depth=1
	v_lshrrev_b32_e32 v0, 3, v13
	v_cmp_gt_u32_e64 s0, 8, v13
	v_dual_mov_b32 v14, v12 :: v_dual_mov_b32 v13, v11
	s_delay_alu instid0(VALU_DEP_2)
	s_and_saveexec_b32 s15, s0
; %bb.751:                              ;   in Loop: Header=BB331_483 Depth=1
	v_and_b32_e32 v0, 7, v11
	s_delay_alu instid0(VALU_DEP_1) | instskip(NEXT) | instid1(VALU_DEP_1)
	v_clz_i32_u32_e32 v0, v0
	v_min_u32_e32 v0, 32, v0
	s_delay_alu instid0(VALU_DEP_1) | instskip(SKIP_1) | instid1(VALU_DEP_2)
	v_subrev_nc_u32_e32 v13, 28, v0
	v_sub_nc_u32_e32 v0, 29, v0
	v_lshlrev_b64 v[13:14], v13, v[11:12]
; %bb.752:                              ;   in Loop: Header=BB331_483 Depth=1
	s_or_b32 exec_lo, exec_lo, s15
	v_lshlrev_b32_e32 v14, 8, v11
	s_delay_alu instid0(VALU_DEP_3) | instskip(NEXT) | instid1(VALU_DEP_3)
	v_lshl_add_u32 v0, v0, 10, 0x2000
	v_lshlrev_b32_e32 v13, 7, v13
	s_delay_alu instid0(VALU_DEP_2) | instskip(NEXT) | instid1(VALU_DEP_1)
	v_and_or_b32 v0, 0x8000, v14, v0
	v_and_or_b32 v0, 0x380, v13, v0
	s_delay_alu instid0(VALU_DEP_1)
	v_cvt_f32_f16_e32 v81, v0
.LBB331_753:                            ;   in Loop: Header=BB331_483 Depth=1
	s_or_b32 exec_lo, exec_lo, s13
.LBB331_754:                            ;   in Loop: Header=BB331_483 Depth=1
	s_delay_alu instid0(SALU_CYCLE_1)
	s_or_b32 exec_lo, exec_lo, s12
.LBB331_755:                            ;   in Loop: Header=BB331_483 Depth=1
	s_delay_alu instid0(SALU_CYCLE_1) | instskip(SKIP_2) | instid1(VALU_DEP_1)
	s_or_b32 exec_lo, exec_lo, s10
	v_lshrrev_b16 v0, 8, v11
	s_mov_b32 s10, exec_lo
	v_cmpx_ne_u16_e32 0, v0
	s_cbranch_execz .LBB331_763
; %bb.756:                              ;   in Loop: Header=BB331_483 Depth=1
	v_bfrev_b32_e32 v82, 1
	s_mov_b32 s12, exec_lo
	v_cmpx_ne_u16_e32 0x80, v0
	s_cbranch_execz .LBB331_762
; %bb.757:                              ;   in Loop: Header=BB331_483 Depth=1
	v_and_b32_e32 v13, 0xffff, v0
	v_mov_b32_e32 v82, 0x7fc02000
	s_mov_b32 s13, exec_lo
	s_delay_alu instid0(VALU_DEP_2) | instskip(NEXT) | instid1(VALU_DEP_1)
	v_and_b32_e32 v83, 0x7f, v13
	v_cmpx_ne_u32_e32 0x7f, v83
	s_cbranch_execz .LBB331_761
; %bb.758:                              ;   in Loop: Header=BB331_483 Depth=1
	v_and_b32_e32 v0, 7, v13
	v_lshrrev_b32_e32 v14, 3, v83
	s_mov_b32 s15, exec_lo
	v_cmpx_gt_u32_e32 8, v83
; %bb.759:                              ;   in Loop: Header=BB331_483 Depth=1
	s_delay_alu instid0(VALU_DEP_3) | instskip(NEXT) | instid1(VALU_DEP_1)
	v_clz_i32_u32_e32 v14, v0
	v_min_u32_e32 v14, 32, v14
	s_delay_alu instid0(VALU_DEP_1) | instskip(SKIP_1) | instid1(VALU_DEP_2)
	v_subrev_nc_u32_e32 v82, 28, v14
	v_sub_nc_u32_e32 v14, 29, v14
	v_lshlrev_b64 v[82:83], v82, v[0:1]
	s_delay_alu instid0(VALU_DEP_1)
	v_and_b32_e32 v0, 7, v82
; %bb.760:                              ;   in Loop: Header=BB331_483 Depth=1
	s_or_b32 exec_lo, exec_lo, s15
	v_lshlrev_b32_e32 v13, 8, v13
	v_lshl_add_u32 v14, v14, 10, 0x2000
	s_delay_alu instid0(VALU_DEP_1) | instskip(NEXT) | instid1(VALU_DEP_1)
	v_and_or_b32 v13, 0x8000, v13, v14
	v_lshl_or_b32 v0, v0, 7, v13
	s_delay_alu instid0(VALU_DEP_1)
	v_cvt_f32_f16_e32 v82, v0
.LBB331_761:                            ;   in Loop: Header=BB331_483 Depth=1
	s_or_b32 exec_lo, exec_lo, s13
.LBB331_762:                            ;   in Loop: Header=BB331_483 Depth=1
	s_delay_alu instid0(SALU_CYCLE_1)
	s_or_b32 exec_lo, exec_lo, s12
.LBB331_763:                            ;   in Loop: Header=BB331_483 Depth=1
	s_delay_alu instid0(SALU_CYCLE_1) | instskip(SKIP_3) | instid1(VALU_DEP_2)
	s_or_b32 exec_lo, exec_lo, s10
	v_lshrrev_b32_e32 v13, 16, v11
	v_mov_b32_e32 v84, 0
	s_mov_b32 s10, exec_lo
	v_dual_mov_b32 v83, 0 :: v_dual_and_b32 v0, 0xff, v13
	s_delay_alu instid0(VALU_DEP_1)
	v_cmpx_ne_u16_e32 0, v0
	s_cbranch_execz .LBB331_771
; %bb.764:                              ;   in Loop: Header=BB331_483 Depth=1
	v_bfrev_b32_e32 v83, 1
	s_mov_b32 s12, exec_lo
	v_cmpx_ne_u16_e32 0x80, v0
	s_cbranch_execz .LBB331_770
; %bb.765:                              ;   in Loop: Header=BB331_483 Depth=1
	v_bfe_u32 v85, v11, 16, 7
	v_mov_b32_e32 v83, 0x7fc02000
	s_mov_b32 s13, exec_lo
	s_delay_alu instid0(VALU_DEP_2)
	v_cmpx_ne_u32_e32 0x7f, v85
	s_cbranch_execz .LBB331_769
; %bb.766:                              ;   in Loop: Header=BB331_483 Depth=1
	v_and_b32_e32 v0, 7, v13
	v_lshrrev_b32_e32 v14, 3, v85
	s_mov_b32 s15, exec_lo
	v_cmpx_gt_u32_e32 8, v85
; %bb.767:                              ;   in Loop: Header=BB331_483 Depth=1
	s_delay_alu instid0(VALU_DEP_3) | instskip(NEXT) | instid1(VALU_DEP_1)
	v_clz_i32_u32_e32 v14, v0
	v_min_u32_e32 v14, 32, v14
	s_delay_alu instid0(VALU_DEP_1) | instskip(SKIP_1) | instid1(VALU_DEP_2)
	v_subrev_nc_u32_e32 v83, 28, v14
	v_sub_nc_u32_e32 v14, 29, v14
	v_lshlrev_b64 v[85:86], v83, v[0:1]
	s_delay_alu instid0(VALU_DEP_1)
	v_and_b32_e32 v0, 7, v85
; %bb.768:                              ;   in Loop: Header=BB331_483 Depth=1
	s_or_b32 exec_lo, exec_lo, s15
	v_lshlrev_b32_e32 v13, 8, v13
	v_lshl_add_u32 v14, v14, 10, 0x2000
	s_delay_alu instid0(VALU_DEP_1) | instskip(NEXT) | instid1(VALU_DEP_1)
	v_and_or_b32 v13, 0x8000, v13, v14
	v_lshl_or_b32 v0, v0, 7, v13
	s_delay_alu instid0(VALU_DEP_1)
	v_cvt_f32_f16_e32 v83, v0
.LBB331_769:                            ;   in Loop: Header=BB331_483 Depth=1
	s_or_b32 exec_lo, exec_lo, s13
.LBB331_770:                            ;   in Loop: Header=BB331_483 Depth=1
	s_delay_alu instid0(SALU_CYCLE_1)
	s_or_b32 exec_lo, exec_lo, s12
.LBB331_771:                            ;   in Loop: Header=BB331_483 Depth=1
	s_delay_alu instid0(SALU_CYCLE_1) | instskip(NEXT) | instid1(SALU_CYCLE_1)
	s_or_b32 exec_lo, exec_lo, s10
	s_mov_b32 s10, exec_lo
	v_cmpx_lt_u32_e32 0xffffff, v11
	s_cbranch_execz .LBB331_779
; %bb.772:                              ;   in Loop: Header=BB331_483 Depth=1
	v_lshrrev_b32_e32 v13, 24, v11
	v_bfrev_b32_e32 v84, 1
	s_mov_b32 s12, exec_lo
	s_delay_alu instid0(VALU_DEP_2)
	v_cmpx_ne_u32_e32 0x80, v13
	s_cbranch_execz .LBB331_778
; %bb.773:                              ;   in Loop: Header=BB331_483 Depth=1
	v_and_b32_e32 v85, 0x7f, v13
	v_mov_b32_e32 v84, 0x7fc02000
	s_mov_b32 s13, exec_lo
	s_delay_alu instid0(VALU_DEP_2)
	v_cmpx_ne_u32_e32 0x7f, v85
	s_cbranch_execz .LBB331_777
; %bb.774:                              ;   in Loop: Header=BB331_483 Depth=1
	v_and_b32_e32 v0, 7, v13
	v_lshrrev_b32_e32 v14, 3, v85
	s_mov_b32 s15, exec_lo
	v_cmpx_gt_u32_e32 8, v85
; %bb.775:                              ;   in Loop: Header=BB331_483 Depth=1
	s_delay_alu instid0(VALU_DEP_3) | instskip(NEXT) | instid1(VALU_DEP_1)
	v_clz_i32_u32_e32 v14, v0
	v_min_u32_e32 v14, 32, v14
	s_delay_alu instid0(VALU_DEP_1) | instskip(SKIP_1) | instid1(VALU_DEP_2)
	v_subrev_nc_u32_e32 v84, 28, v14
	v_sub_nc_u32_e32 v14, 29, v14
	v_lshlrev_b64 v[84:85], v84, v[0:1]
	s_delay_alu instid0(VALU_DEP_1)
	v_and_b32_e32 v0, 7, v84
; %bb.776:                              ;   in Loop: Header=BB331_483 Depth=1
	s_or_b32 exec_lo, exec_lo, s15
	v_lshlrev_b32_e32 v13, 8, v13
	v_lshl_add_u32 v14, v14, 10, 0x2000
	s_delay_alu instid0(VALU_DEP_1) | instskip(NEXT) | instid1(VALU_DEP_1)
	v_and_or_b32 v13, 0x8000, v13, v14
	v_lshl_or_b32 v0, v0, 7, v13
	s_delay_alu instid0(VALU_DEP_1)
	v_cvt_f32_f16_e32 v84, v0
.LBB331_777:                            ;   in Loop: Header=BB331_483 Depth=1
	s_or_b32 exec_lo, exec_lo, s13
.LBB331_778:                            ;   in Loop: Header=BB331_483 Depth=1
	s_delay_alu instid0(SALU_CYCLE_1)
	s_or_b32 exec_lo, exec_lo, s12
.LBB331_779:                            ;   in Loop: Header=BB331_483 Depth=1
	s_delay_alu instid0(SALU_CYCLE_1) | instskip(SKIP_3) | instid1(VALU_DEP_2)
	s_or_b32 exec_lo, exec_lo, s10
	v_dual_mov_b32 v85, 0 :: v_dual_and_b32 v14, 0xff, v12
	v_dual_mov_b32 v0, v12 :: v_dual_mov_b32 v13, 0
	s_mov_b32 s10, exec_lo
	v_cmpx_ne_u16_e32 0, v14
	s_cbranch_execz .LBB331_787
; %bb.780:                              ;   in Loop: Header=BB331_483 Depth=1
	v_bfrev_b32_e32 v13, 1
	s_mov_b32 s12, exec_lo
	v_cmpx_ne_u16_e32 0x80, v14
	s_cbranch_execz .LBB331_786
; %bb.781:                              ;   in Loop: Header=BB331_483 Depth=1
	v_and_b32_e32 v14, 0x7f, v12
	v_mov_b32_e32 v13, 0x7fc02000
	s_mov_b32 s13, exec_lo
	s_delay_alu instid0(VALU_DEP_2)
	v_cmpx_ne_u32_e32 0x7f, v14
	s_cbranch_execz .LBB331_785
; %bb.782:                              ;   in Loop: Header=BB331_483 Depth=1
	v_lshrrev_b32_e32 v86, 3, v14
	v_cmp_gt_u32_e64 s0, 8, v14
	v_dual_mov_b32 v14, v1 :: v_dual_mov_b32 v13, v0
	s_delay_alu instid0(VALU_DEP_2)
	s_and_saveexec_b32 s15, s0
; %bb.783:                              ;   in Loop: Header=BB331_483 Depth=1
	v_and_b32_e32 v13, 7, v12
	s_delay_alu instid0(VALU_DEP_1) | instskip(NEXT) | instid1(VALU_DEP_1)
	v_clz_i32_u32_e32 v13, v13
	v_min_u32_e32 v86, 32, v13
	s_delay_alu instid0(VALU_DEP_1) | instskip(SKIP_1) | instid1(VALU_DEP_2)
	v_subrev_nc_u32_e32 v13, 28, v86
	v_sub_nc_u32_e32 v86, 29, v86
	v_lshlrev_b64 v[13:14], v13, v[0:1]
; %bb.784:                              ;   in Loop: Header=BB331_483 Depth=1
	s_or_b32 exec_lo, exec_lo, s15
	v_lshlrev_b32_e32 v14, 8, v12
	s_delay_alu instid0(VALU_DEP_3) | instskip(NEXT) | instid1(VALU_DEP_3)
	v_lshl_add_u32 v86, v86, 10, 0x2000
	v_lshlrev_b32_e32 v13, 7, v13
	s_delay_alu instid0(VALU_DEP_2) | instskip(NEXT) | instid1(VALU_DEP_1)
	v_and_or_b32 v14, 0x8000, v14, v86
	v_and_or_b32 v13, 0x380, v13, v14
	s_delay_alu instid0(VALU_DEP_1)
	v_cvt_f32_f16_e32 v13, v13
.LBB331_785:                            ;   in Loop: Header=BB331_483 Depth=1
	s_or_b32 exec_lo, exec_lo, s13
.LBB331_786:                            ;   in Loop: Header=BB331_483 Depth=1
	s_delay_alu instid0(SALU_CYCLE_1)
	s_or_b32 exec_lo, exec_lo, s12
.LBB331_787:                            ;   in Loop: Header=BB331_483 Depth=1
	s_delay_alu instid0(SALU_CYCLE_1) | instskip(SKIP_2) | instid1(VALU_DEP_1)
	s_or_b32 exec_lo, exec_lo, s10
	v_lshrrev_b16 v0, 8, v0
	s_mov_b32 s10, exec_lo
	v_cmpx_ne_u16_e32 0, v0
	s_cbranch_execz .LBB331_795
; %bb.788:                              ;   in Loop: Header=BB331_483 Depth=1
	v_bfrev_b32_e32 v85, 1
	s_mov_b32 s12, exec_lo
	v_cmpx_ne_u16_e32 0x80, v0
	s_cbranch_execz .LBB331_794
; %bb.789:                              ;   in Loop: Header=BB331_483 Depth=1
	v_and_b32_e32 v14, 0xffff, v0
	v_mov_b32_e32 v85, 0x7fc02000
	s_mov_b32 s13, exec_lo
	s_delay_alu instid0(VALU_DEP_2) | instskip(NEXT) | instid1(VALU_DEP_1)
	v_and_b32_e32 v86, 0x7f, v14
	v_cmpx_ne_u32_e32 0x7f, v86
	s_cbranch_execz .LBB331_793
; %bb.790:                              ;   in Loop: Header=BB331_483 Depth=1
	v_and_b32_e32 v0, 7, v14
	v_lshrrev_b32_e32 v85, 3, v86
	s_mov_b32 s15, exec_lo
	v_cmpx_gt_u32_e32 8, v86
; %bb.791:                              ;   in Loop: Header=BB331_483 Depth=1
	s_delay_alu instid0(VALU_DEP_3) | instskip(NEXT) | instid1(VALU_DEP_1)
	v_clz_i32_u32_e32 v85, v0
	v_min_u32_e32 v85, 32, v85
	s_delay_alu instid0(VALU_DEP_1) | instskip(SKIP_1) | instid1(VALU_DEP_2)
	v_subrev_nc_u32_e32 v86, 28, v85
	v_sub_nc_u32_e32 v85, 29, v85
	v_lshlrev_b64 v[86:87], v86, v[0:1]
	s_delay_alu instid0(VALU_DEP_1)
	v_and_b32_e32 v0, 7, v86
; %bb.792:                              ;   in Loop: Header=BB331_483 Depth=1
	s_or_b32 exec_lo, exec_lo, s15
	v_lshlrev_b32_e32 v14, 8, v14
	v_lshl_add_u32 v85, v85, 10, 0x2000
	s_delay_alu instid0(VALU_DEP_1) | instskip(NEXT) | instid1(VALU_DEP_1)
	v_and_or_b32 v14, 0x8000, v14, v85
	v_lshl_or_b32 v0, v0, 7, v14
	s_delay_alu instid0(VALU_DEP_1)
	v_cvt_f32_f16_e32 v85, v0
.LBB331_793:                            ;   in Loop: Header=BB331_483 Depth=1
	s_or_b32 exec_lo, exec_lo, s13
.LBB331_794:                            ;   in Loop: Header=BB331_483 Depth=1
	s_delay_alu instid0(SALU_CYCLE_1)
	s_or_b32 exec_lo, exec_lo, s12
.LBB331_795:                            ;   in Loop: Header=BB331_483 Depth=1
	s_delay_alu instid0(SALU_CYCLE_1) | instskip(SKIP_4) | instid1(VALU_DEP_3)
	s_or_b32 exec_lo, exec_lo, s10
	v_lshrrev_b32_e32 v87, 16, v12
	v_mov_b32_e32 v86, 0
	v_mov_b32_e32 v14, 0
	s_mov_b32 s10, exec_lo
	v_and_b32_e32 v0, 0xff, v87
	s_delay_alu instid0(VALU_DEP_1)
	v_cmpx_ne_u16_e32 0, v0
	s_cbranch_execz .LBB331_803
; %bb.796:                              ;   in Loop: Header=BB331_483 Depth=1
	v_bfrev_b32_e32 v14, 1
	s_mov_b32 s12, exec_lo
	v_cmpx_ne_u16_e32 0x80, v0
	s_cbranch_execz .LBB331_802
; %bb.797:                              ;   in Loop: Header=BB331_483 Depth=1
	v_bfe_u32 v96, v12, 16, 7
	v_mov_b32_e32 v14, 0x7fc02000
	s_mov_b32 s13, exec_lo
	s_delay_alu instid0(VALU_DEP_2)
	v_cmpx_ne_u32_e32 0x7f, v96
	s_cbranch_execz .LBB331_801
; %bb.798:                              ;   in Loop: Header=BB331_483 Depth=1
	v_and_b32_e32 v0, 7, v87
	v_lshrrev_b32_e32 v14, 3, v96
	s_mov_b32 s15, exec_lo
	v_cmpx_gt_u32_e32 8, v96
; %bb.799:                              ;   in Loop: Header=BB331_483 Depth=1
	s_delay_alu instid0(VALU_DEP_3) | instskip(NEXT) | instid1(VALU_DEP_1)
	v_clz_i32_u32_e32 v14, v0
	v_min_u32_e32 v14, 32, v14
	s_delay_alu instid0(VALU_DEP_1) | instskip(SKIP_1) | instid1(VALU_DEP_2)
	v_subrev_nc_u32_e32 v96, 28, v14
	v_sub_nc_u32_e32 v14, 29, v14
	v_lshlrev_b64 v[96:97], v96, v[0:1]
	s_delay_alu instid0(VALU_DEP_1)
	v_and_b32_e32 v0, 7, v96
; %bb.800:                              ;   in Loop: Header=BB331_483 Depth=1
	s_or_b32 exec_lo, exec_lo, s15
	v_lshlrev_b32_e32 v87, 8, v87
	v_lshl_add_u32 v14, v14, 10, 0x2000
	s_delay_alu instid0(VALU_DEP_1) | instskip(NEXT) | instid1(VALU_DEP_1)
	v_and_or_b32 v14, 0x8000, v87, v14
	v_lshl_or_b32 v0, v0, 7, v14
	s_delay_alu instid0(VALU_DEP_1)
	v_cvt_f32_f16_e32 v14, v0
.LBB331_801:                            ;   in Loop: Header=BB331_483 Depth=1
	s_or_b32 exec_lo, exec_lo, s13
.LBB331_802:                            ;   in Loop: Header=BB331_483 Depth=1
	s_delay_alu instid0(SALU_CYCLE_1)
	s_or_b32 exec_lo, exec_lo, s12
.LBB331_803:                            ;   in Loop: Header=BB331_483 Depth=1
	s_delay_alu instid0(SALU_CYCLE_1) | instskip(NEXT) | instid1(SALU_CYCLE_1)
	s_or_b32 exec_lo, exec_lo, s10
	s_mov_b32 s10, exec_lo
	v_cmpx_lt_u64_e64 s[8:9], v[11:12]
	s_cbranch_execz .LBB331_811
; %bb.804:                              ;   in Loop: Header=BB331_483 Depth=1
	v_lshrrev_b32_e32 v11, 24, v12
	v_bfrev_b32_e32 v86, 1
	s_mov_b32 s12, exec_lo
	s_delay_alu instid0(VALU_DEP_2)
	v_cmpx_ne_u32_e32 0x80, v11
	s_cbranch_execz .LBB331_810
; %bb.805:                              ;   in Loop: Header=BB331_483 Depth=1
	v_and_b32_e32 v87, 0x7f, v11
	v_mov_b32_e32 v86, 0x7fc02000
	s_mov_b32 s13, exec_lo
	s_delay_alu instid0(VALU_DEP_2)
	v_cmpx_ne_u32_e32 0x7f, v87
	s_cbranch_execz .LBB331_809
; %bb.806:                              ;   in Loop: Header=BB331_483 Depth=1
	v_and_b32_e32 v0, 7, v11
	v_lshrrev_b32_e32 v12, 3, v87
	s_mov_b32 s15, exec_lo
	v_cmpx_gt_u32_e32 8, v87
; %bb.807:                              ;   in Loop: Header=BB331_483 Depth=1
	s_delay_alu instid0(VALU_DEP_3) | instskip(NEXT) | instid1(VALU_DEP_1)
	v_clz_i32_u32_e32 v12, v0
	v_min_u32_e32 v12, 32, v12
	s_delay_alu instid0(VALU_DEP_1) | instskip(SKIP_1) | instid1(VALU_DEP_2)
	v_subrev_nc_u32_e32 v86, 28, v12
	v_sub_nc_u32_e32 v12, 29, v12
	v_lshlrev_b64 v[86:87], v86, v[0:1]
	s_delay_alu instid0(VALU_DEP_1)
	v_and_b32_e32 v0, 7, v86
; %bb.808:                              ;   in Loop: Header=BB331_483 Depth=1
	s_or_b32 exec_lo, exec_lo, s15
	v_lshlrev_b32_e32 v11, 8, v11
	v_lshl_add_u32 v12, v12, 10, 0x2000
	s_delay_alu instid0(VALU_DEP_1) | instskip(NEXT) | instid1(VALU_DEP_1)
	v_and_or_b32 v11, 0x8000, v11, v12
	v_lshl_or_b32 v0, v0, 7, v11
	s_delay_alu instid0(VALU_DEP_1)
	v_cvt_f32_f16_e32 v86, v0
.LBB331_809:                            ;   in Loop: Header=BB331_483 Depth=1
	s_or_b32 exec_lo, exec_lo, s13
.LBB331_810:                            ;   in Loop: Header=BB331_483 Depth=1
	s_delay_alu instid0(SALU_CYCLE_1)
	s_or_b32 exec_lo, exec_lo, s12
.LBB331_811:                            ;   in Loop: Header=BB331_483 Depth=1
	s_delay_alu instid0(SALU_CYCLE_1)
	s_or_b32 exec_lo, exec_lo, s10
	s_waitcnt vmcnt(0) lgkmcnt(0)
	v_fma_mixlo_f16 v12, v80, v82, 0
	v_fma_mixlo_f16 v0, v80, v84, 0
	;; [unrolled: 1-line block ×5, first 2 shown]
	v_lshlrev_b32_e32 v82, 16, v12
	v_fma_mixlo_f16 v13, v80, v13, 0
	v_fma_mixlo_f16 v84, v80, v86, 0
	;; [unrolled: 1-line block ×3, first 2 shown]
	v_lshlrev_b32_e32 v0, 16, v0
	v_and_b32_e32 v11, 0xffff, v11
	v_and_b32_e32 v14, 0xffff, v81
	v_lshlrev_b32_e32 v80, 16, v83
	v_and_b32_e32 v81, 0xffff, v13
	v_lshlrev_b32_e32 v83, 16, v84
	v_and_b32_e32 v84, 0xffff, v12
	v_or_b32_e32 v13, v0, v11
	v_or_b32_e32 v14, v82, v14
	;; [unrolled: 1-line block ×3, first 2 shown]
	s_delay_alu instid0(VALU_DEP_4)
	v_or_b32_e32 v11, v83, v84
	s_and_saveexec_b32 s10, vcc_lo
	s_cbranch_execz .LBB331_813
; %bb.812:                              ;   in Loop: Header=BB331_483 Depth=1
	v_cmp_lt_i32_e64 s0, v15, v33
	v_lshrrev_b32_e32 v80, 16, v14
	v_lshrrev_b32_e32 v81, 16, v13
	;; [unrolled: 1-line block ×4, first 2 shown]
	v_cndmask_b32_e64 v14, 0, v14, s0
	v_cmp_lt_i32_e64 s0, v51, v37
	s_delay_alu instid0(VALU_DEP_1) | instskip(SKIP_1) | instid1(VALU_DEP_2)
	v_cndmask_b32_e64 v80, 0, v80, s0
	v_cmp_lt_i32_e64 s0, v50, v37
	v_perm_b32 v14, v80, v14, 0x5040100
	s_delay_alu instid0(VALU_DEP_2) | instskip(SKIP_1) | instid1(VALU_DEP_1)
	v_cndmask_b32_e64 v81, 0, v81, s0
	v_cmp_lt_i32_e64 s0, v49, v33
	v_cndmask_b32_e64 v13, 0, v13, s0
	v_cmp_lt_i32_e64 s0, v48, v37
	s_delay_alu instid0(VALU_DEP_2) | instskip(NEXT) | instid1(VALU_DEP_2)
	v_perm_b32 v13, v81, v13, 0x5040100
	v_cndmask_b32_e64 v82, 0, v82, s0
	v_cmp_lt_i32_e64 s0, v38, v33
	s_delay_alu instid0(VALU_DEP_1) | instskip(SKIP_1) | instid1(VALU_DEP_2)
	v_cndmask_b32_e64 v0, 0, v0, s0
	v_cmp_lt_i32_e64 s0, v23, v37
	v_perm_b32 v0, v82, v0, 0x5040100
	s_delay_alu instid0(VALU_DEP_2) | instskip(SKIP_1) | instid1(VALU_DEP_1)
	v_cndmask_b32_e64 v11, 0, v11, s0
	v_cmp_lt_i32_e64 s0, v17, v33
	v_cndmask_b32_e64 v12, 0, v12, s0
	s_delay_alu instid0(VALU_DEP_1)
	v_perm_b32 v11, v11, v12, 0x5040100
.LBB331_813:                            ;   in Loop: Header=BB331_483 Depth=1
	s_or_b32 exec_lo, exec_lo, s10
	;;#ASMSTART
	v_pk_mul_f16 v12, v55, v14;

	;;#ASMEND
	;;#ASMSTART
	v_pk_mul_f16 v13, v54, v13;

	;;#ASMEND
	;; [unrolled: 4-line block ×4, first 2 shown]
	;;#ASMSTART
	v_pk_add_f16 v12, v12, v13;

	;;#ASMEND
	;;#ASMSTART
	v_pk_add_f16 v0, v12, v0;

	;;#ASMEND
	;; [unrolled: 4-line block ×3, first 2 shown]
	v_dual_mov_b32 v84, 0 :: v_dual_and_b32 v11, 0xffff, v0
	v_lshrrev_b32_e32 v0, 16, v0
	;;#ASMSTART
	v_cvt_f32_f16 v80, v11;
	;;#ASMEND
	;;#ASMSTART
	v_cvt_f32_f16 v81, v0;
	;;#ASMEND
	flat_load_b64 v[11:12], v[9:10] offset:1280
	flat_load_b32 v82, v[26:27]
	s_mov_b32 s10, exec_lo
	s_waitcnt vmcnt(1) lgkmcnt(1)
	v_dual_mov_b32 v83, 0 :: v_dual_and_b32 v0, 0xff, v11
	s_delay_alu instid0(VALU_DEP_1)
	v_cmpx_ne_u16_e32 0, v0
	s_cbranch_execz .LBB331_821
; %bb.814:                              ;   in Loop: Header=BB331_483 Depth=1
	v_bfrev_b32_e32 v83, 1
	s_mov_b32 s12, exec_lo
	v_cmpx_ne_u16_e32 0x80, v0
	s_cbranch_execz .LBB331_820
; %bb.815:                              ;   in Loop: Header=BB331_483 Depth=1
	v_and_b32_e32 v13, 0x7f, v11
	v_mov_b32_e32 v83, 0x7fc02000
	s_mov_b32 s13, exec_lo
	s_delay_alu instid0(VALU_DEP_2)
	v_cmpx_ne_u32_e32 0x7f, v13
	s_cbranch_execz .LBB331_819
; %bb.816:                              ;   in Loop: Header=BB331_483 Depth=1
	v_lshrrev_b32_e32 v0, 3, v13
	v_cmp_gt_u32_e64 s0, 8, v13
	v_dual_mov_b32 v14, v12 :: v_dual_mov_b32 v13, v11
	s_delay_alu instid0(VALU_DEP_2)
	s_and_saveexec_b32 s15, s0
; %bb.817:                              ;   in Loop: Header=BB331_483 Depth=1
	v_and_b32_e32 v0, 7, v11
	s_delay_alu instid0(VALU_DEP_1) | instskip(NEXT) | instid1(VALU_DEP_1)
	v_clz_i32_u32_e32 v0, v0
	v_min_u32_e32 v0, 32, v0
	s_delay_alu instid0(VALU_DEP_1) | instskip(SKIP_1) | instid1(VALU_DEP_2)
	v_subrev_nc_u32_e32 v13, 28, v0
	v_sub_nc_u32_e32 v0, 29, v0
	v_lshlrev_b64 v[13:14], v13, v[11:12]
; %bb.818:                              ;   in Loop: Header=BB331_483 Depth=1
	s_or_b32 exec_lo, exec_lo, s15
	v_lshlrev_b32_e32 v14, 8, v11
	s_delay_alu instid0(VALU_DEP_3) | instskip(NEXT) | instid1(VALU_DEP_3)
	v_lshl_add_u32 v0, v0, 10, 0x2000
	v_lshlrev_b32_e32 v13, 7, v13
	s_delay_alu instid0(VALU_DEP_2) | instskip(NEXT) | instid1(VALU_DEP_1)
	v_and_or_b32 v0, 0x8000, v14, v0
	v_and_or_b32 v0, 0x380, v13, v0
	s_delay_alu instid0(VALU_DEP_1)
	v_cvt_f32_f16_e32 v83, v0
.LBB331_819:                            ;   in Loop: Header=BB331_483 Depth=1
	s_or_b32 exec_lo, exec_lo, s13
.LBB331_820:                            ;   in Loop: Header=BB331_483 Depth=1
	s_delay_alu instid0(SALU_CYCLE_1)
	s_or_b32 exec_lo, exec_lo, s12
.LBB331_821:                            ;   in Loop: Header=BB331_483 Depth=1
	s_delay_alu instid0(SALU_CYCLE_1) | instskip(SKIP_2) | instid1(VALU_DEP_1)
	s_or_b32 exec_lo, exec_lo, s10
	v_lshrrev_b16 v0, 8, v11
	s_mov_b32 s10, exec_lo
	v_cmpx_ne_u16_e32 0, v0
	s_cbranch_execz .LBB331_829
; %bb.822:                              ;   in Loop: Header=BB331_483 Depth=1
	v_bfrev_b32_e32 v84, 1
	s_mov_b32 s12, exec_lo
	v_cmpx_ne_u16_e32 0x80, v0
	s_cbranch_execz .LBB331_828
; %bb.823:                              ;   in Loop: Header=BB331_483 Depth=1
	v_and_b32_e32 v13, 0xffff, v0
	v_mov_b32_e32 v84, 0x7fc02000
	s_mov_b32 s13, exec_lo
	s_delay_alu instid0(VALU_DEP_2) | instskip(NEXT) | instid1(VALU_DEP_1)
	v_and_b32_e32 v85, 0x7f, v13
	v_cmpx_ne_u32_e32 0x7f, v85
	s_cbranch_execz .LBB331_827
; %bb.824:                              ;   in Loop: Header=BB331_483 Depth=1
	v_and_b32_e32 v0, 7, v13
	v_lshrrev_b32_e32 v14, 3, v85
	s_mov_b32 s15, exec_lo
	v_cmpx_gt_u32_e32 8, v85
; %bb.825:                              ;   in Loop: Header=BB331_483 Depth=1
	s_delay_alu instid0(VALU_DEP_3) | instskip(NEXT) | instid1(VALU_DEP_1)
	v_clz_i32_u32_e32 v14, v0
	v_min_u32_e32 v14, 32, v14
	s_delay_alu instid0(VALU_DEP_1) | instskip(SKIP_1) | instid1(VALU_DEP_2)
	v_subrev_nc_u32_e32 v84, 28, v14
	v_sub_nc_u32_e32 v14, 29, v14
	v_lshlrev_b64 v[84:85], v84, v[0:1]
	s_delay_alu instid0(VALU_DEP_1)
	v_and_b32_e32 v0, 7, v84
; %bb.826:                              ;   in Loop: Header=BB331_483 Depth=1
	s_or_b32 exec_lo, exec_lo, s15
	v_lshlrev_b32_e32 v13, 8, v13
	v_lshl_add_u32 v14, v14, 10, 0x2000
	s_delay_alu instid0(VALU_DEP_1) | instskip(NEXT) | instid1(VALU_DEP_1)
	v_and_or_b32 v13, 0x8000, v13, v14
	v_lshl_or_b32 v0, v0, 7, v13
	s_delay_alu instid0(VALU_DEP_1)
	v_cvt_f32_f16_e32 v84, v0
.LBB331_827:                            ;   in Loop: Header=BB331_483 Depth=1
	s_or_b32 exec_lo, exec_lo, s13
.LBB331_828:                            ;   in Loop: Header=BB331_483 Depth=1
	s_delay_alu instid0(SALU_CYCLE_1)
	s_or_b32 exec_lo, exec_lo, s12
.LBB331_829:                            ;   in Loop: Header=BB331_483 Depth=1
	s_delay_alu instid0(SALU_CYCLE_1) | instskip(SKIP_3) | instid1(VALU_DEP_2)
	s_or_b32 exec_lo, exec_lo, s10
	v_lshrrev_b32_e32 v13, 16, v11
	v_mov_b32_e32 v86, 0
	s_mov_b32 s10, exec_lo
	v_dual_mov_b32 v85, 0 :: v_dual_and_b32 v0, 0xff, v13
	s_delay_alu instid0(VALU_DEP_1)
	v_cmpx_ne_u16_e32 0, v0
	s_cbranch_execz .LBB331_837
; %bb.830:                              ;   in Loop: Header=BB331_483 Depth=1
	v_bfrev_b32_e32 v85, 1
	s_mov_b32 s12, exec_lo
	v_cmpx_ne_u16_e32 0x80, v0
	s_cbranch_execz .LBB331_836
; %bb.831:                              ;   in Loop: Header=BB331_483 Depth=1
	v_bfe_u32 v87, v11, 16, 7
	v_mov_b32_e32 v85, 0x7fc02000
	s_mov_b32 s13, exec_lo
	s_delay_alu instid0(VALU_DEP_2)
	v_cmpx_ne_u32_e32 0x7f, v87
	s_cbranch_execz .LBB331_835
; %bb.832:                              ;   in Loop: Header=BB331_483 Depth=1
	v_and_b32_e32 v0, 7, v13
	v_lshrrev_b32_e32 v14, 3, v87
	s_mov_b32 s15, exec_lo
	v_cmpx_gt_u32_e32 8, v87
; %bb.833:                              ;   in Loop: Header=BB331_483 Depth=1
	s_delay_alu instid0(VALU_DEP_3) | instskip(NEXT) | instid1(VALU_DEP_1)
	v_clz_i32_u32_e32 v14, v0
	v_min_u32_e32 v14, 32, v14
	s_delay_alu instid0(VALU_DEP_1) | instskip(SKIP_1) | instid1(VALU_DEP_2)
	v_subrev_nc_u32_e32 v85, 28, v14
	v_sub_nc_u32_e32 v14, 29, v14
	v_lshlrev_b64 v[96:97], v85, v[0:1]
	s_delay_alu instid0(VALU_DEP_1)
	v_and_b32_e32 v0, 7, v96
; %bb.834:                              ;   in Loop: Header=BB331_483 Depth=1
	s_or_b32 exec_lo, exec_lo, s15
	v_lshlrev_b32_e32 v13, 8, v13
	v_lshl_add_u32 v14, v14, 10, 0x2000
	s_delay_alu instid0(VALU_DEP_1) | instskip(NEXT) | instid1(VALU_DEP_1)
	v_and_or_b32 v13, 0x8000, v13, v14
	v_lshl_or_b32 v0, v0, 7, v13
	s_delay_alu instid0(VALU_DEP_1)
	v_cvt_f32_f16_e32 v85, v0
.LBB331_835:                            ;   in Loop: Header=BB331_483 Depth=1
	s_or_b32 exec_lo, exec_lo, s13
.LBB331_836:                            ;   in Loop: Header=BB331_483 Depth=1
	s_delay_alu instid0(SALU_CYCLE_1)
	s_or_b32 exec_lo, exec_lo, s12
.LBB331_837:                            ;   in Loop: Header=BB331_483 Depth=1
	s_delay_alu instid0(SALU_CYCLE_1) | instskip(NEXT) | instid1(SALU_CYCLE_1)
	s_or_b32 exec_lo, exec_lo, s10
	s_mov_b32 s10, exec_lo
	v_cmpx_lt_u32_e32 0xffffff, v11
	s_cbranch_execz .LBB331_845
; %bb.838:                              ;   in Loop: Header=BB331_483 Depth=1
	v_lshrrev_b32_e32 v13, 24, v11
	v_bfrev_b32_e32 v86, 1
	s_mov_b32 s12, exec_lo
	s_delay_alu instid0(VALU_DEP_2)
	v_cmpx_ne_u32_e32 0x80, v13
	s_cbranch_execz .LBB331_844
; %bb.839:                              ;   in Loop: Header=BB331_483 Depth=1
	v_and_b32_e32 v87, 0x7f, v13
	v_mov_b32_e32 v86, 0x7fc02000
	s_mov_b32 s13, exec_lo
	s_delay_alu instid0(VALU_DEP_2)
	v_cmpx_ne_u32_e32 0x7f, v87
	s_cbranch_execz .LBB331_843
; %bb.840:                              ;   in Loop: Header=BB331_483 Depth=1
	v_and_b32_e32 v0, 7, v13
	v_lshrrev_b32_e32 v14, 3, v87
	s_mov_b32 s15, exec_lo
	v_cmpx_gt_u32_e32 8, v87
; %bb.841:                              ;   in Loop: Header=BB331_483 Depth=1
	s_delay_alu instid0(VALU_DEP_3) | instskip(NEXT) | instid1(VALU_DEP_1)
	v_clz_i32_u32_e32 v14, v0
	v_min_u32_e32 v14, 32, v14
	s_delay_alu instid0(VALU_DEP_1) | instskip(SKIP_1) | instid1(VALU_DEP_2)
	v_subrev_nc_u32_e32 v86, 28, v14
	v_sub_nc_u32_e32 v14, 29, v14
	v_lshlrev_b64 v[86:87], v86, v[0:1]
	s_delay_alu instid0(VALU_DEP_1)
	v_and_b32_e32 v0, 7, v86
; %bb.842:                              ;   in Loop: Header=BB331_483 Depth=1
	s_or_b32 exec_lo, exec_lo, s15
	v_lshlrev_b32_e32 v13, 8, v13
	v_lshl_add_u32 v14, v14, 10, 0x2000
	s_delay_alu instid0(VALU_DEP_1) | instskip(NEXT) | instid1(VALU_DEP_1)
	v_and_or_b32 v13, 0x8000, v13, v14
	v_lshl_or_b32 v0, v0, 7, v13
	s_delay_alu instid0(VALU_DEP_1)
	v_cvt_f32_f16_e32 v86, v0
.LBB331_843:                            ;   in Loop: Header=BB331_483 Depth=1
	s_or_b32 exec_lo, exec_lo, s13
.LBB331_844:                            ;   in Loop: Header=BB331_483 Depth=1
	s_delay_alu instid0(SALU_CYCLE_1)
	s_or_b32 exec_lo, exec_lo, s12
.LBB331_845:                            ;   in Loop: Header=BB331_483 Depth=1
	s_delay_alu instid0(SALU_CYCLE_1) | instskip(SKIP_3) | instid1(VALU_DEP_2)
	s_or_b32 exec_lo, exec_lo, s10
	v_dual_mov_b32 v87, 0 :: v_dual_and_b32 v14, 0xff, v12
	v_dual_mov_b32 v0, v12 :: v_dual_mov_b32 v13, 0
	s_mov_b32 s10, exec_lo
	v_cmpx_ne_u16_e32 0, v14
	s_cbranch_execz .LBB331_853
; %bb.846:                              ;   in Loop: Header=BB331_483 Depth=1
	v_bfrev_b32_e32 v13, 1
	s_mov_b32 s12, exec_lo
	v_cmpx_ne_u16_e32 0x80, v14
	s_cbranch_execz .LBB331_852
; %bb.847:                              ;   in Loop: Header=BB331_483 Depth=1
	v_and_b32_e32 v14, 0x7f, v12
	v_mov_b32_e32 v13, 0x7fc02000
	s_mov_b32 s13, exec_lo
	s_delay_alu instid0(VALU_DEP_2)
	v_cmpx_ne_u32_e32 0x7f, v14
	s_cbranch_execz .LBB331_851
; %bb.848:                              ;   in Loop: Header=BB331_483 Depth=1
	v_lshrrev_b32_e32 v96, 3, v14
	v_cmp_gt_u32_e64 s0, 8, v14
	v_dual_mov_b32 v14, v1 :: v_dual_mov_b32 v13, v0
	s_delay_alu instid0(VALU_DEP_2)
	s_and_saveexec_b32 s15, s0
; %bb.849:                              ;   in Loop: Header=BB331_483 Depth=1
	v_and_b32_e32 v13, 7, v12
	s_delay_alu instid0(VALU_DEP_1) | instskip(NEXT) | instid1(VALU_DEP_1)
	v_clz_i32_u32_e32 v13, v13
	v_min_u32_e32 v96, 32, v13
	s_delay_alu instid0(VALU_DEP_1) | instskip(SKIP_1) | instid1(VALU_DEP_2)
	v_subrev_nc_u32_e32 v13, 28, v96
	v_sub_nc_u32_e32 v96, 29, v96
	v_lshlrev_b64 v[13:14], v13, v[0:1]
; %bb.850:                              ;   in Loop: Header=BB331_483 Depth=1
	s_or_b32 exec_lo, exec_lo, s15
	v_lshlrev_b32_e32 v14, 8, v12
	s_delay_alu instid0(VALU_DEP_3) | instskip(NEXT) | instid1(VALU_DEP_3)
	v_lshl_add_u32 v96, v96, 10, 0x2000
	v_lshlrev_b32_e32 v13, 7, v13
	s_delay_alu instid0(VALU_DEP_2) | instskip(NEXT) | instid1(VALU_DEP_1)
	v_and_or_b32 v14, 0x8000, v14, v96
	v_and_or_b32 v13, 0x380, v13, v14
	s_delay_alu instid0(VALU_DEP_1)
	v_cvt_f32_f16_e32 v13, v13
.LBB331_851:                            ;   in Loop: Header=BB331_483 Depth=1
	s_or_b32 exec_lo, exec_lo, s13
.LBB331_852:                            ;   in Loop: Header=BB331_483 Depth=1
	s_delay_alu instid0(SALU_CYCLE_1)
	s_or_b32 exec_lo, exec_lo, s12
.LBB331_853:                            ;   in Loop: Header=BB331_483 Depth=1
	s_delay_alu instid0(SALU_CYCLE_1) | instskip(SKIP_2) | instid1(VALU_DEP_1)
	s_or_b32 exec_lo, exec_lo, s10
	v_lshrrev_b16 v0, 8, v0
	s_mov_b32 s10, exec_lo
	v_cmpx_ne_u16_e32 0, v0
	s_cbranch_execz .LBB331_861
; %bb.854:                              ;   in Loop: Header=BB331_483 Depth=1
	v_bfrev_b32_e32 v87, 1
	s_mov_b32 s12, exec_lo
	v_cmpx_ne_u16_e32 0x80, v0
	s_cbranch_execz .LBB331_860
; %bb.855:                              ;   in Loop: Header=BB331_483 Depth=1
	v_and_b32_e32 v14, 0xffff, v0
	v_mov_b32_e32 v87, 0x7fc02000
	s_mov_b32 s13, exec_lo
	s_delay_alu instid0(VALU_DEP_2) | instskip(NEXT) | instid1(VALU_DEP_1)
	v_and_b32_e32 v96, 0x7f, v14
	v_cmpx_ne_u32_e32 0x7f, v96
	s_cbranch_execz .LBB331_859
; %bb.856:                              ;   in Loop: Header=BB331_483 Depth=1
	v_and_b32_e32 v0, 7, v14
	v_lshrrev_b32_e32 v87, 3, v96
	s_mov_b32 s15, exec_lo
	v_cmpx_gt_u32_e32 8, v96
; %bb.857:                              ;   in Loop: Header=BB331_483 Depth=1
	s_delay_alu instid0(VALU_DEP_3) | instskip(NEXT) | instid1(VALU_DEP_1)
	v_clz_i32_u32_e32 v87, v0
	v_min_u32_e32 v87, 32, v87
	s_delay_alu instid0(VALU_DEP_1) | instskip(SKIP_1) | instid1(VALU_DEP_2)
	v_subrev_nc_u32_e32 v96, 28, v87
	v_sub_nc_u32_e32 v87, 29, v87
	v_lshlrev_b64 v[96:97], v96, v[0:1]
	s_delay_alu instid0(VALU_DEP_1)
	v_and_b32_e32 v0, 7, v96
; %bb.858:                              ;   in Loop: Header=BB331_483 Depth=1
	s_or_b32 exec_lo, exec_lo, s15
	v_lshlrev_b32_e32 v14, 8, v14
	v_lshl_add_u32 v87, v87, 10, 0x2000
	s_delay_alu instid0(VALU_DEP_1) | instskip(NEXT) | instid1(VALU_DEP_1)
	v_and_or_b32 v14, 0x8000, v14, v87
	v_lshl_or_b32 v0, v0, 7, v14
	s_delay_alu instid0(VALU_DEP_1)
	v_cvt_f32_f16_e32 v87, v0
.LBB331_859:                            ;   in Loop: Header=BB331_483 Depth=1
	s_or_b32 exec_lo, exec_lo, s13
.LBB331_860:                            ;   in Loop: Header=BB331_483 Depth=1
	s_delay_alu instid0(SALU_CYCLE_1)
	s_or_b32 exec_lo, exec_lo, s12
.LBB331_861:                            ;   in Loop: Header=BB331_483 Depth=1
	s_delay_alu instid0(SALU_CYCLE_1) | instskip(SKIP_4) | instid1(VALU_DEP_3)
	s_or_b32 exec_lo, exec_lo, s10
	v_lshrrev_b32_e32 v97, 16, v12
	v_mov_b32_e32 v96, 0
	v_mov_b32_e32 v14, 0
	s_mov_b32 s10, exec_lo
	v_and_b32_e32 v0, 0xff, v97
	s_delay_alu instid0(VALU_DEP_1)
	v_cmpx_ne_u16_e32 0, v0
	s_cbranch_execz .LBB331_869
; %bb.862:                              ;   in Loop: Header=BB331_483 Depth=1
	v_bfrev_b32_e32 v14, 1
	s_mov_b32 s12, exec_lo
	v_cmpx_ne_u16_e32 0x80, v0
	s_cbranch_execz .LBB331_868
; %bb.863:                              ;   in Loop: Header=BB331_483 Depth=1
	v_bfe_u32 v98, v12, 16, 7
	v_mov_b32_e32 v14, 0x7fc02000
	s_mov_b32 s13, exec_lo
	s_delay_alu instid0(VALU_DEP_2)
	v_cmpx_ne_u32_e32 0x7f, v98
	s_cbranch_execz .LBB331_867
; %bb.864:                              ;   in Loop: Header=BB331_483 Depth=1
	v_and_b32_e32 v0, 7, v97
	v_lshrrev_b32_e32 v14, 3, v98
	s_mov_b32 s15, exec_lo
	v_cmpx_gt_u32_e32 8, v98
; %bb.865:                              ;   in Loop: Header=BB331_483 Depth=1
	s_delay_alu instid0(VALU_DEP_3) | instskip(NEXT) | instid1(VALU_DEP_1)
	v_clz_i32_u32_e32 v14, v0
	v_min_u32_e32 v14, 32, v14
	s_delay_alu instid0(VALU_DEP_1) | instskip(SKIP_1) | instid1(VALU_DEP_2)
	v_subrev_nc_u32_e32 v98, 28, v14
	v_sub_nc_u32_e32 v14, 29, v14
	v_lshlrev_b64 v[98:99], v98, v[0:1]
	s_delay_alu instid0(VALU_DEP_1)
	v_and_b32_e32 v0, 7, v98
; %bb.866:                              ;   in Loop: Header=BB331_483 Depth=1
	s_or_b32 exec_lo, exec_lo, s15
	v_lshlrev_b32_e32 v97, 8, v97
	v_lshl_add_u32 v14, v14, 10, 0x2000
	s_delay_alu instid0(VALU_DEP_1) | instskip(NEXT) | instid1(VALU_DEP_1)
	v_and_or_b32 v14, 0x8000, v97, v14
	v_lshl_or_b32 v0, v0, 7, v14
	s_delay_alu instid0(VALU_DEP_1)
	v_cvt_f32_f16_e32 v14, v0
.LBB331_867:                            ;   in Loop: Header=BB331_483 Depth=1
	s_or_b32 exec_lo, exec_lo, s13
.LBB331_868:                            ;   in Loop: Header=BB331_483 Depth=1
	s_delay_alu instid0(SALU_CYCLE_1)
	s_or_b32 exec_lo, exec_lo, s12
.LBB331_869:                            ;   in Loop: Header=BB331_483 Depth=1
	s_delay_alu instid0(SALU_CYCLE_1) | instskip(NEXT) | instid1(SALU_CYCLE_1)
	s_or_b32 exec_lo, exec_lo, s10
	s_mov_b32 s10, exec_lo
	v_cmpx_lt_u64_e64 s[8:9], v[11:12]
	s_cbranch_execz .LBB331_877
; %bb.870:                              ;   in Loop: Header=BB331_483 Depth=1
	v_lshrrev_b32_e32 v11, 24, v12
	v_bfrev_b32_e32 v96, 1
	s_mov_b32 s12, exec_lo
	s_delay_alu instid0(VALU_DEP_2)
	v_cmpx_ne_u32_e32 0x80, v11
	s_cbranch_execz .LBB331_876
; %bb.871:                              ;   in Loop: Header=BB331_483 Depth=1
	v_and_b32_e32 v97, 0x7f, v11
	v_mov_b32_e32 v96, 0x7fc02000
	s_mov_b32 s13, exec_lo
	s_delay_alu instid0(VALU_DEP_2)
	v_cmpx_ne_u32_e32 0x7f, v97
	s_cbranch_execz .LBB331_875
; %bb.872:                              ;   in Loop: Header=BB331_483 Depth=1
	v_and_b32_e32 v0, 7, v11
	v_lshrrev_b32_e32 v12, 3, v97
	s_mov_b32 s15, exec_lo
	v_cmpx_gt_u32_e32 8, v97
; %bb.873:                              ;   in Loop: Header=BB331_483 Depth=1
	s_delay_alu instid0(VALU_DEP_3) | instskip(NEXT) | instid1(VALU_DEP_1)
	v_clz_i32_u32_e32 v12, v0
	v_min_u32_e32 v12, 32, v12
	s_delay_alu instid0(VALU_DEP_1) | instskip(SKIP_1) | instid1(VALU_DEP_2)
	v_subrev_nc_u32_e32 v96, 28, v12
	v_sub_nc_u32_e32 v12, 29, v12
	v_lshlrev_b64 v[96:97], v96, v[0:1]
	s_delay_alu instid0(VALU_DEP_1)
	v_and_b32_e32 v0, 7, v96
; %bb.874:                              ;   in Loop: Header=BB331_483 Depth=1
	s_or_b32 exec_lo, exec_lo, s15
	v_lshlrev_b32_e32 v11, 8, v11
	v_lshl_add_u32 v12, v12, 10, 0x2000
	s_delay_alu instid0(VALU_DEP_1) | instskip(NEXT) | instid1(VALU_DEP_1)
	v_and_or_b32 v11, 0x8000, v11, v12
	v_lshl_or_b32 v0, v0, 7, v11
	s_delay_alu instid0(VALU_DEP_1)
	v_cvt_f32_f16_e32 v96, v0
.LBB331_875:                            ;   in Loop: Header=BB331_483 Depth=1
	s_or_b32 exec_lo, exec_lo, s13
.LBB331_876:                            ;   in Loop: Header=BB331_483 Depth=1
	s_delay_alu instid0(SALU_CYCLE_1)
	s_or_b32 exec_lo, exec_lo, s12
.LBB331_877:                            ;   in Loop: Header=BB331_483 Depth=1
	s_delay_alu instid0(SALU_CYCLE_1)
	s_or_b32 exec_lo, exec_lo, s10
	s_waitcnt vmcnt(0) lgkmcnt(0)
	v_fma_mixlo_f16 v12, v82, v84, 0
	v_fma_mixlo_f16 v0, v82, v86, 0
	v_fma_mixlo_f16 v11, v82, v85, 0
	v_fma_mixlo_f16 v83, v82, v83, 0
	v_fma_mixlo_f16 v85, v82, v87, 0
	v_lshlrev_b32_e32 v84, 16, v12
	v_fma_mixlo_f16 v13, v82, v13, 0
	v_fma_mixlo_f16 v86, v82, v96, 0
	;; [unrolled: 1-line block ×3, first 2 shown]
	v_lshlrev_b32_e32 v0, 16, v0
	v_and_b32_e32 v11, 0xffff, v11
	v_and_b32_e32 v14, 0xffff, v83
	v_lshlrev_b32_e32 v82, 16, v85
	v_and_b32_e32 v83, 0xffff, v13
	v_lshlrev_b32_e32 v85, 16, v86
	v_and_b32_e32 v86, 0xffff, v12
	v_or_b32_e32 v13, v0, v11
	v_or_b32_e32 v14, v84, v14
	;; [unrolled: 1-line block ×3, first 2 shown]
	s_delay_alu instid0(VALU_DEP_4)
	v_or_b32_e32 v11, v85, v86
	s_and_saveexec_b32 s10, vcc_lo
	s_cbranch_execz .LBB331_879
; %bb.878:                              ;   in Loop: Header=BB331_483 Depth=1
	v_cmp_lt_i32_e64 s0, v15, v33
	v_lshrrev_b32_e32 v82, 16, v14
	v_lshrrev_b32_e32 v83, 16, v13
	v_lshrrev_b32_e32 v84, 16, v0
	v_lshrrev_b32_e32 v11, 16, v11
	v_cndmask_b32_e64 v14, 0, v14, s0
	v_cmp_lt_i32_e64 s0, v51, v37
	s_delay_alu instid0(VALU_DEP_1) | instskip(SKIP_1) | instid1(VALU_DEP_2)
	v_cndmask_b32_e64 v82, 0, v82, s0
	v_cmp_lt_i32_e64 s0, v50, v37
	v_perm_b32 v14, v82, v14, 0x5040100
	s_delay_alu instid0(VALU_DEP_2) | instskip(SKIP_1) | instid1(VALU_DEP_1)
	v_cndmask_b32_e64 v83, 0, v83, s0
	v_cmp_lt_i32_e64 s0, v49, v33
	v_cndmask_b32_e64 v13, 0, v13, s0
	v_cmp_lt_i32_e64 s0, v48, v37
	s_delay_alu instid0(VALU_DEP_2) | instskip(NEXT) | instid1(VALU_DEP_2)
	v_perm_b32 v13, v83, v13, 0x5040100
	v_cndmask_b32_e64 v84, 0, v84, s0
	v_cmp_lt_i32_e64 s0, v38, v33
	s_delay_alu instid0(VALU_DEP_1) | instskip(SKIP_1) | instid1(VALU_DEP_2)
	v_cndmask_b32_e64 v0, 0, v0, s0
	v_cmp_lt_i32_e64 s0, v23, v37
	v_perm_b32 v0, v84, v0, 0x5040100
	s_delay_alu instid0(VALU_DEP_2) | instskip(SKIP_1) | instid1(VALU_DEP_1)
	v_cndmask_b32_e64 v11, 0, v11, s0
	v_cmp_lt_i32_e64 s0, v17, v33
	v_cndmask_b32_e64 v12, 0, v12, s0
	s_delay_alu instid0(VALU_DEP_1)
	v_perm_b32 v11, v11, v12, 0x5040100
.LBB331_879:                            ;   in Loop: Header=BB331_483 Depth=1
	s_or_b32 exec_lo, exec_lo, s10
	;;#ASMSTART
	v_pk_mul_f16 v12, v55, v14;

	;;#ASMEND
	;;#ASMSTART
	v_pk_mul_f16 v13, v54, v13;

	;;#ASMEND
	;; [unrolled: 4-line block ×4, first 2 shown]
	;;#ASMSTART
	v_pk_add_f16 v12, v12, v13;

	;;#ASMEND
	;;#ASMSTART
	v_pk_add_f16 v0, v12, v0;

	;;#ASMEND
	;;#ASMSTART
	v_pk_add_f16 v0, v0, v11;

	;;#ASMEND
	v_dual_mov_b32 v84, 0 :: v_dual_and_b32 v11, 0xffff, v0
	v_lshrrev_b32_e32 v0, 16, v0
	;;#ASMSTART
	v_cvt_f32_f16 v13, v11;
	;;#ASMEND
	;;#ASMSTART
	v_cvt_f32_f16 v14, v0;
	;;#ASMEND
	flat_load_b64 v[9:10], v[9:10] offset:1536
	flat_load_b32 v82, v[26:27]
	s_mov_b32 s10, exec_lo
	s_waitcnt vmcnt(1) lgkmcnt(1)
	v_dual_mov_b32 v83, 0 :: v_dual_and_b32 v0, 0xff, v9
	s_delay_alu instid0(VALU_DEP_1)
	v_cmpx_ne_u16_e32 0, v0
	s_cbranch_execz .LBB331_887
; %bb.880:                              ;   in Loop: Header=BB331_483 Depth=1
	v_bfrev_b32_e32 v83, 1
	s_mov_b32 s12, exec_lo
	v_cmpx_ne_u16_e32 0x80, v0
	s_cbranch_execz .LBB331_886
; %bb.881:                              ;   in Loop: Header=BB331_483 Depth=1
	v_and_b32_e32 v11, 0x7f, v9
	v_mov_b32_e32 v83, 0x7fc02000
	s_mov_b32 s13, exec_lo
	s_delay_alu instid0(VALU_DEP_2)
	v_cmpx_ne_u32_e32 0x7f, v11
	s_cbranch_execz .LBB331_885
; %bb.882:                              ;   in Loop: Header=BB331_483 Depth=1
	v_lshrrev_b32_e32 v0, 3, v11
	v_cmp_gt_u32_e64 s0, 8, v11
	v_dual_mov_b32 v12, v10 :: v_dual_mov_b32 v11, v9
	s_delay_alu instid0(VALU_DEP_2)
	s_and_saveexec_b32 s15, s0
; %bb.883:                              ;   in Loop: Header=BB331_483 Depth=1
	v_and_b32_e32 v0, 7, v9
	s_delay_alu instid0(VALU_DEP_1) | instskip(NEXT) | instid1(VALU_DEP_1)
	v_clz_i32_u32_e32 v0, v0
	v_min_u32_e32 v0, 32, v0
	s_delay_alu instid0(VALU_DEP_1) | instskip(SKIP_1) | instid1(VALU_DEP_2)
	v_subrev_nc_u32_e32 v11, 28, v0
	v_sub_nc_u32_e32 v0, 29, v0
	v_lshlrev_b64 v[11:12], v11, v[9:10]
; %bb.884:                              ;   in Loop: Header=BB331_483 Depth=1
	s_or_b32 exec_lo, exec_lo, s15
	v_lshlrev_b32_e32 v12, 8, v9
	s_delay_alu instid0(VALU_DEP_3) | instskip(NEXT) | instid1(VALU_DEP_3)
	v_lshl_add_u32 v0, v0, 10, 0x2000
	v_lshlrev_b32_e32 v11, 7, v11
	s_delay_alu instid0(VALU_DEP_2) | instskip(NEXT) | instid1(VALU_DEP_1)
	v_and_or_b32 v0, 0x8000, v12, v0
	v_and_or_b32 v0, 0x380, v11, v0
	s_delay_alu instid0(VALU_DEP_1)
	v_cvt_f32_f16_e32 v83, v0
.LBB331_885:                            ;   in Loop: Header=BB331_483 Depth=1
	s_or_b32 exec_lo, exec_lo, s13
.LBB331_886:                            ;   in Loop: Header=BB331_483 Depth=1
	s_delay_alu instid0(SALU_CYCLE_1)
	s_or_b32 exec_lo, exec_lo, s12
.LBB331_887:                            ;   in Loop: Header=BB331_483 Depth=1
	s_delay_alu instid0(SALU_CYCLE_1) | instskip(SKIP_2) | instid1(VALU_DEP_1)
	s_or_b32 exec_lo, exec_lo, s10
	v_lshrrev_b16 v0, 8, v9
	s_mov_b32 s10, exec_lo
	v_cmpx_ne_u16_e32 0, v0
	s_cbranch_execz .LBB331_895
; %bb.888:                              ;   in Loop: Header=BB331_483 Depth=1
	v_bfrev_b32_e32 v84, 1
	s_mov_b32 s12, exec_lo
	v_cmpx_ne_u16_e32 0x80, v0
	s_cbranch_execz .LBB331_894
; %bb.889:                              ;   in Loop: Header=BB331_483 Depth=1
	v_and_b32_e32 v11, 0xffff, v0
	v_mov_b32_e32 v84, 0x7fc02000
	s_mov_b32 s13, exec_lo
	s_delay_alu instid0(VALU_DEP_2) | instskip(NEXT) | instid1(VALU_DEP_1)
	v_and_b32_e32 v85, 0x7f, v11
	v_cmpx_ne_u32_e32 0x7f, v85
	s_cbranch_execz .LBB331_893
; %bb.890:                              ;   in Loop: Header=BB331_483 Depth=1
	v_and_b32_e32 v0, 7, v11
	v_lshrrev_b32_e32 v12, 3, v85
	s_mov_b32 s15, exec_lo
	v_cmpx_gt_u32_e32 8, v85
; %bb.891:                              ;   in Loop: Header=BB331_483 Depth=1
	s_delay_alu instid0(VALU_DEP_3) | instskip(NEXT) | instid1(VALU_DEP_1)
	v_clz_i32_u32_e32 v12, v0
	v_min_u32_e32 v12, 32, v12
	s_delay_alu instid0(VALU_DEP_1) | instskip(SKIP_1) | instid1(VALU_DEP_2)
	v_subrev_nc_u32_e32 v84, 28, v12
	v_sub_nc_u32_e32 v12, 29, v12
	v_lshlrev_b64 v[84:85], v84, v[0:1]
	s_delay_alu instid0(VALU_DEP_1)
	v_and_b32_e32 v0, 7, v84
; %bb.892:                              ;   in Loop: Header=BB331_483 Depth=1
	s_or_b32 exec_lo, exec_lo, s15
	v_lshlrev_b32_e32 v11, 8, v11
	v_lshl_add_u32 v12, v12, 10, 0x2000
	s_delay_alu instid0(VALU_DEP_1) | instskip(NEXT) | instid1(VALU_DEP_1)
	v_and_or_b32 v11, 0x8000, v11, v12
	v_lshl_or_b32 v0, v0, 7, v11
	s_delay_alu instid0(VALU_DEP_1)
	v_cvt_f32_f16_e32 v84, v0
.LBB331_893:                            ;   in Loop: Header=BB331_483 Depth=1
	s_or_b32 exec_lo, exec_lo, s13
.LBB331_894:                            ;   in Loop: Header=BB331_483 Depth=1
	s_delay_alu instid0(SALU_CYCLE_1)
	s_or_b32 exec_lo, exec_lo, s12
.LBB331_895:                            ;   in Loop: Header=BB331_483 Depth=1
	s_delay_alu instid0(SALU_CYCLE_1) | instskip(SKIP_3) | instid1(VALU_DEP_2)
	s_or_b32 exec_lo, exec_lo, s10
	v_lshrrev_b32_e32 v11, 16, v9
	v_mov_b32_e32 v86, 0
	s_mov_b32 s10, exec_lo
	v_dual_mov_b32 v85, 0 :: v_dual_and_b32 v0, 0xff, v11
	s_delay_alu instid0(VALU_DEP_1)
	v_cmpx_ne_u16_e32 0, v0
	s_cbranch_execz .LBB331_903
; %bb.896:                              ;   in Loop: Header=BB331_483 Depth=1
	v_bfrev_b32_e32 v85, 1
	s_mov_b32 s12, exec_lo
	v_cmpx_ne_u16_e32 0x80, v0
	s_cbranch_execz .LBB331_902
; %bb.897:                              ;   in Loop: Header=BB331_483 Depth=1
	v_bfe_u32 v87, v9, 16, 7
	v_mov_b32_e32 v85, 0x7fc02000
	s_mov_b32 s13, exec_lo
	s_delay_alu instid0(VALU_DEP_2)
	v_cmpx_ne_u32_e32 0x7f, v87
	s_cbranch_execz .LBB331_901
; %bb.898:                              ;   in Loop: Header=BB331_483 Depth=1
	v_and_b32_e32 v0, 7, v11
	v_lshrrev_b32_e32 v12, 3, v87
	s_mov_b32 s15, exec_lo
	v_cmpx_gt_u32_e32 8, v87
; %bb.899:                              ;   in Loop: Header=BB331_483 Depth=1
	s_delay_alu instid0(VALU_DEP_3) | instskip(NEXT) | instid1(VALU_DEP_1)
	v_clz_i32_u32_e32 v12, v0
	v_min_u32_e32 v12, 32, v12
	s_delay_alu instid0(VALU_DEP_1) | instskip(SKIP_1) | instid1(VALU_DEP_2)
	v_subrev_nc_u32_e32 v85, 28, v12
	v_sub_nc_u32_e32 v12, 29, v12
	v_lshlrev_b64 v[96:97], v85, v[0:1]
	s_delay_alu instid0(VALU_DEP_1)
	v_and_b32_e32 v0, 7, v96
; %bb.900:                              ;   in Loop: Header=BB331_483 Depth=1
	s_or_b32 exec_lo, exec_lo, s15
	v_lshlrev_b32_e32 v11, 8, v11
	v_lshl_add_u32 v12, v12, 10, 0x2000
	s_delay_alu instid0(VALU_DEP_1) | instskip(NEXT) | instid1(VALU_DEP_1)
	v_and_or_b32 v11, 0x8000, v11, v12
	v_lshl_or_b32 v0, v0, 7, v11
	s_delay_alu instid0(VALU_DEP_1)
	v_cvt_f32_f16_e32 v85, v0
.LBB331_901:                            ;   in Loop: Header=BB331_483 Depth=1
	s_or_b32 exec_lo, exec_lo, s13
.LBB331_902:                            ;   in Loop: Header=BB331_483 Depth=1
	s_delay_alu instid0(SALU_CYCLE_1)
	s_or_b32 exec_lo, exec_lo, s12
.LBB331_903:                            ;   in Loop: Header=BB331_483 Depth=1
	s_delay_alu instid0(SALU_CYCLE_1) | instskip(NEXT) | instid1(SALU_CYCLE_1)
	s_or_b32 exec_lo, exec_lo, s10
	s_mov_b32 s10, exec_lo
	v_cmpx_lt_u32_e32 0xffffff, v9
	s_cbranch_execz .LBB331_911
; %bb.904:                              ;   in Loop: Header=BB331_483 Depth=1
	v_lshrrev_b32_e32 v11, 24, v9
	v_bfrev_b32_e32 v86, 1
	s_mov_b32 s12, exec_lo
	s_delay_alu instid0(VALU_DEP_2)
	v_cmpx_ne_u32_e32 0x80, v11
	s_cbranch_execz .LBB331_910
; %bb.905:                              ;   in Loop: Header=BB331_483 Depth=1
	v_and_b32_e32 v87, 0x7f, v11
	v_mov_b32_e32 v86, 0x7fc02000
	s_mov_b32 s13, exec_lo
	s_delay_alu instid0(VALU_DEP_2)
	v_cmpx_ne_u32_e32 0x7f, v87
	s_cbranch_execz .LBB331_909
; %bb.906:                              ;   in Loop: Header=BB331_483 Depth=1
	v_and_b32_e32 v0, 7, v11
	v_lshrrev_b32_e32 v12, 3, v87
	s_mov_b32 s15, exec_lo
	v_cmpx_gt_u32_e32 8, v87
; %bb.907:                              ;   in Loop: Header=BB331_483 Depth=1
	s_delay_alu instid0(VALU_DEP_3) | instskip(NEXT) | instid1(VALU_DEP_1)
	v_clz_i32_u32_e32 v12, v0
	v_min_u32_e32 v12, 32, v12
	s_delay_alu instid0(VALU_DEP_1) | instskip(SKIP_1) | instid1(VALU_DEP_2)
	v_subrev_nc_u32_e32 v86, 28, v12
	v_sub_nc_u32_e32 v12, 29, v12
	v_lshlrev_b64 v[86:87], v86, v[0:1]
	s_delay_alu instid0(VALU_DEP_1)
	v_and_b32_e32 v0, 7, v86
; %bb.908:                              ;   in Loop: Header=BB331_483 Depth=1
	s_or_b32 exec_lo, exec_lo, s15
	v_lshlrev_b32_e32 v11, 8, v11
	v_lshl_add_u32 v12, v12, 10, 0x2000
	s_delay_alu instid0(VALU_DEP_1) | instskip(NEXT) | instid1(VALU_DEP_1)
	v_and_or_b32 v11, 0x8000, v11, v12
	v_lshl_or_b32 v0, v0, 7, v11
	s_delay_alu instid0(VALU_DEP_1)
	v_cvt_f32_f16_e32 v86, v0
.LBB331_909:                            ;   in Loop: Header=BB331_483 Depth=1
	s_or_b32 exec_lo, exec_lo, s13
.LBB331_910:                            ;   in Loop: Header=BB331_483 Depth=1
	s_delay_alu instid0(SALU_CYCLE_1)
	s_or_b32 exec_lo, exec_lo, s12
.LBB331_911:                            ;   in Loop: Header=BB331_483 Depth=1
	s_delay_alu instid0(SALU_CYCLE_1) | instskip(SKIP_3) | instid1(VALU_DEP_2)
	s_or_b32 exec_lo, exec_lo, s10
	v_dual_mov_b32 v87, 0 :: v_dual_and_b32 v12, 0xff, v10
	v_dual_mov_b32 v0, v10 :: v_dual_mov_b32 v11, 0
	s_mov_b32 s10, exec_lo
	v_cmpx_ne_u16_e32 0, v12
	s_cbranch_execz .LBB331_919
; %bb.912:                              ;   in Loop: Header=BB331_483 Depth=1
	v_bfrev_b32_e32 v11, 1
	s_mov_b32 s12, exec_lo
	v_cmpx_ne_u16_e32 0x80, v12
	s_cbranch_execz .LBB331_918
; %bb.913:                              ;   in Loop: Header=BB331_483 Depth=1
	v_and_b32_e32 v12, 0x7f, v10
	v_mov_b32_e32 v11, 0x7fc02000
	s_mov_b32 s13, exec_lo
	s_delay_alu instid0(VALU_DEP_2)
	v_cmpx_ne_u32_e32 0x7f, v12
	s_cbranch_execz .LBB331_917
; %bb.914:                              ;   in Loop: Header=BB331_483 Depth=1
	v_lshrrev_b32_e32 v96, 3, v12
	v_cmp_gt_u32_e64 s0, 8, v12
	v_dual_mov_b32 v12, v1 :: v_dual_mov_b32 v11, v0
	s_delay_alu instid0(VALU_DEP_2)
	s_and_saveexec_b32 s15, s0
; %bb.915:                              ;   in Loop: Header=BB331_483 Depth=1
	v_and_b32_e32 v11, 7, v10
	s_delay_alu instid0(VALU_DEP_1) | instskip(NEXT) | instid1(VALU_DEP_1)
	v_clz_i32_u32_e32 v11, v11
	v_min_u32_e32 v96, 32, v11
	s_delay_alu instid0(VALU_DEP_1) | instskip(SKIP_1) | instid1(VALU_DEP_2)
	v_subrev_nc_u32_e32 v11, 28, v96
	v_sub_nc_u32_e32 v96, 29, v96
	v_lshlrev_b64 v[11:12], v11, v[0:1]
; %bb.916:                              ;   in Loop: Header=BB331_483 Depth=1
	s_or_b32 exec_lo, exec_lo, s15
	v_lshlrev_b32_e32 v12, 8, v10
	s_delay_alu instid0(VALU_DEP_3) | instskip(NEXT) | instid1(VALU_DEP_3)
	v_lshl_add_u32 v96, v96, 10, 0x2000
	v_lshlrev_b32_e32 v11, 7, v11
	s_delay_alu instid0(VALU_DEP_2) | instskip(NEXT) | instid1(VALU_DEP_1)
	v_and_or_b32 v12, 0x8000, v12, v96
	v_and_or_b32 v11, 0x380, v11, v12
	s_delay_alu instid0(VALU_DEP_1)
	v_cvt_f32_f16_e32 v11, v11
.LBB331_917:                            ;   in Loop: Header=BB331_483 Depth=1
	s_or_b32 exec_lo, exec_lo, s13
.LBB331_918:                            ;   in Loop: Header=BB331_483 Depth=1
	s_delay_alu instid0(SALU_CYCLE_1)
	s_or_b32 exec_lo, exec_lo, s12
.LBB331_919:                            ;   in Loop: Header=BB331_483 Depth=1
	s_delay_alu instid0(SALU_CYCLE_1) | instskip(SKIP_2) | instid1(VALU_DEP_1)
	s_or_b32 exec_lo, exec_lo, s10
	v_lshrrev_b16 v0, 8, v0
	s_mov_b32 s10, exec_lo
	v_cmpx_ne_u16_e32 0, v0
	s_cbranch_execz .LBB331_927
; %bb.920:                              ;   in Loop: Header=BB331_483 Depth=1
	v_bfrev_b32_e32 v87, 1
	s_mov_b32 s12, exec_lo
	v_cmpx_ne_u16_e32 0x80, v0
	s_cbranch_execz .LBB331_926
; %bb.921:                              ;   in Loop: Header=BB331_483 Depth=1
	v_and_b32_e32 v12, 0xffff, v0
	v_mov_b32_e32 v87, 0x7fc02000
	s_mov_b32 s13, exec_lo
	s_delay_alu instid0(VALU_DEP_2) | instskip(NEXT) | instid1(VALU_DEP_1)
	v_and_b32_e32 v96, 0x7f, v12
	v_cmpx_ne_u32_e32 0x7f, v96
	s_cbranch_execz .LBB331_925
; %bb.922:                              ;   in Loop: Header=BB331_483 Depth=1
	v_and_b32_e32 v0, 7, v12
	v_lshrrev_b32_e32 v87, 3, v96
	s_mov_b32 s15, exec_lo
	v_cmpx_gt_u32_e32 8, v96
; %bb.923:                              ;   in Loop: Header=BB331_483 Depth=1
	s_delay_alu instid0(VALU_DEP_3) | instskip(NEXT) | instid1(VALU_DEP_1)
	v_clz_i32_u32_e32 v87, v0
	v_min_u32_e32 v87, 32, v87
	s_delay_alu instid0(VALU_DEP_1) | instskip(SKIP_1) | instid1(VALU_DEP_2)
	v_subrev_nc_u32_e32 v96, 28, v87
	v_sub_nc_u32_e32 v87, 29, v87
	v_lshlrev_b64 v[96:97], v96, v[0:1]
	s_delay_alu instid0(VALU_DEP_1)
	v_and_b32_e32 v0, 7, v96
; %bb.924:                              ;   in Loop: Header=BB331_483 Depth=1
	s_or_b32 exec_lo, exec_lo, s15
	v_lshlrev_b32_e32 v12, 8, v12
	v_lshl_add_u32 v87, v87, 10, 0x2000
	s_delay_alu instid0(VALU_DEP_1) | instskip(NEXT) | instid1(VALU_DEP_1)
	v_and_or_b32 v12, 0x8000, v12, v87
	v_lshl_or_b32 v0, v0, 7, v12
	s_delay_alu instid0(VALU_DEP_1)
	v_cvt_f32_f16_e32 v87, v0
.LBB331_925:                            ;   in Loop: Header=BB331_483 Depth=1
	s_or_b32 exec_lo, exec_lo, s13
.LBB331_926:                            ;   in Loop: Header=BB331_483 Depth=1
	s_delay_alu instid0(SALU_CYCLE_1)
	s_or_b32 exec_lo, exec_lo, s12
.LBB331_927:                            ;   in Loop: Header=BB331_483 Depth=1
	s_delay_alu instid0(SALU_CYCLE_1) | instskip(SKIP_4) | instid1(VALU_DEP_3)
	s_or_b32 exec_lo, exec_lo, s10
	v_lshrrev_b32_e32 v97, 16, v10
	v_mov_b32_e32 v96, 0
	v_mov_b32_e32 v12, 0
	s_mov_b32 s10, exec_lo
	v_and_b32_e32 v0, 0xff, v97
	s_delay_alu instid0(VALU_DEP_1)
	v_cmpx_ne_u16_e32 0, v0
	s_cbranch_execz .LBB331_935
; %bb.928:                              ;   in Loop: Header=BB331_483 Depth=1
	v_bfrev_b32_e32 v12, 1
	s_mov_b32 s12, exec_lo
	v_cmpx_ne_u16_e32 0x80, v0
	s_cbranch_execz .LBB331_934
; %bb.929:                              ;   in Loop: Header=BB331_483 Depth=1
	v_bfe_u32 v98, v10, 16, 7
	v_mov_b32_e32 v12, 0x7fc02000
	s_mov_b32 s13, exec_lo
	s_delay_alu instid0(VALU_DEP_2)
	v_cmpx_ne_u32_e32 0x7f, v98
	s_cbranch_execz .LBB331_933
; %bb.930:                              ;   in Loop: Header=BB331_483 Depth=1
	v_and_b32_e32 v0, 7, v97
	v_lshrrev_b32_e32 v12, 3, v98
	s_mov_b32 s15, exec_lo
	v_cmpx_gt_u32_e32 8, v98
; %bb.931:                              ;   in Loop: Header=BB331_483 Depth=1
	s_delay_alu instid0(VALU_DEP_3) | instskip(NEXT) | instid1(VALU_DEP_1)
	v_clz_i32_u32_e32 v12, v0
	v_min_u32_e32 v12, 32, v12
	s_delay_alu instid0(VALU_DEP_1) | instskip(SKIP_1) | instid1(VALU_DEP_2)
	v_subrev_nc_u32_e32 v98, 28, v12
	v_sub_nc_u32_e32 v12, 29, v12
	v_lshlrev_b64 v[98:99], v98, v[0:1]
	s_delay_alu instid0(VALU_DEP_1)
	v_and_b32_e32 v0, 7, v98
; %bb.932:                              ;   in Loop: Header=BB331_483 Depth=1
	s_or_b32 exec_lo, exec_lo, s15
	v_lshlrev_b32_e32 v97, 8, v97
	v_lshl_add_u32 v12, v12, 10, 0x2000
	s_delay_alu instid0(VALU_DEP_1) | instskip(NEXT) | instid1(VALU_DEP_1)
	v_and_or_b32 v12, 0x8000, v97, v12
	v_lshl_or_b32 v0, v0, 7, v12
	s_delay_alu instid0(VALU_DEP_1)
	v_cvt_f32_f16_e32 v12, v0
.LBB331_933:                            ;   in Loop: Header=BB331_483 Depth=1
	s_or_b32 exec_lo, exec_lo, s13
.LBB331_934:                            ;   in Loop: Header=BB331_483 Depth=1
	s_delay_alu instid0(SALU_CYCLE_1)
	s_or_b32 exec_lo, exec_lo, s12
.LBB331_935:                            ;   in Loop: Header=BB331_483 Depth=1
	s_delay_alu instid0(SALU_CYCLE_1) | instskip(NEXT) | instid1(SALU_CYCLE_1)
	s_or_b32 exec_lo, exec_lo, s10
	s_mov_b32 s10, exec_lo
	v_cmpx_lt_u64_e64 s[8:9], v[9:10]
	s_cbranch_execz .LBB331_943
; %bb.936:                              ;   in Loop: Header=BB331_483 Depth=1
	v_lshrrev_b32_e32 v9, 24, v10
	v_bfrev_b32_e32 v96, 1
	s_mov_b32 s12, exec_lo
	s_delay_alu instid0(VALU_DEP_2)
	v_cmpx_ne_u32_e32 0x80, v9
	s_cbranch_execz .LBB331_942
; %bb.937:                              ;   in Loop: Header=BB331_483 Depth=1
	v_and_b32_e32 v97, 0x7f, v9
	v_mov_b32_e32 v96, 0x7fc02000
	s_mov_b32 s13, exec_lo
	s_delay_alu instid0(VALU_DEP_2)
	v_cmpx_ne_u32_e32 0x7f, v97
	s_cbranch_execz .LBB331_941
; %bb.938:                              ;   in Loop: Header=BB331_483 Depth=1
	v_and_b32_e32 v0, 7, v9
	v_lshrrev_b32_e32 v10, 3, v97
	s_mov_b32 s15, exec_lo
	v_cmpx_gt_u32_e32 8, v97
; %bb.939:                              ;   in Loop: Header=BB331_483 Depth=1
	s_delay_alu instid0(VALU_DEP_3) | instskip(NEXT) | instid1(VALU_DEP_1)
	v_clz_i32_u32_e32 v10, v0
	v_min_u32_e32 v10, 32, v10
	s_delay_alu instid0(VALU_DEP_1) | instskip(SKIP_1) | instid1(VALU_DEP_2)
	v_subrev_nc_u32_e32 v96, 28, v10
	v_sub_nc_u32_e32 v10, 29, v10
	v_lshlrev_b64 v[96:97], v96, v[0:1]
	s_delay_alu instid0(VALU_DEP_1)
	v_and_b32_e32 v0, 7, v96
; %bb.940:                              ;   in Loop: Header=BB331_483 Depth=1
	s_or_b32 exec_lo, exec_lo, s15
	v_lshlrev_b32_e32 v9, 8, v9
	v_lshl_add_u32 v10, v10, 10, 0x2000
	s_delay_alu instid0(VALU_DEP_1) | instskip(NEXT) | instid1(VALU_DEP_1)
	v_and_or_b32 v9, 0x8000, v9, v10
	v_lshl_or_b32 v0, v0, 7, v9
	s_delay_alu instid0(VALU_DEP_1)
	v_cvt_f32_f16_e32 v96, v0
.LBB331_941:                            ;   in Loop: Header=BB331_483 Depth=1
	s_or_b32 exec_lo, exec_lo, s13
.LBB331_942:                            ;   in Loop: Header=BB331_483 Depth=1
	s_delay_alu instid0(SALU_CYCLE_1)
	s_or_b32 exec_lo, exec_lo, s12
.LBB331_943:                            ;   in Loop: Header=BB331_483 Depth=1
	s_delay_alu instid0(SALU_CYCLE_1)
	s_or_b32 exec_lo, exec_lo, s10
	s_waitcnt vmcnt(0) lgkmcnt(0)
	v_fma_mixlo_f16 v10, v82, v84, 0
	v_fma_mixlo_f16 v0, v82, v86, 0
	;; [unrolled: 1-line block ×5, first 2 shown]
	v_lshlrev_b32_e32 v84, 16, v10
	v_fma_mixlo_f16 v10, v82, v83, 0
	v_fma_mixlo_f16 v83, v82, v87, 0
	;; [unrolled: 1-line block ×3, first 2 shown]
	v_lshlrev_b32_e32 v0, 16, v0
	v_and_b32_e32 v9, 0xffff, v9
	v_and_b32_e32 v12, 0xffff, v10
	v_lshlrev_b32_e32 v82, 16, v83
	v_and_b32_e32 v83, 0xffff, v85
	v_lshlrev_b32_e32 v85, 16, v86
	v_and_b32_e32 v86, 0xffff, v11
	v_or_b32_e32 v10, v0, v9
	v_or_b32_e32 v12, v84, v12
	;; [unrolled: 1-line block ×3, first 2 shown]
	s_delay_alu instid0(VALU_DEP_4)
	v_or_b32_e32 v9, v85, v86
	s_and_saveexec_b32 s0, vcc_lo
	s_cbranch_execz .LBB331_482
; %bb.944:                              ;   in Loop: Header=BB331_483 Depth=1
	v_cmp_lt_i32_e32 vcc_lo, v15, v33
	v_lshrrev_b32_e32 v82, 16, v12
	v_lshrrev_b32_e32 v83, 16, v10
	;; [unrolled: 1-line block ×3, first 2 shown]
	v_cndmask_b32_e32 v12, 0, v12, vcc_lo
	v_cmp_lt_i32_e32 vcc_lo, v51, v37
	v_cndmask_b32_e32 v51, 0, v82, vcc_lo
	v_cmp_lt_i32_e32 vcc_lo, v50, v37
	v_lshrrev_b32_e32 v82, 16, v0
	s_delay_alu instid0(VALU_DEP_3)
	v_perm_b32 v12, v51, v12, 0x5040100
	v_cndmask_b32_e32 v50, 0, v83, vcc_lo
	v_cmp_lt_i32_e32 vcc_lo, v49, v33
	v_cndmask_b32_e32 v10, 0, v10, vcc_lo
	v_cmp_lt_i32_e32 vcc_lo, v48, v37
	;; [unrolled: 2-line block ×4, first 2 shown]
	s_delay_alu instid0(VALU_DEP_2) | instskip(SKIP_4) | instid1(VALU_DEP_2)
	v_perm_b32 v0, v48, v0, 0x5040100
	v_cndmask_b32_e32 v9, 0, v9, vcc_lo
	v_cmp_lt_i32_e32 vcc_lo, v17, v33
	v_cndmask_b32_e32 v11, 0, v11, vcc_lo
	v_perm_b32 v10, v50, v10, 0x5040100
	v_perm_b32 v9, v9, v11, 0x5040100
	s_branch .LBB331_482
.LBB331_945:
	s_or_b32 exec_lo, exec_lo, s5
	v_dual_mov_b32 v0, s6 :: v_dual_mov_b32 v1, s7
.LBB331_946:
	s_or_b32 exec_lo, exec_lo, s3
	s_delay_alu instid0(VALU_DEP_1)
	v_lshlrev_b64 v[0:1], 2, v[0:1]
	s_getpc_b64 s[6:7]
	s_add_u32 s6, s6, llvm.amdgcn.dynlds.offset.table@rel32@lo+4
	s_addc_u32 s7, s7, llvm.amdgcn.dynlds.offset.table@rel32@hi+12
	s_waitcnt lgkmcnt(0)
	s_waitcnt_vscnt null, 0x0
	s_barrier
	buffer_gl0_inv
	ds_bpermute_b32 v2, v19, v29
	v_add_co_u32 v0, vcc_lo, v0, s6
	v_add_co_ci_u32_e32 v1, vcc_lo, s7, v1, vcc_lo
	ds_bpermute_b32 v3, v19, v28
	ds_bpermute_b32 v11, v19, v25
	;; [unrolled: 1-line block ×3, first 2 shown]
	global_load_b32 v10, v[0:1], off
	ds_bpermute_b32 v0, v19, v20
	ds_bpermute_b32 v1, v19, v39
	;; [unrolled: 1-line block ×3, first 2 shown]
	v_and_b32_e32 v6, 0x3c1, v31
	v_lshrrev_b32_e32 v9, 1, v18
	s_waitcnt lgkmcnt(5)
	v_add_f32_e32 v3, v28, v3
	s_waitcnt lgkmcnt(1)
	v_dual_add_f32 v8, v20, v0 :: v_dual_add_f32 v7, v39, v1
	v_cmp_eq_u32_e32 vcc_lo, 64, v6
	v_add_f32_e32 v6, v29, v2
	v_dual_add_f32 v2, v25, v11 :: v_dual_add_f32 v1, v24, v12
	s_waitcnt lgkmcnt(0)
	v_add_f32_e32 v0, v21, v13
	v_lshlrev_b32_e32 v11, 2, v9
	s_waitcnt vmcnt(0)
	v_mad_u32_u24 v10, 0x1c0, v34, v10
	s_and_saveexec_b32 s0, vcc_lo
	s_cbranch_execz .LBB331_948
; %bb.947:
	s_delay_alu instid0(VALU_DEP_1)
	v_add3_u32 v12, v10, v11, 0xfffffc80
	ds_store_2addr_b32 v12, v8, v7 offset1:16
	ds_store_2addr_b32 v12, v6, v3 offset0:32 offset1:48
	ds_store_2addr_b32 v12, v2, v1 offset0:64 offset1:80
	ds_store_b32 v12, v0 offset:384
.LBB331_948:
	s_or_b32 exec_lo, exec_lo, s0
	v_cmp_eq_u32_e32 vcc_lo, 0, v32
	s_mov_b32 s3, exec_lo
	s_waitcnt lgkmcnt(0)
	s_barrier
	buffer_gl0_inv
	v_cmpx_gt_u32_e32 64, v31
	s_cbranch_execz .LBB331_958
; %bb.949:
	s_and_saveexec_b32 s0, vcc_lo
	s_cbranch_execnz .LBB331_973
; %bb.950:
	s_or_b32 exec_lo, exec_lo, s0
	s_and_saveexec_b32 s0, vcc_lo
	s_cbranch_execnz .LBB331_974
.LBB331_951:
	s_or_b32 exec_lo, exec_lo, s0
	s_and_saveexec_b32 s0, vcc_lo
	s_cbranch_execnz .LBB331_975
.LBB331_952:
	s_or_b32 exec_lo, exec_lo, s0
	s_and_saveexec_b32 s0, vcc_lo
	s_cbranch_execnz .LBB331_976
.LBB331_953:
	s_or_b32 exec_lo, exec_lo, s0
	s_and_saveexec_b32 s0, vcc_lo
	s_cbranch_execnz .LBB331_977
.LBB331_954:
	s_or_b32 exec_lo, exec_lo, s0
	s_and_saveexec_b32 s0, vcc_lo
	s_cbranch_execnz .LBB331_978
.LBB331_955:
	s_or_b32 exec_lo, exec_lo, s0
	s_and_saveexec_b32 s0, vcc_lo
	s_cbranch_execz .LBB331_957
.LBB331_956:
	v_lshl_add_u32 v12, v9, 2, v10
	ds_load_b32 v12, v12 offset:384
	s_waitcnt lgkmcnt(0)
	v_add_f32_e32 v0, v0, v12
.LBB331_957:
	s_or_b32 exec_lo, exec_lo, s0
.LBB331_958:
	s_delay_alu instid0(SALU_CYCLE_1)
	s_or_b32 exec_lo, exec_lo, s3
	v_and_b32_e32 v12, 0x3e1, v31
	s_mov_b32 s3, exec_lo
	s_barrier
	buffer_gl0_inv
	v_cmpx_eq_u32_e32 32, v12
	s_cbranch_execz .LBB331_960
; %bb.959:
	v_add3_u32 v11, v10, v11, 0xfffffe40
	ds_store_2addr_b32 v11, v8, v7 offset1:16
	ds_store_2addr_b32 v11, v6, v3 offset0:32 offset1:48
	ds_store_2addr_b32 v11, v2, v1 offset0:64 offset1:80
	ds_store_b32 v11, v0 offset:384
.LBB331_960:
	s_or_b32 exec_lo, exec_lo, s3
	s_delay_alu instid0(SALU_CYCLE_1)
	s_mov_b32 s3, exec_lo
	s_waitcnt lgkmcnt(0)
	s_barrier
	buffer_gl0_inv
	v_cmpx_gt_u32_e32 32, v31
	s_cbranch_execz .LBB331_970
; %bb.961:
	v_lshl_add_u32 v9, v9, 2, v10
	s_and_saveexec_b32 s0, vcc_lo
	s_cbranch_execnz .LBB331_979
; %bb.962:
	s_or_b32 exec_lo, exec_lo, s0
	s_and_saveexec_b32 s0, vcc_lo
	s_cbranch_execnz .LBB331_980
.LBB331_963:
	s_or_b32 exec_lo, exec_lo, s0
	s_and_saveexec_b32 s0, vcc_lo
	s_cbranch_execnz .LBB331_981
.LBB331_964:
	s_or_b32 exec_lo, exec_lo, s0
	s_and_saveexec_b32 s0, vcc_lo
	s_cbranch_execnz .LBB331_982
.LBB331_965:
	s_or_b32 exec_lo, exec_lo, s0
	s_and_saveexec_b32 s0, vcc_lo
	s_cbranch_execnz .LBB331_983
.LBB331_966:
	s_or_b32 exec_lo, exec_lo, s0
	s_and_saveexec_b32 s0, vcc_lo
	s_cbranch_execnz .LBB331_984
.LBB331_967:
	s_or_b32 exec_lo, exec_lo, s0
	s_and_saveexec_b32 s0, vcc_lo
	s_cbranch_execz .LBB331_969
.LBB331_968:
	ds_load_b32 v9, v9 offset:384
	s_waitcnt lgkmcnt(0)
	v_add_f32_e32 v0, v0, v9
.LBB331_969:
	s_or_b32 exec_lo, exec_lo, s0
.LBB331_970:
	s_delay_alu instid0(SALU_CYCLE_1)
	s_or_b32 exec_lo, exec_lo, s3
	v_cmp_eq_u32_e32 vcc_lo, 0, v12
	s_barrier
	buffer_gl0_inv
	s_and_b32 exec_lo, exec_lo, vcc_lo
	s_cbranch_execz .LBB331_972
; %bb.971:
	s_mul_i32 s0, s2, 0x70
	s_mul_i32 s2, s4, s1
	s_mul_i32 s4, s14, 0x70
	s_ashr_i32 s3, s2, 31
	s_ashr_i32 s5, s4, 31
	;; [unrolled: 1-line block ×3, first 2 shown]
	s_lshl_b64 s[2:3], s[2:3], 1
	s_lshl_b64 s[4:5], s[4:5], 1
	;; [unrolled: 1-line block ×3, first 2 shown]
	s_add_u32 s2, s4, s2
	s_addc_u32 s3, s5, s3
	s_add_u32 s0, s2, s0
	s_addc_u32 s1, s3, s1
	v_lshlrev_b32_e32 v9, 1, v30
	v_add_co_u32 v4, vcc_lo, s0, v4
	v_add_co_ci_u32_e32 v5, vcc_lo, s1, v5, vcc_lo
	;;#ASMSTART
	v_cvt_f16_f32 v8, v8;

	;;#ASMEND
	s_delay_alu instid0(VALU_DEP_2) | instskip(NEXT) | instid1(VALU_DEP_2)
	v_add_co_u32 v4, vcc_lo, v4, v9
	v_add_co_ci_u32_e32 v5, vcc_lo, 0, v5, vcc_lo
	flat_store_b16 v[4:5], v8
	;;#ASMSTART
	v_cvt_f16_f32 v7, v7;

	;;#ASMEND
	flat_store_b16 v[4:5], v7 offset:32
	;;#ASMSTART
	v_cvt_f16_f32 v6, v6;

	;;#ASMEND
	flat_store_b16 v[4:5], v6 offset:64
	;; [unrolled: 5-line block ×6, first 2 shown]
.LBB331_972:
	s_or_b32 exec_lo, exec_lo, s11
	s_waitcnt lgkmcnt(0)
	s_setpc_b64 s[30:31]
.LBB331_973:
	v_lshl_add_u32 v12, v9, 2, v10
	ds_load_b32 v12, v12
	s_waitcnt lgkmcnt(0)
	v_add_f32_e32 v8, v8, v12
	s_or_b32 exec_lo, exec_lo, s0
	s_and_saveexec_b32 s0, vcc_lo
	s_cbranch_execz .LBB331_951
.LBB331_974:
	v_lshl_add_u32 v12, v9, 2, v10
	ds_load_b32 v12, v12 offset:64
	s_waitcnt lgkmcnt(0)
	v_add_f32_e32 v7, v7, v12
	s_or_b32 exec_lo, exec_lo, s0
	s_and_saveexec_b32 s0, vcc_lo
	s_cbranch_execz .LBB331_952
.LBB331_975:
	v_lshl_add_u32 v12, v9, 2, v10
	ds_load_b32 v12, v12 offset:128
	s_waitcnt lgkmcnt(0)
	v_add_f32_e32 v6, v6, v12
	s_or_b32 exec_lo, exec_lo, s0
	s_and_saveexec_b32 s0, vcc_lo
	s_cbranch_execz .LBB331_953
.LBB331_976:
	v_lshl_add_u32 v12, v9, 2, v10
	ds_load_b32 v12, v12 offset:192
	s_waitcnt lgkmcnt(0)
	v_add_f32_e32 v3, v3, v12
	s_or_b32 exec_lo, exec_lo, s0
	s_and_saveexec_b32 s0, vcc_lo
	s_cbranch_execz .LBB331_954
.LBB331_977:
	v_lshl_add_u32 v12, v9, 2, v10
	ds_load_b32 v12, v12 offset:256
	s_waitcnt lgkmcnt(0)
	v_add_f32_e32 v2, v2, v12
	s_or_b32 exec_lo, exec_lo, s0
	s_and_saveexec_b32 s0, vcc_lo
	s_cbranch_execz .LBB331_955
.LBB331_978:
	v_lshl_add_u32 v12, v9, 2, v10
	ds_load_b32 v12, v12 offset:320
	s_waitcnt lgkmcnt(0)
	v_add_f32_e32 v1, v1, v12
	s_or_b32 exec_lo, exec_lo, s0
	s_and_saveexec_b32 s0, vcc_lo
	s_cbranch_execnz .LBB331_956
	s_branch .LBB331_957
.LBB331_979:
	ds_load_b32 v10, v9
	s_waitcnt lgkmcnt(0)
	v_add_f32_e32 v8, v8, v10
	s_or_b32 exec_lo, exec_lo, s0
	s_and_saveexec_b32 s0, vcc_lo
	s_cbranch_execz .LBB331_963
.LBB331_980:
	ds_load_b32 v10, v9 offset:64
	s_waitcnt lgkmcnt(0)
	v_add_f32_e32 v7, v7, v10
	s_or_b32 exec_lo, exec_lo, s0
	s_and_saveexec_b32 s0, vcc_lo
	s_cbranch_execz .LBB331_964
.LBB331_981:
	ds_load_b32 v10, v9 offset:128
	s_waitcnt lgkmcnt(0)
	v_add_f32_e32 v6, v6, v10
	s_or_b32 exec_lo, exec_lo, s0
	s_and_saveexec_b32 s0, vcc_lo
	s_cbranch_execz .LBB331_965
.LBB331_982:
	ds_load_b32 v10, v9 offset:192
	s_waitcnt lgkmcnt(0)
	v_add_f32_e32 v3, v3, v10
	s_or_b32 exec_lo, exec_lo, s0
	s_and_saveexec_b32 s0, vcc_lo
	s_cbranch_execz .LBB331_966
.LBB331_983:
	ds_load_b32 v10, v9 offset:256
	s_waitcnt lgkmcnt(0)
	v_add_f32_e32 v2, v2, v10
	s_or_b32 exec_lo, exec_lo, s0
	s_and_saveexec_b32 s0, vcc_lo
	s_cbranch_execz .LBB331_967
.LBB331_984:
	ds_load_b32 v10, v9 offset:320
	s_waitcnt lgkmcnt(0)
	v_add_f32_e32 v1, v1, v10
	s_or_b32 exec_lo, exec_lo, s0
	s_and_saveexec_b32 s0, vcc_lo
	s_cbranch_execnz .LBB331_968
	s_branch .LBB331_969
.Lfunc_end331:
	.size	_ZN4vllm22paged_attention_kernelIthLi112ELi16ELi128ELNS_18Fp8KVCacheDataTypeE1ELb0ELi512EEEvPfS2_PT_PKS3_PKT0_S9_ifPKiSB_iPKfiiiSD_SD_iiiii, .Lfunc_end331-_ZN4vllm22paged_attention_kernelIthLi112ELi16ELi128ELNS_18Fp8KVCacheDataTypeE1ELb0ELi512EEEvPfS2_PT_PKS3_PKT0_S9_ifPKiSB_iPKfiiiSD_SD_iiiii
                                        ; -- End function
	.section	.AMDGPU.csdata,"",@progbits
; Function info:
; codeLenInByte = 36852
; NumSgprs: 34
; NumVgprs: 182
; ScratchSize: 0
; MemoryBound: 0
	.section	.text._ZN4vllm25paged_attention_v2_kernelIthLi112ELi16ELi128ELNS_18Fp8KVCacheDataTypeE1ELb0ELi512EEEvPfS2_PT_PKS3_PKT0_S9_ifPKiSB_iPKfiiiSD_SD_iiiii,"axG",@progbits,_ZN4vllm25paged_attention_v2_kernelIthLi112ELi16ELi128ELNS_18Fp8KVCacheDataTypeE1ELb0ELi512EEEvPfS2_PT_PKS3_PKT0_S9_ifPKiSB_iPKfiiiSD_SD_iiiii,comdat
	.protected	_ZN4vllm25paged_attention_v2_kernelIthLi112ELi16ELi128ELNS_18Fp8KVCacheDataTypeE1ELb0ELi512EEEvPfS2_PT_PKS3_PKT0_S9_ifPKiSB_iPKfiiiSD_SD_iiiii ; -- Begin function _ZN4vllm25paged_attention_v2_kernelIthLi112ELi16ELi128ELNS_18Fp8KVCacheDataTypeE1ELb0ELi512EEEvPfS2_PT_PKS3_PKT0_S9_ifPKiSB_iPKfiiiSD_SD_iiiii
	.globl	_ZN4vllm25paged_attention_v2_kernelIthLi112ELi16ELi128ELNS_18Fp8KVCacheDataTypeE1ELb0ELi512EEEvPfS2_PT_PKS3_PKT0_S9_ifPKiSB_iPKfiiiSD_SD_iiiii
	.p2align	8
	.type	_ZN4vllm25paged_attention_v2_kernelIthLi112ELi16ELi128ELNS_18Fp8KVCacheDataTypeE1ELb0ELi512EEEvPfS2_PT_PKS3_PKT0_S9_ifPKiSB_iPKfiiiSD_SD_iiiii,@function
_ZN4vllm25paged_attention_v2_kernelIthLi112ELi16ELi128ELNS_18Fp8KVCacheDataTypeE1ELb0ELi512EEEvPfS2_PT_PKS3_PKT0_S9_ifPKiSB_iPKfiiiSD_SD_iiiii: ; @_ZN4vllm25paged_attention_v2_kernelIthLi112ELi16ELi128ELNS_18Fp8KVCacheDataTypeE1ELb0ELi512EEEvPfS2_PT_PKS3_PKT0_S9_ifPKiSB_iPKfiiiSD_SD_iiiii
; %bb.0:
	s_clause 0x5
	s_load_b256 s[24:31], s[0:1], 0x0
	s_load_b256 s[16:23], s[0:1], 0x20
	s_load_b64 s[2:3], s[0:1], 0x40
	s_load_b64 s[4:5], s[0:1], 0x50
	s_load_b32 s6, s[0:1], 0x48
	s_load_b256 s[36:43], s[0:1], 0x58
	v_mov_b32_e32 v31, v0
	s_add_u32 s8, s0, 0x90
	s_mov_b32 s12, s13
	s_addc_u32 s9, s1, 0
	s_mov_b32 s13, s14
	s_mov_b32 s14, s15
	s_movk_i32 s15, 0x53
	s_mov_b32 s32, 0
	s_getpc_b64 s[0:1]
	s_add_u32 s0, s0, _ZN4vllm22paged_attention_kernelIthLi112ELi16ELi128ELNS_18Fp8KVCacheDataTypeE1ELb0ELi512EEEvPfS2_PT_PKS3_PKT0_S9_ifPKiSB_iPKfiiiSD_SD_iiiii@rel32@lo+4
	s_addc_u32 s1, s1, _ZN4vllm22paged_attention_kernelIthLi112ELi16ELi128ELNS_18Fp8KVCacheDataTypeE1ELb0ELi512EEEvPfS2_PT_PKS3_PKT0_S9_ifPKiSB_iPKfiiiSD_SD_iiiii@rel32@hi+12
	s_waitcnt lgkmcnt(0)
	v_dual_mov_b32 v0, s24 :: v_dual_mov_b32 v1, s25
	v_dual_mov_b32 v2, s26 :: v_dual_mov_b32 v3, s27
	;; [unrolled: 1-line block ×14, first 2 shown]
	s_swappc_b64 s[30:31], s[0:1]
	s_endpgm
	.section	.rodata,"a",@progbits
	.p2align	6, 0x0
	.amdhsa_kernel _ZN4vllm25paged_attention_v2_kernelIthLi112ELi16ELi128ELNS_18Fp8KVCacheDataTypeE1ELb0ELi512EEEvPfS2_PT_PKS3_PKT0_S9_ifPKiSB_iPKfiiiSD_SD_iiiii
		.amdhsa_group_segment_fixed_size 256
		.amdhsa_private_segment_fixed_size 0
		.amdhsa_kernarg_size 400
		.amdhsa_user_sgpr_count 13
		.amdhsa_user_sgpr_dispatch_ptr 0
		.amdhsa_user_sgpr_queue_ptr 0
		.amdhsa_user_sgpr_kernarg_segment_ptr 1
		.amdhsa_user_sgpr_dispatch_id 0
		.amdhsa_user_sgpr_private_segment_size 0
		.amdhsa_wavefront_size32 1
		.amdhsa_uses_dynamic_stack 0
		.amdhsa_enable_private_segment 0
		.amdhsa_system_sgpr_workgroup_id_x 1
		.amdhsa_system_sgpr_workgroup_id_y 1
		.amdhsa_system_sgpr_workgroup_id_z 1
		.amdhsa_system_sgpr_workgroup_info 0
		.amdhsa_system_vgpr_workitem_id 0
		.amdhsa_next_free_vgpr 182
		.amdhsa_next_free_sgpr 44
		.amdhsa_reserve_vcc 1
		.amdhsa_float_round_mode_32 0
		.amdhsa_float_round_mode_16_64 0
		.amdhsa_float_denorm_mode_32 3
		.amdhsa_float_denorm_mode_16_64 3
		.amdhsa_dx10_clamp 1
		.amdhsa_ieee_mode 1
		.amdhsa_fp16_overflow 0
		.amdhsa_workgroup_processor_mode 1
		.amdhsa_memory_ordered 1
		.amdhsa_forward_progress 0
		.amdhsa_shared_vgpr_count 0
		.amdhsa_exception_fp_ieee_invalid_op 0
		.amdhsa_exception_fp_denorm_src 0
		.amdhsa_exception_fp_ieee_div_zero 0
		.amdhsa_exception_fp_ieee_overflow 0
		.amdhsa_exception_fp_ieee_underflow 0
		.amdhsa_exception_fp_ieee_inexact 0
		.amdhsa_exception_int_div_zero 0
	.end_amdhsa_kernel
	.section	.text._ZN4vllm25paged_attention_v2_kernelIthLi112ELi16ELi128ELNS_18Fp8KVCacheDataTypeE1ELb0ELi512EEEvPfS2_PT_PKS3_PKT0_S9_ifPKiSB_iPKfiiiSD_SD_iiiii,"axG",@progbits,_ZN4vllm25paged_attention_v2_kernelIthLi112ELi16ELi128ELNS_18Fp8KVCacheDataTypeE1ELb0ELi512EEEvPfS2_PT_PKS3_PKT0_S9_ifPKiSB_iPKfiiiSD_SD_iiiii,comdat
.Lfunc_end332:
	.size	_ZN4vllm25paged_attention_v2_kernelIthLi112ELi16ELi128ELNS_18Fp8KVCacheDataTypeE1ELb0ELi512EEEvPfS2_PT_PKS3_PKT0_S9_ifPKiSB_iPKfiiiSD_SD_iiiii, .Lfunc_end332-_ZN4vllm25paged_attention_v2_kernelIthLi112ELi16ELi128ELNS_18Fp8KVCacheDataTypeE1ELb0ELi512EEEvPfS2_PT_PKS3_PKT0_S9_ifPKiSB_iPKfiiiSD_SD_iiiii
                                        ; -- End function
	.section	.AMDGPU.csdata,"",@progbits
; Kernel info:
; codeLenInByte = 232
; NumSgprs: 46
; NumVgprs: 182
; ScratchSize: 0
; MemoryBound: 0
; FloatMode: 240
; IeeeMode: 1
; LDSByteSize: 256 bytes/workgroup (compile time only)
; SGPRBlocks: 5
; VGPRBlocks: 22
; NumSGPRsForWavesPerEU: 46
; NumVGPRsForWavesPerEU: 182
; Occupancy: 8
; WaveLimiterHint : 1
; COMPUTE_PGM_RSRC2:SCRATCH_EN: 0
; COMPUTE_PGM_RSRC2:USER_SGPR: 13
; COMPUTE_PGM_RSRC2:TRAP_HANDLER: 0
; COMPUTE_PGM_RSRC2:TGID_X_EN: 1
; COMPUTE_PGM_RSRC2:TGID_Y_EN: 1
; COMPUTE_PGM_RSRC2:TGID_Z_EN: 1
; COMPUTE_PGM_RSRC2:TIDIG_COMP_CNT: 0
	.text
	.p2align	2                               ; -- Begin function _ZN4vllm22paged_attention_kernelIthLi120ELi16ELi128ELNS_18Fp8KVCacheDataTypeE1ELb0ELi512EEEvPfS2_PT_PKS3_PKT0_S9_ifPKiSB_iPKfiiiSD_SD_iiiii
	.type	_ZN4vllm22paged_attention_kernelIthLi120ELi16ELi128ELNS_18Fp8KVCacheDataTypeE1ELb0ELi512EEEvPfS2_PT_PKS3_PKT0_S9_ifPKiSB_iPKfiiiSD_SD_iiiii,@function
_ZN4vllm22paged_attention_kernelIthLi120ELi16ELi128ELNS_18Fp8KVCacheDataTypeE1ELb0ELi512EEEvPfS2_PT_PKS3_PKT0_S9_ifPKiSB_iPKfiiiSD_SD_iiiii: ; @_ZN4vllm22paged_attention_kernelIthLi120ELi16ELi128ELNS_18Fp8KVCacheDataTypeE1ELb0ELi512EEEvPfS2_PT_PKS3_PKT0_S9_ifPKiSB_iPKfiiiSD_SD_iiiii
; %bb.0:
	s_waitcnt vmcnt(0) expcnt(0) lgkmcnt(0)
	s_clause 0x1
	scratch_store_b32 off, v40, s32 offset:4
	; meta instruction
	scratch_store_b32 off, v41, s32
	s_mov_b32 s10, s13
	s_ashr_i32 s11, s13, 31
	s_lshl_b32 s16, s14, 9
	s_lshl_b64 s[0:1], s[10:11], 2
	s_mov_b32 s11, exec_lo
	v_add_co_u32 v16, vcc_lo, v16, s0
	v_add_co_ci_u32_e32 v17, vcc_lo, s1, v17, vcc_lo
	flat_load_b32 v32, v[16:17]
	s_waitcnt vmcnt(0) lgkmcnt(0)
	v_cmpx_lt_i32_e64 s16, v32
	s_cbranch_execz .LBB333_1097
; %bb.1:
	v_sub_nc_u32_e32 v16, 0, v12
	s_clause 0x1
	s_load_b32 s0, s[8:9], 0x10
	s_load_b32 s1, s[8:9], 0x0
	s_mov_b32 s6, s15
	v_mov_b32_e32 v48, 0
	v_max_i32_e32 v16, v12, v16
	s_delay_alu instid0(VALU_DEP_1) | instskip(SKIP_1) | instid1(VALU_DEP_2)
	v_cvt_f32_u32_e32 v17, v16
	v_sub_nc_u32_e32 v28, 0, v16
	v_rcp_iflag_f32_e32 v17, v17
	s_waitcnt lgkmcnt(0)
	s_lshr_b32 s0, s0, 16
	s_delay_alu instid0(SALU_CYCLE_1) | instskip(SKIP_3) | instid1(SALU_CYCLE_1)
	s_cmp_lg_u32 s0, 0
	s_waitcnt_depctr 0xfff
	v_mul_f32_e32 v17, 0x4f7ffffe, v17
	s_cselect_b32 s0, -1, 0
	s_cmp_lg_u32 s0, 0
	s_delay_alu instid0(VALU_DEP_1)
	v_cvt_u32_f32_e32 v17, v17
	s_addc_u32 s15, s1, 0
	s_mov_b32 s1, exec_lo
	s_abs_i32 s0, s15
	v_xor_b32_e32 v12, s15, v12
	v_mul_lo_u32 v28, v28, v17
	s_delay_alu instid0(VALU_DEP_2) | instskip(NEXT) | instid1(VALU_DEP_2)
	v_ashrrev_i32_e32 v12, 31, v12
	v_mul_hi_u32 v28, v17, v28
	s_delay_alu instid0(VALU_DEP_1) | instskip(NEXT) | instid1(VALU_DEP_1)
	v_add_nc_u32_e32 v17, v17, v28
	v_mul_hi_u32 v17, s0, v17
	s_delay_alu instid0(VALU_DEP_1) | instskip(SKIP_1) | instid1(VALU_DEP_2)
	v_mul_lo_u32 v28, v17, v16
	v_add_nc_u32_e32 v29, 1, v17
	v_sub_nc_u32_e32 v28, s0, v28
	s_abs_i32 s0, s12
	s_delay_alu instid0(VALU_DEP_1) | instskip(SKIP_1) | instid1(VALU_DEP_2)
	v_sub_nc_u32_e32 v30, v28, v16
	v_cmp_ge_u32_e32 vcc_lo, v28, v16
	v_dual_cndmask_b32 v17, v17, v29 :: v_dual_cndmask_b32 v28, v28, v30
	s_delay_alu instid0(VALU_DEP_1) | instskip(NEXT) | instid1(VALU_DEP_2)
	v_add_nc_u32_e32 v29, 1, v17
	v_cmp_ge_u32_e32 vcc_lo, v28, v16
	s_delay_alu instid0(VALU_DEP_2) | instskip(NEXT) | instid1(VALU_DEP_1)
	v_cndmask_b32_e32 v16, v17, v29, vcc_lo
	v_xor_b32_e32 v16, v16, v12
	s_delay_alu instid0(VALU_DEP_1) | instskip(NEXT) | instid1(VALU_DEP_1)
	v_sub_nc_u32_e32 v12, v16, v12
	v_sub_nc_u32_e32 v16, 0, v12
	s_delay_alu instid0(VALU_DEP_1) | instskip(NEXT) | instid1(VALU_DEP_1)
	v_max_i32_e32 v28, v12, v16
	v_cvt_f32_u32_e32 v16, v28
	v_sub_nc_u32_e32 v17, 0, v28
	s_delay_alu instid0(VALU_DEP_2) | instskip(SKIP_2) | instid1(VALU_DEP_1)
	v_rcp_iflag_f32_e32 v16, v16
	s_waitcnt_depctr 0xfff
	v_mul_f32_e32 v16, 0x4f7ffffe, v16
	v_cvt_u32_f32_e32 v16, v16
	s_delay_alu instid0(VALU_DEP_1) | instskip(NEXT) | instid1(VALU_DEP_1)
	v_mul_lo_u32 v17, v17, v16
	v_mul_hi_u32 v17, v16, v17
	s_delay_alu instid0(VALU_DEP_1) | instskip(NEXT) | instid1(VALU_DEP_1)
	v_add_nc_u32_e32 v29, v16, v17
	v_mad_u64_u32 v[16:17], null, s0, v29, 0
	v_cmpx_ne_u64_e32 0, v[19:20]
	s_cbranch_execz .LBB333_3
; %bb.2:
	s_ashr_i32 s13, s12, 31
	s_delay_alu instid0(SALU_CYCLE_1) | instskip(NEXT) | instid1(SALU_CYCLE_1)
	s_lshl_b64 s[2:3], s[12:13], 2
	v_add_co_u32 v19, vcc_lo, v19, s2
	v_add_co_ci_u32_e32 v20, vcc_lo, s3, v20, vcc_lo
	flat_load_b32 v48, v[19:20]
.LBB333_3:
	s_or_b32 exec_lo, exec_lo, s1
	v_and_b32_e32 v31, 0x3ff, v31
	v_ashrrev_i32_e32 v16, 31, v12
	s_ashr_i32 s1, s12, 31
	s_mul_i32 s4, s12, 0x78
	s_mov_b32 s2, exec_lo
	v_lshrrev_b32_e32 v30, 1, v31
	v_and_b32_e32 v33, 1, v31
	v_lshlrev_b32_e32 v12, 3, v31
	v_cmpx_gt_u32_e32 30, v31
	s_cbranch_execz .LBB333_5
; %bb.4:
	v_mul_lo_u32 v19, s10, v21
	s_ashr_i32 s5, s4, 31
	s_delay_alu instid0(SALU_CYCLE_1) | instskip(NEXT) | instid1(VALU_DEP_1)
	s_lshl_b64 s[18:19], s[4:5], 1
	v_ashrrev_i32_e32 v20, 31, v19
	s_delay_alu instid0(VALU_DEP_1) | instskip(NEXT) | instid1(VALU_DEP_1)
	v_lshlrev_b64 v[19:20], 1, v[19:20]
	v_add_co_u32 v6, vcc_lo, v6, v19
	s_delay_alu instid0(VALU_DEP_2) | instskip(SKIP_1) | instid1(VALU_DEP_3)
	v_add_co_ci_u32_e32 v7, vcc_lo, v7, v20, vcc_lo
	v_lshlrev_b32_e32 v19, 3, v30
	v_add_co_u32 v6, vcc_lo, v6, s18
	s_delay_alu instid0(VALU_DEP_3) | instskip(NEXT) | instid1(VALU_DEP_3)
	v_add_co_ci_u32_e32 v7, vcc_lo, s19, v7, vcc_lo
	v_mad_u32_u24 v19, 0x78, v33, v19
	s_delay_alu instid0(VALU_DEP_3) | instskip(NEXT) | instid1(VALU_DEP_3)
	v_add_co_u32 v6, vcc_lo, v6, v12
	v_add_co_ci_u32_e32 v7, vcc_lo, 0, v7, vcc_lo
	flat_load_b64 v[6:7], v[6:7]
	s_waitcnt vmcnt(0) lgkmcnt(0)
	ds_store_b64 v19, v[6:7]
.LBB333_5:
	s_or_b32 exec_lo, exec_lo, s2
	v_mul_lo_u32 v6, v17, v28
	v_add_nc_u32_e32 v20, 1, v17
	v_lshrrev_b32_e32 v34, 5, v31
	s_lshl_b32 s13, s14, 5
	v_mbcnt_lo_u32_b32 v39, -1, 0
	s_waitcnt vmcnt(0) lgkmcnt(0)
	s_waitcnt_vscnt null, 0x0
	s_barrier
	buffer_gl0_inv
	v_sub_nc_u32_e32 v6, s0, v6
	s_add_i32 s0, s13, 32
                                        ; implicit-def: $vgpr49
	s_delay_alu instid0(VALU_DEP_1) | instskip(SKIP_1) | instid1(VALU_DEP_2)
	v_sub_nc_u32_e32 v21, v6, v28
	v_cmp_ge_u32_e32 vcc_lo, v6, v28
	v_dual_cndmask_b32 v6, v6, v21 :: v_dual_add_nc_u32 v7, 15, v32
	s_delay_alu instid0(VALU_DEP_1)
	v_ashrrev_i32_e32 v19, 31, v7
	v_cndmask_b32_e32 v17, v17, v20, vcc_lo
	v_xor_b32_e32 v20, s1, v16
	v_mul_lo_u32 v16, s10, v18
	v_cmp_ge_u32_e32 vcc_lo, v6, v28
	v_lshrrev_b32_e32 v19, 28, v19
	v_or_b32_e32 v6, s13, v34
                                        ; implicit-def: $sgpr1
	s_delay_alu instid0(VALU_DEP_2) | instskip(SKIP_1) | instid1(VALU_DEP_2)
	v_add_nc_u32_e32 v7, v7, v19
	v_add_nc_u32_e32 v19, 1, v17
	v_ashrrev_i32_e32 v36, 4, v7
	s_delay_alu instid0(VALU_DEP_2) | instskip(SKIP_1) | instid1(VALU_DEP_3)
	v_cndmask_b32_e32 v7, v17, v19, vcc_lo
	v_ashrrev_i32_e32 v17, 31, v16
	v_min_i32_e32 v35, s0, v36
	s_delay_alu instid0(VALU_DEP_3) | instskip(NEXT) | instid1(VALU_DEP_2)
	v_xor_b32_e32 v7, v7, v20
	v_cmp_ge_i32_e64 s0, v6, v35
	s_delay_alu instid0(VALU_DEP_2) | instskip(NEXT) | instid1(VALU_DEP_2)
	v_sub_nc_u32_e32 v7, v7, v20
	s_and_saveexec_b32 s2, s0
	s_delay_alu instid0(SALU_CYCLE_1)
	s_xor_b32 s2, exec_lo, s2
; %bb.6:
	v_mbcnt_lo_u32_b32 v39, -1, 0
	v_mov_b32_e32 v49, 32
	s_mov_b32 s1, 0xff7fffff
                                        ; implicit-def: $vgpr48
                                        ; implicit-def: $vgpr13
                                        ; implicit-def: $vgpr24
                                        ; implicit-def: $vgpr8
                                        ; implicit-def: $vgpr9
; %bb.7:
	s_or_saveexec_b32 s17, s2
	s_clause 0x1
	s_load_b32 s18, s[8:9], 0x14
	s_load_b32 s5, s[8:9], 0x8
	v_mul_lo_u32 v37, v7, v23
	v_lshlrev_b64 v[16:17], 2, v[16:17]
	v_dual_mov_b32 v50, s1 :: v_dual_lshlrev_b32 v23, 4, v34
	v_ashrrev_i32_e32 v7, 31, v6
	s_delay_alu instid0(VALU_DEP_4)
	v_ashrrev_i32_e32 v38, 31, v37
	s_xor_b32 exec_lo, exec_lo, s17
	s_cbranch_execz .LBB333_493
; %bb.8:
	v_bfe_u32 v28, v31, 1, 4
	v_lshlrev_b64 v[20:21], 2, v[6:7]
	v_add_co_u32 v8, vcc_lo, v8, v37
	v_add_co_ci_u32_e32 v19, vcc_lo, v9, v38, vcc_lo
	s_delay_alu instid0(VALU_DEP_4) | instskip(SKIP_2) | instid1(VALU_DEP_2)
	v_dual_mov_b32 v9, 0 :: v_dual_lshlrev_b32 v18, 4, v28
	v_dual_mov_b32 v64, v6 :: v_dual_lshlrev_b32 v29, 2, v28
	s_ashr_i32 s7, s6, 31
	v_add_co_u32 v18, vcc_lo, v8, v18
	v_add_co_u32 v8, s2, v16, v20
	s_delay_alu instid0(VALU_DEP_1) | instskip(SKIP_1) | instid1(VALU_DEP_3)
	v_add_co_ci_u32_e64 v21, s2, v17, v21, s2
	v_add_co_ci_u32_e32 v19, vcc_lo, 0, v19, vcc_lo
	v_add_co_u32 v20, s2, v14, v8
	v_dual_mov_b32 v50, 0xff7fffff :: v_dual_lshlrev_b32 v51, 2, v33
	v_mul_u32_u24_e32 v52, 0x78, v33
	v_cmp_eq_u32_e32 vcc_lo, 0, v33
	v_cmp_neq_f32_e64 s1, 0, v48
	s_lshl_b64 s[8:9], s[6:7], 2
	v_add_co_ci_u32_e64 v21, s2, v15, v21, s2
	v_sub_nc_u32_e32 v53, 1, v32
	v_add3_u32 v54, s16, v23, v28
	v_lshl_or_b32 v55, v34, 6, v29
	v_mov_b32_e32 v49, 32
	s_getpc_b64 s[20:21]
	s_add_u32 s20, s20, llvm.amdgcn.dynlds.offset.table@rel32@lo+4
	s_addc_u32 s21, s21, llvm.amdgcn.dynlds.offset.table@rel32@hi+12
	s_add_u32 s8, s8, s20
	s_mov_b32 s7, 0
	s_addc_u32 s9, s9, s21
	s_branch .LBB333_10
.LBB333_9:                              ;   in Loop: Header=BB333_10 Depth=1
	s_or_b32 exec_lo, exec_lo, s3
	v_add_nc_u32_e32 v64, 4, v64
	v_add_co_u32 v20, s3, v20, 16
	s_delay_alu instid0(VALU_DEP_1) | instskip(NEXT) | instid1(VALU_DEP_3)
	v_add_co_ci_u32_e64 v21, s3, 0, v21, s3
	v_cmp_ge_i32_e64 s2, v64, v35
	v_add_nc_u32_e32 v54, 64, v54
	v_add_nc_u32_e32 v55, 0x100, v55
	s_delay_alu instid0(VALU_DEP_3) | instskip(NEXT) | instid1(SALU_CYCLE_1)
	s_or_b32 s7, s2, s7
	s_and_not1_b32 exec_lo, exec_lo, s7
	s_cbranch_execz .LBB333_492
.LBB333_10:                             ; =>This Inner Loop Header: Depth=1
	flat_load_b32 v8, v[20:21]
	v_mov_b32_e32 v66, 0
	s_mov_b32 s3, exec_lo
	s_waitcnt vmcnt(0) lgkmcnt(0)
	v_mad_i64_i32 v[28:29], null, v8, v22, v[18:19]
	s_delay_alu instid0(VALU_DEP_1) | instskip(NEXT) | instid1(VALU_DEP_1)
	v_add_co_u32 v28, s2, v28, v51
	v_add_co_ci_u32_e64 v29, s2, 0, v29, s2
	flat_load_b32 v71, v[28:29]
	flat_load_b32 v65, v[24:25]
	s_waitcnt vmcnt(1) lgkmcnt(1)
	v_and_b32_e32 v8, 0xff, v71
	s_delay_alu instid0(VALU_DEP_1)
	v_cmpx_ne_u16_e32 0, v8
	s_cbranch_execz .LBB333_18
; %bb.11:                               ;   in Loop: Header=BB333_10 Depth=1
	v_bfrev_b32_e32 v66, 1
	s_mov_b32 s19, exec_lo
	v_cmpx_ne_u16_e32 0x80, v8
	s_cbranch_execz .LBB333_17
; %bb.12:                               ;   in Loop: Header=BB333_10 Depth=1
	v_and_b32_e32 v67, 0x7f, v71
	v_mov_b32_e32 v66, 0x7fc02000
	s_mov_b32 s20, exec_lo
	s_delay_alu instid0(VALU_DEP_2)
	v_cmpx_ne_u32_e32 0x7f, v67
	s_cbranch_execz .LBB333_16
; %bb.13:                               ;   in Loop: Header=BB333_10 Depth=1
	v_and_b32_e32 v8, 7, v71
	v_lshrrev_b32_e32 v66, 3, v67
	s_mov_b32 s21, exec_lo
	v_cmpx_gt_u32_e32 8, v67
; %bb.14:                               ;   in Loop: Header=BB333_10 Depth=1
	s_delay_alu instid0(VALU_DEP_3) | instskip(NEXT) | instid1(VALU_DEP_1)
	v_clz_i32_u32_e32 v66, v8
	v_min_u32_e32 v66, 32, v66
	s_delay_alu instid0(VALU_DEP_1) | instskip(SKIP_1) | instid1(VALU_DEP_2)
	v_subrev_nc_u32_e32 v67, 28, v66
	v_sub_nc_u32_e32 v66, 29, v66
	v_lshlrev_b64 v[67:68], v67, v[8:9]
	s_delay_alu instid0(VALU_DEP_1)
	v_and_b32_e32 v8, 7, v67
; %bb.15:                               ;   in Loop: Header=BB333_10 Depth=1
	s_or_b32 exec_lo, exec_lo, s21
	v_lshlrev_b32_e32 v67, 8, v71
	v_lshl_add_u32 v66, v66, 10, 0x2000
	s_delay_alu instid0(VALU_DEP_1) | instskip(NEXT) | instid1(VALU_DEP_1)
	v_and_or_b32 v66, 0x8000, v67, v66
	v_lshl_or_b32 v8, v8, 7, v66
	s_delay_alu instid0(VALU_DEP_1)
	v_cvt_f32_f16_e32 v66, v8
.LBB333_16:                             ;   in Loop: Header=BB333_10 Depth=1
	s_or_b32 exec_lo, exec_lo, s20
.LBB333_17:                             ;   in Loop: Header=BB333_10 Depth=1
	s_delay_alu instid0(SALU_CYCLE_1)
	s_or_b32 exec_lo, exec_lo, s19
.LBB333_18:                             ;   in Loop: Header=BB333_10 Depth=1
	s_delay_alu instid0(SALU_CYCLE_1) | instskip(SKIP_3) | instid1(VALU_DEP_2)
	s_or_b32 exec_lo, exec_lo, s3
	v_lshrrev_b16 v8, 8, v71
	v_dual_mov_b32 v67, 0 :: v_dual_mov_b32 v68, 0
	s_mov_b32 s3, exec_lo
	v_cmpx_ne_u16_e32 0, v8
	s_cbranch_execz .LBB333_26
; %bb.19:                               ;   in Loop: Header=BB333_10 Depth=1
	v_bfrev_b32_e32 v68, 1
	s_mov_b32 s19, exec_lo
	v_cmpx_ne_u16_e32 0x80, v8
	s_cbranch_execz .LBB333_25
; %bb.20:                               ;   in Loop: Header=BB333_10 Depth=1
	v_and_b32_e32 v69, 0xffff, v8
	v_mov_b32_e32 v68, 0x7fc02000
	s_mov_b32 s20, exec_lo
	s_delay_alu instid0(VALU_DEP_2) | instskip(NEXT) | instid1(VALU_DEP_1)
	v_and_b32_e32 v70, 0x7f, v69
	v_cmpx_ne_u32_e32 0x7f, v70
	s_cbranch_execz .LBB333_24
; %bb.21:                               ;   in Loop: Header=BB333_10 Depth=1
	v_and_b32_e32 v8, 7, v69
	v_lshrrev_b32_e32 v68, 3, v70
	s_mov_b32 s21, exec_lo
	v_cmpx_gt_u32_e32 8, v70
; %bb.22:                               ;   in Loop: Header=BB333_10 Depth=1
	s_delay_alu instid0(VALU_DEP_3) | instskip(NEXT) | instid1(VALU_DEP_1)
	v_clz_i32_u32_e32 v68, v8
	v_min_u32_e32 v68, 32, v68
	s_delay_alu instid0(VALU_DEP_1) | instskip(SKIP_1) | instid1(VALU_DEP_2)
	v_subrev_nc_u32_e32 v70, 28, v68
	v_sub_nc_u32_e32 v68, 29, v68
	v_lshlrev_b64 v[80:81], v70, v[8:9]
	s_delay_alu instid0(VALU_DEP_1)
	v_and_b32_e32 v8, 7, v80
; %bb.23:                               ;   in Loop: Header=BB333_10 Depth=1
	s_or_b32 exec_lo, exec_lo, s21
	v_lshlrev_b32_e32 v69, 8, v69
	v_lshl_add_u32 v68, v68, 10, 0x2000
	s_delay_alu instid0(VALU_DEP_1) | instskip(NEXT) | instid1(VALU_DEP_1)
	v_and_or_b32 v68, 0x8000, v69, v68
	v_lshl_or_b32 v8, v8, 7, v68
	s_delay_alu instid0(VALU_DEP_1)
	v_cvt_f32_f16_e32 v68, v8
.LBB333_24:                             ;   in Loop: Header=BB333_10 Depth=1
	s_or_b32 exec_lo, exec_lo, s20
.LBB333_25:                             ;   in Loop: Header=BB333_10 Depth=1
	s_delay_alu instid0(SALU_CYCLE_1)
	s_or_b32 exec_lo, exec_lo, s19
.LBB333_26:                             ;   in Loop: Header=BB333_10 Depth=1
	s_delay_alu instid0(SALU_CYCLE_1) | instskip(SKIP_2) | instid1(VALU_DEP_1)
	s_or_b32 exec_lo, exec_lo, s3
	v_lshrrev_b32_e32 v69, 16, v71
	s_mov_b32 s3, exec_lo
	v_and_b32_e32 v8, 0xff, v69
	s_delay_alu instid0(VALU_DEP_1)
	v_cmpx_ne_u16_e32 0, v8
	s_cbranch_execz .LBB333_34
; %bb.27:                               ;   in Loop: Header=BB333_10 Depth=1
	v_bfrev_b32_e32 v67, 1
	s_mov_b32 s19, exec_lo
	v_cmpx_ne_u16_e32 0x80, v8
	s_cbranch_execz .LBB333_33
; %bb.28:                               ;   in Loop: Header=BB333_10 Depth=1
	v_bfe_u32 v70, v71, 16, 7
	v_mov_b32_e32 v67, 0x7fc02000
	s_mov_b32 s20, exec_lo
	s_delay_alu instid0(VALU_DEP_2)
	v_cmpx_ne_u32_e32 0x7f, v70
	s_cbranch_execz .LBB333_32
; %bb.29:                               ;   in Loop: Header=BB333_10 Depth=1
	v_and_b32_e32 v8, 7, v69
	v_lshrrev_b32_e32 v67, 3, v70
	s_mov_b32 s21, exec_lo
	v_cmpx_gt_u32_e32 8, v70
; %bb.30:                               ;   in Loop: Header=BB333_10 Depth=1
	s_delay_alu instid0(VALU_DEP_3) | instskip(NEXT) | instid1(VALU_DEP_1)
	v_clz_i32_u32_e32 v67, v8
	v_min_u32_e32 v67, 32, v67
	s_delay_alu instid0(VALU_DEP_1) | instskip(SKIP_1) | instid1(VALU_DEP_2)
	v_subrev_nc_u32_e32 v70, 28, v67
	v_sub_nc_u32_e32 v67, 29, v67
	v_lshlrev_b64 v[80:81], v70, v[8:9]
	s_delay_alu instid0(VALU_DEP_1)
	v_and_b32_e32 v8, 7, v80
; %bb.31:                               ;   in Loop: Header=BB333_10 Depth=1
	s_or_b32 exec_lo, exec_lo, s21
	v_lshlrev_b32_e32 v69, 8, v69
	v_lshl_add_u32 v67, v67, 10, 0x2000
	s_delay_alu instid0(VALU_DEP_1) | instskip(NEXT) | instid1(VALU_DEP_1)
	v_and_or_b32 v67, 0x8000, v69, v67
	v_lshl_or_b32 v8, v8, 7, v67
	s_delay_alu instid0(VALU_DEP_1)
	v_cvt_f32_f16_e32 v67, v8
.LBB333_32:                             ;   in Loop: Header=BB333_10 Depth=1
	s_or_b32 exec_lo, exec_lo, s20
.LBB333_33:                             ;   in Loop: Header=BB333_10 Depth=1
	s_delay_alu instid0(SALU_CYCLE_1)
	s_or_b32 exec_lo, exec_lo, s19
.LBB333_34:                             ;   in Loop: Header=BB333_10 Depth=1
	s_delay_alu instid0(SALU_CYCLE_1)
	s_or_b32 exec_lo, exec_lo, s3
	v_dual_mov_b32 v70, 0 :: v_dual_mov_b32 v69, 0
	s_mov_b32 s3, exec_lo
	v_cmpx_lt_u32_e32 0xffffff, v71
	s_cbranch_execz .LBB333_42
; %bb.35:                               ;   in Loop: Header=BB333_10 Depth=1
	v_lshrrev_b32_e32 v71, 24, v71
	v_bfrev_b32_e32 v69, 1
	s_mov_b32 s19, exec_lo
	s_delay_alu instid0(VALU_DEP_2)
	v_cmpx_ne_u32_e32 0x80, v71
	s_cbranch_execz .LBB333_41
; %bb.36:                               ;   in Loop: Header=BB333_10 Depth=1
	v_and_b32_e32 v80, 0x7f, v71
	v_mov_b32_e32 v69, 0x7fc02000
	s_mov_b32 s20, exec_lo
	s_delay_alu instid0(VALU_DEP_2)
	v_cmpx_ne_u32_e32 0x7f, v80
	s_cbranch_execz .LBB333_40
; %bb.37:                               ;   in Loop: Header=BB333_10 Depth=1
	v_and_b32_e32 v8, 7, v71
	v_lshrrev_b32_e32 v69, 3, v80
	s_mov_b32 s21, exec_lo
	v_cmpx_gt_u32_e32 8, v80
; %bb.38:                               ;   in Loop: Header=BB333_10 Depth=1
	s_delay_alu instid0(VALU_DEP_3) | instskip(NEXT) | instid1(VALU_DEP_1)
	v_clz_i32_u32_e32 v69, v8
	v_min_u32_e32 v69, 32, v69
	s_delay_alu instid0(VALU_DEP_1) | instskip(SKIP_1) | instid1(VALU_DEP_2)
	v_subrev_nc_u32_e32 v80, 28, v69
	v_sub_nc_u32_e32 v69, 29, v69
	v_lshlrev_b64 v[80:81], v80, v[8:9]
	s_delay_alu instid0(VALU_DEP_1)
	v_and_b32_e32 v8, 7, v80
; %bb.39:                               ;   in Loop: Header=BB333_10 Depth=1
	s_or_b32 exec_lo, exec_lo, s21
	v_lshlrev_b32_e32 v71, 8, v71
	v_lshl_add_u32 v69, v69, 10, 0x2000
	s_delay_alu instid0(VALU_DEP_1) | instskip(NEXT) | instid1(VALU_DEP_1)
	v_and_or_b32 v69, 0x8000, v71, v69
	v_lshl_or_b32 v8, v8, 7, v69
	s_delay_alu instid0(VALU_DEP_1)
	v_cvt_f32_f16_e32 v69, v8
.LBB333_40:                             ;   in Loop: Header=BB333_10 Depth=1
	s_or_b32 exec_lo, exec_lo, s20
.LBB333_41:                             ;   in Loop: Header=BB333_10 Depth=1
	s_delay_alu instid0(SALU_CYCLE_1)
	s_or_b32 exec_lo, exec_lo, s19
.LBB333_42:                             ;   in Loop: Header=BB333_10 Depth=1
	s_delay_alu instid0(SALU_CYCLE_1) | instskip(SKIP_4) | instid1(VALU_DEP_1)
	s_or_b32 exec_lo, exec_lo, s3
	flat_load_b32 v83, v[28:29] offset:8
	s_mov_b32 s3, exec_lo
	s_waitcnt vmcnt(0) lgkmcnt(0)
	v_and_b32_e32 v8, 0xff, v83
	v_cmpx_ne_u16_e32 0, v8
	s_cbranch_execz .LBB333_50
; %bb.43:                               ;   in Loop: Header=BB333_10 Depth=1
	v_bfrev_b32_e32 v70, 1
	s_mov_b32 s19, exec_lo
	v_cmpx_ne_u16_e32 0x80, v8
	s_cbranch_execz .LBB333_49
; %bb.44:                               ;   in Loop: Header=BB333_10 Depth=1
	v_and_b32_e32 v71, 0x7f, v83
	v_mov_b32_e32 v70, 0x7fc02000
	s_mov_b32 s20, exec_lo
	s_delay_alu instid0(VALU_DEP_2)
	v_cmpx_ne_u32_e32 0x7f, v71
	s_cbranch_execz .LBB333_48
; %bb.45:                               ;   in Loop: Header=BB333_10 Depth=1
	v_and_b32_e32 v8, 7, v83
	v_lshrrev_b32_e32 v70, 3, v71
	s_mov_b32 s21, exec_lo
	v_cmpx_gt_u32_e32 8, v71
; %bb.46:                               ;   in Loop: Header=BB333_10 Depth=1
	s_delay_alu instid0(VALU_DEP_3) | instskip(NEXT) | instid1(VALU_DEP_1)
	v_clz_i32_u32_e32 v70, v8
	v_min_u32_e32 v70, 32, v70
	s_delay_alu instid0(VALU_DEP_1) | instskip(SKIP_1) | instid1(VALU_DEP_2)
	v_subrev_nc_u32_e32 v71, 28, v70
	v_sub_nc_u32_e32 v70, 29, v70
	v_lshlrev_b64 v[80:81], v71, v[8:9]
	s_delay_alu instid0(VALU_DEP_1)
	v_and_b32_e32 v8, 7, v80
; %bb.47:                               ;   in Loop: Header=BB333_10 Depth=1
	s_or_b32 exec_lo, exec_lo, s21
	v_lshlrev_b32_e32 v71, 8, v83
	v_lshl_add_u32 v70, v70, 10, 0x2000
	s_delay_alu instid0(VALU_DEP_1) | instskip(NEXT) | instid1(VALU_DEP_1)
	v_and_or_b32 v70, 0x8000, v71, v70
	v_lshl_or_b32 v8, v8, 7, v70
	s_delay_alu instid0(VALU_DEP_1)
	v_cvt_f32_f16_e32 v70, v8
.LBB333_48:                             ;   in Loop: Header=BB333_10 Depth=1
	s_or_b32 exec_lo, exec_lo, s20
.LBB333_49:                             ;   in Loop: Header=BB333_10 Depth=1
	s_delay_alu instid0(SALU_CYCLE_1)
	s_or_b32 exec_lo, exec_lo, s19
.LBB333_50:                             ;   in Loop: Header=BB333_10 Depth=1
	s_delay_alu instid0(SALU_CYCLE_1) | instskip(SKIP_3) | instid1(VALU_DEP_2)
	s_or_b32 exec_lo, exec_lo, s3
	v_lshrrev_b16 v8, 8, v83
	v_dual_mov_b32 v71, 0 :: v_dual_mov_b32 v80, 0
	s_mov_b32 s3, exec_lo
	v_cmpx_ne_u16_e32 0, v8
	s_cbranch_execz .LBB333_58
; %bb.51:                               ;   in Loop: Header=BB333_10 Depth=1
	v_bfrev_b32_e32 v80, 1
	s_mov_b32 s19, exec_lo
	v_cmpx_ne_u16_e32 0x80, v8
	s_cbranch_execz .LBB333_57
; %bb.52:                               ;   in Loop: Header=BB333_10 Depth=1
	v_and_b32_e32 v81, 0xffff, v8
	v_mov_b32_e32 v80, 0x7fc02000
	s_mov_b32 s20, exec_lo
	s_delay_alu instid0(VALU_DEP_2) | instskip(NEXT) | instid1(VALU_DEP_1)
	v_and_b32_e32 v82, 0x7f, v81
	v_cmpx_ne_u32_e32 0x7f, v82
	s_cbranch_execz .LBB333_56
; %bb.53:                               ;   in Loop: Header=BB333_10 Depth=1
	v_and_b32_e32 v8, 7, v81
	v_lshrrev_b32_e32 v80, 3, v82
	s_mov_b32 s21, exec_lo
	v_cmpx_gt_u32_e32 8, v82
; %bb.54:                               ;   in Loop: Header=BB333_10 Depth=1
	s_delay_alu instid0(VALU_DEP_3) | instskip(NEXT) | instid1(VALU_DEP_1)
	v_clz_i32_u32_e32 v80, v8
	v_min_u32_e32 v80, 32, v80
	s_delay_alu instid0(VALU_DEP_1) | instskip(SKIP_1) | instid1(VALU_DEP_2)
	v_subrev_nc_u32_e32 v82, 28, v80
	v_sub_nc_u32_e32 v80, 29, v80
	v_lshlrev_b64 v[84:85], v82, v[8:9]
	s_delay_alu instid0(VALU_DEP_1)
	v_and_b32_e32 v8, 7, v84
; %bb.55:                               ;   in Loop: Header=BB333_10 Depth=1
	s_or_b32 exec_lo, exec_lo, s21
	v_lshlrev_b32_e32 v81, 8, v81
	v_lshl_add_u32 v80, v80, 10, 0x2000
	s_delay_alu instid0(VALU_DEP_1) | instskip(NEXT) | instid1(VALU_DEP_1)
	v_and_or_b32 v80, 0x8000, v81, v80
	v_lshl_or_b32 v8, v8, 7, v80
	s_delay_alu instid0(VALU_DEP_1)
	v_cvt_f32_f16_e32 v80, v8
.LBB333_56:                             ;   in Loop: Header=BB333_10 Depth=1
	s_or_b32 exec_lo, exec_lo, s20
.LBB333_57:                             ;   in Loop: Header=BB333_10 Depth=1
	s_delay_alu instid0(SALU_CYCLE_1)
	s_or_b32 exec_lo, exec_lo, s19
.LBB333_58:                             ;   in Loop: Header=BB333_10 Depth=1
	s_delay_alu instid0(SALU_CYCLE_1) | instskip(SKIP_2) | instid1(VALU_DEP_1)
	s_or_b32 exec_lo, exec_lo, s3
	v_lshrrev_b32_e32 v81, 16, v83
	s_mov_b32 s3, exec_lo
	v_and_b32_e32 v8, 0xff, v81
	s_delay_alu instid0(VALU_DEP_1)
	v_cmpx_ne_u16_e32 0, v8
	s_cbranch_execz .LBB333_66
; %bb.59:                               ;   in Loop: Header=BB333_10 Depth=1
	v_bfrev_b32_e32 v71, 1
	s_mov_b32 s19, exec_lo
	v_cmpx_ne_u16_e32 0x80, v8
	s_cbranch_execz .LBB333_65
; %bb.60:                               ;   in Loop: Header=BB333_10 Depth=1
	v_bfe_u32 v82, v83, 16, 7
	v_mov_b32_e32 v71, 0x7fc02000
	s_mov_b32 s20, exec_lo
	s_delay_alu instid0(VALU_DEP_2)
	v_cmpx_ne_u32_e32 0x7f, v82
	s_cbranch_execz .LBB333_64
; %bb.61:                               ;   in Loop: Header=BB333_10 Depth=1
	v_and_b32_e32 v8, 7, v81
	v_lshrrev_b32_e32 v71, 3, v82
	s_mov_b32 s21, exec_lo
	v_cmpx_gt_u32_e32 8, v82
; %bb.62:                               ;   in Loop: Header=BB333_10 Depth=1
	s_delay_alu instid0(VALU_DEP_3) | instskip(NEXT) | instid1(VALU_DEP_1)
	v_clz_i32_u32_e32 v71, v8
	v_min_u32_e32 v71, 32, v71
	s_delay_alu instid0(VALU_DEP_1) | instskip(SKIP_1) | instid1(VALU_DEP_2)
	v_subrev_nc_u32_e32 v82, 28, v71
	v_sub_nc_u32_e32 v71, 29, v71
	v_lshlrev_b64 v[84:85], v82, v[8:9]
	s_delay_alu instid0(VALU_DEP_1)
	v_and_b32_e32 v8, 7, v84
; %bb.63:                               ;   in Loop: Header=BB333_10 Depth=1
	s_or_b32 exec_lo, exec_lo, s21
	v_lshlrev_b32_e32 v81, 8, v81
	v_lshl_add_u32 v71, v71, 10, 0x2000
	s_delay_alu instid0(VALU_DEP_1) | instskip(NEXT) | instid1(VALU_DEP_1)
	v_and_or_b32 v71, 0x8000, v81, v71
	v_lshl_or_b32 v8, v8, 7, v71
	s_delay_alu instid0(VALU_DEP_1)
	v_cvt_f32_f16_e32 v71, v8
.LBB333_64:                             ;   in Loop: Header=BB333_10 Depth=1
	s_or_b32 exec_lo, exec_lo, s20
.LBB333_65:                             ;   in Loop: Header=BB333_10 Depth=1
	s_delay_alu instid0(SALU_CYCLE_1)
	s_or_b32 exec_lo, exec_lo, s19
.LBB333_66:                             ;   in Loop: Header=BB333_10 Depth=1
	s_delay_alu instid0(SALU_CYCLE_1)
	s_or_b32 exec_lo, exec_lo, s3
	v_dual_mov_b32 v82, 0 :: v_dual_mov_b32 v81, 0
	s_mov_b32 s3, exec_lo
	v_cmpx_lt_u32_e32 0xffffff, v83
	s_cbranch_execz .LBB333_74
; %bb.67:                               ;   in Loop: Header=BB333_10 Depth=1
	v_lshrrev_b32_e32 v83, 24, v83
	v_bfrev_b32_e32 v81, 1
	s_mov_b32 s19, exec_lo
	s_delay_alu instid0(VALU_DEP_2)
	v_cmpx_ne_u32_e32 0x80, v83
	s_cbranch_execz .LBB333_73
; %bb.68:                               ;   in Loop: Header=BB333_10 Depth=1
	v_and_b32_e32 v84, 0x7f, v83
	v_mov_b32_e32 v81, 0x7fc02000
	s_mov_b32 s20, exec_lo
	s_delay_alu instid0(VALU_DEP_2)
	v_cmpx_ne_u32_e32 0x7f, v84
	s_cbranch_execz .LBB333_72
; %bb.69:                               ;   in Loop: Header=BB333_10 Depth=1
	v_and_b32_e32 v8, 7, v83
	v_lshrrev_b32_e32 v81, 3, v84
	s_mov_b32 s21, exec_lo
	v_cmpx_gt_u32_e32 8, v84
; %bb.70:                               ;   in Loop: Header=BB333_10 Depth=1
	s_delay_alu instid0(VALU_DEP_3) | instskip(NEXT) | instid1(VALU_DEP_1)
	v_clz_i32_u32_e32 v81, v8
	v_min_u32_e32 v81, 32, v81
	s_delay_alu instid0(VALU_DEP_1) | instskip(SKIP_1) | instid1(VALU_DEP_2)
	v_subrev_nc_u32_e32 v84, 28, v81
	v_sub_nc_u32_e32 v81, 29, v81
	v_lshlrev_b64 v[84:85], v84, v[8:9]
	s_delay_alu instid0(VALU_DEP_1)
	v_and_b32_e32 v8, 7, v84
; %bb.71:                               ;   in Loop: Header=BB333_10 Depth=1
	s_or_b32 exec_lo, exec_lo, s21
	v_lshlrev_b32_e32 v83, 8, v83
	v_lshl_add_u32 v81, v81, 10, 0x2000
	s_delay_alu instid0(VALU_DEP_1) | instskip(NEXT) | instid1(VALU_DEP_1)
	v_and_or_b32 v81, 0x8000, v83, v81
	v_lshl_or_b32 v8, v8, 7, v81
	s_delay_alu instid0(VALU_DEP_1)
	v_cvt_f32_f16_e32 v81, v8
.LBB333_72:                             ;   in Loop: Header=BB333_10 Depth=1
	s_or_b32 exec_lo, exec_lo, s20
.LBB333_73:                             ;   in Loop: Header=BB333_10 Depth=1
	s_delay_alu instid0(SALU_CYCLE_1)
	s_or_b32 exec_lo, exec_lo, s19
.LBB333_74:                             ;   in Loop: Header=BB333_10 Depth=1
	s_delay_alu instid0(SALU_CYCLE_1) | instskip(SKIP_4) | instid1(VALU_DEP_1)
	s_or_b32 exec_lo, exec_lo, s3
	flat_load_b32 v87, v[28:29] offset:256
	s_mov_b32 s3, exec_lo
	s_waitcnt vmcnt(0) lgkmcnt(0)
	v_and_b32_e32 v8, 0xff, v87
	v_cmpx_ne_u16_e32 0, v8
	s_cbranch_execz .LBB333_82
; %bb.75:                               ;   in Loop: Header=BB333_10 Depth=1
	v_bfrev_b32_e32 v82, 1
	s_mov_b32 s19, exec_lo
	v_cmpx_ne_u16_e32 0x80, v8
	s_cbranch_execz .LBB333_81
; %bb.76:                               ;   in Loop: Header=BB333_10 Depth=1
	v_and_b32_e32 v83, 0x7f, v87
	v_mov_b32_e32 v82, 0x7fc02000
	s_mov_b32 s20, exec_lo
	s_delay_alu instid0(VALU_DEP_2)
	v_cmpx_ne_u32_e32 0x7f, v83
	s_cbranch_execz .LBB333_80
; %bb.77:                               ;   in Loop: Header=BB333_10 Depth=1
	v_and_b32_e32 v8, 7, v87
	v_lshrrev_b32_e32 v82, 3, v83
	s_mov_b32 s21, exec_lo
	v_cmpx_gt_u32_e32 8, v83
; %bb.78:                               ;   in Loop: Header=BB333_10 Depth=1
	s_delay_alu instid0(VALU_DEP_3) | instskip(NEXT) | instid1(VALU_DEP_1)
	v_clz_i32_u32_e32 v82, v8
	v_min_u32_e32 v82, 32, v82
	s_delay_alu instid0(VALU_DEP_1) | instskip(SKIP_1) | instid1(VALU_DEP_2)
	v_subrev_nc_u32_e32 v83, 28, v82
	v_sub_nc_u32_e32 v82, 29, v82
	v_lshlrev_b64 v[83:84], v83, v[8:9]
	s_delay_alu instid0(VALU_DEP_1)
	v_and_b32_e32 v8, 7, v83
; %bb.79:                               ;   in Loop: Header=BB333_10 Depth=1
	s_or_b32 exec_lo, exec_lo, s21
	v_lshlrev_b32_e32 v83, 8, v87
	v_lshl_add_u32 v82, v82, 10, 0x2000
	s_delay_alu instid0(VALU_DEP_1) | instskip(NEXT) | instid1(VALU_DEP_1)
	v_and_or_b32 v82, 0x8000, v83, v82
	v_lshl_or_b32 v8, v8, 7, v82
	s_delay_alu instid0(VALU_DEP_1)
	v_cvt_f32_f16_e32 v82, v8
.LBB333_80:                             ;   in Loop: Header=BB333_10 Depth=1
	s_or_b32 exec_lo, exec_lo, s20
.LBB333_81:                             ;   in Loop: Header=BB333_10 Depth=1
	s_delay_alu instid0(SALU_CYCLE_1)
	s_or_b32 exec_lo, exec_lo, s19
.LBB333_82:                             ;   in Loop: Header=BB333_10 Depth=1
	s_delay_alu instid0(SALU_CYCLE_1) | instskip(SKIP_3) | instid1(VALU_DEP_2)
	s_or_b32 exec_lo, exec_lo, s3
	v_lshrrev_b16 v8, 8, v87
	v_dual_mov_b32 v83, 0 :: v_dual_mov_b32 v84, 0
	s_mov_b32 s3, exec_lo
	v_cmpx_ne_u16_e32 0, v8
	s_cbranch_execz .LBB333_90
; %bb.83:                               ;   in Loop: Header=BB333_10 Depth=1
	v_bfrev_b32_e32 v84, 1
	s_mov_b32 s19, exec_lo
	v_cmpx_ne_u16_e32 0x80, v8
	s_cbranch_execz .LBB333_89
; %bb.84:                               ;   in Loop: Header=BB333_10 Depth=1
	v_and_b32_e32 v85, 0xffff, v8
	v_mov_b32_e32 v84, 0x7fc02000
	s_mov_b32 s20, exec_lo
	s_delay_alu instid0(VALU_DEP_2) | instskip(NEXT) | instid1(VALU_DEP_1)
	v_and_b32_e32 v86, 0x7f, v85
	v_cmpx_ne_u32_e32 0x7f, v86
	s_cbranch_execz .LBB333_88
; %bb.85:                               ;   in Loop: Header=BB333_10 Depth=1
	v_and_b32_e32 v8, 7, v85
	v_lshrrev_b32_e32 v84, 3, v86
	s_mov_b32 s21, exec_lo
	v_cmpx_gt_u32_e32 8, v86
; %bb.86:                               ;   in Loop: Header=BB333_10 Depth=1
	s_delay_alu instid0(VALU_DEP_3) | instskip(NEXT) | instid1(VALU_DEP_1)
	v_clz_i32_u32_e32 v84, v8
	v_min_u32_e32 v84, 32, v84
	s_delay_alu instid0(VALU_DEP_1) | instskip(SKIP_1) | instid1(VALU_DEP_2)
	v_subrev_nc_u32_e32 v86, 28, v84
	v_sub_nc_u32_e32 v84, 29, v84
	v_lshlrev_b64 v[96:97], v86, v[8:9]
	s_delay_alu instid0(VALU_DEP_1)
	v_and_b32_e32 v8, 7, v96
; %bb.87:                               ;   in Loop: Header=BB333_10 Depth=1
	s_or_b32 exec_lo, exec_lo, s21
	v_lshlrev_b32_e32 v85, 8, v85
	v_lshl_add_u32 v84, v84, 10, 0x2000
	s_delay_alu instid0(VALU_DEP_1) | instskip(NEXT) | instid1(VALU_DEP_1)
	v_and_or_b32 v84, 0x8000, v85, v84
	v_lshl_or_b32 v8, v8, 7, v84
	s_delay_alu instid0(VALU_DEP_1)
	v_cvt_f32_f16_e32 v84, v8
.LBB333_88:                             ;   in Loop: Header=BB333_10 Depth=1
	s_or_b32 exec_lo, exec_lo, s20
.LBB333_89:                             ;   in Loop: Header=BB333_10 Depth=1
	s_delay_alu instid0(SALU_CYCLE_1)
	s_or_b32 exec_lo, exec_lo, s19
.LBB333_90:                             ;   in Loop: Header=BB333_10 Depth=1
	s_delay_alu instid0(SALU_CYCLE_1) | instskip(SKIP_2) | instid1(VALU_DEP_1)
	s_or_b32 exec_lo, exec_lo, s3
	v_lshrrev_b32_e32 v85, 16, v87
	s_mov_b32 s3, exec_lo
	v_and_b32_e32 v8, 0xff, v85
	s_delay_alu instid0(VALU_DEP_1)
	v_cmpx_ne_u16_e32 0, v8
	s_cbranch_execz .LBB333_98
; %bb.91:                               ;   in Loop: Header=BB333_10 Depth=1
	v_bfrev_b32_e32 v83, 1
	s_mov_b32 s19, exec_lo
	v_cmpx_ne_u16_e32 0x80, v8
	s_cbranch_execz .LBB333_97
; %bb.92:                               ;   in Loop: Header=BB333_10 Depth=1
	v_bfe_u32 v86, v87, 16, 7
	v_mov_b32_e32 v83, 0x7fc02000
	s_mov_b32 s20, exec_lo
	s_delay_alu instid0(VALU_DEP_2)
	v_cmpx_ne_u32_e32 0x7f, v86
	s_cbranch_execz .LBB333_96
; %bb.93:                               ;   in Loop: Header=BB333_10 Depth=1
	v_and_b32_e32 v8, 7, v85
	v_lshrrev_b32_e32 v83, 3, v86
	s_mov_b32 s21, exec_lo
	v_cmpx_gt_u32_e32 8, v86
; %bb.94:                               ;   in Loop: Header=BB333_10 Depth=1
	s_delay_alu instid0(VALU_DEP_3) | instskip(NEXT) | instid1(VALU_DEP_1)
	v_clz_i32_u32_e32 v83, v8
	v_min_u32_e32 v83, 32, v83
	s_delay_alu instid0(VALU_DEP_1) | instskip(SKIP_1) | instid1(VALU_DEP_2)
	v_subrev_nc_u32_e32 v86, 28, v83
	v_sub_nc_u32_e32 v83, 29, v83
	v_lshlrev_b64 v[96:97], v86, v[8:9]
	s_delay_alu instid0(VALU_DEP_1)
	v_and_b32_e32 v8, 7, v96
; %bb.95:                               ;   in Loop: Header=BB333_10 Depth=1
	s_or_b32 exec_lo, exec_lo, s21
	v_lshlrev_b32_e32 v85, 8, v85
	v_lshl_add_u32 v83, v83, 10, 0x2000
	s_delay_alu instid0(VALU_DEP_1) | instskip(NEXT) | instid1(VALU_DEP_1)
	v_and_or_b32 v83, 0x8000, v85, v83
	v_lshl_or_b32 v8, v8, 7, v83
	s_delay_alu instid0(VALU_DEP_1)
	v_cvt_f32_f16_e32 v83, v8
.LBB333_96:                             ;   in Loop: Header=BB333_10 Depth=1
	s_or_b32 exec_lo, exec_lo, s20
.LBB333_97:                             ;   in Loop: Header=BB333_10 Depth=1
	s_delay_alu instid0(SALU_CYCLE_1)
	s_or_b32 exec_lo, exec_lo, s19
.LBB333_98:                             ;   in Loop: Header=BB333_10 Depth=1
	s_delay_alu instid0(SALU_CYCLE_1)
	s_or_b32 exec_lo, exec_lo, s3
	v_dual_mov_b32 v86, 0 :: v_dual_mov_b32 v85, 0
	s_mov_b32 s3, exec_lo
	v_cmpx_lt_u32_e32 0xffffff, v87
	s_cbranch_execz .LBB333_106
; %bb.99:                               ;   in Loop: Header=BB333_10 Depth=1
	v_lshrrev_b32_e32 v87, 24, v87
	v_bfrev_b32_e32 v85, 1
	s_mov_b32 s19, exec_lo
	s_delay_alu instid0(VALU_DEP_2)
	v_cmpx_ne_u32_e32 0x80, v87
	s_cbranch_execz .LBB333_105
; %bb.100:                              ;   in Loop: Header=BB333_10 Depth=1
	v_and_b32_e32 v96, 0x7f, v87
	v_mov_b32_e32 v85, 0x7fc02000
	s_mov_b32 s20, exec_lo
	s_delay_alu instid0(VALU_DEP_2)
	v_cmpx_ne_u32_e32 0x7f, v96
	s_cbranch_execz .LBB333_104
; %bb.101:                              ;   in Loop: Header=BB333_10 Depth=1
	v_and_b32_e32 v8, 7, v87
	v_lshrrev_b32_e32 v85, 3, v96
	s_mov_b32 s21, exec_lo
	v_cmpx_gt_u32_e32 8, v96
; %bb.102:                              ;   in Loop: Header=BB333_10 Depth=1
	s_delay_alu instid0(VALU_DEP_3) | instskip(NEXT) | instid1(VALU_DEP_1)
	v_clz_i32_u32_e32 v85, v8
	v_min_u32_e32 v85, 32, v85
	s_delay_alu instid0(VALU_DEP_1) | instskip(SKIP_1) | instid1(VALU_DEP_2)
	v_subrev_nc_u32_e32 v96, 28, v85
	v_sub_nc_u32_e32 v85, 29, v85
	v_lshlrev_b64 v[96:97], v96, v[8:9]
	s_delay_alu instid0(VALU_DEP_1)
	v_and_b32_e32 v8, 7, v96
; %bb.103:                              ;   in Loop: Header=BB333_10 Depth=1
	s_or_b32 exec_lo, exec_lo, s21
	v_lshlrev_b32_e32 v87, 8, v87
	v_lshl_add_u32 v85, v85, 10, 0x2000
	s_delay_alu instid0(VALU_DEP_1) | instskip(NEXT) | instid1(VALU_DEP_1)
	v_and_or_b32 v85, 0x8000, v87, v85
	v_lshl_or_b32 v8, v8, 7, v85
	s_delay_alu instid0(VALU_DEP_1)
	v_cvt_f32_f16_e32 v85, v8
.LBB333_104:                            ;   in Loop: Header=BB333_10 Depth=1
	s_or_b32 exec_lo, exec_lo, s20
.LBB333_105:                            ;   in Loop: Header=BB333_10 Depth=1
	s_delay_alu instid0(SALU_CYCLE_1)
	s_or_b32 exec_lo, exec_lo, s19
.LBB333_106:                            ;   in Loop: Header=BB333_10 Depth=1
	s_delay_alu instid0(SALU_CYCLE_1) | instskip(SKIP_4) | instid1(VALU_DEP_1)
	s_or_b32 exec_lo, exec_lo, s3
	flat_load_b32 v99, v[28:29] offset:264
	s_mov_b32 s3, exec_lo
	s_waitcnt vmcnt(0) lgkmcnt(0)
	v_and_b32_e32 v8, 0xff, v99
	v_cmpx_ne_u16_e32 0, v8
	s_cbranch_execz .LBB333_114
; %bb.107:                              ;   in Loop: Header=BB333_10 Depth=1
	v_bfrev_b32_e32 v86, 1
	s_mov_b32 s19, exec_lo
	v_cmpx_ne_u16_e32 0x80, v8
	s_cbranch_execz .LBB333_113
; %bb.108:                              ;   in Loop: Header=BB333_10 Depth=1
	v_and_b32_e32 v87, 0x7f, v99
	v_mov_b32_e32 v86, 0x7fc02000
	s_mov_b32 s20, exec_lo
	s_delay_alu instid0(VALU_DEP_2)
	v_cmpx_ne_u32_e32 0x7f, v87
	s_cbranch_execz .LBB333_112
; %bb.109:                              ;   in Loop: Header=BB333_10 Depth=1
	v_and_b32_e32 v8, 7, v99
	v_lshrrev_b32_e32 v86, 3, v87
	s_mov_b32 s21, exec_lo
	v_cmpx_gt_u32_e32 8, v87
; %bb.110:                              ;   in Loop: Header=BB333_10 Depth=1
	s_delay_alu instid0(VALU_DEP_3) | instskip(NEXT) | instid1(VALU_DEP_1)
	v_clz_i32_u32_e32 v86, v8
	v_min_u32_e32 v86, 32, v86
	s_delay_alu instid0(VALU_DEP_1) | instskip(SKIP_1) | instid1(VALU_DEP_2)
	v_subrev_nc_u32_e32 v87, 28, v86
	v_sub_nc_u32_e32 v86, 29, v86
	v_lshlrev_b64 v[96:97], v87, v[8:9]
	s_delay_alu instid0(VALU_DEP_1)
	v_and_b32_e32 v8, 7, v96
; %bb.111:                              ;   in Loop: Header=BB333_10 Depth=1
	s_or_b32 exec_lo, exec_lo, s21
	v_lshlrev_b32_e32 v87, 8, v99
	v_lshl_add_u32 v86, v86, 10, 0x2000
	s_delay_alu instid0(VALU_DEP_1) | instskip(NEXT) | instid1(VALU_DEP_1)
	v_and_or_b32 v86, 0x8000, v87, v86
	v_lshl_or_b32 v8, v8, 7, v86
	s_delay_alu instid0(VALU_DEP_1)
	v_cvt_f32_f16_e32 v86, v8
.LBB333_112:                            ;   in Loop: Header=BB333_10 Depth=1
	s_or_b32 exec_lo, exec_lo, s20
.LBB333_113:                            ;   in Loop: Header=BB333_10 Depth=1
	s_delay_alu instid0(SALU_CYCLE_1)
	s_or_b32 exec_lo, exec_lo, s19
.LBB333_114:                            ;   in Loop: Header=BB333_10 Depth=1
	s_delay_alu instid0(SALU_CYCLE_1) | instskip(SKIP_3) | instid1(VALU_DEP_2)
	s_or_b32 exec_lo, exec_lo, s3
	v_lshrrev_b16 v8, 8, v99
	v_dual_mov_b32 v87, 0 :: v_dual_mov_b32 v96, 0
	s_mov_b32 s3, exec_lo
	v_cmpx_ne_u16_e32 0, v8
	s_cbranch_execz .LBB333_122
; %bb.115:                              ;   in Loop: Header=BB333_10 Depth=1
	v_bfrev_b32_e32 v96, 1
	s_mov_b32 s19, exec_lo
	v_cmpx_ne_u16_e32 0x80, v8
	s_cbranch_execz .LBB333_121
; %bb.116:                              ;   in Loop: Header=BB333_10 Depth=1
	v_and_b32_e32 v97, 0xffff, v8
	v_mov_b32_e32 v96, 0x7fc02000
	s_mov_b32 s20, exec_lo
	s_delay_alu instid0(VALU_DEP_2) | instskip(NEXT) | instid1(VALU_DEP_1)
	v_and_b32_e32 v98, 0x7f, v97
	v_cmpx_ne_u32_e32 0x7f, v98
	s_cbranch_execz .LBB333_120
; %bb.117:                              ;   in Loop: Header=BB333_10 Depth=1
	v_and_b32_e32 v8, 7, v97
	v_lshrrev_b32_e32 v96, 3, v98
	s_mov_b32 s21, exec_lo
	v_cmpx_gt_u32_e32 8, v98
; %bb.118:                              ;   in Loop: Header=BB333_10 Depth=1
	s_delay_alu instid0(VALU_DEP_3) | instskip(NEXT) | instid1(VALU_DEP_1)
	v_clz_i32_u32_e32 v96, v8
	v_min_u32_e32 v96, 32, v96
	s_delay_alu instid0(VALU_DEP_1) | instskip(SKIP_1) | instid1(VALU_DEP_2)
	v_subrev_nc_u32_e32 v98, 28, v96
	v_sub_nc_u32_e32 v96, 29, v96
	v_lshlrev_b64 v[100:101], v98, v[8:9]
	s_delay_alu instid0(VALU_DEP_1)
	v_and_b32_e32 v8, 7, v100
; %bb.119:                              ;   in Loop: Header=BB333_10 Depth=1
	s_or_b32 exec_lo, exec_lo, s21
	v_lshlrev_b32_e32 v97, 8, v97
	v_lshl_add_u32 v96, v96, 10, 0x2000
	s_delay_alu instid0(VALU_DEP_1) | instskip(NEXT) | instid1(VALU_DEP_1)
	v_and_or_b32 v96, 0x8000, v97, v96
	v_lshl_or_b32 v8, v8, 7, v96
	s_delay_alu instid0(VALU_DEP_1)
	v_cvt_f32_f16_e32 v96, v8
.LBB333_120:                            ;   in Loop: Header=BB333_10 Depth=1
	s_or_b32 exec_lo, exec_lo, s20
.LBB333_121:                            ;   in Loop: Header=BB333_10 Depth=1
	s_delay_alu instid0(SALU_CYCLE_1)
	s_or_b32 exec_lo, exec_lo, s19
.LBB333_122:                            ;   in Loop: Header=BB333_10 Depth=1
	s_delay_alu instid0(SALU_CYCLE_1) | instskip(SKIP_2) | instid1(VALU_DEP_1)
	s_or_b32 exec_lo, exec_lo, s3
	v_lshrrev_b32_e32 v97, 16, v99
	s_mov_b32 s3, exec_lo
	v_and_b32_e32 v8, 0xff, v97
	s_delay_alu instid0(VALU_DEP_1)
	v_cmpx_ne_u16_e32 0, v8
	s_cbranch_execz .LBB333_130
; %bb.123:                              ;   in Loop: Header=BB333_10 Depth=1
	v_bfrev_b32_e32 v87, 1
	s_mov_b32 s19, exec_lo
	v_cmpx_ne_u16_e32 0x80, v8
	s_cbranch_execz .LBB333_129
; %bb.124:                              ;   in Loop: Header=BB333_10 Depth=1
	v_bfe_u32 v98, v99, 16, 7
	v_mov_b32_e32 v87, 0x7fc02000
	s_mov_b32 s20, exec_lo
	s_delay_alu instid0(VALU_DEP_2)
	v_cmpx_ne_u32_e32 0x7f, v98
	s_cbranch_execz .LBB333_128
; %bb.125:                              ;   in Loop: Header=BB333_10 Depth=1
	v_and_b32_e32 v8, 7, v97
	v_lshrrev_b32_e32 v87, 3, v98
	s_mov_b32 s21, exec_lo
	v_cmpx_gt_u32_e32 8, v98
; %bb.126:                              ;   in Loop: Header=BB333_10 Depth=1
	s_delay_alu instid0(VALU_DEP_3) | instskip(NEXT) | instid1(VALU_DEP_1)
	v_clz_i32_u32_e32 v87, v8
	v_min_u32_e32 v87, 32, v87
	s_delay_alu instid0(VALU_DEP_1) | instskip(SKIP_1) | instid1(VALU_DEP_2)
	v_subrev_nc_u32_e32 v98, 28, v87
	v_sub_nc_u32_e32 v87, 29, v87
	v_lshlrev_b64 v[100:101], v98, v[8:9]
	s_delay_alu instid0(VALU_DEP_1)
	v_and_b32_e32 v8, 7, v100
; %bb.127:                              ;   in Loop: Header=BB333_10 Depth=1
	s_or_b32 exec_lo, exec_lo, s21
	v_lshlrev_b32_e32 v97, 8, v97
	v_lshl_add_u32 v87, v87, 10, 0x2000
	s_delay_alu instid0(VALU_DEP_1) | instskip(NEXT) | instid1(VALU_DEP_1)
	v_and_or_b32 v87, 0x8000, v97, v87
	v_lshl_or_b32 v8, v8, 7, v87
	s_delay_alu instid0(VALU_DEP_1)
	v_cvt_f32_f16_e32 v87, v8
.LBB333_128:                            ;   in Loop: Header=BB333_10 Depth=1
	s_or_b32 exec_lo, exec_lo, s20
.LBB333_129:                            ;   in Loop: Header=BB333_10 Depth=1
	s_delay_alu instid0(SALU_CYCLE_1)
	s_or_b32 exec_lo, exec_lo, s19
.LBB333_130:                            ;   in Loop: Header=BB333_10 Depth=1
	s_delay_alu instid0(SALU_CYCLE_1)
	s_or_b32 exec_lo, exec_lo, s3
	v_dual_mov_b32 v98, 0 :: v_dual_mov_b32 v97, 0
	s_mov_b32 s3, exec_lo
	v_cmpx_lt_u32_e32 0xffffff, v99
	s_cbranch_execz .LBB333_138
; %bb.131:                              ;   in Loop: Header=BB333_10 Depth=1
	v_lshrrev_b32_e32 v99, 24, v99
	v_bfrev_b32_e32 v97, 1
	s_mov_b32 s19, exec_lo
	s_delay_alu instid0(VALU_DEP_2)
	v_cmpx_ne_u32_e32 0x80, v99
	s_cbranch_execz .LBB333_137
; %bb.132:                              ;   in Loop: Header=BB333_10 Depth=1
	v_and_b32_e32 v100, 0x7f, v99
	v_mov_b32_e32 v97, 0x7fc02000
	s_mov_b32 s20, exec_lo
	s_delay_alu instid0(VALU_DEP_2)
	v_cmpx_ne_u32_e32 0x7f, v100
	s_cbranch_execz .LBB333_136
; %bb.133:                              ;   in Loop: Header=BB333_10 Depth=1
	v_and_b32_e32 v8, 7, v99
	v_lshrrev_b32_e32 v97, 3, v100
	s_mov_b32 s21, exec_lo
	v_cmpx_gt_u32_e32 8, v100
; %bb.134:                              ;   in Loop: Header=BB333_10 Depth=1
	s_delay_alu instid0(VALU_DEP_3) | instskip(NEXT) | instid1(VALU_DEP_1)
	v_clz_i32_u32_e32 v97, v8
	v_min_u32_e32 v97, 32, v97
	s_delay_alu instid0(VALU_DEP_1) | instskip(SKIP_1) | instid1(VALU_DEP_2)
	v_subrev_nc_u32_e32 v100, 28, v97
	v_sub_nc_u32_e32 v97, 29, v97
	v_lshlrev_b64 v[100:101], v100, v[8:9]
	s_delay_alu instid0(VALU_DEP_1)
	v_and_b32_e32 v8, 7, v100
; %bb.135:                              ;   in Loop: Header=BB333_10 Depth=1
	s_or_b32 exec_lo, exec_lo, s21
	v_lshlrev_b32_e32 v99, 8, v99
	v_lshl_add_u32 v97, v97, 10, 0x2000
	s_delay_alu instid0(VALU_DEP_1) | instskip(NEXT) | instid1(VALU_DEP_1)
	v_and_or_b32 v97, 0x8000, v99, v97
	v_lshl_or_b32 v8, v8, 7, v97
	s_delay_alu instid0(VALU_DEP_1)
	v_cvt_f32_f16_e32 v97, v8
.LBB333_136:                            ;   in Loop: Header=BB333_10 Depth=1
	s_or_b32 exec_lo, exec_lo, s20
.LBB333_137:                            ;   in Loop: Header=BB333_10 Depth=1
	s_delay_alu instid0(SALU_CYCLE_1)
	s_or_b32 exec_lo, exec_lo, s19
.LBB333_138:                            ;   in Loop: Header=BB333_10 Depth=1
	s_delay_alu instid0(SALU_CYCLE_1) | instskip(SKIP_4) | instid1(VALU_DEP_1)
	s_or_b32 exec_lo, exec_lo, s3
	flat_load_b32 v103, v[28:29] offset:512
	s_mov_b32 s3, exec_lo
	s_waitcnt vmcnt(0) lgkmcnt(0)
	v_and_b32_e32 v8, 0xff, v103
	v_cmpx_ne_u16_e32 0, v8
	s_cbranch_execz .LBB333_146
; %bb.139:                              ;   in Loop: Header=BB333_10 Depth=1
	v_bfrev_b32_e32 v98, 1
	s_mov_b32 s19, exec_lo
	v_cmpx_ne_u16_e32 0x80, v8
	s_cbranch_execz .LBB333_145
; %bb.140:                              ;   in Loop: Header=BB333_10 Depth=1
	v_and_b32_e32 v99, 0x7f, v103
	v_mov_b32_e32 v98, 0x7fc02000
	s_mov_b32 s20, exec_lo
	s_delay_alu instid0(VALU_DEP_2)
	v_cmpx_ne_u32_e32 0x7f, v99
	s_cbranch_execz .LBB333_144
; %bb.141:                              ;   in Loop: Header=BB333_10 Depth=1
	v_and_b32_e32 v8, 7, v103
	v_lshrrev_b32_e32 v98, 3, v99
	s_mov_b32 s21, exec_lo
	v_cmpx_gt_u32_e32 8, v99
; %bb.142:                              ;   in Loop: Header=BB333_10 Depth=1
	s_delay_alu instid0(VALU_DEP_3) | instskip(NEXT) | instid1(VALU_DEP_1)
	v_clz_i32_u32_e32 v98, v8
	v_min_u32_e32 v98, 32, v98
	s_delay_alu instid0(VALU_DEP_1) | instskip(SKIP_1) | instid1(VALU_DEP_2)
	v_subrev_nc_u32_e32 v99, 28, v98
	v_sub_nc_u32_e32 v98, 29, v98
	v_lshlrev_b64 v[99:100], v99, v[8:9]
	s_delay_alu instid0(VALU_DEP_1)
	v_and_b32_e32 v8, 7, v99
; %bb.143:                              ;   in Loop: Header=BB333_10 Depth=1
	s_or_b32 exec_lo, exec_lo, s21
	v_lshlrev_b32_e32 v99, 8, v103
	v_lshl_add_u32 v98, v98, 10, 0x2000
	s_delay_alu instid0(VALU_DEP_1) | instskip(NEXT) | instid1(VALU_DEP_1)
	v_and_or_b32 v98, 0x8000, v99, v98
	v_lshl_or_b32 v8, v8, 7, v98
	s_delay_alu instid0(VALU_DEP_1)
	v_cvt_f32_f16_e32 v98, v8
.LBB333_144:                            ;   in Loop: Header=BB333_10 Depth=1
	s_or_b32 exec_lo, exec_lo, s20
.LBB333_145:                            ;   in Loop: Header=BB333_10 Depth=1
	s_delay_alu instid0(SALU_CYCLE_1)
	s_or_b32 exec_lo, exec_lo, s19
.LBB333_146:                            ;   in Loop: Header=BB333_10 Depth=1
	s_delay_alu instid0(SALU_CYCLE_1) | instskip(SKIP_3) | instid1(VALU_DEP_2)
	s_or_b32 exec_lo, exec_lo, s3
	v_lshrrev_b16 v8, 8, v103
	v_dual_mov_b32 v99, 0 :: v_dual_mov_b32 v100, 0
	s_mov_b32 s3, exec_lo
	v_cmpx_ne_u16_e32 0, v8
	s_cbranch_execz .LBB333_154
; %bb.147:                              ;   in Loop: Header=BB333_10 Depth=1
	v_bfrev_b32_e32 v100, 1
	s_mov_b32 s19, exec_lo
	v_cmpx_ne_u16_e32 0x80, v8
	s_cbranch_execz .LBB333_153
; %bb.148:                              ;   in Loop: Header=BB333_10 Depth=1
	v_and_b32_e32 v101, 0xffff, v8
	v_mov_b32_e32 v100, 0x7fc02000
	s_mov_b32 s20, exec_lo
	s_delay_alu instid0(VALU_DEP_2) | instskip(NEXT) | instid1(VALU_DEP_1)
	v_and_b32_e32 v102, 0x7f, v101
	v_cmpx_ne_u32_e32 0x7f, v102
	s_cbranch_execz .LBB333_152
; %bb.149:                              ;   in Loop: Header=BB333_10 Depth=1
	v_and_b32_e32 v8, 7, v101
	v_lshrrev_b32_e32 v100, 3, v102
	s_mov_b32 s21, exec_lo
	v_cmpx_gt_u32_e32 8, v102
; %bb.150:                              ;   in Loop: Header=BB333_10 Depth=1
	s_delay_alu instid0(VALU_DEP_3) | instskip(NEXT) | instid1(VALU_DEP_1)
	v_clz_i32_u32_e32 v100, v8
	v_min_u32_e32 v100, 32, v100
	s_delay_alu instid0(VALU_DEP_1) | instskip(SKIP_1) | instid1(VALU_DEP_2)
	v_subrev_nc_u32_e32 v102, 28, v100
	v_sub_nc_u32_e32 v100, 29, v100
	v_lshlrev_b64 v[112:113], v102, v[8:9]
	s_delay_alu instid0(VALU_DEP_1)
	v_and_b32_e32 v8, 7, v112
; %bb.151:                              ;   in Loop: Header=BB333_10 Depth=1
	s_or_b32 exec_lo, exec_lo, s21
	v_lshlrev_b32_e32 v101, 8, v101
	v_lshl_add_u32 v100, v100, 10, 0x2000
	s_delay_alu instid0(VALU_DEP_1) | instskip(NEXT) | instid1(VALU_DEP_1)
	v_and_or_b32 v100, 0x8000, v101, v100
	v_lshl_or_b32 v8, v8, 7, v100
	s_delay_alu instid0(VALU_DEP_1)
	v_cvt_f32_f16_e32 v100, v8
.LBB333_152:                            ;   in Loop: Header=BB333_10 Depth=1
	s_or_b32 exec_lo, exec_lo, s20
.LBB333_153:                            ;   in Loop: Header=BB333_10 Depth=1
	s_delay_alu instid0(SALU_CYCLE_1)
	s_or_b32 exec_lo, exec_lo, s19
.LBB333_154:                            ;   in Loop: Header=BB333_10 Depth=1
	s_delay_alu instid0(SALU_CYCLE_1) | instskip(SKIP_2) | instid1(VALU_DEP_1)
	s_or_b32 exec_lo, exec_lo, s3
	v_lshrrev_b32_e32 v101, 16, v103
	s_mov_b32 s3, exec_lo
	v_and_b32_e32 v8, 0xff, v101
	s_delay_alu instid0(VALU_DEP_1)
	v_cmpx_ne_u16_e32 0, v8
	s_cbranch_execz .LBB333_162
; %bb.155:                              ;   in Loop: Header=BB333_10 Depth=1
	v_bfrev_b32_e32 v99, 1
	s_mov_b32 s19, exec_lo
	v_cmpx_ne_u16_e32 0x80, v8
	s_cbranch_execz .LBB333_161
; %bb.156:                              ;   in Loop: Header=BB333_10 Depth=1
	v_bfe_u32 v102, v103, 16, 7
	v_mov_b32_e32 v99, 0x7fc02000
	s_mov_b32 s20, exec_lo
	s_delay_alu instid0(VALU_DEP_2)
	v_cmpx_ne_u32_e32 0x7f, v102
	s_cbranch_execz .LBB333_160
; %bb.157:                              ;   in Loop: Header=BB333_10 Depth=1
	v_and_b32_e32 v8, 7, v101
	v_lshrrev_b32_e32 v99, 3, v102
	s_mov_b32 s21, exec_lo
	v_cmpx_gt_u32_e32 8, v102
; %bb.158:                              ;   in Loop: Header=BB333_10 Depth=1
	s_delay_alu instid0(VALU_DEP_3) | instskip(NEXT) | instid1(VALU_DEP_1)
	v_clz_i32_u32_e32 v99, v8
	v_min_u32_e32 v99, 32, v99
	s_delay_alu instid0(VALU_DEP_1) | instskip(SKIP_1) | instid1(VALU_DEP_2)
	v_subrev_nc_u32_e32 v102, 28, v99
	v_sub_nc_u32_e32 v99, 29, v99
	v_lshlrev_b64 v[112:113], v102, v[8:9]
	s_delay_alu instid0(VALU_DEP_1)
	v_and_b32_e32 v8, 7, v112
; %bb.159:                              ;   in Loop: Header=BB333_10 Depth=1
	s_or_b32 exec_lo, exec_lo, s21
	v_lshlrev_b32_e32 v101, 8, v101
	v_lshl_add_u32 v99, v99, 10, 0x2000
	s_delay_alu instid0(VALU_DEP_1) | instskip(NEXT) | instid1(VALU_DEP_1)
	v_and_or_b32 v99, 0x8000, v101, v99
	v_lshl_or_b32 v8, v8, 7, v99
	s_delay_alu instid0(VALU_DEP_1)
	v_cvt_f32_f16_e32 v99, v8
.LBB333_160:                            ;   in Loop: Header=BB333_10 Depth=1
	s_or_b32 exec_lo, exec_lo, s20
.LBB333_161:                            ;   in Loop: Header=BB333_10 Depth=1
	s_delay_alu instid0(SALU_CYCLE_1)
	s_or_b32 exec_lo, exec_lo, s19
.LBB333_162:                            ;   in Loop: Header=BB333_10 Depth=1
	s_delay_alu instid0(SALU_CYCLE_1)
	s_or_b32 exec_lo, exec_lo, s3
	v_dual_mov_b32 v102, 0 :: v_dual_mov_b32 v101, 0
	s_mov_b32 s3, exec_lo
	v_cmpx_lt_u32_e32 0xffffff, v103
	s_cbranch_execz .LBB333_170
; %bb.163:                              ;   in Loop: Header=BB333_10 Depth=1
	v_lshrrev_b32_e32 v103, 24, v103
	v_bfrev_b32_e32 v101, 1
	s_mov_b32 s19, exec_lo
	s_delay_alu instid0(VALU_DEP_2)
	v_cmpx_ne_u32_e32 0x80, v103
	s_cbranch_execz .LBB333_169
; %bb.164:                              ;   in Loop: Header=BB333_10 Depth=1
	v_and_b32_e32 v112, 0x7f, v103
	v_mov_b32_e32 v101, 0x7fc02000
	s_mov_b32 s20, exec_lo
	s_delay_alu instid0(VALU_DEP_2)
	v_cmpx_ne_u32_e32 0x7f, v112
	s_cbranch_execz .LBB333_168
; %bb.165:                              ;   in Loop: Header=BB333_10 Depth=1
	v_and_b32_e32 v8, 7, v103
	v_lshrrev_b32_e32 v101, 3, v112
	s_mov_b32 s21, exec_lo
	v_cmpx_gt_u32_e32 8, v112
; %bb.166:                              ;   in Loop: Header=BB333_10 Depth=1
	s_delay_alu instid0(VALU_DEP_3) | instskip(NEXT) | instid1(VALU_DEP_1)
	v_clz_i32_u32_e32 v101, v8
	v_min_u32_e32 v101, 32, v101
	s_delay_alu instid0(VALU_DEP_1) | instskip(SKIP_1) | instid1(VALU_DEP_2)
	v_subrev_nc_u32_e32 v112, 28, v101
	v_sub_nc_u32_e32 v101, 29, v101
	v_lshlrev_b64 v[112:113], v112, v[8:9]
	s_delay_alu instid0(VALU_DEP_1)
	v_and_b32_e32 v8, 7, v112
; %bb.167:                              ;   in Loop: Header=BB333_10 Depth=1
	s_or_b32 exec_lo, exec_lo, s21
	v_lshlrev_b32_e32 v103, 8, v103
	v_lshl_add_u32 v101, v101, 10, 0x2000
	s_delay_alu instid0(VALU_DEP_1) | instskip(NEXT) | instid1(VALU_DEP_1)
	v_and_or_b32 v101, 0x8000, v103, v101
	v_lshl_or_b32 v8, v8, 7, v101
	s_delay_alu instid0(VALU_DEP_1)
	v_cvt_f32_f16_e32 v101, v8
.LBB333_168:                            ;   in Loop: Header=BB333_10 Depth=1
	s_or_b32 exec_lo, exec_lo, s20
.LBB333_169:                            ;   in Loop: Header=BB333_10 Depth=1
	s_delay_alu instid0(SALU_CYCLE_1)
	s_or_b32 exec_lo, exec_lo, s19
.LBB333_170:                            ;   in Loop: Header=BB333_10 Depth=1
	s_delay_alu instid0(SALU_CYCLE_1) | instskip(SKIP_4) | instid1(VALU_DEP_1)
	s_or_b32 exec_lo, exec_lo, s3
	flat_load_b32 v115, v[28:29] offset:520
	s_mov_b32 s3, exec_lo
	s_waitcnt vmcnt(0) lgkmcnt(0)
	v_and_b32_e32 v8, 0xff, v115
	v_cmpx_ne_u16_e32 0, v8
	s_cbranch_execz .LBB333_178
; %bb.171:                              ;   in Loop: Header=BB333_10 Depth=1
	v_bfrev_b32_e32 v102, 1
	s_mov_b32 s19, exec_lo
	v_cmpx_ne_u16_e32 0x80, v8
	s_cbranch_execz .LBB333_177
; %bb.172:                              ;   in Loop: Header=BB333_10 Depth=1
	v_and_b32_e32 v103, 0x7f, v115
	v_mov_b32_e32 v102, 0x7fc02000
	s_mov_b32 s20, exec_lo
	s_delay_alu instid0(VALU_DEP_2)
	v_cmpx_ne_u32_e32 0x7f, v103
	s_cbranch_execz .LBB333_176
; %bb.173:                              ;   in Loop: Header=BB333_10 Depth=1
	v_and_b32_e32 v8, 7, v115
	v_lshrrev_b32_e32 v102, 3, v103
	s_mov_b32 s21, exec_lo
	v_cmpx_gt_u32_e32 8, v103
; %bb.174:                              ;   in Loop: Header=BB333_10 Depth=1
	s_delay_alu instid0(VALU_DEP_3) | instskip(NEXT) | instid1(VALU_DEP_1)
	v_clz_i32_u32_e32 v102, v8
	v_min_u32_e32 v102, 32, v102
	s_delay_alu instid0(VALU_DEP_1) | instskip(SKIP_1) | instid1(VALU_DEP_2)
	v_subrev_nc_u32_e32 v103, 28, v102
	v_sub_nc_u32_e32 v102, 29, v102
	v_lshlrev_b64 v[112:113], v103, v[8:9]
	s_delay_alu instid0(VALU_DEP_1)
	v_and_b32_e32 v8, 7, v112
; %bb.175:                              ;   in Loop: Header=BB333_10 Depth=1
	s_or_b32 exec_lo, exec_lo, s21
	v_lshlrev_b32_e32 v103, 8, v115
	v_lshl_add_u32 v102, v102, 10, 0x2000
	s_delay_alu instid0(VALU_DEP_1) | instskip(NEXT) | instid1(VALU_DEP_1)
	v_and_or_b32 v102, 0x8000, v103, v102
	v_lshl_or_b32 v8, v8, 7, v102
	s_delay_alu instid0(VALU_DEP_1)
	v_cvt_f32_f16_e32 v102, v8
.LBB333_176:                            ;   in Loop: Header=BB333_10 Depth=1
	s_or_b32 exec_lo, exec_lo, s20
.LBB333_177:                            ;   in Loop: Header=BB333_10 Depth=1
	s_delay_alu instid0(SALU_CYCLE_1)
	s_or_b32 exec_lo, exec_lo, s19
.LBB333_178:                            ;   in Loop: Header=BB333_10 Depth=1
	s_delay_alu instid0(SALU_CYCLE_1) | instskip(SKIP_3) | instid1(VALU_DEP_2)
	s_or_b32 exec_lo, exec_lo, s3
	v_lshrrev_b16 v8, 8, v115
	v_dual_mov_b32 v103, 0 :: v_dual_mov_b32 v112, 0
	s_mov_b32 s3, exec_lo
	v_cmpx_ne_u16_e32 0, v8
	s_cbranch_execz .LBB333_186
; %bb.179:                              ;   in Loop: Header=BB333_10 Depth=1
	v_bfrev_b32_e32 v112, 1
	s_mov_b32 s19, exec_lo
	v_cmpx_ne_u16_e32 0x80, v8
	s_cbranch_execz .LBB333_185
; %bb.180:                              ;   in Loop: Header=BB333_10 Depth=1
	v_and_b32_e32 v113, 0xffff, v8
	v_mov_b32_e32 v112, 0x7fc02000
	s_mov_b32 s20, exec_lo
	s_delay_alu instid0(VALU_DEP_2) | instskip(NEXT) | instid1(VALU_DEP_1)
	v_and_b32_e32 v114, 0x7f, v113
	v_cmpx_ne_u32_e32 0x7f, v114
	s_cbranch_execz .LBB333_184
; %bb.181:                              ;   in Loop: Header=BB333_10 Depth=1
	v_and_b32_e32 v8, 7, v113
	v_lshrrev_b32_e32 v112, 3, v114
	s_mov_b32 s21, exec_lo
	v_cmpx_gt_u32_e32 8, v114
; %bb.182:                              ;   in Loop: Header=BB333_10 Depth=1
	s_delay_alu instid0(VALU_DEP_3) | instskip(NEXT) | instid1(VALU_DEP_1)
	v_clz_i32_u32_e32 v112, v8
	v_min_u32_e32 v112, 32, v112
	s_delay_alu instid0(VALU_DEP_1) | instskip(SKIP_1) | instid1(VALU_DEP_2)
	v_subrev_nc_u32_e32 v114, 28, v112
	v_sub_nc_u32_e32 v112, 29, v112
	v_lshlrev_b64 v[116:117], v114, v[8:9]
	s_delay_alu instid0(VALU_DEP_1)
	v_and_b32_e32 v8, 7, v116
; %bb.183:                              ;   in Loop: Header=BB333_10 Depth=1
	s_or_b32 exec_lo, exec_lo, s21
	v_lshlrev_b32_e32 v113, 8, v113
	v_lshl_add_u32 v112, v112, 10, 0x2000
	s_delay_alu instid0(VALU_DEP_1) | instskip(NEXT) | instid1(VALU_DEP_1)
	v_and_or_b32 v112, 0x8000, v113, v112
	v_lshl_or_b32 v8, v8, 7, v112
	s_delay_alu instid0(VALU_DEP_1)
	v_cvt_f32_f16_e32 v112, v8
.LBB333_184:                            ;   in Loop: Header=BB333_10 Depth=1
	s_or_b32 exec_lo, exec_lo, s20
.LBB333_185:                            ;   in Loop: Header=BB333_10 Depth=1
	s_delay_alu instid0(SALU_CYCLE_1)
	s_or_b32 exec_lo, exec_lo, s19
.LBB333_186:                            ;   in Loop: Header=BB333_10 Depth=1
	s_delay_alu instid0(SALU_CYCLE_1) | instskip(SKIP_2) | instid1(VALU_DEP_1)
	s_or_b32 exec_lo, exec_lo, s3
	v_lshrrev_b32_e32 v113, 16, v115
	s_mov_b32 s3, exec_lo
	v_and_b32_e32 v8, 0xff, v113
	s_delay_alu instid0(VALU_DEP_1)
	v_cmpx_ne_u16_e32 0, v8
	s_cbranch_execz .LBB333_194
; %bb.187:                              ;   in Loop: Header=BB333_10 Depth=1
	v_bfrev_b32_e32 v103, 1
	s_mov_b32 s19, exec_lo
	v_cmpx_ne_u16_e32 0x80, v8
	s_cbranch_execz .LBB333_193
; %bb.188:                              ;   in Loop: Header=BB333_10 Depth=1
	v_bfe_u32 v114, v115, 16, 7
	v_mov_b32_e32 v103, 0x7fc02000
	s_mov_b32 s20, exec_lo
	s_delay_alu instid0(VALU_DEP_2)
	v_cmpx_ne_u32_e32 0x7f, v114
	s_cbranch_execz .LBB333_192
; %bb.189:                              ;   in Loop: Header=BB333_10 Depth=1
	v_and_b32_e32 v8, 7, v113
	v_lshrrev_b32_e32 v103, 3, v114
	s_mov_b32 s21, exec_lo
	v_cmpx_gt_u32_e32 8, v114
; %bb.190:                              ;   in Loop: Header=BB333_10 Depth=1
	s_delay_alu instid0(VALU_DEP_3) | instskip(NEXT) | instid1(VALU_DEP_1)
	v_clz_i32_u32_e32 v103, v8
	v_min_u32_e32 v103, 32, v103
	s_delay_alu instid0(VALU_DEP_1) | instskip(SKIP_1) | instid1(VALU_DEP_2)
	v_subrev_nc_u32_e32 v114, 28, v103
	v_sub_nc_u32_e32 v103, 29, v103
	v_lshlrev_b64 v[116:117], v114, v[8:9]
	s_delay_alu instid0(VALU_DEP_1)
	v_and_b32_e32 v8, 7, v116
; %bb.191:                              ;   in Loop: Header=BB333_10 Depth=1
	s_or_b32 exec_lo, exec_lo, s21
	v_lshlrev_b32_e32 v113, 8, v113
	v_lshl_add_u32 v103, v103, 10, 0x2000
	s_delay_alu instid0(VALU_DEP_1) | instskip(NEXT) | instid1(VALU_DEP_1)
	v_and_or_b32 v103, 0x8000, v113, v103
	v_lshl_or_b32 v8, v8, 7, v103
	s_delay_alu instid0(VALU_DEP_1)
	v_cvt_f32_f16_e32 v103, v8
.LBB333_192:                            ;   in Loop: Header=BB333_10 Depth=1
	s_or_b32 exec_lo, exec_lo, s20
.LBB333_193:                            ;   in Loop: Header=BB333_10 Depth=1
	s_delay_alu instid0(SALU_CYCLE_1)
	s_or_b32 exec_lo, exec_lo, s19
.LBB333_194:                            ;   in Loop: Header=BB333_10 Depth=1
	s_delay_alu instid0(SALU_CYCLE_1)
	s_or_b32 exec_lo, exec_lo, s3
	v_dual_mov_b32 v114, 0 :: v_dual_mov_b32 v113, 0
	s_mov_b32 s3, exec_lo
	v_cmpx_lt_u32_e32 0xffffff, v115
	s_cbranch_execz .LBB333_202
; %bb.195:                              ;   in Loop: Header=BB333_10 Depth=1
	v_lshrrev_b32_e32 v115, 24, v115
	v_bfrev_b32_e32 v113, 1
	s_mov_b32 s19, exec_lo
	s_delay_alu instid0(VALU_DEP_2)
	v_cmpx_ne_u32_e32 0x80, v115
	s_cbranch_execz .LBB333_201
; %bb.196:                              ;   in Loop: Header=BB333_10 Depth=1
	v_and_b32_e32 v116, 0x7f, v115
	v_mov_b32_e32 v113, 0x7fc02000
	s_mov_b32 s20, exec_lo
	s_delay_alu instid0(VALU_DEP_2)
	v_cmpx_ne_u32_e32 0x7f, v116
	s_cbranch_execz .LBB333_200
; %bb.197:                              ;   in Loop: Header=BB333_10 Depth=1
	v_and_b32_e32 v8, 7, v115
	v_lshrrev_b32_e32 v113, 3, v116
	s_mov_b32 s21, exec_lo
	v_cmpx_gt_u32_e32 8, v116
; %bb.198:                              ;   in Loop: Header=BB333_10 Depth=1
	s_delay_alu instid0(VALU_DEP_3) | instskip(NEXT) | instid1(VALU_DEP_1)
	v_clz_i32_u32_e32 v113, v8
	v_min_u32_e32 v113, 32, v113
	s_delay_alu instid0(VALU_DEP_1) | instskip(SKIP_1) | instid1(VALU_DEP_2)
	v_subrev_nc_u32_e32 v116, 28, v113
	v_sub_nc_u32_e32 v113, 29, v113
	v_lshlrev_b64 v[116:117], v116, v[8:9]
	s_delay_alu instid0(VALU_DEP_1)
	v_and_b32_e32 v8, 7, v116
; %bb.199:                              ;   in Loop: Header=BB333_10 Depth=1
	s_or_b32 exec_lo, exec_lo, s21
	v_lshlrev_b32_e32 v115, 8, v115
	v_lshl_add_u32 v113, v113, 10, 0x2000
	s_delay_alu instid0(VALU_DEP_1) | instskip(NEXT) | instid1(VALU_DEP_1)
	v_and_or_b32 v113, 0x8000, v115, v113
	v_lshl_or_b32 v8, v8, 7, v113
	s_delay_alu instid0(VALU_DEP_1)
	v_cvt_f32_f16_e32 v113, v8
.LBB333_200:                            ;   in Loop: Header=BB333_10 Depth=1
	s_or_b32 exec_lo, exec_lo, s20
.LBB333_201:                            ;   in Loop: Header=BB333_10 Depth=1
	s_delay_alu instid0(SALU_CYCLE_1)
	s_or_b32 exec_lo, exec_lo, s19
.LBB333_202:                            ;   in Loop: Header=BB333_10 Depth=1
	s_delay_alu instid0(SALU_CYCLE_1) | instskip(SKIP_4) | instid1(VALU_DEP_1)
	s_or_b32 exec_lo, exec_lo, s3
	flat_load_b32 v119, v[28:29] offset:768
	s_mov_b32 s3, exec_lo
	s_waitcnt vmcnt(0) lgkmcnt(0)
	v_and_b32_e32 v8, 0xff, v119
	v_cmpx_ne_u16_e32 0, v8
	s_cbranch_execz .LBB333_210
; %bb.203:                              ;   in Loop: Header=BB333_10 Depth=1
	v_bfrev_b32_e32 v114, 1
	s_mov_b32 s19, exec_lo
	v_cmpx_ne_u16_e32 0x80, v8
	s_cbranch_execz .LBB333_209
; %bb.204:                              ;   in Loop: Header=BB333_10 Depth=1
	v_and_b32_e32 v115, 0x7f, v119
	v_mov_b32_e32 v114, 0x7fc02000
	s_mov_b32 s20, exec_lo
	s_delay_alu instid0(VALU_DEP_2)
	v_cmpx_ne_u32_e32 0x7f, v115
	s_cbranch_execz .LBB333_208
; %bb.205:                              ;   in Loop: Header=BB333_10 Depth=1
	v_and_b32_e32 v8, 7, v119
	v_lshrrev_b32_e32 v114, 3, v115
	s_mov_b32 s21, exec_lo
	v_cmpx_gt_u32_e32 8, v115
; %bb.206:                              ;   in Loop: Header=BB333_10 Depth=1
	s_delay_alu instid0(VALU_DEP_3) | instskip(NEXT) | instid1(VALU_DEP_1)
	v_clz_i32_u32_e32 v114, v8
	v_min_u32_e32 v114, 32, v114
	s_delay_alu instid0(VALU_DEP_1) | instskip(SKIP_1) | instid1(VALU_DEP_2)
	v_subrev_nc_u32_e32 v115, 28, v114
	v_sub_nc_u32_e32 v114, 29, v114
	v_lshlrev_b64 v[115:116], v115, v[8:9]
	s_delay_alu instid0(VALU_DEP_1)
	v_and_b32_e32 v8, 7, v115
; %bb.207:                              ;   in Loop: Header=BB333_10 Depth=1
	s_or_b32 exec_lo, exec_lo, s21
	v_lshlrev_b32_e32 v115, 8, v119
	v_lshl_add_u32 v114, v114, 10, 0x2000
	s_delay_alu instid0(VALU_DEP_1) | instskip(NEXT) | instid1(VALU_DEP_1)
	v_and_or_b32 v114, 0x8000, v115, v114
	v_lshl_or_b32 v8, v8, 7, v114
	s_delay_alu instid0(VALU_DEP_1)
	v_cvt_f32_f16_e32 v114, v8
.LBB333_208:                            ;   in Loop: Header=BB333_10 Depth=1
	s_or_b32 exec_lo, exec_lo, s20
.LBB333_209:                            ;   in Loop: Header=BB333_10 Depth=1
	s_delay_alu instid0(SALU_CYCLE_1)
	s_or_b32 exec_lo, exec_lo, s19
.LBB333_210:                            ;   in Loop: Header=BB333_10 Depth=1
	s_delay_alu instid0(SALU_CYCLE_1) | instskip(SKIP_3) | instid1(VALU_DEP_2)
	s_or_b32 exec_lo, exec_lo, s3
	v_lshrrev_b16 v8, 8, v119
	v_dual_mov_b32 v115, 0 :: v_dual_mov_b32 v116, 0
	s_mov_b32 s3, exec_lo
	v_cmpx_ne_u16_e32 0, v8
	s_cbranch_execz .LBB333_218
; %bb.211:                              ;   in Loop: Header=BB333_10 Depth=1
	v_bfrev_b32_e32 v116, 1
	s_mov_b32 s19, exec_lo
	v_cmpx_ne_u16_e32 0x80, v8
	s_cbranch_execz .LBB333_217
; %bb.212:                              ;   in Loop: Header=BB333_10 Depth=1
	v_and_b32_e32 v117, 0xffff, v8
	v_mov_b32_e32 v116, 0x7fc02000
	s_mov_b32 s20, exec_lo
	s_delay_alu instid0(VALU_DEP_2) | instskip(NEXT) | instid1(VALU_DEP_1)
	v_and_b32_e32 v118, 0x7f, v117
	v_cmpx_ne_u32_e32 0x7f, v118
	s_cbranch_execz .LBB333_216
; %bb.213:                              ;   in Loop: Header=BB333_10 Depth=1
	v_and_b32_e32 v8, 7, v117
	v_lshrrev_b32_e32 v116, 3, v118
	s_mov_b32 s21, exec_lo
	v_cmpx_gt_u32_e32 8, v118
; %bb.214:                              ;   in Loop: Header=BB333_10 Depth=1
	s_delay_alu instid0(VALU_DEP_3) | instskip(NEXT) | instid1(VALU_DEP_1)
	v_clz_i32_u32_e32 v116, v8
	v_min_u32_e32 v116, 32, v116
	s_delay_alu instid0(VALU_DEP_1) | instskip(SKIP_1) | instid1(VALU_DEP_2)
	v_subrev_nc_u32_e32 v118, 28, v116
	v_sub_nc_u32_e32 v116, 29, v116
	v_lshlrev_b64 v[128:129], v118, v[8:9]
	s_delay_alu instid0(VALU_DEP_1)
	v_and_b32_e32 v8, 7, v128
; %bb.215:                              ;   in Loop: Header=BB333_10 Depth=1
	s_or_b32 exec_lo, exec_lo, s21
	v_lshlrev_b32_e32 v117, 8, v117
	v_lshl_add_u32 v116, v116, 10, 0x2000
	s_delay_alu instid0(VALU_DEP_1) | instskip(NEXT) | instid1(VALU_DEP_1)
	v_and_or_b32 v116, 0x8000, v117, v116
	v_lshl_or_b32 v8, v8, 7, v116
	s_delay_alu instid0(VALU_DEP_1)
	v_cvt_f32_f16_e32 v116, v8
.LBB333_216:                            ;   in Loop: Header=BB333_10 Depth=1
	s_or_b32 exec_lo, exec_lo, s20
.LBB333_217:                            ;   in Loop: Header=BB333_10 Depth=1
	s_delay_alu instid0(SALU_CYCLE_1)
	s_or_b32 exec_lo, exec_lo, s19
.LBB333_218:                            ;   in Loop: Header=BB333_10 Depth=1
	s_delay_alu instid0(SALU_CYCLE_1) | instskip(SKIP_2) | instid1(VALU_DEP_1)
	s_or_b32 exec_lo, exec_lo, s3
	v_lshrrev_b32_e32 v117, 16, v119
	s_mov_b32 s3, exec_lo
	v_and_b32_e32 v8, 0xff, v117
	s_delay_alu instid0(VALU_DEP_1)
	v_cmpx_ne_u16_e32 0, v8
	s_cbranch_execz .LBB333_226
; %bb.219:                              ;   in Loop: Header=BB333_10 Depth=1
	v_bfrev_b32_e32 v115, 1
	s_mov_b32 s19, exec_lo
	v_cmpx_ne_u16_e32 0x80, v8
	s_cbranch_execz .LBB333_225
; %bb.220:                              ;   in Loop: Header=BB333_10 Depth=1
	v_bfe_u32 v118, v119, 16, 7
	v_mov_b32_e32 v115, 0x7fc02000
	s_mov_b32 s20, exec_lo
	s_delay_alu instid0(VALU_DEP_2)
	v_cmpx_ne_u32_e32 0x7f, v118
	s_cbranch_execz .LBB333_224
; %bb.221:                              ;   in Loop: Header=BB333_10 Depth=1
	v_and_b32_e32 v8, 7, v117
	v_lshrrev_b32_e32 v115, 3, v118
	s_mov_b32 s21, exec_lo
	v_cmpx_gt_u32_e32 8, v118
; %bb.222:                              ;   in Loop: Header=BB333_10 Depth=1
	s_delay_alu instid0(VALU_DEP_3) | instskip(NEXT) | instid1(VALU_DEP_1)
	v_clz_i32_u32_e32 v115, v8
	v_min_u32_e32 v115, 32, v115
	s_delay_alu instid0(VALU_DEP_1) | instskip(SKIP_1) | instid1(VALU_DEP_2)
	v_subrev_nc_u32_e32 v118, 28, v115
	v_sub_nc_u32_e32 v115, 29, v115
	v_lshlrev_b64 v[128:129], v118, v[8:9]
	s_delay_alu instid0(VALU_DEP_1)
	v_and_b32_e32 v8, 7, v128
; %bb.223:                              ;   in Loop: Header=BB333_10 Depth=1
	s_or_b32 exec_lo, exec_lo, s21
	v_lshlrev_b32_e32 v117, 8, v117
	v_lshl_add_u32 v115, v115, 10, 0x2000
	s_delay_alu instid0(VALU_DEP_1) | instskip(NEXT) | instid1(VALU_DEP_1)
	v_and_or_b32 v115, 0x8000, v117, v115
	v_lshl_or_b32 v8, v8, 7, v115
	s_delay_alu instid0(VALU_DEP_1)
	v_cvt_f32_f16_e32 v115, v8
.LBB333_224:                            ;   in Loop: Header=BB333_10 Depth=1
	s_or_b32 exec_lo, exec_lo, s20
.LBB333_225:                            ;   in Loop: Header=BB333_10 Depth=1
	s_delay_alu instid0(SALU_CYCLE_1)
	s_or_b32 exec_lo, exec_lo, s19
.LBB333_226:                            ;   in Loop: Header=BB333_10 Depth=1
	s_delay_alu instid0(SALU_CYCLE_1)
	s_or_b32 exec_lo, exec_lo, s3
	v_dual_mov_b32 v118, 0 :: v_dual_mov_b32 v117, 0
	s_mov_b32 s3, exec_lo
	v_cmpx_lt_u32_e32 0xffffff, v119
	s_cbranch_execz .LBB333_234
; %bb.227:                              ;   in Loop: Header=BB333_10 Depth=1
	v_lshrrev_b32_e32 v119, 24, v119
	v_bfrev_b32_e32 v117, 1
	s_mov_b32 s19, exec_lo
	s_delay_alu instid0(VALU_DEP_2)
	v_cmpx_ne_u32_e32 0x80, v119
	s_cbranch_execz .LBB333_233
; %bb.228:                              ;   in Loop: Header=BB333_10 Depth=1
	v_and_b32_e32 v128, 0x7f, v119
	v_mov_b32_e32 v117, 0x7fc02000
	s_mov_b32 s20, exec_lo
	s_delay_alu instid0(VALU_DEP_2)
	v_cmpx_ne_u32_e32 0x7f, v128
	s_cbranch_execz .LBB333_232
; %bb.229:                              ;   in Loop: Header=BB333_10 Depth=1
	v_and_b32_e32 v8, 7, v119
	v_lshrrev_b32_e32 v117, 3, v128
	s_mov_b32 s21, exec_lo
	v_cmpx_gt_u32_e32 8, v128
; %bb.230:                              ;   in Loop: Header=BB333_10 Depth=1
	s_delay_alu instid0(VALU_DEP_3) | instskip(NEXT) | instid1(VALU_DEP_1)
	v_clz_i32_u32_e32 v117, v8
	v_min_u32_e32 v117, 32, v117
	s_delay_alu instid0(VALU_DEP_1) | instskip(SKIP_1) | instid1(VALU_DEP_2)
	v_subrev_nc_u32_e32 v128, 28, v117
	v_sub_nc_u32_e32 v117, 29, v117
	v_lshlrev_b64 v[128:129], v128, v[8:9]
	s_delay_alu instid0(VALU_DEP_1)
	v_and_b32_e32 v8, 7, v128
; %bb.231:                              ;   in Loop: Header=BB333_10 Depth=1
	s_or_b32 exec_lo, exec_lo, s21
	v_lshlrev_b32_e32 v119, 8, v119
	v_lshl_add_u32 v117, v117, 10, 0x2000
	s_delay_alu instid0(VALU_DEP_1) | instskip(NEXT) | instid1(VALU_DEP_1)
	v_and_or_b32 v117, 0x8000, v119, v117
	v_lshl_or_b32 v8, v8, 7, v117
	s_delay_alu instid0(VALU_DEP_1)
	v_cvt_f32_f16_e32 v117, v8
.LBB333_232:                            ;   in Loop: Header=BB333_10 Depth=1
	s_or_b32 exec_lo, exec_lo, s20
.LBB333_233:                            ;   in Loop: Header=BB333_10 Depth=1
	s_delay_alu instid0(SALU_CYCLE_1)
	s_or_b32 exec_lo, exec_lo, s19
.LBB333_234:                            ;   in Loop: Header=BB333_10 Depth=1
	s_delay_alu instid0(SALU_CYCLE_1) | instskip(SKIP_4) | instid1(VALU_DEP_1)
	s_or_b32 exec_lo, exec_lo, s3
	flat_load_b32 v131, v[28:29] offset:776
	s_mov_b32 s3, exec_lo
	s_waitcnt vmcnt(0) lgkmcnt(0)
	v_and_b32_e32 v8, 0xff, v131
	v_cmpx_ne_u16_e32 0, v8
	s_cbranch_execz .LBB333_242
; %bb.235:                              ;   in Loop: Header=BB333_10 Depth=1
	v_bfrev_b32_e32 v118, 1
	s_mov_b32 s19, exec_lo
	v_cmpx_ne_u16_e32 0x80, v8
	s_cbranch_execz .LBB333_241
; %bb.236:                              ;   in Loop: Header=BB333_10 Depth=1
	v_and_b32_e32 v119, 0x7f, v131
	v_mov_b32_e32 v118, 0x7fc02000
	s_mov_b32 s20, exec_lo
	s_delay_alu instid0(VALU_DEP_2)
	v_cmpx_ne_u32_e32 0x7f, v119
	s_cbranch_execz .LBB333_240
; %bb.237:                              ;   in Loop: Header=BB333_10 Depth=1
	v_and_b32_e32 v8, 7, v131
	v_lshrrev_b32_e32 v118, 3, v119
	s_mov_b32 s21, exec_lo
	v_cmpx_gt_u32_e32 8, v119
; %bb.238:                              ;   in Loop: Header=BB333_10 Depth=1
	s_delay_alu instid0(VALU_DEP_3) | instskip(NEXT) | instid1(VALU_DEP_1)
	v_clz_i32_u32_e32 v118, v8
	v_min_u32_e32 v118, 32, v118
	s_delay_alu instid0(VALU_DEP_1) | instskip(SKIP_1) | instid1(VALU_DEP_2)
	v_subrev_nc_u32_e32 v119, 28, v118
	v_sub_nc_u32_e32 v118, 29, v118
	v_lshlrev_b64 v[128:129], v119, v[8:9]
	s_delay_alu instid0(VALU_DEP_1)
	v_and_b32_e32 v8, 7, v128
; %bb.239:                              ;   in Loop: Header=BB333_10 Depth=1
	s_or_b32 exec_lo, exec_lo, s21
	v_lshlrev_b32_e32 v119, 8, v131
	v_lshl_add_u32 v118, v118, 10, 0x2000
	s_delay_alu instid0(VALU_DEP_1) | instskip(NEXT) | instid1(VALU_DEP_1)
	v_and_or_b32 v118, 0x8000, v119, v118
	v_lshl_or_b32 v8, v8, 7, v118
	s_delay_alu instid0(VALU_DEP_1)
	v_cvt_f32_f16_e32 v118, v8
.LBB333_240:                            ;   in Loop: Header=BB333_10 Depth=1
	s_or_b32 exec_lo, exec_lo, s20
.LBB333_241:                            ;   in Loop: Header=BB333_10 Depth=1
	s_delay_alu instid0(SALU_CYCLE_1)
	s_or_b32 exec_lo, exec_lo, s19
.LBB333_242:                            ;   in Loop: Header=BB333_10 Depth=1
	s_delay_alu instid0(SALU_CYCLE_1) | instskip(SKIP_3) | instid1(VALU_DEP_2)
	s_or_b32 exec_lo, exec_lo, s3
	v_lshrrev_b16 v8, 8, v131
	v_dual_mov_b32 v119, 0 :: v_dual_mov_b32 v128, 0
	s_mov_b32 s3, exec_lo
	v_cmpx_ne_u16_e32 0, v8
	s_cbranch_execz .LBB333_250
; %bb.243:                              ;   in Loop: Header=BB333_10 Depth=1
	v_bfrev_b32_e32 v128, 1
	s_mov_b32 s19, exec_lo
	v_cmpx_ne_u16_e32 0x80, v8
	s_cbranch_execz .LBB333_249
; %bb.244:                              ;   in Loop: Header=BB333_10 Depth=1
	v_and_b32_e32 v129, 0xffff, v8
	v_mov_b32_e32 v128, 0x7fc02000
	s_mov_b32 s20, exec_lo
	s_delay_alu instid0(VALU_DEP_2) | instskip(NEXT) | instid1(VALU_DEP_1)
	v_and_b32_e32 v130, 0x7f, v129
	v_cmpx_ne_u32_e32 0x7f, v130
	s_cbranch_execz .LBB333_248
; %bb.245:                              ;   in Loop: Header=BB333_10 Depth=1
	v_and_b32_e32 v8, 7, v129
	v_lshrrev_b32_e32 v128, 3, v130
	s_mov_b32 s21, exec_lo
	v_cmpx_gt_u32_e32 8, v130
; %bb.246:                              ;   in Loop: Header=BB333_10 Depth=1
	s_delay_alu instid0(VALU_DEP_3) | instskip(NEXT) | instid1(VALU_DEP_1)
	v_clz_i32_u32_e32 v128, v8
	v_min_u32_e32 v128, 32, v128
	s_delay_alu instid0(VALU_DEP_1) | instskip(SKIP_1) | instid1(VALU_DEP_2)
	v_subrev_nc_u32_e32 v130, 28, v128
	v_sub_nc_u32_e32 v128, 29, v128
	v_lshlrev_b64 v[132:133], v130, v[8:9]
	s_delay_alu instid0(VALU_DEP_1)
	v_and_b32_e32 v8, 7, v132
; %bb.247:                              ;   in Loop: Header=BB333_10 Depth=1
	s_or_b32 exec_lo, exec_lo, s21
	v_lshlrev_b32_e32 v129, 8, v129
	v_lshl_add_u32 v128, v128, 10, 0x2000
	s_delay_alu instid0(VALU_DEP_1) | instskip(NEXT) | instid1(VALU_DEP_1)
	v_and_or_b32 v128, 0x8000, v129, v128
	v_lshl_or_b32 v8, v8, 7, v128
	s_delay_alu instid0(VALU_DEP_1)
	v_cvt_f32_f16_e64 v128, v8
.LBB333_248:                            ;   in Loop: Header=BB333_10 Depth=1
	s_or_b32 exec_lo, exec_lo, s20
.LBB333_249:                            ;   in Loop: Header=BB333_10 Depth=1
	s_delay_alu instid0(SALU_CYCLE_1)
	s_or_b32 exec_lo, exec_lo, s19
.LBB333_250:                            ;   in Loop: Header=BB333_10 Depth=1
	s_delay_alu instid0(SALU_CYCLE_1) | instskip(SKIP_2) | instid1(VALU_DEP_1)
	s_or_b32 exec_lo, exec_lo, s3
	v_lshrrev_b32_e32 v129, 16, v131
	s_mov_b32 s3, exec_lo
	v_and_b32_e32 v8, 0xff, v129
	s_delay_alu instid0(VALU_DEP_1)
	v_cmpx_ne_u16_e32 0, v8
	s_cbranch_execz .LBB333_258
; %bb.251:                              ;   in Loop: Header=BB333_10 Depth=1
	v_bfrev_b32_e32 v119, 1
	s_mov_b32 s19, exec_lo
	v_cmpx_ne_u16_e32 0x80, v8
	s_cbranch_execz .LBB333_257
; %bb.252:                              ;   in Loop: Header=BB333_10 Depth=1
	v_bfe_u32 v130, v131, 16, 7
	v_mov_b32_e32 v119, 0x7fc02000
	s_mov_b32 s20, exec_lo
	s_delay_alu instid0(VALU_DEP_2)
	v_cmpx_ne_u32_e32 0x7f, v130
	s_cbranch_execz .LBB333_256
; %bb.253:                              ;   in Loop: Header=BB333_10 Depth=1
	v_and_b32_e32 v8, 7, v129
	v_lshrrev_b32_e32 v119, 3, v130
	s_mov_b32 s21, exec_lo
	v_cmpx_gt_u32_e32 8, v130
; %bb.254:                              ;   in Loop: Header=BB333_10 Depth=1
	s_delay_alu instid0(VALU_DEP_3) | instskip(NEXT) | instid1(VALU_DEP_1)
	v_clz_i32_u32_e32 v119, v8
	v_min_u32_e32 v119, 32, v119
	s_delay_alu instid0(VALU_DEP_1) | instskip(SKIP_1) | instid1(VALU_DEP_2)
	v_subrev_nc_u32_e32 v130, 28, v119
	v_sub_nc_u32_e32 v119, 29, v119
	v_lshlrev_b64 v[132:133], v130, v[8:9]
	s_delay_alu instid0(VALU_DEP_1)
	v_and_b32_e32 v8, 7, v132
; %bb.255:                              ;   in Loop: Header=BB333_10 Depth=1
	s_or_b32 exec_lo, exec_lo, s21
	v_lshlrev_b32_e32 v129, 8, v129
	v_lshl_add_u32 v119, v119, 10, 0x2000
	s_delay_alu instid0(VALU_DEP_1) | instskip(NEXT) | instid1(VALU_DEP_1)
	v_and_or_b32 v119, 0x8000, v129, v119
	v_lshl_or_b32 v8, v8, 7, v119
	s_delay_alu instid0(VALU_DEP_1)
	v_cvt_f32_f16_e32 v119, v8
.LBB333_256:                            ;   in Loop: Header=BB333_10 Depth=1
	s_or_b32 exec_lo, exec_lo, s20
.LBB333_257:                            ;   in Loop: Header=BB333_10 Depth=1
	s_delay_alu instid0(SALU_CYCLE_1)
	s_or_b32 exec_lo, exec_lo, s19
.LBB333_258:                            ;   in Loop: Header=BB333_10 Depth=1
	s_delay_alu instid0(SALU_CYCLE_1)
	s_or_b32 exec_lo, exec_lo, s3
	v_dual_mov_b32 v130, 0 :: v_dual_mov_b32 v129, 0
	s_mov_b32 s3, exec_lo
	v_cmpx_lt_u32_e32 0xffffff, v131
	s_cbranch_execz .LBB333_266
; %bb.259:                              ;   in Loop: Header=BB333_10 Depth=1
	v_lshrrev_b32_e32 v131, 24, v131
	v_bfrev_b32_e32 v129, 1
	s_mov_b32 s19, exec_lo
	s_delay_alu instid0(VALU_DEP_2)
	v_cmpx_ne_u32_e32 0x80, v131
	s_cbranch_execz .LBB333_265
; %bb.260:                              ;   in Loop: Header=BB333_10 Depth=1
	v_and_b32_e32 v132, 0x7f, v131
	v_mov_b32_e32 v129, 0x7fc02000
	s_mov_b32 s20, exec_lo
	s_delay_alu instid0(VALU_DEP_2)
	v_cmpx_ne_u32_e32 0x7f, v132
	s_cbranch_execz .LBB333_264
; %bb.261:                              ;   in Loop: Header=BB333_10 Depth=1
	v_and_b32_e32 v8, 7, v131
	v_lshrrev_b32_e32 v129, 3, v132
	s_mov_b32 s21, exec_lo
	v_cmpx_gt_u32_e32 8, v132
; %bb.262:                              ;   in Loop: Header=BB333_10 Depth=1
	s_delay_alu instid0(VALU_DEP_3) | instskip(NEXT) | instid1(VALU_DEP_1)
	v_clz_i32_u32_e32 v129, v8
	v_min_u32_e32 v129, 32, v129
	s_delay_alu instid0(VALU_DEP_1) | instskip(SKIP_1) | instid1(VALU_DEP_2)
	v_subrev_nc_u32_e32 v132, 28, v129
	v_sub_nc_u32_e32 v129, 29, v129
	v_lshlrev_b64 v[132:133], v132, v[8:9]
	s_delay_alu instid0(VALU_DEP_1)
	v_and_b32_e32 v8, 7, v132
; %bb.263:                              ;   in Loop: Header=BB333_10 Depth=1
	s_or_b32 exec_lo, exec_lo, s21
	v_lshlrev_b32_e32 v131, 8, v131
	v_lshl_add_u32 v129, v129, 10, 0x2000
	s_delay_alu instid0(VALU_DEP_1) | instskip(NEXT) | instid1(VALU_DEP_1)
	v_and_or_b32 v129, 0x8000, v131, v129
	v_lshl_or_b32 v8, v8, 7, v129
	s_delay_alu instid0(VALU_DEP_1)
	v_cvt_f32_f16_e64 v129, v8
.LBB333_264:                            ;   in Loop: Header=BB333_10 Depth=1
	s_or_b32 exec_lo, exec_lo, s20
.LBB333_265:                            ;   in Loop: Header=BB333_10 Depth=1
	s_delay_alu instid0(SALU_CYCLE_1)
	s_or_b32 exec_lo, exec_lo, s19
.LBB333_266:                            ;   in Loop: Header=BB333_10 Depth=1
	s_delay_alu instid0(SALU_CYCLE_1) | instskip(SKIP_4) | instid1(VALU_DEP_1)
	s_or_b32 exec_lo, exec_lo, s3
	flat_load_b32 v135, v[28:29] offset:1024
	s_mov_b32 s3, exec_lo
	s_waitcnt vmcnt(0) lgkmcnt(0)
	v_and_b32_e32 v8, 0xff, v135
	v_cmpx_ne_u16_e32 0, v8
	s_cbranch_execz .LBB333_274
; %bb.267:                              ;   in Loop: Header=BB333_10 Depth=1
	v_bfrev_b32_e32 v130, 1
	s_mov_b32 s19, exec_lo
	v_cmpx_ne_u16_e32 0x80, v8
	s_cbranch_execz .LBB333_273
; %bb.268:                              ;   in Loop: Header=BB333_10 Depth=1
	v_and_b32_e32 v131, 0x7f, v135
	v_mov_b32_e32 v130, 0x7fc02000
	s_mov_b32 s20, exec_lo
	s_delay_alu instid0(VALU_DEP_2)
	v_cmpx_ne_u32_e32 0x7f, v131
	s_cbranch_execz .LBB333_272
; %bb.269:                              ;   in Loop: Header=BB333_10 Depth=1
	v_and_b32_e32 v8, 7, v135
	v_lshrrev_b32_e32 v130, 3, v131
	s_mov_b32 s21, exec_lo
	v_cmpx_gt_u32_e32 8, v131
; %bb.270:                              ;   in Loop: Header=BB333_10 Depth=1
	s_delay_alu instid0(VALU_DEP_3) | instskip(NEXT) | instid1(VALU_DEP_1)
	v_clz_i32_u32_e32 v130, v8
	v_min_u32_e32 v130, 32, v130
	s_delay_alu instid0(VALU_DEP_1) | instskip(SKIP_1) | instid1(VALU_DEP_2)
	v_subrev_nc_u32_e32 v131, 28, v130
	v_sub_nc_u32_e32 v130, 29, v130
	v_lshlrev_b64 v[131:132], v131, v[8:9]
	s_delay_alu instid0(VALU_DEP_1)
	v_and_b32_e32 v8, 7, v131
; %bb.271:                              ;   in Loop: Header=BB333_10 Depth=1
	s_or_b32 exec_lo, exec_lo, s21
	v_lshlrev_b32_e32 v131, 8, v135
	v_lshl_add_u32 v130, v130, 10, 0x2000
	s_delay_alu instid0(VALU_DEP_1) | instskip(NEXT) | instid1(VALU_DEP_1)
	v_and_or_b32 v130, 0x8000, v131, v130
	v_lshl_or_b32 v8, v8, 7, v130
	s_delay_alu instid0(VALU_DEP_1)
	v_cvt_f32_f16_e64 v130, v8
.LBB333_272:                            ;   in Loop: Header=BB333_10 Depth=1
	s_or_b32 exec_lo, exec_lo, s20
.LBB333_273:                            ;   in Loop: Header=BB333_10 Depth=1
	s_delay_alu instid0(SALU_CYCLE_1)
	s_or_b32 exec_lo, exec_lo, s19
.LBB333_274:                            ;   in Loop: Header=BB333_10 Depth=1
	s_delay_alu instid0(SALU_CYCLE_1) | instskip(SKIP_3) | instid1(VALU_DEP_2)
	s_or_b32 exec_lo, exec_lo, s3
	v_lshrrev_b16 v8, 8, v135
	v_dual_mov_b32 v131, 0 :: v_dual_mov_b32 v132, 0
	s_mov_b32 s3, exec_lo
	v_cmpx_ne_u16_e32 0, v8
	s_cbranch_execz .LBB333_282
; %bb.275:                              ;   in Loop: Header=BB333_10 Depth=1
	v_bfrev_b32_e32 v132, 1
	s_mov_b32 s19, exec_lo
	v_cmpx_ne_u16_e32 0x80, v8
	s_cbranch_execz .LBB333_281
; %bb.276:                              ;   in Loop: Header=BB333_10 Depth=1
	v_and_b32_e32 v133, 0xffff, v8
	v_mov_b32_e32 v132, 0x7fc02000
	s_mov_b32 s20, exec_lo
	s_delay_alu instid0(VALU_DEP_2) | instskip(NEXT) | instid1(VALU_DEP_1)
	v_and_b32_e32 v134, 0x7f, v133
	v_cmpx_ne_u32_e32 0x7f, v134
	s_cbranch_execz .LBB333_280
; %bb.277:                              ;   in Loop: Header=BB333_10 Depth=1
	v_and_b32_e32 v8, 7, v133
	v_lshrrev_b32_e32 v132, 3, v134
	s_mov_b32 s21, exec_lo
	v_cmpx_gt_u32_e32 8, v134
; %bb.278:                              ;   in Loop: Header=BB333_10 Depth=1
	s_delay_alu instid0(VALU_DEP_3) | instskip(NEXT) | instid1(VALU_DEP_1)
	v_clz_i32_u32_e32 v132, v8
	v_min_u32_e32 v132, 32, v132
	s_delay_alu instid0(VALU_DEP_1) | instskip(SKIP_1) | instid1(VALU_DEP_2)
	v_subrev_nc_u32_e32 v134, 28, v132
	v_sub_nc_u32_e32 v132, 29, v132
	v_lshlrev_b64 v[144:145], v134, v[8:9]
	s_delay_alu instid0(VALU_DEP_1)
	v_and_b32_e32 v8, 7, v144
; %bb.279:                              ;   in Loop: Header=BB333_10 Depth=1
	s_or_b32 exec_lo, exec_lo, s21
	v_lshlrev_b32_e32 v133, 8, v133
	v_lshl_add_u32 v132, v132, 10, 0x2000
	s_delay_alu instid0(VALU_DEP_1) | instskip(NEXT) | instid1(VALU_DEP_1)
	v_and_or_b32 v132, 0x8000, v133, v132
	v_lshl_or_b32 v8, v8, 7, v132
	s_delay_alu instid0(VALU_DEP_1)
	v_cvt_f32_f16_e64 v132, v8
.LBB333_280:                            ;   in Loop: Header=BB333_10 Depth=1
	s_or_b32 exec_lo, exec_lo, s20
.LBB333_281:                            ;   in Loop: Header=BB333_10 Depth=1
	s_delay_alu instid0(SALU_CYCLE_1)
	s_or_b32 exec_lo, exec_lo, s19
.LBB333_282:                            ;   in Loop: Header=BB333_10 Depth=1
	s_delay_alu instid0(SALU_CYCLE_1) | instskip(SKIP_2) | instid1(VALU_DEP_1)
	s_or_b32 exec_lo, exec_lo, s3
	v_lshrrev_b32_e32 v133, 16, v135
	s_mov_b32 s3, exec_lo
	v_and_b32_e32 v8, 0xff, v133
	s_delay_alu instid0(VALU_DEP_1)
	v_cmpx_ne_u16_e32 0, v8
	s_cbranch_execz .LBB333_290
; %bb.283:                              ;   in Loop: Header=BB333_10 Depth=1
	v_bfrev_b32_e32 v131, 1
	s_mov_b32 s19, exec_lo
	v_cmpx_ne_u16_e32 0x80, v8
	s_cbranch_execz .LBB333_289
; %bb.284:                              ;   in Loop: Header=BB333_10 Depth=1
	v_bfe_u32 v134, v135, 16, 7
	v_mov_b32_e32 v131, 0x7fc02000
	s_mov_b32 s20, exec_lo
	s_delay_alu instid0(VALU_DEP_2)
	v_cmpx_ne_u32_e32 0x7f, v134
	s_cbranch_execz .LBB333_288
; %bb.285:                              ;   in Loop: Header=BB333_10 Depth=1
	v_and_b32_e32 v8, 7, v133
	v_lshrrev_b32_e32 v131, 3, v134
	s_mov_b32 s21, exec_lo
	v_cmpx_gt_u32_e32 8, v134
; %bb.286:                              ;   in Loop: Header=BB333_10 Depth=1
	s_delay_alu instid0(VALU_DEP_3) | instskip(NEXT) | instid1(VALU_DEP_1)
	v_clz_i32_u32_e32 v131, v8
	v_min_u32_e32 v131, 32, v131
	s_delay_alu instid0(VALU_DEP_1) | instskip(SKIP_1) | instid1(VALU_DEP_2)
	v_subrev_nc_u32_e32 v134, 28, v131
	v_sub_nc_u32_e32 v131, 29, v131
	v_lshlrev_b64 v[144:145], v134, v[8:9]
	s_delay_alu instid0(VALU_DEP_1)
	v_and_b32_e32 v8, 7, v144
; %bb.287:                              ;   in Loop: Header=BB333_10 Depth=1
	s_or_b32 exec_lo, exec_lo, s21
	v_lshlrev_b32_e32 v133, 8, v133
	v_lshl_add_u32 v131, v131, 10, 0x2000
	s_delay_alu instid0(VALU_DEP_1) | instskip(NEXT) | instid1(VALU_DEP_1)
	v_and_or_b32 v131, 0x8000, v133, v131
	v_lshl_or_b32 v8, v8, 7, v131
	s_delay_alu instid0(VALU_DEP_1)
	v_cvt_f32_f16_e64 v131, v8
.LBB333_288:                            ;   in Loop: Header=BB333_10 Depth=1
	s_or_b32 exec_lo, exec_lo, s20
.LBB333_289:                            ;   in Loop: Header=BB333_10 Depth=1
	s_delay_alu instid0(SALU_CYCLE_1)
	s_or_b32 exec_lo, exec_lo, s19
.LBB333_290:                            ;   in Loop: Header=BB333_10 Depth=1
	s_delay_alu instid0(SALU_CYCLE_1)
	s_or_b32 exec_lo, exec_lo, s3
	v_dual_mov_b32 v134, 0 :: v_dual_mov_b32 v133, 0
	s_mov_b32 s3, exec_lo
	v_cmpx_lt_u32_e32 0xffffff, v135
	s_cbranch_execz .LBB333_298
; %bb.291:                              ;   in Loop: Header=BB333_10 Depth=1
	v_lshrrev_b32_e32 v135, 24, v135
	v_bfrev_b32_e32 v133, 1
	s_mov_b32 s19, exec_lo
	s_delay_alu instid0(VALU_DEP_2)
	v_cmpx_ne_u32_e32 0x80, v135
	s_cbranch_execz .LBB333_297
; %bb.292:                              ;   in Loop: Header=BB333_10 Depth=1
	v_and_b32_e32 v144, 0x7f, v135
	v_mov_b32_e32 v133, 0x7fc02000
	s_mov_b32 s20, exec_lo
	s_delay_alu instid0(VALU_DEP_2)
	v_cmpx_ne_u32_e32 0x7f, v144
	s_cbranch_execz .LBB333_296
; %bb.293:                              ;   in Loop: Header=BB333_10 Depth=1
	v_and_b32_e32 v8, 7, v135
	v_lshrrev_b32_e32 v133, 3, v144
	s_mov_b32 s21, exec_lo
	v_cmpx_gt_u32_e32 8, v144
; %bb.294:                              ;   in Loop: Header=BB333_10 Depth=1
	s_delay_alu instid0(VALU_DEP_3) | instskip(NEXT) | instid1(VALU_DEP_1)
	v_clz_i32_u32_e32 v133, v8
	v_min_u32_e32 v133, 32, v133
	s_delay_alu instid0(VALU_DEP_1) | instskip(SKIP_1) | instid1(VALU_DEP_2)
	v_subrev_nc_u32_e32 v144, 28, v133
	v_sub_nc_u32_e32 v133, 29, v133
	v_lshlrev_b64 v[144:145], v144, v[8:9]
	s_delay_alu instid0(VALU_DEP_1)
	v_and_b32_e32 v8, 7, v144
; %bb.295:                              ;   in Loop: Header=BB333_10 Depth=1
	s_or_b32 exec_lo, exec_lo, s21
	v_lshlrev_b32_e32 v135, 8, v135
	v_lshl_add_u32 v133, v133, 10, 0x2000
	s_delay_alu instid0(VALU_DEP_1) | instskip(NEXT) | instid1(VALU_DEP_1)
	v_and_or_b32 v133, 0x8000, v135, v133
	v_lshl_or_b32 v8, v8, 7, v133
	s_delay_alu instid0(VALU_DEP_1)
	v_cvt_f32_f16_e64 v133, v8
.LBB333_296:                            ;   in Loop: Header=BB333_10 Depth=1
	s_or_b32 exec_lo, exec_lo, s20
.LBB333_297:                            ;   in Loop: Header=BB333_10 Depth=1
	s_delay_alu instid0(SALU_CYCLE_1)
	s_or_b32 exec_lo, exec_lo, s19
.LBB333_298:                            ;   in Loop: Header=BB333_10 Depth=1
	s_delay_alu instid0(SALU_CYCLE_1) | instskip(SKIP_4) | instid1(VALU_DEP_1)
	s_or_b32 exec_lo, exec_lo, s3
	flat_load_b32 v147, v[28:29] offset:1032
	s_mov_b32 s3, exec_lo
	s_waitcnt vmcnt(0) lgkmcnt(0)
	v_and_b32_e32 v8, 0xff, v147
	v_cmpx_ne_u16_e32 0, v8
	s_cbranch_execz .LBB333_306
; %bb.299:                              ;   in Loop: Header=BB333_10 Depth=1
	v_bfrev_b32_e32 v134, 1
	s_mov_b32 s19, exec_lo
	v_cmpx_ne_u16_e32 0x80, v8
	s_cbranch_execz .LBB333_305
; %bb.300:                              ;   in Loop: Header=BB333_10 Depth=1
	v_and_b32_e32 v135, 0x7f, v147
	v_mov_b32_e32 v134, 0x7fc02000
	s_mov_b32 s20, exec_lo
	s_delay_alu instid0(VALU_DEP_2)
	v_cmpx_ne_u32_e32 0x7f, v135
	s_cbranch_execz .LBB333_304
; %bb.301:                              ;   in Loop: Header=BB333_10 Depth=1
	v_and_b32_e32 v8, 7, v147
	v_lshrrev_b32_e32 v134, 3, v135
	s_mov_b32 s21, exec_lo
	v_cmpx_gt_u32_e32 8, v135
; %bb.302:                              ;   in Loop: Header=BB333_10 Depth=1
	s_delay_alu instid0(VALU_DEP_3) | instskip(NEXT) | instid1(VALU_DEP_1)
	v_clz_i32_u32_e32 v134, v8
	v_min_u32_e32 v134, 32, v134
	s_delay_alu instid0(VALU_DEP_1) | instskip(SKIP_1) | instid1(VALU_DEP_2)
	v_subrev_nc_u32_e32 v135, 28, v134
	v_sub_nc_u32_e32 v134, 29, v134
	v_lshlrev_b64 v[144:145], v135, v[8:9]
	s_delay_alu instid0(VALU_DEP_1)
	v_and_b32_e32 v8, 7, v144
; %bb.303:                              ;   in Loop: Header=BB333_10 Depth=1
	s_or_b32 exec_lo, exec_lo, s21
	v_lshlrev_b32_e32 v135, 8, v147
	v_lshl_add_u32 v134, v134, 10, 0x2000
	s_delay_alu instid0(VALU_DEP_1) | instskip(NEXT) | instid1(VALU_DEP_1)
	v_and_or_b32 v134, 0x8000, v135, v134
	v_lshl_or_b32 v8, v8, 7, v134
	s_delay_alu instid0(VALU_DEP_1)
	v_cvt_f32_f16_e64 v134, v8
.LBB333_304:                            ;   in Loop: Header=BB333_10 Depth=1
	s_or_b32 exec_lo, exec_lo, s20
.LBB333_305:                            ;   in Loop: Header=BB333_10 Depth=1
	s_delay_alu instid0(SALU_CYCLE_1)
	s_or_b32 exec_lo, exec_lo, s19
.LBB333_306:                            ;   in Loop: Header=BB333_10 Depth=1
	s_delay_alu instid0(SALU_CYCLE_1) | instskip(SKIP_3) | instid1(VALU_DEP_2)
	s_or_b32 exec_lo, exec_lo, s3
	v_lshrrev_b16 v8, 8, v147
	v_dual_mov_b32 v135, 0 :: v_dual_mov_b32 v144, 0
	s_mov_b32 s3, exec_lo
	v_cmpx_ne_u16_e32 0, v8
	s_cbranch_execz .LBB333_314
; %bb.307:                              ;   in Loop: Header=BB333_10 Depth=1
	v_bfrev_b32_e32 v144, 1
	s_mov_b32 s19, exec_lo
	v_cmpx_ne_u16_e32 0x80, v8
	s_cbranch_execz .LBB333_313
; %bb.308:                              ;   in Loop: Header=BB333_10 Depth=1
	v_and_b32_e32 v145, 0xffff, v8
	v_mov_b32_e32 v144, 0x7fc02000
	s_mov_b32 s20, exec_lo
	s_delay_alu instid0(VALU_DEP_2) | instskip(NEXT) | instid1(VALU_DEP_1)
	v_and_b32_e32 v146, 0x7f, v145
	v_cmpx_ne_u32_e32 0x7f, v146
	s_cbranch_execz .LBB333_312
; %bb.309:                              ;   in Loop: Header=BB333_10 Depth=1
	v_and_b32_e32 v8, 7, v145
	v_lshrrev_b32_e32 v144, 3, v146
	s_mov_b32 s21, exec_lo
	v_cmpx_gt_u32_e32 8, v146
; %bb.310:                              ;   in Loop: Header=BB333_10 Depth=1
	s_delay_alu instid0(VALU_DEP_3) | instskip(NEXT) | instid1(VALU_DEP_1)
	v_clz_i32_u32_e32 v144, v8
	v_min_u32_e32 v144, 32, v144
	s_delay_alu instid0(VALU_DEP_1) | instskip(SKIP_1) | instid1(VALU_DEP_2)
	v_subrev_nc_u32_e32 v146, 28, v144
	v_sub_nc_u32_e32 v144, 29, v144
	v_lshlrev_b64 v[148:149], v146, v[8:9]
	s_delay_alu instid0(VALU_DEP_1)
	v_and_b32_e32 v8, 7, v148
; %bb.311:                              ;   in Loop: Header=BB333_10 Depth=1
	s_or_b32 exec_lo, exec_lo, s21
	v_lshlrev_b32_e32 v145, 8, v145
	v_lshl_add_u32 v144, v144, 10, 0x2000
	s_delay_alu instid0(VALU_DEP_1) | instskip(NEXT) | instid1(VALU_DEP_1)
	v_and_or_b32 v144, 0x8000, v145, v144
	v_lshl_or_b32 v8, v8, 7, v144
	s_delay_alu instid0(VALU_DEP_1)
	v_cvt_f32_f16_e64 v144, v8
.LBB333_312:                            ;   in Loop: Header=BB333_10 Depth=1
	s_or_b32 exec_lo, exec_lo, s20
.LBB333_313:                            ;   in Loop: Header=BB333_10 Depth=1
	s_delay_alu instid0(SALU_CYCLE_1)
	s_or_b32 exec_lo, exec_lo, s19
.LBB333_314:                            ;   in Loop: Header=BB333_10 Depth=1
	s_delay_alu instid0(SALU_CYCLE_1) | instskip(SKIP_2) | instid1(VALU_DEP_1)
	s_or_b32 exec_lo, exec_lo, s3
	v_lshrrev_b32_e32 v145, 16, v147
	s_mov_b32 s3, exec_lo
	v_and_b32_e32 v8, 0xff, v145
	s_delay_alu instid0(VALU_DEP_1)
	v_cmpx_ne_u16_e32 0, v8
	s_cbranch_execz .LBB333_322
; %bb.315:                              ;   in Loop: Header=BB333_10 Depth=1
	v_bfrev_b32_e32 v135, 1
	s_mov_b32 s19, exec_lo
	v_cmpx_ne_u16_e32 0x80, v8
	s_cbranch_execz .LBB333_321
; %bb.316:                              ;   in Loop: Header=BB333_10 Depth=1
	v_bfe_u32 v146, v147, 16, 7
	v_mov_b32_e32 v135, 0x7fc02000
	s_mov_b32 s20, exec_lo
	s_delay_alu instid0(VALU_DEP_2)
	v_cmpx_ne_u32_e32 0x7f, v146
	s_cbranch_execz .LBB333_320
; %bb.317:                              ;   in Loop: Header=BB333_10 Depth=1
	v_and_b32_e32 v8, 7, v145
	v_lshrrev_b32_e32 v135, 3, v146
	s_mov_b32 s21, exec_lo
	v_cmpx_gt_u32_e32 8, v146
; %bb.318:                              ;   in Loop: Header=BB333_10 Depth=1
	s_delay_alu instid0(VALU_DEP_3) | instskip(NEXT) | instid1(VALU_DEP_1)
	v_clz_i32_u32_e32 v135, v8
	v_min_u32_e32 v135, 32, v135
	s_delay_alu instid0(VALU_DEP_1) | instskip(SKIP_1) | instid1(VALU_DEP_2)
	v_subrev_nc_u32_e32 v146, 28, v135
	v_sub_nc_u32_e32 v135, 29, v135
	v_lshlrev_b64 v[148:149], v146, v[8:9]
	s_delay_alu instid0(VALU_DEP_1)
	v_and_b32_e32 v8, 7, v148
; %bb.319:                              ;   in Loop: Header=BB333_10 Depth=1
	s_or_b32 exec_lo, exec_lo, s21
	v_lshlrev_b32_e32 v145, 8, v145
	v_lshl_add_u32 v135, v135, 10, 0x2000
	s_delay_alu instid0(VALU_DEP_1) | instskip(NEXT) | instid1(VALU_DEP_1)
	v_and_or_b32 v135, 0x8000, v145, v135
	v_lshl_or_b32 v8, v8, 7, v135
	s_delay_alu instid0(VALU_DEP_1)
	v_cvt_f32_f16_e64 v135, v8
.LBB333_320:                            ;   in Loop: Header=BB333_10 Depth=1
	s_or_b32 exec_lo, exec_lo, s20
.LBB333_321:                            ;   in Loop: Header=BB333_10 Depth=1
	s_delay_alu instid0(SALU_CYCLE_1)
	s_or_b32 exec_lo, exec_lo, s19
.LBB333_322:                            ;   in Loop: Header=BB333_10 Depth=1
	s_delay_alu instid0(SALU_CYCLE_1)
	s_or_b32 exec_lo, exec_lo, s3
	v_dual_mov_b32 v146, 0 :: v_dual_mov_b32 v145, 0
	s_mov_b32 s3, exec_lo
	v_cmpx_lt_u32_e32 0xffffff, v147
	s_cbranch_execz .LBB333_330
; %bb.323:                              ;   in Loop: Header=BB333_10 Depth=1
	v_lshrrev_b32_e32 v147, 24, v147
	v_bfrev_b32_e32 v145, 1
	s_mov_b32 s19, exec_lo
	s_delay_alu instid0(VALU_DEP_2)
	v_cmpx_ne_u32_e32 0x80, v147
	s_cbranch_execz .LBB333_329
; %bb.324:                              ;   in Loop: Header=BB333_10 Depth=1
	v_and_b32_e32 v148, 0x7f, v147
	v_mov_b32_e32 v145, 0x7fc02000
	s_mov_b32 s20, exec_lo
	s_delay_alu instid0(VALU_DEP_2)
	v_cmpx_ne_u32_e32 0x7f, v148
	s_cbranch_execz .LBB333_328
; %bb.325:                              ;   in Loop: Header=BB333_10 Depth=1
	v_and_b32_e32 v8, 7, v147
	v_lshrrev_b32_e32 v145, 3, v148
	s_mov_b32 s21, exec_lo
	v_cmpx_gt_u32_e32 8, v148
; %bb.326:                              ;   in Loop: Header=BB333_10 Depth=1
	s_delay_alu instid0(VALU_DEP_3) | instskip(NEXT) | instid1(VALU_DEP_1)
	v_clz_i32_u32_e32 v145, v8
	v_min_u32_e32 v145, 32, v145
	s_delay_alu instid0(VALU_DEP_1) | instskip(SKIP_1) | instid1(VALU_DEP_2)
	v_subrev_nc_u32_e32 v148, 28, v145
	v_sub_nc_u32_e32 v145, 29, v145
	v_lshlrev_b64 v[148:149], v148, v[8:9]
	s_delay_alu instid0(VALU_DEP_1)
	v_and_b32_e32 v8, 7, v148
; %bb.327:                              ;   in Loop: Header=BB333_10 Depth=1
	s_or_b32 exec_lo, exec_lo, s21
	v_lshlrev_b32_e32 v147, 8, v147
	v_lshl_add_u32 v145, v145, 10, 0x2000
	s_delay_alu instid0(VALU_DEP_1) | instskip(NEXT) | instid1(VALU_DEP_1)
	v_and_or_b32 v145, 0x8000, v147, v145
	v_lshl_or_b32 v8, v8, 7, v145
	s_delay_alu instid0(VALU_DEP_1)
	v_cvt_f32_f16_e64 v145, v8
.LBB333_328:                            ;   in Loop: Header=BB333_10 Depth=1
	s_or_b32 exec_lo, exec_lo, s20
.LBB333_329:                            ;   in Loop: Header=BB333_10 Depth=1
	s_delay_alu instid0(SALU_CYCLE_1)
	s_or_b32 exec_lo, exec_lo, s19
.LBB333_330:                            ;   in Loop: Header=BB333_10 Depth=1
	s_delay_alu instid0(SALU_CYCLE_1) | instskip(SKIP_4) | instid1(VALU_DEP_1)
	s_or_b32 exec_lo, exec_lo, s3
	flat_load_b32 v151, v[28:29] offset:1280
	s_mov_b32 s3, exec_lo
	s_waitcnt vmcnt(0) lgkmcnt(0)
	v_and_b32_e32 v8, 0xff, v151
	v_cmpx_ne_u16_e32 0, v8
	s_cbranch_execz .LBB333_338
; %bb.331:                              ;   in Loop: Header=BB333_10 Depth=1
	v_bfrev_b32_e32 v146, 1
	s_mov_b32 s19, exec_lo
	v_cmpx_ne_u16_e32 0x80, v8
	s_cbranch_execz .LBB333_337
; %bb.332:                              ;   in Loop: Header=BB333_10 Depth=1
	v_and_b32_e32 v147, 0x7f, v151
	v_mov_b32_e32 v146, 0x7fc02000
	s_mov_b32 s20, exec_lo
	s_delay_alu instid0(VALU_DEP_2)
	v_cmpx_ne_u32_e32 0x7f, v147
	s_cbranch_execz .LBB333_336
; %bb.333:                              ;   in Loop: Header=BB333_10 Depth=1
	v_and_b32_e32 v8, 7, v151
	v_lshrrev_b32_e32 v146, 3, v147
	s_mov_b32 s21, exec_lo
	v_cmpx_gt_u32_e32 8, v147
; %bb.334:                              ;   in Loop: Header=BB333_10 Depth=1
	s_delay_alu instid0(VALU_DEP_3) | instskip(NEXT) | instid1(VALU_DEP_1)
	v_clz_i32_u32_e32 v146, v8
	v_min_u32_e32 v146, 32, v146
	s_delay_alu instid0(VALU_DEP_1) | instskip(SKIP_1) | instid1(VALU_DEP_2)
	v_subrev_nc_u32_e32 v147, 28, v146
	v_sub_nc_u32_e32 v146, 29, v146
	v_lshlrev_b64 v[147:148], v147, v[8:9]
	s_delay_alu instid0(VALU_DEP_1)
	v_and_b32_e32 v8, 7, v147
; %bb.335:                              ;   in Loop: Header=BB333_10 Depth=1
	s_or_b32 exec_lo, exec_lo, s21
	v_lshlrev_b32_e32 v147, 8, v151
	v_lshl_add_u32 v146, v146, 10, 0x2000
	s_delay_alu instid0(VALU_DEP_1) | instskip(NEXT) | instid1(VALU_DEP_1)
	v_and_or_b32 v146, 0x8000, v147, v146
	v_lshl_or_b32 v8, v8, 7, v146
	s_delay_alu instid0(VALU_DEP_1)
	v_cvt_f32_f16_e64 v146, v8
.LBB333_336:                            ;   in Loop: Header=BB333_10 Depth=1
	s_or_b32 exec_lo, exec_lo, s20
.LBB333_337:                            ;   in Loop: Header=BB333_10 Depth=1
	s_delay_alu instid0(SALU_CYCLE_1)
	s_or_b32 exec_lo, exec_lo, s19
.LBB333_338:                            ;   in Loop: Header=BB333_10 Depth=1
	s_delay_alu instid0(SALU_CYCLE_1) | instskip(SKIP_3) | instid1(VALU_DEP_2)
	s_or_b32 exec_lo, exec_lo, s3
	v_lshrrev_b16 v8, 8, v151
	v_dual_mov_b32 v147, 0 :: v_dual_mov_b32 v148, 0
	s_mov_b32 s3, exec_lo
	v_cmpx_ne_u16_e32 0, v8
	s_cbranch_execz .LBB333_346
; %bb.339:                              ;   in Loop: Header=BB333_10 Depth=1
	v_bfrev_b32_e32 v148, 1
	s_mov_b32 s19, exec_lo
	v_cmpx_ne_u16_e32 0x80, v8
	s_cbranch_execz .LBB333_345
; %bb.340:                              ;   in Loop: Header=BB333_10 Depth=1
	v_and_b32_e32 v149, 0xffff, v8
	v_mov_b32_e32 v148, 0x7fc02000
	s_mov_b32 s20, exec_lo
	s_delay_alu instid0(VALU_DEP_2) | instskip(NEXT) | instid1(VALU_DEP_1)
	v_and_b32_e32 v150, 0x7f, v149
	v_cmpx_ne_u32_e32 0x7f, v150
	s_cbranch_execz .LBB333_344
; %bb.341:                              ;   in Loop: Header=BB333_10 Depth=1
	v_and_b32_e32 v8, 7, v149
	v_lshrrev_b32_e32 v148, 3, v150
	s_mov_b32 s21, exec_lo
	v_cmpx_gt_u32_e32 8, v150
; %bb.342:                              ;   in Loop: Header=BB333_10 Depth=1
	s_delay_alu instid0(VALU_DEP_3) | instskip(NEXT) | instid1(VALU_DEP_1)
	v_clz_i32_u32_e32 v148, v8
	v_min_u32_e32 v148, 32, v148
	s_delay_alu instid0(VALU_DEP_1) | instskip(SKIP_1) | instid1(VALU_DEP_2)
	v_subrev_nc_u32_e32 v150, 28, v148
	v_sub_nc_u32_e32 v148, 29, v148
	v_lshlrev_b64 v[160:161], v150, v[8:9]
	s_delay_alu instid0(VALU_DEP_1)
	v_and_b32_e32 v8, 7, v160
; %bb.343:                              ;   in Loop: Header=BB333_10 Depth=1
	s_or_b32 exec_lo, exec_lo, s21
	v_lshlrev_b32_e32 v149, 8, v149
	v_lshl_add_u32 v148, v148, 10, 0x2000
	s_delay_alu instid0(VALU_DEP_1) | instskip(NEXT) | instid1(VALU_DEP_1)
	v_and_or_b32 v148, 0x8000, v149, v148
	v_lshl_or_b32 v8, v8, 7, v148
	s_delay_alu instid0(VALU_DEP_1)
	v_cvt_f32_f16_e64 v148, v8
.LBB333_344:                            ;   in Loop: Header=BB333_10 Depth=1
	s_or_b32 exec_lo, exec_lo, s20
.LBB333_345:                            ;   in Loop: Header=BB333_10 Depth=1
	s_delay_alu instid0(SALU_CYCLE_1)
	s_or_b32 exec_lo, exec_lo, s19
.LBB333_346:                            ;   in Loop: Header=BB333_10 Depth=1
	s_delay_alu instid0(SALU_CYCLE_1) | instskip(SKIP_2) | instid1(VALU_DEP_1)
	s_or_b32 exec_lo, exec_lo, s3
	v_lshrrev_b32_e32 v149, 16, v151
	s_mov_b32 s3, exec_lo
	v_and_b32_e32 v8, 0xff, v149
	s_delay_alu instid0(VALU_DEP_1)
	v_cmpx_ne_u16_e32 0, v8
	s_cbranch_execz .LBB333_354
; %bb.347:                              ;   in Loop: Header=BB333_10 Depth=1
	v_bfrev_b32_e32 v147, 1
	s_mov_b32 s19, exec_lo
	v_cmpx_ne_u16_e32 0x80, v8
	s_cbranch_execz .LBB333_353
; %bb.348:                              ;   in Loop: Header=BB333_10 Depth=1
	v_bfe_u32 v150, v151, 16, 7
	v_mov_b32_e32 v147, 0x7fc02000
	s_mov_b32 s20, exec_lo
	s_delay_alu instid0(VALU_DEP_2)
	v_cmpx_ne_u32_e32 0x7f, v150
	s_cbranch_execz .LBB333_352
; %bb.349:                              ;   in Loop: Header=BB333_10 Depth=1
	v_and_b32_e32 v8, 7, v149
	v_lshrrev_b32_e32 v147, 3, v150
	s_mov_b32 s21, exec_lo
	v_cmpx_gt_u32_e32 8, v150
; %bb.350:                              ;   in Loop: Header=BB333_10 Depth=1
	s_delay_alu instid0(VALU_DEP_3) | instskip(NEXT) | instid1(VALU_DEP_1)
	v_clz_i32_u32_e32 v147, v8
	v_min_u32_e32 v147, 32, v147
	s_delay_alu instid0(VALU_DEP_1) | instskip(SKIP_1) | instid1(VALU_DEP_2)
	v_subrev_nc_u32_e32 v150, 28, v147
	v_sub_nc_u32_e32 v147, 29, v147
	v_lshlrev_b64 v[160:161], v150, v[8:9]
	s_delay_alu instid0(VALU_DEP_1)
	v_and_b32_e32 v8, 7, v160
; %bb.351:                              ;   in Loop: Header=BB333_10 Depth=1
	s_or_b32 exec_lo, exec_lo, s21
	v_lshlrev_b32_e32 v149, 8, v149
	v_lshl_add_u32 v147, v147, 10, 0x2000
	s_delay_alu instid0(VALU_DEP_1) | instskip(NEXT) | instid1(VALU_DEP_1)
	v_and_or_b32 v147, 0x8000, v149, v147
	v_lshl_or_b32 v8, v8, 7, v147
	s_delay_alu instid0(VALU_DEP_1)
	v_cvt_f32_f16_e64 v147, v8
.LBB333_352:                            ;   in Loop: Header=BB333_10 Depth=1
	s_or_b32 exec_lo, exec_lo, s20
.LBB333_353:                            ;   in Loop: Header=BB333_10 Depth=1
	s_delay_alu instid0(SALU_CYCLE_1)
	s_or_b32 exec_lo, exec_lo, s19
.LBB333_354:                            ;   in Loop: Header=BB333_10 Depth=1
	s_delay_alu instid0(SALU_CYCLE_1)
	s_or_b32 exec_lo, exec_lo, s3
	v_dual_mov_b32 v150, 0 :: v_dual_mov_b32 v149, 0
	s_mov_b32 s3, exec_lo
	v_cmpx_lt_u32_e32 0xffffff, v151
	s_cbranch_execz .LBB333_362
; %bb.355:                              ;   in Loop: Header=BB333_10 Depth=1
	v_lshrrev_b32_e32 v151, 24, v151
	v_bfrev_b32_e32 v149, 1
	s_mov_b32 s19, exec_lo
	s_delay_alu instid0(VALU_DEP_2)
	v_cmpx_ne_u32_e32 0x80, v151
	s_cbranch_execz .LBB333_361
; %bb.356:                              ;   in Loop: Header=BB333_10 Depth=1
	v_and_b32_e32 v160, 0x7f, v151
	v_mov_b32_e32 v149, 0x7fc02000
	s_mov_b32 s20, exec_lo
	s_delay_alu instid0(VALU_DEP_2)
	v_cmpx_ne_u32_e32 0x7f, v160
	s_cbranch_execz .LBB333_360
; %bb.357:                              ;   in Loop: Header=BB333_10 Depth=1
	v_and_b32_e32 v8, 7, v151
	v_lshrrev_b32_e32 v149, 3, v160
	s_mov_b32 s21, exec_lo
	v_cmpx_gt_u32_e32 8, v160
; %bb.358:                              ;   in Loop: Header=BB333_10 Depth=1
	s_delay_alu instid0(VALU_DEP_3) | instskip(NEXT) | instid1(VALU_DEP_1)
	v_clz_i32_u32_e32 v149, v8
	v_min_u32_e32 v149, 32, v149
	s_delay_alu instid0(VALU_DEP_1) | instskip(SKIP_1) | instid1(VALU_DEP_2)
	v_subrev_nc_u32_e32 v160, 28, v149
	v_sub_nc_u32_e32 v149, 29, v149
	v_lshlrev_b64 v[160:161], v160, v[8:9]
	s_delay_alu instid0(VALU_DEP_1)
	v_and_b32_e32 v8, 7, v160
; %bb.359:                              ;   in Loop: Header=BB333_10 Depth=1
	s_or_b32 exec_lo, exec_lo, s21
	v_lshlrev_b32_e32 v151, 8, v151
	v_lshl_add_u32 v149, v149, 10, 0x2000
	s_delay_alu instid0(VALU_DEP_1) | instskip(NEXT) | instid1(VALU_DEP_1)
	v_and_or_b32 v149, 0x8000, v151, v149
	v_lshl_or_b32 v8, v8, 7, v149
	s_delay_alu instid0(VALU_DEP_1)
	v_cvt_f32_f16_e64 v149, v8
.LBB333_360:                            ;   in Loop: Header=BB333_10 Depth=1
	s_or_b32 exec_lo, exec_lo, s20
.LBB333_361:                            ;   in Loop: Header=BB333_10 Depth=1
	s_delay_alu instid0(SALU_CYCLE_1)
	s_or_b32 exec_lo, exec_lo, s19
.LBB333_362:                            ;   in Loop: Header=BB333_10 Depth=1
	s_delay_alu instid0(SALU_CYCLE_1) | instskip(SKIP_4) | instid1(VALU_DEP_1)
	s_or_b32 exec_lo, exec_lo, s3
	flat_load_b32 v163, v[28:29] offset:1288
	s_mov_b32 s3, exec_lo
	s_waitcnt vmcnt(0) lgkmcnt(0)
	v_and_b32_e32 v8, 0xff, v163
	v_cmpx_ne_u16_e32 0, v8
	s_cbranch_execz .LBB333_370
; %bb.363:                              ;   in Loop: Header=BB333_10 Depth=1
	v_bfrev_b32_e32 v150, 1
	s_mov_b32 s19, exec_lo
	v_cmpx_ne_u16_e32 0x80, v8
	s_cbranch_execz .LBB333_369
; %bb.364:                              ;   in Loop: Header=BB333_10 Depth=1
	v_and_b32_e32 v151, 0x7f, v163
	v_mov_b32_e32 v150, 0x7fc02000
	s_mov_b32 s20, exec_lo
	s_delay_alu instid0(VALU_DEP_2)
	v_cmpx_ne_u32_e32 0x7f, v151
	s_cbranch_execz .LBB333_368
; %bb.365:                              ;   in Loop: Header=BB333_10 Depth=1
	v_and_b32_e32 v8, 7, v163
	v_lshrrev_b32_e32 v150, 3, v151
	s_mov_b32 s21, exec_lo
	v_cmpx_gt_u32_e32 8, v151
; %bb.366:                              ;   in Loop: Header=BB333_10 Depth=1
	s_delay_alu instid0(VALU_DEP_3) | instskip(NEXT) | instid1(VALU_DEP_1)
	v_clz_i32_u32_e32 v150, v8
	v_min_u32_e32 v150, 32, v150
	s_delay_alu instid0(VALU_DEP_1) | instskip(SKIP_1) | instid1(VALU_DEP_2)
	v_subrev_nc_u32_e32 v151, 28, v150
	v_sub_nc_u32_e32 v150, 29, v150
	v_lshlrev_b64 v[160:161], v151, v[8:9]
	s_delay_alu instid0(VALU_DEP_1)
	v_and_b32_e32 v8, 7, v160
; %bb.367:                              ;   in Loop: Header=BB333_10 Depth=1
	s_or_b32 exec_lo, exec_lo, s21
	v_lshlrev_b32_e32 v151, 8, v163
	v_lshl_add_u32 v150, v150, 10, 0x2000
	s_delay_alu instid0(VALU_DEP_1) | instskip(NEXT) | instid1(VALU_DEP_1)
	v_and_or_b32 v150, 0x8000, v151, v150
	v_lshl_or_b32 v8, v8, 7, v150
	s_delay_alu instid0(VALU_DEP_1)
	v_cvt_f32_f16_e64 v150, v8
.LBB333_368:                            ;   in Loop: Header=BB333_10 Depth=1
	s_or_b32 exec_lo, exec_lo, s20
.LBB333_369:                            ;   in Loop: Header=BB333_10 Depth=1
	s_delay_alu instid0(SALU_CYCLE_1)
	s_or_b32 exec_lo, exec_lo, s19
.LBB333_370:                            ;   in Loop: Header=BB333_10 Depth=1
	s_delay_alu instid0(SALU_CYCLE_1) | instskip(SKIP_3) | instid1(VALU_DEP_2)
	s_or_b32 exec_lo, exec_lo, s3
	v_lshrrev_b16 v8, 8, v163
	v_dual_mov_b32 v151, 0 :: v_dual_mov_b32 v160, 0
	s_mov_b32 s3, exec_lo
	v_cmpx_ne_u16_e32 0, v8
	s_cbranch_execz .LBB333_378
; %bb.371:                              ;   in Loop: Header=BB333_10 Depth=1
	v_bfrev_b32_e32 v160, 1
	s_mov_b32 s19, exec_lo
	v_cmpx_ne_u16_e32 0x80, v8
	s_cbranch_execz .LBB333_377
; %bb.372:                              ;   in Loop: Header=BB333_10 Depth=1
	v_and_b32_e32 v161, 0xffff, v8
	v_mov_b32_e32 v160, 0x7fc02000
	s_mov_b32 s20, exec_lo
	s_delay_alu instid0(VALU_DEP_2) | instskip(NEXT) | instid1(VALU_DEP_1)
	v_and_b32_e32 v162, 0x7f, v161
	v_cmpx_ne_u32_e32 0x7f, v162
	s_cbranch_execz .LBB333_376
; %bb.373:                              ;   in Loop: Header=BB333_10 Depth=1
	v_and_b32_e32 v8, 7, v161
	v_lshrrev_b32_e32 v160, 3, v162
	s_mov_b32 s21, exec_lo
	v_cmpx_gt_u32_e32 8, v162
; %bb.374:                              ;   in Loop: Header=BB333_10 Depth=1
	s_delay_alu instid0(VALU_DEP_3) | instskip(NEXT) | instid1(VALU_DEP_1)
	v_clz_i32_u32_e32 v160, v8
	v_min_u32_e32 v160, 32, v160
	s_delay_alu instid0(VALU_DEP_1) | instskip(SKIP_1) | instid1(VALU_DEP_2)
	v_subrev_nc_u32_e32 v162, 28, v160
	v_sub_nc_u32_e32 v160, 29, v160
	v_lshlrev_b64 v[164:165], v162, v[8:9]
	s_delay_alu instid0(VALU_DEP_1)
	v_and_b32_e32 v8, 7, v164
; %bb.375:                              ;   in Loop: Header=BB333_10 Depth=1
	s_or_b32 exec_lo, exec_lo, s21
	v_lshlrev_b32_e32 v161, 8, v161
	v_lshl_add_u32 v160, v160, 10, 0x2000
	s_delay_alu instid0(VALU_DEP_1) | instskip(NEXT) | instid1(VALU_DEP_1)
	v_and_or_b32 v160, 0x8000, v161, v160
	v_lshl_or_b32 v8, v8, 7, v160
	s_delay_alu instid0(VALU_DEP_1)
	v_cvt_f32_f16_e64 v160, v8
.LBB333_376:                            ;   in Loop: Header=BB333_10 Depth=1
	s_or_b32 exec_lo, exec_lo, s20
.LBB333_377:                            ;   in Loop: Header=BB333_10 Depth=1
	s_delay_alu instid0(SALU_CYCLE_1)
	s_or_b32 exec_lo, exec_lo, s19
.LBB333_378:                            ;   in Loop: Header=BB333_10 Depth=1
	s_delay_alu instid0(SALU_CYCLE_1) | instskip(SKIP_2) | instid1(VALU_DEP_1)
	s_or_b32 exec_lo, exec_lo, s3
	v_lshrrev_b32_e32 v161, 16, v163
	s_mov_b32 s3, exec_lo
	v_and_b32_e32 v8, 0xff, v161
	s_delay_alu instid0(VALU_DEP_1)
	v_cmpx_ne_u16_e32 0, v8
	s_cbranch_execz .LBB333_386
; %bb.379:                              ;   in Loop: Header=BB333_10 Depth=1
	v_bfrev_b32_e32 v151, 1
	s_mov_b32 s19, exec_lo
	v_cmpx_ne_u16_e32 0x80, v8
	s_cbranch_execz .LBB333_385
; %bb.380:                              ;   in Loop: Header=BB333_10 Depth=1
	v_bfe_u32 v162, v163, 16, 7
	v_mov_b32_e32 v151, 0x7fc02000
	s_mov_b32 s20, exec_lo
	s_delay_alu instid0(VALU_DEP_2)
	v_cmpx_ne_u32_e32 0x7f, v162
	s_cbranch_execz .LBB333_384
; %bb.381:                              ;   in Loop: Header=BB333_10 Depth=1
	v_and_b32_e32 v8, 7, v161
	v_lshrrev_b32_e32 v151, 3, v162
	s_mov_b32 s21, exec_lo
	v_cmpx_gt_u32_e32 8, v162
; %bb.382:                              ;   in Loop: Header=BB333_10 Depth=1
	s_delay_alu instid0(VALU_DEP_3) | instskip(NEXT) | instid1(VALU_DEP_1)
	v_clz_i32_u32_e32 v151, v8
	v_min_u32_e32 v151, 32, v151
	s_delay_alu instid0(VALU_DEP_1) | instskip(SKIP_1) | instid1(VALU_DEP_2)
	v_subrev_nc_u32_e32 v162, 28, v151
	v_sub_nc_u32_e32 v151, 29, v151
	v_lshlrev_b64 v[164:165], v162, v[8:9]
	s_delay_alu instid0(VALU_DEP_1)
	v_and_b32_e32 v8, 7, v164
; %bb.383:                              ;   in Loop: Header=BB333_10 Depth=1
	s_or_b32 exec_lo, exec_lo, s21
	v_lshlrev_b32_e32 v161, 8, v161
	v_lshl_add_u32 v151, v151, 10, 0x2000
	s_delay_alu instid0(VALU_DEP_1) | instskip(NEXT) | instid1(VALU_DEP_1)
	v_and_or_b32 v151, 0x8000, v161, v151
	v_lshl_or_b32 v8, v8, 7, v151
	s_delay_alu instid0(VALU_DEP_1)
	v_cvt_f32_f16_e64 v151, v8
.LBB333_384:                            ;   in Loop: Header=BB333_10 Depth=1
	s_or_b32 exec_lo, exec_lo, s20
.LBB333_385:                            ;   in Loop: Header=BB333_10 Depth=1
	s_delay_alu instid0(SALU_CYCLE_1)
	s_or_b32 exec_lo, exec_lo, s19
.LBB333_386:                            ;   in Loop: Header=BB333_10 Depth=1
	s_delay_alu instid0(SALU_CYCLE_1)
	s_or_b32 exec_lo, exec_lo, s3
	v_dual_mov_b32 v162, 0 :: v_dual_mov_b32 v161, 0
	s_mov_b32 s3, exec_lo
	v_cmpx_lt_u32_e32 0xffffff, v163
	s_cbranch_execz .LBB333_394
; %bb.387:                              ;   in Loop: Header=BB333_10 Depth=1
	v_lshrrev_b32_e32 v163, 24, v163
	v_bfrev_b32_e32 v161, 1
	s_mov_b32 s19, exec_lo
	s_delay_alu instid0(VALU_DEP_2)
	v_cmpx_ne_u32_e32 0x80, v163
	s_cbranch_execz .LBB333_393
; %bb.388:                              ;   in Loop: Header=BB333_10 Depth=1
	v_and_b32_e32 v164, 0x7f, v163
	v_mov_b32_e32 v161, 0x7fc02000
	s_mov_b32 s20, exec_lo
	s_delay_alu instid0(VALU_DEP_2)
	v_cmpx_ne_u32_e32 0x7f, v164
	s_cbranch_execz .LBB333_392
; %bb.389:                              ;   in Loop: Header=BB333_10 Depth=1
	v_and_b32_e32 v8, 7, v163
	v_lshrrev_b32_e32 v161, 3, v164
	s_mov_b32 s21, exec_lo
	v_cmpx_gt_u32_e32 8, v164
; %bb.390:                              ;   in Loop: Header=BB333_10 Depth=1
	s_delay_alu instid0(VALU_DEP_3) | instskip(NEXT) | instid1(VALU_DEP_1)
	v_clz_i32_u32_e32 v161, v8
	v_min_u32_e32 v161, 32, v161
	s_delay_alu instid0(VALU_DEP_1) | instskip(SKIP_1) | instid1(VALU_DEP_2)
	v_subrev_nc_u32_e32 v164, 28, v161
	v_sub_nc_u32_e32 v161, 29, v161
	v_lshlrev_b64 v[164:165], v164, v[8:9]
	s_delay_alu instid0(VALU_DEP_1)
	v_and_b32_e32 v8, 7, v164
; %bb.391:                              ;   in Loop: Header=BB333_10 Depth=1
	s_or_b32 exec_lo, exec_lo, s21
	v_lshlrev_b32_e32 v163, 8, v163
	v_lshl_add_u32 v161, v161, 10, 0x2000
	s_delay_alu instid0(VALU_DEP_1) | instskip(NEXT) | instid1(VALU_DEP_1)
	v_and_or_b32 v161, 0x8000, v163, v161
	v_lshl_or_b32 v8, v8, 7, v161
	s_delay_alu instid0(VALU_DEP_1)
	v_cvt_f32_f16_e64 v161, v8
.LBB333_392:                            ;   in Loop: Header=BB333_10 Depth=1
	s_or_b32 exec_lo, exec_lo, s20
.LBB333_393:                            ;   in Loop: Header=BB333_10 Depth=1
	s_delay_alu instid0(SALU_CYCLE_1)
	s_or_b32 exec_lo, exec_lo, s19
.LBB333_394:                            ;   in Loop: Header=BB333_10 Depth=1
	s_delay_alu instid0(SALU_CYCLE_1) | instskip(SKIP_4) | instid1(VALU_DEP_1)
	s_or_b32 exec_lo, exec_lo, s3
	flat_load_b32 v164, v[28:29] offset:1536
	s_mov_b32 s3, exec_lo
	s_waitcnt vmcnt(0) lgkmcnt(0)
	v_and_b32_e32 v8, 0xff, v164
	v_cmpx_ne_u16_e32 0, v8
	s_cbranch_execz .LBB333_402
; %bb.395:                              ;   in Loop: Header=BB333_10 Depth=1
	v_bfrev_b32_e32 v162, 1
	s_mov_b32 s19, exec_lo
	v_cmpx_ne_u16_e32 0x80, v8
	s_cbranch_execz .LBB333_401
; %bb.396:                              ;   in Loop: Header=BB333_10 Depth=1
	v_and_b32_e32 v163, 0x7f, v164
	v_mov_b32_e32 v162, 0x7fc02000
	s_mov_b32 s20, exec_lo
	s_delay_alu instid0(VALU_DEP_2)
	v_cmpx_ne_u32_e32 0x7f, v163
	s_cbranch_execz .LBB333_400
; %bb.397:                              ;   in Loop: Header=BB333_10 Depth=1
	v_and_b32_e32 v8, 7, v164
	v_lshrrev_b32_e32 v162, 3, v163
	s_mov_b32 s21, exec_lo
	v_cmpx_gt_u32_e32 8, v163
; %bb.398:                              ;   in Loop: Header=BB333_10 Depth=1
	s_delay_alu instid0(VALU_DEP_3) | instskip(NEXT) | instid1(VALU_DEP_1)
	v_clz_i32_u32_e32 v162, v8
	v_min_u32_e32 v162, 32, v162
	s_delay_alu instid0(VALU_DEP_1) | instskip(SKIP_1) | instid1(VALU_DEP_2)
	v_subrev_nc_u32_e32 v163, 28, v162
	v_sub_nc_u32_e32 v162, 29, v162
	v_lshlrev_b64 v[165:166], v163, v[8:9]
	s_delay_alu instid0(VALU_DEP_1)
	v_and_b32_e32 v8, 7, v165
; %bb.399:                              ;   in Loop: Header=BB333_10 Depth=1
	s_or_b32 exec_lo, exec_lo, s21
	v_lshlrev_b32_e32 v163, 8, v164
	v_lshl_add_u32 v162, v162, 10, 0x2000
	s_delay_alu instid0(VALU_DEP_1) | instskip(NEXT) | instid1(VALU_DEP_1)
	v_and_or_b32 v162, 0x8000, v163, v162
	v_lshl_or_b32 v8, v8, 7, v162
	s_delay_alu instid0(VALU_DEP_1)
	v_cvt_f32_f16_e64 v162, v8
.LBB333_400:                            ;   in Loop: Header=BB333_10 Depth=1
	s_or_b32 exec_lo, exec_lo, s20
.LBB333_401:                            ;   in Loop: Header=BB333_10 Depth=1
	s_delay_alu instid0(SALU_CYCLE_1)
	s_or_b32 exec_lo, exec_lo, s19
.LBB333_402:                            ;   in Loop: Header=BB333_10 Depth=1
	s_delay_alu instid0(SALU_CYCLE_1) | instskip(SKIP_3) | instid1(VALU_DEP_2)
	s_or_b32 exec_lo, exec_lo, s3
	v_lshrrev_b16 v8, 8, v164
	v_dual_mov_b32 v166, 0 :: v_dual_mov_b32 v167, 0
	s_mov_b32 s3, exec_lo
	v_cmpx_ne_u16_e32 0, v8
	s_cbranch_execz .LBB333_410
; %bb.403:                              ;   in Loop: Header=BB333_10 Depth=1
	v_bfrev_b32_e32 v167, 1
	s_mov_b32 s19, exec_lo
	v_cmpx_ne_u16_e32 0x80, v8
	s_cbranch_execz .LBB333_409
; %bb.404:                              ;   in Loop: Header=BB333_10 Depth=1
	v_and_b32_e32 v163, 0xffff, v8
	v_mov_b32_e32 v167, 0x7fc02000
	s_mov_b32 s20, exec_lo
	s_delay_alu instid0(VALU_DEP_2) | instskip(NEXT) | instid1(VALU_DEP_1)
	v_and_b32_e32 v176, 0x7f, v163
	v_cmpx_ne_u32_e32 0x7f, v176
	s_cbranch_execz .LBB333_408
; %bb.405:                              ;   in Loop: Header=BB333_10 Depth=1
	v_and_b32_e32 v8, 7, v163
	v_lshrrev_b32_e32 v165, 3, v176
	s_mov_b32 s21, exec_lo
	v_cmpx_gt_u32_e32 8, v176
; %bb.406:                              ;   in Loop: Header=BB333_10 Depth=1
	s_delay_alu instid0(VALU_DEP_3) | instskip(NEXT) | instid1(VALU_DEP_1)
	v_clz_i32_u32_e32 v165, v8
	v_min_u32_e32 v165, 32, v165
	s_delay_alu instid0(VALU_DEP_1) | instskip(SKIP_1) | instid1(VALU_DEP_2)
	v_subrev_nc_u32_e32 v167, 28, v165
	v_sub_nc_u32_e32 v165, 29, v165
	v_lshlrev_b64 v[176:177], v167, v[8:9]
	s_delay_alu instid0(VALU_DEP_1)
	v_and_b32_e32 v8, 7, v176
; %bb.407:                              ;   in Loop: Header=BB333_10 Depth=1
	s_or_b32 exec_lo, exec_lo, s21
	v_lshlrev_b32_e32 v163, 8, v163
	v_lshl_add_u32 v165, v165, 10, 0x2000
	s_delay_alu instid0(VALU_DEP_1) | instskip(NEXT) | instid1(VALU_DEP_1)
	v_and_or_b32 v163, 0x8000, v163, v165
	v_lshl_or_b32 v8, v8, 7, v163
	s_delay_alu instid0(VALU_DEP_1)
	v_cvt_f32_f16_e64 v167, v8
.LBB333_408:                            ;   in Loop: Header=BB333_10 Depth=1
	s_or_b32 exec_lo, exec_lo, s20
.LBB333_409:                            ;   in Loop: Header=BB333_10 Depth=1
	s_delay_alu instid0(SALU_CYCLE_1)
	s_or_b32 exec_lo, exec_lo, s19
.LBB333_410:                            ;   in Loop: Header=BB333_10 Depth=1
	s_delay_alu instid0(SALU_CYCLE_1) | instskip(SKIP_2) | instid1(VALU_DEP_1)
	s_or_b32 exec_lo, exec_lo, s3
	v_lshrrev_b32_e32 v163, 16, v164
	s_mov_b32 s3, exec_lo
	v_and_b32_e32 v8, 0xff, v163
	s_delay_alu instid0(VALU_DEP_1)
	v_cmpx_ne_u16_e32 0, v8
	s_cbranch_execz .LBB333_418
; %bb.411:                              ;   in Loop: Header=BB333_10 Depth=1
	v_bfrev_b32_e32 v166, 1
	s_mov_b32 s19, exec_lo
	v_cmpx_ne_u16_e32 0x80, v8
	s_cbranch_execz .LBB333_417
; %bb.412:                              ;   in Loop: Header=BB333_10 Depth=1
	v_bfe_u32 v176, v164, 16, 7
	v_mov_b32_e32 v166, 0x7fc02000
	s_mov_b32 s20, exec_lo
	s_delay_alu instid0(VALU_DEP_2)
	v_cmpx_ne_u32_e32 0x7f, v176
	s_cbranch_execz .LBB333_416
; %bb.413:                              ;   in Loop: Header=BB333_10 Depth=1
	v_and_b32_e32 v8, 7, v163
	v_lshrrev_b32_e32 v165, 3, v176
	s_mov_b32 s21, exec_lo
	v_cmpx_gt_u32_e32 8, v176
; %bb.414:                              ;   in Loop: Header=BB333_10 Depth=1
	s_delay_alu instid0(VALU_DEP_3) | instskip(NEXT) | instid1(VALU_DEP_1)
	v_clz_i32_u32_e32 v165, v8
	v_min_u32_e32 v165, 32, v165
	s_delay_alu instid0(VALU_DEP_1) | instskip(SKIP_1) | instid1(VALU_DEP_2)
	v_subrev_nc_u32_e32 v166, 28, v165
	v_sub_nc_u32_e32 v165, 29, v165
	v_lshlrev_b64 v[176:177], v166, v[8:9]
	s_delay_alu instid0(VALU_DEP_1)
	v_and_b32_e32 v8, 7, v176
; %bb.415:                              ;   in Loop: Header=BB333_10 Depth=1
	s_or_b32 exec_lo, exec_lo, s21
	v_lshlrev_b32_e32 v163, 8, v163
	v_lshl_add_u32 v165, v165, 10, 0x2000
	s_delay_alu instid0(VALU_DEP_1) | instskip(NEXT) | instid1(VALU_DEP_1)
	v_and_or_b32 v163, 0x8000, v163, v165
	v_lshl_or_b32 v8, v8, 7, v163
	s_delay_alu instid0(VALU_DEP_1)
	v_cvt_f32_f16_e64 v166, v8
.LBB333_416:                            ;   in Loop: Header=BB333_10 Depth=1
	s_or_b32 exec_lo, exec_lo, s20
.LBB333_417:                            ;   in Loop: Header=BB333_10 Depth=1
	s_delay_alu instid0(SALU_CYCLE_1)
	s_or_b32 exec_lo, exec_lo, s19
.LBB333_418:                            ;   in Loop: Header=BB333_10 Depth=1
	s_delay_alu instid0(SALU_CYCLE_1)
	s_or_b32 exec_lo, exec_lo, s3
	v_mov_b32_e32 v163, 0
	v_mov_b32_e32 v177, 0
	s_mov_b32 s3, exec_lo
	v_cmpx_lt_u32_e32 0xffffff, v164
	s_cbranch_execz .LBB333_426
; %bb.419:                              ;   in Loop: Header=BB333_10 Depth=1
	v_lshrrev_b32_e32 v164, 24, v164
	v_bfrev_b32_e32 v177, 1
	s_mov_b32 s19, exec_lo
	s_delay_alu instid0(VALU_DEP_2)
	v_cmpx_ne_u32_e32 0x80, v164
	s_cbranch_execz .LBB333_425
; %bb.420:                              ;   in Loop: Header=BB333_10 Depth=1
	v_and_b32_e32 v176, 0x7f, v164
	v_mov_b32_e32 v177, 0x7fc02000
	s_mov_b32 s20, exec_lo
	s_delay_alu instid0(VALU_DEP_2)
	v_cmpx_ne_u32_e32 0x7f, v176
	s_cbranch_execz .LBB333_424
; %bb.421:                              ;   in Loop: Header=BB333_10 Depth=1
	v_and_b32_e32 v8, 7, v164
	v_lshrrev_b32_e32 v165, 3, v176
	s_mov_b32 s21, exec_lo
	v_cmpx_gt_u32_e32 8, v176
; %bb.422:                              ;   in Loop: Header=BB333_10 Depth=1
	s_delay_alu instid0(VALU_DEP_3) | instskip(NEXT) | instid1(VALU_DEP_1)
	v_clz_i32_u32_e32 v165, v8
	v_min_u32_e32 v165, 32, v165
	s_delay_alu instid0(VALU_DEP_1) | instskip(SKIP_1) | instid1(VALU_DEP_2)
	v_subrev_nc_u32_e32 v176, 28, v165
	v_sub_nc_u32_e32 v165, 29, v165
	v_lshlrev_b64 v[176:177], v176, v[8:9]
	s_delay_alu instid0(VALU_DEP_1)
	v_and_b32_e32 v8, 7, v176
; %bb.423:                              ;   in Loop: Header=BB333_10 Depth=1
	s_or_b32 exec_lo, exec_lo, s21
	v_lshlrev_b32_e32 v164, 8, v164
	v_lshl_add_u32 v165, v165, 10, 0x2000
	s_delay_alu instid0(VALU_DEP_1) | instskip(NEXT) | instid1(VALU_DEP_1)
	v_and_or_b32 v164, 0x8000, v164, v165
	v_lshl_or_b32 v8, v8, 7, v164
	s_delay_alu instid0(VALU_DEP_1)
	v_cvt_f32_f16_e64 v177, v8
.LBB333_424:                            ;   in Loop: Header=BB333_10 Depth=1
	s_or_b32 exec_lo, exec_lo, s20
.LBB333_425:                            ;   in Loop: Header=BB333_10 Depth=1
	s_delay_alu instid0(SALU_CYCLE_1)
	s_or_b32 exec_lo, exec_lo, s19
.LBB333_426:                            ;   in Loop: Header=BB333_10 Depth=1
	s_delay_alu instid0(SALU_CYCLE_1) | instskip(SKIP_4) | instid1(VALU_DEP_1)
	s_or_b32 exec_lo, exec_lo, s3
	flat_load_b32 v165, v[28:29] offset:1544
	s_mov_b32 s3, exec_lo
	s_waitcnt vmcnt(0) lgkmcnt(0)
	v_and_b32_e32 v8, 0xff, v165
	v_cmpx_ne_u16_e32 0, v8
	s_cbranch_execz .LBB333_434
; %bb.427:                              ;   in Loop: Header=BB333_10 Depth=1
	v_bfrev_b32_e32 v163, 1
	s_mov_b32 s19, exec_lo
	v_cmpx_ne_u16_e32 0x80, v8
	s_cbranch_execz .LBB333_433
; %bb.428:                              ;   in Loop: Header=BB333_10 Depth=1
	v_and_b32_e32 v164, 0x7f, v165
	v_mov_b32_e32 v163, 0x7fc02000
	s_mov_b32 s20, exec_lo
	s_delay_alu instid0(VALU_DEP_2)
	v_cmpx_ne_u32_e32 0x7f, v164
	s_cbranch_execz .LBB333_432
; %bb.429:                              ;   in Loop: Header=BB333_10 Depth=1
	v_and_b32_e32 v8, 7, v165
	v_lshrrev_b32_e32 v163, 3, v164
	s_mov_b32 s21, exec_lo
	v_cmpx_gt_u32_e32 8, v164
; %bb.430:                              ;   in Loop: Header=BB333_10 Depth=1
	s_delay_alu instid0(VALU_DEP_3) | instskip(NEXT) | instid1(VALU_DEP_1)
	v_clz_i32_u32_e32 v163, v8
	v_min_u32_e32 v163, 32, v163
	s_delay_alu instid0(VALU_DEP_1) | instskip(SKIP_1) | instid1(VALU_DEP_2)
	v_subrev_nc_u32_e32 v164, 28, v163
	v_sub_nc_u32_e32 v163, 29, v163
	v_lshlrev_b64 v[178:179], v164, v[8:9]
	s_delay_alu instid0(VALU_DEP_1)
	v_and_b32_e32 v8, 7, v178
; %bb.431:                              ;   in Loop: Header=BB333_10 Depth=1
	s_or_b32 exec_lo, exec_lo, s21
	v_lshlrev_b32_e32 v164, 8, v165
	v_lshl_add_u32 v163, v163, 10, 0x2000
	s_delay_alu instid0(VALU_DEP_1) | instskip(NEXT) | instid1(VALU_DEP_1)
	v_and_or_b32 v163, 0x8000, v164, v163
	v_lshl_or_b32 v8, v8, 7, v163
	s_delay_alu instid0(VALU_DEP_1)
	v_cvt_f32_f16_e64 v163, v8
.LBB333_432:                            ;   in Loop: Header=BB333_10 Depth=1
	s_or_b32 exec_lo, exec_lo, s20
.LBB333_433:                            ;   in Loop: Header=BB333_10 Depth=1
	s_delay_alu instid0(SALU_CYCLE_1)
	s_or_b32 exec_lo, exec_lo, s19
.LBB333_434:                            ;   in Loop: Header=BB333_10 Depth=1
	s_delay_alu instid0(SALU_CYCLE_1) | instskip(SKIP_4) | instid1(VALU_DEP_3)
	s_or_b32 exec_lo, exec_lo, s3
	v_lshrrev_b16 v8, 8, v165
	v_mov_b32_e32 v176, 0
	v_mov_b32_e32 v164, 0
	s_mov_b32 s3, exec_lo
	v_cmpx_ne_u16_e32 0, v8
	s_cbranch_execz .LBB333_442
; %bb.435:                              ;   in Loop: Header=BB333_10 Depth=1
	v_bfrev_b32_e32 v164, 1
	s_mov_b32 s19, exec_lo
	v_cmpx_ne_u16_e32 0x80, v8
	s_cbranch_execz .LBB333_441
; %bb.436:                              ;   in Loop: Header=BB333_10 Depth=1
	v_and_b32_e32 v178, 0xffff, v8
	v_mov_b32_e32 v164, 0x7fc02000
	s_mov_b32 s20, exec_lo
	s_delay_alu instid0(VALU_DEP_2) | instskip(NEXT) | instid1(VALU_DEP_1)
	v_and_b32_e32 v179, 0x7f, v178
	v_cmpx_ne_u32_e32 0x7f, v179
	s_cbranch_execz .LBB333_440
; %bb.437:                              ;   in Loop: Header=BB333_10 Depth=1
	v_and_b32_e32 v8, 7, v178
	v_lshrrev_b32_e32 v164, 3, v179
	s_mov_b32 s21, exec_lo
	v_cmpx_gt_u32_e32 8, v179
; %bb.438:                              ;   in Loop: Header=BB333_10 Depth=1
	s_delay_alu instid0(VALU_DEP_3) | instskip(NEXT) | instid1(VALU_DEP_1)
	v_clz_i32_u32_e32 v164, v8
	v_min_u32_e32 v164, 32, v164
	s_delay_alu instid0(VALU_DEP_1) | instskip(SKIP_1) | instid1(VALU_DEP_2)
	v_subrev_nc_u32_e32 v179, 28, v164
	v_sub_nc_u32_e32 v164, 29, v164
	v_lshlrev_b64 v[179:180], v179, v[8:9]
	s_delay_alu instid0(VALU_DEP_1)
	v_and_b32_e32 v8, 7, v179
; %bb.439:                              ;   in Loop: Header=BB333_10 Depth=1
	s_or_b32 exec_lo, exec_lo, s21
	v_lshlrev_b32_e32 v178, 8, v178
	v_lshl_add_u32 v164, v164, 10, 0x2000
	s_delay_alu instid0(VALU_DEP_1) | instskip(NEXT) | instid1(VALU_DEP_1)
	v_and_or_b32 v164, 0x8000, v178, v164
	v_lshl_or_b32 v8, v8, 7, v164
	s_delay_alu instid0(VALU_DEP_1)
	v_cvt_f32_f16_e64 v164, v8
.LBB333_440:                            ;   in Loop: Header=BB333_10 Depth=1
	s_or_b32 exec_lo, exec_lo, s20
.LBB333_441:                            ;   in Loop: Header=BB333_10 Depth=1
	s_delay_alu instid0(SALU_CYCLE_1)
	s_or_b32 exec_lo, exec_lo, s19
.LBB333_442:                            ;   in Loop: Header=BB333_10 Depth=1
	s_delay_alu instid0(SALU_CYCLE_1) | instskip(SKIP_2) | instid1(VALU_DEP_1)
	s_or_b32 exec_lo, exec_lo, s3
	v_lshrrev_b32_e32 v178, 16, v165
	s_mov_b32 s3, exec_lo
	v_and_b32_e32 v8, 0xff, v178
	s_delay_alu instid0(VALU_DEP_1)
	v_cmpx_ne_u16_e32 0, v8
	s_cbranch_execz .LBB333_450
; %bb.443:                              ;   in Loop: Header=BB333_10 Depth=1
	v_bfrev_b32_e32 v176, 1
	s_mov_b32 s19, exec_lo
	v_cmpx_ne_u16_e32 0x80, v8
	s_cbranch_execz .LBB333_449
; %bb.444:                              ;   in Loop: Header=BB333_10 Depth=1
	v_bfe_u32 v179, v165, 16, 7
	v_mov_b32_e32 v176, 0x7fc02000
	s_mov_b32 s20, exec_lo
	s_delay_alu instid0(VALU_DEP_2)
	v_cmpx_ne_u32_e32 0x7f, v179
	s_cbranch_execz .LBB333_448
; %bb.445:                              ;   in Loop: Header=BB333_10 Depth=1
	v_and_b32_e32 v8, 7, v178
	v_lshrrev_b32_e32 v176, 3, v179
	s_mov_b32 s21, exec_lo
	v_cmpx_gt_u32_e32 8, v179
; %bb.446:                              ;   in Loop: Header=BB333_10 Depth=1
	s_delay_alu instid0(VALU_DEP_3) | instskip(NEXT) | instid1(VALU_DEP_1)
	v_clz_i32_u32_e32 v176, v8
	v_min_u32_e32 v176, 32, v176
	s_delay_alu instid0(VALU_DEP_1) | instskip(SKIP_1) | instid1(VALU_DEP_2)
	v_subrev_nc_u32_e32 v179, 28, v176
	v_sub_nc_u32_e32 v176, 29, v176
	v_lshlrev_b64 v[179:180], v179, v[8:9]
	s_delay_alu instid0(VALU_DEP_1)
	v_and_b32_e32 v8, 7, v179
; %bb.447:                              ;   in Loop: Header=BB333_10 Depth=1
	s_or_b32 exec_lo, exec_lo, s21
	v_lshlrev_b32_e32 v178, 8, v178
	v_lshl_add_u32 v176, v176, 10, 0x2000
	s_delay_alu instid0(VALU_DEP_1) | instskip(NEXT) | instid1(VALU_DEP_1)
	v_and_or_b32 v176, 0x8000, v178, v176
	v_lshl_or_b32 v8, v8, 7, v176
	s_delay_alu instid0(VALU_DEP_1)
	v_cvt_f32_f16_e64 v176, v8
.LBB333_448:                            ;   in Loop: Header=BB333_10 Depth=1
	s_or_b32 exec_lo, exec_lo, s20
.LBB333_449:                            ;   in Loop: Header=BB333_10 Depth=1
	s_delay_alu instid0(SALU_CYCLE_1)
	s_or_b32 exec_lo, exec_lo, s19
.LBB333_450:                            ;   in Loop: Header=BB333_10 Depth=1
	s_delay_alu instid0(SALU_CYCLE_1)
	s_or_b32 exec_lo, exec_lo, s3
	v_dual_mov_b32 v178, 0 :: v_dual_mov_b32 v179, 0
	s_mov_b32 s3, exec_lo
	v_cmpx_lt_u32_e32 0xffffff, v165
	s_cbranch_execz .LBB333_458
; %bb.451:                              ;   in Loop: Header=BB333_10 Depth=1
	v_lshrrev_b32_e32 v165, 24, v165
	v_bfrev_b32_e32 v179, 1
	s_mov_b32 s19, exec_lo
	s_delay_alu instid0(VALU_DEP_2)
	v_cmpx_ne_u32_e32 0x80, v165
	s_cbranch_execz .LBB333_457
; %bb.452:                              ;   in Loop: Header=BB333_10 Depth=1
	v_and_b32_e32 v180, 0x7f, v165
	v_mov_b32_e32 v179, 0x7fc02000
	s_mov_b32 s20, exec_lo
	s_delay_alu instid0(VALU_DEP_2)
	v_cmpx_ne_u32_e32 0x7f, v180
	s_cbranch_execz .LBB333_456
; %bb.453:                              ;   in Loop: Header=BB333_10 Depth=1
	v_and_b32_e32 v8, 7, v165
	v_lshrrev_b32_e32 v179, 3, v180
	s_mov_b32 s21, exec_lo
	v_cmpx_gt_u32_e32 8, v180
; %bb.454:                              ;   in Loop: Header=BB333_10 Depth=1
	s_delay_alu instid0(VALU_DEP_3) | instskip(NEXT) | instid1(VALU_DEP_1)
	v_clz_i32_u32_e32 v179, v8
	v_min_u32_e32 v179, 32, v179
	s_delay_alu instid0(VALU_DEP_1) | instskip(SKIP_1) | instid1(VALU_DEP_2)
	v_subrev_nc_u32_e32 v180, 28, v179
	v_sub_nc_u32_e32 v179, 29, v179
	v_lshlrev_b64 v[180:181], v180, v[8:9]
	s_delay_alu instid0(VALU_DEP_1)
	v_and_b32_e32 v8, 7, v180
; %bb.455:                              ;   in Loop: Header=BB333_10 Depth=1
	s_or_b32 exec_lo, exec_lo, s21
	v_lshlrev_b32_e32 v165, 8, v165
	v_lshl_add_u32 v179, v179, 10, 0x2000
	s_delay_alu instid0(VALU_DEP_1) | instskip(NEXT) | instid1(VALU_DEP_1)
	v_and_or_b32 v165, 0x8000, v165, v179
	v_lshl_or_b32 v8, v8, 7, v165
	s_delay_alu instid0(VALU_DEP_1)
	v_cvt_f32_f16_e64 v179, v8
.LBB333_456:                            ;   in Loop: Header=BB333_10 Depth=1
	s_or_b32 exec_lo, exec_lo, s20
.LBB333_457:                            ;   in Loop: Header=BB333_10 Depth=1
	s_delay_alu instid0(SALU_CYCLE_1)
	s_or_b32 exec_lo, exec_lo, s19
.LBB333_458:                            ;   in Loop: Header=BB333_10 Depth=1
	s_delay_alu instid0(SALU_CYCLE_1) | instskip(SKIP_4) | instid1(VALU_DEP_1)
	s_or_b32 exec_lo, exec_lo, s3
	flat_load_b32 v29, v[28:29] offset:1792
	s_mov_b32 s3, exec_lo
	s_waitcnt vmcnt(0) lgkmcnt(0)
	v_and_b32_e32 v8, 0xff, v29
	v_cmpx_ne_u16_e32 0, v8
	s_cbranch_execz .LBB333_466
; %bb.459:                              ;   in Loop: Header=BB333_10 Depth=1
	v_bfrev_b32_e32 v178, 1
	s_mov_b32 s19, exec_lo
	v_cmpx_ne_u16_e32 0x80, v8
	s_cbranch_execz .LBB333_465
; %bb.460:                              ;   in Loop: Header=BB333_10 Depth=1
	v_and_b32_e32 v165, 0x7f, v29
	v_mov_b32_e32 v178, 0x7fc02000
	s_mov_b32 s20, exec_lo
	s_delay_alu instid0(VALU_DEP_2)
	v_cmpx_ne_u32_e32 0x7f, v165
	s_cbranch_execz .LBB333_464
; %bb.461:                              ;   in Loop: Header=BB333_10 Depth=1
	v_and_b32_e32 v8, 7, v29
	v_lshrrev_b32_e32 v28, 3, v165
	s_mov_b32 s21, exec_lo
	v_cmpx_gt_u32_e32 8, v165
; %bb.462:                              ;   in Loop: Header=BB333_10 Depth=1
	s_delay_alu instid0(VALU_DEP_3) | instskip(NEXT) | instid1(VALU_DEP_1)
	v_clz_i32_u32_e32 v28, v8
	v_min_u32_e32 v28, 32, v28
	s_delay_alu instid0(VALU_DEP_1) | instskip(SKIP_1) | instid1(VALU_DEP_2)
	v_subrev_nc_u32_e32 v165, 28, v28
	v_sub_nc_u32_e32 v28, 29, v28
	v_lshlrev_b64 v[180:181], v165, v[8:9]
	s_delay_alu instid0(VALU_DEP_1)
	v_and_b32_e32 v8, 7, v180
; %bb.463:                              ;   in Loop: Header=BB333_10 Depth=1
	s_or_b32 exec_lo, exec_lo, s21
	v_lshlrev_b32_e32 v165, 8, v29
	v_lshl_add_u32 v28, v28, 10, 0x2000
	s_delay_alu instid0(VALU_DEP_1) | instskip(NEXT) | instid1(VALU_DEP_1)
	v_and_or_b32 v28, 0x8000, v165, v28
	v_lshl_or_b32 v8, v8, 7, v28
	s_delay_alu instid0(VALU_DEP_1)
	v_cvt_f32_f16_e64 v178, v8
.LBB333_464:                            ;   in Loop: Header=BB333_10 Depth=1
	s_or_b32 exec_lo, exec_lo, s20
.LBB333_465:                            ;   in Loop: Header=BB333_10 Depth=1
	s_delay_alu instid0(SALU_CYCLE_1)
	s_or_b32 exec_lo, exec_lo, s19
.LBB333_466:                            ;   in Loop: Header=BB333_10 Depth=1
	s_delay_alu instid0(SALU_CYCLE_1) | instskip(SKIP_4) | instid1(VALU_DEP_3)
	s_or_b32 exec_lo, exec_lo, s3
	v_lshrrev_b16 v8, 8, v29
	v_mov_b32_e32 v28, 0
	v_mov_b32_e32 v180, 0
	s_mov_b32 s3, exec_lo
	v_cmpx_ne_u16_e32 0, v8
	s_cbranch_execz .LBB333_474
; %bb.467:                              ;   in Loop: Header=BB333_10 Depth=1
	v_bfrev_b32_e32 v180, 1
	s_mov_b32 s19, exec_lo
	v_cmpx_ne_u16_e32 0x80, v8
	s_cbranch_execz .LBB333_473
; %bb.468:                              ;   in Loop: Header=BB333_10 Depth=1
	v_and_b32_e32 v165, 0xffff, v8
	v_mov_b32_e32 v180, 0x7fc02000
	s_mov_b32 s20, exec_lo
	s_delay_alu instid0(VALU_DEP_2) | instskip(NEXT) | instid1(VALU_DEP_1)
	v_and_b32_e32 v181, 0x7f, v165
	v_cmpx_ne_u32_e32 0x7f, v181
	s_cbranch_execz .LBB333_472
; %bb.469:                              ;   in Loop: Header=BB333_10 Depth=1
	v_and_b32_e32 v8, 7, v165
	v_lshrrev_b32_e32 v180, 3, v181
	s_mov_b32 s21, exec_lo
	v_cmpx_gt_u32_e32 8, v181
; %bb.470:                              ;   in Loop: Header=BB333_10 Depth=1
	s_delay_alu instid0(VALU_DEP_3) | instskip(NEXT) | instid1(VALU_DEP_1)
	v_clz_i32_u32_e32 v180, v8
	v_min_u32_e32 v180, 32, v180
	s_delay_alu instid0(VALU_DEP_1) | instskip(SKIP_1) | instid1(VALU_DEP_2)
	v_subrev_nc_u32_e32 v181, 28, v180
	v_sub_nc_u32_e32 v180, 29, v180
	v_lshlrev_b64 v[181:182], v181, v[8:9]
	s_delay_alu instid0(VALU_DEP_1)
	v_and_b32_e32 v8, 7, v181
; %bb.471:                              ;   in Loop: Header=BB333_10 Depth=1
	s_or_b32 exec_lo, exec_lo, s21
	v_lshlrev_b32_e32 v165, 8, v165
	v_lshl_add_u32 v180, v180, 10, 0x2000
	s_delay_alu instid0(VALU_DEP_1) | instskip(NEXT) | instid1(VALU_DEP_1)
	v_and_or_b32 v165, 0x8000, v165, v180
	v_lshl_or_b32 v8, v8, 7, v165
	s_delay_alu instid0(VALU_DEP_1)
	v_cvt_f32_f16_e64 v180, v8
.LBB333_472:                            ;   in Loop: Header=BB333_10 Depth=1
	s_or_b32 exec_lo, exec_lo, s20
.LBB333_473:                            ;   in Loop: Header=BB333_10 Depth=1
	s_delay_alu instid0(SALU_CYCLE_1)
	s_or_b32 exec_lo, exec_lo, s19
.LBB333_474:                            ;   in Loop: Header=BB333_10 Depth=1
	s_delay_alu instid0(SALU_CYCLE_1) | instskip(SKIP_2) | instid1(VALU_DEP_1)
	s_or_b32 exec_lo, exec_lo, s3
	v_lshrrev_b32_e32 v165, 16, v29
	s_mov_b32 s3, exec_lo
	v_and_b32_e32 v8, 0xff, v165
	s_delay_alu instid0(VALU_DEP_1)
	v_cmpx_ne_u16_e32 0, v8
	s_cbranch_execz .LBB333_482
; %bb.475:                              ;   in Loop: Header=BB333_10 Depth=1
	v_bfrev_b32_e32 v28, 1
	s_mov_b32 s19, exec_lo
	v_cmpx_ne_u16_e32 0x80, v8
	s_cbranch_execz .LBB333_481
; %bb.476:                              ;   in Loop: Header=BB333_10 Depth=1
	v_bfe_u32 v181, v29, 16, 7
	v_mov_b32_e32 v28, 0x7fc02000
	s_mov_b32 s20, exec_lo
	s_delay_alu instid0(VALU_DEP_2)
	v_cmpx_ne_u32_e32 0x7f, v181
	s_cbranch_execz .LBB333_480
; %bb.477:                              ;   in Loop: Header=BB333_10 Depth=1
	v_and_b32_e32 v8, 7, v165
	v_lshrrev_b32_e32 v28, 3, v181
	s_mov_b32 s21, exec_lo
	v_cmpx_gt_u32_e32 8, v181
; %bb.478:                              ;   in Loop: Header=BB333_10 Depth=1
	s_delay_alu instid0(VALU_DEP_3) | instskip(NEXT) | instid1(VALU_DEP_1)
	v_clz_i32_u32_e32 v28, v8
	v_min_u32_e32 v28, 32, v28
	s_delay_alu instid0(VALU_DEP_1) | instskip(SKIP_1) | instid1(VALU_DEP_2)
	v_subrev_nc_u32_e32 v181, 28, v28
	v_sub_nc_u32_e32 v28, 29, v28
	v_lshlrev_b64 v[181:182], v181, v[8:9]
	s_delay_alu instid0(VALU_DEP_1)
	v_and_b32_e32 v8, 7, v181
; %bb.479:                              ;   in Loop: Header=BB333_10 Depth=1
	s_or_b32 exec_lo, exec_lo, s21
	v_lshlrev_b32_e32 v165, 8, v165
	v_lshl_add_u32 v28, v28, 10, 0x2000
	s_delay_alu instid0(VALU_DEP_1) | instskip(NEXT) | instid1(VALU_DEP_1)
	v_and_or_b32 v28, 0x8000, v165, v28
	v_lshl_or_b32 v8, v8, 7, v28
	s_delay_alu instid0(VALU_DEP_1)
	v_cvt_f32_f16_e32 v28, v8
.LBB333_480:                            ;   in Loop: Header=BB333_10 Depth=1
	s_or_b32 exec_lo, exec_lo, s20
.LBB333_481:                            ;   in Loop: Header=BB333_10 Depth=1
	s_delay_alu instid0(SALU_CYCLE_1)
	s_or_b32 exec_lo, exec_lo, s19
.LBB333_482:                            ;   in Loop: Header=BB333_10 Depth=1
	s_delay_alu instid0(SALU_CYCLE_1)
	s_or_b32 exec_lo, exec_lo, s3
	v_mov_b32_e32 v8, 0
	s_mov_b32 s3, exec_lo
	v_cmpx_lt_u32_e32 0xffffff, v29
	s_cbranch_execz .LBB333_490
; %bb.483:                              ;   in Loop: Header=BB333_10 Depth=1
	v_lshrrev_b32_e32 v29, 24, v29
	v_bfrev_b32_e32 v8, 1
	s_mov_b32 s19, exec_lo
	s_delay_alu instid0(VALU_DEP_2)
	v_cmpx_ne_u32_e32 0x80, v29
	s_cbranch_execz .LBB333_489
; %bb.484:                              ;   in Loop: Header=BB333_10 Depth=1
	v_and_b32_e32 v181, 0x7f, v29
	v_mov_b32_e32 v8, 0x7fc02000
	s_mov_b32 s20, exec_lo
	s_delay_alu instid0(VALU_DEP_2)
	v_cmpx_ne_u32_e32 0x7f, v181
	s_cbranch_execz .LBB333_488
; %bb.485:                              ;   in Loop: Header=BB333_10 Depth=1
	v_and_b32_e32 v8, 7, v29
	v_lshrrev_b32_e32 v165, 3, v181
	s_mov_b32 s21, exec_lo
	v_cmpx_gt_u32_e32 8, v181
; %bb.486:                              ;   in Loop: Header=BB333_10 Depth=1
	s_delay_alu instid0(VALU_DEP_3) | instskip(NEXT) | instid1(VALU_DEP_1)
	v_clz_i32_u32_e32 v165, v8
	v_min_u32_e32 v165, 32, v165
	s_delay_alu instid0(VALU_DEP_1) | instskip(SKIP_1) | instid1(VALU_DEP_2)
	v_subrev_nc_u32_e32 v181, 28, v165
	v_sub_nc_u32_e32 v165, 29, v165
	v_lshlrev_b64 v[181:182], v181, v[8:9]
	s_delay_alu instid0(VALU_DEP_1)
	v_and_b32_e32 v8, 7, v181
; %bb.487:                              ;   in Loop: Header=BB333_10 Depth=1
	s_or_b32 exec_lo, exec_lo, s21
	v_lshlrev_b32_e32 v29, 8, v29
	v_lshl_add_u32 v165, v165, 10, 0x2000
	s_delay_alu instid0(VALU_DEP_1) | instskip(NEXT) | instid1(VALU_DEP_1)
	v_and_or_b32 v29, 0x8000, v29, v165
	v_lshl_or_b32 v8, v8, 7, v29
	s_delay_alu instid0(VALU_DEP_1)
	v_cvt_f32_f16_e32 v8, v8
.LBB333_488:                            ;   in Loop: Header=BB333_10 Depth=1
	s_or_b32 exec_lo, exec_lo, s20
.LBB333_489:                            ;   in Loop: Header=BB333_10 Depth=1
	s_delay_alu instid0(SALU_CYCLE_1)
	s_or_b32 exec_lo, exec_lo, s19
.LBB333_490:                            ;   in Loop: Header=BB333_10 Depth=1
	s_delay_alu instid0(SALU_CYCLE_1)
	s_or_b32 exec_lo, exec_lo, s3
	v_fma_mixlo_f16 v165, v65, v163, 0
	v_fma_mixlo_f16 v163, v65, v176, 0
	;; [unrolled: 1-line block ×20, first 2 shown]
	ds_load_b64 v[68:69], v52
	v_fma_mixlo_f16 v29, v65, v179, 0
	v_fma_mixlo_f16 v179, v65, v66, 0
	;; [unrolled: 1-line block ×40, first 2 shown]
	s_waitcnt lgkmcnt(0)
	v_lshrrev_b32_e32 v65, 16, v68
	v_and_b32_e32 v68, 0xffff, v68
	;;#ASMSTART
	v_cvt_f32_f16 v178, v68;
	;;#ASMEND
	;;#ASMSTART
	v_cvt_f32_f16 v180, v65;
	;;#ASMEND
	v_and_b32_e32 v65, 0xffff, v179
	;;#ASMSTART
	v_cvt_f32_f16 v179, v65;
	;;#ASMEND
	v_and_b32_e32 v65, 0xffff, v113
	;;#ASMSTART
	v_cvt_f32_f16 v113, v65;
	;;#ASMEND
	v_lshrrev_b32_e32 v65, 16, v69
	v_and_b32_e32 v68, 0xffff, v69
	;;#ASMSTART
	v_cvt_f32_f16 v183, v68;
	;;#ASMEND
	;;#ASMSTART
	v_cvt_f32_f16 v40, v65;
	;;#ASMEND
	v_and_b32_e32 v65, 0xffff, v181
	;;#ASMSTART
	v_cvt_f32_f16 v181, v65;
	;;#ASMEND
	v_and_b32_e32 v65, 0xffff, v182
	;;#ASMSTART
	v_cvt_f32_f16 v182, v65;
	;;#ASMEND
	ds_load_b64 v[68:69], v52 offset:8
	v_and_b32_e32 v71, 0xffff, v71
	v_and_b32_e32 v29, 0xffff, v29
	;; [unrolled: 1-line block ×6, first 2 shown]
	s_waitcnt lgkmcnt(0)
	v_lshrrev_b32_e32 v65, 16, v68
	v_and_b32_e32 v68, 0xffff, v68
	;;#ASMSTART
	v_cvt_f32_f16 v68, v68;
	;;#ASMEND
	;;#ASMSTART
	v_cvt_f32_f16 v41, v65;
	;;#ASMEND
	v_and_b32_e32 v65, 0xffff, v70
	;;#ASMSTART
	v_cvt_f32_f16 v65, v65;
	;;#ASMEND
	s_delay_alu instid0(VALU_DEP_1) | instskip(SKIP_1) | instid1(VALU_DEP_1)
	v_dual_mul_f32 v65, v68, v65 :: v_dual_and_b32 v70, 0xffff, v80
	;;#ASMSTART
	v_cvt_f32_f16 v70, v70;
	;;#ASMEND
	v_mul_f32_e32 v68, v41, v70
	v_lshrrev_b32_e32 v70, 16, v69
	v_and_b32_e32 v69, 0xffff, v69
	v_and_b32_e32 v80, 0xffff, v81
	;;#ASMSTART
	v_cvt_f32_f16 v69, v69;
	;;#ASMEND
	;;#ASMSTART
	v_cvt_f32_f16 v70, v70;
	;;#ASMEND
	;;#ASMSTART
	v_cvt_f32_f16 v71, v71;
	;;#ASMEND
	;;#ASMSTART
	v_cvt_f32_f16 v80, v80;
	;;#ASMEND
	v_mul_f32_e32 v70, v70, v80
	ds_load_b64 v[80:81], v52 offset:16
	v_mul_f32_e32 v69, v69, v71
	v_dual_fmac_f32 v65, v178, v179 :: v_dual_fmac_f32 v68, v180, v113
	s_delay_alu instid0(VALU_DEP_2)
	v_dual_fmac_f32 v70, v40, v182 :: v_dual_fmac_f32 v69, v183, v181
	v_and_b32_e32 v82, 0xffff, v82
	s_waitcnt lgkmcnt(0)
	v_lshrrev_b32_e32 v71, 16, v80
	v_and_b32_e32 v80, 0xffff, v80
	;;#ASMSTART
	v_cvt_f32_f16 v80, v80;
	;;#ASMEND
	;;#ASMSTART
	v_cvt_f32_f16 v71, v71;
	;;#ASMEND
	;; [unrolled: 3-line block ×3, first 2 shown]
	s_delay_alu instid0(VALU_DEP_1) | instskip(SKIP_1) | instid1(VALU_DEP_1)
	v_dual_fmac_f32 v65, v80, v82 :: v_dual_and_b32 v84, 0xffff, v84
	;;#ASMSTART
	v_cvt_f32_f16 v84, v84;
	;;#ASMEND
	v_fmac_f32_e32 v68, v71, v84
	v_lshrrev_b32_e32 v71, 16, v81
	v_and_b32_e32 v80, 0xffff, v81
	v_and_b32_e32 v81, 0xffff, v83
	;;#ASMSTART
	v_cvt_f32_f16 v80, v80;
	;;#ASMEND
	;;#ASMSTART
	v_cvt_f32_f16 v71, v71;
	;;#ASMEND
	;;#ASMSTART
	v_cvt_f32_f16 v81, v81;
	;;#ASMEND
	v_and_b32_e32 v82, 0xffff, v85
	;;#ASMSTART
	v_cvt_f32_f16 v82, v82;
	;;#ASMEND
	v_fmac_f32_e32 v69, v80, v81
	ds_load_b64 v[80:81], v52 offset:24
	v_fmac_f32_e32 v70, v71, v82
	v_and_b32_e32 v82, 0xffff, v86
	v_and_b32_e32 v83, 0xffff, v96
	s_waitcnt lgkmcnt(0)
	v_lshrrev_b32_e32 v71, 16, v80
	v_and_b32_e32 v80, 0xffff, v80
	;;#ASMSTART
	v_cvt_f32_f16 v80, v80;
	;;#ASMEND
	;;#ASMSTART
	v_cvt_f32_f16 v71, v71;
	;;#ASMEND
	;;#ASMSTART
	v_cvt_f32_f16 v82, v82;
	;;#ASMEND
	;;#ASMSTART
	v_cvt_f32_f16 v83, v83;
	;;#ASMEND
	v_dual_fmac_f32 v65, v80, v82 :: v_dual_fmac_f32 v68, v71, v83
	v_lshrrev_b32_e32 v71, 16, v81
	v_and_b32_e32 v80, 0xffff, v81
	v_and_b32_e32 v81, 0xffff, v87
	;;#ASMSTART
	v_cvt_f32_f16 v80, v80;
	;;#ASMEND
	;;#ASMSTART
	v_cvt_f32_f16 v71, v71;
	;;#ASMEND
	;;#ASMSTART
	v_cvt_f32_f16 v81, v81;
	;;#ASMEND
	v_and_b32_e32 v82, 0xffff, v97
	;;#ASMSTART
	v_cvt_f32_f16 v82, v82;
	;;#ASMEND
	v_fmac_f32_e32 v69, v80, v81
	ds_load_b64 v[80:81], v52 offset:32
	v_fmac_f32_e32 v70, v71, v82
	v_and_b32_e32 v82, 0xffff, v98
	v_and_b32_e32 v83, 0xffff, v100
	s_waitcnt lgkmcnt(0)
	v_lshrrev_b32_e32 v71, 16, v80
	v_and_b32_e32 v80, 0xffff, v80
	;;#ASMSTART
	v_cvt_f32_f16 v80, v80;
	;;#ASMEND
	;;#ASMSTART
	v_cvt_f32_f16 v71, v71;
	;;#ASMEND
	;;#ASMSTART
	v_cvt_f32_f16 v82, v82;
	;;#ASMEND
	;;#ASMSTART
	v_cvt_f32_f16 v83, v83;
	;;#ASMEND
	v_dual_fmac_f32 v65, v80, v82 :: v_dual_fmac_f32 v68, v71, v83
	;; [unrolled: 37-line block ×3, first 2 shown]
	v_lshrrev_b32_e32 v71, 16, v81
	v_and_b32_e32 v80, 0xffff, v81
	v_and_b32_e32 v81, 0xffff, v103
	;;#ASMSTART
	v_cvt_f32_f16 v80, v80;
	;;#ASMEND
	;;#ASMSTART
	v_cvt_f32_f16 v71, v71;
	;;#ASMEND
	;;#ASMSTART
	v_cvt_f32_f16 v81, v81;
	;;#ASMEND
	s_delay_alu instid0(VALU_DEP_1)
	v_dual_fmac_f32 v69, v80, v81 :: v_dual_and_b32 v82, 0xffff, v102
	;;#ASMSTART
	v_cvt_f32_f16 v82, v82;
	;;#ASMEND
	ds_load_b64 v[80:81], v52 offset:48
	v_fmac_f32_e32 v70, v71, v82
	v_and_b32_e32 v82, 0xffff, v129
	v_and_b32_e32 v83, 0xffff, v116
	s_waitcnt lgkmcnt(0)
	v_lshrrev_b32_e32 v71, 16, v80
	v_and_b32_e32 v80, 0xffff, v80
	;;#ASMSTART
	v_cvt_f32_f16 v80, v80;
	;;#ASMEND
	;;#ASMSTART
	v_cvt_f32_f16 v71, v71;
	;;#ASMEND
	;;#ASMSTART
	v_cvt_f32_f16 v82, v82;
	;;#ASMEND
	;;#ASMSTART
	v_cvt_f32_f16 v83, v83;
	;;#ASMEND
	v_dual_fmac_f32 v65, v80, v82 :: v_dual_fmac_f32 v68, v71, v83
	v_lshrrev_b32_e32 v71, 16, v81
	v_and_b32_e32 v80, 0xffff, v81
	v_and_b32_e32 v81, 0xffff, v115
	;;#ASMSTART
	v_cvt_f32_f16 v80, v80;
	;;#ASMEND
	;;#ASMSTART
	v_cvt_f32_f16 v71, v71;
	;;#ASMEND
	;;#ASMSTART
	v_cvt_f32_f16 v81, v81;
	;;#ASMEND
	s_delay_alu instid0(VALU_DEP_1)
	v_dual_fmac_f32 v69, v80, v81 :: v_dual_and_b32 v82, 0xffff, v114
	;;#ASMSTART
	v_cvt_f32_f16 v82, v82;
	;;#ASMEND
	ds_load_b64 v[80:81], v52 offset:56
	v_fmac_f32_e32 v70, v71, v82
	v_and_b32_e32 v82, 0xffff, v133
	v_and_b32_e32 v83, 0xffff, v128
	s_waitcnt lgkmcnt(0)
	v_lshrrev_b32_e32 v71, 16, v80
	v_and_b32_e32 v80, 0xffff, v80
	;;#ASMSTART
	v_cvt_f32_f16 v80, v80;
	;;#ASMEND
	;;#ASMSTART
	v_cvt_f32_f16 v71, v71;
	;;#ASMEND
	;;#ASMSTART
	v_cvt_f32_f16 v82, v82;
	;;#ASMEND
	;;#ASMSTART
	v_cvt_f32_f16 v83, v83;
	;;#ASMEND
	v_dual_fmac_f32 v65, v80, v82 :: v_dual_fmac_f32 v68, v71, v83
	;; [unrolled: 37-line block ×7, first 2 shown]
	v_lshrrev_b32_e32 v71, 16, v81
	v_and_b32_e32 v80, 0xffff, v81
	v_and_b32_e32 v81, 0xffff, v166
	;;#ASMSTART
	v_cvt_f32_f16 v80, v80;
	;;#ASMEND
	;;#ASMSTART
	v_cvt_f32_f16 v71, v71;
	;;#ASMEND
	;; [unrolled: 3-line block ×3, first 2 shown]
	s_delay_alu instid0(VALU_DEP_1)
	v_dual_fmac_f32 v69, v80, v81 :: v_dual_and_b32 v82, 0xffff, v162
	;;#ASMSTART
	v_cvt_f32_f16 v82, v82;
	;;#ASMEND
	ds_load_b64 v[80:81], v52 offset:104
	v_fmac_f32_e32 v70, v71, v82
	v_and_b32_e32 v82, 0xffff, v165
	v_and_b32_e32 v83, 0xffff, v164
	s_waitcnt lgkmcnt(0)
	v_lshrrev_b32_e32 v71, 16, v80
	v_and_b32_e32 v80, 0xffff, v80
	;;#ASMSTART
	v_cvt_f32_f16 v80, v80;
	;;#ASMEND
	;;#ASMSTART
	v_cvt_f32_f16 v71, v71;
	;;#ASMEND
	;; [unrolled: 3-line block ×4, first 2 shown]
	v_dual_fmac_f32 v65, v80, v82 :: v_dual_and_b32 v80, 0xffff, v81
	v_fmac_f32_e32 v68, v71, v83
	v_lshrrev_b32_e32 v71, 16, v81
	v_and_b32_e32 v81, 0xffff, v163
	;;#ASMSTART
	v_cvt_f32_f16 v80, v80;
	;;#ASMEND
	;;#ASMSTART
	v_cvt_f32_f16 v71, v71;
	;;#ASMEND
	;; [unrolled: 3-line block ×4, first 2 shown]
	v_fmac_f32_e32 v69, v80, v81
	ds_load_b64 v[80:81], v52 offset:112
	v_fmac_f32_e32 v70, v71, v29
	s_waitcnt lgkmcnt(0)
	v_lshrrev_b32_e32 v29, 16, v80
	v_and_b32_e32 v71, 0xffff, v80
	;;#ASMSTART
	v_cvt_f32_f16 v71, v71;
	;;#ASMEND
	;;#ASMSTART
	v_cvt_f32_f16 v29, v29;
	;;#ASMEND
	;; [unrolled: 3-line block ×4, first 2 shown]
	v_fmac_f32_e32 v68, v29, v66
	v_lshrrev_b32_e32 v29, 16, v81
	v_and_b32_e32 v66, 0xffff, v81
	;;#ASMSTART
	v_cvt_f32_f16 v66, v66;
	;;#ASMEND
	;;#ASMSTART
	v_cvt_f32_f16 v29, v29;
	;;#ASMEND
	;; [unrolled: 3-line block ×3, first 2 shown]
	v_fmac_f32_e32 v65, v71, v67
	v_fmac_f32_e32 v69, v66, v28
	v_xor_b32_e32 v28, 1, v39
	;;#ASMSTART
	v_cvt_f32_f16 v8, v8;
	;;#ASMEND
	v_fmac_f32_e32 v70, v29, v8
	v_add_f32_e32 v8, v65, v68
	s_delay_alu instid0(VALU_DEP_3) | instskip(NEXT) | instid1(VALU_DEP_2)
	v_cmp_gt_i32_e64 s2, 32, v28
	v_add_f32_e32 v8, v8, v69
	s_delay_alu instid0(VALU_DEP_2) | instskip(NEXT) | instid1(VALU_DEP_2)
	v_cndmask_b32_e64 v28, v39, v28, s2
	v_add_f32_e32 v8, v70, v8
	s_delay_alu instid0(VALU_DEP_2)
	v_lshlrev_b32_e32 v28, 2, v28
	ds_bpermute_b32 v28, v28, v8
	s_and_saveexec_b32 s3, vcc_lo
	s_cbranch_execz .LBB333_9
; %bb.491:                              ;   in Loop: Header=BB333_10 Depth=1
	s_waitcnt lgkmcnt(0)
	v_dual_add_f32 v8, v8, v28 :: v_dual_add_nc_u32 v29, v53, v54
	s_load_b32 s19, s[8:9], 0x0
	v_cmp_lt_i32_e64 s2, v54, v32
	s_delay_alu instid0(VALU_DEP_2) | instskip(NEXT) | instid1(VALU_DEP_1)
	v_cvt_f32_i32_e32 v29, v29
	v_mul_f32_e32 v29, v48, v29
	s_delay_alu instid0(VALU_DEP_1) | instskip(NEXT) | instid1(VALU_DEP_1)
	v_cndmask_b32_e64 v28, 0, v29, s1
	v_dual_max_f32 v29, v50, v50 :: v_dual_fmac_f32 v28, v8, v13
	s_waitcnt lgkmcnt(0)
	s_delay_alu instid0(VALU_DEP_1) | instskip(SKIP_1) | instid1(VALU_DEP_2)
	v_dual_max_f32 v8, v29, v28 :: v_dual_add_nc_u32 v29, s19, v55
	v_cndmask_b32_e64 v28, 0, v28, s2
	v_cndmask_b32_e64 v50, v50, v8, s2
	ds_store_b32 v29, v28
	s_branch .LBB333_9
.LBB333_492:
	s_or_b32 exec_lo, exec_lo, s7
.LBB333_493:
	s_delay_alu instid0(SALU_CYCLE_1)
	s_or_b32 exec_lo, exec_lo, s17
	v_xor_b32_e32 v8, 16, v39
	v_xor_b32_e32 v9, 8, v39
	s_waitcnt lgkmcnt(0)
	s_lshr_b32 s8, s18, 16
	v_max_f32_e32 v13, v50, v50
	v_lshlrev_b32_e32 v25, 2, v34
	v_cmp_lt_i32_e32 vcc_lo, v8, v49
	v_cndmask_b32_e32 v8, v39, v8, vcc_lo
	v_cmp_lt_i32_e32 vcc_lo, v9, v49
	s_delay_alu instid0(VALU_DEP_2) | instskip(SKIP_3) | instid1(VALU_DEP_1)
	v_dual_cndmask_b32 v9, v39, v9 :: v_dual_lshlrev_b32 v20, 2, v8
	ds_bpermute_b32 v8, v20, v50
	s_waitcnt lgkmcnt(0)
	v_dual_max_f32 v8, v8, v8 :: v_dual_lshlrev_b32 v21, 2, v9
	v_max_f32_e32 v8, v13, v8
	v_xor_b32_e32 v13, 4, v39
	s_delay_alu instid0(VALU_DEP_1) | instskip(SKIP_4) | instid1(VALU_DEP_1)
	v_cmp_lt_i32_e32 vcc_lo, v13, v49
	v_cndmask_b32_e32 v13, v39, v13, vcc_lo
	ds_bpermute_b32 v9, v21, v8
	v_lshlrev_b32_e32 v24, 2, v13
	v_xor_b32_e32 v13, 2, v39
	v_cmp_lt_i32_e32 vcc_lo, v13, v49
	v_cndmask_b32_e32 v13, v39, v13, vcc_lo
	s_waitcnt lgkmcnt(0)
	v_max_f32_e32 v9, v9, v9
	s_delay_alu instid0(VALU_DEP_2) | instskip(NEXT) | instid1(VALU_DEP_2)
	v_lshlrev_b32_e32 v18, 2, v13
	v_max_f32_e32 v8, v8, v9
	ds_bpermute_b32 v9, v24, v8
	s_waitcnt lgkmcnt(0)
	v_max_f32_e32 v9, v9, v9
	s_delay_alu instid0(VALU_DEP_1)
	v_dual_max_f32 v9, v8, v9 :: v_dual_and_b32 v8, 31, v31
	ds_bpermute_b32 v13, v18, v9
	v_cmp_eq_u32_e32 vcc_lo, 0, v8
	s_and_saveexec_b32 s1, vcc_lo
	s_cbranch_execz .LBB333_495
; %bb.494:
	s_waitcnt lgkmcnt(0)
	v_max_f32_e32 v13, v13, v13
	v_max_f32_e32 v9, v9, v9
	s_delay_alu instid0(VALU_DEP_1)
	v_max_f32_e32 v9, v9, v13
	ds_store_b32 v25, v9 offset:240
.LBB333_495:
	s_or_b32 exec_lo, exec_lo, s1
	v_cmp_gt_u32_e64 s1, 4, v8
	v_dual_mov_b32 v9, 0xff7fffff :: v_dual_lshlrev_b32 v28, 2, v8
	s_waitcnt lgkmcnt(0)
	s_barrier
	buffer_gl0_inv
	s_and_saveexec_b32 s2, s1
	s_cbranch_execz .LBB333_497
; %bb.496:
	ds_load_b32 v9, v28 offset:240
.LBB333_497:
	s_or_b32 exec_lo, exec_lo, s2
	s_waitcnt lgkmcnt(0)
	ds_bpermute_b32 v13, v18, v9
	v_xor_b32_e32 v19, 1, v39
	v_max_f32_e32 v9, v9, v9
	v_lshlrev_b32_e32 v29, 2, v39
	s_delay_alu instid0(VALU_DEP_3) | instskip(NEXT) | instid1(VALU_DEP_2)
	v_cmp_lt_i32_e64 s2, v19, v49
	v_and_b32_e32 v29, 0xffffff80, v29
	s_delay_alu instid0(VALU_DEP_2) | instskip(SKIP_1) | instid1(VALU_DEP_2)
	v_cndmask_b32_e64 v19, v39, v19, s2
	v_subrev_nc_u32_e32 v39, s13, v35
	v_lshlrev_b32_e32 v19, 2, v19
	s_waitcnt lgkmcnt(0)
	v_max_f32_e32 v13, v13, v13
	s_delay_alu instid0(VALU_DEP_1) | instskip(SKIP_3) | instid1(VALU_DEP_1)
	v_max_f32_e32 v9, v9, v13
	ds_bpermute_b32 v13, v19, v9
	s_waitcnt lgkmcnt(0)
	v_max_f32_e32 v13, v13, v13
	v_max_f32_e32 v9, v9, v13
	v_lshl_add_u32 v13, v39, 4, s16
	v_mov_b32_e32 v39, 0
	ds_bpermute_b32 v9, v29, v9
	v_min_i32_e32 v13, v13, v32
	s_delay_alu instid0(VALU_DEP_1) | instskip(NEXT) | instid1(VALU_DEP_1)
	v_subrev_nc_u32_e32 v13, s16, v13
	v_cmp_lt_i32_e64 s2, v31, v13
	s_delay_alu instid0(VALU_DEP_1)
	s_and_saveexec_b32 s9, s2
	s_cbranch_execz .LBB333_501
; %bb.498:
	s_getpc_b64 s[18:19]
	s_add_u32 s18, s18, llvm.amdgcn.dynlds.offset.table@rel32@lo+4
	s_addc_u32 s19, s19, llvm.amdgcn.dynlds.offset.table@rel32@hi+12
	s_ashr_i32 s7, s6, 31
	v_mov_b32_e32 v39, 0
	s_lshl_b64 s[20:21], s[6:7], 2
	v_mov_b32_e32 v49, v31
	s_add_u32 s18, s20, s18
	s_addc_u32 s19, s21, s19
	s_mov_b32 s7, 0
	s_load_b32 s3, s[18:19], 0x0
	s_waitcnt lgkmcnt(0)
	v_lshl_add_u32 v48, v31, 2, s3
	.p2align	6
.LBB333_499:                            ; =>This Inner Loop Header: Depth=1
	ds_load_b32 v50, v48
	v_add_nc_u32_e32 v49, 0x80, v49
	s_delay_alu instid0(VALU_DEP_1) | instskip(NEXT) | instid1(VALU_DEP_1)
	v_cmp_ge_i32_e64 s3, v49, v13
	s_or_b32 s7, s3, s7
	s_waitcnt lgkmcnt(0)
	v_sub_f32_e32 v50, v50, v9
	s_delay_alu instid0(VALU_DEP_1) | instskip(NEXT) | instid1(VALU_DEP_1)
	v_mul_f32_e32 v50, 0x3fb8aa3b, v50
	v_exp_f32_e32 v50, v50
	ds_store_b32 v48, v50
	v_dual_add_f32 v39, v39, v50 :: v_dual_add_nc_u32 v48, 0x200, v48
	s_and_not1_b32 exec_lo, exec_lo, s7
	s_cbranch_execnz .LBB333_499
; %bb.500:
	s_or_b32 exec_lo, exec_lo, s7
.LBB333_501:
	s_delay_alu instid0(SALU_CYCLE_1)
	s_or_b32 exec_lo, exec_lo, s9
	ds_bpermute_b32 v20, v20, v39
	s_waitcnt lgkmcnt(0)
	v_add_f32_e32 v20, v39, v20
	ds_bpermute_b32 v21, v21, v20
	s_waitcnt lgkmcnt(0)
	v_add_f32_e32 v20, v20, v21
	;; [unrolled: 3-line block ×5, first 2 shown]
	s_and_saveexec_b32 s3, vcc_lo
	s_cbranch_execz .LBB333_503
; %bb.502:
	ds_store_b32 v25, v20 offset:256
.LBB333_503:
	s_or_b32 exec_lo, exec_lo, s3
	s_waitcnt lgkmcnt(0)
	s_barrier
	buffer_gl0_inv
	s_and_saveexec_b32 s3, s1
	s_cbranch_execz .LBB333_505
; %bb.504:
	ds_load_b32 v20, v28 offset:256
.LBB333_505:
	s_or_b32 exec_lo, exec_lo, s3
	s_waitcnt lgkmcnt(0)
	ds_bpermute_b32 v18, v18, v20
	s_waitcnt lgkmcnt(0)
	v_add_f32_e32 v18, v20, v18
	ds_bpermute_b32 v20, v19, v18
	s_waitcnt lgkmcnt(0)
	v_add_f32_e32 v18, v18, v20
	ds_bpermute_b32 v18, v29, v18
	s_and_saveexec_b32 s1, s2
	s_cbranch_execz .LBB333_508
; %bb.506:
	s_waitcnt lgkmcnt(0)
	v_add_f32_e32 v21, 0x358637bd, v18
	s_getpc_b64 s[2:3]
	s_add_u32 s2, s2, llvm.amdgcn.dynlds.offset.table@rel32@lo+4
	s_addc_u32 s3, s3, llvm.amdgcn.dynlds.offset.table@rel32@hi+12
	s_ashr_i32 s7, s6, 31
	s_delay_alu instid0(SALU_CYCLE_1) | instskip(SKIP_4) | instid1(VALU_DEP_1)
	s_lshl_b64 s[18:19], s[6:7], 2
	v_div_scale_f32 v20, null, v21, v21, 1.0
	s_add_u32 s2, s18, s2
	s_addc_u32 s3, s19, s3
	s_load_b32 s2, s[2:3], 0x0
	v_rcp_f32_e32 v24, v20
	s_waitcnt_depctr 0xfff
	v_fma_f32 v25, -v20, v24, 1.0
	s_delay_alu instid0(VALU_DEP_1) | instskip(SKIP_1) | instid1(VALU_DEP_1)
	v_fmac_f32_e32 v24, v25, v24
	v_div_scale_f32 v28, vcc_lo, 1.0, v21, 1.0
	v_mul_f32_e32 v25, v28, v24
	s_delay_alu instid0(VALU_DEP_1) | instskip(NEXT) | instid1(VALU_DEP_1)
	v_fma_f32 v29, -v20, v25, v28
	v_fmac_f32_e32 v25, v29, v24
	s_delay_alu instid0(VALU_DEP_1) | instskip(NEXT) | instid1(VALU_DEP_1)
	v_fma_f32 v20, -v20, v25, v28
	v_div_fmas_f32 v24, v20, v24, v25
	s_waitcnt lgkmcnt(0)
	v_lshl_add_u32 v20, v31, 2, s2
	s_mov_b32 s2, 0
	s_delay_alu instid0(VALU_DEP_2)
	v_div_fixup_f32 v21, v24, v21, 1.0
	v_mov_b32_e32 v24, v31
.LBB333_507:                            ; =>This Inner Loop Header: Depth=1
	ds_load_b32 v25, v20
	s_waitcnt lgkmcnt(0)
	v_dual_mul_f32 v25, v21, v25 :: v_dual_add_nc_u32 v24, 0x80, v24
	s_delay_alu instid0(VALU_DEP_1) | instskip(SKIP_3) | instid1(SALU_CYCLE_1)
	v_cmp_ge_i32_e32 vcc_lo, v24, v13
	ds_store_b32 v20, v25
	v_add_nc_u32_e32 v20, 0x200, v20
	s_or_b32 s2, vcc_lo, s2
	s_and_not1_b32 exec_lo, exec_lo, s2
	s_cbranch_execnz .LBB333_507
.LBB333_508:
	s_or_b32 exec_lo, exec_lo, s1
	v_cmp_ne_u16_e64 s1, s8, 0
	s_waitcnt lgkmcnt(0)
	s_barrier
	buffer_gl0_inv
	s_cmp_lg_u32 s1, 0
	s_addc_u32 s5, s5, 0
	s_delay_alu instid0(SALU_CYCLE_1) | instskip(NEXT) | instid1(SALU_CYCLE_1)
	s_mul_i32 s1, s5, s10
	s_mul_i32 s2, s1, s15
	s_mov_b32 s1, exec_lo
	v_cmpx_eq_u32_e32 0, v31
	s_cbranch_execz .LBB333_510
; %bb.509:
	s_mul_i32 s8, s5, s12
	s_ashr_i32 s15, s14, 31
	s_ashr_i32 s9, s8, 31
	;; [unrolled: 1-line block ×3, first 2 shown]
	s_lshl_b64 s[8:9], s[8:9], 2
	s_lshl_b64 s[12:13], s[14:15], 2
	;; [unrolled: 1-line block ×3, first 2 shown]
	s_add_u32 s3, s12, s8
	s_addc_u32 s7, s13, s9
	s_add_u32 s3, s3, s18
	s_addc_u32 s7, s7, s19
	v_add_co_u32 v2, vcc_lo, s3, v2
	v_add_co_ci_u32_e32 v3, vcc_lo, s7, v3, vcc_lo
	v_add_co_u32 v0, vcc_lo, s3, v0
	v_add_co_ci_u32_e32 v1, vcc_lo, s7, v1, vcc_lo
	flat_store_b32 v[2:3], v9
	flat_store_b32 v[0:1], v18
.LBB333_510:
	s_or_b32 exec_lo, exec_lo, s1
	v_lshrrev_b32_e32 v18, 1, v8
                                        ; implicit-def: $sgpr1
	s_and_saveexec_b32 s3, s0
	s_delay_alu instid0(SALU_CYCLE_1)
	s_xor_b32 s0, exec_lo, s3
; %bb.511:
	v_lshrrev_b32_e32 v18, 1, v8
	s_ashr_i32 s7, s6, 31
	s_mov_b32 s1, 0
                                        ; implicit-def: $vgpr32
                                        ; implicit-def: $vgpr36
                                        ; implicit-def: $vgpr35
                                        ; implicit-def: $vgpr6
                                        ; implicit-def: $vgpr10
                                        ; implicit-def: $vgpr11
                                        ; implicit-def: $vgpr14
                                        ; implicit-def: $vgpr15
                                        ; implicit-def: $vgpr22
                                        ; implicit-def: $vgpr26_vgpr27
                                        ; implicit-def: $vgpr37
                                        ; implicit-def: $vgpr38
                                        ; implicit-def: $vgpr16_vgpr17
                                        ; implicit-def: $vgpr23
                                        ; implicit-def: $vgpr12
; %bb.512:
	s_or_saveexec_b32 s3, s0
	v_dual_mov_b32 v0, s6 :: v_dual_mov_b32 v21, s1
	v_dual_mov_b32 v20, s1 :: v_dual_mov_b32 v1, s7
	;; [unrolled: 1-line block ×5, first 2 shown]
	s_xor_b32 exec_lo, exec_lo, s3
	s_cbranch_execz .LBB333_1046
; %bb.513:
	s_getpc_b64 s[0:1]
	s_add_u32 s0, s0, llvm.amdgcn.dynlds.offset.table@rel32@lo+4
	s_addc_u32 s1, s1, llvm.amdgcn.dynlds.offset.table@rel32@hi+12
	s_ashr_i32 s7, s6, 31
	v_dual_mov_b32 v3, 0 :: v_dual_and_b32 v2, 8, v12
	s_lshl_b64 s[8:9], s[6:7], 2
	v_or_b32_e32 v9, 0x70, v18
	s_add_u32 s0, s8, s0
	s_addc_u32 s1, s9, s1
	v_add_co_u32 v0, vcc_lo, v10, v37
	s_load_b32 s1, s[0:1], 0x0
	v_lshlrev_b64 v[7:8], 2, v[6:7]
	v_add_co_ci_u32_e32 v1, vcc_lo, v11, v38, vcc_lo
	v_cmp_gt_u32_e32 vcc_lo, 0x78, v9
	v_lshl_or_b32 v38, v9, 4, v2
	v_dual_mov_b32 v48, 0 :: v_dual_lshlrev_b32 v9, 5, v33
	v_add_co_u32 v7, s0, v16, v7
	s_delay_alu instid0(VALU_DEP_1) | instskip(NEXT) | instid1(VALU_DEP_3)
	v_add_co_ci_u32_e64 v8, s0, v17, v8, s0
	v_lshl_or_b32 v9, v34, 6, v9
	s_delay_alu instid0(VALU_DEP_3)
	v_add_co_u32 v7, s0, v14, v7
	v_dual_mov_b32 v49, v32 :: v_dual_add_nc_u32 v36, -1, v36
	v_lshl_or_b32 v37, v18, 4, v2
	v_add_co_ci_u32_e64 v8, s0, v15, v8, s0
	v_add3_u32 v17, s16, v23, v2
	s_waitcnt lgkmcnt(0)
	v_dual_mov_b32 v28, 0 :: v_dual_add_nc_u32 v23, s1, v9
	v_dual_mov_b32 v39, 0 :: v_dual_mov_b32 v24, 0
	v_dual_mov_b32 v29, 0 :: v_dual_mov_b32 v20, 0
	v_mov_b32_e32 v25, 0
	v_mov_b32_e32 v21, 0
	s_mov_b32 s8, -1
	s_mov_b32 s9, 0xffffff
	s_mov_b32 s10, 0
	s_branch .LBB333_516
.LBB333_514:                            ;   in Loop: Header=BB333_516 Depth=1
	s_or_b32 exec_lo, exec_lo, s1
	;;#ASMSTART
	v_pk_mul_f16 v10, v55, v12;

	;;#ASMEND
	;;#ASMSTART
	v_pk_mul_f16 v11, v54, v11;

	;;#ASMEND
	;; [unrolled: 4-line block ×4, first 2 shown]
	;;#ASMSTART
	v_pk_add_f16 v10, v10, v11;

	;;#ASMEND
	;;#ASMSTART
	v_pk_add_f16 v2, v10, v2;

	;;#ASMEND
	;; [unrolled: 4-line block ×3, first 2 shown]
	v_and_b32_e32 v9, 0xffff, v2
	v_lshrrev_b32_e32 v2, 16, v2
	;;#ASMSTART
	v_cvt_f32_f16 v9, v9;
	;;#ASMEND
	;;#ASMSTART
	v_cvt_f32_f16 v2, v2;
	;;#ASMEND
	s_delay_alu instid0(VALU_DEP_1) | instskip(NEXT) | instid1(VALU_DEP_1)
	v_add_f32_e32 v2, v9, v2
	v_add_f32_e32 v20, v20, v2
.LBB333_515:                            ;   in Loop: Header=BB333_516 Depth=1
	s_or_b32 exec_lo, exec_lo, s12
	v_dual_add_f32 v12, v13, v14 :: v_dual_add_nc_u32 v17, 64, v17
	v_dual_add_f32 v2, v50, v51 :: v_dual_add_f32 v9, v64, v65
	v_dual_add_f32 v10, v66, v67 :: v_dual_add_f32 v11, v68, v69
	s_delay_alu instid0(VALU_DEP_3) | instskip(NEXT) | instid1(VALU_DEP_3)
	v_dual_add_f32 v21, v21, v12 :: v_dual_add_nc_u32 v6, 4, v6
	v_dual_add_f32 v48, v48, v2 :: v_dual_add_f32 v39, v39, v9
	v_dual_add_f32 v2, v70, v71 :: v_dual_add_f32 v9, v15, v16
	s_delay_alu instid0(VALU_DEP_3) | instskip(SKIP_2) | instid1(VALU_DEP_4)
	v_cmp_ge_i32_e64 s0, v6, v35
	v_add_co_u32 v7, s1, v7, 16
	v_dual_add_f32 v29, v29, v10 :: v_dual_add_f32 v28, v28, v11
	v_dual_add_f32 v25, v25, v2 :: v_dual_add_f32 v24, v24, v9
	v_add_co_ci_u32_e64 v8, s1, 0, v8, s1
	v_add_nc_u32_e32 v23, 0x100, v23
	s_or_b32 s10, s0, s10
	s_delay_alu instid0(SALU_CYCLE_1)
	s_and_not1_b32 exec_lo, exec_lo, s10
	s_cbranch_execz .LBB333_1045
.LBB333_516:                            ; =>This Inner Loop Header: Depth=1
	flat_load_b32 v2, v[7:8]
	ds_load_2addr_b64 v[11:14], v23 offset1:1
	ds_load_2addr_b64 v[64:67], v23 offset0:2 offset1:3
	s_mov_b32 s1, exec_lo
	s_waitcnt lgkmcnt(1)
	;;#ASMSTART
	v_cvt_f16_f32 v53, v11;

	;;#ASMEND
	;;#ASMSTART
	v_cvt_f16_f32 v50, v12;

	;;#ASMEND
	;; [unrolled: 4-line block ×4, first 2 shown]
	s_waitcnt lgkmcnt(0)
	;;#ASMSTART
	v_cvt_f16_f32 v55, v64;

	;;#ASMEND
	;;#ASMSTART
	v_cvt_f16_f32 v52, v65;

	;;#ASMEND
	;; [unrolled: 4-line block ×4, first 2 shown]
	v_mov_b32_e32 v67, 0
	s_waitcnt vmcnt(0)
	v_mad_i64_i32 v[9:10], null, v2, v22, v[0:1]
	s_delay_alu instid0(VALU_DEP_1) | instskip(NEXT) | instid1(VALU_DEP_1)
	v_add_co_u32 v11, s0, v9, v37
	v_add_co_ci_u32_e64 v12, s0, 0, v10, s0
	flat_load_b64 v[13:14], v[11:12]
	flat_load_b32 v66, v[26:27]
	s_waitcnt vmcnt(1) lgkmcnt(1)
	v_and_b32_e32 v2, 0xff, v13
	s_delay_alu instid0(VALU_DEP_1)
	v_cmpx_ne_u16_e32 0, v2
	s_cbranch_execz .LBB333_524
; %bb.517:                              ;   in Loop: Header=BB333_516 Depth=1
	v_bfrev_b32_e32 v67, 1
	s_mov_b32 s12, exec_lo
	v_cmpx_ne_u16_e32 0x80, v2
	s_cbranch_execz .LBB333_523
; %bb.518:                              ;   in Loop: Header=BB333_516 Depth=1
	v_and_b32_e32 v15, 0x7f, v13
	v_mov_b32_e32 v67, 0x7fc02000
	s_mov_b32 s13, exec_lo
	s_delay_alu instid0(VALU_DEP_2)
	v_cmpx_ne_u32_e32 0x7f, v15
	s_cbranch_execz .LBB333_522
; %bb.519:                              ;   in Loop: Header=BB333_516 Depth=1
	v_lshrrev_b32_e32 v2, 3, v15
	v_cmp_gt_u32_e64 s0, 8, v15
	v_dual_mov_b32 v16, v14 :: v_dual_mov_b32 v15, v13
	s_delay_alu instid0(VALU_DEP_2)
	s_and_saveexec_b32 s15, s0
; %bb.520:                              ;   in Loop: Header=BB333_516 Depth=1
	v_and_b32_e32 v2, 7, v13
	s_delay_alu instid0(VALU_DEP_1) | instskip(NEXT) | instid1(VALU_DEP_1)
	v_clz_i32_u32_e32 v2, v2
	v_min_u32_e32 v2, 32, v2
	s_delay_alu instid0(VALU_DEP_1) | instskip(SKIP_1) | instid1(VALU_DEP_2)
	v_subrev_nc_u32_e32 v15, 28, v2
	v_sub_nc_u32_e32 v2, 29, v2
	v_lshlrev_b64 v[15:16], v15, v[13:14]
; %bb.521:                              ;   in Loop: Header=BB333_516 Depth=1
	s_or_b32 exec_lo, exec_lo, s15
	v_lshlrev_b32_e32 v16, 8, v13
	s_delay_alu instid0(VALU_DEP_3) | instskip(NEXT) | instid1(VALU_DEP_3)
	v_lshl_add_u32 v2, v2, 10, 0x2000
	v_lshlrev_b32_e32 v15, 7, v15
	s_delay_alu instid0(VALU_DEP_2) | instskip(NEXT) | instid1(VALU_DEP_1)
	v_and_or_b32 v2, 0x8000, v16, v2
	v_and_or_b32 v2, 0x380, v15, v2
	s_delay_alu instid0(VALU_DEP_1)
	v_cvt_f32_f16_e32 v67, v2
.LBB333_522:                            ;   in Loop: Header=BB333_516 Depth=1
	s_or_b32 exec_lo, exec_lo, s13
.LBB333_523:                            ;   in Loop: Header=BB333_516 Depth=1
	s_delay_alu instid0(SALU_CYCLE_1)
	s_or_b32 exec_lo, exec_lo, s12
.LBB333_524:                            ;   in Loop: Header=BB333_516 Depth=1
	s_delay_alu instid0(SALU_CYCLE_1) | instskip(SKIP_3) | instid1(VALU_DEP_2)
	s_or_b32 exec_lo, exec_lo, s1
	v_lshrrev_b16 v2, 8, v13
	v_dual_mov_b32 v69, 0 :: v_dual_mov_b32 v68, 0
	s_mov_b32 s1, exec_lo
	v_cmpx_ne_u16_e32 0, v2
	s_cbranch_execz .LBB333_532
; %bb.525:                              ;   in Loop: Header=BB333_516 Depth=1
	v_bfrev_b32_e32 v68, 1
	s_mov_b32 s12, exec_lo
	v_cmpx_ne_u16_e32 0x80, v2
	s_cbranch_execz .LBB333_531
; %bb.526:                              ;   in Loop: Header=BB333_516 Depth=1
	v_and_b32_e32 v15, 0xffff, v2
	v_mov_b32_e32 v68, 0x7fc02000
	s_mov_b32 s13, exec_lo
	s_delay_alu instid0(VALU_DEP_2) | instskip(NEXT) | instid1(VALU_DEP_1)
	v_and_b32_e32 v70, 0x7f, v15
	v_cmpx_ne_u32_e32 0x7f, v70
	s_cbranch_execz .LBB333_530
; %bb.527:                              ;   in Loop: Header=BB333_516 Depth=1
	v_and_b32_e32 v2, 7, v15
	v_lshrrev_b32_e32 v16, 3, v70
	s_mov_b32 s15, exec_lo
	v_cmpx_gt_u32_e32 8, v70
; %bb.528:                              ;   in Loop: Header=BB333_516 Depth=1
	s_delay_alu instid0(VALU_DEP_3) | instskip(NEXT) | instid1(VALU_DEP_1)
	v_clz_i32_u32_e32 v16, v2
	v_min_u32_e32 v16, 32, v16
	s_delay_alu instid0(VALU_DEP_1) | instskip(SKIP_1) | instid1(VALU_DEP_2)
	v_subrev_nc_u32_e32 v68, 28, v16
	v_sub_nc_u32_e32 v16, 29, v16
	v_lshlrev_b64 v[70:71], v68, v[2:3]
	s_delay_alu instid0(VALU_DEP_1)
	v_and_b32_e32 v2, 7, v70
; %bb.529:                              ;   in Loop: Header=BB333_516 Depth=1
	s_or_b32 exec_lo, exec_lo, s15
	v_lshlrev_b32_e32 v15, 8, v15
	v_lshl_add_u32 v16, v16, 10, 0x2000
	s_delay_alu instid0(VALU_DEP_1) | instskip(NEXT) | instid1(VALU_DEP_1)
	v_and_or_b32 v15, 0x8000, v15, v16
	v_lshl_or_b32 v2, v2, 7, v15
	s_delay_alu instid0(VALU_DEP_1)
	v_cvt_f32_f16_e32 v68, v2
.LBB333_530:                            ;   in Loop: Header=BB333_516 Depth=1
	s_or_b32 exec_lo, exec_lo, s13
.LBB333_531:                            ;   in Loop: Header=BB333_516 Depth=1
	s_delay_alu instid0(SALU_CYCLE_1)
	s_or_b32 exec_lo, exec_lo, s12
.LBB333_532:                            ;   in Loop: Header=BB333_516 Depth=1
	s_delay_alu instid0(SALU_CYCLE_1) | instskip(SKIP_2) | instid1(VALU_DEP_1)
	s_or_b32 exec_lo, exec_lo, s1
	v_lshrrev_b32_e32 v15, 16, v13
	s_mov_b32 s1, exec_lo
	v_and_b32_e32 v2, 0xff, v15
	s_delay_alu instid0(VALU_DEP_1)
	v_cmpx_ne_u16_e32 0, v2
	s_cbranch_execz .LBB333_540
; %bb.533:                              ;   in Loop: Header=BB333_516 Depth=1
	v_bfrev_b32_e32 v69, 1
	s_mov_b32 s12, exec_lo
	v_cmpx_ne_u16_e32 0x80, v2
	s_cbranch_execz .LBB333_539
; %bb.534:                              ;   in Loop: Header=BB333_516 Depth=1
	v_bfe_u32 v70, v13, 16, 7
	v_mov_b32_e32 v69, 0x7fc02000
	s_mov_b32 s13, exec_lo
	s_delay_alu instid0(VALU_DEP_2)
	v_cmpx_ne_u32_e32 0x7f, v70
	s_cbranch_execz .LBB333_538
; %bb.535:                              ;   in Loop: Header=BB333_516 Depth=1
	v_and_b32_e32 v2, 7, v15
	v_lshrrev_b32_e32 v16, 3, v70
	s_mov_b32 s15, exec_lo
	v_cmpx_gt_u32_e32 8, v70
; %bb.536:                              ;   in Loop: Header=BB333_516 Depth=1
	s_delay_alu instid0(VALU_DEP_3) | instskip(NEXT) | instid1(VALU_DEP_1)
	v_clz_i32_u32_e32 v16, v2
	v_min_u32_e32 v16, 32, v16
	s_delay_alu instid0(VALU_DEP_1) | instskip(SKIP_1) | instid1(VALU_DEP_2)
	v_subrev_nc_u32_e32 v69, 28, v16
	v_sub_nc_u32_e32 v16, 29, v16
	v_lshlrev_b64 v[69:70], v69, v[2:3]
	s_delay_alu instid0(VALU_DEP_1)
	v_and_b32_e32 v2, 7, v69
; %bb.537:                              ;   in Loop: Header=BB333_516 Depth=1
	s_or_b32 exec_lo, exec_lo, s15
	v_lshlrev_b32_e32 v15, 8, v15
	v_lshl_add_u32 v16, v16, 10, 0x2000
	s_delay_alu instid0(VALU_DEP_1) | instskip(NEXT) | instid1(VALU_DEP_1)
	v_and_or_b32 v15, 0x8000, v15, v16
	v_lshl_or_b32 v2, v2, 7, v15
	s_delay_alu instid0(VALU_DEP_1)
	v_cvt_f32_f16_e32 v69, v2
.LBB333_538:                            ;   in Loop: Header=BB333_516 Depth=1
	s_or_b32 exec_lo, exec_lo, s13
.LBB333_539:                            ;   in Loop: Header=BB333_516 Depth=1
	s_delay_alu instid0(SALU_CYCLE_1)
	s_or_b32 exec_lo, exec_lo, s12
.LBB333_540:                            ;   in Loop: Header=BB333_516 Depth=1
	s_delay_alu instid0(SALU_CYCLE_1)
	s_or_b32 exec_lo, exec_lo, s1
	v_dual_mov_b32 v15, 0 :: v_dual_mov_b32 v70, 0
	s_mov_b32 s1, exec_lo
	v_cmpx_lt_u32_e32 0xffffff, v13
	s_cbranch_execz .LBB333_548
; %bb.541:                              ;   in Loop: Header=BB333_516 Depth=1
	v_lshrrev_b32_e32 v16, 24, v13
	v_bfrev_b32_e32 v70, 1
	s_mov_b32 s12, exec_lo
	s_delay_alu instid0(VALU_DEP_2)
	v_cmpx_ne_u32_e32 0x80, v16
	s_cbranch_execz .LBB333_547
; %bb.542:                              ;   in Loop: Header=BB333_516 Depth=1
	v_and_b32_e32 v71, 0x7f, v16
	v_mov_b32_e32 v70, 0x7fc02000
	s_mov_b32 s13, exec_lo
	s_delay_alu instid0(VALU_DEP_2)
	v_cmpx_ne_u32_e32 0x7f, v71
	s_cbranch_execz .LBB333_546
; %bb.543:                              ;   in Loop: Header=BB333_516 Depth=1
	v_and_b32_e32 v2, 7, v16
	v_lshrrev_b32_e32 v70, 3, v71
	s_mov_b32 s15, exec_lo
	v_cmpx_gt_u32_e32 8, v71
; %bb.544:                              ;   in Loop: Header=BB333_516 Depth=1
	s_delay_alu instid0(VALU_DEP_3) | instskip(NEXT) | instid1(VALU_DEP_1)
	v_clz_i32_u32_e32 v70, v2
	v_min_u32_e32 v70, 32, v70
	s_delay_alu instid0(VALU_DEP_1) | instskip(SKIP_1) | instid1(VALU_DEP_2)
	v_subrev_nc_u32_e32 v71, 28, v70
	v_sub_nc_u32_e32 v70, 29, v70
	v_lshlrev_b64 v[80:81], v71, v[2:3]
	s_delay_alu instid0(VALU_DEP_1)
	v_and_b32_e32 v2, 7, v80
; %bb.545:                              ;   in Loop: Header=BB333_516 Depth=1
	s_or_b32 exec_lo, exec_lo, s15
	v_lshlrev_b32_e32 v16, 8, v16
	v_lshl_add_u32 v70, v70, 10, 0x2000
	s_delay_alu instid0(VALU_DEP_1) | instskip(NEXT) | instid1(VALU_DEP_1)
	v_and_or_b32 v16, 0x8000, v16, v70
	v_lshl_or_b32 v2, v2, 7, v16
	s_delay_alu instid0(VALU_DEP_1)
	v_cvt_f32_f16_e32 v70, v2
.LBB333_546:                            ;   in Loop: Header=BB333_516 Depth=1
	s_or_b32 exec_lo, exec_lo, s13
.LBB333_547:                            ;   in Loop: Header=BB333_516 Depth=1
	s_delay_alu instid0(SALU_CYCLE_1)
	s_or_b32 exec_lo, exec_lo, s12
.LBB333_548:                            ;   in Loop: Header=BB333_516 Depth=1
	s_delay_alu instid0(SALU_CYCLE_1) | instskip(SKIP_3) | instid1(VALU_DEP_2)
	s_or_b32 exec_lo, exec_lo, s1
	v_and_b32_e32 v16, 0xff, v14
	v_mov_b32_e32 v2, v14
	s_mov_b32 s1, exec_lo
	v_cmpx_ne_u16_e32 0, v16
	s_cbranch_execz .LBB333_556
; %bb.549:                              ;   in Loop: Header=BB333_516 Depth=1
	v_bfrev_b32_e32 v15, 1
	s_mov_b32 s12, exec_lo
	v_cmpx_ne_u16_e32 0x80, v16
	s_cbranch_execz .LBB333_555
; %bb.550:                              ;   in Loop: Header=BB333_516 Depth=1
	v_and_b32_e32 v16, 0x7f, v14
	v_mov_b32_e32 v15, 0x7fc02000
	s_mov_b32 s13, exec_lo
	s_delay_alu instid0(VALU_DEP_2)
	v_cmpx_ne_u32_e32 0x7f, v16
	s_cbranch_execz .LBB333_554
; %bb.551:                              ;   in Loop: Header=BB333_516 Depth=1
	v_lshrrev_b32_e32 v71, 3, v16
	v_cmp_gt_u32_e64 s0, 8, v16
	v_dual_mov_b32 v16, v3 :: v_dual_mov_b32 v15, v2
	s_delay_alu instid0(VALU_DEP_2)
	s_and_saveexec_b32 s15, s0
; %bb.552:                              ;   in Loop: Header=BB333_516 Depth=1
	v_and_b32_e32 v15, 7, v14
	s_delay_alu instid0(VALU_DEP_1) | instskip(NEXT) | instid1(VALU_DEP_1)
	v_clz_i32_u32_e32 v15, v15
	v_min_u32_e32 v71, 32, v15
	s_delay_alu instid0(VALU_DEP_1) | instskip(SKIP_1) | instid1(VALU_DEP_2)
	v_subrev_nc_u32_e32 v15, 28, v71
	v_sub_nc_u32_e32 v71, 29, v71
	v_lshlrev_b64 v[15:16], v15, v[2:3]
; %bb.553:                              ;   in Loop: Header=BB333_516 Depth=1
	s_or_b32 exec_lo, exec_lo, s15
	v_lshlrev_b32_e32 v16, 8, v14
	s_delay_alu instid0(VALU_DEP_3) | instskip(NEXT) | instid1(VALU_DEP_3)
	v_lshl_add_u32 v71, v71, 10, 0x2000
	v_lshlrev_b32_e32 v15, 7, v15
	s_delay_alu instid0(VALU_DEP_2) | instskip(NEXT) | instid1(VALU_DEP_1)
	v_and_or_b32 v16, 0x8000, v16, v71
	v_and_or_b32 v15, 0x380, v15, v16
	s_delay_alu instid0(VALU_DEP_1)
	v_cvt_f32_f16_e32 v15, v15
.LBB333_554:                            ;   in Loop: Header=BB333_516 Depth=1
	s_or_b32 exec_lo, exec_lo, s13
.LBB333_555:                            ;   in Loop: Header=BB333_516 Depth=1
	s_delay_alu instid0(SALU_CYCLE_1)
	s_or_b32 exec_lo, exec_lo, s12
.LBB333_556:                            ;   in Loop: Header=BB333_516 Depth=1
	s_delay_alu instid0(SALU_CYCLE_1) | instskip(SKIP_3) | instid1(VALU_DEP_2)
	s_or_b32 exec_lo, exec_lo, s1
	v_lshrrev_b16 v2, 8, v2
	v_dual_mov_b32 v16, 0 :: v_dual_mov_b32 v71, 0
	s_mov_b32 s1, exec_lo
	v_cmpx_ne_u16_e32 0, v2
	s_cbranch_execz .LBB333_564
; %bb.557:                              ;   in Loop: Header=BB333_516 Depth=1
	v_bfrev_b32_e32 v71, 1
	s_mov_b32 s12, exec_lo
	v_cmpx_ne_u16_e32 0x80, v2
	s_cbranch_execz .LBB333_563
; %bb.558:                              ;   in Loop: Header=BB333_516 Depth=1
	v_and_b32_e32 v80, 0xffff, v2
	v_mov_b32_e32 v71, 0x7fc02000
	s_mov_b32 s13, exec_lo
	s_delay_alu instid0(VALU_DEP_2) | instskip(NEXT) | instid1(VALU_DEP_1)
	v_and_b32_e32 v81, 0x7f, v80
	v_cmpx_ne_u32_e32 0x7f, v81
	s_cbranch_execz .LBB333_562
; %bb.559:                              ;   in Loop: Header=BB333_516 Depth=1
	v_and_b32_e32 v2, 7, v80
	v_lshrrev_b32_e32 v71, 3, v81
	s_mov_b32 s15, exec_lo
	v_cmpx_gt_u32_e32 8, v81
; %bb.560:                              ;   in Loop: Header=BB333_516 Depth=1
	s_delay_alu instid0(VALU_DEP_3) | instskip(NEXT) | instid1(VALU_DEP_1)
	v_clz_i32_u32_e32 v71, v2
	v_min_u32_e32 v71, 32, v71
	s_delay_alu instid0(VALU_DEP_1) | instskip(SKIP_1) | instid1(VALU_DEP_2)
	v_subrev_nc_u32_e32 v81, 28, v71
	v_sub_nc_u32_e32 v71, 29, v71
	v_lshlrev_b64 v[81:82], v81, v[2:3]
	s_delay_alu instid0(VALU_DEP_1)
	v_and_b32_e32 v2, 7, v81
; %bb.561:                              ;   in Loop: Header=BB333_516 Depth=1
	s_or_b32 exec_lo, exec_lo, s15
	v_lshlrev_b32_e32 v80, 8, v80
	v_lshl_add_u32 v71, v71, 10, 0x2000
	s_delay_alu instid0(VALU_DEP_1) | instskip(NEXT) | instid1(VALU_DEP_1)
	v_and_or_b32 v71, 0x8000, v80, v71
	v_lshl_or_b32 v2, v2, 7, v71
	s_delay_alu instid0(VALU_DEP_1)
	v_cvt_f32_f16_e32 v71, v2
.LBB333_562:                            ;   in Loop: Header=BB333_516 Depth=1
	s_or_b32 exec_lo, exec_lo, s13
.LBB333_563:                            ;   in Loop: Header=BB333_516 Depth=1
	s_delay_alu instid0(SALU_CYCLE_1)
	s_or_b32 exec_lo, exec_lo, s12
.LBB333_564:                            ;   in Loop: Header=BB333_516 Depth=1
	s_delay_alu instid0(SALU_CYCLE_1) | instskip(SKIP_2) | instid1(VALU_DEP_1)
	s_or_b32 exec_lo, exec_lo, s1
	v_lshrrev_b32_e32 v80, 16, v14
	s_mov_b32 s1, exec_lo
	v_and_b32_e32 v2, 0xff, v80
	s_delay_alu instid0(VALU_DEP_1)
	v_cmpx_ne_u16_e32 0, v2
	s_cbranch_execz .LBB333_572
; %bb.565:                              ;   in Loop: Header=BB333_516 Depth=1
	v_bfrev_b32_e32 v16, 1
	s_mov_b32 s12, exec_lo
	v_cmpx_ne_u16_e32 0x80, v2
	s_cbranch_execz .LBB333_571
; %bb.566:                              ;   in Loop: Header=BB333_516 Depth=1
	v_bfe_u32 v81, v14, 16, 7
	v_mov_b32_e32 v16, 0x7fc02000
	s_mov_b32 s13, exec_lo
	s_delay_alu instid0(VALU_DEP_2)
	v_cmpx_ne_u32_e32 0x7f, v81
	s_cbranch_execz .LBB333_570
; %bb.567:                              ;   in Loop: Header=BB333_516 Depth=1
	v_and_b32_e32 v2, 7, v80
	v_lshrrev_b32_e32 v16, 3, v81
	s_mov_b32 s15, exec_lo
	v_cmpx_gt_u32_e32 8, v81
; %bb.568:                              ;   in Loop: Header=BB333_516 Depth=1
	s_delay_alu instid0(VALU_DEP_3) | instskip(NEXT) | instid1(VALU_DEP_1)
	v_clz_i32_u32_e32 v16, v2
	v_min_u32_e32 v16, 32, v16
	s_delay_alu instid0(VALU_DEP_1) | instskip(SKIP_1) | instid1(VALU_DEP_2)
	v_subrev_nc_u32_e32 v81, 28, v16
	v_sub_nc_u32_e32 v16, 29, v16
	v_lshlrev_b64 v[81:82], v81, v[2:3]
	s_delay_alu instid0(VALU_DEP_1)
	v_and_b32_e32 v2, 7, v81
; %bb.569:                              ;   in Loop: Header=BB333_516 Depth=1
	s_or_b32 exec_lo, exec_lo, s15
	v_lshlrev_b32_e32 v80, 8, v80
	v_lshl_add_u32 v16, v16, 10, 0x2000
	s_delay_alu instid0(VALU_DEP_1) | instskip(NEXT) | instid1(VALU_DEP_1)
	v_and_or_b32 v16, 0x8000, v80, v16
	v_lshl_or_b32 v2, v2, 7, v16
	s_delay_alu instid0(VALU_DEP_1)
	v_cvt_f32_f16_e32 v16, v2
.LBB333_570:                            ;   in Loop: Header=BB333_516 Depth=1
	s_or_b32 exec_lo, exec_lo, s13
.LBB333_571:                            ;   in Loop: Header=BB333_516 Depth=1
	s_delay_alu instid0(SALU_CYCLE_1)
	s_or_b32 exec_lo, exec_lo, s12
.LBB333_572:                            ;   in Loop: Header=BB333_516 Depth=1
	s_delay_alu instid0(SALU_CYCLE_1)
	s_or_b32 exec_lo, exec_lo, s1
	v_mov_b32_e32 v2, 0
	s_mov_b32 s1, exec_lo
	v_cmpx_lt_u64_e64 s[8:9], v[13:14]
	s_cbranch_execz .LBB333_580
; %bb.573:                              ;   in Loop: Header=BB333_516 Depth=1
	v_lshrrev_b32_e32 v13, 24, v14
	v_bfrev_b32_e32 v2, 1
	s_mov_b32 s12, exec_lo
	s_delay_alu instid0(VALU_DEP_2)
	v_cmpx_ne_u32_e32 0x80, v13
	s_cbranch_execz .LBB333_579
; %bb.574:                              ;   in Loop: Header=BB333_516 Depth=1
	v_and_b32_e32 v80, 0x7f, v13
	v_mov_b32_e32 v2, 0x7fc02000
	s_mov_b32 s13, exec_lo
	s_delay_alu instid0(VALU_DEP_2)
	v_cmpx_ne_u32_e32 0x7f, v80
	s_cbranch_execz .LBB333_578
; %bb.575:                              ;   in Loop: Header=BB333_516 Depth=1
	v_and_b32_e32 v2, 7, v13
	v_lshrrev_b32_e32 v14, 3, v80
	s_mov_b32 s15, exec_lo
	v_cmpx_gt_u32_e32 8, v80
; %bb.576:                              ;   in Loop: Header=BB333_516 Depth=1
	s_delay_alu instid0(VALU_DEP_3) | instskip(NEXT) | instid1(VALU_DEP_1)
	v_clz_i32_u32_e32 v14, v2
	v_min_u32_e32 v14, 32, v14
	s_delay_alu instid0(VALU_DEP_1) | instskip(SKIP_1) | instid1(VALU_DEP_2)
	v_subrev_nc_u32_e32 v80, 28, v14
	v_sub_nc_u32_e32 v14, 29, v14
	v_lshlrev_b64 v[80:81], v80, v[2:3]
	s_delay_alu instid0(VALU_DEP_1)
	v_and_b32_e32 v2, 7, v80
; %bb.577:                              ;   in Loop: Header=BB333_516 Depth=1
	s_or_b32 exec_lo, exec_lo, s15
	v_lshlrev_b32_e32 v13, 8, v13
	v_lshl_add_u32 v14, v14, 10, 0x2000
	s_delay_alu instid0(VALU_DEP_1) | instskip(NEXT) | instid1(VALU_DEP_1)
	v_and_or_b32 v13, 0x8000, v13, v14
	v_lshl_or_b32 v2, v2, 7, v13
	s_delay_alu instid0(VALU_DEP_1)
	v_cvt_f32_f16_e32 v2, v2
.LBB333_578:                            ;   in Loop: Header=BB333_516 Depth=1
	s_or_b32 exec_lo, exec_lo, s13
.LBB333_579:                            ;   in Loop: Header=BB333_516 Depth=1
	s_delay_alu instid0(SALU_CYCLE_1)
	s_or_b32 exec_lo, exec_lo, s12
.LBB333_580:                            ;   in Loop: Header=BB333_516 Depth=1
	s_delay_alu instid0(SALU_CYCLE_1)
	s_or_b32 exec_lo, exec_lo, s1
	s_waitcnt vmcnt(0) lgkmcnt(0)
	v_fma_mixlo_f16 v13, v66, v70, 0
	v_fma_mixlo_f16 v14, v66, v69, 0
	;; [unrolled: 1-line block ×8, first 2 shown]
	v_lshlrev_b32_e32 v13, 16, v13
	v_and_b32_e32 v14, 0xffff, v14
	v_lshlrev_b32_e32 v68, 16, v68
	v_and_b32_e32 v16, 0xffff, v67
	;; [unrolled: 2-line block ×4, first 2 shown]
	v_cmp_eq_u32_e64 s0, v36, v6
	v_or_b32_e32 v14, v13, v14
	v_or_b32_e32 v16, v68, v16
	;; [unrolled: 1-line block ×4, first 2 shown]
	s_and_saveexec_b32 s12, s0
	s_cbranch_execz .LBB333_582
; %bb.581:                              ;   in Loop: Header=BB333_516 Depth=1
	v_add_nc_u32_e32 v66, 1, v17
	v_lshrrev_b32_e32 v67, 16, v16
	v_or_b32_e32 v68, 3, v17
	v_lshrrev_b32_e32 v69, 16, v14
	v_lshrrev_b32_e32 v70, 16, v2
	v_cmp_lt_i32_e64 s1, v66, v49
	v_lshrrev_b32_e32 v13, 16, v13
	v_or_b32_e32 v71, 6, v17
	s_delay_alu instid0(VALU_DEP_3) | instskip(SKIP_2) | instid1(VALU_DEP_2)
	v_cndmask_b32_e64 v66, 0, v67, s1
	v_cmp_lt_i32_e64 s1, v17, v32
	v_or_b32_e32 v67, 2, v17
	v_cndmask_b32_e64 v16, 0, v16, s1
	v_cmp_lt_i32_e64 s1, v68, v49
	s_delay_alu instid0(VALU_DEP_2) | instskip(NEXT) | instid1(VALU_DEP_2)
	v_perm_b32 v16, v66, v16, 0x5040100
	v_cndmask_b32_e64 v68, 0, v69, s1
	v_or_b32_e32 v69, 5, v17
	v_cmp_lt_i32_e64 s1, v67, v32
	v_or_b32_e32 v67, 4, v17
	s_delay_alu instid0(VALU_DEP_2) | instskip(NEXT) | instid1(VALU_DEP_4)
	v_cndmask_b32_e64 v14, 0, v14, s1
	v_cmp_lt_i32_e64 s1, v69, v49
	s_delay_alu instid0(VALU_DEP_2) | instskip(NEXT) | instid1(VALU_DEP_2)
	v_perm_b32 v14, v68, v14, 0x5040100
	v_cndmask_b32_e64 v69, 0, v70, s1
	v_or_b32_e32 v70, 7, v17
	v_cmp_lt_i32_e64 s1, v67, v32
	s_delay_alu instid0(VALU_DEP_1) | instskip(NEXT) | instid1(VALU_DEP_3)
	v_cndmask_b32_e64 v2, 0, v2, s1
	v_cmp_lt_i32_e64 s1, v70, v49
	s_delay_alu instid0(VALU_DEP_2) | instskip(NEXT) | instid1(VALU_DEP_2)
	v_perm_b32 v2, v69, v2, 0x5040100
	v_cndmask_b32_e64 v13, 0, v13, s1
	v_cmp_lt_i32_e64 s1, v71, v32
	s_delay_alu instid0(VALU_DEP_1) | instskip(NEXT) | instid1(VALU_DEP_1)
	v_cndmask_b32_e64 v15, 0, v15, s1
	v_perm_b32 v13, v13, v15, 0x5040100
.LBB333_582:                            ;   in Loop: Header=BB333_516 Depth=1
	s_or_b32 exec_lo, exec_lo, s12
	v_and_b32_e32 v15, 0xffff, v53
	v_and_b32_e32 v53, 0xffff, v54
	;; [unrolled: 1-line block ×4, first 2 shown]
	s_mov_b32 s12, exec_lo
	s_delay_alu instid0(VALU_DEP_3) | instskip(NEXT) | instid1(VALU_DEP_3)
	v_lshl_or_b32 v54, v51, 16, v53
	v_lshl_or_b32 v53, v52, 16, v66
	v_mov_b32_e32 v66, 0
	v_lshl_or_b32 v55, v50, 16, v15
	;;#ASMSTART
	v_pk_mul_f16 v15, v55, v16;

	;;#ASMEND
	;;#ASMSTART
	v_pk_mul_f16 v14, v54, v14;

	;;#ASMEND
	;; [unrolled: 4-line block ×3, first 2 shown]
	v_lshl_or_b32 v52, v64, 16, v65
	v_mov_b32_e32 v65, 0
	;;#ASMSTART
	v_pk_mul_f16 v13, v52, v13;

	;;#ASMEND
	;;#ASMSTART
	v_pk_add_f16 v14, v15, v14;

	;;#ASMEND
	;;#ASMSTART
	v_pk_add_f16 v2, v14, v2;
	;; [unrolled: 4-line block ×3, first 2 shown]

	;;#ASMEND
	v_and_b32_e32 v13, 0xffff, v2
	v_lshrrev_b32_e32 v2, 16, v2
	;;#ASMSTART
	v_cvt_f32_f16 v50, v13;
	;;#ASMEND
	;;#ASMSTART
	v_cvt_f32_f16 v51, v2;
	;;#ASMEND
	flat_load_b64 v[13:14], v[11:12] offset:256
	flat_load_b32 v64, v[26:27]
	s_waitcnt vmcnt(1) lgkmcnt(1)
	v_and_b32_e32 v2, 0xff, v13
	s_delay_alu instid0(VALU_DEP_1)
	v_cmpx_ne_u16_e32 0, v2
	s_cbranch_execz .LBB333_590
; %bb.583:                              ;   in Loop: Header=BB333_516 Depth=1
	v_bfrev_b32_e32 v65, 1
	s_mov_b32 s13, exec_lo
	v_cmpx_ne_u16_e32 0x80, v2
	s_cbranch_execz .LBB333_589
; %bb.584:                              ;   in Loop: Header=BB333_516 Depth=1
	v_and_b32_e32 v15, 0x7f, v13
	v_mov_b32_e32 v65, 0x7fc02000
	s_mov_b32 s15, exec_lo
	s_delay_alu instid0(VALU_DEP_2)
	v_cmpx_ne_u32_e32 0x7f, v15
	s_cbranch_execz .LBB333_588
; %bb.585:                              ;   in Loop: Header=BB333_516 Depth=1
	v_lshrrev_b32_e32 v2, 3, v15
	v_cmp_gt_u32_e64 s1, 8, v15
	v_dual_mov_b32 v16, v14 :: v_dual_mov_b32 v15, v13
	s_delay_alu instid0(VALU_DEP_2)
	s_and_saveexec_b32 s16, s1
; %bb.586:                              ;   in Loop: Header=BB333_516 Depth=1
	v_and_b32_e32 v2, 7, v13
	s_delay_alu instid0(VALU_DEP_1) | instskip(NEXT) | instid1(VALU_DEP_1)
	v_clz_i32_u32_e32 v2, v2
	v_min_u32_e32 v2, 32, v2
	s_delay_alu instid0(VALU_DEP_1) | instskip(SKIP_1) | instid1(VALU_DEP_2)
	v_subrev_nc_u32_e32 v15, 28, v2
	v_sub_nc_u32_e32 v2, 29, v2
	v_lshlrev_b64 v[15:16], v15, v[13:14]
; %bb.587:                              ;   in Loop: Header=BB333_516 Depth=1
	s_or_b32 exec_lo, exec_lo, s16
	v_lshlrev_b32_e32 v16, 8, v13
	s_delay_alu instid0(VALU_DEP_3) | instskip(NEXT) | instid1(VALU_DEP_3)
	v_lshl_add_u32 v2, v2, 10, 0x2000
	v_lshlrev_b32_e32 v15, 7, v15
	s_delay_alu instid0(VALU_DEP_2) | instskip(NEXT) | instid1(VALU_DEP_1)
	v_and_or_b32 v2, 0x8000, v16, v2
	v_and_or_b32 v2, 0x380, v15, v2
	s_delay_alu instid0(VALU_DEP_1)
	v_cvt_f32_f16_e32 v65, v2
.LBB333_588:                            ;   in Loop: Header=BB333_516 Depth=1
	s_or_b32 exec_lo, exec_lo, s15
.LBB333_589:                            ;   in Loop: Header=BB333_516 Depth=1
	s_delay_alu instid0(SALU_CYCLE_1)
	s_or_b32 exec_lo, exec_lo, s13
.LBB333_590:                            ;   in Loop: Header=BB333_516 Depth=1
	s_delay_alu instid0(SALU_CYCLE_1) | instskip(SKIP_2) | instid1(VALU_DEP_1)
	s_or_b32 exec_lo, exec_lo, s12
	v_lshrrev_b16 v2, 8, v13
	s_mov_b32 s12, exec_lo
	v_cmpx_ne_u16_e32 0, v2
	s_cbranch_execz .LBB333_598
; %bb.591:                              ;   in Loop: Header=BB333_516 Depth=1
	v_bfrev_b32_e32 v66, 1
	s_mov_b32 s13, exec_lo
	v_cmpx_ne_u16_e32 0x80, v2
	s_cbranch_execz .LBB333_597
; %bb.592:                              ;   in Loop: Header=BB333_516 Depth=1
	v_and_b32_e32 v15, 0xffff, v2
	v_mov_b32_e32 v66, 0x7fc02000
	s_mov_b32 s15, exec_lo
	s_delay_alu instid0(VALU_DEP_2) | instskip(NEXT) | instid1(VALU_DEP_1)
	v_and_b32_e32 v67, 0x7f, v15
	v_cmpx_ne_u32_e32 0x7f, v67
	s_cbranch_execz .LBB333_596
; %bb.593:                              ;   in Loop: Header=BB333_516 Depth=1
	v_and_b32_e32 v2, 7, v15
	v_lshrrev_b32_e32 v16, 3, v67
	s_mov_b32 s16, exec_lo
	v_cmpx_gt_u32_e32 8, v67
; %bb.594:                              ;   in Loop: Header=BB333_516 Depth=1
	s_delay_alu instid0(VALU_DEP_3) | instskip(NEXT) | instid1(VALU_DEP_1)
	v_clz_i32_u32_e32 v16, v2
	v_min_u32_e32 v16, 32, v16
	s_delay_alu instid0(VALU_DEP_1) | instskip(SKIP_1) | instid1(VALU_DEP_2)
	v_subrev_nc_u32_e32 v66, 28, v16
	v_sub_nc_u32_e32 v16, 29, v16
	v_lshlrev_b64 v[66:67], v66, v[2:3]
	s_delay_alu instid0(VALU_DEP_1)
	v_and_b32_e32 v2, 7, v66
; %bb.595:                              ;   in Loop: Header=BB333_516 Depth=1
	s_or_b32 exec_lo, exec_lo, s16
	v_lshlrev_b32_e32 v15, 8, v15
	v_lshl_add_u32 v16, v16, 10, 0x2000
	s_delay_alu instid0(VALU_DEP_1) | instskip(NEXT) | instid1(VALU_DEP_1)
	v_and_or_b32 v15, 0x8000, v15, v16
	v_lshl_or_b32 v2, v2, 7, v15
	s_delay_alu instid0(VALU_DEP_1)
	v_cvt_f32_f16_e32 v66, v2
.LBB333_596:                            ;   in Loop: Header=BB333_516 Depth=1
	s_or_b32 exec_lo, exec_lo, s15
.LBB333_597:                            ;   in Loop: Header=BB333_516 Depth=1
	s_delay_alu instid0(SALU_CYCLE_1)
	s_or_b32 exec_lo, exec_lo, s13
.LBB333_598:                            ;   in Loop: Header=BB333_516 Depth=1
	s_delay_alu instid0(SALU_CYCLE_1) | instskip(SKIP_3) | instid1(VALU_DEP_2)
	s_or_b32 exec_lo, exec_lo, s12
	v_lshrrev_b32_e32 v15, 16, v13
	v_mov_b32_e32 v68, 0
	s_mov_b32 s12, exec_lo
	v_dual_mov_b32 v67, 0 :: v_dual_and_b32 v2, 0xff, v15
	s_delay_alu instid0(VALU_DEP_1)
	v_cmpx_ne_u16_e32 0, v2
	s_cbranch_execz .LBB333_606
; %bb.599:                              ;   in Loop: Header=BB333_516 Depth=1
	v_bfrev_b32_e32 v67, 1
	s_mov_b32 s13, exec_lo
	v_cmpx_ne_u16_e32 0x80, v2
	s_cbranch_execz .LBB333_605
; %bb.600:                              ;   in Loop: Header=BB333_516 Depth=1
	v_bfe_u32 v69, v13, 16, 7
	v_mov_b32_e32 v67, 0x7fc02000
	s_mov_b32 s15, exec_lo
	s_delay_alu instid0(VALU_DEP_2)
	v_cmpx_ne_u32_e32 0x7f, v69
	s_cbranch_execz .LBB333_604
; %bb.601:                              ;   in Loop: Header=BB333_516 Depth=1
	v_and_b32_e32 v2, 7, v15
	v_lshrrev_b32_e32 v16, 3, v69
	s_mov_b32 s16, exec_lo
	v_cmpx_gt_u32_e32 8, v69
; %bb.602:                              ;   in Loop: Header=BB333_516 Depth=1
	s_delay_alu instid0(VALU_DEP_3) | instskip(NEXT) | instid1(VALU_DEP_1)
	v_clz_i32_u32_e32 v16, v2
	v_min_u32_e32 v16, 32, v16
	s_delay_alu instid0(VALU_DEP_1) | instskip(SKIP_1) | instid1(VALU_DEP_2)
	v_subrev_nc_u32_e32 v67, 28, v16
	v_sub_nc_u32_e32 v16, 29, v16
	v_lshlrev_b64 v[69:70], v67, v[2:3]
	s_delay_alu instid0(VALU_DEP_1)
	v_and_b32_e32 v2, 7, v69
; %bb.603:                              ;   in Loop: Header=BB333_516 Depth=1
	s_or_b32 exec_lo, exec_lo, s16
	v_lshlrev_b32_e32 v15, 8, v15
	v_lshl_add_u32 v16, v16, 10, 0x2000
	s_delay_alu instid0(VALU_DEP_1) | instskip(NEXT) | instid1(VALU_DEP_1)
	v_and_or_b32 v15, 0x8000, v15, v16
	v_lshl_or_b32 v2, v2, 7, v15
	s_delay_alu instid0(VALU_DEP_1)
	v_cvt_f32_f16_e32 v67, v2
.LBB333_604:                            ;   in Loop: Header=BB333_516 Depth=1
	s_or_b32 exec_lo, exec_lo, s15
.LBB333_605:                            ;   in Loop: Header=BB333_516 Depth=1
	s_delay_alu instid0(SALU_CYCLE_1)
	s_or_b32 exec_lo, exec_lo, s13
.LBB333_606:                            ;   in Loop: Header=BB333_516 Depth=1
	s_delay_alu instid0(SALU_CYCLE_1) | instskip(NEXT) | instid1(SALU_CYCLE_1)
	s_or_b32 exec_lo, exec_lo, s12
	s_mov_b32 s12, exec_lo
	v_cmpx_lt_u32_e32 0xffffff, v13
	s_cbranch_execz .LBB333_614
; %bb.607:                              ;   in Loop: Header=BB333_516 Depth=1
	v_lshrrev_b32_e32 v15, 24, v13
	v_bfrev_b32_e32 v68, 1
	s_mov_b32 s13, exec_lo
	s_delay_alu instid0(VALU_DEP_2)
	v_cmpx_ne_u32_e32 0x80, v15
	s_cbranch_execz .LBB333_613
; %bb.608:                              ;   in Loop: Header=BB333_516 Depth=1
	v_and_b32_e32 v69, 0x7f, v15
	v_mov_b32_e32 v68, 0x7fc02000
	s_mov_b32 s15, exec_lo
	s_delay_alu instid0(VALU_DEP_2)
	v_cmpx_ne_u32_e32 0x7f, v69
	s_cbranch_execz .LBB333_612
; %bb.609:                              ;   in Loop: Header=BB333_516 Depth=1
	v_and_b32_e32 v2, 7, v15
	v_lshrrev_b32_e32 v16, 3, v69
	s_mov_b32 s16, exec_lo
	v_cmpx_gt_u32_e32 8, v69
; %bb.610:                              ;   in Loop: Header=BB333_516 Depth=1
	s_delay_alu instid0(VALU_DEP_3) | instskip(NEXT) | instid1(VALU_DEP_1)
	v_clz_i32_u32_e32 v16, v2
	v_min_u32_e32 v16, 32, v16
	s_delay_alu instid0(VALU_DEP_1) | instskip(SKIP_1) | instid1(VALU_DEP_2)
	v_subrev_nc_u32_e32 v68, 28, v16
	v_sub_nc_u32_e32 v16, 29, v16
	v_lshlrev_b64 v[68:69], v68, v[2:3]
	s_delay_alu instid0(VALU_DEP_1)
	v_and_b32_e32 v2, 7, v68
; %bb.611:                              ;   in Loop: Header=BB333_516 Depth=1
	s_or_b32 exec_lo, exec_lo, s16
	v_lshlrev_b32_e32 v15, 8, v15
	v_lshl_add_u32 v16, v16, 10, 0x2000
	s_delay_alu instid0(VALU_DEP_1) | instskip(NEXT) | instid1(VALU_DEP_1)
	v_and_or_b32 v15, 0x8000, v15, v16
	v_lshl_or_b32 v2, v2, 7, v15
	s_delay_alu instid0(VALU_DEP_1)
	v_cvt_f32_f16_e32 v68, v2
.LBB333_612:                            ;   in Loop: Header=BB333_516 Depth=1
	s_or_b32 exec_lo, exec_lo, s15
.LBB333_613:                            ;   in Loop: Header=BB333_516 Depth=1
	s_delay_alu instid0(SALU_CYCLE_1)
	s_or_b32 exec_lo, exec_lo, s13
.LBB333_614:                            ;   in Loop: Header=BB333_516 Depth=1
	s_delay_alu instid0(SALU_CYCLE_1) | instskip(SKIP_3) | instid1(VALU_DEP_2)
	s_or_b32 exec_lo, exec_lo, s12
	v_dual_mov_b32 v69, 0 :: v_dual_and_b32 v16, 0xff, v14
	v_dual_mov_b32 v2, v14 :: v_dual_mov_b32 v15, 0
	s_mov_b32 s12, exec_lo
	v_cmpx_ne_u16_e32 0, v16
	s_cbranch_execz .LBB333_622
; %bb.615:                              ;   in Loop: Header=BB333_516 Depth=1
	v_bfrev_b32_e32 v15, 1
	s_mov_b32 s13, exec_lo
	v_cmpx_ne_u16_e32 0x80, v16
	s_cbranch_execz .LBB333_621
; %bb.616:                              ;   in Loop: Header=BB333_516 Depth=1
	v_and_b32_e32 v16, 0x7f, v14
	v_mov_b32_e32 v15, 0x7fc02000
	s_mov_b32 s15, exec_lo
	s_delay_alu instid0(VALU_DEP_2)
	v_cmpx_ne_u32_e32 0x7f, v16
	s_cbranch_execz .LBB333_620
; %bb.617:                              ;   in Loop: Header=BB333_516 Depth=1
	v_lshrrev_b32_e32 v70, 3, v16
	v_cmp_gt_u32_e64 s1, 8, v16
	v_dual_mov_b32 v16, v3 :: v_dual_mov_b32 v15, v2
	s_delay_alu instid0(VALU_DEP_2)
	s_and_saveexec_b32 s16, s1
; %bb.618:                              ;   in Loop: Header=BB333_516 Depth=1
	v_and_b32_e32 v15, 7, v14
	s_delay_alu instid0(VALU_DEP_1) | instskip(NEXT) | instid1(VALU_DEP_1)
	v_clz_i32_u32_e32 v15, v15
	v_min_u32_e32 v70, 32, v15
	s_delay_alu instid0(VALU_DEP_1) | instskip(SKIP_1) | instid1(VALU_DEP_2)
	v_subrev_nc_u32_e32 v15, 28, v70
	v_sub_nc_u32_e32 v70, 29, v70
	v_lshlrev_b64 v[15:16], v15, v[2:3]
; %bb.619:                              ;   in Loop: Header=BB333_516 Depth=1
	s_or_b32 exec_lo, exec_lo, s16
	v_lshlrev_b32_e32 v16, 8, v14
	s_delay_alu instid0(VALU_DEP_3) | instskip(NEXT) | instid1(VALU_DEP_3)
	v_lshl_add_u32 v70, v70, 10, 0x2000
	v_lshlrev_b32_e32 v15, 7, v15
	s_delay_alu instid0(VALU_DEP_2) | instskip(NEXT) | instid1(VALU_DEP_1)
	v_and_or_b32 v16, 0x8000, v16, v70
	v_and_or_b32 v15, 0x380, v15, v16
	s_delay_alu instid0(VALU_DEP_1)
	v_cvt_f32_f16_e32 v15, v15
.LBB333_620:                            ;   in Loop: Header=BB333_516 Depth=1
	s_or_b32 exec_lo, exec_lo, s15
.LBB333_621:                            ;   in Loop: Header=BB333_516 Depth=1
	s_delay_alu instid0(SALU_CYCLE_1)
	s_or_b32 exec_lo, exec_lo, s13
.LBB333_622:                            ;   in Loop: Header=BB333_516 Depth=1
	s_delay_alu instid0(SALU_CYCLE_1) | instskip(SKIP_2) | instid1(VALU_DEP_1)
	s_or_b32 exec_lo, exec_lo, s12
	v_lshrrev_b16 v2, 8, v2
	s_mov_b32 s12, exec_lo
	v_cmpx_ne_u16_e32 0, v2
	s_cbranch_execz .LBB333_630
; %bb.623:                              ;   in Loop: Header=BB333_516 Depth=1
	v_bfrev_b32_e32 v69, 1
	s_mov_b32 s13, exec_lo
	v_cmpx_ne_u16_e32 0x80, v2
	s_cbranch_execz .LBB333_629
; %bb.624:                              ;   in Loop: Header=BB333_516 Depth=1
	v_and_b32_e32 v16, 0xffff, v2
	v_mov_b32_e32 v69, 0x7fc02000
	s_mov_b32 s15, exec_lo
	s_delay_alu instid0(VALU_DEP_2) | instskip(NEXT) | instid1(VALU_DEP_1)
	v_and_b32_e32 v70, 0x7f, v16
	v_cmpx_ne_u32_e32 0x7f, v70
	s_cbranch_execz .LBB333_628
; %bb.625:                              ;   in Loop: Header=BB333_516 Depth=1
	v_and_b32_e32 v2, 7, v16
	v_lshrrev_b32_e32 v69, 3, v70
	s_mov_b32 s16, exec_lo
	v_cmpx_gt_u32_e32 8, v70
; %bb.626:                              ;   in Loop: Header=BB333_516 Depth=1
	s_delay_alu instid0(VALU_DEP_3) | instskip(NEXT) | instid1(VALU_DEP_1)
	v_clz_i32_u32_e32 v69, v2
	v_min_u32_e32 v69, 32, v69
	s_delay_alu instid0(VALU_DEP_1) | instskip(SKIP_1) | instid1(VALU_DEP_2)
	v_subrev_nc_u32_e32 v70, 28, v69
	v_sub_nc_u32_e32 v69, 29, v69
	v_lshlrev_b64 v[70:71], v70, v[2:3]
	s_delay_alu instid0(VALU_DEP_1)
	v_and_b32_e32 v2, 7, v70
; %bb.627:                              ;   in Loop: Header=BB333_516 Depth=1
	s_or_b32 exec_lo, exec_lo, s16
	v_lshlrev_b32_e32 v16, 8, v16
	v_lshl_add_u32 v69, v69, 10, 0x2000
	s_delay_alu instid0(VALU_DEP_1) | instskip(NEXT) | instid1(VALU_DEP_1)
	v_and_or_b32 v16, 0x8000, v16, v69
	v_lshl_or_b32 v2, v2, 7, v16
	s_delay_alu instid0(VALU_DEP_1)
	v_cvt_f32_f16_e32 v69, v2
.LBB333_628:                            ;   in Loop: Header=BB333_516 Depth=1
	s_or_b32 exec_lo, exec_lo, s15
.LBB333_629:                            ;   in Loop: Header=BB333_516 Depth=1
	s_delay_alu instid0(SALU_CYCLE_1)
	s_or_b32 exec_lo, exec_lo, s13
.LBB333_630:                            ;   in Loop: Header=BB333_516 Depth=1
	s_delay_alu instid0(SALU_CYCLE_1) | instskip(SKIP_4) | instid1(VALU_DEP_3)
	s_or_b32 exec_lo, exec_lo, s12
	v_lshrrev_b32_e32 v71, 16, v14
	v_mov_b32_e32 v70, 0
	v_mov_b32_e32 v16, 0
	s_mov_b32 s12, exec_lo
	v_and_b32_e32 v2, 0xff, v71
	s_delay_alu instid0(VALU_DEP_1)
	v_cmpx_ne_u16_e32 0, v2
	s_cbranch_execz .LBB333_638
; %bb.631:                              ;   in Loop: Header=BB333_516 Depth=1
	v_bfrev_b32_e32 v16, 1
	s_mov_b32 s13, exec_lo
	v_cmpx_ne_u16_e32 0x80, v2
	s_cbranch_execz .LBB333_637
; %bb.632:                              ;   in Loop: Header=BB333_516 Depth=1
	v_bfe_u32 v80, v14, 16, 7
	v_mov_b32_e32 v16, 0x7fc02000
	s_mov_b32 s15, exec_lo
	s_delay_alu instid0(VALU_DEP_2)
	v_cmpx_ne_u32_e32 0x7f, v80
	s_cbranch_execz .LBB333_636
; %bb.633:                              ;   in Loop: Header=BB333_516 Depth=1
	v_and_b32_e32 v2, 7, v71
	v_lshrrev_b32_e32 v16, 3, v80
	s_mov_b32 s16, exec_lo
	v_cmpx_gt_u32_e32 8, v80
; %bb.634:                              ;   in Loop: Header=BB333_516 Depth=1
	s_delay_alu instid0(VALU_DEP_3) | instskip(NEXT) | instid1(VALU_DEP_1)
	v_clz_i32_u32_e32 v16, v2
	v_min_u32_e32 v16, 32, v16
	s_delay_alu instid0(VALU_DEP_1) | instskip(SKIP_1) | instid1(VALU_DEP_2)
	v_subrev_nc_u32_e32 v80, 28, v16
	v_sub_nc_u32_e32 v16, 29, v16
	v_lshlrev_b64 v[80:81], v80, v[2:3]
	s_delay_alu instid0(VALU_DEP_1)
	v_and_b32_e32 v2, 7, v80
; %bb.635:                              ;   in Loop: Header=BB333_516 Depth=1
	s_or_b32 exec_lo, exec_lo, s16
	v_lshlrev_b32_e32 v71, 8, v71
	v_lshl_add_u32 v16, v16, 10, 0x2000
	s_delay_alu instid0(VALU_DEP_1) | instskip(NEXT) | instid1(VALU_DEP_1)
	v_and_or_b32 v16, 0x8000, v71, v16
	v_lshl_or_b32 v2, v2, 7, v16
	s_delay_alu instid0(VALU_DEP_1)
	v_cvt_f32_f16_e32 v16, v2
.LBB333_636:                            ;   in Loop: Header=BB333_516 Depth=1
	s_or_b32 exec_lo, exec_lo, s15
.LBB333_637:                            ;   in Loop: Header=BB333_516 Depth=1
	s_delay_alu instid0(SALU_CYCLE_1)
	s_or_b32 exec_lo, exec_lo, s13
.LBB333_638:                            ;   in Loop: Header=BB333_516 Depth=1
	s_delay_alu instid0(SALU_CYCLE_1) | instskip(NEXT) | instid1(SALU_CYCLE_1)
	s_or_b32 exec_lo, exec_lo, s12
	s_mov_b32 s12, exec_lo
	v_cmpx_lt_u64_e64 s[8:9], v[13:14]
	s_cbranch_execz .LBB333_646
; %bb.639:                              ;   in Loop: Header=BB333_516 Depth=1
	v_lshrrev_b32_e32 v13, 24, v14
	v_bfrev_b32_e32 v70, 1
	s_mov_b32 s13, exec_lo
	s_delay_alu instid0(VALU_DEP_2)
	v_cmpx_ne_u32_e32 0x80, v13
	s_cbranch_execz .LBB333_645
; %bb.640:                              ;   in Loop: Header=BB333_516 Depth=1
	v_and_b32_e32 v71, 0x7f, v13
	v_mov_b32_e32 v70, 0x7fc02000
	s_mov_b32 s15, exec_lo
	s_delay_alu instid0(VALU_DEP_2)
	v_cmpx_ne_u32_e32 0x7f, v71
	s_cbranch_execz .LBB333_644
; %bb.641:                              ;   in Loop: Header=BB333_516 Depth=1
	v_and_b32_e32 v2, 7, v13
	v_lshrrev_b32_e32 v14, 3, v71
	s_mov_b32 s16, exec_lo
	v_cmpx_gt_u32_e32 8, v71
; %bb.642:                              ;   in Loop: Header=BB333_516 Depth=1
	s_delay_alu instid0(VALU_DEP_3) | instskip(NEXT) | instid1(VALU_DEP_1)
	v_clz_i32_u32_e32 v14, v2
	v_min_u32_e32 v14, 32, v14
	s_delay_alu instid0(VALU_DEP_1) | instskip(SKIP_1) | instid1(VALU_DEP_2)
	v_subrev_nc_u32_e32 v70, 28, v14
	v_sub_nc_u32_e32 v14, 29, v14
	v_lshlrev_b64 v[70:71], v70, v[2:3]
	s_delay_alu instid0(VALU_DEP_1)
	v_and_b32_e32 v2, 7, v70
; %bb.643:                              ;   in Loop: Header=BB333_516 Depth=1
	s_or_b32 exec_lo, exec_lo, s16
	v_lshlrev_b32_e32 v13, 8, v13
	v_lshl_add_u32 v14, v14, 10, 0x2000
	s_delay_alu instid0(VALU_DEP_1) | instskip(NEXT) | instid1(VALU_DEP_1)
	v_and_or_b32 v13, 0x8000, v13, v14
	v_lshl_or_b32 v2, v2, 7, v13
	s_delay_alu instid0(VALU_DEP_1)
	v_cvt_f32_f16_e32 v70, v2
.LBB333_644:                            ;   in Loop: Header=BB333_516 Depth=1
	s_or_b32 exec_lo, exec_lo, s15
.LBB333_645:                            ;   in Loop: Header=BB333_516 Depth=1
	s_delay_alu instid0(SALU_CYCLE_1)
	s_or_b32 exec_lo, exec_lo, s13
.LBB333_646:                            ;   in Loop: Header=BB333_516 Depth=1
	s_delay_alu instid0(SALU_CYCLE_1)
	s_or_b32 exec_lo, exec_lo, s12
	s_waitcnt vmcnt(0) lgkmcnt(0)
	v_fma_mixlo_f16 v14, v64, v66, 0
	v_fma_mixlo_f16 v2, v64, v68, 0
	;; [unrolled: 1-line block ×5, first 2 shown]
	v_lshlrev_b32_e32 v66, 16, v14
	v_fma_mixlo_f16 v15, v64, v15, 0
	v_fma_mixlo_f16 v68, v64, v70, 0
	;; [unrolled: 1-line block ×3, first 2 shown]
	v_lshlrev_b32_e32 v2, 16, v2
	v_and_b32_e32 v13, 0xffff, v13
	v_and_b32_e32 v16, 0xffff, v65
	v_lshlrev_b32_e32 v64, 16, v67
	v_and_b32_e32 v65, 0xffff, v15
	v_lshlrev_b32_e32 v67, 16, v68
	v_and_b32_e32 v68, 0xffff, v14
	v_or_b32_e32 v15, v2, v13
	v_or_b32_e32 v16, v66, v16
	;; [unrolled: 1-line block ×3, first 2 shown]
	s_delay_alu instid0(VALU_DEP_4)
	v_or_b32_e32 v13, v67, v68
	s_and_saveexec_b32 s12, s0
	s_cbranch_execz .LBB333_648
; %bb.647:                              ;   in Loop: Header=BB333_516 Depth=1
	v_add_nc_u32_e32 v64, 1, v17
	v_lshrrev_b32_e32 v65, 16, v16
	v_or_b32_e32 v66, 3, v17
	v_lshrrev_b32_e32 v67, 16, v15
	v_lshrrev_b32_e32 v68, 16, v2
	v_cmp_lt_i32_e64 s1, v64, v49
	v_lshrrev_b32_e32 v13, 16, v13
	v_or_b32_e32 v69, 6, v17
	s_delay_alu instid0(VALU_DEP_3) | instskip(SKIP_2) | instid1(VALU_DEP_2)
	v_cndmask_b32_e64 v64, 0, v65, s1
	v_cmp_lt_i32_e64 s1, v17, v32
	v_or_b32_e32 v65, 2, v17
	v_cndmask_b32_e64 v16, 0, v16, s1
	v_cmp_lt_i32_e64 s1, v66, v49
	s_delay_alu instid0(VALU_DEP_2) | instskip(NEXT) | instid1(VALU_DEP_2)
	v_perm_b32 v16, v64, v16, 0x5040100
	v_cndmask_b32_e64 v66, 0, v67, s1
	v_or_b32_e32 v67, 5, v17
	v_cmp_lt_i32_e64 s1, v65, v32
	v_or_b32_e32 v65, 4, v17
	s_delay_alu instid0(VALU_DEP_2) | instskip(NEXT) | instid1(VALU_DEP_4)
	v_cndmask_b32_e64 v15, 0, v15, s1
	v_cmp_lt_i32_e64 s1, v67, v49
	s_delay_alu instid0(VALU_DEP_2) | instskip(NEXT) | instid1(VALU_DEP_2)
	v_perm_b32 v15, v66, v15, 0x5040100
	v_cndmask_b32_e64 v67, 0, v68, s1
	v_or_b32_e32 v68, 7, v17
	v_cmp_lt_i32_e64 s1, v65, v32
	s_delay_alu instid0(VALU_DEP_1) | instskip(NEXT) | instid1(VALU_DEP_3)
	v_cndmask_b32_e64 v2, 0, v2, s1
	v_cmp_lt_i32_e64 s1, v68, v49
	s_delay_alu instid0(VALU_DEP_2) | instskip(NEXT) | instid1(VALU_DEP_2)
	v_perm_b32 v2, v67, v2, 0x5040100
	v_cndmask_b32_e64 v13, 0, v13, s1
	v_cmp_lt_i32_e64 s1, v69, v32
	s_delay_alu instid0(VALU_DEP_1) | instskip(NEXT) | instid1(VALU_DEP_1)
	v_cndmask_b32_e64 v14, 0, v14, s1
	v_perm_b32 v13, v13, v14, 0x5040100
.LBB333_648:                            ;   in Loop: Header=BB333_516 Depth=1
	s_or_b32 exec_lo, exec_lo, s12
	;;#ASMSTART
	v_pk_mul_f16 v14, v55, v16;

	;;#ASMEND
	;;#ASMSTART
	v_pk_mul_f16 v15, v54, v15;

	;;#ASMEND
	;; [unrolled: 4-line block ×4, first 2 shown]
	;;#ASMSTART
	v_pk_add_f16 v14, v14, v15;

	;;#ASMEND
	;;#ASMSTART
	v_pk_add_f16 v2, v14, v2;

	;;#ASMEND
	;; [unrolled: 4-line block ×3, first 2 shown]
	v_dual_mov_b32 v68, 0 :: v_dual_and_b32 v13, 0xffff, v2
	v_lshrrev_b32_e32 v2, 16, v2
	;;#ASMSTART
	v_cvt_f32_f16 v64, v13;
	;;#ASMEND
	;;#ASMSTART
	v_cvt_f32_f16 v65, v2;
	;;#ASMEND
	flat_load_b64 v[13:14], v[11:12] offset:512
	flat_load_b32 v66, v[26:27]
	s_mov_b32 s12, exec_lo
	s_waitcnt vmcnt(1) lgkmcnt(1)
	v_dual_mov_b32 v67, 0 :: v_dual_and_b32 v2, 0xff, v13
	s_delay_alu instid0(VALU_DEP_1)
	v_cmpx_ne_u16_e32 0, v2
	s_cbranch_execz .LBB333_656
; %bb.649:                              ;   in Loop: Header=BB333_516 Depth=1
	v_bfrev_b32_e32 v67, 1
	s_mov_b32 s13, exec_lo
	v_cmpx_ne_u16_e32 0x80, v2
	s_cbranch_execz .LBB333_655
; %bb.650:                              ;   in Loop: Header=BB333_516 Depth=1
	v_and_b32_e32 v15, 0x7f, v13
	v_mov_b32_e32 v67, 0x7fc02000
	s_mov_b32 s15, exec_lo
	s_delay_alu instid0(VALU_DEP_2)
	v_cmpx_ne_u32_e32 0x7f, v15
	s_cbranch_execz .LBB333_654
; %bb.651:                              ;   in Loop: Header=BB333_516 Depth=1
	v_lshrrev_b32_e32 v2, 3, v15
	v_cmp_gt_u32_e64 s1, 8, v15
	v_dual_mov_b32 v16, v14 :: v_dual_mov_b32 v15, v13
	s_delay_alu instid0(VALU_DEP_2)
	s_and_saveexec_b32 s16, s1
; %bb.652:                              ;   in Loop: Header=BB333_516 Depth=1
	v_and_b32_e32 v2, 7, v13
	s_delay_alu instid0(VALU_DEP_1) | instskip(NEXT) | instid1(VALU_DEP_1)
	v_clz_i32_u32_e32 v2, v2
	v_min_u32_e32 v2, 32, v2
	s_delay_alu instid0(VALU_DEP_1) | instskip(SKIP_1) | instid1(VALU_DEP_2)
	v_subrev_nc_u32_e32 v15, 28, v2
	v_sub_nc_u32_e32 v2, 29, v2
	v_lshlrev_b64 v[15:16], v15, v[13:14]
; %bb.653:                              ;   in Loop: Header=BB333_516 Depth=1
	s_or_b32 exec_lo, exec_lo, s16
	v_lshlrev_b32_e32 v16, 8, v13
	s_delay_alu instid0(VALU_DEP_3) | instskip(NEXT) | instid1(VALU_DEP_3)
	v_lshl_add_u32 v2, v2, 10, 0x2000
	v_lshlrev_b32_e32 v15, 7, v15
	s_delay_alu instid0(VALU_DEP_2) | instskip(NEXT) | instid1(VALU_DEP_1)
	v_and_or_b32 v2, 0x8000, v16, v2
	v_and_or_b32 v2, 0x380, v15, v2
	s_delay_alu instid0(VALU_DEP_1)
	v_cvt_f32_f16_e32 v67, v2
.LBB333_654:                            ;   in Loop: Header=BB333_516 Depth=1
	s_or_b32 exec_lo, exec_lo, s15
.LBB333_655:                            ;   in Loop: Header=BB333_516 Depth=1
	s_delay_alu instid0(SALU_CYCLE_1)
	s_or_b32 exec_lo, exec_lo, s13
.LBB333_656:                            ;   in Loop: Header=BB333_516 Depth=1
	s_delay_alu instid0(SALU_CYCLE_1) | instskip(SKIP_2) | instid1(VALU_DEP_1)
	s_or_b32 exec_lo, exec_lo, s12
	v_lshrrev_b16 v2, 8, v13
	s_mov_b32 s12, exec_lo
	v_cmpx_ne_u16_e32 0, v2
	s_cbranch_execz .LBB333_664
; %bb.657:                              ;   in Loop: Header=BB333_516 Depth=1
	v_bfrev_b32_e32 v68, 1
	s_mov_b32 s13, exec_lo
	v_cmpx_ne_u16_e32 0x80, v2
	s_cbranch_execz .LBB333_663
; %bb.658:                              ;   in Loop: Header=BB333_516 Depth=1
	v_and_b32_e32 v15, 0xffff, v2
	v_mov_b32_e32 v68, 0x7fc02000
	s_mov_b32 s15, exec_lo
	s_delay_alu instid0(VALU_DEP_2) | instskip(NEXT) | instid1(VALU_DEP_1)
	v_and_b32_e32 v69, 0x7f, v15
	v_cmpx_ne_u32_e32 0x7f, v69
	s_cbranch_execz .LBB333_662
; %bb.659:                              ;   in Loop: Header=BB333_516 Depth=1
	v_and_b32_e32 v2, 7, v15
	v_lshrrev_b32_e32 v16, 3, v69
	s_mov_b32 s16, exec_lo
	v_cmpx_gt_u32_e32 8, v69
; %bb.660:                              ;   in Loop: Header=BB333_516 Depth=1
	s_delay_alu instid0(VALU_DEP_3) | instskip(NEXT) | instid1(VALU_DEP_1)
	v_clz_i32_u32_e32 v16, v2
	v_min_u32_e32 v16, 32, v16
	s_delay_alu instid0(VALU_DEP_1) | instskip(SKIP_1) | instid1(VALU_DEP_2)
	v_subrev_nc_u32_e32 v68, 28, v16
	v_sub_nc_u32_e32 v16, 29, v16
	v_lshlrev_b64 v[68:69], v68, v[2:3]
	s_delay_alu instid0(VALU_DEP_1)
	v_and_b32_e32 v2, 7, v68
; %bb.661:                              ;   in Loop: Header=BB333_516 Depth=1
	s_or_b32 exec_lo, exec_lo, s16
	v_lshlrev_b32_e32 v15, 8, v15
	v_lshl_add_u32 v16, v16, 10, 0x2000
	s_delay_alu instid0(VALU_DEP_1) | instskip(NEXT) | instid1(VALU_DEP_1)
	v_and_or_b32 v15, 0x8000, v15, v16
	v_lshl_or_b32 v2, v2, 7, v15
	s_delay_alu instid0(VALU_DEP_1)
	v_cvt_f32_f16_e32 v68, v2
.LBB333_662:                            ;   in Loop: Header=BB333_516 Depth=1
	s_or_b32 exec_lo, exec_lo, s15
.LBB333_663:                            ;   in Loop: Header=BB333_516 Depth=1
	s_delay_alu instid0(SALU_CYCLE_1)
	s_or_b32 exec_lo, exec_lo, s13
.LBB333_664:                            ;   in Loop: Header=BB333_516 Depth=1
	s_delay_alu instid0(SALU_CYCLE_1) | instskip(SKIP_3) | instid1(VALU_DEP_2)
	s_or_b32 exec_lo, exec_lo, s12
	v_lshrrev_b32_e32 v15, 16, v13
	v_mov_b32_e32 v70, 0
	s_mov_b32 s12, exec_lo
	v_dual_mov_b32 v69, 0 :: v_dual_and_b32 v2, 0xff, v15
	s_delay_alu instid0(VALU_DEP_1)
	v_cmpx_ne_u16_e32 0, v2
	s_cbranch_execz .LBB333_672
; %bb.665:                              ;   in Loop: Header=BB333_516 Depth=1
	v_bfrev_b32_e32 v69, 1
	s_mov_b32 s13, exec_lo
	v_cmpx_ne_u16_e32 0x80, v2
	s_cbranch_execz .LBB333_671
; %bb.666:                              ;   in Loop: Header=BB333_516 Depth=1
	v_bfe_u32 v71, v13, 16, 7
	v_mov_b32_e32 v69, 0x7fc02000
	s_mov_b32 s15, exec_lo
	s_delay_alu instid0(VALU_DEP_2)
	v_cmpx_ne_u32_e32 0x7f, v71
	s_cbranch_execz .LBB333_670
; %bb.667:                              ;   in Loop: Header=BB333_516 Depth=1
	v_and_b32_e32 v2, 7, v15
	v_lshrrev_b32_e32 v16, 3, v71
	s_mov_b32 s16, exec_lo
	v_cmpx_gt_u32_e32 8, v71
; %bb.668:                              ;   in Loop: Header=BB333_516 Depth=1
	s_delay_alu instid0(VALU_DEP_3) | instskip(NEXT) | instid1(VALU_DEP_1)
	v_clz_i32_u32_e32 v16, v2
	v_min_u32_e32 v16, 32, v16
	s_delay_alu instid0(VALU_DEP_1) | instskip(SKIP_1) | instid1(VALU_DEP_2)
	v_subrev_nc_u32_e32 v69, 28, v16
	v_sub_nc_u32_e32 v16, 29, v16
	v_lshlrev_b64 v[80:81], v69, v[2:3]
	s_delay_alu instid0(VALU_DEP_1)
	v_and_b32_e32 v2, 7, v80
; %bb.669:                              ;   in Loop: Header=BB333_516 Depth=1
	s_or_b32 exec_lo, exec_lo, s16
	v_lshlrev_b32_e32 v15, 8, v15
	v_lshl_add_u32 v16, v16, 10, 0x2000
	s_delay_alu instid0(VALU_DEP_1) | instskip(NEXT) | instid1(VALU_DEP_1)
	v_and_or_b32 v15, 0x8000, v15, v16
	v_lshl_or_b32 v2, v2, 7, v15
	s_delay_alu instid0(VALU_DEP_1)
	v_cvt_f32_f16_e32 v69, v2
.LBB333_670:                            ;   in Loop: Header=BB333_516 Depth=1
	s_or_b32 exec_lo, exec_lo, s15
.LBB333_671:                            ;   in Loop: Header=BB333_516 Depth=1
	s_delay_alu instid0(SALU_CYCLE_1)
	s_or_b32 exec_lo, exec_lo, s13
.LBB333_672:                            ;   in Loop: Header=BB333_516 Depth=1
	s_delay_alu instid0(SALU_CYCLE_1) | instskip(NEXT) | instid1(SALU_CYCLE_1)
	s_or_b32 exec_lo, exec_lo, s12
	s_mov_b32 s12, exec_lo
	v_cmpx_lt_u32_e32 0xffffff, v13
	s_cbranch_execz .LBB333_680
; %bb.673:                              ;   in Loop: Header=BB333_516 Depth=1
	v_lshrrev_b32_e32 v15, 24, v13
	v_bfrev_b32_e32 v70, 1
	s_mov_b32 s13, exec_lo
	s_delay_alu instid0(VALU_DEP_2)
	v_cmpx_ne_u32_e32 0x80, v15
	s_cbranch_execz .LBB333_679
; %bb.674:                              ;   in Loop: Header=BB333_516 Depth=1
	v_and_b32_e32 v71, 0x7f, v15
	v_mov_b32_e32 v70, 0x7fc02000
	s_mov_b32 s15, exec_lo
	s_delay_alu instid0(VALU_DEP_2)
	v_cmpx_ne_u32_e32 0x7f, v71
	s_cbranch_execz .LBB333_678
; %bb.675:                              ;   in Loop: Header=BB333_516 Depth=1
	v_and_b32_e32 v2, 7, v15
	v_lshrrev_b32_e32 v16, 3, v71
	s_mov_b32 s16, exec_lo
	v_cmpx_gt_u32_e32 8, v71
; %bb.676:                              ;   in Loop: Header=BB333_516 Depth=1
	s_delay_alu instid0(VALU_DEP_3) | instskip(NEXT) | instid1(VALU_DEP_1)
	v_clz_i32_u32_e32 v16, v2
	v_min_u32_e32 v16, 32, v16
	s_delay_alu instid0(VALU_DEP_1) | instskip(SKIP_1) | instid1(VALU_DEP_2)
	v_subrev_nc_u32_e32 v70, 28, v16
	v_sub_nc_u32_e32 v16, 29, v16
	v_lshlrev_b64 v[70:71], v70, v[2:3]
	s_delay_alu instid0(VALU_DEP_1)
	v_and_b32_e32 v2, 7, v70
; %bb.677:                              ;   in Loop: Header=BB333_516 Depth=1
	s_or_b32 exec_lo, exec_lo, s16
	v_lshlrev_b32_e32 v15, 8, v15
	v_lshl_add_u32 v16, v16, 10, 0x2000
	s_delay_alu instid0(VALU_DEP_1) | instskip(NEXT) | instid1(VALU_DEP_1)
	v_and_or_b32 v15, 0x8000, v15, v16
	v_lshl_or_b32 v2, v2, 7, v15
	s_delay_alu instid0(VALU_DEP_1)
	v_cvt_f32_f16_e32 v70, v2
.LBB333_678:                            ;   in Loop: Header=BB333_516 Depth=1
	s_or_b32 exec_lo, exec_lo, s15
.LBB333_679:                            ;   in Loop: Header=BB333_516 Depth=1
	s_delay_alu instid0(SALU_CYCLE_1)
	s_or_b32 exec_lo, exec_lo, s13
.LBB333_680:                            ;   in Loop: Header=BB333_516 Depth=1
	s_delay_alu instid0(SALU_CYCLE_1) | instskip(SKIP_3) | instid1(VALU_DEP_2)
	s_or_b32 exec_lo, exec_lo, s12
	v_dual_mov_b32 v71, 0 :: v_dual_and_b32 v16, 0xff, v14
	v_dual_mov_b32 v2, v14 :: v_dual_mov_b32 v15, 0
	s_mov_b32 s12, exec_lo
	v_cmpx_ne_u16_e32 0, v16
	s_cbranch_execz .LBB333_688
; %bb.681:                              ;   in Loop: Header=BB333_516 Depth=1
	v_bfrev_b32_e32 v15, 1
	s_mov_b32 s13, exec_lo
	v_cmpx_ne_u16_e32 0x80, v16
	s_cbranch_execz .LBB333_687
; %bb.682:                              ;   in Loop: Header=BB333_516 Depth=1
	v_and_b32_e32 v16, 0x7f, v14
	v_mov_b32_e32 v15, 0x7fc02000
	s_mov_b32 s15, exec_lo
	s_delay_alu instid0(VALU_DEP_2)
	v_cmpx_ne_u32_e32 0x7f, v16
	s_cbranch_execz .LBB333_686
; %bb.683:                              ;   in Loop: Header=BB333_516 Depth=1
	v_lshrrev_b32_e32 v80, 3, v16
	v_cmp_gt_u32_e64 s1, 8, v16
	v_dual_mov_b32 v16, v3 :: v_dual_mov_b32 v15, v2
	s_delay_alu instid0(VALU_DEP_2)
	s_and_saveexec_b32 s16, s1
; %bb.684:                              ;   in Loop: Header=BB333_516 Depth=1
	v_and_b32_e32 v15, 7, v14
	s_delay_alu instid0(VALU_DEP_1) | instskip(NEXT) | instid1(VALU_DEP_1)
	v_clz_i32_u32_e32 v15, v15
	v_min_u32_e32 v80, 32, v15
	s_delay_alu instid0(VALU_DEP_1) | instskip(SKIP_1) | instid1(VALU_DEP_2)
	v_subrev_nc_u32_e32 v15, 28, v80
	v_sub_nc_u32_e32 v80, 29, v80
	v_lshlrev_b64 v[15:16], v15, v[2:3]
; %bb.685:                              ;   in Loop: Header=BB333_516 Depth=1
	s_or_b32 exec_lo, exec_lo, s16
	v_lshlrev_b32_e32 v16, 8, v14
	s_delay_alu instid0(VALU_DEP_3) | instskip(NEXT) | instid1(VALU_DEP_3)
	v_lshl_add_u32 v80, v80, 10, 0x2000
	v_lshlrev_b32_e32 v15, 7, v15
	s_delay_alu instid0(VALU_DEP_2) | instskip(NEXT) | instid1(VALU_DEP_1)
	v_and_or_b32 v16, 0x8000, v16, v80
	v_and_or_b32 v15, 0x380, v15, v16
	s_delay_alu instid0(VALU_DEP_1)
	v_cvt_f32_f16_e32 v15, v15
.LBB333_686:                            ;   in Loop: Header=BB333_516 Depth=1
	s_or_b32 exec_lo, exec_lo, s15
.LBB333_687:                            ;   in Loop: Header=BB333_516 Depth=1
	s_delay_alu instid0(SALU_CYCLE_1)
	s_or_b32 exec_lo, exec_lo, s13
.LBB333_688:                            ;   in Loop: Header=BB333_516 Depth=1
	s_delay_alu instid0(SALU_CYCLE_1) | instskip(SKIP_2) | instid1(VALU_DEP_1)
	s_or_b32 exec_lo, exec_lo, s12
	v_lshrrev_b16 v2, 8, v2
	s_mov_b32 s12, exec_lo
	v_cmpx_ne_u16_e32 0, v2
	s_cbranch_execz .LBB333_696
; %bb.689:                              ;   in Loop: Header=BB333_516 Depth=1
	v_bfrev_b32_e32 v71, 1
	s_mov_b32 s13, exec_lo
	v_cmpx_ne_u16_e32 0x80, v2
	s_cbranch_execz .LBB333_695
; %bb.690:                              ;   in Loop: Header=BB333_516 Depth=1
	v_and_b32_e32 v16, 0xffff, v2
	v_mov_b32_e32 v71, 0x7fc02000
	s_mov_b32 s15, exec_lo
	s_delay_alu instid0(VALU_DEP_2) | instskip(NEXT) | instid1(VALU_DEP_1)
	v_and_b32_e32 v80, 0x7f, v16
	v_cmpx_ne_u32_e32 0x7f, v80
	s_cbranch_execz .LBB333_694
; %bb.691:                              ;   in Loop: Header=BB333_516 Depth=1
	v_and_b32_e32 v2, 7, v16
	v_lshrrev_b32_e32 v71, 3, v80
	s_mov_b32 s16, exec_lo
	v_cmpx_gt_u32_e32 8, v80
; %bb.692:                              ;   in Loop: Header=BB333_516 Depth=1
	s_delay_alu instid0(VALU_DEP_3) | instskip(NEXT) | instid1(VALU_DEP_1)
	v_clz_i32_u32_e32 v71, v2
	v_min_u32_e32 v71, 32, v71
	s_delay_alu instid0(VALU_DEP_1) | instskip(SKIP_1) | instid1(VALU_DEP_2)
	v_subrev_nc_u32_e32 v80, 28, v71
	v_sub_nc_u32_e32 v71, 29, v71
	v_lshlrev_b64 v[80:81], v80, v[2:3]
	s_delay_alu instid0(VALU_DEP_1)
	v_and_b32_e32 v2, 7, v80
; %bb.693:                              ;   in Loop: Header=BB333_516 Depth=1
	s_or_b32 exec_lo, exec_lo, s16
	v_lshlrev_b32_e32 v16, 8, v16
	v_lshl_add_u32 v71, v71, 10, 0x2000
	s_delay_alu instid0(VALU_DEP_1) | instskip(NEXT) | instid1(VALU_DEP_1)
	v_and_or_b32 v16, 0x8000, v16, v71
	v_lshl_or_b32 v2, v2, 7, v16
	s_delay_alu instid0(VALU_DEP_1)
	v_cvt_f32_f16_e32 v71, v2
.LBB333_694:                            ;   in Loop: Header=BB333_516 Depth=1
	s_or_b32 exec_lo, exec_lo, s15
.LBB333_695:                            ;   in Loop: Header=BB333_516 Depth=1
	s_delay_alu instid0(SALU_CYCLE_1)
	s_or_b32 exec_lo, exec_lo, s13
.LBB333_696:                            ;   in Loop: Header=BB333_516 Depth=1
	s_delay_alu instid0(SALU_CYCLE_1) | instskip(SKIP_4) | instid1(VALU_DEP_3)
	s_or_b32 exec_lo, exec_lo, s12
	v_lshrrev_b32_e32 v81, 16, v14
	v_mov_b32_e32 v80, 0
	v_mov_b32_e32 v16, 0
	s_mov_b32 s12, exec_lo
	v_and_b32_e32 v2, 0xff, v81
	s_delay_alu instid0(VALU_DEP_1)
	v_cmpx_ne_u16_e32 0, v2
	s_cbranch_execz .LBB333_704
; %bb.697:                              ;   in Loop: Header=BB333_516 Depth=1
	v_bfrev_b32_e32 v16, 1
	s_mov_b32 s13, exec_lo
	v_cmpx_ne_u16_e32 0x80, v2
	s_cbranch_execz .LBB333_703
; %bb.698:                              ;   in Loop: Header=BB333_516 Depth=1
	v_bfe_u32 v82, v14, 16, 7
	v_mov_b32_e32 v16, 0x7fc02000
	s_mov_b32 s15, exec_lo
	s_delay_alu instid0(VALU_DEP_2)
	v_cmpx_ne_u32_e32 0x7f, v82
	s_cbranch_execz .LBB333_702
; %bb.699:                              ;   in Loop: Header=BB333_516 Depth=1
	v_and_b32_e32 v2, 7, v81
	v_lshrrev_b32_e32 v16, 3, v82
	s_mov_b32 s16, exec_lo
	v_cmpx_gt_u32_e32 8, v82
; %bb.700:                              ;   in Loop: Header=BB333_516 Depth=1
	s_delay_alu instid0(VALU_DEP_3) | instskip(NEXT) | instid1(VALU_DEP_1)
	v_clz_i32_u32_e32 v16, v2
	v_min_u32_e32 v16, 32, v16
	s_delay_alu instid0(VALU_DEP_1) | instskip(SKIP_1) | instid1(VALU_DEP_2)
	v_subrev_nc_u32_e32 v82, 28, v16
	v_sub_nc_u32_e32 v16, 29, v16
	v_lshlrev_b64 v[82:83], v82, v[2:3]
	s_delay_alu instid0(VALU_DEP_1)
	v_and_b32_e32 v2, 7, v82
; %bb.701:                              ;   in Loop: Header=BB333_516 Depth=1
	s_or_b32 exec_lo, exec_lo, s16
	v_lshlrev_b32_e32 v81, 8, v81
	v_lshl_add_u32 v16, v16, 10, 0x2000
	s_delay_alu instid0(VALU_DEP_1) | instskip(NEXT) | instid1(VALU_DEP_1)
	v_and_or_b32 v16, 0x8000, v81, v16
	v_lshl_or_b32 v2, v2, 7, v16
	s_delay_alu instid0(VALU_DEP_1)
	v_cvt_f32_f16_e32 v16, v2
.LBB333_702:                            ;   in Loop: Header=BB333_516 Depth=1
	s_or_b32 exec_lo, exec_lo, s15
.LBB333_703:                            ;   in Loop: Header=BB333_516 Depth=1
	s_delay_alu instid0(SALU_CYCLE_1)
	s_or_b32 exec_lo, exec_lo, s13
.LBB333_704:                            ;   in Loop: Header=BB333_516 Depth=1
	s_delay_alu instid0(SALU_CYCLE_1) | instskip(NEXT) | instid1(SALU_CYCLE_1)
	s_or_b32 exec_lo, exec_lo, s12
	s_mov_b32 s12, exec_lo
	v_cmpx_lt_u64_e64 s[8:9], v[13:14]
	s_cbranch_execz .LBB333_712
; %bb.705:                              ;   in Loop: Header=BB333_516 Depth=1
	v_lshrrev_b32_e32 v13, 24, v14
	v_bfrev_b32_e32 v80, 1
	s_mov_b32 s13, exec_lo
	s_delay_alu instid0(VALU_DEP_2)
	v_cmpx_ne_u32_e32 0x80, v13
	s_cbranch_execz .LBB333_711
; %bb.706:                              ;   in Loop: Header=BB333_516 Depth=1
	v_and_b32_e32 v81, 0x7f, v13
	v_mov_b32_e32 v80, 0x7fc02000
	s_mov_b32 s15, exec_lo
	s_delay_alu instid0(VALU_DEP_2)
	v_cmpx_ne_u32_e32 0x7f, v81
	s_cbranch_execz .LBB333_710
; %bb.707:                              ;   in Loop: Header=BB333_516 Depth=1
	v_and_b32_e32 v2, 7, v13
	v_lshrrev_b32_e32 v14, 3, v81
	s_mov_b32 s16, exec_lo
	v_cmpx_gt_u32_e32 8, v81
; %bb.708:                              ;   in Loop: Header=BB333_516 Depth=1
	s_delay_alu instid0(VALU_DEP_3) | instskip(NEXT) | instid1(VALU_DEP_1)
	v_clz_i32_u32_e32 v14, v2
	v_min_u32_e32 v14, 32, v14
	s_delay_alu instid0(VALU_DEP_1) | instskip(SKIP_1) | instid1(VALU_DEP_2)
	v_subrev_nc_u32_e32 v80, 28, v14
	v_sub_nc_u32_e32 v14, 29, v14
	v_lshlrev_b64 v[80:81], v80, v[2:3]
	s_delay_alu instid0(VALU_DEP_1)
	v_and_b32_e32 v2, 7, v80
; %bb.709:                              ;   in Loop: Header=BB333_516 Depth=1
	s_or_b32 exec_lo, exec_lo, s16
	v_lshlrev_b32_e32 v13, 8, v13
	v_lshl_add_u32 v14, v14, 10, 0x2000
	s_delay_alu instid0(VALU_DEP_1) | instskip(NEXT) | instid1(VALU_DEP_1)
	v_and_or_b32 v13, 0x8000, v13, v14
	v_lshl_or_b32 v2, v2, 7, v13
	s_delay_alu instid0(VALU_DEP_1)
	v_cvt_f32_f16_e32 v80, v2
.LBB333_710:                            ;   in Loop: Header=BB333_516 Depth=1
	s_or_b32 exec_lo, exec_lo, s15
.LBB333_711:                            ;   in Loop: Header=BB333_516 Depth=1
	s_delay_alu instid0(SALU_CYCLE_1)
	s_or_b32 exec_lo, exec_lo, s13
.LBB333_712:                            ;   in Loop: Header=BB333_516 Depth=1
	s_delay_alu instid0(SALU_CYCLE_1)
	s_or_b32 exec_lo, exec_lo, s12
	s_waitcnt vmcnt(0) lgkmcnt(0)
	v_fma_mixlo_f16 v14, v66, v68, 0
	v_fma_mixlo_f16 v2, v66, v70, 0
	;; [unrolled: 1-line block ×5, first 2 shown]
	v_lshlrev_b32_e32 v68, 16, v14
	v_fma_mixlo_f16 v15, v66, v15, 0
	v_fma_mixlo_f16 v70, v66, v80, 0
	;; [unrolled: 1-line block ×3, first 2 shown]
	v_lshlrev_b32_e32 v2, 16, v2
	v_and_b32_e32 v13, 0xffff, v13
	v_and_b32_e32 v16, 0xffff, v67
	v_lshlrev_b32_e32 v66, 16, v69
	v_and_b32_e32 v67, 0xffff, v15
	v_lshlrev_b32_e32 v69, 16, v70
	v_and_b32_e32 v70, 0xffff, v14
	v_or_b32_e32 v15, v2, v13
	v_or_b32_e32 v16, v68, v16
	;; [unrolled: 1-line block ×3, first 2 shown]
	s_delay_alu instid0(VALU_DEP_4)
	v_or_b32_e32 v13, v69, v70
	s_and_saveexec_b32 s12, s0
	s_cbranch_execz .LBB333_714
; %bb.713:                              ;   in Loop: Header=BB333_516 Depth=1
	v_add_nc_u32_e32 v66, 1, v17
	v_lshrrev_b32_e32 v67, 16, v16
	v_or_b32_e32 v68, 3, v17
	v_lshrrev_b32_e32 v69, 16, v15
	v_lshrrev_b32_e32 v70, 16, v2
	v_cmp_lt_i32_e64 s1, v66, v49
	v_lshrrev_b32_e32 v13, 16, v13
	v_or_b32_e32 v71, 6, v17
	s_delay_alu instid0(VALU_DEP_3) | instskip(SKIP_2) | instid1(VALU_DEP_2)
	v_cndmask_b32_e64 v66, 0, v67, s1
	v_cmp_lt_i32_e64 s1, v17, v32
	v_or_b32_e32 v67, 2, v17
	v_cndmask_b32_e64 v16, 0, v16, s1
	v_cmp_lt_i32_e64 s1, v68, v49
	s_delay_alu instid0(VALU_DEP_2) | instskip(NEXT) | instid1(VALU_DEP_2)
	v_perm_b32 v16, v66, v16, 0x5040100
	v_cndmask_b32_e64 v68, 0, v69, s1
	v_or_b32_e32 v69, 5, v17
	v_cmp_lt_i32_e64 s1, v67, v32
	v_or_b32_e32 v67, 4, v17
	s_delay_alu instid0(VALU_DEP_2) | instskip(NEXT) | instid1(VALU_DEP_4)
	v_cndmask_b32_e64 v15, 0, v15, s1
	v_cmp_lt_i32_e64 s1, v69, v49
	s_delay_alu instid0(VALU_DEP_2) | instskip(NEXT) | instid1(VALU_DEP_2)
	v_perm_b32 v15, v68, v15, 0x5040100
	v_cndmask_b32_e64 v69, 0, v70, s1
	v_or_b32_e32 v70, 7, v17
	v_cmp_lt_i32_e64 s1, v67, v32
	s_delay_alu instid0(VALU_DEP_1) | instskip(NEXT) | instid1(VALU_DEP_3)
	v_cndmask_b32_e64 v2, 0, v2, s1
	v_cmp_lt_i32_e64 s1, v70, v49
	s_delay_alu instid0(VALU_DEP_2) | instskip(NEXT) | instid1(VALU_DEP_2)
	v_perm_b32 v2, v69, v2, 0x5040100
	v_cndmask_b32_e64 v13, 0, v13, s1
	v_cmp_lt_i32_e64 s1, v71, v32
	s_delay_alu instid0(VALU_DEP_1) | instskip(NEXT) | instid1(VALU_DEP_1)
	v_cndmask_b32_e64 v14, 0, v14, s1
	v_perm_b32 v13, v13, v14, 0x5040100
.LBB333_714:                            ;   in Loop: Header=BB333_516 Depth=1
	s_or_b32 exec_lo, exec_lo, s12
	;;#ASMSTART
	v_pk_mul_f16 v14, v55, v16;

	;;#ASMEND
	;;#ASMSTART
	v_pk_mul_f16 v15, v54, v15;

	;;#ASMEND
	;; [unrolled: 4-line block ×4, first 2 shown]
	;;#ASMSTART
	v_pk_add_f16 v14, v14, v15;

	;;#ASMEND
	;;#ASMSTART
	v_pk_add_f16 v2, v14, v2;

	;;#ASMEND
	;; [unrolled: 4-line block ×3, first 2 shown]
	v_dual_mov_b32 v70, 0 :: v_dual_and_b32 v13, 0xffff, v2
	v_lshrrev_b32_e32 v2, 16, v2
	;;#ASMSTART
	v_cvt_f32_f16 v66, v13;
	;;#ASMEND
	;;#ASMSTART
	v_cvt_f32_f16 v67, v2;
	;;#ASMEND
	flat_load_b64 v[13:14], v[11:12] offset:768
	flat_load_b32 v68, v[26:27]
	s_mov_b32 s12, exec_lo
	s_waitcnt vmcnt(1) lgkmcnt(1)
	v_dual_mov_b32 v69, 0 :: v_dual_and_b32 v2, 0xff, v13
	s_delay_alu instid0(VALU_DEP_1)
	v_cmpx_ne_u16_e32 0, v2
	s_cbranch_execz .LBB333_722
; %bb.715:                              ;   in Loop: Header=BB333_516 Depth=1
	v_bfrev_b32_e32 v69, 1
	s_mov_b32 s13, exec_lo
	v_cmpx_ne_u16_e32 0x80, v2
	s_cbranch_execz .LBB333_721
; %bb.716:                              ;   in Loop: Header=BB333_516 Depth=1
	v_and_b32_e32 v15, 0x7f, v13
	v_mov_b32_e32 v69, 0x7fc02000
	s_mov_b32 s15, exec_lo
	s_delay_alu instid0(VALU_DEP_2)
	v_cmpx_ne_u32_e32 0x7f, v15
	s_cbranch_execz .LBB333_720
; %bb.717:                              ;   in Loop: Header=BB333_516 Depth=1
	v_lshrrev_b32_e32 v2, 3, v15
	v_cmp_gt_u32_e64 s1, 8, v15
	v_dual_mov_b32 v16, v14 :: v_dual_mov_b32 v15, v13
	s_delay_alu instid0(VALU_DEP_2)
	s_and_saveexec_b32 s16, s1
; %bb.718:                              ;   in Loop: Header=BB333_516 Depth=1
	v_and_b32_e32 v2, 7, v13
	s_delay_alu instid0(VALU_DEP_1) | instskip(NEXT) | instid1(VALU_DEP_1)
	v_clz_i32_u32_e32 v2, v2
	v_min_u32_e32 v2, 32, v2
	s_delay_alu instid0(VALU_DEP_1) | instskip(SKIP_1) | instid1(VALU_DEP_2)
	v_subrev_nc_u32_e32 v15, 28, v2
	v_sub_nc_u32_e32 v2, 29, v2
	v_lshlrev_b64 v[15:16], v15, v[13:14]
; %bb.719:                              ;   in Loop: Header=BB333_516 Depth=1
	s_or_b32 exec_lo, exec_lo, s16
	v_lshlrev_b32_e32 v16, 8, v13
	s_delay_alu instid0(VALU_DEP_3) | instskip(NEXT) | instid1(VALU_DEP_3)
	v_lshl_add_u32 v2, v2, 10, 0x2000
	v_lshlrev_b32_e32 v15, 7, v15
	s_delay_alu instid0(VALU_DEP_2) | instskip(NEXT) | instid1(VALU_DEP_1)
	v_and_or_b32 v2, 0x8000, v16, v2
	v_and_or_b32 v2, 0x380, v15, v2
	s_delay_alu instid0(VALU_DEP_1)
	v_cvt_f32_f16_e32 v69, v2
.LBB333_720:                            ;   in Loop: Header=BB333_516 Depth=1
	s_or_b32 exec_lo, exec_lo, s15
.LBB333_721:                            ;   in Loop: Header=BB333_516 Depth=1
	s_delay_alu instid0(SALU_CYCLE_1)
	s_or_b32 exec_lo, exec_lo, s13
.LBB333_722:                            ;   in Loop: Header=BB333_516 Depth=1
	s_delay_alu instid0(SALU_CYCLE_1) | instskip(SKIP_2) | instid1(VALU_DEP_1)
	s_or_b32 exec_lo, exec_lo, s12
	v_lshrrev_b16 v2, 8, v13
	s_mov_b32 s12, exec_lo
	v_cmpx_ne_u16_e32 0, v2
	s_cbranch_execz .LBB333_730
; %bb.723:                              ;   in Loop: Header=BB333_516 Depth=1
	v_bfrev_b32_e32 v70, 1
	s_mov_b32 s13, exec_lo
	v_cmpx_ne_u16_e32 0x80, v2
	s_cbranch_execz .LBB333_729
; %bb.724:                              ;   in Loop: Header=BB333_516 Depth=1
	v_and_b32_e32 v15, 0xffff, v2
	v_mov_b32_e32 v70, 0x7fc02000
	s_mov_b32 s15, exec_lo
	s_delay_alu instid0(VALU_DEP_2) | instskip(NEXT) | instid1(VALU_DEP_1)
	v_and_b32_e32 v71, 0x7f, v15
	v_cmpx_ne_u32_e32 0x7f, v71
	s_cbranch_execz .LBB333_728
; %bb.725:                              ;   in Loop: Header=BB333_516 Depth=1
	v_and_b32_e32 v2, 7, v15
	v_lshrrev_b32_e32 v16, 3, v71
	s_mov_b32 s16, exec_lo
	v_cmpx_gt_u32_e32 8, v71
; %bb.726:                              ;   in Loop: Header=BB333_516 Depth=1
	s_delay_alu instid0(VALU_DEP_3) | instskip(NEXT) | instid1(VALU_DEP_1)
	v_clz_i32_u32_e32 v16, v2
	v_min_u32_e32 v16, 32, v16
	s_delay_alu instid0(VALU_DEP_1) | instskip(SKIP_1) | instid1(VALU_DEP_2)
	v_subrev_nc_u32_e32 v70, 28, v16
	v_sub_nc_u32_e32 v16, 29, v16
	v_lshlrev_b64 v[70:71], v70, v[2:3]
	s_delay_alu instid0(VALU_DEP_1)
	v_and_b32_e32 v2, 7, v70
; %bb.727:                              ;   in Loop: Header=BB333_516 Depth=1
	s_or_b32 exec_lo, exec_lo, s16
	v_lshlrev_b32_e32 v15, 8, v15
	v_lshl_add_u32 v16, v16, 10, 0x2000
	s_delay_alu instid0(VALU_DEP_1) | instskip(NEXT) | instid1(VALU_DEP_1)
	v_and_or_b32 v15, 0x8000, v15, v16
	v_lshl_or_b32 v2, v2, 7, v15
	s_delay_alu instid0(VALU_DEP_1)
	v_cvt_f32_f16_e32 v70, v2
.LBB333_728:                            ;   in Loop: Header=BB333_516 Depth=1
	s_or_b32 exec_lo, exec_lo, s15
.LBB333_729:                            ;   in Loop: Header=BB333_516 Depth=1
	s_delay_alu instid0(SALU_CYCLE_1)
	s_or_b32 exec_lo, exec_lo, s13
.LBB333_730:                            ;   in Loop: Header=BB333_516 Depth=1
	s_delay_alu instid0(SALU_CYCLE_1) | instskip(SKIP_3) | instid1(VALU_DEP_2)
	s_or_b32 exec_lo, exec_lo, s12
	v_lshrrev_b32_e32 v15, 16, v13
	v_mov_b32_e32 v80, 0
	s_mov_b32 s12, exec_lo
	v_dual_mov_b32 v71, 0 :: v_dual_and_b32 v2, 0xff, v15
	s_delay_alu instid0(VALU_DEP_1)
	v_cmpx_ne_u16_e32 0, v2
	s_cbranch_execz .LBB333_738
; %bb.731:                              ;   in Loop: Header=BB333_516 Depth=1
	v_bfrev_b32_e32 v71, 1
	s_mov_b32 s13, exec_lo
	v_cmpx_ne_u16_e32 0x80, v2
	s_cbranch_execz .LBB333_737
; %bb.732:                              ;   in Loop: Header=BB333_516 Depth=1
	v_bfe_u32 v81, v13, 16, 7
	v_mov_b32_e32 v71, 0x7fc02000
	s_mov_b32 s15, exec_lo
	s_delay_alu instid0(VALU_DEP_2)
	v_cmpx_ne_u32_e32 0x7f, v81
	s_cbranch_execz .LBB333_736
; %bb.733:                              ;   in Loop: Header=BB333_516 Depth=1
	v_and_b32_e32 v2, 7, v15
	v_lshrrev_b32_e32 v16, 3, v81
	s_mov_b32 s16, exec_lo
	v_cmpx_gt_u32_e32 8, v81
; %bb.734:                              ;   in Loop: Header=BB333_516 Depth=1
	s_delay_alu instid0(VALU_DEP_3) | instskip(NEXT) | instid1(VALU_DEP_1)
	v_clz_i32_u32_e32 v16, v2
	v_min_u32_e32 v16, 32, v16
	s_delay_alu instid0(VALU_DEP_1) | instskip(SKIP_1) | instid1(VALU_DEP_2)
	v_subrev_nc_u32_e32 v71, 28, v16
	v_sub_nc_u32_e32 v16, 29, v16
	v_lshlrev_b64 v[81:82], v71, v[2:3]
	s_delay_alu instid0(VALU_DEP_1)
	v_and_b32_e32 v2, 7, v81
; %bb.735:                              ;   in Loop: Header=BB333_516 Depth=1
	s_or_b32 exec_lo, exec_lo, s16
	v_lshlrev_b32_e32 v15, 8, v15
	v_lshl_add_u32 v16, v16, 10, 0x2000
	s_delay_alu instid0(VALU_DEP_1) | instskip(NEXT) | instid1(VALU_DEP_1)
	v_and_or_b32 v15, 0x8000, v15, v16
	v_lshl_or_b32 v2, v2, 7, v15
	s_delay_alu instid0(VALU_DEP_1)
	v_cvt_f32_f16_e32 v71, v2
.LBB333_736:                            ;   in Loop: Header=BB333_516 Depth=1
	s_or_b32 exec_lo, exec_lo, s15
.LBB333_737:                            ;   in Loop: Header=BB333_516 Depth=1
	s_delay_alu instid0(SALU_CYCLE_1)
	s_or_b32 exec_lo, exec_lo, s13
.LBB333_738:                            ;   in Loop: Header=BB333_516 Depth=1
	s_delay_alu instid0(SALU_CYCLE_1) | instskip(NEXT) | instid1(SALU_CYCLE_1)
	s_or_b32 exec_lo, exec_lo, s12
	s_mov_b32 s12, exec_lo
	v_cmpx_lt_u32_e32 0xffffff, v13
	s_cbranch_execz .LBB333_746
; %bb.739:                              ;   in Loop: Header=BB333_516 Depth=1
	v_lshrrev_b32_e32 v15, 24, v13
	v_bfrev_b32_e32 v80, 1
	s_mov_b32 s13, exec_lo
	s_delay_alu instid0(VALU_DEP_2)
	v_cmpx_ne_u32_e32 0x80, v15
	s_cbranch_execz .LBB333_745
; %bb.740:                              ;   in Loop: Header=BB333_516 Depth=1
	v_and_b32_e32 v81, 0x7f, v15
	v_mov_b32_e32 v80, 0x7fc02000
	s_mov_b32 s15, exec_lo
	s_delay_alu instid0(VALU_DEP_2)
	v_cmpx_ne_u32_e32 0x7f, v81
	s_cbranch_execz .LBB333_744
; %bb.741:                              ;   in Loop: Header=BB333_516 Depth=1
	v_and_b32_e32 v2, 7, v15
	v_lshrrev_b32_e32 v16, 3, v81
	s_mov_b32 s16, exec_lo
	v_cmpx_gt_u32_e32 8, v81
; %bb.742:                              ;   in Loop: Header=BB333_516 Depth=1
	s_delay_alu instid0(VALU_DEP_3) | instskip(NEXT) | instid1(VALU_DEP_1)
	v_clz_i32_u32_e32 v16, v2
	v_min_u32_e32 v16, 32, v16
	s_delay_alu instid0(VALU_DEP_1) | instskip(SKIP_1) | instid1(VALU_DEP_2)
	v_subrev_nc_u32_e32 v80, 28, v16
	v_sub_nc_u32_e32 v16, 29, v16
	v_lshlrev_b64 v[80:81], v80, v[2:3]
	s_delay_alu instid0(VALU_DEP_1)
	v_and_b32_e32 v2, 7, v80
; %bb.743:                              ;   in Loop: Header=BB333_516 Depth=1
	s_or_b32 exec_lo, exec_lo, s16
	v_lshlrev_b32_e32 v15, 8, v15
	v_lshl_add_u32 v16, v16, 10, 0x2000
	s_delay_alu instid0(VALU_DEP_1) | instskip(NEXT) | instid1(VALU_DEP_1)
	v_and_or_b32 v15, 0x8000, v15, v16
	v_lshl_or_b32 v2, v2, 7, v15
	s_delay_alu instid0(VALU_DEP_1)
	v_cvt_f32_f16_e32 v80, v2
.LBB333_744:                            ;   in Loop: Header=BB333_516 Depth=1
	s_or_b32 exec_lo, exec_lo, s15
.LBB333_745:                            ;   in Loop: Header=BB333_516 Depth=1
	s_delay_alu instid0(SALU_CYCLE_1)
	s_or_b32 exec_lo, exec_lo, s13
.LBB333_746:                            ;   in Loop: Header=BB333_516 Depth=1
	s_delay_alu instid0(SALU_CYCLE_1) | instskip(SKIP_3) | instid1(VALU_DEP_2)
	s_or_b32 exec_lo, exec_lo, s12
	v_dual_mov_b32 v81, 0 :: v_dual_and_b32 v16, 0xff, v14
	v_dual_mov_b32 v2, v14 :: v_dual_mov_b32 v15, 0
	s_mov_b32 s12, exec_lo
	v_cmpx_ne_u16_e32 0, v16
	s_cbranch_execz .LBB333_754
; %bb.747:                              ;   in Loop: Header=BB333_516 Depth=1
	v_bfrev_b32_e32 v15, 1
	s_mov_b32 s13, exec_lo
	v_cmpx_ne_u16_e32 0x80, v16
	s_cbranch_execz .LBB333_753
; %bb.748:                              ;   in Loop: Header=BB333_516 Depth=1
	v_and_b32_e32 v16, 0x7f, v14
	v_mov_b32_e32 v15, 0x7fc02000
	s_mov_b32 s15, exec_lo
	s_delay_alu instid0(VALU_DEP_2)
	v_cmpx_ne_u32_e32 0x7f, v16
	s_cbranch_execz .LBB333_752
; %bb.749:                              ;   in Loop: Header=BB333_516 Depth=1
	v_lshrrev_b32_e32 v82, 3, v16
	v_cmp_gt_u32_e64 s1, 8, v16
	v_dual_mov_b32 v16, v3 :: v_dual_mov_b32 v15, v2
	s_delay_alu instid0(VALU_DEP_2)
	s_and_saveexec_b32 s16, s1
; %bb.750:                              ;   in Loop: Header=BB333_516 Depth=1
	v_and_b32_e32 v15, 7, v14
	s_delay_alu instid0(VALU_DEP_1) | instskip(NEXT) | instid1(VALU_DEP_1)
	v_clz_i32_u32_e32 v15, v15
	v_min_u32_e32 v82, 32, v15
	s_delay_alu instid0(VALU_DEP_1) | instskip(SKIP_1) | instid1(VALU_DEP_2)
	v_subrev_nc_u32_e32 v15, 28, v82
	v_sub_nc_u32_e32 v82, 29, v82
	v_lshlrev_b64 v[15:16], v15, v[2:3]
; %bb.751:                              ;   in Loop: Header=BB333_516 Depth=1
	s_or_b32 exec_lo, exec_lo, s16
	v_lshlrev_b32_e32 v16, 8, v14
	s_delay_alu instid0(VALU_DEP_3) | instskip(NEXT) | instid1(VALU_DEP_3)
	v_lshl_add_u32 v82, v82, 10, 0x2000
	v_lshlrev_b32_e32 v15, 7, v15
	s_delay_alu instid0(VALU_DEP_2) | instskip(NEXT) | instid1(VALU_DEP_1)
	v_and_or_b32 v16, 0x8000, v16, v82
	v_and_or_b32 v15, 0x380, v15, v16
	s_delay_alu instid0(VALU_DEP_1)
	v_cvt_f32_f16_e32 v15, v15
.LBB333_752:                            ;   in Loop: Header=BB333_516 Depth=1
	s_or_b32 exec_lo, exec_lo, s15
.LBB333_753:                            ;   in Loop: Header=BB333_516 Depth=1
	s_delay_alu instid0(SALU_CYCLE_1)
	s_or_b32 exec_lo, exec_lo, s13
.LBB333_754:                            ;   in Loop: Header=BB333_516 Depth=1
	s_delay_alu instid0(SALU_CYCLE_1) | instskip(SKIP_2) | instid1(VALU_DEP_1)
	s_or_b32 exec_lo, exec_lo, s12
	v_lshrrev_b16 v2, 8, v2
	s_mov_b32 s12, exec_lo
	v_cmpx_ne_u16_e32 0, v2
	s_cbranch_execz .LBB333_762
; %bb.755:                              ;   in Loop: Header=BB333_516 Depth=1
	v_bfrev_b32_e32 v81, 1
	s_mov_b32 s13, exec_lo
	v_cmpx_ne_u16_e32 0x80, v2
	s_cbranch_execz .LBB333_761
; %bb.756:                              ;   in Loop: Header=BB333_516 Depth=1
	v_and_b32_e32 v16, 0xffff, v2
	v_mov_b32_e32 v81, 0x7fc02000
	s_mov_b32 s15, exec_lo
	s_delay_alu instid0(VALU_DEP_2) | instskip(NEXT) | instid1(VALU_DEP_1)
	v_and_b32_e32 v82, 0x7f, v16
	v_cmpx_ne_u32_e32 0x7f, v82
	s_cbranch_execz .LBB333_760
; %bb.757:                              ;   in Loop: Header=BB333_516 Depth=1
	v_and_b32_e32 v2, 7, v16
	v_lshrrev_b32_e32 v81, 3, v82
	s_mov_b32 s16, exec_lo
	v_cmpx_gt_u32_e32 8, v82
; %bb.758:                              ;   in Loop: Header=BB333_516 Depth=1
	s_delay_alu instid0(VALU_DEP_3) | instskip(NEXT) | instid1(VALU_DEP_1)
	v_clz_i32_u32_e32 v81, v2
	v_min_u32_e32 v81, 32, v81
	s_delay_alu instid0(VALU_DEP_1) | instskip(SKIP_1) | instid1(VALU_DEP_2)
	v_subrev_nc_u32_e32 v82, 28, v81
	v_sub_nc_u32_e32 v81, 29, v81
	v_lshlrev_b64 v[82:83], v82, v[2:3]
	s_delay_alu instid0(VALU_DEP_1)
	v_and_b32_e32 v2, 7, v82
; %bb.759:                              ;   in Loop: Header=BB333_516 Depth=1
	s_or_b32 exec_lo, exec_lo, s16
	v_lshlrev_b32_e32 v16, 8, v16
	v_lshl_add_u32 v81, v81, 10, 0x2000
	s_delay_alu instid0(VALU_DEP_1) | instskip(NEXT) | instid1(VALU_DEP_1)
	v_and_or_b32 v16, 0x8000, v16, v81
	v_lshl_or_b32 v2, v2, 7, v16
	s_delay_alu instid0(VALU_DEP_1)
	v_cvt_f32_f16_e32 v81, v2
.LBB333_760:                            ;   in Loop: Header=BB333_516 Depth=1
	s_or_b32 exec_lo, exec_lo, s15
.LBB333_761:                            ;   in Loop: Header=BB333_516 Depth=1
	s_delay_alu instid0(SALU_CYCLE_1)
	s_or_b32 exec_lo, exec_lo, s13
.LBB333_762:                            ;   in Loop: Header=BB333_516 Depth=1
	s_delay_alu instid0(SALU_CYCLE_1) | instskip(SKIP_4) | instid1(VALU_DEP_3)
	s_or_b32 exec_lo, exec_lo, s12
	v_lshrrev_b32_e32 v83, 16, v14
	v_mov_b32_e32 v82, 0
	v_mov_b32_e32 v16, 0
	s_mov_b32 s12, exec_lo
	v_and_b32_e32 v2, 0xff, v83
	s_delay_alu instid0(VALU_DEP_1)
	v_cmpx_ne_u16_e32 0, v2
	s_cbranch_execz .LBB333_770
; %bb.763:                              ;   in Loop: Header=BB333_516 Depth=1
	v_bfrev_b32_e32 v16, 1
	s_mov_b32 s13, exec_lo
	v_cmpx_ne_u16_e32 0x80, v2
	s_cbranch_execz .LBB333_769
; %bb.764:                              ;   in Loop: Header=BB333_516 Depth=1
	v_bfe_u32 v84, v14, 16, 7
	v_mov_b32_e32 v16, 0x7fc02000
	s_mov_b32 s15, exec_lo
	s_delay_alu instid0(VALU_DEP_2)
	v_cmpx_ne_u32_e32 0x7f, v84
	s_cbranch_execz .LBB333_768
; %bb.765:                              ;   in Loop: Header=BB333_516 Depth=1
	v_and_b32_e32 v2, 7, v83
	v_lshrrev_b32_e32 v16, 3, v84
	s_mov_b32 s16, exec_lo
	v_cmpx_gt_u32_e32 8, v84
; %bb.766:                              ;   in Loop: Header=BB333_516 Depth=1
	s_delay_alu instid0(VALU_DEP_3) | instskip(NEXT) | instid1(VALU_DEP_1)
	v_clz_i32_u32_e32 v16, v2
	v_min_u32_e32 v16, 32, v16
	s_delay_alu instid0(VALU_DEP_1) | instskip(SKIP_1) | instid1(VALU_DEP_2)
	v_subrev_nc_u32_e32 v84, 28, v16
	v_sub_nc_u32_e32 v16, 29, v16
	v_lshlrev_b64 v[84:85], v84, v[2:3]
	s_delay_alu instid0(VALU_DEP_1)
	v_and_b32_e32 v2, 7, v84
; %bb.767:                              ;   in Loop: Header=BB333_516 Depth=1
	s_or_b32 exec_lo, exec_lo, s16
	v_lshlrev_b32_e32 v83, 8, v83
	v_lshl_add_u32 v16, v16, 10, 0x2000
	s_delay_alu instid0(VALU_DEP_1) | instskip(NEXT) | instid1(VALU_DEP_1)
	v_and_or_b32 v16, 0x8000, v83, v16
	v_lshl_or_b32 v2, v2, 7, v16
	s_delay_alu instid0(VALU_DEP_1)
	v_cvt_f32_f16_e32 v16, v2
.LBB333_768:                            ;   in Loop: Header=BB333_516 Depth=1
	s_or_b32 exec_lo, exec_lo, s15
.LBB333_769:                            ;   in Loop: Header=BB333_516 Depth=1
	s_delay_alu instid0(SALU_CYCLE_1)
	s_or_b32 exec_lo, exec_lo, s13
.LBB333_770:                            ;   in Loop: Header=BB333_516 Depth=1
	s_delay_alu instid0(SALU_CYCLE_1) | instskip(NEXT) | instid1(SALU_CYCLE_1)
	s_or_b32 exec_lo, exec_lo, s12
	s_mov_b32 s12, exec_lo
	v_cmpx_lt_u64_e64 s[8:9], v[13:14]
	s_cbranch_execz .LBB333_778
; %bb.771:                              ;   in Loop: Header=BB333_516 Depth=1
	v_lshrrev_b32_e32 v13, 24, v14
	v_bfrev_b32_e32 v82, 1
	s_mov_b32 s13, exec_lo
	s_delay_alu instid0(VALU_DEP_2)
	v_cmpx_ne_u32_e32 0x80, v13
	s_cbranch_execz .LBB333_777
; %bb.772:                              ;   in Loop: Header=BB333_516 Depth=1
	v_and_b32_e32 v83, 0x7f, v13
	v_mov_b32_e32 v82, 0x7fc02000
	s_mov_b32 s15, exec_lo
	s_delay_alu instid0(VALU_DEP_2)
	v_cmpx_ne_u32_e32 0x7f, v83
	s_cbranch_execz .LBB333_776
; %bb.773:                              ;   in Loop: Header=BB333_516 Depth=1
	v_and_b32_e32 v2, 7, v13
	v_lshrrev_b32_e32 v14, 3, v83
	s_mov_b32 s16, exec_lo
	v_cmpx_gt_u32_e32 8, v83
; %bb.774:                              ;   in Loop: Header=BB333_516 Depth=1
	s_delay_alu instid0(VALU_DEP_3) | instskip(NEXT) | instid1(VALU_DEP_1)
	v_clz_i32_u32_e32 v14, v2
	v_min_u32_e32 v14, 32, v14
	s_delay_alu instid0(VALU_DEP_1) | instskip(SKIP_1) | instid1(VALU_DEP_2)
	v_subrev_nc_u32_e32 v82, 28, v14
	v_sub_nc_u32_e32 v14, 29, v14
	v_lshlrev_b64 v[82:83], v82, v[2:3]
	s_delay_alu instid0(VALU_DEP_1)
	v_and_b32_e32 v2, 7, v82
; %bb.775:                              ;   in Loop: Header=BB333_516 Depth=1
	s_or_b32 exec_lo, exec_lo, s16
	v_lshlrev_b32_e32 v13, 8, v13
	v_lshl_add_u32 v14, v14, 10, 0x2000
	s_delay_alu instid0(VALU_DEP_1) | instskip(NEXT) | instid1(VALU_DEP_1)
	v_and_or_b32 v13, 0x8000, v13, v14
	v_lshl_or_b32 v2, v2, 7, v13
	s_delay_alu instid0(VALU_DEP_1)
	v_cvt_f32_f16_e32 v82, v2
.LBB333_776:                            ;   in Loop: Header=BB333_516 Depth=1
	s_or_b32 exec_lo, exec_lo, s15
.LBB333_777:                            ;   in Loop: Header=BB333_516 Depth=1
	s_delay_alu instid0(SALU_CYCLE_1)
	s_or_b32 exec_lo, exec_lo, s13
.LBB333_778:                            ;   in Loop: Header=BB333_516 Depth=1
	s_delay_alu instid0(SALU_CYCLE_1)
	s_or_b32 exec_lo, exec_lo, s12
	s_waitcnt vmcnt(0) lgkmcnt(0)
	v_fma_mixlo_f16 v14, v68, v70, 0
	v_fma_mixlo_f16 v2, v68, v80, 0
	;; [unrolled: 1-line block ×5, first 2 shown]
	v_lshlrev_b32_e32 v70, 16, v14
	v_fma_mixlo_f16 v15, v68, v15, 0
	v_fma_mixlo_f16 v80, v68, v82, 0
	;; [unrolled: 1-line block ×3, first 2 shown]
	v_lshlrev_b32_e32 v2, 16, v2
	v_and_b32_e32 v13, 0xffff, v13
	v_and_b32_e32 v16, 0xffff, v69
	v_lshlrev_b32_e32 v68, 16, v71
	v_and_b32_e32 v69, 0xffff, v15
	v_lshlrev_b32_e32 v71, 16, v80
	v_and_b32_e32 v80, 0xffff, v14
	v_or_b32_e32 v15, v2, v13
	v_or_b32_e32 v16, v70, v16
	;; [unrolled: 1-line block ×3, first 2 shown]
	s_delay_alu instid0(VALU_DEP_4)
	v_or_b32_e32 v13, v71, v80
	s_and_saveexec_b32 s12, s0
	s_cbranch_execz .LBB333_780
; %bb.779:                              ;   in Loop: Header=BB333_516 Depth=1
	v_add_nc_u32_e32 v68, 1, v17
	v_lshrrev_b32_e32 v69, 16, v16
	v_or_b32_e32 v70, 3, v17
	v_lshrrev_b32_e32 v71, 16, v15
	v_lshrrev_b32_e32 v80, 16, v2
	v_cmp_lt_i32_e64 s1, v68, v49
	v_lshrrev_b32_e32 v13, 16, v13
	v_or_b32_e32 v81, 6, v17
	s_delay_alu instid0(VALU_DEP_3) | instskip(SKIP_2) | instid1(VALU_DEP_2)
	v_cndmask_b32_e64 v68, 0, v69, s1
	v_cmp_lt_i32_e64 s1, v17, v32
	v_or_b32_e32 v69, 2, v17
	v_cndmask_b32_e64 v16, 0, v16, s1
	v_cmp_lt_i32_e64 s1, v70, v49
	s_delay_alu instid0(VALU_DEP_2) | instskip(NEXT) | instid1(VALU_DEP_2)
	v_perm_b32 v16, v68, v16, 0x5040100
	v_cndmask_b32_e64 v70, 0, v71, s1
	v_or_b32_e32 v71, 5, v17
	v_cmp_lt_i32_e64 s1, v69, v32
	v_or_b32_e32 v69, 4, v17
	s_delay_alu instid0(VALU_DEP_2) | instskip(NEXT) | instid1(VALU_DEP_4)
	v_cndmask_b32_e64 v15, 0, v15, s1
	v_cmp_lt_i32_e64 s1, v71, v49
	s_delay_alu instid0(VALU_DEP_2) | instskip(NEXT) | instid1(VALU_DEP_2)
	v_perm_b32 v15, v70, v15, 0x5040100
	v_cndmask_b32_e64 v71, 0, v80, s1
	v_or_b32_e32 v80, 7, v17
	v_cmp_lt_i32_e64 s1, v69, v32
	s_delay_alu instid0(VALU_DEP_1) | instskip(NEXT) | instid1(VALU_DEP_3)
	v_cndmask_b32_e64 v2, 0, v2, s1
	v_cmp_lt_i32_e64 s1, v80, v49
	s_delay_alu instid0(VALU_DEP_2) | instskip(NEXT) | instid1(VALU_DEP_2)
	v_perm_b32 v2, v71, v2, 0x5040100
	v_cndmask_b32_e64 v13, 0, v13, s1
	v_cmp_lt_i32_e64 s1, v81, v32
	s_delay_alu instid0(VALU_DEP_1) | instskip(NEXT) | instid1(VALU_DEP_1)
	v_cndmask_b32_e64 v14, 0, v14, s1
	v_perm_b32 v13, v13, v14, 0x5040100
.LBB333_780:                            ;   in Loop: Header=BB333_516 Depth=1
	s_or_b32 exec_lo, exec_lo, s12
	;;#ASMSTART
	v_pk_mul_f16 v14, v55, v16;

	;;#ASMEND
	;;#ASMSTART
	v_pk_mul_f16 v15, v54, v15;

	;;#ASMEND
	;; [unrolled: 4-line block ×4, first 2 shown]
	;;#ASMSTART
	v_pk_add_f16 v14, v14, v15;

	;;#ASMEND
	;;#ASMSTART
	v_pk_add_f16 v2, v14, v2;

	;;#ASMEND
	;; [unrolled: 4-line block ×3, first 2 shown]
	v_dual_mov_b32 v80, 0 :: v_dual_and_b32 v13, 0xffff, v2
	v_lshrrev_b32_e32 v2, 16, v2
	;;#ASMSTART
	v_cvt_f32_f16 v68, v13;
	;;#ASMEND
	;;#ASMSTART
	v_cvt_f32_f16 v69, v2;
	;;#ASMEND
	flat_load_b64 v[13:14], v[11:12] offset:1024
	flat_load_b32 v70, v[26:27]
	s_mov_b32 s12, exec_lo
	s_waitcnt vmcnt(1) lgkmcnt(1)
	v_dual_mov_b32 v71, 0 :: v_dual_and_b32 v2, 0xff, v13
	s_delay_alu instid0(VALU_DEP_1)
	v_cmpx_ne_u16_e32 0, v2
	s_cbranch_execz .LBB333_788
; %bb.781:                              ;   in Loop: Header=BB333_516 Depth=1
	v_bfrev_b32_e32 v71, 1
	s_mov_b32 s13, exec_lo
	v_cmpx_ne_u16_e32 0x80, v2
	s_cbranch_execz .LBB333_787
; %bb.782:                              ;   in Loop: Header=BB333_516 Depth=1
	v_and_b32_e32 v15, 0x7f, v13
	v_mov_b32_e32 v71, 0x7fc02000
	s_mov_b32 s15, exec_lo
	s_delay_alu instid0(VALU_DEP_2)
	v_cmpx_ne_u32_e32 0x7f, v15
	s_cbranch_execz .LBB333_786
; %bb.783:                              ;   in Loop: Header=BB333_516 Depth=1
	v_lshrrev_b32_e32 v2, 3, v15
	v_cmp_gt_u32_e64 s1, 8, v15
	v_dual_mov_b32 v16, v14 :: v_dual_mov_b32 v15, v13
	s_delay_alu instid0(VALU_DEP_2)
	s_and_saveexec_b32 s16, s1
; %bb.784:                              ;   in Loop: Header=BB333_516 Depth=1
	v_and_b32_e32 v2, 7, v13
	s_delay_alu instid0(VALU_DEP_1) | instskip(NEXT) | instid1(VALU_DEP_1)
	v_clz_i32_u32_e32 v2, v2
	v_min_u32_e32 v2, 32, v2
	s_delay_alu instid0(VALU_DEP_1) | instskip(SKIP_1) | instid1(VALU_DEP_2)
	v_subrev_nc_u32_e32 v15, 28, v2
	v_sub_nc_u32_e32 v2, 29, v2
	v_lshlrev_b64 v[15:16], v15, v[13:14]
; %bb.785:                              ;   in Loop: Header=BB333_516 Depth=1
	s_or_b32 exec_lo, exec_lo, s16
	v_lshlrev_b32_e32 v16, 8, v13
	s_delay_alu instid0(VALU_DEP_3) | instskip(NEXT) | instid1(VALU_DEP_3)
	v_lshl_add_u32 v2, v2, 10, 0x2000
	v_lshlrev_b32_e32 v15, 7, v15
	s_delay_alu instid0(VALU_DEP_2) | instskip(NEXT) | instid1(VALU_DEP_1)
	v_and_or_b32 v2, 0x8000, v16, v2
	v_and_or_b32 v2, 0x380, v15, v2
	s_delay_alu instid0(VALU_DEP_1)
	v_cvt_f32_f16_e32 v71, v2
.LBB333_786:                            ;   in Loop: Header=BB333_516 Depth=1
	s_or_b32 exec_lo, exec_lo, s15
.LBB333_787:                            ;   in Loop: Header=BB333_516 Depth=1
	s_delay_alu instid0(SALU_CYCLE_1)
	s_or_b32 exec_lo, exec_lo, s13
.LBB333_788:                            ;   in Loop: Header=BB333_516 Depth=1
	s_delay_alu instid0(SALU_CYCLE_1) | instskip(SKIP_2) | instid1(VALU_DEP_1)
	s_or_b32 exec_lo, exec_lo, s12
	v_lshrrev_b16 v2, 8, v13
	s_mov_b32 s12, exec_lo
	v_cmpx_ne_u16_e32 0, v2
	s_cbranch_execz .LBB333_796
; %bb.789:                              ;   in Loop: Header=BB333_516 Depth=1
	v_bfrev_b32_e32 v80, 1
	s_mov_b32 s13, exec_lo
	v_cmpx_ne_u16_e32 0x80, v2
	s_cbranch_execz .LBB333_795
; %bb.790:                              ;   in Loop: Header=BB333_516 Depth=1
	v_and_b32_e32 v15, 0xffff, v2
	v_mov_b32_e32 v80, 0x7fc02000
	s_mov_b32 s15, exec_lo
	s_delay_alu instid0(VALU_DEP_2) | instskip(NEXT) | instid1(VALU_DEP_1)
	v_and_b32_e32 v81, 0x7f, v15
	v_cmpx_ne_u32_e32 0x7f, v81
	s_cbranch_execz .LBB333_794
; %bb.791:                              ;   in Loop: Header=BB333_516 Depth=1
	v_and_b32_e32 v2, 7, v15
	v_lshrrev_b32_e32 v16, 3, v81
	s_mov_b32 s16, exec_lo
	v_cmpx_gt_u32_e32 8, v81
; %bb.792:                              ;   in Loop: Header=BB333_516 Depth=1
	s_delay_alu instid0(VALU_DEP_3) | instskip(NEXT) | instid1(VALU_DEP_1)
	v_clz_i32_u32_e32 v16, v2
	v_min_u32_e32 v16, 32, v16
	s_delay_alu instid0(VALU_DEP_1) | instskip(SKIP_1) | instid1(VALU_DEP_2)
	v_subrev_nc_u32_e32 v80, 28, v16
	v_sub_nc_u32_e32 v16, 29, v16
	v_lshlrev_b64 v[80:81], v80, v[2:3]
	s_delay_alu instid0(VALU_DEP_1)
	v_and_b32_e32 v2, 7, v80
; %bb.793:                              ;   in Loop: Header=BB333_516 Depth=1
	s_or_b32 exec_lo, exec_lo, s16
	v_lshlrev_b32_e32 v15, 8, v15
	v_lshl_add_u32 v16, v16, 10, 0x2000
	s_delay_alu instid0(VALU_DEP_1) | instskip(NEXT) | instid1(VALU_DEP_1)
	v_and_or_b32 v15, 0x8000, v15, v16
	v_lshl_or_b32 v2, v2, 7, v15
	s_delay_alu instid0(VALU_DEP_1)
	v_cvt_f32_f16_e32 v80, v2
.LBB333_794:                            ;   in Loop: Header=BB333_516 Depth=1
	s_or_b32 exec_lo, exec_lo, s15
.LBB333_795:                            ;   in Loop: Header=BB333_516 Depth=1
	s_delay_alu instid0(SALU_CYCLE_1)
	s_or_b32 exec_lo, exec_lo, s13
.LBB333_796:                            ;   in Loop: Header=BB333_516 Depth=1
	s_delay_alu instid0(SALU_CYCLE_1) | instskip(SKIP_3) | instid1(VALU_DEP_2)
	s_or_b32 exec_lo, exec_lo, s12
	v_lshrrev_b32_e32 v15, 16, v13
	v_mov_b32_e32 v82, 0
	s_mov_b32 s12, exec_lo
	v_dual_mov_b32 v81, 0 :: v_dual_and_b32 v2, 0xff, v15
	s_delay_alu instid0(VALU_DEP_1)
	v_cmpx_ne_u16_e32 0, v2
	s_cbranch_execz .LBB333_804
; %bb.797:                              ;   in Loop: Header=BB333_516 Depth=1
	v_bfrev_b32_e32 v81, 1
	s_mov_b32 s13, exec_lo
	v_cmpx_ne_u16_e32 0x80, v2
	s_cbranch_execz .LBB333_803
; %bb.798:                              ;   in Loop: Header=BB333_516 Depth=1
	v_bfe_u32 v83, v13, 16, 7
	v_mov_b32_e32 v81, 0x7fc02000
	s_mov_b32 s15, exec_lo
	s_delay_alu instid0(VALU_DEP_2)
	v_cmpx_ne_u32_e32 0x7f, v83
	s_cbranch_execz .LBB333_802
; %bb.799:                              ;   in Loop: Header=BB333_516 Depth=1
	v_and_b32_e32 v2, 7, v15
	v_lshrrev_b32_e32 v16, 3, v83
	s_mov_b32 s16, exec_lo
	v_cmpx_gt_u32_e32 8, v83
; %bb.800:                              ;   in Loop: Header=BB333_516 Depth=1
	s_delay_alu instid0(VALU_DEP_3) | instskip(NEXT) | instid1(VALU_DEP_1)
	v_clz_i32_u32_e32 v16, v2
	v_min_u32_e32 v16, 32, v16
	s_delay_alu instid0(VALU_DEP_1) | instskip(SKIP_1) | instid1(VALU_DEP_2)
	v_subrev_nc_u32_e32 v81, 28, v16
	v_sub_nc_u32_e32 v16, 29, v16
	v_lshlrev_b64 v[83:84], v81, v[2:3]
	s_delay_alu instid0(VALU_DEP_1)
	v_and_b32_e32 v2, 7, v83
; %bb.801:                              ;   in Loop: Header=BB333_516 Depth=1
	s_or_b32 exec_lo, exec_lo, s16
	v_lshlrev_b32_e32 v15, 8, v15
	v_lshl_add_u32 v16, v16, 10, 0x2000
	s_delay_alu instid0(VALU_DEP_1) | instskip(NEXT) | instid1(VALU_DEP_1)
	v_and_or_b32 v15, 0x8000, v15, v16
	v_lshl_or_b32 v2, v2, 7, v15
	s_delay_alu instid0(VALU_DEP_1)
	v_cvt_f32_f16_e32 v81, v2
.LBB333_802:                            ;   in Loop: Header=BB333_516 Depth=1
	s_or_b32 exec_lo, exec_lo, s15
.LBB333_803:                            ;   in Loop: Header=BB333_516 Depth=1
	s_delay_alu instid0(SALU_CYCLE_1)
	s_or_b32 exec_lo, exec_lo, s13
.LBB333_804:                            ;   in Loop: Header=BB333_516 Depth=1
	s_delay_alu instid0(SALU_CYCLE_1) | instskip(NEXT) | instid1(SALU_CYCLE_1)
	s_or_b32 exec_lo, exec_lo, s12
	s_mov_b32 s12, exec_lo
	v_cmpx_lt_u32_e32 0xffffff, v13
	s_cbranch_execz .LBB333_812
; %bb.805:                              ;   in Loop: Header=BB333_516 Depth=1
	v_lshrrev_b32_e32 v15, 24, v13
	v_bfrev_b32_e32 v82, 1
	s_mov_b32 s13, exec_lo
	s_delay_alu instid0(VALU_DEP_2)
	v_cmpx_ne_u32_e32 0x80, v15
	s_cbranch_execz .LBB333_811
; %bb.806:                              ;   in Loop: Header=BB333_516 Depth=1
	v_and_b32_e32 v83, 0x7f, v15
	v_mov_b32_e32 v82, 0x7fc02000
	s_mov_b32 s15, exec_lo
	s_delay_alu instid0(VALU_DEP_2)
	v_cmpx_ne_u32_e32 0x7f, v83
	s_cbranch_execz .LBB333_810
; %bb.807:                              ;   in Loop: Header=BB333_516 Depth=1
	v_and_b32_e32 v2, 7, v15
	v_lshrrev_b32_e32 v16, 3, v83
	s_mov_b32 s16, exec_lo
	v_cmpx_gt_u32_e32 8, v83
; %bb.808:                              ;   in Loop: Header=BB333_516 Depth=1
	s_delay_alu instid0(VALU_DEP_3) | instskip(NEXT) | instid1(VALU_DEP_1)
	v_clz_i32_u32_e32 v16, v2
	v_min_u32_e32 v16, 32, v16
	s_delay_alu instid0(VALU_DEP_1) | instskip(SKIP_1) | instid1(VALU_DEP_2)
	v_subrev_nc_u32_e32 v82, 28, v16
	v_sub_nc_u32_e32 v16, 29, v16
	v_lshlrev_b64 v[82:83], v82, v[2:3]
	s_delay_alu instid0(VALU_DEP_1)
	v_and_b32_e32 v2, 7, v82
; %bb.809:                              ;   in Loop: Header=BB333_516 Depth=1
	s_or_b32 exec_lo, exec_lo, s16
	v_lshlrev_b32_e32 v15, 8, v15
	v_lshl_add_u32 v16, v16, 10, 0x2000
	s_delay_alu instid0(VALU_DEP_1) | instskip(NEXT) | instid1(VALU_DEP_1)
	v_and_or_b32 v15, 0x8000, v15, v16
	v_lshl_or_b32 v2, v2, 7, v15
	s_delay_alu instid0(VALU_DEP_1)
	v_cvt_f32_f16_e32 v82, v2
.LBB333_810:                            ;   in Loop: Header=BB333_516 Depth=1
	s_or_b32 exec_lo, exec_lo, s15
.LBB333_811:                            ;   in Loop: Header=BB333_516 Depth=1
	s_delay_alu instid0(SALU_CYCLE_1)
	s_or_b32 exec_lo, exec_lo, s13
.LBB333_812:                            ;   in Loop: Header=BB333_516 Depth=1
	s_delay_alu instid0(SALU_CYCLE_1) | instskip(SKIP_3) | instid1(VALU_DEP_2)
	s_or_b32 exec_lo, exec_lo, s12
	v_dual_mov_b32 v83, 0 :: v_dual_and_b32 v16, 0xff, v14
	v_dual_mov_b32 v2, v14 :: v_dual_mov_b32 v15, 0
	s_mov_b32 s12, exec_lo
	v_cmpx_ne_u16_e32 0, v16
	s_cbranch_execz .LBB333_820
; %bb.813:                              ;   in Loop: Header=BB333_516 Depth=1
	v_bfrev_b32_e32 v15, 1
	s_mov_b32 s13, exec_lo
	v_cmpx_ne_u16_e32 0x80, v16
	s_cbranch_execz .LBB333_819
; %bb.814:                              ;   in Loop: Header=BB333_516 Depth=1
	v_and_b32_e32 v16, 0x7f, v14
	v_mov_b32_e32 v15, 0x7fc02000
	s_mov_b32 s15, exec_lo
	s_delay_alu instid0(VALU_DEP_2)
	v_cmpx_ne_u32_e32 0x7f, v16
	s_cbranch_execz .LBB333_818
; %bb.815:                              ;   in Loop: Header=BB333_516 Depth=1
	v_lshrrev_b32_e32 v84, 3, v16
	v_cmp_gt_u32_e64 s1, 8, v16
	v_dual_mov_b32 v16, v3 :: v_dual_mov_b32 v15, v2
	s_delay_alu instid0(VALU_DEP_2)
	s_and_saveexec_b32 s16, s1
; %bb.816:                              ;   in Loop: Header=BB333_516 Depth=1
	v_and_b32_e32 v15, 7, v14
	s_delay_alu instid0(VALU_DEP_1) | instskip(NEXT) | instid1(VALU_DEP_1)
	v_clz_i32_u32_e32 v15, v15
	v_min_u32_e32 v84, 32, v15
	s_delay_alu instid0(VALU_DEP_1) | instskip(SKIP_1) | instid1(VALU_DEP_2)
	v_subrev_nc_u32_e32 v15, 28, v84
	v_sub_nc_u32_e32 v84, 29, v84
	v_lshlrev_b64 v[15:16], v15, v[2:3]
; %bb.817:                              ;   in Loop: Header=BB333_516 Depth=1
	s_or_b32 exec_lo, exec_lo, s16
	v_lshlrev_b32_e32 v16, 8, v14
	s_delay_alu instid0(VALU_DEP_3) | instskip(NEXT) | instid1(VALU_DEP_3)
	v_lshl_add_u32 v84, v84, 10, 0x2000
	v_lshlrev_b32_e32 v15, 7, v15
	s_delay_alu instid0(VALU_DEP_2) | instskip(NEXT) | instid1(VALU_DEP_1)
	v_and_or_b32 v16, 0x8000, v16, v84
	v_and_or_b32 v15, 0x380, v15, v16
	s_delay_alu instid0(VALU_DEP_1)
	v_cvt_f32_f16_e32 v15, v15
.LBB333_818:                            ;   in Loop: Header=BB333_516 Depth=1
	s_or_b32 exec_lo, exec_lo, s15
.LBB333_819:                            ;   in Loop: Header=BB333_516 Depth=1
	s_delay_alu instid0(SALU_CYCLE_1)
	s_or_b32 exec_lo, exec_lo, s13
.LBB333_820:                            ;   in Loop: Header=BB333_516 Depth=1
	s_delay_alu instid0(SALU_CYCLE_1) | instskip(SKIP_2) | instid1(VALU_DEP_1)
	s_or_b32 exec_lo, exec_lo, s12
	v_lshrrev_b16 v2, 8, v2
	s_mov_b32 s12, exec_lo
	v_cmpx_ne_u16_e32 0, v2
	s_cbranch_execz .LBB333_828
; %bb.821:                              ;   in Loop: Header=BB333_516 Depth=1
	v_bfrev_b32_e32 v83, 1
	s_mov_b32 s13, exec_lo
	v_cmpx_ne_u16_e32 0x80, v2
	s_cbranch_execz .LBB333_827
; %bb.822:                              ;   in Loop: Header=BB333_516 Depth=1
	v_and_b32_e32 v16, 0xffff, v2
	v_mov_b32_e32 v83, 0x7fc02000
	s_mov_b32 s15, exec_lo
	s_delay_alu instid0(VALU_DEP_2) | instskip(NEXT) | instid1(VALU_DEP_1)
	v_and_b32_e32 v84, 0x7f, v16
	v_cmpx_ne_u32_e32 0x7f, v84
	s_cbranch_execz .LBB333_826
; %bb.823:                              ;   in Loop: Header=BB333_516 Depth=1
	v_and_b32_e32 v2, 7, v16
	v_lshrrev_b32_e32 v83, 3, v84
	s_mov_b32 s16, exec_lo
	v_cmpx_gt_u32_e32 8, v84
; %bb.824:                              ;   in Loop: Header=BB333_516 Depth=1
	s_delay_alu instid0(VALU_DEP_3) | instskip(NEXT) | instid1(VALU_DEP_1)
	v_clz_i32_u32_e32 v83, v2
	v_min_u32_e32 v83, 32, v83
	s_delay_alu instid0(VALU_DEP_1) | instskip(SKIP_1) | instid1(VALU_DEP_2)
	v_subrev_nc_u32_e32 v84, 28, v83
	v_sub_nc_u32_e32 v83, 29, v83
	v_lshlrev_b64 v[84:85], v84, v[2:3]
	s_delay_alu instid0(VALU_DEP_1)
	v_and_b32_e32 v2, 7, v84
; %bb.825:                              ;   in Loop: Header=BB333_516 Depth=1
	s_or_b32 exec_lo, exec_lo, s16
	v_lshlrev_b32_e32 v16, 8, v16
	v_lshl_add_u32 v83, v83, 10, 0x2000
	s_delay_alu instid0(VALU_DEP_1) | instskip(NEXT) | instid1(VALU_DEP_1)
	v_and_or_b32 v16, 0x8000, v16, v83
	v_lshl_or_b32 v2, v2, 7, v16
	s_delay_alu instid0(VALU_DEP_1)
	v_cvt_f32_f16_e32 v83, v2
.LBB333_826:                            ;   in Loop: Header=BB333_516 Depth=1
	s_or_b32 exec_lo, exec_lo, s15
.LBB333_827:                            ;   in Loop: Header=BB333_516 Depth=1
	s_delay_alu instid0(SALU_CYCLE_1)
	s_or_b32 exec_lo, exec_lo, s13
.LBB333_828:                            ;   in Loop: Header=BB333_516 Depth=1
	s_delay_alu instid0(SALU_CYCLE_1) | instskip(SKIP_4) | instid1(VALU_DEP_3)
	s_or_b32 exec_lo, exec_lo, s12
	v_lshrrev_b32_e32 v85, 16, v14
	v_mov_b32_e32 v84, 0
	v_mov_b32_e32 v16, 0
	s_mov_b32 s12, exec_lo
	v_and_b32_e32 v2, 0xff, v85
	s_delay_alu instid0(VALU_DEP_1)
	v_cmpx_ne_u16_e32 0, v2
	s_cbranch_execz .LBB333_836
; %bb.829:                              ;   in Loop: Header=BB333_516 Depth=1
	v_bfrev_b32_e32 v16, 1
	s_mov_b32 s13, exec_lo
	v_cmpx_ne_u16_e32 0x80, v2
	s_cbranch_execz .LBB333_835
; %bb.830:                              ;   in Loop: Header=BB333_516 Depth=1
	v_bfe_u32 v86, v14, 16, 7
	v_mov_b32_e32 v16, 0x7fc02000
	s_mov_b32 s15, exec_lo
	s_delay_alu instid0(VALU_DEP_2)
	v_cmpx_ne_u32_e32 0x7f, v86
	s_cbranch_execz .LBB333_834
; %bb.831:                              ;   in Loop: Header=BB333_516 Depth=1
	v_and_b32_e32 v2, 7, v85
	v_lshrrev_b32_e32 v16, 3, v86
	s_mov_b32 s16, exec_lo
	v_cmpx_gt_u32_e32 8, v86
; %bb.832:                              ;   in Loop: Header=BB333_516 Depth=1
	s_delay_alu instid0(VALU_DEP_3) | instskip(NEXT) | instid1(VALU_DEP_1)
	v_clz_i32_u32_e32 v16, v2
	v_min_u32_e32 v16, 32, v16
	s_delay_alu instid0(VALU_DEP_1) | instskip(SKIP_1) | instid1(VALU_DEP_2)
	v_subrev_nc_u32_e32 v86, 28, v16
	v_sub_nc_u32_e32 v16, 29, v16
	v_lshlrev_b64 v[86:87], v86, v[2:3]
	s_delay_alu instid0(VALU_DEP_1)
	v_and_b32_e32 v2, 7, v86
; %bb.833:                              ;   in Loop: Header=BB333_516 Depth=1
	s_or_b32 exec_lo, exec_lo, s16
	v_lshlrev_b32_e32 v85, 8, v85
	v_lshl_add_u32 v16, v16, 10, 0x2000
	s_delay_alu instid0(VALU_DEP_1) | instskip(NEXT) | instid1(VALU_DEP_1)
	v_and_or_b32 v16, 0x8000, v85, v16
	v_lshl_or_b32 v2, v2, 7, v16
	s_delay_alu instid0(VALU_DEP_1)
	v_cvt_f32_f16_e32 v16, v2
.LBB333_834:                            ;   in Loop: Header=BB333_516 Depth=1
	s_or_b32 exec_lo, exec_lo, s15
.LBB333_835:                            ;   in Loop: Header=BB333_516 Depth=1
	s_delay_alu instid0(SALU_CYCLE_1)
	s_or_b32 exec_lo, exec_lo, s13
.LBB333_836:                            ;   in Loop: Header=BB333_516 Depth=1
	s_delay_alu instid0(SALU_CYCLE_1) | instskip(NEXT) | instid1(SALU_CYCLE_1)
	s_or_b32 exec_lo, exec_lo, s12
	s_mov_b32 s12, exec_lo
	v_cmpx_lt_u64_e64 s[8:9], v[13:14]
	s_cbranch_execz .LBB333_844
; %bb.837:                              ;   in Loop: Header=BB333_516 Depth=1
	v_lshrrev_b32_e32 v13, 24, v14
	v_bfrev_b32_e32 v84, 1
	s_mov_b32 s13, exec_lo
	s_delay_alu instid0(VALU_DEP_2)
	v_cmpx_ne_u32_e32 0x80, v13
	s_cbranch_execz .LBB333_843
; %bb.838:                              ;   in Loop: Header=BB333_516 Depth=1
	v_and_b32_e32 v85, 0x7f, v13
	v_mov_b32_e32 v84, 0x7fc02000
	s_mov_b32 s15, exec_lo
	s_delay_alu instid0(VALU_DEP_2)
	v_cmpx_ne_u32_e32 0x7f, v85
	s_cbranch_execz .LBB333_842
; %bb.839:                              ;   in Loop: Header=BB333_516 Depth=1
	v_and_b32_e32 v2, 7, v13
	v_lshrrev_b32_e32 v14, 3, v85
	s_mov_b32 s16, exec_lo
	v_cmpx_gt_u32_e32 8, v85
; %bb.840:                              ;   in Loop: Header=BB333_516 Depth=1
	s_delay_alu instid0(VALU_DEP_3) | instskip(NEXT) | instid1(VALU_DEP_1)
	v_clz_i32_u32_e32 v14, v2
	v_min_u32_e32 v14, 32, v14
	s_delay_alu instid0(VALU_DEP_1) | instskip(SKIP_1) | instid1(VALU_DEP_2)
	v_subrev_nc_u32_e32 v84, 28, v14
	v_sub_nc_u32_e32 v14, 29, v14
	v_lshlrev_b64 v[84:85], v84, v[2:3]
	s_delay_alu instid0(VALU_DEP_1)
	v_and_b32_e32 v2, 7, v84
; %bb.841:                              ;   in Loop: Header=BB333_516 Depth=1
	s_or_b32 exec_lo, exec_lo, s16
	v_lshlrev_b32_e32 v13, 8, v13
	v_lshl_add_u32 v14, v14, 10, 0x2000
	s_delay_alu instid0(VALU_DEP_1) | instskip(NEXT) | instid1(VALU_DEP_1)
	v_and_or_b32 v13, 0x8000, v13, v14
	v_lshl_or_b32 v2, v2, 7, v13
	s_delay_alu instid0(VALU_DEP_1)
	v_cvt_f32_f16_e32 v84, v2
.LBB333_842:                            ;   in Loop: Header=BB333_516 Depth=1
	s_or_b32 exec_lo, exec_lo, s15
.LBB333_843:                            ;   in Loop: Header=BB333_516 Depth=1
	s_delay_alu instid0(SALU_CYCLE_1)
	s_or_b32 exec_lo, exec_lo, s13
.LBB333_844:                            ;   in Loop: Header=BB333_516 Depth=1
	s_delay_alu instid0(SALU_CYCLE_1)
	s_or_b32 exec_lo, exec_lo, s12
	s_waitcnt vmcnt(0) lgkmcnt(0)
	v_fma_mixlo_f16 v14, v70, v80, 0
	v_fma_mixlo_f16 v2, v70, v82, 0
	;; [unrolled: 1-line block ×5, first 2 shown]
	v_lshlrev_b32_e32 v80, 16, v14
	v_fma_mixlo_f16 v15, v70, v15, 0
	v_fma_mixlo_f16 v82, v70, v84, 0
	v_fma_mixlo_f16 v14, v70, v16, 0
	v_lshlrev_b32_e32 v2, 16, v2
	v_and_b32_e32 v13, 0xffff, v13
	v_and_b32_e32 v16, 0xffff, v71
	v_lshlrev_b32_e32 v70, 16, v81
	v_and_b32_e32 v71, 0xffff, v15
	v_lshlrev_b32_e32 v81, 16, v82
	v_and_b32_e32 v82, 0xffff, v14
	v_or_b32_e32 v15, v2, v13
	v_or_b32_e32 v16, v80, v16
	;; [unrolled: 1-line block ×3, first 2 shown]
	s_delay_alu instid0(VALU_DEP_4)
	v_or_b32_e32 v13, v81, v82
	s_and_saveexec_b32 s12, s0
	s_cbranch_execz .LBB333_846
; %bb.845:                              ;   in Loop: Header=BB333_516 Depth=1
	v_add_nc_u32_e32 v70, 1, v17
	v_lshrrev_b32_e32 v71, 16, v16
	v_or_b32_e32 v80, 3, v17
	v_lshrrev_b32_e32 v81, 16, v15
	v_lshrrev_b32_e32 v82, 16, v2
	v_cmp_lt_i32_e64 s1, v70, v49
	v_lshrrev_b32_e32 v13, 16, v13
	v_or_b32_e32 v83, 6, v17
	s_delay_alu instid0(VALU_DEP_3) | instskip(SKIP_2) | instid1(VALU_DEP_2)
	v_cndmask_b32_e64 v70, 0, v71, s1
	v_cmp_lt_i32_e64 s1, v17, v32
	v_or_b32_e32 v71, 2, v17
	v_cndmask_b32_e64 v16, 0, v16, s1
	v_cmp_lt_i32_e64 s1, v80, v49
	s_delay_alu instid0(VALU_DEP_2) | instskip(NEXT) | instid1(VALU_DEP_2)
	v_perm_b32 v16, v70, v16, 0x5040100
	v_cndmask_b32_e64 v80, 0, v81, s1
	v_or_b32_e32 v81, 5, v17
	v_cmp_lt_i32_e64 s1, v71, v32
	v_or_b32_e32 v71, 4, v17
	s_delay_alu instid0(VALU_DEP_2) | instskip(NEXT) | instid1(VALU_DEP_4)
	v_cndmask_b32_e64 v15, 0, v15, s1
	v_cmp_lt_i32_e64 s1, v81, v49
	s_delay_alu instid0(VALU_DEP_2) | instskip(NEXT) | instid1(VALU_DEP_2)
	v_perm_b32 v15, v80, v15, 0x5040100
	v_cndmask_b32_e64 v81, 0, v82, s1
	v_or_b32_e32 v82, 7, v17
	v_cmp_lt_i32_e64 s1, v71, v32
	s_delay_alu instid0(VALU_DEP_1) | instskip(NEXT) | instid1(VALU_DEP_3)
	v_cndmask_b32_e64 v2, 0, v2, s1
	v_cmp_lt_i32_e64 s1, v82, v49
	s_delay_alu instid0(VALU_DEP_2) | instskip(NEXT) | instid1(VALU_DEP_2)
	v_perm_b32 v2, v81, v2, 0x5040100
	v_cndmask_b32_e64 v13, 0, v13, s1
	v_cmp_lt_i32_e64 s1, v83, v32
	s_delay_alu instid0(VALU_DEP_1) | instskip(NEXT) | instid1(VALU_DEP_1)
	v_cndmask_b32_e64 v14, 0, v14, s1
	v_perm_b32 v13, v13, v14, 0x5040100
.LBB333_846:                            ;   in Loop: Header=BB333_516 Depth=1
	s_or_b32 exec_lo, exec_lo, s12
	;;#ASMSTART
	v_pk_mul_f16 v14, v55, v16;

	;;#ASMEND
	;;#ASMSTART
	v_pk_mul_f16 v15, v54, v15;

	;;#ASMEND
	;; [unrolled: 4-line block ×4, first 2 shown]
	;;#ASMSTART
	v_pk_add_f16 v14, v14, v15;

	;;#ASMEND
	;;#ASMSTART
	v_pk_add_f16 v2, v14, v2;

	;;#ASMEND
	;; [unrolled: 4-line block ×3, first 2 shown]
	v_dual_mov_b32 v82, 0 :: v_dual_and_b32 v13, 0xffff, v2
	v_lshrrev_b32_e32 v2, 16, v2
	;;#ASMSTART
	v_cvt_f32_f16 v70, v13;
	;;#ASMEND
	;;#ASMSTART
	v_cvt_f32_f16 v71, v2;
	;;#ASMEND
	flat_load_b64 v[13:14], v[11:12] offset:1280
	flat_load_b32 v80, v[26:27]
	s_mov_b32 s12, exec_lo
	s_waitcnt vmcnt(1) lgkmcnt(1)
	v_dual_mov_b32 v81, 0 :: v_dual_and_b32 v2, 0xff, v13
	s_delay_alu instid0(VALU_DEP_1)
	v_cmpx_ne_u16_e32 0, v2
	s_cbranch_execz .LBB333_854
; %bb.847:                              ;   in Loop: Header=BB333_516 Depth=1
	v_bfrev_b32_e32 v81, 1
	s_mov_b32 s13, exec_lo
	v_cmpx_ne_u16_e32 0x80, v2
	s_cbranch_execz .LBB333_853
; %bb.848:                              ;   in Loop: Header=BB333_516 Depth=1
	v_and_b32_e32 v15, 0x7f, v13
	v_mov_b32_e32 v81, 0x7fc02000
	s_mov_b32 s15, exec_lo
	s_delay_alu instid0(VALU_DEP_2)
	v_cmpx_ne_u32_e32 0x7f, v15
	s_cbranch_execz .LBB333_852
; %bb.849:                              ;   in Loop: Header=BB333_516 Depth=1
	v_lshrrev_b32_e32 v2, 3, v15
	v_cmp_gt_u32_e64 s1, 8, v15
	v_dual_mov_b32 v16, v14 :: v_dual_mov_b32 v15, v13
	s_delay_alu instid0(VALU_DEP_2)
	s_and_saveexec_b32 s16, s1
; %bb.850:                              ;   in Loop: Header=BB333_516 Depth=1
	v_and_b32_e32 v2, 7, v13
	s_delay_alu instid0(VALU_DEP_1) | instskip(NEXT) | instid1(VALU_DEP_1)
	v_clz_i32_u32_e32 v2, v2
	v_min_u32_e32 v2, 32, v2
	s_delay_alu instid0(VALU_DEP_1) | instskip(SKIP_1) | instid1(VALU_DEP_2)
	v_subrev_nc_u32_e32 v15, 28, v2
	v_sub_nc_u32_e32 v2, 29, v2
	v_lshlrev_b64 v[15:16], v15, v[13:14]
; %bb.851:                              ;   in Loop: Header=BB333_516 Depth=1
	s_or_b32 exec_lo, exec_lo, s16
	v_lshlrev_b32_e32 v16, 8, v13
	s_delay_alu instid0(VALU_DEP_3) | instskip(NEXT) | instid1(VALU_DEP_3)
	v_lshl_add_u32 v2, v2, 10, 0x2000
	v_lshlrev_b32_e32 v15, 7, v15
	s_delay_alu instid0(VALU_DEP_2) | instskip(NEXT) | instid1(VALU_DEP_1)
	v_and_or_b32 v2, 0x8000, v16, v2
	v_and_or_b32 v2, 0x380, v15, v2
	s_delay_alu instid0(VALU_DEP_1)
	v_cvt_f32_f16_e32 v81, v2
.LBB333_852:                            ;   in Loop: Header=BB333_516 Depth=1
	s_or_b32 exec_lo, exec_lo, s15
.LBB333_853:                            ;   in Loop: Header=BB333_516 Depth=1
	s_delay_alu instid0(SALU_CYCLE_1)
	s_or_b32 exec_lo, exec_lo, s13
.LBB333_854:                            ;   in Loop: Header=BB333_516 Depth=1
	s_delay_alu instid0(SALU_CYCLE_1) | instskip(SKIP_2) | instid1(VALU_DEP_1)
	s_or_b32 exec_lo, exec_lo, s12
	v_lshrrev_b16 v2, 8, v13
	s_mov_b32 s12, exec_lo
	v_cmpx_ne_u16_e32 0, v2
	s_cbranch_execz .LBB333_862
; %bb.855:                              ;   in Loop: Header=BB333_516 Depth=1
	v_bfrev_b32_e32 v82, 1
	s_mov_b32 s13, exec_lo
	v_cmpx_ne_u16_e32 0x80, v2
	s_cbranch_execz .LBB333_861
; %bb.856:                              ;   in Loop: Header=BB333_516 Depth=1
	v_and_b32_e32 v15, 0xffff, v2
	v_mov_b32_e32 v82, 0x7fc02000
	s_mov_b32 s15, exec_lo
	s_delay_alu instid0(VALU_DEP_2) | instskip(NEXT) | instid1(VALU_DEP_1)
	v_and_b32_e32 v83, 0x7f, v15
	v_cmpx_ne_u32_e32 0x7f, v83
	s_cbranch_execz .LBB333_860
; %bb.857:                              ;   in Loop: Header=BB333_516 Depth=1
	v_and_b32_e32 v2, 7, v15
	v_lshrrev_b32_e32 v16, 3, v83
	s_mov_b32 s16, exec_lo
	v_cmpx_gt_u32_e32 8, v83
; %bb.858:                              ;   in Loop: Header=BB333_516 Depth=1
	s_delay_alu instid0(VALU_DEP_3) | instskip(NEXT) | instid1(VALU_DEP_1)
	v_clz_i32_u32_e32 v16, v2
	v_min_u32_e32 v16, 32, v16
	s_delay_alu instid0(VALU_DEP_1) | instskip(SKIP_1) | instid1(VALU_DEP_2)
	v_subrev_nc_u32_e32 v82, 28, v16
	v_sub_nc_u32_e32 v16, 29, v16
	v_lshlrev_b64 v[82:83], v82, v[2:3]
	s_delay_alu instid0(VALU_DEP_1)
	v_and_b32_e32 v2, 7, v82
; %bb.859:                              ;   in Loop: Header=BB333_516 Depth=1
	s_or_b32 exec_lo, exec_lo, s16
	v_lshlrev_b32_e32 v15, 8, v15
	v_lshl_add_u32 v16, v16, 10, 0x2000
	s_delay_alu instid0(VALU_DEP_1) | instskip(NEXT) | instid1(VALU_DEP_1)
	v_and_or_b32 v15, 0x8000, v15, v16
	v_lshl_or_b32 v2, v2, 7, v15
	s_delay_alu instid0(VALU_DEP_1)
	v_cvt_f32_f16_e32 v82, v2
.LBB333_860:                            ;   in Loop: Header=BB333_516 Depth=1
	s_or_b32 exec_lo, exec_lo, s15
.LBB333_861:                            ;   in Loop: Header=BB333_516 Depth=1
	s_delay_alu instid0(SALU_CYCLE_1)
	s_or_b32 exec_lo, exec_lo, s13
.LBB333_862:                            ;   in Loop: Header=BB333_516 Depth=1
	s_delay_alu instid0(SALU_CYCLE_1) | instskip(SKIP_3) | instid1(VALU_DEP_2)
	s_or_b32 exec_lo, exec_lo, s12
	v_lshrrev_b32_e32 v15, 16, v13
	v_mov_b32_e32 v84, 0
	s_mov_b32 s12, exec_lo
	v_dual_mov_b32 v83, 0 :: v_dual_and_b32 v2, 0xff, v15
	s_delay_alu instid0(VALU_DEP_1)
	v_cmpx_ne_u16_e32 0, v2
	s_cbranch_execz .LBB333_870
; %bb.863:                              ;   in Loop: Header=BB333_516 Depth=1
	v_bfrev_b32_e32 v83, 1
	s_mov_b32 s13, exec_lo
	v_cmpx_ne_u16_e32 0x80, v2
	s_cbranch_execz .LBB333_869
; %bb.864:                              ;   in Loop: Header=BB333_516 Depth=1
	v_bfe_u32 v85, v13, 16, 7
	v_mov_b32_e32 v83, 0x7fc02000
	s_mov_b32 s15, exec_lo
	s_delay_alu instid0(VALU_DEP_2)
	v_cmpx_ne_u32_e32 0x7f, v85
	s_cbranch_execz .LBB333_868
; %bb.865:                              ;   in Loop: Header=BB333_516 Depth=1
	v_and_b32_e32 v2, 7, v15
	v_lshrrev_b32_e32 v16, 3, v85
	s_mov_b32 s16, exec_lo
	v_cmpx_gt_u32_e32 8, v85
; %bb.866:                              ;   in Loop: Header=BB333_516 Depth=1
	s_delay_alu instid0(VALU_DEP_3) | instskip(NEXT) | instid1(VALU_DEP_1)
	v_clz_i32_u32_e32 v16, v2
	v_min_u32_e32 v16, 32, v16
	s_delay_alu instid0(VALU_DEP_1) | instskip(SKIP_1) | instid1(VALU_DEP_2)
	v_subrev_nc_u32_e32 v83, 28, v16
	v_sub_nc_u32_e32 v16, 29, v16
	v_lshlrev_b64 v[85:86], v83, v[2:3]
	s_delay_alu instid0(VALU_DEP_1)
	v_and_b32_e32 v2, 7, v85
; %bb.867:                              ;   in Loop: Header=BB333_516 Depth=1
	s_or_b32 exec_lo, exec_lo, s16
	v_lshlrev_b32_e32 v15, 8, v15
	v_lshl_add_u32 v16, v16, 10, 0x2000
	s_delay_alu instid0(VALU_DEP_1) | instskip(NEXT) | instid1(VALU_DEP_1)
	v_and_or_b32 v15, 0x8000, v15, v16
	v_lshl_or_b32 v2, v2, 7, v15
	s_delay_alu instid0(VALU_DEP_1)
	v_cvt_f32_f16_e32 v83, v2
.LBB333_868:                            ;   in Loop: Header=BB333_516 Depth=1
	s_or_b32 exec_lo, exec_lo, s15
.LBB333_869:                            ;   in Loop: Header=BB333_516 Depth=1
	s_delay_alu instid0(SALU_CYCLE_1)
	s_or_b32 exec_lo, exec_lo, s13
.LBB333_870:                            ;   in Loop: Header=BB333_516 Depth=1
	s_delay_alu instid0(SALU_CYCLE_1) | instskip(NEXT) | instid1(SALU_CYCLE_1)
	s_or_b32 exec_lo, exec_lo, s12
	s_mov_b32 s12, exec_lo
	v_cmpx_lt_u32_e32 0xffffff, v13
	s_cbranch_execz .LBB333_878
; %bb.871:                              ;   in Loop: Header=BB333_516 Depth=1
	v_lshrrev_b32_e32 v15, 24, v13
	v_bfrev_b32_e32 v84, 1
	s_mov_b32 s13, exec_lo
	s_delay_alu instid0(VALU_DEP_2)
	v_cmpx_ne_u32_e32 0x80, v15
	s_cbranch_execz .LBB333_877
; %bb.872:                              ;   in Loop: Header=BB333_516 Depth=1
	v_and_b32_e32 v85, 0x7f, v15
	v_mov_b32_e32 v84, 0x7fc02000
	s_mov_b32 s15, exec_lo
	s_delay_alu instid0(VALU_DEP_2)
	v_cmpx_ne_u32_e32 0x7f, v85
	s_cbranch_execz .LBB333_876
; %bb.873:                              ;   in Loop: Header=BB333_516 Depth=1
	v_and_b32_e32 v2, 7, v15
	v_lshrrev_b32_e32 v16, 3, v85
	s_mov_b32 s16, exec_lo
	v_cmpx_gt_u32_e32 8, v85
; %bb.874:                              ;   in Loop: Header=BB333_516 Depth=1
	s_delay_alu instid0(VALU_DEP_3) | instskip(NEXT) | instid1(VALU_DEP_1)
	v_clz_i32_u32_e32 v16, v2
	v_min_u32_e32 v16, 32, v16
	s_delay_alu instid0(VALU_DEP_1) | instskip(SKIP_1) | instid1(VALU_DEP_2)
	v_subrev_nc_u32_e32 v84, 28, v16
	v_sub_nc_u32_e32 v16, 29, v16
	v_lshlrev_b64 v[84:85], v84, v[2:3]
	s_delay_alu instid0(VALU_DEP_1)
	v_and_b32_e32 v2, 7, v84
; %bb.875:                              ;   in Loop: Header=BB333_516 Depth=1
	s_or_b32 exec_lo, exec_lo, s16
	v_lshlrev_b32_e32 v15, 8, v15
	v_lshl_add_u32 v16, v16, 10, 0x2000
	s_delay_alu instid0(VALU_DEP_1) | instskip(NEXT) | instid1(VALU_DEP_1)
	v_and_or_b32 v15, 0x8000, v15, v16
	v_lshl_or_b32 v2, v2, 7, v15
	s_delay_alu instid0(VALU_DEP_1)
	v_cvt_f32_f16_e32 v84, v2
.LBB333_876:                            ;   in Loop: Header=BB333_516 Depth=1
	s_or_b32 exec_lo, exec_lo, s15
.LBB333_877:                            ;   in Loop: Header=BB333_516 Depth=1
	s_delay_alu instid0(SALU_CYCLE_1)
	s_or_b32 exec_lo, exec_lo, s13
.LBB333_878:                            ;   in Loop: Header=BB333_516 Depth=1
	s_delay_alu instid0(SALU_CYCLE_1) | instskip(SKIP_3) | instid1(VALU_DEP_2)
	s_or_b32 exec_lo, exec_lo, s12
	v_dual_mov_b32 v85, 0 :: v_dual_and_b32 v16, 0xff, v14
	v_dual_mov_b32 v2, v14 :: v_dual_mov_b32 v15, 0
	s_mov_b32 s12, exec_lo
	v_cmpx_ne_u16_e32 0, v16
	s_cbranch_execz .LBB333_886
; %bb.879:                              ;   in Loop: Header=BB333_516 Depth=1
	v_bfrev_b32_e32 v15, 1
	s_mov_b32 s13, exec_lo
	v_cmpx_ne_u16_e32 0x80, v16
	s_cbranch_execz .LBB333_885
; %bb.880:                              ;   in Loop: Header=BB333_516 Depth=1
	v_and_b32_e32 v16, 0x7f, v14
	v_mov_b32_e32 v15, 0x7fc02000
	s_mov_b32 s15, exec_lo
	s_delay_alu instid0(VALU_DEP_2)
	v_cmpx_ne_u32_e32 0x7f, v16
	s_cbranch_execz .LBB333_884
; %bb.881:                              ;   in Loop: Header=BB333_516 Depth=1
	v_lshrrev_b32_e32 v86, 3, v16
	v_cmp_gt_u32_e64 s1, 8, v16
	v_dual_mov_b32 v16, v3 :: v_dual_mov_b32 v15, v2
	s_delay_alu instid0(VALU_DEP_2)
	s_and_saveexec_b32 s16, s1
; %bb.882:                              ;   in Loop: Header=BB333_516 Depth=1
	v_and_b32_e32 v15, 7, v14
	s_delay_alu instid0(VALU_DEP_1) | instskip(NEXT) | instid1(VALU_DEP_1)
	v_clz_i32_u32_e32 v15, v15
	v_min_u32_e32 v86, 32, v15
	s_delay_alu instid0(VALU_DEP_1) | instskip(SKIP_1) | instid1(VALU_DEP_2)
	v_subrev_nc_u32_e32 v15, 28, v86
	v_sub_nc_u32_e32 v86, 29, v86
	v_lshlrev_b64 v[15:16], v15, v[2:3]
; %bb.883:                              ;   in Loop: Header=BB333_516 Depth=1
	s_or_b32 exec_lo, exec_lo, s16
	v_lshlrev_b32_e32 v16, 8, v14
	s_delay_alu instid0(VALU_DEP_3) | instskip(NEXT) | instid1(VALU_DEP_3)
	v_lshl_add_u32 v86, v86, 10, 0x2000
	v_lshlrev_b32_e32 v15, 7, v15
	s_delay_alu instid0(VALU_DEP_2) | instskip(NEXT) | instid1(VALU_DEP_1)
	v_and_or_b32 v16, 0x8000, v16, v86
	v_and_or_b32 v15, 0x380, v15, v16
	s_delay_alu instid0(VALU_DEP_1)
	v_cvt_f32_f16_e32 v15, v15
.LBB333_884:                            ;   in Loop: Header=BB333_516 Depth=1
	s_or_b32 exec_lo, exec_lo, s15
.LBB333_885:                            ;   in Loop: Header=BB333_516 Depth=1
	s_delay_alu instid0(SALU_CYCLE_1)
	s_or_b32 exec_lo, exec_lo, s13
.LBB333_886:                            ;   in Loop: Header=BB333_516 Depth=1
	s_delay_alu instid0(SALU_CYCLE_1) | instskip(SKIP_2) | instid1(VALU_DEP_1)
	s_or_b32 exec_lo, exec_lo, s12
	v_lshrrev_b16 v2, 8, v2
	s_mov_b32 s12, exec_lo
	v_cmpx_ne_u16_e32 0, v2
	s_cbranch_execz .LBB333_894
; %bb.887:                              ;   in Loop: Header=BB333_516 Depth=1
	v_bfrev_b32_e32 v85, 1
	s_mov_b32 s13, exec_lo
	v_cmpx_ne_u16_e32 0x80, v2
	s_cbranch_execz .LBB333_893
; %bb.888:                              ;   in Loop: Header=BB333_516 Depth=1
	v_and_b32_e32 v16, 0xffff, v2
	v_mov_b32_e32 v85, 0x7fc02000
	s_mov_b32 s15, exec_lo
	s_delay_alu instid0(VALU_DEP_2) | instskip(NEXT) | instid1(VALU_DEP_1)
	v_and_b32_e32 v86, 0x7f, v16
	v_cmpx_ne_u32_e32 0x7f, v86
	s_cbranch_execz .LBB333_892
; %bb.889:                              ;   in Loop: Header=BB333_516 Depth=1
	v_and_b32_e32 v2, 7, v16
	v_lshrrev_b32_e32 v85, 3, v86
	s_mov_b32 s16, exec_lo
	v_cmpx_gt_u32_e32 8, v86
; %bb.890:                              ;   in Loop: Header=BB333_516 Depth=1
	s_delay_alu instid0(VALU_DEP_3) | instskip(NEXT) | instid1(VALU_DEP_1)
	v_clz_i32_u32_e32 v85, v2
	v_min_u32_e32 v85, 32, v85
	s_delay_alu instid0(VALU_DEP_1) | instskip(SKIP_1) | instid1(VALU_DEP_2)
	v_subrev_nc_u32_e32 v86, 28, v85
	v_sub_nc_u32_e32 v85, 29, v85
	v_lshlrev_b64 v[86:87], v86, v[2:3]
	s_delay_alu instid0(VALU_DEP_1)
	v_and_b32_e32 v2, 7, v86
; %bb.891:                              ;   in Loop: Header=BB333_516 Depth=1
	s_or_b32 exec_lo, exec_lo, s16
	v_lshlrev_b32_e32 v16, 8, v16
	v_lshl_add_u32 v85, v85, 10, 0x2000
	s_delay_alu instid0(VALU_DEP_1) | instskip(NEXT) | instid1(VALU_DEP_1)
	v_and_or_b32 v16, 0x8000, v16, v85
	v_lshl_or_b32 v2, v2, 7, v16
	s_delay_alu instid0(VALU_DEP_1)
	v_cvt_f32_f16_e32 v85, v2
.LBB333_892:                            ;   in Loop: Header=BB333_516 Depth=1
	s_or_b32 exec_lo, exec_lo, s15
.LBB333_893:                            ;   in Loop: Header=BB333_516 Depth=1
	s_delay_alu instid0(SALU_CYCLE_1)
	s_or_b32 exec_lo, exec_lo, s13
.LBB333_894:                            ;   in Loop: Header=BB333_516 Depth=1
	s_delay_alu instid0(SALU_CYCLE_1) | instskip(SKIP_4) | instid1(VALU_DEP_3)
	s_or_b32 exec_lo, exec_lo, s12
	v_lshrrev_b32_e32 v87, 16, v14
	v_mov_b32_e32 v86, 0
	v_mov_b32_e32 v16, 0
	s_mov_b32 s12, exec_lo
	v_and_b32_e32 v2, 0xff, v87
	s_delay_alu instid0(VALU_DEP_1)
	v_cmpx_ne_u16_e32 0, v2
	s_cbranch_execz .LBB333_902
; %bb.895:                              ;   in Loop: Header=BB333_516 Depth=1
	v_bfrev_b32_e32 v16, 1
	s_mov_b32 s13, exec_lo
	v_cmpx_ne_u16_e32 0x80, v2
	s_cbranch_execz .LBB333_901
; %bb.896:                              ;   in Loop: Header=BB333_516 Depth=1
	v_bfe_u32 v96, v14, 16, 7
	v_mov_b32_e32 v16, 0x7fc02000
	s_mov_b32 s15, exec_lo
	s_delay_alu instid0(VALU_DEP_2)
	v_cmpx_ne_u32_e32 0x7f, v96
	s_cbranch_execz .LBB333_900
; %bb.897:                              ;   in Loop: Header=BB333_516 Depth=1
	v_and_b32_e32 v2, 7, v87
	v_lshrrev_b32_e32 v16, 3, v96
	s_mov_b32 s16, exec_lo
	v_cmpx_gt_u32_e32 8, v96
; %bb.898:                              ;   in Loop: Header=BB333_516 Depth=1
	s_delay_alu instid0(VALU_DEP_3) | instskip(NEXT) | instid1(VALU_DEP_1)
	v_clz_i32_u32_e32 v16, v2
	v_min_u32_e32 v16, 32, v16
	s_delay_alu instid0(VALU_DEP_1) | instskip(SKIP_1) | instid1(VALU_DEP_2)
	v_subrev_nc_u32_e32 v96, 28, v16
	v_sub_nc_u32_e32 v16, 29, v16
	v_lshlrev_b64 v[96:97], v96, v[2:3]
	s_delay_alu instid0(VALU_DEP_1)
	v_and_b32_e32 v2, 7, v96
; %bb.899:                              ;   in Loop: Header=BB333_516 Depth=1
	s_or_b32 exec_lo, exec_lo, s16
	v_lshlrev_b32_e32 v87, 8, v87
	v_lshl_add_u32 v16, v16, 10, 0x2000
	s_delay_alu instid0(VALU_DEP_1) | instskip(NEXT) | instid1(VALU_DEP_1)
	v_and_or_b32 v16, 0x8000, v87, v16
	v_lshl_or_b32 v2, v2, 7, v16
	s_delay_alu instid0(VALU_DEP_1)
	v_cvt_f32_f16_e32 v16, v2
.LBB333_900:                            ;   in Loop: Header=BB333_516 Depth=1
	s_or_b32 exec_lo, exec_lo, s15
.LBB333_901:                            ;   in Loop: Header=BB333_516 Depth=1
	s_delay_alu instid0(SALU_CYCLE_1)
	s_or_b32 exec_lo, exec_lo, s13
.LBB333_902:                            ;   in Loop: Header=BB333_516 Depth=1
	s_delay_alu instid0(SALU_CYCLE_1) | instskip(NEXT) | instid1(SALU_CYCLE_1)
	s_or_b32 exec_lo, exec_lo, s12
	s_mov_b32 s12, exec_lo
	v_cmpx_lt_u64_e64 s[8:9], v[13:14]
	s_cbranch_execz .LBB333_910
; %bb.903:                              ;   in Loop: Header=BB333_516 Depth=1
	v_lshrrev_b32_e32 v13, 24, v14
	v_bfrev_b32_e32 v86, 1
	s_mov_b32 s13, exec_lo
	s_delay_alu instid0(VALU_DEP_2)
	v_cmpx_ne_u32_e32 0x80, v13
	s_cbranch_execz .LBB333_909
; %bb.904:                              ;   in Loop: Header=BB333_516 Depth=1
	v_and_b32_e32 v87, 0x7f, v13
	v_mov_b32_e32 v86, 0x7fc02000
	s_mov_b32 s15, exec_lo
	s_delay_alu instid0(VALU_DEP_2)
	v_cmpx_ne_u32_e32 0x7f, v87
	s_cbranch_execz .LBB333_908
; %bb.905:                              ;   in Loop: Header=BB333_516 Depth=1
	v_and_b32_e32 v2, 7, v13
	v_lshrrev_b32_e32 v14, 3, v87
	s_mov_b32 s16, exec_lo
	v_cmpx_gt_u32_e32 8, v87
; %bb.906:                              ;   in Loop: Header=BB333_516 Depth=1
	s_delay_alu instid0(VALU_DEP_3) | instskip(NEXT) | instid1(VALU_DEP_1)
	v_clz_i32_u32_e32 v14, v2
	v_min_u32_e32 v14, 32, v14
	s_delay_alu instid0(VALU_DEP_1) | instskip(SKIP_1) | instid1(VALU_DEP_2)
	v_subrev_nc_u32_e32 v86, 28, v14
	v_sub_nc_u32_e32 v14, 29, v14
	v_lshlrev_b64 v[86:87], v86, v[2:3]
	s_delay_alu instid0(VALU_DEP_1)
	v_and_b32_e32 v2, 7, v86
; %bb.907:                              ;   in Loop: Header=BB333_516 Depth=1
	s_or_b32 exec_lo, exec_lo, s16
	v_lshlrev_b32_e32 v13, 8, v13
	v_lshl_add_u32 v14, v14, 10, 0x2000
	s_delay_alu instid0(VALU_DEP_1) | instskip(NEXT) | instid1(VALU_DEP_1)
	v_and_or_b32 v13, 0x8000, v13, v14
	v_lshl_or_b32 v2, v2, 7, v13
	s_delay_alu instid0(VALU_DEP_1)
	v_cvt_f32_f16_e32 v86, v2
.LBB333_908:                            ;   in Loop: Header=BB333_516 Depth=1
	s_or_b32 exec_lo, exec_lo, s15
.LBB333_909:                            ;   in Loop: Header=BB333_516 Depth=1
	s_delay_alu instid0(SALU_CYCLE_1)
	s_or_b32 exec_lo, exec_lo, s13
.LBB333_910:                            ;   in Loop: Header=BB333_516 Depth=1
	s_delay_alu instid0(SALU_CYCLE_1)
	s_or_b32 exec_lo, exec_lo, s12
	s_waitcnt vmcnt(0) lgkmcnt(0)
	v_fma_mixlo_f16 v14, v80, v82, 0
	v_fma_mixlo_f16 v2, v80, v84, 0
	;; [unrolled: 1-line block ×5, first 2 shown]
	v_lshlrev_b32_e32 v82, 16, v14
	v_fma_mixlo_f16 v15, v80, v15, 0
	v_fma_mixlo_f16 v84, v80, v86, 0
	;; [unrolled: 1-line block ×3, first 2 shown]
	v_lshlrev_b32_e32 v2, 16, v2
	v_and_b32_e32 v13, 0xffff, v13
	v_and_b32_e32 v16, 0xffff, v81
	v_lshlrev_b32_e32 v80, 16, v83
	v_and_b32_e32 v81, 0xffff, v15
	v_lshlrev_b32_e32 v83, 16, v84
	v_and_b32_e32 v84, 0xffff, v14
	v_or_b32_e32 v15, v2, v13
	v_or_b32_e32 v16, v82, v16
	;; [unrolled: 1-line block ×3, first 2 shown]
	s_delay_alu instid0(VALU_DEP_4)
	v_or_b32_e32 v13, v83, v84
	s_and_saveexec_b32 s12, s0
	s_cbranch_execz .LBB333_912
; %bb.911:                              ;   in Loop: Header=BB333_516 Depth=1
	v_add_nc_u32_e32 v80, 1, v17
	v_lshrrev_b32_e32 v81, 16, v16
	v_or_b32_e32 v82, 3, v17
	v_lshrrev_b32_e32 v83, 16, v15
	v_lshrrev_b32_e32 v84, 16, v2
	v_cmp_lt_i32_e64 s1, v80, v49
	v_lshrrev_b32_e32 v13, 16, v13
	v_or_b32_e32 v85, 6, v17
	s_delay_alu instid0(VALU_DEP_3) | instskip(SKIP_2) | instid1(VALU_DEP_2)
	v_cndmask_b32_e64 v80, 0, v81, s1
	v_cmp_lt_i32_e64 s1, v17, v32
	v_or_b32_e32 v81, 2, v17
	v_cndmask_b32_e64 v16, 0, v16, s1
	v_cmp_lt_i32_e64 s1, v82, v49
	s_delay_alu instid0(VALU_DEP_2) | instskip(NEXT) | instid1(VALU_DEP_2)
	v_perm_b32 v16, v80, v16, 0x5040100
	v_cndmask_b32_e64 v82, 0, v83, s1
	v_or_b32_e32 v83, 5, v17
	v_cmp_lt_i32_e64 s1, v81, v32
	v_or_b32_e32 v81, 4, v17
	s_delay_alu instid0(VALU_DEP_2) | instskip(NEXT) | instid1(VALU_DEP_4)
	v_cndmask_b32_e64 v15, 0, v15, s1
	v_cmp_lt_i32_e64 s1, v83, v49
	s_delay_alu instid0(VALU_DEP_2) | instskip(NEXT) | instid1(VALU_DEP_2)
	v_perm_b32 v15, v82, v15, 0x5040100
	v_cndmask_b32_e64 v83, 0, v84, s1
	v_or_b32_e32 v84, 7, v17
	v_cmp_lt_i32_e64 s1, v81, v32
	s_delay_alu instid0(VALU_DEP_1) | instskip(NEXT) | instid1(VALU_DEP_3)
	v_cndmask_b32_e64 v2, 0, v2, s1
	v_cmp_lt_i32_e64 s1, v84, v49
	s_delay_alu instid0(VALU_DEP_2) | instskip(NEXT) | instid1(VALU_DEP_2)
	v_perm_b32 v2, v83, v2, 0x5040100
	v_cndmask_b32_e64 v13, 0, v13, s1
	v_cmp_lt_i32_e64 s1, v85, v32
	s_delay_alu instid0(VALU_DEP_1) | instskip(NEXT) | instid1(VALU_DEP_1)
	v_cndmask_b32_e64 v14, 0, v14, s1
	v_perm_b32 v13, v13, v14, 0x5040100
.LBB333_912:                            ;   in Loop: Header=BB333_516 Depth=1
	s_or_b32 exec_lo, exec_lo, s12
	;;#ASMSTART
	v_pk_mul_f16 v14, v55, v16;

	;;#ASMEND
	;;#ASMSTART
	v_pk_mul_f16 v15, v54, v15;

	;;#ASMEND
	;; [unrolled: 4-line block ×4, first 2 shown]
	;;#ASMSTART
	v_pk_add_f16 v14, v14, v15;

	;;#ASMEND
	;;#ASMSTART
	v_pk_add_f16 v2, v14, v2;

	;;#ASMEND
	;; [unrolled: 4-line block ×3, first 2 shown]
	v_dual_mov_b32 v82, 0 :: v_dual_and_b32 v13, 0xffff, v2
	v_lshrrev_b32_e32 v2, 16, v2
	;;#ASMSTART
	v_cvt_f32_f16 v15, v13;
	;;#ASMEND
	;;#ASMSTART
	v_cvt_f32_f16 v16, v2;
	;;#ASMEND
	flat_load_b64 v[11:12], v[11:12] offset:1536
	flat_load_b32 v80, v[26:27]
	s_mov_b32 s12, exec_lo
	s_waitcnt vmcnt(1) lgkmcnt(1)
	v_dual_mov_b32 v81, 0 :: v_dual_and_b32 v2, 0xff, v11
	s_delay_alu instid0(VALU_DEP_1)
	v_cmpx_ne_u16_e32 0, v2
	s_cbranch_execz .LBB333_920
; %bb.913:                              ;   in Loop: Header=BB333_516 Depth=1
	v_bfrev_b32_e32 v81, 1
	s_mov_b32 s13, exec_lo
	v_cmpx_ne_u16_e32 0x80, v2
	s_cbranch_execz .LBB333_919
; %bb.914:                              ;   in Loop: Header=BB333_516 Depth=1
	v_and_b32_e32 v13, 0x7f, v11
	v_mov_b32_e32 v81, 0x7fc02000
	s_mov_b32 s15, exec_lo
	s_delay_alu instid0(VALU_DEP_2)
	v_cmpx_ne_u32_e32 0x7f, v13
	s_cbranch_execz .LBB333_918
; %bb.915:                              ;   in Loop: Header=BB333_516 Depth=1
	v_lshrrev_b32_e32 v2, 3, v13
	v_cmp_gt_u32_e64 s1, 8, v13
	v_dual_mov_b32 v14, v12 :: v_dual_mov_b32 v13, v11
	s_delay_alu instid0(VALU_DEP_2)
	s_and_saveexec_b32 s16, s1
; %bb.916:                              ;   in Loop: Header=BB333_516 Depth=1
	v_and_b32_e32 v2, 7, v11
	s_delay_alu instid0(VALU_DEP_1) | instskip(NEXT) | instid1(VALU_DEP_1)
	v_clz_i32_u32_e32 v2, v2
	v_min_u32_e32 v2, 32, v2
	s_delay_alu instid0(VALU_DEP_1) | instskip(SKIP_1) | instid1(VALU_DEP_2)
	v_subrev_nc_u32_e32 v13, 28, v2
	v_sub_nc_u32_e32 v2, 29, v2
	v_lshlrev_b64 v[13:14], v13, v[11:12]
; %bb.917:                              ;   in Loop: Header=BB333_516 Depth=1
	s_or_b32 exec_lo, exec_lo, s16
	v_lshlrev_b32_e32 v14, 8, v11
	s_delay_alu instid0(VALU_DEP_3) | instskip(NEXT) | instid1(VALU_DEP_3)
	v_lshl_add_u32 v2, v2, 10, 0x2000
	v_lshlrev_b32_e32 v13, 7, v13
	s_delay_alu instid0(VALU_DEP_2) | instskip(NEXT) | instid1(VALU_DEP_1)
	v_and_or_b32 v2, 0x8000, v14, v2
	v_and_or_b32 v2, 0x380, v13, v2
	s_delay_alu instid0(VALU_DEP_1)
	v_cvt_f32_f16_e32 v81, v2
.LBB333_918:                            ;   in Loop: Header=BB333_516 Depth=1
	s_or_b32 exec_lo, exec_lo, s15
.LBB333_919:                            ;   in Loop: Header=BB333_516 Depth=1
	s_delay_alu instid0(SALU_CYCLE_1)
	s_or_b32 exec_lo, exec_lo, s13
.LBB333_920:                            ;   in Loop: Header=BB333_516 Depth=1
	s_delay_alu instid0(SALU_CYCLE_1) | instskip(SKIP_2) | instid1(VALU_DEP_1)
	s_or_b32 exec_lo, exec_lo, s12
	v_lshrrev_b16 v2, 8, v11
	s_mov_b32 s12, exec_lo
	v_cmpx_ne_u16_e32 0, v2
	s_cbranch_execz .LBB333_928
; %bb.921:                              ;   in Loop: Header=BB333_516 Depth=1
	v_bfrev_b32_e32 v82, 1
	s_mov_b32 s13, exec_lo
	v_cmpx_ne_u16_e32 0x80, v2
	s_cbranch_execz .LBB333_927
; %bb.922:                              ;   in Loop: Header=BB333_516 Depth=1
	v_and_b32_e32 v13, 0xffff, v2
	v_mov_b32_e32 v82, 0x7fc02000
	s_mov_b32 s15, exec_lo
	s_delay_alu instid0(VALU_DEP_2) | instskip(NEXT) | instid1(VALU_DEP_1)
	v_and_b32_e32 v83, 0x7f, v13
	v_cmpx_ne_u32_e32 0x7f, v83
	s_cbranch_execz .LBB333_926
; %bb.923:                              ;   in Loop: Header=BB333_516 Depth=1
	v_and_b32_e32 v2, 7, v13
	v_lshrrev_b32_e32 v14, 3, v83
	s_mov_b32 s16, exec_lo
	v_cmpx_gt_u32_e32 8, v83
; %bb.924:                              ;   in Loop: Header=BB333_516 Depth=1
	s_delay_alu instid0(VALU_DEP_3) | instskip(NEXT) | instid1(VALU_DEP_1)
	v_clz_i32_u32_e32 v14, v2
	v_min_u32_e32 v14, 32, v14
	s_delay_alu instid0(VALU_DEP_1) | instskip(SKIP_1) | instid1(VALU_DEP_2)
	v_subrev_nc_u32_e32 v82, 28, v14
	v_sub_nc_u32_e32 v14, 29, v14
	v_lshlrev_b64 v[82:83], v82, v[2:3]
	s_delay_alu instid0(VALU_DEP_1)
	v_and_b32_e32 v2, 7, v82
; %bb.925:                              ;   in Loop: Header=BB333_516 Depth=1
	s_or_b32 exec_lo, exec_lo, s16
	v_lshlrev_b32_e32 v13, 8, v13
	v_lshl_add_u32 v14, v14, 10, 0x2000
	s_delay_alu instid0(VALU_DEP_1) | instskip(NEXT) | instid1(VALU_DEP_1)
	v_and_or_b32 v13, 0x8000, v13, v14
	v_lshl_or_b32 v2, v2, 7, v13
	s_delay_alu instid0(VALU_DEP_1)
	v_cvt_f32_f16_e32 v82, v2
.LBB333_926:                            ;   in Loop: Header=BB333_516 Depth=1
	s_or_b32 exec_lo, exec_lo, s15
.LBB333_927:                            ;   in Loop: Header=BB333_516 Depth=1
	s_delay_alu instid0(SALU_CYCLE_1)
	s_or_b32 exec_lo, exec_lo, s13
.LBB333_928:                            ;   in Loop: Header=BB333_516 Depth=1
	s_delay_alu instid0(SALU_CYCLE_1) | instskip(SKIP_3) | instid1(VALU_DEP_2)
	s_or_b32 exec_lo, exec_lo, s12
	v_lshrrev_b32_e32 v13, 16, v11
	v_mov_b32_e32 v84, 0
	s_mov_b32 s12, exec_lo
	v_dual_mov_b32 v83, 0 :: v_dual_and_b32 v2, 0xff, v13
	s_delay_alu instid0(VALU_DEP_1)
	v_cmpx_ne_u16_e32 0, v2
	s_cbranch_execz .LBB333_936
; %bb.929:                              ;   in Loop: Header=BB333_516 Depth=1
	v_bfrev_b32_e32 v83, 1
	s_mov_b32 s13, exec_lo
	v_cmpx_ne_u16_e32 0x80, v2
	s_cbranch_execz .LBB333_935
; %bb.930:                              ;   in Loop: Header=BB333_516 Depth=1
	v_bfe_u32 v85, v11, 16, 7
	v_mov_b32_e32 v83, 0x7fc02000
	s_mov_b32 s15, exec_lo
	s_delay_alu instid0(VALU_DEP_2)
	v_cmpx_ne_u32_e32 0x7f, v85
	s_cbranch_execz .LBB333_934
; %bb.931:                              ;   in Loop: Header=BB333_516 Depth=1
	v_and_b32_e32 v2, 7, v13
	v_lshrrev_b32_e32 v14, 3, v85
	s_mov_b32 s16, exec_lo
	v_cmpx_gt_u32_e32 8, v85
; %bb.932:                              ;   in Loop: Header=BB333_516 Depth=1
	s_delay_alu instid0(VALU_DEP_3) | instskip(NEXT) | instid1(VALU_DEP_1)
	v_clz_i32_u32_e32 v14, v2
	v_min_u32_e32 v14, 32, v14
	s_delay_alu instid0(VALU_DEP_1) | instskip(SKIP_1) | instid1(VALU_DEP_2)
	v_subrev_nc_u32_e32 v83, 28, v14
	v_sub_nc_u32_e32 v14, 29, v14
	v_lshlrev_b64 v[85:86], v83, v[2:3]
	s_delay_alu instid0(VALU_DEP_1)
	v_and_b32_e32 v2, 7, v85
; %bb.933:                              ;   in Loop: Header=BB333_516 Depth=1
	s_or_b32 exec_lo, exec_lo, s16
	v_lshlrev_b32_e32 v13, 8, v13
	v_lshl_add_u32 v14, v14, 10, 0x2000
	s_delay_alu instid0(VALU_DEP_1) | instskip(NEXT) | instid1(VALU_DEP_1)
	v_and_or_b32 v13, 0x8000, v13, v14
	v_lshl_or_b32 v2, v2, 7, v13
	s_delay_alu instid0(VALU_DEP_1)
	v_cvt_f32_f16_e32 v83, v2
.LBB333_934:                            ;   in Loop: Header=BB333_516 Depth=1
	s_or_b32 exec_lo, exec_lo, s15
.LBB333_935:                            ;   in Loop: Header=BB333_516 Depth=1
	s_delay_alu instid0(SALU_CYCLE_1)
	s_or_b32 exec_lo, exec_lo, s13
.LBB333_936:                            ;   in Loop: Header=BB333_516 Depth=1
	s_delay_alu instid0(SALU_CYCLE_1) | instskip(NEXT) | instid1(SALU_CYCLE_1)
	s_or_b32 exec_lo, exec_lo, s12
	s_mov_b32 s12, exec_lo
	v_cmpx_lt_u32_e32 0xffffff, v11
	s_cbranch_execz .LBB333_944
; %bb.937:                              ;   in Loop: Header=BB333_516 Depth=1
	v_lshrrev_b32_e32 v13, 24, v11
	v_bfrev_b32_e32 v84, 1
	s_mov_b32 s13, exec_lo
	s_delay_alu instid0(VALU_DEP_2)
	v_cmpx_ne_u32_e32 0x80, v13
	s_cbranch_execz .LBB333_943
; %bb.938:                              ;   in Loop: Header=BB333_516 Depth=1
	v_and_b32_e32 v85, 0x7f, v13
	v_mov_b32_e32 v84, 0x7fc02000
	s_mov_b32 s15, exec_lo
	s_delay_alu instid0(VALU_DEP_2)
	v_cmpx_ne_u32_e32 0x7f, v85
	s_cbranch_execz .LBB333_942
; %bb.939:                              ;   in Loop: Header=BB333_516 Depth=1
	v_and_b32_e32 v2, 7, v13
	v_lshrrev_b32_e32 v14, 3, v85
	s_mov_b32 s16, exec_lo
	v_cmpx_gt_u32_e32 8, v85
; %bb.940:                              ;   in Loop: Header=BB333_516 Depth=1
	s_delay_alu instid0(VALU_DEP_3) | instskip(NEXT) | instid1(VALU_DEP_1)
	v_clz_i32_u32_e32 v14, v2
	v_min_u32_e32 v14, 32, v14
	s_delay_alu instid0(VALU_DEP_1) | instskip(SKIP_1) | instid1(VALU_DEP_2)
	v_subrev_nc_u32_e32 v84, 28, v14
	v_sub_nc_u32_e32 v14, 29, v14
	v_lshlrev_b64 v[84:85], v84, v[2:3]
	s_delay_alu instid0(VALU_DEP_1)
	v_and_b32_e32 v2, 7, v84
; %bb.941:                              ;   in Loop: Header=BB333_516 Depth=1
	s_or_b32 exec_lo, exec_lo, s16
	v_lshlrev_b32_e32 v13, 8, v13
	v_lshl_add_u32 v14, v14, 10, 0x2000
	s_delay_alu instid0(VALU_DEP_1) | instskip(NEXT) | instid1(VALU_DEP_1)
	v_and_or_b32 v13, 0x8000, v13, v14
	v_lshl_or_b32 v2, v2, 7, v13
	s_delay_alu instid0(VALU_DEP_1)
	v_cvt_f32_f16_e32 v84, v2
.LBB333_942:                            ;   in Loop: Header=BB333_516 Depth=1
	s_or_b32 exec_lo, exec_lo, s15
.LBB333_943:                            ;   in Loop: Header=BB333_516 Depth=1
	s_delay_alu instid0(SALU_CYCLE_1)
	s_or_b32 exec_lo, exec_lo, s13
.LBB333_944:                            ;   in Loop: Header=BB333_516 Depth=1
	s_delay_alu instid0(SALU_CYCLE_1) | instskip(SKIP_3) | instid1(VALU_DEP_2)
	s_or_b32 exec_lo, exec_lo, s12
	v_dual_mov_b32 v85, 0 :: v_dual_and_b32 v14, 0xff, v12
	v_dual_mov_b32 v2, v12 :: v_dual_mov_b32 v13, 0
	s_mov_b32 s12, exec_lo
	v_cmpx_ne_u16_e32 0, v14
	s_cbranch_execz .LBB333_952
; %bb.945:                              ;   in Loop: Header=BB333_516 Depth=1
	v_bfrev_b32_e32 v13, 1
	s_mov_b32 s13, exec_lo
	v_cmpx_ne_u16_e32 0x80, v14
	s_cbranch_execz .LBB333_951
; %bb.946:                              ;   in Loop: Header=BB333_516 Depth=1
	v_and_b32_e32 v14, 0x7f, v12
	v_mov_b32_e32 v13, 0x7fc02000
	s_mov_b32 s15, exec_lo
	s_delay_alu instid0(VALU_DEP_2)
	v_cmpx_ne_u32_e32 0x7f, v14
	s_cbranch_execz .LBB333_950
; %bb.947:                              ;   in Loop: Header=BB333_516 Depth=1
	v_lshrrev_b32_e32 v86, 3, v14
	v_cmp_gt_u32_e64 s1, 8, v14
	v_dual_mov_b32 v14, v3 :: v_dual_mov_b32 v13, v2
	s_delay_alu instid0(VALU_DEP_2)
	s_and_saveexec_b32 s16, s1
; %bb.948:                              ;   in Loop: Header=BB333_516 Depth=1
	v_and_b32_e32 v13, 7, v12
	s_delay_alu instid0(VALU_DEP_1) | instskip(NEXT) | instid1(VALU_DEP_1)
	v_clz_i32_u32_e32 v13, v13
	v_min_u32_e32 v86, 32, v13
	s_delay_alu instid0(VALU_DEP_1) | instskip(SKIP_1) | instid1(VALU_DEP_2)
	v_subrev_nc_u32_e32 v13, 28, v86
	v_sub_nc_u32_e32 v86, 29, v86
	v_lshlrev_b64 v[13:14], v13, v[2:3]
; %bb.949:                              ;   in Loop: Header=BB333_516 Depth=1
	s_or_b32 exec_lo, exec_lo, s16
	v_lshlrev_b32_e32 v14, 8, v12
	s_delay_alu instid0(VALU_DEP_3) | instskip(NEXT) | instid1(VALU_DEP_3)
	v_lshl_add_u32 v86, v86, 10, 0x2000
	v_lshlrev_b32_e32 v13, 7, v13
	s_delay_alu instid0(VALU_DEP_2) | instskip(NEXT) | instid1(VALU_DEP_1)
	v_and_or_b32 v14, 0x8000, v14, v86
	v_and_or_b32 v13, 0x380, v13, v14
	s_delay_alu instid0(VALU_DEP_1)
	v_cvt_f32_f16_e32 v13, v13
.LBB333_950:                            ;   in Loop: Header=BB333_516 Depth=1
	s_or_b32 exec_lo, exec_lo, s15
.LBB333_951:                            ;   in Loop: Header=BB333_516 Depth=1
	s_delay_alu instid0(SALU_CYCLE_1)
	s_or_b32 exec_lo, exec_lo, s13
.LBB333_952:                            ;   in Loop: Header=BB333_516 Depth=1
	s_delay_alu instid0(SALU_CYCLE_1) | instskip(SKIP_2) | instid1(VALU_DEP_1)
	s_or_b32 exec_lo, exec_lo, s12
	v_lshrrev_b16 v2, 8, v2
	s_mov_b32 s12, exec_lo
	v_cmpx_ne_u16_e32 0, v2
	s_cbranch_execz .LBB333_960
; %bb.953:                              ;   in Loop: Header=BB333_516 Depth=1
	v_bfrev_b32_e32 v85, 1
	s_mov_b32 s13, exec_lo
	v_cmpx_ne_u16_e32 0x80, v2
	s_cbranch_execz .LBB333_959
; %bb.954:                              ;   in Loop: Header=BB333_516 Depth=1
	v_and_b32_e32 v14, 0xffff, v2
	v_mov_b32_e32 v85, 0x7fc02000
	s_mov_b32 s15, exec_lo
	s_delay_alu instid0(VALU_DEP_2) | instskip(NEXT) | instid1(VALU_DEP_1)
	v_and_b32_e32 v86, 0x7f, v14
	v_cmpx_ne_u32_e32 0x7f, v86
	s_cbranch_execz .LBB333_958
; %bb.955:                              ;   in Loop: Header=BB333_516 Depth=1
	v_and_b32_e32 v2, 7, v14
	v_lshrrev_b32_e32 v85, 3, v86
	s_mov_b32 s16, exec_lo
	v_cmpx_gt_u32_e32 8, v86
; %bb.956:                              ;   in Loop: Header=BB333_516 Depth=1
	s_delay_alu instid0(VALU_DEP_3) | instskip(NEXT) | instid1(VALU_DEP_1)
	v_clz_i32_u32_e32 v85, v2
	v_min_u32_e32 v85, 32, v85
	s_delay_alu instid0(VALU_DEP_1) | instskip(SKIP_1) | instid1(VALU_DEP_2)
	v_subrev_nc_u32_e32 v86, 28, v85
	v_sub_nc_u32_e32 v85, 29, v85
	v_lshlrev_b64 v[86:87], v86, v[2:3]
	s_delay_alu instid0(VALU_DEP_1)
	v_and_b32_e32 v2, 7, v86
; %bb.957:                              ;   in Loop: Header=BB333_516 Depth=1
	s_or_b32 exec_lo, exec_lo, s16
	v_lshlrev_b32_e32 v14, 8, v14
	v_lshl_add_u32 v85, v85, 10, 0x2000
	s_delay_alu instid0(VALU_DEP_1) | instskip(NEXT) | instid1(VALU_DEP_1)
	v_and_or_b32 v14, 0x8000, v14, v85
	v_lshl_or_b32 v2, v2, 7, v14
	s_delay_alu instid0(VALU_DEP_1)
	v_cvt_f32_f16_e32 v85, v2
.LBB333_958:                            ;   in Loop: Header=BB333_516 Depth=1
	s_or_b32 exec_lo, exec_lo, s15
.LBB333_959:                            ;   in Loop: Header=BB333_516 Depth=1
	s_delay_alu instid0(SALU_CYCLE_1)
	s_or_b32 exec_lo, exec_lo, s13
.LBB333_960:                            ;   in Loop: Header=BB333_516 Depth=1
	s_delay_alu instid0(SALU_CYCLE_1) | instskip(SKIP_4) | instid1(VALU_DEP_3)
	s_or_b32 exec_lo, exec_lo, s12
	v_lshrrev_b32_e32 v87, 16, v12
	v_mov_b32_e32 v86, 0
	v_mov_b32_e32 v14, 0
	s_mov_b32 s12, exec_lo
	v_and_b32_e32 v2, 0xff, v87
	s_delay_alu instid0(VALU_DEP_1)
	v_cmpx_ne_u16_e32 0, v2
	s_cbranch_execz .LBB333_968
; %bb.961:                              ;   in Loop: Header=BB333_516 Depth=1
	v_bfrev_b32_e32 v14, 1
	s_mov_b32 s13, exec_lo
	v_cmpx_ne_u16_e32 0x80, v2
	s_cbranch_execz .LBB333_967
; %bb.962:                              ;   in Loop: Header=BB333_516 Depth=1
	v_bfe_u32 v96, v12, 16, 7
	v_mov_b32_e32 v14, 0x7fc02000
	s_mov_b32 s15, exec_lo
	s_delay_alu instid0(VALU_DEP_2)
	v_cmpx_ne_u32_e32 0x7f, v96
	s_cbranch_execz .LBB333_966
; %bb.963:                              ;   in Loop: Header=BB333_516 Depth=1
	v_and_b32_e32 v2, 7, v87
	v_lshrrev_b32_e32 v14, 3, v96
	s_mov_b32 s16, exec_lo
	v_cmpx_gt_u32_e32 8, v96
; %bb.964:                              ;   in Loop: Header=BB333_516 Depth=1
	s_delay_alu instid0(VALU_DEP_3) | instskip(NEXT) | instid1(VALU_DEP_1)
	v_clz_i32_u32_e32 v14, v2
	v_min_u32_e32 v14, 32, v14
	s_delay_alu instid0(VALU_DEP_1) | instskip(SKIP_1) | instid1(VALU_DEP_2)
	v_subrev_nc_u32_e32 v96, 28, v14
	v_sub_nc_u32_e32 v14, 29, v14
	v_lshlrev_b64 v[96:97], v96, v[2:3]
	s_delay_alu instid0(VALU_DEP_1)
	v_and_b32_e32 v2, 7, v96
; %bb.965:                              ;   in Loop: Header=BB333_516 Depth=1
	s_or_b32 exec_lo, exec_lo, s16
	v_lshlrev_b32_e32 v87, 8, v87
	v_lshl_add_u32 v14, v14, 10, 0x2000
	s_delay_alu instid0(VALU_DEP_1) | instskip(NEXT) | instid1(VALU_DEP_1)
	v_and_or_b32 v14, 0x8000, v87, v14
	v_lshl_or_b32 v2, v2, 7, v14
	s_delay_alu instid0(VALU_DEP_1)
	v_cvt_f32_f16_e32 v14, v2
.LBB333_966:                            ;   in Loop: Header=BB333_516 Depth=1
	s_or_b32 exec_lo, exec_lo, s15
.LBB333_967:                            ;   in Loop: Header=BB333_516 Depth=1
	s_delay_alu instid0(SALU_CYCLE_1)
	s_or_b32 exec_lo, exec_lo, s13
.LBB333_968:                            ;   in Loop: Header=BB333_516 Depth=1
	s_delay_alu instid0(SALU_CYCLE_1) | instskip(NEXT) | instid1(SALU_CYCLE_1)
	s_or_b32 exec_lo, exec_lo, s12
	s_mov_b32 s12, exec_lo
	v_cmpx_lt_u64_e64 s[8:9], v[11:12]
	s_cbranch_execz .LBB333_976
; %bb.969:                              ;   in Loop: Header=BB333_516 Depth=1
	v_lshrrev_b32_e32 v11, 24, v12
	v_bfrev_b32_e32 v86, 1
	s_mov_b32 s13, exec_lo
	s_delay_alu instid0(VALU_DEP_2)
	v_cmpx_ne_u32_e32 0x80, v11
	s_cbranch_execz .LBB333_975
; %bb.970:                              ;   in Loop: Header=BB333_516 Depth=1
	v_and_b32_e32 v87, 0x7f, v11
	v_mov_b32_e32 v86, 0x7fc02000
	s_mov_b32 s15, exec_lo
	s_delay_alu instid0(VALU_DEP_2)
	v_cmpx_ne_u32_e32 0x7f, v87
	s_cbranch_execz .LBB333_974
; %bb.971:                              ;   in Loop: Header=BB333_516 Depth=1
	v_and_b32_e32 v2, 7, v11
	v_lshrrev_b32_e32 v12, 3, v87
	s_mov_b32 s16, exec_lo
	v_cmpx_gt_u32_e32 8, v87
; %bb.972:                              ;   in Loop: Header=BB333_516 Depth=1
	s_delay_alu instid0(VALU_DEP_3) | instskip(NEXT) | instid1(VALU_DEP_1)
	v_clz_i32_u32_e32 v12, v2
	v_min_u32_e32 v12, 32, v12
	s_delay_alu instid0(VALU_DEP_1) | instskip(SKIP_1) | instid1(VALU_DEP_2)
	v_subrev_nc_u32_e32 v86, 28, v12
	v_sub_nc_u32_e32 v12, 29, v12
	v_lshlrev_b64 v[86:87], v86, v[2:3]
	s_delay_alu instid0(VALU_DEP_1)
	v_and_b32_e32 v2, 7, v86
; %bb.973:                              ;   in Loop: Header=BB333_516 Depth=1
	s_or_b32 exec_lo, exec_lo, s16
	v_lshlrev_b32_e32 v11, 8, v11
	v_lshl_add_u32 v12, v12, 10, 0x2000
	s_delay_alu instid0(VALU_DEP_1) | instskip(NEXT) | instid1(VALU_DEP_1)
	v_and_or_b32 v11, 0x8000, v11, v12
	v_lshl_or_b32 v2, v2, 7, v11
	s_delay_alu instid0(VALU_DEP_1)
	v_cvt_f32_f16_e32 v86, v2
.LBB333_974:                            ;   in Loop: Header=BB333_516 Depth=1
	s_or_b32 exec_lo, exec_lo, s15
.LBB333_975:                            ;   in Loop: Header=BB333_516 Depth=1
	s_delay_alu instid0(SALU_CYCLE_1)
	s_or_b32 exec_lo, exec_lo, s13
.LBB333_976:                            ;   in Loop: Header=BB333_516 Depth=1
	s_delay_alu instid0(SALU_CYCLE_1)
	s_or_b32 exec_lo, exec_lo, s12
	s_waitcnt vmcnt(0) lgkmcnt(0)
	v_fma_mixlo_f16 v12, v80, v82, 0
	v_fma_mixlo_f16 v2, v80, v84, 0
	;; [unrolled: 1-line block ×5, first 2 shown]
	v_lshlrev_b32_e32 v82, 16, v12
	v_fma_mixlo_f16 v13, v80, v13, 0
	v_fma_mixlo_f16 v84, v80, v86, 0
	;; [unrolled: 1-line block ×3, first 2 shown]
	v_lshlrev_b32_e32 v2, 16, v2
	v_and_b32_e32 v11, 0xffff, v11
	v_and_b32_e32 v14, 0xffff, v81
	v_lshlrev_b32_e32 v80, 16, v83
	v_and_b32_e32 v81, 0xffff, v13
	v_lshlrev_b32_e32 v83, 16, v84
	v_and_b32_e32 v84, 0xffff, v12
	v_or_b32_e32 v13, v2, v11
	v_or_b32_e32 v14, v82, v14
	;; [unrolled: 1-line block ×3, first 2 shown]
	s_delay_alu instid0(VALU_DEP_4)
	v_or_b32_e32 v11, v83, v84
	s_and_saveexec_b32 s12, s0
	s_cbranch_execz .LBB333_978
; %bb.977:                              ;   in Loop: Header=BB333_516 Depth=1
	v_add_nc_u32_e32 v80, 1, v17
	v_lshrrev_b32_e32 v81, 16, v14
	v_or_b32_e32 v82, 3, v17
	v_lshrrev_b32_e32 v83, 16, v13
	v_lshrrev_b32_e32 v84, 16, v2
	v_cmp_lt_i32_e64 s1, v80, v49
	v_lshrrev_b32_e32 v11, 16, v11
	v_or_b32_e32 v85, 6, v17
	s_delay_alu instid0(VALU_DEP_3) | instskip(SKIP_2) | instid1(VALU_DEP_2)
	v_cndmask_b32_e64 v80, 0, v81, s1
	v_cmp_lt_i32_e64 s1, v17, v32
	v_or_b32_e32 v81, 2, v17
	v_cndmask_b32_e64 v14, 0, v14, s1
	v_cmp_lt_i32_e64 s1, v82, v49
	s_delay_alu instid0(VALU_DEP_2) | instskip(NEXT) | instid1(VALU_DEP_2)
	v_perm_b32 v14, v80, v14, 0x5040100
	v_cndmask_b32_e64 v82, 0, v83, s1
	v_or_b32_e32 v83, 5, v17
	v_cmp_lt_i32_e64 s1, v81, v32
	v_or_b32_e32 v81, 4, v17
	s_delay_alu instid0(VALU_DEP_2) | instskip(NEXT) | instid1(VALU_DEP_4)
	v_cndmask_b32_e64 v13, 0, v13, s1
	v_cmp_lt_i32_e64 s1, v83, v49
	s_delay_alu instid0(VALU_DEP_2) | instskip(NEXT) | instid1(VALU_DEP_2)
	v_perm_b32 v13, v82, v13, 0x5040100
	v_cndmask_b32_e64 v83, 0, v84, s1
	v_or_b32_e32 v84, 7, v17
	v_cmp_lt_i32_e64 s1, v81, v32
	s_delay_alu instid0(VALU_DEP_1) | instskip(NEXT) | instid1(VALU_DEP_3)
	v_cndmask_b32_e64 v2, 0, v2, s1
	v_cmp_lt_i32_e64 s1, v84, v49
	s_delay_alu instid0(VALU_DEP_2) | instskip(NEXT) | instid1(VALU_DEP_2)
	v_perm_b32 v2, v83, v2, 0x5040100
	v_cndmask_b32_e64 v11, 0, v11, s1
	v_cmp_lt_i32_e64 s1, v85, v32
	s_delay_alu instid0(VALU_DEP_1) | instskip(NEXT) | instid1(VALU_DEP_1)
	v_cndmask_b32_e64 v12, 0, v12, s1
	v_perm_b32 v11, v11, v12, 0x5040100
.LBB333_978:                            ;   in Loop: Header=BB333_516 Depth=1
	s_or_b32 exec_lo, exec_lo, s12
	;;#ASMSTART
	v_pk_mul_f16 v12, v55, v14;

	;;#ASMEND
	;;#ASMSTART
	v_pk_mul_f16 v13, v54, v13;

	;;#ASMEND
	;; [unrolled: 4-line block ×4, first 2 shown]
	;;#ASMSTART
	v_pk_add_f16 v12, v12, v13;

	;;#ASMEND
	;;#ASMSTART
	v_pk_add_f16 v2, v12, v2;

	;;#ASMEND
	;; [unrolled: 4-line block ×3, first 2 shown]
	v_and_b32_e32 v11, 0xffff, v2
	v_lshrrev_b32_e32 v2, 16, v2
	;;#ASMSTART
	v_cvt_f32_f16 v13, v11;
	;;#ASMEND
	;;#ASMSTART
	v_cvt_f32_f16 v14, v2;
	;;#ASMEND
	s_and_saveexec_b32 s12, vcc_lo
	s_cbranch_execz .LBB333_515
; %bb.979:                              ;   in Loop: Header=BB333_516 Depth=1
	v_add_co_u32 v9, s1, v9, v38
	s_delay_alu instid0(VALU_DEP_1)
	v_add_co_ci_u32_e64 v10, s1, 0, v10, s1
	v_mov_b32_e32 v82, 0
	s_mov_b32 s13, exec_lo
	flat_load_b64 v[9:10], v[9:10]
	flat_load_b32 v80, v[26:27]
	s_waitcnt vmcnt(1) lgkmcnt(1)
	v_dual_mov_b32 v81, 0 :: v_dual_and_b32 v2, 0xff, v9
	s_delay_alu instid0(VALU_DEP_1)
	v_cmpx_ne_u16_e32 0, v2
	s_cbranch_execz .LBB333_987
; %bb.980:                              ;   in Loop: Header=BB333_516 Depth=1
	v_bfrev_b32_e32 v81, 1
	s_mov_b32 s15, exec_lo
	v_cmpx_ne_u16_e32 0x80, v2
	s_cbranch_execz .LBB333_986
; %bb.981:                              ;   in Loop: Header=BB333_516 Depth=1
	v_and_b32_e32 v11, 0x7f, v9
	v_mov_b32_e32 v81, 0x7fc02000
	s_mov_b32 s16, exec_lo
	s_delay_alu instid0(VALU_DEP_2)
	v_cmpx_ne_u32_e32 0x7f, v11
	s_cbranch_execz .LBB333_985
; %bb.982:                              ;   in Loop: Header=BB333_516 Depth=1
	v_lshrrev_b32_e32 v2, 3, v11
	v_cmp_gt_u32_e64 s1, 8, v11
	v_dual_mov_b32 v12, v10 :: v_dual_mov_b32 v11, v9
	s_delay_alu instid0(VALU_DEP_2)
	s_and_saveexec_b32 s17, s1
; %bb.983:                              ;   in Loop: Header=BB333_516 Depth=1
	v_and_b32_e32 v2, 7, v9
	s_delay_alu instid0(VALU_DEP_1) | instskip(NEXT) | instid1(VALU_DEP_1)
	v_clz_i32_u32_e32 v2, v2
	v_min_u32_e32 v2, 32, v2
	s_delay_alu instid0(VALU_DEP_1) | instskip(SKIP_1) | instid1(VALU_DEP_2)
	v_subrev_nc_u32_e32 v11, 28, v2
	v_sub_nc_u32_e32 v2, 29, v2
	v_lshlrev_b64 v[11:12], v11, v[9:10]
; %bb.984:                              ;   in Loop: Header=BB333_516 Depth=1
	s_or_b32 exec_lo, exec_lo, s17
	v_lshlrev_b32_e32 v12, 8, v9
	s_delay_alu instid0(VALU_DEP_3) | instskip(NEXT) | instid1(VALU_DEP_3)
	v_lshl_add_u32 v2, v2, 10, 0x2000
	v_lshlrev_b32_e32 v11, 7, v11
	s_delay_alu instid0(VALU_DEP_2) | instskip(NEXT) | instid1(VALU_DEP_1)
	v_and_or_b32 v2, 0x8000, v12, v2
	v_and_or_b32 v2, 0x380, v11, v2
	s_delay_alu instid0(VALU_DEP_1)
	v_cvt_f32_f16_e32 v81, v2
.LBB333_985:                            ;   in Loop: Header=BB333_516 Depth=1
	s_or_b32 exec_lo, exec_lo, s16
.LBB333_986:                            ;   in Loop: Header=BB333_516 Depth=1
	s_delay_alu instid0(SALU_CYCLE_1)
	s_or_b32 exec_lo, exec_lo, s15
.LBB333_987:                            ;   in Loop: Header=BB333_516 Depth=1
	s_delay_alu instid0(SALU_CYCLE_1) | instskip(SKIP_2) | instid1(VALU_DEP_1)
	s_or_b32 exec_lo, exec_lo, s13
	v_lshrrev_b16 v2, 8, v9
	s_mov_b32 s13, exec_lo
	v_cmpx_ne_u16_e32 0, v2
	s_cbranch_execz .LBB333_995
; %bb.988:                              ;   in Loop: Header=BB333_516 Depth=1
	v_bfrev_b32_e32 v82, 1
	s_mov_b32 s15, exec_lo
	v_cmpx_ne_u16_e32 0x80, v2
	s_cbranch_execz .LBB333_994
; %bb.989:                              ;   in Loop: Header=BB333_516 Depth=1
	v_and_b32_e32 v11, 0xffff, v2
	v_mov_b32_e32 v82, 0x7fc02000
	s_mov_b32 s16, exec_lo
	s_delay_alu instid0(VALU_DEP_2) | instskip(NEXT) | instid1(VALU_DEP_1)
	v_and_b32_e32 v83, 0x7f, v11
	v_cmpx_ne_u32_e32 0x7f, v83
	s_cbranch_execz .LBB333_993
; %bb.990:                              ;   in Loop: Header=BB333_516 Depth=1
	v_and_b32_e32 v2, 7, v11
	v_lshrrev_b32_e32 v12, 3, v83
	s_mov_b32 s17, exec_lo
	v_cmpx_gt_u32_e32 8, v83
; %bb.991:                              ;   in Loop: Header=BB333_516 Depth=1
	s_delay_alu instid0(VALU_DEP_3) | instskip(NEXT) | instid1(VALU_DEP_1)
	v_clz_i32_u32_e32 v12, v2
	v_min_u32_e32 v12, 32, v12
	s_delay_alu instid0(VALU_DEP_1) | instskip(SKIP_1) | instid1(VALU_DEP_2)
	v_subrev_nc_u32_e32 v82, 28, v12
	v_sub_nc_u32_e32 v12, 29, v12
	v_lshlrev_b64 v[82:83], v82, v[2:3]
	s_delay_alu instid0(VALU_DEP_1)
	v_and_b32_e32 v2, 7, v82
; %bb.992:                              ;   in Loop: Header=BB333_516 Depth=1
	s_or_b32 exec_lo, exec_lo, s17
	v_lshlrev_b32_e32 v11, 8, v11
	v_lshl_add_u32 v12, v12, 10, 0x2000
	s_delay_alu instid0(VALU_DEP_1) | instskip(NEXT) | instid1(VALU_DEP_1)
	v_and_or_b32 v11, 0x8000, v11, v12
	v_lshl_or_b32 v2, v2, 7, v11
	s_delay_alu instid0(VALU_DEP_1)
	v_cvt_f32_f16_e32 v82, v2
.LBB333_993:                            ;   in Loop: Header=BB333_516 Depth=1
	s_or_b32 exec_lo, exec_lo, s16
.LBB333_994:                            ;   in Loop: Header=BB333_516 Depth=1
	s_delay_alu instid0(SALU_CYCLE_1)
	s_or_b32 exec_lo, exec_lo, s15
.LBB333_995:                            ;   in Loop: Header=BB333_516 Depth=1
	s_delay_alu instid0(SALU_CYCLE_1) | instskip(SKIP_3) | instid1(VALU_DEP_2)
	s_or_b32 exec_lo, exec_lo, s13
	v_lshrrev_b32_e32 v11, 16, v9
	v_mov_b32_e32 v84, 0
	s_mov_b32 s13, exec_lo
	v_dual_mov_b32 v83, 0 :: v_dual_and_b32 v2, 0xff, v11
	s_delay_alu instid0(VALU_DEP_1)
	v_cmpx_ne_u16_e32 0, v2
	s_cbranch_execz .LBB333_1003
; %bb.996:                              ;   in Loop: Header=BB333_516 Depth=1
	v_bfrev_b32_e32 v83, 1
	s_mov_b32 s15, exec_lo
	v_cmpx_ne_u16_e32 0x80, v2
	s_cbranch_execz .LBB333_1002
; %bb.997:                              ;   in Loop: Header=BB333_516 Depth=1
	v_bfe_u32 v85, v9, 16, 7
	v_mov_b32_e32 v83, 0x7fc02000
	s_mov_b32 s16, exec_lo
	s_delay_alu instid0(VALU_DEP_2)
	v_cmpx_ne_u32_e32 0x7f, v85
	s_cbranch_execz .LBB333_1001
; %bb.998:                              ;   in Loop: Header=BB333_516 Depth=1
	v_and_b32_e32 v2, 7, v11
	v_lshrrev_b32_e32 v12, 3, v85
	s_mov_b32 s17, exec_lo
	v_cmpx_gt_u32_e32 8, v85
; %bb.999:                              ;   in Loop: Header=BB333_516 Depth=1
	s_delay_alu instid0(VALU_DEP_3) | instskip(NEXT) | instid1(VALU_DEP_1)
	v_clz_i32_u32_e32 v12, v2
	v_min_u32_e32 v12, 32, v12
	s_delay_alu instid0(VALU_DEP_1) | instskip(SKIP_1) | instid1(VALU_DEP_2)
	v_subrev_nc_u32_e32 v83, 28, v12
	v_sub_nc_u32_e32 v12, 29, v12
	v_lshlrev_b64 v[85:86], v83, v[2:3]
	s_delay_alu instid0(VALU_DEP_1)
	v_and_b32_e32 v2, 7, v85
; %bb.1000:                             ;   in Loop: Header=BB333_516 Depth=1
	s_or_b32 exec_lo, exec_lo, s17
	v_lshlrev_b32_e32 v11, 8, v11
	v_lshl_add_u32 v12, v12, 10, 0x2000
	s_delay_alu instid0(VALU_DEP_1) | instskip(NEXT) | instid1(VALU_DEP_1)
	v_and_or_b32 v11, 0x8000, v11, v12
	v_lshl_or_b32 v2, v2, 7, v11
	s_delay_alu instid0(VALU_DEP_1)
	v_cvt_f32_f16_e32 v83, v2
.LBB333_1001:                           ;   in Loop: Header=BB333_516 Depth=1
	s_or_b32 exec_lo, exec_lo, s16
.LBB333_1002:                           ;   in Loop: Header=BB333_516 Depth=1
	s_delay_alu instid0(SALU_CYCLE_1)
	s_or_b32 exec_lo, exec_lo, s15
.LBB333_1003:                           ;   in Loop: Header=BB333_516 Depth=1
	s_delay_alu instid0(SALU_CYCLE_1) | instskip(NEXT) | instid1(SALU_CYCLE_1)
	s_or_b32 exec_lo, exec_lo, s13
	s_mov_b32 s13, exec_lo
	v_cmpx_lt_u32_e32 0xffffff, v9
	s_cbranch_execz .LBB333_1011
; %bb.1004:                             ;   in Loop: Header=BB333_516 Depth=1
	v_lshrrev_b32_e32 v11, 24, v9
	v_bfrev_b32_e32 v84, 1
	s_mov_b32 s15, exec_lo
	s_delay_alu instid0(VALU_DEP_2)
	v_cmpx_ne_u32_e32 0x80, v11
	s_cbranch_execz .LBB333_1010
; %bb.1005:                             ;   in Loop: Header=BB333_516 Depth=1
	v_and_b32_e32 v85, 0x7f, v11
	v_mov_b32_e32 v84, 0x7fc02000
	s_mov_b32 s16, exec_lo
	s_delay_alu instid0(VALU_DEP_2)
	v_cmpx_ne_u32_e32 0x7f, v85
	s_cbranch_execz .LBB333_1009
; %bb.1006:                             ;   in Loop: Header=BB333_516 Depth=1
	v_and_b32_e32 v2, 7, v11
	v_lshrrev_b32_e32 v12, 3, v85
	s_mov_b32 s17, exec_lo
	v_cmpx_gt_u32_e32 8, v85
; %bb.1007:                             ;   in Loop: Header=BB333_516 Depth=1
	s_delay_alu instid0(VALU_DEP_3) | instskip(NEXT) | instid1(VALU_DEP_1)
	v_clz_i32_u32_e32 v12, v2
	v_min_u32_e32 v12, 32, v12
	s_delay_alu instid0(VALU_DEP_1) | instskip(SKIP_1) | instid1(VALU_DEP_2)
	v_subrev_nc_u32_e32 v84, 28, v12
	v_sub_nc_u32_e32 v12, 29, v12
	v_lshlrev_b64 v[84:85], v84, v[2:3]
	s_delay_alu instid0(VALU_DEP_1)
	v_and_b32_e32 v2, 7, v84
; %bb.1008:                             ;   in Loop: Header=BB333_516 Depth=1
	s_or_b32 exec_lo, exec_lo, s17
	v_lshlrev_b32_e32 v11, 8, v11
	v_lshl_add_u32 v12, v12, 10, 0x2000
	s_delay_alu instid0(VALU_DEP_1) | instskip(NEXT) | instid1(VALU_DEP_1)
	v_and_or_b32 v11, 0x8000, v11, v12
	v_lshl_or_b32 v2, v2, 7, v11
	s_delay_alu instid0(VALU_DEP_1)
	v_cvt_f32_f16_e32 v84, v2
.LBB333_1009:                           ;   in Loop: Header=BB333_516 Depth=1
	s_or_b32 exec_lo, exec_lo, s16
.LBB333_1010:                           ;   in Loop: Header=BB333_516 Depth=1
	s_delay_alu instid0(SALU_CYCLE_1)
	s_or_b32 exec_lo, exec_lo, s15
.LBB333_1011:                           ;   in Loop: Header=BB333_516 Depth=1
	s_delay_alu instid0(SALU_CYCLE_1) | instskip(SKIP_3) | instid1(VALU_DEP_2)
	s_or_b32 exec_lo, exec_lo, s13
	v_dual_mov_b32 v85, 0 :: v_dual_and_b32 v12, 0xff, v10
	v_dual_mov_b32 v2, v10 :: v_dual_mov_b32 v11, 0
	s_mov_b32 s13, exec_lo
	v_cmpx_ne_u16_e32 0, v12
	s_cbranch_execz .LBB333_1019
; %bb.1012:                             ;   in Loop: Header=BB333_516 Depth=1
	v_bfrev_b32_e32 v11, 1
	s_mov_b32 s15, exec_lo
	v_cmpx_ne_u16_e32 0x80, v12
	s_cbranch_execz .LBB333_1018
; %bb.1013:                             ;   in Loop: Header=BB333_516 Depth=1
	v_and_b32_e32 v12, 0x7f, v10
	v_mov_b32_e32 v11, 0x7fc02000
	s_mov_b32 s16, exec_lo
	s_delay_alu instid0(VALU_DEP_2)
	v_cmpx_ne_u32_e32 0x7f, v12
	s_cbranch_execz .LBB333_1017
; %bb.1014:                             ;   in Loop: Header=BB333_516 Depth=1
	v_lshrrev_b32_e32 v86, 3, v12
	v_cmp_gt_u32_e64 s1, 8, v12
	v_dual_mov_b32 v12, v3 :: v_dual_mov_b32 v11, v2
	s_delay_alu instid0(VALU_DEP_2)
	s_and_saveexec_b32 s17, s1
; %bb.1015:                             ;   in Loop: Header=BB333_516 Depth=1
	v_and_b32_e32 v11, 7, v10
	s_delay_alu instid0(VALU_DEP_1) | instskip(NEXT) | instid1(VALU_DEP_1)
	v_clz_i32_u32_e32 v11, v11
	v_min_u32_e32 v86, 32, v11
	s_delay_alu instid0(VALU_DEP_1) | instskip(SKIP_1) | instid1(VALU_DEP_2)
	v_subrev_nc_u32_e32 v11, 28, v86
	v_sub_nc_u32_e32 v86, 29, v86
	v_lshlrev_b64 v[11:12], v11, v[2:3]
; %bb.1016:                             ;   in Loop: Header=BB333_516 Depth=1
	s_or_b32 exec_lo, exec_lo, s17
	v_lshlrev_b32_e32 v12, 8, v10
	s_delay_alu instid0(VALU_DEP_3) | instskip(NEXT) | instid1(VALU_DEP_3)
	v_lshl_add_u32 v86, v86, 10, 0x2000
	v_lshlrev_b32_e32 v11, 7, v11
	s_delay_alu instid0(VALU_DEP_2) | instskip(NEXT) | instid1(VALU_DEP_1)
	v_and_or_b32 v12, 0x8000, v12, v86
	v_and_or_b32 v11, 0x380, v11, v12
	s_delay_alu instid0(VALU_DEP_1)
	v_cvt_f32_f16_e32 v11, v11
.LBB333_1017:                           ;   in Loop: Header=BB333_516 Depth=1
	s_or_b32 exec_lo, exec_lo, s16
.LBB333_1018:                           ;   in Loop: Header=BB333_516 Depth=1
	s_delay_alu instid0(SALU_CYCLE_1)
	s_or_b32 exec_lo, exec_lo, s15
.LBB333_1019:                           ;   in Loop: Header=BB333_516 Depth=1
	s_delay_alu instid0(SALU_CYCLE_1) | instskip(SKIP_2) | instid1(VALU_DEP_1)
	s_or_b32 exec_lo, exec_lo, s13
	v_lshrrev_b16 v2, 8, v2
	s_mov_b32 s13, exec_lo
	v_cmpx_ne_u16_e32 0, v2
	s_cbranch_execz .LBB333_1027
; %bb.1020:                             ;   in Loop: Header=BB333_516 Depth=1
	v_bfrev_b32_e32 v85, 1
	s_mov_b32 s15, exec_lo
	v_cmpx_ne_u16_e32 0x80, v2
	s_cbranch_execz .LBB333_1026
; %bb.1021:                             ;   in Loop: Header=BB333_516 Depth=1
	v_and_b32_e32 v12, 0xffff, v2
	v_mov_b32_e32 v85, 0x7fc02000
	s_mov_b32 s16, exec_lo
	s_delay_alu instid0(VALU_DEP_2) | instskip(NEXT) | instid1(VALU_DEP_1)
	v_and_b32_e32 v86, 0x7f, v12
	v_cmpx_ne_u32_e32 0x7f, v86
	s_cbranch_execz .LBB333_1025
; %bb.1022:                             ;   in Loop: Header=BB333_516 Depth=1
	v_and_b32_e32 v2, 7, v12
	v_lshrrev_b32_e32 v85, 3, v86
	s_mov_b32 s17, exec_lo
	v_cmpx_gt_u32_e32 8, v86
; %bb.1023:                             ;   in Loop: Header=BB333_516 Depth=1
	s_delay_alu instid0(VALU_DEP_3) | instskip(NEXT) | instid1(VALU_DEP_1)
	v_clz_i32_u32_e32 v85, v2
	v_min_u32_e32 v85, 32, v85
	s_delay_alu instid0(VALU_DEP_1) | instskip(SKIP_1) | instid1(VALU_DEP_2)
	v_subrev_nc_u32_e32 v86, 28, v85
	v_sub_nc_u32_e32 v85, 29, v85
	v_lshlrev_b64 v[86:87], v86, v[2:3]
	s_delay_alu instid0(VALU_DEP_1)
	v_and_b32_e32 v2, 7, v86
; %bb.1024:                             ;   in Loop: Header=BB333_516 Depth=1
	s_or_b32 exec_lo, exec_lo, s17
	v_lshlrev_b32_e32 v12, 8, v12
	v_lshl_add_u32 v85, v85, 10, 0x2000
	s_delay_alu instid0(VALU_DEP_1) | instskip(NEXT) | instid1(VALU_DEP_1)
	v_and_or_b32 v12, 0x8000, v12, v85
	v_lshl_or_b32 v2, v2, 7, v12
	s_delay_alu instid0(VALU_DEP_1)
	v_cvt_f32_f16_e32 v85, v2
.LBB333_1025:                           ;   in Loop: Header=BB333_516 Depth=1
	s_or_b32 exec_lo, exec_lo, s16
.LBB333_1026:                           ;   in Loop: Header=BB333_516 Depth=1
	s_delay_alu instid0(SALU_CYCLE_1)
	s_or_b32 exec_lo, exec_lo, s15
.LBB333_1027:                           ;   in Loop: Header=BB333_516 Depth=1
	s_delay_alu instid0(SALU_CYCLE_1) | instskip(SKIP_4) | instid1(VALU_DEP_3)
	s_or_b32 exec_lo, exec_lo, s13
	v_lshrrev_b32_e32 v87, 16, v10
	v_mov_b32_e32 v86, 0
	v_mov_b32_e32 v12, 0
	s_mov_b32 s13, exec_lo
	v_and_b32_e32 v2, 0xff, v87
	s_delay_alu instid0(VALU_DEP_1)
	v_cmpx_ne_u16_e32 0, v2
	s_cbranch_execz .LBB333_1035
; %bb.1028:                             ;   in Loop: Header=BB333_516 Depth=1
	v_bfrev_b32_e32 v12, 1
	s_mov_b32 s15, exec_lo
	v_cmpx_ne_u16_e32 0x80, v2
	s_cbranch_execz .LBB333_1034
; %bb.1029:                             ;   in Loop: Header=BB333_516 Depth=1
	v_bfe_u32 v96, v10, 16, 7
	v_mov_b32_e32 v12, 0x7fc02000
	s_mov_b32 s16, exec_lo
	s_delay_alu instid0(VALU_DEP_2)
	v_cmpx_ne_u32_e32 0x7f, v96
	s_cbranch_execz .LBB333_1033
; %bb.1030:                             ;   in Loop: Header=BB333_516 Depth=1
	v_and_b32_e32 v2, 7, v87
	v_lshrrev_b32_e32 v12, 3, v96
	s_mov_b32 s17, exec_lo
	v_cmpx_gt_u32_e32 8, v96
; %bb.1031:                             ;   in Loop: Header=BB333_516 Depth=1
	s_delay_alu instid0(VALU_DEP_3) | instskip(NEXT) | instid1(VALU_DEP_1)
	v_clz_i32_u32_e32 v12, v2
	v_min_u32_e32 v12, 32, v12
	s_delay_alu instid0(VALU_DEP_1) | instskip(SKIP_1) | instid1(VALU_DEP_2)
	v_subrev_nc_u32_e32 v96, 28, v12
	v_sub_nc_u32_e32 v12, 29, v12
	v_lshlrev_b64 v[96:97], v96, v[2:3]
	s_delay_alu instid0(VALU_DEP_1)
	v_and_b32_e32 v2, 7, v96
; %bb.1032:                             ;   in Loop: Header=BB333_516 Depth=1
	s_or_b32 exec_lo, exec_lo, s17
	v_lshlrev_b32_e32 v87, 8, v87
	v_lshl_add_u32 v12, v12, 10, 0x2000
	s_delay_alu instid0(VALU_DEP_1) | instskip(NEXT) | instid1(VALU_DEP_1)
	v_and_or_b32 v12, 0x8000, v87, v12
	v_lshl_or_b32 v2, v2, 7, v12
	s_delay_alu instid0(VALU_DEP_1)
	v_cvt_f32_f16_e32 v12, v2
.LBB333_1033:                           ;   in Loop: Header=BB333_516 Depth=1
	s_or_b32 exec_lo, exec_lo, s16
.LBB333_1034:                           ;   in Loop: Header=BB333_516 Depth=1
	s_delay_alu instid0(SALU_CYCLE_1)
	s_or_b32 exec_lo, exec_lo, s15
.LBB333_1035:                           ;   in Loop: Header=BB333_516 Depth=1
	s_delay_alu instid0(SALU_CYCLE_1) | instskip(NEXT) | instid1(SALU_CYCLE_1)
	s_or_b32 exec_lo, exec_lo, s13
	s_mov_b32 s13, exec_lo
	v_cmpx_lt_u64_e64 s[8:9], v[9:10]
	s_cbranch_execz .LBB333_1043
; %bb.1036:                             ;   in Loop: Header=BB333_516 Depth=1
	v_lshrrev_b32_e32 v9, 24, v10
	v_bfrev_b32_e32 v86, 1
	s_mov_b32 s15, exec_lo
	s_delay_alu instid0(VALU_DEP_2)
	v_cmpx_ne_u32_e32 0x80, v9
	s_cbranch_execz .LBB333_1042
; %bb.1037:                             ;   in Loop: Header=BB333_516 Depth=1
	v_and_b32_e32 v87, 0x7f, v9
	v_mov_b32_e32 v86, 0x7fc02000
	s_mov_b32 s16, exec_lo
	s_delay_alu instid0(VALU_DEP_2)
	v_cmpx_ne_u32_e32 0x7f, v87
	s_cbranch_execz .LBB333_1041
; %bb.1038:                             ;   in Loop: Header=BB333_516 Depth=1
	v_and_b32_e32 v2, 7, v9
	v_lshrrev_b32_e32 v10, 3, v87
	s_mov_b32 s17, exec_lo
	v_cmpx_gt_u32_e32 8, v87
; %bb.1039:                             ;   in Loop: Header=BB333_516 Depth=1
	s_delay_alu instid0(VALU_DEP_3) | instskip(NEXT) | instid1(VALU_DEP_1)
	v_clz_i32_u32_e32 v10, v2
	v_min_u32_e32 v10, 32, v10
	s_delay_alu instid0(VALU_DEP_1) | instskip(SKIP_1) | instid1(VALU_DEP_2)
	v_subrev_nc_u32_e32 v86, 28, v10
	v_sub_nc_u32_e32 v10, 29, v10
	v_lshlrev_b64 v[86:87], v86, v[2:3]
	s_delay_alu instid0(VALU_DEP_1)
	v_and_b32_e32 v2, 7, v86
; %bb.1040:                             ;   in Loop: Header=BB333_516 Depth=1
	s_or_b32 exec_lo, exec_lo, s17
	v_lshlrev_b32_e32 v9, 8, v9
	v_lshl_add_u32 v10, v10, 10, 0x2000
	s_delay_alu instid0(VALU_DEP_1) | instskip(NEXT) | instid1(VALU_DEP_1)
	v_and_or_b32 v9, 0x8000, v9, v10
	v_lshl_or_b32 v2, v2, 7, v9
	s_delay_alu instid0(VALU_DEP_1)
	v_cvt_f32_f16_e32 v86, v2
.LBB333_1041:                           ;   in Loop: Header=BB333_516 Depth=1
	s_or_b32 exec_lo, exec_lo, s16
.LBB333_1042:                           ;   in Loop: Header=BB333_516 Depth=1
	s_delay_alu instid0(SALU_CYCLE_1)
	s_or_b32 exec_lo, exec_lo, s15
.LBB333_1043:                           ;   in Loop: Header=BB333_516 Depth=1
	s_delay_alu instid0(SALU_CYCLE_1)
	s_or_b32 exec_lo, exec_lo, s13
	s_waitcnt vmcnt(0) lgkmcnt(0)
	v_fma_mixlo_f16 v10, v80, v82, 0
	v_fma_mixlo_f16 v2, v80, v84, 0
	v_fma_mixlo_f16 v9, v80, v83, 0
	v_fma_mixlo_f16 v81, v80, v81, 0
	v_fma_mixlo_f16 v83, v80, v85, 0
	v_lshlrev_b32_e32 v82, 16, v10
	v_fma_mixlo_f16 v11, v80, v11, 0
	v_fma_mixlo_f16 v84, v80, v86, 0
	;; [unrolled: 1-line block ×3, first 2 shown]
	v_lshlrev_b32_e32 v2, 16, v2
	v_and_b32_e32 v9, 0xffff, v9
	v_and_b32_e32 v12, 0xffff, v81
	v_lshlrev_b32_e32 v80, 16, v83
	v_and_b32_e32 v81, 0xffff, v11
	v_lshlrev_b32_e32 v83, 16, v84
	v_and_b32_e32 v84, 0xffff, v10
	v_or_b32_e32 v11, v2, v9
	v_or_b32_e32 v12, v82, v12
	;; [unrolled: 1-line block ×3, first 2 shown]
	s_delay_alu instid0(VALU_DEP_4)
	v_or_b32_e32 v9, v83, v84
	s_and_saveexec_b32 s1, s0
	s_cbranch_execz .LBB333_514
; %bb.1044:                             ;   in Loop: Header=BB333_516 Depth=1
	v_add_nc_u32_e32 v80, 1, v17
	v_lshrrev_b32_e32 v81, 16, v12
	v_or_b32_e32 v82, 3, v17
	v_lshrrev_b32_e32 v83, 16, v11
	v_lshrrev_b32_e32 v84, 16, v2
	v_cmp_lt_i32_e64 s0, v80, v49
	v_lshrrev_b32_e32 v9, 16, v9
	v_or_b32_e32 v85, 6, v17
	s_delay_alu instid0(VALU_DEP_3) | instskip(SKIP_2) | instid1(VALU_DEP_2)
	v_cndmask_b32_e64 v80, 0, v81, s0
	v_cmp_lt_i32_e64 s0, v17, v32
	v_or_b32_e32 v81, 2, v17
	v_cndmask_b32_e64 v12, 0, v12, s0
	v_cmp_lt_i32_e64 s0, v82, v49
	s_delay_alu instid0(VALU_DEP_2) | instskip(NEXT) | instid1(VALU_DEP_2)
	v_perm_b32 v12, v80, v12, 0x5040100
	v_cndmask_b32_e64 v82, 0, v83, s0
	v_or_b32_e32 v83, 5, v17
	v_cmp_lt_i32_e64 s0, v81, v32
	v_or_b32_e32 v81, 4, v17
	s_delay_alu instid0(VALU_DEP_2) | instskip(NEXT) | instid1(VALU_DEP_4)
	v_cndmask_b32_e64 v11, 0, v11, s0
	v_cmp_lt_i32_e64 s0, v83, v49
	s_delay_alu instid0(VALU_DEP_2) | instskip(NEXT) | instid1(VALU_DEP_2)
	v_perm_b32 v11, v82, v11, 0x5040100
	v_cndmask_b32_e64 v83, 0, v84, s0
	v_or_b32_e32 v84, 7, v17
	v_cmp_lt_i32_e64 s0, v81, v32
	s_delay_alu instid0(VALU_DEP_1) | instskip(NEXT) | instid1(VALU_DEP_3)
	v_cndmask_b32_e64 v2, 0, v2, s0
	v_cmp_lt_i32_e64 s0, v84, v49
	s_delay_alu instid0(VALU_DEP_2) | instskip(NEXT) | instid1(VALU_DEP_2)
	v_perm_b32 v2, v83, v2, 0x5040100
	v_cndmask_b32_e64 v9, 0, v9, s0
	v_cmp_lt_i32_e64 s0, v85, v32
	s_delay_alu instid0(VALU_DEP_1) | instskip(NEXT) | instid1(VALU_DEP_1)
	v_cndmask_b32_e64 v10, 0, v10, s0
	v_perm_b32 v9, v9, v10, 0x5040100
	s_branch .LBB333_514
.LBB333_1045:
	s_or_b32 exec_lo, exec_lo, s10
	v_dual_mov_b32 v0, s6 :: v_dual_mov_b32 v1, s7
.LBB333_1046:
	s_or_b32 exec_lo, exec_lo, s3
	s_delay_alu instid0(VALU_DEP_1)
	v_lshlrev_b64 v[0:1], 2, v[0:1]
	s_getpc_b64 s[0:1]
	s_add_u32 s0, s0, llvm.amdgcn.dynlds.offset.table@rel32@lo+4
	s_addc_u32 s1, s1, llvm.amdgcn.dynlds.offset.table@rel32@hi+12
	s_waitcnt lgkmcnt(0)
	s_waitcnt_vscnt null, 0x0
	s_barrier
	buffer_gl0_inv
	ds_bpermute_b32 v2, v19, v29
	v_add_co_u32 v0, vcc_lo, v0, s0
	v_add_co_ci_u32_e32 v1, vcc_lo, s1, v1, vcc_lo
	ds_bpermute_b32 v3, v19, v28
	ds_bpermute_b32 v11, v19, v25
	;; [unrolled: 1-line block ×3, first 2 shown]
	global_load_b32 v10, v[0:1], off
	ds_bpermute_b32 v0, v19, v48
	ds_bpermute_b32 v1, v19, v39
	;; [unrolled: 1-line block ×4, first 2 shown]
	v_cmp_eq_u32_e32 vcc_lo, 0, v33
	v_and_b32_e32 v15, 0x3c0, v31
	s_mov_b32 s1, exec_lo
	s_waitcnt lgkmcnt(6)
	v_dual_add_f32 v7, v29, v2 :: v_dual_add_f32 v6, v28, v3
	s_waitcnt lgkmcnt(4)
	v_dual_add_f32 v3, v25, v11 :: v_dual_add_f32 v2, v24, v12
	;; [unrolled: 2-line block ×4, first 2 shown]
	s_waitcnt vmcnt(0)
	v_mad_u32_u24 v10, 0x1e0, v34, v10
	v_cmpx_eq_u32_e32 64, v15
	s_cbranch_execz .LBB333_1051
; %bb.1047:
	s_delay_alu instid0(VALU_DEP_2) | instskip(NEXT) | instid1(VALU_DEP_1)
	v_add_nc_u32_e32 v11, 0xfffffc40, v10
	v_lshl_add_u32 v11, v18, 2, v11
	s_and_saveexec_b32 s0, vcc_lo
	s_cbranch_execz .LBB333_1049
; %bb.1048:
	ds_store_2addr_b32 v11, v9, v8 offset1:16
	ds_store_2addr_b32 v11, v7, v6 offset0:32 offset1:48
	ds_store_2addr_b32 v11, v3, v2 offset0:64 offset1:80
	ds_store_b32 v11, v1 offset:384
.LBB333_1049:
	s_or_b32 exec_lo, exec_lo, s0
	v_or_b32_e32 v12, 0x70, v18
	s_delay_alu instid0(VALU_DEP_1) | instskip(NEXT) | instid1(VALU_DEP_1)
	v_cmp_gt_u32_e64 s0, 0x78, v12
	s_and_b32 s0, vcc_lo, s0
	s_delay_alu instid0(SALU_CYCLE_1)
	s_and_b32 exec_lo, exec_lo, s0
	s_cbranch_execz .LBB333_1051
; %bb.1050:
	ds_store_b32 v11, v0 offset:448
.LBB333_1051:
	s_or_b32 exec_lo, exec_lo, s1
	s_delay_alu instid0(SALU_CYCLE_1)
	s_mov_b32 s1, exec_lo
	s_waitcnt lgkmcnt(0)
	s_barrier
	buffer_gl0_inv
	v_cmpx_gt_u32_e32 64, v31
	s_cbranch_execz .LBB333_1063
; %bb.1052:
	s_and_saveexec_b32 s0, vcc_lo
	s_cbranch_execnz .LBB333_1098
; %bb.1053:
	s_or_b32 exec_lo, exec_lo, s0
	s_and_saveexec_b32 s0, vcc_lo
	s_cbranch_execnz .LBB333_1099
.LBB333_1054:
	s_or_b32 exec_lo, exec_lo, s0
	s_and_saveexec_b32 s0, vcc_lo
	s_cbranch_execnz .LBB333_1100
.LBB333_1055:
	s_or_b32 exec_lo, exec_lo, s0
	s_and_saveexec_b32 s0, vcc_lo
	s_cbranch_execnz .LBB333_1101
.LBB333_1056:
	s_or_b32 exec_lo, exec_lo, s0
	s_and_saveexec_b32 s0, vcc_lo
	s_cbranch_execnz .LBB333_1102
.LBB333_1057:
	s_or_b32 exec_lo, exec_lo, s0
	s_and_saveexec_b32 s0, vcc_lo
	s_cbranch_execnz .LBB333_1103
.LBB333_1058:
	s_or_b32 exec_lo, exec_lo, s0
	s_and_saveexec_b32 s0, vcc_lo
	s_cbranch_execz .LBB333_1060
.LBB333_1059:
	v_lshl_add_u32 v11, v18, 2, v10
	ds_load_b32 v11, v11 offset:384
	s_waitcnt lgkmcnt(0)
	v_add_f32_e32 v1, v1, v11
.LBB333_1060:
	s_or_b32 exec_lo, exec_lo, s0
	v_or_b32_e32 v11, 0x70, v18
	s_delay_alu instid0(VALU_DEP_1) | instskip(NEXT) | instid1(VALU_DEP_1)
	v_cmp_gt_u32_e64 s0, 0x78, v11
	s_and_b32 s3, vcc_lo, s0
	s_delay_alu instid0(SALU_CYCLE_1)
	s_and_saveexec_b32 s0, s3
	s_cbranch_execz .LBB333_1062
; %bb.1061:
	v_lshl_add_u32 v11, v18, 2, v10
	ds_load_b32 v11, v11 offset:448
	s_waitcnt lgkmcnt(0)
	v_add_f32_e32 v0, v0, v11
.LBB333_1062:
	s_or_b32 exec_lo, exec_lo, s0
.LBB333_1063:
	s_delay_alu instid0(SALU_CYCLE_1)
	s_or_b32 exec_lo, exec_lo, s1
	v_and_b32_e32 v11, 0x3e0, v31
	s_mov_b32 s1, exec_lo
	s_barrier
	buffer_gl0_inv
	v_cmpx_eq_u32_e32 32, v11
	s_cbranch_execz .LBB333_1068
; %bb.1064:
	v_add_nc_u32_e32 v11, 0xfffffe20, v10
	s_delay_alu instid0(VALU_DEP_1)
	v_lshl_add_u32 v11, v18, 2, v11
	s_and_saveexec_b32 s0, vcc_lo
	s_cbranch_execz .LBB333_1066
; %bb.1065:
	ds_store_2addr_b32 v11, v9, v8 offset1:16
	ds_store_2addr_b32 v11, v7, v6 offset0:32 offset1:48
	ds_store_2addr_b32 v11, v3, v2 offset0:64 offset1:80
	ds_store_b32 v11, v1 offset:384
.LBB333_1066:
	s_or_b32 exec_lo, exec_lo, s0
	v_or_b32_e32 v12, 0x70, v18
	s_delay_alu instid0(VALU_DEP_1) | instskip(NEXT) | instid1(VALU_DEP_1)
	v_cmp_gt_u32_e64 s0, 0x78, v12
	s_and_b32 s0, vcc_lo, s0
	s_delay_alu instid0(SALU_CYCLE_1)
	s_and_b32 exec_lo, exec_lo, s0
	s_cbranch_execz .LBB333_1068
; %bb.1067:
	ds_store_b32 v11, v0 offset:448
.LBB333_1068:
	s_or_b32 exec_lo, exec_lo, s1
	v_cmp_gt_u32_e64 s0, 32, v31
	s_waitcnt lgkmcnt(0)
	s_barrier
	buffer_gl0_inv
	s_and_saveexec_b32 s3, s0
	s_cbranch_execz .LBB333_1080
; %bb.1069:
	v_lshl_add_u32 v10, v18, 2, v10
	s_and_saveexec_b32 s1, vcc_lo
	s_cbranch_execnz .LBB333_1104
; %bb.1070:
	s_or_b32 exec_lo, exec_lo, s1
	s_and_saveexec_b32 s1, vcc_lo
	s_cbranch_execnz .LBB333_1105
.LBB333_1071:
	s_or_b32 exec_lo, exec_lo, s1
	s_and_saveexec_b32 s1, vcc_lo
	s_cbranch_execnz .LBB333_1106
.LBB333_1072:
	s_or_b32 exec_lo, exec_lo, s1
	s_and_saveexec_b32 s1, vcc_lo
	s_cbranch_execnz .LBB333_1107
.LBB333_1073:
	s_or_b32 exec_lo, exec_lo, s1
	s_and_saveexec_b32 s1, vcc_lo
	s_cbranch_execnz .LBB333_1108
.LBB333_1074:
	s_or_b32 exec_lo, exec_lo, s1
	s_and_saveexec_b32 s1, vcc_lo
	s_cbranch_execnz .LBB333_1109
.LBB333_1075:
	s_or_b32 exec_lo, exec_lo, s1
	s_and_saveexec_b32 s1, vcc_lo
	s_cbranch_execz .LBB333_1077
.LBB333_1076:
	ds_load_b32 v11, v10 offset:384
	s_waitcnt lgkmcnt(0)
	v_add_f32_e32 v1, v1, v11
.LBB333_1077:
	s_or_b32 exec_lo, exec_lo, s1
	v_or_b32_e32 v11, 0x70, v18
	s_delay_alu instid0(VALU_DEP_1) | instskip(NEXT) | instid1(VALU_DEP_1)
	v_cmp_gt_u32_e64 s1, 0x78, v11
	s_and_b32 s6, vcc_lo, s1
	s_delay_alu instid0(SALU_CYCLE_1)
	s_and_saveexec_b32 s1, s6
	s_cbranch_execz .LBB333_1079
; %bb.1078:
	ds_load_b32 v10, v10 offset:448
	s_waitcnt lgkmcnt(0)
	v_add_f32_e32 v0, v0, v10
.LBB333_1079:
	s_or_b32 exec_lo, exec_lo, s1
.LBB333_1080:
	s_delay_alu instid0(SALU_CYCLE_1)
	s_or_b32 exec_lo, exec_lo, s3
	s_barrier
	buffer_gl0_inv
	s_and_b32 exec_lo, exec_lo, s0
	s_cbranch_execz .LBB333_1097
; %bb.1081:
	s_mul_i32 s0, s2, 0x78
	s_mul_i32 s2, s4, s5
	;; [unrolled: 1-line block ×3, first 2 shown]
	s_ashr_i32 s3, s2, 31
	s_ashr_i32 s5, s4, 31
	;; [unrolled: 1-line block ×3, first 2 shown]
	s_lshl_b64 s[2:3], s[2:3], 1
	s_lshl_b64 s[4:5], s[4:5], 1
	;; [unrolled: 1-line block ×3, first 2 shown]
	s_add_u32 s2, s4, s2
	s_addc_u32 s3, s5, s3
	s_add_u32 s0, s2, s0
	s_addc_u32 s1, s3, s1
	v_add_co_u32 v4, s0, s0, v4
	s_delay_alu instid0(VALU_DEP_1)
	v_add_co_ci_u32_e64 v5, s0, s1, v5, s0
	v_lshlrev_b32_e32 v10, 1, v30
	s_and_saveexec_b32 s1, vcc_lo
	s_cbranch_execz .LBB333_1083
; %bb.1082:
	s_delay_alu instid0(VALU_DEP_1) | instskip(NEXT) | instid1(VALU_DEP_1)
	v_add_co_u32 v11, s0, v4, v10
	v_add_co_ci_u32_e64 v12, s0, 0, v5, s0
	;;#ASMSTART
	v_cvt_f16_f32 v9, v9;

	;;#ASMEND
	flat_store_b16 v[11:12], v9
.LBB333_1083:
	s_or_b32 exec_lo, exec_lo, s1
	v_or_b32_e32 v9, 16, v30
	s_delay_alu instid0(VALU_DEP_1) | instskip(NEXT) | instid1(VALU_DEP_1)
	v_cmp_gt_u32_e64 s0, 0x78, v9
	s_and_b32 s0, vcc_lo, s0
	s_delay_alu instid0(SALU_CYCLE_1)
	s_and_saveexec_b32 s1, s0
	s_cbranch_execz .LBB333_1085
; %bb.1084:
	v_add_co_u32 v11, s0, v4, v10
	s_delay_alu instid0(VALU_DEP_1)
	v_add_co_ci_u32_e64 v12, s0, 0, v5, s0
	;;#ASMSTART
	v_cvt_f16_f32 v8, v8;

	;;#ASMEND
	flat_store_b16 v[11:12], v8 offset:32
.LBB333_1085:
	s_or_b32 exec_lo, exec_lo, s1
	v_or_b32_e32 v8, 32, v30
	s_delay_alu instid0(VALU_DEP_1) | instskip(NEXT) | instid1(VALU_DEP_1)
	v_cmp_gt_u32_e64 s0, 0x78, v8
	s_and_b32 s0, vcc_lo, s0
	s_delay_alu instid0(SALU_CYCLE_1)
	s_and_saveexec_b32 s1, s0
	s_cbranch_execz .LBB333_1087
; %bb.1086:
	v_add_co_u32 v8, s0, v4, v10
	s_delay_alu instid0(VALU_DEP_1)
	v_add_co_ci_u32_e64 v9, s0, 0, v5, s0
	;;#ASMSTART
	v_cvt_f16_f32 v7, v7;

	;;#ASMEND
	flat_store_b16 v[8:9], v7 offset:64
.LBB333_1087:
	;; [unrolled: 18-line block ×6, first 2 shown]
	s_or_b32 exec_lo, exec_lo, s1
	v_or_b32_e32 v1, 0x70, v30
	s_delay_alu instid0(VALU_DEP_1) | instskip(NEXT) | instid1(VALU_DEP_1)
	v_cmp_gt_u32_e64 s0, 0x78, v1
	s_and_b32 s0, vcc_lo, s0
	s_delay_alu instid0(SALU_CYCLE_1)
	s_and_b32 exec_lo, exec_lo, s0
	s_cbranch_execz .LBB333_1097
; %bb.1096:
	v_add_co_u32 v1, vcc_lo, v4, v10
	v_add_co_ci_u32_e32 v2, vcc_lo, 0, v5, vcc_lo
	;;#ASMSTART
	v_cvt_f16_f32 v0, v0;

	;;#ASMEND
	flat_store_b16 v[1:2], v0 offset:224
.LBB333_1097:
	s_or_b32 exec_lo, exec_lo, s11
	s_clause 0x1
	scratch_load_b32 v41, off, s32
	scratch_load_b32 v40, off, s32 offset:4
	s_waitcnt vmcnt(0) lgkmcnt(0)
	s_setpc_b64 s[30:31]
.LBB333_1098:
	v_lshl_add_u32 v11, v18, 2, v10
	ds_load_b32 v11, v11
	s_waitcnt lgkmcnt(0)
	v_add_f32_e32 v9, v9, v11
	s_or_b32 exec_lo, exec_lo, s0
	s_and_saveexec_b32 s0, vcc_lo
	s_cbranch_execz .LBB333_1054
.LBB333_1099:
	v_lshl_add_u32 v11, v18, 2, v10
	ds_load_b32 v11, v11 offset:64
	s_waitcnt lgkmcnt(0)
	v_add_f32_e32 v8, v8, v11
	s_or_b32 exec_lo, exec_lo, s0
	s_and_saveexec_b32 s0, vcc_lo
	s_cbranch_execz .LBB333_1055
.LBB333_1100:
	v_lshl_add_u32 v11, v18, 2, v10
	ds_load_b32 v11, v11 offset:128
	s_waitcnt lgkmcnt(0)
	v_add_f32_e32 v7, v7, v11
	s_or_b32 exec_lo, exec_lo, s0
	s_and_saveexec_b32 s0, vcc_lo
	s_cbranch_execz .LBB333_1056
.LBB333_1101:
	v_lshl_add_u32 v11, v18, 2, v10
	ds_load_b32 v11, v11 offset:192
	s_waitcnt lgkmcnt(0)
	v_add_f32_e32 v6, v6, v11
	s_or_b32 exec_lo, exec_lo, s0
	s_and_saveexec_b32 s0, vcc_lo
	s_cbranch_execz .LBB333_1057
.LBB333_1102:
	v_lshl_add_u32 v11, v18, 2, v10
	ds_load_b32 v11, v11 offset:256
	s_waitcnt lgkmcnt(0)
	v_add_f32_e32 v3, v3, v11
	s_or_b32 exec_lo, exec_lo, s0
	s_and_saveexec_b32 s0, vcc_lo
	s_cbranch_execz .LBB333_1058
.LBB333_1103:
	v_lshl_add_u32 v11, v18, 2, v10
	ds_load_b32 v11, v11 offset:320
	s_waitcnt lgkmcnt(0)
	v_add_f32_e32 v2, v2, v11
	s_or_b32 exec_lo, exec_lo, s0
	s_and_saveexec_b32 s0, vcc_lo
	s_cbranch_execnz .LBB333_1059
	s_branch .LBB333_1060
.LBB333_1104:
	ds_load_b32 v11, v10
	s_waitcnt lgkmcnt(0)
	v_add_f32_e32 v9, v9, v11
	s_or_b32 exec_lo, exec_lo, s1
	s_and_saveexec_b32 s1, vcc_lo
	s_cbranch_execz .LBB333_1071
.LBB333_1105:
	ds_load_b32 v11, v10 offset:64
	s_waitcnt lgkmcnt(0)
	v_add_f32_e32 v8, v8, v11
	s_or_b32 exec_lo, exec_lo, s1
	s_and_saveexec_b32 s1, vcc_lo
	s_cbranch_execz .LBB333_1072
.LBB333_1106:
	ds_load_b32 v11, v10 offset:128
	s_waitcnt lgkmcnt(0)
	v_add_f32_e32 v7, v7, v11
	s_or_b32 exec_lo, exec_lo, s1
	s_and_saveexec_b32 s1, vcc_lo
	s_cbranch_execz .LBB333_1073
.LBB333_1107:
	ds_load_b32 v11, v10 offset:192
	s_waitcnt lgkmcnt(0)
	v_add_f32_e32 v6, v6, v11
	s_or_b32 exec_lo, exec_lo, s1
	s_and_saveexec_b32 s1, vcc_lo
	s_cbranch_execz .LBB333_1074
.LBB333_1108:
	ds_load_b32 v11, v10 offset:256
	s_waitcnt lgkmcnt(0)
	v_add_f32_e32 v3, v3, v11
	s_or_b32 exec_lo, exec_lo, s1
	s_and_saveexec_b32 s1, vcc_lo
	s_cbranch_execz .LBB333_1075
.LBB333_1109:
	ds_load_b32 v11, v10 offset:320
	s_waitcnt lgkmcnt(0)
	v_add_f32_e32 v2, v2, v11
	s_or_b32 exec_lo, exec_lo, s1
	s_and_saveexec_b32 s1, vcc_lo
	s_cbranch_execnz .LBB333_1076
	s_branch .LBB333_1077
.Lfunc_end333:
	.size	_ZN4vllm22paged_attention_kernelIthLi120ELi16ELi128ELNS_18Fp8KVCacheDataTypeE1ELb0ELi512EEEvPfS2_PT_PKS3_PKT0_S9_ifPKiSB_iPKfiiiSD_SD_iiiii, .Lfunc_end333-_ZN4vllm22paged_attention_kernelIthLi120ELi16ELi128ELNS_18Fp8KVCacheDataTypeE1ELb0ELi512EEEvPfS2_PT_PKS3_PKT0_S9_ifPKiSB_iPKfiiiSD_SD_iiiii
                                        ; -- End function
	.section	.AMDGPU.csdata,"",@progbits
; Function info:
; codeLenInByte = 41560
; NumSgprs: 35
; NumVgprs: 184
; ScratchSize: 12
; MemoryBound: 0
	.section	.text._ZN4vllm25paged_attention_v2_kernelIthLi120ELi16ELi128ELNS_18Fp8KVCacheDataTypeE1ELb0ELi512EEEvPfS2_PT_PKS3_PKT0_S9_ifPKiSB_iPKfiiiSD_SD_iiiii,"axG",@progbits,_ZN4vllm25paged_attention_v2_kernelIthLi120ELi16ELi128ELNS_18Fp8KVCacheDataTypeE1ELb0ELi512EEEvPfS2_PT_PKS3_PKT0_S9_ifPKiSB_iPKfiiiSD_SD_iiiii,comdat
	.protected	_ZN4vllm25paged_attention_v2_kernelIthLi120ELi16ELi128ELNS_18Fp8KVCacheDataTypeE1ELb0ELi512EEEvPfS2_PT_PKS3_PKT0_S9_ifPKiSB_iPKfiiiSD_SD_iiiii ; -- Begin function _ZN4vllm25paged_attention_v2_kernelIthLi120ELi16ELi128ELNS_18Fp8KVCacheDataTypeE1ELb0ELi512EEEvPfS2_PT_PKS3_PKT0_S9_ifPKiSB_iPKfiiiSD_SD_iiiii
	.globl	_ZN4vllm25paged_attention_v2_kernelIthLi120ELi16ELi128ELNS_18Fp8KVCacheDataTypeE1ELb0ELi512EEEvPfS2_PT_PKS3_PKT0_S9_ifPKiSB_iPKfiiiSD_SD_iiiii
	.p2align	8
	.type	_ZN4vllm25paged_attention_v2_kernelIthLi120ELi16ELi128ELNS_18Fp8KVCacheDataTypeE1ELb0ELi512EEEvPfS2_PT_PKS3_PKT0_S9_ifPKiSB_iPKfiiiSD_SD_iiiii,@function
_ZN4vllm25paged_attention_v2_kernelIthLi120ELi16ELi128ELNS_18Fp8KVCacheDataTypeE1ELb0ELi512EEEvPfS2_PT_PKS3_PKT0_S9_ifPKiSB_iPKfiiiSD_SD_iiiii: ; @_ZN4vllm25paged_attention_v2_kernelIthLi120ELi16ELi128ELNS_18Fp8KVCacheDataTypeE1ELb0ELi512EEEvPfS2_PT_PKS3_PKT0_S9_ifPKiSB_iPKfiiiSD_SD_iiiii
; %bb.0:
	s_clause 0x5
	s_load_b256 s[24:31], s[0:1], 0x0
	s_load_b256 s[16:23], s[0:1], 0x20
	s_load_b64 s[2:3], s[0:1], 0x40
	s_load_b64 s[4:5], s[0:1], 0x50
	s_load_b32 s6, s[0:1], 0x48
	s_load_b256 s[36:43], s[0:1], 0x58
	v_mov_b32_e32 v31, v0
	s_add_u32 s8, s0, 0x90
	s_mov_b32 s12, s13
	s_addc_u32 s9, s1, 0
	s_mov_b32 s13, s14
	s_mov_b32 s14, s15
	s_movk_i32 s15, 0x57
	s_mov_b32 s32, 0
	s_getpc_b64 s[0:1]
	s_add_u32 s0, s0, _ZN4vllm22paged_attention_kernelIthLi120ELi16ELi128ELNS_18Fp8KVCacheDataTypeE1ELb0ELi512EEEvPfS2_PT_PKS3_PKT0_S9_ifPKiSB_iPKfiiiSD_SD_iiiii@rel32@lo+4
	s_addc_u32 s1, s1, _ZN4vllm22paged_attention_kernelIthLi120ELi16ELi128ELNS_18Fp8KVCacheDataTypeE1ELb0ELi512EEEvPfS2_PT_PKS3_PKT0_S9_ifPKiSB_iPKfiiiSD_SD_iiiii@rel32@hi+12
	s_waitcnt lgkmcnt(0)
	v_dual_mov_b32 v0, s24 :: v_dual_mov_b32 v1, s25
	v_dual_mov_b32 v2, s26 :: v_dual_mov_b32 v3, s27
	;; [unrolled: 1-line block ×14, first 2 shown]
	s_swappc_b64 s[30:31], s[0:1]
	s_endpgm
	.section	.rodata,"a",@progbits
	.p2align	6, 0x0
	.amdhsa_kernel _ZN4vllm25paged_attention_v2_kernelIthLi120ELi16ELi128ELNS_18Fp8KVCacheDataTypeE1ELb0ELi512EEEvPfS2_PT_PKS3_PKT0_S9_ifPKiSB_iPKfiiiSD_SD_iiiii
		.amdhsa_group_segment_fixed_size 272
		.amdhsa_private_segment_fixed_size 12
		.amdhsa_kernarg_size 400
		.amdhsa_user_sgpr_count 13
		.amdhsa_user_sgpr_dispatch_ptr 0
		.amdhsa_user_sgpr_queue_ptr 0
		.amdhsa_user_sgpr_kernarg_segment_ptr 1
		.amdhsa_user_sgpr_dispatch_id 0
		.amdhsa_user_sgpr_private_segment_size 0
		.amdhsa_wavefront_size32 1
		.amdhsa_uses_dynamic_stack 0
		.amdhsa_enable_private_segment 1
		.amdhsa_system_sgpr_workgroup_id_x 1
		.amdhsa_system_sgpr_workgroup_id_y 1
		.amdhsa_system_sgpr_workgroup_id_z 1
		.amdhsa_system_sgpr_workgroup_info 0
		.amdhsa_system_vgpr_workitem_id 0
		.amdhsa_next_free_vgpr 184
		.amdhsa_next_free_sgpr 44
		.amdhsa_reserve_vcc 1
		.amdhsa_float_round_mode_32 0
		.amdhsa_float_round_mode_16_64 0
		.amdhsa_float_denorm_mode_32 3
		.amdhsa_float_denorm_mode_16_64 3
		.amdhsa_dx10_clamp 1
		.amdhsa_ieee_mode 1
		.amdhsa_fp16_overflow 0
		.amdhsa_workgroup_processor_mode 1
		.amdhsa_memory_ordered 1
		.amdhsa_forward_progress 0
		.amdhsa_shared_vgpr_count 0
		.amdhsa_exception_fp_ieee_invalid_op 0
		.amdhsa_exception_fp_denorm_src 0
		.amdhsa_exception_fp_ieee_div_zero 0
		.amdhsa_exception_fp_ieee_overflow 0
		.amdhsa_exception_fp_ieee_underflow 0
		.amdhsa_exception_fp_ieee_inexact 0
		.amdhsa_exception_int_div_zero 0
	.end_amdhsa_kernel
	.section	.text._ZN4vllm25paged_attention_v2_kernelIthLi120ELi16ELi128ELNS_18Fp8KVCacheDataTypeE1ELb0ELi512EEEvPfS2_PT_PKS3_PKT0_S9_ifPKiSB_iPKfiiiSD_SD_iiiii,"axG",@progbits,_ZN4vllm25paged_attention_v2_kernelIthLi120ELi16ELi128ELNS_18Fp8KVCacheDataTypeE1ELb0ELi512EEEvPfS2_PT_PKS3_PKT0_S9_ifPKiSB_iPKfiiiSD_SD_iiiii,comdat
.Lfunc_end334:
	.size	_ZN4vllm25paged_attention_v2_kernelIthLi120ELi16ELi128ELNS_18Fp8KVCacheDataTypeE1ELb0ELi512EEEvPfS2_PT_PKS3_PKT0_S9_ifPKiSB_iPKfiiiSD_SD_iiiii, .Lfunc_end334-_ZN4vllm25paged_attention_v2_kernelIthLi120ELi16ELi128ELNS_18Fp8KVCacheDataTypeE1ELb0ELi512EEEvPfS2_PT_PKS3_PKT0_S9_ifPKiSB_iPKfiiiSD_SD_iiiii
                                        ; -- End function
	.section	.AMDGPU.csdata,"",@progbits
; Kernel info:
; codeLenInByte = 232
; NumSgprs: 46
; NumVgprs: 184
; ScratchSize: 12
; MemoryBound: 0
; FloatMode: 240
; IeeeMode: 1
; LDSByteSize: 272 bytes/workgroup (compile time only)
; SGPRBlocks: 5
; VGPRBlocks: 22
; NumSGPRsForWavesPerEU: 46
; NumVGPRsForWavesPerEU: 184
; Occupancy: 8
; WaveLimiterHint : 1
; COMPUTE_PGM_RSRC2:SCRATCH_EN: 1
; COMPUTE_PGM_RSRC2:USER_SGPR: 13
; COMPUTE_PGM_RSRC2:TRAP_HANDLER: 0
; COMPUTE_PGM_RSRC2:TGID_X_EN: 1
; COMPUTE_PGM_RSRC2:TGID_Y_EN: 1
; COMPUTE_PGM_RSRC2:TGID_Z_EN: 1
; COMPUTE_PGM_RSRC2:TIDIG_COMP_CNT: 0
	.text
	.p2align	2                               ; -- Begin function _ZN4vllm22paged_attention_kernelIthLi128ELi16ELi128ELNS_18Fp8KVCacheDataTypeE1ELb0ELi512EEEvPfS2_PT_PKS3_PKT0_S9_ifPKiSB_iPKfiiiSD_SD_iiiii
	.type	_ZN4vllm22paged_attention_kernelIthLi128ELi16ELi128ELNS_18Fp8KVCacheDataTypeE1ELb0ELi512EEEvPfS2_PT_PKS3_PKT0_S9_ifPKiSB_iPKfiiiSD_SD_iiiii,@function
_ZN4vllm22paged_attention_kernelIthLi128ELi16ELi128ELNS_18Fp8KVCacheDataTypeE1ELb0ELi512EEEvPfS2_PT_PKS3_PKT0_S9_ifPKiSB_iPKfiiiSD_SD_iiiii: ; @_ZN4vllm22paged_attention_kernelIthLi128ELi16ELi128ELNS_18Fp8KVCacheDataTypeE1ELb0ELi512EEEvPfS2_PT_PKS3_PKT0_S9_ifPKiSB_iPKfiiiSD_SD_iiiii
; %bb.0:
	s_waitcnt vmcnt(0) expcnt(0) lgkmcnt(0)
	s_clause 0x5
	scratch_store_b32 off, v40, s32 offset:20
	; meta instruction
	scratch_store_b32 off, v41, s32 offset:16
	; meta instruction
	;; [unrolled: 2-line block ×5, first 2 shown]
	scratch_store_b32 off, v45, s32
	s_mov_b32 s10, s13
	s_ashr_i32 s11, s13, 31
	s_lshl_b32 s16, s14, 9
	s_lshl_b64 s[0:1], s[10:11], 2
	s_mov_b32 s11, exec_lo
	v_add_co_u32 v16, vcc_lo, v16, s0
	v_add_co_ci_u32_e32 v17, vcc_lo, s1, v17, vcc_lo
	flat_load_b32 v33, v[16:17]
	s_waitcnt vmcnt(0) lgkmcnt(0)
	v_cmpx_lt_i32_e64 s16, v33
	s_cbranch_execz .LBB335_1104
; %bb.1:
	v_sub_nc_u32_e32 v16, 0, v12
	s_clause 0x1
	s_load_b32 s0, s[8:9], 0x10
	s_load_b32 s1, s[8:9], 0x0
	s_mov_b32 s6, s15
	v_mov_b32_e32 v48, 0
	v_max_i32_e32 v16, v12, v16
	s_delay_alu instid0(VALU_DEP_1) | instskip(SKIP_1) | instid1(VALU_DEP_2)
	v_cvt_f32_u32_e32 v17, v16
	v_sub_nc_u32_e32 v28, 0, v16
	v_rcp_iflag_f32_e32 v17, v17
	s_waitcnt lgkmcnt(0)
	s_lshr_b32 s0, s0, 16
	s_delay_alu instid0(SALU_CYCLE_1) | instskip(SKIP_3) | instid1(SALU_CYCLE_1)
	s_cmp_lg_u32 s0, 0
	s_waitcnt_depctr 0xfff
	v_mul_f32_e32 v17, 0x4f7ffffe, v17
	s_cselect_b32 s0, -1, 0
	s_cmp_lg_u32 s0, 0
	s_delay_alu instid0(VALU_DEP_1)
	v_cvt_u32_f32_e32 v17, v17
	s_addc_u32 s15, s1, 0
	s_mov_b32 s1, exec_lo
	s_abs_i32 s0, s15
	v_xor_b32_e32 v12, s15, v12
	v_mul_lo_u32 v28, v28, v17
	s_delay_alu instid0(VALU_DEP_2) | instskip(NEXT) | instid1(VALU_DEP_2)
	v_ashrrev_i32_e32 v12, 31, v12
	v_mul_hi_u32 v28, v17, v28
	s_delay_alu instid0(VALU_DEP_1) | instskip(NEXT) | instid1(VALU_DEP_1)
	v_add_nc_u32_e32 v17, v17, v28
	v_mul_hi_u32 v17, s0, v17
	s_delay_alu instid0(VALU_DEP_1) | instskip(SKIP_1) | instid1(VALU_DEP_2)
	v_mul_lo_u32 v28, v17, v16
	v_add_nc_u32_e32 v29, 1, v17
	v_sub_nc_u32_e32 v28, s0, v28
	s_abs_i32 s0, s12
	s_delay_alu instid0(VALU_DEP_1) | instskip(SKIP_1) | instid1(VALU_DEP_2)
	v_sub_nc_u32_e32 v30, v28, v16
	v_cmp_ge_u32_e32 vcc_lo, v28, v16
	v_dual_cndmask_b32 v17, v17, v29 :: v_dual_cndmask_b32 v28, v28, v30
	s_delay_alu instid0(VALU_DEP_1) | instskip(NEXT) | instid1(VALU_DEP_2)
	v_add_nc_u32_e32 v29, 1, v17
	v_cmp_ge_u32_e32 vcc_lo, v28, v16
	s_delay_alu instid0(VALU_DEP_2) | instskip(NEXT) | instid1(VALU_DEP_1)
	v_cndmask_b32_e32 v16, v17, v29, vcc_lo
	v_xor_b32_e32 v16, v16, v12
	s_delay_alu instid0(VALU_DEP_1) | instskip(NEXT) | instid1(VALU_DEP_1)
	v_sub_nc_u32_e32 v12, v16, v12
	v_sub_nc_u32_e32 v16, 0, v12
	s_delay_alu instid0(VALU_DEP_1) | instskip(NEXT) | instid1(VALU_DEP_1)
	v_max_i32_e32 v28, v12, v16
	v_cvt_f32_u32_e32 v16, v28
	v_sub_nc_u32_e32 v17, 0, v28
	s_delay_alu instid0(VALU_DEP_2) | instskip(SKIP_2) | instid1(VALU_DEP_1)
	v_rcp_iflag_f32_e32 v16, v16
	s_waitcnt_depctr 0xfff
	v_mul_f32_e32 v16, 0x4f7ffffe, v16
	v_cvt_u32_f32_e32 v16, v16
	s_delay_alu instid0(VALU_DEP_1) | instskip(NEXT) | instid1(VALU_DEP_1)
	v_mul_lo_u32 v17, v17, v16
	v_mul_hi_u32 v17, v16, v17
	s_delay_alu instid0(VALU_DEP_1) | instskip(NEXT) | instid1(VALU_DEP_1)
	v_add_nc_u32_e32 v29, v16, v17
	v_mad_u64_u32 v[16:17], null, s0, v29, 0
	v_cmpx_ne_u64_e32 0, v[19:20]
	s_cbranch_execz .LBB335_3
; %bb.2:
	s_ashr_i32 s13, s12, 31
	s_delay_alu instid0(SALU_CYCLE_1) | instskip(NEXT) | instid1(SALU_CYCLE_1)
	s_lshl_b64 s[2:3], s[12:13], 2
	v_add_co_u32 v19, vcc_lo, v19, s2
	v_add_co_ci_u32_e32 v20, vcc_lo, s3, v20, vcc_lo
	flat_load_b32 v48, v[19:20]
.LBB335_3:
	s_or_b32 exec_lo, exec_lo, s1
	v_and_b32_e32 v31, 0x3ff, v31
	v_ashrrev_i32_e32 v16, 31, v12
	s_ashr_i32 s1, s12, 31
	s_lshl_b32 s4, s12, 7
	s_mov_b32 s2, exec_lo
	v_lshrrev_b32_e32 v30, 1, v31
	v_and_b32_e32 v32, 1, v31
	v_lshlrev_b32_e32 v12, 3, v31
	v_cmpx_gt_u32_e32 32, v31
	s_cbranch_execz .LBB335_5
; %bb.4:
	v_mul_lo_u32 v19, s10, v21
	s_ashr_i32 s5, s4, 31
	s_delay_alu instid0(SALU_CYCLE_1) | instskip(NEXT) | instid1(VALU_DEP_1)
	s_lshl_b64 s[18:19], s[4:5], 1
	v_ashrrev_i32_e32 v20, 31, v19
	s_delay_alu instid0(VALU_DEP_1) | instskip(NEXT) | instid1(VALU_DEP_1)
	v_lshlrev_b64 v[19:20], 1, v[19:20]
	v_add_co_u32 v6, vcc_lo, v6, v19
	s_delay_alu instid0(VALU_DEP_2) | instskip(SKIP_1) | instid1(VALU_DEP_3)
	v_add_co_ci_u32_e32 v7, vcc_lo, v7, v20, vcc_lo
	v_lshlrev_b32_e32 v19, 3, v30
	v_add_co_u32 v6, vcc_lo, v6, s18
	s_delay_alu instid0(VALU_DEP_3) | instskip(NEXT) | instid1(VALU_DEP_3)
	v_add_co_ci_u32_e32 v7, vcc_lo, s19, v7, vcc_lo
	v_lshl_add_u32 v19, v32, 7, v19
	s_delay_alu instid0(VALU_DEP_3) | instskip(NEXT) | instid1(VALU_DEP_3)
	v_add_co_u32 v6, vcc_lo, v6, v12
	v_add_co_ci_u32_e32 v7, vcc_lo, 0, v7, vcc_lo
	flat_load_b64 v[6:7], v[6:7]
	s_waitcnt vmcnt(0) lgkmcnt(0)
	ds_store_b64 v19, v[6:7]
.LBB335_5:
	s_or_b32 exec_lo, exec_lo, s2
	v_mul_lo_u32 v6, v17, v28
	v_add_nc_u32_e32 v7, 15, v33
	v_add_nc_u32_e32 v20, 1, v17
	v_lshrrev_b32_e32 v34, 5, v31
	s_lshl_b32 s13, s14, 5
	v_mbcnt_lo_u32_b32 v39, -1, 0
	v_ashrrev_i32_e32 v19, 31, v7
	s_waitcnt vmcnt(0) lgkmcnt(0)
	s_waitcnt_vscnt null, 0x0
	v_sub_nc_u32_e32 v6, s0, v6
	s_add_i32 s0, s13, 32
	s_barrier
	v_lshrrev_b32_e32 v19, 28, v19
	buffer_gl0_inv
	v_sub_nc_u32_e32 v21, v6, v28
	v_cmp_ge_u32_e32 vcc_lo, v6, v28
                                        ; implicit-def: $vgpr49
	v_add_nc_u32_e32 v7, v7, v19
	s_delay_alu instid0(VALU_DEP_3) | instskip(SKIP_1) | instid1(VALU_DEP_3)
	v_dual_cndmask_b32 v17, v17, v20 :: v_dual_cndmask_b32 v6, v6, v21
	v_xor_b32_e32 v20, s1, v16
	v_ashrrev_i32_e32 v36, 4, v7
	v_mul_lo_u32 v16, s10, v18
	s_delay_alu instid0(VALU_DEP_4) | instskip(SKIP_3) | instid1(VALU_DEP_4)
	v_add_nc_u32_e32 v19, 1, v17
	v_cmp_ge_u32_e32 vcc_lo, v6, v28
	v_or_b32_e32 v6, s13, v34
	v_min_i32_e32 v35, s0, v36
                                        ; implicit-def: $sgpr1
	v_cndmask_b32_e32 v7, v17, v19, vcc_lo
	v_ashrrev_i32_e32 v17, 31, v16
	s_delay_alu instid0(VALU_DEP_3) | instskip(NEXT) | instid1(VALU_DEP_3)
	v_cmp_ge_i32_e64 s0, v6, v35
	v_xor_b32_e32 v7, v7, v20
	s_delay_alu instid0(VALU_DEP_1) | instskip(NEXT) | instid1(VALU_DEP_3)
	v_sub_nc_u32_e32 v7, v7, v20
	s_and_saveexec_b32 s2, s0
	s_delay_alu instid0(SALU_CYCLE_1)
	s_xor_b32 s2, exec_lo, s2
; %bb.6:
	v_mbcnt_lo_u32_b32 v39, -1, 0
	v_mov_b32_e32 v49, 32
	s_mov_b32 s1, 0xff7fffff
                                        ; implicit-def: $vgpr48
                                        ; implicit-def: $vgpr13
                                        ; implicit-def: $vgpr24
                                        ; implicit-def: $vgpr8
                                        ; implicit-def: $vgpr9
; %bb.7:
	s_or_saveexec_b32 s17, s2
	s_clause 0x1
	s_load_b32 s18, s[8:9], 0x14
	s_load_b32 s5, s[8:9], 0x8
	v_mul_lo_u32 v37, v7, v23
	v_lshlrev_b64 v[16:17], 2, v[16:17]
	v_dual_mov_b32 v50, s1 :: v_dual_lshlrev_b32 v23, 4, v34
	v_ashrrev_i32_e32 v7, 31, v6
	s_delay_alu instid0(VALU_DEP_4)
	v_ashrrev_i32_e32 v38, 31, v37
	s_xor_b32 exec_lo, exec_lo, s17
	s_cbranch_execz .LBB335_525
; %bb.8:
	v_bfe_u32 v28, v31, 1, 4
	v_lshlrev_b64 v[20:21], 2, v[6:7]
	v_add_co_u32 v8, vcc_lo, v8, v37
	v_add_co_ci_u32_e32 v19, vcc_lo, v9, v38, vcc_lo
	s_delay_alu instid0(VALU_DEP_4) | instskip(SKIP_2) | instid1(VALU_DEP_2)
	v_dual_mov_b32 v9, 0 :: v_dual_lshlrev_b32 v18, 4, v28
	v_dual_mov_b32 v64, v6 :: v_dual_lshlrev_b32 v29, 2, v28
	s_ashr_i32 s7, s6, 31
	v_add_co_u32 v18, vcc_lo, v8, v18
	v_add_co_u32 v8, s2, v16, v20
	s_delay_alu instid0(VALU_DEP_1) | instskip(SKIP_1) | instid1(VALU_DEP_3)
	v_add_co_ci_u32_e64 v21, s2, v17, v21, s2
	v_add_co_ci_u32_e32 v19, vcc_lo, 0, v19, vcc_lo
	v_add_co_u32 v20, s2, v14, v8
	v_dual_mov_b32 v50, 0xff7fffff :: v_dual_lshlrev_b32 v51, 2, v32
	v_dual_mov_b32 v49, 32 :: v_dual_lshlrev_b32 v52, 7, v32
	v_cmp_eq_u32_e32 vcc_lo, 0, v32
	v_cmp_neq_f32_e64 s1, 0, v48
	s_lshl_b64 s[8:9], s[6:7], 2
	v_add_co_ci_u32_e64 v21, s2, v15, v21, s2
	v_sub_nc_u32_e32 v53, 1, v33
	v_add3_u32 v54, s16, v23, v28
	v_lshl_or_b32 v55, v34, 6, v29
	s_getpc_b64 s[20:21]
	s_add_u32 s20, s20, llvm.amdgcn.dynlds.offset.table@rel32@lo+4
	s_addc_u32 s21, s21, llvm.amdgcn.dynlds.offset.table@rel32@hi+12
	s_add_u32 s8, s8, s20
	s_mov_b32 s7, 0
	s_addc_u32 s9, s9, s21
	s_branch .LBB335_10
.LBB335_9:                              ;   in Loop: Header=BB335_10 Depth=1
	s_or_b32 exec_lo, exec_lo, s3
	v_add_nc_u32_e32 v64, 4, v64
	v_add_co_u32 v20, s3, v20, 16
	s_delay_alu instid0(VALU_DEP_1) | instskip(NEXT) | instid1(VALU_DEP_3)
	v_add_co_ci_u32_e64 v21, s3, 0, v21, s3
	v_cmp_ge_i32_e64 s2, v64, v35
	v_add_nc_u32_e32 v54, 64, v54
	v_add_nc_u32_e32 v55, 0x100, v55
	s_delay_alu instid0(VALU_DEP_3) | instskip(NEXT) | instid1(SALU_CYCLE_1)
	s_or_b32 s7, s2, s7
	s_and_not1_b32 exec_lo, exec_lo, s7
	s_cbranch_execz .LBB335_524
.LBB335_10:                             ; =>This Inner Loop Header: Depth=1
	flat_load_b32 v8, v[20:21]
	v_mov_b32_e32 v66, 0
	s_mov_b32 s3, exec_lo
	s_waitcnt vmcnt(0) lgkmcnt(0)
	v_mad_i64_i32 v[28:29], null, v8, v22, v[18:19]
	s_delay_alu instid0(VALU_DEP_1) | instskip(NEXT) | instid1(VALU_DEP_1)
	v_add_co_u32 v28, s2, v28, v51
	v_add_co_ci_u32_e64 v29, s2, 0, v29, s2
	flat_load_b32 v71, v[28:29]
	flat_load_b32 v65, v[24:25]
	s_waitcnt vmcnt(1) lgkmcnt(1)
	v_and_b32_e32 v8, 0xff, v71
	s_delay_alu instid0(VALU_DEP_1)
	v_cmpx_ne_u16_e32 0, v8
	s_cbranch_execz .LBB335_18
; %bb.11:                               ;   in Loop: Header=BB335_10 Depth=1
	v_bfrev_b32_e32 v66, 1
	s_mov_b32 s19, exec_lo
	v_cmpx_ne_u16_e32 0x80, v8
	s_cbranch_execz .LBB335_17
; %bb.12:                               ;   in Loop: Header=BB335_10 Depth=1
	v_and_b32_e32 v67, 0x7f, v71
	v_mov_b32_e32 v66, 0x7fc02000
	s_mov_b32 s20, exec_lo
	s_delay_alu instid0(VALU_DEP_2)
	v_cmpx_ne_u32_e32 0x7f, v67
	s_cbranch_execz .LBB335_16
; %bb.13:                               ;   in Loop: Header=BB335_10 Depth=1
	v_and_b32_e32 v8, 7, v71
	v_lshrrev_b32_e32 v66, 3, v67
	s_mov_b32 s21, exec_lo
	v_cmpx_gt_u32_e32 8, v67
; %bb.14:                               ;   in Loop: Header=BB335_10 Depth=1
	s_delay_alu instid0(VALU_DEP_3) | instskip(NEXT) | instid1(VALU_DEP_1)
	v_clz_i32_u32_e32 v66, v8
	v_min_u32_e32 v66, 32, v66
	s_delay_alu instid0(VALU_DEP_1) | instskip(SKIP_1) | instid1(VALU_DEP_2)
	v_subrev_nc_u32_e32 v67, 28, v66
	v_sub_nc_u32_e32 v66, 29, v66
	v_lshlrev_b64 v[67:68], v67, v[8:9]
	s_delay_alu instid0(VALU_DEP_1)
	v_and_b32_e32 v8, 7, v67
; %bb.15:                               ;   in Loop: Header=BB335_10 Depth=1
	s_or_b32 exec_lo, exec_lo, s21
	v_lshlrev_b32_e32 v67, 8, v71
	v_lshl_add_u32 v66, v66, 10, 0x2000
	s_delay_alu instid0(VALU_DEP_1) | instskip(NEXT) | instid1(VALU_DEP_1)
	v_and_or_b32 v66, 0x8000, v67, v66
	v_lshl_or_b32 v8, v8, 7, v66
	s_delay_alu instid0(VALU_DEP_1)
	v_cvt_f32_f16_e32 v66, v8
.LBB335_16:                             ;   in Loop: Header=BB335_10 Depth=1
	s_or_b32 exec_lo, exec_lo, s20
.LBB335_17:                             ;   in Loop: Header=BB335_10 Depth=1
	s_delay_alu instid0(SALU_CYCLE_1)
	s_or_b32 exec_lo, exec_lo, s19
.LBB335_18:                             ;   in Loop: Header=BB335_10 Depth=1
	s_delay_alu instid0(SALU_CYCLE_1) | instskip(SKIP_3) | instid1(VALU_DEP_2)
	s_or_b32 exec_lo, exec_lo, s3
	v_lshrrev_b16 v8, 8, v71
	v_dual_mov_b32 v67, 0 :: v_dual_mov_b32 v68, 0
	s_mov_b32 s3, exec_lo
	v_cmpx_ne_u16_e32 0, v8
	s_cbranch_execz .LBB335_26
; %bb.19:                               ;   in Loop: Header=BB335_10 Depth=1
	v_bfrev_b32_e32 v68, 1
	s_mov_b32 s19, exec_lo
	v_cmpx_ne_u16_e32 0x80, v8
	s_cbranch_execz .LBB335_25
; %bb.20:                               ;   in Loop: Header=BB335_10 Depth=1
	v_and_b32_e32 v69, 0xffff, v8
	v_mov_b32_e32 v68, 0x7fc02000
	s_mov_b32 s20, exec_lo
	s_delay_alu instid0(VALU_DEP_2) | instskip(NEXT) | instid1(VALU_DEP_1)
	v_and_b32_e32 v70, 0x7f, v69
	v_cmpx_ne_u32_e32 0x7f, v70
	s_cbranch_execz .LBB335_24
; %bb.21:                               ;   in Loop: Header=BB335_10 Depth=1
	v_and_b32_e32 v8, 7, v69
	v_lshrrev_b32_e32 v68, 3, v70
	s_mov_b32 s21, exec_lo
	v_cmpx_gt_u32_e32 8, v70
; %bb.22:                               ;   in Loop: Header=BB335_10 Depth=1
	s_delay_alu instid0(VALU_DEP_3) | instskip(NEXT) | instid1(VALU_DEP_1)
	v_clz_i32_u32_e32 v68, v8
	v_min_u32_e32 v68, 32, v68
	s_delay_alu instid0(VALU_DEP_1) | instskip(SKIP_1) | instid1(VALU_DEP_2)
	v_subrev_nc_u32_e32 v70, 28, v68
	v_sub_nc_u32_e32 v68, 29, v68
	v_lshlrev_b64 v[80:81], v70, v[8:9]
	s_delay_alu instid0(VALU_DEP_1)
	v_and_b32_e32 v8, 7, v80
; %bb.23:                               ;   in Loop: Header=BB335_10 Depth=1
	s_or_b32 exec_lo, exec_lo, s21
	v_lshlrev_b32_e32 v69, 8, v69
	v_lshl_add_u32 v68, v68, 10, 0x2000
	s_delay_alu instid0(VALU_DEP_1) | instskip(NEXT) | instid1(VALU_DEP_1)
	v_and_or_b32 v68, 0x8000, v69, v68
	v_lshl_or_b32 v8, v8, 7, v68
	s_delay_alu instid0(VALU_DEP_1)
	v_cvt_f32_f16_e32 v68, v8
.LBB335_24:                             ;   in Loop: Header=BB335_10 Depth=1
	s_or_b32 exec_lo, exec_lo, s20
.LBB335_25:                             ;   in Loop: Header=BB335_10 Depth=1
	s_delay_alu instid0(SALU_CYCLE_1)
	s_or_b32 exec_lo, exec_lo, s19
.LBB335_26:                             ;   in Loop: Header=BB335_10 Depth=1
	s_delay_alu instid0(SALU_CYCLE_1) | instskip(SKIP_2) | instid1(VALU_DEP_1)
	s_or_b32 exec_lo, exec_lo, s3
	v_lshrrev_b32_e32 v69, 16, v71
	s_mov_b32 s3, exec_lo
	v_and_b32_e32 v8, 0xff, v69
	s_delay_alu instid0(VALU_DEP_1)
	v_cmpx_ne_u16_e32 0, v8
	s_cbranch_execz .LBB335_34
; %bb.27:                               ;   in Loop: Header=BB335_10 Depth=1
	v_bfrev_b32_e32 v67, 1
	s_mov_b32 s19, exec_lo
	v_cmpx_ne_u16_e32 0x80, v8
	s_cbranch_execz .LBB335_33
; %bb.28:                               ;   in Loop: Header=BB335_10 Depth=1
	v_bfe_u32 v70, v71, 16, 7
	v_mov_b32_e32 v67, 0x7fc02000
	s_mov_b32 s20, exec_lo
	s_delay_alu instid0(VALU_DEP_2)
	v_cmpx_ne_u32_e32 0x7f, v70
	s_cbranch_execz .LBB335_32
; %bb.29:                               ;   in Loop: Header=BB335_10 Depth=1
	v_and_b32_e32 v8, 7, v69
	v_lshrrev_b32_e32 v67, 3, v70
	s_mov_b32 s21, exec_lo
	v_cmpx_gt_u32_e32 8, v70
; %bb.30:                               ;   in Loop: Header=BB335_10 Depth=1
	s_delay_alu instid0(VALU_DEP_3) | instskip(NEXT) | instid1(VALU_DEP_1)
	v_clz_i32_u32_e32 v67, v8
	v_min_u32_e32 v67, 32, v67
	s_delay_alu instid0(VALU_DEP_1) | instskip(SKIP_1) | instid1(VALU_DEP_2)
	v_subrev_nc_u32_e32 v70, 28, v67
	v_sub_nc_u32_e32 v67, 29, v67
	v_lshlrev_b64 v[80:81], v70, v[8:9]
	s_delay_alu instid0(VALU_DEP_1)
	v_and_b32_e32 v8, 7, v80
; %bb.31:                               ;   in Loop: Header=BB335_10 Depth=1
	s_or_b32 exec_lo, exec_lo, s21
	v_lshlrev_b32_e32 v69, 8, v69
	v_lshl_add_u32 v67, v67, 10, 0x2000
	s_delay_alu instid0(VALU_DEP_1) | instskip(NEXT) | instid1(VALU_DEP_1)
	v_and_or_b32 v67, 0x8000, v69, v67
	v_lshl_or_b32 v8, v8, 7, v67
	s_delay_alu instid0(VALU_DEP_1)
	v_cvt_f32_f16_e32 v67, v8
.LBB335_32:                             ;   in Loop: Header=BB335_10 Depth=1
	s_or_b32 exec_lo, exec_lo, s20
.LBB335_33:                             ;   in Loop: Header=BB335_10 Depth=1
	s_delay_alu instid0(SALU_CYCLE_1)
	s_or_b32 exec_lo, exec_lo, s19
.LBB335_34:                             ;   in Loop: Header=BB335_10 Depth=1
	s_delay_alu instid0(SALU_CYCLE_1)
	s_or_b32 exec_lo, exec_lo, s3
	v_dual_mov_b32 v70, 0 :: v_dual_mov_b32 v69, 0
	s_mov_b32 s3, exec_lo
	v_cmpx_lt_u32_e32 0xffffff, v71
	s_cbranch_execz .LBB335_42
; %bb.35:                               ;   in Loop: Header=BB335_10 Depth=1
	v_lshrrev_b32_e32 v71, 24, v71
	v_bfrev_b32_e32 v69, 1
	s_mov_b32 s19, exec_lo
	s_delay_alu instid0(VALU_DEP_2)
	v_cmpx_ne_u32_e32 0x80, v71
	s_cbranch_execz .LBB335_41
; %bb.36:                               ;   in Loop: Header=BB335_10 Depth=1
	v_and_b32_e32 v80, 0x7f, v71
	v_mov_b32_e32 v69, 0x7fc02000
	s_mov_b32 s20, exec_lo
	s_delay_alu instid0(VALU_DEP_2)
	v_cmpx_ne_u32_e32 0x7f, v80
	s_cbranch_execz .LBB335_40
; %bb.37:                               ;   in Loop: Header=BB335_10 Depth=1
	v_and_b32_e32 v8, 7, v71
	v_lshrrev_b32_e32 v69, 3, v80
	s_mov_b32 s21, exec_lo
	v_cmpx_gt_u32_e32 8, v80
; %bb.38:                               ;   in Loop: Header=BB335_10 Depth=1
	s_delay_alu instid0(VALU_DEP_3) | instskip(NEXT) | instid1(VALU_DEP_1)
	v_clz_i32_u32_e32 v69, v8
	v_min_u32_e32 v69, 32, v69
	s_delay_alu instid0(VALU_DEP_1) | instskip(SKIP_1) | instid1(VALU_DEP_2)
	v_subrev_nc_u32_e32 v80, 28, v69
	v_sub_nc_u32_e32 v69, 29, v69
	v_lshlrev_b64 v[80:81], v80, v[8:9]
	s_delay_alu instid0(VALU_DEP_1)
	v_and_b32_e32 v8, 7, v80
; %bb.39:                               ;   in Loop: Header=BB335_10 Depth=1
	s_or_b32 exec_lo, exec_lo, s21
	v_lshlrev_b32_e32 v71, 8, v71
	v_lshl_add_u32 v69, v69, 10, 0x2000
	s_delay_alu instid0(VALU_DEP_1) | instskip(NEXT) | instid1(VALU_DEP_1)
	v_and_or_b32 v69, 0x8000, v71, v69
	v_lshl_or_b32 v8, v8, 7, v69
	s_delay_alu instid0(VALU_DEP_1)
	v_cvt_f32_f16_e32 v69, v8
.LBB335_40:                             ;   in Loop: Header=BB335_10 Depth=1
	s_or_b32 exec_lo, exec_lo, s20
.LBB335_41:                             ;   in Loop: Header=BB335_10 Depth=1
	s_delay_alu instid0(SALU_CYCLE_1)
	s_or_b32 exec_lo, exec_lo, s19
.LBB335_42:                             ;   in Loop: Header=BB335_10 Depth=1
	s_delay_alu instid0(SALU_CYCLE_1) | instskip(SKIP_4) | instid1(VALU_DEP_1)
	s_or_b32 exec_lo, exec_lo, s3
	flat_load_b32 v83, v[28:29] offset:8
	s_mov_b32 s3, exec_lo
	s_waitcnt vmcnt(0) lgkmcnt(0)
	v_and_b32_e32 v8, 0xff, v83
	v_cmpx_ne_u16_e32 0, v8
	s_cbranch_execz .LBB335_50
; %bb.43:                               ;   in Loop: Header=BB335_10 Depth=1
	v_bfrev_b32_e32 v70, 1
	s_mov_b32 s19, exec_lo
	v_cmpx_ne_u16_e32 0x80, v8
	s_cbranch_execz .LBB335_49
; %bb.44:                               ;   in Loop: Header=BB335_10 Depth=1
	v_and_b32_e32 v71, 0x7f, v83
	v_mov_b32_e32 v70, 0x7fc02000
	s_mov_b32 s20, exec_lo
	s_delay_alu instid0(VALU_DEP_2)
	v_cmpx_ne_u32_e32 0x7f, v71
	s_cbranch_execz .LBB335_48
; %bb.45:                               ;   in Loop: Header=BB335_10 Depth=1
	v_and_b32_e32 v8, 7, v83
	v_lshrrev_b32_e32 v70, 3, v71
	s_mov_b32 s21, exec_lo
	v_cmpx_gt_u32_e32 8, v71
; %bb.46:                               ;   in Loop: Header=BB335_10 Depth=1
	s_delay_alu instid0(VALU_DEP_3) | instskip(NEXT) | instid1(VALU_DEP_1)
	v_clz_i32_u32_e32 v70, v8
	v_min_u32_e32 v70, 32, v70
	s_delay_alu instid0(VALU_DEP_1) | instskip(SKIP_1) | instid1(VALU_DEP_2)
	v_subrev_nc_u32_e32 v71, 28, v70
	v_sub_nc_u32_e32 v70, 29, v70
	v_lshlrev_b64 v[80:81], v71, v[8:9]
	s_delay_alu instid0(VALU_DEP_1)
	v_and_b32_e32 v8, 7, v80
; %bb.47:                               ;   in Loop: Header=BB335_10 Depth=1
	s_or_b32 exec_lo, exec_lo, s21
	v_lshlrev_b32_e32 v71, 8, v83
	v_lshl_add_u32 v70, v70, 10, 0x2000
	s_delay_alu instid0(VALU_DEP_1) | instskip(NEXT) | instid1(VALU_DEP_1)
	v_and_or_b32 v70, 0x8000, v71, v70
	v_lshl_or_b32 v8, v8, 7, v70
	s_delay_alu instid0(VALU_DEP_1)
	v_cvt_f32_f16_e32 v70, v8
.LBB335_48:                             ;   in Loop: Header=BB335_10 Depth=1
	s_or_b32 exec_lo, exec_lo, s20
.LBB335_49:                             ;   in Loop: Header=BB335_10 Depth=1
	s_delay_alu instid0(SALU_CYCLE_1)
	s_or_b32 exec_lo, exec_lo, s19
.LBB335_50:                             ;   in Loop: Header=BB335_10 Depth=1
	s_delay_alu instid0(SALU_CYCLE_1) | instskip(SKIP_3) | instid1(VALU_DEP_2)
	s_or_b32 exec_lo, exec_lo, s3
	v_lshrrev_b16 v8, 8, v83
	v_dual_mov_b32 v71, 0 :: v_dual_mov_b32 v80, 0
	s_mov_b32 s3, exec_lo
	v_cmpx_ne_u16_e32 0, v8
	s_cbranch_execz .LBB335_58
; %bb.51:                               ;   in Loop: Header=BB335_10 Depth=1
	v_bfrev_b32_e32 v80, 1
	s_mov_b32 s19, exec_lo
	v_cmpx_ne_u16_e32 0x80, v8
	s_cbranch_execz .LBB335_57
; %bb.52:                               ;   in Loop: Header=BB335_10 Depth=1
	v_and_b32_e32 v81, 0xffff, v8
	v_mov_b32_e32 v80, 0x7fc02000
	s_mov_b32 s20, exec_lo
	s_delay_alu instid0(VALU_DEP_2) | instskip(NEXT) | instid1(VALU_DEP_1)
	v_and_b32_e32 v82, 0x7f, v81
	v_cmpx_ne_u32_e32 0x7f, v82
	s_cbranch_execz .LBB335_56
; %bb.53:                               ;   in Loop: Header=BB335_10 Depth=1
	v_and_b32_e32 v8, 7, v81
	v_lshrrev_b32_e32 v80, 3, v82
	s_mov_b32 s21, exec_lo
	v_cmpx_gt_u32_e32 8, v82
; %bb.54:                               ;   in Loop: Header=BB335_10 Depth=1
	s_delay_alu instid0(VALU_DEP_3) | instskip(NEXT) | instid1(VALU_DEP_1)
	v_clz_i32_u32_e32 v80, v8
	v_min_u32_e32 v80, 32, v80
	s_delay_alu instid0(VALU_DEP_1) | instskip(SKIP_1) | instid1(VALU_DEP_2)
	v_subrev_nc_u32_e32 v82, 28, v80
	v_sub_nc_u32_e32 v80, 29, v80
	v_lshlrev_b64 v[84:85], v82, v[8:9]
	s_delay_alu instid0(VALU_DEP_1)
	v_and_b32_e32 v8, 7, v84
; %bb.55:                               ;   in Loop: Header=BB335_10 Depth=1
	s_or_b32 exec_lo, exec_lo, s21
	v_lshlrev_b32_e32 v81, 8, v81
	v_lshl_add_u32 v80, v80, 10, 0x2000
	s_delay_alu instid0(VALU_DEP_1) | instskip(NEXT) | instid1(VALU_DEP_1)
	v_and_or_b32 v80, 0x8000, v81, v80
	v_lshl_or_b32 v8, v8, 7, v80
	s_delay_alu instid0(VALU_DEP_1)
	v_cvt_f32_f16_e32 v80, v8
.LBB335_56:                             ;   in Loop: Header=BB335_10 Depth=1
	s_or_b32 exec_lo, exec_lo, s20
.LBB335_57:                             ;   in Loop: Header=BB335_10 Depth=1
	s_delay_alu instid0(SALU_CYCLE_1)
	s_or_b32 exec_lo, exec_lo, s19
.LBB335_58:                             ;   in Loop: Header=BB335_10 Depth=1
	s_delay_alu instid0(SALU_CYCLE_1) | instskip(SKIP_2) | instid1(VALU_DEP_1)
	s_or_b32 exec_lo, exec_lo, s3
	v_lshrrev_b32_e32 v81, 16, v83
	s_mov_b32 s3, exec_lo
	v_and_b32_e32 v8, 0xff, v81
	s_delay_alu instid0(VALU_DEP_1)
	v_cmpx_ne_u16_e32 0, v8
	s_cbranch_execz .LBB335_66
; %bb.59:                               ;   in Loop: Header=BB335_10 Depth=1
	v_bfrev_b32_e32 v71, 1
	s_mov_b32 s19, exec_lo
	v_cmpx_ne_u16_e32 0x80, v8
	s_cbranch_execz .LBB335_65
; %bb.60:                               ;   in Loop: Header=BB335_10 Depth=1
	v_bfe_u32 v82, v83, 16, 7
	v_mov_b32_e32 v71, 0x7fc02000
	s_mov_b32 s20, exec_lo
	s_delay_alu instid0(VALU_DEP_2)
	v_cmpx_ne_u32_e32 0x7f, v82
	s_cbranch_execz .LBB335_64
; %bb.61:                               ;   in Loop: Header=BB335_10 Depth=1
	v_and_b32_e32 v8, 7, v81
	v_lshrrev_b32_e32 v71, 3, v82
	s_mov_b32 s21, exec_lo
	v_cmpx_gt_u32_e32 8, v82
; %bb.62:                               ;   in Loop: Header=BB335_10 Depth=1
	s_delay_alu instid0(VALU_DEP_3) | instskip(NEXT) | instid1(VALU_DEP_1)
	v_clz_i32_u32_e32 v71, v8
	v_min_u32_e32 v71, 32, v71
	s_delay_alu instid0(VALU_DEP_1) | instskip(SKIP_1) | instid1(VALU_DEP_2)
	v_subrev_nc_u32_e32 v82, 28, v71
	v_sub_nc_u32_e32 v71, 29, v71
	v_lshlrev_b64 v[84:85], v82, v[8:9]
	s_delay_alu instid0(VALU_DEP_1)
	v_and_b32_e32 v8, 7, v84
; %bb.63:                               ;   in Loop: Header=BB335_10 Depth=1
	s_or_b32 exec_lo, exec_lo, s21
	v_lshlrev_b32_e32 v81, 8, v81
	v_lshl_add_u32 v71, v71, 10, 0x2000
	s_delay_alu instid0(VALU_DEP_1) | instskip(NEXT) | instid1(VALU_DEP_1)
	v_and_or_b32 v71, 0x8000, v81, v71
	v_lshl_or_b32 v8, v8, 7, v71
	s_delay_alu instid0(VALU_DEP_1)
	v_cvt_f32_f16_e32 v71, v8
.LBB335_64:                             ;   in Loop: Header=BB335_10 Depth=1
	s_or_b32 exec_lo, exec_lo, s20
.LBB335_65:                             ;   in Loop: Header=BB335_10 Depth=1
	s_delay_alu instid0(SALU_CYCLE_1)
	s_or_b32 exec_lo, exec_lo, s19
.LBB335_66:                             ;   in Loop: Header=BB335_10 Depth=1
	s_delay_alu instid0(SALU_CYCLE_1)
	s_or_b32 exec_lo, exec_lo, s3
	v_dual_mov_b32 v82, 0 :: v_dual_mov_b32 v81, 0
	s_mov_b32 s3, exec_lo
	v_cmpx_lt_u32_e32 0xffffff, v83
	s_cbranch_execz .LBB335_74
; %bb.67:                               ;   in Loop: Header=BB335_10 Depth=1
	v_lshrrev_b32_e32 v83, 24, v83
	v_bfrev_b32_e32 v81, 1
	s_mov_b32 s19, exec_lo
	s_delay_alu instid0(VALU_DEP_2)
	v_cmpx_ne_u32_e32 0x80, v83
	s_cbranch_execz .LBB335_73
; %bb.68:                               ;   in Loop: Header=BB335_10 Depth=1
	v_and_b32_e32 v84, 0x7f, v83
	v_mov_b32_e32 v81, 0x7fc02000
	s_mov_b32 s20, exec_lo
	s_delay_alu instid0(VALU_DEP_2)
	v_cmpx_ne_u32_e32 0x7f, v84
	s_cbranch_execz .LBB335_72
; %bb.69:                               ;   in Loop: Header=BB335_10 Depth=1
	v_and_b32_e32 v8, 7, v83
	v_lshrrev_b32_e32 v81, 3, v84
	s_mov_b32 s21, exec_lo
	v_cmpx_gt_u32_e32 8, v84
; %bb.70:                               ;   in Loop: Header=BB335_10 Depth=1
	s_delay_alu instid0(VALU_DEP_3) | instskip(NEXT) | instid1(VALU_DEP_1)
	v_clz_i32_u32_e32 v81, v8
	v_min_u32_e32 v81, 32, v81
	s_delay_alu instid0(VALU_DEP_1) | instskip(SKIP_1) | instid1(VALU_DEP_2)
	v_subrev_nc_u32_e32 v84, 28, v81
	v_sub_nc_u32_e32 v81, 29, v81
	v_lshlrev_b64 v[84:85], v84, v[8:9]
	s_delay_alu instid0(VALU_DEP_1)
	v_and_b32_e32 v8, 7, v84
; %bb.71:                               ;   in Loop: Header=BB335_10 Depth=1
	s_or_b32 exec_lo, exec_lo, s21
	v_lshlrev_b32_e32 v83, 8, v83
	v_lshl_add_u32 v81, v81, 10, 0x2000
	s_delay_alu instid0(VALU_DEP_1) | instskip(NEXT) | instid1(VALU_DEP_1)
	v_and_or_b32 v81, 0x8000, v83, v81
	v_lshl_or_b32 v8, v8, 7, v81
	s_delay_alu instid0(VALU_DEP_1)
	v_cvt_f32_f16_e32 v81, v8
.LBB335_72:                             ;   in Loop: Header=BB335_10 Depth=1
	s_or_b32 exec_lo, exec_lo, s20
.LBB335_73:                             ;   in Loop: Header=BB335_10 Depth=1
	s_delay_alu instid0(SALU_CYCLE_1)
	s_or_b32 exec_lo, exec_lo, s19
.LBB335_74:                             ;   in Loop: Header=BB335_10 Depth=1
	s_delay_alu instid0(SALU_CYCLE_1) | instskip(SKIP_4) | instid1(VALU_DEP_1)
	s_or_b32 exec_lo, exec_lo, s3
	flat_load_b32 v87, v[28:29] offset:256
	s_mov_b32 s3, exec_lo
	s_waitcnt vmcnt(0) lgkmcnt(0)
	v_and_b32_e32 v8, 0xff, v87
	v_cmpx_ne_u16_e32 0, v8
	s_cbranch_execz .LBB335_82
; %bb.75:                               ;   in Loop: Header=BB335_10 Depth=1
	v_bfrev_b32_e32 v82, 1
	s_mov_b32 s19, exec_lo
	v_cmpx_ne_u16_e32 0x80, v8
	s_cbranch_execz .LBB335_81
; %bb.76:                               ;   in Loop: Header=BB335_10 Depth=1
	v_and_b32_e32 v83, 0x7f, v87
	v_mov_b32_e32 v82, 0x7fc02000
	s_mov_b32 s20, exec_lo
	s_delay_alu instid0(VALU_DEP_2)
	v_cmpx_ne_u32_e32 0x7f, v83
	s_cbranch_execz .LBB335_80
; %bb.77:                               ;   in Loop: Header=BB335_10 Depth=1
	v_and_b32_e32 v8, 7, v87
	v_lshrrev_b32_e32 v82, 3, v83
	s_mov_b32 s21, exec_lo
	v_cmpx_gt_u32_e32 8, v83
; %bb.78:                               ;   in Loop: Header=BB335_10 Depth=1
	s_delay_alu instid0(VALU_DEP_3) | instskip(NEXT) | instid1(VALU_DEP_1)
	v_clz_i32_u32_e32 v82, v8
	v_min_u32_e32 v82, 32, v82
	s_delay_alu instid0(VALU_DEP_1) | instskip(SKIP_1) | instid1(VALU_DEP_2)
	v_subrev_nc_u32_e32 v83, 28, v82
	v_sub_nc_u32_e32 v82, 29, v82
	v_lshlrev_b64 v[83:84], v83, v[8:9]
	s_delay_alu instid0(VALU_DEP_1)
	v_and_b32_e32 v8, 7, v83
; %bb.79:                               ;   in Loop: Header=BB335_10 Depth=1
	s_or_b32 exec_lo, exec_lo, s21
	v_lshlrev_b32_e32 v83, 8, v87
	v_lshl_add_u32 v82, v82, 10, 0x2000
	s_delay_alu instid0(VALU_DEP_1) | instskip(NEXT) | instid1(VALU_DEP_1)
	v_and_or_b32 v82, 0x8000, v83, v82
	v_lshl_or_b32 v8, v8, 7, v82
	s_delay_alu instid0(VALU_DEP_1)
	v_cvt_f32_f16_e32 v82, v8
.LBB335_80:                             ;   in Loop: Header=BB335_10 Depth=1
	s_or_b32 exec_lo, exec_lo, s20
.LBB335_81:                             ;   in Loop: Header=BB335_10 Depth=1
	s_delay_alu instid0(SALU_CYCLE_1)
	s_or_b32 exec_lo, exec_lo, s19
.LBB335_82:                             ;   in Loop: Header=BB335_10 Depth=1
	s_delay_alu instid0(SALU_CYCLE_1) | instskip(SKIP_3) | instid1(VALU_DEP_2)
	s_or_b32 exec_lo, exec_lo, s3
	v_lshrrev_b16 v8, 8, v87
	v_dual_mov_b32 v83, 0 :: v_dual_mov_b32 v84, 0
	s_mov_b32 s3, exec_lo
	v_cmpx_ne_u16_e32 0, v8
	s_cbranch_execz .LBB335_90
; %bb.83:                               ;   in Loop: Header=BB335_10 Depth=1
	v_bfrev_b32_e32 v84, 1
	s_mov_b32 s19, exec_lo
	v_cmpx_ne_u16_e32 0x80, v8
	s_cbranch_execz .LBB335_89
; %bb.84:                               ;   in Loop: Header=BB335_10 Depth=1
	v_and_b32_e32 v85, 0xffff, v8
	v_mov_b32_e32 v84, 0x7fc02000
	s_mov_b32 s20, exec_lo
	s_delay_alu instid0(VALU_DEP_2) | instskip(NEXT) | instid1(VALU_DEP_1)
	v_and_b32_e32 v86, 0x7f, v85
	v_cmpx_ne_u32_e32 0x7f, v86
	s_cbranch_execz .LBB335_88
; %bb.85:                               ;   in Loop: Header=BB335_10 Depth=1
	v_and_b32_e32 v8, 7, v85
	v_lshrrev_b32_e32 v84, 3, v86
	s_mov_b32 s21, exec_lo
	v_cmpx_gt_u32_e32 8, v86
; %bb.86:                               ;   in Loop: Header=BB335_10 Depth=1
	s_delay_alu instid0(VALU_DEP_3) | instskip(NEXT) | instid1(VALU_DEP_1)
	v_clz_i32_u32_e32 v84, v8
	v_min_u32_e32 v84, 32, v84
	s_delay_alu instid0(VALU_DEP_1) | instskip(SKIP_1) | instid1(VALU_DEP_2)
	v_subrev_nc_u32_e32 v86, 28, v84
	v_sub_nc_u32_e32 v84, 29, v84
	v_lshlrev_b64 v[96:97], v86, v[8:9]
	s_delay_alu instid0(VALU_DEP_1)
	v_and_b32_e32 v8, 7, v96
; %bb.87:                               ;   in Loop: Header=BB335_10 Depth=1
	s_or_b32 exec_lo, exec_lo, s21
	v_lshlrev_b32_e32 v85, 8, v85
	v_lshl_add_u32 v84, v84, 10, 0x2000
	s_delay_alu instid0(VALU_DEP_1) | instskip(NEXT) | instid1(VALU_DEP_1)
	v_and_or_b32 v84, 0x8000, v85, v84
	v_lshl_or_b32 v8, v8, 7, v84
	s_delay_alu instid0(VALU_DEP_1)
	v_cvt_f32_f16_e32 v84, v8
.LBB335_88:                             ;   in Loop: Header=BB335_10 Depth=1
	s_or_b32 exec_lo, exec_lo, s20
.LBB335_89:                             ;   in Loop: Header=BB335_10 Depth=1
	s_delay_alu instid0(SALU_CYCLE_1)
	s_or_b32 exec_lo, exec_lo, s19
.LBB335_90:                             ;   in Loop: Header=BB335_10 Depth=1
	s_delay_alu instid0(SALU_CYCLE_1) | instskip(SKIP_2) | instid1(VALU_DEP_1)
	s_or_b32 exec_lo, exec_lo, s3
	v_lshrrev_b32_e32 v85, 16, v87
	s_mov_b32 s3, exec_lo
	v_and_b32_e32 v8, 0xff, v85
	s_delay_alu instid0(VALU_DEP_1)
	v_cmpx_ne_u16_e32 0, v8
	s_cbranch_execz .LBB335_98
; %bb.91:                               ;   in Loop: Header=BB335_10 Depth=1
	v_bfrev_b32_e32 v83, 1
	s_mov_b32 s19, exec_lo
	v_cmpx_ne_u16_e32 0x80, v8
	s_cbranch_execz .LBB335_97
; %bb.92:                               ;   in Loop: Header=BB335_10 Depth=1
	v_bfe_u32 v86, v87, 16, 7
	v_mov_b32_e32 v83, 0x7fc02000
	s_mov_b32 s20, exec_lo
	s_delay_alu instid0(VALU_DEP_2)
	v_cmpx_ne_u32_e32 0x7f, v86
	s_cbranch_execz .LBB335_96
; %bb.93:                               ;   in Loop: Header=BB335_10 Depth=1
	v_and_b32_e32 v8, 7, v85
	v_lshrrev_b32_e32 v83, 3, v86
	s_mov_b32 s21, exec_lo
	v_cmpx_gt_u32_e32 8, v86
; %bb.94:                               ;   in Loop: Header=BB335_10 Depth=1
	s_delay_alu instid0(VALU_DEP_3) | instskip(NEXT) | instid1(VALU_DEP_1)
	v_clz_i32_u32_e32 v83, v8
	v_min_u32_e32 v83, 32, v83
	s_delay_alu instid0(VALU_DEP_1) | instskip(SKIP_1) | instid1(VALU_DEP_2)
	v_subrev_nc_u32_e32 v86, 28, v83
	v_sub_nc_u32_e32 v83, 29, v83
	v_lshlrev_b64 v[96:97], v86, v[8:9]
	s_delay_alu instid0(VALU_DEP_1)
	v_and_b32_e32 v8, 7, v96
; %bb.95:                               ;   in Loop: Header=BB335_10 Depth=1
	s_or_b32 exec_lo, exec_lo, s21
	v_lshlrev_b32_e32 v85, 8, v85
	v_lshl_add_u32 v83, v83, 10, 0x2000
	s_delay_alu instid0(VALU_DEP_1) | instskip(NEXT) | instid1(VALU_DEP_1)
	v_and_or_b32 v83, 0x8000, v85, v83
	v_lshl_or_b32 v8, v8, 7, v83
	s_delay_alu instid0(VALU_DEP_1)
	v_cvt_f32_f16_e32 v83, v8
.LBB335_96:                             ;   in Loop: Header=BB335_10 Depth=1
	s_or_b32 exec_lo, exec_lo, s20
.LBB335_97:                             ;   in Loop: Header=BB335_10 Depth=1
	s_delay_alu instid0(SALU_CYCLE_1)
	s_or_b32 exec_lo, exec_lo, s19
.LBB335_98:                             ;   in Loop: Header=BB335_10 Depth=1
	s_delay_alu instid0(SALU_CYCLE_1)
	s_or_b32 exec_lo, exec_lo, s3
	v_dual_mov_b32 v86, 0 :: v_dual_mov_b32 v85, 0
	s_mov_b32 s3, exec_lo
	v_cmpx_lt_u32_e32 0xffffff, v87
	s_cbranch_execz .LBB335_106
; %bb.99:                               ;   in Loop: Header=BB335_10 Depth=1
	v_lshrrev_b32_e32 v87, 24, v87
	v_bfrev_b32_e32 v85, 1
	s_mov_b32 s19, exec_lo
	s_delay_alu instid0(VALU_DEP_2)
	v_cmpx_ne_u32_e32 0x80, v87
	s_cbranch_execz .LBB335_105
; %bb.100:                              ;   in Loop: Header=BB335_10 Depth=1
	v_and_b32_e32 v96, 0x7f, v87
	v_mov_b32_e32 v85, 0x7fc02000
	s_mov_b32 s20, exec_lo
	s_delay_alu instid0(VALU_DEP_2)
	v_cmpx_ne_u32_e32 0x7f, v96
	s_cbranch_execz .LBB335_104
; %bb.101:                              ;   in Loop: Header=BB335_10 Depth=1
	v_and_b32_e32 v8, 7, v87
	v_lshrrev_b32_e32 v85, 3, v96
	s_mov_b32 s21, exec_lo
	v_cmpx_gt_u32_e32 8, v96
; %bb.102:                              ;   in Loop: Header=BB335_10 Depth=1
	s_delay_alu instid0(VALU_DEP_3) | instskip(NEXT) | instid1(VALU_DEP_1)
	v_clz_i32_u32_e32 v85, v8
	v_min_u32_e32 v85, 32, v85
	s_delay_alu instid0(VALU_DEP_1) | instskip(SKIP_1) | instid1(VALU_DEP_2)
	v_subrev_nc_u32_e32 v96, 28, v85
	v_sub_nc_u32_e32 v85, 29, v85
	v_lshlrev_b64 v[96:97], v96, v[8:9]
	s_delay_alu instid0(VALU_DEP_1)
	v_and_b32_e32 v8, 7, v96
; %bb.103:                              ;   in Loop: Header=BB335_10 Depth=1
	s_or_b32 exec_lo, exec_lo, s21
	v_lshlrev_b32_e32 v87, 8, v87
	v_lshl_add_u32 v85, v85, 10, 0x2000
	s_delay_alu instid0(VALU_DEP_1) | instskip(NEXT) | instid1(VALU_DEP_1)
	v_and_or_b32 v85, 0x8000, v87, v85
	v_lshl_or_b32 v8, v8, 7, v85
	s_delay_alu instid0(VALU_DEP_1)
	v_cvt_f32_f16_e32 v85, v8
.LBB335_104:                            ;   in Loop: Header=BB335_10 Depth=1
	s_or_b32 exec_lo, exec_lo, s20
.LBB335_105:                            ;   in Loop: Header=BB335_10 Depth=1
	s_delay_alu instid0(SALU_CYCLE_1)
	s_or_b32 exec_lo, exec_lo, s19
.LBB335_106:                            ;   in Loop: Header=BB335_10 Depth=1
	s_delay_alu instid0(SALU_CYCLE_1) | instskip(SKIP_4) | instid1(VALU_DEP_1)
	s_or_b32 exec_lo, exec_lo, s3
	flat_load_b32 v99, v[28:29] offset:264
	s_mov_b32 s3, exec_lo
	s_waitcnt vmcnt(0) lgkmcnt(0)
	v_and_b32_e32 v8, 0xff, v99
	v_cmpx_ne_u16_e32 0, v8
	s_cbranch_execz .LBB335_114
; %bb.107:                              ;   in Loop: Header=BB335_10 Depth=1
	v_bfrev_b32_e32 v86, 1
	s_mov_b32 s19, exec_lo
	v_cmpx_ne_u16_e32 0x80, v8
	s_cbranch_execz .LBB335_113
; %bb.108:                              ;   in Loop: Header=BB335_10 Depth=1
	v_and_b32_e32 v87, 0x7f, v99
	v_mov_b32_e32 v86, 0x7fc02000
	s_mov_b32 s20, exec_lo
	s_delay_alu instid0(VALU_DEP_2)
	v_cmpx_ne_u32_e32 0x7f, v87
	s_cbranch_execz .LBB335_112
; %bb.109:                              ;   in Loop: Header=BB335_10 Depth=1
	v_and_b32_e32 v8, 7, v99
	v_lshrrev_b32_e32 v86, 3, v87
	s_mov_b32 s21, exec_lo
	v_cmpx_gt_u32_e32 8, v87
; %bb.110:                              ;   in Loop: Header=BB335_10 Depth=1
	s_delay_alu instid0(VALU_DEP_3) | instskip(NEXT) | instid1(VALU_DEP_1)
	v_clz_i32_u32_e32 v86, v8
	v_min_u32_e32 v86, 32, v86
	s_delay_alu instid0(VALU_DEP_1) | instskip(SKIP_1) | instid1(VALU_DEP_2)
	v_subrev_nc_u32_e32 v87, 28, v86
	v_sub_nc_u32_e32 v86, 29, v86
	v_lshlrev_b64 v[96:97], v87, v[8:9]
	s_delay_alu instid0(VALU_DEP_1)
	v_and_b32_e32 v8, 7, v96
; %bb.111:                              ;   in Loop: Header=BB335_10 Depth=1
	s_or_b32 exec_lo, exec_lo, s21
	v_lshlrev_b32_e32 v87, 8, v99
	v_lshl_add_u32 v86, v86, 10, 0x2000
	s_delay_alu instid0(VALU_DEP_1) | instskip(NEXT) | instid1(VALU_DEP_1)
	v_and_or_b32 v86, 0x8000, v87, v86
	v_lshl_or_b32 v8, v8, 7, v86
	s_delay_alu instid0(VALU_DEP_1)
	v_cvt_f32_f16_e32 v86, v8
.LBB335_112:                            ;   in Loop: Header=BB335_10 Depth=1
	s_or_b32 exec_lo, exec_lo, s20
.LBB335_113:                            ;   in Loop: Header=BB335_10 Depth=1
	s_delay_alu instid0(SALU_CYCLE_1)
	s_or_b32 exec_lo, exec_lo, s19
.LBB335_114:                            ;   in Loop: Header=BB335_10 Depth=1
	s_delay_alu instid0(SALU_CYCLE_1) | instskip(SKIP_3) | instid1(VALU_DEP_2)
	s_or_b32 exec_lo, exec_lo, s3
	v_lshrrev_b16 v8, 8, v99
	v_dual_mov_b32 v87, 0 :: v_dual_mov_b32 v96, 0
	s_mov_b32 s3, exec_lo
	v_cmpx_ne_u16_e32 0, v8
	s_cbranch_execz .LBB335_122
; %bb.115:                              ;   in Loop: Header=BB335_10 Depth=1
	v_bfrev_b32_e32 v96, 1
	s_mov_b32 s19, exec_lo
	v_cmpx_ne_u16_e32 0x80, v8
	s_cbranch_execz .LBB335_121
; %bb.116:                              ;   in Loop: Header=BB335_10 Depth=1
	v_and_b32_e32 v97, 0xffff, v8
	v_mov_b32_e32 v96, 0x7fc02000
	s_mov_b32 s20, exec_lo
	s_delay_alu instid0(VALU_DEP_2) | instskip(NEXT) | instid1(VALU_DEP_1)
	v_and_b32_e32 v98, 0x7f, v97
	v_cmpx_ne_u32_e32 0x7f, v98
	s_cbranch_execz .LBB335_120
; %bb.117:                              ;   in Loop: Header=BB335_10 Depth=1
	v_and_b32_e32 v8, 7, v97
	v_lshrrev_b32_e32 v96, 3, v98
	s_mov_b32 s21, exec_lo
	v_cmpx_gt_u32_e32 8, v98
; %bb.118:                              ;   in Loop: Header=BB335_10 Depth=1
	s_delay_alu instid0(VALU_DEP_3) | instskip(NEXT) | instid1(VALU_DEP_1)
	v_clz_i32_u32_e32 v96, v8
	v_min_u32_e32 v96, 32, v96
	s_delay_alu instid0(VALU_DEP_1) | instskip(SKIP_1) | instid1(VALU_DEP_2)
	v_subrev_nc_u32_e32 v98, 28, v96
	v_sub_nc_u32_e32 v96, 29, v96
	v_lshlrev_b64 v[100:101], v98, v[8:9]
	s_delay_alu instid0(VALU_DEP_1)
	v_and_b32_e32 v8, 7, v100
; %bb.119:                              ;   in Loop: Header=BB335_10 Depth=1
	s_or_b32 exec_lo, exec_lo, s21
	v_lshlrev_b32_e32 v97, 8, v97
	v_lshl_add_u32 v96, v96, 10, 0x2000
	s_delay_alu instid0(VALU_DEP_1) | instskip(NEXT) | instid1(VALU_DEP_1)
	v_and_or_b32 v96, 0x8000, v97, v96
	v_lshl_or_b32 v8, v8, 7, v96
	s_delay_alu instid0(VALU_DEP_1)
	v_cvt_f32_f16_e32 v96, v8
.LBB335_120:                            ;   in Loop: Header=BB335_10 Depth=1
	s_or_b32 exec_lo, exec_lo, s20
.LBB335_121:                            ;   in Loop: Header=BB335_10 Depth=1
	s_delay_alu instid0(SALU_CYCLE_1)
	s_or_b32 exec_lo, exec_lo, s19
.LBB335_122:                            ;   in Loop: Header=BB335_10 Depth=1
	s_delay_alu instid0(SALU_CYCLE_1) | instskip(SKIP_2) | instid1(VALU_DEP_1)
	s_or_b32 exec_lo, exec_lo, s3
	v_lshrrev_b32_e32 v97, 16, v99
	s_mov_b32 s3, exec_lo
	v_and_b32_e32 v8, 0xff, v97
	s_delay_alu instid0(VALU_DEP_1)
	v_cmpx_ne_u16_e32 0, v8
	s_cbranch_execz .LBB335_130
; %bb.123:                              ;   in Loop: Header=BB335_10 Depth=1
	v_bfrev_b32_e32 v87, 1
	s_mov_b32 s19, exec_lo
	v_cmpx_ne_u16_e32 0x80, v8
	s_cbranch_execz .LBB335_129
; %bb.124:                              ;   in Loop: Header=BB335_10 Depth=1
	v_bfe_u32 v98, v99, 16, 7
	v_mov_b32_e32 v87, 0x7fc02000
	s_mov_b32 s20, exec_lo
	s_delay_alu instid0(VALU_DEP_2)
	v_cmpx_ne_u32_e32 0x7f, v98
	s_cbranch_execz .LBB335_128
; %bb.125:                              ;   in Loop: Header=BB335_10 Depth=1
	v_and_b32_e32 v8, 7, v97
	v_lshrrev_b32_e32 v87, 3, v98
	s_mov_b32 s21, exec_lo
	v_cmpx_gt_u32_e32 8, v98
; %bb.126:                              ;   in Loop: Header=BB335_10 Depth=1
	s_delay_alu instid0(VALU_DEP_3) | instskip(NEXT) | instid1(VALU_DEP_1)
	v_clz_i32_u32_e32 v87, v8
	v_min_u32_e32 v87, 32, v87
	s_delay_alu instid0(VALU_DEP_1) | instskip(SKIP_1) | instid1(VALU_DEP_2)
	v_subrev_nc_u32_e32 v98, 28, v87
	v_sub_nc_u32_e32 v87, 29, v87
	v_lshlrev_b64 v[100:101], v98, v[8:9]
	s_delay_alu instid0(VALU_DEP_1)
	v_and_b32_e32 v8, 7, v100
; %bb.127:                              ;   in Loop: Header=BB335_10 Depth=1
	s_or_b32 exec_lo, exec_lo, s21
	v_lshlrev_b32_e32 v97, 8, v97
	v_lshl_add_u32 v87, v87, 10, 0x2000
	s_delay_alu instid0(VALU_DEP_1) | instskip(NEXT) | instid1(VALU_DEP_1)
	v_and_or_b32 v87, 0x8000, v97, v87
	v_lshl_or_b32 v8, v8, 7, v87
	s_delay_alu instid0(VALU_DEP_1)
	v_cvt_f32_f16_e32 v87, v8
.LBB335_128:                            ;   in Loop: Header=BB335_10 Depth=1
	s_or_b32 exec_lo, exec_lo, s20
.LBB335_129:                            ;   in Loop: Header=BB335_10 Depth=1
	s_delay_alu instid0(SALU_CYCLE_1)
	s_or_b32 exec_lo, exec_lo, s19
.LBB335_130:                            ;   in Loop: Header=BB335_10 Depth=1
	s_delay_alu instid0(SALU_CYCLE_1)
	s_or_b32 exec_lo, exec_lo, s3
	v_dual_mov_b32 v98, 0 :: v_dual_mov_b32 v97, 0
	s_mov_b32 s3, exec_lo
	v_cmpx_lt_u32_e32 0xffffff, v99
	s_cbranch_execz .LBB335_138
; %bb.131:                              ;   in Loop: Header=BB335_10 Depth=1
	v_lshrrev_b32_e32 v99, 24, v99
	v_bfrev_b32_e32 v97, 1
	s_mov_b32 s19, exec_lo
	s_delay_alu instid0(VALU_DEP_2)
	v_cmpx_ne_u32_e32 0x80, v99
	s_cbranch_execz .LBB335_137
; %bb.132:                              ;   in Loop: Header=BB335_10 Depth=1
	v_and_b32_e32 v100, 0x7f, v99
	v_mov_b32_e32 v97, 0x7fc02000
	s_mov_b32 s20, exec_lo
	s_delay_alu instid0(VALU_DEP_2)
	v_cmpx_ne_u32_e32 0x7f, v100
	s_cbranch_execz .LBB335_136
; %bb.133:                              ;   in Loop: Header=BB335_10 Depth=1
	v_and_b32_e32 v8, 7, v99
	v_lshrrev_b32_e32 v97, 3, v100
	s_mov_b32 s21, exec_lo
	v_cmpx_gt_u32_e32 8, v100
; %bb.134:                              ;   in Loop: Header=BB335_10 Depth=1
	s_delay_alu instid0(VALU_DEP_3) | instskip(NEXT) | instid1(VALU_DEP_1)
	v_clz_i32_u32_e32 v97, v8
	v_min_u32_e32 v97, 32, v97
	s_delay_alu instid0(VALU_DEP_1) | instskip(SKIP_1) | instid1(VALU_DEP_2)
	v_subrev_nc_u32_e32 v100, 28, v97
	v_sub_nc_u32_e32 v97, 29, v97
	v_lshlrev_b64 v[100:101], v100, v[8:9]
	s_delay_alu instid0(VALU_DEP_1)
	v_and_b32_e32 v8, 7, v100
; %bb.135:                              ;   in Loop: Header=BB335_10 Depth=1
	s_or_b32 exec_lo, exec_lo, s21
	v_lshlrev_b32_e32 v99, 8, v99
	v_lshl_add_u32 v97, v97, 10, 0x2000
	s_delay_alu instid0(VALU_DEP_1) | instskip(NEXT) | instid1(VALU_DEP_1)
	v_and_or_b32 v97, 0x8000, v99, v97
	v_lshl_or_b32 v8, v8, 7, v97
	s_delay_alu instid0(VALU_DEP_1)
	v_cvt_f32_f16_e32 v97, v8
.LBB335_136:                            ;   in Loop: Header=BB335_10 Depth=1
	s_or_b32 exec_lo, exec_lo, s20
.LBB335_137:                            ;   in Loop: Header=BB335_10 Depth=1
	s_delay_alu instid0(SALU_CYCLE_1)
	s_or_b32 exec_lo, exec_lo, s19
.LBB335_138:                            ;   in Loop: Header=BB335_10 Depth=1
	s_delay_alu instid0(SALU_CYCLE_1) | instskip(SKIP_4) | instid1(VALU_DEP_1)
	s_or_b32 exec_lo, exec_lo, s3
	flat_load_b32 v103, v[28:29] offset:512
	s_mov_b32 s3, exec_lo
	s_waitcnt vmcnt(0) lgkmcnt(0)
	v_and_b32_e32 v8, 0xff, v103
	v_cmpx_ne_u16_e32 0, v8
	s_cbranch_execz .LBB335_146
; %bb.139:                              ;   in Loop: Header=BB335_10 Depth=1
	v_bfrev_b32_e32 v98, 1
	s_mov_b32 s19, exec_lo
	v_cmpx_ne_u16_e32 0x80, v8
	s_cbranch_execz .LBB335_145
; %bb.140:                              ;   in Loop: Header=BB335_10 Depth=1
	v_and_b32_e32 v99, 0x7f, v103
	v_mov_b32_e32 v98, 0x7fc02000
	s_mov_b32 s20, exec_lo
	s_delay_alu instid0(VALU_DEP_2)
	v_cmpx_ne_u32_e32 0x7f, v99
	s_cbranch_execz .LBB335_144
; %bb.141:                              ;   in Loop: Header=BB335_10 Depth=1
	v_and_b32_e32 v8, 7, v103
	v_lshrrev_b32_e32 v98, 3, v99
	s_mov_b32 s21, exec_lo
	v_cmpx_gt_u32_e32 8, v99
; %bb.142:                              ;   in Loop: Header=BB335_10 Depth=1
	s_delay_alu instid0(VALU_DEP_3) | instskip(NEXT) | instid1(VALU_DEP_1)
	v_clz_i32_u32_e32 v98, v8
	v_min_u32_e32 v98, 32, v98
	s_delay_alu instid0(VALU_DEP_1) | instskip(SKIP_1) | instid1(VALU_DEP_2)
	v_subrev_nc_u32_e32 v99, 28, v98
	v_sub_nc_u32_e32 v98, 29, v98
	v_lshlrev_b64 v[99:100], v99, v[8:9]
	s_delay_alu instid0(VALU_DEP_1)
	v_and_b32_e32 v8, 7, v99
; %bb.143:                              ;   in Loop: Header=BB335_10 Depth=1
	s_or_b32 exec_lo, exec_lo, s21
	v_lshlrev_b32_e32 v99, 8, v103
	v_lshl_add_u32 v98, v98, 10, 0x2000
	s_delay_alu instid0(VALU_DEP_1) | instskip(NEXT) | instid1(VALU_DEP_1)
	v_and_or_b32 v98, 0x8000, v99, v98
	v_lshl_or_b32 v8, v8, 7, v98
	s_delay_alu instid0(VALU_DEP_1)
	v_cvt_f32_f16_e32 v98, v8
.LBB335_144:                            ;   in Loop: Header=BB335_10 Depth=1
	s_or_b32 exec_lo, exec_lo, s20
.LBB335_145:                            ;   in Loop: Header=BB335_10 Depth=1
	s_delay_alu instid0(SALU_CYCLE_1)
	s_or_b32 exec_lo, exec_lo, s19
.LBB335_146:                            ;   in Loop: Header=BB335_10 Depth=1
	s_delay_alu instid0(SALU_CYCLE_1) | instskip(SKIP_3) | instid1(VALU_DEP_2)
	s_or_b32 exec_lo, exec_lo, s3
	v_lshrrev_b16 v8, 8, v103
	v_dual_mov_b32 v99, 0 :: v_dual_mov_b32 v100, 0
	s_mov_b32 s3, exec_lo
	v_cmpx_ne_u16_e32 0, v8
	s_cbranch_execz .LBB335_154
; %bb.147:                              ;   in Loop: Header=BB335_10 Depth=1
	v_bfrev_b32_e32 v100, 1
	s_mov_b32 s19, exec_lo
	v_cmpx_ne_u16_e32 0x80, v8
	s_cbranch_execz .LBB335_153
; %bb.148:                              ;   in Loop: Header=BB335_10 Depth=1
	v_and_b32_e32 v101, 0xffff, v8
	v_mov_b32_e32 v100, 0x7fc02000
	s_mov_b32 s20, exec_lo
	s_delay_alu instid0(VALU_DEP_2) | instskip(NEXT) | instid1(VALU_DEP_1)
	v_and_b32_e32 v102, 0x7f, v101
	v_cmpx_ne_u32_e32 0x7f, v102
	s_cbranch_execz .LBB335_152
; %bb.149:                              ;   in Loop: Header=BB335_10 Depth=1
	v_and_b32_e32 v8, 7, v101
	v_lshrrev_b32_e32 v100, 3, v102
	s_mov_b32 s21, exec_lo
	v_cmpx_gt_u32_e32 8, v102
; %bb.150:                              ;   in Loop: Header=BB335_10 Depth=1
	s_delay_alu instid0(VALU_DEP_3) | instskip(NEXT) | instid1(VALU_DEP_1)
	v_clz_i32_u32_e32 v100, v8
	v_min_u32_e32 v100, 32, v100
	s_delay_alu instid0(VALU_DEP_1) | instskip(SKIP_1) | instid1(VALU_DEP_2)
	v_subrev_nc_u32_e32 v102, 28, v100
	v_sub_nc_u32_e32 v100, 29, v100
	v_lshlrev_b64 v[112:113], v102, v[8:9]
	s_delay_alu instid0(VALU_DEP_1)
	v_and_b32_e32 v8, 7, v112
; %bb.151:                              ;   in Loop: Header=BB335_10 Depth=1
	s_or_b32 exec_lo, exec_lo, s21
	v_lshlrev_b32_e32 v101, 8, v101
	v_lshl_add_u32 v100, v100, 10, 0x2000
	s_delay_alu instid0(VALU_DEP_1) | instskip(NEXT) | instid1(VALU_DEP_1)
	v_and_or_b32 v100, 0x8000, v101, v100
	v_lshl_or_b32 v8, v8, 7, v100
	s_delay_alu instid0(VALU_DEP_1)
	v_cvt_f32_f16_e32 v100, v8
.LBB335_152:                            ;   in Loop: Header=BB335_10 Depth=1
	s_or_b32 exec_lo, exec_lo, s20
.LBB335_153:                            ;   in Loop: Header=BB335_10 Depth=1
	s_delay_alu instid0(SALU_CYCLE_1)
	s_or_b32 exec_lo, exec_lo, s19
.LBB335_154:                            ;   in Loop: Header=BB335_10 Depth=1
	s_delay_alu instid0(SALU_CYCLE_1) | instskip(SKIP_2) | instid1(VALU_DEP_1)
	s_or_b32 exec_lo, exec_lo, s3
	v_lshrrev_b32_e32 v101, 16, v103
	s_mov_b32 s3, exec_lo
	v_and_b32_e32 v8, 0xff, v101
	s_delay_alu instid0(VALU_DEP_1)
	v_cmpx_ne_u16_e32 0, v8
	s_cbranch_execz .LBB335_162
; %bb.155:                              ;   in Loop: Header=BB335_10 Depth=1
	v_bfrev_b32_e32 v99, 1
	s_mov_b32 s19, exec_lo
	v_cmpx_ne_u16_e32 0x80, v8
	s_cbranch_execz .LBB335_161
; %bb.156:                              ;   in Loop: Header=BB335_10 Depth=1
	v_bfe_u32 v102, v103, 16, 7
	v_mov_b32_e32 v99, 0x7fc02000
	s_mov_b32 s20, exec_lo
	s_delay_alu instid0(VALU_DEP_2)
	v_cmpx_ne_u32_e32 0x7f, v102
	s_cbranch_execz .LBB335_160
; %bb.157:                              ;   in Loop: Header=BB335_10 Depth=1
	v_and_b32_e32 v8, 7, v101
	v_lshrrev_b32_e32 v99, 3, v102
	s_mov_b32 s21, exec_lo
	v_cmpx_gt_u32_e32 8, v102
; %bb.158:                              ;   in Loop: Header=BB335_10 Depth=1
	s_delay_alu instid0(VALU_DEP_3) | instskip(NEXT) | instid1(VALU_DEP_1)
	v_clz_i32_u32_e32 v99, v8
	v_min_u32_e32 v99, 32, v99
	s_delay_alu instid0(VALU_DEP_1) | instskip(SKIP_1) | instid1(VALU_DEP_2)
	v_subrev_nc_u32_e32 v102, 28, v99
	v_sub_nc_u32_e32 v99, 29, v99
	v_lshlrev_b64 v[112:113], v102, v[8:9]
	s_delay_alu instid0(VALU_DEP_1)
	v_and_b32_e32 v8, 7, v112
; %bb.159:                              ;   in Loop: Header=BB335_10 Depth=1
	s_or_b32 exec_lo, exec_lo, s21
	v_lshlrev_b32_e32 v101, 8, v101
	v_lshl_add_u32 v99, v99, 10, 0x2000
	s_delay_alu instid0(VALU_DEP_1) | instskip(NEXT) | instid1(VALU_DEP_1)
	v_and_or_b32 v99, 0x8000, v101, v99
	v_lshl_or_b32 v8, v8, 7, v99
	s_delay_alu instid0(VALU_DEP_1)
	v_cvt_f32_f16_e32 v99, v8
.LBB335_160:                            ;   in Loop: Header=BB335_10 Depth=1
	s_or_b32 exec_lo, exec_lo, s20
.LBB335_161:                            ;   in Loop: Header=BB335_10 Depth=1
	s_delay_alu instid0(SALU_CYCLE_1)
	s_or_b32 exec_lo, exec_lo, s19
.LBB335_162:                            ;   in Loop: Header=BB335_10 Depth=1
	s_delay_alu instid0(SALU_CYCLE_1)
	s_or_b32 exec_lo, exec_lo, s3
	v_dual_mov_b32 v102, 0 :: v_dual_mov_b32 v101, 0
	s_mov_b32 s3, exec_lo
	v_cmpx_lt_u32_e32 0xffffff, v103
	s_cbranch_execz .LBB335_170
; %bb.163:                              ;   in Loop: Header=BB335_10 Depth=1
	v_lshrrev_b32_e32 v103, 24, v103
	v_bfrev_b32_e32 v101, 1
	s_mov_b32 s19, exec_lo
	s_delay_alu instid0(VALU_DEP_2)
	v_cmpx_ne_u32_e32 0x80, v103
	s_cbranch_execz .LBB335_169
; %bb.164:                              ;   in Loop: Header=BB335_10 Depth=1
	v_and_b32_e32 v112, 0x7f, v103
	v_mov_b32_e32 v101, 0x7fc02000
	s_mov_b32 s20, exec_lo
	s_delay_alu instid0(VALU_DEP_2)
	v_cmpx_ne_u32_e32 0x7f, v112
	s_cbranch_execz .LBB335_168
; %bb.165:                              ;   in Loop: Header=BB335_10 Depth=1
	v_and_b32_e32 v8, 7, v103
	v_lshrrev_b32_e32 v101, 3, v112
	s_mov_b32 s21, exec_lo
	v_cmpx_gt_u32_e32 8, v112
; %bb.166:                              ;   in Loop: Header=BB335_10 Depth=1
	s_delay_alu instid0(VALU_DEP_3) | instskip(NEXT) | instid1(VALU_DEP_1)
	v_clz_i32_u32_e32 v101, v8
	v_min_u32_e32 v101, 32, v101
	s_delay_alu instid0(VALU_DEP_1) | instskip(SKIP_1) | instid1(VALU_DEP_2)
	v_subrev_nc_u32_e32 v112, 28, v101
	v_sub_nc_u32_e32 v101, 29, v101
	v_lshlrev_b64 v[112:113], v112, v[8:9]
	s_delay_alu instid0(VALU_DEP_1)
	v_and_b32_e32 v8, 7, v112
; %bb.167:                              ;   in Loop: Header=BB335_10 Depth=1
	s_or_b32 exec_lo, exec_lo, s21
	v_lshlrev_b32_e32 v103, 8, v103
	v_lshl_add_u32 v101, v101, 10, 0x2000
	s_delay_alu instid0(VALU_DEP_1) | instskip(NEXT) | instid1(VALU_DEP_1)
	v_and_or_b32 v101, 0x8000, v103, v101
	v_lshl_or_b32 v8, v8, 7, v101
	s_delay_alu instid0(VALU_DEP_1)
	v_cvt_f32_f16_e32 v101, v8
.LBB335_168:                            ;   in Loop: Header=BB335_10 Depth=1
	s_or_b32 exec_lo, exec_lo, s20
.LBB335_169:                            ;   in Loop: Header=BB335_10 Depth=1
	s_delay_alu instid0(SALU_CYCLE_1)
	s_or_b32 exec_lo, exec_lo, s19
.LBB335_170:                            ;   in Loop: Header=BB335_10 Depth=1
	s_delay_alu instid0(SALU_CYCLE_1) | instskip(SKIP_4) | instid1(VALU_DEP_1)
	s_or_b32 exec_lo, exec_lo, s3
	flat_load_b32 v115, v[28:29] offset:520
	s_mov_b32 s3, exec_lo
	s_waitcnt vmcnt(0) lgkmcnt(0)
	v_and_b32_e32 v8, 0xff, v115
	v_cmpx_ne_u16_e32 0, v8
	s_cbranch_execz .LBB335_178
; %bb.171:                              ;   in Loop: Header=BB335_10 Depth=1
	v_bfrev_b32_e32 v102, 1
	s_mov_b32 s19, exec_lo
	v_cmpx_ne_u16_e32 0x80, v8
	s_cbranch_execz .LBB335_177
; %bb.172:                              ;   in Loop: Header=BB335_10 Depth=1
	v_and_b32_e32 v103, 0x7f, v115
	v_mov_b32_e32 v102, 0x7fc02000
	s_mov_b32 s20, exec_lo
	s_delay_alu instid0(VALU_DEP_2)
	v_cmpx_ne_u32_e32 0x7f, v103
	s_cbranch_execz .LBB335_176
; %bb.173:                              ;   in Loop: Header=BB335_10 Depth=1
	v_and_b32_e32 v8, 7, v115
	v_lshrrev_b32_e32 v102, 3, v103
	s_mov_b32 s21, exec_lo
	v_cmpx_gt_u32_e32 8, v103
; %bb.174:                              ;   in Loop: Header=BB335_10 Depth=1
	s_delay_alu instid0(VALU_DEP_3) | instskip(NEXT) | instid1(VALU_DEP_1)
	v_clz_i32_u32_e32 v102, v8
	v_min_u32_e32 v102, 32, v102
	s_delay_alu instid0(VALU_DEP_1) | instskip(SKIP_1) | instid1(VALU_DEP_2)
	v_subrev_nc_u32_e32 v103, 28, v102
	v_sub_nc_u32_e32 v102, 29, v102
	v_lshlrev_b64 v[112:113], v103, v[8:9]
	s_delay_alu instid0(VALU_DEP_1)
	v_and_b32_e32 v8, 7, v112
; %bb.175:                              ;   in Loop: Header=BB335_10 Depth=1
	s_or_b32 exec_lo, exec_lo, s21
	v_lshlrev_b32_e32 v103, 8, v115
	v_lshl_add_u32 v102, v102, 10, 0x2000
	s_delay_alu instid0(VALU_DEP_1) | instskip(NEXT) | instid1(VALU_DEP_1)
	v_and_or_b32 v102, 0x8000, v103, v102
	v_lshl_or_b32 v8, v8, 7, v102
	s_delay_alu instid0(VALU_DEP_1)
	v_cvt_f32_f16_e32 v102, v8
.LBB335_176:                            ;   in Loop: Header=BB335_10 Depth=1
	s_or_b32 exec_lo, exec_lo, s20
.LBB335_177:                            ;   in Loop: Header=BB335_10 Depth=1
	s_delay_alu instid0(SALU_CYCLE_1)
	s_or_b32 exec_lo, exec_lo, s19
.LBB335_178:                            ;   in Loop: Header=BB335_10 Depth=1
	s_delay_alu instid0(SALU_CYCLE_1) | instskip(SKIP_3) | instid1(VALU_DEP_2)
	s_or_b32 exec_lo, exec_lo, s3
	v_lshrrev_b16 v8, 8, v115
	v_dual_mov_b32 v103, 0 :: v_dual_mov_b32 v112, 0
	s_mov_b32 s3, exec_lo
	v_cmpx_ne_u16_e32 0, v8
	s_cbranch_execz .LBB335_186
; %bb.179:                              ;   in Loop: Header=BB335_10 Depth=1
	v_bfrev_b32_e32 v112, 1
	s_mov_b32 s19, exec_lo
	v_cmpx_ne_u16_e32 0x80, v8
	s_cbranch_execz .LBB335_185
; %bb.180:                              ;   in Loop: Header=BB335_10 Depth=1
	v_and_b32_e32 v113, 0xffff, v8
	v_mov_b32_e32 v112, 0x7fc02000
	s_mov_b32 s20, exec_lo
	s_delay_alu instid0(VALU_DEP_2) | instskip(NEXT) | instid1(VALU_DEP_1)
	v_and_b32_e32 v114, 0x7f, v113
	v_cmpx_ne_u32_e32 0x7f, v114
	s_cbranch_execz .LBB335_184
; %bb.181:                              ;   in Loop: Header=BB335_10 Depth=1
	v_and_b32_e32 v8, 7, v113
	v_lshrrev_b32_e32 v112, 3, v114
	s_mov_b32 s21, exec_lo
	v_cmpx_gt_u32_e32 8, v114
; %bb.182:                              ;   in Loop: Header=BB335_10 Depth=1
	s_delay_alu instid0(VALU_DEP_3) | instskip(NEXT) | instid1(VALU_DEP_1)
	v_clz_i32_u32_e32 v112, v8
	v_min_u32_e32 v112, 32, v112
	s_delay_alu instid0(VALU_DEP_1) | instskip(SKIP_1) | instid1(VALU_DEP_2)
	v_subrev_nc_u32_e32 v114, 28, v112
	v_sub_nc_u32_e32 v112, 29, v112
	v_lshlrev_b64 v[116:117], v114, v[8:9]
	s_delay_alu instid0(VALU_DEP_1)
	v_and_b32_e32 v8, 7, v116
; %bb.183:                              ;   in Loop: Header=BB335_10 Depth=1
	s_or_b32 exec_lo, exec_lo, s21
	v_lshlrev_b32_e32 v113, 8, v113
	v_lshl_add_u32 v112, v112, 10, 0x2000
	s_delay_alu instid0(VALU_DEP_1) | instskip(NEXT) | instid1(VALU_DEP_1)
	v_and_or_b32 v112, 0x8000, v113, v112
	v_lshl_or_b32 v8, v8, 7, v112
	s_delay_alu instid0(VALU_DEP_1)
	v_cvt_f32_f16_e32 v112, v8
.LBB335_184:                            ;   in Loop: Header=BB335_10 Depth=1
	s_or_b32 exec_lo, exec_lo, s20
.LBB335_185:                            ;   in Loop: Header=BB335_10 Depth=1
	s_delay_alu instid0(SALU_CYCLE_1)
	s_or_b32 exec_lo, exec_lo, s19
.LBB335_186:                            ;   in Loop: Header=BB335_10 Depth=1
	s_delay_alu instid0(SALU_CYCLE_1) | instskip(SKIP_2) | instid1(VALU_DEP_1)
	s_or_b32 exec_lo, exec_lo, s3
	v_lshrrev_b32_e32 v113, 16, v115
	s_mov_b32 s3, exec_lo
	v_and_b32_e32 v8, 0xff, v113
	s_delay_alu instid0(VALU_DEP_1)
	v_cmpx_ne_u16_e32 0, v8
	s_cbranch_execz .LBB335_194
; %bb.187:                              ;   in Loop: Header=BB335_10 Depth=1
	v_bfrev_b32_e32 v103, 1
	s_mov_b32 s19, exec_lo
	v_cmpx_ne_u16_e32 0x80, v8
	s_cbranch_execz .LBB335_193
; %bb.188:                              ;   in Loop: Header=BB335_10 Depth=1
	v_bfe_u32 v114, v115, 16, 7
	v_mov_b32_e32 v103, 0x7fc02000
	s_mov_b32 s20, exec_lo
	s_delay_alu instid0(VALU_DEP_2)
	v_cmpx_ne_u32_e32 0x7f, v114
	s_cbranch_execz .LBB335_192
; %bb.189:                              ;   in Loop: Header=BB335_10 Depth=1
	v_and_b32_e32 v8, 7, v113
	v_lshrrev_b32_e32 v103, 3, v114
	s_mov_b32 s21, exec_lo
	v_cmpx_gt_u32_e32 8, v114
; %bb.190:                              ;   in Loop: Header=BB335_10 Depth=1
	s_delay_alu instid0(VALU_DEP_3) | instskip(NEXT) | instid1(VALU_DEP_1)
	v_clz_i32_u32_e32 v103, v8
	v_min_u32_e32 v103, 32, v103
	s_delay_alu instid0(VALU_DEP_1) | instskip(SKIP_1) | instid1(VALU_DEP_2)
	v_subrev_nc_u32_e32 v114, 28, v103
	v_sub_nc_u32_e32 v103, 29, v103
	v_lshlrev_b64 v[116:117], v114, v[8:9]
	s_delay_alu instid0(VALU_DEP_1)
	v_and_b32_e32 v8, 7, v116
; %bb.191:                              ;   in Loop: Header=BB335_10 Depth=1
	s_or_b32 exec_lo, exec_lo, s21
	v_lshlrev_b32_e32 v113, 8, v113
	v_lshl_add_u32 v103, v103, 10, 0x2000
	s_delay_alu instid0(VALU_DEP_1) | instskip(NEXT) | instid1(VALU_DEP_1)
	v_and_or_b32 v103, 0x8000, v113, v103
	v_lshl_or_b32 v8, v8, 7, v103
	s_delay_alu instid0(VALU_DEP_1)
	v_cvt_f32_f16_e32 v103, v8
.LBB335_192:                            ;   in Loop: Header=BB335_10 Depth=1
	s_or_b32 exec_lo, exec_lo, s20
.LBB335_193:                            ;   in Loop: Header=BB335_10 Depth=1
	s_delay_alu instid0(SALU_CYCLE_1)
	s_or_b32 exec_lo, exec_lo, s19
.LBB335_194:                            ;   in Loop: Header=BB335_10 Depth=1
	s_delay_alu instid0(SALU_CYCLE_1)
	s_or_b32 exec_lo, exec_lo, s3
	v_dual_mov_b32 v114, 0 :: v_dual_mov_b32 v113, 0
	s_mov_b32 s3, exec_lo
	v_cmpx_lt_u32_e32 0xffffff, v115
	s_cbranch_execz .LBB335_202
; %bb.195:                              ;   in Loop: Header=BB335_10 Depth=1
	v_lshrrev_b32_e32 v115, 24, v115
	v_bfrev_b32_e32 v113, 1
	s_mov_b32 s19, exec_lo
	s_delay_alu instid0(VALU_DEP_2)
	v_cmpx_ne_u32_e32 0x80, v115
	s_cbranch_execz .LBB335_201
; %bb.196:                              ;   in Loop: Header=BB335_10 Depth=1
	v_and_b32_e32 v116, 0x7f, v115
	v_mov_b32_e32 v113, 0x7fc02000
	s_mov_b32 s20, exec_lo
	s_delay_alu instid0(VALU_DEP_2)
	v_cmpx_ne_u32_e32 0x7f, v116
	s_cbranch_execz .LBB335_200
; %bb.197:                              ;   in Loop: Header=BB335_10 Depth=1
	v_and_b32_e32 v8, 7, v115
	v_lshrrev_b32_e32 v113, 3, v116
	s_mov_b32 s21, exec_lo
	v_cmpx_gt_u32_e32 8, v116
; %bb.198:                              ;   in Loop: Header=BB335_10 Depth=1
	s_delay_alu instid0(VALU_DEP_3) | instskip(NEXT) | instid1(VALU_DEP_1)
	v_clz_i32_u32_e32 v113, v8
	v_min_u32_e32 v113, 32, v113
	s_delay_alu instid0(VALU_DEP_1) | instskip(SKIP_1) | instid1(VALU_DEP_2)
	v_subrev_nc_u32_e32 v116, 28, v113
	v_sub_nc_u32_e32 v113, 29, v113
	v_lshlrev_b64 v[116:117], v116, v[8:9]
	s_delay_alu instid0(VALU_DEP_1)
	v_and_b32_e32 v8, 7, v116
; %bb.199:                              ;   in Loop: Header=BB335_10 Depth=1
	s_or_b32 exec_lo, exec_lo, s21
	v_lshlrev_b32_e32 v115, 8, v115
	v_lshl_add_u32 v113, v113, 10, 0x2000
	s_delay_alu instid0(VALU_DEP_1) | instskip(NEXT) | instid1(VALU_DEP_1)
	v_and_or_b32 v113, 0x8000, v115, v113
	v_lshl_or_b32 v8, v8, 7, v113
	s_delay_alu instid0(VALU_DEP_1)
	v_cvt_f32_f16_e32 v113, v8
.LBB335_200:                            ;   in Loop: Header=BB335_10 Depth=1
	s_or_b32 exec_lo, exec_lo, s20
.LBB335_201:                            ;   in Loop: Header=BB335_10 Depth=1
	s_delay_alu instid0(SALU_CYCLE_1)
	s_or_b32 exec_lo, exec_lo, s19
.LBB335_202:                            ;   in Loop: Header=BB335_10 Depth=1
	s_delay_alu instid0(SALU_CYCLE_1) | instskip(SKIP_4) | instid1(VALU_DEP_1)
	s_or_b32 exec_lo, exec_lo, s3
	flat_load_b32 v119, v[28:29] offset:768
	s_mov_b32 s3, exec_lo
	s_waitcnt vmcnt(0) lgkmcnt(0)
	v_and_b32_e32 v8, 0xff, v119
	v_cmpx_ne_u16_e32 0, v8
	s_cbranch_execz .LBB335_210
; %bb.203:                              ;   in Loop: Header=BB335_10 Depth=1
	v_bfrev_b32_e32 v114, 1
	s_mov_b32 s19, exec_lo
	v_cmpx_ne_u16_e32 0x80, v8
	s_cbranch_execz .LBB335_209
; %bb.204:                              ;   in Loop: Header=BB335_10 Depth=1
	v_and_b32_e32 v115, 0x7f, v119
	v_mov_b32_e32 v114, 0x7fc02000
	s_mov_b32 s20, exec_lo
	s_delay_alu instid0(VALU_DEP_2)
	v_cmpx_ne_u32_e32 0x7f, v115
	s_cbranch_execz .LBB335_208
; %bb.205:                              ;   in Loop: Header=BB335_10 Depth=1
	v_and_b32_e32 v8, 7, v119
	v_lshrrev_b32_e32 v114, 3, v115
	s_mov_b32 s21, exec_lo
	v_cmpx_gt_u32_e32 8, v115
; %bb.206:                              ;   in Loop: Header=BB335_10 Depth=1
	s_delay_alu instid0(VALU_DEP_3) | instskip(NEXT) | instid1(VALU_DEP_1)
	v_clz_i32_u32_e32 v114, v8
	v_min_u32_e32 v114, 32, v114
	s_delay_alu instid0(VALU_DEP_1) | instskip(SKIP_1) | instid1(VALU_DEP_2)
	v_subrev_nc_u32_e32 v115, 28, v114
	v_sub_nc_u32_e32 v114, 29, v114
	v_lshlrev_b64 v[115:116], v115, v[8:9]
	s_delay_alu instid0(VALU_DEP_1)
	v_and_b32_e32 v8, 7, v115
; %bb.207:                              ;   in Loop: Header=BB335_10 Depth=1
	s_or_b32 exec_lo, exec_lo, s21
	v_lshlrev_b32_e32 v115, 8, v119
	v_lshl_add_u32 v114, v114, 10, 0x2000
	s_delay_alu instid0(VALU_DEP_1) | instskip(NEXT) | instid1(VALU_DEP_1)
	v_and_or_b32 v114, 0x8000, v115, v114
	v_lshl_or_b32 v8, v8, 7, v114
	s_delay_alu instid0(VALU_DEP_1)
	v_cvt_f32_f16_e32 v114, v8
.LBB335_208:                            ;   in Loop: Header=BB335_10 Depth=1
	s_or_b32 exec_lo, exec_lo, s20
.LBB335_209:                            ;   in Loop: Header=BB335_10 Depth=1
	s_delay_alu instid0(SALU_CYCLE_1)
	s_or_b32 exec_lo, exec_lo, s19
.LBB335_210:                            ;   in Loop: Header=BB335_10 Depth=1
	s_delay_alu instid0(SALU_CYCLE_1) | instskip(SKIP_3) | instid1(VALU_DEP_2)
	s_or_b32 exec_lo, exec_lo, s3
	v_lshrrev_b16 v8, 8, v119
	v_dual_mov_b32 v115, 0 :: v_dual_mov_b32 v116, 0
	s_mov_b32 s3, exec_lo
	v_cmpx_ne_u16_e32 0, v8
	s_cbranch_execz .LBB335_218
; %bb.211:                              ;   in Loop: Header=BB335_10 Depth=1
	v_bfrev_b32_e32 v116, 1
	s_mov_b32 s19, exec_lo
	v_cmpx_ne_u16_e32 0x80, v8
	s_cbranch_execz .LBB335_217
; %bb.212:                              ;   in Loop: Header=BB335_10 Depth=1
	v_and_b32_e32 v117, 0xffff, v8
	v_mov_b32_e32 v116, 0x7fc02000
	s_mov_b32 s20, exec_lo
	s_delay_alu instid0(VALU_DEP_2) | instskip(NEXT) | instid1(VALU_DEP_1)
	v_and_b32_e32 v118, 0x7f, v117
	v_cmpx_ne_u32_e32 0x7f, v118
	s_cbranch_execz .LBB335_216
; %bb.213:                              ;   in Loop: Header=BB335_10 Depth=1
	v_and_b32_e32 v8, 7, v117
	v_lshrrev_b32_e32 v116, 3, v118
	s_mov_b32 s21, exec_lo
	v_cmpx_gt_u32_e32 8, v118
; %bb.214:                              ;   in Loop: Header=BB335_10 Depth=1
	s_delay_alu instid0(VALU_DEP_3) | instskip(NEXT) | instid1(VALU_DEP_1)
	v_clz_i32_u32_e32 v116, v8
	v_min_u32_e32 v116, 32, v116
	s_delay_alu instid0(VALU_DEP_1) | instskip(SKIP_1) | instid1(VALU_DEP_2)
	v_subrev_nc_u32_e32 v118, 28, v116
	v_sub_nc_u32_e32 v116, 29, v116
	v_lshlrev_b64 v[128:129], v118, v[8:9]
	s_delay_alu instid0(VALU_DEP_1)
	v_and_b32_e32 v8, 7, v128
; %bb.215:                              ;   in Loop: Header=BB335_10 Depth=1
	s_or_b32 exec_lo, exec_lo, s21
	v_lshlrev_b32_e32 v117, 8, v117
	v_lshl_add_u32 v116, v116, 10, 0x2000
	s_delay_alu instid0(VALU_DEP_1) | instskip(NEXT) | instid1(VALU_DEP_1)
	v_and_or_b32 v116, 0x8000, v117, v116
	v_lshl_or_b32 v8, v8, 7, v116
	s_delay_alu instid0(VALU_DEP_1)
	v_cvt_f32_f16_e32 v116, v8
.LBB335_216:                            ;   in Loop: Header=BB335_10 Depth=1
	s_or_b32 exec_lo, exec_lo, s20
.LBB335_217:                            ;   in Loop: Header=BB335_10 Depth=1
	s_delay_alu instid0(SALU_CYCLE_1)
	s_or_b32 exec_lo, exec_lo, s19
.LBB335_218:                            ;   in Loop: Header=BB335_10 Depth=1
	s_delay_alu instid0(SALU_CYCLE_1) | instskip(SKIP_2) | instid1(VALU_DEP_1)
	s_or_b32 exec_lo, exec_lo, s3
	v_lshrrev_b32_e32 v117, 16, v119
	s_mov_b32 s3, exec_lo
	v_and_b32_e32 v8, 0xff, v117
	s_delay_alu instid0(VALU_DEP_1)
	v_cmpx_ne_u16_e32 0, v8
	s_cbranch_execz .LBB335_226
; %bb.219:                              ;   in Loop: Header=BB335_10 Depth=1
	v_bfrev_b32_e32 v115, 1
	s_mov_b32 s19, exec_lo
	v_cmpx_ne_u16_e32 0x80, v8
	s_cbranch_execz .LBB335_225
; %bb.220:                              ;   in Loop: Header=BB335_10 Depth=1
	v_bfe_u32 v118, v119, 16, 7
	v_mov_b32_e32 v115, 0x7fc02000
	s_mov_b32 s20, exec_lo
	s_delay_alu instid0(VALU_DEP_2)
	v_cmpx_ne_u32_e32 0x7f, v118
	s_cbranch_execz .LBB335_224
; %bb.221:                              ;   in Loop: Header=BB335_10 Depth=1
	v_and_b32_e32 v8, 7, v117
	v_lshrrev_b32_e32 v115, 3, v118
	s_mov_b32 s21, exec_lo
	v_cmpx_gt_u32_e32 8, v118
; %bb.222:                              ;   in Loop: Header=BB335_10 Depth=1
	s_delay_alu instid0(VALU_DEP_3) | instskip(NEXT) | instid1(VALU_DEP_1)
	v_clz_i32_u32_e32 v115, v8
	v_min_u32_e32 v115, 32, v115
	s_delay_alu instid0(VALU_DEP_1) | instskip(SKIP_1) | instid1(VALU_DEP_2)
	v_subrev_nc_u32_e32 v118, 28, v115
	v_sub_nc_u32_e32 v115, 29, v115
	v_lshlrev_b64 v[128:129], v118, v[8:9]
	s_delay_alu instid0(VALU_DEP_1)
	v_and_b32_e32 v8, 7, v128
; %bb.223:                              ;   in Loop: Header=BB335_10 Depth=1
	s_or_b32 exec_lo, exec_lo, s21
	v_lshlrev_b32_e32 v117, 8, v117
	v_lshl_add_u32 v115, v115, 10, 0x2000
	s_delay_alu instid0(VALU_DEP_1) | instskip(NEXT) | instid1(VALU_DEP_1)
	v_and_or_b32 v115, 0x8000, v117, v115
	v_lshl_or_b32 v8, v8, 7, v115
	s_delay_alu instid0(VALU_DEP_1)
	v_cvt_f32_f16_e32 v115, v8
.LBB335_224:                            ;   in Loop: Header=BB335_10 Depth=1
	s_or_b32 exec_lo, exec_lo, s20
.LBB335_225:                            ;   in Loop: Header=BB335_10 Depth=1
	s_delay_alu instid0(SALU_CYCLE_1)
	s_or_b32 exec_lo, exec_lo, s19
.LBB335_226:                            ;   in Loop: Header=BB335_10 Depth=1
	s_delay_alu instid0(SALU_CYCLE_1)
	s_or_b32 exec_lo, exec_lo, s3
	v_dual_mov_b32 v118, 0 :: v_dual_mov_b32 v117, 0
	s_mov_b32 s3, exec_lo
	v_cmpx_lt_u32_e32 0xffffff, v119
	s_cbranch_execz .LBB335_234
; %bb.227:                              ;   in Loop: Header=BB335_10 Depth=1
	v_lshrrev_b32_e32 v119, 24, v119
	v_bfrev_b32_e32 v117, 1
	s_mov_b32 s19, exec_lo
	s_delay_alu instid0(VALU_DEP_2)
	v_cmpx_ne_u32_e32 0x80, v119
	s_cbranch_execz .LBB335_233
; %bb.228:                              ;   in Loop: Header=BB335_10 Depth=1
	v_and_b32_e32 v128, 0x7f, v119
	v_mov_b32_e32 v117, 0x7fc02000
	s_mov_b32 s20, exec_lo
	s_delay_alu instid0(VALU_DEP_2)
	v_cmpx_ne_u32_e32 0x7f, v128
	s_cbranch_execz .LBB335_232
; %bb.229:                              ;   in Loop: Header=BB335_10 Depth=1
	v_and_b32_e32 v8, 7, v119
	v_lshrrev_b32_e32 v117, 3, v128
	s_mov_b32 s21, exec_lo
	v_cmpx_gt_u32_e32 8, v128
; %bb.230:                              ;   in Loop: Header=BB335_10 Depth=1
	s_delay_alu instid0(VALU_DEP_3) | instskip(NEXT) | instid1(VALU_DEP_1)
	v_clz_i32_u32_e32 v117, v8
	v_min_u32_e32 v117, 32, v117
	s_delay_alu instid0(VALU_DEP_1) | instskip(SKIP_1) | instid1(VALU_DEP_2)
	v_subrev_nc_u32_e32 v128, 28, v117
	v_sub_nc_u32_e32 v117, 29, v117
	v_lshlrev_b64 v[128:129], v128, v[8:9]
	s_delay_alu instid0(VALU_DEP_1)
	v_and_b32_e32 v8, 7, v128
; %bb.231:                              ;   in Loop: Header=BB335_10 Depth=1
	s_or_b32 exec_lo, exec_lo, s21
	v_lshlrev_b32_e32 v119, 8, v119
	v_lshl_add_u32 v117, v117, 10, 0x2000
	s_delay_alu instid0(VALU_DEP_1) | instskip(NEXT) | instid1(VALU_DEP_1)
	v_and_or_b32 v117, 0x8000, v119, v117
	v_lshl_or_b32 v8, v8, 7, v117
	s_delay_alu instid0(VALU_DEP_1)
	v_cvt_f32_f16_e32 v117, v8
.LBB335_232:                            ;   in Loop: Header=BB335_10 Depth=1
	s_or_b32 exec_lo, exec_lo, s20
.LBB335_233:                            ;   in Loop: Header=BB335_10 Depth=1
	s_delay_alu instid0(SALU_CYCLE_1)
	s_or_b32 exec_lo, exec_lo, s19
.LBB335_234:                            ;   in Loop: Header=BB335_10 Depth=1
	s_delay_alu instid0(SALU_CYCLE_1) | instskip(SKIP_4) | instid1(VALU_DEP_1)
	s_or_b32 exec_lo, exec_lo, s3
	flat_load_b32 v131, v[28:29] offset:776
	s_mov_b32 s3, exec_lo
	s_waitcnt vmcnt(0) lgkmcnt(0)
	v_and_b32_e32 v8, 0xff, v131
	v_cmpx_ne_u16_e32 0, v8
	s_cbranch_execz .LBB335_242
; %bb.235:                              ;   in Loop: Header=BB335_10 Depth=1
	v_bfrev_b32_e32 v118, 1
	s_mov_b32 s19, exec_lo
	v_cmpx_ne_u16_e32 0x80, v8
	s_cbranch_execz .LBB335_241
; %bb.236:                              ;   in Loop: Header=BB335_10 Depth=1
	v_and_b32_e32 v119, 0x7f, v131
	v_mov_b32_e32 v118, 0x7fc02000
	s_mov_b32 s20, exec_lo
	s_delay_alu instid0(VALU_DEP_2)
	v_cmpx_ne_u32_e32 0x7f, v119
	s_cbranch_execz .LBB335_240
; %bb.237:                              ;   in Loop: Header=BB335_10 Depth=1
	v_and_b32_e32 v8, 7, v131
	v_lshrrev_b32_e32 v118, 3, v119
	s_mov_b32 s21, exec_lo
	v_cmpx_gt_u32_e32 8, v119
; %bb.238:                              ;   in Loop: Header=BB335_10 Depth=1
	s_delay_alu instid0(VALU_DEP_3) | instskip(NEXT) | instid1(VALU_DEP_1)
	v_clz_i32_u32_e32 v118, v8
	v_min_u32_e32 v118, 32, v118
	s_delay_alu instid0(VALU_DEP_1) | instskip(SKIP_1) | instid1(VALU_DEP_2)
	v_subrev_nc_u32_e32 v119, 28, v118
	v_sub_nc_u32_e32 v118, 29, v118
	v_lshlrev_b64 v[128:129], v119, v[8:9]
	s_delay_alu instid0(VALU_DEP_1)
	v_and_b32_e32 v8, 7, v128
; %bb.239:                              ;   in Loop: Header=BB335_10 Depth=1
	s_or_b32 exec_lo, exec_lo, s21
	v_lshlrev_b32_e32 v119, 8, v131
	v_lshl_add_u32 v118, v118, 10, 0x2000
	s_delay_alu instid0(VALU_DEP_1) | instskip(NEXT) | instid1(VALU_DEP_1)
	v_and_or_b32 v118, 0x8000, v119, v118
	v_lshl_or_b32 v8, v8, 7, v118
	s_delay_alu instid0(VALU_DEP_1)
	v_cvt_f32_f16_e32 v118, v8
.LBB335_240:                            ;   in Loop: Header=BB335_10 Depth=1
	s_or_b32 exec_lo, exec_lo, s20
.LBB335_241:                            ;   in Loop: Header=BB335_10 Depth=1
	s_delay_alu instid0(SALU_CYCLE_1)
	s_or_b32 exec_lo, exec_lo, s19
.LBB335_242:                            ;   in Loop: Header=BB335_10 Depth=1
	s_delay_alu instid0(SALU_CYCLE_1) | instskip(SKIP_3) | instid1(VALU_DEP_2)
	s_or_b32 exec_lo, exec_lo, s3
	v_lshrrev_b16 v8, 8, v131
	v_dual_mov_b32 v119, 0 :: v_dual_mov_b32 v128, 0
	s_mov_b32 s3, exec_lo
	v_cmpx_ne_u16_e32 0, v8
	s_cbranch_execz .LBB335_250
; %bb.243:                              ;   in Loop: Header=BB335_10 Depth=1
	v_bfrev_b32_e32 v128, 1
	s_mov_b32 s19, exec_lo
	v_cmpx_ne_u16_e32 0x80, v8
	s_cbranch_execz .LBB335_249
; %bb.244:                              ;   in Loop: Header=BB335_10 Depth=1
	v_and_b32_e32 v129, 0xffff, v8
	v_mov_b32_e32 v128, 0x7fc02000
	s_mov_b32 s20, exec_lo
	s_delay_alu instid0(VALU_DEP_2) | instskip(NEXT) | instid1(VALU_DEP_1)
	v_and_b32_e32 v130, 0x7f, v129
	v_cmpx_ne_u32_e32 0x7f, v130
	s_cbranch_execz .LBB335_248
; %bb.245:                              ;   in Loop: Header=BB335_10 Depth=1
	v_and_b32_e32 v8, 7, v129
	v_lshrrev_b32_e32 v128, 3, v130
	s_mov_b32 s21, exec_lo
	v_cmpx_gt_u32_e32 8, v130
; %bb.246:                              ;   in Loop: Header=BB335_10 Depth=1
	s_delay_alu instid0(VALU_DEP_3) | instskip(NEXT) | instid1(VALU_DEP_1)
	v_clz_i32_u32_e32 v128, v8
	v_min_u32_e32 v128, 32, v128
	s_delay_alu instid0(VALU_DEP_1) | instskip(SKIP_1) | instid1(VALU_DEP_2)
	v_subrev_nc_u32_e32 v130, 28, v128
	v_sub_nc_u32_e32 v128, 29, v128
	v_lshlrev_b64 v[132:133], v130, v[8:9]
	s_delay_alu instid0(VALU_DEP_1)
	v_and_b32_e32 v8, 7, v132
; %bb.247:                              ;   in Loop: Header=BB335_10 Depth=1
	s_or_b32 exec_lo, exec_lo, s21
	v_lshlrev_b32_e32 v129, 8, v129
	v_lshl_add_u32 v128, v128, 10, 0x2000
	s_delay_alu instid0(VALU_DEP_1) | instskip(NEXT) | instid1(VALU_DEP_1)
	v_and_or_b32 v128, 0x8000, v129, v128
	v_lshl_or_b32 v8, v8, 7, v128
	s_delay_alu instid0(VALU_DEP_1)
	v_cvt_f32_f16_e64 v128, v8
.LBB335_248:                            ;   in Loop: Header=BB335_10 Depth=1
	s_or_b32 exec_lo, exec_lo, s20
.LBB335_249:                            ;   in Loop: Header=BB335_10 Depth=1
	s_delay_alu instid0(SALU_CYCLE_1)
	s_or_b32 exec_lo, exec_lo, s19
.LBB335_250:                            ;   in Loop: Header=BB335_10 Depth=1
	s_delay_alu instid0(SALU_CYCLE_1) | instskip(SKIP_2) | instid1(VALU_DEP_1)
	s_or_b32 exec_lo, exec_lo, s3
	v_lshrrev_b32_e32 v129, 16, v131
	s_mov_b32 s3, exec_lo
	v_and_b32_e32 v8, 0xff, v129
	s_delay_alu instid0(VALU_DEP_1)
	v_cmpx_ne_u16_e32 0, v8
	s_cbranch_execz .LBB335_258
; %bb.251:                              ;   in Loop: Header=BB335_10 Depth=1
	v_bfrev_b32_e32 v119, 1
	s_mov_b32 s19, exec_lo
	v_cmpx_ne_u16_e32 0x80, v8
	s_cbranch_execz .LBB335_257
; %bb.252:                              ;   in Loop: Header=BB335_10 Depth=1
	v_bfe_u32 v130, v131, 16, 7
	v_mov_b32_e32 v119, 0x7fc02000
	s_mov_b32 s20, exec_lo
	s_delay_alu instid0(VALU_DEP_2)
	v_cmpx_ne_u32_e32 0x7f, v130
	s_cbranch_execz .LBB335_256
; %bb.253:                              ;   in Loop: Header=BB335_10 Depth=1
	v_and_b32_e32 v8, 7, v129
	v_lshrrev_b32_e32 v119, 3, v130
	s_mov_b32 s21, exec_lo
	v_cmpx_gt_u32_e32 8, v130
; %bb.254:                              ;   in Loop: Header=BB335_10 Depth=1
	s_delay_alu instid0(VALU_DEP_3) | instskip(NEXT) | instid1(VALU_DEP_1)
	v_clz_i32_u32_e32 v119, v8
	v_min_u32_e32 v119, 32, v119
	s_delay_alu instid0(VALU_DEP_1) | instskip(SKIP_1) | instid1(VALU_DEP_2)
	v_subrev_nc_u32_e32 v130, 28, v119
	v_sub_nc_u32_e32 v119, 29, v119
	v_lshlrev_b64 v[132:133], v130, v[8:9]
	s_delay_alu instid0(VALU_DEP_1)
	v_and_b32_e32 v8, 7, v132
; %bb.255:                              ;   in Loop: Header=BB335_10 Depth=1
	s_or_b32 exec_lo, exec_lo, s21
	v_lshlrev_b32_e32 v129, 8, v129
	v_lshl_add_u32 v119, v119, 10, 0x2000
	s_delay_alu instid0(VALU_DEP_1) | instskip(NEXT) | instid1(VALU_DEP_1)
	v_and_or_b32 v119, 0x8000, v129, v119
	v_lshl_or_b32 v8, v8, 7, v119
	s_delay_alu instid0(VALU_DEP_1)
	v_cvt_f32_f16_e32 v119, v8
.LBB335_256:                            ;   in Loop: Header=BB335_10 Depth=1
	s_or_b32 exec_lo, exec_lo, s20
.LBB335_257:                            ;   in Loop: Header=BB335_10 Depth=1
	s_delay_alu instid0(SALU_CYCLE_1)
	s_or_b32 exec_lo, exec_lo, s19
.LBB335_258:                            ;   in Loop: Header=BB335_10 Depth=1
	s_delay_alu instid0(SALU_CYCLE_1)
	s_or_b32 exec_lo, exec_lo, s3
	v_dual_mov_b32 v130, 0 :: v_dual_mov_b32 v129, 0
	s_mov_b32 s3, exec_lo
	v_cmpx_lt_u32_e32 0xffffff, v131
	s_cbranch_execz .LBB335_266
; %bb.259:                              ;   in Loop: Header=BB335_10 Depth=1
	v_lshrrev_b32_e32 v131, 24, v131
	v_bfrev_b32_e32 v129, 1
	s_mov_b32 s19, exec_lo
	s_delay_alu instid0(VALU_DEP_2)
	v_cmpx_ne_u32_e32 0x80, v131
	s_cbranch_execz .LBB335_265
; %bb.260:                              ;   in Loop: Header=BB335_10 Depth=1
	v_and_b32_e32 v132, 0x7f, v131
	v_mov_b32_e32 v129, 0x7fc02000
	s_mov_b32 s20, exec_lo
	s_delay_alu instid0(VALU_DEP_2)
	v_cmpx_ne_u32_e32 0x7f, v132
	s_cbranch_execz .LBB335_264
; %bb.261:                              ;   in Loop: Header=BB335_10 Depth=1
	v_and_b32_e32 v8, 7, v131
	v_lshrrev_b32_e32 v129, 3, v132
	s_mov_b32 s21, exec_lo
	v_cmpx_gt_u32_e32 8, v132
; %bb.262:                              ;   in Loop: Header=BB335_10 Depth=1
	s_delay_alu instid0(VALU_DEP_3) | instskip(NEXT) | instid1(VALU_DEP_1)
	v_clz_i32_u32_e32 v129, v8
	v_min_u32_e32 v129, 32, v129
	s_delay_alu instid0(VALU_DEP_1) | instskip(SKIP_1) | instid1(VALU_DEP_2)
	v_subrev_nc_u32_e32 v132, 28, v129
	v_sub_nc_u32_e32 v129, 29, v129
	v_lshlrev_b64 v[132:133], v132, v[8:9]
	s_delay_alu instid0(VALU_DEP_1)
	v_and_b32_e32 v8, 7, v132
; %bb.263:                              ;   in Loop: Header=BB335_10 Depth=1
	s_or_b32 exec_lo, exec_lo, s21
	v_lshlrev_b32_e32 v131, 8, v131
	v_lshl_add_u32 v129, v129, 10, 0x2000
	s_delay_alu instid0(VALU_DEP_1) | instskip(NEXT) | instid1(VALU_DEP_1)
	v_and_or_b32 v129, 0x8000, v131, v129
	v_lshl_or_b32 v8, v8, 7, v129
	s_delay_alu instid0(VALU_DEP_1)
	v_cvt_f32_f16_e64 v129, v8
.LBB335_264:                            ;   in Loop: Header=BB335_10 Depth=1
	s_or_b32 exec_lo, exec_lo, s20
.LBB335_265:                            ;   in Loop: Header=BB335_10 Depth=1
	s_delay_alu instid0(SALU_CYCLE_1)
	s_or_b32 exec_lo, exec_lo, s19
.LBB335_266:                            ;   in Loop: Header=BB335_10 Depth=1
	s_delay_alu instid0(SALU_CYCLE_1) | instskip(SKIP_4) | instid1(VALU_DEP_1)
	s_or_b32 exec_lo, exec_lo, s3
	flat_load_b32 v135, v[28:29] offset:1024
	s_mov_b32 s3, exec_lo
	s_waitcnt vmcnt(0) lgkmcnt(0)
	v_and_b32_e32 v8, 0xff, v135
	v_cmpx_ne_u16_e32 0, v8
	s_cbranch_execz .LBB335_274
; %bb.267:                              ;   in Loop: Header=BB335_10 Depth=1
	v_bfrev_b32_e32 v130, 1
	s_mov_b32 s19, exec_lo
	v_cmpx_ne_u16_e32 0x80, v8
	s_cbranch_execz .LBB335_273
; %bb.268:                              ;   in Loop: Header=BB335_10 Depth=1
	v_and_b32_e32 v131, 0x7f, v135
	v_mov_b32_e32 v130, 0x7fc02000
	s_mov_b32 s20, exec_lo
	s_delay_alu instid0(VALU_DEP_2)
	v_cmpx_ne_u32_e32 0x7f, v131
	s_cbranch_execz .LBB335_272
; %bb.269:                              ;   in Loop: Header=BB335_10 Depth=1
	v_and_b32_e32 v8, 7, v135
	v_lshrrev_b32_e32 v130, 3, v131
	s_mov_b32 s21, exec_lo
	v_cmpx_gt_u32_e32 8, v131
; %bb.270:                              ;   in Loop: Header=BB335_10 Depth=1
	s_delay_alu instid0(VALU_DEP_3) | instskip(NEXT) | instid1(VALU_DEP_1)
	v_clz_i32_u32_e32 v130, v8
	v_min_u32_e32 v130, 32, v130
	s_delay_alu instid0(VALU_DEP_1) | instskip(SKIP_1) | instid1(VALU_DEP_2)
	v_subrev_nc_u32_e32 v131, 28, v130
	v_sub_nc_u32_e32 v130, 29, v130
	v_lshlrev_b64 v[131:132], v131, v[8:9]
	s_delay_alu instid0(VALU_DEP_1)
	v_and_b32_e32 v8, 7, v131
; %bb.271:                              ;   in Loop: Header=BB335_10 Depth=1
	s_or_b32 exec_lo, exec_lo, s21
	v_lshlrev_b32_e32 v131, 8, v135
	v_lshl_add_u32 v130, v130, 10, 0x2000
	s_delay_alu instid0(VALU_DEP_1) | instskip(NEXT) | instid1(VALU_DEP_1)
	v_and_or_b32 v130, 0x8000, v131, v130
	v_lshl_or_b32 v8, v8, 7, v130
	s_delay_alu instid0(VALU_DEP_1)
	v_cvt_f32_f16_e64 v130, v8
.LBB335_272:                            ;   in Loop: Header=BB335_10 Depth=1
	s_or_b32 exec_lo, exec_lo, s20
.LBB335_273:                            ;   in Loop: Header=BB335_10 Depth=1
	s_delay_alu instid0(SALU_CYCLE_1)
	s_or_b32 exec_lo, exec_lo, s19
.LBB335_274:                            ;   in Loop: Header=BB335_10 Depth=1
	s_delay_alu instid0(SALU_CYCLE_1) | instskip(SKIP_3) | instid1(VALU_DEP_2)
	s_or_b32 exec_lo, exec_lo, s3
	v_lshrrev_b16 v8, 8, v135
	v_dual_mov_b32 v131, 0 :: v_dual_mov_b32 v132, 0
	s_mov_b32 s3, exec_lo
	v_cmpx_ne_u16_e32 0, v8
	s_cbranch_execz .LBB335_282
; %bb.275:                              ;   in Loop: Header=BB335_10 Depth=1
	v_bfrev_b32_e32 v132, 1
	s_mov_b32 s19, exec_lo
	v_cmpx_ne_u16_e32 0x80, v8
	s_cbranch_execz .LBB335_281
; %bb.276:                              ;   in Loop: Header=BB335_10 Depth=1
	v_and_b32_e32 v133, 0xffff, v8
	v_mov_b32_e32 v132, 0x7fc02000
	s_mov_b32 s20, exec_lo
	s_delay_alu instid0(VALU_DEP_2) | instskip(NEXT) | instid1(VALU_DEP_1)
	v_and_b32_e32 v134, 0x7f, v133
	v_cmpx_ne_u32_e32 0x7f, v134
	s_cbranch_execz .LBB335_280
; %bb.277:                              ;   in Loop: Header=BB335_10 Depth=1
	v_and_b32_e32 v8, 7, v133
	v_lshrrev_b32_e32 v132, 3, v134
	s_mov_b32 s21, exec_lo
	v_cmpx_gt_u32_e32 8, v134
; %bb.278:                              ;   in Loop: Header=BB335_10 Depth=1
	s_delay_alu instid0(VALU_DEP_3) | instskip(NEXT) | instid1(VALU_DEP_1)
	v_clz_i32_u32_e32 v132, v8
	v_min_u32_e32 v132, 32, v132
	s_delay_alu instid0(VALU_DEP_1) | instskip(SKIP_1) | instid1(VALU_DEP_2)
	v_subrev_nc_u32_e32 v134, 28, v132
	v_sub_nc_u32_e32 v132, 29, v132
	v_lshlrev_b64 v[144:145], v134, v[8:9]
	s_delay_alu instid0(VALU_DEP_1)
	v_and_b32_e32 v8, 7, v144
; %bb.279:                              ;   in Loop: Header=BB335_10 Depth=1
	s_or_b32 exec_lo, exec_lo, s21
	v_lshlrev_b32_e32 v133, 8, v133
	v_lshl_add_u32 v132, v132, 10, 0x2000
	s_delay_alu instid0(VALU_DEP_1) | instskip(NEXT) | instid1(VALU_DEP_1)
	v_and_or_b32 v132, 0x8000, v133, v132
	v_lshl_or_b32 v8, v8, 7, v132
	s_delay_alu instid0(VALU_DEP_1)
	v_cvt_f32_f16_e64 v132, v8
.LBB335_280:                            ;   in Loop: Header=BB335_10 Depth=1
	s_or_b32 exec_lo, exec_lo, s20
.LBB335_281:                            ;   in Loop: Header=BB335_10 Depth=1
	s_delay_alu instid0(SALU_CYCLE_1)
	s_or_b32 exec_lo, exec_lo, s19
.LBB335_282:                            ;   in Loop: Header=BB335_10 Depth=1
	s_delay_alu instid0(SALU_CYCLE_1) | instskip(SKIP_2) | instid1(VALU_DEP_1)
	s_or_b32 exec_lo, exec_lo, s3
	v_lshrrev_b32_e32 v133, 16, v135
	s_mov_b32 s3, exec_lo
	v_and_b32_e32 v8, 0xff, v133
	s_delay_alu instid0(VALU_DEP_1)
	v_cmpx_ne_u16_e32 0, v8
	s_cbranch_execz .LBB335_290
; %bb.283:                              ;   in Loop: Header=BB335_10 Depth=1
	v_bfrev_b32_e32 v131, 1
	s_mov_b32 s19, exec_lo
	v_cmpx_ne_u16_e32 0x80, v8
	s_cbranch_execz .LBB335_289
; %bb.284:                              ;   in Loop: Header=BB335_10 Depth=1
	v_bfe_u32 v134, v135, 16, 7
	v_mov_b32_e32 v131, 0x7fc02000
	s_mov_b32 s20, exec_lo
	s_delay_alu instid0(VALU_DEP_2)
	v_cmpx_ne_u32_e32 0x7f, v134
	s_cbranch_execz .LBB335_288
; %bb.285:                              ;   in Loop: Header=BB335_10 Depth=1
	v_and_b32_e32 v8, 7, v133
	v_lshrrev_b32_e32 v131, 3, v134
	s_mov_b32 s21, exec_lo
	v_cmpx_gt_u32_e32 8, v134
; %bb.286:                              ;   in Loop: Header=BB335_10 Depth=1
	s_delay_alu instid0(VALU_DEP_3) | instskip(NEXT) | instid1(VALU_DEP_1)
	v_clz_i32_u32_e32 v131, v8
	v_min_u32_e32 v131, 32, v131
	s_delay_alu instid0(VALU_DEP_1) | instskip(SKIP_1) | instid1(VALU_DEP_2)
	v_subrev_nc_u32_e32 v134, 28, v131
	v_sub_nc_u32_e32 v131, 29, v131
	v_lshlrev_b64 v[144:145], v134, v[8:9]
	s_delay_alu instid0(VALU_DEP_1)
	v_and_b32_e32 v8, 7, v144
; %bb.287:                              ;   in Loop: Header=BB335_10 Depth=1
	s_or_b32 exec_lo, exec_lo, s21
	v_lshlrev_b32_e32 v133, 8, v133
	v_lshl_add_u32 v131, v131, 10, 0x2000
	s_delay_alu instid0(VALU_DEP_1) | instskip(NEXT) | instid1(VALU_DEP_1)
	v_and_or_b32 v131, 0x8000, v133, v131
	v_lshl_or_b32 v8, v8, 7, v131
	s_delay_alu instid0(VALU_DEP_1)
	v_cvt_f32_f16_e64 v131, v8
.LBB335_288:                            ;   in Loop: Header=BB335_10 Depth=1
	s_or_b32 exec_lo, exec_lo, s20
.LBB335_289:                            ;   in Loop: Header=BB335_10 Depth=1
	s_delay_alu instid0(SALU_CYCLE_1)
	s_or_b32 exec_lo, exec_lo, s19
.LBB335_290:                            ;   in Loop: Header=BB335_10 Depth=1
	s_delay_alu instid0(SALU_CYCLE_1)
	s_or_b32 exec_lo, exec_lo, s3
	v_dual_mov_b32 v134, 0 :: v_dual_mov_b32 v133, 0
	s_mov_b32 s3, exec_lo
	v_cmpx_lt_u32_e32 0xffffff, v135
	s_cbranch_execz .LBB335_298
; %bb.291:                              ;   in Loop: Header=BB335_10 Depth=1
	v_lshrrev_b32_e32 v135, 24, v135
	v_bfrev_b32_e32 v133, 1
	s_mov_b32 s19, exec_lo
	s_delay_alu instid0(VALU_DEP_2)
	v_cmpx_ne_u32_e32 0x80, v135
	s_cbranch_execz .LBB335_297
; %bb.292:                              ;   in Loop: Header=BB335_10 Depth=1
	v_and_b32_e32 v144, 0x7f, v135
	v_mov_b32_e32 v133, 0x7fc02000
	s_mov_b32 s20, exec_lo
	s_delay_alu instid0(VALU_DEP_2)
	v_cmpx_ne_u32_e32 0x7f, v144
	s_cbranch_execz .LBB335_296
; %bb.293:                              ;   in Loop: Header=BB335_10 Depth=1
	v_and_b32_e32 v8, 7, v135
	v_lshrrev_b32_e32 v133, 3, v144
	s_mov_b32 s21, exec_lo
	v_cmpx_gt_u32_e32 8, v144
; %bb.294:                              ;   in Loop: Header=BB335_10 Depth=1
	s_delay_alu instid0(VALU_DEP_3) | instskip(NEXT) | instid1(VALU_DEP_1)
	v_clz_i32_u32_e32 v133, v8
	v_min_u32_e32 v133, 32, v133
	s_delay_alu instid0(VALU_DEP_1) | instskip(SKIP_1) | instid1(VALU_DEP_2)
	v_subrev_nc_u32_e32 v144, 28, v133
	v_sub_nc_u32_e32 v133, 29, v133
	v_lshlrev_b64 v[144:145], v144, v[8:9]
	s_delay_alu instid0(VALU_DEP_1)
	v_and_b32_e32 v8, 7, v144
; %bb.295:                              ;   in Loop: Header=BB335_10 Depth=1
	s_or_b32 exec_lo, exec_lo, s21
	v_lshlrev_b32_e32 v135, 8, v135
	v_lshl_add_u32 v133, v133, 10, 0x2000
	s_delay_alu instid0(VALU_DEP_1) | instskip(NEXT) | instid1(VALU_DEP_1)
	v_and_or_b32 v133, 0x8000, v135, v133
	v_lshl_or_b32 v8, v8, 7, v133
	s_delay_alu instid0(VALU_DEP_1)
	v_cvt_f32_f16_e64 v133, v8
.LBB335_296:                            ;   in Loop: Header=BB335_10 Depth=1
	s_or_b32 exec_lo, exec_lo, s20
.LBB335_297:                            ;   in Loop: Header=BB335_10 Depth=1
	s_delay_alu instid0(SALU_CYCLE_1)
	s_or_b32 exec_lo, exec_lo, s19
.LBB335_298:                            ;   in Loop: Header=BB335_10 Depth=1
	s_delay_alu instid0(SALU_CYCLE_1) | instskip(SKIP_4) | instid1(VALU_DEP_1)
	s_or_b32 exec_lo, exec_lo, s3
	flat_load_b32 v147, v[28:29] offset:1032
	s_mov_b32 s3, exec_lo
	s_waitcnt vmcnt(0) lgkmcnt(0)
	v_and_b32_e32 v8, 0xff, v147
	v_cmpx_ne_u16_e32 0, v8
	s_cbranch_execz .LBB335_306
; %bb.299:                              ;   in Loop: Header=BB335_10 Depth=1
	v_bfrev_b32_e32 v134, 1
	s_mov_b32 s19, exec_lo
	v_cmpx_ne_u16_e32 0x80, v8
	s_cbranch_execz .LBB335_305
; %bb.300:                              ;   in Loop: Header=BB335_10 Depth=1
	v_and_b32_e32 v135, 0x7f, v147
	v_mov_b32_e32 v134, 0x7fc02000
	s_mov_b32 s20, exec_lo
	s_delay_alu instid0(VALU_DEP_2)
	v_cmpx_ne_u32_e32 0x7f, v135
	s_cbranch_execz .LBB335_304
; %bb.301:                              ;   in Loop: Header=BB335_10 Depth=1
	v_and_b32_e32 v8, 7, v147
	v_lshrrev_b32_e32 v134, 3, v135
	s_mov_b32 s21, exec_lo
	v_cmpx_gt_u32_e32 8, v135
; %bb.302:                              ;   in Loop: Header=BB335_10 Depth=1
	s_delay_alu instid0(VALU_DEP_3) | instskip(NEXT) | instid1(VALU_DEP_1)
	v_clz_i32_u32_e32 v134, v8
	v_min_u32_e32 v134, 32, v134
	s_delay_alu instid0(VALU_DEP_1) | instskip(SKIP_1) | instid1(VALU_DEP_2)
	v_subrev_nc_u32_e32 v135, 28, v134
	v_sub_nc_u32_e32 v134, 29, v134
	v_lshlrev_b64 v[144:145], v135, v[8:9]
	s_delay_alu instid0(VALU_DEP_1)
	v_and_b32_e32 v8, 7, v144
; %bb.303:                              ;   in Loop: Header=BB335_10 Depth=1
	s_or_b32 exec_lo, exec_lo, s21
	v_lshlrev_b32_e32 v135, 8, v147
	v_lshl_add_u32 v134, v134, 10, 0x2000
	s_delay_alu instid0(VALU_DEP_1) | instskip(NEXT) | instid1(VALU_DEP_1)
	v_and_or_b32 v134, 0x8000, v135, v134
	v_lshl_or_b32 v8, v8, 7, v134
	s_delay_alu instid0(VALU_DEP_1)
	v_cvt_f32_f16_e64 v134, v8
.LBB335_304:                            ;   in Loop: Header=BB335_10 Depth=1
	s_or_b32 exec_lo, exec_lo, s20
.LBB335_305:                            ;   in Loop: Header=BB335_10 Depth=1
	s_delay_alu instid0(SALU_CYCLE_1)
	s_or_b32 exec_lo, exec_lo, s19
.LBB335_306:                            ;   in Loop: Header=BB335_10 Depth=1
	s_delay_alu instid0(SALU_CYCLE_1) | instskip(SKIP_3) | instid1(VALU_DEP_2)
	s_or_b32 exec_lo, exec_lo, s3
	v_lshrrev_b16 v8, 8, v147
	v_dual_mov_b32 v135, 0 :: v_dual_mov_b32 v144, 0
	s_mov_b32 s3, exec_lo
	v_cmpx_ne_u16_e32 0, v8
	s_cbranch_execz .LBB335_314
; %bb.307:                              ;   in Loop: Header=BB335_10 Depth=1
	v_bfrev_b32_e32 v144, 1
	s_mov_b32 s19, exec_lo
	v_cmpx_ne_u16_e32 0x80, v8
	s_cbranch_execz .LBB335_313
; %bb.308:                              ;   in Loop: Header=BB335_10 Depth=1
	v_and_b32_e32 v145, 0xffff, v8
	v_mov_b32_e32 v144, 0x7fc02000
	s_mov_b32 s20, exec_lo
	s_delay_alu instid0(VALU_DEP_2) | instskip(NEXT) | instid1(VALU_DEP_1)
	v_and_b32_e32 v146, 0x7f, v145
	v_cmpx_ne_u32_e32 0x7f, v146
	s_cbranch_execz .LBB335_312
; %bb.309:                              ;   in Loop: Header=BB335_10 Depth=1
	v_and_b32_e32 v8, 7, v145
	v_lshrrev_b32_e32 v144, 3, v146
	s_mov_b32 s21, exec_lo
	v_cmpx_gt_u32_e32 8, v146
; %bb.310:                              ;   in Loop: Header=BB335_10 Depth=1
	s_delay_alu instid0(VALU_DEP_3) | instskip(NEXT) | instid1(VALU_DEP_1)
	v_clz_i32_u32_e32 v144, v8
	v_min_u32_e32 v144, 32, v144
	s_delay_alu instid0(VALU_DEP_1) | instskip(SKIP_1) | instid1(VALU_DEP_2)
	v_subrev_nc_u32_e32 v146, 28, v144
	v_sub_nc_u32_e32 v144, 29, v144
	v_lshlrev_b64 v[148:149], v146, v[8:9]
	s_delay_alu instid0(VALU_DEP_1)
	v_and_b32_e32 v8, 7, v148
; %bb.311:                              ;   in Loop: Header=BB335_10 Depth=1
	s_or_b32 exec_lo, exec_lo, s21
	v_lshlrev_b32_e32 v145, 8, v145
	v_lshl_add_u32 v144, v144, 10, 0x2000
	s_delay_alu instid0(VALU_DEP_1) | instskip(NEXT) | instid1(VALU_DEP_1)
	v_and_or_b32 v144, 0x8000, v145, v144
	v_lshl_or_b32 v8, v8, 7, v144
	s_delay_alu instid0(VALU_DEP_1)
	v_cvt_f32_f16_e64 v144, v8
.LBB335_312:                            ;   in Loop: Header=BB335_10 Depth=1
	s_or_b32 exec_lo, exec_lo, s20
.LBB335_313:                            ;   in Loop: Header=BB335_10 Depth=1
	s_delay_alu instid0(SALU_CYCLE_1)
	s_or_b32 exec_lo, exec_lo, s19
.LBB335_314:                            ;   in Loop: Header=BB335_10 Depth=1
	s_delay_alu instid0(SALU_CYCLE_1) | instskip(SKIP_2) | instid1(VALU_DEP_1)
	s_or_b32 exec_lo, exec_lo, s3
	v_lshrrev_b32_e32 v145, 16, v147
	s_mov_b32 s3, exec_lo
	v_and_b32_e32 v8, 0xff, v145
	s_delay_alu instid0(VALU_DEP_1)
	v_cmpx_ne_u16_e32 0, v8
	s_cbranch_execz .LBB335_322
; %bb.315:                              ;   in Loop: Header=BB335_10 Depth=1
	v_bfrev_b32_e32 v135, 1
	s_mov_b32 s19, exec_lo
	v_cmpx_ne_u16_e32 0x80, v8
	s_cbranch_execz .LBB335_321
; %bb.316:                              ;   in Loop: Header=BB335_10 Depth=1
	v_bfe_u32 v146, v147, 16, 7
	v_mov_b32_e32 v135, 0x7fc02000
	s_mov_b32 s20, exec_lo
	s_delay_alu instid0(VALU_DEP_2)
	v_cmpx_ne_u32_e32 0x7f, v146
	s_cbranch_execz .LBB335_320
; %bb.317:                              ;   in Loop: Header=BB335_10 Depth=1
	v_and_b32_e32 v8, 7, v145
	v_lshrrev_b32_e32 v135, 3, v146
	s_mov_b32 s21, exec_lo
	v_cmpx_gt_u32_e32 8, v146
; %bb.318:                              ;   in Loop: Header=BB335_10 Depth=1
	s_delay_alu instid0(VALU_DEP_3) | instskip(NEXT) | instid1(VALU_DEP_1)
	v_clz_i32_u32_e32 v135, v8
	v_min_u32_e32 v135, 32, v135
	s_delay_alu instid0(VALU_DEP_1) | instskip(SKIP_1) | instid1(VALU_DEP_2)
	v_subrev_nc_u32_e32 v146, 28, v135
	v_sub_nc_u32_e32 v135, 29, v135
	v_lshlrev_b64 v[148:149], v146, v[8:9]
	s_delay_alu instid0(VALU_DEP_1)
	v_and_b32_e32 v8, 7, v148
; %bb.319:                              ;   in Loop: Header=BB335_10 Depth=1
	s_or_b32 exec_lo, exec_lo, s21
	v_lshlrev_b32_e32 v145, 8, v145
	v_lshl_add_u32 v135, v135, 10, 0x2000
	s_delay_alu instid0(VALU_DEP_1) | instskip(NEXT) | instid1(VALU_DEP_1)
	v_and_or_b32 v135, 0x8000, v145, v135
	v_lshl_or_b32 v8, v8, 7, v135
	s_delay_alu instid0(VALU_DEP_1)
	v_cvt_f32_f16_e64 v135, v8
.LBB335_320:                            ;   in Loop: Header=BB335_10 Depth=1
	s_or_b32 exec_lo, exec_lo, s20
.LBB335_321:                            ;   in Loop: Header=BB335_10 Depth=1
	s_delay_alu instid0(SALU_CYCLE_1)
	s_or_b32 exec_lo, exec_lo, s19
.LBB335_322:                            ;   in Loop: Header=BB335_10 Depth=1
	s_delay_alu instid0(SALU_CYCLE_1)
	s_or_b32 exec_lo, exec_lo, s3
	v_dual_mov_b32 v146, 0 :: v_dual_mov_b32 v145, 0
	s_mov_b32 s3, exec_lo
	v_cmpx_lt_u32_e32 0xffffff, v147
	s_cbranch_execz .LBB335_330
; %bb.323:                              ;   in Loop: Header=BB335_10 Depth=1
	v_lshrrev_b32_e32 v147, 24, v147
	v_bfrev_b32_e32 v145, 1
	s_mov_b32 s19, exec_lo
	s_delay_alu instid0(VALU_DEP_2)
	v_cmpx_ne_u32_e32 0x80, v147
	s_cbranch_execz .LBB335_329
; %bb.324:                              ;   in Loop: Header=BB335_10 Depth=1
	v_and_b32_e32 v148, 0x7f, v147
	v_mov_b32_e32 v145, 0x7fc02000
	s_mov_b32 s20, exec_lo
	s_delay_alu instid0(VALU_DEP_2)
	v_cmpx_ne_u32_e32 0x7f, v148
	s_cbranch_execz .LBB335_328
; %bb.325:                              ;   in Loop: Header=BB335_10 Depth=1
	v_and_b32_e32 v8, 7, v147
	v_lshrrev_b32_e32 v145, 3, v148
	s_mov_b32 s21, exec_lo
	v_cmpx_gt_u32_e32 8, v148
; %bb.326:                              ;   in Loop: Header=BB335_10 Depth=1
	s_delay_alu instid0(VALU_DEP_3) | instskip(NEXT) | instid1(VALU_DEP_1)
	v_clz_i32_u32_e32 v145, v8
	v_min_u32_e32 v145, 32, v145
	s_delay_alu instid0(VALU_DEP_1) | instskip(SKIP_1) | instid1(VALU_DEP_2)
	v_subrev_nc_u32_e32 v148, 28, v145
	v_sub_nc_u32_e32 v145, 29, v145
	v_lshlrev_b64 v[148:149], v148, v[8:9]
	s_delay_alu instid0(VALU_DEP_1)
	v_and_b32_e32 v8, 7, v148
; %bb.327:                              ;   in Loop: Header=BB335_10 Depth=1
	s_or_b32 exec_lo, exec_lo, s21
	v_lshlrev_b32_e32 v147, 8, v147
	v_lshl_add_u32 v145, v145, 10, 0x2000
	s_delay_alu instid0(VALU_DEP_1) | instskip(NEXT) | instid1(VALU_DEP_1)
	v_and_or_b32 v145, 0x8000, v147, v145
	v_lshl_or_b32 v8, v8, 7, v145
	s_delay_alu instid0(VALU_DEP_1)
	v_cvt_f32_f16_e64 v145, v8
.LBB335_328:                            ;   in Loop: Header=BB335_10 Depth=1
	s_or_b32 exec_lo, exec_lo, s20
.LBB335_329:                            ;   in Loop: Header=BB335_10 Depth=1
	s_delay_alu instid0(SALU_CYCLE_1)
	s_or_b32 exec_lo, exec_lo, s19
.LBB335_330:                            ;   in Loop: Header=BB335_10 Depth=1
	s_delay_alu instid0(SALU_CYCLE_1) | instskip(SKIP_4) | instid1(VALU_DEP_1)
	s_or_b32 exec_lo, exec_lo, s3
	flat_load_b32 v151, v[28:29] offset:1280
	s_mov_b32 s3, exec_lo
	s_waitcnt vmcnt(0) lgkmcnt(0)
	v_and_b32_e32 v8, 0xff, v151
	v_cmpx_ne_u16_e32 0, v8
	s_cbranch_execz .LBB335_338
; %bb.331:                              ;   in Loop: Header=BB335_10 Depth=1
	v_bfrev_b32_e32 v146, 1
	s_mov_b32 s19, exec_lo
	v_cmpx_ne_u16_e32 0x80, v8
	s_cbranch_execz .LBB335_337
; %bb.332:                              ;   in Loop: Header=BB335_10 Depth=1
	v_and_b32_e32 v147, 0x7f, v151
	v_mov_b32_e32 v146, 0x7fc02000
	s_mov_b32 s20, exec_lo
	s_delay_alu instid0(VALU_DEP_2)
	v_cmpx_ne_u32_e32 0x7f, v147
	s_cbranch_execz .LBB335_336
; %bb.333:                              ;   in Loop: Header=BB335_10 Depth=1
	v_and_b32_e32 v8, 7, v151
	v_lshrrev_b32_e32 v146, 3, v147
	s_mov_b32 s21, exec_lo
	v_cmpx_gt_u32_e32 8, v147
; %bb.334:                              ;   in Loop: Header=BB335_10 Depth=1
	s_delay_alu instid0(VALU_DEP_3) | instskip(NEXT) | instid1(VALU_DEP_1)
	v_clz_i32_u32_e32 v146, v8
	v_min_u32_e32 v146, 32, v146
	s_delay_alu instid0(VALU_DEP_1) | instskip(SKIP_1) | instid1(VALU_DEP_2)
	v_subrev_nc_u32_e32 v147, 28, v146
	v_sub_nc_u32_e32 v146, 29, v146
	v_lshlrev_b64 v[147:148], v147, v[8:9]
	s_delay_alu instid0(VALU_DEP_1)
	v_and_b32_e32 v8, 7, v147
; %bb.335:                              ;   in Loop: Header=BB335_10 Depth=1
	s_or_b32 exec_lo, exec_lo, s21
	v_lshlrev_b32_e32 v147, 8, v151
	v_lshl_add_u32 v146, v146, 10, 0x2000
	s_delay_alu instid0(VALU_DEP_1) | instskip(NEXT) | instid1(VALU_DEP_1)
	v_and_or_b32 v146, 0x8000, v147, v146
	v_lshl_or_b32 v8, v8, 7, v146
	s_delay_alu instid0(VALU_DEP_1)
	v_cvt_f32_f16_e64 v146, v8
.LBB335_336:                            ;   in Loop: Header=BB335_10 Depth=1
	s_or_b32 exec_lo, exec_lo, s20
.LBB335_337:                            ;   in Loop: Header=BB335_10 Depth=1
	s_delay_alu instid0(SALU_CYCLE_1)
	s_or_b32 exec_lo, exec_lo, s19
.LBB335_338:                            ;   in Loop: Header=BB335_10 Depth=1
	s_delay_alu instid0(SALU_CYCLE_1) | instskip(SKIP_3) | instid1(VALU_DEP_2)
	s_or_b32 exec_lo, exec_lo, s3
	v_lshrrev_b16 v8, 8, v151
	v_dual_mov_b32 v147, 0 :: v_dual_mov_b32 v148, 0
	s_mov_b32 s3, exec_lo
	v_cmpx_ne_u16_e32 0, v8
	s_cbranch_execz .LBB335_346
; %bb.339:                              ;   in Loop: Header=BB335_10 Depth=1
	v_bfrev_b32_e32 v148, 1
	s_mov_b32 s19, exec_lo
	v_cmpx_ne_u16_e32 0x80, v8
	s_cbranch_execz .LBB335_345
; %bb.340:                              ;   in Loop: Header=BB335_10 Depth=1
	v_and_b32_e32 v149, 0xffff, v8
	v_mov_b32_e32 v148, 0x7fc02000
	s_mov_b32 s20, exec_lo
	s_delay_alu instid0(VALU_DEP_2) | instskip(NEXT) | instid1(VALU_DEP_1)
	v_and_b32_e32 v150, 0x7f, v149
	v_cmpx_ne_u32_e32 0x7f, v150
	s_cbranch_execz .LBB335_344
; %bb.341:                              ;   in Loop: Header=BB335_10 Depth=1
	v_and_b32_e32 v8, 7, v149
	v_lshrrev_b32_e32 v148, 3, v150
	s_mov_b32 s21, exec_lo
	v_cmpx_gt_u32_e32 8, v150
; %bb.342:                              ;   in Loop: Header=BB335_10 Depth=1
	s_delay_alu instid0(VALU_DEP_3) | instskip(NEXT) | instid1(VALU_DEP_1)
	v_clz_i32_u32_e32 v148, v8
	v_min_u32_e32 v148, 32, v148
	s_delay_alu instid0(VALU_DEP_1) | instskip(SKIP_1) | instid1(VALU_DEP_2)
	v_subrev_nc_u32_e32 v150, 28, v148
	v_sub_nc_u32_e32 v148, 29, v148
	v_lshlrev_b64 v[160:161], v150, v[8:9]
	s_delay_alu instid0(VALU_DEP_1)
	v_and_b32_e32 v8, 7, v160
; %bb.343:                              ;   in Loop: Header=BB335_10 Depth=1
	s_or_b32 exec_lo, exec_lo, s21
	v_lshlrev_b32_e32 v149, 8, v149
	v_lshl_add_u32 v148, v148, 10, 0x2000
	s_delay_alu instid0(VALU_DEP_1) | instskip(NEXT) | instid1(VALU_DEP_1)
	v_and_or_b32 v148, 0x8000, v149, v148
	v_lshl_or_b32 v8, v8, 7, v148
	s_delay_alu instid0(VALU_DEP_1)
	v_cvt_f32_f16_e64 v148, v8
.LBB335_344:                            ;   in Loop: Header=BB335_10 Depth=1
	s_or_b32 exec_lo, exec_lo, s20
.LBB335_345:                            ;   in Loop: Header=BB335_10 Depth=1
	s_delay_alu instid0(SALU_CYCLE_1)
	s_or_b32 exec_lo, exec_lo, s19
.LBB335_346:                            ;   in Loop: Header=BB335_10 Depth=1
	s_delay_alu instid0(SALU_CYCLE_1) | instskip(SKIP_2) | instid1(VALU_DEP_1)
	s_or_b32 exec_lo, exec_lo, s3
	v_lshrrev_b32_e32 v149, 16, v151
	s_mov_b32 s3, exec_lo
	v_and_b32_e32 v8, 0xff, v149
	s_delay_alu instid0(VALU_DEP_1)
	v_cmpx_ne_u16_e32 0, v8
	s_cbranch_execz .LBB335_354
; %bb.347:                              ;   in Loop: Header=BB335_10 Depth=1
	v_bfrev_b32_e32 v147, 1
	s_mov_b32 s19, exec_lo
	v_cmpx_ne_u16_e32 0x80, v8
	s_cbranch_execz .LBB335_353
; %bb.348:                              ;   in Loop: Header=BB335_10 Depth=1
	v_bfe_u32 v150, v151, 16, 7
	v_mov_b32_e32 v147, 0x7fc02000
	s_mov_b32 s20, exec_lo
	s_delay_alu instid0(VALU_DEP_2)
	v_cmpx_ne_u32_e32 0x7f, v150
	s_cbranch_execz .LBB335_352
; %bb.349:                              ;   in Loop: Header=BB335_10 Depth=1
	v_and_b32_e32 v8, 7, v149
	v_lshrrev_b32_e32 v147, 3, v150
	s_mov_b32 s21, exec_lo
	v_cmpx_gt_u32_e32 8, v150
; %bb.350:                              ;   in Loop: Header=BB335_10 Depth=1
	s_delay_alu instid0(VALU_DEP_3) | instskip(NEXT) | instid1(VALU_DEP_1)
	v_clz_i32_u32_e32 v147, v8
	v_min_u32_e32 v147, 32, v147
	s_delay_alu instid0(VALU_DEP_1) | instskip(SKIP_1) | instid1(VALU_DEP_2)
	v_subrev_nc_u32_e32 v150, 28, v147
	v_sub_nc_u32_e32 v147, 29, v147
	v_lshlrev_b64 v[160:161], v150, v[8:9]
	s_delay_alu instid0(VALU_DEP_1)
	v_and_b32_e32 v8, 7, v160
; %bb.351:                              ;   in Loop: Header=BB335_10 Depth=1
	s_or_b32 exec_lo, exec_lo, s21
	v_lshlrev_b32_e32 v149, 8, v149
	v_lshl_add_u32 v147, v147, 10, 0x2000
	s_delay_alu instid0(VALU_DEP_1) | instskip(NEXT) | instid1(VALU_DEP_1)
	v_and_or_b32 v147, 0x8000, v149, v147
	v_lshl_or_b32 v8, v8, 7, v147
	s_delay_alu instid0(VALU_DEP_1)
	v_cvt_f32_f16_e64 v147, v8
.LBB335_352:                            ;   in Loop: Header=BB335_10 Depth=1
	s_or_b32 exec_lo, exec_lo, s20
.LBB335_353:                            ;   in Loop: Header=BB335_10 Depth=1
	s_delay_alu instid0(SALU_CYCLE_1)
	s_or_b32 exec_lo, exec_lo, s19
.LBB335_354:                            ;   in Loop: Header=BB335_10 Depth=1
	s_delay_alu instid0(SALU_CYCLE_1)
	s_or_b32 exec_lo, exec_lo, s3
	v_dual_mov_b32 v150, 0 :: v_dual_mov_b32 v149, 0
	s_mov_b32 s3, exec_lo
	v_cmpx_lt_u32_e32 0xffffff, v151
	s_cbranch_execz .LBB335_362
; %bb.355:                              ;   in Loop: Header=BB335_10 Depth=1
	v_lshrrev_b32_e32 v151, 24, v151
	v_bfrev_b32_e32 v149, 1
	s_mov_b32 s19, exec_lo
	s_delay_alu instid0(VALU_DEP_2)
	v_cmpx_ne_u32_e32 0x80, v151
	s_cbranch_execz .LBB335_361
; %bb.356:                              ;   in Loop: Header=BB335_10 Depth=1
	v_and_b32_e32 v160, 0x7f, v151
	v_mov_b32_e32 v149, 0x7fc02000
	s_mov_b32 s20, exec_lo
	s_delay_alu instid0(VALU_DEP_2)
	v_cmpx_ne_u32_e32 0x7f, v160
	s_cbranch_execz .LBB335_360
; %bb.357:                              ;   in Loop: Header=BB335_10 Depth=1
	v_and_b32_e32 v8, 7, v151
	v_lshrrev_b32_e32 v149, 3, v160
	s_mov_b32 s21, exec_lo
	v_cmpx_gt_u32_e32 8, v160
; %bb.358:                              ;   in Loop: Header=BB335_10 Depth=1
	s_delay_alu instid0(VALU_DEP_3) | instskip(NEXT) | instid1(VALU_DEP_1)
	v_clz_i32_u32_e32 v149, v8
	v_min_u32_e32 v149, 32, v149
	s_delay_alu instid0(VALU_DEP_1) | instskip(SKIP_1) | instid1(VALU_DEP_2)
	v_subrev_nc_u32_e32 v160, 28, v149
	v_sub_nc_u32_e32 v149, 29, v149
	v_lshlrev_b64 v[160:161], v160, v[8:9]
	s_delay_alu instid0(VALU_DEP_1)
	v_and_b32_e32 v8, 7, v160
; %bb.359:                              ;   in Loop: Header=BB335_10 Depth=1
	s_or_b32 exec_lo, exec_lo, s21
	v_lshlrev_b32_e32 v151, 8, v151
	v_lshl_add_u32 v149, v149, 10, 0x2000
	s_delay_alu instid0(VALU_DEP_1) | instskip(NEXT) | instid1(VALU_DEP_1)
	v_and_or_b32 v149, 0x8000, v151, v149
	v_lshl_or_b32 v8, v8, 7, v149
	s_delay_alu instid0(VALU_DEP_1)
	v_cvt_f32_f16_e64 v149, v8
.LBB335_360:                            ;   in Loop: Header=BB335_10 Depth=1
	s_or_b32 exec_lo, exec_lo, s20
.LBB335_361:                            ;   in Loop: Header=BB335_10 Depth=1
	s_delay_alu instid0(SALU_CYCLE_1)
	s_or_b32 exec_lo, exec_lo, s19
.LBB335_362:                            ;   in Loop: Header=BB335_10 Depth=1
	s_delay_alu instid0(SALU_CYCLE_1) | instskip(SKIP_4) | instid1(VALU_DEP_1)
	s_or_b32 exec_lo, exec_lo, s3
	flat_load_b32 v151, v[28:29] offset:1288
	s_mov_b32 s3, exec_lo
	s_waitcnt vmcnt(0) lgkmcnt(0)
	v_and_b32_e32 v8, 0xff, v151
	v_cmpx_ne_u16_e32 0, v8
	s_cbranch_execz .LBB335_370
; %bb.363:                              ;   in Loop: Header=BB335_10 Depth=1
	v_bfrev_b32_e32 v150, 1
	s_mov_b32 s19, exec_lo
	v_cmpx_ne_u16_e32 0x80, v8
	s_cbranch_execz .LBB335_369
; %bb.364:                              ;   in Loop: Header=BB335_10 Depth=1
	v_and_b32_e32 v160, 0x7f, v151
	v_mov_b32_e32 v150, 0x7fc02000
	s_mov_b32 s20, exec_lo
	s_delay_alu instid0(VALU_DEP_2)
	v_cmpx_ne_u32_e32 0x7f, v160
	s_cbranch_execz .LBB335_368
; %bb.365:                              ;   in Loop: Header=BB335_10 Depth=1
	v_and_b32_e32 v8, 7, v151
	v_lshrrev_b32_e32 v150, 3, v160
	s_mov_b32 s21, exec_lo
	v_cmpx_gt_u32_e32 8, v160
; %bb.366:                              ;   in Loop: Header=BB335_10 Depth=1
	s_delay_alu instid0(VALU_DEP_3) | instskip(NEXT) | instid1(VALU_DEP_1)
	v_clz_i32_u32_e32 v150, v8
	v_min_u32_e32 v150, 32, v150
	s_delay_alu instid0(VALU_DEP_1) | instskip(SKIP_1) | instid1(VALU_DEP_2)
	v_subrev_nc_u32_e32 v160, 28, v150
	v_sub_nc_u32_e32 v150, 29, v150
	v_lshlrev_b64 v[160:161], v160, v[8:9]
	s_delay_alu instid0(VALU_DEP_1)
	v_and_b32_e32 v8, 7, v160
; %bb.367:                              ;   in Loop: Header=BB335_10 Depth=1
	s_or_b32 exec_lo, exec_lo, s21
	v_lshlrev_b32_e32 v160, 8, v151
	v_lshl_add_u32 v150, v150, 10, 0x2000
	s_delay_alu instid0(VALU_DEP_1) | instskip(NEXT) | instid1(VALU_DEP_1)
	v_and_or_b32 v150, 0x8000, v160, v150
	v_lshl_or_b32 v8, v8, 7, v150
	s_delay_alu instid0(VALU_DEP_1)
	v_cvt_f32_f16_e64 v150, v8
.LBB335_368:                            ;   in Loop: Header=BB335_10 Depth=1
	s_or_b32 exec_lo, exec_lo, s20
.LBB335_369:                            ;   in Loop: Header=BB335_10 Depth=1
	s_delay_alu instid0(SALU_CYCLE_1)
	s_or_b32 exec_lo, exec_lo, s19
.LBB335_370:                            ;   in Loop: Header=BB335_10 Depth=1
	s_delay_alu instid0(SALU_CYCLE_1) | instskip(SKIP_4) | instid1(VALU_DEP_3)
	s_or_b32 exec_lo, exec_lo, s3
	v_lshrrev_b16 v8, 8, v151
	v_mov_b32_e32 v161, 0
	v_mov_b32_e32 v163, 0
	s_mov_b32 s3, exec_lo
	v_cmpx_ne_u16_e32 0, v8
	s_cbranch_execz .LBB335_378
; %bb.371:                              ;   in Loop: Header=BB335_10 Depth=1
	v_bfrev_b32_e32 v163, 1
	s_mov_b32 s19, exec_lo
	v_cmpx_ne_u16_e32 0x80, v8
	s_cbranch_execz .LBB335_377
; %bb.372:                              ;   in Loop: Header=BB335_10 Depth=1
	v_and_b32_e32 v160, 0xffff, v8
	v_mov_b32_e32 v163, 0x7fc02000
	s_mov_b32 s20, exec_lo
	s_delay_alu instid0(VALU_DEP_2) | instskip(NEXT) | instid1(VALU_DEP_1)
	v_and_b32_e32 v164, 0x7f, v160
	v_cmpx_ne_u32_e32 0x7f, v164
	s_cbranch_execz .LBB335_376
; %bb.373:                              ;   in Loop: Header=BB335_10 Depth=1
	v_and_b32_e32 v8, 7, v160
	v_lshrrev_b32_e32 v162, 3, v164
	s_mov_b32 s21, exec_lo
	v_cmpx_gt_u32_e32 8, v164
; %bb.374:                              ;   in Loop: Header=BB335_10 Depth=1
	s_delay_alu instid0(VALU_DEP_3) | instskip(NEXT) | instid1(VALU_DEP_1)
	v_clz_i32_u32_e32 v162, v8
	v_min_u32_e32 v162, 32, v162
	s_delay_alu instid0(VALU_DEP_1) | instskip(SKIP_1) | instid1(VALU_DEP_2)
	v_subrev_nc_u32_e32 v163, 28, v162
	v_sub_nc_u32_e32 v162, 29, v162
	v_lshlrev_b64 v[163:164], v163, v[8:9]
	s_delay_alu instid0(VALU_DEP_1)
	v_and_b32_e32 v8, 7, v163
; %bb.375:                              ;   in Loop: Header=BB335_10 Depth=1
	s_or_b32 exec_lo, exec_lo, s21
	v_lshlrev_b32_e32 v160, 8, v160
	v_lshl_add_u32 v162, v162, 10, 0x2000
	s_delay_alu instid0(VALU_DEP_1) | instskip(NEXT) | instid1(VALU_DEP_1)
	v_and_or_b32 v160, 0x8000, v160, v162
	v_lshl_or_b32 v8, v8, 7, v160
	s_delay_alu instid0(VALU_DEP_1)
	v_cvt_f32_f16_e64 v163, v8
.LBB335_376:                            ;   in Loop: Header=BB335_10 Depth=1
	s_or_b32 exec_lo, exec_lo, s20
.LBB335_377:                            ;   in Loop: Header=BB335_10 Depth=1
	s_delay_alu instid0(SALU_CYCLE_1)
	s_or_b32 exec_lo, exec_lo, s19
.LBB335_378:                            ;   in Loop: Header=BB335_10 Depth=1
	s_delay_alu instid0(SALU_CYCLE_1) | instskip(SKIP_2) | instid1(VALU_DEP_1)
	s_or_b32 exec_lo, exec_lo, s3
	v_lshrrev_b32_e32 v160, 16, v151
	s_mov_b32 s3, exec_lo
	v_and_b32_e32 v8, 0xff, v160
	s_delay_alu instid0(VALU_DEP_1)
	v_cmpx_ne_u16_e32 0, v8
	s_cbranch_execz .LBB335_386
; %bb.379:                              ;   in Loop: Header=BB335_10 Depth=1
	v_bfrev_b32_e32 v161, 1
	s_mov_b32 s19, exec_lo
	v_cmpx_ne_u16_e32 0x80, v8
	s_cbranch_execz .LBB335_385
; %bb.380:                              ;   in Loop: Header=BB335_10 Depth=1
	v_bfe_u32 v162, v151, 16, 7
	v_mov_b32_e32 v161, 0x7fc02000
	s_mov_b32 s20, exec_lo
	s_delay_alu instid0(VALU_DEP_2)
	v_cmpx_ne_u32_e32 0x7f, v162
	s_cbranch_execz .LBB335_384
; %bb.381:                              ;   in Loop: Header=BB335_10 Depth=1
	v_and_b32_e32 v8, 7, v160
	v_lshrrev_b32_e32 v161, 3, v162
	s_mov_b32 s21, exec_lo
	v_cmpx_gt_u32_e32 8, v162
; %bb.382:                              ;   in Loop: Header=BB335_10 Depth=1
	s_delay_alu instid0(VALU_DEP_3) | instskip(NEXT) | instid1(VALU_DEP_1)
	v_clz_i32_u32_e32 v161, v8
	v_min_u32_e32 v161, 32, v161
	s_delay_alu instid0(VALU_DEP_1) | instskip(SKIP_1) | instid1(VALU_DEP_2)
	v_subrev_nc_u32_e32 v162, 28, v161
	v_sub_nc_u32_e32 v161, 29, v161
	v_lshlrev_b64 v[164:165], v162, v[8:9]
	s_delay_alu instid0(VALU_DEP_1)
	v_and_b32_e32 v8, 7, v164
; %bb.383:                              ;   in Loop: Header=BB335_10 Depth=1
	s_or_b32 exec_lo, exec_lo, s21
	v_lshlrev_b32_e32 v160, 8, v160
	v_lshl_add_u32 v161, v161, 10, 0x2000
	s_delay_alu instid0(VALU_DEP_1) | instskip(NEXT) | instid1(VALU_DEP_1)
	v_and_or_b32 v160, 0x8000, v160, v161
	v_lshl_or_b32 v8, v8, 7, v160
	s_delay_alu instid0(VALU_DEP_1)
	v_cvt_f32_f16_e64 v161, v8
.LBB335_384:                            ;   in Loop: Header=BB335_10 Depth=1
	s_or_b32 exec_lo, exec_lo, s20
.LBB335_385:                            ;   in Loop: Header=BB335_10 Depth=1
	s_delay_alu instid0(SALU_CYCLE_1)
	s_or_b32 exec_lo, exec_lo, s19
.LBB335_386:                            ;   in Loop: Header=BB335_10 Depth=1
	s_delay_alu instid0(SALU_CYCLE_1)
	s_or_b32 exec_lo, exec_lo, s3
	v_dual_mov_b32 v178, 0 :: v_dual_mov_b32 v177, 0
	s_mov_b32 s3, exec_lo
	v_cmpx_lt_u32_e32 0xffffff, v151
	s_cbranch_execz .LBB335_394
; %bb.387:                              ;   in Loop: Header=BB335_10 Depth=1
	v_lshrrev_b32_e32 v151, 24, v151
	v_bfrev_b32_e32 v177, 1
	s_mov_b32 s19, exec_lo
	s_delay_alu instid0(VALU_DEP_2)
	v_cmpx_ne_u32_e32 0x80, v151
	s_cbranch_execz .LBB335_393
; %bb.388:                              ;   in Loop: Header=BB335_10 Depth=1
	v_and_b32_e32 v162, 0x7f, v151
	v_mov_b32_e32 v177, 0x7fc02000
	s_mov_b32 s20, exec_lo
	s_delay_alu instid0(VALU_DEP_2)
	v_cmpx_ne_u32_e32 0x7f, v162
	s_cbranch_execz .LBB335_392
; %bb.389:                              ;   in Loop: Header=BB335_10 Depth=1
	v_and_b32_e32 v8, 7, v151
	v_lshrrev_b32_e32 v160, 3, v162
	s_mov_b32 s21, exec_lo
	v_cmpx_gt_u32_e32 8, v162
; %bb.390:                              ;   in Loop: Header=BB335_10 Depth=1
	s_delay_alu instid0(VALU_DEP_3) | instskip(NEXT) | instid1(VALU_DEP_1)
	v_clz_i32_u32_e32 v160, v8
	v_min_u32_e32 v160, 32, v160
	s_delay_alu instid0(VALU_DEP_1) | instskip(SKIP_1) | instid1(VALU_DEP_2)
	v_subrev_nc_u32_e32 v162, 28, v160
	v_sub_nc_u32_e32 v160, 29, v160
	v_lshlrev_b64 v[164:165], v162, v[8:9]
	s_delay_alu instid0(VALU_DEP_1)
	v_and_b32_e32 v8, 7, v164
; %bb.391:                              ;   in Loop: Header=BB335_10 Depth=1
	s_or_b32 exec_lo, exec_lo, s21
	v_lshlrev_b32_e32 v151, 8, v151
	v_lshl_add_u32 v160, v160, 10, 0x2000
	s_delay_alu instid0(VALU_DEP_1) | instskip(NEXT) | instid1(VALU_DEP_1)
	v_and_or_b32 v151, 0x8000, v151, v160
	v_lshl_or_b32 v8, v8, 7, v151
	s_delay_alu instid0(VALU_DEP_1)
	v_cvt_f32_f16_e64 v177, v8
.LBB335_392:                            ;   in Loop: Header=BB335_10 Depth=1
	s_or_b32 exec_lo, exec_lo, s20
.LBB335_393:                            ;   in Loop: Header=BB335_10 Depth=1
	s_delay_alu instid0(SALU_CYCLE_1)
	s_or_b32 exec_lo, exec_lo, s19
.LBB335_394:                            ;   in Loop: Header=BB335_10 Depth=1
	s_delay_alu instid0(SALU_CYCLE_1) | instskip(SKIP_4) | instid1(VALU_DEP_1)
	s_or_b32 exec_lo, exec_lo, s3
	flat_load_b32 v151, v[28:29] offset:1536
	s_mov_b32 s3, exec_lo
	s_waitcnt vmcnt(0) lgkmcnt(0)
	v_and_b32_e32 v8, 0xff, v151
	v_cmpx_ne_u16_e32 0, v8
	s_cbranch_execz .LBB335_402
; %bb.395:                              ;   in Loop: Header=BB335_10 Depth=1
	v_bfrev_b32_e32 v178, 1
	s_mov_b32 s19, exec_lo
	v_cmpx_ne_u16_e32 0x80, v8
	s_cbranch_execz .LBB335_401
; %bb.396:                              ;   in Loop: Header=BB335_10 Depth=1
	v_and_b32_e32 v162, 0x7f, v151
	v_mov_b32_e32 v178, 0x7fc02000
	s_mov_b32 s20, exec_lo
	s_delay_alu instid0(VALU_DEP_2)
	v_cmpx_ne_u32_e32 0x7f, v162
	s_cbranch_execz .LBB335_400
; %bb.397:                              ;   in Loop: Header=BB335_10 Depth=1
	v_and_b32_e32 v8, 7, v151
	v_lshrrev_b32_e32 v160, 3, v162
	s_mov_b32 s21, exec_lo
	v_cmpx_gt_u32_e32 8, v162
; %bb.398:                              ;   in Loop: Header=BB335_10 Depth=1
	s_delay_alu instid0(VALU_DEP_3) | instskip(NEXT) | instid1(VALU_DEP_1)
	v_clz_i32_u32_e32 v160, v8
	v_min_u32_e32 v160, 32, v160
	s_delay_alu instid0(VALU_DEP_1) | instskip(SKIP_1) | instid1(VALU_DEP_2)
	v_subrev_nc_u32_e32 v162, 28, v160
	v_sub_nc_u32_e32 v160, 29, v160
	v_lshlrev_b64 v[164:165], v162, v[8:9]
	s_delay_alu instid0(VALU_DEP_1)
	v_and_b32_e32 v8, 7, v164
; %bb.399:                              ;   in Loop: Header=BB335_10 Depth=1
	s_or_b32 exec_lo, exec_lo, s21
	v_lshlrev_b32_e32 v162, 8, v151
	v_lshl_add_u32 v160, v160, 10, 0x2000
	s_delay_alu instid0(VALU_DEP_1) | instskip(NEXT) | instid1(VALU_DEP_1)
	v_and_or_b32 v160, 0x8000, v162, v160
	v_lshl_or_b32 v8, v8, 7, v160
	s_delay_alu instid0(VALU_DEP_1)
	v_cvt_f32_f16_e64 v178, v8
.LBB335_400:                            ;   in Loop: Header=BB335_10 Depth=1
	s_or_b32 exec_lo, exec_lo, s20
.LBB335_401:                            ;   in Loop: Header=BB335_10 Depth=1
	s_delay_alu instid0(SALU_CYCLE_1)
	s_or_b32 exec_lo, exec_lo, s19
.LBB335_402:                            ;   in Loop: Header=BB335_10 Depth=1
	s_delay_alu instid0(SALU_CYCLE_1) | instskip(SKIP_3) | instid1(VALU_DEP_2)
	s_or_b32 exec_lo, exec_lo, s3
	v_lshrrev_b16 v8, 8, v151
	v_dual_mov_b32 v179, 0 :: v_dual_mov_b32 v180, 0
	s_mov_b32 s3, exec_lo
	v_cmpx_ne_u16_e32 0, v8
	s_cbranch_execz .LBB335_410
; %bb.403:                              ;   in Loop: Header=BB335_10 Depth=1
	v_bfrev_b32_e32 v180, 1
	s_mov_b32 s19, exec_lo
	v_cmpx_ne_u16_e32 0x80, v8
	s_cbranch_execz .LBB335_409
; %bb.404:                              ;   in Loop: Header=BB335_10 Depth=1
	v_and_b32_e32 v160, 0xffff, v8
	v_mov_b32_e32 v180, 0x7fc02000
	s_mov_b32 s20, exec_lo
	s_delay_alu instid0(VALU_DEP_2) | instskip(NEXT) | instid1(VALU_DEP_1)
	v_and_b32_e32 v164, 0x7f, v160
	v_cmpx_ne_u32_e32 0x7f, v164
	s_cbranch_execz .LBB335_408
; %bb.405:                              ;   in Loop: Header=BB335_10 Depth=1
	v_and_b32_e32 v8, 7, v160
	v_lshrrev_b32_e32 v162, 3, v164
	s_mov_b32 s21, exec_lo
	v_cmpx_gt_u32_e32 8, v164
; %bb.406:                              ;   in Loop: Header=BB335_10 Depth=1
	s_delay_alu instid0(VALU_DEP_3) | instskip(NEXT) | instid1(VALU_DEP_1)
	v_clz_i32_u32_e32 v162, v8
	v_min_u32_e32 v162, 32, v162
	s_delay_alu instid0(VALU_DEP_1) | instskip(SKIP_1) | instid1(VALU_DEP_2)
	v_subrev_nc_u32_e32 v164, 28, v162
	v_sub_nc_u32_e32 v162, 29, v162
	v_lshlrev_b64 v[164:165], v164, v[8:9]
	s_delay_alu instid0(VALU_DEP_1)
	v_and_b32_e32 v8, 7, v164
; %bb.407:                              ;   in Loop: Header=BB335_10 Depth=1
	s_or_b32 exec_lo, exec_lo, s21
	v_lshlrev_b32_e32 v160, 8, v160
	v_lshl_add_u32 v162, v162, 10, 0x2000
	s_delay_alu instid0(VALU_DEP_1) | instskip(NEXT) | instid1(VALU_DEP_1)
	v_and_or_b32 v160, 0x8000, v160, v162
	v_lshl_or_b32 v8, v8, 7, v160
	s_delay_alu instid0(VALU_DEP_1)
	v_cvt_f32_f16_e64 v180, v8
.LBB335_408:                            ;   in Loop: Header=BB335_10 Depth=1
	s_or_b32 exec_lo, exec_lo, s20
.LBB335_409:                            ;   in Loop: Header=BB335_10 Depth=1
	s_delay_alu instid0(SALU_CYCLE_1)
	s_or_b32 exec_lo, exec_lo, s19
.LBB335_410:                            ;   in Loop: Header=BB335_10 Depth=1
	s_delay_alu instid0(SALU_CYCLE_1) | instskip(SKIP_2) | instid1(VALU_DEP_1)
	s_or_b32 exec_lo, exec_lo, s3
	v_lshrrev_b32_e32 v160, 16, v151
	s_mov_b32 s3, exec_lo
	v_and_b32_e32 v8, 0xff, v160
	s_delay_alu instid0(VALU_DEP_1)
	v_cmpx_ne_u16_e32 0, v8
	s_cbranch_execz .LBB335_418
; %bb.411:                              ;   in Loop: Header=BB335_10 Depth=1
	v_bfrev_b32_e32 v179, 1
	s_mov_b32 s19, exec_lo
	v_cmpx_ne_u16_e32 0x80, v8
	s_cbranch_execz .LBB335_417
; %bb.412:                              ;   in Loop: Header=BB335_10 Depth=1
	v_bfe_u32 v164, v151, 16, 7
	v_mov_b32_e32 v179, 0x7fc02000
	s_mov_b32 s20, exec_lo
	s_delay_alu instid0(VALU_DEP_2)
	v_cmpx_ne_u32_e32 0x7f, v164
	s_cbranch_execz .LBB335_416
; %bb.413:                              ;   in Loop: Header=BB335_10 Depth=1
	v_and_b32_e32 v8, 7, v160
	v_lshrrev_b32_e32 v162, 3, v164
	s_mov_b32 s21, exec_lo
	v_cmpx_gt_u32_e32 8, v164
; %bb.414:                              ;   in Loop: Header=BB335_10 Depth=1
	s_delay_alu instid0(VALU_DEP_3) | instskip(NEXT) | instid1(VALU_DEP_1)
	v_clz_i32_u32_e32 v162, v8
	v_min_u32_e32 v162, 32, v162
	s_delay_alu instid0(VALU_DEP_1) | instskip(SKIP_1) | instid1(VALU_DEP_2)
	v_subrev_nc_u32_e32 v164, 28, v162
	v_sub_nc_u32_e32 v162, 29, v162
	v_lshlrev_b64 v[164:165], v164, v[8:9]
	s_delay_alu instid0(VALU_DEP_1)
	v_and_b32_e32 v8, 7, v164
; %bb.415:                              ;   in Loop: Header=BB335_10 Depth=1
	s_or_b32 exec_lo, exec_lo, s21
	v_lshlrev_b32_e32 v160, 8, v160
	v_lshl_add_u32 v162, v162, 10, 0x2000
	s_delay_alu instid0(VALU_DEP_1) | instskip(NEXT) | instid1(VALU_DEP_1)
	v_and_or_b32 v160, 0x8000, v160, v162
	v_lshl_or_b32 v8, v8, 7, v160
	s_delay_alu instid0(VALU_DEP_1)
	v_cvt_f32_f16_e64 v179, v8
.LBB335_416:                            ;   in Loop: Header=BB335_10 Depth=1
	s_or_b32 exec_lo, exec_lo, s20
.LBB335_417:                            ;   in Loop: Header=BB335_10 Depth=1
	s_delay_alu instid0(SALU_CYCLE_1)
	s_or_b32 exec_lo, exec_lo, s19
.LBB335_418:                            ;   in Loop: Header=BB335_10 Depth=1
	s_delay_alu instid0(SALU_CYCLE_1)
	s_or_b32 exec_lo, exec_lo, s3
	v_dual_mov_b32 v165, 0 :: v_dual_mov_b32 v182, 0
	s_mov_b32 s3, exec_lo
	v_cmpx_lt_u32_e32 0xffffff, v151
	s_cbranch_execz .LBB335_426
; %bb.419:                              ;   in Loop: Header=BB335_10 Depth=1
	v_lshrrev_b32_e32 v151, 24, v151
	v_bfrev_b32_e32 v182, 1
	s_mov_b32 s19, exec_lo
	s_delay_alu instid0(VALU_DEP_2)
	v_cmpx_ne_u32_e32 0x80, v151
	s_cbranch_execz .LBB335_425
; %bb.420:                              ;   in Loop: Header=BB335_10 Depth=1
	v_and_b32_e32 v162, 0x7f, v151
	v_mov_b32_e32 v182, 0x7fc02000
	s_mov_b32 s20, exec_lo
	s_delay_alu instid0(VALU_DEP_2)
	v_cmpx_ne_u32_e32 0x7f, v162
	s_cbranch_execz .LBB335_424
; %bb.421:                              ;   in Loop: Header=BB335_10 Depth=1
	v_and_b32_e32 v8, 7, v151
	v_lshrrev_b32_e32 v160, 3, v162
	s_mov_b32 s21, exec_lo
	v_cmpx_gt_u32_e32 8, v162
; %bb.422:                              ;   in Loop: Header=BB335_10 Depth=1
	s_delay_alu instid0(VALU_DEP_3) | instskip(NEXT) | instid1(VALU_DEP_1)
	v_clz_i32_u32_e32 v160, v8
	v_min_u32_e32 v160, 32, v160
	s_delay_alu instid0(VALU_DEP_1) | instskip(SKIP_1) | instid1(VALU_DEP_2)
	v_subrev_nc_u32_e32 v162, 28, v160
	v_sub_nc_u32_e32 v160, 29, v160
	v_lshlrev_b64 v[166:167], v162, v[8:9]
	s_delay_alu instid0(VALU_DEP_1)
	v_and_b32_e32 v8, 7, v166
; %bb.423:                              ;   in Loop: Header=BB335_10 Depth=1
	s_or_b32 exec_lo, exec_lo, s21
	v_lshlrev_b32_e32 v151, 8, v151
	v_lshl_add_u32 v160, v160, 10, 0x2000
	s_delay_alu instid0(VALU_DEP_1) | instskip(NEXT) | instid1(VALU_DEP_1)
	v_and_or_b32 v151, 0x8000, v151, v160
	v_lshl_or_b32 v8, v8, 7, v151
	s_delay_alu instid0(VALU_DEP_1)
	v_cvt_f32_f16_e64 v182, v8
.LBB335_424:                            ;   in Loop: Header=BB335_10 Depth=1
	s_or_b32 exec_lo, exec_lo, s20
.LBB335_425:                            ;   in Loop: Header=BB335_10 Depth=1
	s_delay_alu instid0(SALU_CYCLE_1)
	s_or_b32 exec_lo, exec_lo, s19
.LBB335_426:                            ;   in Loop: Header=BB335_10 Depth=1
	s_delay_alu instid0(SALU_CYCLE_1) | instskip(SKIP_4) | instid1(VALU_DEP_1)
	s_or_b32 exec_lo, exec_lo, s3
	flat_load_b32 v160, v[28:29] offset:1544
	s_mov_b32 s3, exec_lo
	s_waitcnt vmcnt(0) lgkmcnt(0)
	v_and_b32_e32 v8, 0xff, v160
	v_cmpx_ne_u16_e32 0, v8
	s_cbranch_execz .LBB335_434
; %bb.427:                              ;   in Loop: Header=BB335_10 Depth=1
	v_bfrev_b32_e32 v165, 1
	s_mov_b32 s19, exec_lo
	v_cmpx_ne_u16_e32 0x80, v8
	s_cbranch_execz .LBB335_433
; %bb.428:                              ;   in Loop: Header=BB335_10 Depth=1
	v_and_b32_e32 v162, 0x7f, v160
	v_mov_b32_e32 v165, 0x7fc02000
	s_mov_b32 s20, exec_lo
	s_delay_alu instid0(VALU_DEP_2)
	v_cmpx_ne_u32_e32 0x7f, v162
	s_cbranch_execz .LBB335_432
; %bb.429:                              ;   in Loop: Header=BB335_10 Depth=1
	v_and_b32_e32 v8, 7, v160
	v_lshrrev_b32_e32 v151, 3, v162
	s_mov_b32 s21, exec_lo
	v_cmpx_gt_u32_e32 8, v162
; %bb.430:                              ;   in Loop: Header=BB335_10 Depth=1
	s_delay_alu instid0(VALU_DEP_3) | instskip(NEXT) | instid1(VALU_DEP_1)
	v_clz_i32_u32_e32 v151, v8
	v_min_u32_e32 v151, 32, v151
	s_delay_alu instid0(VALU_DEP_1) | instskip(SKIP_1) | instid1(VALU_DEP_2)
	v_subrev_nc_u32_e32 v162, 28, v151
	v_sub_nc_u32_e32 v151, 29, v151
	v_lshlrev_b64 v[164:165], v162, v[8:9]
	s_delay_alu instid0(VALU_DEP_1)
	v_and_b32_e32 v8, 7, v164
; %bb.431:                              ;   in Loop: Header=BB335_10 Depth=1
	s_or_b32 exec_lo, exec_lo, s21
	v_lshlrev_b32_e32 v162, 8, v160
	v_lshl_add_u32 v151, v151, 10, 0x2000
	s_delay_alu instid0(VALU_DEP_1) | instskip(NEXT) | instid1(VALU_DEP_1)
	v_and_or_b32 v151, 0x8000, v162, v151
	v_lshl_or_b32 v8, v8, 7, v151
	s_delay_alu instid0(VALU_DEP_1)
	v_cvt_f32_f16_e64 v165, v8
.LBB335_432:                            ;   in Loop: Header=BB335_10 Depth=1
	s_or_b32 exec_lo, exec_lo, s20
.LBB335_433:                            ;   in Loop: Header=BB335_10 Depth=1
	s_delay_alu instid0(SALU_CYCLE_1)
	s_or_b32 exec_lo, exec_lo, s19
.LBB335_434:                            ;   in Loop: Header=BB335_10 Depth=1
	s_delay_alu instid0(SALU_CYCLE_1) | instskip(SKIP_3) | instid1(VALU_DEP_2)
	s_or_b32 exec_lo, exec_lo, s3
	v_lshrrev_b16 v8, 8, v160
	v_dual_mov_b32 v166, 0 :: v_dual_mov_b32 v167, 0
	s_mov_b32 s3, exec_lo
	v_cmpx_ne_u16_e32 0, v8
	s_cbranch_execz .LBB335_442
; %bb.435:                              ;   in Loop: Header=BB335_10 Depth=1
	v_bfrev_b32_e32 v167, 1
	s_mov_b32 s19, exec_lo
	v_cmpx_ne_u16_e32 0x80, v8
	s_cbranch_execz .LBB335_441
; %bb.436:                              ;   in Loop: Header=BB335_10 Depth=1
	v_and_b32_e32 v151, 0xffff, v8
	v_mov_b32_e32 v167, 0x7fc02000
	s_mov_b32 s20, exec_lo
	s_delay_alu instid0(VALU_DEP_2) | instskip(NEXT) | instid1(VALU_DEP_1)
	v_and_b32_e32 v164, 0x7f, v151
	v_cmpx_ne_u32_e32 0x7f, v164
	s_cbranch_execz .LBB335_440
; %bb.437:                              ;   in Loop: Header=BB335_10 Depth=1
	v_and_b32_e32 v8, 7, v151
	v_lshrrev_b32_e32 v162, 3, v164
	s_mov_b32 s21, exec_lo
	v_cmpx_gt_u32_e32 8, v164
; %bb.438:                              ;   in Loop: Header=BB335_10 Depth=1
	s_delay_alu instid0(VALU_DEP_3) | instskip(NEXT) | instid1(VALU_DEP_1)
	v_clz_i32_u32_e32 v162, v8
	v_min_u32_e32 v162, 32, v162
	s_delay_alu instid0(VALU_DEP_1) | instskip(SKIP_1) | instid1(VALU_DEP_2)
	v_subrev_nc_u32_e32 v164, 28, v162
	v_sub_nc_u32_e32 v162, 29, v162
	v_lshlrev_b64 v[40:41], v164, v[8:9]
	s_delay_alu instid0(VALU_DEP_1)
	v_and_b32_e32 v8, 7, v40
; %bb.439:                              ;   in Loop: Header=BB335_10 Depth=1
	s_or_b32 exec_lo, exec_lo, s21
	v_lshlrev_b32_e32 v151, 8, v151
	v_lshl_add_u32 v162, v162, 10, 0x2000
	s_delay_alu instid0(VALU_DEP_1) | instskip(NEXT) | instid1(VALU_DEP_1)
	v_and_or_b32 v151, 0x8000, v151, v162
	v_lshl_or_b32 v8, v8, 7, v151
	s_delay_alu instid0(VALU_DEP_1)
	v_cvt_f32_f16_e64 v167, v8
.LBB335_440:                            ;   in Loop: Header=BB335_10 Depth=1
	s_or_b32 exec_lo, exec_lo, s20
.LBB335_441:                            ;   in Loop: Header=BB335_10 Depth=1
	s_delay_alu instid0(SALU_CYCLE_1)
	s_or_b32 exec_lo, exec_lo, s19
.LBB335_442:                            ;   in Loop: Header=BB335_10 Depth=1
	s_delay_alu instid0(SALU_CYCLE_1) | instskip(SKIP_2) | instid1(VALU_DEP_1)
	s_or_b32 exec_lo, exec_lo, s3
	v_lshrrev_b32_e32 v151, 16, v160
	s_mov_b32 s3, exec_lo
	v_and_b32_e32 v8, 0xff, v151
	s_delay_alu instid0(VALU_DEP_1)
	v_cmpx_ne_u16_e32 0, v8
	s_cbranch_execz .LBB335_450
; %bb.443:                              ;   in Loop: Header=BB335_10 Depth=1
	v_bfrev_b32_e32 v166, 1
	s_mov_b32 s19, exec_lo
	v_cmpx_ne_u16_e32 0x80, v8
	s_cbranch_execz .LBB335_449
; %bb.444:                              ;   in Loop: Header=BB335_10 Depth=1
	v_bfe_u32 v164, v160, 16, 7
	v_mov_b32_e32 v166, 0x7fc02000
	s_mov_b32 s20, exec_lo
	s_delay_alu instid0(VALU_DEP_2)
	v_cmpx_ne_u32_e32 0x7f, v164
	s_cbranch_execz .LBB335_448
; %bb.445:                              ;   in Loop: Header=BB335_10 Depth=1
	v_and_b32_e32 v8, 7, v151
	v_lshrrev_b32_e32 v162, 3, v164
	s_mov_b32 s21, exec_lo
	v_cmpx_gt_u32_e32 8, v164
; %bb.446:                              ;   in Loop: Header=BB335_10 Depth=1
	s_delay_alu instid0(VALU_DEP_3) | instskip(NEXT) | instid1(VALU_DEP_1)
	v_clz_i32_u32_e32 v162, v8
	v_min_u32_e32 v162, 32, v162
	s_delay_alu instid0(VALU_DEP_1) | instskip(SKIP_1) | instid1(VALU_DEP_2)
	v_subrev_nc_u32_e32 v164, 28, v162
	v_sub_nc_u32_e32 v162, 29, v162
	v_lshlrev_b64 v[40:41], v164, v[8:9]
	s_delay_alu instid0(VALU_DEP_1)
	v_and_b32_e32 v8, 7, v40
; %bb.447:                              ;   in Loop: Header=BB335_10 Depth=1
	s_or_b32 exec_lo, exec_lo, s21
	v_lshlrev_b32_e32 v151, 8, v151
	v_lshl_add_u32 v162, v162, 10, 0x2000
	s_delay_alu instid0(VALU_DEP_1) | instskip(NEXT) | instid1(VALU_DEP_1)
	v_and_or_b32 v151, 0x8000, v151, v162
	v_lshl_or_b32 v8, v8, 7, v151
	s_delay_alu instid0(VALU_DEP_1)
	v_cvt_f32_f16_e64 v166, v8
.LBB335_448:                            ;   in Loop: Header=BB335_10 Depth=1
	s_or_b32 exec_lo, exec_lo, s20
.LBB335_449:                            ;   in Loop: Header=BB335_10 Depth=1
	s_delay_alu instid0(SALU_CYCLE_1)
	s_or_b32 exec_lo, exec_lo, s19
.LBB335_450:                            ;   in Loop: Header=BB335_10 Depth=1
	s_delay_alu instid0(SALU_CYCLE_1)
	s_or_b32 exec_lo, exec_lo, s3
	v_mov_b32_e32 v151, 0
	v_mov_b32_e32 v181, 0
	s_mov_b32 s3, exec_lo
	v_cmpx_lt_u32_e32 0xffffff, v160
	s_cbranch_execz .LBB335_458
; %bb.451:                              ;   in Loop: Header=BB335_10 Depth=1
	v_lshrrev_b32_e32 v160, 24, v160
	v_bfrev_b32_e32 v181, 1
	s_mov_b32 s19, exec_lo
	s_delay_alu instid0(VALU_DEP_2)
	v_cmpx_ne_u32_e32 0x80, v160
	s_cbranch_execz .LBB335_457
; %bb.452:                              ;   in Loop: Header=BB335_10 Depth=1
	v_and_b32_e32 v164, 0x7f, v160
	v_mov_b32_e32 v181, 0x7fc02000
	s_mov_b32 s20, exec_lo
	s_delay_alu instid0(VALU_DEP_2)
	v_cmpx_ne_u32_e32 0x7f, v164
	s_cbranch_execz .LBB335_456
; %bb.453:                              ;   in Loop: Header=BB335_10 Depth=1
	v_and_b32_e32 v8, 7, v160
	v_lshrrev_b32_e32 v162, 3, v164
	s_mov_b32 s21, exec_lo
	v_cmpx_gt_u32_e32 8, v164
; %bb.454:                              ;   in Loop: Header=BB335_10 Depth=1
	s_delay_alu instid0(VALU_DEP_3) | instskip(NEXT) | instid1(VALU_DEP_1)
	v_clz_i32_u32_e32 v162, v8
	v_min_u32_e32 v162, 32, v162
	s_delay_alu instid0(VALU_DEP_1) | instskip(SKIP_1) | instid1(VALU_DEP_2)
	v_subrev_nc_u32_e32 v164, 28, v162
	v_sub_nc_u32_e32 v162, 29, v162
	v_lshlrev_b64 v[40:41], v164, v[8:9]
	s_delay_alu instid0(VALU_DEP_1)
	v_and_b32_e32 v8, 7, v40
; %bb.455:                              ;   in Loop: Header=BB335_10 Depth=1
	s_or_b32 exec_lo, exec_lo, s21
	v_lshlrev_b32_e32 v160, 8, v160
	v_lshl_add_u32 v162, v162, 10, 0x2000
	s_delay_alu instid0(VALU_DEP_1) | instskip(NEXT) | instid1(VALU_DEP_1)
	v_and_or_b32 v160, 0x8000, v160, v162
	v_lshl_or_b32 v8, v8, 7, v160
	s_delay_alu instid0(VALU_DEP_1)
	v_cvt_f32_f16_e64 v181, v8
.LBB335_456:                            ;   in Loop: Header=BB335_10 Depth=1
	s_or_b32 exec_lo, exec_lo, s20
.LBB335_457:                            ;   in Loop: Header=BB335_10 Depth=1
	s_delay_alu instid0(SALU_CYCLE_1)
	s_or_b32 exec_lo, exec_lo, s19
.LBB335_458:                            ;   in Loop: Header=BB335_10 Depth=1
	s_delay_alu instid0(SALU_CYCLE_1) | instskip(SKIP_4) | instid1(VALU_DEP_1)
	s_or_b32 exec_lo, exec_lo, s3
	flat_load_b32 v164, v[28:29] offset:1792
	s_mov_b32 s3, exec_lo
	s_waitcnt vmcnt(0) lgkmcnt(0)
	v_and_b32_e32 v8, 0xff, v164
	v_cmpx_ne_u16_e32 0, v8
	s_cbranch_execz .LBB335_466
; %bb.459:                              ;   in Loop: Header=BB335_10 Depth=1
	v_bfrev_b32_e32 v151, 1
	s_mov_b32 s19, exec_lo
	v_cmpx_ne_u16_e32 0x80, v8
	s_cbranch_execz .LBB335_465
; %bb.460:                              ;   in Loop: Header=BB335_10 Depth=1
	v_and_b32_e32 v160, 0x7f, v164
	v_mov_b32_e32 v151, 0x7fc02000
	s_mov_b32 s20, exec_lo
	s_delay_alu instid0(VALU_DEP_2)
	v_cmpx_ne_u32_e32 0x7f, v160
	s_cbranch_execz .LBB335_464
; %bb.461:                              ;   in Loop: Header=BB335_10 Depth=1
	v_and_b32_e32 v8, 7, v164
	v_lshrrev_b32_e32 v151, 3, v160
	s_mov_b32 s21, exec_lo
	v_cmpx_gt_u32_e32 8, v160
; %bb.462:                              ;   in Loop: Header=BB335_10 Depth=1
	s_delay_alu instid0(VALU_DEP_3) | instskip(NEXT) | instid1(VALU_DEP_1)
	v_clz_i32_u32_e32 v151, v8
	v_min_u32_e32 v151, 32, v151
	s_delay_alu instid0(VALU_DEP_1) | instskip(SKIP_1) | instid1(VALU_DEP_2)
	v_subrev_nc_u32_e32 v160, 28, v151
	v_sub_nc_u32_e32 v151, 29, v151
	v_lshlrev_b64 v[40:41], v160, v[8:9]
	s_delay_alu instid0(VALU_DEP_1)
	v_and_b32_e32 v8, 7, v40
; %bb.463:                              ;   in Loop: Header=BB335_10 Depth=1
	s_or_b32 exec_lo, exec_lo, s21
	v_lshlrev_b32_e32 v160, 8, v164
	v_lshl_add_u32 v151, v151, 10, 0x2000
	s_delay_alu instid0(VALU_DEP_1) | instskip(NEXT) | instid1(VALU_DEP_1)
	v_and_or_b32 v151, 0x8000, v160, v151
	v_lshl_or_b32 v8, v8, 7, v151
	s_delay_alu instid0(VALU_DEP_1)
	v_cvt_f32_f16_e64 v151, v8
.LBB335_464:                            ;   in Loop: Header=BB335_10 Depth=1
	s_or_b32 exec_lo, exec_lo, s20
.LBB335_465:                            ;   in Loop: Header=BB335_10 Depth=1
	s_delay_alu instid0(SALU_CYCLE_1)
	s_or_b32 exec_lo, exec_lo, s19
.LBB335_466:                            ;   in Loop: Header=BB335_10 Depth=1
	s_delay_alu instid0(SALU_CYCLE_1) | instskip(SKIP_4) | instid1(VALU_DEP_3)
	s_or_b32 exec_lo, exec_lo, s3
	v_lshrrev_b16 v8, 8, v164
	v_mov_b32_e32 v160, 0
	v_mov_b32_e32 v162, 0
	s_mov_b32 s3, exec_lo
	v_cmpx_ne_u16_e32 0, v8
	s_cbranch_execz .LBB335_474
; %bb.467:                              ;   in Loop: Header=BB335_10 Depth=1
	v_bfrev_b32_e32 v162, 1
	s_mov_b32 s19, exec_lo
	v_cmpx_ne_u16_e32 0x80, v8
	s_cbranch_execz .LBB335_473
; %bb.468:                              ;   in Loop: Header=BB335_10 Depth=1
	v_and_b32_e32 v176, 0xffff, v8
	v_mov_b32_e32 v162, 0x7fc02000
	s_mov_b32 s20, exec_lo
	s_delay_alu instid0(VALU_DEP_2) | instskip(NEXT) | instid1(VALU_DEP_1)
	v_and_b32_e32 v183, 0x7f, v176
	v_cmpx_ne_u32_e32 0x7f, v183
	s_cbranch_execz .LBB335_472
; %bb.469:                              ;   in Loop: Header=BB335_10 Depth=1
	v_and_b32_e32 v8, 7, v176
	v_lshrrev_b32_e32 v162, 3, v183
	s_mov_b32 s21, exec_lo
	v_cmpx_gt_u32_e32 8, v183
; %bb.470:                              ;   in Loop: Header=BB335_10 Depth=1
	s_delay_alu instid0(VALU_DEP_3) | instskip(NEXT) | instid1(VALU_DEP_1)
	v_clz_i32_u32_e32 v162, v8
	v_min_u32_e32 v162, 32, v162
	s_delay_alu instid0(VALU_DEP_1) | instskip(SKIP_1) | instid1(VALU_DEP_2)
	v_subrev_nc_u32_e32 v183, 28, v162
	v_sub_nc_u32_e32 v162, 29, v162
	v_lshlrev_b64 v[40:41], v183, v[8:9]
	s_delay_alu instid0(VALU_DEP_1)
	v_and_b32_e32 v8, 7, v40
; %bb.471:                              ;   in Loop: Header=BB335_10 Depth=1
	s_or_b32 exec_lo, exec_lo, s21
	v_lshlrev_b32_e32 v176, 8, v176
	v_lshl_add_u32 v162, v162, 10, 0x2000
	s_delay_alu instid0(VALU_DEP_1) | instskip(NEXT) | instid1(VALU_DEP_1)
	v_and_or_b32 v162, 0x8000, v176, v162
	v_lshl_or_b32 v8, v8, 7, v162
	s_delay_alu instid0(VALU_DEP_1)
	v_cvt_f32_f16_e64 v162, v8
.LBB335_472:                            ;   in Loop: Header=BB335_10 Depth=1
	s_or_b32 exec_lo, exec_lo, s20
.LBB335_473:                            ;   in Loop: Header=BB335_10 Depth=1
	s_delay_alu instid0(SALU_CYCLE_1)
	s_or_b32 exec_lo, exec_lo, s19
.LBB335_474:                            ;   in Loop: Header=BB335_10 Depth=1
	s_delay_alu instid0(SALU_CYCLE_1) | instskip(SKIP_2) | instid1(VALU_DEP_1)
	s_or_b32 exec_lo, exec_lo, s3
	v_lshrrev_b32_e32 v176, 16, v164
	s_mov_b32 s3, exec_lo
	v_and_b32_e32 v8, 0xff, v176
	s_delay_alu instid0(VALU_DEP_1)
	v_cmpx_ne_u16_e32 0, v8
	s_cbranch_execz .LBB335_482
; %bb.475:                              ;   in Loop: Header=BB335_10 Depth=1
	v_bfrev_b32_e32 v160, 1
	s_mov_b32 s19, exec_lo
	v_cmpx_ne_u16_e32 0x80, v8
	s_cbranch_execz .LBB335_481
; %bb.476:                              ;   in Loop: Header=BB335_10 Depth=1
	v_bfe_u32 v183, v164, 16, 7
	v_mov_b32_e32 v160, 0x7fc02000
	s_mov_b32 s20, exec_lo
	s_delay_alu instid0(VALU_DEP_2)
	v_cmpx_ne_u32_e32 0x7f, v183
	s_cbranch_execz .LBB335_480
; %bb.477:                              ;   in Loop: Header=BB335_10 Depth=1
	v_and_b32_e32 v8, 7, v176
	v_lshrrev_b32_e32 v160, 3, v183
	s_mov_b32 s21, exec_lo
	v_cmpx_gt_u32_e32 8, v183
; %bb.478:                              ;   in Loop: Header=BB335_10 Depth=1
	s_delay_alu instid0(VALU_DEP_3) | instskip(NEXT) | instid1(VALU_DEP_1)
	v_clz_i32_u32_e32 v160, v8
	v_min_u32_e32 v160, 32, v160
	s_delay_alu instid0(VALU_DEP_1) | instskip(SKIP_1) | instid1(VALU_DEP_2)
	v_subrev_nc_u32_e32 v183, 28, v160
	v_sub_nc_u32_e32 v160, 29, v160
	v_lshlrev_b64 v[40:41], v183, v[8:9]
	s_delay_alu instid0(VALU_DEP_1)
	v_and_b32_e32 v8, 7, v40
; %bb.479:                              ;   in Loop: Header=BB335_10 Depth=1
	s_or_b32 exec_lo, exec_lo, s21
	v_lshlrev_b32_e32 v176, 8, v176
	v_lshl_add_u32 v160, v160, 10, 0x2000
	s_delay_alu instid0(VALU_DEP_1) | instskip(NEXT) | instid1(VALU_DEP_1)
	v_and_or_b32 v160, 0x8000, v176, v160
	v_lshl_or_b32 v8, v8, 7, v160
	s_delay_alu instid0(VALU_DEP_1)
	v_cvt_f32_f16_e64 v160, v8
.LBB335_480:                            ;   in Loop: Header=BB335_10 Depth=1
	s_or_b32 exec_lo, exec_lo, s20
.LBB335_481:                            ;   in Loop: Header=BB335_10 Depth=1
	s_delay_alu instid0(SALU_CYCLE_1)
	s_or_b32 exec_lo, exec_lo, s19
.LBB335_482:                            ;   in Loop: Header=BB335_10 Depth=1
	s_delay_alu instid0(SALU_CYCLE_1)
	s_or_b32 exec_lo, exec_lo, s3
	v_dual_mov_b32 v183, 0 :: v_dual_mov_b32 v176, 0
	s_mov_b32 s3, exec_lo
	v_cmpx_lt_u32_e32 0xffffff, v164
	s_cbranch_execz .LBB335_490
; %bb.483:                              ;   in Loop: Header=BB335_10 Depth=1
	v_lshrrev_b32_e32 v164, 24, v164
	v_bfrev_b32_e32 v176, 1
	s_mov_b32 s19, exec_lo
	s_delay_alu instid0(VALU_DEP_2)
	v_cmpx_ne_u32_e32 0x80, v164
	s_cbranch_execz .LBB335_489
; %bb.484:                              ;   in Loop: Header=BB335_10 Depth=1
	v_and_b32_e32 v40, 0x7f, v164
	v_mov_b32_e32 v176, 0x7fc02000
	s_mov_b32 s20, exec_lo
	s_delay_alu instid0(VALU_DEP_2)
	v_cmpx_ne_u32_e32 0x7f, v40
	s_cbranch_execz .LBB335_488
; %bb.485:                              ;   in Loop: Header=BB335_10 Depth=1
	v_and_b32_e32 v8, 7, v164
	v_lshrrev_b32_e32 v176, 3, v40
	s_mov_b32 s21, exec_lo
	v_cmpx_gt_u32_e32 8, v40
; %bb.486:                              ;   in Loop: Header=BB335_10 Depth=1
	s_delay_alu instid0(VALU_DEP_3) | instskip(NEXT) | instid1(VALU_DEP_1)
	v_clz_i32_u32_e32 v176, v8
	v_min_u32_e32 v176, 32, v176
	s_delay_alu instid0(VALU_DEP_1) | instskip(SKIP_1) | instid1(VALU_DEP_2)
	v_subrev_nc_u32_e32 v40, 28, v176
	v_sub_nc_u32_e32 v176, 29, v176
	v_lshlrev_b64 v[40:41], v40, v[8:9]
	s_delay_alu instid0(VALU_DEP_1)
	v_and_b32_e32 v8, 7, v40
; %bb.487:                              ;   in Loop: Header=BB335_10 Depth=1
	s_or_b32 exec_lo, exec_lo, s21
	v_lshlrev_b32_e32 v164, 8, v164
	v_lshl_add_u32 v176, v176, 10, 0x2000
	s_delay_alu instid0(VALU_DEP_1) | instskip(NEXT) | instid1(VALU_DEP_1)
	v_and_or_b32 v164, 0x8000, v164, v176
	v_lshl_or_b32 v8, v8, 7, v164
	s_delay_alu instid0(VALU_DEP_1)
	v_cvt_f32_f16_e64 v176, v8
.LBB335_488:                            ;   in Loop: Header=BB335_10 Depth=1
	s_or_b32 exec_lo, exec_lo, s20
.LBB335_489:                            ;   in Loop: Header=BB335_10 Depth=1
	s_delay_alu instid0(SALU_CYCLE_1)
	s_or_b32 exec_lo, exec_lo, s19
.LBB335_490:                            ;   in Loop: Header=BB335_10 Depth=1
	s_delay_alu instid0(SALU_CYCLE_1) | instskip(SKIP_4) | instid1(VALU_DEP_1)
	s_or_b32 exec_lo, exec_lo, s3
	flat_load_b32 v164, v[28:29] offset:1800
	s_mov_b32 s3, exec_lo
	s_waitcnt vmcnt(0) lgkmcnt(0)
	v_and_b32_e32 v8, 0xff, v164
	v_cmpx_ne_u16_e32 0, v8
	s_cbranch_execz .LBB335_498
; %bb.491:                              ;   in Loop: Header=BB335_10 Depth=1
	v_bfrev_b32_e32 v183, 1
	s_mov_b32 s19, exec_lo
	v_cmpx_ne_u16_e32 0x80, v8
	s_cbranch_execz .LBB335_497
; %bb.492:                              ;   in Loop: Header=BB335_10 Depth=1
	v_and_b32_e32 v29, 0x7f, v164
	v_mov_b32_e32 v183, 0x7fc02000
	s_mov_b32 s20, exec_lo
	s_delay_alu instid0(VALU_DEP_2)
	v_cmpx_ne_u32_e32 0x7f, v29
	s_cbranch_execz .LBB335_496
; %bb.493:                              ;   in Loop: Header=BB335_10 Depth=1
	v_and_b32_e32 v8, 7, v164
	v_lshrrev_b32_e32 v28, 3, v29
	s_mov_b32 s21, exec_lo
	v_cmpx_gt_u32_e32 8, v29
; %bb.494:                              ;   in Loop: Header=BB335_10 Depth=1
	s_delay_alu instid0(VALU_DEP_3) | instskip(NEXT) | instid1(VALU_DEP_1)
	v_clz_i32_u32_e32 v28, v8
	v_min_u32_e32 v28, 32, v28
	s_delay_alu instid0(VALU_DEP_1) | instskip(SKIP_1) | instid1(VALU_DEP_2)
	v_subrev_nc_u32_e32 v29, 28, v28
	v_sub_nc_u32_e32 v28, 29, v28
	v_lshlrev_b64 v[40:41], v29, v[8:9]
	s_delay_alu instid0(VALU_DEP_1)
	v_and_b32_e32 v8, 7, v40
; %bb.495:                              ;   in Loop: Header=BB335_10 Depth=1
	s_or_b32 exec_lo, exec_lo, s21
	v_lshlrev_b32_e32 v29, 8, v164
	v_lshl_add_u32 v28, v28, 10, 0x2000
	s_delay_alu instid0(VALU_DEP_1) | instskip(NEXT) | instid1(VALU_DEP_1)
	v_and_or_b32 v28, 0x8000, v29, v28
	v_lshl_or_b32 v8, v8, 7, v28
	s_delay_alu instid0(VALU_DEP_1)
	v_cvt_f32_f16_e64 v183, v8
.LBB335_496:                            ;   in Loop: Header=BB335_10 Depth=1
	s_or_b32 exec_lo, exec_lo, s20
.LBB335_497:                            ;   in Loop: Header=BB335_10 Depth=1
	s_delay_alu instid0(SALU_CYCLE_1)
	s_or_b32 exec_lo, exec_lo, s19
.LBB335_498:                            ;   in Loop: Header=BB335_10 Depth=1
	s_delay_alu instid0(SALU_CYCLE_1) | instskip(SKIP_3) | instid1(VALU_DEP_2)
	s_or_b32 exec_lo, exec_lo, s3
	v_lshrrev_b16 v8, 8, v164
	v_dual_mov_b32 v28, 0 :: v_dual_mov_b32 v29, 0
	s_mov_b32 s3, exec_lo
	v_cmpx_ne_u16_e32 0, v8
	s_cbranch_execz .LBB335_506
; %bb.499:                              ;   in Loop: Header=BB335_10 Depth=1
	v_bfrev_b32_e32 v29, 1
	s_mov_b32 s19, exec_lo
	v_cmpx_ne_u16_e32 0x80, v8
	s_cbranch_execz .LBB335_505
; %bb.500:                              ;   in Loop: Header=BB335_10 Depth=1
	v_and_b32_e32 v40, 0xffff, v8
	v_mov_b32_e32 v29, 0x7fc02000
	s_mov_b32 s20, exec_lo
	s_delay_alu instid0(VALU_DEP_2) | instskip(NEXT) | instid1(VALU_DEP_1)
	v_and_b32_e32 v41, 0x7f, v40
	v_cmpx_ne_u32_e32 0x7f, v41
	s_cbranch_execz .LBB335_504
; %bb.501:                              ;   in Loop: Header=BB335_10 Depth=1
	v_and_b32_e32 v8, 7, v40
	v_lshrrev_b32_e32 v29, 3, v41
	s_mov_b32 s21, exec_lo
	v_cmpx_gt_u32_e32 8, v41
; %bb.502:                              ;   in Loop: Header=BB335_10 Depth=1
	s_delay_alu instid0(VALU_DEP_3) | instskip(NEXT) | instid1(VALU_DEP_1)
	v_clz_i32_u32_e32 v29, v8
	v_min_u32_e32 v29, 32, v29
	s_delay_alu instid0(VALU_DEP_1) | instskip(SKIP_1) | instid1(VALU_DEP_2)
	v_subrev_nc_u32_e32 v41, 28, v29
	v_sub_nc_u32_e32 v29, 29, v29
	v_lshlrev_b64 v[41:42], v41, v[8:9]
	s_delay_alu instid0(VALU_DEP_1)
	v_and_b32_e32 v8, 7, v41
; %bb.503:                              ;   in Loop: Header=BB335_10 Depth=1
	s_or_b32 exec_lo, exec_lo, s21
	v_lshlrev_b32_e32 v40, 8, v40
	v_lshl_add_u32 v29, v29, 10, 0x2000
	s_delay_alu instid0(VALU_DEP_1) | instskip(NEXT) | instid1(VALU_DEP_1)
	v_and_or_b32 v29, 0x8000, v40, v29
	v_lshl_or_b32 v8, v8, 7, v29
	s_delay_alu instid0(VALU_DEP_1)
	v_cvt_f32_f16_e32 v29, v8
.LBB335_504:                            ;   in Loop: Header=BB335_10 Depth=1
	s_or_b32 exec_lo, exec_lo, s20
.LBB335_505:                            ;   in Loop: Header=BB335_10 Depth=1
	s_delay_alu instid0(SALU_CYCLE_1)
	s_or_b32 exec_lo, exec_lo, s19
.LBB335_506:                            ;   in Loop: Header=BB335_10 Depth=1
	s_delay_alu instid0(SALU_CYCLE_1) | instskip(SKIP_2) | instid1(VALU_DEP_1)
	s_or_b32 exec_lo, exec_lo, s3
	v_lshrrev_b32_e32 v40, 16, v164
	s_mov_b32 s3, exec_lo
	v_and_b32_e32 v8, 0xff, v40
	s_delay_alu instid0(VALU_DEP_1)
	v_cmpx_ne_u16_e32 0, v8
	s_cbranch_execz .LBB335_514
; %bb.507:                              ;   in Loop: Header=BB335_10 Depth=1
	v_bfrev_b32_e32 v28, 1
	s_mov_b32 s19, exec_lo
	v_cmpx_ne_u16_e32 0x80, v8
	s_cbranch_execz .LBB335_513
; %bb.508:                              ;   in Loop: Header=BB335_10 Depth=1
	v_bfe_u32 v41, v164, 16, 7
	v_mov_b32_e32 v28, 0x7fc02000
	s_mov_b32 s20, exec_lo
	s_delay_alu instid0(VALU_DEP_2)
	v_cmpx_ne_u32_e32 0x7f, v41
	s_cbranch_execz .LBB335_512
; %bb.509:                              ;   in Loop: Header=BB335_10 Depth=1
	v_and_b32_e32 v8, 7, v40
	v_lshrrev_b32_e32 v28, 3, v41
	s_mov_b32 s21, exec_lo
	v_cmpx_gt_u32_e32 8, v41
; %bb.510:                              ;   in Loop: Header=BB335_10 Depth=1
	s_delay_alu instid0(VALU_DEP_3) | instskip(NEXT) | instid1(VALU_DEP_1)
	v_clz_i32_u32_e32 v28, v8
	v_min_u32_e32 v28, 32, v28
	s_delay_alu instid0(VALU_DEP_1) | instskip(SKIP_1) | instid1(VALU_DEP_2)
	v_subrev_nc_u32_e32 v41, 28, v28
	v_sub_nc_u32_e32 v28, 29, v28
	v_lshlrev_b64 v[41:42], v41, v[8:9]
	s_delay_alu instid0(VALU_DEP_1)
	v_and_b32_e32 v8, 7, v41
; %bb.511:                              ;   in Loop: Header=BB335_10 Depth=1
	s_or_b32 exec_lo, exec_lo, s21
	v_lshlrev_b32_e32 v40, 8, v40
	v_lshl_add_u32 v28, v28, 10, 0x2000
	s_delay_alu instid0(VALU_DEP_1) | instskip(NEXT) | instid1(VALU_DEP_1)
	v_and_or_b32 v28, 0x8000, v40, v28
	v_lshl_or_b32 v8, v8, 7, v28
	s_delay_alu instid0(VALU_DEP_1)
	v_cvt_f32_f16_e32 v28, v8
.LBB335_512:                            ;   in Loop: Header=BB335_10 Depth=1
	s_or_b32 exec_lo, exec_lo, s20
.LBB335_513:                            ;   in Loop: Header=BB335_10 Depth=1
	s_delay_alu instid0(SALU_CYCLE_1)
	s_or_b32 exec_lo, exec_lo, s19
.LBB335_514:                            ;   in Loop: Header=BB335_10 Depth=1
	s_delay_alu instid0(SALU_CYCLE_1)
	s_or_b32 exec_lo, exec_lo, s3
	v_mov_b32_e32 v8, 0
	s_mov_b32 s3, exec_lo
	v_cmpx_lt_u32_e32 0xffffff, v164
	s_cbranch_execz .LBB335_522
; %bb.515:                              ;   in Loop: Header=BB335_10 Depth=1
	v_lshrrev_b32_e32 v164, 24, v164
	v_bfrev_b32_e32 v8, 1
	s_mov_b32 s19, exec_lo
	s_delay_alu instid0(VALU_DEP_2)
	v_cmpx_ne_u32_e32 0x80, v164
	s_cbranch_execz .LBB335_521
; %bb.516:                              ;   in Loop: Header=BB335_10 Depth=1
	v_and_b32_e32 v41, 0x7f, v164
	v_mov_b32_e32 v8, 0x7fc02000
	s_mov_b32 s20, exec_lo
	s_delay_alu instid0(VALU_DEP_2)
	v_cmpx_ne_u32_e32 0x7f, v41
	s_cbranch_execz .LBB335_520
; %bb.517:                              ;   in Loop: Header=BB335_10 Depth=1
	v_and_b32_e32 v8, 7, v164
	v_lshrrev_b32_e32 v40, 3, v41
	s_mov_b32 s21, exec_lo
	v_cmpx_gt_u32_e32 8, v41
; %bb.518:                              ;   in Loop: Header=BB335_10 Depth=1
	s_delay_alu instid0(VALU_DEP_3) | instskip(NEXT) | instid1(VALU_DEP_1)
	v_clz_i32_u32_e32 v40, v8
	v_min_u32_e32 v40, 32, v40
	s_delay_alu instid0(VALU_DEP_1) | instskip(SKIP_1) | instid1(VALU_DEP_2)
	v_subrev_nc_u32_e32 v41, 28, v40
	v_sub_nc_u32_e32 v40, 29, v40
	v_lshlrev_b64 v[41:42], v41, v[8:9]
	s_delay_alu instid0(VALU_DEP_1)
	v_and_b32_e32 v8, 7, v41
; %bb.519:                              ;   in Loop: Header=BB335_10 Depth=1
	s_or_b32 exec_lo, exec_lo, s21
	v_lshlrev_b32_e32 v164, 8, v164
	v_lshl_add_u32 v40, v40, 10, 0x2000
	s_delay_alu instid0(VALU_DEP_1) | instskip(NEXT) | instid1(VALU_DEP_1)
	v_and_or_b32 v164, 0x8000, v164, v40
	v_lshl_or_b32 v8, v8, 7, v164
	s_delay_alu instid0(VALU_DEP_1)
	v_cvt_f32_f16_e32 v8, v8
.LBB335_520:                            ;   in Loop: Header=BB335_10 Depth=1
	s_or_b32 exec_lo, exec_lo, s20
.LBB335_521:                            ;   in Loop: Header=BB335_10 Depth=1
	s_delay_alu instid0(SALU_CYCLE_1)
	s_or_b32 exec_lo, exec_lo, s19
.LBB335_522:                            ;   in Loop: Header=BB335_10 Depth=1
	s_delay_alu instid0(SALU_CYCLE_1)
	s_or_b32 exec_lo, exec_lo, s3
	v_fma_mixlo_f16 v164, v65, v151, 0
	v_fma_mixlo_f16 v151, v65, v176, 0
	;; [unrolled: 1-line block ×26, first 2 shown]
	ds_load_b64 v[67:68], v52
	v_fma_mixlo_f16 v40, v65, v66, 0
	v_fma_mixlo_f16 v162, v65, v162, 0
	;; [unrolled: 1-line block ×38, first 2 shown]
	s_waitcnt lgkmcnt(0)
	v_lshrrev_b32_e32 v65, 16, v67
	v_and_b32_e32 v67, 0xffff, v67
	;;#ASMSTART
	v_cvt_f32_f16 v183, v67;
	;;#ASMEND
	;;#ASMSTART
	v_cvt_f32_f16 v42, v65;
	;;#ASMEND
	v_and_b32_e32 v65, 0xffff, v40
	;;#ASMSTART
	v_cvt_f32_f16 v40, v65;
	;;#ASMEND
	v_and_b32_e32 v65, 0xffff, v97
	;;#ASMSTART
	v_cvt_f32_f16 v97, v65;
	;;#ASMEND
	v_lshrrev_b32_e32 v65, 16, v68
	v_and_b32_e32 v67, 0xffff, v68
	;;#ASMSTART
	v_cvt_f32_f16 v43, v67;
	;;#ASMEND
	;;#ASMSTART
	v_cvt_f32_f16 v44, v65;
	;;#ASMEND
	v_and_b32_e32 v65, 0xffff, v41
	;;#ASMSTART
	v_cvt_f32_f16 v41, v65;
	;;#ASMEND
	v_and_b32_e32 v65, 0xffff, v69
	;;#ASMSTART
	v_cvt_f32_f16 v45, v65;
	;;#ASMEND
	ds_load_b64 v[67:68], v52 offset:8
	v_and_b32_e32 v29, 0xffff, v29
	v_and_b32_e32 v66, 0xffff, v66
	;; [unrolled: 1-line block ×4, first 2 shown]
	s_waitcnt lgkmcnt(0)
	v_lshrrev_b32_e32 v65, 16, v67
	v_and_b32_e32 v67, 0xffff, v67
	;;#ASMSTART
	v_cvt_f32_f16 v67, v67;
	;;#ASMEND
	;;#ASMSTART
	v_cvt_f32_f16 v69, v65;
	;;#ASMEND
	v_and_b32_e32 v65, 0xffff, v70
	;;#ASMSTART
	v_cvt_f32_f16 v65, v65;
	;;#ASMEND
	s_delay_alu instid0(VALU_DEP_1) | instskip(SKIP_1) | instid1(VALU_DEP_1)
	v_dual_mul_f32 v65, v67, v65 :: v_dual_and_b32 v70, 0xffff, v80
	;;#ASMSTART
	v_cvt_f32_f16 v70, v70;
	;;#ASMEND
	v_mul_f32_e32 v67, v69, v70
	v_lshrrev_b32_e32 v69, 16, v68
	v_and_b32_e32 v68, 0xffff, v68
	v_dual_fmac_f32 v65, v183, v40 :: v_dual_and_b32 v70, 0xffff, v71
	v_and_b32_e32 v71, 0xffff, v81
	;;#ASMSTART
	v_cvt_f32_f16 v68, v68;
	;;#ASMEND
	;;#ASMSTART
	v_cvt_f32_f16 v69, v69;
	;;#ASMEND
	;; [unrolled: 3-line block ×4, first 2 shown]
	v_dual_mul_f32 v68, v68, v70 :: v_dual_mul_f32 v69, v69, v71
	ds_load_b64 v[70:71], v52 offset:16
	v_fmac_f32_e32 v67, v42, v97
	v_dual_fmac_f32 v68, v43, v41 :: v_dual_and_b32 v81, 0xffff, v82
	v_dual_fmac_f32 v69, v44, v45 :: v_dual_and_b32 v82, 0xffff, v84
	s_waitcnt lgkmcnt(0)
	v_lshrrev_b32_e32 v80, 16, v70
	v_and_b32_e32 v70, 0xffff, v70
	;;#ASMSTART
	v_cvt_f32_f16 v70, v70;
	;;#ASMEND
	;;#ASMSTART
	v_cvt_f32_f16 v80, v80;
	;;#ASMEND
	;;#ASMSTART
	v_cvt_f32_f16 v81, v81;
	;;#ASMEND
	s_delay_alu instid0(VALU_DEP_1)
	v_fmac_f32_e32 v65, v70, v81
	v_lshrrev_b32_e32 v70, 16, v71
	v_and_b32_e32 v71, 0xffff, v71
	;;#ASMSTART
	v_cvt_f32_f16 v82, v82;
	;;#ASMEND
	v_dual_fmac_f32 v67, v80, v82 :: v_dual_and_b32 v82, 0xffff, v96
	;;#ASMSTART
	v_cvt_f32_f16 v71, v71;
	;;#ASMEND
	;;#ASMSTART
	v_cvt_f32_f16 v70, v70;
	;;#ASMEND
	v_and_b32_e32 v80, 0xffff, v83
	v_and_b32_e32 v81, 0xffff, v85
	;;#ASMSTART
	v_cvt_f32_f16 v80, v80;
	;;#ASMEND
	;;#ASMSTART
	v_cvt_f32_f16 v81, v81;
	;;#ASMEND
	s_delay_alu instid0(VALU_DEP_1)
	v_dual_fmac_f32 v68, v71, v80 :: v_dual_fmac_f32 v69, v70, v81
	ds_load_b64 v[70:71], v52 offset:24
	v_and_b32_e32 v81, 0xffff, v101
	s_waitcnt lgkmcnt(0)
	v_lshrrev_b32_e32 v80, 16, v70
	v_and_b32_e32 v70, 0xffff, v70
	;;#ASMSTART
	v_cvt_f32_f16 v70, v70;
	;;#ASMEND
	;;#ASMSTART
	v_cvt_f32_f16 v80, v80;
	;;#ASMEND
	;;#ASMSTART
	v_cvt_f32_f16 v81, v81;
	;;#ASMEND
	s_delay_alu instid0(VALU_DEP_1)
	v_fmac_f32_e32 v65, v70, v81
	v_lshrrev_b32_e32 v70, 16, v71
	v_and_b32_e32 v71, 0xffff, v71
	;;#ASMSTART
	v_cvt_f32_f16 v82, v82;
	;;#ASMEND
	v_dual_fmac_f32 v67, v80, v82 :: v_dual_and_b32 v82, 0xffff, v100
	;;#ASMSTART
	v_cvt_f32_f16 v71, v71;
	;;#ASMEND
	;;#ASMSTART
	v_cvt_f32_f16 v70, v70;
	;;#ASMEND
	v_and_b32_e32 v80, 0xffff, v87
	v_and_b32_e32 v81, 0xffff, v86
	;;#ASMSTART
	v_cvt_f32_f16 v80, v80;
	;;#ASMEND
	;;#ASMSTART
	v_cvt_f32_f16 v81, v81;
	;;#ASMEND
	s_delay_alu instid0(VALU_DEP_1)
	v_dual_fmac_f32 v68, v71, v80 :: v_dual_fmac_f32 v69, v70, v81
	ds_load_b64 v[70:71], v52 offset:32
	v_and_b32_e32 v81, 0xffff, v113
	s_waitcnt lgkmcnt(0)
	v_lshrrev_b32_e32 v80, 16, v70
	v_and_b32_e32 v70, 0xffff, v70
	;;#ASMSTART
	v_cvt_f32_f16 v70, v70;
	;;#ASMEND
	;;#ASMSTART
	v_cvt_f32_f16 v80, v80;
	;;#ASMEND
	;;#ASMSTART
	v_cvt_f32_f16 v81, v81;
	;;#ASMEND
	s_delay_alu instid0(VALU_DEP_1)
	v_fmac_f32_e32 v65, v70, v81
	v_lshrrev_b32_e32 v70, 16, v71
	v_and_b32_e32 v71, 0xffff, v71
	;;#ASMSTART
	v_cvt_f32_f16 v82, v82;
	;;#ASMEND
	v_dual_fmac_f32 v67, v80, v82 :: v_dual_and_b32 v82, 0xffff, v112
	;;#ASMSTART
	v_cvt_f32_f16 v71, v71;
	;;#ASMEND
	;;#ASMSTART
	v_cvt_f32_f16 v70, v70;
	;;#ASMEND
	v_and_b32_e32 v80, 0xffff, v99
	v_and_b32_e32 v81, 0xffff, v98
	;;#ASMSTART
	v_cvt_f32_f16 v80, v80;
	;;#ASMEND
	;;#ASMSTART
	v_cvt_f32_f16 v81, v81;
	;;#ASMEND
	s_delay_alu instid0(VALU_DEP_1)
	v_dual_fmac_f32 v68, v71, v80 :: v_dual_fmac_f32 v69, v70, v81
	ds_load_b64 v[70:71], v52 offset:40
	v_and_b32_e32 v81, 0xffff, v117
	s_waitcnt lgkmcnt(0)
	v_lshrrev_b32_e32 v80, 16, v70
	v_and_b32_e32 v70, 0xffff, v70
	;;#ASMSTART
	v_cvt_f32_f16 v70, v70;
	;;#ASMEND
	;;#ASMSTART
	v_cvt_f32_f16 v80, v80;
	;;#ASMEND
	;;#ASMSTART
	v_cvt_f32_f16 v81, v81;
	;;#ASMEND
	s_delay_alu instid0(VALU_DEP_1)
	v_fmac_f32_e32 v65, v70, v81
	v_lshrrev_b32_e32 v70, 16, v71
	v_and_b32_e32 v71, 0xffff, v71
	;;#ASMSTART
	v_cvt_f32_f16 v82, v82;
	;;#ASMEND
	v_dual_fmac_f32 v67, v80, v82 :: v_dual_and_b32 v82, 0xffff, v116
	;;#ASMSTART
	v_cvt_f32_f16 v71, v71;
	;;#ASMEND
	;;#ASMSTART
	v_cvt_f32_f16 v70, v70;
	;;#ASMEND
	v_and_b32_e32 v80, 0xffff, v103
	v_and_b32_e32 v81, 0xffff, v102
	;;#ASMSTART
	v_cvt_f32_f16 v80, v80;
	;;#ASMEND
	;;#ASMSTART
	v_cvt_f32_f16 v81, v81;
	;;#ASMEND
	s_delay_alu instid0(VALU_DEP_1)
	v_dual_fmac_f32 v68, v71, v80 :: v_dual_fmac_f32 v69, v70, v81
	ds_load_b64 v[70:71], v52 offset:48
	v_and_b32_e32 v81, 0xffff, v129
	s_waitcnt lgkmcnt(0)
	v_lshrrev_b32_e32 v80, 16, v70
	v_and_b32_e32 v70, 0xffff, v70
	;;#ASMSTART
	v_cvt_f32_f16 v70, v70;
	;;#ASMEND
	;;#ASMSTART
	v_cvt_f32_f16 v80, v80;
	;;#ASMEND
	;;#ASMSTART
	v_cvt_f32_f16 v81, v81;
	;;#ASMEND
	s_delay_alu instid0(VALU_DEP_1)
	v_fmac_f32_e32 v65, v70, v81
	v_lshrrev_b32_e32 v70, 16, v71
	v_and_b32_e32 v71, 0xffff, v71
	;;#ASMSTART
	v_cvt_f32_f16 v82, v82;
	;;#ASMEND
	v_dual_fmac_f32 v67, v80, v82 :: v_dual_and_b32 v82, 0xffff, v128
	;;#ASMSTART
	v_cvt_f32_f16 v71, v71;
	;;#ASMEND
	;;#ASMSTART
	v_cvt_f32_f16 v70, v70;
	;;#ASMEND
	v_and_b32_e32 v80, 0xffff, v115
	v_and_b32_e32 v81, 0xffff, v114
	;;#ASMSTART
	v_cvt_f32_f16 v80, v80;
	;;#ASMEND
	;;#ASMSTART
	v_cvt_f32_f16 v81, v81;
	;;#ASMEND
	s_delay_alu instid0(VALU_DEP_1)
	v_dual_fmac_f32 v68, v71, v80 :: v_dual_fmac_f32 v69, v70, v81
	ds_load_b64 v[70:71], v52 offset:56
	v_and_b32_e32 v81, 0xffff, v133
	s_waitcnt lgkmcnt(0)
	v_lshrrev_b32_e32 v80, 16, v70
	v_and_b32_e32 v70, 0xffff, v70
	;;#ASMSTART
	v_cvt_f32_f16 v70, v70;
	;;#ASMEND
	;;#ASMSTART
	v_cvt_f32_f16 v80, v80;
	;;#ASMEND
	;;#ASMSTART
	v_cvt_f32_f16 v81, v81;
	;;#ASMEND
	s_delay_alu instid0(VALU_DEP_1)
	v_fmac_f32_e32 v65, v70, v81
	v_lshrrev_b32_e32 v70, 16, v71
	v_and_b32_e32 v71, 0xffff, v71
	;;#ASMSTART
	v_cvt_f32_f16 v82, v82;
	;;#ASMEND
	v_dual_fmac_f32 v67, v80, v82 :: v_dual_and_b32 v82, 0xffff, v132
	;;#ASMSTART
	v_cvt_f32_f16 v71, v71;
	;;#ASMEND
	;;#ASMSTART
	v_cvt_f32_f16 v70, v70;
	;;#ASMEND
	v_and_b32_e32 v80, 0xffff, v119
	v_and_b32_e32 v81, 0xffff, v118
	;;#ASMSTART
	v_cvt_f32_f16 v80, v80;
	;;#ASMEND
	;;#ASMSTART
	v_cvt_f32_f16 v81, v81;
	;;#ASMEND
	s_delay_alu instid0(VALU_DEP_1)
	v_dual_fmac_f32 v68, v71, v80 :: v_dual_fmac_f32 v69, v70, v81
	ds_load_b64 v[70:71], v52 offset:64
	v_and_b32_e32 v81, 0xffff, v145
	s_waitcnt lgkmcnt(0)
	v_lshrrev_b32_e32 v80, 16, v70
	v_and_b32_e32 v70, 0xffff, v70
	;;#ASMSTART
	v_cvt_f32_f16 v70, v70;
	;;#ASMEND
	;;#ASMSTART
	v_cvt_f32_f16 v80, v80;
	;;#ASMEND
	;;#ASMSTART
	v_cvt_f32_f16 v81, v81;
	;;#ASMEND
	s_delay_alu instid0(VALU_DEP_1)
	v_fmac_f32_e32 v65, v70, v81
	v_lshrrev_b32_e32 v70, 16, v71
	v_and_b32_e32 v71, 0xffff, v71
	;;#ASMSTART
	v_cvt_f32_f16 v82, v82;
	;;#ASMEND
	v_dual_fmac_f32 v67, v80, v82 :: v_dual_and_b32 v82, 0xffff, v144
	;;#ASMSTART
	v_cvt_f32_f16 v71, v71;
	;;#ASMEND
	;;#ASMSTART
	v_cvt_f32_f16 v70, v70;
	;;#ASMEND
	v_and_b32_e32 v80, 0xffff, v131
	v_and_b32_e32 v81, 0xffff, v130
	;;#ASMSTART
	v_cvt_f32_f16 v80, v80;
	;;#ASMEND
	;;#ASMSTART
	v_cvt_f32_f16 v81, v81;
	;;#ASMEND
	s_delay_alu instid0(VALU_DEP_1)
	v_dual_fmac_f32 v68, v71, v80 :: v_dual_fmac_f32 v69, v70, v81
	ds_load_b64 v[70:71], v52 offset:72
	v_and_b32_e32 v81, 0xffff, v149
	s_waitcnt lgkmcnt(0)
	v_lshrrev_b32_e32 v80, 16, v70
	v_and_b32_e32 v70, 0xffff, v70
	;;#ASMSTART
	v_cvt_f32_f16 v70, v70;
	;;#ASMEND
	;;#ASMSTART
	v_cvt_f32_f16 v80, v80;
	;;#ASMEND
	;;#ASMSTART
	v_cvt_f32_f16 v81, v81;
	;;#ASMEND
	s_delay_alu instid0(VALU_DEP_1)
	v_fmac_f32_e32 v65, v70, v81
	v_lshrrev_b32_e32 v70, 16, v71
	v_and_b32_e32 v71, 0xffff, v71
	;;#ASMSTART
	v_cvt_f32_f16 v82, v82;
	;;#ASMEND
	v_dual_fmac_f32 v67, v80, v82 :: v_dual_and_b32 v82, 0xffff, v148
	;;#ASMSTART
	v_cvt_f32_f16 v71, v71;
	;;#ASMEND
	;;#ASMSTART
	v_cvt_f32_f16 v70, v70;
	;;#ASMEND
	v_and_b32_e32 v80, 0xffff, v135
	v_and_b32_e32 v81, 0xffff, v134
	;;#ASMSTART
	v_cvt_f32_f16 v80, v80;
	;;#ASMEND
	;;#ASMSTART
	v_cvt_f32_f16 v81, v81;
	;;#ASMEND
	s_delay_alu instid0(VALU_DEP_1)
	v_dual_fmac_f32 v68, v71, v80 :: v_dual_fmac_f32 v69, v70, v81
	ds_load_b64 v[70:71], v52 offset:80
	v_and_b32_e32 v81, 0xffff, v177
	s_waitcnt lgkmcnt(0)
	v_lshrrev_b32_e32 v80, 16, v70
	v_and_b32_e32 v70, 0xffff, v70
	;;#ASMSTART
	v_cvt_f32_f16 v70, v70;
	;;#ASMEND
	;;#ASMSTART
	v_cvt_f32_f16 v80, v80;
	;;#ASMEND
	;;#ASMSTART
	v_cvt_f32_f16 v81, v81;
	;;#ASMEND
	s_delay_alu instid0(VALU_DEP_1)
	v_fmac_f32_e32 v65, v70, v81
	v_lshrrev_b32_e32 v70, 16, v71
	v_and_b32_e32 v71, 0xffff, v71
	;;#ASMSTART
	v_cvt_f32_f16 v82, v82;
	;;#ASMEND
	v_dual_fmac_f32 v67, v80, v82 :: v_dual_and_b32 v82, 0xffff, v163
	;;#ASMSTART
	v_cvt_f32_f16 v71, v71;
	;;#ASMEND
	;;#ASMSTART
	v_cvt_f32_f16 v70, v70;
	;;#ASMEND
	v_and_b32_e32 v80, 0xffff, v147
	v_and_b32_e32 v81, 0xffff, v146
	;;#ASMSTART
	v_cvt_f32_f16 v80, v80;
	;;#ASMEND
	;;#ASMSTART
	v_cvt_f32_f16 v81, v81;
	;;#ASMEND
	s_delay_alu instid0(VALU_DEP_1)
	v_dual_fmac_f32 v68, v71, v80 :: v_dual_fmac_f32 v69, v70, v81
	ds_load_b64 v[70:71], v52 offset:88
	v_and_b32_e32 v81, 0xffff, v182
	s_waitcnt lgkmcnt(0)
	v_lshrrev_b32_e32 v80, 16, v70
	v_and_b32_e32 v70, 0xffff, v70
	;;#ASMSTART
	v_cvt_f32_f16 v70, v70;
	;;#ASMEND
	;;#ASMSTART
	v_cvt_f32_f16 v80, v80;
	;;#ASMEND
	;; [unrolled: 3-line block ×3, first 2 shown]
	s_delay_alu instid0(VALU_DEP_1)
	v_fmac_f32_e32 v65, v70, v81
	v_lshrrev_b32_e32 v70, 16, v71
	v_and_b32_e32 v71, 0xffff, v71
	;;#ASMSTART
	v_cvt_f32_f16 v82, v82;
	;;#ASMEND
	v_dual_fmac_f32 v67, v80, v82 :: v_dual_and_b32 v80, 0xffff, v161
	;;#ASMSTART
	v_cvt_f32_f16 v71, v71;
	;;#ASMEND
	;;#ASMSTART
	v_cvt_f32_f16 v70, v70;
	;;#ASMEND
	v_and_b32_e32 v81, 0xffff, v150
	;;#ASMSTART
	v_cvt_f32_f16 v80, v80;
	;;#ASMEND
	;;#ASMSTART
	v_cvt_f32_f16 v81, v81;
	;;#ASMEND
	s_delay_alu instid0(VALU_DEP_1)
	v_dual_fmac_f32 v68, v71, v80 :: v_dual_fmac_f32 v69, v70, v81
	ds_load_b64 v[70:71], v52 offset:96
	v_and_b32_e32 v81, 0xffff, v181
	v_and_b32_e32 v82, 0xffff, v180
	s_waitcnt lgkmcnt(0)
	v_lshrrev_b32_e32 v80, 16, v70
	v_and_b32_e32 v70, 0xffff, v70
	;;#ASMSTART
	v_cvt_f32_f16 v70, v70;
	;;#ASMEND
	;;#ASMSTART
	v_cvt_f32_f16 v80, v80;
	;;#ASMEND
	;; [unrolled: 3-line block ×3, first 2 shown]
	s_delay_alu instid0(VALU_DEP_1)
	v_fmac_f32_e32 v65, v70, v81
	v_lshrrev_b32_e32 v70, 16, v71
	v_and_b32_e32 v71, 0xffff, v71
	;;#ASMSTART
	v_cvt_f32_f16 v82, v82;
	;;#ASMEND
	v_dual_fmac_f32 v67, v80, v82 :: v_dual_and_b32 v82, 0xffff, v167
	;;#ASMSTART
	v_cvt_f32_f16 v71, v71;
	;;#ASMEND
	;;#ASMSTART
	v_cvt_f32_f16 v70, v70;
	;;#ASMEND
	v_and_b32_e32 v80, 0xffff, v179
	v_and_b32_e32 v81, 0xffff, v178
	;;#ASMSTART
	v_cvt_f32_f16 v80, v80;
	;;#ASMEND
	;;#ASMSTART
	v_cvt_f32_f16 v81, v81;
	;;#ASMEND
	s_delay_alu instid0(VALU_DEP_1)
	v_dual_fmac_f32 v68, v71, v80 :: v_dual_fmac_f32 v69, v70, v81
	ds_load_b64 v[70:71], v52 offset:104
	v_and_b32_e32 v81, 0xffff, v176
	s_waitcnt lgkmcnt(0)
	v_lshrrev_b32_e32 v80, 16, v70
	v_and_b32_e32 v70, 0xffff, v70
	;;#ASMSTART
	v_cvt_f32_f16 v70, v70;
	;;#ASMEND
	;;#ASMSTART
	v_cvt_f32_f16 v80, v80;
	;;#ASMEND
	;; [unrolled: 3-line block ×3, first 2 shown]
	s_delay_alu instid0(VALU_DEP_1)
	v_fmac_f32_e32 v65, v70, v81
	v_lshrrev_b32_e32 v70, 16, v71
	v_and_b32_e32 v71, 0xffff, v71
	;;#ASMSTART
	v_cvt_f32_f16 v82, v82;
	;;#ASMEND
	v_fmac_f32_e32 v67, v80, v82
	;;#ASMSTART
	v_cvt_f32_f16 v71, v71;
	;;#ASMEND
	;;#ASMSTART
	v_cvt_f32_f16 v70, v70;
	;;#ASMEND
	v_and_b32_e32 v80, 0xffff, v166
	v_and_b32_e32 v81, 0xffff, v165
	;;#ASMSTART
	v_cvt_f32_f16 v80, v80;
	;;#ASMEND
	;;#ASMSTART
	v_cvt_f32_f16 v81, v81;
	;;#ASMEND
	s_delay_alu instid0(VALU_DEP_1)
	v_dual_fmac_f32 v68, v71, v80 :: v_dual_fmac_f32 v69, v70, v81
	v_and_b32_e32 v82, 0xffff, v162
	ds_load_b64 v[70:71], v52 offset:112
	v_and_b32_e32 v81, 0xffff, v164
	s_waitcnt lgkmcnt(0)
	v_lshrrev_b32_e32 v80, 16, v70
	v_and_b32_e32 v70, 0xffff, v70
	;;#ASMSTART
	v_cvt_f32_f16 v70, v70;
	;;#ASMEND
	;;#ASMSTART
	v_cvt_f32_f16 v80, v80;
	;;#ASMEND
	;; [unrolled: 3-line block ×3, first 2 shown]
	s_delay_alu instid0(VALU_DEP_1)
	v_fmac_f32_e32 v65, v70, v81
	v_lshrrev_b32_e32 v70, 16, v71
	v_and_b32_e32 v71, 0xffff, v71
	;;#ASMSTART
	v_cvt_f32_f16 v82, v82;
	;;#ASMEND
	v_fmac_f32_e32 v67, v80, v82
	;;#ASMSTART
	v_cvt_f32_f16 v71, v71;
	;;#ASMEND
	;;#ASMSTART
	v_cvt_f32_f16 v70, v70;
	;;#ASMEND
	v_and_b32_e32 v80, 0xffff, v160
	v_and_b32_e32 v81, 0xffff, v151
	;;#ASMSTART
	v_cvt_f32_f16 v80, v80;
	;;#ASMEND
	;;#ASMSTART
	v_cvt_f32_f16 v81, v81;
	;;#ASMEND
	s_delay_alu instid0(VALU_DEP_1)
	v_dual_fmac_f32 v68, v71, v80 :: v_dual_fmac_f32 v69, v70, v81
	ds_load_b64 v[70:71], v52 offset:120
	s_waitcnt lgkmcnt(0)
	v_lshrrev_b32_e32 v80, 16, v70
	v_and_b32_e32 v70, 0xffff, v70
	;;#ASMSTART
	v_cvt_f32_f16 v70, v70;
	;;#ASMEND
	;;#ASMSTART
	v_cvt_f32_f16 v80, v80;
	;;#ASMEND
	;; [unrolled: 3-line block ×4, first 2 shown]
	v_dual_fmac_f32 v65, v70, v66 :: v_dual_and_b32 v66, 0xffff, v71
	v_fmac_f32_e32 v67, v80, v29
	v_lshrrev_b32_e32 v29, 16, v71
	;;#ASMSTART
	v_cvt_f32_f16 v66, v66;
	;;#ASMEND
	;;#ASMSTART
	v_cvt_f32_f16 v29, v29;
	;;#ASMEND
	;; [unrolled: 3-line block ×3, first 2 shown]
	v_fmac_f32_e32 v68, v66, v28
	v_xor_b32_e32 v28, 1, v39
	;;#ASMSTART
	v_cvt_f32_f16 v8, v8;
	;;#ASMEND
	v_fmac_f32_e32 v69, v29, v8
	v_add_f32_e32 v8, v65, v67
	s_delay_alu instid0(VALU_DEP_3) | instskip(NEXT) | instid1(VALU_DEP_2)
	v_cmp_gt_i32_e64 s2, 32, v28
	v_add_f32_e32 v8, v8, v68
	s_delay_alu instid0(VALU_DEP_2) | instskip(NEXT) | instid1(VALU_DEP_2)
	v_cndmask_b32_e64 v28, v39, v28, s2
	v_add_f32_e32 v8, v69, v8
	s_delay_alu instid0(VALU_DEP_2)
	v_lshlrev_b32_e32 v28, 2, v28
	ds_bpermute_b32 v28, v28, v8
	s_and_saveexec_b32 s3, vcc_lo
	s_cbranch_execz .LBB335_9
; %bb.523:                              ;   in Loop: Header=BB335_10 Depth=1
	s_waitcnt lgkmcnt(0)
	v_dual_add_f32 v8, v8, v28 :: v_dual_add_nc_u32 v29, v53, v54
	s_load_b32 s19, s[8:9], 0x0
	v_cmp_lt_i32_e64 s2, v54, v33
	s_delay_alu instid0(VALU_DEP_2) | instskip(NEXT) | instid1(VALU_DEP_1)
	v_cvt_f32_i32_e32 v29, v29
	v_mul_f32_e32 v29, v48, v29
	s_delay_alu instid0(VALU_DEP_1) | instskip(NEXT) | instid1(VALU_DEP_1)
	v_cndmask_b32_e64 v28, 0, v29, s1
	v_dual_max_f32 v29, v50, v50 :: v_dual_fmac_f32 v28, v8, v13
	s_waitcnt lgkmcnt(0)
	s_delay_alu instid0(VALU_DEP_1) | instskip(SKIP_1) | instid1(VALU_DEP_2)
	v_dual_max_f32 v8, v29, v28 :: v_dual_add_nc_u32 v29, s19, v55
	v_cndmask_b32_e64 v28, 0, v28, s2
	v_cndmask_b32_e64 v50, v50, v8, s2
	ds_store_b32 v29, v28
	s_branch .LBB335_9
.LBB335_524:
	s_or_b32 exec_lo, exec_lo, s7
.LBB335_525:
	s_delay_alu instid0(SALU_CYCLE_1)
	s_or_b32 exec_lo, exec_lo, s17
	v_xor_b32_e32 v8, 16, v39
	v_xor_b32_e32 v9, 8, v39
	s_waitcnt lgkmcnt(0)
	s_lshr_b32 s8, s18, 16
	v_dual_max_f32 v13, v50, v50 :: v_dual_and_b32 v18, 31, v31
	v_cmp_lt_i32_e32 vcc_lo, v8, v49
	v_dual_cndmask_b32 v8, v39, v8 :: v_dual_lshlrev_b32 v25, 2, v34
	v_cmp_lt_i32_e32 vcc_lo, v9, v49
	s_delay_alu instid0(VALU_DEP_2) | instskip(SKIP_3) | instid1(VALU_DEP_1)
	v_dual_cndmask_b32 v9, v39, v9 :: v_dual_lshlrev_b32 v20, 2, v8
	ds_bpermute_b32 v8, v20, v50
	s_waitcnt lgkmcnt(0)
	v_dual_max_f32 v8, v8, v8 :: v_dual_lshlrev_b32 v21, 2, v9
	v_max_f32_e32 v8, v13, v8
	v_xor_b32_e32 v13, 4, v39
	s_delay_alu instid0(VALU_DEP_1) | instskip(SKIP_4) | instid1(VALU_DEP_1)
	v_cmp_lt_i32_e32 vcc_lo, v13, v49
	v_cndmask_b32_e32 v13, v39, v13, vcc_lo
	ds_bpermute_b32 v9, v21, v8
	v_lshlrev_b32_e32 v24, 2, v13
	v_xor_b32_e32 v13, 2, v39
	v_cmp_lt_i32_e32 vcc_lo, v13, v49
	v_cndmask_b32_e32 v13, v39, v13, vcc_lo
	v_cmp_eq_u32_e32 vcc_lo, 0, v18
	s_waitcnt lgkmcnt(0)
	v_max_f32_e32 v9, v9, v9
	s_delay_alu instid0(VALU_DEP_3) | instskip(NEXT) | instid1(VALU_DEP_2)
	v_lshlrev_b32_e32 v13, 2, v13
	v_max_f32_e32 v8, v8, v9
	ds_bpermute_b32 v9, v24, v8
	s_waitcnt lgkmcnt(0)
	v_max_f32_e32 v9, v9, v9
	s_delay_alu instid0(VALU_DEP_1)
	v_max_f32_e32 v8, v8, v9
	ds_bpermute_b32 v9, v13, v8
	s_and_saveexec_b32 s1, vcc_lo
	s_cbranch_execz .LBB335_527
; %bb.526:
	s_waitcnt lgkmcnt(0)
	v_dual_max_f32 v9, v9, v9 :: v_dual_max_f32 v8, v8, v8
	s_delay_alu instid0(VALU_DEP_1)
	v_max_f32_e32 v8, v8, v9
	ds_store_b32 v25, v8 offset:256
.LBB335_527:
	s_or_b32 exec_lo, exec_lo, s1
	v_cmp_gt_u32_e64 s1, 4, v18
	v_mov_b32_e32 v8, 0xff7fffff
	v_lshlrev_b32_e32 v28, 2, v18
	s_waitcnt lgkmcnt(0)
	s_barrier
	buffer_gl0_inv
	s_and_saveexec_b32 s2, s1
	s_cbranch_execz .LBB335_529
; %bb.528:
	ds_load_b32 v8, v28 offset:256
.LBB335_529:
	s_or_b32 exec_lo, exec_lo, s2
	s_waitcnt lgkmcnt(0)
	ds_bpermute_b32 v9, v13, v8
	v_xor_b32_e32 v19, 1, v39
	v_max_f32_e32 v8, v8, v8
	s_delay_alu instid0(VALU_DEP_2) | instskip(NEXT) | instid1(VALU_DEP_1)
	v_cmp_lt_i32_e64 s2, v19, v49
	v_cndmask_b32_e64 v19, v39, v19, s2
	s_waitcnt lgkmcnt(0)
	v_max_f32_e32 v9, v9, v9
	s_delay_alu instid0(VALU_DEP_1)
	v_dual_max_f32 v8, v8, v9 :: v_dual_lshlrev_b32 v19, 2, v19
	ds_bpermute_b32 v9, v19, v8
	s_waitcnt lgkmcnt(0)
	v_max_f32_e32 v9, v9, v9
	v_lshlrev_b32_e32 v29, 2, v39
	v_subrev_nc_u32_e32 v39, s13, v35
	s_delay_alu instid0(VALU_DEP_3) | instskip(NEXT) | instid1(VALU_DEP_3)
	v_max_f32_e32 v8, v8, v9
	v_and_b32_e32 v29, 0xffffff80, v29
	s_delay_alu instid0(VALU_DEP_3) | instskip(SKIP_3) | instid1(VALU_DEP_1)
	v_lshl_add_u32 v9, v39, 4, s16
	v_mov_b32_e32 v39, 0
	ds_bpermute_b32 v8, v29, v8
	v_min_i32_e32 v9, v9, v33
	v_subrev_nc_u32_e32 v9, s16, v9
	s_delay_alu instid0(VALU_DEP_1) | instskip(NEXT) | instid1(VALU_DEP_1)
	v_cmp_lt_i32_e64 s2, v31, v9
	s_and_saveexec_b32 s9, s2
	s_cbranch_execz .LBB335_533
; %bb.530:
	s_getpc_b64 s[18:19]
	s_add_u32 s18, s18, llvm.amdgcn.dynlds.offset.table@rel32@lo+4
	s_addc_u32 s19, s19, llvm.amdgcn.dynlds.offset.table@rel32@hi+12
	s_ashr_i32 s7, s6, 31
	v_mov_b32_e32 v39, 0
	s_lshl_b64 s[20:21], s[6:7], 2
	v_mov_b32_e32 v49, v31
	s_add_u32 s18, s20, s18
	s_addc_u32 s19, s21, s19
	s_mov_b32 s7, 0
	s_load_b32 s3, s[18:19], 0x0
	s_waitcnt lgkmcnt(0)
	v_lshl_add_u32 v48, v31, 2, s3
	.p2align	6
.LBB335_531:                            ; =>This Inner Loop Header: Depth=1
	ds_load_b32 v50, v48
	v_add_nc_u32_e32 v49, 0x80, v49
	s_delay_alu instid0(VALU_DEP_1) | instskip(NEXT) | instid1(VALU_DEP_1)
	v_cmp_ge_i32_e64 s3, v49, v9
	s_or_b32 s7, s3, s7
	s_waitcnt lgkmcnt(0)
	v_sub_f32_e32 v50, v50, v8
	s_delay_alu instid0(VALU_DEP_1) | instskip(NEXT) | instid1(VALU_DEP_1)
	v_mul_f32_e32 v50, 0x3fb8aa3b, v50
	v_exp_f32_e32 v50, v50
	ds_store_b32 v48, v50
	v_dual_add_f32 v39, v39, v50 :: v_dual_add_nc_u32 v48, 0x200, v48
	s_and_not1_b32 exec_lo, exec_lo, s7
	s_cbranch_execnz .LBB335_531
; %bb.532:
	s_or_b32 exec_lo, exec_lo, s7
.LBB335_533:
	s_delay_alu instid0(SALU_CYCLE_1)
	s_or_b32 exec_lo, exec_lo, s9
	ds_bpermute_b32 v20, v20, v39
	s_waitcnt lgkmcnt(0)
	v_add_f32_e32 v20, v39, v20
	ds_bpermute_b32 v21, v21, v20
	s_waitcnt lgkmcnt(0)
	v_add_f32_e32 v20, v20, v21
	;; [unrolled: 3-line block ×5, first 2 shown]
	s_and_saveexec_b32 s3, vcc_lo
	s_cbranch_execz .LBB335_535
; %bb.534:
	ds_store_b32 v25, v20 offset:272
.LBB335_535:
	s_or_b32 exec_lo, exec_lo, s3
	s_waitcnt lgkmcnt(0)
	s_barrier
	buffer_gl0_inv
	s_and_saveexec_b32 s3, s1
	s_cbranch_execz .LBB335_537
; %bb.536:
	ds_load_b32 v20, v28 offset:272
.LBB335_537:
	s_or_b32 exec_lo, exec_lo, s3
	s_waitcnt lgkmcnt(0)
	ds_bpermute_b32 v13, v13, v20
	s_waitcnt lgkmcnt(0)
	v_add_f32_e32 v13, v20, v13
	ds_bpermute_b32 v20, v19, v13
	s_waitcnt lgkmcnt(0)
	v_add_f32_e32 v13, v13, v20
	ds_bpermute_b32 v13, v29, v13
	s_and_saveexec_b32 s1, s2
	s_cbranch_execz .LBB335_540
; %bb.538:
	s_waitcnt lgkmcnt(0)
	v_add_f32_e32 v21, 0x358637bd, v13
	s_getpc_b64 s[2:3]
	s_add_u32 s2, s2, llvm.amdgcn.dynlds.offset.table@rel32@lo+4
	s_addc_u32 s3, s3, llvm.amdgcn.dynlds.offset.table@rel32@hi+12
	s_ashr_i32 s7, s6, 31
	s_delay_alu instid0(SALU_CYCLE_1) | instskip(SKIP_4) | instid1(VALU_DEP_1)
	s_lshl_b64 s[18:19], s[6:7], 2
	v_div_scale_f32 v20, null, v21, v21, 1.0
	s_add_u32 s2, s18, s2
	s_addc_u32 s3, s19, s3
	s_load_b32 s2, s[2:3], 0x0
	v_rcp_f32_e32 v24, v20
	s_waitcnt_depctr 0xfff
	v_fma_f32 v25, -v20, v24, 1.0
	s_delay_alu instid0(VALU_DEP_1) | instskip(SKIP_1) | instid1(VALU_DEP_1)
	v_fmac_f32_e32 v24, v25, v24
	v_div_scale_f32 v28, vcc_lo, 1.0, v21, 1.0
	v_mul_f32_e32 v25, v28, v24
	s_delay_alu instid0(VALU_DEP_1) | instskip(NEXT) | instid1(VALU_DEP_1)
	v_fma_f32 v29, -v20, v25, v28
	v_fmac_f32_e32 v25, v29, v24
	s_delay_alu instid0(VALU_DEP_1) | instskip(NEXT) | instid1(VALU_DEP_1)
	v_fma_f32 v20, -v20, v25, v28
	v_div_fmas_f32 v24, v20, v24, v25
	s_waitcnt lgkmcnt(0)
	v_lshl_add_u32 v20, v31, 2, s2
	s_mov_b32 s2, 0
	s_delay_alu instid0(VALU_DEP_2)
	v_div_fixup_f32 v21, v24, v21, 1.0
	v_mov_b32_e32 v24, v31
.LBB335_539:                            ; =>This Inner Loop Header: Depth=1
	ds_load_b32 v25, v20
	s_waitcnt lgkmcnt(0)
	v_dual_mul_f32 v25, v21, v25 :: v_dual_add_nc_u32 v24, 0x80, v24
	s_delay_alu instid0(VALU_DEP_1) | instskip(SKIP_3) | instid1(SALU_CYCLE_1)
	v_cmp_ge_i32_e32 vcc_lo, v24, v9
	ds_store_b32 v20, v25
	v_add_nc_u32_e32 v20, 0x200, v20
	s_or_b32 s2, vcc_lo, s2
	s_and_not1_b32 exec_lo, exec_lo, s2
	s_cbranch_execnz .LBB335_539
.LBB335_540:
	s_or_b32 exec_lo, exec_lo, s1
	v_cmp_ne_u16_e64 s1, s8, 0
	s_waitcnt lgkmcnt(0)
	s_barrier
	buffer_gl0_inv
	s_cmp_lg_u32 s1, 0
	s_addc_u32 s1, s5, 0
	s_mov_b32 s5, exec_lo
	s_mul_i32 s2, s1, s10
	s_delay_alu instid0(SALU_CYCLE_1)
	s_mul_i32 s2, s2, s15
	v_cmpx_eq_u32_e32 0, v31
	s_cbranch_execz .LBB335_542
; %bb.541:
	s_mul_i32 s8, s1, s12
	s_ashr_i32 s15, s14, 31
	s_ashr_i32 s9, s8, 31
	;; [unrolled: 1-line block ×3, first 2 shown]
	s_lshl_b64 s[8:9], s[8:9], 2
	s_lshl_b64 s[12:13], s[14:15], 2
	;; [unrolled: 1-line block ×3, first 2 shown]
	s_add_u32 s3, s12, s8
	s_addc_u32 s7, s13, s9
	s_add_u32 s3, s3, s18
	s_addc_u32 s7, s7, s19
	v_add_co_u32 v2, vcc_lo, s3, v2
	v_add_co_ci_u32_e32 v3, vcc_lo, s7, v3, vcc_lo
	v_add_co_u32 v0, vcc_lo, s3, v0
	v_add_co_ci_u32_e32 v1, vcc_lo, s7, v1, vcc_lo
	flat_store_b32 v[2:3], v8
	flat_store_b32 v[0:1], v13
.LBB335_542:
	s_or_b32 exec_lo, exec_lo, s5
                                        ; implicit-def: $sgpr5
	s_and_saveexec_b32 s3, s0
	s_delay_alu instid0(SALU_CYCLE_1)
	s_xor_b32 s0, exec_lo, s3
; %bb.543:
	s_ashr_i32 s7, s6, 31
	s_mov_b32 s5, 0
                                        ; implicit-def: $vgpr33
                                        ; implicit-def: $vgpr36
                                        ; implicit-def: $vgpr35
                                        ; implicit-def: $vgpr6
                                        ; implicit-def: $vgpr10
                                        ; implicit-def: $vgpr11
                                        ; implicit-def: $vgpr14
                                        ; implicit-def: $vgpr15
                                        ; implicit-def: $vgpr22
                                        ; implicit-def: $vgpr26_vgpr27
                                        ; implicit-def: $vgpr37
                                        ; implicit-def: $vgpr38
                                        ; implicit-def: $vgpr16_vgpr17
                                        ; implicit-def: $vgpr23
                                        ; implicit-def: $vgpr12
; %bb.544:
	s_or_saveexec_b32 s3, s0
	v_dual_mov_b32 v0, s6 :: v_dual_mov_b32 v25, s5
	v_dual_mov_b32 v20, s5 :: v_dual_mov_b32 v1, s7
	;; [unrolled: 1-line block ×5, first 2 shown]
	s_xor_b32 exec_lo, exec_lo, s3
	s_cbranch_execz .LBB335_1076
; %bb.545:
	s_getpc_b64 s[8:9]
	s_add_u32 s8, s8, llvm.amdgcn.dynlds.offset.table@rel32@lo+4
	s_addc_u32 s9, s9, llvm.amdgcn.dynlds.offset.table@rel32@hi+12
	s_ashr_i32 s7, s6, 31
	v_add_co_u32 v2, vcc_lo, v10, v37
	s_lshl_b64 s[12:13], s[6:7], 2
	v_dual_mov_b32 v48, 0 :: v_dual_and_b32 v9, 0xf8, v12
	s_add_u32 s8, s12, s8
	s_addc_u32 s9, s13, s9
	v_add_co_ci_u32_e32 v3, vcc_lo, v11, v38, vcc_lo
	s_load_b32 s0, s[8:9], 0x0
	v_lshlrev_b64 v[7:8], 2, v[6:7]
	v_add_co_u32 v2, vcc_lo, v2, v9
	v_dual_mov_b32 v28, 0 :: v_dual_lshlrev_b32 v9, 5, v32
	v_add_co_ci_u32_e32 v3, vcc_lo, 0, v3, vcc_lo
	s_delay_alu instid0(VALU_DEP_4) | instskip(SKIP_3) | instid1(VALU_DEP_4)
	v_add_co_u32 v7, vcc_lo, v16, v7
	v_dual_mov_b32 v1, 0 :: v_dual_and_b32 v0, 8, v12
	v_add_co_ci_u32_e32 v8, vcc_lo, v17, v8, vcc_lo
	v_lshl_or_b32 v9, v34, 6, v9
	v_add_co_u32 v7, vcc_lo, v14, v7
	v_dual_mov_b32 v37, v33 :: v_dual_add_nc_u32 v36, -1, v36
	s_delay_alu instid0(VALU_DEP_4)
	v_add_co_ci_u32_e32 v8, vcc_lo, v15, v8, vcc_lo
	v_add3_u32 v15, s16, v23, v0
	s_waitcnt lgkmcnt(0)
	v_dual_mov_b32 v21, 0 :: v_dual_add_nc_u32 v16, s0, v9
	v_dual_mov_b32 v39, 0 :: v_dual_mov_b32 v24, 0
	v_dual_mov_b32 v29, 0 :: v_dual_mov_b32 v20, 0
	v_mov_b32_e32 v25, 0
	s_mov_b32 s8, -1
	s_mov_b32 s9, 0xffffff
	s_mov_b32 s5, 0
	s_branch .LBB335_547
.LBB335_546:                            ;   in Loop: Header=BB335_547 Depth=1
	s_or_b32 exec_lo, exec_lo, s0
	v_dual_add_f32 v11, v65, v66 :: v_dual_add_f32 v38, v71, v80
	v_add_f32_e32 v17, v67, v68
	v_add_co_u32 v7, s0, v7, 16
	s_delay_alu instid0(VALU_DEP_3)
	v_dual_add_f32 v21, v21, v11 :: v_dual_add_nc_u32 v6, 4, v6
	;;#ASMSTART
	v_pk_mul_f16 v11, v64, v12;

	;;#ASMEND
	;;#ASMSTART
	v_pk_mul_f16 v10, v55, v10;

	;;#ASMEND
	;; [unrolled: 4-line block ×4, first 2 shown]
	;;#ASMSTART
	v_pk_add_f16 v10, v11, v10;

	;;#ASMEND
	;;#ASMSTART
	v_pk_add_f16 v0, v10, v0;

	;;#ASMEND
	v_add_f32_e32 v10, v81, v82
	v_dual_add_f32 v23, v69, v70 :: v_dual_add_f32 v48, v48, v17
	;;#ASMSTART
	v_pk_add_f16 v0, v0, v9;

	;;#ASMEND
	s_delay_alu instid0(VALU_DEP_2)
	v_dual_add_f32 v28, v28, v10 :: v_dual_and_b32 v9, 0xffff, v0
	v_lshrrev_b32_e32 v0, 16, v0
	;;#ASMSTART
	v_cvt_f32_f16 v9, v9;
	;;#ASMEND
	;;#ASMSTART
	v_cvt_f32_f16 v0, v0;
	;;#ASMEND
	v_dual_add_f32 v39, v39, v23 :: v_dual_add_f32 v12, v13, v14
	v_add_f32_e32 v11, v83, v84
	v_dual_add_f32 v0, v9, v0 :: v_dual_add_nc_u32 v15, 64, v15
	v_cmp_ge_i32_e32 vcc_lo, v6, v35
	s_delay_alu instid0(VALU_DEP_4) | instskip(NEXT) | instid1(VALU_DEP_3)
	v_dual_add_f32 v29, v29, v38 :: v_dual_add_f32 v24, v24, v12
	v_dual_add_f32 v25, v25, v11 :: v_dual_add_f32 v20, v20, v0
	v_add_co_ci_u32_e64 v8, s0, 0, v8, s0
	v_add_nc_u32_e32 v16, 0x100, v16
	s_or_b32 s5, vcc_lo, s5
	s_delay_alu instid0(SALU_CYCLE_1)
	s_and_not1_b32 exec_lo, exec_lo, s5
	s_cbranch_execz .LBB335_1075
.LBB335_547:                            ; =>This Inner Loop Header: Depth=1
	flat_load_b32 v0, v[7:8]
	ds_load_2addr_b64 v[10:13], v16 offset1:1
	ds_load_2addr_b64 v[49:52], v16 offset0:2 offset1:3
	s_mov_b32 s0, exec_lo
	s_waitcnt lgkmcnt(1)
	;;#ASMSTART
	v_cvt_f16_f32 v53, v10;

	;;#ASMEND
	;;#ASMSTART
	v_cvt_f16_f32 v54, v11;

	;;#ASMEND
	;; [unrolled: 4-line block ×4, first 2 shown]
	s_waitcnt lgkmcnt(0)
	;;#ASMSTART
	v_cvt_f16_f32 v67, v49;

	;;#ASMEND
	;;#ASMSTART
	v_cvt_f16_f32 v65, v50;

	;;#ASMEND
	;; [unrolled: 4-line block ×4, first 2 shown]
	v_mov_b32_e32 v23, 0
	s_waitcnt vmcnt(0)
	v_mad_i64_i32 v[9:10], null, v0, v22, v[2:3]
	flat_load_b64 v[11:12], v[9:10]
	flat_load_b32 v17, v[26:27]
	s_waitcnt vmcnt(1) lgkmcnt(1)
	v_and_b32_e32 v0, 0xff, v11
	s_delay_alu instid0(VALU_DEP_1)
	v_cmpx_ne_u16_e32 0, v0
	s_cbranch_execz .LBB335_555
; %bb.548:                              ;   in Loop: Header=BB335_547 Depth=1
	v_bfrev_b32_e32 v23, 1
	s_mov_b32 s10, exec_lo
	v_cmpx_ne_u16_e32 0x80, v0
	s_cbranch_execz .LBB335_554
; %bb.549:                              ;   in Loop: Header=BB335_547 Depth=1
	v_and_b32_e32 v13, 0x7f, v11
	v_mov_b32_e32 v23, 0x7fc02000
	s_mov_b32 s12, exec_lo
	s_delay_alu instid0(VALU_DEP_2)
	v_cmpx_ne_u32_e32 0x7f, v13
	s_cbranch_execz .LBB335_553
; %bb.550:                              ;   in Loop: Header=BB335_547 Depth=1
	v_lshrrev_b32_e32 v0, 3, v13
	v_cmp_gt_u32_e32 vcc_lo, 8, v13
	v_dual_mov_b32 v14, v12 :: v_dual_mov_b32 v13, v11
	s_and_saveexec_b32 s13, vcc_lo
; %bb.551:                              ;   in Loop: Header=BB335_547 Depth=1
	v_and_b32_e32 v0, 7, v11
	s_delay_alu instid0(VALU_DEP_1) | instskip(NEXT) | instid1(VALU_DEP_1)
	v_clz_i32_u32_e32 v0, v0
	v_min_u32_e32 v0, 32, v0
	s_delay_alu instid0(VALU_DEP_1) | instskip(SKIP_1) | instid1(VALU_DEP_2)
	v_subrev_nc_u32_e32 v13, 28, v0
	v_sub_nc_u32_e32 v0, 29, v0
	v_lshlrev_b64 v[13:14], v13, v[11:12]
; %bb.552:                              ;   in Loop: Header=BB335_547 Depth=1
	s_or_b32 exec_lo, exec_lo, s13
	v_lshlrev_b32_e32 v14, 8, v11
	s_delay_alu instid0(VALU_DEP_3) | instskip(NEXT) | instid1(VALU_DEP_3)
	v_lshl_add_u32 v0, v0, 10, 0x2000
	v_lshlrev_b32_e32 v13, 7, v13
	s_delay_alu instid0(VALU_DEP_2) | instskip(NEXT) | instid1(VALU_DEP_1)
	v_and_or_b32 v0, 0x8000, v14, v0
	v_and_or_b32 v0, 0x380, v13, v0
	s_delay_alu instid0(VALU_DEP_1)
	v_cvt_f32_f16_e32 v23, v0
.LBB335_553:                            ;   in Loop: Header=BB335_547 Depth=1
	s_or_b32 exec_lo, exec_lo, s12
.LBB335_554:                            ;   in Loop: Header=BB335_547 Depth=1
	s_delay_alu instid0(SALU_CYCLE_1)
	s_or_b32 exec_lo, exec_lo, s10
.LBB335_555:                            ;   in Loop: Header=BB335_547 Depth=1
	s_delay_alu instid0(SALU_CYCLE_1) | instskip(SKIP_3) | instid1(VALU_DEP_2)
	s_or_b32 exec_lo, exec_lo, s0
	v_lshrrev_b16 v0, 8, v11
	v_dual_mov_b32 v49, 0 :: v_dual_mov_b32 v38, 0
	s_mov_b32 s0, exec_lo
	v_cmpx_ne_u16_e32 0, v0
	s_cbranch_execz .LBB335_563
; %bb.556:                              ;   in Loop: Header=BB335_547 Depth=1
	v_bfrev_b32_e32 v38, 1
	s_mov_b32 s10, exec_lo
	v_cmpx_ne_u16_e32 0x80, v0
	s_cbranch_execz .LBB335_562
; %bb.557:                              ;   in Loop: Header=BB335_547 Depth=1
	v_and_b32_e32 v13, 0xffff, v0
	v_mov_b32_e32 v38, 0x7fc02000
	s_mov_b32 s12, exec_lo
	s_delay_alu instid0(VALU_DEP_2) | instskip(NEXT) | instid1(VALU_DEP_1)
	v_and_b32_e32 v50, 0x7f, v13
	v_cmpx_ne_u32_e32 0x7f, v50
	s_cbranch_execz .LBB335_561
; %bb.558:                              ;   in Loop: Header=BB335_547 Depth=1
	v_and_b32_e32 v0, 7, v13
	v_lshrrev_b32_e32 v14, 3, v50
	s_mov_b32 s13, exec_lo
	v_cmpx_gt_u32_e32 8, v50
; %bb.559:                              ;   in Loop: Header=BB335_547 Depth=1
	s_delay_alu instid0(VALU_DEP_3) | instskip(NEXT) | instid1(VALU_DEP_1)
	v_clz_i32_u32_e32 v14, v0
	v_min_u32_e32 v14, 32, v14
	s_delay_alu instid0(VALU_DEP_1) | instskip(SKIP_1) | instid1(VALU_DEP_2)
	v_subrev_nc_u32_e32 v38, 28, v14
	v_sub_nc_u32_e32 v14, 29, v14
	v_lshlrev_b64 v[50:51], v38, v[0:1]
	s_delay_alu instid0(VALU_DEP_1)
	v_and_b32_e32 v0, 7, v50
; %bb.560:                              ;   in Loop: Header=BB335_547 Depth=1
	s_or_b32 exec_lo, exec_lo, s13
	v_lshlrev_b32_e32 v13, 8, v13
	v_lshl_add_u32 v14, v14, 10, 0x2000
	s_delay_alu instid0(VALU_DEP_1) | instskip(NEXT) | instid1(VALU_DEP_1)
	v_and_or_b32 v13, 0x8000, v13, v14
	v_lshl_or_b32 v0, v0, 7, v13
	s_delay_alu instid0(VALU_DEP_1)
	v_cvt_f32_f16_e32 v38, v0
.LBB335_561:                            ;   in Loop: Header=BB335_547 Depth=1
	s_or_b32 exec_lo, exec_lo, s12
.LBB335_562:                            ;   in Loop: Header=BB335_547 Depth=1
	s_delay_alu instid0(SALU_CYCLE_1)
	s_or_b32 exec_lo, exec_lo, s10
.LBB335_563:                            ;   in Loop: Header=BB335_547 Depth=1
	s_delay_alu instid0(SALU_CYCLE_1) | instskip(SKIP_2) | instid1(VALU_DEP_1)
	s_or_b32 exec_lo, exec_lo, s0
	v_lshrrev_b32_e32 v13, 16, v11
	s_mov_b32 s0, exec_lo
	v_and_b32_e32 v0, 0xff, v13
	s_delay_alu instid0(VALU_DEP_1)
	v_cmpx_ne_u16_e32 0, v0
	s_cbranch_execz .LBB335_571
; %bb.564:                              ;   in Loop: Header=BB335_547 Depth=1
	v_bfrev_b32_e32 v49, 1
	s_mov_b32 s10, exec_lo
	v_cmpx_ne_u16_e32 0x80, v0
	s_cbranch_execz .LBB335_570
; %bb.565:                              ;   in Loop: Header=BB335_547 Depth=1
	v_bfe_u32 v50, v11, 16, 7
	v_mov_b32_e32 v49, 0x7fc02000
	s_mov_b32 s12, exec_lo
	s_delay_alu instid0(VALU_DEP_2)
	v_cmpx_ne_u32_e32 0x7f, v50
	s_cbranch_execz .LBB335_569
; %bb.566:                              ;   in Loop: Header=BB335_547 Depth=1
	v_and_b32_e32 v0, 7, v13
	v_lshrrev_b32_e32 v14, 3, v50
	s_mov_b32 s13, exec_lo
	v_cmpx_gt_u32_e32 8, v50
; %bb.567:                              ;   in Loop: Header=BB335_547 Depth=1
	s_delay_alu instid0(VALU_DEP_3) | instskip(NEXT) | instid1(VALU_DEP_1)
	v_clz_i32_u32_e32 v14, v0
	v_min_u32_e32 v14, 32, v14
	s_delay_alu instid0(VALU_DEP_1) | instskip(SKIP_1) | instid1(VALU_DEP_2)
	v_subrev_nc_u32_e32 v49, 28, v14
	v_sub_nc_u32_e32 v14, 29, v14
	v_lshlrev_b64 v[49:50], v49, v[0:1]
	s_delay_alu instid0(VALU_DEP_1)
	v_and_b32_e32 v0, 7, v49
; %bb.568:                              ;   in Loop: Header=BB335_547 Depth=1
	s_or_b32 exec_lo, exec_lo, s13
	v_lshlrev_b32_e32 v13, 8, v13
	v_lshl_add_u32 v14, v14, 10, 0x2000
	s_delay_alu instid0(VALU_DEP_1) | instskip(NEXT) | instid1(VALU_DEP_1)
	v_and_or_b32 v13, 0x8000, v13, v14
	v_lshl_or_b32 v0, v0, 7, v13
	s_delay_alu instid0(VALU_DEP_1)
	v_cvt_f32_f16_e32 v49, v0
.LBB335_569:                            ;   in Loop: Header=BB335_547 Depth=1
	s_or_b32 exec_lo, exec_lo, s12
.LBB335_570:                            ;   in Loop: Header=BB335_547 Depth=1
	s_delay_alu instid0(SALU_CYCLE_1)
	s_or_b32 exec_lo, exec_lo, s10
.LBB335_571:                            ;   in Loop: Header=BB335_547 Depth=1
	s_delay_alu instid0(SALU_CYCLE_1)
	s_or_b32 exec_lo, exec_lo, s0
	v_dual_mov_b32 v13, 0 :: v_dual_mov_b32 v50, 0
	s_mov_b32 s0, exec_lo
	v_cmpx_lt_u32_e32 0xffffff, v11
	s_cbranch_execz .LBB335_579
; %bb.572:                              ;   in Loop: Header=BB335_547 Depth=1
	v_lshrrev_b32_e32 v14, 24, v11
	v_bfrev_b32_e32 v50, 1
	s_mov_b32 s10, exec_lo
	s_delay_alu instid0(VALU_DEP_2)
	v_cmpx_ne_u32_e32 0x80, v14
	s_cbranch_execz .LBB335_578
; %bb.573:                              ;   in Loop: Header=BB335_547 Depth=1
	v_and_b32_e32 v51, 0x7f, v14
	v_mov_b32_e32 v50, 0x7fc02000
	s_mov_b32 s12, exec_lo
	s_delay_alu instid0(VALU_DEP_2)
	v_cmpx_ne_u32_e32 0x7f, v51
	s_cbranch_execz .LBB335_577
; %bb.574:                              ;   in Loop: Header=BB335_547 Depth=1
	v_and_b32_e32 v0, 7, v14
	v_lshrrev_b32_e32 v50, 3, v51
	s_mov_b32 s13, exec_lo
	v_cmpx_gt_u32_e32 8, v51
; %bb.575:                              ;   in Loop: Header=BB335_547 Depth=1
	s_delay_alu instid0(VALU_DEP_3) | instskip(NEXT) | instid1(VALU_DEP_1)
	v_clz_i32_u32_e32 v50, v0
	v_min_u32_e32 v50, 32, v50
	s_delay_alu instid0(VALU_DEP_1) | instskip(SKIP_1) | instid1(VALU_DEP_2)
	v_subrev_nc_u32_e32 v51, 28, v50
	v_sub_nc_u32_e32 v50, 29, v50
	v_lshlrev_b64 v[51:52], v51, v[0:1]
	s_delay_alu instid0(VALU_DEP_1)
	v_and_b32_e32 v0, 7, v51
; %bb.576:                              ;   in Loop: Header=BB335_547 Depth=1
	s_or_b32 exec_lo, exec_lo, s13
	v_lshlrev_b32_e32 v14, 8, v14
	v_lshl_add_u32 v50, v50, 10, 0x2000
	s_delay_alu instid0(VALU_DEP_1) | instskip(NEXT) | instid1(VALU_DEP_1)
	v_and_or_b32 v14, 0x8000, v14, v50
	v_lshl_or_b32 v0, v0, 7, v14
	s_delay_alu instid0(VALU_DEP_1)
	v_cvt_f32_f16_e32 v50, v0
.LBB335_577:                            ;   in Loop: Header=BB335_547 Depth=1
	s_or_b32 exec_lo, exec_lo, s12
.LBB335_578:                            ;   in Loop: Header=BB335_547 Depth=1
	s_delay_alu instid0(SALU_CYCLE_1)
	s_or_b32 exec_lo, exec_lo, s10
.LBB335_579:                            ;   in Loop: Header=BB335_547 Depth=1
	s_delay_alu instid0(SALU_CYCLE_1) | instskip(SKIP_3) | instid1(VALU_DEP_2)
	s_or_b32 exec_lo, exec_lo, s0
	v_and_b32_e32 v14, 0xff, v12
	v_mov_b32_e32 v0, v12
	s_mov_b32 s0, exec_lo
	v_cmpx_ne_u16_e32 0, v14
	s_cbranch_execz .LBB335_587
; %bb.580:                              ;   in Loop: Header=BB335_547 Depth=1
	v_bfrev_b32_e32 v13, 1
	s_mov_b32 s10, exec_lo
	v_cmpx_ne_u16_e32 0x80, v14
	s_cbranch_execz .LBB335_586
; %bb.581:                              ;   in Loop: Header=BB335_547 Depth=1
	v_and_b32_e32 v14, 0x7f, v12
	v_mov_b32_e32 v13, 0x7fc02000
	s_mov_b32 s12, exec_lo
	s_delay_alu instid0(VALU_DEP_2)
	v_cmpx_ne_u32_e32 0x7f, v14
	s_cbranch_execz .LBB335_585
; %bb.582:                              ;   in Loop: Header=BB335_547 Depth=1
	v_lshrrev_b32_e32 v51, 3, v14
	v_cmp_gt_u32_e32 vcc_lo, 8, v14
	v_dual_mov_b32 v14, v1 :: v_dual_mov_b32 v13, v0
	s_and_saveexec_b32 s13, vcc_lo
; %bb.583:                              ;   in Loop: Header=BB335_547 Depth=1
	v_and_b32_e32 v13, 7, v12
	s_delay_alu instid0(VALU_DEP_1) | instskip(NEXT) | instid1(VALU_DEP_1)
	v_clz_i32_u32_e32 v13, v13
	v_min_u32_e32 v51, 32, v13
	s_delay_alu instid0(VALU_DEP_1) | instskip(SKIP_1) | instid1(VALU_DEP_2)
	v_subrev_nc_u32_e32 v13, 28, v51
	v_sub_nc_u32_e32 v51, 29, v51
	v_lshlrev_b64 v[13:14], v13, v[0:1]
; %bb.584:                              ;   in Loop: Header=BB335_547 Depth=1
	s_or_b32 exec_lo, exec_lo, s13
	v_lshlrev_b32_e32 v14, 8, v12
	s_delay_alu instid0(VALU_DEP_3) | instskip(NEXT) | instid1(VALU_DEP_3)
	v_lshl_add_u32 v51, v51, 10, 0x2000
	v_lshlrev_b32_e32 v13, 7, v13
	s_delay_alu instid0(VALU_DEP_2) | instskip(NEXT) | instid1(VALU_DEP_1)
	v_and_or_b32 v14, 0x8000, v14, v51
	v_and_or_b32 v13, 0x380, v13, v14
	s_delay_alu instid0(VALU_DEP_1)
	v_cvt_f32_f16_e32 v13, v13
.LBB335_585:                            ;   in Loop: Header=BB335_547 Depth=1
	s_or_b32 exec_lo, exec_lo, s12
.LBB335_586:                            ;   in Loop: Header=BB335_547 Depth=1
	s_delay_alu instid0(SALU_CYCLE_1)
	s_or_b32 exec_lo, exec_lo, s10
.LBB335_587:                            ;   in Loop: Header=BB335_547 Depth=1
	s_delay_alu instid0(SALU_CYCLE_1) | instskip(SKIP_3) | instid1(VALU_DEP_2)
	s_or_b32 exec_lo, exec_lo, s0
	v_lshrrev_b16 v0, 8, v0
	v_dual_mov_b32 v14, 0 :: v_dual_mov_b32 v51, 0
	s_mov_b32 s0, exec_lo
	v_cmpx_ne_u16_e32 0, v0
	s_cbranch_execz .LBB335_595
; %bb.588:                              ;   in Loop: Header=BB335_547 Depth=1
	v_bfrev_b32_e32 v51, 1
	s_mov_b32 s10, exec_lo
	v_cmpx_ne_u16_e32 0x80, v0
	s_cbranch_execz .LBB335_594
; %bb.589:                              ;   in Loop: Header=BB335_547 Depth=1
	v_and_b32_e32 v52, 0xffff, v0
	v_mov_b32_e32 v51, 0x7fc02000
	s_mov_b32 s12, exec_lo
	s_delay_alu instid0(VALU_DEP_2) | instskip(NEXT) | instid1(VALU_DEP_1)
	v_and_b32_e32 v69, 0x7f, v52
	v_cmpx_ne_u32_e32 0x7f, v69
	s_cbranch_execz .LBB335_593
; %bb.590:                              ;   in Loop: Header=BB335_547 Depth=1
	v_and_b32_e32 v0, 7, v52
	v_lshrrev_b32_e32 v51, 3, v69
	s_mov_b32 s13, exec_lo
	v_cmpx_gt_u32_e32 8, v69
; %bb.591:                              ;   in Loop: Header=BB335_547 Depth=1
	s_delay_alu instid0(VALU_DEP_3) | instskip(NEXT) | instid1(VALU_DEP_1)
	v_clz_i32_u32_e32 v51, v0
	v_min_u32_e32 v51, 32, v51
	s_delay_alu instid0(VALU_DEP_1) | instskip(SKIP_1) | instid1(VALU_DEP_2)
	v_subrev_nc_u32_e32 v69, 28, v51
	v_sub_nc_u32_e32 v51, 29, v51
	v_lshlrev_b64 v[69:70], v69, v[0:1]
	s_delay_alu instid0(VALU_DEP_1)
	v_and_b32_e32 v0, 7, v69
; %bb.592:                              ;   in Loop: Header=BB335_547 Depth=1
	s_or_b32 exec_lo, exec_lo, s13
	v_lshlrev_b32_e32 v52, 8, v52
	v_lshl_add_u32 v51, v51, 10, 0x2000
	s_delay_alu instid0(VALU_DEP_1) | instskip(NEXT) | instid1(VALU_DEP_1)
	v_and_or_b32 v51, 0x8000, v52, v51
	v_lshl_or_b32 v0, v0, 7, v51
	s_delay_alu instid0(VALU_DEP_1)
	v_cvt_f32_f16_e32 v51, v0
.LBB335_593:                            ;   in Loop: Header=BB335_547 Depth=1
	s_or_b32 exec_lo, exec_lo, s12
.LBB335_594:                            ;   in Loop: Header=BB335_547 Depth=1
	s_delay_alu instid0(SALU_CYCLE_1)
	s_or_b32 exec_lo, exec_lo, s10
.LBB335_595:                            ;   in Loop: Header=BB335_547 Depth=1
	s_delay_alu instid0(SALU_CYCLE_1) | instskip(SKIP_2) | instid1(VALU_DEP_1)
	s_or_b32 exec_lo, exec_lo, s0
	v_lshrrev_b32_e32 v52, 16, v12
	s_mov_b32 s0, exec_lo
	v_and_b32_e32 v0, 0xff, v52
	s_delay_alu instid0(VALU_DEP_1)
	v_cmpx_ne_u16_e32 0, v0
	s_cbranch_execz .LBB335_603
; %bb.596:                              ;   in Loop: Header=BB335_547 Depth=1
	v_bfrev_b32_e32 v14, 1
	s_mov_b32 s10, exec_lo
	v_cmpx_ne_u16_e32 0x80, v0
	s_cbranch_execz .LBB335_602
; %bb.597:                              ;   in Loop: Header=BB335_547 Depth=1
	v_bfe_u32 v69, v12, 16, 7
	v_mov_b32_e32 v14, 0x7fc02000
	s_mov_b32 s12, exec_lo
	s_delay_alu instid0(VALU_DEP_2)
	v_cmpx_ne_u32_e32 0x7f, v69
	s_cbranch_execz .LBB335_601
; %bb.598:                              ;   in Loop: Header=BB335_547 Depth=1
	v_and_b32_e32 v0, 7, v52
	v_lshrrev_b32_e32 v14, 3, v69
	s_mov_b32 s13, exec_lo
	v_cmpx_gt_u32_e32 8, v69
; %bb.599:                              ;   in Loop: Header=BB335_547 Depth=1
	s_delay_alu instid0(VALU_DEP_3) | instskip(NEXT) | instid1(VALU_DEP_1)
	v_clz_i32_u32_e32 v14, v0
	v_min_u32_e32 v14, 32, v14
	s_delay_alu instid0(VALU_DEP_1) | instskip(SKIP_1) | instid1(VALU_DEP_2)
	v_subrev_nc_u32_e32 v69, 28, v14
	v_sub_nc_u32_e32 v14, 29, v14
	v_lshlrev_b64 v[69:70], v69, v[0:1]
	s_delay_alu instid0(VALU_DEP_1)
	v_and_b32_e32 v0, 7, v69
; %bb.600:                              ;   in Loop: Header=BB335_547 Depth=1
	s_or_b32 exec_lo, exec_lo, s13
	v_lshlrev_b32_e32 v52, 8, v52
	v_lshl_add_u32 v14, v14, 10, 0x2000
	s_delay_alu instid0(VALU_DEP_1) | instskip(NEXT) | instid1(VALU_DEP_1)
	v_and_or_b32 v14, 0x8000, v52, v14
	v_lshl_or_b32 v0, v0, 7, v14
	s_delay_alu instid0(VALU_DEP_1)
	v_cvt_f32_f16_e32 v14, v0
.LBB335_601:                            ;   in Loop: Header=BB335_547 Depth=1
	s_or_b32 exec_lo, exec_lo, s12
.LBB335_602:                            ;   in Loop: Header=BB335_547 Depth=1
	s_delay_alu instid0(SALU_CYCLE_1)
	s_or_b32 exec_lo, exec_lo, s10
.LBB335_603:                            ;   in Loop: Header=BB335_547 Depth=1
	s_delay_alu instid0(SALU_CYCLE_1)
	s_or_b32 exec_lo, exec_lo, s0
	v_mov_b32_e32 v0, 0
	s_mov_b32 s0, exec_lo
	v_cmpx_lt_u64_e64 s[8:9], v[11:12]
	s_cbranch_execz .LBB335_611
; %bb.604:                              ;   in Loop: Header=BB335_547 Depth=1
	v_lshrrev_b32_e32 v11, 24, v12
	v_bfrev_b32_e32 v0, 1
	s_mov_b32 s10, exec_lo
	s_delay_alu instid0(VALU_DEP_2)
	v_cmpx_ne_u32_e32 0x80, v11
	s_cbranch_execz .LBB335_610
; %bb.605:                              ;   in Loop: Header=BB335_547 Depth=1
	v_and_b32_e32 v52, 0x7f, v11
	v_mov_b32_e32 v0, 0x7fc02000
	s_mov_b32 s12, exec_lo
	s_delay_alu instid0(VALU_DEP_2)
	v_cmpx_ne_u32_e32 0x7f, v52
	s_cbranch_execz .LBB335_609
; %bb.606:                              ;   in Loop: Header=BB335_547 Depth=1
	v_and_b32_e32 v0, 7, v11
	v_lshrrev_b32_e32 v12, 3, v52
	s_mov_b32 s13, exec_lo
	v_cmpx_gt_u32_e32 8, v52
; %bb.607:                              ;   in Loop: Header=BB335_547 Depth=1
	s_delay_alu instid0(VALU_DEP_3) | instskip(NEXT) | instid1(VALU_DEP_1)
	v_clz_i32_u32_e32 v12, v0
	v_min_u32_e32 v12, 32, v12
	s_delay_alu instid0(VALU_DEP_1) | instskip(SKIP_1) | instid1(VALU_DEP_2)
	v_subrev_nc_u32_e32 v52, 28, v12
	v_sub_nc_u32_e32 v12, 29, v12
	v_lshlrev_b64 v[69:70], v52, v[0:1]
	s_delay_alu instid0(VALU_DEP_1)
	v_and_b32_e32 v0, 7, v69
; %bb.608:                              ;   in Loop: Header=BB335_547 Depth=1
	s_or_b32 exec_lo, exec_lo, s13
	v_lshlrev_b32_e32 v11, 8, v11
	v_lshl_add_u32 v12, v12, 10, 0x2000
	s_delay_alu instid0(VALU_DEP_1) | instskip(NEXT) | instid1(VALU_DEP_1)
	v_and_or_b32 v11, 0x8000, v11, v12
	v_lshl_or_b32 v0, v0, 7, v11
	s_delay_alu instid0(VALU_DEP_1)
	v_cvt_f32_f16_e32 v0, v0
.LBB335_609:                            ;   in Loop: Header=BB335_547 Depth=1
	s_or_b32 exec_lo, exec_lo, s12
.LBB335_610:                            ;   in Loop: Header=BB335_547 Depth=1
	s_delay_alu instid0(SALU_CYCLE_1)
	s_or_b32 exec_lo, exec_lo, s10
.LBB335_611:                            ;   in Loop: Header=BB335_547 Depth=1
	s_delay_alu instid0(SALU_CYCLE_1)
	s_or_b32 exec_lo, exec_lo, s0
	s_waitcnt vmcnt(0) lgkmcnt(0)
	v_fma_mixlo_f16 v11, v17, v50, 0
	v_fma_mixlo_f16 v12, v17, v49, 0
	v_fma_mixlo_f16 v38, v17, v38, 0
	v_fma_mixlo_f16 v23, v17, v23, 0
	v_fma_mixlo_f16 v49, v17, v51, 0
	v_fma_mixlo_f16 v50, v17, v13, 0
	v_fma_mixlo_f16 v0, v17, v0, 0
	v_fma_mixlo_f16 v13, v17, v14, 0
	v_lshlrev_b32_e32 v11, 16, v11
	v_and_b32_e32 v12, 0xffff, v12
	v_lshlrev_b32_e32 v38, 16, v38
	v_and_b32_e32 v14, 0xffff, v23
	;; [unrolled: 2-line block ×4, first 2 shown]
	v_cmp_eq_u32_e32 vcc_lo, v36, v6
	v_or_b32_e32 v12, v11, v12
	v_or_b32_e32 v14, v38, v14
	;; [unrolled: 1-line block ×4, first 2 shown]
	v_add_nc_u32_e32 v52, 1, v15
	v_or_b32_e32 v51, 3, v15
	v_or_b32_e32 v50, 2, v15
	;; [unrolled: 1-line block ×6, first 2 shown]
	s_and_saveexec_b32 s10, vcc_lo
	s_cbranch_execz .LBB335_613
; %bb.612:                              ;   in Loop: Header=BB335_547 Depth=1
	v_cmp_lt_i32_e64 s0, v15, v33
	v_lshrrev_b32_e32 v69, 16, v14
	v_lshrrev_b32_e32 v70, 16, v12
	;; [unrolled: 1-line block ×4, first 2 shown]
	v_cndmask_b32_e64 v14, 0, v14, s0
	v_cmp_lt_i32_e64 s0, v52, v37
	s_delay_alu instid0(VALU_DEP_1) | instskip(SKIP_1) | instid1(VALU_DEP_2)
	v_cndmask_b32_e64 v69, 0, v69, s0
	v_cmp_lt_i32_e64 s0, v51, v37
	v_perm_b32 v14, v69, v14, 0x5040100
	s_delay_alu instid0(VALU_DEP_2) | instskip(SKIP_1) | instid1(VALU_DEP_1)
	v_cndmask_b32_e64 v70, 0, v70, s0
	v_cmp_lt_i32_e64 s0, v50, v33
	v_cndmask_b32_e64 v12, 0, v12, s0
	v_cmp_lt_i32_e64 s0, v49, v37
	s_delay_alu instid0(VALU_DEP_2) | instskip(NEXT) | instid1(VALU_DEP_2)
	v_perm_b32 v12, v70, v12, 0x5040100
	v_cndmask_b32_e64 v71, 0, v71, s0
	v_cmp_lt_i32_e64 s0, v38, v33
	s_delay_alu instid0(VALU_DEP_1) | instskip(SKIP_1) | instid1(VALU_DEP_2)
	v_cndmask_b32_e64 v0, 0, v0, s0
	v_cmp_lt_i32_e64 s0, v23, v37
	v_perm_b32 v0, v71, v0, 0x5040100
	s_delay_alu instid0(VALU_DEP_2) | instskip(SKIP_1) | instid1(VALU_DEP_1)
	v_cndmask_b32_e64 v11, 0, v11, s0
	v_cmp_lt_i32_e64 s0, v17, v33
	v_cndmask_b32_e64 v13, 0, v13, s0
	s_delay_alu instid0(VALU_DEP_1)
	v_perm_b32 v11, v11, v13, 0x5040100
.LBB335_613:                            ;   in Loop: Header=BB335_547 Depth=1
	s_or_b32 exec_lo, exec_lo, s10
	v_and_b32_e32 v13, 0xffff, v53
	v_and_b32_e32 v53, 0xffff, v64
	;; [unrolled: 1-line block ×3, first 2 shown]
	v_dual_mov_b32 v69, 0 :: v_dual_and_b32 v68, 0xffff, v68
	s_mov_b32 s10, exec_lo
	s_delay_alu instid0(VALU_DEP_3) | instskip(NEXT) | instid1(VALU_DEP_2)
	v_lshl_or_b32 v55, v55, 16, v53
	v_lshl_or_b32 v53, v66, 16, v68
	v_mov_b32_e32 v68, 0
	v_lshl_or_b32 v64, v54, 16, v13
	v_lshl_or_b32 v54, v65, 16, v67
	;;#ASMSTART
	v_pk_mul_f16 v13, v64, v14;

	;;#ASMEND
	;;#ASMSTART
	v_pk_mul_f16 v12, v55, v12;

	;;#ASMEND
	;; [unrolled: 4-line block ×4, first 2 shown]
	;;#ASMSTART
	v_pk_add_f16 v12, v13, v12;

	;;#ASMEND
	;;#ASMSTART
	v_pk_add_f16 v0, v12, v0;

	;;#ASMEND
	;; [unrolled: 4-line block ×3, first 2 shown]
	v_and_b32_e32 v11, 0xffff, v0
	v_lshrrev_b32_e32 v0, 16, v0
	;;#ASMSTART
	v_cvt_f32_f16 v65, v11;
	;;#ASMEND
	;;#ASMSTART
	v_cvt_f32_f16 v66, v0;
	;;#ASMEND
	flat_load_b64 v[11:12], v[9:10] offset:256
	flat_load_b32 v67, v[26:27]
	s_waitcnt vmcnt(1) lgkmcnt(1)
	v_and_b32_e32 v0, 0xff, v11
	s_delay_alu instid0(VALU_DEP_1)
	v_cmpx_ne_u16_e32 0, v0
	s_cbranch_execz .LBB335_621
; %bb.614:                              ;   in Loop: Header=BB335_547 Depth=1
	v_bfrev_b32_e32 v68, 1
	s_mov_b32 s12, exec_lo
	v_cmpx_ne_u16_e32 0x80, v0
	s_cbranch_execz .LBB335_620
; %bb.615:                              ;   in Loop: Header=BB335_547 Depth=1
	v_and_b32_e32 v13, 0x7f, v11
	v_mov_b32_e32 v68, 0x7fc02000
	s_mov_b32 s13, exec_lo
	s_delay_alu instid0(VALU_DEP_2)
	v_cmpx_ne_u32_e32 0x7f, v13
	s_cbranch_execz .LBB335_619
; %bb.616:                              ;   in Loop: Header=BB335_547 Depth=1
	v_lshrrev_b32_e32 v0, 3, v13
	v_cmp_gt_u32_e64 s0, 8, v13
	v_dual_mov_b32 v14, v12 :: v_dual_mov_b32 v13, v11
	s_delay_alu instid0(VALU_DEP_2)
	s_and_saveexec_b32 s15, s0
; %bb.617:                              ;   in Loop: Header=BB335_547 Depth=1
	v_and_b32_e32 v0, 7, v11
	s_delay_alu instid0(VALU_DEP_1) | instskip(NEXT) | instid1(VALU_DEP_1)
	v_clz_i32_u32_e32 v0, v0
	v_min_u32_e32 v0, 32, v0
	s_delay_alu instid0(VALU_DEP_1) | instskip(SKIP_1) | instid1(VALU_DEP_2)
	v_subrev_nc_u32_e32 v13, 28, v0
	v_sub_nc_u32_e32 v0, 29, v0
	v_lshlrev_b64 v[13:14], v13, v[11:12]
; %bb.618:                              ;   in Loop: Header=BB335_547 Depth=1
	s_or_b32 exec_lo, exec_lo, s15
	v_lshlrev_b32_e32 v14, 8, v11
	s_delay_alu instid0(VALU_DEP_3) | instskip(NEXT) | instid1(VALU_DEP_3)
	v_lshl_add_u32 v0, v0, 10, 0x2000
	v_lshlrev_b32_e32 v13, 7, v13
	s_delay_alu instid0(VALU_DEP_2) | instskip(NEXT) | instid1(VALU_DEP_1)
	v_and_or_b32 v0, 0x8000, v14, v0
	v_and_or_b32 v0, 0x380, v13, v0
	s_delay_alu instid0(VALU_DEP_1)
	v_cvt_f32_f16_e32 v68, v0
.LBB335_619:                            ;   in Loop: Header=BB335_547 Depth=1
	s_or_b32 exec_lo, exec_lo, s13
.LBB335_620:                            ;   in Loop: Header=BB335_547 Depth=1
	s_delay_alu instid0(SALU_CYCLE_1)
	s_or_b32 exec_lo, exec_lo, s12
.LBB335_621:                            ;   in Loop: Header=BB335_547 Depth=1
	s_delay_alu instid0(SALU_CYCLE_1) | instskip(SKIP_2) | instid1(VALU_DEP_1)
	s_or_b32 exec_lo, exec_lo, s10
	v_lshrrev_b16 v0, 8, v11
	s_mov_b32 s10, exec_lo
	v_cmpx_ne_u16_e32 0, v0
	s_cbranch_execz .LBB335_629
; %bb.622:                              ;   in Loop: Header=BB335_547 Depth=1
	v_bfrev_b32_e32 v69, 1
	s_mov_b32 s12, exec_lo
	v_cmpx_ne_u16_e32 0x80, v0
	s_cbranch_execz .LBB335_628
; %bb.623:                              ;   in Loop: Header=BB335_547 Depth=1
	v_and_b32_e32 v13, 0xffff, v0
	v_mov_b32_e32 v69, 0x7fc02000
	s_mov_b32 s13, exec_lo
	s_delay_alu instid0(VALU_DEP_2) | instskip(NEXT) | instid1(VALU_DEP_1)
	v_and_b32_e32 v70, 0x7f, v13
	v_cmpx_ne_u32_e32 0x7f, v70
	s_cbranch_execz .LBB335_627
; %bb.624:                              ;   in Loop: Header=BB335_547 Depth=1
	v_and_b32_e32 v0, 7, v13
	v_lshrrev_b32_e32 v14, 3, v70
	s_mov_b32 s15, exec_lo
	v_cmpx_gt_u32_e32 8, v70
; %bb.625:                              ;   in Loop: Header=BB335_547 Depth=1
	s_delay_alu instid0(VALU_DEP_3) | instskip(NEXT) | instid1(VALU_DEP_1)
	v_clz_i32_u32_e32 v14, v0
	v_min_u32_e32 v14, 32, v14
	s_delay_alu instid0(VALU_DEP_1) | instskip(SKIP_1) | instid1(VALU_DEP_2)
	v_subrev_nc_u32_e32 v69, 28, v14
	v_sub_nc_u32_e32 v14, 29, v14
	v_lshlrev_b64 v[69:70], v69, v[0:1]
	s_delay_alu instid0(VALU_DEP_1)
	v_and_b32_e32 v0, 7, v69
; %bb.626:                              ;   in Loop: Header=BB335_547 Depth=1
	s_or_b32 exec_lo, exec_lo, s15
	v_lshlrev_b32_e32 v13, 8, v13
	v_lshl_add_u32 v14, v14, 10, 0x2000
	s_delay_alu instid0(VALU_DEP_1) | instskip(NEXT) | instid1(VALU_DEP_1)
	v_and_or_b32 v13, 0x8000, v13, v14
	v_lshl_or_b32 v0, v0, 7, v13
	s_delay_alu instid0(VALU_DEP_1)
	v_cvt_f32_f16_e32 v69, v0
.LBB335_627:                            ;   in Loop: Header=BB335_547 Depth=1
	s_or_b32 exec_lo, exec_lo, s13
.LBB335_628:                            ;   in Loop: Header=BB335_547 Depth=1
	s_delay_alu instid0(SALU_CYCLE_1)
	s_or_b32 exec_lo, exec_lo, s12
.LBB335_629:                            ;   in Loop: Header=BB335_547 Depth=1
	s_delay_alu instid0(SALU_CYCLE_1) | instskip(SKIP_3) | instid1(VALU_DEP_2)
	s_or_b32 exec_lo, exec_lo, s10
	v_lshrrev_b32_e32 v13, 16, v11
	v_mov_b32_e32 v70, 0
	s_mov_b32 s10, exec_lo
	v_dual_mov_b32 v71, 0 :: v_dual_and_b32 v0, 0xff, v13
	s_delay_alu instid0(VALU_DEP_1)
	v_cmpx_ne_u16_e32 0, v0
	s_cbranch_execz .LBB335_637
; %bb.630:                              ;   in Loop: Header=BB335_547 Depth=1
	v_bfrev_b32_e32 v70, 1
	s_mov_b32 s12, exec_lo
	v_cmpx_ne_u16_e32 0x80, v0
	s_cbranch_execz .LBB335_636
; %bb.631:                              ;   in Loop: Header=BB335_547 Depth=1
	v_bfe_u32 v80, v11, 16, 7
	v_mov_b32_e32 v70, 0x7fc02000
	s_mov_b32 s13, exec_lo
	s_delay_alu instid0(VALU_DEP_2)
	v_cmpx_ne_u32_e32 0x7f, v80
	s_cbranch_execz .LBB335_635
; %bb.632:                              ;   in Loop: Header=BB335_547 Depth=1
	v_and_b32_e32 v0, 7, v13
	v_lshrrev_b32_e32 v14, 3, v80
	s_mov_b32 s15, exec_lo
	v_cmpx_gt_u32_e32 8, v80
; %bb.633:                              ;   in Loop: Header=BB335_547 Depth=1
	s_delay_alu instid0(VALU_DEP_3) | instskip(NEXT) | instid1(VALU_DEP_1)
	v_clz_i32_u32_e32 v14, v0
	v_min_u32_e32 v14, 32, v14
	s_delay_alu instid0(VALU_DEP_1) | instskip(SKIP_1) | instid1(VALU_DEP_2)
	v_subrev_nc_u32_e32 v70, 28, v14
	v_sub_nc_u32_e32 v14, 29, v14
	v_lshlrev_b64 v[80:81], v70, v[0:1]
	s_delay_alu instid0(VALU_DEP_1)
	v_and_b32_e32 v0, 7, v80
; %bb.634:                              ;   in Loop: Header=BB335_547 Depth=1
	s_or_b32 exec_lo, exec_lo, s15
	v_lshlrev_b32_e32 v13, 8, v13
	v_lshl_add_u32 v14, v14, 10, 0x2000
	s_delay_alu instid0(VALU_DEP_1) | instskip(NEXT) | instid1(VALU_DEP_1)
	v_and_or_b32 v13, 0x8000, v13, v14
	v_lshl_or_b32 v0, v0, 7, v13
	s_delay_alu instid0(VALU_DEP_1)
	v_cvt_f32_f16_e32 v70, v0
.LBB335_635:                            ;   in Loop: Header=BB335_547 Depth=1
	s_or_b32 exec_lo, exec_lo, s13
.LBB335_636:                            ;   in Loop: Header=BB335_547 Depth=1
	s_delay_alu instid0(SALU_CYCLE_1)
	s_or_b32 exec_lo, exec_lo, s12
.LBB335_637:                            ;   in Loop: Header=BB335_547 Depth=1
	s_delay_alu instid0(SALU_CYCLE_1) | instskip(NEXT) | instid1(SALU_CYCLE_1)
	s_or_b32 exec_lo, exec_lo, s10
	s_mov_b32 s10, exec_lo
	v_cmpx_lt_u32_e32 0xffffff, v11
	s_cbranch_execz .LBB335_645
; %bb.638:                              ;   in Loop: Header=BB335_547 Depth=1
	v_lshrrev_b32_e32 v13, 24, v11
	v_bfrev_b32_e32 v71, 1
	s_mov_b32 s12, exec_lo
	s_delay_alu instid0(VALU_DEP_2)
	v_cmpx_ne_u32_e32 0x80, v13
	s_cbranch_execz .LBB335_644
; %bb.639:                              ;   in Loop: Header=BB335_547 Depth=1
	v_and_b32_e32 v80, 0x7f, v13
	v_mov_b32_e32 v71, 0x7fc02000
	s_mov_b32 s13, exec_lo
	s_delay_alu instid0(VALU_DEP_2)
	v_cmpx_ne_u32_e32 0x7f, v80
	s_cbranch_execz .LBB335_643
; %bb.640:                              ;   in Loop: Header=BB335_547 Depth=1
	v_and_b32_e32 v0, 7, v13
	v_lshrrev_b32_e32 v14, 3, v80
	s_mov_b32 s15, exec_lo
	v_cmpx_gt_u32_e32 8, v80
; %bb.641:                              ;   in Loop: Header=BB335_547 Depth=1
	s_delay_alu instid0(VALU_DEP_3) | instskip(NEXT) | instid1(VALU_DEP_1)
	v_clz_i32_u32_e32 v14, v0
	v_min_u32_e32 v14, 32, v14
	s_delay_alu instid0(VALU_DEP_1) | instskip(SKIP_1) | instid1(VALU_DEP_2)
	v_subrev_nc_u32_e32 v71, 28, v14
	v_sub_nc_u32_e32 v14, 29, v14
	v_lshlrev_b64 v[80:81], v71, v[0:1]
	s_delay_alu instid0(VALU_DEP_1)
	v_and_b32_e32 v0, 7, v80
; %bb.642:                              ;   in Loop: Header=BB335_547 Depth=1
	s_or_b32 exec_lo, exec_lo, s15
	v_lshlrev_b32_e32 v13, 8, v13
	v_lshl_add_u32 v14, v14, 10, 0x2000
	s_delay_alu instid0(VALU_DEP_1) | instskip(NEXT) | instid1(VALU_DEP_1)
	v_and_or_b32 v13, 0x8000, v13, v14
	v_lshl_or_b32 v0, v0, 7, v13
	s_delay_alu instid0(VALU_DEP_1)
	v_cvt_f32_f16_e32 v71, v0
.LBB335_643:                            ;   in Loop: Header=BB335_547 Depth=1
	s_or_b32 exec_lo, exec_lo, s13
.LBB335_644:                            ;   in Loop: Header=BB335_547 Depth=1
	s_delay_alu instid0(SALU_CYCLE_1)
	s_or_b32 exec_lo, exec_lo, s12
.LBB335_645:                            ;   in Loop: Header=BB335_547 Depth=1
	s_delay_alu instid0(SALU_CYCLE_1) | instskip(SKIP_4) | instid1(VALU_DEP_3)
	s_or_b32 exec_lo, exec_lo, s10
	v_dual_mov_b32 v13, 0 :: v_dual_and_b32 v14, 0xff, v12
	v_mov_b32_e32 v0, v12
	v_mov_b32_e32 v80, 0
	s_mov_b32 s10, exec_lo
	v_cmpx_ne_u16_e32 0, v14
	s_cbranch_execz .LBB335_653
; %bb.646:                              ;   in Loop: Header=BB335_547 Depth=1
	v_bfrev_b32_e32 v13, 1
	s_mov_b32 s12, exec_lo
	v_cmpx_ne_u16_e32 0x80, v14
	s_cbranch_execz .LBB335_652
; %bb.647:                              ;   in Loop: Header=BB335_547 Depth=1
	v_and_b32_e32 v14, 0x7f, v12
	v_mov_b32_e32 v13, 0x7fc02000
	s_mov_b32 s13, exec_lo
	s_delay_alu instid0(VALU_DEP_2)
	v_cmpx_ne_u32_e32 0x7f, v14
	s_cbranch_execz .LBB335_651
; %bb.648:                              ;   in Loop: Header=BB335_547 Depth=1
	v_lshrrev_b32_e32 v81, 3, v14
	v_cmp_gt_u32_e64 s0, 8, v14
	v_dual_mov_b32 v14, v1 :: v_dual_mov_b32 v13, v0
	s_delay_alu instid0(VALU_DEP_2)
	s_and_saveexec_b32 s15, s0
; %bb.649:                              ;   in Loop: Header=BB335_547 Depth=1
	v_and_b32_e32 v13, 7, v12
	s_delay_alu instid0(VALU_DEP_1) | instskip(NEXT) | instid1(VALU_DEP_1)
	v_clz_i32_u32_e32 v13, v13
	v_min_u32_e32 v81, 32, v13
	s_delay_alu instid0(VALU_DEP_1) | instskip(SKIP_1) | instid1(VALU_DEP_2)
	v_subrev_nc_u32_e32 v13, 28, v81
	v_sub_nc_u32_e32 v81, 29, v81
	v_lshlrev_b64 v[13:14], v13, v[0:1]
; %bb.650:                              ;   in Loop: Header=BB335_547 Depth=1
	s_or_b32 exec_lo, exec_lo, s15
	v_lshlrev_b32_e32 v14, 8, v12
	s_delay_alu instid0(VALU_DEP_3) | instskip(NEXT) | instid1(VALU_DEP_3)
	v_lshl_add_u32 v81, v81, 10, 0x2000
	v_lshlrev_b32_e32 v13, 7, v13
	s_delay_alu instid0(VALU_DEP_2) | instskip(NEXT) | instid1(VALU_DEP_1)
	v_and_or_b32 v14, 0x8000, v14, v81
	v_and_or_b32 v13, 0x380, v13, v14
	s_delay_alu instid0(VALU_DEP_1)
	v_cvt_f32_f16_e32 v13, v13
.LBB335_651:                            ;   in Loop: Header=BB335_547 Depth=1
	s_or_b32 exec_lo, exec_lo, s13
.LBB335_652:                            ;   in Loop: Header=BB335_547 Depth=1
	s_delay_alu instid0(SALU_CYCLE_1)
	s_or_b32 exec_lo, exec_lo, s12
.LBB335_653:                            ;   in Loop: Header=BB335_547 Depth=1
	s_delay_alu instid0(SALU_CYCLE_1) | instskip(SKIP_2) | instid1(VALU_DEP_1)
	s_or_b32 exec_lo, exec_lo, s10
	v_lshrrev_b16 v0, 8, v0
	s_mov_b32 s10, exec_lo
	v_cmpx_ne_u16_e32 0, v0
	s_cbranch_execz .LBB335_661
; %bb.654:                              ;   in Loop: Header=BB335_547 Depth=1
	v_bfrev_b32_e32 v80, 1
	s_mov_b32 s12, exec_lo
	v_cmpx_ne_u16_e32 0x80, v0
	s_cbranch_execz .LBB335_660
; %bb.655:                              ;   in Loop: Header=BB335_547 Depth=1
	v_and_b32_e32 v14, 0xffff, v0
	v_mov_b32_e32 v80, 0x7fc02000
	s_mov_b32 s13, exec_lo
	s_delay_alu instid0(VALU_DEP_2) | instskip(NEXT) | instid1(VALU_DEP_1)
	v_and_b32_e32 v81, 0x7f, v14
	v_cmpx_ne_u32_e32 0x7f, v81
	s_cbranch_execz .LBB335_659
; %bb.656:                              ;   in Loop: Header=BB335_547 Depth=1
	v_and_b32_e32 v0, 7, v14
	v_lshrrev_b32_e32 v80, 3, v81
	s_mov_b32 s15, exec_lo
	v_cmpx_gt_u32_e32 8, v81
; %bb.657:                              ;   in Loop: Header=BB335_547 Depth=1
	s_delay_alu instid0(VALU_DEP_3) | instskip(NEXT) | instid1(VALU_DEP_1)
	v_clz_i32_u32_e32 v80, v0
	v_min_u32_e32 v80, 32, v80
	s_delay_alu instid0(VALU_DEP_1) | instskip(SKIP_1) | instid1(VALU_DEP_2)
	v_subrev_nc_u32_e32 v81, 28, v80
	v_sub_nc_u32_e32 v80, 29, v80
	v_lshlrev_b64 v[81:82], v81, v[0:1]
	s_delay_alu instid0(VALU_DEP_1)
	v_and_b32_e32 v0, 7, v81
; %bb.658:                              ;   in Loop: Header=BB335_547 Depth=1
	s_or_b32 exec_lo, exec_lo, s15
	v_lshlrev_b32_e32 v14, 8, v14
	v_lshl_add_u32 v80, v80, 10, 0x2000
	s_delay_alu instid0(VALU_DEP_1) | instskip(NEXT) | instid1(VALU_DEP_1)
	v_and_or_b32 v14, 0x8000, v14, v80
	v_lshl_or_b32 v0, v0, 7, v14
	s_delay_alu instid0(VALU_DEP_1)
	v_cvt_f32_f16_e32 v80, v0
.LBB335_659:                            ;   in Loop: Header=BB335_547 Depth=1
	s_or_b32 exec_lo, exec_lo, s13
.LBB335_660:                            ;   in Loop: Header=BB335_547 Depth=1
	s_delay_alu instid0(SALU_CYCLE_1)
	s_or_b32 exec_lo, exec_lo, s12
.LBB335_661:                            ;   in Loop: Header=BB335_547 Depth=1
	s_delay_alu instid0(SALU_CYCLE_1) | instskip(SKIP_3) | instid1(VALU_DEP_2)
	s_or_b32 exec_lo, exec_lo, s10
	v_lshrrev_b32_e32 v82, 16, v12
	v_mov_b32_e32 v14, 0
	s_mov_b32 s10, exec_lo
	v_dual_mov_b32 v81, 0 :: v_dual_and_b32 v0, 0xff, v82
	s_delay_alu instid0(VALU_DEP_1)
	v_cmpx_ne_u16_e32 0, v0
	s_cbranch_execz .LBB335_669
; %bb.662:                              ;   in Loop: Header=BB335_547 Depth=1
	v_bfrev_b32_e32 v14, 1
	s_mov_b32 s12, exec_lo
	v_cmpx_ne_u16_e32 0x80, v0
	s_cbranch_execz .LBB335_668
; %bb.663:                              ;   in Loop: Header=BB335_547 Depth=1
	v_bfe_u32 v83, v12, 16, 7
	v_mov_b32_e32 v14, 0x7fc02000
	s_mov_b32 s13, exec_lo
	s_delay_alu instid0(VALU_DEP_2)
	v_cmpx_ne_u32_e32 0x7f, v83
	s_cbranch_execz .LBB335_667
; %bb.664:                              ;   in Loop: Header=BB335_547 Depth=1
	v_and_b32_e32 v0, 7, v82
	v_lshrrev_b32_e32 v14, 3, v83
	s_mov_b32 s15, exec_lo
	v_cmpx_gt_u32_e32 8, v83
; %bb.665:                              ;   in Loop: Header=BB335_547 Depth=1
	s_delay_alu instid0(VALU_DEP_3) | instskip(NEXT) | instid1(VALU_DEP_1)
	v_clz_i32_u32_e32 v14, v0
	v_min_u32_e32 v14, 32, v14
	s_delay_alu instid0(VALU_DEP_1) | instskip(SKIP_1) | instid1(VALU_DEP_2)
	v_subrev_nc_u32_e32 v83, 28, v14
	v_sub_nc_u32_e32 v14, 29, v14
	v_lshlrev_b64 v[83:84], v83, v[0:1]
	s_delay_alu instid0(VALU_DEP_1)
	v_and_b32_e32 v0, 7, v83
; %bb.666:                              ;   in Loop: Header=BB335_547 Depth=1
	s_or_b32 exec_lo, exec_lo, s15
	v_lshlrev_b32_e32 v82, 8, v82
	v_lshl_add_u32 v14, v14, 10, 0x2000
	s_delay_alu instid0(VALU_DEP_1) | instskip(NEXT) | instid1(VALU_DEP_1)
	v_and_or_b32 v14, 0x8000, v82, v14
	v_lshl_or_b32 v0, v0, 7, v14
	s_delay_alu instid0(VALU_DEP_1)
	v_cvt_f32_f16_e32 v14, v0
.LBB335_667:                            ;   in Loop: Header=BB335_547 Depth=1
	s_or_b32 exec_lo, exec_lo, s13
.LBB335_668:                            ;   in Loop: Header=BB335_547 Depth=1
	s_delay_alu instid0(SALU_CYCLE_1)
	s_or_b32 exec_lo, exec_lo, s12
.LBB335_669:                            ;   in Loop: Header=BB335_547 Depth=1
	s_delay_alu instid0(SALU_CYCLE_1) | instskip(NEXT) | instid1(SALU_CYCLE_1)
	s_or_b32 exec_lo, exec_lo, s10
	s_mov_b32 s10, exec_lo
	v_cmpx_lt_u64_e64 s[8:9], v[11:12]
	s_cbranch_execz .LBB335_677
; %bb.670:                              ;   in Loop: Header=BB335_547 Depth=1
	v_lshrrev_b32_e32 v11, 24, v12
	v_bfrev_b32_e32 v81, 1
	s_mov_b32 s12, exec_lo
	s_delay_alu instid0(VALU_DEP_2)
	v_cmpx_ne_u32_e32 0x80, v11
	s_cbranch_execz .LBB335_676
; %bb.671:                              ;   in Loop: Header=BB335_547 Depth=1
	v_and_b32_e32 v82, 0x7f, v11
	v_mov_b32_e32 v81, 0x7fc02000
	s_mov_b32 s13, exec_lo
	s_delay_alu instid0(VALU_DEP_2)
	v_cmpx_ne_u32_e32 0x7f, v82
	s_cbranch_execz .LBB335_675
; %bb.672:                              ;   in Loop: Header=BB335_547 Depth=1
	v_and_b32_e32 v0, 7, v11
	v_lshrrev_b32_e32 v12, 3, v82
	s_mov_b32 s15, exec_lo
	v_cmpx_gt_u32_e32 8, v82
; %bb.673:                              ;   in Loop: Header=BB335_547 Depth=1
	s_delay_alu instid0(VALU_DEP_3) | instskip(NEXT) | instid1(VALU_DEP_1)
	v_clz_i32_u32_e32 v12, v0
	v_min_u32_e32 v12, 32, v12
	s_delay_alu instid0(VALU_DEP_1) | instskip(SKIP_1) | instid1(VALU_DEP_2)
	v_subrev_nc_u32_e32 v81, 28, v12
	v_sub_nc_u32_e32 v12, 29, v12
	v_lshlrev_b64 v[81:82], v81, v[0:1]
	s_delay_alu instid0(VALU_DEP_1)
	v_and_b32_e32 v0, 7, v81
; %bb.674:                              ;   in Loop: Header=BB335_547 Depth=1
	s_or_b32 exec_lo, exec_lo, s15
	v_lshlrev_b32_e32 v11, 8, v11
	v_lshl_add_u32 v12, v12, 10, 0x2000
	s_delay_alu instid0(VALU_DEP_1) | instskip(NEXT) | instid1(VALU_DEP_1)
	v_and_or_b32 v11, 0x8000, v11, v12
	v_lshl_or_b32 v0, v0, 7, v11
	s_delay_alu instid0(VALU_DEP_1)
	v_cvt_f32_f16_e32 v81, v0
.LBB335_675:                            ;   in Loop: Header=BB335_547 Depth=1
	s_or_b32 exec_lo, exec_lo, s13
.LBB335_676:                            ;   in Loop: Header=BB335_547 Depth=1
	s_delay_alu instid0(SALU_CYCLE_1)
	s_or_b32 exec_lo, exec_lo, s12
.LBB335_677:                            ;   in Loop: Header=BB335_547 Depth=1
	s_delay_alu instid0(SALU_CYCLE_1)
	s_or_b32 exec_lo, exec_lo, s10
	s_waitcnt vmcnt(0) lgkmcnt(0)
	v_fma_mixlo_f16 v12, v67, v69, 0
	v_fma_mixlo_f16 v0, v67, v71, 0
	;; [unrolled: 1-line block ×5, first 2 shown]
	v_lshlrev_b32_e32 v69, 16, v12
	v_fma_mixlo_f16 v13, v67, v13, 0
	v_fma_mixlo_f16 v71, v67, v81, 0
	;; [unrolled: 1-line block ×3, first 2 shown]
	v_lshlrev_b32_e32 v0, 16, v0
	v_and_b32_e32 v11, 0xffff, v11
	v_and_b32_e32 v14, 0xffff, v68
	v_lshlrev_b32_e32 v67, 16, v70
	v_and_b32_e32 v68, 0xffff, v13
	v_lshlrev_b32_e32 v70, 16, v71
	v_and_b32_e32 v71, 0xffff, v12
	v_or_b32_e32 v13, v0, v11
	v_or_b32_e32 v14, v69, v14
	;; [unrolled: 1-line block ×3, first 2 shown]
	s_delay_alu instid0(VALU_DEP_4)
	v_or_b32_e32 v11, v70, v71
	s_and_saveexec_b32 s10, vcc_lo
	s_cbranch_execz .LBB335_679
; %bb.678:                              ;   in Loop: Header=BB335_547 Depth=1
	v_cmp_lt_i32_e64 s0, v15, v33
	v_lshrrev_b32_e32 v67, 16, v14
	v_lshrrev_b32_e32 v68, 16, v13
	;; [unrolled: 1-line block ×4, first 2 shown]
	v_cndmask_b32_e64 v14, 0, v14, s0
	v_cmp_lt_i32_e64 s0, v52, v37
	s_delay_alu instid0(VALU_DEP_1) | instskip(SKIP_1) | instid1(VALU_DEP_2)
	v_cndmask_b32_e64 v67, 0, v67, s0
	v_cmp_lt_i32_e64 s0, v51, v37
	v_perm_b32 v14, v67, v14, 0x5040100
	s_delay_alu instid0(VALU_DEP_2) | instskip(SKIP_1) | instid1(VALU_DEP_1)
	v_cndmask_b32_e64 v68, 0, v68, s0
	v_cmp_lt_i32_e64 s0, v50, v33
	v_cndmask_b32_e64 v13, 0, v13, s0
	v_cmp_lt_i32_e64 s0, v49, v37
	s_delay_alu instid0(VALU_DEP_2) | instskip(NEXT) | instid1(VALU_DEP_2)
	v_perm_b32 v13, v68, v13, 0x5040100
	v_cndmask_b32_e64 v69, 0, v69, s0
	v_cmp_lt_i32_e64 s0, v38, v33
	s_delay_alu instid0(VALU_DEP_1) | instskip(SKIP_1) | instid1(VALU_DEP_2)
	v_cndmask_b32_e64 v0, 0, v0, s0
	v_cmp_lt_i32_e64 s0, v23, v37
	v_perm_b32 v0, v69, v0, 0x5040100
	s_delay_alu instid0(VALU_DEP_2) | instskip(SKIP_1) | instid1(VALU_DEP_1)
	v_cndmask_b32_e64 v11, 0, v11, s0
	v_cmp_lt_i32_e64 s0, v17, v33
	v_cndmask_b32_e64 v12, 0, v12, s0
	s_delay_alu instid0(VALU_DEP_1)
	v_perm_b32 v11, v11, v12, 0x5040100
.LBB335_679:                            ;   in Loop: Header=BB335_547 Depth=1
	s_or_b32 exec_lo, exec_lo, s10
	;;#ASMSTART
	v_pk_mul_f16 v12, v64, v14;

	;;#ASMEND
	;;#ASMSTART
	v_pk_mul_f16 v13, v55, v13;

	;;#ASMEND
	;; [unrolled: 4-line block ×4, first 2 shown]
	;;#ASMSTART
	v_pk_add_f16 v12, v12, v13;

	;;#ASMEND
	;;#ASMSTART
	v_pk_add_f16 v0, v12, v0;

	;;#ASMEND
	;; [unrolled: 4-line block ×3, first 2 shown]
	v_dual_mov_b32 v70, 0 :: v_dual_and_b32 v11, 0xffff, v0
	v_lshrrev_b32_e32 v0, 16, v0
	;;#ASMSTART
	v_cvt_f32_f16 v67, v11;
	;;#ASMEND
	;;#ASMSTART
	v_cvt_f32_f16 v68, v0;
	;;#ASMEND
	flat_load_b64 v[11:12], v[9:10] offset:512
	flat_load_b32 v69, v[26:27]
	s_mov_b32 s10, exec_lo
	s_waitcnt vmcnt(1) lgkmcnt(1)
	v_dual_mov_b32 v71, 0 :: v_dual_and_b32 v0, 0xff, v11
	s_delay_alu instid0(VALU_DEP_1)
	v_cmpx_ne_u16_e32 0, v0
	s_cbranch_execz .LBB335_687
; %bb.680:                              ;   in Loop: Header=BB335_547 Depth=1
	v_bfrev_b32_e32 v70, 1
	s_mov_b32 s12, exec_lo
	v_cmpx_ne_u16_e32 0x80, v0
	s_cbranch_execz .LBB335_686
; %bb.681:                              ;   in Loop: Header=BB335_547 Depth=1
	v_and_b32_e32 v13, 0x7f, v11
	v_mov_b32_e32 v70, 0x7fc02000
	s_mov_b32 s13, exec_lo
	s_delay_alu instid0(VALU_DEP_2)
	v_cmpx_ne_u32_e32 0x7f, v13
	s_cbranch_execz .LBB335_685
; %bb.682:                              ;   in Loop: Header=BB335_547 Depth=1
	v_lshrrev_b32_e32 v0, 3, v13
	v_cmp_gt_u32_e64 s0, 8, v13
	v_dual_mov_b32 v14, v12 :: v_dual_mov_b32 v13, v11
	s_delay_alu instid0(VALU_DEP_2)
	s_and_saveexec_b32 s15, s0
; %bb.683:                              ;   in Loop: Header=BB335_547 Depth=1
	v_and_b32_e32 v0, 7, v11
	s_delay_alu instid0(VALU_DEP_1) | instskip(NEXT) | instid1(VALU_DEP_1)
	v_clz_i32_u32_e32 v0, v0
	v_min_u32_e32 v0, 32, v0
	s_delay_alu instid0(VALU_DEP_1) | instskip(SKIP_1) | instid1(VALU_DEP_2)
	v_subrev_nc_u32_e32 v13, 28, v0
	v_sub_nc_u32_e32 v0, 29, v0
	v_lshlrev_b64 v[13:14], v13, v[11:12]
; %bb.684:                              ;   in Loop: Header=BB335_547 Depth=1
	s_or_b32 exec_lo, exec_lo, s15
	v_lshlrev_b32_e32 v14, 8, v11
	s_delay_alu instid0(VALU_DEP_3) | instskip(NEXT) | instid1(VALU_DEP_3)
	v_lshl_add_u32 v0, v0, 10, 0x2000
	v_lshlrev_b32_e32 v13, 7, v13
	s_delay_alu instid0(VALU_DEP_2) | instskip(NEXT) | instid1(VALU_DEP_1)
	v_and_or_b32 v0, 0x8000, v14, v0
	v_and_or_b32 v0, 0x380, v13, v0
	s_delay_alu instid0(VALU_DEP_1)
	v_cvt_f32_f16_e32 v70, v0
.LBB335_685:                            ;   in Loop: Header=BB335_547 Depth=1
	s_or_b32 exec_lo, exec_lo, s13
.LBB335_686:                            ;   in Loop: Header=BB335_547 Depth=1
	s_delay_alu instid0(SALU_CYCLE_1)
	s_or_b32 exec_lo, exec_lo, s12
.LBB335_687:                            ;   in Loop: Header=BB335_547 Depth=1
	s_delay_alu instid0(SALU_CYCLE_1) | instskip(SKIP_2) | instid1(VALU_DEP_1)
	s_or_b32 exec_lo, exec_lo, s10
	v_lshrrev_b16 v0, 8, v11
	s_mov_b32 s10, exec_lo
	v_cmpx_ne_u16_e32 0, v0
	s_cbranch_execz .LBB335_695
; %bb.688:                              ;   in Loop: Header=BB335_547 Depth=1
	v_bfrev_b32_e32 v71, 1
	s_mov_b32 s12, exec_lo
	v_cmpx_ne_u16_e32 0x80, v0
	s_cbranch_execz .LBB335_694
; %bb.689:                              ;   in Loop: Header=BB335_547 Depth=1
	v_and_b32_e32 v13, 0xffff, v0
	v_mov_b32_e32 v71, 0x7fc02000
	s_mov_b32 s13, exec_lo
	s_delay_alu instid0(VALU_DEP_2) | instskip(NEXT) | instid1(VALU_DEP_1)
	v_and_b32_e32 v80, 0x7f, v13
	v_cmpx_ne_u32_e32 0x7f, v80
	s_cbranch_execz .LBB335_693
; %bb.690:                              ;   in Loop: Header=BB335_547 Depth=1
	v_and_b32_e32 v0, 7, v13
	v_lshrrev_b32_e32 v14, 3, v80
	s_mov_b32 s15, exec_lo
	v_cmpx_gt_u32_e32 8, v80
; %bb.691:                              ;   in Loop: Header=BB335_547 Depth=1
	s_delay_alu instid0(VALU_DEP_3) | instskip(NEXT) | instid1(VALU_DEP_1)
	v_clz_i32_u32_e32 v14, v0
	v_min_u32_e32 v14, 32, v14
	s_delay_alu instid0(VALU_DEP_1) | instskip(SKIP_1) | instid1(VALU_DEP_2)
	v_subrev_nc_u32_e32 v71, 28, v14
	v_sub_nc_u32_e32 v14, 29, v14
	v_lshlrev_b64 v[80:81], v71, v[0:1]
	s_delay_alu instid0(VALU_DEP_1)
	v_and_b32_e32 v0, 7, v80
; %bb.692:                              ;   in Loop: Header=BB335_547 Depth=1
	s_or_b32 exec_lo, exec_lo, s15
	v_lshlrev_b32_e32 v13, 8, v13
	v_lshl_add_u32 v14, v14, 10, 0x2000
	s_delay_alu instid0(VALU_DEP_1) | instskip(NEXT) | instid1(VALU_DEP_1)
	v_and_or_b32 v13, 0x8000, v13, v14
	v_lshl_or_b32 v0, v0, 7, v13
	s_delay_alu instid0(VALU_DEP_1)
	v_cvt_f32_f16_e32 v71, v0
.LBB335_693:                            ;   in Loop: Header=BB335_547 Depth=1
	s_or_b32 exec_lo, exec_lo, s13
.LBB335_694:                            ;   in Loop: Header=BB335_547 Depth=1
	s_delay_alu instid0(SALU_CYCLE_1)
	s_or_b32 exec_lo, exec_lo, s12
.LBB335_695:                            ;   in Loop: Header=BB335_547 Depth=1
	s_delay_alu instid0(SALU_CYCLE_1) | instskip(SKIP_3) | instid1(VALU_DEP_2)
	s_or_b32 exec_lo, exec_lo, s10
	v_lshrrev_b32_e32 v13, 16, v11
	v_mov_b32_e32 v80, 0
	s_mov_b32 s10, exec_lo
	v_dual_mov_b32 v81, 0 :: v_dual_and_b32 v0, 0xff, v13
	s_delay_alu instid0(VALU_DEP_1)
	v_cmpx_ne_u16_e32 0, v0
	s_cbranch_execz .LBB335_703
; %bb.696:                              ;   in Loop: Header=BB335_547 Depth=1
	v_bfrev_b32_e32 v80, 1
	s_mov_b32 s12, exec_lo
	v_cmpx_ne_u16_e32 0x80, v0
	s_cbranch_execz .LBB335_702
; %bb.697:                              ;   in Loop: Header=BB335_547 Depth=1
	v_bfe_u32 v82, v11, 16, 7
	v_mov_b32_e32 v80, 0x7fc02000
	s_mov_b32 s13, exec_lo
	s_delay_alu instid0(VALU_DEP_2)
	v_cmpx_ne_u32_e32 0x7f, v82
	s_cbranch_execz .LBB335_701
; %bb.698:                              ;   in Loop: Header=BB335_547 Depth=1
	v_and_b32_e32 v0, 7, v13
	v_lshrrev_b32_e32 v14, 3, v82
	s_mov_b32 s15, exec_lo
	v_cmpx_gt_u32_e32 8, v82
; %bb.699:                              ;   in Loop: Header=BB335_547 Depth=1
	s_delay_alu instid0(VALU_DEP_3) | instskip(NEXT) | instid1(VALU_DEP_1)
	v_clz_i32_u32_e32 v14, v0
	v_min_u32_e32 v14, 32, v14
	s_delay_alu instid0(VALU_DEP_1) | instskip(SKIP_1) | instid1(VALU_DEP_2)
	v_subrev_nc_u32_e32 v80, 28, v14
	v_sub_nc_u32_e32 v14, 29, v14
	v_lshlrev_b64 v[82:83], v80, v[0:1]
	s_delay_alu instid0(VALU_DEP_1)
	v_and_b32_e32 v0, 7, v82
; %bb.700:                              ;   in Loop: Header=BB335_547 Depth=1
	s_or_b32 exec_lo, exec_lo, s15
	v_lshlrev_b32_e32 v13, 8, v13
	v_lshl_add_u32 v14, v14, 10, 0x2000
	s_delay_alu instid0(VALU_DEP_1) | instskip(NEXT) | instid1(VALU_DEP_1)
	v_and_or_b32 v13, 0x8000, v13, v14
	v_lshl_or_b32 v0, v0, 7, v13
	s_delay_alu instid0(VALU_DEP_1)
	v_cvt_f32_f16_e32 v80, v0
.LBB335_701:                            ;   in Loop: Header=BB335_547 Depth=1
	s_or_b32 exec_lo, exec_lo, s13
.LBB335_702:                            ;   in Loop: Header=BB335_547 Depth=1
	s_delay_alu instid0(SALU_CYCLE_1)
	s_or_b32 exec_lo, exec_lo, s12
.LBB335_703:                            ;   in Loop: Header=BB335_547 Depth=1
	s_delay_alu instid0(SALU_CYCLE_1) | instskip(NEXT) | instid1(SALU_CYCLE_1)
	s_or_b32 exec_lo, exec_lo, s10
	s_mov_b32 s10, exec_lo
	v_cmpx_lt_u32_e32 0xffffff, v11
	s_cbranch_execz .LBB335_711
; %bb.704:                              ;   in Loop: Header=BB335_547 Depth=1
	v_lshrrev_b32_e32 v13, 24, v11
	v_bfrev_b32_e32 v81, 1
	s_mov_b32 s12, exec_lo
	s_delay_alu instid0(VALU_DEP_2)
	v_cmpx_ne_u32_e32 0x80, v13
	s_cbranch_execz .LBB335_710
; %bb.705:                              ;   in Loop: Header=BB335_547 Depth=1
	v_and_b32_e32 v82, 0x7f, v13
	v_mov_b32_e32 v81, 0x7fc02000
	s_mov_b32 s13, exec_lo
	s_delay_alu instid0(VALU_DEP_2)
	v_cmpx_ne_u32_e32 0x7f, v82
	s_cbranch_execz .LBB335_709
; %bb.706:                              ;   in Loop: Header=BB335_547 Depth=1
	v_and_b32_e32 v0, 7, v13
	v_lshrrev_b32_e32 v14, 3, v82
	s_mov_b32 s15, exec_lo
	v_cmpx_gt_u32_e32 8, v82
; %bb.707:                              ;   in Loop: Header=BB335_547 Depth=1
	s_delay_alu instid0(VALU_DEP_3) | instskip(NEXT) | instid1(VALU_DEP_1)
	v_clz_i32_u32_e32 v14, v0
	v_min_u32_e32 v14, 32, v14
	s_delay_alu instid0(VALU_DEP_1) | instskip(SKIP_1) | instid1(VALU_DEP_2)
	v_subrev_nc_u32_e32 v81, 28, v14
	v_sub_nc_u32_e32 v14, 29, v14
	v_lshlrev_b64 v[81:82], v81, v[0:1]
	s_delay_alu instid0(VALU_DEP_1)
	v_and_b32_e32 v0, 7, v81
; %bb.708:                              ;   in Loop: Header=BB335_547 Depth=1
	s_or_b32 exec_lo, exec_lo, s15
	v_lshlrev_b32_e32 v13, 8, v13
	v_lshl_add_u32 v14, v14, 10, 0x2000
	s_delay_alu instid0(VALU_DEP_1) | instskip(NEXT) | instid1(VALU_DEP_1)
	v_and_or_b32 v13, 0x8000, v13, v14
	v_lshl_or_b32 v0, v0, 7, v13
	s_delay_alu instid0(VALU_DEP_1)
	v_cvt_f32_f16_e32 v81, v0
.LBB335_709:                            ;   in Loop: Header=BB335_547 Depth=1
	s_or_b32 exec_lo, exec_lo, s13
.LBB335_710:                            ;   in Loop: Header=BB335_547 Depth=1
	s_delay_alu instid0(SALU_CYCLE_1)
	s_or_b32 exec_lo, exec_lo, s12
.LBB335_711:                            ;   in Loop: Header=BB335_547 Depth=1
	s_delay_alu instid0(SALU_CYCLE_1) | instskip(SKIP_4) | instid1(VALU_DEP_3)
	s_or_b32 exec_lo, exec_lo, s10
	v_dual_mov_b32 v13, 0 :: v_dual_and_b32 v14, 0xff, v12
	v_mov_b32_e32 v0, v12
	v_mov_b32_e32 v82, 0
	s_mov_b32 s10, exec_lo
	v_cmpx_ne_u16_e32 0, v14
	s_cbranch_execz .LBB335_719
; %bb.712:                              ;   in Loop: Header=BB335_547 Depth=1
	v_bfrev_b32_e32 v13, 1
	s_mov_b32 s12, exec_lo
	v_cmpx_ne_u16_e32 0x80, v14
	s_cbranch_execz .LBB335_718
; %bb.713:                              ;   in Loop: Header=BB335_547 Depth=1
	v_and_b32_e32 v14, 0x7f, v12
	v_mov_b32_e32 v13, 0x7fc02000
	s_mov_b32 s13, exec_lo
	s_delay_alu instid0(VALU_DEP_2)
	v_cmpx_ne_u32_e32 0x7f, v14
	s_cbranch_execz .LBB335_717
; %bb.714:                              ;   in Loop: Header=BB335_547 Depth=1
	v_lshrrev_b32_e32 v83, 3, v14
	v_cmp_gt_u32_e64 s0, 8, v14
	v_dual_mov_b32 v14, v1 :: v_dual_mov_b32 v13, v0
	s_delay_alu instid0(VALU_DEP_2)
	s_and_saveexec_b32 s15, s0
; %bb.715:                              ;   in Loop: Header=BB335_547 Depth=1
	v_and_b32_e32 v13, 7, v12
	s_delay_alu instid0(VALU_DEP_1) | instskip(NEXT) | instid1(VALU_DEP_1)
	v_clz_i32_u32_e32 v13, v13
	v_min_u32_e32 v83, 32, v13
	s_delay_alu instid0(VALU_DEP_1) | instskip(SKIP_1) | instid1(VALU_DEP_2)
	v_subrev_nc_u32_e32 v13, 28, v83
	v_sub_nc_u32_e32 v83, 29, v83
	v_lshlrev_b64 v[13:14], v13, v[0:1]
; %bb.716:                              ;   in Loop: Header=BB335_547 Depth=1
	s_or_b32 exec_lo, exec_lo, s15
	v_lshlrev_b32_e32 v14, 8, v12
	s_delay_alu instid0(VALU_DEP_3) | instskip(NEXT) | instid1(VALU_DEP_3)
	v_lshl_add_u32 v83, v83, 10, 0x2000
	v_lshlrev_b32_e32 v13, 7, v13
	s_delay_alu instid0(VALU_DEP_2) | instskip(NEXT) | instid1(VALU_DEP_1)
	v_and_or_b32 v14, 0x8000, v14, v83
	v_and_or_b32 v13, 0x380, v13, v14
	s_delay_alu instid0(VALU_DEP_1)
	v_cvt_f32_f16_e32 v13, v13
.LBB335_717:                            ;   in Loop: Header=BB335_547 Depth=1
	s_or_b32 exec_lo, exec_lo, s13
.LBB335_718:                            ;   in Loop: Header=BB335_547 Depth=1
	s_delay_alu instid0(SALU_CYCLE_1)
	s_or_b32 exec_lo, exec_lo, s12
.LBB335_719:                            ;   in Loop: Header=BB335_547 Depth=1
	s_delay_alu instid0(SALU_CYCLE_1) | instskip(SKIP_2) | instid1(VALU_DEP_1)
	s_or_b32 exec_lo, exec_lo, s10
	v_lshrrev_b16 v0, 8, v0
	s_mov_b32 s10, exec_lo
	v_cmpx_ne_u16_e32 0, v0
	s_cbranch_execz .LBB335_727
; %bb.720:                              ;   in Loop: Header=BB335_547 Depth=1
	v_bfrev_b32_e32 v82, 1
	s_mov_b32 s12, exec_lo
	v_cmpx_ne_u16_e32 0x80, v0
	s_cbranch_execz .LBB335_726
; %bb.721:                              ;   in Loop: Header=BB335_547 Depth=1
	v_and_b32_e32 v14, 0xffff, v0
	v_mov_b32_e32 v82, 0x7fc02000
	s_mov_b32 s13, exec_lo
	s_delay_alu instid0(VALU_DEP_2) | instskip(NEXT) | instid1(VALU_DEP_1)
	v_and_b32_e32 v83, 0x7f, v14
	v_cmpx_ne_u32_e32 0x7f, v83
	s_cbranch_execz .LBB335_725
; %bb.722:                              ;   in Loop: Header=BB335_547 Depth=1
	v_and_b32_e32 v0, 7, v14
	v_lshrrev_b32_e32 v82, 3, v83
	s_mov_b32 s15, exec_lo
	v_cmpx_gt_u32_e32 8, v83
; %bb.723:                              ;   in Loop: Header=BB335_547 Depth=1
	s_delay_alu instid0(VALU_DEP_3) | instskip(NEXT) | instid1(VALU_DEP_1)
	v_clz_i32_u32_e32 v82, v0
	v_min_u32_e32 v82, 32, v82
	s_delay_alu instid0(VALU_DEP_1) | instskip(SKIP_1) | instid1(VALU_DEP_2)
	v_subrev_nc_u32_e32 v83, 28, v82
	v_sub_nc_u32_e32 v82, 29, v82
	v_lshlrev_b64 v[83:84], v83, v[0:1]
	s_delay_alu instid0(VALU_DEP_1)
	v_and_b32_e32 v0, 7, v83
; %bb.724:                              ;   in Loop: Header=BB335_547 Depth=1
	s_or_b32 exec_lo, exec_lo, s15
	v_lshlrev_b32_e32 v14, 8, v14
	v_lshl_add_u32 v82, v82, 10, 0x2000
	s_delay_alu instid0(VALU_DEP_1) | instskip(NEXT) | instid1(VALU_DEP_1)
	v_and_or_b32 v14, 0x8000, v14, v82
	v_lshl_or_b32 v0, v0, 7, v14
	s_delay_alu instid0(VALU_DEP_1)
	v_cvt_f32_f16_e32 v82, v0
.LBB335_725:                            ;   in Loop: Header=BB335_547 Depth=1
	s_or_b32 exec_lo, exec_lo, s13
.LBB335_726:                            ;   in Loop: Header=BB335_547 Depth=1
	s_delay_alu instid0(SALU_CYCLE_1)
	s_or_b32 exec_lo, exec_lo, s12
.LBB335_727:                            ;   in Loop: Header=BB335_547 Depth=1
	s_delay_alu instid0(SALU_CYCLE_1) | instskip(SKIP_3) | instid1(VALU_DEP_2)
	s_or_b32 exec_lo, exec_lo, s10
	v_lshrrev_b32_e32 v84, 16, v12
	v_mov_b32_e32 v14, 0
	s_mov_b32 s10, exec_lo
	v_dual_mov_b32 v83, 0 :: v_dual_and_b32 v0, 0xff, v84
	s_delay_alu instid0(VALU_DEP_1)
	v_cmpx_ne_u16_e32 0, v0
	s_cbranch_execz .LBB335_735
; %bb.728:                              ;   in Loop: Header=BB335_547 Depth=1
	v_bfrev_b32_e32 v14, 1
	s_mov_b32 s12, exec_lo
	v_cmpx_ne_u16_e32 0x80, v0
	s_cbranch_execz .LBB335_734
; %bb.729:                              ;   in Loop: Header=BB335_547 Depth=1
	v_bfe_u32 v85, v12, 16, 7
	v_mov_b32_e32 v14, 0x7fc02000
	s_mov_b32 s13, exec_lo
	s_delay_alu instid0(VALU_DEP_2)
	v_cmpx_ne_u32_e32 0x7f, v85
	s_cbranch_execz .LBB335_733
; %bb.730:                              ;   in Loop: Header=BB335_547 Depth=1
	v_and_b32_e32 v0, 7, v84
	v_lshrrev_b32_e32 v14, 3, v85
	s_mov_b32 s15, exec_lo
	v_cmpx_gt_u32_e32 8, v85
; %bb.731:                              ;   in Loop: Header=BB335_547 Depth=1
	s_delay_alu instid0(VALU_DEP_3) | instskip(NEXT) | instid1(VALU_DEP_1)
	v_clz_i32_u32_e32 v14, v0
	v_min_u32_e32 v14, 32, v14
	s_delay_alu instid0(VALU_DEP_1) | instskip(SKIP_1) | instid1(VALU_DEP_2)
	v_subrev_nc_u32_e32 v85, 28, v14
	v_sub_nc_u32_e32 v14, 29, v14
	v_lshlrev_b64 v[85:86], v85, v[0:1]
	s_delay_alu instid0(VALU_DEP_1)
	v_and_b32_e32 v0, 7, v85
; %bb.732:                              ;   in Loop: Header=BB335_547 Depth=1
	s_or_b32 exec_lo, exec_lo, s15
	v_lshlrev_b32_e32 v84, 8, v84
	v_lshl_add_u32 v14, v14, 10, 0x2000
	s_delay_alu instid0(VALU_DEP_1) | instskip(NEXT) | instid1(VALU_DEP_1)
	v_and_or_b32 v14, 0x8000, v84, v14
	v_lshl_or_b32 v0, v0, 7, v14
	s_delay_alu instid0(VALU_DEP_1)
	v_cvt_f32_f16_e32 v14, v0
.LBB335_733:                            ;   in Loop: Header=BB335_547 Depth=1
	s_or_b32 exec_lo, exec_lo, s13
.LBB335_734:                            ;   in Loop: Header=BB335_547 Depth=1
	s_delay_alu instid0(SALU_CYCLE_1)
	s_or_b32 exec_lo, exec_lo, s12
.LBB335_735:                            ;   in Loop: Header=BB335_547 Depth=1
	s_delay_alu instid0(SALU_CYCLE_1) | instskip(NEXT) | instid1(SALU_CYCLE_1)
	s_or_b32 exec_lo, exec_lo, s10
	s_mov_b32 s10, exec_lo
	v_cmpx_lt_u64_e64 s[8:9], v[11:12]
	s_cbranch_execz .LBB335_743
; %bb.736:                              ;   in Loop: Header=BB335_547 Depth=1
	v_lshrrev_b32_e32 v11, 24, v12
	v_bfrev_b32_e32 v83, 1
	s_mov_b32 s12, exec_lo
	s_delay_alu instid0(VALU_DEP_2)
	v_cmpx_ne_u32_e32 0x80, v11
	s_cbranch_execz .LBB335_742
; %bb.737:                              ;   in Loop: Header=BB335_547 Depth=1
	v_and_b32_e32 v84, 0x7f, v11
	v_mov_b32_e32 v83, 0x7fc02000
	s_mov_b32 s13, exec_lo
	s_delay_alu instid0(VALU_DEP_2)
	v_cmpx_ne_u32_e32 0x7f, v84
	s_cbranch_execz .LBB335_741
; %bb.738:                              ;   in Loop: Header=BB335_547 Depth=1
	v_and_b32_e32 v0, 7, v11
	v_lshrrev_b32_e32 v12, 3, v84
	s_mov_b32 s15, exec_lo
	v_cmpx_gt_u32_e32 8, v84
; %bb.739:                              ;   in Loop: Header=BB335_547 Depth=1
	s_delay_alu instid0(VALU_DEP_3) | instskip(NEXT) | instid1(VALU_DEP_1)
	v_clz_i32_u32_e32 v12, v0
	v_min_u32_e32 v12, 32, v12
	s_delay_alu instid0(VALU_DEP_1) | instskip(SKIP_1) | instid1(VALU_DEP_2)
	v_subrev_nc_u32_e32 v83, 28, v12
	v_sub_nc_u32_e32 v12, 29, v12
	v_lshlrev_b64 v[83:84], v83, v[0:1]
	s_delay_alu instid0(VALU_DEP_1)
	v_and_b32_e32 v0, 7, v83
; %bb.740:                              ;   in Loop: Header=BB335_547 Depth=1
	s_or_b32 exec_lo, exec_lo, s15
	v_lshlrev_b32_e32 v11, 8, v11
	v_lshl_add_u32 v12, v12, 10, 0x2000
	s_delay_alu instid0(VALU_DEP_1) | instskip(NEXT) | instid1(VALU_DEP_1)
	v_and_or_b32 v11, 0x8000, v11, v12
	v_lshl_or_b32 v0, v0, 7, v11
	s_delay_alu instid0(VALU_DEP_1)
	v_cvt_f32_f16_e32 v83, v0
.LBB335_741:                            ;   in Loop: Header=BB335_547 Depth=1
	s_or_b32 exec_lo, exec_lo, s13
.LBB335_742:                            ;   in Loop: Header=BB335_547 Depth=1
	s_delay_alu instid0(SALU_CYCLE_1)
	s_or_b32 exec_lo, exec_lo, s12
.LBB335_743:                            ;   in Loop: Header=BB335_547 Depth=1
	s_delay_alu instid0(SALU_CYCLE_1)
	s_or_b32 exec_lo, exec_lo, s10
	s_waitcnt vmcnt(0) lgkmcnt(0)
	v_fma_mixlo_f16 v12, v69, v71, 0
	v_fma_mixlo_f16 v0, v69, v81, 0
	;; [unrolled: 1-line block ×5, first 2 shown]
	v_lshlrev_b32_e32 v71, 16, v12
	v_fma_mixlo_f16 v13, v69, v13, 0
	v_fma_mixlo_f16 v81, v69, v83, 0
	;; [unrolled: 1-line block ×3, first 2 shown]
	v_lshlrev_b32_e32 v0, 16, v0
	v_and_b32_e32 v11, 0xffff, v11
	v_and_b32_e32 v14, 0xffff, v70
	v_lshlrev_b32_e32 v69, 16, v80
	v_and_b32_e32 v70, 0xffff, v13
	v_lshlrev_b32_e32 v80, 16, v81
	v_and_b32_e32 v81, 0xffff, v12
	v_or_b32_e32 v13, v0, v11
	v_or_b32_e32 v14, v71, v14
	;; [unrolled: 1-line block ×3, first 2 shown]
	s_delay_alu instid0(VALU_DEP_4)
	v_or_b32_e32 v11, v80, v81
	s_and_saveexec_b32 s10, vcc_lo
	s_cbranch_execz .LBB335_745
; %bb.744:                              ;   in Loop: Header=BB335_547 Depth=1
	v_cmp_lt_i32_e64 s0, v15, v33
	v_lshrrev_b32_e32 v69, 16, v14
	v_lshrrev_b32_e32 v70, 16, v13
	;; [unrolled: 1-line block ×4, first 2 shown]
	v_cndmask_b32_e64 v14, 0, v14, s0
	v_cmp_lt_i32_e64 s0, v52, v37
	s_delay_alu instid0(VALU_DEP_1) | instskip(SKIP_1) | instid1(VALU_DEP_2)
	v_cndmask_b32_e64 v69, 0, v69, s0
	v_cmp_lt_i32_e64 s0, v51, v37
	v_perm_b32 v14, v69, v14, 0x5040100
	s_delay_alu instid0(VALU_DEP_2) | instskip(SKIP_1) | instid1(VALU_DEP_1)
	v_cndmask_b32_e64 v70, 0, v70, s0
	v_cmp_lt_i32_e64 s0, v50, v33
	v_cndmask_b32_e64 v13, 0, v13, s0
	v_cmp_lt_i32_e64 s0, v49, v37
	s_delay_alu instid0(VALU_DEP_2) | instskip(NEXT) | instid1(VALU_DEP_2)
	v_perm_b32 v13, v70, v13, 0x5040100
	v_cndmask_b32_e64 v71, 0, v71, s0
	v_cmp_lt_i32_e64 s0, v38, v33
	s_delay_alu instid0(VALU_DEP_1) | instskip(SKIP_1) | instid1(VALU_DEP_2)
	v_cndmask_b32_e64 v0, 0, v0, s0
	v_cmp_lt_i32_e64 s0, v23, v37
	v_perm_b32 v0, v71, v0, 0x5040100
	s_delay_alu instid0(VALU_DEP_2) | instskip(SKIP_1) | instid1(VALU_DEP_1)
	v_cndmask_b32_e64 v11, 0, v11, s0
	v_cmp_lt_i32_e64 s0, v17, v33
	v_cndmask_b32_e64 v12, 0, v12, s0
	s_delay_alu instid0(VALU_DEP_1)
	v_perm_b32 v11, v11, v12, 0x5040100
.LBB335_745:                            ;   in Loop: Header=BB335_547 Depth=1
	s_or_b32 exec_lo, exec_lo, s10
	;;#ASMSTART
	v_pk_mul_f16 v12, v64, v14;

	;;#ASMEND
	;;#ASMSTART
	v_pk_mul_f16 v13, v55, v13;

	;;#ASMEND
	;; [unrolled: 4-line block ×4, first 2 shown]
	;;#ASMSTART
	v_pk_add_f16 v12, v12, v13;

	;;#ASMEND
	;;#ASMSTART
	v_pk_add_f16 v0, v12, v0;

	;;#ASMEND
	;; [unrolled: 4-line block ×3, first 2 shown]
	v_dual_mov_b32 v80, 0 :: v_dual_and_b32 v11, 0xffff, v0
	v_lshrrev_b32_e32 v0, 16, v0
	;;#ASMSTART
	v_cvt_f32_f16 v69, v11;
	;;#ASMEND
	;;#ASMSTART
	v_cvt_f32_f16 v70, v0;
	;;#ASMEND
	flat_load_b64 v[11:12], v[9:10] offset:768
	flat_load_b32 v71, v[26:27]
	s_mov_b32 s10, exec_lo
	s_waitcnt vmcnt(1) lgkmcnt(1)
	v_dual_mov_b32 v81, 0 :: v_dual_and_b32 v0, 0xff, v11
	s_delay_alu instid0(VALU_DEP_1)
	v_cmpx_ne_u16_e32 0, v0
	s_cbranch_execz .LBB335_753
; %bb.746:                              ;   in Loop: Header=BB335_547 Depth=1
	v_bfrev_b32_e32 v80, 1
	s_mov_b32 s12, exec_lo
	v_cmpx_ne_u16_e32 0x80, v0
	s_cbranch_execz .LBB335_752
; %bb.747:                              ;   in Loop: Header=BB335_547 Depth=1
	v_and_b32_e32 v13, 0x7f, v11
	v_mov_b32_e32 v80, 0x7fc02000
	s_mov_b32 s13, exec_lo
	s_delay_alu instid0(VALU_DEP_2)
	v_cmpx_ne_u32_e32 0x7f, v13
	s_cbranch_execz .LBB335_751
; %bb.748:                              ;   in Loop: Header=BB335_547 Depth=1
	v_lshrrev_b32_e32 v0, 3, v13
	v_cmp_gt_u32_e64 s0, 8, v13
	v_dual_mov_b32 v14, v12 :: v_dual_mov_b32 v13, v11
	s_delay_alu instid0(VALU_DEP_2)
	s_and_saveexec_b32 s15, s0
; %bb.749:                              ;   in Loop: Header=BB335_547 Depth=1
	v_and_b32_e32 v0, 7, v11
	s_delay_alu instid0(VALU_DEP_1) | instskip(NEXT) | instid1(VALU_DEP_1)
	v_clz_i32_u32_e32 v0, v0
	v_min_u32_e32 v0, 32, v0
	s_delay_alu instid0(VALU_DEP_1) | instskip(SKIP_1) | instid1(VALU_DEP_2)
	v_subrev_nc_u32_e32 v13, 28, v0
	v_sub_nc_u32_e32 v0, 29, v0
	v_lshlrev_b64 v[13:14], v13, v[11:12]
; %bb.750:                              ;   in Loop: Header=BB335_547 Depth=1
	s_or_b32 exec_lo, exec_lo, s15
	v_lshlrev_b32_e32 v14, 8, v11
	s_delay_alu instid0(VALU_DEP_3) | instskip(NEXT) | instid1(VALU_DEP_3)
	v_lshl_add_u32 v0, v0, 10, 0x2000
	v_lshlrev_b32_e32 v13, 7, v13
	s_delay_alu instid0(VALU_DEP_2) | instskip(NEXT) | instid1(VALU_DEP_1)
	v_and_or_b32 v0, 0x8000, v14, v0
	v_and_or_b32 v0, 0x380, v13, v0
	s_delay_alu instid0(VALU_DEP_1)
	v_cvt_f32_f16_e32 v80, v0
.LBB335_751:                            ;   in Loop: Header=BB335_547 Depth=1
	s_or_b32 exec_lo, exec_lo, s13
.LBB335_752:                            ;   in Loop: Header=BB335_547 Depth=1
	s_delay_alu instid0(SALU_CYCLE_1)
	s_or_b32 exec_lo, exec_lo, s12
.LBB335_753:                            ;   in Loop: Header=BB335_547 Depth=1
	s_delay_alu instid0(SALU_CYCLE_1) | instskip(SKIP_2) | instid1(VALU_DEP_1)
	s_or_b32 exec_lo, exec_lo, s10
	v_lshrrev_b16 v0, 8, v11
	s_mov_b32 s10, exec_lo
	v_cmpx_ne_u16_e32 0, v0
	s_cbranch_execz .LBB335_761
; %bb.754:                              ;   in Loop: Header=BB335_547 Depth=1
	v_bfrev_b32_e32 v81, 1
	s_mov_b32 s12, exec_lo
	v_cmpx_ne_u16_e32 0x80, v0
	s_cbranch_execz .LBB335_760
; %bb.755:                              ;   in Loop: Header=BB335_547 Depth=1
	v_and_b32_e32 v13, 0xffff, v0
	v_mov_b32_e32 v81, 0x7fc02000
	s_mov_b32 s13, exec_lo
	s_delay_alu instid0(VALU_DEP_2) | instskip(NEXT) | instid1(VALU_DEP_1)
	v_and_b32_e32 v82, 0x7f, v13
	v_cmpx_ne_u32_e32 0x7f, v82
	s_cbranch_execz .LBB335_759
; %bb.756:                              ;   in Loop: Header=BB335_547 Depth=1
	v_and_b32_e32 v0, 7, v13
	v_lshrrev_b32_e32 v14, 3, v82
	s_mov_b32 s15, exec_lo
	v_cmpx_gt_u32_e32 8, v82
; %bb.757:                              ;   in Loop: Header=BB335_547 Depth=1
	s_delay_alu instid0(VALU_DEP_3) | instskip(NEXT) | instid1(VALU_DEP_1)
	v_clz_i32_u32_e32 v14, v0
	v_min_u32_e32 v14, 32, v14
	s_delay_alu instid0(VALU_DEP_1) | instskip(SKIP_1) | instid1(VALU_DEP_2)
	v_subrev_nc_u32_e32 v81, 28, v14
	v_sub_nc_u32_e32 v14, 29, v14
	v_lshlrev_b64 v[81:82], v81, v[0:1]
	s_delay_alu instid0(VALU_DEP_1)
	v_and_b32_e32 v0, 7, v81
; %bb.758:                              ;   in Loop: Header=BB335_547 Depth=1
	s_or_b32 exec_lo, exec_lo, s15
	v_lshlrev_b32_e32 v13, 8, v13
	v_lshl_add_u32 v14, v14, 10, 0x2000
	s_delay_alu instid0(VALU_DEP_1) | instskip(NEXT) | instid1(VALU_DEP_1)
	v_and_or_b32 v13, 0x8000, v13, v14
	v_lshl_or_b32 v0, v0, 7, v13
	s_delay_alu instid0(VALU_DEP_1)
	v_cvt_f32_f16_e32 v81, v0
.LBB335_759:                            ;   in Loop: Header=BB335_547 Depth=1
	s_or_b32 exec_lo, exec_lo, s13
.LBB335_760:                            ;   in Loop: Header=BB335_547 Depth=1
	s_delay_alu instid0(SALU_CYCLE_1)
	s_or_b32 exec_lo, exec_lo, s12
.LBB335_761:                            ;   in Loop: Header=BB335_547 Depth=1
	s_delay_alu instid0(SALU_CYCLE_1) | instskip(SKIP_3) | instid1(VALU_DEP_2)
	s_or_b32 exec_lo, exec_lo, s10
	v_lshrrev_b32_e32 v13, 16, v11
	v_mov_b32_e32 v82, 0
	s_mov_b32 s10, exec_lo
	v_dual_mov_b32 v83, 0 :: v_dual_and_b32 v0, 0xff, v13
	s_delay_alu instid0(VALU_DEP_1)
	v_cmpx_ne_u16_e32 0, v0
	s_cbranch_execz .LBB335_769
; %bb.762:                              ;   in Loop: Header=BB335_547 Depth=1
	v_bfrev_b32_e32 v82, 1
	s_mov_b32 s12, exec_lo
	v_cmpx_ne_u16_e32 0x80, v0
	s_cbranch_execz .LBB335_768
; %bb.763:                              ;   in Loop: Header=BB335_547 Depth=1
	v_bfe_u32 v84, v11, 16, 7
	v_mov_b32_e32 v82, 0x7fc02000
	s_mov_b32 s13, exec_lo
	s_delay_alu instid0(VALU_DEP_2)
	v_cmpx_ne_u32_e32 0x7f, v84
	s_cbranch_execz .LBB335_767
; %bb.764:                              ;   in Loop: Header=BB335_547 Depth=1
	v_and_b32_e32 v0, 7, v13
	v_lshrrev_b32_e32 v14, 3, v84
	s_mov_b32 s15, exec_lo
	v_cmpx_gt_u32_e32 8, v84
; %bb.765:                              ;   in Loop: Header=BB335_547 Depth=1
	s_delay_alu instid0(VALU_DEP_3) | instskip(NEXT) | instid1(VALU_DEP_1)
	v_clz_i32_u32_e32 v14, v0
	v_min_u32_e32 v14, 32, v14
	s_delay_alu instid0(VALU_DEP_1) | instskip(SKIP_1) | instid1(VALU_DEP_2)
	v_subrev_nc_u32_e32 v82, 28, v14
	v_sub_nc_u32_e32 v14, 29, v14
	v_lshlrev_b64 v[84:85], v82, v[0:1]
	s_delay_alu instid0(VALU_DEP_1)
	v_and_b32_e32 v0, 7, v84
; %bb.766:                              ;   in Loop: Header=BB335_547 Depth=1
	s_or_b32 exec_lo, exec_lo, s15
	v_lshlrev_b32_e32 v13, 8, v13
	v_lshl_add_u32 v14, v14, 10, 0x2000
	s_delay_alu instid0(VALU_DEP_1) | instskip(NEXT) | instid1(VALU_DEP_1)
	v_and_or_b32 v13, 0x8000, v13, v14
	v_lshl_or_b32 v0, v0, 7, v13
	s_delay_alu instid0(VALU_DEP_1)
	v_cvt_f32_f16_e32 v82, v0
.LBB335_767:                            ;   in Loop: Header=BB335_547 Depth=1
	s_or_b32 exec_lo, exec_lo, s13
.LBB335_768:                            ;   in Loop: Header=BB335_547 Depth=1
	s_delay_alu instid0(SALU_CYCLE_1)
	s_or_b32 exec_lo, exec_lo, s12
.LBB335_769:                            ;   in Loop: Header=BB335_547 Depth=1
	s_delay_alu instid0(SALU_CYCLE_1) | instskip(NEXT) | instid1(SALU_CYCLE_1)
	s_or_b32 exec_lo, exec_lo, s10
	s_mov_b32 s10, exec_lo
	v_cmpx_lt_u32_e32 0xffffff, v11
	s_cbranch_execz .LBB335_777
; %bb.770:                              ;   in Loop: Header=BB335_547 Depth=1
	v_lshrrev_b32_e32 v13, 24, v11
	v_bfrev_b32_e32 v83, 1
	s_mov_b32 s12, exec_lo
	s_delay_alu instid0(VALU_DEP_2)
	v_cmpx_ne_u32_e32 0x80, v13
	s_cbranch_execz .LBB335_776
; %bb.771:                              ;   in Loop: Header=BB335_547 Depth=1
	v_and_b32_e32 v84, 0x7f, v13
	v_mov_b32_e32 v83, 0x7fc02000
	s_mov_b32 s13, exec_lo
	s_delay_alu instid0(VALU_DEP_2)
	v_cmpx_ne_u32_e32 0x7f, v84
	s_cbranch_execz .LBB335_775
; %bb.772:                              ;   in Loop: Header=BB335_547 Depth=1
	v_and_b32_e32 v0, 7, v13
	v_lshrrev_b32_e32 v14, 3, v84
	s_mov_b32 s15, exec_lo
	v_cmpx_gt_u32_e32 8, v84
; %bb.773:                              ;   in Loop: Header=BB335_547 Depth=1
	s_delay_alu instid0(VALU_DEP_3) | instskip(NEXT) | instid1(VALU_DEP_1)
	v_clz_i32_u32_e32 v14, v0
	v_min_u32_e32 v14, 32, v14
	s_delay_alu instid0(VALU_DEP_1) | instskip(SKIP_1) | instid1(VALU_DEP_2)
	v_subrev_nc_u32_e32 v83, 28, v14
	v_sub_nc_u32_e32 v14, 29, v14
	v_lshlrev_b64 v[83:84], v83, v[0:1]
	s_delay_alu instid0(VALU_DEP_1)
	v_and_b32_e32 v0, 7, v83
; %bb.774:                              ;   in Loop: Header=BB335_547 Depth=1
	s_or_b32 exec_lo, exec_lo, s15
	v_lshlrev_b32_e32 v13, 8, v13
	v_lshl_add_u32 v14, v14, 10, 0x2000
	s_delay_alu instid0(VALU_DEP_1) | instskip(NEXT) | instid1(VALU_DEP_1)
	v_and_or_b32 v13, 0x8000, v13, v14
	v_lshl_or_b32 v0, v0, 7, v13
	s_delay_alu instid0(VALU_DEP_1)
	v_cvt_f32_f16_e32 v83, v0
.LBB335_775:                            ;   in Loop: Header=BB335_547 Depth=1
	s_or_b32 exec_lo, exec_lo, s13
.LBB335_776:                            ;   in Loop: Header=BB335_547 Depth=1
	s_delay_alu instid0(SALU_CYCLE_1)
	s_or_b32 exec_lo, exec_lo, s12
.LBB335_777:                            ;   in Loop: Header=BB335_547 Depth=1
	s_delay_alu instid0(SALU_CYCLE_1) | instskip(SKIP_4) | instid1(VALU_DEP_3)
	s_or_b32 exec_lo, exec_lo, s10
	v_dual_mov_b32 v13, 0 :: v_dual_and_b32 v14, 0xff, v12
	v_mov_b32_e32 v0, v12
	v_mov_b32_e32 v84, 0
	s_mov_b32 s10, exec_lo
	v_cmpx_ne_u16_e32 0, v14
	s_cbranch_execz .LBB335_785
; %bb.778:                              ;   in Loop: Header=BB335_547 Depth=1
	v_bfrev_b32_e32 v13, 1
	s_mov_b32 s12, exec_lo
	v_cmpx_ne_u16_e32 0x80, v14
	s_cbranch_execz .LBB335_784
; %bb.779:                              ;   in Loop: Header=BB335_547 Depth=1
	v_and_b32_e32 v14, 0x7f, v12
	v_mov_b32_e32 v13, 0x7fc02000
	s_mov_b32 s13, exec_lo
	s_delay_alu instid0(VALU_DEP_2)
	v_cmpx_ne_u32_e32 0x7f, v14
	s_cbranch_execz .LBB335_783
; %bb.780:                              ;   in Loop: Header=BB335_547 Depth=1
	v_lshrrev_b32_e32 v85, 3, v14
	v_cmp_gt_u32_e64 s0, 8, v14
	v_dual_mov_b32 v14, v1 :: v_dual_mov_b32 v13, v0
	s_delay_alu instid0(VALU_DEP_2)
	s_and_saveexec_b32 s15, s0
; %bb.781:                              ;   in Loop: Header=BB335_547 Depth=1
	v_and_b32_e32 v13, 7, v12
	s_delay_alu instid0(VALU_DEP_1) | instskip(NEXT) | instid1(VALU_DEP_1)
	v_clz_i32_u32_e32 v13, v13
	v_min_u32_e32 v85, 32, v13
	s_delay_alu instid0(VALU_DEP_1) | instskip(SKIP_1) | instid1(VALU_DEP_2)
	v_subrev_nc_u32_e32 v13, 28, v85
	v_sub_nc_u32_e32 v85, 29, v85
	v_lshlrev_b64 v[13:14], v13, v[0:1]
; %bb.782:                              ;   in Loop: Header=BB335_547 Depth=1
	s_or_b32 exec_lo, exec_lo, s15
	v_lshlrev_b32_e32 v14, 8, v12
	s_delay_alu instid0(VALU_DEP_3) | instskip(NEXT) | instid1(VALU_DEP_3)
	v_lshl_add_u32 v85, v85, 10, 0x2000
	v_lshlrev_b32_e32 v13, 7, v13
	s_delay_alu instid0(VALU_DEP_2) | instskip(NEXT) | instid1(VALU_DEP_1)
	v_and_or_b32 v14, 0x8000, v14, v85
	v_and_or_b32 v13, 0x380, v13, v14
	s_delay_alu instid0(VALU_DEP_1)
	v_cvt_f32_f16_e32 v13, v13
.LBB335_783:                            ;   in Loop: Header=BB335_547 Depth=1
	s_or_b32 exec_lo, exec_lo, s13
.LBB335_784:                            ;   in Loop: Header=BB335_547 Depth=1
	s_delay_alu instid0(SALU_CYCLE_1)
	s_or_b32 exec_lo, exec_lo, s12
.LBB335_785:                            ;   in Loop: Header=BB335_547 Depth=1
	s_delay_alu instid0(SALU_CYCLE_1) | instskip(SKIP_2) | instid1(VALU_DEP_1)
	s_or_b32 exec_lo, exec_lo, s10
	v_lshrrev_b16 v0, 8, v0
	s_mov_b32 s10, exec_lo
	v_cmpx_ne_u16_e32 0, v0
	s_cbranch_execz .LBB335_793
; %bb.786:                              ;   in Loop: Header=BB335_547 Depth=1
	v_bfrev_b32_e32 v84, 1
	s_mov_b32 s12, exec_lo
	v_cmpx_ne_u16_e32 0x80, v0
	s_cbranch_execz .LBB335_792
; %bb.787:                              ;   in Loop: Header=BB335_547 Depth=1
	v_and_b32_e32 v14, 0xffff, v0
	v_mov_b32_e32 v84, 0x7fc02000
	s_mov_b32 s13, exec_lo
	s_delay_alu instid0(VALU_DEP_2) | instskip(NEXT) | instid1(VALU_DEP_1)
	v_and_b32_e32 v85, 0x7f, v14
	v_cmpx_ne_u32_e32 0x7f, v85
	s_cbranch_execz .LBB335_791
; %bb.788:                              ;   in Loop: Header=BB335_547 Depth=1
	v_and_b32_e32 v0, 7, v14
	v_lshrrev_b32_e32 v84, 3, v85
	s_mov_b32 s15, exec_lo
	v_cmpx_gt_u32_e32 8, v85
; %bb.789:                              ;   in Loop: Header=BB335_547 Depth=1
	s_delay_alu instid0(VALU_DEP_3) | instskip(NEXT) | instid1(VALU_DEP_1)
	v_clz_i32_u32_e32 v84, v0
	v_min_u32_e32 v84, 32, v84
	s_delay_alu instid0(VALU_DEP_1) | instskip(SKIP_1) | instid1(VALU_DEP_2)
	v_subrev_nc_u32_e32 v85, 28, v84
	v_sub_nc_u32_e32 v84, 29, v84
	v_lshlrev_b64 v[85:86], v85, v[0:1]
	s_delay_alu instid0(VALU_DEP_1)
	v_and_b32_e32 v0, 7, v85
; %bb.790:                              ;   in Loop: Header=BB335_547 Depth=1
	s_or_b32 exec_lo, exec_lo, s15
	v_lshlrev_b32_e32 v14, 8, v14
	v_lshl_add_u32 v84, v84, 10, 0x2000
	s_delay_alu instid0(VALU_DEP_1) | instskip(NEXT) | instid1(VALU_DEP_1)
	v_and_or_b32 v14, 0x8000, v14, v84
	v_lshl_or_b32 v0, v0, 7, v14
	s_delay_alu instid0(VALU_DEP_1)
	v_cvt_f32_f16_e32 v84, v0
.LBB335_791:                            ;   in Loop: Header=BB335_547 Depth=1
	s_or_b32 exec_lo, exec_lo, s13
.LBB335_792:                            ;   in Loop: Header=BB335_547 Depth=1
	s_delay_alu instid0(SALU_CYCLE_1)
	s_or_b32 exec_lo, exec_lo, s12
.LBB335_793:                            ;   in Loop: Header=BB335_547 Depth=1
	s_delay_alu instid0(SALU_CYCLE_1) | instskip(SKIP_3) | instid1(VALU_DEP_2)
	s_or_b32 exec_lo, exec_lo, s10
	v_lshrrev_b32_e32 v86, 16, v12
	v_mov_b32_e32 v14, 0
	s_mov_b32 s10, exec_lo
	v_dual_mov_b32 v85, 0 :: v_dual_and_b32 v0, 0xff, v86
	s_delay_alu instid0(VALU_DEP_1)
	v_cmpx_ne_u16_e32 0, v0
	s_cbranch_execz .LBB335_801
; %bb.794:                              ;   in Loop: Header=BB335_547 Depth=1
	v_bfrev_b32_e32 v14, 1
	s_mov_b32 s12, exec_lo
	v_cmpx_ne_u16_e32 0x80, v0
	s_cbranch_execz .LBB335_800
; %bb.795:                              ;   in Loop: Header=BB335_547 Depth=1
	v_bfe_u32 v87, v12, 16, 7
	v_mov_b32_e32 v14, 0x7fc02000
	s_mov_b32 s13, exec_lo
	s_delay_alu instid0(VALU_DEP_2)
	v_cmpx_ne_u32_e32 0x7f, v87
	s_cbranch_execz .LBB335_799
; %bb.796:                              ;   in Loop: Header=BB335_547 Depth=1
	v_and_b32_e32 v0, 7, v86
	v_lshrrev_b32_e32 v14, 3, v87
	s_mov_b32 s15, exec_lo
	v_cmpx_gt_u32_e32 8, v87
; %bb.797:                              ;   in Loop: Header=BB335_547 Depth=1
	s_delay_alu instid0(VALU_DEP_3) | instskip(NEXT) | instid1(VALU_DEP_1)
	v_clz_i32_u32_e32 v14, v0
	v_min_u32_e32 v14, 32, v14
	s_delay_alu instid0(VALU_DEP_1) | instskip(SKIP_1) | instid1(VALU_DEP_2)
	v_subrev_nc_u32_e32 v87, 28, v14
	v_sub_nc_u32_e32 v14, 29, v14
	v_lshlrev_b64 v[96:97], v87, v[0:1]
	s_delay_alu instid0(VALU_DEP_1)
	v_and_b32_e32 v0, 7, v96
; %bb.798:                              ;   in Loop: Header=BB335_547 Depth=1
	s_or_b32 exec_lo, exec_lo, s15
	v_lshlrev_b32_e32 v86, 8, v86
	v_lshl_add_u32 v14, v14, 10, 0x2000
	s_delay_alu instid0(VALU_DEP_1) | instskip(NEXT) | instid1(VALU_DEP_1)
	v_and_or_b32 v14, 0x8000, v86, v14
	v_lshl_or_b32 v0, v0, 7, v14
	s_delay_alu instid0(VALU_DEP_1)
	v_cvt_f32_f16_e32 v14, v0
.LBB335_799:                            ;   in Loop: Header=BB335_547 Depth=1
	s_or_b32 exec_lo, exec_lo, s13
.LBB335_800:                            ;   in Loop: Header=BB335_547 Depth=1
	s_delay_alu instid0(SALU_CYCLE_1)
	s_or_b32 exec_lo, exec_lo, s12
.LBB335_801:                            ;   in Loop: Header=BB335_547 Depth=1
	s_delay_alu instid0(SALU_CYCLE_1) | instskip(NEXT) | instid1(SALU_CYCLE_1)
	s_or_b32 exec_lo, exec_lo, s10
	s_mov_b32 s10, exec_lo
	v_cmpx_lt_u64_e64 s[8:9], v[11:12]
	s_cbranch_execz .LBB335_809
; %bb.802:                              ;   in Loop: Header=BB335_547 Depth=1
	v_lshrrev_b32_e32 v11, 24, v12
	v_bfrev_b32_e32 v85, 1
	s_mov_b32 s12, exec_lo
	s_delay_alu instid0(VALU_DEP_2)
	v_cmpx_ne_u32_e32 0x80, v11
	s_cbranch_execz .LBB335_808
; %bb.803:                              ;   in Loop: Header=BB335_547 Depth=1
	v_and_b32_e32 v86, 0x7f, v11
	v_mov_b32_e32 v85, 0x7fc02000
	s_mov_b32 s13, exec_lo
	s_delay_alu instid0(VALU_DEP_2)
	v_cmpx_ne_u32_e32 0x7f, v86
	s_cbranch_execz .LBB335_807
; %bb.804:                              ;   in Loop: Header=BB335_547 Depth=1
	v_and_b32_e32 v0, 7, v11
	v_lshrrev_b32_e32 v12, 3, v86
	s_mov_b32 s15, exec_lo
	v_cmpx_gt_u32_e32 8, v86
; %bb.805:                              ;   in Loop: Header=BB335_547 Depth=1
	s_delay_alu instid0(VALU_DEP_3) | instskip(NEXT) | instid1(VALU_DEP_1)
	v_clz_i32_u32_e32 v12, v0
	v_min_u32_e32 v12, 32, v12
	s_delay_alu instid0(VALU_DEP_1) | instskip(SKIP_1) | instid1(VALU_DEP_2)
	v_subrev_nc_u32_e32 v85, 28, v12
	v_sub_nc_u32_e32 v12, 29, v12
	v_lshlrev_b64 v[85:86], v85, v[0:1]
	s_delay_alu instid0(VALU_DEP_1)
	v_and_b32_e32 v0, 7, v85
; %bb.806:                              ;   in Loop: Header=BB335_547 Depth=1
	s_or_b32 exec_lo, exec_lo, s15
	v_lshlrev_b32_e32 v11, 8, v11
	v_lshl_add_u32 v12, v12, 10, 0x2000
	s_delay_alu instid0(VALU_DEP_1) | instskip(NEXT) | instid1(VALU_DEP_1)
	v_and_or_b32 v11, 0x8000, v11, v12
	v_lshl_or_b32 v0, v0, 7, v11
	s_delay_alu instid0(VALU_DEP_1)
	v_cvt_f32_f16_e32 v85, v0
.LBB335_807:                            ;   in Loop: Header=BB335_547 Depth=1
	s_or_b32 exec_lo, exec_lo, s13
.LBB335_808:                            ;   in Loop: Header=BB335_547 Depth=1
	s_delay_alu instid0(SALU_CYCLE_1)
	s_or_b32 exec_lo, exec_lo, s12
.LBB335_809:                            ;   in Loop: Header=BB335_547 Depth=1
	s_delay_alu instid0(SALU_CYCLE_1)
	s_or_b32 exec_lo, exec_lo, s10
	s_waitcnt vmcnt(0) lgkmcnt(0)
	v_fma_mixlo_f16 v12, v71, v81, 0
	v_fma_mixlo_f16 v0, v71, v83, 0
	;; [unrolled: 1-line block ×5, first 2 shown]
	v_lshlrev_b32_e32 v81, 16, v12
	v_fma_mixlo_f16 v13, v71, v13, 0
	v_fma_mixlo_f16 v83, v71, v85, 0
	;; [unrolled: 1-line block ×3, first 2 shown]
	v_lshlrev_b32_e32 v0, 16, v0
	v_and_b32_e32 v11, 0xffff, v11
	v_and_b32_e32 v14, 0xffff, v80
	v_lshlrev_b32_e32 v71, 16, v82
	v_and_b32_e32 v80, 0xffff, v13
	v_lshlrev_b32_e32 v82, 16, v83
	v_and_b32_e32 v83, 0xffff, v12
	v_or_b32_e32 v13, v0, v11
	v_or_b32_e32 v14, v81, v14
	;; [unrolled: 1-line block ×3, first 2 shown]
	s_delay_alu instid0(VALU_DEP_4)
	v_or_b32_e32 v11, v82, v83
	s_and_saveexec_b32 s10, vcc_lo
	s_cbranch_execz .LBB335_811
; %bb.810:                              ;   in Loop: Header=BB335_547 Depth=1
	v_cmp_lt_i32_e64 s0, v15, v33
	v_lshrrev_b32_e32 v71, 16, v14
	v_lshrrev_b32_e32 v80, 16, v13
	v_lshrrev_b32_e32 v81, 16, v0
	v_lshrrev_b32_e32 v11, 16, v11
	v_cndmask_b32_e64 v14, 0, v14, s0
	v_cmp_lt_i32_e64 s0, v52, v37
	s_delay_alu instid0(VALU_DEP_1) | instskip(SKIP_1) | instid1(VALU_DEP_2)
	v_cndmask_b32_e64 v71, 0, v71, s0
	v_cmp_lt_i32_e64 s0, v51, v37
	v_perm_b32 v14, v71, v14, 0x5040100
	s_delay_alu instid0(VALU_DEP_2) | instskip(SKIP_1) | instid1(VALU_DEP_1)
	v_cndmask_b32_e64 v80, 0, v80, s0
	v_cmp_lt_i32_e64 s0, v50, v33
	v_cndmask_b32_e64 v13, 0, v13, s0
	v_cmp_lt_i32_e64 s0, v49, v37
	s_delay_alu instid0(VALU_DEP_2) | instskip(NEXT) | instid1(VALU_DEP_2)
	v_perm_b32 v13, v80, v13, 0x5040100
	v_cndmask_b32_e64 v81, 0, v81, s0
	v_cmp_lt_i32_e64 s0, v38, v33
	s_delay_alu instid0(VALU_DEP_1) | instskip(SKIP_1) | instid1(VALU_DEP_2)
	v_cndmask_b32_e64 v0, 0, v0, s0
	v_cmp_lt_i32_e64 s0, v23, v37
	v_perm_b32 v0, v81, v0, 0x5040100
	s_delay_alu instid0(VALU_DEP_2) | instskip(SKIP_1) | instid1(VALU_DEP_1)
	v_cndmask_b32_e64 v11, 0, v11, s0
	v_cmp_lt_i32_e64 s0, v17, v33
	v_cndmask_b32_e64 v12, 0, v12, s0
	s_delay_alu instid0(VALU_DEP_1)
	v_perm_b32 v11, v11, v12, 0x5040100
.LBB335_811:                            ;   in Loop: Header=BB335_547 Depth=1
	s_or_b32 exec_lo, exec_lo, s10
	;;#ASMSTART
	v_pk_mul_f16 v12, v64, v14;

	;;#ASMEND
	;;#ASMSTART
	v_pk_mul_f16 v13, v55, v13;

	;;#ASMEND
	;; [unrolled: 4-line block ×4, first 2 shown]
	;;#ASMSTART
	v_pk_add_f16 v12, v12, v13;

	;;#ASMEND
	;;#ASMSTART
	v_pk_add_f16 v0, v12, v0;

	;;#ASMEND
	;; [unrolled: 4-line block ×3, first 2 shown]
	v_dual_mov_b32 v82, 0 :: v_dual_and_b32 v11, 0xffff, v0
	v_lshrrev_b32_e32 v0, 16, v0
	;;#ASMSTART
	v_cvt_f32_f16 v71, v11;
	;;#ASMEND
	;;#ASMSTART
	v_cvt_f32_f16 v80, v0;
	;;#ASMEND
	flat_load_b64 v[11:12], v[9:10] offset:1024
	flat_load_b32 v81, v[26:27]
	s_mov_b32 s10, exec_lo
	s_waitcnt vmcnt(1) lgkmcnt(1)
	v_dual_mov_b32 v83, 0 :: v_dual_and_b32 v0, 0xff, v11
	s_delay_alu instid0(VALU_DEP_1)
	v_cmpx_ne_u16_e32 0, v0
	s_cbranch_execz .LBB335_819
; %bb.812:                              ;   in Loop: Header=BB335_547 Depth=1
	v_bfrev_b32_e32 v82, 1
	s_mov_b32 s12, exec_lo
	v_cmpx_ne_u16_e32 0x80, v0
	s_cbranch_execz .LBB335_818
; %bb.813:                              ;   in Loop: Header=BB335_547 Depth=1
	v_and_b32_e32 v13, 0x7f, v11
	v_mov_b32_e32 v82, 0x7fc02000
	s_mov_b32 s13, exec_lo
	s_delay_alu instid0(VALU_DEP_2)
	v_cmpx_ne_u32_e32 0x7f, v13
	s_cbranch_execz .LBB335_817
; %bb.814:                              ;   in Loop: Header=BB335_547 Depth=1
	v_lshrrev_b32_e32 v0, 3, v13
	v_cmp_gt_u32_e64 s0, 8, v13
	v_dual_mov_b32 v14, v12 :: v_dual_mov_b32 v13, v11
	s_delay_alu instid0(VALU_DEP_2)
	s_and_saveexec_b32 s15, s0
; %bb.815:                              ;   in Loop: Header=BB335_547 Depth=1
	v_and_b32_e32 v0, 7, v11
	s_delay_alu instid0(VALU_DEP_1) | instskip(NEXT) | instid1(VALU_DEP_1)
	v_clz_i32_u32_e32 v0, v0
	v_min_u32_e32 v0, 32, v0
	s_delay_alu instid0(VALU_DEP_1) | instskip(SKIP_1) | instid1(VALU_DEP_2)
	v_subrev_nc_u32_e32 v13, 28, v0
	v_sub_nc_u32_e32 v0, 29, v0
	v_lshlrev_b64 v[13:14], v13, v[11:12]
; %bb.816:                              ;   in Loop: Header=BB335_547 Depth=1
	s_or_b32 exec_lo, exec_lo, s15
	v_lshlrev_b32_e32 v14, 8, v11
	s_delay_alu instid0(VALU_DEP_3) | instskip(NEXT) | instid1(VALU_DEP_3)
	v_lshl_add_u32 v0, v0, 10, 0x2000
	v_lshlrev_b32_e32 v13, 7, v13
	s_delay_alu instid0(VALU_DEP_2) | instskip(NEXT) | instid1(VALU_DEP_1)
	v_and_or_b32 v0, 0x8000, v14, v0
	v_and_or_b32 v0, 0x380, v13, v0
	s_delay_alu instid0(VALU_DEP_1)
	v_cvt_f32_f16_e32 v82, v0
.LBB335_817:                            ;   in Loop: Header=BB335_547 Depth=1
	s_or_b32 exec_lo, exec_lo, s13
.LBB335_818:                            ;   in Loop: Header=BB335_547 Depth=1
	s_delay_alu instid0(SALU_CYCLE_1)
	s_or_b32 exec_lo, exec_lo, s12
.LBB335_819:                            ;   in Loop: Header=BB335_547 Depth=1
	s_delay_alu instid0(SALU_CYCLE_1) | instskip(SKIP_2) | instid1(VALU_DEP_1)
	s_or_b32 exec_lo, exec_lo, s10
	v_lshrrev_b16 v0, 8, v11
	s_mov_b32 s10, exec_lo
	v_cmpx_ne_u16_e32 0, v0
	s_cbranch_execz .LBB335_827
; %bb.820:                              ;   in Loop: Header=BB335_547 Depth=1
	v_bfrev_b32_e32 v83, 1
	s_mov_b32 s12, exec_lo
	v_cmpx_ne_u16_e32 0x80, v0
	s_cbranch_execz .LBB335_826
; %bb.821:                              ;   in Loop: Header=BB335_547 Depth=1
	v_and_b32_e32 v13, 0xffff, v0
	v_mov_b32_e32 v83, 0x7fc02000
	s_mov_b32 s13, exec_lo
	s_delay_alu instid0(VALU_DEP_2) | instskip(NEXT) | instid1(VALU_DEP_1)
	v_and_b32_e32 v84, 0x7f, v13
	v_cmpx_ne_u32_e32 0x7f, v84
	s_cbranch_execz .LBB335_825
; %bb.822:                              ;   in Loop: Header=BB335_547 Depth=1
	v_and_b32_e32 v0, 7, v13
	v_lshrrev_b32_e32 v14, 3, v84
	s_mov_b32 s15, exec_lo
	v_cmpx_gt_u32_e32 8, v84
; %bb.823:                              ;   in Loop: Header=BB335_547 Depth=1
	s_delay_alu instid0(VALU_DEP_3) | instskip(NEXT) | instid1(VALU_DEP_1)
	v_clz_i32_u32_e32 v14, v0
	v_min_u32_e32 v14, 32, v14
	s_delay_alu instid0(VALU_DEP_1) | instskip(SKIP_1) | instid1(VALU_DEP_2)
	v_subrev_nc_u32_e32 v83, 28, v14
	v_sub_nc_u32_e32 v14, 29, v14
	v_lshlrev_b64 v[83:84], v83, v[0:1]
	s_delay_alu instid0(VALU_DEP_1)
	v_and_b32_e32 v0, 7, v83
; %bb.824:                              ;   in Loop: Header=BB335_547 Depth=1
	s_or_b32 exec_lo, exec_lo, s15
	v_lshlrev_b32_e32 v13, 8, v13
	v_lshl_add_u32 v14, v14, 10, 0x2000
	s_delay_alu instid0(VALU_DEP_1) | instskip(NEXT) | instid1(VALU_DEP_1)
	v_and_or_b32 v13, 0x8000, v13, v14
	v_lshl_or_b32 v0, v0, 7, v13
	s_delay_alu instid0(VALU_DEP_1)
	v_cvt_f32_f16_e32 v83, v0
.LBB335_825:                            ;   in Loop: Header=BB335_547 Depth=1
	s_or_b32 exec_lo, exec_lo, s13
.LBB335_826:                            ;   in Loop: Header=BB335_547 Depth=1
	s_delay_alu instid0(SALU_CYCLE_1)
	s_or_b32 exec_lo, exec_lo, s12
.LBB335_827:                            ;   in Loop: Header=BB335_547 Depth=1
	s_delay_alu instid0(SALU_CYCLE_1) | instskip(SKIP_3) | instid1(VALU_DEP_2)
	s_or_b32 exec_lo, exec_lo, s10
	v_lshrrev_b32_e32 v13, 16, v11
	v_mov_b32_e32 v84, 0
	s_mov_b32 s10, exec_lo
	v_dual_mov_b32 v85, 0 :: v_dual_and_b32 v0, 0xff, v13
	s_delay_alu instid0(VALU_DEP_1)
	v_cmpx_ne_u16_e32 0, v0
	s_cbranch_execz .LBB335_835
; %bb.828:                              ;   in Loop: Header=BB335_547 Depth=1
	v_bfrev_b32_e32 v84, 1
	s_mov_b32 s12, exec_lo
	v_cmpx_ne_u16_e32 0x80, v0
	s_cbranch_execz .LBB335_834
; %bb.829:                              ;   in Loop: Header=BB335_547 Depth=1
	v_bfe_u32 v86, v11, 16, 7
	v_mov_b32_e32 v84, 0x7fc02000
	s_mov_b32 s13, exec_lo
	s_delay_alu instid0(VALU_DEP_2)
	v_cmpx_ne_u32_e32 0x7f, v86
	s_cbranch_execz .LBB335_833
; %bb.830:                              ;   in Loop: Header=BB335_547 Depth=1
	v_and_b32_e32 v0, 7, v13
	v_lshrrev_b32_e32 v14, 3, v86
	s_mov_b32 s15, exec_lo
	v_cmpx_gt_u32_e32 8, v86
; %bb.831:                              ;   in Loop: Header=BB335_547 Depth=1
	s_delay_alu instid0(VALU_DEP_3) | instskip(NEXT) | instid1(VALU_DEP_1)
	v_clz_i32_u32_e32 v14, v0
	v_min_u32_e32 v14, 32, v14
	s_delay_alu instid0(VALU_DEP_1) | instskip(SKIP_1) | instid1(VALU_DEP_2)
	v_subrev_nc_u32_e32 v84, 28, v14
	v_sub_nc_u32_e32 v14, 29, v14
	v_lshlrev_b64 v[86:87], v84, v[0:1]
	s_delay_alu instid0(VALU_DEP_1)
	v_and_b32_e32 v0, 7, v86
; %bb.832:                              ;   in Loop: Header=BB335_547 Depth=1
	s_or_b32 exec_lo, exec_lo, s15
	v_lshlrev_b32_e32 v13, 8, v13
	v_lshl_add_u32 v14, v14, 10, 0x2000
	s_delay_alu instid0(VALU_DEP_1) | instskip(NEXT) | instid1(VALU_DEP_1)
	v_and_or_b32 v13, 0x8000, v13, v14
	v_lshl_or_b32 v0, v0, 7, v13
	s_delay_alu instid0(VALU_DEP_1)
	v_cvt_f32_f16_e32 v84, v0
.LBB335_833:                            ;   in Loop: Header=BB335_547 Depth=1
	s_or_b32 exec_lo, exec_lo, s13
.LBB335_834:                            ;   in Loop: Header=BB335_547 Depth=1
	s_delay_alu instid0(SALU_CYCLE_1)
	s_or_b32 exec_lo, exec_lo, s12
.LBB335_835:                            ;   in Loop: Header=BB335_547 Depth=1
	s_delay_alu instid0(SALU_CYCLE_1) | instskip(NEXT) | instid1(SALU_CYCLE_1)
	s_or_b32 exec_lo, exec_lo, s10
	s_mov_b32 s10, exec_lo
	v_cmpx_lt_u32_e32 0xffffff, v11
	s_cbranch_execz .LBB335_843
; %bb.836:                              ;   in Loop: Header=BB335_547 Depth=1
	v_lshrrev_b32_e32 v13, 24, v11
	v_bfrev_b32_e32 v85, 1
	s_mov_b32 s12, exec_lo
	s_delay_alu instid0(VALU_DEP_2)
	v_cmpx_ne_u32_e32 0x80, v13
	s_cbranch_execz .LBB335_842
; %bb.837:                              ;   in Loop: Header=BB335_547 Depth=1
	v_and_b32_e32 v86, 0x7f, v13
	v_mov_b32_e32 v85, 0x7fc02000
	s_mov_b32 s13, exec_lo
	s_delay_alu instid0(VALU_DEP_2)
	v_cmpx_ne_u32_e32 0x7f, v86
	s_cbranch_execz .LBB335_841
; %bb.838:                              ;   in Loop: Header=BB335_547 Depth=1
	v_and_b32_e32 v0, 7, v13
	v_lshrrev_b32_e32 v14, 3, v86
	s_mov_b32 s15, exec_lo
	v_cmpx_gt_u32_e32 8, v86
; %bb.839:                              ;   in Loop: Header=BB335_547 Depth=1
	s_delay_alu instid0(VALU_DEP_3) | instskip(NEXT) | instid1(VALU_DEP_1)
	v_clz_i32_u32_e32 v14, v0
	v_min_u32_e32 v14, 32, v14
	s_delay_alu instid0(VALU_DEP_1) | instskip(SKIP_1) | instid1(VALU_DEP_2)
	v_subrev_nc_u32_e32 v85, 28, v14
	v_sub_nc_u32_e32 v14, 29, v14
	v_lshlrev_b64 v[85:86], v85, v[0:1]
	s_delay_alu instid0(VALU_DEP_1)
	v_and_b32_e32 v0, 7, v85
; %bb.840:                              ;   in Loop: Header=BB335_547 Depth=1
	s_or_b32 exec_lo, exec_lo, s15
	v_lshlrev_b32_e32 v13, 8, v13
	v_lshl_add_u32 v14, v14, 10, 0x2000
	s_delay_alu instid0(VALU_DEP_1) | instskip(NEXT) | instid1(VALU_DEP_1)
	v_and_or_b32 v13, 0x8000, v13, v14
	v_lshl_or_b32 v0, v0, 7, v13
	s_delay_alu instid0(VALU_DEP_1)
	v_cvt_f32_f16_e32 v85, v0
.LBB335_841:                            ;   in Loop: Header=BB335_547 Depth=1
	s_or_b32 exec_lo, exec_lo, s13
.LBB335_842:                            ;   in Loop: Header=BB335_547 Depth=1
	s_delay_alu instid0(SALU_CYCLE_1)
	s_or_b32 exec_lo, exec_lo, s12
.LBB335_843:                            ;   in Loop: Header=BB335_547 Depth=1
	s_delay_alu instid0(SALU_CYCLE_1) | instskip(SKIP_4) | instid1(VALU_DEP_3)
	s_or_b32 exec_lo, exec_lo, s10
	v_dual_mov_b32 v13, 0 :: v_dual_and_b32 v14, 0xff, v12
	v_mov_b32_e32 v0, v12
	v_mov_b32_e32 v86, 0
	s_mov_b32 s10, exec_lo
	v_cmpx_ne_u16_e32 0, v14
	s_cbranch_execz .LBB335_851
; %bb.844:                              ;   in Loop: Header=BB335_547 Depth=1
	v_bfrev_b32_e32 v13, 1
	s_mov_b32 s12, exec_lo
	v_cmpx_ne_u16_e32 0x80, v14
	s_cbranch_execz .LBB335_850
; %bb.845:                              ;   in Loop: Header=BB335_547 Depth=1
	v_and_b32_e32 v14, 0x7f, v12
	v_mov_b32_e32 v13, 0x7fc02000
	s_mov_b32 s13, exec_lo
	s_delay_alu instid0(VALU_DEP_2)
	v_cmpx_ne_u32_e32 0x7f, v14
	s_cbranch_execz .LBB335_849
; %bb.846:                              ;   in Loop: Header=BB335_547 Depth=1
	v_lshrrev_b32_e32 v87, 3, v14
	v_cmp_gt_u32_e64 s0, 8, v14
	v_dual_mov_b32 v14, v1 :: v_dual_mov_b32 v13, v0
	s_delay_alu instid0(VALU_DEP_2)
	s_and_saveexec_b32 s15, s0
; %bb.847:                              ;   in Loop: Header=BB335_547 Depth=1
	v_and_b32_e32 v13, 7, v12
	s_delay_alu instid0(VALU_DEP_1) | instskip(NEXT) | instid1(VALU_DEP_1)
	v_clz_i32_u32_e32 v13, v13
	v_min_u32_e32 v87, 32, v13
	s_delay_alu instid0(VALU_DEP_1) | instskip(SKIP_1) | instid1(VALU_DEP_2)
	v_subrev_nc_u32_e32 v13, 28, v87
	v_sub_nc_u32_e32 v87, 29, v87
	v_lshlrev_b64 v[13:14], v13, v[0:1]
; %bb.848:                              ;   in Loop: Header=BB335_547 Depth=1
	s_or_b32 exec_lo, exec_lo, s15
	v_lshlrev_b32_e32 v14, 8, v12
	s_delay_alu instid0(VALU_DEP_3) | instskip(NEXT) | instid1(VALU_DEP_3)
	v_lshl_add_u32 v87, v87, 10, 0x2000
	v_lshlrev_b32_e32 v13, 7, v13
	s_delay_alu instid0(VALU_DEP_2) | instskip(NEXT) | instid1(VALU_DEP_1)
	v_and_or_b32 v14, 0x8000, v14, v87
	v_and_or_b32 v13, 0x380, v13, v14
	s_delay_alu instid0(VALU_DEP_1)
	v_cvt_f32_f16_e32 v13, v13
.LBB335_849:                            ;   in Loop: Header=BB335_547 Depth=1
	s_or_b32 exec_lo, exec_lo, s13
.LBB335_850:                            ;   in Loop: Header=BB335_547 Depth=1
	s_delay_alu instid0(SALU_CYCLE_1)
	s_or_b32 exec_lo, exec_lo, s12
.LBB335_851:                            ;   in Loop: Header=BB335_547 Depth=1
	s_delay_alu instid0(SALU_CYCLE_1) | instskip(SKIP_2) | instid1(VALU_DEP_1)
	s_or_b32 exec_lo, exec_lo, s10
	v_lshrrev_b16 v0, 8, v0
	s_mov_b32 s10, exec_lo
	v_cmpx_ne_u16_e32 0, v0
	s_cbranch_execz .LBB335_859
; %bb.852:                              ;   in Loop: Header=BB335_547 Depth=1
	v_bfrev_b32_e32 v86, 1
	s_mov_b32 s12, exec_lo
	v_cmpx_ne_u16_e32 0x80, v0
	s_cbranch_execz .LBB335_858
; %bb.853:                              ;   in Loop: Header=BB335_547 Depth=1
	v_and_b32_e32 v14, 0xffff, v0
	v_mov_b32_e32 v86, 0x7fc02000
	s_mov_b32 s13, exec_lo
	s_delay_alu instid0(VALU_DEP_2) | instskip(NEXT) | instid1(VALU_DEP_1)
	v_and_b32_e32 v87, 0x7f, v14
	v_cmpx_ne_u32_e32 0x7f, v87
	s_cbranch_execz .LBB335_857
; %bb.854:                              ;   in Loop: Header=BB335_547 Depth=1
	v_and_b32_e32 v0, 7, v14
	v_lshrrev_b32_e32 v86, 3, v87
	s_mov_b32 s15, exec_lo
	v_cmpx_gt_u32_e32 8, v87
; %bb.855:                              ;   in Loop: Header=BB335_547 Depth=1
	s_delay_alu instid0(VALU_DEP_3) | instskip(NEXT) | instid1(VALU_DEP_1)
	v_clz_i32_u32_e32 v86, v0
	v_min_u32_e32 v86, 32, v86
	s_delay_alu instid0(VALU_DEP_1) | instskip(SKIP_1) | instid1(VALU_DEP_2)
	v_subrev_nc_u32_e32 v87, 28, v86
	v_sub_nc_u32_e32 v86, 29, v86
	v_lshlrev_b64 v[96:97], v87, v[0:1]
	s_delay_alu instid0(VALU_DEP_1)
	v_and_b32_e32 v0, 7, v96
; %bb.856:                              ;   in Loop: Header=BB335_547 Depth=1
	s_or_b32 exec_lo, exec_lo, s15
	v_lshlrev_b32_e32 v14, 8, v14
	v_lshl_add_u32 v86, v86, 10, 0x2000
	s_delay_alu instid0(VALU_DEP_1) | instskip(NEXT) | instid1(VALU_DEP_1)
	v_and_or_b32 v14, 0x8000, v14, v86
	v_lshl_or_b32 v0, v0, 7, v14
	s_delay_alu instid0(VALU_DEP_1)
	v_cvt_f32_f16_e32 v86, v0
.LBB335_857:                            ;   in Loop: Header=BB335_547 Depth=1
	s_or_b32 exec_lo, exec_lo, s13
.LBB335_858:                            ;   in Loop: Header=BB335_547 Depth=1
	s_delay_alu instid0(SALU_CYCLE_1)
	s_or_b32 exec_lo, exec_lo, s12
.LBB335_859:                            ;   in Loop: Header=BB335_547 Depth=1
	s_delay_alu instid0(SALU_CYCLE_1) | instskip(SKIP_3) | instid1(VALU_DEP_2)
	s_or_b32 exec_lo, exec_lo, s10
	v_lshrrev_b32_e32 v96, 16, v12
	v_mov_b32_e32 v14, 0
	s_mov_b32 s10, exec_lo
	v_dual_mov_b32 v87, 0 :: v_dual_and_b32 v0, 0xff, v96
	s_delay_alu instid0(VALU_DEP_1)
	v_cmpx_ne_u16_e32 0, v0
	s_cbranch_execz .LBB335_867
; %bb.860:                              ;   in Loop: Header=BB335_547 Depth=1
	v_bfrev_b32_e32 v14, 1
	s_mov_b32 s12, exec_lo
	v_cmpx_ne_u16_e32 0x80, v0
	s_cbranch_execz .LBB335_866
; %bb.861:                              ;   in Loop: Header=BB335_547 Depth=1
	v_bfe_u32 v97, v12, 16, 7
	v_mov_b32_e32 v14, 0x7fc02000
	s_mov_b32 s13, exec_lo
	s_delay_alu instid0(VALU_DEP_2)
	v_cmpx_ne_u32_e32 0x7f, v97
	s_cbranch_execz .LBB335_865
; %bb.862:                              ;   in Loop: Header=BB335_547 Depth=1
	v_and_b32_e32 v0, 7, v96
	v_lshrrev_b32_e32 v14, 3, v97
	s_mov_b32 s15, exec_lo
	v_cmpx_gt_u32_e32 8, v97
; %bb.863:                              ;   in Loop: Header=BB335_547 Depth=1
	s_delay_alu instid0(VALU_DEP_3) | instskip(NEXT) | instid1(VALU_DEP_1)
	v_clz_i32_u32_e32 v14, v0
	v_min_u32_e32 v14, 32, v14
	s_delay_alu instid0(VALU_DEP_1) | instskip(SKIP_1) | instid1(VALU_DEP_2)
	v_subrev_nc_u32_e32 v97, 28, v14
	v_sub_nc_u32_e32 v14, 29, v14
	v_lshlrev_b64 v[97:98], v97, v[0:1]
	s_delay_alu instid0(VALU_DEP_1)
	v_and_b32_e32 v0, 7, v97
; %bb.864:                              ;   in Loop: Header=BB335_547 Depth=1
	s_or_b32 exec_lo, exec_lo, s15
	v_lshlrev_b32_e32 v96, 8, v96
	v_lshl_add_u32 v14, v14, 10, 0x2000
	s_delay_alu instid0(VALU_DEP_1) | instskip(NEXT) | instid1(VALU_DEP_1)
	v_and_or_b32 v14, 0x8000, v96, v14
	v_lshl_or_b32 v0, v0, 7, v14
	s_delay_alu instid0(VALU_DEP_1)
	v_cvt_f32_f16_e32 v14, v0
.LBB335_865:                            ;   in Loop: Header=BB335_547 Depth=1
	s_or_b32 exec_lo, exec_lo, s13
.LBB335_866:                            ;   in Loop: Header=BB335_547 Depth=1
	s_delay_alu instid0(SALU_CYCLE_1)
	s_or_b32 exec_lo, exec_lo, s12
.LBB335_867:                            ;   in Loop: Header=BB335_547 Depth=1
	s_delay_alu instid0(SALU_CYCLE_1) | instskip(NEXT) | instid1(SALU_CYCLE_1)
	s_or_b32 exec_lo, exec_lo, s10
	s_mov_b32 s10, exec_lo
	v_cmpx_lt_u64_e64 s[8:9], v[11:12]
	s_cbranch_execz .LBB335_875
; %bb.868:                              ;   in Loop: Header=BB335_547 Depth=1
	v_lshrrev_b32_e32 v11, 24, v12
	v_bfrev_b32_e32 v87, 1
	s_mov_b32 s12, exec_lo
	s_delay_alu instid0(VALU_DEP_2)
	v_cmpx_ne_u32_e32 0x80, v11
	s_cbranch_execz .LBB335_874
; %bb.869:                              ;   in Loop: Header=BB335_547 Depth=1
	v_and_b32_e32 v96, 0x7f, v11
	v_mov_b32_e32 v87, 0x7fc02000
	s_mov_b32 s13, exec_lo
	s_delay_alu instid0(VALU_DEP_2)
	v_cmpx_ne_u32_e32 0x7f, v96
	s_cbranch_execz .LBB335_873
; %bb.870:                              ;   in Loop: Header=BB335_547 Depth=1
	v_and_b32_e32 v0, 7, v11
	v_lshrrev_b32_e32 v12, 3, v96
	s_mov_b32 s15, exec_lo
	v_cmpx_gt_u32_e32 8, v96
; %bb.871:                              ;   in Loop: Header=BB335_547 Depth=1
	s_delay_alu instid0(VALU_DEP_3) | instskip(NEXT) | instid1(VALU_DEP_1)
	v_clz_i32_u32_e32 v12, v0
	v_min_u32_e32 v12, 32, v12
	s_delay_alu instid0(VALU_DEP_1) | instskip(SKIP_1) | instid1(VALU_DEP_2)
	v_subrev_nc_u32_e32 v87, 28, v12
	v_sub_nc_u32_e32 v12, 29, v12
	v_lshlrev_b64 v[96:97], v87, v[0:1]
	s_delay_alu instid0(VALU_DEP_1)
	v_and_b32_e32 v0, 7, v96
; %bb.872:                              ;   in Loop: Header=BB335_547 Depth=1
	s_or_b32 exec_lo, exec_lo, s15
	v_lshlrev_b32_e32 v11, 8, v11
	v_lshl_add_u32 v12, v12, 10, 0x2000
	s_delay_alu instid0(VALU_DEP_1) | instskip(NEXT) | instid1(VALU_DEP_1)
	v_and_or_b32 v11, 0x8000, v11, v12
	v_lshl_or_b32 v0, v0, 7, v11
	s_delay_alu instid0(VALU_DEP_1)
	v_cvt_f32_f16_e32 v87, v0
.LBB335_873:                            ;   in Loop: Header=BB335_547 Depth=1
	s_or_b32 exec_lo, exec_lo, s13
.LBB335_874:                            ;   in Loop: Header=BB335_547 Depth=1
	s_delay_alu instid0(SALU_CYCLE_1)
	s_or_b32 exec_lo, exec_lo, s12
.LBB335_875:                            ;   in Loop: Header=BB335_547 Depth=1
	s_delay_alu instid0(SALU_CYCLE_1)
	s_or_b32 exec_lo, exec_lo, s10
	s_waitcnt vmcnt(0) lgkmcnt(0)
	v_fma_mixlo_f16 v12, v81, v83, 0
	v_fma_mixlo_f16 v0, v81, v85, 0
	;; [unrolled: 1-line block ×5, first 2 shown]
	v_lshlrev_b32_e32 v83, 16, v12
	v_fma_mixlo_f16 v13, v81, v13, 0
	v_fma_mixlo_f16 v85, v81, v87, 0
	;; [unrolled: 1-line block ×3, first 2 shown]
	v_lshlrev_b32_e32 v0, 16, v0
	v_and_b32_e32 v11, 0xffff, v11
	v_and_b32_e32 v14, 0xffff, v82
	v_lshlrev_b32_e32 v81, 16, v84
	v_and_b32_e32 v82, 0xffff, v13
	v_lshlrev_b32_e32 v84, 16, v85
	v_and_b32_e32 v85, 0xffff, v12
	v_or_b32_e32 v13, v0, v11
	v_or_b32_e32 v14, v83, v14
	;; [unrolled: 1-line block ×3, first 2 shown]
	s_delay_alu instid0(VALU_DEP_4)
	v_or_b32_e32 v11, v84, v85
	s_and_saveexec_b32 s10, vcc_lo
	s_cbranch_execz .LBB335_877
; %bb.876:                              ;   in Loop: Header=BB335_547 Depth=1
	v_cmp_lt_i32_e64 s0, v15, v33
	v_lshrrev_b32_e32 v81, 16, v14
	v_lshrrev_b32_e32 v82, 16, v13
	;; [unrolled: 1-line block ×4, first 2 shown]
	v_cndmask_b32_e64 v14, 0, v14, s0
	v_cmp_lt_i32_e64 s0, v52, v37
	s_delay_alu instid0(VALU_DEP_1) | instskip(SKIP_1) | instid1(VALU_DEP_2)
	v_cndmask_b32_e64 v81, 0, v81, s0
	v_cmp_lt_i32_e64 s0, v51, v37
	v_perm_b32 v14, v81, v14, 0x5040100
	s_delay_alu instid0(VALU_DEP_2) | instskip(SKIP_1) | instid1(VALU_DEP_1)
	v_cndmask_b32_e64 v82, 0, v82, s0
	v_cmp_lt_i32_e64 s0, v50, v33
	v_cndmask_b32_e64 v13, 0, v13, s0
	v_cmp_lt_i32_e64 s0, v49, v37
	s_delay_alu instid0(VALU_DEP_2) | instskip(NEXT) | instid1(VALU_DEP_2)
	v_perm_b32 v13, v82, v13, 0x5040100
	v_cndmask_b32_e64 v83, 0, v83, s0
	v_cmp_lt_i32_e64 s0, v38, v33
	s_delay_alu instid0(VALU_DEP_1) | instskip(SKIP_1) | instid1(VALU_DEP_2)
	v_cndmask_b32_e64 v0, 0, v0, s0
	v_cmp_lt_i32_e64 s0, v23, v37
	v_perm_b32 v0, v83, v0, 0x5040100
	s_delay_alu instid0(VALU_DEP_2) | instskip(SKIP_1) | instid1(VALU_DEP_1)
	v_cndmask_b32_e64 v11, 0, v11, s0
	v_cmp_lt_i32_e64 s0, v17, v33
	v_cndmask_b32_e64 v12, 0, v12, s0
	s_delay_alu instid0(VALU_DEP_1)
	v_perm_b32 v11, v11, v12, 0x5040100
.LBB335_877:                            ;   in Loop: Header=BB335_547 Depth=1
	s_or_b32 exec_lo, exec_lo, s10
	;;#ASMSTART
	v_pk_mul_f16 v12, v64, v14;

	;;#ASMEND
	;;#ASMSTART
	v_pk_mul_f16 v13, v55, v13;

	;;#ASMEND
	;; [unrolled: 4-line block ×4, first 2 shown]
	;;#ASMSTART
	v_pk_add_f16 v12, v12, v13;

	;;#ASMEND
	;;#ASMSTART
	v_pk_add_f16 v0, v12, v0;

	;;#ASMEND
	;; [unrolled: 4-line block ×3, first 2 shown]
	v_dual_mov_b32 v84, 0 :: v_dual_and_b32 v11, 0xffff, v0
	v_lshrrev_b32_e32 v0, 16, v0
	;;#ASMSTART
	v_cvt_f32_f16 v81, v11;
	;;#ASMEND
	;;#ASMSTART
	v_cvt_f32_f16 v82, v0;
	;;#ASMEND
	flat_load_b64 v[11:12], v[9:10] offset:1280
	flat_load_b32 v83, v[26:27]
	s_mov_b32 s10, exec_lo
	s_waitcnt vmcnt(1) lgkmcnt(1)
	v_dual_mov_b32 v85, 0 :: v_dual_and_b32 v0, 0xff, v11
	s_delay_alu instid0(VALU_DEP_1)
	v_cmpx_ne_u16_e32 0, v0
	s_cbranch_execz .LBB335_885
; %bb.878:                              ;   in Loop: Header=BB335_547 Depth=1
	v_bfrev_b32_e32 v84, 1
	s_mov_b32 s12, exec_lo
	v_cmpx_ne_u16_e32 0x80, v0
	s_cbranch_execz .LBB335_884
; %bb.879:                              ;   in Loop: Header=BB335_547 Depth=1
	v_and_b32_e32 v13, 0x7f, v11
	v_mov_b32_e32 v84, 0x7fc02000
	s_mov_b32 s13, exec_lo
	s_delay_alu instid0(VALU_DEP_2)
	v_cmpx_ne_u32_e32 0x7f, v13
	s_cbranch_execz .LBB335_883
; %bb.880:                              ;   in Loop: Header=BB335_547 Depth=1
	v_lshrrev_b32_e32 v0, 3, v13
	v_cmp_gt_u32_e64 s0, 8, v13
	v_dual_mov_b32 v14, v12 :: v_dual_mov_b32 v13, v11
	s_delay_alu instid0(VALU_DEP_2)
	s_and_saveexec_b32 s15, s0
; %bb.881:                              ;   in Loop: Header=BB335_547 Depth=1
	v_and_b32_e32 v0, 7, v11
	s_delay_alu instid0(VALU_DEP_1) | instskip(NEXT) | instid1(VALU_DEP_1)
	v_clz_i32_u32_e32 v0, v0
	v_min_u32_e32 v0, 32, v0
	s_delay_alu instid0(VALU_DEP_1) | instskip(SKIP_1) | instid1(VALU_DEP_2)
	v_subrev_nc_u32_e32 v13, 28, v0
	v_sub_nc_u32_e32 v0, 29, v0
	v_lshlrev_b64 v[13:14], v13, v[11:12]
; %bb.882:                              ;   in Loop: Header=BB335_547 Depth=1
	s_or_b32 exec_lo, exec_lo, s15
	v_lshlrev_b32_e32 v14, 8, v11
	s_delay_alu instid0(VALU_DEP_3) | instskip(NEXT) | instid1(VALU_DEP_3)
	v_lshl_add_u32 v0, v0, 10, 0x2000
	v_lshlrev_b32_e32 v13, 7, v13
	s_delay_alu instid0(VALU_DEP_2) | instskip(NEXT) | instid1(VALU_DEP_1)
	v_and_or_b32 v0, 0x8000, v14, v0
	v_and_or_b32 v0, 0x380, v13, v0
	s_delay_alu instid0(VALU_DEP_1)
	v_cvt_f32_f16_e32 v84, v0
.LBB335_883:                            ;   in Loop: Header=BB335_547 Depth=1
	s_or_b32 exec_lo, exec_lo, s13
.LBB335_884:                            ;   in Loop: Header=BB335_547 Depth=1
	s_delay_alu instid0(SALU_CYCLE_1)
	s_or_b32 exec_lo, exec_lo, s12
.LBB335_885:                            ;   in Loop: Header=BB335_547 Depth=1
	s_delay_alu instid0(SALU_CYCLE_1) | instskip(SKIP_2) | instid1(VALU_DEP_1)
	s_or_b32 exec_lo, exec_lo, s10
	v_lshrrev_b16 v0, 8, v11
	s_mov_b32 s10, exec_lo
	v_cmpx_ne_u16_e32 0, v0
	s_cbranch_execz .LBB335_893
; %bb.886:                              ;   in Loop: Header=BB335_547 Depth=1
	v_bfrev_b32_e32 v85, 1
	s_mov_b32 s12, exec_lo
	v_cmpx_ne_u16_e32 0x80, v0
	s_cbranch_execz .LBB335_892
; %bb.887:                              ;   in Loop: Header=BB335_547 Depth=1
	v_and_b32_e32 v13, 0xffff, v0
	v_mov_b32_e32 v85, 0x7fc02000
	s_mov_b32 s13, exec_lo
	s_delay_alu instid0(VALU_DEP_2) | instskip(NEXT) | instid1(VALU_DEP_1)
	v_and_b32_e32 v86, 0x7f, v13
	v_cmpx_ne_u32_e32 0x7f, v86
	s_cbranch_execz .LBB335_891
; %bb.888:                              ;   in Loop: Header=BB335_547 Depth=1
	v_and_b32_e32 v0, 7, v13
	v_lshrrev_b32_e32 v14, 3, v86
	s_mov_b32 s15, exec_lo
	v_cmpx_gt_u32_e32 8, v86
; %bb.889:                              ;   in Loop: Header=BB335_547 Depth=1
	s_delay_alu instid0(VALU_DEP_3) | instskip(NEXT) | instid1(VALU_DEP_1)
	v_clz_i32_u32_e32 v14, v0
	v_min_u32_e32 v14, 32, v14
	s_delay_alu instid0(VALU_DEP_1) | instskip(SKIP_1) | instid1(VALU_DEP_2)
	v_subrev_nc_u32_e32 v85, 28, v14
	v_sub_nc_u32_e32 v14, 29, v14
	v_lshlrev_b64 v[85:86], v85, v[0:1]
	s_delay_alu instid0(VALU_DEP_1)
	v_and_b32_e32 v0, 7, v85
; %bb.890:                              ;   in Loop: Header=BB335_547 Depth=1
	s_or_b32 exec_lo, exec_lo, s15
	v_lshlrev_b32_e32 v13, 8, v13
	v_lshl_add_u32 v14, v14, 10, 0x2000
	s_delay_alu instid0(VALU_DEP_1) | instskip(NEXT) | instid1(VALU_DEP_1)
	v_and_or_b32 v13, 0x8000, v13, v14
	v_lshl_or_b32 v0, v0, 7, v13
	s_delay_alu instid0(VALU_DEP_1)
	v_cvt_f32_f16_e32 v85, v0
.LBB335_891:                            ;   in Loop: Header=BB335_547 Depth=1
	s_or_b32 exec_lo, exec_lo, s13
.LBB335_892:                            ;   in Loop: Header=BB335_547 Depth=1
	s_delay_alu instid0(SALU_CYCLE_1)
	s_or_b32 exec_lo, exec_lo, s12
.LBB335_893:                            ;   in Loop: Header=BB335_547 Depth=1
	s_delay_alu instid0(SALU_CYCLE_1) | instskip(SKIP_3) | instid1(VALU_DEP_2)
	s_or_b32 exec_lo, exec_lo, s10
	v_lshrrev_b32_e32 v13, 16, v11
	v_mov_b32_e32 v86, 0
	s_mov_b32 s10, exec_lo
	v_dual_mov_b32 v87, 0 :: v_dual_and_b32 v0, 0xff, v13
	s_delay_alu instid0(VALU_DEP_1)
	v_cmpx_ne_u16_e32 0, v0
	s_cbranch_execz .LBB335_901
; %bb.894:                              ;   in Loop: Header=BB335_547 Depth=1
	v_bfrev_b32_e32 v86, 1
	s_mov_b32 s12, exec_lo
	v_cmpx_ne_u16_e32 0x80, v0
	s_cbranch_execz .LBB335_900
; %bb.895:                              ;   in Loop: Header=BB335_547 Depth=1
	v_bfe_u32 v96, v11, 16, 7
	v_mov_b32_e32 v86, 0x7fc02000
	s_mov_b32 s13, exec_lo
	s_delay_alu instid0(VALU_DEP_2)
	v_cmpx_ne_u32_e32 0x7f, v96
	s_cbranch_execz .LBB335_899
; %bb.896:                              ;   in Loop: Header=BB335_547 Depth=1
	v_and_b32_e32 v0, 7, v13
	v_lshrrev_b32_e32 v14, 3, v96
	s_mov_b32 s15, exec_lo
	v_cmpx_gt_u32_e32 8, v96
; %bb.897:                              ;   in Loop: Header=BB335_547 Depth=1
	s_delay_alu instid0(VALU_DEP_3) | instskip(NEXT) | instid1(VALU_DEP_1)
	v_clz_i32_u32_e32 v14, v0
	v_min_u32_e32 v14, 32, v14
	s_delay_alu instid0(VALU_DEP_1) | instskip(SKIP_1) | instid1(VALU_DEP_2)
	v_subrev_nc_u32_e32 v86, 28, v14
	v_sub_nc_u32_e32 v14, 29, v14
	v_lshlrev_b64 v[96:97], v86, v[0:1]
	s_delay_alu instid0(VALU_DEP_1)
	v_and_b32_e32 v0, 7, v96
; %bb.898:                              ;   in Loop: Header=BB335_547 Depth=1
	s_or_b32 exec_lo, exec_lo, s15
	v_lshlrev_b32_e32 v13, 8, v13
	v_lshl_add_u32 v14, v14, 10, 0x2000
	s_delay_alu instid0(VALU_DEP_1) | instskip(NEXT) | instid1(VALU_DEP_1)
	v_and_or_b32 v13, 0x8000, v13, v14
	v_lshl_or_b32 v0, v0, 7, v13
	s_delay_alu instid0(VALU_DEP_1)
	v_cvt_f32_f16_e32 v86, v0
.LBB335_899:                            ;   in Loop: Header=BB335_547 Depth=1
	s_or_b32 exec_lo, exec_lo, s13
.LBB335_900:                            ;   in Loop: Header=BB335_547 Depth=1
	s_delay_alu instid0(SALU_CYCLE_1)
	s_or_b32 exec_lo, exec_lo, s12
.LBB335_901:                            ;   in Loop: Header=BB335_547 Depth=1
	s_delay_alu instid0(SALU_CYCLE_1) | instskip(NEXT) | instid1(SALU_CYCLE_1)
	s_or_b32 exec_lo, exec_lo, s10
	s_mov_b32 s10, exec_lo
	v_cmpx_lt_u32_e32 0xffffff, v11
	s_cbranch_execz .LBB335_909
; %bb.902:                              ;   in Loop: Header=BB335_547 Depth=1
	v_lshrrev_b32_e32 v13, 24, v11
	v_bfrev_b32_e32 v87, 1
	s_mov_b32 s12, exec_lo
	s_delay_alu instid0(VALU_DEP_2)
	v_cmpx_ne_u32_e32 0x80, v13
	s_cbranch_execz .LBB335_908
; %bb.903:                              ;   in Loop: Header=BB335_547 Depth=1
	v_and_b32_e32 v96, 0x7f, v13
	v_mov_b32_e32 v87, 0x7fc02000
	s_mov_b32 s13, exec_lo
	s_delay_alu instid0(VALU_DEP_2)
	v_cmpx_ne_u32_e32 0x7f, v96
	s_cbranch_execz .LBB335_907
; %bb.904:                              ;   in Loop: Header=BB335_547 Depth=1
	v_and_b32_e32 v0, 7, v13
	v_lshrrev_b32_e32 v14, 3, v96
	s_mov_b32 s15, exec_lo
	v_cmpx_gt_u32_e32 8, v96
; %bb.905:                              ;   in Loop: Header=BB335_547 Depth=1
	s_delay_alu instid0(VALU_DEP_3) | instskip(NEXT) | instid1(VALU_DEP_1)
	v_clz_i32_u32_e32 v14, v0
	v_min_u32_e32 v14, 32, v14
	s_delay_alu instid0(VALU_DEP_1) | instskip(SKIP_1) | instid1(VALU_DEP_2)
	v_subrev_nc_u32_e32 v87, 28, v14
	v_sub_nc_u32_e32 v14, 29, v14
	v_lshlrev_b64 v[96:97], v87, v[0:1]
	s_delay_alu instid0(VALU_DEP_1)
	v_and_b32_e32 v0, 7, v96
; %bb.906:                              ;   in Loop: Header=BB335_547 Depth=1
	s_or_b32 exec_lo, exec_lo, s15
	v_lshlrev_b32_e32 v13, 8, v13
	v_lshl_add_u32 v14, v14, 10, 0x2000
	s_delay_alu instid0(VALU_DEP_1) | instskip(NEXT) | instid1(VALU_DEP_1)
	v_and_or_b32 v13, 0x8000, v13, v14
	v_lshl_or_b32 v0, v0, 7, v13
	s_delay_alu instid0(VALU_DEP_1)
	v_cvt_f32_f16_e32 v87, v0
.LBB335_907:                            ;   in Loop: Header=BB335_547 Depth=1
	s_or_b32 exec_lo, exec_lo, s13
.LBB335_908:                            ;   in Loop: Header=BB335_547 Depth=1
	s_delay_alu instid0(SALU_CYCLE_1)
	s_or_b32 exec_lo, exec_lo, s12
.LBB335_909:                            ;   in Loop: Header=BB335_547 Depth=1
	s_delay_alu instid0(SALU_CYCLE_1) | instskip(SKIP_4) | instid1(VALU_DEP_3)
	s_or_b32 exec_lo, exec_lo, s10
	v_dual_mov_b32 v13, 0 :: v_dual_and_b32 v14, 0xff, v12
	v_mov_b32_e32 v0, v12
	v_mov_b32_e32 v96, 0
	s_mov_b32 s10, exec_lo
	v_cmpx_ne_u16_e32 0, v14
	s_cbranch_execz .LBB335_917
; %bb.910:                              ;   in Loop: Header=BB335_547 Depth=1
	v_bfrev_b32_e32 v13, 1
	s_mov_b32 s12, exec_lo
	v_cmpx_ne_u16_e32 0x80, v14
	s_cbranch_execz .LBB335_916
; %bb.911:                              ;   in Loop: Header=BB335_547 Depth=1
	v_and_b32_e32 v14, 0x7f, v12
	v_mov_b32_e32 v13, 0x7fc02000
	s_mov_b32 s13, exec_lo
	s_delay_alu instid0(VALU_DEP_2)
	v_cmpx_ne_u32_e32 0x7f, v14
	s_cbranch_execz .LBB335_915
; %bb.912:                              ;   in Loop: Header=BB335_547 Depth=1
	v_lshrrev_b32_e32 v97, 3, v14
	v_cmp_gt_u32_e64 s0, 8, v14
	v_dual_mov_b32 v14, v1 :: v_dual_mov_b32 v13, v0
	s_delay_alu instid0(VALU_DEP_2)
	s_and_saveexec_b32 s15, s0
; %bb.913:                              ;   in Loop: Header=BB335_547 Depth=1
	v_and_b32_e32 v13, 7, v12
	s_delay_alu instid0(VALU_DEP_1) | instskip(NEXT) | instid1(VALU_DEP_1)
	v_clz_i32_u32_e32 v13, v13
	v_min_u32_e32 v97, 32, v13
	s_delay_alu instid0(VALU_DEP_1) | instskip(SKIP_1) | instid1(VALU_DEP_2)
	v_subrev_nc_u32_e32 v13, 28, v97
	v_sub_nc_u32_e32 v97, 29, v97
	v_lshlrev_b64 v[13:14], v13, v[0:1]
; %bb.914:                              ;   in Loop: Header=BB335_547 Depth=1
	s_or_b32 exec_lo, exec_lo, s15
	v_lshlrev_b32_e32 v14, 8, v12
	s_delay_alu instid0(VALU_DEP_3) | instskip(NEXT) | instid1(VALU_DEP_3)
	v_lshl_add_u32 v97, v97, 10, 0x2000
	v_lshlrev_b32_e32 v13, 7, v13
	s_delay_alu instid0(VALU_DEP_2) | instskip(NEXT) | instid1(VALU_DEP_1)
	v_and_or_b32 v14, 0x8000, v14, v97
	v_and_or_b32 v13, 0x380, v13, v14
	s_delay_alu instid0(VALU_DEP_1)
	v_cvt_f32_f16_e32 v13, v13
.LBB335_915:                            ;   in Loop: Header=BB335_547 Depth=1
	s_or_b32 exec_lo, exec_lo, s13
.LBB335_916:                            ;   in Loop: Header=BB335_547 Depth=1
	s_delay_alu instid0(SALU_CYCLE_1)
	s_or_b32 exec_lo, exec_lo, s12
.LBB335_917:                            ;   in Loop: Header=BB335_547 Depth=1
	s_delay_alu instid0(SALU_CYCLE_1) | instskip(SKIP_2) | instid1(VALU_DEP_1)
	s_or_b32 exec_lo, exec_lo, s10
	v_lshrrev_b16 v0, 8, v0
	s_mov_b32 s10, exec_lo
	v_cmpx_ne_u16_e32 0, v0
	s_cbranch_execz .LBB335_925
; %bb.918:                              ;   in Loop: Header=BB335_547 Depth=1
	v_bfrev_b32_e32 v96, 1
	s_mov_b32 s12, exec_lo
	v_cmpx_ne_u16_e32 0x80, v0
	s_cbranch_execz .LBB335_924
; %bb.919:                              ;   in Loop: Header=BB335_547 Depth=1
	v_and_b32_e32 v14, 0xffff, v0
	v_mov_b32_e32 v96, 0x7fc02000
	s_mov_b32 s13, exec_lo
	s_delay_alu instid0(VALU_DEP_2) | instskip(NEXT) | instid1(VALU_DEP_1)
	v_and_b32_e32 v97, 0x7f, v14
	v_cmpx_ne_u32_e32 0x7f, v97
	s_cbranch_execz .LBB335_923
; %bb.920:                              ;   in Loop: Header=BB335_547 Depth=1
	v_and_b32_e32 v0, 7, v14
	v_lshrrev_b32_e32 v96, 3, v97
	s_mov_b32 s15, exec_lo
	v_cmpx_gt_u32_e32 8, v97
; %bb.921:                              ;   in Loop: Header=BB335_547 Depth=1
	s_delay_alu instid0(VALU_DEP_3) | instskip(NEXT) | instid1(VALU_DEP_1)
	v_clz_i32_u32_e32 v96, v0
	v_min_u32_e32 v96, 32, v96
	s_delay_alu instid0(VALU_DEP_1) | instskip(SKIP_1) | instid1(VALU_DEP_2)
	v_subrev_nc_u32_e32 v97, 28, v96
	v_sub_nc_u32_e32 v96, 29, v96
	v_lshlrev_b64 v[97:98], v97, v[0:1]
	s_delay_alu instid0(VALU_DEP_1)
	v_and_b32_e32 v0, 7, v97
; %bb.922:                              ;   in Loop: Header=BB335_547 Depth=1
	s_or_b32 exec_lo, exec_lo, s15
	v_lshlrev_b32_e32 v14, 8, v14
	v_lshl_add_u32 v96, v96, 10, 0x2000
	s_delay_alu instid0(VALU_DEP_1) | instskip(NEXT) | instid1(VALU_DEP_1)
	v_and_or_b32 v14, 0x8000, v14, v96
	v_lshl_or_b32 v0, v0, 7, v14
	s_delay_alu instid0(VALU_DEP_1)
	v_cvt_f32_f16_e32 v96, v0
.LBB335_923:                            ;   in Loop: Header=BB335_547 Depth=1
	s_or_b32 exec_lo, exec_lo, s13
.LBB335_924:                            ;   in Loop: Header=BB335_547 Depth=1
	s_delay_alu instid0(SALU_CYCLE_1)
	s_or_b32 exec_lo, exec_lo, s12
.LBB335_925:                            ;   in Loop: Header=BB335_547 Depth=1
	s_delay_alu instid0(SALU_CYCLE_1) | instskip(SKIP_3) | instid1(VALU_DEP_2)
	s_or_b32 exec_lo, exec_lo, s10
	v_lshrrev_b32_e32 v98, 16, v12
	v_mov_b32_e32 v14, 0
	s_mov_b32 s10, exec_lo
	v_dual_mov_b32 v97, 0 :: v_dual_and_b32 v0, 0xff, v98
	s_delay_alu instid0(VALU_DEP_1)
	v_cmpx_ne_u16_e32 0, v0
	s_cbranch_execz .LBB335_933
; %bb.926:                              ;   in Loop: Header=BB335_547 Depth=1
	v_bfrev_b32_e32 v14, 1
	s_mov_b32 s12, exec_lo
	v_cmpx_ne_u16_e32 0x80, v0
	s_cbranch_execz .LBB335_932
; %bb.927:                              ;   in Loop: Header=BB335_547 Depth=1
	v_bfe_u32 v99, v12, 16, 7
	v_mov_b32_e32 v14, 0x7fc02000
	s_mov_b32 s13, exec_lo
	s_delay_alu instid0(VALU_DEP_2)
	v_cmpx_ne_u32_e32 0x7f, v99
	s_cbranch_execz .LBB335_931
; %bb.928:                              ;   in Loop: Header=BB335_547 Depth=1
	v_and_b32_e32 v0, 7, v98
	v_lshrrev_b32_e32 v14, 3, v99
	s_mov_b32 s15, exec_lo
	v_cmpx_gt_u32_e32 8, v99
; %bb.929:                              ;   in Loop: Header=BB335_547 Depth=1
	s_delay_alu instid0(VALU_DEP_3) | instskip(NEXT) | instid1(VALU_DEP_1)
	v_clz_i32_u32_e32 v14, v0
	v_min_u32_e32 v14, 32, v14
	s_delay_alu instid0(VALU_DEP_1) | instskip(SKIP_1) | instid1(VALU_DEP_2)
	v_subrev_nc_u32_e32 v99, 28, v14
	v_sub_nc_u32_e32 v14, 29, v14
	v_lshlrev_b64 v[99:100], v99, v[0:1]
	s_delay_alu instid0(VALU_DEP_1)
	v_and_b32_e32 v0, 7, v99
; %bb.930:                              ;   in Loop: Header=BB335_547 Depth=1
	s_or_b32 exec_lo, exec_lo, s15
	v_lshlrev_b32_e32 v98, 8, v98
	v_lshl_add_u32 v14, v14, 10, 0x2000
	s_delay_alu instid0(VALU_DEP_1) | instskip(NEXT) | instid1(VALU_DEP_1)
	v_and_or_b32 v14, 0x8000, v98, v14
	v_lshl_or_b32 v0, v0, 7, v14
	s_delay_alu instid0(VALU_DEP_1)
	v_cvt_f32_f16_e32 v14, v0
.LBB335_931:                            ;   in Loop: Header=BB335_547 Depth=1
	s_or_b32 exec_lo, exec_lo, s13
.LBB335_932:                            ;   in Loop: Header=BB335_547 Depth=1
	s_delay_alu instid0(SALU_CYCLE_1)
	s_or_b32 exec_lo, exec_lo, s12
.LBB335_933:                            ;   in Loop: Header=BB335_547 Depth=1
	s_delay_alu instid0(SALU_CYCLE_1) | instskip(NEXT) | instid1(SALU_CYCLE_1)
	s_or_b32 exec_lo, exec_lo, s10
	s_mov_b32 s10, exec_lo
	v_cmpx_lt_u64_e64 s[8:9], v[11:12]
	s_cbranch_execz .LBB335_941
; %bb.934:                              ;   in Loop: Header=BB335_547 Depth=1
	v_lshrrev_b32_e32 v11, 24, v12
	v_bfrev_b32_e32 v97, 1
	s_mov_b32 s12, exec_lo
	s_delay_alu instid0(VALU_DEP_2)
	v_cmpx_ne_u32_e32 0x80, v11
	s_cbranch_execz .LBB335_940
; %bb.935:                              ;   in Loop: Header=BB335_547 Depth=1
	v_and_b32_e32 v98, 0x7f, v11
	v_mov_b32_e32 v97, 0x7fc02000
	s_mov_b32 s13, exec_lo
	s_delay_alu instid0(VALU_DEP_2)
	v_cmpx_ne_u32_e32 0x7f, v98
	s_cbranch_execz .LBB335_939
; %bb.936:                              ;   in Loop: Header=BB335_547 Depth=1
	v_and_b32_e32 v0, 7, v11
	v_lshrrev_b32_e32 v12, 3, v98
	s_mov_b32 s15, exec_lo
	v_cmpx_gt_u32_e32 8, v98
; %bb.937:                              ;   in Loop: Header=BB335_547 Depth=1
	s_delay_alu instid0(VALU_DEP_3) | instskip(NEXT) | instid1(VALU_DEP_1)
	v_clz_i32_u32_e32 v12, v0
	v_min_u32_e32 v12, 32, v12
	s_delay_alu instid0(VALU_DEP_1) | instskip(SKIP_1) | instid1(VALU_DEP_2)
	v_subrev_nc_u32_e32 v97, 28, v12
	v_sub_nc_u32_e32 v12, 29, v12
	v_lshlrev_b64 v[97:98], v97, v[0:1]
	s_delay_alu instid0(VALU_DEP_1)
	v_and_b32_e32 v0, 7, v97
; %bb.938:                              ;   in Loop: Header=BB335_547 Depth=1
	s_or_b32 exec_lo, exec_lo, s15
	v_lshlrev_b32_e32 v11, 8, v11
	v_lshl_add_u32 v12, v12, 10, 0x2000
	s_delay_alu instid0(VALU_DEP_1) | instskip(NEXT) | instid1(VALU_DEP_1)
	v_and_or_b32 v11, 0x8000, v11, v12
	v_lshl_or_b32 v0, v0, 7, v11
	s_delay_alu instid0(VALU_DEP_1)
	v_cvt_f32_f16_e32 v97, v0
.LBB335_939:                            ;   in Loop: Header=BB335_547 Depth=1
	s_or_b32 exec_lo, exec_lo, s13
.LBB335_940:                            ;   in Loop: Header=BB335_547 Depth=1
	s_delay_alu instid0(SALU_CYCLE_1)
	s_or_b32 exec_lo, exec_lo, s12
.LBB335_941:                            ;   in Loop: Header=BB335_547 Depth=1
	s_delay_alu instid0(SALU_CYCLE_1)
	s_or_b32 exec_lo, exec_lo, s10
	s_waitcnt vmcnt(0) lgkmcnt(0)
	v_fma_mixlo_f16 v12, v83, v85, 0
	v_fma_mixlo_f16 v0, v83, v87, 0
	;; [unrolled: 1-line block ×5, first 2 shown]
	v_lshlrev_b32_e32 v85, 16, v12
	v_fma_mixlo_f16 v13, v83, v13, 0
	v_fma_mixlo_f16 v87, v83, v97, 0
	;; [unrolled: 1-line block ×3, first 2 shown]
	v_lshlrev_b32_e32 v0, 16, v0
	v_and_b32_e32 v11, 0xffff, v11
	v_and_b32_e32 v14, 0xffff, v84
	v_lshlrev_b32_e32 v83, 16, v86
	v_and_b32_e32 v84, 0xffff, v13
	v_lshlrev_b32_e32 v86, 16, v87
	v_and_b32_e32 v87, 0xffff, v12
	v_or_b32_e32 v13, v0, v11
	v_or_b32_e32 v14, v85, v14
	;; [unrolled: 1-line block ×3, first 2 shown]
	s_delay_alu instid0(VALU_DEP_4)
	v_or_b32_e32 v11, v86, v87
	s_and_saveexec_b32 s10, vcc_lo
	s_cbranch_execz .LBB335_943
; %bb.942:                              ;   in Loop: Header=BB335_547 Depth=1
	v_cmp_lt_i32_e64 s0, v15, v33
	v_lshrrev_b32_e32 v83, 16, v14
	v_lshrrev_b32_e32 v84, 16, v13
	;; [unrolled: 1-line block ×4, first 2 shown]
	v_cndmask_b32_e64 v14, 0, v14, s0
	v_cmp_lt_i32_e64 s0, v52, v37
	s_delay_alu instid0(VALU_DEP_1) | instskip(SKIP_1) | instid1(VALU_DEP_2)
	v_cndmask_b32_e64 v83, 0, v83, s0
	v_cmp_lt_i32_e64 s0, v51, v37
	v_perm_b32 v14, v83, v14, 0x5040100
	s_delay_alu instid0(VALU_DEP_2) | instskip(SKIP_1) | instid1(VALU_DEP_1)
	v_cndmask_b32_e64 v84, 0, v84, s0
	v_cmp_lt_i32_e64 s0, v50, v33
	v_cndmask_b32_e64 v13, 0, v13, s0
	v_cmp_lt_i32_e64 s0, v49, v37
	s_delay_alu instid0(VALU_DEP_2) | instskip(NEXT) | instid1(VALU_DEP_2)
	v_perm_b32 v13, v84, v13, 0x5040100
	v_cndmask_b32_e64 v85, 0, v85, s0
	v_cmp_lt_i32_e64 s0, v38, v33
	s_delay_alu instid0(VALU_DEP_1) | instskip(SKIP_1) | instid1(VALU_DEP_2)
	v_cndmask_b32_e64 v0, 0, v0, s0
	v_cmp_lt_i32_e64 s0, v23, v37
	v_perm_b32 v0, v85, v0, 0x5040100
	s_delay_alu instid0(VALU_DEP_2) | instskip(SKIP_1) | instid1(VALU_DEP_1)
	v_cndmask_b32_e64 v11, 0, v11, s0
	v_cmp_lt_i32_e64 s0, v17, v33
	v_cndmask_b32_e64 v12, 0, v12, s0
	s_delay_alu instid0(VALU_DEP_1)
	v_perm_b32 v11, v11, v12, 0x5040100
.LBB335_943:                            ;   in Loop: Header=BB335_547 Depth=1
	s_or_b32 exec_lo, exec_lo, s10
	;;#ASMSTART
	v_pk_mul_f16 v12, v64, v14;

	;;#ASMEND
	;;#ASMSTART
	v_pk_mul_f16 v13, v55, v13;

	;;#ASMEND
	;; [unrolled: 4-line block ×4, first 2 shown]
	;;#ASMSTART
	v_pk_add_f16 v12, v12, v13;

	;;#ASMEND
	;;#ASMSTART
	v_pk_add_f16 v0, v12, v0;

	;;#ASMEND
	;; [unrolled: 4-line block ×3, first 2 shown]
	v_dual_mov_b32 v86, 0 :: v_dual_and_b32 v11, 0xffff, v0
	v_lshrrev_b32_e32 v0, 16, v0
	;;#ASMSTART
	v_cvt_f32_f16 v83, v11;
	;;#ASMEND
	;;#ASMSTART
	v_cvt_f32_f16 v84, v0;
	;;#ASMEND
	flat_load_b64 v[11:12], v[9:10] offset:1536
	flat_load_b32 v85, v[26:27]
	s_mov_b32 s10, exec_lo
	s_waitcnt vmcnt(1) lgkmcnt(1)
	v_dual_mov_b32 v87, 0 :: v_dual_and_b32 v0, 0xff, v11
	s_delay_alu instid0(VALU_DEP_1)
	v_cmpx_ne_u16_e32 0, v0
	s_cbranch_execz .LBB335_951
; %bb.944:                              ;   in Loop: Header=BB335_547 Depth=1
	v_bfrev_b32_e32 v86, 1
	s_mov_b32 s12, exec_lo
	v_cmpx_ne_u16_e32 0x80, v0
	s_cbranch_execz .LBB335_950
; %bb.945:                              ;   in Loop: Header=BB335_547 Depth=1
	v_and_b32_e32 v13, 0x7f, v11
	v_mov_b32_e32 v86, 0x7fc02000
	s_mov_b32 s13, exec_lo
	s_delay_alu instid0(VALU_DEP_2)
	v_cmpx_ne_u32_e32 0x7f, v13
	s_cbranch_execz .LBB335_949
; %bb.946:                              ;   in Loop: Header=BB335_547 Depth=1
	v_lshrrev_b32_e32 v0, 3, v13
	v_cmp_gt_u32_e64 s0, 8, v13
	v_dual_mov_b32 v14, v12 :: v_dual_mov_b32 v13, v11
	s_delay_alu instid0(VALU_DEP_2)
	s_and_saveexec_b32 s15, s0
; %bb.947:                              ;   in Loop: Header=BB335_547 Depth=1
	v_and_b32_e32 v0, 7, v11
	s_delay_alu instid0(VALU_DEP_1) | instskip(NEXT) | instid1(VALU_DEP_1)
	v_clz_i32_u32_e32 v0, v0
	v_min_u32_e32 v0, 32, v0
	s_delay_alu instid0(VALU_DEP_1) | instskip(SKIP_1) | instid1(VALU_DEP_2)
	v_subrev_nc_u32_e32 v13, 28, v0
	v_sub_nc_u32_e32 v0, 29, v0
	v_lshlrev_b64 v[13:14], v13, v[11:12]
; %bb.948:                              ;   in Loop: Header=BB335_547 Depth=1
	s_or_b32 exec_lo, exec_lo, s15
	v_lshlrev_b32_e32 v14, 8, v11
	s_delay_alu instid0(VALU_DEP_3) | instskip(NEXT) | instid1(VALU_DEP_3)
	v_lshl_add_u32 v0, v0, 10, 0x2000
	v_lshlrev_b32_e32 v13, 7, v13
	s_delay_alu instid0(VALU_DEP_2) | instskip(NEXT) | instid1(VALU_DEP_1)
	v_and_or_b32 v0, 0x8000, v14, v0
	v_and_or_b32 v0, 0x380, v13, v0
	s_delay_alu instid0(VALU_DEP_1)
	v_cvt_f32_f16_e32 v86, v0
.LBB335_949:                            ;   in Loop: Header=BB335_547 Depth=1
	s_or_b32 exec_lo, exec_lo, s13
.LBB335_950:                            ;   in Loop: Header=BB335_547 Depth=1
	s_delay_alu instid0(SALU_CYCLE_1)
	s_or_b32 exec_lo, exec_lo, s12
.LBB335_951:                            ;   in Loop: Header=BB335_547 Depth=1
	s_delay_alu instid0(SALU_CYCLE_1) | instskip(SKIP_2) | instid1(VALU_DEP_1)
	s_or_b32 exec_lo, exec_lo, s10
	v_lshrrev_b16 v0, 8, v11
	s_mov_b32 s10, exec_lo
	v_cmpx_ne_u16_e32 0, v0
	s_cbranch_execz .LBB335_959
; %bb.952:                              ;   in Loop: Header=BB335_547 Depth=1
	v_bfrev_b32_e32 v87, 1
	s_mov_b32 s12, exec_lo
	v_cmpx_ne_u16_e32 0x80, v0
	s_cbranch_execz .LBB335_958
; %bb.953:                              ;   in Loop: Header=BB335_547 Depth=1
	v_and_b32_e32 v13, 0xffff, v0
	v_mov_b32_e32 v87, 0x7fc02000
	s_mov_b32 s13, exec_lo
	s_delay_alu instid0(VALU_DEP_2) | instskip(NEXT) | instid1(VALU_DEP_1)
	v_and_b32_e32 v96, 0x7f, v13
	v_cmpx_ne_u32_e32 0x7f, v96
	s_cbranch_execz .LBB335_957
; %bb.954:                              ;   in Loop: Header=BB335_547 Depth=1
	v_and_b32_e32 v0, 7, v13
	v_lshrrev_b32_e32 v14, 3, v96
	s_mov_b32 s15, exec_lo
	v_cmpx_gt_u32_e32 8, v96
; %bb.955:                              ;   in Loop: Header=BB335_547 Depth=1
	s_delay_alu instid0(VALU_DEP_3) | instskip(NEXT) | instid1(VALU_DEP_1)
	v_clz_i32_u32_e32 v14, v0
	v_min_u32_e32 v14, 32, v14
	s_delay_alu instid0(VALU_DEP_1) | instskip(SKIP_1) | instid1(VALU_DEP_2)
	v_subrev_nc_u32_e32 v87, 28, v14
	v_sub_nc_u32_e32 v14, 29, v14
	v_lshlrev_b64 v[96:97], v87, v[0:1]
	s_delay_alu instid0(VALU_DEP_1)
	v_and_b32_e32 v0, 7, v96
; %bb.956:                              ;   in Loop: Header=BB335_547 Depth=1
	s_or_b32 exec_lo, exec_lo, s15
	v_lshlrev_b32_e32 v13, 8, v13
	v_lshl_add_u32 v14, v14, 10, 0x2000
	s_delay_alu instid0(VALU_DEP_1) | instskip(NEXT) | instid1(VALU_DEP_1)
	v_and_or_b32 v13, 0x8000, v13, v14
	v_lshl_or_b32 v0, v0, 7, v13
	s_delay_alu instid0(VALU_DEP_1)
	v_cvt_f32_f16_e32 v87, v0
.LBB335_957:                            ;   in Loop: Header=BB335_547 Depth=1
	s_or_b32 exec_lo, exec_lo, s13
.LBB335_958:                            ;   in Loop: Header=BB335_547 Depth=1
	s_delay_alu instid0(SALU_CYCLE_1)
	s_or_b32 exec_lo, exec_lo, s12
.LBB335_959:                            ;   in Loop: Header=BB335_547 Depth=1
	s_delay_alu instid0(SALU_CYCLE_1) | instskip(SKIP_3) | instid1(VALU_DEP_2)
	s_or_b32 exec_lo, exec_lo, s10
	v_lshrrev_b32_e32 v13, 16, v11
	v_mov_b32_e32 v96, 0
	s_mov_b32 s10, exec_lo
	v_dual_mov_b32 v97, 0 :: v_dual_and_b32 v0, 0xff, v13
	s_delay_alu instid0(VALU_DEP_1)
	v_cmpx_ne_u16_e32 0, v0
	s_cbranch_execz .LBB335_967
; %bb.960:                              ;   in Loop: Header=BB335_547 Depth=1
	v_bfrev_b32_e32 v96, 1
	s_mov_b32 s12, exec_lo
	v_cmpx_ne_u16_e32 0x80, v0
	s_cbranch_execz .LBB335_966
; %bb.961:                              ;   in Loop: Header=BB335_547 Depth=1
	v_bfe_u32 v98, v11, 16, 7
	v_mov_b32_e32 v96, 0x7fc02000
	s_mov_b32 s13, exec_lo
	s_delay_alu instid0(VALU_DEP_2)
	v_cmpx_ne_u32_e32 0x7f, v98
	s_cbranch_execz .LBB335_965
; %bb.962:                              ;   in Loop: Header=BB335_547 Depth=1
	v_and_b32_e32 v0, 7, v13
	v_lshrrev_b32_e32 v14, 3, v98
	s_mov_b32 s15, exec_lo
	v_cmpx_gt_u32_e32 8, v98
; %bb.963:                              ;   in Loop: Header=BB335_547 Depth=1
	s_delay_alu instid0(VALU_DEP_3) | instskip(NEXT) | instid1(VALU_DEP_1)
	v_clz_i32_u32_e32 v14, v0
	v_min_u32_e32 v14, 32, v14
	s_delay_alu instid0(VALU_DEP_1) | instskip(SKIP_1) | instid1(VALU_DEP_2)
	v_subrev_nc_u32_e32 v96, 28, v14
	v_sub_nc_u32_e32 v14, 29, v14
	v_lshlrev_b64 v[98:99], v96, v[0:1]
	s_delay_alu instid0(VALU_DEP_1)
	v_and_b32_e32 v0, 7, v98
; %bb.964:                              ;   in Loop: Header=BB335_547 Depth=1
	s_or_b32 exec_lo, exec_lo, s15
	v_lshlrev_b32_e32 v13, 8, v13
	v_lshl_add_u32 v14, v14, 10, 0x2000
	s_delay_alu instid0(VALU_DEP_1) | instskip(NEXT) | instid1(VALU_DEP_1)
	v_and_or_b32 v13, 0x8000, v13, v14
	v_lshl_or_b32 v0, v0, 7, v13
	s_delay_alu instid0(VALU_DEP_1)
	v_cvt_f32_f16_e32 v96, v0
.LBB335_965:                            ;   in Loop: Header=BB335_547 Depth=1
	s_or_b32 exec_lo, exec_lo, s13
.LBB335_966:                            ;   in Loop: Header=BB335_547 Depth=1
	s_delay_alu instid0(SALU_CYCLE_1)
	s_or_b32 exec_lo, exec_lo, s12
.LBB335_967:                            ;   in Loop: Header=BB335_547 Depth=1
	s_delay_alu instid0(SALU_CYCLE_1) | instskip(NEXT) | instid1(SALU_CYCLE_1)
	s_or_b32 exec_lo, exec_lo, s10
	s_mov_b32 s10, exec_lo
	v_cmpx_lt_u32_e32 0xffffff, v11
	s_cbranch_execz .LBB335_975
; %bb.968:                              ;   in Loop: Header=BB335_547 Depth=1
	v_lshrrev_b32_e32 v13, 24, v11
	v_bfrev_b32_e32 v97, 1
	s_mov_b32 s12, exec_lo
	s_delay_alu instid0(VALU_DEP_2)
	v_cmpx_ne_u32_e32 0x80, v13
	s_cbranch_execz .LBB335_974
; %bb.969:                              ;   in Loop: Header=BB335_547 Depth=1
	v_and_b32_e32 v98, 0x7f, v13
	v_mov_b32_e32 v97, 0x7fc02000
	s_mov_b32 s13, exec_lo
	s_delay_alu instid0(VALU_DEP_2)
	v_cmpx_ne_u32_e32 0x7f, v98
	s_cbranch_execz .LBB335_973
; %bb.970:                              ;   in Loop: Header=BB335_547 Depth=1
	v_and_b32_e32 v0, 7, v13
	v_lshrrev_b32_e32 v14, 3, v98
	s_mov_b32 s15, exec_lo
	v_cmpx_gt_u32_e32 8, v98
; %bb.971:                              ;   in Loop: Header=BB335_547 Depth=1
	s_delay_alu instid0(VALU_DEP_3) | instskip(NEXT) | instid1(VALU_DEP_1)
	v_clz_i32_u32_e32 v14, v0
	v_min_u32_e32 v14, 32, v14
	s_delay_alu instid0(VALU_DEP_1) | instskip(SKIP_1) | instid1(VALU_DEP_2)
	v_subrev_nc_u32_e32 v97, 28, v14
	v_sub_nc_u32_e32 v14, 29, v14
	v_lshlrev_b64 v[97:98], v97, v[0:1]
	s_delay_alu instid0(VALU_DEP_1)
	v_and_b32_e32 v0, 7, v97
; %bb.972:                              ;   in Loop: Header=BB335_547 Depth=1
	s_or_b32 exec_lo, exec_lo, s15
	v_lshlrev_b32_e32 v13, 8, v13
	v_lshl_add_u32 v14, v14, 10, 0x2000
	s_delay_alu instid0(VALU_DEP_1) | instskip(NEXT) | instid1(VALU_DEP_1)
	v_and_or_b32 v13, 0x8000, v13, v14
	v_lshl_or_b32 v0, v0, 7, v13
	s_delay_alu instid0(VALU_DEP_1)
	v_cvt_f32_f16_e32 v97, v0
.LBB335_973:                            ;   in Loop: Header=BB335_547 Depth=1
	s_or_b32 exec_lo, exec_lo, s13
.LBB335_974:                            ;   in Loop: Header=BB335_547 Depth=1
	s_delay_alu instid0(SALU_CYCLE_1)
	s_or_b32 exec_lo, exec_lo, s12
.LBB335_975:                            ;   in Loop: Header=BB335_547 Depth=1
	s_delay_alu instid0(SALU_CYCLE_1) | instskip(SKIP_4) | instid1(VALU_DEP_3)
	s_or_b32 exec_lo, exec_lo, s10
	v_dual_mov_b32 v13, 0 :: v_dual_and_b32 v14, 0xff, v12
	v_mov_b32_e32 v0, v12
	v_mov_b32_e32 v98, 0
	s_mov_b32 s10, exec_lo
	v_cmpx_ne_u16_e32 0, v14
	s_cbranch_execz .LBB335_983
; %bb.976:                              ;   in Loop: Header=BB335_547 Depth=1
	v_bfrev_b32_e32 v13, 1
	s_mov_b32 s12, exec_lo
	v_cmpx_ne_u16_e32 0x80, v14
	s_cbranch_execz .LBB335_982
; %bb.977:                              ;   in Loop: Header=BB335_547 Depth=1
	v_and_b32_e32 v14, 0x7f, v12
	v_mov_b32_e32 v13, 0x7fc02000
	s_mov_b32 s13, exec_lo
	s_delay_alu instid0(VALU_DEP_2)
	v_cmpx_ne_u32_e32 0x7f, v14
	s_cbranch_execz .LBB335_981
; %bb.978:                              ;   in Loop: Header=BB335_547 Depth=1
	v_lshrrev_b32_e32 v99, 3, v14
	v_cmp_gt_u32_e64 s0, 8, v14
	v_dual_mov_b32 v14, v1 :: v_dual_mov_b32 v13, v0
	s_delay_alu instid0(VALU_DEP_2)
	s_and_saveexec_b32 s15, s0
; %bb.979:                              ;   in Loop: Header=BB335_547 Depth=1
	v_and_b32_e32 v13, 7, v12
	s_delay_alu instid0(VALU_DEP_1) | instskip(NEXT) | instid1(VALU_DEP_1)
	v_clz_i32_u32_e32 v13, v13
	v_min_u32_e32 v99, 32, v13
	s_delay_alu instid0(VALU_DEP_1) | instskip(SKIP_1) | instid1(VALU_DEP_2)
	v_subrev_nc_u32_e32 v13, 28, v99
	v_sub_nc_u32_e32 v99, 29, v99
	v_lshlrev_b64 v[13:14], v13, v[0:1]
; %bb.980:                              ;   in Loop: Header=BB335_547 Depth=1
	s_or_b32 exec_lo, exec_lo, s15
	v_lshlrev_b32_e32 v14, 8, v12
	s_delay_alu instid0(VALU_DEP_3) | instskip(NEXT) | instid1(VALU_DEP_3)
	v_lshl_add_u32 v99, v99, 10, 0x2000
	v_lshlrev_b32_e32 v13, 7, v13
	s_delay_alu instid0(VALU_DEP_2) | instskip(NEXT) | instid1(VALU_DEP_1)
	v_and_or_b32 v14, 0x8000, v14, v99
	v_and_or_b32 v13, 0x380, v13, v14
	s_delay_alu instid0(VALU_DEP_1)
	v_cvt_f32_f16_e32 v13, v13
.LBB335_981:                            ;   in Loop: Header=BB335_547 Depth=1
	s_or_b32 exec_lo, exec_lo, s13
.LBB335_982:                            ;   in Loop: Header=BB335_547 Depth=1
	s_delay_alu instid0(SALU_CYCLE_1)
	s_or_b32 exec_lo, exec_lo, s12
.LBB335_983:                            ;   in Loop: Header=BB335_547 Depth=1
	s_delay_alu instid0(SALU_CYCLE_1) | instskip(SKIP_2) | instid1(VALU_DEP_1)
	s_or_b32 exec_lo, exec_lo, s10
	v_lshrrev_b16 v0, 8, v0
	s_mov_b32 s10, exec_lo
	v_cmpx_ne_u16_e32 0, v0
	s_cbranch_execz .LBB335_991
; %bb.984:                              ;   in Loop: Header=BB335_547 Depth=1
	v_bfrev_b32_e32 v98, 1
	s_mov_b32 s12, exec_lo
	v_cmpx_ne_u16_e32 0x80, v0
	s_cbranch_execz .LBB335_990
; %bb.985:                              ;   in Loop: Header=BB335_547 Depth=1
	v_and_b32_e32 v14, 0xffff, v0
	v_mov_b32_e32 v98, 0x7fc02000
	s_mov_b32 s13, exec_lo
	s_delay_alu instid0(VALU_DEP_2) | instskip(NEXT) | instid1(VALU_DEP_1)
	v_and_b32_e32 v99, 0x7f, v14
	v_cmpx_ne_u32_e32 0x7f, v99
	s_cbranch_execz .LBB335_989
; %bb.986:                              ;   in Loop: Header=BB335_547 Depth=1
	v_and_b32_e32 v0, 7, v14
	v_lshrrev_b32_e32 v98, 3, v99
	s_mov_b32 s15, exec_lo
	v_cmpx_gt_u32_e32 8, v99
; %bb.987:                              ;   in Loop: Header=BB335_547 Depth=1
	s_delay_alu instid0(VALU_DEP_3) | instskip(NEXT) | instid1(VALU_DEP_1)
	v_clz_i32_u32_e32 v98, v0
	v_min_u32_e32 v98, 32, v98
	s_delay_alu instid0(VALU_DEP_1) | instskip(SKIP_1) | instid1(VALU_DEP_2)
	v_subrev_nc_u32_e32 v99, 28, v98
	v_sub_nc_u32_e32 v98, 29, v98
	v_lshlrev_b64 v[99:100], v99, v[0:1]
	s_delay_alu instid0(VALU_DEP_1)
	v_and_b32_e32 v0, 7, v99
; %bb.988:                              ;   in Loop: Header=BB335_547 Depth=1
	s_or_b32 exec_lo, exec_lo, s15
	v_lshlrev_b32_e32 v14, 8, v14
	v_lshl_add_u32 v98, v98, 10, 0x2000
	s_delay_alu instid0(VALU_DEP_1) | instskip(NEXT) | instid1(VALU_DEP_1)
	v_and_or_b32 v14, 0x8000, v14, v98
	v_lshl_or_b32 v0, v0, 7, v14
	s_delay_alu instid0(VALU_DEP_1)
	v_cvt_f32_f16_e32 v98, v0
.LBB335_989:                            ;   in Loop: Header=BB335_547 Depth=1
	s_or_b32 exec_lo, exec_lo, s13
.LBB335_990:                            ;   in Loop: Header=BB335_547 Depth=1
	s_delay_alu instid0(SALU_CYCLE_1)
	s_or_b32 exec_lo, exec_lo, s12
.LBB335_991:                            ;   in Loop: Header=BB335_547 Depth=1
	s_delay_alu instid0(SALU_CYCLE_1) | instskip(SKIP_3) | instid1(VALU_DEP_2)
	s_or_b32 exec_lo, exec_lo, s10
	v_lshrrev_b32_e32 v100, 16, v12
	v_mov_b32_e32 v14, 0
	s_mov_b32 s10, exec_lo
	v_dual_mov_b32 v99, 0 :: v_dual_and_b32 v0, 0xff, v100
	s_delay_alu instid0(VALU_DEP_1)
	v_cmpx_ne_u16_e32 0, v0
	s_cbranch_execz .LBB335_999
; %bb.992:                              ;   in Loop: Header=BB335_547 Depth=1
	v_bfrev_b32_e32 v14, 1
	s_mov_b32 s12, exec_lo
	v_cmpx_ne_u16_e32 0x80, v0
	s_cbranch_execz .LBB335_998
; %bb.993:                              ;   in Loop: Header=BB335_547 Depth=1
	v_bfe_u32 v101, v12, 16, 7
	v_mov_b32_e32 v14, 0x7fc02000
	s_mov_b32 s13, exec_lo
	s_delay_alu instid0(VALU_DEP_2)
	v_cmpx_ne_u32_e32 0x7f, v101
	s_cbranch_execz .LBB335_997
; %bb.994:                              ;   in Loop: Header=BB335_547 Depth=1
	v_and_b32_e32 v0, 7, v100
	v_lshrrev_b32_e32 v14, 3, v101
	s_mov_b32 s15, exec_lo
	v_cmpx_gt_u32_e32 8, v101
; %bb.995:                              ;   in Loop: Header=BB335_547 Depth=1
	s_delay_alu instid0(VALU_DEP_3) | instskip(NEXT) | instid1(VALU_DEP_1)
	v_clz_i32_u32_e32 v14, v0
	v_min_u32_e32 v14, 32, v14
	s_delay_alu instid0(VALU_DEP_1) | instskip(SKIP_1) | instid1(VALU_DEP_2)
	v_subrev_nc_u32_e32 v101, 28, v14
	v_sub_nc_u32_e32 v14, 29, v14
	v_lshlrev_b64 v[101:102], v101, v[0:1]
	s_delay_alu instid0(VALU_DEP_1)
	v_and_b32_e32 v0, 7, v101
; %bb.996:                              ;   in Loop: Header=BB335_547 Depth=1
	s_or_b32 exec_lo, exec_lo, s15
	v_lshlrev_b32_e32 v100, 8, v100
	v_lshl_add_u32 v14, v14, 10, 0x2000
	s_delay_alu instid0(VALU_DEP_1) | instskip(NEXT) | instid1(VALU_DEP_1)
	v_and_or_b32 v14, 0x8000, v100, v14
	v_lshl_or_b32 v0, v0, 7, v14
	s_delay_alu instid0(VALU_DEP_1)
	v_cvt_f32_f16_e32 v14, v0
.LBB335_997:                            ;   in Loop: Header=BB335_547 Depth=1
	s_or_b32 exec_lo, exec_lo, s13
.LBB335_998:                            ;   in Loop: Header=BB335_547 Depth=1
	s_delay_alu instid0(SALU_CYCLE_1)
	s_or_b32 exec_lo, exec_lo, s12
.LBB335_999:                            ;   in Loop: Header=BB335_547 Depth=1
	s_delay_alu instid0(SALU_CYCLE_1) | instskip(NEXT) | instid1(SALU_CYCLE_1)
	s_or_b32 exec_lo, exec_lo, s10
	s_mov_b32 s10, exec_lo
	v_cmpx_lt_u64_e64 s[8:9], v[11:12]
	s_cbranch_execz .LBB335_1007
; %bb.1000:                             ;   in Loop: Header=BB335_547 Depth=1
	v_lshrrev_b32_e32 v11, 24, v12
	v_bfrev_b32_e32 v99, 1
	s_mov_b32 s12, exec_lo
	s_delay_alu instid0(VALU_DEP_2)
	v_cmpx_ne_u32_e32 0x80, v11
	s_cbranch_execz .LBB335_1006
; %bb.1001:                             ;   in Loop: Header=BB335_547 Depth=1
	v_and_b32_e32 v100, 0x7f, v11
	v_mov_b32_e32 v99, 0x7fc02000
	s_mov_b32 s13, exec_lo
	s_delay_alu instid0(VALU_DEP_2)
	v_cmpx_ne_u32_e32 0x7f, v100
	s_cbranch_execz .LBB335_1005
; %bb.1002:                             ;   in Loop: Header=BB335_547 Depth=1
	v_and_b32_e32 v0, 7, v11
	v_lshrrev_b32_e32 v12, 3, v100
	s_mov_b32 s15, exec_lo
	v_cmpx_gt_u32_e32 8, v100
; %bb.1003:                             ;   in Loop: Header=BB335_547 Depth=1
	s_delay_alu instid0(VALU_DEP_3) | instskip(NEXT) | instid1(VALU_DEP_1)
	v_clz_i32_u32_e32 v12, v0
	v_min_u32_e32 v12, 32, v12
	s_delay_alu instid0(VALU_DEP_1) | instskip(SKIP_1) | instid1(VALU_DEP_2)
	v_subrev_nc_u32_e32 v99, 28, v12
	v_sub_nc_u32_e32 v12, 29, v12
	v_lshlrev_b64 v[99:100], v99, v[0:1]
	s_delay_alu instid0(VALU_DEP_1)
	v_and_b32_e32 v0, 7, v99
; %bb.1004:                             ;   in Loop: Header=BB335_547 Depth=1
	s_or_b32 exec_lo, exec_lo, s15
	v_lshlrev_b32_e32 v11, 8, v11
	v_lshl_add_u32 v12, v12, 10, 0x2000
	s_delay_alu instid0(VALU_DEP_1) | instskip(NEXT) | instid1(VALU_DEP_1)
	v_and_or_b32 v11, 0x8000, v11, v12
	v_lshl_or_b32 v0, v0, 7, v11
	s_delay_alu instid0(VALU_DEP_1)
	v_cvt_f32_f16_e32 v99, v0
.LBB335_1005:                           ;   in Loop: Header=BB335_547 Depth=1
	s_or_b32 exec_lo, exec_lo, s13
.LBB335_1006:                           ;   in Loop: Header=BB335_547 Depth=1
	s_delay_alu instid0(SALU_CYCLE_1)
	s_or_b32 exec_lo, exec_lo, s12
.LBB335_1007:                           ;   in Loop: Header=BB335_547 Depth=1
	s_delay_alu instid0(SALU_CYCLE_1)
	s_or_b32 exec_lo, exec_lo, s10
	s_waitcnt vmcnt(0) lgkmcnt(0)
	v_fma_mixlo_f16 v12, v85, v87, 0
	v_fma_mixlo_f16 v0, v85, v97, 0
	;; [unrolled: 1-line block ×5, first 2 shown]
	v_lshlrev_b32_e32 v87, 16, v12
	v_fma_mixlo_f16 v13, v85, v13, 0
	v_fma_mixlo_f16 v97, v85, v99, 0
	;; [unrolled: 1-line block ×3, first 2 shown]
	v_lshlrev_b32_e32 v0, 16, v0
	v_and_b32_e32 v11, 0xffff, v11
	v_and_b32_e32 v14, 0xffff, v86
	v_lshlrev_b32_e32 v85, 16, v96
	v_and_b32_e32 v86, 0xffff, v13
	v_lshlrev_b32_e32 v96, 16, v97
	v_and_b32_e32 v97, 0xffff, v12
	v_or_b32_e32 v13, v0, v11
	v_or_b32_e32 v14, v87, v14
	;; [unrolled: 1-line block ×3, first 2 shown]
	s_delay_alu instid0(VALU_DEP_4)
	v_or_b32_e32 v11, v96, v97
	s_and_saveexec_b32 s10, vcc_lo
	s_cbranch_execz .LBB335_1009
; %bb.1008:                             ;   in Loop: Header=BB335_547 Depth=1
	v_cmp_lt_i32_e64 s0, v15, v33
	v_lshrrev_b32_e32 v85, 16, v14
	v_lshrrev_b32_e32 v86, 16, v13
	;; [unrolled: 1-line block ×4, first 2 shown]
	v_cndmask_b32_e64 v14, 0, v14, s0
	v_cmp_lt_i32_e64 s0, v52, v37
	s_delay_alu instid0(VALU_DEP_1) | instskip(SKIP_1) | instid1(VALU_DEP_2)
	v_cndmask_b32_e64 v85, 0, v85, s0
	v_cmp_lt_i32_e64 s0, v51, v37
	v_perm_b32 v14, v85, v14, 0x5040100
	s_delay_alu instid0(VALU_DEP_2) | instskip(SKIP_1) | instid1(VALU_DEP_1)
	v_cndmask_b32_e64 v86, 0, v86, s0
	v_cmp_lt_i32_e64 s0, v50, v33
	v_cndmask_b32_e64 v13, 0, v13, s0
	v_cmp_lt_i32_e64 s0, v49, v37
	s_delay_alu instid0(VALU_DEP_2) | instskip(NEXT) | instid1(VALU_DEP_2)
	v_perm_b32 v13, v86, v13, 0x5040100
	v_cndmask_b32_e64 v87, 0, v87, s0
	v_cmp_lt_i32_e64 s0, v38, v33
	s_delay_alu instid0(VALU_DEP_1) | instskip(SKIP_1) | instid1(VALU_DEP_2)
	v_cndmask_b32_e64 v0, 0, v0, s0
	v_cmp_lt_i32_e64 s0, v23, v37
	v_perm_b32 v0, v87, v0, 0x5040100
	s_delay_alu instid0(VALU_DEP_2) | instskip(SKIP_1) | instid1(VALU_DEP_1)
	v_cndmask_b32_e64 v11, 0, v11, s0
	v_cmp_lt_i32_e64 s0, v17, v33
	v_cndmask_b32_e64 v12, 0, v12, s0
	s_delay_alu instid0(VALU_DEP_1)
	v_perm_b32 v11, v11, v12, 0x5040100
.LBB335_1009:                           ;   in Loop: Header=BB335_547 Depth=1
	s_or_b32 exec_lo, exec_lo, s10
	;;#ASMSTART
	v_pk_mul_f16 v12, v64, v14;

	;;#ASMEND
	;;#ASMSTART
	v_pk_mul_f16 v13, v55, v13;

	;;#ASMEND
	;; [unrolled: 4-line block ×4, first 2 shown]
	;;#ASMSTART
	v_pk_add_f16 v12, v12, v13;

	;;#ASMEND
	;;#ASMSTART
	v_pk_add_f16 v0, v12, v0;

	;;#ASMEND
	;; [unrolled: 4-line block ×3, first 2 shown]
	v_dual_mov_b32 v86, 0 :: v_dual_and_b32 v11, 0xffff, v0
	v_lshrrev_b32_e32 v0, 16, v0
	;;#ASMSTART
	v_cvt_f32_f16 v13, v11;
	;;#ASMEND
	;;#ASMSTART
	v_cvt_f32_f16 v14, v0;
	;;#ASMEND
	flat_load_b64 v[9:10], v[9:10] offset:1792
	flat_load_b32 v85, v[26:27]
	s_mov_b32 s10, exec_lo
	s_waitcnt vmcnt(1) lgkmcnt(1)
	v_dual_mov_b32 v87, 0 :: v_dual_and_b32 v0, 0xff, v9
	s_delay_alu instid0(VALU_DEP_1)
	v_cmpx_ne_u16_e32 0, v0
	s_cbranch_execz .LBB335_1017
; %bb.1010:                             ;   in Loop: Header=BB335_547 Depth=1
	v_bfrev_b32_e32 v86, 1
	s_mov_b32 s12, exec_lo
	v_cmpx_ne_u16_e32 0x80, v0
	s_cbranch_execz .LBB335_1016
; %bb.1011:                             ;   in Loop: Header=BB335_547 Depth=1
	v_and_b32_e32 v11, 0x7f, v9
	v_mov_b32_e32 v86, 0x7fc02000
	s_mov_b32 s13, exec_lo
	s_delay_alu instid0(VALU_DEP_2)
	v_cmpx_ne_u32_e32 0x7f, v11
	s_cbranch_execz .LBB335_1015
; %bb.1012:                             ;   in Loop: Header=BB335_547 Depth=1
	v_lshrrev_b32_e32 v0, 3, v11
	v_cmp_gt_u32_e64 s0, 8, v11
	v_dual_mov_b32 v12, v10 :: v_dual_mov_b32 v11, v9
	s_delay_alu instid0(VALU_DEP_2)
	s_and_saveexec_b32 s15, s0
; %bb.1013:                             ;   in Loop: Header=BB335_547 Depth=1
	v_and_b32_e32 v0, 7, v9
	s_delay_alu instid0(VALU_DEP_1) | instskip(NEXT) | instid1(VALU_DEP_1)
	v_clz_i32_u32_e32 v0, v0
	v_min_u32_e32 v0, 32, v0
	s_delay_alu instid0(VALU_DEP_1) | instskip(SKIP_1) | instid1(VALU_DEP_2)
	v_subrev_nc_u32_e32 v11, 28, v0
	v_sub_nc_u32_e32 v0, 29, v0
	v_lshlrev_b64 v[11:12], v11, v[9:10]
; %bb.1014:                             ;   in Loop: Header=BB335_547 Depth=1
	s_or_b32 exec_lo, exec_lo, s15
	v_lshlrev_b32_e32 v12, 8, v9
	s_delay_alu instid0(VALU_DEP_3) | instskip(NEXT) | instid1(VALU_DEP_3)
	v_lshl_add_u32 v0, v0, 10, 0x2000
	v_lshlrev_b32_e32 v11, 7, v11
	s_delay_alu instid0(VALU_DEP_2) | instskip(NEXT) | instid1(VALU_DEP_1)
	v_and_or_b32 v0, 0x8000, v12, v0
	v_and_or_b32 v0, 0x380, v11, v0
	s_delay_alu instid0(VALU_DEP_1)
	v_cvt_f32_f16_e32 v86, v0
.LBB335_1015:                           ;   in Loop: Header=BB335_547 Depth=1
	s_or_b32 exec_lo, exec_lo, s13
.LBB335_1016:                           ;   in Loop: Header=BB335_547 Depth=1
	s_delay_alu instid0(SALU_CYCLE_1)
	s_or_b32 exec_lo, exec_lo, s12
.LBB335_1017:                           ;   in Loop: Header=BB335_547 Depth=1
	s_delay_alu instid0(SALU_CYCLE_1) | instskip(SKIP_2) | instid1(VALU_DEP_1)
	s_or_b32 exec_lo, exec_lo, s10
	v_lshrrev_b16 v0, 8, v9
	s_mov_b32 s10, exec_lo
	v_cmpx_ne_u16_e32 0, v0
	s_cbranch_execz .LBB335_1025
; %bb.1018:                             ;   in Loop: Header=BB335_547 Depth=1
	v_bfrev_b32_e32 v87, 1
	s_mov_b32 s12, exec_lo
	v_cmpx_ne_u16_e32 0x80, v0
	s_cbranch_execz .LBB335_1024
; %bb.1019:                             ;   in Loop: Header=BB335_547 Depth=1
	v_and_b32_e32 v11, 0xffff, v0
	v_mov_b32_e32 v87, 0x7fc02000
	s_mov_b32 s13, exec_lo
	s_delay_alu instid0(VALU_DEP_2) | instskip(NEXT) | instid1(VALU_DEP_1)
	v_and_b32_e32 v96, 0x7f, v11
	v_cmpx_ne_u32_e32 0x7f, v96
	s_cbranch_execz .LBB335_1023
; %bb.1020:                             ;   in Loop: Header=BB335_547 Depth=1
	v_and_b32_e32 v0, 7, v11
	v_lshrrev_b32_e32 v12, 3, v96
	s_mov_b32 s15, exec_lo
	v_cmpx_gt_u32_e32 8, v96
; %bb.1021:                             ;   in Loop: Header=BB335_547 Depth=1
	s_delay_alu instid0(VALU_DEP_3) | instskip(NEXT) | instid1(VALU_DEP_1)
	v_clz_i32_u32_e32 v12, v0
	v_min_u32_e32 v12, 32, v12
	s_delay_alu instid0(VALU_DEP_1) | instskip(SKIP_1) | instid1(VALU_DEP_2)
	v_subrev_nc_u32_e32 v87, 28, v12
	v_sub_nc_u32_e32 v12, 29, v12
	v_lshlrev_b64 v[96:97], v87, v[0:1]
	s_delay_alu instid0(VALU_DEP_1)
	v_and_b32_e32 v0, 7, v96
; %bb.1022:                             ;   in Loop: Header=BB335_547 Depth=1
	s_or_b32 exec_lo, exec_lo, s15
	v_lshlrev_b32_e32 v11, 8, v11
	v_lshl_add_u32 v12, v12, 10, 0x2000
	s_delay_alu instid0(VALU_DEP_1) | instskip(NEXT) | instid1(VALU_DEP_1)
	v_and_or_b32 v11, 0x8000, v11, v12
	v_lshl_or_b32 v0, v0, 7, v11
	s_delay_alu instid0(VALU_DEP_1)
	v_cvt_f32_f16_e32 v87, v0
.LBB335_1023:                           ;   in Loop: Header=BB335_547 Depth=1
	s_or_b32 exec_lo, exec_lo, s13
.LBB335_1024:                           ;   in Loop: Header=BB335_547 Depth=1
	s_delay_alu instid0(SALU_CYCLE_1)
	s_or_b32 exec_lo, exec_lo, s12
.LBB335_1025:                           ;   in Loop: Header=BB335_547 Depth=1
	s_delay_alu instid0(SALU_CYCLE_1) | instskip(SKIP_3) | instid1(VALU_DEP_2)
	s_or_b32 exec_lo, exec_lo, s10
	v_lshrrev_b32_e32 v11, 16, v9
	v_mov_b32_e32 v96, 0
	s_mov_b32 s10, exec_lo
	v_dual_mov_b32 v97, 0 :: v_dual_and_b32 v0, 0xff, v11
	s_delay_alu instid0(VALU_DEP_1)
	v_cmpx_ne_u16_e32 0, v0
	s_cbranch_execz .LBB335_1033
; %bb.1026:                             ;   in Loop: Header=BB335_547 Depth=1
	v_bfrev_b32_e32 v96, 1
	s_mov_b32 s12, exec_lo
	v_cmpx_ne_u16_e32 0x80, v0
	s_cbranch_execz .LBB335_1032
; %bb.1027:                             ;   in Loop: Header=BB335_547 Depth=1
	v_bfe_u32 v98, v9, 16, 7
	v_mov_b32_e32 v96, 0x7fc02000
	s_mov_b32 s13, exec_lo
	s_delay_alu instid0(VALU_DEP_2)
	v_cmpx_ne_u32_e32 0x7f, v98
	s_cbranch_execz .LBB335_1031
; %bb.1028:                             ;   in Loop: Header=BB335_547 Depth=1
	v_and_b32_e32 v0, 7, v11
	v_lshrrev_b32_e32 v12, 3, v98
	s_mov_b32 s15, exec_lo
	v_cmpx_gt_u32_e32 8, v98
; %bb.1029:                             ;   in Loop: Header=BB335_547 Depth=1
	s_delay_alu instid0(VALU_DEP_3) | instskip(NEXT) | instid1(VALU_DEP_1)
	v_clz_i32_u32_e32 v12, v0
	v_min_u32_e32 v12, 32, v12
	s_delay_alu instid0(VALU_DEP_1) | instskip(SKIP_1) | instid1(VALU_DEP_2)
	v_subrev_nc_u32_e32 v96, 28, v12
	v_sub_nc_u32_e32 v12, 29, v12
	v_lshlrev_b64 v[98:99], v96, v[0:1]
	s_delay_alu instid0(VALU_DEP_1)
	v_and_b32_e32 v0, 7, v98
; %bb.1030:                             ;   in Loop: Header=BB335_547 Depth=1
	s_or_b32 exec_lo, exec_lo, s15
	v_lshlrev_b32_e32 v11, 8, v11
	v_lshl_add_u32 v12, v12, 10, 0x2000
	s_delay_alu instid0(VALU_DEP_1) | instskip(NEXT) | instid1(VALU_DEP_1)
	v_and_or_b32 v11, 0x8000, v11, v12
	v_lshl_or_b32 v0, v0, 7, v11
	s_delay_alu instid0(VALU_DEP_1)
	v_cvt_f32_f16_e32 v96, v0
.LBB335_1031:                           ;   in Loop: Header=BB335_547 Depth=1
	s_or_b32 exec_lo, exec_lo, s13
.LBB335_1032:                           ;   in Loop: Header=BB335_547 Depth=1
	s_delay_alu instid0(SALU_CYCLE_1)
	s_or_b32 exec_lo, exec_lo, s12
.LBB335_1033:                           ;   in Loop: Header=BB335_547 Depth=1
	s_delay_alu instid0(SALU_CYCLE_1) | instskip(NEXT) | instid1(SALU_CYCLE_1)
	s_or_b32 exec_lo, exec_lo, s10
	s_mov_b32 s10, exec_lo
	v_cmpx_lt_u32_e32 0xffffff, v9
	s_cbranch_execz .LBB335_1041
; %bb.1034:                             ;   in Loop: Header=BB335_547 Depth=1
	v_lshrrev_b32_e32 v11, 24, v9
	v_bfrev_b32_e32 v97, 1
	s_mov_b32 s12, exec_lo
	s_delay_alu instid0(VALU_DEP_2)
	v_cmpx_ne_u32_e32 0x80, v11
	s_cbranch_execz .LBB335_1040
; %bb.1035:                             ;   in Loop: Header=BB335_547 Depth=1
	v_and_b32_e32 v98, 0x7f, v11
	v_mov_b32_e32 v97, 0x7fc02000
	s_mov_b32 s13, exec_lo
	s_delay_alu instid0(VALU_DEP_2)
	v_cmpx_ne_u32_e32 0x7f, v98
	s_cbranch_execz .LBB335_1039
; %bb.1036:                             ;   in Loop: Header=BB335_547 Depth=1
	v_and_b32_e32 v0, 7, v11
	v_lshrrev_b32_e32 v12, 3, v98
	s_mov_b32 s15, exec_lo
	v_cmpx_gt_u32_e32 8, v98
; %bb.1037:                             ;   in Loop: Header=BB335_547 Depth=1
	s_delay_alu instid0(VALU_DEP_3) | instskip(NEXT) | instid1(VALU_DEP_1)
	v_clz_i32_u32_e32 v12, v0
	v_min_u32_e32 v12, 32, v12
	s_delay_alu instid0(VALU_DEP_1) | instskip(SKIP_1) | instid1(VALU_DEP_2)
	v_subrev_nc_u32_e32 v97, 28, v12
	v_sub_nc_u32_e32 v12, 29, v12
	v_lshlrev_b64 v[97:98], v97, v[0:1]
	s_delay_alu instid0(VALU_DEP_1)
	v_and_b32_e32 v0, 7, v97
; %bb.1038:                             ;   in Loop: Header=BB335_547 Depth=1
	s_or_b32 exec_lo, exec_lo, s15
	v_lshlrev_b32_e32 v11, 8, v11
	v_lshl_add_u32 v12, v12, 10, 0x2000
	s_delay_alu instid0(VALU_DEP_1) | instskip(NEXT) | instid1(VALU_DEP_1)
	v_and_or_b32 v11, 0x8000, v11, v12
	v_lshl_or_b32 v0, v0, 7, v11
	s_delay_alu instid0(VALU_DEP_1)
	v_cvt_f32_f16_e32 v97, v0
.LBB335_1039:                           ;   in Loop: Header=BB335_547 Depth=1
	s_or_b32 exec_lo, exec_lo, s13
.LBB335_1040:                           ;   in Loop: Header=BB335_547 Depth=1
	s_delay_alu instid0(SALU_CYCLE_1)
	s_or_b32 exec_lo, exec_lo, s12
.LBB335_1041:                           ;   in Loop: Header=BB335_547 Depth=1
	s_delay_alu instid0(SALU_CYCLE_1) | instskip(SKIP_4) | instid1(VALU_DEP_3)
	s_or_b32 exec_lo, exec_lo, s10
	v_dual_mov_b32 v11, 0 :: v_dual_and_b32 v12, 0xff, v10
	v_mov_b32_e32 v0, v10
	v_mov_b32_e32 v98, 0
	s_mov_b32 s10, exec_lo
	v_cmpx_ne_u16_e32 0, v12
	s_cbranch_execz .LBB335_1049
; %bb.1042:                             ;   in Loop: Header=BB335_547 Depth=1
	v_bfrev_b32_e32 v11, 1
	s_mov_b32 s12, exec_lo
	v_cmpx_ne_u16_e32 0x80, v12
	s_cbranch_execz .LBB335_1048
; %bb.1043:                             ;   in Loop: Header=BB335_547 Depth=1
	v_and_b32_e32 v12, 0x7f, v10
	v_mov_b32_e32 v11, 0x7fc02000
	s_mov_b32 s13, exec_lo
	s_delay_alu instid0(VALU_DEP_2)
	v_cmpx_ne_u32_e32 0x7f, v12
	s_cbranch_execz .LBB335_1047
; %bb.1044:                             ;   in Loop: Header=BB335_547 Depth=1
	v_lshrrev_b32_e32 v99, 3, v12
	v_cmp_gt_u32_e64 s0, 8, v12
	v_dual_mov_b32 v12, v1 :: v_dual_mov_b32 v11, v0
	s_delay_alu instid0(VALU_DEP_2)
	s_and_saveexec_b32 s15, s0
; %bb.1045:                             ;   in Loop: Header=BB335_547 Depth=1
	v_and_b32_e32 v11, 7, v10
	s_delay_alu instid0(VALU_DEP_1) | instskip(NEXT) | instid1(VALU_DEP_1)
	v_clz_i32_u32_e32 v11, v11
	v_min_u32_e32 v99, 32, v11
	s_delay_alu instid0(VALU_DEP_1) | instskip(SKIP_1) | instid1(VALU_DEP_2)
	v_subrev_nc_u32_e32 v11, 28, v99
	v_sub_nc_u32_e32 v99, 29, v99
	v_lshlrev_b64 v[11:12], v11, v[0:1]
; %bb.1046:                             ;   in Loop: Header=BB335_547 Depth=1
	s_or_b32 exec_lo, exec_lo, s15
	v_lshlrev_b32_e32 v12, 8, v10
	s_delay_alu instid0(VALU_DEP_3) | instskip(NEXT) | instid1(VALU_DEP_3)
	v_lshl_add_u32 v99, v99, 10, 0x2000
	v_lshlrev_b32_e32 v11, 7, v11
	s_delay_alu instid0(VALU_DEP_2) | instskip(NEXT) | instid1(VALU_DEP_1)
	v_and_or_b32 v12, 0x8000, v12, v99
	v_and_or_b32 v11, 0x380, v11, v12
	s_delay_alu instid0(VALU_DEP_1)
	v_cvt_f32_f16_e32 v11, v11
.LBB335_1047:                           ;   in Loop: Header=BB335_547 Depth=1
	s_or_b32 exec_lo, exec_lo, s13
.LBB335_1048:                           ;   in Loop: Header=BB335_547 Depth=1
	s_delay_alu instid0(SALU_CYCLE_1)
	s_or_b32 exec_lo, exec_lo, s12
.LBB335_1049:                           ;   in Loop: Header=BB335_547 Depth=1
	s_delay_alu instid0(SALU_CYCLE_1) | instskip(SKIP_2) | instid1(VALU_DEP_1)
	s_or_b32 exec_lo, exec_lo, s10
	v_lshrrev_b16 v0, 8, v0
	s_mov_b32 s10, exec_lo
	v_cmpx_ne_u16_e32 0, v0
	s_cbranch_execz .LBB335_1057
; %bb.1050:                             ;   in Loop: Header=BB335_547 Depth=1
	v_bfrev_b32_e32 v98, 1
	s_mov_b32 s12, exec_lo
	v_cmpx_ne_u16_e32 0x80, v0
	s_cbranch_execz .LBB335_1056
; %bb.1051:                             ;   in Loop: Header=BB335_547 Depth=1
	v_and_b32_e32 v12, 0xffff, v0
	v_mov_b32_e32 v98, 0x7fc02000
	s_mov_b32 s13, exec_lo
	s_delay_alu instid0(VALU_DEP_2) | instskip(NEXT) | instid1(VALU_DEP_1)
	v_and_b32_e32 v99, 0x7f, v12
	v_cmpx_ne_u32_e32 0x7f, v99
	s_cbranch_execz .LBB335_1055
; %bb.1052:                             ;   in Loop: Header=BB335_547 Depth=1
	v_and_b32_e32 v0, 7, v12
	v_lshrrev_b32_e32 v98, 3, v99
	s_mov_b32 s15, exec_lo
	v_cmpx_gt_u32_e32 8, v99
; %bb.1053:                             ;   in Loop: Header=BB335_547 Depth=1
	s_delay_alu instid0(VALU_DEP_3) | instskip(NEXT) | instid1(VALU_DEP_1)
	v_clz_i32_u32_e32 v98, v0
	v_min_u32_e32 v98, 32, v98
	s_delay_alu instid0(VALU_DEP_1) | instskip(SKIP_1) | instid1(VALU_DEP_2)
	v_subrev_nc_u32_e32 v99, 28, v98
	v_sub_nc_u32_e32 v98, 29, v98
	v_lshlrev_b64 v[99:100], v99, v[0:1]
	s_delay_alu instid0(VALU_DEP_1)
	v_and_b32_e32 v0, 7, v99
; %bb.1054:                             ;   in Loop: Header=BB335_547 Depth=1
	s_or_b32 exec_lo, exec_lo, s15
	v_lshlrev_b32_e32 v12, 8, v12
	v_lshl_add_u32 v98, v98, 10, 0x2000
	s_delay_alu instid0(VALU_DEP_1) | instskip(NEXT) | instid1(VALU_DEP_1)
	v_and_or_b32 v12, 0x8000, v12, v98
	v_lshl_or_b32 v0, v0, 7, v12
	s_delay_alu instid0(VALU_DEP_1)
	v_cvt_f32_f16_e32 v98, v0
.LBB335_1055:                           ;   in Loop: Header=BB335_547 Depth=1
	s_or_b32 exec_lo, exec_lo, s13
.LBB335_1056:                           ;   in Loop: Header=BB335_547 Depth=1
	s_delay_alu instid0(SALU_CYCLE_1)
	s_or_b32 exec_lo, exec_lo, s12
.LBB335_1057:                           ;   in Loop: Header=BB335_547 Depth=1
	s_delay_alu instid0(SALU_CYCLE_1) | instskip(SKIP_3) | instid1(VALU_DEP_2)
	s_or_b32 exec_lo, exec_lo, s10
	v_lshrrev_b32_e32 v100, 16, v10
	v_mov_b32_e32 v12, 0
	s_mov_b32 s10, exec_lo
	v_dual_mov_b32 v99, 0 :: v_dual_and_b32 v0, 0xff, v100
	s_delay_alu instid0(VALU_DEP_1)
	v_cmpx_ne_u16_e32 0, v0
	s_cbranch_execz .LBB335_1065
; %bb.1058:                             ;   in Loop: Header=BB335_547 Depth=1
	v_bfrev_b32_e32 v12, 1
	s_mov_b32 s12, exec_lo
	v_cmpx_ne_u16_e32 0x80, v0
	s_cbranch_execz .LBB335_1064
; %bb.1059:                             ;   in Loop: Header=BB335_547 Depth=1
	v_bfe_u32 v101, v10, 16, 7
	v_mov_b32_e32 v12, 0x7fc02000
	s_mov_b32 s13, exec_lo
	s_delay_alu instid0(VALU_DEP_2)
	v_cmpx_ne_u32_e32 0x7f, v101
	s_cbranch_execz .LBB335_1063
; %bb.1060:                             ;   in Loop: Header=BB335_547 Depth=1
	v_and_b32_e32 v0, 7, v100
	v_lshrrev_b32_e32 v12, 3, v101
	s_mov_b32 s15, exec_lo
	v_cmpx_gt_u32_e32 8, v101
; %bb.1061:                             ;   in Loop: Header=BB335_547 Depth=1
	s_delay_alu instid0(VALU_DEP_3) | instskip(NEXT) | instid1(VALU_DEP_1)
	v_clz_i32_u32_e32 v12, v0
	v_min_u32_e32 v12, 32, v12
	s_delay_alu instid0(VALU_DEP_1) | instskip(SKIP_1) | instid1(VALU_DEP_2)
	v_subrev_nc_u32_e32 v101, 28, v12
	v_sub_nc_u32_e32 v12, 29, v12
	v_lshlrev_b64 v[101:102], v101, v[0:1]
	s_delay_alu instid0(VALU_DEP_1)
	v_and_b32_e32 v0, 7, v101
; %bb.1062:                             ;   in Loop: Header=BB335_547 Depth=1
	s_or_b32 exec_lo, exec_lo, s15
	v_lshlrev_b32_e32 v100, 8, v100
	v_lshl_add_u32 v12, v12, 10, 0x2000
	s_delay_alu instid0(VALU_DEP_1) | instskip(NEXT) | instid1(VALU_DEP_1)
	v_and_or_b32 v12, 0x8000, v100, v12
	v_lshl_or_b32 v0, v0, 7, v12
	s_delay_alu instid0(VALU_DEP_1)
	v_cvt_f32_f16_e32 v12, v0
.LBB335_1063:                           ;   in Loop: Header=BB335_547 Depth=1
	s_or_b32 exec_lo, exec_lo, s13
.LBB335_1064:                           ;   in Loop: Header=BB335_547 Depth=1
	s_delay_alu instid0(SALU_CYCLE_1)
	s_or_b32 exec_lo, exec_lo, s12
.LBB335_1065:                           ;   in Loop: Header=BB335_547 Depth=1
	s_delay_alu instid0(SALU_CYCLE_1) | instskip(NEXT) | instid1(SALU_CYCLE_1)
	s_or_b32 exec_lo, exec_lo, s10
	s_mov_b32 s10, exec_lo
	v_cmpx_lt_u64_e64 s[8:9], v[9:10]
	s_cbranch_execz .LBB335_1073
; %bb.1066:                             ;   in Loop: Header=BB335_547 Depth=1
	v_lshrrev_b32_e32 v9, 24, v10
	v_bfrev_b32_e32 v99, 1
	s_mov_b32 s12, exec_lo
	s_delay_alu instid0(VALU_DEP_2)
	v_cmpx_ne_u32_e32 0x80, v9
	s_cbranch_execz .LBB335_1072
; %bb.1067:                             ;   in Loop: Header=BB335_547 Depth=1
	v_and_b32_e32 v100, 0x7f, v9
	v_mov_b32_e32 v99, 0x7fc02000
	s_mov_b32 s13, exec_lo
	s_delay_alu instid0(VALU_DEP_2)
	v_cmpx_ne_u32_e32 0x7f, v100
	s_cbranch_execz .LBB335_1071
; %bb.1068:                             ;   in Loop: Header=BB335_547 Depth=1
	v_and_b32_e32 v0, 7, v9
	v_lshrrev_b32_e32 v10, 3, v100
	s_mov_b32 s15, exec_lo
	v_cmpx_gt_u32_e32 8, v100
; %bb.1069:                             ;   in Loop: Header=BB335_547 Depth=1
	s_delay_alu instid0(VALU_DEP_3) | instskip(NEXT) | instid1(VALU_DEP_1)
	v_clz_i32_u32_e32 v10, v0
	v_min_u32_e32 v10, 32, v10
	s_delay_alu instid0(VALU_DEP_1) | instskip(SKIP_1) | instid1(VALU_DEP_2)
	v_subrev_nc_u32_e32 v99, 28, v10
	v_sub_nc_u32_e32 v10, 29, v10
	v_lshlrev_b64 v[99:100], v99, v[0:1]
	s_delay_alu instid0(VALU_DEP_1)
	v_and_b32_e32 v0, 7, v99
; %bb.1070:                             ;   in Loop: Header=BB335_547 Depth=1
	s_or_b32 exec_lo, exec_lo, s15
	v_lshlrev_b32_e32 v9, 8, v9
	v_lshl_add_u32 v10, v10, 10, 0x2000
	s_delay_alu instid0(VALU_DEP_1) | instskip(NEXT) | instid1(VALU_DEP_1)
	v_and_or_b32 v9, 0x8000, v9, v10
	v_lshl_or_b32 v0, v0, 7, v9
	s_delay_alu instid0(VALU_DEP_1)
	v_cvt_f32_f16_e32 v99, v0
.LBB335_1071:                           ;   in Loop: Header=BB335_547 Depth=1
	s_or_b32 exec_lo, exec_lo, s13
.LBB335_1072:                           ;   in Loop: Header=BB335_547 Depth=1
	s_delay_alu instid0(SALU_CYCLE_1)
	s_or_b32 exec_lo, exec_lo, s12
.LBB335_1073:                           ;   in Loop: Header=BB335_547 Depth=1
	s_delay_alu instid0(SALU_CYCLE_1)
	s_or_b32 exec_lo, exec_lo, s10
	s_waitcnt vmcnt(0) lgkmcnt(0)
	v_fma_mixlo_f16 v10, v85, v87, 0
	v_fma_mixlo_f16 v0, v85, v97, 0
	;; [unrolled: 1-line block ×5, first 2 shown]
	v_lshlrev_b32_e32 v87, 16, v10
	v_fma_mixlo_f16 v10, v85, v86, 0
	v_fma_mixlo_f16 v86, v85, v98, 0
	;; [unrolled: 1-line block ×3, first 2 shown]
	v_lshlrev_b32_e32 v0, 16, v0
	v_and_b32_e32 v9, 0xffff, v9
	v_and_b32_e32 v12, 0xffff, v10
	v_lshlrev_b32_e32 v85, 16, v86
	v_and_b32_e32 v86, 0xffff, v96
	v_lshlrev_b32_e32 v96, 16, v97
	v_and_b32_e32 v97, 0xffff, v11
	v_or_b32_e32 v10, v0, v9
	v_or_b32_e32 v12, v87, v12
	;; [unrolled: 1-line block ×3, first 2 shown]
	s_delay_alu instid0(VALU_DEP_4)
	v_or_b32_e32 v9, v96, v97
	s_and_saveexec_b32 s0, vcc_lo
	s_cbranch_execz .LBB335_546
; %bb.1074:                             ;   in Loop: Header=BB335_547 Depth=1
	v_cmp_lt_i32_e32 vcc_lo, v15, v33
	v_lshrrev_b32_e32 v85, 16, v12
	v_lshrrev_b32_e32 v86, 16, v10
	;; [unrolled: 1-line block ×3, first 2 shown]
	v_cndmask_b32_e32 v12, 0, v12, vcc_lo
	v_cmp_lt_i32_e32 vcc_lo, v52, v37
	v_cndmask_b32_e32 v52, 0, v85, vcc_lo
	v_cmp_lt_i32_e32 vcc_lo, v51, v37
	v_lshrrev_b32_e32 v85, 16, v0
	v_cndmask_b32_e32 v51, 0, v86, vcc_lo
	v_cmp_lt_i32_e32 vcc_lo, v50, v33
	v_cndmask_b32_e32 v10, 0, v10, vcc_lo
	v_cmp_lt_i32_e32 vcc_lo, v49, v37
	v_cndmask_b32_e32 v49, 0, v85, vcc_lo
	v_cmp_lt_i32_e32 vcc_lo, v38, v33
	s_delay_alu instid0(VALU_DEP_4) | instskip(SKIP_4) | instid1(VALU_DEP_4)
	v_perm_b32 v10, v51, v10, 0x5040100
	v_cndmask_b32_e32 v0, 0, v0, vcc_lo
	v_cmp_lt_i32_e32 vcc_lo, v23, v37
	v_cndmask_b32_e32 v9, 0, v9, vcc_lo
	v_cmp_lt_i32_e32 vcc_lo, v17, v33
	v_perm_b32 v0, v49, v0, 0x5040100
	v_cndmask_b32_e32 v11, 0, v11, vcc_lo
	v_perm_b32 v12, v52, v12, 0x5040100
	s_delay_alu instid0(VALU_DEP_2)
	v_perm_b32 v9, v9, v11, 0x5040100
	s_branch .LBB335_546
.LBB335_1075:
	s_or_b32 exec_lo, exec_lo, s5
	v_dual_mov_b32 v0, s6 :: v_dual_mov_b32 v1, s7
.LBB335_1076:
	s_or_b32 exec_lo, exec_lo, s3
	s_delay_alu instid0(VALU_DEP_1)
	v_lshlrev_b64 v[0:1], 2, v[0:1]
	s_getpc_b64 s[6:7]
	s_add_u32 s6, s6, llvm.amdgcn.dynlds.offset.table@rel32@lo+4
	s_addc_u32 s7, s7, llvm.amdgcn.dynlds.offset.table@rel32@hi+12
	s_waitcnt lgkmcnt(0)
	s_waitcnt_vscnt null, 0x0
	s_barrier
	buffer_gl0_inv
	ds_bpermute_b32 v2, v19, v39
	v_add_co_u32 v0, vcc_lo, v0, s6
	v_add_co_ci_u32_e32 v1, vcc_lo, s7, v1, vcc_lo
	ds_bpermute_b32 v3, v19, v29
	ds_bpermute_b32 v11, v19, v28
	;; [unrolled: 1-line block ×3, first 2 shown]
	global_load_b32 v12, v[0:1], off
	ds_bpermute_b32 v0, v19, v21
	ds_bpermute_b32 v1, v19, v48
	;; [unrolled: 1-line block ×4, first 2 shown]
	v_lshrrev_b32_e32 v10, 1, v18
	v_and_b32_e32 v16, 0x3c1, v31
	s_mov_b32 s0, exec_lo
	s_waitcnt lgkmcnt(6)
	v_dual_add_f32 v7, v39, v2 :: v_dual_add_f32 v6, v29, v3
	s_waitcnt lgkmcnt(4)
	v_dual_add_f32 v3, v28, v11 :: v_dual_add_f32 v2, v25, v13
	s_waitcnt lgkmcnt(2)
	v_dual_add_f32 v9, v21, v0 :: v_dual_add_f32 v8, v48, v1
	s_waitcnt lgkmcnt(1)
	v_add_f32_e32 v1, v24, v14
	s_waitcnt lgkmcnt(0)
	v_add_f32_e32 v0, v20, v15
	s_waitcnt vmcnt(0)
	v_lshl_add_u32 v11, v34, 9, v12
	v_cmpx_eq_u32_e32 64, v16
	s_cbranch_execz .LBB335_1078
; %bb.1077:
	v_lshlrev_b32_e32 v13, 2, v10
	s_delay_alu instid0(VALU_DEP_1)
	v_add3_u32 v13, v11, v13, 0xfffffc00
	ds_store_2addr_b32 v13, v9, v8 offset1:16
	ds_store_2addr_b32 v13, v7, v6 offset0:32 offset1:48
	ds_store_2addr_b32 v13, v3, v2 offset0:64 offset1:80
	;; [unrolled: 1-line block ×3, first 2 shown]
.LBB335_1078:
	s_or_b32 exec_lo, exec_lo, s0
	v_cmp_eq_u32_e32 vcc_lo, 0, v32
	s_mov_b32 s3, exec_lo
	s_waitcnt lgkmcnt(0)
	s_barrier
	buffer_gl0_inv
	v_cmpx_gt_u32_e32 64, v31
	s_cbranch_execz .LBB335_1089
; %bb.1079:
	s_and_saveexec_b32 s0, vcc_lo
	s_cbranch_execnz .LBB335_1105
; %bb.1080:
	s_or_b32 exec_lo, exec_lo, s0
	s_and_saveexec_b32 s0, vcc_lo
	s_cbranch_execnz .LBB335_1106
.LBB335_1081:
	s_or_b32 exec_lo, exec_lo, s0
	s_and_saveexec_b32 s0, vcc_lo
	s_cbranch_execnz .LBB335_1107
.LBB335_1082:
	s_or_b32 exec_lo, exec_lo, s0
	s_and_saveexec_b32 s0, vcc_lo
	s_cbranch_execnz .LBB335_1108
.LBB335_1083:
	s_or_b32 exec_lo, exec_lo, s0
	s_and_saveexec_b32 s0, vcc_lo
	s_cbranch_execnz .LBB335_1109
.LBB335_1084:
	s_or_b32 exec_lo, exec_lo, s0
	s_and_saveexec_b32 s0, vcc_lo
	s_cbranch_execnz .LBB335_1110
.LBB335_1085:
	s_or_b32 exec_lo, exec_lo, s0
	s_and_saveexec_b32 s0, vcc_lo
	s_cbranch_execnz .LBB335_1111
.LBB335_1086:
	s_or_b32 exec_lo, exec_lo, s0
	s_and_saveexec_b32 s0, vcc_lo
	s_cbranch_execz .LBB335_1088
.LBB335_1087:
	v_lshl_add_u32 v13, v10, 2, v11
	ds_load_b32 v13, v13 offset:448
	s_waitcnt lgkmcnt(0)
	v_add_f32_e32 v0, v0, v13
.LBB335_1088:
	s_or_b32 exec_lo, exec_lo, s0
.LBB335_1089:
	s_delay_alu instid0(SALU_CYCLE_1)
	s_or_b32 exec_lo, exec_lo, s3
	v_and_b32_e32 v13, 0x3e1, v31
	s_mov_b32 s3, exec_lo
	s_barrier
	buffer_gl0_inv
	v_cmpx_eq_u32_e32 32, v13
	s_cbranch_execz .LBB335_1091
; %bb.1090:
	v_lshl_add_u32 v12, v10, 2, v12
	ds_store_2addr_b32 v12, v9, v8 offset1:16
	ds_store_2addr_b32 v12, v7, v6 offset0:32 offset1:48
	ds_store_2addr_b32 v12, v3, v2 offset0:64 offset1:80
	;; [unrolled: 1-line block ×3, first 2 shown]
.LBB335_1091:
	s_or_b32 exec_lo, exec_lo, s3
	s_delay_alu instid0(SALU_CYCLE_1)
	s_mov_b32 s3, exec_lo
	s_waitcnt lgkmcnt(0)
	s_barrier
	buffer_gl0_inv
	v_cmpx_gt_u32_e32 32, v31
	s_cbranch_execz .LBB335_1102
; %bb.1092:
	v_lshl_add_u32 v10, v10, 2, v11
	s_and_saveexec_b32 s0, vcc_lo
	s_cbranch_execnz .LBB335_1112
; %bb.1093:
	s_or_b32 exec_lo, exec_lo, s0
	s_and_saveexec_b32 s0, vcc_lo
	s_cbranch_execnz .LBB335_1113
.LBB335_1094:
	s_or_b32 exec_lo, exec_lo, s0
	s_and_saveexec_b32 s0, vcc_lo
	s_cbranch_execnz .LBB335_1114
.LBB335_1095:
	s_or_b32 exec_lo, exec_lo, s0
	s_and_saveexec_b32 s0, vcc_lo
	s_cbranch_execnz .LBB335_1115
.LBB335_1096:
	s_or_b32 exec_lo, exec_lo, s0
	s_and_saveexec_b32 s0, vcc_lo
	s_cbranch_execnz .LBB335_1116
.LBB335_1097:
	s_or_b32 exec_lo, exec_lo, s0
	s_and_saveexec_b32 s0, vcc_lo
	s_cbranch_execnz .LBB335_1117
.LBB335_1098:
	s_or_b32 exec_lo, exec_lo, s0
	s_and_saveexec_b32 s0, vcc_lo
	s_cbranch_execnz .LBB335_1118
.LBB335_1099:
	s_or_b32 exec_lo, exec_lo, s0
	s_and_saveexec_b32 s0, vcc_lo
	s_cbranch_execz .LBB335_1101
.LBB335_1100:
	ds_load_b32 v10, v10 offset:448
	s_waitcnt lgkmcnt(0)
	v_add_f32_e32 v0, v0, v10
.LBB335_1101:
	s_or_b32 exec_lo, exec_lo, s0
.LBB335_1102:
	s_delay_alu instid0(SALU_CYCLE_1)
	s_or_b32 exec_lo, exec_lo, s3
	v_cmp_eq_u32_e32 vcc_lo, 0, v13
	s_barrier
	buffer_gl0_inv
	s_and_b32 exec_lo, exec_lo, vcc_lo
	s_cbranch_execz .LBB335_1104
; %bb.1103:
	s_lshl_b32 s0, s2, 7
	s_mul_i32 s2, s4, s1
	s_lshl_b32 s4, s14, 7
	s_ashr_i32 s3, s2, 31
	s_ashr_i32 s5, s4, 31
	;; [unrolled: 1-line block ×3, first 2 shown]
	s_lshl_b64 s[2:3], s[2:3], 1
	s_lshl_b64 s[4:5], s[4:5], 1
	;; [unrolled: 1-line block ×3, first 2 shown]
	s_add_u32 s2, s4, s2
	s_addc_u32 s3, s5, s3
	s_add_u32 s0, s2, s0
	s_addc_u32 s1, s3, s1
	v_lshlrev_b32_e32 v10, 1, v30
	v_add_co_u32 v4, vcc_lo, s0, v4
	v_add_co_ci_u32_e32 v5, vcc_lo, s1, v5, vcc_lo
	;;#ASMSTART
	v_cvt_f16_f32 v9, v9;

	;;#ASMEND
	s_delay_alu instid0(VALU_DEP_2) | instskip(NEXT) | instid1(VALU_DEP_2)
	v_add_co_u32 v4, vcc_lo, v4, v10
	v_add_co_ci_u32_e32 v5, vcc_lo, 0, v5, vcc_lo
	flat_store_b16 v[4:5], v9
	;;#ASMSTART
	v_cvt_f16_f32 v8, v8;

	;;#ASMEND
	flat_store_b16 v[4:5], v8 offset:32
	;;#ASMSTART
	v_cvt_f16_f32 v7, v7;

	;;#ASMEND
	flat_store_b16 v[4:5], v7 offset:64
	;; [unrolled: 5-line block ×7, first 2 shown]
.LBB335_1104:
	s_or_b32 exec_lo, exec_lo, s11
	s_clause 0x5
	scratch_load_b32 v45, off, s32
	scratch_load_b32 v44, off, s32 offset:4
	scratch_load_b32 v43, off, s32 offset:8
	;; [unrolled: 1-line block ×5, first 2 shown]
	s_waitcnt vmcnt(0) lgkmcnt(0)
	s_setpc_b64 s[30:31]
.LBB335_1105:
	v_lshl_add_u32 v13, v10, 2, v11
	ds_load_b32 v13, v13
	s_waitcnt lgkmcnt(0)
	v_add_f32_e32 v9, v9, v13
	s_or_b32 exec_lo, exec_lo, s0
	s_and_saveexec_b32 s0, vcc_lo
	s_cbranch_execz .LBB335_1081
.LBB335_1106:
	v_lshl_add_u32 v13, v10, 2, v11
	ds_load_b32 v13, v13 offset:64
	s_waitcnt lgkmcnt(0)
	v_add_f32_e32 v8, v8, v13
	s_or_b32 exec_lo, exec_lo, s0
	s_and_saveexec_b32 s0, vcc_lo
	s_cbranch_execz .LBB335_1082
.LBB335_1107:
	v_lshl_add_u32 v13, v10, 2, v11
	ds_load_b32 v13, v13 offset:128
	s_waitcnt lgkmcnt(0)
	v_add_f32_e32 v7, v7, v13
	s_or_b32 exec_lo, exec_lo, s0
	s_and_saveexec_b32 s0, vcc_lo
	s_cbranch_execz .LBB335_1083
.LBB335_1108:
	v_lshl_add_u32 v13, v10, 2, v11
	ds_load_b32 v13, v13 offset:192
	s_waitcnt lgkmcnt(0)
	v_add_f32_e32 v6, v6, v13
	s_or_b32 exec_lo, exec_lo, s0
	s_and_saveexec_b32 s0, vcc_lo
	s_cbranch_execz .LBB335_1084
.LBB335_1109:
	v_lshl_add_u32 v13, v10, 2, v11
	ds_load_b32 v13, v13 offset:256
	s_waitcnt lgkmcnt(0)
	v_add_f32_e32 v3, v3, v13
	s_or_b32 exec_lo, exec_lo, s0
	s_and_saveexec_b32 s0, vcc_lo
	s_cbranch_execz .LBB335_1085
.LBB335_1110:
	v_lshl_add_u32 v13, v10, 2, v11
	ds_load_b32 v13, v13 offset:320
	s_waitcnt lgkmcnt(0)
	v_add_f32_e32 v2, v2, v13
	s_or_b32 exec_lo, exec_lo, s0
	s_and_saveexec_b32 s0, vcc_lo
	s_cbranch_execz .LBB335_1086
.LBB335_1111:
	v_lshl_add_u32 v13, v10, 2, v11
	ds_load_b32 v13, v13 offset:384
	s_waitcnt lgkmcnt(0)
	v_add_f32_e32 v1, v1, v13
	s_or_b32 exec_lo, exec_lo, s0
	s_and_saveexec_b32 s0, vcc_lo
	s_cbranch_execnz .LBB335_1087
	s_branch .LBB335_1088
.LBB335_1112:
	ds_load_b32 v11, v10
	s_waitcnt lgkmcnt(0)
	v_add_f32_e32 v9, v9, v11
	s_or_b32 exec_lo, exec_lo, s0
	s_and_saveexec_b32 s0, vcc_lo
	s_cbranch_execz .LBB335_1094
.LBB335_1113:
	ds_load_b32 v11, v10 offset:64
	s_waitcnt lgkmcnt(0)
	v_add_f32_e32 v8, v8, v11
	s_or_b32 exec_lo, exec_lo, s0
	s_and_saveexec_b32 s0, vcc_lo
	s_cbranch_execz .LBB335_1095
.LBB335_1114:
	ds_load_b32 v11, v10 offset:128
	s_waitcnt lgkmcnt(0)
	v_add_f32_e32 v7, v7, v11
	s_or_b32 exec_lo, exec_lo, s0
	s_and_saveexec_b32 s0, vcc_lo
	s_cbranch_execz .LBB335_1096
.LBB335_1115:
	ds_load_b32 v11, v10 offset:192
	s_waitcnt lgkmcnt(0)
	v_add_f32_e32 v6, v6, v11
	s_or_b32 exec_lo, exec_lo, s0
	s_and_saveexec_b32 s0, vcc_lo
	s_cbranch_execz .LBB335_1097
.LBB335_1116:
	ds_load_b32 v11, v10 offset:256
	s_waitcnt lgkmcnt(0)
	v_add_f32_e32 v3, v3, v11
	s_or_b32 exec_lo, exec_lo, s0
	s_and_saveexec_b32 s0, vcc_lo
	s_cbranch_execz .LBB335_1098
.LBB335_1117:
	ds_load_b32 v11, v10 offset:320
	s_waitcnt lgkmcnt(0)
	v_add_f32_e32 v2, v2, v11
	s_or_b32 exec_lo, exec_lo, s0
	s_and_saveexec_b32 s0, vcc_lo
	s_cbranch_execz .LBB335_1099
.LBB335_1118:
	ds_load_b32 v11, v10 offset:384
	s_waitcnt lgkmcnt(0)
	v_add_f32_e32 v1, v1, v11
	s_or_b32 exec_lo, exec_lo, s0
	s_and_saveexec_b32 s0, vcc_lo
	s_cbranch_execnz .LBB335_1100
	s_branch .LBB335_1101
.Lfunc_end335:
	.size	_ZN4vllm22paged_attention_kernelIthLi128ELi16ELi128ELNS_18Fp8KVCacheDataTypeE1ELb0ELi512EEEvPfS2_PT_PKS3_PKT0_S9_ifPKiSB_iPKfiiiSD_SD_iiiii, .Lfunc_end335-_ZN4vllm22paged_attention_kernelIthLi128ELi16ELi128ELNS_18Fp8KVCacheDataTypeE1ELb0ELi512EEEvPfS2_PT_PKS3_PKT0_S9_ifPKiSB_iPKfiiiSD_SD_iiiii
                                        ; -- End function
	.section	.AMDGPU.csdata,"",@progbits
; Function info:
; codeLenInByte = 41788
; NumSgprs: 35
; NumVgprs: 184
; ScratchSize: 28
; MemoryBound: 0
	.section	.text._ZN4vllm25paged_attention_v2_kernelIthLi128ELi16ELi128ELNS_18Fp8KVCacheDataTypeE1ELb0ELi512EEEvPfS2_PT_PKS3_PKT0_S9_ifPKiSB_iPKfiiiSD_SD_iiiii,"axG",@progbits,_ZN4vllm25paged_attention_v2_kernelIthLi128ELi16ELi128ELNS_18Fp8KVCacheDataTypeE1ELb0ELi512EEEvPfS2_PT_PKS3_PKT0_S9_ifPKiSB_iPKfiiiSD_SD_iiiii,comdat
	.protected	_ZN4vllm25paged_attention_v2_kernelIthLi128ELi16ELi128ELNS_18Fp8KVCacheDataTypeE1ELb0ELi512EEEvPfS2_PT_PKS3_PKT0_S9_ifPKiSB_iPKfiiiSD_SD_iiiii ; -- Begin function _ZN4vllm25paged_attention_v2_kernelIthLi128ELi16ELi128ELNS_18Fp8KVCacheDataTypeE1ELb0ELi512EEEvPfS2_PT_PKS3_PKT0_S9_ifPKiSB_iPKfiiiSD_SD_iiiii
	.globl	_ZN4vllm25paged_attention_v2_kernelIthLi128ELi16ELi128ELNS_18Fp8KVCacheDataTypeE1ELb0ELi512EEEvPfS2_PT_PKS3_PKT0_S9_ifPKiSB_iPKfiiiSD_SD_iiiii
	.p2align	8
	.type	_ZN4vllm25paged_attention_v2_kernelIthLi128ELi16ELi128ELNS_18Fp8KVCacheDataTypeE1ELb0ELi512EEEvPfS2_PT_PKS3_PKT0_S9_ifPKiSB_iPKfiiiSD_SD_iiiii,@function
_ZN4vllm25paged_attention_v2_kernelIthLi128ELi16ELi128ELNS_18Fp8KVCacheDataTypeE1ELb0ELi512EEEvPfS2_PT_PKS3_PKT0_S9_ifPKiSB_iPKfiiiSD_SD_iiiii: ; @_ZN4vllm25paged_attention_v2_kernelIthLi128ELi16ELi128ELNS_18Fp8KVCacheDataTypeE1ELb0ELi512EEEvPfS2_PT_PKS3_PKT0_S9_ifPKiSB_iPKfiiiSD_SD_iiiii
; %bb.0:
	s_clause 0x5
	s_load_b256 s[24:31], s[0:1], 0x0
	s_load_b256 s[16:23], s[0:1], 0x20
	s_load_b64 s[2:3], s[0:1], 0x40
	s_load_b64 s[4:5], s[0:1], 0x50
	s_load_b32 s6, s[0:1], 0x48
	s_load_b256 s[36:43], s[0:1], 0x58
	v_mov_b32_e32 v31, v0
	s_add_u32 s8, s0, 0x90
	s_mov_b32 s12, s13
	s_addc_u32 s9, s1, 0
	s_mov_b32 s13, s14
	s_mov_b32 s14, s15
	s_movk_i32 s15, 0x5b
	s_mov_b32 s32, 0
	s_getpc_b64 s[0:1]
	s_add_u32 s0, s0, _ZN4vllm22paged_attention_kernelIthLi128ELi16ELi128ELNS_18Fp8KVCacheDataTypeE1ELb0ELi512EEEvPfS2_PT_PKS3_PKT0_S9_ifPKiSB_iPKfiiiSD_SD_iiiii@rel32@lo+4
	s_addc_u32 s1, s1, _ZN4vllm22paged_attention_kernelIthLi128ELi16ELi128ELNS_18Fp8KVCacheDataTypeE1ELb0ELi512EEEvPfS2_PT_PKS3_PKT0_S9_ifPKiSB_iPKfiiiSD_SD_iiiii@rel32@hi+12
	s_waitcnt lgkmcnt(0)
	v_dual_mov_b32 v0, s24 :: v_dual_mov_b32 v1, s25
	v_dual_mov_b32 v2, s26 :: v_dual_mov_b32 v3, s27
	;; [unrolled: 1-line block ×14, first 2 shown]
	s_swappc_b64 s[30:31], s[0:1]
	s_endpgm
	.section	.rodata,"a",@progbits
	.p2align	6, 0x0
	.amdhsa_kernel _ZN4vllm25paged_attention_v2_kernelIthLi128ELi16ELi128ELNS_18Fp8KVCacheDataTypeE1ELb0ELi512EEEvPfS2_PT_PKS3_PKT0_S9_ifPKiSB_iPKfiiiSD_SD_iiiii
		.amdhsa_group_segment_fixed_size 288
		.amdhsa_private_segment_fixed_size 28
		.amdhsa_kernarg_size 400
		.amdhsa_user_sgpr_count 13
		.amdhsa_user_sgpr_dispatch_ptr 0
		.amdhsa_user_sgpr_queue_ptr 0
		.amdhsa_user_sgpr_kernarg_segment_ptr 1
		.amdhsa_user_sgpr_dispatch_id 0
		.amdhsa_user_sgpr_private_segment_size 0
		.amdhsa_wavefront_size32 1
		.amdhsa_uses_dynamic_stack 0
		.amdhsa_enable_private_segment 1
		.amdhsa_system_sgpr_workgroup_id_x 1
		.amdhsa_system_sgpr_workgroup_id_y 1
		.amdhsa_system_sgpr_workgroup_id_z 1
		.amdhsa_system_sgpr_workgroup_info 0
		.amdhsa_system_vgpr_workitem_id 0
		.amdhsa_next_free_vgpr 184
		.amdhsa_next_free_sgpr 44
		.amdhsa_reserve_vcc 1
		.amdhsa_float_round_mode_32 0
		.amdhsa_float_round_mode_16_64 0
		.amdhsa_float_denorm_mode_32 3
		.amdhsa_float_denorm_mode_16_64 3
		.amdhsa_dx10_clamp 1
		.amdhsa_ieee_mode 1
		.amdhsa_fp16_overflow 0
		.amdhsa_workgroup_processor_mode 1
		.amdhsa_memory_ordered 1
		.amdhsa_forward_progress 0
		.amdhsa_shared_vgpr_count 0
		.amdhsa_exception_fp_ieee_invalid_op 0
		.amdhsa_exception_fp_denorm_src 0
		.amdhsa_exception_fp_ieee_div_zero 0
		.amdhsa_exception_fp_ieee_overflow 0
		.amdhsa_exception_fp_ieee_underflow 0
		.amdhsa_exception_fp_ieee_inexact 0
		.amdhsa_exception_int_div_zero 0
	.end_amdhsa_kernel
	.section	.text._ZN4vllm25paged_attention_v2_kernelIthLi128ELi16ELi128ELNS_18Fp8KVCacheDataTypeE1ELb0ELi512EEEvPfS2_PT_PKS3_PKT0_S9_ifPKiSB_iPKfiiiSD_SD_iiiii,"axG",@progbits,_ZN4vllm25paged_attention_v2_kernelIthLi128ELi16ELi128ELNS_18Fp8KVCacheDataTypeE1ELb0ELi512EEEvPfS2_PT_PKS3_PKT0_S9_ifPKiSB_iPKfiiiSD_SD_iiiii,comdat
.Lfunc_end336:
	.size	_ZN4vllm25paged_attention_v2_kernelIthLi128ELi16ELi128ELNS_18Fp8KVCacheDataTypeE1ELb0ELi512EEEvPfS2_PT_PKS3_PKT0_S9_ifPKiSB_iPKfiiiSD_SD_iiiii, .Lfunc_end336-_ZN4vllm25paged_attention_v2_kernelIthLi128ELi16ELi128ELNS_18Fp8KVCacheDataTypeE1ELb0ELi512EEEvPfS2_PT_PKS3_PKT0_S9_ifPKiSB_iPKfiiiSD_SD_iiiii
                                        ; -- End function
	.section	.AMDGPU.csdata,"",@progbits
; Kernel info:
; codeLenInByte = 232
; NumSgprs: 46
; NumVgprs: 184
; ScratchSize: 28
; MemoryBound: 0
; FloatMode: 240
; IeeeMode: 1
; LDSByteSize: 288 bytes/workgroup (compile time only)
; SGPRBlocks: 5
; VGPRBlocks: 22
; NumSGPRsForWavesPerEU: 46
; NumVGPRsForWavesPerEU: 184
; Occupancy: 8
; WaveLimiterHint : 1
; COMPUTE_PGM_RSRC2:SCRATCH_EN: 1
; COMPUTE_PGM_RSRC2:USER_SGPR: 13
; COMPUTE_PGM_RSRC2:TRAP_HANDLER: 0
; COMPUTE_PGM_RSRC2:TGID_X_EN: 1
; COMPUTE_PGM_RSRC2:TGID_Y_EN: 1
; COMPUTE_PGM_RSRC2:TGID_Z_EN: 1
; COMPUTE_PGM_RSRC2:TIDIG_COMP_CNT: 0
	.text
	.p2align	2                               ; -- Begin function _ZN4vllm22paged_attention_kernelIthLi192ELi16ELi128ELNS_18Fp8KVCacheDataTypeE1ELb0ELi512EEEvPfS2_PT_PKS3_PKT0_S9_ifPKiSB_iPKfiiiSD_SD_iiiii
	.type	_ZN4vllm22paged_attention_kernelIthLi192ELi16ELi128ELNS_18Fp8KVCacheDataTypeE1ELb0ELi512EEEvPfS2_PT_PKS3_PKT0_S9_ifPKiSB_iPKfiiiSD_SD_iiiii,@function
_ZN4vllm22paged_attention_kernelIthLi192ELi16ELi128ELNS_18Fp8KVCacheDataTypeE1ELb0ELi512EEEvPfS2_PT_PKS3_PKT0_S9_ifPKiSB_iPKfiiiSD_SD_iiiii: ; @_ZN4vllm22paged_attention_kernelIthLi192ELi16ELi128ELNS_18Fp8KVCacheDataTypeE1ELb0ELi512EEEvPfS2_PT_PKS3_PKT0_S9_ifPKiSB_iPKfiiiSD_SD_iiiii
; %bb.0:
	s_waitcnt vmcnt(0) expcnt(0) lgkmcnt(0)
	s_clause 0x1f
	scratch_store_b32 off, v40, s32 offset:152
	; meta instruction
	scratch_store_b32 off, v41, s32 offset:148
	; meta instruction
	;; [unrolled: 2-line block ×31, first 2 shown]
	scratch_store_b32 off, v95, s32 offset:28
	s_clause 0x6
	scratch_store_b32 off, v104, s32 offset:24
	; meta instruction
	scratch_store_b32 off, v105, s32 offset:20
	; meta instruction
	;; [unrolled: 2-line block ×6, first 2 shown]
	scratch_store_b32 off, v110, s32
	s_mov_b32 s10, s13
	s_ashr_i32 s11, s13, 31
	s_lshl_b32 s16, s14, 9
	s_lshl_b64 s[0:1], s[10:11], 2
	s_mov_b32 s11, exec_lo
	v_add_co_u32 v16, vcc_lo, v16, s0
	v_add_co_ci_u32_e32 v17, vcc_lo, s1, v17, vcc_lo
	flat_load_b32 v35, v[16:17]
	s_waitcnt vmcnt(0) lgkmcnt(0)
	v_cmpx_lt_i32_e64 s16, v35
	s_cbranch_execz .LBB337_1632
; %bb.1:
	v_sub_nc_u32_e32 v16, 0, v12
	s_clause 0x1
	s_load_b32 s0, s[8:9], 0x10
	s_load_b32 s1, s[8:9], 0x0
	s_mov_b32 s6, s15
	v_mov_b32_e32 v50, 0
	v_max_i32_e32 v16, v12, v16
	s_delay_alu instid0(VALU_DEP_1) | instskip(SKIP_1) | instid1(VALU_DEP_2)
	v_cvt_f32_u32_e32 v17, v16
	v_sub_nc_u32_e32 v28, 0, v16
	v_rcp_iflag_f32_e32 v17, v17
	s_waitcnt lgkmcnt(0)
	s_lshr_b32 s0, s0, 16
	s_delay_alu instid0(SALU_CYCLE_1) | instskip(SKIP_3) | instid1(SALU_CYCLE_1)
	s_cmp_lg_u32 s0, 0
	s_waitcnt_depctr 0xfff
	v_mul_f32_e32 v17, 0x4f7ffffe, v17
	s_cselect_b32 s0, -1, 0
	s_cmp_lg_u32 s0, 0
	s_delay_alu instid0(VALU_DEP_1)
	v_cvt_u32_f32_e32 v17, v17
	s_addc_u32 s15, s1, 0
	s_mov_b32 s1, exec_lo
	s_abs_i32 s0, s15
	v_xor_b32_e32 v12, s15, v12
	v_mul_lo_u32 v28, v28, v17
	s_delay_alu instid0(VALU_DEP_2) | instskip(NEXT) | instid1(VALU_DEP_2)
	v_ashrrev_i32_e32 v12, 31, v12
	v_mul_hi_u32 v28, v17, v28
	s_delay_alu instid0(VALU_DEP_1) | instskip(NEXT) | instid1(VALU_DEP_1)
	v_add_nc_u32_e32 v17, v17, v28
	v_mul_hi_u32 v17, s0, v17
	s_delay_alu instid0(VALU_DEP_1) | instskip(SKIP_1) | instid1(VALU_DEP_2)
	v_mul_lo_u32 v28, v17, v16
	v_add_nc_u32_e32 v29, 1, v17
	v_sub_nc_u32_e32 v28, s0, v28
	s_abs_i32 s0, s12
	s_delay_alu instid0(VALU_DEP_1) | instskip(SKIP_1) | instid1(VALU_DEP_2)
	v_sub_nc_u32_e32 v30, v28, v16
	v_cmp_ge_u32_e32 vcc_lo, v28, v16
	v_dual_cndmask_b32 v17, v17, v29 :: v_dual_cndmask_b32 v28, v28, v30
	s_delay_alu instid0(VALU_DEP_1) | instskip(NEXT) | instid1(VALU_DEP_2)
	v_add_nc_u32_e32 v29, 1, v17
	v_cmp_ge_u32_e32 vcc_lo, v28, v16
	s_delay_alu instid0(VALU_DEP_2) | instskip(NEXT) | instid1(VALU_DEP_1)
	v_cndmask_b32_e32 v16, v17, v29, vcc_lo
	v_xor_b32_e32 v16, v16, v12
	s_delay_alu instid0(VALU_DEP_1) | instskip(NEXT) | instid1(VALU_DEP_1)
	v_sub_nc_u32_e32 v12, v16, v12
	v_sub_nc_u32_e32 v16, 0, v12
	s_delay_alu instid0(VALU_DEP_1) | instskip(NEXT) | instid1(VALU_DEP_1)
	v_max_i32_e32 v28, v12, v16
	v_cvt_f32_u32_e32 v16, v28
	v_sub_nc_u32_e32 v17, 0, v28
	s_delay_alu instid0(VALU_DEP_2) | instskip(SKIP_2) | instid1(VALU_DEP_1)
	v_rcp_iflag_f32_e32 v16, v16
	s_waitcnt_depctr 0xfff
	v_mul_f32_e32 v16, 0x4f7ffffe, v16
	v_cvt_u32_f32_e32 v16, v16
	s_delay_alu instid0(VALU_DEP_1) | instskip(NEXT) | instid1(VALU_DEP_1)
	v_mul_lo_u32 v17, v17, v16
	v_mul_hi_u32 v17, v16, v17
	s_delay_alu instid0(VALU_DEP_1) | instskip(NEXT) | instid1(VALU_DEP_1)
	v_add_nc_u32_e32 v29, v16, v17
	v_mad_u64_u32 v[16:17], null, s0, v29, 0
	v_cmpx_ne_u64_e32 0, v[19:20]
	s_cbranch_execz .LBB337_3
; %bb.2:
	s_ashr_i32 s13, s12, 31
	s_delay_alu instid0(SALU_CYCLE_1) | instskip(NEXT) | instid1(SALU_CYCLE_1)
	s_lshl_b64 s[2:3], s[12:13], 2
	v_add_co_u32 v19, vcc_lo, v19, s2
	v_add_co_ci_u32_e32 v20, vcc_lo, s3, v20, vcc_lo
	flat_load_b32 v50, v[19:20]
.LBB337_3:
	s_or_b32 exec_lo, exec_lo, s1
	v_and_b32_e32 v33, 0x3ff, v31
	v_ashrrev_i32_e32 v16, 31, v12
	s_ashr_i32 s1, s12, 31
	s_mul_i32 s4, s12, 0xc0
	s_mov_b32 s2, exec_lo
	v_lshrrev_b32_e32 v32, 1, v33
	v_and_b32_e32 v34, 1, v33
	v_lshlrev_b32_e32 v12, 3, v33
	v_cmpx_gt_u32_e32 48, v33
	s_cbranch_execz .LBB337_5
; %bb.4:
	v_mul_lo_u32 v19, s10, v21
	s_ashr_i32 s5, s4, 31
	s_delay_alu instid0(SALU_CYCLE_1) | instskip(NEXT) | instid1(VALU_DEP_1)
	s_lshl_b64 s[18:19], s[4:5], 1
	v_ashrrev_i32_e32 v20, 31, v19
	s_delay_alu instid0(VALU_DEP_1) | instskip(NEXT) | instid1(VALU_DEP_1)
	v_lshlrev_b64 v[19:20], 1, v[19:20]
	v_add_co_u32 v6, vcc_lo, v6, v19
	s_delay_alu instid0(VALU_DEP_2) | instskip(SKIP_1) | instid1(VALU_DEP_3)
	v_add_co_ci_u32_e32 v7, vcc_lo, v7, v20, vcc_lo
	v_lshlrev_b32_e32 v19, 3, v32
	v_add_co_u32 v6, vcc_lo, v6, s18
	s_delay_alu instid0(VALU_DEP_3) | instskip(NEXT) | instid1(VALU_DEP_3)
	v_add_co_ci_u32_e32 v7, vcc_lo, s19, v7, vcc_lo
	v_mad_u32_u24 v19, 0xc0, v34, v19
	s_delay_alu instid0(VALU_DEP_3) | instskip(NEXT) | instid1(VALU_DEP_3)
	v_add_co_u32 v6, vcc_lo, v6, v12
	v_add_co_ci_u32_e32 v7, vcc_lo, 0, v7, vcc_lo
	flat_load_b64 v[6:7], v[6:7]
	s_waitcnt vmcnt(0) lgkmcnt(0)
	ds_store_b64 v19, v[6:7]
.LBB337_5:
	s_or_b32 exec_lo, exec_lo, s2
	v_mul_lo_u32 v6, v17, v28
	v_add_nc_u32_e32 v20, 1, v17
	v_lshrrev_b32_e32 v36, 5, v33
	s_lshl_b32 s13, s14, 5
	v_mbcnt_lo_u32_b32 v49, -1, 0
	s_waitcnt vmcnt(0) lgkmcnt(0)
	s_waitcnt_vscnt null, 0x0
	s_barrier
	buffer_gl0_inv
	v_sub_nc_u32_e32 v6, s0, v6
	s_add_i32 s0, s13, 32
                                        ; implicit-def: $vgpr51
	s_delay_alu instid0(VALU_DEP_1) | instskip(SKIP_1) | instid1(VALU_DEP_2)
	v_sub_nc_u32_e32 v21, v6, v28
	v_cmp_ge_u32_e32 vcc_lo, v6, v28
	v_dual_cndmask_b32 v6, v6, v21 :: v_dual_add_nc_u32 v7, 15, v35
	s_delay_alu instid0(VALU_DEP_1)
	v_ashrrev_i32_e32 v19, 31, v7
	v_cndmask_b32_e32 v17, v17, v20, vcc_lo
	v_xor_b32_e32 v20, s1, v16
	v_mul_lo_u32 v16, s10, v18
	v_cmp_ge_u32_e32 vcc_lo, v6, v28
	v_lshrrev_b32_e32 v19, 28, v19
	v_or_b32_e32 v6, s13, v36
                                        ; implicit-def: $sgpr1
	s_delay_alu instid0(VALU_DEP_2) | instskip(SKIP_1) | instid1(VALU_DEP_2)
	v_add_nc_u32_e32 v7, v7, v19
	v_add_nc_u32_e32 v19, 1, v17
	v_ashrrev_i32_e32 v38, 4, v7
	s_delay_alu instid0(VALU_DEP_2) | instskip(SKIP_1) | instid1(VALU_DEP_3)
	v_cndmask_b32_e32 v7, v17, v19, vcc_lo
	v_ashrrev_i32_e32 v17, 31, v16
	v_min_i32_e32 v37, s0, v38
	s_delay_alu instid0(VALU_DEP_3) | instskip(NEXT) | instid1(VALU_DEP_2)
	v_xor_b32_e32 v7, v7, v20
	v_cmp_ge_i32_e64 s0, v6, v37
	s_delay_alu instid0(VALU_DEP_2) | instskip(NEXT) | instid1(VALU_DEP_2)
	v_sub_nc_u32_e32 v7, v7, v20
	s_and_saveexec_b32 s2, s0
	s_delay_alu instid0(SALU_CYCLE_1)
	s_xor_b32 s2, exec_lo, s2
; %bb.6:
	v_mbcnt_lo_u32_b32 v49, -1, 0
	v_mov_b32_e32 v51, 32
	s_mov_b32 s1, 0xff7fffff
                                        ; implicit-def: $vgpr50
                                        ; implicit-def: $vgpr13
                                        ; implicit-def: $vgpr24
                                        ; implicit-def: $vgpr8
                                        ; implicit-def: $vgpr9
; %bb.7:
	s_or_saveexec_b32 s17, s2
	s_clause 0x1
	s_load_b32 s18, s[8:9], 0x14
	s_load_b32 s5, s[8:9], 0x8
	v_mul_lo_u32 v39, v7, v23
	v_lshlrev_b64 v[16:17], 2, v[16:17]
	v_dual_mov_b32 v52, s1 :: v_dual_lshlrev_b32 v23, 4, v36
	v_ashrrev_i32_e32 v7, 31, v6
	s_delay_alu instid0(VALU_DEP_4)
	v_ashrrev_i32_e32 v48, 31, v39
	s_xor_b32 exec_lo, exec_lo, s17
	s_cbranch_execz .LBB337_781
; %bb.8:
	v_bfe_u32 v28, v33, 1, 4
	v_lshlrev_b64 v[20:21], 2, v[6:7]
	v_add_co_u32 v8, vcc_lo, v8, v39
	v_add_co_ci_u32_e32 v19, vcc_lo, v9, v48, vcc_lo
	s_delay_alu instid0(VALU_DEP_4) | instskip(SKIP_2) | instid1(VALU_DEP_2)
	v_dual_mov_b32 v9, 0 :: v_dual_lshlrev_b32 v18, 4, v28
	v_dual_mov_b32 v66, v6 :: v_dual_lshlrev_b32 v29, 2, v28
	s_ashr_i32 s7, s6, 31
	v_add_co_u32 v18, vcc_lo, v8, v18
	v_add_co_u32 v8, s2, v16, v20
	s_delay_alu instid0(VALU_DEP_1) | instskip(SKIP_1) | instid1(VALU_DEP_3)
	v_add_co_ci_u32_e64 v21, s2, v17, v21, s2
	v_add_co_ci_u32_e32 v19, vcc_lo, 0, v19, vcc_lo
	v_add_co_u32 v20, s2, v14, v8
	v_dual_mov_b32 v52, 0xff7fffff :: v_dual_lshlrev_b32 v53, 2, v34
	v_mul_u32_u24_e32 v54, 0xc0, v34
	v_cmp_eq_u32_e32 vcc_lo, 0, v34
	v_cmp_neq_f32_e64 s1, 0, v50
	s_lshl_b64 s[8:9], s[6:7], 2
	v_add_co_ci_u32_e64 v21, s2, v15, v21, s2
	v_sub_nc_u32_e32 v55, 1, v35
	v_add3_u32 v64, s16, v23, v28
	v_lshl_or_b32 v65, v36, 6, v29
	v_mov_b32_e32 v51, 32
	s_getpc_b64 s[20:21]
	s_add_u32 s20, s20, llvm.amdgcn.dynlds.offset.table@rel32@lo+4
	s_addc_u32 s21, s21, llvm.amdgcn.dynlds.offset.table@rel32@hi+12
	s_add_u32 s8, s8, s20
	s_mov_b32 s7, 0
	s_addc_u32 s9, s9, s21
	s_branch .LBB337_10
.LBB337_9:                              ;   in Loop: Header=BB337_10 Depth=1
	s_or_b32 exec_lo, exec_lo, s3
	v_add_nc_u32_e32 v66, 4, v66
	v_add_co_u32 v20, s3, v20, 16
	s_delay_alu instid0(VALU_DEP_1) | instskip(NEXT) | instid1(VALU_DEP_3)
	v_add_co_ci_u32_e64 v21, s3, 0, v21, s3
	v_cmp_ge_i32_e64 s2, v66, v37
	v_add_nc_u32_e32 v64, 64, v64
	v_add_nc_u32_e32 v65, 0x100, v65
	s_delay_alu instid0(VALU_DEP_3) | instskip(NEXT) | instid1(SALU_CYCLE_1)
	s_or_b32 s7, s2, s7
	s_and_not1_b32 exec_lo, exec_lo, s7
	s_cbranch_execz .LBB337_780
.LBB337_10:                             ; =>This Inner Loop Header: Depth=1
	flat_load_b32 v8, v[20:21]
	v_mov_b32_e32 v68, 0
	s_mov_b32 s3, exec_lo
	s_waitcnt vmcnt(0) lgkmcnt(0)
	v_mad_i64_i32 v[28:29], null, v8, v22, v[18:19]
	s_delay_alu instid0(VALU_DEP_1) | instskip(NEXT) | instid1(VALU_DEP_1)
	v_add_co_u32 v28, s2, v28, v53
	v_add_co_ci_u32_e64 v29, s2, 0, v29, s2
	flat_load_b32 v81, v[28:29]
	flat_load_b32 v67, v[24:25]
	s_waitcnt vmcnt(1) lgkmcnt(1)
	v_and_b32_e32 v8, 0xff, v81
	s_delay_alu instid0(VALU_DEP_1)
	v_cmpx_ne_u16_e32 0, v8
	s_cbranch_execz .LBB337_18
; %bb.11:                               ;   in Loop: Header=BB337_10 Depth=1
	v_bfrev_b32_e32 v68, 1
	s_mov_b32 s19, exec_lo
	v_cmpx_ne_u16_e32 0x80, v8
	s_cbranch_execz .LBB337_17
; %bb.12:                               ;   in Loop: Header=BB337_10 Depth=1
	v_and_b32_e32 v30, 0x7f, v81
	v_mov_b32_e32 v68, 0x7fc02000
	s_mov_b32 s20, exec_lo
	s_delay_alu instid0(VALU_DEP_2)
	v_cmpx_ne_u32_e32 0x7f, v30
	s_cbranch_execz .LBB337_16
; %bb.13:                               ;   in Loop: Header=BB337_10 Depth=1
	v_and_b32_e32 v8, 7, v81
	v_lshrrev_b32_e32 v68, 3, v30
	v_cmp_gt_u32_e64 s2, 8, v30
	s_delay_alu instid0(VALU_DEP_3) | instskip(NEXT) | instid1(VALU_DEP_2)
	v_dual_mov_b32 v31, v9 :: v_dual_mov_b32 v30, v8
	s_and_saveexec_b32 s21, s2
; %bb.14:                               ;   in Loop: Header=BB337_10 Depth=1
	v_clz_i32_u32_e32 v30, v8
	s_delay_alu instid0(VALU_DEP_1) | instskip(NEXT) | instid1(VALU_DEP_1)
	v_min_u32_e32 v68, 32, v30
	v_subrev_nc_u32_e32 v30, 28, v68
	v_sub_nc_u32_e32 v68, 29, v68
	s_delay_alu instid0(VALU_DEP_2) | instskip(NEXT) | instid1(VALU_DEP_1)
	v_lshlrev_b64 v[30:31], v30, v[8:9]
	v_and_b32_e32 v30, 7, v30
; %bb.15:                               ;   in Loop: Header=BB337_10 Depth=1
	s_or_b32 exec_lo, exec_lo, s21
	v_lshlrev_b32_e32 v8, 8, v81
	v_lshl_add_u32 v31, v68, 10, 0x2000
	s_delay_alu instid0(VALU_DEP_1) | instskip(NEXT) | instid1(VALU_DEP_1)
	v_and_or_b32 v8, 0x8000, v8, v31
	v_lshl_or_b32 v8, v30, 7, v8
	s_delay_alu instid0(VALU_DEP_1)
	v_cvt_f32_f16_e32 v68, v8
.LBB337_16:                             ;   in Loop: Header=BB337_10 Depth=1
	s_or_b32 exec_lo, exec_lo, s20
.LBB337_17:                             ;   in Loop: Header=BB337_10 Depth=1
	s_delay_alu instid0(SALU_CYCLE_1)
	s_or_b32 exec_lo, exec_lo, s19
.LBB337_18:                             ;   in Loop: Header=BB337_10 Depth=1
	s_delay_alu instid0(SALU_CYCLE_1) | instskip(SKIP_3) | instid1(VALU_DEP_2)
	s_or_b32 exec_lo, exec_lo, s3
	v_lshrrev_b16 v8, 8, v81
	v_dual_mov_b32 v69, 0 :: v_dual_mov_b32 v70, 0
	s_mov_b32 s3, exec_lo
	v_cmpx_ne_u16_e32 0, v8
	s_cbranch_execz .LBB337_26
; %bb.19:                               ;   in Loop: Header=BB337_10 Depth=1
	v_bfrev_b32_e32 v70, 1
	s_mov_b32 s19, exec_lo
	v_cmpx_ne_u16_e32 0x80, v8
	s_cbranch_execz .LBB337_25
; %bb.20:                               ;   in Loop: Header=BB337_10 Depth=1
	v_and_b32_e32 v71, 0xffff, v8
	v_mov_b32_e32 v70, 0x7fc02000
	s_mov_b32 s20, exec_lo
	s_delay_alu instid0(VALU_DEP_2) | instskip(NEXT) | instid1(VALU_DEP_1)
	v_and_b32_e32 v30, 0x7f, v71
	v_cmpx_ne_u32_e32 0x7f, v30
	s_cbranch_execz .LBB337_24
; %bb.21:                               ;   in Loop: Header=BB337_10 Depth=1
	v_and_b32_e32 v8, 7, v71
	v_lshrrev_b32_e32 v70, 3, v30
	v_cmp_gt_u32_e64 s2, 8, v30
	s_delay_alu instid0(VALU_DEP_3) | instskip(NEXT) | instid1(VALU_DEP_2)
	v_dual_mov_b32 v31, v9 :: v_dual_mov_b32 v30, v8
	s_and_saveexec_b32 s21, s2
; %bb.22:                               ;   in Loop: Header=BB337_10 Depth=1
	v_clz_i32_u32_e32 v30, v8
	s_delay_alu instid0(VALU_DEP_1) | instskip(NEXT) | instid1(VALU_DEP_1)
	v_min_u32_e32 v70, 32, v30
	v_subrev_nc_u32_e32 v30, 28, v70
	v_sub_nc_u32_e32 v70, 29, v70
	s_delay_alu instid0(VALU_DEP_2) | instskip(NEXT) | instid1(VALU_DEP_1)
	v_lshlrev_b64 v[30:31], v30, v[8:9]
	v_and_b32_e32 v30, 7, v30
; %bb.23:                               ;   in Loop: Header=BB337_10 Depth=1
	s_or_b32 exec_lo, exec_lo, s21
	v_lshlrev_b32_e32 v8, 8, v71
	v_lshl_add_u32 v31, v70, 10, 0x2000
	s_delay_alu instid0(VALU_DEP_1) | instskip(NEXT) | instid1(VALU_DEP_1)
	v_and_or_b32 v8, 0x8000, v8, v31
	v_lshl_or_b32 v8, v30, 7, v8
	s_delay_alu instid0(VALU_DEP_1)
	v_cvt_f32_f16_e32 v70, v8
.LBB337_24:                             ;   in Loop: Header=BB337_10 Depth=1
	s_or_b32 exec_lo, exec_lo, s20
.LBB337_25:                             ;   in Loop: Header=BB337_10 Depth=1
	s_delay_alu instid0(SALU_CYCLE_1)
	s_or_b32 exec_lo, exec_lo, s19
.LBB337_26:                             ;   in Loop: Header=BB337_10 Depth=1
	s_delay_alu instid0(SALU_CYCLE_1) | instskip(SKIP_2) | instid1(VALU_DEP_1)
	s_or_b32 exec_lo, exec_lo, s3
	v_lshrrev_b32_e32 v71, 16, v81
	s_mov_b32 s3, exec_lo
	v_and_b32_e32 v8, 0xff, v71
	s_delay_alu instid0(VALU_DEP_1)
	v_cmpx_ne_u16_e32 0, v8
	s_cbranch_execz .LBB337_34
; %bb.27:                               ;   in Loop: Header=BB337_10 Depth=1
	v_bfrev_b32_e32 v69, 1
	s_mov_b32 s19, exec_lo
	v_cmpx_ne_u16_e32 0x80, v8
	s_cbranch_execz .LBB337_33
; %bb.28:                               ;   in Loop: Header=BB337_10 Depth=1
	v_bfe_u32 v30, v81, 16, 7
	v_mov_b32_e32 v69, 0x7fc02000
	s_mov_b32 s20, exec_lo
	s_delay_alu instid0(VALU_DEP_2)
	v_cmpx_ne_u32_e32 0x7f, v30
	s_cbranch_execz .LBB337_32
; %bb.29:                               ;   in Loop: Header=BB337_10 Depth=1
	v_and_b32_e32 v8, 7, v71
	v_lshrrev_b32_e32 v69, 3, v30
	v_cmp_gt_u32_e64 s2, 8, v30
	s_delay_alu instid0(VALU_DEP_3) | instskip(NEXT) | instid1(VALU_DEP_2)
	v_dual_mov_b32 v31, v9 :: v_dual_mov_b32 v30, v8
	s_and_saveexec_b32 s21, s2
; %bb.30:                               ;   in Loop: Header=BB337_10 Depth=1
	v_clz_i32_u32_e32 v30, v8
	s_delay_alu instid0(VALU_DEP_1) | instskip(NEXT) | instid1(VALU_DEP_1)
	v_min_u32_e32 v69, 32, v30
	v_subrev_nc_u32_e32 v30, 28, v69
	v_sub_nc_u32_e32 v69, 29, v69
	s_delay_alu instid0(VALU_DEP_2) | instskip(NEXT) | instid1(VALU_DEP_1)
	v_lshlrev_b64 v[30:31], v30, v[8:9]
	v_and_b32_e32 v30, 7, v30
; %bb.31:                               ;   in Loop: Header=BB337_10 Depth=1
	s_or_b32 exec_lo, exec_lo, s21
	v_lshlrev_b32_e32 v8, 8, v71
	v_lshl_add_u32 v31, v69, 10, 0x2000
	s_delay_alu instid0(VALU_DEP_1) | instskip(NEXT) | instid1(VALU_DEP_1)
	v_and_or_b32 v8, 0x8000, v8, v31
	v_lshl_or_b32 v8, v30, 7, v8
	s_delay_alu instid0(VALU_DEP_1)
	v_cvt_f32_f16_e32 v69, v8
.LBB337_32:                             ;   in Loop: Header=BB337_10 Depth=1
	s_or_b32 exec_lo, exec_lo, s20
.LBB337_33:                             ;   in Loop: Header=BB337_10 Depth=1
	s_delay_alu instid0(SALU_CYCLE_1)
	s_or_b32 exec_lo, exec_lo, s19
.LBB337_34:                             ;   in Loop: Header=BB337_10 Depth=1
	s_delay_alu instid0(SALU_CYCLE_1)
	s_or_b32 exec_lo, exec_lo, s3
	v_dual_mov_b32 v71, 0 :: v_dual_mov_b32 v80, 0
	s_mov_b32 s3, exec_lo
	v_cmpx_lt_u32_e32 0xffffff, v81
	s_cbranch_execz .LBB337_42
; %bb.35:                               ;   in Loop: Header=BB337_10 Depth=1
	v_lshrrev_b32_e32 v81, 24, v81
	v_bfrev_b32_e32 v80, 1
	s_mov_b32 s19, exec_lo
	s_delay_alu instid0(VALU_DEP_2)
	v_cmpx_ne_u32_e32 0x80, v81
	s_cbranch_execz .LBB337_41
; %bb.36:                               ;   in Loop: Header=BB337_10 Depth=1
	v_and_b32_e32 v30, 0x7f, v81
	v_mov_b32_e32 v80, 0x7fc02000
	s_mov_b32 s20, exec_lo
	s_delay_alu instid0(VALU_DEP_2)
	v_cmpx_ne_u32_e32 0x7f, v30
	s_cbranch_execz .LBB337_40
; %bb.37:                               ;   in Loop: Header=BB337_10 Depth=1
	v_and_b32_e32 v8, 7, v81
	v_lshrrev_b32_e32 v80, 3, v30
	v_cmp_gt_u32_e64 s2, 8, v30
	s_delay_alu instid0(VALU_DEP_3) | instskip(NEXT) | instid1(VALU_DEP_2)
	v_dual_mov_b32 v31, v9 :: v_dual_mov_b32 v30, v8
	s_and_saveexec_b32 s21, s2
; %bb.38:                               ;   in Loop: Header=BB337_10 Depth=1
	v_clz_i32_u32_e32 v30, v8
	s_delay_alu instid0(VALU_DEP_1) | instskip(NEXT) | instid1(VALU_DEP_1)
	v_min_u32_e32 v80, 32, v30
	v_subrev_nc_u32_e32 v30, 28, v80
	v_sub_nc_u32_e32 v80, 29, v80
	s_delay_alu instid0(VALU_DEP_2) | instskip(NEXT) | instid1(VALU_DEP_1)
	v_lshlrev_b64 v[30:31], v30, v[8:9]
	v_and_b32_e32 v30, 7, v30
; %bb.39:                               ;   in Loop: Header=BB337_10 Depth=1
	s_or_b32 exec_lo, exec_lo, s21
	v_lshlrev_b32_e32 v8, 8, v81
	v_lshl_add_u32 v31, v80, 10, 0x2000
	s_delay_alu instid0(VALU_DEP_1) | instskip(NEXT) | instid1(VALU_DEP_1)
	v_and_or_b32 v8, 0x8000, v8, v31
	v_lshl_or_b32 v8, v30, 7, v8
	s_delay_alu instid0(VALU_DEP_1)
	v_cvt_f32_f16_e32 v80, v8
.LBB337_40:                             ;   in Loop: Header=BB337_10 Depth=1
	s_or_b32 exec_lo, exec_lo, s20
.LBB337_41:                             ;   in Loop: Header=BB337_10 Depth=1
	s_delay_alu instid0(SALU_CYCLE_1)
	s_or_b32 exec_lo, exec_lo, s19
.LBB337_42:                             ;   in Loop: Header=BB337_10 Depth=1
	s_delay_alu instid0(SALU_CYCLE_1) | instskip(SKIP_4) | instid1(VALU_DEP_1)
	s_or_b32 exec_lo, exec_lo, s3
	flat_load_b32 v85, v[28:29] offset:8
	s_mov_b32 s3, exec_lo
	s_waitcnt vmcnt(0) lgkmcnt(0)
	v_and_b32_e32 v8, 0xff, v85
	v_cmpx_ne_u16_e32 0, v8
	s_cbranch_execz .LBB337_50
; %bb.43:                               ;   in Loop: Header=BB337_10 Depth=1
	v_bfrev_b32_e32 v71, 1
	s_mov_b32 s19, exec_lo
	v_cmpx_ne_u16_e32 0x80, v8
	s_cbranch_execz .LBB337_49
; %bb.44:                               ;   in Loop: Header=BB337_10 Depth=1
	v_and_b32_e32 v30, 0x7f, v85
	v_mov_b32_e32 v71, 0x7fc02000
	s_mov_b32 s20, exec_lo
	s_delay_alu instid0(VALU_DEP_2)
	v_cmpx_ne_u32_e32 0x7f, v30
	s_cbranch_execz .LBB337_48
; %bb.45:                               ;   in Loop: Header=BB337_10 Depth=1
	v_and_b32_e32 v8, 7, v85
	v_lshrrev_b32_e32 v71, 3, v30
	v_cmp_gt_u32_e64 s2, 8, v30
	s_delay_alu instid0(VALU_DEP_3) | instskip(NEXT) | instid1(VALU_DEP_2)
	v_dual_mov_b32 v31, v9 :: v_dual_mov_b32 v30, v8
	s_and_saveexec_b32 s21, s2
; %bb.46:                               ;   in Loop: Header=BB337_10 Depth=1
	v_clz_i32_u32_e32 v30, v8
	s_delay_alu instid0(VALU_DEP_1) | instskip(NEXT) | instid1(VALU_DEP_1)
	v_min_u32_e32 v71, 32, v30
	v_subrev_nc_u32_e32 v30, 28, v71
	v_sub_nc_u32_e32 v71, 29, v71
	s_delay_alu instid0(VALU_DEP_2) | instskip(NEXT) | instid1(VALU_DEP_1)
	v_lshlrev_b64 v[30:31], v30, v[8:9]
	v_and_b32_e32 v30, 7, v30
; %bb.47:                               ;   in Loop: Header=BB337_10 Depth=1
	s_or_b32 exec_lo, exec_lo, s21
	v_lshlrev_b32_e32 v8, 8, v85
	v_lshl_add_u32 v31, v71, 10, 0x2000
	s_delay_alu instid0(VALU_DEP_1) | instskip(NEXT) | instid1(VALU_DEP_1)
	v_and_or_b32 v8, 0x8000, v8, v31
	v_lshl_or_b32 v8, v30, 7, v8
	s_delay_alu instid0(VALU_DEP_1)
	v_cvt_f32_f16_e32 v71, v8
.LBB337_48:                             ;   in Loop: Header=BB337_10 Depth=1
	s_or_b32 exec_lo, exec_lo, s20
.LBB337_49:                             ;   in Loop: Header=BB337_10 Depth=1
	s_delay_alu instid0(SALU_CYCLE_1)
	s_or_b32 exec_lo, exec_lo, s19
.LBB337_50:                             ;   in Loop: Header=BB337_10 Depth=1
	s_delay_alu instid0(SALU_CYCLE_1) | instskip(SKIP_3) | instid1(VALU_DEP_2)
	s_or_b32 exec_lo, exec_lo, s3
	v_lshrrev_b16 v8, 8, v85
	v_dual_mov_b32 v81, 0 :: v_dual_mov_b32 v82, 0
	s_mov_b32 s3, exec_lo
	v_cmpx_ne_u16_e32 0, v8
	s_cbranch_execz .LBB337_58
; %bb.51:                               ;   in Loop: Header=BB337_10 Depth=1
	v_bfrev_b32_e32 v82, 1
	s_mov_b32 s19, exec_lo
	v_cmpx_ne_u16_e32 0x80, v8
	s_cbranch_execz .LBB337_57
; %bb.52:                               ;   in Loop: Header=BB337_10 Depth=1
	v_and_b32_e32 v83, 0xffff, v8
	v_mov_b32_e32 v82, 0x7fc02000
	s_mov_b32 s20, exec_lo
	s_delay_alu instid0(VALU_DEP_2) | instskip(NEXT) | instid1(VALU_DEP_1)
	v_and_b32_e32 v30, 0x7f, v83
	v_cmpx_ne_u32_e32 0x7f, v30
	s_cbranch_execz .LBB337_56
; %bb.53:                               ;   in Loop: Header=BB337_10 Depth=1
	v_and_b32_e32 v8, 7, v83
	v_lshrrev_b32_e32 v82, 3, v30
	v_cmp_gt_u32_e64 s2, 8, v30
	s_delay_alu instid0(VALU_DEP_3) | instskip(NEXT) | instid1(VALU_DEP_2)
	v_dual_mov_b32 v31, v9 :: v_dual_mov_b32 v30, v8
	s_and_saveexec_b32 s21, s2
; %bb.54:                               ;   in Loop: Header=BB337_10 Depth=1
	v_clz_i32_u32_e32 v30, v8
	s_delay_alu instid0(VALU_DEP_1) | instskip(NEXT) | instid1(VALU_DEP_1)
	v_min_u32_e32 v82, 32, v30
	v_subrev_nc_u32_e32 v30, 28, v82
	v_sub_nc_u32_e32 v82, 29, v82
	s_delay_alu instid0(VALU_DEP_2) | instskip(NEXT) | instid1(VALU_DEP_1)
	v_lshlrev_b64 v[30:31], v30, v[8:9]
	v_and_b32_e32 v30, 7, v30
; %bb.55:                               ;   in Loop: Header=BB337_10 Depth=1
	s_or_b32 exec_lo, exec_lo, s21
	v_lshlrev_b32_e32 v8, 8, v83
	v_lshl_add_u32 v31, v82, 10, 0x2000
	s_delay_alu instid0(VALU_DEP_1) | instskip(NEXT) | instid1(VALU_DEP_1)
	v_and_or_b32 v8, 0x8000, v8, v31
	v_lshl_or_b32 v8, v30, 7, v8
	s_delay_alu instid0(VALU_DEP_1)
	v_cvt_f32_f16_e32 v82, v8
.LBB337_56:                             ;   in Loop: Header=BB337_10 Depth=1
	s_or_b32 exec_lo, exec_lo, s20
.LBB337_57:                             ;   in Loop: Header=BB337_10 Depth=1
	s_delay_alu instid0(SALU_CYCLE_1)
	s_or_b32 exec_lo, exec_lo, s19
.LBB337_58:                             ;   in Loop: Header=BB337_10 Depth=1
	s_delay_alu instid0(SALU_CYCLE_1) | instskip(SKIP_2) | instid1(VALU_DEP_1)
	s_or_b32 exec_lo, exec_lo, s3
	v_lshrrev_b32_e32 v83, 16, v85
	s_mov_b32 s3, exec_lo
	v_and_b32_e32 v8, 0xff, v83
	s_delay_alu instid0(VALU_DEP_1)
	v_cmpx_ne_u16_e32 0, v8
	s_cbranch_execz .LBB337_66
; %bb.59:                               ;   in Loop: Header=BB337_10 Depth=1
	v_bfrev_b32_e32 v81, 1
	s_mov_b32 s19, exec_lo
	v_cmpx_ne_u16_e32 0x80, v8
	s_cbranch_execz .LBB337_65
; %bb.60:                               ;   in Loop: Header=BB337_10 Depth=1
	v_bfe_u32 v30, v85, 16, 7
	v_mov_b32_e32 v81, 0x7fc02000
	s_mov_b32 s20, exec_lo
	s_delay_alu instid0(VALU_DEP_2)
	v_cmpx_ne_u32_e32 0x7f, v30
	s_cbranch_execz .LBB337_64
; %bb.61:                               ;   in Loop: Header=BB337_10 Depth=1
	v_and_b32_e32 v8, 7, v83
	v_lshrrev_b32_e32 v81, 3, v30
	v_cmp_gt_u32_e64 s2, 8, v30
	s_delay_alu instid0(VALU_DEP_3) | instskip(NEXT) | instid1(VALU_DEP_2)
	v_dual_mov_b32 v31, v9 :: v_dual_mov_b32 v30, v8
	s_and_saveexec_b32 s21, s2
; %bb.62:                               ;   in Loop: Header=BB337_10 Depth=1
	v_clz_i32_u32_e32 v30, v8
	s_delay_alu instid0(VALU_DEP_1) | instskip(NEXT) | instid1(VALU_DEP_1)
	v_min_u32_e32 v81, 32, v30
	v_subrev_nc_u32_e32 v30, 28, v81
	v_sub_nc_u32_e32 v81, 29, v81
	s_delay_alu instid0(VALU_DEP_2) | instskip(NEXT) | instid1(VALU_DEP_1)
	v_lshlrev_b64 v[30:31], v30, v[8:9]
	v_and_b32_e32 v30, 7, v30
; %bb.63:                               ;   in Loop: Header=BB337_10 Depth=1
	s_or_b32 exec_lo, exec_lo, s21
	v_lshlrev_b32_e32 v8, 8, v83
	v_lshl_add_u32 v31, v81, 10, 0x2000
	s_delay_alu instid0(VALU_DEP_1) | instskip(NEXT) | instid1(VALU_DEP_1)
	v_and_or_b32 v8, 0x8000, v8, v31
	v_lshl_or_b32 v8, v30, 7, v8
	s_delay_alu instid0(VALU_DEP_1)
	v_cvt_f32_f16_e32 v81, v8
.LBB337_64:                             ;   in Loop: Header=BB337_10 Depth=1
	s_or_b32 exec_lo, exec_lo, s20
.LBB337_65:                             ;   in Loop: Header=BB337_10 Depth=1
	s_delay_alu instid0(SALU_CYCLE_1)
	s_or_b32 exec_lo, exec_lo, s19
.LBB337_66:                             ;   in Loop: Header=BB337_10 Depth=1
	s_delay_alu instid0(SALU_CYCLE_1)
	s_or_b32 exec_lo, exec_lo, s3
	v_dual_mov_b32 v83, 0 :: v_dual_mov_b32 v84, 0
	s_mov_b32 s3, exec_lo
	v_cmpx_lt_u32_e32 0xffffff, v85
	s_cbranch_execz .LBB337_74
; %bb.67:                               ;   in Loop: Header=BB337_10 Depth=1
	v_lshrrev_b32_e32 v85, 24, v85
	v_bfrev_b32_e32 v84, 1
	s_mov_b32 s19, exec_lo
	s_delay_alu instid0(VALU_DEP_2)
	v_cmpx_ne_u32_e32 0x80, v85
	s_cbranch_execz .LBB337_73
; %bb.68:                               ;   in Loop: Header=BB337_10 Depth=1
	v_and_b32_e32 v30, 0x7f, v85
	v_mov_b32_e32 v84, 0x7fc02000
	s_mov_b32 s20, exec_lo
	s_delay_alu instid0(VALU_DEP_2)
	v_cmpx_ne_u32_e32 0x7f, v30
	s_cbranch_execz .LBB337_72
; %bb.69:                               ;   in Loop: Header=BB337_10 Depth=1
	v_and_b32_e32 v8, 7, v85
	v_lshrrev_b32_e32 v84, 3, v30
	v_cmp_gt_u32_e64 s2, 8, v30
	s_delay_alu instid0(VALU_DEP_3) | instskip(NEXT) | instid1(VALU_DEP_2)
	v_dual_mov_b32 v31, v9 :: v_dual_mov_b32 v30, v8
	s_and_saveexec_b32 s21, s2
; %bb.70:                               ;   in Loop: Header=BB337_10 Depth=1
	v_clz_i32_u32_e32 v30, v8
	s_delay_alu instid0(VALU_DEP_1) | instskip(NEXT) | instid1(VALU_DEP_1)
	v_min_u32_e32 v84, 32, v30
	v_subrev_nc_u32_e32 v30, 28, v84
	v_sub_nc_u32_e32 v84, 29, v84
	s_delay_alu instid0(VALU_DEP_2) | instskip(NEXT) | instid1(VALU_DEP_1)
	v_lshlrev_b64 v[30:31], v30, v[8:9]
	v_and_b32_e32 v30, 7, v30
; %bb.71:                               ;   in Loop: Header=BB337_10 Depth=1
	s_or_b32 exec_lo, exec_lo, s21
	v_lshlrev_b32_e32 v8, 8, v85
	v_lshl_add_u32 v31, v84, 10, 0x2000
	s_delay_alu instid0(VALU_DEP_1) | instskip(NEXT) | instid1(VALU_DEP_1)
	v_and_or_b32 v8, 0x8000, v8, v31
	v_lshl_or_b32 v8, v30, 7, v8
	s_delay_alu instid0(VALU_DEP_1)
	v_cvt_f32_f16_e32 v84, v8
.LBB337_72:                             ;   in Loop: Header=BB337_10 Depth=1
	s_or_b32 exec_lo, exec_lo, s20
.LBB337_73:                             ;   in Loop: Header=BB337_10 Depth=1
	s_delay_alu instid0(SALU_CYCLE_1)
	s_or_b32 exec_lo, exec_lo, s19
.LBB337_74:                             ;   in Loop: Header=BB337_10 Depth=1
	s_delay_alu instid0(SALU_CYCLE_1) | instskip(SKIP_4) | instid1(VALU_DEP_1)
	s_or_b32 exec_lo, exec_lo, s3
	flat_load_b32 v97, v[28:29] offset:256
	s_mov_b32 s3, exec_lo
	s_waitcnt vmcnt(0) lgkmcnt(0)
	v_and_b32_e32 v8, 0xff, v97
	v_cmpx_ne_u16_e32 0, v8
	s_cbranch_execz .LBB337_82
; %bb.75:                               ;   in Loop: Header=BB337_10 Depth=1
	v_bfrev_b32_e32 v83, 1
	s_mov_b32 s19, exec_lo
	v_cmpx_ne_u16_e32 0x80, v8
	s_cbranch_execz .LBB337_81
; %bb.76:                               ;   in Loop: Header=BB337_10 Depth=1
	v_and_b32_e32 v30, 0x7f, v97
	v_mov_b32_e32 v83, 0x7fc02000
	s_mov_b32 s20, exec_lo
	s_delay_alu instid0(VALU_DEP_2)
	v_cmpx_ne_u32_e32 0x7f, v30
	s_cbranch_execz .LBB337_80
; %bb.77:                               ;   in Loop: Header=BB337_10 Depth=1
	v_and_b32_e32 v8, 7, v97
	v_lshrrev_b32_e32 v83, 3, v30
	v_cmp_gt_u32_e64 s2, 8, v30
	s_delay_alu instid0(VALU_DEP_3) | instskip(NEXT) | instid1(VALU_DEP_2)
	v_dual_mov_b32 v31, v9 :: v_dual_mov_b32 v30, v8
	s_and_saveexec_b32 s21, s2
; %bb.78:                               ;   in Loop: Header=BB337_10 Depth=1
	v_clz_i32_u32_e32 v30, v8
	s_delay_alu instid0(VALU_DEP_1) | instskip(NEXT) | instid1(VALU_DEP_1)
	v_min_u32_e32 v83, 32, v30
	v_subrev_nc_u32_e32 v30, 28, v83
	v_sub_nc_u32_e32 v83, 29, v83
	s_delay_alu instid0(VALU_DEP_2) | instskip(NEXT) | instid1(VALU_DEP_1)
	v_lshlrev_b64 v[30:31], v30, v[8:9]
	v_and_b32_e32 v30, 7, v30
; %bb.79:                               ;   in Loop: Header=BB337_10 Depth=1
	s_or_b32 exec_lo, exec_lo, s21
	v_lshlrev_b32_e32 v8, 8, v97
	v_lshl_add_u32 v31, v83, 10, 0x2000
	s_delay_alu instid0(VALU_DEP_1) | instskip(NEXT) | instid1(VALU_DEP_1)
	v_and_or_b32 v8, 0x8000, v8, v31
	v_lshl_or_b32 v8, v30, 7, v8
	s_delay_alu instid0(VALU_DEP_1)
	v_cvt_f32_f16_e32 v83, v8
.LBB337_80:                             ;   in Loop: Header=BB337_10 Depth=1
	s_or_b32 exec_lo, exec_lo, s20
.LBB337_81:                             ;   in Loop: Header=BB337_10 Depth=1
	s_delay_alu instid0(SALU_CYCLE_1)
	s_or_b32 exec_lo, exec_lo, s19
.LBB337_82:                             ;   in Loop: Header=BB337_10 Depth=1
	s_delay_alu instid0(SALU_CYCLE_1) | instskip(SKIP_3) | instid1(VALU_DEP_2)
	s_or_b32 exec_lo, exec_lo, s3
	v_lshrrev_b16 v8, 8, v97
	v_dual_mov_b32 v85, 0 :: v_dual_mov_b32 v86, 0
	s_mov_b32 s3, exec_lo
	v_cmpx_ne_u16_e32 0, v8
	s_cbranch_execz .LBB337_90
; %bb.83:                               ;   in Loop: Header=BB337_10 Depth=1
	v_bfrev_b32_e32 v86, 1
	s_mov_b32 s19, exec_lo
	v_cmpx_ne_u16_e32 0x80, v8
	s_cbranch_execz .LBB337_89
; %bb.84:                               ;   in Loop: Header=BB337_10 Depth=1
	v_and_b32_e32 v87, 0xffff, v8
	v_mov_b32_e32 v86, 0x7fc02000
	s_mov_b32 s20, exec_lo
	s_delay_alu instid0(VALU_DEP_2) | instskip(NEXT) | instid1(VALU_DEP_1)
	v_and_b32_e32 v30, 0x7f, v87
	v_cmpx_ne_u32_e32 0x7f, v30
	s_cbranch_execz .LBB337_88
; %bb.85:                               ;   in Loop: Header=BB337_10 Depth=1
	v_and_b32_e32 v8, 7, v87
	v_lshrrev_b32_e32 v86, 3, v30
	v_cmp_gt_u32_e64 s2, 8, v30
	s_delay_alu instid0(VALU_DEP_3) | instskip(NEXT) | instid1(VALU_DEP_2)
	v_dual_mov_b32 v31, v9 :: v_dual_mov_b32 v30, v8
	s_and_saveexec_b32 s21, s2
; %bb.86:                               ;   in Loop: Header=BB337_10 Depth=1
	v_clz_i32_u32_e32 v30, v8
	s_delay_alu instid0(VALU_DEP_1) | instskip(NEXT) | instid1(VALU_DEP_1)
	v_min_u32_e32 v86, 32, v30
	v_subrev_nc_u32_e32 v30, 28, v86
	v_sub_nc_u32_e32 v86, 29, v86
	s_delay_alu instid0(VALU_DEP_2) | instskip(NEXT) | instid1(VALU_DEP_1)
	v_lshlrev_b64 v[30:31], v30, v[8:9]
	v_and_b32_e32 v30, 7, v30
; %bb.87:                               ;   in Loop: Header=BB337_10 Depth=1
	s_or_b32 exec_lo, exec_lo, s21
	v_lshlrev_b32_e32 v8, 8, v87
	v_lshl_add_u32 v31, v86, 10, 0x2000
	s_delay_alu instid0(VALU_DEP_1) | instskip(NEXT) | instid1(VALU_DEP_1)
	v_and_or_b32 v8, 0x8000, v8, v31
	v_lshl_or_b32 v8, v30, 7, v8
	s_delay_alu instid0(VALU_DEP_1)
	v_cvt_f32_f16_e32 v86, v8
.LBB337_88:                             ;   in Loop: Header=BB337_10 Depth=1
	s_or_b32 exec_lo, exec_lo, s20
.LBB337_89:                             ;   in Loop: Header=BB337_10 Depth=1
	s_delay_alu instid0(SALU_CYCLE_1)
	s_or_b32 exec_lo, exec_lo, s19
.LBB337_90:                             ;   in Loop: Header=BB337_10 Depth=1
	s_delay_alu instid0(SALU_CYCLE_1) | instskip(SKIP_2) | instid1(VALU_DEP_1)
	s_or_b32 exec_lo, exec_lo, s3
	v_lshrrev_b32_e32 v87, 16, v97
	s_mov_b32 s3, exec_lo
	v_and_b32_e32 v8, 0xff, v87
	s_delay_alu instid0(VALU_DEP_1)
	v_cmpx_ne_u16_e32 0, v8
	s_cbranch_execz .LBB337_98
; %bb.91:                               ;   in Loop: Header=BB337_10 Depth=1
	v_bfrev_b32_e32 v85, 1
	s_mov_b32 s19, exec_lo
	v_cmpx_ne_u16_e32 0x80, v8
	s_cbranch_execz .LBB337_97
; %bb.92:                               ;   in Loop: Header=BB337_10 Depth=1
	v_bfe_u32 v30, v97, 16, 7
	v_mov_b32_e32 v85, 0x7fc02000
	s_mov_b32 s20, exec_lo
	s_delay_alu instid0(VALU_DEP_2)
	v_cmpx_ne_u32_e32 0x7f, v30
	s_cbranch_execz .LBB337_96
; %bb.93:                               ;   in Loop: Header=BB337_10 Depth=1
	v_and_b32_e32 v8, 7, v87
	v_lshrrev_b32_e32 v85, 3, v30
	v_cmp_gt_u32_e64 s2, 8, v30
	s_delay_alu instid0(VALU_DEP_3) | instskip(NEXT) | instid1(VALU_DEP_2)
	v_dual_mov_b32 v31, v9 :: v_dual_mov_b32 v30, v8
	s_and_saveexec_b32 s21, s2
; %bb.94:                               ;   in Loop: Header=BB337_10 Depth=1
	v_clz_i32_u32_e32 v30, v8
	s_delay_alu instid0(VALU_DEP_1) | instskip(NEXT) | instid1(VALU_DEP_1)
	v_min_u32_e32 v85, 32, v30
	v_subrev_nc_u32_e32 v30, 28, v85
	v_sub_nc_u32_e32 v85, 29, v85
	s_delay_alu instid0(VALU_DEP_2) | instskip(NEXT) | instid1(VALU_DEP_1)
	v_lshlrev_b64 v[30:31], v30, v[8:9]
	v_and_b32_e32 v30, 7, v30
; %bb.95:                               ;   in Loop: Header=BB337_10 Depth=1
	s_or_b32 exec_lo, exec_lo, s21
	v_lshlrev_b32_e32 v8, 8, v87
	v_lshl_add_u32 v31, v85, 10, 0x2000
	s_delay_alu instid0(VALU_DEP_1) | instskip(NEXT) | instid1(VALU_DEP_1)
	v_and_or_b32 v8, 0x8000, v8, v31
	v_lshl_or_b32 v8, v30, 7, v8
	s_delay_alu instid0(VALU_DEP_1)
	v_cvt_f32_f16_e32 v85, v8
.LBB337_96:                             ;   in Loop: Header=BB337_10 Depth=1
	s_or_b32 exec_lo, exec_lo, s20
.LBB337_97:                             ;   in Loop: Header=BB337_10 Depth=1
	s_delay_alu instid0(SALU_CYCLE_1)
	s_or_b32 exec_lo, exec_lo, s19
.LBB337_98:                             ;   in Loop: Header=BB337_10 Depth=1
	s_delay_alu instid0(SALU_CYCLE_1)
	s_or_b32 exec_lo, exec_lo, s3
	v_dual_mov_b32 v87, 0 :: v_dual_mov_b32 v96, 0
	s_mov_b32 s3, exec_lo
	v_cmpx_lt_u32_e32 0xffffff, v97
	s_cbranch_execz .LBB337_106
; %bb.99:                               ;   in Loop: Header=BB337_10 Depth=1
	v_lshrrev_b32_e32 v97, 24, v97
	v_bfrev_b32_e32 v96, 1
	s_mov_b32 s19, exec_lo
	s_delay_alu instid0(VALU_DEP_2)
	v_cmpx_ne_u32_e32 0x80, v97
	s_cbranch_execz .LBB337_105
; %bb.100:                              ;   in Loop: Header=BB337_10 Depth=1
	v_and_b32_e32 v30, 0x7f, v97
	v_mov_b32_e32 v96, 0x7fc02000
	s_mov_b32 s20, exec_lo
	s_delay_alu instid0(VALU_DEP_2)
	v_cmpx_ne_u32_e32 0x7f, v30
	s_cbranch_execz .LBB337_104
; %bb.101:                              ;   in Loop: Header=BB337_10 Depth=1
	v_and_b32_e32 v8, 7, v97
	v_lshrrev_b32_e32 v96, 3, v30
	v_cmp_gt_u32_e64 s2, 8, v30
	s_delay_alu instid0(VALU_DEP_3) | instskip(NEXT) | instid1(VALU_DEP_2)
	v_dual_mov_b32 v31, v9 :: v_dual_mov_b32 v30, v8
	s_and_saveexec_b32 s21, s2
; %bb.102:                              ;   in Loop: Header=BB337_10 Depth=1
	v_clz_i32_u32_e32 v30, v8
	s_delay_alu instid0(VALU_DEP_1) | instskip(NEXT) | instid1(VALU_DEP_1)
	v_min_u32_e32 v96, 32, v30
	v_subrev_nc_u32_e32 v30, 28, v96
	v_sub_nc_u32_e32 v96, 29, v96
	s_delay_alu instid0(VALU_DEP_2) | instskip(NEXT) | instid1(VALU_DEP_1)
	v_lshlrev_b64 v[30:31], v30, v[8:9]
	v_and_b32_e32 v30, 7, v30
; %bb.103:                              ;   in Loop: Header=BB337_10 Depth=1
	s_or_b32 exec_lo, exec_lo, s21
	v_lshlrev_b32_e32 v8, 8, v97
	v_lshl_add_u32 v31, v96, 10, 0x2000
	s_delay_alu instid0(VALU_DEP_1) | instskip(NEXT) | instid1(VALU_DEP_1)
	v_and_or_b32 v8, 0x8000, v8, v31
	v_lshl_or_b32 v8, v30, 7, v8
	s_delay_alu instid0(VALU_DEP_1)
	v_cvt_f32_f16_e32 v96, v8
.LBB337_104:                            ;   in Loop: Header=BB337_10 Depth=1
	s_or_b32 exec_lo, exec_lo, s20
.LBB337_105:                            ;   in Loop: Header=BB337_10 Depth=1
	s_delay_alu instid0(SALU_CYCLE_1)
	s_or_b32 exec_lo, exec_lo, s19
.LBB337_106:                            ;   in Loop: Header=BB337_10 Depth=1
	s_delay_alu instid0(SALU_CYCLE_1) | instskip(SKIP_4) | instid1(VALU_DEP_1)
	s_or_b32 exec_lo, exec_lo, s3
	flat_load_b32 v101, v[28:29] offset:264
	s_mov_b32 s3, exec_lo
	s_waitcnt vmcnt(0) lgkmcnt(0)
	v_and_b32_e32 v8, 0xff, v101
	v_cmpx_ne_u16_e32 0, v8
	s_cbranch_execz .LBB337_114
; %bb.107:                              ;   in Loop: Header=BB337_10 Depth=1
	v_bfrev_b32_e32 v87, 1
	s_mov_b32 s19, exec_lo
	v_cmpx_ne_u16_e32 0x80, v8
	s_cbranch_execz .LBB337_113
; %bb.108:                              ;   in Loop: Header=BB337_10 Depth=1
	v_and_b32_e32 v30, 0x7f, v101
	v_mov_b32_e32 v87, 0x7fc02000
	s_mov_b32 s20, exec_lo
	s_delay_alu instid0(VALU_DEP_2)
	v_cmpx_ne_u32_e32 0x7f, v30
	s_cbranch_execz .LBB337_112
; %bb.109:                              ;   in Loop: Header=BB337_10 Depth=1
	v_and_b32_e32 v8, 7, v101
	v_lshrrev_b32_e32 v87, 3, v30
	v_cmp_gt_u32_e64 s2, 8, v30
	s_delay_alu instid0(VALU_DEP_3) | instskip(NEXT) | instid1(VALU_DEP_2)
	v_dual_mov_b32 v31, v9 :: v_dual_mov_b32 v30, v8
	s_and_saveexec_b32 s21, s2
; %bb.110:                              ;   in Loop: Header=BB337_10 Depth=1
	v_clz_i32_u32_e32 v30, v8
	s_delay_alu instid0(VALU_DEP_1) | instskip(NEXT) | instid1(VALU_DEP_1)
	v_min_u32_e32 v87, 32, v30
	v_subrev_nc_u32_e32 v30, 28, v87
	v_sub_nc_u32_e32 v87, 29, v87
	s_delay_alu instid0(VALU_DEP_2) | instskip(NEXT) | instid1(VALU_DEP_1)
	v_lshlrev_b64 v[30:31], v30, v[8:9]
	v_and_b32_e32 v30, 7, v30
; %bb.111:                              ;   in Loop: Header=BB337_10 Depth=1
	s_or_b32 exec_lo, exec_lo, s21
	v_lshlrev_b32_e32 v8, 8, v101
	v_lshl_add_u32 v31, v87, 10, 0x2000
	s_delay_alu instid0(VALU_DEP_1) | instskip(NEXT) | instid1(VALU_DEP_1)
	v_and_or_b32 v8, 0x8000, v8, v31
	v_lshl_or_b32 v8, v30, 7, v8
	s_delay_alu instid0(VALU_DEP_1)
	v_cvt_f32_f16_e32 v87, v8
.LBB337_112:                            ;   in Loop: Header=BB337_10 Depth=1
	s_or_b32 exec_lo, exec_lo, s20
.LBB337_113:                            ;   in Loop: Header=BB337_10 Depth=1
	s_delay_alu instid0(SALU_CYCLE_1)
	s_or_b32 exec_lo, exec_lo, s19
.LBB337_114:                            ;   in Loop: Header=BB337_10 Depth=1
	s_delay_alu instid0(SALU_CYCLE_1) | instskip(SKIP_3) | instid1(VALU_DEP_2)
	s_or_b32 exec_lo, exec_lo, s3
	v_lshrrev_b16 v8, 8, v101
	v_dual_mov_b32 v97, 0 :: v_dual_mov_b32 v98, 0
	s_mov_b32 s3, exec_lo
	v_cmpx_ne_u16_e32 0, v8
	s_cbranch_execz .LBB337_122
; %bb.115:                              ;   in Loop: Header=BB337_10 Depth=1
	v_bfrev_b32_e32 v98, 1
	s_mov_b32 s19, exec_lo
	v_cmpx_ne_u16_e32 0x80, v8
	s_cbranch_execz .LBB337_121
; %bb.116:                              ;   in Loop: Header=BB337_10 Depth=1
	v_and_b32_e32 v99, 0xffff, v8
	v_mov_b32_e32 v98, 0x7fc02000
	s_mov_b32 s20, exec_lo
	s_delay_alu instid0(VALU_DEP_2) | instskip(NEXT) | instid1(VALU_DEP_1)
	v_and_b32_e32 v30, 0x7f, v99
	v_cmpx_ne_u32_e32 0x7f, v30
	s_cbranch_execz .LBB337_120
; %bb.117:                              ;   in Loop: Header=BB337_10 Depth=1
	v_and_b32_e32 v8, 7, v99
	v_lshrrev_b32_e32 v98, 3, v30
	v_cmp_gt_u32_e64 s2, 8, v30
	s_delay_alu instid0(VALU_DEP_3) | instskip(NEXT) | instid1(VALU_DEP_2)
	v_dual_mov_b32 v31, v9 :: v_dual_mov_b32 v30, v8
	s_and_saveexec_b32 s21, s2
; %bb.118:                              ;   in Loop: Header=BB337_10 Depth=1
	v_clz_i32_u32_e32 v30, v8
	s_delay_alu instid0(VALU_DEP_1) | instskip(NEXT) | instid1(VALU_DEP_1)
	v_min_u32_e32 v98, 32, v30
	v_subrev_nc_u32_e32 v30, 28, v98
	v_sub_nc_u32_e32 v98, 29, v98
	s_delay_alu instid0(VALU_DEP_2) | instskip(NEXT) | instid1(VALU_DEP_1)
	v_lshlrev_b64 v[30:31], v30, v[8:9]
	v_and_b32_e32 v30, 7, v30
; %bb.119:                              ;   in Loop: Header=BB337_10 Depth=1
	s_or_b32 exec_lo, exec_lo, s21
	v_lshlrev_b32_e32 v8, 8, v99
	v_lshl_add_u32 v31, v98, 10, 0x2000
	s_delay_alu instid0(VALU_DEP_1) | instskip(NEXT) | instid1(VALU_DEP_1)
	v_and_or_b32 v8, 0x8000, v8, v31
	v_lshl_or_b32 v8, v30, 7, v8
	s_delay_alu instid0(VALU_DEP_1)
	v_cvt_f32_f16_e32 v98, v8
.LBB337_120:                            ;   in Loop: Header=BB337_10 Depth=1
	s_or_b32 exec_lo, exec_lo, s20
.LBB337_121:                            ;   in Loop: Header=BB337_10 Depth=1
	s_delay_alu instid0(SALU_CYCLE_1)
	s_or_b32 exec_lo, exec_lo, s19
.LBB337_122:                            ;   in Loop: Header=BB337_10 Depth=1
	s_delay_alu instid0(SALU_CYCLE_1) | instskip(SKIP_2) | instid1(VALU_DEP_1)
	s_or_b32 exec_lo, exec_lo, s3
	v_lshrrev_b32_e32 v99, 16, v101
	s_mov_b32 s3, exec_lo
	v_and_b32_e32 v8, 0xff, v99
	s_delay_alu instid0(VALU_DEP_1)
	v_cmpx_ne_u16_e32 0, v8
	s_cbranch_execz .LBB337_130
; %bb.123:                              ;   in Loop: Header=BB337_10 Depth=1
	v_bfrev_b32_e32 v97, 1
	s_mov_b32 s19, exec_lo
	v_cmpx_ne_u16_e32 0x80, v8
	s_cbranch_execz .LBB337_129
; %bb.124:                              ;   in Loop: Header=BB337_10 Depth=1
	v_bfe_u32 v30, v101, 16, 7
	v_mov_b32_e32 v97, 0x7fc02000
	s_mov_b32 s20, exec_lo
	s_delay_alu instid0(VALU_DEP_2)
	v_cmpx_ne_u32_e32 0x7f, v30
	s_cbranch_execz .LBB337_128
; %bb.125:                              ;   in Loop: Header=BB337_10 Depth=1
	v_and_b32_e32 v8, 7, v99
	v_lshrrev_b32_e32 v97, 3, v30
	v_cmp_gt_u32_e64 s2, 8, v30
	s_delay_alu instid0(VALU_DEP_3) | instskip(NEXT) | instid1(VALU_DEP_2)
	v_dual_mov_b32 v31, v9 :: v_dual_mov_b32 v30, v8
	s_and_saveexec_b32 s21, s2
; %bb.126:                              ;   in Loop: Header=BB337_10 Depth=1
	v_clz_i32_u32_e32 v30, v8
	s_delay_alu instid0(VALU_DEP_1) | instskip(NEXT) | instid1(VALU_DEP_1)
	v_min_u32_e32 v97, 32, v30
	v_subrev_nc_u32_e32 v30, 28, v97
	v_sub_nc_u32_e32 v97, 29, v97
	s_delay_alu instid0(VALU_DEP_2) | instskip(NEXT) | instid1(VALU_DEP_1)
	v_lshlrev_b64 v[30:31], v30, v[8:9]
	v_and_b32_e32 v30, 7, v30
; %bb.127:                              ;   in Loop: Header=BB337_10 Depth=1
	s_or_b32 exec_lo, exec_lo, s21
	v_lshlrev_b32_e32 v8, 8, v99
	v_lshl_add_u32 v31, v97, 10, 0x2000
	s_delay_alu instid0(VALU_DEP_1) | instskip(NEXT) | instid1(VALU_DEP_1)
	v_and_or_b32 v8, 0x8000, v8, v31
	v_lshl_or_b32 v8, v30, 7, v8
	s_delay_alu instid0(VALU_DEP_1)
	v_cvt_f32_f16_e32 v97, v8
.LBB337_128:                            ;   in Loop: Header=BB337_10 Depth=1
	s_or_b32 exec_lo, exec_lo, s20
.LBB337_129:                            ;   in Loop: Header=BB337_10 Depth=1
	s_delay_alu instid0(SALU_CYCLE_1)
	s_or_b32 exec_lo, exec_lo, s19
.LBB337_130:                            ;   in Loop: Header=BB337_10 Depth=1
	s_delay_alu instid0(SALU_CYCLE_1)
	s_or_b32 exec_lo, exec_lo, s3
	v_dual_mov_b32 v99, 0 :: v_dual_mov_b32 v100, 0
	s_mov_b32 s3, exec_lo
	v_cmpx_lt_u32_e32 0xffffff, v101
	s_cbranch_execz .LBB337_138
; %bb.131:                              ;   in Loop: Header=BB337_10 Depth=1
	v_lshrrev_b32_e32 v101, 24, v101
	v_bfrev_b32_e32 v100, 1
	s_mov_b32 s19, exec_lo
	s_delay_alu instid0(VALU_DEP_2)
	v_cmpx_ne_u32_e32 0x80, v101
	s_cbranch_execz .LBB337_137
; %bb.132:                              ;   in Loop: Header=BB337_10 Depth=1
	v_and_b32_e32 v30, 0x7f, v101
	v_mov_b32_e32 v100, 0x7fc02000
	s_mov_b32 s20, exec_lo
	s_delay_alu instid0(VALU_DEP_2)
	v_cmpx_ne_u32_e32 0x7f, v30
	s_cbranch_execz .LBB337_136
; %bb.133:                              ;   in Loop: Header=BB337_10 Depth=1
	v_and_b32_e32 v8, 7, v101
	v_lshrrev_b32_e32 v100, 3, v30
	v_cmp_gt_u32_e64 s2, 8, v30
	s_delay_alu instid0(VALU_DEP_3) | instskip(NEXT) | instid1(VALU_DEP_2)
	v_dual_mov_b32 v31, v9 :: v_dual_mov_b32 v30, v8
	s_and_saveexec_b32 s21, s2
; %bb.134:                              ;   in Loop: Header=BB337_10 Depth=1
	v_clz_i32_u32_e32 v30, v8
	s_delay_alu instid0(VALU_DEP_1) | instskip(NEXT) | instid1(VALU_DEP_1)
	v_min_u32_e32 v100, 32, v30
	v_subrev_nc_u32_e32 v30, 28, v100
	v_sub_nc_u32_e32 v100, 29, v100
	s_delay_alu instid0(VALU_DEP_2) | instskip(NEXT) | instid1(VALU_DEP_1)
	v_lshlrev_b64 v[30:31], v30, v[8:9]
	v_and_b32_e32 v30, 7, v30
; %bb.135:                              ;   in Loop: Header=BB337_10 Depth=1
	s_or_b32 exec_lo, exec_lo, s21
	v_lshlrev_b32_e32 v8, 8, v101
	v_lshl_add_u32 v31, v100, 10, 0x2000
	s_delay_alu instid0(VALU_DEP_1) | instskip(NEXT) | instid1(VALU_DEP_1)
	v_and_or_b32 v8, 0x8000, v8, v31
	v_lshl_or_b32 v8, v30, 7, v8
	s_delay_alu instid0(VALU_DEP_1)
	v_cvt_f32_f16_e32 v100, v8
.LBB337_136:                            ;   in Loop: Header=BB337_10 Depth=1
	s_or_b32 exec_lo, exec_lo, s20
.LBB337_137:                            ;   in Loop: Header=BB337_10 Depth=1
	s_delay_alu instid0(SALU_CYCLE_1)
	s_or_b32 exec_lo, exec_lo, s19
.LBB337_138:                            ;   in Loop: Header=BB337_10 Depth=1
	s_delay_alu instid0(SALU_CYCLE_1) | instskip(SKIP_4) | instid1(VALU_DEP_1)
	s_or_b32 exec_lo, exec_lo, s3
	flat_load_b32 v113, v[28:29] offset:512
	s_mov_b32 s3, exec_lo
	s_waitcnt vmcnt(0) lgkmcnt(0)
	v_and_b32_e32 v8, 0xff, v113
	v_cmpx_ne_u16_e32 0, v8
	s_cbranch_execz .LBB337_146
; %bb.139:                              ;   in Loop: Header=BB337_10 Depth=1
	v_bfrev_b32_e32 v99, 1
	s_mov_b32 s19, exec_lo
	v_cmpx_ne_u16_e32 0x80, v8
	s_cbranch_execz .LBB337_145
; %bb.140:                              ;   in Loop: Header=BB337_10 Depth=1
	v_and_b32_e32 v30, 0x7f, v113
	v_mov_b32_e32 v99, 0x7fc02000
	s_mov_b32 s20, exec_lo
	s_delay_alu instid0(VALU_DEP_2)
	v_cmpx_ne_u32_e32 0x7f, v30
	s_cbranch_execz .LBB337_144
; %bb.141:                              ;   in Loop: Header=BB337_10 Depth=1
	v_and_b32_e32 v8, 7, v113
	v_lshrrev_b32_e32 v99, 3, v30
	v_cmp_gt_u32_e64 s2, 8, v30
	s_delay_alu instid0(VALU_DEP_3) | instskip(NEXT) | instid1(VALU_DEP_2)
	v_dual_mov_b32 v31, v9 :: v_dual_mov_b32 v30, v8
	s_and_saveexec_b32 s21, s2
; %bb.142:                              ;   in Loop: Header=BB337_10 Depth=1
	v_clz_i32_u32_e32 v30, v8
	s_delay_alu instid0(VALU_DEP_1) | instskip(NEXT) | instid1(VALU_DEP_1)
	v_min_u32_e32 v99, 32, v30
	v_subrev_nc_u32_e32 v30, 28, v99
	v_sub_nc_u32_e32 v99, 29, v99
	s_delay_alu instid0(VALU_DEP_2) | instskip(NEXT) | instid1(VALU_DEP_1)
	v_lshlrev_b64 v[30:31], v30, v[8:9]
	v_and_b32_e32 v30, 7, v30
; %bb.143:                              ;   in Loop: Header=BB337_10 Depth=1
	s_or_b32 exec_lo, exec_lo, s21
	v_lshlrev_b32_e32 v8, 8, v113
	v_lshl_add_u32 v31, v99, 10, 0x2000
	s_delay_alu instid0(VALU_DEP_1) | instskip(NEXT) | instid1(VALU_DEP_1)
	v_and_or_b32 v8, 0x8000, v8, v31
	v_lshl_or_b32 v8, v30, 7, v8
	s_delay_alu instid0(VALU_DEP_1)
	v_cvt_f32_f16_e32 v99, v8
.LBB337_144:                            ;   in Loop: Header=BB337_10 Depth=1
	s_or_b32 exec_lo, exec_lo, s20
.LBB337_145:                            ;   in Loop: Header=BB337_10 Depth=1
	s_delay_alu instid0(SALU_CYCLE_1)
	s_or_b32 exec_lo, exec_lo, s19
.LBB337_146:                            ;   in Loop: Header=BB337_10 Depth=1
	s_delay_alu instid0(SALU_CYCLE_1) | instskip(SKIP_3) | instid1(VALU_DEP_2)
	s_or_b32 exec_lo, exec_lo, s3
	v_lshrrev_b16 v8, 8, v113
	v_dual_mov_b32 v101, 0 :: v_dual_mov_b32 v102, 0
	s_mov_b32 s3, exec_lo
	v_cmpx_ne_u16_e32 0, v8
	s_cbranch_execz .LBB337_154
; %bb.147:                              ;   in Loop: Header=BB337_10 Depth=1
	v_bfrev_b32_e32 v102, 1
	s_mov_b32 s19, exec_lo
	v_cmpx_ne_u16_e32 0x80, v8
	s_cbranch_execz .LBB337_153
; %bb.148:                              ;   in Loop: Header=BB337_10 Depth=1
	v_and_b32_e32 v103, 0xffff, v8
	v_mov_b32_e32 v102, 0x7fc02000
	s_mov_b32 s20, exec_lo
	s_delay_alu instid0(VALU_DEP_2) | instskip(NEXT) | instid1(VALU_DEP_1)
	v_and_b32_e32 v30, 0x7f, v103
	v_cmpx_ne_u32_e32 0x7f, v30
	s_cbranch_execz .LBB337_152
; %bb.149:                              ;   in Loop: Header=BB337_10 Depth=1
	v_and_b32_e32 v8, 7, v103
	v_lshrrev_b32_e32 v102, 3, v30
	v_cmp_gt_u32_e64 s2, 8, v30
	s_delay_alu instid0(VALU_DEP_3) | instskip(NEXT) | instid1(VALU_DEP_2)
	v_dual_mov_b32 v31, v9 :: v_dual_mov_b32 v30, v8
	s_and_saveexec_b32 s21, s2
; %bb.150:                              ;   in Loop: Header=BB337_10 Depth=1
	v_clz_i32_u32_e32 v30, v8
	s_delay_alu instid0(VALU_DEP_1) | instskip(NEXT) | instid1(VALU_DEP_1)
	v_min_u32_e32 v102, 32, v30
	v_subrev_nc_u32_e32 v30, 28, v102
	v_sub_nc_u32_e32 v102, 29, v102
	s_delay_alu instid0(VALU_DEP_2) | instskip(NEXT) | instid1(VALU_DEP_1)
	v_lshlrev_b64 v[30:31], v30, v[8:9]
	v_and_b32_e32 v30, 7, v30
; %bb.151:                              ;   in Loop: Header=BB337_10 Depth=1
	s_or_b32 exec_lo, exec_lo, s21
	v_lshlrev_b32_e32 v8, 8, v103
	v_lshl_add_u32 v31, v102, 10, 0x2000
	s_delay_alu instid0(VALU_DEP_1) | instskip(NEXT) | instid1(VALU_DEP_1)
	v_and_or_b32 v8, 0x8000, v8, v31
	v_lshl_or_b32 v8, v30, 7, v8
	s_delay_alu instid0(VALU_DEP_1)
	v_cvt_f32_f16_e32 v102, v8
.LBB337_152:                            ;   in Loop: Header=BB337_10 Depth=1
	s_or_b32 exec_lo, exec_lo, s20
.LBB337_153:                            ;   in Loop: Header=BB337_10 Depth=1
	s_delay_alu instid0(SALU_CYCLE_1)
	s_or_b32 exec_lo, exec_lo, s19
.LBB337_154:                            ;   in Loop: Header=BB337_10 Depth=1
	s_delay_alu instid0(SALU_CYCLE_1) | instskip(SKIP_2) | instid1(VALU_DEP_1)
	s_or_b32 exec_lo, exec_lo, s3
	v_lshrrev_b32_e32 v103, 16, v113
	s_mov_b32 s3, exec_lo
	v_and_b32_e32 v8, 0xff, v103
	s_delay_alu instid0(VALU_DEP_1)
	v_cmpx_ne_u16_e32 0, v8
	s_cbranch_execz .LBB337_162
; %bb.155:                              ;   in Loop: Header=BB337_10 Depth=1
	v_bfrev_b32_e32 v101, 1
	s_mov_b32 s19, exec_lo
	v_cmpx_ne_u16_e32 0x80, v8
	s_cbranch_execz .LBB337_161
; %bb.156:                              ;   in Loop: Header=BB337_10 Depth=1
	v_bfe_u32 v30, v113, 16, 7
	v_mov_b32_e32 v101, 0x7fc02000
	s_mov_b32 s20, exec_lo
	s_delay_alu instid0(VALU_DEP_2)
	v_cmpx_ne_u32_e32 0x7f, v30
	s_cbranch_execz .LBB337_160
; %bb.157:                              ;   in Loop: Header=BB337_10 Depth=1
	v_and_b32_e32 v8, 7, v103
	v_lshrrev_b32_e32 v101, 3, v30
	v_cmp_gt_u32_e64 s2, 8, v30
	s_delay_alu instid0(VALU_DEP_3) | instskip(NEXT) | instid1(VALU_DEP_2)
	v_dual_mov_b32 v31, v9 :: v_dual_mov_b32 v30, v8
	s_and_saveexec_b32 s21, s2
; %bb.158:                              ;   in Loop: Header=BB337_10 Depth=1
	v_clz_i32_u32_e32 v30, v8
	s_delay_alu instid0(VALU_DEP_1) | instskip(NEXT) | instid1(VALU_DEP_1)
	v_min_u32_e32 v101, 32, v30
	v_subrev_nc_u32_e32 v30, 28, v101
	v_sub_nc_u32_e32 v101, 29, v101
	s_delay_alu instid0(VALU_DEP_2) | instskip(NEXT) | instid1(VALU_DEP_1)
	v_lshlrev_b64 v[30:31], v30, v[8:9]
	v_and_b32_e32 v30, 7, v30
; %bb.159:                              ;   in Loop: Header=BB337_10 Depth=1
	s_or_b32 exec_lo, exec_lo, s21
	v_lshlrev_b32_e32 v8, 8, v103
	v_lshl_add_u32 v31, v101, 10, 0x2000
	s_delay_alu instid0(VALU_DEP_1) | instskip(NEXT) | instid1(VALU_DEP_1)
	v_and_or_b32 v8, 0x8000, v8, v31
	v_lshl_or_b32 v8, v30, 7, v8
	s_delay_alu instid0(VALU_DEP_1)
	v_cvt_f32_f16_e32 v101, v8
.LBB337_160:                            ;   in Loop: Header=BB337_10 Depth=1
	s_or_b32 exec_lo, exec_lo, s20
.LBB337_161:                            ;   in Loop: Header=BB337_10 Depth=1
	s_delay_alu instid0(SALU_CYCLE_1)
	s_or_b32 exec_lo, exec_lo, s19
.LBB337_162:                            ;   in Loop: Header=BB337_10 Depth=1
	s_delay_alu instid0(SALU_CYCLE_1)
	s_or_b32 exec_lo, exec_lo, s3
	v_dual_mov_b32 v103, 0 :: v_dual_mov_b32 v112, 0
	s_mov_b32 s3, exec_lo
	v_cmpx_lt_u32_e32 0xffffff, v113
	s_cbranch_execz .LBB337_170
; %bb.163:                              ;   in Loop: Header=BB337_10 Depth=1
	v_lshrrev_b32_e32 v113, 24, v113
	v_bfrev_b32_e32 v112, 1
	s_mov_b32 s19, exec_lo
	s_delay_alu instid0(VALU_DEP_2)
	v_cmpx_ne_u32_e32 0x80, v113
	s_cbranch_execz .LBB337_169
; %bb.164:                              ;   in Loop: Header=BB337_10 Depth=1
	v_and_b32_e32 v30, 0x7f, v113
	v_mov_b32_e32 v112, 0x7fc02000
	s_mov_b32 s20, exec_lo
	s_delay_alu instid0(VALU_DEP_2)
	v_cmpx_ne_u32_e32 0x7f, v30
	s_cbranch_execz .LBB337_168
; %bb.165:                              ;   in Loop: Header=BB337_10 Depth=1
	v_and_b32_e32 v8, 7, v113
	v_lshrrev_b32_e32 v112, 3, v30
	v_cmp_gt_u32_e64 s2, 8, v30
	s_delay_alu instid0(VALU_DEP_3) | instskip(NEXT) | instid1(VALU_DEP_2)
	v_dual_mov_b32 v31, v9 :: v_dual_mov_b32 v30, v8
	s_and_saveexec_b32 s21, s2
; %bb.166:                              ;   in Loop: Header=BB337_10 Depth=1
	v_clz_i32_u32_e32 v30, v8
	s_delay_alu instid0(VALU_DEP_1) | instskip(NEXT) | instid1(VALU_DEP_1)
	v_min_u32_e32 v112, 32, v30
	v_subrev_nc_u32_e32 v30, 28, v112
	v_sub_nc_u32_e32 v112, 29, v112
	s_delay_alu instid0(VALU_DEP_2) | instskip(NEXT) | instid1(VALU_DEP_1)
	v_lshlrev_b64 v[30:31], v30, v[8:9]
	v_and_b32_e32 v30, 7, v30
; %bb.167:                              ;   in Loop: Header=BB337_10 Depth=1
	s_or_b32 exec_lo, exec_lo, s21
	v_lshlrev_b32_e32 v8, 8, v113
	v_lshl_add_u32 v31, v112, 10, 0x2000
	s_delay_alu instid0(VALU_DEP_1) | instskip(NEXT) | instid1(VALU_DEP_1)
	v_and_or_b32 v8, 0x8000, v8, v31
	v_lshl_or_b32 v8, v30, 7, v8
	s_delay_alu instid0(VALU_DEP_1)
	v_cvt_f32_f16_e32 v112, v8
.LBB337_168:                            ;   in Loop: Header=BB337_10 Depth=1
	s_or_b32 exec_lo, exec_lo, s20
.LBB337_169:                            ;   in Loop: Header=BB337_10 Depth=1
	s_delay_alu instid0(SALU_CYCLE_1)
	s_or_b32 exec_lo, exec_lo, s19
.LBB337_170:                            ;   in Loop: Header=BB337_10 Depth=1
	s_delay_alu instid0(SALU_CYCLE_1) | instskip(SKIP_4) | instid1(VALU_DEP_1)
	s_or_b32 exec_lo, exec_lo, s3
	flat_load_b32 v117, v[28:29] offset:520
	s_mov_b32 s3, exec_lo
	s_waitcnt vmcnt(0) lgkmcnt(0)
	v_and_b32_e32 v8, 0xff, v117
	v_cmpx_ne_u16_e32 0, v8
	s_cbranch_execz .LBB337_178
; %bb.171:                              ;   in Loop: Header=BB337_10 Depth=1
	v_bfrev_b32_e32 v103, 1
	s_mov_b32 s19, exec_lo
	v_cmpx_ne_u16_e32 0x80, v8
	s_cbranch_execz .LBB337_177
; %bb.172:                              ;   in Loop: Header=BB337_10 Depth=1
	v_and_b32_e32 v30, 0x7f, v117
	v_mov_b32_e32 v103, 0x7fc02000
	s_mov_b32 s20, exec_lo
	s_delay_alu instid0(VALU_DEP_2)
	v_cmpx_ne_u32_e32 0x7f, v30
	s_cbranch_execz .LBB337_176
; %bb.173:                              ;   in Loop: Header=BB337_10 Depth=1
	v_and_b32_e32 v8, 7, v117
	v_lshrrev_b32_e32 v103, 3, v30
	v_cmp_gt_u32_e64 s2, 8, v30
	s_delay_alu instid0(VALU_DEP_3) | instskip(NEXT) | instid1(VALU_DEP_2)
	v_dual_mov_b32 v31, v9 :: v_dual_mov_b32 v30, v8
	s_and_saveexec_b32 s21, s2
; %bb.174:                              ;   in Loop: Header=BB337_10 Depth=1
	v_clz_i32_u32_e32 v30, v8
	s_delay_alu instid0(VALU_DEP_1) | instskip(NEXT) | instid1(VALU_DEP_1)
	v_min_u32_e32 v103, 32, v30
	v_subrev_nc_u32_e32 v30, 28, v103
	v_sub_nc_u32_e32 v103, 29, v103
	s_delay_alu instid0(VALU_DEP_2) | instskip(NEXT) | instid1(VALU_DEP_1)
	v_lshlrev_b64 v[30:31], v30, v[8:9]
	v_and_b32_e32 v30, 7, v30
; %bb.175:                              ;   in Loop: Header=BB337_10 Depth=1
	s_or_b32 exec_lo, exec_lo, s21
	v_lshlrev_b32_e32 v8, 8, v117
	v_lshl_add_u32 v31, v103, 10, 0x2000
	s_delay_alu instid0(VALU_DEP_1) | instskip(NEXT) | instid1(VALU_DEP_1)
	v_and_or_b32 v8, 0x8000, v8, v31
	v_lshl_or_b32 v8, v30, 7, v8
	s_delay_alu instid0(VALU_DEP_1)
	v_cvt_f32_f16_e32 v103, v8
.LBB337_176:                            ;   in Loop: Header=BB337_10 Depth=1
	s_or_b32 exec_lo, exec_lo, s20
.LBB337_177:                            ;   in Loop: Header=BB337_10 Depth=1
	s_delay_alu instid0(SALU_CYCLE_1)
	s_or_b32 exec_lo, exec_lo, s19
.LBB337_178:                            ;   in Loop: Header=BB337_10 Depth=1
	s_delay_alu instid0(SALU_CYCLE_1) | instskip(SKIP_3) | instid1(VALU_DEP_2)
	s_or_b32 exec_lo, exec_lo, s3
	v_lshrrev_b16 v8, 8, v117
	v_dual_mov_b32 v113, 0 :: v_dual_mov_b32 v114, 0
	s_mov_b32 s3, exec_lo
	v_cmpx_ne_u16_e32 0, v8
	s_cbranch_execz .LBB337_186
; %bb.179:                              ;   in Loop: Header=BB337_10 Depth=1
	v_bfrev_b32_e32 v114, 1
	s_mov_b32 s19, exec_lo
	v_cmpx_ne_u16_e32 0x80, v8
	s_cbranch_execz .LBB337_185
; %bb.180:                              ;   in Loop: Header=BB337_10 Depth=1
	v_and_b32_e32 v115, 0xffff, v8
	v_mov_b32_e32 v114, 0x7fc02000
	s_mov_b32 s20, exec_lo
	s_delay_alu instid0(VALU_DEP_2) | instskip(NEXT) | instid1(VALU_DEP_1)
	v_and_b32_e32 v30, 0x7f, v115
	v_cmpx_ne_u32_e32 0x7f, v30
	s_cbranch_execz .LBB337_184
; %bb.181:                              ;   in Loop: Header=BB337_10 Depth=1
	v_and_b32_e32 v8, 7, v115
	v_lshrrev_b32_e32 v114, 3, v30
	v_cmp_gt_u32_e64 s2, 8, v30
	s_delay_alu instid0(VALU_DEP_3) | instskip(NEXT) | instid1(VALU_DEP_2)
	v_dual_mov_b32 v31, v9 :: v_dual_mov_b32 v30, v8
	s_and_saveexec_b32 s21, s2
; %bb.182:                              ;   in Loop: Header=BB337_10 Depth=1
	v_clz_i32_u32_e32 v30, v8
	s_delay_alu instid0(VALU_DEP_1) | instskip(NEXT) | instid1(VALU_DEP_1)
	v_min_u32_e32 v114, 32, v30
	v_subrev_nc_u32_e32 v30, 28, v114
	v_sub_nc_u32_e32 v114, 29, v114
	s_delay_alu instid0(VALU_DEP_2) | instskip(NEXT) | instid1(VALU_DEP_1)
	v_lshlrev_b64 v[30:31], v30, v[8:9]
	v_and_b32_e32 v30, 7, v30
; %bb.183:                              ;   in Loop: Header=BB337_10 Depth=1
	s_or_b32 exec_lo, exec_lo, s21
	v_lshlrev_b32_e32 v8, 8, v115
	v_lshl_add_u32 v31, v114, 10, 0x2000
	s_delay_alu instid0(VALU_DEP_1) | instskip(NEXT) | instid1(VALU_DEP_1)
	v_and_or_b32 v8, 0x8000, v8, v31
	v_lshl_or_b32 v8, v30, 7, v8
	s_delay_alu instid0(VALU_DEP_1)
	v_cvt_f32_f16_e32 v114, v8
.LBB337_184:                            ;   in Loop: Header=BB337_10 Depth=1
	s_or_b32 exec_lo, exec_lo, s20
.LBB337_185:                            ;   in Loop: Header=BB337_10 Depth=1
	s_delay_alu instid0(SALU_CYCLE_1)
	s_or_b32 exec_lo, exec_lo, s19
.LBB337_186:                            ;   in Loop: Header=BB337_10 Depth=1
	s_delay_alu instid0(SALU_CYCLE_1) | instskip(SKIP_2) | instid1(VALU_DEP_1)
	s_or_b32 exec_lo, exec_lo, s3
	v_lshrrev_b32_e32 v115, 16, v117
	s_mov_b32 s3, exec_lo
	v_and_b32_e32 v8, 0xff, v115
	s_delay_alu instid0(VALU_DEP_1)
	v_cmpx_ne_u16_e32 0, v8
	s_cbranch_execz .LBB337_194
; %bb.187:                              ;   in Loop: Header=BB337_10 Depth=1
	v_bfrev_b32_e32 v113, 1
	s_mov_b32 s19, exec_lo
	v_cmpx_ne_u16_e32 0x80, v8
	s_cbranch_execz .LBB337_193
; %bb.188:                              ;   in Loop: Header=BB337_10 Depth=1
	v_bfe_u32 v30, v117, 16, 7
	v_mov_b32_e32 v113, 0x7fc02000
	s_mov_b32 s20, exec_lo
	s_delay_alu instid0(VALU_DEP_2)
	v_cmpx_ne_u32_e32 0x7f, v30
	s_cbranch_execz .LBB337_192
; %bb.189:                              ;   in Loop: Header=BB337_10 Depth=1
	v_and_b32_e32 v8, 7, v115
	v_lshrrev_b32_e32 v113, 3, v30
	v_cmp_gt_u32_e64 s2, 8, v30
	s_delay_alu instid0(VALU_DEP_3) | instskip(NEXT) | instid1(VALU_DEP_2)
	v_dual_mov_b32 v31, v9 :: v_dual_mov_b32 v30, v8
	s_and_saveexec_b32 s21, s2
; %bb.190:                              ;   in Loop: Header=BB337_10 Depth=1
	v_clz_i32_u32_e32 v30, v8
	s_delay_alu instid0(VALU_DEP_1) | instskip(NEXT) | instid1(VALU_DEP_1)
	v_min_u32_e32 v113, 32, v30
	v_subrev_nc_u32_e32 v30, 28, v113
	v_sub_nc_u32_e32 v113, 29, v113
	s_delay_alu instid0(VALU_DEP_2) | instskip(NEXT) | instid1(VALU_DEP_1)
	v_lshlrev_b64 v[30:31], v30, v[8:9]
	v_and_b32_e32 v30, 7, v30
; %bb.191:                              ;   in Loop: Header=BB337_10 Depth=1
	s_or_b32 exec_lo, exec_lo, s21
	v_lshlrev_b32_e32 v8, 8, v115
	v_lshl_add_u32 v31, v113, 10, 0x2000
	s_delay_alu instid0(VALU_DEP_1) | instskip(NEXT) | instid1(VALU_DEP_1)
	v_and_or_b32 v8, 0x8000, v8, v31
	v_lshl_or_b32 v8, v30, 7, v8
	s_delay_alu instid0(VALU_DEP_1)
	v_cvt_f32_f16_e32 v113, v8
.LBB337_192:                            ;   in Loop: Header=BB337_10 Depth=1
	s_or_b32 exec_lo, exec_lo, s20
.LBB337_193:                            ;   in Loop: Header=BB337_10 Depth=1
	s_delay_alu instid0(SALU_CYCLE_1)
	s_or_b32 exec_lo, exec_lo, s19
.LBB337_194:                            ;   in Loop: Header=BB337_10 Depth=1
	s_delay_alu instid0(SALU_CYCLE_1)
	s_or_b32 exec_lo, exec_lo, s3
	v_dual_mov_b32 v115, 0 :: v_dual_mov_b32 v116, 0
	s_mov_b32 s3, exec_lo
	v_cmpx_lt_u32_e32 0xffffff, v117
	s_cbranch_execz .LBB337_202
; %bb.195:                              ;   in Loop: Header=BB337_10 Depth=1
	v_lshrrev_b32_e32 v117, 24, v117
	v_bfrev_b32_e32 v116, 1
	s_mov_b32 s19, exec_lo
	s_delay_alu instid0(VALU_DEP_2)
	v_cmpx_ne_u32_e32 0x80, v117
	s_cbranch_execz .LBB337_201
; %bb.196:                              ;   in Loop: Header=BB337_10 Depth=1
	v_and_b32_e32 v30, 0x7f, v117
	v_mov_b32_e32 v116, 0x7fc02000
	s_mov_b32 s20, exec_lo
	s_delay_alu instid0(VALU_DEP_2)
	v_cmpx_ne_u32_e32 0x7f, v30
	s_cbranch_execz .LBB337_200
; %bb.197:                              ;   in Loop: Header=BB337_10 Depth=1
	v_and_b32_e32 v8, 7, v117
	v_lshrrev_b32_e32 v116, 3, v30
	v_cmp_gt_u32_e64 s2, 8, v30
	s_delay_alu instid0(VALU_DEP_3) | instskip(NEXT) | instid1(VALU_DEP_2)
	v_dual_mov_b32 v31, v9 :: v_dual_mov_b32 v30, v8
	s_and_saveexec_b32 s21, s2
; %bb.198:                              ;   in Loop: Header=BB337_10 Depth=1
	v_clz_i32_u32_e32 v30, v8
	s_delay_alu instid0(VALU_DEP_1) | instskip(NEXT) | instid1(VALU_DEP_1)
	v_min_u32_e32 v116, 32, v30
	v_subrev_nc_u32_e32 v30, 28, v116
	v_sub_nc_u32_e32 v116, 29, v116
	s_delay_alu instid0(VALU_DEP_2) | instskip(NEXT) | instid1(VALU_DEP_1)
	v_lshlrev_b64 v[30:31], v30, v[8:9]
	v_and_b32_e32 v30, 7, v30
; %bb.199:                              ;   in Loop: Header=BB337_10 Depth=1
	s_or_b32 exec_lo, exec_lo, s21
	v_lshlrev_b32_e32 v8, 8, v117
	v_lshl_add_u32 v31, v116, 10, 0x2000
	s_delay_alu instid0(VALU_DEP_1) | instskip(NEXT) | instid1(VALU_DEP_1)
	v_and_or_b32 v8, 0x8000, v8, v31
	v_lshl_or_b32 v8, v30, 7, v8
	s_delay_alu instid0(VALU_DEP_1)
	v_cvt_f32_f16_e32 v116, v8
.LBB337_200:                            ;   in Loop: Header=BB337_10 Depth=1
	s_or_b32 exec_lo, exec_lo, s20
.LBB337_201:                            ;   in Loop: Header=BB337_10 Depth=1
	s_delay_alu instid0(SALU_CYCLE_1)
	s_or_b32 exec_lo, exec_lo, s19
.LBB337_202:                            ;   in Loop: Header=BB337_10 Depth=1
	s_delay_alu instid0(SALU_CYCLE_1) | instskip(SKIP_4) | instid1(VALU_DEP_1)
	s_or_b32 exec_lo, exec_lo, s3
	flat_load_b32 v129, v[28:29] offset:768
	s_mov_b32 s3, exec_lo
	s_waitcnt vmcnt(0) lgkmcnt(0)
	v_and_b32_e32 v8, 0xff, v129
	v_cmpx_ne_u16_e32 0, v8
	s_cbranch_execz .LBB337_210
; %bb.203:                              ;   in Loop: Header=BB337_10 Depth=1
	v_bfrev_b32_e32 v115, 1
	s_mov_b32 s19, exec_lo
	v_cmpx_ne_u16_e32 0x80, v8
	s_cbranch_execz .LBB337_209
; %bb.204:                              ;   in Loop: Header=BB337_10 Depth=1
	v_and_b32_e32 v30, 0x7f, v129
	v_mov_b32_e32 v115, 0x7fc02000
	s_mov_b32 s20, exec_lo
	s_delay_alu instid0(VALU_DEP_2)
	v_cmpx_ne_u32_e32 0x7f, v30
	s_cbranch_execz .LBB337_208
; %bb.205:                              ;   in Loop: Header=BB337_10 Depth=1
	v_and_b32_e32 v8, 7, v129
	v_lshrrev_b32_e32 v115, 3, v30
	v_cmp_gt_u32_e64 s2, 8, v30
	s_delay_alu instid0(VALU_DEP_3) | instskip(NEXT) | instid1(VALU_DEP_2)
	v_dual_mov_b32 v31, v9 :: v_dual_mov_b32 v30, v8
	s_and_saveexec_b32 s21, s2
; %bb.206:                              ;   in Loop: Header=BB337_10 Depth=1
	v_clz_i32_u32_e32 v30, v8
	s_delay_alu instid0(VALU_DEP_1) | instskip(NEXT) | instid1(VALU_DEP_1)
	v_min_u32_e32 v115, 32, v30
	v_subrev_nc_u32_e32 v30, 28, v115
	v_sub_nc_u32_e32 v115, 29, v115
	s_delay_alu instid0(VALU_DEP_2) | instskip(NEXT) | instid1(VALU_DEP_1)
	v_lshlrev_b64 v[30:31], v30, v[8:9]
	v_and_b32_e32 v30, 7, v30
; %bb.207:                              ;   in Loop: Header=BB337_10 Depth=1
	s_or_b32 exec_lo, exec_lo, s21
	v_lshlrev_b32_e32 v8, 8, v129
	v_lshl_add_u32 v31, v115, 10, 0x2000
	s_delay_alu instid0(VALU_DEP_1) | instskip(NEXT) | instid1(VALU_DEP_1)
	v_and_or_b32 v8, 0x8000, v8, v31
	v_lshl_or_b32 v8, v30, 7, v8
	s_delay_alu instid0(VALU_DEP_1)
	v_cvt_f32_f16_e32 v115, v8
.LBB337_208:                            ;   in Loop: Header=BB337_10 Depth=1
	s_or_b32 exec_lo, exec_lo, s20
.LBB337_209:                            ;   in Loop: Header=BB337_10 Depth=1
	s_delay_alu instid0(SALU_CYCLE_1)
	s_or_b32 exec_lo, exec_lo, s19
.LBB337_210:                            ;   in Loop: Header=BB337_10 Depth=1
	s_delay_alu instid0(SALU_CYCLE_1) | instskip(SKIP_3) | instid1(VALU_DEP_2)
	s_or_b32 exec_lo, exec_lo, s3
	v_lshrrev_b16 v8, 8, v129
	v_dual_mov_b32 v117, 0 :: v_dual_mov_b32 v118, 0
	s_mov_b32 s3, exec_lo
	v_cmpx_ne_u16_e32 0, v8
	s_cbranch_execz .LBB337_218
; %bb.211:                              ;   in Loop: Header=BB337_10 Depth=1
	v_bfrev_b32_e32 v118, 1
	s_mov_b32 s19, exec_lo
	v_cmpx_ne_u16_e32 0x80, v8
	s_cbranch_execz .LBB337_217
; %bb.212:                              ;   in Loop: Header=BB337_10 Depth=1
	v_and_b32_e32 v119, 0xffff, v8
	v_mov_b32_e32 v118, 0x7fc02000
	s_mov_b32 s20, exec_lo
	s_delay_alu instid0(VALU_DEP_2) | instskip(NEXT) | instid1(VALU_DEP_1)
	v_and_b32_e32 v30, 0x7f, v119
	v_cmpx_ne_u32_e32 0x7f, v30
	s_cbranch_execz .LBB337_216
; %bb.213:                              ;   in Loop: Header=BB337_10 Depth=1
	v_and_b32_e32 v8, 7, v119
	v_lshrrev_b32_e32 v118, 3, v30
	v_cmp_gt_u32_e64 s2, 8, v30
	s_delay_alu instid0(VALU_DEP_3) | instskip(NEXT) | instid1(VALU_DEP_2)
	v_dual_mov_b32 v31, v9 :: v_dual_mov_b32 v30, v8
	s_and_saveexec_b32 s21, s2
; %bb.214:                              ;   in Loop: Header=BB337_10 Depth=1
	v_clz_i32_u32_e32 v30, v8
	s_delay_alu instid0(VALU_DEP_1) | instskip(NEXT) | instid1(VALU_DEP_1)
	v_min_u32_e32 v118, 32, v30
	v_subrev_nc_u32_e32 v30, 28, v118
	v_sub_nc_u32_e32 v118, 29, v118
	s_delay_alu instid0(VALU_DEP_2) | instskip(NEXT) | instid1(VALU_DEP_1)
	v_lshlrev_b64 v[30:31], v30, v[8:9]
	v_and_b32_e32 v30, 7, v30
; %bb.215:                              ;   in Loop: Header=BB337_10 Depth=1
	s_or_b32 exec_lo, exec_lo, s21
	v_lshlrev_b32_e32 v8, 8, v119
	v_lshl_add_u32 v31, v118, 10, 0x2000
	s_delay_alu instid0(VALU_DEP_1) | instskip(NEXT) | instid1(VALU_DEP_1)
	v_and_or_b32 v8, 0x8000, v8, v31
	v_lshl_or_b32 v8, v30, 7, v8
	s_delay_alu instid0(VALU_DEP_1)
	v_cvt_f32_f16_e32 v118, v8
.LBB337_216:                            ;   in Loop: Header=BB337_10 Depth=1
	s_or_b32 exec_lo, exec_lo, s20
.LBB337_217:                            ;   in Loop: Header=BB337_10 Depth=1
	s_delay_alu instid0(SALU_CYCLE_1)
	s_or_b32 exec_lo, exec_lo, s19
.LBB337_218:                            ;   in Loop: Header=BB337_10 Depth=1
	s_delay_alu instid0(SALU_CYCLE_1) | instskip(SKIP_2) | instid1(VALU_DEP_1)
	s_or_b32 exec_lo, exec_lo, s3
	v_lshrrev_b32_e32 v119, 16, v129
	s_mov_b32 s3, exec_lo
	v_and_b32_e32 v8, 0xff, v119
	s_delay_alu instid0(VALU_DEP_1)
	v_cmpx_ne_u16_e32 0, v8
	s_cbranch_execz .LBB337_226
; %bb.219:                              ;   in Loop: Header=BB337_10 Depth=1
	v_bfrev_b32_e32 v117, 1
	s_mov_b32 s19, exec_lo
	v_cmpx_ne_u16_e32 0x80, v8
	s_cbranch_execz .LBB337_225
; %bb.220:                              ;   in Loop: Header=BB337_10 Depth=1
	v_bfe_u32 v30, v129, 16, 7
	v_mov_b32_e32 v117, 0x7fc02000
	s_mov_b32 s20, exec_lo
	s_delay_alu instid0(VALU_DEP_2)
	v_cmpx_ne_u32_e32 0x7f, v30
	s_cbranch_execz .LBB337_224
; %bb.221:                              ;   in Loop: Header=BB337_10 Depth=1
	v_and_b32_e32 v8, 7, v119
	v_lshrrev_b32_e32 v117, 3, v30
	v_cmp_gt_u32_e64 s2, 8, v30
	s_delay_alu instid0(VALU_DEP_3) | instskip(NEXT) | instid1(VALU_DEP_2)
	v_dual_mov_b32 v31, v9 :: v_dual_mov_b32 v30, v8
	s_and_saveexec_b32 s21, s2
; %bb.222:                              ;   in Loop: Header=BB337_10 Depth=1
	v_clz_i32_u32_e32 v30, v8
	s_delay_alu instid0(VALU_DEP_1) | instskip(NEXT) | instid1(VALU_DEP_1)
	v_min_u32_e32 v117, 32, v30
	v_subrev_nc_u32_e32 v30, 28, v117
	v_sub_nc_u32_e32 v117, 29, v117
	s_delay_alu instid0(VALU_DEP_2) | instskip(NEXT) | instid1(VALU_DEP_1)
	v_lshlrev_b64 v[30:31], v30, v[8:9]
	v_and_b32_e32 v30, 7, v30
; %bb.223:                              ;   in Loop: Header=BB337_10 Depth=1
	s_or_b32 exec_lo, exec_lo, s21
	v_lshlrev_b32_e32 v8, 8, v119
	v_lshl_add_u32 v31, v117, 10, 0x2000
	s_delay_alu instid0(VALU_DEP_1) | instskip(NEXT) | instid1(VALU_DEP_1)
	v_and_or_b32 v8, 0x8000, v8, v31
	v_lshl_or_b32 v8, v30, 7, v8
	s_delay_alu instid0(VALU_DEP_1)
	v_cvt_f32_f16_e32 v117, v8
.LBB337_224:                            ;   in Loop: Header=BB337_10 Depth=1
	s_or_b32 exec_lo, exec_lo, s20
.LBB337_225:                            ;   in Loop: Header=BB337_10 Depth=1
	s_delay_alu instid0(SALU_CYCLE_1)
	s_or_b32 exec_lo, exec_lo, s19
.LBB337_226:                            ;   in Loop: Header=BB337_10 Depth=1
	s_delay_alu instid0(SALU_CYCLE_1)
	s_or_b32 exec_lo, exec_lo, s3
	v_dual_mov_b32 v119, 0 :: v_dual_mov_b32 v128, 0
	s_mov_b32 s3, exec_lo
	v_cmpx_lt_u32_e32 0xffffff, v129
	s_cbranch_execz .LBB337_234
; %bb.227:                              ;   in Loop: Header=BB337_10 Depth=1
	v_lshrrev_b32_e32 v129, 24, v129
	v_bfrev_b32_e32 v128, 1
	s_mov_b32 s19, exec_lo
	s_delay_alu instid0(VALU_DEP_2)
	v_cmpx_ne_u32_e32 0x80, v129
	s_cbranch_execz .LBB337_233
; %bb.228:                              ;   in Loop: Header=BB337_10 Depth=1
	v_and_b32_e32 v30, 0x7f, v129
	v_mov_b32_e32 v128, 0x7fc02000
	s_mov_b32 s20, exec_lo
	s_delay_alu instid0(VALU_DEP_2)
	v_cmpx_ne_u32_e32 0x7f, v30
	s_cbranch_execz .LBB337_232
; %bb.229:                              ;   in Loop: Header=BB337_10 Depth=1
	v_and_b32_e32 v8, 7, v129
	v_lshrrev_b32_e32 v128, 3, v30
	v_cmp_gt_u32_e64 s2, 8, v30
	s_delay_alu instid0(VALU_DEP_3) | instskip(NEXT) | instid1(VALU_DEP_2)
	v_dual_mov_b32 v31, v9 :: v_dual_mov_b32 v30, v8
	s_and_saveexec_b32 s21, s2
; %bb.230:                              ;   in Loop: Header=BB337_10 Depth=1
	v_clz_i32_u32_e32 v30, v8
	s_delay_alu instid0(VALU_DEP_1) | instskip(NEXT) | instid1(VALU_DEP_1)
	v_min_u32_e32 v128, 32, v30
	v_subrev_nc_u32_e32 v30, 28, v128
	v_sub_nc_u32_e32 v128, 29, v128
	s_delay_alu instid0(VALU_DEP_2) | instskip(NEXT) | instid1(VALU_DEP_1)
	v_lshlrev_b64 v[30:31], v30, v[8:9]
	v_and_b32_e32 v30, 7, v30
; %bb.231:                              ;   in Loop: Header=BB337_10 Depth=1
	s_or_b32 exec_lo, exec_lo, s21
	v_lshlrev_b32_e32 v8, 8, v129
	v_lshl_add_u32 v31, v128, 10, 0x2000
	s_delay_alu instid0(VALU_DEP_1) | instskip(NEXT) | instid1(VALU_DEP_1)
	v_and_or_b32 v8, 0x8000, v8, v31
	v_lshl_or_b32 v8, v30, 7, v8
	s_delay_alu instid0(VALU_DEP_1)
	v_cvt_f32_f16_e64 v128, v8
.LBB337_232:                            ;   in Loop: Header=BB337_10 Depth=1
	s_or_b32 exec_lo, exec_lo, s20
.LBB337_233:                            ;   in Loop: Header=BB337_10 Depth=1
	s_delay_alu instid0(SALU_CYCLE_1)
	s_or_b32 exec_lo, exec_lo, s19
.LBB337_234:                            ;   in Loop: Header=BB337_10 Depth=1
	s_delay_alu instid0(SALU_CYCLE_1) | instskip(SKIP_4) | instid1(VALU_DEP_1)
	s_or_b32 exec_lo, exec_lo, s3
	flat_load_b32 v133, v[28:29] offset:776
	s_mov_b32 s3, exec_lo
	s_waitcnt vmcnt(0) lgkmcnt(0)
	v_and_b32_e32 v8, 0xff, v133
	v_cmpx_ne_u16_e32 0, v8
	s_cbranch_execz .LBB337_242
; %bb.235:                              ;   in Loop: Header=BB337_10 Depth=1
	v_bfrev_b32_e32 v119, 1
	s_mov_b32 s19, exec_lo
	v_cmpx_ne_u16_e32 0x80, v8
	s_cbranch_execz .LBB337_241
; %bb.236:                              ;   in Loop: Header=BB337_10 Depth=1
	v_and_b32_e32 v30, 0x7f, v133
	v_mov_b32_e32 v119, 0x7fc02000
	s_mov_b32 s20, exec_lo
	s_delay_alu instid0(VALU_DEP_2)
	v_cmpx_ne_u32_e32 0x7f, v30
	s_cbranch_execz .LBB337_240
; %bb.237:                              ;   in Loop: Header=BB337_10 Depth=1
	v_and_b32_e32 v8, 7, v133
	v_lshrrev_b32_e32 v119, 3, v30
	v_cmp_gt_u32_e64 s2, 8, v30
	s_delay_alu instid0(VALU_DEP_3) | instskip(NEXT) | instid1(VALU_DEP_2)
	v_dual_mov_b32 v31, v9 :: v_dual_mov_b32 v30, v8
	s_and_saveexec_b32 s21, s2
; %bb.238:                              ;   in Loop: Header=BB337_10 Depth=1
	v_clz_i32_u32_e32 v30, v8
	s_delay_alu instid0(VALU_DEP_1) | instskip(NEXT) | instid1(VALU_DEP_1)
	v_min_u32_e32 v119, 32, v30
	v_subrev_nc_u32_e32 v30, 28, v119
	v_sub_nc_u32_e32 v119, 29, v119
	s_delay_alu instid0(VALU_DEP_2) | instskip(NEXT) | instid1(VALU_DEP_1)
	v_lshlrev_b64 v[30:31], v30, v[8:9]
	v_and_b32_e32 v30, 7, v30
; %bb.239:                              ;   in Loop: Header=BB337_10 Depth=1
	s_or_b32 exec_lo, exec_lo, s21
	v_lshlrev_b32_e32 v8, 8, v133
	v_lshl_add_u32 v31, v119, 10, 0x2000
	s_delay_alu instid0(VALU_DEP_1) | instskip(NEXT) | instid1(VALU_DEP_1)
	v_and_or_b32 v8, 0x8000, v8, v31
	v_lshl_or_b32 v8, v30, 7, v8
	s_delay_alu instid0(VALU_DEP_1)
	v_cvt_f32_f16_e32 v119, v8
.LBB337_240:                            ;   in Loop: Header=BB337_10 Depth=1
	s_or_b32 exec_lo, exec_lo, s20
.LBB337_241:                            ;   in Loop: Header=BB337_10 Depth=1
	s_delay_alu instid0(SALU_CYCLE_1)
	s_or_b32 exec_lo, exec_lo, s19
.LBB337_242:                            ;   in Loop: Header=BB337_10 Depth=1
	s_delay_alu instid0(SALU_CYCLE_1) | instskip(SKIP_3) | instid1(VALU_DEP_2)
	s_or_b32 exec_lo, exec_lo, s3
	v_lshrrev_b16 v8, 8, v133
	v_dual_mov_b32 v129, 0 :: v_dual_mov_b32 v130, 0
	s_mov_b32 s3, exec_lo
	v_cmpx_ne_u16_e32 0, v8
	s_cbranch_execz .LBB337_250
; %bb.243:                              ;   in Loop: Header=BB337_10 Depth=1
	v_bfrev_b32_e32 v130, 1
	s_mov_b32 s19, exec_lo
	v_cmpx_ne_u16_e32 0x80, v8
	s_cbranch_execz .LBB337_249
; %bb.244:                              ;   in Loop: Header=BB337_10 Depth=1
	v_and_b32_e32 v131, 0xffff, v8
	v_mov_b32_e32 v130, 0x7fc02000
	s_mov_b32 s20, exec_lo
	s_delay_alu instid0(VALU_DEP_2) | instskip(NEXT) | instid1(VALU_DEP_1)
	v_and_b32_e32 v30, 0x7f, v131
	v_cmpx_ne_u32_e32 0x7f, v30
	s_cbranch_execz .LBB337_248
; %bb.245:                              ;   in Loop: Header=BB337_10 Depth=1
	v_and_b32_e32 v8, 7, v131
	v_lshrrev_b32_e32 v130, 3, v30
	v_cmp_gt_u32_e64 s2, 8, v30
	s_delay_alu instid0(VALU_DEP_3) | instskip(NEXT) | instid1(VALU_DEP_2)
	v_dual_mov_b32 v31, v9 :: v_dual_mov_b32 v30, v8
	s_and_saveexec_b32 s21, s2
; %bb.246:                              ;   in Loop: Header=BB337_10 Depth=1
	v_clz_i32_u32_e32 v30, v8
	s_delay_alu instid0(VALU_DEP_1) | instskip(NEXT) | instid1(VALU_DEP_1)
	v_min_u32_e32 v130, 32, v30
	v_subrev_nc_u32_e32 v30, 28, v130
	v_sub_nc_u32_e32 v130, 29, v130
	s_delay_alu instid0(VALU_DEP_2) | instskip(NEXT) | instid1(VALU_DEP_1)
	v_lshlrev_b64 v[30:31], v30, v[8:9]
	v_and_b32_e32 v30, 7, v30
; %bb.247:                              ;   in Loop: Header=BB337_10 Depth=1
	s_or_b32 exec_lo, exec_lo, s21
	v_lshlrev_b32_e32 v8, 8, v131
	v_lshl_add_u32 v31, v130, 10, 0x2000
	s_delay_alu instid0(VALU_DEP_1) | instskip(NEXT) | instid1(VALU_DEP_1)
	v_and_or_b32 v8, 0x8000, v8, v31
	v_lshl_or_b32 v8, v30, 7, v8
	s_delay_alu instid0(VALU_DEP_1)
	v_cvt_f32_f16_e64 v130, v8
.LBB337_248:                            ;   in Loop: Header=BB337_10 Depth=1
	s_or_b32 exec_lo, exec_lo, s20
.LBB337_249:                            ;   in Loop: Header=BB337_10 Depth=1
	s_delay_alu instid0(SALU_CYCLE_1)
	s_or_b32 exec_lo, exec_lo, s19
.LBB337_250:                            ;   in Loop: Header=BB337_10 Depth=1
	s_delay_alu instid0(SALU_CYCLE_1) | instskip(SKIP_2) | instid1(VALU_DEP_1)
	s_or_b32 exec_lo, exec_lo, s3
	v_lshrrev_b32_e32 v131, 16, v133
	s_mov_b32 s3, exec_lo
	v_and_b32_e32 v8, 0xff, v131
	s_delay_alu instid0(VALU_DEP_1)
	v_cmpx_ne_u16_e32 0, v8
	s_cbranch_execz .LBB337_258
; %bb.251:                              ;   in Loop: Header=BB337_10 Depth=1
	v_bfrev_b32_e32 v129, 1
	s_mov_b32 s19, exec_lo
	v_cmpx_ne_u16_e32 0x80, v8
	s_cbranch_execz .LBB337_257
; %bb.252:                              ;   in Loop: Header=BB337_10 Depth=1
	v_bfe_u32 v30, v133, 16, 7
	v_mov_b32_e32 v129, 0x7fc02000
	s_mov_b32 s20, exec_lo
	s_delay_alu instid0(VALU_DEP_2)
	v_cmpx_ne_u32_e32 0x7f, v30
	s_cbranch_execz .LBB337_256
; %bb.253:                              ;   in Loop: Header=BB337_10 Depth=1
	v_and_b32_e32 v8, 7, v131
	v_lshrrev_b32_e32 v129, 3, v30
	v_cmp_gt_u32_e64 s2, 8, v30
	s_delay_alu instid0(VALU_DEP_3) | instskip(NEXT) | instid1(VALU_DEP_2)
	v_dual_mov_b32 v31, v9 :: v_dual_mov_b32 v30, v8
	s_and_saveexec_b32 s21, s2
; %bb.254:                              ;   in Loop: Header=BB337_10 Depth=1
	v_clz_i32_u32_e32 v30, v8
	s_delay_alu instid0(VALU_DEP_1) | instskip(NEXT) | instid1(VALU_DEP_1)
	v_min_u32_e32 v129, 32, v30
	v_subrev_nc_u32_e32 v30, 28, v129
	v_sub_nc_u32_e32 v129, 29, v129
	s_delay_alu instid0(VALU_DEP_2) | instskip(NEXT) | instid1(VALU_DEP_1)
	v_lshlrev_b64 v[30:31], v30, v[8:9]
	v_and_b32_e32 v30, 7, v30
; %bb.255:                              ;   in Loop: Header=BB337_10 Depth=1
	s_or_b32 exec_lo, exec_lo, s21
	v_lshlrev_b32_e32 v8, 8, v131
	v_lshl_add_u32 v31, v129, 10, 0x2000
	s_delay_alu instid0(VALU_DEP_1) | instskip(NEXT) | instid1(VALU_DEP_1)
	v_and_or_b32 v8, 0x8000, v8, v31
	v_lshl_or_b32 v8, v30, 7, v8
	s_delay_alu instid0(VALU_DEP_1)
	v_cvt_f32_f16_e64 v129, v8
.LBB337_256:                            ;   in Loop: Header=BB337_10 Depth=1
	s_or_b32 exec_lo, exec_lo, s20
.LBB337_257:                            ;   in Loop: Header=BB337_10 Depth=1
	s_delay_alu instid0(SALU_CYCLE_1)
	s_or_b32 exec_lo, exec_lo, s19
.LBB337_258:                            ;   in Loop: Header=BB337_10 Depth=1
	s_delay_alu instid0(SALU_CYCLE_1)
	s_or_b32 exec_lo, exec_lo, s3
	v_dual_mov_b32 v131, 0 :: v_dual_mov_b32 v132, 0
	s_mov_b32 s3, exec_lo
	v_cmpx_lt_u32_e32 0xffffff, v133
	s_cbranch_execz .LBB337_266
; %bb.259:                              ;   in Loop: Header=BB337_10 Depth=1
	v_lshrrev_b32_e32 v133, 24, v133
	v_bfrev_b32_e32 v132, 1
	s_mov_b32 s19, exec_lo
	s_delay_alu instid0(VALU_DEP_2)
	v_cmpx_ne_u32_e32 0x80, v133
	s_cbranch_execz .LBB337_265
; %bb.260:                              ;   in Loop: Header=BB337_10 Depth=1
	v_and_b32_e32 v30, 0x7f, v133
	v_mov_b32_e32 v132, 0x7fc02000
	s_mov_b32 s20, exec_lo
	s_delay_alu instid0(VALU_DEP_2)
	v_cmpx_ne_u32_e32 0x7f, v30
	s_cbranch_execz .LBB337_264
; %bb.261:                              ;   in Loop: Header=BB337_10 Depth=1
	v_and_b32_e32 v8, 7, v133
	v_lshrrev_b32_e32 v132, 3, v30
	v_cmp_gt_u32_e64 s2, 8, v30
	s_delay_alu instid0(VALU_DEP_3) | instskip(NEXT) | instid1(VALU_DEP_2)
	v_dual_mov_b32 v31, v9 :: v_dual_mov_b32 v30, v8
	s_and_saveexec_b32 s21, s2
; %bb.262:                              ;   in Loop: Header=BB337_10 Depth=1
	v_clz_i32_u32_e32 v30, v8
	s_delay_alu instid0(VALU_DEP_1) | instskip(NEXT) | instid1(VALU_DEP_1)
	v_min_u32_e32 v132, 32, v30
	v_subrev_nc_u32_e32 v30, 28, v132
	v_sub_nc_u32_e32 v132, 29, v132
	s_delay_alu instid0(VALU_DEP_2) | instskip(NEXT) | instid1(VALU_DEP_1)
	v_lshlrev_b64 v[30:31], v30, v[8:9]
	v_and_b32_e32 v30, 7, v30
; %bb.263:                              ;   in Loop: Header=BB337_10 Depth=1
	s_or_b32 exec_lo, exec_lo, s21
	v_lshlrev_b32_e32 v8, 8, v133
	v_lshl_add_u32 v31, v132, 10, 0x2000
	s_delay_alu instid0(VALU_DEP_1) | instskip(NEXT) | instid1(VALU_DEP_1)
	v_and_or_b32 v8, 0x8000, v8, v31
	v_lshl_or_b32 v8, v30, 7, v8
	s_delay_alu instid0(VALU_DEP_1)
	v_cvt_f32_f16_e64 v132, v8
.LBB337_264:                            ;   in Loop: Header=BB337_10 Depth=1
	s_or_b32 exec_lo, exec_lo, s20
.LBB337_265:                            ;   in Loop: Header=BB337_10 Depth=1
	s_delay_alu instid0(SALU_CYCLE_1)
	s_or_b32 exec_lo, exec_lo, s19
.LBB337_266:                            ;   in Loop: Header=BB337_10 Depth=1
	s_delay_alu instid0(SALU_CYCLE_1) | instskip(SKIP_4) | instid1(VALU_DEP_1)
	s_or_b32 exec_lo, exec_lo, s3
	flat_load_b32 v145, v[28:29] offset:1024
	s_mov_b32 s3, exec_lo
	s_waitcnt vmcnt(0) lgkmcnt(0)
	v_and_b32_e32 v8, 0xff, v145
	v_cmpx_ne_u16_e32 0, v8
	s_cbranch_execz .LBB337_274
; %bb.267:                              ;   in Loop: Header=BB337_10 Depth=1
	v_bfrev_b32_e32 v131, 1
	s_mov_b32 s19, exec_lo
	v_cmpx_ne_u16_e32 0x80, v8
	s_cbranch_execz .LBB337_273
; %bb.268:                              ;   in Loop: Header=BB337_10 Depth=1
	v_and_b32_e32 v30, 0x7f, v145
	v_mov_b32_e32 v131, 0x7fc02000
	s_mov_b32 s20, exec_lo
	s_delay_alu instid0(VALU_DEP_2)
	v_cmpx_ne_u32_e32 0x7f, v30
	s_cbranch_execz .LBB337_272
; %bb.269:                              ;   in Loop: Header=BB337_10 Depth=1
	v_and_b32_e32 v8, 7, v145
	v_lshrrev_b32_e32 v131, 3, v30
	v_cmp_gt_u32_e64 s2, 8, v30
	s_delay_alu instid0(VALU_DEP_3) | instskip(NEXT) | instid1(VALU_DEP_2)
	v_dual_mov_b32 v31, v9 :: v_dual_mov_b32 v30, v8
	s_and_saveexec_b32 s21, s2
; %bb.270:                              ;   in Loop: Header=BB337_10 Depth=1
	v_clz_i32_u32_e32 v30, v8
	s_delay_alu instid0(VALU_DEP_1) | instskip(NEXT) | instid1(VALU_DEP_1)
	v_min_u32_e32 v131, 32, v30
	v_subrev_nc_u32_e32 v30, 28, v131
	v_sub_nc_u32_e32 v131, 29, v131
	s_delay_alu instid0(VALU_DEP_2) | instskip(NEXT) | instid1(VALU_DEP_1)
	v_lshlrev_b64 v[30:31], v30, v[8:9]
	v_and_b32_e32 v30, 7, v30
; %bb.271:                              ;   in Loop: Header=BB337_10 Depth=1
	s_or_b32 exec_lo, exec_lo, s21
	v_lshlrev_b32_e32 v8, 8, v145
	v_lshl_add_u32 v31, v131, 10, 0x2000
	s_delay_alu instid0(VALU_DEP_1) | instskip(NEXT) | instid1(VALU_DEP_1)
	v_and_or_b32 v8, 0x8000, v8, v31
	v_lshl_or_b32 v8, v30, 7, v8
	s_delay_alu instid0(VALU_DEP_1)
	v_cvt_f32_f16_e64 v131, v8
.LBB337_272:                            ;   in Loop: Header=BB337_10 Depth=1
	s_or_b32 exec_lo, exec_lo, s20
.LBB337_273:                            ;   in Loop: Header=BB337_10 Depth=1
	s_delay_alu instid0(SALU_CYCLE_1)
	s_or_b32 exec_lo, exec_lo, s19
.LBB337_274:                            ;   in Loop: Header=BB337_10 Depth=1
	s_delay_alu instid0(SALU_CYCLE_1) | instskip(SKIP_3) | instid1(VALU_DEP_2)
	s_or_b32 exec_lo, exec_lo, s3
	v_lshrrev_b16 v8, 8, v145
	v_dual_mov_b32 v133, 0 :: v_dual_mov_b32 v134, 0
	s_mov_b32 s3, exec_lo
	v_cmpx_ne_u16_e32 0, v8
	s_cbranch_execz .LBB337_282
; %bb.275:                              ;   in Loop: Header=BB337_10 Depth=1
	v_bfrev_b32_e32 v134, 1
	s_mov_b32 s19, exec_lo
	v_cmpx_ne_u16_e32 0x80, v8
	s_cbranch_execz .LBB337_281
; %bb.276:                              ;   in Loop: Header=BB337_10 Depth=1
	v_and_b32_e32 v135, 0xffff, v8
	v_mov_b32_e32 v134, 0x7fc02000
	s_mov_b32 s20, exec_lo
	s_delay_alu instid0(VALU_DEP_2) | instskip(NEXT) | instid1(VALU_DEP_1)
	v_and_b32_e32 v30, 0x7f, v135
	v_cmpx_ne_u32_e32 0x7f, v30
	s_cbranch_execz .LBB337_280
; %bb.277:                              ;   in Loop: Header=BB337_10 Depth=1
	v_and_b32_e32 v8, 7, v135
	v_lshrrev_b32_e32 v134, 3, v30
	v_cmp_gt_u32_e64 s2, 8, v30
	s_delay_alu instid0(VALU_DEP_3) | instskip(NEXT) | instid1(VALU_DEP_2)
	v_dual_mov_b32 v31, v9 :: v_dual_mov_b32 v30, v8
	s_and_saveexec_b32 s21, s2
; %bb.278:                              ;   in Loop: Header=BB337_10 Depth=1
	v_clz_i32_u32_e32 v30, v8
	s_delay_alu instid0(VALU_DEP_1) | instskip(NEXT) | instid1(VALU_DEP_1)
	v_min_u32_e32 v134, 32, v30
	v_subrev_nc_u32_e32 v30, 28, v134
	v_sub_nc_u32_e32 v134, 29, v134
	s_delay_alu instid0(VALU_DEP_2) | instskip(NEXT) | instid1(VALU_DEP_1)
	v_lshlrev_b64 v[30:31], v30, v[8:9]
	v_and_b32_e32 v30, 7, v30
; %bb.279:                              ;   in Loop: Header=BB337_10 Depth=1
	s_or_b32 exec_lo, exec_lo, s21
	v_lshlrev_b32_e32 v8, 8, v135
	v_lshl_add_u32 v31, v134, 10, 0x2000
	s_delay_alu instid0(VALU_DEP_1) | instskip(NEXT) | instid1(VALU_DEP_1)
	v_and_or_b32 v8, 0x8000, v8, v31
	v_lshl_or_b32 v8, v30, 7, v8
	s_delay_alu instid0(VALU_DEP_1)
	v_cvt_f32_f16_e64 v134, v8
.LBB337_280:                            ;   in Loop: Header=BB337_10 Depth=1
	s_or_b32 exec_lo, exec_lo, s20
.LBB337_281:                            ;   in Loop: Header=BB337_10 Depth=1
	s_delay_alu instid0(SALU_CYCLE_1)
	s_or_b32 exec_lo, exec_lo, s19
.LBB337_282:                            ;   in Loop: Header=BB337_10 Depth=1
	s_delay_alu instid0(SALU_CYCLE_1) | instskip(SKIP_2) | instid1(VALU_DEP_1)
	s_or_b32 exec_lo, exec_lo, s3
	v_lshrrev_b32_e32 v135, 16, v145
	s_mov_b32 s3, exec_lo
	v_and_b32_e32 v8, 0xff, v135
	s_delay_alu instid0(VALU_DEP_1)
	v_cmpx_ne_u16_e32 0, v8
	s_cbranch_execz .LBB337_290
; %bb.283:                              ;   in Loop: Header=BB337_10 Depth=1
	v_bfrev_b32_e32 v133, 1
	s_mov_b32 s19, exec_lo
	v_cmpx_ne_u16_e32 0x80, v8
	s_cbranch_execz .LBB337_289
; %bb.284:                              ;   in Loop: Header=BB337_10 Depth=1
	v_bfe_u32 v30, v145, 16, 7
	v_mov_b32_e32 v133, 0x7fc02000
	s_mov_b32 s20, exec_lo
	s_delay_alu instid0(VALU_DEP_2)
	v_cmpx_ne_u32_e32 0x7f, v30
	s_cbranch_execz .LBB337_288
; %bb.285:                              ;   in Loop: Header=BB337_10 Depth=1
	v_and_b32_e32 v8, 7, v135
	v_lshrrev_b32_e32 v133, 3, v30
	v_cmp_gt_u32_e64 s2, 8, v30
	s_delay_alu instid0(VALU_DEP_3) | instskip(NEXT) | instid1(VALU_DEP_2)
	v_dual_mov_b32 v31, v9 :: v_dual_mov_b32 v30, v8
	s_and_saveexec_b32 s21, s2
; %bb.286:                              ;   in Loop: Header=BB337_10 Depth=1
	v_clz_i32_u32_e32 v30, v8
	s_delay_alu instid0(VALU_DEP_1) | instskip(NEXT) | instid1(VALU_DEP_1)
	v_min_u32_e32 v133, 32, v30
	v_subrev_nc_u32_e32 v30, 28, v133
	v_sub_nc_u32_e32 v133, 29, v133
	s_delay_alu instid0(VALU_DEP_2) | instskip(NEXT) | instid1(VALU_DEP_1)
	v_lshlrev_b64 v[30:31], v30, v[8:9]
	v_and_b32_e32 v30, 7, v30
; %bb.287:                              ;   in Loop: Header=BB337_10 Depth=1
	s_or_b32 exec_lo, exec_lo, s21
	v_lshlrev_b32_e32 v8, 8, v135
	v_lshl_add_u32 v31, v133, 10, 0x2000
	s_delay_alu instid0(VALU_DEP_1) | instskip(NEXT) | instid1(VALU_DEP_1)
	v_and_or_b32 v8, 0x8000, v8, v31
	v_lshl_or_b32 v8, v30, 7, v8
	s_delay_alu instid0(VALU_DEP_1)
	v_cvt_f32_f16_e64 v133, v8
.LBB337_288:                            ;   in Loop: Header=BB337_10 Depth=1
	s_or_b32 exec_lo, exec_lo, s20
.LBB337_289:                            ;   in Loop: Header=BB337_10 Depth=1
	s_delay_alu instid0(SALU_CYCLE_1)
	s_or_b32 exec_lo, exec_lo, s19
.LBB337_290:                            ;   in Loop: Header=BB337_10 Depth=1
	s_delay_alu instid0(SALU_CYCLE_1)
	s_or_b32 exec_lo, exec_lo, s3
	v_dual_mov_b32 v135, 0 :: v_dual_mov_b32 v144, 0
	s_mov_b32 s3, exec_lo
	v_cmpx_lt_u32_e32 0xffffff, v145
	s_cbranch_execz .LBB337_298
; %bb.291:                              ;   in Loop: Header=BB337_10 Depth=1
	v_lshrrev_b32_e32 v145, 24, v145
	v_bfrev_b32_e32 v144, 1
	s_mov_b32 s19, exec_lo
	s_delay_alu instid0(VALU_DEP_2)
	v_cmpx_ne_u32_e32 0x80, v145
	s_cbranch_execz .LBB337_297
; %bb.292:                              ;   in Loop: Header=BB337_10 Depth=1
	v_and_b32_e32 v30, 0x7f, v145
	v_mov_b32_e32 v144, 0x7fc02000
	s_mov_b32 s20, exec_lo
	s_delay_alu instid0(VALU_DEP_2)
	v_cmpx_ne_u32_e32 0x7f, v30
	s_cbranch_execz .LBB337_296
; %bb.293:                              ;   in Loop: Header=BB337_10 Depth=1
	v_and_b32_e32 v8, 7, v145
	v_lshrrev_b32_e32 v144, 3, v30
	v_cmp_gt_u32_e64 s2, 8, v30
	s_delay_alu instid0(VALU_DEP_3) | instskip(NEXT) | instid1(VALU_DEP_2)
	v_dual_mov_b32 v31, v9 :: v_dual_mov_b32 v30, v8
	s_and_saveexec_b32 s21, s2
; %bb.294:                              ;   in Loop: Header=BB337_10 Depth=1
	v_clz_i32_u32_e32 v30, v8
	s_delay_alu instid0(VALU_DEP_1) | instskip(NEXT) | instid1(VALU_DEP_1)
	v_min_u32_e32 v144, 32, v30
	v_subrev_nc_u32_e32 v30, 28, v144
	v_sub_nc_u32_e32 v144, 29, v144
	s_delay_alu instid0(VALU_DEP_2) | instskip(NEXT) | instid1(VALU_DEP_1)
	v_lshlrev_b64 v[30:31], v30, v[8:9]
	v_and_b32_e32 v30, 7, v30
; %bb.295:                              ;   in Loop: Header=BB337_10 Depth=1
	s_or_b32 exec_lo, exec_lo, s21
	v_lshlrev_b32_e32 v8, 8, v145
	v_lshl_add_u32 v31, v144, 10, 0x2000
	s_delay_alu instid0(VALU_DEP_1) | instskip(NEXT) | instid1(VALU_DEP_1)
	v_and_or_b32 v8, 0x8000, v8, v31
	v_lshl_or_b32 v8, v30, 7, v8
	s_delay_alu instid0(VALU_DEP_1)
	v_cvt_f32_f16_e64 v144, v8
.LBB337_296:                            ;   in Loop: Header=BB337_10 Depth=1
	s_or_b32 exec_lo, exec_lo, s20
.LBB337_297:                            ;   in Loop: Header=BB337_10 Depth=1
	s_delay_alu instid0(SALU_CYCLE_1)
	s_or_b32 exec_lo, exec_lo, s19
.LBB337_298:                            ;   in Loop: Header=BB337_10 Depth=1
	s_delay_alu instid0(SALU_CYCLE_1) | instskip(SKIP_4) | instid1(VALU_DEP_1)
	s_or_b32 exec_lo, exec_lo, s3
	flat_load_b32 v149, v[28:29] offset:1032
	s_mov_b32 s3, exec_lo
	s_waitcnt vmcnt(0) lgkmcnt(0)
	v_and_b32_e32 v8, 0xff, v149
	v_cmpx_ne_u16_e32 0, v8
	s_cbranch_execz .LBB337_306
; %bb.299:                              ;   in Loop: Header=BB337_10 Depth=1
	v_bfrev_b32_e32 v135, 1
	s_mov_b32 s19, exec_lo
	v_cmpx_ne_u16_e32 0x80, v8
	s_cbranch_execz .LBB337_305
; %bb.300:                              ;   in Loop: Header=BB337_10 Depth=1
	v_and_b32_e32 v30, 0x7f, v149
	v_mov_b32_e32 v135, 0x7fc02000
	s_mov_b32 s20, exec_lo
	s_delay_alu instid0(VALU_DEP_2)
	v_cmpx_ne_u32_e32 0x7f, v30
	s_cbranch_execz .LBB337_304
; %bb.301:                              ;   in Loop: Header=BB337_10 Depth=1
	v_and_b32_e32 v8, 7, v149
	v_lshrrev_b32_e32 v135, 3, v30
	v_cmp_gt_u32_e64 s2, 8, v30
	s_delay_alu instid0(VALU_DEP_3) | instskip(NEXT) | instid1(VALU_DEP_2)
	v_dual_mov_b32 v31, v9 :: v_dual_mov_b32 v30, v8
	s_and_saveexec_b32 s21, s2
; %bb.302:                              ;   in Loop: Header=BB337_10 Depth=1
	v_clz_i32_u32_e32 v30, v8
	s_delay_alu instid0(VALU_DEP_1) | instskip(NEXT) | instid1(VALU_DEP_1)
	v_min_u32_e32 v135, 32, v30
	v_subrev_nc_u32_e32 v30, 28, v135
	v_sub_nc_u32_e32 v135, 29, v135
	s_delay_alu instid0(VALU_DEP_2) | instskip(NEXT) | instid1(VALU_DEP_1)
	v_lshlrev_b64 v[30:31], v30, v[8:9]
	v_and_b32_e32 v30, 7, v30
; %bb.303:                              ;   in Loop: Header=BB337_10 Depth=1
	s_or_b32 exec_lo, exec_lo, s21
	v_lshlrev_b32_e32 v8, 8, v149
	v_lshl_add_u32 v31, v135, 10, 0x2000
	s_delay_alu instid0(VALU_DEP_1) | instskip(NEXT) | instid1(VALU_DEP_1)
	v_and_or_b32 v8, 0x8000, v8, v31
	v_lshl_or_b32 v8, v30, 7, v8
	s_delay_alu instid0(VALU_DEP_1)
	v_cvt_f32_f16_e64 v135, v8
.LBB337_304:                            ;   in Loop: Header=BB337_10 Depth=1
	s_or_b32 exec_lo, exec_lo, s20
.LBB337_305:                            ;   in Loop: Header=BB337_10 Depth=1
	s_delay_alu instid0(SALU_CYCLE_1)
	s_or_b32 exec_lo, exec_lo, s19
.LBB337_306:                            ;   in Loop: Header=BB337_10 Depth=1
	s_delay_alu instid0(SALU_CYCLE_1) | instskip(SKIP_3) | instid1(VALU_DEP_2)
	s_or_b32 exec_lo, exec_lo, s3
	v_lshrrev_b16 v8, 8, v149
	v_dual_mov_b32 v145, 0 :: v_dual_mov_b32 v146, 0
	s_mov_b32 s3, exec_lo
	v_cmpx_ne_u16_e32 0, v8
	s_cbranch_execz .LBB337_314
; %bb.307:                              ;   in Loop: Header=BB337_10 Depth=1
	v_bfrev_b32_e32 v146, 1
	s_mov_b32 s19, exec_lo
	v_cmpx_ne_u16_e32 0x80, v8
	s_cbranch_execz .LBB337_313
; %bb.308:                              ;   in Loop: Header=BB337_10 Depth=1
	v_and_b32_e32 v147, 0xffff, v8
	v_mov_b32_e32 v146, 0x7fc02000
	s_mov_b32 s20, exec_lo
	s_delay_alu instid0(VALU_DEP_2) | instskip(NEXT) | instid1(VALU_DEP_1)
	v_and_b32_e32 v30, 0x7f, v147
	v_cmpx_ne_u32_e32 0x7f, v30
	s_cbranch_execz .LBB337_312
; %bb.309:                              ;   in Loop: Header=BB337_10 Depth=1
	v_and_b32_e32 v8, 7, v147
	v_lshrrev_b32_e32 v146, 3, v30
	v_cmp_gt_u32_e64 s2, 8, v30
	s_delay_alu instid0(VALU_DEP_3) | instskip(NEXT) | instid1(VALU_DEP_2)
	v_dual_mov_b32 v31, v9 :: v_dual_mov_b32 v30, v8
	s_and_saveexec_b32 s21, s2
; %bb.310:                              ;   in Loop: Header=BB337_10 Depth=1
	v_clz_i32_u32_e32 v30, v8
	s_delay_alu instid0(VALU_DEP_1) | instskip(NEXT) | instid1(VALU_DEP_1)
	v_min_u32_e32 v146, 32, v30
	v_subrev_nc_u32_e32 v30, 28, v146
	v_sub_nc_u32_e32 v146, 29, v146
	s_delay_alu instid0(VALU_DEP_2) | instskip(NEXT) | instid1(VALU_DEP_1)
	v_lshlrev_b64 v[30:31], v30, v[8:9]
	v_and_b32_e32 v30, 7, v30
; %bb.311:                              ;   in Loop: Header=BB337_10 Depth=1
	s_or_b32 exec_lo, exec_lo, s21
	v_lshlrev_b32_e32 v8, 8, v147
	v_lshl_add_u32 v31, v146, 10, 0x2000
	s_delay_alu instid0(VALU_DEP_1) | instskip(NEXT) | instid1(VALU_DEP_1)
	v_and_or_b32 v8, 0x8000, v8, v31
	v_lshl_or_b32 v8, v30, 7, v8
	s_delay_alu instid0(VALU_DEP_1)
	v_cvt_f32_f16_e64 v146, v8
.LBB337_312:                            ;   in Loop: Header=BB337_10 Depth=1
	s_or_b32 exec_lo, exec_lo, s20
.LBB337_313:                            ;   in Loop: Header=BB337_10 Depth=1
	s_delay_alu instid0(SALU_CYCLE_1)
	s_or_b32 exec_lo, exec_lo, s19
.LBB337_314:                            ;   in Loop: Header=BB337_10 Depth=1
	s_delay_alu instid0(SALU_CYCLE_1) | instskip(SKIP_2) | instid1(VALU_DEP_1)
	s_or_b32 exec_lo, exec_lo, s3
	v_lshrrev_b32_e32 v147, 16, v149
	s_mov_b32 s3, exec_lo
	v_and_b32_e32 v8, 0xff, v147
	s_delay_alu instid0(VALU_DEP_1)
	v_cmpx_ne_u16_e32 0, v8
	s_cbranch_execz .LBB337_322
; %bb.315:                              ;   in Loop: Header=BB337_10 Depth=1
	v_bfrev_b32_e32 v145, 1
	s_mov_b32 s19, exec_lo
	v_cmpx_ne_u16_e32 0x80, v8
	s_cbranch_execz .LBB337_321
; %bb.316:                              ;   in Loop: Header=BB337_10 Depth=1
	v_bfe_u32 v30, v149, 16, 7
	v_mov_b32_e32 v145, 0x7fc02000
	s_mov_b32 s20, exec_lo
	s_delay_alu instid0(VALU_DEP_2)
	v_cmpx_ne_u32_e32 0x7f, v30
	s_cbranch_execz .LBB337_320
; %bb.317:                              ;   in Loop: Header=BB337_10 Depth=1
	v_and_b32_e32 v8, 7, v147
	v_lshrrev_b32_e32 v145, 3, v30
	v_cmp_gt_u32_e64 s2, 8, v30
	s_delay_alu instid0(VALU_DEP_3) | instskip(NEXT) | instid1(VALU_DEP_2)
	v_dual_mov_b32 v31, v9 :: v_dual_mov_b32 v30, v8
	s_and_saveexec_b32 s21, s2
; %bb.318:                              ;   in Loop: Header=BB337_10 Depth=1
	v_clz_i32_u32_e32 v30, v8
	s_delay_alu instid0(VALU_DEP_1) | instskip(NEXT) | instid1(VALU_DEP_1)
	v_min_u32_e32 v145, 32, v30
	v_subrev_nc_u32_e32 v30, 28, v145
	v_sub_nc_u32_e32 v145, 29, v145
	s_delay_alu instid0(VALU_DEP_2) | instskip(NEXT) | instid1(VALU_DEP_1)
	v_lshlrev_b64 v[30:31], v30, v[8:9]
	v_and_b32_e32 v30, 7, v30
; %bb.319:                              ;   in Loop: Header=BB337_10 Depth=1
	s_or_b32 exec_lo, exec_lo, s21
	v_lshlrev_b32_e32 v8, 8, v147
	v_lshl_add_u32 v31, v145, 10, 0x2000
	s_delay_alu instid0(VALU_DEP_1) | instskip(NEXT) | instid1(VALU_DEP_1)
	v_and_or_b32 v8, 0x8000, v8, v31
	v_lshl_or_b32 v8, v30, 7, v8
	s_delay_alu instid0(VALU_DEP_1)
	v_cvt_f32_f16_e64 v145, v8
.LBB337_320:                            ;   in Loop: Header=BB337_10 Depth=1
	s_or_b32 exec_lo, exec_lo, s20
.LBB337_321:                            ;   in Loop: Header=BB337_10 Depth=1
	s_delay_alu instid0(SALU_CYCLE_1)
	s_or_b32 exec_lo, exec_lo, s19
.LBB337_322:                            ;   in Loop: Header=BB337_10 Depth=1
	s_delay_alu instid0(SALU_CYCLE_1)
	s_or_b32 exec_lo, exec_lo, s3
	v_dual_mov_b32 v147, 0 :: v_dual_mov_b32 v148, 0
	s_mov_b32 s3, exec_lo
	v_cmpx_lt_u32_e32 0xffffff, v149
	s_cbranch_execz .LBB337_330
; %bb.323:                              ;   in Loop: Header=BB337_10 Depth=1
	v_lshrrev_b32_e32 v149, 24, v149
	v_bfrev_b32_e32 v148, 1
	s_mov_b32 s19, exec_lo
	s_delay_alu instid0(VALU_DEP_2)
	v_cmpx_ne_u32_e32 0x80, v149
	s_cbranch_execz .LBB337_329
; %bb.324:                              ;   in Loop: Header=BB337_10 Depth=1
	v_and_b32_e32 v30, 0x7f, v149
	v_mov_b32_e32 v148, 0x7fc02000
	s_mov_b32 s20, exec_lo
	s_delay_alu instid0(VALU_DEP_2)
	v_cmpx_ne_u32_e32 0x7f, v30
	s_cbranch_execz .LBB337_328
; %bb.325:                              ;   in Loop: Header=BB337_10 Depth=1
	v_and_b32_e32 v8, 7, v149
	v_lshrrev_b32_e32 v148, 3, v30
	v_cmp_gt_u32_e64 s2, 8, v30
	s_delay_alu instid0(VALU_DEP_3) | instskip(NEXT) | instid1(VALU_DEP_2)
	v_dual_mov_b32 v31, v9 :: v_dual_mov_b32 v30, v8
	s_and_saveexec_b32 s21, s2
; %bb.326:                              ;   in Loop: Header=BB337_10 Depth=1
	v_clz_i32_u32_e32 v30, v8
	s_delay_alu instid0(VALU_DEP_1) | instskip(NEXT) | instid1(VALU_DEP_1)
	v_min_u32_e32 v148, 32, v30
	v_subrev_nc_u32_e32 v30, 28, v148
	v_sub_nc_u32_e32 v148, 29, v148
	s_delay_alu instid0(VALU_DEP_2) | instskip(NEXT) | instid1(VALU_DEP_1)
	v_lshlrev_b64 v[30:31], v30, v[8:9]
	v_and_b32_e32 v30, 7, v30
; %bb.327:                              ;   in Loop: Header=BB337_10 Depth=1
	s_or_b32 exec_lo, exec_lo, s21
	v_lshlrev_b32_e32 v8, 8, v149
	v_lshl_add_u32 v31, v148, 10, 0x2000
	s_delay_alu instid0(VALU_DEP_1) | instskip(NEXT) | instid1(VALU_DEP_1)
	v_and_or_b32 v8, 0x8000, v8, v31
	v_lshl_or_b32 v8, v30, 7, v8
	s_delay_alu instid0(VALU_DEP_1)
	v_cvt_f32_f16_e64 v148, v8
.LBB337_328:                            ;   in Loop: Header=BB337_10 Depth=1
	s_or_b32 exec_lo, exec_lo, s20
.LBB337_329:                            ;   in Loop: Header=BB337_10 Depth=1
	s_delay_alu instid0(SALU_CYCLE_1)
	s_or_b32 exec_lo, exec_lo, s19
.LBB337_330:                            ;   in Loop: Header=BB337_10 Depth=1
	s_delay_alu instid0(SALU_CYCLE_1) | instskip(SKIP_4) | instid1(VALU_DEP_1)
	s_or_b32 exec_lo, exec_lo, s3
	flat_load_b32 v161, v[28:29] offset:1280
	s_mov_b32 s3, exec_lo
	s_waitcnt vmcnt(0) lgkmcnt(0)
	v_and_b32_e32 v8, 0xff, v161
	v_cmpx_ne_u16_e32 0, v8
	s_cbranch_execz .LBB337_338
; %bb.331:                              ;   in Loop: Header=BB337_10 Depth=1
	v_bfrev_b32_e32 v147, 1
	s_mov_b32 s19, exec_lo
	v_cmpx_ne_u16_e32 0x80, v8
	s_cbranch_execz .LBB337_337
; %bb.332:                              ;   in Loop: Header=BB337_10 Depth=1
	v_and_b32_e32 v30, 0x7f, v161
	v_mov_b32_e32 v147, 0x7fc02000
	s_mov_b32 s20, exec_lo
	s_delay_alu instid0(VALU_DEP_2)
	v_cmpx_ne_u32_e32 0x7f, v30
	s_cbranch_execz .LBB337_336
; %bb.333:                              ;   in Loop: Header=BB337_10 Depth=1
	v_and_b32_e32 v8, 7, v161
	v_lshrrev_b32_e32 v147, 3, v30
	v_cmp_gt_u32_e64 s2, 8, v30
	s_delay_alu instid0(VALU_DEP_3) | instskip(NEXT) | instid1(VALU_DEP_2)
	v_dual_mov_b32 v31, v9 :: v_dual_mov_b32 v30, v8
	s_and_saveexec_b32 s21, s2
; %bb.334:                              ;   in Loop: Header=BB337_10 Depth=1
	v_clz_i32_u32_e32 v30, v8
	s_delay_alu instid0(VALU_DEP_1) | instskip(NEXT) | instid1(VALU_DEP_1)
	v_min_u32_e32 v147, 32, v30
	v_subrev_nc_u32_e32 v30, 28, v147
	v_sub_nc_u32_e32 v147, 29, v147
	s_delay_alu instid0(VALU_DEP_2) | instskip(NEXT) | instid1(VALU_DEP_1)
	v_lshlrev_b64 v[30:31], v30, v[8:9]
	v_and_b32_e32 v30, 7, v30
; %bb.335:                              ;   in Loop: Header=BB337_10 Depth=1
	s_or_b32 exec_lo, exec_lo, s21
	v_lshlrev_b32_e32 v8, 8, v161
	v_lshl_add_u32 v31, v147, 10, 0x2000
	s_delay_alu instid0(VALU_DEP_1) | instskip(NEXT) | instid1(VALU_DEP_1)
	v_and_or_b32 v8, 0x8000, v8, v31
	v_lshl_or_b32 v8, v30, 7, v8
	s_delay_alu instid0(VALU_DEP_1)
	v_cvt_f32_f16_e64 v147, v8
.LBB337_336:                            ;   in Loop: Header=BB337_10 Depth=1
	s_or_b32 exec_lo, exec_lo, s20
.LBB337_337:                            ;   in Loop: Header=BB337_10 Depth=1
	s_delay_alu instid0(SALU_CYCLE_1)
	s_or_b32 exec_lo, exec_lo, s19
.LBB337_338:                            ;   in Loop: Header=BB337_10 Depth=1
	s_delay_alu instid0(SALU_CYCLE_1) | instskip(SKIP_3) | instid1(VALU_DEP_2)
	s_or_b32 exec_lo, exec_lo, s3
	v_lshrrev_b16 v8, 8, v161
	v_dual_mov_b32 v149, 0 :: v_dual_mov_b32 v150, 0
	s_mov_b32 s3, exec_lo
	v_cmpx_ne_u16_e32 0, v8
	s_cbranch_execz .LBB337_346
; %bb.339:                              ;   in Loop: Header=BB337_10 Depth=1
	v_bfrev_b32_e32 v150, 1
	s_mov_b32 s19, exec_lo
	v_cmpx_ne_u16_e32 0x80, v8
	s_cbranch_execz .LBB337_345
; %bb.340:                              ;   in Loop: Header=BB337_10 Depth=1
	v_and_b32_e32 v151, 0xffff, v8
	v_mov_b32_e32 v150, 0x7fc02000
	s_mov_b32 s20, exec_lo
	s_delay_alu instid0(VALU_DEP_2) | instskip(NEXT) | instid1(VALU_DEP_1)
	v_and_b32_e32 v30, 0x7f, v151
	v_cmpx_ne_u32_e32 0x7f, v30
	s_cbranch_execz .LBB337_344
; %bb.341:                              ;   in Loop: Header=BB337_10 Depth=1
	v_and_b32_e32 v8, 7, v151
	v_lshrrev_b32_e32 v150, 3, v30
	v_cmp_gt_u32_e64 s2, 8, v30
	s_delay_alu instid0(VALU_DEP_3) | instskip(NEXT) | instid1(VALU_DEP_2)
	v_dual_mov_b32 v31, v9 :: v_dual_mov_b32 v30, v8
	s_and_saveexec_b32 s21, s2
; %bb.342:                              ;   in Loop: Header=BB337_10 Depth=1
	v_clz_i32_u32_e32 v30, v8
	s_delay_alu instid0(VALU_DEP_1) | instskip(NEXT) | instid1(VALU_DEP_1)
	v_min_u32_e32 v150, 32, v30
	v_subrev_nc_u32_e32 v30, 28, v150
	v_sub_nc_u32_e32 v150, 29, v150
	s_delay_alu instid0(VALU_DEP_2) | instskip(NEXT) | instid1(VALU_DEP_1)
	v_lshlrev_b64 v[30:31], v30, v[8:9]
	v_and_b32_e32 v30, 7, v30
; %bb.343:                              ;   in Loop: Header=BB337_10 Depth=1
	s_or_b32 exec_lo, exec_lo, s21
	v_lshlrev_b32_e32 v8, 8, v151
	v_lshl_add_u32 v31, v150, 10, 0x2000
	s_delay_alu instid0(VALU_DEP_1) | instskip(NEXT) | instid1(VALU_DEP_1)
	v_and_or_b32 v8, 0x8000, v8, v31
	v_lshl_or_b32 v8, v30, 7, v8
	s_delay_alu instid0(VALU_DEP_1)
	v_cvt_f32_f16_e64 v150, v8
.LBB337_344:                            ;   in Loop: Header=BB337_10 Depth=1
	s_or_b32 exec_lo, exec_lo, s20
.LBB337_345:                            ;   in Loop: Header=BB337_10 Depth=1
	s_delay_alu instid0(SALU_CYCLE_1)
	s_or_b32 exec_lo, exec_lo, s19
.LBB337_346:                            ;   in Loop: Header=BB337_10 Depth=1
	s_delay_alu instid0(SALU_CYCLE_1) | instskip(SKIP_2) | instid1(VALU_DEP_1)
	s_or_b32 exec_lo, exec_lo, s3
	v_lshrrev_b32_e32 v151, 16, v161
	s_mov_b32 s3, exec_lo
	v_and_b32_e32 v8, 0xff, v151
	s_delay_alu instid0(VALU_DEP_1)
	v_cmpx_ne_u16_e32 0, v8
	s_cbranch_execz .LBB337_354
; %bb.347:                              ;   in Loop: Header=BB337_10 Depth=1
	v_bfrev_b32_e32 v149, 1
	s_mov_b32 s19, exec_lo
	v_cmpx_ne_u16_e32 0x80, v8
	s_cbranch_execz .LBB337_353
; %bb.348:                              ;   in Loop: Header=BB337_10 Depth=1
	v_bfe_u32 v30, v161, 16, 7
	v_mov_b32_e32 v149, 0x7fc02000
	s_mov_b32 s20, exec_lo
	s_delay_alu instid0(VALU_DEP_2)
	v_cmpx_ne_u32_e32 0x7f, v30
	s_cbranch_execz .LBB337_352
; %bb.349:                              ;   in Loop: Header=BB337_10 Depth=1
	v_and_b32_e32 v8, 7, v151
	v_lshrrev_b32_e32 v149, 3, v30
	v_cmp_gt_u32_e64 s2, 8, v30
	s_delay_alu instid0(VALU_DEP_3) | instskip(NEXT) | instid1(VALU_DEP_2)
	v_dual_mov_b32 v31, v9 :: v_dual_mov_b32 v30, v8
	s_and_saveexec_b32 s21, s2
; %bb.350:                              ;   in Loop: Header=BB337_10 Depth=1
	v_clz_i32_u32_e32 v30, v8
	s_delay_alu instid0(VALU_DEP_1) | instskip(NEXT) | instid1(VALU_DEP_1)
	v_min_u32_e32 v149, 32, v30
	v_subrev_nc_u32_e32 v30, 28, v149
	v_sub_nc_u32_e32 v149, 29, v149
	s_delay_alu instid0(VALU_DEP_2) | instskip(NEXT) | instid1(VALU_DEP_1)
	v_lshlrev_b64 v[30:31], v30, v[8:9]
	v_and_b32_e32 v30, 7, v30
; %bb.351:                              ;   in Loop: Header=BB337_10 Depth=1
	s_or_b32 exec_lo, exec_lo, s21
	v_lshlrev_b32_e32 v8, 8, v151
	v_lshl_add_u32 v31, v149, 10, 0x2000
	s_delay_alu instid0(VALU_DEP_1) | instskip(NEXT) | instid1(VALU_DEP_1)
	v_and_or_b32 v8, 0x8000, v8, v31
	v_lshl_or_b32 v8, v30, 7, v8
	s_delay_alu instid0(VALU_DEP_1)
	v_cvt_f32_f16_e64 v149, v8
.LBB337_352:                            ;   in Loop: Header=BB337_10 Depth=1
	s_or_b32 exec_lo, exec_lo, s20
.LBB337_353:                            ;   in Loop: Header=BB337_10 Depth=1
	s_delay_alu instid0(SALU_CYCLE_1)
	s_or_b32 exec_lo, exec_lo, s19
.LBB337_354:                            ;   in Loop: Header=BB337_10 Depth=1
	s_delay_alu instid0(SALU_CYCLE_1)
	s_or_b32 exec_lo, exec_lo, s3
	v_dual_mov_b32 v151, 0 :: v_dual_mov_b32 v160, 0
	s_mov_b32 s3, exec_lo
	v_cmpx_lt_u32_e32 0xffffff, v161
	s_cbranch_execz .LBB337_362
; %bb.355:                              ;   in Loop: Header=BB337_10 Depth=1
	v_lshrrev_b32_e32 v161, 24, v161
	v_bfrev_b32_e32 v160, 1
	s_mov_b32 s19, exec_lo
	s_delay_alu instid0(VALU_DEP_2)
	v_cmpx_ne_u32_e32 0x80, v161
	s_cbranch_execz .LBB337_361
; %bb.356:                              ;   in Loop: Header=BB337_10 Depth=1
	v_and_b32_e32 v30, 0x7f, v161
	v_mov_b32_e32 v160, 0x7fc02000
	s_mov_b32 s20, exec_lo
	s_delay_alu instid0(VALU_DEP_2)
	v_cmpx_ne_u32_e32 0x7f, v30
	s_cbranch_execz .LBB337_360
; %bb.357:                              ;   in Loop: Header=BB337_10 Depth=1
	v_and_b32_e32 v8, 7, v161
	v_lshrrev_b32_e32 v160, 3, v30
	v_cmp_gt_u32_e64 s2, 8, v30
	s_delay_alu instid0(VALU_DEP_3) | instskip(NEXT) | instid1(VALU_DEP_2)
	v_dual_mov_b32 v31, v9 :: v_dual_mov_b32 v30, v8
	s_and_saveexec_b32 s21, s2
; %bb.358:                              ;   in Loop: Header=BB337_10 Depth=1
	v_clz_i32_u32_e32 v30, v8
	s_delay_alu instid0(VALU_DEP_1) | instskip(NEXT) | instid1(VALU_DEP_1)
	v_min_u32_e32 v160, 32, v30
	v_subrev_nc_u32_e32 v30, 28, v160
	v_sub_nc_u32_e32 v160, 29, v160
	s_delay_alu instid0(VALU_DEP_2) | instskip(NEXT) | instid1(VALU_DEP_1)
	v_lshlrev_b64 v[30:31], v30, v[8:9]
	v_and_b32_e32 v30, 7, v30
; %bb.359:                              ;   in Loop: Header=BB337_10 Depth=1
	s_or_b32 exec_lo, exec_lo, s21
	v_lshlrev_b32_e32 v8, 8, v161
	v_lshl_add_u32 v31, v160, 10, 0x2000
	s_delay_alu instid0(VALU_DEP_1) | instskip(NEXT) | instid1(VALU_DEP_1)
	v_and_or_b32 v8, 0x8000, v8, v31
	v_lshl_or_b32 v8, v30, 7, v8
	s_delay_alu instid0(VALU_DEP_1)
	v_cvt_f32_f16_e64 v160, v8
.LBB337_360:                            ;   in Loop: Header=BB337_10 Depth=1
	s_or_b32 exec_lo, exec_lo, s20
.LBB337_361:                            ;   in Loop: Header=BB337_10 Depth=1
	s_delay_alu instid0(SALU_CYCLE_1)
	s_or_b32 exec_lo, exec_lo, s19
.LBB337_362:                            ;   in Loop: Header=BB337_10 Depth=1
	s_delay_alu instid0(SALU_CYCLE_1) | instskip(SKIP_4) | instid1(VALU_DEP_1)
	s_or_b32 exec_lo, exec_lo, s3
	flat_load_b32 v165, v[28:29] offset:1288
	s_mov_b32 s3, exec_lo
	s_waitcnt vmcnt(0) lgkmcnt(0)
	v_and_b32_e32 v8, 0xff, v165
	v_cmpx_ne_u16_e32 0, v8
	s_cbranch_execz .LBB337_370
; %bb.363:                              ;   in Loop: Header=BB337_10 Depth=1
	v_bfrev_b32_e32 v151, 1
	s_mov_b32 s19, exec_lo
	v_cmpx_ne_u16_e32 0x80, v8
	s_cbranch_execz .LBB337_369
; %bb.364:                              ;   in Loop: Header=BB337_10 Depth=1
	v_and_b32_e32 v30, 0x7f, v165
	v_mov_b32_e32 v151, 0x7fc02000
	s_mov_b32 s20, exec_lo
	s_delay_alu instid0(VALU_DEP_2)
	v_cmpx_ne_u32_e32 0x7f, v30
	s_cbranch_execz .LBB337_368
; %bb.365:                              ;   in Loop: Header=BB337_10 Depth=1
	v_and_b32_e32 v8, 7, v165
	v_lshrrev_b32_e32 v151, 3, v30
	v_cmp_gt_u32_e64 s2, 8, v30
	s_delay_alu instid0(VALU_DEP_3) | instskip(NEXT) | instid1(VALU_DEP_2)
	v_dual_mov_b32 v31, v9 :: v_dual_mov_b32 v30, v8
	s_and_saveexec_b32 s21, s2
; %bb.366:                              ;   in Loop: Header=BB337_10 Depth=1
	v_clz_i32_u32_e32 v30, v8
	s_delay_alu instid0(VALU_DEP_1) | instskip(NEXT) | instid1(VALU_DEP_1)
	v_min_u32_e32 v151, 32, v30
	v_subrev_nc_u32_e32 v30, 28, v151
	v_sub_nc_u32_e32 v151, 29, v151
	s_delay_alu instid0(VALU_DEP_2) | instskip(NEXT) | instid1(VALU_DEP_1)
	v_lshlrev_b64 v[30:31], v30, v[8:9]
	v_and_b32_e32 v30, 7, v30
; %bb.367:                              ;   in Loop: Header=BB337_10 Depth=1
	s_or_b32 exec_lo, exec_lo, s21
	v_lshlrev_b32_e32 v8, 8, v165
	v_lshl_add_u32 v31, v151, 10, 0x2000
	s_delay_alu instid0(VALU_DEP_1) | instskip(NEXT) | instid1(VALU_DEP_1)
	v_and_or_b32 v8, 0x8000, v8, v31
	v_lshl_or_b32 v8, v30, 7, v8
	s_delay_alu instid0(VALU_DEP_1)
	v_cvt_f32_f16_e64 v151, v8
.LBB337_368:                            ;   in Loop: Header=BB337_10 Depth=1
	s_or_b32 exec_lo, exec_lo, s20
.LBB337_369:                            ;   in Loop: Header=BB337_10 Depth=1
	s_delay_alu instid0(SALU_CYCLE_1)
	s_or_b32 exec_lo, exec_lo, s19
.LBB337_370:                            ;   in Loop: Header=BB337_10 Depth=1
	s_delay_alu instid0(SALU_CYCLE_1) | instskip(SKIP_3) | instid1(VALU_DEP_2)
	s_or_b32 exec_lo, exec_lo, s3
	v_lshrrev_b16 v8, 8, v165
	v_dual_mov_b32 v161, 0 :: v_dual_mov_b32 v162, 0
	s_mov_b32 s3, exec_lo
	v_cmpx_ne_u16_e32 0, v8
	s_cbranch_execz .LBB337_378
; %bb.371:                              ;   in Loop: Header=BB337_10 Depth=1
	v_bfrev_b32_e32 v162, 1
	s_mov_b32 s19, exec_lo
	v_cmpx_ne_u16_e32 0x80, v8
	s_cbranch_execz .LBB337_377
; %bb.372:                              ;   in Loop: Header=BB337_10 Depth=1
	v_and_b32_e32 v163, 0xffff, v8
	v_mov_b32_e32 v162, 0x7fc02000
	s_mov_b32 s20, exec_lo
	s_delay_alu instid0(VALU_DEP_2) | instskip(NEXT) | instid1(VALU_DEP_1)
	v_and_b32_e32 v30, 0x7f, v163
	v_cmpx_ne_u32_e32 0x7f, v30
	s_cbranch_execz .LBB337_376
; %bb.373:                              ;   in Loop: Header=BB337_10 Depth=1
	v_and_b32_e32 v8, 7, v163
	v_lshrrev_b32_e32 v162, 3, v30
	v_cmp_gt_u32_e64 s2, 8, v30
	s_delay_alu instid0(VALU_DEP_3) | instskip(NEXT) | instid1(VALU_DEP_2)
	v_dual_mov_b32 v31, v9 :: v_dual_mov_b32 v30, v8
	s_and_saveexec_b32 s21, s2
; %bb.374:                              ;   in Loop: Header=BB337_10 Depth=1
	v_clz_i32_u32_e32 v30, v8
	s_delay_alu instid0(VALU_DEP_1) | instskip(NEXT) | instid1(VALU_DEP_1)
	v_min_u32_e32 v162, 32, v30
	v_subrev_nc_u32_e32 v30, 28, v162
	v_sub_nc_u32_e32 v162, 29, v162
	s_delay_alu instid0(VALU_DEP_2) | instskip(NEXT) | instid1(VALU_DEP_1)
	v_lshlrev_b64 v[30:31], v30, v[8:9]
	v_and_b32_e32 v30, 7, v30
; %bb.375:                              ;   in Loop: Header=BB337_10 Depth=1
	s_or_b32 exec_lo, exec_lo, s21
	v_lshlrev_b32_e32 v8, 8, v163
	v_lshl_add_u32 v31, v162, 10, 0x2000
	s_delay_alu instid0(VALU_DEP_1) | instskip(NEXT) | instid1(VALU_DEP_1)
	v_and_or_b32 v8, 0x8000, v8, v31
	v_lshl_or_b32 v8, v30, 7, v8
	s_delay_alu instid0(VALU_DEP_1)
	v_cvt_f32_f16_e64 v162, v8
.LBB337_376:                            ;   in Loop: Header=BB337_10 Depth=1
	s_or_b32 exec_lo, exec_lo, s20
.LBB337_377:                            ;   in Loop: Header=BB337_10 Depth=1
	s_delay_alu instid0(SALU_CYCLE_1)
	s_or_b32 exec_lo, exec_lo, s19
.LBB337_378:                            ;   in Loop: Header=BB337_10 Depth=1
	s_delay_alu instid0(SALU_CYCLE_1) | instskip(SKIP_2) | instid1(VALU_DEP_1)
	s_or_b32 exec_lo, exec_lo, s3
	v_lshrrev_b32_e32 v163, 16, v165
	s_mov_b32 s3, exec_lo
	v_and_b32_e32 v8, 0xff, v163
	s_delay_alu instid0(VALU_DEP_1)
	v_cmpx_ne_u16_e32 0, v8
	s_cbranch_execz .LBB337_386
; %bb.379:                              ;   in Loop: Header=BB337_10 Depth=1
	v_bfrev_b32_e32 v161, 1
	s_mov_b32 s19, exec_lo
	v_cmpx_ne_u16_e32 0x80, v8
	s_cbranch_execz .LBB337_385
; %bb.380:                              ;   in Loop: Header=BB337_10 Depth=1
	v_bfe_u32 v30, v165, 16, 7
	v_mov_b32_e32 v161, 0x7fc02000
	s_mov_b32 s20, exec_lo
	s_delay_alu instid0(VALU_DEP_2)
	v_cmpx_ne_u32_e32 0x7f, v30
	s_cbranch_execz .LBB337_384
; %bb.381:                              ;   in Loop: Header=BB337_10 Depth=1
	v_and_b32_e32 v8, 7, v163
	v_lshrrev_b32_e32 v161, 3, v30
	v_cmp_gt_u32_e64 s2, 8, v30
	s_delay_alu instid0(VALU_DEP_3) | instskip(NEXT) | instid1(VALU_DEP_2)
	v_dual_mov_b32 v31, v9 :: v_dual_mov_b32 v30, v8
	s_and_saveexec_b32 s21, s2
; %bb.382:                              ;   in Loop: Header=BB337_10 Depth=1
	v_clz_i32_u32_e32 v30, v8
	s_delay_alu instid0(VALU_DEP_1) | instskip(NEXT) | instid1(VALU_DEP_1)
	v_min_u32_e32 v161, 32, v30
	v_subrev_nc_u32_e32 v30, 28, v161
	v_sub_nc_u32_e32 v161, 29, v161
	s_delay_alu instid0(VALU_DEP_2) | instskip(NEXT) | instid1(VALU_DEP_1)
	v_lshlrev_b64 v[30:31], v30, v[8:9]
	v_and_b32_e32 v30, 7, v30
; %bb.383:                              ;   in Loop: Header=BB337_10 Depth=1
	s_or_b32 exec_lo, exec_lo, s21
	v_lshlrev_b32_e32 v8, 8, v163
	v_lshl_add_u32 v31, v161, 10, 0x2000
	s_delay_alu instid0(VALU_DEP_1) | instskip(NEXT) | instid1(VALU_DEP_1)
	v_and_or_b32 v8, 0x8000, v8, v31
	v_lshl_or_b32 v8, v30, 7, v8
	s_delay_alu instid0(VALU_DEP_1)
	v_cvt_f32_f16_e64 v161, v8
.LBB337_384:                            ;   in Loop: Header=BB337_10 Depth=1
	s_or_b32 exec_lo, exec_lo, s20
.LBB337_385:                            ;   in Loop: Header=BB337_10 Depth=1
	s_delay_alu instid0(SALU_CYCLE_1)
	s_or_b32 exec_lo, exec_lo, s19
.LBB337_386:                            ;   in Loop: Header=BB337_10 Depth=1
	s_delay_alu instid0(SALU_CYCLE_1)
	s_or_b32 exec_lo, exec_lo, s3
	v_dual_mov_b32 v163, 0 :: v_dual_mov_b32 v164, 0
	s_mov_b32 s3, exec_lo
	v_cmpx_lt_u32_e32 0xffffff, v165
	s_cbranch_execz .LBB337_394
; %bb.387:                              ;   in Loop: Header=BB337_10 Depth=1
	v_lshrrev_b32_e32 v165, 24, v165
	v_bfrev_b32_e32 v164, 1
	s_mov_b32 s19, exec_lo
	s_delay_alu instid0(VALU_DEP_2)
	v_cmpx_ne_u32_e32 0x80, v165
	s_cbranch_execz .LBB337_393
; %bb.388:                              ;   in Loop: Header=BB337_10 Depth=1
	v_and_b32_e32 v30, 0x7f, v165
	v_mov_b32_e32 v164, 0x7fc02000
	s_mov_b32 s20, exec_lo
	s_delay_alu instid0(VALU_DEP_2)
	v_cmpx_ne_u32_e32 0x7f, v30
	s_cbranch_execz .LBB337_392
; %bb.389:                              ;   in Loop: Header=BB337_10 Depth=1
	v_and_b32_e32 v8, 7, v165
	v_lshrrev_b32_e32 v164, 3, v30
	v_cmp_gt_u32_e64 s2, 8, v30
	s_delay_alu instid0(VALU_DEP_3) | instskip(NEXT) | instid1(VALU_DEP_2)
	v_dual_mov_b32 v31, v9 :: v_dual_mov_b32 v30, v8
	s_and_saveexec_b32 s21, s2
; %bb.390:                              ;   in Loop: Header=BB337_10 Depth=1
	v_clz_i32_u32_e32 v30, v8
	s_delay_alu instid0(VALU_DEP_1) | instskip(NEXT) | instid1(VALU_DEP_1)
	v_min_u32_e32 v164, 32, v30
	v_subrev_nc_u32_e32 v30, 28, v164
	v_sub_nc_u32_e32 v164, 29, v164
	s_delay_alu instid0(VALU_DEP_2) | instskip(NEXT) | instid1(VALU_DEP_1)
	v_lshlrev_b64 v[30:31], v30, v[8:9]
	v_and_b32_e32 v30, 7, v30
; %bb.391:                              ;   in Loop: Header=BB337_10 Depth=1
	s_or_b32 exec_lo, exec_lo, s21
	v_lshlrev_b32_e32 v8, 8, v165
	v_lshl_add_u32 v31, v164, 10, 0x2000
	s_delay_alu instid0(VALU_DEP_1) | instskip(NEXT) | instid1(VALU_DEP_1)
	v_and_or_b32 v8, 0x8000, v8, v31
	v_lshl_or_b32 v8, v30, 7, v8
	s_delay_alu instid0(VALU_DEP_1)
	v_cvt_f32_f16_e64 v164, v8
.LBB337_392:                            ;   in Loop: Header=BB337_10 Depth=1
	s_or_b32 exec_lo, exec_lo, s20
.LBB337_393:                            ;   in Loop: Header=BB337_10 Depth=1
	s_delay_alu instid0(SALU_CYCLE_1)
	s_or_b32 exec_lo, exec_lo, s19
.LBB337_394:                            ;   in Loop: Header=BB337_10 Depth=1
	s_delay_alu instid0(SALU_CYCLE_1) | instskip(SKIP_4) | instid1(VALU_DEP_1)
	s_or_b32 exec_lo, exec_lo, s3
	flat_load_b32 v177, v[28:29] offset:1536
	s_mov_b32 s3, exec_lo
	s_waitcnt vmcnt(0) lgkmcnt(0)
	v_and_b32_e32 v8, 0xff, v177
	v_cmpx_ne_u16_e32 0, v8
	s_cbranch_execz .LBB337_402
; %bb.395:                              ;   in Loop: Header=BB337_10 Depth=1
	v_bfrev_b32_e32 v163, 1
	s_mov_b32 s19, exec_lo
	v_cmpx_ne_u16_e32 0x80, v8
	s_cbranch_execz .LBB337_401
; %bb.396:                              ;   in Loop: Header=BB337_10 Depth=1
	v_and_b32_e32 v30, 0x7f, v177
	v_mov_b32_e32 v163, 0x7fc02000
	s_mov_b32 s20, exec_lo
	s_delay_alu instid0(VALU_DEP_2)
	v_cmpx_ne_u32_e32 0x7f, v30
	s_cbranch_execz .LBB337_400
; %bb.397:                              ;   in Loop: Header=BB337_10 Depth=1
	v_and_b32_e32 v8, 7, v177
	v_lshrrev_b32_e32 v163, 3, v30
	v_cmp_gt_u32_e64 s2, 8, v30
	s_delay_alu instid0(VALU_DEP_3) | instskip(NEXT) | instid1(VALU_DEP_2)
	v_dual_mov_b32 v31, v9 :: v_dual_mov_b32 v30, v8
	s_and_saveexec_b32 s21, s2
; %bb.398:                              ;   in Loop: Header=BB337_10 Depth=1
	v_clz_i32_u32_e32 v30, v8
	s_delay_alu instid0(VALU_DEP_1) | instskip(NEXT) | instid1(VALU_DEP_1)
	v_min_u32_e32 v163, 32, v30
	v_subrev_nc_u32_e32 v30, 28, v163
	v_sub_nc_u32_e32 v163, 29, v163
	s_delay_alu instid0(VALU_DEP_2) | instskip(NEXT) | instid1(VALU_DEP_1)
	v_lshlrev_b64 v[30:31], v30, v[8:9]
	v_and_b32_e32 v30, 7, v30
; %bb.399:                              ;   in Loop: Header=BB337_10 Depth=1
	s_or_b32 exec_lo, exec_lo, s21
	v_lshlrev_b32_e32 v8, 8, v177
	v_lshl_add_u32 v31, v163, 10, 0x2000
	s_delay_alu instid0(VALU_DEP_1) | instskip(NEXT) | instid1(VALU_DEP_1)
	v_and_or_b32 v8, 0x8000, v8, v31
	v_lshl_or_b32 v8, v30, 7, v8
	s_delay_alu instid0(VALU_DEP_1)
	v_cvt_f32_f16_e64 v163, v8
.LBB337_400:                            ;   in Loop: Header=BB337_10 Depth=1
	s_or_b32 exec_lo, exec_lo, s20
.LBB337_401:                            ;   in Loop: Header=BB337_10 Depth=1
	s_delay_alu instid0(SALU_CYCLE_1)
	s_or_b32 exec_lo, exec_lo, s19
.LBB337_402:                            ;   in Loop: Header=BB337_10 Depth=1
	s_delay_alu instid0(SALU_CYCLE_1) | instskip(SKIP_3) | instid1(VALU_DEP_2)
	s_or_b32 exec_lo, exec_lo, s3
	v_lshrrev_b16 v8, 8, v177
	v_dual_mov_b32 v165, 0 :: v_dual_mov_b32 v166, 0
	s_mov_b32 s3, exec_lo
	v_cmpx_ne_u16_e32 0, v8
	s_cbranch_execz .LBB337_410
; %bb.403:                              ;   in Loop: Header=BB337_10 Depth=1
	v_bfrev_b32_e32 v166, 1
	s_mov_b32 s19, exec_lo
	v_cmpx_ne_u16_e32 0x80, v8
	s_cbranch_execz .LBB337_409
; %bb.404:                              ;   in Loop: Header=BB337_10 Depth=1
	v_and_b32_e32 v167, 0xffff, v8
	v_mov_b32_e32 v166, 0x7fc02000
	s_mov_b32 s20, exec_lo
	s_delay_alu instid0(VALU_DEP_2) | instskip(NEXT) | instid1(VALU_DEP_1)
	v_and_b32_e32 v30, 0x7f, v167
	v_cmpx_ne_u32_e32 0x7f, v30
	s_cbranch_execz .LBB337_408
; %bb.405:                              ;   in Loop: Header=BB337_10 Depth=1
	v_and_b32_e32 v8, 7, v167
	v_lshrrev_b32_e32 v166, 3, v30
	v_cmp_gt_u32_e64 s2, 8, v30
	s_delay_alu instid0(VALU_DEP_3) | instskip(NEXT) | instid1(VALU_DEP_2)
	v_dual_mov_b32 v31, v9 :: v_dual_mov_b32 v30, v8
	s_and_saveexec_b32 s21, s2
; %bb.406:                              ;   in Loop: Header=BB337_10 Depth=1
	v_clz_i32_u32_e32 v30, v8
	s_delay_alu instid0(VALU_DEP_1) | instskip(NEXT) | instid1(VALU_DEP_1)
	v_min_u32_e32 v166, 32, v30
	v_subrev_nc_u32_e32 v30, 28, v166
	v_sub_nc_u32_e32 v166, 29, v166
	s_delay_alu instid0(VALU_DEP_2) | instskip(NEXT) | instid1(VALU_DEP_1)
	v_lshlrev_b64 v[30:31], v30, v[8:9]
	v_and_b32_e32 v30, 7, v30
; %bb.407:                              ;   in Loop: Header=BB337_10 Depth=1
	s_or_b32 exec_lo, exec_lo, s21
	v_lshlrev_b32_e32 v8, 8, v167
	v_lshl_add_u32 v31, v166, 10, 0x2000
	s_delay_alu instid0(VALU_DEP_1) | instskip(NEXT) | instid1(VALU_DEP_1)
	v_and_or_b32 v8, 0x8000, v8, v31
	v_lshl_or_b32 v8, v30, 7, v8
	s_delay_alu instid0(VALU_DEP_1)
	v_cvt_f32_f16_e64 v166, v8
.LBB337_408:                            ;   in Loop: Header=BB337_10 Depth=1
	s_or_b32 exec_lo, exec_lo, s20
.LBB337_409:                            ;   in Loop: Header=BB337_10 Depth=1
	s_delay_alu instid0(SALU_CYCLE_1)
	s_or_b32 exec_lo, exec_lo, s19
.LBB337_410:                            ;   in Loop: Header=BB337_10 Depth=1
	s_delay_alu instid0(SALU_CYCLE_1) | instskip(SKIP_2) | instid1(VALU_DEP_1)
	s_or_b32 exec_lo, exec_lo, s3
	v_lshrrev_b32_e32 v167, 16, v177
	s_mov_b32 s3, exec_lo
	v_and_b32_e32 v8, 0xff, v167
	s_delay_alu instid0(VALU_DEP_1)
	v_cmpx_ne_u16_e32 0, v8
	s_cbranch_execz .LBB337_418
; %bb.411:                              ;   in Loop: Header=BB337_10 Depth=1
	v_bfrev_b32_e32 v165, 1
	s_mov_b32 s19, exec_lo
	v_cmpx_ne_u16_e32 0x80, v8
	s_cbranch_execz .LBB337_417
; %bb.412:                              ;   in Loop: Header=BB337_10 Depth=1
	v_bfe_u32 v30, v177, 16, 7
	v_mov_b32_e32 v165, 0x7fc02000
	s_mov_b32 s20, exec_lo
	s_delay_alu instid0(VALU_DEP_2)
	v_cmpx_ne_u32_e32 0x7f, v30
	s_cbranch_execz .LBB337_416
; %bb.413:                              ;   in Loop: Header=BB337_10 Depth=1
	v_and_b32_e32 v8, 7, v167
	v_lshrrev_b32_e32 v165, 3, v30
	v_cmp_gt_u32_e64 s2, 8, v30
	s_delay_alu instid0(VALU_DEP_3) | instskip(NEXT) | instid1(VALU_DEP_2)
	v_dual_mov_b32 v31, v9 :: v_dual_mov_b32 v30, v8
	s_and_saveexec_b32 s21, s2
; %bb.414:                              ;   in Loop: Header=BB337_10 Depth=1
	v_clz_i32_u32_e32 v30, v8
	s_delay_alu instid0(VALU_DEP_1) | instskip(NEXT) | instid1(VALU_DEP_1)
	v_min_u32_e32 v165, 32, v30
	v_subrev_nc_u32_e32 v30, 28, v165
	v_sub_nc_u32_e32 v165, 29, v165
	s_delay_alu instid0(VALU_DEP_2) | instskip(NEXT) | instid1(VALU_DEP_1)
	v_lshlrev_b64 v[30:31], v30, v[8:9]
	v_and_b32_e32 v30, 7, v30
; %bb.415:                              ;   in Loop: Header=BB337_10 Depth=1
	s_or_b32 exec_lo, exec_lo, s21
	v_lshlrev_b32_e32 v8, 8, v167
	v_lshl_add_u32 v31, v165, 10, 0x2000
	s_delay_alu instid0(VALU_DEP_1) | instskip(NEXT) | instid1(VALU_DEP_1)
	v_and_or_b32 v8, 0x8000, v8, v31
	v_lshl_or_b32 v8, v30, 7, v8
	s_delay_alu instid0(VALU_DEP_1)
	v_cvt_f32_f16_e64 v165, v8
.LBB337_416:                            ;   in Loop: Header=BB337_10 Depth=1
	s_or_b32 exec_lo, exec_lo, s20
.LBB337_417:                            ;   in Loop: Header=BB337_10 Depth=1
	s_delay_alu instid0(SALU_CYCLE_1)
	s_or_b32 exec_lo, exec_lo, s19
.LBB337_418:                            ;   in Loop: Header=BB337_10 Depth=1
	s_delay_alu instid0(SALU_CYCLE_1)
	s_or_b32 exec_lo, exec_lo, s3
	v_dual_mov_b32 v167, 0 :: v_dual_mov_b32 v176, 0
	s_mov_b32 s3, exec_lo
	v_cmpx_lt_u32_e32 0xffffff, v177
	s_cbranch_execz .LBB337_426
; %bb.419:                              ;   in Loop: Header=BB337_10 Depth=1
	v_lshrrev_b32_e32 v177, 24, v177
	v_bfrev_b32_e32 v176, 1
	s_mov_b32 s19, exec_lo
	s_delay_alu instid0(VALU_DEP_2)
	v_cmpx_ne_u32_e32 0x80, v177
	s_cbranch_execz .LBB337_425
; %bb.420:                              ;   in Loop: Header=BB337_10 Depth=1
	v_and_b32_e32 v30, 0x7f, v177
	v_mov_b32_e32 v176, 0x7fc02000
	s_mov_b32 s20, exec_lo
	s_delay_alu instid0(VALU_DEP_2)
	v_cmpx_ne_u32_e32 0x7f, v30
	s_cbranch_execz .LBB337_424
; %bb.421:                              ;   in Loop: Header=BB337_10 Depth=1
	v_and_b32_e32 v8, 7, v177
	v_lshrrev_b32_e32 v176, 3, v30
	v_cmp_gt_u32_e64 s2, 8, v30
	s_delay_alu instid0(VALU_DEP_3) | instskip(NEXT) | instid1(VALU_DEP_2)
	v_dual_mov_b32 v31, v9 :: v_dual_mov_b32 v30, v8
	s_and_saveexec_b32 s21, s2
; %bb.422:                              ;   in Loop: Header=BB337_10 Depth=1
	v_clz_i32_u32_e32 v30, v8
	s_delay_alu instid0(VALU_DEP_1) | instskip(NEXT) | instid1(VALU_DEP_1)
	v_min_u32_e32 v176, 32, v30
	v_subrev_nc_u32_e32 v30, 28, v176
	v_sub_nc_u32_e32 v176, 29, v176
	s_delay_alu instid0(VALU_DEP_2) | instskip(NEXT) | instid1(VALU_DEP_1)
	v_lshlrev_b64 v[30:31], v30, v[8:9]
	v_and_b32_e32 v30, 7, v30
; %bb.423:                              ;   in Loop: Header=BB337_10 Depth=1
	s_or_b32 exec_lo, exec_lo, s21
	v_lshlrev_b32_e32 v8, 8, v177
	v_lshl_add_u32 v31, v176, 10, 0x2000
	s_delay_alu instid0(VALU_DEP_1) | instskip(NEXT) | instid1(VALU_DEP_1)
	v_and_or_b32 v8, 0x8000, v8, v31
	v_lshl_or_b32 v8, v30, 7, v8
	s_delay_alu instid0(VALU_DEP_1)
	v_cvt_f32_f16_e64 v176, v8
.LBB337_424:                            ;   in Loop: Header=BB337_10 Depth=1
	s_or_b32 exec_lo, exec_lo, s20
.LBB337_425:                            ;   in Loop: Header=BB337_10 Depth=1
	s_delay_alu instid0(SALU_CYCLE_1)
	s_or_b32 exec_lo, exec_lo, s19
.LBB337_426:                            ;   in Loop: Header=BB337_10 Depth=1
	s_delay_alu instid0(SALU_CYCLE_1) | instskip(SKIP_4) | instid1(VALU_DEP_1)
	s_or_b32 exec_lo, exec_lo, s3
	flat_load_b32 v181, v[28:29] offset:1544
	s_mov_b32 s3, exec_lo
	s_waitcnt vmcnt(0) lgkmcnt(0)
	v_and_b32_e32 v8, 0xff, v181
	v_cmpx_ne_u16_e32 0, v8
	s_cbranch_execz .LBB337_434
; %bb.427:                              ;   in Loop: Header=BB337_10 Depth=1
	v_bfrev_b32_e32 v167, 1
	s_mov_b32 s19, exec_lo
	v_cmpx_ne_u16_e32 0x80, v8
	s_cbranch_execz .LBB337_433
; %bb.428:                              ;   in Loop: Header=BB337_10 Depth=1
	v_and_b32_e32 v30, 0x7f, v181
	v_mov_b32_e32 v167, 0x7fc02000
	s_mov_b32 s20, exec_lo
	s_delay_alu instid0(VALU_DEP_2)
	v_cmpx_ne_u32_e32 0x7f, v30
	s_cbranch_execz .LBB337_432
; %bb.429:                              ;   in Loop: Header=BB337_10 Depth=1
	v_and_b32_e32 v8, 7, v181
	v_lshrrev_b32_e32 v167, 3, v30
	v_cmp_gt_u32_e64 s2, 8, v30
	s_delay_alu instid0(VALU_DEP_3) | instskip(NEXT) | instid1(VALU_DEP_2)
	v_dual_mov_b32 v31, v9 :: v_dual_mov_b32 v30, v8
	s_and_saveexec_b32 s21, s2
; %bb.430:                              ;   in Loop: Header=BB337_10 Depth=1
	v_clz_i32_u32_e32 v30, v8
	s_delay_alu instid0(VALU_DEP_1) | instskip(NEXT) | instid1(VALU_DEP_1)
	v_min_u32_e32 v167, 32, v30
	v_subrev_nc_u32_e32 v30, 28, v167
	v_sub_nc_u32_e32 v167, 29, v167
	s_delay_alu instid0(VALU_DEP_2) | instskip(NEXT) | instid1(VALU_DEP_1)
	v_lshlrev_b64 v[30:31], v30, v[8:9]
	v_and_b32_e32 v30, 7, v30
; %bb.431:                              ;   in Loop: Header=BB337_10 Depth=1
	s_or_b32 exec_lo, exec_lo, s21
	v_lshlrev_b32_e32 v8, 8, v181
	v_lshl_add_u32 v31, v167, 10, 0x2000
	s_delay_alu instid0(VALU_DEP_1) | instskip(NEXT) | instid1(VALU_DEP_1)
	v_and_or_b32 v8, 0x8000, v8, v31
	v_lshl_or_b32 v8, v30, 7, v8
	s_delay_alu instid0(VALU_DEP_1)
	v_cvt_f32_f16_e64 v167, v8
.LBB337_432:                            ;   in Loop: Header=BB337_10 Depth=1
	s_or_b32 exec_lo, exec_lo, s20
.LBB337_433:                            ;   in Loop: Header=BB337_10 Depth=1
	s_delay_alu instid0(SALU_CYCLE_1)
	s_or_b32 exec_lo, exec_lo, s19
.LBB337_434:                            ;   in Loop: Header=BB337_10 Depth=1
	s_delay_alu instid0(SALU_CYCLE_1) | instskip(SKIP_3) | instid1(VALU_DEP_2)
	s_or_b32 exec_lo, exec_lo, s3
	v_lshrrev_b16 v8, 8, v181
	v_dual_mov_b32 v177, 0 :: v_dual_mov_b32 v178, 0
	s_mov_b32 s3, exec_lo
	v_cmpx_ne_u16_e32 0, v8
	s_cbranch_execz .LBB337_442
; %bb.435:                              ;   in Loop: Header=BB337_10 Depth=1
	v_bfrev_b32_e32 v178, 1
	s_mov_b32 s19, exec_lo
	v_cmpx_ne_u16_e32 0x80, v8
	s_cbranch_execz .LBB337_441
; %bb.436:                              ;   in Loop: Header=BB337_10 Depth=1
	v_and_b32_e32 v179, 0xffff, v8
	v_mov_b32_e32 v178, 0x7fc02000
	s_mov_b32 s20, exec_lo
	s_delay_alu instid0(VALU_DEP_2) | instskip(NEXT) | instid1(VALU_DEP_1)
	v_and_b32_e32 v30, 0x7f, v179
	v_cmpx_ne_u32_e32 0x7f, v30
	s_cbranch_execz .LBB337_440
; %bb.437:                              ;   in Loop: Header=BB337_10 Depth=1
	v_and_b32_e32 v8, 7, v179
	v_lshrrev_b32_e32 v178, 3, v30
	v_cmp_gt_u32_e64 s2, 8, v30
	s_delay_alu instid0(VALU_DEP_3) | instskip(NEXT) | instid1(VALU_DEP_2)
	v_dual_mov_b32 v31, v9 :: v_dual_mov_b32 v30, v8
	s_and_saveexec_b32 s21, s2
; %bb.438:                              ;   in Loop: Header=BB337_10 Depth=1
	v_clz_i32_u32_e32 v30, v8
	s_delay_alu instid0(VALU_DEP_1) | instskip(NEXT) | instid1(VALU_DEP_1)
	v_min_u32_e32 v178, 32, v30
	v_subrev_nc_u32_e32 v30, 28, v178
	v_sub_nc_u32_e32 v178, 29, v178
	s_delay_alu instid0(VALU_DEP_2) | instskip(NEXT) | instid1(VALU_DEP_1)
	v_lshlrev_b64 v[30:31], v30, v[8:9]
	v_and_b32_e32 v30, 7, v30
; %bb.439:                              ;   in Loop: Header=BB337_10 Depth=1
	s_or_b32 exec_lo, exec_lo, s21
	v_lshlrev_b32_e32 v8, 8, v179
	v_lshl_add_u32 v31, v178, 10, 0x2000
	s_delay_alu instid0(VALU_DEP_1) | instskip(NEXT) | instid1(VALU_DEP_1)
	v_and_or_b32 v8, 0x8000, v8, v31
	v_lshl_or_b32 v8, v30, 7, v8
	s_delay_alu instid0(VALU_DEP_1)
	v_cvt_f32_f16_e64 v178, v8
.LBB337_440:                            ;   in Loop: Header=BB337_10 Depth=1
	s_or_b32 exec_lo, exec_lo, s20
.LBB337_441:                            ;   in Loop: Header=BB337_10 Depth=1
	s_delay_alu instid0(SALU_CYCLE_1)
	s_or_b32 exec_lo, exec_lo, s19
.LBB337_442:                            ;   in Loop: Header=BB337_10 Depth=1
	s_delay_alu instid0(SALU_CYCLE_1) | instskip(SKIP_2) | instid1(VALU_DEP_1)
	s_or_b32 exec_lo, exec_lo, s3
	v_lshrrev_b32_e32 v179, 16, v181
	s_mov_b32 s3, exec_lo
	v_and_b32_e32 v8, 0xff, v179
	s_delay_alu instid0(VALU_DEP_1)
	v_cmpx_ne_u16_e32 0, v8
	s_cbranch_execz .LBB337_450
; %bb.443:                              ;   in Loop: Header=BB337_10 Depth=1
	v_bfrev_b32_e32 v177, 1
	s_mov_b32 s19, exec_lo
	v_cmpx_ne_u16_e32 0x80, v8
	s_cbranch_execz .LBB337_449
; %bb.444:                              ;   in Loop: Header=BB337_10 Depth=1
	v_bfe_u32 v30, v181, 16, 7
	v_mov_b32_e32 v177, 0x7fc02000
	s_mov_b32 s20, exec_lo
	s_delay_alu instid0(VALU_DEP_2)
	v_cmpx_ne_u32_e32 0x7f, v30
	s_cbranch_execz .LBB337_448
; %bb.445:                              ;   in Loop: Header=BB337_10 Depth=1
	v_and_b32_e32 v8, 7, v179
	v_lshrrev_b32_e32 v177, 3, v30
	v_cmp_gt_u32_e64 s2, 8, v30
	s_delay_alu instid0(VALU_DEP_3) | instskip(NEXT) | instid1(VALU_DEP_2)
	v_dual_mov_b32 v31, v9 :: v_dual_mov_b32 v30, v8
	s_and_saveexec_b32 s21, s2
; %bb.446:                              ;   in Loop: Header=BB337_10 Depth=1
	v_clz_i32_u32_e32 v30, v8
	s_delay_alu instid0(VALU_DEP_1) | instskip(NEXT) | instid1(VALU_DEP_1)
	v_min_u32_e32 v177, 32, v30
	v_subrev_nc_u32_e32 v30, 28, v177
	v_sub_nc_u32_e32 v177, 29, v177
	s_delay_alu instid0(VALU_DEP_2) | instskip(NEXT) | instid1(VALU_DEP_1)
	v_lshlrev_b64 v[30:31], v30, v[8:9]
	v_and_b32_e32 v30, 7, v30
; %bb.447:                              ;   in Loop: Header=BB337_10 Depth=1
	s_or_b32 exec_lo, exec_lo, s21
	v_lshlrev_b32_e32 v8, 8, v179
	v_lshl_add_u32 v31, v177, 10, 0x2000
	s_delay_alu instid0(VALU_DEP_1) | instskip(NEXT) | instid1(VALU_DEP_1)
	v_and_or_b32 v8, 0x8000, v8, v31
	v_lshl_or_b32 v8, v30, 7, v8
	s_delay_alu instid0(VALU_DEP_1)
	v_cvt_f32_f16_e64 v177, v8
.LBB337_448:                            ;   in Loop: Header=BB337_10 Depth=1
	s_or_b32 exec_lo, exec_lo, s20
.LBB337_449:                            ;   in Loop: Header=BB337_10 Depth=1
	s_delay_alu instid0(SALU_CYCLE_1)
	s_or_b32 exec_lo, exec_lo, s19
.LBB337_450:                            ;   in Loop: Header=BB337_10 Depth=1
	s_delay_alu instid0(SALU_CYCLE_1)
	s_or_b32 exec_lo, exec_lo, s3
	v_dual_mov_b32 v179, 0 :: v_dual_mov_b32 v180, 0
	s_mov_b32 s3, exec_lo
	v_cmpx_lt_u32_e32 0xffffff, v181
	s_cbranch_execz .LBB337_458
; %bb.451:                              ;   in Loop: Header=BB337_10 Depth=1
	v_lshrrev_b32_e32 v181, 24, v181
	v_bfrev_b32_e32 v180, 1
	s_mov_b32 s19, exec_lo
	s_delay_alu instid0(VALU_DEP_2)
	v_cmpx_ne_u32_e32 0x80, v181
	s_cbranch_execz .LBB337_457
; %bb.452:                              ;   in Loop: Header=BB337_10 Depth=1
	v_and_b32_e32 v30, 0x7f, v181
	v_mov_b32_e32 v180, 0x7fc02000
	s_mov_b32 s20, exec_lo
	s_delay_alu instid0(VALU_DEP_2)
	v_cmpx_ne_u32_e32 0x7f, v30
	s_cbranch_execz .LBB337_456
; %bb.453:                              ;   in Loop: Header=BB337_10 Depth=1
	v_and_b32_e32 v8, 7, v181
	v_lshrrev_b32_e32 v180, 3, v30
	v_cmp_gt_u32_e64 s2, 8, v30
	s_delay_alu instid0(VALU_DEP_3) | instskip(NEXT) | instid1(VALU_DEP_2)
	v_dual_mov_b32 v31, v9 :: v_dual_mov_b32 v30, v8
	s_and_saveexec_b32 s21, s2
; %bb.454:                              ;   in Loop: Header=BB337_10 Depth=1
	v_clz_i32_u32_e32 v30, v8
	s_delay_alu instid0(VALU_DEP_1) | instskip(NEXT) | instid1(VALU_DEP_1)
	v_min_u32_e32 v180, 32, v30
	v_subrev_nc_u32_e32 v30, 28, v180
	v_sub_nc_u32_e32 v180, 29, v180
	s_delay_alu instid0(VALU_DEP_2) | instskip(NEXT) | instid1(VALU_DEP_1)
	v_lshlrev_b64 v[30:31], v30, v[8:9]
	v_and_b32_e32 v30, 7, v30
; %bb.455:                              ;   in Loop: Header=BB337_10 Depth=1
	s_or_b32 exec_lo, exec_lo, s21
	v_lshlrev_b32_e32 v8, 8, v181
	v_lshl_add_u32 v31, v180, 10, 0x2000
	s_delay_alu instid0(VALU_DEP_1) | instskip(NEXT) | instid1(VALU_DEP_1)
	v_and_or_b32 v8, 0x8000, v8, v31
	v_lshl_or_b32 v8, v30, 7, v8
	s_delay_alu instid0(VALU_DEP_1)
	v_cvt_f32_f16_e64 v180, v8
.LBB337_456:                            ;   in Loop: Header=BB337_10 Depth=1
	s_or_b32 exec_lo, exec_lo, s20
.LBB337_457:                            ;   in Loop: Header=BB337_10 Depth=1
	s_delay_alu instid0(SALU_CYCLE_1)
	s_or_b32 exec_lo, exec_lo, s19
.LBB337_458:                            ;   in Loop: Header=BB337_10 Depth=1
	s_delay_alu instid0(SALU_CYCLE_1) | instskip(SKIP_4) | instid1(VALU_DEP_1)
	s_or_b32 exec_lo, exec_lo, s3
	flat_load_b32 v41, v[28:29] offset:1792
	s_mov_b32 s3, exec_lo
	s_waitcnt vmcnt(0) lgkmcnt(0)
	v_and_b32_e32 v8, 0xff, v41
	v_cmpx_ne_u16_e32 0, v8
	s_cbranch_execz .LBB337_466
; %bb.459:                              ;   in Loop: Header=BB337_10 Depth=1
	v_bfrev_b32_e32 v179, 1
	s_mov_b32 s19, exec_lo
	v_cmpx_ne_u16_e32 0x80, v8
	s_cbranch_execz .LBB337_465
; %bb.460:                              ;   in Loop: Header=BB337_10 Depth=1
	v_and_b32_e32 v30, 0x7f, v41
	v_mov_b32_e32 v179, 0x7fc02000
	s_mov_b32 s20, exec_lo
	s_delay_alu instid0(VALU_DEP_2)
	v_cmpx_ne_u32_e32 0x7f, v30
	s_cbranch_execz .LBB337_464
; %bb.461:                              ;   in Loop: Header=BB337_10 Depth=1
	v_and_b32_e32 v8, 7, v41
	v_lshrrev_b32_e32 v179, 3, v30
	v_cmp_gt_u32_e64 s2, 8, v30
	s_delay_alu instid0(VALU_DEP_3) | instskip(NEXT) | instid1(VALU_DEP_2)
	v_dual_mov_b32 v31, v9 :: v_dual_mov_b32 v30, v8
	s_and_saveexec_b32 s21, s2
; %bb.462:                              ;   in Loop: Header=BB337_10 Depth=1
	v_clz_i32_u32_e32 v30, v8
	s_delay_alu instid0(VALU_DEP_1) | instskip(NEXT) | instid1(VALU_DEP_1)
	v_min_u32_e32 v179, 32, v30
	v_subrev_nc_u32_e32 v30, 28, v179
	v_sub_nc_u32_e32 v179, 29, v179
	s_delay_alu instid0(VALU_DEP_2) | instskip(NEXT) | instid1(VALU_DEP_1)
	v_lshlrev_b64 v[30:31], v30, v[8:9]
	v_and_b32_e32 v30, 7, v30
; %bb.463:                              ;   in Loop: Header=BB337_10 Depth=1
	s_or_b32 exec_lo, exec_lo, s21
	v_lshlrev_b32_e32 v8, 8, v41
	v_lshl_add_u32 v31, v179, 10, 0x2000
	s_delay_alu instid0(VALU_DEP_1) | instskip(NEXT) | instid1(VALU_DEP_1)
	v_and_or_b32 v8, 0x8000, v8, v31
	v_lshl_or_b32 v8, v30, 7, v8
	s_delay_alu instid0(VALU_DEP_1)
	v_cvt_f32_f16_e64 v179, v8
.LBB337_464:                            ;   in Loop: Header=BB337_10 Depth=1
	s_or_b32 exec_lo, exec_lo, s20
.LBB337_465:                            ;   in Loop: Header=BB337_10 Depth=1
	s_delay_alu instid0(SALU_CYCLE_1)
	s_or_b32 exec_lo, exec_lo, s19
.LBB337_466:                            ;   in Loop: Header=BB337_10 Depth=1
	s_delay_alu instid0(SALU_CYCLE_1) | instskip(SKIP_3) | instid1(VALU_DEP_2)
	s_or_b32 exec_lo, exec_lo, s3
	v_lshrrev_b16 v8, 8, v41
	v_dual_mov_b32 v181, 0 :: v_dual_mov_b32 v182, 0
	s_mov_b32 s3, exec_lo
	v_cmpx_ne_u16_e32 0, v8
	s_cbranch_execz .LBB337_474
; %bb.467:                              ;   in Loop: Header=BB337_10 Depth=1
	v_bfrev_b32_e32 v182, 1
	s_mov_b32 s19, exec_lo
	v_cmpx_ne_u16_e32 0x80, v8
	s_cbranch_execz .LBB337_473
; %bb.468:                              ;   in Loop: Header=BB337_10 Depth=1
	v_and_b32_e32 v183, 0xffff, v8
	v_mov_b32_e32 v182, 0x7fc02000
	s_mov_b32 s20, exec_lo
	s_delay_alu instid0(VALU_DEP_2) | instskip(NEXT) | instid1(VALU_DEP_1)
	v_and_b32_e32 v30, 0x7f, v183
	v_cmpx_ne_u32_e32 0x7f, v30
	s_cbranch_execz .LBB337_472
; %bb.469:                              ;   in Loop: Header=BB337_10 Depth=1
	v_and_b32_e32 v8, 7, v183
	v_lshrrev_b32_e32 v182, 3, v30
	v_cmp_gt_u32_e64 s2, 8, v30
	s_delay_alu instid0(VALU_DEP_3) | instskip(NEXT) | instid1(VALU_DEP_2)
	v_dual_mov_b32 v31, v9 :: v_dual_mov_b32 v30, v8
	s_and_saveexec_b32 s21, s2
; %bb.470:                              ;   in Loop: Header=BB337_10 Depth=1
	v_clz_i32_u32_e32 v30, v8
	s_delay_alu instid0(VALU_DEP_1) | instskip(NEXT) | instid1(VALU_DEP_1)
	v_min_u32_e32 v182, 32, v30
	v_subrev_nc_u32_e32 v30, 28, v182
	v_sub_nc_u32_e32 v182, 29, v182
	s_delay_alu instid0(VALU_DEP_2) | instskip(NEXT) | instid1(VALU_DEP_1)
	v_lshlrev_b64 v[30:31], v30, v[8:9]
	v_and_b32_e32 v30, 7, v30
; %bb.471:                              ;   in Loop: Header=BB337_10 Depth=1
	s_or_b32 exec_lo, exec_lo, s21
	v_lshlrev_b32_e32 v8, 8, v183
	v_lshl_add_u32 v31, v182, 10, 0x2000
	s_delay_alu instid0(VALU_DEP_1) | instskip(NEXT) | instid1(VALU_DEP_1)
	v_and_or_b32 v8, 0x8000, v8, v31
	v_lshl_or_b32 v8, v30, 7, v8
	s_delay_alu instid0(VALU_DEP_1)
	v_cvt_f32_f16_e64 v182, v8
.LBB337_472:                            ;   in Loop: Header=BB337_10 Depth=1
	s_or_b32 exec_lo, exec_lo, s20
.LBB337_473:                            ;   in Loop: Header=BB337_10 Depth=1
	s_delay_alu instid0(SALU_CYCLE_1)
	s_or_b32 exec_lo, exec_lo, s19
.LBB337_474:                            ;   in Loop: Header=BB337_10 Depth=1
	s_delay_alu instid0(SALU_CYCLE_1) | instskip(SKIP_2) | instid1(VALU_DEP_1)
	s_or_b32 exec_lo, exec_lo, s3
	v_lshrrev_b32_e32 v183, 16, v41
	s_mov_b32 s3, exec_lo
	v_and_b32_e32 v8, 0xff, v183
	s_delay_alu instid0(VALU_DEP_1)
	v_cmpx_ne_u16_e32 0, v8
	s_cbranch_execz .LBB337_482
; %bb.475:                              ;   in Loop: Header=BB337_10 Depth=1
	v_bfrev_b32_e32 v181, 1
	s_mov_b32 s19, exec_lo
	v_cmpx_ne_u16_e32 0x80, v8
	s_cbranch_execz .LBB337_481
; %bb.476:                              ;   in Loop: Header=BB337_10 Depth=1
	v_bfe_u32 v30, v41, 16, 7
	v_mov_b32_e32 v181, 0x7fc02000
	s_mov_b32 s20, exec_lo
	s_delay_alu instid0(VALU_DEP_2)
	v_cmpx_ne_u32_e32 0x7f, v30
	s_cbranch_execz .LBB337_480
; %bb.477:                              ;   in Loop: Header=BB337_10 Depth=1
	v_and_b32_e32 v8, 7, v183
	v_lshrrev_b32_e32 v181, 3, v30
	v_cmp_gt_u32_e64 s2, 8, v30
	s_delay_alu instid0(VALU_DEP_3) | instskip(NEXT) | instid1(VALU_DEP_2)
	v_dual_mov_b32 v31, v9 :: v_dual_mov_b32 v30, v8
	s_and_saveexec_b32 s21, s2
; %bb.478:                              ;   in Loop: Header=BB337_10 Depth=1
	v_clz_i32_u32_e32 v30, v8
	s_delay_alu instid0(VALU_DEP_1) | instskip(NEXT) | instid1(VALU_DEP_1)
	v_min_u32_e32 v181, 32, v30
	v_subrev_nc_u32_e32 v30, 28, v181
	v_sub_nc_u32_e32 v181, 29, v181
	s_delay_alu instid0(VALU_DEP_2) | instskip(NEXT) | instid1(VALU_DEP_1)
	v_lshlrev_b64 v[30:31], v30, v[8:9]
	v_and_b32_e32 v30, 7, v30
; %bb.479:                              ;   in Loop: Header=BB337_10 Depth=1
	s_or_b32 exec_lo, exec_lo, s21
	v_lshlrev_b32_e32 v8, 8, v183
	v_lshl_add_u32 v31, v181, 10, 0x2000
	s_delay_alu instid0(VALU_DEP_1) | instskip(NEXT) | instid1(VALU_DEP_1)
	v_and_or_b32 v8, 0x8000, v8, v31
	v_lshl_or_b32 v8, v30, 7, v8
	s_delay_alu instid0(VALU_DEP_1)
	v_cvt_f32_f16_e64 v181, v8
.LBB337_480:                            ;   in Loop: Header=BB337_10 Depth=1
	s_or_b32 exec_lo, exec_lo, s20
.LBB337_481:                            ;   in Loop: Header=BB337_10 Depth=1
	s_delay_alu instid0(SALU_CYCLE_1)
	s_or_b32 exec_lo, exec_lo, s19
.LBB337_482:                            ;   in Loop: Header=BB337_10 Depth=1
	s_delay_alu instid0(SALU_CYCLE_1)
	s_or_b32 exec_lo, exec_lo, s3
	v_dual_mov_b32 v183, 0 :: v_dual_mov_b32 v40, 0
	s_mov_b32 s3, exec_lo
	v_cmpx_lt_u32_e32 0xffffff, v41
	s_cbranch_execz .LBB337_490
; %bb.483:                              ;   in Loop: Header=BB337_10 Depth=1
	v_lshrrev_b32_e32 v41, 24, v41
	v_bfrev_b32_e32 v40, 1
	s_mov_b32 s19, exec_lo
	s_delay_alu instid0(VALU_DEP_2)
	v_cmpx_ne_u32_e32 0x80, v41
	s_cbranch_execz .LBB337_489
; %bb.484:                              ;   in Loop: Header=BB337_10 Depth=1
	v_and_b32_e32 v30, 0x7f, v41
	v_mov_b32_e32 v40, 0x7fc02000
	s_mov_b32 s20, exec_lo
	s_delay_alu instid0(VALU_DEP_2)
	v_cmpx_ne_u32_e32 0x7f, v30
	s_cbranch_execz .LBB337_488
; %bb.485:                              ;   in Loop: Header=BB337_10 Depth=1
	v_and_b32_e32 v8, 7, v41
	v_lshrrev_b32_e32 v40, 3, v30
	v_cmp_gt_u32_e64 s2, 8, v30
	s_delay_alu instid0(VALU_DEP_3) | instskip(NEXT) | instid1(VALU_DEP_2)
	v_dual_mov_b32 v31, v9 :: v_dual_mov_b32 v30, v8
	s_and_saveexec_b32 s21, s2
; %bb.486:                              ;   in Loop: Header=BB337_10 Depth=1
	v_clz_i32_u32_e32 v30, v8
	s_delay_alu instid0(VALU_DEP_1) | instskip(NEXT) | instid1(VALU_DEP_1)
	v_min_u32_e32 v40, 32, v30
	v_subrev_nc_u32_e32 v30, 28, v40
	v_sub_nc_u32_e32 v40, 29, v40
	s_delay_alu instid0(VALU_DEP_2) | instskip(NEXT) | instid1(VALU_DEP_1)
	v_lshlrev_b64 v[30:31], v30, v[8:9]
	v_and_b32_e32 v30, 7, v30
; %bb.487:                              ;   in Loop: Header=BB337_10 Depth=1
	s_or_b32 exec_lo, exec_lo, s21
	v_lshlrev_b32_e32 v8, 8, v41
	v_lshl_add_u32 v31, v40, 10, 0x2000
	s_delay_alu instid0(VALU_DEP_1) | instskip(NEXT) | instid1(VALU_DEP_1)
	v_and_or_b32 v8, 0x8000, v8, v31
	v_lshl_or_b32 v8, v30, 7, v8
	s_delay_alu instid0(VALU_DEP_1)
	v_cvt_f32_f16_e32 v40, v8
.LBB337_488:                            ;   in Loop: Header=BB337_10 Depth=1
	s_or_b32 exec_lo, exec_lo, s20
.LBB337_489:                            ;   in Loop: Header=BB337_10 Depth=1
	s_delay_alu instid0(SALU_CYCLE_1)
	s_or_b32 exec_lo, exec_lo, s19
.LBB337_490:                            ;   in Loop: Header=BB337_10 Depth=1
	s_delay_alu instid0(SALU_CYCLE_1) | instskip(SKIP_4) | instid1(VALU_DEP_1)
	s_or_b32 exec_lo, exec_lo, s3
	flat_load_b32 v45, v[28:29] offset:1800
	s_mov_b32 s3, exec_lo
	s_waitcnt vmcnt(0) lgkmcnt(0)
	v_and_b32_e32 v8, 0xff, v45
	v_cmpx_ne_u16_e32 0, v8
	s_cbranch_execz .LBB337_498
; %bb.491:                              ;   in Loop: Header=BB337_10 Depth=1
	v_bfrev_b32_e32 v183, 1
	s_mov_b32 s19, exec_lo
	v_cmpx_ne_u16_e32 0x80, v8
	s_cbranch_execz .LBB337_497
; %bb.492:                              ;   in Loop: Header=BB337_10 Depth=1
	v_and_b32_e32 v30, 0x7f, v45
	v_mov_b32_e32 v183, 0x7fc02000
	s_mov_b32 s20, exec_lo
	s_delay_alu instid0(VALU_DEP_2)
	v_cmpx_ne_u32_e32 0x7f, v30
	s_cbranch_execz .LBB337_496
; %bb.493:                              ;   in Loop: Header=BB337_10 Depth=1
	v_and_b32_e32 v8, 7, v45
	v_lshrrev_b32_e32 v183, 3, v30
	v_cmp_gt_u32_e64 s2, 8, v30
	s_delay_alu instid0(VALU_DEP_3) | instskip(NEXT) | instid1(VALU_DEP_2)
	v_dual_mov_b32 v31, v9 :: v_dual_mov_b32 v30, v8
	s_and_saveexec_b32 s21, s2
; %bb.494:                              ;   in Loop: Header=BB337_10 Depth=1
	v_clz_i32_u32_e32 v30, v8
	s_delay_alu instid0(VALU_DEP_1) | instskip(NEXT) | instid1(VALU_DEP_1)
	v_min_u32_e32 v183, 32, v30
	v_subrev_nc_u32_e32 v30, 28, v183
	v_sub_nc_u32_e32 v183, 29, v183
	s_delay_alu instid0(VALU_DEP_2) | instskip(NEXT) | instid1(VALU_DEP_1)
	v_lshlrev_b64 v[30:31], v30, v[8:9]
	v_and_b32_e32 v30, 7, v30
; %bb.495:                              ;   in Loop: Header=BB337_10 Depth=1
	s_or_b32 exec_lo, exec_lo, s21
	v_lshlrev_b32_e32 v8, 8, v45
	v_lshl_add_u32 v31, v183, 10, 0x2000
	s_delay_alu instid0(VALU_DEP_1) | instskip(NEXT) | instid1(VALU_DEP_1)
	v_and_or_b32 v8, 0x8000, v8, v31
	v_lshl_or_b32 v8, v30, 7, v8
	s_delay_alu instid0(VALU_DEP_1)
	v_cvt_f32_f16_e64 v183, v8
.LBB337_496:                            ;   in Loop: Header=BB337_10 Depth=1
	s_or_b32 exec_lo, exec_lo, s20
.LBB337_497:                            ;   in Loop: Header=BB337_10 Depth=1
	s_delay_alu instid0(SALU_CYCLE_1)
	s_or_b32 exec_lo, exec_lo, s19
.LBB337_498:                            ;   in Loop: Header=BB337_10 Depth=1
	s_delay_alu instid0(SALU_CYCLE_1) | instskip(SKIP_3) | instid1(VALU_DEP_2)
	s_or_b32 exec_lo, exec_lo, s3
	v_lshrrev_b16 v8, 8, v45
	v_dual_mov_b32 v41, 0 :: v_dual_mov_b32 v42, 0
	s_mov_b32 s3, exec_lo
	v_cmpx_ne_u16_e32 0, v8
	s_cbranch_execz .LBB337_506
; %bb.499:                              ;   in Loop: Header=BB337_10 Depth=1
	v_bfrev_b32_e32 v42, 1
	s_mov_b32 s19, exec_lo
	v_cmpx_ne_u16_e32 0x80, v8
	s_cbranch_execz .LBB337_505
; %bb.500:                              ;   in Loop: Header=BB337_10 Depth=1
	v_and_b32_e32 v43, 0xffff, v8
	v_mov_b32_e32 v42, 0x7fc02000
	s_mov_b32 s20, exec_lo
	s_delay_alu instid0(VALU_DEP_2) | instskip(NEXT) | instid1(VALU_DEP_1)
	v_and_b32_e32 v30, 0x7f, v43
	v_cmpx_ne_u32_e32 0x7f, v30
	s_cbranch_execz .LBB337_504
; %bb.501:                              ;   in Loop: Header=BB337_10 Depth=1
	v_and_b32_e32 v8, 7, v43
	v_lshrrev_b32_e32 v42, 3, v30
	v_cmp_gt_u32_e64 s2, 8, v30
	s_delay_alu instid0(VALU_DEP_3) | instskip(NEXT) | instid1(VALU_DEP_2)
	v_dual_mov_b32 v31, v9 :: v_dual_mov_b32 v30, v8
	s_and_saveexec_b32 s21, s2
; %bb.502:                              ;   in Loop: Header=BB337_10 Depth=1
	v_clz_i32_u32_e32 v30, v8
	s_delay_alu instid0(VALU_DEP_1) | instskip(NEXT) | instid1(VALU_DEP_1)
	v_min_u32_e32 v42, 32, v30
	v_subrev_nc_u32_e32 v30, 28, v42
	v_sub_nc_u32_e32 v42, 29, v42
	s_delay_alu instid0(VALU_DEP_2) | instskip(NEXT) | instid1(VALU_DEP_1)
	v_lshlrev_b64 v[30:31], v30, v[8:9]
	v_and_b32_e32 v30, 7, v30
; %bb.503:                              ;   in Loop: Header=BB337_10 Depth=1
	s_or_b32 exec_lo, exec_lo, s21
	v_lshlrev_b32_e32 v8, 8, v43
	v_lshl_add_u32 v31, v42, 10, 0x2000
	s_delay_alu instid0(VALU_DEP_1) | instskip(NEXT) | instid1(VALU_DEP_1)
	v_and_or_b32 v8, 0x8000, v8, v31
	v_lshl_or_b32 v8, v30, 7, v8
	s_delay_alu instid0(VALU_DEP_1)
	v_cvt_f32_f16_e32 v42, v8
.LBB337_504:                            ;   in Loop: Header=BB337_10 Depth=1
	s_or_b32 exec_lo, exec_lo, s20
.LBB337_505:                            ;   in Loop: Header=BB337_10 Depth=1
	s_delay_alu instid0(SALU_CYCLE_1)
	s_or_b32 exec_lo, exec_lo, s19
.LBB337_506:                            ;   in Loop: Header=BB337_10 Depth=1
	s_delay_alu instid0(SALU_CYCLE_1) | instskip(SKIP_2) | instid1(VALU_DEP_1)
	s_or_b32 exec_lo, exec_lo, s3
	v_lshrrev_b32_e32 v43, 16, v45
	s_mov_b32 s3, exec_lo
	v_and_b32_e32 v8, 0xff, v43
	s_delay_alu instid0(VALU_DEP_1)
	v_cmpx_ne_u16_e32 0, v8
	s_cbranch_execz .LBB337_514
; %bb.507:                              ;   in Loop: Header=BB337_10 Depth=1
	v_bfrev_b32_e32 v41, 1
	s_mov_b32 s19, exec_lo
	v_cmpx_ne_u16_e32 0x80, v8
	s_cbranch_execz .LBB337_513
; %bb.508:                              ;   in Loop: Header=BB337_10 Depth=1
	v_bfe_u32 v30, v45, 16, 7
	v_mov_b32_e32 v41, 0x7fc02000
	s_mov_b32 s20, exec_lo
	s_delay_alu instid0(VALU_DEP_2)
	v_cmpx_ne_u32_e32 0x7f, v30
	s_cbranch_execz .LBB337_512
; %bb.509:                              ;   in Loop: Header=BB337_10 Depth=1
	v_and_b32_e32 v8, 7, v43
	v_lshrrev_b32_e32 v41, 3, v30
	v_cmp_gt_u32_e64 s2, 8, v30
	s_delay_alu instid0(VALU_DEP_3) | instskip(NEXT) | instid1(VALU_DEP_2)
	v_dual_mov_b32 v31, v9 :: v_dual_mov_b32 v30, v8
	s_and_saveexec_b32 s21, s2
; %bb.510:                              ;   in Loop: Header=BB337_10 Depth=1
	v_clz_i32_u32_e32 v30, v8
	s_delay_alu instid0(VALU_DEP_1) | instskip(NEXT) | instid1(VALU_DEP_1)
	v_min_u32_e32 v41, 32, v30
	v_subrev_nc_u32_e32 v30, 28, v41
	v_sub_nc_u32_e32 v41, 29, v41
	s_delay_alu instid0(VALU_DEP_2) | instskip(NEXT) | instid1(VALU_DEP_1)
	v_lshlrev_b64 v[30:31], v30, v[8:9]
	v_and_b32_e32 v30, 7, v30
; %bb.511:                              ;   in Loop: Header=BB337_10 Depth=1
	s_or_b32 exec_lo, exec_lo, s21
	v_lshlrev_b32_e32 v8, 8, v43
	v_lshl_add_u32 v31, v41, 10, 0x2000
	s_delay_alu instid0(VALU_DEP_1) | instskip(NEXT) | instid1(VALU_DEP_1)
	v_and_or_b32 v8, 0x8000, v8, v31
	v_lshl_or_b32 v8, v30, 7, v8
	s_delay_alu instid0(VALU_DEP_1)
	v_cvt_f32_f16_e32 v41, v8
.LBB337_512:                            ;   in Loop: Header=BB337_10 Depth=1
	s_or_b32 exec_lo, exec_lo, s20
.LBB337_513:                            ;   in Loop: Header=BB337_10 Depth=1
	s_delay_alu instid0(SALU_CYCLE_1)
	s_or_b32 exec_lo, exec_lo, s19
.LBB337_514:                            ;   in Loop: Header=BB337_10 Depth=1
	s_delay_alu instid0(SALU_CYCLE_1)
	s_or_b32 exec_lo, exec_lo, s3
	v_dual_mov_b32 v43, 0 :: v_dual_mov_b32 v44, 0
	s_mov_b32 s3, exec_lo
	v_cmpx_lt_u32_e32 0xffffff, v45
	s_cbranch_execz .LBB337_522
; %bb.515:                              ;   in Loop: Header=BB337_10 Depth=1
	v_lshrrev_b32_e32 v45, 24, v45
	v_bfrev_b32_e32 v44, 1
	s_mov_b32 s19, exec_lo
	s_delay_alu instid0(VALU_DEP_2)
	v_cmpx_ne_u32_e32 0x80, v45
	s_cbranch_execz .LBB337_521
; %bb.516:                              ;   in Loop: Header=BB337_10 Depth=1
	v_and_b32_e32 v30, 0x7f, v45
	v_mov_b32_e32 v44, 0x7fc02000
	s_mov_b32 s20, exec_lo
	s_delay_alu instid0(VALU_DEP_2)
	v_cmpx_ne_u32_e32 0x7f, v30
	s_cbranch_execz .LBB337_520
; %bb.517:                              ;   in Loop: Header=BB337_10 Depth=1
	v_and_b32_e32 v8, 7, v45
	v_lshrrev_b32_e32 v44, 3, v30
	v_cmp_gt_u32_e64 s2, 8, v30
	s_delay_alu instid0(VALU_DEP_3) | instskip(NEXT) | instid1(VALU_DEP_2)
	v_dual_mov_b32 v31, v9 :: v_dual_mov_b32 v30, v8
	s_and_saveexec_b32 s21, s2
; %bb.518:                              ;   in Loop: Header=BB337_10 Depth=1
	v_clz_i32_u32_e32 v30, v8
	s_delay_alu instid0(VALU_DEP_1) | instskip(NEXT) | instid1(VALU_DEP_1)
	v_min_u32_e32 v44, 32, v30
	v_subrev_nc_u32_e32 v30, 28, v44
	v_sub_nc_u32_e32 v44, 29, v44
	s_delay_alu instid0(VALU_DEP_2) | instskip(NEXT) | instid1(VALU_DEP_1)
	v_lshlrev_b64 v[30:31], v30, v[8:9]
	v_and_b32_e32 v30, 7, v30
; %bb.519:                              ;   in Loop: Header=BB337_10 Depth=1
	s_or_b32 exec_lo, exec_lo, s21
	v_lshlrev_b32_e32 v8, 8, v45
	v_lshl_add_u32 v31, v44, 10, 0x2000
	s_delay_alu instid0(VALU_DEP_1) | instskip(NEXT) | instid1(VALU_DEP_1)
	v_and_or_b32 v8, 0x8000, v8, v31
	v_lshl_or_b32 v8, v30, 7, v8
	s_delay_alu instid0(VALU_DEP_1)
	v_cvt_f32_f16_e32 v44, v8
.LBB337_520:                            ;   in Loop: Header=BB337_10 Depth=1
	s_or_b32 exec_lo, exec_lo, s20
.LBB337_521:                            ;   in Loop: Header=BB337_10 Depth=1
	s_delay_alu instid0(SALU_CYCLE_1)
	s_or_b32 exec_lo, exec_lo, s19
.LBB337_522:                            ;   in Loop: Header=BB337_10 Depth=1
	s_delay_alu instid0(SALU_CYCLE_1) | instskip(SKIP_4) | instid1(VALU_DEP_1)
	s_or_b32 exec_lo, exec_lo, s3
	flat_load_b32 v57, v[28:29] offset:2048
	s_mov_b32 s3, exec_lo
	s_waitcnt vmcnt(0) lgkmcnt(0)
	v_and_b32_e32 v8, 0xff, v57
	v_cmpx_ne_u16_e32 0, v8
	s_cbranch_execz .LBB337_530
; %bb.523:                              ;   in Loop: Header=BB337_10 Depth=1
	v_bfrev_b32_e32 v43, 1
	s_mov_b32 s19, exec_lo
	v_cmpx_ne_u16_e32 0x80, v8
	s_cbranch_execz .LBB337_529
; %bb.524:                              ;   in Loop: Header=BB337_10 Depth=1
	v_and_b32_e32 v30, 0x7f, v57
	v_mov_b32_e32 v43, 0x7fc02000
	s_mov_b32 s20, exec_lo
	s_delay_alu instid0(VALU_DEP_2)
	v_cmpx_ne_u32_e32 0x7f, v30
	s_cbranch_execz .LBB337_528
; %bb.525:                              ;   in Loop: Header=BB337_10 Depth=1
	v_and_b32_e32 v8, 7, v57
	v_lshrrev_b32_e32 v43, 3, v30
	v_cmp_gt_u32_e64 s2, 8, v30
	s_delay_alu instid0(VALU_DEP_3) | instskip(NEXT) | instid1(VALU_DEP_2)
	v_dual_mov_b32 v31, v9 :: v_dual_mov_b32 v30, v8
	s_and_saveexec_b32 s21, s2
; %bb.526:                              ;   in Loop: Header=BB337_10 Depth=1
	v_clz_i32_u32_e32 v30, v8
	s_delay_alu instid0(VALU_DEP_1) | instskip(NEXT) | instid1(VALU_DEP_1)
	v_min_u32_e32 v43, 32, v30
	v_subrev_nc_u32_e32 v30, 28, v43
	v_sub_nc_u32_e32 v43, 29, v43
	s_delay_alu instid0(VALU_DEP_2) | instskip(NEXT) | instid1(VALU_DEP_1)
	v_lshlrev_b64 v[30:31], v30, v[8:9]
	v_and_b32_e32 v30, 7, v30
; %bb.527:                              ;   in Loop: Header=BB337_10 Depth=1
	s_or_b32 exec_lo, exec_lo, s21
	v_lshlrev_b32_e32 v8, 8, v57
	v_lshl_add_u32 v31, v43, 10, 0x2000
	s_delay_alu instid0(VALU_DEP_1) | instskip(NEXT) | instid1(VALU_DEP_1)
	v_and_or_b32 v8, 0x8000, v8, v31
	v_lshl_or_b32 v8, v30, 7, v8
	s_delay_alu instid0(VALU_DEP_1)
	v_cvt_f32_f16_e32 v43, v8
.LBB337_528:                            ;   in Loop: Header=BB337_10 Depth=1
	s_or_b32 exec_lo, exec_lo, s20
.LBB337_529:                            ;   in Loop: Header=BB337_10 Depth=1
	s_delay_alu instid0(SALU_CYCLE_1)
	s_or_b32 exec_lo, exec_lo, s19
.LBB337_530:                            ;   in Loop: Header=BB337_10 Depth=1
	s_delay_alu instid0(SALU_CYCLE_1) | instskip(SKIP_3) | instid1(VALU_DEP_2)
	s_or_b32 exec_lo, exec_lo, s3
	v_lshrrev_b16 v8, 8, v57
	v_dual_mov_b32 v45, 0 :: v_dual_mov_b32 v46, 0
	s_mov_b32 s3, exec_lo
	v_cmpx_ne_u16_e32 0, v8
	s_cbranch_execz .LBB337_538
; %bb.531:                              ;   in Loop: Header=BB337_10 Depth=1
	v_bfrev_b32_e32 v46, 1
	s_mov_b32 s19, exec_lo
	v_cmpx_ne_u16_e32 0x80, v8
	s_cbranch_execz .LBB337_537
; %bb.532:                              ;   in Loop: Header=BB337_10 Depth=1
	v_and_b32_e32 v47, 0xffff, v8
	v_mov_b32_e32 v46, 0x7fc02000
	s_mov_b32 s20, exec_lo
	s_delay_alu instid0(VALU_DEP_2) | instskip(NEXT) | instid1(VALU_DEP_1)
	v_and_b32_e32 v30, 0x7f, v47
	v_cmpx_ne_u32_e32 0x7f, v30
	s_cbranch_execz .LBB337_536
; %bb.533:                              ;   in Loop: Header=BB337_10 Depth=1
	v_and_b32_e32 v8, 7, v47
	v_lshrrev_b32_e32 v46, 3, v30
	v_cmp_gt_u32_e64 s2, 8, v30
	s_delay_alu instid0(VALU_DEP_3) | instskip(NEXT) | instid1(VALU_DEP_2)
	v_dual_mov_b32 v31, v9 :: v_dual_mov_b32 v30, v8
	s_and_saveexec_b32 s21, s2
; %bb.534:                              ;   in Loop: Header=BB337_10 Depth=1
	v_clz_i32_u32_e32 v30, v8
	s_delay_alu instid0(VALU_DEP_1) | instskip(NEXT) | instid1(VALU_DEP_1)
	v_min_u32_e32 v46, 32, v30
	v_subrev_nc_u32_e32 v30, 28, v46
	v_sub_nc_u32_e32 v46, 29, v46
	s_delay_alu instid0(VALU_DEP_2) | instskip(NEXT) | instid1(VALU_DEP_1)
	v_lshlrev_b64 v[30:31], v30, v[8:9]
	v_and_b32_e32 v30, 7, v30
; %bb.535:                              ;   in Loop: Header=BB337_10 Depth=1
	s_or_b32 exec_lo, exec_lo, s21
	v_lshlrev_b32_e32 v8, 8, v47
	v_lshl_add_u32 v31, v46, 10, 0x2000
	s_delay_alu instid0(VALU_DEP_1) | instskip(NEXT) | instid1(VALU_DEP_1)
	v_and_or_b32 v8, 0x8000, v8, v31
	v_lshl_or_b32 v8, v30, 7, v8
	s_delay_alu instid0(VALU_DEP_1)
	v_cvt_f32_f16_e32 v46, v8
.LBB337_536:                            ;   in Loop: Header=BB337_10 Depth=1
	s_or_b32 exec_lo, exec_lo, s20
.LBB337_537:                            ;   in Loop: Header=BB337_10 Depth=1
	s_delay_alu instid0(SALU_CYCLE_1)
	s_or_b32 exec_lo, exec_lo, s19
.LBB337_538:                            ;   in Loop: Header=BB337_10 Depth=1
	s_delay_alu instid0(SALU_CYCLE_1) | instskip(SKIP_2) | instid1(VALU_DEP_1)
	s_or_b32 exec_lo, exec_lo, s3
	v_lshrrev_b32_e32 v47, 16, v57
	s_mov_b32 s3, exec_lo
	v_and_b32_e32 v8, 0xff, v47
	s_delay_alu instid0(VALU_DEP_1)
	v_cmpx_ne_u16_e32 0, v8
	s_cbranch_execz .LBB337_546
; %bb.539:                              ;   in Loop: Header=BB337_10 Depth=1
	v_bfrev_b32_e32 v45, 1
	s_mov_b32 s19, exec_lo
	v_cmpx_ne_u16_e32 0x80, v8
	s_cbranch_execz .LBB337_545
; %bb.540:                              ;   in Loop: Header=BB337_10 Depth=1
	v_bfe_u32 v30, v57, 16, 7
	v_mov_b32_e32 v45, 0x7fc02000
	s_mov_b32 s20, exec_lo
	s_delay_alu instid0(VALU_DEP_2)
	v_cmpx_ne_u32_e32 0x7f, v30
	s_cbranch_execz .LBB337_544
; %bb.541:                              ;   in Loop: Header=BB337_10 Depth=1
	v_and_b32_e32 v8, 7, v47
	v_lshrrev_b32_e32 v45, 3, v30
	v_cmp_gt_u32_e64 s2, 8, v30
	s_delay_alu instid0(VALU_DEP_3) | instskip(NEXT) | instid1(VALU_DEP_2)
	v_dual_mov_b32 v31, v9 :: v_dual_mov_b32 v30, v8
	s_and_saveexec_b32 s21, s2
; %bb.542:                              ;   in Loop: Header=BB337_10 Depth=1
	v_clz_i32_u32_e32 v30, v8
	s_delay_alu instid0(VALU_DEP_1) | instskip(NEXT) | instid1(VALU_DEP_1)
	v_min_u32_e32 v45, 32, v30
	v_subrev_nc_u32_e32 v30, 28, v45
	v_sub_nc_u32_e32 v45, 29, v45
	s_delay_alu instid0(VALU_DEP_2) | instskip(NEXT) | instid1(VALU_DEP_1)
	v_lshlrev_b64 v[30:31], v30, v[8:9]
	v_and_b32_e32 v30, 7, v30
; %bb.543:                              ;   in Loop: Header=BB337_10 Depth=1
	s_or_b32 exec_lo, exec_lo, s21
	v_lshlrev_b32_e32 v8, 8, v47
	v_lshl_add_u32 v31, v45, 10, 0x2000
	s_delay_alu instid0(VALU_DEP_1) | instskip(NEXT) | instid1(VALU_DEP_1)
	v_and_or_b32 v8, 0x8000, v8, v31
	v_lshl_or_b32 v8, v30, 7, v8
	s_delay_alu instid0(VALU_DEP_1)
	v_cvt_f32_f16_e32 v45, v8
.LBB337_544:                            ;   in Loop: Header=BB337_10 Depth=1
	s_or_b32 exec_lo, exec_lo, s20
.LBB337_545:                            ;   in Loop: Header=BB337_10 Depth=1
	s_delay_alu instid0(SALU_CYCLE_1)
	s_or_b32 exec_lo, exec_lo, s19
.LBB337_546:                            ;   in Loop: Header=BB337_10 Depth=1
	s_delay_alu instid0(SALU_CYCLE_1)
	s_or_b32 exec_lo, exec_lo, s3
	v_dual_mov_b32 v47, 0 :: v_dual_mov_b32 v56, 0
	s_mov_b32 s3, exec_lo
	v_cmpx_lt_u32_e32 0xffffff, v57
	s_cbranch_execz .LBB337_554
; %bb.547:                              ;   in Loop: Header=BB337_10 Depth=1
	v_lshrrev_b32_e32 v57, 24, v57
	v_bfrev_b32_e32 v56, 1
	s_mov_b32 s19, exec_lo
	s_delay_alu instid0(VALU_DEP_2)
	v_cmpx_ne_u32_e32 0x80, v57
	s_cbranch_execz .LBB337_553
; %bb.548:                              ;   in Loop: Header=BB337_10 Depth=1
	v_and_b32_e32 v30, 0x7f, v57
	v_mov_b32_e32 v56, 0x7fc02000
	s_mov_b32 s20, exec_lo
	s_delay_alu instid0(VALU_DEP_2)
	v_cmpx_ne_u32_e32 0x7f, v30
	s_cbranch_execz .LBB337_552
; %bb.549:                              ;   in Loop: Header=BB337_10 Depth=1
	v_and_b32_e32 v8, 7, v57
	v_lshrrev_b32_e32 v56, 3, v30
	v_cmp_gt_u32_e64 s2, 8, v30
	s_delay_alu instid0(VALU_DEP_3) | instskip(NEXT) | instid1(VALU_DEP_2)
	v_dual_mov_b32 v31, v9 :: v_dual_mov_b32 v30, v8
	s_and_saveexec_b32 s21, s2
; %bb.550:                              ;   in Loop: Header=BB337_10 Depth=1
	v_clz_i32_u32_e32 v30, v8
	s_delay_alu instid0(VALU_DEP_1) | instskip(NEXT) | instid1(VALU_DEP_1)
	v_min_u32_e32 v56, 32, v30
	v_subrev_nc_u32_e32 v30, 28, v56
	v_sub_nc_u32_e32 v56, 29, v56
	s_delay_alu instid0(VALU_DEP_2) | instskip(NEXT) | instid1(VALU_DEP_1)
	v_lshlrev_b64 v[30:31], v30, v[8:9]
	v_and_b32_e32 v30, 7, v30
; %bb.551:                              ;   in Loop: Header=BB337_10 Depth=1
	s_or_b32 exec_lo, exec_lo, s21
	v_lshlrev_b32_e32 v8, 8, v57
	v_lshl_add_u32 v31, v56, 10, 0x2000
	s_delay_alu instid0(VALU_DEP_1) | instskip(NEXT) | instid1(VALU_DEP_1)
	v_and_or_b32 v8, 0x8000, v8, v31
	v_lshl_or_b32 v8, v30, 7, v8
	s_delay_alu instid0(VALU_DEP_1)
	v_cvt_f32_f16_e32 v56, v8
.LBB337_552:                            ;   in Loop: Header=BB337_10 Depth=1
	s_or_b32 exec_lo, exec_lo, s20
.LBB337_553:                            ;   in Loop: Header=BB337_10 Depth=1
	s_delay_alu instid0(SALU_CYCLE_1)
	s_or_b32 exec_lo, exec_lo, s19
.LBB337_554:                            ;   in Loop: Header=BB337_10 Depth=1
	s_delay_alu instid0(SALU_CYCLE_1) | instskip(SKIP_4) | instid1(VALU_DEP_1)
	s_or_b32 exec_lo, exec_lo, s3
	flat_load_b32 v61, v[28:29] offset:2056
	s_mov_b32 s3, exec_lo
	s_waitcnt vmcnt(0) lgkmcnt(0)
	v_and_b32_e32 v8, 0xff, v61
	v_cmpx_ne_u16_e32 0, v8
	s_cbranch_execz .LBB337_562
; %bb.555:                              ;   in Loop: Header=BB337_10 Depth=1
	v_bfrev_b32_e32 v47, 1
	s_mov_b32 s19, exec_lo
	v_cmpx_ne_u16_e32 0x80, v8
	s_cbranch_execz .LBB337_561
; %bb.556:                              ;   in Loop: Header=BB337_10 Depth=1
	v_and_b32_e32 v30, 0x7f, v61
	v_mov_b32_e32 v47, 0x7fc02000
	s_mov_b32 s20, exec_lo
	s_delay_alu instid0(VALU_DEP_2)
	v_cmpx_ne_u32_e32 0x7f, v30
	s_cbranch_execz .LBB337_560
; %bb.557:                              ;   in Loop: Header=BB337_10 Depth=1
	v_and_b32_e32 v8, 7, v61
	v_lshrrev_b32_e32 v47, 3, v30
	v_cmp_gt_u32_e64 s2, 8, v30
	s_delay_alu instid0(VALU_DEP_3) | instskip(NEXT) | instid1(VALU_DEP_2)
	v_dual_mov_b32 v31, v9 :: v_dual_mov_b32 v30, v8
	s_and_saveexec_b32 s21, s2
; %bb.558:                              ;   in Loop: Header=BB337_10 Depth=1
	v_clz_i32_u32_e32 v30, v8
	s_delay_alu instid0(VALU_DEP_1) | instskip(NEXT) | instid1(VALU_DEP_1)
	v_min_u32_e32 v47, 32, v30
	v_subrev_nc_u32_e32 v30, 28, v47
	v_sub_nc_u32_e32 v47, 29, v47
	s_delay_alu instid0(VALU_DEP_2) | instskip(NEXT) | instid1(VALU_DEP_1)
	v_lshlrev_b64 v[30:31], v30, v[8:9]
	v_and_b32_e32 v30, 7, v30
; %bb.559:                              ;   in Loop: Header=BB337_10 Depth=1
	s_or_b32 exec_lo, exec_lo, s21
	v_lshlrev_b32_e32 v8, 8, v61
	v_lshl_add_u32 v31, v47, 10, 0x2000
	s_delay_alu instid0(VALU_DEP_1) | instskip(NEXT) | instid1(VALU_DEP_1)
	v_and_or_b32 v8, 0x8000, v8, v31
	v_lshl_or_b32 v8, v30, 7, v8
	s_delay_alu instid0(VALU_DEP_1)
	v_cvt_f32_f16_e32 v47, v8
.LBB337_560:                            ;   in Loop: Header=BB337_10 Depth=1
	s_or_b32 exec_lo, exec_lo, s20
.LBB337_561:                            ;   in Loop: Header=BB337_10 Depth=1
	s_delay_alu instid0(SALU_CYCLE_1)
	s_or_b32 exec_lo, exec_lo, s19
.LBB337_562:                            ;   in Loop: Header=BB337_10 Depth=1
	s_delay_alu instid0(SALU_CYCLE_1) | instskip(SKIP_3) | instid1(VALU_DEP_2)
	s_or_b32 exec_lo, exec_lo, s3
	v_lshrrev_b16 v8, 8, v61
	v_dual_mov_b32 v57, 0 :: v_dual_mov_b32 v58, 0
	s_mov_b32 s3, exec_lo
	v_cmpx_ne_u16_e32 0, v8
	s_cbranch_execz .LBB337_570
; %bb.563:                              ;   in Loop: Header=BB337_10 Depth=1
	v_bfrev_b32_e32 v58, 1
	s_mov_b32 s19, exec_lo
	v_cmpx_ne_u16_e32 0x80, v8
	s_cbranch_execz .LBB337_569
; %bb.564:                              ;   in Loop: Header=BB337_10 Depth=1
	v_and_b32_e32 v59, 0xffff, v8
	v_mov_b32_e32 v58, 0x7fc02000
	s_mov_b32 s20, exec_lo
	s_delay_alu instid0(VALU_DEP_2) | instskip(NEXT) | instid1(VALU_DEP_1)
	v_and_b32_e32 v30, 0x7f, v59
	v_cmpx_ne_u32_e32 0x7f, v30
	s_cbranch_execz .LBB337_568
; %bb.565:                              ;   in Loop: Header=BB337_10 Depth=1
	v_and_b32_e32 v8, 7, v59
	v_lshrrev_b32_e32 v58, 3, v30
	v_cmp_gt_u32_e64 s2, 8, v30
	s_delay_alu instid0(VALU_DEP_3) | instskip(NEXT) | instid1(VALU_DEP_2)
	v_dual_mov_b32 v31, v9 :: v_dual_mov_b32 v30, v8
	s_and_saveexec_b32 s21, s2
; %bb.566:                              ;   in Loop: Header=BB337_10 Depth=1
	v_clz_i32_u32_e32 v30, v8
	s_delay_alu instid0(VALU_DEP_1) | instskip(NEXT) | instid1(VALU_DEP_1)
	v_min_u32_e32 v58, 32, v30
	v_subrev_nc_u32_e32 v30, 28, v58
	v_sub_nc_u32_e32 v58, 29, v58
	s_delay_alu instid0(VALU_DEP_2) | instskip(NEXT) | instid1(VALU_DEP_1)
	v_lshlrev_b64 v[30:31], v30, v[8:9]
	v_and_b32_e32 v30, 7, v30
; %bb.567:                              ;   in Loop: Header=BB337_10 Depth=1
	s_or_b32 exec_lo, exec_lo, s21
	v_lshlrev_b32_e32 v8, 8, v59
	v_lshl_add_u32 v31, v58, 10, 0x2000
	s_delay_alu instid0(VALU_DEP_1) | instskip(NEXT) | instid1(VALU_DEP_1)
	v_and_or_b32 v8, 0x8000, v8, v31
	v_lshl_or_b32 v8, v30, 7, v8
	s_delay_alu instid0(VALU_DEP_1)
	v_cvt_f32_f16_e32 v58, v8
.LBB337_568:                            ;   in Loop: Header=BB337_10 Depth=1
	s_or_b32 exec_lo, exec_lo, s20
.LBB337_569:                            ;   in Loop: Header=BB337_10 Depth=1
	s_delay_alu instid0(SALU_CYCLE_1)
	s_or_b32 exec_lo, exec_lo, s19
.LBB337_570:                            ;   in Loop: Header=BB337_10 Depth=1
	s_delay_alu instid0(SALU_CYCLE_1) | instskip(SKIP_2) | instid1(VALU_DEP_1)
	s_or_b32 exec_lo, exec_lo, s3
	v_lshrrev_b32_e32 v59, 16, v61
	s_mov_b32 s3, exec_lo
	v_and_b32_e32 v8, 0xff, v59
	s_delay_alu instid0(VALU_DEP_1)
	v_cmpx_ne_u16_e32 0, v8
	s_cbranch_execz .LBB337_578
; %bb.571:                              ;   in Loop: Header=BB337_10 Depth=1
	v_bfrev_b32_e32 v57, 1
	s_mov_b32 s19, exec_lo
	v_cmpx_ne_u16_e32 0x80, v8
	s_cbranch_execz .LBB337_577
; %bb.572:                              ;   in Loop: Header=BB337_10 Depth=1
	v_bfe_u32 v30, v61, 16, 7
	v_mov_b32_e32 v57, 0x7fc02000
	s_mov_b32 s20, exec_lo
	s_delay_alu instid0(VALU_DEP_2)
	v_cmpx_ne_u32_e32 0x7f, v30
	s_cbranch_execz .LBB337_576
; %bb.573:                              ;   in Loop: Header=BB337_10 Depth=1
	v_and_b32_e32 v8, 7, v59
	v_lshrrev_b32_e32 v57, 3, v30
	v_cmp_gt_u32_e64 s2, 8, v30
	s_delay_alu instid0(VALU_DEP_3) | instskip(NEXT) | instid1(VALU_DEP_2)
	v_dual_mov_b32 v31, v9 :: v_dual_mov_b32 v30, v8
	s_and_saveexec_b32 s21, s2
; %bb.574:                              ;   in Loop: Header=BB337_10 Depth=1
	v_clz_i32_u32_e32 v30, v8
	s_delay_alu instid0(VALU_DEP_1) | instskip(NEXT) | instid1(VALU_DEP_1)
	v_min_u32_e32 v57, 32, v30
	v_subrev_nc_u32_e32 v30, 28, v57
	v_sub_nc_u32_e32 v57, 29, v57
	s_delay_alu instid0(VALU_DEP_2) | instskip(NEXT) | instid1(VALU_DEP_1)
	v_lshlrev_b64 v[30:31], v30, v[8:9]
	v_and_b32_e32 v30, 7, v30
; %bb.575:                              ;   in Loop: Header=BB337_10 Depth=1
	s_or_b32 exec_lo, exec_lo, s21
	v_lshlrev_b32_e32 v8, 8, v59
	v_lshl_add_u32 v31, v57, 10, 0x2000
	s_delay_alu instid0(VALU_DEP_1) | instskip(NEXT) | instid1(VALU_DEP_1)
	v_and_or_b32 v8, 0x8000, v8, v31
	v_lshl_or_b32 v8, v30, 7, v8
	s_delay_alu instid0(VALU_DEP_1)
	v_cvt_f32_f16_e32 v57, v8
.LBB337_576:                            ;   in Loop: Header=BB337_10 Depth=1
	s_or_b32 exec_lo, exec_lo, s20
.LBB337_577:                            ;   in Loop: Header=BB337_10 Depth=1
	s_delay_alu instid0(SALU_CYCLE_1)
	s_or_b32 exec_lo, exec_lo, s19
.LBB337_578:                            ;   in Loop: Header=BB337_10 Depth=1
	s_delay_alu instid0(SALU_CYCLE_1)
	s_or_b32 exec_lo, exec_lo, s3
	v_dual_mov_b32 v59, 0 :: v_dual_mov_b32 v60, 0
	s_mov_b32 s3, exec_lo
	v_cmpx_lt_u32_e32 0xffffff, v61
	s_cbranch_execz .LBB337_586
; %bb.579:                              ;   in Loop: Header=BB337_10 Depth=1
	v_lshrrev_b32_e32 v61, 24, v61
	v_bfrev_b32_e32 v60, 1
	s_mov_b32 s19, exec_lo
	s_delay_alu instid0(VALU_DEP_2)
	v_cmpx_ne_u32_e32 0x80, v61
	s_cbranch_execz .LBB337_585
; %bb.580:                              ;   in Loop: Header=BB337_10 Depth=1
	v_and_b32_e32 v30, 0x7f, v61
	v_mov_b32_e32 v60, 0x7fc02000
	s_mov_b32 s20, exec_lo
	s_delay_alu instid0(VALU_DEP_2)
	v_cmpx_ne_u32_e32 0x7f, v30
	s_cbranch_execz .LBB337_584
; %bb.581:                              ;   in Loop: Header=BB337_10 Depth=1
	v_and_b32_e32 v8, 7, v61
	v_lshrrev_b32_e32 v60, 3, v30
	v_cmp_gt_u32_e64 s2, 8, v30
	s_delay_alu instid0(VALU_DEP_3) | instskip(NEXT) | instid1(VALU_DEP_2)
	v_dual_mov_b32 v31, v9 :: v_dual_mov_b32 v30, v8
	s_and_saveexec_b32 s21, s2
; %bb.582:                              ;   in Loop: Header=BB337_10 Depth=1
	v_clz_i32_u32_e32 v30, v8
	s_delay_alu instid0(VALU_DEP_1) | instskip(NEXT) | instid1(VALU_DEP_1)
	v_min_u32_e32 v60, 32, v30
	v_subrev_nc_u32_e32 v30, 28, v60
	v_sub_nc_u32_e32 v60, 29, v60
	s_delay_alu instid0(VALU_DEP_2) | instskip(NEXT) | instid1(VALU_DEP_1)
	v_lshlrev_b64 v[30:31], v30, v[8:9]
	v_and_b32_e32 v30, 7, v30
; %bb.583:                              ;   in Loop: Header=BB337_10 Depth=1
	s_or_b32 exec_lo, exec_lo, s21
	v_lshlrev_b32_e32 v8, 8, v61
	v_lshl_add_u32 v31, v60, 10, 0x2000
	s_delay_alu instid0(VALU_DEP_1) | instskip(NEXT) | instid1(VALU_DEP_1)
	v_and_or_b32 v8, 0x8000, v8, v31
	v_lshl_or_b32 v8, v30, 7, v8
	s_delay_alu instid0(VALU_DEP_1)
	v_cvt_f32_f16_e32 v60, v8
.LBB337_584:                            ;   in Loop: Header=BB337_10 Depth=1
	s_or_b32 exec_lo, exec_lo, s20
.LBB337_585:                            ;   in Loop: Header=BB337_10 Depth=1
	s_delay_alu instid0(SALU_CYCLE_1)
	s_or_b32 exec_lo, exec_lo, s19
.LBB337_586:                            ;   in Loop: Header=BB337_10 Depth=1
	s_delay_alu instid0(SALU_CYCLE_1) | instskip(SKIP_4) | instid1(VALU_DEP_1)
	s_or_b32 exec_lo, exec_lo, s3
	flat_load_b32 v73, v[28:29] offset:2304
	s_mov_b32 s3, exec_lo
	s_waitcnt vmcnt(0) lgkmcnt(0)
	v_and_b32_e32 v8, 0xff, v73
	v_cmpx_ne_u16_e32 0, v8
	s_cbranch_execz .LBB337_594
; %bb.587:                              ;   in Loop: Header=BB337_10 Depth=1
	v_bfrev_b32_e32 v59, 1
	s_mov_b32 s19, exec_lo
	v_cmpx_ne_u16_e32 0x80, v8
	s_cbranch_execz .LBB337_593
; %bb.588:                              ;   in Loop: Header=BB337_10 Depth=1
	v_and_b32_e32 v30, 0x7f, v73
	v_mov_b32_e32 v59, 0x7fc02000
	s_mov_b32 s20, exec_lo
	s_delay_alu instid0(VALU_DEP_2)
	v_cmpx_ne_u32_e32 0x7f, v30
	s_cbranch_execz .LBB337_592
; %bb.589:                              ;   in Loop: Header=BB337_10 Depth=1
	v_and_b32_e32 v8, 7, v73
	v_lshrrev_b32_e32 v59, 3, v30
	v_cmp_gt_u32_e64 s2, 8, v30
	s_delay_alu instid0(VALU_DEP_3) | instskip(NEXT) | instid1(VALU_DEP_2)
	v_dual_mov_b32 v31, v9 :: v_dual_mov_b32 v30, v8
	s_and_saveexec_b32 s21, s2
; %bb.590:                              ;   in Loop: Header=BB337_10 Depth=1
	v_clz_i32_u32_e32 v30, v8
	s_delay_alu instid0(VALU_DEP_1) | instskip(NEXT) | instid1(VALU_DEP_1)
	v_min_u32_e32 v59, 32, v30
	v_subrev_nc_u32_e32 v30, 28, v59
	v_sub_nc_u32_e32 v59, 29, v59
	s_delay_alu instid0(VALU_DEP_2) | instskip(NEXT) | instid1(VALU_DEP_1)
	v_lshlrev_b64 v[30:31], v30, v[8:9]
	v_and_b32_e32 v30, 7, v30
; %bb.591:                              ;   in Loop: Header=BB337_10 Depth=1
	s_or_b32 exec_lo, exec_lo, s21
	v_lshlrev_b32_e32 v8, 8, v73
	v_lshl_add_u32 v31, v59, 10, 0x2000
	s_delay_alu instid0(VALU_DEP_1) | instskip(NEXT) | instid1(VALU_DEP_1)
	v_and_or_b32 v8, 0x8000, v8, v31
	v_lshl_or_b32 v8, v30, 7, v8
	s_delay_alu instid0(VALU_DEP_1)
	v_cvt_f32_f16_e32 v59, v8
.LBB337_592:                            ;   in Loop: Header=BB337_10 Depth=1
	s_or_b32 exec_lo, exec_lo, s20
.LBB337_593:                            ;   in Loop: Header=BB337_10 Depth=1
	s_delay_alu instid0(SALU_CYCLE_1)
	s_or_b32 exec_lo, exec_lo, s19
.LBB337_594:                            ;   in Loop: Header=BB337_10 Depth=1
	s_delay_alu instid0(SALU_CYCLE_1) | instskip(SKIP_3) | instid1(VALU_DEP_2)
	s_or_b32 exec_lo, exec_lo, s3
	v_lshrrev_b16 v8, 8, v73
	v_dual_mov_b32 v61, 0 :: v_dual_mov_b32 v62, 0
	s_mov_b32 s3, exec_lo
	v_cmpx_ne_u16_e32 0, v8
	s_cbranch_execz .LBB337_602
; %bb.595:                              ;   in Loop: Header=BB337_10 Depth=1
	v_bfrev_b32_e32 v62, 1
	s_mov_b32 s19, exec_lo
	v_cmpx_ne_u16_e32 0x80, v8
	s_cbranch_execz .LBB337_601
; %bb.596:                              ;   in Loop: Header=BB337_10 Depth=1
	v_and_b32_e32 v63, 0xffff, v8
	v_mov_b32_e32 v62, 0x7fc02000
	s_mov_b32 s20, exec_lo
	s_delay_alu instid0(VALU_DEP_2) | instskip(NEXT) | instid1(VALU_DEP_1)
	v_and_b32_e32 v30, 0x7f, v63
	v_cmpx_ne_u32_e32 0x7f, v30
	s_cbranch_execz .LBB337_600
; %bb.597:                              ;   in Loop: Header=BB337_10 Depth=1
	v_and_b32_e32 v8, 7, v63
	v_lshrrev_b32_e32 v62, 3, v30
	v_cmp_gt_u32_e64 s2, 8, v30
	s_delay_alu instid0(VALU_DEP_3) | instskip(NEXT) | instid1(VALU_DEP_2)
	v_dual_mov_b32 v31, v9 :: v_dual_mov_b32 v30, v8
	s_and_saveexec_b32 s21, s2
; %bb.598:                              ;   in Loop: Header=BB337_10 Depth=1
	v_clz_i32_u32_e32 v30, v8
	s_delay_alu instid0(VALU_DEP_1) | instskip(NEXT) | instid1(VALU_DEP_1)
	v_min_u32_e32 v62, 32, v30
	v_subrev_nc_u32_e32 v30, 28, v62
	v_sub_nc_u32_e32 v62, 29, v62
	s_delay_alu instid0(VALU_DEP_2) | instskip(NEXT) | instid1(VALU_DEP_1)
	v_lshlrev_b64 v[30:31], v30, v[8:9]
	v_and_b32_e32 v30, 7, v30
; %bb.599:                              ;   in Loop: Header=BB337_10 Depth=1
	s_or_b32 exec_lo, exec_lo, s21
	v_lshlrev_b32_e32 v8, 8, v63
	v_lshl_add_u32 v31, v62, 10, 0x2000
	s_delay_alu instid0(VALU_DEP_1) | instskip(NEXT) | instid1(VALU_DEP_1)
	v_and_or_b32 v8, 0x8000, v8, v31
	v_lshl_or_b32 v8, v30, 7, v8
	s_delay_alu instid0(VALU_DEP_1)
	v_cvt_f32_f16_e32 v62, v8
.LBB337_600:                            ;   in Loop: Header=BB337_10 Depth=1
	s_or_b32 exec_lo, exec_lo, s20
.LBB337_601:                            ;   in Loop: Header=BB337_10 Depth=1
	s_delay_alu instid0(SALU_CYCLE_1)
	s_or_b32 exec_lo, exec_lo, s19
.LBB337_602:                            ;   in Loop: Header=BB337_10 Depth=1
	s_delay_alu instid0(SALU_CYCLE_1) | instskip(SKIP_2) | instid1(VALU_DEP_1)
	s_or_b32 exec_lo, exec_lo, s3
	v_lshrrev_b32_e32 v63, 16, v73
	s_mov_b32 s3, exec_lo
	v_and_b32_e32 v8, 0xff, v63
	s_delay_alu instid0(VALU_DEP_1)
	v_cmpx_ne_u16_e32 0, v8
	s_cbranch_execz .LBB337_610
; %bb.603:                              ;   in Loop: Header=BB337_10 Depth=1
	v_bfrev_b32_e32 v61, 1
	s_mov_b32 s19, exec_lo
	v_cmpx_ne_u16_e32 0x80, v8
	s_cbranch_execz .LBB337_609
; %bb.604:                              ;   in Loop: Header=BB337_10 Depth=1
	v_bfe_u32 v30, v73, 16, 7
	v_mov_b32_e32 v61, 0x7fc02000
	s_mov_b32 s20, exec_lo
	s_delay_alu instid0(VALU_DEP_2)
	v_cmpx_ne_u32_e32 0x7f, v30
	s_cbranch_execz .LBB337_608
; %bb.605:                              ;   in Loop: Header=BB337_10 Depth=1
	v_and_b32_e32 v8, 7, v63
	v_lshrrev_b32_e32 v61, 3, v30
	v_cmp_gt_u32_e64 s2, 8, v30
	s_delay_alu instid0(VALU_DEP_3) | instskip(NEXT) | instid1(VALU_DEP_2)
	v_dual_mov_b32 v31, v9 :: v_dual_mov_b32 v30, v8
	s_and_saveexec_b32 s21, s2
; %bb.606:                              ;   in Loop: Header=BB337_10 Depth=1
	v_clz_i32_u32_e32 v30, v8
	s_delay_alu instid0(VALU_DEP_1) | instskip(NEXT) | instid1(VALU_DEP_1)
	v_min_u32_e32 v61, 32, v30
	v_subrev_nc_u32_e32 v30, 28, v61
	v_sub_nc_u32_e32 v61, 29, v61
	s_delay_alu instid0(VALU_DEP_2) | instskip(NEXT) | instid1(VALU_DEP_1)
	v_lshlrev_b64 v[30:31], v30, v[8:9]
	v_and_b32_e32 v30, 7, v30
; %bb.607:                              ;   in Loop: Header=BB337_10 Depth=1
	s_or_b32 exec_lo, exec_lo, s21
	v_lshlrev_b32_e32 v8, 8, v63
	v_lshl_add_u32 v31, v61, 10, 0x2000
	s_delay_alu instid0(VALU_DEP_1) | instskip(NEXT) | instid1(VALU_DEP_1)
	v_and_or_b32 v8, 0x8000, v8, v31
	v_lshl_or_b32 v8, v30, 7, v8
	s_delay_alu instid0(VALU_DEP_1)
	v_cvt_f32_f16_e32 v61, v8
.LBB337_608:                            ;   in Loop: Header=BB337_10 Depth=1
	s_or_b32 exec_lo, exec_lo, s20
.LBB337_609:                            ;   in Loop: Header=BB337_10 Depth=1
	s_delay_alu instid0(SALU_CYCLE_1)
	s_or_b32 exec_lo, exec_lo, s19
.LBB337_610:                            ;   in Loop: Header=BB337_10 Depth=1
	s_delay_alu instid0(SALU_CYCLE_1)
	s_or_b32 exec_lo, exec_lo, s3
	v_dual_mov_b32 v63, 0 :: v_dual_mov_b32 v72, 0
	s_mov_b32 s3, exec_lo
	v_cmpx_lt_u32_e32 0xffffff, v73
	s_cbranch_execz .LBB337_618
; %bb.611:                              ;   in Loop: Header=BB337_10 Depth=1
	v_lshrrev_b32_e32 v73, 24, v73
	v_bfrev_b32_e32 v72, 1
	s_mov_b32 s19, exec_lo
	s_delay_alu instid0(VALU_DEP_2)
	v_cmpx_ne_u32_e32 0x80, v73
	s_cbranch_execz .LBB337_617
; %bb.612:                              ;   in Loop: Header=BB337_10 Depth=1
	v_and_b32_e32 v30, 0x7f, v73
	v_mov_b32_e32 v72, 0x7fc02000
	s_mov_b32 s20, exec_lo
	s_delay_alu instid0(VALU_DEP_2)
	v_cmpx_ne_u32_e32 0x7f, v30
	s_cbranch_execz .LBB337_616
; %bb.613:                              ;   in Loop: Header=BB337_10 Depth=1
	v_and_b32_e32 v8, 7, v73
	v_lshrrev_b32_e32 v72, 3, v30
	v_cmp_gt_u32_e64 s2, 8, v30
	s_delay_alu instid0(VALU_DEP_3) | instskip(NEXT) | instid1(VALU_DEP_2)
	v_dual_mov_b32 v31, v9 :: v_dual_mov_b32 v30, v8
	s_and_saveexec_b32 s21, s2
; %bb.614:                              ;   in Loop: Header=BB337_10 Depth=1
	v_clz_i32_u32_e32 v30, v8
	s_delay_alu instid0(VALU_DEP_1) | instskip(NEXT) | instid1(VALU_DEP_1)
	v_min_u32_e32 v72, 32, v30
	v_subrev_nc_u32_e32 v30, 28, v72
	v_sub_nc_u32_e32 v72, 29, v72
	s_delay_alu instid0(VALU_DEP_2) | instskip(NEXT) | instid1(VALU_DEP_1)
	v_lshlrev_b64 v[30:31], v30, v[8:9]
	v_and_b32_e32 v30, 7, v30
; %bb.615:                              ;   in Loop: Header=BB337_10 Depth=1
	s_or_b32 exec_lo, exec_lo, s21
	v_lshlrev_b32_e32 v8, 8, v73
	v_lshl_add_u32 v31, v72, 10, 0x2000
	s_delay_alu instid0(VALU_DEP_1) | instskip(NEXT) | instid1(VALU_DEP_1)
	v_and_or_b32 v8, 0x8000, v8, v31
	v_lshl_or_b32 v8, v30, 7, v8
	s_delay_alu instid0(VALU_DEP_1)
	v_cvt_f32_f16_e32 v72, v8
.LBB337_616:                            ;   in Loop: Header=BB337_10 Depth=1
	s_or_b32 exec_lo, exec_lo, s20
.LBB337_617:                            ;   in Loop: Header=BB337_10 Depth=1
	s_delay_alu instid0(SALU_CYCLE_1)
	s_or_b32 exec_lo, exec_lo, s19
.LBB337_618:                            ;   in Loop: Header=BB337_10 Depth=1
	s_delay_alu instid0(SALU_CYCLE_1) | instskip(SKIP_4) | instid1(VALU_DEP_1)
	s_or_b32 exec_lo, exec_lo, s3
	flat_load_b32 v77, v[28:29] offset:2312
	s_mov_b32 s3, exec_lo
	s_waitcnt vmcnt(0) lgkmcnt(0)
	v_and_b32_e32 v8, 0xff, v77
	v_cmpx_ne_u16_e32 0, v8
	s_cbranch_execz .LBB337_626
; %bb.619:                              ;   in Loop: Header=BB337_10 Depth=1
	v_bfrev_b32_e32 v63, 1
	s_mov_b32 s19, exec_lo
	v_cmpx_ne_u16_e32 0x80, v8
	s_cbranch_execz .LBB337_625
; %bb.620:                              ;   in Loop: Header=BB337_10 Depth=1
	v_and_b32_e32 v30, 0x7f, v77
	v_mov_b32_e32 v63, 0x7fc02000
	s_mov_b32 s20, exec_lo
	s_delay_alu instid0(VALU_DEP_2)
	v_cmpx_ne_u32_e32 0x7f, v30
	s_cbranch_execz .LBB337_624
; %bb.621:                              ;   in Loop: Header=BB337_10 Depth=1
	v_and_b32_e32 v8, 7, v77
	v_lshrrev_b32_e32 v63, 3, v30
	v_cmp_gt_u32_e64 s2, 8, v30
	s_delay_alu instid0(VALU_DEP_3) | instskip(NEXT) | instid1(VALU_DEP_2)
	v_dual_mov_b32 v31, v9 :: v_dual_mov_b32 v30, v8
	s_and_saveexec_b32 s21, s2
; %bb.622:                              ;   in Loop: Header=BB337_10 Depth=1
	v_clz_i32_u32_e32 v30, v8
	s_delay_alu instid0(VALU_DEP_1) | instskip(NEXT) | instid1(VALU_DEP_1)
	v_min_u32_e32 v63, 32, v30
	v_subrev_nc_u32_e32 v30, 28, v63
	v_sub_nc_u32_e32 v63, 29, v63
	s_delay_alu instid0(VALU_DEP_2) | instskip(NEXT) | instid1(VALU_DEP_1)
	v_lshlrev_b64 v[30:31], v30, v[8:9]
	v_and_b32_e32 v30, 7, v30
; %bb.623:                              ;   in Loop: Header=BB337_10 Depth=1
	s_or_b32 exec_lo, exec_lo, s21
	v_lshlrev_b32_e32 v8, 8, v77
	v_lshl_add_u32 v31, v63, 10, 0x2000
	s_delay_alu instid0(VALU_DEP_1) | instskip(NEXT) | instid1(VALU_DEP_1)
	v_and_or_b32 v8, 0x8000, v8, v31
	v_lshl_or_b32 v8, v30, 7, v8
	s_delay_alu instid0(VALU_DEP_1)
	v_cvt_f32_f16_e32 v63, v8
.LBB337_624:                            ;   in Loop: Header=BB337_10 Depth=1
	s_or_b32 exec_lo, exec_lo, s20
.LBB337_625:                            ;   in Loop: Header=BB337_10 Depth=1
	s_delay_alu instid0(SALU_CYCLE_1)
	s_or_b32 exec_lo, exec_lo, s19
.LBB337_626:                            ;   in Loop: Header=BB337_10 Depth=1
	s_delay_alu instid0(SALU_CYCLE_1) | instskip(SKIP_3) | instid1(VALU_DEP_2)
	s_or_b32 exec_lo, exec_lo, s3
	v_lshrrev_b16 v8, 8, v77
	v_dual_mov_b32 v73, 0 :: v_dual_mov_b32 v74, 0
	s_mov_b32 s3, exec_lo
	v_cmpx_ne_u16_e32 0, v8
	s_cbranch_execz .LBB337_634
; %bb.627:                              ;   in Loop: Header=BB337_10 Depth=1
	v_bfrev_b32_e32 v74, 1
	s_mov_b32 s19, exec_lo
	v_cmpx_ne_u16_e32 0x80, v8
	s_cbranch_execz .LBB337_633
; %bb.628:                              ;   in Loop: Header=BB337_10 Depth=1
	v_and_b32_e32 v75, 0xffff, v8
	v_mov_b32_e32 v74, 0x7fc02000
	s_mov_b32 s20, exec_lo
	s_delay_alu instid0(VALU_DEP_2) | instskip(NEXT) | instid1(VALU_DEP_1)
	v_and_b32_e32 v30, 0x7f, v75
	v_cmpx_ne_u32_e32 0x7f, v30
	s_cbranch_execz .LBB337_632
; %bb.629:                              ;   in Loop: Header=BB337_10 Depth=1
	v_and_b32_e32 v8, 7, v75
	v_lshrrev_b32_e32 v74, 3, v30
	v_cmp_gt_u32_e64 s2, 8, v30
	s_delay_alu instid0(VALU_DEP_3) | instskip(NEXT) | instid1(VALU_DEP_2)
	v_dual_mov_b32 v31, v9 :: v_dual_mov_b32 v30, v8
	s_and_saveexec_b32 s21, s2
; %bb.630:                              ;   in Loop: Header=BB337_10 Depth=1
	v_clz_i32_u32_e32 v30, v8
	s_delay_alu instid0(VALU_DEP_1) | instskip(NEXT) | instid1(VALU_DEP_1)
	v_min_u32_e32 v74, 32, v30
	v_subrev_nc_u32_e32 v30, 28, v74
	v_sub_nc_u32_e32 v74, 29, v74
	s_delay_alu instid0(VALU_DEP_2) | instskip(NEXT) | instid1(VALU_DEP_1)
	v_lshlrev_b64 v[30:31], v30, v[8:9]
	v_and_b32_e32 v30, 7, v30
; %bb.631:                              ;   in Loop: Header=BB337_10 Depth=1
	s_or_b32 exec_lo, exec_lo, s21
	v_lshlrev_b32_e32 v8, 8, v75
	v_lshl_add_u32 v31, v74, 10, 0x2000
	s_delay_alu instid0(VALU_DEP_1) | instskip(NEXT) | instid1(VALU_DEP_1)
	v_and_or_b32 v8, 0x8000, v8, v31
	v_lshl_or_b32 v8, v30, 7, v8
	s_delay_alu instid0(VALU_DEP_1)
	v_cvt_f32_f16_e32 v74, v8
.LBB337_632:                            ;   in Loop: Header=BB337_10 Depth=1
	s_or_b32 exec_lo, exec_lo, s20
.LBB337_633:                            ;   in Loop: Header=BB337_10 Depth=1
	s_delay_alu instid0(SALU_CYCLE_1)
	s_or_b32 exec_lo, exec_lo, s19
.LBB337_634:                            ;   in Loop: Header=BB337_10 Depth=1
	s_delay_alu instid0(SALU_CYCLE_1) | instskip(SKIP_2) | instid1(VALU_DEP_1)
	s_or_b32 exec_lo, exec_lo, s3
	v_lshrrev_b32_e32 v75, 16, v77
	s_mov_b32 s3, exec_lo
	v_and_b32_e32 v8, 0xff, v75
	s_delay_alu instid0(VALU_DEP_1)
	v_cmpx_ne_u16_e32 0, v8
	s_cbranch_execz .LBB337_642
; %bb.635:                              ;   in Loop: Header=BB337_10 Depth=1
	v_bfrev_b32_e32 v73, 1
	s_mov_b32 s19, exec_lo
	v_cmpx_ne_u16_e32 0x80, v8
	s_cbranch_execz .LBB337_641
; %bb.636:                              ;   in Loop: Header=BB337_10 Depth=1
	v_bfe_u32 v30, v77, 16, 7
	v_mov_b32_e32 v73, 0x7fc02000
	s_mov_b32 s20, exec_lo
	s_delay_alu instid0(VALU_DEP_2)
	v_cmpx_ne_u32_e32 0x7f, v30
	s_cbranch_execz .LBB337_640
; %bb.637:                              ;   in Loop: Header=BB337_10 Depth=1
	v_and_b32_e32 v8, 7, v75
	v_lshrrev_b32_e32 v73, 3, v30
	v_cmp_gt_u32_e64 s2, 8, v30
	s_delay_alu instid0(VALU_DEP_3) | instskip(NEXT) | instid1(VALU_DEP_2)
	v_dual_mov_b32 v31, v9 :: v_dual_mov_b32 v30, v8
	s_and_saveexec_b32 s21, s2
; %bb.638:                              ;   in Loop: Header=BB337_10 Depth=1
	v_clz_i32_u32_e32 v30, v8
	s_delay_alu instid0(VALU_DEP_1) | instskip(NEXT) | instid1(VALU_DEP_1)
	v_min_u32_e32 v73, 32, v30
	v_subrev_nc_u32_e32 v30, 28, v73
	v_sub_nc_u32_e32 v73, 29, v73
	s_delay_alu instid0(VALU_DEP_2) | instskip(NEXT) | instid1(VALU_DEP_1)
	v_lshlrev_b64 v[30:31], v30, v[8:9]
	v_and_b32_e32 v30, 7, v30
; %bb.639:                              ;   in Loop: Header=BB337_10 Depth=1
	s_or_b32 exec_lo, exec_lo, s21
	v_lshlrev_b32_e32 v8, 8, v75
	v_lshl_add_u32 v31, v73, 10, 0x2000
	s_delay_alu instid0(VALU_DEP_1) | instskip(NEXT) | instid1(VALU_DEP_1)
	v_and_or_b32 v8, 0x8000, v8, v31
	v_lshl_or_b32 v8, v30, 7, v8
	s_delay_alu instid0(VALU_DEP_1)
	v_cvt_f32_f16_e32 v73, v8
.LBB337_640:                            ;   in Loop: Header=BB337_10 Depth=1
	s_or_b32 exec_lo, exec_lo, s20
.LBB337_641:                            ;   in Loop: Header=BB337_10 Depth=1
	s_delay_alu instid0(SALU_CYCLE_1)
	s_or_b32 exec_lo, exec_lo, s19
.LBB337_642:                            ;   in Loop: Header=BB337_10 Depth=1
	s_delay_alu instid0(SALU_CYCLE_1)
	s_or_b32 exec_lo, exec_lo, s3
	v_dual_mov_b32 v75, 0 :: v_dual_mov_b32 v76, 0
	s_mov_b32 s3, exec_lo
	v_cmpx_lt_u32_e32 0xffffff, v77
	s_cbranch_execz .LBB337_650
; %bb.643:                              ;   in Loop: Header=BB337_10 Depth=1
	v_lshrrev_b32_e32 v77, 24, v77
	v_bfrev_b32_e32 v76, 1
	s_mov_b32 s19, exec_lo
	s_delay_alu instid0(VALU_DEP_2)
	v_cmpx_ne_u32_e32 0x80, v77
	s_cbranch_execz .LBB337_649
; %bb.644:                              ;   in Loop: Header=BB337_10 Depth=1
	v_and_b32_e32 v30, 0x7f, v77
	v_mov_b32_e32 v76, 0x7fc02000
	s_mov_b32 s20, exec_lo
	s_delay_alu instid0(VALU_DEP_2)
	v_cmpx_ne_u32_e32 0x7f, v30
	s_cbranch_execz .LBB337_648
; %bb.645:                              ;   in Loop: Header=BB337_10 Depth=1
	v_and_b32_e32 v8, 7, v77
	v_lshrrev_b32_e32 v76, 3, v30
	v_cmp_gt_u32_e64 s2, 8, v30
	s_delay_alu instid0(VALU_DEP_3) | instskip(NEXT) | instid1(VALU_DEP_2)
	v_dual_mov_b32 v31, v9 :: v_dual_mov_b32 v30, v8
	s_and_saveexec_b32 s21, s2
; %bb.646:                              ;   in Loop: Header=BB337_10 Depth=1
	v_clz_i32_u32_e32 v30, v8
	s_delay_alu instid0(VALU_DEP_1) | instskip(NEXT) | instid1(VALU_DEP_1)
	v_min_u32_e32 v76, 32, v30
	v_subrev_nc_u32_e32 v30, 28, v76
	v_sub_nc_u32_e32 v76, 29, v76
	s_delay_alu instid0(VALU_DEP_2) | instskip(NEXT) | instid1(VALU_DEP_1)
	v_lshlrev_b64 v[30:31], v30, v[8:9]
	v_and_b32_e32 v30, 7, v30
; %bb.647:                              ;   in Loop: Header=BB337_10 Depth=1
	s_or_b32 exec_lo, exec_lo, s21
	v_lshlrev_b32_e32 v8, 8, v77
	v_lshl_add_u32 v31, v76, 10, 0x2000
	s_delay_alu instid0(VALU_DEP_1) | instskip(NEXT) | instid1(VALU_DEP_1)
	v_and_or_b32 v8, 0x8000, v8, v31
	v_lshl_or_b32 v8, v30, 7, v8
	s_delay_alu instid0(VALU_DEP_1)
	v_cvt_f32_f16_e32 v76, v8
.LBB337_648:                            ;   in Loop: Header=BB337_10 Depth=1
	s_or_b32 exec_lo, exec_lo, s20
.LBB337_649:                            ;   in Loop: Header=BB337_10 Depth=1
	s_delay_alu instid0(SALU_CYCLE_1)
	s_or_b32 exec_lo, exec_lo, s19
.LBB337_650:                            ;   in Loop: Header=BB337_10 Depth=1
	s_delay_alu instid0(SALU_CYCLE_1) | instskip(SKIP_4) | instid1(VALU_DEP_1)
	s_or_b32 exec_lo, exec_lo, s3
	flat_load_b32 v89, v[28:29] offset:2560
	s_mov_b32 s3, exec_lo
	s_waitcnt vmcnt(0) lgkmcnt(0)
	v_and_b32_e32 v8, 0xff, v89
	v_cmpx_ne_u16_e32 0, v8
	s_cbranch_execz .LBB337_658
; %bb.651:                              ;   in Loop: Header=BB337_10 Depth=1
	v_bfrev_b32_e32 v75, 1
	s_mov_b32 s19, exec_lo
	v_cmpx_ne_u16_e32 0x80, v8
	s_cbranch_execz .LBB337_657
; %bb.652:                              ;   in Loop: Header=BB337_10 Depth=1
	v_and_b32_e32 v30, 0x7f, v89
	v_mov_b32_e32 v75, 0x7fc02000
	s_mov_b32 s20, exec_lo
	s_delay_alu instid0(VALU_DEP_2)
	v_cmpx_ne_u32_e32 0x7f, v30
	s_cbranch_execz .LBB337_656
; %bb.653:                              ;   in Loop: Header=BB337_10 Depth=1
	v_and_b32_e32 v8, 7, v89
	v_lshrrev_b32_e32 v75, 3, v30
	v_cmp_gt_u32_e64 s2, 8, v30
	s_delay_alu instid0(VALU_DEP_3) | instskip(NEXT) | instid1(VALU_DEP_2)
	v_dual_mov_b32 v31, v9 :: v_dual_mov_b32 v30, v8
	s_and_saveexec_b32 s21, s2
; %bb.654:                              ;   in Loop: Header=BB337_10 Depth=1
	v_clz_i32_u32_e32 v30, v8
	s_delay_alu instid0(VALU_DEP_1) | instskip(NEXT) | instid1(VALU_DEP_1)
	v_min_u32_e32 v75, 32, v30
	v_subrev_nc_u32_e32 v30, 28, v75
	v_sub_nc_u32_e32 v75, 29, v75
	s_delay_alu instid0(VALU_DEP_2) | instskip(NEXT) | instid1(VALU_DEP_1)
	v_lshlrev_b64 v[30:31], v30, v[8:9]
	v_and_b32_e32 v30, 7, v30
; %bb.655:                              ;   in Loop: Header=BB337_10 Depth=1
	s_or_b32 exec_lo, exec_lo, s21
	v_lshlrev_b32_e32 v8, 8, v89
	v_lshl_add_u32 v31, v75, 10, 0x2000
	s_delay_alu instid0(VALU_DEP_1) | instskip(NEXT) | instid1(VALU_DEP_1)
	v_and_or_b32 v8, 0x8000, v8, v31
	v_lshl_or_b32 v8, v30, 7, v8
	s_delay_alu instid0(VALU_DEP_1)
	v_cvt_f32_f16_e32 v75, v8
.LBB337_656:                            ;   in Loop: Header=BB337_10 Depth=1
	s_or_b32 exec_lo, exec_lo, s20
.LBB337_657:                            ;   in Loop: Header=BB337_10 Depth=1
	s_delay_alu instid0(SALU_CYCLE_1)
	s_or_b32 exec_lo, exec_lo, s19
.LBB337_658:                            ;   in Loop: Header=BB337_10 Depth=1
	s_delay_alu instid0(SALU_CYCLE_1) | instskip(SKIP_3) | instid1(VALU_DEP_2)
	s_or_b32 exec_lo, exec_lo, s3
	v_lshrrev_b16 v8, 8, v89
	v_dual_mov_b32 v77, 0 :: v_dual_mov_b32 v78, 0
	s_mov_b32 s3, exec_lo
	v_cmpx_ne_u16_e32 0, v8
	s_cbranch_execz .LBB337_666
; %bb.659:                              ;   in Loop: Header=BB337_10 Depth=1
	v_bfrev_b32_e32 v78, 1
	s_mov_b32 s19, exec_lo
	v_cmpx_ne_u16_e32 0x80, v8
	s_cbranch_execz .LBB337_665
; %bb.660:                              ;   in Loop: Header=BB337_10 Depth=1
	v_and_b32_e32 v79, 0xffff, v8
	v_mov_b32_e32 v78, 0x7fc02000
	s_mov_b32 s20, exec_lo
	s_delay_alu instid0(VALU_DEP_2) | instskip(NEXT) | instid1(VALU_DEP_1)
	v_and_b32_e32 v30, 0x7f, v79
	v_cmpx_ne_u32_e32 0x7f, v30
	s_cbranch_execz .LBB337_664
; %bb.661:                              ;   in Loop: Header=BB337_10 Depth=1
	v_and_b32_e32 v8, 7, v79
	v_lshrrev_b32_e32 v78, 3, v30
	v_cmp_gt_u32_e64 s2, 8, v30
	s_delay_alu instid0(VALU_DEP_3) | instskip(NEXT) | instid1(VALU_DEP_2)
	v_dual_mov_b32 v31, v9 :: v_dual_mov_b32 v30, v8
	s_and_saveexec_b32 s21, s2
; %bb.662:                              ;   in Loop: Header=BB337_10 Depth=1
	v_clz_i32_u32_e32 v30, v8
	s_delay_alu instid0(VALU_DEP_1) | instskip(NEXT) | instid1(VALU_DEP_1)
	v_min_u32_e32 v78, 32, v30
	v_subrev_nc_u32_e32 v30, 28, v78
	v_sub_nc_u32_e32 v78, 29, v78
	s_delay_alu instid0(VALU_DEP_2) | instskip(NEXT) | instid1(VALU_DEP_1)
	v_lshlrev_b64 v[30:31], v30, v[8:9]
	v_and_b32_e32 v30, 7, v30
; %bb.663:                              ;   in Loop: Header=BB337_10 Depth=1
	s_or_b32 exec_lo, exec_lo, s21
	v_lshlrev_b32_e32 v8, 8, v79
	v_lshl_add_u32 v31, v78, 10, 0x2000
	s_delay_alu instid0(VALU_DEP_1) | instskip(NEXT) | instid1(VALU_DEP_1)
	v_and_or_b32 v8, 0x8000, v8, v31
	v_lshl_or_b32 v8, v30, 7, v8
	s_delay_alu instid0(VALU_DEP_1)
	v_cvt_f32_f16_e32 v78, v8
.LBB337_664:                            ;   in Loop: Header=BB337_10 Depth=1
	s_or_b32 exec_lo, exec_lo, s20
.LBB337_665:                            ;   in Loop: Header=BB337_10 Depth=1
	s_delay_alu instid0(SALU_CYCLE_1)
	s_or_b32 exec_lo, exec_lo, s19
.LBB337_666:                            ;   in Loop: Header=BB337_10 Depth=1
	s_delay_alu instid0(SALU_CYCLE_1) | instskip(SKIP_2) | instid1(VALU_DEP_1)
	s_or_b32 exec_lo, exec_lo, s3
	v_lshrrev_b32_e32 v79, 16, v89
	s_mov_b32 s3, exec_lo
	v_and_b32_e32 v8, 0xff, v79
	s_delay_alu instid0(VALU_DEP_1)
	v_cmpx_ne_u16_e32 0, v8
	s_cbranch_execz .LBB337_674
; %bb.667:                              ;   in Loop: Header=BB337_10 Depth=1
	v_bfrev_b32_e32 v77, 1
	s_mov_b32 s19, exec_lo
	v_cmpx_ne_u16_e32 0x80, v8
	s_cbranch_execz .LBB337_673
; %bb.668:                              ;   in Loop: Header=BB337_10 Depth=1
	v_bfe_u32 v30, v89, 16, 7
	v_mov_b32_e32 v77, 0x7fc02000
	s_mov_b32 s20, exec_lo
	s_delay_alu instid0(VALU_DEP_2)
	v_cmpx_ne_u32_e32 0x7f, v30
	s_cbranch_execz .LBB337_672
; %bb.669:                              ;   in Loop: Header=BB337_10 Depth=1
	v_and_b32_e32 v8, 7, v79
	v_lshrrev_b32_e32 v77, 3, v30
	v_cmp_gt_u32_e64 s2, 8, v30
	s_delay_alu instid0(VALU_DEP_3) | instskip(NEXT) | instid1(VALU_DEP_2)
	v_dual_mov_b32 v31, v9 :: v_dual_mov_b32 v30, v8
	s_and_saveexec_b32 s21, s2
; %bb.670:                              ;   in Loop: Header=BB337_10 Depth=1
	v_clz_i32_u32_e32 v30, v8
	s_delay_alu instid0(VALU_DEP_1) | instskip(NEXT) | instid1(VALU_DEP_1)
	v_min_u32_e32 v77, 32, v30
	v_subrev_nc_u32_e32 v30, 28, v77
	v_sub_nc_u32_e32 v77, 29, v77
	s_delay_alu instid0(VALU_DEP_2) | instskip(NEXT) | instid1(VALU_DEP_1)
	v_lshlrev_b64 v[30:31], v30, v[8:9]
	v_and_b32_e32 v30, 7, v30
; %bb.671:                              ;   in Loop: Header=BB337_10 Depth=1
	s_or_b32 exec_lo, exec_lo, s21
	v_lshlrev_b32_e32 v8, 8, v79
	v_lshl_add_u32 v31, v77, 10, 0x2000
	s_delay_alu instid0(VALU_DEP_1) | instskip(NEXT) | instid1(VALU_DEP_1)
	v_and_or_b32 v8, 0x8000, v8, v31
	v_lshl_or_b32 v8, v30, 7, v8
	s_delay_alu instid0(VALU_DEP_1)
	v_cvt_f32_f16_e32 v77, v8
.LBB337_672:                            ;   in Loop: Header=BB337_10 Depth=1
	s_or_b32 exec_lo, exec_lo, s20
.LBB337_673:                            ;   in Loop: Header=BB337_10 Depth=1
	s_delay_alu instid0(SALU_CYCLE_1)
	s_or_b32 exec_lo, exec_lo, s19
.LBB337_674:                            ;   in Loop: Header=BB337_10 Depth=1
	s_delay_alu instid0(SALU_CYCLE_1)
	s_or_b32 exec_lo, exec_lo, s3
	v_dual_mov_b32 v79, 0 :: v_dual_mov_b32 v88, 0
	s_mov_b32 s3, exec_lo
	v_cmpx_lt_u32_e32 0xffffff, v89
	s_cbranch_execz .LBB337_682
; %bb.675:                              ;   in Loop: Header=BB337_10 Depth=1
	v_lshrrev_b32_e32 v89, 24, v89
	v_bfrev_b32_e32 v88, 1
	s_mov_b32 s19, exec_lo
	s_delay_alu instid0(VALU_DEP_2)
	v_cmpx_ne_u32_e32 0x80, v89
	s_cbranch_execz .LBB337_681
; %bb.676:                              ;   in Loop: Header=BB337_10 Depth=1
	v_and_b32_e32 v30, 0x7f, v89
	v_mov_b32_e32 v88, 0x7fc02000
	s_mov_b32 s20, exec_lo
	s_delay_alu instid0(VALU_DEP_2)
	v_cmpx_ne_u32_e32 0x7f, v30
	s_cbranch_execz .LBB337_680
; %bb.677:                              ;   in Loop: Header=BB337_10 Depth=1
	v_and_b32_e32 v8, 7, v89
	v_lshrrev_b32_e32 v88, 3, v30
	v_cmp_gt_u32_e64 s2, 8, v30
	s_delay_alu instid0(VALU_DEP_3) | instskip(NEXT) | instid1(VALU_DEP_2)
	v_dual_mov_b32 v31, v9 :: v_dual_mov_b32 v30, v8
	s_and_saveexec_b32 s21, s2
; %bb.678:                              ;   in Loop: Header=BB337_10 Depth=1
	v_clz_i32_u32_e32 v30, v8
	s_delay_alu instid0(VALU_DEP_1) | instskip(NEXT) | instid1(VALU_DEP_1)
	v_min_u32_e32 v88, 32, v30
	v_subrev_nc_u32_e32 v30, 28, v88
	v_sub_nc_u32_e32 v88, 29, v88
	s_delay_alu instid0(VALU_DEP_2) | instskip(NEXT) | instid1(VALU_DEP_1)
	v_lshlrev_b64 v[30:31], v30, v[8:9]
	v_and_b32_e32 v30, 7, v30
; %bb.679:                              ;   in Loop: Header=BB337_10 Depth=1
	s_or_b32 exec_lo, exec_lo, s21
	v_lshlrev_b32_e32 v8, 8, v89
	v_lshl_add_u32 v31, v88, 10, 0x2000
	s_delay_alu instid0(VALU_DEP_1) | instskip(NEXT) | instid1(VALU_DEP_1)
	v_and_or_b32 v8, 0x8000, v8, v31
	v_lshl_or_b32 v8, v30, 7, v8
	s_delay_alu instid0(VALU_DEP_1)
	v_cvt_f32_f16_e32 v88, v8
.LBB337_680:                            ;   in Loop: Header=BB337_10 Depth=1
	s_or_b32 exec_lo, exec_lo, s20
.LBB337_681:                            ;   in Loop: Header=BB337_10 Depth=1
	s_delay_alu instid0(SALU_CYCLE_1)
	s_or_b32 exec_lo, exec_lo, s19
.LBB337_682:                            ;   in Loop: Header=BB337_10 Depth=1
	s_delay_alu instid0(SALU_CYCLE_1) | instskip(SKIP_4) | instid1(VALU_DEP_1)
	s_or_b32 exec_lo, exec_lo, s3
	flat_load_b32 v93, v[28:29] offset:2568
	s_mov_b32 s3, exec_lo
	s_waitcnt vmcnt(0) lgkmcnt(0)
	v_and_b32_e32 v8, 0xff, v93
	v_cmpx_ne_u16_e32 0, v8
	s_cbranch_execz .LBB337_690
; %bb.683:                              ;   in Loop: Header=BB337_10 Depth=1
	v_bfrev_b32_e32 v79, 1
	s_mov_b32 s19, exec_lo
	v_cmpx_ne_u16_e32 0x80, v8
	s_cbranch_execz .LBB337_689
; %bb.684:                              ;   in Loop: Header=BB337_10 Depth=1
	v_and_b32_e32 v30, 0x7f, v93
	v_mov_b32_e32 v79, 0x7fc02000
	s_mov_b32 s20, exec_lo
	s_delay_alu instid0(VALU_DEP_2)
	v_cmpx_ne_u32_e32 0x7f, v30
	s_cbranch_execz .LBB337_688
; %bb.685:                              ;   in Loop: Header=BB337_10 Depth=1
	v_and_b32_e32 v8, 7, v93
	v_lshrrev_b32_e32 v79, 3, v30
	v_cmp_gt_u32_e64 s2, 8, v30
	s_delay_alu instid0(VALU_DEP_3) | instskip(NEXT) | instid1(VALU_DEP_2)
	v_dual_mov_b32 v31, v9 :: v_dual_mov_b32 v30, v8
	s_and_saveexec_b32 s21, s2
; %bb.686:                              ;   in Loop: Header=BB337_10 Depth=1
	v_clz_i32_u32_e32 v30, v8
	s_delay_alu instid0(VALU_DEP_1) | instskip(NEXT) | instid1(VALU_DEP_1)
	v_min_u32_e32 v79, 32, v30
	v_subrev_nc_u32_e32 v30, 28, v79
	v_sub_nc_u32_e32 v79, 29, v79
	s_delay_alu instid0(VALU_DEP_2) | instskip(NEXT) | instid1(VALU_DEP_1)
	v_lshlrev_b64 v[30:31], v30, v[8:9]
	v_and_b32_e32 v30, 7, v30
; %bb.687:                              ;   in Loop: Header=BB337_10 Depth=1
	s_or_b32 exec_lo, exec_lo, s21
	v_lshlrev_b32_e32 v8, 8, v93
	v_lshl_add_u32 v31, v79, 10, 0x2000
	s_delay_alu instid0(VALU_DEP_1) | instskip(NEXT) | instid1(VALU_DEP_1)
	v_and_or_b32 v8, 0x8000, v8, v31
	v_lshl_or_b32 v8, v30, 7, v8
	s_delay_alu instid0(VALU_DEP_1)
	v_cvt_f32_f16_e32 v79, v8
.LBB337_688:                            ;   in Loop: Header=BB337_10 Depth=1
	s_or_b32 exec_lo, exec_lo, s20
.LBB337_689:                            ;   in Loop: Header=BB337_10 Depth=1
	s_delay_alu instid0(SALU_CYCLE_1)
	s_or_b32 exec_lo, exec_lo, s19
.LBB337_690:                            ;   in Loop: Header=BB337_10 Depth=1
	s_delay_alu instid0(SALU_CYCLE_1) | instskip(SKIP_3) | instid1(VALU_DEP_2)
	s_or_b32 exec_lo, exec_lo, s3
	v_lshrrev_b16 v8, 8, v93
	v_dual_mov_b32 v89, 0 :: v_dual_mov_b32 v90, 0
	s_mov_b32 s3, exec_lo
	v_cmpx_ne_u16_e32 0, v8
	s_cbranch_execz .LBB337_698
; %bb.691:                              ;   in Loop: Header=BB337_10 Depth=1
	v_bfrev_b32_e32 v90, 1
	s_mov_b32 s19, exec_lo
	v_cmpx_ne_u16_e32 0x80, v8
	s_cbranch_execz .LBB337_697
; %bb.692:                              ;   in Loop: Header=BB337_10 Depth=1
	v_and_b32_e32 v91, 0xffff, v8
	v_mov_b32_e32 v90, 0x7fc02000
	s_mov_b32 s20, exec_lo
	s_delay_alu instid0(VALU_DEP_2) | instskip(NEXT) | instid1(VALU_DEP_1)
	v_and_b32_e32 v92, 0x7f, v91
	v_cmpx_ne_u32_e32 0x7f, v92
	s_cbranch_execz .LBB337_696
; %bb.693:                              ;   in Loop: Header=BB337_10 Depth=1
	v_and_b32_e32 v8, 7, v91
	v_lshrrev_b32_e32 v90, 3, v92
	v_mov_b32_e32 v31, v9
	s_mov_b32 s21, exec_lo
	s_delay_alu instid0(VALU_DEP_3)
	v_mov_b32_e32 v30, v8
	v_cmpx_gt_u32_e32 8, v92
; %bb.694:                              ;   in Loop: Header=BB337_10 Depth=1
	v_clz_i32_u32_e32 v30, v8
	s_delay_alu instid0(VALU_DEP_1) | instskip(NEXT) | instid1(VALU_DEP_1)
	v_min_u32_e32 v90, 32, v30
	v_subrev_nc_u32_e32 v30, 28, v90
	v_sub_nc_u32_e32 v90, 29, v90
	s_delay_alu instid0(VALU_DEP_2) | instskip(NEXT) | instid1(VALU_DEP_1)
	v_lshlrev_b64 v[30:31], v30, v[8:9]
	v_and_b32_e32 v30, 7, v30
; %bb.695:                              ;   in Loop: Header=BB337_10 Depth=1
	s_or_b32 exec_lo, exec_lo, s21
	v_lshlrev_b32_e32 v8, 8, v91
	v_lshl_add_u32 v31, v90, 10, 0x2000
	s_delay_alu instid0(VALU_DEP_1) | instskip(NEXT) | instid1(VALU_DEP_1)
	v_and_or_b32 v8, 0x8000, v8, v31
	v_lshl_or_b32 v8, v30, 7, v8
	s_delay_alu instid0(VALU_DEP_1)
	v_cvt_f32_f16_e32 v90, v8
.LBB337_696:                            ;   in Loop: Header=BB337_10 Depth=1
	s_or_b32 exec_lo, exec_lo, s20
.LBB337_697:                            ;   in Loop: Header=BB337_10 Depth=1
	s_delay_alu instid0(SALU_CYCLE_1)
	s_or_b32 exec_lo, exec_lo, s19
.LBB337_698:                            ;   in Loop: Header=BB337_10 Depth=1
	s_delay_alu instid0(SALU_CYCLE_1) | instskip(SKIP_2) | instid1(VALU_DEP_1)
	s_or_b32 exec_lo, exec_lo, s3
	v_lshrrev_b32_e32 v91, 16, v93
	s_mov_b32 s3, exec_lo
	v_and_b32_e32 v8, 0xff, v91
	s_delay_alu instid0(VALU_DEP_1)
	v_cmpx_ne_u16_e32 0, v8
	s_cbranch_execz .LBB337_706
; %bb.699:                              ;   in Loop: Header=BB337_10 Depth=1
	v_bfrev_b32_e32 v89, 1
	s_mov_b32 s19, exec_lo
	v_cmpx_ne_u16_e32 0x80, v8
	s_cbranch_execz .LBB337_705
; %bb.700:                              ;   in Loop: Header=BB337_10 Depth=1
	v_bfe_u32 v92, v93, 16, 7
	v_mov_b32_e32 v89, 0x7fc02000
	s_mov_b32 s20, exec_lo
	s_delay_alu instid0(VALU_DEP_2)
	v_cmpx_ne_u32_e32 0x7f, v92
	s_cbranch_execz .LBB337_704
; %bb.701:                              ;   in Loop: Header=BB337_10 Depth=1
	v_and_b32_e32 v8, 7, v91
	v_lshrrev_b32_e32 v89, 3, v92
	v_mov_b32_e32 v31, v9
	s_mov_b32 s21, exec_lo
	s_delay_alu instid0(VALU_DEP_3)
	v_mov_b32_e32 v30, v8
	v_cmpx_gt_u32_e32 8, v92
; %bb.702:                              ;   in Loop: Header=BB337_10 Depth=1
	v_clz_i32_u32_e32 v30, v8
	s_delay_alu instid0(VALU_DEP_1) | instskip(NEXT) | instid1(VALU_DEP_1)
	v_min_u32_e32 v89, 32, v30
	v_subrev_nc_u32_e32 v30, 28, v89
	v_sub_nc_u32_e32 v89, 29, v89
	s_delay_alu instid0(VALU_DEP_2) | instskip(NEXT) | instid1(VALU_DEP_1)
	v_lshlrev_b64 v[30:31], v30, v[8:9]
	v_and_b32_e32 v30, 7, v30
; %bb.703:                              ;   in Loop: Header=BB337_10 Depth=1
	s_or_b32 exec_lo, exec_lo, s21
	v_lshlrev_b32_e32 v8, 8, v91
	v_lshl_add_u32 v31, v89, 10, 0x2000
	s_delay_alu instid0(VALU_DEP_1) | instskip(NEXT) | instid1(VALU_DEP_1)
	v_and_or_b32 v8, 0x8000, v8, v31
	v_lshl_or_b32 v8, v30, 7, v8
	s_delay_alu instid0(VALU_DEP_1)
	v_cvt_f32_f16_e32 v89, v8
.LBB337_704:                            ;   in Loop: Header=BB337_10 Depth=1
	s_or_b32 exec_lo, exec_lo, s20
.LBB337_705:                            ;   in Loop: Header=BB337_10 Depth=1
	s_delay_alu instid0(SALU_CYCLE_1)
	s_or_b32 exec_lo, exec_lo, s19
.LBB337_706:                            ;   in Loop: Header=BB337_10 Depth=1
	s_delay_alu instid0(SALU_CYCLE_1)
	s_or_b32 exec_lo, exec_lo, s3
	v_dual_mov_b32 v91, 0 :: v_dual_mov_b32 v92, 0
	s_mov_b32 s3, exec_lo
	v_cmpx_lt_u32_e32 0xffffff, v93
	s_cbranch_execz .LBB337_714
; %bb.707:                              ;   in Loop: Header=BB337_10 Depth=1
	v_lshrrev_b32_e32 v93, 24, v93
	v_bfrev_b32_e32 v92, 1
	s_mov_b32 s19, exec_lo
	s_delay_alu instid0(VALU_DEP_2)
	v_cmpx_ne_u32_e32 0x80, v93
	s_cbranch_execz .LBB337_713
; %bb.708:                              ;   in Loop: Header=BB337_10 Depth=1
	v_and_b32_e32 v94, 0x7f, v93
	v_mov_b32_e32 v92, 0x7fc02000
	s_mov_b32 s20, exec_lo
	s_delay_alu instid0(VALU_DEP_2)
	v_cmpx_ne_u32_e32 0x7f, v94
	s_cbranch_execz .LBB337_712
; %bb.709:                              ;   in Loop: Header=BB337_10 Depth=1
	v_and_b32_e32 v8, 7, v93
	v_lshrrev_b32_e32 v92, 3, v94
	v_mov_b32_e32 v31, v9
	s_mov_b32 s21, exec_lo
	s_delay_alu instid0(VALU_DEP_3)
	v_mov_b32_e32 v30, v8
	v_cmpx_gt_u32_e32 8, v94
; %bb.710:                              ;   in Loop: Header=BB337_10 Depth=1
	v_clz_i32_u32_e32 v30, v8
	s_delay_alu instid0(VALU_DEP_1) | instskip(NEXT) | instid1(VALU_DEP_1)
	v_min_u32_e32 v92, 32, v30
	v_subrev_nc_u32_e32 v30, 28, v92
	v_sub_nc_u32_e32 v92, 29, v92
	s_delay_alu instid0(VALU_DEP_2) | instskip(NEXT) | instid1(VALU_DEP_1)
	v_lshlrev_b64 v[30:31], v30, v[8:9]
	v_and_b32_e32 v30, 7, v30
; %bb.711:                              ;   in Loop: Header=BB337_10 Depth=1
	s_or_b32 exec_lo, exec_lo, s21
	v_lshlrev_b32_e32 v8, 8, v93
	v_lshl_add_u32 v31, v92, 10, 0x2000
	s_delay_alu instid0(VALU_DEP_1) | instskip(NEXT) | instid1(VALU_DEP_1)
	v_and_or_b32 v8, 0x8000, v8, v31
	v_lshl_or_b32 v8, v30, 7, v8
	s_delay_alu instid0(VALU_DEP_1)
	v_cvt_f32_f16_e32 v92, v8
.LBB337_712:                            ;   in Loop: Header=BB337_10 Depth=1
	s_or_b32 exec_lo, exec_lo, s20
.LBB337_713:                            ;   in Loop: Header=BB337_10 Depth=1
	s_delay_alu instid0(SALU_CYCLE_1)
	s_or_b32 exec_lo, exec_lo, s19
.LBB337_714:                            ;   in Loop: Header=BB337_10 Depth=1
	s_delay_alu instid0(SALU_CYCLE_1) | instskip(SKIP_4) | instid1(VALU_DEP_1)
	s_or_b32 exec_lo, exec_lo, s3
	flat_load_b32 v104, v[28:29] offset:2816
	s_mov_b32 s3, exec_lo
	s_waitcnt vmcnt(0) lgkmcnt(0)
	v_and_b32_e32 v8, 0xff, v104
	v_cmpx_ne_u16_e32 0, v8
	s_cbranch_execz .LBB337_722
; %bb.715:                              ;   in Loop: Header=BB337_10 Depth=1
	v_bfrev_b32_e32 v91, 1
	s_mov_b32 s19, exec_lo
	v_cmpx_ne_u16_e32 0x80, v8
	s_cbranch_execz .LBB337_721
; %bb.716:                              ;   in Loop: Header=BB337_10 Depth=1
	v_and_b32_e32 v93, 0x7f, v104
	v_mov_b32_e32 v91, 0x7fc02000
	s_mov_b32 s20, exec_lo
	s_delay_alu instid0(VALU_DEP_2)
	v_cmpx_ne_u32_e32 0x7f, v93
	s_cbranch_execz .LBB337_720
; %bb.717:                              ;   in Loop: Header=BB337_10 Depth=1
	v_and_b32_e32 v8, 7, v104
	v_lshrrev_b32_e32 v91, 3, v93
	v_mov_b32_e32 v31, v9
	s_mov_b32 s21, exec_lo
	s_delay_alu instid0(VALU_DEP_3)
	v_mov_b32_e32 v30, v8
	v_cmpx_gt_u32_e32 8, v93
; %bb.718:                              ;   in Loop: Header=BB337_10 Depth=1
	v_clz_i32_u32_e32 v30, v8
	s_delay_alu instid0(VALU_DEP_1) | instskip(NEXT) | instid1(VALU_DEP_1)
	v_min_u32_e32 v91, 32, v30
	v_subrev_nc_u32_e32 v30, 28, v91
	v_sub_nc_u32_e32 v91, 29, v91
	s_delay_alu instid0(VALU_DEP_2) | instskip(NEXT) | instid1(VALU_DEP_1)
	v_lshlrev_b64 v[30:31], v30, v[8:9]
	v_and_b32_e32 v30, 7, v30
; %bb.719:                              ;   in Loop: Header=BB337_10 Depth=1
	s_or_b32 exec_lo, exec_lo, s21
	v_lshlrev_b32_e32 v8, 8, v104
	v_lshl_add_u32 v31, v91, 10, 0x2000
	s_delay_alu instid0(VALU_DEP_1) | instskip(NEXT) | instid1(VALU_DEP_1)
	v_and_or_b32 v8, 0x8000, v8, v31
	v_lshl_or_b32 v8, v30, 7, v8
	s_delay_alu instid0(VALU_DEP_1)
	v_cvt_f32_f16_e32 v91, v8
.LBB337_720:                            ;   in Loop: Header=BB337_10 Depth=1
	s_or_b32 exec_lo, exec_lo, s20
.LBB337_721:                            ;   in Loop: Header=BB337_10 Depth=1
	s_delay_alu instid0(SALU_CYCLE_1)
	s_or_b32 exec_lo, exec_lo, s19
.LBB337_722:                            ;   in Loop: Header=BB337_10 Depth=1
	s_delay_alu instid0(SALU_CYCLE_1) | instskip(SKIP_3) | instid1(VALU_DEP_2)
	s_or_b32 exec_lo, exec_lo, s3
	v_lshrrev_b16 v8, 8, v104
	v_dual_mov_b32 v93, 0 :: v_dual_mov_b32 v94, 0
	s_mov_b32 s3, exec_lo
	v_cmpx_ne_u16_e32 0, v8
	s_cbranch_execz .LBB337_730
; %bb.723:                              ;   in Loop: Header=BB337_10 Depth=1
	v_bfrev_b32_e32 v94, 1
	s_mov_b32 s19, exec_lo
	v_cmpx_ne_u16_e32 0x80, v8
	s_cbranch_execz .LBB337_729
; %bb.724:                              ;   in Loop: Header=BB337_10 Depth=1
	v_and_b32_e32 v95, 0xffff, v8
	v_mov_b32_e32 v94, 0x7fc02000
	s_mov_b32 s20, exec_lo
	s_delay_alu instid0(VALU_DEP_2) | instskip(NEXT) | instid1(VALU_DEP_1)
	v_and_b32_e32 v105, 0x7f, v95
	v_cmpx_ne_u32_e32 0x7f, v105
	s_cbranch_execz .LBB337_728
; %bb.725:                              ;   in Loop: Header=BB337_10 Depth=1
	v_and_b32_e32 v8, 7, v95
	v_lshrrev_b32_e32 v94, 3, v105
	v_mov_b32_e32 v31, v9
	s_mov_b32 s21, exec_lo
	s_delay_alu instid0(VALU_DEP_3)
	v_mov_b32_e32 v30, v8
	v_cmpx_gt_u32_e32 8, v105
; %bb.726:                              ;   in Loop: Header=BB337_10 Depth=1
	v_clz_i32_u32_e32 v30, v8
	s_delay_alu instid0(VALU_DEP_1) | instskip(NEXT) | instid1(VALU_DEP_1)
	v_min_u32_e32 v94, 32, v30
	v_subrev_nc_u32_e32 v30, 28, v94
	v_sub_nc_u32_e32 v94, 29, v94
	s_delay_alu instid0(VALU_DEP_2) | instskip(NEXT) | instid1(VALU_DEP_1)
	v_lshlrev_b64 v[30:31], v30, v[8:9]
	v_and_b32_e32 v30, 7, v30
; %bb.727:                              ;   in Loop: Header=BB337_10 Depth=1
	s_or_b32 exec_lo, exec_lo, s21
	v_lshlrev_b32_e32 v8, 8, v95
	v_lshl_add_u32 v31, v94, 10, 0x2000
	s_delay_alu instid0(VALU_DEP_1) | instskip(NEXT) | instid1(VALU_DEP_1)
	v_and_or_b32 v8, 0x8000, v8, v31
	v_lshl_or_b32 v8, v30, 7, v8
	s_delay_alu instid0(VALU_DEP_1)
	v_cvt_f32_f16_e32 v94, v8
.LBB337_728:                            ;   in Loop: Header=BB337_10 Depth=1
	s_or_b32 exec_lo, exec_lo, s20
.LBB337_729:                            ;   in Loop: Header=BB337_10 Depth=1
	s_delay_alu instid0(SALU_CYCLE_1)
	s_or_b32 exec_lo, exec_lo, s19
.LBB337_730:                            ;   in Loop: Header=BB337_10 Depth=1
	s_delay_alu instid0(SALU_CYCLE_1) | instskip(SKIP_2) | instid1(VALU_DEP_1)
	s_or_b32 exec_lo, exec_lo, s3
	v_lshrrev_b32_e32 v95, 16, v104
	s_mov_b32 s3, exec_lo
	v_and_b32_e32 v8, 0xff, v95
	s_delay_alu instid0(VALU_DEP_1)
	v_cmpx_ne_u16_e32 0, v8
	s_cbranch_execz .LBB337_738
; %bb.731:                              ;   in Loop: Header=BB337_10 Depth=1
	v_bfrev_b32_e32 v93, 1
	s_mov_b32 s19, exec_lo
	v_cmpx_ne_u16_e32 0x80, v8
	s_cbranch_execz .LBB337_737
; %bb.732:                              ;   in Loop: Header=BB337_10 Depth=1
	v_bfe_u32 v105, v104, 16, 7
	v_mov_b32_e32 v93, 0x7fc02000
	s_mov_b32 s20, exec_lo
	s_delay_alu instid0(VALU_DEP_2)
	v_cmpx_ne_u32_e32 0x7f, v105
	s_cbranch_execz .LBB337_736
; %bb.733:                              ;   in Loop: Header=BB337_10 Depth=1
	v_and_b32_e32 v8, 7, v95
	v_lshrrev_b32_e32 v93, 3, v105
	v_mov_b32_e32 v31, v9
	s_mov_b32 s21, exec_lo
	s_delay_alu instid0(VALU_DEP_3)
	v_mov_b32_e32 v30, v8
	v_cmpx_gt_u32_e32 8, v105
; %bb.734:                              ;   in Loop: Header=BB337_10 Depth=1
	v_clz_i32_u32_e32 v30, v8
	s_delay_alu instid0(VALU_DEP_1) | instskip(NEXT) | instid1(VALU_DEP_1)
	v_min_u32_e32 v93, 32, v30
	v_subrev_nc_u32_e32 v30, 28, v93
	v_sub_nc_u32_e32 v93, 29, v93
	s_delay_alu instid0(VALU_DEP_2) | instskip(NEXT) | instid1(VALU_DEP_1)
	v_lshlrev_b64 v[30:31], v30, v[8:9]
	v_and_b32_e32 v30, 7, v30
; %bb.735:                              ;   in Loop: Header=BB337_10 Depth=1
	s_or_b32 exec_lo, exec_lo, s21
	v_lshlrev_b32_e32 v8, 8, v95
	v_lshl_add_u32 v31, v93, 10, 0x2000
	s_delay_alu instid0(VALU_DEP_1) | instskip(NEXT) | instid1(VALU_DEP_1)
	v_and_or_b32 v8, 0x8000, v8, v31
	v_lshl_or_b32 v8, v30, 7, v8
	s_delay_alu instid0(VALU_DEP_1)
	v_cvt_f32_f16_e32 v93, v8
.LBB337_736:                            ;   in Loop: Header=BB337_10 Depth=1
	s_or_b32 exec_lo, exec_lo, s20
.LBB337_737:                            ;   in Loop: Header=BB337_10 Depth=1
	s_delay_alu instid0(SALU_CYCLE_1)
	s_or_b32 exec_lo, exec_lo, s19
.LBB337_738:                            ;   in Loop: Header=BB337_10 Depth=1
	s_delay_alu instid0(SALU_CYCLE_1)
	s_or_b32 exec_lo, exec_lo, s3
	v_dual_mov_b32 v95, 0 :: v_dual_mov_b32 v30, 0
	s_mov_b32 s3, exec_lo
	v_cmpx_lt_u32_e32 0xffffff, v104
	s_cbranch_execz .LBB337_746
; %bb.739:                              ;   in Loop: Header=BB337_10 Depth=1
	v_lshrrev_b32_e32 v104, 24, v104
	v_bfrev_b32_e32 v30, 1
	s_mov_b32 s19, exec_lo
	s_delay_alu instid0(VALU_DEP_2)
	v_cmpx_ne_u32_e32 0x80, v104
	s_cbranch_execz .LBB337_745
; %bb.740:                              ;   in Loop: Header=BB337_10 Depth=1
	v_and_b32_e32 v106, 0x7f, v104
	v_mov_b32_e32 v30, 0x7fc02000
	s_mov_b32 s20, exec_lo
	s_delay_alu instid0(VALU_DEP_2)
	v_cmpx_ne_u32_e32 0x7f, v106
	s_cbranch_execz .LBB337_744
; %bb.741:                              ;   in Loop: Header=BB337_10 Depth=1
	v_and_b32_e32 v8, 7, v104
	v_lshrrev_b32_e32 v105, 3, v106
	v_mov_b32_e32 v31, v9
	s_mov_b32 s21, exec_lo
	s_delay_alu instid0(VALU_DEP_3)
	v_mov_b32_e32 v30, v8
	v_cmpx_gt_u32_e32 8, v106
; %bb.742:                              ;   in Loop: Header=BB337_10 Depth=1
	v_clz_i32_u32_e32 v30, v8
	s_delay_alu instid0(VALU_DEP_1) | instskip(NEXT) | instid1(VALU_DEP_1)
	v_min_u32_e32 v105, 32, v30
	v_subrev_nc_u32_e32 v30, 28, v105
	v_sub_nc_u32_e32 v105, 29, v105
	s_delay_alu instid0(VALU_DEP_2) | instskip(NEXT) | instid1(VALU_DEP_1)
	v_lshlrev_b64 v[30:31], v30, v[8:9]
	v_and_b32_e32 v30, 7, v30
; %bb.743:                              ;   in Loop: Header=BB337_10 Depth=1
	s_or_b32 exec_lo, exec_lo, s21
	v_lshlrev_b32_e32 v8, 8, v104
	v_lshl_add_u32 v31, v105, 10, 0x2000
	s_delay_alu instid0(VALU_DEP_1) | instskip(NEXT) | instid1(VALU_DEP_1)
	v_and_or_b32 v8, 0x8000, v8, v31
	v_lshl_or_b32 v8, v30, 7, v8
	s_delay_alu instid0(VALU_DEP_1)
	v_cvt_f32_f16_e32 v30, v8
.LBB337_744:                            ;   in Loop: Header=BB337_10 Depth=1
	s_or_b32 exec_lo, exec_lo, s20
.LBB337_745:                            ;   in Loop: Header=BB337_10 Depth=1
	s_delay_alu instid0(SALU_CYCLE_1)
	s_or_b32 exec_lo, exec_lo, s19
.LBB337_746:                            ;   in Loop: Header=BB337_10 Depth=1
	s_delay_alu instid0(SALU_CYCLE_1) | instskip(SKIP_4) | instid1(VALU_DEP_1)
	s_or_b32 exec_lo, exec_lo, s3
	flat_load_b32 v105, v[28:29] offset:2824
	s_mov_b32 s3, exec_lo
	s_waitcnt vmcnt(0) lgkmcnt(0)
	v_and_b32_e32 v8, 0xff, v105
	v_cmpx_ne_u16_e32 0, v8
	s_cbranch_execz .LBB337_754
; %bb.747:                              ;   in Loop: Header=BB337_10 Depth=1
	v_bfrev_b32_e32 v95, 1
	s_mov_b32 s19, exec_lo
	v_cmpx_ne_u16_e32 0x80, v8
	s_cbranch_execz .LBB337_753
; %bb.748:                              ;   in Loop: Header=BB337_10 Depth=1
	v_and_b32_e32 v104, 0x7f, v105
	v_mov_b32_e32 v95, 0x7fc02000
	s_mov_b32 s20, exec_lo
	s_delay_alu instid0(VALU_DEP_2)
	v_cmpx_ne_u32_e32 0x7f, v104
	s_cbranch_execz .LBB337_752
; %bb.749:                              ;   in Loop: Header=BB337_10 Depth=1
	v_and_b32_e32 v8, 7, v105
	v_lshrrev_b32_e32 v31, 3, v104
	v_mov_b32_e32 v29, v9
	s_mov_b32 s21, exec_lo
	s_delay_alu instid0(VALU_DEP_3)
	v_mov_b32_e32 v28, v8
	v_cmpx_gt_u32_e32 8, v104
; %bb.750:                              ;   in Loop: Header=BB337_10 Depth=1
	v_clz_i32_u32_e32 v28, v8
	s_delay_alu instid0(VALU_DEP_1) | instskip(NEXT) | instid1(VALU_DEP_1)
	v_min_u32_e32 v31, 32, v28
	v_subrev_nc_u32_e32 v28, 28, v31
	v_sub_nc_u32_e32 v31, 29, v31
	s_delay_alu instid0(VALU_DEP_2) | instskip(NEXT) | instid1(VALU_DEP_1)
	v_lshlrev_b64 v[28:29], v28, v[8:9]
	v_and_b32_e32 v28, 7, v28
; %bb.751:                              ;   in Loop: Header=BB337_10 Depth=1
	s_or_b32 exec_lo, exec_lo, s21
	v_lshlrev_b32_e32 v8, 8, v105
	v_lshl_add_u32 v29, v31, 10, 0x2000
	s_delay_alu instid0(VALU_DEP_1) | instskip(NEXT) | instid1(VALU_DEP_1)
	v_and_or_b32 v8, 0x8000, v8, v29
	v_lshl_or_b32 v8, v28, 7, v8
	s_delay_alu instid0(VALU_DEP_1)
	v_cvt_f32_f16_e32 v95, v8
.LBB337_752:                            ;   in Loop: Header=BB337_10 Depth=1
	s_or_b32 exec_lo, exec_lo, s20
.LBB337_753:                            ;   in Loop: Header=BB337_10 Depth=1
	s_delay_alu instid0(SALU_CYCLE_1)
	s_or_b32 exec_lo, exec_lo, s19
.LBB337_754:                            ;   in Loop: Header=BB337_10 Depth=1
	s_delay_alu instid0(SALU_CYCLE_1) | instskip(SKIP_3) | instid1(VALU_DEP_2)
	s_or_b32 exec_lo, exec_lo, s3
	v_lshrrev_b16 v8, 8, v105
	v_dual_mov_b32 v31, 0 :: v_dual_mov_b32 v104, 0
	s_mov_b32 s3, exec_lo
	v_cmpx_ne_u16_e32 0, v8
	s_cbranch_execz .LBB337_762
; %bb.755:                              ;   in Loop: Header=BB337_10 Depth=1
	v_bfrev_b32_e32 v104, 1
	s_mov_b32 s19, exec_lo
	v_cmpx_ne_u16_e32 0x80, v8
	s_cbranch_execz .LBB337_761
; %bb.756:                              ;   in Loop: Header=BB337_10 Depth=1
	v_and_b32_e32 v106, 0xffff, v8
	v_mov_b32_e32 v104, 0x7fc02000
	s_mov_b32 s20, exec_lo
	s_delay_alu instid0(VALU_DEP_2) | instskip(NEXT) | instid1(VALU_DEP_1)
	v_and_b32_e32 v107, 0x7f, v106
	v_cmpx_ne_u32_e32 0x7f, v107
	s_cbranch_execz .LBB337_760
; %bb.757:                              ;   in Loop: Header=BB337_10 Depth=1
	v_and_b32_e32 v8, 7, v106
	v_lshrrev_b32_e32 v104, 3, v107
	v_mov_b32_e32 v29, v9
	s_mov_b32 s21, exec_lo
	s_delay_alu instid0(VALU_DEP_3)
	v_mov_b32_e32 v28, v8
	v_cmpx_gt_u32_e32 8, v107
; %bb.758:                              ;   in Loop: Header=BB337_10 Depth=1
	v_clz_i32_u32_e32 v28, v8
	s_delay_alu instid0(VALU_DEP_1) | instskip(NEXT) | instid1(VALU_DEP_1)
	v_min_u32_e32 v104, 32, v28
	v_subrev_nc_u32_e32 v28, 28, v104
	v_sub_nc_u32_e32 v104, 29, v104
	s_delay_alu instid0(VALU_DEP_2) | instskip(NEXT) | instid1(VALU_DEP_1)
	v_lshlrev_b64 v[28:29], v28, v[8:9]
	v_and_b32_e32 v28, 7, v28
; %bb.759:                              ;   in Loop: Header=BB337_10 Depth=1
	s_or_b32 exec_lo, exec_lo, s21
	v_lshlrev_b32_e32 v8, 8, v106
	v_lshl_add_u32 v29, v104, 10, 0x2000
	s_delay_alu instid0(VALU_DEP_1) | instskip(NEXT) | instid1(VALU_DEP_1)
	v_and_or_b32 v8, 0x8000, v8, v29
	v_lshl_or_b32 v8, v28, 7, v8
	s_delay_alu instid0(VALU_DEP_1)
	v_cvt_f32_f16_e32 v104, v8
.LBB337_760:                            ;   in Loop: Header=BB337_10 Depth=1
	s_or_b32 exec_lo, exec_lo, s20
.LBB337_761:                            ;   in Loop: Header=BB337_10 Depth=1
	s_delay_alu instid0(SALU_CYCLE_1)
	s_or_b32 exec_lo, exec_lo, s19
.LBB337_762:                            ;   in Loop: Header=BB337_10 Depth=1
	s_delay_alu instid0(SALU_CYCLE_1) | instskip(SKIP_2) | instid1(VALU_DEP_1)
	s_or_b32 exec_lo, exec_lo, s3
	v_lshrrev_b32_e32 v106, 16, v105
	s_mov_b32 s3, exec_lo
	v_and_b32_e32 v8, 0xff, v106
	s_delay_alu instid0(VALU_DEP_1)
	v_cmpx_ne_u16_e32 0, v8
	s_cbranch_execz .LBB337_770
; %bb.763:                              ;   in Loop: Header=BB337_10 Depth=1
	v_bfrev_b32_e32 v31, 1
	s_mov_b32 s19, exec_lo
	v_cmpx_ne_u16_e32 0x80, v8
	s_cbranch_execz .LBB337_769
; %bb.764:                              ;   in Loop: Header=BB337_10 Depth=1
	v_bfe_u32 v107, v105, 16, 7
	v_mov_b32_e32 v31, 0x7fc02000
	s_mov_b32 s20, exec_lo
	s_delay_alu instid0(VALU_DEP_2)
	v_cmpx_ne_u32_e32 0x7f, v107
	s_cbranch_execz .LBB337_768
; %bb.765:                              ;   in Loop: Header=BB337_10 Depth=1
	v_and_b32_e32 v8, 7, v106
	v_lshrrev_b32_e32 v31, 3, v107
	v_mov_b32_e32 v29, v9
	s_mov_b32 s21, exec_lo
	s_delay_alu instid0(VALU_DEP_3)
	v_mov_b32_e32 v28, v8
	v_cmpx_gt_u32_e32 8, v107
; %bb.766:                              ;   in Loop: Header=BB337_10 Depth=1
	v_clz_i32_u32_e32 v28, v8
	s_delay_alu instid0(VALU_DEP_1) | instskip(NEXT) | instid1(VALU_DEP_1)
	v_min_u32_e32 v31, 32, v28
	v_subrev_nc_u32_e32 v28, 28, v31
	v_sub_nc_u32_e32 v31, 29, v31
	s_delay_alu instid0(VALU_DEP_2) | instskip(NEXT) | instid1(VALU_DEP_1)
	v_lshlrev_b64 v[28:29], v28, v[8:9]
	v_and_b32_e32 v28, 7, v28
; %bb.767:                              ;   in Loop: Header=BB337_10 Depth=1
	s_or_b32 exec_lo, exec_lo, s21
	v_lshlrev_b32_e32 v8, 8, v106
	v_lshl_add_u32 v29, v31, 10, 0x2000
	s_delay_alu instid0(VALU_DEP_1) | instskip(NEXT) | instid1(VALU_DEP_1)
	v_and_or_b32 v8, 0x8000, v8, v29
	v_lshl_or_b32 v8, v28, 7, v8
	s_delay_alu instid0(VALU_DEP_1)
	v_cvt_f32_f16_e32 v31, v8
.LBB337_768:                            ;   in Loop: Header=BB337_10 Depth=1
	s_or_b32 exec_lo, exec_lo, s20
.LBB337_769:                            ;   in Loop: Header=BB337_10 Depth=1
	s_delay_alu instid0(SALU_CYCLE_1)
	s_or_b32 exec_lo, exec_lo, s19
.LBB337_770:                            ;   in Loop: Header=BB337_10 Depth=1
	s_delay_alu instid0(SALU_CYCLE_1)
	s_or_b32 exec_lo, exec_lo, s3
	v_mov_b32_e32 v8, 0
	s_mov_b32 s3, exec_lo
	v_cmpx_lt_u32_e32 0xffffff, v105
	s_cbranch_execz .LBB337_778
; %bb.771:                              ;   in Loop: Header=BB337_10 Depth=1
	v_lshrrev_b32_e32 v105, 24, v105
	v_bfrev_b32_e32 v8, 1
	s_mov_b32 s19, exec_lo
	s_delay_alu instid0(VALU_DEP_2)
	v_cmpx_ne_u32_e32 0x80, v105
	s_cbranch_execz .LBB337_777
; %bb.772:                              ;   in Loop: Header=BB337_10 Depth=1
	v_and_b32_e32 v107, 0x7f, v105
	v_mov_b32_e32 v8, 0x7fc02000
	s_mov_b32 s20, exec_lo
	s_delay_alu instid0(VALU_DEP_2)
	v_cmpx_ne_u32_e32 0x7f, v107
	s_cbranch_execz .LBB337_776
; %bb.773:                              ;   in Loop: Header=BB337_10 Depth=1
	v_and_b32_e32 v8, 7, v105
	v_lshrrev_b32_e32 v106, 3, v107
	v_mov_b32_e32 v29, v9
	s_mov_b32 s21, exec_lo
	s_delay_alu instid0(VALU_DEP_3)
	v_mov_b32_e32 v28, v8
	v_cmpx_gt_u32_e32 8, v107
; %bb.774:                              ;   in Loop: Header=BB337_10 Depth=1
	v_clz_i32_u32_e32 v28, v8
	s_delay_alu instid0(VALU_DEP_1) | instskip(NEXT) | instid1(VALU_DEP_1)
	v_min_u32_e32 v106, 32, v28
	v_subrev_nc_u32_e32 v28, 28, v106
	v_sub_nc_u32_e32 v106, 29, v106
	s_delay_alu instid0(VALU_DEP_2) | instskip(NEXT) | instid1(VALU_DEP_1)
	v_lshlrev_b64 v[28:29], v28, v[8:9]
	v_and_b32_e32 v28, 7, v28
; %bb.775:                              ;   in Loop: Header=BB337_10 Depth=1
	s_or_b32 exec_lo, exec_lo, s21
	v_lshlrev_b32_e32 v8, 8, v105
	v_lshl_add_u32 v29, v106, 10, 0x2000
	s_delay_alu instid0(VALU_DEP_1) | instskip(NEXT) | instid1(VALU_DEP_1)
	v_and_or_b32 v8, 0x8000, v8, v29
	v_lshl_or_b32 v8, v28, 7, v8
	s_delay_alu instid0(VALU_DEP_1)
	v_cvt_f32_f16_e32 v8, v8
.LBB337_776:                            ;   in Loop: Header=BB337_10 Depth=1
	s_or_b32 exec_lo, exec_lo, s20
.LBB337_777:                            ;   in Loop: Header=BB337_10 Depth=1
	s_delay_alu instid0(SALU_CYCLE_1)
	s_or_b32 exec_lo, exec_lo, s19
.LBB337_778:                            ;   in Loop: Header=BB337_10 Depth=1
	s_delay_alu instid0(SALU_CYCLE_1)
	s_or_b32 exec_lo, exec_lo, s3
	ds_load_b64 v[28:29], v54
	v_fma_mixlo_f16 v68, v67, v68, 0
	v_fma_mixlo_f16 v70, v67, v70, 0
	;; [unrolled: 1-line block ×5, first 2 shown]
	v_and_b32_e32 v68, 0xffff, v68
	v_and_b32_e32 v70, 0xffff, v70
	v_fma_mixlo_f16 v8, v67, v8, 0
	v_and_b32_e32 v80, 0xffff, v80
	v_and_b32_e32 v71, 0xffff, v71
	s_delay_alu instid0(VALU_DEP_3)
	v_and_b32_e32 v8, 0xffff, v8
	s_waitcnt lgkmcnt(0)
	v_lshrrev_b32_e32 v105, 16, v28
	v_and_b32_e32 v28, 0xffff, v28
	v_lshrrev_b32_e32 v106, 16, v29
	;;#ASMSTART
	v_cvt_f32_f16 v107, v28;
	;;#ASMEND
	;;#ASMSTART
	v_cvt_f32_f16 v105, v105;
	;;#ASMEND
	;; [unrolled: 3-line block ×3, first 2 shown]
	v_and_b32_e32 v69, 0xffff, v69
	v_and_b32_e32 v29, 0xffff, v29
	;;#ASMSTART
	v_cvt_f32_f16 v70, v70;
	;;#ASMEND
	;;#ASMSTART
	v_cvt_f32_f16 v109, v29;
	;;#ASMEND
	;;#ASMSTART
	v_cvt_f32_f16 v106, v106;
	;;#ASMEND
	;;#ASMSTART
	v_cvt_f32_f16 v110, v69;
	;;#ASMEND
	;;#ASMSTART
	v_cvt_f32_f16 v80, v80;
	;;#ASMEND
	ds_load_b64 v[68:69], v54 offset:8
	s_waitcnt lgkmcnt(0)
	v_and_b32_e32 v28, 0xffff, v68
	v_lshrrev_b32_e32 v29, 16, v68
	;;#ASMSTART
	v_cvt_f32_f16 v28, v28;
	;;#ASMEND
	;;#ASMSTART
	v_cvt_f32_f16 v29, v29;
	;;#ASMEND
	;; [unrolled: 3-line block ×3, first 2 shown]
	v_mul_f32_e32 v28, v28, v68
	v_fma_mixlo_f16 v68, v67, v82, 0
	v_fma_mixlo_f16 v82, v67, v94, 0
	s_delay_alu instid0(VALU_DEP_3) | instskip(NEXT) | instid1(VALU_DEP_3)
	v_fmac_f32_e32 v28, v107, v108
	v_and_b32_e32 v68, 0xffff, v68
	;;#ASMSTART
	v_cvt_f32_f16 v68, v68;
	;;#ASMEND
	s_delay_alu instid0(VALU_DEP_1)
	v_mul_f32_e32 v29, v29, v68
	v_lshrrev_b32_e32 v68, 16, v69
	v_and_b32_e32 v69, 0xffff, v69
	;;#ASMSTART
	v_cvt_f32_f16 v69, v69;
	;;#ASMEND
	;;#ASMSTART
	v_cvt_f32_f16 v71, v68;
	;;#ASMEND
	v_fmac_f32_e32 v29, v105, v70
	v_fma_mixlo_f16 v70, v67, v81, 0
	s_delay_alu instid0(VALU_DEP_1) | instskip(SKIP_3) | instid1(VALU_DEP_1)
	v_and_b32_e32 v70, 0xffff, v70
	;;#ASMSTART
	v_cvt_f32_f16 v68, v70;
	;;#ASMEND
	v_mul_f32_e32 v68, v69, v68
	v_fma_mixlo_f16 v69, v67, v84, 0
	v_dual_fmac_f32 v68, v109, v110 :: v_dual_and_b32 v69, 0xffff, v69
	;;#ASMSTART
	v_cvt_f32_f16 v69, v69;
	;;#ASMEND
	s_delay_alu instid0(VALU_DEP_1) | instskip(NEXT) | instid1(VALU_DEP_1)
	v_mul_f32_e32 v69, v71, v69
	v_fmac_f32_e32 v69, v106, v80
	v_fma_mixlo_f16 v70, v67, v83, 0
	v_fma_mixlo_f16 v83, v67, v93, 0
	s_delay_alu instid0(VALU_DEP_2)
	v_and_b32_e32 v80, 0xffff, v70
	ds_load_b64 v[70:71], v54 offset:16
	s_waitcnt lgkmcnt(0)
	v_and_b32_e32 v81, 0xffff, v70
	v_lshrrev_b32_e32 v70, 16, v70
	;;#ASMSTART
	v_cvt_f32_f16 v81, v81;
	;;#ASMEND
	;;#ASMSTART
	v_cvt_f32_f16 v70, v70;
	;;#ASMEND
	;; [unrolled: 3-line block ×3, first 2 shown]
	v_fmac_f32_e32 v28, v81, v80
	v_fma_mixlo_f16 v80, v67, v86, 0
	v_fma_mixlo_f16 v86, v67, v95, 0
	s_delay_alu instid0(VALU_DEP_2) | instskip(SKIP_1) | instid1(VALU_DEP_1)
	v_and_b32_e32 v80, 0xffff, v80
	;;#ASMSTART
	v_cvt_f32_f16 v80, v80;
	;;#ASMEND
	v_fmac_f32_e32 v29, v70, v80
	v_fma_mixlo_f16 v80, v67, v85, 0
	v_lshrrev_b32_e32 v70, 16, v71
	v_and_b32_e32 v71, 0xffff, v71
	;;#ASMSTART
	v_cvt_f32_f16 v71, v71;
	;;#ASMEND
	;;#ASMSTART
	v_cvt_f32_f16 v70, v70;
	;;#ASMEND
	v_and_b32_e32 v80, 0xffff, v80
	;;#ASMSTART
	v_cvt_f32_f16 v80, v80;
	;;#ASMEND
	s_delay_alu instid0(VALU_DEP_1) | instskip(SKIP_3) | instid1(VALU_DEP_3)
	v_fmac_f32_e32 v68, v71, v80
	v_fma_mixlo_f16 v71, v67, v96, 0
	v_fma_mixlo_f16 v85, v67, v30, 0
	;; [unrolled: 1-line block ×3, first 2 shown]
	v_and_b32_e32 v71, 0xffff, v71
	;;#ASMSTART
	v_cvt_f32_f16 v71, v71;
	;;#ASMEND
	s_delay_alu instid0(VALU_DEP_1) | instskip(SKIP_2) | instid1(VALU_DEP_2)
	v_fmac_f32_e32 v69, v70, v71
	v_fma_mixlo_f16 v70, v67, v87, 0
	v_fma_mixlo_f16 v87, v67, v104, 0
	v_and_b32_e32 v80, 0xffff, v70
	ds_load_b64 v[70:71], v54 offset:24
	s_waitcnt lgkmcnt(0)
	v_and_b32_e32 v81, 0xffff, v70
	v_lshrrev_b32_e32 v70, 16, v70
	;;#ASMSTART
	v_cvt_f32_f16 v81, v81;
	;;#ASMEND
	;;#ASMSTART
	v_cvt_f32_f16 v70, v70;
	;;#ASMEND
	;;#ASMSTART
	v_cvt_f32_f16 v80, v80;
	;;#ASMEND
	v_fmac_f32_e32 v28, v81, v80
	v_fma_mixlo_f16 v80, v67, v98, 0
	s_delay_alu instid0(VALU_DEP_1) | instskip(SKIP_1) | instid1(VALU_DEP_1)
	v_and_b32_e32 v80, 0xffff, v80
	;;#ASMSTART
	v_cvt_f32_f16 v80, v80;
	;;#ASMEND
	v_fmac_f32_e32 v29, v70, v80
	v_fma_mixlo_f16 v80, v67, v97, 0
	v_lshrrev_b32_e32 v70, 16, v71
	v_and_b32_e32 v71, 0xffff, v71
	;;#ASMSTART
	v_cvt_f32_f16 v71, v71;
	;;#ASMEND
	;;#ASMSTART
	v_cvt_f32_f16 v70, v70;
	;;#ASMEND
	v_and_b32_e32 v80, 0xffff, v80
	;;#ASMSTART
	v_cvt_f32_f16 v80, v80;
	;;#ASMEND
	s_delay_alu instid0(VALU_DEP_1) | instskip(SKIP_1) | instid1(VALU_DEP_1)
	v_fmac_f32_e32 v68, v71, v80
	v_fma_mixlo_f16 v71, v67, v100, 0
	v_and_b32_e32 v71, 0xffff, v71
	;;#ASMSTART
	v_cvt_f32_f16 v71, v71;
	;;#ASMEND
	s_delay_alu instid0(VALU_DEP_1) | instskip(SKIP_1) | instid1(VALU_DEP_1)
	v_fmac_f32_e32 v69, v70, v71
	v_fma_mixlo_f16 v70, v67, v99, 0
	v_and_b32_e32 v80, 0xffff, v70
	ds_load_b64 v[70:71], v54 offset:32
	s_waitcnt lgkmcnt(0)
	v_and_b32_e32 v81, 0xffff, v70
	v_lshrrev_b32_e32 v70, 16, v70
	;;#ASMSTART
	v_cvt_f32_f16 v81, v81;
	;;#ASMEND
	;;#ASMSTART
	v_cvt_f32_f16 v70, v70;
	;;#ASMEND
	;;#ASMSTART
	v_cvt_f32_f16 v80, v80;
	;;#ASMEND
	v_fmac_f32_e32 v28, v81, v80
	v_fma_mixlo_f16 v80, v67, v102, 0
	s_delay_alu instid0(VALU_DEP_1) | instskip(SKIP_1) | instid1(VALU_DEP_1)
	v_and_b32_e32 v80, 0xffff, v80
	;;#ASMSTART
	v_cvt_f32_f16 v80, v80;
	;;#ASMEND
	v_fmac_f32_e32 v29, v70, v80
	v_fma_mixlo_f16 v80, v67, v101, 0
	v_lshrrev_b32_e32 v70, 16, v71
	v_and_b32_e32 v71, 0xffff, v71
	;;#ASMSTART
	v_cvt_f32_f16 v71, v71;
	;;#ASMEND
	;;#ASMSTART
	v_cvt_f32_f16 v70, v70;
	;;#ASMEND
	v_and_b32_e32 v80, 0xffff, v80
	;;#ASMSTART
	v_cvt_f32_f16 v80, v80;
	;;#ASMEND
	s_delay_alu instid0(VALU_DEP_1) | instskip(SKIP_1) | instid1(VALU_DEP_1)
	v_fmac_f32_e32 v68, v71, v80
	v_fma_mixlo_f16 v71, v67, v112, 0
	v_and_b32_e32 v71, 0xffff, v71
	;;#ASMSTART
	v_cvt_f32_f16 v71, v71;
	;;#ASMEND
	s_delay_alu instid0(VALU_DEP_1) | instskip(SKIP_1) | instid1(VALU_DEP_1)
	v_fmac_f32_e32 v69, v70, v71
	;; [unrolled: 45-line block ×18, first 2 shown]
	v_fma_mixlo_f16 v70, v67, v79, 0
	v_and_b32_e32 v80, 0xffff, v70
	ds_load_b64 v[70:71], v54 offset:168
	s_waitcnt lgkmcnt(0)
	v_and_b32_e32 v81, 0xffff, v70
	v_lshrrev_b32_e32 v70, 16, v70
	;;#ASMSTART
	v_cvt_f32_f16 v81, v81;
	;;#ASMEND
	;;#ASMSTART
	v_cvt_f32_f16 v70, v70;
	;;#ASMEND
	;; [unrolled: 3-line block ×3, first 2 shown]
	v_fmac_f32_e32 v28, v81, v80
	v_fma_mixlo_f16 v80, v67, v90, 0
	v_and_b32_e32 v84, 0xffff, v71
	v_lshrrev_b32_e32 v71, 16, v71
	v_fma_mixlo_f16 v81, v67, v91, 0
	s_delay_alu instid0(VALU_DEP_4) | instskip(SKIP_1) | instid1(VALU_DEP_1)
	v_and_b32_e32 v80, 0xffff, v80
	;;#ASMSTART
	v_cvt_f32_f16 v80, v80;
	;;#ASMEND
	v_fmac_f32_e32 v29, v70, v80
	v_fma_mixlo_f16 v70, v67, v89, 0
	v_fma_mixlo_f16 v80, v67, v92, 0
	;;#ASMSTART
	v_cvt_f32_f16 v84, v84;
	;;#ASMEND
	;;#ASMSTART
	v_cvt_f32_f16 v71, v71;
	;;#ASMEND
	v_and_b32_e32 v67, 0xffff, v81
	v_and_b32_e32 v70, 0xffff, v70
	;; [unrolled: 1-line block ×3, first 2 shown]
	;;#ASMSTART
	v_cvt_f32_f16 v70, v70;
	;;#ASMEND
	;;#ASMSTART
	v_cvt_f32_f16 v80, v80;
	;;#ASMEND
	s_delay_alu instid0(VALU_DEP_1)
	v_fmac_f32_e32 v69, v71, v80
	ds_load_b64 v[30:31], v54 offset:176
	v_fmac_f32_e32 v68, v84, v70
	s_waitcnt lgkmcnt(0)
	v_and_b32_e32 v70, 0xffff, v30
	v_lshrrev_b32_e32 v30, 16, v30
	;;#ASMSTART
	v_cvt_f32_f16 v70, v70;
	;;#ASMEND
	;;#ASMSTART
	v_cvt_f32_f16 v80, v30;
	;;#ASMEND
	;; [unrolled: 3-line block ×3, first 2 shown]
	v_dual_fmac_f32 v28, v70, v67 :: v_dual_and_b32 v81, 0xffff, v82
	v_lshrrev_b32_e32 v71, 16, v31
	;;#ASMSTART
	v_cvt_f32_f16 v81, v81;
	;;#ASMEND
	s_delay_alu instid0(VALU_DEP_2)
	v_dual_fmac_f32 v29, v80, v81 :: v_dual_and_b32 v82, 0xffff, v83
	v_and_b32_e32 v31, 0xffff, v31
	;;#ASMSTART
	v_cvt_f32_f16 v84, v31;
	;;#ASMEND
	;;#ASMSTART
	v_cvt_f32_f16 v71, v71;
	;;#ASMEND
	;; [unrolled: 3-line block ×3, first 2 shown]
	v_dual_fmac_f32 v68, v84, v82 :: v_dual_and_b32 v83, 0xffff, v85
	;;#ASMSTART
	v_cvt_f32_f16 v83, v83;
	;;#ASMEND
	ds_load_b64 v[30:31], v54 offset:184
	v_and_b32_e32 v85, 0xffff, v86
	v_fmac_f32_e32 v69, v71, v83
	v_and_b32_e32 v86, 0xffff, v87
	v_and_b32_e32 v87, 0xffff, v96
	s_waitcnt lgkmcnt(0)
	v_and_b32_e32 v67, 0xffff, v30
	v_lshrrev_b32_e32 v30, 16, v30
	;;#ASMSTART
	v_cvt_f32_f16 v67, v67;
	;;#ASMEND
	;;#ASMSTART
	v_cvt_f32_f16 v30, v30;
	;;#ASMEND
	;; [unrolled: 3-line block ×4, first 2 shown]
	v_dual_fmac_f32 v28, v67, v71 :: v_dual_fmac_f32 v29, v30, v80
	v_lshrrev_b32_e32 v70, 16, v31
	v_and_b32_e32 v31, 0xffff, v31
	;;#ASMSTART
	v_cvt_f32_f16 v30, v31;
	;;#ASMEND
	;;#ASMSTART
	v_cvt_f32_f16 v31, v70;
	;;#ASMEND
	v_add_f32_e32 v28, v28, v29
	v_xor_b32_e32 v29, 1, v49
	;;#ASMSTART
	v_cvt_f32_f16 v67, v87;
	;;#ASMEND
	v_fmac_f32_e32 v68, v30, v67
	;;#ASMSTART
	v_cvt_f32_f16 v8, v8;
	;;#ASMEND
	v_fmac_f32_e32 v69, v31, v8
	v_cmp_gt_i32_e64 s2, 32, v29
	s_delay_alu instid0(VALU_DEP_3) | instskip(NEXT) | instid1(VALU_DEP_2)
	v_add_f32_e32 v8, v28, v68
	v_cndmask_b32_e64 v28, v49, v29, s2
	s_delay_alu instid0(VALU_DEP_2) | instskip(NEXT) | instid1(VALU_DEP_2)
	v_add_f32_e32 v8, v69, v8
	v_lshlrev_b32_e32 v28, 2, v28
	ds_bpermute_b32 v28, v28, v8
	s_and_saveexec_b32 s3, vcc_lo
	s_cbranch_execz .LBB337_9
; %bb.779:                              ;   in Loop: Header=BB337_10 Depth=1
	s_load_b32 s19, s[8:9], 0x0
	s_waitcnt lgkmcnt(0)
	v_add_f32_e32 v8, v8, v28
	v_add_nc_u32_e32 v29, v55, v64
	v_cmp_lt_i32_e64 s2, v64, v35
	s_delay_alu instid0(VALU_DEP_2) | instskip(NEXT) | instid1(VALU_DEP_1)
	v_cvt_f32_i32_e32 v29, v29
	v_mul_f32_e32 v29, v50, v29
	s_delay_alu instid0(VALU_DEP_1) | instskip(SKIP_1) | instid1(VALU_DEP_2)
	v_cndmask_b32_e64 v28, 0, v29, s1
	v_max_f32_e32 v29, v52, v52
	v_fmac_f32_e32 v28, v8, v13
	s_delay_alu instid0(VALU_DEP_1) | instskip(SKIP_1) | instid1(VALU_DEP_2)
	v_dual_max_f32 v8, v29, v28 :: v_dual_add_nc_u32 v29, s19, v65
	v_cndmask_b32_e64 v28, 0, v28, s2
	v_cndmask_b32_e64 v52, v52, v8, s2
	ds_store_b32 v29, v28
	s_branch .LBB337_9
.LBB337_780:
	s_or_b32 exec_lo, exec_lo, s7
.LBB337_781:
	s_delay_alu instid0(SALU_CYCLE_1)
	s_or_b32 exec_lo, exec_lo, s17
	v_xor_b32_e32 v8, 16, v49
	v_xor_b32_e32 v9, 8, v49
	v_dual_max_f32 v13, v52, v52 :: v_dual_and_b32 v18, 31, v33
	s_waitcnt lgkmcnt(0)
	s_lshr_b32 s8, s18, 16
	v_cmp_lt_i32_e32 vcc_lo, v8, v51
	v_lshlrev_b32_e32 v25, 2, v36
	v_cndmask_b32_e32 v8, v49, v8, vcc_lo
	v_cmp_lt_i32_e32 vcc_lo, v9, v51
	v_cndmask_b32_e32 v9, v49, v9, vcc_lo
	s_delay_alu instid0(VALU_DEP_1) | instskip(NEXT) | instid1(VALU_DEP_4)
	v_lshlrev_b32_e32 v21, 2, v9
	v_lshlrev_b32_e32 v20, 2, v8
	ds_bpermute_b32 v8, v20, v52
	s_waitcnt lgkmcnt(0)
	v_max_f32_e32 v8, v8, v8
	s_delay_alu instid0(VALU_DEP_1) | instskip(SKIP_1) | instid1(VALU_DEP_1)
	v_max_f32_e32 v8, v13, v8
	v_xor_b32_e32 v13, 4, v49
	v_cmp_lt_i32_e32 vcc_lo, v13, v51
	v_cndmask_b32_e32 v13, v49, v13, vcc_lo
	s_delay_alu instid0(VALU_DEP_1) | instskip(SKIP_1) | instid1(VALU_DEP_1)
	v_lshlrev_b32_e32 v24, 2, v13
	v_xor_b32_e32 v13, 2, v49
	v_cmp_lt_i32_e32 vcc_lo, v13, v51
	v_cndmask_b32_e32 v13, v49, v13, vcc_lo
	v_cmp_eq_u32_e32 vcc_lo, 0, v18
	s_delay_alu instid0(VALU_DEP_2) | instskip(SKIP_3) | instid1(VALU_DEP_1)
	v_lshlrev_b32_e32 v13, 2, v13
	ds_bpermute_b32 v9, v21, v8
	s_waitcnt lgkmcnt(0)
	v_max_f32_e32 v9, v9, v9
	v_max_f32_e32 v8, v8, v9
	ds_bpermute_b32 v9, v24, v8
	s_waitcnt lgkmcnt(0)
	v_max_f32_e32 v9, v9, v9
	s_delay_alu instid0(VALU_DEP_1)
	v_max_f32_e32 v8, v8, v9
	ds_bpermute_b32 v9, v13, v8
	s_and_saveexec_b32 s1, vcc_lo
	s_cbranch_execz .LBB337_783
; %bb.782:
	s_waitcnt lgkmcnt(0)
	v_dual_max_f32 v9, v9, v9 :: v_dual_max_f32 v8, v8, v8
	s_delay_alu instid0(VALU_DEP_1)
	v_max_f32_e32 v8, v8, v9
	ds_store_b32 v25, v8 offset:384
.LBB337_783:
	s_or_b32 exec_lo, exec_lo, s1
	v_cmp_gt_u32_e64 s1, 4, v18
	v_mov_b32_e32 v8, 0xff7fffff
	v_lshlrev_b32_e32 v28, 2, v18
	s_waitcnt lgkmcnt(0)
	s_barrier
	buffer_gl0_inv
	s_and_saveexec_b32 s2, s1
	s_cbranch_execz .LBB337_785
; %bb.784:
	ds_load_b32 v8, v28 offset:384
.LBB337_785:
	s_or_b32 exec_lo, exec_lo, s2
	s_waitcnt lgkmcnt(0)
	ds_bpermute_b32 v9, v13, v8
	v_xor_b32_e32 v19, 1, v49
	v_dual_max_f32 v8, v8, v8 :: v_dual_lshlrev_b32 v29, 2, v49
	v_subrev_nc_u32_e32 v30, s13, v37
	s_delay_alu instid0(VALU_DEP_3) | instskip(NEXT) | instid1(VALU_DEP_3)
	v_cmp_lt_i32_e64 s2, v19, v51
	v_and_b32_e32 v29, 0xffffff80, v29
	s_delay_alu instid0(VALU_DEP_2) | instskip(SKIP_2) | instid1(VALU_DEP_1)
	v_cndmask_b32_e64 v19, v49, v19, s2
	s_waitcnt lgkmcnt(0)
	v_max_f32_e32 v9, v9, v9
	v_dual_max_f32 v8, v8, v9 :: v_dual_lshlrev_b32 v19, 2, v19
	ds_bpermute_b32 v9, v19, v8
	s_waitcnt lgkmcnt(0)
	v_max_f32_e32 v9, v9, v9
	s_delay_alu instid0(VALU_DEP_1) | instskip(SKIP_4) | instid1(VALU_DEP_1)
	v_max_f32_e32 v8, v8, v9
	v_lshl_add_u32 v9, v30, 4, s16
	v_mov_b32_e32 v30, 0
	ds_bpermute_b32 v8, v29, v8
	v_min_i32_e32 v9, v9, v35
	v_subrev_nc_u32_e32 v9, s16, v9
	s_delay_alu instid0(VALU_DEP_1) | instskip(NEXT) | instid1(VALU_DEP_1)
	v_cmp_lt_i32_e64 s2, v33, v9
	s_and_saveexec_b32 s9, s2
	s_cbranch_execz .LBB337_789
; %bb.786:
	s_getpc_b64 s[18:19]
	s_add_u32 s18, s18, llvm.amdgcn.dynlds.offset.table@rel32@lo+4
	s_addc_u32 s19, s19, llvm.amdgcn.dynlds.offset.table@rel32@hi+12
	s_ashr_i32 s7, s6, 31
	v_dual_mov_b32 v30, 0 :: v_dual_mov_b32 v49, v33
	s_lshl_b64 s[20:21], s[6:7], 2
	s_mov_b32 s7, 0
	s_add_u32 s18, s20, s18
	s_addc_u32 s19, s21, s19
	s_load_b32 s3, s[18:19], 0x0
	s_waitcnt lgkmcnt(0)
	v_lshl_add_u32 v31, v33, 2, s3
	.p2align	6
.LBB337_787:                            ; =>This Inner Loop Header: Depth=1
	ds_load_b32 v50, v31
	v_add_nc_u32_e32 v49, 0x80, v49
	s_delay_alu instid0(VALU_DEP_1) | instskip(NEXT) | instid1(VALU_DEP_1)
	v_cmp_ge_i32_e64 s3, v49, v9
	s_or_b32 s7, s3, s7
	s_waitcnt lgkmcnt(0)
	v_sub_f32_e32 v50, v50, v8
	s_delay_alu instid0(VALU_DEP_1) | instskip(NEXT) | instid1(VALU_DEP_1)
	v_mul_f32_e32 v50, 0x3fb8aa3b, v50
	v_exp_f32_e32 v50, v50
	ds_store_b32 v31, v50
	v_dual_add_f32 v30, v30, v50 :: v_dual_add_nc_u32 v31, 0x200, v31
	s_and_not1_b32 exec_lo, exec_lo, s7
	s_cbranch_execnz .LBB337_787
; %bb.788:
	s_or_b32 exec_lo, exec_lo, s7
.LBB337_789:
	s_delay_alu instid0(SALU_CYCLE_1)
	s_or_b32 exec_lo, exec_lo, s9
	ds_bpermute_b32 v20, v20, v30
	s_waitcnt lgkmcnt(0)
	v_add_f32_e32 v20, v30, v20
	ds_bpermute_b32 v21, v21, v20
	s_waitcnt lgkmcnt(0)
	v_add_f32_e32 v20, v20, v21
	;; [unrolled: 3-line block ×5, first 2 shown]
	s_and_saveexec_b32 s3, vcc_lo
	s_cbranch_execz .LBB337_791
; %bb.790:
	ds_store_b32 v25, v20 offset:400
.LBB337_791:
	s_or_b32 exec_lo, exec_lo, s3
	s_waitcnt lgkmcnt(0)
	s_barrier
	buffer_gl0_inv
	s_and_saveexec_b32 s3, s1
	s_cbranch_execz .LBB337_793
; %bb.792:
	ds_load_b32 v20, v28 offset:400
.LBB337_793:
	s_or_b32 exec_lo, exec_lo, s3
	s_waitcnt lgkmcnt(0)
	ds_bpermute_b32 v13, v13, v20
	s_waitcnt lgkmcnt(0)
	v_add_f32_e32 v13, v20, v13
	ds_bpermute_b32 v20, v19, v13
	s_waitcnt lgkmcnt(0)
	v_add_f32_e32 v13, v13, v20
	ds_bpermute_b32 v13, v29, v13
	s_and_saveexec_b32 s1, s2
	s_cbranch_execz .LBB337_796
; %bb.794:
	s_waitcnt lgkmcnt(0)
	v_add_f32_e32 v21, 0x358637bd, v13
	s_getpc_b64 s[2:3]
	s_add_u32 s2, s2, llvm.amdgcn.dynlds.offset.table@rel32@lo+4
	s_addc_u32 s3, s3, llvm.amdgcn.dynlds.offset.table@rel32@hi+12
	s_ashr_i32 s7, s6, 31
	s_delay_alu instid0(SALU_CYCLE_1) | instskip(SKIP_4) | instid1(VALU_DEP_1)
	s_lshl_b64 s[18:19], s[6:7], 2
	v_div_scale_f32 v20, null, v21, v21, 1.0
	s_add_u32 s2, s18, s2
	s_addc_u32 s3, s19, s3
	s_load_b32 s2, s[2:3], 0x0
	v_rcp_f32_e32 v24, v20
	s_waitcnt_depctr 0xfff
	v_fma_f32 v25, -v20, v24, 1.0
	s_delay_alu instid0(VALU_DEP_1) | instskip(SKIP_1) | instid1(VALU_DEP_1)
	v_fmac_f32_e32 v24, v25, v24
	v_div_scale_f32 v28, vcc_lo, 1.0, v21, 1.0
	v_mul_f32_e32 v25, v28, v24
	s_delay_alu instid0(VALU_DEP_1) | instskip(NEXT) | instid1(VALU_DEP_1)
	v_fma_f32 v29, -v20, v25, v28
	v_fmac_f32_e32 v25, v29, v24
	s_delay_alu instid0(VALU_DEP_1) | instskip(NEXT) | instid1(VALU_DEP_1)
	v_fma_f32 v20, -v20, v25, v28
	v_div_fmas_f32 v24, v20, v24, v25
	s_waitcnt lgkmcnt(0)
	v_lshl_add_u32 v20, v33, 2, s2
	s_mov_b32 s2, 0
	s_delay_alu instid0(VALU_DEP_2)
	v_div_fixup_f32 v21, v24, v21, 1.0
	v_mov_b32_e32 v24, v33
.LBB337_795:                            ; =>This Inner Loop Header: Depth=1
	ds_load_b32 v25, v20
	s_waitcnt lgkmcnt(0)
	v_dual_mul_f32 v25, v21, v25 :: v_dual_add_nc_u32 v24, 0x80, v24
	s_delay_alu instid0(VALU_DEP_1) | instskip(SKIP_3) | instid1(SALU_CYCLE_1)
	v_cmp_ge_i32_e32 vcc_lo, v24, v9
	ds_store_b32 v20, v25
	v_add_nc_u32_e32 v20, 0x200, v20
	s_or_b32 s2, vcc_lo, s2
	s_and_not1_b32 exec_lo, exec_lo, s2
	s_cbranch_execnz .LBB337_795
.LBB337_796:
	s_or_b32 exec_lo, exec_lo, s1
	v_cmp_ne_u16_e64 s1, s8, 0
	s_waitcnt lgkmcnt(0)
	s_barrier
	buffer_gl0_inv
	s_cmp_lg_u32 s1, 0
	s_addc_u32 s1, s5, 0
	s_mov_b32 s5, exec_lo
	s_mul_i32 s2, s1, s10
	s_delay_alu instid0(SALU_CYCLE_1)
	s_mul_i32 s2, s2, s15
	v_cmpx_eq_u32_e32 0, v33
	s_cbranch_execz .LBB337_798
; %bb.797:
	s_mul_i32 s8, s1, s12
	s_ashr_i32 s15, s14, 31
	s_ashr_i32 s9, s8, 31
	;; [unrolled: 1-line block ×3, first 2 shown]
	s_lshl_b64 s[8:9], s[8:9], 2
	s_lshl_b64 s[12:13], s[14:15], 2
	;; [unrolled: 1-line block ×3, first 2 shown]
	s_add_u32 s3, s12, s8
	s_addc_u32 s7, s13, s9
	s_add_u32 s3, s3, s18
	s_addc_u32 s7, s7, s19
	v_add_co_u32 v2, vcc_lo, s3, v2
	v_add_co_ci_u32_e32 v3, vcc_lo, s7, v3, vcc_lo
	v_add_co_u32 v0, vcc_lo, s3, v0
	v_add_co_ci_u32_e32 v1, vcc_lo, s7, v1, vcc_lo
	flat_store_b32 v[2:3], v8
	flat_store_b32 v[0:1], v13
.LBB337_798:
	s_or_b32 exec_lo, exec_lo, s5
                                        ; implicit-def: $sgpr5
	s_and_saveexec_b32 s3, s0
	s_delay_alu instid0(SALU_CYCLE_1)
	s_xor_b32 s0, exec_lo, s3
; %bb.799:
	s_ashr_i32 s7, s6, 31
	s_mov_b32 s5, 0
                                        ; implicit-def: $vgpr35
                                        ; implicit-def: $vgpr38
                                        ; implicit-def: $vgpr37
                                        ; implicit-def: $vgpr6
                                        ; implicit-def: $vgpr10
                                        ; implicit-def: $vgpr11
                                        ; implicit-def: $vgpr14
                                        ; implicit-def: $vgpr15
                                        ; implicit-def: $vgpr22
                                        ; implicit-def: $vgpr26_vgpr27
                                        ; implicit-def: $vgpr39
                                        ; implicit-def: $vgpr48
                                        ; implicit-def: $vgpr16_vgpr17
                                        ; implicit-def: $vgpr23
                                        ; implicit-def: $vgpr12
; %bb.800:
	s_or_saveexec_b32 s3, s0
	v_dual_mov_b32 v0, s6 :: v_dual_mov_b32 v51, s5
	v_dual_mov_b32 v50, s5 :: v_dual_mov_b32 v1, s7
	;; [unrolled: 1-line block ×7, first 2 shown]
	s_xor_b32 exec_lo, exec_lo, s3
	s_cbranch_execz .LBB337_1596
; %bb.801:
	s_getpc_b64 s[8:9]
	s_add_u32 s8, s8, llvm.amdgcn.dynlds.offset.table@rel32@lo+4
	s_addc_u32 s9, s9, llvm.amdgcn.dynlds.offset.table@rel32@hi+12
	s_ashr_i32 s7, s6, 31
	v_add_co_u32 v2, vcc_lo, v10, v39
	s_lshl_b64 s[12:13], s[6:7], 2
	v_dual_mov_b32 v20, 0 :: v_dual_and_b32 v9, 0xf8, v12
	s_add_u32 s8, s12, s8
	s_addc_u32 s9, s13, s9
	v_add_co_ci_u32_e32 v3, vcc_lo, v11, v48, vcc_lo
	s_load_b32 s0, s[8:9], 0x0
	v_lshlrev_b64 v[7:8], 2, v[6:7]
	v_add_co_u32 v2, vcc_lo, v2, v9
	v_dual_mov_b32 v24, 0 :: v_dual_lshlrev_b32 v9, 5, v34
	v_add_co_ci_u32_e32 v3, vcc_lo, 0, v3, vcc_lo
	s_delay_alu instid0(VALU_DEP_4) | instskip(SKIP_3) | instid1(VALU_DEP_4)
	v_add_co_u32 v7, vcc_lo, v16, v7
	v_dual_mov_b32 v1, 0 :: v_dual_and_b32 v0, 8, v12
	v_add_co_ci_u32_e32 v8, vcc_lo, v17, v8, vcc_lo
	v_lshl_or_b32 v9, v36, 6, v9
	v_add_co_u32 v7, vcc_lo, v14, v7
	v_dual_mov_b32 v39, v35 :: v_dual_add_nc_u32 v38, -1, v38
	s_delay_alu instid0(VALU_DEP_4)
	v_add_co_ci_u32_e32 v8, vcc_lo, v15, v8, vcc_lo
	v_add3_u32 v15, s16, v23, v0
	s_waitcnt lgkmcnt(0)
	v_dual_mov_b32 v21, 0 :: v_dual_add_nc_u32 v16, s0, v9
	v_dual_mov_b32 v25, 0 :: v_dual_mov_b32 v28, 0
	v_dual_mov_b32 v29, 0 :: v_dual_mov_b32 v30, 0
	;; [unrolled: 1-line block ×4, first 2 shown]
	v_mov_b32_e32 v51, 0
	s_mov_b32 s8, -1
	s_mov_b32 s9, 0xffffff
	s_mov_b32 s5, 0
	s_branch .LBB337_803
.LBB337_802:                            ;   in Loop: Header=BB337_803 Depth=1
	s_or_b32 exec_lo, exec_lo, s0
	v_dual_add_f32 v12, v13, v14 :: v_dual_add_f32 v13, v103, v112
	v_dual_add_f32 v14, v101, v102 :: v_dual_add_f32 v23, v83, v84
	;;#ASMSTART
	v_pk_mul_f16 v11, v70, v11;

	;;#ASMEND
	;;#ASMSTART
	v_pk_mul_f16 v10, v68, v10;

	;;#ASMEND
	;; [unrolled: 4-line block ×4, first 2 shown]
	;;#ASMSTART
	v_pk_add_f16 v10, v11, v10;

	;;#ASMEND
	v_dual_add_f32 v11, v71, v80 :: v_dual_add_nc_u32 v6, 4, v6
	v_dual_add_f32 v21, v21, v12 :: v_dual_add_f32 v24, v24, v13
	v_dual_add_f32 v25, v25, v14 :: v_dual_add_f32 v12, v99, v100
	v_add_f32_e32 v17, v85, v86
	;;#ASMSTART
	v_pk_add_f16 v0, v10, v0;

	;;#ASMEND
	;;#ASMSTART
	v_pk_add_f16 v0, v0, v9;

	;;#ASMEND
	v_dual_add_f32 v52, v52, v11 :: v_dual_and_b32 v9, 0xffff, v0
	v_lshrrev_b32_e32 v0, 16, v0
	;;#ASMSTART
	v_cvt_f32_f16 v9, v9;
	;;#ASMEND
	;;#ASMSTART
	v_cvt_f32_f16 v0, v0;
	;;#ASMEND
	v_dual_add_f32 v13, v97, v98 :: v_dual_add_f32 v14, v87, v96
	v_dual_add_f32 v28, v28, v12 :: v_dual_add_f32 v31, v31, v17
	v_add_f32_e32 v10, v81, v82
	v_dual_add_f32 v49, v49, v23 :: v_dual_add_f32 v12, v67, v69
	v_add_f32_e32 v0, v9, v0
	v_cmp_ge_i32_e32 vcc_lo, v6, v37
	s_delay_alu instid0(VALU_DEP_4)
	v_add_f32_e32 v51, v51, v10
	v_add_co_u32 v7, s0, v7, 16
	v_dual_add_f32 v29, v29, v13 :: v_dual_add_f32 v30, v30, v14
	v_dual_add_f32 v50, v50, v12 :: v_dual_add_nc_u32 v15, 64, v15
	v_add_f32_e32 v20, v20, v0
	v_add_co_ci_u32_e64 v8, s0, 0, v8, s0
	v_add_nc_u32_e32 v16, 0x100, v16
	s_or_b32 s5, vcc_lo, s5
	s_delay_alu instid0(SALU_CYCLE_1)
	s_and_not1_b32 exec_lo, exec_lo, s5
	s_cbranch_execz .LBB337_1595
.LBB337_803:                            ; =>This Inner Loop Header: Depth=1
	flat_load_b32 v0, v[7:8]
	ds_load_2addr_b64 v[10:13], v16 offset1:1
	ds_load_2addr_b64 v[80:83], v16 offset0:2 offset1:3
	s_mov_b32 s0, exec_lo
	s_waitcnt lgkmcnt(1)
	;;#ASMSTART
	v_cvt_f16_f32 v65, v10;

	;;#ASMEND
	;;#ASMSTART
	v_cvt_f16_f32 v66, v11;

	;;#ASMEND
	;; [unrolled: 4-line block ×4, first 2 shown]
	s_waitcnt lgkmcnt(0)
	;;#ASMSTART
	v_cvt_f16_f32 v70, v80;

	;;#ASMEND
	;;#ASMSTART
	v_cvt_f16_f32 v69, v81;

	;;#ASMEND
	;; [unrolled: 4-line block ×4, first 2 shown]
	v_mov_b32_e32 v23, 0
	s_waitcnt vmcnt(0)
	v_mad_i64_i32 v[9:10], null, v0, v22, v[2:3]
	flat_load_b64 v[11:12], v[9:10]
	flat_load_b32 v17, v[26:27]
	s_waitcnt vmcnt(1) lgkmcnt(1)
	v_and_b32_e32 v0, 0xff, v11
	s_delay_alu instid0(VALU_DEP_1)
	v_cmpx_ne_u16_e32 0, v0
	s_cbranch_execz .LBB337_811
; %bb.804:                              ;   in Loop: Header=BB337_803 Depth=1
	v_bfrev_b32_e32 v23, 1
	s_mov_b32 s10, exec_lo
	v_cmpx_ne_u16_e32 0x80, v0
	s_cbranch_execz .LBB337_810
; %bb.805:                              ;   in Loop: Header=BB337_803 Depth=1
	v_and_b32_e32 v13, 0x7f, v11
	v_mov_b32_e32 v23, 0x7fc02000
	s_mov_b32 s12, exec_lo
	s_delay_alu instid0(VALU_DEP_2)
	v_cmpx_ne_u32_e32 0x7f, v13
	s_cbranch_execz .LBB337_809
; %bb.806:                              ;   in Loop: Header=BB337_803 Depth=1
	v_lshrrev_b32_e32 v0, 3, v13
	v_cmp_gt_u32_e32 vcc_lo, 8, v13
	v_dual_mov_b32 v14, v12 :: v_dual_mov_b32 v13, v11
	s_and_saveexec_b32 s13, vcc_lo
; %bb.807:                              ;   in Loop: Header=BB337_803 Depth=1
	v_and_b32_e32 v0, 7, v11
	s_delay_alu instid0(VALU_DEP_1) | instskip(NEXT) | instid1(VALU_DEP_1)
	v_clz_i32_u32_e32 v0, v0
	v_min_u32_e32 v0, 32, v0
	s_delay_alu instid0(VALU_DEP_1) | instskip(SKIP_1) | instid1(VALU_DEP_2)
	v_subrev_nc_u32_e32 v13, 28, v0
	v_sub_nc_u32_e32 v0, 29, v0
	v_lshlrev_b64 v[13:14], v13, v[11:12]
; %bb.808:                              ;   in Loop: Header=BB337_803 Depth=1
	s_or_b32 exec_lo, exec_lo, s13
	v_lshlrev_b32_e32 v14, 8, v11
	s_delay_alu instid0(VALU_DEP_3) | instskip(NEXT) | instid1(VALU_DEP_3)
	v_lshl_add_u32 v0, v0, 10, 0x2000
	v_lshlrev_b32_e32 v13, 7, v13
	s_delay_alu instid0(VALU_DEP_2) | instskip(NEXT) | instid1(VALU_DEP_1)
	v_and_or_b32 v0, 0x8000, v14, v0
	v_and_or_b32 v0, 0x380, v13, v0
	s_delay_alu instid0(VALU_DEP_1)
	v_cvt_f32_f16_e32 v23, v0
.LBB337_809:                            ;   in Loop: Header=BB337_803 Depth=1
	s_or_b32 exec_lo, exec_lo, s12
.LBB337_810:                            ;   in Loop: Header=BB337_803 Depth=1
	s_delay_alu instid0(SALU_CYCLE_1)
	s_or_b32 exec_lo, exec_lo, s10
.LBB337_811:                            ;   in Loop: Header=BB337_803 Depth=1
	s_delay_alu instid0(SALU_CYCLE_1) | instskip(SKIP_3) | instid1(VALU_DEP_2)
	s_or_b32 exec_lo, exec_lo, s0
	v_lshrrev_b16 v0, 8, v11
	v_dual_mov_b32 v53, 0 :: v_dual_mov_b32 v48, 0
	s_mov_b32 s0, exec_lo
	v_cmpx_ne_u16_e32 0, v0
	s_cbranch_execz .LBB337_819
; %bb.812:                              ;   in Loop: Header=BB337_803 Depth=1
	v_bfrev_b32_e32 v48, 1
	s_mov_b32 s10, exec_lo
	v_cmpx_ne_u16_e32 0x80, v0
	s_cbranch_execz .LBB337_818
; %bb.813:                              ;   in Loop: Header=BB337_803 Depth=1
	v_and_b32_e32 v13, 0xffff, v0
	v_mov_b32_e32 v48, 0x7fc02000
	s_mov_b32 s12, exec_lo
	s_delay_alu instid0(VALU_DEP_2) | instskip(NEXT) | instid1(VALU_DEP_1)
	v_and_b32_e32 v54, 0x7f, v13
	v_cmpx_ne_u32_e32 0x7f, v54
	s_cbranch_execz .LBB337_817
; %bb.814:                              ;   in Loop: Header=BB337_803 Depth=1
	v_and_b32_e32 v0, 7, v13
	v_lshrrev_b32_e32 v14, 3, v54
	s_mov_b32 s13, exec_lo
	v_cmpx_gt_u32_e32 8, v54
; %bb.815:                              ;   in Loop: Header=BB337_803 Depth=1
	s_delay_alu instid0(VALU_DEP_3) | instskip(NEXT) | instid1(VALU_DEP_1)
	v_clz_i32_u32_e32 v14, v0
	v_min_u32_e32 v14, 32, v14
	s_delay_alu instid0(VALU_DEP_1) | instskip(SKIP_1) | instid1(VALU_DEP_2)
	v_subrev_nc_u32_e32 v48, 28, v14
	v_sub_nc_u32_e32 v14, 29, v14
	v_lshlrev_b64 v[54:55], v48, v[0:1]
	s_delay_alu instid0(VALU_DEP_1)
	v_and_b32_e32 v0, 7, v54
; %bb.816:                              ;   in Loop: Header=BB337_803 Depth=1
	s_or_b32 exec_lo, exec_lo, s13
	v_lshlrev_b32_e32 v13, 8, v13
	v_lshl_add_u32 v14, v14, 10, 0x2000
	s_delay_alu instid0(VALU_DEP_1) | instskip(NEXT) | instid1(VALU_DEP_1)
	v_and_or_b32 v13, 0x8000, v13, v14
	v_lshl_or_b32 v0, v0, 7, v13
	s_delay_alu instid0(VALU_DEP_1)
	v_cvt_f32_f16_e32 v48, v0
.LBB337_817:                            ;   in Loop: Header=BB337_803 Depth=1
	s_or_b32 exec_lo, exec_lo, s12
.LBB337_818:                            ;   in Loop: Header=BB337_803 Depth=1
	s_delay_alu instid0(SALU_CYCLE_1)
	s_or_b32 exec_lo, exec_lo, s10
.LBB337_819:                            ;   in Loop: Header=BB337_803 Depth=1
	s_delay_alu instid0(SALU_CYCLE_1) | instskip(SKIP_2) | instid1(VALU_DEP_1)
	s_or_b32 exec_lo, exec_lo, s0
	v_lshrrev_b32_e32 v13, 16, v11
	s_mov_b32 s0, exec_lo
	v_and_b32_e32 v0, 0xff, v13
	s_delay_alu instid0(VALU_DEP_1)
	v_cmpx_ne_u16_e32 0, v0
	s_cbranch_execz .LBB337_827
; %bb.820:                              ;   in Loop: Header=BB337_803 Depth=1
	v_bfrev_b32_e32 v53, 1
	s_mov_b32 s10, exec_lo
	v_cmpx_ne_u16_e32 0x80, v0
	s_cbranch_execz .LBB337_826
; %bb.821:                              ;   in Loop: Header=BB337_803 Depth=1
	v_bfe_u32 v54, v11, 16, 7
	v_mov_b32_e32 v53, 0x7fc02000
	s_mov_b32 s12, exec_lo
	s_delay_alu instid0(VALU_DEP_2)
	v_cmpx_ne_u32_e32 0x7f, v54
	s_cbranch_execz .LBB337_825
; %bb.822:                              ;   in Loop: Header=BB337_803 Depth=1
	v_and_b32_e32 v0, 7, v13
	v_lshrrev_b32_e32 v14, 3, v54
	s_mov_b32 s13, exec_lo
	v_cmpx_gt_u32_e32 8, v54
; %bb.823:                              ;   in Loop: Header=BB337_803 Depth=1
	s_delay_alu instid0(VALU_DEP_3) | instskip(NEXT) | instid1(VALU_DEP_1)
	v_clz_i32_u32_e32 v14, v0
	v_min_u32_e32 v14, 32, v14
	s_delay_alu instid0(VALU_DEP_1) | instskip(SKIP_1) | instid1(VALU_DEP_2)
	v_subrev_nc_u32_e32 v53, 28, v14
	v_sub_nc_u32_e32 v14, 29, v14
	v_lshlrev_b64 v[53:54], v53, v[0:1]
	s_delay_alu instid0(VALU_DEP_1)
	v_and_b32_e32 v0, 7, v53
; %bb.824:                              ;   in Loop: Header=BB337_803 Depth=1
	s_or_b32 exec_lo, exec_lo, s13
	v_lshlrev_b32_e32 v13, 8, v13
	v_lshl_add_u32 v14, v14, 10, 0x2000
	s_delay_alu instid0(VALU_DEP_1) | instskip(NEXT) | instid1(VALU_DEP_1)
	v_and_or_b32 v13, 0x8000, v13, v14
	v_lshl_or_b32 v0, v0, 7, v13
	s_delay_alu instid0(VALU_DEP_1)
	v_cvt_f32_f16_e32 v53, v0
.LBB337_825:                            ;   in Loop: Header=BB337_803 Depth=1
	s_or_b32 exec_lo, exec_lo, s12
.LBB337_826:                            ;   in Loop: Header=BB337_803 Depth=1
	s_delay_alu instid0(SALU_CYCLE_1)
	s_or_b32 exec_lo, exec_lo, s10
.LBB337_827:                            ;   in Loop: Header=BB337_803 Depth=1
	s_delay_alu instid0(SALU_CYCLE_1)
	s_or_b32 exec_lo, exec_lo, s0
	v_dual_mov_b32 v13, 0 :: v_dual_mov_b32 v54, 0
	s_mov_b32 s0, exec_lo
	v_cmpx_lt_u32_e32 0xffffff, v11
	s_cbranch_execz .LBB337_835
; %bb.828:                              ;   in Loop: Header=BB337_803 Depth=1
	v_lshrrev_b32_e32 v14, 24, v11
	v_bfrev_b32_e32 v54, 1
	s_mov_b32 s10, exec_lo
	s_delay_alu instid0(VALU_DEP_2)
	v_cmpx_ne_u32_e32 0x80, v14
	s_cbranch_execz .LBB337_834
; %bb.829:                              ;   in Loop: Header=BB337_803 Depth=1
	v_and_b32_e32 v55, 0x7f, v14
	v_mov_b32_e32 v54, 0x7fc02000
	s_mov_b32 s12, exec_lo
	s_delay_alu instid0(VALU_DEP_2)
	v_cmpx_ne_u32_e32 0x7f, v55
	s_cbranch_execz .LBB337_833
; %bb.830:                              ;   in Loop: Header=BB337_803 Depth=1
	v_and_b32_e32 v0, 7, v14
	v_lshrrev_b32_e32 v54, 3, v55
	s_mov_b32 s13, exec_lo
	v_cmpx_gt_u32_e32 8, v55
; %bb.831:                              ;   in Loop: Header=BB337_803 Depth=1
	s_delay_alu instid0(VALU_DEP_3) | instskip(NEXT) | instid1(VALU_DEP_1)
	v_clz_i32_u32_e32 v54, v0
	v_min_u32_e32 v54, 32, v54
	s_delay_alu instid0(VALU_DEP_1) | instskip(SKIP_1) | instid1(VALU_DEP_2)
	v_subrev_nc_u32_e32 v55, 28, v54
	v_sub_nc_u32_e32 v54, 29, v54
	v_lshlrev_b64 v[81:82], v55, v[0:1]
	s_delay_alu instid0(VALU_DEP_1)
	v_and_b32_e32 v0, 7, v81
; %bb.832:                              ;   in Loop: Header=BB337_803 Depth=1
	s_or_b32 exec_lo, exec_lo, s13
	v_lshlrev_b32_e32 v14, 8, v14
	v_lshl_add_u32 v54, v54, 10, 0x2000
	s_delay_alu instid0(VALU_DEP_1) | instskip(NEXT) | instid1(VALU_DEP_1)
	v_and_or_b32 v14, 0x8000, v14, v54
	v_lshl_or_b32 v0, v0, 7, v14
	s_delay_alu instid0(VALU_DEP_1)
	v_cvt_f32_f16_e32 v54, v0
.LBB337_833:                            ;   in Loop: Header=BB337_803 Depth=1
	s_or_b32 exec_lo, exec_lo, s12
.LBB337_834:                            ;   in Loop: Header=BB337_803 Depth=1
	s_delay_alu instid0(SALU_CYCLE_1)
	s_or_b32 exec_lo, exec_lo, s10
.LBB337_835:                            ;   in Loop: Header=BB337_803 Depth=1
	s_delay_alu instid0(SALU_CYCLE_1) | instskip(SKIP_3) | instid1(VALU_DEP_2)
	s_or_b32 exec_lo, exec_lo, s0
	v_and_b32_e32 v14, 0xff, v12
	v_mov_b32_e32 v0, v12
	s_mov_b32 s0, exec_lo
	v_cmpx_ne_u16_e32 0, v14
	s_cbranch_execz .LBB337_843
; %bb.836:                              ;   in Loop: Header=BB337_803 Depth=1
	v_bfrev_b32_e32 v13, 1
	s_mov_b32 s10, exec_lo
	v_cmpx_ne_u16_e32 0x80, v14
	s_cbranch_execz .LBB337_842
; %bb.837:                              ;   in Loop: Header=BB337_803 Depth=1
	v_and_b32_e32 v14, 0x7f, v12
	v_mov_b32_e32 v13, 0x7fc02000
	s_mov_b32 s12, exec_lo
	s_delay_alu instid0(VALU_DEP_2)
	v_cmpx_ne_u32_e32 0x7f, v14
	s_cbranch_execz .LBB337_841
; %bb.838:                              ;   in Loop: Header=BB337_803 Depth=1
	v_lshrrev_b32_e32 v55, 3, v14
	v_cmp_gt_u32_e32 vcc_lo, 8, v14
	v_dual_mov_b32 v14, v1 :: v_dual_mov_b32 v13, v0
	s_and_saveexec_b32 s13, vcc_lo
; %bb.839:                              ;   in Loop: Header=BB337_803 Depth=1
	v_and_b32_e32 v13, 7, v12
	s_delay_alu instid0(VALU_DEP_1) | instskip(NEXT) | instid1(VALU_DEP_1)
	v_clz_i32_u32_e32 v13, v13
	v_min_u32_e32 v55, 32, v13
	s_delay_alu instid0(VALU_DEP_1) | instskip(SKIP_1) | instid1(VALU_DEP_2)
	v_subrev_nc_u32_e32 v13, 28, v55
	v_sub_nc_u32_e32 v55, 29, v55
	v_lshlrev_b64 v[13:14], v13, v[0:1]
; %bb.840:                              ;   in Loop: Header=BB337_803 Depth=1
	s_or_b32 exec_lo, exec_lo, s13
	v_lshlrev_b32_e32 v14, 8, v12
	s_delay_alu instid0(VALU_DEP_3) | instskip(NEXT) | instid1(VALU_DEP_3)
	v_lshl_add_u32 v55, v55, 10, 0x2000
	v_lshlrev_b32_e32 v13, 7, v13
	s_delay_alu instid0(VALU_DEP_2) | instskip(NEXT) | instid1(VALU_DEP_1)
	v_and_or_b32 v14, 0x8000, v14, v55
	v_and_or_b32 v13, 0x380, v13, v14
	s_delay_alu instid0(VALU_DEP_1)
	v_cvt_f32_f16_e32 v13, v13
.LBB337_841:                            ;   in Loop: Header=BB337_803 Depth=1
	s_or_b32 exec_lo, exec_lo, s12
.LBB337_842:                            ;   in Loop: Header=BB337_803 Depth=1
	s_delay_alu instid0(SALU_CYCLE_1)
	s_or_b32 exec_lo, exec_lo, s10
.LBB337_843:                            ;   in Loop: Header=BB337_803 Depth=1
	s_delay_alu instid0(SALU_CYCLE_1) | instskip(SKIP_3) | instid1(VALU_DEP_2)
	s_or_b32 exec_lo, exec_lo, s0
	v_lshrrev_b16 v0, 8, v0
	v_dual_mov_b32 v14, 0 :: v_dual_mov_b32 v55, 0
	s_mov_b32 s0, exec_lo
	v_cmpx_ne_u16_e32 0, v0
	s_cbranch_execz .LBB337_851
; %bb.844:                              ;   in Loop: Header=BB337_803 Depth=1
	v_bfrev_b32_e32 v55, 1
	s_mov_b32 s10, exec_lo
	v_cmpx_ne_u16_e32 0x80, v0
	s_cbranch_execz .LBB337_850
; %bb.845:                              ;   in Loop: Header=BB337_803 Depth=1
	v_and_b32_e32 v64, 0xffff, v0
	v_mov_b32_e32 v55, 0x7fc02000
	s_mov_b32 s12, exec_lo
	s_delay_alu instid0(VALU_DEP_2) | instskip(NEXT) | instid1(VALU_DEP_1)
	v_and_b32_e32 v81, 0x7f, v64
	v_cmpx_ne_u32_e32 0x7f, v81
	s_cbranch_execz .LBB337_849
; %bb.846:                              ;   in Loop: Header=BB337_803 Depth=1
	v_and_b32_e32 v0, 7, v64
	v_lshrrev_b32_e32 v55, 3, v81
	s_mov_b32 s13, exec_lo
	v_cmpx_gt_u32_e32 8, v81
; %bb.847:                              ;   in Loop: Header=BB337_803 Depth=1
	s_delay_alu instid0(VALU_DEP_3) | instskip(NEXT) | instid1(VALU_DEP_1)
	v_clz_i32_u32_e32 v55, v0
	v_min_u32_e32 v55, 32, v55
	s_delay_alu instid0(VALU_DEP_1) | instskip(SKIP_1) | instid1(VALU_DEP_2)
	v_subrev_nc_u32_e32 v81, 28, v55
	v_sub_nc_u32_e32 v55, 29, v55
	v_lshlrev_b64 v[81:82], v81, v[0:1]
	s_delay_alu instid0(VALU_DEP_1)
	v_and_b32_e32 v0, 7, v81
; %bb.848:                              ;   in Loop: Header=BB337_803 Depth=1
	s_or_b32 exec_lo, exec_lo, s13
	v_lshlrev_b32_e32 v64, 8, v64
	v_lshl_add_u32 v55, v55, 10, 0x2000
	s_delay_alu instid0(VALU_DEP_1) | instskip(NEXT) | instid1(VALU_DEP_1)
	v_and_or_b32 v55, 0x8000, v64, v55
	v_lshl_or_b32 v0, v0, 7, v55
	s_delay_alu instid0(VALU_DEP_1)
	v_cvt_f32_f16_e32 v55, v0
.LBB337_849:                            ;   in Loop: Header=BB337_803 Depth=1
	s_or_b32 exec_lo, exec_lo, s12
.LBB337_850:                            ;   in Loop: Header=BB337_803 Depth=1
	s_delay_alu instid0(SALU_CYCLE_1)
	s_or_b32 exec_lo, exec_lo, s10
.LBB337_851:                            ;   in Loop: Header=BB337_803 Depth=1
	s_delay_alu instid0(SALU_CYCLE_1) | instskip(SKIP_2) | instid1(VALU_DEP_1)
	s_or_b32 exec_lo, exec_lo, s0
	v_lshrrev_b32_e32 v64, 16, v12
	s_mov_b32 s0, exec_lo
	v_and_b32_e32 v0, 0xff, v64
	s_delay_alu instid0(VALU_DEP_1)
	v_cmpx_ne_u16_e32 0, v0
	s_cbranch_execz .LBB337_859
; %bb.852:                              ;   in Loop: Header=BB337_803 Depth=1
	v_bfrev_b32_e32 v14, 1
	s_mov_b32 s10, exec_lo
	v_cmpx_ne_u16_e32 0x80, v0
	s_cbranch_execz .LBB337_858
; %bb.853:                              ;   in Loop: Header=BB337_803 Depth=1
	v_bfe_u32 v81, v12, 16, 7
	v_mov_b32_e32 v14, 0x7fc02000
	s_mov_b32 s12, exec_lo
	s_delay_alu instid0(VALU_DEP_2)
	v_cmpx_ne_u32_e32 0x7f, v81
	s_cbranch_execz .LBB337_857
; %bb.854:                              ;   in Loop: Header=BB337_803 Depth=1
	v_and_b32_e32 v0, 7, v64
	v_lshrrev_b32_e32 v14, 3, v81
	s_mov_b32 s13, exec_lo
	v_cmpx_gt_u32_e32 8, v81
; %bb.855:                              ;   in Loop: Header=BB337_803 Depth=1
	s_delay_alu instid0(VALU_DEP_3) | instskip(NEXT) | instid1(VALU_DEP_1)
	v_clz_i32_u32_e32 v14, v0
	v_min_u32_e32 v14, 32, v14
	s_delay_alu instid0(VALU_DEP_1) | instskip(SKIP_1) | instid1(VALU_DEP_2)
	v_subrev_nc_u32_e32 v81, 28, v14
	v_sub_nc_u32_e32 v14, 29, v14
	v_lshlrev_b64 v[81:82], v81, v[0:1]
	s_delay_alu instid0(VALU_DEP_1)
	v_and_b32_e32 v0, 7, v81
; %bb.856:                              ;   in Loop: Header=BB337_803 Depth=1
	s_or_b32 exec_lo, exec_lo, s13
	v_lshlrev_b32_e32 v64, 8, v64
	v_lshl_add_u32 v14, v14, 10, 0x2000
	s_delay_alu instid0(VALU_DEP_1) | instskip(NEXT) | instid1(VALU_DEP_1)
	v_and_or_b32 v14, 0x8000, v64, v14
	v_lshl_or_b32 v0, v0, 7, v14
	s_delay_alu instid0(VALU_DEP_1)
	v_cvt_f32_f16_e32 v14, v0
.LBB337_857:                            ;   in Loop: Header=BB337_803 Depth=1
	s_or_b32 exec_lo, exec_lo, s12
.LBB337_858:                            ;   in Loop: Header=BB337_803 Depth=1
	s_delay_alu instid0(SALU_CYCLE_1)
	s_or_b32 exec_lo, exec_lo, s10
.LBB337_859:                            ;   in Loop: Header=BB337_803 Depth=1
	s_delay_alu instid0(SALU_CYCLE_1)
	s_or_b32 exec_lo, exec_lo, s0
	v_mov_b32_e32 v0, 0
	s_mov_b32 s0, exec_lo
	v_cmpx_lt_u64_e64 s[8:9], v[11:12]
	s_cbranch_execz .LBB337_867
; %bb.860:                              ;   in Loop: Header=BB337_803 Depth=1
	v_lshrrev_b32_e32 v11, 24, v12
	v_bfrev_b32_e32 v0, 1
	s_mov_b32 s10, exec_lo
	s_delay_alu instid0(VALU_DEP_2)
	v_cmpx_ne_u32_e32 0x80, v11
	s_cbranch_execz .LBB337_866
; %bb.861:                              ;   in Loop: Header=BB337_803 Depth=1
	v_and_b32_e32 v64, 0x7f, v11
	v_mov_b32_e32 v0, 0x7fc02000
	s_mov_b32 s12, exec_lo
	s_delay_alu instid0(VALU_DEP_2)
	v_cmpx_ne_u32_e32 0x7f, v64
	s_cbranch_execz .LBB337_865
; %bb.862:                              ;   in Loop: Header=BB337_803 Depth=1
	v_and_b32_e32 v0, 7, v11
	v_lshrrev_b32_e32 v12, 3, v64
	s_mov_b32 s13, exec_lo
	v_cmpx_gt_u32_e32 8, v64
; %bb.863:                              ;   in Loop: Header=BB337_803 Depth=1
	s_delay_alu instid0(VALU_DEP_3) | instskip(NEXT) | instid1(VALU_DEP_1)
	v_clz_i32_u32_e32 v12, v0
	v_min_u32_e32 v12, 32, v12
	s_delay_alu instid0(VALU_DEP_1) | instskip(SKIP_1) | instid1(VALU_DEP_2)
	v_subrev_nc_u32_e32 v64, 28, v12
	v_sub_nc_u32_e32 v12, 29, v12
	v_lshlrev_b64 v[81:82], v64, v[0:1]
	s_delay_alu instid0(VALU_DEP_1)
	v_and_b32_e32 v0, 7, v81
; %bb.864:                              ;   in Loop: Header=BB337_803 Depth=1
	s_or_b32 exec_lo, exec_lo, s13
	v_lshlrev_b32_e32 v11, 8, v11
	v_lshl_add_u32 v12, v12, 10, 0x2000
	s_delay_alu instid0(VALU_DEP_1) | instskip(NEXT) | instid1(VALU_DEP_1)
	v_and_or_b32 v11, 0x8000, v11, v12
	v_lshl_or_b32 v0, v0, 7, v11
	s_delay_alu instid0(VALU_DEP_1)
	v_cvt_f32_f16_e32 v0, v0
.LBB337_865:                            ;   in Loop: Header=BB337_803 Depth=1
	s_or_b32 exec_lo, exec_lo, s12
.LBB337_866:                            ;   in Loop: Header=BB337_803 Depth=1
	s_delay_alu instid0(SALU_CYCLE_1)
	s_or_b32 exec_lo, exec_lo, s10
.LBB337_867:                            ;   in Loop: Header=BB337_803 Depth=1
	s_delay_alu instid0(SALU_CYCLE_1)
	s_or_b32 exec_lo, exec_lo, s0
	s_waitcnt vmcnt(0) lgkmcnt(0)
	v_fma_mixlo_f16 v11, v17, v54, 0
	v_fma_mixlo_f16 v12, v17, v53, 0
	;; [unrolled: 1-line block ×8, first 2 shown]
	v_lshlrev_b32_e32 v11, 16, v11
	v_and_b32_e32 v12, 0xffff, v12
	v_lshlrev_b32_e32 v48, 16, v48
	v_and_b32_e32 v14, 0xffff, v23
	;; [unrolled: 2-line block ×4, first 2 shown]
	v_cmp_eq_u32_e32 vcc_lo, v38, v6
	v_or_b32_e32 v12, v11, v12
	v_or_b32_e32 v14, v48, v14
	;; [unrolled: 1-line block ×4, first 2 shown]
	v_add_nc_u32_e32 v64, 1, v15
	v_or_b32_e32 v55, 3, v15
	v_or_b32_e32 v54, 2, v15
	;; [unrolled: 1-line block ×6, first 2 shown]
	s_and_saveexec_b32 s10, vcc_lo
	s_cbranch_execz .LBB337_869
; %bb.868:                              ;   in Loop: Header=BB337_803 Depth=1
	v_cmp_lt_i32_e64 s0, v15, v35
	v_lshrrev_b32_e32 v81, 16, v14
	v_lshrrev_b32_e32 v82, 16, v12
	;; [unrolled: 1-line block ×4, first 2 shown]
	v_cndmask_b32_e64 v14, 0, v14, s0
	v_cmp_lt_i32_e64 s0, v64, v39
	s_delay_alu instid0(VALU_DEP_1) | instskip(SKIP_1) | instid1(VALU_DEP_2)
	v_cndmask_b32_e64 v81, 0, v81, s0
	v_cmp_lt_i32_e64 s0, v55, v39
	v_perm_b32 v14, v81, v14, 0x5040100
	s_delay_alu instid0(VALU_DEP_2) | instskip(SKIP_1) | instid1(VALU_DEP_1)
	v_cndmask_b32_e64 v82, 0, v82, s0
	v_cmp_lt_i32_e64 s0, v54, v35
	v_cndmask_b32_e64 v12, 0, v12, s0
	v_cmp_lt_i32_e64 s0, v53, v39
	s_delay_alu instid0(VALU_DEP_2) | instskip(NEXT) | instid1(VALU_DEP_2)
	v_perm_b32 v12, v82, v12, 0x5040100
	v_cndmask_b32_e64 v83, 0, v83, s0
	v_cmp_lt_i32_e64 s0, v48, v35
	s_delay_alu instid0(VALU_DEP_1) | instskip(SKIP_1) | instid1(VALU_DEP_2)
	v_cndmask_b32_e64 v0, 0, v0, s0
	v_cmp_lt_i32_e64 s0, v23, v39
	v_perm_b32 v0, v83, v0, 0x5040100
	s_delay_alu instid0(VALU_DEP_2) | instskip(SKIP_1) | instid1(VALU_DEP_1)
	v_cndmask_b32_e64 v11, 0, v11, s0
	v_cmp_lt_i32_e64 s0, v17, v35
	v_cndmask_b32_e64 v13, 0, v13, s0
	s_delay_alu instid0(VALU_DEP_1)
	v_perm_b32 v11, v11, v13, 0x5040100
.LBB337_869:                            ;   in Loop: Header=BB337_803 Depth=1
	s_or_b32 exec_lo, exec_lo, s10
	v_and_b32_e32 v13, 0xffff, v65
	v_and_b32_e32 v65, 0xffff, v68
	;; [unrolled: 1-line block ×4, first 2 shown]
	s_mov_b32 s10, exec_lo
	s_delay_alu instid0(VALU_DEP_3) | instskip(NEXT) | instid1(VALU_DEP_2)
	v_lshl_or_b32 v68, v67, 16, v65
	v_lshl_or_b32 v65, v71, 16, v80
	v_mov_b32_e32 v80, 0
	v_lshl_or_b32 v70, v66, 16, v13
	v_lshl_or_b32 v66, v69, 16, v81
	v_mov_b32_e32 v81, 0
	;;#ASMSTART
	v_pk_mul_f16 v13, v70, v14;

	;;#ASMEND
	;;#ASMSTART
	v_pk_mul_f16 v12, v68, v12;

	;;#ASMEND
	;; [unrolled: 4-line block ×4, first 2 shown]
	;;#ASMSTART
	v_pk_add_f16 v12, v13, v12;

	;;#ASMEND
	;;#ASMSTART
	v_pk_add_f16 v0, v12, v0;

	;;#ASMEND
	;; [unrolled: 4-line block ×3, first 2 shown]
	v_and_b32_e32 v11, 0xffff, v0
	v_lshrrev_b32_e32 v0, 16, v0
	;;#ASMSTART
	v_cvt_f32_f16 v67, v11;
	;;#ASMEND
	;;#ASMSTART
	v_cvt_f32_f16 v69, v0;
	;;#ASMEND
	flat_load_b64 v[11:12], v[9:10] offset:256
	flat_load_b32 v71, v[26:27]
	s_waitcnt vmcnt(1) lgkmcnt(1)
	v_and_b32_e32 v0, 0xff, v11
	s_delay_alu instid0(VALU_DEP_1)
	v_cmpx_ne_u16_e32 0, v0
	s_cbranch_execz .LBB337_877
; %bb.870:                              ;   in Loop: Header=BB337_803 Depth=1
	v_bfrev_b32_e32 v80, 1
	s_mov_b32 s12, exec_lo
	v_cmpx_ne_u16_e32 0x80, v0
	s_cbranch_execz .LBB337_876
; %bb.871:                              ;   in Loop: Header=BB337_803 Depth=1
	v_and_b32_e32 v13, 0x7f, v11
	v_mov_b32_e32 v80, 0x7fc02000
	s_mov_b32 s13, exec_lo
	s_delay_alu instid0(VALU_DEP_2)
	v_cmpx_ne_u32_e32 0x7f, v13
	s_cbranch_execz .LBB337_875
; %bb.872:                              ;   in Loop: Header=BB337_803 Depth=1
	v_lshrrev_b32_e32 v0, 3, v13
	v_cmp_gt_u32_e64 s0, 8, v13
	v_dual_mov_b32 v14, v12 :: v_dual_mov_b32 v13, v11
	s_delay_alu instid0(VALU_DEP_2)
	s_and_saveexec_b32 s15, s0
; %bb.873:                              ;   in Loop: Header=BB337_803 Depth=1
	v_and_b32_e32 v0, 7, v11
	s_delay_alu instid0(VALU_DEP_1) | instskip(NEXT) | instid1(VALU_DEP_1)
	v_clz_i32_u32_e32 v0, v0
	v_min_u32_e32 v0, 32, v0
	s_delay_alu instid0(VALU_DEP_1) | instskip(SKIP_1) | instid1(VALU_DEP_2)
	v_subrev_nc_u32_e32 v13, 28, v0
	v_sub_nc_u32_e32 v0, 29, v0
	v_lshlrev_b64 v[13:14], v13, v[11:12]
; %bb.874:                              ;   in Loop: Header=BB337_803 Depth=1
	s_or_b32 exec_lo, exec_lo, s15
	v_lshlrev_b32_e32 v14, 8, v11
	s_delay_alu instid0(VALU_DEP_3) | instskip(NEXT) | instid1(VALU_DEP_3)
	v_lshl_add_u32 v0, v0, 10, 0x2000
	v_lshlrev_b32_e32 v13, 7, v13
	s_delay_alu instid0(VALU_DEP_2) | instskip(NEXT) | instid1(VALU_DEP_1)
	v_and_or_b32 v0, 0x8000, v14, v0
	v_and_or_b32 v0, 0x380, v13, v0
	s_delay_alu instid0(VALU_DEP_1)
	v_cvt_f32_f16_e32 v80, v0
.LBB337_875:                            ;   in Loop: Header=BB337_803 Depth=1
	s_or_b32 exec_lo, exec_lo, s13
.LBB337_876:                            ;   in Loop: Header=BB337_803 Depth=1
	s_delay_alu instid0(SALU_CYCLE_1)
	s_or_b32 exec_lo, exec_lo, s12
.LBB337_877:                            ;   in Loop: Header=BB337_803 Depth=1
	s_delay_alu instid0(SALU_CYCLE_1) | instskip(SKIP_2) | instid1(VALU_DEP_1)
	s_or_b32 exec_lo, exec_lo, s10
	v_lshrrev_b16 v0, 8, v11
	s_mov_b32 s10, exec_lo
	v_cmpx_ne_u16_e32 0, v0
	s_cbranch_execz .LBB337_885
; %bb.878:                              ;   in Loop: Header=BB337_803 Depth=1
	v_bfrev_b32_e32 v81, 1
	s_mov_b32 s12, exec_lo
	v_cmpx_ne_u16_e32 0x80, v0
	s_cbranch_execz .LBB337_884
; %bb.879:                              ;   in Loop: Header=BB337_803 Depth=1
	v_and_b32_e32 v13, 0xffff, v0
	v_mov_b32_e32 v81, 0x7fc02000
	s_mov_b32 s13, exec_lo
	s_delay_alu instid0(VALU_DEP_2) | instskip(NEXT) | instid1(VALU_DEP_1)
	v_and_b32_e32 v82, 0x7f, v13
	v_cmpx_ne_u32_e32 0x7f, v82
	s_cbranch_execz .LBB337_883
; %bb.880:                              ;   in Loop: Header=BB337_803 Depth=1
	v_and_b32_e32 v0, 7, v13
	v_lshrrev_b32_e32 v14, 3, v82
	s_mov_b32 s15, exec_lo
	v_cmpx_gt_u32_e32 8, v82
; %bb.881:                              ;   in Loop: Header=BB337_803 Depth=1
	s_delay_alu instid0(VALU_DEP_3) | instskip(NEXT) | instid1(VALU_DEP_1)
	v_clz_i32_u32_e32 v14, v0
	v_min_u32_e32 v14, 32, v14
	s_delay_alu instid0(VALU_DEP_1) | instskip(SKIP_1) | instid1(VALU_DEP_2)
	v_subrev_nc_u32_e32 v81, 28, v14
	v_sub_nc_u32_e32 v14, 29, v14
	v_lshlrev_b64 v[81:82], v81, v[0:1]
	s_delay_alu instid0(VALU_DEP_1)
	v_and_b32_e32 v0, 7, v81
; %bb.882:                              ;   in Loop: Header=BB337_803 Depth=1
	s_or_b32 exec_lo, exec_lo, s15
	v_lshlrev_b32_e32 v13, 8, v13
	v_lshl_add_u32 v14, v14, 10, 0x2000
	s_delay_alu instid0(VALU_DEP_1) | instskip(NEXT) | instid1(VALU_DEP_1)
	v_and_or_b32 v13, 0x8000, v13, v14
	v_lshl_or_b32 v0, v0, 7, v13
	s_delay_alu instid0(VALU_DEP_1)
	v_cvt_f32_f16_e32 v81, v0
.LBB337_883:                            ;   in Loop: Header=BB337_803 Depth=1
	s_or_b32 exec_lo, exec_lo, s13
.LBB337_884:                            ;   in Loop: Header=BB337_803 Depth=1
	s_delay_alu instid0(SALU_CYCLE_1)
	s_or_b32 exec_lo, exec_lo, s12
.LBB337_885:                            ;   in Loop: Header=BB337_803 Depth=1
	s_delay_alu instid0(SALU_CYCLE_1) | instskip(SKIP_3) | instid1(VALU_DEP_2)
	s_or_b32 exec_lo, exec_lo, s10
	v_lshrrev_b32_e32 v13, 16, v11
	v_mov_b32_e32 v82, 0
	s_mov_b32 s10, exec_lo
	v_dual_mov_b32 v83, 0 :: v_dual_and_b32 v0, 0xff, v13
	s_delay_alu instid0(VALU_DEP_1)
	v_cmpx_ne_u16_e32 0, v0
	s_cbranch_execz .LBB337_893
; %bb.886:                              ;   in Loop: Header=BB337_803 Depth=1
	v_bfrev_b32_e32 v82, 1
	s_mov_b32 s12, exec_lo
	v_cmpx_ne_u16_e32 0x80, v0
	s_cbranch_execz .LBB337_892
; %bb.887:                              ;   in Loop: Header=BB337_803 Depth=1
	v_bfe_u32 v84, v11, 16, 7
	v_mov_b32_e32 v82, 0x7fc02000
	s_mov_b32 s13, exec_lo
	s_delay_alu instid0(VALU_DEP_2)
	v_cmpx_ne_u32_e32 0x7f, v84
	s_cbranch_execz .LBB337_891
; %bb.888:                              ;   in Loop: Header=BB337_803 Depth=1
	v_and_b32_e32 v0, 7, v13
	v_lshrrev_b32_e32 v14, 3, v84
	s_mov_b32 s15, exec_lo
	v_cmpx_gt_u32_e32 8, v84
; %bb.889:                              ;   in Loop: Header=BB337_803 Depth=1
	s_delay_alu instid0(VALU_DEP_3) | instskip(NEXT) | instid1(VALU_DEP_1)
	v_clz_i32_u32_e32 v14, v0
	v_min_u32_e32 v14, 32, v14
	s_delay_alu instid0(VALU_DEP_1) | instskip(SKIP_1) | instid1(VALU_DEP_2)
	v_subrev_nc_u32_e32 v82, 28, v14
	v_sub_nc_u32_e32 v14, 29, v14
	v_lshlrev_b64 v[84:85], v82, v[0:1]
	s_delay_alu instid0(VALU_DEP_1)
	v_and_b32_e32 v0, 7, v84
; %bb.890:                              ;   in Loop: Header=BB337_803 Depth=1
	s_or_b32 exec_lo, exec_lo, s15
	v_lshlrev_b32_e32 v13, 8, v13
	v_lshl_add_u32 v14, v14, 10, 0x2000
	s_delay_alu instid0(VALU_DEP_1) | instskip(NEXT) | instid1(VALU_DEP_1)
	v_and_or_b32 v13, 0x8000, v13, v14
	v_lshl_or_b32 v0, v0, 7, v13
	s_delay_alu instid0(VALU_DEP_1)
	v_cvt_f32_f16_e32 v82, v0
.LBB337_891:                            ;   in Loop: Header=BB337_803 Depth=1
	s_or_b32 exec_lo, exec_lo, s13
.LBB337_892:                            ;   in Loop: Header=BB337_803 Depth=1
	s_delay_alu instid0(SALU_CYCLE_1)
	s_or_b32 exec_lo, exec_lo, s12
.LBB337_893:                            ;   in Loop: Header=BB337_803 Depth=1
	s_delay_alu instid0(SALU_CYCLE_1) | instskip(NEXT) | instid1(SALU_CYCLE_1)
	s_or_b32 exec_lo, exec_lo, s10
	s_mov_b32 s10, exec_lo
	v_cmpx_lt_u32_e32 0xffffff, v11
	s_cbranch_execz .LBB337_901
; %bb.894:                              ;   in Loop: Header=BB337_803 Depth=1
	v_lshrrev_b32_e32 v13, 24, v11
	v_bfrev_b32_e32 v83, 1
	s_mov_b32 s12, exec_lo
	s_delay_alu instid0(VALU_DEP_2)
	v_cmpx_ne_u32_e32 0x80, v13
	s_cbranch_execz .LBB337_900
; %bb.895:                              ;   in Loop: Header=BB337_803 Depth=1
	v_and_b32_e32 v84, 0x7f, v13
	v_mov_b32_e32 v83, 0x7fc02000
	s_mov_b32 s13, exec_lo
	s_delay_alu instid0(VALU_DEP_2)
	v_cmpx_ne_u32_e32 0x7f, v84
	s_cbranch_execz .LBB337_899
; %bb.896:                              ;   in Loop: Header=BB337_803 Depth=1
	v_and_b32_e32 v0, 7, v13
	v_lshrrev_b32_e32 v14, 3, v84
	s_mov_b32 s15, exec_lo
	v_cmpx_gt_u32_e32 8, v84
; %bb.897:                              ;   in Loop: Header=BB337_803 Depth=1
	s_delay_alu instid0(VALU_DEP_3) | instskip(NEXT) | instid1(VALU_DEP_1)
	v_clz_i32_u32_e32 v14, v0
	v_min_u32_e32 v14, 32, v14
	s_delay_alu instid0(VALU_DEP_1) | instskip(SKIP_1) | instid1(VALU_DEP_2)
	v_subrev_nc_u32_e32 v83, 28, v14
	v_sub_nc_u32_e32 v14, 29, v14
	v_lshlrev_b64 v[83:84], v83, v[0:1]
	s_delay_alu instid0(VALU_DEP_1)
	v_and_b32_e32 v0, 7, v83
; %bb.898:                              ;   in Loop: Header=BB337_803 Depth=1
	s_or_b32 exec_lo, exec_lo, s15
	v_lshlrev_b32_e32 v13, 8, v13
	v_lshl_add_u32 v14, v14, 10, 0x2000
	s_delay_alu instid0(VALU_DEP_1) | instskip(NEXT) | instid1(VALU_DEP_1)
	v_and_or_b32 v13, 0x8000, v13, v14
	v_lshl_or_b32 v0, v0, 7, v13
	s_delay_alu instid0(VALU_DEP_1)
	v_cvt_f32_f16_e32 v83, v0
.LBB337_899:                            ;   in Loop: Header=BB337_803 Depth=1
	s_or_b32 exec_lo, exec_lo, s13
.LBB337_900:                            ;   in Loop: Header=BB337_803 Depth=1
	s_delay_alu instid0(SALU_CYCLE_1)
	s_or_b32 exec_lo, exec_lo, s12
.LBB337_901:                            ;   in Loop: Header=BB337_803 Depth=1
	s_delay_alu instid0(SALU_CYCLE_1) | instskip(SKIP_4) | instid1(VALU_DEP_3)
	s_or_b32 exec_lo, exec_lo, s10
	v_dual_mov_b32 v13, 0 :: v_dual_and_b32 v14, 0xff, v12
	v_mov_b32_e32 v0, v12
	v_mov_b32_e32 v84, 0
	s_mov_b32 s10, exec_lo
	v_cmpx_ne_u16_e32 0, v14
	s_cbranch_execz .LBB337_909
; %bb.902:                              ;   in Loop: Header=BB337_803 Depth=1
	v_bfrev_b32_e32 v13, 1
	s_mov_b32 s12, exec_lo
	v_cmpx_ne_u16_e32 0x80, v14
	s_cbranch_execz .LBB337_908
; %bb.903:                              ;   in Loop: Header=BB337_803 Depth=1
	v_and_b32_e32 v14, 0x7f, v12
	v_mov_b32_e32 v13, 0x7fc02000
	s_mov_b32 s13, exec_lo
	s_delay_alu instid0(VALU_DEP_2)
	v_cmpx_ne_u32_e32 0x7f, v14
	s_cbranch_execz .LBB337_907
; %bb.904:                              ;   in Loop: Header=BB337_803 Depth=1
	v_lshrrev_b32_e32 v85, 3, v14
	v_cmp_gt_u32_e64 s0, 8, v14
	v_dual_mov_b32 v14, v1 :: v_dual_mov_b32 v13, v0
	s_delay_alu instid0(VALU_DEP_2)
	s_and_saveexec_b32 s15, s0
; %bb.905:                              ;   in Loop: Header=BB337_803 Depth=1
	v_and_b32_e32 v13, 7, v12
	s_delay_alu instid0(VALU_DEP_1) | instskip(NEXT) | instid1(VALU_DEP_1)
	v_clz_i32_u32_e32 v13, v13
	v_min_u32_e32 v85, 32, v13
	s_delay_alu instid0(VALU_DEP_1) | instskip(SKIP_1) | instid1(VALU_DEP_2)
	v_subrev_nc_u32_e32 v13, 28, v85
	v_sub_nc_u32_e32 v85, 29, v85
	v_lshlrev_b64 v[13:14], v13, v[0:1]
; %bb.906:                              ;   in Loop: Header=BB337_803 Depth=1
	s_or_b32 exec_lo, exec_lo, s15
	v_lshlrev_b32_e32 v14, 8, v12
	s_delay_alu instid0(VALU_DEP_3) | instskip(NEXT) | instid1(VALU_DEP_3)
	v_lshl_add_u32 v85, v85, 10, 0x2000
	v_lshlrev_b32_e32 v13, 7, v13
	s_delay_alu instid0(VALU_DEP_2) | instskip(NEXT) | instid1(VALU_DEP_1)
	v_and_or_b32 v14, 0x8000, v14, v85
	v_and_or_b32 v13, 0x380, v13, v14
	s_delay_alu instid0(VALU_DEP_1)
	v_cvt_f32_f16_e32 v13, v13
.LBB337_907:                            ;   in Loop: Header=BB337_803 Depth=1
	s_or_b32 exec_lo, exec_lo, s13
.LBB337_908:                            ;   in Loop: Header=BB337_803 Depth=1
	s_delay_alu instid0(SALU_CYCLE_1)
	s_or_b32 exec_lo, exec_lo, s12
.LBB337_909:                            ;   in Loop: Header=BB337_803 Depth=1
	s_delay_alu instid0(SALU_CYCLE_1) | instskip(SKIP_2) | instid1(VALU_DEP_1)
	s_or_b32 exec_lo, exec_lo, s10
	v_lshrrev_b16 v0, 8, v0
	s_mov_b32 s10, exec_lo
	v_cmpx_ne_u16_e32 0, v0
	s_cbranch_execz .LBB337_917
; %bb.910:                              ;   in Loop: Header=BB337_803 Depth=1
	v_bfrev_b32_e32 v84, 1
	s_mov_b32 s12, exec_lo
	v_cmpx_ne_u16_e32 0x80, v0
	s_cbranch_execz .LBB337_916
; %bb.911:                              ;   in Loop: Header=BB337_803 Depth=1
	v_and_b32_e32 v14, 0xffff, v0
	v_mov_b32_e32 v84, 0x7fc02000
	s_mov_b32 s13, exec_lo
	s_delay_alu instid0(VALU_DEP_2) | instskip(NEXT) | instid1(VALU_DEP_1)
	v_and_b32_e32 v85, 0x7f, v14
	v_cmpx_ne_u32_e32 0x7f, v85
	s_cbranch_execz .LBB337_915
; %bb.912:                              ;   in Loop: Header=BB337_803 Depth=1
	v_and_b32_e32 v0, 7, v14
	v_lshrrev_b32_e32 v84, 3, v85
	s_mov_b32 s15, exec_lo
	v_cmpx_gt_u32_e32 8, v85
; %bb.913:                              ;   in Loop: Header=BB337_803 Depth=1
	s_delay_alu instid0(VALU_DEP_3) | instskip(NEXT) | instid1(VALU_DEP_1)
	v_clz_i32_u32_e32 v84, v0
	v_min_u32_e32 v84, 32, v84
	s_delay_alu instid0(VALU_DEP_1) | instskip(SKIP_1) | instid1(VALU_DEP_2)
	v_subrev_nc_u32_e32 v85, 28, v84
	v_sub_nc_u32_e32 v84, 29, v84
	v_lshlrev_b64 v[85:86], v85, v[0:1]
	s_delay_alu instid0(VALU_DEP_1)
	v_and_b32_e32 v0, 7, v85
; %bb.914:                              ;   in Loop: Header=BB337_803 Depth=1
	s_or_b32 exec_lo, exec_lo, s15
	v_lshlrev_b32_e32 v14, 8, v14
	v_lshl_add_u32 v84, v84, 10, 0x2000
	s_delay_alu instid0(VALU_DEP_1) | instskip(NEXT) | instid1(VALU_DEP_1)
	v_and_or_b32 v14, 0x8000, v14, v84
	v_lshl_or_b32 v0, v0, 7, v14
	s_delay_alu instid0(VALU_DEP_1)
	v_cvt_f32_f16_e32 v84, v0
.LBB337_915:                            ;   in Loop: Header=BB337_803 Depth=1
	s_or_b32 exec_lo, exec_lo, s13
.LBB337_916:                            ;   in Loop: Header=BB337_803 Depth=1
	s_delay_alu instid0(SALU_CYCLE_1)
	s_or_b32 exec_lo, exec_lo, s12
.LBB337_917:                            ;   in Loop: Header=BB337_803 Depth=1
	s_delay_alu instid0(SALU_CYCLE_1) | instskip(SKIP_3) | instid1(VALU_DEP_2)
	s_or_b32 exec_lo, exec_lo, s10
	v_lshrrev_b32_e32 v86, 16, v12
	v_mov_b32_e32 v14, 0
	s_mov_b32 s10, exec_lo
	v_dual_mov_b32 v85, 0 :: v_dual_and_b32 v0, 0xff, v86
	s_delay_alu instid0(VALU_DEP_1)
	v_cmpx_ne_u16_e32 0, v0
	s_cbranch_execz .LBB337_925
; %bb.918:                              ;   in Loop: Header=BB337_803 Depth=1
	v_bfrev_b32_e32 v14, 1
	s_mov_b32 s12, exec_lo
	v_cmpx_ne_u16_e32 0x80, v0
	s_cbranch_execz .LBB337_924
; %bb.919:                              ;   in Loop: Header=BB337_803 Depth=1
	v_bfe_u32 v87, v12, 16, 7
	v_mov_b32_e32 v14, 0x7fc02000
	s_mov_b32 s13, exec_lo
	s_delay_alu instid0(VALU_DEP_2)
	v_cmpx_ne_u32_e32 0x7f, v87
	s_cbranch_execz .LBB337_923
; %bb.920:                              ;   in Loop: Header=BB337_803 Depth=1
	v_and_b32_e32 v0, 7, v86
	v_lshrrev_b32_e32 v14, 3, v87
	s_mov_b32 s15, exec_lo
	v_cmpx_gt_u32_e32 8, v87
; %bb.921:                              ;   in Loop: Header=BB337_803 Depth=1
	s_delay_alu instid0(VALU_DEP_3) | instskip(NEXT) | instid1(VALU_DEP_1)
	v_clz_i32_u32_e32 v14, v0
	v_min_u32_e32 v14, 32, v14
	s_delay_alu instid0(VALU_DEP_1) | instskip(SKIP_1) | instid1(VALU_DEP_2)
	v_subrev_nc_u32_e32 v87, 28, v14
	v_sub_nc_u32_e32 v14, 29, v14
	v_lshlrev_b64 v[96:97], v87, v[0:1]
	s_delay_alu instid0(VALU_DEP_1)
	v_and_b32_e32 v0, 7, v96
; %bb.922:                              ;   in Loop: Header=BB337_803 Depth=1
	s_or_b32 exec_lo, exec_lo, s15
	v_lshlrev_b32_e32 v86, 8, v86
	v_lshl_add_u32 v14, v14, 10, 0x2000
	s_delay_alu instid0(VALU_DEP_1) | instskip(NEXT) | instid1(VALU_DEP_1)
	v_and_or_b32 v14, 0x8000, v86, v14
	v_lshl_or_b32 v0, v0, 7, v14
	s_delay_alu instid0(VALU_DEP_1)
	v_cvt_f32_f16_e32 v14, v0
.LBB337_923:                            ;   in Loop: Header=BB337_803 Depth=1
	s_or_b32 exec_lo, exec_lo, s13
.LBB337_924:                            ;   in Loop: Header=BB337_803 Depth=1
	s_delay_alu instid0(SALU_CYCLE_1)
	s_or_b32 exec_lo, exec_lo, s12
.LBB337_925:                            ;   in Loop: Header=BB337_803 Depth=1
	s_delay_alu instid0(SALU_CYCLE_1) | instskip(NEXT) | instid1(SALU_CYCLE_1)
	s_or_b32 exec_lo, exec_lo, s10
	s_mov_b32 s10, exec_lo
	v_cmpx_lt_u64_e64 s[8:9], v[11:12]
	s_cbranch_execz .LBB337_933
; %bb.926:                              ;   in Loop: Header=BB337_803 Depth=1
	v_lshrrev_b32_e32 v11, 24, v12
	v_bfrev_b32_e32 v85, 1
	s_mov_b32 s12, exec_lo
	s_delay_alu instid0(VALU_DEP_2)
	v_cmpx_ne_u32_e32 0x80, v11
	s_cbranch_execz .LBB337_932
; %bb.927:                              ;   in Loop: Header=BB337_803 Depth=1
	v_and_b32_e32 v86, 0x7f, v11
	v_mov_b32_e32 v85, 0x7fc02000
	s_mov_b32 s13, exec_lo
	s_delay_alu instid0(VALU_DEP_2)
	v_cmpx_ne_u32_e32 0x7f, v86
	s_cbranch_execz .LBB337_931
; %bb.928:                              ;   in Loop: Header=BB337_803 Depth=1
	v_and_b32_e32 v0, 7, v11
	v_lshrrev_b32_e32 v12, 3, v86
	s_mov_b32 s15, exec_lo
	v_cmpx_gt_u32_e32 8, v86
; %bb.929:                              ;   in Loop: Header=BB337_803 Depth=1
	s_delay_alu instid0(VALU_DEP_3) | instskip(NEXT) | instid1(VALU_DEP_1)
	v_clz_i32_u32_e32 v12, v0
	v_min_u32_e32 v12, 32, v12
	s_delay_alu instid0(VALU_DEP_1) | instskip(SKIP_1) | instid1(VALU_DEP_2)
	v_subrev_nc_u32_e32 v85, 28, v12
	v_sub_nc_u32_e32 v12, 29, v12
	v_lshlrev_b64 v[85:86], v85, v[0:1]
	s_delay_alu instid0(VALU_DEP_1)
	v_and_b32_e32 v0, 7, v85
; %bb.930:                              ;   in Loop: Header=BB337_803 Depth=1
	s_or_b32 exec_lo, exec_lo, s15
	v_lshlrev_b32_e32 v11, 8, v11
	v_lshl_add_u32 v12, v12, 10, 0x2000
	s_delay_alu instid0(VALU_DEP_1) | instskip(NEXT) | instid1(VALU_DEP_1)
	v_and_or_b32 v11, 0x8000, v11, v12
	v_lshl_or_b32 v0, v0, 7, v11
	s_delay_alu instid0(VALU_DEP_1)
	v_cvt_f32_f16_e32 v85, v0
.LBB337_931:                            ;   in Loop: Header=BB337_803 Depth=1
	s_or_b32 exec_lo, exec_lo, s13
.LBB337_932:                            ;   in Loop: Header=BB337_803 Depth=1
	s_delay_alu instid0(SALU_CYCLE_1)
	s_or_b32 exec_lo, exec_lo, s12
.LBB337_933:                            ;   in Loop: Header=BB337_803 Depth=1
	s_delay_alu instid0(SALU_CYCLE_1)
	s_or_b32 exec_lo, exec_lo, s10
	s_waitcnt vmcnt(0) lgkmcnt(0)
	v_fma_mixlo_f16 v12, v71, v81, 0
	v_fma_mixlo_f16 v0, v71, v83, 0
	;; [unrolled: 1-line block ×5, first 2 shown]
	v_lshlrev_b32_e32 v81, 16, v12
	v_fma_mixlo_f16 v13, v71, v13, 0
	v_fma_mixlo_f16 v83, v71, v85, 0
	;; [unrolled: 1-line block ×3, first 2 shown]
	v_lshlrev_b32_e32 v0, 16, v0
	v_and_b32_e32 v11, 0xffff, v11
	v_and_b32_e32 v14, 0xffff, v80
	v_lshlrev_b32_e32 v71, 16, v82
	v_and_b32_e32 v80, 0xffff, v13
	v_lshlrev_b32_e32 v82, 16, v83
	v_and_b32_e32 v83, 0xffff, v12
	v_or_b32_e32 v13, v0, v11
	v_or_b32_e32 v14, v81, v14
	;; [unrolled: 1-line block ×3, first 2 shown]
	s_delay_alu instid0(VALU_DEP_4)
	v_or_b32_e32 v11, v82, v83
	s_and_saveexec_b32 s10, vcc_lo
	s_cbranch_execz .LBB337_935
; %bb.934:                              ;   in Loop: Header=BB337_803 Depth=1
	v_cmp_lt_i32_e64 s0, v15, v35
	v_lshrrev_b32_e32 v71, 16, v14
	v_lshrrev_b32_e32 v80, 16, v13
	;; [unrolled: 1-line block ×4, first 2 shown]
	v_cndmask_b32_e64 v14, 0, v14, s0
	v_cmp_lt_i32_e64 s0, v64, v39
	s_delay_alu instid0(VALU_DEP_1) | instskip(SKIP_1) | instid1(VALU_DEP_2)
	v_cndmask_b32_e64 v71, 0, v71, s0
	v_cmp_lt_i32_e64 s0, v55, v39
	v_perm_b32 v14, v71, v14, 0x5040100
	s_delay_alu instid0(VALU_DEP_2) | instskip(SKIP_1) | instid1(VALU_DEP_1)
	v_cndmask_b32_e64 v80, 0, v80, s0
	v_cmp_lt_i32_e64 s0, v54, v35
	v_cndmask_b32_e64 v13, 0, v13, s0
	v_cmp_lt_i32_e64 s0, v53, v39
	s_delay_alu instid0(VALU_DEP_2) | instskip(NEXT) | instid1(VALU_DEP_2)
	v_perm_b32 v13, v80, v13, 0x5040100
	v_cndmask_b32_e64 v81, 0, v81, s0
	v_cmp_lt_i32_e64 s0, v48, v35
	s_delay_alu instid0(VALU_DEP_1) | instskip(SKIP_1) | instid1(VALU_DEP_2)
	v_cndmask_b32_e64 v0, 0, v0, s0
	v_cmp_lt_i32_e64 s0, v23, v39
	v_perm_b32 v0, v81, v0, 0x5040100
	s_delay_alu instid0(VALU_DEP_2) | instskip(SKIP_1) | instid1(VALU_DEP_1)
	v_cndmask_b32_e64 v11, 0, v11, s0
	v_cmp_lt_i32_e64 s0, v17, v35
	v_cndmask_b32_e64 v12, 0, v12, s0
	s_delay_alu instid0(VALU_DEP_1)
	v_perm_b32 v11, v11, v12, 0x5040100
.LBB337_935:                            ;   in Loop: Header=BB337_803 Depth=1
	s_or_b32 exec_lo, exec_lo, s10
	;;#ASMSTART
	v_pk_mul_f16 v12, v70, v14;

	;;#ASMEND
	;;#ASMSTART
	v_pk_mul_f16 v13, v68, v13;

	;;#ASMEND
	;; [unrolled: 4-line block ×4, first 2 shown]
	;;#ASMSTART
	v_pk_add_f16 v12, v12, v13;

	;;#ASMEND
	;;#ASMSTART
	v_pk_add_f16 v0, v12, v0;

	;;#ASMEND
	;; [unrolled: 4-line block ×3, first 2 shown]
	v_dual_mov_b32 v82, 0 :: v_dual_and_b32 v11, 0xffff, v0
	v_lshrrev_b32_e32 v0, 16, v0
	;;#ASMSTART
	v_cvt_f32_f16 v71, v11;
	;;#ASMEND
	;;#ASMSTART
	v_cvt_f32_f16 v80, v0;
	;;#ASMEND
	flat_load_b64 v[11:12], v[9:10] offset:512
	flat_load_b32 v81, v[26:27]
	s_mov_b32 s10, exec_lo
	s_waitcnt vmcnt(1) lgkmcnt(1)
	v_dual_mov_b32 v83, 0 :: v_dual_and_b32 v0, 0xff, v11
	s_delay_alu instid0(VALU_DEP_1)
	v_cmpx_ne_u16_e32 0, v0
	s_cbranch_execz .LBB337_943
; %bb.936:                              ;   in Loop: Header=BB337_803 Depth=1
	v_bfrev_b32_e32 v82, 1
	s_mov_b32 s12, exec_lo
	v_cmpx_ne_u16_e32 0x80, v0
	s_cbranch_execz .LBB337_942
; %bb.937:                              ;   in Loop: Header=BB337_803 Depth=1
	v_and_b32_e32 v13, 0x7f, v11
	v_mov_b32_e32 v82, 0x7fc02000
	s_mov_b32 s13, exec_lo
	s_delay_alu instid0(VALU_DEP_2)
	v_cmpx_ne_u32_e32 0x7f, v13
	s_cbranch_execz .LBB337_941
; %bb.938:                              ;   in Loop: Header=BB337_803 Depth=1
	v_lshrrev_b32_e32 v0, 3, v13
	v_cmp_gt_u32_e64 s0, 8, v13
	v_dual_mov_b32 v14, v12 :: v_dual_mov_b32 v13, v11
	s_delay_alu instid0(VALU_DEP_2)
	s_and_saveexec_b32 s15, s0
; %bb.939:                              ;   in Loop: Header=BB337_803 Depth=1
	v_and_b32_e32 v0, 7, v11
	s_delay_alu instid0(VALU_DEP_1) | instskip(NEXT) | instid1(VALU_DEP_1)
	v_clz_i32_u32_e32 v0, v0
	v_min_u32_e32 v0, 32, v0
	s_delay_alu instid0(VALU_DEP_1) | instskip(SKIP_1) | instid1(VALU_DEP_2)
	v_subrev_nc_u32_e32 v13, 28, v0
	v_sub_nc_u32_e32 v0, 29, v0
	v_lshlrev_b64 v[13:14], v13, v[11:12]
; %bb.940:                              ;   in Loop: Header=BB337_803 Depth=1
	s_or_b32 exec_lo, exec_lo, s15
	v_lshlrev_b32_e32 v14, 8, v11
	s_delay_alu instid0(VALU_DEP_3) | instskip(NEXT) | instid1(VALU_DEP_3)
	v_lshl_add_u32 v0, v0, 10, 0x2000
	v_lshlrev_b32_e32 v13, 7, v13
	s_delay_alu instid0(VALU_DEP_2) | instskip(NEXT) | instid1(VALU_DEP_1)
	v_and_or_b32 v0, 0x8000, v14, v0
	v_and_or_b32 v0, 0x380, v13, v0
	s_delay_alu instid0(VALU_DEP_1)
	v_cvt_f32_f16_e32 v82, v0
.LBB337_941:                            ;   in Loop: Header=BB337_803 Depth=1
	s_or_b32 exec_lo, exec_lo, s13
.LBB337_942:                            ;   in Loop: Header=BB337_803 Depth=1
	s_delay_alu instid0(SALU_CYCLE_1)
	s_or_b32 exec_lo, exec_lo, s12
.LBB337_943:                            ;   in Loop: Header=BB337_803 Depth=1
	s_delay_alu instid0(SALU_CYCLE_1) | instskip(SKIP_2) | instid1(VALU_DEP_1)
	s_or_b32 exec_lo, exec_lo, s10
	v_lshrrev_b16 v0, 8, v11
	s_mov_b32 s10, exec_lo
	v_cmpx_ne_u16_e32 0, v0
	s_cbranch_execz .LBB337_951
; %bb.944:                              ;   in Loop: Header=BB337_803 Depth=1
	v_bfrev_b32_e32 v83, 1
	s_mov_b32 s12, exec_lo
	v_cmpx_ne_u16_e32 0x80, v0
	s_cbranch_execz .LBB337_950
; %bb.945:                              ;   in Loop: Header=BB337_803 Depth=1
	v_and_b32_e32 v13, 0xffff, v0
	v_mov_b32_e32 v83, 0x7fc02000
	s_mov_b32 s13, exec_lo
	s_delay_alu instid0(VALU_DEP_2) | instskip(NEXT) | instid1(VALU_DEP_1)
	v_and_b32_e32 v84, 0x7f, v13
	v_cmpx_ne_u32_e32 0x7f, v84
	s_cbranch_execz .LBB337_949
; %bb.946:                              ;   in Loop: Header=BB337_803 Depth=1
	v_and_b32_e32 v0, 7, v13
	v_lshrrev_b32_e32 v14, 3, v84
	s_mov_b32 s15, exec_lo
	v_cmpx_gt_u32_e32 8, v84
; %bb.947:                              ;   in Loop: Header=BB337_803 Depth=1
	s_delay_alu instid0(VALU_DEP_3) | instskip(NEXT) | instid1(VALU_DEP_1)
	v_clz_i32_u32_e32 v14, v0
	v_min_u32_e32 v14, 32, v14
	s_delay_alu instid0(VALU_DEP_1) | instskip(SKIP_1) | instid1(VALU_DEP_2)
	v_subrev_nc_u32_e32 v83, 28, v14
	v_sub_nc_u32_e32 v14, 29, v14
	v_lshlrev_b64 v[83:84], v83, v[0:1]
	s_delay_alu instid0(VALU_DEP_1)
	v_and_b32_e32 v0, 7, v83
; %bb.948:                              ;   in Loop: Header=BB337_803 Depth=1
	s_or_b32 exec_lo, exec_lo, s15
	v_lshlrev_b32_e32 v13, 8, v13
	v_lshl_add_u32 v14, v14, 10, 0x2000
	s_delay_alu instid0(VALU_DEP_1) | instskip(NEXT) | instid1(VALU_DEP_1)
	v_and_or_b32 v13, 0x8000, v13, v14
	v_lshl_or_b32 v0, v0, 7, v13
	s_delay_alu instid0(VALU_DEP_1)
	v_cvt_f32_f16_e32 v83, v0
.LBB337_949:                            ;   in Loop: Header=BB337_803 Depth=1
	s_or_b32 exec_lo, exec_lo, s13
.LBB337_950:                            ;   in Loop: Header=BB337_803 Depth=1
	s_delay_alu instid0(SALU_CYCLE_1)
	s_or_b32 exec_lo, exec_lo, s12
.LBB337_951:                            ;   in Loop: Header=BB337_803 Depth=1
	s_delay_alu instid0(SALU_CYCLE_1) | instskip(SKIP_3) | instid1(VALU_DEP_2)
	s_or_b32 exec_lo, exec_lo, s10
	v_lshrrev_b32_e32 v13, 16, v11
	v_mov_b32_e32 v84, 0
	s_mov_b32 s10, exec_lo
	v_dual_mov_b32 v85, 0 :: v_dual_and_b32 v0, 0xff, v13
	s_delay_alu instid0(VALU_DEP_1)
	v_cmpx_ne_u16_e32 0, v0
	s_cbranch_execz .LBB337_959
; %bb.952:                              ;   in Loop: Header=BB337_803 Depth=1
	v_bfrev_b32_e32 v84, 1
	s_mov_b32 s12, exec_lo
	v_cmpx_ne_u16_e32 0x80, v0
	s_cbranch_execz .LBB337_958
; %bb.953:                              ;   in Loop: Header=BB337_803 Depth=1
	v_bfe_u32 v86, v11, 16, 7
	v_mov_b32_e32 v84, 0x7fc02000
	s_mov_b32 s13, exec_lo
	s_delay_alu instid0(VALU_DEP_2)
	v_cmpx_ne_u32_e32 0x7f, v86
	s_cbranch_execz .LBB337_957
; %bb.954:                              ;   in Loop: Header=BB337_803 Depth=1
	v_and_b32_e32 v0, 7, v13
	v_lshrrev_b32_e32 v14, 3, v86
	s_mov_b32 s15, exec_lo
	v_cmpx_gt_u32_e32 8, v86
; %bb.955:                              ;   in Loop: Header=BB337_803 Depth=1
	s_delay_alu instid0(VALU_DEP_3) | instskip(NEXT) | instid1(VALU_DEP_1)
	v_clz_i32_u32_e32 v14, v0
	v_min_u32_e32 v14, 32, v14
	s_delay_alu instid0(VALU_DEP_1) | instskip(SKIP_1) | instid1(VALU_DEP_2)
	v_subrev_nc_u32_e32 v84, 28, v14
	v_sub_nc_u32_e32 v14, 29, v14
	v_lshlrev_b64 v[86:87], v84, v[0:1]
	s_delay_alu instid0(VALU_DEP_1)
	v_and_b32_e32 v0, 7, v86
; %bb.956:                              ;   in Loop: Header=BB337_803 Depth=1
	s_or_b32 exec_lo, exec_lo, s15
	v_lshlrev_b32_e32 v13, 8, v13
	v_lshl_add_u32 v14, v14, 10, 0x2000
	s_delay_alu instid0(VALU_DEP_1) | instskip(NEXT) | instid1(VALU_DEP_1)
	v_and_or_b32 v13, 0x8000, v13, v14
	v_lshl_or_b32 v0, v0, 7, v13
	s_delay_alu instid0(VALU_DEP_1)
	v_cvt_f32_f16_e32 v84, v0
.LBB337_957:                            ;   in Loop: Header=BB337_803 Depth=1
	s_or_b32 exec_lo, exec_lo, s13
.LBB337_958:                            ;   in Loop: Header=BB337_803 Depth=1
	s_delay_alu instid0(SALU_CYCLE_1)
	s_or_b32 exec_lo, exec_lo, s12
.LBB337_959:                            ;   in Loop: Header=BB337_803 Depth=1
	s_delay_alu instid0(SALU_CYCLE_1) | instskip(NEXT) | instid1(SALU_CYCLE_1)
	s_or_b32 exec_lo, exec_lo, s10
	s_mov_b32 s10, exec_lo
	v_cmpx_lt_u32_e32 0xffffff, v11
	s_cbranch_execz .LBB337_967
; %bb.960:                              ;   in Loop: Header=BB337_803 Depth=1
	v_lshrrev_b32_e32 v86, 24, v11
	v_bfrev_b32_e32 v85, 1
	s_mov_b32 s12, exec_lo
	s_delay_alu instid0(VALU_DEP_2)
	v_cmpx_ne_u32_e32 0x80, v86
	s_cbranch_execz .LBB337_966
; %bb.961:                              ;   in Loop: Header=BB337_803 Depth=1
	v_and_b32_e32 v13, 0x7f, v86
	v_mov_b32_e32 v85, 0x7fc02000
	s_mov_b32 s13, exec_lo
	s_delay_alu instid0(VALU_DEP_2)
	v_cmpx_ne_u32_e32 0x7f, v13
	s_cbranch_execz .LBB337_965
; %bb.962:                              ;   in Loop: Header=BB337_803 Depth=1
	v_and_b32_e32 v0, 7, v86
	v_lshrrev_b32_e32 v85, 3, v13
	v_cmp_gt_u32_e64 s0, 8, v13
	s_delay_alu instid0(VALU_DEP_3) | instskip(NEXT) | instid1(VALU_DEP_2)
	v_dual_mov_b32 v14, v1 :: v_dual_mov_b32 v13, v0
	s_and_saveexec_b32 s15, s0
; %bb.963:                              ;   in Loop: Header=BB337_803 Depth=1
	v_clz_i32_u32_e32 v13, v0
	s_delay_alu instid0(VALU_DEP_1) | instskip(NEXT) | instid1(VALU_DEP_1)
	v_min_u32_e32 v85, 32, v13
	v_subrev_nc_u32_e32 v13, 28, v85
	v_sub_nc_u32_e32 v85, 29, v85
	s_delay_alu instid0(VALU_DEP_2) | instskip(NEXT) | instid1(VALU_DEP_1)
	v_lshlrev_b64 v[13:14], v13, v[0:1]
	v_and_b32_e32 v13, 7, v13
; %bb.964:                              ;   in Loop: Header=BB337_803 Depth=1
	s_or_b32 exec_lo, exec_lo, s15
	v_lshlrev_b32_e32 v0, 8, v86
	v_lshl_add_u32 v14, v85, 10, 0x2000
	s_delay_alu instid0(VALU_DEP_1) | instskip(NEXT) | instid1(VALU_DEP_1)
	v_and_or_b32 v0, 0x8000, v0, v14
	v_lshl_or_b32 v0, v13, 7, v0
	s_delay_alu instid0(VALU_DEP_1)
	v_cvt_f32_f16_e32 v85, v0
.LBB337_965:                            ;   in Loop: Header=BB337_803 Depth=1
	s_or_b32 exec_lo, exec_lo, s13
.LBB337_966:                            ;   in Loop: Header=BB337_803 Depth=1
	s_delay_alu instid0(SALU_CYCLE_1)
	s_or_b32 exec_lo, exec_lo, s12
.LBB337_967:                            ;   in Loop: Header=BB337_803 Depth=1
	s_delay_alu instid0(SALU_CYCLE_1) | instskip(SKIP_3) | instid1(VALU_DEP_2)
	s_or_b32 exec_lo, exec_lo, s10
	v_dual_mov_b32 v0, v12 :: v_dual_and_b32 v13, 0xff, v12
	v_dual_mov_b32 v87, 0 :: v_dual_mov_b32 v86, 0
	s_mov_b32 s10, exec_lo
	v_cmpx_ne_u16_e32 0, v13
	s_cbranch_execz .LBB337_975
; %bb.968:                              ;   in Loop: Header=BB337_803 Depth=1
	v_bfrev_b32_e32 v86, 1
	s_mov_b32 s12, exec_lo
	v_cmpx_ne_u16_e32 0x80, v13
	s_cbranch_execz .LBB337_974
; %bb.969:                              ;   in Loop: Header=BB337_803 Depth=1
	v_and_b32_e32 v13, 0x7f, v12
	v_mov_b32_e32 v86, 0x7fc02000
	s_mov_b32 s13, exec_lo
	s_delay_alu instid0(VALU_DEP_2)
	v_cmpx_ne_u32_e32 0x7f, v13
	s_cbranch_execz .LBB337_973
; %bb.970:                              ;   in Loop: Header=BB337_803 Depth=1
	v_lshrrev_b32_e32 v86, 3, v13
	v_cmp_gt_u32_e64 s0, 8, v13
	v_dual_mov_b32 v14, v1 :: v_dual_mov_b32 v13, v0
	s_delay_alu instid0(VALU_DEP_2)
	s_and_saveexec_b32 s15, s0
; %bb.971:                              ;   in Loop: Header=BB337_803 Depth=1
	v_and_b32_e32 v13, 7, v12
	s_delay_alu instid0(VALU_DEP_1) | instskip(NEXT) | instid1(VALU_DEP_1)
	v_clz_i32_u32_e32 v13, v13
	v_min_u32_e32 v86, 32, v13
	s_delay_alu instid0(VALU_DEP_1) | instskip(SKIP_1) | instid1(VALU_DEP_2)
	v_subrev_nc_u32_e32 v13, 28, v86
	v_sub_nc_u32_e32 v86, 29, v86
	v_lshlrev_b64 v[13:14], v13, v[0:1]
; %bb.972:                              ;   in Loop: Header=BB337_803 Depth=1
	s_or_b32 exec_lo, exec_lo, s15
	v_lshlrev_b32_e32 v14, 8, v12
	s_delay_alu instid0(VALU_DEP_3) | instskip(NEXT) | instid1(VALU_DEP_3)
	v_lshl_add_u32 v86, v86, 10, 0x2000
	v_lshlrev_b32_e32 v13, 7, v13
	s_delay_alu instid0(VALU_DEP_2) | instskip(NEXT) | instid1(VALU_DEP_1)
	v_and_or_b32 v14, 0x8000, v14, v86
	v_and_or_b32 v13, 0x380, v13, v14
	s_delay_alu instid0(VALU_DEP_1)
	v_cvt_f32_f16_e32 v86, v13
.LBB337_973:                            ;   in Loop: Header=BB337_803 Depth=1
	s_or_b32 exec_lo, exec_lo, s13
.LBB337_974:                            ;   in Loop: Header=BB337_803 Depth=1
	s_delay_alu instid0(SALU_CYCLE_1)
	s_or_b32 exec_lo, exec_lo, s12
.LBB337_975:                            ;   in Loop: Header=BB337_803 Depth=1
	s_delay_alu instid0(SALU_CYCLE_1) | instskip(SKIP_2) | instid1(VALU_DEP_1)
	s_or_b32 exec_lo, exec_lo, s10
	v_lshrrev_b16 v0, 8, v0
	s_mov_b32 s10, exec_lo
	v_cmpx_ne_u16_e32 0, v0
	s_cbranch_execz .LBB337_983
; %bb.976:                              ;   in Loop: Header=BB337_803 Depth=1
	v_bfrev_b32_e32 v87, 1
	s_mov_b32 s12, exec_lo
	v_cmpx_ne_u16_e32 0x80, v0
	s_cbranch_execz .LBB337_982
; %bb.977:                              ;   in Loop: Header=BB337_803 Depth=1
	v_and_b32_e32 v96, 0xffff, v0
	v_mov_b32_e32 v87, 0x7fc02000
	s_mov_b32 s13, exec_lo
	s_delay_alu instid0(VALU_DEP_2) | instskip(NEXT) | instid1(VALU_DEP_1)
	v_and_b32_e32 v13, 0x7f, v96
	v_cmpx_ne_u32_e32 0x7f, v13
	s_cbranch_execz .LBB337_981
; %bb.978:                              ;   in Loop: Header=BB337_803 Depth=1
	v_and_b32_e32 v0, 7, v96
	v_lshrrev_b32_e32 v87, 3, v13
	v_cmp_gt_u32_e64 s0, 8, v13
	s_delay_alu instid0(VALU_DEP_3) | instskip(NEXT) | instid1(VALU_DEP_2)
	v_dual_mov_b32 v14, v1 :: v_dual_mov_b32 v13, v0
	s_and_saveexec_b32 s15, s0
; %bb.979:                              ;   in Loop: Header=BB337_803 Depth=1
	v_clz_i32_u32_e32 v13, v0
	s_delay_alu instid0(VALU_DEP_1) | instskip(NEXT) | instid1(VALU_DEP_1)
	v_min_u32_e32 v87, 32, v13
	v_subrev_nc_u32_e32 v13, 28, v87
	v_sub_nc_u32_e32 v87, 29, v87
	s_delay_alu instid0(VALU_DEP_2) | instskip(NEXT) | instid1(VALU_DEP_1)
	v_lshlrev_b64 v[13:14], v13, v[0:1]
	v_and_b32_e32 v13, 7, v13
; %bb.980:                              ;   in Loop: Header=BB337_803 Depth=1
	s_or_b32 exec_lo, exec_lo, s15
	v_lshlrev_b32_e32 v0, 8, v96
	v_lshl_add_u32 v14, v87, 10, 0x2000
	s_delay_alu instid0(VALU_DEP_1) | instskip(NEXT) | instid1(VALU_DEP_1)
	v_and_or_b32 v0, 0x8000, v0, v14
	v_lshl_or_b32 v0, v13, 7, v0
	s_delay_alu instid0(VALU_DEP_1)
	v_cvt_f32_f16_e32 v87, v0
.LBB337_981:                            ;   in Loop: Header=BB337_803 Depth=1
	s_or_b32 exec_lo, exec_lo, s13
.LBB337_982:                            ;   in Loop: Header=BB337_803 Depth=1
	s_delay_alu instid0(SALU_CYCLE_1)
	s_or_b32 exec_lo, exec_lo, s12
.LBB337_983:                            ;   in Loop: Header=BB337_803 Depth=1
	s_delay_alu instid0(SALU_CYCLE_1) | instskip(SKIP_3) | instid1(VALU_DEP_2)
	s_or_b32 exec_lo, exec_lo, s10
	v_lshrrev_b32_e32 v97, 16, v12
	v_mov_b32_e32 v96, 0
	s_mov_b32 s10, exec_lo
	v_dual_mov_b32 v13, 0 :: v_dual_and_b32 v0, 0xff, v97
	s_delay_alu instid0(VALU_DEP_1)
	v_cmpx_ne_u16_e32 0, v0
	s_cbranch_execz .LBB337_991
; %bb.984:                              ;   in Loop: Header=BB337_803 Depth=1
	v_bfrev_b32_e32 v13, 1
	s_mov_b32 s12, exec_lo
	v_cmpx_ne_u16_e32 0x80, v0
	s_cbranch_execz .LBB337_990
; %bb.985:                              ;   in Loop: Header=BB337_803 Depth=1
	v_bfe_u32 v14, v12, 16, 7
	v_mov_b32_e32 v13, 0x7fc02000
	s_mov_b32 s13, exec_lo
	s_delay_alu instid0(VALU_DEP_2)
	v_cmpx_ne_u32_e32 0x7f, v14
	s_cbranch_execz .LBB337_989
; %bb.986:                              ;   in Loop: Header=BB337_803 Depth=1
	v_and_b32_e32 v0, 7, v97
	v_lshrrev_b32_e32 v98, 3, v14
	v_cmp_gt_u32_e64 s0, 8, v14
	s_delay_alu instid0(VALU_DEP_3) | instskip(NEXT) | instid1(VALU_DEP_2)
	v_dual_mov_b32 v14, v1 :: v_dual_mov_b32 v13, v0
	s_and_saveexec_b32 s15, s0
; %bb.987:                              ;   in Loop: Header=BB337_803 Depth=1
	v_clz_i32_u32_e32 v13, v0
	s_delay_alu instid0(VALU_DEP_1) | instskip(NEXT) | instid1(VALU_DEP_1)
	v_min_u32_e32 v98, 32, v13
	v_subrev_nc_u32_e32 v13, 28, v98
	v_sub_nc_u32_e32 v98, 29, v98
	s_delay_alu instid0(VALU_DEP_2) | instskip(NEXT) | instid1(VALU_DEP_1)
	v_lshlrev_b64 v[13:14], v13, v[0:1]
	v_and_b32_e32 v13, 7, v13
; %bb.988:                              ;   in Loop: Header=BB337_803 Depth=1
	s_or_b32 exec_lo, exec_lo, s15
	v_lshlrev_b32_e32 v0, 8, v97
	v_lshl_add_u32 v14, v98, 10, 0x2000
	s_delay_alu instid0(VALU_DEP_1) | instskip(NEXT) | instid1(VALU_DEP_1)
	v_and_or_b32 v0, 0x8000, v0, v14
	v_lshl_or_b32 v0, v13, 7, v0
	s_delay_alu instid0(VALU_DEP_1)
	v_cvt_f32_f16_e32 v13, v0
.LBB337_989:                            ;   in Loop: Header=BB337_803 Depth=1
	s_or_b32 exec_lo, exec_lo, s13
.LBB337_990:                            ;   in Loop: Header=BB337_803 Depth=1
	s_delay_alu instid0(SALU_CYCLE_1)
	s_or_b32 exec_lo, exec_lo, s12
.LBB337_991:                            ;   in Loop: Header=BB337_803 Depth=1
	s_delay_alu instid0(SALU_CYCLE_1) | instskip(NEXT) | instid1(SALU_CYCLE_1)
	s_or_b32 exec_lo, exec_lo, s10
	s_mov_b32 s10, exec_lo
	v_cmpx_lt_u64_e64 s[8:9], v[11:12]
	s_cbranch_execz .LBB337_999
; %bb.992:                              ;   in Loop: Header=BB337_803 Depth=1
	v_lshrrev_b32_e32 v14, 24, v12
	v_bfrev_b32_e32 v96, 1
	s_mov_b32 s12, exec_lo
	s_delay_alu instid0(VALU_DEP_2)
	v_cmpx_ne_u32_e32 0x80, v14
	s_cbranch_execz .LBB337_998
; %bb.993:                              ;   in Loop: Header=BB337_803 Depth=1
	v_and_b32_e32 v11, 0x7f, v14
	v_mov_b32_e32 v96, 0x7fc02000
	s_mov_b32 s13, exec_lo
	s_delay_alu instid0(VALU_DEP_2)
	v_cmpx_ne_u32_e32 0x7f, v11
	s_cbranch_execz .LBB337_997
; %bb.994:                              ;   in Loop: Header=BB337_803 Depth=1
	v_and_b32_e32 v0, 7, v14
	v_lshrrev_b32_e32 v96, 3, v11
	v_cmp_gt_u32_e64 s0, 8, v11
	s_delay_alu instid0(VALU_DEP_3) | instskip(NEXT) | instid1(VALU_DEP_2)
	v_dual_mov_b32 v12, v1 :: v_dual_mov_b32 v11, v0
	s_and_saveexec_b32 s15, s0
; %bb.995:                              ;   in Loop: Header=BB337_803 Depth=1
	v_clz_i32_u32_e32 v11, v0
	s_delay_alu instid0(VALU_DEP_1) | instskip(NEXT) | instid1(VALU_DEP_1)
	v_min_u32_e32 v96, 32, v11
	v_subrev_nc_u32_e32 v11, 28, v96
	v_sub_nc_u32_e32 v96, 29, v96
	s_delay_alu instid0(VALU_DEP_2) | instskip(NEXT) | instid1(VALU_DEP_1)
	v_lshlrev_b64 v[11:12], v11, v[0:1]
	v_and_b32_e32 v11, 7, v11
; %bb.996:                              ;   in Loop: Header=BB337_803 Depth=1
	s_or_b32 exec_lo, exec_lo, s15
	v_lshlrev_b32_e32 v0, 8, v14
	v_lshl_add_u32 v12, v96, 10, 0x2000
	s_delay_alu instid0(VALU_DEP_1) | instskip(NEXT) | instid1(VALU_DEP_1)
	v_and_or_b32 v0, 0x8000, v0, v12
	v_lshl_or_b32 v0, v11, 7, v0
	s_delay_alu instid0(VALU_DEP_1)
	v_cvt_f32_f16_e32 v96, v0
.LBB337_997:                            ;   in Loop: Header=BB337_803 Depth=1
	s_or_b32 exec_lo, exec_lo, s13
.LBB337_998:                            ;   in Loop: Header=BB337_803 Depth=1
	s_delay_alu instid0(SALU_CYCLE_1)
	s_or_b32 exec_lo, exec_lo, s12
.LBB337_999:                            ;   in Loop: Header=BB337_803 Depth=1
	s_delay_alu instid0(SALU_CYCLE_1)
	s_or_b32 exec_lo, exec_lo, s10
	s_waitcnt vmcnt(0) lgkmcnt(0)
	v_fma_mixlo_f16 v12, v81, v83, 0
	v_fma_mixlo_f16 v0, v81, v85, 0
	;; [unrolled: 1-line block ×5, first 2 shown]
	v_lshlrev_b32_e32 v14, 16, v12
	v_fma_mixlo_f16 v84, v81, v86, 0
	v_fma_mixlo_f16 v85, v81, v96, 0
	;; [unrolled: 1-line block ×3, first 2 shown]
	v_lshlrev_b32_e32 v0, 16, v0
	v_and_b32_e32 v11, 0xffff, v11
	v_and_b32_e32 v81, 0xffff, v82
	v_lshlrev_b32_e32 v82, 16, v83
	v_and_b32_e32 v83, 0xffff, v84
	v_lshlrev_b32_e32 v84, 16, v85
	v_and_b32_e32 v85, 0xffff, v12
	v_or_b32_e32 v13, v0, v11
	v_or_b32_e32 v14, v14, v81
	;; [unrolled: 1-line block ×3, first 2 shown]
	s_delay_alu instid0(VALU_DEP_4)
	v_or_b32_e32 v11, v84, v85
	s_and_saveexec_b32 s10, vcc_lo
	s_cbranch_execz .LBB337_1001
; %bb.1000:                             ;   in Loop: Header=BB337_803 Depth=1
	v_cmp_lt_i32_e64 s0, v15, v35
	v_lshrrev_b32_e32 v81, 16, v14
	v_lshrrev_b32_e32 v82, 16, v13
	;; [unrolled: 1-line block ×4, first 2 shown]
	v_cndmask_b32_e64 v14, 0, v14, s0
	v_cmp_lt_i32_e64 s0, v64, v39
	s_delay_alu instid0(VALU_DEP_1) | instskip(SKIP_1) | instid1(VALU_DEP_2)
	v_cndmask_b32_e64 v81, 0, v81, s0
	v_cmp_lt_i32_e64 s0, v55, v39
	v_perm_b32 v14, v81, v14, 0x5040100
	s_delay_alu instid0(VALU_DEP_2) | instskip(SKIP_1) | instid1(VALU_DEP_1)
	v_cndmask_b32_e64 v82, 0, v82, s0
	v_cmp_lt_i32_e64 s0, v54, v35
	v_cndmask_b32_e64 v13, 0, v13, s0
	v_cmp_lt_i32_e64 s0, v53, v39
	s_delay_alu instid0(VALU_DEP_2) | instskip(NEXT) | instid1(VALU_DEP_2)
	v_perm_b32 v13, v82, v13, 0x5040100
	v_cndmask_b32_e64 v83, 0, v83, s0
	v_cmp_lt_i32_e64 s0, v48, v35
	s_delay_alu instid0(VALU_DEP_1) | instskip(SKIP_1) | instid1(VALU_DEP_2)
	v_cndmask_b32_e64 v0, 0, v0, s0
	v_cmp_lt_i32_e64 s0, v23, v39
	v_perm_b32 v0, v83, v0, 0x5040100
	s_delay_alu instid0(VALU_DEP_2) | instskip(SKIP_1) | instid1(VALU_DEP_1)
	v_cndmask_b32_e64 v11, 0, v11, s0
	v_cmp_lt_i32_e64 s0, v17, v35
	v_cndmask_b32_e64 v12, 0, v12, s0
	s_delay_alu instid0(VALU_DEP_1)
	v_perm_b32 v11, v11, v12, 0x5040100
.LBB337_1001:                           ;   in Loop: Header=BB337_803 Depth=1
	s_or_b32 exec_lo, exec_lo, s10
	;;#ASMSTART
	v_pk_mul_f16 v12, v70, v14;

	;;#ASMEND
	;;#ASMSTART
	v_pk_mul_f16 v13, v68, v13;

	;;#ASMEND
	;; [unrolled: 4-line block ×4, first 2 shown]
	;;#ASMSTART
	v_pk_add_f16 v12, v12, v13;

	;;#ASMEND
	;;#ASMSTART
	v_pk_add_f16 v0, v12, v0;

	;;#ASMEND
	;; [unrolled: 4-line block ×3, first 2 shown]
	v_dual_mov_b32 v84, 0 :: v_dual_and_b32 v11, 0xffff, v0
	v_lshrrev_b32_e32 v0, 16, v0
	;;#ASMSTART
	v_cvt_f32_f16 v81, v11;
	;;#ASMEND
	;;#ASMSTART
	v_cvt_f32_f16 v82, v0;
	;;#ASMEND
	flat_load_b64 v[11:12], v[9:10] offset:768
	flat_load_b32 v83, v[26:27]
	s_mov_b32 s10, exec_lo
	s_waitcnt vmcnt(1) lgkmcnt(1)
	v_dual_mov_b32 v85, 0 :: v_dual_and_b32 v0, 0xff, v11
	s_delay_alu instid0(VALU_DEP_1)
	v_cmpx_ne_u16_e32 0, v0
	s_cbranch_execz .LBB337_1009
; %bb.1002:                             ;   in Loop: Header=BB337_803 Depth=1
	v_bfrev_b32_e32 v84, 1
	s_mov_b32 s12, exec_lo
	v_cmpx_ne_u16_e32 0x80, v0
	s_cbranch_execz .LBB337_1008
; %bb.1003:                             ;   in Loop: Header=BB337_803 Depth=1
	v_and_b32_e32 v13, 0x7f, v11
	v_mov_b32_e32 v84, 0x7fc02000
	s_mov_b32 s13, exec_lo
	s_delay_alu instid0(VALU_DEP_2)
	v_cmpx_ne_u32_e32 0x7f, v13
	s_cbranch_execz .LBB337_1007
; %bb.1004:                             ;   in Loop: Header=BB337_803 Depth=1
	v_lshrrev_b32_e32 v0, 3, v13
	v_cmp_gt_u32_e64 s0, 8, v13
	v_dual_mov_b32 v14, v12 :: v_dual_mov_b32 v13, v11
	s_delay_alu instid0(VALU_DEP_2)
	s_and_saveexec_b32 s15, s0
; %bb.1005:                             ;   in Loop: Header=BB337_803 Depth=1
	v_and_b32_e32 v0, 7, v11
	s_delay_alu instid0(VALU_DEP_1) | instskip(NEXT) | instid1(VALU_DEP_1)
	v_clz_i32_u32_e32 v0, v0
	v_min_u32_e32 v0, 32, v0
	s_delay_alu instid0(VALU_DEP_1) | instskip(SKIP_1) | instid1(VALU_DEP_2)
	v_subrev_nc_u32_e32 v13, 28, v0
	v_sub_nc_u32_e32 v0, 29, v0
	v_lshlrev_b64 v[13:14], v13, v[11:12]
; %bb.1006:                             ;   in Loop: Header=BB337_803 Depth=1
	s_or_b32 exec_lo, exec_lo, s15
	v_lshlrev_b32_e32 v14, 8, v11
	s_delay_alu instid0(VALU_DEP_3) | instskip(NEXT) | instid1(VALU_DEP_3)
	v_lshl_add_u32 v0, v0, 10, 0x2000
	v_lshlrev_b32_e32 v13, 7, v13
	s_delay_alu instid0(VALU_DEP_2) | instskip(NEXT) | instid1(VALU_DEP_1)
	v_and_or_b32 v0, 0x8000, v14, v0
	v_and_or_b32 v0, 0x380, v13, v0
	s_delay_alu instid0(VALU_DEP_1)
	v_cvt_f32_f16_e32 v84, v0
.LBB337_1007:                           ;   in Loop: Header=BB337_803 Depth=1
	s_or_b32 exec_lo, exec_lo, s13
.LBB337_1008:                           ;   in Loop: Header=BB337_803 Depth=1
	s_delay_alu instid0(SALU_CYCLE_1)
	s_or_b32 exec_lo, exec_lo, s12
.LBB337_1009:                           ;   in Loop: Header=BB337_803 Depth=1
	s_delay_alu instid0(SALU_CYCLE_1) | instskip(SKIP_2) | instid1(VALU_DEP_1)
	s_or_b32 exec_lo, exec_lo, s10
	v_lshrrev_b16 v0, 8, v11
	s_mov_b32 s10, exec_lo
	v_cmpx_ne_u16_e32 0, v0
	s_cbranch_execz .LBB337_1017
; %bb.1010:                             ;   in Loop: Header=BB337_803 Depth=1
	v_bfrev_b32_e32 v85, 1
	s_mov_b32 s12, exec_lo
	v_cmpx_ne_u16_e32 0x80, v0
	s_cbranch_execz .LBB337_1016
; %bb.1011:                             ;   in Loop: Header=BB337_803 Depth=1
	v_and_b32_e32 v86, 0xffff, v0
	v_mov_b32_e32 v85, 0x7fc02000
	s_mov_b32 s13, exec_lo
	s_delay_alu instid0(VALU_DEP_2) | instskip(NEXT) | instid1(VALU_DEP_1)
	v_and_b32_e32 v13, 0x7f, v86
	v_cmpx_ne_u32_e32 0x7f, v13
	s_cbranch_execz .LBB337_1015
; %bb.1012:                             ;   in Loop: Header=BB337_803 Depth=1
	v_and_b32_e32 v0, 7, v86
	v_lshrrev_b32_e32 v85, 3, v13
	v_cmp_gt_u32_e64 s0, 8, v13
	s_delay_alu instid0(VALU_DEP_3) | instskip(NEXT) | instid1(VALU_DEP_2)
	v_dual_mov_b32 v14, v1 :: v_dual_mov_b32 v13, v0
	s_and_saveexec_b32 s15, s0
; %bb.1013:                             ;   in Loop: Header=BB337_803 Depth=1
	v_clz_i32_u32_e32 v13, v0
	s_delay_alu instid0(VALU_DEP_1) | instskip(NEXT) | instid1(VALU_DEP_1)
	v_min_u32_e32 v85, 32, v13
	v_subrev_nc_u32_e32 v13, 28, v85
	v_sub_nc_u32_e32 v85, 29, v85
	s_delay_alu instid0(VALU_DEP_2) | instskip(NEXT) | instid1(VALU_DEP_1)
	v_lshlrev_b64 v[13:14], v13, v[0:1]
	v_and_b32_e32 v13, 7, v13
; %bb.1014:                             ;   in Loop: Header=BB337_803 Depth=1
	s_or_b32 exec_lo, exec_lo, s15
	v_lshlrev_b32_e32 v0, 8, v86
	v_lshl_add_u32 v14, v85, 10, 0x2000
	s_delay_alu instid0(VALU_DEP_1) | instskip(NEXT) | instid1(VALU_DEP_1)
	v_and_or_b32 v0, 0x8000, v0, v14
	v_lshl_or_b32 v0, v13, 7, v0
	s_delay_alu instid0(VALU_DEP_1)
	v_cvt_f32_f16_e32 v85, v0
.LBB337_1015:                           ;   in Loop: Header=BB337_803 Depth=1
	s_or_b32 exec_lo, exec_lo, s13
.LBB337_1016:                           ;   in Loop: Header=BB337_803 Depth=1
	s_delay_alu instid0(SALU_CYCLE_1)
	s_or_b32 exec_lo, exec_lo, s12
.LBB337_1017:                           ;   in Loop: Header=BB337_803 Depth=1
	s_delay_alu instid0(SALU_CYCLE_1) | instskip(SKIP_3) | instid1(VALU_DEP_2)
	s_or_b32 exec_lo, exec_lo, s10
	v_lshrrev_b32_e32 v96, 16, v11
	v_mov_b32_e32 v86, 0
	s_mov_b32 s10, exec_lo
	v_dual_mov_b32 v87, 0 :: v_dual_and_b32 v0, 0xff, v96
	s_delay_alu instid0(VALU_DEP_1)
	v_cmpx_ne_u16_e32 0, v0
	s_cbranch_execz .LBB337_1025
; %bb.1018:                             ;   in Loop: Header=BB337_803 Depth=1
	v_bfrev_b32_e32 v86, 1
	s_mov_b32 s12, exec_lo
	v_cmpx_ne_u16_e32 0x80, v0
	s_cbranch_execz .LBB337_1024
; %bb.1019:                             ;   in Loop: Header=BB337_803 Depth=1
	v_bfe_u32 v13, v11, 16, 7
	v_mov_b32_e32 v86, 0x7fc02000
	s_mov_b32 s13, exec_lo
	s_delay_alu instid0(VALU_DEP_2)
	v_cmpx_ne_u32_e32 0x7f, v13
	s_cbranch_execz .LBB337_1023
; %bb.1020:                             ;   in Loop: Header=BB337_803 Depth=1
	v_and_b32_e32 v0, 7, v96
	v_lshrrev_b32_e32 v86, 3, v13
	v_cmp_gt_u32_e64 s0, 8, v13
	s_delay_alu instid0(VALU_DEP_3) | instskip(NEXT) | instid1(VALU_DEP_2)
	v_dual_mov_b32 v14, v1 :: v_dual_mov_b32 v13, v0
	s_and_saveexec_b32 s15, s0
; %bb.1021:                             ;   in Loop: Header=BB337_803 Depth=1
	v_clz_i32_u32_e32 v13, v0
	s_delay_alu instid0(VALU_DEP_1) | instskip(NEXT) | instid1(VALU_DEP_1)
	v_min_u32_e32 v86, 32, v13
	v_subrev_nc_u32_e32 v13, 28, v86
	v_sub_nc_u32_e32 v86, 29, v86
	s_delay_alu instid0(VALU_DEP_2) | instskip(NEXT) | instid1(VALU_DEP_1)
	v_lshlrev_b64 v[13:14], v13, v[0:1]
	v_and_b32_e32 v13, 7, v13
; %bb.1022:                             ;   in Loop: Header=BB337_803 Depth=1
	s_or_b32 exec_lo, exec_lo, s15
	v_lshlrev_b32_e32 v0, 8, v96
	v_lshl_add_u32 v14, v86, 10, 0x2000
	s_delay_alu instid0(VALU_DEP_1) | instskip(NEXT) | instid1(VALU_DEP_1)
	v_and_or_b32 v0, 0x8000, v0, v14
	v_lshl_or_b32 v0, v13, 7, v0
	s_delay_alu instid0(VALU_DEP_1)
	v_cvt_f32_f16_e32 v86, v0
.LBB337_1023:                           ;   in Loop: Header=BB337_803 Depth=1
	s_or_b32 exec_lo, exec_lo, s13
.LBB337_1024:                           ;   in Loop: Header=BB337_803 Depth=1
	s_delay_alu instid0(SALU_CYCLE_1)
	s_or_b32 exec_lo, exec_lo, s12
.LBB337_1025:                           ;   in Loop: Header=BB337_803 Depth=1
	s_delay_alu instid0(SALU_CYCLE_1) | instskip(NEXT) | instid1(SALU_CYCLE_1)
	s_or_b32 exec_lo, exec_lo, s10
	s_mov_b32 s10, exec_lo
	v_cmpx_lt_u32_e32 0xffffff, v11
	s_cbranch_execz .LBB337_1033
; %bb.1026:                             ;   in Loop: Header=BB337_803 Depth=1
	v_lshrrev_b32_e32 v96, 24, v11
	v_bfrev_b32_e32 v87, 1
	s_mov_b32 s12, exec_lo
	s_delay_alu instid0(VALU_DEP_2)
	v_cmpx_ne_u32_e32 0x80, v96
	s_cbranch_execz .LBB337_1032
; %bb.1027:                             ;   in Loop: Header=BB337_803 Depth=1
	v_and_b32_e32 v13, 0x7f, v96
	v_mov_b32_e32 v87, 0x7fc02000
	s_mov_b32 s13, exec_lo
	s_delay_alu instid0(VALU_DEP_2)
	v_cmpx_ne_u32_e32 0x7f, v13
	s_cbranch_execz .LBB337_1031
; %bb.1028:                             ;   in Loop: Header=BB337_803 Depth=1
	v_and_b32_e32 v0, 7, v96
	v_lshrrev_b32_e32 v87, 3, v13
	v_cmp_gt_u32_e64 s0, 8, v13
	s_delay_alu instid0(VALU_DEP_3) | instskip(NEXT) | instid1(VALU_DEP_2)
	v_dual_mov_b32 v14, v1 :: v_dual_mov_b32 v13, v0
	s_and_saveexec_b32 s15, s0
; %bb.1029:                             ;   in Loop: Header=BB337_803 Depth=1
	v_clz_i32_u32_e32 v13, v0
	s_delay_alu instid0(VALU_DEP_1) | instskip(NEXT) | instid1(VALU_DEP_1)
	v_min_u32_e32 v87, 32, v13
	v_subrev_nc_u32_e32 v13, 28, v87
	v_sub_nc_u32_e32 v87, 29, v87
	s_delay_alu instid0(VALU_DEP_2) | instskip(NEXT) | instid1(VALU_DEP_1)
	v_lshlrev_b64 v[13:14], v13, v[0:1]
	v_and_b32_e32 v13, 7, v13
; %bb.1030:                             ;   in Loop: Header=BB337_803 Depth=1
	s_or_b32 exec_lo, exec_lo, s15
	v_lshlrev_b32_e32 v0, 8, v96
	v_lshl_add_u32 v14, v87, 10, 0x2000
	s_delay_alu instid0(VALU_DEP_1) | instskip(NEXT) | instid1(VALU_DEP_1)
	v_and_or_b32 v0, 0x8000, v0, v14
	v_lshl_or_b32 v0, v13, 7, v0
	s_delay_alu instid0(VALU_DEP_1)
	v_cvt_f32_f16_e32 v87, v0
.LBB337_1031:                           ;   in Loop: Header=BB337_803 Depth=1
	s_or_b32 exec_lo, exec_lo, s13
.LBB337_1032:                           ;   in Loop: Header=BB337_803 Depth=1
	s_delay_alu instid0(SALU_CYCLE_1)
	s_or_b32 exec_lo, exec_lo, s12
.LBB337_1033:                           ;   in Loop: Header=BB337_803 Depth=1
	s_delay_alu instid0(SALU_CYCLE_1) | instskip(SKIP_3) | instid1(VALU_DEP_2)
	s_or_b32 exec_lo, exec_lo, s10
	v_dual_mov_b32 v0, v12 :: v_dual_and_b32 v13, 0xff, v12
	v_dual_mov_b32 v97, 0 :: v_dual_mov_b32 v96, 0
	s_mov_b32 s10, exec_lo
	v_cmpx_ne_u16_e32 0, v13
	s_cbranch_execz .LBB337_1041
; %bb.1034:                             ;   in Loop: Header=BB337_803 Depth=1
	v_bfrev_b32_e32 v96, 1
	s_mov_b32 s12, exec_lo
	v_cmpx_ne_u16_e32 0x80, v13
	s_cbranch_execz .LBB337_1040
; %bb.1035:                             ;   in Loop: Header=BB337_803 Depth=1
	v_and_b32_e32 v13, 0x7f, v12
	v_mov_b32_e32 v96, 0x7fc02000
	s_mov_b32 s13, exec_lo
	s_delay_alu instid0(VALU_DEP_2)
	v_cmpx_ne_u32_e32 0x7f, v13
	s_cbranch_execz .LBB337_1039
; %bb.1036:                             ;   in Loop: Header=BB337_803 Depth=1
	v_lshrrev_b32_e32 v96, 3, v13
	v_cmp_gt_u32_e64 s0, 8, v13
	v_dual_mov_b32 v14, v1 :: v_dual_mov_b32 v13, v0
	s_delay_alu instid0(VALU_DEP_2)
	s_and_saveexec_b32 s15, s0
; %bb.1037:                             ;   in Loop: Header=BB337_803 Depth=1
	v_and_b32_e32 v13, 7, v12
	s_delay_alu instid0(VALU_DEP_1) | instskip(NEXT) | instid1(VALU_DEP_1)
	v_clz_i32_u32_e32 v13, v13
	v_min_u32_e32 v96, 32, v13
	s_delay_alu instid0(VALU_DEP_1) | instskip(SKIP_1) | instid1(VALU_DEP_2)
	v_subrev_nc_u32_e32 v13, 28, v96
	v_sub_nc_u32_e32 v96, 29, v96
	v_lshlrev_b64 v[13:14], v13, v[0:1]
; %bb.1038:                             ;   in Loop: Header=BB337_803 Depth=1
	s_or_b32 exec_lo, exec_lo, s15
	v_lshlrev_b32_e32 v14, 8, v12
	s_delay_alu instid0(VALU_DEP_3) | instskip(NEXT) | instid1(VALU_DEP_3)
	v_lshl_add_u32 v96, v96, 10, 0x2000
	v_lshlrev_b32_e32 v13, 7, v13
	s_delay_alu instid0(VALU_DEP_2) | instskip(NEXT) | instid1(VALU_DEP_1)
	v_and_or_b32 v14, 0x8000, v14, v96
	v_and_or_b32 v13, 0x380, v13, v14
	s_delay_alu instid0(VALU_DEP_1)
	v_cvt_f32_f16_e32 v96, v13
.LBB337_1039:                           ;   in Loop: Header=BB337_803 Depth=1
	s_or_b32 exec_lo, exec_lo, s13
.LBB337_1040:                           ;   in Loop: Header=BB337_803 Depth=1
	s_delay_alu instid0(SALU_CYCLE_1)
	s_or_b32 exec_lo, exec_lo, s12
.LBB337_1041:                           ;   in Loop: Header=BB337_803 Depth=1
	s_delay_alu instid0(SALU_CYCLE_1) | instskip(SKIP_2) | instid1(VALU_DEP_1)
	s_or_b32 exec_lo, exec_lo, s10
	v_lshrrev_b16 v0, 8, v0
	s_mov_b32 s10, exec_lo
	v_cmpx_ne_u16_e32 0, v0
	s_cbranch_execz .LBB337_1049
; %bb.1042:                             ;   in Loop: Header=BB337_803 Depth=1
	v_bfrev_b32_e32 v97, 1
	s_mov_b32 s12, exec_lo
	v_cmpx_ne_u16_e32 0x80, v0
	s_cbranch_execz .LBB337_1048
; %bb.1043:                             ;   in Loop: Header=BB337_803 Depth=1
	v_and_b32_e32 v98, 0xffff, v0
	v_mov_b32_e32 v97, 0x7fc02000
	s_mov_b32 s13, exec_lo
	s_delay_alu instid0(VALU_DEP_2) | instskip(NEXT) | instid1(VALU_DEP_1)
	v_and_b32_e32 v13, 0x7f, v98
	v_cmpx_ne_u32_e32 0x7f, v13
	s_cbranch_execz .LBB337_1047
; %bb.1044:                             ;   in Loop: Header=BB337_803 Depth=1
	v_and_b32_e32 v0, 7, v98
	v_lshrrev_b32_e32 v97, 3, v13
	v_cmp_gt_u32_e64 s0, 8, v13
	s_delay_alu instid0(VALU_DEP_3) | instskip(NEXT) | instid1(VALU_DEP_2)
	v_dual_mov_b32 v14, v1 :: v_dual_mov_b32 v13, v0
	s_and_saveexec_b32 s15, s0
; %bb.1045:                             ;   in Loop: Header=BB337_803 Depth=1
	v_clz_i32_u32_e32 v13, v0
	s_delay_alu instid0(VALU_DEP_1) | instskip(NEXT) | instid1(VALU_DEP_1)
	v_min_u32_e32 v97, 32, v13
	v_subrev_nc_u32_e32 v13, 28, v97
	v_sub_nc_u32_e32 v97, 29, v97
	s_delay_alu instid0(VALU_DEP_2) | instskip(NEXT) | instid1(VALU_DEP_1)
	v_lshlrev_b64 v[13:14], v13, v[0:1]
	v_and_b32_e32 v13, 7, v13
; %bb.1046:                             ;   in Loop: Header=BB337_803 Depth=1
	s_or_b32 exec_lo, exec_lo, s15
	v_lshlrev_b32_e32 v0, 8, v98
	v_lshl_add_u32 v14, v97, 10, 0x2000
	s_delay_alu instid0(VALU_DEP_1) | instskip(NEXT) | instid1(VALU_DEP_1)
	v_and_or_b32 v0, 0x8000, v0, v14
	v_lshl_or_b32 v0, v13, 7, v0
	s_delay_alu instid0(VALU_DEP_1)
	v_cvt_f32_f16_e32 v97, v0
.LBB337_1047:                           ;   in Loop: Header=BB337_803 Depth=1
	s_or_b32 exec_lo, exec_lo, s13
.LBB337_1048:                           ;   in Loop: Header=BB337_803 Depth=1
	s_delay_alu instid0(SALU_CYCLE_1)
	s_or_b32 exec_lo, exec_lo, s12
.LBB337_1049:                           ;   in Loop: Header=BB337_803 Depth=1
	s_delay_alu instid0(SALU_CYCLE_1) | instskip(SKIP_3) | instid1(VALU_DEP_2)
	s_or_b32 exec_lo, exec_lo, s10
	v_lshrrev_b32_e32 v99, 16, v12
	v_mov_b32_e32 v98, 0
	s_mov_b32 s10, exec_lo
	v_dual_mov_b32 v13, 0 :: v_dual_and_b32 v0, 0xff, v99
	s_delay_alu instid0(VALU_DEP_1)
	v_cmpx_ne_u16_e32 0, v0
	s_cbranch_execz .LBB337_1057
; %bb.1050:                             ;   in Loop: Header=BB337_803 Depth=1
	v_bfrev_b32_e32 v13, 1
	s_mov_b32 s12, exec_lo
	v_cmpx_ne_u16_e32 0x80, v0
	s_cbranch_execz .LBB337_1056
; %bb.1051:                             ;   in Loop: Header=BB337_803 Depth=1
	v_bfe_u32 v14, v12, 16, 7
	v_mov_b32_e32 v13, 0x7fc02000
	s_mov_b32 s13, exec_lo
	s_delay_alu instid0(VALU_DEP_2)
	v_cmpx_ne_u32_e32 0x7f, v14
	s_cbranch_execz .LBB337_1055
; %bb.1052:                             ;   in Loop: Header=BB337_803 Depth=1
	v_and_b32_e32 v0, 7, v99
	v_lshrrev_b32_e32 v100, 3, v14
	v_cmp_gt_u32_e64 s0, 8, v14
	s_delay_alu instid0(VALU_DEP_3) | instskip(NEXT) | instid1(VALU_DEP_2)
	v_dual_mov_b32 v14, v1 :: v_dual_mov_b32 v13, v0
	s_and_saveexec_b32 s15, s0
; %bb.1053:                             ;   in Loop: Header=BB337_803 Depth=1
	v_clz_i32_u32_e32 v13, v0
	s_delay_alu instid0(VALU_DEP_1) | instskip(NEXT) | instid1(VALU_DEP_1)
	v_min_u32_e32 v100, 32, v13
	v_subrev_nc_u32_e32 v13, 28, v100
	v_sub_nc_u32_e32 v100, 29, v100
	s_delay_alu instid0(VALU_DEP_2) | instskip(NEXT) | instid1(VALU_DEP_1)
	v_lshlrev_b64 v[13:14], v13, v[0:1]
	v_and_b32_e32 v13, 7, v13
; %bb.1054:                             ;   in Loop: Header=BB337_803 Depth=1
	s_or_b32 exec_lo, exec_lo, s15
	v_lshlrev_b32_e32 v0, 8, v99
	v_lshl_add_u32 v14, v100, 10, 0x2000
	s_delay_alu instid0(VALU_DEP_1) | instskip(NEXT) | instid1(VALU_DEP_1)
	v_and_or_b32 v0, 0x8000, v0, v14
	v_lshl_or_b32 v0, v13, 7, v0
	s_delay_alu instid0(VALU_DEP_1)
	v_cvt_f32_f16_e32 v13, v0
.LBB337_1055:                           ;   in Loop: Header=BB337_803 Depth=1
	s_or_b32 exec_lo, exec_lo, s13
.LBB337_1056:                           ;   in Loop: Header=BB337_803 Depth=1
	s_delay_alu instid0(SALU_CYCLE_1)
	s_or_b32 exec_lo, exec_lo, s12
.LBB337_1057:                           ;   in Loop: Header=BB337_803 Depth=1
	s_delay_alu instid0(SALU_CYCLE_1) | instskip(NEXT) | instid1(SALU_CYCLE_1)
	s_or_b32 exec_lo, exec_lo, s10
	s_mov_b32 s10, exec_lo
	v_cmpx_lt_u64_e64 s[8:9], v[11:12]
	s_cbranch_execz .LBB337_1065
; %bb.1058:                             ;   in Loop: Header=BB337_803 Depth=1
	v_lshrrev_b32_e32 v14, 24, v12
	v_bfrev_b32_e32 v98, 1
	s_mov_b32 s12, exec_lo
	s_delay_alu instid0(VALU_DEP_2)
	v_cmpx_ne_u32_e32 0x80, v14
	s_cbranch_execz .LBB337_1064
; %bb.1059:                             ;   in Loop: Header=BB337_803 Depth=1
	v_and_b32_e32 v11, 0x7f, v14
	v_mov_b32_e32 v98, 0x7fc02000
	s_mov_b32 s13, exec_lo
	s_delay_alu instid0(VALU_DEP_2)
	v_cmpx_ne_u32_e32 0x7f, v11
	s_cbranch_execz .LBB337_1063
; %bb.1060:                             ;   in Loop: Header=BB337_803 Depth=1
	v_and_b32_e32 v0, 7, v14
	v_lshrrev_b32_e32 v98, 3, v11
	v_cmp_gt_u32_e64 s0, 8, v11
	s_delay_alu instid0(VALU_DEP_3) | instskip(NEXT) | instid1(VALU_DEP_2)
	v_dual_mov_b32 v12, v1 :: v_dual_mov_b32 v11, v0
	s_and_saveexec_b32 s15, s0
; %bb.1061:                             ;   in Loop: Header=BB337_803 Depth=1
	v_clz_i32_u32_e32 v11, v0
	s_delay_alu instid0(VALU_DEP_1) | instskip(NEXT) | instid1(VALU_DEP_1)
	v_min_u32_e32 v98, 32, v11
	v_subrev_nc_u32_e32 v11, 28, v98
	v_sub_nc_u32_e32 v98, 29, v98
	s_delay_alu instid0(VALU_DEP_2) | instskip(NEXT) | instid1(VALU_DEP_1)
	v_lshlrev_b64 v[11:12], v11, v[0:1]
	v_and_b32_e32 v11, 7, v11
; %bb.1062:                             ;   in Loop: Header=BB337_803 Depth=1
	s_or_b32 exec_lo, exec_lo, s15
	v_lshlrev_b32_e32 v0, 8, v14
	v_lshl_add_u32 v12, v98, 10, 0x2000
	s_delay_alu instid0(VALU_DEP_1) | instskip(NEXT) | instid1(VALU_DEP_1)
	v_and_or_b32 v0, 0x8000, v0, v12
	v_lshl_or_b32 v0, v11, 7, v0
	s_delay_alu instid0(VALU_DEP_1)
	v_cvt_f32_f16_e32 v98, v0
.LBB337_1063:                           ;   in Loop: Header=BB337_803 Depth=1
	s_or_b32 exec_lo, exec_lo, s13
.LBB337_1064:                           ;   in Loop: Header=BB337_803 Depth=1
	s_delay_alu instid0(SALU_CYCLE_1)
	s_or_b32 exec_lo, exec_lo, s12
.LBB337_1065:                           ;   in Loop: Header=BB337_803 Depth=1
	s_delay_alu instid0(SALU_CYCLE_1)
	s_or_b32 exec_lo, exec_lo, s10
	s_waitcnt vmcnt(0) lgkmcnt(0)
	v_fma_mixlo_f16 v12, v83, v85, 0
	v_fma_mixlo_f16 v0, v83, v87, 0
	;; [unrolled: 1-line block ×5, first 2 shown]
	v_lshlrev_b32_e32 v14, 16, v12
	v_fma_mixlo_f16 v86, v83, v96, 0
	v_fma_mixlo_f16 v87, v83, v98, 0
	;; [unrolled: 1-line block ×3, first 2 shown]
	v_lshlrev_b32_e32 v0, 16, v0
	v_and_b32_e32 v11, 0xffff, v11
	v_and_b32_e32 v83, 0xffff, v84
	v_lshlrev_b32_e32 v84, 16, v85
	v_and_b32_e32 v85, 0xffff, v86
	v_lshlrev_b32_e32 v86, 16, v87
	v_and_b32_e32 v87, 0xffff, v12
	v_or_b32_e32 v13, v0, v11
	v_or_b32_e32 v14, v14, v83
	;; [unrolled: 1-line block ×3, first 2 shown]
	s_delay_alu instid0(VALU_DEP_4)
	v_or_b32_e32 v11, v86, v87
	s_and_saveexec_b32 s10, vcc_lo
	s_cbranch_execz .LBB337_1067
; %bb.1066:                             ;   in Loop: Header=BB337_803 Depth=1
	v_cmp_lt_i32_e64 s0, v15, v35
	v_lshrrev_b32_e32 v83, 16, v14
	v_lshrrev_b32_e32 v84, 16, v13
	v_lshrrev_b32_e32 v85, 16, v0
	v_lshrrev_b32_e32 v11, 16, v11
	v_cndmask_b32_e64 v14, 0, v14, s0
	v_cmp_lt_i32_e64 s0, v64, v39
	s_delay_alu instid0(VALU_DEP_1) | instskip(SKIP_1) | instid1(VALU_DEP_2)
	v_cndmask_b32_e64 v83, 0, v83, s0
	v_cmp_lt_i32_e64 s0, v55, v39
	v_perm_b32 v14, v83, v14, 0x5040100
	s_delay_alu instid0(VALU_DEP_2) | instskip(SKIP_1) | instid1(VALU_DEP_1)
	v_cndmask_b32_e64 v84, 0, v84, s0
	v_cmp_lt_i32_e64 s0, v54, v35
	v_cndmask_b32_e64 v13, 0, v13, s0
	v_cmp_lt_i32_e64 s0, v53, v39
	s_delay_alu instid0(VALU_DEP_2) | instskip(NEXT) | instid1(VALU_DEP_2)
	v_perm_b32 v13, v84, v13, 0x5040100
	v_cndmask_b32_e64 v85, 0, v85, s0
	v_cmp_lt_i32_e64 s0, v48, v35
	s_delay_alu instid0(VALU_DEP_1) | instskip(SKIP_1) | instid1(VALU_DEP_2)
	v_cndmask_b32_e64 v0, 0, v0, s0
	v_cmp_lt_i32_e64 s0, v23, v39
	v_perm_b32 v0, v85, v0, 0x5040100
	s_delay_alu instid0(VALU_DEP_2) | instskip(SKIP_1) | instid1(VALU_DEP_1)
	v_cndmask_b32_e64 v11, 0, v11, s0
	v_cmp_lt_i32_e64 s0, v17, v35
	v_cndmask_b32_e64 v12, 0, v12, s0
	s_delay_alu instid0(VALU_DEP_1)
	v_perm_b32 v11, v11, v12, 0x5040100
.LBB337_1067:                           ;   in Loop: Header=BB337_803 Depth=1
	s_or_b32 exec_lo, exec_lo, s10
	;;#ASMSTART
	v_pk_mul_f16 v12, v70, v14;

	;;#ASMEND
	;;#ASMSTART
	v_pk_mul_f16 v13, v68, v13;

	;;#ASMEND
	;; [unrolled: 4-line block ×4, first 2 shown]
	;;#ASMSTART
	v_pk_add_f16 v12, v12, v13;

	;;#ASMEND
	;;#ASMSTART
	v_pk_add_f16 v0, v12, v0;

	;;#ASMEND
	;; [unrolled: 4-line block ×3, first 2 shown]
	v_dual_mov_b32 v86, 0 :: v_dual_and_b32 v11, 0xffff, v0
	v_lshrrev_b32_e32 v0, 16, v0
	;;#ASMSTART
	v_cvt_f32_f16 v83, v11;
	;;#ASMEND
	;;#ASMSTART
	v_cvt_f32_f16 v84, v0;
	;;#ASMEND
	flat_load_b64 v[11:12], v[9:10] offset:1024
	flat_load_b32 v85, v[26:27]
	s_mov_b32 s10, exec_lo
	s_waitcnt vmcnt(1) lgkmcnt(1)
	v_dual_mov_b32 v87, 0 :: v_dual_and_b32 v0, 0xff, v11
	s_delay_alu instid0(VALU_DEP_1)
	v_cmpx_ne_u16_e32 0, v0
	s_cbranch_execz .LBB337_1075
; %bb.1068:                             ;   in Loop: Header=BB337_803 Depth=1
	v_bfrev_b32_e32 v86, 1
	s_mov_b32 s12, exec_lo
	v_cmpx_ne_u16_e32 0x80, v0
	s_cbranch_execz .LBB337_1074
; %bb.1069:                             ;   in Loop: Header=BB337_803 Depth=1
	v_and_b32_e32 v13, 0x7f, v11
	v_mov_b32_e32 v86, 0x7fc02000
	s_mov_b32 s13, exec_lo
	s_delay_alu instid0(VALU_DEP_2)
	v_cmpx_ne_u32_e32 0x7f, v13
	s_cbranch_execz .LBB337_1073
; %bb.1070:                             ;   in Loop: Header=BB337_803 Depth=1
	v_lshrrev_b32_e32 v0, 3, v13
	v_cmp_gt_u32_e64 s0, 8, v13
	v_dual_mov_b32 v14, v12 :: v_dual_mov_b32 v13, v11
	s_delay_alu instid0(VALU_DEP_2)
	s_and_saveexec_b32 s15, s0
; %bb.1071:                             ;   in Loop: Header=BB337_803 Depth=1
	v_and_b32_e32 v0, 7, v11
	s_delay_alu instid0(VALU_DEP_1) | instskip(NEXT) | instid1(VALU_DEP_1)
	v_clz_i32_u32_e32 v0, v0
	v_min_u32_e32 v0, 32, v0
	s_delay_alu instid0(VALU_DEP_1) | instskip(SKIP_1) | instid1(VALU_DEP_2)
	v_subrev_nc_u32_e32 v13, 28, v0
	v_sub_nc_u32_e32 v0, 29, v0
	v_lshlrev_b64 v[13:14], v13, v[11:12]
; %bb.1072:                             ;   in Loop: Header=BB337_803 Depth=1
	s_or_b32 exec_lo, exec_lo, s15
	v_lshlrev_b32_e32 v14, 8, v11
	s_delay_alu instid0(VALU_DEP_3) | instskip(NEXT) | instid1(VALU_DEP_3)
	v_lshl_add_u32 v0, v0, 10, 0x2000
	v_lshlrev_b32_e32 v13, 7, v13
	s_delay_alu instid0(VALU_DEP_2) | instskip(NEXT) | instid1(VALU_DEP_1)
	v_and_or_b32 v0, 0x8000, v14, v0
	v_and_or_b32 v0, 0x380, v13, v0
	s_delay_alu instid0(VALU_DEP_1)
	v_cvt_f32_f16_e32 v86, v0
.LBB337_1073:                           ;   in Loop: Header=BB337_803 Depth=1
	s_or_b32 exec_lo, exec_lo, s13
.LBB337_1074:                           ;   in Loop: Header=BB337_803 Depth=1
	s_delay_alu instid0(SALU_CYCLE_1)
	s_or_b32 exec_lo, exec_lo, s12
.LBB337_1075:                           ;   in Loop: Header=BB337_803 Depth=1
	s_delay_alu instid0(SALU_CYCLE_1) | instskip(SKIP_2) | instid1(VALU_DEP_1)
	s_or_b32 exec_lo, exec_lo, s10
	v_lshrrev_b16 v0, 8, v11
	s_mov_b32 s10, exec_lo
	v_cmpx_ne_u16_e32 0, v0
	s_cbranch_execz .LBB337_1083
; %bb.1076:                             ;   in Loop: Header=BB337_803 Depth=1
	v_bfrev_b32_e32 v87, 1
	s_mov_b32 s12, exec_lo
	v_cmpx_ne_u16_e32 0x80, v0
	s_cbranch_execz .LBB337_1082
; %bb.1077:                             ;   in Loop: Header=BB337_803 Depth=1
	v_and_b32_e32 v96, 0xffff, v0
	v_mov_b32_e32 v87, 0x7fc02000
	s_mov_b32 s13, exec_lo
	s_delay_alu instid0(VALU_DEP_2) | instskip(NEXT) | instid1(VALU_DEP_1)
	v_and_b32_e32 v13, 0x7f, v96
	v_cmpx_ne_u32_e32 0x7f, v13
	s_cbranch_execz .LBB337_1081
; %bb.1078:                             ;   in Loop: Header=BB337_803 Depth=1
	v_and_b32_e32 v0, 7, v96
	v_lshrrev_b32_e32 v87, 3, v13
	v_cmp_gt_u32_e64 s0, 8, v13
	s_delay_alu instid0(VALU_DEP_3) | instskip(NEXT) | instid1(VALU_DEP_2)
	v_dual_mov_b32 v14, v1 :: v_dual_mov_b32 v13, v0
	s_and_saveexec_b32 s15, s0
; %bb.1079:                             ;   in Loop: Header=BB337_803 Depth=1
	v_clz_i32_u32_e32 v13, v0
	s_delay_alu instid0(VALU_DEP_1) | instskip(NEXT) | instid1(VALU_DEP_1)
	v_min_u32_e32 v87, 32, v13
	v_subrev_nc_u32_e32 v13, 28, v87
	v_sub_nc_u32_e32 v87, 29, v87
	s_delay_alu instid0(VALU_DEP_2) | instskip(NEXT) | instid1(VALU_DEP_1)
	v_lshlrev_b64 v[13:14], v13, v[0:1]
	v_and_b32_e32 v13, 7, v13
; %bb.1080:                             ;   in Loop: Header=BB337_803 Depth=1
	s_or_b32 exec_lo, exec_lo, s15
	v_lshlrev_b32_e32 v0, 8, v96
	v_lshl_add_u32 v14, v87, 10, 0x2000
	s_delay_alu instid0(VALU_DEP_1) | instskip(NEXT) | instid1(VALU_DEP_1)
	v_and_or_b32 v0, 0x8000, v0, v14
	v_lshl_or_b32 v0, v13, 7, v0
	s_delay_alu instid0(VALU_DEP_1)
	v_cvt_f32_f16_e32 v87, v0
.LBB337_1081:                           ;   in Loop: Header=BB337_803 Depth=1
	s_or_b32 exec_lo, exec_lo, s13
.LBB337_1082:                           ;   in Loop: Header=BB337_803 Depth=1
	s_delay_alu instid0(SALU_CYCLE_1)
	s_or_b32 exec_lo, exec_lo, s12
.LBB337_1083:                           ;   in Loop: Header=BB337_803 Depth=1
	s_delay_alu instid0(SALU_CYCLE_1) | instskip(SKIP_3) | instid1(VALU_DEP_2)
	s_or_b32 exec_lo, exec_lo, s10
	v_lshrrev_b32_e32 v98, 16, v11
	v_mov_b32_e32 v96, 0
	s_mov_b32 s10, exec_lo
	v_dual_mov_b32 v97, 0 :: v_dual_and_b32 v0, 0xff, v98
	s_delay_alu instid0(VALU_DEP_1)
	v_cmpx_ne_u16_e32 0, v0
	s_cbranch_execz .LBB337_1091
; %bb.1084:                             ;   in Loop: Header=BB337_803 Depth=1
	v_bfrev_b32_e32 v96, 1
	s_mov_b32 s12, exec_lo
	v_cmpx_ne_u16_e32 0x80, v0
	s_cbranch_execz .LBB337_1090
; %bb.1085:                             ;   in Loop: Header=BB337_803 Depth=1
	v_bfe_u32 v13, v11, 16, 7
	v_mov_b32_e32 v96, 0x7fc02000
	s_mov_b32 s13, exec_lo
	s_delay_alu instid0(VALU_DEP_2)
	v_cmpx_ne_u32_e32 0x7f, v13
	s_cbranch_execz .LBB337_1089
; %bb.1086:                             ;   in Loop: Header=BB337_803 Depth=1
	v_and_b32_e32 v0, 7, v98
	v_lshrrev_b32_e32 v96, 3, v13
	v_cmp_gt_u32_e64 s0, 8, v13
	s_delay_alu instid0(VALU_DEP_3) | instskip(NEXT) | instid1(VALU_DEP_2)
	v_dual_mov_b32 v14, v1 :: v_dual_mov_b32 v13, v0
	s_and_saveexec_b32 s15, s0
; %bb.1087:                             ;   in Loop: Header=BB337_803 Depth=1
	v_clz_i32_u32_e32 v13, v0
	s_delay_alu instid0(VALU_DEP_1) | instskip(NEXT) | instid1(VALU_DEP_1)
	v_min_u32_e32 v96, 32, v13
	v_subrev_nc_u32_e32 v13, 28, v96
	v_sub_nc_u32_e32 v96, 29, v96
	s_delay_alu instid0(VALU_DEP_2) | instskip(NEXT) | instid1(VALU_DEP_1)
	v_lshlrev_b64 v[13:14], v13, v[0:1]
	v_and_b32_e32 v13, 7, v13
; %bb.1088:                             ;   in Loop: Header=BB337_803 Depth=1
	s_or_b32 exec_lo, exec_lo, s15
	v_lshlrev_b32_e32 v0, 8, v98
	v_lshl_add_u32 v14, v96, 10, 0x2000
	s_delay_alu instid0(VALU_DEP_1) | instskip(NEXT) | instid1(VALU_DEP_1)
	v_and_or_b32 v0, 0x8000, v0, v14
	v_lshl_or_b32 v0, v13, 7, v0
	s_delay_alu instid0(VALU_DEP_1)
	v_cvt_f32_f16_e32 v96, v0
.LBB337_1089:                           ;   in Loop: Header=BB337_803 Depth=1
	s_or_b32 exec_lo, exec_lo, s13
.LBB337_1090:                           ;   in Loop: Header=BB337_803 Depth=1
	s_delay_alu instid0(SALU_CYCLE_1)
	s_or_b32 exec_lo, exec_lo, s12
.LBB337_1091:                           ;   in Loop: Header=BB337_803 Depth=1
	s_delay_alu instid0(SALU_CYCLE_1) | instskip(NEXT) | instid1(SALU_CYCLE_1)
	s_or_b32 exec_lo, exec_lo, s10
	s_mov_b32 s10, exec_lo
	v_cmpx_lt_u32_e32 0xffffff, v11
	s_cbranch_execz .LBB337_1099
; %bb.1092:                             ;   in Loop: Header=BB337_803 Depth=1
	v_lshrrev_b32_e32 v98, 24, v11
	v_bfrev_b32_e32 v97, 1
	s_mov_b32 s12, exec_lo
	s_delay_alu instid0(VALU_DEP_2)
	v_cmpx_ne_u32_e32 0x80, v98
	s_cbranch_execz .LBB337_1098
; %bb.1093:                             ;   in Loop: Header=BB337_803 Depth=1
	v_and_b32_e32 v13, 0x7f, v98
	v_mov_b32_e32 v97, 0x7fc02000
	s_mov_b32 s13, exec_lo
	s_delay_alu instid0(VALU_DEP_2)
	v_cmpx_ne_u32_e32 0x7f, v13
	s_cbranch_execz .LBB337_1097
; %bb.1094:                             ;   in Loop: Header=BB337_803 Depth=1
	v_and_b32_e32 v0, 7, v98
	v_lshrrev_b32_e32 v97, 3, v13
	v_cmp_gt_u32_e64 s0, 8, v13
	s_delay_alu instid0(VALU_DEP_3) | instskip(NEXT) | instid1(VALU_DEP_2)
	v_dual_mov_b32 v14, v1 :: v_dual_mov_b32 v13, v0
	s_and_saveexec_b32 s15, s0
; %bb.1095:                             ;   in Loop: Header=BB337_803 Depth=1
	v_clz_i32_u32_e32 v13, v0
	s_delay_alu instid0(VALU_DEP_1) | instskip(NEXT) | instid1(VALU_DEP_1)
	v_min_u32_e32 v97, 32, v13
	v_subrev_nc_u32_e32 v13, 28, v97
	v_sub_nc_u32_e32 v97, 29, v97
	s_delay_alu instid0(VALU_DEP_2) | instskip(NEXT) | instid1(VALU_DEP_1)
	v_lshlrev_b64 v[13:14], v13, v[0:1]
	v_and_b32_e32 v13, 7, v13
; %bb.1096:                             ;   in Loop: Header=BB337_803 Depth=1
	s_or_b32 exec_lo, exec_lo, s15
	v_lshlrev_b32_e32 v0, 8, v98
	v_lshl_add_u32 v14, v97, 10, 0x2000
	s_delay_alu instid0(VALU_DEP_1) | instskip(NEXT) | instid1(VALU_DEP_1)
	v_and_or_b32 v0, 0x8000, v0, v14
	v_lshl_or_b32 v0, v13, 7, v0
	s_delay_alu instid0(VALU_DEP_1)
	v_cvt_f32_f16_e32 v97, v0
.LBB337_1097:                           ;   in Loop: Header=BB337_803 Depth=1
	s_or_b32 exec_lo, exec_lo, s13
.LBB337_1098:                           ;   in Loop: Header=BB337_803 Depth=1
	s_delay_alu instid0(SALU_CYCLE_1)
	s_or_b32 exec_lo, exec_lo, s12
.LBB337_1099:                           ;   in Loop: Header=BB337_803 Depth=1
	s_delay_alu instid0(SALU_CYCLE_1) | instskip(SKIP_3) | instid1(VALU_DEP_2)
	s_or_b32 exec_lo, exec_lo, s10
	v_dual_mov_b32 v0, v12 :: v_dual_and_b32 v13, 0xff, v12
	v_dual_mov_b32 v99, 0 :: v_dual_mov_b32 v98, 0
	s_mov_b32 s10, exec_lo
	v_cmpx_ne_u16_e32 0, v13
	s_cbranch_execz .LBB337_1107
; %bb.1100:                             ;   in Loop: Header=BB337_803 Depth=1
	v_bfrev_b32_e32 v98, 1
	s_mov_b32 s12, exec_lo
	v_cmpx_ne_u16_e32 0x80, v13
	s_cbranch_execz .LBB337_1106
; %bb.1101:                             ;   in Loop: Header=BB337_803 Depth=1
	v_and_b32_e32 v13, 0x7f, v12
	v_mov_b32_e32 v98, 0x7fc02000
	s_mov_b32 s13, exec_lo
	s_delay_alu instid0(VALU_DEP_2)
	v_cmpx_ne_u32_e32 0x7f, v13
	s_cbranch_execz .LBB337_1105
; %bb.1102:                             ;   in Loop: Header=BB337_803 Depth=1
	v_lshrrev_b32_e32 v98, 3, v13
	v_cmp_gt_u32_e64 s0, 8, v13
	v_dual_mov_b32 v14, v1 :: v_dual_mov_b32 v13, v0
	s_delay_alu instid0(VALU_DEP_2)
	s_and_saveexec_b32 s15, s0
; %bb.1103:                             ;   in Loop: Header=BB337_803 Depth=1
	v_and_b32_e32 v13, 7, v12
	s_delay_alu instid0(VALU_DEP_1) | instskip(NEXT) | instid1(VALU_DEP_1)
	v_clz_i32_u32_e32 v13, v13
	v_min_u32_e32 v98, 32, v13
	s_delay_alu instid0(VALU_DEP_1) | instskip(SKIP_1) | instid1(VALU_DEP_2)
	v_subrev_nc_u32_e32 v13, 28, v98
	v_sub_nc_u32_e32 v98, 29, v98
	v_lshlrev_b64 v[13:14], v13, v[0:1]
; %bb.1104:                             ;   in Loop: Header=BB337_803 Depth=1
	s_or_b32 exec_lo, exec_lo, s15
	v_lshlrev_b32_e32 v14, 8, v12
	s_delay_alu instid0(VALU_DEP_3) | instskip(NEXT) | instid1(VALU_DEP_3)
	v_lshl_add_u32 v98, v98, 10, 0x2000
	v_lshlrev_b32_e32 v13, 7, v13
	s_delay_alu instid0(VALU_DEP_2) | instskip(NEXT) | instid1(VALU_DEP_1)
	v_and_or_b32 v14, 0x8000, v14, v98
	v_and_or_b32 v13, 0x380, v13, v14
	s_delay_alu instid0(VALU_DEP_1)
	v_cvt_f32_f16_e32 v98, v13
.LBB337_1105:                           ;   in Loop: Header=BB337_803 Depth=1
	s_or_b32 exec_lo, exec_lo, s13
.LBB337_1106:                           ;   in Loop: Header=BB337_803 Depth=1
	s_delay_alu instid0(SALU_CYCLE_1)
	s_or_b32 exec_lo, exec_lo, s12
.LBB337_1107:                           ;   in Loop: Header=BB337_803 Depth=1
	s_delay_alu instid0(SALU_CYCLE_1) | instskip(SKIP_2) | instid1(VALU_DEP_1)
	s_or_b32 exec_lo, exec_lo, s10
	v_lshrrev_b16 v0, 8, v0
	s_mov_b32 s10, exec_lo
	v_cmpx_ne_u16_e32 0, v0
	s_cbranch_execz .LBB337_1115
; %bb.1108:                             ;   in Loop: Header=BB337_803 Depth=1
	v_bfrev_b32_e32 v99, 1
	s_mov_b32 s12, exec_lo
	v_cmpx_ne_u16_e32 0x80, v0
	s_cbranch_execz .LBB337_1114
; %bb.1109:                             ;   in Loop: Header=BB337_803 Depth=1
	v_and_b32_e32 v100, 0xffff, v0
	v_mov_b32_e32 v99, 0x7fc02000
	s_mov_b32 s13, exec_lo
	s_delay_alu instid0(VALU_DEP_2) | instskip(NEXT) | instid1(VALU_DEP_1)
	v_and_b32_e32 v13, 0x7f, v100
	v_cmpx_ne_u32_e32 0x7f, v13
	s_cbranch_execz .LBB337_1113
; %bb.1110:                             ;   in Loop: Header=BB337_803 Depth=1
	v_and_b32_e32 v0, 7, v100
	v_lshrrev_b32_e32 v99, 3, v13
	v_cmp_gt_u32_e64 s0, 8, v13
	s_delay_alu instid0(VALU_DEP_3) | instskip(NEXT) | instid1(VALU_DEP_2)
	v_dual_mov_b32 v14, v1 :: v_dual_mov_b32 v13, v0
	s_and_saveexec_b32 s15, s0
; %bb.1111:                             ;   in Loop: Header=BB337_803 Depth=1
	v_clz_i32_u32_e32 v13, v0
	s_delay_alu instid0(VALU_DEP_1) | instskip(NEXT) | instid1(VALU_DEP_1)
	v_min_u32_e32 v99, 32, v13
	v_subrev_nc_u32_e32 v13, 28, v99
	v_sub_nc_u32_e32 v99, 29, v99
	s_delay_alu instid0(VALU_DEP_2) | instskip(NEXT) | instid1(VALU_DEP_1)
	v_lshlrev_b64 v[13:14], v13, v[0:1]
	v_and_b32_e32 v13, 7, v13
; %bb.1112:                             ;   in Loop: Header=BB337_803 Depth=1
	s_or_b32 exec_lo, exec_lo, s15
	v_lshlrev_b32_e32 v0, 8, v100
	v_lshl_add_u32 v14, v99, 10, 0x2000
	s_delay_alu instid0(VALU_DEP_1) | instskip(NEXT) | instid1(VALU_DEP_1)
	v_and_or_b32 v0, 0x8000, v0, v14
	v_lshl_or_b32 v0, v13, 7, v0
	s_delay_alu instid0(VALU_DEP_1)
	v_cvt_f32_f16_e32 v99, v0
.LBB337_1113:                           ;   in Loop: Header=BB337_803 Depth=1
	s_or_b32 exec_lo, exec_lo, s13
.LBB337_1114:                           ;   in Loop: Header=BB337_803 Depth=1
	s_delay_alu instid0(SALU_CYCLE_1)
	s_or_b32 exec_lo, exec_lo, s12
.LBB337_1115:                           ;   in Loop: Header=BB337_803 Depth=1
	s_delay_alu instid0(SALU_CYCLE_1) | instskip(SKIP_3) | instid1(VALU_DEP_2)
	s_or_b32 exec_lo, exec_lo, s10
	v_lshrrev_b32_e32 v101, 16, v12
	v_mov_b32_e32 v100, 0
	s_mov_b32 s10, exec_lo
	v_dual_mov_b32 v13, 0 :: v_dual_and_b32 v0, 0xff, v101
	s_delay_alu instid0(VALU_DEP_1)
	v_cmpx_ne_u16_e32 0, v0
	s_cbranch_execz .LBB337_1123
; %bb.1116:                             ;   in Loop: Header=BB337_803 Depth=1
	v_bfrev_b32_e32 v13, 1
	s_mov_b32 s12, exec_lo
	v_cmpx_ne_u16_e32 0x80, v0
	s_cbranch_execz .LBB337_1122
; %bb.1117:                             ;   in Loop: Header=BB337_803 Depth=1
	v_bfe_u32 v14, v12, 16, 7
	v_mov_b32_e32 v13, 0x7fc02000
	s_mov_b32 s13, exec_lo
	s_delay_alu instid0(VALU_DEP_2)
	v_cmpx_ne_u32_e32 0x7f, v14
	s_cbranch_execz .LBB337_1121
; %bb.1118:                             ;   in Loop: Header=BB337_803 Depth=1
	v_and_b32_e32 v0, 7, v101
	v_lshrrev_b32_e32 v102, 3, v14
	v_cmp_gt_u32_e64 s0, 8, v14
	s_delay_alu instid0(VALU_DEP_3) | instskip(NEXT) | instid1(VALU_DEP_2)
	v_dual_mov_b32 v14, v1 :: v_dual_mov_b32 v13, v0
	s_and_saveexec_b32 s15, s0
; %bb.1119:                             ;   in Loop: Header=BB337_803 Depth=1
	v_clz_i32_u32_e32 v13, v0
	s_delay_alu instid0(VALU_DEP_1) | instskip(NEXT) | instid1(VALU_DEP_1)
	v_min_u32_e32 v102, 32, v13
	v_subrev_nc_u32_e32 v13, 28, v102
	v_sub_nc_u32_e32 v102, 29, v102
	s_delay_alu instid0(VALU_DEP_2) | instskip(NEXT) | instid1(VALU_DEP_1)
	v_lshlrev_b64 v[13:14], v13, v[0:1]
	v_and_b32_e32 v13, 7, v13
; %bb.1120:                             ;   in Loop: Header=BB337_803 Depth=1
	s_or_b32 exec_lo, exec_lo, s15
	v_lshlrev_b32_e32 v0, 8, v101
	v_lshl_add_u32 v14, v102, 10, 0x2000
	s_delay_alu instid0(VALU_DEP_1) | instskip(NEXT) | instid1(VALU_DEP_1)
	v_and_or_b32 v0, 0x8000, v0, v14
	v_lshl_or_b32 v0, v13, 7, v0
	s_delay_alu instid0(VALU_DEP_1)
	v_cvt_f32_f16_e32 v13, v0
.LBB337_1121:                           ;   in Loop: Header=BB337_803 Depth=1
	s_or_b32 exec_lo, exec_lo, s13
.LBB337_1122:                           ;   in Loop: Header=BB337_803 Depth=1
	s_delay_alu instid0(SALU_CYCLE_1)
	s_or_b32 exec_lo, exec_lo, s12
.LBB337_1123:                           ;   in Loop: Header=BB337_803 Depth=1
	s_delay_alu instid0(SALU_CYCLE_1) | instskip(NEXT) | instid1(SALU_CYCLE_1)
	s_or_b32 exec_lo, exec_lo, s10
	s_mov_b32 s10, exec_lo
	v_cmpx_lt_u64_e64 s[8:9], v[11:12]
	s_cbranch_execz .LBB337_1131
; %bb.1124:                             ;   in Loop: Header=BB337_803 Depth=1
	v_lshrrev_b32_e32 v14, 24, v12
	v_bfrev_b32_e32 v100, 1
	s_mov_b32 s12, exec_lo
	s_delay_alu instid0(VALU_DEP_2)
	v_cmpx_ne_u32_e32 0x80, v14
	s_cbranch_execz .LBB337_1130
; %bb.1125:                             ;   in Loop: Header=BB337_803 Depth=1
	v_and_b32_e32 v11, 0x7f, v14
	v_mov_b32_e32 v100, 0x7fc02000
	s_mov_b32 s13, exec_lo
	s_delay_alu instid0(VALU_DEP_2)
	v_cmpx_ne_u32_e32 0x7f, v11
	s_cbranch_execz .LBB337_1129
; %bb.1126:                             ;   in Loop: Header=BB337_803 Depth=1
	v_and_b32_e32 v0, 7, v14
	v_lshrrev_b32_e32 v100, 3, v11
	v_cmp_gt_u32_e64 s0, 8, v11
	s_delay_alu instid0(VALU_DEP_3) | instskip(NEXT) | instid1(VALU_DEP_2)
	v_dual_mov_b32 v12, v1 :: v_dual_mov_b32 v11, v0
	s_and_saveexec_b32 s15, s0
; %bb.1127:                             ;   in Loop: Header=BB337_803 Depth=1
	v_clz_i32_u32_e32 v11, v0
	s_delay_alu instid0(VALU_DEP_1) | instskip(NEXT) | instid1(VALU_DEP_1)
	v_min_u32_e32 v100, 32, v11
	v_subrev_nc_u32_e32 v11, 28, v100
	v_sub_nc_u32_e32 v100, 29, v100
	s_delay_alu instid0(VALU_DEP_2) | instskip(NEXT) | instid1(VALU_DEP_1)
	v_lshlrev_b64 v[11:12], v11, v[0:1]
	v_and_b32_e32 v11, 7, v11
; %bb.1128:                             ;   in Loop: Header=BB337_803 Depth=1
	s_or_b32 exec_lo, exec_lo, s15
	v_lshlrev_b32_e32 v0, 8, v14
	v_lshl_add_u32 v12, v100, 10, 0x2000
	s_delay_alu instid0(VALU_DEP_1) | instskip(NEXT) | instid1(VALU_DEP_1)
	v_and_or_b32 v0, 0x8000, v0, v12
	v_lshl_or_b32 v0, v11, 7, v0
	s_delay_alu instid0(VALU_DEP_1)
	v_cvt_f32_f16_e32 v100, v0
.LBB337_1129:                           ;   in Loop: Header=BB337_803 Depth=1
	s_or_b32 exec_lo, exec_lo, s13
.LBB337_1130:                           ;   in Loop: Header=BB337_803 Depth=1
	s_delay_alu instid0(SALU_CYCLE_1)
	s_or_b32 exec_lo, exec_lo, s12
.LBB337_1131:                           ;   in Loop: Header=BB337_803 Depth=1
	s_delay_alu instid0(SALU_CYCLE_1)
	s_or_b32 exec_lo, exec_lo, s10
	s_waitcnt vmcnt(0) lgkmcnt(0)
	v_fma_mixlo_f16 v12, v85, v87, 0
	v_fma_mixlo_f16 v0, v85, v97, 0
	;; [unrolled: 1-line block ×5, first 2 shown]
	v_lshlrev_b32_e32 v14, 16, v12
	v_fma_mixlo_f16 v96, v85, v98, 0
	v_fma_mixlo_f16 v97, v85, v100, 0
	;; [unrolled: 1-line block ×3, first 2 shown]
	v_lshlrev_b32_e32 v0, 16, v0
	v_and_b32_e32 v11, 0xffff, v11
	v_and_b32_e32 v85, 0xffff, v86
	v_lshlrev_b32_e32 v86, 16, v87
	v_and_b32_e32 v87, 0xffff, v96
	v_lshlrev_b32_e32 v96, 16, v97
	v_and_b32_e32 v97, 0xffff, v12
	v_or_b32_e32 v13, v0, v11
	v_or_b32_e32 v14, v14, v85
	v_or_b32_e32 v0, v86, v87
	s_delay_alu instid0(VALU_DEP_4)
	v_or_b32_e32 v11, v96, v97
	s_and_saveexec_b32 s10, vcc_lo
	s_cbranch_execz .LBB337_1133
; %bb.1132:                             ;   in Loop: Header=BB337_803 Depth=1
	v_cmp_lt_i32_e64 s0, v15, v35
	v_lshrrev_b32_e32 v85, 16, v14
	v_lshrrev_b32_e32 v86, 16, v13
	;; [unrolled: 1-line block ×4, first 2 shown]
	v_cndmask_b32_e64 v14, 0, v14, s0
	v_cmp_lt_i32_e64 s0, v64, v39
	s_delay_alu instid0(VALU_DEP_1) | instskip(SKIP_1) | instid1(VALU_DEP_2)
	v_cndmask_b32_e64 v85, 0, v85, s0
	v_cmp_lt_i32_e64 s0, v55, v39
	v_perm_b32 v14, v85, v14, 0x5040100
	s_delay_alu instid0(VALU_DEP_2) | instskip(SKIP_1) | instid1(VALU_DEP_1)
	v_cndmask_b32_e64 v86, 0, v86, s0
	v_cmp_lt_i32_e64 s0, v54, v35
	v_cndmask_b32_e64 v13, 0, v13, s0
	v_cmp_lt_i32_e64 s0, v53, v39
	s_delay_alu instid0(VALU_DEP_2) | instskip(NEXT) | instid1(VALU_DEP_2)
	v_perm_b32 v13, v86, v13, 0x5040100
	v_cndmask_b32_e64 v87, 0, v87, s0
	v_cmp_lt_i32_e64 s0, v48, v35
	s_delay_alu instid0(VALU_DEP_1) | instskip(SKIP_1) | instid1(VALU_DEP_2)
	v_cndmask_b32_e64 v0, 0, v0, s0
	v_cmp_lt_i32_e64 s0, v23, v39
	v_perm_b32 v0, v87, v0, 0x5040100
	s_delay_alu instid0(VALU_DEP_2) | instskip(SKIP_1) | instid1(VALU_DEP_1)
	v_cndmask_b32_e64 v11, 0, v11, s0
	v_cmp_lt_i32_e64 s0, v17, v35
	v_cndmask_b32_e64 v12, 0, v12, s0
	s_delay_alu instid0(VALU_DEP_1)
	v_perm_b32 v11, v11, v12, 0x5040100
.LBB337_1133:                           ;   in Loop: Header=BB337_803 Depth=1
	s_or_b32 exec_lo, exec_lo, s10
	;;#ASMSTART
	v_pk_mul_f16 v12, v70, v14;

	;;#ASMEND
	;;#ASMSTART
	v_pk_mul_f16 v13, v68, v13;

	;;#ASMEND
	;;#ASMSTART
	v_pk_mul_f16 v0, v66, v0;

	;;#ASMEND
	;;#ASMSTART
	v_pk_mul_f16 v11, v65, v11;

	;;#ASMEND
	;;#ASMSTART
	v_pk_add_f16 v12, v12, v13;

	;;#ASMEND
	;;#ASMSTART
	v_pk_add_f16 v0, v12, v0;

	;;#ASMEND
	;; [unrolled: 4-line block ×3, first 2 shown]
	v_dual_mov_b32 v96, 0 :: v_dual_and_b32 v11, 0xffff, v0
	v_lshrrev_b32_e32 v0, 16, v0
	;;#ASMSTART
	v_cvt_f32_f16 v85, v11;
	;;#ASMEND
	;;#ASMSTART
	v_cvt_f32_f16 v86, v0;
	;;#ASMEND
	flat_load_b64 v[11:12], v[9:10] offset:1280
	flat_load_b32 v87, v[26:27]
	s_mov_b32 s10, exec_lo
	s_waitcnt vmcnt(1) lgkmcnt(1)
	v_dual_mov_b32 v97, 0 :: v_dual_and_b32 v0, 0xff, v11
	s_delay_alu instid0(VALU_DEP_1)
	v_cmpx_ne_u16_e32 0, v0
	s_cbranch_execz .LBB337_1141
; %bb.1134:                             ;   in Loop: Header=BB337_803 Depth=1
	v_bfrev_b32_e32 v96, 1
	s_mov_b32 s12, exec_lo
	v_cmpx_ne_u16_e32 0x80, v0
	s_cbranch_execz .LBB337_1140
; %bb.1135:                             ;   in Loop: Header=BB337_803 Depth=1
	v_and_b32_e32 v13, 0x7f, v11
	v_mov_b32_e32 v96, 0x7fc02000
	s_mov_b32 s13, exec_lo
	s_delay_alu instid0(VALU_DEP_2)
	v_cmpx_ne_u32_e32 0x7f, v13
	s_cbranch_execz .LBB337_1139
; %bb.1136:                             ;   in Loop: Header=BB337_803 Depth=1
	v_lshrrev_b32_e32 v0, 3, v13
	v_cmp_gt_u32_e64 s0, 8, v13
	v_dual_mov_b32 v14, v12 :: v_dual_mov_b32 v13, v11
	s_delay_alu instid0(VALU_DEP_2)
	s_and_saveexec_b32 s15, s0
; %bb.1137:                             ;   in Loop: Header=BB337_803 Depth=1
	v_and_b32_e32 v0, 7, v11
	s_delay_alu instid0(VALU_DEP_1) | instskip(NEXT) | instid1(VALU_DEP_1)
	v_clz_i32_u32_e32 v0, v0
	v_min_u32_e32 v0, 32, v0
	s_delay_alu instid0(VALU_DEP_1) | instskip(SKIP_1) | instid1(VALU_DEP_2)
	v_subrev_nc_u32_e32 v13, 28, v0
	v_sub_nc_u32_e32 v0, 29, v0
	v_lshlrev_b64 v[13:14], v13, v[11:12]
; %bb.1138:                             ;   in Loop: Header=BB337_803 Depth=1
	s_or_b32 exec_lo, exec_lo, s15
	v_lshlrev_b32_e32 v14, 8, v11
	s_delay_alu instid0(VALU_DEP_3) | instskip(NEXT) | instid1(VALU_DEP_3)
	v_lshl_add_u32 v0, v0, 10, 0x2000
	v_lshlrev_b32_e32 v13, 7, v13
	s_delay_alu instid0(VALU_DEP_2) | instskip(NEXT) | instid1(VALU_DEP_1)
	v_and_or_b32 v0, 0x8000, v14, v0
	v_and_or_b32 v0, 0x380, v13, v0
	s_delay_alu instid0(VALU_DEP_1)
	v_cvt_f32_f16_e32 v96, v0
.LBB337_1139:                           ;   in Loop: Header=BB337_803 Depth=1
	s_or_b32 exec_lo, exec_lo, s13
.LBB337_1140:                           ;   in Loop: Header=BB337_803 Depth=1
	s_delay_alu instid0(SALU_CYCLE_1)
	s_or_b32 exec_lo, exec_lo, s12
.LBB337_1141:                           ;   in Loop: Header=BB337_803 Depth=1
	s_delay_alu instid0(SALU_CYCLE_1) | instskip(SKIP_2) | instid1(VALU_DEP_1)
	s_or_b32 exec_lo, exec_lo, s10
	v_lshrrev_b16 v0, 8, v11
	s_mov_b32 s10, exec_lo
	v_cmpx_ne_u16_e32 0, v0
	s_cbranch_execz .LBB337_1149
; %bb.1142:                             ;   in Loop: Header=BB337_803 Depth=1
	v_bfrev_b32_e32 v97, 1
	s_mov_b32 s12, exec_lo
	v_cmpx_ne_u16_e32 0x80, v0
	s_cbranch_execz .LBB337_1148
; %bb.1143:                             ;   in Loop: Header=BB337_803 Depth=1
	v_and_b32_e32 v98, 0xffff, v0
	v_mov_b32_e32 v97, 0x7fc02000
	s_mov_b32 s13, exec_lo
	s_delay_alu instid0(VALU_DEP_2) | instskip(NEXT) | instid1(VALU_DEP_1)
	v_and_b32_e32 v13, 0x7f, v98
	v_cmpx_ne_u32_e32 0x7f, v13
	s_cbranch_execz .LBB337_1147
; %bb.1144:                             ;   in Loop: Header=BB337_803 Depth=1
	v_and_b32_e32 v0, 7, v98
	v_lshrrev_b32_e32 v97, 3, v13
	v_cmp_gt_u32_e64 s0, 8, v13
	s_delay_alu instid0(VALU_DEP_3) | instskip(NEXT) | instid1(VALU_DEP_2)
	v_dual_mov_b32 v14, v1 :: v_dual_mov_b32 v13, v0
	s_and_saveexec_b32 s15, s0
; %bb.1145:                             ;   in Loop: Header=BB337_803 Depth=1
	v_clz_i32_u32_e32 v13, v0
	s_delay_alu instid0(VALU_DEP_1) | instskip(NEXT) | instid1(VALU_DEP_1)
	v_min_u32_e32 v97, 32, v13
	v_subrev_nc_u32_e32 v13, 28, v97
	v_sub_nc_u32_e32 v97, 29, v97
	s_delay_alu instid0(VALU_DEP_2) | instskip(NEXT) | instid1(VALU_DEP_1)
	v_lshlrev_b64 v[13:14], v13, v[0:1]
	v_and_b32_e32 v13, 7, v13
; %bb.1146:                             ;   in Loop: Header=BB337_803 Depth=1
	s_or_b32 exec_lo, exec_lo, s15
	v_lshlrev_b32_e32 v0, 8, v98
	v_lshl_add_u32 v14, v97, 10, 0x2000
	s_delay_alu instid0(VALU_DEP_1) | instskip(NEXT) | instid1(VALU_DEP_1)
	v_and_or_b32 v0, 0x8000, v0, v14
	v_lshl_or_b32 v0, v13, 7, v0
	s_delay_alu instid0(VALU_DEP_1)
	v_cvt_f32_f16_e32 v97, v0
.LBB337_1147:                           ;   in Loop: Header=BB337_803 Depth=1
	s_or_b32 exec_lo, exec_lo, s13
.LBB337_1148:                           ;   in Loop: Header=BB337_803 Depth=1
	s_delay_alu instid0(SALU_CYCLE_1)
	s_or_b32 exec_lo, exec_lo, s12
.LBB337_1149:                           ;   in Loop: Header=BB337_803 Depth=1
	s_delay_alu instid0(SALU_CYCLE_1) | instskip(SKIP_3) | instid1(VALU_DEP_2)
	s_or_b32 exec_lo, exec_lo, s10
	v_lshrrev_b32_e32 v100, 16, v11
	v_mov_b32_e32 v98, 0
	s_mov_b32 s10, exec_lo
	v_dual_mov_b32 v99, 0 :: v_dual_and_b32 v0, 0xff, v100
	s_delay_alu instid0(VALU_DEP_1)
	v_cmpx_ne_u16_e32 0, v0
	s_cbranch_execz .LBB337_1157
; %bb.1150:                             ;   in Loop: Header=BB337_803 Depth=1
	v_bfrev_b32_e32 v98, 1
	s_mov_b32 s12, exec_lo
	v_cmpx_ne_u16_e32 0x80, v0
	s_cbranch_execz .LBB337_1156
; %bb.1151:                             ;   in Loop: Header=BB337_803 Depth=1
	v_bfe_u32 v13, v11, 16, 7
	v_mov_b32_e32 v98, 0x7fc02000
	s_mov_b32 s13, exec_lo
	s_delay_alu instid0(VALU_DEP_2)
	v_cmpx_ne_u32_e32 0x7f, v13
	s_cbranch_execz .LBB337_1155
; %bb.1152:                             ;   in Loop: Header=BB337_803 Depth=1
	v_and_b32_e32 v0, 7, v100
	v_lshrrev_b32_e32 v98, 3, v13
	v_cmp_gt_u32_e64 s0, 8, v13
	s_delay_alu instid0(VALU_DEP_3) | instskip(NEXT) | instid1(VALU_DEP_2)
	v_dual_mov_b32 v14, v1 :: v_dual_mov_b32 v13, v0
	s_and_saveexec_b32 s15, s0
; %bb.1153:                             ;   in Loop: Header=BB337_803 Depth=1
	v_clz_i32_u32_e32 v13, v0
	s_delay_alu instid0(VALU_DEP_1) | instskip(NEXT) | instid1(VALU_DEP_1)
	v_min_u32_e32 v98, 32, v13
	v_subrev_nc_u32_e32 v13, 28, v98
	v_sub_nc_u32_e32 v98, 29, v98
	s_delay_alu instid0(VALU_DEP_2) | instskip(NEXT) | instid1(VALU_DEP_1)
	v_lshlrev_b64 v[13:14], v13, v[0:1]
	v_and_b32_e32 v13, 7, v13
; %bb.1154:                             ;   in Loop: Header=BB337_803 Depth=1
	s_or_b32 exec_lo, exec_lo, s15
	v_lshlrev_b32_e32 v0, 8, v100
	v_lshl_add_u32 v14, v98, 10, 0x2000
	s_delay_alu instid0(VALU_DEP_1) | instskip(NEXT) | instid1(VALU_DEP_1)
	v_and_or_b32 v0, 0x8000, v0, v14
	v_lshl_or_b32 v0, v13, 7, v0
	s_delay_alu instid0(VALU_DEP_1)
	v_cvt_f32_f16_e32 v98, v0
.LBB337_1155:                           ;   in Loop: Header=BB337_803 Depth=1
	s_or_b32 exec_lo, exec_lo, s13
.LBB337_1156:                           ;   in Loop: Header=BB337_803 Depth=1
	s_delay_alu instid0(SALU_CYCLE_1)
	s_or_b32 exec_lo, exec_lo, s12
.LBB337_1157:                           ;   in Loop: Header=BB337_803 Depth=1
	s_delay_alu instid0(SALU_CYCLE_1) | instskip(NEXT) | instid1(SALU_CYCLE_1)
	s_or_b32 exec_lo, exec_lo, s10
	s_mov_b32 s10, exec_lo
	v_cmpx_lt_u32_e32 0xffffff, v11
	s_cbranch_execz .LBB337_1165
; %bb.1158:                             ;   in Loop: Header=BB337_803 Depth=1
	v_lshrrev_b32_e32 v100, 24, v11
	v_bfrev_b32_e32 v99, 1
	s_mov_b32 s12, exec_lo
	s_delay_alu instid0(VALU_DEP_2)
	v_cmpx_ne_u32_e32 0x80, v100
	s_cbranch_execz .LBB337_1164
; %bb.1159:                             ;   in Loop: Header=BB337_803 Depth=1
	v_and_b32_e32 v13, 0x7f, v100
	v_mov_b32_e32 v99, 0x7fc02000
	s_mov_b32 s13, exec_lo
	s_delay_alu instid0(VALU_DEP_2)
	v_cmpx_ne_u32_e32 0x7f, v13
	s_cbranch_execz .LBB337_1163
; %bb.1160:                             ;   in Loop: Header=BB337_803 Depth=1
	v_and_b32_e32 v0, 7, v100
	v_lshrrev_b32_e32 v99, 3, v13
	v_cmp_gt_u32_e64 s0, 8, v13
	s_delay_alu instid0(VALU_DEP_3) | instskip(NEXT) | instid1(VALU_DEP_2)
	v_dual_mov_b32 v14, v1 :: v_dual_mov_b32 v13, v0
	s_and_saveexec_b32 s15, s0
; %bb.1161:                             ;   in Loop: Header=BB337_803 Depth=1
	v_clz_i32_u32_e32 v13, v0
	s_delay_alu instid0(VALU_DEP_1) | instskip(NEXT) | instid1(VALU_DEP_1)
	v_min_u32_e32 v99, 32, v13
	v_subrev_nc_u32_e32 v13, 28, v99
	v_sub_nc_u32_e32 v99, 29, v99
	s_delay_alu instid0(VALU_DEP_2) | instskip(NEXT) | instid1(VALU_DEP_1)
	v_lshlrev_b64 v[13:14], v13, v[0:1]
	v_and_b32_e32 v13, 7, v13
; %bb.1162:                             ;   in Loop: Header=BB337_803 Depth=1
	s_or_b32 exec_lo, exec_lo, s15
	v_lshlrev_b32_e32 v0, 8, v100
	v_lshl_add_u32 v14, v99, 10, 0x2000
	s_delay_alu instid0(VALU_DEP_1) | instskip(NEXT) | instid1(VALU_DEP_1)
	v_and_or_b32 v0, 0x8000, v0, v14
	v_lshl_or_b32 v0, v13, 7, v0
	s_delay_alu instid0(VALU_DEP_1)
	v_cvt_f32_f16_e32 v99, v0
.LBB337_1163:                           ;   in Loop: Header=BB337_803 Depth=1
	s_or_b32 exec_lo, exec_lo, s13
.LBB337_1164:                           ;   in Loop: Header=BB337_803 Depth=1
	s_delay_alu instid0(SALU_CYCLE_1)
	s_or_b32 exec_lo, exec_lo, s12
.LBB337_1165:                           ;   in Loop: Header=BB337_803 Depth=1
	s_delay_alu instid0(SALU_CYCLE_1) | instskip(SKIP_3) | instid1(VALU_DEP_2)
	s_or_b32 exec_lo, exec_lo, s10
	v_dual_mov_b32 v0, v12 :: v_dual_and_b32 v13, 0xff, v12
	v_dual_mov_b32 v101, 0 :: v_dual_mov_b32 v100, 0
	s_mov_b32 s10, exec_lo
	v_cmpx_ne_u16_e32 0, v13
	s_cbranch_execz .LBB337_1173
; %bb.1166:                             ;   in Loop: Header=BB337_803 Depth=1
	v_bfrev_b32_e32 v100, 1
	s_mov_b32 s12, exec_lo
	v_cmpx_ne_u16_e32 0x80, v13
	s_cbranch_execz .LBB337_1172
; %bb.1167:                             ;   in Loop: Header=BB337_803 Depth=1
	v_and_b32_e32 v13, 0x7f, v12
	v_mov_b32_e32 v100, 0x7fc02000
	s_mov_b32 s13, exec_lo
	s_delay_alu instid0(VALU_DEP_2)
	v_cmpx_ne_u32_e32 0x7f, v13
	s_cbranch_execz .LBB337_1171
; %bb.1168:                             ;   in Loop: Header=BB337_803 Depth=1
	v_lshrrev_b32_e32 v100, 3, v13
	v_cmp_gt_u32_e64 s0, 8, v13
	v_dual_mov_b32 v14, v1 :: v_dual_mov_b32 v13, v0
	s_delay_alu instid0(VALU_DEP_2)
	s_and_saveexec_b32 s15, s0
; %bb.1169:                             ;   in Loop: Header=BB337_803 Depth=1
	v_and_b32_e32 v13, 7, v12
	s_delay_alu instid0(VALU_DEP_1) | instskip(NEXT) | instid1(VALU_DEP_1)
	v_clz_i32_u32_e32 v13, v13
	v_min_u32_e32 v100, 32, v13
	s_delay_alu instid0(VALU_DEP_1) | instskip(SKIP_1) | instid1(VALU_DEP_2)
	v_subrev_nc_u32_e32 v13, 28, v100
	v_sub_nc_u32_e32 v100, 29, v100
	v_lshlrev_b64 v[13:14], v13, v[0:1]
; %bb.1170:                             ;   in Loop: Header=BB337_803 Depth=1
	s_or_b32 exec_lo, exec_lo, s15
	v_lshlrev_b32_e32 v14, 8, v12
	s_delay_alu instid0(VALU_DEP_3) | instskip(NEXT) | instid1(VALU_DEP_3)
	v_lshl_add_u32 v100, v100, 10, 0x2000
	v_lshlrev_b32_e32 v13, 7, v13
	s_delay_alu instid0(VALU_DEP_2) | instskip(NEXT) | instid1(VALU_DEP_1)
	v_and_or_b32 v14, 0x8000, v14, v100
	v_and_or_b32 v13, 0x380, v13, v14
	s_delay_alu instid0(VALU_DEP_1)
	v_cvt_f32_f16_e32 v100, v13
.LBB337_1171:                           ;   in Loop: Header=BB337_803 Depth=1
	s_or_b32 exec_lo, exec_lo, s13
.LBB337_1172:                           ;   in Loop: Header=BB337_803 Depth=1
	s_delay_alu instid0(SALU_CYCLE_1)
	s_or_b32 exec_lo, exec_lo, s12
.LBB337_1173:                           ;   in Loop: Header=BB337_803 Depth=1
	s_delay_alu instid0(SALU_CYCLE_1) | instskip(SKIP_2) | instid1(VALU_DEP_1)
	s_or_b32 exec_lo, exec_lo, s10
	v_lshrrev_b16 v0, 8, v0
	s_mov_b32 s10, exec_lo
	v_cmpx_ne_u16_e32 0, v0
	s_cbranch_execz .LBB337_1181
; %bb.1174:                             ;   in Loop: Header=BB337_803 Depth=1
	v_bfrev_b32_e32 v101, 1
	s_mov_b32 s12, exec_lo
	v_cmpx_ne_u16_e32 0x80, v0
	s_cbranch_execz .LBB337_1180
; %bb.1175:                             ;   in Loop: Header=BB337_803 Depth=1
	v_and_b32_e32 v102, 0xffff, v0
	v_mov_b32_e32 v101, 0x7fc02000
	s_mov_b32 s13, exec_lo
	s_delay_alu instid0(VALU_DEP_2) | instskip(NEXT) | instid1(VALU_DEP_1)
	v_and_b32_e32 v13, 0x7f, v102
	v_cmpx_ne_u32_e32 0x7f, v13
	s_cbranch_execz .LBB337_1179
; %bb.1176:                             ;   in Loop: Header=BB337_803 Depth=1
	v_and_b32_e32 v0, 7, v102
	v_lshrrev_b32_e32 v101, 3, v13
	v_cmp_gt_u32_e64 s0, 8, v13
	s_delay_alu instid0(VALU_DEP_3) | instskip(NEXT) | instid1(VALU_DEP_2)
	v_dual_mov_b32 v14, v1 :: v_dual_mov_b32 v13, v0
	s_and_saveexec_b32 s15, s0
; %bb.1177:                             ;   in Loop: Header=BB337_803 Depth=1
	v_clz_i32_u32_e32 v13, v0
	s_delay_alu instid0(VALU_DEP_1) | instskip(NEXT) | instid1(VALU_DEP_1)
	v_min_u32_e32 v101, 32, v13
	v_subrev_nc_u32_e32 v13, 28, v101
	v_sub_nc_u32_e32 v101, 29, v101
	s_delay_alu instid0(VALU_DEP_2) | instskip(NEXT) | instid1(VALU_DEP_1)
	v_lshlrev_b64 v[13:14], v13, v[0:1]
	v_and_b32_e32 v13, 7, v13
; %bb.1178:                             ;   in Loop: Header=BB337_803 Depth=1
	s_or_b32 exec_lo, exec_lo, s15
	v_lshlrev_b32_e32 v0, 8, v102
	v_lshl_add_u32 v14, v101, 10, 0x2000
	s_delay_alu instid0(VALU_DEP_1) | instskip(NEXT) | instid1(VALU_DEP_1)
	v_and_or_b32 v0, 0x8000, v0, v14
	v_lshl_or_b32 v0, v13, 7, v0
	s_delay_alu instid0(VALU_DEP_1)
	v_cvt_f32_f16_e32 v101, v0
.LBB337_1179:                           ;   in Loop: Header=BB337_803 Depth=1
	s_or_b32 exec_lo, exec_lo, s13
.LBB337_1180:                           ;   in Loop: Header=BB337_803 Depth=1
	s_delay_alu instid0(SALU_CYCLE_1)
	s_or_b32 exec_lo, exec_lo, s12
.LBB337_1181:                           ;   in Loop: Header=BB337_803 Depth=1
	s_delay_alu instid0(SALU_CYCLE_1) | instskip(SKIP_3) | instid1(VALU_DEP_2)
	s_or_b32 exec_lo, exec_lo, s10
	v_lshrrev_b32_e32 v103, 16, v12
	v_mov_b32_e32 v102, 0
	s_mov_b32 s10, exec_lo
	v_dual_mov_b32 v13, 0 :: v_dual_and_b32 v0, 0xff, v103
	s_delay_alu instid0(VALU_DEP_1)
	v_cmpx_ne_u16_e32 0, v0
	s_cbranch_execz .LBB337_1189
; %bb.1182:                             ;   in Loop: Header=BB337_803 Depth=1
	v_bfrev_b32_e32 v13, 1
	s_mov_b32 s12, exec_lo
	v_cmpx_ne_u16_e32 0x80, v0
	s_cbranch_execz .LBB337_1188
; %bb.1183:                             ;   in Loop: Header=BB337_803 Depth=1
	v_bfe_u32 v14, v12, 16, 7
	v_mov_b32_e32 v13, 0x7fc02000
	s_mov_b32 s13, exec_lo
	s_delay_alu instid0(VALU_DEP_2)
	v_cmpx_ne_u32_e32 0x7f, v14
	s_cbranch_execz .LBB337_1187
; %bb.1184:                             ;   in Loop: Header=BB337_803 Depth=1
	v_and_b32_e32 v0, 7, v103
	v_lshrrev_b32_e32 v112, 3, v14
	v_cmp_gt_u32_e64 s0, 8, v14
	s_delay_alu instid0(VALU_DEP_3) | instskip(NEXT) | instid1(VALU_DEP_2)
	v_dual_mov_b32 v14, v1 :: v_dual_mov_b32 v13, v0
	s_and_saveexec_b32 s15, s0
; %bb.1185:                             ;   in Loop: Header=BB337_803 Depth=1
	v_clz_i32_u32_e32 v13, v0
	s_delay_alu instid0(VALU_DEP_1) | instskip(NEXT) | instid1(VALU_DEP_1)
	v_min_u32_e32 v112, 32, v13
	v_subrev_nc_u32_e32 v13, 28, v112
	v_sub_nc_u32_e32 v112, 29, v112
	s_delay_alu instid0(VALU_DEP_2) | instskip(NEXT) | instid1(VALU_DEP_1)
	v_lshlrev_b64 v[13:14], v13, v[0:1]
	v_and_b32_e32 v13, 7, v13
; %bb.1186:                             ;   in Loop: Header=BB337_803 Depth=1
	s_or_b32 exec_lo, exec_lo, s15
	v_lshlrev_b32_e32 v0, 8, v103
	v_lshl_add_u32 v14, v112, 10, 0x2000
	s_delay_alu instid0(VALU_DEP_1) | instskip(NEXT) | instid1(VALU_DEP_1)
	v_and_or_b32 v0, 0x8000, v0, v14
	v_lshl_or_b32 v0, v13, 7, v0
	s_delay_alu instid0(VALU_DEP_1)
	v_cvt_f32_f16_e32 v13, v0
.LBB337_1187:                           ;   in Loop: Header=BB337_803 Depth=1
	s_or_b32 exec_lo, exec_lo, s13
.LBB337_1188:                           ;   in Loop: Header=BB337_803 Depth=1
	s_delay_alu instid0(SALU_CYCLE_1)
	s_or_b32 exec_lo, exec_lo, s12
.LBB337_1189:                           ;   in Loop: Header=BB337_803 Depth=1
	s_delay_alu instid0(SALU_CYCLE_1) | instskip(NEXT) | instid1(SALU_CYCLE_1)
	s_or_b32 exec_lo, exec_lo, s10
	s_mov_b32 s10, exec_lo
	v_cmpx_lt_u64_e64 s[8:9], v[11:12]
	s_cbranch_execz .LBB337_1197
; %bb.1190:                             ;   in Loop: Header=BB337_803 Depth=1
	v_lshrrev_b32_e32 v14, 24, v12
	v_bfrev_b32_e32 v102, 1
	s_mov_b32 s12, exec_lo
	s_delay_alu instid0(VALU_DEP_2)
	v_cmpx_ne_u32_e32 0x80, v14
	s_cbranch_execz .LBB337_1196
; %bb.1191:                             ;   in Loop: Header=BB337_803 Depth=1
	v_and_b32_e32 v11, 0x7f, v14
	v_mov_b32_e32 v102, 0x7fc02000
	s_mov_b32 s13, exec_lo
	s_delay_alu instid0(VALU_DEP_2)
	v_cmpx_ne_u32_e32 0x7f, v11
	s_cbranch_execz .LBB337_1195
; %bb.1192:                             ;   in Loop: Header=BB337_803 Depth=1
	v_and_b32_e32 v0, 7, v14
	v_lshrrev_b32_e32 v102, 3, v11
	v_cmp_gt_u32_e64 s0, 8, v11
	s_delay_alu instid0(VALU_DEP_3) | instskip(NEXT) | instid1(VALU_DEP_2)
	v_dual_mov_b32 v12, v1 :: v_dual_mov_b32 v11, v0
	s_and_saveexec_b32 s15, s0
; %bb.1193:                             ;   in Loop: Header=BB337_803 Depth=1
	v_clz_i32_u32_e32 v11, v0
	s_delay_alu instid0(VALU_DEP_1) | instskip(NEXT) | instid1(VALU_DEP_1)
	v_min_u32_e32 v102, 32, v11
	v_subrev_nc_u32_e32 v11, 28, v102
	v_sub_nc_u32_e32 v102, 29, v102
	s_delay_alu instid0(VALU_DEP_2) | instskip(NEXT) | instid1(VALU_DEP_1)
	v_lshlrev_b64 v[11:12], v11, v[0:1]
	v_and_b32_e32 v11, 7, v11
; %bb.1194:                             ;   in Loop: Header=BB337_803 Depth=1
	s_or_b32 exec_lo, exec_lo, s15
	v_lshlrev_b32_e32 v0, 8, v14
	v_lshl_add_u32 v12, v102, 10, 0x2000
	s_delay_alu instid0(VALU_DEP_1) | instskip(NEXT) | instid1(VALU_DEP_1)
	v_and_or_b32 v0, 0x8000, v0, v12
	v_lshl_or_b32 v0, v11, 7, v0
	s_delay_alu instid0(VALU_DEP_1)
	v_cvt_f32_f16_e32 v102, v0
.LBB337_1195:                           ;   in Loop: Header=BB337_803 Depth=1
	s_or_b32 exec_lo, exec_lo, s13
.LBB337_1196:                           ;   in Loop: Header=BB337_803 Depth=1
	s_delay_alu instid0(SALU_CYCLE_1)
	s_or_b32 exec_lo, exec_lo, s12
.LBB337_1197:                           ;   in Loop: Header=BB337_803 Depth=1
	s_delay_alu instid0(SALU_CYCLE_1)
	s_or_b32 exec_lo, exec_lo, s10
	s_waitcnt vmcnt(0) lgkmcnt(0)
	v_fma_mixlo_f16 v12, v87, v97, 0
	v_fma_mixlo_f16 v0, v87, v99, 0
	;; [unrolled: 1-line block ×5, first 2 shown]
	v_lshlrev_b32_e32 v14, 16, v12
	v_fma_mixlo_f16 v98, v87, v100, 0
	v_fma_mixlo_f16 v99, v87, v102, 0
	;; [unrolled: 1-line block ×3, first 2 shown]
	v_lshlrev_b32_e32 v0, 16, v0
	v_and_b32_e32 v11, 0xffff, v11
	v_and_b32_e32 v87, 0xffff, v96
	v_lshlrev_b32_e32 v96, 16, v97
	v_and_b32_e32 v97, 0xffff, v98
	v_lshlrev_b32_e32 v98, 16, v99
	v_and_b32_e32 v99, 0xffff, v12
	v_or_b32_e32 v13, v0, v11
	v_or_b32_e32 v14, v14, v87
	;; [unrolled: 1-line block ×3, first 2 shown]
	s_delay_alu instid0(VALU_DEP_4)
	v_or_b32_e32 v11, v98, v99
	s_and_saveexec_b32 s10, vcc_lo
	s_cbranch_execz .LBB337_1199
; %bb.1198:                             ;   in Loop: Header=BB337_803 Depth=1
	v_cmp_lt_i32_e64 s0, v15, v35
	v_lshrrev_b32_e32 v87, 16, v14
	v_lshrrev_b32_e32 v96, 16, v13
	;; [unrolled: 1-line block ×4, first 2 shown]
	v_cndmask_b32_e64 v14, 0, v14, s0
	v_cmp_lt_i32_e64 s0, v64, v39
	s_delay_alu instid0(VALU_DEP_1) | instskip(SKIP_1) | instid1(VALU_DEP_2)
	v_cndmask_b32_e64 v87, 0, v87, s0
	v_cmp_lt_i32_e64 s0, v55, v39
	v_perm_b32 v14, v87, v14, 0x5040100
	s_delay_alu instid0(VALU_DEP_2) | instskip(SKIP_1) | instid1(VALU_DEP_1)
	v_cndmask_b32_e64 v96, 0, v96, s0
	v_cmp_lt_i32_e64 s0, v54, v35
	v_cndmask_b32_e64 v13, 0, v13, s0
	v_cmp_lt_i32_e64 s0, v53, v39
	s_delay_alu instid0(VALU_DEP_2) | instskip(NEXT) | instid1(VALU_DEP_2)
	v_perm_b32 v13, v96, v13, 0x5040100
	v_cndmask_b32_e64 v97, 0, v97, s0
	v_cmp_lt_i32_e64 s0, v48, v35
	s_delay_alu instid0(VALU_DEP_1) | instskip(SKIP_1) | instid1(VALU_DEP_2)
	v_cndmask_b32_e64 v0, 0, v0, s0
	v_cmp_lt_i32_e64 s0, v23, v39
	v_perm_b32 v0, v97, v0, 0x5040100
	s_delay_alu instid0(VALU_DEP_2) | instskip(SKIP_1) | instid1(VALU_DEP_1)
	v_cndmask_b32_e64 v11, 0, v11, s0
	v_cmp_lt_i32_e64 s0, v17, v35
	v_cndmask_b32_e64 v12, 0, v12, s0
	s_delay_alu instid0(VALU_DEP_1)
	v_perm_b32 v11, v11, v12, 0x5040100
.LBB337_1199:                           ;   in Loop: Header=BB337_803 Depth=1
	s_or_b32 exec_lo, exec_lo, s10
	;;#ASMSTART
	v_pk_mul_f16 v12, v70, v14;

	;;#ASMEND
	;;#ASMSTART
	v_pk_mul_f16 v13, v68, v13;

	;;#ASMEND
	;; [unrolled: 4-line block ×4, first 2 shown]
	;;#ASMSTART
	v_pk_add_f16 v12, v12, v13;

	;;#ASMEND
	;;#ASMSTART
	v_pk_add_f16 v0, v12, v0;

	;;#ASMEND
	;; [unrolled: 4-line block ×3, first 2 shown]
	v_dual_mov_b32 v98, 0 :: v_dual_and_b32 v11, 0xffff, v0
	v_lshrrev_b32_e32 v0, 16, v0
	;;#ASMSTART
	v_cvt_f32_f16 v87, v11;
	;;#ASMEND
	;;#ASMSTART
	v_cvt_f32_f16 v96, v0;
	;;#ASMEND
	flat_load_b64 v[11:12], v[9:10] offset:1536
	flat_load_b32 v97, v[26:27]
	s_mov_b32 s10, exec_lo
	s_waitcnt vmcnt(1) lgkmcnt(1)
	v_dual_mov_b32 v99, 0 :: v_dual_and_b32 v0, 0xff, v11
	s_delay_alu instid0(VALU_DEP_1)
	v_cmpx_ne_u16_e32 0, v0
	s_cbranch_execz .LBB337_1207
; %bb.1200:                             ;   in Loop: Header=BB337_803 Depth=1
	v_bfrev_b32_e32 v98, 1
	s_mov_b32 s12, exec_lo
	v_cmpx_ne_u16_e32 0x80, v0
	s_cbranch_execz .LBB337_1206
; %bb.1201:                             ;   in Loop: Header=BB337_803 Depth=1
	v_and_b32_e32 v13, 0x7f, v11
	v_mov_b32_e32 v98, 0x7fc02000
	s_mov_b32 s13, exec_lo
	s_delay_alu instid0(VALU_DEP_2)
	v_cmpx_ne_u32_e32 0x7f, v13
	s_cbranch_execz .LBB337_1205
; %bb.1202:                             ;   in Loop: Header=BB337_803 Depth=1
	v_lshrrev_b32_e32 v0, 3, v13
	v_cmp_gt_u32_e64 s0, 8, v13
	v_dual_mov_b32 v14, v12 :: v_dual_mov_b32 v13, v11
	s_delay_alu instid0(VALU_DEP_2)
	s_and_saveexec_b32 s15, s0
; %bb.1203:                             ;   in Loop: Header=BB337_803 Depth=1
	v_and_b32_e32 v0, 7, v11
	s_delay_alu instid0(VALU_DEP_1) | instskip(NEXT) | instid1(VALU_DEP_1)
	v_clz_i32_u32_e32 v0, v0
	v_min_u32_e32 v0, 32, v0
	s_delay_alu instid0(VALU_DEP_1) | instskip(SKIP_1) | instid1(VALU_DEP_2)
	v_subrev_nc_u32_e32 v13, 28, v0
	v_sub_nc_u32_e32 v0, 29, v0
	v_lshlrev_b64 v[13:14], v13, v[11:12]
; %bb.1204:                             ;   in Loop: Header=BB337_803 Depth=1
	s_or_b32 exec_lo, exec_lo, s15
	v_lshlrev_b32_e32 v14, 8, v11
	s_delay_alu instid0(VALU_DEP_3) | instskip(NEXT) | instid1(VALU_DEP_3)
	v_lshl_add_u32 v0, v0, 10, 0x2000
	v_lshlrev_b32_e32 v13, 7, v13
	s_delay_alu instid0(VALU_DEP_2) | instskip(NEXT) | instid1(VALU_DEP_1)
	v_and_or_b32 v0, 0x8000, v14, v0
	v_and_or_b32 v0, 0x380, v13, v0
	s_delay_alu instid0(VALU_DEP_1)
	v_cvt_f32_f16_e32 v98, v0
.LBB337_1205:                           ;   in Loop: Header=BB337_803 Depth=1
	s_or_b32 exec_lo, exec_lo, s13
.LBB337_1206:                           ;   in Loop: Header=BB337_803 Depth=1
	s_delay_alu instid0(SALU_CYCLE_1)
	s_or_b32 exec_lo, exec_lo, s12
.LBB337_1207:                           ;   in Loop: Header=BB337_803 Depth=1
	s_delay_alu instid0(SALU_CYCLE_1) | instskip(SKIP_2) | instid1(VALU_DEP_1)
	s_or_b32 exec_lo, exec_lo, s10
	v_lshrrev_b16 v0, 8, v11
	s_mov_b32 s10, exec_lo
	v_cmpx_ne_u16_e32 0, v0
	s_cbranch_execz .LBB337_1215
; %bb.1208:                             ;   in Loop: Header=BB337_803 Depth=1
	v_bfrev_b32_e32 v99, 1
	s_mov_b32 s12, exec_lo
	v_cmpx_ne_u16_e32 0x80, v0
	s_cbranch_execz .LBB337_1214
; %bb.1209:                             ;   in Loop: Header=BB337_803 Depth=1
	v_and_b32_e32 v100, 0xffff, v0
	v_mov_b32_e32 v99, 0x7fc02000
	s_mov_b32 s13, exec_lo
	s_delay_alu instid0(VALU_DEP_2) | instskip(NEXT) | instid1(VALU_DEP_1)
	v_and_b32_e32 v13, 0x7f, v100
	v_cmpx_ne_u32_e32 0x7f, v13
	s_cbranch_execz .LBB337_1213
; %bb.1210:                             ;   in Loop: Header=BB337_803 Depth=1
	v_and_b32_e32 v0, 7, v100
	v_lshrrev_b32_e32 v99, 3, v13
	v_cmp_gt_u32_e64 s0, 8, v13
	s_delay_alu instid0(VALU_DEP_3) | instskip(NEXT) | instid1(VALU_DEP_2)
	v_dual_mov_b32 v14, v1 :: v_dual_mov_b32 v13, v0
	s_and_saveexec_b32 s15, s0
; %bb.1211:                             ;   in Loop: Header=BB337_803 Depth=1
	v_clz_i32_u32_e32 v13, v0
	s_delay_alu instid0(VALU_DEP_1) | instskip(NEXT) | instid1(VALU_DEP_1)
	v_min_u32_e32 v99, 32, v13
	v_subrev_nc_u32_e32 v13, 28, v99
	v_sub_nc_u32_e32 v99, 29, v99
	s_delay_alu instid0(VALU_DEP_2) | instskip(NEXT) | instid1(VALU_DEP_1)
	v_lshlrev_b64 v[13:14], v13, v[0:1]
	v_and_b32_e32 v13, 7, v13
; %bb.1212:                             ;   in Loop: Header=BB337_803 Depth=1
	s_or_b32 exec_lo, exec_lo, s15
	v_lshlrev_b32_e32 v0, 8, v100
	v_lshl_add_u32 v14, v99, 10, 0x2000
	s_delay_alu instid0(VALU_DEP_1) | instskip(NEXT) | instid1(VALU_DEP_1)
	v_and_or_b32 v0, 0x8000, v0, v14
	v_lshl_or_b32 v0, v13, 7, v0
	s_delay_alu instid0(VALU_DEP_1)
	v_cvt_f32_f16_e32 v99, v0
.LBB337_1213:                           ;   in Loop: Header=BB337_803 Depth=1
	s_or_b32 exec_lo, exec_lo, s13
.LBB337_1214:                           ;   in Loop: Header=BB337_803 Depth=1
	s_delay_alu instid0(SALU_CYCLE_1)
	s_or_b32 exec_lo, exec_lo, s12
.LBB337_1215:                           ;   in Loop: Header=BB337_803 Depth=1
	s_delay_alu instid0(SALU_CYCLE_1) | instskip(SKIP_3) | instid1(VALU_DEP_2)
	s_or_b32 exec_lo, exec_lo, s10
	v_lshrrev_b32_e32 v102, 16, v11
	v_mov_b32_e32 v100, 0
	s_mov_b32 s10, exec_lo
	v_dual_mov_b32 v101, 0 :: v_dual_and_b32 v0, 0xff, v102
	s_delay_alu instid0(VALU_DEP_1)
	v_cmpx_ne_u16_e32 0, v0
	s_cbranch_execz .LBB337_1223
; %bb.1216:                             ;   in Loop: Header=BB337_803 Depth=1
	v_bfrev_b32_e32 v100, 1
	s_mov_b32 s12, exec_lo
	v_cmpx_ne_u16_e32 0x80, v0
	s_cbranch_execz .LBB337_1222
; %bb.1217:                             ;   in Loop: Header=BB337_803 Depth=1
	v_bfe_u32 v13, v11, 16, 7
	v_mov_b32_e32 v100, 0x7fc02000
	s_mov_b32 s13, exec_lo
	s_delay_alu instid0(VALU_DEP_2)
	v_cmpx_ne_u32_e32 0x7f, v13
	s_cbranch_execz .LBB337_1221
; %bb.1218:                             ;   in Loop: Header=BB337_803 Depth=1
	v_and_b32_e32 v0, 7, v102
	v_lshrrev_b32_e32 v100, 3, v13
	v_cmp_gt_u32_e64 s0, 8, v13
	s_delay_alu instid0(VALU_DEP_3) | instskip(NEXT) | instid1(VALU_DEP_2)
	v_dual_mov_b32 v14, v1 :: v_dual_mov_b32 v13, v0
	s_and_saveexec_b32 s15, s0
; %bb.1219:                             ;   in Loop: Header=BB337_803 Depth=1
	v_clz_i32_u32_e32 v13, v0
	s_delay_alu instid0(VALU_DEP_1) | instskip(NEXT) | instid1(VALU_DEP_1)
	v_min_u32_e32 v100, 32, v13
	v_subrev_nc_u32_e32 v13, 28, v100
	v_sub_nc_u32_e32 v100, 29, v100
	s_delay_alu instid0(VALU_DEP_2) | instskip(NEXT) | instid1(VALU_DEP_1)
	v_lshlrev_b64 v[13:14], v13, v[0:1]
	v_and_b32_e32 v13, 7, v13
; %bb.1220:                             ;   in Loop: Header=BB337_803 Depth=1
	s_or_b32 exec_lo, exec_lo, s15
	v_lshlrev_b32_e32 v0, 8, v102
	v_lshl_add_u32 v14, v100, 10, 0x2000
	s_delay_alu instid0(VALU_DEP_1) | instskip(NEXT) | instid1(VALU_DEP_1)
	v_and_or_b32 v0, 0x8000, v0, v14
	v_lshl_or_b32 v0, v13, 7, v0
	s_delay_alu instid0(VALU_DEP_1)
	v_cvt_f32_f16_e32 v100, v0
.LBB337_1221:                           ;   in Loop: Header=BB337_803 Depth=1
	s_or_b32 exec_lo, exec_lo, s13
.LBB337_1222:                           ;   in Loop: Header=BB337_803 Depth=1
	s_delay_alu instid0(SALU_CYCLE_1)
	s_or_b32 exec_lo, exec_lo, s12
.LBB337_1223:                           ;   in Loop: Header=BB337_803 Depth=1
	s_delay_alu instid0(SALU_CYCLE_1) | instskip(NEXT) | instid1(SALU_CYCLE_1)
	s_or_b32 exec_lo, exec_lo, s10
	s_mov_b32 s10, exec_lo
	v_cmpx_lt_u32_e32 0xffffff, v11
	s_cbranch_execz .LBB337_1231
; %bb.1224:                             ;   in Loop: Header=BB337_803 Depth=1
	v_lshrrev_b32_e32 v102, 24, v11
	v_bfrev_b32_e32 v101, 1
	s_mov_b32 s12, exec_lo
	s_delay_alu instid0(VALU_DEP_2)
	v_cmpx_ne_u32_e32 0x80, v102
	s_cbranch_execz .LBB337_1230
; %bb.1225:                             ;   in Loop: Header=BB337_803 Depth=1
	v_and_b32_e32 v13, 0x7f, v102
	v_mov_b32_e32 v101, 0x7fc02000
	s_mov_b32 s13, exec_lo
	s_delay_alu instid0(VALU_DEP_2)
	v_cmpx_ne_u32_e32 0x7f, v13
	s_cbranch_execz .LBB337_1229
; %bb.1226:                             ;   in Loop: Header=BB337_803 Depth=1
	v_and_b32_e32 v0, 7, v102
	v_lshrrev_b32_e32 v101, 3, v13
	v_cmp_gt_u32_e64 s0, 8, v13
	s_delay_alu instid0(VALU_DEP_3) | instskip(NEXT) | instid1(VALU_DEP_2)
	v_dual_mov_b32 v14, v1 :: v_dual_mov_b32 v13, v0
	s_and_saveexec_b32 s15, s0
; %bb.1227:                             ;   in Loop: Header=BB337_803 Depth=1
	v_clz_i32_u32_e32 v13, v0
	s_delay_alu instid0(VALU_DEP_1) | instskip(NEXT) | instid1(VALU_DEP_1)
	v_min_u32_e32 v101, 32, v13
	v_subrev_nc_u32_e32 v13, 28, v101
	v_sub_nc_u32_e32 v101, 29, v101
	s_delay_alu instid0(VALU_DEP_2) | instskip(NEXT) | instid1(VALU_DEP_1)
	v_lshlrev_b64 v[13:14], v13, v[0:1]
	v_and_b32_e32 v13, 7, v13
; %bb.1228:                             ;   in Loop: Header=BB337_803 Depth=1
	s_or_b32 exec_lo, exec_lo, s15
	v_lshlrev_b32_e32 v0, 8, v102
	v_lshl_add_u32 v14, v101, 10, 0x2000
	s_delay_alu instid0(VALU_DEP_1) | instskip(NEXT) | instid1(VALU_DEP_1)
	v_and_or_b32 v0, 0x8000, v0, v14
	v_lshl_or_b32 v0, v13, 7, v0
	s_delay_alu instid0(VALU_DEP_1)
	v_cvt_f32_f16_e32 v101, v0
.LBB337_1229:                           ;   in Loop: Header=BB337_803 Depth=1
	s_or_b32 exec_lo, exec_lo, s13
.LBB337_1230:                           ;   in Loop: Header=BB337_803 Depth=1
	s_delay_alu instid0(SALU_CYCLE_1)
	s_or_b32 exec_lo, exec_lo, s12
.LBB337_1231:                           ;   in Loop: Header=BB337_803 Depth=1
	s_delay_alu instid0(SALU_CYCLE_1) | instskip(SKIP_3) | instid1(VALU_DEP_2)
	s_or_b32 exec_lo, exec_lo, s10
	v_dual_mov_b32 v0, v12 :: v_dual_and_b32 v13, 0xff, v12
	v_dual_mov_b32 v103, 0 :: v_dual_mov_b32 v102, 0
	s_mov_b32 s10, exec_lo
	v_cmpx_ne_u16_e32 0, v13
	s_cbranch_execz .LBB337_1239
; %bb.1232:                             ;   in Loop: Header=BB337_803 Depth=1
	v_bfrev_b32_e32 v102, 1
	s_mov_b32 s12, exec_lo
	v_cmpx_ne_u16_e32 0x80, v13
	s_cbranch_execz .LBB337_1238
; %bb.1233:                             ;   in Loop: Header=BB337_803 Depth=1
	v_and_b32_e32 v13, 0x7f, v12
	v_mov_b32_e32 v102, 0x7fc02000
	s_mov_b32 s13, exec_lo
	s_delay_alu instid0(VALU_DEP_2)
	v_cmpx_ne_u32_e32 0x7f, v13
	s_cbranch_execz .LBB337_1237
; %bb.1234:                             ;   in Loop: Header=BB337_803 Depth=1
	v_lshrrev_b32_e32 v102, 3, v13
	v_cmp_gt_u32_e64 s0, 8, v13
	v_dual_mov_b32 v14, v1 :: v_dual_mov_b32 v13, v0
	s_delay_alu instid0(VALU_DEP_2)
	s_and_saveexec_b32 s15, s0
; %bb.1235:                             ;   in Loop: Header=BB337_803 Depth=1
	v_and_b32_e32 v13, 7, v12
	s_delay_alu instid0(VALU_DEP_1) | instskip(NEXT) | instid1(VALU_DEP_1)
	v_clz_i32_u32_e32 v13, v13
	v_min_u32_e32 v102, 32, v13
	s_delay_alu instid0(VALU_DEP_1) | instskip(SKIP_1) | instid1(VALU_DEP_2)
	v_subrev_nc_u32_e32 v13, 28, v102
	v_sub_nc_u32_e32 v102, 29, v102
	v_lshlrev_b64 v[13:14], v13, v[0:1]
; %bb.1236:                             ;   in Loop: Header=BB337_803 Depth=1
	s_or_b32 exec_lo, exec_lo, s15
	v_lshlrev_b32_e32 v14, 8, v12
	s_delay_alu instid0(VALU_DEP_3) | instskip(NEXT) | instid1(VALU_DEP_3)
	v_lshl_add_u32 v102, v102, 10, 0x2000
	v_lshlrev_b32_e32 v13, 7, v13
	s_delay_alu instid0(VALU_DEP_2) | instskip(NEXT) | instid1(VALU_DEP_1)
	v_and_or_b32 v14, 0x8000, v14, v102
	v_and_or_b32 v13, 0x380, v13, v14
	s_delay_alu instid0(VALU_DEP_1)
	v_cvt_f32_f16_e32 v102, v13
.LBB337_1237:                           ;   in Loop: Header=BB337_803 Depth=1
	s_or_b32 exec_lo, exec_lo, s13
.LBB337_1238:                           ;   in Loop: Header=BB337_803 Depth=1
	s_delay_alu instid0(SALU_CYCLE_1)
	s_or_b32 exec_lo, exec_lo, s12
.LBB337_1239:                           ;   in Loop: Header=BB337_803 Depth=1
	s_delay_alu instid0(SALU_CYCLE_1) | instskip(SKIP_2) | instid1(VALU_DEP_1)
	s_or_b32 exec_lo, exec_lo, s10
	v_lshrrev_b16 v0, 8, v0
	s_mov_b32 s10, exec_lo
	v_cmpx_ne_u16_e32 0, v0
	s_cbranch_execz .LBB337_1247
; %bb.1240:                             ;   in Loop: Header=BB337_803 Depth=1
	v_bfrev_b32_e32 v103, 1
	s_mov_b32 s12, exec_lo
	v_cmpx_ne_u16_e32 0x80, v0
	s_cbranch_execz .LBB337_1246
; %bb.1241:                             ;   in Loop: Header=BB337_803 Depth=1
	v_and_b32_e32 v112, 0xffff, v0
	v_mov_b32_e32 v103, 0x7fc02000
	s_mov_b32 s13, exec_lo
	s_delay_alu instid0(VALU_DEP_2) | instskip(NEXT) | instid1(VALU_DEP_1)
	v_and_b32_e32 v13, 0x7f, v112
	v_cmpx_ne_u32_e32 0x7f, v13
	s_cbranch_execz .LBB337_1245
; %bb.1242:                             ;   in Loop: Header=BB337_803 Depth=1
	v_and_b32_e32 v0, 7, v112
	v_lshrrev_b32_e32 v103, 3, v13
	v_cmp_gt_u32_e64 s0, 8, v13
	s_delay_alu instid0(VALU_DEP_3) | instskip(NEXT) | instid1(VALU_DEP_2)
	v_dual_mov_b32 v14, v1 :: v_dual_mov_b32 v13, v0
	s_and_saveexec_b32 s15, s0
; %bb.1243:                             ;   in Loop: Header=BB337_803 Depth=1
	v_clz_i32_u32_e32 v13, v0
	s_delay_alu instid0(VALU_DEP_1) | instskip(NEXT) | instid1(VALU_DEP_1)
	v_min_u32_e32 v103, 32, v13
	v_subrev_nc_u32_e32 v13, 28, v103
	v_sub_nc_u32_e32 v103, 29, v103
	s_delay_alu instid0(VALU_DEP_2) | instskip(NEXT) | instid1(VALU_DEP_1)
	v_lshlrev_b64 v[13:14], v13, v[0:1]
	v_and_b32_e32 v13, 7, v13
; %bb.1244:                             ;   in Loop: Header=BB337_803 Depth=1
	s_or_b32 exec_lo, exec_lo, s15
	v_lshlrev_b32_e32 v0, 8, v112
	v_lshl_add_u32 v14, v103, 10, 0x2000
	s_delay_alu instid0(VALU_DEP_1) | instskip(NEXT) | instid1(VALU_DEP_1)
	v_and_or_b32 v0, 0x8000, v0, v14
	v_lshl_or_b32 v0, v13, 7, v0
	s_delay_alu instid0(VALU_DEP_1)
	v_cvt_f32_f16_e32 v103, v0
.LBB337_1245:                           ;   in Loop: Header=BB337_803 Depth=1
	s_or_b32 exec_lo, exec_lo, s13
.LBB337_1246:                           ;   in Loop: Header=BB337_803 Depth=1
	s_delay_alu instid0(SALU_CYCLE_1)
	s_or_b32 exec_lo, exec_lo, s12
.LBB337_1247:                           ;   in Loop: Header=BB337_803 Depth=1
	s_delay_alu instid0(SALU_CYCLE_1) | instskip(SKIP_3) | instid1(VALU_DEP_2)
	s_or_b32 exec_lo, exec_lo, s10
	v_lshrrev_b32_e32 v113, 16, v12
	v_mov_b32_e32 v112, 0
	s_mov_b32 s10, exec_lo
	v_dual_mov_b32 v13, 0 :: v_dual_and_b32 v0, 0xff, v113
	s_delay_alu instid0(VALU_DEP_1)
	v_cmpx_ne_u16_e32 0, v0
	s_cbranch_execz .LBB337_1255
; %bb.1248:                             ;   in Loop: Header=BB337_803 Depth=1
	v_bfrev_b32_e32 v13, 1
	s_mov_b32 s12, exec_lo
	v_cmpx_ne_u16_e32 0x80, v0
	s_cbranch_execz .LBB337_1254
; %bb.1249:                             ;   in Loop: Header=BB337_803 Depth=1
	v_bfe_u32 v14, v12, 16, 7
	v_mov_b32_e32 v13, 0x7fc02000
	s_mov_b32 s13, exec_lo
	s_delay_alu instid0(VALU_DEP_2)
	v_cmpx_ne_u32_e32 0x7f, v14
	s_cbranch_execz .LBB337_1253
; %bb.1250:                             ;   in Loop: Header=BB337_803 Depth=1
	v_and_b32_e32 v0, 7, v113
	v_lshrrev_b32_e32 v114, 3, v14
	v_cmp_gt_u32_e64 s0, 8, v14
	s_delay_alu instid0(VALU_DEP_3) | instskip(NEXT) | instid1(VALU_DEP_2)
	v_dual_mov_b32 v14, v1 :: v_dual_mov_b32 v13, v0
	s_and_saveexec_b32 s15, s0
; %bb.1251:                             ;   in Loop: Header=BB337_803 Depth=1
	v_clz_i32_u32_e32 v13, v0
	s_delay_alu instid0(VALU_DEP_1) | instskip(NEXT) | instid1(VALU_DEP_1)
	v_min_u32_e32 v114, 32, v13
	v_subrev_nc_u32_e32 v13, 28, v114
	v_sub_nc_u32_e32 v114, 29, v114
	s_delay_alu instid0(VALU_DEP_2) | instskip(NEXT) | instid1(VALU_DEP_1)
	v_lshlrev_b64 v[13:14], v13, v[0:1]
	v_and_b32_e32 v13, 7, v13
; %bb.1252:                             ;   in Loop: Header=BB337_803 Depth=1
	s_or_b32 exec_lo, exec_lo, s15
	v_lshlrev_b32_e32 v0, 8, v113
	v_lshl_add_u32 v14, v114, 10, 0x2000
	s_delay_alu instid0(VALU_DEP_1) | instskip(NEXT) | instid1(VALU_DEP_1)
	v_and_or_b32 v0, 0x8000, v0, v14
	v_lshl_or_b32 v0, v13, 7, v0
	s_delay_alu instid0(VALU_DEP_1)
	v_cvt_f32_f16_e32 v13, v0
.LBB337_1253:                           ;   in Loop: Header=BB337_803 Depth=1
	s_or_b32 exec_lo, exec_lo, s13
.LBB337_1254:                           ;   in Loop: Header=BB337_803 Depth=1
	s_delay_alu instid0(SALU_CYCLE_1)
	s_or_b32 exec_lo, exec_lo, s12
.LBB337_1255:                           ;   in Loop: Header=BB337_803 Depth=1
	s_delay_alu instid0(SALU_CYCLE_1) | instskip(NEXT) | instid1(SALU_CYCLE_1)
	s_or_b32 exec_lo, exec_lo, s10
	s_mov_b32 s10, exec_lo
	v_cmpx_lt_u64_e64 s[8:9], v[11:12]
	s_cbranch_execz .LBB337_1263
; %bb.1256:                             ;   in Loop: Header=BB337_803 Depth=1
	v_lshrrev_b32_e32 v14, 24, v12
	v_bfrev_b32_e32 v112, 1
	s_mov_b32 s12, exec_lo
	s_delay_alu instid0(VALU_DEP_2)
	v_cmpx_ne_u32_e32 0x80, v14
	s_cbranch_execz .LBB337_1262
; %bb.1257:                             ;   in Loop: Header=BB337_803 Depth=1
	v_and_b32_e32 v11, 0x7f, v14
	v_mov_b32_e32 v112, 0x7fc02000
	s_mov_b32 s13, exec_lo
	s_delay_alu instid0(VALU_DEP_2)
	v_cmpx_ne_u32_e32 0x7f, v11
	s_cbranch_execz .LBB337_1261
; %bb.1258:                             ;   in Loop: Header=BB337_803 Depth=1
	v_and_b32_e32 v0, 7, v14
	v_lshrrev_b32_e32 v112, 3, v11
	v_cmp_gt_u32_e64 s0, 8, v11
	s_delay_alu instid0(VALU_DEP_3) | instskip(NEXT) | instid1(VALU_DEP_2)
	v_dual_mov_b32 v12, v1 :: v_dual_mov_b32 v11, v0
	s_and_saveexec_b32 s15, s0
; %bb.1259:                             ;   in Loop: Header=BB337_803 Depth=1
	v_clz_i32_u32_e32 v11, v0
	s_delay_alu instid0(VALU_DEP_1) | instskip(NEXT) | instid1(VALU_DEP_1)
	v_min_u32_e32 v112, 32, v11
	v_subrev_nc_u32_e32 v11, 28, v112
	v_sub_nc_u32_e32 v112, 29, v112
	s_delay_alu instid0(VALU_DEP_2) | instskip(NEXT) | instid1(VALU_DEP_1)
	v_lshlrev_b64 v[11:12], v11, v[0:1]
	v_and_b32_e32 v11, 7, v11
; %bb.1260:                             ;   in Loop: Header=BB337_803 Depth=1
	s_or_b32 exec_lo, exec_lo, s15
	v_lshlrev_b32_e32 v0, 8, v14
	v_lshl_add_u32 v12, v112, 10, 0x2000
	s_delay_alu instid0(VALU_DEP_1) | instskip(NEXT) | instid1(VALU_DEP_1)
	v_and_or_b32 v0, 0x8000, v0, v12
	v_lshl_or_b32 v0, v11, 7, v0
	s_delay_alu instid0(VALU_DEP_1)
	v_cvt_f32_f16_e32 v112, v0
.LBB337_1261:                           ;   in Loop: Header=BB337_803 Depth=1
	s_or_b32 exec_lo, exec_lo, s13
.LBB337_1262:                           ;   in Loop: Header=BB337_803 Depth=1
	s_delay_alu instid0(SALU_CYCLE_1)
	s_or_b32 exec_lo, exec_lo, s12
.LBB337_1263:                           ;   in Loop: Header=BB337_803 Depth=1
	s_delay_alu instid0(SALU_CYCLE_1)
	s_or_b32 exec_lo, exec_lo, s10
	s_waitcnt vmcnt(0) lgkmcnt(0)
	v_fma_mixlo_f16 v12, v97, v99, 0
	v_fma_mixlo_f16 v0, v97, v101, 0
	;; [unrolled: 1-line block ×5, first 2 shown]
	v_lshlrev_b32_e32 v14, 16, v12
	v_fma_mixlo_f16 v100, v97, v102, 0
	v_fma_mixlo_f16 v101, v97, v112, 0
	;; [unrolled: 1-line block ×3, first 2 shown]
	v_lshlrev_b32_e32 v0, 16, v0
	v_and_b32_e32 v11, 0xffff, v11
	v_and_b32_e32 v97, 0xffff, v98
	v_lshlrev_b32_e32 v98, 16, v99
	v_and_b32_e32 v99, 0xffff, v100
	v_lshlrev_b32_e32 v100, 16, v101
	v_and_b32_e32 v101, 0xffff, v12
	v_or_b32_e32 v13, v0, v11
	v_or_b32_e32 v14, v14, v97
	;; [unrolled: 1-line block ×3, first 2 shown]
	s_delay_alu instid0(VALU_DEP_4)
	v_or_b32_e32 v11, v100, v101
	s_and_saveexec_b32 s10, vcc_lo
	s_cbranch_execz .LBB337_1265
; %bb.1264:                             ;   in Loop: Header=BB337_803 Depth=1
	v_cmp_lt_i32_e64 s0, v15, v35
	v_lshrrev_b32_e32 v97, 16, v14
	v_lshrrev_b32_e32 v98, 16, v13
	;; [unrolled: 1-line block ×4, first 2 shown]
	v_cndmask_b32_e64 v14, 0, v14, s0
	v_cmp_lt_i32_e64 s0, v64, v39
	s_delay_alu instid0(VALU_DEP_1) | instskip(SKIP_1) | instid1(VALU_DEP_2)
	v_cndmask_b32_e64 v97, 0, v97, s0
	v_cmp_lt_i32_e64 s0, v55, v39
	v_perm_b32 v14, v97, v14, 0x5040100
	s_delay_alu instid0(VALU_DEP_2) | instskip(SKIP_1) | instid1(VALU_DEP_1)
	v_cndmask_b32_e64 v98, 0, v98, s0
	v_cmp_lt_i32_e64 s0, v54, v35
	v_cndmask_b32_e64 v13, 0, v13, s0
	v_cmp_lt_i32_e64 s0, v53, v39
	s_delay_alu instid0(VALU_DEP_2) | instskip(NEXT) | instid1(VALU_DEP_2)
	v_perm_b32 v13, v98, v13, 0x5040100
	v_cndmask_b32_e64 v99, 0, v99, s0
	v_cmp_lt_i32_e64 s0, v48, v35
	s_delay_alu instid0(VALU_DEP_1) | instskip(SKIP_1) | instid1(VALU_DEP_2)
	v_cndmask_b32_e64 v0, 0, v0, s0
	v_cmp_lt_i32_e64 s0, v23, v39
	v_perm_b32 v0, v99, v0, 0x5040100
	s_delay_alu instid0(VALU_DEP_2) | instskip(SKIP_1) | instid1(VALU_DEP_1)
	v_cndmask_b32_e64 v11, 0, v11, s0
	v_cmp_lt_i32_e64 s0, v17, v35
	v_cndmask_b32_e64 v12, 0, v12, s0
	s_delay_alu instid0(VALU_DEP_1)
	v_perm_b32 v11, v11, v12, 0x5040100
.LBB337_1265:                           ;   in Loop: Header=BB337_803 Depth=1
	s_or_b32 exec_lo, exec_lo, s10
	;;#ASMSTART
	v_pk_mul_f16 v12, v70, v14;

	;;#ASMEND
	;;#ASMSTART
	v_pk_mul_f16 v13, v68, v13;

	;;#ASMEND
	;; [unrolled: 4-line block ×4, first 2 shown]
	;;#ASMSTART
	v_pk_add_f16 v12, v12, v13;

	;;#ASMEND
	;;#ASMSTART
	v_pk_add_f16 v0, v12, v0;

	;;#ASMEND
	;; [unrolled: 4-line block ×3, first 2 shown]
	v_dual_mov_b32 v100, 0 :: v_dual_and_b32 v11, 0xffff, v0
	v_lshrrev_b32_e32 v0, 16, v0
	;;#ASMSTART
	v_cvt_f32_f16 v97, v11;
	;;#ASMEND
	;;#ASMSTART
	v_cvt_f32_f16 v98, v0;
	;;#ASMEND
	flat_load_b64 v[11:12], v[9:10] offset:1792
	flat_load_b32 v99, v[26:27]
	s_mov_b32 s10, exec_lo
	s_waitcnt vmcnt(1) lgkmcnt(1)
	v_dual_mov_b32 v101, 0 :: v_dual_and_b32 v0, 0xff, v11
	s_delay_alu instid0(VALU_DEP_1)
	v_cmpx_ne_u16_e32 0, v0
	s_cbranch_execz .LBB337_1273
; %bb.1266:                             ;   in Loop: Header=BB337_803 Depth=1
	v_bfrev_b32_e32 v100, 1
	s_mov_b32 s12, exec_lo
	v_cmpx_ne_u16_e32 0x80, v0
	s_cbranch_execz .LBB337_1272
; %bb.1267:                             ;   in Loop: Header=BB337_803 Depth=1
	v_and_b32_e32 v13, 0x7f, v11
	v_mov_b32_e32 v100, 0x7fc02000
	s_mov_b32 s13, exec_lo
	s_delay_alu instid0(VALU_DEP_2)
	v_cmpx_ne_u32_e32 0x7f, v13
	s_cbranch_execz .LBB337_1271
; %bb.1268:                             ;   in Loop: Header=BB337_803 Depth=1
	v_lshrrev_b32_e32 v0, 3, v13
	v_cmp_gt_u32_e64 s0, 8, v13
	v_dual_mov_b32 v14, v12 :: v_dual_mov_b32 v13, v11
	s_delay_alu instid0(VALU_DEP_2)
	s_and_saveexec_b32 s15, s0
; %bb.1269:                             ;   in Loop: Header=BB337_803 Depth=1
	v_and_b32_e32 v0, 7, v11
	s_delay_alu instid0(VALU_DEP_1) | instskip(NEXT) | instid1(VALU_DEP_1)
	v_clz_i32_u32_e32 v0, v0
	v_min_u32_e32 v0, 32, v0
	s_delay_alu instid0(VALU_DEP_1) | instskip(SKIP_1) | instid1(VALU_DEP_2)
	v_subrev_nc_u32_e32 v13, 28, v0
	v_sub_nc_u32_e32 v0, 29, v0
	v_lshlrev_b64 v[13:14], v13, v[11:12]
; %bb.1270:                             ;   in Loop: Header=BB337_803 Depth=1
	s_or_b32 exec_lo, exec_lo, s15
	v_lshlrev_b32_e32 v14, 8, v11
	s_delay_alu instid0(VALU_DEP_3) | instskip(NEXT) | instid1(VALU_DEP_3)
	v_lshl_add_u32 v0, v0, 10, 0x2000
	v_lshlrev_b32_e32 v13, 7, v13
	s_delay_alu instid0(VALU_DEP_2) | instskip(NEXT) | instid1(VALU_DEP_1)
	v_and_or_b32 v0, 0x8000, v14, v0
	v_and_or_b32 v0, 0x380, v13, v0
	s_delay_alu instid0(VALU_DEP_1)
	v_cvt_f32_f16_e32 v100, v0
.LBB337_1271:                           ;   in Loop: Header=BB337_803 Depth=1
	s_or_b32 exec_lo, exec_lo, s13
.LBB337_1272:                           ;   in Loop: Header=BB337_803 Depth=1
	s_delay_alu instid0(SALU_CYCLE_1)
	s_or_b32 exec_lo, exec_lo, s12
.LBB337_1273:                           ;   in Loop: Header=BB337_803 Depth=1
	s_delay_alu instid0(SALU_CYCLE_1) | instskip(SKIP_2) | instid1(VALU_DEP_1)
	s_or_b32 exec_lo, exec_lo, s10
	v_lshrrev_b16 v0, 8, v11
	s_mov_b32 s10, exec_lo
	v_cmpx_ne_u16_e32 0, v0
	s_cbranch_execz .LBB337_1281
; %bb.1274:                             ;   in Loop: Header=BB337_803 Depth=1
	v_bfrev_b32_e32 v101, 1
	s_mov_b32 s12, exec_lo
	v_cmpx_ne_u16_e32 0x80, v0
	s_cbranch_execz .LBB337_1280
; %bb.1275:                             ;   in Loop: Header=BB337_803 Depth=1
	v_and_b32_e32 v102, 0xffff, v0
	v_mov_b32_e32 v101, 0x7fc02000
	s_mov_b32 s13, exec_lo
	s_delay_alu instid0(VALU_DEP_2) | instskip(NEXT) | instid1(VALU_DEP_1)
	v_and_b32_e32 v13, 0x7f, v102
	v_cmpx_ne_u32_e32 0x7f, v13
	s_cbranch_execz .LBB337_1279
; %bb.1276:                             ;   in Loop: Header=BB337_803 Depth=1
	v_and_b32_e32 v0, 7, v102
	v_lshrrev_b32_e32 v101, 3, v13
	v_cmp_gt_u32_e64 s0, 8, v13
	s_delay_alu instid0(VALU_DEP_3) | instskip(NEXT) | instid1(VALU_DEP_2)
	v_dual_mov_b32 v14, v1 :: v_dual_mov_b32 v13, v0
	s_and_saveexec_b32 s15, s0
; %bb.1277:                             ;   in Loop: Header=BB337_803 Depth=1
	v_clz_i32_u32_e32 v13, v0
	s_delay_alu instid0(VALU_DEP_1) | instskip(NEXT) | instid1(VALU_DEP_1)
	v_min_u32_e32 v101, 32, v13
	v_subrev_nc_u32_e32 v13, 28, v101
	v_sub_nc_u32_e32 v101, 29, v101
	s_delay_alu instid0(VALU_DEP_2) | instskip(NEXT) | instid1(VALU_DEP_1)
	v_lshlrev_b64 v[13:14], v13, v[0:1]
	v_and_b32_e32 v13, 7, v13
; %bb.1278:                             ;   in Loop: Header=BB337_803 Depth=1
	s_or_b32 exec_lo, exec_lo, s15
	v_lshlrev_b32_e32 v0, 8, v102
	v_lshl_add_u32 v14, v101, 10, 0x2000
	s_delay_alu instid0(VALU_DEP_1) | instskip(NEXT) | instid1(VALU_DEP_1)
	v_and_or_b32 v0, 0x8000, v0, v14
	v_lshl_or_b32 v0, v13, 7, v0
	s_delay_alu instid0(VALU_DEP_1)
	v_cvt_f32_f16_e32 v101, v0
.LBB337_1279:                           ;   in Loop: Header=BB337_803 Depth=1
	s_or_b32 exec_lo, exec_lo, s13
.LBB337_1280:                           ;   in Loop: Header=BB337_803 Depth=1
	s_delay_alu instid0(SALU_CYCLE_1)
	s_or_b32 exec_lo, exec_lo, s12
.LBB337_1281:                           ;   in Loop: Header=BB337_803 Depth=1
	s_delay_alu instid0(SALU_CYCLE_1) | instskip(SKIP_3) | instid1(VALU_DEP_2)
	s_or_b32 exec_lo, exec_lo, s10
	v_lshrrev_b32_e32 v112, 16, v11
	v_mov_b32_e32 v102, 0
	s_mov_b32 s10, exec_lo
	v_dual_mov_b32 v103, 0 :: v_dual_and_b32 v0, 0xff, v112
	s_delay_alu instid0(VALU_DEP_1)
	v_cmpx_ne_u16_e32 0, v0
	s_cbranch_execz .LBB337_1289
; %bb.1282:                             ;   in Loop: Header=BB337_803 Depth=1
	v_bfrev_b32_e32 v102, 1
	s_mov_b32 s12, exec_lo
	v_cmpx_ne_u16_e32 0x80, v0
	s_cbranch_execz .LBB337_1288
; %bb.1283:                             ;   in Loop: Header=BB337_803 Depth=1
	v_bfe_u32 v13, v11, 16, 7
	v_mov_b32_e32 v102, 0x7fc02000
	s_mov_b32 s13, exec_lo
	s_delay_alu instid0(VALU_DEP_2)
	v_cmpx_ne_u32_e32 0x7f, v13
	s_cbranch_execz .LBB337_1287
; %bb.1284:                             ;   in Loop: Header=BB337_803 Depth=1
	v_and_b32_e32 v0, 7, v112
	v_lshrrev_b32_e32 v102, 3, v13
	v_cmp_gt_u32_e64 s0, 8, v13
	s_delay_alu instid0(VALU_DEP_3) | instskip(NEXT) | instid1(VALU_DEP_2)
	v_dual_mov_b32 v14, v1 :: v_dual_mov_b32 v13, v0
	s_and_saveexec_b32 s15, s0
; %bb.1285:                             ;   in Loop: Header=BB337_803 Depth=1
	v_clz_i32_u32_e32 v13, v0
	s_delay_alu instid0(VALU_DEP_1) | instskip(NEXT) | instid1(VALU_DEP_1)
	v_min_u32_e32 v102, 32, v13
	v_subrev_nc_u32_e32 v13, 28, v102
	v_sub_nc_u32_e32 v102, 29, v102
	s_delay_alu instid0(VALU_DEP_2) | instskip(NEXT) | instid1(VALU_DEP_1)
	v_lshlrev_b64 v[13:14], v13, v[0:1]
	v_and_b32_e32 v13, 7, v13
; %bb.1286:                             ;   in Loop: Header=BB337_803 Depth=1
	s_or_b32 exec_lo, exec_lo, s15
	v_lshlrev_b32_e32 v0, 8, v112
	v_lshl_add_u32 v14, v102, 10, 0x2000
	s_delay_alu instid0(VALU_DEP_1) | instskip(NEXT) | instid1(VALU_DEP_1)
	v_and_or_b32 v0, 0x8000, v0, v14
	v_lshl_or_b32 v0, v13, 7, v0
	s_delay_alu instid0(VALU_DEP_1)
	v_cvt_f32_f16_e32 v102, v0
.LBB337_1287:                           ;   in Loop: Header=BB337_803 Depth=1
	s_or_b32 exec_lo, exec_lo, s13
.LBB337_1288:                           ;   in Loop: Header=BB337_803 Depth=1
	s_delay_alu instid0(SALU_CYCLE_1)
	s_or_b32 exec_lo, exec_lo, s12
.LBB337_1289:                           ;   in Loop: Header=BB337_803 Depth=1
	s_delay_alu instid0(SALU_CYCLE_1) | instskip(NEXT) | instid1(SALU_CYCLE_1)
	s_or_b32 exec_lo, exec_lo, s10
	s_mov_b32 s10, exec_lo
	v_cmpx_lt_u32_e32 0xffffff, v11
	s_cbranch_execz .LBB337_1297
; %bb.1290:                             ;   in Loop: Header=BB337_803 Depth=1
	v_lshrrev_b32_e32 v112, 24, v11
	v_bfrev_b32_e32 v103, 1
	s_mov_b32 s12, exec_lo
	s_delay_alu instid0(VALU_DEP_2)
	v_cmpx_ne_u32_e32 0x80, v112
	s_cbranch_execz .LBB337_1296
; %bb.1291:                             ;   in Loop: Header=BB337_803 Depth=1
	v_and_b32_e32 v13, 0x7f, v112
	v_mov_b32_e32 v103, 0x7fc02000
	s_mov_b32 s13, exec_lo
	s_delay_alu instid0(VALU_DEP_2)
	v_cmpx_ne_u32_e32 0x7f, v13
	s_cbranch_execz .LBB337_1295
; %bb.1292:                             ;   in Loop: Header=BB337_803 Depth=1
	v_and_b32_e32 v0, 7, v112
	v_lshrrev_b32_e32 v103, 3, v13
	v_cmp_gt_u32_e64 s0, 8, v13
	s_delay_alu instid0(VALU_DEP_3) | instskip(NEXT) | instid1(VALU_DEP_2)
	v_dual_mov_b32 v14, v1 :: v_dual_mov_b32 v13, v0
	s_and_saveexec_b32 s15, s0
; %bb.1293:                             ;   in Loop: Header=BB337_803 Depth=1
	v_clz_i32_u32_e32 v13, v0
	s_delay_alu instid0(VALU_DEP_1) | instskip(NEXT) | instid1(VALU_DEP_1)
	v_min_u32_e32 v103, 32, v13
	v_subrev_nc_u32_e32 v13, 28, v103
	v_sub_nc_u32_e32 v103, 29, v103
	s_delay_alu instid0(VALU_DEP_2) | instskip(NEXT) | instid1(VALU_DEP_1)
	v_lshlrev_b64 v[13:14], v13, v[0:1]
	v_and_b32_e32 v13, 7, v13
; %bb.1294:                             ;   in Loop: Header=BB337_803 Depth=1
	s_or_b32 exec_lo, exec_lo, s15
	v_lshlrev_b32_e32 v0, 8, v112
	v_lshl_add_u32 v14, v103, 10, 0x2000
	s_delay_alu instid0(VALU_DEP_1) | instskip(NEXT) | instid1(VALU_DEP_1)
	v_and_or_b32 v0, 0x8000, v0, v14
	v_lshl_or_b32 v0, v13, 7, v0
	s_delay_alu instid0(VALU_DEP_1)
	v_cvt_f32_f16_e32 v103, v0
.LBB337_1295:                           ;   in Loop: Header=BB337_803 Depth=1
	s_or_b32 exec_lo, exec_lo, s13
.LBB337_1296:                           ;   in Loop: Header=BB337_803 Depth=1
	s_delay_alu instid0(SALU_CYCLE_1)
	s_or_b32 exec_lo, exec_lo, s12
.LBB337_1297:                           ;   in Loop: Header=BB337_803 Depth=1
	s_delay_alu instid0(SALU_CYCLE_1) | instskip(SKIP_3) | instid1(VALU_DEP_2)
	s_or_b32 exec_lo, exec_lo, s10
	v_dual_mov_b32 v0, v12 :: v_dual_and_b32 v13, 0xff, v12
	v_dual_mov_b32 v113, 0 :: v_dual_mov_b32 v112, 0
	s_mov_b32 s10, exec_lo
	v_cmpx_ne_u16_e32 0, v13
	s_cbranch_execz .LBB337_1305
; %bb.1298:                             ;   in Loop: Header=BB337_803 Depth=1
	v_bfrev_b32_e32 v112, 1
	s_mov_b32 s12, exec_lo
	v_cmpx_ne_u16_e32 0x80, v13
	s_cbranch_execz .LBB337_1304
; %bb.1299:                             ;   in Loop: Header=BB337_803 Depth=1
	v_and_b32_e32 v13, 0x7f, v12
	v_mov_b32_e32 v112, 0x7fc02000
	s_mov_b32 s13, exec_lo
	s_delay_alu instid0(VALU_DEP_2)
	v_cmpx_ne_u32_e32 0x7f, v13
	s_cbranch_execz .LBB337_1303
; %bb.1300:                             ;   in Loop: Header=BB337_803 Depth=1
	v_lshrrev_b32_e32 v112, 3, v13
	v_cmp_gt_u32_e64 s0, 8, v13
	v_dual_mov_b32 v14, v1 :: v_dual_mov_b32 v13, v0
	s_delay_alu instid0(VALU_DEP_2)
	s_and_saveexec_b32 s15, s0
; %bb.1301:                             ;   in Loop: Header=BB337_803 Depth=1
	v_and_b32_e32 v13, 7, v12
	s_delay_alu instid0(VALU_DEP_1) | instskip(NEXT) | instid1(VALU_DEP_1)
	v_clz_i32_u32_e32 v13, v13
	v_min_u32_e32 v112, 32, v13
	s_delay_alu instid0(VALU_DEP_1) | instskip(SKIP_1) | instid1(VALU_DEP_2)
	v_subrev_nc_u32_e32 v13, 28, v112
	v_sub_nc_u32_e32 v112, 29, v112
	v_lshlrev_b64 v[13:14], v13, v[0:1]
; %bb.1302:                             ;   in Loop: Header=BB337_803 Depth=1
	s_or_b32 exec_lo, exec_lo, s15
	v_lshlrev_b32_e32 v14, 8, v12
	s_delay_alu instid0(VALU_DEP_3) | instskip(NEXT) | instid1(VALU_DEP_3)
	v_lshl_add_u32 v112, v112, 10, 0x2000
	v_lshlrev_b32_e32 v13, 7, v13
	s_delay_alu instid0(VALU_DEP_2) | instskip(NEXT) | instid1(VALU_DEP_1)
	v_and_or_b32 v14, 0x8000, v14, v112
	v_and_or_b32 v13, 0x380, v13, v14
	s_delay_alu instid0(VALU_DEP_1)
	v_cvt_f32_f16_e32 v112, v13
.LBB337_1303:                           ;   in Loop: Header=BB337_803 Depth=1
	s_or_b32 exec_lo, exec_lo, s13
.LBB337_1304:                           ;   in Loop: Header=BB337_803 Depth=1
	s_delay_alu instid0(SALU_CYCLE_1)
	s_or_b32 exec_lo, exec_lo, s12
.LBB337_1305:                           ;   in Loop: Header=BB337_803 Depth=1
	s_delay_alu instid0(SALU_CYCLE_1) | instskip(SKIP_2) | instid1(VALU_DEP_1)
	s_or_b32 exec_lo, exec_lo, s10
	v_lshrrev_b16 v0, 8, v0
	s_mov_b32 s10, exec_lo
	v_cmpx_ne_u16_e32 0, v0
	s_cbranch_execz .LBB337_1313
; %bb.1306:                             ;   in Loop: Header=BB337_803 Depth=1
	v_bfrev_b32_e32 v113, 1
	s_mov_b32 s12, exec_lo
	v_cmpx_ne_u16_e32 0x80, v0
	s_cbranch_execz .LBB337_1312
; %bb.1307:                             ;   in Loop: Header=BB337_803 Depth=1
	v_and_b32_e32 v114, 0xffff, v0
	v_mov_b32_e32 v113, 0x7fc02000
	s_mov_b32 s13, exec_lo
	s_delay_alu instid0(VALU_DEP_2) | instskip(NEXT) | instid1(VALU_DEP_1)
	v_and_b32_e32 v13, 0x7f, v114
	v_cmpx_ne_u32_e32 0x7f, v13
	s_cbranch_execz .LBB337_1311
; %bb.1308:                             ;   in Loop: Header=BB337_803 Depth=1
	v_and_b32_e32 v0, 7, v114
	v_lshrrev_b32_e32 v113, 3, v13
	v_cmp_gt_u32_e64 s0, 8, v13
	s_delay_alu instid0(VALU_DEP_3) | instskip(NEXT) | instid1(VALU_DEP_2)
	v_dual_mov_b32 v14, v1 :: v_dual_mov_b32 v13, v0
	s_and_saveexec_b32 s15, s0
; %bb.1309:                             ;   in Loop: Header=BB337_803 Depth=1
	v_clz_i32_u32_e32 v13, v0
	s_delay_alu instid0(VALU_DEP_1) | instskip(NEXT) | instid1(VALU_DEP_1)
	v_min_u32_e32 v113, 32, v13
	v_subrev_nc_u32_e32 v13, 28, v113
	v_sub_nc_u32_e32 v113, 29, v113
	s_delay_alu instid0(VALU_DEP_2) | instskip(NEXT) | instid1(VALU_DEP_1)
	v_lshlrev_b64 v[13:14], v13, v[0:1]
	v_and_b32_e32 v13, 7, v13
; %bb.1310:                             ;   in Loop: Header=BB337_803 Depth=1
	s_or_b32 exec_lo, exec_lo, s15
	v_lshlrev_b32_e32 v0, 8, v114
	v_lshl_add_u32 v14, v113, 10, 0x2000
	s_delay_alu instid0(VALU_DEP_1) | instskip(NEXT) | instid1(VALU_DEP_1)
	v_and_or_b32 v0, 0x8000, v0, v14
	v_lshl_or_b32 v0, v13, 7, v0
	s_delay_alu instid0(VALU_DEP_1)
	v_cvt_f32_f16_e32 v113, v0
.LBB337_1311:                           ;   in Loop: Header=BB337_803 Depth=1
	s_or_b32 exec_lo, exec_lo, s13
.LBB337_1312:                           ;   in Loop: Header=BB337_803 Depth=1
	s_delay_alu instid0(SALU_CYCLE_1)
	s_or_b32 exec_lo, exec_lo, s12
.LBB337_1313:                           ;   in Loop: Header=BB337_803 Depth=1
	s_delay_alu instid0(SALU_CYCLE_1) | instskip(SKIP_3) | instid1(VALU_DEP_2)
	s_or_b32 exec_lo, exec_lo, s10
	v_lshrrev_b32_e32 v115, 16, v12
	v_mov_b32_e32 v114, 0
	s_mov_b32 s10, exec_lo
	v_dual_mov_b32 v13, 0 :: v_dual_and_b32 v0, 0xff, v115
	s_delay_alu instid0(VALU_DEP_1)
	v_cmpx_ne_u16_e32 0, v0
	s_cbranch_execz .LBB337_1321
; %bb.1314:                             ;   in Loop: Header=BB337_803 Depth=1
	v_bfrev_b32_e32 v13, 1
	s_mov_b32 s12, exec_lo
	v_cmpx_ne_u16_e32 0x80, v0
	s_cbranch_execz .LBB337_1320
; %bb.1315:                             ;   in Loop: Header=BB337_803 Depth=1
	v_bfe_u32 v14, v12, 16, 7
	v_mov_b32_e32 v13, 0x7fc02000
	s_mov_b32 s13, exec_lo
	s_delay_alu instid0(VALU_DEP_2)
	v_cmpx_ne_u32_e32 0x7f, v14
	s_cbranch_execz .LBB337_1319
; %bb.1316:                             ;   in Loop: Header=BB337_803 Depth=1
	v_and_b32_e32 v0, 7, v115
	v_lshrrev_b32_e32 v116, 3, v14
	v_cmp_gt_u32_e64 s0, 8, v14
	s_delay_alu instid0(VALU_DEP_3) | instskip(NEXT) | instid1(VALU_DEP_2)
	v_dual_mov_b32 v14, v1 :: v_dual_mov_b32 v13, v0
	s_and_saveexec_b32 s15, s0
; %bb.1317:                             ;   in Loop: Header=BB337_803 Depth=1
	v_clz_i32_u32_e32 v13, v0
	s_delay_alu instid0(VALU_DEP_1) | instskip(NEXT) | instid1(VALU_DEP_1)
	v_min_u32_e32 v116, 32, v13
	v_subrev_nc_u32_e32 v13, 28, v116
	v_sub_nc_u32_e32 v116, 29, v116
	s_delay_alu instid0(VALU_DEP_2) | instskip(NEXT) | instid1(VALU_DEP_1)
	v_lshlrev_b64 v[13:14], v13, v[0:1]
	v_and_b32_e32 v13, 7, v13
; %bb.1318:                             ;   in Loop: Header=BB337_803 Depth=1
	s_or_b32 exec_lo, exec_lo, s15
	v_lshlrev_b32_e32 v0, 8, v115
	v_lshl_add_u32 v14, v116, 10, 0x2000
	s_delay_alu instid0(VALU_DEP_1) | instskip(NEXT) | instid1(VALU_DEP_1)
	v_and_or_b32 v0, 0x8000, v0, v14
	v_lshl_or_b32 v0, v13, 7, v0
	s_delay_alu instid0(VALU_DEP_1)
	v_cvt_f32_f16_e32 v13, v0
.LBB337_1319:                           ;   in Loop: Header=BB337_803 Depth=1
	s_or_b32 exec_lo, exec_lo, s13
.LBB337_1320:                           ;   in Loop: Header=BB337_803 Depth=1
	s_delay_alu instid0(SALU_CYCLE_1)
	s_or_b32 exec_lo, exec_lo, s12
.LBB337_1321:                           ;   in Loop: Header=BB337_803 Depth=1
	s_delay_alu instid0(SALU_CYCLE_1) | instskip(NEXT) | instid1(SALU_CYCLE_1)
	s_or_b32 exec_lo, exec_lo, s10
	s_mov_b32 s10, exec_lo
	v_cmpx_lt_u64_e64 s[8:9], v[11:12]
	s_cbranch_execz .LBB337_1329
; %bb.1322:                             ;   in Loop: Header=BB337_803 Depth=1
	v_lshrrev_b32_e32 v14, 24, v12
	v_bfrev_b32_e32 v114, 1
	s_mov_b32 s12, exec_lo
	s_delay_alu instid0(VALU_DEP_2)
	v_cmpx_ne_u32_e32 0x80, v14
	s_cbranch_execz .LBB337_1328
; %bb.1323:                             ;   in Loop: Header=BB337_803 Depth=1
	v_and_b32_e32 v11, 0x7f, v14
	v_mov_b32_e32 v114, 0x7fc02000
	s_mov_b32 s13, exec_lo
	s_delay_alu instid0(VALU_DEP_2)
	v_cmpx_ne_u32_e32 0x7f, v11
	s_cbranch_execz .LBB337_1327
; %bb.1324:                             ;   in Loop: Header=BB337_803 Depth=1
	v_and_b32_e32 v0, 7, v14
	v_lshrrev_b32_e32 v114, 3, v11
	v_cmp_gt_u32_e64 s0, 8, v11
	s_delay_alu instid0(VALU_DEP_3) | instskip(NEXT) | instid1(VALU_DEP_2)
	v_dual_mov_b32 v12, v1 :: v_dual_mov_b32 v11, v0
	s_and_saveexec_b32 s15, s0
; %bb.1325:                             ;   in Loop: Header=BB337_803 Depth=1
	v_clz_i32_u32_e32 v11, v0
	s_delay_alu instid0(VALU_DEP_1) | instskip(NEXT) | instid1(VALU_DEP_1)
	v_min_u32_e32 v114, 32, v11
	v_subrev_nc_u32_e32 v11, 28, v114
	v_sub_nc_u32_e32 v114, 29, v114
	s_delay_alu instid0(VALU_DEP_2) | instskip(NEXT) | instid1(VALU_DEP_1)
	v_lshlrev_b64 v[11:12], v11, v[0:1]
	v_and_b32_e32 v11, 7, v11
; %bb.1326:                             ;   in Loop: Header=BB337_803 Depth=1
	s_or_b32 exec_lo, exec_lo, s15
	v_lshlrev_b32_e32 v0, 8, v14
	v_lshl_add_u32 v12, v114, 10, 0x2000
	s_delay_alu instid0(VALU_DEP_1) | instskip(NEXT) | instid1(VALU_DEP_1)
	v_and_or_b32 v0, 0x8000, v0, v12
	v_lshl_or_b32 v0, v11, 7, v0
	s_delay_alu instid0(VALU_DEP_1)
	v_cvt_f32_f16_e32 v114, v0
.LBB337_1327:                           ;   in Loop: Header=BB337_803 Depth=1
	s_or_b32 exec_lo, exec_lo, s13
.LBB337_1328:                           ;   in Loop: Header=BB337_803 Depth=1
	s_delay_alu instid0(SALU_CYCLE_1)
	s_or_b32 exec_lo, exec_lo, s12
.LBB337_1329:                           ;   in Loop: Header=BB337_803 Depth=1
	s_delay_alu instid0(SALU_CYCLE_1)
	s_or_b32 exec_lo, exec_lo, s10
	s_waitcnt vmcnt(0) lgkmcnt(0)
	v_fma_mixlo_f16 v12, v99, v101, 0
	v_fma_mixlo_f16 v0, v99, v103, 0
	;; [unrolled: 1-line block ×5, first 2 shown]
	v_lshlrev_b32_e32 v14, 16, v12
	v_fma_mixlo_f16 v102, v99, v112, 0
	v_fma_mixlo_f16 v103, v99, v114, 0
	;; [unrolled: 1-line block ×3, first 2 shown]
	v_lshlrev_b32_e32 v0, 16, v0
	v_and_b32_e32 v11, 0xffff, v11
	v_and_b32_e32 v99, 0xffff, v100
	v_lshlrev_b32_e32 v100, 16, v101
	v_and_b32_e32 v101, 0xffff, v102
	v_lshlrev_b32_e32 v102, 16, v103
	v_and_b32_e32 v103, 0xffff, v12
	v_or_b32_e32 v13, v0, v11
	v_or_b32_e32 v14, v14, v99
	;; [unrolled: 1-line block ×3, first 2 shown]
	s_delay_alu instid0(VALU_DEP_4)
	v_or_b32_e32 v11, v102, v103
	s_and_saveexec_b32 s10, vcc_lo
	s_cbranch_execz .LBB337_1331
; %bb.1330:                             ;   in Loop: Header=BB337_803 Depth=1
	v_cmp_lt_i32_e64 s0, v15, v35
	v_lshrrev_b32_e32 v99, 16, v14
	v_lshrrev_b32_e32 v100, 16, v13
	;; [unrolled: 1-line block ×4, first 2 shown]
	v_cndmask_b32_e64 v14, 0, v14, s0
	v_cmp_lt_i32_e64 s0, v64, v39
	s_delay_alu instid0(VALU_DEP_1) | instskip(SKIP_1) | instid1(VALU_DEP_2)
	v_cndmask_b32_e64 v99, 0, v99, s0
	v_cmp_lt_i32_e64 s0, v55, v39
	v_perm_b32 v14, v99, v14, 0x5040100
	s_delay_alu instid0(VALU_DEP_2) | instskip(SKIP_1) | instid1(VALU_DEP_1)
	v_cndmask_b32_e64 v100, 0, v100, s0
	v_cmp_lt_i32_e64 s0, v54, v35
	v_cndmask_b32_e64 v13, 0, v13, s0
	v_cmp_lt_i32_e64 s0, v53, v39
	s_delay_alu instid0(VALU_DEP_2) | instskip(NEXT) | instid1(VALU_DEP_2)
	v_perm_b32 v13, v100, v13, 0x5040100
	v_cndmask_b32_e64 v101, 0, v101, s0
	v_cmp_lt_i32_e64 s0, v48, v35
	s_delay_alu instid0(VALU_DEP_1) | instskip(SKIP_1) | instid1(VALU_DEP_2)
	v_cndmask_b32_e64 v0, 0, v0, s0
	v_cmp_lt_i32_e64 s0, v23, v39
	v_perm_b32 v0, v101, v0, 0x5040100
	s_delay_alu instid0(VALU_DEP_2) | instskip(SKIP_1) | instid1(VALU_DEP_1)
	v_cndmask_b32_e64 v11, 0, v11, s0
	v_cmp_lt_i32_e64 s0, v17, v35
	v_cndmask_b32_e64 v12, 0, v12, s0
	s_delay_alu instid0(VALU_DEP_1)
	v_perm_b32 v11, v11, v12, 0x5040100
.LBB337_1331:                           ;   in Loop: Header=BB337_803 Depth=1
	s_or_b32 exec_lo, exec_lo, s10
	;;#ASMSTART
	v_pk_mul_f16 v12, v70, v14;

	;;#ASMEND
	;;#ASMSTART
	v_pk_mul_f16 v13, v68, v13;

	;;#ASMEND
	;; [unrolled: 4-line block ×4, first 2 shown]
	;;#ASMSTART
	v_pk_add_f16 v12, v12, v13;

	;;#ASMEND
	;;#ASMSTART
	v_pk_add_f16 v0, v12, v0;

	;;#ASMEND
	;; [unrolled: 4-line block ×3, first 2 shown]
	v_dual_mov_b32 v102, 0 :: v_dual_and_b32 v11, 0xffff, v0
	v_lshrrev_b32_e32 v0, 16, v0
	;;#ASMSTART
	v_cvt_f32_f16 v99, v11;
	;;#ASMEND
	;;#ASMSTART
	v_cvt_f32_f16 v100, v0;
	;;#ASMEND
	flat_load_b64 v[11:12], v[9:10] offset:2048
	flat_load_b32 v101, v[26:27]
	s_mov_b32 s10, exec_lo
	s_waitcnt vmcnt(1) lgkmcnt(1)
	v_dual_mov_b32 v103, 0 :: v_dual_and_b32 v0, 0xff, v11
	s_delay_alu instid0(VALU_DEP_1)
	v_cmpx_ne_u16_e32 0, v0
	s_cbranch_execz .LBB337_1339
; %bb.1332:                             ;   in Loop: Header=BB337_803 Depth=1
	v_bfrev_b32_e32 v102, 1
	s_mov_b32 s12, exec_lo
	v_cmpx_ne_u16_e32 0x80, v0
	s_cbranch_execz .LBB337_1338
; %bb.1333:                             ;   in Loop: Header=BB337_803 Depth=1
	v_and_b32_e32 v13, 0x7f, v11
	v_mov_b32_e32 v102, 0x7fc02000
	s_mov_b32 s13, exec_lo
	s_delay_alu instid0(VALU_DEP_2)
	v_cmpx_ne_u32_e32 0x7f, v13
	s_cbranch_execz .LBB337_1337
; %bb.1334:                             ;   in Loop: Header=BB337_803 Depth=1
	v_lshrrev_b32_e32 v0, 3, v13
	v_cmp_gt_u32_e64 s0, 8, v13
	v_dual_mov_b32 v14, v12 :: v_dual_mov_b32 v13, v11
	s_delay_alu instid0(VALU_DEP_2)
	s_and_saveexec_b32 s15, s0
; %bb.1335:                             ;   in Loop: Header=BB337_803 Depth=1
	v_and_b32_e32 v0, 7, v11
	s_delay_alu instid0(VALU_DEP_1) | instskip(NEXT) | instid1(VALU_DEP_1)
	v_clz_i32_u32_e32 v0, v0
	v_min_u32_e32 v0, 32, v0
	s_delay_alu instid0(VALU_DEP_1) | instskip(SKIP_1) | instid1(VALU_DEP_2)
	v_subrev_nc_u32_e32 v13, 28, v0
	v_sub_nc_u32_e32 v0, 29, v0
	v_lshlrev_b64 v[13:14], v13, v[11:12]
; %bb.1336:                             ;   in Loop: Header=BB337_803 Depth=1
	s_or_b32 exec_lo, exec_lo, s15
	v_lshlrev_b32_e32 v14, 8, v11
	s_delay_alu instid0(VALU_DEP_3) | instskip(NEXT) | instid1(VALU_DEP_3)
	v_lshl_add_u32 v0, v0, 10, 0x2000
	v_lshlrev_b32_e32 v13, 7, v13
	s_delay_alu instid0(VALU_DEP_2) | instskip(NEXT) | instid1(VALU_DEP_1)
	v_and_or_b32 v0, 0x8000, v14, v0
	v_and_or_b32 v0, 0x380, v13, v0
	s_delay_alu instid0(VALU_DEP_1)
	v_cvt_f32_f16_e32 v102, v0
.LBB337_1337:                           ;   in Loop: Header=BB337_803 Depth=1
	s_or_b32 exec_lo, exec_lo, s13
.LBB337_1338:                           ;   in Loop: Header=BB337_803 Depth=1
	s_delay_alu instid0(SALU_CYCLE_1)
	s_or_b32 exec_lo, exec_lo, s12
.LBB337_1339:                           ;   in Loop: Header=BB337_803 Depth=1
	s_delay_alu instid0(SALU_CYCLE_1) | instskip(SKIP_2) | instid1(VALU_DEP_1)
	s_or_b32 exec_lo, exec_lo, s10
	v_lshrrev_b16 v0, 8, v11
	s_mov_b32 s10, exec_lo
	v_cmpx_ne_u16_e32 0, v0
	s_cbranch_execz .LBB337_1347
; %bb.1340:                             ;   in Loop: Header=BB337_803 Depth=1
	v_bfrev_b32_e32 v103, 1
	s_mov_b32 s12, exec_lo
	v_cmpx_ne_u16_e32 0x80, v0
	s_cbranch_execz .LBB337_1346
; %bb.1341:                             ;   in Loop: Header=BB337_803 Depth=1
	v_and_b32_e32 v112, 0xffff, v0
	v_mov_b32_e32 v103, 0x7fc02000
	s_mov_b32 s13, exec_lo
	s_delay_alu instid0(VALU_DEP_2) | instskip(NEXT) | instid1(VALU_DEP_1)
	v_and_b32_e32 v13, 0x7f, v112
	v_cmpx_ne_u32_e32 0x7f, v13
	s_cbranch_execz .LBB337_1345
; %bb.1342:                             ;   in Loop: Header=BB337_803 Depth=1
	v_and_b32_e32 v0, 7, v112
	v_lshrrev_b32_e32 v103, 3, v13
	v_cmp_gt_u32_e64 s0, 8, v13
	s_delay_alu instid0(VALU_DEP_3) | instskip(NEXT) | instid1(VALU_DEP_2)
	v_dual_mov_b32 v14, v1 :: v_dual_mov_b32 v13, v0
	s_and_saveexec_b32 s15, s0
; %bb.1343:                             ;   in Loop: Header=BB337_803 Depth=1
	v_clz_i32_u32_e32 v13, v0
	s_delay_alu instid0(VALU_DEP_1) | instskip(NEXT) | instid1(VALU_DEP_1)
	v_min_u32_e32 v103, 32, v13
	v_subrev_nc_u32_e32 v13, 28, v103
	v_sub_nc_u32_e32 v103, 29, v103
	s_delay_alu instid0(VALU_DEP_2) | instskip(NEXT) | instid1(VALU_DEP_1)
	v_lshlrev_b64 v[13:14], v13, v[0:1]
	v_and_b32_e32 v13, 7, v13
; %bb.1344:                             ;   in Loop: Header=BB337_803 Depth=1
	s_or_b32 exec_lo, exec_lo, s15
	v_lshlrev_b32_e32 v0, 8, v112
	v_lshl_add_u32 v14, v103, 10, 0x2000
	s_delay_alu instid0(VALU_DEP_1) | instskip(NEXT) | instid1(VALU_DEP_1)
	v_and_or_b32 v0, 0x8000, v0, v14
	v_lshl_or_b32 v0, v13, 7, v0
	s_delay_alu instid0(VALU_DEP_1)
	v_cvt_f32_f16_e32 v103, v0
.LBB337_1345:                           ;   in Loop: Header=BB337_803 Depth=1
	s_or_b32 exec_lo, exec_lo, s13
.LBB337_1346:                           ;   in Loop: Header=BB337_803 Depth=1
	s_delay_alu instid0(SALU_CYCLE_1)
	s_or_b32 exec_lo, exec_lo, s12
.LBB337_1347:                           ;   in Loop: Header=BB337_803 Depth=1
	s_delay_alu instid0(SALU_CYCLE_1) | instskip(SKIP_3) | instid1(VALU_DEP_2)
	s_or_b32 exec_lo, exec_lo, s10
	v_lshrrev_b32_e32 v114, 16, v11
	v_mov_b32_e32 v112, 0
	s_mov_b32 s10, exec_lo
	v_dual_mov_b32 v113, 0 :: v_dual_and_b32 v0, 0xff, v114
	s_delay_alu instid0(VALU_DEP_1)
	v_cmpx_ne_u16_e32 0, v0
	s_cbranch_execz .LBB337_1355
; %bb.1348:                             ;   in Loop: Header=BB337_803 Depth=1
	v_bfrev_b32_e32 v112, 1
	s_mov_b32 s12, exec_lo
	v_cmpx_ne_u16_e32 0x80, v0
	s_cbranch_execz .LBB337_1354
; %bb.1349:                             ;   in Loop: Header=BB337_803 Depth=1
	v_bfe_u32 v13, v11, 16, 7
	v_mov_b32_e32 v112, 0x7fc02000
	s_mov_b32 s13, exec_lo
	s_delay_alu instid0(VALU_DEP_2)
	v_cmpx_ne_u32_e32 0x7f, v13
	s_cbranch_execz .LBB337_1353
; %bb.1350:                             ;   in Loop: Header=BB337_803 Depth=1
	v_and_b32_e32 v0, 7, v114
	v_lshrrev_b32_e32 v112, 3, v13
	v_cmp_gt_u32_e64 s0, 8, v13
	s_delay_alu instid0(VALU_DEP_3) | instskip(NEXT) | instid1(VALU_DEP_2)
	v_dual_mov_b32 v14, v1 :: v_dual_mov_b32 v13, v0
	s_and_saveexec_b32 s15, s0
; %bb.1351:                             ;   in Loop: Header=BB337_803 Depth=1
	v_clz_i32_u32_e32 v13, v0
	s_delay_alu instid0(VALU_DEP_1) | instskip(NEXT) | instid1(VALU_DEP_1)
	v_min_u32_e32 v112, 32, v13
	v_subrev_nc_u32_e32 v13, 28, v112
	v_sub_nc_u32_e32 v112, 29, v112
	s_delay_alu instid0(VALU_DEP_2) | instskip(NEXT) | instid1(VALU_DEP_1)
	v_lshlrev_b64 v[13:14], v13, v[0:1]
	v_and_b32_e32 v13, 7, v13
; %bb.1352:                             ;   in Loop: Header=BB337_803 Depth=1
	s_or_b32 exec_lo, exec_lo, s15
	v_lshlrev_b32_e32 v0, 8, v114
	v_lshl_add_u32 v14, v112, 10, 0x2000
	s_delay_alu instid0(VALU_DEP_1) | instskip(NEXT) | instid1(VALU_DEP_1)
	v_and_or_b32 v0, 0x8000, v0, v14
	v_lshl_or_b32 v0, v13, 7, v0
	s_delay_alu instid0(VALU_DEP_1)
	v_cvt_f32_f16_e32 v112, v0
.LBB337_1353:                           ;   in Loop: Header=BB337_803 Depth=1
	s_or_b32 exec_lo, exec_lo, s13
.LBB337_1354:                           ;   in Loop: Header=BB337_803 Depth=1
	s_delay_alu instid0(SALU_CYCLE_1)
	s_or_b32 exec_lo, exec_lo, s12
.LBB337_1355:                           ;   in Loop: Header=BB337_803 Depth=1
	s_delay_alu instid0(SALU_CYCLE_1) | instskip(NEXT) | instid1(SALU_CYCLE_1)
	s_or_b32 exec_lo, exec_lo, s10
	s_mov_b32 s10, exec_lo
	v_cmpx_lt_u32_e32 0xffffff, v11
	s_cbranch_execz .LBB337_1363
; %bb.1356:                             ;   in Loop: Header=BB337_803 Depth=1
	v_lshrrev_b32_e32 v114, 24, v11
	v_bfrev_b32_e32 v113, 1
	s_mov_b32 s12, exec_lo
	s_delay_alu instid0(VALU_DEP_2)
	v_cmpx_ne_u32_e32 0x80, v114
	s_cbranch_execz .LBB337_1362
; %bb.1357:                             ;   in Loop: Header=BB337_803 Depth=1
	v_and_b32_e32 v13, 0x7f, v114
	v_mov_b32_e32 v113, 0x7fc02000
	s_mov_b32 s13, exec_lo
	s_delay_alu instid0(VALU_DEP_2)
	v_cmpx_ne_u32_e32 0x7f, v13
	s_cbranch_execz .LBB337_1361
; %bb.1358:                             ;   in Loop: Header=BB337_803 Depth=1
	v_and_b32_e32 v0, 7, v114
	v_lshrrev_b32_e32 v113, 3, v13
	v_cmp_gt_u32_e64 s0, 8, v13
	s_delay_alu instid0(VALU_DEP_3) | instskip(NEXT) | instid1(VALU_DEP_2)
	v_dual_mov_b32 v14, v1 :: v_dual_mov_b32 v13, v0
	s_and_saveexec_b32 s15, s0
; %bb.1359:                             ;   in Loop: Header=BB337_803 Depth=1
	v_clz_i32_u32_e32 v13, v0
	s_delay_alu instid0(VALU_DEP_1) | instskip(NEXT) | instid1(VALU_DEP_1)
	v_min_u32_e32 v113, 32, v13
	v_subrev_nc_u32_e32 v13, 28, v113
	v_sub_nc_u32_e32 v113, 29, v113
	s_delay_alu instid0(VALU_DEP_2) | instskip(NEXT) | instid1(VALU_DEP_1)
	v_lshlrev_b64 v[13:14], v13, v[0:1]
	v_and_b32_e32 v13, 7, v13
; %bb.1360:                             ;   in Loop: Header=BB337_803 Depth=1
	s_or_b32 exec_lo, exec_lo, s15
	v_lshlrev_b32_e32 v0, 8, v114
	v_lshl_add_u32 v14, v113, 10, 0x2000
	s_delay_alu instid0(VALU_DEP_1) | instskip(NEXT) | instid1(VALU_DEP_1)
	v_and_or_b32 v0, 0x8000, v0, v14
	v_lshl_or_b32 v0, v13, 7, v0
	s_delay_alu instid0(VALU_DEP_1)
	v_cvt_f32_f16_e32 v113, v0
.LBB337_1361:                           ;   in Loop: Header=BB337_803 Depth=1
	s_or_b32 exec_lo, exec_lo, s13
.LBB337_1362:                           ;   in Loop: Header=BB337_803 Depth=1
	s_delay_alu instid0(SALU_CYCLE_1)
	s_or_b32 exec_lo, exec_lo, s12
.LBB337_1363:                           ;   in Loop: Header=BB337_803 Depth=1
	s_delay_alu instid0(SALU_CYCLE_1) | instskip(SKIP_3) | instid1(VALU_DEP_2)
	s_or_b32 exec_lo, exec_lo, s10
	v_dual_mov_b32 v0, v12 :: v_dual_and_b32 v13, 0xff, v12
	v_dual_mov_b32 v115, 0 :: v_dual_mov_b32 v114, 0
	s_mov_b32 s10, exec_lo
	v_cmpx_ne_u16_e32 0, v13
	s_cbranch_execz .LBB337_1371
; %bb.1364:                             ;   in Loop: Header=BB337_803 Depth=1
	v_bfrev_b32_e32 v114, 1
	s_mov_b32 s12, exec_lo
	v_cmpx_ne_u16_e32 0x80, v13
	s_cbranch_execz .LBB337_1370
; %bb.1365:                             ;   in Loop: Header=BB337_803 Depth=1
	v_and_b32_e32 v13, 0x7f, v12
	v_mov_b32_e32 v114, 0x7fc02000
	s_mov_b32 s13, exec_lo
	s_delay_alu instid0(VALU_DEP_2)
	v_cmpx_ne_u32_e32 0x7f, v13
	s_cbranch_execz .LBB337_1369
; %bb.1366:                             ;   in Loop: Header=BB337_803 Depth=1
	v_lshrrev_b32_e32 v114, 3, v13
	v_cmp_gt_u32_e64 s0, 8, v13
	v_dual_mov_b32 v14, v1 :: v_dual_mov_b32 v13, v0
	s_delay_alu instid0(VALU_DEP_2)
	s_and_saveexec_b32 s15, s0
; %bb.1367:                             ;   in Loop: Header=BB337_803 Depth=1
	v_and_b32_e32 v13, 7, v12
	s_delay_alu instid0(VALU_DEP_1) | instskip(NEXT) | instid1(VALU_DEP_1)
	v_clz_i32_u32_e32 v13, v13
	v_min_u32_e32 v114, 32, v13
	s_delay_alu instid0(VALU_DEP_1) | instskip(SKIP_1) | instid1(VALU_DEP_2)
	v_subrev_nc_u32_e32 v13, 28, v114
	v_sub_nc_u32_e32 v114, 29, v114
	v_lshlrev_b64 v[13:14], v13, v[0:1]
; %bb.1368:                             ;   in Loop: Header=BB337_803 Depth=1
	s_or_b32 exec_lo, exec_lo, s15
	v_lshlrev_b32_e32 v14, 8, v12
	s_delay_alu instid0(VALU_DEP_3) | instskip(NEXT) | instid1(VALU_DEP_3)
	v_lshl_add_u32 v114, v114, 10, 0x2000
	v_lshlrev_b32_e32 v13, 7, v13
	s_delay_alu instid0(VALU_DEP_2) | instskip(NEXT) | instid1(VALU_DEP_1)
	v_and_or_b32 v14, 0x8000, v14, v114
	v_and_or_b32 v13, 0x380, v13, v14
	s_delay_alu instid0(VALU_DEP_1)
	v_cvt_f32_f16_e32 v114, v13
.LBB337_1369:                           ;   in Loop: Header=BB337_803 Depth=1
	s_or_b32 exec_lo, exec_lo, s13
.LBB337_1370:                           ;   in Loop: Header=BB337_803 Depth=1
	s_delay_alu instid0(SALU_CYCLE_1)
	s_or_b32 exec_lo, exec_lo, s12
.LBB337_1371:                           ;   in Loop: Header=BB337_803 Depth=1
	s_delay_alu instid0(SALU_CYCLE_1) | instskip(SKIP_2) | instid1(VALU_DEP_1)
	s_or_b32 exec_lo, exec_lo, s10
	v_lshrrev_b16 v0, 8, v0
	s_mov_b32 s10, exec_lo
	v_cmpx_ne_u16_e32 0, v0
	s_cbranch_execz .LBB337_1379
; %bb.1372:                             ;   in Loop: Header=BB337_803 Depth=1
	v_bfrev_b32_e32 v115, 1
	s_mov_b32 s12, exec_lo
	v_cmpx_ne_u16_e32 0x80, v0
	s_cbranch_execz .LBB337_1378
; %bb.1373:                             ;   in Loop: Header=BB337_803 Depth=1
	v_and_b32_e32 v116, 0xffff, v0
	v_mov_b32_e32 v115, 0x7fc02000
	s_mov_b32 s13, exec_lo
	s_delay_alu instid0(VALU_DEP_2) | instskip(NEXT) | instid1(VALU_DEP_1)
	v_and_b32_e32 v13, 0x7f, v116
	v_cmpx_ne_u32_e32 0x7f, v13
	s_cbranch_execz .LBB337_1377
; %bb.1374:                             ;   in Loop: Header=BB337_803 Depth=1
	v_and_b32_e32 v0, 7, v116
	v_lshrrev_b32_e32 v115, 3, v13
	v_cmp_gt_u32_e64 s0, 8, v13
	s_delay_alu instid0(VALU_DEP_3) | instskip(NEXT) | instid1(VALU_DEP_2)
	v_dual_mov_b32 v14, v1 :: v_dual_mov_b32 v13, v0
	s_and_saveexec_b32 s15, s0
; %bb.1375:                             ;   in Loop: Header=BB337_803 Depth=1
	v_clz_i32_u32_e32 v13, v0
	s_delay_alu instid0(VALU_DEP_1) | instskip(NEXT) | instid1(VALU_DEP_1)
	v_min_u32_e32 v115, 32, v13
	v_subrev_nc_u32_e32 v13, 28, v115
	v_sub_nc_u32_e32 v115, 29, v115
	s_delay_alu instid0(VALU_DEP_2) | instskip(NEXT) | instid1(VALU_DEP_1)
	v_lshlrev_b64 v[13:14], v13, v[0:1]
	v_and_b32_e32 v13, 7, v13
; %bb.1376:                             ;   in Loop: Header=BB337_803 Depth=1
	s_or_b32 exec_lo, exec_lo, s15
	v_lshlrev_b32_e32 v0, 8, v116
	v_lshl_add_u32 v14, v115, 10, 0x2000
	s_delay_alu instid0(VALU_DEP_1) | instskip(NEXT) | instid1(VALU_DEP_1)
	v_and_or_b32 v0, 0x8000, v0, v14
	v_lshl_or_b32 v0, v13, 7, v0
	s_delay_alu instid0(VALU_DEP_1)
	v_cvt_f32_f16_e32 v115, v0
.LBB337_1377:                           ;   in Loop: Header=BB337_803 Depth=1
	s_or_b32 exec_lo, exec_lo, s13
.LBB337_1378:                           ;   in Loop: Header=BB337_803 Depth=1
	s_delay_alu instid0(SALU_CYCLE_1)
	s_or_b32 exec_lo, exec_lo, s12
.LBB337_1379:                           ;   in Loop: Header=BB337_803 Depth=1
	s_delay_alu instid0(SALU_CYCLE_1) | instskip(SKIP_3) | instid1(VALU_DEP_2)
	s_or_b32 exec_lo, exec_lo, s10
	v_lshrrev_b32_e32 v117, 16, v12
	v_mov_b32_e32 v116, 0
	s_mov_b32 s10, exec_lo
	v_dual_mov_b32 v13, 0 :: v_dual_and_b32 v0, 0xff, v117
	s_delay_alu instid0(VALU_DEP_1)
	v_cmpx_ne_u16_e32 0, v0
	s_cbranch_execz .LBB337_1387
; %bb.1380:                             ;   in Loop: Header=BB337_803 Depth=1
	v_bfrev_b32_e32 v13, 1
	s_mov_b32 s12, exec_lo
	v_cmpx_ne_u16_e32 0x80, v0
	s_cbranch_execz .LBB337_1386
; %bb.1381:                             ;   in Loop: Header=BB337_803 Depth=1
	v_bfe_u32 v14, v12, 16, 7
	v_mov_b32_e32 v13, 0x7fc02000
	s_mov_b32 s13, exec_lo
	s_delay_alu instid0(VALU_DEP_2)
	v_cmpx_ne_u32_e32 0x7f, v14
	s_cbranch_execz .LBB337_1385
; %bb.1382:                             ;   in Loop: Header=BB337_803 Depth=1
	v_and_b32_e32 v0, 7, v117
	v_lshrrev_b32_e32 v118, 3, v14
	v_cmp_gt_u32_e64 s0, 8, v14
	s_delay_alu instid0(VALU_DEP_3) | instskip(NEXT) | instid1(VALU_DEP_2)
	v_dual_mov_b32 v14, v1 :: v_dual_mov_b32 v13, v0
	s_and_saveexec_b32 s15, s0
; %bb.1383:                             ;   in Loop: Header=BB337_803 Depth=1
	v_clz_i32_u32_e32 v13, v0
	s_delay_alu instid0(VALU_DEP_1) | instskip(NEXT) | instid1(VALU_DEP_1)
	v_min_u32_e32 v118, 32, v13
	v_subrev_nc_u32_e32 v13, 28, v118
	v_sub_nc_u32_e32 v118, 29, v118
	s_delay_alu instid0(VALU_DEP_2) | instskip(NEXT) | instid1(VALU_DEP_1)
	v_lshlrev_b64 v[13:14], v13, v[0:1]
	v_and_b32_e32 v13, 7, v13
; %bb.1384:                             ;   in Loop: Header=BB337_803 Depth=1
	s_or_b32 exec_lo, exec_lo, s15
	v_lshlrev_b32_e32 v0, 8, v117
	v_lshl_add_u32 v14, v118, 10, 0x2000
	s_delay_alu instid0(VALU_DEP_1) | instskip(NEXT) | instid1(VALU_DEP_1)
	v_and_or_b32 v0, 0x8000, v0, v14
	v_lshl_or_b32 v0, v13, 7, v0
	s_delay_alu instid0(VALU_DEP_1)
	v_cvt_f32_f16_e32 v13, v0
.LBB337_1385:                           ;   in Loop: Header=BB337_803 Depth=1
	s_or_b32 exec_lo, exec_lo, s13
.LBB337_1386:                           ;   in Loop: Header=BB337_803 Depth=1
	s_delay_alu instid0(SALU_CYCLE_1)
	s_or_b32 exec_lo, exec_lo, s12
.LBB337_1387:                           ;   in Loop: Header=BB337_803 Depth=1
	s_delay_alu instid0(SALU_CYCLE_1) | instskip(NEXT) | instid1(SALU_CYCLE_1)
	s_or_b32 exec_lo, exec_lo, s10
	s_mov_b32 s10, exec_lo
	v_cmpx_lt_u64_e64 s[8:9], v[11:12]
	s_cbranch_execz .LBB337_1395
; %bb.1388:                             ;   in Loop: Header=BB337_803 Depth=1
	v_lshrrev_b32_e32 v14, 24, v12
	v_bfrev_b32_e32 v116, 1
	s_mov_b32 s12, exec_lo
	s_delay_alu instid0(VALU_DEP_2)
	v_cmpx_ne_u32_e32 0x80, v14
	s_cbranch_execz .LBB337_1394
; %bb.1389:                             ;   in Loop: Header=BB337_803 Depth=1
	v_and_b32_e32 v11, 0x7f, v14
	v_mov_b32_e32 v116, 0x7fc02000
	s_mov_b32 s13, exec_lo
	s_delay_alu instid0(VALU_DEP_2)
	v_cmpx_ne_u32_e32 0x7f, v11
	s_cbranch_execz .LBB337_1393
; %bb.1390:                             ;   in Loop: Header=BB337_803 Depth=1
	v_and_b32_e32 v0, 7, v14
	v_lshrrev_b32_e32 v116, 3, v11
	v_cmp_gt_u32_e64 s0, 8, v11
	s_delay_alu instid0(VALU_DEP_3) | instskip(NEXT) | instid1(VALU_DEP_2)
	v_dual_mov_b32 v12, v1 :: v_dual_mov_b32 v11, v0
	s_and_saveexec_b32 s15, s0
; %bb.1391:                             ;   in Loop: Header=BB337_803 Depth=1
	v_clz_i32_u32_e32 v11, v0
	s_delay_alu instid0(VALU_DEP_1) | instskip(NEXT) | instid1(VALU_DEP_1)
	v_min_u32_e32 v116, 32, v11
	v_subrev_nc_u32_e32 v11, 28, v116
	v_sub_nc_u32_e32 v116, 29, v116
	s_delay_alu instid0(VALU_DEP_2) | instskip(NEXT) | instid1(VALU_DEP_1)
	v_lshlrev_b64 v[11:12], v11, v[0:1]
	v_and_b32_e32 v11, 7, v11
; %bb.1392:                             ;   in Loop: Header=BB337_803 Depth=1
	s_or_b32 exec_lo, exec_lo, s15
	v_lshlrev_b32_e32 v0, 8, v14
	v_lshl_add_u32 v12, v116, 10, 0x2000
	s_delay_alu instid0(VALU_DEP_1) | instskip(NEXT) | instid1(VALU_DEP_1)
	v_and_or_b32 v0, 0x8000, v0, v12
	v_lshl_or_b32 v0, v11, 7, v0
	s_delay_alu instid0(VALU_DEP_1)
	v_cvt_f32_f16_e32 v116, v0
.LBB337_1393:                           ;   in Loop: Header=BB337_803 Depth=1
	s_or_b32 exec_lo, exec_lo, s13
.LBB337_1394:                           ;   in Loop: Header=BB337_803 Depth=1
	s_delay_alu instid0(SALU_CYCLE_1)
	s_or_b32 exec_lo, exec_lo, s12
.LBB337_1395:                           ;   in Loop: Header=BB337_803 Depth=1
	s_delay_alu instid0(SALU_CYCLE_1)
	s_or_b32 exec_lo, exec_lo, s10
	s_waitcnt vmcnt(0) lgkmcnt(0)
	v_fma_mixlo_f16 v12, v101, v103, 0
	v_fma_mixlo_f16 v0, v101, v113, 0
	;; [unrolled: 1-line block ×5, first 2 shown]
	v_lshlrev_b32_e32 v14, 16, v12
	v_fma_mixlo_f16 v112, v101, v114, 0
	v_fma_mixlo_f16 v113, v101, v116, 0
	;; [unrolled: 1-line block ×3, first 2 shown]
	v_lshlrev_b32_e32 v0, 16, v0
	v_and_b32_e32 v11, 0xffff, v11
	v_and_b32_e32 v101, 0xffff, v102
	v_lshlrev_b32_e32 v102, 16, v103
	v_and_b32_e32 v103, 0xffff, v112
	v_lshlrev_b32_e32 v112, 16, v113
	v_and_b32_e32 v113, 0xffff, v12
	v_or_b32_e32 v13, v0, v11
	v_or_b32_e32 v14, v14, v101
	;; [unrolled: 1-line block ×3, first 2 shown]
	s_delay_alu instid0(VALU_DEP_4)
	v_or_b32_e32 v11, v112, v113
	s_and_saveexec_b32 s10, vcc_lo
	s_cbranch_execz .LBB337_1397
; %bb.1396:                             ;   in Loop: Header=BB337_803 Depth=1
	v_cmp_lt_i32_e64 s0, v15, v35
	v_lshrrev_b32_e32 v101, 16, v14
	v_lshrrev_b32_e32 v102, 16, v13
	;; [unrolled: 1-line block ×4, first 2 shown]
	v_cndmask_b32_e64 v14, 0, v14, s0
	v_cmp_lt_i32_e64 s0, v64, v39
	s_delay_alu instid0(VALU_DEP_1) | instskip(SKIP_1) | instid1(VALU_DEP_2)
	v_cndmask_b32_e64 v101, 0, v101, s0
	v_cmp_lt_i32_e64 s0, v55, v39
	v_perm_b32 v14, v101, v14, 0x5040100
	s_delay_alu instid0(VALU_DEP_2) | instskip(SKIP_1) | instid1(VALU_DEP_1)
	v_cndmask_b32_e64 v102, 0, v102, s0
	v_cmp_lt_i32_e64 s0, v54, v35
	v_cndmask_b32_e64 v13, 0, v13, s0
	v_cmp_lt_i32_e64 s0, v53, v39
	s_delay_alu instid0(VALU_DEP_2) | instskip(NEXT) | instid1(VALU_DEP_2)
	v_perm_b32 v13, v102, v13, 0x5040100
	v_cndmask_b32_e64 v103, 0, v103, s0
	v_cmp_lt_i32_e64 s0, v48, v35
	s_delay_alu instid0(VALU_DEP_1) | instskip(SKIP_1) | instid1(VALU_DEP_2)
	v_cndmask_b32_e64 v0, 0, v0, s0
	v_cmp_lt_i32_e64 s0, v23, v39
	v_perm_b32 v0, v103, v0, 0x5040100
	s_delay_alu instid0(VALU_DEP_2) | instskip(SKIP_1) | instid1(VALU_DEP_1)
	v_cndmask_b32_e64 v11, 0, v11, s0
	v_cmp_lt_i32_e64 s0, v17, v35
	v_cndmask_b32_e64 v12, 0, v12, s0
	s_delay_alu instid0(VALU_DEP_1)
	v_perm_b32 v11, v11, v12, 0x5040100
.LBB337_1397:                           ;   in Loop: Header=BB337_803 Depth=1
	s_or_b32 exec_lo, exec_lo, s10
	;;#ASMSTART
	v_pk_mul_f16 v12, v70, v14;

	;;#ASMEND
	;;#ASMSTART
	v_pk_mul_f16 v13, v68, v13;

	;;#ASMEND
	;; [unrolled: 4-line block ×4, first 2 shown]
	;;#ASMSTART
	v_pk_add_f16 v12, v12, v13;

	;;#ASMEND
	;;#ASMSTART
	v_pk_add_f16 v0, v12, v0;

	;;#ASMEND
	;; [unrolled: 4-line block ×3, first 2 shown]
	v_dual_mov_b32 v112, 0 :: v_dual_and_b32 v11, 0xffff, v0
	v_lshrrev_b32_e32 v0, 16, v0
	;;#ASMSTART
	v_cvt_f32_f16 v101, v11;
	;;#ASMEND
	;;#ASMSTART
	v_cvt_f32_f16 v102, v0;
	;;#ASMEND
	flat_load_b64 v[11:12], v[9:10] offset:2304
	flat_load_b32 v103, v[26:27]
	s_mov_b32 s10, exec_lo
	s_waitcnt vmcnt(1) lgkmcnt(1)
	v_dual_mov_b32 v113, 0 :: v_dual_and_b32 v0, 0xff, v11
	s_delay_alu instid0(VALU_DEP_1)
	v_cmpx_ne_u16_e32 0, v0
	s_cbranch_execz .LBB337_1405
; %bb.1398:                             ;   in Loop: Header=BB337_803 Depth=1
	v_bfrev_b32_e32 v112, 1
	s_mov_b32 s12, exec_lo
	v_cmpx_ne_u16_e32 0x80, v0
	s_cbranch_execz .LBB337_1404
; %bb.1399:                             ;   in Loop: Header=BB337_803 Depth=1
	v_and_b32_e32 v13, 0x7f, v11
	v_mov_b32_e32 v112, 0x7fc02000
	s_mov_b32 s13, exec_lo
	s_delay_alu instid0(VALU_DEP_2)
	v_cmpx_ne_u32_e32 0x7f, v13
	s_cbranch_execz .LBB337_1403
; %bb.1400:                             ;   in Loop: Header=BB337_803 Depth=1
	v_lshrrev_b32_e32 v0, 3, v13
	v_cmp_gt_u32_e64 s0, 8, v13
	v_dual_mov_b32 v14, v12 :: v_dual_mov_b32 v13, v11
	s_delay_alu instid0(VALU_DEP_2)
	s_and_saveexec_b32 s15, s0
; %bb.1401:                             ;   in Loop: Header=BB337_803 Depth=1
	v_and_b32_e32 v0, 7, v11
	s_delay_alu instid0(VALU_DEP_1) | instskip(NEXT) | instid1(VALU_DEP_1)
	v_clz_i32_u32_e32 v0, v0
	v_min_u32_e32 v0, 32, v0
	s_delay_alu instid0(VALU_DEP_1) | instskip(SKIP_1) | instid1(VALU_DEP_2)
	v_subrev_nc_u32_e32 v13, 28, v0
	v_sub_nc_u32_e32 v0, 29, v0
	v_lshlrev_b64 v[13:14], v13, v[11:12]
; %bb.1402:                             ;   in Loop: Header=BB337_803 Depth=1
	s_or_b32 exec_lo, exec_lo, s15
	v_lshlrev_b32_e32 v14, 8, v11
	s_delay_alu instid0(VALU_DEP_3) | instskip(NEXT) | instid1(VALU_DEP_3)
	v_lshl_add_u32 v0, v0, 10, 0x2000
	v_lshlrev_b32_e32 v13, 7, v13
	s_delay_alu instid0(VALU_DEP_2) | instskip(NEXT) | instid1(VALU_DEP_1)
	v_and_or_b32 v0, 0x8000, v14, v0
	v_and_or_b32 v0, 0x380, v13, v0
	s_delay_alu instid0(VALU_DEP_1)
	v_cvt_f32_f16_e32 v112, v0
.LBB337_1403:                           ;   in Loop: Header=BB337_803 Depth=1
	s_or_b32 exec_lo, exec_lo, s13
.LBB337_1404:                           ;   in Loop: Header=BB337_803 Depth=1
	s_delay_alu instid0(SALU_CYCLE_1)
	s_or_b32 exec_lo, exec_lo, s12
.LBB337_1405:                           ;   in Loop: Header=BB337_803 Depth=1
	s_delay_alu instid0(SALU_CYCLE_1) | instskip(SKIP_2) | instid1(VALU_DEP_1)
	s_or_b32 exec_lo, exec_lo, s10
	v_lshrrev_b16 v0, 8, v11
	s_mov_b32 s10, exec_lo
	v_cmpx_ne_u16_e32 0, v0
	s_cbranch_execz .LBB337_1413
; %bb.1406:                             ;   in Loop: Header=BB337_803 Depth=1
	v_bfrev_b32_e32 v113, 1
	s_mov_b32 s12, exec_lo
	v_cmpx_ne_u16_e32 0x80, v0
	s_cbranch_execz .LBB337_1412
; %bb.1407:                             ;   in Loop: Header=BB337_803 Depth=1
	v_and_b32_e32 v114, 0xffff, v0
	v_mov_b32_e32 v113, 0x7fc02000
	s_mov_b32 s13, exec_lo
	s_delay_alu instid0(VALU_DEP_2) | instskip(NEXT) | instid1(VALU_DEP_1)
	v_and_b32_e32 v13, 0x7f, v114
	v_cmpx_ne_u32_e32 0x7f, v13
	s_cbranch_execz .LBB337_1411
; %bb.1408:                             ;   in Loop: Header=BB337_803 Depth=1
	v_and_b32_e32 v0, 7, v114
	v_lshrrev_b32_e32 v113, 3, v13
	v_cmp_gt_u32_e64 s0, 8, v13
	s_delay_alu instid0(VALU_DEP_3) | instskip(NEXT) | instid1(VALU_DEP_2)
	v_dual_mov_b32 v14, v1 :: v_dual_mov_b32 v13, v0
	s_and_saveexec_b32 s15, s0
; %bb.1409:                             ;   in Loop: Header=BB337_803 Depth=1
	v_clz_i32_u32_e32 v13, v0
	s_delay_alu instid0(VALU_DEP_1) | instskip(NEXT) | instid1(VALU_DEP_1)
	v_min_u32_e32 v113, 32, v13
	v_subrev_nc_u32_e32 v13, 28, v113
	v_sub_nc_u32_e32 v113, 29, v113
	s_delay_alu instid0(VALU_DEP_2) | instskip(NEXT) | instid1(VALU_DEP_1)
	v_lshlrev_b64 v[13:14], v13, v[0:1]
	v_and_b32_e32 v13, 7, v13
; %bb.1410:                             ;   in Loop: Header=BB337_803 Depth=1
	s_or_b32 exec_lo, exec_lo, s15
	v_lshlrev_b32_e32 v0, 8, v114
	v_lshl_add_u32 v14, v113, 10, 0x2000
	s_delay_alu instid0(VALU_DEP_1) | instskip(NEXT) | instid1(VALU_DEP_1)
	v_and_or_b32 v0, 0x8000, v0, v14
	v_lshl_or_b32 v0, v13, 7, v0
	s_delay_alu instid0(VALU_DEP_1)
	v_cvt_f32_f16_e32 v113, v0
.LBB337_1411:                           ;   in Loop: Header=BB337_803 Depth=1
	s_or_b32 exec_lo, exec_lo, s13
.LBB337_1412:                           ;   in Loop: Header=BB337_803 Depth=1
	s_delay_alu instid0(SALU_CYCLE_1)
	s_or_b32 exec_lo, exec_lo, s12
.LBB337_1413:                           ;   in Loop: Header=BB337_803 Depth=1
	s_delay_alu instid0(SALU_CYCLE_1) | instskip(SKIP_3) | instid1(VALU_DEP_2)
	s_or_b32 exec_lo, exec_lo, s10
	v_lshrrev_b32_e32 v116, 16, v11
	v_mov_b32_e32 v114, 0
	s_mov_b32 s10, exec_lo
	v_dual_mov_b32 v115, 0 :: v_dual_and_b32 v0, 0xff, v116
	s_delay_alu instid0(VALU_DEP_1)
	v_cmpx_ne_u16_e32 0, v0
	s_cbranch_execz .LBB337_1421
; %bb.1414:                             ;   in Loop: Header=BB337_803 Depth=1
	v_bfrev_b32_e32 v114, 1
	s_mov_b32 s12, exec_lo
	v_cmpx_ne_u16_e32 0x80, v0
	s_cbranch_execz .LBB337_1420
; %bb.1415:                             ;   in Loop: Header=BB337_803 Depth=1
	v_bfe_u32 v13, v11, 16, 7
	v_mov_b32_e32 v114, 0x7fc02000
	s_mov_b32 s13, exec_lo
	s_delay_alu instid0(VALU_DEP_2)
	v_cmpx_ne_u32_e32 0x7f, v13
	s_cbranch_execz .LBB337_1419
; %bb.1416:                             ;   in Loop: Header=BB337_803 Depth=1
	v_and_b32_e32 v0, 7, v116
	v_lshrrev_b32_e32 v114, 3, v13
	v_cmp_gt_u32_e64 s0, 8, v13
	s_delay_alu instid0(VALU_DEP_3) | instskip(NEXT) | instid1(VALU_DEP_2)
	v_dual_mov_b32 v14, v1 :: v_dual_mov_b32 v13, v0
	s_and_saveexec_b32 s15, s0
; %bb.1417:                             ;   in Loop: Header=BB337_803 Depth=1
	v_clz_i32_u32_e32 v13, v0
	s_delay_alu instid0(VALU_DEP_1) | instskip(NEXT) | instid1(VALU_DEP_1)
	v_min_u32_e32 v114, 32, v13
	v_subrev_nc_u32_e32 v13, 28, v114
	v_sub_nc_u32_e32 v114, 29, v114
	s_delay_alu instid0(VALU_DEP_2) | instskip(NEXT) | instid1(VALU_DEP_1)
	v_lshlrev_b64 v[13:14], v13, v[0:1]
	v_and_b32_e32 v13, 7, v13
; %bb.1418:                             ;   in Loop: Header=BB337_803 Depth=1
	s_or_b32 exec_lo, exec_lo, s15
	v_lshlrev_b32_e32 v0, 8, v116
	v_lshl_add_u32 v14, v114, 10, 0x2000
	s_delay_alu instid0(VALU_DEP_1) | instskip(NEXT) | instid1(VALU_DEP_1)
	v_and_or_b32 v0, 0x8000, v0, v14
	v_lshl_or_b32 v0, v13, 7, v0
	s_delay_alu instid0(VALU_DEP_1)
	v_cvt_f32_f16_e32 v114, v0
.LBB337_1419:                           ;   in Loop: Header=BB337_803 Depth=1
	s_or_b32 exec_lo, exec_lo, s13
.LBB337_1420:                           ;   in Loop: Header=BB337_803 Depth=1
	s_delay_alu instid0(SALU_CYCLE_1)
	s_or_b32 exec_lo, exec_lo, s12
.LBB337_1421:                           ;   in Loop: Header=BB337_803 Depth=1
	s_delay_alu instid0(SALU_CYCLE_1) | instskip(NEXT) | instid1(SALU_CYCLE_1)
	s_or_b32 exec_lo, exec_lo, s10
	s_mov_b32 s10, exec_lo
	v_cmpx_lt_u32_e32 0xffffff, v11
	s_cbranch_execz .LBB337_1429
; %bb.1422:                             ;   in Loop: Header=BB337_803 Depth=1
	v_lshrrev_b32_e32 v116, 24, v11
	v_bfrev_b32_e32 v115, 1
	s_mov_b32 s12, exec_lo
	s_delay_alu instid0(VALU_DEP_2)
	v_cmpx_ne_u32_e32 0x80, v116
	s_cbranch_execz .LBB337_1428
; %bb.1423:                             ;   in Loop: Header=BB337_803 Depth=1
	v_and_b32_e32 v13, 0x7f, v116
	v_mov_b32_e32 v115, 0x7fc02000
	s_mov_b32 s13, exec_lo
	s_delay_alu instid0(VALU_DEP_2)
	v_cmpx_ne_u32_e32 0x7f, v13
	s_cbranch_execz .LBB337_1427
; %bb.1424:                             ;   in Loop: Header=BB337_803 Depth=1
	v_and_b32_e32 v0, 7, v116
	v_lshrrev_b32_e32 v115, 3, v13
	v_cmp_gt_u32_e64 s0, 8, v13
	s_delay_alu instid0(VALU_DEP_3) | instskip(NEXT) | instid1(VALU_DEP_2)
	v_dual_mov_b32 v14, v1 :: v_dual_mov_b32 v13, v0
	s_and_saveexec_b32 s15, s0
; %bb.1425:                             ;   in Loop: Header=BB337_803 Depth=1
	v_clz_i32_u32_e32 v13, v0
	s_delay_alu instid0(VALU_DEP_1) | instskip(NEXT) | instid1(VALU_DEP_1)
	v_min_u32_e32 v115, 32, v13
	v_subrev_nc_u32_e32 v13, 28, v115
	v_sub_nc_u32_e32 v115, 29, v115
	s_delay_alu instid0(VALU_DEP_2) | instskip(NEXT) | instid1(VALU_DEP_1)
	v_lshlrev_b64 v[13:14], v13, v[0:1]
	v_and_b32_e32 v13, 7, v13
; %bb.1426:                             ;   in Loop: Header=BB337_803 Depth=1
	s_or_b32 exec_lo, exec_lo, s15
	v_lshlrev_b32_e32 v0, 8, v116
	v_lshl_add_u32 v14, v115, 10, 0x2000
	s_delay_alu instid0(VALU_DEP_1) | instskip(NEXT) | instid1(VALU_DEP_1)
	v_and_or_b32 v0, 0x8000, v0, v14
	v_lshl_or_b32 v0, v13, 7, v0
	s_delay_alu instid0(VALU_DEP_1)
	v_cvt_f32_f16_e32 v115, v0
.LBB337_1427:                           ;   in Loop: Header=BB337_803 Depth=1
	s_or_b32 exec_lo, exec_lo, s13
.LBB337_1428:                           ;   in Loop: Header=BB337_803 Depth=1
	s_delay_alu instid0(SALU_CYCLE_1)
	s_or_b32 exec_lo, exec_lo, s12
.LBB337_1429:                           ;   in Loop: Header=BB337_803 Depth=1
	s_delay_alu instid0(SALU_CYCLE_1) | instskip(SKIP_3) | instid1(VALU_DEP_2)
	s_or_b32 exec_lo, exec_lo, s10
	v_dual_mov_b32 v0, v12 :: v_dual_and_b32 v13, 0xff, v12
	v_dual_mov_b32 v117, 0 :: v_dual_mov_b32 v116, 0
	s_mov_b32 s10, exec_lo
	v_cmpx_ne_u16_e32 0, v13
	s_cbranch_execz .LBB337_1437
; %bb.1430:                             ;   in Loop: Header=BB337_803 Depth=1
	v_bfrev_b32_e32 v116, 1
	s_mov_b32 s12, exec_lo
	v_cmpx_ne_u16_e32 0x80, v13
	s_cbranch_execz .LBB337_1436
; %bb.1431:                             ;   in Loop: Header=BB337_803 Depth=1
	v_and_b32_e32 v13, 0x7f, v12
	v_mov_b32_e32 v116, 0x7fc02000
	s_mov_b32 s13, exec_lo
	s_delay_alu instid0(VALU_DEP_2)
	v_cmpx_ne_u32_e32 0x7f, v13
	s_cbranch_execz .LBB337_1435
; %bb.1432:                             ;   in Loop: Header=BB337_803 Depth=1
	v_lshrrev_b32_e32 v116, 3, v13
	v_cmp_gt_u32_e64 s0, 8, v13
	v_dual_mov_b32 v14, v1 :: v_dual_mov_b32 v13, v0
	s_delay_alu instid0(VALU_DEP_2)
	s_and_saveexec_b32 s15, s0
; %bb.1433:                             ;   in Loop: Header=BB337_803 Depth=1
	v_and_b32_e32 v13, 7, v12
	s_delay_alu instid0(VALU_DEP_1) | instskip(NEXT) | instid1(VALU_DEP_1)
	v_clz_i32_u32_e32 v13, v13
	v_min_u32_e32 v116, 32, v13
	s_delay_alu instid0(VALU_DEP_1) | instskip(SKIP_1) | instid1(VALU_DEP_2)
	v_subrev_nc_u32_e32 v13, 28, v116
	v_sub_nc_u32_e32 v116, 29, v116
	v_lshlrev_b64 v[13:14], v13, v[0:1]
; %bb.1434:                             ;   in Loop: Header=BB337_803 Depth=1
	s_or_b32 exec_lo, exec_lo, s15
	v_lshlrev_b32_e32 v14, 8, v12
	s_delay_alu instid0(VALU_DEP_3) | instskip(NEXT) | instid1(VALU_DEP_3)
	v_lshl_add_u32 v116, v116, 10, 0x2000
	v_lshlrev_b32_e32 v13, 7, v13
	s_delay_alu instid0(VALU_DEP_2) | instskip(NEXT) | instid1(VALU_DEP_1)
	v_and_or_b32 v14, 0x8000, v14, v116
	v_and_or_b32 v13, 0x380, v13, v14
	s_delay_alu instid0(VALU_DEP_1)
	v_cvt_f32_f16_e32 v116, v13
.LBB337_1435:                           ;   in Loop: Header=BB337_803 Depth=1
	s_or_b32 exec_lo, exec_lo, s13
.LBB337_1436:                           ;   in Loop: Header=BB337_803 Depth=1
	s_delay_alu instid0(SALU_CYCLE_1)
	s_or_b32 exec_lo, exec_lo, s12
.LBB337_1437:                           ;   in Loop: Header=BB337_803 Depth=1
	s_delay_alu instid0(SALU_CYCLE_1) | instskip(SKIP_2) | instid1(VALU_DEP_1)
	s_or_b32 exec_lo, exec_lo, s10
	v_lshrrev_b16 v0, 8, v0
	s_mov_b32 s10, exec_lo
	v_cmpx_ne_u16_e32 0, v0
	s_cbranch_execz .LBB337_1445
; %bb.1438:                             ;   in Loop: Header=BB337_803 Depth=1
	v_bfrev_b32_e32 v117, 1
	s_mov_b32 s12, exec_lo
	v_cmpx_ne_u16_e32 0x80, v0
	s_cbranch_execz .LBB337_1444
; %bb.1439:                             ;   in Loop: Header=BB337_803 Depth=1
	v_and_b32_e32 v118, 0xffff, v0
	v_mov_b32_e32 v117, 0x7fc02000
	s_mov_b32 s13, exec_lo
	s_delay_alu instid0(VALU_DEP_2) | instskip(NEXT) | instid1(VALU_DEP_1)
	v_and_b32_e32 v13, 0x7f, v118
	v_cmpx_ne_u32_e32 0x7f, v13
	s_cbranch_execz .LBB337_1443
; %bb.1440:                             ;   in Loop: Header=BB337_803 Depth=1
	v_and_b32_e32 v0, 7, v118
	v_lshrrev_b32_e32 v117, 3, v13
	v_cmp_gt_u32_e64 s0, 8, v13
	s_delay_alu instid0(VALU_DEP_3) | instskip(NEXT) | instid1(VALU_DEP_2)
	v_dual_mov_b32 v14, v1 :: v_dual_mov_b32 v13, v0
	s_and_saveexec_b32 s15, s0
; %bb.1441:                             ;   in Loop: Header=BB337_803 Depth=1
	v_clz_i32_u32_e32 v13, v0
	s_delay_alu instid0(VALU_DEP_1) | instskip(NEXT) | instid1(VALU_DEP_1)
	v_min_u32_e32 v117, 32, v13
	v_subrev_nc_u32_e32 v13, 28, v117
	v_sub_nc_u32_e32 v117, 29, v117
	s_delay_alu instid0(VALU_DEP_2) | instskip(NEXT) | instid1(VALU_DEP_1)
	v_lshlrev_b64 v[13:14], v13, v[0:1]
	v_and_b32_e32 v13, 7, v13
; %bb.1442:                             ;   in Loop: Header=BB337_803 Depth=1
	s_or_b32 exec_lo, exec_lo, s15
	v_lshlrev_b32_e32 v0, 8, v118
	v_lshl_add_u32 v14, v117, 10, 0x2000
	s_delay_alu instid0(VALU_DEP_1) | instskip(NEXT) | instid1(VALU_DEP_1)
	v_and_or_b32 v0, 0x8000, v0, v14
	v_lshl_or_b32 v0, v13, 7, v0
	s_delay_alu instid0(VALU_DEP_1)
	v_cvt_f32_f16_e32 v117, v0
.LBB337_1443:                           ;   in Loop: Header=BB337_803 Depth=1
	s_or_b32 exec_lo, exec_lo, s13
.LBB337_1444:                           ;   in Loop: Header=BB337_803 Depth=1
	s_delay_alu instid0(SALU_CYCLE_1)
	s_or_b32 exec_lo, exec_lo, s12
.LBB337_1445:                           ;   in Loop: Header=BB337_803 Depth=1
	s_delay_alu instid0(SALU_CYCLE_1) | instskip(SKIP_3) | instid1(VALU_DEP_2)
	s_or_b32 exec_lo, exec_lo, s10
	v_lshrrev_b32_e32 v119, 16, v12
	v_mov_b32_e32 v118, 0
	s_mov_b32 s10, exec_lo
	v_dual_mov_b32 v13, 0 :: v_dual_and_b32 v0, 0xff, v119
	s_delay_alu instid0(VALU_DEP_1)
	v_cmpx_ne_u16_e32 0, v0
	s_cbranch_execz .LBB337_1453
; %bb.1446:                             ;   in Loop: Header=BB337_803 Depth=1
	v_bfrev_b32_e32 v13, 1
	s_mov_b32 s12, exec_lo
	v_cmpx_ne_u16_e32 0x80, v0
	s_cbranch_execz .LBB337_1452
; %bb.1447:                             ;   in Loop: Header=BB337_803 Depth=1
	v_bfe_u32 v14, v12, 16, 7
	v_mov_b32_e32 v13, 0x7fc02000
	s_mov_b32 s13, exec_lo
	s_delay_alu instid0(VALU_DEP_2)
	v_cmpx_ne_u32_e32 0x7f, v14
	s_cbranch_execz .LBB337_1451
; %bb.1448:                             ;   in Loop: Header=BB337_803 Depth=1
	v_and_b32_e32 v0, 7, v119
	v_lshrrev_b32_e32 v128, 3, v14
	v_cmp_gt_u32_e64 s0, 8, v14
	s_delay_alu instid0(VALU_DEP_3) | instskip(NEXT) | instid1(VALU_DEP_2)
	v_dual_mov_b32 v14, v1 :: v_dual_mov_b32 v13, v0
	s_and_saveexec_b32 s15, s0
; %bb.1449:                             ;   in Loop: Header=BB337_803 Depth=1
	v_clz_i32_u32_e32 v13, v0
	s_delay_alu instid0(VALU_DEP_1) | instskip(NEXT) | instid1(VALU_DEP_1)
	v_min_u32_e32 v128, 32, v13
	v_subrev_nc_u32_e32 v13, 28, v128
	v_sub_nc_u32_e32 v128, 29, v128
	s_delay_alu instid0(VALU_DEP_2) | instskip(NEXT) | instid1(VALU_DEP_1)
	v_lshlrev_b64 v[13:14], v13, v[0:1]
	v_and_b32_e32 v13, 7, v13
; %bb.1450:                             ;   in Loop: Header=BB337_803 Depth=1
	s_or_b32 exec_lo, exec_lo, s15
	v_lshlrev_b32_e32 v0, 8, v119
	v_lshl_add_u32 v14, v128, 10, 0x2000
	s_delay_alu instid0(VALU_DEP_1) | instskip(NEXT) | instid1(VALU_DEP_1)
	v_and_or_b32 v0, 0x8000, v0, v14
	v_lshl_or_b32 v0, v13, 7, v0
	s_delay_alu instid0(VALU_DEP_1)
	v_cvt_f32_f16_e32 v13, v0
.LBB337_1451:                           ;   in Loop: Header=BB337_803 Depth=1
	s_or_b32 exec_lo, exec_lo, s13
.LBB337_1452:                           ;   in Loop: Header=BB337_803 Depth=1
	s_delay_alu instid0(SALU_CYCLE_1)
	s_or_b32 exec_lo, exec_lo, s12
.LBB337_1453:                           ;   in Loop: Header=BB337_803 Depth=1
	s_delay_alu instid0(SALU_CYCLE_1) | instskip(NEXT) | instid1(SALU_CYCLE_1)
	s_or_b32 exec_lo, exec_lo, s10
	s_mov_b32 s10, exec_lo
	v_cmpx_lt_u64_e64 s[8:9], v[11:12]
	s_cbranch_execz .LBB337_1461
; %bb.1454:                             ;   in Loop: Header=BB337_803 Depth=1
	v_lshrrev_b32_e32 v14, 24, v12
	v_bfrev_b32_e32 v118, 1
	s_mov_b32 s12, exec_lo
	s_delay_alu instid0(VALU_DEP_2)
	v_cmpx_ne_u32_e32 0x80, v14
	s_cbranch_execz .LBB337_1460
; %bb.1455:                             ;   in Loop: Header=BB337_803 Depth=1
	v_and_b32_e32 v11, 0x7f, v14
	v_mov_b32_e32 v118, 0x7fc02000
	s_mov_b32 s13, exec_lo
	s_delay_alu instid0(VALU_DEP_2)
	v_cmpx_ne_u32_e32 0x7f, v11
	s_cbranch_execz .LBB337_1459
; %bb.1456:                             ;   in Loop: Header=BB337_803 Depth=1
	v_and_b32_e32 v0, 7, v14
	v_lshrrev_b32_e32 v118, 3, v11
	v_cmp_gt_u32_e64 s0, 8, v11
	s_delay_alu instid0(VALU_DEP_3) | instskip(NEXT) | instid1(VALU_DEP_2)
	v_dual_mov_b32 v12, v1 :: v_dual_mov_b32 v11, v0
	s_and_saveexec_b32 s15, s0
; %bb.1457:                             ;   in Loop: Header=BB337_803 Depth=1
	v_clz_i32_u32_e32 v11, v0
	s_delay_alu instid0(VALU_DEP_1) | instskip(NEXT) | instid1(VALU_DEP_1)
	v_min_u32_e32 v118, 32, v11
	v_subrev_nc_u32_e32 v11, 28, v118
	v_sub_nc_u32_e32 v118, 29, v118
	s_delay_alu instid0(VALU_DEP_2) | instskip(NEXT) | instid1(VALU_DEP_1)
	v_lshlrev_b64 v[11:12], v11, v[0:1]
	v_and_b32_e32 v11, 7, v11
; %bb.1458:                             ;   in Loop: Header=BB337_803 Depth=1
	s_or_b32 exec_lo, exec_lo, s15
	v_lshlrev_b32_e32 v0, 8, v14
	v_lshl_add_u32 v12, v118, 10, 0x2000
	s_delay_alu instid0(VALU_DEP_1) | instskip(NEXT) | instid1(VALU_DEP_1)
	v_and_or_b32 v0, 0x8000, v0, v12
	v_lshl_or_b32 v0, v11, 7, v0
	s_delay_alu instid0(VALU_DEP_1)
	v_cvt_f32_f16_e32 v118, v0
.LBB337_1459:                           ;   in Loop: Header=BB337_803 Depth=1
	s_or_b32 exec_lo, exec_lo, s13
.LBB337_1460:                           ;   in Loop: Header=BB337_803 Depth=1
	s_delay_alu instid0(SALU_CYCLE_1)
	s_or_b32 exec_lo, exec_lo, s12
.LBB337_1461:                           ;   in Loop: Header=BB337_803 Depth=1
	s_delay_alu instid0(SALU_CYCLE_1)
	s_or_b32 exec_lo, exec_lo, s10
	s_waitcnt vmcnt(0) lgkmcnt(0)
	v_fma_mixlo_f16 v12, v103, v113, 0
	v_fma_mixlo_f16 v0, v103, v115, 0
	;; [unrolled: 1-line block ×5, first 2 shown]
	v_lshlrev_b32_e32 v14, 16, v12
	v_fma_mixlo_f16 v114, v103, v116, 0
	v_fma_mixlo_f16 v115, v103, v118, 0
	;; [unrolled: 1-line block ×3, first 2 shown]
	v_lshlrev_b32_e32 v0, 16, v0
	v_and_b32_e32 v11, 0xffff, v11
	v_and_b32_e32 v103, 0xffff, v112
	v_lshlrev_b32_e32 v112, 16, v113
	v_and_b32_e32 v113, 0xffff, v114
	v_lshlrev_b32_e32 v114, 16, v115
	v_and_b32_e32 v115, 0xffff, v12
	v_or_b32_e32 v13, v0, v11
	v_or_b32_e32 v14, v14, v103
	;; [unrolled: 1-line block ×3, first 2 shown]
	s_delay_alu instid0(VALU_DEP_4)
	v_or_b32_e32 v11, v114, v115
	s_and_saveexec_b32 s10, vcc_lo
	s_cbranch_execz .LBB337_1463
; %bb.1462:                             ;   in Loop: Header=BB337_803 Depth=1
	v_cmp_lt_i32_e64 s0, v15, v35
	v_lshrrev_b32_e32 v103, 16, v14
	v_lshrrev_b32_e32 v112, 16, v13
	;; [unrolled: 1-line block ×4, first 2 shown]
	v_cndmask_b32_e64 v14, 0, v14, s0
	v_cmp_lt_i32_e64 s0, v64, v39
	s_delay_alu instid0(VALU_DEP_1) | instskip(SKIP_1) | instid1(VALU_DEP_2)
	v_cndmask_b32_e64 v103, 0, v103, s0
	v_cmp_lt_i32_e64 s0, v55, v39
	v_perm_b32 v14, v103, v14, 0x5040100
	s_delay_alu instid0(VALU_DEP_2) | instskip(SKIP_1) | instid1(VALU_DEP_1)
	v_cndmask_b32_e64 v112, 0, v112, s0
	v_cmp_lt_i32_e64 s0, v54, v35
	v_cndmask_b32_e64 v13, 0, v13, s0
	v_cmp_lt_i32_e64 s0, v53, v39
	s_delay_alu instid0(VALU_DEP_2) | instskip(NEXT) | instid1(VALU_DEP_2)
	v_perm_b32 v13, v112, v13, 0x5040100
	v_cndmask_b32_e64 v113, 0, v113, s0
	v_cmp_lt_i32_e64 s0, v48, v35
	s_delay_alu instid0(VALU_DEP_1) | instskip(SKIP_1) | instid1(VALU_DEP_2)
	v_cndmask_b32_e64 v0, 0, v0, s0
	v_cmp_lt_i32_e64 s0, v23, v39
	v_perm_b32 v0, v113, v0, 0x5040100
	s_delay_alu instid0(VALU_DEP_2) | instskip(SKIP_1) | instid1(VALU_DEP_1)
	v_cndmask_b32_e64 v11, 0, v11, s0
	v_cmp_lt_i32_e64 s0, v17, v35
	v_cndmask_b32_e64 v12, 0, v12, s0
	s_delay_alu instid0(VALU_DEP_1)
	v_perm_b32 v11, v11, v12, 0x5040100
.LBB337_1463:                           ;   in Loop: Header=BB337_803 Depth=1
	s_or_b32 exec_lo, exec_lo, s10
	;;#ASMSTART
	v_pk_mul_f16 v12, v70, v14;

	;;#ASMEND
	;;#ASMSTART
	v_pk_mul_f16 v13, v68, v13;

	;;#ASMEND
	;;#ASMSTART
	v_pk_mul_f16 v0, v66, v0;

	;;#ASMEND
	;;#ASMSTART
	v_pk_mul_f16 v11, v65, v11;

	;;#ASMEND
	;;#ASMSTART
	v_pk_add_f16 v12, v12, v13;

	;;#ASMEND
	;;#ASMSTART
	v_pk_add_f16 v0, v12, v0;

	;;#ASMEND
	;; [unrolled: 4-line block ×3, first 2 shown]
	v_dual_mov_b32 v114, 0 :: v_dual_and_b32 v11, 0xffff, v0
	v_lshrrev_b32_e32 v0, 16, v0
	;;#ASMSTART
	v_cvt_f32_f16 v103, v11;
	;;#ASMEND
	;;#ASMSTART
	v_cvt_f32_f16 v112, v0;
	;;#ASMEND
	flat_load_b64 v[11:12], v[9:10] offset:2560
	flat_load_b32 v113, v[26:27]
	s_mov_b32 s10, exec_lo
	s_waitcnt vmcnt(1) lgkmcnt(1)
	v_dual_mov_b32 v115, 0 :: v_dual_and_b32 v0, 0xff, v11
	s_delay_alu instid0(VALU_DEP_1)
	v_cmpx_ne_u16_e32 0, v0
	s_cbranch_execz .LBB337_1471
; %bb.1464:                             ;   in Loop: Header=BB337_803 Depth=1
	v_bfrev_b32_e32 v114, 1
	s_mov_b32 s12, exec_lo
	v_cmpx_ne_u16_e32 0x80, v0
	s_cbranch_execz .LBB337_1470
; %bb.1465:                             ;   in Loop: Header=BB337_803 Depth=1
	v_and_b32_e32 v13, 0x7f, v11
	v_mov_b32_e32 v114, 0x7fc02000
	s_mov_b32 s13, exec_lo
	s_delay_alu instid0(VALU_DEP_2)
	v_cmpx_ne_u32_e32 0x7f, v13
	s_cbranch_execz .LBB337_1469
; %bb.1466:                             ;   in Loop: Header=BB337_803 Depth=1
	v_lshrrev_b32_e32 v0, 3, v13
	v_cmp_gt_u32_e64 s0, 8, v13
	v_dual_mov_b32 v14, v12 :: v_dual_mov_b32 v13, v11
	s_delay_alu instid0(VALU_DEP_2)
	s_and_saveexec_b32 s15, s0
; %bb.1467:                             ;   in Loop: Header=BB337_803 Depth=1
	v_and_b32_e32 v0, 7, v11
	s_delay_alu instid0(VALU_DEP_1) | instskip(NEXT) | instid1(VALU_DEP_1)
	v_clz_i32_u32_e32 v0, v0
	v_min_u32_e32 v0, 32, v0
	s_delay_alu instid0(VALU_DEP_1) | instskip(SKIP_1) | instid1(VALU_DEP_2)
	v_subrev_nc_u32_e32 v13, 28, v0
	v_sub_nc_u32_e32 v0, 29, v0
	v_lshlrev_b64 v[13:14], v13, v[11:12]
; %bb.1468:                             ;   in Loop: Header=BB337_803 Depth=1
	s_or_b32 exec_lo, exec_lo, s15
	v_lshlrev_b32_e32 v14, 8, v11
	s_delay_alu instid0(VALU_DEP_3) | instskip(NEXT) | instid1(VALU_DEP_3)
	v_lshl_add_u32 v0, v0, 10, 0x2000
	v_lshlrev_b32_e32 v13, 7, v13
	s_delay_alu instid0(VALU_DEP_2) | instskip(NEXT) | instid1(VALU_DEP_1)
	v_and_or_b32 v0, 0x8000, v14, v0
	v_and_or_b32 v0, 0x380, v13, v0
	s_delay_alu instid0(VALU_DEP_1)
	v_cvt_f32_f16_e32 v114, v0
.LBB337_1469:                           ;   in Loop: Header=BB337_803 Depth=1
	s_or_b32 exec_lo, exec_lo, s13
.LBB337_1470:                           ;   in Loop: Header=BB337_803 Depth=1
	s_delay_alu instid0(SALU_CYCLE_1)
	s_or_b32 exec_lo, exec_lo, s12
.LBB337_1471:                           ;   in Loop: Header=BB337_803 Depth=1
	s_delay_alu instid0(SALU_CYCLE_1) | instskip(SKIP_2) | instid1(VALU_DEP_1)
	s_or_b32 exec_lo, exec_lo, s10
	v_lshrrev_b16 v0, 8, v11
	s_mov_b32 s10, exec_lo
	v_cmpx_ne_u16_e32 0, v0
	s_cbranch_execz .LBB337_1479
; %bb.1472:                             ;   in Loop: Header=BB337_803 Depth=1
	v_bfrev_b32_e32 v115, 1
	s_mov_b32 s12, exec_lo
	v_cmpx_ne_u16_e32 0x80, v0
	s_cbranch_execz .LBB337_1478
; %bb.1473:                             ;   in Loop: Header=BB337_803 Depth=1
	v_and_b32_e32 v116, 0xffff, v0
	v_mov_b32_e32 v115, 0x7fc02000
	s_mov_b32 s13, exec_lo
	s_delay_alu instid0(VALU_DEP_2) | instskip(NEXT) | instid1(VALU_DEP_1)
	v_and_b32_e32 v13, 0x7f, v116
	v_cmpx_ne_u32_e32 0x7f, v13
	s_cbranch_execz .LBB337_1477
; %bb.1474:                             ;   in Loop: Header=BB337_803 Depth=1
	v_and_b32_e32 v0, 7, v116
	v_lshrrev_b32_e32 v115, 3, v13
	v_cmp_gt_u32_e64 s0, 8, v13
	s_delay_alu instid0(VALU_DEP_3) | instskip(NEXT) | instid1(VALU_DEP_2)
	v_dual_mov_b32 v14, v1 :: v_dual_mov_b32 v13, v0
	s_and_saveexec_b32 s15, s0
; %bb.1475:                             ;   in Loop: Header=BB337_803 Depth=1
	v_clz_i32_u32_e32 v13, v0
	s_delay_alu instid0(VALU_DEP_1) | instskip(NEXT) | instid1(VALU_DEP_1)
	v_min_u32_e32 v115, 32, v13
	v_subrev_nc_u32_e32 v13, 28, v115
	v_sub_nc_u32_e32 v115, 29, v115
	s_delay_alu instid0(VALU_DEP_2) | instskip(NEXT) | instid1(VALU_DEP_1)
	v_lshlrev_b64 v[13:14], v13, v[0:1]
	v_and_b32_e32 v13, 7, v13
; %bb.1476:                             ;   in Loop: Header=BB337_803 Depth=1
	s_or_b32 exec_lo, exec_lo, s15
	v_lshlrev_b32_e32 v0, 8, v116
	v_lshl_add_u32 v14, v115, 10, 0x2000
	s_delay_alu instid0(VALU_DEP_1) | instskip(NEXT) | instid1(VALU_DEP_1)
	v_and_or_b32 v0, 0x8000, v0, v14
	v_lshl_or_b32 v0, v13, 7, v0
	s_delay_alu instid0(VALU_DEP_1)
	v_cvt_f32_f16_e32 v115, v0
.LBB337_1477:                           ;   in Loop: Header=BB337_803 Depth=1
	s_or_b32 exec_lo, exec_lo, s13
.LBB337_1478:                           ;   in Loop: Header=BB337_803 Depth=1
	s_delay_alu instid0(SALU_CYCLE_1)
	s_or_b32 exec_lo, exec_lo, s12
.LBB337_1479:                           ;   in Loop: Header=BB337_803 Depth=1
	s_delay_alu instid0(SALU_CYCLE_1) | instskip(SKIP_3) | instid1(VALU_DEP_2)
	s_or_b32 exec_lo, exec_lo, s10
	v_lshrrev_b32_e32 v118, 16, v11
	v_mov_b32_e32 v116, 0
	s_mov_b32 s10, exec_lo
	v_dual_mov_b32 v117, 0 :: v_dual_and_b32 v0, 0xff, v118
	s_delay_alu instid0(VALU_DEP_1)
	v_cmpx_ne_u16_e32 0, v0
	s_cbranch_execz .LBB337_1487
; %bb.1480:                             ;   in Loop: Header=BB337_803 Depth=1
	v_bfrev_b32_e32 v116, 1
	s_mov_b32 s12, exec_lo
	v_cmpx_ne_u16_e32 0x80, v0
	s_cbranch_execz .LBB337_1486
; %bb.1481:                             ;   in Loop: Header=BB337_803 Depth=1
	v_bfe_u32 v13, v11, 16, 7
	v_mov_b32_e32 v116, 0x7fc02000
	s_mov_b32 s13, exec_lo
	s_delay_alu instid0(VALU_DEP_2)
	v_cmpx_ne_u32_e32 0x7f, v13
	s_cbranch_execz .LBB337_1485
; %bb.1482:                             ;   in Loop: Header=BB337_803 Depth=1
	v_and_b32_e32 v0, 7, v118
	v_lshrrev_b32_e32 v116, 3, v13
	v_cmp_gt_u32_e64 s0, 8, v13
	s_delay_alu instid0(VALU_DEP_3) | instskip(NEXT) | instid1(VALU_DEP_2)
	v_dual_mov_b32 v14, v1 :: v_dual_mov_b32 v13, v0
	s_and_saveexec_b32 s15, s0
; %bb.1483:                             ;   in Loop: Header=BB337_803 Depth=1
	v_clz_i32_u32_e32 v13, v0
	s_delay_alu instid0(VALU_DEP_1) | instskip(NEXT) | instid1(VALU_DEP_1)
	v_min_u32_e32 v116, 32, v13
	v_subrev_nc_u32_e32 v13, 28, v116
	v_sub_nc_u32_e32 v116, 29, v116
	s_delay_alu instid0(VALU_DEP_2) | instskip(NEXT) | instid1(VALU_DEP_1)
	v_lshlrev_b64 v[13:14], v13, v[0:1]
	v_and_b32_e32 v13, 7, v13
; %bb.1484:                             ;   in Loop: Header=BB337_803 Depth=1
	s_or_b32 exec_lo, exec_lo, s15
	v_lshlrev_b32_e32 v0, 8, v118
	v_lshl_add_u32 v14, v116, 10, 0x2000
	s_delay_alu instid0(VALU_DEP_1) | instskip(NEXT) | instid1(VALU_DEP_1)
	v_and_or_b32 v0, 0x8000, v0, v14
	v_lshl_or_b32 v0, v13, 7, v0
	s_delay_alu instid0(VALU_DEP_1)
	v_cvt_f32_f16_e32 v116, v0
.LBB337_1485:                           ;   in Loop: Header=BB337_803 Depth=1
	s_or_b32 exec_lo, exec_lo, s13
.LBB337_1486:                           ;   in Loop: Header=BB337_803 Depth=1
	s_delay_alu instid0(SALU_CYCLE_1)
	s_or_b32 exec_lo, exec_lo, s12
.LBB337_1487:                           ;   in Loop: Header=BB337_803 Depth=1
	s_delay_alu instid0(SALU_CYCLE_1) | instskip(NEXT) | instid1(SALU_CYCLE_1)
	s_or_b32 exec_lo, exec_lo, s10
	s_mov_b32 s10, exec_lo
	v_cmpx_lt_u32_e32 0xffffff, v11
	s_cbranch_execz .LBB337_1495
; %bb.1488:                             ;   in Loop: Header=BB337_803 Depth=1
	v_lshrrev_b32_e32 v118, 24, v11
	v_bfrev_b32_e32 v117, 1
	s_mov_b32 s12, exec_lo
	s_delay_alu instid0(VALU_DEP_2)
	v_cmpx_ne_u32_e32 0x80, v118
	s_cbranch_execz .LBB337_1494
; %bb.1489:                             ;   in Loop: Header=BB337_803 Depth=1
	v_and_b32_e32 v13, 0x7f, v118
	v_mov_b32_e32 v117, 0x7fc02000
	s_mov_b32 s13, exec_lo
	s_delay_alu instid0(VALU_DEP_2)
	v_cmpx_ne_u32_e32 0x7f, v13
	s_cbranch_execz .LBB337_1493
; %bb.1490:                             ;   in Loop: Header=BB337_803 Depth=1
	v_and_b32_e32 v0, 7, v118
	v_lshrrev_b32_e32 v117, 3, v13
	v_cmp_gt_u32_e64 s0, 8, v13
	s_delay_alu instid0(VALU_DEP_3) | instskip(NEXT) | instid1(VALU_DEP_2)
	v_dual_mov_b32 v14, v1 :: v_dual_mov_b32 v13, v0
	s_and_saveexec_b32 s15, s0
; %bb.1491:                             ;   in Loop: Header=BB337_803 Depth=1
	v_clz_i32_u32_e32 v13, v0
	s_delay_alu instid0(VALU_DEP_1) | instskip(NEXT) | instid1(VALU_DEP_1)
	v_min_u32_e32 v117, 32, v13
	v_subrev_nc_u32_e32 v13, 28, v117
	v_sub_nc_u32_e32 v117, 29, v117
	s_delay_alu instid0(VALU_DEP_2) | instskip(NEXT) | instid1(VALU_DEP_1)
	v_lshlrev_b64 v[13:14], v13, v[0:1]
	v_and_b32_e32 v13, 7, v13
; %bb.1492:                             ;   in Loop: Header=BB337_803 Depth=1
	s_or_b32 exec_lo, exec_lo, s15
	v_lshlrev_b32_e32 v0, 8, v118
	v_lshl_add_u32 v14, v117, 10, 0x2000
	s_delay_alu instid0(VALU_DEP_1) | instskip(NEXT) | instid1(VALU_DEP_1)
	v_and_or_b32 v0, 0x8000, v0, v14
	v_lshl_or_b32 v0, v13, 7, v0
	s_delay_alu instid0(VALU_DEP_1)
	v_cvt_f32_f16_e32 v117, v0
.LBB337_1493:                           ;   in Loop: Header=BB337_803 Depth=1
	s_or_b32 exec_lo, exec_lo, s13
.LBB337_1494:                           ;   in Loop: Header=BB337_803 Depth=1
	s_delay_alu instid0(SALU_CYCLE_1)
	s_or_b32 exec_lo, exec_lo, s12
.LBB337_1495:                           ;   in Loop: Header=BB337_803 Depth=1
	s_delay_alu instid0(SALU_CYCLE_1) | instskip(SKIP_3) | instid1(VALU_DEP_2)
	s_or_b32 exec_lo, exec_lo, s10
	v_dual_mov_b32 v0, v12 :: v_dual_and_b32 v13, 0xff, v12
	v_dual_mov_b32 v119, 0 :: v_dual_mov_b32 v118, 0
	s_mov_b32 s10, exec_lo
	v_cmpx_ne_u16_e32 0, v13
	s_cbranch_execz .LBB337_1503
; %bb.1496:                             ;   in Loop: Header=BB337_803 Depth=1
	v_bfrev_b32_e32 v118, 1
	s_mov_b32 s12, exec_lo
	v_cmpx_ne_u16_e32 0x80, v13
	s_cbranch_execz .LBB337_1502
; %bb.1497:                             ;   in Loop: Header=BB337_803 Depth=1
	v_and_b32_e32 v13, 0x7f, v12
	v_mov_b32_e32 v118, 0x7fc02000
	s_mov_b32 s13, exec_lo
	s_delay_alu instid0(VALU_DEP_2)
	v_cmpx_ne_u32_e32 0x7f, v13
	s_cbranch_execz .LBB337_1501
; %bb.1498:                             ;   in Loop: Header=BB337_803 Depth=1
	v_lshrrev_b32_e32 v118, 3, v13
	v_cmp_gt_u32_e64 s0, 8, v13
	v_dual_mov_b32 v14, v1 :: v_dual_mov_b32 v13, v0
	s_delay_alu instid0(VALU_DEP_2)
	s_and_saveexec_b32 s15, s0
; %bb.1499:                             ;   in Loop: Header=BB337_803 Depth=1
	v_and_b32_e32 v13, 7, v12
	s_delay_alu instid0(VALU_DEP_1) | instskip(NEXT) | instid1(VALU_DEP_1)
	v_clz_i32_u32_e32 v13, v13
	v_min_u32_e32 v118, 32, v13
	s_delay_alu instid0(VALU_DEP_1) | instskip(SKIP_1) | instid1(VALU_DEP_2)
	v_subrev_nc_u32_e32 v13, 28, v118
	v_sub_nc_u32_e32 v118, 29, v118
	v_lshlrev_b64 v[13:14], v13, v[0:1]
; %bb.1500:                             ;   in Loop: Header=BB337_803 Depth=1
	s_or_b32 exec_lo, exec_lo, s15
	v_lshlrev_b32_e32 v14, 8, v12
	s_delay_alu instid0(VALU_DEP_3) | instskip(NEXT) | instid1(VALU_DEP_3)
	v_lshl_add_u32 v118, v118, 10, 0x2000
	v_lshlrev_b32_e32 v13, 7, v13
	s_delay_alu instid0(VALU_DEP_2) | instskip(NEXT) | instid1(VALU_DEP_1)
	v_and_or_b32 v14, 0x8000, v14, v118
	v_and_or_b32 v13, 0x380, v13, v14
	s_delay_alu instid0(VALU_DEP_1)
	v_cvt_f32_f16_e32 v118, v13
.LBB337_1501:                           ;   in Loop: Header=BB337_803 Depth=1
	s_or_b32 exec_lo, exec_lo, s13
.LBB337_1502:                           ;   in Loop: Header=BB337_803 Depth=1
	s_delay_alu instid0(SALU_CYCLE_1)
	s_or_b32 exec_lo, exec_lo, s12
.LBB337_1503:                           ;   in Loop: Header=BB337_803 Depth=1
	s_delay_alu instid0(SALU_CYCLE_1) | instskip(SKIP_2) | instid1(VALU_DEP_1)
	s_or_b32 exec_lo, exec_lo, s10
	v_lshrrev_b16 v0, 8, v0
	s_mov_b32 s10, exec_lo
	v_cmpx_ne_u16_e32 0, v0
	s_cbranch_execz .LBB337_1511
; %bb.1504:                             ;   in Loop: Header=BB337_803 Depth=1
	v_bfrev_b32_e32 v119, 1
	s_mov_b32 s12, exec_lo
	v_cmpx_ne_u16_e32 0x80, v0
	s_cbranch_execz .LBB337_1510
; %bb.1505:                             ;   in Loop: Header=BB337_803 Depth=1
	v_and_b32_e32 v128, 0xffff, v0
	v_mov_b32_e32 v119, 0x7fc02000
	s_mov_b32 s13, exec_lo
	s_delay_alu instid0(VALU_DEP_2) | instskip(NEXT) | instid1(VALU_DEP_1)
	v_and_b32_e32 v13, 0x7f, v128
	v_cmpx_ne_u32_e32 0x7f, v13
	s_cbranch_execz .LBB337_1509
; %bb.1506:                             ;   in Loop: Header=BB337_803 Depth=1
	v_and_b32_e32 v0, 7, v128
	v_lshrrev_b32_e32 v119, 3, v13
	v_cmp_gt_u32_e64 s0, 8, v13
	s_delay_alu instid0(VALU_DEP_3) | instskip(NEXT) | instid1(VALU_DEP_2)
	v_dual_mov_b32 v14, v1 :: v_dual_mov_b32 v13, v0
	s_and_saveexec_b32 s15, s0
; %bb.1507:                             ;   in Loop: Header=BB337_803 Depth=1
	v_clz_i32_u32_e32 v13, v0
	s_delay_alu instid0(VALU_DEP_1) | instskip(NEXT) | instid1(VALU_DEP_1)
	v_min_u32_e32 v119, 32, v13
	v_subrev_nc_u32_e32 v13, 28, v119
	v_sub_nc_u32_e32 v119, 29, v119
	s_delay_alu instid0(VALU_DEP_2) | instskip(NEXT) | instid1(VALU_DEP_1)
	v_lshlrev_b64 v[13:14], v13, v[0:1]
	v_and_b32_e32 v13, 7, v13
; %bb.1508:                             ;   in Loop: Header=BB337_803 Depth=1
	s_or_b32 exec_lo, exec_lo, s15
	v_lshlrev_b32_e32 v0, 8, v128
	v_lshl_add_u32 v14, v119, 10, 0x2000
	s_delay_alu instid0(VALU_DEP_1) | instskip(NEXT) | instid1(VALU_DEP_1)
	v_and_or_b32 v0, 0x8000, v0, v14
	v_lshl_or_b32 v0, v13, 7, v0
	s_delay_alu instid0(VALU_DEP_1)
	v_cvt_f32_f16_e32 v119, v0
.LBB337_1509:                           ;   in Loop: Header=BB337_803 Depth=1
	s_or_b32 exec_lo, exec_lo, s13
.LBB337_1510:                           ;   in Loop: Header=BB337_803 Depth=1
	s_delay_alu instid0(SALU_CYCLE_1)
	s_or_b32 exec_lo, exec_lo, s12
.LBB337_1511:                           ;   in Loop: Header=BB337_803 Depth=1
	s_delay_alu instid0(SALU_CYCLE_1) | instskip(SKIP_3) | instid1(VALU_DEP_2)
	s_or_b32 exec_lo, exec_lo, s10
	v_lshrrev_b32_e32 v129, 16, v12
	v_mov_b32_e32 v128, 0
	s_mov_b32 s10, exec_lo
	v_dual_mov_b32 v13, 0 :: v_dual_and_b32 v0, 0xff, v129
	s_delay_alu instid0(VALU_DEP_1)
	v_cmpx_ne_u16_e32 0, v0
	s_cbranch_execz .LBB337_1519
; %bb.1512:                             ;   in Loop: Header=BB337_803 Depth=1
	v_bfrev_b32_e32 v13, 1
	s_mov_b32 s12, exec_lo
	v_cmpx_ne_u16_e32 0x80, v0
	s_cbranch_execz .LBB337_1518
; %bb.1513:                             ;   in Loop: Header=BB337_803 Depth=1
	v_bfe_u32 v14, v12, 16, 7
	v_mov_b32_e32 v13, 0x7fc02000
	s_mov_b32 s13, exec_lo
	s_delay_alu instid0(VALU_DEP_2)
	v_cmpx_ne_u32_e32 0x7f, v14
	s_cbranch_execz .LBB337_1517
; %bb.1514:                             ;   in Loop: Header=BB337_803 Depth=1
	v_and_b32_e32 v0, 7, v129
	v_lshrrev_b32_e32 v130, 3, v14
	v_cmp_gt_u32_e64 s0, 8, v14
	s_delay_alu instid0(VALU_DEP_3) | instskip(NEXT) | instid1(VALU_DEP_2)
	v_dual_mov_b32 v14, v1 :: v_dual_mov_b32 v13, v0
	s_and_saveexec_b32 s15, s0
; %bb.1515:                             ;   in Loop: Header=BB337_803 Depth=1
	v_clz_i32_u32_e32 v13, v0
	s_delay_alu instid0(VALU_DEP_1) | instskip(NEXT) | instid1(VALU_DEP_1)
	v_min_u32_e32 v130, 32, v13
	v_subrev_nc_u32_e32 v13, 28, v130
	v_sub_nc_u32_e32 v130, 29, v130
	s_delay_alu instid0(VALU_DEP_2) | instskip(NEXT) | instid1(VALU_DEP_1)
	v_lshlrev_b64 v[13:14], v13, v[0:1]
	v_and_b32_e32 v13, 7, v13
; %bb.1516:                             ;   in Loop: Header=BB337_803 Depth=1
	s_or_b32 exec_lo, exec_lo, s15
	v_lshlrev_b32_e32 v0, 8, v129
	v_lshl_add_u32 v14, v130, 10, 0x2000
	s_delay_alu instid0(VALU_DEP_1) | instskip(NEXT) | instid1(VALU_DEP_1)
	v_and_or_b32 v0, 0x8000, v0, v14
	v_lshl_or_b32 v0, v13, 7, v0
	s_delay_alu instid0(VALU_DEP_1)
	v_cvt_f32_f16_e32 v13, v0
.LBB337_1517:                           ;   in Loop: Header=BB337_803 Depth=1
	s_or_b32 exec_lo, exec_lo, s13
.LBB337_1518:                           ;   in Loop: Header=BB337_803 Depth=1
	s_delay_alu instid0(SALU_CYCLE_1)
	s_or_b32 exec_lo, exec_lo, s12
.LBB337_1519:                           ;   in Loop: Header=BB337_803 Depth=1
	s_delay_alu instid0(SALU_CYCLE_1) | instskip(NEXT) | instid1(SALU_CYCLE_1)
	s_or_b32 exec_lo, exec_lo, s10
	s_mov_b32 s10, exec_lo
	v_cmpx_lt_u64_e64 s[8:9], v[11:12]
	s_cbranch_execz .LBB337_1527
; %bb.1520:                             ;   in Loop: Header=BB337_803 Depth=1
	v_lshrrev_b32_e32 v14, 24, v12
	v_bfrev_b32_e32 v128, 1
	s_mov_b32 s12, exec_lo
	s_delay_alu instid0(VALU_DEP_2)
	v_cmpx_ne_u32_e32 0x80, v14
	s_cbranch_execz .LBB337_1526
; %bb.1521:                             ;   in Loop: Header=BB337_803 Depth=1
	v_and_b32_e32 v11, 0x7f, v14
	v_mov_b32_e32 v128, 0x7fc02000
	s_mov_b32 s13, exec_lo
	s_delay_alu instid0(VALU_DEP_2)
	v_cmpx_ne_u32_e32 0x7f, v11
	s_cbranch_execz .LBB337_1525
; %bb.1522:                             ;   in Loop: Header=BB337_803 Depth=1
	v_and_b32_e32 v0, 7, v14
	v_lshrrev_b32_e32 v128, 3, v11
	v_cmp_gt_u32_e64 s0, 8, v11
	s_delay_alu instid0(VALU_DEP_3) | instskip(NEXT) | instid1(VALU_DEP_2)
	v_dual_mov_b32 v12, v1 :: v_dual_mov_b32 v11, v0
	s_and_saveexec_b32 s15, s0
; %bb.1523:                             ;   in Loop: Header=BB337_803 Depth=1
	v_clz_i32_u32_e32 v11, v0
	s_delay_alu instid0(VALU_DEP_1) | instskip(NEXT) | instid1(VALU_DEP_1)
	v_min_u32_e32 v128, 32, v11
	v_subrev_nc_u32_e32 v11, 28, v128
	v_sub_nc_u32_e32 v128, 29, v128
	s_delay_alu instid0(VALU_DEP_2) | instskip(NEXT) | instid1(VALU_DEP_1)
	v_lshlrev_b64 v[11:12], v11, v[0:1]
	v_and_b32_e32 v11, 7, v11
; %bb.1524:                             ;   in Loop: Header=BB337_803 Depth=1
	s_or_b32 exec_lo, exec_lo, s15
	v_lshlrev_b32_e32 v0, 8, v14
	v_lshl_add_u32 v12, v128, 10, 0x2000
	s_delay_alu instid0(VALU_DEP_1) | instskip(NEXT) | instid1(VALU_DEP_1)
	v_and_or_b32 v0, 0x8000, v0, v12
	v_lshl_or_b32 v0, v11, 7, v0
	s_delay_alu instid0(VALU_DEP_1)
	v_cvt_f32_f16_e64 v128, v0
.LBB337_1525:                           ;   in Loop: Header=BB337_803 Depth=1
	s_or_b32 exec_lo, exec_lo, s13
.LBB337_1526:                           ;   in Loop: Header=BB337_803 Depth=1
	s_delay_alu instid0(SALU_CYCLE_1)
	s_or_b32 exec_lo, exec_lo, s12
.LBB337_1527:                           ;   in Loop: Header=BB337_803 Depth=1
	s_delay_alu instid0(SALU_CYCLE_1)
	s_or_b32 exec_lo, exec_lo, s10
	s_waitcnt vmcnt(0) lgkmcnt(0)
	v_fma_mixlo_f16 v12, v113, v115, 0
	v_fma_mixlo_f16 v0, v113, v117, 0
	;; [unrolled: 1-line block ×5, first 2 shown]
	v_lshlrev_b32_e32 v14, 16, v12
	v_fma_mixlo_f16 v116, v113, v118, 0
	v_fma_mixlo_f16 v117, v113, v128, 0
	;; [unrolled: 1-line block ×3, first 2 shown]
	v_lshlrev_b32_e32 v0, 16, v0
	v_and_b32_e32 v11, 0xffff, v11
	v_and_b32_e32 v113, 0xffff, v114
	v_lshlrev_b32_e32 v114, 16, v115
	v_and_b32_e32 v115, 0xffff, v116
	v_lshlrev_b32_e32 v116, 16, v117
	v_and_b32_e32 v117, 0xffff, v12
	v_or_b32_e32 v13, v0, v11
	v_or_b32_e32 v14, v14, v113
	;; [unrolled: 1-line block ×3, first 2 shown]
	s_delay_alu instid0(VALU_DEP_4)
	v_or_b32_e32 v11, v116, v117
	s_and_saveexec_b32 s10, vcc_lo
	s_cbranch_execz .LBB337_1529
; %bb.1528:                             ;   in Loop: Header=BB337_803 Depth=1
	v_cmp_lt_i32_e64 s0, v15, v35
	v_lshrrev_b32_e32 v113, 16, v14
	v_lshrrev_b32_e32 v114, 16, v13
	;; [unrolled: 1-line block ×4, first 2 shown]
	v_cndmask_b32_e64 v14, 0, v14, s0
	v_cmp_lt_i32_e64 s0, v64, v39
	s_delay_alu instid0(VALU_DEP_1) | instskip(SKIP_1) | instid1(VALU_DEP_2)
	v_cndmask_b32_e64 v113, 0, v113, s0
	v_cmp_lt_i32_e64 s0, v55, v39
	v_perm_b32 v14, v113, v14, 0x5040100
	s_delay_alu instid0(VALU_DEP_2) | instskip(SKIP_1) | instid1(VALU_DEP_1)
	v_cndmask_b32_e64 v114, 0, v114, s0
	v_cmp_lt_i32_e64 s0, v54, v35
	v_cndmask_b32_e64 v13, 0, v13, s0
	v_cmp_lt_i32_e64 s0, v53, v39
	s_delay_alu instid0(VALU_DEP_2) | instskip(NEXT) | instid1(VALU_DEP_2)
	v_perm_b32 v13, v114, v13, 0x5040100
	v_cndmask_b32_e64 v115, 0, v115, s0
	v_cmp_lt_i32_e64 s0, v48, v35
	s_delay_alu instid0(VALU_DEP_1) | instskip(SKIP_1) | instid1(VALU_DEP_2)
	v_cndmask_b32_e64 v0, 0, v0, s0
	v_cmp_lt_i32_e64 s0, v23, v39
	v_perm_b32 v0, v115, v0, 0x5040100
	s_delay_alu instid0(VALU_DEP_2) | instskip(SKIP_1) | instid1(VALU_DEP_1)
	v_cndmask_b32_e64 v11, 0, v11, s0
	v_cmp_lt_i32_e64 s0, v17, v35
	v_cndmask_b32_e64 v12, 0, v12, s0
	s_delay_alu instid0(VALU_DEP_1)
	v_perm_b32 v11, v11, v12, 0x5040100
.LBB337_1529:                           ;   in Loop: Header=BB337_803 Depth=1
	s_or_b32 exec_lo, exec_lo, s10
	;;#ASMSTART
	v_pk_mul_f16 v12, v70, v14;

	;;#ASMEND
	;;#ASMSTART
	v_pk_mul_f16 v13, v68, v13;

	;;#ASMEND
	;; [unrolled: 4-line block ×4, first 2 shown]
	;;#ASMSTART
	v_pk_add_f16 v12, v12, v13;

	;;#ASMEND
	;;#ASMSTART
	v_pk_add_f16 v0, v12, v0;

	;;#ASMEND
	;; [unrolled: 4-line block ×3, first 2 shown]
	v_dual_mov_b32 v114, 0 :: v_dual_and_b32 v11, 0xffff, v0
	v_lshrrev_b32_e32 v0, 16, v0
	;;#ASMSTART
	v_cvt_f32_f16 v13, v11;
	;;#ASMEND
	;;#ASMSTART
	v_cvt_f32_f16 v14, v0;
	;;#ASMEND
	flat_load_b64 v[9:10], v[9:10] offset:2816
	flat_load_b32 v113, v[26:27]
	s_mov_b32 s10, exec_lo
	s_waitcnt vmcnt(1) lgkmcnt(1)
	v_dual_mov_b32 v115, 0 :: v_dual_and_b32 v0, 0xff, v9
	s_delay_alu instid0(VALU_DEP_1)
	v_cmpx_ne_u16_e32 0, v0
	s_cbranch_execz .LBB337_1537
; %bb.1530:                             ;   in Loop: Header=BB337_803 Depth=1
	v_bfrev_b32_e32 v114, 1
	s_mov_b32 s12, exec_lo
	v_cmpx_ne_u16_e32 0x80, v0
	s_cbranch_execz .LBB337_1536
; %bb.1531:                             ;   in Loop: Header=BB337_803 Depth=1
	v_and_b32_e32 v11, 0x7f, v9
	v_mov_b32_e32 v114, 0x7fc02000
	s_mov_b32 s13, exec_lo
	s_delay_alu instid0(VALU_DEP_2)
	v_cmpx_ne_u32_e32 0x7f, v11
	s_cbranch_execz .LBB337_1535
; %bb.1532:                             ;   in Loop: Header=BB337_803 Depth=1
	v_lshrrev_b32_e32 v0, 3, v11
	v_cmp_gt_u32_e64 s0, 8, v11
	v_dual_mov_b32 v12, v10 :: v_dual_mov_b32 v11, v9
	s_delay_alu instid0(VALU_DEP_2)
	s_and_saveexec_b32 s15, s0
; %bb.1533:                             ;   in Loop: Header=BB337_803 Depth=1
	v_and_b32_e32 v0, 7, v9
	s_delay_alu instid0(VALU_DEP_1) | instskip(NEXT) | instid1(VALU_DEP_1)
	v_clz_i32_u32_e32 v0, v0
	v_min_u32_e32 v0, 32, v0
	s_delay_alu instid0(VALU_DEP_1) | instskip(SKIP_1) | instid1(VALU_DEP_2)
	v_subrev_nc_u32_e32 v11, 28, v0
	v_sub_nc_u32_e32 v0, 29, v0
	v_lshlrev_b64 v[11:12], v11, v[9:10]
; %bb.1534:                             ;   in Loop: Header=BB337_803 Depth=1
	s_or_b32 exec_lo, exec_lo, s15
	v_lshlrev_b32_e32 v12, 8, v9
	s_delay_alu instid0(VALU_DEP_3) | instskip(NEXT) | instid1(VALU_DEP_3)
	v_lshl_add_u32 v0, v0, 10, 0x2000
	v_lshlrev_b32_e32 v11, 7, v11
	s_delay_alu instid0(VALU_DEP_2) | instskip(NEXT) | instid1(VALU_DEP_1)
	v_and_or_b32 v0, 0x8000, v12, v0
	v_and_or_b32 v0, 0x380, v11, v0
	s_delay_alu instid0(VALU_DEP_1)
	v_cvt_f32_f16_e32 v114, v0
.LBB337_1535:                           ;   in Loop: Header=BB337_803 Depth=1
	s_or_b32 exec_lo, exec_lo, s13
.LBB337_1536:                           ;   in Loop: Header=BB337_803 Depth=1
	s_delay_alu instid0(SALU_CYCLE_1)
	s_or_b32 exec_lo, exec_lo, s12
.LBB337_1537:                           ;   in Loop: Header=BB337_803 Depth=1
	s_delay_alu instid0(SALU_CYCLE_1) | instskip(SKIP_2) | instid1(VALU_DEP_1)
	s_or_b32 exec_lo, exec_lo, s10
	v_lshrrev_b16 v0, 8, v9
	s_mov_b32 s10, exec_lo
	v_cmpx_ne_u16_e32 0, v0
	s_cbranch_execz .LBB337_1545
; %bb.1538:                             ;   in Loop: Header=BB337_803 Depth=1
	v_bfrev_b32_e32 v115, 1
	s_mov_b32 s12, exec_lo
	v_cmpx_ne_u16_e32 0x80, v0
	s_cbranch_execz .LBB337_1544
; %bb.1539:                             ;   in Loop: Header=BB337_803 Depth=1
	v_and_b32_e32 v116, 0xffff, v0
	v_mov_b32_e32 v115, 0x7fc02000
	s_mov_b32 s13, exec_lo
	s_delay_alu instid0(VALU_DEP_2) | instskip(NEXT) | instid1(VALU_DEP_1)
	v_and_b32_e32 v11, 0x7f, v116
	v_cmpx_ne_u32_e32 0x7f, v11
	s_cbranch_execz .LBB337_1543
; %bb.1540:                             ;   in Loop: Header=BB337_803 Depth=1
	v_and_b32_e32 v0, 7, v116
	v_lshrrev_b32_e32 v115, 3, v11
	v_cmp_gt_u32_e64 s0, 8, v11
	s_delay_alu instid0(VALU_DEP_3) | instskip(NEXT) | instid1(VALU_DEP_2)
	v_dual_mov_b32 v12, v1 :: v_dual_mov_b32 v11, v0
	s_and_saveexec_b32 s15, s0
; %bb.1541:                             ;   in Loop: Header=BB337_803 Depth=1
	v_clz_i32_u32_e32 v11, v0
	s_delay_alu instid0(VALU_DEP_1) | instskip(NEXT) | instid1(VALU_DEP_1)
	v_min_u32_e32 v115, 32, v11
	v_subrev_nc_u32_e32 v11, 28, v115
	v_sub_nc_u32_e32 v115, 29, v115
	s_delay_alu instid0(VALU_DEP_2) | instskip(NEXT) | instid1(VALU_DEP_1)
	v_lshlrev_b64 v[11:12], v11, v[0:1]
	v_and_b32_e32 v11, 7, v11
; %bb.1542:                             ;   in Loop: Header=BB337_803 Depth=1
	s_or_b32 exec_lo, exec_lo, s15
	v_lshlrev_b32_e32 v0, 8, v116
	v_lshl_add_u32 v12, v115, 10, 0x2000
	s_delay_alu instid0(VALU_DEP_1) | instskip(NEXT) | instid1(VALU_DEP_1)
	v_and_or_b32 v0, 0x8000, v0, v12
	v_lshl_or_b32 v0, v11, 7, v0
	s_delay_alu instid0(VALU_DEP_1)
	v_cvt_f32_f16_e32 v115, v0
.LBB337_1543:                           ;   in Loop: Header=BB337_803 Depth=1
	s_or_b32 exec_lo, exec_lo, s13
.LBB337_1544:                           ;   in Loop: Header=BB337_803 Depth=1
	s_delay_alu instid0(SALU_CYCLE_1)
	s_or_b32 exec_lo, exec_lo, s12
.LBB337_1545:                           ;   in Loop: Header=BB337_803 Depth=1
	s_delay_alu instid0(SALU_CYCLE_1) | instskip(SKIP_3) | instid1(VALU_DEP_2)
	s_or_b32 exec_lo, exec_lo, s10
	v_lshrrev_b32_e32 v118, 16, v9
	v_mov_b32_e32 v116, 0
	s_mov_b32 s10, exec_lo
	v_dual_mov_b32 v117, 0 :: v_dual_and_b32 v0, 0xff, v118
	s_delay_alu instid0(VALU_DEP_1)
	v_cmpx_ne_u16_e32 0, v0
	s_cbranch_execz .LBB337_1553
; %bb.1546:                             ;   in Loop: Header=BB337_803 Depth=1
	v_bfrev_b32_e32 v116, 1
	s_mov_b32 s12, exec_lo
	v_cmpx_ne_u16_e32 0x80, v0
	s_cbranch_execz .LBB337_1552
; %bb.1547:                             ;   in Loop: Header=BB337_803 Depth=1
	v_bfe_u32 v11, v9, 16, 7
	v_mov_b32_e32 v116, 0x7fc02000
	s_mov_b32 s13, exec_lo
	s_delay_alu instid0(VALU_DEP_2)
	v_cmpx_ne_u32_e32 0x7f, v11
	s_cbranch_execz .LBB337_1551
; %bb.1548:                             ;   in Loop: Header=BB337_803 Depth=1
	v_and_b32_e32 v0, 7, v118
	v_lshrrev_b32_e32 v116, 3, v11
	v_cmp_gt_u32_e64 s0, 8, v11
	s_delay_alu instid0(VALU_DEP_3) | instskip(NEXT) | instid1(VALU_DEP_2)
	v_dual_mov_b32 v12, v1 :: v_dual_mov_b32 v11, v0
	s_and_saveexec_b32 s15, s0
; %bb.1549:                             ;   in Loop: Header=BB337_803 Depth=1
	v_clz_i32_u32_e32 v11, v0
	s_delay_alu instid0(VALU_DEP_1) | instskip(NEXT) | instid1(VALU_DEP_1)
	v_min_u32_e32 v116, 32, v11
	v_subrev_nc_u32_e32 v11, 28, v116
	v_sub_nc_u32_e32 v116, 29, v116
	s_delay_alu instid0(VALU_DEP_2) | instskip(NEXT) | instid1(VALU_DEP_1)
	v_lshlrev_b64 v[11:12], v11, v[0:1]
	v_and_b32_e32 v11, 7, v11
; %bb.1550:                             ;   in Loop: Header=BB337_803 Depth=1
	s_or_b32 exec_lo, exec_lo, s15
	v_lshlrev_b32_e32 v0, 8, v118
	v_lshl_add_u32 v12, v116, 10, 0x2000
	s_delay_alu instid0(VALU_DEP_1) | instskip(NEXT) | instid1(VALU_DEP_1)
	v_and_or_b32 v0, 0x8000, v0, v12
	v_lshl_or_b32 v0, v11, 7, v0
	s_delay_alu instid0(VALU_DEP_1)
	v_cvt_f32_f16_e32 v116, v0
.LBB337_1551:                           ;   in Loop: Header=BB337_803 Depth=1
	s_or_b32 exec_lo, exec_lo, s13
.LBB337_1552:                           ;   in Loop: Header=BB337_803 Depth=1
	s_delay_alu instid0(SALU_CYCLE_1)
	s_or_b32 exec_lo, exec_lo, s12
.LBB337_1553:                           ;   in Loop: Header=BB337_803 Depth=1
	s_delay_alu instid0(SALU_CYCLE_1) | instskip(NEXT) | instid1(SALU_CYCLE_1)
	s_or_b32 exec_lo, exec_lo, s10
	s_mov_b32 s10, exec_lo
	v_cmpx_lt_u32_e32 0xffffff, v9
	s_cbranch_execz .LBB337_1561
; %bb.1554:                             ;   in Loop: Header=BB337_803 Depth=1
	v_lshrrev_b32_e32 v118, 24, v9
	v_bfrev_b32_e32 v117, 1
	s_mov_b32 s12, exec_lo
	s_delay_alu instid0(VALU_DEP_2)
	v_cmpx_ne_u32_e32 0x80, v118
	s_cbranch_execz .LBB337_1560
; %bb.1555:                             ;   in Loop: Header=BB337_803 Depth=1
	v_and_b32_e32 v11, 0x7f, v118
	v_mov_b32_e32 v117, 0x7fc02000
	s_mov_b32 s13, exec_lo
	s_delay_alu instid0(VALU_DEP_2)
	v_cmpx_ne_u32_e32 0x7f, v11
	s_cbranch_execz .LBB337_1559
; %bb.1556:                             ;   in Loop: Header=BB337_803 Depth=1
	v_and_b32_e32 v0, 7, v118
	v_lshrrev_b32_e32 v117, 3, v11
	v_cmp_gt_u32_e64 s0, 8, v11
	s_delay_alu instid0(VALU_DEP_3) | instskip(NEXT) | instid1(VALU_DEP_2)
	v_dual_mov_b32 v12, v1 :: v_dual_mov_b32 v11, v0
	s_and_saveexec_b32 s15, s0
; %bb.1557:                             ;   in Loop: Header=BB337_803 Depth=1
	v_clz_i32_u32_e32 v11, v0
	s_delay_alu instid0(VALU_DEP_1) | instskip(NEXT) | instid1(VALU_DEP_1)
	v_min_u32_e32 v117, 32, v11
	v_subrev_nc_u32_e32 v11, 28, v117
	v_sub_nc_u32_e32 v117, 29, v117
	s_delay_alu instid0(VALU_DEP_2) | instskip(NEXT) | instid1(VALU_DEP_1)
	v_lshlrev_b64 v[11:12], v11, v[0:1]
	v_and_b32_e32 v11, 7, v11
; %bb.1558:                             ;   in Loop: Header=BB337_803 Depth=1
	s_or_b32 exec_lo, exec_lo, s15
	v_lshlrev_b32_e32 v0, 8, v118
	v_lshl_add_u32 v12, v117, 10, 0x2000
	s_delay_alu instid0(VALU_DEP_1) | instskip(NEXT) | instid1(VALU_DEP_1)
	v_and_or_b32 v0, 0x8000, v0, v12
	v_lshl_or_b32 v0, v11, 7, v0
	s_delay_alu instid0(VALU_DEP_1)
	v_cvt_f32_f16_e32 v117, v0
.LBB337_1559:                           ;   in Loop: Header=BB337_803 Depth=1
	s_or_b32 exec_lo, exec_lo, s13
.LBB337_1560:                           ;   in Loop: Header=BB337_803 Depth=1
	s_delay_alu instid0(SALU_CYCLE_1)
	s_or_b32 exec_lo, exec_lo, s12
.LBB337_1561:                           ;   in Loop: Header=BB337_803 Depth=1
	s_delay_alu instid0(SALU_CYCLE_1) | instskip(SKIP_3) | instid1(VALU_DEP_2)
	s_or_b32 exec_lo, exec_lo, s10
	v_dual_mov_b32 v0, v10 :: v_dual_and_b32 v11, 0xff, v10
	v_dual_mov_b32 v119, 0 :: v_dual_mov_b32 v118, 0
	s_mov_b32 s10, exec_lo
	v_cmpx_ne_u16_e32 0, v11
	s_cbranch_execz .LBB337_1569
; %bb.1562:                             ;   in Loop: Header=BB337_803 Depth=1
	v_bfrev_b32_e32 v118, 1
	s_mov_b32 s12, exec_lo
	v_cmpx_ne_u16_e32 0x80, v11
	s_cbranch_execz .LBB337_1568
; %bb.1563:                             ;   in Loop: Header=BB337_803 Depth=1
	v_and_b32_e32 v11, 0x7f, v10
	v_mov_b32_e32 v118, 0x7fc02000
	s_mov_b32 s13, exec_lo
	s_delay_alu instid0(VALU_DEP_2)
	v_cmpx_ne_u32_e32 0x7f, v11
	s_cbranch_execz .LBB337_1567
; %bb.1564:                             ;   in Loop: Header=BB337_803 Depth=1
	v_lshrrev_b32_e32 v118, 3, v11
	v_cmp_gt_u32_e64 s0, 8, v11
	v_dual_mov_b32 v12, v1 :: v_dual_mov_b32 v11, v0
	s_delay_alu instid0(VALU_DEP_2)
	s_and_saveexec_b32 s15, s0
; %bb.1565:                             ;   in Loop: Header=BB337_803 Depth=1
	v_and_b32_e32 v11, 7, v10
	s_delay_alu instid0(VALU_DEP_1) | instskip(NEXT) | instid1(VALU_DEP_1)
	v_clz_i32_u32_e32 v11, v11
	v_min_u32_e32 v118, 32, v11
	s_delay_alu instid0(VALU_DEP_1) | instskip(SKIP_1) | instid1(VALU_DEP_2)
	v_subrev_nc_u32_e32 v11, 28, v118
	v_sub_nc_u32_e32 v118, 29, v118
	v_lshlrev_b64 v[11:12], v11, v[0:1]
; %bb.1566:                             ;   in Loop: Header=BB337_803 Depth=1
	s_or_b32 exec_lo, exec_lo, s15
	v_lshlrev_b32_e32 v12, 8, v10
	s_delay_alu instid0(VALU_DEP_3) | instskip(NEXT) | instid1(VALU_DEP_3)
	v_lshl_add_u32 v118, v118, 10, 0x2000
	v_lshlrev_b32_e32 v11, 7, v11
	s_delay_alu instid0(VALU_DEP_2) | instskip(NEXT) | instid1(VALU_DEP_1)
	v_and_or_b32 v12, 0x8000, v12, v118
	v_and_or_b32 v11, 0x380, v11, v12
	s_delay_alu instid0(VALU_DEP_1)
	v_cvt_f32_f16_e32 v118, v11
.LBB337_1567:                           ;   in Loop: Header=BB337_803 Depth=1
	s_or_b32 exec_lo, exec_lo, s13
.LBB337_1568:                           ;   in Loop: Header=BB337_803 Depth=1
	s_delay_alu instid0(SALU_CYCLE_1)
	s_or_b32 exec_lo, exec_lo, s12
.LBB337_1569:                           ;   in Loop: Header=BB337_803 Depth=1
	s_delay_alu instid0(SALU_CYCLE_1) | instskip(SKIP_2) | instid1(VALU_DEP_1)
	s_or_b32 exec_lo, exec_lo, s10
	v_lshrrev_b16 v0, 8, v0
	s_mov_b32 s10, exec_lo
	v_cmpx_ne_u16_e32 0, v0
	s_cbranch_execz .LBB337_1577
; %bb.1570:                             ;   in Loop: Header=BB337_803 Depth=1
	v_bfrev_b32_e32 v119, 1
	s_mov_b32 s12, exec_lo
	v_cmpx_ne_u16_e32 0x80, v0
	s_cbranch_execz .LBB337_1576
; %bb.1571:                             ;   in Loop: Header=BB337_803 Depth=1
	v_and_b32_e32 v128, 0xffff, v0
	v_mov_b32_e32 v119, 0x7fc02000
	s_mov_b32 s13, exec_lo
	s_delay_alu instid0(VALU_DEP_2) | instskip(NEXT) | instid1(VALU_DEP_1)
	v_and_b32_e32 v11, 0x7f, v128
	v_cmpx_ne_u32_e32 0x7f, v11
	s_cbranch_execz .LBB337_1575
; %bb.1572:                             ;   in Loop: Header=BB337_803 Depth=1
	v_and_b32_e32 v0, 7, v128
	v_lshrrev_b32_e32 v119, 3, v11
	v_cmp_gt_u32_e64 s0, 8, v11
	s_delay_alu instid0(VALU_DEP_3) | instskip(NEXT) | instid1(VALU_DEP_2)
	v_dual_mov_b32 v12, v1 :: v_dual_mov_b32 v11, v0
	s_and_saveexec_b32 s15, s0
; %bb.1573:                             ;   in Loop: Header=BB337_803 Depth=1
	v_clz_i32_u32_e32 v11, v0
	s_delay_alu instid0(VALU_DEP_1) | instskip(NEXT) | instid1(VALU_DEP_1)
	v_min_u32_e32 v119, 32, v11
	v_subrev_nc_u32_e32 v11, 28, v119
	v_sub_nc_u32_e32 v119, 29, v119
	s_delay_alu instid0(VALU_DEP_2) | instskip(NEXT) | instid1(VALU_DEP_1)
	v_lshlrev_b64 v[11:12], v11, v[0:1]
	v_and_b32_e32 v11, 7, v11
; %bb.1574:                             ;   in Loop: Header=BB337_803 Depth=1
	s_or_b32 exec_lo, exec_lo, s15
	v_lshlrev_b32_e32 v0, 8, v128
	v_lshl_add_u32 v12, v119, 10, 0x2000
	s_delay_alu instid0(VALU_DEP_1) | instskip(NEXT) | instid1(VALU_DEP_1)
	v_and_or_b32 v0, 0x8000, v0, v12
	v_lshl_or_b32 v0, v11, 7, v0
	s_delay_alu instid0(VALU_DEP_1)
	v_cvt_f32_f16_e32 v119, v0
.LBB337_1575:                           ;   in Loop: Header=BB337_803 Depth=1
	s_or_b32 exec_lo, exec_lo, s13
.LBB337_1576:                           ;   in Loop: Header=BB337_803 Depth=1
	s_delay_alu instid0(SALU_CYCLE_1)
	s_or_b32 exec_lo, exec_lo, s12
.LBB337_1577:                           ;   in Loop: Header=BB337_803 Depth=1
	s_delay_alu instid0(SALU_CYCLE_1) | instskip(SKIP_3) | instid1(VALU_DEP_2)
	s_or_b32 exec_lo, exec_lo, s10
	v_lshrrev_b32_e32 v129, 16, v10
	v_mov_b32_e32 v128, 0
	s_mov_b32 s10, exec_lo
	v_dual_mov_b32 v11, 0 :: v_dual_and_b32 v0, 0xff, v129
	s_delay_alu instid0(VALU_DEP_1)
	v_cmpx_ne_u16_e32 0, v0
	s_cbranch_execz .LBB337_1585
; %bb.1578:                             ;   in Loop: Header=BB337_803 Depth=1
	v_bfrev_b32_e32 v11, 1
	s_mov_b32 s12, exec_lo
	v_cmpx_ne_u16_e32 0x80, v0
	s_cbranch_execz .LBB337_1584
; %bb.1579:                             ;   in Loop: Header=BB337_803 Depth=1
	v_bfe_u32 v12, v10, 16, 7
	v_mov_b32_e32 v11, 0x7fc02000
	s_mov_b32 s13, exec_lo
	s_delay_alu instid0(VALU_DEP_2)
	v_cmpx_ne_u32_e32 0x7f, v12
	s_cbranch_execz .LBB337_1583
; %bb.1580:                             ;   in Loop: Header=BB337_803 Depth=1
	v_and_b32_e32 v0, 7, v129
	v_lshrrev_b32_e32 v130, 3, v12
	v_cmp_gt_u32_e64 s0, 8, v12
	s_delay_alu instid0(VALU_DEP_3) | instskip(NEXT) | instid1(VALU_DEP_2)
	v_dual_mov_b32 v12, v1 :: v_dual_mov_b32 v11, v0
	s_and_saveexec_b32 s15, s0
; %bb.1581:                             ;   in Loop: Header=BB337_803 Depth=1
	v_clz_i32_u32_e32 v11, v0
	s_delay_alu instid0(VALU_DEP_1) | instskip(NEXT) | instid1(VALU_DEP_1)
	v_min_u32_e32 v130, 32, v11
	v_subrev_nc_u32_e32 v11, 28, v130
	v_sub_nc_u32_e32 v130, 29, v130
	s_delay_alu instid0(VALU_DEP_2) | instskip(NEXT) | instid1(VALU_DEP_1)
	v_lshlrev_b64 v[11:12], v11, v[0:1]
	v_and_b32_e32 v11, 7, v11
; %bb.1582:                             ;   in Loop: Header=BB337_803 Depth=1
	s_or_b32 exec_lo, exec_lo, s15
	v_lshlrev_b32_e32 v0, 8, v129
	v_lshl_add_u32 v12, v130, 10, 0x2000
	s_delay_alu instid0(VALU_DEP_1) | instskip(NEXT) | instid1(VALU_DEP_1)
	v_and_or_b32 v0, 0x8000, v0, v12
	v_lshl_or_b32 v0, v11, 7, v0
	s_delay_alu instid0(VALU_DEP_1)
	v_cvt_f32_f16_e32 v11, v0
.LBB337_1583:                           ;   in Loop: Header=BB337_803 Depth=1
	s_or_b32 exec_lo, exec_lo, s13
.LBB337_1584:                           ;   in Loop: Header=BB337_803 Depth=1
	s_delay_alu instid0(SALU_CYCLE_1)
	s_or_b32 exec_lo, exec_lo, s12
.LBB337_1585:                           ;   in Loop: Header=BB337_803 Depth=1
	s_delay_alu instid0(SALU_CYCLE_1) | instskip(NEXT) | instid1(SALU_CYCLE_1)
	s_or_b32 exec_lo, exec_lo, s10
	s_mov_b32 s10, exec_lo
	v_cmpx_lt_u64_e64 s[8:9], v[9:10]
	s_cbranch_execz .LBB337_1593
; %bb.1586:                             ;   in Loop: Header=BB337_803 Depth=1
	v_lshrrev_b32_e32 v12, 24, v10
	v_bfrev_b32_e32 v128, 1
	s_mov_b32 s12, exec_lo
	s_delay_alu instid0(VALU_DEP_2)
	v_cmpx_ne_u32_e32 0x80, v12
	s_cbranch_execz .LBB337_1592
; %bb.1587:                             ;   in Loop: Header=BB337_803 Depth=1
	v_and_b32_e32 v9, 0x7f, v12
	v_mov_b32_e32 v128, 0x7fc02000
	s_mov_b32 s13, exec_lo
	s_delay_alu instid0(VALU_DEP_2)
	v_cmpx_ne_u32_e32 0x7f, v9
	s_cbranch_execz .LBB337_1591
; %bb.1588:                             ;   in Loop: Header=BB337_803 Depth=1
	v_and_b32_e32 v0, 7, v12
	v_lshrrev_b32_e32 v128, 3, v9
	v_cmp_gt_u32_e64 s0, 8, v9
	s_delay_alu instid0(VALU_DEP_3) | instskip(NEXT) | instid1(VALU_DEP_2)
	v_dual_mov_b32 v10, v1 :: v_dual_mov_b32 v9, v0
	s_and_saveexec_b32 s15, s0
; %bb.1589:                             ;   in Loop: Header=BB337_803 Depth=1
	v_clz_i32_u32_e32 v9, v0
	s_delay_alu instid0(VALU_DEP_1) | instskip(NEXT) | instid1(VALU_DEP_1)
	v_min_u32_e32 v128, 32, v9
	v_subrev_nc_u32_e32 v9, 28, v128
	v_sub_nc_u32_e32 v128, 29, v128
	s_delay_alu instid0(VALU_DEP_2) | instskip(NEXT) | instid1(VALU_DEP_1)
	v_lshlrev_b64 v[9:10], v9, v[0:1]
	v_and_b32_e32 v9, 7, v9
; %bb.1590:                             ;   in Loop: Header=BB337_803 Depth=1
	s_or_b32 exec_lo, exec_lo, s15
	v_lshlrev_b32_e32 v0, 8, v12
	v_lshl_add_u32 v10, v128, 10, 0x2000
	s_delay_alu instid0(VALU_DEP_1) | instskip(NEXT) | instid1(VALU_DEP_1)
	v_and_or_b32 v0, 0x8000, v0, v10
	v_lshl_or_b32 v0, v9, 7, v0
	s_delay_alu instid0(VALU_DEP_1)
	v_cvt_f32_f16_e64 v128, v0
.LBB337_1591:                           ;   in Loop: Header=BB337_803 Depth=1
	s_or_b32 exec_lo, exec_lo, s13
.LBB337_1592:                           ;   in Loop: Header=BB337_803 Depth=1
	s_delay_alu instid0(SALU_CYCLE_1)
	s_or_b32 exec_lo, exec_lo, s12
.LBB337_1593:                           ;   in Loop: Header=BB337_803 Depth=1
	s_delay_alu instid0(SALU_CYCLE_1)
	s_or_b32 exec_lo, exec_lo, s10
	s_waitcnt vmcnt(0) lgkmcnt(0)
	v_fma_mixlo_f16 v10, v113, v115, 0
	v_fma_mixlo_f16 v0, v113, v117, 0
	;; [unrolled: 1-line block ×5, first 2 shown]
	v_lshlrev_b32_e32 v115, 16, v10
	v_fma_mixlo_f16 v10, v113, v114, 0
	v_fma_mixlo_f16 v114, v113, v119, 0
	;; [unrolled: 1-line block ×3, first 2 shown]
	v_lshlrev_b32_e32 v0, 16, v0
	v_and_b32_e32 v9, 0xffff, v9
	v_and_b32_e32 v11, 0xffff, v10
	v_lshlrev_b32_e32 v113, 16, v114
	v_and_b32_e32 v114, 0xffff, v116
	v_lshlrev_b32_e32 v116, 16, v117
	v_and_b32_e32 v117, 0xffff, v12
	v_or_b32_e32 v10, v0, v9
	v_or_b32_e32 v11, v115, v11
	;; [unrolled: 1-line block ×3, first 2 shown]
	s_delay_alu instid0(VALU_DEP_4)
	v_or_b32_e32 v9, v116, v117
	s_and_saveexec_b32 s0, vcc_lo
	s_cbranch_execz .LBB337_802
; %bb.1594:                             ;   in Loop: Header=BB337_803 Depth=1
	v_cmp_lt_i32_e32 vcc_lo, v15, v35
	v_lshrrev_b32_e32 v113, 16, v11
	v_lshrrev_b32_e32 v114, 16, v10
	;; [unrolled: 1-line block ×3, first 2 shown]
	v_cndmask_b32_e32 v11, 0, v11, vcc_lo
	v_cmp_lt_i32_e32 vcc_lo, v64, v39
	v_cndmask_b32_e32 v64, 0, v113, vcc_lo
	v_cmp_lt_i32_e32 vcc_lo, v55, v39
	v_lshrrev_b32_e32 v113, 16, v0
	s_delay_alu instid0(VALU_DEP_3)
	v_perm_b32 v11, v64, v11, 0x5040100
	v_cndmask_b32_e32 v55, 0, v114, vcc_lo
	v_cmp_lt_i32_e32 vcc_lo, v54, v35
	v_cndmask_b32_e32 v10, 0, v10, vcc_lo
	v_cmp_lt_i32_e32 vcc_lo, v53, v39
	;; [unrolled: 2-line block ×4, first 2 shown]
	v_perm_b32 v10, v55, v10, 0x5040100
	s_delay_alu instid0(VALU_DEP_3) | instskip(SKIP_3) | instid1(VALU_DEP_1)
	v_perm_b32 v0, v53, v0, 0x5040100
	v_cndmask_b32_e32 v9, 0, v9, vcc_lo
	v_cmp_lt_i32_e32 vcc_lo, v17, v35
	v_cndmask_b32_e32 v12, 0, v12, vcc_lo
	v_perm_b32 v9, v9, v12, 0x5040100
	s_branch .LBB337_802
.LBB337_1595:
	s_or_b32 exec_lo, exec_lo, s5
	v_dual_mov_b32 v0, s6 :: v_dual_mov_b32 v1, s7
.LBB337_1596:
	s_or_b32 exec_lo, exec_lo, s3
	s_delay_alu instid0(VALU_DEP_1)
	v_lshlrev_b64 v[0:1], 2, v[0:1]
	s_getpc_b64 s[6:7]
	s_add_u32 s6, s6, llvm.amdgcn.dynlds.offset.table@rel32@lo+4
	s_addc_u32 s7, s7, llvm.amdgcn.dynlds.offset.table@rel32@hi+12
	s_waitcnt lgkmcnt(0)
	s_waitcnt_vscnt null, 0x0
	s_barrier
	buffer_gl0_inv
	ds_bpermute_b32 v2, v19, v51
	v_add_co_u32 v0, vcc_lo, v0, s6
	v_add_co_ci_u32_e32 v1, vcc_lo, s7, v1, vcc_lo
	ds_bpermute_b32 v3, v19, v49
	ds_bpermute_b32 v6, v19, v31
	;; [unrolled: 1-line block ×3, first 2 shown]
	global_load_b32 v15, v[0:1], off
	ds_bpermute_b32 v0, v19, v50
	ds_bpermute_b32 v1, v19, v52
	ds_bpermute_b32 v16, v19, v29
	ds_bpermute_b32 v17, v19, v28
	ds_bpermute_b32 v22, v19, v25
	ds_bpermute_b32 v23, v19, v24
	ds_bpermute_b32 v26, v19, v21
	ds_bpermute_b32 v19, v19, v20
	v_and_b32_e32 v8, 0x3c1, v33
	v_lshrrev_b32_e32 v14, 1, v18
	s_waitcnt lgkmcnt(10)
	v_dual_add_f32 v11, v51, v2 :: v_dual_add_f32 v10, v49, v3
	s_waitcnt lgkmcnt(9)
	v_add_f32_e32 v9, v31, v6
	s_waitcnt lgkmcnt(7)
	v_add_f32_e32 v13, v50, v0
	v_cmp_eq_u32_e32 vcc_lo, 64, v8
	s_waitcnt lgkmcnt(6)
	v_add_f32_e32 v12, v52, v1
	s_waitcnt lgkmcnt(5)
	v_dual_add_f32 v8, v30, v7 :: v_dual_add_f32 v7, v29, v16
	s_waitcnt lgkmcnt(3)
	v_dual_add_f32 v6, v28, v17 :: v_dual_add_f32 v3, v25, v22
	;; [unrolled: 2-line block ×3, first 2 shown]
	s_waitcnt lgkmcnt(0)
	v_add_f32_e32 v0, v20, v19
	v_lshlrev_b32_e32 v16, 2, v14
	s_waitcnt vmcnt(0)
	v_mad_u32_u24 v15, 0x300, v36, v15
	s_and_saveexec_b32 s0, vcc_lo
	s_cbranch_execz .LBB337_1598
; %bb.1597:
	s_delay_alu instid0(VALU_DEP_1)
	v_add3_u32 v17, v15, v16, 0xfffffa00
	ds_store_2addr_b32 v17, v13, v12 offset1:16
	ds_store_2addr_b32 v17, v11, v10 offset0:32 offset1:48
	ds_store_2addr_b32 v17, v9, v8 offset0:64 offset1:80
	ds_store_2addr_b32 v17, v7, v6 offset0:96 offset1:112
	ds_store_2addr_b32 v17, v3, v2 offset0:128 offset1:144
	ds_store_2addr_b32 v17, v1, v0 offset0:160 offset1:176
.LBB337_1598:
	s_or_b32 exec_lo, exec_lo, s0
	v_cmp_eq_u32_e32 vcc_lo, 0, v34
	s_mov_b32 s3, exec_lo
	s_waitcnt lgkmcnt(0)
	s_barrier
	buffer_gl0_inv
	v_cmpx_gt_u32_e32 64, v33
	s_cbranch_execz .LBB337_1613
; %bb.1599:
	s_and_saveexec_b32 s0, vcc_lo
	s_cbranch_execnz .LBB337_1633
; %bb.1600:
	s_or_b32 exec_lo, exec_lo, s0
	s_and_saveexec_b32 s0, vcc_lo
	s_cbranch_execnz .LBB337_1634
.LBB337_1601:
	s_or_b32 exec_lo, exec_lo, s0
	s_and_saveexec_b32 s0, vcc_lo
	s_cbranch_execnz .LBB337_1635
.LBB337_1602:
	s_or_b32 exec_lo, exec_lo, s0
	s_and_saveexec_b32 s0, vcc_lo
	s_cbranch_execnz .LBB337_1636
.LBB337_1603:
	s_or_b32 exec_lo, exec_lo, s0
	s_and_saveexec_b32 s0, vcc_lo
	s_cbranch_execnz .LBB337_1637
.LBB337_1604:
	s_or_b32 exec_lo, exec_lo, s0
	s_and_saveexec_b32 s0, vcc_lo
	s_cbranch_execnz .LBB337_1638
.LBB337_1605:
	s_or_b32 exec_lo, exec_lo, s0
	s_and_saveexec_b32 s0, vcc_lo
	s_cbranch_execnz .LBB337_1639
.LBB337_1606:
	s_or_b32 exec_lo, exec_lo, s0
	s_and_saveexec_b32 s0, vcc_lo
	s_cbranch_execnz .LBB337_1640
.LBB337_1607:
	s_or_b32 exec_lo, exec_lo, s0
	s_and_saveexec_b32 s0, vcc_lo
	s_cbranch_execnz .LBB337_1641
.LBB337_1608:
	s_or_b32 exec_lo, exec_lo, s0
	s_and_saveexec_b32 s0, vcc_lo
	s_cbranch_execnz .LBB337_1642
.LBB337_1609:
	s_or_b32 exec_lo, exec_lo, s0
	s_and_saveexec_b32 s0, vcc_lo
	s_cbranch_execnz .LBB337_1643
.LBB337_1610:
	s_or_b32 exec_lo, exec_lo, s0
	s_and_saveexec_b32 s0, vcc_lo
	s_cbranch_execz .LBB337_1612
.LBB337_1611:
	v_lshl_add_u32 v17, v14, 2, v15
	ds_load_b32 v17, v17 offset:704
	s_waitcnt lgkmcnt(0)
	v_add_f32_e32 v0, v17, v0
.LBB337_1612:
	s_or_b32 exec_lo, exec_lo, s0
.LBB337_1613:
	s_delay_alu instid0(SALU_CYCLE_1)
	s_or_b32 exec_lo, exec_lo, s3
	v_and_b32_e32 v17, 0x3e1, v33
	s_mov_b32 s3, exec_lo
	s_barrier
	buffer_gl0_inv
	v_cmpx_eq_u32_e32 32, v17
	s_cbranch_execz .LBB337_1615
; %bb.1614:
	v_add3_u32 v16, v15, v16, 0xfffffd00
	ds_store_2addr_b32 v16, v13, v12 offset1:16
	ds_store_2addr_b32 v16, v11, v10 offset0:32 offset1:48
	ds_store_2addr_b32 v16, v9, v8 offset0:64 offset1:80
	;; [unrolled: 1-line block ×5, first 2 shown]
.LBB337_1615:
	s_or_b32 exec_lo, exec_lo, s3
	s_delay_alu instid0(SALU_CYCLE_1)
	s_mov_b32 s3, exec_lo
	s_waitcnt lgkmcnt(0)
	s_barrier
	buffer_gl0_inv
	v_cmpx_gt_u32_e32 32, v33
	s_cbranch_execz .LBB337_1630
; %bb.1616:
	v_lshl_add_u32 v14, v14, 2, v15
	s_and_saveexec_b32 s0, vcc_lo
	s_cbranch_execnz .LBB337_1644
; %bb.1617:
	s_or_b32 exec_lo, exec_lo, s0
	s_and_saveexec_b32 s0, vcc_lo
	s_cbranch_execnz .LBB337_1645
.LBB337_1618:
	s_or_b32 exec_lo, exec_lo, s0
	s_and_saveexec_b32 s0, vcc_lo
	s_cbranch_execnz .LBB337_1646
.LBB337_1619:
	s_or_b32 exec_lo, exec_lo, s0
	s_and_saveexec_b32 s0, vcc_lo
	s_cbranch_execnz .LBB337_1647
.LBB337_1620:
	s_or_b32 exec_lo, exec_lo, s0
	s_and_saveexec_b32 s0, vcc_lo
	s_cbranch_execnz .LBB337_1648
.LBB337_1621:
	s_or_b32 exec_lo, exec_lo, s0
	s_and_saveexec_b32 s0, vcc_lo
	s_cbranch_execnz .LBB337_1649
.LBB337_1622:
	s_or_b32 exec_lo, exec_lo, s0
	s_and_saveexec_b32 s0, vcc_lo
	s_cbranch_execnz .LBB337_1650
.LBB337_1623:
	s_or_b32 exec_lo, exec_lo, s0
	s_and_saveexec_b32 s0, vcc_lo
	s_cbranch_execnz .LBB337_1651
.LBB337_1624:
	s_or_b32 exec_lo, exec_lo, s0
	s_and_saveexec_b32 s0, vcc_lo
	s_cbranch_execnz .LBB337_1652
.LBB337_1625:
	s_or_b32 exec_lo, exec_lo, s0
	s_and_saveexec_b32 s0, vcc_lo
	s_cbranch_execnz .LBB337_1653
.LBB337_1626:
	s_or_b32 exec_lo, exec_lo, s0
	s_and_saveexec_b32 s0, vcc_lo
	s_cbranch_execnz .LBB337_1654
.LBB337_1627:
	s_or_b32 exec_lo, exec_lo, s0
	s_and_saveexec_b32 s0, vcc_lo
	s_cbranch_execz .LBB337_1629
.LBB337_1628:
	ds_load_b32 v14, v14 offset:704
	s_waitcnt lgkmcnt(0)
	v_add_f32_e32 v0, v14, v0
.LBB337_1629:
	s_or_b32 exec_lo, exec_lo, s0
.LBB337_1630:
	s_delay_alu instid0(SALU_CYCLE_1)
	s_or_b32 exec_lo, exec_lo, s3
	v_cmp_eq_u32_e32 vcc_lo, 0, v17
	s_barrier
	buffer_gl0_inv
	s_and_b32 exec_lo, exec_lo, vcc_lo
	s_cbranch_execz .LBB337_1632
; %bb.1631:
	s_mul_i32 s0, s2, 0xc0
	s_mul_i32 s2, s4, s1
	;; [unrolled: 1-line block ×3, first 2 shown]
	s_ashr_i32 s3, s2, 31
	s_ashr_i32 s5, s4, 31
	;; [unrolled: 1-line block ×3, first 2 shown]
	s_lshl_b64 s[2:3], s[2:3], 1
	s_lshl_b64 s[4:5], s[4:5], 1
	;; [unrolled: 1-line block ×3, first 2 shown]
	s_add_u32 s2, s4, s2
	s_addc_u32 s3, s5, s3
	s_add_u32 s0, s2, s0
	s_addc_u32 s1, s3, s1
	v_lshlrev_b32_e32 v14, 1, v32
	v_add_co_u32 v4, vcc_lo, s0, v4
	v_add_co_ci_u32_e32 v5, vcc_lo, s1, v5, vcc_lo
	;;#ASMSTART
	v_cvt_f16_f32 v13, v13;

	;;#ASMEND
	s_delay_alu instid0(VALU_DEP_2) | instskip(NEXT) | instid1(VALU_DEP_2)
	v_add_co_u32 v4, vcc_lo, v4, v14
	v_add_co_ci_u32_e32 v5, vcc_lo, 0, v5, vcc_lo
	flat_store_b16 v[4:5], v13
	;;#ASMSTART
	v_cvt_f16_f32 v12, v12;

	;;#ASMEND
	flat_store_b16 v[4:5], v12 offset:32
	;;#ASMSTART
	v_cvt_f16_f32 v11, v11;

	;;#ASMEND
	flat_store_b16 v[4:5], v11 offset:64
	;; [unrolled: 5-line block ×11, first 2 shown]
.LBB337_1632:
	s_or_b32 exec_lo, exec_lo, s11
	s_clause 0x1f
	scratch_load_b32 v110, off, s32
	scratch_load_b32 v109, off, s32 offset:4
	scratch_load_b32 v108, off, s32 offset:8
	;; [unrolled: 1-line block ×31, first 2 shown]
	s_clause 0x6
	scratch_load_b32 v46, off, s32 offset:128
	scratch_load_b32 v45, off, s32 offset:132
	;; [unrolled: 1-line block ×7, first 2 shown]
	s_waitcnt vmcnt(0) lgkmcnt(0)
	s_setpc_b64 s[30:31]
.LBB337_1633:
	v_lshl_add_u32 v17, v14, 2, v15
	ds_load_b32 v17, v17
	s_waitcnt lgkmcnt(0)
	v_add_f32_e32 v13, v17, v13
	s_or_b32 exec_lo, exec_lo, s0
	s_and_saveexec_b32 s0, vcc_lo
	s_cbranch_execz .LBB337_1601
.LBB337_1634:
	v_lshl_add_u32 v17, v14, 2, v15
	ds_load_b32 v17, v17 offset:64
	s_waitcnt lgkmcnt(0)
	v_add_f32_e32 v12, v17, v12
	s_or_b32 exec_lo, exec_lo, s0
	s_and_saveexec_b32 s0, vcc_lo
	s_cbranch_execz .LBB337_1602
.LBB337_1635:
	v_lshl_add_u32 v17, v14, 2, v15
	ds_load_b32 v17, v17 offset:128
	s_waitcnt lgkmcnt(0)
	v_add_f32_e32 v11, v17, v11
	s_or_b32 exec_lo, exec_lo, s0
	s_and_saveexec_b32 s0, vcc_lo
	s_cbranch_execz .LBB337_1603
.LBB337_1636:
	v_lshl_add_u32 v17, v14, 2, v15
	ds_load_b32 v17, v17 offset:192
	s_waitcnt lgkmcnt(0)
	v_add_f32_e32 v10, v17, v10
	s_or_b32 exec_lo, exec_lo, s0
	s_and_saveexec_b32 s0, vcc_lo
	s_cbranch_execz .LBB337_1604
.LBB337_1637:
	v_lshl_add_u32 v17, v14, 2, v15
	ds_load_b32 v17, v17 offset:256
	s_waitcnt lgkmcnt(0)
	v_add_f32_e32 v9, v17, v9
	s_or_b32 exec_lo, exec_lo, s0
	s_and_saveexec_b32 s0, vcc_lo
	s_cbranch_execz .LBB337_1605
.LBB337_1638:
	v_lshl_add_u32 v17, v14, 2, v15
	ds_load_b32 v17, v17 offset:320
	s_waitcnt lgkmcnt(0)
	v_add_f32_e32 v8, v17, v8
	s_or_b32 exec_lo, exec_lo, s0
	s_and_saveexec_b32 s0, vcc_lo
	s_cbranch_execz .LBB337_1606
.LBB337_1639:
	v_lshl_add_u32 v17, v14, 2, v15
	ds_load_b32 v17, v17 offset:384
	s_waitcnt lgkmcnt(0)
	v_add_f32_e32 v7, v17, v7
	s_or_b32 exec_lo, exec_lo, s0
	s_and_saveexec_b32 s0, vcc_lo
	s_cbranch_execz .LBB337_1607
.LBB337_1640:
	v_lshl_add_u32 v17, v14, 2, v15
	ds_load_b32 v17, v17 offset:448
	s_waitcnt lgkmcnt(0)
	v_add_f32_e32 v6, v17, v6
	s_or_b32 exec_lo, exec_lo, s0
	s_and_saveexec_b32 s0, vcc_lo
	s_cbranch_execz .LBB337_1608
.LBB337_1641:
	v_lshl_add_u32 v17, v14, 2, v15
	ds_load_b32 v17, v17 offset:512
	s_waitcnt lgkmcnt(0)
	v_add_f32_e32 v3, v17, v3
	s_or_b32 exec_lo, exec_lo, s0
	s_and_saveexec_b32 s0, vcc_lo
	s_cbranch_execz .LBB337_1609
.LBB337_1642:
	v_lshl_add_u32 v17, v14, 2, v15
	ds_load_b32 v17, v17 offset:576
	s_waitcnt lgkmcnt(0)
	v_add_f32_e32 v2, v17, v2
	s_or_b32 exec_lo, exec_lo, s0
	s_and_saveexec_b32 s0, vcc_lo
	s_cbranch_execz .LBB337_1610
.LBB337_1643:
	v_lshl_add_u32 v17, v14, 2, v15
	ds_load_b32 v17, v17 offset:640
	s_waitcnt lgkmcnt(0)
	v_add_f32_e32 v1, v17, v1
	s_or_b32 exec_lo, exec_lo, s0
	s_and_saveexec_b32 s0, vcc_lo
	s_cbranch_execnz .LBB337_1611
	s_branch .LBB337_1612
.LBB337_1644:
	ds_load_b32 v15, v14
	s_waitcnt lgkmcnt(0)
	v_add_f32_e32 v13, v15, v13
	s_or_b32 exec_lo, exec_lo, s0
	s_and_saveexec_b32 s0, vcc_lo
	s_cbranch_execz .LBB337_1618
.LBB337_1645:
	ds_load_b32 v15, v14 offset:64
	s_waitcnt lgkmcnt(0)
	v_add_f32_e32 v12, v15, v12
	s_or_b32 exec_lo, exec_lo, s0
	s_and_saveexec_b32 s0, vcc_lo
	s_cbranch_execz .LBB337_1619
.LBB337_1646:
	ds_load_b32 v15, v14 offset:128
	s_waitcnt lgkmcnt(0)
	v_add_f32_e32 v11, v15, v11
	s_or_b32 exec_lo, exec_lo, s0
	s_and_saveexec_b32 s0, vcc_lo
	s_cbranch_execz .LBB337_1620
.LBB337_1647:
	ds_load_b32 v15, v14 offset:192
	s_waitcnt lgkmcnt(0)
	v_add_f32_e32 v10, v15, v10
	s_or_b32 exec_lo, exec_lo, s0
	s_and_saveexec_b32 s0, vcc_lo
	s_cbranch_execz .LBB337_1621
.LBB337_1648:
	ds_load_b32 v15, v14 offset:256
	s_waitcnt lgkmcnt(0)
	v_add_f32_e32 v9, v15, v9
	s_or_b32 exec_lo, exec_lo, s0
	s_and_saveexec_b32 s0, vcc_lo
	s_cbranch_execz .LBB337_1622
.LBB337_1649:
	ds_load_b32 v15, v14 offset:320
	s_waitcnt lgkmcnt(0)
	v_add_f32_e32 v8, v15, v8
	s_or_b32 exec_lo, exec_lo, s0
	s_and_saveexec_b32 s0, vcc_lo
	s_cbranch_execz .LBB337_1623
.LBB337_1650:
	ds_load_b32 v15, v14 offset:384
	s_waitcnt lgkmcnt(0)
	v_add_f32_e32 v7, v15, v7
	s_or_b32 exec_lo, exec_lo, s0
	s_and_saveexec_b32 s0, vcc_lo
	s_cbranch_execz .LBB337_1624
.LBB337_1651:
	ds_load_b32 v15, v14 offset:448
	s_waitcnt lgkmcnt(0)
	v_add_f32_e32 v6, v15, v6
	s_or_b32 exec_lo, exec_lo, s0
	s_and_saveexec_b32 s0, vcc_lo
	s_cbranch_execz .LBB337_1625
.LBB337_1652:
	ds_load_b32 v15, v14 offset:512
	s_waitcnt lgkmcnt(0)
	v_add_f32_e32 v3, v15, v3
	s_or_b32 exec_lo, exec_lo, s0
	s_and_saveexec_b32 s0, vcc_lo
	s_cbranch_execz .LBB337_1626
.LBB337_1653:
	ds_load_b32 v15, v14 offset:576
	s_waitcnt lgkmcnt(0)
	v_add_f32_e32 v2, v15, v2
	s_or_b32 exec_lo, exec_lo, s0
	s_and_saveexec_b32 s0, vcc_lo
	s_cbranch_execz .LBB337_1627
.LBB337_1654:
	ds_load_b32 v15, v14 offset:640
	s_waitcnt lgkmcnt(0)
	v_add_f32_e32 v1, v15, v1
	s_or_b32 exec_lo, exec_lo, s0
	s_and_saveexec_b32 s0, vcc_lo
	s_cbranch_execnz .LBB337_1628
	s_branch .LBB337_1629
.Lfunc_end337:
	.size	_ZN4vllm22paged_attention_kernelIthLi192ELi16ELi128ELNS_18Fp8KVCacheDataTypeE1ELb0ELi512EEEvPfS2_PT_PKS3_PKT0_S9_ifPKiSB_iPKfiiiSD_SD_iiiii, .Lfunc_end337-_ZN4vllm22paged_attention_kernelIthLi192ELi16ELi128ELNS_18Fp8KVCacheDataTypeE1ELb0ELi512EEEvPfS2_PT_PKS3_PKT0_S9_ifPKiSB_iPKfiiiSD_SD_iiiii
                                        ; -- End function
	.section	.AMDGPU.csdata,"",@progbits
; Function info:
; codeLenInByte = 63368
; NumSgprs: 35
; NumVgprs: 184
; ScratchSize: 160
; MemoryBound: 0
	.section	.text._ZN4vllm25paged_attention_v2_kernelIthLi192ELi16ELi128ELNS_18Fp8KVCacheDataTypeE1ELb0ELi512EEEvPfS2_PT_PKS3_PKT0_S9_ifPKiSB_iPKfiiiSD_SD_iiiii,"axG",@progbits,_ZN4vllm25paged_attention_v2_kernelIthLi192ELi16ELi128ELNS_18Fp8KVCacheDataTypeE1ELb0ELi512EEEvPfS2_PT_PKS3_PKT0_S9_ifPKiSB_iPKfiiiSD_SD_iiiii,comdat
	.protected	_ZN4vllm25paged_attention_v2_kernelIthLi192ELi16ELi128ELNS_18Fp8KVCacheDataTypeE1ELb0ELi512EEEvPfS2_PT_PKS3_PKT0_S9_ifPKiSB_iPKfiiiSD_SD_iiiii ; -- Begin function _ZN4vllm25paged_attention_v2_kernelIthLi192ELi16ELi128ELNS_18Fp8KVCacheDataTypeE1ELb0ELi512EEEvPfS2_PT_PKS3_PKT0_S9_ifPKiSB_iPKfiiiSD_SD_iiiii
	.globl	_ZN4vllm25paged_attention_v2_kernelIthLi192ELi16ELi128ELNS_18Fp8KVCacheDataTypeE1ELb0ELi512EEEvPfS2_PT_PKS3_PKT0_S9_ifPKiSB_iPKfiiiSD_SD_iiiii
	.p2align	8
	.type	_ZN4vllm25paged_attention_v2_kernelIthLi192ELi16ELi128ELNS_18Fp8KVCacheDataTypeE1ELb0ELi512EEEvPfS2_PT_PKS3_PKT0_S9_ifPKiSB_iPKfiiiSD_SD_iiiii,@function
_ZN4vllm25paged_attention_v2_kernelIthLi192ELi16ELi128ELNS_18Fp8KVCacheDataTypeE1ELb0ELi512EEEvPfS2_PT_PKS3_PKT0_S9_ifPKiSB_iPKfiiiSD_SD_iiiii: ; @_ZN4vllm25paged_attention_v2_kernelIthLi192ELi16ELi128ELNS_18Fp8KVCacheDataTypeE1ELb0ELi512EEEvPfS2_PT_PKS3_PKT0_S9_ifPKiSB_iPKfiiiSD_SD_iiiii
; %bb.0:
	s_clause 0x5
	s_load_b256 s[24:31], s[0:1], 0x0
	s_load_b256 s[16:23], s[0:1], 0x20
	s_load_b64 s[2:3], s[0:1], 0x40
	s_load_b64 s[4:5], s[0:1], 0x50
	s_load_b32 s6, s[0:1], 0x48
	s_load_b256 s[36:43], s[0:1], 0x58
	v_mov_b32_e32 v31, v0
	s_add_u32 s8, s0, 0x90
	s_mov_b32 s12, s13
	s_addc_u32 s9, s1, 0
	s_mov_b32 s13, s14
	s_mov_b32 s14, s15
	s_movk_i32 s15, 0x5f
	s_mov_b32 s32, 0
	s_getpc_b64 s[0:1]
	s_add_u32 s0, s0, _ZN4vllm22paged_attention_kernelIthLi192ELi16ELi128ELNS_18Fp8KVCacheDataTypeE1ELb0ELi512EEEvPfS2_PT_PKS3_PKT0_S9_ifPKiSB_iPKfiiiSD_SD_iiiii@rel32@lo+4
	s_addc_u32 s1, s1, _ZN4vllm22paged_attention_kernelIthLi192ELi16ELi128ELNS_18Fp8KVCacheDataTypeE1ELb0ELi512EEEvPfS2_PT_PKS3_PKT0_S9_ifPKiSB_iPKfiiiSD_SD_iiiii@rel32@hi+12
	s_waitcnt lgkmcnt(0)
	v_dual_mov_b32 v0, s24 :: v_dual_mov_b32 v1, s25
	v_dual_mov_b32 v2, s26 :: v_dual_mov_b32 v3, s27
	;; [unrolled: 1-line block ×14, first 2 shown]
	s_swappc_b64 s[30:31], s[0:1]
	s_endpgm
	.section	.rodata,"a",@progbits
	.p2align	6, 0x0
	.amdhsa_kernel _ZN4vllm25paged_attention_v2_kernelIthLi192ELi16ELi128ELNS_18Fp8KVCacheDataTypeE1ELb0ELi512EEEvPfS2_PT_PKS3_PKT0_S9_ifPKiSB_iPKfiiiSD_SD_iiiii
		.amdhsa_group_segment_fixed_size 416
		.amdhsa_private_segment_fixed_size 160
		.amdhsa_kernarg_size 400
		.amdhsa_user_sgpr_count 13
		.amdhsa_user_sgpr_dispatch_ptr 0
		.amdhsa_user_sgpr_queue_ptr 0
		.amdhsa_user_sgpr_kernarg_segment_ptr 1
		.amdhsa_user_sgpr_dispatch_id 0
		.amdhsa_user_sgpr_private_segment_size 0
		.amdhsa_wavefront_size32 1
		.amdhsa_uses_dynamic_stack 0
		.amdhsa_enable_private_segment 1
		.amdhsa_system_sgpr_workgroup_id_x 1
		.amdhsa_system_sgpr_workgroup_id_y 1
		.amdhsa_system_sgpr_workgroup_id_z 1
		.amdhsa_system_sgpr_workgroup_info 0
		.amdhsa_system_vgpr_workitem_id 0
		.amdhsa_next_free_vgpr 184
		.amdhsa_next_free_sgpr 44
		.amdhsa_reserve_vcc 1
		.amdhsa_float_round_mode_32 0
		.amdhsa_float_round_mode_16_64 0
		.amdhsa_float_denorm_mode_32 3
		.amdhsa_float_denorm_mode_16_64 3
		.amdhsa_dx10_clamp 1
		.amdhsa_ieee_mode 1
		.amdhsa_fp16_overflow 0
		.amdhsa_workgroup_processor_mode 1
		.amdhsa_memory_ordered 1
		.amdhsa_forward_progress 0
		.amdhsa_shared_vgpr_count 0
		.amdhsa_exception_fp_ieee_invalid_op 0
		.amdhsa_exception_fp_denorm_src 0
		.amdhsa_exception_fp_ieee_div_zero 0
		.amdhsa_exception_fp_ieee_overflow 0
		.amdhsa_exception_fp_ieee_underflow 0
		.amdhsa_exception_fp_ieee_inexact 0
		.amdhsa_exception_int_div_zero 0
	.end_amdhsa_kernel
	.section	.text._ZN4vllm25paged_attention_v2_kernelIthLi192ELi16ELi128ELNS_18Fp8KVCacheDataTypeE1ELb0ELi512EEEvPfS2_PT_PKS3_PKT0_S9_ifPKiSB_iPKfiiiSD_SD_iiiii,"axG",@progbits,_ZN4vllm25paged_attention_v2_kernelIthLi192ELi16ELi128ELNS_18Fp8KVCacheDataTypeE1ELb0ELi512EEEvPfS2_PT_PKS3_PKT0_S9_ifPKiSB_iPKfiiiSD_SD_iiiii,comdat
.Lfunc_end338:
	.size	_ZN4vllm25paged_attention_v2_kernelIthLi192ELi16ELi128ELNS_18Fp8KVCacheDataTypeE1ELb0ELi512EEEvPfS2_PT_PKS3_PKT0_S9_ifPKiSB_iPKfiiiSD_SD_iiiii, .Lfunc_end338-_ZN4vllm25paged_attention_v2_kernelIthLi192ELi16ELi128ELNS_18Fp8KVCacheDataTypeE1ELb0ELi512EEEvPfS2_PT_PKS3_PKT0_S9_ifPKiSB_iPKfiiiSD_SD_iiiii
                                        ; -- End function
	.section	.AMDGPU.csdata,"",@progbits
; Kernel info:
; codeLenInByte = 232
; NumSgprs: 46
; NumVgprs: 184
; ScratchSize: 160
; MemoryBound: 0
; FloatMode: 240
; IeeeMode: 1
; LDSByteSize: 416 bytes/workgroup (compile time only)
; SGPRBlocks: 5
; VGPRBlocks: 22
; NumSGPRsForWavesPerEU: 46
; NumVGPRsForWavesPerEU: 184
; Occupancy: 8
; WaveLimiterHint : 1
; COMPUTE_PGM_RSRC2:SCRATCH_EN: 1
; COMPUTE_PGM_RSRC2:USER_SGPR: 13
; COMPUTE_PGM_RSRC2:TRAP_HANDLER: 0
; COMPUTE_PGM_RSRC2:TGID_X_EN: 1
; COMPUTE_PGM_RSRC2:TGID_Y_EN: 1
; COMPUTE_PGM_RSRC2:TGID_Z_EN: 1
; COMPUTE_PGM_RSRC2:TIDIG_COMP_CNT: 0
	.text
	.p2align	2                               ; -- Begin function _ZN4vllm22paged_attention_kernelIthLi256ELi16ELi128ELNS_18Fp8KVCacheDataTypeE1ELb0ELi512EEEvPfS2_PT_PKS3_PKT0_S9_ifPKiSB_iPKfiiiSD_SD_iiiii
	.type	_ZN4vllm22paged_attention_kernelIthLi256ELi16ELi128ELNS_18Fp8KVCacheDataTypeE1ELb0ELi512EEEvPfS2_PT_PKS3_PKT0_S9_ifPKiSB_iPKfiiiSD_SD_iiiii,@function
_ZN4vllm22paged_attention_kernelIthLi256ELi16ELi128ELNS_18Fp8KVCacheDataTypeE1ELb0ELi512EEEvPfS2_PT_PKS3_PKT0_S9_ifPKiSB_iPKfiiiSD_SD_iiiii: ; @_ZN4vllm22paged_attention_kernelIthLi256ELi16ELi128ELNS_18Fp8KVCacheDataTypeE1ELb0ELi512EEEvPfS2_PT_PKS3_PKT0_S9_ifPKiSB_iPKfiiiSD_SD_iiiii
; %bb.0:
	s_waitcnt vmcnt(0) expcnt(0) lgkmcnt(0)
	s_clause 0x1f
	scratch_store_b32 off, v40, s32 offset:276
	; meta instruction
	scratch_store_b32 off, v41, s32 offset:272
	; meta instruction
	;; [unrolled: 2-line block ×31, first 2 shown]
	scratch_store_b32 off, v95, s32 offset:152
	s_clause 0x1f
	scratch_store_b32 off, v104, s32 offset:148
	; meta instruction
	scratch_store_b32 off, v105, s32 offset:144
	; meta instruction
	;; [unrolled: 2-line block ×31, first 2 shown]
	scratch_store_b32 off, v159, s32 offset:24
	s_clause 0x5
	scratch_store_b32 off, v168, s32 offset:20
	; meta instruction
	scratch_store_b32 off, v169, s32 offset:16
	; meta instruction
	;; [unrolled: 2-line block ×5, first 2 shown]
	scratch_store_b32 off, v173, s32
	s_mov_b32 s16, s13
	s_ashr_i32 s17, s13, 31
	s_lshl_b32 s18, s14, 9
	s_lshl_b64 s[0:1], s[16:17], 2
	s_mov_b32 s17, exec_lo
	v_add_co_u32 v16, vcc_lo, v16, s0
	v_add_co_ci_u32_e32 v17, vcc_lo, s1, v17, vcc_lo
	flat_load_b32 v35, v[16:17]
	s_waitcnt vmcnt(0) lgkmcnt(0)
	v_cmpx_lt_i32_e64 s18, v35
	s_cbranch_execz .LBB339_2160
; %bb.1:
	v_sub_nc_u32_e32 v16, 0, v12
	s_clause 0x1
	s_load_b32 s0, s[8:9], 0x10
	s_load_b32 s1, s[8:9], 0x0
	s_mov_b32 s10, s15
	v_mov_b32_e32 v50, 0
	v_max_i32_e32 v16, v12, v16
	s_delay_alu instid0(VALU_DEP_1) | instskip(SKIP_1) | instid1(VALU_DEP_2)
	v_cvt_f32_u32_e32 v17, v16
	v_sub_nc_u32_e32 v28, 0, v16
	v_rcp_iflag_f32_e32 v17, v17
	s_waitcnt lgkmcnt(0)
	s_lshr_b32 s0, s0, 16
	s_delay_alu instid0(SALU_CYCLE_1) | instskip(SKIP_3) | instid1(SALU_CYCLE_1)
	s_cmp_lg_u32 s0, 0
	s_waitcnt_depctr 0xfff
	v_mul_f32_e32 v17, 0x4f7ffffe, v17
	s_cselect_b32 s0, -1, 0
	s_cmp_lg_u32 s0, 0
	s_delay_alu instid0(VALU_DEP_1)
	v_cvt_u32_f32_e32 v17, v17
	s_addc_u32 s5, s1, 0
	s_abs_i32 s1, s12
	s_abs_i32 s0, s5
	v_xor_b32_e32 v12, s5, v12
	v_mul_lo_u32 v28, v28, v17
	s_delay_alu instid0(VALU_DEP_2) | instskip(NEXT) | instid1(VALU_DEP_2)
	v_ashrrev_i32_e32 v12, 31, v12
	v_mul_hi_u32 v28, v17, v28
	s_delay_alu instid0(VALU_DEP_1) | instskip(NEXT) | instid1(VALU_DEP_1)
	v_add_nc_u32_e32 v17, v17, v28
	v_mul_hi_u32 v17, s0, v17
	s_delay_alu instid0(VALU_DEP_1) | instskip(SKIP_1) | instid1(VALU_DEP_2)
	v_mul_lo_u32 v28, v17, v16
	v_add_nc_u32_e32 v29, 1, v17
	v_sub_nc_u32_e32 v28, s0, v28
	s_mov_b32 s0, exec_lo
	s_delay_alu instid0(VALU_DEP_1) | instskip(SKIP_1) | instid1(VALU_DEP_2)
	v_sub_nc_u32_e32 v30, v28, v16
	v_cmp_ge_u32_e32 vcc_lo, v28, v16
	v_dual_cndmask_b32 v17, v17, v29 :: v_dual_cndmask_b32 v28, v28, v30
	s_delay_alu instid0(VALU_DEP_1) | instskip(NEXT) | instid1(VALU_DEP_2)
	v_add_nc_u32_e32 v29, 1, v17
	v_cmp_ge_u32_e32 vcc_lo, v28, v16
	s_delay_alu instid0(VALU_DEP_2) | instskip(NEXT) | instid1(VALU_DEP_1)
	v_cndmask_b32_e32 v16, v17, v29, vcc_lo
	v_xor_b32_e32 v16, v16, v12
	s_delay_alu instid0(VALU_DEP_1) | instskip(NEXT) | instid1(VALU_DEP_1)
	v_sub_nc_u32_e32 v12, v16, v12
	v_sub_nc_u32_e32 v16, 0, v12
	s_delay_alu instid0(VALU_DEP_1) | instskip(NEXT) | instid1(VALU_DEP_1)
	v_max_i32_e32 v28, v12, v16
	v_cvt_f32_u32_e32 v16, v28
	v_sub_nc_u32_e32 v17, 0, v28
	s_delay_alu instid0(VALU_DEP_2) | instskip(SKIP_2) | instid1(VALU_DEP_1)
	v_rcp_iflag_f32_e32 v16, v16
	s_waitcnt_depctr 0xfff
	v_mul_f32_e32 v16, 0x4f7ffffe, v16
	v_cvt_u32_f32_e32 v16, v16
	s_delay_alu instid0(VALU_DEP_1) | instskip(NEXT) | instid1(VALU_DEP_1)
	v_mul_lo_u32 v17, v17, v16
	v_mul_hi_u32 v17, v16, v17
	s_delay_alu instid0(VALU_DEP_1) | instskip(NEXT) | instid1(VALU_DEP_1)
	v_add_nc_u32_e32 v29, v16, v17
	v_mad_u64_u32 v[16:17], null, s1, v29, 0
	v_cmpx_ne_u64_e32 0, v[19:20]
	s_cbranch_execz .LBB339_3
; %bb.2:
	s_ashr_i32 s13, s12, 31
	s_delay_alu instid0(SALU_CYCLE_1) | instskip(NEXT) | instid1(SALU_CYCLE_1)
	s_lshl_b64 s[2:3], s[12:13], 2
	v_add_co_u32 v19, vcc_lo, v19, s2
	v_add_co_ci_u32_e32 v20, vcc_lo, s3, v20, vcc_lo
	flat_load_b32 v50, v[19:20]
.LBB339_3:
	s_or_b32 exec_lo, exec_lo, s0
	v_and_b32_e32 v33, 0x3ff, v31
	v_ashrrev_i32_e32 v16, 31, v12
	s_ashr_i32 s2, s12, 31
	s_lshl_b32 s6, s12, 8
	s_delay_alu instid0(VALU_DEP_2) | instskip(SKIP_3) | instid1(VALU_DEP_2)
	v_lshrrev_b32_e32 v32, 1, v33
	v_and_b32_e32 v34, 1, v33
	v_cmp_gt_u32_e64 s0, 64, v33
	v_lshlrev_b32_e32 v12, 3, v33
	s_and_saveexec_b32 s3, s0
	s_cbranch_execz .LBB339_5
; %bb.4:
	v_mul_lo_u32 v19, s16, v21
	s_ashr_i32 s7, s6, 31
	s_delay_alu instid0(SALU_CYCLE_1) | instskip(NEXT) | instid1(VALU_DEP_1)
	s_lshl_b64 s[20:21], s[6:7], 1
	v_ashrrev_i32_e32 v20, 31, v19
	s_delay_alu instid0(VALU_DEP_1) | instskip(NEXT) | instid1(VALU_DEP_1)
	v_lshlrev_b64 v[19:20], 1, v[19:20]
	v_add_co_u32 v6, vcc_lo, v6, v19
	s_delay_alu instid0(VALU_DEP_2) | instskip(SKIP_1) | instid1(VALU_DEP_3)
	v_add_co_ci_u32_e32 v7, vcc_lo, v7, v20, vcc_lo
	v_lshlrev_b32_e32 v19, 3, v32
	v_add_co_u32 v6, vcc_lo, v6, s20
	s_delay_alu instid0(VALU_DEP_3) | instskip(NEXT) | instid1(VALU_DEP_3)
	v_add_co_ci_u32_e32 v7, vcc_lo, s21, v7, vcc_lo
	v_lshl_add_u32 v19, v34, 8, v19
	s_delay_alu instid0(VALU_DEP_3) | instskip(NEXT) | instid1(VALU_DEP_3)
	v_add_co_u32 v6, vcc_lo, v6, v12
	v_add_co_ci_u32_e32 v7, vcc_lo, 0, v7, vcc_lo
	flat_load_b64 v[6:7], v[6:7]
	s_waitcnt vmcnt(0) lgkmcnt(0)
	ds_store_b64 v19, v[6:7]
.LBB339_5:
	s_or_b32 exec_lo, exec_lo, s3
	v_mul_lo_u32 v6, v17, v28
	v_add_nc_u32_e32 v20, 1, v17
	v_lshrrev_b32_e32 v36, 5, v33
	s_lshl_b32 s13, s14, 5
	v_mbcnt_lo_u32_b32 v49, -1, 0
	s_waitcnt vmcnt(0) lgkmcnt(0)
	s_waitcnt_vscnt null, 0x0
	s_barrier
	buffer_gl0_inv
	v_sub_nc_u32_e32 v6, s1, v6
	s_add_i32 s1, s13, 32
                                        ; implicit-def: $vgpr51
	s_delay_alu instid0(VALU_DEP_1) | instskip(SKIP_1) | instid1(VALU_DEP_2)
	v_sub_nc_u32_e32 v21, v6, v28
	v_cmp_ge_u32_e32 vcc_lo, v6, v28
	v_dual_cndmask_b32 v6, v6, v21 :: v_dual_add_nc_u32 v7, 15, v35
	s_delay_alu instid0(VALU_DEP_1)
	v_ashrrev_i32_e32 v19, 31, v7
	v_cndmask_b32_e32 v17, v17, v20, vcc_lo
	v_xor_b32_e32 v20, s2, v16
	v_mul_lo_u32 v16, s16, v18
	v_cmp_ge_u32_e32 vcc_lo, v6, v28
	v_lshrrev_b32_e32 v19, 28, v19
	v_or_b32_e32 v6, s13, v36
                                        ; implicit-def: $sgpr2
	s_delay_alu instid0(VALU_DEP_2) | instskip(SKIP_1) | instid1(VALU_DEP_2)
	v_add_nc_u32_e32 v7, v7, v19
	v_add_nc_u32_e32 v19, 1, v17
	v_ashrrev_i32_e32 v38, 4, v7
	s_delay_alu instid0(VALU_DEP_2) | instskip(SKIP_1) | instid1(VALU_DEP_3)
	v_cndmask_b32_e32 v7, v17, v19, vcc_lo
	v_ashrrev_i32_e32 v17, 31, v16
	v_min_i32_e32 v37, s1, v38
	s_delay_alu instid0(VALU_DEP_3) | instskip(NEXT) | instid1(VALU_DEP_2)
	v_xor_b32_e32 v7, v7, v20
	v_cmp_ge_i32_e64 s1, v6, v37
	s_delay_alu instid0(VALU_DEP_2) | instskip(NEXT) | instid1(VALU_DEP_2)
	v_sub_nc_u32_e32 v7, v7, v20
	s_and_saveexec_b32 s3, s1
	s_delay_alu instid0(SALU_CYCLE_1)
	s_xor_b32 s3, exec_lo, s3
; %bb.6:
	v_mbcnt_lo_u32_b32 v49, -1, 0
	v_mov_b32_e32 v51, 32
	s_mov_b32 s2, 0xff7fffff
                                        ; implicit-def: $vgpr50
                                        ; implicit-def: $vgpr13
                                        ; implicit-def: $vgpr24
                                        ; implicit-def: $vgpr8
                                        ; implicit-def: $vgpr9
; %bb.7:
	s_or_saveexec_b32 s15, s3
	s_clause 0x1
	s_load_b32 s19, s[8:9], 0x14
	s_load_b32 s7, s[8:9], 0x8
	v_mul_lo_u32 v39, v7, v23
	v_lshlrev_b64 v[16:17], 2, v[16:17]
	v_dual_mov_b32 v52, s2 :: v_dual_lshlrev_b32 v23, 4, v36
	v_ashrrev_i32_e32 v7, 31, v6
	s_delay_alu instid0(VALU_DEP_4)
	v_ashrrev_i32_e32 v48, 31, v39
	s_xor_b32 exec_lo, exec_lo, s15
	s_cbranch_execz .LBB339_1037
; %bb.8:
	v_bfe_u32 v28, v33, 1, 4
	v_lshlrev_b64 v[20:21], 2, v[6:7]
	v_add_co_u32 v8, vcc_lo, v8, v39
	v_add_co_ci_u32_e32 v19, vcc_lo, v9, v48, vcc_lo
	s_delay_alu instid0(VALU_DEP_4) | instskip(SKIP_2) | instid1(VALU_DEP_2)
	v_dual_mov_b32 v9, 0 :: v_dual_lshlrev_b32 v18, 4, v28
	v_dual_mov_b32 v66, v6 :: v_dual_lshlrev_b32 v29, 2, v28
	s_ashr_i32 s11, s10, 31
	v_add_co_u32 v18, vcc_lo, v8, v18
	v_add_co_u32 v8, s3, v16, v20
	s_delay_alu instid0(VALU_DEP_1) | instskip(SKIP_1) | instid1(VALU_DEP_3)
	v_add_co_ci_u32_e64 v21, s3, v17, v21, s3
	v_add_co_ci_u32_e32 v19, vcc_lo, 0, v19, vcc_lo
	v_add_co_u32 v20, s3, v14, v8
	v_dual_mov_b32 v52, 0xff7fffff :: v_dual_lshlrev_b32 v53, 2, v34
	v_dual_mov_b32 v51, 32 :: v_dual_lshlrev_b32 v54, 8, v34
	v_cmp_eq_u32_e32 vcc_lo, 0, v34
	v_cmp_neq_f32_e64 s2, 0, v50
	s_lshl_b64 s[8:9], s[10:11], 2
	v_add_co_ci_u32_e64 v21, s3, v15, v21, s3
	v_sub_nc_u32_e32 v55, 1, v35
	v_add3_u32 v64, s18, v23, v28
	v_lshl_or_b32 v65, v36, 6, v29
	s_getpc_b64 s[20:21]
	s_add_u32 s20, s20, llvm.amdgcn.dynlds.offset.table@rel32@lo+4
	s_addc_u32 s21, s21, llvm.amdgcn.dynlds.offset.table@rel32@hi+12
	s_add_u32 s8, s8, s20
	s_mov_b32 s11, 0
	s_addc_u32 s9, s9, s21
	s_branch .LBB339_10
.LBB339_9:                              ;   in Loop: Header=BB339_10 Depth=1
	s_or_b32 exec_lo, exec_lo, s4
	v_add_nc_u32_e32 v66, 4, v66
	v_add_co_u32 v20, s4, v20, 16
	s_delay_alu instid0(VALU_DEP_1) | instskip(NEXT) | instid1(VALU_DEP_3)
	v_add_co_ci_u32_e64 v21, s4, 0, v21, s4
	v_cmp_ge_i32_e64 s3, v66, v37
	v_add_nc_u32_e32 v64, 64, v64
	v_add_nc_u32_e32 v65, 0x100, v65
	s_delay_alu instid0(VALU_DEP_3) | instskip(NEXT) | instid1(SALU_CYCLE_1)
	s_or_b32 s11, s3, s11
	s_and_not1_b32 exec_lo, exec_lo, s11
	s_cbranch_execz .LBB339_1036
.LBB339_10:                             ; =>This Inner Loop Header: Depth=1
	flat_load_b32 v8, v[20:21]
	v_mov_b32_e32 v68, 0
	s_mov_b32 s4, exec_lo
	s_waitcnt vmcnt(0) lgkmcnt(0)
	v_mad_i64_i32 v[28:29], null, v8, v22, v[18:19]
	s_delay_alu instid0(VALU_DEP_1) | instskip(NEXT) | instid1(VALU_DEP_1)
	v_add_co_u32 v28, s3, v28, v53
	v_add_co_ci_u32_e64 v29, s3, 0, v29, s3
	flat_load_b32 v81, v[28:29]
	flat_load_b32 v67, v[24:25]
	s_waitcnt vmcnt(1) lgkmcnt(1)
	v_and_b32_e32 v8, 0xff, v81
	s_delay_alu instid0(VALU_DEP_1)
	v_cmpx_ne_u16_e32 0, v8
	s_cbranch_execz .LBB339_18
; %bb.11:                               ;   in Loop: Header=BB339_10 Depth=1
	v_bfrev_b32_e32 v68, 1
	s_mov_b32 s20, exec_lo
	v_cmpx_ne_u16_e32 0x80, v8
	s_cbranch_execz .LBB339_17
; %bb.12:                               ;   in Loop: Header=BB339_10 Depth=1
	v_and_b32_e32 v30, 0x7f, v81
	v_mov_b32_e32 v68, 0x7fc02000
	s_mov_b32 s21, exec_lo
	s_delay_alu instid0(VALU_DEP_2)
	v_cmpx_ne_u32_e32 0x7f, v30
	s_cbranch_execz .LBB339_16
; %bb.13:                               ;   in Loop: Header=BB339_10 Depth=1
	v_and_b32_e32 v8, 7, v81
	v_lshrrev_b32_e32 v68, 3, v30
	v_cmp_gt_u32_e64 s3, 8, v30
	s_delay_alu instid0(VALU_DEP_3) | instskip(NEXT) | instid1(VALU_DEP_2)
	v_dual_mov_b32 v31, v9 :: v_dual_mov_b32 v30, v8
	s_and_saveexec_b32 s22, s3
; %bb.14:                               ;   in Loop: Header=BB339_10 Depth=1
	v_clz_i32_u32_e32 v30, v8
	s_delay_alu instid0(VALU_DEP_1) | instskip(NEXT) | instid1(VALU_DEP_1)
	v_min_u32_e32 v68, 32, v30
	v_subrev_nc_u32_e32 v30, 28, v68
	v_sub_nc_u32_e32 v68, 29, v68
	s_delay_alu instid0(VALU_DEP_2) | instskip(NEXT) | instid1(VALU_DEP_1)
	v_lshlrev_b64 v[30:31], v30, v[8:9]
	v_and_b32_e32 v30, 7, v30
; %bb.15:                               ;   in Loop: Header=BB339_10 Depth=1
	s_or_b32 exec_lo, exec_lo, s22
	v_lshlrev_b32_e32 v8, 8, v81
	v_lshl_add_u32 v31, v68, 10, 0x2000
	s_delay_alu instid0(VALU_DEP_1) | instskip(NEXT) | instid1(VALU_DEP_1)
	v_and_or_b32 v8, 0x8000, v8, v31
	v_lshl_or_b32 v8, v30, 7, v8
	s_delay_alu instid0(VALU_DEP_1)
	v_cvt_f32_f16_e32 v68, v8
.LBB339_16:                             ;   in Loop: Header=BB339_10 Depth=1
	s_or_b32 exec_lo, exec_lo, s21
.LBB339_17:                             ;   in Loop: Header=BB339_10 Depth=1
	s_delay_alu instid0(SALU_CYCLE_1)
	s_or_b32 exec_lo, exec_lo, s20
.LBB339_18:                             ;   in Loop: Header=BB339_10 Depth=1
	s_delay_alu instid0(SALU_CYCLE_1) | instskip(SKIP_3) | instid1(VALU_DEP_2)
	s_or_b32 exec_lo, exec_lo, s4
	v_lshrrev_b16 v8, 8, v81
	v_dual_mov_b32 v69, 0 :: v_dual_mov_b32 v70, 0
	s_mov_b32 s4, exec_lo
	v_cmpx_ne_u16_e32 0, v8
	s_cbranch_execz .LBB339_26
; %bb.19:                               ;   in Loop: Header=BB339_10 Depth=1
	v_bfrev_b32_e32 v70, 1
	s_mov_b32 s20, exec_lo
	v_cmpx_ne_u16_e32 0x80, v8
	s_cbranch_execz .LBB339_25
; %bb.20:                               ;   in Loop: Header=BB339_10 Depth=1
	v_and_b32_e32 v71, 0xffff, v8
	v_mov_b32_e32 v70, 0x7fc02000
	s_mov_b32 s21, exec_lo
	s_delay_alu instid0(VALU_DEP_2) | instskip(NEXT) | instid1(VALU_DEP_1)
	v_and_b32_e32 v30, 0x7f, v71
	v_cmpx_ne_u32_e32 0x7f, v30
	s_cbranch_execz .LBB339_24
; %bb.21:                               ;   in Loop: Header=BB339_10 Depth=1
	v_and_b32_e32 v8, 7, v71
	v_lshrrev_b32_e32 v70, 3, v30
	v_cmp_gt_u32_e64 s3, 8, v30
	s_delay_alu instid0(VALU_DEP_3) | instskip(NEXT) | instid1(VALU_DEP_2)
	v_dual_mov_b32 v31, v9 :: v_dual_mov_b32 v30, v8
	s_and_saveexec_b32 s22, s3
; %bb.22:                               ;   in Loop: Header=BB339_10 Depth=1
	v_clz_i32_u32_e32 v30, v8
	s_delay_alu instid0(VALU_DEP_1) | instskip(NEXT) | instid1(VALU_DEP_1)
	v_min_u32_e32 v70, 32, v30
	v_subrev_nc_u32_e32 v30, 28, v70
	v_sub_nc_u32_e32 v70, 29, v70
	s_delay_alu instid0(VALU_DEP_2) | instskip(NEXT) | instid1(VALU_DEP_1)
	v_lshlrev_b64 v[30:31], v30, v[8:9]
	v_and_b32_e32 v30, 7, v30
; %bb.23:                               ;   in Loop: Header=BB339_10 Depth=1
	s_or_b32 exec_lo, exec_lo, s22
	v_lshlrev_b32_e32 v8, 8, v71
	v_lshl_add_u32 v31, v70, 10, 0x2000
	s_delay_alu instid0(VALU_DEP_1) | instskip(NEXT) | instid1(VALU_DEP_1)
	v_and_or_b32 v8, 0x8000, v8, v31
	v_lshl_or_b32 v8, v30, 7, v8
	s_delay_alu instid0(VALU_DEP_1)
	v_cvt_f32_f16_e32 v70, v8
.LBB339_24:                             ;   in Loop: Header=BB339_10 Depth=1
	s_or_b32 exec_lo, exec_lo, s21
.LBB339_25:                             ;   in Loop: Header=BB339_10 Depth=1
	s_delay_alu instid0(SALU_CYCLE_1)
	s_or_b32 exec_lo, exec_lo, s20
.LBB339_26:                             ;   in Loop: Header=BB339_10 Depth=1
	s_delay_alu instid0(SALU_CYCLE_1) | instskip(SKIP_2) | instid1(VALU_DEP_1)
	s_or_b32 exec_lo, exec_lo, s4
	v_lshrrev_b32_e32 v71, 16, v81
	s_mov_b32 s4, exec_lo
	v_and_b32_e32 v8, 0xff, v71
	s_delay_alu instid0(VALU_DEP_1)
	v_cmpx_ne_u16_e32 0, v8
	s_cbranch_execz .LBB339_34
; %bb.27:                               ;   in Loop: Header=BB339_10 Depth=1
	v_bfrev_b32_e32 v69, 1
	s_mov_b32 s20, exec_lo
	v_cmpx_ne_u16_e32 0x80, v8
	s_cbranch_execz .LBB339_33
; %bb.28:                               ;   in Loop: Header=BB339_10 Depth=1
	v_bfe_u32 v30, v81, 16, 7
	v_mov_b32_e32 v69, 0x7fc02000
	s_mov_b32 s21, exec_lo
	s_delay_alu instid0(VALU_DEP_2)
	v_cmpx_ne_u32_e32 0x7f, v30
	s_cbranch_execz .LBB339_32
; %bb.29:                               ;   in Loop: Header=BB339_10 Depth=1
	v_and_b32_e32 v8, 7, v71
	v_lshrrev_b32_e32 v69, 3, v30
	v_cmp_gt_u32_e64 s3, 8, v30
	s_delay_alu instid0(VALU_DEP_3) | instskip(NEXT) | instid1(VALU_DEP_2)
	v_dual_mov_b32 v31, v9 :: v_dual_mov_b32 v30, v8
	s_and_saveexec_b32 s22, s3
; %bb.30:                               ;   in Loop: Header=BB339_10 Depth=1
	v_clz_i32_u32_e32 v30, v8
	s_delay_alu instid0(VALU_DEP_1) | instskip(NEXT) | instid1(VALU_DEP_1)
	v_min_u32_e32 v69, 32, v30
	v_subrev_nc_u32_e32 v30, 28, v69
	v_sub_nc_u32_e32 v69, 29, v69
	s_delay_alu instid0(VALU_DEP_2) | instskip(NEXT) | instid1(VALU_DEP_1)
	v_lshlrev_b64 v[30:31], v30, v[8:9]
	v_and_b32_e32 v30, 7, v30
; %bb.31:                               ;   in Loop: Header=BB339_10 Depth=1
	s_or_b32 exec_lo, exec_lo, s22
	v_lshlrev_b32_e32 v8, 8, v71
	v_lshl_add_u32 v31, v69, 10, 0x2000
	s_delay_alu instid0(VALU_DEP_1) | instskip(NEXT) | instid1(VALU_DEP_1)
	v_and_or_b32 v8, 0x8000, v8, v31
	v_lshl_or_b32 v8, v30, 7, v8
	s_delay_alu instid0(VALU_DEP_1)
	v_cvt_f32_f16_e32 v69, v8
.LBB339_32:                             ;   in Loop: Header=BB339_10 Depth=1
	s_or_b32 exec_lo, exec_lo, s21
.LBB339_33:                             ;   in Loop: Header=BB339_10 Depth=1
	s_delay_alu instid0(SALU_CYCLE_1)
	s_or_b32 exec_lo, exec_lo, s20
.LBB339_34:                             ;   in Loop: Header=BB339_10 Depth=1
	s_delay_alu instid0(SALU_CYCLE_1)
	s_or_b32 exec_lo, exec_lo, s4
	v_dual_mov_b32 v80, 0 :: v_dual_mov_b32 v71, 0
	s_mov_b32 s4, exec_lo
	v_cmpx_lt_u32_e32 0xffffff, v81
	s_cbranch_execz .LBB339_42
; %bb.35:                               ;   in Loop: Header=BB339_10 Depth=1
	v_lshrrev_b32_e32 v81, 24, v81
	v_bfrev_b32_e32 v71, 1
	s_mov_b32 s20, exec_lo
	s_delay_alu instid0(VALU_DEP_2)
	v_cmpx_ne_u32_e32 0x80, v81
	s_cbranch_execz .LBB339_41
; %bb.36:                               ;   in Loop: Header=BB339_10 Depth=1
	v_and_b32_e32 v30, 0x7f, v81
	v_mov_b32_e32 v71, 0x7fc02000
	s_mov_b32 s21, exec_lo
	s_delay_alu instid0(VALU_DEP_2)
	v_cmpx_ne_u32_e32 0x7f, v30
	s_cbranch_execz .LBB339_40
; %bb.37:                               ;   in Loop: Header=BB339_10 Depth=1
	v_and_b32_e32 v8, 7, v81
	v_lshrrev_b32_e32 v71, 3, v30
	v_cmp_gt_u32_e64 s3, 8, v30
	s_delay_alu instid0(VALU_DEP_3) | instskip(NEXT) | instid1(VALU_DEP_2)
	v_dual_mov_b32 v31, v9 :: v_dual_mov_b32 v30, v8
	s_and_saveexec_b32 s22, s3
; %bb.38:                               ;   in Loop: Header=BB339_10 Depth=1
	v_clz_i32_u32_e32 v30, v8
	s_delay_alu instid0(VALU_DEP_1) | instskip(NEXT) | instid1(VALU_DEP_1)
	v_min_u32_e32 v71, 32, v30
	v_subrev_nc_u32_e32 v30, 28, v71
	v_sub_nc_u32_e32 v71, 29, v71
	s_delay_alu instid0(VALU_DEP_2) | instskip(NEXT) | instid1(VALU_DEP_1)
	v_lshlrev_b64 v[30:31], v30, v[8:9]
	v_and_b32_e32 v30, 7, v30
; %bb.39:                               ;   in Loop: Header=BB339_10 Depth=1
	s_or_b32 exec_lo, exec_lo, s22
	v_lshlrev_b32_e32 v8, 8, v81
	v_lshl_add_u32 v31, v71, 10, 0x2000
	s_delay_alu instid0(VALU_DEP_1) | instskip(NEXT) | instid1(VALU_DEP_1)
	v_and_or_b32 v8, 0x8000, v8, v31
	v_lshl_or_b32 v8, v30, 7, v8
	s_delay_alu instid0(VALU_DEP_1)
	v_cvt_f32_f16_e32 v71, v8
.LBB339_40:                             ;   in Loop: Header=BB339_10 Depth=1
	s_or_b32 exec_lo, exec_lo, s21
.LBB339_41:                             ;   in Loop: Header=BB339_10 Depth=1
	s_delay_alu instid0(SALU_CYCLE_1)
	s_or_b32 exec_lo, exec_lo, s20
.LBB339_42:                             ;   in Loop: Header=BB339_10 Depth=1
	s_delay_alu instid0(SALU_CYCLE_1) | instskip(SKIP_4) | instid1(VALU_DEP_1)
	s_or_b32 exec_lo, exec_lo, s4
	flat_load_b32 v85, v[28:29] offset:8
	s_mov_b32 s4, exec_lo
	s_waitcnt vmcnt(0) lgkmcnt(0)
	v_and_b32_e32 v8, 0xff, v85
	v_cmpx_ne_u16_e32 0, v8
	s_cbranch_execz .LBB339_50
; %bb.43:                               ;   in Loop: Header=BB339_10 Depth=1
	v_bfrev_b32_e32 v80, 1
	s_mov_b32 s20, exec_lo
	v_cmpx_ne_u16_e32 0x80, v8
	s_cbranch_execz .LBB339_49
; %bb.44:                               ;   in Loop: Header=BB339_10 Depth=1
	v_and_b32_e32 v30, 0x7f, v85
	v_mov_b32_e32 v80, 0x7fc02000
	s_mov_b32 s21, exec_lo
	s_delay_alu instid0(VALU_DEP_2)
	v_cmpx_ne_u32_e32 0x7f, v30
	s_cbranch_execz .LBB339_48
; %bb.45:                               ;   in Loop: Header=BB339_10 Depth=1
	v_and_b32_e32 v8, 7, v85
	v_lshrrev_b32_e32 v80, 3, v30
	v_cmp_gt_u32_e64 s3, 8, v30
	s_delay_alu instid0(VALU_DEP_3) | instskip(NEXT) | instid1(VALU_DEP_2)
	v_dual_mov_b32 v31, v9 :: v_dual_mov_b32 v30, v8
	s_and_saveexec_b32 s22, s3
; %bb.46:                               ;   in Loop: Header=BB339_10 Depth=1
	v_clz_i32_u32_e32 v30, v8
	s_delay_alu instid0(VALU_DEP_1) | instskip(NEXT) | instid1(VALU_DEP_1)
	v_min_u32_e32 v80, 32, v30
	v_subrev_nc_u32_e32 v30, 28, v80
	v_sub_nc_u32_e32 v80, 29, v80
	s_delay_alu instid0(VALU_DEP_2) | instskip(NEXT) | instid1(VALU_DEP_1)
	v_lshlrev_b64 v[30:31], v30, v[8:9]
	v_and_b32_e32 v30, 7, v30
; %bb.47:                               ;   in Loop: Header=BB339_10 Depth=1
	s_or_b32 exec_lo, exec_lo, s22
	v_lshlrev_b32_e32 v8, 8, v85
	v_lshl_add_u32 v31, v80, 10, 0x2000
	s_delay_alu instid0(VALU_DEP_1) | instskip(NEXT) | instid1(VALU_DEP_1)
	v_and_or_b32 v8, 0x8000, v8, v31
	v_lshl_or_b32 v8, v30, 7, v8
	s_delay_alu instid0(VALU_DEP_1)
	v_cvt_f32_f16_e32 v80, v8
.LBB339_48:                             ;   in Loop: Header=BB339_10 Depth=1
	s_or_b32 exec_lo, exec_lo, s21
.LBB339_49:                             ;   in Loop: Header=BB339_10 Depth=1
	s_delay_alu instid0(SALU_CYCLE_1)
	s_or_b32 exec_lo, exec_lo, s20
.LBB339_50:                             ;   in Loop: Header=BB339_10 Depth=1
	s_delay_alu instid0(SALU_CYCLE_1) | instskip(SKIP_3) | instid1(VALU_DEP_2)
	s_or_b32 exec_lo, exec_lo, s4
	v_lshrrev_b16 v8, 8, v85
	v_dual_mov_b32 v81, 0 :: v_dual_mov_b32 v82, 0
	s_mov_b32 s4, exec_lo
	v_cmpx_ne_u16_e32 0, v8
	s_cbranch_execz .LBB339_58
; %bb.51:                               ;   in Loop: Header=BB339_10 Depth=1
	v_bfrev_b32_e32 v82, 1
	s_mov_b32 s20, exec_lo
	v_cmpx_ne_u16_e32 0x80, v8
	s_cbranch_execz .LBB339_57
; %bb.52:                               ;   in Loop: Header=BB339_10 Depth=1
	v_and_b32_e32 v83, 0xffff, v8
	v_mov_b32_e32 v82, 0x7fc02000
	s_mov_b32 s21, exec_lo
	s_delay_alu instid0(VALU_DEP_2) | instskip(NEXT) | instid1(VALU_DEP_1)
	v_and_b32_e32 v30, 0x7f, v83
	v_cmpx_ne_u32_e32 0x7f, v30
	s_cbranch_execz .LBB339_56
; %bb.53:                               ;   in Loop: Header=BB339_10 Depth=1
	v_and_b32_e32 v8, 7, v83
	v_lshrrev_b32_e32 v82, 3, v30
	v_cmp_gt_u32_e64 s3, 8, v30
	s_delay_alu instid0(VALU_DEP_3) | instskip(NEXT) | instid1(VALU_DEP_2)
	v_dual_mov_b32 v31, v9 :: v_dual_mov_b32 v30, v8
	s_and_saveexec_b32 s22, s3
; %bb.54:                               ;   in Loop: Header=BB339_10 Depth=1
	v_clz_i32_u32_e32 v30, v8
	s_delay_alu instid0(VALU_DEP_1) | instskip(NEXT) | instid1(VALU_DEP_1)
	v_min_u32_e32 v82, 32, v30
	v_subrev_nc_u32_e32 v30, 28, v82
	v_sub_nc_u32_e32 v82, 29, v82
	s_delay_alu instid0(VALU_DEP_2) | instskip(NEXT) | instid1(VALU_DEP_1)
	v_lshlrev_b64 v[30:31], v30, v[8:9]
	v_and_b32_e32 v30, 7, v30
; %bb.55:                               ;   in Loop: Header=BB339_10 Depth=1
	s_or_b32 exec_lo, exec_lo, s22
	v_lshlrev_b32_e32 v8, 8, v83
	v_lshl_add_u32 v31, v82, 10, 0x2000
	s_delay_alu instid0(VALU_DEP_1) | instskip(NEXT) | instid1(VALU_DEP_1)
	v_and_or_b32 v8, 0x8000, v8, v31
	v_lshl_or_b32 v8, v30, 7, v8
	s_delay_alu instid0(VALU_DEP_1)
	v_cvt_f32_f16_e32 v82, v8
.LBB339_56:                             ;   in Loop: Header=BB339_10 Depth=1
	s_or_b32 exec_lo, exec_lo, s21
.LBB339_57:                             ;   in Loop: Header=BB339_10 Depth=1
	s_delay_alu instid0(SALU_CYCLE_1)
	s_or_b32 exec_lo, exec_lo, s20
.LBB339_58:                             ;   in Loop: Header=BB339_10 Depth=1
	s_delay_alu instid0(SALU_CYCLE_1) | instskip(SKIP_2) | instid1(VALU_DEP_1)
	s_or_b32 exec_lo, exec_lo, s4
	v_lshrrev_b32_e32 v83, 16, v85
	s_mov_b32 s4, exec_lo
	v_and_b32_e32 v8, 0xff, v83
	s_delay_alu instid0(VALU_DEP_1)
	v_cmpx_ne_u16_e32 0, v8
	s_cbranch_execz .LBB339_66
; %bb.59:                               ;   in Loop: Header=BB339_10 Depth=1
	v_bfrev_b32_e32 v81, 1
	s_mov_b32 s20, exec_lo
	v_cmpx_ne_u16_e32 0x80, v8
	s_cbranch_execz .LBB339_65
; %bb.60:                               ;   in Loop: Header=BB339_10 Depth=1
	v_bfe_u32 v30, v85, 16, 7
	v_mov_b32_e32 v81, 0x7fc02000
	s_mov_b32 s21, exec_lo
	s_delay_alu instid0(VALU_DEP_2)
	v_cmpx_ne_u32_e32 0x7f, v30
	s_cbranch_execz .LBB339_64
; %bb.61:                               ;   in Loop: Header=BB339_10 Depth=1
	v_and_b32_e32 v8, 7, v83
	v_lshrrev_b32_e32 v81, 3, v30
	v_cmp_gt_u32_e64 s3, 8, v30
	s_delay_alu instid0(VALU_DEP_3) | instskip(NEXT) | instid1(VALU_DEP_2)
	v_dual_mov_b32 v31, v9 :: v_dual_mov_b32 v30, v8
	s_and_saveexec_b32 s22, s3
; %bb.62:                               ;   in Loop: Header=BB339_10 Depth=1
	v_clz_i32_u32_e32 v30, v8
	s_delay_alu instid0(VALU_DEP_1) | instskip(NEXT) | instid1(VALU_DEP_1)
	v_min_u32_e32 v81, 32, v30
	v_subrev_nc_u32_e32 v30, 28, v81
	v_sub_nc_u32_e32 v81, 29, v81
	s_delay_alu instid0(VALU_DEP_2) | instskip(NEXT) | instid1(VALU_DEP_1)
	v_lshlrev_b64 v[30:31], v30, v[8:9]
	v_and_b32_e32 v30, 7, v30
; %bb.63:                               ;   in Loop: Header=BB339_10 Depth=1
	s_or_b32 exec_lo, exec_lo, s22
	v_lshlrev_b32_e32 v8, 8, v83
	v_lshl_add_u32 v31, v81, 10, 0x2000
	s_delay_alu instid0(VALU_DEP_1) | instskip(NEXT) | instid1(VALU_DEP_1)
	v_and_or_b32 v8, 0x8000, v8, v31
	v_lshl_or_b32 v8, v30, 7, v8
	s_delay_alu instid0(VALU_DEP_1)
	v_cvt_f32_f16_e32 v81, v8
.LBB339_64:                             ;   in Loop: Header=BB339_10 Depth=1
	s_or_b32 exec_lo, exec_lo, s21
.LBB339_65:                             ;   in Loop: Header=BB339_10 Depth=1
	s_delay_alu instid0(SALU_CYCLE_1)
	s_or_b32 exec_lo, exec_lo, s20
.LBB339_66:                             ;   in Loop: Header=BB339_10 Depth=1
	s_delay_alu instid0(SALU_CYCLE_1)
	s_or_b32 exec_lo, exec_lo, s4
	v_dual_mov_b32 v84, 0 :: v_dual_mov_b32 v83, 0
	s_mov_b32 s4, exec_lo
	v_cmpx_lt_u32_e32 0xffffff, v85
	s_cbranch_execz .LBB339_74
; %bb.67:                               ;   in Loop: Header=BB339_10 Depth=1
	v_lshrrev_b32_e32 v85, 24, v85
	v_bfrev_b32_e32 v83, 1
	s_mov_b32 s20, exec_lo
	s_delay_alu instid0(VALU_DEP_2)
	v_cmpx_ne_u32_e32 0x80, v85
	s_cbranch_execz .LBB339_73
; %bb.68:                               ;   in Loop: Header=BB339_10 Depth=1
	v_and_b32_e32 v30, 0x7f, v85
	v_mov_b32_e32 v83, 0x7fc02000
	s_mov_b32 s21, exec_lo
	s_delay_alu instid0(VALU_DEP_2)
	v_cmpx_ne_u32_e32 0x7f, v30
	s_cbranch_execz .LBB339_72
; %bb.69:                               ;   in Loop: Header=BB339_10 Depth=1
	v_and_b32_e32 v8, 7, v85
	v_lshrrev_b32_e32 v83, 3, v30
	v_cmp_gt_u32_e64 s3, 8, v30
	s_delay_alu instid0(VALU_DEP_3) | instskip(NEXT) | instid1(VALU_DEP_2)
	v_dual_mov_b32 v31, v9 :: v_dual_mov_b32 v30, v8
	s_and_saveexec_b32 s22, s3
; %bb.70:                               ;   in Loop: Header=BB339_10 Depth=1
	v_clz_i32_u32_e32 v30, v8
	s_delay_alu instid0(VALU_DEP_1) | instskip(NEXT) | instid1(VALU_DEP_1)
	v_min_u32_e32 v83, 32, v30
	v_subrev_nc_u32_e32 v30, 28, v83
	v_sub_nc_u32_e32 v83, 29, v83
	s_delay_alu instid0(VALU_DEP_2) | instskip(NEXT) | instid1(VALU_DEP_1)
	v_lshlrev_b64 v[30:31], v30, v[8:9]
	v_and_b32_e32 v30, 7, v30
; %bb.71:                               ;   in Loop: Header=BB339_10 Depth=1
	s_or_b32 exec_lo, exec_lo, s22
	v_lshlrev_b32_e32 v8, 8, v85
	v_lshl_add_u32 v31, v83, 10, 0x2000
	s_delay_alu instid0(VALU_DEP_1) | instskip(NEXT) | instid1(VALU_DEP_1)
	v_and_or_b32 v8, 0x8000, v8, v31
	v_lshl_or_b32 v8, v30, 7, v8
	s_delay_alu instid0(VALU_DEP_1)
	v_cvt_f32_f16_e32 v83, v8
.LBB339_72:                             ;   in Loop: Header=BB339_10 Depth=1
	s_or_b32 exec_lo, exec_lo, s21
.LBB339_73:                             ;   in Loop: Header=BB339_10 Depth=1
	s_delay_alu instid0(SALU_CYCLE_1)
	s_or_b32 exec_lo, exec_lo, s20
.LBB339_74:                             ;   in Loop: Header=BB339_10 Depth=1
	s_delay_alu instid0(SALU_CYCLE_1) | instskip(SKIP_4) | instid1(VALU_DEP_1)
	s_or_b32 exec_lo, exec_lo, s4
	flat_load_b32 v97, v[28:29] offset:256
	s_mov_b32 s4, exec_lo
	s_waitcnt vmcnt(0) lgkmcnt(0)
	v_and_b32_e32 v8, 0xff, v97
	v_cmpx_ne_u16_e32 0, v8
	s_cbranch_execz .LBB339_82
; %bb.75:                               ;   in Loop: Header=BB339_10 Depth=1
	v_bfrev_b32_e32 v84, 1
	s_mov_b32 s20, exec_lo
	v_cmpx_ne_u16_e32 0x80, v8
	s_cbranch_execz .LBB339_81
; %bb.76:                               ;   in Loop: Header=BB339_10 Depth=1
	v_and_b32_e32 v30, 0x7f, v97
	v_mov_b32_e32 v84, 0x7fc02000
	s_mov_b32 s21, exec_lo
	s_delay_alu instid0(VALU_DEP_2)
	v_cmpx_ne_u32_e32 0x7f, v30
	s_cbranch_execz .LBB339_80
; %bb.77:                               ;   in Loop: Header=BB339_10 Depth=1
	v_and_b32_e32 v8, 7, v97
	v_lshrrev_b32_e32 v84, 3, v30
	v_cmp_gt_u32_e64 s3, 8, v30
	s_delay_alu instid0(VALU_DEP_3) | instskip(NEXT) | instid1(VALU_DEP_2)
	v_dual_mov_b32 v31, v9 :: v_dual_mov_b32 v30, v8
	s_and_saveexec_b32 s22, s3
; %bb.78:                               ;   in Loop: Header=BB339_10 Depth=1
	v_clz_i32_u32_e32 v30, v8
	s_delay_alu instid0(VALU_DEP_1) | instskip(NEXT) | instid1(VALU_DEP_1)
	v_min_u32_e32 v84, 32, v30
	v_subrev_nc_u32_e32 v30, 28, v84
	v_sub_nc_u32_e32 v84, 29, v84
	s_delay_alu instid0(VALU_DEP_2) | instskip(NEXT) | instid1(VALU_DEP_1)
	v_lshlrev_b64 v[30:31], v30, v[8:9]
	v_and_b32_e32 v30, 7, v30
; %bb.79:                               ;   in Loop: Header=BB339_10 Depth=1
	s_or_b32 exec_lo, exec_lo, s22
	v_lshlrev_b32_e32 v8, 8, v97
	v_lshl_add_u32 v31, v84, 10, 0x2000
	s_delay_alu instid0(VALU_DEP_1) | instskip(NEXT) | instid1(VALU_DEP_1)
	v_and_or_b32 v8, 0x8000, v8, v31
	v_lshl_or_b32 v8, v30, 7, v8
	s_delay_alu instid0(VALU_DEP_1)
	v_cvt_f32_f16_e32 v84, v8
.LBB339_80:                             ;   in Loop: Header=BB339_10 Depth=1
	s_or_b32 exec_lo, exec_lo, s21
.LBB339_81:                             ;   in Loop: Header=BB339_10 Depth=1
	s_delay_alu instid0(SALU_CYCLE_1)
	s_or_b32 exec_lo, exec_lo, s20
.LBB339_82:                             ;   in Loop: Header=BB339_10 Depth=1
	s_delay_alu instid0(SALU_CYCLE_1) | instskip(SKIP_3) | instid1(VALU_DEP_2)
	s_or_b32 exec_lo, exec_lo, s4
	v_lshrrev_b16 v8, 8, v97
	v_dual_mov_b32 v85, 0 :: v_dual_mov_b32 v86, 0
	s_mov_b32 s4, exec_lo
	v_cmpx_ne_u16_e32 0, v8
	s_cbranch_execz .LBB339_90
; %bb.83:                               ;   in Loop: Header=BB339_10 Depth=1
	v_bfrev_b32_e32 v86, 1
	s_mov_b32 s20, exec_lo
	v_cmpx_ne_u16_e32 0x80, v8
	s_cbranch_execz .LBB339_89
; %bb.84:                               ;   in Loop: Header=BB339_10 Depth=1
	v_and_b32_e32 v87, 0xffff, v8
	v_mov_b32_e32 v86, 0x7fc02000
	s_mov_b32 s21, exec_lo
	s_delay_alu instid0(VALU_DEP_2) | instskip(NEXT) | instid1(VALU_DEP_1)
	v_and_b32_e32 v30, 0x7f, v87
	v_cmpx_ne_u32_e32 0x7f, v30
	s_cbranch_execz .LBB339_88
; %bb.85:                               ;   in Loop: Header=BB339_10 Depth=1
	v_and_b32_e32 v8, 7, v87
	v_lshrrev_b32_e32 v86, 3, v30
	v_cmp_gt_u32_e64 s3, 8, v30
	s_delay_alu instid0(VALU_DEP_3) | instskip(NEXT) | instid1(VALU_DEP_2)
	v_dual_mov_b32 v31, v9 :: v_dual_mov_b32 v30, v8
	s_and_saveexec_b32 s22, s3
; %bb.86:                               ;   in Loop: Header=BB339_10 Depth=1
	v_clz_i32_u32_e32 v30, v8
	s_delay_alu instid0(VALU_DEP_1) | instskip(NEXT) | instid1(VALU_DEP_1)
	v_min_u32_e32 v86, 32, v30
	v_subrev_nc_u32_e32 v30, 28, v86
	v_sub_nc_u32_e32 v86, 29, v86
	s_delay_alu instid0(VALU_DEP_2) | instskip(NEXT) | instid1(VALU_DEP_1)
	v_lshlrev_b64 v[30:31], v30, v[8:9]
	v_and_b32_e32 v30, 7, v30
; %bb.87:                               ;   in Loop: Header=BB339_10 Depth=1
	s_or_b32 exec_lo, exec_lo, s22
	v_lshlrev_b32_e32 v8, 8, v87
	v_lshl_add_u32 v31, v86, 10, 0x2000
	s_delay_alu instid0(VALU_DEP_1) | instskip(NEXT) | instid1(VALU_DEP_1)
	v_and_or_b32 v8, 0x8000, v8, v31
	v_lshl_or_b32 v8, v30, 7, v8
	s_delay_alu instid0(VALU_DEP_1)
	v_cvt_f32_f16_e32 v86, v8
.LBB339_88:                             ;   in Loop: Header=BB339_10 Depth=1
	s_or_b32 exec_lo, exec_lo, s21
.LBB339_89:                             ;   in Loop: Header=BB339_10 Depth=1
	s_delay_alu instid0(SALU_CYCLE_1)
	s_or_b32 exec_lo, exec_lo, s20
.LBB339_90:                             ;   in Loop: Header=BB339_10 Depth=1
	s_delay_alu instid0(SALU_CYCLE_1) | instskip(SKIP_2) | instid1(VALU_DEP_1)
	s_or_b32 exec_lo, exec_lo, s4
	v_lshrrev_b32_e32 v87, 16, v97
	s_mov_b32 s4, exec_lo
	v_and_b32_e32 v8, 0xff, v87
	s_delay_alu instid0(VALU_DEP_1)
	v_cmpx_ne_u16_e32 0, v8
	s_cbranch_execz .LBB339_98
; %bb.91:                               ;   in Loop: Header=BB339_10 Depth=1
	v_bfrev_b32_e32 v85, 1
	s_mov_b32 s20, exec_lo
	v_cmpx_ne_u16_e32 0x80, v8
	s_cbranch_execz .LBB339_97
; %bb.92:                               ;   in Loop: Header=BB339_10 Depth=1
	v_bfe_u32 v30, v97, 16, 7
	v_mov_b32_e32 v85, 0x7fc02000
	s_mov_b32 s21, exec_lo
	s_delay_alu instid0(VALU_DEP_2)
	v_cmpx_ne_u32_e32 0x7f, v30
	s_cbranch_execz .LBB339_96
; %bb.93:                               ;   in Loop: Header=BB339_10 Depth=1
	v_and_b32_e32 v8, 7, v87
	v_lshrrev_b32_e32 v85, 3, v30
	v_cmp_gt_u32_e64 s3, 8, v30
	s_delay_alu instid0(VALU_DEP_3) | instskip(NEXT) | instid1(VALU_DEP_2)
	v_dual_mov_b32 v31, v9 :: v_dual_mov_b32 v30, v8
	s_and_saveexec_b32 s22, s3
; %bb.94:                               ;   in Loop: Header=BB339_10 Depth=1
	v_clz_i32_u32_e32 v30, v8
	s_delay_alu instid0(VALU_DEP_1) | instskip(NEXT) | instid1(VALU_DEP_1)
	v_min_u32_e32 v85, 32, v30
	v_subrev_nc_u32_e32 v30, 28, v85
	v_sub_nc_u32_e32 v85, 29, v85
	s_delay_alu instid0(VALU_DEP_2) | instskip(NEXT) | instid1(VALU_DEP_1)
	v_lshlrev_b64 v[30:31], v30, v[8:9]
	v_and_b32_e32 v30, 7, v30
; %bb.95:                               ;   in Loop: Header=BB339_10 Depth=1
	s_or_b32 exec_lo, exec_lo, s22
	v_lshlrev_b32_e32 v8, 8, v87
	v_lshl_add_u32 v31, v85, 10, 0x2000
	s_delay_alu instid0(VALU_DEP_1) | instskip(NEXT) | instid1(VALU_DEP_1)
	v_and_or_b32 v8, 0x8000, v8, v31
	v_lshl_or_b32 v8, v30, 7, v8
	s_delay_alu instid0(VALU_DEP_1)
	v_cvt_f32_f16_e32 v85, v8
.LBB339_96:                             ;   in Loop: Header=BB339_10 Depth=1
	s_or_b32 exec_lo, exec_lo, s21
.LBB339_97:                             ;   in Loop: Header=BB339_10 Depth=1
	s_delay_alu instid0(SALU_CYCLE_1)
	s_or_b32 exec_lo, exec_lo, s20
.LBB339_98:                             ;   in Loop: Header=BB339_10 Depth=1
	s_delay_alu instid0(SALU_CYCLE_1)
	s_or_b32 exec_lo, exec_lo, s4
	v_dual_mov_b32 v96, 0 :: v_dual_mov_b32 v87, 0
	s_mov_b32 s4, exec_lo
	v_cmpx_lt_u32_e32 0xffffff, v97
	s_cbranch_execz .LBB339_106
; %bb.99:                               ;   in Loop: Header=BB339_10 Depth=1
	v_lshrrev_b32_e32 v97, 24, v97
	v_bfrev_b32_e32 v87, 1
	s_mov_b32 s20, exec_lo
	s_delay_alu instid0(VALU_DEP_2)
	v_cmpx_ne_u32_e32 0x80, v97
	s_cbranch_execz .LBB339_105
; %bb.100:                              ;   in Loop: Header=BB339_10 Depth=1
	v_and_b32_e32 v30, 0x7f, v97
	v_mov_b32_e32 v87, 0x7fc02000
	s_mov_b32 s21, exec_lo
	s_delay_alu instid0(VALU_DEP_2)
	v_cmpx_ne_u32_e32 0x7f, v30
	s_cbranch_execz .LBB339_104
; %bb.101:                              ;   in Loop: Header=BB339_10 Depth=1
	v_and_b32_e32 v8, 7, v97
	v_lshrrev_b32_e32 v87, 3, v30
	v_cmp_gt_u32_e64 s3, 8, v30
	s_delay_alu instid0(VALU_DEP_3) | instskip(NEXT) | instid1(VALU_DEP_2)
	v_dual_mov_b32 v31, v9 :: v_dual_mov_b32 v30, v8
	s_and_saveexec_b32 s22, s3
; %bb.102:                              ;   in Loop: Header=BB339_10 Depth=1
	v_clz_i32_u32_e32 v30, v8
	s_delay_alu instid0(VALU_DEP_1) | instskip(NEXT) | instid1(VALU_DEP_1)
	v_min_u32_e32 v87, 32, v30
	v_subrev_nc_u32_e32 v30, 28, v87
	v_sub_nc_u32_e32 v87, 29, v87
	s_delay_alu instid0(VALU_DEP_2) | instskip(NEXT) | instid1(VALU_DEP_1)
	v_lshlrev_b64 v[30:31], v30, v[8:9]
	v_and_b32_e32 v30, 7, v30
; %bb.103:                              ;   in Loop: Header=BB339_10 Depth=1
	s_or_b32 exec_lo, exec_lo, s22
	v_lshlrev_b32_e32 v8, 8, v97
	v_lshl_add_u32 v31, v87, 10, 0x2000
	s_delay_alu instid0(VALU_DEP_1) | instskip(NEXT) | instid1(VALU_DEP_1)
	v_and_or_b32 v8, 0x8000, v8, v31
	v_lshl_or_b32 v8, v30, 7, v8
	s_delay_alu instid0(VALU_DEP_1)
	v_cvt_f32_f16_e32 v87, v8
.LBB339_104:                            ;   in Loop: Header=BB339_10 Depth=1
	s_or_b32 exec_lo, exec_lo, s21
.LBB339_105:                            ;   in Loop: Header=BB339_10 Depth=1
	s_delay_alu instid0(SALU_CYCLE_1)
	s_or_b32 exec_lo, exec_lo, s20
.LBB339_106:                            ;   in Loop: Header=BB339_10 Depth=1
	s_delay_alu instid0(SALU_CYCLE_1) | instskip(SKIP_4) | instid1(VALU_DEP_1)
	s_or_b32 exec_lo, exec_lo, s4
	flat_load_b32 v101, v[28:29] offset:264
	s_mov_b32 s4, exec_lo
	s_waitcnt vmcnt(0) lgkmcnt(0)
	v_and_b32_e32 v8, 0xff, v101
	v_cmpx_ne_u16_e32 0, v8
	s_cbranch_execz .LBB339_114
; %bb.107:                              ;   in Loop: Header=BB339_10 Depth=1
	v_bfrev_b32_e32 v96, 1
	s_mov_b32 s20, exec_lo
	v_cmpx_ne_u16_e32 0x80, v8
	s_cbranch_execz .LBB339_113
; %bb.108:                              ;   in Loop: Header=BB339_10 Depth=1
	v_and_b32_e32 v30, 0x7f, v101
	v_mov_b32_e32 v96, 0x7fc02000
	s_mov_b32 s21, exec_lo
	s_delay_alu instid0(VALU_DEP_2)
	v_cmpx_ne_u32_e32 0x7f, v30
	s_cbranch_execz .LBB339_112
; %bb.109:                              ;   in Loop: Header=BB339_10 Depth=1
	v_and_b32_e32 v8, 7, v101
	v_lshrrev_b32_e32 v96, 3, v30
	v_cmp_gt_u32_e64 s3, 8, v30
	s_delay_alu instid0(VALU_DEP_3) | instskip(NEXT) | instid1(VALU_DEP_2)
	v_dual_mov_b32 v31, v9 :: v_dual_mov_b32 v30, v8
	s_and_saveexec_b32 s22, s3
; %bb.110:                              ;   in Loop: Header=BB339_10 Depth=1
	v_clz_i32_u32_e32 v30, v8
	s_delay_alu instid0(VALU_DEP_1) | instskip(NEXT) | instid1(VALU_DEP_1)
	v_min_u32_e32 v96, 32, v30
	v_subrev_nc_u32_e32 v30, 28, v96
	v_sub_nc_u32_e32 v96, 29, v96
	s_delay_alu instid0(VALU_DEP_2) | instskip(NEXT) | instid1(VALU_DEP_1)
	v_lshlrev_b64 v[30:31], v30, v[8:9]
	v_and_b32_e32 v30, 7, v30
; %bb.111:                              ;   in Loop: Header=BB339_10 Depth=1
	s_or_b32 exec_lo, exec_lo, s22
	v_lshlrev_b32_e32 v8, 8, v101
	v_lshl_add_u32 v31, v96, 10, 0x2000
	s_delay_alu instid0(VALU_DEP_1) | instskip(NEXT) | instid1(VALU_DEP_1)
	v_and_or_b32 v8, 0x8000, v8, v31
	v_lshl_or_b32 v8, v30, 7, v8
	s_delay_alu instid0(VALU_DEP_1)
	v_cvt_f32_f16_e32 v96, v8
.LBB339_112:                            ;   in Loop: Header=BB339_10 Depth=1
	s_or_b32 exec_lo, exec_lo, s21
.LBB339_113:                            ;   in Loop: Header=BB339_10 Depth=1
	s_delay_alu instid0(SALU_CYCLE_1)
	s_or_b32 exec_lo, exec_lo, s20
.LBB339_114:                            ;   in Loop: Header=BB339_10 Depth=1
	s_delay_alu instid0(SALU_CYCLE_1) | instskip(SKIP_3) | instid1(VALU_DEP_2)
	s_or_b32 exec_lo, exec_lo, s4
	v_lshrrev_b16 v8, 8, v101
	v_dual_mov_b32 v97, 0 :: v_dual_mov_b32 v98, 0
	s_mov_b32 s4, exec_lo
	v_cmpx_ne_u16_e32 0, v8
	s_cbranch_execz .LBB339_122
; %bb.115:                              ;   in Loop: Header=BB339_10 Depth=1
	v_bfrev_b32_e32 v98, 1
	s_mov_b32 s20, exec_lo
	v_cmpx_ne_u16_e32 0x80, v8
	s_cbranch_execz .LBB339_121
; %bb.116:                              ;   in Loop: Header=BB339_10 Depth=1
	v_and_b32_e32 v99, 0xffff, v8
	v_mov_b32_e32 v98, 0x7fc02000
	s_mov_b32 s21, exec_lo
	s_delay_alu instid0(VALU_DEP_2) | instskip(NEXT) | instid1(VALU_DEP_1)
	v_and_b32_e32 v30, 0x7f, v99
	v_cmpx_ne_u32_e32 0x7f, v30
	s_cbranch_execz .LBB339_120
; %bb.117:                              ;   in Loop: Header=BB339_10 Depth=1
	v_and_b32_e32 v8, 7, v99
	v_lshrrev_b32_e32 v98, 3, v30
	v_cmp_gt_u32_e64 s3, 8, v30
	s_delay_alu instid0(VALU_DEP_3) | instskip(NEXT) | instid1(VALU_DEP_2)
	v_dual_mov_b32 v31, v9 :: v_dual_mov_b32 v30, v8
	s_and_saveexec_b32 s22, s3
; %bb.118:                              ;   in Loop: Header=BB339_10 Depth=1
	v_clz_i32_u32_e32 v30, v8
	s_delay_alu instid0(VALU_DEP_1) | instskip(NEXT) | instid1(VALU_DEP_1)
	v_min_u32_e32 v98, 32, v30
	v_subrev_nc_u32_e32 v30, 28, v98
	v_sub_nc_u32_e32 v98, 29, v98
	s_delay_alu instid0(VALU_DEP_2) | instskip(NEXT) | instid1(VALU_DEP_1)
	v_lshlrev_b64 v[30:31], v30, v[8:9]
	v_and_b32_e32 v30, 7, v30
; %bb.119:                              ;   in Loop: Header=BB339_10 Depth=1
	s_or_b32 exec_lo, exec_lo, s22
	v_lshlrev_b32_e32 v8, 8, v99
	v_lshl_add_u32 v31, v98, 10, 0x2000
	s_delay_alu instid0(VALU_DEP_1) | instskip(NEXT) | instid1(VALU_DEP_1)
	v_and_or_b32 v8, 0x8000, v8, v31
	v_lshl_or_b32 v8, v30, 7, v8
	s_delay_alu instid0(VALU_DEP_1)
	v_cvt_f32_f16_e32 v98, v8
.LBB339_120:                            ;   in Loop: Header=BB339_10 Depth=1
	s_or_b32 exec_lo, exec_lo, s21
.LBB339_121:                            ;   in Loop: Header=BB339_10 Depth=1
	s_delay_alu instid0(SALU_CYCLE_1)
	s_or_b32 exec_lo, exec_lo, s20
.LBB339_122:                            ;   in Loop: Header=BB339_10 Depth=1
	s_delay_alu instid0(SALU_CYCLE_1) | instskip(SKIP_2) | instid1(VALU_DEP_1)
	s_or_b32 exec_lo, exec_lo, s4
	v_lshrrev_b32_e32 v99, 16, v101
	s_mov_b32 s4, exec_lo
	v_and_b32_e32 v8, 0xff, v99
	s_delay_alu instid0(VALU_DEP_1)
	v_cmpx_ne_u16_e32 0, v8
	s_cbranch_execz .LBB339_130
; %bb.123:                              ;   in Loop: Header=BB339_10 Depth=1
	v_bfrev_b32_e32 v97, 1
	s_mov_b32 s20, exec_lo
	v_cmpx_ne_u16_e32 0x80, v8
	s_cbranch_execz .LBB339_129
; %bb.124:                              ;   in Loop: Header=BB339_10 Depth=1
	v_bfe_u32 v30, v101, 16, 7
	v_mov_b32_e32 v97, 0x7fc02000
	s_mov_b32 s21, exec_lo
	s_delay_alu instid0(VALU_DEP_2)
	v_cmpx_ne_u32_e32 0x7f, v30
	s_cbranch_execz .LBB339_128
; %bb.125:                              ;   in Loop: Header=BB339_10 Depth=1
	v_and_b32_e32 v8, 7, v99
	v_lshrrev_b32_e32 v97, 3, v30
	v_cmp_gt_u32_e64 s3, 8, v30
	s_delay_alu instid0(VALU_DEP_3) | instskip(NEXT) | instid1(VALU_DEP_2)
	v_dual_mov_b32 v31, v9 :: v_dual_mov_b32 v30, v8
	s_and_saveexec_b32 s22, s3
; %bb.126:                              ;   in Loop: Header=BB339_10 Depth=1
	v_clz_i32_u32_e32 v30, v8
	s_delay_alu instid0(VALU_DEP_1) | instskip(NEXT) | instid1(VALU_DEP_1)
	v_min_u32_e32 v97, 32, v30
	v_subrev_nc_u32_e32 v30, 28, v97
	v_sub_nc_u32_e32 v97, 29, v97
	s_delay_alu instid0(VALU_DEP_2) | instskip(NEXT) | instid1(VALU_DEP_1)
	v_lshlrev_b64 v[30:31], v30, v[8:9]
	v_and_b32_e32 v30, 7, v30
; %bb.127:                              ;   in Loop: Header=BB339_10 Depth=1
	s_or_b32 exec_lo, exec_lo, s22
	v_lshlrev_b32_e32 v8, 8, v99
	v_lshl_add_u32 v31, v97, 10, 0x2000
	s_delay_alu instid0(VALU_DEP_1) | instskip(NEXT) | instid1(VALU_DEP_1)
	v_and_or_b32 v8, 0x8000, v8, v31
	v_lshl_or_b32 v8, v30, 7, v8
	s_delay_alu instid0(VALU_DEP_1)
	v_cvt_f32_f16_e32 v97, v8
.LBB339_128:                            ;   in Loop: Header=BB339_10 Depth=1
	s_or_b32 exec_lo, exec_lo, s21
.LBB339_129:                            ;   in Loop: Header=BB339_10 Depth=1
	s_delay_alu instid0(SALU_CYCLE_1)
	s_or_b32 exec_lo, exec_lo, s20
.LBB339_130:                            ;   in Loop: Header=BB339_10 Depth=1
	s_delay_alu instid0(SALU_CYCLE_1)
	s_or_b32 exec_lo, exec_lo, s4
	v_dual_mov_b32 v100, 0 :: v_dual_mov_b32 v99, 0
	s_mov_b32 s4, exec_lo
	v_cmpx_lt_u32_e32 0xffffff, v101
	s_cbranch_execz .LBB339_138
; %bb.131:                              ;   in Loop: Header=BB339_10 Depth=1
	v_lshrrev_b32_e32 v101, 24, v101
	v_bfrev_b32_e32 v99, 1
	s_mov_b32 s20, exec_lo
	s_delay_alu instid0(VALU_DEP_2)
	v_cmpx_ne_u32_e32 0x80, v101
	s_cbranch_execz .LBB339_137
; %bb.132:                              ;   in Loop: Header=BB339_10 Depth=1
	v_and_b32_e32 v30, 0x7f, v101
	v_mov_b32_e32 v99, 0x7fc02000
	s_mov_b32 s21, exec_lo
	s_delay_alu instid0(VALU_DEP_2)
	v_cmpx_ne_u32_e32 0x7f, v30
	s_cbranch_execz .LBB339_136
; %bb.133:                              ;   in Loop: Header=BB339_10 Depth=1
	v_and_b32_e32 v8, 7, v101
	v_lshrrev_b32_e32 v99, 3, v30
	v_cmp_gt_u32_e64 s3, 8, v30
	s_delay_alu instid0(VALU_DEP_3) | instskip(NEXT) | instid1(VALU_DEP_2)
	v_dual_mov_b32 v31, v9 :: v_dual_mov_b32 v30, v8
	s_and_saveexec_b32 s22, s3
; %bb.134:                              ;   in Loop: Header=BB339_10 Depth=1
	v_clz_i32_u32_e32 v30, v8
	s_delay_alu instid0(VALU_DEP_1) | instskip(NEXT) | instid1(VALU_DEP_1)
	v_min_u32_e32 v99, 32, v30
	v_subrev_nc_u32_e32 v30, 28, v99
	v_sub_nc_u32_e32 v99, 29, v99
	s_delay_alu instid0(VALU_DEP_2) | instskip(NEXT) | instid1(VALU_DEP_1)
	v_lshlrev_b64 v[30:31], v30, v[8:9]
	v_and_b32_e32 v30, 7, v30
; %bb.135:                              ;   in Loop: Header=BB339_10 Depth=1
	s_or_b32 exec_lo, exec_lo, s22
	v_lshlrev_b32_e32 v8, 8, v101
	v_lshl_add_u32 v31, v99, 10, 0x2000
	s_delay_alu instid0(VALU_DEP_1) | instskip(NEXT) | instid1(VALU_DEP_1)
	v_and_or_b32 v8, 0x8000, v8, v31
	v_lshl_or_b32 v8, v30, 7, v8
	s_delay_alu instid0(VALU_DEP_1)
	v_cvt_f32_f16_e32 v99, v8
.LBB339_136:                            ;   in Loop: Header=BB339_10 Depth=1
	s_or_b32 exec_lo, exec_lo, s21
.LBB339_137:                            ;   in Loop: Header=BB339_10 Depth=1
	s_delay_alu instid0(SALU_CYCLE_1)
	s_or_b32 exec_lo, exec_lo, s20
.LBB339_138:                            ;   in Loop: Header=BB339_10 Depth=1
	s_delay_alu instid0(SALU_CYCLE_1) | instskip(SKIP_4) | instid1(VALU_DEP_1)
	s_or_b32 exec_lo, exec_lo, s4
	flat_load_b32 v113, v[28:29] offset:512
	s_mov_b32 s4, exec_lo
	s_waitcnt vmcnt(0) lgkmcnt(0)
	v_and_b32_e32 v8, 0xff, v113
	v_cmpx_ne_u16_e32 0, v8
	s_cbranch_execz .LBB339_146
; %bb.139:                              ;   in Loop: Header=BB339_10 Depth=1
	v_bfrev_b32_e32 v100, 1
	s_mov_b32 s20, exec_lo
	v_cmpx_ne_u16_e32 0x80, v8
	s_cbranch_execz .LBB339_145
; %bb.140:                              ;   in Loop: Header=BB339_10 Depth=1
	v_and_b32_e32 v30, 0x7f, v113
	v_mov_b32_e32 v100, 0x7fc02000
	s_mov_b32 s21, exec_lo
	s_delay_alu instid0(VALU_DEP_2)
	v_cmpx_ne_u32_e32 0x7f, v30
	s_cbranch_execz .LBB339_144
; %bb.141:                              ;   in Loop: Header=BB339_10 Depth=1
	v_and_b32_e32 v8, 7, v113
	v_lshrrev_b32_e32 v100, 3, v30
	v_cmp_gt_u32_e64 s3, 8, v30
	s_delay_alu instid0(VALU_DEP_3) | instskip(NEXT) | instid1(VALU_DEP_2)
	v_dual_mov_b32 v31, v9 :: v_dual_mov_b32 v30, v8
	s_and_saveexec_b32 s22, s3
; %bb.142:                              ;   in Loop: Header=BB339_10 Depth=1
	v_clz_i32_u32_e32 v30, v8
	s_delay_alu instid0(VALU_DEP_1) | instskip(NEXT) | instid1(VALU_DEP_1)
	v_min_u32_e32 v100, 32, v30
	v_subrev_nc_u32_e32 v30, 28, v100
	v_sub_nc_u32_e32 v100, 29, v100
	s_delay_alu instid0(VALU_DEP_2) | instskip(NEXT) | instid1(VALU_DEP_1)
	v_lshlrev_b64 v[30:31], v30, v[8:9]
	v_and_b32_e32 v30, 7, v30
; %bb.143:                              ;   in Loop: Header=BB339_10 Depth=1
	s_or_b32 exec_lo, exec_lo, s22
	v_lshlrev_b32_e32 v8, 8, v113
	v_lshl_add_u32 v31, v100, 10, 0x2000
	s_delay_alu instid0(VALU_DEP_1) | instskip(NEXT) | instid1(VALU_DEP_1)
	v_and_or_b32 v8, 0x8000, v8, v31
	v_lshl_or_b32 v8, v30, 7, v8
	s_delay_alu instid0(VALU_DEP_1)
	v_cvt_f32_f16_e32 v100, v8
.LBB339_144:                            ;   in Loop: Header=BB339_10 Depth=1
	s_or_b32 exec_lo, exec_lo, s21
.LBB339_145:                            ;   in Loop: Header=BB339_10 Depth=1
	s_delay_alu instid0(SALU_CYCLE_1)
	s_or_b32 exec_lo, exec_lo, s20
.LBB339_146:                            ;   in Loop: Header=BB339_10 Depth=1
	s_delay_alu instid0(SALU_CYCLE_1) | instskip(SKIP_3) | instid1(VALU_DEP_2)
	s_or_b32 exec_lo, exec_lo, s4
	v_lshrrev_b16 v8, 8, v113
	v_dual_mov_b32 v101, 0 :: v_dual_mov_b32 v102, 0
	s_mov_b32 s4, exec_lo
	v_cmpx_ne_u16_e32 0, v8
	s_cbranch_execz .LBB339_154
; %bb.147:                              ;   in Loop: Header=BB339_10 Depth=1
	v_bfrev_b32_e32 v102, 1
	s_mov_b32 s20, exec_lo
	v_cmpx_ne_u16_e32 0x80, v8
	s_cbranch_execz .LBB339_153
; %bb.148:                              ;   in Loop: Header=BB339_10 Depth=1
	v_and_b32_e32 v103, 0xffff, v8
	v_mov_b32_e32 v102, 0x7fc02000
	s_mov_b32 s21, exec_lo
	s_delay_alu instid0(VALU_DEP_2) | instskip(NEXT) | instid1(VALU_DEP_1)
	v_and_b32_e32 v30, 0x7f, v103
	v_cmpx_ne_u32_e32 0x7f, v30
	s_cbranch_execz .LBB339_152
; %bb.149:                              ;   in Loop: Header=BB339_10 Depth=1
	v_and_b32_e32 v8, 7, v103
	v_lshrrev_b32_e32 v102, 3, v30
	v_cmp_gt_u32_e64 s3, 8, v30
	s_delay_alu instid0(VALU_DEP_3) | instskip(NEXT) | instid1(VALU_DEP_2)
	v_dual_mov_b32 v31, v9 :: v_dual_mov_b32 v30, v8
	s_and_saveexec_b32 s22, s3
; %bb.150:                              ;   in Loop: Header=BB339_10 Depth=1
	v_clz_i32_u32_e32 v30, v8
	s_delay_alu instid0(VALU_DEP_1) | instskip(NEXT) | instid1(VALU_DEP_1)
	v_min_u32_e32 v102, 32, v30
	v_subrev_nc_u32_e32 v30, 28, v102
	v_sub_nc_u32_e32 v102, 29, v102
	s_delay_alu instid0(VALU_DEP_2) | instskip(NEXT) | instid1(VALU_DEP_1)
	v_lshlrev_b64 v[30:31], v30, v[8:9]
	v_and_b32_e32 v30, 7, v30
; %bb.151:                              ;   in Loop: Header=BB339_10 Depth=1
	s_or_b32 exec_lo, exec_lo, s22
	v_lshlrev_b32_e32 v8, 8, v103
	v_lshl_add_u32 v31, v102, 10, 0x2000
	s_delay_alu instid0(VALU_DEP_1) | instskip(NEXT) | instid1(VALU_DEP_1)
	v_and_or_b32 v8, 0x8000, v8, v31
	v_lshl_or_b32 v8, v30, 7, v8
	s_delay_alu instid0(VALU_DEP_1)
	v_cvt_f32_f16_e32 v102, v8
.LBB339_152:                            ;   in Loop: Header=BB339_10 Depth=1
	s_or_b32 exec_lo, exec_lo, s21
.LBB339_153:                            ;   in Loop: Header=BB339_10 Depth=1
	s_delay_alu instid0(SALU_CYCLE_1)
	s_or_b32 exec_lo, exec_lo, s20
.LBB339_154:                            ;   in Loop: Header=BB339_10 Depth=1
	s_delay_alu instid0(SALU_CYCLE_1) | instskip(SKIP_2) | instid1(VALU_DEP_1)
	s_or_b32 exec_lo, exec_lo, s4
	v_lshrrev_b32_e32 v103, 16, v113
	s_mov_b32 s4, exec_lo
	v_and_b32_e32 v8, 0xff, v103
	s_delay_alu instid0(VALU_DEP_1)
	v_cmpx_ne_u16_e32 0, v8
	s_cbranch_execz .LBB339_162
; %bb.155:                              ;   in Loop: Header=BB339_10 Depth=1
	v_bfrev_b32_e32 v101, 1
	s_mov_b32 s20, exec_lo
	v_cmpx_ne_u16_e32 0x80, v8
	s_cbranch_execz .LBB339_161
; %bb.156:                              ;   in Loop: Header=BB339_10 Depth=1
	v_bfe_u32 v30, v113, 16, 7
	v_mov_b32_e32 v101, 0x7fc02000
	s_mov_b32 s21, exec_lo
	s_delay_alu instid0(VALU_DEP_2)
	v_cmpx_ne_u32_e32 0x7f, v30
	s_cbranch_execz .LBB339_160
; %bb.157:                              ;   in Loop: Header=BB339_10 Depth=1
	v_and_b32_e32 v8, 7, v103
	v_lshrrev_b32_e32 v101, 3, v30
	v_cmp_gt_u32_e64 s3, 8, v30
	s_delay_alu instid0(VALU_DEP_3) | instskip(NEXT) | instid1(VALU_DEP_2)
	v_dual_mov_b32 v31, v9 :: v_dual_mov_b32 v30, v8
	s_and_saveexec_b32 s22, s3
; %bb.158:                              ;   in Loop: Header=BB339_10 Depth=1
	v_clz_i32_u32_e32 v30, v8
	s_delay_alu instid0(VALU_DEP_1) | instskip(NEXT) | instid1(VALU_DEP_1)
	v_min_u32_e32 v101, 32, v30
	v_subrev_nc_u32_e32 v30, 28, v101
	v_sub_nc_u32_e32 v101, 29, v101
	s_delay_alu instid0(VALU_DEP_2) | instskip(NEXT) | instid1(VALU_DEP_1)
	v_lshlrev_b64 v[30:31], v30, v[8:9]
	v_and_b32_e32 v30, 7, v30
; %bb.159:                              ;   in Loop: Header=BB339_10 Depth=1
	s_or_b32 exec_lo, exec_lo, s22
	v_lshlrev_b32_e32 v8, 8, v103
	v_lshl_add_u32 v31, v101, 10, 0x2000
	s_delay_alu instid0(VALU_DEP_1) | instskip(NEXT) | instid1(VALU_DEP_1)
	v_and_or_b32 v8, 0x8000, v8, v31
	v_lshl_or_b32 v8, v30, 7, v8
	s_delay_alu instid0(VALU_DEP_1)
	v_cvt_f32_f16_e32 v101, v8
.LBB339_160:                            ;   in Loop: Header=BB339_10 Depth=1
	s_or_b32 exec_lo, exec_lo, s21
.LBB339_161:                            ;   in Loop: Header=BB339_10 Depth=1
	s_delay_alu instid0(SALU_CYCLE_1)
	s_or_b32 exec_lo, exec_lo, s20
.LBB339_162:                            ;   in Loop: Header=BB339_10 Depth=1
	s_delay_alu instid0(SALU_CYCLE_1)
	s_or_b32 exec_lo, exec_lo, s4
	v_dual_mov_b32 v112, 0 :: v_dual_mov_b32 v103, 0
	s_mov_b32 s4, exec_lo
	v_cmpx_lt_u32_e32 0xffffff, v113
	s_cbranch_execz .LBB339_170
; %bb.163:                              ;   in Loop: Header=BB339_10 Depth=1
	v_lshrrev_b32_e32 v113, 24, v113
	v_bfrev_b32_e32 v103, 1
	s_mov_b32 s20, exec_lo
	s_delay_alu instid0(VALU_DEP_2)
	v_cmpx_ne_u32_e32 0x80, v113
	s_cbranch_execz .LBB339_169
; %bb.164:                              ;   in Loop: Header=BB339_10 Depth=1
	v_and_b32_e32 v30, 0x7f, v113
	v_mov_b32_e32 v103, 0x7fc02000
	s_mov_b32 s21, exec_lo
	s_delay_alu instid0(VALU_DEP_2)
	v_cmpx_ne_u32_e32 0x7f, v30
	s_cbranch_execz .LBB339_168
; %bb.165:                              ;   in Loop: Header=BB339_10 Depth=1
	v_and_b32_e32 v8, 7, v113
	v_lshrrev_b32_e32 v103, 3, v30
	v_cmp_gt_u32_e64 s3, 8, v30
	s_delay_alu instid0(VALU_DEP_3) | instskip(NEXT) | instid1(VALU_DEP_2)
	v_dual_mov_b32 v31, v9 :: v_dual_mov_b32 v30, v8
	s_and_saveexec_b32 s22, s3
; %bb.166:                              ;   in Loop: Header=BB339_10 Depth=1
	v_clz_i32_u32_e32 v30, v8
	s_delay_alu instid0(VALU_DEP_1) | instskip(NEXT) | instid1(VALU_DEP_1)
	v_min_u32_e32 v103, 32, v30
	v_subrev_nc_u32_e32 v30, 28, v103
	v_sub_nc_u32_e32 v103, 29, v103
	s_delay_alu instid0(VALU_DEP_2) | instskip(NEXT) | instid1(VALU_DEP_1)
	v_lshlrev_b64 v[30:31], v30, v[8:9]
	v_and_b32_e32 v30, 7, v30
; %bb.167:                              ;   in Loop: Header=BB339_10 Depth=1
	s_or_b32 exec_lo, exec_lo, s22
	v_lshlrev_b32_e32 v8, 8, v113
	v_lshl_add_u32 v31, v103, 10, 0x2000
	s_delay_alu instid0(VALU_DEP_1) | instskip(NEXT) | instid1(VALU_DEP_1)
	v_and_or_b32 v8, 0x8000, v8, v31
	v_lshl_or_b32 v8, v30, 7, v8
	s_delay_alu instid0(VALU_DEP_1)
	v_cvt_f32_f16_e32 v103, v8
.LBB339_168:                            ;   in Loop: Header=BB339_10 Depth=1
	s_or_b32 exec_lo, exec_lo, s21
.LBB339_169:                            ;   in Loop: Header=BB339_10 Depth=1
	s_delay_alu instid0(SALU_CYCLE_1)
	s_or_b32 exec_lo, exec_lo, s20
.LBB339_170:                            ;   in Loop: Header=BB339_10 Depth=1
	s_delay_alu instid0(SALU_CYCLE_1) | instskip(SKIP_4) | instid1(VALU_DEP_1)
	s_or_b32 exec_lo, exec_lo, s4
	flat_load_b32 v117, v[28:29] offset:520
	s_mov_b32 s4, exec_lo
	s_waitcnt vmcnt(0) lgkmcnt(0)
	v_and_b32_e32 v8, 0xff, v117
	v_cmpx_ne_u16_e32 0, v8
	s_cbranch_execz .LBB339_178
; %bb.171:                              ;   in Loop: Header=BB339_10 Depth=1
	v_bfrev_b32_e32 v112, 1
	s_mov_b32 s20, exec_lo
	v_cmpx_ne_u16_e32 0x80, v8
	s_cbranch_execz .LBB339_177
; %bb.172:                              ;   in Loop: Header=BB339_10 Depth=1
	v_and_b32_e32 v30, 0x7f, v117
	v_mov_b32_e32 v112, 0x7fc02000
	s_mov_b32 s21, exec_lo
	s_delay_alu instid0(VALU_DEP_2)
	v_cmpx_ne_u32_e32 0x7f, v30
	s_cbranch_execz .LBB339_176
; %bb.173:                              ;   in Loop: Header=BB339_10 Depth=1
	v_and_b32_e32 v8, 7, v117
	v_lshrrev_b32_e32 v112, 3, v30
	v_cmp_gt_u32_e64 s3, 8, v30
	s_delay_alu instid0(VALU_DEP_3) | instskip(NEXT) | instid1(VALU_DEP_2)
	v_dual_mov_b32 v31, v9 :: v_dual_mov_b32 v30, v8
	s_and_saveexec_b32 s22, s3
; %bb.174:                              ;   in Loop: Header=BB339_10 Depth=1
	v_clz_i32_u32_e32 v30, v8
	s_delay_alu instid0(VALU_DEP_1) | instskip(NEXT) | instid1(VALU_DEP_1)
	v_min_u32_e32 v112, 32, v30
	v_subrev_nc_u32_e32 v30, 28, v112
	v_sub_nc_u32_e32 v112, 29, v112
	s_delay_alu instid0(VALU_DEP_2) | instskip(NEXT) | instid1(VALU_DEP_1)
	v_lshlrev_b64 v[30:31], v30, v[8:9]
	v_and_b32_e32 v30, 7, v30
; %bb.175:                              ;   in Loop: Header=BB339_10 Depth=1
	s_or_b32 exec_lo, exec_lo, s22
	v_lshlrev_b32_e32 v8, 8, v117
	v_lshl_add_u32 v31, v112, 10, 0x2000
	s_delay_alu instid0(VALU_DEP_1) | instskip(NEXT) | instid1(VALU_DEP_1)
	v_and_or_b32 v8, 0x8000, v8, v31
	v_lshl_or_b32 v8, v30, 7, v8
	s_delay_alu instid0(VALU_DEP_1)
	v_cvt_f32_f16_e32 v112, v8
.LBB339_176:                            ;   in Loop: Header=BB339_10 Depth=1
	s_or_b32 exec_lo, exec_lo, s21
.LBB339_177:                            ;   in Loop: Header=BB339_10 Depth=1
	s_delay_alu instid0(SALU_CYCLE_1)
	s_or_b32 exec_lo, exec_lo, s20
.LBB339_178:                            ;   in Loop: Header=BB339_10 Depth=1
	s_delay_alu instid0(SALU_CYCLE_1) | instskip(SKIP_3) | instid1(VALU_DEP_2)
	s_or_b32 exec_lo, exec_lo, s4
	v_lshrrev_b16 v8, 8, v117
	v_dual_mov_b32 v113, 0 :: v_dual_mov_b32 v114, 0
	s_mov_b32 s4, exec_lo
	v_cmpx_ne_u16_e32 0, v8
	s_cbranch_execz .LBB339_186
; %bb.179:                              ;   in Loop: Header=BB339_10 Depth=1
	v_bfrev_b32_e32 v114, 1
	s_mov_b32 s20, exec_lo
	v_cmpx_ne_u16_e32 0x80, v8
	s_cbranch_execz .LBB339_185
; %bb.180:                              ;   in Loop: Header=BB339_10 Depth=1
	v_and_b32_e32 v115, 0xffff, v8
	v_mov_b32_e32 v114, 0x7fc02000
	s_mov_b32 s21, exec_lo
	s_delay_alu instid0(VALU_DEP_2) | instskip(NEXT) | instid1(VALU_DEP_1)
	v_and_b32_e32 v30, 0x7f, v115
	v_cmpx_ne_u32_e32 0x7f, v30
	s_cbranch_execz .LBB339_184
; %bb.181:                              ;   in Loop: Header=BB339_10 Depth=1
	v_and_b32_e32 v8, 7, v115
	v_lshrrev_b32_e32 v114, 3, v30
	v_cmp_gt_u32_e64 s3, 8, v30
	s_delay_alu instid0(VALU_DEP_3) | instskip(NEXT) | instid1(VALU_DEP_2)
	v_dual_mov_b32 v31, v9 :: v_dual_mov_b32 v30, v8
	s_and_saveexec_b32 s22, s3
; %bb.182:                              ;   in Loop: Header=BB339_10 Depth=1
	v_clz_i32_u32_e32 v30, v8
	s_delay_alu instid0(VALU_DEP_1) | instskip(NEXT) | instid1(VALU_DEP_1)
	v_min_u32_e32 v114, 32, v30
	v_subrev_nc_u32_e32 v30, 28, v114
	v_sub_nc_u32_e32 v114, 29, v114
	s_delay_alu instid0(VALU_DEP_2) | instskip(NEXT) | instid1(VALU_DEP_1)
	v_lshlrev_b64 v[30:31], v30, v[8:9]
	v_and_b32_e32 v30, 7, v30
; %bb.183:                              ;   in Loop: Header=BB339_10 Depth=1
	s_or_b32 exec_lo, exec_lo, s22
	v_lshlrev_b32_e32 v8, 8, v115
	v_lshl_add_u32 v31, v114, 10, 0x2000
	s_delay_alu instid0(VALU_DEP_1) | instskip(NEXT) | instid1(VALU_DEP_1)
	v_and_or_b32 v8, 0x8000, v8, v31
	v_lshl_or_b32 v8, v30, 7, v8
	s_delay_alu instid0(VALU_DEP_1)
	v_cvt_f32_f16_e32 v114, v8
.LBB339_184:                            ;   in Loop: Header=BB339_10 Depth=1
	s_or_b32 exec_lo, exec_lo, s21
.LBB339_185:                            ;   in Loop: Header=BB339_10 Depth=1
	s_delay_alu instid0(SALU_CYCLE_1)
	s_or_b32 exec_lo, exec_lo, s20
.LBB339_186:                            ;   in Loop: Header=BB339_10 Depth=1
	s_delay_alu instid0(SALU_CYCLE_1) | instskip(SKIP_2) | instid1(VALU_DEP_1)
	s_or_b32 exec_lo, exec_lo, s4
	v_lshrrev_b32_e32 v115, 16, v117
	s_mov_b32 s4, exec_lo
	v_and_b32_e32 v8, 0xff, v115
	s_delay_alu instid0(VALU_DEP_1)
	v_cmpx_ne_u16_e32 0, v8
	s_cbranch_execz .LBB339_194
; %bb.187:                              ;   in Loop: Header=BB339_10 Depth=1
	v_bfrev_b32_e32 v113, 1
	s_mov_b32 s20, exec_lo
	v_cmpx_ne_u16_e32 0x80, v8
	s_cbranch_execz .LBB339_193
; %bb.188:                              ;   in Loop: Header=BB339_10 Depth=1
	v_bfe_u32 v30, v117, 16, 7
	v_mov_b32_e32 v113, 0x7fc02000
	s_mov_b32 s21, exec_lo
	s_delay_alu instid0(VALU_DEP_2)
	v_cmpx_ne_u32_e32 0x7f, v30
	s_cbranch_execz .LBB339_192
; %bb.189:                              ;   in Loop: Header=BB339_10 Depth=1
	v_and_b32_e32 v8, 7, v115
	v_lshrrev_b32_e32 v113, 3, v30
	v_cmp_gt_u32_e64 s3, 8, v30
	s_delay_alu instid0(VALU_DEP_3) | instskip(NEXT) | instid1(VALU_DEP_2)
	v_dual_mov_b32 v31, v9 :: v_dual_mov_b32 v30, v8
	s_and_saveexec_b32 s22, s3
; %bb.190:                              ;   in Loop: Header=BB339_10 Depth=1
	v_clz_i32_u32_e32 v30, v8
	s_delay_alu instid0(VALU_DEP_1) | instskip(NEXT) | instid1(VALU_DEP_1)
	v_min_u32_e32 v113, 32, v30
	v_subrev_nc_u32_e32 v30, 28, v113
	v_sub_nc_u32_e32 v113, 29, v113
	s_delay_alu instid0(VALU_DEP_2) | instskip(NEXT) | instid1(VALU_DEP_1)
	v_lshlrev_b64 v[30:31], v30, v[8:9]
	v_and_b32_e32 v30, 7, v30
; %bb.191:                              ;   in Loop: Header=BB339_10 Depth=1
	s_or_b32 exec_lo, exec_lo, s22
	v_lshlrev_b32_e32 v8, 8, v115
	v_lshl_add_u32 v31, v113, 10, 0x2000
	s_delay_alu instid0(VALU_DEP_1) | instskip(NEXT) | instid1(VALU_DEP_1)
	v_and_or_b32 v8, 0x8000, v8, v31
	v_lshl_or_b32 v8, v30, 7, v8
	s_delay_alu instid0(VALU_DEP_1)
	v_cvt_f32_f16_e32 v113, v8
.LBB339_192:                            ;   in Loop: Header=BB339_10 Depth=1
	s_or_b32 exec_lo, exec_lo, s21
.LBB339_193:                            ;   in Loop: Header=BB339_10 Depth=1
	s_delay_alu instid0(SALU_CYCLE_1)
	s_or_b32 exec_lo, exec_lo, s20
.LBB339_194:                            ;   in Loop: Header=BB339_10 Depth=1
	s_delay_alu instid0(SALU_CYCLE_1)
	s_or_b32 exec_lo, exec_lo, s4
	v_dual_mov_b32 v116, 0 :: v_dual_mov_b32 v115, 0
	s_mov_b32 s4, exec_lo
	v_cmpx_lt_u32_e32 0xffffff, v117
	s_cbranch_execz .LBB339_202
; %bb.195:                              ;   in Loop: Header=BB339_10 Depth=1
	v_lshrrev_b32_e32 v117, 24, v117
	v_bfrev_b32_e32 v115, 1
	s_mov_b32 s20, exec_lo
	s_delay_alu instid0(VALU_DEP_2)
	v_cmpx_ne_u32_e32 0x80, v117
	s_cbranch_execz .LBB339_201
; %bb.196:                              ;   in Loop: Header=BB339_10 Depth=1
	v_and_b32_e32 v30, 0x7f, v117
	v_mov_b32_e32 v115, 0x7fc02000
	s_mov_b32 s21, exec_lo
	s_delay_alu instid0(VALU_DEP_2)
	v_cmpx_ne_u32_e32 0x7f, v30
	s_cbranch_execz .LBB339_200
; %bb.197:                              ;   in Loop: Header=BB339_10 Depth=1
	v_and_b32_e32 v8, 7, v117
	v_lshrrev_b32_e32 v115, 3, v30
	v_cmp_gt_u32_e64 s3, 8, v30
	s_delay_alu instid0(VALU_DEP_3) | instskip(NEXT) | instid1(VALU_DEP_2)
	v_dual_mov_b32 v31, v9 :: v_dual_mov_b32 v30, v8
	s_and_saveexec_b32 s22, s3
; %bb.198:                              ;   in Loop: Header=BB339_10 Depth=1
	v_clz_i32_u32_e32 v30, v8
	s_delay_alu instid0(VALU_DEP_1) | instskip(NEXT) | instid1(VALU_DEP_1)
	v_min_u32_e32 v115, 32, v30
	v_subrev_nc_u32_e32 v30, 28, v115
	v_sub_nc_u32_e32 v115, 29, v115
	s_delay_alu instid0(VALU_DEP_2) | instskip(NEXT) | instid1(VALU_DEP_1)
	v_lshlrev_b64 v[30:31], v30, v[8:9]
	v_and_b32_e32 v30, 7, v30
; %bb.199:                              ;   in Loop: Header=BB339_10 Depth=1
	s_or_b32 exec_lo, exec_lo, s22
	v_lshlrev_b32_e32 v8, 8, v117
	v_lshl_add_u32 v31, v115, 10, 0x2000
	s_delay_alu instid0(VALU_DEP_1) | instskip(NEXT) | instid1(VALU_DEP_1)
	v_and_or_b32 v8, 0x8000, v8, v31
	v_lshl_or_b32 v8, v30, 7, v8
	s_delay_alu instid0(VALU_DEP_1)
	v_cvt_f32_f16_e32 v115, v8
.LBB339_200:                            ;   in Loop: Header=BB339_10 Depth=1
	s_or_b32 exec_lo, exec_lo, s21
.LBB339_201:                            ;   in Loop: Header=BB339_10 Depth=1
	s_delay_alu instid0(SALU_CYCLE_1)
	s_or_b32 exec_lo, exec_lo, s20
.LBB339_202:                            ;   in Loop: Header=BB339_10 Depth=1
	s_delay_alu instid0(SALU_CYCLE_1) | instskip(SKIP_4) | instid1(VALU_DEP_1)
	s_or_b32 exec_lo, exec_lo, s4
	flat_load_b32 v129, v[28:29] offset:768
	s_mov_b32 s4, exec_lo
	s_waitcnt vmcnt(0) lgkmcnt(0)
	v_and_b32_e32 v8, 0xff, v129
	v_cmpx_ne_u16_e32 0, v8
	s_cbranch_execz .LBB339_210
; %bb.203:                              ;   in Loop: Header=BB339_10 Depth=1
	v_bfrev_b32_e32 v116, 1
	s_mov_b32 s20, exec_lo
	v_cmpx_ne_u16_e32 0x80, v8
	s_cbranch_execz .LBB339_209
; %bb.204:                              ;   in Loop: Header=BB339_10 Depth=1
	v_and_b32_e32 v30, 0x7f, v129
	v_mov_b32_e32 v116, 0x7fc02000
	s_mov_b32 s21, exec_lo
	s_delay_alu instid0(VALU_DEP_2)
	v_cmpx_ne_u32_e32 0x7f, v30
	s_cbranch_execz .LBB339_208
; %bb.205:                              ;   in Loop: Header=BB339_10 Depth=1
	v_and_b32_e32 v8, 7, v129
	v_lshrrev_b32_e32 v116, 3, v30
	v_cmp_gt_u32_e64 s3, 8, v30
	s_delay_alu instid0(VALU_DEP_3) | instskip(NEXT) | instid1(VALU_DEP_2)
	v_dual_mov_b32 v31, v9 :: v_dual_mov_b32 v30, v8
	s_and_saveexec_b32 s22, s3
; %bb.206:                              ;   in Loop: Header=BB339_10 Depth=1
	v_clz_i32_u32_e32 v30, v8
	s_delay_alu instid0(VALU_DEP_1) | instskip(NEXT) | instid1(VALU_DEP_1)
	v_min_u32_e32 v116, 32, v30
	v_subrev_nc_u32_e32 v30, 28, v116
	v_sub_nc_u32_e32 v116, 29, v116
	s_delay_alu instid0(VALU_DEP_2) | instskip(NEXT) | instid1(VALU_DEP_1)
	v_lshlrev_b64 v[30:31], v30, v[8:9]
	v_and_b32_e32 v30, 7, v30
; %bb.207:                              ;   in Loop: Header=BB339_10 Depth=1
	s_or_b32 exec_lo, exec_lo, s22
	v_lshlrev_b32_e32 v8, 8, v129
	v_lshl_add_u32 v31, v116, 10, 0x2000
	s_delay_alu instid0(VALU_DEP_1) | instskip(NEXT) | instid1(VALU_DEP_1)
	v_and_or_b32 v8, 0x8000, v8, v31
	v_lshl_or_b32 v8, v30, 7, v8
	s_delay_alu instid0(VALU_DEP_1)
	v_cvt_f32_f16_e32 v116, v8
.LBB339_208:                            ;   in Loop: Header=BB339_10 Depth=1
	s_or_b32 exec_lo, exec_lo, s21
.LBB339_209:                            ;   in Loop: Header=BB339_10 Depth=1
	s_delay_alu instid0(SALU_CYCLE_1)
	s_or_b32 exec_lo, exec_lo, s20
.LBB339_210:                            ;   in Loop: Header=BB339_10 Depth=1
	s_delay_alu instid0(SALU_CYCLE_1) | instskip(SKIP_3) | instid1(VALU_DEP_2)
	s_or_b32 exec_lo, exec_lo, s4
	v_lshrrev_b16 v8, 8, v129
	v_dual_mov_b32 v117, 0 :: v_dual_mov_b32 v118, 0
	s_mov_b32 s4, exec_lo
	v_cmpx_ne_u16_e32 0, v8
	s_cbranch_execz .LBB339_218
; %bb.211:                              ;   in Loop: Header=BB339_10 Depth=1
	v_bfrev_b32_e32 v118, 1
	s_mov_b32 s20, exec_lo
	v_cmpx_ne_u16_e32 0x80, v8
	s_cbranch_execz .LBB339_217
; %bb.212:                              ;   in Loop: Header=BB339_10 Depth=1
	v_and_b32_e32 v119, 0xffff, v8
	v_mov_b32_e32 v118, 0x7fc02000
	s_mov_b32 s21, exec_lo
	s_delay_alu instid0(VALU_DEP_2) | instskip(NEXT) | instid1(VALU_DEP_1)
	v_and_b32_e32 v30, 0x7f, v119
	v_cmpx_ne_u32_e32 0x7f, v30
	s_cbranch_execz .LBB339_216
; %bb.213:                              ;   in Loop: Header=BB339_10 Depth=1
	v_and_b32_e32 v8, 7, v119
	v_lshrrev_b32_e32 v118, 3, v30
	v_cmp_gt_u32_e64 s3, 8, v30
	s_delay_alu instid0(VALU_DEP_3) | instskip(NEXT) | instid1(VALU_DEP_2)
	v_dual_mov_b32 v31, v9 :: v_dual_mov_b32 v30, v8
	s_and_saveexec_b32 s22, s3
; %bb.214:                              ;   in Loop: Header=BB339_10 Depth=1
	v_clz_i32_u32_e32 v30, v8
	s_delay_alu instid0(VALU_DEP_1) | instskip(NEXT) | instid1(VALU_DEP_1)
	v_min_u32_e32 v118, 32, v30
	v_subrev_nc_u32_e32 v30, 28, v118
	v_sub_nc_u32_e32 v118, 29, v118
	s_delay_alu instid0(VALU_DEP_2) | instskip(NEXT) | instid1(VALU_DEP_1)
	v_lshlrev_b64 v[30:31], v30, v[8:9]
	v_and_b32_e32 v30, 7, v30
; %bb.215:                              ;   in Loop: Header=BB339_10 Depth=1
	s_or_b32 exec_lo, exec_lo, s22
	v_lshlrev_b32_e32 v8, 8, v119
	v_lshl_add_u32 v31, v118, 10, 0x2000
	s_delay_alu instid0(VALU_DEP_1) | instskip(NEXT) | instid1(VALU_DEP_1)
	v_and_or_b32 v8, 0x8000, v8, v31
	v_lshl_or_b32 v8, v30, 7, v8
	s_delay_alu instid0(VALU_DEP_1)
	v_cvt_f32_f16_e32 v118, v8
.LBB339_216:                            ;   in Loop: Header=BB339_10 Depth=1
	s_or_b32 exec_lo, exec_lo, s21
.LBB339_217:                            ;   in Loop: Header=BB339_10 Depth=1
	s_delay_alu instid0(SALU_CYCLE_1)
	s_or_b32 exec_lo, exec_lo, s20
.LBB339_218:                            ;   in Loop: Header=BB339_10 Depth=1
	s_delay_alu instid0(SALU_CYCLE_1) | instskip(SKIP_2) | instid1(VALU_DEP_1)
	s_or_b32 exec_lo, exec_lo, s4
	v_lshrrev_b32_e32 v119, 16, v129
	s_mov_b32 s4, exec_lo
	v_and_b32_e32 v8, 0xff, v119
	s_delay_alu instid0(VALU_DEP_1)
	v_cmpx_ne_u16_e32 0, v8
	s_cbranch_execz .LBB339_226
; %bb.219:                              ;   in Loop: Header=BB339_10 Depth=1
	v_bfrev_b32_e32 v117, 1
	s_mov_b32 s20, exec_lo
	v_cmpx_ne_u16_e32 0x80, v8
	s_cbranch_execz .LBB339_225
; %bb.220:                              ;   in Loop: Header=BB339_10 Depth=1
	v_bfe_u32 v30, v129, 16, 7
	v_mov_b32_e32 v117, 0x7fc02000
	s_mov_b32 s21, exec_lo
	s_delay_alu instid0(VALU_DEP_2)
	v_cmpx_ne_u32_e32 0x7f, v30
	s_cbranch_execz .LBB339_224
; %bb.221:                              ;   in Loop: Header=BB339_10 Depth=1
	v_and_b32_e32 v8, 7, v119
	v_lshrrev_b32_e32 v117, 3, v30
	v_cmp_gt_u32_e64 s3, 8, v30
	s_delay_alu instid0(VALU_DEP_3) | instskip(NEXT) | instid1(VALU_DEP_2)
	v_dual_mov_b32 v31, v9 :: v_dual_mov_b32 v30, v8
	s_and_saveexec_b32 s22, s3
; %bb.222:                              ;   in Loop: Header=BB339_10 Depth=1
	v_clz_i32_u32_e32 v30, v8
	s_delay_alu instid0(VALU_DEP_1) | instskip(NEXT) | instid1(VALU_DEP_1)
	v_min_u32_e32 v117, 32, v30
	v_subrev_nc_u32_e32 v30, 28, v117
	v_sub_nc_u32_e32 v117, 29, v117
	s_delay_alu instid0(VALU_DEP_2) | instskip(NEXT) | instid1(VALU_DEP_1)
	v_lshlrev_b64 v[30:31], v30, v[8:9]
	v_and_b32_e32 v30, 7, v30
; %bb.223:                              ;   in Loop: Header=BB339_10 Depth=1
	s_or_b32 exec_lo, exec_lo, s22
	v_lshlrev_b32_e32 v8, 8, v119
	v_lshl_add_u32 v31, v117, 10, 0x2000
	s_delay_alu instid0(VALU_DEP_1) | instskip(NEXT) | instid1(VALU_DEP_1)
	v_and_or_b32 v8, 0x8000, v8, v31
	v_lshl_or_b32 v8, v30, 7, v8
	s_delay_alu instid0(VALU_DEP_1)
	v_cvt_f32_f16_e32 v117, v8
.LBB339_224:                            ;   in Loop: Header=BB339_10 Depth=1
	s_or_b32 exec_lo, exec_lo, s21
.LBB339_225:                            ;   in Loop: Header=BB339_10 Depth=1
	s_delay_alu instid0(SALU_CYCLE_1)
	s_or_b32 exec_lo, exec_lo, s20
.LBB339_226:                            ;   in Loop: Header=BB339_10 Depth=1
	s_delay_alu instid0(SALU_CYCLE_1)
	s_or_b32 exec_lo, exec_lo, s4
	v_dual_mov_b32 v128, 0 :: v_dual_mov_b32 v119, 0
	s_mov_b32 s4, exec_lo
	v_cmpx_lt_u32_e32 0xffffff, v129
	s_cbranch_execz .LBB339_234
; %bb.227:                              ;   in Loop: Header=BB339_10 Depth=1
	v_lshrrev_b32_e32 v129, 24, v129
	v_bfrev_b32_e32 v119, 1
	s_mov_b32 s20, exec_lo
	s_delay_alu instid0(VALU_DEP_2)
	v_cmpx_ne_u32_e32 0x80, v129
	s_cbranch_execz .LBB339_233
; %bb.228:                              ;   in Loop: Header=BB339_10 Depth=1
	v_and_b32_e32 v30, 0x7f, v129
	v_mov_b32_e32 v119, 0x7fc02000
	s_mov_b32 s21, exec_lo
	s_delay_alu instid0(VALU_DEP_2)
	v_cmpx_ne_u32_e32 0x7f, v30
	s_cbranch_execz .LBB339_232
; %bb.229:                              ;   in Loop: Header=BB339_10 Depth=1
	v_and_b32_e32 v8, 7, v129
	v_lshrrev_b32_e32 v119, 3, v30
	v_cmp_gt_u32_e64 s3, 8, v30
	s_delay_alu instid0(VALU_DEP_3) | instskip(NEXT) | instid1(VALU_DEP_2)
	v_dual_mov_b32 v31, v9 :: v_dual_mov_b32 v30, v8
	s_and_saveexec_b32 s22, s3
; %bb.230:                              ;   in Loop: Header=BB339_10 Depth=1
	v_clz_i32_u32_e32 v30, v8
	s_delay_alu instid0(VALU_DEP_1) | instskip(NEXT) | instid1(VALU_DEP_1)
	v_min_u32_e32 v119, 32, v30
	v_subrev_nc_u32_e32 v30, 28, v119
	v_sub_nc_u32_e32 v119, 29, v119
	s_delay_alu instid0(VALU_DEP_2) | instskip(NEXT) | instid1(VALU_DEP_1)
	v_lshlrev_b64 v[30:31], v30, v[8:9]
	v_and_b32_e32 v30, 7, v30
; %bb.231:                              ;   in Loop: Header=BB339_10 Depth=1
	s_or_b32 exec_lo, exec_lo, s22
	v_lshlrev_b32_e32 v8, 8, v129
	v_lshl_add_u32 v31, v119, 10, 0x2000
	s_delay_alu instid0(VALU_DEP_1) | instskip(NEXT) | instid1(VALU_DEP_1)
	v_and_or_b32 v8, 0x8000, v8, v31
	v_lshl_or_b32 v8, v30, 7, v8
	s_delay_alu instid0(VALU_DEP_1)
	v_cvt_f32_f16_e32 v119, v8
.LBB339_232:                            ;   in Loop: Header=BB339_10 Depth=1
	s_or_b32 exec_lo, exec_lo, s21
.LBB339_233:                            ;   in Loop: Header=BB339_10 Depth=1
	s_delay_alu instid0(SALU_CYCLE_1)
	s_or_b32 exec_lo, exec_lo, s20
.LBB339_234:                            ;   in Loop: Header=BB339_10 Depth=1
	s_delay_alu instid0(SALU_CYCLE_1) | instskip(SKIP_4) | instid1(VALU_DEP_1)
	s_or_b32 exec_lo, exec_lo, s4
	flat_load_b32 v133, v[28:29] offset:776
	s_mov_b32 s4, exec_lo
	s_waitcnt vmcnt(0) lgkmcnt(0)
	v_and_b32_e32 v8, 0xff, v133
	v_cmpx_ne_u16_e32 0, v8
	s_cbranch_execz .LBB339_242
; %bb.235:                              ;   in Loop: Header=BB339_10 Depth=1
	v_bfrev_b32_e32 v128, 1
	s_mov_b32 s20, exec_lo
	v_cmpx_ne_u16_e32 0x80, v8
	s_cbranch_execz .LBB339_241
; %bb.236:                              ;   in Loop: Header=BB339_10 Depth=1
	v_and_b32_e32 v30, 0x7f, v133
	v_mov_b32_e32 v128, 0x7fc02000
	s_mov_b32 s21, exec_lo
	s_delay_alu instid0(VALU_DEP_2)
	v_cmpx_ne_u32_e32 0x7f, v30
	s_cbranch_execz .LBB339_240
; %bb.237:                              ;   in Loop: Header=BB339_10 Depth=1
	v_and_b32_e32 v8, 7, v133
	v_lshrrev_b32_e32 v128, 3, v30
	v_cmp_gt_u32_e64 s3, 8, v30
	s_delay_alu instid0(VALU_DEP_3) | instskip(NEXT) | instid1(VALU_DEP_2)
	v_dual_mov_b32 v31, v9 :: v_dual_mov_b32 v30, v8
	s_and_saveexec_b32 s22, s3
; %bb.238:                              ;   in Loop: Header=BB339_10 Depth=1
	v_clz_i32_u32_e32 v30, v8
	s_delay_alu instid0(VALU_DEP_1) | instskip(NEXT) | instid1(VALU_DEP_1)
	v_min_u32_e32 v128, 32, v30
	v_subrev_nc_u32_e32 v30, 28, v128
	v_sub_nc_u32_e32 v128, 29, v128
	s_delay_alu instid0(VALU_DEP_2) | instskip(NEXT) | instid1(VALU_DEP_1)
	v_lshlrev_b64 v[30:31], v30, v[8:9]
	v_and_b32_e32 v30, 7, v30
; %bb.239:                              ;   in Loop: Header=BB339_10 Depth=1
	s_or_b32 exec_lo, exec_lo, s22
	v_lshlrev_b32_e32 v8, 8, v133
	v_lshl_add_u32 v31, v128, 10, 0x2000
	s_delay_alu instid0(VALU_DEP_1) | instskip(NEXT) | instid1(VALU_DEP_1)
	v_and_or_b32 v8, 0x8000, v8, v31
	v_lshl_or_b32 v8, v30, 7, v8
	s_delay_alu instid0(VALU_DEP_1)
	v_cvt_f32_f16_e64 v128, v8
.LBB339_240:                            ;   in Loop: Header=BB339_10 Depth=1
	s_or_b32 exec_lo, exec_lo, s21
.LBB339_241:                            ;   in Loop: Header=BB339_10 Depth=1
	s_delay_alu instid0(SALU_CYCLE_1)
	s_or_b32 exec_lo, exec_lo, s20
.LBB339_242:                            ;   in Loop: Header=BB339_10 Depth=1
	s_delay_alu instid0(SALU_CYCLE_1) | instskip(SKIP_3) | instid1(VALU_DEP_2)
	s_or_b32 exec_lo, exec_lo, s4
	v_lshrrev_b16 v8, 8, v133
	v_dual_mov_b32 v129, 0 :: v_dual_mov_b32 v130, 0
	s_mov_b32 s4, exec_lo
	v_cmpx_ne_u16_e32 0, v8
	s_cbranch_execz .LBB339_250
; %bb.243:                              ;   in Loop: Header=BB339_10 Depth=1
	v_bfrev_b32_e32 v130, 1
	s_mov_b32 s20, exec_lo
	v_cmpx_ne_u16_e32 0x80, v8
	s_cbranch_execz .LBB339_249
; %bb.244:                              ;   in Loop: Header=BB339_10 Depth=1
	v_and_b32_e32 v131, 0xffff, v8
	v_mov_b32_e32 v130, 0x7fc02000
	s_mov_b32 s21, exec_lo
	s_delay_alu instid0(VALU_DEP_2) | instskip(NEXT) | instid1(VALU_DEP_1)
	v_and_b32_e32 v30, 0x7f, v131
	v_cmpx_ne_u32_e32 0x7f, v30
	s_cbranch_execz .LBB339_248
; %bb.245:                              ;   in Loop: Header=BB339_10 Depth=1
	v_and_b32_e32 v8, 7, v131
	v_lshrrev_b32_e32 v130, 3, v30
	v_cmp_gt_u32_e64 s3, 8, v30
	s_delay_alu instid0(VALU_DEP_3) | instskip(NEXT) | instid1(VALU_DEP_2)
	v_dual_mov_b32 v31, v9 :: v_dual_mov_b32 v30, v8
	s_and_saveexec_b32 s22, s3
; %bb.246:                              ;   in Loop: Header=BB339_10 Depth=1
	v_clz_i32_u32_e32 v30, v8
	s_delay_alu instid0(VALU_DEP_1) | instskip(NEXT) | instid1(VALU_DEP_1)
	v_min_u32_e32 v130, 32, v30
	v_subrev_nc_u32_e32 v30, 28, v130
	v_sub_nc_u32_e32 v130, 29, v130
	s_delay_alu instid0(VALU_DEP_2) | instskip(NEXT) | instid1(VALU_DEP_1)
	v_lshlrev_b64 v[30:31], v30, v[8:9]
	v_and_b32_e32 v30, 7, v30
; %bb.247:                              ;   in Loop: Header=BB339_10 Depth=1
	s_or_b32 exec_lo, exec_lo, s22
	v_lshlrev_b32_e32 v8, 8, v131
	v_lshl_add_u32 v31, v130, 10, 0x2000
	s_delay_alu instid0(VALU_DEP_1) | instskip(NEXT) | instid1(VALU_DEP_1)
	v_and_or_b32 v8, 0x8000, v8, v31
	v_lshl_or_b32 v8, v30, 7, v8
	s_delay_alu instid0(VALU_DEP_1)
	v_cvt_f32_f16_e64 v130, v8
.LBB339_248:                            ;   in Loop: Header=BB339_10 Depth=1
	s_or_b32 exec_lo, exec_lo, s21
.LBB339_249:                            ;   in Loop: Header=BB339_10 Depth=1
	s_delay_alu instid0(SALU_CYCLE_1)
	s_or_b32 exec_lo, exec_lo, s20
.LBB339_250:                            ;   in Loop: Header=BB339_10 Depth=1
	s_delay_alu instid0(SALU_CYCLE_1) | instskip(SKIP_2) | instid1(VALU_DEP_1)
	s_or_b32 exec_lo, exec_lo, s4
	v_lshrrev_b32_e32 v131, 16, v133
	s_mov_b32 s4, exec_lo
	v_and_b32_e32 v8, 0xff, v131
	s_delay_alu instid0(VALU_DEP_1)
	v_cmpx_ne_u16_e32 0, v8
	s_cbranch_execz .LBB339_258
; %bb.251:                              ;   in Loop: Header=BB339_10 Depth=1
	v_bfrev_b32_e32 v129, 1
	s_mov_b32 s20, exec_lo
	v_cmpx_ne_u16_e32 0x80, v8
	s_cbranch_execz .LBB339_257
; %bb.252:                              ;   in Loop: Header=BB339_10 Depth=1
	v_bfe_u32 v30, v133, 16, 7
	v_mov_b32_e32 v129, 0x7fc02000
	s_mov_b32 s21, exec_lo
	s_delay_alu instid0(VALU_DEP_2)
	v_cmpx_ne_u32_e32 0x7f, v30
	s_cbranch_execz .LBB339_256
; %bb.253:                              ;   in Loop: Header=BB339_10 Depth=1
	v_and_b32_e32 v8, 7, v131
	v_lshrrev_b32_e32 v129, 3, v30
	v_cmp_gt_u32_e64 s3, 8, v30
	s_delay_alu instid0(VALU_DEP_3) | instskip(NEXT) | instid1(VALU_DEP_2)
	v_dual_mov_b32 v31, v9 :: v_dual_mov_b32 v30, v8
	s_and_saveexec_b32 s22, s3
; %bb.254:                              ;   in Loop: Header=BB339_10 Depth=1
	v_clz_i32_u32_e32 v30, v8
	s_delay_alu instid0(VALU_DEP_1) | instskip(NEXT) | instid1(VALU_DEP_1)
	v_min_u32_e32 v129, 32, v30
	v_subrev_nc_u32_e32 v30, 28, v129
	v_sub_nc_u32_e32 v129, 29, v129
	s_delay_alu instid0(VALU_DEP_2) | instskip(NEXT) | instid1(VALU_DEP_1)
	v_lshlrev_b64 v[30:31], v30, v[8:9]
	v_and_b32_e32 v30, 7, v30
; %bb.255:                              ;   in Loop: Header=BB339_10 Depth=1
	s_or_b32 exec_lo, exec_lo, s22
	v_lshlrev_b32_e32 v8, 8, v131
	v_lshl_add_u32 v31, v129, 10, 0x2000
	s_delay_alu instid0(VALU_DEP_1) | instskip(NEXT) | instid1(VALU_DEP_1)
	v_and_or_b32 v8, 0x8000, v8, v31
	v_lshl_or_b32 v8, v30, 7, v8
	s_delay_alu instid0(VALU_DEP_1)
	v_cvt_f32_f16_e64 v129, v8
.LBB339_256:                            ;   in Loop: Header=BB339_10 Depth=1
	s_or_b32 exec_lo, exec_lo, s21
.LBB339_257:                            ;   in Loop: Header=BB339_10 Depth=1
	s_delay_alu instid0(SALU_CYCLE_1)
	s_or_b32 exec_lo, exec_lo, s20
.LBB339_258:                            ;   in Loop: Header=BB339_10 Depth=1
	s_delay_alu instid0(SALU_CYCLE_1)
	s_or_b32 exec_lo, exec_lo, s4
	v_dual_mov_b32 v132, 0 :: v_dual_mov_b32 v131, 0
	s_mov_b32 s4, exec_lo
	v_cmpx_lt_u32_e32 0xffffff, v133
	s_cbranch_execz .LBB339_266
; %bb.259:                              ;   in Loop: Header=BB339_10 Depth=1
	v_lshrrev_b32_e32 v133, 24, v133
	v_bfrev_b32_e32 v131, 1
	s_mov_b32 s20, exec_lo
	s_delay_alu instid0(VALU_DEP_2)
	v_cmpx_ne_u32_e32 0x80, v133
	s_cbranch_execz .LBB339_265
; %bb.260:                              ;   in Loop: Header=BB339_10 Depth=1
	v_and_b32_e32 v30, 0x7f, v133
	v_mov_b32_e32 v131, 0x7fc02000
	s_mov_b32 s21, exec_lo
	s_delay_alu instid0(VALU_DEP_2)
	v_cmpx_ne_u32_e32 0x7f, v30
	s_cbranch_execz .LBB339_264
; %bb.261:                              ;   in Loop: Header=BB339_10 Depth=1
	v_and_b32_e32 v8, 7, v133
	v_lshrrev_b32_e32 v131, 3, v30
	v_cmp_gt_u32_e64 s3, 8, v30
	s_delay_alu instid0(VALU_DEP_3) | instskip(NEXT) | instid1(VALU_DEP_2)
	v_dual_mov_b32 v31, v9 :: v_dual_mov_b32 v30, v8
	s_and_saveexec_b32 s22, s3
; %bb.262:                              ;   in Loop: Header=BB339_10 Depth=1
	v_clz_i32_u32_e32 v30, v8
	s_delay_alu instid0(VALU_DEP_1) | instskip(NEXT) | instid1(VALU_DEP_1)
	v_min_u32_e32 v131, 32, v30
	v_subrev_nc_u32_e32 v30, 28, v131
	v_sub_nc_u32_e32 v131, 29, v131
	s_delay_alu instid0(VALU_DEP_2) | instskip(NEXT) | instid1(VALU_DEP_1)
	v_lshlrev_b64 v[30:31], v30, v[8:9]
	v_and_b32_e32 v30, 7, v30
; %bb.263:                              ;   in Loop: Header=BB339_10 Depth=1
	s_or_b32 exec_lo, exec_lo, s22
	v_lshlrev_b32_e32 v8, 8, v133
	v_lshl_add_u32 v31, v131, 10, 0x2000
	s_delay_alu instid0(VALU_DEP_1) | instskip(NEXT) | instid1(VALU_DEP_1)
	v_and_or_b32 v8, 0x8000, v8, v31
	v_lshl_or_b32 v8, v30, 7, v8
	s_delay_alu instid0(VALU_DEP_1)
	v_cvt_f32_f16_e64 v131, v8
.LBB339_264:                            ;   in Loop: Header=BB339_10 Depth=1
	s_or_b32 exec_lo, exec_lo, s21
.LBB339_265:                            ;   in Loop: Header=BB339_10 Depth=1
	s_delay_alu instid0(SALU_CYCLE_1)
	s_or_b32 exec_lo, exec_lo, s20
.LBB339_266:                            ;   in Loop: Header=BB339_10 Depth=1
	s_delay_alu instid0(SALU_CYCLE_1) | instskip(SKIP_4) | instid1(VALU_DEP_1)
	s_or_b32 exec_lo, exec_lo, s4
	flat_load_b32 v145, v[28:29] offset:1024
	s_mov_b32 s4, exec_lo
	s_waitcnt vmcnt(0) lgkmcnt(0)
	v_and_b32_e32 v8, 0xff, v145
	v_cmpx_ne_u16_e32 0, v8
	s_cbranch_execz .LBB339_274
; %bb.267:                              ;   in Loop: Header=BB339_10 Depth=1
	v_bfrev_b32_e32 v132, 1
	s_mov_b32 s20, exec_lo
	v_cmpx_ne_u16_e32 0x80, v8
	s_cbranch_execz .LBB339_273
; %bb.268:                              ;   in Loop: Header=BB339_10 Depth=1
	v_and_b32_e32 v30, 0x7f, v145
	v_mov_b32_e32 v132, 0x7fc02000
	s_mov_b32 s21, exec_lo
	s_delay_alu instid0(VALU_DEP_2)
	v_cmpx_ne_u32_e32 0x7f, v30
	s_cbranch_execz .LBB339_272
; %bb.269:                              ;   in Loop: Header=BB339_10 Depth=1
	v_and_b32_e32 v8, 7, v145
	v_lshrrev_b32_e32 v132, 3, v30
	v_cmp_gt_u32_e64 s3, 8, v30
	s_delay_alu instid0(VALU_DEP_3) | instskip(NEXT) | instid1(VALU_DEP_2)
	v_dual_mov_b32 v31, v9 :: v_dual_mov_b32 v30, v8
	s_and_saveexec_b32 s22, s3
; %bb.270:                              ;   in Loop: Header=BB339_10 Depth=1
	v_clz_i32_u32_e32 v30, v8
	s_delay_alu instid0(VALU_DEP_1) | instskip(NEXT) | instid1(VALU_DEP_1)
	v_min_u32_e32 v132, 32, v30
	v_subrev_nc_u32_e32 v30, 28, v132
	v_sub_nc_u32_e32 v132, 29, v132
	s_delay_alu instid0(VALU_DEP_2) | instskip(NEXT) | instid1(VALU_DEP_1)
	v_lshlrev_b64 v[30:31], v30, v[8:9]
	v_and_b32_e32 v30, 7, v30
; %bb.271:                              ;   in Loop: Header=BB339_10 Depth=1
	s_or_b32 exec_lo, exec_lo, s22
	v_lshlrev_b32_e32 v8, 8, v145
	v_lshl_add_u32 v31, v132, 10, 0x2000
	s_delay_alu instid0(VALU_DEP_1) | instskip(NEXT) | instid1(VALU_DEP_1)
	v_and_or_b32 v8, 0x8000, v8, v31
	v_lshl_or_b32 v8, v30, 7, v8
	s_delay_alu instid0(VALU_DEP_1)
	v_cvt_f32_f16_e64 v132, v8
.LBB339_272:                            ;   in Loop: Header=BB339_10 Depth=1
	s_or_b32 exec_lo, exec_lo, s21
.LBB339_273:                            ;   in Loop: Header=BB339_10 Depth=1
	s_delay_alu instid0(SALU_CYCLE_1)
	s_or_b32 exec_lo, exec_lo, s20
.LBB339_274:                            ;   in Loop: Header=BB339_10 Depth=1
	s_delay_alu instid0(SALU_CYCLE_1) | instskip(SKIP_3) | instid1(VALU_DEP_2)
	s_or_b32 exec_lo, exec_lo, s4
	v_lshrrev_b16 v8, 8, v145
	v_dual_mov_b32 v133, 0 :: v_dual_mov_b32 v134, 0
	s_mov_b32 s4, exec_lo
	v_cmpx_ne_u16_e32 0, v8
	s_cbranch_execz .LBB339_282
; %bb.275:                              ;   in Loop: Header=BB339_10 Depth=1
	v_bfrev_b32_e32 v134, 1
	s_mov_b32 s20, exec_lo
	v_cmpx_ne_u16_e32 0x80, v8
	s_cbranch_execz .LBB339_281
; %bb.276:                              ;   in Loop: Header=BB339_10 Depth=1
	v_and_b32_e32 v135, 0xffff, v8
	v_mov_b32_e32 v134, 0x7fc02000
	s_mov_b32 s21, exec_lo
	s_delay_alu instid0(VALU_DEP_2) | instskip(NEXT) | instid1(VALU_DEP_1)
	v_and_b32_e32 v30, 0x7f, v135
	v_cmpx_ne_u32_e32 0x7f, v30
	s_cbranch_execz .LBB339_280
; %bb.277:                              ;   in Loop: Header=BB339_10 Depth=1
	v_and_b32_e32 v8, 7, v135
	v_lshrrev_b32_e32 v134, 3, v30
	v_cmp_gt_u32_e64 s3, 8, v30
	s_delay_alu instid0(VALU_DEP_3) | instskip(NEXT) | instid1(VALU_DEP_2)
	v_dual_mov_b32 v31, v9 :: v_dual_mov_b32 v30, v8
	s_and_saveexec_b32 s22, s3
; %bb.278:                              ;   in Loop: Header=BB339_10 Depth=1
	v_clz_i32_u32_e32 v30, v8
	s_delay_alu instid0(VALU_DEP_1) | instskip(NEXT) | instid1(VALU_DEP_1)
	v_min_u32_e32 v134, 32, v30
	v_subrev_nc_u32_e32 v30, 28, v134
	v_sub_nc_u32_e32 v134, 29, v134
	s_delay_alu instid0(VALU_DEP_2) | instskip(NEXT) | instid1(VALU_DEP_1)
	v_lshlrev_b64 v[30:31], v30, v[8:9]
	v_and_b32_e32 v30, 7, v30
; %bb.279:                              ;   in Loop: Header=BB339_10 Depth=1
	s_or_b32 exec_lo, exec_lo, s22
	v_lshlrev_b32_e32 v8, 8, v135
	v_lshl_add_u32 v31, v134, 10, 0x2000
	s_delay_alu instid0(VALU_DEP_1) | instskip(NEXT) | instid1(VALU_DEP_1)
	v_and_or_b32 v8, 0x8000, v8, v31
	v_lshl_or_b32 v8, v30, 7, v8
	s_delay_alu instid0(VALU_DEP_1)
	v_cvt_f32_f16_e64 v134, v8
.LBB339_280:                            ;   in Loop: Header=BB339_10 Depth=1
	s_or_b32 exec_lo, exec_lo, s21
.LBB339_281:                            ;   in Loop: Header=BB339_10 Depth=1
	s_delay_alu instid0(SALU_CYCLE_1)
	s_or_b32 exec_lo, exec_lo, s20
.LBB339_282:                            ;   in Loop: Header=BB339_10 Depth=1
	s_delay_alu instid0(SALU_CYCLE_1) | instskip(SKIP_2) | instid1(VALU_DEP_1)
	s_or_b32 exec_lo, exec_lo, s4
	v_lshrrev_b32_e32 v135, 16, v145
	s_mov_b32 s4, exec_lo
	v_and_b32_e32 v8, 0xff, v135
	s_delay_alu instid0(VALU_DEP_1)
	v_cmpx_ne_u16_e32 0, v8
	s_cbranch_execz .LBB339_290
; %bb.283:                              ;   in Loop: Header=BB339_10 Depth=1
	v_bfrev_b32_e32 v133, 1
	s_mov_b32 s20, exec_lo
	v_cmpx_ne_u16_e32 0x80, v8
	s_cbranch_execz .LBB339_289
; %bb.284:                              ;   in Loop: Header=BB339_10 Depth=1
	v_bfe_u32 v30, v145, 16, 7
	v_mov_b32_e32 v133, 0x7fc02000
	s_mov_b32 s21, exec_lo
	s_delay_alu instid0(VALU_DEP_2)
	v_cmpx_ne_u32_e32 0x7f, v30
	s_cbranch_execz .LBB339_288
; %bb.285:                              ;   in Loop: Header=BB339_10 Depth=1
	v_and_b32_e32 v8, 7, v135
	v_lshrrev_b32_e32 v133, 3, v30
	v_cmp_gt_u32_e64 s3, 8, v30
	s_delay_alu instid0(VALU_DEP_3) | instskip(NEXT) | instid1(VALU_DEP_2)
	v_dual_mov_b32 v31, v9 :: v_dual_mov_b32 v30, v8
	s_and_saveexec_b32 s22, s3
; %bb.286:                              ;   in Loop: Header=BB339_10 Depth=1
	v_clz_i32_u32_e32 v30, v8
	s_delay_alu instid0(VALU_DEP_1) | instskip(NEXT) | instid1(VALU_DEP_1)
	v_min_u32_e32 v133, 32, v30
	v_subrev_nc_u32_e32 v30, 28, v133
	v_sub_nc_u32_e32 v133, 29, v133
	s_delay_alu instid0(VALU_DEP_2) | instskip(NEXT) | instid1(VALU_DEP_1)
	v_lshlrev_b64 v[30:31], v30, v[8:9]
	v_and_b32_e32 v30, 7, v30
; %bb.287:                              ;   in Loop: Header=BB339_10 Depth=1
	s_or_b32 exec_lo, exec_lo, s22
	v_lshlrev_b32_e32 v8, 8, v135
	v_lshl_add_u32 v31, v133, 10, 0x2000
	s_delay_alu instid0(VALU_DEP_1) | instskip(NEXT) | instid1(VALU_DEP_1)
	v_and_or_b32 v8, 0x8000, v8, v31
	v_lshl_or_b32 v8, v30, 7, v8
	s_delay_alu instid0(VALU_DEP_1)
	v_cvt_f32_f16_e64 v133, v8
.LBB339_288:                            ;   in Loop: Header=BB339_10 Depth=1
	s_or_b32 exec_lo, exec_lo, s21
.LBB339_289:                            ;   in Loop: Header=BB339_10 Depth=1
	s_delay_alu instid0(SALU_CYCLE_1)
	s_or_b32 exec_lo, exec_lo, s20
.LBB339_290:                            ;   in Loop: Header=BB339_10 Depth=1
	s_delay_alu instid0(SALU_CYCLE_1)
	s_or_b32 exec_lo, exec_lo, s4
	v_dual_mov_b32 v144, 0 :: v_dual_mov_b32 v135, 0
	s_mov_b32 s4, exec_lo
	v_cmpx_lt_u32_e32 0xffffff, v145
	s_cbranch_execz .LBB339_298
; %bb.291:                              ;   in Loop: Header=BB339_10 Depth=1
	v_lshrrev_b32_e32 v145, 24, v145
	v_bfrev_b32_e32 v135, 1
	s_mov_b32 s20, exec_lo
	s_delay_alu instid0(VALU_DEP_2)
	v_cmpx_ne_u32_e32 0x80, v145
	s_cbranch_execz .LBB339_297
; %bb.292:                              ;   in Loop: Header=BB339_10 Depth=1
	v_and_b32_e32 v30, 0x7f, v145
	v_mov_b32_e32 v135, 0x7fc02000
	s_mov_b32 s21, exec_lo
	s_delay_alu instid0(VALU_DEP_2)
	v_cmpx_ne_u32_e32 0x7f, v30
	s_cbranch_execz .LBB339_296
; %bb.293:                              ;   in Loop: Header=BB339_10 Depth=1
	v_and_b32_e32 v8, 7, v145
	v_lshrrev_b32_e32 v135, 3, v30
	v_cmp_gt_u32_e64 s3, 8, v30
	s_delay_alu instid0(VALU_DEP_3) | instskip(NEXT) | instid1(VALU_DEP_2)
	v_dual_mov_b32 v31, v9 :: v_dual_mov_b32 v30, v8
	s_and_saveexec_b32 s22, s3
; %bb.294:                              ;   in Loop: Header=BB339_10 Depth=1
	v_clz_i32_u32_e32 v30, v8
	s_delay_alu instid0(VALU_DEP_1) | instskip(NEXT) | instid1(VALU_DEP_1)
	v_min_u32_e32 v135, 32, v30
	v_subrev_nc_u32_e32 v30, 28, v135
	v_sub_nc_u32_e32 v135, 29, v135
	s_delay_alu instid0(VALU_DEP_2) | instskip(NEXT) | instid1(VALU_DEP_1)
	v_lshlrev_b64 v[30:31], v30, v[8:9]
	v_and_b32_e32 v30, 7, v30
; %bb.295:                              ;   in Loop: Header=BB339_10 Depth=1
	s_or_b32 exec_lo, exec_lo, s22
	v_lshlrev_b32_e32 v8, 8, v145
	v_lshl_add_u32 v31, v135, 10, 0x2000
	s_delay_alu instid0(VALU_DEP_1) | instskip(NEXT) | instid1(VALU_DEP_1)
	v_and_or_b32 v8, 0x8000, v8, v31
	v_lshl_or_b32 v8, v30, 7, v8
	s_delay_alu instid0(VALU_DEP_1)
	v_cvt_f32_f16_e64 v135, v8
.LBB339_296:                            ;   in Loop: Header=BB339_10 Depth=1
	s_or_b32 exec_lo, exec_lo, s21
.LBB339_297:                            ;   in Loop: Header=BB339_10 Depth=1
	s_delay_alu instid0(SALU_CYCLE_1)
	s_or_b32 exec_lo, exec_lo, s20
.LBB339_298:                            ;   in Loop: Header=BB339_10 Depth=1
	s_delay_alu instid0(SALU_CYCLE_1) | instskip(SKIP_4) | instid1(VALU_DEP_1)
	s_or_b32 exec_lo, exec_lo, s4
	flat_load_b32 v149, v[28:29] offset:1032
	s_mov_b32 s4, exec_lo
	s_waitcnt vmcnt(0) lgkmcnt(0)
	v_and_b32_e32 v8, 0xff, v149
	v_cmpx_ne_u16_e32 0, v8
	s_cbranch_execz .LBB339_306
; %bb.299:                              ;   in Loop: Header=BB339_10 Depth=1
	v_bfrev_b32_e32 v144, 1
	s_mov_b32 s20, exec_lo
	v_cmpx_ne_u16_e32 0x80, v8
	s_cbranch_execz .LBB339_305
; %bb.300:                              ;   in Loop: Header=BB339_10 Depth=1
	v_and_b32_e32 v30, 0x7f, v149
	v_mov_b32_e32 v144, 0x7fc02000
	s_mov_b32 s21, exec_lo
	s_delay_alu instid0(VALU_DEP_2)
	v_cmpx_ne_u32_e32 0x7f, v30
	s_cbranch_execz .LBB339_304
; %bb.301:                              ;   in Loop: Header=BB339_10 Depth=1
	v_and_b32_e32 v8, 7, v149
	v_lshrrev_b32_e32 v144, 3, v30
	v_cmp_gt_u32_e64 s3, 8, v30
	s_delay_alu instid0(VALU_DEP_3) | instskip(NEXT) | instid1(VALU_DEP_2)
	v_dual_mov_b32 v31, v9 :: v_dual_mov_b32 v30, v8
	s_and_saveexec_b32 s22, s3
; %bb.302:                              ;   in Loop: Header=BB339_10 Depth=1
	v_clz_i32_u32_e32 v30, v8
	s_delay_alu instid0(VALU_DEP_1) | instskip(NEXT) | instid1(VALU_DEP_1)
	v_min_u32_e32 v144, 32, v30
	v_subrev_nc_u32_e32 v30, 28, v144
	v_sub_nc_u32_e32 v144, 29, v144
	s_delay_alu instid0(VALU_DEP_2) | instskip(NEXT) | instid1(VALU_DEP_1)
	v_lshlrev_b64 v[30:31], v30, v[8:9]
	v_and_b32_e32 v30, 7, v30
; %bb.303:                              ;   in Loop: Header=BB339_10 Depth=1
	s_or_b32 exec_lo, exec_lo, s22
	v_lshlrev_b32_e32 v8, 8, v149
	v_lshl_add_u32 v31, v144, 10, 0x2000
	s_delay_alu instid0(VALU_DEP_1) | instskip(NEXT) | instid1(VALU_DEP_1)
	v_and_or_b32 v8, 0x8000, v8, v31
	v_lshl_or_b32 v8, v30, 7, v8
	s_delay_alu instid0(VALU_DEP_1)
	v_cvt_f32_f16_e64 v144, v8
.LBB339_304:                            ;   in Loop: Header=BB339_10 Depth=1
	s_or_b32 exec_lo, exec_lo, s21
.LBB339_305:                            ;   in Loop: Header=BB339_10 Depth=1
	s_delay_alu instid0(SALU_CYCLE_1)
	s_or_b32 exec_lo, exec_lo, s20
.LBB339_306:                            ;   in Loop: Header=BB339_10 Depth=1
	s_delay_alu instid0(SALU_CYCLE_1) | instskip(SKIP_3) | instid1(VALU_DEP_2)
	s_or_b32 exec_lo, exec_lo, s4
	v_lshrrev_b16 v8, 8, v149
	v_dual_mov_b32 v145, 0 :: v_dual_mov_b32 v146, 0
	s_mov_b32 s4, exec_lo
	v_cmpx_ne_u16_e32 0, v8
	s_cbranch_execz .LBB339_314
; %bb.307:                              ;   in Loop: Header=BB339_10 Depth=1
	v_bfrev_b32_e32 v146, 1
	s_mov_b32 s20, exec_lo
	v_cmpx_ne_u16_e32 0x80, v8
	s_cbranch_execz .LBB339_313
; %bb.308:                              ;   in Loop: Header=BB339_10 Depth=1
	v_and_b32_e32 v147, 0xffff, v8
	v_mov_b32_e32 v146, 0x7fc02000
	s_mov_b32 s21, exec_lo
	s_delay_alu instid0(VALU_DEP_2) | instskip(NEXT) | instid1(VALU_DEP_1)
	v_and_b32_e32 v30, 0x7f, v147
	v_cmpx_ne_u32_e32 0x7f, v30
	s_cbranch_execz .LBB339_312
; %bb.309:                              ;   in Loop: Header=BB339_10 Depth=1
	v_and_b32_e32 v8, 7, v147
	v_lshrrev_b32_e32 v146, 3, v30
	v_cmp_gt_u32_e64 s3, 8, v30
	s_delay_alu instid0(VALU_DEP_3) | instskip(NEXT) | instid1(VALU_DEP_2)
	v_dual_mov_b32 v31, v9 :: v_dual_mov_b32 v30, v8
	s_and_saveexec_b32 s22, s3
; %bb.310:                              ;   in Loop: Header=BB339_10 Depth=1
	v_clz_i32_u32_e32 v30, v8
	s_delay_alu instid0(VALU_DEP_1) | instskip(NEXT) | instid1(VALU_DEP_1)
	v_min_u32_e32 v146, 32, v30
	v_subrev_nc_u32_e32 v30, 28, v146
	v_sub_nc_u32_e32 v146, 29, v146
	s_delay_alu instid0(VALU_DEP_2) | instskip(NEXT) | instid1(VALU_DEP_1)
	v_lshlrev_b64 v[30:31], v30, v[8:9]
	v_and_b32_e32 v30, 7, v30
; %bb.311:                              ;   in Loop: Header=BB339_10 Depth=1
	s_or_b32 exec_lo, exec_lo, s22
	v_lshlrev_b32_e32 v8, 8, v147
	v_lshl_add_u32 v31, v146, 10, 0x2000
	s_delay_alu instid0(VALU_DEP_1) | instskip(NEXT) | instid1(VALU_DEP_1)
	v_and_or_b32 v8, 0x8000, v8, v31
	v_lshl_or_b32 v8, v30, 7, v8
	s_delay_alu instid0(VALU_DEP_1)
	v_cvt_f32_f16_e64 v146, v8
.LBB339_312:                            ;   in Loop: Header=BB339_10 Depth=1
	s_or_b32 exec_lo, exec_lo, s21
.LBB339_313:                            ;   in Loop: Header=BB339_10 Depth=1
	s_delay_alu instid0(SALU_CYCLE_1)
	s_or_b32 exec_lo, exec_lo, s20
.LBB339_314:                            ;   in Loop: Header=BB339_10 Depth=1
	s_delay_alu instid0(SALU_CYCLE_1) | instskip(SKIP_2) | instid1(VALU_DEP_1)
	s_or_b32 exec_lo, exec_lo, s4
	v_lshrrev_b32_e32 v147, 16, v149
	s_mov_b32 s4, exec_lo
	v_and_b32_e32 v8, 0xff, v147
	s_delay_alu instid0(VALU_DEP_1)
	v_cmpx_ne_u16_e32 0, v8
	s_cbranch_execz .LBB339_322
; %bb.315:                              ;   in Loop: Header=BB339_10 Depth=1
	v_bfrev_b32_e32 v145, 1
	s_mov_b32 s20, exec_lo
	v_cmpx_ne_u16_e32 0x80, v8
	s_cbranch_execz .LBB339_321
; %bb.316:                              ;   in Loop: Header=BB339_10 Depth=1
	v_bfe_u32 v30, v149, 16, 7
	v_mov_b32_e32 v145, 0x7fc02000
	s_mov_b32 s21, exec_lo
	s_delay_alu instid0(VALU_DEP_2)
	v_cmpx_ne_u32_e32 0x7f, v30
	s_cbranch_execz .LBB339_320
; %bb.317:                              ;   in Loop: Header=BB339_10 Depth=1
	v_and_b32_e32 v8, 7, v147
	v_lshrrev_b32_e32 v145, 3, v30
	v_cmp_gt_u32_e64 s3, 8, v30
	s_delay_alu instid0(VALU_DEP_3) | instskip(NEXT) | instid1(VALU_DEP_2)
	v_dual_mov_b32 v31, v9 :: v_dual_mov_b32 v30, v8
	s_and_saveexec_b32 s22, s3
; %bb.318:                              ;   in Loop: Header=BB339_10 Depth=1
	v_clz_i32_u32_e32 v30, v8
	s_delay_alu instid0(VALU_DEP_1) | instskip(NEXT) | instid1(VALU_DEP_1)
	v_min_u32_e32 v145, 32, v30
	v_subrev_nc_u32_e32 v30, 28, v145
	v_sub_nc_u32_e32 v145, 29, v145
	s_delay_alu instid0(VALU_DEP_2) | instskip(NEXT) | instid1(VALU_DEP_1)
	v_lshlrev_b64 v[30:31], v30, v[8:9]
	v_and_b32_e32 v30, 7, v30
; %bb.319:                              ;   in Loop: Header=BB339_10 Depth=1
	s_or_b32 exec_lo, exec_lo, s22
	v_lshlrev_b32_e32 v8, 8, v147
	v_lshl_add_u32 v31, v145, 10, 0x2000
	s_delay_alu instid0(VALU_DEP_1) | instskip(NEXT) | instid1(VALU_DEP_1)
	v_and_or_b32 v8, 0x8000, v8, v31
	v_lshl_or_b32 v8, v30, 7, v8
	s_delay_alu instid0(VALU_DEP_1)
	v_cvt_f32_f16_e64 v145, v8
.LBB339_320:                            ;   in Loop: Header=BB339_10 Depth=1
	s_or_b32 exec_lo, exec_lo, s21
.LBB339_321:                            ;   in Loop: Header=BB339_10 Depth=1
	s_delay_alu instid0(SALU_CYCLE_1)
	s_or_b32 exec_lo, exec_lo, s20
.LBB339_322:                            ;   in Loop: Header=BB339_10 Depth=1
	s_delay_alu instid0(SALU_CYCLE_1)
	s_or_b32 exec_lo, exec_lo, s4
	v_dual_mov_b32 v148, 0 :: v_dual_mov_b32 v147, 0
	s_mov_b32 s4, exec_lo
	v_cmpx_lt_u32_e32 0xffffff, v149
	s_cbranch_execz .LBB339_330
; %bb.323:                              ;   in Loop: Header=BB339_10 Depth=1
	v_lshrrev_b32_e32 v149, 24, v149
	v_bfrev_b32_e32 v147, 1
	s_mov_b32 s20, exec_lo
	s_delay_alu instid0(VALU_DEP_2)
	v_cmpx_ne_u32_e32 0x80, v149
	s_cbranch_execz .LBB339_329
; %bb.324:                              ;   in Loop: Header=BB339_10 Depth=1
	v_and_b32_e32 v30, 0x7f, v149
	v_mov_b32_e32 v147, 0x7fc02000
	s_mov_b32 s21, exec_lo
	s_delay_alu instid0(VALU_DEP_2)
	v_cmpx_ne_u32_e32 0x7f, v30
	s_cbranch_execz .LBB339_328
; %bb.325:                              ;   in Loop: Header=BB339_10 Depth=1
	v_and_b32_e32 v8, 7, v149
	v_lshrrev_b32_e32 v147, 3, v30
	v_cmp_gt_u32_e64 s3, 8, v30
	s_delay_alu instid0(VALU_DEP_3) | instskip(NEXT) | instid1(VALU_DEP_2)
	v_dual_mov_b32 v31, v9 :: v_dual_mov_b32 v30, v8
	s_and_saveexec_b32 s22, s3
; %bb.326:                              ;   in Loop: Header=BB339_10 Depth=1
	v_clz_i32_u32_e32 v30, v8
	s_delay_alu instid0(VALU_DEP_1) | instskip(NEXT) | instid1(VALU_DEP_1)
	v_min_u32_e32 v147, 32, v30
	v_subrev_nc_u32_e32 v30, 28, v147
	v_sub_nc_u32_e32 v147, 29, v147
	s_delay_alu instid0(VALU_DEP_2) | instskip(NEXT) | instid1(VALU_DEP_1)
	v_lshlrev_b64 v[30:31], v30, v[8:9]
	v_and_b32_e32 v30, 7, v30
; %bb.327:                              ;   in Loop: Header=BB339_10 Depth=1
	s_or_b32 exec_lo, exec_lo, s22
	v_lshlrev_b32_e32 v8, 8, v149
	v_lshl_add_u32 v31, v147, 10, 0x2000
	s_delay_alu instid0(VALU_DEP_1) | instskip(NEXT) | instid1(VALU_DEP_1)
	v_and_or_b32 v8, 0x8000, v8, v31
	v_lshl_or_b32 v8, v30, 7, v8
	s_delay_alu instid0(VALU_DEP_1)
	v_cvt_f32_f16_e64 v147, v8
.LBB339_328:                            ;   in Loop: Header=BB339_10 Depth=1
	s_or_b32 exec_lo, exec_lo, s21
.LBB339_329:                            ;   in Loop: Header=BB339_10 Depth=1
	s_delay_alu instid0(SALU_CYCLE_1)
	s_or_b32 exec_lo, exec_lo, s20
.LBB339_330:                            ;   in Loop: Header=BB339_10 Depth=1
	s_delay_alu instid0(SALU_CYCLE_1) | instskip(SKIP_4) | instid1(VALU_DEP_1)
	s_or_b32 exec_lo, exec_lo, s4
	flat_load_b32 v161, v[28:29] offset:1280
	s_mov_b32 s4, exec_lo
	s_waitcnt vmcnt(0) lgkmcnt(0)
	v_and_b32_e32 v8, 0xff, v161
	v_cmpx_ne_u16_e32 0, v8
	s_cbranch_execz .LBB339_338
; %bb.331:                              ;   in Loop: Header=BB339_10 Depth=1
	v_bfrev_b32_e32 v148, 1
	s_mov_b32 s20, exec_lo
	v_cmpx_ne_u16_e32 0x80, v8
	s_cbranch_execz .LBB339_337
; %bb.332:                              ;   in Loop: Header=BB339_10 Depth=1
	v_and_b32_e32 v30, 0x7f, v161
	v_mov_b32_e32 v148, 0x7fc02000
	s_mov_b32 s21, exec_lo
	s_delay_alu instid0(VALU_DEP_2)
	v_cmpx_ne_u32_e32 0x7f, v30
	s_cbranch_execz .LBB339_336
; %bb.333:                              ;   in Loop: Header=BB339_10 Depth=1
	v_and_b32_e32 v8, 7, v161
	v_lshrrev_b32_e32 v148, 3, v30
	v_cmp_gt_u32_e64 s3, 8, v30
	s_delay_alu instid0(VALU_DEP_3) | instskip(NEXT) | instid1(VALU_DEP_2)
	v_dual_mov_b32 v31, v9 :: v_dual_mov_b32 v30, v8
	s_and_saveexec_b32 s22, s3
; %bb.334:                              ;   in Loop: Header=BB339_10 Depth=1
	v_clz_i32_u32_e32 v30, v8
	s_delay_alu instid0(VALU_DEP_1) | instskip(NEXT) | instid1(VALU_DEP_1)
	v_min_u32_e32 v148, 32, v30
	v_subrev_nc_u32_e32 v30, 28, v148
	v_sub_nc_u32_e32 v148, 29, v148
	s_delay_alu instid0(VALU_DEP_2) | instskip(NEXT) | instid1(VALU_DEP_1)
	v_lshlrev_b64 v[30:31], v30, v[8:9]
	v_and_b32_e32 v30, 7, v30
; %bb.335:                              ;   in Loop: Header=BB339_10 Depth=1
	s_or_b32 exec_lo, exec_lo, s22
	v_lshlrev_b32_e32 v8, 8, v161
	v_lshl_add_u32 v31, v148, 10, 0x2000
	s_delay_alu instid0(VALU_DEP_1) | instskip(NEXT) | instid1(VALU_DEP_1)
	v_and_or_b32 v8, 0x8000, v8, v31
	v_lshl_or_b32 v8, v30, 7, v8
	s_delay_alu instid0(VALU_DEP_1)
	v_cvt_f32_f16_e64 v148, v8
.LBB339_336:                            ;   in Loop: Header=BB339_10 Depth=1
	s_or_b32 exec_lo, exec_lo, s21
.LBB339_337:                            ;   in Loop: Header=BB339_10 Depth=1
	s_delay_alu instid0(SALU_CYCLE_1)
	s_or_b32 exec_lo, exec_lo, s20
.LBB339_338:                            ;   in Loop: Header=BB339_10 Depth=1
	s_delay_alu instid0(SALU_CYCLE_1) | instskip(SKIP_3) | instid1(VALU_DEP_2)
	s_or_b32 exec_lo, exec_lo, s4
	v_lshrrev_b16 v8, 8, v161
	v_dual_mov_b32 v149, 0 :: v_dual_mov_b32 v150, 0
	s_mov_b32 s4, exec_lo
	v_cmpx_ne_u16_e32 0, v8
	s_cbranch_execz .LBB339_346
; %bb.339:                              ;   in Loop: Header=BB339_10 Depth=1
	v_bfrev_b32_e32 v150, 1
	s_mov_b32 s20, exec_lo
	v_cmpx_ne_u16_e32 0x80, v8
	s_cbranch_execz .LBB339_345
; %bb.340:                              ;   in Loop: Header=BB339_10 Depth=1
	v_and_b32_e32 v151, 0xffff, v8
	v_mov_b32_e32 v150, 0x7fc02000
	s_mov_b32 s21, exec_lo
	s_delay_alu instid0(VALU_DEP_2) | instskip(NEXT) | instid1(VALU_DEP_1)
	v_and_b32_e32 v30, 0x7f, v151
	v_cmpx_ne_u32_e32 0x7f, v30
	s_cbranch_execz .LBB339_344
; %bb.341:                              ;   in Loop: Header=BB339_10 Depth=1
	v_and_b32_e32 v8, 7, v151
	v_lshrrev_b32_e32 v150, 3, v30
	v_cmp_gt_u32_e64 s3, 8, v30
	s_delay_alu instid0(VALU_DEP_3) | instskip(NEXT) | instid1(VALU_DEP_2)
	v_dual_mov_b32 v31, v9 :: v_dual_mov_b32 v30, v8
	s_and_saveexec_b32 s22, s3
; %bb.342:                              ;   in Loop: Header=BB339_10 Depth=1
	v_clz_i32_u32_e32 v30, v8
	s_delay_alu instid0(VALU_DEP_1) | instskip(NEXT) | instid1(VALU_DEP_1)
	v_min_u32_e32 v150, 32, v30
	v_subrev_nc_u32_e32 v30, 28, v150
	v_sub_nc_u32_e32 v150, 29, v150
	s_delay_alu instid0(VALU_DEP_2) | instskip(NEXT) | instid1(VALU_DEP_1)
	v_lshlrev_b64 v[30:31], v30, v[8:9]
	v_and_b32_e32 v30, 7, v30
; %bb.343:                              ;   in Loop: Header=BB339_10 Depth=1
	s_or_b32 exec_lo, exec_lo, s22
	v_lshlrev_b32_e32 v8, 8, v151
	v_lshl_add_u32 v31, v150, 10, 0x2000
	s_delay_alu instid0(VALU_DEP_1) | instskip(NEXT) | instid1(VALU_DEP_1)
	v_and_or_b32 v8, 0x8000, v8, v31
	v_lshl_or_b32 v8, v30, 7, v8
	s_delay_alu instid0(VALU_DEP_1)
	v_cvt_f32_f16_e64 v150, v8
.LBB339_344:                            ;   in Loop: Header=BB339_10 Depth=1
	s_or_b32 exec_lo, exec_lo, s21
.LBB339_345:                            ;   in Loop: Header=BB339_10 Depth=1
	s_delay_alu instid0(SALU_CYCLE_1)
	s_or_b32 exec_lo, exec_lo, s20
.LBB339_346:                            ;   in Loop: Header=BB339_10 Depth=1
	s_delay_alu instid0(SALU_CYCLE_1) | instskip(SKIP_2) | instid1(VALU_DEP_1)
	s_or_b32 exec_lo, exec_lo, s4
	v_lshrrev_b32_e32 v151, 16, v161
	s_mov_b32 s4, exec_lo
	v_and_b32_e32 v8, 0xff, v151
	s_delay_alu instid0(VALU_DEP_1)
	v_cmpx_ne_u16_e32 0, v8
	s_cbranch_execz .LBB339_354
; %bb.347:                              ;   in Loop: Header=BB339_10 Depth=1
	v_bfrev_b32_e32 v149, 1
	s_mov_b32 s20, exec_lo
	v_cmpx_ne_u16_e32 0x80, v8
	s_cbranch_execz .LBB339_353
; %bb.348:                              ;   in Loop: Header=BB339_10 Depth=1
	v_bfe_u32 v30, v161, 16, 7
	v_mov_b32_e32 v149, 0x7fc02000
	s_mov_b32 s21, exec_lo
	s_delay_alu instid0(VALU_DEP_2)
	v_cmpx_ne_u32_e32 0x7f, v30
	s_cbranch_execz .LBB339_352
; %bb.349:                              ;   in Loop: Header=BB339_10 Depth=1
	v_and_b32_e32 v8, 7, v151
	v_lshrrev_b32_e32 v149, 3, v30
	v_cmp_gt_u32_e64 s3, 8, v30
	s_delay_alu instid0(VALU_DEP_3) | instskip(NEXT) | instid1(VALU_DEP_2)
	v_dual_mov_b32 v31, v9 :: v_dual_mov_b32 v30, v8
	s_and_saveexec_b32 s22, s3
; %bb.350:                              ;   in Loop: Header=BB339_10 Depth=1
	v_clz_i32_u32_e32 v30, v8
	s_delay_alu instid0(VALU_DEP_1) | instskip(NEXT) | instid1(VALU_DEP_1)
	v_min_u32_e32 v149, 32, v30
	v_subrev_nc_u32_e32 v30, 28, v149
	v_sub_nc_u32_e32 v149, 29, v149
	s_delay_alu instid0(VALU_DEP_2) | instskip(NEXT) | instid1(VALU_DEP_1)
	v_lshlrev_b64 v[30:31], v30, v[8:9]
	v_and_b32_e32 v30, 7, v30
; %bb.351:                              ;   in Loop: Header=BB339_10 Depth=1
	s_or_b32 exec_lo, exec_lo, s22
	v_lshlrev_b32_e32 v8, 8, v151
	v_lshl_add_u32 v31, v149, 10, 0x2000
	s_delay_alu instid0(VALU_DEP_1) | instskip(NEXT) | instid1(VALU_DEP_1)
	v_and_or_b32 v8, 0x8000, v8, v31
	v_lshl_or_b32 v8, v30, 7, v8
	s_delay_alu instid0(VALU_DEP_1)
	v_cvt_f32_f16_e64 v149, v8
.LBB339_352:                            ;   in Loop: Header=BB339_10 Depth=1
	s_or_b32 exec_lo, exec_lo, s21
.LBB339_353:                            ;   in Loop: Header=BB339_10 Depth=1
	s_delay_alu instid0(SALU_CYCLE_1)
	s_or_b32 exec_lo, exec_lo, s20
.LBB339_354:                            ;   in Loop: Header=BB339_10 Depth=1
	s_delay_alu instid0(SALU_CYCLE_1)
	s_or_b32 exec_lo, exec_lo, s4
	v_dual_mov_b32 v160, 0 :: v_dual_mov_b32 v151, 0
	s_mov_b32 s4, exec_lo
	v_cmpx_lt_u32_e32 0xffffff, v161
	s_cbranch_execz .LBB339_362
; %bb.355:                              ;   in Loop: Header=BB339_10 Depth=1
	v_lshrrev_b32_e32 v161, 24, v161
	v_bfrev_b32_e32 v151, 1
	s_mov_b32 s20, exec_lo
	s_delay_alu instid0(VALU_DEP_2)
	v_cmpx_ne_u32_e32 0x80, v161
	s_cbranch_execz .LBB339_361
; %bb.356:                              ;   in Loop: Header=BB339_10 Depth=1
	v_and_b32_e32 v30, 0x7f, v161
	v_mov_b32_e32 v151, 0x7fc02000
	s_mov_b32 s21, exec_lo
	s_delay_alu instid0(VALU_DEP_2)
	v_cmpx_ne_u32_e32 0x7f, v30
	s_cbranch_execz .LBB339_360
; %bb.357:                              ;   in Loop: Header=BB339_10 Depth=1
	v_and_b32_e32 v8, 7, v161
	v_lshrrev_b32_e32 v151, 3, v30
	v_cmp_gt_u32_e64 s3, 8, v30
	s_delay_alu instid0(VALU_DEP_3) | instskip(NEXT) | instid1(VALU_DEP_2)
	v_dual_mov_b32 v31, v9 :: v_dual_mov_b32 v30, v8
	s_and_saveexec_b32 s22, s3
; %bb.358:                              ;   in Loop: Header=BB339_10 Depth=1
	v_clz_i32_u32_e32 v30, v8
	s_delay_alu instid0(VALU_DEP_1) | instskip(NEXT) | instid1(VALU_DEP_1)
	v_min_u32_e32 v151, 32, v30
	v_subrev_nc_u32_e32 v30, 28, v151
	v_sub_nc_u32_e32 v151, 29, v151
	s_delay_alu instid0(VALU_DEP_2) | instskip(NEXT) | instid1(VALU_DEP_1)
	v_lshlrev_b64 v[30:31], v30, v[8:9]
	v_and_b32_e32 v30, 7, v30
; %bb.359:                              ;   in Loop: Header=BB339_10 Depth=1
	s_or_b32 exec_lo, exec_lo, s22
	v_lshlrev_b32_e32 v8, 8, v161
	v_lshl_add_u32 v31, v151, 10, 0x2000
	s_delay_alu instid0(VALU_DEP_1) | instskip(NEXT) | instid1(VALU_DEP_1)
	v_and_or_b32 v8, 0x8000, v8, v31
	v_lshl_or_b32 v8, v30, 7, v8
	s_delay_alu instid0(VALU_DEP_1)
	v_cvt_f32_f16_e64 v151, v8
.LBB339_360:                            ;   in Loop: Header=BB339_10 Depth=1
	s_or_b32 exec_lo, exec_lo, s21
.LBB339_361:                            ;   in Loop: Header=BB339_10 Depth=1
	s_delay_alu instid0(SALU_CYCLE_1)
	s_or_b32 exec_lo, exec_lo, s20
.LBB339_362:                            ;   in Loop: Header=BB339_10 Depth=1
	s_delay_alu instid0(SALU_CYCLE_1) | instskip(SKIP_4) | instid1(VALU_DEP_1)
	s_or_b32 exec_lo, exec_lo, s4
	flat_load_b32 v165, v[28:29] offset:1288
	s_mov_b32 s4, exec_lo
	s_waitcnt vmcnt(0) lgkmcnt(0)
	v_and_b32_e32 v8, 0xff, v165
	v_cmpx_ne_u16_e32 0, v8
	s_cbranch_execz .LBB339_370
; %bb.363:                              ;   in Loop: Header=BB339_10 Depth=1
	v_bfrev_b32_e32 v160, 1
	s_mov_b32 s20, exec_lo
	v_cmpx_ne_u16_e32 0x80, v8
	s_cbranch_execz .LBB339_369
; %bb.364:                              ;   in Loop: Header=BB339_10 Depth=1
	v_and_b32_e32 v30, 0x7f, v165
	v_mov_b32_e32 v160, 0x7fc02000
	s_mov_b32 s21, exec_lo
	s_delay_alu instid0(VALU_DEP_2)
	v_cmpx_ne_u32_e32 0x7f, v30
	s_cbranch_execz .LBB339_368
; %bb.365:                              ;   in Loop: Header=BB339_10 Depth=1
	v_and_b32_e32 v8, 7, v165
	v_lshrrev_b32_e32 v160, 3, v30
	v_cmp_gt_u32_e64 s3, 8, v30
	s_delay_alu instid0(VALU_DEP_3) | instskip(NEXT) | instid1(VALU_DEP_2)
	v_dual_mov_b32 v31, v9 :: v_dual_mov_b32 v30, v8
	s_and_saveexec_b32 s22, s3
; %bb.366:                              ;   in Loop: Header=BB339_10 Depth=1
	v_clz_i32_u32_e32 v30, v8
	s_delay_alu instid0(VALU_DEP_1) | instskip(NEXT) | instid1(VALU_DEP_1)
	v_min_u32_e32 v160, 32, v30
	v_subrev_nc_u32_e32 v30, 28, v160
	v_sub_nc_u32_e32 v160, 29, v160
	s_delay_alu instid0(VALU_DEP_2) | instskip(NEXT) | instid1(VALU_DEP_1)
	v_lshlrev_b64 v[30:31], v30, v[8:9]
	v_and_b32_e32 v30, 7, v30
; %bb.367:                              ;   in Loop: Header=BB339_10 Depth=1
	s_or_b32 exec_lo, exec_lo, s22
	v_lshlrev_b32_e32 v8, 8, v165
	v_lshl_add_u32 v31, v160, 10, 0x2000
	s_delay_alu instid0(VALU_DEP_1) | instskip(NEXT) | instid1(VALU_DEP_1)
	v_and_or_b32 v8, 0x8000, v8, v31
	v_lshl_or_b32 v8, v30, 7, v8
	s_delay_alu instid0(VALU_DEP_1)
	v_cvt_f32_f16_e64 v160, v8
.LBB339_368:                            ;   in Loop: Header=BB339_10 Depth=1
	s_or_b32 exec_lo, exec_lo, s21
.LBB339_369:                            ;   in Loop: Header=BB339_10 Depth=1
	s_delay_alu instid0(SALU_CYCLE_1)
	s_or_b32 exec_lo, exec_lo, s20
.LBB339_370:                            ;   in Loop: Header=BB339_10 Depth=1
	s_delay_alu instid0(SALU_CYCLE_1) | instskip(SKIP_3) | instid1(VALU_DEP_2)
	s_or_b32 exec_lo, exec_lo, s4
	v_lshrrev_b16 v8, 8, v165
	v_dual_mov_b32 v161, 0 :: v_dual_mov_b32 v162, 0
	s_mov_b32 s4, exec_lo
	v_cmpx_ne_u16_e32 0, v8
	s_cbranch_execz .LBB339_378
; %bb.371:                              ;   in Loop: Header=BB339_10 Depth=1
	v_bfrev_b32_e32 v162, 1
	s_mov_b32 s20, exec_lo
	v_cmpx_ne_u16_e32 0x80, v8
	s_cbranch_execz .LBB339_377
; %bb.372:                              ;   in Loop: Header=BB339_10 Depth=1
	v_and_b32_e32 v163, 0xffff, v8
	v_mov_b32_e32 v162, 0x7fc02000
	s_mov_b32 s21, exec_lo
	s_delay_alu instid0(VALU_DEP_2) | instskip(NEXT) | instid1(VALU_DEP_1)
	v_and_b32_e32 v30, 0x7f, v163
	v_cmpx_ne_u32_e32 0x7f, v30
	s_cbranch_execz .LBB339_376
; %bb.373:                              ;   in Loop: Header=BB339_10 Depth=1
	v_and_b32_e32 v8, 7, v163
	v_lshrrev_b32_e32 v162, 3, v30
	v_cmp_gt_u32_e64 s3, 8, v30
	s_delay_alu instid0(VALU_DEP_3) | instskip(NEXT) | instid1(VALU_DEP_2)
	v_dual_mov_b32 v31, v9 :: v_dual_mov_b32 v30, v8
	s_and_saveexec_b32 s22, s3
; %bb.374:                              ;   in Loop: Header=BB339_10 Depth=1
	v_clz_i32_u32_e32 v30, v8
	s_delay_alu instid0(VALU_DEP_1) | instskip(NEXT) | instid1(VALU_DEP_1)
	v_min_u32_e32 v162, 32, v30
	v_subrev_nc_u32_e32 v30, 28, v162
	v_sub_nc_u32_e32 v162, 29, v162
	s_delay_alu instid0(VALU_DEP_2) | instskip(NEXT) | instid1(VALU_DEP_1)
	v_lshlrev_b64 v[30:31], v30, v[8:9]
	v_and_b32_e32 v30, 7, v30
; %bb.375:                              ;   in Loop: Header=BB339_10 Depth=1
	s_or_b32 exec_lo, exec_lo, s22
	v_lshlrev_b32_e32 v8, 8, v163
	v_lshl_add_u32 v31, v162, 10, 0x2000
	s_delay_alu instid0(VALU_DEP_1) | instskip(NEXT) | instid1(VALU_DEP_1)
	v_and_or_b32 v8, 0x8000, v8, v31
	v_lshl_or_b32 v8, v30, 7, v8
	s_delay_alu instid0(VALU_DEP_1)
	v_cvt_f32_f16_e64 v162, v8
.LBB339_376:                            ;   in Loop: Header=BB339_10 Depth=1
	s_or_b32 exec_lo, exec_lo, s21
.LBB339_377:                            ;   in Loop: Header=BB339_10 Depth=1
	s_delay_alu instid0(SALU_CYCLE_1)
	s_or_b32 exec_lo, exec_lo, s20
.LBB339_378:                            ;   in Loop: Header=BB339_10 Depth=1
	s_delay_alu instid0(SALU_CYCLE_1) | instskip(SKIP_2) | instid1(VALU_DEP_1)
	s_or_b32 exec_lo, exec_lo, s4
	v_lshrrev_b32_e32 v163, 16, v165
	s_mov_b32 s4, exec_lo
	v_and_b32_e32 v8, 0xff, v163
	s_delay_alu instid0(VALU_DEP_1)
	v_cmpx_ne_u16_e32 0, v8
	s_cbranch_execz .LBB339_386
; %bb.379:                              ;   in Loop: Header=BB339_10 Depth=1
	v_bfrev_b32_e32 v161, 1
	s_mov_b32 s20, exec_lo
	v_cmpx_ne_u16_e32 0x80, v8
	s_cbranch_execz .LBB339_385
; %bb.380:                              ;   in Loop: Header=BB339_10 Depth=1
	v_bfe_u32 v30, v165, 16, 7
	v_mov_b32_e32 v161, 0x7fc02000
	s_mov_b32 s21, exec_lo
	s_delay_alu instid0(VALU_DEP_2)
	v_cmpx_ne_u32_e32 0x7f, v30
	s_cbranch_execz .LBB339_384
; %bb.381:                              ;   in Loop: Header=BB339_10 Depth=1
	v_and_b32_e32 v8, 7, v163
	v_lshrrev_b32_e32 v161, 3, v30
	v_cmp_gt_u32_e64 s3, 8, v30
	s_delay_alu instid0(VALU_DEP_3) | instskip(NEXT) | instid1(VALU_DEP_2)
	v_dual_mov_b32 v31, v9 :: v_dual_mov_b32 v30, v8
	s_and_saveexec_b32 s22, s3
; %bb.382:                              ;   in Loop: Header=BB339_10 Depth=1
	v_clz_i32_u32_e32 v30, v8
	s_delay_alu instid0(VALU_DEP_1) | instskip(NEXT) | instid1(VALU_DEP_1)
	v_min_u32_e32 v161, 32, v30
	v_subrev_nc_u32_e32 v30, 28, v161
	v_sub_nc_u32_e32 v161, 29, v161
	s_delay_alu instid0(VALU_DEP_2) | instskip(NEXT) | instid1(VALU_DEP_1)
	v_lshlrev_b64 v[30:31], v30, v[8:9]
	v_and_b32_e32 v30, 7, v30
; %bb.383:                              ;   in Loop: Header=BB339_10 Depth=1
	s_or_b32 exec_lo, exec_lo, s22
	v_lshlrev_b32_e32 v8, 8, v163
	v_lshl_add_u32 v31, v161, 10, 0x2000
	s_delay_alu instid0(VALU_DEP_1) | instskip(NEXT) | instid1(VALU_DEP_1)
	v_and_or_b32 v8, 0x8000, v8, v31
	v_lshl_or_b32 v8, v30, 7, v8
	s_delay_alu instid0(VALU_DEP_1)
	v_cvt_f32_f16_e64 v161, v8
.LBB339_384:                            ;   in Loop: Header=BB339_10 Depth=1
	s_or_b32 exec_lo, exec_lo, s21
.LBB339_385:                            ;   in Loop: Header=BB339_10 Depth=1
	s_delay_alu instid0(SALU_CYCLE_1)
	s_or_b32 exec_lo, exec_lo, s20
.LBB339_386:                            ;   in Loop: Header=BB339_10 Depth=1
	s_delay_alu instid0(SALU_CYCLE_1)
	s_or_b32 exec_lo, exec_lo, s4
	v_dual_mov_b32 v164, 0 :: v_dual_mov_b32 v163, 0
	s_mov_b32 s4, exec_lo
	v_cmpx_lt_u32_e32 0xffffff, v165
	s_cbranch_execz .LBB339_394
; %bb.387:                              ;   in Loop: Header=BB339_10 Depth=1
	v_lshrrev_b32_e32 v165, 24, v165
	v_bfrev_b32_e32 v163, 1
	s_mov_b32 s20, exec_lo
	s_delay_alu instid0(VALU_DEP_2)
	v_cmpx_ne_u32_e32 0x80, v165
	s_cbranch_execz .LBB339_393
; %bb.388:                              ;   in Loop: Header=BB339_10 Depth=1
	v_and_b32_e32 v30, 0x7f, v165
	v_mov_b32_e32 v163, 0x7fc02000
	s_mov_b32 s21, exec_lo
	s_delay_alu instid0(VALU_DEP_2)
	v_cmpx_ne_u32_e32 0x7f, v30
	s_cbranch_execz .LBB339_392
; %bb.389:                              ;   in Loop: Header=BB339_10 Depth=1
	v_and_b32_e32 v8, 7, v165
	v_lshrrev_b32_e32 v163, 3, v30
	v_cmp_gt_u32_e64 s3, 8, v30
	s_delay_alu instid0(VALU_DEP_3) | instskip(NEXT) | instid1(VALU_DEP_2)
	v_dual_mov_b32 v31, v9 :: v_dual_mov_b32 v30, v8
	s_and_saveexec_b32 s22, s3
; %bb.390:                              ;   in Loop: Header=BB339_10 Depth=1
	v_clz_i32_u32_e32 v30, v8
	s_delay_alu instid0(VALU_DEP_1) | instskip(NEXT) | instid1(VALU_DEP_1)
	v_min_u32_e32 v163, 32, v30
	v_subrev_nc_u32_e32 v30, 28, v163
	v_sub_nc_u32_e32 v163, 29, v163
	s_delay_alu instid0(VALU_DEP_2) | instskip(NEXT) | instid1(VALU_DEP_1)
	v_lshlrev_b64 v[30:31], v30, v[8:9]
	v_and_b32_e32 v30, 7, v30
; %bb.391:                              ;   in Loop: Header=BB339_10 Depth=1
	s_or_b32 exec_lo, exec_lo, s22
	v_lshlrev_b32_e32 v8, 8, v165
	v_lshl_add_u32 v31, v163, 10, 0x2000
	s_delay_alu instid0(VALU_DEP_1) | instskip(NEXT) | instid1(VALU_DEP_1)
	v_and_or_b32 v8, 0x8000, v8, v31
	v_lshl_or_b32 v8, v30, 7, v8
	s_delay_alu instid0(VALU_DEP_1)
	v_cvt_f32_f16_e64 v163, v8
.LBB339_392:                            ;   in Loop: Header=BB339_10 Depth=1
	s_or_b32 exec_lo, exec_lo, s21
.LBB339_393:                            ;   in Loop: Header=BB339_10 Depth=1
	s_delay_alu instid0(SALU_CYCLE_1)
	s_or_b32 exec_lo, exec_lo, s20
.LBB339_394:                            ;   in Loop: Header=BB339_10 Depth=1
	s_delay_alu instid0(SALU_CYCLE_1) | instskip(SKIP_4) | instid1(VALU_DEP_1)
	s_or_b32 exec_lo, exec_lo, s4
	flat_load_b32 v177, v[28:29] offset:1536
	s_mov_b32 s4, exec_lo
	s_waitcnt vmcnt(0) lgkmcnt(0)
	v_and_b32_e32 v8, 0xff, v177
	v_cmpx_ne_u16_e32 0, v8
	s_cbranch_execz .LBB339_402
; %bb.395:                              ;   in Loop: Header=BB339_10 Depth=1
	v_bfrev_b32_e32 v164, 1
	s_mov_b32 s20, exec_lo
	v_cmpx_ne_u16_e32 0x80, v8
	s_cbranch_execz .LBB339_401
; %bb.396:                              ;   in Loop: Header=BB339_10 Depth=1
	v_and_b32_e32 v30, 0x7f, v177
	v_mov_b32_e32 v164, 0x7fc02000
	s_mov_b32 s21, exec_lo
	s_delay_alu instid0(VALU_DEP_2)
	v_cmpx_ne_u32_e32 0x7f, v30
	s_cbranch_execz .LBB339_400
; %bb.397:                              ;   in Loop: Header=BB339_10 Depth=1
	v_and_b32_e32 v8, 7, v177
	v_lshrrev_b32_e32 v164, 3, v30
	v_cmp_gt_u32_e64 s3, 8, v30
	s_delay_alu instid0(VALU_DEP_3) | instskip(NEXT) | instid1(VALU_DEP_2)
	v_dual_mov_b32 v31, v9 :: v_dual_mov_b32 v30, v8
	s_and_saveexec_b32 s22, s3
; %bb.398:                              ;   in Loop: Header=BB339_10 Depth=1
	v_clz_i32_u32_e32 v30, v8
	s_delay_alu instid0(VALU_DEP_1) | instskip(NEXT) | instid1(VALU_DEP_1)
	v_min_u32_e32 v164, 32, v30
	v_subrev_nc_u32_e32 v30, 28, v164
	v_sub_nc_u32_e32 v164, 29, v164
	s_delay_alu instid0(VALU_DEP_2) | instskip(NEXT) | instid1(VALU_DEP_1)
	v_lshlrev_b64 v[30:31], v30, v[8:9]
	v_and_b32_e32 v30, 7, v30
; %bb.399:                              ;   in Loop: Header=BB339_10 Depth=1
	s_or_b32 exec_lo, exec_lo, s22
	v_lshlrev_b32_e32 v8, 8, v177
	v_lshl_add_u32 v31, v164, 10, 0x2000
	s_delay_alu instid0(VALU_DEP_1) | instskip(NEXT) | instid1(VALU_DEP_1)
	v_and_or_b32 v8, 0x8000, v8, v31
	v_lshl_or_b32 v8, v30, 7, v8
	s_delay_alu instid0(VALU_DEP_1)
	v_cvt_f32_f16_e64 v164, v8
.LBB339_400:                            ;   in Loop: Header=BB339_10 Depth=1
	s_or_b32 exec_lo, exec_lo, s21
.LBB339_401:                            ;   in Loop: Header=BB339_10 Depth=1
	s_delay_alu instid0(SALU_CYCLE_1)
	s_or_b32 exec_lo, exec_lo, s20
.LBB339_402:                            ;   in Loop: Header=BB339_10 Depth=1
	s_delay_alu instid0(SALU_CYCLE_1) | instskip(SKIP_3) | instid1(VALU_DEP_2)
	s_or_b32 exec_lo, exec_lo, s4
	v_lshrrev_b16 v8, 8, v177
	v_dual_mov_b32 v165, 0 :: v_dual_mov_b32 v166, 0
	s_mov_b32 s4, exec_lo
	v_cmpx_ne_u16_e32 0, v8
	s_cbranch_execz .LBB339_410
; %bb.403:                              ;   in Loop: Header=BB339_10 Depth=1
	v_bfrev_b32_e32 v166, 1
	s_mov_b32 s20, exec_lo
	v_cmpx_ne_u16_e32 0x80, v8
	s_cbranch_execz .LBB339_409
; %bb.404:                              ;   in Loop: Header=BB339_10 Depth=1
	v_and_b32_e32 v167, 0xffff, v8
	v_mov_b32_e32 v166, 0x7fc02000
	s_mov_b32 s21, exec_lo
	s_delay_alu instid0(VALU_DEP_2) | instskip(NEXT) | instid1(VALU_DEP_1)
	v_and_b32_e32 v30, 0x7f, v167
	v_cmpx_ne_u32_e32 0x7f, v30
	s_cbranch_execz .LBB339_408
; %bb.405:                              ;   in Loop: Header=BB339_10 Depth=1
	v_and_b32_e32 v8, 7, v167
	v_lshrrev_b32_e32 v166, 3, v30
	v_cmp_gt_u32_e64 s3, 8, v30
	s_delay_alu instid0(VALU_DEP_3) | instskip(NEXT) | instid1(VALU_DEP_2)
	v_dual_mov_b32 v31, v9 :: v_dual_mov_b32 v30, v8
	s_and_saveexec_b32 s22, s3
; %bb.406:                              ;   in Loop: Header=BB339_10 Depth=1
	v_clz_i32_u32_e32 v30, v8
	s_delay_alu instid0(VALU_DEP_1) | instskip(NEXT) | instid1(VALU_DEP_1)
	v_min_u32_e32 v166, 32, v30
	v_subrev_nc_u32_e32 v30, 28, v166
	v_sub_nc_u32_e32 v166, 29, v166
	s_delay_alu instid0(VALU_DEP_2) | instskip(NEXT) | instid1(VALU_DEP_1)
	v_lshlrev_b64 v[30:31], v30, v[8:9]
	v_and_b32_e32 v30, 7, v30
; %bb.407:                              ;   in Loop: Header=BB339_10 Depth=1
	s_or_b32 exec_lo, exec_lo, s22
	v_lshlrev_b32_e32 v8, 8, v167
	v_lshl_add_u32 v31, v166, 10, 0x2000
	s_delay_alu instid0(VALU_DEP_1) | instskip(NEXT) | instid1(VALU_DEP_1)
	v_and_or_b32 v8, 0x8000, v8, v31
	v_lshl_or_b32 v8, v30, 7, v8
	s_delay_alu instid0(VALU_DEP_1)
	v_cvt_f32_f16_e64 v166, v8
.LBB339_408:                            ;   in Loop: Header=BB339_10 Depth=1
	s_or_b32 exec_lo, exec_lo, s21
.LBB339_409:                            ;   in Loop: Header=BB339_10 Depth=1
	s_delay_alu instid0(SALU_CYCLE_1)
	s_or_b32 exec_lo, exec_lo, s20
.LBB339_410:                            ;   in Loop: Header=BB339_10 Depth=1
	s_delay_alu instid0(SALU_CYCLE_1) | instskip(SKIP_2) | instid1(VALU_DEP_1)
	s_or_b32 exec_lo, exec_lo, s4
	v_lshrrev_b32_e32 v167, 16, v177
	s_mov_b32 s4, exec_lo
	v_and_b32_e32 v8, 0xff, v167
	s_delay_alu instid0(VALU_DEP_1)
	v_cmpx_ne_u16_e32 0, v8
	s_cbranch_execz .LBB339_418
; %bb.411:                              ;   in Loop: Header=BB339_10 Depth=1
	v_bfrev_b32_e32 v165, 1
	s_mov_b32 s20, exec_lo
	v_cmpx_ne_u16_e32 0x80, v8
	s_cbranch_execz .LBB339_417
; %bb.412:                              ;   in Loop: Header=BB339_10 Depth=1
	v_bfe_u32 v30, v177, 16, 7
	v_mov_b32_e32 v165, 0x7fc02000
	s_mov_b32 s21, exec_lo
	s_delay_alu instid0(VALU_DEP_2)
	v_cmpx_ne_u32_e32 0x7f, v30
	s_cbranch_execz .LBB339_416
; %bb.413:                              ;   in Loop: Header=BB339_10 Depth=1
	v_and_b32_e32 v8, 7, v167
	v_lshrrev_b32_e32 v165, 3, v30
	v_cmp_gt_u32_e64 s3, 8, v30
	s_delay_alu instid0(VALU_DEP_3) | instskip(NEXT) | instid1(VALU_DEP_2)
	v_dual_mov_b32 v31, v9 :: v_dual_mov_b32 v30, v8
	s_and_saveexec_b32 s22, s3
; %bb.414:                              ;   in Loop: Header=BB339_10 Depth=1
	v_clz_i32_u32_e32 v30, v8
	s_delay_alu instid0(VALU_DEP_1) | instskip(NEXT) | instid1(VALU_DEP_1)
	v_min_u32_e32 v165, 32, v30
	v_subrev_nc_u32_e32 v30, 28, v165
	v_sub_nc_u32_e32 v165, 29, v165
	s_delay_alu instid0(VALU_DEP_2) | instskip(NEXT) | instid1(VALU_DEP_1)
	v_lshlrev_b64 v[30:31], v30, v[8:9]
	v_and_b32_e32 v30, 7, v30
; %bb.415:                              ;   in Loop: Header=BB339_10 Depth=1
	s_or_b32 exec_lo, exec_lo, s22
	v_lshlrev_b32_e32 v8, 8, v167
	v_lshl_add_u32 v31, v165, 10, 0x2000
	s_delay_alu instid0(VALU_DEP_1) | instskip(NEXT) | instid1(VALU_DEP_1)
	v_and_or_b32 v8, 0x8000, v8, v31
	v_lshl_or_b32 v8, v30, 7, v8
	s_delay_alu instid0(VALU_DEP_1)
	v_cvt_f32_f16_e64 v165, v8
.LBB339_416:                            ;   in Loop: Header=BB339_10 Depth=1
	s_or_b32 exec_lo, exec_lo, s21
.LBB339_417:                            ;   in Loop: Header=BB339_10 Depth=1
	s_delay_alu instid0(SALU_CYCLE_1)
	s_or_b32 exec_lo, exec_lo, s20
.LBB339_418:                            ;   in Loop: Header=BB339_10 Depth=1
	s_delay_alu instid0(SALU_CYCLE_1)
	s_or_b32 exec_lo, exec_lo, s4
	v_dual_mov_b32 v176, 0 :: v_dual_mov_b32 v167, 0
	s_mov_b32 s4, exec_lo
	v_cmpx_lt_u32_e32 0xffffff, v177
	s_cbranch_execz .LBB339_426
; %bb.419:                              ;   in Loop: Header=BB339_10 Depth=1
	v_lshrrev_b32_e32 v177, 24, v177
	v_bfrev_b32_e32 v167, 1
	s_mov_b32 s20, exec_lo
	s_delay_alu instid0(VALU_DEP_2)
	v_cmpx_ne_u32_e32 0x80, v177
	s_cbranch_execz .LBB339_425
; %bb.420:                              ;   in Loop: Header=BB339_10 Depth=1
	v_and_b32_e32 v30, 0x7f, v177
	v_mov_b32_e32 v167, 0x7fc02000
	s_mov_b32 s21, exec_lo
	s_delay_alu instid0(VALU_DEP_2)
	v_cmpx_ne_u32_e32 0x7f, v30
	s_cbranch_execz .LBB339_424
; %bb.421:                              ;   in Loop: Header=BB339_10 Depth=1
	v_and_b32_e32 v8, 7, v177
	v_lshrrev_b32_e32 v167, 3, v30
	v_cmp_gt_u32_e64 s3, 8, v30
	s_delay_alu instid0(VALU_DEP_3) | instskip(NEXT) | instid1(VALU_DEP_2)
	v_dual_mov_b32 v31, v9 :: v_dual_mov_b32 v30, v8
	s_and_saveexec_b32 s22, s3
; %bb.422:                              ;   in Loop: Header=BB339_10 Depth=1
	v_clz_i32_u32_e32 v30, v8
	s_delay_alu instid0(VALU_DEP_1) | instskip(NEXT) | instid1(VALU_DEP_1)
	v_min_u32_e32 v167, 32, v30
	v_subrev_nc_u32_e32 v30, 28, v167
	v_sub_nc_u32_e32 v167, 29, v167
	s_delay_alu instid0(VALU_DEP_2) | instskip(NEXT) | instid1(VALU_DEP_1)
	v_lshlrev_b64 v[30:31], v30, v[8:9]
	v_and_b32_e32 v30, 7, v30
; %bb.423:                              ;   in Loop: Header=BB339_10 Depth=1
	s_or_b32 exec_lo, exec_lo, s22
	v_lshlrev_b32_e32 v8, 8, v177
	v_lshl_add_u32 v31, v167, 10, 0x2000
	s_delay_alu instid0(VALU_DEP_1) | instskip(NEXT) | instid1(VALU_DEP_1)
	v_and_or_b32 v8, 0x8000, v8, v31
	v_lshl_or_b32 v8, v30, 7, v8
	s_delay_alu instid0(VALU_DEP_1)
	v_cvt_f32_f16_e64 v167, v8
.LBB339_424:                            ;   in Loop: Header=BB339_10 Depth=1
	s_or_b32 exec_lo, exec_lo, s21
.LBB339_425:                            ;   in Loop: Header=BB339_10 Depth=1
	s_delay_alu instid0(SALU_CYCLE_1)
	s_or_b32 exec_lo, exec_lo, s20
.LBB339_426:                            ;   in Loop: Header=BB339_10 Depth=1
	s_delay_alu instid0(SALU_CYCLE_1) | instskip(SKIP_4) | instid1(VALU_DEP_1)
	s_or_b32 exec_lo, exec_lo, s4
	flat_load_b32 v181, v[28:29] offset:1544
	s_mov_b32 s4, exec_lo
	s_waitcnt vmcnt(0) lgkmcnt(0)
	v_and_b32_e32 v8, 0xff, v181
	v_cmpx_ne_u16_e32 0, v8
	s_cbranch_execz .LBB339_434
; %bb.427:                              ;   in Loop: Header=BB339_10 Depth=1
	v_bfrev_b32_e32 v176, 1
	s_mov_b32 s20, exec_lo
	v_cmpx_ne_u16_e32 0x80, v8
	s_cbranch_execz .LBB339_433
; %bb.428:                              ;   in Loop: Header=BB339_10 Depth=1
	v_and_b32_e32 v30, 0x7f, v181
	v_mov_b32_e32 v176, 0x7fc02000
	s_mov_b32 s21, exec_lo
	s_delay_alu instid0(VALU_DEP_2)
	v_cmpx_ne_u32_e32 0x7f, v30
	s_cbranch_execz .LBB339_432
; %bb.429:                              ;   in Loop: Header=BB339_10 Depth=1
	v_and_b32_e32 v8, 7, v181
	v_lshrrev_b32_e32 v176, 3, v30
	v_cmp_gt_u32_e64 s3, 8, v30
	s_delay_alu instid0(VALU_DEP_3) | instskip(NEXT) | instid1(VALU_DEP_2)
	v_dual_mov_b32 v31, v9 :: v_dual_mov_b32 v30, v8
	s_and_saveexec_b32 s22, s3
; %bb.430:                              ;   in Loop: Header=BB339_10 Depth=1
	v_clz_i32_u32_e32 v30, v8
	s_delay_alu instid0(VALU_DEP_1) | instskip(NEXT) | instid1(VALU_DEP_1)
	v_min_u32_e32 v176, 32, v30
	v_subrev_nc_u32_e32 v30, 28, v176
	v_sub_nc_u32_e32 v176, 29, v176
	s_delay_alu instid0(VALU_DEP_2) | instskip(NEXT) | instid1(VALU_DEP_1)
	v_lshlrev_b64 v[30:31], v30, v[8:9]
	v_and_b32_e32 v30, 7, v30
; %bb.431:                              ;   in Loop: Header=BB339_10 Depth=1
	s_or_b32 exec_lo, exec_lo, s22
	v_lshlrev_b32_e32 v8, 8, v181
	v_lshl_add_u32 v31, v176, 10, 0x2000
	s_delay_alu instid0(VALU_DEP_1) | instskip(NEXT) | instid1(VALU_DEP_1)
	v_and_or_b32 v8, 0x8000, v8, v31
	v_lshl_or_b32 v8, v30, 7, v8
	s_delay_alu instid0(VALU_DEP_1)
	v_cvt_f32_f16_e64 v176, v8
.LBB339_432:                            ;   in Loop: Header=BB339_10 Depth=1
	s_or_b32 exec_lo, exec_lo, s21
.LBB339_433:                            ;   in Loop: Header=BB339_10 Depth=1
	s_delay_alu instid0(SALU_CYCLE_1)
	s_or_b32 exec_lo, exec_lo, s20
.LBB339_434:                            ;   in Loop: Header=BB339_10 Depth=1
	s_delay_alu instid0(SALU_CYCLE_1) | instskip(SKIP_3) | instid1(VALU_DEP_2)
	s_or_b32 exec_lo, exec_lo, s4
	v_lshrrev_b16 v8, 8, v181
	v_dual_mov_b32 v177, 0 :: v_dual_mov_b32 v178, 0
	s_mov_b32 s4, exec_lo
	v_cmpx_ne_u16_e32 0, v8
	s_cbranch_execz .LBB339_442
; %bb.435:                              ;   in Loop: Header=BB339_10 Depth=1
	v_bfrev_b32_e32 v178, 1
	s_mov_b32 s20, exec_lo
	v_cmpx_ne_u16_e32 0x80, v8
	s_cbranch_execz .LBB339_441
; %bb.436:                              ;   in Loop: Header=BB339_10 Depth=1
	v_and_b32_e32 v179, 0xffff, v8
	v_mov_b32_e32 v178, 0x7fc02000
	s_mov_b32 s21, exec_lo
	s_delay_alu instid0(VALU_DEP_2) | instskip(NEXT) | instid1(VALU_DEP_1)
	v_and_b32_e32 v30, 0x7f, v179
	v_cmpx_ne_u32_e32 0x7f, v30
	s_cbranch_execz .LBB339_440
; %bb.437:                              ;   in Loop: Header=BB339_10 Depth=1
	v_and_b32_e32 v8, 7, v179
	v_lshrrev_b32_e32 v178, 3, v30
	v_cmp_gt_u32_e64 s3, 8, v30
	s_delay_alu instid0(VALU_DEP_3) | instskip(NEXT) | instid1(VALU_DEP_2)
	v_dual_mov_b32 v31, v9 :: v_dual_mov_b32 v30, v8
	s_and_saveexec_b32 s22, s3
; %bb.438:                              ;   in Loop: Header=BB339_10 Depth=1
	v_clz_i32_u32_e32 v30, v8
	s_delay_alu instid0(VALU_DEP_1) | instskip(NEXT) | instid1(VALU_DEP_1)
	v_min_u32_e32 v178, 32, v30
	v_subrev_nc_u32_e32 v30, 28, v178
	v_sub_nc_u32_e32 v178, 29, v178
	s_delay_alu instid0(VALU_DEP_2) | instskip(NEXT) | instid1(VALU_DEP_1)
	v_lshlrev_b64 v[30:31], v30, v[8:9]
	v_and_b32_e32 v30, 7, v30
; %bb.439:                              ;   in Loop: Header=BB339_10 Depth=1
	s_or_b32 exec_lo, exec_lo, s22
	v_lshlrev_b32_e32 v8, 8, v179
	v_lshl_add_u32 v31, v178, 10, 0x2000
	s_delay_alu instid0(VALU_DEP_1) | instskip(NEXT) | instid1(VALU_DEP_1)
	v_and_or_b32 v8, 0x8000, v8, v31
	v_lshl_or_b32 v8, v30, 7, v8
	s_delay_alu instid0(VALU_DEP_1)
	v_cvt_f32_f16_e64 v178, v8
.LBB339_440:                            ;   in Loop: Header=BB339_10 Depth=1
	s_or_b32 exec_lo, exec_lo, s21
.LBB339_441:                            ;   in Loop: Header=BB339_10 Depth=1
	s_delay_alu instid0(SALU_CYCLE_1)
	s_or_b32 exec_lo, exec_lo, s20
.LBB339_442:                            ;   in Loop: Header=BB339_10 Depth=1
	s_delay_alu instid0(SALU_CYCLE_1) | instskip(SKIP_2) | instid1(VALU_DEP_1)
	s_or_b32 exec_lo, exec_lo, s4
	v_lshrrev_b32_e32 v179, 16, v181
	s_mov_b32 s4, exec_lo
	v_and_b32_e32 v8, 0xff, v179
	s_delay_alu instid0(VALU_DEP_1)
	v_cmpx_ne_u16_e32 0, v8
	s_cbranch_execz .LBB339_450
; %bb.443:                              ;   in Loop: Header=BB339_10 Depth=1
	v_bfrev_b32_e32 v177, 1
	s_mov_b32 s20, exec_lo
	v_cmpx_ne_u16_e32 0x80, v8
	s_cbranch_execz .LBB339_449
; %bb.444:                              ;   in Loop: Header=BB339_10 Depth=1
	v_bfe_u32 v30, v181, 16, 7
	v_mov_b32_e32 v177, 0x7fc02000
	s_mov_b32 s21, exec_lo
	s_delay_alu instid0(VALU_DEP_2)
	v_cmpx_ne_u32_e32 0x7f, v30
	s_cbranch_execz .LBB339_448
; %bb.445:                              ;   in Loop: Header=BB339_10 Depth=1
	v_and_b32_e32 v8, 7, v179
	v_lshrrev_b32_e32 v177, 3, v30
	v_cmp_gt_u32_e64 s3, 8, v30
	s_delay_alu instid0(VALU_DEP_3) | instskip(NEXT) | instid1(VALU_DEP_2)
	v_dual_mov_b32 v31, v9 :: v_dual_mov_b32 v30, v8
	s_and_saveexec_b32 s22, s3
; %bb.446:                              ;   in Loop: Header=BB339_10 Depth=1
	v_clz_i32_u32_e32 v30, v8
	s_delay_alu instid0(VALU_DEP_1) | instskip(NEXT) | instid1(VALU_DEP_1)
	v_min_u32_e32 v177, 32, v30
	v_subrev_nc_u32_e32 v30, 28, v177
	v_sub_nc_u32_e32 v177, 29, v177
	s_delay_alu instid0(VALU_DEP_2) | instskip(NEXT) | instid1(VALU_DEP_1)
	v_lshlrev_b64 v[30:31], v30, v[8:9]
	v_and_b32_e32 v30, 7, v30
; %bb.447:                              ;   in Loop: Header=BB339_10 Depth=1
	s_or_b32 exec_lo, exec_lo, s22
	v_lshlrev_b32_e32 v8, 8, v179
	v_lshl_add_u32 v31, v177, 10, 0x2000
	s_delay_alu instid0(VALU_DEP_1) | instskip(NEXT) | instid1(VALU_DEP_1)
	v_and_or_b32 v8, 0x8000, v8, v31
	v_lshl_or_b32 v8, v30, 7, v8
	s_delay_alu instid0(VALU_DEP_1)
	v_cvt_f32_f16_e64 v177, v8
.LBB339_448:                            ;   in Loop: Header=BB339_10 Depth=1
	s_or_b32 exec_lo, exec_lo, s21
.LBB339_449:                            ;   in Loop: Header=BB339_10 Depth=1
	s_delay_alu instid0(SALU_CYCLE_1)
	s_or_b32 exec_lo, exec_lo, s20
.LBB339_450:                            ;   in Loop: Header=BB339_10 Depth=1
	s_delay_alu instid0(SALU_CYCLE_1)
	s_or_b32 exec_lo, exec_lo, s4
	v_dual_mov_b32 v180, 0 :: v_dual_mov_b32 v179, 0
	s_mov_b32 s4, exec_lo
	v_cmpx_lt_u32_e32 0xffffff, v181
	s_cbranch_execz .LBB339_458
; %bb.451:                              ;   in Loop: Header=BB339_10 Depth=1
	v_lshrrev_b32_e32 v181, 24, v181
	v_bfrev_b32_e32 v179, 1
	s_mov_b32 s20, exec_lo
	s_delay_alu instid0(VALU_DEP_2)
	v_cmpx_ne_u32_e32 0x80, v181
	s_cbranch_execz .LBB339_457
; %bb.452:                              ;   in Loop: Header=BB339_10 Depth=1
	v_and_b32_e32 v30, 0x7f, v181
	v_mov_b32_e32 v179, 0x7fc02000
	s_mov_b32 s21, exec_lo
	s_delay_alu instid0(VALU_DEP_2)
	v_cmpx_ne_u32_e32 0x7f, v30
	s_cbranch_execz .LBB339_456
; %bb.453:                              ;   in Loop: Header=BB339_10 Depth=1
	v_and_b32_e32 v8, 7, v181
	v_lshrrev_b32_e32 v179, 3, v30
	v_cmp_gt_u32_e64 s3, 8, v30
	s_delay_alu instid0(VALU_DEP_3) | instskip(NEXT) | instid1(VALU_DEP_2)
	v_dual_mov_b32 v31, v9 :: v_dual_mov_b32 v30, v8
	s_and_saveexec_b32 s22, s3
; %bb.454:                              ;   in Loop: Header=BB339_10 Depth=1
	v_clz_i32_u32_e32 v30, v8
	s_delay_alu instid0(VALU_DEP_1) | instskip(NEXT) | instid1(VALU_DEP_1)
	v_min_u32_e32 v179, 32, v30
	v_subrev_nc_u32_e32 v30, 28, v179
	v_sub_nc_u32_e32 v179, 29, v179
	s_delay_alu instid0(VALU_DEP_2) | instskip(NEXT) | instid1(VALU_DEP_1)
	v_lshlrev_b64 v[30:31], v30, v[8:9]
	v_and_b32_e32 v30, 7, v30
; %bb.455:                              ;   in Loop: Header=BB339_10 Depth=1
	s_or_b32 exec_lo, exec_lo, s22
	v_lshlrev_b32_e32 v8, 8, v181
	v_lshl_add_u32 v31, v179, 10, 0x2000
	s_delay_alu instid0(VALU_DEP_1) | instskip(NEXT) | instid1(VALU_DEP_1)
	v_and_or_b32 v8, 0x8000, v8, v31
	v_lshl_or_b32 v8, v30, 7, v8
	s_delay_alu instid0(VALU_DEP_1)
	v_cvt_f32_f16_e64 v179, v8
.LBB339_456:                            ;   in Loop: Header=BB339_10 Depth=1
	s_or_b32 exec_lo, exec_lo, s21
.LBB339_457:                            ;   in Loop: Header=BB339_10 Depth=1
	s_delay_alu instid0(SALU_CYCLE_1)
	s_or_b32 exec_lo, exec_lo, s20
.LBB339_458:                            ;   in Loop: Header=BB339_10 Depth=1
	s_delay_alu instid0(SALU_CYCLE_1) | instskip(SKIP_4) | instid1(VALU_DEP_1)
	s_or_b32 exec_lo, exec_lo, s4
	flat_load_b32 v41, v[28:29] offset:1792
	s_mov_b32 s4, exec_lo
	s_waitcnt vmcnt(0) lgkmcnt(0)
	v_and_b32_e32 v8, 0xff, v41
	v_cmpx_ne_u16_e32 0, v8
	s_cbranch_execz .LBB339_466
; %bb.459:                              ;   in Loop: Header=BB339_10 Depth=1
	v_bfrev_b32_e32 v180, 1
	s_mov_b32 s20, exec_lo
	v_cmpx_ne_u16_e32 0x80, v8
	s_cbranch_execz .LBB339_465
; %bb.460:                              ;   in Loop: Header=BB339_10 Depth=1
	v_and_b32_e32 v30, 0x7f, v41
	v_mov_b32_e32 v180, 0x7fc02000
	s_mov_b32 s21, exec_lo
	s_delay_alu instid0(VALU_DEP_2)
	v_cmpx_ne_u32_e32 0x7f, v30
	s_cbranch_execz .LBB339_464
; %bb.461:                              ;   in Loop: Header=BB339_10 Depth=1
	v_and_b32_e32 v8, 7, v41
	v_lshrrev_b32_e32 v180, 3, v30
	v_cmp_gt_u32_e64 s3, 8, v30
	s_delay_alu instid0(VALU_DEP_3) | instskip(NEXT) | instid1(VALU_DEP_2)
	v_dual_mov_b32 v31, v9 :: v_dual_mov_b32 v30, v8
	s_and_saveexec_b32 s22, s3
; %bb.462:                              ;   in Loop: Header=BB339_10 Depth=1
	v_clz_i32_u32_e32 v30, v8
	s_delay_alu instid0(VALU_DEP_1) | instskip(NEXT) | instid1(VALU_DEP_1)
	v_min_u32_e32 v180, 32, v30
	v_subrev_nc_u32_e32 v30, 28, v180
	v_sub_nc_u32_e32 v180, 29, v180
	s_delay_alu instid0(VALU_DEP_2) | instskip(NEXT) | instid1(VALU_DEP_1)
	v_lshlrev_b64 v[30:31], v30, v[8:9]
	v_and_b32_e32 v30, 7, v30
; %bb.463:                              ;   in Loop: Header=BB339_10 Depth=1
	s_or_b32 exec_lo, exec_lo, s22
	v_lshlrev_b32_e32 v8, 8, v41
	v_lshl_add_u32 v31, v180, 10, 0x2000
	s_delay_alu instid0(VALU_DEP_1) | instskip(NEXT) | instid1(VALU_DEP_1)
	v_and_or_b32 v8, 0x8000, v8, v31
	v_lshl_or_b32 v8, v30, 7, v8
	s_delay_alu instid0(VALU_DEP_1)
	v_cvt_f32_f16_e64 v180, v8
.LBB339_464:                            ;   in Loop: Header=BB339_10 Depth=1
	s_or_b32 exec_lo, exec_lo, s21
.LBB339_465:                            ;   in Loop: Header=BB339_10 Depth=1
	s_delay_alu instid0(SALU_CYCLE_1)
	s_or_b32 exec_lo, exec_lo, s20
.LBB339_466:                            ;   in Loop: Header=BB339_10 Depth=1
	s_delay_alu instid0(SALU_CYCLE_1) | instskip(SKIP_3) | instid1(VALU_DEP_2)
	s_or_b32 exec_lo, exec_lo, s4
	v_lshrrev_b16 v8, 8, v41
	v_dual_mov_b32 v181, 0 :: v_dual_mov_b32 v182, 0
	s_mov_b32 s4, exec_lo
	v_cmpx_ne_u16_e32 0, v8
	s_cbranch_execz .LBB339_474
; %bb.467:                              ;   in Loop: Header=BB339_10 Depth=1
	v_bfrev_b32_e32 v182, 1
	s_mov_b32 s20, exec_lo
	v_cmpx_ne_u16_e32 0x80, v8
	s_cbranch_execz .LBB339_473
; %bb.468:                              ;   in Loop: Header=BB339_10 Depth=1
	v_and_b32_e32 v183, 0xffff, v8
	v_mov_b32_e32 v182, 0x7fc02000
	s_mov_b32 s21, exec_lo
	s_delay_alu instid0(VALU_DEP_2) | instskip(NEXT) | instid1(VALU_DEP_1)
	v_and_b32_e32 v30, 0x7f, v183
	v_cmpx_ne_u32_e32 0x7f, v30
	s_cbranch_execz .LBB339_472
; %bb.469:                              ;   in Loop: Header=BB339_10 Depth=1
	v_and_b32_e32 v8, 7, v183
	v_lshrrev_b32_e32 v182, 3, v30
	v_cmp_gt_u32_e64 s3, 8, v30
	s_delay_alu instid0(VALU_DEP_3) | instskip(NEXT) | instid1(VALU_DEP_2)
	v_dual_mov_b32 v31, v9 :: v_dual_mov_b32 v30, v8
	s_and_saveexec_b32 s22, s3
; %bb.470:                              ;   in Loop: Header=BB339_10 Depth=1
	v_clz_i32_u32_e32 v30, v8
	s_delay_alu instid0(VALU_DEP_1) | instskip(NEXT) | instid1(VALU_DEP_1)
	v_min_u32_e32 v182, 32, v30
	v_subrev_nc_u32_e32 v30, 28, v182
	v_sub_nc_u32_e32 v182, 29, v182
	s_delay_alu instid0(VALU_DEP_2) | instskip(NEXT) | instid1(VALU_DEP_1)
	v_lshlrev_b64 v[30:31], v30, v[8:9]
	v_and_b32_e32 v30, 7, v30
; %bb.471:                              ;   in Loop: Header=BB339_10 Depth=1
	s_or_b32 exec_lo, exec_lo, s22
	v_lshlrev_b32_e32 v8, 8, v183
	v_lshl_add_u32 v31, v182, 10, 0x2000
	s_delay_alu instid0(VALU_DEP_1) | instskip(NEXT) | instid1(VALU_DEP_1)
	v_and_or_b32 v8, 0x8000, v8, v31
	v_lshl_or_b32 v8, v30, 7, v8
	s_delay_alu instid0(VALU_DEP_1)
	v_cvt_f32_f16_e64 v182, v8
.LBB339_472:                            ;   in Loop: Header=BB339_10 Depth=1
	s_or_b32 exec_lo, exec_lo, s21
.LBB339_473:                            ;   in Loop: Header=BB339_10 Depth=1
	s_delay_alu instid0(SALU_CYCLE_1)
	s_or_b32 exec_lo, exec_lo, s20
.LBB339_474:                            ;   in Loop: Header=BB339_10 Depth=1
	s_delay_alu instid0(SALU_CYCLE_1) | instskip(SKIP_2) | instid1(VALU_DEP_1)
	s_or_b32 exec_lo, exec_lo, s4
	v_lshrrev_b32_e32 v183, 16, v41
	s_mov_b32 s4, exec_lo
	v_and_b32_e32 v8, 0xff, v183
	s_delay_alu instid0(VALU_DEP_1)
	v_cmpx_ne_u16_e32 0, v8
	s_cbranch_execz .LBB339_482
; %bb.475:                              ;   in Loop: Header=BB339_10 Depth=1
	v_bfrev_b32_e32 v181, 1
	s_mov_b32 s20, exec_lo
	v_cmpx_ne_u16_e32 0x80, v8
	s_cbranch_execz .LBB339_481
; %bb.476:                              ;   in Loop: Header=BB339_10 Depth=1
	v_bfe_u32 v30, v41, 16, 7
	v_mov_b32_e32 v181, 0x7fc02000
	s_mov_b32 s21, exec_lo
	s_delay_alu instid0(VALU_DEP_2)
	v_cmpx_ne_u32_e32 0x7f, v30
	s_cbranch_execz .LBB339_480
; %bb.477:                              ;   in Loop: Header=BB339_10 Depth=1
	v_and_b32_e32 v8, 7, v183
	v_lshrrev_b32_e32 v181, 3, v30
	v_cmp_gt_u32_e64 s3, 8, v30
	s_delay_alu instid0(VALU_DEP_3) | instskip(NEXT) | instid1(VALU_DEP_2)
	v_dual_mov_b32 v31, v9 :: v_dual_mov_b32 v30, v8
	s_and_saveexec_b32 s22, s3
; %bb.478:                              ;   in Loop: Header=BB339_10 Depth=1
	v_clz_i32_u32_e32 v30, v8
	s_delay_alu instid0(VALU_DEP_1) | instskip(NEXT) | instid1(VALU_DEP_1)
	v_min_u32_e32 v181, 32, v30
	v_subrev_nc_u32_e32 v30, 28, v181
	v_sub_nc_u32_e32 v181, 29, v181
	s_delay_alu instid0(VALU_DEP_2) | instskip(NEXT) | instid1(VALU_DEP_1)
	v_lshlrev_b64 v[30:31], v30, v[8:9]
	v_and_b32_e32 v30, 7, v30
; %bb.479:                              ;   in Loop: Header=BB339_10 Depth=1
	s_or_b32 exec_lo, exec_lo, s22
	v_lshlrev_b32_e32 v8, 8, v183
	v_lshl_add_u32 v31, v181, 10, 0x2000
	s_delay_alu instid0(VALU_DEP_1) | instskip(NEXT) | instid1(VALU_DEP_1)
	v_and_or_b32 v8, 0x8000, v8, v31
	v_lshl_or_b32 v8, v30, 7, v8
	s_delay_alu instid0(VALU_DEP_1)
	v_cvt_f32_f16_e64 v181, v8
.LBB339_480:                            ;   in Loop: Header=BB339_10 Depth=1
	s_or_b32 exec_lo, exec_lo, s21
.LBB339_481:                            ;   in Loop: Header=BB339_10 Depth=1
	s_delay_alu instid0(SALU_CYCLE_1)
	s_or_b32 exec_lo, exec_lo, s20
.LBB339_482:                            ;   in Loop: Header=BB339_10 Depth=1
	s_delay_alu instid0(SALU_CYCLE_1)
	s_or_b32 exec_lo, exec_lo, s4
	v_dual_mov_b32 v40, 0 :: v_dual_mov_b32 v183, 0
	s_mov_b32 s4, exec_lo
	v_cmpx_lt_u32_e32 0xffffff, v41
	s_cbranch_execz .LBB339_490
; %bb.483:                              ;   in Loop: Header=BB339_10 Depth=1
	v_lshrrev_b32_e32 v41, 24, v41
	v_bfrev_b32_e32 v183, 1
	s_mov_b32 s20, exec_lo
	s_delay_alu instid0(VALU_DEP_2)
	v_cmpx_ne_u32_e32 0x80, v41
	s_cbranch_execz .LBB339_489
; %bb.484:                              ;   in Loop: Header=BB339_10 Depth=1
	v_and_b32_e32 v30, 0x7f, v41
	v_mov_b32_e32 v183, 0x7fc02000
	s_mov_b32 s21, exec_lo
	s_delay_alu instid0(VALU_DEP_2)
	v_cmpx_ne_u32_e32 0x7f, v30
	s_cbranch_execz .LBB339_488
; %bb.485:                              ;   in Loop: Header=BB339_10 Depth=1
	v_and_b32_e32 v8, 7, v41
	v_lshrrev_b32_e32 v183, 3, v30
	v_cmp_gt_u32_e64 s3, 8, v30
	s_delay_alu instid0(VALU_DEP_3) | instskip(NEXT) | instid1(VALU_DEP_2)
	v_dual_mov_b32 v31, v9 :: v_dual_mov_b32 v30, v8
	s_and_saveexec_b32 s22, s3
; %bb.486:                              ;   in Loop: Header=BB339_10 Depth=1
	v_clz_i32_u32_e32 v30, v8
	s_delay_alu instid0(VALU_DEP_1) | instskip(NEXT) | instid1(VALU_DEP_1)
	v_min_u32_e32 v183, 32, v30
	v_subrev_nc_u32_e32 v30, 28, v183
	v_sub_nc_u32_e32 v183, 29, v183
	s_delay_alu instid0(VALU_DEP_2) | instskip(NEXT) | instid1(VALU_DEP_1)
	v_lshlrev_b64 v[30:31], v30, v[8:9]
	v_and_b32_e32 v30, 7, v30
; %bb.487:                              ;   in Loop: Header=BB339_10 Depth=1
	s_or_b32 exec_lo, exec_lo, s22
	v_lshlrev_b32_e32 v8, 8, v41
	v_lshl_add_u32 v31, v183, 10, 0x2000
	s_delay_alu instid0(VALU_DEP_1) | instskip(NEXT) | instid1(VALU_DEP_1)
	v_and_or_b32 v8, 0x8000, v8, v31
	v_lshl_or_b32 v8, v30, 7, v8
	s_delay_alu instid0(VALU_DEP_1)
	v_cvt_f32_f16_e64 v183, v8
.LBB339_488:                            ;   in Loop: Header=BB339_10 Depth=1
	s_or_b32 exec_lo, exec_lo, s21
.LBB339_489:                            ;   in Loop: Header=BB339_10 Depth=1
	s_delay_alu instid0(SALU_CYCLE_1)
	s_or_b32 exec_lo, exec_lo, s20
.LBB339_490:                            ;   in Loop: Header=BB339_10 Depth=1
	s_delay_alu instid0(SALU_CYCLE_1) | instskip(SKIP_4) | instid1(VALU_DEP_1)
	s_or_b32 exec_lo, exec_lo, s4
	flat_load_b32 v45, v[28:29] offset:1800
	s_mov_b32 s4, exec_lo
	s_waitcnt vmcnt(0) lgkmcnt(0)
	v_and_b32_e32 v8, 0xff, v45
	v_cmpx_ne_u16_e32 0, v8
	s_cbranch_execz .LBB339_498
; %bb.491:                              ;   in Loop: Header=BB339_10 Depth=1
	v_bfrev_b32_e32 v40, 1
	s_mov_b32 s20, exec_lo
	v_cmpx_ne_u16_e32 0x80, v8
	s_cbranch_execz .LBB339_497
; %bb.492:                              ;   in Loop: Header=BB339_10 Depth=1
	v_and_b32_e32 v30, 0x7f, v45
	v_mov_b32_e32 v40, 0x7fc02000
	s_mov_b32 s21, exec_lo
	s_delay_alu instid0(VALU_DEP_2)
	v_cmpx_ne_u32_e32 0x7f, v30
	s_cbranch_execz .LBB339_496
; %bb.493:                              ;   in Loop: Header=BB339_10 Depth=1
	v_and_b32_e32 v8, 7, v45
	v_lshrrev_b32_e32 v40, 3, v30
	v_cmp_gt_u32_e64 s3, 8, v30
	s_delay_alu instid0(VALU_DEP_3) | instskip(NEXT) | instid1(VALU_DEP_2)
	v_dual_mov_b32 v31, v9 :: v_dual_mov_b32 v30, v8
	s_and_saveexec_b32 s22, s3
; %bb.494:                              ;   in Loop: Header=BB339_10 Depth=1
	v_clz_i32_u32_e32 v30, v8
	s_delay_alu instid0(VALU_DEP_1) | instskip(NEXT) | instid1(VALU_DEP_1)
	v_min_u32_e32 v40, 32, v30
	v_subrev_nc_u32_e32 v30, 28, v40
	v_sub_nc_u32_e32 v40, 29, v40
	s_delay_alu instid0(VALU_DEP_2) | instskip(NEXT) | instid1(VALU_DEP_1)
	v_lshlrev_b64 v[30:31], v30, v[8:9]
	v_and_b32_e32 v30, 7, v30
; %bb.495:                              ;   in Loop: Header=BB339_10 Depth=1
	s_or_b32 exec_lo, exec_lo, s22
	v_lshlrev_b32_e32 v8, 8, v45
	v_lshl_add_u32 v31, v40, 10, 0x2000
	s_delay_alu instid0(VALU_DEP_1) | instskip(NEXT) | instid1(VALU_DEP_1)
	v_and_or_b32 v8, 0x8000, v8, v31
	v_lshl_or_b32 v8, v30, 7, v8
	s_delay_alu instid0(VALU_DEP_1)
	v_cvt_f32_f16_e32 v40, v8
.LBB339_496:                            ;   in Loop: Header=BB339_10 Depth=1
	s_or_b32 exec_lo, exec_lo, s21
.LBB339_497:                            ;   in Loop: Header=BB339_10 Depth=1
	s_delay_alu instid0(SALU_CYCLE_1)
	s_or_b32 exec_lo, exec_lo, s20
.LBB339_498:                            ;   in Loop: Header=BB339_10 Depth=1
	s_delay_alu instid0(SALU_CYCLE_1) | instskip(SKIP_3) | instid1(VALU_DEP_2)
	s_or_b32 exec_lo, exec_lo, s4
	v_lshrrev_b16 v8, 8, v45
	v_dual_mov_b32 v41, 0 :: v_dual_mov_b32 v42, 0
	s_mov_b32 s4, exec_lo
	v_cmpx_ne_u16_e32 0, v8
	s_cbranch_execz .LBB339_506
; %bb.499:                              ;   in Loop: Header=BB339_10 Depth=1
	v_bfrev_b32_e32 v42, 1
	s_mov_b32 s20, exec_lo
	v_cmpx_ne_u16_e32 0x80, v8
	s_cbranch_execz .LBB339_505
; %bb.500:                              ;   in Loop: Header=BB339_10 Depth=1
	v_and_b32_e32 v43, 0xffff, v8
	v_mov_b32_e32 v42, 0x7fc02000
	s_mov_b32 s21, exec_lo
	s_delay_alu instid0(VALU_DEP_2) | instskip(NEXT) | instid1(VALU_DEP_1)
	v_and_b32_e32 v30, 0x7f, v43
	v_cmpx_ne_u32_e32 0x7f, v30
	s_cbranch_execz .LBB339_504
; %bb.501:                              ;   in Loop: Header=BB339_10 Depth=1
	v_and_b32_e32 v8, 7, v43
	v_lshrrev_b32_e32 v42, 3, v30
	v_cmp_gt_u32_e64 s3, 8, v30
	s_delay_alu instid0(VALU_DEP_3) | instskip(NEXT) | instid1(VALU_DEP_2)
	v_dual_mov_b32 v31, v9 :: v_dual_mov_b32 v30, v8
	s_and_saveexec_b32 s22, s3
; %bb.502:                              ;   in Loop: Header=BB339_10 Depth=1
	v_clz_i32_u32_e32 v30, v8
	s_delay_alu instid0(VALU_DEP_1) | instskip(NEXT) | instid1(VALU_DEP_1)
	v_min_u32_e32 v42, 32, v30
	v_subrev_nc_u32_e32 v30, 28, v42
	v_sub_nc_u32_e32 v42, 29, v42
	s_delay_alu instid0(VALU_DEP_2) | instskip(NEXT) | instid1(VALU_DEP_1)
	v_lshlrev_b64 v[30:31], v30, v[8:9]
	v_and_b32_e32 v30, 7, v30
; %bb.503:                              ;   in Loop: Header=BB339_10 Depth=1
	s_or_b32 exec_lo, exec_lo, s22
	v_lshlrev_b32_e32 v8, 8, v43
	v_lshl_add_u32 v31, v42, 10, 0x2000
	s_delay_alu instid0(VALU_DEP_1) | instskip(NEXT) | instid1(VALU_DEP_1)
	v_and_or_b32 v8, 0x8000, v8, v31
	v_lshl_or_b32 v8, v30, 7, v8
	s_delay_alu instid0(VALU_DEP_1)
	v_cvt_f32_f16_e32 v42, v8
.LBB339_504:                            ;   in Loop: Header=BB339_10 Depth=1
	s_or_b32 exec_lo, exec_lo, s21
.LBB339_505:                            ;   in Loop: Header=BB339_10 Depth=1
	s_delay_alu instid0(SALU_CYCLE_1)
	s_or_b32 exec_lo, exec_lo, s20
.LBB339_506:                            ;   in Loop: Header=BB339_10 Depth=1
	s_delay_alu instid0(SALU_CYCLE_1) | instskip(SKIP_2) | instid1(VALU_DEP_1)
	s_or_b32 exec_lo, exec_lo, s4
	v_lshrrev_b32_e32 v43, 16, v45
	s_mov_b32 s4, exec_lo
	v_and_b32_e32 v8, 0xff, v43
	s_delay_alu instid0(VALU_DEP_1)
	v_cmpx_ne_u16_e32 0, v8
	s_cbranch_execz .LBB339_514
; %bb.507:                              ;   in Loop: Header=BB339_10 Depth=1
	v_bfrev_b32_e32 v41, 1
	s_mov_b32 s20, exec_lo
	v_cmpx_ne_u16_e32 0x80, v8
	s_cbranch_execz .LBB339_513
; %bb.508:                              ;   in Loop: Header=BB339_10 Depth=1
	v_bfe_u32 v30, v45, 16, 7
	v_mov_b32_e32 v41, 0x7fc02000
	s_mov_b32 s21, exec_lo
	s_delay_alu instid0(VALU_DEP_2)
	v_cmpx_ne_u32_e32 0x7f, v30
	s_cbranch_execz .LBB339_512
; %bb.509:                              ;   in Loop: Header=BB339_10 Depth=1
	v_and_b32_e32 v8, 7, v43
	v_lshrrev_b32_e32 v41, 3, v30
	v_cmp_gt_u32_e64 s3, 8, v30
	s_delay_alu instid0(VALU_DEP_3) | instskip(NEXT) | instid1(VALU_DEP_2)
	v_dual_mov_b32 v31, v9 :: v_dual_mov_b32 v30, v8
	s_and_saveexec_b32 s22, s3
; %bb.510:                              ;   in Loop: Header=BB339_10 Depth=1
	v_clz_i32_u32_e32 v30, v8
	s_delay_alu instid0(VALU_DEP_1) | instskip(NEXT) | instid1(VALU_DEP_1)
	v_min_u32_e32 v41, 32, v30
	v_subrev_nc_u32_e32 v30, 28, v41
	v_sub_nc_u32_e32 v41, 29, v41
	s_delay_alu instid0(VALU_DEP_2) | instskip(NEXT) | instid1(VALU_DEP_1)
	v_lshlrev_b64 v[30:31], v30, v[8:9]
	v_and_b32_e32 v30, 7, v30
; %bb.511:                              ;   in Loop: Header=BB339_10 Depth=1
	s_or_b32 exec_lo, exec_lo, s22
	v_lshlrev_b32_e32 v8, 8, v43
	v_lshl_add_u32 v31, v41, 10, 0x2000
	s_delay_alu instid0(VALU_DEP_1) | instskip(NEXT) | instid1(VALU_DEP_1)
	v_and_or_b32 v8, 0x8000, v8, v31
	v_lshl_or_b32 v8, v30, 7, v8
	s_delay_alu instid0(VALU_DEP_1)
	v_cvt_f32_f16_e32 v41, v8
.LBB339_512:                            ;   in Loop: Header=BB339_10 Depth=1
	s_or_b32 exec_lo, exec_lo, s21
.LBB339_513:                            ;   in Loop: Header=BB339_10 Depth=1
	s_delay_alu instid0(SALU_CYCLE_1)
	s_or_b32 exec_lo, exec_lo, s20
.LBB339_514:                            ;   in Loop: Header=BB339_10 Depth=1
	s_delay_alu instid0(SALU_CYCLE_1)
	s_or_b32 exec_lo, exec_lo, s4
	v_dual_mov_b32 v44, 0 :: v_dual_mov_b32 v43, 0
	s_mov_b32 s4, exec_lo
	v_cmpx_lt_u32_e32 0xffffff, v45
	s_cbranch_execz .LBB339_522
; %bb.515:                              ;   in Loop: Header=BB339_10 Depth=1
	v_lshrrev_b32_e32 v45, 24, v45
	v_bfrev_b32_e32 v43, 1
	s_mov_b32 s20, exec_lo
	s_delay_alu instid0(VALU_DEP_2)
	v_cmpx_ne_u32_e32 0x80, v45
	s_cbranch_execz .LBB339_521
; %bb.516:                              ;   in Loop: Header=BB339_10 Depth=1
	v_and_b32_e32 v30, 0x7f, v45
	v_mov_b32_e32 v43, 0x7fc02000
	s_mov_b32 s21, exec_lo
	s_delay_alu instid0(VALU_DEP_2)
	v_cmpx_ne_u32_e32 0x7f, v30
	s_cbranch_execz .LBB339_520
; %bb.517:                              ;   in Loop: Header=BB339_10 Depth=1
	v_and_b32_e32 v8, 7, v45
	v_lshrrev_b32_e32 v43, 3, v30
	v_cmp_gt_u32_e64 s3, 8, v30
	s_delay_alu instid0(VALU_DEP_3) | instskip(NEXT) | instid1(VALU_DEP_2)
	v_dual_mov_b32 v31, v9 :: v_dual_mov_b32 v30, v8
	s_and_saveexec_b32 s22, s3
; %bb.518:                              ;   in Loop: Header=BB339_10 Depth=1
	v_clz_i32_u32_e32 v30, v8
	s_delay_alu instid0(VALU_DEP_1) | instskip(NEXT) | instid1(VALU_DEP_1)
	v_min_u32_e32 v43, 32, v30
	v_subrev_nc_u32_e32 v30, 28, v43
	v_sub_nc_u32_e32 v43, 29, v43
	s_delay_alu instid0(VALU_DEP_2) | instskip(NEXT) | instid1(VALU_DEP_1)
	v_lshlrev_b64 v[30:31], v30, v[8:9]
	v_and_b32_e32 v30, 7, v30
; %bb.519:                              ;   in Loop: Header=BB339_10 Depth=1
	s_or_b32 exec_lo, exec_lo, s22
	v_lshlrev_b32_e32 v8, 8, v45
	v_lshl_add_u32 v31, v43, 10, 0x2000
	s_delay_alu instid0(VALU_DEP_1) | instskip(NEXT) | instid1(VALU_DEP_1)
	v_and_or_b32 v8, 0x8000, v8, v31
	v_lshl_or_b32 v8, v30, 7, v8
	s_delay_alu instid0(VALU_DEP_1)
	v_cvt_f32_f16_e32 v43, v8
.LBB339_520:                            ;   in Loop: Header=BB339_10 Depth=1
	s_or_b32 exec_lo, exec_lo, s21
.LBB339_521:                            ;   in Loop: Header=BB339_10 Depth=1
	s_delay_alu instid0(SALU_CYCLE_1)
	s_or_b32 exec_lo, exec_lo, s20
.LBB339_522:                            ;   in Loop: Header=BB339_10 Depth=1
	s_delay_alu instid0(SALU_CYCLE_1) | instskip(SKIP_4) | instid1(VALU_DEP_1)
	s_or_b32 exec_lo, exec_lo, s4
	flat_load_b32 v57, v[28:29] offset:2048
	s_mov_b32 s4, exec_lo
	s_waitcnt vmcnt(0) lgkmcnt(0)
	v_and_b32_e32 v8, 0xff, v57
	v_cmpx_ne_u16_e32 0, v8
	s_cbranch_execz .LBB339_530
; %bb.523:                              ;   in Loop: Header=BB339_10 Depth=1
	v_bfrev_b32_e32 v44, 1
	s_mov_b32 s20, exec_lo
	v_cmpx_ne_u16_e32 0x80, v8
	s_cbranch_execz .LBB339_529
; %bb.524:                              ;   in Loop: Header=BB339_10 Depth=1
	v_and_b32_e32 v30, 0x7f, v57
	v_mov_b32_e32 v44, 0x7fc02000
	s_mov_b32 s21, exec_lo
	s_delay_alu instid0(VALU_DEP_2)
	v_cmpx_ne_u32_e32 0x7f, v30
	s_cbranch_execz .LBB339_528
; %bb.525:                              ;   in Loop: Header=BB339_10 Depth=1
	v_and_b32_e32 v8, 7, v57
	v_lshrrev_b32_e32 v44, 3, v30
	v_cmp_gt_u32_e64 s3, 8, v30
	s_delay_alu instid0(VALU_DEP_3) | instskip(NEXT) | instid1(VALU_DEP_2)
	v_dual_mov_b32 v31, v9 :: v_dual_mov_b32 v30, v8
	s_and_saveexec_b32 s22, s3
; %bb.526:                              ;   in Loop: Header=BB339_10 Depth=1
	v_clz_i32_u32_e32 v30, v8
	s_delay_alu instid0(VALU_DEP_1) | instskip(NEXT) | instid1(VALU_DEP_1)
	v_min_u32_e32 v44, 32, v30
	v_subrev_nc_u32_e32 v30, 28, v44
	v_sub_nc_u32_e32 v44, 29, v44
	s_delay_alu instid0(VALU_DEP_2) | instskip(NEXT) | instid1(VALU_DEP_1)
	v_lshlrev_b64 v[30:31], v30, v[8:9]
	v_and_b32_e32 v30, 7, v30
; %bb.527:                              ;   in Loop: Header=BB339_10 Depth=1
	s_or_b32 exec_lo, exec_lo, s22
	v_lshlrev_b32_e32 v8, 8, v57
	v_lshl_add_u32 v31, v44, 10, 0x2000
	s_delay_alu instid0(VALU_DEP_1) | instskip(NEXT) | instid1(VALU_DEP_1)
	v_and_or_b32 v8, 0x8000, v8, v31
	v_lshl_or_b32 v8, v30, 7, v8
	s_delay_alu instid0(VALU_DEP_1)
	v_cvt_f32_f16_e32 v44, v8
.LBB339_528:                            ;   in Loop: Header=BB339_10 Depth=1
	s_or_b32 exec_lo, exec_lo, s21
.LBB339_529:                            ;   in Loop: Header=BB339_10 Depth=1
	s_delay_alu instid0(SALU_CYCLE_1)
	s_or_b32 exec_lo, exec_lo, s20
.LBB339_530:                            ;   in Loop: Header=BB339_10 Depth=1
	s_delay_alu instid0(SALU_CYCLE_1) | instskip(SKIP_3) | instid1(VALU_DEP_2)
	s_or_b32 exec_lo, exec_lo, s4
	v_lshrrev_b16 v8, 8, v57
	v_dual_mov_b32 v45, 0 :: v_dual_mov_b32 v46, 0
	s_mov_b32 s4, exec_lo
	v_cmpx_ne_u16_e32 0, v8
	s_cbranch_execz .LBB339_538
; %bb.531:                              ;   in Loop: Header=BB339_10 Depth=1
	v_bfrev_b32_e32 v46, 1
	s_mov_b32 s20, exec_lo
	v_cmpx_ne_u16_e32 0x80, v8
	s_cbranch_execz .LBB339_537
; %bb.532:                              ;   in Loop: Header=BB339_10 Depth=1
	v_and_b32_e32 v47, 0xffff, v8
	v_mov_b32_e32 v46, 0x7fc02000
	s_mov_b32 s21, exec_lo
	s_delay_alu instid0(VALU_DEP_2) | instskip(NEXT) | instid1(VALU_DEP_1)
	v_and_b32_e32 v30, 0x7f, v47
	v_cmpx_ne_u32_e32 0x7f, v30
	s_cbranch_execz .LBB339_536
; %bb.533:                              ;   in Loop: Header=BB339_10 Depth=1
	v_and_b32_e32 v8, 7, v47
	v_lshrrev_b32_e32 v46, 3, v30
	v_cmp_gt_u32_e64 s3, 8, v30
	s_delay_alu instid0(VALU_DEP_3) | instskip(NEXT) | instid1(VALU_DEP_2)
	v_dual_mov_b32 v31, v9 :: v_dual_mov_b32 v30, v8
	s_and_saveexec_b32 s22, s3
; %bb.534:                              ;   in Loop: Header=BB339_10 Depth=1
	v_clz_i32_u32_e32 v30, v8
	s_delay_alu instid0(VALU_DEP_1) | instskip(NEXT) | instid1(VALU_DEP_1)
	v_min_u32_e32 v46, 32, v30
	v_subrev_nc_u32_e32 v30, 28, v46
	v_sub_nc_u32_e32 v46, 29, v46
	s_delay_alu instid0(VALU_DEP_2) | instskip(NEXT) | instid1(VALU_DEP_1)
	v_lshlrev_b64 v[30:31], v30, v[8:9]
	v_and_b32_e32 v30, 7, v30
; %bb.535:                              ;   in Loop: Header=BB339_10 Depth=1
	s_or_b32 exec_lo, exec_lo, s22
	v_lshlrev_b32_e32 v8, 8, v47
	v_lshl_add_u32 v31, v46, 10, 0x2000
	s_delay_alu instid0(VALU_DEP_1) | instskip(NEXT) | instid1(VALU_DEP_1)
	v_and_or_b32 v8, 0x8000, v8, v31
	v_lshl_or_b32 v8, v30, 7, v8
	s_delay_alu instid0(VALU_DEP_1)
	v_cvt_f32_f16_e32 v46, v8
.LBB339_536:                            ;   in Loop: Header=BB339_10 Depth=1
	s_or_b32 exec_lo, exec_lo, s21
.LBB339_537:                            ;   in Loop: Header=BB339_10 Depth=1
	s_delay_alu instid0(SALU_CYCLE_1)
	s_or_b32 exec_lo, exec_lo, s20
.LBB339_538:                            ;   in Loop: Header=BB339_10 Depth=1
	s_delay_alu instid0(SALU_CYCLE_1) | instskip(SKIP_2) | instid1(VALU_DEP_1)
	s_or_b32 exec_lo, exec_lo, s4
	v_lshrrev_b32_e32 v47, 16, v57
	s_mov_b32 s4, exec_lo
	v_and_b32_e32 v8, 0xff, v47
	s_delay_alu instid0(VALU_DEP_1)
	v_cmpx_ne_u16_e32 0, v8
	s_cbranch_execz .LBB339_546
; %bb.539:                              ;   in Loop: Header=BB339_10 Depth=1
	v_bfrev_b32_e32 v45, 1
	s_mov_b32 s20, exec_lo
	v_cmpx_ne_u16_e32 0x80, v8
	s_cbranch_execz .LBB339_545
; %bb.540:                              ;   in Loop: Header=BB339_10 Depth=1
	v_bfe_u32 v30, v57, 16, 7
	v_mov_b32_e32 v45, 0x7fc02000
	s_mov_b32 s21, exec_lo
	s_delay_alu instid0(VALU_DEP_2)
	v_cmpx_ne_u32_e32 0x7f, v30
	s_cbranch_execz .LBB339_544
; %bb.541:                              ;   in Loop: Header=BB339_10 Depth=1
	v_and_b32_e32 v8, 7, v47
	v_lshrrev_b32_e32 v45, 3, v30
	v_cmp_gt_u32_e64 s3, 8, v30
	s_delay_alu instid0(VALU_DEP_3) | instskip(NEXT) | instid1(VALU_DEP_2)
	v_dual_mov_b32 v31, v9 :: v_dual_mov_b32 v30, v8
	s_and_saveexec_b32 s22, s3
; %bb.542:                              ;   in Loop: Header=BB339_10 Depth=1
	v_clz_i32_u32_e32 v30, v8
	s_delay_alu instid0(VALU_DEP_1) | instskip(NEXT) | instid1(VALU_DEP_1)
	v_min_u32_e32 v45, 32, v30
	v_subrev_nc_u32_e32 v30, 28, v45
	v_sub_nc_u32_e32 v45, 29, v45
	s_delay_alu instid0(VALU_DEP_2) | instskip(NEXT) | instid1(VALU_DEP_1)
	v_lshlrev_b64 v[30:31], v30, v[8:9]
	v_and_b32_e32 v30, 7, v30
; %bb.543:                              ;   in Loop: Header=BB339_10 Depth=1
	s_or_b32 exec_lo, exec_lo, s22
	v_lshlrev_b32_e32 v8, 8, v47
	v_lshl_add_u32 v31, v45, 10, 0x2000
	s_delay_alu instid0(VALU_DEP_1) | instskip(NEXT) | instid1(VALU_DEP_1)
	v_and_or_b32 v8, 0x8000, v8, v31
	v_lshl_or_b32 v8, v30, 7, v8
	s_delay_alu instid0(VALU_DEP_1)
	v_cvt_f32_f16_e32 v45, v8
.LBB339_544:                            ;   in Loop: Header=BB339_10 Depth=1
	s_or_b32 exec_lo, exec_lo, s21
.LBB339_545:                            ;   in Loop: Header=BB339_10 Depth=1
	s_delay_alu instid0(SALU_CYCLE_1)
	s_or_b32 exec_lo, exec_lo, s20
.LBB339_546:                            ;   in Loop: Header=BB339_10 Depth=1
	s_delay_alu instid0(SALU_CYCLE_1)
	s_or_b32 exec_lo, exec_lo, s4
	v_dual_mov_b32 v56, 0 :: v_dual_mov_b32 v47, 0
	s_mov_b32 s4, exec_lo
	v_cmpx_lt_u32_e32 0xffffff, v57
	s_cbranch_execz .LBB339_554
; %bb.547:                              ;   in Loop: Header=BB339_10 Depth=1
	v_lshrrev_b32_e32 v57, 24, v57
	v_bfrev_b32_e32 v47, 1
	s_mov_b32 s20, exec_lo
	s_delay_alu instid0(VALU_DEP_2)
	v_cmpx_ne_u32_e32 0x80, v57
	s_cbranch_execz .LBB339_553
; %bb.548:                              ;   in Loop: Header=BB339_10 Depth=1
	v_and_b32_e32 v30, 0x7f, v57
	v_mov_b32_e32 v47, 0x7fc02000
	s_mov_b32 s21, exec_lo
	s_delay_alu instid0(VALU_DEP_2)
	v_cmpx_ne_u32_e32 0x7f, v30
	s_cbranch_execz .LBB339_552
; %bb.549:                              ;   in Loop: Header=BB339_10 Depth=1
	v_and_b32_e32 v8, 7, v57
	v_lshrrev_b32_e32 v47, 3, v30
	v_cmp_gt_u32_e64 s3, 8, v30
	s_delay_alu instid0(VALU_DEP_3) | instskip(NEXT) | instid1(VALU_DEP_2)
	v_dual_mov_b32 v31, v9 :: v_dual_mov_b32 v30, v8
	s_and_saveexec_b32 s22, s3
; %bb.550:                              ;   in Loop: Header=BB339_10 Depth=1
	v_clz_i32_u32_e32 v30, v8
	s_delay_alu instid0(VALU_DEP_1) | instskip(NEXT) | instid1(VALU_DEP_1)
	v_min_u32_e32 v47, 32, v30
	v_subrev_nc_u32_e32 v30, 28, v47
	v_sub_nc_u32_e32 v47, 29, v47
	s_delay_alu instid0(VALU_DEP_2) | instskip(NEXT) | instid1(VALU_DEP_1)
	v_lshlrev_b64 v[30:31], v30, v[8:9]
	v_and_b32_e32 v30, 7, v30
; %bb.551:                              ;   in Loop: Header=BB339_10 Depth=1
	s_or_b32 exec_lo, exec_lo, s22
	v_lshlrev_b32_e32 v8, 8, v57
	v_lshl_add_u32 v31, v47, 10, 0x2000
	s_delay_alu instid0(VALU_DEP_1) | instskip(NEXT) | instid1(VALU_DEP_1)
	v_and_or_b32 v8, 0x8000, v8, v31
	v_lshl_or_b32 v8, v30, 7, v8
	s_delay_alu instid0(VALU_DEP_1)
	v_cvt_f32_f16_e32 v47, v8
.LBB339_552:                            ;   in Loop: Header=BB339_10 Depth=1
	s_or_b32 exec_lo, exec_lo, s21
.LBB339_553:                            ;   in Loop: Header=BB339_10 Depth=1
	s_delay_alu instid0(SALU_CYCLE_1)
	s_or_b32 exec_lo, exec_lo, s20
.LBB339_554:                            ;   in Loop: Header=BB339_10 Depth=1
	s_delay_alu instid0(SALU_CYCLE_1) | instskip(SKIP_4) | instid1(VALU_DEP_1)
	s_or_b32 exec_lo, exec_lo, s4
	flat_load_b32 v61, v[28:29] offset:2056
	s_mov_b32 s4, exec_lo
	s_waitcnt vmcnt(0) lgkmcnt(0)
	v_and_b32_e32 v8, 0xff, v61
	v_cmpx_ne_u16_e32 0, v8
	s_cbranch_execz .LBB339_562
; %bb.555:                              ;   in Loop: Header=BB339_10 Depth=1
	v_bfrev_b32_e32 v56, 1
	s_mov_b32 s20, exec_lo
	v_cmpx_ne_u16_e32 0x80, v8
	s_cbranch_execz .LBB339_561
; %bb.556:                              ;   in Loop: Header=BB339_10 Depth=1
	v_and_b32_e32 v30, 0x7f, v61
	v_mov_b32_e32 v56, 0x7fc02000
	s_mov_b32 s21, exec_lo
	s_delay_alu instid0(VALU_DEP_2)
	v_cmpx_ne_u32_e32 0x7f, v30
	s_cbranch_execz .LBB339_560
; %bb.557:                              ;   in Loop: Header=BB339_10 Depth=1
	v_and_b32_e32 v8, 7, v61
	v_lshrrev_b32_e32 v56, 3, v30
	v_cmp_gt_u32_e64 s3, 8, v30
	s_delay_alu instid0(VALU_DEP_3) | instskip(NEXT) | instid1(VALU_DEP_2)
	v_dual_mov_b32 v31, v9 :: v_dual_mov_b32 v30, v8
	s_and_saveexec_b32 s22, s3
; %bb.558:                              ;   in Loop: Header=BB339_10 Depth=1
	v_clz_i32_u32_e32 v30, v8
	s_delay_alu instid0(VALU_DEP_1) | instskip(NEXT) | instid1(VALU_DEP_1)
	v_min_u32_e32 v56, 32, v30
	v_subrev_nc_u32_e32 v30, 28, v56
	v_sub_nc_u32_e32 v56, 29, v56
	s_delay_alu instid0(VALU_DEP_2) | instskip(NEXT) | instid1(VALU_DEP_1)
	v_lshlrev_b64 v[30:31], v30, v[8:9]
	v_and_b32_e32 v30, 7, v30
; %bb.559:                              ;   in Loop: Header=BB339_10 Depth=1
	s_or_b32 exec_lo, exec_lo, s22
	v_lshlrev_b32_e32 v8, 8, v61
	v_lshl_add_u32 v31, v56, 10, 0x2000
	s_delay_alu instid0(VALU_DEP_1) | instskip(NEXT) | instid1(VALU_DEP_1)
	v_and_or_b32 v8, 0x8000, v8, v31
	v_lshl_or_b32 v8, v30, 7, v8
	s_delay_alu instid0(VALU_DEP_1)
	v_cvt_f32_f16_e32 v56, v8
.LBB339_560:                            ;   in Loop: Header=BB339_10 Depth=1
	s_or_b32 exec_lo, exec_lo, s21
.LBB339_561:                            ;   in Loop: Header=BB339_10 Depth=1
	s_delay_alu instid0(SALU_CYCLE_1)
	s_or_b32 exec_lo, exec_lo, s20
.LBB339_562:                            ;   in Loop: Header=BB339_10 Depth=1
	s_delay_alu instid0(SALU_CYCLE_1) | instskip(SKIP_3) | instid1(VALU_DEP_2)
	s_or_b32 exec_lo, exec_lo, s4
	v_lshrrev_b16 v8, 8, v61
	v_dual_mov_b32 v57, 0 :: v_dual_mov_b32 v58, 0
	s_mov_b32 s4, exec_lo
	v_cmpx_ne_u16_e32 0, v8
	s_cbranch_execz .LBB339_570
; %bb.563:                              ;   in Loop: Header=BB339_10 Depth=1
	v_bfrev_b32_e32 v58, 1
	s_mov_b32 s20, exec_lo
	v_cmpx_ne_u16_e32 0x80, v8
	s_cbranch_execz .LBB339_569
; %bb.564:                              ;   in Loop: Header=BB339_10 Depth=1
	v_and_b32_e32 v59, 0xffff, v8
	v_mov_b32_e32 v58, 0x7fc02000
	s_mov_b32 s21, exec_lo
	s_delay_alu instid0(VALU_DEP_2) | instskip(NEXT) | instid1(VALU_DEP_1)
	v_and_b32_e32 v30, 0x7f, v59
	v_cmpx_ne_u32_e32 0x7f, v30
	s_cbranch_execz .LBB339_568
; %bb.565:                              ;   in Loop: Header=BB339_10 Depth=1
	v_and_b32_e32 v8, 7, v59
	v_lshrrev_b32_e32 v58, 3, v30
	v_cmp_gt_u32_e64 s3, 8, v30
	s_delay_alu instid0(VALU_DEP_3) | instskip(NEXT) | instid1(VALU_DEP_2)
	v_dual_mov_b32 v31, v9 :: v_dual_mov_b32 v30, v8
	s_and_saveexec_b32 s22, s3
; %bb.566:                              ;   in Loop: Header=BB339_10 Depth=1
	v_clz_i32_u32_e32 v30, v8
	s_delay_alu instid0(VALU_DEP_1) | instskip(NEXT) | instid1(VALU_DEP_1)
	v_min_u32_e32 v58, 32, v30
	v_subrev_nc_u32_e32 v30, 28, v58
	v_sub_nc_u32_e32 v58, 29, v58
	s_delay_alu instid0(VALU_DEP_2) | instskip(NEXT) | instid1(VALU_DEP_1)
	v_lshlrev_b64 v[30:31], v30, v[8:9]
	v_and_b32_e32 v30, 7, v30
; %bb.567:                              ;   in Loop: Header=BB339_10 Depth=1
	s_or_b32 exec_lo, exec_lo, s22
	v_lshlrev_b32_e32 v8, 8, v59
	v_lshl_add_u32 v31, v58, 10, 0x2000
	s_delay_alu instid0(VALU_DEP_1) | instskip(NEXT) | instid1(VALU_DEP_1)
	v_and_or_b32 v8, 0x8000, v8, v31
	v_lshl_or_b32 v8, v30, 7, v8
	s_delay_alu instid0(VALU_DEP_1)
	v_cvt_f32_f16_e32 v58, v8
.LBB339_568:                            ;   in Loop: Header=BB339_10 Depth=1
	s_or_b32 exec_lo, exec_lo, s21
.LBB339_569:                            ;   in Loop: Header=BB339_10 Depth=1
	s_delay_alu instid0(SALU_CYCLE_1)
	s_or_b32 exec_lo, exec_lo, s20
.LBB339_570:                            ;   in Loop: Header=BB339_10 Depth=1
	s_delay_alu instid0(SALU_CYCLE_1) | instskip(SKIP_2) | instid1(VALU_DEP_1)
	s_or_b32 exec_lo, exec_lo, s4
	v_lshrrev_b32_e32 v59, 16, v61
	s_mov_b32 s4, exec_lo
	v_and_b32_e32 v8, 0xff, v59
	s_delay_alu instid0(VALU_DEP_1)
	v_cmpx_ne_u16_e32 0, v8
	s_cbranch_execz .LBB339_578
; %bb.571:                              ;   in Loop: Header=BB339_10 Depth=1
	v_bfrev_b32_e32 v57, 1
	s_mov_b32 s20, exec_lo
	v_cmpx_ne_u16_e32 0x80, v8
	s_cbranch_execz .LBB339_577
; %bb.572:                              ;   in Loop: Header=BB339_10 Depth=1
	v_bfe_u32 v30, v61, 16, 7
	v_mov_b32_e32 v57, 0x7fc02000
	s_mov_b32 s21, exec_lo
	s_delay_alu instid0(VALU_DEP_2)
	v_cmpx_ne_u32_e32 0x7f, v30
	s_cbranch_execz .LBB339_576
; %bb.573:                              ;   in Loop: Header=BB339_10 Depth=1
	v_and_b32_e32 v8, 7, v59
	v_lshrrev_b32_e32 v57, 3, v30
	v_cmp_gt_u32_e64 s3, 8, v30
	s_delay_alu instid0(VALU_DEP_3) | instskip(NEXT) | instid1(VALU_DEP_2)
	v_dual_mov_b32 v31, v9 :: v_dual_mov_b32 v30, v8
	s_and_saveexec_b32 s22, s3
; %bb.574:                              ;   in Loop: Header=BB339_10 Depth=1
	v_clz_i32_u32_e32 v30, v8
	s_delay_alu instid0(VALU_DEP_1) | instskip(NEXT) | instid1(VALU_DEP_1)
	v_min_u32_e32 v57, 32, v30
	v_subrev_nc_u32_e32 v30, 28, v57
	v_sub_nc_u32_e32 v57, 29, v57
	s_delay_alu instid0(VALU_DEP_2) | instskip(NEXT) | instid1(VALU_DEP_1)
	v_lshlrev_b64 v[30:31], v30, v[8:9]
	v_and_b32_e32 v30, 7, v30
; %bb.575:                              ;   in Loop: Header=BB339_10 Depth=1
	s_or_b32 exec_lo, exec_lo, s22
	v_lshlrev_b32_e32 v8, 8, v59
	v_lshl_add_u32 v31, v57, 10, 0x2000
	s_delay_alu instid0(VALU_DEP_1) | instskip(NEXT) | instid1(VALU_DEP_1)
	v_and_or_b32 v8, 0x8000, v8, v31
	v_lshl_or_b32 v8, v30, 7, v8
	s_delay_alu instid0(VALU_DEP_1)
	v_cvt_f32_f16_e32 v57, v8
.LBB339_576:                            ;   in Loop: Header=BB339_10 Depth=1
	s_or_b32 exec_lo, exec_lo, s21
.LBB339_577:                            ;   in Loop: Header=BB339_10 Depth=1
	s_delay_alu instid0(SALU_CYCLE_1)
	s_or_b32 exec_lo, exec_lo, s20
.LBB339_578:                            ;   in Loop: Header=BB339_10 Depth=1
	s_delay_alu instid0(SALU_CYCLE_1)
	s_or_b32 exec_lo, exec_lo, s4
	v_dual_mov_b32 v60, 0 :: v_dual_mov_b32 v59, 0
	s_mov_b32 s4, exec_lo
	v_cmpx_lt_u32_e32 0xffffff, v61
	s_cbranch_execz .LBB339_586
; %bb.579:                              ;   in Loop: Header=BB339_10 Depth=1
	v_lshrrev_b32_e32 v61, 24, v61
	v_bfrev_b32_e32 v59, 1
	s_mov_b32 s20, exec_lo
	s_delay_alu instid0(VALU_DEP_2)
	v_cmpx_ne_u32_e32 0x80, v61
	s_cbranch_execz .LBB339_585
; %bb.580:                              ;   in Loop: Header=BB339_10 Depth=1
	v_and_b32_e32 v30, 0x7f, v61
	v_mov_b32_e32 v59, 0x7fc02000
	s_mov_b32 s21, exec_lo
	s_delay_alu instid0(VALU_DEP_2)
	v_cmpx_ne_u32_e32 0x7f, v30
	s_cbranch_execz .LBB339_584
; %bb.581:                              ;   in Loop: Header=BB339_10 Depth=1
	v_and_b32_e32 v8, 7, v61
	v_lshrrev_b32_e32 v59, 3, v30
	v_cmp_gt_u32_e64 s3, 8, v30
	s_delay_alu instid0(VALU_DEP_3) | instskip(NEXT) | instid1(VALU_DEP_2)
	v_dual_mov_b32 v31, v9 :: v_dual_mov_b32 v30, v8
	s_and_saveexec_b32 s22, s3
; %bb.582:                              ;   in Loop: Header=BB339_10 Depth=1
	v_clz_i32_u32_e32 v30, v8
	s_delay_alu instid0(VALU_DEP_1) | instskip(NEXT) | instid1(VALU_DEP_1)
	v_min_u32_e32 v59, 32, v30
	v_subrev_nc_u32_e32 v30, 28, v59
	v_sub_nc_u32_e32 v59, 29, v59
	s_delay_alu instid0(VALU_DEP_2) | instskip(NEXT) | instid1(VALU_DEP_1)
	v_lshlrev_b64 v[30:31], v30, v[8:9]
	v_and_b32_e32 v30, 7, v30
; %bb.583:                              ;   in Loop: Header=BB339_10 Depth=1
	s_or_b32 exec_lo, exec_lo, s22
	v_lshlrev_b32_e32 v8, 8, v61
	v_lshl_add_u32 v31, v59, 10, 0x2000
	s_delay_alu instid0(VALU_DEP_1) | instskip(NEXT) | instid1(VALU_DEP_1)
	v_and_or_b32 v8, 0x8000, v8, v31
	v_lshl_or_b32 v8, v30, 7, v8
	s_delay_alu instid0(VALU_DEP_1)
	v_cvt_f32_f16_e32 v59, v8
.LBB339_584:                            ;   in Loop: Header=BB339_10 Depth=1
	s_or_b32 exec_lo, exec_lo, s21
.LBB339_585:                            ;   in Loop: Header=BB339_10 Depth=1
	s_delay_alu instid0(SALU_CYCLE_1)
	s_or_b32 exec_lo, exec_lo, s20
.LBB339_586:                            ;   in Loop: Header=BB339_10 Depth=1
	s_delay_alu instid0(SALU_CYCLE_1) | instskip(SKIP_4) | instid1(VALU_DEP_1)
	s_or_b32 exec_lo, exec_lo, s4
	flat_load_b32 v73, v[28:29] offset:2304
	s_mov_b32 s4, exec_lo
	s_waitcnt vmcnt(0) lgkmcnt(0)
	v_and_b32_e32 v8, 0xff, v73
	v_cmpx_ne_u16_e32 0, v8
	s_cbranch_execz .LBB339_594
; %bb.587:                              ;   in Loop: Header=BB339_10 Depth=1
	v_bfrev_b32_e32 v60, 1
	s_mov_b32 s20, exec_lo
	v_cmpx_ne_u16_e32 0x80, v8
	s_cbranch_execz .LBB339_593
; %bb.588:                              ;   in Loop: Header=BB339_10 Depth=1
	v_and_b32_e32 v30, 0x7f, v73
	v_mov_b32_e32 v60, 0x7fc02000
	s_mov_b32 s21, exec_lo
	s_delay_alu instid0(VALU_DEP_2)
	v_cmpx_ne_u32_e32 0x7f, v30
	s_cbranch_execz .LBB339_592
; %bb.589:                              ;   in Loop: Header=BB339_10 Depth=1
	v_and_b32_e32 v8, 7, v73
	v_lshrrev_b32_e32 v60, 3, v30
	v_cmp_gt_u32_e64 s3, 8, v30
	s_delay_alu instid0(VALU_DEP_3) | instskip(NEXT) | instid1(VALU_DEP_2)
	v_dual_mov_b32 v31, v9 :: v_dual_mov_b32 v30, v8
	s_and_saveexec_b32 s22, s3
; %bb.590:                              ;   in Loop: Header=BB339_10 Depth=1
	v_clz_i32_u32_e32 v30, v8
	s_delay_alu instid0(VALU_DEP_1) | instskip(NEXT) | instid1(VALU_DEP_1)
	v_min_u32_e32 v60, 32, v30
	v_subrev_nc_u32_e32 v30, 28, v60
	v_sub_nc_u32_e32 v60, 29, v60
	s_delay_alu instid0(VALU_DEP_2) | instskip(NEXT) | instid1(VALU_DEP_1)
	v_lshlrev_b64 v[30:31], v30, v[8:9]
	v_and_b32_e32 v30, 7, v30
; %bb.591:                              ;   in Loop: Header=BB339_10 Depth=1
	s_or_b32 exec_lo, exec_lo, s22
	v_lshlrev_b32_e32 v8, 8, v73
	v_lshl_add_u32 v31, v60, 10, 0x2000
	s_delay_alu instid0(VALU_DEP_1) | instskip(NEXT) | instid1(VALU_DEP_1)
	v_and_or_b32 v8, 0x8000, v8, v31
	v_lshl_or_b32 v8, v30, 7, v8
	s_delay_alu instid0(VALU_DEP_1)
	v_cvt_f32_f16_e32 v60, v8
.LBB339_592:                            ;   in Loop: Header=BB339_10 Depth=1
	s_or_b32 exec_lo, exec_lo, s21
.LBB339_593:                            ;   in Loop: Header=BB339_10 Depth=1
	s_delay_alu instid0(SALU_CYCLE_1)
	s_or_b32 exec_lo, exec_lo, s20
.LBB339_594:                            ;   in Loop: Header=BB339_10 Depth=1
	s_delay_alu instid0(SALU_CYCLE_1) | instskip(SKIP_3) | instid1(VALU_DEP_2)
	s_or_b32 exec_lo, exec_lo, s4
	v_lshrrev_b16 v8, 8, v73
	v_dual_mov_b32 v61, 0 :: v_dual_mov_b32 v62, 0
	s_mov_b32 s4, exec_lo
	v_cmpx_ne_u16_e32 0, v8
	s_cbranch_execz .LBB339_602
; %bb.595:                              ;   in Loop: Header=BB339_10 Depth=1
	v_bfrev_b32_e32 v62, 1
	s_mov_b32 s20, exec_lo
	v_cmpx_ne_u16_e32 0x80, v8
	s_cbranch_execz .LBB339_601
; %bb.596:                              ;   in Loop: Header=BB339_10 Depth=1
	v_and_b32_e32 v63, 0xffff, v8
	v_mov_b32_e32 v62, 0x7fc02000
	s_mov_b32 s21, exec_lo
	s_delay_alu instid0(VALU_DEP_2) | instskip(NEXT) | instid1(VALU_DEP_1)
	v_and_b32_e32 v30, 0x7f, v63
	v_cmpx_ne_u32_e32 0x7f, v30
	s_cbranch_execz .LBB339_600
; %bb.597:                              ;   in Loop: Header=BB339_10 Depth=1
	v_and_b32_e32 v8, 7, v63
	v_lshrrev_b32_e32 v62, 3, v30
	v_cmp_gt_u32_e64 s3, 8, v30
	s_delay_alu instid0(VALU_DEP_3) | instskip(NEXT) | instid1(VALU_DEP_2)
	v_dual_mov_b32 v31, v9 :: v_dual_mov_b32 v30, v8
	s_and_saveexec_b32 s22, s3
; %bb.598:                              ;   in Loop: Header=BB339_10 Depth=1
	v_clz_i32_u32_e32 v30, v8
	s_delay_alu instid0(VALU_DEP_1) | instskip(NEXT) | instid1(VALU_DEP_1)
	v_min_u32_e32 v62, 32, v30
	v_subrev_nc_u32_e32 v30, 28, v62
	v_sub_nc_u32_e32 v62, 29, v62
	s_delay_alu instid0(VALU_DEP_2) | instskip(NEXT) | instid1(VALU_DEP_1)
	v_lshlrev_b64 v[30:31], v30, v[8:9]
	v_and_b32_e32 v30, 7, v30
; %bb.599:                              ;   in Loop: Header=BB339_10 Depth=1
	s_or_b32 exec_lo, exec_lo, s22
	v_lshlrev_b32_e32 v8, 8, v63
	v_lshl_add_u32 v31, v62, 10, 0x2000
	s_delay_alu instid0(VALU_DEP_1) | instskip(NEXT) | instid1(VALU_DEP_1)
	v_and_or_b32 v8, 0x8000, v8, v31
	v_lshl_or_b32 v8, v30, 7, v8
	s_delay_alu instid0(VALU_DEP_1)
	v_cvt_f32_f16_e32 v62, v8
.LBB339_600:                            ;   in Loop: Header=BB339_10 Depth=1
	s_or_b32 exec_lo, exec_lo, s21
.LBB339_601:                            ;   in Loop: Header=BB339_10 Depth=1
	s_delay_alu instid0(SALU_CYCLE_1)
	s_or_b32 exec_lo, exec_lo, s20
.LBB339_602:                            ;   in Loop: Header=BB339_10 Depth=1
	s_delay_alu instid0(SALU_CYCLE_1) | instskip(SKIP_2) | instid1(VALU_DEP_1)
	s_or_b32 exec_lo, exec_lo, s4
	v_lshrrev_b32_e32 v63, 16, v73
	s_mov_b32 s4, exec_lo
	v_and_b32_e32 v8, 0xff, v63
	s_delay_alu instid0(VALU_DEP_1)
	v_cmpx_ne_u16_e32 0, v8
	s_cbranch_execz .LBB339_610
; %bb.603:                              ;   in Loop: Header=BB339_10 Depth=1
	v_bfrev_b32_e32 v61, 1
	s_mov_b32 s20, exec_lo
	v_cmpx_ne_u16_e32 0x80, v8
	s_cbranch_execz .LBB339_609
; %bb.604:                              ;   in Loop: Header=BB339_10 Depth=1
	v_bfe_u32 v30, v73, 16, 7
	v_mov_b32_e32 v61, 0x7fc02000
	s_mov_b32 s21, exec_lo
	s_delay_alu instid0(VALU_DEP_2)
	v_cmpx_ne_u32_e32 0x7f, v30
	s_cbranch_execz .LBB339_608
; %bb.605:                              ;   in Loop: Header=BB339_10 Depth=1
	v_and_b32_e32 v8, 7, v63
	v_lshrrev_b32_e32 v61, 3, v30
	v_cmp_gt_u32_e64 s3, 8, v30
	s_delay_alu instid0(VALU_DEP_3) | instskip(NEXT) | instid1(VALU_DEP_2)
	v_dual_mov_b32 v31, v9 :: v_dual_mov_b32 v30, v8
	s_and_saveexec_b32 s22, s3
; %bb.606:                              ;   in Loop: Header=BB339_10 Depth=1
	v_clz_i32_u32_e32 v30, v8
	s_delay_alu instid0(VALU_DEP_1) | instskip(NEXT) | instid1(VALU_DEP_1)
	v_min_u32_e32 v61, 32, v30
	v_subrev_nc_u32_e32 v30, 28, v61
	v_sub_nc_u32_e32 v61, 29, v61
	s_delay_alu instid0(VALU_DEP_2) | instskip(NEXT) | instid1(VALU_DEP_1)
	v_lshlrev_b64 v[30:31], v30, v[8:9]
	v_and_b32_e32 v30, 7, v30
; %bb.607:                              ;   in Loop: Header=BB339_10 Depth=1
	s_or_b32 exec_lo, exec_lo, s22
	v_lshlrev_b32_e32 v8, 8, v63
	v_lshl_add_u32 v31, v61, 10, 0x2000
	s_delay_alu instid0(VALU_DEP_1) | instskip(NEXT) | instid1(VALU_DEP_1)
	v_and_or_b32 v8, 0x8000, v8, v31
	v_lshl_or_b32 v8, v30, 7, v8
	s_delay_alu instid0(VALU_DEP_1)
	v_cvt_f32_f16_e32 v61, v8
.LBB339_608:                            ;   in Loop: Header=BB339_10 Depth=1
	s_or_b32 exec_lo, exec_lo, s21
.LBB339_609:                            ;   in Loop: Header=BB339_10 Depth=1
	s_delay_alu instid0(SALU_CYCLE_1)
	s_or_b32 exec_lo, exec_lo, s20
.LBB339_610:                            ;   in Loop: Header=BB339_10 Depth=1
	s_delay_alu instid0(SALU_CYCLE_1)
	s_or_b32 exec_lo, exec_lo, s4
	v_dual_mov_b32 v72, 0 :: v_dual_mov_b32 v63, 0
	s_mov_b32 s4, exec_lo
	v_cmpx_lt_u32_e32 0xffffff, v73
	s_cbranch_execz .LBB339_618
; %bb.611:                              ;   in Loop: Header=BB339_10 Depth=1
	v_lshrrev_b32_e32 v73, 24, v73
	v_bfrev_b32_e32 v63, 1
	s_mov_b32 s20, exec_lo
	s_delay_alu instid0(VALU_DEP_2)
	v_cmpx_ne_u32_e32 0x80, v73
	s_cbranch_execz .LBB339_617
; %bb.612:                              ;   in Loop: Header=BB339_10 Depth=1
	v_and_b32_e32 v30, 0x7f, v73
	v_mov_b32_e32 v63, 0x7fc02000
	s_mov_b32 s21, exec_lo
	s_delay_alu instid0(VALU_DEP_2)
	v_cmpx_ne_u32_e32 0x7f, v30
	s_cbranch_execz .LBB339_616
; %bb.613:                              ;   in Loop: Header=BB339_10 Depth=1
	v_and_b32_e32 v8, 7, v73
	v_lshrrev_b32_e32 v63, 3, v30
	v_cmp_gt_u32_e64 s3, 8, v30
	s_delay_alu instid0(VALU_DEP_3) | instskip(NEXT) | instid1(VALU_DEP_2)
	v_dual_mov_b32 v31, v9 :: v_dual_mov_b32 v30, v8
	s_and_saveexec_b32 s22, s3
; %bb.614:                              ;   in Loop: Header=BB339_10 Depth=1
	v_clz_i32_u32_e32 v30, v8
	s_delay_alu instid0(VALU_DEP_1) | instskip(NEXT) | instid1(VALU_DEP_1)
	v_min_u32_e32 v63, 32, v30
	v_subrev_nc_u32_e32 v30, 28, v63
	v_sub_nc_u32_e32 v63, 29, v63
	s_delay_alu instid0(VALU_DEP_2) | instskip(NEXT) | instid1(VALU_DEP_1)
	v_lshlrev_b64 v[30:31], v30, v[8:9]
	v_and_b32_e32 v30, 7, v30
; %bb.615:                              ;   in Loop: Header=BB339_10 Depth=1
	s_or_b32 exec_lo, exec_lo, s22
	v_lshlrev_b32_e32 v8, 8, v73
	v_lshl_add_u32 v31, v63, 10, 0x2000
	s_delay_alu instid0(VALU_DEP_1) | instskip(NEXT) | instid1(VALU_DEP_1)
	v_and_or_b32 v8, 0x8000, v8, v31
	v_lshl_or_b32 v8, v30, 7, v8
	s_delay_alu instid0(VALU_DEP_1)
	v_cvt_f32_f16_e32 v63, v8
.LBB339_616:                            ;   in Loop: Header=BB339_10 Depth=1
	s_or_b32 exec_lo, exec_lo, s21
.LBB339_617:                            ;   in Loop: Header=BB339_10 Depth=1
	s_delay_alu instid0(SALU_CYCLE_1)
	s_or_b32 exec_lo, exec_lo, s20
.LBB339_618:                            ;   in Loop: Header=BB339_10 Depth=1
	s_delay_alu instid0(SALU_CYCLE_1) | instskip(SKIP_4) | instid1(VALU_DEP_1)
	s_or_b32 exec_lo, exec_lo, s4
	flat_load_b32 v77, v[28:29] offset:2312
	s_mov_b32 s4, exec_lo
	s_waitcnt vmcnt(0) lgkmcnt(0)
	v_and_b32_e32 v8, 0xff, v77
	v_cmpx_ne_u16_e32 0, v8
	s_cbranch_execz .LBB339_626
; %bb.619:                              ;   in Loop: Header=BB339_10 Depth=1
	v_bfrev_b32_e32 v72, 1
	s_mov_b32 s20, exec_lo
	v_cmpx_ne_u16_e32 0x80, v8
	s_cbranch_execz .LBB339_625
; %bb.620:                              ;   in Loop: Header=BB339_10 Depth=1
	v_and_b32_e32 v30, 0x7f, v77
	v_mov_b32_e32 v72, 0x7fc02000
	s_mov_b32 s21, exec_lo
	s_delay_alu instid0(VALU_DEP_2)
	v_cmpx_ne_u32_e32 0x7f, v30
	s_cbranch_execz .LBB339_624
; %bb.621:                              ;   in Loop: Header=BB339_10 Depth=1
	v_and_b32_e32 v8, 7, v77
	v_lshrrev_b32_e32 v72, 3, v30
	v_cmp_gt_u32_e64 s3, 8, v30
	s_delay_alu instid0(VALU_DEP_3) | instskip(NEXT) | instid1(VALU_DEP_2)
	v_dual_mov_b32 v31, v9 :: v_dual_mov_b32 v30, v8
	s_and_saveexec_b32 s22, s3
; %bb.622:                              ;   in Loop: Header=BB339_10 Depth=1
	v_clz_i32_u32_e32 v30, v8
	s_delay_alu instid0(VALU_DEP_1) | instskip(NEXT) | instid1(VALU_DEP_1)
	v_min_u32_e32 v72, 32, v30
	v_subrev_nc_u32_e32 v30, 28, v72
	v_sub_nc_u32_e32 v72, 29, v72
	s_delay_alu instid0(VALU_DEP_2) | instskip(NEXT) | instid1(VALU_DEP_1)
	v_lshlrev_b64 v[30:31], v30, v[8:9]
	v_and_b32_e32 v30, 7, v30
; %bb.623:                              ;   in Loop: Header=BB339_10 Depth=1
	s_or_b32 exec_lo, exec_lo, s22
	v_lshlrev_b32_e32 v8, 8, v77
	v_lshl_add_u32 v31, v72, 10, 0x2000
	s_delay_alu instid0(VALU_DEP_1) | instskip(NEXT) | instid1(VALU_DEP_1)
	v_and_or_b32 v8, 0x8000, v8, v31
	v_lshl_or_b32 v8, v30, 7, v8
	s_delay_alu instid0(VALU_DEP_1)
	v_cvt_f32_f16_e32 v72, v8
.LBB339_624:                            ;   in Loop: Header=BB339_10 Depth=1
	s_or_b32 exec_lo, exec_lo, s21
.LBB339_625:                            ;   in Loop: Header=BB339_10 Depth=1
	s_delay_alu instid0(SALU_CYCLE_1)
	s_or_b32 exec_lo, exec_lo, s20
.LBB339_626:                            ;   in Loop: Header=BB339_10 Depth=1
	s_delay_alu instid0(SALU_CYCLE_1) | instskip(SKIP_3) | instid1(VALU_DEP_2)
	s_or_b32 exec_lo, exec_lo, s4
	v_lshrrev_b16 v8, 8, v77
	v_dual_mov_b32 v73, 0 :: v_dual_mov_b32 v74, 0
	s_mov_b32 s4, exec_lo
	v_cmpx_ne_u16_e32 0, v8
	s_cbranch_execz .LBB339_634
; %bb.627:                              ;   in Loop: Header=BB339_10 Depth=1
	v_bfrev_b32_e32 v74, 1
	s_mov_b32 s20, exec_lo
	v_cmpx_ne_u16_e32 0x80, v8
	s_cbranch_execz .LBB339_633
; %bb.628:                              ;   in Loop: Header=BB339_10 Depth=1
	v_and_b32_e32 v75, 0xffff, v8
	v_mov_b32_e32 v74, 0x7fc02000
	s_mov_b32 s21, exec_lo
	s_delay_alu instid0(VALU_DEP_2) | instskip(NEXT) | instid1(VALU_DEP_1)
	v_and_b32_e32 v30, 0x7f, v75
	v_cmpx_ne_u32_e32 0x7f, v30
	s_cbranch_execz .LBB339_632
; %bb.629:                              ;   in Loop: Header=BB339_10 Depth=1
	v_and_b32_e32 v8, 7, v75
	v_lshrrev_b32_e32 v74, 3, v30
	v_cmp_gt_u32_e64 s3, 8, v30
	s_delay_alu instid0(VALU_DEP_3) | instskip(NEXT) | instid1(VALU_DEP_2)
	v_dual_mov_b32 v31, v9 :: v_dual_mov_b32 v30, v8
	s_and_saveexec_b32 s22, s3
; %bb.630:                              ;   in Loop: Header=BB339_10 Depth=1
	v_clz_i32_u32_e32 v30, v8
	s_delay_alu instid0(VALU_DEP_1) | instskip(NEXT) | instid1(VALU_DEP_1)
	v_min_u32_e32 v74, 32, v30
	v_subrev_nc_u32_e32 v30, 28, v74
	v_sub_nc_u32_e32 v74, 29, v74
	s_delay_alu instid0(VALU_DEP_2) | instskip(NEXT) | instid1(VALU_DEP_1)
	v_lshlrev_b64 v[30:31], v30, v[8:9]
	v_and_b32_e32 v30, 7, v30
; %bb.631:                              ;   in Loop: Header=BB339_10 Depth=1
	s_or_b32 exec_lo, exec_lo, s22
	v_lshlrev_b32_e32 v8, 8, v75
	v_lshl_add_u32 v31, v74, 10, 0x2000
	s_delay_alu instid0(VALU_DEP_1) | instskip(NEXT) | instid1(VALU_DEP_1)
	v_and_or_b32 v8, 0x8000, v8, v31
	v_lshl_or_b32 v8, v30, 7, v8
	s_delay_alu instid0(VALU_DEP_1)
	v_cvt_f32_f16_e32 v74, v8
.LBB339_632:                            ;   in Loop: Header=BB339_10 Depth=1
	s_or_b32 exec_lo, exec_lo, s21
.LBB339_633:                            ;   in Loop: Header=BB339_10 Depth=1
	s_delay_alu instid0(SALU_CYCLE_1)
	s_or_b32 exec_lo, exec_lo, s20
.LBB339_634:                            ;   in Loop: Header=BB339_10 Depth=1
	s_delay_alu instid0(SALU_CYCLE_1) | instskip(SKIP_2) | instid1(VALU_DEP_1)
	s_or_b32 exec_lo, exec_lo, s4
	v_lshrrev_b32_e32 v75, 16, v77
	s_mov_b32 s4, exec_lo
	v_and_b32_e32 v8, 0xff, v75
	s_delay_alu instid0(VALU_DEP_1)
	v_cmpx_ne_u16_e32 0, v8
	s_cbranch_execz .LBB339_642
; %bb.635:                              ;   in Loop: Header=BB339_10 Depth=1
	v_bfrev_b32_e32 v73, 1
	s_mov_b32 s20, exec_lo
	v_cmpx_ne_u16_e32 0x80, v8
	s_cbranch_execz .LBB339_641
; %bb.636:                              ;   in Loop: Header=BB339_10 Depth=1
	v_bfe_u32 v30, v77, 16, 7
	v_mov_b32_e32 v73, 0x7fc02000
	s_mov_b32 s21, exec_lo
	s_delay_alu instid0(VALU_DEP_2)
	v_cmpx_ne_u32_e32 0x7f, v30
	s_cbranch_execz .LBB339_640
; %bb.637:                              ;   in Loop: Header=BB339_10 Depth=1
	v_and_b32_e32 v8, 7, v75
	v_lshrrev_b32_e32 v73, 3, v30
	v_cmp_gt_u32_e64 s3, 8, v30
	s_delay_alu instid0(VALU_DEP_3) | instskip(NEXT) | instid1(VALU_DEP_2)
	v_dual_mov_b32 v31, v9 :: v_dual_mov_b32 v30, v8
	s_and_saveexec_b32 s22, s3
; %bb.638:                              ;   in Loop: Header=BB339_10 Depth=1
	v_clz_i32_u32_e32 v30, v8
	s_delay_alu instid0(VALU_DEP_1) | instskip(NEXT) | instid1(VALU_DEP_1)
	v_min_u32_e32 v73, 32, v30
	v_subrev_nc_u32_e32 v30, 28, v73
	v_sub_nc_u32_e32 v73, 29, v73
	s_delay_alu instid0(VALU_DEP_2) | instskip(NEXT) | instid1(VALU_DEP_1)
	v_lshlrev_b64 v[30:31], v30, v[8:9]
	v_and_b32_e32 v30, 7, v30
; %bb.639:                              ;   in Loop: Header=BB339_10 Depth=1
	s_or_b32 exec_lo, exec_lo, s22
	v_lshlrev_b32_e32 v8, 8, v75
	v_lshl_add_u32 v31, v73, 10, 0x2000
	s_delay_alu instid0(VALU_DEP_1) | instskip(NEXT) | instid1(VALU_DEP_1)
	v_and_or_b32 v8, 0x8000, v8, v31
	v_lshl_or_b32 v8, v30, 7, v8
	s_delay_alu instid0(VALU_DEP_1)
	v_cvt_f32_f16_e32 v73, v8
.LBB339_640:                            ;   in Loop: Header=BB339_10 Depth=1
	s_or_b32 exec_lo, exec_lo, s21
.LBB339_641:                            ;   in Loop: Header=BB339_10 Depth=1
	s_delay_alu instid0(SALU_CYCLE_1)
	s_or_b32 exec_lo, exec_lo, s20
.LBB339_642:                            ;   in Loop: Header=BB339_10 Depth=1
	s_delay_alu instid0(SALU_CYCLE_1)
	s_or_b32 exec_lo, exec_lo, s4
	v_dual_mov_b32 v76, 0 :: v_dual_mov_b32 v75, 0
	s_mov_b32 s4, exec_lo
	v_cmpx_lt_u32_e32 0xffffff, v77
	s_cbranch_execz .LBB339_650
; %bb.643:                              ;   in Loop: Header=BB339_10 Depth=1
	v_lshrrev_b32_e32 v77, 24, v77
	v_bfrev_b32_e32 v75, 1
	s_mov_b32 s20, exec_lo
	s_delay_alu instid0(VALU_DEP_2)
	v_cmpx_ne_u32_e32 0x80, v77
	s_cbranch_execz .LBB339_649
; %bb.644:                              ;   in Loop: Header=BB339_10 Depth=1
	v_and_b32_e32 v30, 0x7f, v77
	v_mov_b32_e32 v75, 0x7fc02000
	s_mov_b32 s21, exec_lo
	s_delay_alu instid0(VALU_DEP_2)
	v_cmpx_ne_u32_e32 0x7f, v30
	s_cbranch_execz .LBB339_648
; %bb.645:                              ;   in Loop: Header=BB339_10 Depth=1
	v_and_b32_e32 v8, 7, v77
	v_lshrrev_b32_e32 v75, 3, v30
	v_cmp_gt_u32_e64 s3, 8, v30
	s_delay_alu instid0(VALU_DEP_3) | instskip(NEXT) | instid1(VALU_DEP_2)
	v_dual_mov_b32 v31, v9 :: v_dual_mov_b32 v30, v8
	s_and_saveexec_b32 s22, s3
; %bb.646:                              ;   in Loop: Header=BB339_10 Depth=1
	v_clz_i32_u32_e32 v30, v8
	s_delay_alu instid0(VALU_DEP_1) | instskip(NEXT) | instid1(VALU_DEP_1)
	v_min_u32_e32 v75, 32, v30
	v_subrev_nc_u32_e32 v30, 28, v75
	v_sub_nc_u32_e32 v75, 29, v75
	s_delay_alu instid0(VALU_DEP_2) | instskip(NEXT) | instid1(VALU_DEP_1)
	v_lshlrev_b64 v[30:31], v30, v[8:9]
	v_and_b32_e32 v30, 7, v30
; %bb.647:                              ;   in Loop: Header=BB339_10 Depth=1
	s_or_b32 exec_lo, exec_lo, s22
	v_lshlrev_b32_e32 v8, 8, v77
	v_lshl_add_u32 v31, v75, 10, 0x2000
	s_delay_alu instid0(VALU_DEP_1) | instskip(NEXT) | instid1(VALU_DEP_1)
	v_and_or_b32 v8, 0x8000, v8, v31
	v_lshl_or_b32 v8, v30, 7, v8
	s_delay_alu instid0(VALU_DEP_1)
	v_cvt_f32_f16_e32 v75, v8
.LBB339_648:                            ;   in Loop: Header=BB339_10 Depth=1
	s_or_b32 exec_lo, exec_lo, s21
.LBB339_649:                            ;   in Loop: Header=BB339_10 Depth=1
	s_delay_alu instid0(SALU_CYCLE_1)
	s_or_b32 exec_lo, exec_lo, s20
.LBB339_650:                            ;   in Loop: Header=BB339_10 Depth=1
	s_delay_alu instid0(SALU_CYCLE_1) | instskip(SKIP_4) | instid1(VALU_DEP_1)
	s_or_b32 exec_lo, exec_lo, s4
	flat_load_b32 v77, v[28:29] offset:2560
	s_mov_b32 s4, exec_lo
	s_waitcnt vmcnt(0) lgkmcnt(0)
	v_and_b32_e32 v8, 0xff, v77
	v_cmpx_ne_u16_e32 0, v8
	s_cbranch_execz .LBB339_658
; %bb.651:                              ;   in Loop: Header=BB339_10 Depth=1
	v_bfrev_b32_e32 v76, 1
	s_mov_b32 s20, exec_lo
	v_cmpx_ne_u16_e32 0x80, v8
	s_cbranch_execz .LBB339_657
; %bb.652:                              ;   in Loop: Header=BB339_10 Depth=1
	v_and_b32_e32 v30, 0x7f, v77
	v_mov_b32_e32 v76, 0x7fc02000
	s_mov_b32 s21, exec_lo
	s_delay_alu instid0(VALU_DEP_2)
	v_cmpx_ne_u32_e32 0x7f, v30
	s_cbranch_execz .LBB339_656
; %bb.653:                              ;   in Loop: Header=BB339_10 Depth=1
	v_and_b32_e32 v8, 7, v77
	v_lshrrev_b32_e32 v76, 3, v30
	v_cmp_gt_u32_e64 s3, 8, v30
	s_delay_alu instid0(VALU_DEP_3) | instskip(NEXT) | instid1(VALU_DEP_2)
	v_dual_mov_b32 v31, v9 :: v_dual_mov_b32 v30, v8
	s_and_saveexec_b32 s22, s3
; %bb.654:                              ;   in Loop: Header=BB339_10 Depth=1
	v_clz_i32_u32_e32 v30, v8
	s_delay_alu instid0(VALU_DEP_1) | instskip(NEXT) | instid1(VALU_DEP_1)
	v_min_u32_e32 v76, 32, v30
	v_subrev_nc_u32_e32 v30, 28, v76
	v_sub_nc_u32_e32 v76, 29, v76
	s_delay_alu instid0(VALU_DEP_2) | instskip(NEXT) | instid1(VALU_DEP_1)
	v_lshlrev_b64 v[30:31], v30, v[8:9]
	v_and_b32_e32 v30, 7, v30
; %bb.655:                              ;   in Loop: Header=BB339_10 Depth=1
	s_or_b32 exec_lo, exec_lo, s22
	v_lshlrev_b32_e32 v8, 8, v77
	v_lshl_add_u32 v31, v76, 10, 0x2000
	s_delay_alu instid0(VALU_DEP_1) | instskip(NEXT) | instid1(VALU_DEP_1)
	v_and_or_b32 v8, 0x8000, v8, v31
	v_lshl_or_b32 v8, v30, 7, v8
	s_delay_alu instid0(VALU_DEP_1)
	v_cvt_f32_f16_e32 v76, v8
.LBB339_656:                            ;   in Loop: Header=BB339_10 Depth=1
	s_or_b32 exec_lo, exec_lo, s21
.LBB339_657:                            ;   in Loop: Header=BB339_10 Depth=1
	s_delay_alu instid0(SALU_CYCLE_1)
	s_or_b32 exec_lo, exec_lo, s20
.LBB339_658:                            ;   in Loop: Header=BB339_10 Depth=1
	s_delay_alu instid0(SALU_CYCLE_1) | instskip(SKIP_3) | instid1(VALU_DEP_2)
	s_or_b32 exec_lo, exec_lo, s4
	v_lshrrev_b16 v8, 8, v77
	v_dual_mov_b32 v90, 0 :: v_dual_mov_b32 v91, 0
	s_mov_b32 s4, exec_lo
	v_cmpx_ne_u16_e32 0, v8
	s_cbranch_execz .LBB339_666
; %bb.659:                              ;   in Loop: Header=BB339_10 Depth=1
	v_bfrev_b32_e32 v91, 1
	s_mov_b32 s20, exec_lo
	v_cmpx_ne_u16_e32 0x80, v8
	s_cbranch_execz .LBB339_665
; %bb.660:                              ;   in Loop: Header=BB339_10 Depth=1
	v_and_b32_e32 v78, 0xffff, v8
	v_mov_b32_e32 v91, 0x7fc02000
	s_mov_b32 s21, exec_lo
	s_delay_alu instid0(VALU_DEP_2) | instskip(NEXT) | instid1(VALU_DEP_1)
	v_and_b32_e32 v30, 0x7f, v78
	v_cmpx_ne_u32_e32 0x7f, v30
	s_cbranch_execz .LBB339_664
; %bb.661:                              ;   in Loop: Header=BB339_10 Depth=1
	v_and_b32_e32 v8, 7, v78
	v_lshrrev_b32_e32 v79, 3, v30
	v_cmp_gt_u32_e64 s3, 8, v30
	s_delay_alu instid0(VALU_DEP_3) | instskip(NEXT) | instid1(VALU_DEP_2)
	v_dual_mov_b32 v31, v9 :: v_dual_mov_b32 v30, v8
	s_and_saveexec_b32 s22, s3
; %bb.662:                              ;   in Loop: Header=BB339_10 Depth=1
	v_clz_i32_u32_e32 v30, v8
	s_delay_alu instid0(VALU_DEP_1) | instskip(NEXT) | instid1(VALU_DEP_1)
	v_min_u32_e32 v79, 32, v30
	v_subrev_nc_u32_e32 v30, 28, v79
	v_sub_nc_u32_e32 v79, 29, v79
	s_delay_alu instid0(VALU_DEP_2) | instskip(NEXT) | instid1(VALU_DEP_1)
	v_lshlrev_b64 v[30:31], v30, v[8:9]
	v_and_b32_e32 v30, 7, v30
; %bb.663:                              ;   in Loop: Header=BB339_10 Depth=1
	s_or_b32 exec_lo, exec_lo, s22
	v_lshlrev_b32_e32 v8, 8, v78
	v_lshl_add_u32 v31, v79, 10, 0x2000
	s_delay_alu instid0(VALU_DEP_1) | instskip(NEXT) | instid1(VALU_DEP_1)
	v_and_or_b32 v8, 0x8000, v8, v31
	v_lshl_or_b32 v8, v30, 7, v8
	s_delay_alu instid0(VALU_DEP_1)
	v_cvt_f32_f16_e32 v91, v8
.LBB339_664:                            ;   in Loop: Header=BB339_10 Depth=1
	s_or_b32 exec_lo, exec_lo, s21
.LBB339_665:                            ;   in Loop: Header=BB339_10 Depth=1
	s_delay_alu instid0(SALU_CYCLE_1)
	s_or_b32 exec_lo, exec_lo, s20
.LBB339_666:                            ;   in Loop: Header=BB339_10 Depth=1
	s_delay_alu instid0(SALU_CYCLE_1) | instskip(SKIP_2) | instid1(VALU_DEP_1)
	s_or_b32 exec_lo, exec_lo, s4
	v_lshrrev_b32_e32 v78, 16, v77
	s_mov_b32 s4, exec_lo
	v_and_b32_e32 v8, 0xff, v78
	s_delay_alu instid0(VALU_DEP_1)
	v_cmpx_ne_u16_e32 0, v8
	s_cbranch_execz .LBB339_674
; %bb.667:                              ;   in Loop: Header=BB339_10 Depth=1
	v_bfrev_b32_e32 v90, 1
	s_mov_b32 s20, exec_lo
	v_cmpx_ne_u16_e32 0x80, v8
	s_cbranch_execz .LBB339_673
; %bb.668:                              ;   in Loop: Header=BB339_10 Depth=1
	v_bfe_u32 v30, v77, 16, 7
	v_mov_b32_e32 v90, 0x7fc02000
	s_mov_b32 s21, exec_lo
	s_delay_alu instid0(VALU_DEP_2)
	v_cmpx_ne_u32_e32 0x7f, v30
	s_cbranch_execz .LBB339_672
; %bb.669:                              ;   in Loop: Header=BB339_10 Depth=1
	v_and_b32_e32 v8, 7, v78
	v_lshrrev_b32_e32 v79, 3, v30
	v_cmp_gt_u32_e64 s3, 8, v30
	s_delay_alu instid0(VALU_DEP_3) | instskip(NEXT) | instid1(VALU_DEP_2)
	v_dual_mov_b32 v31, v9 :: v_dual_mov_b32 v30, v8
	s_and_saveexec_b32 s22, s3
; %bb.670:                              ;   in Loop: Header=BB339_10 Depth=1
	v_clz_i32_u32_e32 v30, v8
	s_delay_alu instid0(VALU_DEP_1) | instskip(NEXT) | instid1(VALU_DEP_1)
	v_min_u32_e32 v79, 32, v30
	v_subrev_nc_u32_e32 v30, 28, v79
	v_sub_nc_u32_e32 v79, 29, v79
	s_delay_alu instid0(VALU_DEP_2) | instskip(NEXT) | instid1(VALU_DEP_1)
	v_lshlrev_b64 v[30:31], v30, v[8:9]
	v_and_b32_e32 v30, 7, v30
; %bb.671:                              ;   in Loop: Header=BB339_10 Depth=1
	s_or_b32 exec_lo, exec_lo, s22
	v_lshlrev_b32_e32 v8, 8, v78
	v_lshl_add_u32 v31, v79, 10, 0x2000
	s_delay_alu instid0(VALU_DEP_1) | instskip(NEXT) | instid1(VALU_DEP_1)
	v_and_or_b32 v8, 0x8000, v8, v31
	v_lshl_or_b32 v8, v30, 7, v8
	s_delay_alu instid0(VALU_DEP_1)
	v_cvt_f32_f16_e32 v90, v8
.LBB339_672:                            ;   in Loop: Header=BB339_10 Depth=1
	s_or_b32 exec_lo, exec_lo, s21
.LBB339_673:                            ;   in Loop: Header=BB339_10 Depth=1
	s_delay_alu instid0(SALU_CYCLE_1)
	s_or_b32 exec_lo, exec_lo, s20
.LBB339_674:                            ;   in Loop: Header=BB339_10 Depth=1
	s_delay_alu instid0(SALU_CYCLE_1)
	s_or_b32 exec_lo, exec_lo, s4
	v_dual_mov_b32 v105, 0 :: v_dual_mov_b32 v104, 0
	s_mov_b32 s4, exec_lo
	v_cmpx_lt_u32_e32 0xffffff, v77
	s_cbranch_execz .LBB339_682
; %bb.675:                              ;   in Loop: Header=BB339_10 Depth=1
	v_lshrrev_b32_e32 v77, 24, v77
	v_bfrev_b32_e32 v104, 1
	s_mov_b32 s20, exec_lo
	s_delay_alu instid0(VALU_DEP_2)
	v_cmpx_ne_u32_e32 0x80, v77
	s_cbranch_execz .LBB339_681
; %bb.676:                              ;   in Loop: Header=BB339_10 Depth=1
	v_and_b32_e32 v30, 0x7f, v77
	v_mov_b32_e32 v104, 0x7fc02000
	s_mov_b32 s21, exec_lo
	s_delay_alu instid0(VALU_DEP_2)
	v_cmpx_ne_u32_e32 0x7f, v30
	s_cbranch_execz .LBB339_680
; %bb.677:                              ;   in Loop: Header=BB339_10 Depth=1
	v_and_b32_e32 v8, 7, v77
	v_lshrrev_b32_e32 v78, 3, v30
	v_cmp_gt_u32_e64 s3, 8, v30
	s_delay_alu instid0(VALU_DEP_3) | instskip(NEXT) | instid1(VALU_DEP_2)
	v_dual_mov_b32 v31, v9 :: v_dual_mov_b32 v30, v8
	s_and_saveexec_b32 s22, s3
; %bb.678:                              ;   in Loop: Header=BB339_10 Depth=1
	v_clz_i32_u32_e32 v30, v8
	s_delay_alu instid0(VALU_DEP_1) | instskip(NEXT) | instid1(VALU_DEP_1)
	v_min_u32_e32 v78, 32, v30
	v_subrev_nc_u32_e32 v30, 28, v78
	v_sub_nc_u32_e32 v78, 29, v78
	s_delay_alu instid0(VALU_DEP_2) | instskip(NEXT) | instid1(VALU_DEP_1)
	v_lshlrev_b64 v[30:31], v30, v[8:9]
	v_and_b32_e32 v30, 7, v30
; %bb.679:                              ;   in Loop: Header=BB339_10 Depth=1
	s_or_b32 exec_lo, exec_lo, s22
	v_lshlrev_b32_e32 v8, 8, v77
	v_lshl_add_u32 v31, v78, 10, 0x2000
	s_delay_alu instid0(VALU_DEP_1) | instskip(NEXT) | instid1(VALU_DEP_1)
	v_and_or_b32 v8, 0x8000, v8, v31
	v_lshl_or_b32 v8, v30, 7, v8
	s_delay_alu instid0(VALU_DEP_1)
	v_cvt_f32_f16_e32 v104, v8
.LBB339_680:                            ;   in Loop: Header=BB339_10 Depth=1
	s_or_b32 exec_lo, exec_lo, s21
.LBB339_681:                            ;   in Loop: Header=BB339_10 Depth=1
	s_delay_alu instid0(SALU_CYCLE_1)
	s_or_b32 exec_lo, exec_lo, s20
.LBB339_682:                            ;   in Loop: Header=BB339_10 Depth=1
	s_delay_alu instid0(SALU_CYCLE_1) | instskip(SKIP_4) | instid1(VALU_DEP_1)
	s_or_b32 exec_lo, exec_lo, s4
	flat_load_b32 v77, v[28:29] offset:2568
	s_mov_b32 s4, exec_lo
	s_waitcnt vmcnt(0) lgkmcnt(0)
	v_and_b32_e32 v8, 0xff, v77
	v_cmpx_ne_u16_e32 0, v8
	s_cbranch_execz .LBB339_690
; %bb.683:                              ;   in Loop: Header=BB339_10 Depth=1
	v_bfrev_b32_e32 v105, 1
	s_mov_b32 s20, exec_lo
	v_cmpx_ne_u16_e32 0x80, v8
	s_cbranch_execz .LBB339_689
; %bb.684:                              ;   in Loop: Header=BB339_10 Depth=1
	v_and_b32_e32 v30, 0x7f, v77
	v_mov_b32_e32 v105, 0x7fc02000
	s_mov_b32 s21, exec_lo
	s_delay_alu instid0(VALU_DEP_2)
	v_cmpx_ne_u32_e32 0x7f, v30
	s_cbranch_execz .LBB339_688
; %bb.685:                              ;   in Loop: Header=BB339_10 Depth=1
	v_and_b32_e32 v8, 7, v77
	v_lshrrev_b32_e32 v78, 3, v30
	v_cmp_gt_u32_e64 s3, 8, v30
	s_delay_alu instid0(VALU_DEP_3) | instskip(NEXT) | instid1(VALU_DEP_2)
	v_dual_mov_b32 v31, v9 :: v_dual_mov_b32 v30, v8
	s_and_saveexec_b32 s22, s3
; %bb.686:                              ;   in Loop: Header=BB339_10 Depth=1
	v_clz_i32_u32_e32 v30, v8
	s_delay_alu instid0(VALU_DEP_1) | instskip(NEXT) | instid1(VALU_DEP_1)
	v_min_u32_e32 v78, 32, v30
	v_subrev_nc_u32_e32 v30, 28, v78
	v_sub_nc_u32_e32 v78, 29, v78
	s_delay_alu instid0(VALU_DEP_2) | instskip(NEXT) | instid1(VALU_DEP_1)
	v_lshlrev_b64 v[30:31], v30, v[8:9]
	v_and_b32_e32 v30, 7, v30
; %bb.687:                              ;   in Loop: Header=BB339_10 Depth=1
	s_or_b32 exec_lo, exec_lo, s22
	v_lshlrev_b32_e32 v8, 8, v77
	v_lshl_add_u32 v31, v78, 10, 0x2000
	s_delay_alu instid0(VALU_DEP_1) | instskip(NEXT) | instid1(VALU_DEP_1)
	v_and_or_b32 v8, 0x8000, v8, v31
	v_lshl_or_b32 v8, v30, 7, v8
	s_delay_alu instid0(VALU_DEP_1)
	v_cvt_f32_f16_e32 v105, v8
.LBB339_688:                            ;   in Loop: Header=BB339_10 Depth=1
	s_or_b32 exec_lo, exec_lo, s21
.LBB339_689:                            ;   in Loop: Header=BB339_10 Depth=1
	s_delay_alu instid0(SALU_CYCLE_1)
	s_or_b32 exec_lo, exec_lo, s20
.LBB339_690:                            ;   in Loop: Header=BB339_10 Depth=1
	s_delay_alu instid0(SALU_CYCLE_1) | instskip(SKIP_4) | instid1(VALU_DEP_3)
	s_or_b32 exec_lo, exec_lo, s4
	v_lshrrev_b16 v8, 8, v77
	v_mov_b32_e32 v120, 0
	v_mov_b32_e32 v122, 0
	s_mov_b32 s4, exec_lo
	v_cmpx_ne_u16_e32 0, v8
	s_cbranch_execz .LBB339_698
; %bb.691:                              ;   in Loop: Header=BB339_10 Depth=1
	v_bfrev_b32_e32 v122, 1
	s_mov_b32 s20, exec_lo
	v_cmpx_ne_u16_e32 0x80, v8
	s_cbranch_execz .LBB339_697
; %bb.692:                              ;   in Loop: Header=BB339_10 Depth=1
	v_and_b32_e32 v78, 0xffff, v8
	v_mov_b32_e32 v122, 0x7fc02000
	s_mov_b32 s21, exec_lo
	s_delay_alu instid0(VALU_DEP_2) | instskip(NEXT) | instid1(VALU_DEP_1)
	v_and_b32_e32 v88, 0x7f, v78
	v_cmpx_ne_u32_e32 0x7f, v88
	s_cbranch_execz .LBB339_696
; %bb.693:                              ;   in Loop: Header=BB339_10 Depth=1
	v_and_b32_e32 v8, 7, v78
	v_lshrrev_b32_e32 v79, 3, v88
	v_mov_b32_e32 v31, v9
	s_mov_b32 s22, exec_lo
	s_delay_alu instid0(VALU_DEP_3)
	v_mov_b32_e32 v30, v8
	v_cmpx_gt_u32_e32 8, v88
; %bb.694:                              ;   in Loop: Header=BB339_10 Depth=1
	v_clz_i32_u32_e32 v30, v8
	s_delay_alu instid0(VALU_DEP_1) | instskip(NEXT) | instid1(VALU_DEP_1)
	v_min_u32_e32 v79, 32, v30
	v_subrev_nc_u32_e32 v30, 28, v79
	v_sub_nc_u32_e32 v79, 29, v79
	s_delay_alu instid0(VALU_DEP_2) | instskip(NEXT) | instid1(VALU_DEP_1)
	v_lshlrev_b64 v[30:31], v30, v[8:9]
	v_and_b32_e32 v30, 7, v30
; %bb.695:                              ;   in Loop: Header=BB339_10 Depth=1
	s_or_b32 exec_lo, exec_lo, s22
	v_lshlrev_b32_e32 v8, 8, v78
	v_lshl_add_u32 v31, v79, 10, 0x2000
	s_delay_alu instid0(VALU_DEP_1) | instskip(NEXT) | instid1(VALU_DEP_1)
	v_and_or_b32 v8, 0x8000, v8, v31
	v_lshl_or_b32 v8, v30, 7, v8
	s_delay_alu instid0(VALU_DEP_1)
	v_cvt_f32_f16_e32 v122, v8
.LBB339_696:                            ;   in Loop: Header=BB339_10 Depth=1
	s_or_b32 exec_lo, exec_lo, s21
.LBB339_697:                            ;   in Loop: Header=BB339_10 Depth=1
	s_delay_alu instid0(SALU_CYCLE_1)
	s_or_b32 exec_lo, exec_lo, s20
.LBB339_698:                            ;   in Loop: Header=BB339_10 Depth=1
	s_delay_alu instid0(SALU_CYCLE_1) | instskip(SKIP_2) | instid1(VALU_DEP_1)
	s_or_b32 exec_lo, exec_lo, s4
	v_lshrrev_b32_e32 v78, 16, v77
	s_mov_b32 s4, exec_lo
	v_and_b32_e32 v8, 0xff, v78
	s_delay_alu instid0(VALU_DEP_1)
	v_cmpx_ne_u16_e32 0, v8
	s_cbranch_execz .LBB339_706
; %bb.699:                              ;   in Loop: Header=BB339_10 Depth=1
	v_bfrev_b32_e32 v120, 1
	s_mov_b32 s20, exec_lo
	v_cmpx_ne_u16_e32 0x80, v8
	s_cbranch_execz .LBB339_705
; %bb.700:                              ;   in Loop: Header=BB339_10 Depth=1
	v_bfe_u32 v88, v77, 16, 7
	v_mov_b32_e32 v120, 0x7fc02000
	s_mov_b32 s21, exec_lo
	s_delay_alu instid0(VALU_DEP_2)
	v_cmpx_ne_u32_e32 0x7f, v88
	s_cbranch_execz .LBB339_704
; %bb.701:                              ;   in Loop: Header=BB339_10 Depth=1
	v_and_b32_e32 v8, 7, v78
	v_lshrrev_b32_e32 v79, 3, v88
	v_mov_b32_e32 v31, v9
	s_mov_b32 s22, exec_lo
	s_delay_alu instid0(VALU_DEP_3)
	v_mov_b32_e32 v30, v8
	v_cmpx_gt_u32_e32 8, v88
; %bb.702:                              ;   in Loop: Header=BB339_10 Depth=1
	v_clz_i32_u32_e32 v30, v8
	s_delay_alu instid0(VALU_DEP_1) | instskip(NEXT) | instid1(VALU_DEP_1)
	v_min_u32_e32 v79, 32, v30
	v_subrev_nc_u32_e32 v30, 28, v79
	v_sub_nc_u32_e32 v79, 29, v79
	s_delay_alu instid0(VALU_DEP_2) | instskip(NEXT) | instid1(VALU_DEP_1)
	v_lshlrev_b64 v[30:31], v30, v[8:9]
	v_and_b32_e32 v30, 7, v30
; %bb.703:                              ;   in Loop: Header=BB339_10 Depth=1
	s_or_b32 exec_lo, exec_lo, s22
	v_lshlrev_b32_e32 v8, 8, v78
	v_lshl_add_u32 v31, v79, 10, 0x2000
	s_delay_alu instid0(VALU_DEP_1) | instskip(NEXT) | instid1(VALU_DEP_1)
	v_and_or_b32 v8, 0x8000, v8, v31
	v_lshl_or_b32 v8, v30, 7, v8
	s_delay_alu instid0(VALU_DEP_1)
	v_cvt_f32_f16_e32 v120, v8
.LBB339_704:                            ;   in Loop: Header=BB339_10 Depth=1
	s_or_b32 exec_lo, exec_lo, s21
.LBB339_705:                            ;   in Loop: Header=BB339_10 Depth=1
	s_delay_alu instid0(SALU_CYCLE_1)
	s_or_b32 exec_lo, exec_lo, s20
.LBB339_706:                            ;   in Loop: Header=BB339_10 Depth=1
	s_delay_alu instid0(SALU_CYCLE_1)
	s_or_b32 exec_lo, exec_lo, s4
	v_mov_b32_e32 v138, 0
	v_mov_b32_e32 v136, 0
	s_mov_b32 s4, exec_lo
	v_cmpx_lt_u32_e32 0xffffff, v77
	s_cbranch_execz .LBB339_714
; %bb.707:                              ;   in Loop: Header=BB339_10 Depth=1
	v_lshrrev_b32_e32 v77, 24, v77
	v_bfrev_b32_e32 v136, 1
	s_mov_b32 s20, exec_lo
	s_delay_alu instid0(VALU_DEP_2)
	v_cmpx_ne_u32_e32 0x80, v77
	s_cbranch_execz .LBB339_713
; %bb.708:                              ;   in Loop: Header=BB339_10 Depth=1
	v_and_b32_e32 v79, 0x7f, v77
	v_mov_b32_e32 v136, 0x7fc02000
	s_mov_b32 s21, exec_lo
	s_delay_alu instid0(VALU_DEP_2)
	v_cmpx_ne_u32_e32 0x7f, v79
	s_cbranch_execz .LBB339_712
; %bb.709:                              ;   in Loop: Header=BB339_10 Depth=1
	v_and_b32_e32 v8, 7, v77
	v_lshrrev_b32_e32 v78, 3, v79
	v_mov_b32_e32 v31, v9
	s_mov_b32 s22, exec_lo
	s_delay_alu instid0(VALU_DEP_3)
	v_mov_b32_e32 v30, v8
	v_cmpx_gt_u32_e32 8, v79
; %bb.710:                              ;   in Loop: Header=BB339_10 Depth=1
	v_clz_i32_u32_e32 v30, v8
	s_delay_alu instid0(VALU_DEP_1) | instskip(NEXT) | instid1(VALU_DEP_1)
	v_min_u32_e32 v78, 32, v30
	v_subrev_nc_u32_e32 v30, 28, v78
	v_sub_nc_u32_e32 v78, 29, v78
	s_delay_alu instid0(VALU_DEP_2) | instskip(NEXT) | instid1(VALU_DEP_1)
	v_lshlrev_b64 v[30:31], v30, v[8:9]
	v_and_b32_e32 v30, 7, v30
; %bb.711:                              ;   in Loop: Header=BB339_10 Depth=1
	s_or_b32 exec_lo, exec_lo, s22
	v_lshlrev_b32_e32 v8, 8, v77
	v_lshl_add_u32 v31, v78, 10, 0x2000
	s_delay_alu instid0(VALU_DEP_1) | instskip(NEXT) | instid1(VALU_DEP_1)
	v_and_or_b32 v8, 0x8000, v8, v31
	v_lshl_or_b32 v8, v30, 7, v8
	s_delay_alu instid0(VALU_DEP_1)
	v_cvt_f32_f16_e64 v136, v8
.LBB339_712:                            ;   in Loop: Header=BB339_10 Depth=1
	s_or_b32 exec_lo, exec_lo, s21
.LBB339_713:                            ;   in Loop: Header=BB339_10 Depth=1
	s_delay_alu instid0(SALU_CYCLE_1)
	s_or_b32 exec_lo, exec_lo, s20
.LBB339_714:                            ;   in Loop: Header=BB339_10 Depth=1
	s_delay_alu instid0(SALU_CYCLE_1) | instskip(SKIP_4) | instid1(VALU_DEP_1)
	s_or_b32 exec_lo, exec_lo, s4
	flat_load_b32 v77, v[28:29] offset:2816
	s_mov_b32 s4, exec_lo
	s_waitcnt vmcnt(0) lgkmcnt(0)
	v_and_b32_e32 v8, 0xff, v77
	v_cmpx_ne_u16_e32 0, v8
	s_cbranch_execz .LBB339_722
; %bb.715:                              ;   in Loop: Header=BB339_10 Depth=1
	v_bfrev_b32_e32 v138, 1
	s_mov_b32 s20, exec_lo
	v_cmpx_ne_u16_e32 0x80, v8
	s_cbranch_execz .LBB339_721
; %bb.716:                              ;   in Loop: Header=BB339_10 Depth=1
	v_and_b32_e32 v79, 0x7f, v77
	v_mov_b32_e32 v138, 0x7fc02000
	s_mov_b32 s21, exec_lo
	s_delay_alu instid0(VALU_DEP_2)
	v_cmpx_ne_u32_e32 0x7f, v79
	s_cbranch_execz .LBB339_720
; %bb.717:                              ;   in Loop: Header=BB339_10 Depth=1
	v_and_b32_e32 v8, 7, v77
	v_lshrrev_b32_e32 v78, 3, v79
	v_mov_b32_e32 v31, v9
	s_mov_b32 s22, exec_lo
	s_delay_alu instid0(VALU_DEP_3)
	v_mov_b32_e32 v30, v8
	v_cmpx_gt_u32_e32 8, v79
; %bb.718:                              ;   in Loop: Header=BB339_10 Depth=1
	v_clz_i32_u32_e32 v30, v8
	s_delay_alu instid0(VALU_DEP_1) | instskip(NEXT) | instid1(VALU_DEP_1)
	v_min_u32_e32 v78, 32, v30
	v_subrev_nc_u32_e32 v30, 28, v78
	v_sub_nc_u32_e32 v78, 29, v78
	s_delay_alu instid0(VALU_DEP_2) | instskip(NEXT) | instid1(VALU_DEP_1)
	v_lshlrev_b64 v[30:31], v30, v[8:9]
	v_and_b32_e32 v30, 7, v30
; %bb.719:                              ;   in Loop: Header=BB339_10 Depth=1
	s_or_b32 exec_lo, exec_lo, s22
	v_lshlrev_b32_e32 v8, 8, v77
	v_lshl_add_u32 v31, v78, 10, 0x2000
	s_delay_alu instid0(VALU_DEP_1) | instskip(NEXT) | instid1(VALU_DEP_1)
	v_and_or_b32 v8, 0x8000, v8, v31
	v_lshl_or_b32 v8, v30, 7, v8
	s_delay_alu instid0(VALU_DEP_1)
	v_cvt_f32_f16_e64 v138, v8
.LBB339_720:                            ;   in Loop: Header=BB339_10 Depth=1
	s_or_b32 exec_lo, exec_lo, s21
.LBB339_721:                            ;   in Loop: Header=BB339_10 Depth=1
	s_delay_alu instid0(SALU_CYCLE_1)
	s_or_b32 exec_lo, exec_lo, s20
.LBB339_722:                            ;   in Loop: Header=BB339_10 Depth=1
	s_delay_alu instid0(SALU_CYCLE_1) | instskip(SKIP_3) | instid1(VALU_DEP_2)
	s_or_b32 exec_lo, exec_lo, s4
	v_lshrrev_b16 v8, 8, v77
	v_dual_mov_b32 v143, 0 :: v_dual_mov_b32 v152, 0
	s_mov_b32 s4, exec_lo
	v_cmpx_ne_u16_e32 0, v8
	s_cbranch_execz .LBB339_730
; %bb.723:                              ;   in Loop: Header=BB339_10 Depth=1
	v_bfrev_b32_e32 v152, 1
	s_mov_b32 s20, exec_lo
	v_cmpx_ne_u16_e32 0x80, v8
	s_cbranch_execz .LBB339_729
; %bb.724:                              ;   in Loop: Header=BB339_10 Depth=1
	v_and_b32_e32 v78, 0xffff, v8
	v_mov_b32_e32 v152, 0x7fc02000
	s_mov_b32 s21, exec_lo
	s_delay_alu instid0(VALU_DEP_2) | instskip(NEXT) | instid1(VALU_DEP_1)
	v_and_b32_e32 v88, 0x7f, v78
	v_cmpx_ne_u32_e32 0x7f, v88
	s_cbranch_execz .LBB339_728
; %bb.725:                              ;   in Loop: Header=BB339_10 Depth=1
	v_and_b32_e32 v8, 7, v78
	v_lshrrev_b32_e32 v79, 3, v88
	v_mov_b32_e32 v31, v9
	s_mov_b32 s22, exec_lo
	s_delay_alu instid0(VALU_DEP_3)
	v_mov_b32_e32 v30, v8
	v_cmpx_gt_u32_e32 8, v88
; %bb.726:                              ;   in Loop: Header=BB339_10 Depth=1
	v_clz_i32_u32_e32 v30, v8
	s_delay_alu instid0(VALU_DEP_1) | instskip(NEXT) | instid1(VALU_DEP_1)
	v_min_u32_e32 v79, 32, v30
	v_subrev_nc_u32_e32 v30, 28, v79
	v_sub_nc_u32_e32 v79, 29, v79
	s_delay_alu instid0(VALU_DEP_2) | instskip(NEXT) | instid1(VALU_DEP_1)
	v_lshlrev_b64 v[30:31], v30, v[8:9]
	v_and_b32_e32 v30, 7, v30
; %bb.727:                              ;   in Loop: Header=BB339_10 Depth=1
	s_or_b32 exec_lo, exec_lo, s22
	v_lshlrev_b32_e32 v8, 8, v78
	v_lshl_add_u32 v31, v79, 10, 0x2000
	s_delay_alu instid0(VALU_DEP_1) | instskip(NEXT) | instid1(VALU_DEP_1)
	v_and_or_b32 v8, 0x8000, v8, v31
	v_lshl_or_b32 v8, v30, 7, v8
	s_delay_alu instid0(VALU_DEP_1)
	v_cvt_f32_f16_e64 v152, v8
.LBB339_728:                            ;   in Loop: Header=BB339_10 Depth=1
	s_or_b32 exec_lo, exec_lo, s21
.LBB339_729:                            ;   in Loop: Header=BB339_10 Depth=1
	s_delay_alu instid0(SALU_CYCLE_1)
	s_or_b32 exec_lo, exec_lo, s20
.LBB339_730:                            ;   in Loop: Header=BB339_10 Depth=1
	s_delay_alu instid0(SALU_CYCLE_1) | instskip(SKIP_2) | instid1(VALU_DEP_1)
	s_or_b32 exec_lo, exec_lo, s4
	v_lshrrev_b32_e32 v78, 16, v77
	s_mov_b32 s4, exec_lo
	v_and_b32_e32 v8, 0xff, v78
	s_delay_alu instid0(VALU_DEP_1)
	v_cmpx_ne_u16_e32 0, v8
	s_cbranch_execz .LBB339_738
; %bb.731:                              ;   in Loop: Header=BB339_10 Depth=1
	v_bfrev_b32_e32 v143, 1
	s_mov_b32 s20, exec_lo
	v_cmpx_ne_u16_e32 0x80, v8
	s_cbranch_execz .LBB339_737
; %bb.732:                              ;   in Loop: Header=BB339_10 Depth=1
	v_bfe_u32 v88, v77, 16, 7
	v_mov_b32_e32 v143, 0x7fc02000
	s_mov_b32 s21, exec_lo
	s_delay_alu instid0(VALU_DEP_2)
	v_cmpx_ne_u32_e32 0x7f, v88
	s_cbranch_execz .LBB339_736
; %bb.733:                              ;   in Loop: Header=BB339_10 Depth=1
	v_and_b32_e32 v8, 7, v78
	v_lshrrev_b32_e32 v79, 3, v88
	v_mov_b32_e32 v31, v9
	s_mov_b32 s22, exec_lo
	s_delay_alu instid0(VALU_DEP_3)
	v_mov_b32_e32 v30, v8
	v_cmpx_gt_u32_e32 8, v88
; %bb.734:                              ;   in Loop: Header=BB339_10 Depth=1
	v_clz_i32_u32_e32 v30, v8
	s_delay_alu instid0(VALU_DEP_1) | instskip(NEXT) | instid1(VALU_DEP_1)
	v_min_u32_e32 v79, 32, v30
	v_subrev_nc_u32_e32 v30, 28, v79
	v_sub_nc_u32_e32 v79, 29, v79
	s_delay_alu instid0(VALU_DEP_2) | instskip(NEXT) | instid1(VALU_DEP_1)
	v_lshlrev_b64 v[30:31], v30, v[8:9]
	v_and_b32_e32 v30, 7, v30
; %bb.735:                              ;   in Loop: Header=BB339_10 Depth=1
	s_or_b32 exec_lo, exec_lo, s22
	v_lshlrev_b32_e32 v8, 8, v78
	v_lshl_add_u32 v31, v79, 10, 0x2000
	s_delay_alu instid0(VALU_DEP_1) | instskip(NEXT) | instid1(VALU_DEP_1)
	v_and_or_b32 v8, 0x8000, v8, v31
	v_lshl_or_b32 v8, v30, 7, v8
	s_delay_alu instid0(VALU_DEP_1)
	v_cvt_f32_f16_e64 v143, v8
.LBB339_736:                            ;   in Loop: Header=BB339_10 Depth=1
	s_or_b32 exec_lo, exec_lo, s21
.LBB339_737:                            ;   in Loop: Header=BB339_10 Depth=1
	s_delay_alu instid0(SALU_CYCLE_1)
	s_or_b32 exec_lo, exec_lo, s20
.LBB339_738:                            ;   in Loop: Header=BB339_10 Depth=1
	s_delay_alu instid0(SALU_CYCLE_1)
	s_or_b32 exec_lo, exec_lo, s4
	v_mov_b32_e32 v153, 0
	v_mov_b32_e32 v157, 0
	s_mov_b32 s4, exec_lo
	v_cmpx_lt_u32_e32 0xffffff, v77
	s_cbranch_execz .LBB339_746
; %bb.739:                              ;   in Loop: Header=BB339_10 Depth=1
	v_lshrrev_b32_e32 v77, 24, v77
	v_bfrev_b32_e32 v157, 1
	s_mov_b32 s20, exec_lo
	s_delay_alu instid0(VALU_DEP_2)
	v_cmpx_ne_u32_e32 0x80, v77
	s_cbranch_execz .LBB339_745
; %bb.740:                              ;   in Loop: Header=BB339_10 Depth=1
	v_and_b32_e32 v79, 0x7f, v77
	v_mov_b32_e32 v157, 0x7fc02000
	s_mov_b32 s21, exec_lo
	s_delay_alu instid0(VALU_DEP_2)
	v_cmpx_ne_u32_e32 0x7f, v79
	s_cbranch_execz .LBB339_744
; %bb.741:                              ;   in Loop: Header=BB339_10 Depth=1
	v_and_b32_e32 v8, 7, v77
	v_lshrrev_b32_e32 v78, 3, v79
	v_mov_b32_e32 v31, v9
	s_mov_b32 s22, exec_lo
	s_delay_alu instid0(VALU_DEP_3)
	v_mov_b32_e32 v30, v8
	v_cmpx_gt_u32_e32 8, v79
; %bb.742:                              ;   in Loop: Header=BB339_10 Depth=1
	v_clz_i32_u32_e32 v30, v8
	s_delay_alu instid0(VALU_DEP_1) | instskip(NEXT) | instid1(VALU_DEP_1)
	v_min_u32_e32 v78, 32, v30
	v_subrev_nc_u32_e32 v30, 28, v78
	v_sub_nc_u32_e32 v78, 29, v78
	s_delay_alu instid0(VALU_DEP_2) | instskip(NEXT) | instid1(VALU_DEP_1)
	v_lshlrev_b64 v[30:31], v30, v[8:9]
	v_and_b32_e32 v30, 7, v30
; %bb.743:                              ;   in Loop: Header=BB339_10 Depth=1
	s_or_b32 exec_lo, exec_lo, s22
	v_lshlrev_b32_e32 v8, 8, v77
	v_lshl_add_u32 v31, v78, 10, 0x2000
	s_delay_alu instid0(VALU_DEP_1) | instskip(NEXT) | instid1(VALU_DEP_1)
	v_and_or_b32 v8, 0x8000, v8, v31
	v_lshl_or_b32 v8, v30, 7, v8
	s_delay_alu instid0(VALU_DEP_1)
	v_cvt_f32_f16_e64 v157, v8
.LBB339_744:                            ;   in Loop: Header=BB339_10 Depth=1
	s_or_b32 exec_lo, exec_lo, s21
.LBB339_745:                            ;   in Loop: Header=BB339_10 Depth=1
	s_delay_alu instid0(SALU_CYCLE_1)
	s_or_b32 exec_lo, exec_lo, s20
.LBB339_746:                            ;   in Loop: Header=BB339_10 Depth=1
	s_delay_alu instid0(SALU_CYCLE_1) | instskip(SKIP_4) | instid1(VALU_DEP_1)
	s_or_b32 exec_lo, exec_lo, s4
	flat_load_b32 v77, v[28:29] offset:2824
	s_mov_b32 s4, exec_lo
	s_waitcnt vmcnt(0) lgkmcnt(0)
	v_and_b32_e32 v8, 0xff, v77
	v_cmpx_ne_u16_e32 0, v8
	s_cbranch_execz .LBB339_754
; %bb.747:                              ;   in Loop: Header=BB339_10 Depth=1
	v_bfrev_b32_e32 v153, 1
	s_mov_b32 s20, exec_lo
	v_cmpx_ne_u16_e32 0x80, v8
	s_cbranch_execz .LBB339_753
; %bb.748:                              ;   in Loop: Header=BB339_10 Depth=1
	v_and_b32_e32 v79, 0x7f, v77
	v_mov_b32_e32 v153, 0x7fc02000
	s_mov_b32 s21, exec_lo
	s_delay_alu instid0(VALU_DEP_2)
	v_cmpx_ne_u32_e32 0x7f, v79
	s_cbranch_execz .LBB339_752
; %bb.749:                              ;   in Loop: Header=BB339_10 Depth=1
	v_and_b32_e32 v8, 7, v77
	v_lshrrev_b32_e32 v78, 3, v79
	v_mov_b32_e32 v31, v9
	s_mov_b32 s22, exec_lo
	s_delay_alu instid0(VALU_DEP_3)
	v_mov_b32_e32 v30, v8
	v_cmpx_gt_u32_e32 8, v79
; %bb.750:                              ;   in Loop: Header=BB339_10 Depth=1
	v_clz_i32_u32_e32 v30, v8
	s_delay_alu instid0(VALU_DEP_1) | instskip(NEXT) | instid1(VALU_DEP_1)
	v_min_u32_e32 v78, 32, v30
	v_subrev_nc_u32_e32 v30, 28, v78
	v_sub_nc_u32_e32 v78, 29, v78
	s_delay_alu instid0(VALU_DEP_2) | instskip(NEXT) | instid1(VALU_DEP_1)
	v_lshlrev_b64 v[30:31], v30, v[8:9]
	v_and_b32_e32 v30, 7, v30
; %bb.751:                              ;   in Loop: Header=BB339_10 Depth=1
	s_or_b32 exec_lo, exec_lo, s22
	v_lshlrev_b32_e32 v8, 8, v77
	v_lshl_add_u32 v31, v78, 10, 0x2000
	s_delay_alu instid0(VALU_DEP_1) | instskip(NEXT) | instid1(VALU_DEP_1)
	v_and_or_b32 v8, 0x8000, v8, v31
	v_lshl_or_b32 v8, v30, 7, v8
	s_delay_alu instid0(VALU_DEP_1)
	v_cvt_f32_f16_e64 v153, v8
.LBB339_752:                            ;   in Loop: Header=BB339_10 Depth=1
	s_or_b32 exec_lo, exec_lo, s21
.LBB339_753:                            ;   in Loop: Header=BB339_10 Depth=1
	s_delay_alu instid0(SALU_CYCLE_1)
	s_or_b32 exec_lo, exec_lo, s20
.LBB339_754:                            ;   in Loop: Header=BB339_10 Depth=1
	s_delay_alu instid0(SALU_CYCLE_1) | instskip(SKIP_3) | instid1(VALU_DEP_2)
	s_or_b32 exec_lo, exec_lo, s4
	v_lshrrev_b16 v8, 8, v77
	v_dual_mov_b32 v154, 0 :: v_dual_mov_b32 v155, 0
	s_mov_b32 s4, exec_lo
	v_cmpx_ne_u16_e32 0, v8
	s_cbranch_execz .LBB339_762
; %bb.755:                              ;   in Loop: Header=BB339_10 Depth=1
	v_bfrev_b32_e32 v155, 1
	s_mov_b32 s20, exec_lo
	v_cmpx_ne_u16_e32 0x80, v8
	s_cbranch_execz .LBB339_761
; %bb.756:                              ;   in Loop: Header=BB339_10 Depth=1
	v_and_b32_e32 v78, 0xffff, v8
	v_mov_b32_e32 v155, 0x7fc02000
	s_mov_b32 s21, exec_lo
	s_delay_alu instid0(VALU_DEP_2) | instskip(NEXT) | instid1(VALU_DEP_1)
	v_and_b32_e32 v88, 0x7f, v78
	v_cmpx_ne_u32_e32 0x7f, v88
	s_cbranch_execz .LBB339_760
; %bb.757:                              ;   in Loop: Header=BB339_10 Depth=1
	v_and_b32_e32 v8, 7, v78
	v_lshrrev_b32_e32 v79, 3, v88
	v_mov_b32_e32 v31, v9
	s_mov_b32 s22, exec_lo
	s_delay_alu instid0(VALU_DEP_3)
	v_mov_b32_e32 v30, v8
	v_cmpx_gt_u32_e32 8, v88
; %bb.758:                              ;   in Loop: Header=BB339_10 Depth=1
	v_clz_i32_u32_e32 v30, v8
	s_delay_alu instid0(VALU_DEP_1) | instskip(NEXT) | instid1(VALU_DEP_1)
	v_min_u32_e32 v79, 32, v30
	v_subrev_nc_u32_e32 v30, 28, v79
	v_sub_nc_u32_e32 v79, 29, v79
	s_delay_alu instid0(VALU_DEP_2) | instskip(NEXT) | instid1(VALU_DEP_1)
	v_lshlrev_b64 v[30:31], v30, v[8:9]
	v_and_b32_e32 v30, 7, v30
; %bb.759:                              ;   in Loop: Header=BB339_10 Depth=1
	s_or_b32 exec_lo, exec_lo, s22
	v_lshlrev_b32_e32 v8, 8, v78
	v_lshl_add_u32 v31, v79, 10, 0x2000
	s_delay_alu instid0(VALU_DEP_1) | instskip(NEXT) | instid1(VALU_DEP_1)
	v_and_or_b32 v8, 0x8000, v8, v31
	v_lshl_or_b32 v8, v30, 7, v8
	s_delay_alu instid0(VALU_DEP_1)
	v_cvt_f32_f16_e64 v155, v8
.LBB339_760:                            ;   in Loop: Header=BB339_10 Depth=1
	s_or_b32 exec_lo, exec_lo, s21
.LBB339_761:                            ;   in Loop: Header=BB339_10 Depth=1
	s_delay_alu instid0(SALU_CYCLE_1)
	s_or_b32 exec_lo, exec_lo, s20
.LBB339_762:                            ;   in Loop: Header=BB339_10 Depth=1
	s_delay_alu instid0(SALU_CYCLE_1) | instskip(SKIP_2) | instid1(VALU_DEP_1)
	s_or_b32 exec_lo, exec_lo, s4
	v_lshrrev_b32_e32 v78, 16, v77
	s_mov_b32 s4, exec_lo
	v_and_b32_e32 v8, 0xff, v78
	s_delay_alu instid0(VALU_DEP_1)
	v_cmpx_ne_u16_e32 0, v8
	s_cbranch_execz .LBB339_770
; %bb.763:                              ;   in Loop: Header=BB339_10 Depth=1
	v_bfrev_b32_e32 v154, 1
	s_mov_b32 s20, exec_lo
	v_cmpx_ne_u16_e32 0x80, v8
	s_cbranch_execz .LBB339_769
; %bb.764:                              ;   in Loop: Header=BB339_10 Depth=1
	v_bfe_u32 v88, v77, 16, 7
	v_mov_b32_e32 v154, 0x7fc02000
	s_mov_b32 s21, exec_lo
	s_delay_alu instid0(VALU_DEP_2)
	v_cmpx_ne_u32_e32 0x7f, v88
	s_cbranch_execz .LBB339_768
; %bb.765:                              ;   in Loop: Header=BB339_10 Depth=1
	v_and_b32_e32 v8, 7, v78
	v_lshrrev_b32_e32 v79, 3, v88
	v_mov_b32_e32 v31, v9
	s_mov_b32 s22, exec_lo
	s_delay_alu instid0(VALU_DEP_3)
	v_mov_b32_e32 v30, v8
	v_cmpx_gt_u32_e32 8, v88
; %bb.766:                              ;   in Loop: Header=BB339_10 Depth=1
	v_clz_i32_u32_e32 v30, v8
	s_delay_alu instid0(VALU_DEP_1) | instskip(NEXT) | instid1(VALU_DEP_1)
	v_min_u32_e32 v79, 32, v30
	v_subrev_nc_u32_e32 v30, 28, v79
	v_sub_nc_u32_e32 v79, 29, v79
	s_delay_alu instid0(VALU_DEP_2) | instskip(NEXT) | instid1(VALU_DEP_1)
	v_lshlrev_b64 v[30:31], v30, v[8:9]
	v_and_b32_e32 v30, 7, v30
; %bb.767:                              ;   in Loop: Header=BB339_10 Depth=1
	s_or_b32 exec_lo, exec_lo, s22
	v_lshlrev_b32_e32 v8, 8, v78
	v_lshl_add_u32 v31, v79, 10, 0x2000
	s_delay_alu instid0(VALU_DEP_1) | instskip(NEXT) | instid1(VALU_DEP_1)
	v_and_or_b32 v8, 0x8000, v8, v31
	v_lshl_or_b32 v8, v30, 7, v8
	s_delay_alu instid0(VALU_DEP_1)
	v_cvt_f32_f16_e64 v154, v8
.LBB339_768:                            ;   in Loop: Header=BB339_10 Depth=1
	s_or_b32 exec_lo, exec_lo, s21
.LBB339_769:                            ;   in Loop: Header=BB339_10 Depth=1
	s_delay_alu instid0(SALU_CYCLE_1)
	s_or_b32 exec_lo, exec_lo, s20
.LBB339_770:                            ;   in Loop: Header=BB339_10 Depth=1
	s_delay_alu instid0(SALU_CYCLE_1)
	s_or_b32 exec_lo, exec_lo, s4
	v_dual_mov_b32 v139, 0 :: v_dual_mov_b32 v158, 0
	s_mov_b32 s4, exec_lo
	v_cmpx_lt_u32_e32 0xffffff, v77
	s_cbranch_execz .LBB339_778
; %bb.771:                              ;   in Loop: Header=BB339_10 Depth=1
	v_lshrrev_b32_e32 v77, 24, v77
	v_bfrev_b32_e32 v158, 1
	s_mov_b32 s20, exec_lo
	s_delay_alu instid0(VALU_DEP_2)
	v_cmpx_ne_u32_e32 0x80, v77
	s_cbranch_execz .LBB339_777
; %bb.772:                              ;   in Loop: Header=BB339_10 Depth=1
	v_and_b32_e32 v79, 0x7f, v77
	v_mov_b32_e32 v158, 0x7fc02000
	s_mov_b32 s21, exec_lo
	s_delay_alu instid0(VALU_DEP_2)
	v_cmpx_ne_u32_e32 0x7f, v79
	s_cbranch_execz .LBB339_776
; %bb.773:                              ;   in Loop: Header=BB339_10 Depth=1
	v_and_b32_e32 v8, 7, v77
	v_lshrrev_b32_e32 v78, 3, v79
	v_mov_b32_e32 v31, v9
	s_mov_b32 s22, exec_lo
	s_delay_alu instid0(VALU_DEP_3)
	v_mov_b32_e32 v30, v8
	v_cmpx_gt_u32_e32 8, v79
; %bb.774:                              ;   in Loop: Header=BB339_10 Depth=1
	v_clz_i32_u32_e32 v30, v8
	s_delay_alu instid0(VALU_DEP_1) | instskip(NEXT) | instid1(VALU_DEP_1)
	v_min_u32_e32 v78, 32, v30
	v_subrev_nc_u32_e32 v30, 28, v78
	v_sub_nc_u32_e32 v78, 29, v78
	s_delay_alu instid0(VALU_DEP_2) | instskip(NEXT) | instid1(VALU_DEP_1)
	v_lshlrev_b64 v[30:31], v30, v[8:9]
	v_and_b32_e32 v30, 7, v30
; %bb.775:                              ;   in Loop: Header=BB339_10 Depth=1
	s_or_b32 exec_lo, exec_lo, s22
	v_lshlrev_b32_e32 v8, 8, v77
	v_lshl_add_u32 v31, v78, 10, 0x2000
	s_delay_alu instid0(VALU_DEP_1) | instskip(NEXT) | instid1(VALU_DEP_1)
	v_and_or_b32 v8, 0x8000, v8, v31
	v_lshl_or_b32 v8, v30, 7, v8
	s_delay_alu instid0(VALU_DEP_1)
	v_cvt_f32_f16_e64 v158, v8
.LBB339_776:                            ;   in Loop: Header=BB339_10 Depth=1
	s_or_b32 exec_lo, exec_lo, s21
.LBB339_777:                            ;   in Loop: Header=BB339_10 Depth=1
	s_delay_alu instid0(SALU_CYCLE_1)
	s_or_b32 exec_lo, exec_lo, s20
.LBB339_778:                            ;   in Loop: Header=BB339_10 Depth=1
	s_delay_alu instid0(SALU_CYCLE_1) | instskip(SKIP_4) | instid1(VALU_DEP_1)
	s_or_b32 exec_lo, exec_lo, s4
	flat_load_b32 v77, v[28:29] offset:3072
	s_mov_b32 s4, exec_lo
	s_waitcnt vmcnt(0) lgkmcnt(0)
	v_and_b32_e32 v8, 0xff, v77
	v_cmpx_ne_u16_e32 0, v8
	s_cbranch_execz .LBB339_786
; %bb.779:                              ;   in Loop: Header=BB339_10 Depth=1
	v_bfrev_b32_e32 v139, 1
	s_mov_b32 s20, exec_lo
	v_cmpx_ne_u16_e32 0x80, v8
	s_cbranch_execz .LBB339_785
; %bb.780:                              ;   in Loop: Header=BB339_10 Depth=1
	v_and_b32_e32 v79, 0x7f, v77
	v_mov_b32_e32 v139, 0x7fc02000
	s_mov_b32 s21, exec_lo
	s_delay_alu instid0(VALU_DEP_2)
	v_cmpx_ne_u32_e32 0x7f, v79
	s_cbranch_execz .LBB339_784
; %bb.781:                              ;   in Loop: Header=BB339_10 Depth=1
	v_and_b32_e32 v8, 7, v77
	v_lshrrev_b32_e32 v78, 3, v79
	v_mov_b32_e32 v31, v9
	s_mov_b32 s22, exec_lo
	s_delay_alu instid0(VALU_DEP_3)
	v_mov_b32_e32 v30, v8
	v_cmpx_gt_u32_e32 8, v79
; %bb.782:                              ;   in Loop: Header=BB339_10 Depth=1
	v_clz_i32_u32_e32 v30, v8
	s_delay_alu instid0(VALU_DEP_1) | instskip(NEXT) | instid1(VALU_DEP_1)
	v_min_u32_e32 v78, 32, v30
	v_subrev_nc_u32_e32 v30, 28, v78
	v_sub_nc_u32_e32 v78, 29, v78
	s_delay_alu instid0(VALU_DEP_2) | instskip(NEXT) | instid1(VALU_DEP_1)
	v_lshlrev_b64 v[30:31], v30, v[8:9]
	v_and_b32_e32 v30, 7, v30
; %bb.783:                              ;   in Loop: Header=BB339_10 Depth=1
	s_or_b32 exec_lo, exec_lo, s22
	v_lshlrev_b32_e32 v8, 8, v77
	v_lshl_add_u32 v31, v78, 10, 0x2000
	s_delay_alu instid0(VALU_DEP_1) | instskip(NEXT) | instid1(VALU_DEP_1)
	v_and_or_b32 v8, 0x8000, v8, v31
	v_lshl_or_b32 v8, v30, 7, v8
	s_delay_alu instid0(VALU_DEP_1)
	v_cvt_f32_f16_e64 v139, v8
.LBB339_784:                            ;   in Loop: Header=BB339_10 Depth=1
	s_or_b32 exec_lo, exec_lo, s21
.LBB339_785:                            ;   in Loop: Header=BB339_10 Depth=1
	s_delay_alu instid0(SALU_CYCLE_1)
	s_or_b32 exec_lo, exec_lo, s20
.LBB339_786:                            ;   in Loop: Header=BB339_10 Depth=1
	s_delay_alu instid0(SALU_CYCLE_1) | instskip(SKIP_3) | instid1(VALU_DEP_2)
	s_or_b32 exec_lo, exec_lo, s4
	v_lshrrev_b16 v8, 8, v77
	v_dual_mov_b32 v140, 0 :: v_dual_mov_b32 v141, 0
	s_mov_b32 s4, exec_lo
	v_cmpx_ne_u16_e32 0, v8
	s_cbranch_execz .LBB339_794
; %bb.787:                              ;   in Loop: Header=BB339_10 Depth=1
	v_bfrev_b32_e32 v141, 1
	s_mov_b32 s20, exec_lo
	v_cmpx_ne_u16_e32 0x80, v8
	s_cbranch_execz .LBB339_793
; %bb.788:                              ;   in Loop: Header=BB339_10 Depth=1
	v_and_b32_e32 v78, 0xffff, v8
	v_mov_b32_e32 v141, 0x7fc02000
	s_mov_b32 s21, exec_lo
	s_delay_alu instid0(VALU_DEP_2) | instskip(NEXT) | instid1(VALU_DEP_1)
	v_and_b32_e32 v88, 0x7f, v78
	v_cmpx_ne_u32_e32 0x7f, v88
	s_cbranch_execz .LBB339_792
; %bb.789:                              ;   in Loop: Header=BB339_10 Depth=1
	v_and_b32_e32 v8, 7, v78
	v_lshrrev_b32_e32 v79, 3, v88
	v_mov_b32_e32 v31, v9
	s_mov_b32 s22, exec_lo
	s_delay_alu instid0(VALU_DEP_3)
	v_mov_b32_e32 v30, v8
	v_cmpx_gt_u32_e32 8, v88
; %bb.790:                              ;   in Loop: Header=BB339_10 Depth=1
	v_clz_i32_u32_e32 v30, v8
	s_delay_alu instid0(VALU_DEP_1) | instskip(NEXT) | instid1(VALU_DEP_1)
	v_min_u32_e32 v79, 32, v30
	v_subrev_nc_u32_e32 v30, 28, v79
	v_sub_nc_u32_e32 v79, 29, v79
	s_delay_alu instid0(VALU_DEP_2) | instskip(NEXT) | instid1(VALU_DEP_1)
	v_lshlrev_b64 v[30:31], v30, v[8:9]
	v_and_b32_e32 v30, 7, v30
; %bb.791:                              ;   in Loop: Header=BB339_10 Depth=1
	s_or_b32 exec_lo, exec_lo, s22
	v_lshlrev_b32_e32 v8, 8, v78
	v_lshl_add_u32 v31, v79, 10, 0x2000
	s_delay_alu instid0(VALU_DEP_1) | instskip(NEXT) | instid1(VALU_DEP_1)
	v_and_or_b32 v8, 0x8000, v8, v31
	v_lshl_or_b32 v8, v30, 7, v8
	s_delay_alu instid0(VALU_DEP_1)
	v_cvt_f32_f16_e64 v141, v8
.LBB339_792:                            ;   in Loop: Header=BB339_10 Depth=1
	s_or_b32 exec_lo, exec_lo, s21
.LBB339_793:                            ;   in Loop: Header=BB339_10 Depth=1
	s_delay_alu instid0(SALU_CYCLE_1)
	s_or_b32 exec_lo, exec_lo, s20
.LBB339_794:                            ;   in Loop: Header=BB339_10 Depth=1
	s_delay_alu instid0(SALU_CYCLE_1) | instskip(SKIP_2) | instid1(VALU_DEP_1)
	s_or_b32 exec_lo, exec_lo, s4
	v_lshrrev_b32_e32 v78, 16, v77
	s_mov_b32 s4, exec_lo
	v_and_b32_e32 v8, 0xff, v78
	s_delay_alu instid0(VALU_DEP_1)
	v_cmpx_ne_u16_e32 0, v8
	s_cbranch_execz .LBB339_802
; %bb.795:                              ;   in Loop: Header=BB339_10 Depth=1
	v_bfrev_b32_e32 v140, 1
	s_mov_b32 s20, exec_lo
	v_cmpx_ne_u16_e32 0x80, v8
	s_cbranch_execz .LBB339_801
; %bb.796:                              ;   in Loop: Header=BB339_10 Depth=1
	v_bfe_u32 v88, v77, 16, 7
	v_mov_b32_e32 v140, 0x7fc02000
	s_mov_b32 s21, exec_lo
	s_delay_alu instid0(VALU_DEP_2)
	v_cmpx_ne_u32_e32 0x7f, v88
	s_cbranch_execz .LBB339_800
; %bb.797:                              ;   in Loop: Header=BB339_10 Depth=1
	v_and_b32_e32 v8, 7, v78
	v_lshrrev_b32_e32 v79, 3, v88
	v_mov_b32_e32 v31, v9
	s_mov_b32 s22, exec_lo
	s_delay_alu instid0(VALU_DEP_3)
	v_mov_b32_e32 v30, v8
	v_cmpx_gt_u32_e32 8, v88
; %bb.798:                              ;   in Loop: Header=BB339_10 Depth=1
	v_clz_i32_u32_e32 v30, v8
	s_delay_alu instid0(VALU_DEP_1) | instskip(NEXT) | instid1(VALU_DEP_1)
	v_min_u32_e32 v79, 32, v30
	v_subrev_nc_u32_e32 v30, 28, v79
	v_sub_nc_u32_e32 v79, 29, v79
	s_delay_alu instid0(VALU_DEP_2) | instskip(NEXT) | instid1(VALU_DEP_1)
	v_lshlrev_b64 v[30:31], v30, v[8:9]
	v_and_b32_e32 v30, 7, v30
; %bb.799:                              ;   in Loop: Header=BB339_10 Depth=1
	s_or_b32 exec_lo, exec_lo, s22
	v_lshlrev_b32_e32 v8, 8, v78
	v_lshl_add_u32 v31, v79, 10, 0x2000
	s_delay_alu instid0(VALU_DEP_1) | instskip(NEXT) | instid1(VALU_DEP_1)
	v_and_or_b32 v8, 0x8000, v8, v31
	v_lshl_or_b32 v8, v30, 7, v8
	s_delay_alu instid0(VALU_DEP_1)
	v_cvt_f32_f16_e64 v140, v8
.LBB339_800:                            ;   in Loop: Header=BB339_10 Depth=1
	s_or_b32 exec_lo, exec_lo, s21
.LBB339_801:                            ;   in Loop: Header=BB339_10 Depth=1
	s_delay_alu instid0(SALU_CYCLE_1)
	s_or_b32 exec_lo, exec_lo, s20
.LBB339_802:                            ;   in Loop: Header=BB339_10 Depth=1
	s_delay_alu instid0(SALU_CYCLE_1)
	s_or_b32 exec_lo, exec_lo, s4
	v_dual_mov_b32 v125, 0 :: v_dual_mov_b32 v156, 0
	s_mov_b32 s4, exec_lo
	v_cmpx_lt_u32_e32 0xffffff, v77
	s_cbranch_execz .LBB339_810
; %bb.803:                              ;   in Loop: Header=BB339_10 Depth=1
	v_lshrrev_b32_e32 v77, 24, v77
	v_bfrev_b32_e32 v156, 1
	s_mov_b32 s20, exec_lo
	s_delay_alu instid0(VALU_DEP_2)
	v_cmpx_ne_u32_e32 0x80, v77
	s_cbranch_execz .LBB339_809
; %bb.804:                              ;   in Loop: Header=BB339_10 Depth=1
	v_and_b32_e32 v79, 0x7f, v77
	v_mov_b32_e32 v156, 0x7fc02000
	s_mov_b32 s21, exec_lo
	s_delay_alu instid0(VALU_DEP_2)
	v_cmpx_ne_u32_e32 0x7f, v79
	s_cbranch_execz .LBB339_808
; %bb.805:                              ;   in Loop: Header=BB339_10 Depth=1
	v_and_b32_e32 v8, 7, v77
	v_lshrrev_b32_e32 v78, 3, v79
	v_mov_b32_e32 v31, v9
	s_mov_b32 s22, exec_lo
	s_delay_alu instid0(VALU_DEP_3)
	v_mov_b32_e32 v30, v8
	v_cmpx_gt_u32_e32 8, v79
; %bb.806:                              ;   in Loop: Header=BB339_10 Depth=1
	v_clz_i32_u32_e32 v30, v8
	s_delay_alu instid0(VALU_DEP_1) | instskip(NEXT) | instid1(VALU_DEP_1)
	v_min_u32_e32 v78, 32, v30
	v_subrev_nc_u32_e32 v30, 28, v78
	v_sub_nc_u32_e32 v78, 29, v78
	s_delay_alu instid0(VALU_DEP_2) | instskip(NEXT) | instid1(VALU_DEP_1)
	v_lshlrev_b64 v[30:31], v30, v[8:9]
	v_and_b32_e32 v30, 7, v30
; %bb.807:                              ;   in Loop: Header=BB339_10 Depth=1
	s_or_b32 exec_lo, exec_lo, s22
	v_lshlrev_b32_e32 v8, 8, v77
	v_lshl_add_u32 v31, v78, 10, 0x2000
	s_delay_alu instid0(VALU_DEP_1) | instskip(NEXT) | instid1(VALU_DEP_1)
	v_and_or_b32 v8, 0x8000, v8, v31
	v_lshl_or_b32 v8, v30, 7, v8
	s_delay_alu instid0(VALU_DEP_1)
	v_cvt_f32_f16_e64 v156, v8
.LBB339_808:                            ;   in Loop: Header=BB339_10 Depth=1
	s_or_b32 exec_lo, exec_lo, s21
.LBB339_809:                            ;   in Loop: Header=BB339_10 Depth=1
	s_delay_alu instid0(SALU_CYCLE_1)
	s_or_b32 exec_lo, exec_lo, s20
.LBB339_810:                            ;   in Loop: Header=BB339_10 Depth=1
	s_delay_alu instid0(SALU_CYCLE_1) | instskip(SKIP_4) | instid1(VALU_DEP_1)
	s_or_b32 exec_lo, exec_lo, s4
	flat_load_b32 v77, v[28:29] offset:3080
	s_mov_b32 s4, exec_lo
	s_waitcnt vmcnt(0) lgkmcnt(0)
	v_and_b32_e32 v8, 0xff, v77
	v_cmpx_ne_u16_e32 0, v8
	s_cbranch_execz .LBB339_818
; %bb.811:                              ;   in Loop: Header=BB339_10 Depth=1
	v_bfrev_b32_e32 v125, 1
	s_mov_b32 s20, exec_lo
	v_cmpx_ne_u16_e32 0x80, v8
	s_cbranch_execz .LBB339_817
; %bb.812:                              ;   in Loop: Header=BB339_10 Depth=1
	v_and_b32_e32 v79, 0x7f, v77
	v_mov_b32_e32 v125, 0x7fc02000
	s_mov_b32 s21, exec_lo
	s_delay_alu instid0(VALU_DEP_2)
	v_cmpx_ne_u32_e32 0x7f, v79
	s_cbranch_execz .LBB339_816
; %bb.813:                              ;   in Loop: Header=BB339_10 Depth=1
	v_and_b32_e32 v8, 7, v77
	v_lshrrev_b32_e32 v78, 3, v79
	v_mov_b32_e32 v31, v9
	s_mov_b32 s22, exec_lo
	s_delay_alu instid0(VALU_DEP_3)
	v_mov_b32_e32 v30, v8
	v_cmpx_gt_u32_e32 8, v79
; %bb.814:                              ;   in Loop: Header=BB339_10 Depth=1
	v_clz_i32_u32_e32 v30, v8
	s_delay_alu instid0(VALU_DEP_1) | instskip(NEXT) | instid1(VALU_DEP_1)
	v_min_u32_e32 v78, 32, v30
	v_subrev_nc_u32_e32 v30, 28, v78
	v_sub_nc_u32_e32 v78, 29, v78
	s_delay_alu instid0(VALU_DEP_2) | instskip(NEXT) | instid1(VALU_DEP_1)
	v_lshlrev_b64 v[30:31], v30, v[8:9]
	v_and_b32_e32 v30, 7, v30
; %bb.815:                              ;   in Loop: Header=BB339_10 Depth=1
	s_or_b32 exec_lo, exec_lo, s22
	v_lshlrev_b32_e32 v8, 8, v77
	v_lshl_add_u32 v31, v78, 10, 0x2000
	s_delay_alu instid0(VALU_DEP_1) | instskip(NEXT) | instid1(VALU_DEP_1)
	v_and_or_b32 v8, 0x8000, v8, v31
	v_lshl_or_b32 v8, v30, 7, v8
	s_delay_alu instid0(VALU_DEP_1)
	v_cvt_f32_f16_e32 v125, v8
.LBB339_816:                            ;   in Loop: Header=BB339_10 Depth=1
	s_or_b32 exec_lo, exec_lo, s21
.LBB339_817:                            ;   in Loop: Header=BB339_10 Depth=1
	s_delay_alu instid0(SALU_CYCLE_1)
	s_or_b32 exec_lo, exec_lo, s20
.LBB339_818:                            ;   in Loop: Header=BB339_10 Depth=1
	s_delay_alu instid0(SALU_CYCLE_1) | instskip(SKIP_3) | instid1(VALU_DEP_2)
	s_or_b32 exec_lo, exec_lo, s4
	v_lshrrev_b16 v8, 8, v77
	v_dual_mov_b32 v126, 0 :: v_dual_mov_b32 v127, 0
	s_mov_b32 s4, exec_lo
	v_cmpx_ne_u16_e32 0, v8
	s_cbranch_execz .LBB339_826
; %bb.819:                              ;   in Loop: Header=BB339_10 Depth=1
	v_bfrev_b32_e32 v127, 1
	s_mov_b32 s20, exec_lo
	v_cmpx_ne_u16_e32 0x80, v8
	s_cbranch_execz .LBB339_825
; %bb.820:                              ;   in Loop: Header=BB339_10 Depth=1
	v_and_b32_e32 v78, 0xffff, v8
	v_mov_b32_e32 v127, 0x7fc02000
	s_mov_b32 s21, exec_lo
	s_delay_alu instid0(VALU_DEP_2) | instskip(NEXT) | instid1(VALU_DEP_1)
	v_and_b32_e32 v88, 0x7f, v78
	v_cmpx_ne_u32_e32 0x7f, v88
	s_cbranch_execz .LBB339_824
; %bb.821:                              ;   in Loop: Header=BB339_10 Depth=1
	v_and_b32_e32 v8, 7, v78
	v_lshrrev_b32_e32 v79, 3, v88
	v_mov_b32_e32 v31, v9
	s_mov_b32 s22, exec_lo
	s_delay_alu instid0(VALU_DEP_3)
	v_mov_b32_e32 v30, v8
	v_cmpx_gt_u32_e32 8, v88
; %bb.822:                              ;   in Loop: Header=BB339_10 Depth=1
	v_clz_i32_u32_e32 v30, v8
	s_delay_alu instid0(VALU_DEP_1) | instskip(NEXT) | instid1(VALU_DEP_1)
	v_min_u32_e32 v79, 32, v30
	v_subrev_nc_u32_e32 v30, 28, v79
	v_sub_nc_u32_e32 v79, 29, v79
	s_delay_alu instid0(VALU_DEP_2) | instskip(NEXT) | instid1(VALU_DEP_1)
	v_lshlrev_b64 v[30:31], v30, v[8:9]
	v_and_b32_e32 v30, 7, v30
; %bb.823:                              ;   in Loop: Header=BB339_10 Depth=1
	s_or_b32 exec_lo, exec_lo, s22
	v_lshlrev_b32_e32 v8, 8, v78
	v_lshl_add_u32 v31, v79, 10, 0x2000
	s_delay_alu instid0(VALU_DEP_1) | instskip(NEXT) | instid1(VALU_DEP_1)
	v_and_or_b32 v8, 0x8000, v8, v31
	v_lshl_or_b32 v8, v30, 7, v8
	s_delay_alu instid0(VALU_DEP_1)
	v_cvt_f32_f16_e32 v127, v8
.LBB339_824:                            ;   in Loop: Header=BB339_10 Depth=1
	s_or_b32 exec_lo, exec_lo, s21
.LBB339_825:                            ;   in Loop: Header=BB339_10 Depth=1
	s_delay_alu instid0(SALU_CYCLE_1)
	s_or_b32 exec_lo, exec_lo, s20
.LBB339_826:                            ;   in Loop: Header=BB339_10 Depth=1
	s_delay_alu instid0(SALU_CYCLE_1) | instskip(SKIP_2) | instid1(VALU_DEP_1)
	s_or_b32 exec_lo, exec_lo, s4
	v_lshrrev_b32_e32 v78, 16, v77
	s_mov_b32 s4, exec_lo
	v_and_b32_e32 v8, 0xff, v78
	s_delay_alu instid0(VALU_DEP_1)
	v_cmpx_ne_u16_e32 0, v8
	s_cbranch_execz .LBB339_834
; %bb.827:                              ;   in Loop: Header=BB339_10 Depth=1
	v_bfrev_b32_e32 v126, 1
	s_mov_b32 s20, exec_lo
	v_cmpx_ne_u16_e32 0x80, v8
	s_cbranch_execz .LBB339_833
; %bb.828:                              ;   in Loop: Header=BB339_10 Depth=1
	v_bfe_u32 v88, v77, 16, 7
	v_mov_b32_e32 v126, 0x7fc02000
	s_mov_b32 s21, exec_lo
	s_delay_alu instid0(VALU_DEP_2)
	v_cmpx_ne_u32_e32 0x7f, v88
	s_cbranch_execz .LBB339_832
; %bb.829:                              ;   in Loop: Header=BB339_10 Depth=1
	v_and_b32_e32 v8, 7, v78
	v_lshrrev_b32_e32 v79, 3, v88
	v_mov_b32_e32 v31, v9
	s_mov_b32 s22, exec_lo
	s_delay_alu instid0(VALU_DEP_3)
	v_mov_b32_e32 v30, v8
	v_cmpx_gt_u32_e32 8, v88
; %bb.830:                              ;   in Loop: Header=BB339_10 Depth=1
	v_clz_i32_u32_e32 v30, v8
	s_delay_alu instid0(VALU_DEP_1) | instskip(NEXT) | instid1(VALU_DEP_1)
	v_min_u32_e32 v79, 32, v30
	v_subrev_nc_u32_e32 v30, 28, v79
	v_sub_nc_u32_e32 v79, 29, v79
	s_delay_alu instid0(VALU_DEP_2) | instskip(NEXT) | instid1(VALU_DEP_1)
	v_lshlrev_b64 v[30:31], v30, v[8:9]
	v_and_b32_e32 v30, 7, v30
; %bb.831:                              ;   in Loop: Header=BB339_10 Depth=1
	s_or_b32 exec_lo, exec_lo, s22
	v_lshlrev_b32_e32 v8, 8, v78
	v_lshl_add_u32 v31, v79, 10, 0x2000
	s_delay_alu instid0(VALU_DEP_1) | instskip(NEXT) | instid1(VALU_DEP_1)
	v_and_or_b32 v8, 0x8000, v8, v31
	v_lshl_or_b32 v8, v30, 7, v8
	s_delay_alu instid0(VALU_DEP_1)
	v_cvt_f32_f16_e32 v126, v8
.LBB339_832:                            ;   in Loop: Header=BB339_10 Depth=1
	s_or_b32 exec_lo, exec_lo, s21
.LBB339_833:                            ;   in Loop: Header=BB339_10 Depth=1
	s_delay_alu instid0(SALU_CYCLE_1)
	s_or_b32 exec_lo, exec_lo, s20
.LBB339_834:                            ;   in Loop: Header=BB339_10 Depth=1
	s_delay_alu instid0(SALU_CYCLE_1)
	s_or_b32 exec_lo, exec_lo, s4
	v_dual_mov_b32 v111, 0 :: v_dual_mov_b32 v142, 0
	s_mov_b32 s4, exec_lo
	v_cmpx_lt_u32_e32 0xffffff, v77
	s_cbranch_execz .LBB339_842
; %bb.835:                              ;   in Loop: Header=BB339_10 Depth=1
	v_lshrrev_b32_e32 v77, 24, v77
	v_bfrev_b32_e32 v142, 1
	s_mov_b32 s20, exec_lo
	s_delay_alu instid0(VALU_DEP_2)
	v_cmpx_ne_u32_e32 0x80, v77
	s_cbranch_execz .LBB339_841
; %bb.836:                              ;   in Loop: Header=BB339_10 Depth=1
	v_and_b32_e32 v79, 0x7f, v77
	v_mov_b32_e32 v142, 0x7fc02000
	s_mov_b32 s21, exec_lo
	s_delay_alu instid0(VALU_DEP_2)
	v_cmpx_ne_u32_e32 0x7f, v79
	s_cbranch_execz .LBB339_840
; %bb.837:                              ;   in Loop: Header=BB339_10 Depth=1
	v_and_b32_e32 v8, 7, v77
	v_lshrrev_b32_e32 v78, 3, v79
	v_mov_b32_e32 v31, v9
	s_mov_b32 s22, exec_lo
	s_delay_alu instid0(VALU_DEP_3)
	v_mov_b32_e32 v30, v8
	v_cmpx_gt_u32_e32 8, v79
; %bb.838:                              ;   in Loop: Header=BB339_10 Depth=1
	v_clz_i32_u32_e32 v30, v8
	s_delay_alu instid0(VALU_DEP_1) | instskip(NEXT) | instid1(VALU_DEP_1)
	v_min_u32_e32 v78, 32, v30
	v_subrev_nc_u32_e32 v30, 28, v78
	v_sub_nc_u32_e32 v78, 29, v78
	s_delay_alu instid0(VALU_DEP_2) | instskip(NEXT) | instid1(VALU_DEP_1)
	v_lshlrev_b64 v[30:31], v30, v[8:9]
	v_and_b32_e32 v30, 7, v30
; %bb.839:                              ;   in Loop: Header=BB339_10 Depth=1
	s_or_b32 exec_lo, exec_lo, s22
	v_lshlrev_b32_e32 v8, 8, v77
	v_lshl_add_u32 v31, v78, 10, 0x2000
	s_delay_alu instid0(VALU_DEP_1) | instskip(NEXT) | instid1(VALU_DEP_1)
	v_and_or_b32 v8, 0x8000, v8, v31
	v_lshl_or_b32 v8, v30, 7, v8
	s_delay_alu instid0(VALU_DEP_1)
	v_cvt_f32_f16_e64 v142, v8
.LBB339_840:                            ;   in Loop: Header=BB339_10 Depth=1
	s_or_b32 exec_lo, exec_lo, s21
.LBB339_841:                            ;   in Loop: Header=BB339_10 Depth=1
	s_delay_alu instid0(SALU_CYCLE_1)
	s_or_b32 exec_lo, exec_lo, s20
.LBB339_842:                            ;   in Loop: Header=BB339_10 Depth=1
	s_delay_alu instid0(SALU_CYCLE_1) | instskip(SKIP_4) | instid1(VALU_DEP_1)
	s_or_b32 exec_lo, exec_lo, s4
	flat_load_b32 v77, v[28:29] offset:3328
	s_mov_b32 s4, exec_lo
	s_waitcnt vmcnt(0) lgkmcnt(0)
	v_and_b32_e32 v8, 0xff, v77
	v_cmpx_ne_u16_e32 0, v8
	s_cbranch_execz .LBB339_850
; %bb.843:                              ;   in Loop: Header=BB339_10 Depth=1
	v_bfrev_b32_e32 v111, 1
	s_mov_b32 s20, exec_lo
	v_cmpx_ne_u16_e32 0x80, v8
	s_cbranch_execz .LBB339_849
; %bb.844:                              ;   in Loop: Header=BB339_10 Depth=1
	v_and_b32_e32 v79, 0x7f, v77
	v_mov_b32_e32 v111, 0x7fc02000
	s_mov_b32 s21, exec_lo
	s_delay_alu instid0(VALU_DEP_2)
	v_cmpx_ne_u32_e32 0x7f, v79
	s_cbranch_execz .LBB339_848
; %bb.845:                              ;   in Loop: Header=BB339_10 Depth=1
	v_and_b32_e32 v8, 7, v77
	v_lshrrev_b32_e32 v78, 3, v79
	v_mov_b32_e32 v31, v9
	s_mov_b32 s22, exec_lo
	s_delay_alu instid0(VALU_DEP_3)
	v_mov_b32_e32 v30, v8
	v_cmpx_gt_u32_e32 8, v79
; %bb.846:                              ;   in Loop: Header=BB339_10 Depth=1
	v_clz_i32_u32_e32 v30, v8
	s_delay_alu instid0(VALU_DEP_1) | instskip(NEXT) | instid1(VALU_DEP_1)
	v_min_u32_e32 v78, 32, v30
	v_subrev_nc_u32_e32 v30, 28, v78
	v_sub_nc_u32_e32 v78, 29, v78
	s_delay_alu instid0(VALU_DEP_2) | instskip(NEXT) | instid1(VALU_DEP_1)
	v_lshlrev_b64 v[30:31], v30, v[8:9]
	v_and_b32_e32 v30, 7, v30
; %bb.847:                              ;   in Loop: Header=BB339_10 Depth=1
	s_or_b32 exec_lo, exec_lo, s22
	v_lshlrev_b32_e32 v8, 8, v77
	v_lshl_add_u32 v31, v78, 10, 0x2000
	s_delay_alu instid0(VALU_DEP_1) | instskip(NEXT) | instid1(VALU_DEP_1)
	v_and_or_b32 v8, 0x8000, v8, v31
	v_lshl_or_b32 v8, v30, 7, v8
	s_delay_alu instid0(VALU_DEP_1)
	v_cvt_f32_f16_e32 v111, v8
.LBB339_848:                            ;   in Loop: Header=BB339_10 Depth=1
	s_or_b32 exec_lo, exec_lo, s21
.LBB339_849:                            ;   in Loop: Header=BB339_10 Depth=1
	s_delay_alu instid0(SALU_CYCLE_1)
	s_or_b32 exec_lo, exec_lo, s20
.LBB339_850:                            ;   in Loop: Header=BB339_10 Depth=1
	s_delay_alu instid0(SALU_CYCLE_1) | instskip(SKIP_4) | instid1(VALU_DEP_3)
	s_or_b32 exec_lo, exec_lo, s4
	v_lshrrev_b16 v8, 8, v77
	v_mov_b32_e32 v121, 0
	v_mov_b32_e32 v123, 0
	s_mov_b32 s4, exec_lo
	v_cmpx_ne_u16_e32 0, v8
	s_cbranch_execz .LBB339_858
; %bb.851:                              ;   in Loop: Header=BB339_10 Depth=1
	v_bfrev_b32_e32 v123, 1
	s_mov_b32 s20, exec_lo
	v_cmpx_ne_u16_e32 0x80, v8
	s_cbranch_execz .LBB339_857
; %bb.852:                              ;   in Loop: Header=BB339_10 Depth=1
	v_and_b32_e32 v78, 0xffff, v8
	v_mov_b32_e32 v123, 0x7fc02000
	s_mov_b32 s21, exec_lo
	s_delay_alu instid0(VALU_DEP_2) | instskip(NEXT) | instid1(VALU_DEP_1)
	v_and_b32_e32 v88, 0x7f, v78
	v_cmpx_ne_u32_e32 0x7f, v88
	s_cbranch_execz .LBB339_856
; %bb.853:                              ;   in Loop: Header=BB339_10 Depth=1
	v_and_b32_e32 v8, 7, v78
	v_lshrrev_b32_e32 v79, 3, v88
	v_mov_b32_e32 v31, v9
	s_mov_b32 s22, exec_lo
	s_delay_alu instid0(VALU_DEP_3)
	v_mov_b32_e32 v30, v8
	v_cmpx_gt_u32_e32 8, v88
; %bb.854:                              ;   in Loop: Header=BB339_10 Depth=1
	v_clz_i32_u32_e32 v30, v8
	s_delay_alu instid0(VALU_DEP_1) | instskip(NEXT) | instid1(VALU_DEP_1)
	v_min_u32_e32 v79, 32, v30
	v_subrev_nc_u32_e32 v30, 28, v79
	v_sub_nc_u32_e32 v79, 29, v79
	s_delay_alu instid0(VALU_DEP_2) | instskip(NEXT) | instid1(VALU_DEP_1)
	v_lshlrev_b64 v[30:31], v30, v[8:9]
	v_and_b32_e32 v30, 7, v30
; %bb.855:                              ;   in Loop: Header=BB339_10 Depth=1
	s_or_b32 exec_lo, exec_lo, s22
	v_lshlrev_b32_e32 v8, 8, v78
	v_lshl_add_u32 v31, v79, 10, 0x2000
	s_delay_alu instid0(VALU_DEP_1) | instskip(NEXT) | instid1(VALU_DEP_1)
	v_and_or_b32 v8, 0x8000, v8, v31
	v_lshl_or_b32 v8, v30, 7, v8
	s_delay_alu instid0(VALU_DEP_1)
	v_cvt_f32_f16_e32 v123, v8
.LBB339_856:                            ;   in Loop: Header=BB339_10 Depth=1
	s_or_b32 exec_lo, exec_lo, s21
.LBB339_857:                            ;   in Loop: Header=BB339_10 Depth=1
	s_delay_alu instid0(SALU_CYCLE_1)
	s_or_b32 exec_lo, exec_lo, s20
.LBB339_858:                            ;   in Loop: Header=BB339_10 Depth=1
	s_delay_alu instid0(SALU_CYCLE_1) | instskip(SKIP_2) | instid1(VALU_DEP_1)
	s_or_b32 exec_lo, exec_lo, s4
	v_lshrrev_b32_e32 v78, 16, v77
	s_mov_b32 s4, exec_lo
	v_and_b32_e32 v8, 0xff, v78
	s_delay_alu instid0(VALU_DEP_1)
	v_cmpx_ne_u16_e32 0, v8
	s_cbranch_execz .LBB339_866
; %bb.859:                              ;   in Loop: Header=BB339_10 Depth=1
	v_bfrev_b32_e32 v121, 1
	s_mov_b32 s20, exec_lo
	v_cmpx_ne_u16_e32 0x80, v8
	s_cbranch_execz .LBB339_865
; %bb.860:                              ;   in Loop: Header=BB339_10 Depth=1
	v_bfe_u32 v88, v77, 16, 7
	v_mov_b32_e32 v121, 0x7fc02000
	s_mov_b32 s21, exec_lo
	s_delay_alu instid0(VALU_DEP_2)
	v_cmpx_ne_u32_e32 0x7f, v88
	s_cbranch_execz .LBB339_864
; %bb.861:                              ;   in Loop: Header=BB339_10 Depth=1
	v_and_b32_e32 v8, 7, v78
	v_lshrrev_b32_e32 v79, 3, v88
	v_mov_b32_e32 v31, v9
	s_mov_b32 s22, exec_lo
	s_delay_alu instid0(VALU_DEP_3)
	v_mov_b32_e32 v30, v8
	v_cmpx_gt_u32_e32 8, v88
; %bb.862:                              ;   in Loop: Header=BB339_10 Depth=1
	v_clz_i32_u32_e32 v30, v8
	s_delay_alu instid0(VALU_DEP_1) | instskip(NEXT) | instid1(VALU_DEP_1)
	v_min_u32_e32 v79, 32, v30
	v_subrev_nc_u32_e32 v30, 28, v79
	v_sub_nc_u32_e32 v79, 29, v79
	s_delay_alu instid0(VALU_DEP_2) | instskip(NEXT) | instid1(VALU_DEP_1)
	v_lshlrev_b64 v[30:31], v30, v[8:9]
	v_and_b32_e32 v30, 7, v30
; %bb.863:                              ;   in Loop: Header=BB339_10 Depth=1
	s_or_b32 exec_lo, exec_lo, s22
	v_lshlrev_b32_e32 v8, 8, v78
	v_lshl_add_u32 v31, v79, 10, 0x2000
	s_delay_alu instid0(VALU_DEP_1) | instskip(NEXT) | instid1(VALU_DEP_1)
	v_and_or_b32 v8, 0x8000, v8, v31
	v_lshl_or_b32 v8, v30, 7, v8
	s_delay_alu instid0(VALU_DEP_1)
	v_cvt_f32_f16_e32 v121, v8
.LBB339_864:                            ;   in Loop: Header=BB339_10 Depth=1
	s_or_b32 exec_lo, exec_lo, s21
.LBB339_865:                            ;   in Loop: Header=BB339_10 Depth=1
	s_delay_alu instid0(SALU_CYCLE_1)
	s_or_b32 exec_lo, exec_lo, s20
.LBB339_866:                            ;   in Loop: Header=BB339_10 Depth=1
	s_delay_alu instid0(SALU_CYCLE_1)
	s_or_b32 exec_lo, exec_lo, s4
	v_mov_b32_e32 v107, 0
	v_mov_b32_e32 v137, 0
	s_mov_b32 s4, exec_lo
	v_cmpx_lt_u32_e32 0xffffff, v77
	s_cbranch_execz .LBB339_874
; %bb.867:                              ;   in Loop: Header=BB339_10 Depth=1
	v_lshrrev_b32_e32 v77, 24, v77
	v_bfrev_b32_e32 v137, 1
	s_mov_b32 s20, exec_lo
	s_delay_alu instid0(VALU_DEP_2)
	v_cmpx_ne_u32_e32 0x80, v77
	s_cbranch_execz .LBB339_873
; %bb.868:                              ;   in Loop: Header=BB339_10 Depth=1
	v_and_b32_e32 v79, 0x7f, v77
	v_mov_b32_e32 v137, 0x7fc02000
	s_mov_b32 s21, exec_lo
	s_delay_alu instid0(VALU_DEP_2)
	v_cmpx_ne_u32_e32 0x7f, v79
	s_cbranch_execz .LBB339_872
; %bb.869:                              ;   in Loop: Header=BB339_10 Depth=1
	v_and_b32_e32 v8, 7, v77
	v_lshrrev_b32_e32 v78, 3, v79
	v_mov_b32_e32 v31, v9
	s_mov_b32 s22, exec_lo
	s_delay_alu instid0(VALU_DEP_3)
	v_mov_b32_e32 v30, v8
	v_cmpx_gt_u32_e32 8, v79
; %bb.870:                              ;   in Loop: Header=BB339_10 Depth=1
	v_clz_i32_u32_e32 v30, v8
	s_delay_alu instid0(VALU_DEP_1) | instskip(NEXT) | instid1(VALU_DEP_1)
	v_min_u32_e32 v78, 32, v30
	v_subrev_nc_u32_e32 v30, 28, v78
	v_sub_nc_u32_e32 v78, 29, v78
	s_delay_alu instid0(VALU_DEP_2) | instskip(NEXT) | instid1(VALU_DEP_1)
	v_lshlrev_b64 v[30:31], v30, v[8:9]
	v_and_b32_e32 v30, 7, v30
; %bb.871:                              ;   in Loop: Header=BB339_10 Depth=1
	s_or_b32 exec_lo, exec_lo, s22
	v_lshlrev_b32_e32 v8, 8, v77
	v_lshl_add_u32 v31, v78, 10, 0x2000
	s_delay_alu instid0(VALU_DEP_1) | instskip(NEXT) | instid1(VALU_DEP_1)
	v_and_or_b32 v8, 0x8000, v8, v31
	v_lshl_or_b32 v8, v30, 7, v8
	s_delay_alu instid0(VALU_DEP_1)
	v_cvt_f32_f16_e64 v137, v8
.LBB339_872:                            ;   in Loop: Header=BB339_10 Depth=1
	s_or_b32 exec_lo, exec_lo, s21
.LBB339_873:                            ;   in Loop: Header=BB339_10 Depth=1
	s_delay_alu instid0(SALU_CYCLE_1)
	s_or_b32 exec_lo, exec_lo, s20
.LBB339_874:                            ;   in Loop: Header=BB339_10 Depth=1
	s_delay_alu instid0(SALU_CYCLE_1) | instskip(SKIP_4) | instid1(VALU_DEP_1)
	s_or_b32 exec_lo, exec_lo, s4
	flat_load_b32 v77, v[28:29] offset:3336
	s_mov_b32 s4, exec_lo
	s_waitcnt vmcnt(0) lgkmcnt(0)
	v_and_b32_e32 v8, 0xff, v77
	v_cmpx_ne_u16_e32 0, v8
	s_cbranch_execz .LBB339_882
; %bb.875:                              ;   in Loop: Header=BB339_10 Depth=1
	v_bfrev_b32_e32 v107, 1
	s_mov_b32 s20, exec_lo
	v_cmpx_ne_u16_e32 0x80, v8
	s_cbranch_execz .LBB339_881
; %bb.876:                              ;   in Loop: Header=BB339_10 Depth=1
	v_and_b32_e32 v79, 0x7f, v77
	v_mov_b32_e32 v107, 0x7fc02000
	s_mov_b32 s21, exec_lo
	s_delay_alu instid0(VALU_DEP_2)
	v_cmpx_ne_u32_e32 0x7f, v79
	s_cbranch_execz .LBB339_880
; %bb.877:                              ;   in Loop: Header=BB339_10 Depth=1
	v_and_b32_e32 v8, 7, v77
	v_lshrrev_b32_e32 v78, 3, v79
	v_mov_b32_e32 v31, v9
	s_mov_b32 s22, exec_lo
	s_delay_alu instid0(VALU_DEP_3)
	v_mov_b32_e32 v30, v8
	v_cmpx_gt_u32_e32 8, v79
; %bb.878:                              ;   in Loop: Header=BB339_10 Depth=1
	v_clz_i32_u32_e32 v30, v8
	s_delay_alu instid0(VALU_DEP_1) | instskip(NEXT) | instid1(VALU_DEP_1)
	v_min_u32_e32 v78, 32, v30
	v_subrev_nc_u32_e32 v30, 28, v78
	v_sub_nc_u32_e32 v78, 29, v78
	s_delay_alu instid0(VALU_DEP_2) | instskip(NEXT) | instid1(VALU_DEP_1)
	v_lshlrev_b64 v[30:31], v30, v[8:9]
	v_and_b32_e32 v30, 7, v30
; %bb.879:                              ;   in Loop: Header=BB339_10 Depth=1
	s_or_b32 exec_lo, exec_lo, s22
	v_lshlrev_b32_e32 v8, 8, v77
	v_lshl_add_u32 v31, v78, 10, 0x2000
	s_delay_alu instid0(VALU_DEP_1) | instskip(NEXT) | instid1(VALU_DEP_1)
	v_and_or_b32 v8, 0x8000, v8, v31
	v_lshl_or_b32 v8, v30, 7, v8
	s_delay_alu instid0(VALU_DEP_1)
	v_cvt_f32_f16_e32 v107, v8
.LBB339_880:                            ;   in Loop: Header=BB339_10 Depth=1
	s_or_b32 exec_lo, exec_lo, s21
.LBB339_881:                            ;   in Loop: Header=BB339_10 Depth=1
	s_delay_alu instid0(SALU_CYCLE_1)
	s_or_b32 exec_lo, exec_lo, s20
.LBB339_882:                            ;   in Loop: Header=BB339_10 Depth=1
	s_delay_alu instid0(SALU_CYCLE_1) | instskip(SKIP_3) | instid1(VALU_DEP_2)
	s_or_b32 exec_lo, exec_lo, s4
	v_lshrrev_b16 v8, 8, v77
	v_dual_mov_b32 v108, 0 :: v_dual_mov_b32 v109, 0
	s_mov_b32 s4, exec_lo
	v_cmpx_ne_u16_e32 0, v8
	s_cbranch_execz .LBB339_890
; %bb.883:                              ;   in Loop: Header=BB339_10 Depth=1
	v_bfrev_b32_e32 v109, 1
	s_mov_b32 s20, exec_lo
	v_cmpx_ne_u16_e32 0x80, v8
	s_cbranch_execz .LBB339_889
; %bb.884:                              ;   in Loop: Header=BB339_10 Depth=1
	v_and_b32_e32 v78, 0xffff, v8
	v_mov_b32_e32 v109, 0x7fc02000
	s_mov_b32 s21, exec_lo
	s_delay_alu instid0(VALU_DEP_2) | instskip(NEXT) | instid1(VALU_DEP_1)
	v_and_b32_e32 v88, 0x7f, v78
	v_cmpx_ne_u32_e32 0x7f, v88
	s_cbranch_execz .LBB339_888
; %bb.885:                              ;   in Loop: Header=BB339_10 Depth=1
	v_and_b32_e32 v8, 7, v78
	v_lshrrev_b32_e32 v79, 3, v88
	v_mov_b32_e32 v31, v9
	s_mov_b32 s22, exec_lo
	s_delay_alu instid0(VALU_DEP_3)
	v_mov_b32_e32 v30, v8
	v_cmpx_gt_u32_e32 8, v88
; %bb.886:                              ;   in Loop: Header=BB339_10 Depth=1
	v_clz_i32_u32_e32 v30, v8
	s_delay_alu instid0(VALU_DEP_1) | instskip(NEXT) | instid1(VALU_DEP_1)
	v_min_u32_e32 v79, 32, v30
	v_subrev_nc_u32_e32 v30, 28, v79
	v_sub_nc_u32_e32 v79, 29, v79
	s_delay_alu instid0(VALU_DEP_2) | instskip(NEXT) | instid1(VALU_DEP_1)
	v_lshlrev_b64 v[30:31], v30, v[8:9]
	v_and_b32_e32 v30, 7, v30
; %bb.887:                              ;   in Loop: Header=BB339_10 Depth=1
	s_or_b32 exec_lo, exec_lo, s22
	v_lshlrev_b32_e32 v8, 8, v78
	v_lshl_add_u32 v31, v79, 10, 0x2000
	s_delay_alu instid0(VALU_DEP_1) | instskip(NEXT) | instid1(VALU_DEP_1)
	v_and_or_b32 v8, 0x8000, v8, v31
	v_lshl_or_b32 v8, v30, 7, v8
	s_delay_alu instid0(VALU_DEP_1)
	v_cvt_f32_f16_e32 v109, v8
.LBB339_888:                            ;   in Loop: Header=BB339_10 Depth=1
	s_or_b32 exec_lo, exec_lo, s21
.LBB339_889:                            ;   in Loop: Header=BB339_10 Depth=1
	s_delay_alu instid0(SALU_CYCLE_1)
	s_or_b32 exec_lo, exec_lo, s20
.LBB339_890:                            ;   in Loop: Header=BB339_10 Depth=1
	s_delay_alu instid0(SALU_CYCLE_1) | instskip(SKIP_2) | instid1(VALU_DEP_1)
	s_or_b32 exec_lo, exec_lo, s4
	v_lshrrev_b32_e32 v78, 16, v77
	s_mov_b32 s4, exec_lo
	v_and_b32_e32 v8, 0xff, v78
	s_delay_alu instid0(VALU_DEP_1)
	v_cmpx_ne_u16_e32 0, v8
	s_cbranch_execz .LBB339_898
; %bb.891:                              ;   in Loop: Header=BB339_10 Depth=1
	v_bfrev_b32_e32 v108, 1
	s_mov_b32 s20, exec_lo
	v_cmpx_ne_u16_e32 0x80, v8
	s_cbranch_execz .LBB339_897
; %bb.892:                              ;   in Loop: Header=BB339_10 Depth=1
	v_bfe_u32 v88, v77, 16, 7
	v_mov_b32_e32 v108, 0x7fc02000
	s_mov_b32 s21, exec_lo
	s_delay_alu instid0(VALU_DEP_2)
	v_cmpx_ne_u32_e32 0x7f, v88
	s_cbranch_execz .LBB339_896
; %bb.893:                              ;   in Loop: Header=BB339_10 Depth=1
	v_and_b32_e32 v8, 7, v78
	v_lshrrev_b32_e32 v79, 3, v88
	v_mov_b32_e32 v31, v9
	s_mov_b32 s22, exec_lo
	s_delay_alu instid0(VALU_DEP_3)
	v_mov_b32_e32 v30, v8
	v_cmpx_gt_u32_e32 8, v88
; %bb.894:                              ;   in Loop: Header=BB339_10 Depth=1
	v_clz_i32_u32_e32 v30, v8
	s_delay_alu instid0(VALU_DEP_1) | instskip(NEXT) | instid1(VALU_DEP_1)
	v_min_u32_e32 v79, 32, v30
	v_subrev_nc_u32_e32 v30, 28, v79
	v_sub_nc_u32_e32 v79, 29, v79
	s_delay_alu instid0(VALU_DEP_2) | instskip(NEXT) | instid1(VALU_DEP_1)
	v_lshlrev_b64 v[30:31], v30, v[8:9]
	v_and_b32_e32 v30, 7, v30
; %bb.895:                              ;   in Loop: Header=BB339_10 Depth=1
	s_or_b32 exec_lo, exec_lo, s22
	v_lshlrev_b32_e32 v8, 8, v78
	v_lshl_add_u32 v31, v79, 10, 0x2000
	s_delay_alu instid0(VALU_DEP_1) | instskip(NEXT) | instid1(VALU_DEP_1)
	v_and_or_b32 v8, 0x8000, v8, v31
	v_lshl_or_b32 v8, v30, 7, v8
	s_delay_alu instid0(VALU_DEP_1)
	v_cvt_f32_f16_e32 v108, v8
.LBB339_896:                            ;   in Loop: Header=BB339_10 Depth=1
	s_or_b32 exec_lo, exec_lo, s21
.LBB339_897:                            ;   in Loop: Header=BB339_10 Depth=1
	s_delay_alu instid0(SALU_CYCLE_1)
	s_or_b32 exec_lo, exec_lo, s20
.LBB339_898:                            ;   in Loop: Header=BB339_10 Depth=1
	s_delay_alu instid0(SALU_CYCLE_1)
	s_or_b32 exec_lo, exec_lo, s4
	v_dual_mov_b32 v93, 0 :: v_dual_mov_b32 v124, 0
	s_mov_b32 s4, exec_lo
	v_cmpx_lt_u32_e32 0xffffff, v77
	s_cbranch_execz .LBB339_906
; %bb.899:                              ;   in Loop: Header=BB339_10 Depth=1
	v_lshrrev_b32_e32 v77, 24, v77
	v_bfrev_b32_e32 v124, 1
	s_mov_b32 s20, exec_lo
	s_delay_alu instid0(VALU_DEP_2)
	v_cmpx_ne_u32_e32 0x80, v77
	s_cbranch_execz .LBB339_905
; %bb.900:                              ;   in Loop: Header=BB339_10 Depth=1
	v_and_b32_e32 v79, 0x7f, v77
	v_mov_b32_e32 v124, 0x7fc02000
	s_mov_b32 s21, exec_lo
	s_delay_alu instid0(VALU_DEP_2)
	v_cmpx_ne_u32_e32 0x7f, v79
	s_cbranch_execz .LBB339_904
; %bb.901:                              ;   in Loop: Header=BB339_10 Depth=1
	v_and_b32_e32 v8, 7, v77
	v_lshrrev_b32_e32 v78, 3, v79
	v_mov_b32_e32 v31, v9
	s_mov_b32 s22, exec_lo
	s_delay_alu instid0(VALU_DEP_3)
	v_mov_b32_e32 v30, v8
	v_cmpx_gt_u32_e32 8, v79
; %bb.902:                              ;   in Loop: Header=BB339_10 Depth=1
	v_clz_i32_u32_e32 v30, v8
	s_delay_alu instid0(VALU_DEP_1) | instskip(NEXT) | instid1(VALU_DEP_1)
	v_min_u32_e32 v78, 32, v30
	v_subrev_nc_u32_e32 v30, 28, v78
	v_sub_nc_u32_e32 v78, 29, v78
	s_delay_alu instid0(VALU_DEP_2) | instskip(NEXT) | instid1(VALU_DEP_1)
	v_lshlrev_b64 v[30:31], v30, v[8:9]
	v_and_b32_e32 v30, 7, v30
; %bb.903:                              ;   in Loop: Header=BB339_10 Depth=1
	s_or_b32 exec_lo, exec_lo, s22
	v_lshlrev_b32_e32 v8, 8, v77
	v_lshl_add_u32 v31, v78, 10, 0x2000
	s_delay_alu instid0(VALU_DEP_1) | instskip(NEXT) | instid1(VALU_DEP_1)
	v_and_or_b32 v8, 0x8000, v8, v31
	v_lshl_or_b32 v8, v30, 7, v8
	s_delay_alu instid0(VALU_DEP_1)
	v_cvt_f32_f16_e32 v124, v8
.LBB339_904:                            ;   in Loop: Header=BB339_10 Depth=1
	s_or_b32 exec_lo, exec_lo, s21
.LBB339_905:                            ;   in Loop: Header=BB339_10 Depth=1
	s_delay_alu instid0(SALU_CYCLE_1)
	s_or_b32 exec_lo, exec_lo, s20
.LBB339_906:                            ;   in Loop: Header=BB339_10 Depth=1
	s_delay_alu instid0(SALU_CYCLE_1) | instskip(SKIP_4) | instid1(VALU_DEP_1)
	s_or_b32 exec_lo, exec_lo, s4
	flat_load_b32 v77, v[28:29] offset:3584
	s_mov_b32 s4, exec_lo
	s_waitcnt vmcnt(0) lgkmcnt(0)
	v_and_b32_e32 v8, 0xff, v77
	v_cmpx_ne_u16_e32 0, v8
	s_cbranch_execz .LBB339_914
; %bb.907:                              ;   in Loop: Header=BB339_10 Depth=1
	v_bfrev_b32_e32 v93, 1
	s_mov_b32 s20, exec_lo
	v_cmpx_ne_u16_e32 0x80, v8
	s_cbranch_execz .LBB339_913
; %bb.908:                              ;   in Loop: Header=BB339_10 Depth=1
	v_and_b32_e32 v79, 0x7f, v77
	v_mov_b32_e32 v93, 0x7fc02000
	s_mov_b32 s21, exec_lo
	s_delay_alu instid0(VALU_DEP_2)
	v_cmpx_ne_u32_e32 0x7f, v79
	s_cbranch_execz .LBB339_912
; %bb.909:                              ;   in Loop: Header=BB339_10 Depth=1
	v_and_b32_e32 v8, 7, v77
	v_lshrrev_b32_e32 v78, 3, v79
	v_mov_b32_e32 v31, v9
	s_mov_b32 s22, exec_lo
	s_delay_alu instid0(VALU_DEP_3)
	v_mov_b32_e32 v30, v8
	v_cmpx_gt_u32_e32 8, v79
; %bb.910:                              ;   in Loop: Header=BB339_10 Depth=1
	v_clz_i32_u32_e32 v30, v8
	s_delay_alu instid0(VALU_DEP_1) | instskip(NEXT) | instid1(VALU_DEP_1)
	v_min_u32_e32 v78, 32, v30
	v_subrev_nc_u32_e32 v30, 28, v78
	v_sub_nc_u32_e32 v78, 29, v78
	s_delay_alu instid0(VALU_DEP_2) | instskip(NEXT) | instid1(VALU_DEP_1)
	v_lshlrev_b64 v[30:31], v30, v[8:9]
	v_and_b32_e32 v30, 7, v30
; %bb.911:                              ;   in Loop: Header=BB339_10 Depth=1
	s_or_b32 exec_lo, exec_lo, s22
	v_lshlrev_b32_e32 v8, 8, v77
	v_lshl_add_u32 v31, v78, 10, 0x2000
	s_delay_alu instid0(VALU_DEP_1) | instskip(NEXT) | instid1(VALU_DEP_1)
	v_and_or_b32 v8, 0x8000, v8, v31
	v_lshl_or_b32 v8, v30, 7, v8
	s_delay_alu instid0(VALU_DEP_1)
	v_cvt_f32_f16_e32 v93, v8
.LBB339_912:                            ;   in Loop: Header=BB339_10 Depth=1
	s_or_b32 exec_lo, exec_lo, s21
.LBB339_913:                            ;   in Loop: Header=BB339_10 Depth=1
	s_delay_alu instid0(SALU_CYCLE_1)
	s_or_b32 exec_lo, exec_lo, s20
.LBB339_914:                            ;   in Loop: Header=BB339_10 Depth=1
	s_delay_alu instid0(SALU_CYCLE_1) | instskip(SKIP_3) | instid1(VALU_DEP_2)
	s_or_b32 exec_lo, exec_lo, s4
	v_lshrrev_b16 v8, 8, v77
	v_dual_mov_b32 v94, 0 :: v_dual_mov_b32 v95, 0
	s_mov_b32 s4, exec_lo
	v_cmpx_ne_u16_e32 0, v8
	s_cbranch_execz .LBB339_922
; %bb.915:                              ;   in Loop: Header=BB339_10 Depth=1
	v_bfrev_b32_e32 v95, 1
	s_mov_b32 s20, exec_lo
	v_cmpx_ne_u16_e32 0x80, v8
	s_cbranch_execz .LBB339_921
; %bb.916:                              ;   in Loop: Header=BB339_10 Depth=1
	v_and_b32_e32 v78, 0xffff, v8
	v_mov_b32_e32 v95, 0x7fc02000
	s_mov_b32 s21, exec_lo
	s_delay_alu instid0(VALU_DEP_2) | instskip(NEXT) | instid1(VALU_DEP_1)
	v_and_b32_e32 v88, 0x7f, v78
	v_cmpx_ne_u32_e32 0x7f, v88
	s_cbranch_execz .LBB339_920
; %bb.917:                              ;   in Loop: Header=BB339_10 Depth=1
	v_and_b32_e32 v8, 7, v78
	v_lshrrev_b32_e32 v79, 3, v88
	v_mov_b32_e32 v31, v9
	s_mov_b32 s22, exec_lo
	s_delay_alu instid0(VALU_DEP_3)
	v_mov_b32_e32 v30, v8
	v_cmpx_gt_u32_e32 8, v88
; %bb.918:                              ;   in Loop: Header=BB339_10 Depth=1
	v_clz_i32_u32_e32 v30, v8
	s_delay_alu instid0(VALU_DEP_1) | instskip(NEXT) | instid1(VALU_DEP_1)
	v_min_u32_e32 v79, 32, v30
	v_subrev_nc_u32_e32 v30, 28, v79
	v_sub_nc_u32_e32 v79, 29, v79
	s_delay_alu instid0(VALU_DEP_2) | instskip(NEXT) | instid1(VALU_DEP_1)
	v_lshlrev_b64 v[30:31], v30, v[8:9]
	v_and_b32_e32 v30, 7, v30
; %bb.919:                              ;   in Loop: Header=BB339_10 Depth=1
	s_or_b32 exec_lo, exec_lo, s22
	v_lshlrev_b32_e32 v8, 8, v78
	v_lshl_add_u32 v31, v79, 10, 0x2000
	s_delay_alu instid0(VALU_DEP_1) | instskip(NEXT) | instid1(VALU_DEP_1)
	v_and_or_b32 v8, 0x8000, v8, v31
	v_lshl_or_b32 v8, v30, 7, v8
	s_delay_alu instid0(VALU_DEP_1)
	v_cvt_f32_f16_e32 v95, v8
.LBB339_920:                            ;   in Loop: Header=BB339_10 Depth=1
	s_or_b32 exec_lo, exec_lo, s21
.LBB339_921:                            ;   in Loop: Header=BB339_10 Depth=1
	s_delay_alu instid0(SALU_CYCLE_1)
	s_or_b32 exec_lo, exec_lo, s20
.LBB339_922:                            ;   in Loop: Header=BB339_10 Depth=1
	s_delay_alu instid0(SALU_CYCLE_1) | instskip(SKIP_2) | instid1(VALU_DEP_1)
	s_or_b32 exec_lo, exec_lo, s4
	v_lshrrev_b32_e32 v78, 16, v77
	s_mov_b32 s4, exec_lo
	v_and_b32_e32 v8, 0xff, v78
	s_delay_alu instid0(VALU_DEP_1)
	v_cmpx_ne_u16_e32 0, v8
	s_cbranch_execz .LBB339_930
; %bb.923:                              ;   in Loop: Header=BB339_10 Depth=1
	v_bfrev_b32_e32 v94, 1
	s_mov_b32 s20, exec_lo
	v_cmpx_ne_u16_e32 0x80, v8
	s_cbranch_execz .LBB339_929
; %bb.924:                              ;   in Loop: Header=BB339_10 Depth=1
	v_bfe_u32 v88, v77, 16, 7
	v_mov_b32_e32 v94, 0x7fc02000
	s_mov_b32 s21, exec_lo
	s_delay_alu instid0(VALU_DEP_2)
	v_cmpx_ne_u32_e32 0x7f, v88
	s_cbranch_execz .LBB339_928
; %bb.925:                              ;   in Loop: Header=BB339_10 Depth=1
	v_and_b32_e32 v8, 7, v78
	v_lshrrev_b32_e32 v79, 3, v88
	v_mov_b32_e32 v31, v9
	s_mov_b32 s22, exec_lo
	s_delay_alu instid0(VALU_DEP_3)
	v_mov_b32_e32 v30, v8
	v_cmpx_gt_u32_e32 8, v88
; %bb.926:                              ;   in Loop: Header=BB339_10 Depth=1
	v_clz_i32_u32_e32 v30, v8
	s_delay_alu instid0(VALU_DEP_1) | instskip(NEXT) | instid1(VALU_DEP_1)
	v_min_u32_e32 v79, 32, v30
	v_subrev_nc_u32_e32 v30, 28, v79
	v_sub_nc_u32_e32 v79, 29, v79
	s_delay_alu instid0(VALU_DEP_2) | instskip(NEXT) | instid1(VALU_DEP_1)
	v_lshlrev_b64 v[30:31], v30, v[8:9]
	v_and_b32_e32 v30, 7, v30
; %bb.927:                              ;   in Loop: Header=BB339_10 Depth=1
	s_or_b32 exec_lo, exec_lo, s22
	v_lshlrev_b32_e32 v8, 8, v78
	v_lshl_add_u32 v31, v79, 10, 0x2000
	s_delay_alu instid0(VALU_DEP_1) | instskip(NEXT) | instid1(VALU_DEP_1)
	v_and_or_b32 v8, 0x8000, v8, v31
	v_lshl_or_b32 v8, v30, 7, v8
	s_delay_alu instid0(VALU_DEP_1)
	v_cvt_f32_f16_e32 v94, v8
.LBB339_928:                            ;   in Loop: Header=BB339_10 Depth=1
	s_or_b32 exec_lo, exec_lo, s21
.LBB339_929:                            ;   in Loop: Header=BB339_10 Depth=1
	s_delay_alu instid0(SALU_CYCLE_1)
	s_or_b32 exec_lo, exec_lo, s20
.LBB339_930:                            ;   in Loop: Header=BB339_10 Depth=1
	s_delay_alu instid0(SALU_CYCLE_1)
	s_or_b32 exec_lo, exec_lo, s4
	v_dual_mov_b32 v79, 0 :: v_dual_mov_b32 v110, 0
	s_mov_b32 s4, exec_lo
	v_cmpx_lt_u32_e32 0xffffff, v77
	s_cbranch_execz .LBB339_938
; %bb.931:                              ;   in Loop: Header=BB339_10 Depth=1
	v_lshrrev_b32_e32 v77, 24, v77
	v_bfrev_b32_e32 v110, 1
	s_mov_b32 s20, exec_lo
	s_delay_alu instid0(VALU_DEP_2)
	v_cmpx_ne_u32_e32 0x80, v77
	s_cbranch_execz .LBB339_937
; %bb.932:                              ;   in Loop: Header=BB339_10 Depth=1
	v_and_b32_e32 v88, 0x7f, v77
	v_mov_b32_e32 v110, 0x7fc02000
	s_mov_b32 s21, exec_lo
	s_delay_alu instid0(VALU_DEP_2)
	v_cmpx_ne_u32_e32 0x7f, v88
	s_cbranch_execz .LBB339_936
; %bb.933:                              ;   in Loop: Header=BB339_10 Depth=1
	v_and_b32_e32 v8, 7, v77
	v_lshrrev_b32_e32 v78, 3, v88
	v_mov_b32_e32 v31, v9
	s_mov_b32 s22, exec_lo
	s_delay_alu instid0(VALU_DEP_3)
	v_mov_b32_e32 v30, v8
	v_cmpx_gt_u32_e32 8, v88
; %bb.934:                              ;   in Loop: Header=BB339_10 Depth=1
	v_clz_i32_u32_e32 v30, v8
	s_delay_alu instid0(VALU_DEP_1) | instskip(NEXT) | instid1(VALU_DEP_1)
	v_min_u32_e32 v78, 32, v30
	v_subrev_nc_u32_e32 v30, 28, v78
	v_sub_nc_u32_e32 v78, 29, v78
	s_delay_alu instid0(VALU_DEP_2) | instskip(NEXT) | instid1(VALU_DEP_1)
	v_lshlrev_b64 v[30:31], v30, v[8:9]
	v_and_b32_e32 v30, 7, v30
; %bb.935:                              ;   in Loop: Header=BB339_10 Depth=1
	s_or_b32 exec_lo, exec_lo, s22
	v_lshlrev_b32_e32 v8, 8, v77
	v_lshl_add_u32 v31, v78, 10, 0x2000
	s_delay_alu instid0(VALU_DEP_1) | instskip(NEXT) | instid1(VALU_DEP_1)
	v_and_or_b32 v8, 0x8000, v8, v31
	v_lshl_or_b32 v8, v30, 7, v8
	s_delay_alu instid0(VALU_DEP_1)
	v_cvt_f32_f16_e32 v110, v8
.LBB339_936:                            ;   in Loop: Header=BB339_10 Depth=1
	s_or_b32 exec_lo, exec_lo, s21
.LBB339_937:                            ;   in Loop: Header=BB339_10 Depth=1
	s_delay_alu instid0(SALU_CYCLE_1)
	s_or_b32 exec_lo, exec_lo, s20
.LBB339_938:                            ;   in Loop: Header=BB339_10 Depth=1
	s_delay_alu instid0(SALU_CYCLE_1) | instskip(SKIP_4) | instid1(VALU_DEP_1)
	s_or_b32 exec_lo, exec_lo, s4
	flat_load_b32 v77, v[28:29] offset:3592
	s_mov_b32 s4, exec_lo
	s_waitcnt vmcnt(0) lgkmcnt(0)
	v_and_b32_e32 v8, 0xff, v77
	v_cmpx_ne_u16_e32 0, v8
	s_cbranch_execz .LBB339_946
; %bb.939:                              ;   in Loop: Header=BB339_10 Depth=1
	v_bfrev_b32_e32 v79, 1
	s_mov_b32 s20, exec_lo
	v_cmpx_ne_u16_e32 0x80, v8
	s_cbranch_execz .LBB339_945
; %bb.940:                              ;   in Loop: Header=BB339_10 Depth=1
	v_and_b32_e32 v88, 0x7f, v77
	v_mov_b32_e32 v79, 0x7fc02000
	s_mov_b32 s21, exec_lo
	s_delay_alu instid0(VALU_DEP_2)
	v_cmpx_ne_u32_e32 0x7f, v88
	s_cbranch_execz .LBB339_944
; %bb.941:                              ;   in Loop: Header=BB339_10 Depth=1
	v_and_b32_e32 v8, 7, v77
	v_lshrrev_b32_e32 v78, 3, v88
	v_mov_b32_e32 v31, v9
	s_mov_b32 s22, exec_lo
	s_delay_alu instid0(VALU_DEP_3)
	v_mov_b32_e32 v30, v8
	v_cmpx_gt_u32_e32 8, v88
; %bb.942:                              ;   in Loop: Header=BB339_10 Depth=1
	v_clz_i32_u32_e32 v30, v8
	s_delay_alu instid0(VALU_DEP_1) | instskip(NEXT) | instid1(VALU_DEP_1)
	v_min_u32_e32 v78, 32, v30
	v_subrev_nc_u32_e32 v30, 28, v78
	v_sub_nc_u32_e32 v78, 29, v78
	s_delay_alu instid0(VALU_DEP_2) | instskip(NEXT) | instid1(VALU_DEP_1)
	v_lshlrev_b64 v[30:31], v30, v[8:9]
	v_and_b32_e32 v30, 7, v30
; %bb.943:                              ;   in Loop: Header=BB339_10 Depth=1
	s_or_b32 exec_lo, exec_lo, s22
	v_lshlrev_b32_e32 v8, 8, v77
	v_lshl_add_u32 v31, v78, 10, 0x2000
	s_delay_alu instid0(VALU_DEP_1) | instskip(NEXT) | instid1(VALU_DEP_1)
	v_and_or_b32 v8, 0x8000, v8, v31
	v_lshl_or_b32 v8, v30, 7, v8
	s_delay_alu instid0(VALU_DEP_1)
	v_cvt_f32_f16_e32 v79, v8
.LBB339_944:                            ;   in Loop: Header=BB339_10 Depth=1
	s_or_b32 exec_lo, exec_lo, s21
.LBB339_945:                            ;   in Loop: Header=BB339_10 Depth=1
	s_delay_alu instid0(SALU_CYCLE_1)
	s_or_b32 exec_lo, exec_lo, s20
.LBB339_946:                            ;   in Loop: Header=BB339_10 Depth=1
	s_delay_alu instid0(SALU_CYCLE_1) | instskip(SKIP_3) | instid1(VALU_DEP_2)
	s_or_b32 exec_lo, exec_lo, s4
	v_lshrrev_b16 v8, 8, v77
	v_dual_mov_b32 v88, 0 :: v_dual_mov_b32 v89, 0
	s_mov_b32 s4, exec_lo
	v_cmpx_ne_u16_e32 0, v8
	s_cbranch_execz .LBB339_954
; %bb.947:                              ;   in Loop: Header=BB339_10 Depth=1
	v_bfrev_b32_e32 v89, 1
	s_mov_b32 s20, exec_lo
	v_cmpx_ne_u16_e32 0x80, v8
	s_cbranch_execz .LBB339_953
; %bb.948:                              ;   in Loop: Header=BB339_10 Depth=1
	v_and_b32_e32 v78, 0xffff, v8
	v_mov_b32_e32 v89, 0x7fc02000
	s_mov_b32 s21, exec_lo
	s_delay_alu instid0(VALU_DEP_2) | instskip(NEXT) | instid1(VALU_DEP_1)
	v_and_b32_e32 v92, 0x7f, v78
	v_cmpx_ne_u32_e32 0x7f, v92
	s_cbranch_execz .LBB339_952
; %bb.949:                              ;   in Loop: Header=BB339_10 Depth=1
	v_and_b32_e32 v8, 7, v78
	v_lshrrev_b32_e32 v89, 3, v92
	v_mov_b32_e32 v31, v9
	s_mov_b32 s22, exec_lo
	s_delay_alu instid0(VALU_DEP_3)
	v_mov_b32_e32 v30, v8
	v_cmpx_gt_u32_e32 8, v92
; %bb.950:                              ;   in Loop: Header=BB339_10 Depth=1
	v_clz_i32_u32_e32 v30, v8
	s_delay_alu instid0(VALU_DEP_1) | instskip(NEXT) | instid1(VALU_DEP_1)
	v_min_u32_e32 v89, 32, v30
	v_subrev_nc_u32_e32 v30, 28, v89
	v_sub_nc_u32_e32 v89, 29, v89
	s_delay_alu instid0(VALU_DEP_2) | instskip(NEXT) | instid1(VALU_DEP_1)
	v_lshlrev_b64 v[30:31], v30, v[8:9]
	v_and_b32_e32 v30, 7, v30
; %bb.951:                              ;   in Loop: Header=BB339_10 Depth=1
	s_or_b32 exec_lo, exec_lo, s22
	v_lshlrev_b32_e32 v8, 8, v78
	v_lshl_add_u32 v31, v89, 10, 0x2000
	s_delay_alu instid0(VALU_DEP_1) | instskip(NEXT) | instid1(VALU_DEP_1)
	v_and_or_b32 v8, 0x8000, v8, v31
	v_lshl_or_b32 v8, v30, 7, v8
	s_delay_alu instid0(VALU_DEP_1)
	v_cvt_f32_f16_e32 v89, v8
.LBB339_952:                            ;   in Loop: Header=BB339_10 Depth=1
	s_or_b32 exec_lo, exec_lo, s21
.LBB339_953:                            ;   in Loop: Header=BB339_10 Depth=1
	s_delay_alu instid0(SALU_CYCLE_1)
	s_or_b32 exec_lo, exec_lo, s20
.LBB339_954:                            ;   in Loop: Header=BB339_10 Depth=1
	s_delay_alu instid0(SALU_CYCLE_1) | instskip(SKIP_2) | instid1(VALU_DEP_1)
	s_or_b32 exec_lo, exec_lo, s4
	v_lshrrev_b32_e32 v78, 16, v77
	s_mov_b32 s4, exec_lo
	v_and_b32_e32 v8, 0xff, v78
	s_delay_alu instid0(VALU_DEP_1)
	v_cmpx_ne_u16_e32 0, v8
	s_cbranch_execz .LBB339_962
; %bb.955:                              ;   in Loop: Header=BB339_10 Depth=1
	v_bfrev_b32_e32 v88, 1
	s_mov_b32 s20, exec_lo
	v_cmpx_ne_u16_e32 0x80, v8
	s_cbranch_execz .LBB339_961
; %bb.956:                              ;   in Loop: Header=BB339_10 Depth=1
	v_bfe_u32 v92, v77, 16, 7
	v_mov_b32_e32 v88, 0x7fc02000
	s_mov_b32 s21, exec_lo
	s_delay_alu instid0(VALU_DEP_2)
	v_cmpx_ne_u32_e32 0x7f, v92
	s_cbranch_execz .LBB339_960
; %bb.957:                              ;   in Loop: Header=BB339_10 Depth=1
	v_and_b32_e32 v8, 7, v78
	v_lshrrev_b32_e32 v88, 3, v92
	v_mov_b32_e32 v31, v9
	s_mov_b32 s22, exec_lo
	s_delay_alu instid0(VALU_DEP_3)
	v_mov_b32_e32 v30, v8
	v_cmpx_gt_u32_e32 8, v92
; %bb.958:                              ;   in Loop: Header=BB339_10 Depth=1
	v_clz_i32_u32_e32 v30, v8
	s_delay_alu instid0(VALU_DEP_1) | instskip(NEXT) | instid1(VALU_DEP_1)
	v_min_u32_e32 v88, 32, v30
	v_subrev_nc_u32_e32 v30, 28, v88
	v_sub_nc_u32_e32 v88, 29, v88
	s_delay_alu instid0(VALU_DEP_2) | instskip(NEXT) | instid1(VALU_DEP_1)
	v_lshlrev_b64 v[30:31], v30, v[8:9]
	v_and_b32_e32 v30, 7, v30
; %bb.959:                              ;   in Loop: Header=BB339_10 Depth=1
	s_or_b32 exec_lo, exec_lo, s22
	v_lshlrev_b32_e32 v8, 8, v78
	v_lshl_add_u32 v31, v88, 10, 0x2000
	s_delay_alu instid0(VALU_DEP_1) | instskip(NEXT) | instid1(VALU_DEP_1)
	v_and_or_b32 v8, 0x8000, v8, v31
	v_lshl_or_b32 v8, v30, 7, v8
	s_delay_alu instid0(VALU_DEP_1)
	v_cvt_f32_f16_e32 v88, v8
.LBB339_960:                            ;   in Loop: Header=BB339_10 Depth=1
	s_or_b32 exec_lo, exec_lo, s21
.LBB339_961:                            ;   in Loop: Header=BB339_10 Depth=1
	s_delay_alu instid0(SALU_CYCLE_1)
	s_or_b32 exec_lo, exec_lo, s20
.LBB339_962:                            ;   in Loop: Header=BB339_10 Depth=1
	s_delay_alu instid0(SALU_CYCLE_1)
	s_or_b32 exec_lo, exec_lo, s4
	v_mov_b32_e32 v78, 0
	v_mov_b32_e32 v106, 0
	s_mov_b32 s4, exec_lo
	v_cmpx_lt_u32_e32 0xffffff, v77
	s_cbranch_execz .LBB339_970
; %bb.963:                              ;   in Loop: Header=BB339_10 Depth=1
	v_lshrrev_b32_e32 v77, 24, v77
	v_bfrev_b32_e32 v106, 1
	s_mov_b32 s20, exec_lo
	s_delay_alu instid0(VALU_DEP_2)
	v_cmpx_ne_u32_e32 0x80, v77
	s_cbranch_execz .LBB339_969
; %bb.964:                              ;   in Loop: Header=BB339_10 Depth=1
	v_and_b32_e32 v159, 0x7f, v77
	v_mov_b32_e32 v106, 0x7fc02000
	s_mov_b32 s21, exec_lo
	s_delay_alu instid0(VALU_DEP_2)
	v_cmpx_ne_u32_e32 0x7f, v159
	s_cbranch_execz .LBB339_968
; %bb.965:                              ;   in Loop: Header=BB339_10 Depth=1
	v_and_b32_e32 v8, 7, v77
	v_lshrrev_b32_e32 v92, 3, v159
	v_mov_b32_e32 v31, v9
	s_mov_b32 s22, exec_lo
	s_delay_alu instid0(VALU_DEP_3)
	v_mov_b32_e32 v30, v8
	v_cmpx_gt_u32_e32 8, v159
; %bb.966:                              ;   in Loop: Header=BB339_10 Depth=1
	v_clz_i32_u32_e32 v30, v8
	s_delay_alu instid0(VALU_DEP_1) | instskip(NEXT) | instid1(VALU_DEP_1)
	v_min_u32_e32 v92, 32, v30
	v_subrev_nc_u32_e32 v30, 28, v92
	v_sub_nc_u32_e32 v92, 29, v92
	s_delay_alu instid0(VALU_DEP_2) | instskip(NEXT) | instid1(VALU_DEP_1)
	v_lshlrev_b64 v[30:31], v30, v[8:9]
	v_and_b32_e32 v30, 7, v30
; %bb.967:                              ;   in Loop: Header=BB339_10 Depth=1
	s_or_b32 exec_lo, exec_lo, s22
	v_lshlrev_b32_e32 v8, 8, v77
	v_lshl_add_u32 v31, v92, 10, 0x2000
	s_delay_alu instid0(VALU_DEP_1) | instskip(NEXT) | instid1(VALU_DEP_1)
	v_and_or_b32 v8, 0x8000, v8, v31
	v_lshl_or_b32 v8, v30, 7, v8
	s_delay_alu instid0(VALU_DEP_1)
	v_cvt_f32_f16_e32 v106, v8
.LBB339_968:                            ;   in Loop: Header=BB339_10 Depth=1
	s_or_b32 exec_lo, exec_lo, s21
.LBB339_969:                            ;   in Loop: Header=BB339_10 Depth=1
	s_delay_alu instid0(SALU_CYCLE_1)
	s_or_b32 exec_lo, exec_lo, s20
.LBB339_970:                            ;   in Loop: Header=BB339_10 Depth=1
	s_delay_alu instid0(SALU_CYCLE_1) | instskip(SKIP_4) | instid1(VALU_DEP_1)
	s_or_b32 exec_lo, exec_lo, s4
	flat_load_b32 v168, v[28:29] offset:3840
	s_mov_b32 s4, exec_lo
	s_waitcnt vmcnt(0) lgkmcnt(0)
	v_and_b32_e32 v8, 0xff, v168
	v_cmpx_ne_u16_e32 0, v8
	s_cbranch_execz .LBB339_978
; %bb.971:                              ;   in Loop: Header=BB339_10 Depth=1
	v_bfrev_b32_e32 v78, 1
	s_mov_b32 s20, exec_lo
	v_cmpx_ne_u16_e32 0x80, v8
	s_cbranch_execz .LBB339_977
; %bb.972:                              ;   in Loop: Header=BB339_10 Depth=1
	v_and_b32_e32 v92, 0x7f, v168
	v_mov_b32_e32 v78, 0x7fc02000
	s_mov_b32 s21, exec_lo
	s_delay_alu instid0(VALU_DEP_2)
	v_cmpx_ne_u32_e32 0x7f, v92
	s_cbranch_execz .LBB339_976
; %bb.973:                              ;   in Loop: Header=BB339_10 Depth=1
	v_and_b32_e32 v8, 7, v168
	v_lshrrev_b32_e32 v77, 3, v92
	v_mov_b32_e32 v31, v9
	s_mov_b32 s22, exec_lo
	s_delay_alu instid0(VALU_DEP_3)
	v_mov_b32_e32 v30, v8
	v_cmpx_gt_u32_e32 8, v92
; %bb.974:                              ;   in Loop: Header=BB339_10 Depth=1
	v_clz_i32_u32_e32 v30, v8
	s_delay_alu instid0(VALU_DEP_1) | instskip(NEXT) | instid1(VALU_DEP_1)
	v_min_u32_e32 v77, 32, v30
	v_subrev_nc_u32_e32 v30, 28, v77
	v_sub_nc_u32_e32 v77, 29, v77
	s_delay_alu instid0(VALU_DEP_2) | instskip(NEXT) | instid1(VALU_DEP_1)
	v_lshlrev_b64 v[30:31], v30, v[8:9]
	v_and_b32_e32 v30, 7, v30
; %bb.975:                              ;   in Loop: Header=BB339_10 Depth=1
	s_or_b32 exec_lo, exec_lo, s22
	v_lshlrev_b32_e32 v8, 8, v168
	v_lshl_add_u32 v31, v77, 10, 0x2000
	s_delay_alu instid0(VALU_DEP_1) | instskip(NEXT) | instid1(VALU_DEP_1)
	v_and_or_b32 v8, 0x8000, v8, v31
	v_lshl_or_b32 v8, v30, 7, v8
	s_delay_alu instid0(VALU_DEP_1)
	v_cvt_f32_f16_e32 v78, v8
.LBB339_976:                            ;   in Loop: Header=BB339_10 Depth=1
	s_or_b32 exec_lo, exec_lo, s21
.LBB339_977:                            ;   in Loop: Header=BB339_10 Depth=1
	s_delay_alu instid0(SALU_CYCLE_1)
	s_or_b32 exec_lo, exec_lo, s20
.LBB339_978:                            ;   in Loop: Header=BB339_10 Depth=1
	s_delay_alu instid0(SALU_CYCLE_1) | instskip(SKIP_3) | instid1(VALU_DEP_2)
	s_or_b32 exec_lo, exec_lo, s4
	v_lshrrev_b16 v8, 8, v168
	v_dual_mov_b32 v92, 0 :: v_dual_mov_b32 v77, 0
	s_mov_b32 s4, exec_lo
	v_cmpx_ne_u16_e32 0, v8
	s_cbranch_execz .LBB339_986
; %bb.979:                              ;   in Loop: Header=BB339_10 Depth=1
	v_bfrev_b32_e32 v77, 1
	s_mov_b32 s20, exec_lo
	v_cmpx_ne_u16_e32 0x80, v8
	s_cbranch_execz .LBB339_985
; %bb.980:                              ;   in Loop: Header=BB339_10 Depth=1
	v_and_b32_e32 v159, 0xffff, v8
	v_mov_b32_e32 v77, 0x7fc02000
	s_mov_b32 s21, exec_lo
	s_delay_alu instid0(VALU_DEP_2) | instskip(NEXT) | instid1(VALU_DEP_1)
	v_and_b32_e32 v169, 0x7f, v159
	v_cmpx_ne_u32_e32 0x7f, v169
	s_cbranch_execz .LBB339_984
; %bb.981:                              ;   in Loop: Header=BB339_10 Depth=1
	v_and_b32_e32 v8, 7, v159
	v_lshrrev_b32_e32 v77, 3, v169
	v_mov_b32_e32 v31, v9
	s_mov_b32 s22, exec_lo
	s_delay_alu instid0(VALU_DEP_3)
	v_mov_b32_e32 v30, v8
	v_cmpx_gt_u32_e32 8, v169
; %bb.982:                              ;   in Loop: Header=BB339_10 Depth=1
	v_clz_i32_u32_e32 v30, v8
	s_delay_alu instid0(VALU_DEP_1) | instskip(NEXT) | instid1(VALU_DEP_1)
	v_min_u32_e32 v77, 32, v30
	v_subrev_nc_u32_e32 v30, 28, v77
	v_sub_nc_u32_e32 v77, 29, v77
	s_delay_alu instid0(VALU_DEP_2) | instskip(NEXT) | instid1(VALU_DEP_1)
	v_lshlrev_b64 v[30:31], v30, v[8:9]
	v_and_b32_e32 v30, 7, v30
; %bb.983:                              ;   in Loop: Header=BB339_10 Depth=1
	s_or_b32 exec_lo, exec_lo, s22
	v_lshlrev_b32_e32 v8, 8, v159
	v_lshl_add_u32 v31, v77, 10, 0x2000
	s_delay_alu instid0(VALU_DEP_1) | instskip(NEXT) | instid1(VALU_DEP_1)
	v_and_or_b32 v8, 0x8000, v8, v31
	v_lshl_or_b32 v8, v30, 7, v8
	s_delay_alu instid0(VALU_DEP_1)
	v_cvt_f32_f16_e32 v77, v8
.LBB339_984:                            ;   in Loop: Header=BB339_10 Depth=1
	s_or_b32 exec_lo, exec_lo, s21
.LBB339_985:                            ;   in Loop: Header=BB339_10 Depth=1
	s_delay_alu instid0(SALU_CYCLE_1)
	s_or_b32 exec_lo, exec_lo, s20
.LBB339_986:                            ;   in Loop: Header=BB339_10 Depth=1
	s_delay_alu instid0(SALU_CYCLE_1) | instskip(SKIP_2) | instid1(VALU_DEP_1)
	s_or_b32 exec_lo, exec_lo, s4
	v_lshrrev_b32_e32 v159, 16, v168
	s_mov_b32 s4, exec_lo
	v_and_b32_e32 v8, 0xff, v159
	s_delay_alu instid0(VALU_DEP_1)
	v_cmpx_ne_u16_e32 0, v8
	s_cbranch_execz .LBB339_994
; %bb.987:                              ;   in Loop: Header=BB339_10 Depth=1
	v_bfrev_b32_e32 v92, 1
	s_mov_b32 s20, exec_lo
	v_cmpx_ne_u16_e32 0x80, v8
	s_cbranch_execz .LBB339_993
; %bb.988:                              ;   in Loop: Header=BB339_10 Depth=1
	v_bfe_u32 v169, v168, 16, 7
	v_mov_b32_e32 v92, 0x7fc02000
	s_mov_b32 s21, exec_lo
	s_delay_alu instid0(VALU_DEP_2)
	v_cmpx_ne_u32_e32 0x7f, v169
	s_cbranch_execz .LBB339_992
; %bb.989:                              ;   in Loop: Header=BB339_10 Depth=1
	v_and_b32_e32 v8, 7, v159
	v_lshrrev_b32_e32 v92, 3, v169
	v_mov_b32_e32 v31, v9
	s_mov_b32 s22, exec_lo
	s_delay_alu instid0(VALU_DEP_3)
	v_mov_b32_e32 v30, v8
	v_cmpx_gt_u32_e32 8, v169
; %bb.990:                              ;   in Loop: Header=BB339_10 Depth=1
	v_clz_i32_u32_e32 v30, v8
	s_delay_alu instid0(VALU_DEP_1) | instskip(NEXT) | instid1(VALU_DEP_1)
	v_min_u32_e32 v92, 32, v30
	v_subrev_nc_u32_e32 v30, 28, v92
	v_sub_nc_u32_e32 v92, 29, v92
	s_delay_alu instid0(VALU_DEP_2) | instskip(NEXT) | instid1(VALU_DEP_1)
	v_lshlrev_b64 v[30:31], v30, v[8:9]
	v_and_b32_e32 v30, 7, v30
; %bb.991:                              ;   in Loop: Header=BB339_10 Depth=1
	s_or_b32 exec_lo, exec_lo, s22
	v_lshlrev_b32_e32 v8, 8, v159
	v_lshl_add_u32 v31, v92, 10, 0x2000
	s_delay_alu instid0(VALU_DEP_1) | instskip(NEXT) | instid1(VALU_DEP_1)
	v_and_or_b32 v8, 0x8000, v8, v31
	v_lshl_or_b32 v8, v30, 7, v8
	s_delay_alu instid0(VALU_DEP_1)
	v_cvt_f32_f16_e32 v92, v8
.LBB339_992:                            ;   in Loop: Header=BB339_10 Depth=1
	s_or_b32 exec_lo, exec_lo, s21
.LBB339_993:                            ;   in Loop: Header=BB339_10 Depth=1
	s_delay_alu instid0(SALU_CYCLE_1)
	s_or_b32 exec_lo, exec_lo, s20
.LBB339_994:                            ;   in Loop: Header=BB339_10 Depth=1
	s_delay_alu instid0(SALU_CYCLE_1)
	s_or_b32 exec_lo, exec_lo, s4
	v_dual_mov_b32 v159, 0 :: v_dual_mov_b32 v30, 0
	s_mov_b32 s4, exec_lo
	v_cmpx_lt_u32_e32 0xffffff, v168
	s_cbranch_execz .LBB339_1002
; %bb.995:                              ;   in Loop: Header=BB339_10 Depth=1
	v_lshrrev_b32_e32 v168, 24, v168
	v_bfrev_b32_e32 v30, 1
	s_mov_b32 s20, exec_lo
	s_delay_alu instid0(VALU_DEP_2)
	v_cmpx_ne_u32_e32 0x80, v168
	s_cbranch_execz .LBB339_1001
; %bb.996:                              ;   in Loop: Header=BB339_10 Depth=1
	v_and_b32_e32 v170, 0x7f, v168
	v_mov_b32_e32 v30, 0x7fc02000
	s_mov_b32 s21, exec_lo
	s_delay_alu instid0(VALU_DEP_2)
	v_cmpx_ne_u32_e32 0x7f, v170
	s_cbranch_execz .LBB339_1000
; %bb.997:                              ;   in Loop: Header=BB339_10 Depth=1
	v_and_b32_e32 v8, 7, v168
	v_lshrrev_b32_e32 v169, 3, v170
	v_mov_b32_e32 v31, v9
	s_mov_b32 s22, exec_lo
	s_delay_alu instid0(VALU_DEP_3)
	v_mov_b32_e32 v30, v8
	v_cmpx_gt_u32_e32 8, v170
; %bb.998:                              ;   in Loop: Header=BB339_10 Depth=1
	v_clz_i32_u32_e32 v30, v8
	s_delay_alu instid0(VALU_DEP_1) | instskip(NEXT) | instid1(VALU_DEP_1)
	v_min_u32_e32 v169, 32, v30
	v_subrev_nc_u32_e32 v30, 28, v169
	v_sub_nc_u32_e32 v169, 29, v169
	s_delay_alu instid0(VALU_DEP_2) | instskip(NEXT) | instid1(VALU_DEP_1)
	v_lshlrev_b64 v[30:31], v30, v[8:9]
	v_and_b32_e32 v30, 7, v30
; %bb.999:                              ;   in Loop: Header=BB339_10 Depth=1
	s_or_b32 exec_lo, exec_lo, s22
	v_lshlrev_b32_e32 v8, 8, v168
	v_lshl_add_u32 v31, v169, 10, 0x2000
	s_delay_alu instid0(VALU_DEP_1) | instskip(NEXT) | instid1(VALU_DEP_1)
	v_and_or_b32 v8, 0x8000, v8, v31
	v_lshl_or_b32 v8, v30, 7, v8
	s_delay_alu instid0(VALU_DEP_1)
	v_cvt_f32_f16_e32 v30, v8
.LBB339_1000:                           ;   in Loop: Header=BB339_10 Depth=1
	s_or_b32 exec_lo, exec_lo, s21
.LBB339_1001:                           ;   in Loop: Header=BB339_10 Depth=1
	s_delay_alu instid0(SALU_CYCLE_1)
	s_or_b32 exec_lo, exec_lo, s20
.LBB339_1002:                           ;   in Loop: Header=BB339_10 Depth=1
	s_delay_alu instid0(SALU_CYCLE_1) | instskip(SKIP_4) | instid1(VALU_DEP_1)
	s_or_b32 exec_lo, exec_lo, s4
	flat_load_b32 v168, v[28:29] offset:3848
	s_mov_b32 s4, exec_lo
	s_waitcnt vmcnt(0) lgkmcnt(0)
	v_and_b32_e32 v8, 0xff, v168
	v_cmpx_ne_u16_e32 0, v8
	s_cbranch_execz .LBB339_1010
; %bb.1003:                             ;   in Loop: Header=BB339_10 Depth=1
	v_bfrev_b32_e32 v159, 1
	s_mov_b32 s20, exec_lo
	v_cmpx_ne_u16_e32 0x80, v8
	s_cbranch_execz .LBB339_1009
; %bb.1004:                             ;   in Loop: Header=BB339_10 Depth=1
	v_and_b32_e32 v169, 0x7f, v168
	v_mov_b32_e32 v159, 0x7fc02000
	s_mov_b32 s21, exec_lo
	s_delay_alu instid0(VALU_DEP_2)
	v_cmpx_ne_u32_e32 0x7f, v169
	s_cbranch_execz .LBB339_1008
; %bb.1005:                             ;   in Loop: Header=BB339_10 Depth=1
	v_and_b32_e32 v8, 7, v168
	v_lshrrev_b32_e32 v31, 3, v169
	v_mov_b32_e32 v29, v9
	s_mov_b32 s22, exec_lo
	s_delay_alu instid0(VALU_DEP_3)
	v_mov_b32_e32 v28, v8
	v_cmpx_gt_u32_e32 8, v169
; %bb.1006:                             ;   in Loop: Header=BB339_10 Depth=1
	v_clz_i32_u32_e32 v28, v8
	s_delay_alu instid0(VALU_DEP_1) | instskip(NEXT) | instid1(VALU_DEP_1)
	v_min_u32_e32 v31, 32, v28
	v_subrev_nc_u32_e32 v28, 28, v31
	v_sub_nc_u32_e32 v31, 29, v31
	s_delay_alu instid0(VALU_DEP_2) | instskip(NEXT) | instid1(VALU_DEP_1)
	v_lshlrev_b64 v[28:29], v28, v[8:9]
	v_and_b32_e32 v28, 7, v28
; %bb.1007:                             ;   in Loop: Header=BB339_10 Depth=1
	s_or_b32 exec_lo, exec_lo, s22
	v_lshlrev_b32_e32 v8, 8, v168
	v_lshl_add_u32 v29, v31, 10, 0x2000
	s_delay_alu instid0(VALU_DEP_1) | instskip(NEXT) | instid1(VALU_DEP_1)
	v_and_or_b32 v8, 0x8000, v8, v29
	v_lshl_or_b32 v8, v28, 7, v8
	s_delay_alu instid0(VALU_DEP_1)
	v_cvt_f32_f16_e64 v159, v8
.LBB339_1008:                           ;   in Loop: Header=BB339_10 Depth=1
	s_or_b32 exec_lo, exec_lo, s21
.LBB339_1009:                           ;   in Loop: Header=BB339_10 Depth=1
	s_delay_alu instid0(SALU_CYCLE_1)
	s_or_b32 exec_lo, exec_lo, s20
.LBB339_1010:                           ;   in Loop: Header=BB339_10 Depth=1
	s_delay_alu instid0(SALU_CYCLE_1) | instskip(SKIP_4) | instid1(VALU_DEP_3)
	s_or_b32 exec_lo, exec_lo, s4
	v_lshrrev_b16 v8, 8, v168
	v_mov_b32_e32 v169, 0
	v_mov_b32_e32 v31, 0
	s_mov_b32 s4, exec_lo
	v_cmpx_ne_u16_e32 0, v8
	s_cbranch_execz .LBB339_1018
; %bb.1011:                             ;   in Loop: Header=BB339_10 Depth=1
	v_bfrev_b32_e32 v31, 1
	s_mov_b32 s20, exec_lo
	v_cmpx_ne_u16_e32 0x80, v8
	s_cbranch_execz .LBB339_1017
; %bb.1012:                             ;   in Loop: Header=BB339_10 Depth=1
	v_and_b32_e32 v170, 0xffff, v8
	v_mov_b32_e32 v31, 0x7fc02000
	s_mov_b32 s21, exec_lo
	s_delay_alu instid0(VALU_DEP_2) | instskip(NEXT) | instid1(VALU_DEP_1)
	v_and_b32_e32 v171, 0x7f, v170
	v_cmpx_ne_u32_e32 0x7f, v171
	s_cbranch_execz .LBB339_1016
; %bb.1013:                             ;   in Loop: Header=BB339_10 Depth=1
	v_and_b32_e32 v8, 7, v170
	v_lshrrev_b32_e32 v31, 3, v171
	v_mov_b32_e32 v29, v9
	s_mov_b32 s22, exec_lo
	s_delay_alu instid0(VALU_DEP_3)
	v_mov_b32_e32 v28, v8
	v_cmpx_gt_u32_e32 8, v171
; %bb.1014:                             ;   in Loop: Header=BB339_10 Depth=1
	v_clz_i32_u32_e32 v28, v8
	s_delay_alu instid0(VALU_DEP_1) | instskip(NEXT) | instid1(VALU_DEP_1)
	v_min_u32_e32 v31, 32, v28
	v_subrev_nc_u32_e32 v28, 28, v31
	v_sub_nc_u32_e32 v31, 29, v31
	s_delay_alu instid0(VALU_DEP_2) | instskip(NEXT) | instid1(VALU_DEP_1)
	v_lshlrev_b64 v[28:29], v28, v[8:9]
	v_and_b32_e32 v28, 7, v28
; %bb.1015:                             ;   in Loop: Header=BB339_10 Depth=1
	s_or_b32 exec_lo, exec_lo, s22
	v_lshlrev_b32_e32 v8, 8, v170
	v_lshl_add_u32 v29, v31, 10, 0x2000
	s_delay_alu instid0(VALU_DEP_1) | instskip(NEXT) | instid1(VALU_DEP_1)
	v_and_or_b32 v8, 0x8000, v8, v29
	v_lshl_or_b32 v8, v28, 7, v8
	s_delay_alu instid0(VALU_DEP_1)
	v_cvt_f32_f16_e32 v31, v8
.LBB339_1016:                           ;   in Loop: Header=BB339_10 Depth=1
	s_or_b32 exec_lo, exec_lo, s21
.LBB339_1017:                           ;   in Loop: Header=BB339_10 Depth=1
	s_delay_alu instid0(SALU_CYCLE_1)
	s_or_b32 exec_lo, exec_lo, s20
.LBB339_1018:                           ;   in Loop: Header=BB339_10 Depth=1
	s_delay_alu instid0(SALU_CYCLE_1) | instskip(SKIP_2) | instid1(VALU_DEP_1)
	s_or_b32 exec_lo, exec_lo, s4
	v_lshrrev_b32_e32 v170, 16, v168
	s_mov_b32 s4, exec_lo
	v_and_b32_e32 v8, 0xff, v170
	s_delay_alu instid0(VALU_DEP_1)
	v_cmpx_ne_u16_e32 0, v8
	s_cbranch_execz .LBB339_1026
; %bb.1019:                             ;   in Loop: Header=BB339_10 Depth=1
	v_bfrev_b32_e32 v169, 1
	s_mov_b32 s20, exec_lo
	v_cmpx_ne_u16_e32 0x80, v8
	s_cbranch_execz .LBB339_1025
; %bb.1020:                             ;   in Loop: Header=BB339_10 Depth=1
	v_bfe_u32 v171, v168, 16, 7
	v_mov_b32_e32 v169, 0x7fc02000
	s_mov_b32 s21, exec_lo
	s_delay_alu instid0(VALU_DEP_2)
	v_cmpx_ne_u32_e32 0x7f, v171
	s_cbranch_execz .LBB339_1024
; %bb.1021:                             ;   in Loop: Header=BB339_10 Depth=1
	v_and_b32_e32 v8, 7, v170
	v_lshrrev_b32_e32 v169, 3, v171
	v_mov_b32_e32 v29, v9
	s_mov_b32 s22, exec_lo
	s_delay_alu instid0(VALU_DEP_3)
	v_mov_b32_e32 v28, v8
	v_cmpx_gt_u32_e32 8, v171
; %bb.1022:                             ;   in Loop: Header=BB339_10 Depth=1
	v_clz_i32_u32_e32 v28, v8
	s_delay_alu instid0(VALU_DEP_1) | instskip(NEXT) | instid1(VALU_DEP_1)
	v_min_u32_e32 v169, 32, v28
	v_subrev_nc_u32_e32 v28, 28, v169
	v_sub_nc_u32_e32 v169, 29, v169
	s_delay_alu instid0(VALU_DEP_2) | instskip(NEXT) | instid1(VALU_DEP_1)
	v_lshlrev_b64 v[28:29], v28, v[8:9]
	v_and_b32_e32 v28, 7, v28
; %bb.1023:                             ;   in Loop: Header=BB339_10 Depth=1
	s_or_b32 exec_lo, exec_lo, s22
	v_lshlrev_b32_e32 v8, 8, v170
	v_lshl_add_u32 v29, v169, 10, 0x2000
	s_delay_alu instid0(VALU_DEP_1) | instskip(NEXT) | instid1(VALU_DEP_1)
	v_and_or_b32 v8, 0x8000, v8, v29
	v_lshl_or_b32 v8, v28, 7, v8
	s_delay_alu instid0(VALU_DEP_1)
	v_cvt_f32_f16_e64 v169, v8
.LBB339_1024:                           ;   in Loop: Header=BB339_10 Depth=1
	s_or_b32 exec_lo, exec_lo, s21
.LBB339_1025:                           ;   in Loop: Header=BB339_10 Depth=1
	s_delay_alu instid0(SALU_CYCLE_1)
	s_or_b32 exec_lo, exec_lo, s20
.LBB339_1026:                           ;   in Loop: Header=BB339_10 Depth=1
	s_delay_alu instid0(SALU_CYCLE_1)
	s_or_b32 exec_lo, exec_lo, s4
	v_mov_b32_e32 v29, 0
	s_mov_b32 s4, exec_lo
	v_cmpx_lt_u32_e32 0xffffff, v168
	s_cbranch_execz .LBB339_1034
; %bb.1027:                             ;   in Loop: Header=BB339_10 Depth=1
	v_lshrrev_b32_e32 v168, 24, v168
	v_bfrev_b32_e32 v29, 1
	s_mov_b32 s20, exec_lo
	s_delay_alu instid0(VALU_DEP_2)
	v_cmpx_ne_u32_e32 0x80, v168
	s_cbranch_execz .LBB339_1033
; %bb.1028:                             ;   in Loop: Header=BB339_10 Depth=1
	v_and_b32_e32 v171, 0x7f, v168
	v_mov_b32_e32 v29, 0x7fc02000
	s_mov_b32 s21, exec_lo
	s_delay_alu instid0(VALU_DEP_2)
	v_cmpx_ne_u32_e32 0x7f, v171
	s_cbranch_execz .LBB339_1032
; %bb.1029:                             ;   in Loop: Header=BB339_10 Depth=1
	v_and_b32_e32 v8, 7, v168
	v_lshrrev_b32_e32 v170, 3, v171
	v_mov_b32_e32 v29, v9
	s_mov_b32 s22, exec_lo
	s_delay_alu instid0(VALU_DEP_3)
	v_mov_b32_e32 v28, v8
	v_cmpx_gt_u32_e32 8, v171
; %bb.1030:                             ;   in Loop: Header=BB339_10 Depth=1
	v_clz_i32_u32_e32 v28, v8
	s_delay_alu instid0(VALU_DEP_1) | instskip(NEXT) | instid1(VALU_DEP_1)
	v_min_u32_e32 v170, 32, v28
	v_subrev_nc_u32_e32 v28, 28, v170
	v_sub_nc_u32_e32 v170, 29, v170
	s_delay_alu instid0(VALU_DEP_2) | instskip(NEXT) | instid1(VALU_DEP_1)
	v_lshlrev_b64 v[28:29], v28, v[8:9]
	v_and_b32_e32 v28, 7, v28
; %bb.1031:                             ;   in Loop: Header=BB339_10 Depth=1
	s_or_b32 exec_lo, exec_lo, s22
	v_lshlrev_b32_e32 v8, 8, v168
	v_lshl_add_u32 v29, v170, 10, 0x2000
	s_delay_alu instid0(VALU_DEP_1) | instskip(NEXT) | instid1(VALU_DEP_1)
	v_and_or_b32 v8, 0x8000, v8, v29
	v_lshl_or_b32 v8, v28, 7, v8
	s_delay_alu instid0(VALU_DEP_1)
	v_cvt_f32_f16_e32 v29, v8
.LBB339_1032:                           ;   in Loop: Header=BB339_10 Depth=1
	s_or_b32 exec_lo, exec_lo, s21
.LBB339_1033:                           ;   in Loop: Header=BB339_10 Depth=1
	s_delay_alu instid0(SALU_CYCLE_1)
	s_or_b32 exec_lo, exec_lo, s20
.LBB339_1034:                           ;   in Loop: Header=BB339_10 Depth=1
	s_delay_alu instid0(SALU_CYCLE_1)
	s_or_b32 exec_lo, exec_lo, s4
	v_fma_mixlo_f16 v8, v67, v30, 0
	v_fma_mixlo_f16 v30, v67, v169, 0
	ds_load_b64 v[169:170], v54
	v_fma_mixlo_f16 v168, v67, v68, 0
	v_fma_mixlo_f16 v28, v67, v92, 0
	;; [unrolled: 1-line block ×126, first 2 shown]
	s_waitcnt lgkmcnt(0)
	v_lshrrev_b32_e32 v67, 16, v169
	v_and_b32_e32 v71, 0xffff, v169
	;;#ASMSTART
	v_cvt_f32_f16 v71, v71;
	;;#ASMEND
	;;#ASMSTART
	v_cvt_f32_f16 v159, v67;
	;;#ASMEND
	v_and_b32_e32 v67, 0xffff, v168
	;;#ASMSTART
	v_cvt_f32_f16 v168, v67;
	;;#ASMEND
	v_and_b32_e32 v67, 0xffff, v83
	;;#ASMSTART
	v_cvt_f32_f16 v83, v67;
	;;#ASMEND
	v_lshrrev_b32_e32 v67, 16, v170
	v_and_b32_e32 v169, 0xffff, v170
	;;#ASMSTART
	v_cvt_f32_f16 v169, v169;
	;;#ASMEND
	;;#ASMSTART
	v_cvt_f32_f16 v170, v67;
	;;#ASMEND
	v_and_b32_e32 v67, 0xffff, v70
	;;#ASMSTART
	v_cvt_f32_f16 v171, v67;
	;;#ASMEND
	v_and_b32_e32 v67, 0xffff, v69
	;;#ASMSTART
	v_cvt_f32_f16 v172, v67;
	;;#ASMEND
	ds_load_b64 v[69:70], v54 offset:8
	v_and_b32_e32 v81, 0xffff, v81
	v_and_b32_e32 v80, 0xffff, v80
	;; [unrolled: 1-line block ×8, first 2 shown]
	s_waitcnt lgkmcnt(0)
	v_lshrrev_b32_e32 v67, 16, v69
	v_and_b32_e32 v69, 0xffff, v69
	;;#ASMSTART
	v_cvt_f32_f16 v69, v69;
	;;#ASMEND
	;;#ASMSTART
	v_cvt_f32_f16 v173, v67;
	;;#ASMEND
	v_and_b32_e32 v67, 0xffff, v87
	;;#ASMSTART
	v_cvt_f32_f16 v67, v67;
	;;#ASMEND
	s_delay_alu instid0(VALU_DEP_1) | instskip(SKIP_1) | instid1(VALU_DEP_1)
	v_dual_mul_f32 v67, v69, v67 :: v_dual_and_b32 v82, 0xffff, v82
	;;#ASMSTART
	v_cvt_f32_f16 v82, v82;
	;;#ASMEND
	v_mul_f32_e32 v69, v173, v82
	s_delay_alu instid0(VALU_DEP_2)
	v_fmac_f32_e32 v67, v71, v168
	v_lshrrev_b32_e32 v71, 16, v70
	v_and_b32_e32 v70, 0xffff, v70
	;;#ASMSTART
	v_cvt_f32_f16 v70, v70;
	;;#ASMEND
	;;#ASMSTART
	v_cvt_f32_f16 v71, v71;
	;;#ASMEND
	;; [unrolled: 3-line block ×4, first 2 shown]
	v_dual_mul_f32 v70, v70, v81 :: v_dual_mul_f32 v71, v71, v80
	ds_load_b64 v[80:81], v54 offset:16
	v_fmac_f32_e32 v69, v159, v83
	v_and_b32_e32 v83, 0xffff, v99
	v_dual_fmac_f32 v70, v169, v171 :: v_dual_fmac_f32 v71, v170, v172
	s_waitcnt lgkmcnt(0)
	v_lshrrev_b32_e32 v82, 16, v80
	v_and_b32_e32 v80, 0xffff, v80
	;;#ASMSTART
	v_cvt_f32_f16 v80, v80;
	;;#ASMEND
	;;#ASMSTART
	v_cvt_f32_f16 v82, v82;
	;;#ASMEND
	;; [unrolled: 3-line block ×3, first 2 shown]
	s_delay_alu instid0(VALU_DEP_1)
	v_fmac_f32_e32 v67, v80, v83
	v_lshrrev_b32_e32 v80, 16, v81
	v_and_b32_e32 v81, 0xffff, v81
	;;#ASMSTART
	v_cvt_f32_f16 v86, v86;
	;;#ASMEND
	v_fmac_f32_e32 v69, v82, v86
	;;#ASMSTART
	v_cvt_f32_f16 v81, v81;
	;;#ASMEND
	;;#ASMSTART
	v_cvt_f32_f16 v80, v80;
	;;#ASMEND
	v_and_b32_e32 v82, 0xffff, v85
	v_and_b32_e32 v83, 0xffff, v84
	;;#ASMSTART
	v_cvt_f32_f16 v82, v82;
	;;#ASMEND
	;;#ASMSTART
	v_cvt_f32_f16 v83, v83;
	;;#ASMEND
	s_delay_alu instid0(VALU_DEP_1)
	v_dual_fmac_f32 v70, v81, v82 :: v_dual_fmac_f32 v71, v80, v83
	v_and_b32_e32 v84, 0xffff, v98
	ds_load_b64 v[80:81], v54 offset:24
	v_and_b32_e32 v83, 0xffff, v103
	s_waitcnt lgkmcnt(0)
	v_lshrrev_b32_e32 v82, 16, v80
	v_and_b32_e32 v80, 0xffff, v80
	;;#ASMSTART
	v_cvt_f32_f16 v80, v80;
	;;#ASMEND
	;;#ASMSTART
	v_cvt_f32_f16 v82, v82;
	;;#ASMEND
	;;#ASMSTART
	v_cvt_f32_f16 v83, v83;
	;;#ASMEND
	s_delay_alu instid0(VALU_DEP_1)
	v_fmac_f32_e32 v67, v80, v83
	v_lshrrev_b32_e32 v80, 16, v81
	v_and_b32_e32 v81, 0xffff, v81
	;;#ASMSTART
	v_cvt_f32_f16 v84, v84;
	;;#ASMEND
	v_dual_fmac_f32 v69, v82, v84 :: v_dual_and_b32 v84, 0xffff, v102
	;;#ASMSTART
	v_cvt_f32_f16 v81, v81;
	;;#ASMEND
	;;#ASMSTART
	v_cvt_f32_f16 v80, v80;
	;;#ASMEND
	v_and_b32_e32 v82, 0xffff, v97
	v_and_b32_e32 v83, 0xffff, v96
	;;#ASMSTART
	v_cvt_f32_f16 v82, v82;
	;;#ASMEND
	;;#ASMSTART
	v_cvt_f32_f16 v83, v83;
	;;#ASMEND
	s_delay_alu instid0(VALU_DEP_1)
	v_dual_fmac_f32 v70, v81, v82 :: v_dual_fmac_f32 v71, v80, v83
	ds_load_b64 v[80:81], v54 offset:32
	v_and_b32_e32 v83, 0xffff, v115
	s_waitcnt lgkmcnt(0)
	v_lshrrev_b32_e32 v82, 16, v80
	v_and_b32_e32 v80, 0xffff, v80
	;;#ASMSTART
	v_cvt_f32_f16 v80, v80;
	;;#ASMEND
	;;#ASMSTART
	v_cvt_f32_f16 v82, v82;
	;;#ASMEND
	;;#ASMSTART
	v_cvt_f32_f16 v83, v83;
	;;#ASMEND
	s_delay_alu instid0(VALU_DEP_1)
	v_fmac_f32_e32 v67, v80, v83
	v_lshrrev_b32_e32 v80, 16, v81
	v_and_b32_e32 v81, 0xffff, v81
	;;#ASMSTART
	v_cvt_f32_f16 v84, v84;
	;;#ASMEND
	v_dual_fmac_f32 v69, v82, v84 :: v_dual_and_b32 v84, 0xffff, v114
	;;#ASMSTART
	v_cvt_f32_f16 v81, v81;
	;;#ASMEND
	;;#ASMSTART
	v_cvt_f32_f16 v80, v80;
	;;#ASMEND
	v_and_b32_e32 v82, 0xffff, v101
	v_and_b32_e32 v83, 0xffff, v100
	;;#ASMSTART
	v_cvt_f32_f16 v82, v82;
	;;#ASMEND
	;;#ASMSTART
	v_cvt_f32_f16 v83, v83;
	;;#ASMEND
	s_delay_alu instid0(VALU_DEP_1)
	v_dual_fmac_f32 v70, v81, v82 :: v_dual_fmac_f32 v71, v80, v83
	;; [unrolled: 38-line block ×18, first 2 shown]
	ds_load_b64 v[80:81], v54 offset:168
	v_and_b32_e32 v83, 0xffff, v157
	s_waitcnt lgkmcnt(0)
	v_lshrrev_b32_e32 v82, 16, v80
	v_and_b32_e32 v80, 0xffff, v80
	;;#ASMSTART
	v_cvt_f32_f16 v80, v80;
	;;#ASMEND
	;;#ASMSTART
	v_cvt_f32_f16 v82, v82;
	;;#ASMEND
	;; [unrolled: 3-line block ×3, first 2 shown]
	s_delay_alu instid0(VALU_DEP_1)
	v_fmac_f32_e32 v67, v80, v83
	v_lshrrev_b32_e32 v80, 16, v81
	v_and_b32_e32 v81, 0xffff, v81
	;;#ASMSTART
	v_cvt_f32_f16 v84, v84;
	;;#ASMEND
	v_fmac_f32_e32 v69, v82, v84
	;;#ASMSTART
	v_cvt_f32_f16 v81, v81;
	;;#ASMEND
	;;#ASMSTART
	v_cvt_f32_f16 v80, v80;
	;;#ASMEND
	v_and_b32_e32 v82, 0xffff, v120
	v_and_b32_e32 v83, 0xffff, v105
	;;#ASMSTART
	v_cvt_f32_f16 v82, v82;
	;;#ASMEND
	;;#ASMSTART
	v_cvt_f32_f16 v83, v83;
	;;#ASMEND
	s_delay_alu instid0(VALU_DEP_1)
	v_dual_fmac_f32 v70, v81, v82 :: v_dual_fmac_f32 v71, v80, v83
	v_and_b32_e32 v84, 0xffff, v152
	ds_load_b64 v[80:81], v54 offset:176
	v_and_b32_e32 v83, 0xffff, v158
	s_waitcnt lgkmcnt(0)
	v_lshrrev_b32_e32 v82, 16, v80
	v_and_b32_e32 v80, 0xffff, v80
	;;#ASMSTART
	v_cvt_f32_f16 v80, v80;
	;;#ASMEND
	;;#ASMSTART
	v_cvt_f32_f16 v82, v82;
	;;#ASMEND
	;;#ASMSTART
	v_cvt_f32_f16 v83, v83;
	;;#ASMEND
	s_delay_alu instid0(VALU_DEP_1)
	v_fmac_f32_e32 v67, v80, v83
	v_lshrrev_b32_e32 v80, 16, v81
	v_and_b32_e32 v81, 0xffff, v81
	;;#ASMSTART
	v_cvt_f32_f16 v84, v84;
	;;#ASMEND
	v_dual_fmac_f32 v69, v82, v84 :: v_dual_and_b32 v84, 0xffff, v155
	;;#ASMSTART
	v_cvt_f32_f16 v81, v81;
	;;#ASMEND
	;;#ASMSTART
	v_cvt_f32_f16 v80, v80;
	;;#ASMEND
	v_and_b32_e32 v82, 0xffff, v143
	v_and_b32_e32 v83, 0xffff, v138
	;;#ASMSTART
	v_cvt_f32_f16 v82, v82;
	;;#ASMEND
	;;#ASMSTART
	v_cvt_f32_f16 v83, v83;
	;;#ASMEND
	s_delay_alu instid0(VALU_DEP_1)
	v_dual_fmac_f32 v70, v81, v82 :: v_dual_fmac_f32 v71, v80, v83
	ds_load_b64 v[80:81], v54 offset:184
	v_and_b32_e32 v83, 0xffff, v156
	s_waitcnt lgkmcnt(0)
	v_lshrrev_b32_e32 v82, 16, v80
	v_and_b32_e32 v80, 0xffff, v80
	;;#ASMSTART
	v_cvt_f32_f16 v80, v80;
	;;#ASMEND
	;;#ASMSTART
	v_cvt_f32_f16 v82, v82;
	;;#ASMEND
	;;#ASMSTART
	v_cvt_f32_f16 v83, v83;
	;;#ASMEND
	s_delay_alu instid0(VALU_DEP_1)
	v_fmac_f32_e32 v67, v80, v83
	v_lshrrev_b32_e32 v80, 16, v81
	v_and_b32_e32 v81, 0xffff, v81
	;;#ASMSTART
	v_cvt_f32_f16 v84, v84;
	;;#ASMEND
	v_dual_fmac_f32 v69, v82, v84 :: v_dual_and_b32 v84, 0xffff, v141
	;;#ASMSTART
	v_cvt_f32_f16 v81, v81;
	;;#ASMEND
	;;#ASMSTART
	v_cvt_f32_f16 v80, v80;
	;;#ASMEND
	v_and_b32_e32 v82, 0xffff, v154
	v_and_b32_e32 v83, 0xffff, v153
	;;#ASMSTART
	v_cvt_f32_f16 v82, v82;
	;;#ASMEND
	;;#ASMSTART
	v_cvt_f32_f16 v83, v83;
	;;#ASMEND
	s_delay_alu instid0(VALU_DEP_1)
	v_dual_fmac_f32 v70, v81, v82 :: v_dual_fmac_f32 v71, v80, v83
	;; [unrolled: 38-line block ×8, first 2 shown]
	ds_load_b64 v[80:81], v54 offset:240
	v_and_b32_e32 v83, 0xffff, v78
	s_waitcnt lgkmcnt(0)
	v_lshrrev_b32_e32 v82, 16, v80
	v_and_b32_e32 v80, 0xffff, v80
	;;#ASMSTART
	v_cvt_f32_f16 v80, v80;
	;;#ASMEND
	;;#ASMSTART
	v_cvt_f32_f16 v82, v82;
	;;#ASMEND
	;; [unrolled: 3-line block ×3, first 2 shown]
	s_delay_alu instid0(VALU_DEP_1)
	v_fmac_f32_e32 v67, v80, v83
	v_lshrrev_b32_e32 v80, 16, v81
	v_and_b32_e32 v81, 0xffff, v81
	;;#ASMSTART
	v_cvt_f32_f16 v84, v84;
	;;#ASMEND
	;;#ASMSTART
	v_cvt_f32_f16 v81, v81;
	;;#ASMEND
	;; [unrolled: 3-line block ×5, first 2 shown]
	v_fmac_f32_e32 v70, v81, v28
	v_fmac_f32_e32 v71, v80, v8
	ds_load_b64 v[80:81], v54 offset:248
	v_fmac_f32_e32 v69, v82, v84
	v_and_b32_e32 v68, 0xffff, v68
	s_waitcnt lgkmcnt(0)
	v_and_b32_e32 v28, 0xffff, v80
	v_lshrrev_b32_e32 v8, 16, v80
	;;#ASMSTART
	v_cvt_f32_f16 v28, v28;
	;;#ASMEND
	;;#ASMSTART
	v_cvt_f32_f16 v8, v8;
	;;#ASMEND
	;; [unrolled: 3-line block ×3, first 2 shown]
	v_dual_fmac_f32 v67, v28, v68 :: v_dual_and_b32 v28, 0xffff, v81
	;;#ASMSTART
	v_cvt_f32_f16 v31, v31;
	;;#ASMEND
	v_fmac_f32_e32 v69, v8, v31
	v_lshrrev_b32_e32 v8, 16, v81
	;;#ASMSTART
	v_cvt_f32_f16 v28, v28;
	;;#ASMEND
	;;#ASMSTART
	v_cvt_f32_f16 v8, v8;
	;;#ASMEND
	;; [unrolled: 3-line block ×3, first 2 shown]
	v_fmac_f32_e32 v70, v28, v30
	v_xor_b32_e32 v28, 1, v49
	;;#ASMSTART
	v_cvt_f32_f16 v29, v29;
	;;#ASMEND
	v_fmac_f32_e32 v71, v8, v29
	v_add_f32_e32 v8, v67, v69
	s_delay_alu instid0(VALU_DEP_3) | instskip(NEXT) | instid1(VALU_DEP_2)
	v_cmp_gt_i32_e64 s3, 32, v28
	v_add_f32_e32 v8, v8, v70
	s_delay_alu instid0(VALU_DEP_2) | instskip(NEXT) | instid1(VALU_DEP_2)
	v_cndmask_b32_e64 v28, v49, v28, s3
	v_add_f32_e32 v8, v71, v8
	s_delay_alu instid0(VALU_DEP_2)
	v_lshlrev_b32_e32 v28, 2, v28
	ds_bpermute_b32 v28, v28, v8
	s_and_saveexec_b32 s4, vcc_lo
	s_cbranch_execz .LBB339_9
; %bb.1035:                             ;   in Loop: Header=BB339_10 Depth=1
	s_load_b32 s20, s[8:9], 0x0
	s_waitcnt lgkmcnt(0)
	v_add_f32_e32 v8, v8, v28
	v_add_nc_u32_e32 v29, v55, v64
	v_cmp_lt_i32_e64 s3, v64, v35
	s_delay_alu instid0(VALU_DEP_2) | instskip(NEXT) | instid1(VALU_DEP_1)
	v_cvt_f32_i32_e32 v29, v29
	v_mul_f32_e32 v29, v50, v29
	s_delay_alu instid0(VALU_DEP_1) | instskip(SKIP_1) | instid1(VALU_DEP_2)
	v_cndmask_b32_e64 v28, 0, v29, s2
	v_max_f32_e32 v29, v52, v52
	v_fmac_f32_e32 v28, v8, v13
	s_delay_alu instid0(VALU_DEP_1) | instskip(SKIP_1) | instid1(VALU_DEP_2)
	v_dual_max_f32 v8, v29, v28 :: v_dual_add_nc_u32 v29, s20, v65
	v_cndmask_b32_e64 v28, 0, v28, s3
	v_cndmask_b32_e64 v52, v52, v8, s3
	ds_store_b32 v29, v28
	s_branch .LBB339_9
.LBB339_1036:
	s_or_b32 exec_lo, exec_lo, s11
.LBB339_1037:
	s_delay_alu instid0(SALU_CYCLE_1)
	s_or_b32 exec_lo, exec_lo, s15
	v_xor_b32_e32 v8, 16, v49
	v_xor_b32_e32 v9, 8, v49
	v_dual_max_f32 v13, v52, v52 :: v_dual_and_b32 v18, 31, v33
	s_waitcnt lgkmcnt(0)
	s_lshr_b32 s8, s19, 16
	v_cmp_lt_i32_e32 vcc_lo, v8, v51
	v_lshlrev_b32_e32 v25, 2, v36
	v_cndmask_b32_e32 v8, v49, v8, vcc_lo
	v_cmp_lt_i32_e32 vcc_lo, v9, v51
	v_cndmask_b32_e32 v9, v49, v9, vcc_lo
	s_delay_alu instid0(VALU_DEP_1) | instskip(NEXT) | instid1(VALU_DEP_4)
	v_lshlrev_b32_e32 v21, 2, v9
	v_lshlrev_b32_e32 v20, 2, v8
	ds_bpermute_b32 v8, v20, v52
	s_waitcnt lgkmcnt(0)
	v_max_f32_e32 v8, v8, v8
	s_delay_alu instid0(VALU_DEP_1) | instskip(SKIP_1) | instid1(VALU_DEP_1)
	v_max_f32_e32 v8, v13, v8
	v_xor_b32_e32 v13, 4, v49
	v_cmp_lt_i32_e32 vcc_lo, v13, v51
	v_cndmask_b32_e32 v13, v49, v13, vcc_lo
	s_delay_alu instid0(VALU_DEP_1) | instskip(SKIP_1) | instid1(VALU_DEP_1)
	v_lshlrev_b32_e32 v24, 2, v13
	v_xor_b32_e32 v13, 2, v49
	v_cmp_lt_i32_e32 vcc_lo, v13, v51
	v_cndmask_b32_e32 v13, v49, v13, vcc_lo
	v_cmp_eq_u32_e32 vcc_lo, 0, v18
	s_delay_alu instid0(VALU_DEP_2) | instskip(SKIP_3) | instid1(VALU_DEP_1)
	v_lshlrev_b32_e32 v13, 2, v13
	ds_bpermute_b32 v9, v21, v8
	s_waitcnt lgkmcnt(0)
	v_max_f32_e32 v9, v9, v9
	v_max_f32_e32 v8, v8, v9
	ds_bpermute_b32 v9, v24, v8
	s_waitcnt lgkmcnt(0)
	v_max_f32_e32 v9, v9, v9
	s_delay_alu instid0(VALU_DEP_1)
	v_max_f32_e32 v8, v8, v9
	ds_bpermute_b32 v9, v13, v8
	s_and_saveexec_b32 s2, vcc_lo
	s_cbranch_execz .LBB339_1039
; %bb.1038:
	s_waitcnt lgkmcnt(0)
	v_dual_max_f32 v9, v9, v9 :: v_dual_max_f32 v8, v8, v8
	s_delay_alu instid0(VALU_DEP_1)
	v_max_f32_e32 v8, v8, v9
	ds_store_b32 v25, v8 offset:512
.LBB339_1039:
	s_or_b32 exec_lo, exec_lo, s2
	v_cmp_gt_u32_e64 s2, 4, v18
	v_mov_b32_e32 v8, 0xff7fffff
	v_lshlrev_b32_e32 v28, 2, v18
	s_waitcnt lgkmcnt(0)
	s_barrier
	buffer_gl0_inv
	s_and_saveexec_b32 s3, s2
	s_cbranch_execz .LBB339_1041
; %bb.1040:
	ds_load_b32 v8, v28 offset:512
.LBB339_1041:
	s_or_b32 exec_lo, exec_lo, s3
	s_waitcnt lgkmcnt(0)
	ds_bpermute_b32 v9, v13, v8
	v_xor_b32_e32 v19, 1, v49
	v_dual_max_f32 v8, v8, v8 :: v_dual_lshlrev_b32 v29, 2, v49
	v_subrev_nc_u32_e32 v30, s13, v37
	s_delay_alu instid0(VALU_DEP_3) | instskip(NEXT) | instid1(VALU_DEP_3)
	v_cmp_lt_i32_e64 s3, v19, v51
	v_and_b32_e32 v29, 0xffffff80, v29
	s_delay_alu instid0(VALU_DEP_2) | instskip(SKIP_2) | instid1(VALU_DEP_1)
	v_cndmask_b32_e64 v19, v49, v19, s3
	s_waitcnt lgkmcnt(0)
	v_max_f32_e32 v9, v9, v9
	v_dual_max_f32 v8, v8, v9 :: v_dual_lshlrev_b32 v19, 2, v19
	ds_bpermute_b32 v9, v19, v8
	s_waitcnt lgkmcnt(0)
	v_max_f32_e32 v9, v9, v9
	s_delay_alu instid0(VALU_DEP_1) | instskip(SKIP_4) | instid1(VALU_DEP_1)
	v_max_f32_e32 v8, v8, v9
	v_lshl_add_u32 v9, v30, 4, s18
	v_mov_b32_e32 v30, 0
	ds_bpermute_b32 v8, v29, v8
	v_min_i32_e32 v9, v9, v35
	v_subrev_nc_u32_e32 v9, s18, v9
	s_delay_alu instid0(VALU_DEP_1) | instskip(NEXT) | instid1(VALU_DEP_1)
	v_cmp_lt_i32_e64 s3, v33, v9
	s_and_saveexec_b32 s9, s3
	s_cbranch_execz .LBB339_1045
; %bb.1042:
	s_getpc_b64 s[20:21]
	s_add_u32 s20, s20, llvm.amdgcn.dynlds.offset.table@rel32@lo+4
	s_addc_u32 s21, s21, llvm.amdgcn.dynlds.offset.table@rel32@hi+12
	s_ashr_i32 s11, s10, 31
	v_dual_mov_b32 v30, 0 :: v_dual_mov_b32 v49, v33
	s_lshl_b64 s[22:23], s[10:11], 2
	s_mov_b32 s11, 0
	s_add_u32 s20, s22, s20
	s_addc_u32 s21, s23, s21
	s_load_b32 s4, s[20:21], 0x0
	s_waitcnt lgkmcnt(0)
	v_lshl_add_u32 v31, v33, 2, s4
	.p2align	6
.LBB339_1043:                           ; =>This Inner Loop Header: Depth=1
	ds_load_b32 v50, v31
	v_add_nc_u32_e32 v49, 0x80, v49
	s_delay_alu instid0(VALU_DEP_1) | instskip(NEXT) | instid1(VALU_DEP_1)
	v_cmp_ge_i32_e64 s4, v49, v9
	s_or_b32 s11, s4, s11
	s_waitcnt lgkmcnt(0)
	v_sub_f32_e32 v50, v50, v8
	s_delay_alu instid0(VALU_DEP_1) | instskip(NEXT) | instid1(VALU_DEP_1)
	v_mul_f32_e32 v50, 0x3fb8aa3b, v50
	v_exp_f32_e32 v50, v50
	ds_store_b32 v31, v50
	v_dual_add_f32 v30, v30, v50 :: v_dual_add_nc_u32 v31, 0x200, v31
	s_and_not1_b32 exec_lo, exec_lo, s11
	s_cbranch_execnz .LBB339_1043
; %bb.1044:
	s_or_b32 exec_lo, exec_lo, s11
.LBB339_1045:
	s_delay_alu instid0(SALU_CYCLE_1)
	s_or_b32 exec_lo, exec_lo, s9
	ds_bpermute_b32 v20, v20, v30
	s_waitcnt lgkmcnt(0)
	v_add_f32_e32 v20, v30, v20
	ds_bpermute_b32 v21, v21, v20
	s_waitcnt lgkmcnt(0)
	v_add_f32_e32 v20, v20, v21
	;; [unrolled: 3-line block ×5, first 2 shown]
	s_and_saveexec_b32 s4, vcc_lo
	s_cbranch_execz .LBB339_1047
; %bb.1046:
	ds_store_b32 v25, v20 offset:528
.LBB339_1047:
	s_or_b32 exec_lo, exec_lo, s4
	s_waitcnt lgkmcnt(0)
	s_barrier
	buffer_gl0_inv
	s_and_saveexec_b32 s4, s2
	s_cbranch_execz .LBB339_1049
; %bb.1048:
	ds_load_b32 v20, v28 offset:528
.LBB339_1049:
	s_or_b32 exec_lo, exec_lo, s4
	s_waitcnt lgkmcnt(0)
	ds_bpermute_b32 v13, v13, v20
	s_waitcnt lgkmcnt(0)
	v_add_f32_e32 v13, v20, v13
	ds_bpermute_b32 v20, v19, v13
	s_waitcnt lgkmcnt(0)
	v_add_f32_e32 v13, v13, v20
	ds_bpermute_b32 v13, v29, v13
	s_and_saveexec_b32 s2, s3
	s_cbranch_execz .LBB339_1052
; %bb.1050:
	s_waitcnt lgkmcnt(0)
	v_add_f32_e32 v21, 0x358637bd, v13
	s_getpc_b64 s[20:21]
	s_add_u32 s20, s20, llvm.amdgcn.dynlds.offset.table@rel32@lo+4
	s_addc_u32 s21, s21, llvm.amdgcn.dynlds.offset.table@rel32@hi+12
	s_ashr_i32 s11, s10, 31
	s_delay_alu instid0(SALU_CYCLE_1) | instskip(SKIP_4) | instid1(VALU_DEP_1)
	s_lshl_b64 s[22:23], s[10:11], 2
	v_div_scale_f32 v20, null, v21, v21, 1.0
	s_add_u32 s20, s22, s20
	s_addc_u32 s21, s23, s21
	s_load_b32 s3, s[20:21], 0x0
	v_rcp_f32_e32 v24, v20
	s_waitcnt_depctr 0xfff
	v_fma_f32 v25, -v20, v24, 1.0
	s_delay_alu instid0(VALU_DEP_1) | instskip(SKIP_1) | instid1(VALU_DEP_1)
	v_fmac_f32_e32 v24, v25, v24
	v_div_scale_f32 v28, vcc_lo, 1.0, v21, 1.0
	v_mul_f32_e32 v25, v28, v24
	s_delay_alu instid0(VALU_DEP_1) | instskip(NEXT) | instid1(VALU_DEP_1)
	v_fma_f32 v29, -v20, v25, v28
	v_fmac_f32_e32 v25, v29, v24
	s_delay_alu instid0(VALU_DEP_1) | instskip(NEXT) | instid1(VALU_DEP_1)
	v_fma_f32 v20, -v20, v25, v28
	v_div_fmas_f32 v24, v20, v24, v25
	s_waitcnt lgkmcnt(0)
	v_lshl_add_u32 v20, v33, 2, s3
	s_mov_b32 s3, 0
	s_delay_alu instid0(VALU_DEP_2)
	v_div_fixup_f32 v21, v24, v21, 1.0
	v_mov_b32_e32 v24, v33
.LBB339_1051:                           ; =>This Inner Loop Header: Depth=1
	ds_load_b32 v25, v20
	s_waitcnt lgkmcnt(0)
	v_dual_mul_f32 v25, v21, v25 :: v_dual_add_nc_u32 v24, 0x80, v24
	s_delay_alu instid0(VALU_DEP_1) | instskip(SKIP_3) | instid1(SALU_CYCLE_1)
	v_cmp_ge_i32_e32 vcc_lo, v24, v9
	ds_store_b32 v20, v25
	v_add_nc_u32_e32 v20, 0x200, v20
	s_or_b32 s3, vcc_lo, s3
	s_and_not1_b32 exec_lo, exec_lo, s3
	s_cbranch_execnz .LBB339_1051
.LBB339_1052:
	s_or_b32 exec_lo, exec_lo, s2
	v_cmp_ne_u16_e64 s2, s8, 0
	s_mov_b32 s4, exec_lo
	s_waitcnt lgkmcnt(0)
	s_barrier
	buffer_gl0_inv
	s_cmp_lg_u32 s2, 0
	s_addc_u32 s7, s7, 0
	s_delay_alu instid0(SALU_CYCLE_1) | instskip(NEXT) | instid1(SALU_CYCLE_1)
	s_mul_i32 s2, s7, s16
	s_mul_i32 s2, s2, s5
	v_cmpx_eq_u32_e32 0, v33
	s_cbranch_execz .LBB339_1054
; %bb.1053:
	s_mul_i32 s8, s7, s12
	s_ashr_i32 s15, s14, 31
	s_ashr_i32 s9, s8, 31
	s_ashr_i32 s3, s2, 31
	s_lshl_b64 s[8:9], s[8:9], 2
	s_lshl_b64 s[12:13], s[14:15], 2
	;; [unrolled: 1-line block ×3, first 2 shown]
	s_add_u32 s3, s12, s8
	s_addc_u32 s5, s13, s9
	s_add_u32 s3, s3, s20
	s_addc_u32 s5, s5, s21
	v_add_co_u32 v2, vcc_lo, s3, v2
	v_add_co_ci_u32_e32 v3, vcc_lo, s5, v3, vcc_lo
	v_add_co_u32 v0, vcc_lo, s3, v0
	v_add_co_ci_u32_e32 v1, vcc_lo, s5, v1, vcc_lo
	flat_store_b32 v[2:3], v8
	flat_store_b32 v[0:1], v13
.LBB339_1054:
	s_or_b32 exec_lo, exec_lo, s4
                                        ; implicit-def: $sgpr4
	s_and_saveexec_b32 s3, s1
	s_delay_alu instid0(SALU_CYCLE_1)
	s_xor_b32 s1, exec_lo, s3
; %bb.1055:
	s_ashr_i32 s11, s10, 31
	s_mov_b32 s4, 0
                                        ; implicit-def: $vgpr35
                                        ; implicit-def: $vgpr38
                                        ; implicit-def: $vgpr37
                                        ; implicit-def: $vgpr6
                                        ; implicit-def: $vgpr10
                                        ; implicit-def: $vgpr11
                                        ; implicit-def: $vgpr14
                                        ; implicit-def: $vgpr15
                                        ; implicit-def: $vgpr22
                                        ; implicit-def: $vgpr26_vgpr27
                                        ; implicit-def: $vgpr39
                                        ; implicit-def: $vgpr48
                                        ; implicit-def: $vgpr16_vgpr17
                                        ; implicit-def: $vgpr23
                                        ; implicit-def: $vgpr12
; %bb.1056:
	s_or_saveexec_b32 s3, s1
	v_dual_mov_b32 v0, s10 :: v_dual_mov_b32 v55, s4
	v_dual_mov_b32 v54, s4 :: v_dual_mov_b32 v1, s11
	;; [unrolled: 1-line block ×9, first 2 shown]
	s_xor_b32 exec_lo, exec_lo, s3
	s_cbranch_execz .LBB339_2116
; %bb.1057:
	s_getpc_b64 s[4:5]
	s_add_u32 s4, s4, llvm.amdgcn.dynlds.offset.table@rel32@lo+4
	s_addc_u32 s5, s5, llvm.amdgcn.dynlds.offset.table@rel32@hi+12
	s_ashr_i32 s11, s10, 31
	v_add_co_u32 v2, vcc_lo, v10, v39
	s_lshl_b64 s[8:9], s[10:11], 2
	v_dual_mov_b32 v20, 0 :: v_dual_and_b32 v9, 0xf8, v12
	s_add_u32 s4, s8, s4
	s_addc_u32 s5, s9, s5
	v_add_co_ci_u32_e32 v3, vcc_lo, v11, v48, vcc_lo
	s_load_b32 s1, s[4:5], 0x0
	v_lshlrev_b64 v[7:8], 2, v[6:7]
	v_add_co_u32 v2, vcc_lo, v2, v9
	v_dual_mov_b32 v24, 0 :: v_dual_lshlrev_b32 v9, 5, v34
	v_add_co_ci_u32_e32 v3, vcc_lo, 0, v3, vcc_lo
	s_delay_alu instid0(VALU_DEP_4) | instskip(SKIP_3) | instid1(VALU_DEP_4)
	v_add_co_u32 v7, vcc_lo, v16, v7
	v_dual_mov_b32 v1, 0 :: v_dual_and_b32 v0, 8, v12
	v_add_co_ci_u32_e32 v8, vcc_lo, v17, v8, vcc_lo
	v_lshl_or_b32 v9, v36, 6, v9
	v_add_co_u32 v7, vcc_lo, v14, v7
	v_dual_mov_b32 v39, v35 :: v_dual_add_nc_u32 v38, -1, v38
	s_delay_alu instid0(VALU_DEP_4)
	v_add_co_ci_u32_e32 v8, vcc_lo, v15, v8, vcc_lo
	v_add3_u32 v15, s18, v23, v0
	s_waitcnt lgkmcnt(0)
	v_dual_mov_b32 v21, 0 :: v_dual_add_nc_u32 v16, s1, v9
	v_dual_mov_b32 v25, 0 :: v_dual_mov_b32 v28, 0
	v_dual_mov_b32 v29, 0 :: v_dual_mov_b32 v30, 0
	;; [unrolled: 1-line block ×6, first 2 shown]
	v_mov_b32_e32 v55, 0
	s_mov_b32 s4, -1
	s_mov_b32 s5, 0xffffff
	s_mov_b32 s8, 0
	s_branch .LBB339_1059
.LBB339_1058:                           ;   in Loop: Header=BB339_1059 Depth=1
	s_or_b32 exec_lo, exec_lo, s1
	v_dual_add_f32 v12, v13, v14 :: v_dual_add_f32 v13, v131, v132
	v_dual_add_f32 v14, v129, v130 :: v_dual_add_f32 v17, v119, v128
	v_add_f32_e32 v23, v113, v114
	s_delay_alu instid0(VALU_DEP_3) | instskip(SKIP_1) | instid1(VALU_DEP_4)
	v_dual_add_f32 v21, v21, v12 :: v_dual_add_f32 v24, v24, v13
	v_dual_add_f32 v12, v117, v118 :: v_dual_add_f32 v13, v115, v116
	;; [unrolled: 1-line block ×4, first 2 shown]
	s_delay_alu instid0(VALU_DEP_3)
	v_dual_add_f32 v30, v30, v13 :: v_dual_add_f32 v31, v31, v23
	v_add_f32_e32 v13, v101, v102
	v_add_f32_e32 v29, v29, v12
	;; [unrolled: 1-line block ×4, first 2 shown]
	;;#ASMSTART
	v_pk_mul_f16 v11, v80, v11;

	;;#ASMEND
	;;#ASMSTART
	v_pk_mul_f16 v10, v69, v10;

	;;#ASMEND
	;; [unrolled: 4-line block ×4, first 2 shown]
	;;#ASMSTART
	v_pk_add_f16 v10, v11, v10;

	;;#ASMEND
	v_add_f32_e32 v11, v83, v84
	;;#ASMSTART
	v_pk_add_f16 v0, v10, v0;

	;;#ASMEND
	v_add_f32_e32 v10, v85, v86
	;;#ASMSTART
	v_pk_add_f16 v0, v0, v9;

	;;#ASMEND
	v_dual_add_f32 v53, v53, v23 :: v_dual_add_nc_u32 v6, 4, v6
	v_dual_add_f32 v64, v64, v11 :: v_dual_and_b32 v9, 0xffff, v0
	v_lshrrev_b32_e32 v0, 16, v0
	;;#ASMSTART
	v_cvt_f32_f16 v9, v9;
	;;#ASMEND
	;;#ASMSTART
	v_cvt_f32_f16 v0, v0;
	;;#ASMEND
	v_dual_add_f32 v49, v49, v12 :: v_dual_add_f32 v12, v68, v71
	s_delay_alu instid0(VALU_DEP_2)
	v_dual_add_f32 v51, v51, v14 :: v_dual_add_f32 v0, v9, v0
	v_cmp_ge_i32_e32 vcc_lo, v6, v37
	v_add_co_u32 v7, s1, v7, 16
	v_add_f32_e32 v50, v50, v13
	v_dual_add_f32 v52, v52, v17 :: v_dual_add_f32 v55, v55, v10
	v_add_f32_e32 v54, v54, v12
	v_dual_add_f32 v20, v20, v0 :: v_dual_add_nc_u32 v15, 64, v15
	v_add_co_ci_u32_e64 v8, s1, 0, v8, s1
	v_add_nc_u32_e32 v16, 0x100, v16
	s_or_b32 s8, vcc_lo, s8
	s_delay_alu instid0(SALU_CYCLE_1)
	s_and_not1_b32 exec_lo, exec_lo, s8
	s_cbranch_execz .LBB339_2115
.LBB339_1059:                           ; =>This Inner Loop Header: Depth=1
	flat_load_b32 v0, v[7:8]
	ds_load_2addr_b64 v[10:13], v16 offset1:1
	ds_load_2addr_b64 v[80:83], v16 offset0:2 offset1:3
	s_mov_b32 s1, exec_lo
	s_waitcnt lgkmcnt(1)
	;;#ASMSTART
	v_cvt_f16_f32 v66, v10;

	;;#ASMEND
	;;#ASMSTART
	v_cvt_f16_f32 v67, v11;

	;;#ASMEND
	;; [unrolled: 4-line block ×4, first 2 shown]
	s_waitcnt lgkmcnt(0)
	;;#ASMSTART
	v_cvt_f16_f32 v80, v80;

	;;#ASMEND
	;;#ASMSTART
	v_cvt_f16_f32 v71, v81;

	;;#ASMEND
	;; [unrolled: 4-line block ×4, first 2 shown]
	v_mov_b32_e32 v23, 0
	s_waitcnt vmcnt(0)
	v_mad_i64_i32 v[9:10], null, v0, v22, v[2:3]
	flat_load_b64 v[11:12], v[9:10]
	flat_load_b32 v17, v[26:27]
	s_waitcnt vmcnt(1) lgkmcnt(1)
	v_and_b32_e32 v0, 0xff, v11
	s_delay_alu instid0(VALU_DEP_1)
	v_cmpx_ne_u16_e32 0, v0
	s_cbranch_execz .LBB339_1067
; %bb.1060:                             ;   in Loop: Header=BB339_1059 Depth=1
	v_bfrev_b32_e32 v23, 1
	s_mov_b32 s9, exec_lo
	v_cmpx_ne_u16_e32 0x80, v0
	s_cbranch_execz .LBB339_1066
; %bb.1061:                             ;   in Loop: Header=BB339_1059 Depth=1
	v_and_b32_e32 v13, 0x7f, v11
	v_mov_b32_e32 v23, 0x7fc02000
	s_mov_b32 s12, exec_lo
	s_delay_alu instid0(VALU_DEP_2)
	v_cmpx_ne_u32_e32 0x7f, v13
	s_cbranch_execz .LBB339_1065
; %bb.1062:                             ;   in Loop: Header=BB339_1059 Depth=1
	v_lshrrev_b32_e32 v0, 3, v13
	v_cmp_gt_u32_e32 vcc_lo, 8, v13
	v_dual_mov_b32 v14, v12 :: v_dual_mov_b32 v13, v11
	s_and_saveexec_b32 s13, vcc_lo
; %bb.1063:                             ;   in Loop: Header=BB339_1059 Depth=1
	v_and_b32_e32 v0, 7, v11
	s_delay_alu instid0(VALU_DEP_1) | instskip(NEXT) | instid1(VALU_DEP_1)
	v_clz_i32_u32_e32 v0, v0
	v_min_u32_e32 v0, 32, v0
	s_delay_alu instid0(VALU_DEP_1) | instskip(SKIP_1) | instid1(VALU_DEP_2)
	v_subrev_nc_u32_e32 v13, 28, v0
	v_sub_nc_u32_e32 v0, 29, v0
	v_lshlrev_b64 v[13:14], v13, v[11:12]
; %bb.1064:                             ;   in Loop: Header=BB339_1059 Depth=1
	s_or_b32 exec_lo, exec_lo, s13
	v_lshlrev_b32_e32 v14, 8, v11
	s_delay_alu instid0(VALU_DEP_3) | instskip(NEXT) | instid1(VALU_DEP_3)
	v_lshl_add_u32 v0, v0, 10, 0x2000
	v_lshlrev_b32_e32 v13, 7, v13
	s_delay_alu instid0(VALU_DEP_2) | instskip(NEXT) | instid1(VALU_DEP_1)
	v_and_or_b32 v0, 0x8000, v14, v0
	v_and_or_b32 v0, 0x380, v13, v0
	s_delay_alu instid0(VALU_DEP_1)
	v_cvt_f32_f16_e32 v23, v0
.LBB339_1065:                           ;   in Loop: Header=BB339_1059 Depth=1
	s_or_b32 exec_lo, exec_lo, s12
.LBB339_1066:                           ;   in Loop: Header=BB339_1059 Depth=1
	s_delay_alu instid0(SALU_CYCLE_1)
	s_or_b32 exec_lo, exec_lo, s9
.LBB339_1067:                           ;   in Loop: Header=BB339_1059 Depth=1
	s_delay_alu instid0(SALU_CYCLE_1) | instskip(SKIP_3) | instid1(VALU_DEP_2)
	s_or_b32 exec_lo, exec_lo, s1
	v_lshrrev_b16 v0, 8, v11
	v_dual_mov_b32 v65, 0 :: v_dual_mov_b32 v48, 0
	s_mov_b32 s1, exec_lo
	v_cmpx_ne_u16_e32 0, v0
	s_cbranch_execz .LBB339_1075
; %bb.1068:                             ;   in Loop: Header=BB339_1059 Depth=1
	v_bfrev_b32_e32 v48, 1
	s_mov_b32 s9, exec_lo
	v_cmpx_ne_u16_e32 0x80, v0
	s_cbranch_execz .LBB339_1074
; %bb.1069:                             ;   in Loop: Header=BB339_1059 Depth=1
	v_and_b32_e32 v70, 0xffff, v0
	v_mov_b32_e32 v48, 0x7fc02000
	s_mov_b32 s12, exec_lo
	s_delay_alu instid0(VALU_DEP_2) | instskip(NEXT) | instid1(VALU_DEP_1)
	v_and_b32_e32 v13, 0x7f, v70
	v_cmpx_ne_u32_e32 0x7f, v13
	s_cbranch_execz .LBB339_1073
; %bb.1070:                             ;   in Loop: Header=BB339_1059 Depth=1
	v_and_b32_e32 v0, 7, v70
	v_lshrrev_b32_e32 v48, 3, v13
	v_cmp_gt_u32_e32 vcc_lo, 8, v13
	s_delay_alu instid0(VALU_DEP_3)
	v_dual_mov_b32 v14, v1 :: v_dual_mov_b32 v13, v0
	s_and_saveexec_b32 s13, vcc_lo
; %bb.1071:                             ;   in Loop: Header=BB339_1059 Depth=1
	v_clz_i32_u32_e32 v13, v0
	s_delay_alu instid0(VALU_DEP_1) | instskip(NEXT) | instid1(VALU_DEP_1)
	v_min_u32_e32 v48, 32, v13
	v_subrev_nc_u32_e32 v13, 28, v48
	v_sub_nc_u32_e32 v48, 29, v48
	s_delay_alu instid0(VALU_DEP_2) | instskip(NEXT) | instid1(VALU_DEP_1)
	v_lshlrev_b64 v[13:14], v13, v[0:1]
	v_and_b32_e32 v13, 7, v13
; %bb.1072:                             ;   in Loop: Header=BB339_1059 Depth=1
	s_or_b32 exec_lo, exec_lo, s13
	v_lshlrev_b32_e32 v0, 8, v70
	v_lshl_add_u32 v14, v48, 10, 0x2000
	s_delay_alu instid0(VALU_DEP_1) | instskip(NEXT) | instid1(VALU_DEP_1)
	v_and_or_b32 v0, 0x8000, v0, v14
	v_lshl_or_b32 v0, v13, 7, v0
	s_delay_alu instid0(VALU_DEP_1)
	v_cvt_f32_f16_e32 v48, v0
.LBB339_1073:                           ;   in Loop: Header=BB339_1059 Depth=1
	s_or_b32 exec_lo, exec_lo, s12
.LBB339_1074:                           ;   in Loop: Header=BB339_1059 Depth=1
	s_delay_alu instid0(SALU_CYCLE_1)
	s_or_b32 exec_lo, exec_lo, s9
.LBB339_1075:                           ;   in Loop: Header=BB339_1059 Depth=1
	s_delay_alu instid0(SALU_CYCLE_1) | instskip(SKIP_2) | instid1(VALU_DEP_1)
	s_or_b32 exec_lo, exec_lo, s1
	v_lshrrev_b32_e32 v70, 16, v11
	s_mov_b32 s1, exec_lo
	v_and_b32_e32 v0, 0xff, v70
	s_delay_alu instid0(VALU_DEP_1)
	v_cmpx_ne_u16_e32 0, v0
	s_cbranch_execz .LBB339_1083
; %bb.1076:                             ;   in Loop: Header=BB339_1059 Depth=1
	v_bfrev_b32_e32 v65, 1
	s_mov_b32 s9, exec_lo
	v_cmpx_ne_u16_e32 0x80, v0
	s_cbranch_execz .LBB339_1082
; %bb.1077:                             ;   in Loop: Header=BB339_1059 Depth=1
	v_bfe_u32 v13, v11, 16, 7
	v_mov_b32_e32 v65, 0x7fc02000
	s_mov_b32 s12, exec_lo
	s_delay_alu instid0(VALU_DEP_2)
	v_cmpx_ne_u32_e32 0x7f, v13
	s_cbranch_execz .LBB339_1081
; %bb.1078:                             ;   in Loop: Header=BB339_1059 Depth=1
	v_and_b32_e32 v0, 7, v70
	v_lshrrev_b32_e32 v65, 3, v13
	v_cmp_gt_u32_e32 vcc_lo, 8, v13
	s_delay_alu instid0(VALU_DEP_3)
	v_dual_mov_b32 v14, v1 :: v_dual_mov_b32 v13, v0
	s_and_saveexec_b32 s13, vcc_lo
; %bb.1079:                             ;   in Loop: Header=BB339_1059 Depth=1
	v_clz_i32_u32_e32 v13, v0
	s_delay_alu instid0(VALU_DEP_1) | instskip(NEXT) | instid1(VALU_DEP_1)
	v_min_u32_e32 v65, 32, v13
	v_subrev_nc_u32_e32 v13, 28, v65
	v_sub_nc_u32_e32 v65, 29, v65
	s_delay_alu instid0(VALU_DEP_2) | instskip(NEXT) | instid1(VALU_DEP_1)
	v_lshlrev_b64 v[13:14], v13, v[0:1]
	v_and_b32_e32 v13, 7, v13
; %bb.1080:                             ;   in Loop: Header=BB339_1059 Depth=1
	s_or_b32 exec_lo, exec_lo, s13
	v_lshlrev_b32_e32 v0, 8, v70
	v_lshl_add_u32 v14, v65, 10, 0x2000
	s_delay_alu instid0(VALU_DEP_1) | instskip(NEXT) | instid1(VALU_DEP_1)
	v_and_or_b32 v0, 0x8000, v0, v14
	v_lshl_or_b32 v0, v13, 7, v0
	s_delay_alu instid0(VALU_DEP_1)
	v_cvt_f32_f16_e32 v65, v0
.LBB339_1081:                           ;   in Loop: Header=BB339_1059 Depth=1
	s_or_b32 exec_lo, exec_lo, s12
.LBB339_1082:                           ;   in Loop: Header=BB339_1059 Depth=1
	s_delay_alu instid0(SALU_CYCLE_1)
	s_or_b32 exec_lo, exec_lo, s9
.LBB339_1083:                           ;   in Loop: Header=BB339_1059 Depth=1
	s_delay_alu instid0(SALU_CYCLE_1)
	s_or_b32 exec_lo, exec_lo, s1
	v_dual_mov_b32 v70, 0 :: v_dual_mov_b32 v81, 0
	s_mov_b32 s1, exec_lo
	v_cmpx_lt_u32_e32 0xffffff, v11
	s_cbranch_execz .LBB339_1091
; %bb.1084:                             ;   in Loop: Header=BB339_1059 Depth=1
	v_lshrrev_b32_e32 v82, 24, v11
	v_bfrev_b32_e32 v81, 1
	s_mov_b32 s9, exec_lo
	s_delay_alu instid0(VALU_DEP_2)
	v_cmpx_ne_u32_e32 0x80, v82
	s_cbranch_execz .LBB339_1090
; %bb.1085:                             ;   in Loop: Header=BB339_1059 Depth=1
	v_and_b32_e32 v13, 0x7f, v82
	v_mov_b32_e32 v81, 0x7fc02000
	s_mov_b32 s12, exec_lo
	s_delay_alu instid0(VALU_DEP_2)
	v_cmpx_ne_u32_e32 0x7f, v13
	s_cbranch_execz .LBB339_1089
; %bb.1086:                             ;   in Loop: Header=BB339_1059 Depth=1
	v_and_b32_e32 v0, 7, v82
	v_lshrrev_b32_e32 v81, 3, v13
	v_cmp_gt_u32_e32 vcc_lo, 8, v13
	s_delay_alu instid0(VALU_DEP_3)
	v_dual_mov_b32 v14, v1 :: v_dual_mov_b32 v13, v0
	s_and_saveexec_b32 s13, vcc_lo
; %bb.1087:                             ;   in Loop: Header=BB339_1059 Depth=1
	v_clz_i32_u32_e32 v13, v0
	s_delay_alu instid0(VALU_DEP_1) | instskip(NEXT) | instid1(VALU_DEP_1)
	v_min_u32_e32 v81, 32, v13
	v_subrev_nc_u32_e32 v13, 28, v81
	v_sub_nc_u32_e32 v81, 29, v81
	s_delay_alu instid0(VALU_DEP_2) | instskip(NEXT) | instid1(VALU_DEP_1)
	v_lshlrev_b64 v[13:14], v13, v[0:1]
	v_and_b32_e32 v13, 7, v13
; %bb.1088:                             ;   in Loop: Header=BB339_1059 Depth=1
	s_or_b32 exec_lo, exec_lo, s13
	v_lshlrev_b32_e32 v0, 8, v82
	v_lshl_add_u32 v14, v81, 10, 0x2000
	s_delay_alu instid0(VALU_DEP_1) | instskip(NEXT) | instid1(VALU_DEP_1)
	v_and_or_b32 v0, 0x8000, v0, v14
	v_lshl_or_b32 v0, v13, 7, v0
	s_delay_alu instid0(VALU_DEP_1)
	v_cvt_f32_f16_e32 v81, v0
.LBB339_1089:                           ;   in Loop: Header=BB339_1059 Depth=1
	s_or_b32 exec_lo, exec_lo, s12
.LBB339_1090:                           ;   in Loop: Header=BB339_1059 Depth=1
	s_delay_alu instid0(SALU_CYCLE_1)
	s_or_b32 exec_lo, exec_lo, s9
.LBB339_1091:                           ;   in Loop: Header=BB339_1059 Depth=1
	s_delay_alu instid0(SALU_CYCLE_1) | instskip(SKIP_2) | instid1(VALU_DEP_1)
	s_or_b32 exec_lo, exec_lo, s1
	v_dual_mov_b32 v0, v12 :: v_dual_and_b32 v13, 0xff, v12
	s_mov_b32 s1, exec_lo
	v_cmpx_ne_u16_e32 0, v13
	s_cbranch_execz .LBB339_1099
; %bb.1092:                             ;   in Loop: Header=BB339_1059 Depth=1
	v_bfrev_b32_e32 v70, 1
	s_mov_b32 s9, exec_lo
	v_cmpx_ne_u16_e32 0x80, v13
	s_cbranch_execz .LBB339_1098
; %bb.1093:                             ;   in Loop: Header=BB339_1059 Depth=1
	v_and_b32_e32 v13, 0x7f, v12
	v_mov_b32_e32 v70, 0x7fc02000
	s_mov_b32 s12, exec_lo
	s_delay_alu instid0(VALU_DEP_2)
	v_cmpx_ne_u32_e32 0x7f, v13
	s_cbranch_execz .LBB339_1097
; %bb.1094:                             ;   in Loop: Header=BB339_1059 Depth=1
	v_lshrrev_b32_e32 v70, 3, v13
	v_cmp_gt_u32_e32 vcc_lo, 8, v13
	v_dual_mov_b32 v14, v1 :: v_dual_mov_b32 v13, v0
	s_and_saveexec_b32 s13, vcc_lo
; %bb.1095:                             ;   in Loop: Header=BB339_1059 Depth=1
	v_and_b32_e32 v13, 7, v12
	s_delay_alu instid0(VALU_DEP_1) | instskip(NEXT) | instid1(VALU_DEP_1)
	v_clz_i32_u32_e32 v13, v13
	v_min_u32_e32 v70, 32, v13
	s_delay_alu instid0(VALU_DEP_1) | instskip(SKIP_1) | instid1(VALU_DEP_2)
	v_subrev_nc_u32_e32 v13, 28, v70
	v_sub_nc_u32_e32 v70, 29, v70
	v_lshlrev_b64 v[13:14], v13, v[0:1]
; %bb.1096:                             ;   in Loop: Header=BB339_1059 Depth=1
	s_or_b32 exec_lo, exec_lo, s13
	v_lshlrev_b32_e32 v14, 8, v12
	s_delay_alu instid0(VALU_DEP_3) | instskip(NEXT) | instid1(VALU_DEP_3)
	v_lshl_add_u32 v70, v70, 10, 0x2000
	v_lshlrev_b32_e32 v13, 7, v13
	s_delay_alu instid0(VALU_DEP_2) | instskip(NEXT) | instid1(VALU_DEP_1)
	v_and_or_b32 v14, 0x8000, v14, v70
	v_and_or_b32 v13, 0x380, v13, v14
	s_delay_alu instid0(VALU_DEP_1)
	v_cvt_f32_f16_e32 v70, v13
.LBB339_1097:                           ;   in Loop: Header=BB339_1059 Depth=1
	s_or_b32 exec_lo, exec_lo, s12
.LBB339_1098:                           ;   in Loop: Header=BB339_1059 Depth=1
	s_delay_alu instid0(SALU_CYCLE_1)
	s_or_b32 exec_lo, exec_lo, s9
.LBB339_1099:                           ;   in Loop: Header=BB339_1059 Depth=1
	s_delay_alu instid0(SALU_CYCLE_1) | instskip(SKIP_3) | instid1(VALU_DEP_2)
	s_or_b32 exec_lo, exec_lo, s1
	v_lshrrev_b16 v0, 8, v0
	v_dual_mov_b32 v82, 0 :: v_dual_mov_b32 v85, 0
	s_mov_b32 s1, exec_lo
	v_cmpx_ne_u16_e32 0, v0
	s_cbranch_execz .LBB339_1107
; %bb.1100:                             ;   in Loop: Header=BB339_1059 Depth=1
	v_bfrev_b32_e32 v85, 1
	s_mov_b32 s9, exec_lo
	v_cmpx_ne_u16_e32 0x80, v0
	s_cbranch_execz .LBB339_1106
; %bb.1101:                             ;   in Loop: Header=BB339_1059 Depth=1
	v_and_b32_e32 v86, 0xffff, v0
	v_mov_b32_e32 v85, 0x7fc02000
	s_mov_b32 s12, exec_lo
	s_delay_alu instid0(VALU_DEP_2) | instskip(NEXT) | instid1(VALU_DEP_1)
	v_and_b32_e32 v13, 0x7f, v86
	v_cmpx_ne_u32_e32 0x7f, v13
	s_cbranch_execz .LBB339_1105
; %bb.1102:                             ;   in Loop: Header=BB339_1059 Depth=1
	v_and_b32_e32 v0, 7, v86
	v_lshrrev_b32_e32 v85, 3, v13
	v_cmp_gt_u32_e32 vcc_lo, 8, v13
	s_delay_alu instid0(VALU_DEP_3)
	v_dual_mov_b32 v14, v1 :: v_dual_mov_b32 v13, v0
	s_and_saveexec_b32 s13, vcc_lo
; %bb.1103:                             ;   in Loop: Header=BB339_1059 Depth=1
	v_clz_i32_u32_e32 v13, v0
	s_delay_alu instid0(VALU_DEP_1) | instskip(NEXT) | instid1(VALU_DEP_1)
	v_min_u32_e32 v85, 32, v13
	v_subrev_nc_u32_e32 v13, 28, v85
	v_sub_nc_u32_e32 v85, 29, v85
	s_delay_alu instid0(VALU_DEP_2) | instskip(NEXT) | instid1(VALU_DEP_1)
	v_lshlrev_b64 v[13:14], v13, v[0:1]
	v_and_b32_e32 v13, 7, v13
; %bb.1104:                             ;   in Loop: Header=BB339_1059 Depth=1
	s_or_b32 exec_lo, exec_lo, s13
	v_lshlrev_b32_e32 v0, 8, v86
	v_lshl_add_u32 v14, v85, 10, 0x2000
	s_delay_alu instid0(VALU_DEP_1) | instskip(NEXT) | instid1(VALU_DEP_1)
	v_and_or_b32 v0, 0x8000, v0, v14
	v_lshl_or_b32 v0, v13, 7, v0
	s_delay_alu instid0(VALU_DEP_1)
	v_cvt_f32_f16_e32 v85, v0
.LBB339_1105:                           ;   in Loop: Header=BB339_1059 Depth=1
	s_or_b32 exec_lo, exec_lo, s12
.LBB339_1106:                           ;   in Loop: Header=BB339_1059 Depth=1
	s_delay_alu instid0(SALU_CYCLE_1)
	s_or_b32 exec_lo, exec_lo, s9
.LBB339_1107:                           ;   in Loop: Header=BB339_1059 Depth=1
	s_delay_alu instid0(SALU_CYCLE_1) | instskip(SKIP_2) | instid1(VALU_DEP_1)
	s_or_b32 exec_lo, exec_lo, s1
	v_lshrrev_b32_e32 v86, 16, v12
	s_mov_b32 s1, exec_lo
	v_and_b32_e32 v0, 0xff, v86
	s_delay_alu instid0(VALU_DEP_1)
	v_cmpx_ne_u16_e32 0, v0
	s_cbranch_execz .LBB339_1115
; %bb.1108:                             ;   in Loop: Header=BB339_1059 Depth=1
	v_bfrev_b32_e32 v82, 1
	s_mov_b32 s9, exec_lo
	v_cmpx_ne_u16_e32 0x80, v0
	s_cbranch_execz .LBB339_1114
; %bb.1109:                             ;   in Loop: Header=BB339_1059 Depth=1
	v_bfe_u32 v13, v12, 16, 7
	v_mov_b32_e32 v82, 0x7fc02000
	s_mov_b32 s12, exec_lo
	s_delay_alu instid0(VALU_DEP_2)
	v_cmpx_ne_u32_e32 0x7f, v13
	s_cbranch_execz .LBB339_1113
; %bb.1110:                             ;   in Loop: Header=BB339_1059 Depth=1
	v_and_b32_e32 v0, 7, v86
	v_lshrrev_b32_e32 v82, 3, v13
	v_cmp_gt_u32_e32 vcc_lo, 8, v13
	s_delay_alu instid0(VALU_DEP_3)
	v_dual_mov_b32 v14, v1 :: v_dual_mov_b32 v13, v0
	s_and_saveexec_b32 s13, vcc_lo
; %bb.1111:                             ;   in Loop: Header=BB339_1059 Depth=1
	v_clz_i32_u32_e32 v13, v0
	s_delay_alu instid0(VALU_DEP_1) | instskip(NEXT) | instid1(VALU_DEP_1)
	v_min_u32_e32 v82, 32, v13
	v_subrev_nc_u32_e32 v13, 28, v82
	v_sub_nc_u32_e32 v82, 29, v82
	s_delay_alu instid0(VALU_DEP_2) | instskip(NEXT) | instid1(VALU_DEP_1)
	v_lshlrev_b64 v[13:14], v13, v[0:1]
	v_and_b32_e32 v13, 7, v13
; %bb.1112:                             ;   in Loop: Header=BB339_1059 Depth=1
	s_or_b32 exec_lo, exec_lo, s13
	v_lshlrev_b32_e32 v0, 8, v86
	v_lshl_add_u32 v14, v82, 10, 0x2000
	s_delay_alu instid0(VALU_DEP_1) | instskip(NEXT) | instid1(VALU_DEP_1)
	v_and_or_b32 v0, 0x8000, v0, v14
	v_lshl_or_b32 v0, v13, 7, v0
	s_delay_alu instid0(VALU_DEP_1)
	v_cvt_f32_f16_e32 v82, v0
.LBB339_1113:                           ;   in Loop: Header=BB339_1059 Depth=1
	s_or_b32 exec_lo, exec_lo, s12
.LBB339_1114:                           ;   in Loop: Header=BB339_1059 Depth=1
	s_delay_alu instid0(SALU_CYCLE_1)
	s_or_b32 exec_lo, exec_lo, s9
.LBB339_1115:                           ;   in Loop: Header=BB339_1059 Depth=1
	s_delay_alu instid0(SALU_CYCLE_1)
	s_or_b32 exec_lo, exec_lo, s1
	v_mov_b32_e32 v0, 0
	s_mov_b32 s1, exec_lo
	v_cmpx_lt_u64_e64 s[4:5], v[11:12]
	s_cbranch_execz .LBB339_1123
; %bb.1116:                             ;   in Loop: Header=BB339_1059 Depth=1
	v_lshrrev_b32_e32 v13, 24, v12
	v_bfrev_b32_e32 v0, 1
	s_mov_b32 s9, exec_lo
	s_delay_alu instid0(VALU_DEP_2)
	v_cmpx_ne_u32_e32 0x80, v13
	s_cbranch_execz .LBB339_1122
; %bb.1117:                             ;   in Loop: Header=BB339_1059 Depth=1
	v_and_b32_e32 v11, 0x7f, v13
	v_mov_b32_e32 v0, 0x7fc02000
	s_mov_b32 s12, exec_lo
	s_delay_alu instid0(VALU_DEP_2)
	v_cmpx_ne_u32_e32 0x7f, v11
	s_cbranch_execz .LBB339_1121
; %bb.1118:                             ;   in Loop: Header=BB339_1059 Depth=1
	v_and_b32_e32 v0, 7, v13
	v_lshrrev_b32_e32 v14, 3, v11
	v_cmp_gt_u32_e32 vcc_lo, 8, v11
	s_delay_alu instid0(VALU_DEP_3)
	v_dual_mov_b32 v12, v1 :: v_dual_mov_b32 v11, v0
	s_and_saveexec_b32 s13, vcc_lo
; %bb.1119:                             ;   in Loop: Header=BB339_1059 Depth=1
	v_clz_i32_u32_e32 v11, v0
	s_delay_alu instid0(VALU_DEP_1) | instskip(NEXT) | instid1(VALU_DEP_1)
	v_min_u32_e32 v14, 32, v11
	v_subrev_nc_u32_e32 v11, 28, v14
	v_sub_nc_u32_e32 v14, 29, v14
	s_delay_alu instid0(VALU_DEP_2) | instskip(NEXT) | instid1(VALU_DEP_1)
	v_lshlrev_b64 v[11:12], v11, v[0:1]
	v_and_b32_e32 v11, 7, v11
; %bb.1120:                             ;   in Loop: Header=BB339_1059 Depth=1
	s_or_b32 exec_lo, exec_lo, s13
	v_lshlrev_b32_e32 v0, 8, v13
	v_lshl_add_u32 v12, v14, 10, 0x2000
	s_delay_alu instid0(VALU_DEP_1) | instskip(NEXT) | instid1(VALU_DEP_1)
	v_and_or_b32 v0, 0x8000, v0, v12
	v_lshl_or_b32 v0, v11, 7, v0
	s_delay_alu instid0(VALU_DEP_1)
	v_cvt_f32_f16_e32 v0, v0
.LBB339_1121:                           ;   in Loop: Header=BB339_1059 Depth=1
	s_or_b32 exec_lo, exec_lo, s12
.LBB339_1122:                           ;   in Loop: Header=BB339_1059 Depth=1
	s_delay_alu instid0(SALU_CYCLE_1)
	s_or_b32 exec_lo, exec_lo, s9
.LBB339_1123:                           ;   in Loop: Header=BB339_1059 Depth=1
	s_delay_alu instid0(SALU_CYCLE_1)
	s_or_b32 exec_lo, exec_lo, s1
	s_waitcnt vmcnt(0) lgkmcnt(0)
	v_fma_mixlo_f16 v13, v17, v48, 0
	v_fma_mixlo_f16 v11, v17, v81, 0
	;; [unrolled: 1-line block ×5, first 2 shown]
	v_lshlrev_b32_e32 v14, 16, v13
	v_fma_mixlo_f16 v65, v17, v70, 0
	v_fma_mixlo_f16 v0, v17, v0, 0
	;; [unrolled: 1-line block ×3, first 2 shown]
	v_lshlrev_b32_e32 v11, 16, v11
	v_and_b32_e32 v12, 0xffff, v12
	v_and_b32_e32 v17, 0xffff, v23
	v_lshlrev_b32_e32 v23, 16, v48
	v_and_b32_e32 v48, 0xffff, v65
	v_lshlrev_b32_e32 v65, 16, v0
	v_and_b32_e32 v70, 0xffff, v13
	v_cmp_eq_u32_e32 vcc_lo, v38, v6
	v_or_b32_e32 v12, v11, v12
	v_or_b32_e32 v14, v14, v17
	v_or_b32_e32 v0, v23, v48
	v_or_b32_e32 v11, v65, v70
	v_add_nc_u32_e32 v82, 1, v15
	v_or_b32_e32 v81, 3, v15
	v_or_b32_e32 v70, 2, v15
	;; [unrolled: 1-line block ×6, first 2 shown]
	s_and_saveexec_b32 s9, vcc_lo
	s_cbranch_execz .LBB339_1125
; %bb.1124:                             ;   in Loop: Header=BB339_1059 Depth=1
	v_cmp_lt_i32_e64 s1, v15, v35
	v_lshrrev_b32_e32 v85, 16, v14
	v_lshrrev_b32_e32 v86, 16, v12
	;; [unrolled: 1-line block ×4, first 2 shown]
	v_cndmask_b32_e64 v14, 0, v14, s1
	v_cmp_lt_i32_e64 s1, v82, v39
	s_delay_alu instid0(VALU_DEP_1) | instskip(SKIP_1) | instid1(VALU_DEP_2)
	v_cndmask_b32_e64 v85, 0, v85, s1
	v_cmp_lt_i32_e64 s1, v81, v39
	v_perm_b32 v14, v85, v14, 0x5040100
	s_delay_alu instid0(VALU_DEP_2) | instskip(SKIP_1) | instid1(VALU_DEP_1)
	v_cndmask_b32_e64 v86, 0, v86, s1
	v_cmp_lt_i32_e64 s1, v70, v35
	v_cndmask_b32_e64 v12, 0, v12, s1
	v_cmp_lt_i32_e64 s1, v65, v39
	s_delay_alu instid0(VALU_DEP_2) | instskip(NEXT) | instid1(VALU_DEP_2)
	v_perm_b32 v12, v86, v12, 0x5040100
	v_cndmask_b32_e64 v87, 0, v87, s1
	v_cmp_lt_i32_e64 s1, v48, v35
	s_delay_alu instid0(VALU_DEP_1) | instskip(SKIP_1) | instid1(VALU_DEP_2)
	v_cndmask_b32_e64 v0, 0, v0, s1
	v_cmp_lt_i32_e64 s1, v23, v39
	v_perm_b32 v0, v87, v0, 0x5040100
	s_delay_alu instid0(VALU_DEP_2) | instskip(SKIP_1) | instid1(VALU_DEP_1)
	v_cndmask_b32_e64 v11, 0, v11, s1
	v_cmp_lt_i32_e64 s1, v17, v35
	v_cndmask_b32_e64 v13, 0, v13, s1
	s_delay_alu instid0(VALU_DEP_1)
	v_perm_b32 v11, v11, v13, 0x5040100
.LBB339_1125:                           ;   in Loop: Header=BB339_1059 Depth=1
	s_or_b32 exec_lo, exec_lo, s9
	v_and_b32_e32 v13, 0xffff, v66
	v_and_b32_e32 v66, 0xffff, v69
	;; [unrolled: 1-line block ×4, first 2 shown]
	s_mov_b32 s9, exec_lo
	s_delay_alu instid0(VALU_DEP_3) | instskip(NEXT) | instid1(VALU_DEP_2)
	v_lshl_or_b32 v69, v68, 16, v66
	v_lshl_or_b32 v66, v83, 16, v84
	v_mov_b32_e32 v84, 0
	v_lshl_or_b32 v80, v67, 16, v13
	v_lshl_or_b32 v67, v71, 16, v85
	v_mov_b32_e32 v85, 0
	;;#ASMSTART
	v_pk_mul_f16 v13, v80, v14;

	;;#ASMEND
	;;#ASMSTART
	v_pk_mul_f16 v12, v69, v12;

	;;#ASMEND
	;; [unrolled: 4-line block ×4, first 2 shown]
	;;#ASMSTART
	v_pk_add_f16 v12, v13, v12;

	;;#ASMEND
	;;#ASMSTART
	v_pk_add_f16 v0, v12, v0;

	;;#ASMEND
	;;#ASMSTART
	v_pk_add_f16 v0, v0, v11;

	;;#ASMEND
	v_and_b32_e32 v11, 0xffff, v0
	v_lshrrev_b32_e32 v0, 16, v0
	;;#ASMSTART
	v_cvt_f32_f16 v68, v11;
	;;#ASMEND
	;;#ASMSTART
	v_cvt_f32_f16 v71, v0;
	;;#ASMEND
	flat_load_b64 v[11:12], v[9:10] offset:256
	flat_load_b32 v83, v[26:27]
	s_waitcnt vmcnt(1) lgkmcnt(1)
	v_and_b32_e32 v0, 0xff, v11
	s_delay_alu instid0(VALU_DEP_1)
	v_cmpx_ne_u16_e32 0, v0
	s_cbranch_execz .LBB339_1133
; %bb.1126:                             ;   in Loop: Header=BB339_1059 Depth=1
	v_bfrev_b32_e32 v84, 1
	s_mov_b32 s12, exec_lo
	v_cmpx_ne_u16_e32 0x80, v0
	s_cbranch_execz .LBB339_1132
; %bb.1127:                             ;   in Loop: Header=BB339_1059 Depth=1
	v_and_b32_e32 v13, 0x7f, v11
	v_mov_b32_e32 v84, 0x7fc02000
	s_mov_b32 s13, exec_lo
	s_delay_alu instid0(VALU_DEP_2)
	v_cmpx_ne_u32_e32 0x7f, v13
	s_cbranch_execz .LBB339_1131
; %bb.1128:                             ;   in Loop: Header=BB339_1059 Depth=1
	v_lshrrev_b32_e32 v0, 3, v13
	v_cmp_gt_u32_e64 s1, 8, v13
	v_dual_mov_b32 v14, v12 :: v_dual_mov_b32 v13, v11
	s_delay_alu instid0(VALU_DEP_2)
	s_and_saveexec_b32 s15, s1
; %bb.1129:                             ;   in Loop: Header=BB339_1059 Depth=1
	v_and_b32_e32 v0, 7, v11
	s_delay_alu instid0(VALU_DEP_1) | instskip(NEXT) | instid1(VALU_DEP_1)
	v_clz_i32_u32_e32 v0, v0
	v_min_u32_e32 v0, 32, v0
	s_delay_alu instid0(VALU_DEP_1) | instskip(SKIP_1) | instid1(VALU_DEP_2)
	v_subrev_nc_u32_e32 v13, 28, v0
	v_sub_nc_u32_e32 v0, 29, v0
	v_lshlrev_b64 v[13:14], v13, v[11:12]
; %bb.1130:                             ;   in Loop: Header=BB339_1059 Depth=1
	s_or_b32 exec_lo, exec_lo, s15
	v_lshlrev_b32_e32 v14, 8, v11
	s_delay_alu instid0(VALU_DEP_3) | instskip(NEXT) | instid1(VALU_DEP_3)
	v_lshl_add_u32 v0, v0, 10, 0x2000
	v_lshlrev_b32_e32 v13, 7, v13
	s_delay_alu instid0(VALU_DEP_2) | instskip(NEXT) | instid1(VALU_DEP_1)
	v_and_or_b32 v0, 0x8000, v14, v0
	v_and_or_b32 v0, 0x380, v13, v0
	s_delay_alu instid0(VALU_DEP_1)
	v_cvt_f32_f16_e32 v84, v0
.LBB339_1131:                           ;   in Loop: Header=BB339_1059 Depth=1
	s_or_b32 exec_lo, exec_lo, s13
.LBB339_1132:                           ;   in Loop: Header=BB339_1059 Depth=1
	s_delay_alu instid0(SALU_CYCLE_1)
	s_or_b32 exec_lo, exec_lo, s12
.LBB339_1133:                           ;   in Loop: Header=BB339_1059 Depth=1
	s_delay_alu instid0(SALU_CYCLE_1) | instskip(SKIP_2) | instid1(VALU_DEP_1)
	s_or_b32 exec_lo, exec_lo, s9
	v_lshrrev_b16 v0, 8, v11
	s_mov_b32 s9, exec_lo
	v_cmpx_ne_u16_e32 0, v0
	s_cbranch_execz .LBB339_1141
; %bb.1134:                             ;   in Loop: Header=BB339_1059 Depth=1
	v_bfrev_b32_e32 v85, 1
	s_mov_b32 s12, exec_lo
	v_cmpx_ne_u16_e32 0x80, v0
	s_cbranch_execz .LBB339_1140
; %bb.1135:                             ;   in Loop: Header=BB339_1059 Depth=1
	v_and_b32_e32 v86, 0xffff, v0
	v_mov_b32_e32 v85, 0x7fc02000
	s_mov_b32 s13, exec_lo
	s_delay_alu instid0(VALU_DEP_2) | instskip(NEXT) | instid1(VALU_DEP_1)
	v_and_b32_e32 v13, 0x7f, v86
	v_cmpx_ne_u32_e32 0x7f, v13
	s_cbranch_execz .LBB339_1139
; %bb.1136:                             ;   in Loop: Header=BB339_1059 Depth=1
	v_and_b32_e32 v0, 7, v86
	v_lshrrev_b32_e32 v85, 3, v13
	v_cmp_gt_u32_e64 s1, 8, v13
	s_delay_alu instid0(VALU_DEP_3) | instskip(NEXT) | instid1(VALU_DEP_2)
	v_dual_mov_b32 v14, v1 :: v_dual_mov_b32 v13, v0
	s_and_saveexec_b32 s15, s1
; %bb.1137:                             ;   in Loop: Header=BB339_1059 Depth=1
	v_clz_i32_u32_e32 v13, v0
	s_delay_alu instid0(VALU_DEP_1) | instskip(NEXT) | instid1(VALU_DEP_1)
	v_min_u32_e32 v85, 32, v13
	v_subrev_nc_u32_e32 v13, 28, v85
	v_sub_nc_u32_e32 v85, 29, v85
	s_delay_alu instid0(VALU_DEP_2) | instskip(NEXT) | instid1(VALU_DEP_1)
	v_lshlrev_b64 v[13:14], v13, v[0:1]
	v_and_b32_e32 v13, 7, v13
; %bb.1138:                             ;   in Loop: Header=BB339_1059 Depth=1
	s_or_b32 exec_lo, exec_lo, s15
	v_lshlrev_b32_e32 v0, 8, v86
	v_lshl_add_u32 v14, v85, 10, 0x2000
	s_delay_alu instid0(VALU_DEP_1) | instskip(NEXT) | instid1(VALU_DEP_1)
	v_and_or_b32 v0, 0x8000, v0, v14
	v_lshl_or_b32 v0, v13, 7, v0
	s_delay_alu instid0(VALU_DEP_1)
	v_cvt_f32_f16_e32 v85, v0
.LBB339_1139:                           ;   in Loop: Header=BB339_1059 Depth=1
	s_or_b32 exec_lo, exec_lo, s13
.LBB339_1140:                           ;   in Loop: Header=BB339_1059 Depth=1
	s_delay_alu instid0(SALU_CYCLE_1)
	s_or_b32 exec_lo, exec_lo, s12
.LBB339_1141:                           ;   in Loop: Header=BB339_1059 Depth=1
	s_delay_alu instid0(SALU_CYCLE_1) | instskip(SKIP_3) | instid1(VALU_DEP_2)
	s_or_b32 exec_lo, exec_lo, s9
	v_lshrrev_b32_e32 v96, 16, v11
	v_mov_b32_e32 v86, 0
	s_mov_b32 s9, exec_lo
	v_dual_mov_b32 v87, 0 :: v_dual_and_b32 v0, 0xff, v96
	s_delay_alu instid0(VALU_DEP_1)
	v_cmpx_ne_u16_e32 0, v0
	s_cbranch_execz .LBB339_1149
; %bb.1142:                             ;   in Loop: Header=BB339_1059 Depth=1
	v_bfrev_b32_e32 v86, 1
	s_mov_b32 s12, exec_lo
	v_cmpx_ne_u16_e32 0x80, v0
	s_cbranch_execz .LBB339_1148
; %bb.1143:                             ;   in Loop: Header=BB339_1059 Depth=1
	v_bfe_u32 v13, v11, 16, 7
	v_mov_b32_e32 v86, 0x7fc02000
	s_mov_b32 s13, exec_lo
	s_delay_alu instid0(VALU_DEP_2)
	v_cmpx_ne_u32_e32 0x7f, v13
	s_cbranch_execz .LBB339_1147
; %bb.1144:                             ;   in Loop: Header=BB339_1059 Depth=1
	v_and_b32_e32 v0, 7, v96
	v_lshrrev_b32_e32 v86, 3, v13
	v_cmp_gt_u32_e64 s1, 8, v13
	s_delay_alu instid0(VALU_DEP_3) | instskip(NEXT) | instid1(VALU_DEP_2)
	v_dual_mov_b32 v14, v1 :: v_dual_mov_b32 v13, v0
	s_and_saveexec_b32 s15, s1
; %bb.1145:                             ;   in Loop: Header=BB339_1059 Depth=1
	v_clz_i32_u32_e32 v13, v0
	s_delay_alu instid0(VALU_DEP_1) | instskip(NEXT) | instid1(VALU_DEP_1)
	v_min_u32_e32 v86, 32, v13
	v_subrev_nc_u32_e32 v13, 28, v86
	v_sub_nc_u32_e32 v86, 29, v86
	s_delay_alu instid0(VALU_DEP_2) | instskip(NEXT) | instid1(VALU_DEP_1)
	v_lshlrev_b64 v[13:14], v13, v[0:1]
	v_and_b32_e32 v13, 7, v13
; %bb.1146:                             ;   in Loop: Header=BB339_1059 Depth=1
	s_or_b32 exec_lo, exec_lo, s15
	v_lshlrev_b32_e32 v0, 8, v96
	v_lshl_add_u32 v14, v86, 10, 0x2000
	s_delay_alu instid0(VALU_DEP_1) | instskip(NEXT) | instid1(VALU_DEP_1)
	v_and_or_b32 v0, 0x8000, v0, v14
	v_lshl_or_b32 v0, v13, 7, v0
	s_delay_alu instid0(VALU_DEP_1)
	v_cvt_f32_f16_e32 v86, v0
.LBB339_1147:                           ;   in Loop: Header=BB339_1059 Depth=1
	s_or_b32 exec_lo, exec_lo, s13
.LBB339_1148:                           ;   in Loop: Header=BB339_1059 Depth=1
	s_delay_alu instid0(SALU_CYCLE_1)
	s_or_b32 exec_lo, exec_lo, s12
.LBB339_1149:                           ;   in Loop: Header=BB339_1059 Depth=1
	s_delay_alu instid0(SALU_CYCLE_1) | instskip(NEXT) | instid1(SALU_CYCLE_1)
	s_or_b32 exec_lo, exec_lo, s9
	s_mov_b32 s9, exec_lo
	v_cmpx_lt_u32_e32 0xffffff, v11
	s_cbranch_execz .LBB339_1157
; %bb.1150:                             ;   in Loop: Header=BB339_1059 Depth=1
	v_lshrrev_b32_e32 v96, 24, v11
	v_bfrev_b32_e32 v87, 1
	s_mov_b32 s12, exec_lo
	s_delay_alu instid0(VALU_DEP_2)
	v_cmpx_ne_u32_e32 0x80, v96
	s_cbranch_execz .LBB339_1156
; %bb.1151:                             ;   in Loop: Header=BB339_1059 Depth=1
	v_and_b32_e32 v13, 0x7f, v96
	v_mov_b32_e32 v87, 0x7fc02000
	s_mov_b32 s13, exec_lo
	s_delay_alu instid0(VALU_DEP_2)
	v_cmpx_ne_u32_e32 0x7f, v13
	s_cbranch_execz .LBB339_1155
; %bb.1152:                             ;   in Loop: Header=BB339_1059 Depth=1
	v_and_b32_e32 v0, 7, v96
	v_lshrrev_b32_e32 v87, 3, v13
	v_cmp_gt_u32_e64 s1, 8, v13
	s_delay_alu instid0(VALU_DEP_3) | instskip(NEXT) | instid1(VALU_DEP_2)
	v_dual_mov_b32 v14, v1 :: v_dual_mov_b32 v13, v0
	s_and_saveexec_b32 s15, s1
; %bb.1153:                             ;   in Loop: Header=BB339_1059 Depth=1
	v_clz_i32_u32_e32 v13, v0
	s_delay_alu instid0(VALU_DEP_1) | instskip(NEXT) | instid1(VALU_DEP_1)
	v_min_u32_e32 v87, 32, v13
	v_subrev_nc_u32_e32 v13, 28, v87
	v_sub_nc_u32_e32 v87, 29, v87
	s_delay_alu instid0(VALU_DEP_2) | instskip(NEXT) | instid1(VALU_DEP_1)
	v_lshlrev_b64 v[13:14], v13, v[0:1]
	v_and_b32_e32 v13, 7, v13
; %bb.1154:                             ;   in Loop: Header=BB339_1059 Depth=1
	s_or_b32 exec_lo, exec_lo, s15
	v_lshlrev_b32_e32 v0, 8, v96
	v_lshl_add_u32 v14, v87, 10, 0x2000
	s_delay_alu instid0(VALU_DEP_1) | instskip(NEXT) | instid1(VALU_DEP_1)
	v_and_or_b32 v0, 0x8000, v0, v14
	v_lshl_or_b32 v0, v13, 7, v0
	s_delay_alu instid0(VALU_DEP_1)
	v_cvt_f32_f16_e32 v87, v0
.LBB339_1155:                           ;   in Loop: Header=BB339_1059 Depth=1
	s_or_b32 exec_lo, exec_lo, s13
.LBB339_1156:                           ;   in Loop: Header=BB339_1059 Depth=1
	s_delay_alu instid0(SALU_CYCLE_1)
	s_or_b32 exec_lo, exec_lo, s12
.LBB339_1157:                           ;   in Loop: Header=BB339_1059 Depth=1
	s_delay_alu instid0(SALU_CYCLE_1) | instskip(SKIP_3) | instid1(VALU_DEP_2)
	s_or_b32 exec_lo, exec_lo, s9
	v_dual_mov_b32 v0, v12 :: v_dual_and_b32 v13, 0xff, v12
	v_dual_mov_b32 v97, 0 :: v_dual_mov_b32 v96, 0
	s_mov_b32 s9, exec_lo
	v_cmpx_ne_u16_e32 0, v13
	s_cbranch_execz .LBB339_1165
; %bb.1158:                             ;   in Loop: Header=BB339_1059 Depth=1
	v_bfrev_b32_e32 v96, 1
	s_mov_b32 s12, exec_lo
	v_cmpx_ne_u16_e32 0x80, v13
	s_cbranch_execz .LBB339_1164
; %bb.1159:                             ;   in Loop: Header=BB339_1059 Depth=1
	v_and_b32_e32 v13, 0x7f, v12
	v_mov_b32_e32 v96, 0x7fc02000
	s_mov_b32 s13, exec_lo
	s_delay_alu instid0(VALU_DEP_2)
	v_cmpx_ne_u32_e32 0x7f, v13
	s_cbranch_execz .LBB339_1163
; %bb.1160:                             ;   in Loop: Header=BB339_1059 Depth=1
	v_lshrrev_b32_e32 v96, 3, v13
	v_cmp_gt_u32_e64 s1, 8, v13
	v_dual_mov_b32 v14, v1 :: v_dual_mov_b32 v13, v0
	s_delay_alu instid0(VALU_DEP_2)
	s_and_saveexec_b32 s15, s1
; %bb.1161:                             ;   in Loop: Header=BB339_1059 Depth=1
	v_and_b32_e32 v13, 7, v12
	s_delay_alu instid0(VALU_DEP_1) | instskip(NEXT) | instid1(VALU_DEP_1)
	v_clz_i32_u32_e32 v13, v13
	v_min_u32_e32 v96, 32, v13
	s_delay_alu instid0(VALU_DEP_1) | instskip(SKIP_1) | instid1(VALU_DEP_2)
	v_subrev_nc_u32_e32 v13, 28, v96
	v_sub_nc_u32_e32 v96, 29, v96
	v_lshlrev_b64 v[13:14], v13, v[0:1]
; %bb.1162:                             ;   in Loop: Header=BB339_1059 Depth=1
	s_or_b32 exec_lo, exec_lo, s15
	v_lshlrev_b32_e32 v14, 8, v12
	s_delay_alu instid0(VALU_DEP_3) | instskip(NEXT) | instid1(VALU_DEP_3)
	v_lshl_add_u32 v96, v96, 10, 0x2000
	v_lshlrev_b32_e32 v13, 7, v13
	s_delay_alu instid0(VALU_DEP_2) | instskip(NEXT) | instid1(VALU_DEP_1)
	v_and_or_b32 v14, 0x8000, v14, v96
	v_and_or_b32 v13, 0x380, v13, v14
	s_delay_alu instid0(VALU_DEP_1)
	v_cvt_f32_f16_e32 v96, v13
.LBB339_1163:                           ;   in Loop: Header=BB339_1059 Depth=1
	s_or_b32 exec_lo, exec_lo, s13
.LBB339_1164:                           ;   in Loop: Header=BB339_1059 Depth=1
	s_delay_alu instid0(SALU_CYCLE_1)
	s_or_b32 exec_lo, exec_lo, s12
.LBB339_1165:                           ;   in Loop: Header=BB339_1059 Depth=1
	s_delay_alu instid0(SALU_CYCLE_1) | instskip(SKIP_2) | instid1(VALU_DEP_1)
	s_or_b32 exec_lo, exec_lo, s9
	v_lshrrev_b16 v0, 8, v0
	s_mov_b32 s9, exec_lo
	v_cmpx_ne_u16_e32 0, v0
	s_cbranch_execz .LBB339_1173
; %bb.1166:                             ;   in Loop: Header=BB339_1059 Depth=1
	v_bfrev_b32_e32 v97, 1
	s_mov_b32 s12, exec_lo
	v_cmpx_ne_u16_e32 0x80, v0
	s_cbranch_execz .LBB339_1172
; %bb.1167:                             ;   in Loop: Header=BB339_1059 Depth=1
	v_and_b32_e32 v98, 0xffff, v0
	v_mov_b32_e32 v97, 0x7fc02000
	s_mov_b32 s13, exec_lo
	s_delay_alu instid0(VALU_DEP_2) | instskip(NEXT) | instid1(VALU_DEP_1)
	v_and_b32_e32 v13, 0x7f, v98
	v_cmpx_ne_u32_e32 0x7f, v13
	s_cbranch_execz .LBB339_1171
; %bb.1168:                             ;   in Loop: Header=BB339_1059 Depth=1
	v_and_b32_e32 v0, 7, v98
	v_lshrrev_b32_e32 v97, 3, v13
	v_cmp_gt_u32_e64 s1, 8, v13
	s_delay_alu instid0(VALU_DEP_3) | instskip(NEXT) | instid1(VALU_DEP_2)
	v_dual_mov_b32 v14, v1 :: v_dual_mov_b32 v13, v0
	s_and_saveexec_b32 s15, s1
; %bb.1169:                             ;   in Loop: Header=BB339_1059 Depth=1
	v_clz_i32_u32_e32 v13, v0
	s_delay_alu instid0(VALU_DEP_1) | instskip(NEXT) | instid1(VALU_DEP_1)
	v_min_u32_e32 v97, 32, v13
	v_subrev_nc_u32_e32 v13, 28, v97
	v_sub_nc_u32_e32 v97, 29, v97
	s_delay_alu instid0(VALU_DEP_2) | instskip(NEXT) | instid1(VALU_DEP_1)
	v_lshlrev_b64 v[13:14], v13, v[0:1]
	v_and_b32_e32 v13, 7, v13
; %bb.1170:                             ;   in Loop: Header=BB339_1059 Depth=1
	s_or_b32 exec_lo, exec_lo, s15
	v_lshlrev_b32_e32 v0, 8, v98
	v_lshl_add_u32 v14, v97, 10, 0x2000
	s_delay_alu instid0(VALU_DEP_1) | instskip(NEXT) | instid1(VALU_DEP_1)
	v_and_or_b32 v0, 0x8000, v0, v14
	v_lshl_or_b32 v0, v13, 7, v0
	s_delay_alu instid0(VALU_DEP_1)
	v_cvt_f32_f16_e32 v97, v0
.LBB339_1171:                           ;   in Loop: Header=BB339_1059 Depth=1
	s_or_b32 exec_lo, exec_lo, s13
.LBB339_1172:                           ;   in Loop: Header=BB339_1059 Depth=1
	s_delay_alu instid0(SALU_CYCLE_1)
	s_or_b32 exec_lo, exec_lo, s12
.LBB339_1173:                           ;   in Loop: Header=BB339_1059 Depth=1
	s_delay_alu instid0(SALU_CYCLE_1) | instskip(SKIP_3) | instid1(VALU_DEP_2)
	s_or_b32 exec_lo, exec_lo, s9
	v_lshrrev_b32_e32 v99, 16, v12
	v_mov_b32_e32 v98, 0
	s_mov_b32 s9, exec_lo
	v_dual_mov_b32 v13, 0 :: v_dual_and_b32 v0, 0xff, v99
	s_delay_alu instid0(VALU_DEP_1)
	v_cmpx_ne_u16_e32 0, v0
	s_cbranch_execz .LBB339_1181
; %bb.1174:                             ;   in Loop: Header=BB339_1059 Depth=1
	v_bfrev_b32_e32 v13, 1
	s_mov_b32 s12, exec_lo
	v_cmpx_ne_u16_e32 0x80, v0
	s_cbranch_execz .LBB339_1180
; %bb.1175:                             ;   in Loop: Header=BB339_1059 Depth=1
	v_bfe_u32 v14, v12, 16, 7
	v_mov_b32_e32 v13, 0x7fc02000
	s_mov_b32 s13, exec_lo
	s_delay_alu instid0(VALU_DEP_2)
	v_cmpx_ne_u32_e32 0x7f, v14
	s_cbranch_execz .LBB339_1179
; %bb.1176:                             ;   in Loop: Header=BB339_1059 Depth=1
	v_and_b32_e32 v0, 7, v99
	v_lshrrev_b32_e32 v100, 3, v14
	v_cmp_gt_u32_e64 s1, 8, v14
	s_delay_alu instid0(VALU_DEP_3) | instskip(NEXT) | instid1(VALU_DEP_2)
	v_dual_mov_b32 v14, v1 :: v_dual_mov_b32 v13, v0
	s_and_saveexec_b32 s15, s1
; %bb.1177:                             ;   in Loop: Header=BB339_1059 Depth=1
	v_clz_i32_u32_e32 v13, v0
	s_delay_alu instid0(VALU_DEP_1) | instskip(NEXT) | instid1(VALU_DEP_1)
	v_min_u32_e32 v100, 32, v13
	v_subrev_nc_u32_e32 v13, 28, v100
	v_sub_nc_u32_e32 v100, 29, v100
	s_delay_alu instid0(VALU_DEP_2) | instskip(NEXT) | instid1(VALU_DEP_1)
	v_lshlrev_b64 v[13:14], v13, v[0:1]
	v_and_b32_e32 v13, 7, v13
; %bb.1178:                             ;   in Loop: Header=BB339_1059 Depth=1
	s_or_b32 exec_lo, exec_lo, s15
	v_lshlrev_b32_e32 v0, 8, v99
	v_lshl_add_u32 v14, v100, 10, 0x2000
	s_delay_alu instid0(VALU_DEP_1) | instskip(NEXT) | instid1(VALU_DEP_1)
	v_and_or_b32 v0, 0x8000, v0, v14
	v_lshl_or_b32 v0, v13, 7, v0
	s_delay_alu instid0(VALU_DEP_1)
	v_cvt_f32_f16_e32 v13, v0
.LBB339_1179:                           ;   in Loop: Header=BB339_1059 Depth=1
	s_or_b32 exec_lo, exec_lo, s13
.LBB339_1180:                           ;   in Loop: Header=BB339_1059 Depth=1
	s_delay_alu instid0(SALU_CYCLE_1)
	s_or_b32 exec_lo, exec_lo, s12
.LBB339_1181:                           ;   in Loop: Header=BB339_1059 Depth=1
	s_delay_alu instid0(SALU_CYCLE_1) | instskip(NEXT) | instid1(SALU_CYCLE_1)
	s_or_b32 exec_lo, exec_lo, s9
	s_mov_b32 s9, exec_lo
	v_cmpx_lt_u64_e64 s[4:5], v[11:12]
	s_cbranch_execz .LBB339_1189
; %bb.1182:                             ;   in Loop: Header=BB339_1059 Depth=1
	v_lshrrev_b32_e32 v14, 24, v12
	v_bfrev_b32_e32 v98, 1
	s_mov_b32 s12, exec_lo
	s_delay_alu instid0(VALU_DEP_2)
	v_cmpx_ne_u32_e32 0x80, v14
	s_cbranch_execz .LBB339_1188
; %bb.1183:                             ;   in Loop: Header=BB339_1059 Depth=1
	v_and_b32_e32 v11, 0x7f, v14
	v_mov_b32_e32 v98, 0x7fc02000
	s_mov_b32 s13, exec_lo
	s_delay_alu instid0(VALU_DEP_2)
	v_cmpx_ne_u32_e32 0x7f, v11
	s_cbranch_execz .LBB339_1187
; %bb.1184:                             ;   in Loop: Header=BB339_1059 Depth=1
	v_and_b32_e32 v0, 7, v14
	v_lshrrev_b32_e32 v98, 3, v11
	v_cmp_gt_u32_e64 s1, 8, v11
	s_delay_alu instid0(VALU_DEP_3) | instskip(NEXT) | instid1(VALU_DEP_2)
	v_dual_mov_b32 v12, v1 :: v_dual_mov_b32 v11, v0
	s_and_saveexec_b32 s15, s1
; %bb.1185:                             ;   in Loop: Header=BB339_1059 Depth=1
	v_clz_i32_u32_e32 v11, v0
	s_delay_alu instid0(VALU_DEP_1) | instskip(NEXT) | instid1(VALU_DEP_1)
	v_min_u32_e32 v98, 32, v11
	v_subrev_nc_u32_e32 v11, 28, v98
	v_sub_nc_u32_e32 v98, 29, v98
	s_delay_alu instid0(VALU_DEP_2) | instskip(NEXT) | instid1(VALU_DEP_1)
	v_lshlrev_b64 v[11:12], v11, v[0:1]
	v_and_b32_e32 v11, 7, v11
; %bb.1186:                             ;   in Loop: Header=BB339_1059 Depth=1
	s_or_b32 exec_lo, exec_lo, s15
	v_lshlrev_b32_e32 v0, 8, v14
	v_lshl_add_u32 v12, v98, 10, 0x2000
	s_delay_alu instid0(VALU_DEP_1) | instskip(NEXT) | instid1(VALU_DEP_1)
	v_and_or_b32 v0, 0x8000, v0, v12
	v_lshl_or_b32 v0, v11, 7, v0
	s_delay_alu instid0(VALU_DEP_1)
	v_cvt_f32_f16_e32 v98, v0
.LBB339_1187:                           ;   in Loop: Header=BB339_1059 Depth=1
	s_or_b32 exec_lo, exec_lo, s13
.LBB339_1188:                           ;   in Loop: Header=BB339_1059 Depth=1
	s_delay_alu instid0(SALU_CYCLE_1)
	s_or_b32 exec_lo, exec_lo, s12
.LBB339_1189:                           ;   in Loop: Header=BB339_1059 Depth=1
	s_delay_alu instid0(SALU_CYCLE_1)
	s_or_b32 exec_lo, exec_lo, s9
	s_waitcnt vmcnt(0) lgkmcnt(0)
	v_fma_mixlo_f16 v12, v83, v85, 0
	v_fma_mixlo_f16 v0, v83, v87, 0
	;; [unrolled: 1-line block ×5, first 2 shown]
	v_lshlrev_b32_e32 v14, 16, v12
	v_fma_mixlo_f16 v86, v83, v96, 0
	v_fma_mixlo_f16 v87, v83, v98, 0
	;; [unrolled: 1-line block ×3, first 2 shown]
	v_lshlrev_b32_e32 v0, 16, v0
	v_and_b32_e32 v11, 0xffff, v11
	v_and_b32_e32 v83, 0xffff, v84
	v_lshlrev_b32_e32 v84, 16, v85
	v_and_b32_e32 v85, 0xffff, v86
	v_lshlrev_b32_e32 v86, 16, v87
	v_and_b32_e32 v87, 0xffff, v12
	v_or_b32_e32 v13, v0, v11
	v_or_b32_e32 v14, v14, v83
	;; [unrolled: 1-line block ×3, first 2 shown]
	s_delay_alu instid0(VALU_DEP_4)
	v_or_b32_e32 v11, v86, v87
	s_and_saveexec_b32 s9, vcc_lo
	s_cbranch_execz .LBB339_1191
; %bb.1190:                             ;   in Loop: Header=BB339_1059 Depth=1
	v_cmp_lt_i32_e64 s1, v15, v35
	v_lshrrev_b32_e32 v83, 16, v14
	v_lshrrev_b32_e32 v84, 16, v13
	;; [unrolled: 1-line block ×4, first 2 shown]
	v_cndmask_b32_e64 v14, 0, v14, s1
	v_cmp_lt_i32_e64 s1, v82, v39
	s_delay_alu instid0(VALU_DEP_1) | instskip(SKIP_1) | instid1(VALU_DEP_2)
	v_cndmask_b32_e64 v83, 0, v83, s1
	v_cmp_lt_i32_e64 s1, v81, v39
	v_perm_b32 v14, v83, v14, 0x5040100
	s_delay_alu instid0(VALU_DEP_2) | instskip(SKIP_1) | instid1(VALU_DEP_1)
	v_cndmask_b32_e64 v84, 0, v84, s1
	v_cmp_lt_i32_e64 s1, v70, v35
	v_cndmask_b32_e64 v13, 0, v13, s1
	v_cmp_lt_i32_e64 s1, v65, v39
	s_delay_alu instid0(VALU_DEP_2) | instskip(NEXT) | instid1(VALU_DEP_2)
	v_perm_b32 v13, v84, v13, 0x5040100
	v_cndmask_b32_e64 v85, 0, v85, s1
	v_cmp_lt_i32_e64 s1, v48, v35
	s_delay_alu instid0(VALU_DEP_1) | instskip(SKIP_1) | instid1(VALU_DEP_2)
	v_cndmask_b32_e64 v0, 0, v0, s1
	v_cmp_lt_i32_e64 s1, v23, v39
	v_perm_b32 v0, v85, v0, 0x5040100
	s_delay_alu instid0(VALU_DEP_2) | instskip(SKIP_1) | instid1(VALU_DEP_1)
	v_cndmask_b32_e64 v11, 0, v11, s1
	v_cmp_lt_i32_e64 s1, v17, v35
	v_cndmask_b32_e64 v12, 0, v12, s1
	s_delay_alu instid0(VALU_DEP_1)
	v_perm_b32 v11, v11, v12, 0x5040100
.LBB339_1191:                           ;   in Loop: Header=BB339_1059 Depth=1
	s_or_b32 exec_lo, exec_lo, s9
	;;#ASMSTART
	v_pk_mul_f16 v12, v80, v14;

	;;#ASMEND
	;;#ASMSTART
	v_pk_mul_f16 v13, v69, v13;

	;;#ASMEND
	;; [unrolled: 4-line block ×4, first 2 shown]
	;;#ASMSTART
	v_pk_add_f16 v12, v12, v13;

	;;#ASMEND
	;;#ASMSTART
	v_pk_add_f16 v0, v12, v0;

	;;#ASMEND
	;; [unrolled: 4-line block ×3, first 2 shown]
	v_dual_mov_b32 v86, 0 :: v_dual_and_b32 v11, 0xffff, v0
	v_lshrrev_b32_e32 v0, 16, v0
	;;#ASMSTART
	v_cvt_f32_f16 v83, v11;
	;;#ASMEND
	;;#ASMSTART
	v_cvt_f32_f16 v84, v0;
	;;#ASMEND
	flat_load_b64 v[11:12], v[9:10] offset:512
	flat_load_b32 v85, v[26:27]
	s_mov_b32 s9, exec_lo
	s_waitcnt vmcnt(1) lgkmcnt(1)
	v_dual_mov_b32 v87, 0 :: v_dual_and_b32 v0, 0xff, v11
	s_delay_alu instid0(VALU_DEP_1)
	v_cmpx_ne_u16_e32 0, v0
	s_cbranch_execz .LBB339_1199
; %bb.1192:                             ;   in Loop: Header=BB339_1059 Depth=1
	v_bfrev_b32_e32 v86, 1
	s_mov_b32 s12, exec_lo
	v_cmpx_ne_u16_e32 0x80, v0
	s_cbranch_execz .LBB339_1198
; %bb.1193:                             ;   in Loop: Header=BB339_1059 Depth=1
	v_and_b32_e32 v13, 0x7f, v11
	v_mov_b32_e32 v86, 0x7fc02000
	s_mov_b32 s13, exec_lo
	s_delay_alu instid0(VALU_DEP_2)
	v_cmpx_ne_u32_e32 0x7f, v13
	s_cbranch_execz .LBB339_1197
; %bb.1194:                             ;   in Loop: Header=BB339_1059 Depth=1
	v_lshrrev_b32_e32 v0, 3, v13
	v_cmp_gt_u32_e64 s1, 8, v13
	v_dual_mov_b32 v14, v12 :: v_dual_mov_b32 v13, v11
	s_delay_alu instid0(VALU_DEP_2)
	s_and_saveexec_b32 s15, s1
; %bb.1195:                             ;   in Loop: Header=BB339_1059 Depth=1
	v_and_b32_e32 v0, 7, v11
	s_delay_alu instid0(VALU_DEP_1) | instskip(NEXT) | instid1(VALU_DEP_1)
	v_clz_i32_u32_e32 v0, v0
	v_min_u32_e32 v0, 32, v0
	s_delay_alu instid0(VALU_DEP_1) | instskip(SKIP_1) | instid1(VALU_DEP_2)
	v_subrev_nc_u32_e32 v13, 28, v0
	v_sub_nc_u32_e32 v0, 29, v0
	v_lshlrev_b64 v[13:14], v13, v[11:12]
; %bb.1196:                             ;   in Loop: Header=BB339_1059 Depth=1
	s_or_b32 exec_lo, exec_lo, s15
	v_lshlrev_b32_e32 v14, 8, v11
	s_delay_alu instid0(VALU_DEP_3) | instskip(NEXT) | instid1(VALU_DEP_3)
	v_lshl_add_u32 v0, v0, 10, 0x2000
	v_lshlrev_b32_e32 v13, 7, v13
	s_delay_alu instid0(VALU_DEP_2) | instskip(NEXT) | instid1(VALU_DEP_1)
	v_and_or_b32 v0, 0x8000, v14, v0
	v_and_or_b32 v0, 0x380, v13, v0
	s_delay_alu instid0(VALU_DEP_1)
	v_cvt_f32_f16_e32 v86, v0
.LBB339_1197:                           ;   in Loop: Header=BB339_1059 Depth=1
	s_or_b32 exec_lo, exec_lo, s13
.LBB339_1198:                           ;   in Loop: Header=BB339_1059 Depth=1
	s_delay_alu instid0(SALU_CYCLE_1)
	s_or_b32 exec_lo, exec_lo, s12
.LBB339_1199:                           ;   in Loop: Header=BB339_1059 Depth=1
	s_delay_alu instid0(SALU_CYCLE_1) | instskip(SKIP_2) | instid1(VALU_DEP_1)
	s_or_b32 exec_lo, exec_lo, s9
	v_lshrrev_b16 v0, 8, v11
	s_mov_b32 s9, exec_lo
	v_cmpx_ne_u16_e32 0, v0
	s_cbranch_execz .LBB339_1207
; %bb.1200:                             ;   in Loop: Header=BB339_1059 Depth=1
	v_bfrev_b32_e32 v87, 1
	s_mov_b32 s12, exec_lo
	v_cmpx_ne_u16_e32 0x80, v0
	s_cbranch_execz .LBB339_1206
; %bb.1201:                             ;   in Loop: Header=BB339_1059 Depth=1
	v_and_b32_e32 v96, 0xffff, v0
	v_mov_b32_e32 v87, 0x7fc02000
	s_mov_b32 s13, exec_lo
	s_delay_alu instid0(VALU_DEP_2) | instskip(NEXT) | instid1(VALU_DEP_1)
	v_and_b32_e32 v13, 0x7f, v96
	v_cmpx_ne_u32_e32 0x7f, v13
	s_cbranch_execz .LBB339_1205
; %bb.1202:                             ;   in Loop: Header=BB339_1059 Depth=1
	v_and_b32_e32 v0, 7, v96
	v_lshrrev_b32_e32 v87, 3, v13
	v_cmp_gt_u32_e64 s1, 8, v13
	s_delay_alu instid0(VALU_DEP_3) | instskip(NEXT) | instid1(VALU_DEP_2)
	v_dual_mov_b32 v14, v1 :: v_dual_mov_b32 v13, v0
	s_and_saveexec_b32 s15, s1
; %bb.1203:                             ;   in Loop: Header=BB339_1059 Depth=1
	v_clz_i32_u32_e32 v13, v0
	s_delay_alu instid0(VALU_DEP_1) | instskip(NEXT) | instid1(VALU_DEP_1)
	v_min_u32_e32 v87, 32, v13
	v_subrev_nc_u32_e32 v13, 28, v87
	v_sub_nc_u32_e32 v87, 29, v87
	s_delay_alu instid0(VALU_DEP_2) | instskip(NEXT) | instid1(VALU_DEP_1)
	v_lshlrev_b64 v[13:14], v13, v[0:1]
	v_and_b32_e32 v13, 7, v13
; %bb.1204:                             ;   in Loop: Header=BB339_1059 Depth=1
	s_or_b32 exec_lo, exec_lo, s15
	v_lshlrev_b32_e32 v0, 8, v96
	v_lshl_add_u32 v14, v87, 10, 0x2000
	s_delay_alu instid0(VALU_DEP_1) | instskip(NEXT) | instid1(VALU_DEP_1)
	v_and_or_b32 v0, 0x8000, v0, v14
	v_lshl_or_b32 v0, v13, 7, v0
	s_delay_alu instid0(VALU_DEP_1)
	v_cvt_f32_f16_e32 v87, v0
.LBB339_1205:                           ;   in Loop: Header=BB339_1059 Depth=1
	s_or_b32 exec_lo, exec_lo, s13
.LBB339_1206:                           ;   in Loop: Header=BB339_1059 Depth=1
	s_delay_alu instid0(SALU_CYCLE_1)
	s_or_b32 exec_lo, exec_lo, s12
.LBB339_1207:                           ;   in Loop: Header=BB339_1059 Depth=1
	s_delay_alu instid0(SALU_CYCLE_1) | instskip(SKIP_3) | instid1(VALU_DEP_2)
	s_or_b32 exec_lo, exec_lo, s9
	v_lshrrev_b32_e32 v98, 16, v11
	v_mov_b32_e32 v96, 0
	s_mov_b32 s9, exec_lo
	v_dual_mov_b32 v97, 0 :: v_dual_and_b32 v0, 0xff, v98
	s_delay_alu instid0(VALU_DEP_1)
	v_cmpx_ne_u16_e32 0, v0
	s_cbranch_execz .LBB339_1215
; %bb.1208:                             ;   in Loop: Header=BB339_1059 Depth=1
	v_bfrev_b32_e32 v96, 1
	s_mov_b32 s12, exec_lo
	v_cmpx_ne_u16_e32 0x80, v0
	s_cbranch_execz .LBB339_1214
; %bb.1209:                             ;   in Loop: Header=BB339_1059 Depth=1
	v_bfe_u32 v13, v11, 16, 7
	v_mov_b32_e32 v96, 0x7fc02000
	s_mov_b32 s13, exec_lo
	s_delay_alu instid0(VALU_DEP_2)
	v_cmpx_ne_u32_e32 0x7f, v13
	s_cbranch_execz .LBB339_1213
; %bb.1210:                             ;   in Loop: Header=BB339_1059 Depth=1
	v_and_b32_e32 v0, 7, v98
	v_lshrrev_b32_e32 v96, 3, v13
	v_cmp_gt_u32_e64 s1, 8, v13
	s_delay_alu instid0(VALU_DEP_3) | instskip(NEXT) | instid1(VALU_DEP_2)
	v_dual_mov_b32 v14, v1 :: v_dual_mov_b32 v13, v0
	s_and_saveexec_b32 s15, s1
; %bb.1211:                             ;   in Loop: Header=BB339_1059 Depth=1
	v_clz_i32_u32_e32 v13, v0
	s_delay_alu instid0(VALU_DEP_1) | instskip(NEXT) | instid1(VALU_DEP_1)
	v_min_u32_e32 v96, 32, v13
	v_subrev_nc_u32_e32 v13, 28, v96
	v_sub_nc_u32_e32 v96, 29, v96
	s_delay_alu instid0(VALU_DEP_2) | instskip(NEXT) | instid1(VALU_DEP_1)
	v_lshlrev_b64 v[13:14], v13, v[0:1]
	v_and_b32_e32 v13, 7, v13
; %bb.1212:                             ;   in Loop: Header=BB339_1059 Depth=1
	s_or_b32 exec_lo, exec_lo, s15
	v_lshlrev_b32_e32 v0, 8, v98
	v_lshl_add_u32 v14, v96, 10, 0x2000
	s_delay_alu instid0(VALU_DEP_1) | instskip(NEXT) | instid1(VALU_DEP_1)
	v_and_or_b32 v0, 0x8000, v0, v14
	v_lshl_or_b32 v0, v13, 7, v0
	s_delay_alu instid0(VALU_DEP_1)
	v_cvt_f32_f16_e32 v96, v0
.LBB339_1213:                           ;   in Loop: Header=BB339_1059 Depth=1
	s_or_b32 exec_lo, exec_lo, s13
.LBB339_1214:                           ;   in Loop: Header=BB339_1059 Depth=1
	s_delay_alu instid0(SALU_CYCLE_1)
	s_or_b32 exec_lo, exec_lo, s12
.LBB339_1215:                           ;   in Loop: Header=BB339_1059 Depth=1
	s_delay_alu instid0(SALU_CYCLE_1) | instskip(NEXT) | instid1(SALU_CYCLE_1)
	s_or_b32 exec_lo, exec_lo, s9
	s_mov_b32 s9, exec_lo
	v_cmpx_lt_u32_e32 0xffffff, v11
	s_cbranch_execz .LBB339_1223
; %bb.1216:                             ;   in Loop: Header=BB339_1059 Depth=1
	v_lshrrev_b32_e32 v98, 24, v11
	v_bfrev_b32_e32 v97, 1
	s_mov_b32 s12, exec_lo
	s_delay_alu instid0(VALU_DEP_2)
	v_cmpx_ne_u32_e32 0x80, v98
	s_cbranch_execz .LBB339_1222
; %bb.1217:                             ;   in Loop: Header=BB339_1059 Depth=1
	v_and_b32_e32 v13, 0x7f, v98
	v_mov_b32_e32 v97, 0x7fc02000
	s_mov_b32 s13, exec_lo
	s_delay_alu instid0(VALU_DEP_2)
	v_cmpx_ne_u32_e32 0x7f, v13
	s_cbranch_execz .LBB339_1221
; %bb.1218:                             ;   in Loop: Header=BB339_1059 Depth=1
	v_and_b32_e32 v0, 7, v98
	v_lshrrev_b32_e32 v97, 3, v13
	v_cmp_gt_u32_e64 s1, 8, v13
	s_delay_alu instid0(VALU_DEP_3) | instskip(NEXT) | instid1(VALU_DEP_2)
	v_dual_mov_b32 v14, v1 :: v_dual_mov_b32 v13, v0
	s_and_saveexec_b32 s15, s1
; %bb.1219:                             ;   in Loop: Header=BB339_1059 Depth=1
	v_clz_i32_u32_e32 v13, v0
	s_delay_alu instid0(VALU_DEP_1) | instskip(NEXT) | instid1(VALU_DEP_1)
	v_min_u32_e32 v97, 32, v13
	v_subrev_nc_u32_e32 v13, 28, v97
	v_sub_nc_u32_e32 v97, 29, v97
	s_delay_alu instid0(VALU_DEP_2) | instskip(NEXT) | instid1(VALU_DEP_1)
	v_lshlrev_b64 v[13:14], v13, v[0:1]
	v_and_b32_e32 v13, 7, v13
; %bb.1220:                             ;   in Loop: Header=BB339_1059 Depth=1
	s_or_b32 exec_lo, exec_lo, s15
	v_lshlrev_b32_e32 v0, 8, v98
	v_lshl_add_u32 v14, v97, 10, 0x2000
	s_delay_alu instid0(VALU_DEP_1) | instskip(NEXT) | instid1(VALU_DEP_1)
	v_and_or_b32 v0, 0x8000, v0, v14
	v_lshl_or_b32 v0, v13, 7, v0
	s_delay_alu instid0(VALU_DEP_1)
	v_cvt_f32_f16_e32 v97, v0
.LBB339_1221:                           ;   in Loop: Header=BB339_1059 Depth=1
	s_or_b32 exec_lo, exec_lo, s13
.LBB339_1222:                           ;   in Loop: Header=BB339_1059 Depth=1
	s_delay_alu instid0(SALU_CYCLE_1)
	s_or_b32 exec_lo, exec_lo, s12
.LBB339_1223:                           ;   in Loop: Header=BB339_1059 Depth=1
	s_delay_alu instid0(SALU_CYCLE_1) | instskip(SKIP_3) | instid1(VALU_DEP_2)
	s_or_b32 exec_lo, exec_lo, s9
	v_dual_mov_b32 v0, v12 :: v_dual_and_b32 v13, 0xff, v12
	v_dual_mov_b32 v99, 0 :: v_dual_mov_b32 v98, 0
	s_mov_b32 s9, exec_lo
	v_cmpx_ne_u16_e32 0, v13
	s_cbranch_execz .LBB339_1231
; %bb.1224:                             ;   in Loop: Header=BB339_1059 Depth=1
	v_bfrev_b32_e32 v98, 1
	s_mov_b32 s12, exec_lo
	v_cmpx_ne_u16_e32 0x80, v13
	s_cbranch_execz .LBB339_1230
; %bb.1225:                             ;   in Loop: Header=BB339_1059 Depth=1
	v_and_b32_e32 v13, 0x7f, v12
	v_mov_b32_e32 v98, 0x7fc02000
	s_mov_b32 s13, exec_lo
	s_delay_alu instid0(VALU_DEP_2)
	v_cmpx_ne_u32_e32 0x7f, v13
	s_cbranch_execz .LBB339_1229
; %bb.1226:                             ;   in Loop: Header=BB339_1059 Depth=1
	v_lshrrev_b32_e32 v98, 3, v13
	v_cmp_gt_u32_e64 s1, 8, v13
	v_dual_mov_b32 v14, v1 :: v_dual_mov_b32 v13, v0
	s_delay_alu instid0(VALU_DEP_2)
	s_and_saveexec_b32 s15, s1
; %bb.1227:                             ;   in Loop: Header=BB339_1059 Depth=1
	v_and_b32_e32 v13, 7, v12
	s_delay_alu instid0(VALU_DEP_1) | instskip(NEXT) | instid1(VALU_DEP_1)
	v_clz_i32_u32_e32 v13, v13
	v_min_u32_e32 v98, 32, v13
	s_delay_alu instid0(VALU_DEP_1) | instskip(SKIP_1) | instid1(VALU_DEP_2)
	v_subrev_nc_u32_e32 v13, 28, v98
	v_sub_nc_u32_e32 v98, 29, v98
	v_lshlrev_b64 v[13:14], v13, v[0:1]
; %bb.1228:                             ;   in Loop: Header=BB339_1059 Depth=1
	s_or_b32 exec_lo, exec_lo, s15
	v_lshlrev_b32_e32 v14, 8, v12
	s_delay_alu instid0(VALU_DEP_3) | instskip(NEXT) | instid1(VALU_DEP_3)
	v_lshl_add_u32 v98, v98, 10, 0x2000
	v_lshlrev_b32_e32 v13, 7, v13
	s_delay_alu instid0(VALU_DEP_2) | instskip(NEXT) | instid1(VALU_DEP_1)
	v_and_or_b32 v14, 0x8000, v14, v98
	v_and_or_b32 v13, 0x380, v13, v14
	s_delay_alu instid0(VALU_DEP_1)
	v_cvt_f32_f16_e32 v98, v13
.LBB339_1229:                           ;   in Loop: Header=BB339_1059 Depth=1
	s_or_b32 exec_lo, exec_lo, s13
.LBB339_1230:                           ;   in Loop: Header=BB339_1059 Depth=1
	s_delay_alu instid0(SALU_CYCLE_1)
	s_or_b32 exec_lo, exec_lo, s12
.LBB339_1231:                           ;   in Loop: Header=BB339_1059 Depth=1
	s_delay_alu instid0(SALU_CYCLE_1) | instskip(SKIP_2) | instid1(VALU_DEP_1)
	s_or_b32 exec_lo, exec_lo, s9
	v_lshrrev_b16 v0, 8, v0
	s_mov_b32 s9, exec_lo
	v_cmpx_ne_u16_e32 0, v0
	s_cbranch_execz .LBB339_1239
; %bb.1232:                             ;   in Loop: Header=BB339_1059 Depth=1
	v_bfrev_b32_e32 v99, 1
	s_mov_b32 s12, exec_lo
	v_cmpx_ne_u16_e32 0x80, v0
	s_cbranch_execz .LBB339_1238
; %bb.1233:                             ;   in Loop: Header=BB339_1059 Depth=1
	v_and_b32_e32 v100, 0xffff, v0
	v_mov_b32_e32 v99, 0x7fc02000
	s_mov_b32 s13, exec_lo
	s_delay_alu instid0(VALU_DEP_2) | instskip(NEXT) | instid1(VALU_DEP_1)
	v_and_b32_e32 v13, 0x7f, v100
	v_cmpx_ne_u32_e32 0x7f, v13
	s_cbranch_execz .LBB339_1237
; %bb.1234:                             ;   in Loop: Header=BB339_1059 Depth=1
	v_and_b32_e32 v0, 7, v100
	v_lshrrev_b32_e32 v99, 3, v13
	v_cmp_gt_u32_e64 s1, 8, v13
	s_delay_alu instid0(VALU_DEP_3) | instskip(NEXT) | instid1(VALU_DEP_2)
	v_dual_mov_b32 v14, v1 :: v_dual_mov_b32 v13, v0
	s_and_saveexec_b32 s15, s1
; %bb.1235:                             ;   in Loop: Header=BB339_1059 Depth=1
	v_clz_i32_u32_e32 v13, v0
	s_delay_alu instid0(VALU_DEP_1) | instskip(NEXT) | instid1(VALU_DEP_1)
	v_min_u32_e32 v99, 32, v13
	v_subrev_nc_u32_e32 v13, 28, v99
	v_sub_nc_u32_e32 v99, 29, v99
	s_delay_alu instid0(VALU_DEP_2) | instskip(NEXT) | instid1(VALU_DEP_1)
	v_lshlrev_b64 v[13:14], v13, v[0:1]
	v_and_b32_e32 v13, 7, v13
; %bb.1236:                             ;   in Loop: Header=BB339_1059 Depth=1
	s_or_b32 exec_lo, exec_lo, s15
	v_lshlrev_b32_e32 v0, 8, v100
	v_lshl_add_u32 v14, v99, 10, 0x2000
	s_delay_alu instid0(VALU_DEP_1) | instskip(NEXT) | instid1(VALU_DEP_1)
	v_and_or_b32 v0, 0x8000, v0, v14
	v_lshl_or_b32 v0, v13, 7, v0
	s_delay_alu instid0(VALU_DEP_1)
	v_cvt_f32_f16_e32 v99, v0
.LBB339_1237:                           ;   in Loop: Header=BB339_1059 Depth=1
	s_or_b32 exec_lo, exec_lo, s13
.LBB339_1238:                           ;   in Loop: Header=BB339_1059 Depth=1
	s_delay_alu instid0(SALU_CYCLE_1)
	s_or_b32 exec_lo, exec_lo, s12
.LBB339_1239:                           ;   in Loop: Header=BB339_1059 Depth=1
	s_delay_alu instid0(SALU_CYCLE_1) | instskip(SKIP_3) | instid1(VALU_DEP_2)
	s_or_b32 exec_lo, exec_lo, s9
	v_lshrrev_b32_e32 v101, 16, v12
	v_mov_b32_e32 v100, 0
	s_mov_b32 s9, exec_lo
	v_dual_mov_b32 v13, 0 :: v_dual_and_b32 v0, 0xff, v101
	s_delay_alu instid0(VALU_DEP_1)
	v_cmpx_ne_u16_e32 0, v0
	s_cbranch_execz .LBB339_1247
; %bb.1240:                             ;   in Loop: Header=BB339_1059 Depth=1
	v_bfrev_b32_e32 v13, 1
	s_mov_b32 s12, exec_lo
	v_cmpx_ne_u16_e32 0x80, v0
	s_cbranch_execz .LBB339_1246
; %bb.1241:                             ;   in Loop: Header=BB339_1059 Depth=1
	v_bfe_u32 v14, v12, 16, 7
	v_mov_b32_e32 v13, 0x7fc02000
	s_mov_b32 s13, exec_lo
	s_delay_alu instid0(VALU_DEP_2)
	v_cmpx_ne_u32_e32 0x7f, v14
	s_cbranch_execz .LBB339_1245
; %bb.1242:                             ;   in Loop: Header=BB339_1059 Depth=1
	v_and_b32_e32 v0, 7, v101
	v_lshrrev_b32_e32 v102, 3, v14
	v_cmp_gt_u32_e64 s1, 8, v14
	s_delay_alu instid0(VALU_DEP_3) | instskip(NEXT) | instid1(VALU_DEP_2)
	v_dual_mov_b32 v14, v1 :: v_dual_mov_b32 v13, v0
	s_and_saveexec_b32 s15, s1
; %bb.1243:                             ;   in Loop: Header=BB339_1059 Depth=1
	v_clz_i32_u32_e32 v13, v0
	s_delay_alu instid0(VALU_DEP_1) | instskip(NEXT) | instid1(VALU_DEP_1)
	v_min_u32_e32 v102, 32, v13
	v_subrev_nc_u32_e32 v13, 28, v102
	v_sub_nc_u32_e32 v102, 29, v102
	s_delay_alu instid0(VALU_DEP_2) | instskip(NEXT) | instid1(VALU_DEP_1)
	v_lshlrev_b64 v[13:14], v13, v[0:1]
	v_and_b32_e32 v13, 7, v13
; %bb.1244:                             ;   in Loop: Header=BB339_1059 Depth=1
	s_or_b32 exec_lo, exec_lo, s15
	v_lshlrev_b32_e32 v0, 8, v101
	v_lshl_add_u32 v14, v102, 10, 0x2000
	s_delay_alu instid0(VALU_DEP_1) | instskip(NEXT) | instid1(VALU_DEP_1)
	v_and_or_b32 v0, 0x8000, v0, v14
	v_lshl_or_b32 v0, v13, 7, v0
	s_delay_alu instid0(VALU_DEP_1)
	v_cvt_f32_f16_e32 v13, v0
.LBB339_1245:                           ;   in Loop: Header=BB339_1059 Depth=1
	s_or_b32 exec_lo, exec_lo, s13
.LBB339_1246:                           ;   in Loop: Header=BB339_1059 Depth=1
	s_delay_alu instid0(SALU_CYCLE_1)
	s_or_b32 exec_lo, exec_lo, s12
.LBB339_1247:                           ;   in Loop: Header=BB339_1059 Depth=1
	s_delay_alu instid0(SALU_CYCLE_1) | instskip(NEXT) | instid1(SALU_CYCLE_1)
	s_or_b32 exec_lo, exec_lo, s9
	s_mov_b32 s9, exec_lo
	v_cmpx_lt_u64_e64 s[4:5], v[11:12]
	s_cbranch_execz .LBB339_1255
; %bb.1248:                             ;   in Loop: Header=BB339_1059 Depth=1
	v_lshrrev_b32_e32 v14, 24, v12
	v_bfrev_b32_e32 v100, 1
	s_mov_b32 s12, exec_lo
	s_delay_alu instid0(VALU_DEP_2)
	v_cmpx_ne_u32_e32 0x80, v14
	s_cbranch_execz .LBB339_1254
; %bb.1249:                             ;   in Loop: Header=BB339_1059 Depth=1
	v_and_b32_e32 v11, 0x7f, v14
	v_mov_b32_e32 v100, 0x7fc02000
	s_mov_b32 s13, exec_lo
	s_delay_alu instid0(VALU_DEP_2)
	v_cmpx_ne_u32_e32 0x7f, v11
	s_cbranch_execz .LBB339_1253
; %bb.1250:                             ;   in Loop: Header=BB339_1059 Depth=1
	v_and_b32_e32 v0, 7, v14
	v_lshrrev_b32_e32 v100, 3, v11
	v_cmp_gt_u32_e64 s1, 8, v11
	s_delay_alu instid0(VALU_DEP_3) | instskip(NEXT) | instid1(VALU_DEP_2)
	v_dual_mov_b32 v12, v1 :: v_dual_mov_b32 v11, v0
	s_and_saveexec_b32 s15, s1
; %bb.1251:                             ;   in Loop: Header=BB339_1059 Depth=1
	v_clz_i32_u32_e32 v11, v0
	s_delay_alu instid0(VALU_DEP_1) | instskip(NEXT) | instid1(VALU_DEP_1)
	v_min_u32_e32 v100, 32, v11
	v_subrev_nc_u32_e32 v11, 28, v100
	v_sub_nc_u32_e32 v100, 29, v100
	s_delay_alu instid0(VALU_DEP_2) | instskip(NEXT) | instid1(VALU_DEP_1)
	v_lshlrev_b64 v[11:12], v11, v[0:1]
	v_and_b32_e32 v11, 7, v11
; %bb.1252:                             ;   in Loop: Header=BB339_1059 Depth=1
	s_or_b32 exec_lo, exec_lo, s15
	v_lshlrev_b32_e32 v0, 8, v14
	v_lshl_add_u32 v12, v100, 10, 0x2000
	s_delay_alu instid0(VALU_DEP_1) | instskip(NEXT) | instid1(VALU_DEP_1)
	v_and_or_b32 v0, 0x8000, v0, v12
	v_lshl_or_b32 v0, v11, 7, v0
	s_delay_alu instid0(VALU_DEP_1)
	v_cvt_f32_f16_e32 v100, v0
.LBB339_1253:                           ;   in Loop: Header=BB339_1059 Depth=1
	s_or_b32 exec_lo, exec_lo, s13
.LBB339_1254:                           ;   in Loop: Header=BB339_1059 Depth=1
	s_delay_alu instid0(SALU_CYCLE_1)
	s_or_b32 exec_lo, exec_lo, s12
.LBB339_1255:                           ;   in Loop: Header=BB339_1059 Depth=1
	s_delay_alu instid0(SALU_CYCLE_1)
	s_or_b32 exec_lo, exec_lo, s9
	s_waitcnt vmcnt(0) lgkmcnt(0)
	v_fma_mixlo_f16 v12, v85, v87, 0
	v_fma_mixlo_f16 v0, v85, v97, 0
	;; [unrolled: 1-line block ×5, first 2 shown]
	v_lshlrev_b32_e32 v14, 16, v12
	v_fma_mixlo_f16 v96, v85, v98, 0
	v_fma_mixlo_f16 v97, v85, v100, 0
	;; [unrolled: 1-line block ×3, first 2 shown]
	v_lshlrev_b32_e32 v0, 16, v0
	v_and_b32_e32 v11, 0xffff, v11
	v_and_b32_e32 v85, 0xffff, v86
	v_lshlrev_b32_e32 v86, 16, v87
	v_and_b32_e32 v87, 0xffff, v96
	v_lshlrev_b32_e32 v96, 16, v97
	v_and_b32_e32 v97, 0xffff, v12
	v_or_b32_e32 v13, v0, v11
	v_or_b32_e32 v14, v14, v85
	;; [unrolled: 1-line block ×3, first 2 shown]
	s_delay_alu instid0(VALU_DEP_4)
	v_or_b32_e32 v11, v96, v97
	s_and_saveexec_b32 s9, vcc_lo
	s_cbranch_execz .LBB339_1257
; %bb.1256:                             ;   in Loop: Header=BB339_1059 Depth=1
	v_cmp_lt_i32_e64 s1, v15, v35
	v_lshrrev_b32_e32 v85, 16, v14
	v_lshrrev_b32_e32 v86, 16, v13
	;; [unrolled: 1-line block ×4, first 2 shown]
	v_cndmask_b32_e64 v14, 0, v14, s1
	v_cmp_lt_i32_e64 s1, v82, v39
	s_delay_alu instid0(VALU_DEP_1) | instskip(SKIP_1) | instid1(VALU_DEP_2)
	v_cndmask_b32_e64 v85, 0, v85, s1
	v_cmp_lt_i32_e64 s1, v81, v39
	v_perm_b32 v14, v85, v14, 0x5040100
	s_delay_alu instid0(VALU_DEP_2) | instskip(SKIP_1) | instid1(VALU_DEP_1)
	v_cndmask_b32_e64 v86, 0, v86, s1
	v_cmp_lt_i32_e64 s1, v70, v35
	v_cndmask_b32_e64 v13, 0, v13, s1
	v_cmp_lt_i32_e64 s1, v65, v39
	s_delay_alu instid0(VALU_DEP_2) | instskip(NEXT) | instid1(VALU_DEP_2)
	v_perm_b32 v13, v86, v13, 0x5040100
	v_cndmask_b32_e64 v87, 0, v87, s1
	v_cmp_lt_i32_e64 s1, v48, v35
	s_delay_alu instid0(VALU_DEP_1) | instskip(SKIP_1) | instid1(VALU_DEP_2)
	v_cndmask_b32_e64 v0, 0, v0, s1
	v_cmp_lt_i32_e64 s1, v23, v39
	v_perm_b32 v0, v87, v0, 0x5040100
	s_delay_alu instid0(VALU_DEP_2) | instskip(SKIP_1) | instid1(VALU_DEP_1)
	v_cndmask_b32_e64 v11, 0, v11, s1
	v_cmp_lt_i32_e64 s1, v17, v35
	v_cndmask_b32_e64 v12, 0, v12, s1
	s_delay_alu instid0(VALU_DEP_1)
	v_perm_b32 v11, v11, v12, 0x5040100
.LBB339_1257:                           ;   in Loop: Header=BB339_1059 Depth=1
	s_or_b32 exec_lo, exec_lo, s9
	;;#ASMSTART
	v_pk_mul_f16 v12, v80, v14;

	;;#ASMEND
	;;#ASMSTART
	v_pk_mul_f16 v13, v69, v13;

	;;#ASMEND
	;;#ASMSTART
	v_pk_mul_f16 v0, v67, v0;

	;;#ASMEND
	;;#ASMSTART
	v_pk_mul_f16 v11, v66, v11;

	;;#ASMEND
	;;#ASMSTART
	v_pk_add_f16 v12, v12, v13;

	;;#ASMEND
	;;#ASMSTART
	v_pk_add_f16 v0, v12, v0;

	;;#ASMEND
	;; [unrolled: 4-line block ×3, first 2 shown]
	v_dual_mov_b32 v96, 0 :: v_dual_and_b32 v11, 0xffff, v0
	v_lshrrev_b32_e32 v0, 16, v0
	;;#ASMSTART
	v_cvt_f32_f16 v85, v11;
	;;#ASMEND
	;;#ASMSTART
	v_cvt_f32_f16 v86, v0;
	;;#ASMEND
	flat_load_b64 v[11:12], v[9:10] offset:768
	flat_load_b32 v87, v[26:27]
	s_mov_b32 s9, exec_lo
	s_waitcnt vmcnt(1) lgkmcnt(1)
	v_dual_mov_b32 v97, 0 :: v_dual_and_b32 v0, 0xff, v11
	s_delay_alu instid0(VALU_DEP_1)
	v_cmpx_ne_u16_e32 0, v0
	s_cbranch_execz .LBB339_1265
; %bb.1258:                             ;   in Loop: Header=BB339_1059 Depth=1
	v_bfrev_b32_e32 v96, 1
	s_mov_b32 s12, exec_lo
	v_cmpx_ne_u16_e32 0x80, v0
	s_cbranch_execz .LBB339_1264
; %bb.1259:                             ;   in Loop: Header=BB339_1059 Depth=1
	v_and_b32_e32 v13, 0x7f, v11
	v_mov_b32_e32 v96, 0x7fc02000
	s_mov_b32 s13, exec_lo
	s_delay_alu instid0(VALU_DEP_2)
	v_cmpx_ne_u32_e32 0x7f, v13
	s_cbranch_execz .LBB339_1263
; %bb.1260:                             ;   in Loop: Header=BB339_1059 Depth=1
	v_lshrrev_b32_e32 v0, 3, v13
	v_cmp_gt_u32_e64 s1, 8, v13
	v_dual_mov_b32 v14, v12 :: v_dual_mov_b32 v13, v11
	s_delay_alu instid0(VALU_DEP_2)
	s_and_saveexec_b32 s15, s1
; %bb.1261:                             ;   in Loop: Header=BB339_1059 Depth=1
	v_and_b32_e32 v0, 7, v11
	s_delay_alu instid0(VALU_DEP_1) | instskip(NEXT) | instid1(VALU_DEP_1)
	v_clz_i32_u32_e32 v0, v0
	v_min_u32_e32 v0, 32, v0
	s_delay_alu instid0(VALU_DEP_1) | instskip(SKIP_1) | instid1(VALU_DEP_2)
	v_subrev_nc_u32_e32 v13, 28, v0
	v_sub_nc_u32_e32 v0, 29, v0
	v_lshlrev_b64 v[13:14], v13, v[11:12]
; %bb.1262:                             ;   in Loop: Header=BB339_1059 Depth=1
	s_or_b32 exec_lo, exec_lo, s15
	v_lshlrev_b32_e32 v14, 8, v11
	s_delay_alu instid0(VALU_DEP_3) | instskip(NEXT) | instid1(VALU_DEP_3)
	v_lshl_add_u32 v0, v0, 10, 0x2000
	v_lshlrev_b32_e32 v13, 7, v13
	s_delay_alu instid0(VALU_DEP_2) | instskip(NEXT) | instid1(VALU_DEP_1)
	v_and_or_b32 v0, 0x8000, v14, v0
	v_and_or_b32 v0, 0x380, v13, v0
	s_delay_alu instid0(VALU_DEP_1)
	v_cvt_f32_f16_e32 v96, v0
.LBB339_1263:                           ;   in Loop: Header=BB339_1059 Depth=1
	s_or_b32 exec_lo, exec_lo, s13
.LBB339_1264:                           ;   in Loop: Header=BB339_1059 Depth=1
	s_delay_alu instid0(SALU_CYCLE_1)
	s_or_b32 exec_lo, exec_lo, s12
.LBB339_1265:                           ;   in Loop: Header=BB339_1059 Depth=1
	s_delay_alu instid0(SALU_CYCLE_1) | instskip(SKIP_2) | instid1(VALU_DEP_1)
	s_or_b32 exec_lo, exec_lo, s9
	v_lshrrev_b16 v0, 8, v11
	s_mov_b32 s9, exec_lo
	v_cmpx_ne_u16_e32 0, v0
	s_cbranch_execz .LBB339_1273
; %bb.1266:                             ;   in Loop: Header=BB339_1059 Depth=1
	v_bfrev_b32_e32 v97, 1
	s_mov_b32 s12, exec_lo
	v_cmpx_ne_u16_e32 0x80, v0
	s_cbranch_execz .LBB339_1272
; %bb.1267:                             ;   in Loop: Header=BB339_1059 Depth=1
	v_and_b32_e32 v98, 0xffff, v0
	v_mov_b32_e32 v97, 0x7fc02000
	s_mov_b32 s13, exec_lo
	s_delay_alu instid0(VALU_DEP_2) | instskip(NEXT) | instid1(VALU_DEP_1)
	v_and_b32_e32 v13, 0x7f, v98
	v_cmpx_ne_u32_e32 0x7f, v13
	s_cbranch_execz .LBB339_1271
; %bb.1268:                             ;   in Loop: Header=BB339_1059 Depth=1
	v_and_b32_e32 v0, 7, v98
	v_lshrrev_b32_e32 v97, 3, v13
	v_cmp_gt_u32_e64 s1, 8, v13
	s_delay_alu instid0(VALU_DEP_3) | instskip(NEXT) | instid1(VALU_DEP_2)
	v_dual_mov_b32 v14, v1 :: v_dual_mov_b32 v13, v0
	s_and_saveexec_b32 s15, s1
; %bb.1269:                             ;   in Loop: Header=BB339_1059 Depth=1
	v_clz_i32_u32_e32 v13, v0
	s_delay_alu instid0(VALU_DEP_1) | instskip(NEXT) | instid1(VALU_DEP_1)
	v_min_u32_e32 v97, 32, v13
	v_subrev_nc_u32_e32 v13, 28, v97
	v_sub_nc_u32_e32 v97, 29, v97
	s_delay_alu instid0(VALU_DEP_2) | instskip(NEXT) | instid1(VALU_DEP_1)
	v_lshlrev_b64 v[13:14], v13, v[0:1]
	v_and_b32_e32 v13, 7, v13
; %bb.1270:                             ;   in Loop: Header=BB339_1059 Depth=1
	s_or_b32 exec_lo, exec_lo, s15
	v_lshlrev_b32_e32 v0, 8, v98
	v_lshl_add_u32 v14, v97, 10, 0x2000
	s_delay_alu instid0(VALU_DEP_1) | instskip(NEXT) | instid1(VALU_DEP_1)
	v_and_or_b32 v0, 0x8000, v0, v14
	v_lshl_or_b32 v0, v13, 7, v0
	s_delay_alu instid0(VALU_DEP_1)
	v_cvt_f32_f16_e32 v97, v0
.LBB339_1271:                           ;   in Loop: Header=BB339_1059 Depth=1
	s_or_b32 exec_lo, exec_lo, s13
.LBB339_1272:                           ;   in Loop: Header=BB339_1059 Depth=1
	s_delay_alu instid0(SALU_CYCLE_1)
	s_or_b32 exec_lo, exec_lo, s12
.LBB339_1273:                           ;   in Loop: Header=BB339_1059 Depth=1
	s_delay_alu instid0(SALU_CYCLE_1) | instskip(SKIP_3) | instid1(VALU_DEP_2)
	s_or_b32 exec_lo, exec_lo, s9
	v_lshrrev_b32_e32 v100, 16, v11
	v_mov_b32_e32 v98, 0
	s_mov_b32 s9, exec_lo
	v_dual_mov_b32 v99, 0 :: v_dual_and_b32 v0, 0xff, v100
	s_delay_alu instid0(VALU_DEP_1)
	v_cmpx_ne_u16_e32 0, v0
	s_cbranch_execz .LBB339_1281
; %bb.1274:                             ;   in Loop: Header=BB339_1059 Depth=1
	v_bfrev_b32_e32 v98, 1
	s_mov_b32 s12, exec_lo
	v_cmpx_ne_u16_e32 0x80, v0
	s_cbranch_execz .LBB339_1280
; %bb.1275:                             ;   in Loop: Header=BB339_1059 Depth=1
	v_bfe_u32 v13, v11, 16, 7
	v_mov_b32_e32 v98, 0x7fc02000
	s_mov_b32 s13, exec_lo
	s_delay_alu instid0(VALU_DEP_2)
	v_cmpx_ne_u32_e32 0x7f, v13
	s_cbranch_execz .LBB339_1279
; %bb.1276:                             ;   in Loop: Header=BB339_1059 Depth=1
	v_and_b32_e32 v0, 7, v100
	v_lshrrev_b32_e32 v98, 3, v13
	v_cmp_gt_u32_e64 s1, 8, v13
	s_delay_alu instid0(VALU_DEP_3) | instskip(NEXT) | instid1(VALU_DEP_2)
	v_dual_mov_b32 v14, v1 :: v_dual_mov_b32 v13, v0
	s_and_saveexec_b32 s15, s1
; %bb.1277:                             ;   in Loop: Header=BB339_1059 Depth=1
	v_clz_i32_u32_e32 v13, v0
	s_delay_alu instid0(VALU_DEP_1) | instskip(NEXT) | instid1(VALU_DEP_1)
	v_min_u32_e32 v98, 32, v13
	v_subrev_nc_u32_e32 v13, 28, v98
	v_sub_nc_u32_e32 v98, 29, v98
	s_delay_alu instid0(VALU_DEP_2) | instskip(NEXT) | instid1(VALU_DEP_1)
	v_lshlrev_b64 v[13:14], v13, v[0:1]
	v_and_b32_e32 v13, 7, v13
; %bb.1278:                             ;   in Loop: Header=BB339_1059 Depth=1
	s_or_b32 exec_lo, exec_lo, s15
	v_lshlrev_b32_e32 v0, 8, v100
	v_lshl_add_u32 v14, v98, 10, 0x2000
	s_delay_alu instid0(VALU_DEP_1) | instskip(NEXT) | instid1(VALU_DEP_1)
	v_and_or_b32 v0, 0x8000, v0, v14
	v_lshl_or_b32 v0, v13, 7, v0
	s_delay_alu instid0(VALU_DEP_1)
	v_cvt_f32_f16_e32 v98, v0
.LBB339_1279:                           ;   in Loop: Header=BB339_1059 Depth=1
	s_or_b32 exec_lo, exec_lo, s13
.LBB339_1280:                           ;   in Loop: Header=BB339_1059 Depth=1
	s_delay_alu instid0(SALU_CYCLE_1)
	s_or_b32 exec_lo, exec_lo, s12
.LBB339_1281:                           ;   in Loop: Header=BB339_1059 Depth=1
	s_delay_alu instid0(SALU_CYCLE_1) | instskip(NEXT) | instid1(SALU_CYCLE_1)
	s_or_b32 exec_lo, exec_lo, s9
	s_mov_b32 s9, exec_lo
	v_cmpx_lt_u32_e32 0xffffff, v11
	s_cbranch_execz .LBB339_1289
; %bb.1282:                             ;   in Loop: Header=BB339_1059 Depth=1
	v_lshrrev_b32_e32 v100, 24, v11
	v_bfrev_b32_e32 v99, 1
	s_mov_b32 s12, exec_lo
	s_delay_alu instid0(VALU_DEP_2)
	v_cmpx_ne_u32_e32 0x80, v100
	s_cbranch_execz .LBB339_1288
; %bb.1283:                             ;   in Loop: Header=BB339_1059 Depth=1
	v_and_b32_e32 v13, 0x7f, v100
	v_mov_b32_e32 v99, 0x7fc02000
	s_mov_b32 s13, exec_lo
	s_delay_alu instid0(VALU_DEP_2)
	v_cmpx_ne_u32_e32 0x7f, v13
	s_cbranch_execz .LBB339_1287
; %bb.1284:                             ;   in Loop: Header=BB339_1059 Depth=1
	v_and_b32_e32 v0, 7, v100
	v_lshrrev_b32_e32 v99, 3, v13
	v_cmp_gt_u32_e64 s1, 8, v13
	s_delay_alu instid0(VALU_DEP_3) | instskip(NEXT) | instid1(VALU_DEP_2)
	v_dual_mov_b32 v14, v1 :: v_dual_mov_b32 v13, v0
	s_and_saveexec_b32 s15, s1
; %bb.1285:                             ;   in Loop: Header=BB339_1059 Depth=1
	v_clz_i32_u32_e32 v13, v0
	s_delay_alu instid0(VALU_DEP_1) | instskip(NEXT) | instid1(VALU_DEP_1)
	v_min_u32_e32 v99, 32, v13
	v_subrev_nc_u32_e32 v13, 28, v99
	v_sub_nc_u32_e32 v99, 29, v99
	s_delay_alu instid0(VALU_DEP_2) | instskip(NEXT) | instid1(VALU_DEP_1)
	v_lshlrev_b64 v[13:14], v13, v[0:1]
	v_and_b32_e32 v13, 7, v13
; %bb.1286:                             ;   in Loop: Header=BB339_1059 Depth=1
	s_or_b32 exec_lo, exec_lo, s15
	v_lshlrev_b32_e32 v0, 8, v100
	v_lshl_add_u32 v14, v99, 10, 0x2000
	s_delay_alu instid0(VALU_DEP_1) | instskip(NEXT) | instid1(VALU_DEP_1)
	v_and_or_b32 v0, 0x8000, v0, v14
	v_lshl_or_b32 v0, v13, 7, v0
	s_delay_alu instid0(VALU_DEP_1)
	v_cvt_f32_f16_e32 v99, v0
.LBB339_1287:                           ;   in Loop: Header=BB339_1059 Depth=1
	s_or_b32 exec_lo, exec_lo, s13
.LBB339_1288:                           ;   in Loop: Header=BB339_1059 Depth=1
	s_delay_alu instid0(SALU_CYCLE_1)
	s_or_b32 exec_lo, exec_lo, s12
.LBB339_1289:                           ;   in Loop: Header=BB339_1059 Depth=1
	s_delay_alu instid0(SALU_CYCLE_1) | instskip(SKIP_3) | instid1(VALU_DEP_2)
	s_or_b32 exec_lo, exec_lo, s9
	v_dual_mov_b32 v0, v12 :: v_dual_and_b32 v13, 0xff, v12
	v_dual_mov_b32 v101, 0 :: v_dual_mov_b32 v100, 0
	s_mov_b32 s9, exec_lo
	v_cmpx_ne_u16_e32 0, v13
	s_cbranch_execz .LBB339_1297
; %bb.1290:                             ;   in Loop: Header=BB339_1059 Depth=1
	v_bfrev_b32_e32 v100, 1
	s_mov_b32 s12, exec_lo
	v_cmpx_ne_u16_e32 0x80, v13
	s_cbranch_execz .LBB339_1296
; %bb.1291:                             ;   in Loop: Header=BB339_1059 Depth=1
	v_and_b32_e32 v13, 0x7f, v12
	v_mov_b32_e32 v100, 0x7fc02000
	s_mov_b32 s13, exec_lo
	s_delay_alu instid0(VALU_DEP_2)
	v_cmpx_ne_u32_e32 0x7f, v13
	s_cbranch_execz .LBB339_1295
; %bb.1292:                             ;   in Loop: Header=BB339_1059 Depth=1
	v_lshrrev_b32_e32 v100, 3, v13
	v_cmp_gt_u32_e64 s1, 8, v13
	v_dual_mov_b32 v14, v1 :: v_dual_mov_b32 v13, v0
	s_delay_alu instid0(VALU_DEP_2)
	s_and_saveexec_b32 s15, s1
; %bb.1293:                             ;   in Loop: Header=BB339_1059 Depth=1
	v_and_b32_e32 v13, 7, v12
	s_delay_alu instid0(VALU_DEP_1) | instskip(NEXT) | instid1(VALU_DEP_1)
	v_clz_i32_u32_e32 v13, v13
	v_min_u32_e32 v100, 32, v13
	s_delay_alu instid0(VALU_DEP_1) | instskip(SKIP_1) | instid1(VALU_DEP_2)
	v_subrev_nc_u32_e32 v13, 28, v100
	v_sub_nc_u32_e32 v100, 29, v100
	v_lshlrev_b64 v[13:14], v13, v[0:1]
; %bb.1294:                             ;   in Loop: Header=BB339_1059 Depth=1
	s_or_b32 exec_lo, exec_lo, s15
	v_lshlrev_b32_e32 v14, 8, v12
	s_delay_alu instid0(VALU_DEP_3) | instskip(NEXT) | instid1(VALU_DEP_3)
	v_lshl_add_u32 v100, v100, 10, 0x2000
	v_lshlrev_b32_e32 v13, 7, v13
	s_delay_alu instid0(VALU_DEP_2) | instskip(NEXT) | instid1(VALU_DEP_1)
	v_and_or_b32 v14, 0x8000, v14, v100
	v_and_or_b32 v13, 0x380, v13, v14
	s_delay_alu instid0(VALU_DEP_1)
	v_cvt_f32_f16_e32 v100, v13
.LBB339_1295:                           ;   in Loop: Header=BB339_1059 Depth=1
	s_or_b32 exec_lo, exec_lo, s13
.LBB339_1296:                           ;   in Loop: Header=BB339_1059 Depth=1
	s_delay_alu instid0(SALU_CYCLE_1)
	s_or_b32 exec_lo, exec_lo, s12
.LBB339_1297:                           ;   in Loop: Header=BB339_1059 Depth=1
	s_delay_alu instid0(SALU_CYCLE_1) | instskip(SKIP_2) | instid1(VALU_DEP_1)
	s_or_b32 exec_lo, exec_lo, s9
	v_lshrrev_b16 v0, 8, v0
	s_mov_b32 s9, exec_lo
	v_cmpx_ne_u16_e32 0, v0
	s_cbranch_execz .LBB339_1305
; %bb.1298:                             ;   in Loop: Header=BB339_1059 Depth=1
	v_bfrev_b32_e32 v101, 1
	s_mov_b32 s12, exec_lo
	v_cmpx_ne_u16_e32 0x80, v0
	s_cbranch_execz .LBB339_1304
; %bb.1299:                             ;   in Loop: Header=BB339_1059 Depth=1
	v_and_b32_e32 v102, 0xffff, v0
	v_mov_b32_e32 v101, 0x7fc02000
	s_mov_b32 s13, exec_lo
	s_delay_alu instid0(VALU_DEP_2) | instskip(NEXT) | instid1(VALU_DEP_1)
	v_and_b32_e32 v13, 0x7f, v102
	v_cmpx_ne_u32_e32 0x7f, v13
	s_cbranch_execz .LBB339_1303
; %bb.1300:                             ;   in Loop: Header=BB339_1059 Depth=1
	v_and_b32_e32 v0, 7, v102
	v_lshrrev_b32_e32 v101, 3, v13
	v_cmp_gt_u32_e64 s1, 8, v13
	s_delay_alu instid0(VALU_DEP_3) | instskip(NEXT) | instid1(VALU_DEP_2)
	v_dual_mov_b32 v14, v1 :: v_dual_mov_b32 v13, v0
	s_and_saveexec_b32 s15, s1
; %bb.1301:                             ;   in Loop: Header=BB339_1059 Depth=1
	v_clz_i32_u32_e32 v13, v0
	s_delay_alu instid0(VALU_DEP_1) | instskip(NEXT) | instid1(VALU_DEP_1)
	v_min_u32_e32 v101, 32, v13
	v_subrev_nc_u32_e32 v13, 28, v101
	v_sub_nc_u32_e32 v101, 29, v101
	s_delay_alu instid0(VALU_DEP_2) | instskip(NEXT) | instid1(VALU_DEP_1)
	v_lshlrev_b64 v[13:14], v13, v[0:1]
	v_and_b32_e32 v13, 7, v13
; %bb.1302:                             ;   in Loop: Header=BB339_1059 Depth=1
	s_or_b32 exec_lo, exec_lo, s15
	v_lshlrev_b32_e32 v0, 8, v102
	v_lshl_add_u32 v14, v101, 10, 0x2000
	s_delay_alu instid0(VALU_DEP_1) | instskip(NEXT) | instid1(VALU_DEP_1)
	v_and_or_b32 v0, 0x8000, v0, v14
	v_lshl_or_b32 v0, v13, 7, v0
	s_delay_alu instid0(VALU_DEP_1)
	v_cvt_f32_f16_e32 v101, v0
.LBB339_1303:                           ;   in Loop: Header=BB339_1059 Depth=1
	s_or_b32 exec_lo, exec_lo, s13
.LBB339_1304:                           ;   in Loop: Header=BB339_1059 Depth=1
	s_delay_alu instid0(SALU_CYCLE_1)
	s_or_b32 exec_lo, exec_lo, s12
.LBB339_1305:                           ;   in Loop: Header=BB339_1059 Depth=1
	s_delay_alu instid0(SALU_CYCLE_1) | instskip(SKIP_3) | instid1(VALU_DEP_2)
	s_or_b32 exec_lo, exec_lo, s9
	v_lshrrev_b32_e32 v103, 16, v12
	v_mov_b32_e32 v102, 0
	s_mov_b32 s9, exec_lo
	v_dual_mov_b32 v13, 0 :: v_dual_and_b32 v0, 0xff, v103
	s_delay_alu instid0(VALU_DEP_1)
	v_cmpx_ne_u16_e32 0, v0
	s_cbranch_execz .LBB339_1313
; %bb.1306:                             ;   in Loop: Header=BB339_1059 Depth=1
	v_bfrev_b32_e32 v13, 1
	s_mov_b32 s12, exec_lo
	v_cmpx_ne_u16_e32 0x80, v0
	s_cbranch_execz .LBB339_1312
; %bb.1307:                             ;   in Loop: Header=BB339_1059 Depth=1
	v_bfe_u32 v14, v12, 16, 7
	v_mov_b32_e32 v13, 0x7fc02000
	s_mov_b32 s13, exec_lo
	s_delay_alu instid0(VALU_DEP_2)
	v_cmpx_ne_u32_e32 0x7f, v14
	s_cbranch_execz .LBB339_1311
; %bb.1308:                             ;   in Loop: Header=BB339_1059 Depth=1
	v_and_b32_e32 v0, 7, v103
	v_lshrrev_b32_e32 v112, 3, v14
	v_cmp_gt_u32_e64 s1, 8, v14
	s_delay_alu instid0(VALU_DEP_3) | instskip(NEXT) | instid1(VALU_DEP_2)
	v_dual_mov_b32 v14, v1 :: v_dual_mov_b32 v13, v0
	s_and_saveexec_b32 s15, s1
; %bb.1309:                             ;   in Loop: Header=BB339_1059 Depth=1
	v_clz_i32_u32_e32 v13, v0
	s_delay_alu instid0(VALU_DEP_1) | instskip(NEXT) | instid1(VALU_DEP_1)
	v_min_u32_e32 v112, 32, v13
	v_subrev_nc_u32_e32 v13, 28, v112
	v_sub_nc_u32_e32 v112, 29, v112
	s_delay_alu instid0(VALU_DEP_2) | instskip(NEXT) | instid1(VALU_DEP_1)
	v_lshlrev_b64 v[13:14], v13, v[0:1]
	v_and_b32_e32 v13, 7, v13
; %bb.1310:                             ;   in Loop: Header=BB339_1059 Depth=1
	s_or_b32 exec_lo, exec_lo, s15
	v_lshlrev_b32_e32 v0, 8, v103
	v_lshl_add_u32 v14, v112, 10, 0x2000
	s_delay_alu instid0(VALU_DEP_1) | instskip(NEXT) | instid1(VALU_DEP_1)
	v_and_or_b32 v0, 0x8000, v0, v14
	v_lshl_or_b32 v0, v13, 7, v0
	s_delay_alu instid0(VALU_DEP_1)
	v_cvt_f32_f16_e32 v13, v0
.LBB339_1311:                           ;   in Loop: Header=BB339_1059 Depth=1
	s_or_b32 exec_lo, exec_lo, s13
.LBB339_1312:                           ;   in Loop: Header=BB339_1059 Depth=1
	s_delay_alu instid0(SALU_CYCLE_1)
	s_or_b32 exec_lo, exec_lo, s12
.LBB339_1313:                           ;   in Loop: Header=BB339_1059 Depth=1
	s_delay_alu instid0(SALU_CYCLE_1) | instskip(NEXT) | instid1(SALU_CYCLE_1)
	s_or_b32 exec_lo, exec_lo, s9
	s_mov_b32 s9, exec_lo
	v_cmpx_lt_u64_e64 s[4:5], v[11:12]
	s_cbranch_execz .LBB339_1321
; %bb.1314:                             ;   in Loop: Header=BB339_1059 Depth=1
	v_lshrrev_b32_e32 v14, 24, v12
	v_bfrev_b32_e32 v102, 1
	s_mov_b32 s12, exec_lo
	s_delay_alu instid0(VALU_DEP_2)
	v_cmpx_ne_u32_e32 0x80, v14
	s_cbranch_execz .LBB339_1320
; %bb.1315:                             ;   in Loop: Header=BB339_1059 Depth=1
	v_and_b32_e32 v11, 0x7f, v14
	v_mov_b32_e32 v102, 0x7fc02000
	s_mov_b32 s13, exec_lo
	s_delay_alu instid0(VALU_DEP_2)
	v_cmpx_ne_u32_e32 0x7f, v11
	s_cbranch_execz .LBB339_1319
; %bb.1316:                             ;   in Loop: Header=BB339_1059 Depth=1
	v_and_b32_e32 v0, 7, v14
	v_lshrrev_b32_e32 v102, 3, v11
	v_cmp_gt_u32_e64 s1, 8, v11
	s_delay_alu instid0(VALU_DEP_3) | instskip(NEXT) | instid1(VALU_DEP_2)
	v_dual_mov_b32 v12, v1 :: v_dual_mov_b32 v11, v0
	s_and_saveexec_b32 s15, s1
; %bb.1317:                             ;   in Loop: Header=BB339_1059 Depth=1
	v_clz_i32_u32_e32 v11, v0
	s_delay_alu instid0(VALU_DEP_1) | instskip(NEXT) | instid1(VALU_DEP_1)
	v_min_u32_e32 v102, 32, v11
	v_subrev_nc_u32_e32 v11, 28, v102
	v_sub_nc_u32_e32 v102, 29, v102
	s_delay_alu instid0(VALU_DEP_2) | instskip(NEXT) | instid1(VALU_DEP_1)
	v_lshlrev_b64 v[11:12], v11, v[0:1]
	v_and_b32_e32 v11, 7, v11
; %bb.1318:                             ;   in Loop: Header=BB339_1059 Depth=1
	s_or_b32 exec_lo, exec_lo, s15
	v_lshlrev_b32_e32 v0, 8, v14
	v_lshl_add_u32 v12, v102, 10, 0x2000
	s_delay_alu instid0(VALU_DEP_1) | instskip(NEXT) | instid1(VALU_DEP_1)
	v_and_or_b32 v0, 0x8000, v0, v12
	v_lshl_or_b32 v0, v11, 7, v0
	s_delay_alu instid0(VALU_DEP_1)
	v_cvt_f32_f16_e32 v102, v0
.LBB339_1319:                           ;   in Loop: Header=BB339_1059 Depth=1
	s_or_b32 exec_lo, exec_lo, s13
.LBB339_1320:                           ;   in Loop: Header=BB339_1059 Depth=1
	s_delay_alu instid0(SALU_CYCLE_1)
	s_or_b32 exec_lo, exec_lo, s12
.LBB339_1321:                           ;   in Loop: Header=BB339_1059 Depth=1
	s_delay_alu instid0(SALU_CYCLE_1)
	s_or_b32 exec_lo, exec_lo, s9
	s_waitcnt vmcnt(0) lgkmcnt(0)
	v_fma_mixlo_f16 v12, v87, v97, 0
	v_fma_mixlo_f16 v0, v87, v99, 0
	;; [unrolled: 1-line block ×5, first 2 shown]
	v_lshlrev_b32_e32 v14, 16, v12
	v_fma_mixlo_f16 v98, v87, v100, 0
	v_fma_mixlo_f16 v99, v87, v102, 0
	;; [unrolled: 1-line block ×3, first 2 shown]
	v_lshlrev_b32_e32 v0, 16, v0
	v_and_b32_e32 v11, 0xffff, v11
	v_and_b32_e32 v87, 0xffff, v96
	v_lshlrev_b32_e32 v96, 16, v97
	v_and_b32_e32 v97, 0xffff, v98
	v_lshlrev_b32_e32 v98, 16, v99
	v_and_b32_e32 v99, 0xffff, v12
	v_or_b32_e32 v13, v0, v11
	v_or_b32_e32 v14, v14, v87
	;; [unrolled: 1-line block ×3, first 2 shown]
	s_delay_alu instid0(VALU_DEP_4)
	v_or_b32_e32 v11, v98, v99
	s_and_saveexec_b32 s9, vcc_lo
	s_cbranch_execz .LBB339_1323
; %bb.1322:                             ;   in Loop: Header=BB339_1059 Depth=1
	v_cmp_lt_i32_e64 s1, v15, v35
	v_lshrrev_b32_e32 v87, 16, v14
	v_lshrrev_b32_e32 v96, 16, v13
	;; [unrolled: 1-line block ×4, first 2 shown]
	v_cndmask_b32_e64 v14, 0, v14, s1
	v_cmp_lt_i32_e64 s1, v82, v39
	s_delay_alu instid0(VALU_DEP_1) | instskip(SKIP_1) | instid1(VALU_DEP_2)
	v_cndmask_b32_e64 v87, 0, v87, s1
	v_cmp_lt_i32_e64 s1, v81, v39
	v_perm_b32 v14, v87, v14, 0x5040100
	s_delay_alu instid0(VALU_DEP_2) | instskip(SKIP_1) | instid1(VALU_DEP_1)
	v_cndmask_b32_e64 v96, 0, v96, s1
	v_cmp_lt_i32_e64 s1, v70, v35
	v_cndmask_b32_e64 v13, 0, v13, s1
	v_cmp_lt_i32_e64 s1, v65, v39
	s_delay_alu instid0(VALU_DEP_2) | instskip(NEXT) | instid1(VALU_DEP_2)
	v_perm_b32 v13, v96, v13, 0x5040100
	v_cndmask_b32_e64 v97, 0, v97, s1
	v_cmp_lt_i32_e64 s1, v48, v35
	s_delay_alu instid0(VALU_DEP_1) | instskip(SKIP_1) | instid1(VALU_DEP_2)
	v_cndmask_b32_e64 v0, 0, v0, s1
	v_cmp_lt_i32_e64 s1, v23, v39
	v_perm_b32 v0, v97, v0, 0x5040100
	s_delay_alu instid0(VALU_DEP_2) | instskip(SKIP_1) | instid1(VALU_DEP_1)
	v_cndmask_b32_e64 v11, 0, v11, s1
	v_cmp_lt_i32_e64 s1, v17, v35
	v_cndmask_b32_e64 v12, 0, v12, s1
	s_delay_alu instid0(VALU_DEP_1)
	v_perm_b32 v11, v11, v12, 0x5040100
.LBB339_1323:                           ;   in Loop: Header=BB339_1059 Depth=1
	s_or_b32 exec_lo, exec_lo, s9
	;;#ASMSTART
	v_pk_mul_f16 v12, v80, v14;

	;;#ASMEND
	;;#ASMSTART
	v_pk_mul_f16 v13, v69, v13;

	;;#ASMEND
	;; [unrolled: 4-line block ×4, first 2 shown]
	;;#ASMSTART
	v_pk_add_f16 v12, v12, v13;

	;;#ASMEND
	;;#ASMSTART
	v_pk_add_f16 v0, v12, v0;

	;;#ASMEND
	;; [unrolled: 4-line block ×3, first 2 shown]
	v_dual_mov_b32 v98, 0 :: v_dual_and_b32 v11, 0xffff, v0
	v_lshrrev_b32_e32 v0, 16, v0
	;;#ASMSTART
	v_cvt_f32_f16 v87, v11;
	;;#ASMEND
	;;#ASMSTART
	v_cvt_f32_f16 v96, v0;
	;;#ASMEND
	flat_load_b64 v[11:12], v[9:10] offset:1024
	flat_load_b32 v97, v[26:27]
	s_mov_b32 s9, exec_lo
	s_waitcnt vmcnt(1) lgkmcnt(1)
	v_dual_mov_b32 v99, 0 :: v_dual_and_b32 v0, 0xff, v11
	s_delay_alu instid0(VALU_DEP_1)
	v_cmpx_ne_u16_e32 0, v0
	s_cbranch_execz .LBB339_1331
; %bb.1324:                             ;   in Loop: Header=BB339_1059 Depth=1
	v_bfrev_b32_e32 v98, 1
	s_mov_b32 s12, exec_lo
	v_cmpx_ne_u16_e32 0x80, v0
	s_cbranch_execz .LBB339_1330
; %bb.1325:                             ;   in Loop: Header=BB339_1059 Depth=1
	v_and_b32_e32 v13, 0x7f, v11
	v_mov_b32_e32 v98, 0x7fc02000
	s_mov_b32 s13, exec_lo
	s_delay_alu instid0(VALU_DEP_2)
	v_cmpx_ne_u32_e32 0x7f, v13
	s_cbranch_execz .LBB339_1329
; %bb.1326:                             ;   in Loop: Header=BB339_1059 Depth=1
	v_lshrrev_b32_e32 v0, 3, v13
	v_cmp_gt_u32_e64 s1, 8, v13
	v_dual_mov_b32 v14, v12 :: v_dual_mov_b32 v13, v11
	s_delay_alu instid0(VALU_DEP_2)
	s_and_saveexec_b32 s15, s1
; %bb.1327:                             ;   in Loop: Header=BB339_1059 Depth=1
	v_and_b32_e32 v0, 7, v11
	s_delay_alu instid0(VALU_DEP_1) | instskip(NEXT) | instid1(VALU_DEP_1)
	v_clz_i32_u32_e32 v0, v0
	v_min_u32_e32 v0, 32, v0
	s_delay_alu instid0(VALU_DEP_1) | instskip(SKIP_1) | instid1(VALU_DEP_2)
	v_subrev_nc_u32_e32 v13, 28, v0
	v_sub_nc_u32_e32 v0, 29, v0
	v_lshlrev_b64 v[13:14], v13, v[11:12]
; %bb.1328:                             ;   in Loop: Header=BB339_1059 Depth=1
	s_or_b32 exec_lo, exec_lo, s15
	v_lshlrev_b32_e32 v14, 8, v11
	s_delay_alu instid0(VALU_DEP_3) | instskip(NEXT) | instid1(VALU_DEP_3)
	v_lshl_add_u32 v0, v0, 10, 0x2000
	v_lshlrev_b32_e32 v13, 7, v13
	s_delay_alu instid0(VALU_DEP_2) | instskip(NEXT) | instid1(VALU_DEP_1)
	v_and_or_b32 v0, 0x8000, v14, v0
	v_and_or_b32 v0, 0x380, v13, v0
	s_delay_alu instid0(VALU_DEP_1)
	v_cvt_f32_f16_e32 v98, v0
.LBB339_1329:                           ;   in Loop: Header=BB339_1059 Depth=1
	s_or_b32 exec_lo, exec_lo, s13
.LBB339_1330:                           ;   in Loop: Header=BB339_1059 Depth=1
	s_delay_alu instid0(SALU_CYCLE_1)
	s_or_b32 exec_lo, exec_lo, s12
.LBB339_1331:                           ;   in Loop: Header=BB339_1059 Depth=1
	s_delay_alu instid0(SALU_CYCLE_1) | instskip(SKIP_2) | instid1(VALU_DEP_1)
	s_or_b32 exec_lo, exec_lo, s9
	v_lshrrev_b16 v0, 8, v11
	s_mov_b32 s9, exec_lo
	v_cmpx_ne_u16_e32 0, v0
	s_cbranch_execz .LBB339_1339
; %bb.1332:                             ;   in Loop: Header=BB339_1059 Depth=1
	v_bfrev_b32_e32 v99, 1
	s_mov_b32 s12, exec_lo
	v_cmpx_ne_u16_e32 0x80, v0
	s_cbranch_execz .LBB339_1338
; %bb.1333:                             ;   in Loop: Header=BB339_1059 Depth=1
	v_and_b32_e32 v100, 0xffff, v0
	v_mov_b32_e32 v99, 0x7fc02000
	s_mov_b32 s13, exec_lo
	s_delay_alu instid0(VALU_DEP_2) | instskip(NEXT) | instid1(VALU_DEP_1)
	v_and_b32_e32 v13, 0x7f, v100
	v_cmpx_ne_u32_e32 0x7f, v13
	s_cbranch_execz .LBB339_1337
; %bb.1334:                             ;   in Loop: Header=BB339_1059 Depth=1
	v_and_b32_e32 v0, 7, v100
	v_lshrrev_b32_e32 v99, 3, v13
	v_cmp_gt_u32_e64 s1, 8, v13
	s_delay_alu instid0(VALU_DEP_3) | instskip(NEXT) | instid1(VALU_DEP_2)
	v_dual_mov_b32 v14, v1 :: v_dual_mov_b32 v13, v0
	s_and_saveexec_b32 s15, s1
; %bb.1335:                             ;   in Loop: Header=BB339_1059 Depth=1
	v_clz_i32_u32_e32 v13, v0
	s_delay_alu instid0(VALU_DEP_1) | instskip(NEXT) | instid1(VALU_DEP_1)
	v_min_u32_e32 v99, 32, v13
	v_subrev_nc_u32_e32 v13, 28, v99
	v_sub_nc_u32_e32 v99, 29, v99
	s_delay_alu instid0(VALU_DEP_2) | instskip(NEXT) | instid1(VALU_DEP_1)
	v_lshlrev_b64 v[13:14], v13, v[0:1]
	v_and_b32_e32 v13, 7, v13
; %bb.1336:                             ;   in Loop: Header=BB339_1059 Depth=1
	s_or_b32 exec_lo, exec_lo, s15
	v_lshlrev_b32_e32 v0, 8, v100
	v_lshl_add_u32 v14, v99, 10, 0x2000
	s_delay_alu instid0(VALU_DEP_1) | instskip(NEXT) | instid1(VALU_DEP_1)
	v_and_or_b32 v0, 0x8000, v0, v14
	v_lshl_or_b32 v0, v13, 7, v0
	s_delay_alu instid0(VALU_DEP_1)
	v_cvt_f32_f16_e32 v99, v0
.LBB339_1337:                           ;   in Loop: Header=BB339_1059 Depth=1
	s_or_b32 exec_lo, exec_lo, s13
.LBB339_1338:                           ;   in Loop: Header=BB339_1059 Depth=1
	s_delay_alu instid0(SALU_CYCLE_1)
	s_or_b32 exec_lo, exec_lo, s12
.LBB339_1339:                           ;   in Loop: Header=BB339_1059 Depth=1
	s_delay_alu instid0(SALU_CYCLE_1) | instskip(SKIP_3) | instid1(VALU_DEP_2)
	s_or_b32 exec_lo, exec_lo, s9
	v_lshrrev_b32_e32 v102, 16, v11
	v_mov_b32_e32 v100, 0
	s_mov_b32 s9, exec_lo
	v_dual_mov_b32 v101, 0 :: v_dual_and_b32 v0, 0xff, v102
	s_delay_alu instid0(VALU_DEP_1)
	v_cmpx_ne_u16_e32 0, v0
	s_cbranch_execz .LBB339_1347
; %bb.1340:                             ;   in Loop: Header=BB339_1059 Depth=1
	v_bfrev_b32_e32 v100, 1
	s_mov_b32 s12, exec_lo
	v_cmpx_ne_u16_e32 0x80, v0
	s_cbranch_execz .LBB339_1346
; %bb.1341:                             ;   in Loop: Header=BB339_1059 Depth=1
	v_bfe_u32 v13, v11, 16, 7
	v_mov_b32_e32 v100, 0x7fc02000
	s_mov_b32 s13, exec_lo
	s_delay_alu instid0(VALU_DEP_2)
	v_cmpx_ne_u32_e32 0x7f, v13
	s_cbranch_execz .LBB339_1345
; %bb.1342:                             ;   in Loop: Header=BB339_1059 Depth=1
	v_and_b32_e32 v0, 7, v102
	v_lshrrev_b32_e32 v100, 3, v13
	v_cmp_gt_u32_e64 s1, 8, v13
	s_delay_alu instid0(VALU_DEP_3) | instskip(NEXT) | instid1(VALU_DEP_2)
	v_dual_mov_b32 v14, v1 :: v_dual_mov_b32 v13, v0
	s_and_saveexec_b32 s15, s1
; %bb.1343:                             ;   in Loop: Header=BB339_1059 Depth=1
	v_clz_i32_u32_e32 v13, v0
	s_delay_alu instid0(VALU_DEP_1) | instskip(NEXT) | instid1(VALU_DEP_1)
	v_min_u32_e32 v100, 32, v13
	v_subrev_nc_u32_e32 v13, 28, v100
	v_sub_nc_u32_e32 v100, 29, v100
	s_delay_alu instid0(VALU_DEP_2) | instskip(NEXT) | instid1(VALU_DEP_1)
	v_lshlrev_b64 v[13:14], v13, v[0:1]
	v_and_b32_e32 v13, 7, v13
; %bb.1344:                             ;   in Loop: Header=BB339_1059 Depth=1
	s_or_b32 exec_lo, exec_lo, s15
	v_lshlrev_b32_e32 v0, 8, v102
	v_lshl_add_u32 v14, v100, 10, 0x2000
	s_delay_alu instid0(VALU_DEP_1) | instskip(NEXT) | instid1(VALU_DEP_1)
	v_and_or_b32 v0, 0x8000, v0, v14
	v_lshl_or_b32 v0, v13, 7, v0
	s_delay_alu instid0(VALU_DEP_1)
	v_cvt_f32_f16_e32 v100, v0
.LBB339_1345:                           ;   in Loop: Header=BB339_1059 Depth=1
	s_or_b32 exec_lo, exec_lo, s13
.LBB339_1346:                           ;   in Loop: Header=BB339_1059 Depth=1
	s_delay_alu instid0(SALU_CYCLE_1)
	s_or_b32 exec_lo, exec_lo, s12
.LBB339_1347:                           ;   in Loop: Header=BB339_1059 Depth=1
	s_delay_alu instid0(SALU_CYCLE_1) | instskip(NEXT) | instid1(SALU_CYCLE_1)
	s_or_b32 exec_lo, exec_lo, s9
	s_mov_b32 s9, exec_lo
	v_cmpx_lt_u32_e32 0xffffff, v11
	s_cbranch_execz .LBB339_1355
; %bb.1348:                             ;   in Loop: Header=BB339_1059 Depth=1
	v_lshrrev_b32_e32 v102, 24, v11
	v_bfrev_b32_e32 v101, 1
	s_mov_b32 s12, exec_lo
	s_delay_alu instid0(VALU_DEP_2)
	v_cmpx_ne_u32_e32 0x80, v102
	s_cbranch_execz .LBB339_1354
; %bb.1349:                             ;   in Loop: Header=BB339_1059 Depth=1
	v_and_b32_e32 v13, 0x7f, v102
	v_mov_b32_e32 v101, 0x7fc02000
	s_mov_b32 s13, exec_lo
	s_delay_alu instid0(VALU_DEP_2)
	v_cmpx_ne_u32_e32 0x7f, v13
	s_cbranch_execz .LBB339_1353
; %bb.1350:                             ;   in Loop: Header=BB339_1059 Depth=1
	v_and_b32_e32 v0, 7, v102
	v_lshrrev_b32_e32 v101, 3, v13
	v_cmp_gt_u32_e64 s1, 8, v13
	s_delay_alu instid0(VALU_DEP_3) | instskip(NEXT) | instid1(VALU_DEP_2)
	v_dual_mov_b32 v14, v1 :: v_dual_mov_b32 v13, v0
	s_and_saveexec_b32 s15, s1
; %bb.1351:                             ;   in Loop: Header=BB339_1059 Depth=1
	v_clz_i32_u32_e32 v13, v0
	s_delay_alu instid0(VALU_DEP_1) | instskip(NEXT) | instid1(VALU_DEP_1)
	v_min_u32_e32 v101, 32, v13
	v_subrev_nc_u32_e32 v13, 28, v101
	v_sub_nc_u32_e32 v101, 29, v101
	s_delay_alu instid0(VALU_DEP_2) | instskip(NEXT) | instid1(VALU_DEP_1)
	v_lshlrev_b64 v[13:14], v13, v[0:1]
	v_and_b32_e32 v13, 7, v13
; %bb.1352:                             ;   in Loop: Header=BB339_1059 Depth=1
	s_or_b32 exec_lo, exec_lo, s15
	v_lshlrev_b32_e32 v0, 8, v102
	v_lshl_add_u32 v14, v101, 10, 0x2000
	s_delay_alu instid0(VALU_DEP_1) | instskip(NEXT) | instid1(VALU_DEP_1)
	v_and_or_b32 v0, 0x8000, v0, v14
	v_lshl_or_b32 v0, v13, 7, v0
	s_delay_alu instid0(VALU_DEP_1)
	v_cvt_f32_f16_e32 v101, v0
.LBB339_1353:                           ;   in Loop: Header=BB339_1059 Depth=1
	s_or_b32 exec_lo, exec_lo, s13
.LBB339_1354:                           ;   in Loop: Header=BB339_1059 Depth=1
	s_delay_alu instid0(SALU_CYCLE_1)
	s_or_b32 exec_lo, exec_lo, s12
.LBB339_1355:                           ;   in Loop: Header=BB339_1059 Depth=1
	s_delay_alu instid0(SALU_CYCLE_1) | instskip(SKIP_3) | instid1(VALU_DEP_2)
	s_or_b32 exec_lo, exec_lo, s9
	v_dual_mov_b32 v0, v12 :: v_dual_and_b32 v13, 0xff, v12
	v_dual_mov_b32 v103, 0 :: v_dual_mov_b32 v102, 0
	s_mov_b32 s9, exec_lo
	v_cmpx_ne_u16_e32 0, v13
	s_cbranch_execz .LBB339_1363
; %bb.1356:                             ;   in Loop: Header=BB339_1059 Depth=1
	v_bfrev_b32_e32 v102, 1
	s_mov_b32 s12, exec_lo
	v_cmpx_ne_u16_e32 0x80, v13
	s_cbranch_execz .LBB339_1362
; %bb.1357:                             ;   in Loop: Header=BB339_1059 Depth=1
	v_and_b32_e32 v13, 0x7f, v12
	v_mov_b32_e32 v102, 0x7fc02000
	s_mov_b32 s13, exec_lo
	s_delay_alu instid0(VALU_DEP_2)
	v_cmpx_ne_u32_e32 0x7f, v13
	s_cbranch_execz .LBB339_1361
; %bb.1358:                             ;   in Loop: Header=BB339_1059 Depth=1
	v_lshrrev_b32_e32 v102, 3, v13
	v_cmp_gt_u32_e64 s1, 8, v13
	v_dual_mov_b32 v14, v1 :: v_dual_mov_b32 v13, v0
	s_delay_alu instid0(VALU_DEP_2)
	s_and_saveexec_b32 s15, s1
; %bb.1359:                             ;   in Loop: Header=BB339_1059 Depth=1
	v_and_b32_e32 v13, 7, v12
	s_delay_alu instid0(VALU_DEP_1) | instskip(NEXT) | instid1(VALU_DEP_1)
	v_clz_i32_u32_e32 v13, v13
	v_min_u32_e32 v102, 32, v13
	s_delay_alu instid0(VALU_DEP_1) | instskip(SKIP_1) | instid1(VALU_DEP_2)
	v_subrev_nc_u32_e32 v13, 28, v102
	v_sub_nc_u32_e32 v102, 29, v102
	v_lshlrev_b64 v[13:14], v13, v[0:1]
; %bb.1360:                             ;   in Loop: Header=BB339_1059 Depth=1
	s_or_b32 exec_lo, exec_lo, s15
	v_lshlrev_b32_e32 v14, 8, v12
	s_delay_alu instid0(VALU_DEP_3) | instskip(NEXT) | instid1(VALU_DEP_3)
	v_lshl_add_u32 v102, v102, 10, 0x2000
	v_lshlrev_b32_e32 v13, 7, v13
	s_delay_alu instid0(VALU_DEP_2) | instskip(NEXT) | instid1(VALU_DEP_1)
	v_and_or_b32 v14, 0x8000, v14, v102
	v_and_or_b32 v13, 0x380, v13, v14
	s_delay_alu instid0(VALU_DEP_1)
	v_cvt_f32_f16_e32 v102, v13
.LBB339_1361:                           ;   in Loop: Header=BB339_1059 Depth=1
	s_or_b32 exec_lo, exec_lo, s13
.LBB339_1362:                           ;   in Loop: Header=BB339_1059 Depth=1
	s_delay_alu instid0(SALU_CYCLE_1)
	s_or_b32 exec_lo, exec_lo, s12
.LBB339_1363:                           ;   in Loop: Header=BB339_1059 Depth=1
	s_delay_alu instid0(SALU_CYCLE_1) | instskip(SKIP_2) | instid1(VALU_DEP_1)
	s_or_b32 exec_lo, exec_lo, s9
	v_lshrrev_b16 v0, 8, v0
	s_mov_b32 s9, exec_lo
	v_cmpx_ne_u16_e32 0, v0
	s_cbranch_execz .LBB339_1371
; %bb.1364:                             ;   in Loop: Header=BB339_1059 Depth=1
	v_bfrev_b32_e32 v103, 1
	s_mov_b32 s12, exec_lo
	v_cmpx_ne_u16_e32 0x80, v0
	s_cbranch_execz .LBB339_1370
; %bb.1365:                             ;   in Loop: Header=BB339_1059 Depth=1
	v_and_b32_e32 v112, 0xffff, v0
	v_mov_b32_e32 v103, 0x7fc02000
	s_mov_b32 s13, exec_lo
	s_delay_alu instid0(VALU_DEP_2) | instskip(NEXT) | instid1(VALU_DEP_1)
	v_and_b32_e32 v13, 0x7f, v112
	v_cmpx_ne_u32_e32 0x7f, v13
	s_cbranch_execz .LBB339_1369
; %bb.1366:                             ;   in Loop: Header=BB339_1059 Depth=1
	v_and_b32_e32 v0, 7, v112
	v_lshrrev_b32_e32 v103, 3, v13
	v_cmp_gt_u32_e64 s1, 8, v13
	s_delay_alu instid0(VALU_DEP_3) | instskip(NEXT) | instid1(VALU_DEP_2)
	v_dual_mov_b32 v14, v1 :: v_dual_mov_b32 v13, v0
	s_and_saveexec_b32 s15, s1
; %bb.1367:                             ;   in Loop: Header=BB339_1059 Depth=1
	v_clz_i32_u32_e32 v13, v0
	s_delay_alu instid0(VALU_DEP_1) | instskip(NEXT) | instid1(VALU_DEP_1)
	v_min_u32_e32 v103, 32, v13
	v_subrev_nc_u32_e32 v13, 28, v103
	v_sub_nc_u32_e32 v103, 29, v103
	s_delay_alu instid0(VALU_DEP_2) | instskip(NEXT) | instid1(VALU_DEP_1)
	v_lshlrev_b64 v[13:14], v13, v[0:1]
	v_and_b32_e32 v13, 7, v13
; %bb.1368:                             ;   in Loop: Header=BB339_1059 Depth=1
	s_or_b32 exec_lo, exec_lo, s15
	v_lshlrev_b32_e32 v0, 8, v112
	v_lshl_add_u32 v14, v103, 10, 0x2000
	s_delay_alu instid0(VALU_DEP_1) | instskip(NEXT) | instid1(VALU_DEP_1)
	v_and_or_b32 v0, 0x8000, v0, v14
	v_lshl_or_b32 v0, v13, 7, v0
	s_delay_alu instid0(VALU_DEP_1)
	v_cvt_f32_f16_e32 v103, v0
.LBB339_1369:                           ;   in Loop: Header=BB339_1059 Depth=1
	s_or_b32 exec_lo, exec_lo, s13
.LBB339_1370:                           ;   in Loop: Header=BB339_1059 Depth=1
	s_delay_alu instid0(SALU_CYCLE_1)
	s_or_b32 exec_lo, exec_lo, s12
.LBB339_1371:                           ;   in Loop: Header=BB339_1059 Depth=1
	s_delay_alu instid0(SALU_CYCLE_1) | instskip(SKIP_3) | instid1(VALU_DEP_2)
	s_or_b32 exec_lo, exec_lo, s9
	v_lshrrev_b32_e32 v113, 16, v12
	v_mov_b32_e32 v112, 0
	s_mov_b32 s9, exec_lo
	v_dual_mov_b32 v13, 0 :: v_dual_and_b32 v0, 0xff, v113
	s_delay_alu instid0(VALU_DEP_1)
	v_cmpx_ne_u16_e32 0, v0
	s_cbranch_execz .LBB339_1379
; %bb.1372:                             ;   in Loop: Header=BB339_1059 Depth=1
	v_bfrev_b32_e32 v13, 1
	s_mov_b32 s12, exec_lo
	v_cmpx_ne_u16_e32 0x80, v0
	s_cbranch_execz .LBB339_1378
; %bb.1373:                             ;   in Loop: Header=BB339_1059 Depth=1
	v_bfe_u32 v14, v12, 16, 7
	v_mov_b32_e32 v13, 0x7fc02000
	s_mov_b32 s13, exec_lo
	s_delay_alu instid0(VALU_DEP_2)
	v_cmpx_ne_u32_e32 0x7f, v14
	s_cbranch_execz .LBB339_1377
; %bb.1374:                             ;   in Loop: Header=BB339_1059 Depth=1
	v_and_b32_e32 v0, 7, v113
	v_lshrrev_b32_e32 v114, 3, v14
	v_cmp_gt_u32_e64 s1, 8, v14
	s_delay_alu instid0(VALU_DEP_3) | instskip(NEXT) | instid1(VALU_DEP_2)
	v_dual_mov_b32 v14, v1 :: v_dual_mov_b32 v13, v0
	s_and_saveexec_b32 s15, s1
; %bb.1375:                             ;   in Loop: Header=BB339_1059 Depth=1
	v_clz_i32_u32_e32 v13, v0
	s_delay_alu instid0(VALU_DEP_1) | instskip(NEXT) | instid1(VALU_DEP_1)
	v_min_u32_e32 v114, 32, v13
	v_subrev_nc_u32_e32 v13, 28, v114
	v_sub_nc_u32_e32 v114, 29, v114
	s_delay_alu instid0(VALU_DEP_2) | instskip(NEXT) | instid1(VALU_DEP_1)
	v_lshlrev_b64 v[13:14], v13, v[0:1]
	v_and_b32_e32 v13, 7, v13
; %bb.1376:                             ;   in Loop: Header=BB339_1059 Depth=1
	s_or_b32 exec_lo, exec_lo, s15
	v_lshlrev_b32_e32 v0, 8, v113
	v_lshl_add_u32 v14, v114, 10, 0x2000
	s_delay_alu instid0(VALU_DEP_1) | instskip(NEXT) | instid1(VALU_DEP_1)
	v_and_or_b32 v0, 0x8000, v0, v14
	v_lshl_or_b32 v0, v13, 7, v0
	s_delay_alu instid0(VALU_DEP_1)
	v_cvt_f32_f16_e32 v13, v0
.LBB339_1377:                           ;   in Loop: Header=BB339_1059 Depth=1
	s_or_b32 exec_lo, exec_lo, s13
.LBB339_1378:                           ;   in Loop: Header=BB339_1059 Depth=1
	s_delay_alu instid0(SALU_CYCLE_1)
	s_or_b32 exec_lo, exec_lo, s12
.LBB339_1379:                           ;   in Loop: Header=BB339_1059 Depth=1
	s_delay_alu instid0(SALU_CYCLE_1) | instskip(NEXT) | instid1(SALU_CYCLE_1)
	s_or_b32 exec_lo, exec_lo, s9
	s_mov_b32 s9, exec_lo
	v_cmpx_lt_u64_e64 s[4:5], v[11:12]
	s_cbranch_execz .LBB339_1387
; %bb.1380:                             ;   in Loop: Header=BB339_1059 Depth=1
	v_lshrrev_b32_e32 v14, 24, v12
	v_bfrev_b32_e32 v112, 1
	s_mov_b32 s12, exec_lo
	s_delay_alu instid0(VALU_DEP_2)
	v_cmpx_ne_u32_e32 0x80, v14
	s_cbranch_execz .LBB339_1386
; %bb.1381:                             ;   in Loop: Header=BB339_1059 Depth=1
	v_and_b32_e32 v11, 0x7f, v14
	v_mov_b32_e32 v112, 0x7fc02000
	s_mov_b32 s13, exec_lo
	s_delay_alu instid0(VALU_DEP_2)
	v_cmpx_ne_u32_e32 0x7f, v11
	s_cbranch_execz .LBB339_1385
; %bb.1382:                             ;   in Loop: Header=BB339_1059 Depth=1
	v_and_b32_e32 v0, 7, v14
	v_lshrrev_b32_e32 v112, 3, v11
	v_cmp_gt_u32_e64 s1, 8, v11
	s_delay_alu instid0(VALU_DEP_3) | instskip(NEXT) | instid1(VALU_DEP_2)
	v_dual_mov_b32 v12, v1 :: v_dual_mov_b32 v11, v0
	s_and_saveexec_b32 s15, s1
; %bb.1383:                             ;   in Loop: Header=BB339_1059 Depth=1
	v_clz_i32_u32_e32 v11, v0
	s_delay_alu instid0(VALU_DEP_1) | instskip(NEXT) | instid1(VALU_DEP_1)
	v_min_u32_e32 v112, 32, v11
	v_subrev_nc_u32_e32 v11, 28, v112
	v_sub_nc_u32_e32 v112, 29, v112
	s_delay_alu instid0(VALU_DEP_2) | instskip(NEXT) | instid1(VALU_DEP_1)
	v_lshlrev_b64 v[11:12], v11, v[0:1]
	v_and_b32_e32 v11, 7, v11
; %bb.1384:                             ;   in Loop: Header=BB339_1059 Depth=1
	s_or_b32 exec_lo, exec_lo, s15
	v_lshlrev_b32_e32 v0, 8, v14
	v_lshl_add_u32 v12, v112, 10, 0x2000
	s_delay_alu instid0(VALU_DEP_1) | instskip(NEXT) | instid1(VALU_DEP_1)
	v_and_or_b32 v0, 0x8000, v0, v12
	v_lshl_or_b32 v0, v11, 7, v0
	s_delay_alu instid0(VALU_DEP_1)
	v_cvt_f32_f16_e32 v112, v0
.LBB339_1385:                           ;   in Loop: Header=BB339_1059 Depth=1
	s_or_b32 exec_lo, exec_lo, s13
.LBB339_1386:                           ;   in Loop: Header=BB339_1059 Depth=1
	s_delay_alu instid0(SALU_CYCLE_1)
	s_or_b32 exec_lo, exec_lo, s12
.LBB339_1387:                           ;   in Loop: Header=BB339_1059 Depth=1
	s_delay_alu instid0(SALU_CYCLE_1)
	s_or_b32 exec_lo, exec_lo, s9
	s_waitcnt vmcnt(0) lgkmcnt(0)
	v_fma_mixlo_f16 v12, v97, v99, 0
	v_fma_mixlo_f16 v0, v97, v101, 0
	;; [unrolled: 1-line block ×5, first 2 shown]
	v_lshlrev_b32_e32 v14, 16, v12
	v_fma_mixlo_f16 v100, v97, v102, 0
	v_fma_mixlo_f16 v101, v97, v112, 0
	;; [unrolled: 1-line block ×3, first 2 shown]
	v_lshlrev_b32_e32 v0, 16, v0
	v_and_b32_e32 v11, 0xffff, v11
	v_and_b32_e32 v97, 0xffff, v98
	v_lshlrev_b32_e32 v98, 16, v99
	v_and_b32_e32 v99, 0xffff, v100
	v_lshlrev_b32_e32 v100, 16, v101
	v_and_b32_e32 v101, 0xffff, v12
	v_or_b32_e32 v13, v0, v11
	v_or_b32_e32 v14, v14, v97
	;; [unrolled: 1-line block ×3, first 2 shown]
	s_delay_alu instid0(VALU_DEP_4)
	v_or_b32_e32 v11, v100, v101
	s_and_saveexec_b32 s9, vcc_lo
	s_cbranch_execz .LBB339_1389
; %bb.1388:                             ;   in Loop: Header=BB339_1059 Depth=1
	v_cmp_lt_i32_e64 s1, v15, v35
	v_lshrrev_b32_e32 v97, 16, v14
	v_lshrrev_b32_e32 v98, 16, v13
	;; [unrolled: 1-line block ×4, first 2 shown]
	v_cndmask_b32_e64 v14, 0, v14, s1
	v_cmp_lt_i32_e64 s1, v82, v39
	s_delay_alu instid0(VALU_DEP_1) | instskip(SKIP_1) | instid1(VALU_DEP_2)
	v_cndmask_b32_e64 v97, 0, v97, s1
	v_cmp_lt_i32_e64 s1, v81, v39
	v_perm_b32 v14, v97, v14, 0x5040100
	s_delay_alu instid0(VALU_DEP_2) | instskip(SKIP_1) | instid1(VALU_DEP_1)
	v_cndmask_b32_e64 v98, 0, v98, s1
	v_cmp_lt_i32_e64 s1, v70, v35
	v_cndmask_b32_e64 v13, 0, v13, s1
	v_cmp_lt_i32_e64 s1, v65, v39
	s_delay_alu instid0(VALU_DEP_2) | instskip(NEXT) | instid1(VALU_DEP_2)
	v_perm_b32 v13, v98, v13, 0x5040100
	v_cndmask_b32_e64 v99, 0, v99, s1
	v_cmp_lt_i32_e64 s1, v48, v35
	s_delay_alu instid0(VALU_DEP_1) | instskip(SKIP_1) | instid1(VALU_DEP_2)
	v_cndmask_b32_e64 v0, 0, v0, s1
	v_cmp_lt_i32_e64 s1, v23, v39
	v_perm_b32 v0, v99, v0, 0x5040100
	s_delay_alu instid0(VALU_DEP_2) | instskip(SKIP_1) | instid1(VALU_DEP_1)
	v_cndmask_b32_e64 v11, 0, v11, s1
	v_cmp_lt_i32_e64 s1, v17, v35
	v_cndmask_b32_e64 v12, 0, v12, s1
	s_delay_alu instid0(VALU_DEP_1)
	v_perm_b32 v11, v11, v12, 0x5040100
.LBB339_1389:                           ;   in Loop: Header=BB339_1059 Depth=1
	s_or_b32 exec_lo, exec_lo, s9
	;;#ASMSTART
	v_pk_mul_f16 v12, v80, v14;

	;;#ASMEND
	;;#ASMSTART
	v_pk_mul_f16 v13, v69, v13;

	;;#ASMEND
	;; [unrolled: 4-line block ×4, first 2 shown]
	;;#ASMSTART
	v_pk_add_f16 v12, v12, v13;

	;;#ASMEND
	;;#ASMSTART
	v_pk_add_f16 v0, v12, v0;

	;;#ASMEND
	;; [unrolled: 4-line block ×3, first 2 shown]
	v_dual_mov_b32 v100, 0 :: v_dual_and_b32 v11, 0xffff, v0
	v_lshrrev_b32_e32 v0, 16, v0
	;;#ASMSTART
	v_cvt_f32_f16 v97, v11;
	;;#ASMEND
	;;#ASMSTART
	v_cvt_f32_f16 v98, v0;
	;;#ASMEND
	flat_load_b64 v[11:12], v[9:10] offset:1280
	flat_load_b32 v99, v[26:27]
	s_mov_b32 s9, exec_lo
	s_waitcnt vmcnt(1) lgkmcnt(1)
	v_dual_mov_b32 v101, 0 :: v_dual_and_b32 v0, 0xff, v11
	s_delay_alu instid0(VALU_DEP_1)
	v_cmpx_ne_u16_e32 0, v0
	s_cbranch_execz .LBB339_1397
; %bb.1390:                             ;   in Loop: Header=BB339_1059 Depth=1
	v_bfrev_b32_e32 v100, 1
	s_mov_b32 s12, exec_lo
	v_cmpx_ne_u16_e32 0x80, v0
	s_cbranch_execz .LBB339_1396
; %bb.1391:                             ;   in Loop: Header=BB339_1059 Depth=1
	v_and_b32_e32 v13, 0x7f, v11
	v_mov_b32_e32 v100, 0x7fc02000
	s_mov_b32 s13, exec_lo
	s_delay_alu instid0(VALU_DEP_2)
	v_cmpx_ne_u32_e32 0x7f, v13
	s_cbranch_execz .LBB339_1395
; %bb.1392:                             ;   in Loop: Header=BB339_1059 Depth=1
	v_lshrrev_b32_e32 v0, 3, v13
	v_cmp_gt_u32_e64 s1, 8, v13
	v_dual_mov_b32 v14, v12 :: v_dual_mov_b32 v13, v11
	s_delay_alu instid0(VALU_DEP_2)
	s_and_saveexec_b32 s15, s1
; %bb.1393:                             ;   in Loop: Header=BB339_1059 Depth=1
	v_and_b32_e32 v0, 7, v11
	s_delay_alu instid0(VALU_DEP_1) | instskip(NEXT) | instid1(VALU_DEP_1)
	v_clz_i32_u32_e32 v0, v0
	v_min_u32_e32 v0, 32, v0
	s_delay_alu instid0(VALU_DEP_1) | instskip(SKIP_1) | instid1(VALU_DEP_2)
	v_subrev_nc_u32_e32 v13, 28, v0
	v_sub_nc_u32_e32 v0, 29, v0
	v_lshlrev_b64 v[13:14], v13, v[11:12]
; %bb.1394:                             ;   in Loop: Header=BB339_1059 Depth=1
	s_or_b32 exec_lo, exec_lo, s15
	v_lshlrev_b32_e32 v14, 8, v11
	s_delay_alu instid0(VALU_DEP_3) | instskip(NEXT) | instid1(VALU_DEP_3)
	v_lshl_add_u32 v0, v0, 10, 0x2000
	v_lshlrev_b32_e32 v13, 7, v13
	s_delay_alu instid0(VALU_DEP_2) | instskip(NEXT) | instid1(VALU_DEP_1)
	v_and_or_b32 v0, 0x8000, v14, v0
	v_and_or_b32 v0, 0x380, v13, v0
	s_delay_alu instid0(VALU_DEP_1)
	v_cvt_f32_f16_e32 v100, v0
.LBB339_1395:                           ;   in Loop: Header=BB339_1059 Depth=1
	s_or_b32 exec_lo, exec_lo, s13
.LBB339_1396:                           ;   in Loop: Header=BB339_1059 Depth=1
	s_delay_alu instid0(SALU_CYCLE_1)
	s_or_b32 exec_lo, exec_lo, s12
.LBB339_1397:                           ;   in Loop: Header=BB339_1059 Depth=1
	s_delay_alu instid0(SALU_CYCLE_1) | instskip(SKIP_2) | instid1(VALU_DEP_1)
	s_or_b32 exec_lo, exec_lo, s9
	v_lshrrev_b16 v0, 8, v11
	s_mov_b32 s9, exec_lo
	v_cmpx_ne_u16_e32 0, v0
	s_cbranch_execz .LBB339_1405
; %bb.1398:                             ;   in Loop: Header=BB339_1059 Depth=1
	v_bfrev_b32_e32 v101, 1
	s_mov_b32 s12, exec_lo
	v_cmpx_ne_u16_e32 0x80, v0
	s_cbranch_execz .LBB339_1404
; %bb.1399:                             ;   in Loop: Header=BB339_1059 Depth=1
	v_and_b32_e32 v102, 0xffff, v0
	v_mov_b32_e32 v101, 0x7fc02000
	s_mov_b32 s13, exec_lo
	s_delay_alu instid0(VALU_DEP_2) | instskip(NEXT) | instid1(VALU_DEP_1)
	v_and_b32_e32 v13, 0x7f, v102
	v_cmpx_ne_u32_e32 0x7f, v13
	s_cbranch_execz .LBB339_1403
; %bb.1400:                             ;   in Loop: Header=BB339_1059 Depth=1
	v_and_b32_e32 v0, 7, v102
	v_lshrrev_b32_e32 v101, 3, v13
	v_cmp_gt_u32_e64 s1, 8, v13
	s_delay_alu instid0(VALU_DEP_3) | instskip(NEXT) | instid1(VALU_DEP_2)
	v_dual_mov_b32 v14, v1 :: v_dual_mov_b32 v13, v0
	s_and_saveexec_b32 s15, s1
; %bb.1401:                             ;   in Loop: Header=BB339_1059 Depth=1
	v_clz_i32_u32_e32 v13, v0
	s_delay_alu instid0(VALU_DEP_1) | instskip(NEXT) | instid1(VALU_DEP_1)
	v_min_u32_e32 v101, 32, v13
	v_subrev_nc_u32_e32 v13, 28, v101
	v_sub_nc_u32_e32 v101, 29, v101
	s_delay_alu instid0(VALU_DEP_2) | instskip(NEXT) | instid1(VALU_DEP_1)
	v_lshlrev_b64 v[13:14], v13, v[0:1]
	v_and_b32_e32 v13, 7, v13
; %bb.1402:                             ;   in Loop: Header=BB339_1059 Depth=1
	s_or_b32 exec_lo, exec_lo, s15
	v_lshlrev_b32_e32 v0, 8, v102
	v_lshl_add_u32 v14, v101, 10, 0x2000
	s_delay_alu instid0(VALU_DEP_1) | instskip(NEXT) | instid1(VALU_DEP_1)
	v_and_or_b32 v0, 0x8000, v0, v14
	v_lshl_or_b32 v0, v13, 7, v0
	s_delay_alu instid0(VALU_DEP_1)
	v_cvt_f32_f16_e32 v101, v0
.LBB339_1403:                           ;   in Loop: Header=BB339_1059 Depth=1
	s_or_b32 exec_lo, exec_lo, s13
.LBB339_1404:                           ;   in Loop: Header=BB339_1059 Depth=1
	s_delay_alu instid0(SALU_CYCLE_1)
	s_or_b32 exec_lo, exec_lo, s12
.LBB339_1405:                           ;   in Loop: Header=BB339_1059 Depth=1
	s_delay_alu instid0(SALU_CYCLE_1) | instskip(SKIP_3) | instid1(VALU_DEP_2)
	s_or_b32 exec_lo, exec_lo, s9
	v_lshrrev_b32_e32 v112, 16, v11
	v_mov_b32_e32 v102, 0
	s_mov_b32 s9, exec_lo
	v_dual_mov_b32 v103, 0 :: v_dual_and_b32 v0, 0xff, v112
	s_delay_alu instid0(VALU_DEP_1)
	v_cmpx_ne_u16_e32 0, v0
	s_cbranch_execz .LBB339_1413
; %bb.1406:                             ;   in Loop: Header=BB339_1059 Depth=1
	v_bfrev_b32_e32 v102, 1
	s_mov_b32 s12, exec_lo
	v_cmpx_ne_u16_e32 0x80, v0
	s_cbranch_execz .LBB339_1412
; %bb.1407:                             ;   in Loop: Header=BB339_1059 Depth=1
	v_bfe_u32 v13, v11, 16, 7
	v_mov_b32_e32 v102, 0x7fc02000
	s_mov_b32 s13, exec_lo
	s_delay_alu instid0(VALU_DEP_2)
	v_cmpx_ne_u32_e32 0x7f, v13
	s_cbranch_execz .LBB339_1411
; %bb.1408:                             ;   in Loop: Header=BB339_1059 Depth=1
	v_and_b32_e32 v0, 7, v112
	v_lshrrev_b32_e32 v102, 3, v13
	v_cmp_gt_u32_e64 s1, 8, v13
	s_delay_alu instid0(VALU_DEP_3) | instskip(NEXT) | instid1(VALU_DEP_2)
	v_dual_mov_b32 v14, v1 :: v_dual_mov_b32 v13, v0
	s_and_saveexec_b32 s15, s1
; %bb.1409:                             ;   in Loop: Header=BB339_1059 Depth=1
	v_clz_i32_u32_e32 v13, v0
	s_delay_alu instid0(VALU_DEP_1) | instskip(NEXT) | instid1(VALU_DEP_1)
	v_min_u32_e32 v102, 32, v13
	v_subrev_nc_u32_e32 v13, 28, v102
	v_sub_nc_u32_e32 v102, 29, v102
	s_delay_alu instid0(VALU_DEP_2) | instskip(NEXT) | instid1(VALU_DEP_1)
	v_lshlrev_b64 v[13:14], v13, v[0:1]
	v_and_b32_e32 v13, 7, v13
; %bb.1410:                             ;   in Loop: Header=BB339_1059 Depth=1
	s_or_b32 exec_lo, exec_lo, s15
	v_lshlrev_b32_e32 v0, 8, v112
	v_lshl_add_u32 v14, v102, 10, 0x2000
	s_delay_alu instid0(VALU_DEP_1) | instskip(NEXT) | instid1(VALU_DEP_1)
	v_and_or_b32 v0, 0x8000, v0, v14
	v_lshl_or_b32 v0, v13, 7, v0
	s_delay_alu instid0(VALU_DEP_1)
	v_cvt_f32_f16_e32 v102, v0
.LBB339_1411:                           ;   in Loop: Header=BB339_1059 Depth=1
	s_or_b32 exec_lo, exec_lo, s13
.LBB339_1412:                           ;   in Loop: Header=BB339_1059 Depth=1
	s_delay_alu instid0(SALU_CYCLE_1)
	s_or_b32 exec_lo, exec_lo, s12
.LBB339_1413:                           ;   in Loop: Header=BB339_1059 Depth=1
	s_delay_alu instid0(SALU_CYCLE_1) | instskip(NEXT) | instid1(SALU_CYCLE_1)
	s_or_b32 exec_lo, exec_lo, s9
	s_mov_b32 s9, exec_lo
	v_cmpx_lt_u32_e32 0xffffff, v11
	s_cbranch_execz .LBB339_1421
; %bb.1414:                             ;   in Loop: Header=BB339_1059 Depth=1
	v_lshrrev_b32_e32 v112, 24, v11
	v_bfrev_b32_e32 v103, 1
	s_mov_b32 s12, exec_lo
	s_delay_alu instid0(VALU_DEP_2)
	v_cmpx_ne_u32_e32 0x80, v112
	s_cbranch_execz .LBB339_1420
; %bb.1415:                             ;   in Loop: Header=BB339_1059 Depth=1
	v_and_b32_e32 v13, 0x7f, v112
	v_mov_b32_e32 v103, 0x7fc02000
	s_mov_b32 s13, exec_lo
	s_delay_alu instid0(VALU_DEP_2)
	v_cmpx_ne_u32_e32 0x7f, v13
	s_cbranch_execz .LBB339_1419
; %bb.1416:                             ;   in Loop: Header=BB339_1059 Depth=1
	v_and_b32_e32 v0, 7, v112
	v_lshrrev_b32_e32 v103, 3, v13
	v_cmp_gt_u32_e64 s1, 8, v13
	s_delay_alu instid0(VALU_DEP_3) | instskip(NEXT) | instid1(VALU_DEP_2)
	v_dual_mov_b32 v14, v1 :: v_dual_mov_b32 v13, v0
	s_and_saveexec_b32 s15, s1
; %bb.1417:                             ;   in Loop: Header=BB339_1059 Depth=1
	v_clz_i32_u32_e32 v13, v0
	s_delay_alu instid0(VALU_DEP_1) | instskip(NEXT) | instid1(VALU_DEP_1)
	v_min_u32_e32 v103, 32, v13
	v_subrev_nc_u32_e32 v13, 28, v103
	v_sub_nc_u32_e32 v103, 29, v103
	s_delay_alu instid0(VALU_DEP_2) | instskip(NEXT) | instid1(VALU_DEP_1)
	v_lshlrev_b64 v[13:14], v13, v[0:1]
	v_and_b32_e32 v13, 7, v13
; %bb.1418:                             ;   in Loop: Header=BB339_1059 Depth=1
	s_or_b32 exec_lo, exec_lo, s15
	v_lshlrev_b32_e32 v0, 8, v112
	v_lshl_add_u32 v14, v103, 10, 0x2000
	s_delay_alu instid0(VALU_DEP_1) | instskip(NEXT) | instid1(VALU_DEP_1)
	v_and_or_b32 v0, 0x8000, v0, v14
	v_lshl_or_b32 v0, v13, 7, v0
	s_delay_alu instid0(VALU_DEP_1)
	v_cvt_f32_f16_e32 v103, v0
.LBB339_1419:                           ;   in Loop: Header=BB339_1059 Depth=1
	s_or_b32 exec_lo, exec_lo, s13
.LBB339_1420:                           ;   in Loop: Header=BB339_1059 Depth=1
	s_delay_alu instid0(SALU_CYCLE_1)
	s_or_b32 exec_lo, exec_lo, s12
.LBB339_1421:                           ;   in Loop: Header=BB339_1059 Depth=1
	s_delay_alu instid0(SALU_CYCLE_1) | instskip(SKIP_3) | instid1(VALU_DEP_2)
	s_or_b32 exec_lo, exec_lo, s9
	v_dual_mov_b32 v0, v12 :: v_dual_and_b32 v13, 0xff, v12
	v_dual_mov_b32 v113, 0 :: v_dual_mov_b32 v112, 0
	s_mov_b32 s9, exec_lo
	v_cmpx_ne_u16_e32 0, v13
	s_cbranch_execz .LBB339_1429
; %bb.1422:                             ;   in Loop: Header=BB339_1059 Depth=1
	v_bfrev_b32_e32 v112, 1
	s_mov_b32 s12, exec_lo
	v_cmpx_ne_u16_e32 0x80, v13
	s_cbranch_execz .LBB339_1428
; %bb.1423:                             ;   in Loop: Header=BB339_1059 Depth=1
	v_and_b32_e32 v13, 0x7f, v12
	v_mov_b32_e32 v112, 0x7fc02000
	s_mov_b32 s13, exec_lo
	s_delay_alu instid0(VALU_DEP_2)
	v_cmpx_ne_u32_e32 0x7f, v13
	s_cbranch_execz .LBB339_1427
; %bb.1424:                             ;   in Loop: Header=BB339_1059 Depth=1
	v_lshrrev_b32_e32 v112, 3, v13
	v_cmp_gt_u32_e64 s1, 8, v13
	v_dual_mov_b32 v14, v1 :: v_dual_mov_b32 v13, v0
	s_delay_alu instid0(VALU_DEP_2)
	s_and_saveexec_b32 s15, s1
; %bb.1425:                             ;   in Loop: Header=BB339_1059 Depth=1
	v_and_b32_e32 v13, 7, v12
	s_delay_alu instid0(VALU_DEP_1) | instskip(NEXT) | instid1(VALU_DEP_1)
	v_clz_i32_u32_e32 v13, v13
	v_min_u32_e32 v112, 32, v13
	s_delay_alu instid0(VALU_DEP_1) | instskip(SKIP_1) | instid1(VALU_DEP_2)
	v_subrev_nc_u32_e32 v13, 28, v112
	v_sub_nc_u32_e32 v112, 29, v112
	v_lshlrev_b64 v[13:14], v13, v[0:1]
; %bb.1426:                             ;   in Loop: Header=BB339_1059 Depth=1
	s_or_b32 exec_lo, exec_lo, s15
	v_lshlrev_b32_e32 v14, 8, v12
	s_delay_alu instid0(VALU_DEP_3) | instskip(NEXT) | instid1(VALU_DEP_3)
	v_lshl_add_u32 v112, v112, 10, 0x2000
	v_lshlrev_b32_e32 v13, 7, v13
	s_delay_alu instid0(VALU_DEP_2) | instskip(NEXT) | instid1(VALU_DEP_1)
	v_and_or_b32 v14, 0x8000, v14, v112
	v_and_or_b32 v13, 0x380, v13, v14
	s_delay_alu instid0(VALU_DEP_1)
	v_cvt_f32_f16_e32 v112, v13
.LBB339_1427:                           ;   in Loop: Header=BB339_1059 Depth=1
	s_or_b32 exec_lo, exec_lo, s13
.LBB339_1428:                           ;   in Loop: Header=BB339_1059 Depth=1
	s_delay_alu instid0(SALU_CYCLE_1)
	s_or_b32 exec_lo, exec_lo, s12
.LBB339_1429:                           ;   in Loop: Header=BB339_1059 Depth=1
	s_delay_alu instid0(SALU_CYCLE_1) | instskip(SKIP_2) | instid1(VALU_DEP_1)
	s_or_b32 exec_lo, exec_lo, s9
	v_lshrrev_b16 v0, 8, v0
	s_mov_b32 s9, exec_lo
	v_cmpx_ne_u16_e32 0, v0
	s_cbranch_execz .LBB339_1437
; %bb.1430:                             ;   in Loop: Header=BB339_1059 Depth=1
	v_bfrev_b32_e32 v113, 1
	s_mov_b32 s12, exec_lo
	v_cmpx_ne_u16_e32 0x80, v0
	s_cbranch_execz .LBB339_1436
; %bb.1431:                             ;   in Loop: Header=BB339_1059 Depth=1
	v_and_b32_e32 v114, 0xffff, v0
	v_mov_b32_e32 v113, 0x7fc02000
	s_mov_b32 s13, exec_lo
	s_delay_alu instid0(VALU_DEP_2) | instskip(NEXT) | instid1(VALU_DEP_1)
	v_and_b32_e32 v13, 0x7f, v114
	v_cmpx_ne_u32_e32 0x7f, v13
	s_cbranch_execz .LBB339_1435
; %bb.1432:                             ;   in Loop: Header=BB339_1059 Depth=1
	v_and_b32_e32 v0, 7, v114
	v_lshrrev_b32_e32 v113, 3, v13
	v_cmp_gt_u32_e64 s1, 8, v13
	s_delay_alu instid0(VALU_DEP_3) | instskip(NEXT) | instid1(VALU_DEP_2)
	v_dual_mov_b32 v14, v1 :: v_dual_mov_b32 v13, v0
	s_and_saveexec_b32 s15, s1
; %bb.1433:                             ;   in Loop: Header=BB339_1059 Depth=1
	v_clz_i32_u32_e32 v13, v0
	s_delay_alu instid0(VALU_DEP_1) | instskip(NEXT) | instid1(VALU_DEP_1)
	v_min_u32_e32 v113, 32, v13
	v_subrev_nc_u32_e32 v13, 28, v113
	v_sub_nc_u32_e32 v113, 29, v113
	s_delay_alu instid0(VALU_DEP_2) | instskip(NEXT) | instid1(VALU_DEP_1)
	v_lshlrev_b64 v[13:14], v13, v[0:1]
	v_and_b32_e32 v13, 7, v13
; %bb.1434:                             ;   in Loop: Header=BB339_1059 Depth=1
	s_or_b32 exec_lo, exec_lo, s15
	v_lshlrev_b32_e32 v0, 8, v114
	v_lshl_add_u32 v14, v113, 10, 0x2000
	s_delay_alu instid0(VALU_DEP_1) | instskip(NEXT) | instid1(VALU_DEP_1)
	v_and_or_b32 v0, 0x8000, v0, v14
	v_lshl_or_b32 v0, v13, 7, v0
	s_delay_alu instid0(VALU_DEP_1)
	v_cvt_f32_f16_e32 v113, v0
.LBB339_1435:                           ;   in Loop: Header=BB339_1059 Depth=1
	s_or_b32 exec_lo, exec_lo, s13
.LBB339_1436:                           ;   in Loop: Header=BB339_1059 Depth=1
	s_delay_alu instid0(SALU_CYCLE_1)
	s_or_b32 exec_lo, exec_lo, s12
.LBB339_1437:                           ;   in Loop: Header=BB339_1059 Depth=1
	s_delay_alu instid0(SALU_CYCLE_1) | instskip(SKIP_3) | instid1(VALU_DEP_2)
	s_or_b32 exec_lo, exec_lo, s9
	v_lshrrev_b32_e32 v115, 16, v12
	v_mov_b32_e32 v114, 0
	s_mov_b32 s9, exec_lo
	v_dual_mov_b32 v13, 0 :: v_dual_and_b32 v0, 0xff, v115
	s_delay_alu instid0(VALU_DEP_1)
	v_cmpx_ne_u16_e32 0, v0
	s_cbranch_execz .LBB339_1445
; %bb.1438:                             ;   in Loop: Header=BB339_1059 Depth=1
	v_bfrev_b32_e32 v13, 1
	s_mov_b32 s12, exec_lo
	v_cmpx_ne_u16_e32 0x80, v0
	s_cbranch_execz .LBB339_1444
; %bb.1439:                             ;   in Loop: Header=BB339_1059 Depth=1
	v_bfe_u32 v14, v12, 16, 7
	v_mov_b32_e32 v13, 0x7fc02000
	s_mov_b32 s13, exec_lo
	s_delay_alu instid0(VALU_DEP_2)
	v_cmpx_ne_u32_e32 0x7f, v14
	s_cbranch_execz .LBB339_1443
; %bb.1440:                             ;   in Loop: Header=BB339_1059 Depth=1
	v_and_b32_e32 v0, 7, v115
	v_lshrrev_b32_e32 v116, 3, v14
	v_cmp_gt_u32_e64 s1, 8, v14
	s_delay_alu instid0(VALU_DEP_3) | instskip(NEXT) | instid1(VALU_DEP_2)
	v_dual_mov_b32 v14, v1 :: v_dual_mov_b32 v13, v0
	s_and_saveexec_b32 s15, s1
; %bb.1441:                             ;   in Loop: Header=BB339_1059 Depth=1
	v_clz_i32_u32_e32 v13, v0
	s_delay_alu instid0(VALU_DEP_1) | instskip(NEXT) | instid1(VALU_DEP_1)
	v_min_u32_e32 v116, 32, v13
	v_subrev_nc_u32_e32 v13, 28, v116
	v_sub_nc_u32_e32 v116, 29, v116
	s_delay_alu instid0(VALU_DEP_2) | instskip(NEXT) | instid1(VALU_DEP_1)
	v_lshlrev_b64 v[13:14], v13, v[0:1]
	v_and_b32_e32 v13, 7, v13
; %bb.1442:                             ;   in Loop: Header=BB339_1059 Depth=1
	s_or_b32 exec_lo, exec_lo, s15
	v_lshlrev_b32_e32 v0, 8, v115
	v_lshl_add_u32 v14, v116, 10, 0x2000
	s_delay_alu instid0(VALU_DEP_1) | instskip(NEXT) | instid1(VALU_DEP_1)
	v_and_or_b32 v0, 0x8000, v0, v14
	v_lshl_or_b32 v0, v13, 7, v0
	s_delay_alu instid0(VALU_DEP_1)
	v_cvt_f32_f16_e32 v13, v0
.LBB339_1443:                           ;   in Loop: Header=BB339_1059 Depth=1
	s_or_b32 exec_lo, exec_lo, s13
.LBB339_1444:                           ;   in Loop: Header=BB339_1059 Depth=1
	s_delay_alu instid0(SALU_CYCLE_1)
	s_or_b32 exec_lo, exec_lo, s12
.LBB339_1445:                           ;   in Loop: Header=BB339_1059 Depth=1
	s_delay_alu instid0(SALU_CYCLE_1) | instskip(NEXT) | instid1(SALU_CYCLE_1)
	s_or_b32 exec_lo, exec_lo, s9
	s_mov_b32 s9, exec_lo
	v_cmpx_lt_u64_e64 s[4:5], v[11:12]
	s_cbranch_execz .LBB339_1453
; %bb.1446:                             ;   in Loop: Header=BB339_1059 Depth=1
	v_lshrrev_b32_e32 v14, 24, v12
	v_bfrev_b32_e32 v114, 1
	s_mov_b32 s12, exec_lo
	s_delay_alu instid0(VALU_DEP_2)
	v_cmpx_ne_u32_e32 0x80, v14
	s_cbranch_execz .LBB339_1452
; %bb.1447:                             ;   in Loop: Header=BB339_1059 Depth=1
	v_and_b32_e32 v11, 0x7f, v14
	v_mov_b32_e32 v114, 0x7fc02000
	s_mov_b32 s13, exec_lo
	s_delay_alu instid0(VALU_DEP_2)
	v_cmpx_ne_u32_e32 0x7f, v11
	s_cbranch_execz .LBB339_1451
; %bb.1448:                             ;   in Loop: Header=BB339_1059 Depth=1
	v_and_b32_e32 v0, 7, v14
	v_lshrrev_b32_e32 v114, 3, v11
	v_cmp_gt_u32_e64 s1, 8, v11
	s_delay_alu instid0(VALU_DEP_3) | instskip(NEXT) | instid1(VALU_DEP_2)
	v_dual_mov_b32 v12, v1 :: v_dual_mov_b32 v11, v0
	s_and_saveexec_b32 s15, s1
; %bb.1449:                             ;   in Loop: Header=BB339_1059 Depth=1
	v_clz_i32_u32_e32 v11, v0
	s_delay_alu instid0(VALU_DEP_1) | instskip(NEXT) | instid1(VALU_DEP_1)
	v_min_u32_e32 v114, 32, v11
	v_subrev_nc_u32_e32 v11, 28, v114
	v_sub_nc_u32_e32 v114, 29, v114
	s_delay_alu instid0(VALU_DEP_2) | instskip(NEXT) | instid1(VALU_DEP_1)
	v_lshlrev_b64 v[11:12], v11, v[0:1]
	v_and_b32_e32 v11, 7, v11
; %bb.1450:                             ;   in Loop: Header=BB339_1059 Depth=1
	s_or_b32 exec_lo, exec_lo, s15
	v_lshlrev_b32_e32 v0, 8, v14
	v_lshl_add_u32 v12, v114, 10, 0x2000
	s_delay_alu instid0(VALU_DEP_1) | instskip(NEXT) | instid1(VALU_DEP_1)
	v_and_or_b32 v0, 0x8000, v0, v12
	v_lshl_or_b32 v0, v11, 7, v0
	s_delay_alu instid0(VALU_DEP_1)
	v_cvt_f32_f16_e32 v114, v0
.LBB339_1451:                           ;   in Loop: Header=BB339_1059 Depth=1
	s_or_b32 exec_lo, exec_lo, s13
.LBB339_1452:                           ;   in Loop: Header=BB339_1059 Depth=1
	s_delay_alu instid0(SALU_CYCLE_1)
	s_or_b32 exec_lo, exec_lo, s12
.LBB339_1453:                           ;   in Loop: Header=BB339_1059 Depth=1
	s_delay_alu instid0(SALU_CYCLE_1)
	s_or_b32 exec_lo, exec_lo, s9
	s_waitcnt vmcnt(0) lgkmcnt(0)
	v_fma_mixlo_f16 v12, v99, v101, 0
	v_fma_mixlo_f16 v0, v99, v103, 0
	;; [unrolled: 1-line block ×5, first 2 shown]
	v_lshlrev_b32_e32 v14, 16, v12
	v_fma_mixlo_f16 v102, v99, v112, 0
	v_fma_mixlo_f16 v103, v99, v114, 0
	v_fma_mixlo_f16 v12, v99, v13, 0
	v_lshlrev_b32_e32 v0, 16, v0
	v_and_b32_e32 v11, 0xffff, v11
	v_and_b32_e32 v99, 0xffff, v100
	v_lshlrev_b32_e32 v100, 16, v101
	v_and_b32_e32 v101, 0xffff, v102
	v_lshlrev_b32_e32 v102, 16, v103
	v_and_b32_e32 v103, 0xffff, v12
	v_or_b32_e32 v13, v0, v11
	v_or_b32_e32 v14, v14, v99
	v_or_b32_e32 v0, v100, v101
	s_delay_alu instid0(VALU_DEP_4)
	v_or_b32_e32 v11, v102, v103
	s_and_saveexec_b32 s9, vcc_lo
	s_cbranch_execz .LBB339_1455
; %bb.1454:                             ;   in Loop: Header=BB339_1059 Depth=1
	v_cmp_lt_i32_e64 s1, v15, v35
	v_lshrrev_b32_e32 v99, 16, v14
	v_lshrrev_b32_e32 v100, 16, v13
	;; [unrolled: 1-line block ×4, first 2 shown]
	v_cndmask_b32_e64 v14, 0, v14, s1
	v_cmp_lt_i32_e64 s1, v82, v39
	s_delay_alu instid0(VALU_DEP_1) | instskip(SKIP_1) | instid1(VALU_DEP_2)
	v_cndmask_b32_e64 v99, 0, v99, s1
	v_cmp_lt_i32_e64 s1, v81, v39
	v_perm_b32 v14, v99, v14, 0x5040100
	s_delay_alu instid0(VALU_DEP_2) | instskip(SKIP_1) | instid1(VALU_DEP_1)
	v_cndmask_b32_e64 v100, 0, v100, s1
	v_cmp_lt_i32_e64 s1, v70, v35
	v_cndmask_b32_e64 v13, 0, v13, s1
	v_cmp_lt_i32_e64 s1, v65, v39
	s_delay_alu instid0(VALU_DEP_2) | instskip(NEXT) | instid1(VALU_DEP_2)
	v_perm_b32 v13, v100, v13, 0x5040100
	v_cndmask_b32_e64 v101, 0, v101, s1
	v_cmp_lt_i32_e64 s1, v48, v35
	s_delay_alu instid0(VALU_DEP_1) | instskip(SKIP_1) | instid1(VALU_DEP_2)
	v_cndmask_b32_e64 v0, 0, v0, s1
	v_cmp_lt_i32_e64 s1, v23, v39
	v_perm_b32 v0, v101, v0, 0x5040100
	s_delay_alu instid0(VALU_DEP_2) | instskip(SKIP_1) | instid1(VALU_DEP_1)
	v_cndmask_b32_e64 v11, 0, v11, s1
	v_cmp_lt_i32_e64 s1, v17, v35
	v_cndmask_b32_e64 v12, 0, v12, s1
	s_delay_alu instid0(VALU_DEP_1)
	v_perm_b32 v11, v11, v12, 0x5040100
.LBB339_1455:                           ;   in Loop: Header=BB339_1059 Depth=1
	s_or_b32 exec_lo, exec_lo, s9
	;;#ASMSTART
	v_pk_mul_f16 v12, v80, v14;

	;;#ASMEND
	;;#ASMSTART
	v_pk_mul_f16 v13, v69, v13;

	;;#ASMEND
	;; [unrolled: 4-line block ×4, first 2 shown]
	;;#ASMSTART
	v_pk_add_f16 v12, v12, v13;

	;;#ASMEND
	;;#ASMSTART
	v_pk_add_f16 v0, v12, v0;

	;;#ASMEND
	;; [unrolled: 4-line block ×3, first 2 shown]
	v_dual_mov_b32 v102, 0 :: v_dual_and_b32 v11, 0xffff, v0
	v_lshrrev_b32_e32 v0, 16, v0
	;;#ASMSTART
	v_cvt_f32_f16 v99, v11;
	;;#ASMEND
	;;#ASMSTART
	v_cvt_f32_f16 v100, v0;
	;;#ASMEND
	flat_load_b64 v[11:12], v[9:10] offset:1536
	flat_load_b32 v101, v[26:27]
	s_mov_b32 s9, exec_lo
	s_waitcnt vmcnt(1) lgkmcnt(1)
	v_dual_mov_b32 v103, 0 :: v_dual_and_b32 v0, 0xff, v11
	s_delay_alu instid0(VALU_DEP_1)
	v_cmpx_ne_u16_e32 0, v0
	s_cbranch_execz .LBB339_1463
; %bb.1456:                             ;   in Loop: Header=BB339_1059 Depth=1
	v_bfrev_b32_e32 v102, 1
	s_mov_b32 s12, exec_lo
	v_cmpx_ne_u16_e32 0x80, v0
	s_cbranch_execz .LBB339_1462
; %bb.1457:                             ;   in Loop: Header=BB339_1059 Depth=1
	v_and_b32_e32 v13, 0x7f, v11
	v_mov_b32_e32 v102, 0x7fc02000
	s_mov_b32 s13, exec_lo
	s_delay_alu instid0(VALU_DEP_2)
	v_cmpx_ne_u32_e32 0x7f, v13
	s_cbranch_execz .LBB339_1461
; %bb.1458:                             ;   in Loop: Header=BB339_1059 Depth=1
	v_lshrrev_b32_e32 v0, 3, v13
	v_cmp_gt_u32_e64 s1, 8, v13
	v_dual_mov_b32 v14, v12 :: v_dual_mov_b32 v13, v11
	s_delay_alu instid0(VALU_DEP_2)
	s_and_saveexec_b32 s15, s1
; %bb.1459:                             ;   in Loop: Header=BB339_1059 Depth=1
	v_and_b32_e32 v0, 7, v11
	s_delay_alu instid0(VALU_DEP_1) | instskip(NEXT) | instid1(VALU_DEP_1)
	v_clz_i32_u32_e32 v0, v0
	v_min_u32_e32 v0, 32, v0
	s_delay_alu instid0(VALU_DEP_1) | instskip(SKIP_1) | instid1(VALU_DEP_2)
	v_subrev_nc_u32_e32 v13, 28, v0
	v_sub_nc_u32_e32 v0, 29, v0
	v_lshlrev_b64 v[13:14], v13, v[11:12]
; %bb.1460:                             ;   in Loop: Header=BB339_1059 Depth=1
	s_or_b32 exec_lo, exec_lo, s15
	v_lshlrev_b32_e32 v14, 8, v11
	s_delay_alu instid0(VALU_DEP_3) | instskip(NEXT) | instid1(VALU_DEP_3)
	v_lshl_add_u32 v0, v0, 10, 0x2000
	v_lshlrev_b32_e32 v13, 7, v13
	s_delay_alu instid0(VALU_DEP_2) | instskip(NEXT) | instid1(VALU_DEP_1)
	v_and_or_b32 v0, 0x8000, v14, v0
	v_and_or_b32 v0, 0x380, v13, v0
	s_delay_alu instid0(VALU_DEP_1)
	v_cvt_f32_f16_e32 v102, v0
.LBB339_1461:                           ;   in Loop: Header=BB339_1059 Depth=1
	s_or_b32 exec_lo, exec_lo, s13
.LBB339_1462:                           ;   in Loop: Header=BB339_1059 Depth=1
	s_delay_alu instid0(SALU_CYCLE_1)
	s_or_b32 exec_lo, exec_lo, s12
.LBB339_1463:                           ;   in Loop: Header=BB339_1059 Depth=1
	s_delay_alu instid0(SALU_CYCLE_1) | instskip(SKIP_2) | instid1(VALU_DEP_1)
	s_or_b32 exec_lo, exec_lo, s9
	v_lshrrev_b16 v0, 8, v11
	s_mov_b32 s9, exec_lo
	v_cmpx_ne_u16_e32 0, v0
	s_cbranch_execz .LBB339_1471
; %bb.1464:                             ;   in Loop: Header=BB339_1059 Depth=1
	v_bfrev_b32_e32 v103, 1
	s_mov_b32 s12, exec_lo
	v_cmpx_ne_u16_e32 0x80, v0
	s_cbranch_execz .LBB339_1470
; %bb.1465:                             ;   in Loop: Header=BB339_1059 Depth=1
	v_and_b32_e32 v112, 0xffff, v0
	v_mov_b32_e32 v103, 0x7fc02000
	s_mov_b32 s13, exec_lo
	s_delay_alu instid0(VALU_DEP_2) | instskip(NEXT) | instid1(VALU_DEP_1)
	v_and_b32_e32 v13, 0x7f, v112
	v_cmpx_ne_u32_e32 0x7f, v13
	s_cbranch_execz .LBB339_1469
; %bb.1466:                             ;   in Loop: Header=BB339_1059 Depth=1
	v_and_b32_e32 v0, 7, v112
	v_lshrrev_b32_e32 v103, 3, v13
	v_cmp_gt_u32_e64 s1, 8, v13
	s_delay_alu instid0(VALU_DEP_3) | instskip(NEXT) | instid1(VALU_DEP_2)
	v_dual_mov_b32 v14, v1 :: v_dual_mov_b32 v13, v0
	s_and_saveexec_b32 s15, s1
; %bb.1467:                             ;   in Loop: Header=BB339_1059 Depth=1
	v_clz_i32_u32_e32 v13, v0
	s_delay_alu instid0(VALU_DEP_1) | instskip(NEXT) | instid1(VALU_DEP_1)
	v_min_u32_e32 v103, 32, v13
	v_subrev_nc_u32_e32 v13, 28, v103
	v_sub_nc_u32_e32 v103, 29, v103
	s_delay_alu instid0(VALU_DEP_2) | instskip(NEXT) | instid1(VALU_DEP_1)
	v_lshlrev_b64 v[13:14], v13, v[0:1]
	v_and_b32_e32 v13, 7, v13
; %bb.1468:                             ;   in Loop: Header=BB339_1059 Depth=1
	s_or_b32 exec_lo, exec_lo, s15
	v_lshlrev_b32_e32 v0, 8, v112
	v_lshl_add_u32 v14, v103, 10, 0x2000
	s_delay_alu instid0(VALU_DEP_1) | instskip(NEXT) | instid1(VALU_DEP_1)
	v_and_or_b32 v0, 0x8000, v0, v14
	v_lshl_or_b32 v0, v13, 7, v0
	s_delay_alu instid0(VALU_DEP_1)
	v_cvt_f32_f16_e32 v103, v0
.LBB339_1469:                           ;   in Loop: Header=BB339_1059 Depth=1
	s_or_b32 exec_lo, exec_lo, s13
.LBB339_1470:                           ;   in Loop: Header=BB339_1059 Depth=1
	s_delay_alu instid0(SALU_CYCLE_1)
	s_or_b32 exec_lo, exec_lo, s12
.LBB339_1471:                           ;   in Loop: Header=BB339_1059 Depth=1
	s_delay_alu instid0(SALU_CYCLE_1) | instskip(SKIP_3) | instid1(VALU_DEP_2)
	s_or_b32 exec_lo, exec_lo, s9
	v_lshrrev_b32_e32 v114, 16, v11
	v_mov_b32_e32 v112, 0
	s_mov_b32 s9, exec_lo
	v_dual_mov_b32 v113, 0 :: v_dual_and_b32 v0, 0xff, v114
	s_delay_alu instid0(VALU_DEP_1)
	v_cmpx_ne_u16_e32 0, v0
	s_cbranch_execz .LBB339_1479
; %bb.1472:                             ;   in Loop: Header=BB339_1059 Depth=1
	v_bfrev_b32_e32 v112, 1
	s_mov_b32 s12, exec_lo
	v_cmpx_ne_u16_e32 0x80, v0
	s_cbranch_execz .LBB339_1478
; %bb.1473:                             ;   in Loop: Header=BB339_1059 Depth=1
	v_bfe_u32 v13, v11, 16, 7
	v_mov_b32_e32 v112, 0x7fc02000
	s_mov_b32 s13, exec_lo
	s_delay_alu instid0(VALU_DEP_2)
	v_cmpx_ne_u32_e32 0x7f, v13
	s_cbranch_execz .LBB339_1477
; %bb.1474:                             ;   in Loop: Header=BB339_1059 Depth=1
	v_and_b32_e32 v0, 7, v114
	v_lshrrev_b32_e32 v112, 3, v13
	v_cmp_gt_u32_e64 s1, 8, v13
	s_delay_alu instid0(VALU_DEP_3) | instskip(NEXT) | instid1(VALU_DEP_2)
	v_dual_mov_b32 v14, v1 :: v_dual_mov_b32 v13, v0
	s_and_saveexec_b32 s15, s1
; %bb.1475:                             ;   in Loop: Header=BB339_1059 Depth=1
	v_clz_i32_u32_e32 v13, v0
	s_delay_alu instid0(VALU_DEP_1) | instskip(NEXT) | instid1(VALU_DEP_1)
	v_min_u32_e32 v112, 32, v13
	v_subrev_nc_u32_e32 v13, 28, v112
	v_sub_nc_u32_e32 v112, 29, v112
	s_delay_alu instid0(VALU_DEP_2) | instskip(NEXT) | instid1(VALU_DEP_1)
	v_lshlrev_b64 v[13:14], v13, v[0:1]
	v_and_b32_e32 v13, 7, v13
; %bb.1476:                             ;   in Loop: Header=BB339_1059 Depth=1
	s_or_b32 exec_lo, exec_lo, s15
	v_lshlrev_b32_e32 v0, 8, v114
	v_lshl_add_u32 v14, v112, 10, 0x2000
	s_delay_alu instid0(VALU_DEP_1) | instskip(NEXT) | instid1(VALU_DEP_1)
	v_and_or_b32 v0, 0x8000, v0, v14
	v_lshl_or_b32 v0, v13, 7, v0
	s_delay_alu instid0(VALU_DEP_1)
	v_cvt_f32_f16_e32 v112, v0
.LBB339_1477:                           ;   in Loop: Header=BB339_1059 Depth=1
	s_or_b32 exec_lo, exec_lo, s13
.LBB339_1478:                           ;   in Loop: Header=BB339_1059 Depth=1
	s_delay_alu instid0(SALU_CYCLE_1)
	s_or_b32 exec_lo, exec_lo, s12
.LBB339_1479:                           ;   in Loop: Header=BB339_1059 Depth=1
	s_delay_alu instid0(SALU_CYCLE_1) | instskip(NEXT) | instid1(SALU_CYCLE_1)
	s_or_b32 exec_lo, exec_lo, s9
	s_mov_b32 s9, exec_lo
	v_cmpx_lt_u32_e32 0xffffff, v11
	s_cbranch_execz .LBB339_1487
; %bb.1480:                             ;   in Loop: Header=BB339_1059 Depth=1
	v_lshrrev_b32_e32 v114, 24, v11
	v_bfrev_b32_e32 v113, 1
	s_mov_b32 s12, exec_lo
	s_delay_alu instid0(VALU_DEP_2)
	v_cmpx_ne_u32_e32 0x80, v114
	s_cbranch_execz .LBB339_1486
; %bb.1481:                             ;   in Loop: Header=BB339_1059 Depth=1
	v_and_b32_e32 v13, 0x7f, v114
	v_mov_b32_e32 v113, 0x7fc02000
	s_mov_b32 s13, exec_lo
	s_delay_alu instid0(VALU_DEP_2)
	v_cmpx_ne_u32_e32 0x7f, v13
	s_cbranch_execz .LBB339_1485
; %bb.1482:                             ;   in Loop: Header=BB339_1059 Depth=1
	v_and_b32_e32 v0, 7, v114
	v_lshrrev_b32_e32 v113, 3, v13
	v_cmp_gt_u32_e64 s1, 8, v13
	s_delay_alu instid0(VALU_DEP_3) | instskip(NEXT) | instid1(VALU_DEP_2)
	v_dual_mov_b32 v14, v1 :: v_dual_mov_b32 v13, v0
	s_and_saveexec_b32 s15, s1
; %bb.1483:                             ;   in Loop: Header=BB339_1059 Depth=1
	v_clz_i32_u32_e32 v13, v0
	s_delay_alu instid0(VALU_DEP_1) | instskip(NEXT) | instid1(VALU_DEP_1)
	v_min_u32_e32 v113, 32, v13
	v_subrev_nc_u32_e32 v13, 28, v113
	v_sub_nc_u32_e32 v113, 29, v113
	s_delay_alu instid0(VALU_DEP_2) | instskip(NEXT) | instid1(VALU_DEP_1)
	v_lshlrev_b64 v[13:14], v13, v[0:1]
	v_and_b32_e32 v13, 7, v13
; %bb.1484:                             ;   in Loop: Header=BB339_1059 Depth=1
	s_or_b32 exec_lo, exec_lo, s15
	v_lshlrev_b32_e32 v0, 8, v114
	v_lshl_add_u32 v14, v113, 10, 0x2000
	s_delay_alu instid0(VALU_DEP_1) | instskip(NEXT) | instid1(VALU_DEP_1)
	v_and_or_b32 v0, 0x8000, v0, v14
	v_lshl_or_b32 v0, v13, 7, v0
	s_delay_alu instid0(VALU_DEP_1)
	v_cvt_f32_f16_e32 v113, v0
.LBB339_1485:                           ;   in Loop: Header=BB339_1059 Depth=1
	s_or_b32 exec_lo, exec_lo, s13
.LBB339_1486:                           ;   in Loop: Header=BB339_1059 Depth=1
	s_delay_alu instid0(SALU_CYCLE_1)
	s_or_b32 exec_lo, exec_lo, s12
.LBB339_1487:                           ;   in Loop: Header=BB339_1059 Depth=1
	s_delay_alu instid0(SALU_CYCLE_1) | instskip(SKIP_3) | instid1(VALU_DEP_2)
	s_or_b32 exec_lo, exec_lo, s9
	v_dual_mov_b32 v0, v12 :: v_dual_and_b32 v13, 0xff, v12
	v_dual_mov_b32 v115, 0 :: v_dual_mov_b32 v114, 0
	s_mov_b32 s9, exec_lo
	v_cmpx_ne_u16_e32 0, v13
	s_cbranch_execz .LBB339_1495
; %bb.1488:                             ;   in Loop: Header=BB339_1059 Depth=1
	v_bfrev_b32_e32 v114, 1
	s_mov_b32 s12, exec_lo
	v_cmpx_ne_u16_e32 0x80, v13
	s_cbranch_execz .LBB339_1494
; %bb.1489:                             ;   in Loop: Header=BB339_1059 Depth=1
	v_and_b32_e32 v13, 0x7f, v12
	v_mov_b32_e32 v114, 0x7fc02000
	s_mov_b32 s13, exec_lo
	s_delay_alu instid0(VALU_DEP_2)
	v_cmpx_ne_u32_e32 0x7f, v13
	s_cbranch_execz .LBB339_1493
; %bb.1490:                             ;   in Loop: Header=BB339_1059 Depth=1
	v_lshrrev_b32_e32 v114, 3, v13
	v_cmp_gt_u32_e64 s1, 8, v13
	v_dual_mov_b32 v14, v1 :: v_dual_mov_b32 v13, v0
	s_delay_alu instid0(VALU_DEP_2)
	s_and_saveexec_b32 s15, s1
; %bb.1491:                             ;   in Loop: Header=BB339_1059 Depth=1
	v_and_b32_e32 v13, 7, v12
	s_delay_alu instid0(VALU_DEP_1) | instskip(NEXT) | instid1(VALU_DEP_1)
	v_clz_i32_u32_e32 v13, v13
	v_min_u32_e32 v114, 32, v13
	s_delay_alu instid0(VALU_DEP_1) | instskip(SKIP_1) | instid1(VALU_DEP_2)
	v_subrev_nc_u32_e32 v13, 28, v114
	v_sub_nc_u32_e32 v114, 29, v114
	v_lshlrev_b64 v[13:14], v13, v[0:1]
; %bb.1492:                             ;   in Loop: Header=BB339_1059 Depth=1
	s_or_b32 exec_lo, exec_lo, s15
	v_lshlrev_b32_e32 v14, 8, v12
	s_delay_alu instid0(VALU_DEP_3) | instskip(NEXT) | instid1(VALU_DEP_3)
	v_lshl_add_u32 v114, v114, 10, 0x2000
	v_lshlrev_b32_e32 v13, 7, v13
	s_delay_alu instid0(VALU_DEP_2) | instskip(NEXT) | instid1(VALU_DEP_1)
	v_and_or_b32 v14, 0x8000, v14, v114
	v_and_or_b32 v13, 0x380, v13, v14
	s_delay_alu instid0(VALU_DEP_1)
	v_cvt_f32_f16_e32 v114, v13
.LBB339_1493:                           ;   in Loop: Header=BB339_1059 Depth=1
	s_or_b32 exec_lo, exec_lo, s13
.LBB339_1494:                           ;   in Loop: Header=BB339_1059 Depth=1
	s_delay_alu instid0(SALU_CYCLE_1)
	s_or_b32 exec_lo, exec_lo, s12
.LBB339_1495:                           ;   in Loop: Header=BB339_1059 Depth=1
	s_delay_alu instid0(SALU_CYCLE_1) | instskip(SKIP_2) | instid1(VALU_DEP_1)
	s_or_b32 exec_lo, exec_lo, s9
	v_lshrrev_b16 v0, 8, v0
	s_mov_b32 s9, exec_lo
	v_cmpx_ne_u16_e32 0, v0
	s_cbranch_execz .LBB339_1503
; %bb.1496:                             ;   in Loop: Header=BB339_1059 Depth=1
	v_bfrev_b32_e32 v115, 1
	s_mov_b32 s12, exec_lo
	v_cmpx_ne_u16_e32 0x80, v0
	s_cbranch_execz .LBB339_1502
; %bb.1497:                             ;   in Loop: Header=BB339_1059 Depth=1
	v_and_b32_e32 v116, 0xffff, v0
	v_mov_b32_e32 v115, 0x7fc02000
	s_mov_b32 s13, exec_lo
	s_delay_alu instid0(VALU_DEP_2) | instskip(NEXT) | instid1(VALU_DEP_1)
	v_and_b32_e32 v13, 0x7f, v116
	v_cmpx_ne_u32_e32 0x7f, v13
	s_cbranch_execz .LBB339_1501
; %bb.1498:                             ;   in Loop: Header=BB339_1059 Depth=1
	v_and_b32_e32 v0, 7, v116
	v_lshrrev_b32_e32 v115, 3, v13
	v_cmp_gt_u32_e64 s1, 8, v13
	s_delay_alu instid0(VALU_DEP_3) | instskip(NEXT) | instid1(VALU_DEP_2)
	v_dual_mov_b32 v14, v1 :: v_dual_mov_b32 v13, v0
	s_and_saveexec_b32 s15, s1
; %bb.1499:                             ;   in Loop: Header=BB339_1059 Depth=1
	v_clz_i32_u32_e32 v13, v0
	s_delay_alu instid0(VALU_DEP_1) | instskip(NEXT) | instid1(VALU_DEP_1)
	v_min_u32_e32 v115, 32, v13
	v_subrev_nc_u32_e32 v13, 28, v115
	v_sub_nc_u32_e32 v115, 29, v115
	s_delay_alu instid0(VALU_DEP_2) | instskip(NEXT) | instid1(VALU_DEP_1)
	v_lshlrev_b64 v[13:14], v13, v[0:1]
	v_and_b32_e32 v13, 7, v13
; %bb.1500:                             ;   in Loop: Header=BB339_1059 Depth=1
	s_or_b32 exec_lo, exec_lo, s15
	v_lshlrev_b32_e32 v0, 8, v116
	v_lshl_add_u32 v14, v115, 10, 0x2000
	s_delay_alu instid0(VALU_DEP_1) | instskip(NEXT) | instid1(VALU_DEP_1)
	v_and_or_b32 v0, 0x8000, v0, v14
	v_lshl_or_b32 v0, v13, 7, v0
	s_delay_alu instid0(VALU_DEP_1)
	v_cvt_f32_f16_e32 v115, v0
.LBB339_1501:                           ;   in Loop: Header=BB339_1059 Depth=1
	s_or_b32 exec_lo, exec_lo, s13
.LBB339_1502:                           ;   in Loop: Header=BB339_1059 Depth=1
	s_delay_alu instid0(SALU_CYCLE_1)
	s_or_b32 exec_lo, exec_lo, s12
.LBB339_1503:                           ;   in Loop: Header=BB339_1059 Depth=1
	s_delay_alu instid0(SALU_CYCLE_1) | instskip(SKIP_3) | instid1(VALU_DEP_2)
	s_or_b32 exec_lo, exec_lo, s9
	v_lshrrev_b32_e32 v117, 16, v12
	v_mov_b32_e32 v116, 0
	s_mov_b32 s9, exec_lo
	v_dual_mov_b32 v13, 0 :: v_dual_and_b32 v0, 0xff, v117
	s_delay_alu instid0(VALU_DEP_1)
	v_cmpx_ne_u16_e32 0, v0
	s_cbranch_execz .LBB339_1511
; %bb.1504:                             ;   in Loop: Header=BB339_1059 Depth=1
	v_bfrev_b32_e32 v13, 1
	s_mov_b32 s12, exec_lo
	v_cmpx_ne_u16_e32 0x80, v0
	s_cbranch_execz .LBB339_1510
; %bb.1505:                             ;   in Loop: Header=BB339_1059 Depth=1
	v_bfe_u32 v14, v12, 16, 7
	v_mov_b32_e32 v13, 0x7fc02000
	s_mov_b32 s13, exec_lo
	s_delay_alu instid0(VALU_DEP_2)
	v_cmpx_ne_u32_e32 0x7f, v14
	s_cbranch_execz .LBB339_1509
; %bb.1506:                             ;   in Loop: Header=BB339_1059 Depth=1
	v_and_b32_e32 v0, 7, v117
	v_lshrrev_b32_e32 v118, 3, v14
	v_cmp_gt_u32_e64 s1, 8, v14
	s_delay_alu instid0(VALU_DEP_3) | instskip(NEXT) | instid1(VALU_DEP_2)
	v_dual_mov_b32 v14, v1 :: v_dual_mov_b32 v13, v0
	s_and_saveexec_b32 s15, s1
; %bb.1507:                             ;   in Loop: Header=BB339_1059 Depth=1
	v_clz_i32_u32_e32 v13, v0
	s_delay_alu instid0(VALU_DEP_1) | instskip(NEXT) | instid1(VALU_DEP_1)
	v_min_u32_e32 v118, 32, v13
	v_subrev_nc_u32_e32 v13, 28, v118
	v_sub_nc_u32_e32 v118, 29, v118
	s_delay_alu instid0(VALU_DEP_2) | instskip(NEXT) | instid1(VALU_DEP_1)
	v_lshlrev_b64 v[13:14], v13, v[0:1]
	v_and_b32_e32 v13, 7, v13
; %bb.1508:                             ;   in Loop: Header=BB339_1059 Depth=1
	s_or_b32 exec_lo, exec_lo, s15
	v_lshlrev_b32_e32 v0, 8, v117
	v_lshl_add_u32 v14, v118, 10, 0x2000
	s_delay_alu instid0(VALU_DEP_1) | instskip(NEXT) | instid1(VALU_DEP_1)
	v_and_or_b32 v0, 0x8000, v0, v14
	v_lshl_or_b32 v0, v13, 7, v0
	s_delay_alu instid0(VALU_DEP_1)
	v_cvt_f32_f16_e32 v13, v0
.LBB339_1509:                           ;   in Loop: Header=BB339_1059 Depth=1
	s_or_b32 exec_lo, exec_lo, s13
.LBB339_1510:                           ;   in Loop: Header=BB339_1059 Depth=1
	s_delay_alu instid0(SALU_CYCLE_1)
	s_or_b32 exec_lo, exec_lo, s12
.LBB339_1511:                           ;   in Loop: Header=BB339_1059 Depth=1
	s_delay_alu instid0(SALU_CYCLE_1) | instskip(NEXT) | instid1(SALU_CYCLE_1)
	s_or_b32 exec_lo, exec_lo, s9
	s_mov_b32 s9, exec_lo
	v_cmpx_lt_u64_e64 s[4:5], v[11:12]
	s_cbranch_execz .LBB339_1519
; %bb.1512:                             ;   in Loop: Header=BB339_1059 Depth=1
	v_lshrrev_b32_e32 v14, 24, v12
	v_bfrev_b32_e32 v116, 1
	s_mov_b32 s12, exec_lo
	s_delay_alu instid0(VALU_DEP_2)
	v_cmpx_ne_u32_e32 0x80, v14
	s_cbranch_execz .LBB339_1518
; %bb.1513:                             ;   in Loop: Header=BB339_1059 Depth=1
	v_and_b32_e32 v11, 0x7f, v14
	v_mov_b32_e32 v116, 0x7fc02000
	s_mov_b32 s13, exec_lo
	s_delay_alu instid0(VALU_DEP_2)
	v_cmpx_ne_u32_e32 0x7f, v11
	s_cbranch_execz .LBB339_1517
; %bb.1514:                             ;   in Loop: Header=BB339_1059 Depth=1
	v_and_b32_e32 v0, 7, v14
	v_lshrrev_b32_e32 v116, 3, v11
	v_cmp_gt_u32_e64 s1, 8, v11
	s_delay_alu instid0(VALU_DEP_3) | instskip(NEXT) | instid1(VALU_DEP_2)
	v_dual_mov_b32 v12, v1 :: v_dual_mov_b32 v11, v0
	s_and_saveexec_b32 s15, s1
; %bb.1515:                             ;   in Loop: Header=BB339_1059 Depth=1
	v_clz_i32_u32_e32 v11, v0
	s_delay_alu instid0(VALU_DEP_1) | instskip(NEXT) | instid1(VALU_DEP_1)
	v_min_u32_e32 v116, 32, v11
	v_subrev_nc_u32_e32 v11, 28, v116
	v_sub_nc_u32_e32 v116, 29, v116
	s_delay_alu instid0(VALU_DEP_2) | instskip(NEXT) | instid1(VALU_DEP_1)
	v_lshlrev_b64 v[11:12], v11, v[0:1]
	v_and_b32_e32 v11, 7, v11
; %bb.1516:                             ;   in Loop: Header=BB339_1059 Depth=1
	s_or_b32 exec_lo, exec_lo, s15
	v_lshlrev_b32_e32 v0, 8, v14
	v_lshl_add_u32 v12, v116, 10, 0x2000
	s_delay_alu instid0(VALU_DEP_1) | instskip(NEXT) | instid1(VALU_DEP_1)
	v_and_or_b32 v0, 0x8000, v0, v12
	v_lshl_or_b32 v0, v11, 7, v0
	s_delay_alu instid0(VALU_DEP_1)
	v_cvt_f32_f16_e32 v116, v0
.LBB339_1517:                           ;   in Loop: Header=BB339_1059 Depth=1
	s_or_b32 exec_lo, exec_lo, s13
.LBB339_1518:                           ;   in Loop: Header=BB339_1059 Depth=1
	s_delay_alu instid0(SALU_CYCLE_1)
	s_or_b32 exec_lo, exec_lo, s12
.LBB339_1519:                           ;   in Loop: Header=BB339_1059 Depth=1
	s_delay_alu instid0(SALU_CYCLE_1)
	s_or_b32 exec_lo, exec_lo, s9
	s_waitcnt vmcnt(0) lgkmcnt(0)
	v_fma_mixlo_f16 v12, v101, v103, 0
	v_fma_mixlo_f16 v0, v101, v113, 0
	;; [unrolled: 1-line block ×5, first 2 shown]
	v_lshlrev_b32_e32 v14, 16, v12
	v_fma_mixlo_f16 v112, v101, v114, 0
	v_fma_mixlo_f16 v113, v101, v116, 0
	;; [unrolled: 1-line block ×3, first 2 shown]
	v_lshlrev_b32_e32 v0, 16, v0
	v_and_b32_e32 v11, 0xffff, v11
	v_and_b32_e32 v101, 0xffff, v102
	v_lshlrev_b32_e32 v102, 16, v103
	v_and_b32_e32 v103, 0xffff, v112
	v_lshlrev_b32_e32 v112, 16, v113
	v_and_b32_e32 v113, 0xffff, v12
	v_or_b32_e32 v13, v0, v11
	v_or_b32_e32 v14, v14, v101
	;; [unrolled: 1-line block ×3, first 2 shown]
	s_delay_alu instid0(VALU_DEP_4)
	v_or_b32_e32 v11, v112, v113
	s_and_saveexec_b32 s9, vcc_lo
	s_cbranch_execz .LBB339_1521
; %bb.1520:                             ;   in Loop: Header=BB339_1059 Depth=1
	v_cmp_lt_i32_e64 s1, v15, v35
	v_lshrrev_b32_e32 v101, 16, v14
	v_lshrrev_b32_e32 v102, 16, v13
	v_lshrrev_b32_e32 v103, 16, v0
	v_lshrrev_b32_e32 v11, 16, v11
	v_cndmask_b32_e64 v14, 0, v14, s1
	v_cmp_lt_i32_e64 s1, v82, v39
	s_delay_alu instid0(VALU_DEP_1) | instskip(SKIP_1) | instid1(VALU_DEP_2)
	v_cndmask_b32_e64 v101, 0, v101, s1
	v_cmp_lt_i32_e64 s1, v81, v39
	v_perm_b32 v14, v101, v14, 0x5040100
	s_delay_alu instid0(VALU_DEP_2) | instskip(SKIP_1) | instid1(VALU_DEP_1)
	v_cndmask_b32_e64 v102, 0, v102, s1
	v_cmp_lt_i32_e64 s1, v70, v35
	v_cndmask_b32_e64 v13, 0, v13, s1
	v_cmp_lt_i32_e64 s1, v65, v39
	s_delay_alu instid0(VALU_DEP_2) | instskip(NEXT) | instid1(VALU_DEP_2)
	v_perm_b32 v13, v102, v13, 0x5040100
	v_cndmask_b32_e64 v103, 0, v103, s1
	v_cmp_lt_i32_e64 s1, v48, v35
	s_delay_alu instid0(VALU_DEP_1) | instskip(SKIP_1) | instid1(VALU_DEP_2)
	v_cndmask_b32_e64 v0, 0, v0, s1
	v_cmp_lt_i32_e64 s1, v23, v39
	v_perm_b32 v0, v103, v0, 0x5040100
	s_delay_alu instid0(VALU_DEP_2) | instskip(SKIP_1) | instid1(VALU_DEP_1)
	v_cndmask_b32_e64 v11, 0, v11, s1
	v_cmp_lt_i32_e64 s1, v17, v35
	v_cndmask_b32_e64 v12, 0, v12, s1
	s_delay_alu instid0(VALU_DEP_1)
	v_perm_b32 v11, v11, v12, 0x5040100
.LBB339_1521:                           ;   in Loop: Header=BB339_1059 Depth=1
	s_or_b32 exec_lo, exec_lo, s9
	;;#ASMSTART
	v_pk_mul_f16 v12, v80, v14;

	;;#ASMEND
	;;#ASMSTART
	v_pk_mul_f16 v13, v69, v13;

	;;#ASMEND
	;; [unrolled: 4-line block ×4, first 2 shown]
	;;#ASMSTART
	v_pk_add_f16 v12, v12, v13;

	;;#ASMEND
	;;#ASMSTART
	v_pk_add_f16 v0, v12, v0;

	;;#ASMEND
	;; [unrolled: 4-line block ×3, first 2 shown]
	v_dual_mov_b32 v112, 0 :: v_dual_and_b32 v11, 0xffff, v0
	v_lshrrev_b32_e32 v0, 16, v0
	;;#ASMSTART
	v_cvt_f32_f16 v101, v11;
	;;#ASMEND
	;;#ASMSTART
	v_cvt_f32_f16 v102, v0;
	;;#ASMEND
	flat_load_b64 v[11:12], v[9:10] offset:1792
	flat_load_b32 v103, v[26:27]
	s_mov_b32 s9, exec_lo
	s_waitcnt vmcnt(1) lgkmcnt(1)
	v_dual_mov_b32 v113, 0 :: v_dual_and_b32 v0, 0xff, v11
	s_delay_alu instid0(VALU_DEP_1)
	v_cmpx_ne_u16_e32 0, v0
	s_cbranch_execz .LBB339_1529
; %bb.1522:                             ;   in Loop: Header=BB339_1059 Depth=1
	v_bfrev_b32_e32 v112, 1
	s_mov_b32 s12, exec_lo
	v_cmpx_ne_u16_e32 0x80, v0
	s_cbranch_execz .LBB339_1528
; %bb.1523:                             ;   in Loop: Header=BB339_1059 Depth=1
	v_and_b32_e32 v13, 0x7f, v11
	v_mov_b32_e32 v112, 0x7fc02000
	s_mov_b32 s13, exec_lo
	s_delay_alu instid0(VALU_DEP_2)
	v_cmpx_ne_u32_e32 0x7f, v13
	s_cbranch_execz .LBB339_1527
; %bb.1524:                             ;   in Loop: Header=BB339_1059 Depth=1
	v_lshrrev_b32_e32 v0, 3, v13
	v_cmp_gt_u32_e64 s1, 8, v13
	v_dual_mov_b32 v14, v12 :: v_dual_mov_b32 v13, v11
	s_delay_alu instid0(VALU_DEP_2)
	s_and_saveexec_b32 s15, s1
; %bb.1525:                             ;   in Loop: Header=BB339_1059 Depth=1
	v_and_b32_e32 v0, 7, v11
	s_delay_alu instid0(VALU_DEP_1) | instskip(NEXT) | instid1(VALU_DEP_1)
	v_clz_i32_u32_e32 v0, v0
	v_min_u32_e32 v0, 32, v0
	s_delay_alu instid0(VALU_DEP_1) | instskip(SKIP_1) | instid1(VALU_DEP_2)
	v_subrev_nc_u32_e32 v13, 28, v0
	v_sub_nc_u32_e32 v0, 29, v0
	v_lshlrev_b64 v[13:14], v13, v[11:12]
; %bb.1526:                             ;   in Loop: Header=BB339_1059 Depth=1
	s_or_b32 exec_lo, exec_lo, s15
	v_lshlrev_b32_e32 v14, 8, v11
	s_delay_alu instid0(VALU_DEP_3) | instskip(NEXT) | instid1(VALU_DEP_3)
	v_lshl_add_u32 v0, v0, 10, 0x2000
	v_lshlrev_b32_e32 v13, 7, v13
	s_delay_alu instid0(VALU_DEP_2) | instskip(NEXT) | instid1(VALU_DEP_1)
	v_and_or_b32 v0, 0x8000, v14, v0
	v_and_or_b32 v0, 0x380, v13, v0
	s_delay_alu instid0(VALU_DEP_1)
	v_cvt_f32_f16_e32 v112, v0
.LBB339_1527:                           ;   in Loop: Header=BB339_1059 Depth=1
	s_or_b32 exec_lo, exec_lo, s13
.LBB339_1528:                           ;   in Loop: Header=BB339_1059 Depth=1
	s_delay_alu instid0(SALU_CYCLE_1)
	s_or_b32 exec_lo, exec_lo, s12
.LBB339_1529:                           ;   in Loop: Header=BB339_1059 Depth=1
	s_delay_alu instid0(SALU_CYCLE_1) | instskip(SKIP_2) | instid1(VALU_DEP_1)
	s_or_b32 exec_lo, exec_lo, s9
	v_lshrrev_b16 v0, 8, v11
	s_mov_b32 s9, exec_lo
	v_cmpx_ne_u16_e32 0, v0
	s_cbranch_execz .LBB339_1537
; %bb.1530:                             ;   in Loop: Header=BB339_1059 Depth=1
	v_bfrev_b32_e32 v113, 1
	s_mov_b32 s12, exec_lo
	v_cmpx_ne_u16_e32 0x80, v0
	s_cbranch_execz .LBB339_1536
; %bb.1531:                             ;   in Loop: Header=BB339_1059 Depth=1
	v_and_b32_e32 v114, 0xffff, v0
	v_mov_b32_e32 v113, 0x7fc02000
	s_mov_b32 s13, exec_lo
	s_delay_alu instid0(VALU_DEP_2) | instskip(NEXT) | instid1(VALU_DEP_1)
	v_and_b32_e32 v13, 0x7f, v114
	v_cmpx_ne_u32_e32 0x7f, v13
	s_cbranch_execz .LBB339_1535
; %bb.1532:                             ;   in Loop: Header=BB339_1059 Depth=1
	v_and_b32_e32 v0, 7, v114
	v_lshrrev_b32_e32 v113, 3, v13
	v_cmp_gt_u32_e64 s1, 8, v13
	s_delay_alu instid0(VALU_DEP_3) | instskip(NEXT) | instid1(VALU_DEP_2)
	v_dual_mov_b32 v14, v1 :: v_dual_mov_b32 v13, v0
	s_and_saveexec_b32 s15, s1
; %bb.1533:                             ;   in Loop: Header=BB339_1059 Depth=1
	v_clz_i32_u32_e32 v13, v0
	s_delay_alu instid0(VALU_DEP_1) | instskip(NEXT) | instid1(VALU_DEP_1)
	v_min_u32_e32 v113, 32, v13
	v_subrev_nc_u32_e32 v13, 28, v113
	v_sub_nc_u32_e32 v113, 29, v113
	s_delay_alu instid0(VALU_DEP_2) | instskip(NEXT) | instid1(VALU_DEP_1)
	v_lshlrev_b64 v[13:14], v13, v[0:1]
	v_and_b32_e32 v13, 7, v13
; %bb.1534:                             ;   in Loop: Header=BB339_1059 Depth=1
	s_or_b32 exec_lo, exec_lo, s15
	v_lshlrev_b32_e32 v0, 8, v114
	v_lshl_add_u32 v14, v113, 10, 0x2000
	s_delay_alu instid0(VALU_DEP_1) | instskip(NEXT) | instid1(VALU_DEP_1)
	v_and_or_b32 v0, 0x8000, v0, v14
	v_lshl_or_b32 v0, v13, 7, v0
	s_delay_alu instid0(VALU_DEP_1)
	v_cvt_f32_f16_e32 v113, v0
.LBB339_1535:                           ;   in Loop: Header=BB339_1059 Depth=1
	s_or_b32 exec_lo, exec_lo, s13
.LBB339_1536:                           ;   in Loop: Header=BB339_1059 Depth=1
	s_delay_alu instid0(SALU_CYCLE_1)
	s_or_b32 exec_lo, exec_lo, s12
.LBB339_1537:                           ;   in Loop: Header=BB339_1059 Depth=1
	s_delay_alu instid0(SALU_CYCLE_1) | instskip(SKIP_3) | instid1(VALU_DEP_2)
	s_or_b32 exec_lo, exec_lo, s9
	v_lshrrev_b32_e32 v116, 16, v11
	v_mov_b32_e32 v114, 0
	s_mov_b32 s9, exec_lo
	v_dual_mov_b32 v115, 0 :: v_dual_and_b32 v0, 0xff, v116
	s_delay_alu instid0(VALU_DEP_1)
	v_cmpx_ne_u16_e32 0, v0
	s_cbranch_execz .LBB339_1545
; %bb.1538:                             ;   in Loop: Header=BB339_1059 Depth=1
	v_bfrev_b32_e32 v114, 1
	s_mov_b32 s12, exec_lo
	v_cmpx_ne_u16_e32 0x80, v0
	s_cbranch_execz .LBB339_1544
; %bb.1539:                             ;   in Loop: Header=BB339_1059 Depth=1
	v_bfe_u32 v13, v11, 16, 7
	v_mov_b32_e32 v114, 0x7fc02000
	s_mov_b32 s13, exec_lo
	s_delay_alu instid0(VALU_DEP_2)
	v_cmpx_ne_u32_e32 0x7f, v13
	s_cbranch_execz .LBB339_1543
; %bb.1540:                             ;   in Loop: Header=BB339_1059 Depth=1
	v_and_b32_e32 v0, 7, v116
	v_lshrrev_b32_e32 v114, 3, v13
	v_cmp_gt_u32_e64 s1, 8, v13
	s_delay_alu instid0(VALU_DEP_3) | instskip(NEXT) | instid1(VALU_DEP_2)
	v_dual_mov_b32 v14, v1 :: v_dual_mov_b32 v13, v0
	s_and_saveexec_b32 s15, s1
; %bb.1541:                             ;   in Loop: Header=BB339_1059 Depth=1
	v_clz_i32_u32_e32 v13, v0
	s_delay_alu instid0(VALU_DEP_1) | instskip(NEXT) | instid1(VALU_DEP_1)
	v_min_u32_e32 v114, 32, v13
	v_subrev_nc_u32_e32 v13, 28, v114
	v_sub_nc_u32_e32 v114, 29, v114
	s_delay_alu instid0(VALU_DEP_2) | instskip(NEXT) | instid1(VALU_DEP_1)
	v_lshlrev_b64 v[13:14], v13, v[0:1]
	v_and_b32_e32 v13, 7, v13
; %bb.1542:                             ;   in Loop: Header=BB339_1059 Depth=1
	s_or_b32 exec_lo, exec_lo, s15
	v_lshlrev_b32_e32 v0, 8, v116
	v_lshl_add_u32 v14, v114, 10, 0x2000
	s_delay_alu instid0(VALU_DEP_1) | instskip(NEXT) | instid1(VALU_DEP_1)
	v_and_or_b32 v0, 0x8000, v0, v14
	v_lshl_or_b32 v0, v13, 7, v0
	s_delay_alu instid0(VALU_DEP_1)
	v_cvt_f32_f16_e32 v114, v0
.LBB339_1543:                           ;   in Loop: Header=BB339_1059 Depth=1
	s_or_b32 exec_lo, exec_lo, s13
.LBB339_1544:                           ;   in Loop: Header=BB339_1059 Depth=1
	s_delay_alu instid0(SALU_CYCLE_1)
	s_or_b32 exec_lo, exec_lo, s12
.LBB339_1545:                           ;   in Loop: Header=BB339_1059 Depth=1
	s_delay_alu instid0(SALU_CYCLE_1) | instskip(NEXT) | instid1(SALU_CYCLE_1)
	s_or_b32 exec_lo, exec_lo, s9
	s_mov_b32 s9, exec_lo
	v_cmpx_lt_u32_e32 0xffffff, v11
	s_cbranch_execz .LBB339_1553
; %bb.1546:                             ;   in Loop: Header=BB339_1059 Depth=1
	v_lshrrev_b32_e32 v116, 24, v11
	v_bfrev_b32_e32 v115, 1
	s_mov_b32 s12, exec_lo
	s_delay_alu instid0(VALU_DEP_2)
	v_cmpx_ne_u32_e32 0x80, v116
	s_cbranch_execz .LBB339_1552
; %bb.1547:                             ;   in Loop: Header=BB339_1059 Depth=1
	v_and_b32_e32 v13, 0x7f, v116
	v_mov_b32_e32 v115, 0x7fc02000
	s_mov_b32 s13, exec_lo
	s_delay_alu instid0(VALU_DEP_2)
	v_cmpx_ne_u32_e32 0x7f, v13
	s_cbranch_execz .LBB339_1551
; %bb.1548:                             ;   in Loop: Header=BB339_1059 Depth=1
	v_and_b32_e32 v0, 7, v116
	v_lshrrev_b32_e32 v115, 3, v13
	v_cmp_gt_u32_e64 s1, 8, v13
	s_delay_alu instid0(VALU_DEP_3) | instskip(NEXT) | instid1(VALU_DEP_2)
	v_dual_mov_b32 v14, v1 :: v_dual_mov_b32 v13, v0
	s_and_saveexec_b32 s15, s1
; %bb.1549:                             ;   in Loop: Header=BB339_1059 Depth=1
	v_clz_i32_u32_e32 v13, v0
	s_delay_alu instid0(VALU_DEP_1) | instskip(NEXT) | instid1(VALU_DEP_1)
	v_min_u32_e32 v115, 32, v13
	v_subrev_nc_u32_e32 v13, 28, v115
	v_sub_nc_u32_e32 v115, 29, v115
	s_delay_alu instid0(VALU_DEP_2) | instskip(NEXT) | instid1(VALU_DEP_1)
	v_lshlrev_b64 v[13:14], v13, v[0:1]
	v_and_b32_e32 v13, 7, v13
; %bb.1550:                             ;   in Loop: Header=BB339_1059 Depth=1
	s_or_b32 exec_lo, exec_lo, s15
	v_lshlrev_b32_e32 v0, 8, v116
	v_lshl_add_u32 v14, v115, 10, 0x2000
	s_delay_alu instid0(VALU_DEP_1) | instskip(NEXT) | instid1(VALU_DEP_1)
	v_and_or_b32 v0, 0x8000, v0, v14
	v_lshl_or_b32 v0, v13, 7, v0
	s_delay_alu instid0(VALU_DEP_1)
	v_cvt_f32_f16_e32 v115, v0
.LBB339_1551:                           ;   in Loop: Header=BB339_1059 Depth=1
	s_or_b32 exec_lo, exec_lo, s13
.LBB339_1552:                           ;   in Loop: Header=BB339_1059 Depth=1
	s_delay_alu instid0(SALU_CYCLE_1)
	s_or_b32 exec_lo, exec_lo, s12
.LBB339_1553:                           ;   in Loop: Header=BB339_1059 Depth=1
	s_delay_alu instid0(SALU_CYCLE_1) | instskip(SKIP_3) | instid1(VALU_DEP_2)
	s_or_b32 exec_lo, exec_lo, s9
	v_dual_mov_b32 v0, v12 :: v_dual_and_b32 v13, 0xff, v12
	v_dual_mov_b32 v117, 0 :: v_dual_mov_b32 v116, 0
	s_mov_b32 s9, exec_lo
	v_cmpx_ne_u16_e32 0, v13
	s_cbranch_execz .LBB339_1561
; %bb.1554:                             ;   in Loop: Header=BB339_1059 Depth=1
	v_bfrev_b32_e32 v116, 1
	s_mov_b32 s12, exec_lo
	v_cmpx_ne_u16_e32 0x80, v13
	s_cbranch_execz .LBB339_1560
; %bb.1555:                             ;   in Loop: Header=BB339_1059 Depth=1
	v_and_b32_e32 v13, 0x7f, v12
	v_mov_b32_e32 v116, 0x7fc02000
	s_mov_b32 s13, exec_lo
	s_delay_alu instid0(VALU_DEP_2)
	v_cmpx_ne_u32_e32 0x7f, v13
	s_cbranch_execz .LBB339_1559
; %bb.1556:                             ;   in Loop: Header=BB339_1059 Depth=1
	v_lshrrev_b32_e32 v116, 3, v13
	v_cmp_gt_u32_e64 s1, 8, v13
	v_dual_mov_b32 v14, v1 :: v_dual_mov_b32 v13, v0
	s_delay_alu instid0(VALU_DEP_2)
	s_and_saveexec_b32 s15, s1
; %bb.1557:                             ;   in Loop: Header=BB339_1059 Depth=1
	v_and_b32_e32 v13, 7, v12
	s_delay_alu instid0(VALU_DEP_1) | instskip(NEXT) | instid1(VALU_DEP_1)
	v_clz_i32_u32_e32 v13, v13
	v_min_u32_e32 v116, 32, v13
	s_delay_alu instid0(VALU_DEP_1) | instskip(SKIP_1) | instid1(VALU_DEP_2)
	v_subrev_nc_u32_e32 v13, 28, v116
	v_sub_nc_u32_e32 v116, 29, v116
	v_lshlrev_b64 v[13:14], v13, v[0:1]
; %bb.1558:                             ;   in Loop: Header=BB339_1059 Depth=1
	s_or_b32 exec_lo, exec_lo, s15
	v_lshlrev_b32_e32 v14, 8, v12
	s_delay_alu instid0(VALU_DEP_3) | instskip(NEXT) | instid1(VALU_DEP_3)
	v_lshl_add_u32 v116, v116, 10, 0x2000
	v_lshlrev_b32_e32 v13, 7, v13
	s_delay_alu instid0(VALU_DEP_2) | instskip(NEXT) | instid1(VALU_DEP_1)
	v_and_or_b32 v14, 0x8000, v14, v116
	v_and_or_b32 v13, 0x380, v13, v14
	s_delay_alu instid0(VALU_DEP_1)
	v_cvt_f32_f16_e32 v116, v13
.LBB339_1559:                           ;   in Loop: Header=BB339_1059 Depth=1
	s_or_b32 exec_lo, exec_lo, s13
.LBB339_1560:                           ;   in Loop: Header=BB339_1059 Depth=1
	s_delay_alu instid0(SALU_CYCLE_1)
	s_or_b32 exec_lo, exec_lo, s12
.LBB339_1561:                           ;   in Loop: Header=BB339_1059 Depth=1
	s_delay_alu instid0(SALU_CYCLE_1) | instskip(SKIP_2) | instid1(VALU_DEP_1)
	s_or_b32 exec_lo, exec_lo, s9
	v_lshrrev_b16 v0, 8, v0
	s_mov_b32 s9, exec_lo
	v_cmpx_ne_u16_e32 0, v0
	s_cbranch_execz .LBB339_1569
; %bb.1562:                             ;   in Loop: Header=BB339_1059 Depth=1
	v_bfrev_b32_e32 v117, 1
	s_mov_b32 s12, exec_lo
	v_cmpx_ne_u16_e32 0x80, v0
	s_cbranch_execz .LBB339_1568
; %bb.1563:                             ;   in Loop: Header=BB339_1059 Depth=1
	v_and_b32_e32 v118, 0xffff, v0
	v_mov_b32_e32 v117, 0x7fc02000
	s_mov_b32 s13, exec_lo
	s_delay_alu instid0(VALU_DEP_2) | instskip(NEXT) | instid1(VALU_DEP_1)
	v_and_b32_e32 v13, 0x7f, v118
	v_cmpx_ne_u32_e32 0x7f, v13
	s_cbranch_execz .LBB339_1567
; %bb.1564:                             ;   in Loop: Header=BB339_1059 Depth=1
	v_and_b32_e32 v0, 7, v118
	v_lshrrev_b32_e32 v117, 3, v13
	v_cmp_gt_u32_e64 s1, 8, v13
	s_delay_alu instid0(VALU_DEP_3) | instskip(NEXT) | instid1(VALU_DEP_2)
	v_dual_mov_b32 v14, v1 :: v_dual_mov_b32 v13, v0
	s_and_saveexec_b32 s15, s1
; %bb.1565:                             ;   in Loop: Header=BB339_1059 Depth=1
	v_clz_i32_u32_e32 v13, v0
	s_delay_alu instid0(VALU_DEP_1) | instskip(NEXT) | instid1(VALU_DEP_1)
	v_min_u32_e32 v117, 32, v13
	v_subrev_nc_u32_e32 v13, 28, v117
	v_sub_nc_u32_e32 v117, 29, v117
	s_delay_alu instid0(VALU_DEP_2) | instskip(NEXT) | instid1(VALU_DEP_1)
	v_lshlrev_b64 v[13:14], v13, v[0:1]
	v_and_b32_e32 v13, 7, v13
; %bb.1566:                             ;   in Loop: Header=BB339_1059 Depth=1
	s_or_b32 exec_lo, exec_lo, s15
	v_lshlrev_b32_e32 v0, 8, v118
	v_lshl_add_u32 v14, v117, 10, 0x2000
	s_delay_alu instid0(VALU_DEP_1) | instskip(NEXT) | instid1(VALU_DEP_1)
	v_and_or_b32 v0, 0x8000, v0, v14
	v_lshl_or_b32 v0, v13, 7, v0
	s_delay_alu instid0(VALU_DEP_1)
	v_cvt_f32_f16_e32 v117, v0
.LBB339_1567:                           ;   in Loop: Header=BB339_1059 Depth=1
	s_or_b32 exec_lo, exec_lo, s13
.LBB339_1568:                           ;   in Loop: Header=BB339_1059 Depth=1
	s_delay_alu instid0(SALU_CYCLE_1)
	s_or_b32 exec_lo, exec_lo, s12
.LBB339_1569:                           ;   in Loop: Header=BB339_1059 Depth=1
	s_delay_alu instid0(SALU_CYCLE_1) | instskip(SKIP_3) | instid1(VALU_DEP_2)
	s_or_b32 exec_lo, exec_lo, s9
	v_lshrrev_b32_e32 v119, 16, v12
	v_mov_b32_e32 v118, 0
	s_mov_b32 s9, exec_lo
	v_dual_mov_b32 v13, 0 :: v_dual_and_b32 v0, 0xff, v119
	s_delay_alu instid0(VALU_DEP_1)
	v_cmpx_ne_u16_e32 0, v0
	s_cbranch_execz .LBB339_1577
; %bb.1570:                             ;   in Loop: Header=BB339_1059 Depth=1
	v_bfrev_b32_e32 v13, 1
	s_mov_b32 s12, exec_lo
	v_cmpx_ne_u16_e32 0x80, v0
	s_cbranch_execz .LBB339_1576
; %bb.1571:                             ;   in Loop: Header=BB339_1059 Depth=1
	v_bfe_u32 v14, v12, 16, 7
	v_mov_b32_e32 v13, 0x7fc02000
	s_mov_b32 s13, exec_lo
	s_delay_alu instid0(VALU_DEP_2)
	v_cmpx_ne_u32_e32 0x7f, v14
	s_cbranch_execz .LBB339_1575
; %bb.1572:                             ;   in Loop: Header=BB339_1059 Depth=1
	v_and_b32_e32 v0, 7, v119
	v_lshrrev_b32_e32 v128, 3, v14
	v_cmp_gt_u32_e64 s1, 8, v14
	s_delay_alu instid0(VALU_DEP_3) | instskip(NEXT) | instid1(VALU_DEP_2)
	v_dual_mov_b32 v14, v1 :: v_dual_mov_b32 v13, v0
	s_and_saveexec_b32 s15, s1
; %bb.1573:                             ;   in Loop: Header=BB339_1059 Depth=1
	v_clz_i32_u32_e32 v13, v0
	s_delay_alu instid0(VALU_DEP_1) | instskip(NEXT) | instid1(VALU_DEP_1)
	v_min_u32_e32 v128, 32, v13
	v_subrev_nc_u32_e32 v13, 28, v128
	v_sub_nc_u32_e32 v128, 29, v128
	s_delay_alu instid0(VALU_DEP_2) | instskip(NEXT) | instid1(VALU_DEP_1)
	v_lshlrev_b64 v[13:14], v13, v[0:1]
	v_and_b32_e32 v13, 7, v13
; %bb.1574:                             ;   in Loop: Header=BB339_1059 Depth=1
	s_or_b32 exec_lo, exec_lo, s15
	v_lshlrev_b32_e32 v0, 8, v119
	v_lshl_add_u32 v14, v128, 10, 0x2000
	s_delay_alu instid0(VALU_DEP_1) | instskip(NEXT) | instid1(VALU_DEP_1)
	v_and_or_b32 v0, 0x8000, v0, v14
	v_lshl_or_b32 v0, v13, 7, v0
	s_delay_alu instid0(VALU_DEP_1)
	v_cvt_f32_f16_e32 v13, v0
.LBB339_1575:                           ;   in Loop: Header=BB339_1059 Depth=1
	s_or_b32 exec_lo, exec_lo, s13
.LBB339_1576:                           ;   in Loop: Header=BB339_1059 Depth=1
	s_delay_alu instid0(SALU_CYCLE_1)
	s_or_b32 exec_lo, exec_lo, s12
.LBB339_1577:                           ;   in Loop: Header=BB339_1059 Depth=1
	s_delay_alu instid0(SALU_CYCLE_1) | instskip(NEXT) | instid1(SALU_CYCLE_1)
	s_or_b32 exec_lo, exec_lo, s9
	s_mov_b32 s9, exec_lo
	v_cmpx_lt_u64_e64 s[4:5], v[11:12]
	s_cbranch_execz .LBB339_1585
; %bb.1578:                             ;   in Loop: Header=BB339_1059 Depth=1
	v_lshrrev_b32_e32 v14, 24, v12
	v_bfrev_b32_e32 v118, 1
	s_mov_b32 s12, exec_lo
	s_delay_alu instid0(VALU_DEP_2)
	v_cmpx_ne_u32_e32 0x80, v14
	s_cbranch_execz .LBB339_1584
; %bb.1579:                             ;   in Loop: Header=BB339_1059 Depth=1
	v_and_b32_e32 v11, 0x7f, v14
	v_mov_b32_e32 v118, 0x7fc02000
	s_mov_b32 s13, exec_lo
	s_delay_alu instid0(VALU_DEP_2)
	v_cmpx_ne_u32_e32 0x7f, v11
	s_cbranch_execz .LBB339_1583
; %bb.1580:                             ;   in Loop: Header=BB339_1059 Depth=1
	v_and_b32_e32 v0, 7, v14
	v_lshrrev_b32_e32 v118, 3, v11
	v_cmp_gt_u32_e64 s1, 8, v11
	s_delay_alu instid0(VALU_DEP_3) | instskip(NEXT) | instid1(VALU_DEP_2)
	v_dual_mov_b32 v12, v1 :: v_dual_mov_b32 v11, v0
	s_and_saveexec_b32 s15, s1
; %bb.1581:                             ;   in Loop: Header=BB339_1059 Depth=1
	v_clz_i32_u32_e32 v11, v0
	s_delay_alu instid0(VALU_DEP_1) | instskip(NEXT) | instid1(VALU_DEP_1)
	v_min_u32_e32 v118, 32, v11
	v_subrev_nc_u32_e32 v11, 28, v118
	v_sub_nc_u32_e32 v118, 29, v118
	s_delay_alu instid0(VALU_DEP_2) | instskip(NEXT) | instid1(VALU_DEP_1)
	v_lshlrev_b64 v[11:12], v11, v[0:1]
	v_and_b32_e32 v11, 7, v11
; %bb.1582:                             ;   in Loop: Header=BB339_1059 Depth=1
	s_or_b32 exec_lo, exec_lo, s15
	v_lshlrev_b32_e32 v0, 8, v14
	v_lshl_add_u32 v12, v118, 10, 0x2000
	s_delay_alu instid0(VALU_DEP_1) | instskip(NEXT) | instid1(VALU_DEP_1)
	v_and_or_b32 v0, 0x8000, v0, v12
	v_lshl_or_b32 v0, v11, 7, v0
	s_delay_alu instid0(VALU_DEP_1)
	v_cvt_f32_f16_e32 v118, v0
.LBB339_1583:                           ;   in Loop: Header=BB339_1059 Depth=1
	s_or_b32 exec_lo, exec_lo, s13
.LBB339_1584:                           ;   in Loop: Header=BB339_1059 Depth=1
	s_delay_alu instid0(SALU_CYCLE_1)
	s_or_b32 exec_lo, exec_lo, s12
.LBB339_1585:                           ;   in Loop: Header=BB339_1059 Depth=1
	s_delay_alu instid0(SALU_CYCLE_1)
	s_or_b32 exec_lo, exec_lo, s9
	s_waitcnt vmcnt(0) lgkmcnt(0)
	v_fma_mixlo_f16 v12, v103, v113, 0
	v_fma_mixlo_f16 v0, v103, v115, 0
	;; [unrolled: 1-line block ×5, first 2 shown]
	v_lshlrev_b32_e32 v14, 16, v12
	v_fma_mixlo_f16 v114, v103, v116, 0
	v_fma_mixlo_f16 v115, v103, v118, 0
	;; [unrolled: 1-line block ×3, first 2 shown]
	v_lshlrev_b32_e32 v0, 16, v0
	v_and_b32_e32 v11, 0xffff, v11
	v_and_b32_e32 v103, 0xffff, v112
	v_lshlrev_b32_e32 v112, 16, v113
	v_and_b32_e32 v113, 0xffff, v114
	v_lshlrev_b32_e32 v114, 16, v115
	v_and_b32_e32 v115, 0xffff, v12
	v_or_b32_e32 v13, v0, v11
	v_or_b32_e32 v14, v14, v103
	;; [unrolled: 1-line block ×3, first 2 shown]
	s_delay_alu instid0(VALU_DEP_4)
	v_or_b32_e32 v11, v114, v115
	s_and_saveexec_b32 s9, vcc_lo
	s_cbranch_execz .LBB339_1587
; %bb.1586:                             ;   in Loop: Header=BB339_1059 Depth=1
	v_cmp_lt_i32_e64 s1, v15, v35
	v_lshrrev_b32_e32 v103, 16, v14
	v_lshrrev_b32_e32 v112, 16, v13
	v_lshrrev_b32_e32 v113, 16, v0
	v_lshrrev_b32_e32 v11, 16, v11
	v_cndmask_b32_e64 v14, 0, v14, s1
	v_cmp_lt_i32_e64 s1, v82, v39
	s_delay_alu instid0(VALU_DEP_1) | instskip(SKIP_1) | instid1(VALU_DEP_2)
	v_cndmask_b32_e64 v103, 0, v103, s1
	v_cmp_lt_i32_e64 s1, v81, v39
	v_perm_b32 v14, v103, v14, 0x5040100
	s_delay_alu instid0(VALU_DEP_2) | instskip(SKIP_1) | instid1(VALU_DEP_1)
	v_cndmask_b32_e64 v112, 0, v112, s1
	v_cmp_lt_i32_e64 s1, v70, v35
	v_cndmask_b32_e64 v13, 0, v13, s1
	v_cmp_lt_i32_e64 s1, v65, v39
	s_delay_alu instid0(VALU_DEP_2) | instskip(NEXT) | instid1(VALU_DEP_2)
	v_perm_b32 v13, v112, v13, 0x5040100
	v_cndmask_b32_e64 v113, 0, v113, s1
	v_cmp_lt_i32_e64 s1, v48, v35
	s_delay_alu instid0(VALU_DEP_1) | instskip(SKIP_1) | instid1(VALU_DEP_2)
	v_cndmask_b32_e64 v0, 0, v0, s1
	v_cmp_lt_i32_e64 s1, v23, v39
	v_perm_b32 v0, v113, v0, 0x5040100
	s_delay_alu instid0(VALU_DEP_2) | instskip(SKIP_1) | instid1(VALU_DEP_1)
	v_cndmask_b32_e64 v11, 0, v11, s1
	v_cmp_lt_i32_e64 s1, v17, v35
	v_cndmask_b32_e64 v12, 0, v12, s1
	s_delay_alu instid0(VALU_DEP_1)
	v_perm_b32 v11, v11, v12, 0x5040100
.LBB339_1587:                           ;   in Loop: Header=BB339_1059 Depth=1
	s_or_b32 exec_lo, exec_lo, s9
	;;#ASMSTART
	v_pk_mul_f16 v12, v80, v14;

	;;#ASMEND
	;;#ASMSTART
	v_pk_mul_f16 v13, v69, v13;

	;;#ASMEND
	;; [unrolled: 4-line block ×4, first 2 shown]
	;;#ASMSTART
	v_pk_add_f16 v12, v12, v13;

	;;#ASMEND
	;;#ASMSTART
	v_pk_add_f16 v0, v12, v0;

	;;#ASMEND
	;; [unrolled: 4-line block ×3, first 2 shown]
	v_dual_mov_b32 v114, 0 :: v_dual_and_b32 v11, 0xffff, v0
	v_lshrrev_b32_e32 v0, 16, v0
	;;#ASMSTART
	v_cvt_f32_f16 v103, v11;
	;;#ASMEND
	;;#ASMSTART
	v_cvt_f32_f16 v112, v0;
	;;#ASMEND
	flat_load_b64 v[11:12], v[9:10] offset:2048
	flat_load_b32 v113, v[26:27]
	s_mov_b32 s9, exec_lo
	s_waitcnt vmcnt(1) lgkmcnt(1)
	v_dual_mov_b32 v115, 0 :: v_dual_and_b32 v0, 0xff, v11
	s_delay_alu instid0(VALU_DEP_1)
	v_cmpx_ne_u16_e32 0, v0
	s_cbranch_execz .LBB339_1595
; %bb.1588:                             ;   in Loop: Header=BB339_1059 Depth=1
	v_bfrev_b32_e32 v114, 1
	s_mov_b32 s12, exec_lo
	v_cmpx_ne_u16_e32 0x80, v0
	s_cbranch_execz .LBB339_1594
; %bb.1589:                             ;   in Loop: Header=BB339_1059 Depth=1
	v_and_b32_e32 v13, 0x7f, v11
	v_mov_b32_e32 v114, 0x7fc02000
	s_mov_b32 s13, exec_lo
	s_delay_alu instid0(VALU_DEP_2)
	v_cmpx_ne_u32_e32 0x7f, v13
	s_cbranch_execz .LBB339_1593
; %bb.1590:                             ;   in Loop: Header=BB339_1059 Depth=1
	v_lshrrev_b32_e32 v0, 3, v13
	v_cmp_gt_u32_e64 s1, 8, v13
	v_dual_mov_b32 v14, v12 :: v_dual_mov_b32 v13, v11
	s_delay_alu instid0(VALU_DEP_2)
	s_and_saveexec_b32 s15, s1
; %bb.1591:                             ;   in Loop: Header=BB339_1059 Depth=1
	v_and_b32_e32 v0, 7, v11
	s_delay_alu instid0(VALU_DEP_1) | instskip(NEXT) | instid1(VALU_DEP_1)
	v_clz_i32_u32_e32 v0, v0
	v_min_u32_e32 v0, 32, v0
	s_delay_alu instid0(VALU_DEP_1) | instskip(SKIP_1) | instid1(VALU_DEP_2)
	v_subrev_nc_u32_e32 v13, 28, v0
	v_sub_nc_u32_e32 v0, 29, v0
	v_lshlrev_b64 v[13:14], v13, v[11:12]
; %bb.1592:                             ;   in Loop: Header=BB339_1059 Depth=1
	s_or_b32 exec_lo, exec_lo, s15
	v_lshlrev_b32_e32 v14, 8, v11
	s_delay_alu instid0(VALU_DEP_3) | instskip(NEXT) | instid1(VALU_DEP_3)
	v_lshl_add_u32 v0, v0, 10, 0x2000
	v_lshlrev_b32_e32 v13, 7, v13
	s_delay_alu instid0(VALU_DEP_2) | instskip(NEXT) | instid1(VALU_DEP_1)
	v_and_or_b32 v0, 0x8000, v14, v0
	v_and_or_b32 v0, 0x380, v13, v0
	s_delay_alu instid0(VALU_DEP_1)
	v_cvt_f32_f16_e32 v114, v0
.LBB339_1593:                           ;   in Loop: Header=BB339_1059 Depth=1
	s_or_b32 exec_lo, exec_lo, s13
.LBB339_1594:                           ;   in Loop: Header=BB339_1059 Depth=1
	s_delay_alu instid0(SALU_CYCLE_1)
	s_or_b32 exec_lo, exec_lo, s12
.LBB339_1595:                           ;   in Loop: Header=BB339_1059 Depth=1
	s_delay_alu instid0(SALU_CYCLE_1) | instskip(SKIP_2) | instid1(VALU_DEP_1)
	s_or_b32 exec_lo, exec_lo, s9
	v_lshrrev_b16 v0, 8, v11
	s_mov_b32 s9, exec_lo
	v_cmpx_ne_u16_e32 0, v0
	s_cbranch_execz .LBB339_1603
; %bb.1596:                             ;   in Loop: Header=BB339_1059 Depth=1
	v_bfrev_b32_e32 v115, 1
	s_mov_b32 s12, exec_lo
	v_cmpx_ne_u16_e32 0x80, v0
	s_cbranch_execz .LBB339_1602
; %bb.1597:                             ;   in Loop: Header=BB339_1059 Depth=1
	v_and_b32_e32 v116, 0xffff, v0
	v_mov_b32_e32 v115, 0x7fc02000
	s_mov_b32 s13, exec_lo
	s_delay_alu instid0(VALU_DEP_2) | instskip(NEXT) | instid1(VALU_DEP_1)
	v_and_b32_e32 v13, 0x7f, v116
	v_cmpx_ne_u32_e32 0x7f, v13
	s_cbranch_execz .LBB339_1601
; %bb.1598:                             ;   in Loop: Header=BB339_1059 Depth=1
	v_and_b32_e32 v0, 7, v116
	v_lshrrev_b32_e32 v115, 3, v13
	v_cmp_gt_u32_e64 s1, 8, v13
	s_delay_alu instid0(VALU_DEP_3) | instskip(NEXT) | instid1(VALU_DEP_2)
	v_dual_mov_b32 v14, v1 :: v_dual_mov_b32 v13, v0
	s_and_saveexec_b32 s15, s1
; %bb.1599:                             ;   in Loop: Header=BB339_1059 Depth=1
	v_clz_i32_u32_e32 v13, v0
	s_delay_alu instid0(VALU_DEP_1) | instskip(NEXT) | instid1(VALU_DEP_1)
	v_min_u32_e32 v115, 32, v13
	v_subrev_nc_u32_e32 v13, 28, v115
	v_sub_nc_u32_e32 v115, 29, v115
	s_delay_alu instid0(VALU_DEP_2) | instskip(NEXT) | instid1(VALU_DEP_1)
	v_lshlrev_b64 v[13:14], v13, v[0:1]
	v_and_b32_e32 v13, 7, v13
; %bb.1600:                             ;   in Loop: Header=BB339_1059 Depth=1
	s_or_b32 exec_lo, exec_lo, s15
	v_lshlrev_b32_e32 v0, 8, v116
	v_lshl_add_u32 v14, v115, 10, 0x2000
	s_delay_alu instid0(VALU_DEP_1) | instskip(NEXT) | instid1(VALU_DEP_1)
	v_and_or_b32 v0, 0x8000, v0, v14
	v_lshl_or_b32 v0, v13, 7, v0
	s_delay_alu instid0(VALU_DEP_1)
	v_cvt_f32_f16_e32 v115, v0
.LBB339_1601:                           ;   in Loop: Header=BB339_1059 Depth=1
	s_or_b32 exec_lo, exec_lo, s13
.LBB339_1602:                           ;   in Loop: Header=BB339_1059 Depth=1
	s_delay_alu instid0(SALU_CYCLE_1)
	s_or_b32 exec_lo, exec_lo, s12
.LBB339_1603:                           ;   in Loop: Header=BB339_1059 Depth=1
	s_delay_alu instid0(SALU_CYCLE_1) | instskip(SKIP_3) | instid1(VALU_DEP_2)
	s_or_b32 exec_lo, exec_lo, s9
	v_lshrrev_b32_e32 v118, 16, v11
	v_mov_b32_e32 v116, 0
	s_mov_b32 s9, exec_lo
	v_dual_mov_b32 v117, 0 :: v_dual_and_b32 v0, 0xff, v118
	s_delay_alu instid0(VALU_DEP_1)
	v_cmpx_ne_u16_e32 0, v0
	s_cbranch_execz .LBB339_1611
; %bb.1604:                             ;   in Loop: Header=BB339_1059 Depth=1
	v_bfrev_b32_e32 v116, 1
	s_mov_b32 s12, exec_lo
	v_cmpx_ne_u16_e32 0x80, v0
	s_cbranch_execz .LBB339_1610
; %bb.1605:                             ;   in Loop: Header=BB339_1059 Depth=1
	v_bfe_u32 v13, v11, 16, 7
	v_mov_b32_e32 v116, 0x7fc02000
	s_mov_b32 s13, exec_lo
	s_delay_alu instid0(VALU_DEP_2)
	v_cmpx_ne_u32_e32 0x7f, v13
	s_cbranch_execz .LBB339_1609
; %bb.1606:                             ;   in Loop: Header=BB339_1059 Depth=1
	v_and_b32_e32 v0, 7, v118
	v_lshrrev_b32_e32 v116, 3, v13
	v_cmp_gt_u32_e64 s1, 8, v13
	s_delay_alu instid0(VALU_DEP_3) | instskip(NEXT) | instid1(VALU_DEP_2)
	v_dual_mov_b32 v14, v1 :: v_dual_mov_b32 v13, v0
	s_and_saveexec_b32 s15, s1
; %bb.1607:                             ;   in Loop: Header=BB339_1059 Depth=1
	v_clz_i32_u32_e32 v13, v0
	s_delay_alu instid0(VALU_DEP_1) | instskip(NEXT) | instid1(VALU_DEP_1)
	v_min_u32_e32 v116, 32, v13
	v_subrev_nc_u32_e32 v13, 28, v116
	v_sub_nc_u32_e32 v116, 29, v116
	s_delay_alu instid0(VALU_DEP_2) | instskip(NEXT) | instid1(VALU_DEP_1)
	v_lshlrev_b64 v[13:14], v13, v[0:1]
	v_and_b32_e32 v13, 7, v13
; %bb.1608:                             ;   in Loop: Header=BB339_1059 Depth=1
	s_or_b32 exec_lo, exec_lo, s15
	v_lshlrev_b32_e32 v0, 8, v118
	v_lshl_add_u32 v14, v116, 10, 0x2000
	s_delay_alu instid0(VALU_DEP_1) | instskip(NEXT) | instid1(VALU_DEP_1)
	v_and_or_b32 v0, 0x8000, v0, v14
	v_lshl_or_b32 v0, v13, 7, v0
	s_delay_alu instid0(VALU_DEP_1)
	v_cvt_f32_f16_e32 v116, v0
.LBB339_1609:                           ;   in Loop: Header=BB339_1059 Depth=1
	s_or_b32 exec_lo, exec_lo, s13
.LBB339_1610:                           ;   in Loop: Header=BB339_1059 Depth=1
	s_delay_alu instid0(SALU_CYCLE_1)
	s_or_b32 exec_lo, exec_lo, s12
.LBB339_1611:                           ;   in Loop: Header=BB339_1059 Depth=1
	s_delay_alu instid0(SALU_CYCLE_1) | instskip(NEXT) | instid1(SALU_CYCLE_1)
	s_or_b32 exec_lo, exec_lo, s9
	s_mov_b32 s9, exec_lo
	v_cmpx_lt_u32_e32 0xffffff, v11
	s_cbranch_execz .LBB339_1619
; %bb.1612:                             ;   in Loop: Header=BB339_1059 Depth=1
	v_lshrrev_b32_e32 v118, 24, v11
	v_bfrev_b32_e32 v117, 1
	s_mov_b32 s12, exec_lo
	s_delay_alu instid0(VALU_DEP_2)
	v_cmpx_ne_u32_e32 0x80, v118
	s_cbranch_execz .LBB339_1618
; %bb.1613:                             ;   in Loop: Header=BB339_1059 Depth=1
	v_and_b32_e32 v13, 0x7f, v118
	v_mov_b32_e32 v117, 0x7fc02000
	s_mov_b32 s13, exec_lo
	s_delay_alu instid0(VALU_DEP_2)
	v_cmpx_ne_u32_e32 0x7f, v13
	s_cbranch_execz .LBB339_1617
; %bb.1614:                             ;   in Loop: Header=BB339_1059 Depth=1
	v_and_b32_e32 v0, 7, v118
	v_lshrrev_b32_e32 v117, 3, v13
	v_cmp_gt_u32_e64 s1, 8, v13
	s_delay_alu instid0(VALU_DEP_3) | instskip(NEXT) | instid1(VALU_DEP_2)
	v_dual_mov_b32 v14, v1 :: v_dual_mov_b32 v13, v0
	s_and_saveexec_b32 s15, s1
; %bb.1615:                             ;   in Loop: Header=BB339_1059 Depth=1
	v_clz_i32_u32_e32 v13, v0
	s_delay_alu instid0(VALU_DEP_1) | instskip(NEXT) | instid1(VALU_DEP_1)
	v_min_u32_e32 v117, 32, v13
	v_subrev_nc_u32_e32 v13, 28, v117
	v_sub_nc_u32_e32 v117, 29, v117
	s_delay_alu instid0(VALU_DEP_2) | instskip(NEXT) | instid1(VALU_DEP_1)
	v_lshlrev_b64 v[13:14], v13, v[0:1]
	v_and_b32_e32 v13, 7, v13
; %bb.1616:                             ;   in Loop: Header=BB339_1059 Depth=1
	s_or_b32 exec_lo, exec_lo, s15
	v_lshlrev_b32_e32 v0, 8, v118
	v_lshl_add_u32 v14, v117, 10, 0x2000
	s_delay_alu instid0(VALU_DEP_1) | instskip(NEXT) | instid1(VALU_DEP_1)
	v_and_or_b32 v0, 0x8000, v0, v14
	v_lshl_or_b32 v0, v13, 7, v0
	s_delay_alu instid0(VALU_DEP_1)
	v_cvt_f32_f16_e32 v117, v0
.LBB339_1617:                           ;   in Loop: Header=BB339_1059 Depth=1
	s_or_b32 exec_lo, exec_lo, s13
.LBB339_1618:                           ;   in Loop: Header=BB339_1059 Depth=1
	s_delay_alu instid0(SALU_CYCLE_1)
	s_or_b32 exec_lo, exec_lo, s12
.LBB339_1619:                           ;   in Loop: Header=BB339_1059 Depth=1
	s_delay_alu instid0(SALU_CYCLE_1) | instskip(SKIP_3) | instid1(VALU_DEP_2)
	s_or_b32 exec_lo, exec_lo, s9
	v_dual_mov_b32 v0, v12 :: v_dual_and_b32 v13, 0xff, v12
	v_dual_mov_b32 v119, 0 :: v_dual_mov_b32 v118, 0
	s_mov_b32 s9, exec_lo
	v_cmpx_ne_u16_e32 0, v13
	s_cbranch_execz .LBB339_1627
; %bb.1620:                             ;   in Loop: Header=BB339_1059 Depth=1
	v_bfrev_b32_e32 v118, 1
	s_mov_b32 s12, exec_lo
	v_cmpx_ne_u16_e32 0x80, v13
	s_cbranch_execz .LBB339_1626
; %bb.1621:                             ;   in Loop: Header=BB339_1059 Depth=1
	v_and_b32_e32 v13, 0x7f, v12
	v_mov_b32_e32 v118, 0x7fc02000
	s_mov_b32 s13, exec_lo
	s_delay_alu instid0(VALU_DEP_2)
	v_cmpx_ne_u32_e32 0x7f, v13
	s_cbranch_execz .LBB339_1625
; %bb.1622:                             ;   in Loop: Header=BB339_1059 Depth=1
	v_lshrrev_b32_e32 v118, 3, v13
	v_cmp_gt_u32_e64 s1, 8, v13
	v_dual_mov_b32 v14, v1 :: v_dual_mov_b32 v13, v0
	s_delay_alu instid0(VALU_DEP_2)
	s_and_saveexec_b32 s15, s1
; %bb.1623:                             ;   in Loop: Header=BB339_1059 Depth=1
	v_and_b32_e32 v13, 7, v12
	s_delay_alu instid0(VALU_DEP_1) | instskip(NEXT) | instid1(VALU_DEP_1)
	v_clz_i32_u32_e32 v13, v13
	v_min_u32_e32 v118, 32, v13
	s_delay_alu instid0(VALU_DEP_1) | instskip(SKIP_1) | instid1(VALU_DEP_2)
	v_subrev_nc_u32_e32 v13, 28, v118
	v_sub_nc_u32_e32 v118, 29, v118
	v_lshlrev_b64 v[13:14], v13, v[0:1]
; %bb.1624:                             ;   in Loop: Header=BB339_1059 Depth=1
	s_or_b32 exec_lo, exec_lo, s15
	v_lshlrev_b32_e32 v14, 8, v12
	s_delay_alu instid0(VALU_DEP_3) | instskip(NEXT) | instid1(VALU_DEP_3)
	v_lshl_add_u32 v118, v118, 10, 0x2000
	v_lshlrev_b32_e32 v13, 7, v13
	s_delay_alu instid0(VALU_DEP_2) | instskip(NEXT) | instid1(VALU_DEP_1)
	v_and_or_b32 v14, 0x8000, v14, v118
	v_and_or_b32 v13, 0x380, v13, v14
	s_delay_alu instid0(VALU_DEP_1)
	v_cvt_f32_f16_e32 v118, v13
.LBB339_1625:                           ;   in Loop: Header=BB339_1059 Depth=1
	s_or_b32 exec_lo, exec_lo, s13
.LBB339_1626:                           ;   in Loop: Header=BB339_1059 Depth=1
	s_delay_alu instid0(SALU_CYCLE_1)
	s_or_b32 exec_lo, exec_lo, s12
.LBB339_1627:                           ;   in Loop: Header=BB339_1059 Depth=1
	s_delay_alu instid0(SALU_CYCLE_1) | instskip(SKIP_2) | instid1(VALU_DEP_1)
	s_or_b32 exec_lo, exec_lo, s9
	v_lshrrev_b16 v0, 8, v0
	s_mov_b32 s9, exec_lo
	v_cmpx_ne_u16_e32 0, v0
	s_cbranch_execz .LBB339_1635
; %bb.1628:                             ;   in Loop: Header=BB339_1059 Depth=1
	v_bfrev_b32_e32 v119, 1
	s_mov_b32 s12, exec_lo
	v_cmpx_ne_u16_e32 0x80, v0
	s_cbranch_execz .LBB339_1634
; %bb.1629:                             ;   in Loop: Header=BB339_1059 Depth=1
	v_and_b32_e32 v128, 0xffff, v0
	v_mov_b32_e32 v119, 0x7fc02000
	s_mov_b32 s13, exec_lo
	s_delay_alu instid0(VALU_DEP_2) | instskip(NEXT) | instid1(VALU_DEP_1)
	v_and_b32_e32 v13, 0x7f, v128
	v_cmpx_ne_u32_e32 0x7f, v13
	s_cbranch_execz .LBB339_1633
; %bb.1630:                             ;   in Loop: Header=BB339_1059 Depth=1
	v_and_b32_e32 v0, 7, v128
	v_lshrrev_b32_e32 v119, 3, v13
	v_cmp_gt_u32_e64 s1, 8, v13
	s_delay_alu instid0(VALU_DEP_3) | instskip(NEXT) | instid1(VALU_DEP_2)
	v_dual_mov_b32 v14, v1 :: v_dual_mov_b32 v13, v0
	s_and_saveexec_b32 s15, s1
; %bb.1631:                             ;   in Loop: Header=BB339_1059 Depth=1
	v_clz_i32_u32_e32 v13, v0
	s_delay_alu instid0(VALU_DEP_1) | instskip(NEXT) | instid1(VALU_DEP_1)
	v_min_u32_e32 v119, 32, v13
	v_subrev_nc_u32_e32 v13, 28, v119
	v_sub_nc_u32_e32 v119, 29, v119
	s_delay_alu instid0(VALU_DEP_2) | instskip(NEXT) | instid1(VALU_DEP_1)
	v_lshlrev_b64 v[13:14], v13, v[0:1]
	v_and_b32_e32 v13, 7, v13
; %bb.1632:                             ;   in Loop: Header=BB339_1059 Depth=1
	s_or_b32 exec_lo, exec_lo, s15
	v_lshlrev_b32_e32 v0, 8, v128
	v_lshl_add_u32 v14, v119, 10, 0x2000
	s_delay_alu instid0(VALU_DEP_1) | instskip(NEXT) | instid1(VALU_DEP_1)
	v_and_or_b32 v0, 0x8000, v0, v14
	v_lshl_or_b32 v0, v13, 7, v0
	s_delay_alu instid0(VALU_DEP_1)
	v_cvt_f32_f16_e32 v119, v0
.LBB339_1633:                           ;   in Loop: Header=BB339_1059 Depth=1
	s_or_b32 exec_lo, exec_lo, s13
.LBB339_1634:                           ;   in Loop: Header=BB339_1059 Depth=1
	s_delay_alu instid0(SALU_CYCLE_1)
	s_or_b32 exec_lo, exec_lo, s12
.LBB339_1635:                           ;   in Loop: Header=BB339_1059 Depth=1
	s_delay_alu instid0(SALU_CYCLE_1) | instskip(SKIP_3) | instid1(VALU_DEP_2)
	s_or_b32 exec_lo, exec_lo, s9
	v_lshrrev_b32_e32 v129, 16, v12
	v_mov_b32_e32 v128, 0
	s_mov_b32 s9, exec_lo
	v_dual_mov_b32 v13, 0 :: v_dual_and_b32 v0, 0xff, v129
	s_delay_alu instid0(VALU_DEP_1)
	v_cmpx_ne_u16_e32 0, v0
	s_cbranch_execz .LBB339_1643
; %bb.1636:                             ;   in Loop: Header=BB339_1059 Depth=1
	v_bfrev_b32_e32 v13, 1
	s_mov_b32 s12, exec_lo
	v_cmpx_ne_u16_e32 0x80, v0
	s_cbranch_execz .LBB339_1642
; %bb.1637:                             ;   in Loop: Header=BB339_1059 Depth=1
	v_bfe_u32 v14, v12, 16, 7
	v_mov_b32_e32 v13, 0x7fc02000
	s_mov_b32 s13, exec_lo
	s_delay_alu instid0(VALU_DEP_2)
	v_cmpx_ne_u32_e32 0x7f, v14
	s_cbranch_execz .LBB339_1641
; %bb.1638:                             ;   in Loop: Header=BB339_1059 Depth=1
	v_and_b32_e32 v0, 7, v129
	v_lshrrev_b32_e32 v130, 3, v14
	v_cmp_gt_u32_e64 s1, 8, v14
	s_delay_alu instid0(VALU_DEP_3) | instskip(NEXT) | instid1(VALU_DEP_2)
	v_dual_mov_b32 v14, v1 :: v_dual_mov_b32 v13, v0
	s_and_saveexec_b32 s15, s1
; %bb.1639:                             ;   in Loop: Header=BB339_1059 Depth=1
	v_clz_i32_u32_e32 v13, v0
	s_delay_alu instid0(VALU_DEP_1) | instskip(NEXT) | instid1(VALU_DEP_1)
	v_min_u32_e32 v130, 32, v13
	v_subrev_nc_u32_e32 v13, 28, v130
	v_sub_nc_u32_e32 v130, 29, v130
	s_delay_alu instid0(VALU_DEP_2) | instskip(NEXT) | instid1(VALU_DEP_1)
	v_lshlrev_b64 v[13:14], v13, v[0:1]
	v_and_b32_e32 v13, 7, v13
; %bb.1640:                             ;   in Loop: Header=BB339_1059 Depth=1
	s_or_b32 exec_lo, exec_lo, s15
	v_lshlrev_b32_e32 v0, 8, v129
	v_lshl_add_u32 v14, v130, 10, 0x2000
	s_delay_alu instid0(VALU_DEP_1) | instskip(NEXT) | instid1(VALU_DEP_1)
	v_and_or_b32 v0, 0x8000, v0, v14
	v_lshl_or_b32 v0, v13, 7, v0
	s_delay_alu instid0(VALU_DEP_1)
	v_cvt_f32_f16_e32 v13, v0
.LBB339_1641:                           ;   in Loop: Header=BB339_1059 Depth=1
	s_or_b32 exec_lo, exec_lo, s13
.LBB339_1642:                           ;   in Loop: Header=BB339_1059 Depth=1
	s_delay_alu instid0(SALU_CYCLE_1)
	s_or_b32 exec_lo, exec_lo, s12
.LBB339_1643:                           ;   in Loop: Header=BB339_1059 Depth=1
	s_delay_alu instid0(SALU_CYCLE_1) | instskip(NEXT) | instid1(SALU_CYCLE_1)
	s_or_b32 exec_lo, exec_lo, s9
	s_mov_b32 s9, exec_lo
	v_cmpx_lt_u64_e64 s[4:5], v[11:12]
	s_cbranch_execz .LBB339_1651
; %bb.1644:                             ;   in Loop: Header=BB339_1059 Depth=1
	v_lshrrev_b32_e32 v14, 24, v12
	v_bfrev_b32_e32 v128, 1
	s_mov_b32 s12, exec_lo
	s_delay_alu instid0(VALU_DEP_2)
	v_cmpx_ne_u32_e32 0x80, v14
	s_cbranch_execz .LBB339_1650
; %bb.1645:                             ;   in Loop: Header=BB339_1059 Depth=1
	v_and_b32_e32 v11, 0x7f, v14
	v_mov_b32_e32 v128, 0x7fc02000
	s_mov_b32 s13, exec_lo
	s_delay_alu instid0(VALU_DEP_2)
	v_cmpx_ne_u32_e32 0x7f, v11
	s_cbranch_execz .LBB339_1649
; %bb.1646:                             ;   in Loop: Header=BB339_1059 Depth=1
	v_and_b32_e32 v0, 7, v14
	v_lshrrev_b32_e32 v128, 3, v11
	v_cmp_gt_u32_e64 s1, 8, v11
	s_delay_alu instid0(VALU_DEP_3) | instskip(NEXT) | instid1(VALU_DEP_2)
	v_dual_mov_b32 v12, v1 :: v_dual_mov_b32 v11, v0
	s_and_saveexec_b32 s15, s1
; %bb.1647:                             ;   in Loop: Header=BB339_1059 Depth=1
	v_clz_i32_u32_e32 v11, v0
	s_delay_alu instid0(VALU_DEP_1) | instskip(NEXT) | instid1(VALU_DEP_1)
	v_min_u32_e32 v128, 32, v11
	v_subrev_nc_u32_e32 v11, 28, v128
	v_sub_nc_u32_e32 v128, 29, v128
	s_delay_alu instid0(VALU_DEP_2) | instskip(NEXT) | instid1(VALU_DEP_1)
	v_lshlrev_b64 v[11:12], v11, v[0:1]
	v_and_b32_e32 v11, 7, v11
; %bb.1648:                             ;   in Loop: Header=BB339_1059 Depth=1
	s_or_b32 exec_lo, exec_lo, s15
	v_lshlrev_b32_e32 v0, 8, v14
	v_lshl_add_u32 v12, v128, 10, 0x2000
	s_delay_alu instid0(VALU_DEP_1) | instskip(NEXT) | instid1(VALU_DEP_1)
	v_and_or_b32 v0, 0x8000, v0, v12
	v_lshl_or_b32 v0, v11, 7, v0
	s_delay_alu instid0(VALU_DEP_1)
	v_cvt_f32_f16_e64 v128, v0
.LBB339_1649:                           ;   in Loop: Header=BB339_1059 Depth=1
	s_or_b32 exec_lo, exec_lo, s13
.LBB339_1650:                           ;   in Loop: Header=BB339_1059 Depth=1
	s_delay_alu instid0(SALU_CYCLE_1)
	s_or_b32 exec_lo, exec_lo, s12
.LBB339_1651:                           ;   in Loop: Header=BB339_1059 Depth=1
	s_delay_alu instid0(SALU_CYCLE_1)
	s_or_b32 exec_lo, exec_lo, s9
	s_waitcnt vmcnt(0) lgkmcnt(0)
	v_fma_mixlo_f16 v12, v113, v115, 0
	v_fma_mixlo_f16 v0, v113, v117, 0
	;; [unrolled: 1-line block ×5, first 2 shown]
	v_lshlrev_b32_e32 v14, 16, v12
	v_fma_mixlo_f16 v116, v113, v118, 0
	v_fma_mixlo_f16 v117, v113, v128, 0
	;; [unrolled: 1-line block ×3, first 2 shown]
	v_lshlrev_b32_e32 v0, 16, v0
	v_and_b32_e32 v11, 0xffff, v11
	v_and_b32_e32 v113, 0xffff, v114
	v_lshlrev_b32_e32 v114, 16, v115
	v_and_b32_e32 v115, 0xffff, v116
	v_lshlrev_b32_e32 v116, 16, v117
	v_and_b32_e32 v117, 0xffff, v12
	v_or_b32_e32 v13, v0, v11
	v_or_b32_e32 v14, v14, v113
	;; [unrolled: 1-line block ×3, first 2 shown]
	s_delay_alu instid0(VALU_DEP_4)
	v_or_b32_e32 v11, v116, v117
	s_and_saveexec_b32 s9, vcc_lo
	s_cbranch_execz .LBB339_1653
; %bb.1652:                             ;   in Loop: Header=BB339_1059 Depth=1
	v_cmp_lt_i32_e64 s1, v15, v35
	v_lshrrev_b32_e32 v113, 16, v14
	v_lshrrev_b32_e32 v114, 16, v13
	;; [unrolled: 1-line block ×4, first 2 shown]
	v_cndmask_b32_e64 v14, 0, v14, s1
	v_cmp_lt_i32_e64 s1, v82, v39
	s_delay_alu instid0(VALU_DEP_1) | instskip(SKIP_1) | instid1(VALU_DEP_2)
	v_cndmask_b32_e64 v113, 0, v113, s1
	v_cmp_lt_i32_e64 s1, v81, v39
	v_perm_b32 v14, v113, v14, 0x5040100
	s_delay_alu instid0(VALU_DEP_2) | instskip(SKIP_1) | instid1(VALU_DEP_1)
	v_cndmask_b32_e64 v114, 0, v114, s1
	v_cmp_lt_i32_e64 s1, v70, v35
	v_cndmask_b32_e64 v13, 0, v13, s1
	v_cmp_lt_i32_e64 s1, v65, v39
	s_delay_alu instid0(VALU_DEP_2) | instskip(NEXT) | instid1(VALU_DEP_2)
	v_perm_b32 v13, v114, v13, 0x5040100
	v_cndmask_b32_e64 v115, 0, v115, s1
	v_cmp_lt_i32_e64 s1, v48, v35
	s_delay_alu instid0(VALU_DEP_1) | instskip(SKIP_1) | instid1(VALU_DEP_2)
	v_cndmask_b32_e64 v0, 0, v0, s1
	v_cmp_lt_i32_e64 s1, v23, v39
	v_perm_b32 v0, v115, v0, 0x5040100
	s_delay_alu instid0(VALU_DEP_2) | instskip(SKIP_1) | instid1(VALU_DEP_1)
	v_cndmask_b32_e64 v11, 0, v11, s1
	v_cmp_lt_i32_e64 s1, v17, v35
	v_cndmask_b32_e64 v12, 0, v12, s1
	s_delay_alu instid0(VALU_DEP_1)
	v_perm_b32 v11, v11, v12, 0x5040100
.LBB339_1653:                           ;   in Loop: Header=BB339_1059 Depth=1
	s_or_b32 exec_lo, exec_lo, s9
	;;#ASMSTART
	v_pk_mul_f16 v12, v80, v14;

	;;#ASMEND
	;;#ASMSTART
	v_pk_mul_f16 v13, v69, v13;

	;;#ASMEND
	;; [unrolled: 4-line block ×4, first 2 shown]
	;;#ASMSTART
	v_pk_add_f16 v12, v12, v13;

	;;#ASMEND
	;;#ASMSTART
	v_pk_add_f16 v0, v12, v0;

	;;#ASMEND
	;; [unrolled: 4-line block ×3, first 2 shown]
	v_dual_mov_b32 v116, 0 :: v_dual_and_b32 v11, 0xffff, v0
	v_lshrrev_b32_e32 v0, 16, v0
	;;#ASMSTART
	v_cvt_f32_f16 v113, v11;
	;;#ASMEND
	;;#ASMSTART
	v_cvt_f32_f16 v114, v0;
	;;#ASMEND
	flat_load_b64 v[11:12], v[9:10] offset:2304
	flat_load_b32 v115, v[26:27]
	s_mov_b32 s9, exec_lo
	s_waitcnt vmcnt(1) lgkmcnt(1)
	v_dual_mov_b32 v117, 0 :: v_dual_and_b32 v0, 0xff, v11
	s_delay_alu instid0(VALU_DEP_1)
	v_cmpx_ne_u16_e32 0, v0
	s_cbranch_execz .LBB339_1661
; %bb.1654:                             ;   in Loop: Header=BB339_1059 Depth=1
	v_bfrev_b32_e32 v116, 1
	s_mov_b32 s12, exec_lo
	v_cmpx_ne_u16_e32 0x80, v0
	s_cbranch_execz .LBB339_1660
; %bb.1655:                             ;   in Loop: Header=BB339_1059 Depth=1
	v_and_b32_e32 v13, 0x7f, v11
	v_mov_b32_e32 v116, 0x7fc02000
	s_mov_b32 s13, exec_lo
	s_delay_alu instid0(VALU_DEP_2)
	v_cmpx_ne_u32_e32 0x7f, v13
	s_cbranch_execz .LBB339_1659
; %bb.1656:                             ;   in Loop: Header=BB339_1059 Depth=1
	v_lshrrev_b32_e32 v0, 3, v13
	v_cmp_gt_u32_e64 s1, 8, v13
	v_dual_mov_b32 v14, v12 :: v_dual_mov_b32 v13, v11
	s_delay_alu instid0(VALU_DEP_2)
	s_and_saveexec_b32 s15, s1
; %bb.1657:                             ;   in Loop: Header=BB339_1059 Depth=1
	v_and_b32_e32 v0, 7, v11
	s_delay_alu instid0(VALU_DEP_1) | instskip(NEXT) | instid1(VALU_DEP_1)
	v_clz_i32_u32_e32 v0, v0
	v_min_u32_e32 v0, 32, v0
	s_delay_alu instid0(VALU_DEP_1) | instskip(SKIP_1) | instid1(VALU_DEP_2)
	v_subrev_nc_u32_e32 v13, 28, v0
	v_sub_nc_u32_e32 v0, 29, v0
	v_lshlrev_b64 v[13:14], v13, v[11:12]
; %bb.1658:                             ;   in Loop: Header=BB339_1059 Depth=1
	s_or_b32 exec_lo, exec_lo, s15
	v_lshlrev_b32_e32 v14, 8, v11
	s_delay_alu instid0(VALU_DEP_3) | instskip(NEXT) | instid1(VALU_DEP_3)
	v_lshl_add_u32 v0, v0, 10, 0x2000
	v_lshlrev_b32_e32 v13, 7, v13
	s_delay_alu instid0(VALU_DEP_2) | instskip(NEXT) | instid1(VALU_DEP_1)
	v_and_or_b32 v0, 0x8000, v14, v0
	v_and_or_b32 v0, 0x380, v13, v0
	s_delay_alu instid0(VALU_DEP_1)
	v_cvt_f32_f16_e32 v116, v0
.LBB339_1659:                           ;   in Loop: Header=BB339_1059 Depth=1
	s_or_b32 exec_lo, exec_lo, s13
.LBB339_1660:                           ;   in Loop: Header=BB339_1059 Depth=1
	s_delay_alu instid0(SALU_CYCLE_1)
	s_or_b32 exec_lo, exec_lo, s12
.LBB339_1661:                           ;   in Loop: Header=BB339_1059 Depth=1
	s_delay_alu instid0(SALU_CYCLE_1) | instskip(SKIP_2) | instid1(VALU_DEP_1)
	s_or_b32 exec_lo, exec_lo, s9
	v_lshrrev_b16 v0, 8, v11
	s_mov_b32 s9, exec_lo
	v_cmpx_ne_u16_e32 0, v0
	s_cbranch_execz .LBB339_1669
; %bb.1662:                             ;   in Loop: Header=BB339_1059 Depth=1
	v_bfrev_b32_e32 v117, 1
	s_mov_b32 s12, exec_lo
	v_cmpx_ne_u16_e32 0x80, v0
	s_cbranch_execz .LBB339_1668
; %bb.1663:                             ;   in Loop: Header=BB339_1059 Depth=1
	v_and_b32_e32 v118, 0xffff, v0
	v_mov_b32_e32 v117, 0x7fc02000
	s_mov_b32 s13, exec_lo
	s_delay_alu instid0(VALU_DEP_2) | instskip(NEXT) | instid1(VALU_DEP_1)
	v_and_b32_e32 v13, 0x7f, v118
	v_cmpx_ne_u32_e32 0x7f, v13
	s_cbranch_execz .LBB339_1667
; %bb.1664:                             ;   in Loop: Header=BB339_1059 Depth=1
	v_and_b32_e32 v0, 7, v118
	v_lshrrev_b32_e32 v117, 3, v13
	v_cmp_gt_u32_e64 s1, 8, v13
	s_delay_alu instid0(VALU_DEP_3) | instskip(NEXT) | instid1(VALU_DEP_2)
	v_dual_mov_b32 v14, v1 :: v_dual_mov_b32 v13, v0
	s_and_saveexec_b32 s15, s1
; %bb.1665:                             ;   in Loop: Header=BB339_1059 Depth=1
	v_clz_i32_u32_e32 v13, v0
	s_delay_alu instid0(VALU_DEP_1) | instskip(NEXT) | instid1(VALU_DEP_1)
	v_min_u32_e32 v117, 32, v13
	v_subrev_nc_u32_e32 v13, 28, v117
	v_sub_nc_u32_e32 v117, 29, v117
	s_delay_alu instid0(VALU_DEP_2) | instskip(NEXT) | instid1(VALU_DEP_1)
	v_lshlrev_b64 v[13:14], v13, v[0:1]
	v_and_b32_e32 v13, 7, v13
; %bb.1666:                             ;   in Loop: Header=BB339_1059 Depth=1
	s_or_b32 exec_lo, exec_lo, s15
	v_lshlrev_b32_e32 v0, 8, v118
	v_lshl_add_u32 v14, v117, 10, 0x2000
	s_delay_alu instid0(VALU_DEP_1) | instskip(NEXT) | instid1(VALU_DEP_1)
	v_and_or_b32 v0, 0x8000, v0, v14
	v_lshl_or_b32 v0, v13, 7, v0
	s_delay_alu instid0(VALU_DEP_1)
	v_cvt_f32_f16_e32 v117, v0
.LBB339_1667:                           ;   in Loop: Header=BB339_1059 Depth=1
	s_or_b32 exec_lo, exec_lo, s13
.LBB339_1668:                           ;   in Loop: Header=BB339_1059 Depth=1
	s_delay_alu instid0(SALU_CYCLE_1)
	s_or_b32 exec_lo, exec_lo, s12
.LBB339_1669:                           ;   in Loop: Header=BB339_1059 Depth=1
	s_delay_alu instid0(SALU_CYCLE_1) | instskip(SKIP_3) | instid1(VALU_DEP_2)
	s_or_b32 exec_lo, exec_lo, s9
	v_lshrrev_b32_e32 v128, 16, v11
	v_mov_b32_e32 v118, 0
	s_mov_b32 s9, exec_lo
	v_dual_mov_b32 v119, 0 :: v_dual_and_b32 v0, 0xff, v128
	s_delay_alu instid0(VALU_DEP_1)
	v_cmpx_ne_u16_e32 0, v0
	s_cbranch_execz .LBB339_1677
; %bb.1670:                             ;   in Loop: Header=BB339_1059 Depth=1
	v_bfrev_b32_e32 v118, 1
	s_mov_b32 s12, exec_lo
	v_cmpx_ne_u16_e32 0x80, v0
	s_cbranch_execz .LBB339_1676
; %bb.1671:                             ;   in Loop: Header=BB339_1059 Depth=1
	v_bfe_u32 v13, v11, 16, 7
	v_mov_b32_e32 v118, 0x7fc02000
	s_mov_b32 s13, exec_lo
	s_delay_alu instid0(VALU_DEP_2)
	v_cmpx_ne_u32_e32 0x7f, v13
	s_cbranch_execz .LBB339_1675
; %bb.1672:                             ;   in Loop: Header=BB339_1059 Depth=1
	v_and_b32_e32 v0, 7, v128
	v_lshrrev_b32_e32 v118, 3, v13
	v_cmp_gt_u32_e64 s1, 8, v13
	s_delay_alu instid0(VALU_DEP_3) | instskip(NEXT) | instid1(VALU_DEP_2)
	v_dual_mov_b32 v14, v1 :: v_dual_mov_b32 v13, v0
	s_and_saveexec_b32 s15, s1
; %bb.1673:                             ;   in Loop: Header=BB339_1059 Depth=1
	v_clz_i32_u32_e32 v13, v0
	s_delay_alu instid0(VALU_DEP_1) | instskip(NEXT) | instid1(VALU_DEP_1)
	v_min_u32_e32 v118, 32, v13
	v_subrev_nc_u32_e32 v13, 28, v118
	v_sub_nc_u32_e32 v118, 29, v118
	s_delay_alu instid0(VALU_DEP_2) | instskip(NEXT) | instid1(VALU_DEP_1)
	v_lshlrev_b64 v[13:14], v13, v[0:1]
	v_and_b32_e32 v13, 7, v13
; %bb.1674:                             ;   in Loop: Header=BB339_1059 Depth=1
	s_or_b32 exec_lo, exec_lo, s15
	v_lshlrev_b32_e32 v0, 8, v128
	v_lshl_add_u32 v14, v118, 10, 0x2000
	s_delay_alu instid0(VALU_DEP_1) | instskip(NEXT) | instid1(VALU_DEP_1)
	v_and_or_b32 v0, 0x8000, v0, v14
	v_lshl_or_b32 v0, v13, 7, v0
	s_delay_alu instid0(VALU_DEP_1)
	v_cvt_f32_f16_e32 v118, v0
.LBB339_1675:                           ;   in Loop: Header=BB339_1059 Depth=1
	s_or_b32 exec_lo, exec_lo, s13
.LBB339_1676:                           ;   in Loop: Header=BB339_1059 Depth=1
	s_delay_alu instid0(SALU_CYCLE_1)
	s_or_b32 exec_lo, exec_lo, s12
.LBB339_1677:                           ;   in Loop: Header=BB339_1059 Depth=1
	s_delay_alu instid0(SALU_CYCLE_1) | instskip(NEXT) | instid1(SALU_CYCLE_1)
	s_or_b32 exec_lo, exec_lo, s9
	s_mov_b32 s9, exec_lo
	v_cmpx_lt_u32_e32 0xffffff, v11
	s_cbranch_execz .LBB339_1685
; %bb.1678:                             ;   in Loop: Header=BB339_1059 Depth=1
	v_lshrrev_b32_e32 v128, 24, v11
	v_bfrev_b32_e32 v119, 1
	s_mov_b32 s12, exec_lo
	s_delay_alu instid0(VALU_DEP_2)
	v_cmpx_ne_u32_e32 0x80, v128
	s_cbranch_execz .LBB339_1684
; %bb.1679:                             ;   in Loop: Header=BB339_1059 Depth=1
	v_and_b32_e32 v13, 0x7f, v128
	v_mov_b32_e32 v119, 0x7fc02000
	s_mov_b32 s13, exec_lo
	s_delay_alu instid0(VALU_DEP_2)
	v_cmpx_ne_u32_e32 0x7f, v13
	s_cbranch_execz .LBB339_1683
; %bb.1680:                             ;   in Loop: Header=BB339_1059 Depth=1
	v_and_b32_e32 v0, 7, v128
	v_lshrrev_b32_e32 v119, 3, v13
	v_cmp_gt_u32_e64 s1, 8, v13
	s_delay_alu instid0(VALU_DEP_3) | instskip(NEXT) | instid1(VALU_DEP_2)
	v_dual_mov_b32 v14, v1 :: v_dual_mov_b32 v13, v0
	s_and_saveexec_b32 s15, s1
; %bb.1681:                             ;   in Loop: Header=BB339_1059 Depth=1
	v_clz_i32_u32_e32 v13, v0
	s_delay_alu instid0(VALU_DEP_1) | instskip(NEXT) | instid1(VALU_DEP_1)
	v_min_u32_e32 v119, 32, v13
	v_subrev_nc_u32_e32 v13, 28, v119
	v_sub_nc_u32_e32 v119, 29, v119
	s_delay_alu instid0(VALU_DEP_2) | instskip(NEXT) | instid1(VALU_DEP_1)
	v_lshlrev_b64 v[13:14], v13, v[0:1]
	v_and_b32_e32 v13, 7, v13
; %bb.1682:                             ;   in Loop: Header=BB339_1059 Depth=1
	s_or_b32 exec_lo, exec_lo, s15
	v_lshlrev_b32_e32 v0, 8, v128
	v_lshl_add_u32 v14, v119, 10, 0x2000
	s_delay_alu instid0(VALU_DEP_1) | instskip(NEXT) | instid1(VALU_DEP_1)
	v_and_or_b32 v0, 0x8000, v0, v14
	v_lshl_or_b32 v0, v13, 7, v0
	s_delay_alu instid0(VALU_DEP_1)
	v_cvt_f32_f16_e32 v119, v0
.LBB339_1683:                           ;   in Loop: Header=BB339_1059 Depth=1
	s_or_b32 exec_lo, exec_lo, s13
.LBB339_1684:                           ;   in Loop: Header=BB339_1059 Depth=1
	s_delay_alu instid0(SALU_CYCLE_1)
	s_or_b32 exec_lo, exec_lo, s12
.LBB339_1685:                           ;   in Loop: Header=BB339_1059 Depth=1
	s_delay_alu instid0(SALU_CYCLE_1) | instskip(SKIP_3) | instid1(VALU_DEP_2)
	s_or_b32 exec_lo, exec_lo, s9
	v_dual_mov_b32 v0, v12 :: v_dual_and_b32 v13, 0xff, v12
	v_dual_mov_b32 v129, 0 :: v_dual_mov_b32 v128, 0
	s_mov_b32 s9, exec_lo
	v_cmpx_ne_u16_e32 0, v13
	s_cbranch_execz .LBB339_1693
; %bb.1686:                             ;   in Loop: Header=BB339_1059 Depth=1
	v_bfrev_b32_e32 v128, 1
	s_mov_b32 s12, exec_lo
	v_cmpx_ne_u16_e32 0x80, v13
	s_cbranch_execz .LBB339_1692
; %bb.1687:                             ;   in Loop: Header=BB339_1059 Depth=1
	v_and_b32_e32 v13, 0x7f, v12
	v_mov_b32_e32 v128, 0x7fc02000
	s_mov_b32 s13, exec_lo
	s_delay_alu instid0(VALU_DEP_2)
	v_cmpx_ne_u32_e32 0x7f, v13
	s_cbranch_execz .LBB339_1691
; %bb.1688:                             ;   in Loop: Header=BB339_1059 Depth=1
	v_lshrrev_b32_e32 v128, 3, v13
	v_cmp_gt_u32_e64 s1, 8, v13
	v_dual_mov_b32 v14, v1 :: v_dual_mov_b32 v13, v0
	s_delay_alu instid0(VALU_DEP_2)
	s_and_saveexec_b32 s15, s1
; %bb.1689:                             ;   in Loop: Header=BB339_1059 Depth=1
	v_and_b32_e32 v13, 7, v12
	s_delay_alu instid0(VALU_DEP_1) | instskip(NEXT) | instid1(VALU_DEP_1)
	v_clz_i32_u32_e32 v13, v13
	v_min_u32_e32 v128, 32, v13
	s_delay_alu instid0(VALU_DEP_1) | instskip(SKIP_1) | instid1(VALU_DEP_2)
	v_subrev_nc_u32_e32 v13, 28, v128
	v_sub_nc_u32_e32 v128, 29, v128
	v_lshlrev_b64 v[13:14], v13, v[0:1]
; %bb.1690:                             ;   in Loop: Header=BB339_1059 Depth=1
	s_or_b32 exec_lo, exec_lo, s15
	v_lshlrev_b32_e32 v14, 8, v12
	s_delay_alu instid0(VALU_DEP_3) | instskip(NEXT) | instid1(VALU_DEP_3)
	v_lshl_add_u32 v128, v128, 10, 0x2000
	v_lshlrev_b32_e32 v13, 7, v13
	s_delay_alu instid0(VALU_DEP_2) | instskip(NEXT) | instid1(VALU_DEP_1)
	v_and_or_b32 v14, 0x8000, v14, v128
	v_and_or_b32 v13, 0x380, v13, v14
	s_delay_alu instid0(VALU_DEP_1)
	v_cvt_f32_f16_e64 v128, v13
.LBB339_1691:                           ;   in Loop: Header=BB339_1059 Depth=1
	s_or_b32 exec_lo, exec_lo, s13
.LBB339_1692:                           ;   in Loop: Header=BB339_1059 Depth=1
	s_delay_alu instid0(SALU_CYCLE_1)
	s_or_b32 exec_lo, exec_lo, s12
.LBB339_1693:                           ;   in Loop: Header=BB339_1059 Depth=1
	s_delay_alu instid0(SALU_CYCLE_1) | instskip(SKIP_2) | instid1(VALU_DEP_1)
	s_or_b32 exec_lo, exec_lo, s9
	v_lshrrev_b16 v0, 8, v0
	s_mov_b32 s9, exec_lo
	v_cmpx_ne_u16_e32 0, v0
	s_cbranch_execz .LBB339_1701
; %bb.1694:                             ;   in Loop: Header=BB339_1059 Depth=1
	v_bfrev_b32_e32 v129, 1
	s_mov_b32 s12, exec_lo
	v_cmpx_ne_u16_e32 0x80, v0
	s_cbranch_execz .LBB339_1700
; %bb.1695:                             ;   in Loop: Header=BB339_1059 Depth=1
	v_and_b32_e32 v130, 0xffff, v0
	v_mov_b32_e32 v129, 0x7fc02000
	s_mov_b32 s13, exec_lo
	s_delay_alu instid0(VALU_DEP_2) | instskip(NEXT) | instid1(VALU_DEP_1)
	v_and_b32_e32 v13, 0x7f, v130
	v_cmpx_ne_u32_e32 0x7f, v13
	s_cbranch_execz .LBB339_1699
; %bb.1696:                             ;   in Loop: Header=BB339_1059 Depth=1
	v_and_b32_e32 v0, 7, v130
	v_lshrrev_b32_e32 v129, 3, v13
	v_cmp_gt_u32_e64 s1, 8, v13
	s_delay_alu instid0(VALU_DEP_3) | instskip(NEXT) | instid1(VALU_DEP_2)
	v_dual_mov_b32 v14, v1 :: v_dual_mov_b32 v13, v0
	s_and_saveexec_b32 s15, s1
; %bb.1697:                             ;   in Loop: Header=BB339_1059 Depth=1
	v_clz_i32_u32_e32 v13, v0
	s_delay_alu instid0(VALU_DEP_1) | instskip(NEXT) | instid1(VALU_DEP_1)
	v_min_u32_e32 v129, 32, v13
	v_subrev_nc_u32_e32 v13, 28, v129
	v_sub_nc_u32_e32 v129, 29, v129
	s_delay_alu instid0(VALU_DEP_2) | instskip(NEXT) | instid1(VALU_DEP_1)
	v_lshlrev_b64 v[13:14], v13, v[0:1]
	v_and_b32_e32 v13, 7, v13
; %bb.1698:                             ;   in Loop: Header=BB339_1059 Depth=1
	s_or_b32 exec_lo, exec_lo, s15
	v_lshlrev_b32_e32 v0, 8, v130
	v_lshl_add_u32 v14, v129, 10, 0x2000
	s_delay_alu instid0(VALU_DEP_1) | instskip(NEXT) | instid1(VALU_DEP_1)
	v_and_or_b32 v0, 0x8000, v0, v14
	v_lshl_or_b32 v0, v13, 7, v0
	s_delay_alu instid0(VALU_DEP_1)
	v_cvt_f32_f16_e64 v129, v0
.LBB339_1699:                           ;   in Loop: Header=BB339_1059 Depth=1
	s_or_b32 exec_lo, exec_lo, s13
.LBB339_1700:                           ;   in Loop: Header=BB339_1059 Depth=1
	s_delay_alu instid0(SALU_CYCLE_1)
	s_or_b32 exec_lo, exec_lo, s12
.LBB339_1701:                           ;   in Loop: Header=BB339_1059 Depth=1
	s_delay_alu instid0(SALU_CYCLE_1) | instskip(SKIP_3) | instid1(VALU_DEP_2)
	s_or_b32 exec_lo, exec_lo, s9
	v_lshrrev_b32_e32 v131, 16, v12
	v_mov_b32_e32 v130, 0
	s_mov_b32 s9, exec_lo
	v_dual_mov_b32 v13, 0 :: v_dual_and_b32 v0, 0xff, v131
	s_delay_alu instid0(VALU_DEP_1)
	v_cmpx_ne_u16_e32 0, v0
	s_cbranch_execz .LBB339_1709
; %bb.1702:                             ;   in Loop: Header=BB339_1059 Depth=1
	v_bfrev_b32_e32 v13, 1
	s_mov_b32 s12, exec_lo
	v_cmpx_ne_u16_e32 0x80, v0
	s_cbranch_execz .LBB339_1708
; %bb.1703:                             ;   in Loop: Header=BB339_1059 Depth=1
	v_bfe_u32 v14, v12, 16, 7
	v_mov_b32_e32 v13, 0x7fc02000
	s_mov_b32 s13, exec_lo
	s_delay_alu instid0(VALU_DEP_2)
	v_cmpx_ne_u32_e32 0x7f, v14
	s_cbranch_execz .LBB339_1707
; %bb.1704:                             ;   in Loop: Header=BB339_1059 Depth=1
	v_and_b32_e32 v0, 7, v131
	v_lshrrev_b32_e32 v132, 3, v14
	v_cmp_gt_u32_e64 s1, 8, v14
	s_delay_alu instid0(VALU_DEP_3) | instskip(NEXT) | instid1(VALU_DEP_2)
	v_dual_mov_b32 v14, v1 :: v_dual_mov_b32 v13, v0
	s_and_saveexec_b32 s15, s1
; %bb.1705:                             ;   in Loop: Header=BB339_1059 Depth=1
	v_clz_i32_u32_e32 v13, v0
	s_delay_alu instid0(VALU_DEP_1) | instskip(NEXT) | instid1(VALU_DEP_1)
	v_min_u32_e32 v132, 32, v13
	v_subrev_nc_u32_e32 v13, 28, v132
	v_sub_nc_u32_e32 v132, 29, v132
	s_delay_alu instid0(VALU_DEP_2) | instskip(NEXT) | instid1(VALU_DEP_1)
	v_lshlrev_b64 v[13:14], v13, v[0:1]
	v_and_b32_e32 v13, 7, v13
; %bb.1706:                             ;   in Loop: Header=BB339_1059 Depth=1
	s_or_b32 exec_lo, exec_lo, s15
	v_lshlrev_b32_e32 v0, 8, v131
	v_lshl_add_u32 v14, v132, 10, 0x2000
	s_delay_alu instid0(VALU_DEP_1) | instskip(NEXT) | instid1(VALU_DEP_1)
	v_and_or_b32 v0, 0x8000, v0, v14
	v_lshl_or_b32 v0, v13, 7, v0
	s_delay_alu instid0(VALU_DEP_1)
	v_cvt_f32_f16_e32 v13, v0
.LBB339_1707:                           ;   in Loop: Header=BB339_1059 Depth=1
	s_or_b32 exec_lo, exec_lo, s13
.LBB339_1708:                           ;   in Loop: Header=BB339_1059 Depth=1
	s_delay_alu instid0(SALU_CYCLE_1)
	s_or_b32 exec_lo, exec_lo, s12
.LBB339_1709:                           ;   in Loop: Header=BB339_1059 Depth=1
	s_delay_alu instid0(SALU_CYCLE_1) | instskip(NEXT) | instid1(SALU_CYCLE_1)
	s_or_b32 exec_lo, exec_lo, s9
	s_mov_b32 s9, exec_lo
	v_cmpx_lt_u64_e64 s[4:5], v[11:12]
	s_cbranch_execz .LBB339_1717
; %bb.1710:                             ;   in Loop: Header=BB339_1059 Depth=1
	v_lshrrev_b32_e32 v14, 24, v12
	v_bfrev_b32_e32 v130, 1
	s_mov_b32 s12, exec_lo
	s_delay_alu instid0(VALU_DEP_2)
	v_cmpx_ne_u32_e32 0x80, v14
	s_cbranch_execz .LBB339_1716
; %bb.1711:                             ;   in Loop: Header=BB339_1059 Depth=1
	v_and_b32_e32 v11, 0x7f, v14
	v_mov_b32_e32 v130, 0x7fc02000
	s_mov_b32 s13, exec_lo
	s_delay_alu instid0(VALU_DEP_2)
	v_cmpx_ne_u32_e32 0x7f, v11
	s_cbranch_execz .LBB339_1715
; %bb.1712:                             ;   in Loop: Header=BB339_1059 Depth=1
	v_and_b32_e32 v0, 7, v14
	v_lshrrev_b32_e32 v130, 3, v11
	v_cmp_gt_u32_e64 s1, 8, v11
	s_delay_alu instid0(VALU_DEP_3) | instskip(NEXT) | instid1(VALU_DEP_2)
	v_dual_mov_b32 v12, v1 :: v_dual_mov_b32 v11, v0
	s_and_saveexec_b32 s15, s1
; %bb.1713:                             ;   in Loop: Header=BB339_1059 Depth=1
	v_clz_i32_u32_e32 v11, v0
	s_delay_alu instid0(VALU_DEP_1) | instskip(NEXT) | instid1(VALU_DEP_1)
	v_min_u32_e32 v130, 32, v11
	v_subrev_nc_u32_e32 v11, 28, v130
	v_sub_nc_u32_e32 v130, 29, v130
	s_delay_alu instid0(VALU_DEP_2) | instskip(NEXT) | instid1(VALU_DEP_1)
	v_lshlrev_b64 v[11:12], v11, v[0:1]
	v_and_b32_e32 v11, 7, v11
; %bb.1714:                             ;   in Loop: Header=BB339_1059 Depth=1
	s_or_b32 exec_lo, exec_lo, s15
	v_lshlrev_b32_e32 v0, 8, v14
	v_lshl_add_u32 v12, v130, 10, 0x2000
	s_delay_alu instid0(VALU_DEP_1) | instskip(NEXT) | instid1(VALU_DEP_1)
	v_and_or_b32 v0, 0x8000, v0, v12
	v_lshl_or_b32 v0, v11, 7, v0
	s_delay_alu instid0(VALU_DEP_1)
	v_cvt_f32_f16_e64 v130, v0
.LBB339_1715:                           ;   in Loop: Header=BB339_1059 Depth=1
	s_or_b32 exec_lo, exec_lo, s13
.LBB339_1716:                           ;   in Loop: Header=BB339_1059 Depth=1
	s_delay_alu instid0(SALU_CYCLE_1)
	s_or_b32 exec_lo, exec_lo, s12
.LBB339_1717:                           ;   in Loop: Header=BB339_1059 Depth=1
	s_delay_alu instid0(SALU_CYCLE_1)
	s_or_b32 exec_lo, exec_lo, s9
	s_waitcnt vmcnt(0) lgkmcnt(0)
	v_fma_mixlo_f16 v12, v115, v117, 0
	v_fma_mixlo_f16 v0, v115, v119, 0
	;; [unrolled: 1-line block ×5, first 2 shown]
	v_lshlrev_b32_e32 v14, 16, v12
	v_fma_mixlo_f16 v118, v115, v128, 0
	v_fma_mixlo_f16 v119, v115, v130, 0
	;; [unrolled: 1-line block ×3, first 2 shown]
	v_lshlrev_b32_e32 v0, 16, v0
	v_and_b32_e32 v11, 0xffff, v11
	v_and_b32_e32 v115, 0xffff, v116
	v_lshlrev_b32_e32 v116, 16, v117
	v_and_b32_e32 v117, 0xffff, v118
	v_lshlrev_b32_e32 v118, 16, v119
	v_and_b32_e32 v119, 0xffff, v12
	v_or_b32_e32 v13, v0, v11
	v_or_b32_e32 v14, v14, v115
	;; [unrolled: 1-line block ×3, first 2 shown]
	s_delay_alu instid0(VALU_DEP_4)
	v_or_b32_e32 v11, v118, v119
	s_and_saveexec_b32 s9, vcc_lo
	s_cbranch_execz .LBB339_1719
; %bb.1718:                             ;   in Loop: Header=BB339_1059 Depth=1
	v_cmp_lt_i32_e64 s1, v15, v35
	v_lshrrev_b32_e32 v115, 16, v14
	v_lshrrev_b32_e32 v116, 16, v13
	v_lshrrev_b32_e32 v117, 16, v0
	v_lshrrev_b32_e32 v11, 16, v11
	v_cndmask_b32_e64 v14, 0, v14, s1
	v_cmp_lt_i32_e64 s1, v82, v39
	s_delay_alu instid0(VALU_DEP_1) | instskip(SKIP_1) | instid1(VALU_DEP_2)
	v_cndmask_b32_e64 v115, 0, v115, s1
	v_cmp_lt_i32_e64 s1, v81, v39
	v_perm_b32 v14, v115, v14, 0x5040100
	s_delay_alu instid0(VALU_DEP_2) | instskip(SKIP_1) | instid1(VALU_DEP_1)
	v_cndmask_b32_e64 v116, 0, v116, s1
	v_cmp_lt_i32_e64 s1, v70, v35
	v_cndmask_b32_e64 v13, 0, v13, s1
	v_cmp_lt_i32_e64 s1, v65, v39
	s_delay_alu instid0(VALU_DEP_2) | instskip(NEXT) | instid1(VALU_DEP_2)
	v_perm_b32 v13, v116, v13, 0x5040100
	v_cndmask_b32_e64 v117, 0, v117, s1
	v_cmp_lt_i32_e64 s1, v48, v35
	s_delay_alu instid0(VALU_DEP_1) | instskip(SKIP_1) | instid1(VALU_DEP_2)
	v_cndmask_b32_e64 v0, 0, v0, s1
	v_cmp_lt_i32_e64 s1, v23, v39
	v_perm_b32 v0, v117, v0, 0x5040100
	s_delay_alu instid0(VALU_DEP_2) | instskip(SKIP_1) | instid1(VALU_DEP_1)
	v_cndmask_b32_e64 v11, 0, v11, s1
	v_cmp_lt_i32_e64 s1, v17, v35
	v_cndmask_b32_e64 v12, 0, v12, s1
	s_delay_alu instid0(VALU_DEP_1)
	v_perm_b32 v11, v11, v12, 0x5040100
.LBB339_1719:                           ;   in Loop: Header=BB339_1059 Depth=1
	s_or_b32 exec_lo, exec_lo, s9
	;;#ASMSTART
	v_pk_mul_f16 v12, v80, v14;

	;;#ASMEND
	;;#ASMSTART
	v_pk_mul_f16 v13, v69, v13;

	;;#ASMEND
	;; [unrolled: 4-line block ×4, first 2 shown]
	;;#ASMSTART
	v_pk_add_f16 v12, v12, v13;

	;;#ASMEND
	;;#ASMSTART
	v_pk_add_f16 v0, v12, v0;

	;;#ASMEND
	;; [unrolled: 4-line block ×3, first 2 shown]
	v_dual_mov_b32 v118, 0 :: v_dual_and_b32 v11, 0xffff, v0
	v_lshrrev_b32_e32 v0, 16, v0
	;;#ASMSTART
	v_cvt_f32_f16 v115, v11;
	;;#ASMEND
	;;#ASMSTART
	v_cvt_f32_f16 v116, v0;
	;;#ASMEND
	flat_load_b64 v[11:12], v[9:10] offset:2560
	flat_load_b32 v117, v[26:27]
	s_mov_b32 s9, exec_lo
	s_waitcnt vmcnt(1) lgkmcnt(1)
	v_dual_mov_b32 v119, 0 :: v_dual_and_b32 v0, 0xff, v11
	s_delay_alu instid0(VALU_DEP_1)
	v_cmpx_ne_u16_e32 0, v0
	s_cbranch_execz .LBB339_1727
; %bb.1720:                             ;   in Loop: Header=BB339_1059 Depth=1
	v_bfrev_b32_e32 v118, 1
	s_mov_b32 s12, exec_lo
	v_cmpx_ne_u16_e32 0x80, v0
	s_cbranch_execz .LBB339_1726
; %bb.1721:                             ;   in Loop: Header=BB339_1059 Depth=1
	v_and_b32_e32 v13, 0x7f, v11
	v_mov_b32_e32 v118, 0x7fc02000
	s_mov_b32 s13, exec_lo
	s_delay_alu instid0(VALU_DEP_2)
	v_cmpx_ne_u32_e32 0x7f, v13
	s_cbranch_execz .LBB339_1725
; %bb.1722:                             ;   in Loop: Header=BB339_1059 Depth=1
	v_lshrrev_b32_e32 v0, 3, v13
	v_cmp_gt_u32_e64 s1, 8, v13
	v_dual_mov_b32 v14, v12 :: v_dual_mov_b32 v13, v11
	s_delay_alu instid0(VALU_DEP_2)
	s_and_saveexec_b32 s15, s1
; %bb.1723:                             ;   in Loop: Header=BB339_1059 Depth=1
	v_and_b32_e32 v0, 7, v11
	s_delay_alu instid0(VALU_DEP_1) | instskip(NEXT) | instid1(VALU_DEP_1)
	v_clz_i32_u32_e32 v0, v0
	v_min_u32_e32 v0, 32, v0
	s_delay_alu instid0(VALU_DEP_1) | instskip(SKIP_1) | instid1(VALU_DEP_2)
	v_subrev_nc_u32_e32 v13, 28, v0
	v_sub_nc_u32_e32 v0, 29, v0
	v_lshlrev_b64 v[13:14], v13, v[11:12]
; %bb.1724:                             ;   in Loop: Header=BB339_1059 Depth=1
	s_or_b32 exec_lo, exec_lo, s15
	v_lshlrev_b32_e32 v14, 8, v11
	s_delay_alu instid0(VALU_DEP_3) | instskip(NEXT) | instid1(VALU_DEP_3)
	v_lshl_add_u32 v0, v0, 10, 0x2000
	v_lshlrev_b32_e32 v13, 7, v13
	s_delay_alu instid0(VALU_DEP_2) | instskip(NEXT) | instid1(VALU_DEP_1)
	v_and_or_b32 v0, 0x8000, v14, v0
	v_and_or_b32 v0, 0x380, v13, v0
	s_delay_alu instid0(VALU_DEP_1)
	v_cvt_f32_f16_e32 v118, v0
.LBB339_1725:                           ;   in Loop: Header=BB339_1059 Depth=1
	s_or_b32 exec_lo, exec_lo, s13
.LBB339_1726:                           ;   in Loop: Header=BB339_1059 Depth=1
	s_delay_alu instid0(SALU_CYCLE_1)
	s_or_b32 exec_lo, exec_lo, s12
.LBB339_1727:                           ;   in Loop: Header=BB339_1059 Depth=1
	s_delay_alu instid0(SALU_CYCLE_1) | instskip(SKIP_2) | instid1(VALU_DEP_1)
	s_or_b32 exec_lo, exec_lo, s9
	v_lshrrev_b16 v0, 8, v11
	s_mov_b32 s9, exec_lo
	v_cmpx_ne_u16_e32 0, v0
	s_cbranch_execz .LBB339_1735
; %bb.1728:                             ;   in Loop: Header=BB339_1059 Depth=1
	v_bfrev_b32_e32 v119, 1
	s_mov_b32 s12, exec_lo
	v_cmpx_ne_u16_e32 0x80, v0
	s_cbranch_execz .LBB339_1734
; %bb.1729:                             ;   in Loop: Header=BB339_1059 Depth=1
	v_and_b32_e32 v128, 0xffff, v0
	v_mov_b32_e32 v119, 0x7fc02000
	s_mov_b32 s13, exec_lo
	s_delay_alu instid0(VALU_DEP_2) | instskip(NEXT) | instid1(VALU_DEP_1)
	v_and_b32_e32 v13, 0x7f, v128
	v_cmpx_ne_u32_e32 0x7f, v13
	s_cbranch_execz .LBB339_1733
; %bb.1730:                             ;   in Loop: Header=BB339_1059 Depth=1
	v_and_b32_e32 v0, 7, v128
	v_lshrrev_b32_e32 v119, 3, v13
	v_cmp_gt_u32_e64 s1, 8, v13
	s_delay_alu instid0(VALU_DEP_3) | instskip(NEXT) | instid1(VALU_DEP_2)
	v_dual_mov_b32 v14, v1 :: v_dual_mov_b32 v13, v0
	s_and_saveexec_b32 s15, s1
; %bb.1731:                             ;   in Loop: Header=BB339_1059 Depth=1
	v_clz_i32_u32_e32 v13, v0
	s_delay_alu instid0(VALU_DEP_1) | instskip(NEXT) | instid1(VALU_DEP_1)
	v_min_u32_e32 v119, 32, v13
	v_subrev_nc_u32_e32 v13, 28, v119
	v_sub_nc_u32_e32 v119, 29, v119
	s_delay_alu instid0(VALU_DEP_2) | instskip(NEXT) | instid1(VALU_DEP_1)
	v_lshlrev_b64 v[13:14], v13, v[0:1]
	v_and_b32_e32 v13, 7, v13
; %bb.1732:                             ;   in Loop: Header=BB339_1059 Depth=1
	s_or_b32 exec_lo, exec_lo, s15
	v_lshlrev_b32_e32 v0, 8, v128
	v_lshl_add_u32 v14, v119, 10, 0x2000
	s_delay_alu instid0(VALU_DEP_1) | instskip(NEXT) | instid1(VALU_DEP_1)
	v_and_or_b32 v0, 0x8000, v0, v14
	v_lshl_or_b32 v0, v13, 7, v0
	s_delay_alu instid0(VALU_DEP_1)
	v_cvt_f32_f16_e32 v119, v0
.LBB339_1733:                           ;   in Loop: Header=BB339_1059 Depth=1
	s_or_b32 exec_lo, exec_lo, s13
.LBB339_1734:                           ;   in Loop: Header=BB339_1059 Depth=1
	s_delay_alu instid0(SALU_CYCLE_1)
	s_or_b32 exec_lo, exec_lo, s12
.LBB339_1735:                           ;   in Loop: Header=BB339_1059 Depth=1
	s_delay_alu instid0(SALU_CYCLE_1) | instskip(SKIP_3) | instid1(VALU_DEP_2)
	s_or_b32 exec_lo, exec_lo, s9
	v_lshrrev_b32_e32 v130, 16, v11
	v_mov_b32_e32 v128, 0
	s_mov_b32 s9, exec_lo
	v_dual_mov_b32 v129, 0 :: v_dual_and_b32 v0, 0xff, v130
	s_delay_alu instid0(VALU_DEP_1)
	v_cmpx_ne_u16_e32 0, v0
	s_cbranch_execz .LBB339_1743
; %bb.1736:                             ;   in Loop: Header=BB339_1059 Depth=1
	v_bfrev_b32_e32 v128, 1
	s_mov_b32 s12, exec_lo
	v_cmpx_ne_u16_e32 0x80, v0
	s_cbranch_execz .LBB339_1742
; %bb.1737:                             ;   in Loop: Header=BB339_1059 Depth=1
	v_bfe_u32 v13, v11, 16, 7
	v_mov_b32_e32 v128, 0x7fc02000
	s_mov_b32 s13, exec_lo
	s_delay_alu instid0(VALU_DEP_2)
	v_cmpx_ne_u32_e32 0x7f, v13
	s_cbranch_execz .LBB339_1741
; %bb.1738:                             ;   in Loop: Header=BB339_1059 Depth=1
	v_and_b32_e32 v0, 7, v130
	v_lshrrev_b32_e32 v128, 3, v13
	v_cmp_gt_u32_e64 s1, 8, v13
	s_delay_alu instid0(VALU_DEP_3) | instskip(NEXT) | instid1(VALU_DEP_2)
	v_dual_mov_b32 v14, v1 :: v_dual_mov_b32 v13, v0
	s_and_saveexec_b32 s15, s1
; %bb.1739:                             ;   in Loop: Header=BB339_1059 Depth=1
	v_clz_i32_u32_e32 v13, v0
	s_delay_alu instid0(VALU_DEP_1) | instskip(NEXT) | instid1(VALU_DEP_1)
	v_min_u32_e32 v128, 32, v13
	v_subrev_nc_u32_e32 v13, 28, v128
	v_sub_nc_u32_e32 v128, 29, v128
	s_delay_alu instid0(VALU_DEP_2) | instskip(NEXT) | instid1(VALU_DEP_1)
	v_lshlrev_b64 v[13:14], v13, v[0:1]
	v_and_b32_e32 v13, 7, v13
; %bb.1740:                             ;   in Loop: Header=BB339_1059 Depth=1
	s_or_b32 exec_lo, exec_lo, s15
	v_lshlrev_b32_e32 v0, 8, v130
	v_lshl_add_u32 v14, v128, 10, 0x2000
	s_delay_alu instid0(VALU_DEP_1) | instskip(NEXT) | instid1(VALU_DEP_1)
	v_and_or_b32 v0, 0x8000, v0, v14
	v_lshl_or_b32 v0, v13, 7, v0
	s_delay_alu instid0(VALU_DEP_1)
	v_cvt_f32_f16_e64 v128, v0
.LBB339_1741:                           ;   in Loop: Header=BB339_1059 Depth=1
	s_or_b32 exec_lo, exec_lo, s13
.LBB339_1742:                           ;   in Loop: Header=BB339_1059 Depth=1
	s_delay_alu instid0(SALU_CYCLE_1)
	s_or_b32 exec_lo, exec_lo, s12
.LBB339_1743:                           ;   in Loop: Header=BB339_1059 Depth=1
	s_delay_alu instid0(SALU_CYCLE_1) | instskip(NEXT) | instid1(SALU_CYCLE_1)
	s_or_b32 exec_lo, exec_lo, s9
	s_mov_b32 s9, exec_lo
	v_cmpx_lt_u32_e32 0xffffff, v11
	s_cbranch_execz .LBB339_1751
; %bb.1744:                             ;   in Loop: Header=BB339_1059 Depth=1
	v_lshrrev_b32_e32 v130, 24, v11
	v_bfrev_b32_e32 v129, 1
	s_mov_b32 s12, exec_lo
	s_delay_alu instid0(VALU_DEP_2)
	v_cmpx_ne_u32_e32 0x80, v130
	s_cbranch_execz .LBB339_1750
; %bb.1745:                             ;   in Loop: Header=BB339_1059 Depth=1
	v_and_b32_e32 v13, 0x7f, v130
	v_mov_b32_e32 v129, 0x7fc02000
	s_mov_b32 s13, exec_lo
	s_delay_alu instid0(VALU_DEP_2)
	v_cmpx_ne_u32_e32 0x7f, v13
	s_cbranch_execz .LBB339_1749
; %bb.1746:                             ;   in Loop: Header=BB339_1059 Depth=1
	v_and_b32_e32 v0, 7, v130
	v_lshrrev_b32_e32 v129, 3, v13
	v_cmp_gt_u32_e64 s1, 8, v13
	s_delay_alu instid0(VALU_DEP_3) | instskip(NEXT) | instid1(VALU_DEP_2)
	v_dual_mov_b32 v14, v1 :: v_dual_mov_b32 v13, v0
	s_and_saveexec_b32 s15, s1
; %bb.1747:                             ;   in Loop: Header=BB339_1059 Depth=1
	v_clz_i32_u32_e32 v13, v0
	s_delay_alu instid0(VALU_DEP_1) | instskip(NEXT) | instid1(VALU_DEP_1)
	v_min_u32_e32 v129, 32, v13
	v_subrev_nc_u32_e32 v13, 28, v129
	v_sub_nc_u32_e32 v129, 29, v129
	s_delay_alu instid0(VALU_DEP_2) | instskip(NEXT) | instid1(VALU_DEP_1)
	v_lshlrev_b64 v[13:14], v13, v[0:1]
	v_and_b32_e32 v13, 7, v13
; %bb.1748:                             ;   in Loop: Header=BB339_1059 Depth=1
	s_or_b32 exec_lo, exec_lo, s15
	v_lshlrev_b32_e32 v0, 8, v130
	v_lshl_add_u32 v14, v129, 10, 0x2000
	s_delay_alu instid0(VALU_DEP_1) | instskip(NEXT) | instid1(VALU_DEP_1)
	v_and_or_b32 v0, 0x8000, v0, v14
	v_lshl_or_b32 v0, v13, 7, v0
	s_delay_alu instid0(VALU_DEP_1)
	v_cvt_f32_f16_e64 v129, v0
.LBB339_1749:                           ;   in Loop: Header=BB339_1059 Depth=1
	s_or_b32 exec_lo, exec_lo, s13
.LBB339_1750:                           ;   in Loop: Header=BB339_1059 Depth=1
	s_delay_alu instid0(SALU_CYCLE_1)
	s_or_b32 exec_lo, exec_lo, s12
.LBB339_1751:                           ;   in Loop: Header=BB339_1059 Depth=1
	s_delay_alu instid0(SALU_CYCLE_1) | instskip(SKIP_3) | instid1(VALU_DEP_2)
	s_or_b32 exec_lo, exec_lo, s9
	v_dual_mov_b32 v0, v12 :: v_dual_and_b32 v13, 0xff, v12
	v_dual_mov_b32 v131, 0 :: v_dual_mov_b32 v130, 0
	s_mov_b32 s9, exec_lo
	v_cmpx_ne_u16_e32 0, v13
	s_cbranch_execz .LBB339_1759
; %bb.1752:                             ;   in Loop: Header=BB339_1059 Depth=1
	v_bfrev_b32_e32 v130, 1
	s_mov_b32 s12, exec_lo
	v_cmpx_ne_u16_e32 0x80, v13
	s_cbranch_execz .LBB339_1758
; %bb.1753:                             ;   in Loop: Header=BB339_1059 Depth=1
	v_and_b32_e32 v13, 0x7f, v12
	v_mov_b32_e32 v130, 0x7fc02000
	s_mov_b32 s13, exec_lo
	s_delay_alu instid0(VALU_DEP_2)
	v_cmpx_ne_u32_e32 0x7f, v13
	s_cbranch_execz .LBB339_1757
; %bb.1754:                             ;   in Loop: Header=BB339_1059 Depth=1
	v_lshrrev_b32_e32 v130, 3, v13
	v_cmp_gt_u32_e64 s1, 8, v13
	v_dual_mov_b32 v14, v1 :: v_dual_mov_b32 v13, v0
	s_delay_alu instid0(VALU_DEP_2)
	s_and_saveexec_b32 s15, s1
; %bb.1755:                             ;   in Loop: Header=BB339_1059 Depth=1
	v_and_b32_e32 v13, 7, v12
	s_delay_alu instid0(VALU_DEP_1) | instskip(NEXT) | instid1(VALU_DEP_1)
	v_clz_i32_u32_e32 v13, v13
	v_min_u32_e32 v130, 32, v13
	s_delay_alu instid0(VALU_DEP_1) | instskip(SKIP_1) | instid1(VALU_DEP_2)
	v_subrev_nc_u32_e32 v13, 28, v130
	v_sub_nc_u32_e32 v130, 29, v130
	v_lshlrev_b64 v[13:14], v13, v[0:1]
; %bb.1756:                             ;   in Loop: Header=BB339_1059 Depth=1
	s_or_b32 exec_lo, exec_lo, s15
	v_lshlrev_b32_e32 v14, 8, v12
	s_delay_alu instid0(VALU_DEP_3) | instskip(NEXT) | instid1(VALU_DEP_3)
	v_lshl_add_u32 v130, v130, 10, 0x2000
	v_lshlrev_b32_e32 v13, 7, v13
	s_delay_alu instid0(VALU_DEP_2) | instskip(NEXT) | instid1(VALU_DEP_1)
	v_and_or_b32 v14, 0x8000, v14, v130
	v_and_or_b32 v13, 0x380, v13, v14
	s_delay_alu instid0(VALU_DEP_1)
	v_cvt_f32_f16_e64 v130, v13
.LBB339_1757:                           ;   in Loop: Header=BB339_1059 Depth=1
	s_or_b32 exec_lo, exec_lo, s13
.LBB339_1758:                           ;   in Loop: Header=BB339_1059 Depth=1
	s_delay_alu instid0(SALU_CYCLE_1)
	s_or_b32 exec_lo, exec_lo, s12
.LBB339_1759:                           ;   in Loop: Header=BB339_1059 Depth=1
	s_delay_alu instid0(SALU_CYCLE_1) | instskip(SKIP_2) | instid1(VALU_DEP_1)
	s_or_b32 exec_lo, exec_lo, s9
	v_lshrrev_b16 v0, 8, v0
	s_mov_b32 s9, exec_lo
	v_cmpx_ne_u16_e32 0, v0
	s_cbranch_execz .LBB339_1767
; %bb.1760:                             ;   in Loop: Header=BB339_1059 Depth=1
	v_bfrev_b32_e32 v131, 1
	s_mov_b32 s12, exec_lo
	v_cmpx_ne_u16_e32 0x80, v0
	s_cbranch_execz .LBB339_1766
; %bb.1761:                             ;   in Loop: Header=BB339_1059 Depth=1
	v_and_b32_e32 v132, 0xffff, v0
	v_mov_b32_e32 v131, 0x7fc02000
	s_mov_b32 s13, exec_lo
	s_delay_alu instid0(VALU_DEP_2) | instskip(NEXT) | instid1(VALU_DEP_1)
	v_and_b32_e32 v13, 0x7f, v132
	v_cmpx_ne_u32_e32 0x7f, v13
	s_cbranch_execz .LBB339_1765
; %bb.1762:                             ;   in Loop: Header=BB339_1059 Depth=1
	v_and_b32_e32 v0, 7, v132
	v_lshrrev_b32_e32 v131, 3, v13
	v_cmp_gt_u32_e64 s1, 8, v13
	s_delay_alu instid0(VALU_DEP_3) | instskip(NEXT) | instid1(VALU_DEP_2)
	v_dual_mov_b32 v14, v1 :: v_dual_mov_b32 v13, v0
	s_and_saveexec_b32 s15, s1
; %bb.1763:                             ;   in Loop: Header=BB339_1059 Depth=1
	v_clz_i32_u32_e32 v13, v0
	s_delay_alu instid0(VALU_DEP_1) | instskip(NEXT) | instid1(VALU_DEP_1)
	v_min_u32_e32 v131, 32, v13
	v_subrev_nc_u32_e32 v13, 28, v131
	v_sub_nc_u32_e32 v131, 29, v131
	s_delay_alu instid0(VALU_DEP_2) | instskip(NEXT) | instid1(VALU_DEP_1)
	v_lshlrev_b64 v[13:14], v13, v[0:1]
	v_and_b32_e32 v13, 7, v13
; %bb.1764:                             ;   in Loop: Header=BB339_1059 Depth=1
	s_or_b32 exec_lo, exec_lo, s15
	v_lshlrev_b32_e32 v0, 8, v132
	v_lshl_add_u32 v14, v131, 10, 0x2000
	s_delay_alu instid0(VALU_DEP_1) | instskip(NEXT) | instid1(VALU_DEP_1)
	v_and_or_b32 v0, 0x8000, v0, v14
	v_lshl_or_b32 v0, v13, 7, v0
	s_delay_alu instid0(VALU_DEP_1)
	v_cvt_f32_f16_e64 v131, v0
.LBB339_1765:                           ;   in Loop: Header=BB339_1059 Depth=1
	s_or_b32 exec_lo, exec_lo, s13
.LBB339_1766:                           ;   in Loop: Header=BB339_1059 Depth=1
	s_delay_alu instid0(SALU_CYCLE_1)
	s_or_b32 exec_lo, exec_lo, s12
.LBB339_1767:                           ;   in Loop: Header=BB339_1059 Depth=1
	s_delay_alu instid0(SALU_CYCLE_1) | instskip(SKIP_3) | instid1(VALU_DEP_2)
	s_or_b32 exec_lo, exec_lo, s9
	v_lshrrev_b32_e32 v133, 16, v12
	v_mov_b32_e32 v132, 0
	s_mov_b32 s9, exec_lo
	v_dual_mov_b32 v13, 0 :: v_dual_and_b32 v0, 0xff, v133
	s_delay_alu instid0(VALU_DEP_1)
	v_cmpx_ne_u16_e32 0, v0
	s_cbranch_execz .LBB339_1775
; %bb.1768:                             ;   in Loop: Header=BB339_1059 Depth=1
	v_bfrev_b32_e32 v13, 1
	s_mov_b32 s12, exec_lo
	v_cmpx_ne_u16_e32 0x80, v0
	s_cbranch_execz .LBB339_1774
; %bb.1769:                             ;   in Loop: Header=BB339_1059 Depth=1
	v_bfe_u32 v14, v12, 16, 7
	v_mov_b32_e32 v13, 0x7fc02000
	s_mov_b32 s13, exec_lo
	s_delay_alu instid0(VALU_DEP_2)
	v_cmpx_ne_u32_e32 0x7f, v14
	s_cbranch_execz .LBB339_1773
; %bb.1770:                             ;   in Loop: Header=BB339_1059 Depth=1
	v_and_b32_e32 v0, 7, v133
	v_lshrrev_b32_e32 v134, 3, v14
	v_cmp_gt_u32_e64 s1, 8, v14
	s_delay_alu instid0(VALU_DEP_3) | instskip(NEXT) | instid1(VALU_DEP_2)
	v_dual_mov_b32 v14, v1 :: v_dual_mov_b32 v13, v0
	s_and_saveexec_b32 s15, s1
; %bb.1771:                             ;   in Loop: Header=BB339_1059 Depth=1
	v_clz_i32_u32_e32 v13, v0
	s_delay_alu instid0(VALU_DEP_1) | instskip(NEXT) | instid1(VALU_DEP_1)
	v_min_u32_e32 v134, 32, v13
	v_subrev_nc_u32_e32 v13, 28, v134
	v_sub_nc_u32_e32 v134, 29, v134
	s_delay_alu instid0(VALU_DEP_2) | instskip(NEXT) | instid1(VALU_DEP_1)
	v_lshlrev_b64 v[13:14], v13, v[0:1]
	v_and_b32_e32 v13, 7, v13
; %bb.1772:                             ;   in Loop: Header=BB339_1059 Depth=1
	s_or_b32 exec_lo, exec_lo, s15
	v_lshlrev_b32_e32 v0, 8, v133
	v_lshl_add_u32 v14, v134, 10, 0x2000
	s_delay_alu instid0(VALU_DEP_1) | instskip(NEXT) | instid1(VALU_DEP_1)
	v_and_or_b32 v0, 0x8000, v0, v14
	v_lshl_or_b32 v0, v13, 7, v0
	s_delay_alu instid0(VALU_DEP_1)
	v_cvt_f32_f16_e32 v13, v0
.LBB339_1773:                           ;   in Loop: Header=BB339_1059 Depth=1
	s_or_b32 exec_lo, exec_lo, s13
.LBB339_1774:                           ;   in Loop: Header=BB339_1059 Depth=1
	s_delay_alu instid0(SALU_CYCLE_1)
	s_or_b32 exec_lo, exec_lo, s12
.LBB339_1775:                           ;   in Loop: Header=BB339_1059 Depth=1
	s_delay_alu instid0(SALU_CYCLE_1) | instskip(NEXT) | instid1(SALU_CYCLE_1)
	s_or_b32 exec_lo, exec_lo, s9
	s_mov_b32 s9, exec_lo
	v_cmpx_lt_u64_e64 s[4:5], v[11:12]
	s_cbranch_execz .LBB339_1783
; %bb.1776:                             ;   in Loop: Header=BB339_1059 Depth=1
	v_lshrrev_b32_e32 v14, 24, v12
	v_bfrev_b32_e32 v132, 1
	s_mov_b32 s12, exec_lo
	s_delay_alu instid0(VALU_DEP_2)
	v_cmpx_ne_u32_e32 0x80, v14
	s_cbranch_execz .LBB339_1782
; %bb.1777:                             ;   in Loop: Header=BB339_1059 Depth=1
	v_and_b32_e32 v11, 0x7f, v14
	v_mov_b32_e32 v132, 0x7fc02000
	s_mov_b32 s13, exec_lo
	s_delay_alu instid0(VALU_DEP_2)
	v_cmpx_ne_u32_e32 0x7f, v11
	s_cbranch_execz .LBB339_1781
; %bb.1778:                             ;   in Loop: Header=BB339_1059 Depth=1
	v_and_b32_e32 v0, 7, v14
	v_lshrrev_b32_e32 v132, 3, v11
	v_cmp_gt_u32_e64 s1, 8, v11
	s_delay_alu instid0(VALU_DEP_3) | instskip(NEXT) | instid1(VALU_DEP_2)
	v_dual_mov_b32 v12, v1 :: v_dual_mov_b32 v11, v0
	s_and_saveexec_b32 s15, s1
; %bb.1779:                             ;   in Loop: Header=BB339_1059 Depth=1
	v_clz_i32_u32_e32 v11, v0
	s_delay_alu instid0(VALU_DEP_1) | instskip(NEXT) | instid1(VALU_DEP_1)
	v_min_u32_e32 v132, 32, v11
	v_subrev_nc_u32_e32 v11, 28, v132
	v_sub_nc_u32_e32 v132, 29, v132
	s_delay_alu instid0(VALU_DEP_2) | instskip(NEXT) | instid1(VALU_DEP_1)
	v_lshlrev_b64 v[11:12], v11, v[0:1]
	v_and_b32_e32 v11, 7, v11
; %bb.1780:                             ;   in Loop: Header=BB339_1059 Depth=1
	s_or_b32 exec_lo, exec_lo, s15
	v_lshlrev_b32_e32 v0, 8, v14
	v_lshl_add_u32 v12, v132, 10, 0x2000
	s_delay_alu instid0(VALU_DEP_1) | instskip(NEXT) | instid1(VALU_DEP_1)
	v_and_or_b32 v0, 0x8000, v0, v12
	v_lshl_or_b32 v0, v11, 7, v0
	s_delay_alu instid0(VALU_DEP_1)
	v_cvt_f32_f16_e64 v132, v0
.LBB339_1781:                           ;   in Loop: Header=BB339_1059 Depth=1
	s_or_b32 exec_lo, exec_lo, s13
.LBB339_1782:                           ;   in Loop: Header=BB339_1059 Depth=1
	s_delay_alu instid0(SALU_CYCLE_1)
	s_or_b32 exec_lo, exec_lo, s12
.LBB339_1783:                           ;   in Loop: Header=BB339_1059 Depth=1
	s_delay_alu instid0(SALU_CYCLE_1)
	s_or_b32 exec_lo, exec_lo, s9
	s_waitcnt vmcnt(0) lgkmcnt(0)
	v_fma_mixlo_f16 v12, v117, v119, 0
	v_fma_mixlo_f16 v0, v117, v129, 0
	v_fma_mixlo_f16 v11, v117, v128, 0
	v_fma_mixlo_f16 v118, v117, v118, 0
	v_fma_mixlo_f16 v119, v117, v131, 0
	v_lshlrev_b32_e32 v14, 16, v12
	v_fma_mixlo_f16 v128, v117, v130, 0
	v_fma_mixlo_f16 v129, v117, v132, 0
	;; [unrolled: 1-line block ×3, first 2 shown]
	v_lshlrev_b32_e32 v0, 16, v0
	v_and_b32_e32 v11, 0xffff, v11
	v_and_b32_e32 v117, 0xffff, v118
	v_lshlrev_b32_e32 v118, 16, v119
	v_and_b32_e32 v119, 0xffff, v128
	v_lshlrev_b32_e32 v128, 16, v129
	v_and_b32_e32 v129, 0xffff, v12
	v_or_b32_e32 v13, v0, v11
	v_or_b32_e32 v14, v14, v117
	;; [unrolled: 1-line block ×3, first 2 shown]
	s_delay_alu instid0(VALU_DEP_4)
	v_or_b32_e32 v11, v128, v129
	s_and_saveexec_b32 s9, vcc_lo
	s_cbranch_execz .LBB339_1785
; %bb.1784:                             ;   in Loop: Header=BB339_1059 Depth=1
	v_cmp_lt_i32_e64 s1, v15, v35
	v_lshrrev_b32_e32 v117, 16, v14
	v_lshrrev_b32_e32 v118, 16, v13
	v_lshrrev_b32_e32 v119, 16, v0
	v_lshrrev_b32_e32 v11, 16, v11
	v_cndmask_b32_e64 v14, 0, v14, s1
	v_cmp_lt_i32_e64 s1, v82, v39
	s_delay_alu instid0(VALU_DEP_1) | instskip(SKIP_1) | instid1(VALU_DEP_2)
	v_cndmask_b32_e64 v117, 0, v117, s1
	v_cmp_lt_i32_e64 s1, v81, v39
	v_perm_b32 v14, v117, v14, 0x5040100
	s_delay_alu instid0(VALU_DEP_2) | instskip(SKIP_1) | instid1(VALU_DEP_1)
	v_cndmask_b32_e64 v118, 0, v118, s1
	v_cmp_lt_i32_e64 s1, v70, v35
	v_cndmask_b32_e64 v13, 0, v13, s1
	v_cmp_lt_i32_e64 s1, v65, v39
	s_delay_alu instid0(VALU_DEP_2) | instskip(NEXT) | instid1(VALU_DEP_2)
	v_perm_b32 v13, v118, v13, 0x5040100
	v_cndmask_b32_e64 v119, 0, v119, s1
	v_cmp_lt_i32_e64 s1, v48, v35
	s_delay_alu instid0(VALU_DEP_1) | instskip(SKIP_1) | instid1(VALU_DEP_2)
	v_cndmask_b32_e64 v0, 0, v0, s1
	v_cmp_lt_i32_e64 s1, v23, v39
	v_perm_b32 v0, v119, v0, 0x5040100
	s_delay_alu instid0(VALU_DEP_2) | instskip(SKIP_1) | instid1(VALU_DEP_1)
	v_cndmask_b32_e64 v11, 0, v11, s1
	v_cmp_lt_i32_e64 s1, v17, v35
	v_cndmask_b32_e64 v12, 0, v12, s1
	s_delay_alu instid0(VALU_DEP_1)
	v_perm_b32 v11, v11, v12, 0x5040100
.LBB339_1785:                           ;   in Loop: Header=BB339_1059 Depth=1
	s_or_b32 exec_lo, exec_lo, s9
	;;#ASMSTART
	v_pk_mul_f16 v12, v80, v14;

	;;#ASMEND
	;;#ASMSTART
	v_pk_mul_f16 v13, v69, v13;

	;;#ASMEND
	;; [unrolled: 4-line block ×4, first 2 shown]
	;;#ASMSTART
	v_pk_add_f16 v12, v12, v13;

	;;#ASMEND
	;;#ASMSTART
	v_pk_add_f16 v0, v12, v0;

	;;#ASMEND
	;; [unrolled: 4-line block ×3, first 2 shown]
	v_dual_mov_b32 v128, 0 :: v_dual_and_b32 v11, 0xffff, v0
	v_lshrrev_b32_e32 v0, 16, v0
	;;#ASMSTART
	v_cvt_f32_f16 v117, v11;
	;;#ASMEND
	;;#ASMSTART
	v_cvt_f32_f16 v118, v0;
	;;#ASMEND
	flat_load_b64 v[11:12], v[9:10] offset:2816
	flat_load_b32 v119, v[26:27]
	s_mov_b32 s9, exec_lo
	s_waitcnt vmcnt(1) lgkmcnt(1)
	v_dual_mov_b32 v129, 0 :: v_dual_and_b32 v0, 0xff, v11
	s_delay_alu instid0(VALU_DEP_1)
	v_cmpx_ne_u16_e32 0, v0
	s_cbranch_execz .LBB339_1793
; %bb.1786:                             ;   in Loop: Header=BB339_1059 Depth=1
	v_bfrev_b32_e32 v128, 1
	s_mov_b32 s12, exec_lo
	v_cmpx_ne_u16_e32 0x80, v0
	s_cbranch_execz .LBB339_1792
; %bb.1787:                             ;   in Loop: Header=BB339_1059 Depth=1
	v_and_b32_e32 v13, 0x7f, v11
	v_mov_b32_e32 v128, 0x7fc02000
	s_mov_b32 s13, exec_lo
	s_delay_alu instid0(VALU_DEP_2)
	v_cmpx_ne_u32_e32 0x7f, v13
	s_cbranch_execz .LBB339_1791
; %bb.1788:                             ;   in Loop: Header=BB339_1059 Depth=1
	v_lshrrev_b32_e32 v0, 3, v13
	v_cmp_gt_u32_e64 s1, 8, v13
	v_dual_mov_b32 v14, v12 :: v_dual_mov_b32 v13, v11
	s_delay_alu instid0(VALU_DEP_2)
	s_and_saveexec_b32 s15, s1
; %bb.1789:                             ;   in Loop: Header=BB339_1059 Depth=1
	v_and_b32_e32 v0, 7, v11
	s_delay_alu instid0(VALU_DEP_1) | instskip(NEXT) | instid1(VALU_DEP_1)
	v_clz_i32_u32_e32 v0, v0
	v_min_u32_e32 v0, 32, v0
	s_delay_alu instid0(VALU_DEP_1) | instskip(SKIP_1) | instid1(VALU_DEP_2)
	v_subrev_nc_u32_e32 v13, 28, v0
	v_sub_nc_u32_e32 v0, 29, v0
	v_lshlrev_b64 v[13:14], v13, v[11:12]
; %bb.1790:                             ;   in Loop: Header=BB339_1059 Depth=1
	s_or_b32 exec_lo, exec_lo, s15
	v_lshlrev_b32_e32 v14, 8, v11
	s_delay_alu instid0(VALU_DEP_3) | instskip(NEXT) | instid1(VALU_DEP_3)
	v_lshl_add_u32 v0, v0, 10, 0x2000
	v_lshlrev_b32_e32 v13, 7, v13
	s_delay_alu instid0(VALU_DEP_2) | instskip(NEXT) | instid1(VALU_DEP_1)
	v_and_or_b32 v0, 0x8000, v14, v0
	v_and_or_b32 v0, 0x380, v13, v0
	s_delay_alu instid0(VALU_DEP_1)
	v_cvt_f32_f16_e64 v128, v0
.LBB339_1791:                           ;   in Loop: Header=BB339_1059 Depth=1
	s_or_b32 exec_lo, exec_lo, s13
.LBB339_1792:                           ;   in Loop: Header=BB339_1059 Depth=1
	s_delay_alu instid0(SALU_CYCLE_1)
	s_or_b32 exec_lo, exec_lo, s12
.LBB339_1793:                           ;   in Loop: Header=BB339_1059 Depth=1
	s_delay_alu instid0(SALU_CYCLE_1) | instskip(SKIP_2) | instid1(VALU_DEP_1)
	s_or_b32 exec_lo, exec_lo, s9
	v_lshrrev_b16 v0, 8, v11
	s_mov_b32 s9, exec_lo
	v_cmpx_ne_u16_e32 0, v0
	s_cbranch_execz .LBB339_1801
; %bb.1794:                             ;   in Loop: Header=BB339_1059 Depth=1
	v_bfrev_b32_e32 v129, 1
	s_mov_b32 s12, exec_lo
	v_cmpx_ne_u16_e32 0x80, v0
	s_cbranch_execz .LBB339_1800
; %bb.1795:                             ;   in Loop: Header=BB339_1059 Depth=1
	v_and_b32_e32 v130, 0xffff, v0
	v_mov_b32_e32 v129, 0x7fc02000
	s_mov_b32 s13, exec_lo
	s_delay_alu instid0(VALU_DEP_2) | instskip(NEXT) | instid1(VALU_DEP_1)
	v_and_b32_e32 v13, 0x7f, v130
	v_cmpx_ne_u32_e32 0x7f, v13
	s_cbranch_execz .LBB339_1799
; %bb.1796:                             ;   in Loop: Header=BB339_1059 Depth=1
	v_and_b32_e32 v0, 7, v130
	v_lshrrev_b32_e32 v129, 3, v13
	v_cmp_gt_u32_e64 s1, 8, v13
	s_delay_alu instid0(VALU_DEP_3) | instskip(NEXT) | instid1(VALU_DEP_2)
	v_dual_mov_b32 v14, v1 :: v_dual_mov_b32 v13, v0
	s_and_saveexec_b32 s15, s1
; %bb.1797:                             ;   in Loop: Header=BB339_1059 Depth=1
	v_clz_i32_u32_e32 v13, v0
	s_delay_alu instid0(VALU_DEP_1) | instskip(NEXT) | instid1(VALU_DEP_1)
	v_min_u32_e32 v129, 32, v13
	v_subrev_nc_u32_e32 v13, 28, v129
	v_sub_nc_u32_e32 v129, 29, v129
	s_delay_alu instid0(VALU_DEP_2) | instskip(NEXT) | instid1(VALU_DEP_1)
	v_lshlrev_b64 v[13:14], v13, v[0:1]
	v_and_b32_e32 v13, 7, v13
; %bb.1798:                             ;   in Loop: Header=BB339_1059 Depth=1
	s_or_b32 exec_lo, exec_lo, s15
	v_lshlrev_b32_e32 v0, 8, v130
	v_lshl_add_u32 v14, v129, 10, 0x2000
	s_delay_alu instid0(VALU_DEP_1) | instskip(NEXT) | instid1(VALU_DEP_1)
	v_and_or_b32 v0, 0x8000, v0, v14
	v_lshl_or_b32 v0, v13, 7, v0
	s_delay_alu instid0(VALU_DEP_1)
	v_cvt_f32_f16_e64 v129, v0
.LBB339_1799:                           ;   in Loop: Header=BB339_1059 Depth=1
	s_or_b32 exec_lo, exec_lo, s13
.LBB339_1800:                           ;   in Loop: Header=BB339_1059 Depth=1
	s_delay_alu instid0(SALU_CYCLE_1)
	s_or_b32 exec_lo, exec_lo, s12
.LBB339_1801:                           ;   in Loop: Header=BB339_1059 Depth=1
	s_delay_alu instid0(SALU_CYCLE_1) | instskip(SKIP_3) | instid1(VALU_DEP_2)
	s_or_b32 exec_lo, exec_lo, s9
	v_lshrrev_b32_e32 v132, 16, v11
	v_mov_b32_e32 v130, 0
	s_mov_b32 s9, exec_lo
	v_dual_mov_b32 v131, 0 :: v_dual_and_b32 v0, 0xff, v132
	s_delay_alu instid0(VALU_DEP_1)
	v_cmpx_ne_u16_e32 0, v0
	s_cbranch_execz .LBB339_1809
; %bb.1802:                             ;   in Loop: Header=BB339_1059 Depth=1
	v_bfrev_b32_e32 v130, 1
	s_mov_b32 s12, exec_lo
	v_cmpx_ne_u16_e32 0x80, v0
	s_cbranch_execz .LBB339_1808
; %bb.1803:                             ;   in Loop: Header=BB339_1059 Depth=1
	v_bfe_u32 v13, v11, 16, 7
	v_mov_b32_e32 v130, 0x7fc02000
	s_mov_b32 s13, exec_lo
	s_delay_alu instid0(VALU_DEP_2)
	v_cmpx_ne_u32_e32 0x7f, v13
	s_cbranch_execz .LBB339_1807
; %bb.1804:                             ;   in Loop: Header=BB339_1059 Depth=1
	v_and_b32_e32 v0, 7, v132
	v_lshrrev_b32_e32 v130, 3, v13
	v_cmp_gt_u32_e64 s1, 8, v13
	s_delay_alu instid0(VALU_DEP_3) | instskip(NEXT) | instid1(VALU_DEP_2)
	v_dual_mov_b32 v14, v1 :: v_dual_mov_b32 v13, v0
	s_and_saveexec_b32 s15, s1
; %bb.1805:                             ;   in Loop: Header=BB339_1059 Depth=1
	v_clz_i32_u32_e32 v13, v0
	s_delay_alu instid0(VALU_DEP_1) | instskip(NEXT) | instid1(VALU_DEP_1)
	v_min_u32_e32 v130, 32, v13
	v_subrev_nc_u32_e32 v13, 28, v130
	v_sub_nc_u32_e32 v130, 29, v130
	s_delay_alu instid0(VALU_DEP_2) | instskip(NEXT) | instid1(VALU_DEP_1)
	v_lshlrev_b64 v[13:14], v13, v[0:1]
	v_and_b32_e32 v13, 7, v13
; %bb.1806:                             ;   in Loop: Header=BB339_1059 Depth=1
	s_or_b32 exec_lo, exec_lo, s15
	v_lshlrev_b32_e32 v0, 8, v132
	v_lshl_add_u32 v14, v130, 10, 0x2000
	s_delay_alu instid0(VALU_DEP_1) | instskip(NEXT) | instid1(VALU_DEP_1)
	v_and_or_b32 v0, 0x8000, v0, v14
	v_lshl_or_b32 v0, v13, 7, v0
	s_delay_alu instid0(VALU_DEP_1)
	v_cvt_f32_f16_e64 v130, v0
.LBB339_1807:                           ;   in Loop: Header=BB339_1059 Depth=1
	s_or_b32 exec_lo, exec_lo, s13
.LBB339_1808:                           ;   in Loop: Header=BB339_1059 Depth=1
	s_delay_alu instid0(SALU_CYCLE_1)
	s_or_b32 exec_lo, exec_lo, s12
.LBB339_1809:                           ;   in Loop: Header=BB339_1059 Depth=1
	s_delay_alu instid0(SALU_CYCLE_1) | instskip(NEXT) | instid1(SALU_CYCLE_1)
	s_or_b32 exec_lo, exec_lo, s9
	s_mov_b32 s9, exec_lo
	v_cmpx_lt_u32_e32 0xffffff, v11
	s_cbranch_execz .LBB339_1817
; %bb.1810:                             ;   in Loop: Header=BB339_1059 Depth=1
	v_lshrrev_b32_e32 v132, 24, v11
	v_bfrev_b32_e32 v131, 1
	s_mov_b32 s12, exec_lo
	s_delay_alu instid0(VALU_DEP_2)
	v_cmpx_ne_u32_e32 0x80, v132
	s_cbranch_execz .LBB339_1816
; %bb.1811:                             ;   in Loop: Header=BB339_1059 Depth=1
	v_and_b32_e32 v13, 0x7f, v132
	v_mov_b32_e32 v131, 0x7fc02000
	s_mov_b32 s13, exec_lo
	s_delay_alu instid0(VALU_DEP_2)
	v_cmpx_ne_u32_e32 0x7f, v13
	s_cbranch_execz .LBB339_1815
; %bb.1812:                             ;   in Loop: Header=BB339_1059 Depth=1
	v_and_b32_e32 v0, 7, v132
	v_lshrrev_b32_e32 v131, 3, v13
	v_cmp_gt_u32_e64 s1, 8, v13
	s_delay_alu instid0(VALU_DEP_3) | instskip(NEXT) | instid1(VALU_DEP_2)
	v_dual_mov_b32 v14, v1 :: v_dual_mov_b32 v13, v0
	s_and_saveexec_b32 s15, s1
; %bb.1813:                             ;   in Loop: Header=BB339_1059 Depth=1
	v_clz_i32_u32_e32 v13, v0
	s_delay_alu instid0(VALU_DEP_1) | instskip(NEXT) | instid1(VALU_DEP_1)
	v_min_u32_e32 v131, 32, v13
	v_subrev_nc_u32_e32 v13, 28, v131
	v_sub_nc_u32_e32 v131, 29, v131
	s_delay_alu instid0(VALU_DEP_2) | instskip(NEXT) | instid1(VALU_DEP_1)
	v_lshlrev_b64 v[13:14], v13, v[0:1]
	v_and_b32_e32 v13, 7, v13
; %bb.1814:                             ;   in Loop: Header=BB339_1059 Depth=1
	s_or_b32 exec_lo, exec_lo, s15
	v_lshlrev_b32_e32 v0, 8, v132
	v_lshl_add_u32 v14, v131, 10, 0x2000
	s_delay_alu instid0(VALU_DEP_1) | instskip(NEXT) | instid1(VALU_DEP_1)
	v_and_or_b32 v0, 0x8000, v0, v14
	v_lshl_or_b32 v0, v13, 7, v0
	s_delay_alu instid0(VALU_DEP_1)
	v_cvt_f32_f16_e64 v131, v0
.LBB339_1815:                           ;   in Loop: Header=BB339_1059 Depth=1
	s_or_b32 exec_lo, exec_lo, s13
.LBB339_1816:                           ;   in Loop: Header=BB339_1059 Depth=1
	s_delay_alu instid0(SALU_CYCLE_1)
	s_or_b32 exec_lo, exec_lo, s12
.LBB339_1817:                           ;   in Loop: Header=BB339_1059 Depth=1
	s_delay_alu instid0(SALU_CYCLE_1) | instskip(SKIP_3) | instid1(VALU_DEP_2)
	s_or_b32 exec_lo, exec_lo, s9
	v_dual_mov_b32 v0, v12 :: v_dual_and_b32 v13, 0xff, v12
	v_dual_mov_b32 v133, 0 :: v_dual_mov_b32 v132, 0
	s_mov_b32 s9, exec_lo
	v_cmpx_ne_u16_e32 0, v13
	s_cbranch_execz .LBB339_1825
; %bb.1818:                             ;   in Loop: Header=BB339_1059 Depth=1
	v_bfrev_b32_e32 v132, 1
	s_mov_b32 s12, exec_lo
	v_cmpx_ne_u16_e32 0x80, v13
	s_cbranch_execz .LBB339_1824
; %bb.1819:                             ;   in Loop: Header=BB339_1059 Depth=1
	v_and_b32_e32 v13, 0x7f, v12
	v_mov_b32_e32 v132, 0x7fc02000
	s_mov_b32 s13, exec_lo
	s_delay_alu instid0(VALU_DEP_2)
	v_cmpx_ne_u32_e32 0x7f, v13
	s_cbranch_execz .LBB339_1823
; %bb.1820:                             ;   in Loop: Header=BB339_1059 Depth=1
	v_lshrrev_b32_e32 v132, 3, v13
	v_cmp_gt_u32_e64 s1, 8, v13
	v_dual_mov_b32 v14, v1 :: v_dual_mov_b32 v13, v0
	s_delay_alu instid0(VALU_DEP_2)
	s_and_saveexec_b32 s15, s1
; %bb.1821:                             ;   in Loop: Header=BB339_1059 Depth=1
	v_and_b32_e32 v13, 7, v12
	s_delay_alu instid0(VALU_DEP_1) | instskip(NEXT) | instid1(VALU_DEP_1)
	v_clz_i32_u32_e32 v13, v13
	v_min_u32_e32 v132, 32, v13
	s_delay_alu instid0(VALU_DEP_1) | instskip(SKIP_1) | instid1(VALU_DEP_2)
	v_subrev_nc_u32_e32 v13, 28, v132
	v_sub_nc_u32_e32 v132, 29, v132
	v_lshlrev_b64 v[13:14], v13, v[0:1]
; %bb.1822:                             ;   in Loop: Header=BB339_1059 Depth=1
	s_or_b32 exec_lo, exec_lo, s15
	v_lshlrev_b32_e32 v14, 8, v12
	s_delay_alu instid0(VALU_DEP_3) | instskip(NEXT) | instid1(VALU_DEP_3)
	v_lshl_add_u32 v132, v132, 10, 0x2000
	v_lshlrev_b32_e32 v13, 7, v13
	s_delay_alu instid0(VALU_DEP_2) | instskip(NEXT) | instid1(VALU_DEP_1)
	v_and_or_b32 v14, 0x8000, v14, v132
	v_and_or_b32 v13, 0x380, v13, v14
	s_delay_alu instid0(VALU_DEP_1)
	v_cvt_f32_f16_e64 v132, v13
.LBB339_1823:                           ;   in Loop: Header=BB339_1059 Depth=1
	s_or_b32 exec_lo, exec_lo, s13
.LBB339_1824:                           ;   in Loop: Header=BB339_1059 Depth=1
	s_delay_alu instid0(SALU_CYCLE_1)
	s_or_b32 exec_lo, exec_lo, s12
.LBB339_1825:                           ;   in Loop: Header=BB339_1059 Depth=1
	s_delay_alu instid0(SALU_CYCLE_1) | instskip(SKIP_2) | instid1(VALU_DEP_1)
	s_or_b32 exec_lo, exec_lo, s9
	v_lshrrev_b16 v0, 8, v0
	s_mov_b32 s9, exec_lo
	v_cmpx_ne_u16_e32 0, v0
	s_cbranch_execz .LBB339_1833
; %bb.1826:                             ;   in Loop: Header=BB339_1059 Depth=1
	v_bfrev_b32_e32 v133, 1
	s_mov_b32 s12, exec_lo
	v_cmpx_ne_u16_e32 0x80, v0
	s_cbranch_execz .LBB339_1832
; %bb.1827:                             ;   in Loop: Header=BB339_1059 Depth=1
	v_and_b32_e32 v134, 0xffff, v0
	v_mov_b32_e32 v133, 0x7fc02000
	s_mov_b32 s13, exec_lo
	s_delay_alu instid0(VALU_DEP_2) | instskip(NEXT) | instid1(VALU_DEP_1)
	v_and_b32_e32 v13, 0x7f, v134
	v_cmpx_ne_u32_e32 0x7f, v13
	s_cbranch_execz .LBB339_1831
; %bb.1828:                             ;   in Loop: Header=BB339_1059 Depth=1
	v_and_b32_e32 v0, 7, v134
	v_lshrrev_b32_e32 v133, 3, v13
	v_cmp_gt_u32_e64 s1, 8, v13
	s_delay_alu instid0(VALU_DEP_3) | instskip(NEXT) | instid1(VALU_DEP_2)
	v_dual_mov_b32 v14, v1 :: v_dual_mov_b32 v13, v0
	s_and_saveexec_b32 s15, s1
; %bb.1829:                             ;   in Loop: Header=BB339_1059 Depth=1
	v_clz_i32_u32_e32 v13, v0
	s_delay_alu instid0(VALU_DEP_1) | instskip(NEXT) | instid1(VALU_DEP_1)
	v_min_u32_e32 v133, 32, v13
	v_subrev_nc_u32_e32 v13, 28, v133
	v_sub_nc_u32_e32 v133, 29, v133
	s_delay_alu instid0(VALU_DEP_2) | instskip(NEXT) | instid1(VALU_DEP_1)
	v_lshlrev_b64 v[13:14], v13, v[0:1]
	v_and_b32_e32 v13, 7, v13
; %bb.1830:                             ;   in Loop: Header=BB339_1059 Depth=1
	s_or_b32 exec_lo, exec_lo, s15
	v_lshlrev_b32_e32 v0, 8, v134
	v_lshl_add_u32 v14, v133, 10, 0x2000
	s_delay_alu instid0(VALU_DEP_1) | instskip(NEXT) | instid1(VALU_DEP_1)
	v_and_or_b32 v0, 0x8000, v0, v14
	v_lshl_or_b32 v0, v13, 7, v0
	s_delay_alu instid0(VALU_DEP_1)
	v_cvt_f32_f16_e64 v133, v0
.LBB339_1831:                           ;   in Loop: Header=BB339_1059 Depth=1
	s_or_b32 exec_lo, exec_lo, s13
.LBB339_1832:                           ;   in Loop: Header=BB339_1059 Depth=1
	s_delay_alu instid0(SALU_CYCLE_1)
	s_or_b32 exec_lo, exec_lo, s12
.LBB339_1833:                           ;   in Loop: Header=BB339_1059 Depth=1
	s_delay_alu instid0(SALU_CYCLE_1) | instskip(SKIP_3) | instid1(VALU_DEP_2)
	s_or_b32 exec_lo, exec_lo, s9
	v_lshrrev_b32_e32 v135, 16, v12
	v_mov_b32_e32 v134, 0
	s_mov_b32 s9, exec_lo
	v_dual_mov_b32 v13, 0 :: v_dual_and_b32 v0, 0xff, v135
	s_delay_alu instid0(VALU_DEP_1)
	v_cmpx_ne_u16_e32 0, v0
	s_cbranch_execz .LBB339_1841
; %bb.1834:                             ;   in Loop: Header=BB339_1059 Depth=1
	v_bfrev_b32_e32 v13, 1
	s_mov_b32 s12, exec_lo
	v_cmpx_ne_u16_e32 0x80, v0
	s_cbranch_execz .LBB339_1840
; %bb.1835:                             ;   in Loop: Header=BB339_1059 Depth=1
	v_bfe_u32 v14, v12, 16, 7
	v_mov_b32_e32 v13, 0x7fc02000
	s_mov_b32 s13, exec_lo
	s_delay_alu instid0(VALU_DEP_2)
	v_cmpx_ne_u32_e32 0x7f, v14
	s_cbranch_execz .LBB339_1839
; %bb.1836:                             ;   in Loop: Header=BB339_1059 Depth=1
	v_and_b32_e32 v0, 7, v135
	v_lshrrev_b32_e32 v144, 3, v14
	v_cmp_gt_u32_e64 s1, 8, v14
	s_delay_alu instid0(VALU_DEP_3) | instskip(NEXT) | instid1(VALU_DEP_2)
	v_dual_mov_b32 v14, v1 :: v_dual_mov_b32 v13, v0
	s_and_saveexec_b32 s15, s1
; %bb.1837:                             ;   in Loop: Header=BB339_1059 Depth=1
	v_clz_i32_u32_e32 v13, v0
	s_delay_alu instid0(VALU_DEP_1) | instskip(NEXT) | instid1(VALU_DEP_1)
	v_min_u32_e32 v144, 32, v13
	v_subrev_nc_u32_e32 v13, 28, v144
	v_sub_nc_u32_e32 v144, 29, v144
	s_delay_alu instid0(VALU_DEP_2) | instskip(NEXT) | instid1(VALU_DEP_1)
	v_lshlrev_b64 v[13:14], v13, v[0:1]
	v_and_b32_e32 v13, 7, v13
; %bb.1838:                             ;   in Loop: Header=BB339_1059 Depth=1
	s_or_b32 exec_lo, exec_lo, s15
	v_lshlrev_b32_e32 v0, 8, v135
	v_lshl_add_u32 v14, v144, 10, 0x2000
	s_delay_alu instid0(VALU_DEP_1) | instskip(NEXT) | instid1(VALU_DEP_1)
	v_and_or_b32 v0, 0x8000, v0, v14
	v_lshl_or_b32 v0, v13, 7, v0
	s_delay_alu instid0(VALU_DEP_1)
	v_cvt_f32_f16_e32 v13, v0
.LBB339_1839:                           ;   in Loop: Header=BB339_1059 Depth=1
	s_or_b32 exec_lo, exec_lo, s13
.LBB339_1840:                           ;   in Loop: Header=BB339_1059 Depth=1
	s_delay_alu instid0(SALU_CYCLE_1)
	s_or_b32 exec_lo, exec_lo, s12
.LBB339_1841:                           ;   in Loop: Header=BB339_1059 Depth=1
	s_delay_alu instid0(SALU_CYCLE_1) | instskip(NEXT) | instid1(SALU_CYCLE_1)
	s_or_b32 exec_lo, exec_lo, s9
	s_mov_b32 s9, exec_lo
	v_cmpx_lt_u64_e64 s[4:5], v[11:12]
	s_cbranch_execz .LBB339_1849
; %bb.1842:                             ;   in Loop: Header=BB339_1059 Depth=1
	v_lshrrev_b32_e32 v14, 24, v12
	v_bfrev_b32_e32 v134, 1
	s_mov_b32 s12, exec_lo
	s_delay_alu instid0(VALU_DEP_2)
	v_cmpx_ne_u32_e32 0x80, v14
	s_cbranch_execz .LBB339_1848
; %bb.1843:                             ;   in Loop: Header=BB339_1059 Depth=1
	v_and_b32_e32 v11, 0x7f, v14
	v_mov_b32_e32 v134, 0x7fc02000
	s_mov_b32 s13, exec_lo
	s_delay_alu instid0(VALU_DEP_2)
	v_cmpx_ne_u32_e32 0x7f, v11
	s_cbranch_execz .LBB339_1847
; %bb.1844:                             ;   in Loop: Header=BB339_1059 Depth=1
	v_and_b32_e32 v0, 7, v14
	v_lshrrev_b32_e32 v134, 3, v11
	v_cmp_gt_u32_e64 s1, 8, v11
	s_delay_alu instid0(VALU_DEP_3) | instskip(NEXT) | instid1(VALU_DEP_2)
	v_dual_mov_b32 v12, v1 :: v_dual_mov_b32 v11, v0
	s_and_saveexec_b32 s15, s1
; %bb.1845:                             ;   in Loop: Header=BB339_1059 Depth=1
	v_clz_i32_u32_e32 v11, v0
	s_delay_alu instid0(VALU_DEP_1) | instskip(NEXT) | instid1(VALU_DEP_1)
	v_min_u32_e32 v134, 32, v11
	v_subrev_nc_u32_e32 v11, 28, v134
	v_sub_nc_u32_e32 v134, 29, v134
	s_delay_alu instid0(VALU_DEP_2) | instskip(NEXT) | instid1(VALU_DEP_1)
	v_lshlrev_b64 v[11:12], v11, v[0:1]
	v_and_b32_e32 v11, 7, v11
; %bb.1846:                             ;   in Loop: Header=BB339_1059 Depth=1
	s_or_b32 exec_lo, exec_lo, s15
	v_lshlrev_b32_e32 v0, 8, v14
	v_lshl_add_u32 v12, v134, 10, 0x2000
	s_delay_alu instid0(VALU_DEP_1) | instskip(NEXT) | instid1(VALU_DEP_1)
	v_and_or_b32 v0, 0x8000, v0, v12
	v_lshl_or_b32 v0, v11, 7, v0
	s_delay_alu instid0(VALU_DEP_1)
	v_cvt_f32_f16_e64 v134, v0
.LBB339_1847:                           ;   in Loop: Header=BB339_1059 Depth=1
	s_or_b32 exec_lo, exec_lo, s13
.LBB339_1848:                           ;   in Loop: Header=BB339_1059 Depth=1
	s_delay_alu instid0(SALU_CYCLE_1)
	s_or_b32 exec_lo, exec_lo, s12
.LBB339_1849:                           ;   in Loop: Header=BB339_1059 Depth=1
	s_delay_alu instid0(SALU_CYCLE_1)
	s_or_b32 exec_lo, exec_lo, s9
	s_waitcnt vmcnt(0) lgkmcnt(0)
	v_fma_mixlo_f16 v12, v119, v129, 0
	v_fma_mixlo_f16 v0, v119, v131, 0
	;; [unrolled: 1-line block ×5, first 2 shown]
	v_lshlrev_b32_e32 v14, 16, v12
	v_fma_mixlo_f16 v130, v119, v132, 0
	v_fma_mixlo_f16 v131, v119, v134, 0
	v_fma_mixlo_f16 v12, v119, v13, 0
	v_lshlrev_b32_e32 v0, 16, v0
	v_and_b32_e32 v11, 0xffff, v11
	v_and_b32_e32 v119, 0xffff, v128
	v_lshlrev_b32_e32 v128, 16, v129
	v_and_b32_e32 v129, 0xffff, v130
	v_lshlrev_b32_e32 v130, 16, v131
	v_and_b32_e32 v131, 0xffff, v12
	v_or_b32_e32 v13, v0, v11
	v_or_b32_e32 v14, v14, v119
	;; [unrolled: 1-line block ×3, first 2 shown]
	s_delay_alu instid0(VALU_DEP_4)
	v_or_b32_e32 v11, v130, v131
	s_and_saveexec_b32 s9, vcc_lo
	s_cbranch_execz .LBB339_1851
; %bb.1850:                             ;   in Loop: Header=BB339_1059 Depth=1
	v_cmp_lt_i32_e64 s1, v15, v35
	v_lshrrev_b32_e32 v119, 16, v14
	v_lshrrev_b32_e32 v128, 16, v13
	;; [unrolled: 1-line block ×4, first 2 shown]
	v_cndmask_b32_e64 v14, 0, v14, s1
	v_cmp_lt_i32_e64 s1, v82, v39
	s_delay_alu instid0(VALU_DEP_1) | instskip(SKIP_1) | instid1(VALU_DEP_2)
	v_cndmask_b32_e64 v119, 0, v119, s1
	v_cmp_lt_i32_e64 s1, v81, v39
	v_perm_b32 v14, v119, v14, 0x5040100
	s_delay_alu instid0(VALU_DEP_2) | instskip(SKIP_1) | instid1(VALU_DEP_1)
	v_cndmask_b32_e64 v128, 0, v128, s1
	v_cmp_lt_i32_e64 s1, v70, v35
	v_cndmask_b32_e64 v13, 0, v13, s1
	v_cmp_lt_i32_e64 s1, v65, v39
	s_delay_alu instid0(VALU_DEP_2) | instskip(NEXT) | instid1(VALU_DEP_2)
	v_perm_b32 v13, v128, v13, 0x5040100
	v_cndmask_b32_e64 v129, 0, v129, s1
	v_cmp_lt_i32_e64 s1, v48, v35
	s_delay_alu instid0(VALU_DEP_1) | instskip(SKIP_1) | instid1(VALU_DEP_2)
	v_cndmask_b32_e64 v0, 0, v0, s1
	v_cmp_lt_i32_e64 s1, v23, v39
	v_perm_b32 v0, v129, v0, 0x5040100
	s_delay_alu instid0(VALU_DEP_2) | instskip(SKIP_1) | instid1(VALU_DEP_1)
	v_cndmask_b32_e64 v11, 0, v11, s1
	v_cmp_lt_i32_e64 s1, v17, v35
	v_cndmask_b32_e64 v12, 0, v12, s1
	s_delay_alu instid0(VALU_DEP_1)
	v_perm_b32 v11, v11, v12, 0x5040100
.LBB339_1851:                           ;   in Loop: Header=BB339_1059 Depth=1
	s_or_b32 exec_lo, exec_lo, s9
	;;#ASMSTART
	v_pk_mul_f16 v12, v80, v14;

	;;#ASMEND
	;;#ASMSTART
	v_pk_mul_f16 v13, v69, v13;

	;;#ASMEND
	;; [unrolled: 4-line block ×4, first 2 shown]
	;;#ASMSTART
	v_pk_add_f16 v12, v12, v13;

	;;#ASMEND
	;;#ASMSTART
	v_pk_add_f16 v0, v12, v0;

	;;#ASMEND
	;; [unrolled: 4-line block ×3, first 2 shown]
	v_dual_mov_b32 v130, 0 :: v_dual_and_b32 v11, 0xffff, v0
	v_lshrrev_b32_e32 v0, 16, v0
	;;#ASMSTART
	v_cvt_f32_f16 v119, v11;
	;;#ASMEND
	;;#ASMSTART
	v_cvt_f32_f16 v128, v0;
	;;#ASMEND
	flat_load_b64 v[11:12], v[9:10] offset:3072
	flat_load_b32 v129, v[26:27]
	s_mov_b32 s9, exec_lo
	s_waitcnt vmcnt(1) lgkmcnt(1)
	v_dual_mov_b32 v131, 0 :: v_dual_and_b32 v0, 0xff, v11
	s_delay_alu instid0(VALU_DEP_1)
	v_cmpx_ne_u16_e32 0, v0
	s_cbranch_execz .LBB339_1859
; %bb.1852:                             ;   in Loop: Header=BB339_1059 Depth=1
	v_bfrev_b32_e32 v130, 1
	s_mov_b32 s12, exec_lo
	v_cmpx_ne_u16_e32 0x80, v0
	s_cbranch_execz .LBB339_1858
; %bb.1853:                             ;   in Loop: Header=BB339_1059 Depth=1
	v_and_b32_e32 v13, 0x7f, v11
	v_mov_b32_e32 v130, 0x7fc02000
	s_mov_b32 s13, exec_lo
	s_delay_alu instid0(VALU_DEP_2)
	v_cmpx_ne_u32_e32 0x7f, v13
	s_cbranch_execz .LBB339_1857
; %bb.1854:                             ;   in Loop: Header=BB339_1059 Depth=1
	v_lshrrev_b32_e32 v0, 3, v13
	v_cmp_gt_u32_e64 s1, 8, v13
	v_dual_mov_b32 v14, v12 :: v_dual_mov_b32 v13, v11
	s_delay_alu instid0(VALU_DEP_2)
	s_and_saveexec_b32 s15, s1
; %bb.1855:                             ;   in Loop: Header=BB339_1059 Depth=1
	v_and_b32_e32 v0, 7, v11
	s_delay_alu instid0(VALU_DEP_1) | instskip(NEXT) | instid1(VALU_DEP_1)
	v_clz_i32_u32_e32 v0, v0
	v_min_u32_e32 v0, 32, v0
	s_delay_alu instid0(VALU_DEP_1) | instskip(SKIP_1) | instid1(VALU_DEP_2)
	v_subrev_nc_u32_e32 v13, 28, v0
	v_sub_nc_u32_e32 v0, 29, v0
	v_lshlrev_b64 v[13:14], v13, v[11:12]
; %bb.1856:                             ;   in Loop: Header=BB339_1059 Depth=1
	s_or_b32 exec_lo, exec_lo, s15
	v_lshlrev_b32_e32 v14, 8, v11
	s_delay_alu instid0(VALU_DEP_3) | instskip(NEXT) | instid1(VALU_DEP_3)
	v_lshl_add_u32 v0, v0, 10, 0x2000
	v_lshlrev_b32_e32 v13, 7, v13
	s_delay_alu instid0(VALU_DEP_2) | instskip(NEXT) | instid1(VALU_DEP_1)
	v_and_or_b32 v0, 0x8000, v14, v0
	v_and_or_b32 v0, 0x380, v13, v0
	s_delay_alu instid0(VALU_DEP_1)
	v_cvt_f32_f16_e64 v130, v0
.LBB339_1857:                           ;   in Loop: Header=BB339_1059 Depth=1
	s_or_b32 exec_lo, exec_lo, s13
.LBB339_1858:                           ;   in Loop: Header=BB339_1059 Depth=1
	s_delay_alu instid0(SALU_CYCLE_1)
	s_or_b32 exec_lo, exec_lo, s12
.LBB339_1859:                           ;   in Loop: Header=BB339_1059 Depth=1
	s_delay_alu instid0(SALU_CYCLE_1) | instskip(SKIP_2) | instid1(VALU_DEP_1)
	s_or_b32 exec_lo, exec_lo, s9
	v_lshrrev_b16 v0, 8, v11
	s_mov_b32 s9, exec_lo
	v_cmpx_ne_u16_e32 0, v0
	s_cbranch_execz .LBB339_1867
; %bb.1860:                             ;   in Loop: Header=BB339_1059 Depth=1
	v_bfrev_b32_e32 v131, 1
	s_mov_b32 s12, exec_lo
	v_cmpx_ne_u16_e32 0x80, v0
	s_cbranch_execz .LBB339_1866
; %bb.1861:                             ;   in Loop: Header=BB339_1059 Depth=1
	v_and_b32_e32 v132, 0xffff, v0
	v_mov_b32_e32 v131, 0x7fc02000
	s_mov_b32 s13, exec_lo
	s_delay_alu instid0(VALU_DEP_2) | instskip(NEXT) | instid1(VALU_DEP_1)
	v_and_b32_e32 v13, 0x7f, v132
	v_cmpx_ne_u32_e32 0x7f, v13
	s_cbranch_execz .LBB339_1865
; %bb.1862:                             ;   in Loop: Header=BB339_1059 Depth=1
	v_and_b32_e32 v0, 7, v132
	v_lshrrev_b32_e32 v131, 3, v13
	v_cmp_gt_u32_e64 s1, 8, v13
	s_delay_alu instid0(VALU_DEP_3) | instskip(NEXT) | instid1(VALU_DEP_2)
	v_dual_mov_b32 v14, v1 :: v_dual_mov_b32 v13, v0
	s_and_saveexec_b32 s15, s1
; %bb.1863:                             ;   in Loop: Header=BB339_1059 Depth=1
	v_clz_i32_u32_e32 v13, v0
	s_delay_alu instid0(VALU_DEP_1) | instskip(NEXT) | instid1(VALU_DEP_1)
	v_min_u32_e32 v131, 32, v13
	v_subrev_nc_u32_e32 v13, 28, v131
	v_sub_nc_u32_e32 v131, 29, v131
	s_delay_alu instid0(VALU_DEP_2) | instskip(NEXT) | instid1(VALU_DEP_1)
	v_lshlrev_b64 v[13:14], v13, v[0:1]
	v_and_b32_e32 v13, 7, v13
; %bb.1864:                             ;   in Loop: Header=BB339_1059 Depth=1
	s_or_b32 exec_lo, exec_lo, s15
	v_lshlrev_b32_e32 v0, 8, v132
	v_lshl_add_u32 v14, v131, 10, 0x2000
	s_delay_alu instid0(VALU_DEP_1) | instskip(NEXT) | instid1(VALU_DEP_1)
	v_and_or_b32 v0, 0x8000, v0, v14
	v_lshl_or_b32 v0, v13, 7, v0
	s_delay_alu instid0(VALU_DEP_1)
	v_cvt_f32_f16_e64 v131, v0
.LBB339_1865:                           ;   in Loop: Header=BB339_1059 Depth=1
	s_or_b32 exec_lo, exec_lo, s13
.LBB339_1866:                           ;   in Loop: Header=BB339_1059 Depth=1
	s_delay_alu instid0(SALU_CYCLE_1)
	s_or_b32 exec_lo, exec_lo, s12
.LBB339_1867:                           ;   in Loop: Header=BB339_1059 Depth=1
	s_delay_alu instid0(SALU_CYCLE_1) | instskip(SKIP_3) | instid1(VALU_DEP_2)
	s_or_b32 exec_lo, exec_lo, s9
	v_lshrrev_b32_e32 v134, 16, v11
	v_mov_b32_e32 v132, 0
	s_mov_b32 s9, exec_lo
	v_dual_mov_b32 v133, 0 :: v_dual_and_b32 v0, 0xff, v134
	s_delay_alu instid0(VALU_DEP_1)
	v_cmpx_ne_u16_e32 0, v0
	s_cbranch_execz .LBB339_1875
; %bb.1868:                             ;   in Loop: Header=BB339_1059 Depth=1
	v_bfrev_b32_e32 v132, 1
	s_mov_b32 s12, exec_lo
	v_cmpx_ne_u16_e32 0x80, v0
	s_cbranch_execz .LBB339_1874
; %bb.1869:                             ;   in Loop: Header=BB339_1059 Depth=1
	v_bfe_u32 v13, v11, 16, 7
	v_mov_b32_e32 v132, 0x7fc02000
	s_mov_b32 s13, exec_lo
	s_delay_alu instid0(VALU_DEP_2)
	v_cmpx_ne_u32_e32 0x7f, v13
	s_cbranch_execz .LBB339_1873
; %bb.1870:                             ;   in Loop: Header=BB339_1059 Depth=1
	v_and_b32_e32 v0, 7, v134
	v_lshrrev_b32_e32 v132, 3, v13
	v_cmp_gt_u32_e64 s1, 8, v13
	s_delay_alu instid0(VALU_DEP_3) | instskip(NEXT) | instid1(VALU_DEP_2)
	v_dual_mov_b32 v14, v1 :: v_dual_mov_b32 v13, v0
	s_and_saveexec_b32 s15, s1
; %bb.1871:                             ;   in Loop: Header=BB339_1059 Depth=1
	v_clz_i32_u32_e32 v13, v0
	s_delay_alu instid0(VALU_DEP_1) | instskip(NEXT) | instid1(VALU_DEP_1)
	v_min_u32_e32 v132, 32, v13
	v_subrev_nc_u32_e32 v13, 28, v132
	v_sub_nc_u32_e32 v132, 29, v132
	s_delay_alu instid0(VALU_DEP_2) | instskip(NEXT) | instid1(VALU_DEP_1)
	v_lshlrev_b64 v[13:14], v13, v[0:1]
	v_and_b32_e32 v13, 7, v13
; %bb.1872:                             ;   in Loop: Header=BB339_1059 Depth=1
	s_or_b32 exec_lo, exec_lo, s15
	v_lshlrev_b32_e32 v0, 8, v134
	v_lshl_add_u32 v14, v132, 10, 0x2000
	s_delay_alu instid0(VALU_DEP_1) | instskip(NEXT) | instid1(VALU_DEP_1)
	v_and_or_b32 v0, 0x8000, v0, v14
	v_lshl_or_b32 v0, v13, 7, v0
	s_delay_alu instid0(VALU_DEP_1)
	v_cvt_f32_f16_e64 v132, v0
.LBB339_1873:                           ;   in Loop: Header=BB339_1059 Depth=1
	s_or_b32 exec_lo, exec_lo, s13
.LBB339_1874:                           ;   in Loop: Header=BB339_1059 Depth=1
	s_delay_alu instid0(SALU_CYCLE_1)
	s_or_b32 exec_lo, exec_lo, s12
.LBB339_1875:                           ;   in Loop: Header=BB339_1059 Depth=1
	s_delay_alu instid0(SALU_CYCLE_1) | instskip(NEXT) | instid1(SALU_CYCLE_1)
	s_or_b32 exec_lo, exec_lo, s9
	s_mov_b32 s9, exec_lo
	v_cmpx_lt_u32_e32 0xffffff, v11
	s_cbranch_execz .LBB339_1883
; %bb.1876:                             ;   in Loop: Header=BB339_1059 Depth=1
	v_lshrrev_b32_e32 v134, 24, v11
	v_bfrev_b32_e32 v133, 1
	s_mov_b32 s12, exec_lo
	s_delay_alu instid0(VALU_DEP_2)
	v_cmpx_ne_u32_e32 0x80, v134
	s_cbranch_execz .LBB339_1882
; %bb.1877:                             ;   in Loop: Header=BB339_1059 Depth=1
	v_and_b32_e32 v13, 0x7f, v134
	v_mov_b32_e32 v133, 0x7fc02000
	s_mov_b32 s13, exec_lo
	s_delay_alu instid0(VALU_DEP_2)
	v_cmpx_ne_u32_e32 0x7f, v13
	s_cbranch_execz .LBB339_1881
; %bb.1878:                             ;   in Loop: Header=BB339_1059 Depth=1
	v_and_b32_e32 v0, 7, v134
	v_lshrrev_b32_e32 v133, 3, v13
	v_cmp_gt_u32_e64 s1, 8, v13
	s_delay_alu instid0(VALU_DEP_3) | instskip(NEXT) | instid1(VALU_DEP_2)
	v_dual_mov_b32 v14, v1 :: v_dual_mov_b32 v13, v0
	s_and_saveexec_b32 s15, s1
; %bb.1879:                             ;   in Loop: Header=BB339_1059 Depth=1
	v_clz_i32_u32_e32 v13, v0
	s_delay_alu instid0(VALU_DEP_1) | instskip(NEXT) | instid1(VALU_DEP_1)
	v_min_u32_e32 v133, 32, v13
	v_subrev_nc_u32_e32 v13, 28, v133
	v_sub_nc_u32_e32 v133, 29, v133
	s_delay_alu instid0(VALU_DEP_2) | instskip(NEXT) | instid1(VALU_DEP_1)
	v_lshlrev_b64 v[13:14], v13, v[0:1]
	v_and_b32_e32 v13, 7, v13
; %bb.1880:                             ;   in Loop: Header=BB339_1059 Depth=1
	s_or_b32 exec_lo, exec_lo, s15
	v_lshlrev_b32_e32 v0, 8, v134
	v_lshl_add_u32 v14, v133, 10, 0x2000
	s_delay_alu instid0(VALU_DEP_1) | instskip(NEXT) | instid1(VALU_DEP_1)
	v_and_or_b32 v0, 0x8000, v0, v14
	v_lshl_or_b32 v0, v13, 7, v0
	s_delay_alu instid0(VALU_DEP_1)
	v_cvt_f32_f16_e64 v133, v0
.LBB339_1881:                           ;   in Loop: Header=BB339_1059 Depth=1
	s_or_b32 exec_lo, exec_lo, s13
.LBB339_1882:                           ;   in Loop: Header=BB339_1059 Depth=1
	s_delay_alu instid0(SALU_CYCLE_1)
	s_or_b32 exec_lo, exec_lo, s12
.LBB339_1883:                           ;   in Loop: Header=BB339_1059 Depth=1
	s_delay_alu instid0(SALU_CYCLE_1) | instskip(SKIP_3) | instid1(VALU_DEP_2)
	s_or_b32 exec_lo, exec_lo, s9
	v_dual_mov_b32 v0, v12 :: v_dual_and_b32 v13, 0xff, v12
	v_dual_mov_b32 v135, 0 :: v_dual_mov_b32 v134, 0
	s_mov_b32 s9, exec_lo
	v_cmpx_ne_u16_e32 0, v13
	s_cbranch_execz .LBB339_1891
; %bb.1884:                             ;   in Loop: Header=BB339_1059 Depth=1
	v_bfrev_b32_e32 v134, 1
	s_mov_b32 s12, exec_lo
	v_cmpx_ne_u16_e32 0x80, v13
	s_cbranch_execz .LBB339_1890
; %bb.1885:                             ;   in Loop: Header=BB339_1059 Depth=1
	v_and_b32_e32 v13, 0x7f, v12
	v_mov_b32_e32 v134, 0x7fc02000
	s_mov_b32 s13, exec_lo
	s_delay_alu instid0(VALU_DEP_2)
	v_cmpx_ne_u32_e32 0x7f, v13
	s_cbranch_execz .LBB339_1889
; %bb.1886:                             ;   in Loop: Header=BB339_1059 Depth=1
	v_lshrrev_b32_e32 v134, 3, v13
	v_cmp_gt_u32_e64 s1, 8, v13
	v_dual_mov_b32 v14, v1 :: v_dual_mov_b32 v13, v0
	s_delay_alu instid0(VALU_DEP_2)
	s_and_saveexec_b32 s15, s1
; %bb.1887:                             ;   in Loop: Header=BB339_1059 Depth=1
	v_and_b32_e32 v13, 7, v12
	s_delay_alu instid0(VALU_DEP_1) | instskip(NEXT) | instid1(VALU_DEP_1)
	v_clz_i32_u32_e32 v13, v13
	v_min_u32_e32 v134, 32, v13
	s_delay_alu instid0(VALU_DEP_1) | instskip(SKIP_1) | instid1(VALU_DEP_2)
	v_subrev_nc_u32_e32 v13, 28, v134
	v_sub_nc_u32_e32 v134, 29, v134
	v_lshlrev_b64 v[13:14], v13, v[0:1]
; %bb.1888:                             ;   in Loop: Header=BB339_1059 Depth=1
	s_or_b32 exec_lo, exec_lo, s15
	v_lshlrev_b32_e32 v14, 8, v12
	s_delay_alu instid0(VALU_DEP_3) | instskip(NEXT) | instid1(VALU_DEP_3)
	v_lshl_add_u32 v134, v134, 10, 0x2000
	v_lshlrev_b32_e32 v13, 7, v13
	s_delay_alu instid0(VALU_DEP_2) | instskip(NEXT) | instid1(VALU_DEP_1)
	v_and_or_b32 v14, 0x8000, v14, v134
	v_and_or_b32 v13, 0x380, v13, v14
	s_delay_alu instid0(VALU_DEP_1)
	v_cvt_f32_f16_e64 v134, v13
.LBB339_1889:                           ;   in Loop: Header=BB339_1059 Depth=1
	s_or_b32 exec_lo, exec_lo, s13
.LBB339_1890:                           ;   in Loop: Header=BB339_1059 Depth=1
	s_delay_alu instid0(SALU_CYCLE_1)
	s_or_b32 exec_lo, exec_lo, s12
.LBB339_1891:                           ;   in Loop: Header=BB339_1059 Depth=1
	s_delay_alu instid0(SALU_CYCLE_1) | instskip(SKIP_2) | instid1(VALU_DEP_1)
	s_or_b32 exec_lo, exec_lo, s9
	v_lshrrev_b16 v0, 8, v0
	s_mov_b32 s9, exec_lo
	v_cmpx_ne_u16_e32 0, v0
	s_cbranch_execz .LBB339_1899
; %bb.1892:                             ;   in Loop: Header=BB339_1059 Depth=1
	v_bfrev_b32_e32 v135, 1
	s_mov_b32 s12, exec_lo
	v_cmpx_ne_u16_e32 0x80, v0
	s_cbranch_execz .LBB339_1898
; %bb.1893:                             ;   in Loop: Header=BB339_1059 Depth=1
	v_and_b32_e32 v144, 0xffff, v0
	v_mov_b32_e32 v135, 0x7fc02000
	s_mov_b32 s13, exec_lo
	s_delay_alu instid0(VALU_DEP_2) | instskip(NEXT) | instid1(VALU_DEP_1)
	v_and_b32_e32 v13, 0x7f, v144
	v_cmpx_ne_u32_e32 0x7f, v13
	s_cbranch_execz .LBB339_1897
; %bb.1894:                             ;   in Loop: Header=BB339_1059 Depth=1
	v_and_b32_e32 v0, 7, v144
	v_lshrrev_b32_e32 v135, 3, v13
	v_cmp_gt_u32_e64 s1, 8, v13
	s_delay_alu instid0(VALU_DEP_3) | instskip(NEXT) | instid1(VALU_DEP_2)
	v_dual_mov_b32 v14, v1 :: v_dual_mov_b32 v13, v0
	s_and_saveexec_b32 s15, s1
; %bb.1895:                             ;   in Loop: Header=BB339_1059 Depth=1
	v_clz_i32_u32_e32 v13, v0
	s_delay_alu instid0(VALU_DEP_1) | instskip(NEXT) | instid1(VALU_DEP_1)
	v_min_u32_e32 v135, 32, v13
	v_subrev_nc_u32_e32 v13, 28, v135
	v_sub_nc_u32_e32 v135, 29, v135
	s_delay_alu instid0(VALU_DEP_2) | instskip(NEXT) | instid1(VALU_DEP_1)
	v_lshlrev_b64 v[13:14], v13, v[0:1]
	v_and_b32_e32 v13, 7, v13
; %bb.1896:                             ;   in Loop: Header=BB339_1059 Depth=1
	s_or_b32 exec_lo, exec_lo, s15
	v_lshlrev_b32_e32 v0, 8, v144
	v_lshl_add_u32 v14, v135, 10, 0x2000
	s_delay_alu instid0(VALU_DEP_1) | instskip(NEXT) | instid1(VALU_DEP_1)
	v_and_or_b32 v0, 0x8000, v0, v14
	v_lshl_or_b32 v0, v13, 7, v0
	s_delay_alu instid0(VALU_DEP_1)
	v_cvt_f32_f16_e64 v135, v0
.LBB339_1897:                           ;   in Loop: Header=BB339_1059 Depth=1
	s_or_b32 exec_lo, exec_lo, s13
.LBB339_1898:                           ;   in Loop: Header=BB339_1059 Depth=1
	s_delay_alu instid0(SALU_CYCLE_1)
	s_or_b32 exec_lo, exec_lo, s12
.LBB339_1899:                           ;   in Loop: Header=BB339_1059 Depth=1
	s_delay_alu instid0(SALU_CYCLE_1) | instskip(SKIP_3) | instid1(VALU_DEP_2)
	s_or_b32 exec_lo, exec_lo, s9
	v_lshrrev_b32_e32 v145, 16, v12
	v_mov_b32_e32 v144, 0
	s_mov_b32 s9, exec_lo
	v_dual_mov_b32 v13, 0 :: v_dual_and_b32 v0, 0xff, v145
	s_delay_alu instid0(VALU_DEP_1)
	v_cmpx_ne_u16_e32 0, v0
	s_cbranch_execz .LBB339_1907
; %bb.1900:                             ;   in Loop: Header=BB339_1059 Depth=1
	v_bfrev_b32_e32 v13, 1
	s_mov_b32 s12, exec_lo
	v_cmpx_ne_u16_e32 0x80, v0
	s_cbranch_execz .LBB339_1906
; %bb.1901:                             ;   in Loop: Header=BB339_1059 Depth=1
	v_bfe_u32 v14, v12, 16, 7
	v_mov_b32_e32 v13, 0x7fc02000
	s_mov_b32 s13, exec_lo
	s_delay_alu instid0(VALU_DEP_2)
	v_cmpx_ne_u32_e32 0x7f, v14
	s_cbranch_execz .LBB339_1905
; %bb.1902:                             ;   in Loop: Header=BB339_1059 Depth=1
	v_and_b32_e32 v0, 7, v145
	v_lshrrev_b32_e32 v146, 3, v14
	v_cmp_gt_u32_e64 s1, 8, v14
	s_delay_alu instid0(VALU_DEP_3) | instskip(NEXT) | instid1(VALU_DEP_2)
	v_dual_mov_b32 v14, v1 :: v_dual_mov_b32 v13, v0
	s_and_saveexec_b32 s15, s1
; %bb.1903:                             ;   in Loop: Header=BB339_1059 Depth=1
	v_clz_i32_u32_e32 v13, v0
	s_delay_alu instid0(VALU_DEP_1) | instskip(NEXT) | instid1(VALU_DEP_1)
	v_min_u32_e32 v146, 32, v13
	v_subrev_nc_u32_e32 v13, 28, v146
	v_sub_nc_u32_e32 v146, 29, v146
	s_delay_alu instid0(VALU_DEP_2) | instskip(NEXT) | instid1(VALU_DEP_1)
	v_lshlrev_b64 v[13:14], v13, v[0:1]
	v_and_b32_e32 v13, 7, v13
; %bb.1904:                             ;   in Loop: Header=BB339_1059 Depth=1
	s_or_b32 exec_lo, exec_lo, s15
	v_lshlrev_b32_e32 v0, 8, v145
	v_lshl_add_u32 v14, v146, 10, 0x2000
	s_delay_alu instid0(VALU_DEP_1) | instskip(NEXT) | instid1(VALU_DEP_1)
	v_and_or_b32 v0, 0x8000, v0, v14
	v_lshl_or_b32 v0, v13, 7, v0
	s_delay_alu instid0(VALU_DEP_1)
	v_cvt_f32_f16_e32 v13, v0
.LBB339_1905:                           ;   in Loop: Header=BB339_1059 Depth=1
	s_or_b32 exec_lo, exec_lo, s13
.LBB339_1906:                           ;   in Loop: Header=BB339_1059 Depth=1
	s_delay_alu instid0(SALU_CYCLE_1)
	s_or_b32 exec_lo, exec_lo, s12
.LBB339_1907:                           ;   in Loop: Header=BB339_1059 Depth=1
	s_delay_alu instid0(SALU_CYCLE_1) | instskip(NEXT) | instid1(SALU_CYCLE_1)
	s_or_b32 exec_lo, exec_lo, s9
	s_mov_b32 s9, exec_lo
	v_cmpx_lt_u64_e64 s[4:5], v[11:12]
	s_cbranch_execz .LBB339_1915
; %bb.1908:                             ;   in Loop: Header=BB339_1059 Depth=1
	v_lshrrev_b32_e32 v14, 24, v12
	v_bfrev_b32_e32 v144, 1
	s_mov_b32 s12, exec_lo
	s_delay_alu instid0(VALU_DEP_2)
	v_cmpx_ne_u32_e32 0x80, v14
	s_cbranch_execz .LBB339_1914
; %bb.1909:                             ;   in Loop: Header=BB339_1059 Depth=1
	v_and_b32_e32 v145, 0x7f, v14
	v_mov_b32_e32 v144, 0x7fc02000
	s_mov_b32 s13, exec_lo
	s_delay_alu instid0(VALU_DEP_2)
	v_cmpx_ne_u32_e32 0x7f, v145
	s_cbranch_execz .LBB339_1913
; %bb.1910:                             ;   in Loop: Header=BB339_1059 Depth=1
	v_and_b32_e32 v0, 7, v14
	v_lshrrev_b32_e32 v144, 3, v145
	v_mov_b32_e32 v12, v1
	s_mov_b32 s15, exec_lo
	s_delay_alu instid0(VALU_DEP_3)
	v_mov_b32_e32 v11, v0
	v_cmpx_gt_u32_e32 8, v145
; %bb.1911:                             ;   in Loop: Header=BB339_1059 Depth=1
	v_clz_i32_u32_e32 v11, v0
	s_delay_alu instid0(VALU_DEP_1) | instskip(NEXT) | instid1(VALU_DEP_1)
	v_min_u32_e32 v144, 32, v11
	v_subrev_nc_u32_e32 v11, 28, v144
	v_sub_nc_u32_e32 v144, 29, v144
	s_delay_alu instid0(VALU_DEP_2) | instskip(NEXT) | instid1(VALU_DEP_1)
	v_lshlrev_b64 v[11:12], v11, v[0:1]
	v_and_b32_e32 v11, 7, v11
; %bb.1912:                             ;   in Loop: Header=BB339_1059 Depth=1
	s_or_b32 exec_lo, exec_lo, s15
	v_lshlrev_b32_e32 v0, 8, v14
	v_lshl_add_u32 v12, v144, 10, 0x2000
	s_delay_alu instid0(VALU_DEP_1) | instskip(NEXT) | instid1(VALU_DEP_1)
	v_and_or_b32 v0, 0x8000, v0, v12
	v_lshl_or_b32 v0, v11, 7, v0
	s_delay_alu instid0(VALU_DEP_1)
	v_cvt_f32_f16_e64 v144, v0
.LBB339_1913:                           ;   in Loop: Header=BB339_1059 Depth=1
	s_or_b32 exec_lo, exec_lo, s13
.LBB339_1914:                           ;   in Loop: Header=BB339_1059 Depth=1
	s_delay_alu instid0(SALU_CYCLE_1)
	s_or_b32 exec_lo, exec_lo, s12
.LBB339_1915:                           ;   in Loop: Header=BB339_1059 Depth=1
	s_delay_alu instid0(SALU_CYCLE_1)
	s_or_b32 exec_lo, exec_lo, s9
	s_waitcnt vmcnt(0) lgkmcnt(0)
	v_fma_mixlo_f16 v12, v129, v131, 0
	v_fma_mixlo_f16 v0, v129, v133, 0
	;; [unrolled: 1-line block ×5, first 2 shown]
	v_lshlrev_b32_e32 v14, 16, v12
	v_fma_mixlo_f16 v132, v129, v134, 0
	v_fma_mixlo_f16 v133, v129, v144, 0
	;; [unrolled: 1-line block ×3, first 2 shown]
	v_lshlrev_b32_e32 v0, 16, v0
	v_and_b32_e32 v11, 0xffff, v11
	v_and_b32_e32 v129, 0xffff, v130
	v_lshlrev_b32_e32 v130, 16, v131
	v_and_b32_e32 v131, 0xffff, v132
	v_lshlrev_b32_e32 v132, 16, v133
	v_and_b32_e32 v133, 0xffff, v12
	v_or_b32_e32 v13, v0, v11
	v_or_b32_e32 v14, v14, v129
	;; [unrolled: 1-line block ×3, first 2 shown]
	s_delay_alu instid0(VALU_DEP_4)
	v_or_b32_e32 v11, v132, v133
	s_and_saveexec_b32 s9, vcc_lo
	s_cbranch_execz .LBB339_1917
; %bb.1916:                             ;   in Loop: Header=BB339_1059 Depth=1
	v_cmp_lt_i32_e64 s1, v15, v35
	v_lshrrev_b32_e32 v129, 16, v14
	v_lshrrev_b32_e32 v130, 16, v13
	;; [unrolled: 1-line block ×4, first 2 shown]
	v_cndmask_b32_e64 v14, 0, v14, s1
	v_cmp_lt_i32_e64 s1, v82, v39
	s_delay_alu instid0(VALU_DEP_1) | instskip(SKIP_1) | instid1(VALU_DEP_2)
	v_cndmask_b32_e64 v129, 0, v129, s1
	v_cmp_lt_i32_e64 s1, v81, v39
	v_perm_b32 v14, v129, v14, 0x5040100
	s_delay_alu instid0(VALU_DEP_2) | instskip(SKIP_1) | instid1(VALU_DEP_1)
	v_cndmask_b32_e64 v130, 0, v130, s1
	v_cmp_lt_i32_e64 s1, v70, v35
	v_cndmask_b32_e64 v13, 0, v13, s1
	v_cmp_lt_i32_e64 s1, v65, v39
	s_delay_alu instid0(VALU_DEP_2) | instskip(NEXT) | instid1(VALU_DEP_2)
	v_perm_b32 v13, v130, v13, 0x5040100
	v_cndmask_b32_e64 v131, 0, v131, s1
	v_cmp_lt_i32_e64 s1, v48, v35
	s_delay_alu instid0(VALU_DEP_1) | instskip(SKIP_1) | instid1(VALU_DEP_2)
	v_cndmask_b32_e64 v0, 0, v0, s1
	v_cmp_lt_i32_e64 s1, v23, v39
	v_perm_b32 v0, v131, v0, 0x5040100
	s_delay_alu instid0(VALU_DEP_2) | instskip(SKIP_1) | instid1(VALU_DEP_1)
	v_cndmask_b32_e64 v11, 0, v11, s1
	v_cmp_lt_i32_e64 s1, v17, v35
	v_cndmask_b32_e64 v12, 0, v12, s1
	s_delay_alu instid0(VALU_DEP_1)
	v_perm_b32 v11, v11, v12, 0x5040100
.LBB339_1917:                           ;   in Loop: Header=BB339_1059 Depth=1
	s_or_b32 exec_lo, exec_lo, s9
	;;#ASMSTART
	v_pk_mul_f16 v12, v80, v14;

	;;#ASMEND
	;;#ASMSTART
	v_pk_mul_f16 v13, v69, v13;

	;;#ASMEND
	;; [unrolled: 4-line block ×4, first 2 shown]
	;;#ASMSTART
	v_pk_add_f16 v12, v12, v13;

	;;#ASMEND
	;;#ASMSTART
	v_pk_add_f16 v0, v12, v0;

	;;#ASMEND
	;; [unrolled: 4-line block ×3, first 2 shown]
	v_dual_mov_b32 v132, 0 :: v_dual_and_b32 v11, 0xffff, v0
	v_lshrrev_b32_e32 v0, 16, v0
	;;#ASMSTART
	v_cvt_f32_f16 v129, v11;
	;;#ASMEND
	;;#ASMSTART
	v_cvt_f32_f16 v130, v0;
	;;#ASMEND
	flat_load_b64 v[11:12], v[9:10] offset:3328
	flat_load_b32 v131, v[26:27]
	s_mov_b32 s9, exec_lo
	s_waitcnt vmcnt(1) lgkmcnt(1)
	v_dual_mov_b32 v133, 0 :: v_dual_and_b32 v0, 0xff, v11
	s_delay_alu instid0(VALU_DEP_1)
	v_cmpx_ne_u16_e32 0, v0
	s_cbranch_execz .LBB339_1925
; %bb.1918:                             ;   in Loop: Header=BB339_1059 Depth=1
	v_bfrev_b32_e32 v132, 1
	s_mov_b32 s12, exec_lo
	v_cmpx_ne_u16_e32 0x80, v0
	s_cbranch_execz .LBB339_1924
; %bb.1919:                             ;   in Loop: Header=BB339_1059 Depth=1
	v_and_b32_e32 v13, 0x7f, v11
	v_mov_b32_e32 v132, 0x7fc02000
	s_mov_b32 s13, exec_lo
	s_delay_alu instid0(VALU_DEP_2)
	v_cmpx_ne_u32_e32 0x7f, v13
	s_cbranch_execz .LBB339_1923
; %bb.1920:                             ;   in Loop: Header=BB339_1059 Depth=1
	v_lshrrev_b32_e32 v0, 3, v13
	v_cmp_gt_u32_e64 s1, 8, v13
	v_dual_mov_b32 v14, v12 :: v_dual_mov_b32 v13, v11
	s_delay_alu instid0(VALU_DEP_2)
	s_and_saveexec_b32 s15, s1
; %bb.1921:                             ;   in Loop: Header=BB339_1059 Depth=1
	v_and_b32_e32 v0, 7, v11
	s_delay_alu instid0(VALU_DEP_1) | instskip(NEXT) | instid1(VALU_DEP_1)
	v_clz_i32_u32_e32 v0, v0
	v_min_u32_e32 v0, 32, v0
	s_delay_alu instid0(VALU_DEP_1) | instskip(SKIP_1) | instid1(VALU_DEP_2)
	v_subrev_nc_u32_e32 v13, 28, v0
	v_sub_nc_u32_e32 v0, 29, v0
	v_lshlrev_b64 v[13:14], v13, v[11:12]
; %bb.1922:                             ;   in Loop: Header=BB339_1059 Depth=1
	s_or_b32 exec_lo, exec_lo, s15
	v_lshlrev_b32_e32 v14, 8, v11
	s_delay_alu instid0(VALU_DEP_3) | instskip(NEXT) | instid1(VALU_DEP_3)
	v_lshl_add_u32 v0, v0, 10, 0x2000
	v_lshlrev_b32_e32 v13, 7, v13
	s_delay_alu instid0(VALU_DEP_2) | instskip(NEXT) | instid1(VALU_DEP_1)
	v_and_or_b32 v0, 0x8000, v14, v0
	v_and_or_b32 v0, 0x380, v13, v0
	s_delay_alu instid0(VALU_DEP_1)
	v_cvt_f32_f16_e64 v132, v0
.LBB339_1923:                           ;   in Loop: Header=BB339_1059 Depth=1
	s_or_b32 exec_lo, exec_lo, s13
.LBB339_1924:                           ;   in Loop: Header=BB339_1059 Depth=1
	s_delay_alu instid0(SALU_CYCLE_1)
	s_or_b32 exec_lo, exec_lo, s12
.LBB339_1925:                           ;   in Loop: Header=BB339_1059 Depth=1
	s_delay_alu instid0(SALU_CYCLE_1) | instskip(SKIP_2) | instid1(VALU_DEP_1)
	s_or_b32 exec_lo, exec_lo, s9
	v_lshrrev_b16 v0, 8, v11
	s_mov_b32 s9, exec_lo
	v_cmpx_ne_u16_e32 0, v0
	s_cbranch_execz .LBB339_1933
; %bb.1926:                             ;   in Loop: Header=BB339_1059 Depth=1
	v_bfrev_b32_e32 v133, 1
	s_mov_b32 s12, exec_lo
	v_cmpx_ne_u16_e32 0x80, v0
	s_cbranch_execz .LBB339_1932
; %bb.1927:                             ;   in Loop: Header=BB339_1059 Depth=1
	v_and_b32_e32 v134, 0xffff, v0
	v_mov_b32_e32 v133, 0x7fc02000
	s_mov_b32 s13, exec_lo
	s_delay_alu instid0(VALU_DEP_2) | instskip(NEXT) | instid1(VALU_DEP_1)
	v_and_b32_e32 v135, 0x7f, v134
	v_cmpx_ne_u32_e32 0x7f, v135
	s_cbranch_execz .LBB339_1931
; %bb.1928:                             ;   in Loop: Header=BB339_1059 Depth=1
	v_and_b32_e32 v0, 7, v134
	v_lshrrev_b32_e32 v133, 3, v135
	v_mov_b32_e32 v14, v1
	s_mov_b32 s15, exec_lo
	s_delay_alu instid0(VALU_DEP_3)
	v_mov_b32_e32 v13, v0
	v_cmpx_gt_u32_e32 8, v135
; %bb.1929:                             ;   in Loop: Header=BB339_1059 Depth=1
	v_clz_i32_u32_e32 v13, v0
	s_delay_alu instid0(VALU_DEP_1) | instskip(NEXT) | instid1(VALU_DEP_1)
	v_min_u32_e32 v133, 32, v13
	v_subrev_nc_u32_e32 v13, 28, v133
	v_sub_nc_u32_e32 v133, 29, v133
	s_delay_alu instid0(VALU_DEP_2) | instskip(NEXT) | instid1(VALU_DEP_1)
	v_lshlrev_b64 v[13:14], v13, v[0:1]
	v_and_b32_e32 v13, 7, v13
; %bb.1930:                             ;   in Loop: Header=BB339_1059 Depth=1
	s_or_b32 exec_lo, exec_lo, s15
	v_lshlrev_b32_e32 v0, 8, v134
	v_lshl_add_u32 v14, v133, 10, 0x2000
	s_delay_alu instid0(VALU_DEP_1) | instskip(NEXT) | instid1(VALU_DEP_1)
	v_and_or_b32 v0, 0x8000, v0, v14
	v_lshl_or_b32 v0, v13, 7, v0
	s_delay_alu instid0(VALU_DEP_1)
	v_cvt_f32_f16_e64 v133, v0
.LBB339_1931:                           ;   in Loop: Header=BB339_1059 Depth=1
	s_or_b32 exec_lo, exec_lo, s13
.LBB339_1932:                           ;   in Loop: Header=BB339_1059 Depth=1
	s_delay_alu instid0(SALU_CYCLE_1)
	s_or_b32 exec_lo, exec_lo, s12
.LBB339_1933:                           ;   in Loop: Header=BB339_1059 Depth=1
	s_delay_alu instid0(SALU_CYCLE_1) | instskip(SKIP_3) | instid1(VALU_DEP_2)
	s_or_b32 exec_lo, exec_lo, s9
	v_lshrrev_b32_e32 v144, 16, v11
	v_mov_b32_e32 v134, 0
	s_mov_b32 s9, exec_lo
	v_dual_mov_b32 v135, 0 :: v_dual_and_b32 v0, 0xff, v144
	s_delay_alu instid0(VALU_DEP_1)
	v_cmpx_ne_u16_e32 0, v0
	s_cbranch_execz .LBB339_1941
; %bb.1934:                             ;   in Loop: Header=BB339_1059 Depth=1
	v_bfrev_b32_e32 v134, 1
	s_mov_b32 s12, exec_lo
	v_cmpx_ne_u16_e32 0x80, v0
	s_cbranch_execz .LBB339_1940
; %bb.1935:                             ;   in Loop: Header=BB339_1059 Depth=1
	v_bfe_u32 v145, v11, 16, 7
	v_mov_b32_e32 v134, 0x7fc02000
	s_mov_b32 s13, exec_lo
	s_delay_alu instid0(VALU_DEP_2)
	v_cmpx_ne_u32_e32 0x7f, v145
	s_cbranch_execz .LBB339_1939
; %bb.1936:                             ;   in Loop: Header=BB339_1059 Depth=1
	v_and_b32_e32 v0, 7, v144
	v_lshrrev_b32_e32 v134, 3, v145
	v_mov_b32_e32 v14, v1
	s_mov_b32 s15, exec_lo
	s_delay_alu instid0(VALU_DEP_3)
	v_mov_b32_e32 v13, v0
	v_cmpx_gt_u32_e32 8, v145
; %bb.1937:                             ;   in Loop: Header=BB339_1059 Depth=1
	v_clz_i32_u32_e32 v13, v0
	s_delay_alu instid0(VALU_DEP_1) | instskip(NEXT) | instid1(VALU_DEP_1)
	v_min_u32_e32 v134, 32, v13
	v_subrev_nc_u32_e32 v13, 28, v134
	v_sub_nc_u32_e32 v134, 29, v134
	s_delay_alu instid0(VALU_DEP_2) | instskip(NEXT) | instid1(VALU_DEP_1)
	v_lshlrev_b64 v[13:14], v13, v[0:1]
	v_and_b32_e32 v13, 7, v13
; %bb.1938:                             ;   in Loop: Header=BB339_1059 Depth=1
	s_or_b32 exec_lo, exec_lo, s15
	v_lshlrev_b32_e32 v0, 8, v144
	v_lshl_add_u32 v14, v134, 10, 0x2000
	s_delay_alu instid0(VALU_DEP_1) | instskip(NEXT) | instid1(VALU_DEP_1)
	v_and_or_b32 v0, 0x8000, v0, v14
	v_lshl_or_b32 v0, v13, 7, v0
	s_delay_alu instid0(VALU_DEP_1)
	v_cvt_f32_f16_e64 v134, v0
.LBB339_1939:                           ;   in Loop: Header=BB339_1059 Depth=1
	s_or_b32 exec_lo, exec_lo, s13
.LBB339_1940:                           ;   in Loop: Header=BB339_1059 Depth=1
	s_delay_alu instid0(SALU_CYCLE_1)
	s_or_b32 exec_lo, exec_lo, s12
.LBB339_1941:                           ;   in Loop: Header=BB339_1059 Depth=1
	s_delay_alu instid0(SALU_CYCLE_1) | instskip(NEXT) | instid1(SALU_CYCLE_1)
	s_or_b32 exec_lo, exec_lo, s9
	s_mov_b32 s9, exec_lo
	v_cmpx_lt_u32_e32 0xffffff, v11
	s_cbranch_execz .LBB339_1949
; %bb.1942:                             ;   in Loop: Header=BB339_1059 Depth=1
	v_lshrrev_b32_e32 v144, 24, v11
	v_bfrev_b32_e32 v135, 1
	s_mov_b32 s12, exec_lo
	s_delay_alu instid0(VALU_DEP_2)
	v_cmpx_ne_u32_e32 0x80, v144
	s_cbranch_execz .LBB339_1948
; %bb.1943:                             ;   in Loop: Header=BB339_1059 Depth=1
	v_and_b32_e32 v145, 0x7f, v144
	v_mov_b32_e32 v135, 0x7fc02000
	s_mov_b32 s13, exec_lo
	s_delay_alu instid0(VALU_DEP_2)
	v_cmpx_ne_u32_e32 0x7f, v145
	s_cbranch_execz .LBB339_1947
; %bb.1944:                             ;   in Loop: Header=BB339_1059 Depth=1
	v_and_b32_e32 v0, 7, v144
	v_lshrrev_b32_e32 v135, 3, v145
	v_mov_b32_e32 v14, v1
	s_mov_b32 s15, exec_lo
	s_delay_alu instid0(VALU_DEP_3)
	v_mov_b32_e32 v13, v0
	v_cmpx_gt_u32_e32 8, v145
; %bb.1945:                             ;   in Loop: Header=BB339_1059 Depth=1
	v_clz_i32_u32_e32 v13, v0
	s_delay_alu instid0(VALU_DEP_1) | instskip(NEXT) | instid1(VALU_DEP_1)
	v_min_u32_e32 v135, 32, v13
	v_subrev_nc_u32_e32 v13, 28, v135
	v_sub_nc_u32_e32 v135, 29, v135
	s_delay_alu instid0(VALU_DEP_2) | instskip(NEXT) | instid1(VALU_DEP_1)
	v_lshlrev_b64 v[13:14], v13, v[0:1]
	v_and_b32_e32 v13, 7, v13
; %bb.1946:                             ;   in Loop: Header=BB339_1059 Depth=1
	s_or_b32 exec_lo, exec_lo, s15
	v_lshlrev_b32_e32 v0, 8, v144
	v_lshl_add_u32 v14, v135, 10, 0x2000
	s_delay_alu instid0(VALU_DEP_1) | instskip(NEXT) | instid1(VALU_DEP_1)
	v_and_or_b32 v0, 0x8000, v0, v14
	v_lshl_or_b32 v0, v13, 7, v0
	s_delay_alu instid0(VALU_DEP_1)
	v_cvt_f32_f16_e64 v135, v0
.LBB339_1947:                           ;   in Loop: Header=BB339_1059 Depth=1
	s_or_b32 exec_lo, exec_lo, s13
.LBB339_1948:                           ;   in Loop: Header=BB339_1059 Depth=1
	s_delay_alu instid0(SALU_CYCLE_1)
	s_or_b32 exec_lo, exec_lo, s12
.LBB339_1949:                           ;   in Loop: Header=BB339_1059 Depth=1
	s_delay_alu instid0(SALU_CYCLE_1) | instskip(SKIP_3) | instid1(VALU_DEP_2)
	s_or_b32 exec_lo, exec_lo, s9
	v_dual_mov_b32 v0, v12 :: v_dual_and_b32 v13, 0xff, v12
	v_dual_mov_b32 v145, 0 :: v_dual_mov_b32 v144, 0
	s_mov_b32 s9, exec_lo
	v_cmpx_ne_u16_e32 0, v13
	s_cbranch_execz .LBB339_1957
; %bb.1950:                             ;   in Loop: Header=BB339_1059 Depth=1
	v_bfrev_b32_e32 v144, 1
	s_mov_b32 s12, exec_lo
	v_cmpx_ne_u16_e32 0x80, v13
	s_cbranch_execz .LBB339_1956
; %bb.1951:                             ;   in Loop: Header=BB339_1059 Depth=1
	v_and_b32_e32 v146, 0x7f, v12
	v_mov_b32_e32 v144, 0x7fc02000
	s_mov_b32 s13, exec_lo
	s_delay_alu instid0(VALU_DEP_2)
	v_cmpx_ne_u32_e32 0x7f, v146
	s_cbranch_execz .LBB339_1955
; %bb.1952:                             ;   in Loop: Header=BB339_1059 Depth=1
	v_dual_mov_b32 v14, v1 :: v_dual_mov_b32 v13, v0
	v_lshrrev_b32_e32 v14, 3, v146
	s_mov_b32 s15, exec_lo
	v_cmpx_gt_u32_e32 8, v146
; %bb.1953:                             ;   in Loop: Header=BB339_1059 Depth=1
	v_and_b32_e32 v13, 7, v12
	s_delay_alu instid0(VALU_DEP_1) | instskip(NEXT) | instid1(VALU_DEP_1)
	v_clz_i32_u32_e32 v13, v13
	v_min_u32_e32 v144, 32, v13
	s_delay_alu instid0(VALU_DEP_1) | instskip(NEXT) | instid1(VALU_DEP_1)
	v_subrev_nc_u32_e32 v13, 28, v144
	v_lshlrev_b64 v[13:14], v13, v[0:1]
	v_sub_nc_u32_e32 v14, 29, v144
; %bb.1954:                             ;   in Loop: Header=BB339_1059 Depth=1
	s_or_b32 exec_lo, exec_lo, s15
	v_lshlrev_b32_e32 v144, 8, v12
	s_delay_alu instid0(VALU_DEP_2) | instskip(NEXT) | instid1(VALU_DEP_4)
	v_lshl_add_u32 v14, v14, 10, 0x2000
	v_lshlrev_b32_e32 v13, 7, v13
	s_delay_alu instid0(VALU_DEP_2) | instskip(NEXT) | instid1(VALU_DEP_1)
	v_and_or_b32 v14, 0x8000, v144, v14
	v_and_or_b32 v13, 0x380, v13, v14
	s_delay_alu instid0(VALU_DEP_1)
	v_cvt_f32_f16_e64 v144, v13
.LBB339_1955:                           ;   in Loop: Header=BB339_1059 Depth=1
	s_or_b32 exec_lo, exec_lo, s13
.LBB339_1956:                           ;   in Loop: Header=BB339_1059 Depth=1
	s_delay_alu instid0(SALU_CYCLE_1)
	s_or_b32 exec_lo, exec_lo, s12
.LBB339_1957:                           ;   in Loop: Header=BB339_1059 Depth=1
	s_delay_alu instid0(SALU_CYCLE_1) | instskip(SKIP_2) | instid1(VALU_DEP_1)
	s_or_b32 exec_lo, exec_lo, s9
	v_lshrrev_b16 v0, 8, v0
	s_mov_b32 s9, exec_lo
	v_cmpx_ne_u16_e32 0, v0
	s_cbranch_execz .LBB339_1965
; %bb.1958:                             ;   in Loop: Header=BB339_1059 Depth=1
	v_bfrev_b32_e32 v145, 1
	s_mov_b32 s12, exec_lo
	v_cmpx_ne_u16_e32 0x80, v0
	s_cbranch_execz .LBB339_1964
; %bb.1959:                             ;   in Loop: Header=BB339_1059 Depth=1
	v_and_b32_e32 v146, 0xffff, v0
	v_mov_b32_e32 v145, 0x7fc02000
	s_mov_b32 s13, exec_lo
	s_delay_alu instid0(VALU_DEP_2) | instskip(NEXT) | instid1(VALU_DEP_1)
	v_and_b32_e32 v147, 0x7f, v146
	v_cmpx_ne_u32_e32 0x7f, v147
	s_cbranch_execz .LBB339_1963
; %bb.1960:                             ;   in Loop: Header=BB339_1059 Depth=1
	v_and_b32_e32 v0, 7, v146
	v_lshrrev_b32_e32 v145, 3, v147
	v_mov_b32_e32 v14, v1
	s_mov_b32 s15, exec_lo
	s_delay_alu instid0(VALU_DEP_3)
	v_mov_b32_e32 v13, v0
	v_cmpx_gt_u32_e32 8, v147
; %bb.1961:                             ;   in Loop: Header=BB339_1059 Depth=1
	v_clz_i32_u32_e32 v13, v0
	s_delay_alu instid0(VALU_DEP_1) | instskip(NEXT) | instid1(VALU_DEP_1)
	v_min_u32_e32 v145, 32, v13
	v_subrev_nc_u32_e32 v13, 28, v145
	v_sub_nc_u32_e32 v145, 29, v145
	s_delay_alu instid0(VALU_DEP_2) | instskip(NEXT) | instid1(VALU_DEP_1)
	v_lshlrev_b64 v[13:14], v13, v[0:1]
	v_and_b32_e32 v13, 7, v13
; %bb.1962:                             ;   in Loop: Header=BB339_1059 Depth=1
	s_or_b32 exec_lo, exec_lo, s15
	v_lshlrev_b32_e32 v0, 8, v146
	v_lshl_add_u32 v14, v145, 10, 0x2000
	s_delay_alu instid0(VALU_DEP_1) | instskip(NEXT) | instid1(VALU_DEP_1)
	v_and_or_b32 v0, 0x8000, v0, v14
	v_lshl_or_b32 v0, v13, 7, v0
	s_delay_alu instid0(VALU_DEP_1)
	v_cvt_f32_f16_e64 v145, v0
.LBB339_1963:                           ;   in Loop: Header=BB339_1059 Depth=1
	s_or_b32 exec_lo, exec_lo, s13
.LBB339_1964:                           ;   in Loop: Header=BB339_1059 Depth=1
	s_delay_alu instid0(SALU_CYCLE_1)
	s_or_b32 exec_lo, exec_lo, s12
.LBB339_1965:                           ;   in Loop: Header=BB339_1059 Depth=1
	s_delay_alu instid0(SALU_CYCLE_1) | instskip(SKIP_3) | instid1(VALU_DEP_2)
	s_or_b32 exec_lo, exec_lo, s9
	v_lshrrev_b32_e32 v147, 16, v12
	v_mov_b32_e32 v146, 0
	s_mov_b32 s9, exec_lo
	v_dual_mov_b32 v13, 0 :: v_dual_and_b32 v0, 0xff, v147
	s_delay_alu instid0(VALU_DEP_1)
	v_cmpx_ne_u16_e32 0, v0
	s_cbranch_execz .LBB339_1973
; %bb.1966:                             ;   in Loop: Header=BB339_1059 Depth=1
	v_bfrev_b32_e32 v13, 1
	s_mov_b32 s12, exec_lo
	v_cmpx_ne_u16_e32 0x80, v0
	s_cbranch_execz .LBB339_1972
; %bb.1967:                             ;   in Loop: Header=BB339_1059 Depth=1
	v_bfe_u32 v149, v12, 16, 7
	v_mov_b32_e32 v13, 0x7fc02000
	s_mov_b32 s13, exec_lo
	s_delay_alu instid0(VALU_DEP_2)
	v_cmpx_ne_u32_e32 0x7f, v149
	s_cbranch_execz .LBB339_1971
; %bb.1968:                             ;   in Loop: Header=BB339_1059 Depth=1
	v_and_b32_e32 v0, 7, v147
	v_lshrrev_b32_e32 v148, 3, v149
	v_mov_b32_e32 v14, v1
	s_mov_b32 s15, exec_lo
	s_delay_alu instid0(VALU_DEP_3)
	v_mov_b32_e32 v13, v0
	v_cmpx_gt_u32_e32 8, v149
; %bb.1969:                             ;   in Loop: Header=BB339_1059 Depth=1
	v_clz_i32_u32_e32 v13, v0
	s_delay_alu instid0(VALU_DEP_1) | instskip(NEXT) | instid1(VALU_DEP_1)
	v_min_u32_e32 v148, 32, v13
	v_subrev_nc_u32_e32 v13, 28, v148
	v_sub_nc_u32_e32 v148, 29, v148
	s_delay_alu instid0(VALU_DEP_2) | instskip(NEXT) | instid1(VALU_DEP_1)
	v_lshlrev_b64 v[13:14], v13, v[0:1]
	v_and_b32_e32 v13, 7, v13
; %bb.1970:                             ;   in Loop: Header=BB339_1059 Depth=1
	s_or_b32 exec_lo, exec_lo, s15
	v_lshlrev_b32_e32 v0, 8, v147
	v_lshl_add_u32 v14, v148, 10, 0x2000
	s_delay_alu instid0(VALU_DEP_1) | instskip(NEXT) | instid1(VALU_DEP_1)
	v_and_or_b32 v0, 0x8000, v0, v14
	v_lshl_or_b32 v0, v13, 7, v0
	s_delay_alu instid0(VALU_DEP_1)
	v_cvt_f32_f16_e32 v13, v0
.LBB339_1971:                           ;   in Loop: Header=BB339_1059 Depth=1
	s_or_b32 exec_lo, exec_lo, s13
.LBB339_1972:                           ;   in Loop: Header=BB339_1059 Depth=1
	s_delay_alu instid0(SALU_CYCLE_1)
	s_or_b32 exec_lo, exec_lo, s12
.LBB339_1973:                           ;   in Loop: Header=BB339_1059 Depth=1
	s_delay_alu instid0(SALU_CYCLE_1) | instskip(NEXT) | instid1(SALU_CYCLE_1)
	s_or_b32 exec_lo, exec_lo, s9
	s_mov_b32 s9, exec_lo
	v_cmpx_lt_u64_e64 s[4:5], v[11:12]
	s_cbranch_execz .LBB339_1981
; %bb.1974:                             ;   in Loop: Header=BB339_1059 Depth=1
	v_lshrrev_b32_e32 v14, 24, v12
	v_bfrev_b32_e32 v146, 1
	s_mov_b32 s12, exec_lo
	s_delay_alu instid0(VALU_DEP_2)
	v_cmpx_ne_u32_e32 0x80, v14
	s_cbranch_execz .LBB339_1980
; %bb.1975:                             ;   in Loop: Header=BB339_1059 Depth=1
	v_and_b32_e32 v147, 0x7f, v14
	v_mov_b32_e32 v146, 0x7fc02000
	s_mov_b32 s13, exec_lo
	s_delay_alu instid0(VALU_DEP_2)
	v_cmpx_ne_u32_e32 0x7f, v147
	s_cbranch_execz .LBB339_1979
; %bb.1976:                             ;   in Loop: Header=BB339_1059 Depth=1
	v_and_b32_e32 v0, 7, v14
	v_lshrrev_b32_e32 v146, 3, v147
	v_mov_b32_e32 v12, v1
	s_mov_b32 s15, exec_lo
	s_delay_alu instid0(VALU_DEP_3)
	v_mov_b32_e32 v11, v0
	v_cmpx_gt_u32_e32 8, v147
; %bb.1977:                             ;   in Loop: Header=BB339_1059 Depth=1
	v_clz_i32_u32_e32 v11, v0
	s_delay_alu instid0(VALU_DEP_1) | instskip(NEXT) | instid1(VALU_DEP_1)
	v_min_u32_e32 v146, 32, v11
	v_subrev_nc_u32_e32 v11, 28, v146
	v_sub_nc_u32_e32 v146, 29, v146
	s_delay_alu instid0(VALU_DEP_2) | instskip(NEXT) | instid1(VALU_DEP_1)
	v_lshlrev_b64 v[11:12], v11, v[0:1]
	v_and_b32_e32 v11, 7, v11
; %bb.1978:                             ;   in Loop: Header=BB339_1059 Depth=1
	s_or_b32 exec_lo, exec_lo, s15
	v_lshlrev_b32_e32 v0, 8, v14
	v_lshl_add_u32 v12, v146, 10, 0x2000
	s_delay_alu instid0(VALU_DEP_1) | instskip(NEXT) | instid1(VALU_DEP_1)
	v_and_or_b32 v0, 0x8000, v0, v12
	v_lshl_or_b32 v0, v11, 7, v0
	s_delay_alu instid0(VALU_DEP_1)
	v_cvt_f32_f16_e64 v146, v0
.LBB339_1979:                           ;   in Loop: Header=BB339_1059 Depth=1
	s_or_b32 exec_lo, exec_lo, s13
.LBB339_1980:                           ;   in Loop: Header=BB339_1059 Depth=1
	s_delay_alu instid0(SALU_CYCLE_1)
	s_or_b32 exec_lo, exec_lo, s12
.LBB339_1981:                           ;   in Loop: Header=BB339_1059 Depth=1
	s_delay_alu instid0(SALU_CYCLE_1)
	s_or_b32 exec_lo, exec_lo, s9
	s_waitcnt vmcnt(0) lgkmcnt(0)
	v_fma_mixlo_f16 v12, v131, v133, 0
	v_fma_mixlo_f16 v0, v131, v135, 0
	;; [unrolled: 1-line block ×5, first 2 shown]
	v_lshlrev_b32_e32 v14, 16, v12
	v_fma_mixlo_f16 v134, v131, v144, 0
	v_fma_mixlo_f16 v135, v131, v146, 0
	;; [unrolled: 1-line block ×3, first 2 shown]
	v_lshlrev_b32_e32 v0, 16, v0
	v_and_b32_e32 v11, 0xffff, v11
	v_and_b32_e32 v131, 0xffff, v132
	v_lshlrev_b32_e32 v132, 16, v133
	v_and_b32_e32 v133, 0xffff, v134
	v_lshlrev_b32_e32 v134, 16, v135
	v_and_b32_e32 v135, 0xffff, v12
	v_or_b32_e32 v13, v0, v11
	v_or_b32_e32 v14, v14, v131
	;; [unrolled: 1-line block ×3, first 2 shown]
	s_delay_alu instid0(VALU_DEP_4)
	v_or_b32_e32 v11, v134, v135
	s_and_saveexec_b32 s9, vcc_lo
	s_cbranch_execz .LBB339_1983
; %bb.1982:                             ;   in Loop: Header=BB339_1059 Depth=1
	v_cmp_lt_i32_e64 s1, v15, v35
	v_lshrrev_b32_e32 v131, 16, v14
	v_lshrrev_b32_e32 v132, 16, v13
	;; [unrolled: 1-line block ×4, first 2 shown]
	v_cndmask_b32_e64 v14, 0, v14, s1
	v_cmp_lt_i32_e64 s1, v82, v39
	s_delay_alu instid0(VALU_DEP_1) | instskip(SKIP_1) | instid1(VALU_DEP_2)
	v_cndmask_b32_e64 v131, 0, v131, s1
	v_cmp_lt_i32_e64 s1, v81, v39
	v_perm_b32 v14, v131, v14, 0x5040100
	s_delay_alu instid0(VALU_DEP_2) | instskip(SKIP_1) | instid1(VALU_DEP_1)
	v_cndmask_b32_e64 v132, 0, v132, s1
	v_cmp_lt_i32_e64 s1, v70, v35
	v_cndmask_b32_e64 v13, 0, v13, s1
	v_cmp_lt_i32_e64 s1, v65, v39
	s_delay_alu instid0(VALU_DEP_2) | instskip(NEXT) | instid1(VALU_DEP_2)
	v_perm_b32 v13, v132, v13, 0x5040100
	v_cndmask_b32_e64 v133, 0, v133, s1
	v_cmp_lt_i32_e64 s1, v48, v35
	s_delay_alu instid0(VALU_DEP_1) | instskip(SKIP_1) | instid1(VALU_DEP_2)
	v_cndmask_b32_e64 v0, 0, v0, s1
	v_cmp_lt_i32_e64 s1, v23, v39
	v_perm_b32 v0, v133, v0, 0x5040100
	s_delay_alu instid0(VALU_DEP_2) | instskip(SKIP_1) | instid1(VALU_DEP_1)
	v_cndmask_b32_e64 v11, 0, v11, s1
	v_cmp_lt_i32_e64 s1, v17, v35
	v_cndmask_b32_e64 v12, 0, v12, s1
	s_delay_alu instid0(VALU_DEP_1)
	v_perm_b32 v11, v11, v12, 0x5040100
.LBB339_1983:                           ;   in Loop: Header=BB339_1059 Depth=1
	s_or_b32 exec_lo, exec_lo, s9
	;;#ASMSTART
	v_pk_mul_f16 v12, v80, v14;

	;;#ASMEND
	;;#ASMSTART
	v_pk_mul_f16 v13, v69, v13;

	;;#ASMEND
	;;#ASMSTART
	v_pk_mul_f16 v0, v67, v0;

	;;#ASMEND
	;;#ASMSTART
	v_pk_mul_f16 v11, v66, v11;

	;;#ASMEND
	;;#ASMSTART
	v_pk_add_f16 v12, v12, v13;

	;;#ASMEND
	;;#ASMSTART
	v_pk_add_f16 v0, v12, v0;

	;;#ASMEND
	;; [unrolled: 4-line block ×3, first 2 shown]
	v_dual_mov_b32 v134, 0 :: v_dual_and_b32 v11, 0xffff, v0
	v_lshrrev_b32_e32 v0, 16, v0
	;;#ASMSTART
	v_cvt_f32_f16 v131, v11;
	;;#ASMEND
	;;#ASMSTART
	v_cvt_f32_f16 v132, v0;
	;;#ASMEND
	flat_load_b64 v[11:12], v[9:10] offset:3584
	flat_load_b32 v133, v[26:27]
	s_mov_b32 s9, exec_lo
	s_waitcnt vmcnt(1) lgkmcnt(1)
	v_dual_mov_b32 v135, 0 :: v_dual_and_b32 v0, 0xff, v11
	s_delay_alu instid0(VALU_DEP_1)
	v_cmpx_ne_u16_e32 0, v0
	s_cbranch_execz .LBB339_1991
; %bb.1984:                             ;   in Loop: Header=BB339_1059 Depth=1
	v_bfrev_b32_e32 v134, 1
	s_mov_b32 s12, exec_lo
	v_cmpx_ne_u16_e32 0x80, v0
	s_cbranch_execz .LBB339_1990
; %bb.1985:                             ;   in Loop: Header=BB339_1059 Depth=1
	v_and_b32_e32 v13, 0x7f, v11
	v_mov_b32_e32 v134, 0x7fc02000
	s_mov_b32 s13, exec_lo
	s_delay_alu instid0(VALU_DEP_2)
	v_cmpx_ne_u32_e32 0x7f, v13
	s_cbranch_execz .LBB339_1989
; %bb.1986:                             ;   in Loop: Header=BB339_1059 Depth=1
	v_lshrrev_b32_e32 v0, 3, v13
	v_cmp_gt_u32_e64 s1, 8, v13
	v_dual_mov_b32 v14, v12 :: v_dual_mov_b32 v13, v11
	s_delay_alu instid0(VALU_DEP_2)
	s_and_saveexec_b32 s15, s1
; %bb.1987:                             ;   in Loop: Header=BB339_1059 Depth=1
	v_and_b32_e32 v0, 7, v11
	s_delay_alu instid0(VALU_DEP_1) | instskip(NEXT) | instid1(VALU_DEP_1)
	v_clz_i32_u32_e32 v0, v0
	v_min_u32_e32 v0, 32, v0
	s_delay_alu instid0(VALU_DEP_1) | instskip(SKIP_1) | instid1(VALU_DEP_2)
	v_subrev_nc_u32_e32 v13, 28, v0
	v_sub_nc_u32_e32 v0, 29, v0
	v_lshlrev_b64 v[13:14], v13, v[11:12]
; %bb.1988:                             ;   in Loop: Header=BB339_1059 Depth=1
	s_or_b32 exec_lo, exec_lo, s15
	v_lshlrev_b32_e32 v14, 8, v11
	s_delay_alu instid0(VALU_DEP_3) | instskip(NEXT) | instid1(VALU_DEP_3)
	v_lshl_add_u32 v0, v0, 10, 0x2000
	v_lshlrev_b32_e32 v13, 7, v13
	s_delay_alu instid0(VALU_DEP_2) | instskip(NEXT) | instid1(VALU_DEP_1)
	v_and_or_b32 v0, 0x8000, v14, v0
	v_and_or_b32 v0, 0x380, v13, v0
	s_delay_alu instid0(VALU_DEP_1)
	v_cvt_f32_f16_e64 v134, v0
.LBB339_1989:                           ;   in Loop: Header=BB339_1059 Depth=1
	s_or_b32 exec_lo, exec_lo, s13
.LBB339_1990:                           ;   in Loop: Header=BB339_1059 Depth=1
	s_delay_alu instid0(SALU_CYCLE_1)
	s_or_b32 exec_lo, exec_lo, s12
.LBB339_1991:                           ;   in Loop: Header=BB339_1059 Depth=1
	s_delay_alu instid0(SALU_CYCLE_1) | instskip(SKIP_2) | instid1(VALU_DEP_1)
	s_or_b32 exec_lo, exec_lo, s9
	v_lshrrev_b16 v0, 8, v11
	s_mov_b32 s9, exec_lo
	v_cmpx_ne_u16_e32 0, v0
	s_cbranch_execz .LBB339_1999
; %bb.1992:                             ;   in Loop: Header=BB339_1059 Depth=1
	v_bfrev_b32_e32 v135, 1
	s_mov_b32 s12, exec_lo
	v_cmpx_ne_u16_e32 0x80, v0
	s_cbranch_execz .LBB339_1998
; %bb.1993:                             ;   in Loop: Header=BB339_1059 Depth=1
	v_and_b32_e32 v144, 0xffff, v0
	v_mov_b32_e32 v135, 0x7fc02000
	s_mov_b32 s13, exec_lo
	s_delay_alu instid0(VALU_DEP_2) | instskip(NEXT) | instid1(VALU_DEP_1)
	v_and_b32_e32 v145, 0x7f, v144
	v_cmpx_ne_u32_e32 0x7f, v145
	s_cbranch_execz .LBB339_1997
; %bb.1994:                             ;   in Loop: Header=BB339_1059 Depth=1
	v_and_b32_e32 v0, 7, v144
	v_lshrrev_b32_e32 v135, 3, v145
	v_mov_b32_e32 v14, v1
	s_mov_b32 s15, exec_lo
	s_delay_alu instid0(VALU_DEP_3)
	v_mov_b32_e32 v13, v0
	v_cmpx_gt_u32_e32 8, v145
; %bb.1995:                             ;   in Loop: Header=BB339_1059 Depth=1
	v_clz_i32_u32_e32 v13, v0
	s_delay_alu instid0(VALU_DEP_1) | instskip(NEXT) | instid1(VALU_DEP_1)
	v_min_u32_e32 v135, 32, v13
	v_subrev_nc_u32_e32 v13, 28, v135
	v_sub_nc_u32_e32 v135, 29, v135
	s_delay_alu instid0(VALU_DEP_2) | instskip(NEXT) | instid1(VALU_DEP_1)
	v_lshlrev_b64 v[13:14], v13, v[0:1]
	v_and_b32_e32 v13, 7, v13
; %bb.1996:                             ;   in Loop: Header=BB339_1059 Depth=1
	s_or_b32 exec_lo, exec_lo, s15
	v_lshlrev_b32_e32 v0, 8, v144
	v_lshl_add_u32 v14, v135, 10, 0x2000
	s_delay_alu instid0(VALU_DEP_1) | instskip(NEXT) | instid1(VALU_DEP_1)
	v_and_or_b32 v0, 0x8000, v0, v14
	v_lshl_or_b32 v0, v13, 7, v0
	s_delay_alu instid0(VALU_DEP_1)
	v_cvt_f32_f16_e64 v135, v0
.LBB339_1997:                           ;   in Loop: Header=BB339_1059 Depth=1
	s_or_b32 exec_lo, exec_lo, s13
.LBB339_1998:                           ;   in Loop: Header=BB339_1059 Depth=1
	s_delay_alu instid0(SALU_CYCLE_1)
	s_or_b32 exec_lo, exec_lo, s12
.LBB339_1999:                           ;   in Loop: Header=BB339_1059 Depth=1
	s_delay_alu instid0(SALU_CYCLE_1) | instskip(SKIP_3) | instid1(VALU_DEP_2)
	s_or_b32 exec_lo, exec_lo, s9
	v_lshrrev_b32_e32 v146, 16, v11
	v_mov_b32_e32 v144, 0
	s_mov_b32 s9, exec_lo
	v_dual_mov_b32 v145, 0 :: v_dual_and_b32 v0, 0xff, v146
	s_delay_alu instid0(VALU_DEP_1)
	v_cmpx_ne_u16_e32 0, v0
	s_cbranch_execz .LBB339_2007
; %bb.2000:                             ;   in Loop: Header=BB339_1059 Depth=1
	v_bfrev_b32_e32 v144, 1
	s_mov_b32 s12, exec_lo
	v_cmpx_ne_u16_e32 0x80, v0
	s_cbranch_execz .LBB339_2006
; %bb.2001:                             ;   in Loop: Header=BB339_1059 Depth=1
	v_bfe_u32 v147, v11, 16, 7
	v_mov_b32_e32 v144, 0x7fc02000
	s_mov_b32 s13, exec_lo
	s_delay_alu instid0(VALU_DEP_2)
	v_cmpx_ne_u32_e32 0x7f, v147
	s_cbranch_execz .LBB339_2005
; %bb.2002:                             ;   in Loop: Header=BB339_1059 Depth=1
	v_and_b32_e32 v0, 7, v146
	v_lshrrev_b32_e32 v144, 3, v147
	v_mov_b32_e32 v14, v1
	s_mov_b32 s15, exec_lo
	s_delay_alu instid0(VALU_DEP_3)
	v_mov_b32_e32 v13, v0
	v_cmpx_gt_u32_e32 8, v147
; %bb.2003:                             ;   in Loop: Header=BB339_1059 Depth=1
	v_clz_i32_u32_e32 v13, v0
	s_delay_alu instid0(VALU_DEP_1) | instskip(NEXT) | instid1(VALU_DEP_1)
	v_min_u32_e32 v144, 32, v13
	v_subrev_nc_u32_e32 v13, 28, v144
	v_sub_nc_u32_e32 v144, 29, v144
	s_delay_alu instid0(VALU_DEP_2) | instskip(NEXT) | instid1(VALU_DEP_1)
	v_lshlrev_b64 v[13:14], v13, v[0:1]
	v_and_b32_e32 v13, 7, v13
; %bb.2004:                             ;   in Loop: Header=BB339_1059 Depth=1
	s_or_b32 exec_lo, exec_lo, s15
	v_lshlrev_b32_e32 v0, 8, v146
	v_lshl_add_u32 v14, v144, 10, 0x2000
	s_delay_alu instid0(VALU_DEP_1) | instskip(NEXT) | instid1(VALU_DEP_1)
	v_and_or_b32 v0, 0x8000, v0, v14
	v_lshl_or_b32 v0, v13, 7, v0
	s_delay_alu instid0(VALU_DEP_1)
	v_cvt_f32_f16_e64 v144, v0
.LBB339_2005:                           ;   in Loop: Header=BB339_1059 Depth=1
	s_or_b32 exec_lo, exec_lo, s13
.LBB339_2006:                           ;   in Loop: Header=BB339_1059 Depth=1
	s_delay_alu instid0(SALU_CYCLE_1)
	s_or_b32 exec_lo, exec_lo, s12
.LBB339_2007:                           ;   in Loop: Header=BB339_1059 Depth=1
	s_delay_alu instid0(SALU_CYCLE_1) | instskip(NEXT) | instid1(SALU_CYCLE_1)
	s_or_b32 exec_lo, exec_lo, s9
	s_mov_b32 s9, exec_lo
	v_cmpx_lt_u32_e32 0xffffff, v11
	s_cbranch_execz .LBB339_2015
; %bb.2008:                             ;   in Loop: Header=BB339_1059 Depth=1
	v_lshrrev_b32_e32 v146, 24, v11
	v_bfrev_b32_e32 v145, 1
	s_mov_b32 s12, exec_lo
	s_delay_alu instid0(VALU_DEP_2)
	v_cmpx_ne_u32_e32 0x80, v146
	s_cbranch_execz .LBB339_2014
; %bb.2009:                             ;   in Loop: Header=BB339_1059 Depth=1
	v_and_b32_e32 v147, 0x7f, v146
	v_mov_b32_e32 v145, 0x7fc02000
	s_mov_b32 s13, exec_lo
	s_delay_alu instid0(VALU_DEP_2)
	v_cmpx_ne_u32_e32 0x7f, v147
	s_cbranch_execz .LBB339_2013
; %bb.2010:                             ;   in Loop: Header=BB339_1059 Depth=1
	v_and_b32_e32 v0, 7, v146
	v_lshrrev_b32_e32 v145, 3, v147
	v_mov_b32_e32 v14, v1
	s_mov_b32 s15, exec_lo
	s_delay_alu instid0(VALU_DEP_3)
	v_mov_b32_e32 v13, v0
	v_cmpx_gt_u32_e32 8, v147
; %bb.2011:                             ;   in Loop: Header=BB339_1059 Depth=1
	v_clz_i32_u32_e32 v13, v0
	s_delay_alu instid0(VALU_DEP_1) | instskip(NEXT) | instid1(VALU_DEP_1)
	v_min_u32_e32 v145, 32, v13
	v_subrev_nc_u32_e32 v13, 28, v145
	v_sub_nc_u32_e32 v145, 29, v145
	s_delay_alu instid0(VALU_DEP_2) | instskip(NEXT) | instid1(VALU_DEP_1)
	v_lshlrev_b64 v[13:14], v13, v[0:1]
	v_and_b32_e32 v13, 7, v13
; %bb.2012:                             ;   in Loop: Header=BB339_1059 Depth=1
	s_or_b32 exec_lo, exec_lo, s15
	v_lshlrev_b32_e32 v0, 8, v146
	v_lshl_add_u32 v14, v145, 10, 0x2000
	s_delay_alu instid0(VALU_DEP_1) | instskip(NEXT) | instid1(VALU_DEP_1)
	v_and_or_b32 v0, 0x8000, v0, v14
	v_lshl_or_b32 v0, v13, 7, v0
	s_delay_alu instid0(VALU_DEP_1)
	v_cvt_f32_f16_e64 v145, v0
.LBB339_2013:                           ;   in Loop: Header=BB339_1059 Depth=1
	s_or_b32 exec_lo, exec_lo, s13
.LBB339_2014:                           ;   in Loop: Header=BB339_1059 Depth=1
	s_delay_alu instid0(SALU_CYCLE_1)
	s_or_b32 exec_lo, exec_lo, s12
.LBB339_2015:                           ;   in Loop: Header=BB339_1059 Depth=1
	s_delay_alu instid0(SALU_CYCLE_1) | instskip(SKIP_3) | instid1(VALU_DEP_2)
	s_or_b32 exec_lo, exec_lo, s9
	v_dual_mov_b32 v0, v12 :: v_dual_and_b32 v13, 0xff, v12
	v_dual_mov_b32 v147, 0 :: v_dual_mov_b32 v146, 0
	s_mov_b32 s9, exec_lo
	v_cmpx_ne_u16_e32 0, v13
	s_cbranch_execz .LBB339_2023
; %bb.2016:                             ;   in Loop: Header=BB339_1059 Depth=1
	v_bfrev_b32_e32 v146, 1
	s_mov_b32 s12, exec_lo
	v_cmpx_ne_u16_e32 0x80, v13
	s_cbranch_execz .LBB339_2022
; %bb.2017:                             ;   in Loop: Header=BB339_1059 Depth=1
	v_and_b32_e32 v148, 0x7f, v12
	v_mov_b32_e32 v146, 0x7fc02000
	s_mov_b32 s13, exec_lo
	s_delay_alu instid0(VALU_DEP_2)
	v_cmpx_ne_u32_e32 0x7f, v148
	s_cbranch_execz .LBB339_2021
; %bb.2018:                             ;   in Loop: Header=BB339_1059 Depth=1
	v_dual_mov_b32 v14, v1 :: v_dual_mov_b32 v13, v0
	v_lshrrev_b32_e32 v14, 3, v148
	s_mov_b32 s15, exec_lo
	v_cmpx_gt_u32_e32 8, v148
; %bb.2019:                             ;   in Loop: Header=BB339_1059 Depth=1
	v_and_b32_e32 v13, 7, v12
	s_delay_alu instid0(VALU_DEP_1) | instskip(NEXT) | instid1(VALU_DEP_1)
	v_clz_i32_u32_e32 v13, v13
	v_min_u32_e32 v146, 32, v13
	s_delay_alu instid0(VALU_DEP_1) | instskip(NEXT) | instid1(VALU_DEP_1)
	v_subrev_nc_u32_e32 v13, 28, v146
	v_lshlrev_b64 v[13:14], v13, v[0:1]
	v_sub_nc_u32_e32 v14, 29, v146
; %bb.2020:                             ;   in Loop: Header=BB339_1059 Depth=1
	s_or_b32 exec_lo, exec_lo, s15
	v_lshlrev_b32_e32 v146, 8, v12
	s_delay_alu instid0(VALU_DEP_2) | instskip(NEXT) | instid1(VALU_DEP_4)
	v_lshl_add_u32 v14, v14, 10, 0x2000
	v_lshlrev_b32_e32 v13, 7, v13
	s_delay_alu instid0(VALU_DEP_2) | instskip(NEXT) | instid1(VALU_DEP_1)
	v_and_or_b32 v14, 0x8000, v146, v14
	v_and_or_b32 v13, 0x380, v13, v14
	s_delay_alu instid0(VALU_DEP_1)
	v_cvt_f32_f16_e64 v146, v13
.LBB339_2021:                           ;   in Loop: Header=BB339_1059 Depth=1
	s_or_b32 exec_lo, exec_lo, s13
.LBB339_2022:                           ;   in Loop: Header=BB339_1059 Depth=1
	s_delay_alu instid0(SALU_CYCLE_1)
	s_or_b32 exec_lo, exec_lo, s12
.LBB339_2023:                           ;   in Loop: Header=BB339_1059 Depth=1
	s_delay_alu instid0(SALU_CYCLE_1) | instskip(SKIP_2) | instid1(VALU_DEP_1)
	s_or_b32 exec_lo, exec_lo, s9
	v_lshrrev_b16 v0, 8, v0
	s_mov_b32 s9, exec_lo
	v_cmpx_ne_u16_e32 0, v0
	s_cbranch_execz .LBB339_2031
; %bb.2024:                             ;   in Loop: Header=BB339_1059 Depth=1
	v_bfrev_b32_e32 v147, 1
	s_mov_b32 s12, exec_lo
	v_cmpx_ne_u16_e32 0x80, v0
	s_cbranch_execz .LBB339_2030
; %bb.2025:                             ;   in Loop: Header=BB339_1059 Depth=1
	v_and_b32_e32 v148, 0xffff, v0
	v_mov_b32_e32 v147, 0x7fc02000
	s_mov_b32 s13, exec_lo
	s_delay_alu instid0(VALU_DEP_2) | instskip(NEXT) | instid1(VALU_DEP_1)
	v_and_b32_e32 v149, 0x7f, v148
	v_cmpx_ne_u32_e32 0x7f, v149
	s_cbranch_execz .LBB339_2029
; %bb.2026:                             ;   in Loop: Header=BB339_1059 Depth=1
	v_and_b32_e32 v0, 7, v148
	v_lshrrev_b32_e32 v147, 3, v149
	v_mov_b32_e32 v14, v1
	s_mov_b32 s15, exec_lo
	s_delay_alu instid0(VALU_DEP_3)
	v_mov_b32_e32 v13, v0
	v_cmpx_gt_u32_e32 8, v149
; %bb.2027:                             ;   in Loop: Header=BB339_1059 Depth=1
	v_clz_i32_u32_e32 v13, v0
	s_delay_alu instid0(VALU_DEP_1) | instskip(NEXT) | instid1(VALU_DEP_1)
	v_min_u32_e32 v147, 32, v13
	v_subrev_nc_u32_e32 v13, 28, v147
	v_sub_nc_u32_e32 v147, 29, v147
	s_delay_alu instid0(VALU_DEP_2) | instskip(NEXT) | instid1(VALU_DEP_1)
	v_lshlrev_b64 v[13:14], v13, v[0:1]
	v_and_b32_e32 v13, 7, v13
; %bb.2028:                             ;   in Loop: Header=BB339_1059 Depth=1
	s_or_b32 exec_lo, exec_lo, s15
	v_lshlrev_b32_e32 v0, 8, v148
	v_lshl_add_u32 v14, v147, 10, 0x2000
	s_delay_alu instid0(VALU_DEP_1) | instskip(NEXT) | instid1(VALU_DEP_1)
	v_and_or_b32 v0, 0x8000, v0, v14
	v_lshl_or_b32 v0, v13, 7, v0
	s_delay_alu instid0(VALU_DEP_1)
	v_cvt_f32_f16_e64 v147, v0
.LBB339_2029:                           ;   in Loop: Header=BB339_1059 Depth=1
	s_or_b32 exec_lo, exec_lo, s13
.LBB339_2030:                           ;   in Loop: Header=BB339_1059 Depth=1
	s_delay_alu instid0(SALU_CYCLE_1)
	s_or_b32 exec_lo, exec_lo, s12
.LBB339_2031:                           ;   in Loop: Header=BB339_1059 Depth=1
	s_delay_alu instid0(SALU_CYCLE_1) | instskip(SKIP_3) | instid1(VALU_DEP_2)
	s_or_b32 exec_lo, exec_lo, s9
	v_lshrrev_b32_e32 v149, 16, v12
	v_mov_b32_e32 v148, 0
	s_mov_b32 s9, exec_lo
	v_dual_mov_b32 v13, 0 :: v_dual_and_b32 v0, 0xff, v149
	s_delay_alu instid0(VALU_DEP_1)
	v_cmpx_ne_u16_e32 0, v0
	s_cbranch_execz .LBB339_2039
; %bb.2032:                             ;   in Loop: Header=BB339_1059 Depth=1
	v_bfrev_b32_e32 v13, 1
	s_mov_b32 s12, exec_lo
	v_cmpx_ne_u16_e32 0x80, v0
	s_cbranch_execz .LBB339_2038
; %bb.2033:                             ;   in Loop: Header=BB339_1059 Depth=1
	v_bfe_u32 v151, v12, 16, 7
	v_mov_b32_e32 v13, 0x7fc02000
	s_mov_b32 s13, exec_lo
	s_delay_alu instid0(VALU_DEP_2)
	v_cmpx_ne_u32_e32 0x7f, v151
	s_cbranch_execz .LBB339_2037
; %bb.2034:                             ;   in Loop: Header=BB339_1059 Depth=1
	v_and_b32_e32 v0, 7, v149
	v_lshrrev_b32_e32 v150, 3, v151
	v_mov_b32_e32 v14, v1
	s_mov_b32 s15, exec_lo
	s_delay_alu instid0(VALU_DEP_3)
	v_mov_b32_e32 v13, v0
	v_cmpx_gt_u32_e32 8, v151
; %bb.2035:                             ;   in Loop: Header=BB339_1059 Depth=1
	v_clz_i32_u32_e32 v13, v0
	s_delay_alu instid0(VALU_DEP_1) | instskip(NEXT) | instid1(VALU_DEP_1)
	v_min_u32_e32 v150, 32, v13
	v_subrev_nc_u32_e32 v13, 28, v150
	v_sub_nc_u32_e32 v150, 29, v150
	s_delay_alu instid0(VALU_DEP_2) | instskip(NEXT) | instid1(VALU_DEP_1)
	v_lshlrev_b64 v[13:14], v13, v[0:1]
	v_and_b32_e32 v13, 7, v13
; %bb.2036:                             ;   in Loop: Header=BB339_1059 Depth=1
	s_or_b32 exec_lo, exec_lo, s15
	v_lshlrev_b32_e32 v0, 8, v149
	v_lshl_add_u32 v14, v150, 10, 0x2000
	s_delay_alu instid0(VALU_DEP_1) | instskip(NEXT) | instid1(VALU_DEP_1)
	v_and_or_b32 v0, 0x8000, v0, v14
	v_lshl_or_b32 v0, v13, 7, v0
	s_delay_alu instid0(VALU_DEP_1)
	v_cvt_f32_f16_e32 v13, v0
.LBB339_2037:                           ;   in Loop: Header=BB339_1059 Depth=1
	s_or_b32 exec_lo, exec_lo, s13
.LBB339_2038:                           ;   in Loop: Header=BB339_1059 Depth=1
	s_delay_alu instid0(SALU_CYCLE_1)
	s_or_b32 exec_lo, exec_lo, s12
.LBB339_2039:                           ;   in Loop: Header=BB339_1059 Depth=1
	s_delay_alu instid0(SALU_CYCLE_1) | instskip(NEXT) | instid1(SALU_CYCLE_1)
	s_or_b32 exec_lo, exec_lo, s9
	s_mov_b32 s9, exec_lo
	v_cmpx_lt_u64_e64 s[4:5], v[11:12]
	s_cbranch_execz .LBB339_2047
; %bb.2040:                             ;   in Loop: Header=BB339_1059 Depth=1
	v_lshrrev_b32_e32 v14, 24, v12
	v_bfrev_b32_e32 v148, 1
	s_mov_b32 s12, exec_lo
	s_delay_alu instid0(VALU_DEP_2)
	v_cmpx_ne_u32_e32 0x80, v14
	s_cbranch_execz .LBB339_2046
; %bb.2041:                             ;   in Loop: Header=BB339_1059 Depth=1
	v_and_b32_e32 v149, 0x7f, v14
	v_mov_b32_e32 v148, 0x7fc02000
	s_mov_b32 s13, exec_lo
	s_delay_alu instid0(VALU_DEP_2)
	v_cmpx_ne_u32_e32 0x7f, v149
	s_cbranch_execz .LBB339_2045
; %bb.2042:                             ;   in Loop: Header=BB339_1059 Depth=1
	v_and_b32_e32 v0, 7, v14
	v_lshrrev_b32_e32 v148, 3, v149
	v_mov_b32_e32 v12, v1
	s_mov_b32 s15, exec_lo
	s_delay_alu instid0(VALU_DEP_3)
	v_mov_b32_e32 v11, v0
	v_cmpx_gt_u32_e32 8, v149
; %bb.2043:                             ;   in Loop: Header=BB339_1059 Depth=1
	v_clz_i32_u32_e32 v11, v0
	s_delay_alu instid0(VALU_DEP_1) | instskip(NEXT) | instid1(VALU_DEP_1)
	v_min_u32_e32 v148, 32, v11
	v_subrev_nc_u32_e32 v11, 28, v148
	v_sub_nc_u32_e32 v148, 29, v148
	s_delay_alu instid0(VALU_DEP_2) | instskip(NEXT) | instid1(VALU_DEP_1)
	v_lshlrev_b64 v[11:12], v11, v[0:1]
	v_and_b32_e32 v11, 7, v11
; %bb.2044:                             ;   in Loop: Header=BB339_1059 Depth=1
	s_or_b32 exec_lo, exec_lo, s15
	v_lshlrev_b32_e32 v0, 8, v14
	v_lshl_add_u32 v12, v148, 10, 0x2000
	s_delay_alu instid0(VALU_DEP_1) | instskip(NEXT) | instid1(VALU_DEP_1)
	v_and_or_b32 v0, 0x8000, v0, v12
	v_lshl_or_b32 v0, v11, 7, v0
	s_delay_alu instid0(VALU_DEP_1)
	v_cvt_f32_f16_e64 v148, v0
.LBB339_2045:                           ;   in Loop: Header=BB339_1059 Depth=1
	s_or_b32 exec_lo, exec_lo, s13
.LBB339_2046:                           ;   in Loop: Header=BB339_1059 Depth=1
	s_delay_alu instid0(SALU_CYCLE_1)
	s_or_b32 exec_lo, exec_lo, s12
.LBB339_2047:                           ;   in Loop: Header=BB339_1059 Depth=1
	s_delay_alu instid0(SALU_CYCLE_1)
	s_or_b32 exec_lo, exec_lo, s9
	s_waitcnt vmcnt(0) lgkmcnt(0)
	v_fma_mixlo_f16 v12, v133, v135, 0
	v_fma_mixlo_f16 v0, v133, v145, 0
	;; [unrolled: 1-line block ×5, first 2 shown]
	v_lshlrev_b32_e32 v14, 16, v12
	v_fma_mixlo_f16 v144, v133, v146, 0
	v_fma_mixlo_f16 v145, v133, v148, 0
	v_fma_mixlo_f16 v12, v133, v13, 0
	v_lshlrev_b32_e32 v0, 16, v0
	v_and_b32_e32 v11, 0xffff, v11
	v_and_b32_e32 v133, 0xffff, v134
	v_lshlrev_b32_e32 v134, 16, v135
	v_and_b32_e32 v135, 0xffff, v144
	v_lshlrev_b32_e32 v144, 16, v145
	v_and_b32_e32 v145, 0xffff, v12
	v_or_b32_e32 v13, v0, v11
	v_or_b32_e32 v14, v14, v133
	;; [unrolled: 1-line block ×3, first 2 shown]
	s_delay_alu instid0(VALU_DEP_4)
	v_or_b32_e32 v11, v144, v145
	s_and_saveexec_b32 s9, vcc_lo
	s_cbranch_execz .LBB339_2049
; %bb.2048:                             ;   in Loop: Header=BB339_1059 Depth=1
	v_cmp_lt_i32_e64 s1, v15, v35
	v_lshrrev_b32_e32 v133, 16, v14
	v_lshrrev_b32_e32 v134, 16, v13
	;; [unrolled: 1-line block ×4, first 2 shown]
	v_cndmask_b32_e64 v14, 0, v14, s1
	v_cmp_lt_i32_e64 s1, v82, v39
	s_delay_alu instid0(VALU_DEP_1) | instskip(SKIP_1) | instid1(VALU_DEP_2)
	v_cndmask_b32_e64 v133, 0, v133, s1
	v_cmp_lt_i32_e64 s1, v81, v39
	v_perm_b32 v14, v133, v14, 0x5040100
	s_delay_alu instid0(VALU_DEP_2) | instskip(SKIP_1) | instid1(VALU_DEP_1)
	v_cndmask_b32_e64 v134, 0, v134, s1
	v_cmp_lt_i32_e64 s1, v70, v35
	v_cndmask_b32_e64 v13, 0, v13, s1
	v_cmp_lt_i32_e64 s1, v65, v39
	s_delay_alu instid0(VALU_DEP_2) | instskip(NEXT) | instid1(VALU_DEP_2)
	v_perm_b32 v13, v134, v13, 0x5040100
	v_cndmask_b32_e64 v135, 0, v135, s1
	v_cmp_lt_i32_e64 s1, v48, v35
	s_delay_alu instid0(VALU_DEP_1) | instskip(SKIP_1) | instid1(VALU_DEP_2)
	v_cndmask_b32_e64 v0, 0, v0, s1
	v_cmp_lt_i32_e64 s1, v23, v39
	v_perm_b32 v0, v135, v0, 0x5040100
	s_delay_alu instid0(VALU_DEP_2) | instskip(SKIP_1) | instid1(VALU_DEP_1)
	v_cndmask_b32_e64 v11, 0, v11, s1
	v_cmp_lt_i32_e64 s1, v17, v35
	v_cndmask_b32_e64 v12, 0, v12, s1
	s_delay_alu instid0(VALU_DEP_1)
	v_perm_b32 v11, v11, v12, 0x5040100
.LBB339_2049:                           ;   in Loop: Header=BB339_1059 Depth=1
	s_or_b32 exec_lo, exec_lo, s9
	;;#ASMSTART
	v_pk_mul_f16 v12, v80, v14;

	;;#ASMEND
	;;#ASMSTART
	v_pk_mul_f16 v13, v69, v13;

	;;#ASMEND
	;;#ASMSTART
	v_pk_mul_f16 v0, v67, v0;

	;;#ASMEND
	;;#ASMSTART
	v_pk_mul_f16 v11, v66, v11;

	;;#ASMEND
	;;#ASMSTART
	v_pk_add_f16 v12, v12, v13;

	;;#ASMEND
	;;#ASMSTART
	v_pk_add_f16 v0, v12, v0;

	;;#ASMEND
	;; [unrolled: 4-line block ×3, first 2 shown]
	v_dual_mov_b32 v134, 0 :: v_dual_and_b32 v11, 0xffff, v0
	v_lshrrev_b32_e32 v0, 16, v0
	;;#ASMSTART
	v_cvt_f32_f16 v13, v11;
	;;#ASMEND
	;;#ASMSTART
	v_cvt_f32_f16 v14, v0;
	;;#ASMEND
	flat_load_b64 v[9:10], v[9:10] offset:3840
	flat_load_b32 v133, v[26:27]
	s_mov_b32 s9, exec_lo
	s_waitcnt vmcnt(1) lgkmcnt(1)
	v_dual_mov_b32 v135, 0 :: v_dual_and_b32 v0, 0xff, v9
	s_delay_alu instid0(VALU_DEP_1)
	v_cmpx_ne_u16_e32 0, v0
	s_cbranch_execz .LBB339_2057
; %bb.2050:                             ;   in Loop: Header=BB339_1059 Depth=1
	v_bfrev_b32_e32 v134, 1
	s_mov_b32 s12, exec_lo
	v_cmpx_ne_u16_e32 0x80, v0
	s_cbranch_execz .LBB339_2056
; %bb.2051:                             ;   in Loop: Header=BB339_1059 Depth=1
	v_and_b32_e32 v11, 0x7f, v9
	v_mov_b32_e32 v134, 0x7fc02000
	s_mov_b32 s13, exec_lo
	s_delay_alu instid0(VALU_DEP_2)
	v_cmpx_ne_u32_e32 0x7f, v11
	s_cbranch_execz .LBB339_2055
; %bb.2052:                             ;   in Loop: Header=BB339_1059 Depth=1
	v_lshrrev_b32_e32 v0, 3, v11
	v_cmp_gt_u32_e64 s1, 8, v11
	v_dual_mov_b32 v12, v10 :: v_dual_mov_b32 v11, v9
	s_delay_alu instid0(VALU_DEP_2)
	s_and_saveexec_b32 s15, s1
; %bb.2053:                             ;   in Loop: Header=BB339_1059 Depth=1
	v_and_b32_e32 v0, 7, v9
	s_delay_alu instid0(VALU_DEP_1) | instskip(NEXT) | instid1(VALU_DEP_1)
	v_clz_i32_u32_e32 v0, v0
	v_min_u32_e32 v0, 32, v0
	s_delay_alu instid0(VALU_DEP_1) | instskip(SKIP_1) | instid1(VALU_DEP_2)
	v_subrev_nc_u32_e32 v11, 28, v0
	v_sub_nc_u32_e32 v0, 29, v0
	v_lshlrev_b64 v[11:12], v11, v[9:10]
; %bb.2054:                             ;   in Loop: Header=BB339_1059 Depth=1
	s_or_b32 exec_lo, exec_lo, s15
	v_lshlrev_b32_e32 v12, 8, v9
	s_delay_alu instid0(VALU_DEP_3) | instskip(NEXT) | instid1(VALU_DEP_3)
	v_lshl_add_u32 v0, v0, 10, 0x2000
	v_lshlrev_b32_e32 v11, 7, v11
	s_delay_alu instid0(VALU_DEP_2) | instskip(NEXT) | instid1(VALU_DEP_1)
	v_and_or_b32 v0, 0x8000, v12, v0
	v_and_or_b32 v0, 0x380, v11, v0
	s_delay_alu instid0(VALU_DEP_1)
	v_cvt_f32_f16_e64 v134, v0
.LBB339_2055:                           ;   in Loop: Header=BB339_1059 Depth=1
	s_or_b32 exec_lo, exec_lo, s13
.LBB339_2056:                           ;   in Loop: Header=BB339_1059 Depth=1
	s_delay_alu instid0(SALU_CYCLE_1)
	s_or_b32 exec_lo, exec_lo, s12
.LBB339_2057:                           ;   in Loop: Header=BB339_1059 Depth=1
	s_delay_alu instid0(SALU_CYCLE_1) | instskip(SKIP_2) | instid1(VALU_DEP_1)
	s_or_b32 exec_lo, exec_lo, s9
	v_lshrrev_b16 v0, 8, v9
	s_mov_b32 s9, exec_lo
	v_cmpx_ne_u16_e32 0, v0
	s_cbranch_execz .LBB339_2065
; %bb.2058:                             ;   in Loop: Header=BB339_1059 Depth=1
	v_bfrev_b32_e32 v135, 1
	s_mov_b32 s12, exec_lo
	v_cmpx_ne_u16_e32 0x80, v0
	s_cbranch_execz .LBB339_2064
; %bb.2059:                             ;   in Loop: Header=BB339_1059 Depth=1
	v_and_b32_e32 v144, 0xffff, v0
	v_mov_b32_e32 v135, 0x7fc02000
	s_mov_b32 s13, exec_lo
	s_delay_alu instid0(VALU_DEP_2) | instskip(NEXT) | instid1(VALU_DEP_1)
	v_and_b32_e32 v145, 0x7f, v144
	v_cmpx_ne_u32_e32 0x7f, v145
	s_cbranch_execz .LBB339_2063
; %bb.2060:                             ;   in Loop: Header=BB339_1059 Depth=1
	v_and_b32_e32 v0, 7, v144
	v_lshrrev_b32_e32 v135, 3, v145
	v_mov_b32_e32 v12, v1
	s_mov_b32 s15, exec_lo
	s_delay_alu instid0(VALU_DEP_3)
	v_mov_b32_e32 v11, v0
	v_cmpx_gt_u32_e32 8, v145
; %bb.2061:                             ;   in Loop: Header=BB339_1059 Depth=1
	v_clz_i32_u32_e32 v11, v0
	s_delay_alu instid0(VALU_DEP_1) | instskip(NEXT) | instid1(VALU_DEP_1)
	v_min_u32_e32 v135, 32, v11
	v_subrev_nc_u32_e32 v11, 28, v135
	v_sub_nc_u32_e32 v135, 29, v135
	s_delay_alu instid0(VALU_DEP_2) | instskip(NEXT) | instid1(VALU_DEP_1)
	v_lshlrev_b64 v[11:12], v11, v[0:1]
	v_and_b32_e32 v11, 7, v11
; %bb.2062:                             ;   in Loop: Header=BB339_1059 Depth=1
	s_or_b32 exec_lo, exec_lo, s15
	v_lshlrev_b32_e32 v0, 8, v144
	v_lshl_add_u32 v12, v135, 10, 0x2000
	s_delay_alu instid0(VALU_DEP_1) | instskip(NEXT) | instid1(VALU_DEP_1)
	v_and_or_b32 v0, 0x8000, v0, v12
	v_lshl_or_b32 v0, v11, 7, v0
	s_delay_alu instid0(VALU_DEP_1)
	v_cvt_f32_f16_e64 v135, v0
.LBB339_2063:                           ;   in Loop: Header=BB339_1059 Depth=1
	s_or_b32 exec_lo, exec_lo, s13
.LBB339_2064:                           ;   in Loop: Header=BB339_1059 Depth=1
	s_delay_alu instid0(SALU_CYCLE_1)
	s_or_b32 exec_lo, exec_lo, s12
.LBB339_2065:                           ;   in Loop: Header=BB339_1059 Depth=1
	s_delay_alu instid0(SALU_CYCLE_1) | instskip(SKIP_3) | instid1(VALU_DEP_2)
	s_or_b32 exec_lo, exec_lo, s9
	v_lshrrev_b32_e32 v146, 16, v9
	v_mov_b32_e32 v144, 0
	s_mov_b32 s9, exec_lo
	v_dual_mov_b32 v145, 0 :: v_dual_and_b32 v0, 0xff, v146
	s_delay_alu instid0(VALU_DEP_1)
	v_cmpx_ne_u16_e32 0, v0
	s_cbranch_execz .LBB339_2073
; %bb.2066:                             ;   in Loop: Header=BB339_1059 Depth=1
	v_bfrev_b32_e32 v144, 1
	s_mov_b32 s12, exec_lo
	v_cmpx_ne_u16_e32 0x80, v0
	s_cbranch_execz .LBB339_2072
; %bb.2067:                             ;   in Loop: Header=BB339_1059 Depth=1
	v_bfe_u32 v147, v9, 16, 7
	v_mov_b32_e32 v144, 0x7fc02000
	s_mov_b32 s13, exec_lo
	s_delay_alu instid0(VALU_DEP_2)
	v_cmpx_ne_u32_e32 0x7f, v147
	s_cbranch_execz .LBB339_2071
; %bb.2068:                             ;   in Loop: Header=BB339_1059 Depth=1
	v_and_b32_e32 v0, 7, v146
	v_lshrrev_b32_e32 v144, 3, v147
	v_mov_b32_e32 v12, v1
	s_mov_b32 s15, exec_lo
	s_delay_alu instid0(VALU_DEP_3)
	v_mov_b32_e32 v11, v0
	v_cmpx_gt_u32_e32 8, v147
; %bb.2069:                             ;   in Loop: Header=BB339_1059 Depth=1
	v_clz_i32_u32_e32 v11, v0
	s_delay_alu instid0(VALU_DEP_1) | instskip(NEXT) | instid1(VALU_DEP_1)
	v_min_u32_e32 v144, 32, v11
	v_subrev_nc_u32_e32 v11, 28, v144
	v_sub_nc_u32_e32 v144, 29, v144
	s_delay_alu instid0(VALU_DEP_2) | instskip(NEXT) | instid1(VALU_DEP_1)
	v_lshlrev_b64 v[11:12], v11, v[0:1]
	v_and_b32_e32 v11, 7, v11
; %bb.2070:                             ;   in Loop: Header=BB339_1059 Depth=1
	s_or_b32 exec_lo, exec_lo, s15
	v_lshlrev_b32_e32 v0, 8, v146
	v_lshl_add_u32 v12, v144, 10, 0x2000
	s_delay_alu instid0(VALU_DEP_1) | instskip(NEXT) | instid1(VALU_DEP_1)
	v_and_or_b32 v0, 0x8000, v0, v12
	v_lshl_or_b32 v0, v11, 7, v0
	s_delay_alu instid0(VALU_DEP_1)
	v_cvt_f32_f16_e64 v144, v0
.LBB339_2071:                           ;   in Loop: Header=BB339_1059 Depth=1
	s_or_b32 exec_lo, exec_lo, s13
.LBB339_2072:                           ;   in Loop: Header=BB339_1059 Depth=1
	s_delay_alu instid0(SALU_CYCLE_1)
	s_or_b32 exec_lo, exec_lo, s12
.LBB339_2073:                           ;   in Loop: Header=BB339_1059 Depth=1
	s_delay_alu instid0(SALU_CYCLE_1) | instskip(NEXT) | instid1(SALU_CYCLE_1)
	s_or_b32 exec_lo, exec_lo, s9
	s_mov_b32 s9, exec_lo
	v_cmpx_lt_u32_e32 0xffffff, v9
	s_cbranch_execz .LBB339_2081
; %bb.2074:                             ;   in Loop: Header=BB339_1059 Depth=1
	v_lshrrev_b32_e32 v146, 24, v9
	v_bfrev_b32_e32 v145, 1
	s_mov_b32 s12, exec_lo
	s_delay_alu instid0(VALU_DEP_2)
	v_cmpx_ne_u32_e32 0x80, v146
	s_cbranch_execz .LBB339_2080
; %bb.2075:                             ;   in Loop: Header=BB339_1059 Depth=1
	v_and_b32_e32 v147, 0x7f, v146
	v_mov_b32_e32 v145, 0x7fc02000
	s_mov_b32 s13, exec_lo
	s_delay_alu instid0(VALU_DEP_2)
	v_cmpx_ne_u32_e32 0x7f, v147
	s_cbranch_execz .LBB339_2079
; %bb.2076:                             ;   in Loop: Header=BB339_1059 Depth=1
	v_and_b32_e32 v0, 7, v146
	v_lshrrev_b32_e32 v145, 3, v147
	v_mov_b32_e32 v12, v1
	s_mov_b32 s15, exec_lo
	s_delay_alu instid0(VALU_DEP_3)
	v_mov_b32_e32 v11, v0
	v_cmpx_gt_u32_e32 8, v147
; %bb.2077:                             ;   in Loop: Header=BB339_1059 Depth=1
	v_clz_i32_u32_e32 v11, v0
	s_delay_alu instid0(VALU_DEP_1) | instskip(NEXT) | instid1(VALU_DEP_1)
	v_min_u32_e32 v145, 32, v11
	v_subrev_nc_u32_e32 v11, 28, v145
	v_sub_nc_u32_e32 v145, 29, v145
	s_delay_alu instid0(VALU_DEP_2) | instskip(NEXT) | instid1(VALU_DEP_1)
	v_lshlrev_b64 v[11:12], v11, v[0:1]
	v_and_b32_e32 v11, 7, v11
; %bb.2078:                             ;   in Loop: Header=BB339_1059 Depth=1
	s_or_b32 exec_lo, exec_lo, s15
	v_lshlrev_b32_e32 v0, 8, v146
	v_lshl_add_u32 v12, v145, 10, 0x2000
	s_delay_alu instid0(VALU_DEP_1) | instskip(NEXT) | instid1(VALU_DEP_1)
	v_and_or_b32 v0, 0x8000, v0, v12
	v_lshl_or_b32 v0, v11, 7, v0
	s_delay_alu instid0(VALU_DEP_1)
	v_cvt_f32_f16_e64 v145, v0
.LBB339_2079:                           ;   in Loop: Header=BB339_1059 Depth=1
	s_or_b32 exec_lo, exec_lo, s13
.LBB339_2080:                           ;   in Loop: Header=BB339_1059 Depth=1
	s_delay_alu instid0(SALU_CYCLE_1)
	s_or_b32 exec_lo, exec_lo, s12
.LBB339_2081:                           ;   in Loop: Header=BB339_1059 Depth=1
	s_delay_alu instid0(SALU_CYCLE_1) | instskip(SKIP_3) | instid1(VALU_DEP_2)
	s_or_b32 exec_lo, exec_lo, s9
	v_dual_mov_b32 v0, v10 :: v_dual_and_b32 v11, 0xff, v10
	v_dual_mov_b32 v147, 0 :: v_dual_mov_b32 v146, 0
	s_mov_b32 s9, exec_lo
	v_cmpx_ne_u16_e32 0, v11
	s_cbranch_execz .LBB339_2089
; %bb.2082:                             ;   in Loop: Header=BB339_1059 Depth=1
	v_bfrev_b32_e32 v146, 1
	s_mov_b32 s12, exec_lo
	v_cmpx_ne_u16_e32 0x80, v11
	s_cbranch_execz .LBB339_2088
; %bb.2083:                             ;   in Loop: Header=BB339_1059 Depth=1
	v_and_b32_e32 v148, 0x7f, v10
	v_mov_b32_e32 v146, 0x7fc02000
	s_mov_b32 s13, exec_lo
	s_delay_alu instid0(VALU_DEP_2)
	v_cmpx_ne_u32_e32 0x7f, v148
	s_cbranch_execz .LBB339_2087
; %bb.2084:                             ;   in Loop: Header=BB339_1059 Depth=1
	v_dual_mov_b32 v12, v1 :: v_dual_mov_b32 v11, v0
	v_lshrrev_b32_e32 v12, 3, v148
	s_mov_b32 s15, exec_lo
	v_cmpx_gt_u32_e32 8, v148
; %bb.2085:                             ;   in Loop: Header=BB339_1059 Depth=1
	v_and_b32_e32 v11, 7, v10
	s_delay_alu instid0(VALU_DEP_1) | instskip(NEXT) | instid1(VALU_DEP_1)
	v_clz_i32_u32_e32 v11, v11
	v_min_u32_e32 v146, 32, v11
	s_delay_alu instid0(VALU_DEP_1) | instskip(NEXT) | instid1(VALU_DEP_1)
	v_subrev_nc_u32_e32 v11, 28, v146
	v_lshlrev_b64 v[11:12], v11, v[0:1]
	v_sub_nc_u32_e32 v12, 29, v146
; %bb.2086:                             ;   in Loop: Header=BB339_1059 Depth=1
	s_or_b32 exec_lo, exec_lo, s15
	v_lshlrev_b32_e32 v146, 8, v10
	s_delay_alu instid0(VALU_DEP_2) | instskip(NEXT) | instid1(VALU_DEP_4)
	v_lshl_add_u32 v12, v12, 10, 0x2000
	v_lshlrev_b32_e32 v11, 7, v11
	s_delay_alu instid0(VALU_DEP_2) | instskip(NEXT) | instid1(VALU_DEP_1)
	v_and_or_b32 v12, 0x8000, v146, v12
	v_and_or_b32 v11, 0x380, v11, v12
	s_delay_alu instid0(VALU_DEP_1)
	v_cvt_f32_f16_e64 v146, v11
.LBB339_2087:                           ;   in Loop: Header=BB339_1059 Depth=1
	s_or_b32 exec_lo, exec_lo, s13
.LBB339_2088:                           ;   in Loop: Header=BB339_1059 Depth=1
	s_delay_alu instid0(SALU_CYCLE_1)
	s_or_b32 exec_lo, exec_lo, s12
.LBB339_2089:                           ;   in Loop: Header=BB339_1059 Depth=1
	s_delay_alu instid0(SALU_CYCLE_1) | instskip(SKIP_2) | instid1(VALU_DEP_1)
	s_or_b32 exec_lo, exec_lo, s9
	v_lshrrev_b16 v0, 8, v0
	s_mov_b32 s9, exec_lo
	v_cmpx_ne_u16_e32 0, v0
	s_cbranch_execz .LBB339_2097
; %bb.2090:                             ;   in Loop: Header=BB339_1059 Depth=1
	v_bfrev_b32_e32 v147, 1
	s_mov_b32 s12, exec_lo
	v_cmpx_ne_u16_e32 0x80, v0
	s_cbranch_execz .LBB339_2096
; %bb.2091:                             ;   in Loop: Header=BB339_1059 Depth=1
	v_and_b32_e32 v148, 0xffff, v0
	v_mov_b32_e32 v147, 0x7fc02000
	s_mov_b32 s13, exec_lo
	s_delay_alu instid0(VALU_DEP_2) | instskip(NEXT) | instid1(VALU_DEP_1)
	v_and_b32_e32 v149, 0x7f, v148
	v_cmpx_ne_u32_e32 0x7f, v149
	s_cbranch_execz .LBB339_2095
; %bb.2092:                             ;   in Loop: Header=BB339_1059 Depth=1
	v_and_b32_e32 v0, 7, v148
	v_lshrrev_b32_e32 v147, 3, v149
	v_mov_b32_e32 v12, v1
	s_mov_b32 s15, exec_lo
	s_delay_alu instid0(VALU_DEP_3)
	v_mov_b32_e32 v11, v0
	v_cmpx_gt_u32_e32 8, v149
; %bb.2093:                             ;   in Loop: Header=BB339_1059 Depth=1
	v_clz_i32_u32_e32 v11, v0
	s_delay_alu instid0(VALU_DEP_1) | instskip(NEXT) | instid1(VALU_DEP_1)
	v_min_u32_e32 v147, 32, v11
	v_subrev_nc_u32_e32 v11, 28, v147
	v_sub_nc_u32_e32 v147, 29, v147
	s_delay_alu instid0(VALU_DEP_2) | instskip(NEXT) | instid1(VALU_DEP_1)
	v_lshlrev_b64 v[11:12], v11, v[0:1]
	v_and_b32_e32 v11, 7, v11
; %bb.2094:                             ;   in Loop: Header=BB339_1059 Depth=1
	s_or_b32 exec_lo, exec_lo, s15
	v_lshlrev_b32_e32 v0, 8, v148
	v_lshl_add_u32 v12, v147, 10, 0x2000
	s_delay_alu instid0(VALU_DEP_1) | instskip(NEXT) | instid1(VALU_DEP_1)
	v_and_or_b32 v0, 0x8000, v0, v12
	v_lshl_or_b32 v0, v11, 7, v0
	s_delay_alu instid0(VALU_DEP_1)
	v_cvt_f32_f16_e64 v147, v0
.LBB339_2095:                           ;   in Loop: Header=BB339_1059 Depth=1
	s_or_b32 exec_lo, exec_lo, s13
.LBB339_2096:                           ;   in Loop: Header=BB339_1059 Depth=1
	s_delay_alu instid0(SALU_CYCLE_1)
	s_or_b32 exec_lo, exec_lo, s12
.LBB339_2097:                           ;   in Loop: Header=BB339_1059 Depth=1
	s_delay_alu instid0(SALU_CYCLE_1) | instskip(SKIP_3) | instid1(VALU_DEP_2)
	s_or_b32 exec_lo, exec_lo, s9
	v_lshrrev_b32_e32 v149, 16, v10
	v_mov_b32_e32 v148, 0
	s_mov_b32 s9, exec_lo
	v_dual_mov_b32 v11, 0 :: v_dual_and_b32 v0, 0xff, v149
	s_delay_alu instid0(VALU_DEP_1)
	v_cmpx_ne_u16_e32 0, v0
	s_cbranch_execz .LBB339_2105
; %bb.2098:                             ;   in Loop: Header=BB339_1059 Depth=1
	v_bfrev_b32_e32 v11, 1
	s_mov_b32 s12, exec_lo
	v_cmpx_ne_u16_e32 0x80, v0
	s_cbranch_execz .LBB339_2104
; %bb.2099:                             ;   in Loop: Header=BB339_1059 Depth=1
	v_bfe_u32 v151, v10, 16, 7
	v_mov_b32_e32 v11, 0x7fc02000
	s_mov_b32 s13, exec_lo
	s_delay_alu instid0(VALU_DEP_2)
	v_cmpx_ne_u32_e32 0x7f, v151
	s_cbranch_execz .LBB339_2103
; %bb.2100:                             ;   in Loop: Header=BB339_1059 Depth=1
	v_and_b32_e32 v0, 7, v149
	v_lshrrev_b32_e32 v150, 3, v151
	v_mov_b32_e32 v12, v1
	s_mov_b32 s15, exec_lo
	s_delay_alu instid0(VALU_DEP_3)
	v_mov_b32_e32 v11, v0
	v_cmpx_gt_u32_e32 8, v151
; %bb.2101:                             ;   in Loop: Header=BB339_1059 Depth=1
	v_clz_i32_u32_e32 v11, v0
	s_delay_alu instid0(VALU_DEP_1) | instskip(NEXT) | instid1(VALU_DEP_1)
	v_min_u32_e32 v150, 32, v11
	v_subrev_nc_u32_e32 v11, 28, v150
	v_sub_nc_u32_e32 v150, 29, v150
	s_delay_alu instid0(VALU_DEP_2) | instskip(NEXT) | instid1(VALU_DEP_1)
	v_lshlrev_b64 v[11:12], v11, v[0:1]
	v_and_b32_e32 v11, 7, v11
; %bb.2102:                             ;   in Loop: Header=BB339_1059 Depth=1
	s_or_b32 exec_lo, exec_lo, s15
	v_lshlrev_b32_e32 v0, 8, v149
	v_lshl_add_u32 v12, v150, 10, 0x2000
	s_delay_alu instid0(VALU_DEP_1) | instskip(NEXT) | instid1(VALU_DEP_1)
	v_and_or_b32 v0, 0x8000, v0, v12
	v_lshl_or_b32 v0, v11, 7, v0
	s_delay_alu instid0(VALU_DEP_1)
	v_cvt_f32_f16_e32 v11, v0
.LBB339_2103:                           ;   in Loop: Header=BB339_1059 Depth=1
	s_or_b32 exec_lo, exec_lo, s13
.LBB339_2104:                           ;   in Loop: Header=BB339_1059 Depth=1
	s_delay_alu instid0(SALU_CYCLE_1)
	s_or_b32 exec_lo, exec_lo, s12
.LBB339_2105:                           ;   in Loop: Header=BB339_1059 Depth=1
	s_delay_alu instid0(SALU_CYCLE_1) | instskip(NEXT) | instid1(SALU_CYCLE_1)
	s_or_b32 exec_lo, exec_lo, s9
	s_mov_b32 s9, exec_lo
	v_cmpx_lt_u64_e64 s[4:5], v[9:10]
	s_cbranch_execz .LBB339_2113
; %bb.2106:                             ;   in Loop: Header=BB339_1059 Depth=1
	v_lshrrev_b32_e32 v12, 24, v10
	v_bfrev_b32_e32 v148, 1
	s_mov_b32 s12, exec_lo
	s_delay_alu instid0(VALU_DEP_2)
	v_cmpx_ne_u32_e32 0x80, v12
	s_cbranch_execz .LBB339_2112
; %bb.2107:                             ;   in Loop: Header=BB339_1059 Depth=1
	v_and_b32_e32 v149, 0x7f, v12
	v_mov_b32_e32 v148, 0x7fc02000
	s_mov_b32 s13, exec_lo
	s_delay_alu instid0(VALU_DEP_2)
	v_cmpx_ne_u32_e32 0x7f, v149
	s_cbranch_execz .LBB339_2111
; %bb.2108:                             ;   in Loop: Header=BB339_1059 Depth=1
	v_and_b32_e32 v0, 7, v12
	v_lshrrev_b32_e32 v148, 3, v149
	v_mov_b32_e32 v10, v1
	s_mov_b32 s15, exec_lo
	s_delay_alu instid0(VALU_DEP_3)
	v_mov_b32_e32 v9, v0
	v_cmpx_gt_u32_e32 8, v149
; %bb.2109:                             ;   in Loop: Header=BB339_1059 Depth=1
	v_clz_i32_u32_e32 v9, v0
	s_delay_alu instid0(VALU_DEP_1) | instskip(NEXT) | instid1(VALU_DEP_1)
	v_min_u32_e32 v148, 32, v9
	v_subrev_nc_u32_e32 v9, 28, v148
	v_sub_nc_u32_e32 v148, 29, v148
	s_delay_alu instid0(VALU_DEP_2) | instskip(NEXT) | instid1(VALU_DEP_1)
	v_lshlrev_b64 v[9:10], v9, v[0:1]
	v_and_b32_e32 v9, 7, v9
; %bb.2110:                             ;   in Loop: Header=BB339_1059 Depth=1
	s_or_b32 exec_lo, exec_lo, s15
	v_lshlrev_b32_e32 v0, 8, v12
	v_lshl_add_u32 v10, v148, 10, 0x2000
	s_delay_alu instid0(VALU_DEP_1) | instskip(NEXT) | instid1(VALU_DEP_1)
	v_and_or_b32 v0, 0x8000, v0, v10
	v_lshl_or_b32 v0, v9, 7, v0
	s_delay_alu instid0(VALU_DEP_1)
	v_cvt_f32_f16_e64 v148, v0
.LBB339_2111:                           ;   in Loop: Header=BB339_1059 Depth=1
	s_or_b32 exec_lo, exec_lo, s13
.LBB339_2112:                           ;   in Loop: Header=BB339_1059 Depth=1
	s_delay_alu instid0(SALU_CYCLE_1)
	s_or_b32 exec_lo, exec_lo, s12
.LBB339_2113:                           ;   in Loop: Header=BB339_1059 Depth=1
	s_delay_alu instid0(SALU_CYCLE_1)
	s_or_b32 exec_lo, exec_lo, s9
	s_waitcnt vmcnt(0) lgkmcnt(0)
	v_fma_mixlo_f16 v10, v133, v135, 0
	v_fma_mixlo_f16 v0, v133, v145, 0
	v_fma_mixlo_f16 v9, v133, v144, 0
	v_fma_mixlo_f16 v144, v133, v146, 0
	v_fma_mixlo_f16 v145, v133, v148, 0
	v_lshlrev_b32_e32 v135, 16, v10
	v_fma_mixlo_f16 v10, v133, v134, 0
	v_fma_mixlo_f16 v134, v133, v147, 0
	;; [unrolled: 1-line block ×3, first 2 shown]
	v_lshlrev_b32_e32 v0, 16, v0
	v_and_b32_e32 v9, 0xffff, v9
	v_and_b32_e32 v11, 0xffff, v10
	v_lshlrev_b32_e32 v133, 16, v134
	v_and_b32_e32 v134, 0xffff, v144
	v_lshlrev_b32_e32 v144, 16, v145
	v_and_b32_e32 v145, 0xffff, v12
	v_or_b32_e32 v10, v0, v9
	v_or_b32_e32 v11, v135, v11
	;; [unrolled: 1-line block ×3, first 2 shown]
	s_delay_alu instid0(VALU_DEP_4)
	v_or_b32_e32 v9, v144, v145
	s_and_saveexec_b32 s1, vcc_lo
	s_cbranch_execz .LBB339_1058
; %bb.2114:                             ;   in Loop: Header=BB339_1059 Depth=1
	v_cmp_lt_i32_e32 vcc_lo, v15, v35
	v_lshrrev_b32_e32 v133, 16, v11
	v_lshrrev_b32_e32 v134, 16, v10
	;; [unrolled: 1-line block ×3, first 2 shown]
	v_cndmask_b32_e32 v11, 0, v11, vcc_lo
	v_cmp_lt_i32_e32 vcc_lo, v82, v39
	v_cndmask_b32_e32 v82, 0, v133, vcc_lo
	v_cmp_lt_i32_e32 vcc_lo, v81, v39
	v_lshrrev_b32_e32 v133, 16, v0
	s_delay_alu instid0(VALU_DEP_3)
	v_perm_b32 v11, v82, v11, 0x5040100
	v_cndmask_b32_e32 v81, 0, v134, vcc_lo
	v_cmp_lt_i32_e32 vcc_lo, v70, v35
	v_cndmask_b32_e32 v10, 0, v10, vcc_lo
	v_cmp_lt_i32_e32 vcc_lo, v65, v39
	;; [unrolled: 2-line block ×4, first 2 shown]
	v_perm_b32 v10, v81, v10, 0x5040100
	s_delay_alu instid0(VALU_DEP_3) | instskip(SKIP_3) | instid1(VALU_DEP_1)
	v_perm_b32 v0, v65, v0, 0x5040100
	v_cndmask_b32_e32 v9, 0, v9, vcc_lo
	v_cmp_lt_i32_e32 vcc_lo, v17, v35
	v_cndmask_b32_e32 v12, 0, v12, vcc_lo
	v_perm_b32 v9, v9, v12, 0x5040100
	s_branch .LBB339_1058
.LBB339_2115:
	s_or_b32 exec_lo, exec_lo, s8
	v_dual_mov_b32 v0, s10 :: v_dual_mov_b32 v1, s11
.LBB339_2116:
	s_or_b32 exec_lo, exec_lo, s3
	s_delay_alu instid0(VALU_DEP_1)
	v_lshlrev_b64 v[0:1], 2, v[0:1]
	s_getpc_b64 s[4:5]
	s_add_u32 s4, s4, llvm.amdgcn.dynlds.offset.table@rel32@lo+4
	s_addc_u32 s5, s5, llvm.amdgcn.dynlds.offset.table@rel32@hi+12
	s_waitcnt lgkmcnt(0)
	s_waitcnt_vscnt null, 0x0
	s_barrier
	buffer_gl0_inv
	ds_bpermute_b32 v2, v19, v55
	v_add_co_u32 v0, vcc_lo, v0, s4
	v_add_co_ci_u32_e32 v1, vcc_lo, s5, v1, vcc_lo
	ds_bpermute_b32 v3, v19, v53
	ds_bpermute_b32 v6, v19, v52
	;; [unrolled: 1-line block ×3, first 2 shown]
	global_load_b32 v22, v[0:1], off
	ds_bpermute_b32 v0, v19, v54
	ds_bpermute_b32 v1, v19, v64
	;; [unrolled: 1-line block ×12, first 2 shown]
	v_lshrrev_b32_e32 v18, 1, v18
	v_and_b32_e32 v48, 0x3c1, v33
	s_mov_b32 s1, exec_lo
	s_waitcnt lgkmcnt(14)
	v_dual_add_f32 v15, v55, v2 :: v_dual_add_f32 v14, v53, v3
	s_waitcnt lgkmcnt(12)
	v_dual_add_f32 v13, v52, v6 :: v_dual_add_f32 v12, v51, v7
	;; [unrolled: 2-line block ×5, first 2 shown]
	s_waitcnt lgkmcnt(5)
	v_add_f32_e32 v7, v29, v27
	s_waitcnt lgkmcnt(3)
	v_dual_add_f32 v6, v28, v35 :: v_dual_add_f32 v3, v25, v37
	s_waitcnt lgkmcnt(1)
	v_dual_add_f32 v2, v24, v38 :: v_dual_add_f32 v1, v21, v39
	s_waitcnt lgkmcnt(0)
	v_add_f32_e32 v0, v20, v19
	s_waitcnt vmcnt(0)
	v_lshl_add_u32 v19, v36, 10, v22
	v_cmpx_eq_u32_e32 64, v48
	s_cbranch_execz .LBB339_2118
; %bb.2117:
	v_lshlrev_b32_e32 v20, 2, v18
	s_delay_alu instid0(VALU_DEP_1)
	v_add3_u32 v20, v19, v20, 0xfffff800
	ds_store_2addr_b32 v20, v17, v16 offset1:16
	ds_store_2addr_b32 v20, v15, v14 offset0:32 offset1:48
	ds_store_2addr_b32 v20, v13, v12 offset0:64 offset1:80
	;; [unrolled: 1-line block ×7, first 2 shown]
.LBB339_2118:
	s_or_b32 exec_lo, exec_lo, s1
	v_cmp_eq_u32_e32 vcc_lo, 0, v34
	s_waitcnt lgkmcnt(0)
	s_barrier
	buffer_gl0_inv
	s_and_saveexec_b32 s1, s0
	s_cbranch_execz .LBB339_2137
; %bb.2119:
	s_and_saveexec_b32 s0, vcc_lo
	s_cbranch_execnz .LBB339_2161
; %bb.2120:
	s_or_b32 exec_lo, exec_lo, s0
	s_and_saveexec_b32 s0, vcc_lo
	s_cbranch_execnz .LBB339_2162
.LBB339_2121:
	s_or_b32 exec_lo, exec_lo, s0
	s_and_saveexec_b32 s0, vcc_lo
	s_cbranch_execnz .LBB339_2163
.LBB339_2122:
	s_or_b32 exec_lo, exec_lo, s0
	s_and_saveexec_b32 s0, vcc_lo
	s_cbranch_execnz .LBB339_2164
.LBB339_2123:
	s_or_b32 exec_lo, exec_lo, s0
	s_and_saveexec_b32 s0, vcc_lo
	s_cbranch_execnz .LBB339_2165
.LBB339_2124:
	s_or_b32 exec_lo, exec_lo, s0
	s_and_saveexec_b32 s0, vcc_lo
	s_cbranch_execnz .LBB339_2166
.LBB339_2125:
	s_or_b32 exec_lo, exec_lo, s0
	s_and_saveexec_b32 s0, vcc_lo
	s_cbranch_execnz .LBB339_2167
.LBB339_2126:
	s_or_b32 exec_lo, exec_lo, s0
	s_and_saveexec_b32 s0, vcc_lo
	s_cbranch_execnz .LBB339_2168
.LBB339_2127:
	s_or_b32 exec_lo, exec_lo, s0
	s_and_saveexec_b32 s0, vcc_lo
	s_cbranch_execnz .LBB339_2169
.LBB339_2128:
	s_or_b32 exec_lo, exec_lo, s0
	s_and_saveexec_b32 s0, vcc_lo
	s_cbranch_execnz .LBB339_2170
.LBB339_2129:
	s_or_b32 exec_lo, exec_lo, s0
	s_and_saveexec_b32 s0, vcc_lo
	s_cbranch_execnz .LBB339_2171
.LBB339_2130:
	s_or_b32 exec_lo, exec_lo, s0
	s_and_saveexec_b32 s0, vcc_lo
	s_cbranch_execnz .LBB339_2172
.LBB339_2131:
	s_or_b32 exec_lo, exec_lo, s0
	s_and_saveexec_b32 s0, vcc_lo
	s_cbranch_execnz .LBB339_2173
.LBB339_2132:
	s_or_b32 exec_lo, exec_lo, s0
	s_and_saveexec_b32 s0, vcc_lo
	s_cbranch_execnz .LBB339_2174
.LBB339_2133:
	s_or_b32 exec_lo, exec_lo, s0
	s_and_saveexec_b32 s0, vcc_lo
	s_cbranch_execnz .LBB339_2175
.LBB339_2134:
	s_or_b32 exec_lo, exec_lo, s0
	s_and_saveexec_b32 s0, vcc_lo
	s_cbranch_execz .LBB339_2136
.LBB339_2135:
	v_lshl_add_u32 v20, v18, 2, v19
	ds_load_b32 v20, v20 offset:960
	s_waitcnt lgkmcnt(0)
	v_add_f32_e32 v0, v20, v0
.LBB339_2136:
	s_or_b32 exec_lo, exec_lo, s0
.LBB339_2137:
	s_delay_alu instid0(SALU_CYCLE_1)
	s_or_b32 exec_lo, exec_lo, s1
	v_and_b32_e32 v20, 0x3e1, v33
	s_mov_b32 s1, exec_lo
	s_barrier
	buffer_gl0_inv
	v_cmpx_eq_u32_e32 32, v20
	s_cbranch_execz .LBB339_2139
; %bb.2138:
	v_lshl_add_u32 v21, v18, 2, v22
	ds_store_2addr_b32 v21, v17, v16 offset1:16
	ds_store_2addr_b32 v21, v15, v14 offset0:32 offset1:48
	ds_store_2addr_b32 v21, v13, v12 offset0:64 offset1:80
	;; [unrolled: 1-line block ×7, first 2 shown]
.LBB339_2139:
	s_or_b32 exec_lo, exec_lo, s1
	s_delay_alu instid0(SALU_CYCLE_1)
	s_mov_b32 s1, exec_lo
	s_waitcnt lgkmcnt(0)
	s_barrier
	buffer_gl0_inv
	v_cmpx_gt_u32_e32 32, v33
	s_cbranch_execz .LBB339_2158
; %bb.2140:
	v_lshl_add_u32 v18, v18, 2, v19
	s_and_saveexec_b32 s0, vcc_lo
	s_cbranch_execnz .LBB339_2176
; %bb.2141:
	s_or_b32 exec_lo, exec_lo, s0
	s_and_saveexec_b32 s0, vcc_lo
	s_cbranch_execnz .LBB339_2177
.LBB339_2142:
	s_or_b32 exec_lo, exec_lo, s0
	s_and_saveexec_b32 s0, vcc_lo
	s_cbranch_execnz .LBB339_2178
.LBB339_2143:
	s_or_b32 exec_lo, exec_lo, s0
	s_and_saveexec_b32 s0, vcc_lo
	s_cbranch_execnz .LBB339_2179
.LBB339_2144:
	s_or_b32 exec_lo, exec_lo, s0
	s_and_saveexec_b32 s0, vcc_lo
	s_cbranch_execnz .LBB339_2180
.LBB339_2145:
	s_or_b32 exec_lo, exec_lo, s0
	s_and_saveexec_b32 s0, vcc_lo
	s_cbranch_execnz .LBB339_2181
.LBB339_2146:
	s_or_b32 exec_lo, exec_lo, s0
	s_and_saveexec_b32 s0, vcc_lo
	s_cbranch_execnz .LBB339_2182
.LBB339_2147:
	s_or_b32 exec_lo, exec_lo, s0
	s_and_saveexec_b32 s0, vcc_lo
	s_cbranch_execnz .LBB339_2183
.LBB339_2148:
	s_or_b32 exec_lo, exec_lo, s0
	s_and_saveexec_b32 s0, vcc_lo
	s_cbranch_execnz .LBB339_2184
.LBB339_2149:
	s_or_b32 exec_lo, exec_lo, s0
	s_and_saveexec_b32 s0, vcc_lo
	s_cbranch_execnz .LBB339_2185
.LBB339_2150:
	s_or_b32 exec_lo, exec_lo, s0
	s_and_saveexec_b32 s0, vcc_lo
	s_cbranch_execnz .LBB339_2186
.LBB339_2151:
	s_or_b32 exec_lo, exec_lo, s0
	s_and_saveexec_b32 s0, vcc_lo
	s_cbranch_execnz .LBB339_2187
.LBB339_2152:
	s_or_b32 exec_lo, exec_lo, s0
	s_and_saveexec_b32 s0, vcc_lo
	s_cbranch_execnz .LBB339_2188
.LBB339_2153:
	s_or_b32 exec_lo, exec_lo, s0
	s_and_saveexec_b32 s0, vcc_lo
	s_cbranch_execnz .LBB339_2189
.LBB339_2154:
	s_or_b32 exec_lo, exec_lo, s0
	s_and_saveexec_b32 s0, vcc_lo
	s_cbranch_execnz .LBB339_2190
.LBB339_2155:
	s_or_b32 exec_lo, exec_lo, s0
	s_and_saveexec_b32 s0, vcc_lo
	s_cbranch_execz .LBB339_2157
.LBB339_2156:
	ds_load_b32 v18, v18 offset:960
	s_waitcnt lgkmcnt(0)
	v_add_f32_e32 v0, v18, v0
.LBB339_2157:
	s_or_b32 exec_lo, exec_lo, s0
.LBB339_2158:
	s_delay_alu instid0(SALU_CYCLE_1)
	s_or_b32 exec_lo, exec_lo, s1
	v_cmp_eq_u32_e32 vcc_lo, 0, v20
	s_barrier
	buffer_gl0_inv
	s_and_b32 exec_lo, exec_lo, vcc_lo
	s_cbranch_execz .LBB339_2160
; %bb.2159:
	s_lshl_b32 s0, s2, 8
	s_mul_i32 s2, s6, s7
	s_lshl_b32 s4, s14, 8
	s_ashr_i32 s3, s2, 31
	s_ashr_i32 s5, s4, 31
	;; [unrolled: 1-line block ×3, first 2 shown]
	s_lshl_b64 s[2:3], s[2:3], 1
	s_lshl_b64 s[4:5], s[4:5], 1
	;; [unrolled: 1-line block ×3, first 2 shown]
	s_add_u32 s2, s4, s2
	s_addc_u32 s3, s5, s3
	s_add_u32 s0, s2, s0
	s_addc_u32 s1, s3, s1
	v_lshlrev_b32_e32 v18, 1, v32
	v_add_co_u32 v4, vcc_lo, s0, v4
	v_add_co_ci_u32_e32 v5, vcc_lo, s1, v5, vcc_lo
	;;#ASMSTART
	v_cvt_f16_f32 v17, v17;

	;;#ASMEND
	s_delay_alu instid0(VALU_DEP_2) | instskip(NEXT) | instid1(VALU_DEP_2)
	v_add_co_u32 v4, vcc_lo, v4, v18
	v_add_co_ci_u32_e32 v5, vcc_lo, 0, v5, vcc_lo
	flat_store_b16 v[4:5], v17
	;;#ASMSTART
	v_cvt_f16_f32 v16, v16;

	;;#ASMEND
	flat_store_b16 v[4:5], v16 offset:32
	;;#ASMSTART
	v_cvt_f16_f32 v15, v15;

	;;#ASMEND
	flat_store_b16 v[4:5], v15 offset:64
	;;#ASMSTART
	v_cvt_f16_f32 v14, v14;

	;;#ASMEND
	flat_store_b16 v[4:5], v14 offset:96
	;;#ASMSTART
	v_cvt_f16_f32 v13, v13;

	;;#ASMEND
	flat_store_b16 v[4:5], v13 offset:128
	;;#ASMSTART
	v_cvt_f16_f32 v12, v12;

	;;#ASMEND
	flat_store_b16 v[4:5], v12 offset:160
	;;#ASMSTART
	v_cvt_f16_f32 v11, v11;

	;;#ASMEND
	flat_store_b16 v[4:5], v11 offset:192
	;;#ASMSTART
	v_cvt_f16_f32 v10, v10;

	;;#ASMEND
	flat_store_b16 v[4:5], v10 offset:224
	;;#ASMSTART
	v_cvt_f16_f32 v9, v9;

	;;#ASMEND
	flat_store_b16 v[4:5], v9 offset:256
	;;#ASMSTART
	v_cvt_f16_f32 v8, v8;

	;;#ASMEND
	flat_store_b16 v[4:5], v8 offset:288
	;;#ASMSTART
	v_cvt_f16_f32 v7, v7;

	;;#ASMEND
	flat_store_b16 v[4:5], v7 offset:320
	;;#ASMSTART
	v_cvt_f16_f32 v6, v6;

	;;#ASMEND
	flat_store_b16 v[4:5], v6 offset:352
	;;#ASMSTART
	v_cvt_f16_f32 v3, v3;

	;;#ASMEND
	flat_store_b16 v[4:5], v3 offset:384
	;;#ASMSTART
	v_cvt_f16_f32 v2, v2;

	;;#ASMEND
	flat_store_b16 v[4:5], v2 offset:416
	;;#ASMSTART
	v_cvt_f16_f32 v1, v1;

	;;#ASMEND
	flat_store_b16 v[4:5], v1 offset:448
	;;#ASMSTART
	v_cvt_f16_f32 v0, v0;

	;;#ASMEND
	flat_store_b16 v[4:5], v0 offset:480
.LBB339_2160:
	s_or_b32 exec_lo, exec_lo, s17
	s_clause 0x1f
	scratch_load_b32 v173, off, s32
	scratch_load_b32 v172, off, s32 offset:4
	scratch_load_b32 v171, off, s32 offset:8
	;; [unrolled: 1-line block ×31, first 2 shown]
	s_clause 0x1f
	scratch_load_b32 v109, off, s32 offset:128
	scratch_load_b32 v108, off, s32 offset:132
	scratch_load_b32 v107, off, s32 offset:136
	scratch_load_b32 v106, off, s32 offset:140
	scratch_load_b32 v105, off, s32 offset:144
	scratch_load_b32 v104, off, s32 offset:148
	scratch_load_b32 v95, off, s32 offset:152
	scratch_load_b32 v94, off, s32 offset:156
	scratch_load_b32 v93, off, s32 offset:160
	scratch_load_b32 v92, off, s32 offset:164
	scratch_load_b32 v91, off, s32 offset:168
	scratch_load_b32 v90, off, s32 offset:172
	scratch_load_b32 v89, off, s32 offset:176
	scratch_load_b32 v88, off, s32 offset:180
	scratch_load_b32 v79, off, s32 offset:184
	scratch_load_b32 v78, off, s32 offset:188
	scratch_load_b32 v77, off, s32 offset:192
	scratch_load_b32 v76, off, s32 offset:196
	scratch_load_b32 v75, off, s32 offset:200
	scratch_load_b32 v74, off, s32 offset:204
	scratch_load_b32 v73, off, s32 offset:208
	scratch_load_b32 v72, off, s32 offset:212
	scratch_load_b32 v63, off, s32 offset:216
	scratch_load_b32 v62, off, s32 offset:220
	scratch_load_b32 v61, off, s32 offset:224
	scratch_load_b32 v60, off, s32 offset:228
	scratch_load_b32 v59, off, s32 offset:232
	scratch_load_b32 v58, off, s32 offset:236
	scratch_load_b32 v57, off, s32 offset:240
	scratch_load_b32 v56, off, s32 offset:244
	scratch_load_b32 v47, off, s32 offset:248
	scratch_load_b32 v46, off, s32 offset:252
	s_clause 0x5
	scratch_load_b32 v45, off, s32 offset:256
	scratch_load_b32 v44, off, s32 offset:260
	;; [unrolled: 1-line block ×6, first 2 shown]
	s_waitcnt vmcnt(0) lgkmcnt(0)
	s_setpc_b64 s[30:31]
.LBB339_2161:
	v_lshl_add_u32 v20, v18, 2, v19
	ds_load_b32 v20, v20
	s_waitcnt lgkmcnt(0)
	v_add_f32_e32 v17, v20, v17
	s_or_b32 exec_lo, exec_lo, s0
	s_and_saveexec_b32 s0, vcc_lo
	s_cbranch_execz .LBB339_2121
.LBB339_2162:
	v_lshl_add_u32 v20, v18, 2, v19
	ds_load_b32 v20, v20 offset:64
	s_waitcnt lgkmcnt(0)
	v_add_f32_e32 v16, v20, v16
	s_or_b32 exec_lo, exec_lo, s0
	s_and_saveexec_b32 s0, vcc_lo
	s_cbranch_execz .LBB339_2122
.LBB339_2163:
	v_lshl_add_u32 v20, v18, 2, v19
	ds_load_b32 v20, v20 offset:128
	s_waitcnt lgkmcnt(0)
	v_add_f32_e32 v15, v20, v15
	s_or_b32 exec_lo, exec_lo, s0
	s_and_saveexec_b32 s0, vcc_lo
	s_cbranch_execz .LBB339_2123
.LBB339_2164:
	v_lshl_add_u32 v20, v18, 2, v19
	ds_load_b32 v20, v20 offset:192
	s_waitcnt lgkmcnt(0)
	v_add_f32_e32 v14, v20, v14
	s_or_b32 exec_lo, exec_lo, s0
	s_and_saveexec_b32 s0, vcc_lo
	s_cbranch_execz .LBB339_2124
.LBB339_2165:
	v_lshl_add_u32 v20, v18, 2, v19
	ds_load_b32 v20, v20 offset:256
	s_waitcnt lgkmcnt(0)
	v_add_f32_e32 v13, v20, v13
	s_or_b32 exec_lo, exec_lo, s0
	s_and_saveexec_b32 s0, vcc_lo
	s_cbranch_execz .LBB339_2125
.LBB339_2166:
	v_lshl_add_u32 v20, v18, 2, v19
	ds_load_b32 v20, v20 offset:320
	s_waitcnt lgkmcnt(0)
	v_add_f32_e32 v12, v20, v12
	s_or_b32 exec_lo, exec_lo, s0
	s_and_saveexec_b32 s0, vcc_lo
	s_cbranch_execz .LBB339_2126
.LBB339_2167:
	v_lshl_add_u32 v20, v18, 2, v19
	ds_load_b32 v20, v20 offset:384
	s_waitcnt lgkmcnt(0)
	v_add_f32_e32 v11, v20, v11
	s_or_b32 exec_lo, exec_lo, s0
	s_and_saveexec_b32 s0, vcc_lo
	s_cbranch_execz .LBB339_2127
.LBB339_2168:
	v_lshl_add_u32 v20, v18, 2, v19
	ds_load_b32 v20, v20 offset:448
	s_waitcnt lgkmcnt(0)
	v_add_f32_e32 v10, v20, v10
	s_or_b32 exec_lo, exec_lo, s0
	s_and_saveexec_b32 s0, vcc_lo
	s_cbranch_execz .LBB339_2128
.LBB339_2169:
	v_lshl_add_u32 v20, v18, 2, v19
	ds_load_b32 v20, v20 offset:512
	s_waitcnt lgkmcnt(0)
	v_add_f32_e32 v9, v20, v9
	s_or_b32 exec_lo, exec_lo, s0
	s_and_saveexec_b32 s0, vcc_lo
	s_cbranch_execz .LBB339_2129
.LBB339_2170:
	v_lshl_add_u32 v20, v18, 2, v19
	ds_load_b32 v20, v20 offset:576
	s_waitcnt lgkmcnt(0)
	v_add_f32_e32 v8, v20, v8
	s_or_b32 exec_lo, exec_lo, s0
	s_and_saveexec_b32 s0, vcc_lo
	s_cbranch_execz .LBB339_2130
.LBB339_2171:
	v_lshl_add_u32 v20, v18, 2, v19
	ds_load_b32 v20, v20 offset:640
	s_waitcnt lgkmcnt(0)
	v_add_f32_e32 v7, v20, v7
	s_or_b32 exec_lo, exec_lo, s0
	s_and_saveexec_b32 s0, vcc_lo
	s_cbranch_execz .LBB339_2131
.LBB339_2172:
	v_lshl_add_u32 v20, v18, 2, v19
	ds_load_b32 v20, v20 offset:704
	s_waitcnt lgkmcnt(0)
	v_add_f32_e32 v6, v20, v6
	s_or_b32 exec_lo, exec_lo, s0
	s_and_saveexec_b32 s0, vcc_lo
	s_cbranch_execz .LBB339_2132
.LBB339_2173:
	v_lshl_add_u32 v20, v18, 2, v19
	ds_load_b32 v20, v20 offset:768
	s_waitcnt lgkmcnt(0)
	v_add_f32_e32 v3, v20, v3
	s_or_b32 exec_lo, exec_lo, s0
	s_and_saveexec_b32 s0, vcc_lo
	s_cbranch_execz .LBB339_2133
.LBB339_2174:
	v_lshl_add_u32 v20, v18, 2, v19
	ds_load_b32 v20, v20 offset:832
	s_waitcnt lgkmcnt(0)
	v_add_f32_e32 v2, v20, v2
	s_or_b32 exec_lo, exec_lo, s0
	s_and_saveexec_b32 s0, vcc_lo
	s_cbranch_execz .LBB339_2134
.LBB339_2175:
	v_lshl_add_u32 v20, v18, 2, v19
	ds_load_b32 v20, v20 offset:896
	s_waitcnt lgkmcnt(0)
	v_add_f32_e32 v1, v20, v1
	s_or_b32 exec_lo, exec_lo, s0
	s_and_saveexec_b32 s0, vcc_lo
	s_cbranch_execnz .LBB339_2135
	s_branch .LBB339_2136
.LBB339_2176:
	ds_load_b32 v19, v18
	s_waitcnt lgkmcnt(0)
	v_add_f32_e32 v17, v19, v17
	s_or_b32 exec_lo, exec_lo, s0
	s_and_saveexec_b32 s0, vcc_lo
	s_cbranch_execz .LBB339_2142
.LBB339_2177:
	ds_load_b32 v19, v18 offset:64
	s_waitcnt lgkmcnt(0)
	v_add_f32_e32 v16, v19, v16
	s_or_b32 exec_lo, exec_lo, s0
	s_and_saveexec_b32 s0, vcc_lo
	s_cbranch_execz .LBB339_2143
.LBB339_2178:
	ds_load_b32 v19, v18 offset:128
	s_waitcnt lgkmcnt(0)
	v_add_f32_e32 v15, v19, v15
	s_or_b32 exec_lo, exec_lo, s0
	s_and_saveexec_b32 s0, vcc_lo
	s_cbranch_execz .LBB339_2144
.LBB339_2179:
	ds_load_b32 v19, v18 offset:192
	s_waitcnt lgkmcnt(0)
	v_add_f32_e32 v14, v19, v14
	s_or_b32 exec_lo, exec_lo, s0
	s_and_saveexec_b32 s0, vcc_lo
	s_cbranch_execz .LBB339_2145
.LBB339_2180:
	ds_load_b32 v19, v18 offset:256
	s_waitcnt lgkmcnt(0)
	v_add_f32_e32 v13, v19, v13
	s_or_b32 exec_lo, exec_lo, s0
	s_and_saveexec_b32 s0, vcc_lo
	s_cbranch_execz .LBB339_2146
.LBB339_2181:
	ds_load_b32 v19, v18 offset:320
	s_waitcnt lgkmcnt(0)
	v_add_f32_e32 v12, v19, v12
	s_or_b32 exec_lo, exec_lo, s0
	s_and_saveexec_b32 s0, vcc_lo
	s_cbranch_execz .LBB339_2147
.LBB339_2182:
	ds_load_b32 v19, v18 offset:384
	s_waitcnt lgkmcnt(0)
	v_add_f32_e32 v11, v19, v11
	s_or_b32 exec_lo, exec_lo, s0
	s_and_saveexec_b32 s0, vcc_lo
	s_cbranch_execz .LBB339_2148
.LBB339_2183:
	ds_load_b32 v19, v18 offset:448
	s_waitcnt lgkmcnt(0)
	v_add_f32_e32 v10, v19, v10
	s_or_b32 exec_lo, exec_lo, s0
	s_and_saveexec_b32 s0, vcc_lo
	s_cbranch_execz .LBB339_2149
.LBB339_2184:
	ds_load_b32 v19, v18 offset:512
	s_waitcnt lgkmcnt(0)
	v_add_f32_e32 v9, v19, v9
	s_or_b32 exec_lo, exec_lo, s0
	s_and_saveexec_b32 s0, vcc_lo
	s_cbranch_execz .LBB339_2150
.LBB339_2185:
	ds_load_b32 v19, v18 offset:576
	s_waitcnt lgkmcnt(0)
	v_add_f32_e32 v8, v19, v8
	s_or_b32 exec_lo, exec_lo, s0
	s_and_saveexec_b32 s0, vcc_lo
	s_cbranch_execz .LBB339_2151
.LBB339_2186:
	ds_load_b32 v19, v18 offset:640
	s_waitcnt lgkmcnt(0)
	v_add_f32_e32 v7, v19, v7
	s_or_b32 exec_lo, exec_lo, s0
	s_and_saveexec_b32 s0, vcc_lo
	s_cbranch_execz .LBB339_2152
.LBB339_2187:
	ds_load_b32 v19, v18 offset:704
	s_waitcnt lgkmcnt(0)
	v_add_f32_e32 v6, v19, v6
	s_or_b32 exec_lo, exec_lo, s0
	s_and_saveexec_b32 s0, vcc_lo
	s_cbranch_execz .LBB339_2153
.LBB339_2188:
	ds_load_b32 v19, v18 offset:768
	s_waitcnt lgkmcnt(0)
	v_add_f32_e32 v3, v19, v3
	s_or_b32 exec_lo, exec_lo, s0
	s_and_saveexec_b32 s0, vcc_lo
	s_cbranch_execz .LBB339_2154
.LBB339_2189:
	ds_load_b32 v19, v18 offset:832
	s_waitcnt lgkmcnt(0)
	v_add_f32_e32 v2, v19, v2
	s_or_b32 exec_lo, exec_lo, s0
	s_and_saveexec_b32 s0, vcc_lo
	s_cbranch_execz .LBB339_2155
.LBB339_2190:
	ds_load_b32 v19, v18 offset:896
	s_waitcnt lgkmcnt(0)
	v_add_f32_e32 v1, v19, v1
	s_or_b32 exec_lo, exec_lo, s0
	s_and_saveexec_b32 s0, vcc_lo
	s_cbranch_execnz .LBB339_2156
	s_branch .LBB339_2157
.Lfunc_end339:
	.size	_ZN4vllm22paged_attention_kernelIthLi256ELi16ELi128ELNS_18Fp8KVCacheDataTypeE1ELb0ELi512EEEvPfS2_PT_PKS3_PKT0_S9_ifPKiSB_iPKfiiiSD_SD_iiiii, .Lfunc_end339-_ZN4vllm22paged_attention_kernelIthLi256ELi16ELi128ELNS_18Fp8KVCacheDataTypeE1ELb0ELi512EEEvPfS2_PT_PKS3_PKT0_S9_ifPKiSB_iPKfiiiSD_SD_iiiii
                                        ; -- End function
	.section	.AMDGPU.csdata,"",@progbits
; Function info:
; codeLenInByte = 83700
; NumSgprs: 35
; NumVgprs: 184
; ScratchSize: 284
; MemoryBound: 0
	.section	.text._ZN4vllm25paged_attention_v2_kernelIthLi256ELi16ELi128ELNS_18Fp8KVCacheDataTypeE1ELb0ELi512EEEvPfS2_PT_PKS3_PKT0_S9_ifPKiSB_iPKfiiiSD_SD_iiiii,"axG",@progbits,_ZN4vllm25paged_attention_v2_kernelIthLi256ELi16ELi128ELNS_18Fp8KVCacheDataTypeE1ELb0ELi512EEEvPfS2_PT_PKS3_PKT0_S9_ifPKiSB_iPKfiiiSD_SD_iiiii,comdat
	.protected	_ZN4vllm25paged_attention_v2_kernelIthLi256ELi16ELi128ELNS_18Fp8KVCacheDataTypeE1ELb0ELi512EEEvPfS2_PT_PKS3_PKT0_S9_ifPKiSB_iPKfiiiSD_SD_iiiii ; -- Begin function _ZN4vllm25paged_attention_v2_kernelIthLi256ELi16ELi128ELNS_18Fp8KVCacheDataTypeE1ELb0ELi512EEEvPfS2_PT_PKS3_PKT0_S9_ifPKiSB_iPKfiiiSD_SD_iiiii
	.globl	_ZN4vllm25paged_attention_v2_kernelIthLi256ELi16ELi128ELNS_18Fp8KVCacheDataTypeE1ELb0ELi512EEEvPfS2_PT_PKS3_PKT0_S9_ifPKiSB_iPKfiiiSD_SD_iiiii
	.p2align	8
	.type	_ZN4vllm25paged_attention_v2_kernelIthLi256ELi16ELi128ELNS_18Fp8KVCacheDataTypeE1ELb0ELi512EEEvPfS2_PT_PKS3_PKT0_S9_ifPKiSB_iPKfiiiSD_SD_iiiii,@function
_ZN4vllm25paged_attention_v2_kernelIthLi256ELi16ELi128ELNS_18Fp8KVCacheDataTypeE1ELb0ELi512EEEvPfS2_PT_PKS3_PKT0_S9_ifPKiSB_iPKfiiiSD_SD_iiiii: ; @_ZN4vllm25paged_attention_v2_kernelIthLi256ELi16ELi128ELNS_18Fp8KVCacheDataTypeE1ELb0ELi512EEEvPfS2_PT_PKS3_PKT0_S9_ifPKiSB_iPKfiiiSD_SD_iiiii
; %bb.0:
	s_clause 0x5
	s_load_b256 s[24:31], s[0:1], 0x0
	s_load_b256 s[16:23], s[0:1], 0x20
	s_load_b64 s[2:3], s[0:1], 0x40
	s_load_b64 s[4:5], s[0:1], 0x50
	s_load_b32 s6, s[0:1], 0x48
	s_load_b256 s[36:43], s[0:1], 0x58
	v_mov_b32_e32 v31, v0
	s_add_u32 s8, s0, 0x90
	s_mov_b32 s12, s13
	s_addc_u32 s9, s1, 0
	s_mov_b32 s13, s14
	s_mov_b32 s14, s15
	s_movk_i32 s15, 0x65
	s_mov_b32 s32, 0
	s_getpc_b64 s[0:1]
	s_add_u32 s0, s0, _ZN4vllm22paged_attention_kernelIthLi256ELi16ELi128ELNS_18Fp8KVCacheDataTypeE1ELb0ELi512EEEvPfS2_PT_PKS3_PKT0_S9_ifPKiSB_iPKfiiiSD_SD_iiiii@rel32@lo+4
	s_addc_u32 s1, s1, _ZN4vllm22paged_attention_kernelIthLi256ELi16ELi128ELNS_18Fp8KVCacheDataTypeE1ELb0ELi512EEEvPfS2_PT_PKS3_PKT0_S9_ifPKiSB_iPKfiiiSD_SD_iiiii@rel32@hi+12
	s_waitcnt lgkmcnt(0)
	v_dual_mov_b32 v0, s24 :: v_dual_mov_b32 v1, s25
	v_dual_mov_b32 v2, s26 :: v_dual_mov_b32 v3, s27
	;; [unrolled: 1-line block ×14, first 2 shown]
	s_swappc_b64 s[30:31], s[0:1]
	s_endpgm
	.section	.rodata,"a",@progbits
	.p2align	6, 0x0
	.amdhsa_kernel _ZN4vllm25paged_attention_v2_kernelIthLi256ELi16ELi128ELNS_18Fp8KVCacheDataTypeE1ELb0ELi512EEEvPfS2_PT_PKS3_PKT0_S9_ifPKiSB_iPKfiiiSD_SD_iiiii
		.amdhsa_group_segment_fixed_size 544
		.amdhsa_private_segment_fixed_size 284
		.amdhsa_kernarg_size 400
		.amdhsa_user_sgpr_count 13
		.amdhsa_user_sgpr_dispatch_ptr 0
		.amdhsa_user_sgpr_queue_ptr 0
		.amdhsa_user_sgpr_kernarg_segment_ptr 1
		.amdhsa_user_sgpr_dispatch_id 0
		.amdhsa_user_sgpr_private_segment_size 0
		.amdhsa_wavefront_size32 1
		.amdhsa_uses_dynamic_stack 0
		.amdhsa_enable_private_segment 1
		.amdhsa_system_sgpr_workgroup_id_x 1
		.amdhsa_system_sgpr_workgroup_id_y 1
		.amdhsa_system_sgpr_workgroup_id_z 1
		.amdhsa_system_sgpr_workgroup_info 0
		.amdhsa_system_vgpr_workitem_id 0
		.amdhsa_next_free_vgpr 184
		.amdhsa_next_free_sgpr 44
		.amdhsa_reserve_vcc 1
		.amdhsa_float_round_mode_32 0
		.amdhsa_float_round_mode_16_64 0
		.amdhsa_float_denorm_mode_32 3
		.amdhsa_float_denorm_mode_16_64 3
		.amdhsa_dx10_clamp 1
		.amdhsa_ieee_mode 1
		.amdhsa_fp16_overflow 0
		.amdhsa_workgroup_processor_mode 1
		.amdhsa_memory_ordered 1
		.amdhsa_forward_progress 0
		.amdhsa_shared_vgpr_count 0
		.amdhsa_exception_fp_ieee_invalid_op 0
		.amdhsa_exception_fp_denorm_src 0
		.amdhsa_exception_fp_ieee_div_zero 0
		.amdhsa_exception_fp_ieee_overflow 0
		.amdhsa_exception_fp_ieee_underflow 0
		.amdhsa_exception_fp_ieee_inexact 0
		.amdhsa_exception_int_div_zero 0
	.end_amdhsa_kernel
	.section	.text._ZN4vllm25paged_attention_v2_kernelIthLi256ELi16ELi128ELNS_18Fp8KVCacheDataTypeE1ELb0ELi512EEEvPfS2_PT_PKS3_PKT0_S9_ifPKiSB_iPKfiiiSD_SD_iiiii,"axG",@progbits,_ZN4vllm25paged_attention_v2_kernelIthLi256ELi16ELi128ELNS_18Fp8KVCacheDataTypeE1ELb0ELi512EEEvPfS2_PT_PKS3_PKT0_S9_ifPKiSB_iPKfiiiSD_SD_iiiii,comdat
.Lfunc_end340:
	.size	_ZN4vllm25paged_attention_v2_kernelIthLi256ELi16ELi128ELNS_18Fp8KVCacheDataTypeE1ELb0ELi512EEEvPfS2_PT_PKS3_PKT0_S9_ifPKiSB_iPKfiiiSD_SD_iiiii, .Lfunc_end340-_ZN4vllm25paged_attention_v2_kernelIthLi256ELi16ELi128ELNS_18Fp8KVCacheDataTypeE1ELb0ELi512EEEvPfS2_PT_PKS3_PKT0_S9_ifPKiSB_iPKfiiiSD_SD_iiiii
                                        ; -- End function
	.section	.AMDGPU.csdata,"",@progbits
; Kernel info:
; codeLenInByte = 232
; NumSgprs: 46
; NumVgprs: 184
; ScratchSize: 284
; MemoryBound: 0
; FloatMode: 240
; IeeeMode: 1
; LDSByteSize: 544 bytes/workgroup (compile time only)
; SGPRBlocks: 5
; VGPRBlocks: 22
; NumSGPRsForWavesPerEU: 46
; NumVGPRsForWavesPerEU: 184
; Occupancy: 8
; WaveLimiterHint : 1
; COMPUTE_PGM_RSRC2:SCRATCH_EN: 1
; COMPUTE_PGM_RSRC2:USER_SGPR: 13
; COMPUTE_PGM_RSRC2:TRAP_HANDLER: 0
; COMPUTE_PGM_RSRC2:TGID_X_EN: 1
; COMPUTE_PGM_RSRC2:TGID_Y_EN: 1
; COMPUTE_PGM_RSRC2:TGID_Z_EN: 1
; COMPUTE_PGM_RSRC2:TIDIG_COMP_CNT: 0
	.section	.text._ZN4vllm25paged_attention_v2_kernelIthLi32ELi32ELi128ELNS_18Fp8KVCacheDataTypeE1ELb1ELi512EEEvPfS2_PT_PKS3_PKT0_S9_ifPKiSB_iPKfiiiSD_SD_iiiii,"axG",@progbits,_ZN4vllm25paged_attention_v2_kernelIthLi32ELi32ELi128ELNS_18Fp8KVCacheDataTypeE1ELb1ELi512EEEvPfS2_PT_PKS3_PKT0_S9_ifPKiSB_iPKfiiiSD_SD_iiiii,comdat
	.protected	_ZN4vllm25paged_attention_v2_kernelIthLi32ELi32ELi128ELNS_18Fp8KVCacheDataTypeE1ELb1ELi512EEEvPfS2_PT_PKS3_PKT0_S9_ifPKiSB_iPKfiiiSD_SD_iiiii ; -- Begin function _ZN4vllm25paged_attention_v2_kernelIthLi32ELi32ELi128ELNS_18Fp8KVCacheDataTypeE1ELb1ELi512EEEvPfS2_PT_PKS3_PKT0_S9_ifPKiSB_iPKfiiiSD_SD_iiiii
	.globl	_ZN4vllm25paged_attention_v2_kernelIthLi32ELi32ELi128ELNS_18Fp8KVCacheDataTypeE1ELb1ELi512EEEvPfS2_PT_PKS3_PKT0_S9_ifPKiSB_iPKfiiiSD_SD_iiiii
	.p2align	8
	.type	_ZN4vllm25paged_attention_v2_kernelIthLi32ELi32ELi128ELNS_18Fp8KVCacheDataTypeE1ELb1ELi512EEEvPfS2_PT_PKS3_PKT0_S9_ifPKiSB_iPKfiiiSD_SD_iiiii,@function
_ZN4vllm25paged_attention_v2_kernelIthLi32ELi32ELi128ELNS_18Fp8KVCacheDataTypeE1ELb1ELi512EEEvPfS2_PT_PKS3_PKT0_S9_ifPKiSB_iPKfiiiSD_SD_iiiii: ; @_ZN4vllm25paged_attention_v2_kernelIthLi32ELi32ELi128ELNS_18Fp8KVCacheDataTypeE1ELb1ELi512EEEvPfS2_PT_PKS3_PKT0_S9_ifPKiSB_iPKfiiiSD_SD_iiiii
; %bb.0:
	s_load_b64 s[2:3], s[0:1], 0x40
	s_mov_b32 s24, s15
	s_ashr_i32 s15, s14, 31
	s_delay_alu instid0(SALU_CYCLE_1)
	s_lshl_b64 s[4:5], s[14:15], 2
	s_waitcnt lgkmcnt(0)
	s_add_u32 s2, s2, s4
	s_addc_u32 s3, s3, s5
	s_lshl_b32 s25, s24, 9
	s_load_b32 s33, s[2:3], 0x0
	s_waitcnt lgkmcnt(0)
	s_cmp_ge_i32 s25, s33
	s_cbranch_scc1 .LBB341_548
; %bb.1:
	s_clause 0x1
	s_load_b32 s15, s[0:1], 0x90
	s_load_b64 s[2:3], s[0:1], 0x30
	s_mov_b32 s12, s13
	s_mov_b32 s42, 0
	s_waitcnt lgkmcnt(0)
	s_abs_i32 s7, s15
	s_abs_i32 s4, s2
	s_delay_alu instid0(SALU_CYCLE_1) | instskip(SKIP_1) | instid1(VALU_DEP_1)
	v_cvt_f32_u32_e32 v1, s4
	s_sub_i32 s6, 0, s4
	v_rcp_iflag_f32_e32 v1, v1
	s_waitcnt_depctr 0xfff
	v_mul_f32_e32 v1, 0x4f7ffffe, v1
	s_delay_alu instid0(VALU_DEP_1) | instskip(NEXT) | instid1(VALU_DEP_1)
	v_cvt_u32_f32_e32 v1, v1
	v_readfirstlane_b32 s5, v1
	s_delay_alu instid0(VALU_DEP_1) | instskip(NEXT) | instid1(SALU_CYCLE_1)
	s_mul_i32 s6, s6, s5
	s_mul_hi_u32 s6, s5, s6
	s_delay_alu instid0(SALU_CYCLE_1) | instskip(SKIP_4) | instid1(SALU_CYCLE_1)
	s_add_i32 s5, s5, s6
	s_xor_b32 s6, s15, s2
	s_mul_hi_u32 s5, s7, s5
	s_ashr_i32 s6, s6, 31
	s_mul_i32 s8, s5, s4
	s_sub_i32 s7, s7, s8
	s_add_i32 s8, s5, 1
	s_sub_i32 s9, s7, s4
	s_cmp_ge_u32 s7, s4
	s_cselect_b32 s5, s8, s5
	s_cselect_b32 s7, s9, s7
	s_add_i32 s8, s5, 1
	s_cmp_ge_u32 s7, s4
	s_cselect_b32 s4, s8, s5
	s_delay_alu instid0(SALU_CYCLE_1) | instskip(NEXT) | instid1(SALU_CYCLE_1)
	s_xor_b32 s4, s4, s6
	s_sub_i32 s16, s4, s6
	s_load_b64 s[4:5], s[0:1], 0x50
	s_abs_i32 s6, s16
	s_delay_alu instid0(SALU_CYCLE_1) | instskip(SKIP_1) | instid1(VALU_DEP_1)
	v_cvt_f32_u32_e32 v1, s6
	s_sub_i32 s7, 0, s6
	v_rcp_iflag_f32_e32 v1, v1
	s_waitcnt_depctr 0xfff
	v_mul_f32_e32 v1, 0x4f7ffffe, v1
	s_delay_alu instid0(VALU_DEP_1) | instskip(NEXT) | instid1(VALU_DEP_1)
	v_cvt_u32_f32_e32 v1, v1
	v_readfirstlane_b32 s8, v1
	s_delay_alu instid0(VALU_DEP_1) | instskip(NEXT) | instid1(SALU_CYCLE_1)
	s_mul_i32 s7, s7, s8
	s_mul_hi_u32 s9, s8, s7
	s_abs_i32 s7, s13
	s_add_i32 s8, s8, s9
	s_waitcnt lgkmcnt(0)
	s_cmp_eq_u64 s[4:5], 0
	s_mul_hi_u32 s20, s7, s8
	s_cbranch_scc1 .LBB341_3
; %bb.2:
	s_ashr_i32 s13, s12, 31
	s_delay_alu instid0(SALU_CYCLE_1) | instskip(NEXT) | instid1(SALU_CYCLE_1)
	s_lshl_b64 s[8:9], s[12:13], 2
	s_add_u32 s4, s4, s8
	s_addc_u32 s5, s5, s9
	s_load_b32 s42, s[4:5], 0x0
.LBB341_3:
	s_load_b128 s[8:11], s[0:1], 0x58
	s_ashr_i32 s4, s12, 31
	s_ashr_i32 s5, s16, 31
	s_lshl_b32 s26, s12, 5
	s_waitcnt lgkmcnt(0)
	s_mov_b32 s11, exec_lo
	v_cmpx_gt_u32_e32 4, v0
	s_cbranch_execz .LBB341_5
; %bb.4:
	s_load_b64 s[16:17], s[0:1], 0x18
	s_mul_i32 s18, s14, s8
	v_lshlrev_b32_e32 v5, 4, v0
	s_ashr_i32 s19, s18, 31
	s_delay_alu instid0(SALU_CYCLE_1) | instskip(SKIP_4) | instid1(SALU_CYCLE_1)
	s_lshl_b64 s[18:19], s[18:19], 1
	s_waitcnt lgkmcnt(0)
	s_add_u32 s8, s16, s18
	s_addc_u32 s13, s17, s19
	s_ashr_i32 s27, s26, 31
	s_lshl_b64 s[16:17], s[26:27], 1
	s_delay_alu instid0(SALU_CYCLE_1)
	s_add_u32 s16, s8, s16
	s_addc_u32 s17, s13, s17
	global_load_b128 v[1:4], v5, s[16:17]
	s_waitcnt vmcnt(0)
	ds_store_b128 v5, v[1:4]
.LBB341_5:
	s_or_b32 exec_lo, exec_lo, s11
	s_load_b128 s[16:19], s[0:1], 0x78
	s_mul_i32 s8, s20, s6
	s_xor_b32 s5, s4, s5
	s_sub_i32 s4, s7, s8
	s_add_i32 s7, s20, 1
	s_sub_i32 s8, s4, s6
	s_cmp_ge_u32 s4, s6
	s_waitcnt lgkmcnt(0)
	s_cselect_b32 s7, s7, s20
	s_cselect_b32 s4, s8, s4
	s_add_i32 s8, s7, 1
	s_cmp_ge_u32 s4, s6
	s_load_b32 s4, s[0:1], 0x88
	s_cselect_b32 s6, s8, s7
	s_waitcnt lgkmcnt(0)
	s_barrier
	s_xor_b32 s6, s6, s5
	buffer_gl0_inv
	s_sub_i32 s13, s6, s5
	s_mov_b32 s6, -1
                                        ; implicit-def: $sgpr39
	s_abs_i32 s27, s19
	s_delay_alu instid0(SALU_CYCLE_1) | instskip(SKIP_1) | instid1(VALU_DEP_1)
	v_cvt_f32_u32_e32 v1, s27
	s_sub_i32 s5, 0, s27
	v_rcp_iflag_f32_e32 v1, v1
	s_waitcnt_depctr 0xfff
	v_mul_f32_e32 v1, 0x4f7ffffe, v1
	s_delay_alu instid0(VALU_DEP_1) | instskip(NEXT) | instid1(VALU_DEP_1)
	v_cvt_u32_f32_e32 v1, v1
	v_readfirstlane_b32 s38, v1
	s_delay_alu instid0(VALU_DEP_1)
	s_mul_i32 s7, s5, s38
	s_add_i32 s5, s33, -1
	s_mul_hi_u32 s7, s38, s7
	s_abs_i32 s34, s5
	s_add_i32 s38, s38, s7
	s_cmp_lt_i32 s4, 0
	s_mul_hi_u32 s11, s34, s38
	s_cbranch_scc0 .LBB341_7
; %bb.6:
	s_mul_i32 s2, s16, s2
	s_mov_b32 s6, 0
	s_add_i32 s2, s13, s2
	s_delay_alu instid0(SALU_CYCLE_1) | instskip(NEXT) | instid1(SALU_CYCLE_1)
	s_mul_i32 s2, s2, s4
	s_sub_i32 s39, 1, s2
.LBB341_7:
	s_load_b64 s[30:31], s[0:1], 0x38
	s_ashr_i32 s2, s5, 31
	s_and_not1_b32 vcc_lo, exec_lo, s6
	s_ashr_i32 s19, s19, 31
	s_cbranch_vccnz .LBB341_9
; %bb.8:
	s_mul_i32 s5, s15, s16
	s_delay_alu instid0(SALU_CYCLE_1) | instskip(NEXT) | instid1(SALU_CYCLE_1)
	s_add_i32 s5, s5, s12
	s_mul_i32 s4, s5, s4
	s_delay_alu instid0(SALU_CYCLE_1)
	s_add_i32 s39, s4, 1
.LBB341_9:
	s_clause 0x5
	s_load_b32 s16, s[0:1], 0x48
	s_load_b64 s[36:37], s[0:1], 0x28
	s_load_b128 s[20:23], s[0:1], 0x0
	s_load_b64 s[28:29], s[0:1], 0x10
	s_load_b32 s8, s[0:1], 0x98
	s_load_b128 s[4:7], s[0:1], 0x68
	s_xor_b32 s41, s2, s19
	s_mul_i32 s2, s11, s27
	s_add_i32 s40, s11, 1
	s_sub_i32 s2, s34, s2
	v_lshrrev_b32_e32 v16, 5, v0
	v_dual_mov_b32 v14, 0xff7fffff :: v_dual_and_b32 v17, 31, v0
	s_mul_i32 s13, s13, s10
	s_delay_alu instid0(VALU_DEP_2) | instskip(NEXT) | instid1(VALU_DEP_2)
	v_lshl_add_u32 v18, v16, 5, s25
	v_lshlrev_b32_e32 v13, 2, v17
	s_waitcnt lgkmcnt(0)
	s_mul_i32 s34, s14, s16
	s_sub_i32 s16, s2, s27
	s_ashr_i32 s35, s34, 31
	s_cmp_ge_u32 s2, s27
	s_cselect_b32 s11, s40, s11
	s_cselect_b32 s2, s16, s2
	s_add_i32 s16, s11, 1
	s_cmp_ge_u32 s2, s27
	s_cselect_b32 s2, s16, s11
	s_add_i32 s11, s33, 31
	s_lshl_b32 s43, s24, 4
	s_ashr_i32 s16, s11, 31
	v_add_nc_u32_e32 v5, s43, v16
	s_lshr_b32 s16, s16, 27
	s_delay_alu instid0(SALU_CYCLE_1)
	s_add_i32 s11, s11, s16
	s_add_i32 s16, s43, 16
	s_ashr_i32 s40, s11, 5
	s_xor_b32 s11, s2, s41
	s_min_i32 s16, s16, s40
	v_ashrrev_i32_e32 v6, 31, v5
	v_cmp_gt_i32_e64 s2, s16, v5
	s_sub_i32 s41, s11, s41
	s_delay_alu instid0(VALU_DEP_1)
	s_and_saveexec_b32 s44, s2
	s_cbranch_execz .LBB341_257
; %bb.10:
	s_load_b64 s[0:1], s[0:1], 0x20
	s_sub_i32 s45, s41, s17
	s_ashr_i32 s10, s13, 31
	v_lshl_or_b32 v9, v16, 7, v13
	v_lshlrev_b64 v[7:8], 2, v[5:6]
	v_dual_mov_b32 v14, 0xff7fffff :: v_dual_lshlrev_b32 v3, 4, v17
	v_subrev_nc_u32_e32 v4, s33, v17
	s_delay_alu instid0(VALU_DEP_4) | instskip(SKIP_2) | instid1(VALU_DEP_4)
	v_add_nc_u32_e32 v21, 0x60, v9
	v_cmp_neq_f32_e64 vcc_lo, s42, 0
	v_lshl_add_u32 v15, v16, 5, s25
	v_dual_mov_b32 v19, 0xff7fffff :: v_dual_add_nc_u32 v20, 1, v4
	v_dual_mov_b32 v23, v5 :: v_dual_mov_b32 v2, 0
	s_waitcnt lgkmcnt(0)
	s_add_u32 s47, s0, s13
	s_addc_u32 s48, s1, s10
	s_abs_i32 s46, s18
	v_add_co_u32 v3, s47, s47, v3
	v_cvt_f32_u32_e32 v1, s46
	s_sub_i32 s0, 0, s46
	v_add_co_ci_u32_e64 v4, null, s48, 0, s47
	s_mov_b32 s10, -1
	s_delay_alu instid0(VALU_DEP_2)
	v_rcp_iflag_f32_e32 v1, v1
	s_mov_b32 s11, 0xffffff
	s_mov_b32 s48, s9
	;; [unrolled: 1-line block ×3, first 2 shown]
	s_waitcnt_depctr 0xfff
	v_mul_f32_e32 v1, 0x4f7ffffe, v1
	s_delay_alu instid0(VALU_DEP_1) | instskip(NEXT) | instid1(VALU_DEP_1)
	v_cvt_u32_f32_e32 v1, v1
	v_mul_lo_u32 v10, s0, v1
	s_lshl_b64 s[0:1], s[34:35], 2
	s_delay_alu instid0(SALU_CYCLE_1) | instskip(SKIP_2) | instid1(VALU_DEP_1)
	s_add_u32 s0, s30, s0
	s_addc_u32 s1, s31, s1
	v_add_co_u32 v7, s0, s0, v7
	v_add_co_ci_u32_e64 v8, s0, s1, v8, s0
	s_delay_alu instid0(VALU_DEP_3) | instskip(NEXT) | instid1(VALU_DEP_1)
	v_mul_hi_u32 v9, v1, v10
	v_add_nc_u32_e32 v22, v1, v9
	s_branch .LBB341_16
.LBB341_11:                             ;   in Loop: Header=BB341_16 Depth=1
	s_or_b32 exec_lo, exec_lo, s52
	v_lshlrev_b32_e32 v9, 8, v9
	v_lshl_add_u32 v10, v10, 10, 0x2000
	s_delay_alu instid0(VALU_DEP_1) | instskip(NEXT) | instid1(VALU_DEP_1)
	v_and_or_b32 v9, 0x8000, v9, v10
	v_lshl_or_b32 v1, v1, 7, v9
	s_delay_alu instid0(VALU_DEP_1)
	v_cvt_f32_f16_e32 v53, v1
.LBB341_12:                             ;   in Loop: Header=BB341_16 Depth=1
	s_or_b32 exec_lo, exec_lo, s51
.LBB341_13:                             ;   in Loop: Header=BB341_16 Depth=1
	s_delay_alu instid0(SALU_CYCLE_1)
	s_or_b32 exec_lo, exec_lo, s50
.LBB341_14:                             ;   in Loop: Header=BB341_16 Depth=1
	s_delay_alu instid0(SALU_CYCLE_1)
	s_or_b32 exec_lo, exec_lo, s49
	ds_load_b128 v[55:58], v2
	v_fma_mixlo_f16 v1, v24, v28, 0
	v_fma_mixlo_f16 v9, v24, v27, 0
	;; [unrolled: 1-line block ×8, first 2 shown]
	v_and_b32_e32 v25, 0xffff, v25
	v_and_b32_e32 v10, 0xffff, v10
	;; [unrolled: 1-line block ×4, first 2 shown]
	v_fma_mixlo_f16 v33, v24, v33, 0
	v_fma_mixlo_f16 v34, v24, v34, 0
	;; [unrolled: 1-line block ×5, first 2 shown]
	v_and_b32_e32 v33, 0xffff, v33
	v_and_b32_e32 v34, 0xffff, v34
	s_waitcnt lgkmcnt(0)
	v_lshrrev_b32_e32 v30, 16, v55
	v_and_b32_e32 v31, 0xffff, v55
	v_lshrrev_b32_e32 v32, 16, v56
	v_and_b32_e32 v55, 0xffff, v56
	;; [unrolled: 2-line block ×3, first 2 shown]
	;;#ASMSTART
	v_cvt_f32_f16 v31, v31;
	;;#ASMEND
	;;#ASMSTART
	v_cvt_f32_f16 v30, v30;
	;;#ASMEND
	;; [unrolled: 3-line block ×7, first 2 shown]
	v_and_b32_e32 v27, 0xffff, v27
	;;#ASMSTART
	v_cvt_f32_f16 v1, v1;
	;;#ASMEND
	;;#ASMSTART
	v_cvt_f32_f16 v57, v57;
	;;#ASMEND
	;; [unrolled: 3-line block ×4, first 2 shown]
	v_and_b32_e32 v9, 0xffff, v26
	v_lshrrev_b32_e32 v25, 16, v58
	v_and_b32_e32 v26, 0xffff, v28
	v_and_b32_e32 v27, 0xffff, v29
	;; [unrolled: 1-line block ×3, first 2 shown]
	;;#ASMSTART
	v_cvt_f32_f16 v29, v9;
	;;#ASMEND
	;;#ASMSTART
	v_cvt_f32_f16 v58, v10;
	;;#ASMEND
	;; [unrolled: 3-line block ×5, first 2 shown]
	ds_load_b128 v[25:28], v2 offset:16
	v_fma_mixlo_f16 v9, v24, v36, 0
	v_fma_mixlo_f16 v41, v24, v41, 0
	;; [unrolled: 1-line block ×5, first 2 shown]
	v_and_b32_e32 v9, 0xffff, v9
	v_fma_mixlo_f16 v48, v24, v48, 0
	v_fma_mixlo_f16 v47, v24, v47, 0
	;; [unrolled: 1-line block ×7, first 2 shown]
	s_waitcnt lgkmcnt(0)
	v_and_b32_e32 v36, 0xffff, v25
	v_lshrrev_b32_e32 v25, 16, v25
	;;#ASMSTART
	v_cvt_f32_f16 v36, v36;
	;;#ASMEND
	;;#ASMSTART
	v_cvt_f32_f16 v66, v25;
	;;#ASMEND
	;; [unrolled: 3-line block ×3, first 2 shown]
	v_mul_f32_e32 v33, v36, v33
	;;#ASMSTART
	v_cvt_f32_f16 v34, v34;
	;;#ASMEND
	v_and_b32_e32 v25, 0xffff, v27
	v_fma_mixlo_f16 v36, v24, v51, 0
	v_fma_mixlo_f16 v51, v24, v54, 0
	v_fmac_f32_e32 v33, v31, v59
	v_fma_mixlo_f16 v10, v24, v35, 0
	v_fma_mixlo_f16 v35, v24, v38, 0
	;; [unrolled: 1-line block ×3, first 2 shown]
	v_mul_f32_e32 v31, v66, v34
	v_and_b32_e32 v40, 0xffff, v26
	v_lshrrev_b32_e32 v26, 16, v26
	;;#ASMSTART
	v_cvt_f32_f16 v40, v40;
	;;#ASMEND
	;;#ASMSTART
	v_cvt_f32_f16 v67, v26;
	;;#ASMEND
	v_and_b32_e32 v10, 0xffff, v10
	v_lshrrev_b32_e32 v26, 16, v27
	v_and_b32_e32 v27, 0xffff, v37
	;;#ASMSTART
	v_cvt_f32_f16 v10, v10;
	;;#ASMEND
	;;#ASMSTART
	v_cvt_f32_f16 v37, v9;
	;;#ASMEND
	;; [unrolled: 3-line block ×5, first 2 shown]
	v_and_b32_e32 v25, 0xffff, v28
	v_lshrrev_b32_e32 v26, 16, v28
	v_and_b32_e32 v27, 0xffff, v38
	v_and_b32_e32 v28, 0xffff, v39
	;; [unrolled: 1-line block ×3, first 2 shown]
	;;#ASMSTART
	v_cvt_f32_f16 v35, v9;
	;;#ASMEND
	;;#ASMSTART
	v_cvt_f32_f16 v38, v25;
	;;#ASMEND
	;; [unrolled: 3-line block ×4, first 2 shown]
	v_dual_fmac_f32 v31, v30, v60 :: v_dual_mul_f32 v30, v67, v37
	v_mul_f32_e32 v37, v68, v70
	;;#ASMSTART
	v_cvt_f32_f16 v72, v28;
	;;#ASMEND
	ds_load_b128 v[25:28], v2 offset:32
	v_mul_f32_e32 v35, v69, v35
	v_fma_mixlo_f16 v9, v24, v44, 0
	v_dual_mul_f32 v39, v39, v72 :: v_dual_add_nc_u32 v44, v20, v15
	v_fmac_f32_e32 v37, v57, v62
	s_delay_alu instid0(VALU_DEP_4) | instskip(SKIP_1) | instid1(VALU_DEP_4)
	v_fmac_f32_e32 v35, v56, v29
	v_mul_f32_e32 v34, v40, v10
	v_dual_fmac_f32 v39, v63, v65 :: v_dual_and_b32 v12, 0xffff, v42
	v_fma_mixlo_f16 v24, v24, v53, 0
	v_and_b32_e32 v9, 0xffff, v9
	s_delay_alu instid0(VALU_DEP_4) | instskip(SKIP_4) | instid1(VALU_DEP_2)
	v_fmac_f32_e32 v34, v55, v61
	v_fmac_f32_e32 v30, v32, v1
	v_mul_f32_e32 v38, v38, v71
	v_cvt_f32_i32_e32 v44, v44
	s_waitcnt lgkmcnt(0)
	v_dual_fmac_f32 v38, v58, v64 :: v_dual_and_b32 v11, 0xffff, v25
	v_lshrrev_b32_e32 v10, 16, v25
	;;#ASMSTART
	v_cvt_f32_f16 v25, v11;
	;;#ASMEND
	v_and_b32_e32 v11, 0xffff, v41
	;;#ASMSTART
	v_cvt_f32_f16 v41, v10;
	;;#ASMEND
	;;#ASMSTART
	v_cvt_f32_f16 v42, v11;
	;;#ASMEND
	;; [unrolled: 3-line block ×3, first 2 shown]
	v_dual_fmac_f32 v31, v41, v53 :: v_dual_and_b32 v40, 0xffff, v26
	v_lshrrev_b32_e32 v26, 16, v26
	v_dual_fmac_f32 v33, v25, v42 :: v_dual_and_b32 v10, 0xffff, v43
	v_and_b32_e32 v11, 0xffff, v27
	v_lshrrev_b32_e32 v12, 16, v27
	v_and_b32_e32 v27, 0xffff, v45
	;;#ASMSTART
	v_cvt_f32_f16 v40, v40;
	;;#ASMEND
	;;#ASMSTART
	v_cvt_f32_f16 v26, v26;
	;;#ASMEND
	;; [unrolled: 3-line block ×7, first 2 shown]
	v_and_b32_e32 v9, 0xffff, v46
	v_dual_fmac_f32 v37, v54, v27 :: v_dual_and_b32 v10, 0xffff, v28
	v_lshrrev_b32_e32 v11, 16, v28
	v_and_b32_e32 v28, 0xffff, v47
	;;#ASMSTART
	v_cvt_f32_f16 v46, v9;
	;;#ASMEND
	v_dual_fmac_f32 v35, v59, v46 :: v_dual_and_b32 v12, 0xffff, v48
	;;#ASMSTART
	v_cvt_f32_f16 v47, v10;
	;;#ASMEND
	;;#ASMSTART
	v_cvt_f32_f16 v48, v11;
	;;#ASMEND
	;; [unrolled: 3-line block ×4, first 2 shown]
	ds_load_b128 v[9:12], v2 offset:48
	v_fmac_f32_e32 v34, v40, v43
	v_dual_fmac_f32 v30, v26, v45 :: v_dual_and_b32 v25, 0xffff, v74
	v_dual_fmac_f32 v39, v48, v28 :: v_dual_and_b32 v26, 0xffff, v73
	v_and_b32_e32 v27, 0xffff, v50
	s_waitcnt lgkmcnt(0)
	v_dual_fmac_f32 v38, v47, v66 :: v_dual_and_b32 v1, 0xffff, v9
	v_lshrrev_b32_e32 v9, 16, v9
	;;#ASMSTART
	v_cvt_f32_f16 v1, v1;
	;;#ASMEND
	;;#ASMSTART
	v_cvt_f32_f16 v9, v9;
	;;#ASMEND
	;; [unrolled: 3-line block ×4, first 2 shown]
	v_fmac_f32_e32 v33, v1, v25
	v_fmac_f32_e32 v31, v9, v26
	v_and_b32_e32 v1, 0xffff, v10
	v_lshrrev_b32_e32 v10, 16, v10
	v_and_b32_e32 v25, 0xffff, v49
	;;#ASMSTART
	v_cvt_f32_f16 v1, v1;
	;;#ASMEND
	;;#ASMSTART
	v_cvt_f32_f16 v9, v10;
	;;#ASMEND
	;;#ASMSTART
	v_cvt_f32_f16 v10, v25;
	;;#ASMEND
	;;#ASMSTART
	v_cvt_f32_f16 v25, v27;
	;;#ASMEND
	v_fmac_f32_e32 v34, v1, v10
	v_dual_fmac_f32 v30, v9, v25 :: v_dual_and_b32 v1, 0xffff, v11
	v_lshrrev_b32_e32 v9, 16, v11
	v_and_b32_e32 v11, 0xffff, v36
	;;#ASMSTART
	v_cvt_f32_f16 v1, v1;
	;;#ASMEND
	;;#ASMSTART
	v_cvt_f32_f16 v9, v9;
	;;#ASMEND
	;;#ASMSTART
	v_cvt_f32_f16 v11, v11;
	;;#ASMEND
	s_delay_alu instid0(VALU_DEP_1)
	v_fmac_f32_e32 v37, v1, v11
	v_and_b32_e32 v1, 0xffff, v12
	v_lshrrev_b32_e32 v11, 16, v12
	v_and_b32_e32 v12, 0xffff, v51
	v_dual_add_f32 v10, v33, v31 :: v_dual_and_b32 v25, 0xffff, v52
	;;#ASMSTART
	v_cvt_f32_f16 v25, v25;
	;;#ASMEND
	s_delay_alu instid0(VALU_DEP_1) | instskip(SKIP_1) | instid1(VALU_DEP_2)
	v_fmac_f32_e32 v35, v9, v25
	;;#ASMSTART
	v_cvt_f32_f16 v1, v1;
	;;#ASMEND
	v_add_f32_e32 v10, v10, v34
	s_delay_alu instid0(VALU_DEP_1) | instskip(NEXT) | instid1(VALU_DEP_1)
	v_add_f32_e32 v10, v30, v10
	v_add_f32_e32 v9, v10, v37
	;;#ASMSTART
	v_cvt_f32_f16 v10, v11;
	;;#ASMEND
	;;#ASMSTART
	v_cvt_f32_f16 v11, v12;
	;;#ASMEND
	v_and_b32_e32 v12, 0xffff, v24
	v_fmac_f32_e32 v38, v1, v11
	;;#ASMSTART
	v_cvt_f32_f16 v11, v12;
	;;#ASMEND
	v_fmac_f32_e32 v39, v10, v11
	v_dual_add_f32 v1, v35, v9 :: v_dual_add_nc_u32 v10, v17, v15
	v_mul_f32_e32 v9, s42, v44
	s_delay_alu instid0(VALU_DEP_2) | instskip(NEXT) | instid1(VALU_DEP_3)
	v_cmp_gt_i32_e64 s0, s33, v10
	v_add_f32_e32 v1, v1, v38
	s_delay_alu instid0(VALU_DEP_3) | instskip(NEXT) | instid1(VALU_DEP_2)
	v_cndmask_b32_e32 v9, 0, v9, vcc_lo
	v_add_f32_e32 v1, v39, v1
	s_delay_alu instid0(VALU_DEP_1) | instskip(SKIP_1) | instid1(VALU_DEP_1)
	v_fmac_f32_e32 v9, s3, v1
	v_max_f32_e32 v1, v14, v14
	v_max_f32_e32 v1, v1, v9
	v_cndmask_b32_e64 v9, 0, v9, s0
	s_delay_alu instid0(VALU_DEP_2)
	v_cndmask_b32_e64 v14, v14, v1, s0
	ds_store_b32 v21, v9
.LBB341_15:                             ;   in Loop: Header=BB341_16 Depth=1
	s_or_b32 exec_lo, exec_lo, s1
	v_add_nc_u32_e32 v23, 4, v23
	v_add_co_u32 v7, s1, v7, 16
	s_delay_alu instid0(VALU_DEP_1) | instskip(NEXT) | instid1(VALU_DEP_3)
	v_add_co_ci_u32_e64 v8, s1, 0, v8, s1
	v_cmp_le_i32_e64 s0, s16, v23
	v_add_nc_u32_e32 v15, 0x80, v15
	v_add_nc_u32_e32 v21, 0x200, v21
	s_delay_alu instid0(VALU_DEP_3) | instskip(NEXT) | instid1(SALU_CYCLE_1)
	s_or_b32 s47, s0, s47
	s_and_not1_b32 exec_lo, exec_lo, s47
	s_cbranch_execz .LBB341_256
.LBB341_16:                             ; =>This Inner Loop Header: Depth=1
	v_sub_nc_u32_e32 v1, 0, v15
	s_delay_alu instid0(VALU_DEP_1) | instskip(NEXT) | instid1(VALU_DEP_1)
	v_max_i32_e32 v1, v15, v1
	v_mul_hi_u32 v9, v1, s38
	s_delay_alu instid0(VALU_DEP_1) | instskip(NEXT) | instid1(VALU_DEP_1)
	v_mul_lo_u32 v10, v9, s27
	v_sub_nc_u32_e32 v1, v1, v10
	v_add_nc_u32_e32 v10, 1, v9
	s_delay_alu instid0(VALU_DEP_2) | instskip(SKIP_1) | instid1(VALU_DEP_1)
	v_subrev_nc_u32_e32 v11, s27, v1
	v_cmp_le_u32_e64 s0, s27, v1
	v_cndmask_b32_e64 v9, v9, v10, s0
	s_delay_alu instid0(VALU_DEP_3) | instskip(SKIP_1) | instid1(VALU_DEP_3)
	v_cndmask_b32_e64 v1, v1, v11, s0
	v_ashrrev_i32_e32 v10, 31, v15
	v_add_nc_u32_e32 v11, 1, v9
	s_delay_alu instid0(VALU_DEP_3) | instskip(NEXT) | instid1(VALU_DEP_3)
	v_cmp_le_u32_e64 s0, s27, v1
	v_xor_b32_e32 v10, s19, v10
	s_delay_alu instid0(VALU_DEP_2) | instskip(NEXT) | instid1(VALU_DEP_1)
	v_cndmask_b32_e64 v1, v9, v11, s0
	v_xor_b32_e32 v1, v1, v10
	s_delay_alu instid0(VALU_DEP_1) | instskip(NEXT) | instid1(VALU_DEP_1)
	v_sub_nc_u32_e32 v1, v1, v10
	v_add_nc_u32_e32 v9, s39, v1
	v_cmp_ge_i32_e64 s1, s45, v1
	s_delay_alu instid0(VALU_DEP_2) | instskip(NEXT) | instid1(VALU_DEP_1)
	v_sub_nc_u32_e32 v10, 0, v9
	v_max_i32_e32 v10, v9, v10
	v_ashrrev_i32_e32 v9, 31, v9
	s_delay_alu instid0(VALU_DEP_2) | instskip(NEXT) | instid1(VALU_DEP_1)
	v_mul_hi_u32 v11, v10, v22
	v_mul_lo_u32 v11, v11, s46
	s_delay_alu instid0(VALU_DEP_1) | instskip(NEXT) | instid1(VALU_DEP_1)
	v_sub_nc_u32_e32 v10, v10, v11
	v_subrev_nc_u32_e32 v11, s46, v10
	v_cmp_le_u32_e64 s0, s46, v10
	s_delay_alu instid0(VALU_DEP_1) | instskip(NEXT) | instid1(VALU_DEP_1)
	v_cndmask_b32_e64 v10, v10, v11, s0
	v_subrev_nc_u32_e32 v11, s46, v10
	v_cmp_le_u32_e64 s0, s46, v10
	s_delay_alu instid0(VALU_DEP_1) | instskip(NEXT) | instid1(VALU_DEP_1)
	v_cndmask_b32_e64 v10, v10, v11, s0
	v_xor_b32_e32 v10, v10, v9
	s_delay_alu instid0(VALU_DEP_1) | instskip(NEXT) | instid1(VALU_DEP_1)
	v_sub_nc_u32_e32 v9, v10, v9
	v_cmp_ne_u32_e64 s0, 0, v9
	s_delay_alu instid0(VALU_DEP_1) | instskip(NEXT) | instid1(SALU_CYCLE_1)
	s_and_b32 s0, s0, s1
	s_and_saveexec_b32 s1, s0
	s_delay_alu instid0(SALU_CYCLE_1)
	s_xor_b32 s0, exec_lo, s1
	s_cbranch_execz .LBB341_18
; %bb.17:                               ;   in Loop: Header=BB341_16 Depth=1
	ds_store_b32 v21, v19
.LBB341_18:                             ;   in Loop: Header=BB341_16 Depth=1
	s_and_not1_saveexec_b32 s1, s0
	s_cbranch_execz .LBB341_15
; %bb.19:                               ;   in Loop: Header=BB341_16 Depth=1
	global_load_b32 v1, v[7:8], off
	v_mov_b32_e32 v25, 0
	s_mov_b32 s49, exec_lo
	v_mov_b32_e32 v26, 0
	s_waitcnt vmcnt(0)
	v_mad_i64_i32 v[9:10], null, v1, s48, v[3:4]
	global_load_b64 v[11:12], v[9:10], off
	global_load_b32 v24, v2, s[4:5]
	s_waitcnt vmcnt(1)
	v_and_b32_e32 v1, 0xff, v11
	s_delay_alu instid0(VALU_DEP_1)
	v_cmpx_ne_u16_e32 0, v1
	s_cbranch_execz .LBB341_25
; %bb.20:                               ;   in Loop: Header=BB341_16 Depth=1
	v_bfrev_b32_e32 v25, 1
	s_mov_b32 s50, exec_lo
	v_cmpx_ne_u16_e32 0x80, v1
	s_cbranch_execz .LBB341_24
; %bb.21:                               ;   in Loop: Header=BB341_16 Depth=1
	v_and_b32_e32 v1, 0x7f, v11
	v_mov_b32_e32 v25, 0x7fc02000
	s_mov_b32 s51, exec_lo
	s_delay_alu instid0(VALU_DEP_2)
	v_cmpx_ne_u32_e32 0x7f, v1
	s_cbranch_execz .LBB341_23
; %bb.22:                               ;   in Loop: Header=BB341_16 Depth=1
	v_and_b32_e32 v25, 7, v11
	v_cmp_gt_u32_e64 s0, 8, v1
	v_lshrrev_b32_e32 v27, 3, v1
	s_delay_alu instid0(VALU_DEP_3) | instskip(NEXT) | instid1(VALU_DEP_1)
	v_clz_i32_u32_e32 v25, v25
	v_min_u32_e32 v25, 32, v25
	s_delay_alu instid0(VALU_DEP_1) | instskip(SKIP_1) | instid1(VALU_DEP_2)
	v_subrev_nc_u32_e32 v28, 28, v25
	v_sub_nc_u32_e32 v25, 29, v25
	v_cndmask_b32_e64 v1, 0, v28, s0
	s_delay_alu instid0(VALU_DEP_2) | instskip(NEXT) | instid1(VALU_DEP_2)
	v_cndmask_b32_e64 v25, v27, v25, s0
	v_lshlrev_b64 v[27:28], v1, v[11:12]
	v_lshlrev_b32_e32 v1, 8, v11
	s_delay_alu instid0(VALU_DEP_3) | instskip(NEXT) | instid1(VALU_DEP_3)
	v_lshl_add_u32 v25, v25, 10, 0x2000
	v_lshlrev_b32_e32 v27, 7, v27
	s_delay_alu instid0(VALU_DEP_2) | instskip(NEXT) | instid1(VALU_DEP_1)
	v_and_or_b32 v1, 0x8000, v1, v25
	v_and_or_b32 v1, 0x380, v27, v1
	s_delay_alu instid0(VALU_DEP_1)
	v_cvt_f32_f16_e32 v25, v1
.LBB341_23:                             ;   in Loop: Header=BB341_16 Depth=1
	s_or_b32 exec_lo, exec_lo, s51
.LBB341_24:                             ;   in Loop: Header=BB341_16 Depth=1
	s_delay_alu instid0(SALU_CYCLE_1)
	s_or_b32 exec_lo, exec_lo, s50
.LBB341_25:                             ;   in Loop: Header=BB341_16 Depth=1
	s_delay_alu instid0(SALU_CYCLE_1) | instskip(SKIP_2) | instid1(VALU_DEP_1)
	s_or_b32 exec_lo, exec_lo, s49
	v_lshrrev_b16 v1, 8, v11
	s_mov_b32 s49, exec_lo
	v_cmpx_ne_u16_e32 0, v1
	s_cbranch_execz .LBB341_33
; %bb.26:                               ;   in Loop: Header=BB341_16 Depth=1
	v_bfrev_b32_e32 v26, 1
	s_mov_b32 s50, exec_lo
	v_cmpx_ne_u16_e32 0x80, v1
	s_cbranch_execz .LBB341_32
; %bb.27:                               ;   in Loop: Header=BB341_16 Depth=1
	v_and_b32_e32 v27, 0xffff, v1
	v_mov_b32_e32 v26, 0x7fc02000
	s_mov_b32 s51, exec_lo
	s_delay_alu instid0(VALU_DEP_2) | instskip(NEXT) | instid1(VALU_DEP_1)
	v_and_b32_e32 v28, 0x7f, v27
	v_cmpx_ne_u32_e32 0x7f, v28
	s_cbranch_execz .LBB341_31
; %bb.28:                               ;   in Loop: Header=BB341_16 Depth=1
	v_and_b32_e32 v1, 7, v27
	v_lshrrev_b32_e32 v26, 3, v28
	s_mov_b32 s52, exec_lo
	v_cmpx_gt_u32_e32 8, v28
; %bb.29:                               ;   in Loop: Header=BB341_16 Depth=1
	s_delay_alu instid0(VALU_DEP_3) | instskip(NEXT) | instid1(VALU_DEP_1)
	v_clz_i32_u32_e32 v26, v1
	v_min_u32_e32 v26, 32, v26
	s_delay_alu instid0(VALU_DEP_1) | instskip(SKIP_1) | instid1(VALU_DEP_2)
	v_subrev_nc_u32_e32 v28, 28, v26
	v_sub_nc_u32_e32 v26, 29, v26
	v_lshlrev_b64 v[28:29], v28, v[1:2]
	s_delay_alu instid0(VALU_DEP_1)
	v_and_b32_e32 v1, 7, v28
; %bb.30:                               ;   in Loop: Header=BB341_16 Depth=1
	s_or_b32 exec_lo, exec_lo, s52
	v_lshlrev_b32_e32 v27, 8, v27
	v_lshl_add_u32 v26, v26, 10, 0x2000
	s_delay_alu instid0(VALU_DEP_1) | instskip(NEXT) | instid1(VALU_DEP_1)
	v_and_or_b32 v26, 0x8000, v27, v26
	v_lshl_or_b32 v1, v1, 7, v26
	s_delay_alu instid0(VALU_DEP_1)
	v_cvt_f32_f16_e32 v26, v1
.LBB341_31:                             ;   in Loop: Header=BB341_16 Depth=1
	s_or_b32 exec_lo, exec_lo, s51
.LBB341_32:                             ;   in Loop: Header=BB341_16 Depth=1
	s_delay_alu instid0(SALU_CYCLE_1)
	s_or_b32 exec_lo, exec_lo, s50
.LBB341_33:                             ;   in Loop: Header=BB341_16 Depth=1
	s_delay_alu instid0(SALU_CYCLE_1) | instskip(SKIP_3) | instid1(VALU_DEP_2)
	s_or_b32 exec_lo, exec_lo, s49
	v_lshrrev_b32_e32 v29, 16, v11
	v_mov_b32_e32 v27, 0
	s_mov_b32 s49, exec_lo
	v_dual_mov_b32 v28, 0 :: v_dual_and_b32 v1, 0xff, v29
	s_delay_alu instid0(VALU_DEP_1)
	v_cmpx_ne_u16_e32 0, v1
	s_cbranch_execz .LBB341_41
; %bb.34:                               ;   in Loop: Header=BB341_16 Depth=1
	v_bfrev_b32_e32 v27, 1
	s_mov_b32 s50, exec_lo
	v_cmpx_ne_u16_e32 0x80, v1
	s_cbranch_execz .LBB341_40
; %bb.35:                               ;   in Loop: Header=BB341_16 Depth=1
	v_bfe_u32 v30, v11, 16, 7
	v_mov_b32_e32 v27, 0x7fc02000
	s_mov_b32 s51, exec_lo
	s_delay_alu instid0(VALU_DEP_2)
	v_cmpx_ne_u32_e32 0x7f, v30
	s_cbranch_execz .LBB341_39
; %bb.36:                               ;   in Loop: Header=BB341_16 Depth=1
	v_and_b32_e32 v1, 7, v29
	v_lshrrev_b32_e32 v27, 3, v30
	s_mov_b32 s52, exec_lo
	v_cmpx_gt_u32_e32 8, v30
; %bb.37:                               ;   in Loop: Header=BB341_16 Depth=1
	s_delay_alu instid0(VALU_DEP_3) | instskip(NEXT) | instid1(VALU_DEP_1)
	v_clz_i32_u32_e32 v27, v1
	v_min_u32_e32 v27, 32, v27
	s_delay_alu instid0(VALU_DEP_1) | instskip(SKIP_1) | instid1(VALU_DEP_2)
	v_subrev_nc_u32_e32 v30, 28, v27
	v_sub_nc_u32_e32 v27, 29, v27
	v_lshlrev_b64 v[30:31], v30, v[1:2]
	s_delay_alu instid0(VALU_DEP_1)
	v_and_b32_e32 v1, 7, v30
; %bb.38:                               ;   in Loop: Header=BB341_16 Depth=1
	s_or_b32 exec_lo, exec_lo, s52
	v_lshlrev_b32_e32 v29, 8, v29
	v_lshl_add_u32 v27, v27, 10, 0x2000
	s_delay_alu instid0(VALU_DEP_1) | instskip(NEXT) | instid1(VALU_DEP_1)
	v_and_or_b32 v27, 0x8000, v29, v27
	v_lshl_or_b32 v1, v1, 7, v27
	s_delay_alu instid0(VALU_DEP_1)
	v_cvt_f32_f16_e32 v27, v1
.LBB341_39:                             ;   in Loop: Header=BB341_16 Depth=1
	s_or_b32 exec_lo, exec_lo, s51
.LBB341_40:                             ;   in Loop: Header=BB341_16 Depth=1
	s_delay_alu instid0(SALU_CYCLE_1)
	s_or_b32 exec_lo, exec_lo, s50
.LBB341_41:                             ;   in Loop: Header=BB341_16 Depth=1
	s_delay_alu instid0(SALU_CYCLE_1) | instskip(NEXT) | instid1(SALU_CYCLE_1)
	s_or_b32 exec_lo, exec_lo, s49
	s_mov_b32 s49, exec_lo
	v_cmpx_lt_u32_e32 0xffffff, v11
	s_cbranch_execz .LBB341_49
; %bb.42:                               ;   in Loop: Header=BB341_16 Depth=1
	v_lshrrev_b32_e32 v29, 24, v11
	v_bfrev_b32_e32 v28, 1
	s_mov_b32 s50, exec_lo
	s_delay_alu instid0(VALU_DEP_2)
	v_cmpx_ne_u32_e32 0x80, v29
	s_cbranch_execz .LBB341_48
; %bb.43:                               ;   in Loop: Header=BB341_16 Depth=1
	v_and_b32_e32 v30, 0x7f, v29
	v_mov_b32_e32 v28, 0x7fc02000
	s_mov_b32 s51, exec_lo
	s_delay_alu instid0(VALU_DEP_2)
	v_cmpx_ne_u32_e32 0x7f, v30
	s_cbranch_execz .LBB341_47
; %bb.44:                               ;   in Loop: Header=BB341_16 Depth=1
	v_and_b32_e32 v1, 7, v29
	v_lshrrev_b32_e32 v28, 3, v30
	s_mov_b32 s52, exec_lo
	v_cmpx_gt_u32_e32 8, v30
; %bb.45:                               ;   in Loop: Header=BB341_16 Depth=1
	s_delay_alu instid0(VALU_DEP_3) | instskip(NEXT) | instid1(VALU_DEP_1)
	v_clz_i32_u32_e32 v28, v1
	v_min_u32_e32 v28, 32, v28
	s_delay_alu instid0(VALU_DEP_1) | instskip(SKIP_1) | instid1(VALU_DEP_2)
	v_subrev_nc_u32_e32 v30, 28, v28
	v_sub_nc_u32_e32 v28, 29, v28
	v_lshlrev_b64 v[30:31], v30, v[1:2]
	s_delay_alu instid0(VALU_DEP_1)
	v_and_b32_e32 v1, 7, v30
; %bb.46:                               ;   in Loop: Header=BB341_16 Depth=1
	s_or_b32 exec_lo, exec_lo, s52
	v_lshlrev_b32_e32 v29, 8, v29
	v_lshl_add_u32 v28, v28, 10, 0x2000
	s_delay_alu instid0(VALU_DEP_1) | instskip(NEXT) | instid1(VALU_DEP_1)
	v_and_or_b32 v28, 0x8000, v29, v28
	v_lshl_or_b32 v1, v1, 7, v28
	s_delay_alu instid0(VALU_DEP_1)
	v_cvt_f32_f16_e32 v28, v1
.LBB341_47:                             ;   in Loop: Header=BB341_16 Depth=1
	s_or_b32 exec_lo, exec_lo, s51
.LBB341_48:                             ;   in Loop: Header=BB341_16 Depth=1
	s_delay_alu instid0(SALU_CYCLE_1)
	s_or_b32 exec_lo, exec_lo, s50
.LBB341_49:                             ;   in Loop: Header=BB341_16 Depth=1
	s_delay_alu instid0(SALU_CYCLE_1) | instskip(SKIP_4) | instid1(VALU_DEP_3)
	s_or_b32 exec_lo, exec_lo, s49
	v_dual_mov_b32 v30, 0 :: v_dual_and_b32 v31, 0xff, v12
	v_mov_b32_e32 v1, v12
	v_mov_b32_e32 v29, 0
	s_mov_b32 s49, exec_lo
	v_cmpx_ne_u16_e32 0, v31
	s_cbranch_execz .LBB341_55
; %bb.50:                               ;   in Loop: Header=BB341_16 Depth=1
	v_bfrev_b32_e32 v29, 1
	s_mov_b32 s50, exec_lo
	v_cmpx_ne_u16_e32 0x80, v31
	s_cbranch_execz .LBB341_54
; %bb.51:                               ;   in Loop: Header=BB341_16 Depth=1
	v_and_b32_e32 v31, 0x7f, v12
	v_mov_b32_e32 v29, 0x7fc02000
	s_mov_b32 s51, exec_lo
	s_delay_alu instid0(VALU_DEP_2)
	v_cmpx_ne_u32_e32 0x7f, v31
	s_cbranch_execz .LBB341_53
; %bb.52:                               ;   in Loop: Header=BB341_16 Depth=1
	v_and_b32_e32 v29, 7, v12
	v_cmp_gt_u32_e64 s0, 8, v31
	v_lshrrev_b32_e32 v32, 3, v31
	s_delay_alu instid0(VALU_DEP_3) | instskip(NEXT) | instid1(VALU_DEP_1)
	v_clz_i32_u32_e32 v29, v29
	v_min_u32_e32 v29, 32, v29
	s_delay_alu instid0(VALU_DEP_1) | instskip(SKIP_1) | instid1(VALU_DEP_2)
	v_subrev_nc_u32_e32 v33, 28, v29
	v_sub_nc_u32_e32 v29, 29, v29
	v_cndmask_b32_e64 v31, 0, v33, s0
	s_delay_alu instid0(VALU_DEP_2) | instskip(NEXT) | instid1(VALU_DEP_2)
	v_cndmask_b32_e64 v29, v32, v29, s0
	v_lshlrev_b64 v[31:32], v31, v[1:2]
	v_lshlrev_b32_e32 v32, 8, v12
	s_delay_alu instid0(VALU_DEP_3) | instskip(NEXT) | instid1(VALU_DEP_3)
	v_lshl_add_u32 v29, v29, 10, 0x2000
	v_lshlrev_b32_e32 v31, 7, v31
	s_delay_alu instid0(VALU_DEP_2) | instskip(NEXT) | instid1(VALU_DEP_1)
	v_and_or_b32 v29, 0x8000, v32, v29
	v_and_or_b32 v29, 0x380, v31, v29
	s_delay_alu instid0(VALU_DEP_1)
	v_cvt_f32_f16_e32 v29, v29
.LBB341_53:                             ;   in Loop: Header=BB341_16 Depth=1
	s_or_b32 exec_lo, exec_lo, s51
.LBB341_54:                             ;   in Loop: Header=BB341_16 Depth=1
	s_delay_alu instid0(SALU_CYCLE_1)
	s_or_b32 exec_lo, exec_lo, s50
.LBB341_55:                             ;   in Loop: Header=BB341_16 Depth=1
	s_delay_alu instid0(SALU_CYCLE_1) | instskip(SKIP_2) | instid1(VALU_DEP_1)
	s_or_b32 exec_lo, exec_lo, s49
	v_lshrrev_b16 v1, 8, v1
	s_mov_b32 s49, exec_lo
	v_cmpx_ne_u16_e32 0, v1
	s_cbranch_execz .LBB341_63
; %bb.56:                               ;   in Loop: Header=BB341_16 Depth=1
	v_bfrev_b32_e32 v30, 1
	s_mov_b32 s50, exec_lo
	v_cmpx_ne_u16_e32 0x80, v1
	s_cbranch_execz .LBB341_62
; %bb.57:                               ;   in Loop: Header=BB341_16 Depth=1
	v_and_b32_e32 v31, 0xffff, v1
	v_mov_b32_e32 v30, 0x7fc02000
	s_mov_b32 s51, exec_lo
	s_delay_alu instid0(VALU_DEP_2) | instskip(NEXT) | instid1(VALU_DEP_1)
	v_and_b32_e32 v32, 0x7f, v31
	v_cmpx_ne_u32_e32 0x7f, v32
	s_cbranch_execz .LBB341_61
; %bb.58:                               ;   in Loop: Header=BB341_16 Depth=1
	v_and_b32_e32 v1, 7, v31
	v_lshrrev_b32_e32 v30, 3, v32
	s_mov_b32 s52, exec_lo
	v_cmpx_gt_u32_e32 8, v32
; %bb.59:                               ;   in Loop: Header=BB341_16 Depth=1
	s_delay_alu instid0(VALU_DEP_3) | instskip(NEXT) | instid1(VALU_DEP_1)
	v_clz_i32_u32_e32 v30, v1
	v_min_u32_e32 v30, 32, v30
	s_delay_alu instid0(VALU_DEP_1) | instskip(SKIP_1) | instid1(VALU_DEP_2)
	v_subrev_nc_u32_e32 v32, 28, v30
	v_sub_nc_u32_e32 v30, 29, v30
	v_lshlrev_b64 v[32:33], v32, v[1:2]
	s_delay_alu instid0(VALU_DEP_1)
	v_and_b32_e32 v1, 7, v32
; %bb.60:                               ;   in Loop: Header=BB341_16 Depth=1
	s_or_b32 exec_lo, exec_lo, s52
	v_lshlrev_b32_e32 v31, 8, v31
	v_lshl_add_u32 v30, v30, 10, 0x2000
	s_delay_alu instid0(VALU_DEP_1) | instskip(NEXT) | instid1(VALU_DEP_1)
	v_and_or_b32 v30, 0x8000, v31, v30
	v_lshl_or_b32 v1, v1, 7, v30
	s_delay_alu instid0(VALU_DEP_1)
	v_cvt_f32_f16_e32 v30, v1
.LBB341_61:                             ;   in Loop: Header=BB341_16 Depth=1
	s_or_b32 exec_lo, exec_lo, s51
.LBB341_62:                             ;   in Loop: Header=BB341_16 Depth=1
	s_delay_alu instid0(SALU_CYCLE_1)
	s_or_b32 exec_lo, exec_lo, s50
.LBB341_63:                             ;   in Loop: Header=BB341_16 Depth=1
	s_delay_alu instid0(SALU_CYCLE_1) | instskip(SKIP_3) | instid1(VALU_DEP_2)
	s_or_b32 exec_lo, exec_lo, s49
	v_lshrrev_b32_e32 v33, 16, v12
	v_mov_b32_e32 v31, 0
	s_mov_b32 s49, exec_lo
	v_dual_mov_b32 v32, 0 :: v_dual_and_b32 v1, 0xff, v33
	s_delay_alu instid0(VALU_DEP_1)
	v_cmpx_ne_u16_e32 0, v1
	s_cbranch_execz .LBB341_71
; %bb.64:                               ;   in Loop: Header=BB341_16 Depth=1
	v_bfrev_b32_e32 v32, 1
	s_mov_b32 s50, exec_lo
	v_cmpx_ne_u16_e32 0x80, v1
	s_cbranch_execz .LBB341_70
; %bb.65:                               ;   in Loop: Header=BB341_16 Depth=1
	v_bfe_u32 v34, v12, 16, 7
	v_mov_b32_e32 v32, 0x7fc02000
	s_mov_b32 s51, exec_lo
	s_delay_alu instid0(VALU_DEP_2)
	v_cmpx_ne_u32_e32 0x7f, v34
	s_cbranch_execz .LBB341_69
; %bb.66:                               ;   in Loop: Header=BB341_16 Depth=1
	v_and_b32_e32 v1, 7, v33
	v_lshrrev_b32_e32 v32, 3, v34
	s_mov_b32 s52, exec_lo
	v_cmpx_gt_u32_e32 8, v34
; %bb.67:                               ;   in Loop: Header=BB341_16 Depth=1
	s_delay_alu instid0(VALU_DEP_3) | instskip(NEXT) | instid1(VALU_DEP_1)
	v_clz_i32_u32_e32 v32, v1
	v_min_u32_e32 v32, 32, v32
	s_delay_alu instid0(VALU_DEP_1) | instskip(SKIP_1) | instid1(VALU_DEP_2)
	v_subrev_nc_u32_e32 v34, 28, v32
	v_sub_nc_u32_e32 v32, 29, v32
	v_lshlrev_b64 v[34:35], v34, v[1:2]
	s_delay_alu instid0(VALU_DEP_1)
	v_and_b32_e32 v1, 7, v34
; %bb.68:                               ;   in Loop: Header=BB341_16 Depth=1
	s_or_b32 exec_lo, exec_lo, s52
	v_lshlrev_b32_e32 v33, 8, v33
	v_lshl_add_u32 v32, v32, 10, 0x2000
	s_delay_alu instid0(VALU_DEP_1) | instskip(NEXT) | instid1(VALU_DEP_1)
	v_and_or_b32 v32, 0x8000, v33, v32
	v_lshl_or_b32 v1, v1, 7, v32
	s_delay_alu instid0(VALU_DEP_1)
	v_cvt_f32_f16_e32 v32, v1
.LBB341_69:                             ;   in Loop: Header=BB341_16 Depth=1
	s_or_b32 exec_lo, exec_lo, s51
.LBB341_70:                             ;   in Loop: Header=BB341_16 Depth=1
	s_delay_alu instid0(SALU_CYCLE_1)
	s_or_b32 exec_lo, exec_lo, s50
.LBB341_71:                             ;   in Loop: Header=BB341_16 Depth=1
	s_delay_alu instid0(SALU_CYCLE_1) | instskip(NEXT) | instid1(SALU_CYCLE_1)
	s_or_b32 exec_lo, exec_lo, s49
	s_mov_b32 s49, exec_lo
	v_cmpx_lt_u64_e64 s[10:11], v[11:12]
	s_cbranch_execz .LBB341_79
; %bb.72:                               ;   in Loop: Header=BB341_16 Depth=1
	v_lshrrev_b32_e32 v11, 24, v12
	v_bfrev_b32_e32 v31, 1
	s_mov_b32 s50, exec_lo
	s_delay_alu instid0(VALU_DEP_2)
	v_cmpx_ne_u32_e32 0x80, v11
	s_cbranch_execz .LBB341_78
; %bb.73:                               ;   in Loop: Header=BB341_16 Depth=1
	v_and_b32_e32 v33, 0x7f, v11
	v_mov_b32_e32 v31, 0x7fc02000
	s_mov_b32 s51, exec_lo
	s_delay_alu instid0(VALU_DEP_2)
	v_cmpx_ne_u32_e32 0x7f, v33
	s_cbranch_execz .LBB341_77
; %bb.74:                               ;   in Loop: Header=BB341_16 Depth=1
	v_and_b32_e32 v1, 7, v11
	v_lshrrev_b32_e32 v12, 3, v33
	s_mov_b32 s52, exec_lo
	v_cmpx_gt_u32_e32 8, v33
; %bb.75:                               ;   in Loop: Header=BB341_16 Depth=1
	s_delay_alu instid0(VALU_DEP_3) | instskip(NEXT) | instid1(VALU_DEP_1)
	v_clz_i32_u32_e32 v12, v1
	v_min_u32_e32 v12, 32, v12
	s_delay_alu instid0(VALU_DEP_1) | instskip(SKIP_1) | instid1(VALU_DEP_2)
	v_subrev_nc_u32_e32 v31, 28, v12
	v_sub_nc_u32_e32 v12, 29, v12
	v_lshlrev_b64 v[33:34], v31, v[1:2]
	s_delay_alu instid0(VALU_DEP_1)
	v_and_b32_e32 v1, 7, v33
; %bb.76:                               ;   in Loop: Header=BB341_16 Depth=1
	s_or_b32 exec_lo, exec_lo, s52
	v_lshlrev_b32_e32 v11, 8, v11
	v_lshl_add_u32 v12, v12, 10, 0x2000
	s_delay_alu instid0(VALU_DEP_1) | instskip(NEXT) | instid1(VALU_DEP_1)
	v_and_or_b32 v11, 0x8000, v11, v12
	v_lshl_or_b32 v1, v1, 7, v11
	s_delay_alu instid0(VALU_DEP_1)
	v_cvt_f32_f16_e32 v31, v1
.LBB341_77:                             ;   in Loop: Header=BB341_16 Depth=1
	s_or_b32 exec_lo, exec_lo, s51
.LBB341_78:                             ;   in Loop: Header=BB341_16 Depth=1
	s_delay_alu instid0(SALU_CYCLE_1)
	s_or_b32 exec_lo, exec_lo, s50
.LBB341_79:                             ;   in Loop: Header=BB341_16 Depth=1
	s_delay_alu instid0(SALU_CYCLE_1)
	s_or_b32 exec_lo, exec_lo, s49
	global_load_b64 v[11:12], v[9:10], off offset:8
	v_mov_b32_e32 v33, 0
	s_mov_b32 s49, exec_lo
	s_waitcnt vmcnt(0)
	v_dual_mov_b32 v34, 0 :: v_dual_and_b32 v1, 0xff, v11
	s_delay_alu instid0(VALU_DEP_1)
	v_cmpx_ne_u16_e32 0, v1
	s_cbranch_execz .LBB341_85
; %bb.80:                               ;   in Loop: Header=BB341_16 Depth=1
	v_bfrev_b32_e32 v33, 1
	s_mov_b32 s50, exec_lo
	v_cmpx_ne_u16_e32 0x80, v1
	s_cbranch_execz .LBB341_84
; %bb.81:                               ;   in Loop: Header=BB341_16 Depth=1
	v_and_b32_e32 v1, 0x7f, v11
	v_mov_b32_e32 v33, 0x7fc02000
	s_mov_b32 s51, exec_lo
	s_delay_alu instid0(VALU_DEP_2)
	v_cmpx_ne_u32_e32 0x7f, v1
	s_cbranch_execz .LBB341_83
; %bb.82:                               ;   in Loop: Header=BB341_16 Depth=1
	v_and_b32_e32 v33, 7, v11
	v_cmp_gt_u32_e64 s0, 8, v1
	v_lshrrev_b32_e32 v35, 3, v1
	s_delay_alu instid0(VALU_DEP_3) | instskip(NEXT) | instid1(VALU_DEP_1)
	v_clz_i32_u32_e32 v33, v33
	v_min_u32_e32 v33, 32, v33
	s_delay_alu instid0(VALU_DEP_1) | instskip(SKIP_1) | instid1(VALU_DEP_2)
	v_subrev_nc_u32_e32 v36, 28, v33
	v_sub_nc_u32_e32 v33, 29, v33
	v_cndmask_b32_e64 v1, 0, v36, s0
	s_delay_alu instid0(VALU_DEP_2) | instskip(NEXT) | instid1(VALU_DEP_2)
	v_cndmask_b32_e64 v33, v35, v33, s0
	v_lshlrev_b64 v[35:36], v1, v[11:12]
	v_lshlrev_b32_e32 v1, 8, v11
	s_delay_alu instid0(VALU_DEP_3) | instskip(NEXT) | instid1(VALU_DEP_3)
	v_lshl_add_u32 v33, v33, 10, 0x2000
	v_lshlrev_b32_e32 v35, 7, v35
	s_delay_alu instid0(VALU_DEP_2) | instskip(NEXT) | instid1(VALU_DEP_1)
	v_and_or_b32 v1, 0x8000, v1, v33
	v_and_or_b32 v1, 0x380, v35, v1
	s_delay_alu instid0(VALU_DEP_1)
	v_cvt_f32_f16_e32 v33, v1
.LBB341_83:                             ;   in Loop: Header=BB341_16 Depth=1
	s_or_b32 exec_lo, exec_lo, s51
.LBB341_84:                             ;   in Loop: Header=BB341_16 Depth=1
	s_delay_alu instid0(SALU_CYCLE_1)
	s_or_b32 exec_lo, exec_lo, s50
.LBB341_85:                             ;   in Loop: Header=BB341_16 Depth=1
	s_delay_alu instid0(SALU_CYCLE_1) | instskip(SKIP_2) | instid1(VALU_DEP_1)
	s_or_b32 exec_lo, exec_lo, s49
	v_lshrrev_b16 v1, 8, v11
	s_mov_b32 s49, exec_lo
	v_cmpx_ne_u16_e32 0, v1
	s_cbranch_execz .LBB341_93
; %bb.86:                               ;   in Loop: Header=BB341_16 Depth=1
	v_bfrev_b32_e32 v34, 1
	s_mov_b32 s50, exec_lo
	v_cmpx_ne_u16_e32 0x80, v1
	s_cbranch_execz .LBB341_92
; %bb.87:                               ;   in Loop: Header=BB341_16 Depth=1
	v_and_b32_e32 v35, 0xffff, v1
	v_mov_b32_e32 v34, 0x7fc02000
	s_mov_b32 s51, exec_lo
	s_delay_alu instid0(VALU_DEP_2) | instskip(NEXT) | instid1(VALU_DEP_1)
	v_and_b32_e32 v36, 0x7f, v35
	v_cmpx_ne_u32_e32 0x7f, v36
	s_cbranch_execz .LBB341_91
; %bb.88:                               ;   in Loop: Header=BB341_16 Depth=1
	v_and_b32_e32 v1, 7, v35
	v_lshrrev_b32_e32 v34, 3, v36
	s_mov_b32 s52, exec_lo
	v_cmpx_gt_u32_e32 8, v36
; %bb.89:                               ;   in Loop: Header=BB341_16 Depth=1
	s_delay_alu instid0(VALU_DEP_3) | instskip(NEXT) | instid1(VALU_DEP_1)
	v_clz_i32_u32_e32 v34, v1
	v_min_u32_e32 v34, 32, v34
	s_delay_alu instid0(VALU_DEP_1) | instskip(SKIP_1) | instid1(VALU_DEP_2)
	v_subrev_nc_u32_e32 v36, 28, v34
	v_sub_nc_u32_e32 v34, 29, v34
	v_lshlrev_b64 v[36:37], v36, v[1:2]
	s_delay_alu instid0(VALU_DEP_1)
	v_and_b32_e32 v1, 7, v36
; %bb.90:                               ;   in Loop: Header=BB341_16 Depth=1
	s_or_b32 exec_lo, exec_lo, s52
	v_lshlrev_b32_e32 v35, 8, v35
	v_lshl_add_u32 v34, v34, 10, 0x2000
	s_delay_alu instid0(VALU_DEP_1) | instskip(NEXT) | instid1(VALU_DEP_1)
	v_and_or_b32 v34, 0x8000, v35, v34
	v_lshl_or_b32 v1, v1, 7, v34
	s_delay_alu instid0(VALU_DEP_1)
	v_cvt_f32_f16_e32 v34, v1
.LBB341_91:                             ;   in Loop: Header=BB341_16 Depth=1
	s_or_b32 exec_lo, exec_lo, s51
.LBB341_92:                             ;   in Loop: Header=BB341_16 Depth=1
	s_delay_alu instid0(SALU_CYCLE_1)
	s_or_b32 exec_lo, exec_lo, s50
.LBB341_93:                             ;   in Loop: Header=BB341_16 Depth=1
	s_delay_alu instid0(SALU_CYCLE_1) | instskip(SKIP_3) | instid1(VALU_DEP_2)
	s_or_b32 exec_lo, exec_lo, s49
	v_lshrrev_b32_e32 v37, 16, v11
	v_mov_b32_e32 v35, 0
	s_mov_b32 s49, exec_lo
	v_dual_mov_b32 v36, 0 :: v_dual_and_b32 v1, 0xff, v37
	s_delay_alu instid0(VALU_DEP_1)
	v_cmpx_ne_u16_e32 0, v1
	s_cbranch_execz .LBB341_101
; %bb.94:                               ;   in Loop: Header=BB341_16 Depth=1
	v_bfrev_b32_e32 v35, 1
	s_mov_b32 s50, exec_lo
	v_cmpx_ne_u16_e32 0x80, v1
	s_cbranch_execz .LBB341_100
; %bb.95:                               ;   in Loop: Header=BB341_16 Depth=1
	v_bfe_u32 v38, v11, 16, 7
	v_mov_b32_e32 v35, 0x7fc02000
	s_mov_b32 s51, exec_lo
	s_delay_alu instid0(VALU_DEP_2)
	v_cmpx_ne_u32_e32 0x7f, v38
	s_cbranch_execz .LBB341_99
; %bb.96:                               ;   in Loop: Header=BB341_16 Depth=1
	v_and_b32_e32 v1, 7, v37
	v_lshrrev_b32_e32 v35, 3, v38
	s_mov_b32 s52, exec_lo
	v_cmpx_gt_u32_e32 8, v38
; %bb.97:                               ;   in Loop: Header=BB341_16 Depth=1
	s_delay_alu instid0(VALU_DEP_3) | instskip(NEXT) | instid1(VALU_DEP_1)
	v_clz_i32_u32_e32 v35, v1
	v_min_u32_e32 v35, 32, v35
	s_delay_alu instid0(VALU_DEP_1) | instskip(SKIP_1) | instid1(VALU_DEP_2)
	v_subrev_nc_u32_e32 v38, 28, v35
	v_sub_nc_u32_e32 v35, 29, v35
	v_lshlrev_b64 v[38:39], v38, v[1:2]
	s_delay_alu instid0(VALU_DEP_1)
	v_and_b32_e32 v1, 7, v38
; %bb.98:                               ;   in Loop: Header=BB341_16 Depth=1
	s_or_b32 exec_lo, exec_lo, s52
	v_lshlrev_b32_e32 v37, 8, v37
	v_lshl_add_u32 v35, v35, 10, 0x2000
	s_delay_alu instid0(VALU_DEP_1) | instskip(NEXT) | instid1(VALU_DEP_1)
	v_and_or_b32 v35, 0x8000, v37, v35
	v_lshl_or_b32 v1, v1, 7, v35
	s_delay_alu instid0(VALU_DEP_1)
	v_cvt_f32_f16_e32 v35, v1
.LBB341_99:                             ;   in Loop: Header=BB341_16 Depth=1
	s_or_b32 exec_lo, exec_lo, s51
.LBB341_100:                            ;   in Loop: Header=BB341_16 Depth=1
	s_delay_alu instid0(SALU_CYCLE_1)
	s_or_b32 exec_lo, exec_lo, s50
.LBB341_101:                            ;   in Loop: Header=BB341_16 Depth=1
	s_delay_alu instid0(SALU_CYCLE_1) | instskip(NEXT) | instid1(SALU_CYCLE_1)
	s_or_b32 exec_lo, exec_lo, s49
	s_mov_b32 s49, exec_lo
	v_cmpx_lt_u32_e32 0xffffff, v11
	s_cbranch_execz .LBB341_109
; %bb.102:                              ;   in Loop: Header=BB341_16 Depth=1
	v_lshrrev_b32_e32 v37, 24, v11
	v_bfrev_b32_e32 v36, 1
	s_mov_b32 s50, exec_lo
	s_delay_alu instid0(VALU_DEP_2)
	v_cmpx_ne_u32_e32 0x80, v37
	s_cbranch_execz .LBB341_108
; %bb.103:                              ;   in Loop: Header=BB341_16 Depth=1
	v_and_b32_e32 v38, 0x7f, v37
	v_mov_b32_e32 v36, 0x7fc02000
	s_mov_b32 s51, exec_lo
	s_delay_alu instid0(VALU_DEP_2)
	v_cmpx_ne_u32_e32 0x7f, v38
	s_cbranch_execz .LBB341_107
; %bb.104:                              ;   in Loop: Header=BB341_16 Depth=1
	v_and_b32_e32 v1, 7, v37
	v_lshrrev_b32_e32 v36, 3, v38
	s_mov_b32 s52, exec_lo
	v_cmpx_gt_u32_e32 8, v38
; %bb.105:                              ;   in Loop: Header=BB341_16 Depth=1
	s_delay_alu instid0(VALU_DEP_3) | instskip(NEXT) | instid1(VALU_DEP_1)
	v_clz_i32_u32_e32 v36, v1
	v_min_u32_e32 v36, 32, v36
	s_delay_alu instid0(VALU_DEP_1) | instskip(SKIP_1) | instid1(VALU_DEP_2)
	v_subrev_nc_u32_e32 v38, 28, v36
	v_sub_nc_u32_e32 v36, 29, v36
	v_lshlrev_b64 v[38:39], v38, v[1:2]
	s_delay_alu instid0(VALU_DEP_1)
	v_and_b32_e32 v1, 7, v38
; %bb.106:                              ;   in Loop: Header=BB341_16 Depth=1
	s_or_b32 exec_lo, exec_lo, s52
	v_lshlrev_b32_e32 v37, 8, v37
	v_lshl_add_u32 v36, v36, 10, 0x2000
	s_delay_alu instid0(VALU_DEP_1) | instskip(NEXT) | instid1(VALU_DEP_1)
	v_and_or_b32 v36, 0x8000, v37, v36
	v_lshl_or_b32 v1, v1, 7, v36
	s_delay_alu instid0(VALU_DEP_1)
	v_cvt_f32_f16_e32 v36, v1
.LBB341_107:                            ;   in Loop: Header=BB341_16 Depth=1
	s_or_b32 exec_lo, exec_lo, s51
.LBB341_108:                            ;   in Loop: Header=BB341_16 Depth=1
	s_delay_alu instid0(SALU_CYCLE_1)
	s_or_b32 exec_lo, exec_lo, s50
.LBB341_109:                            ;   in Loop: Header=BB341_16 Depth=1
	s_delay_alu instid0(SALU_CYCLE_1) | instskip(SKIP_4) | instid1(VALU_DEP_3)
	s_or_b32 exec_lo, exec_lo, s49
	v_dual_mov_b32 v38, 0 :: v_dual_and_b32 v39, 0xff, v12
	v_mov_b32_e32 v1, v12
	v_mov_b32_e32 v37, 0
	s_mov_b32 s49, exec_lo
	v_cmpx_ne_u16_e32 0, v39
	s_cbranch_execz .LBB341_115
; %bb.110:                              ;   in Loop: Header=BB341_16 Depth=1
	v_bfrev_b32_e32 v37, 1
	s_mov_b32 s50, exec_lo
	v_cmpx_ne_u16_e32 0x80, v39
	s_cbranch_execz .LBB341_114
; %bb.111:                              ;   in Loop: Header=BB341_16 Depth=1
	v_and_b32_e32 v39, 0x7f, v12
	v_mov_b32_e32 v37, 0x7fc02000
	s_mov_b32 s51, exec_lo
	s_delay_alu instid0(VALU_DEP_2)
	v_cmpx_ne_u32_e32 0x7f, v39
	s_cbranch_execz .LBB341_113
; %bb.112:                              ;   in Loop: Header=BB341_16 Depth=1
	v_and_b32_e32 v37, 7, v12
	v_cmp_gt_u32_e64 s0, 8, v39
	v_lshrrev_b32_e32 v40, 3, v39
	s_delay_alu instid0(VALU_DEP_3) | instskip(NEXT) | instid1(VALU_DEP_1)
	v_clz_i32_u32_e32 v37, v37
	v_min_u32_e32 v37, 32, v37
	s_delay_alu instid0(VALU_DEP_1) | instskip(SKIP_1) | instid1(VALU_DEP_2)
	v_subrev_nc_u32_e32 v41, 28, v37
	v_sub_nc_u32_e32 v37, 29, v37
	v_cndmask_b32_e64 v39, 0, v41, s0
	s_delay_alu instid0(VALU_DEP_2) | instskip(NEXT) | instid1(VALU_DEP_2)
	v_cndmask_b32_e64 v37, v40, v37, s0
	v_lshlrev_b64 v[39:40], v39, v[1:2]
	v_lshlrev_b32_e32 v40, 8, v12
	s_delay_alu instid0(VALU_DEP_3) | instskip(NEXT) | instid1(VALU_DEP_3)
	v_lshl_add_u32 v37, v37, 10, 0x2000
	v_lshlrev_b32_e32 v39, 7, v39
	s_delay_alu instid0(VALU_DEP_2) | instskip(NEXT) | instid1(VALU_DEP_1)
	v_and_or_b32 v37, 0x8000, v40, v37
	v_and_or_b32 v37, 0x380, v39, v37
	s_delay_alu instid0(VALU_DEP_1)
	v_cvt_f32_f16_e32 v37, v37
.LBB341_113:                            ;   in Loop: Header=BB341_16 Depth=1
	s_or_b32 exec_lo, exec_lo, s51
.LBB341_114:                            ;   in Loop: Header=BB341_16 Depth=1
	s_delay_alu instid0(SALU_CYCLE_1)
	s_or_b32 exec_lo, exec_lo, s50
.LBB341_115:                            ;   in Loop: Header=BB341_16 Depth=1
	s_delay_alu instid0(SALU_CYCLE_1) | instskip(SKIP_2) | instid1(VALU_DEP_1)
	s_or_b32 exec_lo, exec_lo, s49
	v_lshrrev_b16 v1, 8, v1
	s_mov_b32 s49, exec_lo
	v_cmpx_ne_u16_e32 0, v1
	s_cbranch_execz .LBB341_123
; %bb.116:                              ;   in Loop: Header=BB341_16 Depth=1
	v_bfrev_b32_e32 v38, 1
	s_mov_b32 s50, exec_lo
	v_cmpx_ne_u16_e32 0x80, v1
	s_cbranch_execz .LBB341_122
; %bb.117:                              ;   in Loop: Header=BB341_16 Depth=1
	v_and_b32_e32 v39, 0xffff, v1
	v_mov_b32_e32 v38, 0x7fc02000
	s_mov_b32 s51, exec_lo
	s_delay_alu instid0(VALU_DEP_2) | instskip(NEXT) | instid1(VALU_DEP_1)
	v_and_b32_e32 v40, 0x7f, v39
	v_cmpx_ne_u32_e32 0x7f, v40
	s_cbranch_execz .LBB341_121
; %bb.118:                              ;   in Loop: Header=BB341_16 Depth=1
	v_and_b32_e32 v1, 7, v39
	v_lshrrev_b32_e32 v38, 3, v40
	s_mov_b32 s52, exec_lo
	v_cmpx_gt_u32_e32 8, v40
; %bb.119:                              ;   in Loop: Header=BB341_16 Depth=1
	s_delay_alu instid0(VALU_DEP_3) | instskip(NEXT) | instid1(VALU_DEP_1)
	v_clz_i32_u32_e32 v38, v1
	v_min_u32_e32 v38, 32, v38
	s_delay_alu instid0(VALU_DEP_1) | instskip(SKIP_1) | instid1(VALU_DEP_2)
	v_subrev_nc_u32_e32 v40, 28, v38
	v_sub_nc_u32_e32 v38, 29, v38
	v_lshlrev_b64 v[40:41], v40, v[1:2]
	s_delay_alu instid0(VALU_DEP_1)
	v_and_b32_e32 v1, 7, v40
; %bb.120:                              ;   in Loop: Header=BB341_16 Depth=1
	s_or_b32 exec_lo, exec_lo, s52
	v_lshlrev_b32_e32 v39, 8, v39
	v_lshl_add_u32 v38, v38, 10, 0x2000
	s_delay_alu instid0(VALU_DEP_1) | instskip(NEXT) | instid1(VALU_DEP_1)
	v_and_or_b32 v38, 0x8000, v39, v38
	v_lshl_or_b32 v1, v1, 7, v38
	s_delay_alu instid0(VALU_DEP_1)
	v_cvt_f32_f16_e32 v38, v1
.LBB341_121:                            ;   in Loop: Header=BB341_16 Depth=1
	s_or_b32 exec_lo, exec_lo, s51
.LBB341_122:                            ;   in Loop: Header=BB341_16 Depth=1
	s_delay_alu instid0(SALU_CYCLE_1)
	s_or_b32 exec_lo, exec_lo, s50
.LBB341_123:                            ;   in Loop: Header=BB341_16 Depth=1
	s_delay_alu instid0(SALU_CYCLE_1) | instskip(SKIP_3) | instid1(VALU_DEP_2)
	s_or_b32 exec_lo, exec_lo, s49
	v_lshrrev_b32_e32 v41, 16, v12
	v_mov_b32_e32 v39, 0
	s_mov_b32 s49, exec_lo
	v_dual_mov_b32 v40, 0 :: v_dual_and_b32 v1, 0xff, v41
	s_delay_alu instid0(VALU_DEP_1)
	v_cmpx_ne_u16_e32 0, v1
	s_cbranch_execz .LBB341_131
; %bb.124:                              ;   in Loop: Header=BB341_16 Depth=1
	v_bfrev_b32_e32 v40, 1
	s_mov_b32 s50, exec_lo
	v_cmpx_ne_u16_e32 0x80, v1
	s_cbranch_execz .LBB341_130
; %bb.125:                              ;   in Loop: Header=BB341_16 Depth=1
	v_bfe_u32 v42, v12, 16, 7
	v_mov_b32_e32 v40, 0x7fc02000
	s_mov_b32 s51, exec_lo
	s_delay_alu instid0(VALU_DEP_2)
	v_cmpx_ne_u32_e32 0x7f, v42
	s_cbranch_execz .LBB341_129
; %bb.126:                              ;   in Loop: Header=BB341_16 Depth=1
	v_and_b32_e32 v1, 7, v41
	v_lshrrev_b32_e32 v40, 3, v42
	s_mov_b32 s52, exec_lo
	v_cmpx_gt_u32_e32 8, v42
; %bb.127:                              ;   in Loop: Header=BB341_16 Depth=1
	s_delay_alu instid0(VALU_DEP_3) | instskip(NEXT) | instid1(VALU_DEP_1)
	v_clz_i32_u32_e32 v40, v1
	v_min_u32_e32 v40, 32, v40
	s_delay_alu instid0(VALU_DEP_1) | instskip(SKIP_1) | instid1(VALU_DEP_2)
	v_subrev_nc_u32_e32 v42, 28, v40
	v_sub_nc_u32_e32 v40, 29, v40
	v_lshlrev_b64 v[42:43], v42, v[1:2]
	s_delay_alu instid0(VALU_DEP_1)
	v_and_b32_e32 v1, 7, v42
; %bb.128:                              ;   in Loop: Header=BB341_16 Depth=1
	s_or_b32 exec_lo, exec_lo, s52
	v_lshlrev_b32_e32 v41, 8, v41
	v_lshl_add_u32 v40, v40, 10, 0x2000
	s_delay_alu instid0(VALU_DEP_1) | instskip(NEXT) | instid1(VALU_DEP_1)
	v_and_or_b32 v40, 0x8000, v41, v40
	v_lshl_or_b32 v1, v1, 7, v40
	s_delay_alu instid0(VALU_DEP_1)
	v_cvt_f32_f16_e32 v40, v1
.LBB341_129:                            ;   in Loop: Header=BB341_16 Depth=1
	s_or_b32 exec_lo, exec_lo, s51
.LBB341_130:                            ;   in Loop: Header=BB341_16 Depth=1
	s_delay_alu instid0(SALU_CYCLE_1)
	s_or_b32 exec_lo, exec_lo, s50
.LBB341_131:                            ;   in Loop: Header=BB341_16 Depth=1
	s_delay_alu instid0(SALU_CYCLE_1) | instskip(NEXT) | instid1(SALU_CYCLE_1)
	s_or_b32 exec_lo, exec_lo, s49
	s_mov_b32 s49, exec_lo
	v_cmpx_lt_u64_e64 s[10:11], v[11:12]
	s_cbranch_execz .LBB341_139
; %bb.132:                              ;   in Loop: Header=BB341_16 Depth=1
	v_lshrrev_b32_e32 v11, 24, v12
	v_bfrev_b32_e32 v39, 1
	s_mov_b32 s50, exec_lo
	s_delay_alu instid0(VALU_DEP_2)
	v_cmpx_ne_u32_e32 0x80, v11
	s_cbranch_execz .LBB341_138
; %bb.133:                              ;   in Loop: Header=BB341_16 Depth=1
	v_and_b32_e32 v41, 0x7f, v11
	v_mov_b32_e32 v39, 0x7fc02000
	s_mov_b32 s51, exec_lo
	s_delay_alu instid0(VALU_DEP_2)
	v_cmpx_ne_u32_e32 0x7f, v41
	s_cbranch_execz .LBB341_137
; %bb.134:                              ;   in Loop: Header=BB341_16 Depth=1
	v_and_b32_e32 v1, 7, v11
	v_lshrrev_b32_e32 v12, 3, v41
	s_mov_b32 s52, exec_lo
	v_cmpx_gt_u32_e32 8, v41
; %bb.135:                              ;   in Loop: Header=BB341_16 Depth=1
	s_delay_alu instid0(VALU_DEP_3) | instskip(NEXT) | instid1(VALU_DEP_1)
	v_clz_i32_u32_e32 v12, v1
	v_min_u32_e32 v12, 32, v12
	s_delay_alu instid0(VALU_DEP_1) | instskip(SKIP_1) | instid1(VALU_DEP_2)
	v_subrev_nc_u32_e32 v39, 28, v12
	v_sub_nc_u32_e32 v12, 29, v12
	v_lshlrev_b64 v[41:42], v39, v[1:2]
	s_delay_alu instid0(VALU_DEP_1)
	v_and_b32_e32 v1, 7, v41
; %bb.136:                              ;   in Loop: Header=BB341_16 Depth=1
	s_or_b32 exec_lo, exec_lo, s52
	v_lshlrev_b32_e32 v11, 8, v11
	v_lshl_add_u32 v12, v12, 10, 0x2000
	s_delay_alu instid0(VALU_DEP_1) | instskip(NEXT) | instid1(VALU_DEP_1)
	v_and_or_b32 v11, 0x8000, v11, v12
	v_lshl_or_b32 v1, v1, 7, v11
	s_delay_alu instid0(VALU_DEP_1)
	v_cvt_f32_f16_e32 v39, v1
.LBB341_137:                            ;   in Loop: Header=BB341_16 Depth=1
	s_or_b32 exec_lo, exec_lo, s51
.LBB341_138:                            ;   in Loop: Header=BB341_16 Depth=1
	s_delay_alu instid0(SALU_CYCLE_1)
	s_or_b32 exec_lo, exec_lo, s50
.LBB341_139:                            ;   in Loop: Header=BB341_16 Depth=1
	s_delay_alu instid0(SALU_CYCLE_1)
	s_or_b32 exec_lo, exec_lo, s49
	global_load_b64 v[11:12], v[9:10], off offset:512
	v_mov_b32_e32 v41, 0
	s_mov_b32 s49, exec_lo
	s_waitcnt vmcnt(0)
	v_dual_mov_b32 v42, 0 :: v_dual_and_b32 v1, 0xff, v11
	s_delay_alu instid0(VALU_DEP_1)
	v_cmpx_ne_u16_e32 0, v1
	s_cbranch_execz .LBB341_145
; %bb.140:                              ;   in Loop: Header=BB341_16 Depth=1
	v_bfrev_b32_e32 v41, 1
	s_mov_b32 s50, exec_lo
	v_cmpx_ne_u16_e32 0x80, v1
	s_cbranch_execz .LBB341_144
; %bb.141:                              ;   in Loop: Header=BB341_16 Depth=1
	v_and_b32_e32 v1, 0x7f, v11
	v_mov_b32_e32 v41, 0x7fc02000
	s_mov_b32 s51, exec_lo
	s_delay_alu instid0(VALU_DEP_2)
	v_cmpx_ne_u32_e32 0x7f, v1
	s_cbranch_execz .LBB341_143
; %bb.142:                              ;   in Loop: Header=BB341_16 Depth=1
	v_and_b32_e32 v41, 7, v11
	v_cmp_gt_u32_e64 s0, 8, v1
	v_lshrrev_b32_e32 v43, 3, v1
	s_delay_alu instid0(VALU_DEP_3) | instskip(NEXT) | instid1(VALU_DEP_1)
	v_clz_i32_u32_e32 v41, v41
	v_min_u32_e32 v41, 32, v41
	s_delay_alu instid0(VALU_DEP_1) | instskip(SKIP_1) | instid1(VALU_DEP_2)
	v_subrev_nc_u32_e32 v44, 28, v41
	v_sub_nc_u32_e32 v41, 29, v41
	v_cndmask_b32_e64 v1, 0, v44, s0
	s_delay_alu instid0(VALU_DEP_2) | instskip(NEXT) | instid1(VALU_DEP_2)
	v_cndmask_b32_e64 v41, v43, v41, s0
	v_lshlrev_b64 v[43:44], v1, v[11:12]
	v_lshlrev_b32_e32 v1, 8, v11
	s_delay_alu instid0(VALU_DEP_3) | instskip(NEXT) | instid1(VALU_DEP_3)
	v_lshl_add_u32 v41, v41, 10, 0x2000
	v_lshlrev_b32_e32 v43, 7, v43
	s_delay_alu instid0(VALU_DEP_2) | instskip(NEXT) | instid1(VALU_DEP_1)
	v_and_or_b32 v1, 0x8000, v1, v41
	v_and_or_b32 v1, 0x380, v43, v1
	s_delay_alu instid0(VALU_DEP_1)
	v_cvt_f32_f16_e32 v41, v1
.LBB341_143:                            ;   in Loop: Header=BB341_16 Depth=1
	s_or_b32 exec_lo, exec_lo, s51
.LBB341_144:                            ;   in Loop: Header=BB341_16 Depth=1
	s_delay_alu instid0(SALU_CYCLE_1)
	s_or_b32 exec_lo, exec_lo, s50
.LBB341_145:                            ;   in Loop: Header=BB341_16 Depth=1
	s_delay_alu instid0(SALU_CYCLE_1) | instskip(SKIP_2) | instid1(VALU_DEP_1)
	s_or_b32 exec_lo, exec_lo, s49
	v_lshrrev_b16 v1, 8, v11
	s_mov_b32 s49, exec_lo
	v_cmpx_ne_u16_e32 0, v1
	s_cbranch_execz .LBB341_153
; %bb.146:                              ;   in Loop: Header=BB341_16 Depth=1
	v_bfrev_b32_e32 v42, 1
	s_mov_b32 s50, exec_lo
	v_cmpx_ne_u16_e32 0x80, v1
	s_cbranch_execz .LBB341_152
; %bb.147:                              ;   in Loop: Header=BB341_16 Depth=1
	v_and_b32_e32 v43, 0xffff, v1
	v_mov_b32_e32 v42, 0x7fc02000
	s_mov_b32 s51, exec_lo
	s_delay_alu instid0(VALU_DEP_2) | instskip(NEXT) | instid1(VALU_DEP_1)
	v_and_b32_e32 v44, 0x7f, v43
	v_cmpx_ne_u32_e32 0x7f, v44
	s_cbranch_execz .LBB341_151
; %bb.148:                              ;   in Loop: Header=BB341_16 Depth=1
	v_and_b32_e32 v1, 7, v43
	v_lshrrev_b32_e32 v42, 3, v44
	s_mov_b32 s52, exec_lo
	v_cmpx_gt_u32_e32 8, v44
; %bb.149:                              ;   in Loop: Header=BB341_16 Depth=1
	s_delay_alu instid0(VALU_DEP_3) | instskip(NEXT) | instid1(VALU_DEP_1)
	v_clz_i32_u32_e32 v42, v1
	v_min_u32_e32 v42, 32, v42
	s_delay_alu instid0(VALU_DEP_1) | instskip(SKIP_1) | instid1(VALU_DEP_2)
	v_subrev_nc_u32_e32 v44, 28, v42
	v_sub_nc_u32_e32 v42, 29, v42
	v_lshlrev_b64 v[44:45], v44, v[1:2]
	s_delay_alu instid0(VALU_DEP_1)
	v_and_b32_e32 v1, 7, v44
; %bb.150:                              ;   in Loop: Header=BB341_16 Depth=1
	s_or_b32 exec_lo, exec_lo, s52
	v_lshlrev_b32_e32 v43, 8, v43
	v_lshl_add_u32 v42, v42, 10, 0x2000
	s_delay_alu instid0(VALU_DEP_1) | instskip(NEXT) | instid1(VALU_DEP_1)
	v_and_or_b32 v42, 0x8000, v43, v42
	v_lshl_or_b32 v1, v1, 7, v42
	s_delay_alu instid0(VALU_DEP_1)
	v_cvt_f32_f16_e32 v42, v1
.LBB341_151:                            ;   in Loop: Header=BB341_16 Depth=1
	s_or_b32 exec_lo, exec_lo, s51
.LBB341_152:                            ;   in Loop: Header=BB341_16 Depth=1
	s_delay_alu instid0(SALU_CYCLE_1)
	s_or_b32 exec_lo, exec_lo, s50
.LBB341_153:                            ;   in Loop: Header=BB341_16 Depth=1
	s_delay_alu instid0(SALU_CYCLE_1) | instskip(SKIP_3) | instid1(VALU_DEP_2)
	s_or_b32 exec_lo, exec_lo, s49
	v_lshrrev_b32_e32 v45, 16, v11
	v_mov_b32_e32 v43, 0
	s_mov_b32 s49, exec_lo
	v_dual_mov_b32 v44, 0 :: v_dual_and_b32 v1, 0xff, v45
	s_delay_alu instid0(VALU_DEP_1)
	v_cmpx_ne_u16_e32 0, v1
	s_cbranch_execz .LBB341_161
; %bb.154:                              ;   in Loop: Header=BB341_16 Depth=1
	v_bfrev_b32_e32 v43, 1
	s_mov_b32 s50, exec_lo
	v_cmpx_ne_u16_e32 0x80, v1
	s_cbranch_execz .LBB341_160
; %bb.155:                              ;   in Loop: Header=BB341_16 Depth=1
	v_bfe_u32 v46, v11, 16, 7
	v_mov_b32_e32 v43, 0x7fc02000
	s_mov_b32 s51, exec_lo
	s_delay_alu instid0(VALU_DEP_2)
	v_cmpx_ne_u32_e32 0x7f, v46
	s_cbranch_execz .LBB341_159
; %bb.156:                              ;   in Loop: Header=BB341_16 Depth=1
	v_and_b32_e32 v1, 7, v45
	v_lshrrev_b32_e32 v43, 3, v46
	s_mov_b32 s52, exec_lo
	v_cmpx_gt_u32_e32 8, v46
; %bb.157:                              ;   in Loop: Header=BB341_16 Depth=1
	s_delay_alu instid0(VALU_DEP_3) | instskip(NEXT) | instid1(VALU_DEP_1)
	v_clz_i32_u32_e32 v43, v1
	v_min_u32_e32 v43, 32, v43
	s_delay_alu instid0(VALU_DEP_1) | instskip(SKIP_1) | instid1(VALU_DEP_2)
	v_subrev_nc_u32_e32 v46, 28, v43
	v_sub_nc_u32_e32 v43, 29, v43
	v_lshlrev_b64 v[46:47], v46, v[1:2]
	s_delay_alu instid0(VALU_DEP_1)
	v_and_b32_e32 v1, 7, v46
; %bb.158:                              ;   in Loop: Header=BB341_16 Depth=1
	s_or_b32 exec_lo, exec_lo, s52
	v_lshlrev_b32_e32 v45, 8, v45
	v_lshl_add_u32 v43, v43, 10, 0x2000
	s_delay_alu instid0(VALU_DEP_1) | instskip(NEXT) | instid1(VALU_DEP_1)
	v_and_or_b32 v43, 0x8000, v45, v43
	v_lshl_or_b32 v1, v1, 7, v43
	s_delay_alu instid0(VALU_DEP_1)
	v_cvt_f32_f16_e32 v43, v1
.LBB341_159:                            ;   in Loop: Header=BB341_16 Depth=1
	s_or_b32 exec_lo, exec_lo, s51
.LBB341_160:                            ;   in Loop: Header=BB341_16 Depth=1
	s_delay_alu instid0(SALU_CYCLE_1)
	s_or_b32 exec_lo, exec_lo, s50
.LBB341_161:                            ;   in Loop: Header=BB341_16 Depth=1
	s_delay_alu instid0(SALU_CYCLE_1) | instskip(NEXT) | instid1(SALU_CYCLE_1)
	s_or_b32 exec_lo, exec_lo, s49
	s_mov_b32 s49, exec_lo
	v_cmpx_lt_u32_e32 0xffffff, v11
	s_cbranch_execz .LBB341_169
; %bb.162:                              ;   in Loop: Header=BB341_16 Depth=1
	v_lshrrev_b32_e32 v45, 24, v11
	v_bfrev_b32_e32 v44, 1
	s_mov_b32 s50, exec_lo
	s_delay_alu instid0(VALU_DEP_2)
	v_cmpx_ne_u32_e32 0x80, v45
	s_cbranch_execz .LBB341_168
; %bb.163:                              ;   in Loop: Header=BB341_16 Depth=1
	v_and_b32_e32 v46, 0x7f, v45
	v_mov_b32_e32 v44, 0x7fc02000
	s_mov_b32 s51, exec_lo
	s_delay_alu instid0(VALU_DEP_2)
	v_cmpx_ne_u32_e32 0x7f, v46
	s_cbranch_execz .LBB341_167
; %bb.164:                              ;   in Loop: Header=BB341_16 Depth=1
	v_and_b32_e32 v1, 7, v45
	v_lshrrev_b32_e32 v44, 3, v46
	s_mov_b32 s52, exec_lo
	v_cmpx_gt_u32_e32 8, v46
; %bb.165:                              ;   in Loop: Header=BB341_16 Depth=1
	s_delay_alu instid0(VALU_DEP_3) | instskip(NEXT) | instid1(VALU_DEP_1)
	v_clz_i32_u32_e32 v44, v1
	v_min_u32_e32 v44, 32, v44
	s_delay_alu instid0(VALU_DEP_1) | instskip(SKIP_1) | instid1(VALU_DEP_2)
	v_subrev_nc_u32_e32 v46, 28, v44
	v_sub_nc_u32_e32 v44, 29, v44
	v_lshlrev_b64 v[46:47], v46, v[1:2]
	s_delay_alu instid0(VALU_DEP_1)
	v_and_b32_e32 v1, 7, v46
; %bb.166:                              ;   in Loop: Header=BB341_16 Depth=1
	s_or_b32 exec_lo, exec_lo, s52
	v_lshlrev_b32_e32 v45, 8, v45
	v_lshl_add_u32 v44, v44, 10, 0x2000
	s_delay_alu instid0(VALU_DEP_1) | instskip(NEXT) | instid1(VALU_DEP_1)
	v_and_or_b32 v44, 0x8000, v45, v44
	v_lshl_or_b32 v1, v1, 7, v44
	s_delay_alu instid0(VALU_DEP_1)
	v_cvt_f32_f16_e32 v44, v1
.LBB341_167:                            ;   in Loop: Header=BB341_16 Depth=1
	s_or_b32 exec_lo, exec_lo, s51
.LBB341_168:                            ;   in Loop: Header=BB341_16 Depth=1
	s_delay_alu instid0(SALU_CYCLE_1)
	s_or_b32 exec_lo, exec_lo, s50
.LBB341_169:                            ;   in Loop: Header=BB341_16 Depth=1
	s_delay_alu instid0(SALU_CYCLE_1) | instskip(SKIP_4) | instid1(VALU_DEP_3)
	s_or_b32 exec_lo, exec_lo, s49
	v_dual_mov_b32 v46, 0 :: v_dual_and_b32 v47, 0xff, v12
	v_mov_b32_e32 v1, v12
	v_mov_b32_e32 v45, 0
	s_mov_b32 s49, exec_lo
	v_cmpx_ne_u16_e32 0, v47
	s_cbranch_execz .LBB341_175
; %bb.170:                              ;   in Loop: Header=BB341_16 Depth=1
	v_bfrev_b32_e32 v45, 1
	s_mov_b32 s50, exec_lo
	v_cmpx_ne_u16_e32 0x80, v47
	s_cbranch_execz .LBB341_174
; %bb.171:                              ;   in Loop: Header=BB341_16 Depth=1
	v_and_b32_e32 v47, 0x7f, v12
	v_mov_b32_e32 v45, 0x7fc02000
	s_mov_b32 s51, exec_lo
	s_delay_alu instid0(VALU_DEP_2)
	v_cmpx_ne_u32_e32 0x7f, v47
	s_cbranch_execz .LBB341_173
; %bb.172:                              ;   in Loop: Header=BB341_16 Depth=1
	v_and_b32_e32 v45, 7, v12
	v_cmp_gt_u32_e64 s0, 8, v47
	v_lshrrev_b32_e32 v48, 3, v47
	s_delay_alu instid0(VALU_DEP_3) | instskip(NEXT) | instid1(VALU_DEP_1)
	v_clz_i32_u32_e32 v45, v45
	v_min_u32_e32 v45, 32, v45
	s_delay_alu instid0(VALU_DEP_1) | instskip(SKIP_1) | instid1(VALU_DEP_2)
	v_subrev_nc_u32_e32 v49, 28, v45
	v_sub_nc_u32_e32 v45, 29, v45
	v_cndmask_b32_e64 v47, 0, v49, s0
	s_delay_alu instid0(VALU_DEP_2) | instskip(NEXT) | instid1(VALU_DEP_2)
	v_cndmask_b32_e64 v45, v48, v45, s0
	v_lshlrev_b64 v[47:48], v47, v[1:2]
	v_lshlrev_b32_e32 v48, 8, v12
	s_delay_alu instid0(VALU_DEP_3) | instskip(NEXT) | instid1(VALU_DEP_3)
	v_lshl_add_u32 v45, v45, 10, 0x2000
	v_lshlrev_b32_e32 v47, 7, v47
	s_delay_alu instid0(VALU_DEP_2) | instskip(NEXT) | instid1(VALU_DEP_1)
	v_and_or_b32 v45, 0x8000, v48, v45
	v_and_or_b32 v45, 0x380, v47, v45
	s_delay_alu instid0(VALU_DEP_1)
	v_cvt_f32_f16_e32 v45, v45
.LBB341_173:                            ;   in Loop: Header=BB341_16 Depth=1
	s_or_b32 exec_lo, exec_lo, s51
.LBB341_174:                            ;   in Loop: Header=BB341_16 Depth=1
	s_delay_alu instid0(SALU_CYCLE_1)
	s_or_b32 exec_lo, exec_lo, s50
.LBB341_175:                            ;   in Loop: Header=BB341_16 Depth=1
	s_delay_alu instid0(SALU_CYCLE_1) | instskip(SKIP_2) | instid1(VALU_DEP_1)
	s_or_b32 exec_lo, exec_lo, s49
	v_lshrrev_b16 v1, 8, v1
	s_mov_b32 s49, exec_lo
	v_cmpx_ne_u16_e32 0, v1
	s_cbranch_execz .LBB341_183
; %bb.176:                              ;   in Loop: Header=BB341_16 Depth=1
	v_bfrev_b32_e32 v46, 1
	s_mov_b32 s50, exec_lo
	v_cmpx_ne_u16_e32 0x80, v1
	s_cbranch_execz .LBB341_182
; %bb.177:                              ;   in Loop: Header=BB341_16 Depth=1
	v_and_b32_e32 v47, 0xffff, v1
	v_mov_b32_e32 v46, 0x7fc02000
	s_mov_b32 s51, exec_lo
	s_delay_alu instid0(VALU_DEP_2) | instskip(NEXT) | instid1(VALU_DEP_1)
	v_and_b32_e32 v48, 0x7f, v47
	v_cmpx_ne_u32_e32 0x7f, v48
	s_cbranch_execz .LBB341_181
; %bb.178:                              ;   in Loop: Header=BB341_16 Depth=1
	v_and_b32_e32 v1, 7, v47
	v_lshrrev_b32_e32 v46, 3, v48
	s_mov_b32 s52, exec_lo
	v_cmpx_gt_u32_e32 8, v48
; %bb.179:                              ;   in Loop: Header=BB341_16 Depth=1
	s_delay_alu instid0(VALU_DEP_3) | instskip(NEXT) | instid1(VALU_DEP_1)
	v_clz_i32_u32_e32 v46, v1
	v_min_u32_e32 v46, 32, v46
	s_delay_alu instid0(VALU_DEP_1) | instskip(SKIP_1) | instid1(VALU_DEP_2)
	v_subrev_nc_u32_e32 v48, 28, v46
	v_sub_nc_u32_e32 v46, 29, v46
	v_lshlrev_b64 v[48:49], v48, v[1:2]
	s_delay_alu instid0(VALU_DEP_1)
	v_and_b32_e32 v1, 7, v48
; %bb.180:                              ;   in Loop: Header=BB341_16 Depth=1
	s_or_b32 exec_lo, exec_lo, s52
	v_lshlrev_b32_e32 v47, 8, v47
	v_lshl_add_u32 v46, v46, 10, 0x2000
	s_delay_alu instid0(VALU_DEP_1) | instskip(NEXT) | instid1(VALU_DEP_1)
	v_and_or_b32 v46, 0x8000, v47, v46
	v_lshl_or_b32 v1, v1, 7, v46
	s_delay_alu instid0(VALU_DEP_1)
	v_cvt_f32_f16_e32 v46, v1
.LBB341_181:                            ;   in Loop: Header=BB341_16 Depth=1
	s_or_b32 exec_lo, exec_lo, s51
.LBB341_182:                            ;   in Loop: Header=BB341_16 Depth=1
	s_delay_alu instid0(SALU_CYCLE_1)
	s_or_b32 exec_lo, exec_lo, s50
.LBB341_183:                            ;   in Loop: Header=BB341_16 Depth=1
	s_delay_alu instid0(SALU_CYCLE_1) | instskip(SKIP_3) | instid1(VALU_DEP_2)
	s_or_b32 exec_lo, exec_lo, s49
	v_lshrrev_b32_e32 v49, 16, v12
	v_mov_b32_e32 v47, 0
	s_mov_b32 s49, exec_lo
	v_dual_mov_b32 v48, 0 :: v_dual_and_b32 v1, 0xff, v49
	s_delay_alu instid0(VALU_DEP_1)
	v_cmpx_ne_u16_e32 0, v1
	s_cbranch_execz .LBB341_191
; %bb.184:                              ;   in Loop: Header=BB341_16 Depth=1
	v_bfrev_b32_e32 v48, 1
	s_mov_b32 s50, exec_lo
	v_cmpx_ne_u16_e32 0x80, v1
	s_cbranch_execz .LBB341_190
; %bb.185:                              ;   in Loop: Header=BB341_16 Depth=1
	v_bfe_u32 v50, v12, 16, 7
	v_mov_b32_e32 v48, 0x7fc02000
	s_mov_b32 s51, exec_lo
	s_delay_alu instid0(VALU_DEP_2)
	v_cmpx_ne_u32_e32 0x7f, v50
	s_cbranch_execz .LBB341_189
; %bb.186:                              ;   in Loop: Header=BB341_16 Depth=1
	v_and_b32_e32 v1, 7, v49
	v_lshrrev_b32_e32 v48, 3, v50
	s_mov_b32 s52, exec_lo
	v_cmpx_gt_u32_e32 8, v50
; %bb.187:                              ;   in Loop: Header=BB341_16 Depth=1
	s_delay_alu instid0(VALU_DEP_3) | instskip(NEXT) | instid1(VALU_DEP_1)
	v_clz_i32_u32_e32 v48, v1
	v_min_u32_e32 v48, 32, v48
	s_delay_alu instid0(VALU_DEP_1) | instskip(SKIP_1) | instid1(VALU_DEP_2)
	v_subrev_nc_u32_e32 v50, 28, v48
	v_sub_nc_u32_e32 v48, 29, v48
	v_lshlrev_b64 v[50:51], v50, v[1:2]
	s_delay_alu instid0(VALU_DEP_1)
	v_and_b32_e32 v1, 7, v50
; %bb.188:                              ;   in Loop: Header=BB341_16 Depth=1
	s_or_b32 exec_lo, exec_lo, s52
	v_lshlrev_b32_e32 v49, 8, v49
	v_lshl_add_u32 v48, v48, 10, 0x2000
	s_delay_alu instid0(VALU_DEP_1) | instskip(NEXT) | instid1(VALU_DEP_1)
	v_and_or_b32 v48, 0x8000, v49, v48
	v_lshl_or_b32 v1, v1, 7, v48
	s_delay_alu instid0(VALU_DEP_1)
	v_cvt_f32_f16_e32 v48, v1
.LBB341_189:                            ;   in Loop: Header=BB341_16 Depth=1
	s_or_b32 exec_lo, exec_lo, s51
.LBB341_190:                            ;   in Loop: Header=BB341_16 Depth=1
	s_delay_alu instid0(SALU_CYCLE_1)
	s_or_b32 exec_lo, exec_lo, s50
.LBB341_191:                            ;   in Loop: Header=BB341_16 Depth=1
	s_delay_alu instid0(SALU_CYCLE_1) | instskip(NEXT) | instid1(SALU_CYCLE_1)
	s_or_b32 exec_lo, exec_lo, s49
	s_mov_b32 s49, exec_lo
	v_cmpx_lt_u64_e64 s[10:11], v[11:12]
	s_cbranch_execz .LBB341_199
; %bb.192:                              ;   in Loop: Header=BB341_16 Depth=1
	v_lshrrev_b32_e32 v11, 24, v12
	v_bfrev_b32_e32 v47, 1
	s_mov_b32 s50, exec_lo
	s_delay_alu instid0(VALU_DEP_2)
	v_cmpx_ne_u32_e32 0x80, v11
	s_cbranch_execz .LBB341_198
; %bb.193:                              ;   in Loop: Header=BB341_16 Depth=1
	v_and_b32_e32 v49, 0x7f, v11
	v_mov_b32_e32 v47, 0x7fc02000
	s_mov_b32 s51, exec_lo
	s_delay_alu instid0(VALU_DEP_2)
	v_cmpx_ne_u32_e32 0x7f, v49
	s_cbranch_execz .LBB341_197
; %bb.194:                              ;   in Loop: Header=BB341_16 Depth=1
	v_and_b32_e32 v1, 7, v11
	v_lshrrev_b32_e32 v12, 3, v49
	s_mov_b32 s52, exec_lo
	v_cmpx_gt_u32_e32 8, v49
; %bb.195:                              ;   in Loop: Header=BB341_16 Depth=1
	s_delay_alu instid0(VALU_DEP_3) | instskip(NEXT) | instid1(VALU_DEP_1)
	v_clz_i32_u32_e32 v12, v1
	v_min_u32_e32 v12, 32, v12
	s_delay_alu instid0(VALU_DEP_1) | instskip(SKIP_1) | instid1(VALU_DEP_2)
	v_subrev_nc_u32_e32 v47, 28, v12
	v_sub_nc_u32_e32 v12, 29, v12
	v_lshlrev_b64 v[49:50], v47, v[1:2]
	s_delay_alu instid0(VALU_DEP_1)
	v_and_b32_e32 v1, 7, v49
; %bb.196:                              ;   in Loop: Header=BB341_16 Depth=1
	s_or_b32 exec_lo, exec_lo, s52
	v_lshlrev_b32_e32 v11, 8, v11
	v_lshl_add_u32 v12, v12, 10, 0x2000
	s_delay_alu instid0(VALU_DEP_1) | instskip(NEXT) | instid1(VALU_DEP_1)
	v_and_or_b32 v11, 0x8000, v11, v12
	v_lshl_or_b32 v1, v1, 7, v11
	s_delay_alu instid0(VALU_DEP_1)
	v_cvt_f32_f16_e32 v47, v1
.LBB341_197:                            ;   in Loop: Header=BB341_16 Depth=1
	s_or_b32 exec_lo, exec_lo, s51
.LBB341_198:                            ;   in Loop: Header=BB341_16 Depth=1
	s_delay_alu instid0(SALU_CYCLE_1)
	s_or_b32 exec_lo, exec_lo, s50
.LBB341_199:                            ;   in Loop: Header=BB341_16 Depth=1
	s_delay_alu instid0(SALU_CYCLE_1)
	s_or_b32 exec_lo, exec_lo, s49
	global_load_b64 v[9:10], v[9:10], off offset:520
	v_mov_b32_e32 v11, 0
	s_mov_b32 s49, exec_lo
	s_waitcnt vmcnt(0)
	v_dual_mov_b32 v12, 0 :: v_dual_and_b32 v1, 0xff, v9
	s_delay_alu instid0(VALU_DEP_1)
	v_cmpx_ne_u16_e32 0, v1
	s_cbranch_execz .LBB341_205
; %bb.200:                              ;   in Loop: Header=BB341_16 Depth=1
	v_bfrev_b32_e32 v11, 1
	s_mov_b32 s50, exec_lo
	v_cmpx_ne_u16_e32 0x80, v1
	s_cbranch_execz .LBB341_204
; %bb.201:                              ;   in Loop: Header=BB341_16 Depth=1
	v_and_b32_e32 v1, 0x7f, v9
	v_mov_b32_e32 v11, 0x7fc02000
	s_mov_b32 s51, exec_lo
	s_delay_alu instid0(VALU_DEP_2)
	v_cmpx_ne_u32_e32 0x7f, v1
	s_cbranch_execz .LBB341_203
; %bb.202:                              ;   in Loop: Header=BB341_16 Depth=1
	v_and_b32_e32 v11, 7, v9
	v_cmp_gt_u32_e64 s0, 8, v1
	v_lshrrev_b32_e32 v49, 3, v1
	s_delay_alu instid0(VALU_DEP_3) | instskip(NEXT) | instid1(VALU_DEP_1)
	v_clz_i32_u32_e32 v11, v11
	v_min_u32_e32 v11, 32, v11
	s_delay_alu instid0(VALU_DEP_1) | instskip(SKIP_1) | instid1(VALU_DEP_2)
	v_subrev_nc_u32_e32 v50, 28, v11
	v_sub_nc_u32_e32 v11, 29, v11
	v_cndmask_b32_e64 v1, 0, v50, s0
	s_delay_alu instid0(VALU_DEP_2) | instskip(NEXT) | instid1(VALU_DEP_2)
	v_cndmask_b32_e64 v11, v49, v11, s0
	v_lshlrev_b64 v[49:50], v1, v[9:10]
	v_lshlrev_b32_e32 v1, 8, v9
	s_delay_alu instid0(VALU_DEP_3) | instskip(NEXT) | instid1(VALU_DEP_3)
	v_lshl_add_u32 v11, v11, 10, 0x2000
	v_lshlrev_b32_e32 v49, 7, v49
	s_delay_alu instid0(VALU_DEP_2) | instskip(NEXT) | instid1(VALU_DEP_1)
	v_and_or_b32 v1, 0x8000, v1, v11
	v_and_or_b32 v1, 0x380, v49, v1
	s_delay_alu instid0(VALU_DEP_1)
	v_cvt_f32_f16_e32 v11, v1
.LBB341_203:                            ;   in Loop: Header=BB341_16 Depth=1
	s_or_b32 exec_lo, exec_lo, s51
.LBB341_204:                            ;   in Loop: Header=BB341_16 Depth=1
	s_delay_alu instid0(SALU_CYCLE_1)
	s_or_b32 exec_lo, exec_lo, s50
.LBB341_205:                            ;   in Loop: Header=BB341_16 Depth=1
	s_delay_alu instid0(SALU_CYCLE_1) | instskip(SKIP_2) | instid1(VALU_DEP_1)
	s_or_b32 exec_lo, exec_lo, s49
	v_lshrrev_b16 v1, 8, v9
	s_mov_b32 s49, exec_lo
	v_cmpx_ne_u16_e32 0, v1
	s_cbranch_execz .LBB341_213
; %bb.206:                              ;   in Loop: Header=BB341_16 Depth=1
	v_bfrev_b32_e32 v12, 1
	s_mov_b32 s50, exec_lo
	v_cmpx_ne_u16_e32 0x80, v1
	s_cbranch_execz .LBB341_212
; %bb.207:                              ;   in Loop: Header=BB341_16 Depth=1
	v_and_b32_e32 v49, 0xffff, v1
	v_mov_b32_e32 v12, 0x7fc02000
	s_mov_b32 s51, exec_lo
	s_delay_alu instid0(VALU_DEP_2) | instskip(NEXT) | instid1(VALU_DEP_1)
	v_and_b32_e32 v50, 0x7f, v49
	v_cmpx_ne_u32_e32 0x7f, v50
	s_cbranch_execz .LBB341_211
; %bb.208:                              ;   in Loop: Header=BB341_16 Depth=1
	v_and_b32_e32 v1, 7, v49
	v_lshrrev_b32_e32 v12, 3, v50
	s_mov_b32 s52, exec_lo
	v_cmpx_gt_u32_e32 8, v50
; %bb.209:                              ;   in Loop: Header=BB341_16 Depth=1
	s_delay_alu instid0(VALU_DEP_3) | instskip(NEXT) | instid1(VALU_DEP_1)
	v_clz_i32_u32_e32 v12, v1
	v_min_u32_e32 v12, 32, v12
	s_delay_alu instid0(VALU_DEP_1) | instskip(SKIP_1) | instid1(VALU_DEP_2)
	v_subrev_nc_u32_e32 v50, 28, v12
	v_sub_nc_u32_e32 v12, 29, v12
	v_lshlrev_b64 v[50:51], v50, v[1:2]
	s_delay_alu instid0(VALU_DEP_1)
	v_and_b32_e32 v1, 7, v50
; %bb.210:                              ;   in Loop: Header=BB341_16 Depth=1
	s_or_b32 exec_lo, exec_lo, s52
	v_lshlrev_b32_e32 v49, 8, v49
	v_lshl_add_u32 v12, v12, 10, 0x2000
	s_delay_alu instid0(VALU_DEP_1) | instskip(NEXT) | instid1(VALU_DEP_1)
	v_and_or_b32 v12, 0x8000, v49, v12
	v_lshl_or_b32 v1, v1, 7, v12
	s_delay_alu instid0(VALU_DEP_1)
	v_cvt_f32_f16_e32 v12, v1
.LBB341_211:                            ;   in Loop: Header=BB341_16 Depth=1
	s_or_b32 exec_lo, exec_lo, s51
.LBB341_212:                            ;   in Loop: Header=BB341_16 Depth=1
	s_delay_alu instid0(SALU_CYCLE_1)
	s_or_b32 exec_lo, exec_lo, s50
.LBB341_213:                            ;   in Loop: Header=BB341_16 Depth=1
	s_delay_alu instid0(SALU_CYCLE_1) | instskip(SKIP_3) | instid1(VALU_DEP_2)
	s_or_b32 exec_lo, exec_lo, s49
	v_lshrrev_b32_e32 v51, 16, v9
	v_mov_b32_e32 v49, 0
	s_mov_b32 s49, exec_lo
	v_dual_mov_b32 v50, 0 :: v_dual_and_b32 v1, 0xff, v51
	s_delay_alu instid0(VALU_DEP_1)
	v_cmpx_ne_u16_e32 0, v1
	s_cbranch_execz .LBB341_221
; %bb.214:                              ;   in Loop: Header=BB341_16 Depth=1
	v_bfrev_b32_e32 v49, 1
	s_mov_b32 s50, exec_lo
	v_cmpx_ne_u16_e32 0x80, v1
	s_cbranch_execz .LBB341_220
; %bb.215:                              ;   in Loop: Header=BB341_16 Depth=1
	v_bfe_u32 v52, v9, 16, 7
	v_mov_b32_e32 v49, 0x7fc02000
	s_mov_b32 s51, exec_lo
	s_delay_alu instid0(VALU_DEP_2)
	v_cmpx_ne_u32_e32 0x7f, v52
	s_cbranch_execz .LBB341_219
; %bb.216:                              ;   in Loop: Header=BB341_16 Depth=1
	v_and_b32_e32 v1, 7, v51
	v_lshrrev_b32_e32 v49, 3, v52
	s_mov_b32 s52, exec_lo
	v_cmpx_gt_u32_e32 8, v52
; %bb.217:                              ;   in Loop: Header=BB341_16 Depth=1
	s_delay_alu instid0(VALU_DEP_3) | instskip(NEXT) | instid1(VALU_DEP_1)
	v_clz_i32_u32_e32 v49, v1
	v_min_u32_e32 v49, 32, v49
	s_delay_alu instid0(VALU_DEP_1) | instskip(SKIP_1) | instid1(VALU_DEP_2)
	v_subrev_nc_u32_e32 v52, 28, v49
	v_sub_nc_u32_e32 v49, 29, v49
	v_lshlrev_b64 v[52:53], v52, v[1:2]
	s_delay_alu instid0(VALU_DEP_1)
	v_and_b32_e32 v1, 7, v52
; %bb.218:                              ;   in Loop: Header=BB341_16 Depth=1
	s_or_b32 exec_lo, exec_lo, s52
	v_lshlrev_b32_e32 v51, 8, v51
	v_lshl_add_u32 v49, v49, 10, 0x2000
	s_delay_alu instid0(VALU_DEP_1) | instskip(NEXT) | instid1(VALU_DEP_1)
	v_and_or_b32 v49, 0x8000, v51, v49
	v_lshl_or_b32 v1, v1, 7, v49
	s_delay_alu instid0(VALU_DEP_1)
	v_cvt_f32_f16_e32 v49, v1
.LBB341_219:                            ;   in Loop: Header=BB341_16 Depth=1
	s_or_b32 exec_lo, exec_lo, s51
.LBB341_220:                            ;   in Loop: Header=BB341_16 Depth=1
	s_delay_alu instid0(SALU_CYCLE_1)
	s_or_b32 exec_lo, exec_lo, s50
.LBB341_221:                            ;   in Loop: Header=BB341_16 Depth=1
	s_delay_alu instid0(SALU_CYCLE_1) | instskip(NEXT) | instid1(SALU_CYCLE_1)
	s_or_b32 exec_lo, exec_lo, s49
	s_mov_b32 s49, exec_lo
	v_cmpx_lt_u32_e32 0xffffff, v9
	s_cbranch_execz .LBB341_229
; %bb.222:                              ;   in Loop: Header=BB341_16 Depth=1
	v_lshrrev_b32_e32 v51, 24, v9
	v_bfrev_b32_e32 v50, 1
	s_mov_b32 s50, exec_lo
	s_delay_alu instid0(VALU_DEP_2)
	v_cmpx_ne_u32_e32 0x80, v51
	s_cbranch_execz .LBB341_228
; %bb.223:                              ;   in Loop: Header=BB341_16 Depth=1
	v_and_b32_e32 v52, 0x7f, v51
	v_mov_b32_e32 v50, 0x7fc02000
	s_mov_b32 s51, exec_lo
	s_delay_alu instid0(VALU_DEP_2)
	v_cmpx_ne_u32_e32 0x7f, v52
	s_cbranch_execz .LBB341_227
; %bb.224:                              ;   in Loop: Header=BB341_16 Depth=1
	v_and_b32_e32 v1, 7, v51
	v_lshrrev_b32_e32 v50, 3, v52
	s_mov_b32 s52, exec_lo
	v_cmpx_gt_u32_e32 8, v52
; %bb.225:                              ;   in Loop: Header=BB341_16 Depth=1
	s_delay_alu instid0(VALU_DEP_3) | instskip(NEXT) | instid1(VALU_DEP_1)
	v_clz_i32_u32_e32 v50, v1
	v_min_u32_e32 v50, 32, v50
	s_delay_alu instid0(VALU_DEP_1) | instskip(SKIP_1) | instid1(VALU_DEP_2)
	v_subrev_nc_u32_e32 v52, 28, v50
	v_sub_nc_u32_e32 v50, 29, v50
	v_lshlrev_b64 v[52:53], v52, v[1:2]
	s_delay_alu instid0(VALU_DEP_1)
	v_and_b32_e32 v1, 7, v52
; %bb.226:                              ;   in Loop: Header=BB341_16 Depth=1
	s_or_b32 exec_lo, exec_lo, s52
	v_lshlrev_b32_e32 v51, 8, v51
	v_lshl_add_u32 v50, v50, 10, 0x2000
	s_delay_alu instid0(VALU_DEP_1) | instskip(NEXT) | instid1(VALU_DEP_1)
	v_and_or_b32 v50, 0x8000, v51, v50
	v_lshl_or_b32 v1, v1, 7, v50
	s_delay_alu instid0(VALU_DEP_1)
	v_cvt_f32_f16_e32 v50, v1
.LBB341_227:                            ;   in Loop: Header=BB341_16 Depth=1
	s_or_b32 exec_lo, exec_lo, s51
.LBB341_228:                            ;   in Loop: Header=BB341_16 Depth=1
	s_delay_alu instid0(SALU_CYCLE_1)
	s_or_b32 exec_lo, exec_lo, s50
.LBB341_229:                            ;   in Loop: Header=BB341_16 Depth=1
	s_delay_alu instid0(SALU_CYCLE_1) | instskip(SKIP_4) | instid1(VALU_DEP_3)
	s_or_b32 exec_lo, exec_lo, s49
	v_dual_mov_b32 v52, 0 :: v_dual_and_b32 v53, 0xff, v10
	v_mov_b32_e32 v1, v10
	v_mov_b32_e32 v51, 0
	s_mov_b32 s49, exec_lo
	v_cmpx_ne_u16_e32 0, v53
	s_cbranch_execz .LBB341_235
; %bb.230:                              ;   in Loop: Header=BB341_16 Depth=1
	v_bfrev_b32_e32 v51, 1
	s_mov_b32 s50, exec_lo
	v_cmpx_ne_u16_e32 0x80, v53
	s_cbranch_execz .LBB341_234
; %bb.231:                              ;   in Loop: Header=BB341_16 Depth=1
	v_and_b32_e32 v53, 0x7f, v10
	v_mov_b32_e32 v51, 0x7fc02000
	s_mov_b32 s51, exec_lo
	s_delay_alu instid0(VALU_DEP_2)
	v_cmpx_ne_u32_e32 0x7f, v53
	s_cbranch_execz .LBB341_233
; %bb.232:                              ;   in Loop: Header=BB341_16 Depth=1
	v_and_b32_e32 v51, 7, v10
	v_cmp_gt_u32_e64 s0, 8, v53
	v_lshrrev_b32_e32 v54, 3, v53
	s_delay_alu instid0(VALU_DEP_3) | instskip(NEXT) | instid1(VALU_DEP_1)
	v_clz_i32_u32_e32 v51, v51
	v_min_u32_e32 v51, 32, v51
	s_delay_alu instid0(VALU_DEP_1) | instskip(SKIP_1) | instid1(VALU_DEP_2)
	v_subrev_nc_u32_e32 v55, 28, v51
	v_sub_nc_u32_e32 v51, 29, v51
	v_cndmask_b32_e64 v53, 0, v55, s0
	s_delay_alu instid0(VALU_DEP_2) | instskip(NEXT) | instid1(VALU_DEP_2)
	v_cndmask_b32_e64 v51, v54, v51, s0
	v_lshlrev_b64 v[53:54], v53, v[1:2]
	v_lshlrev_b32_e32 v54, 8, v10
	s_delay_alu instid0(VALU_DEP_3) | instskip(NEXT) | instid1(VALU_DEP_3)
	v_lshl_add_u32 v51, v51, 10, 0x2000
	v_lshlrev_b32_e32 v53, 7, v53
	s_delay_alu instid0(VALU_DEP_2) | instskip(NEXT) | instid1(VALU_DEP_1)
	v_and_or_b32 v51, 0x8000, v54, v51
	v_and_or_b32 v51, 0x380, v53, v51
	s_delay_alu instid0(VALU_DEP_1)
	v_cvt_f32_f16_e32 v51, v51
.LBB341_233:                            ;   in Loop: Header=BB341_16 Depth=1
	s_or_b32 exec_lo, exec_lo, s51
.LBB341_234:                            ;   in Loop: Header=BB341_16 Depth=1
	s_delay_alu instid0(SALU_CYCLE_1)
	s_or_b32 exec_lo, exec_lo, s50
.LBB341_235:                            ;   in Loop: Header=BB341_16 Depth=1
	s_delay_alu instid0(SALU_CYCLE_1) | instskip(SKIP_2) | instid1(VALU_DEP_1)
	s_or_b32 exec_lo, exec_lo, s49
	v_lshrrev_b16 v1, 8, v1
	s_mov_b32 s49, exec_lo
	v_cmpx_ne_u16_e32 0, v1
	s_cbranch_execz .LBB341_243
; %bb.236:                              ;   in Loop: Header=BB341_16 Depth=1
	v_bfrev_b32_e32 v52, 1
	s_mov_b32 s50, exec_lo
	v_cmpx_ne_u16_e32 0x80, v1
	s_cbranch_execz .LBB341_242
; %bb.237:                              ;   in Loop: Header=BB341_16 Depth=1
	v_and_b32_e32 v53, 0xffff, v1
	v_mov_b32_e32 v52, 0x7fc02000
	s_mov_b32 s51, exec_lo
	s_delay_alu instid0(VALU_DEP_2) | instskip(NEXT) | instid1(VALU_DEP_1)
	v_and_b32_e32 v54, 0x7f, v53
	v_cmpx_ne_u32_e32 0x7f, v54
	s_cbranch_execz .LBB341_241
; %bb.238:                              ;   in Loop: Header=BB341_16 Depth=1
	v_and_b32_e32 v1, 7, v53
	v_lshrrev_b32_e32 v52, 3, v54
	s_mov_b32 s52, exec_lo
	v_cmpx_gt_u32_e32 8, v54
; %bb.239:                              ;   in Loop: Header=BB341_16 Depth=1
	s_delay_alu instid0(VALU_DEP_3) | instskip(NEXT) | instid1(VALU_DEP_1)
	v_clz_i32_u32_e32 v52, v1
	v_min_u32_e32 v52, 32, v52
	s_delay_alu instid0(VALU_DEP_1) | instskip(SKIP_1) | instid1(VALU_DEP_2)
	v_subrev_nc_u32_e32 v54, 28, v52
	v_sub_nc_u32_e32 v52, 29, v52
	v_lshlrev_b64 v[54:55], v54, v[1:2]
	s_delay_alu instid0(VALU_DEP_1)
	v_and_b32_e32 v1, 7, v54
; %bb.240:                              ;   in Loop: Header=BB341_16 Depth=1
	s_or_b32 exec_lo, exec_lo, s52
	v_lshlrev_b32_e32 v53, 8, v53
	v_lshl_add_u32 v52, v52, 10, 0x2000
	s_delay_alu instid0(VALU_DEP_1) | instskip(NEXT) | instid1(VALU_DEP_1)
	v_and_or_b32 v52, 0x8000, v53, v52
	v_lshl_or_b32 v1, v1, 7, v52
	s_delay_alu instid0(VALU_DEP_1)
	v_cvt_f32_f16_e32 v52, v1
.LBB341_241:                            ;   in Loop: Header=BB341_16 Depth=1
	s_or_b32 exec_lo, exec_lo, s51
.LBB341_242:                            ;   in Loop: Header=BB341_16 Depth=1
	s_delay_alu instid0(SALU_CYCLE_1)
	s_or_b32 exec_lo, exec_lo, s50
.LBB341_243:                            ;   in Loop: Header=BB341_16 Depth=1
	s_delay_alu instid0(SALU_CYCLE_1) | instskip(SKIP_3) | instid1(VALU_DEP_2)
	s_or_b32 exec_lo, exec_lo, s49
	v_lshrrev_b32_e32 v55, 16, v10
	v_mov_b32_e32 v53, 0
	s_mov_b32 s49, exec_lo
	v_dual_mov_b32 v54, 0 :: v_dual_and_b32 v1, 0xff, v55
	s_delay_alu instid0(VALU_DEP_1)
	v_cmpx_ne_u16_e32 0, v1
	s_cbranch_execz .LBB341_251
; %bb.244:                              ;   in Loop: Header=BB341_16 Depth=1
	v_bfrev_b32_e32 v54, 1
	s_mov_b32 s50, exec_lo
	v_cmpx_ne_u16_e32 0x80, v1
	s_cbranch_execz .LBB341_250
; %bb.245:                              ;   in Loop: Header=BB341_16 Depth=1
	v_bfe_u32 v56, v10, 16, 7
	v_mov_b32_e32 v54, 0x7fc02000
	s_mov_b32 s51, exec_lo
	s_delay_alu instid0(VALU_DEP_2)
	v_cmpx_ne_u32_e32 0x7f, v56
	s_cbranch_execz .LBB341_249
; %bb.246:                              ;   in Loop: Header=BB341_16 Depth=1
	v_and_b32_e32 v1, 7, v55
	v_lshrrev_b32_e32 v54, 3, v56
	s_mov_b32 s52, exec_lo
	v_cmpx_gt_u32_e32 8, v56
; %bb.247:                              ;   in Loop: Header=BB341_16 Depth=1
	s_delay_alu instid0(VALU_DEP_3) | instskip(NEXT) | instid1(VALU_DEP_1)
	v_clz_i32_u32_e32 v54, v1
	v_min_u32_e32 v54, 32, v54
	s_delay_alu instid0(VALU_DEP_1) | instskip(SKIP_1) | instid1(VALU_DEP_2)
	v_subrev_nc_u32_e32 v56, 28, v54
	v_sub_nc_u32_e32 v54, 29, v54
	v_lshlrev_b64 v[56:57], v56, v[1:2]
	s_delay_alu instid0(VALU_DEP_1)
	v_and_b32_e32 v1, 7, v56
; %bb.248:                              ;   in Loop: Header=BB341_16 Depth=1
	s_or_b32 exec_lo, exec_lo, s52
	v_lshlrev_b32_e32 v55, 8, v55
	v_lshl_add_u32 v54, v54, 10, 0x2000
	s_delay_alu instid0(VALU_DEP_1) | instskip(NEXT) | instid1(VALU_DEP_1)
	v_and_or_b32 v54, 0x8000, v55, v54
	v_lshl_or_b32 v1, v1, 7, v54
	s_delay_alu instid0(VALU_DEP_1)
	v_cvt_f32_f16_e32 v54, v1
.LBB341_249:                            ;   in Loop: Header=BB341_16 Depth=1
	s_or_b32 exec_lo, exec_lo, s51
.LBB341_250:                            ;   in Loop: Header=BB341_16 Depth=1
	s_delay_alu instid0(SALU_CYCLE_1)
	s_or_b32 exec_lo, exec_lo, s50
.LBB341_251:                            ;   in Loop: Header=BB341_16 Depth=1
	s_delay_alu instid0(SALU_CYCLE_1) | instskip(NEXT) | instid1(SALU_CYCLE_1)
	s_or_b32 exec_lo, exec_lo, s49
	s_mov_b32 s49, exec_lo
	v_cmpx_lt_u64_e64 s[10:11], v[9:10]
	s_cbranch_execz .LBB341_14
; %bb.252:                              ;   in Loop: Header=BB341_16 Depth=1
	v_lshrrev_b32_e32 v9, 24, v10
	v_bfrev_b32_e32 v53, 1
	s_mov_b32 s50, exec_lo
	s_delay_alu instid0(VALU_DEP_2)
	v_cmpx_ne_u32_e32 0x80, v9
	s_cbranch_execz .LBB341_13
; %bb.253:                              ;   in Loop: Header=BB341_16 Depth=1
	v_and_b32_e32 v55, 0x7f, v9
	v_mov_b32_e32 v53, 0x7fc02000
	s_mov_b32 s51, exec_lo
	s_delay_alu instid0(VALU_DEP_2)
	v_cmpx_ne_u32_e32 0x7f, v55
	s_cbranch_execz .LBB341_12
; %bb.254:                              ;   in Loop: Header=BB341_16 Depth=1
	v_and_b32_e32 v1, 7, v9
	v_lshrrev_b32_e32 v10, 3, v55
	s_mov_b32 s52, exec_lo
	v_cmpx_gt_u32_e32 8, v55
	s_cbranch_execz .LBB341_11
; %bb.255:                              ;   in Loop: Header=BB341_16 Depth=1
	v_clz_i32_u32_e32 v10, v1
	s_delay_alu instid0(VALU_DEP_1) | instskip(NEXT) | instid1(VALU_DEP_1)
	v_min_u32_e32 v10, 32, v10
	v_subrev_nc_u32_e32 v53, 28, v10
	v_sub_nc_u32_e32 v10, 29, v10
	s_delay_alu instid0(VALU_DEP_2) | instskip(NEXT) | instid1(VALU_DEP_1)
	v_lshlrev_b64 v[55:56], v53, v[1:2]
	v_and_b32_e32 v1, 7, v55
	s_branch .LBB341_11
.LBB341_256:
	s_or_b32 exec_lo, exec_lo, s47
.LBB341_257:
	s_delay_alu instid0(SALU_CYCLE_1) | instskip(SKIP_1) | instid1(VALU_DEP_1)
	s_or_b32 exec_lo, exec_lo, s44
	v_mbcnt_lo_u32_b32 v1, -1, 0
	v_xor_b32_e32 v2, 16, v1
	v_xor_b32_e32 v4, 8, v1
	s_delay_alu instid0(VALU_DEP_2) | instskip(SKIP_1) | instid1(VALU_DEP_3)
	v_cmp_gt_i32_e32 vcc_lo, 32, v2
	v_cndmask_b32_e32 v2, v1, v2, vcc_lo
	v_cmp_gt_i32_e32 vcc_lo, 32, v4
	v_max_f32_e32 v7, v14, v14
	s_delay_alu instid0(VALU_DEP_3) | instskip(SKIP_4) | instid1(VALU_DEP_1)
	v_lshlrev_b32_e32 v2, 2, v2
	v_cndmask_b32_e32 v4, v1, v4, vcc_lo
	ds_bpermute_b32 v3, v2, v14
	s_waitcnt lgkmcnt(0)
	v_dual_max_f32 v8, v3, v3 :: v_dual_lshlrev_b32 v3, 2, v4
	v_max_f32_e32 v4, v7, v8
	v_xor_b32_e32 v8, 4, v1
	ds_bpermute_b32 v7, v3, v4
	v_cmp_gt_i32_e32 vcc_lo, 32, v8
	s_waitcnt lgkmcnt(0)
	v_dual_cndmask_b32 v8, v1, v8 :: v_dual_max_f32 v9, v7, v7
	s_delay_alu instid0(VALU_DEP_1) | instskip(SKIP_4) | instid1(VALU_DEP_1)
	v_dual_max_f32 v4, v4, v9 :: v_dual_lshlrev_b32 v7, 2, v8
	v_xor_b32_e32 v9, 2, v1
	ds_bpermute_b32 v8, v7, v4
	v_cmp_gt_i32_e32 vcc_lo, 32, v9
	v_cndmask_b32_e32 v9, v1, v9, vcc_lo
	v_lshlrev_b32_e32 v19, 2, v9
	v_xor_b32_e32 v9, 1, v1
	s_delay_alu instid0(VALU_DEP_1) | instskip(SKIP_3) | instid1(VALU_DEP_2)
	v_cmp_gt_i32_e32 vcc_lo, 32, v9
	s_waitcnt lgkmcnt(0)
	v_dual_max_f32 v8, v8, v8 :: v_dual_cndmask_b32 v9, v1, v9
	v_cmp_eq_u32_e32 vcc_lo, 0, v17
	v_max_f32_e32 v4, v4, v8
	s_delay_alu instid0(VALU_DEP_3) | instskip(SKIP_3) | instid1(VALU_DEP_1)
	v_lshlrev_b32_e32 v20, 2, v9
	ds_bpermute_b32 v8, v19, v4
	s_waitcnt lgkmcnt(0)
	v_max_f32_e32 v8, v8, v8
	v_max_f32_e32 v1, v4, v8
	v_lshlrev_b32_e32 v8, 2, v16
	ds_bpermute_b32 v4, v20, v1
	s_and_saveexec_b32 s0, vcc_lo
	s_cbranch_execz .LBB341_259
; %bb.258:
	s_waitcnt lgkmcnt(0)
	v_dual_max_f32 v4, v4, v4 :: v_dual_max_f32 v1, v1, v1
	s_delay_alu instid0(VALU_DEP_1)
	v_max_f32_e32 v1, v1, v4
	ds_store_b32 v8, v1 offset:64
.LBB341_259:
	s_or_b32 exec_lo, exec_lo, s0
	v_cmp_gt_u32_e64 s0, 4, v17
	v_mov_b32_e32 v1, 0xff7fffff
	s_waitcnt lgkmcnt(0)
	s_barrier
	buffer_gl0_inv
	s_and_saveexec_b32 s1, s0
	s_cbranch_execz .LBB341_261
; %bb.260:
	ds_load_b32 v1, v13 offset:64
.LBB341_261:
	s_or_b32 exec_lo, exec_lo, s1
	s_waitcnt lgkmcnt(0)
	ds_bpermute_b32 v4, v19, v1
	v_max_f32_e32 v1, v1, v1
	s_sub_i32 s1, s16, s43
	v_mov_b32_e32 v9, 0
	s_lshl_b32 s1, s1, 5
	s_delay_alu instid0(SALU_CYCLE_1) | instskip(NEXT) | instid1(SALU_CYCLE_1)
	s_add_i32 s1, s1, s25
	s_min_i32 s1, s1, s33
	s_delay_alu instid0(SALU_CYCLE_1) | instskip(NEXT) | instid1(SALU_CYCLE_1)
	s_sub_i32 s4, s1, s25
	v_cmp_gt_i32_e64 s1, s4, v0
	s_waitcnt lgkmcnt(0)
	v_max_f32_e32 v4, v4, v4
	s_delay_alu instid0(VALU_DEP_1) | instskip(SKIP_3) | instid1(VALU_DEP_1)
	v_max_f32_e32 v1, v1, v4
	ds_bpermute_b32 v4, v20, v1
	s_waitcnt lgkmcnt(0)
	v_max_f32_e32 v4, v4, v4
	v_max_f32_e32 v1, v1, v4
	v_lshl_add_u32 v4, v0, 2, 0x60
	ds_bpermute_b32 v1, v9, v1
	s_and_saveexec_b32 s5, s1
	s_cbranch_execz .LBB341_265
; %bb.262:
	v_lshl_add_u32 v10, v0, 2, 0x60
	v_mov_b32_e32 v9, 0
	v_mov_b32_e32 v11, v0
	s_mov_b32 s10, 0
	.p2align	6
.LBB341_263:                            ; =>This Inner Loop Header: Depth=1
	ds_load_b32 v12, v10
	v_add_nc_u32_e32 v11, 0x80, v11
	s_delay_alu instid0(VALU_DEP_1) | instskip(NEXT) | instid1(VALU_DEP_1)
	v_cmp_le_i32_e64 s3, s4, v11
	s_or_b32 s10, s3, s10
	s_waitcnt lgkmcnt(0)
	v_sub_f32_e32 v12, v12, v1
	s_delay_alu instid0(VALU_DEP_1) | instskip(NEXT) | instid1(VALU_DEP_1)
	v_mul_f32_e32 v12, 0x3fb8aa3b, v12
	v_exp_f32_e32 v12, v12
	ds_store_b32 v10, v12
	v_dual_add_f32 v9, v9, v12 :: v_dual_add_nc_u32 v10, 0x200, v10
	s_and_not1_b32 exec_lo, exec_lo, s10
	s_cbranch_execnz .LBB341_263
; %bb.264:
	s_or_b32 exec_lo, exec_lo, s10
.LBB341_265:
	s_delay_alu instid0(SALU_CYCLE_1)
	s_or_b32 exec_lo, exec_lo, s5
	ds_bpermute_b32 v2, v2, v9
	s_waitcnt lgkmcnt(0)
	v_add_f32_e32 v2, v9, v2
	ds_bpermute_b32 v3, v3, v2
	s_waitcnt lgkmcnt(0)
	v_add_f32_e32 v2, v2, v3
	;; [unrolled: 3-line block ×5, first 2 shown]
	s_and_saveexec_b32 s3, vcc_lo
	s_cbranch_execz .LBB341_267
; %bb.266:
	ds_store_b32 v8, v2 offset:80
.LBB341_267:
	s_or_b32 exec_lo, exec_lo, s3
	s_waitcnt lgkmcnt(0)
	s_barrier
	buffer_gl0_inv
	s_and_saveexec_b32 s3, s0
	s_cbranch_execz .LBB341_269
; %bb.268:
	ds_load_b32 v2, v13 offset:80
.LBB341_269:
	s_or_b32 exec_lo, exec_lo, s3
	s_waitcnt lgkmcnt(0)
	ds_bpermute_b32 v3, v19, v2
	s_waitcnt lgkmcnt(0)
	v_add_f32_e32 v2, v2, v3
	ds_bpermute_b32 v3, v20, v2
	s_waitcnt lgkmcnt(0)
	v_dual_add_f32 v2, v2, v3 :: v_dual_mov_b32 v3, 0
	ds_bpermute_b32 v2, v3, v2
	s_and_saveexec_b32 s0, s1
	s_cbranch_execz .LBB341_272
; %bb.270:
	s_waitcnt lgkmcnt(0)
	v_add_f32_e32 v3, 0x358637bd, v2
	s_mov_b32 s1, 0
	s_delay_alu instid0(VALU_DEP_1) | instskip(NEXT) | instid1(VALU_DEP_1)
	v_div_scale_f32 v7, null, v3, v3, 1.0
	v_rcp_f32_e32 v8, v7
	s_waitcnt_depctr 0xfff
	v_fma_f32 v9, -v7, v8, 1.0
	s_delay_alu instid0(VALU_DEP_1) | instskip(SKIP_1) | instid1(VALU_DEP_1)
	v_fmac_f32_e32 v8, v9, v8
	v_div_scale_f32 v10, vcc_lo, 1.0, v3, 1.0
	v_mul_f32_e32 v9, v10, v8
	s_delay_alu instid0(VALU_DEP_1) | instskip(NEXT) | instid1(VALU_DEP_1)
	v_fma_f32 v11, -v7, v9, v10
	v_fmac_f32_e32 v9, v11, v8
	s_delay_alu instid0(VALU_DEP_1) | instskip(NEXT) | instid1(VALU_DEP_1)
	v_fma_f32 v7, -v7, v9, v10
	v_div_fmas_f32 v7, v7, v8, v9
	s_delay_alu instid0(VALU_DEP_1)
	v_div_fixup_f32 v3, v7, v3, 1.0
	v_mov_b32_e32 v7, v0
.LBB341_271:                            ; =>This Inner Loop Header: Depth=1
	ds_load_b32 v8, v4
	s_waitcnt lgkmcnt(0)
	v_dual_mul_f32 v8, v3, v8 :: v_dual_add_nc_u32 v7, 0x80, v7
	s_delay_alu instid0(VALU_DEP_1) | instskip(SKIP_3) | instid1(SALU_CYCLE_1)
	v_cmp_le_i32_e32 vcc_lo, s4, v7
	ds_store_b32 v4, v8
	v_add_nc_u32_e32 v4, 0x200, v4
	s_or_b32 s1, vcc_lo, s1
	s_and_not1_b32 exec_lo, exec_lo, s1
	s_cbranch_execnz .LBB341_271
.LBB341_272:
	s_or_b32 exec_lo, exec_lo, s0
	s_mul_i32 s0, s8, s14
	s_waitcnt lgkmcnt(0)
	s_mul_i32 s4, s0, s15
	s_mov_b32 s0, exec_lo
	s_barrier
	buffer_gl0_inv
	v_cmpx_eq_u32_e32 0, v0
	s_cbranch_execz .LBB341_274
; %bb.273:
	s_ashr_i32 s5, s4, 31
	s_mul_i32 s14, s8, s12
	s_lshl_b64 s[10:11], s[4:5], 2
	v_mov_b32_e32 v3, 0
	s_add_u32 s1, s22, s10
	s_addc_u32 s3, s23, s11
	s_ashr_i32 s15, s14, 31
	s_delay_alu instid0(SALU_CYCLE_1) | instskip(NEXT) | instid1(SALU_CYCLE_1)
	s_lshl_b64 s[14:15], s[14:15], 2
	s_add_u32 s1, s1, s14
	s_addc_u32 s3, s3, s15
	s_ashr_i32 s25, s24, 31
	s_delay_alu instid0(SALU_CYCLE_1) | instskip(NEXT) | instid1(SALU_CYCLE_1)
	s_lshl_b64 s[22:23], s[24:25], 2
	s_add_u32 s42, s1, s22
	s_addc_u32 s43, s3, s23
	s_add_u32 s1, s20, s10
	s_addc_u32 s3, s21, s11
	;; [unrolled: 2-line block ×4, first 2 shown]
	s_clause 0x1
	global_store_b32 v3, v1, s[42:43]
	global_store_b32 v3, v2, s[10:11]
.LBB341_274:
	s_or_b32 exec_lo, exec_lo, s0
	v_dual_mov_b32 v4, 0 :: v_dual_and_b32 v21, 3, v0
	v_dual_mov_b32 v3, 0 :: v_dual_mov_b32 v2, 0
	v_mov_b32_e32 v1, 0
	s_mov_b32 s12, 0
	s_and_saveexec_b32 s1, s2
	s_cbranch_execz .LBB341_528
; %bb.275:
	s_sub_i32 s5, s41, s17
	s_ashr_i32 s0, s13, 31
	s_add_u32 s11, s36, s13
	s_addc_u32 s0, s37, s0
	s_abs_i32 s10, s18
	s_mov_b32 s13, s12
	v_cvt_f32_u32_e32 v1, s10
	s_sub_i32 s17, 0, s10
	s_mov_b32 s14, s12
	s_mov_b32 s15, s12
	v_lshlrev_b32_e32 v9, 5, v21
	v_rcp_iflag_f32_e32 v1, v1
	v_lshlrev_b32_e32 v8, 3, v0
	v_lshlrev_b64 v[6:7], 2, v[5:6]
	s_lshl_b64 s[20:21], s[34:35], 2
	s_add_i32 s40, s40, -1
	s_mov_b32 s2, -1
	s_mov_b32 s3, 0xffffff
	s_waitcnt_depctr 0xfff
	v_dual_mul_f32 v1, 0x4f7ffffe, v1 :: v_dual_and_b32 v22, 24, v8
	v_and_b32_e32 v8, 0xf8, v8
	s_delay_alu instid0(VALU_DEP_2) | instskip(SKIP_2) | instid1(VALU_DEP_3)
	v_cvt_u32_f32_e32 v10, v1
	v_dual_mov_b32 v1, s12 :: v_dual_mov_b32 v4, s15
	v_dual_mov_b32 v3, s14 :: v_dual_mov_b32 v2, s13
	v_mul_lo_u32 v11, s17, v10
	v_lshl_or_b32 v12, v16, 7, v9
	s_add_u32 s13, s30, s20
	s_addc_u32 s14, s31, s21
	v_add_co_u32 v6, vcc_lo, s13, v6
	v_add_co_ci_u32_e32 v7, vcc_lo, s14, v7, vcc_lo
	s_delay_alu instid0(VALU_DEP_4) | instskip(SKIP_1) | instid1(VALU_DEP_2)
	v_mul_hi_u32 v11, v10, v11
	v_add_nc_u32_e32 v23, 0x60, v12
	v_dual_mov_b32 v11, 0 :: v_dual_add_nc_u32 v24, v10, v11
	v_add_co_u32 v8, s11, s11, v8
	s_delay_alu instid0(VALU_DEP_1)
	v_add_co_ci_u32_e64 v9, null, s0, 0, s11
	s_mov_b32 s11, s33
	s_branch .LBB341_278
.LBB341_276:                            ;   in Loop: Header=BB341_278 Depth=1
	s_or_b32 exec_lo, exec_lo, s0
	;;#ASMSTART
	v_pk_mul_f16 v25, v38, v42;

	;;#ASMEND
	;;#ASMSTART
	v_pk_mul_f16 v13, v37, v13;

	;;#ASMEND
	;; [unrolled: 4-line block ×4, first 2 shown]
	;;#ASMSTART
	v_pk_add_f16 v13, v25, v13;

	;;#ASMEND
	;;#ASMSTART
	v_pk_add_f16 v10, v13, v10;

	;;#ASMEND
	;; [unrolled: 4-line block ×3, first 2 shown]
	v_dual_add_f32 v25, v39, v40 :: v_dual_and_b32 v12, 0xffff, v10
	v_lshrrev_b32_e32 v10, 16, v10
	;;#ASMSTART
	v_cvt_f32_f16 v12, v12;
	;;#ASMEND
	;;#ASMSTART
	v_cvt_f32_f16 v10, v10;
	;;#ASMEND
	v_dual_add_f32 v13, v33, v34 :: v_dual_add_f32 v14, v14, v15
	s_delay_alu instid0(VALU_DEP_2) | instskip(SKIP_1) | instid1(VALU_DEP_3)
	v_add_f32_e32 v10, v12, v10
	v_add_f32_e32 v2, v2, v25
	;; [unrolled: 1-line block ×3, first 2 shown]
	s_delay_alu instid0(VALU_DEP_4) | instskip(NEXT) | instid1(VALU_DEP_4)
	v_add_f32_e32 v3, v3, v14
	v_add_f32_e32 v4, v4, v10
.LBB341_277:                            ;   in Loop: Header=BB341_278 Depth=1
	s_or_b32 exec_lo, exec_lo, s13
	v_add_nc_u32_e32 v5, 4, v5
	v_add_co_u32 v6, s0, v6, 16
	s_delay_alu instid0(VALU_DEP_1) | instskip(NEXT) | instid1(VALU_DEP_3)
	v_add_co_ci_u32_e64 v7, s0, 0, v7, s0
	v_cmp_le_i32_e32 vcc_lo, s16, v5
	v_add_nc_u32_e32 v18, 0x80, v18
	v_add_nc_u32_e32 v23, 0x200, v23
	s_or_b32 s12, vcc_lo, s12
	s_delay_alu instid0(SALU_CYCLE_1)
	s_and_not1_b32 exec_lo, exec_lo, s12
	s_cbranch_execz .LBB341_527
.LBB341_278:                            ; =>This Inner Loop Header: Depth=1
	v_sub_nc_u32_e32 v10, 0, v18
	s_delay_alu instid0(VALU_DEP_1) | instskip(NEXT) | instid1(VALU_DEP_1)
	v_max_i32_e32 v10, v18, v10
	v_mul_hi_u32 v12, v10, s38
	s_delay_alu instid0(VALU_DEP_1) | instskip(NEXT) | instid1(VALU_DEP_1)
	v_mul_lo_u32 v13, v12, s27
	v_sub_nc_u32_e32 v10, v10, v13
	s_delay_alu instid0(VALU_DEP_1) | instskip(SKIP_1) | instid1(VALU_DEP_2)
	v_subrev_nc_u32_e32 v14, s27, v10
	v_cmp_le_u32_e32 vcc_lo, s27, v10
	v_dual_cndmask_b32 v10, v10, v14 :: v_dual_add_nc_u32 v13, 1, v12
	s_delay_alu instid0(VALU_DEP_1) | instskip(SKIP_1) | instid1(VALU_DEP_3)
	v_cndmask_b32_e32 v12, v12, v13, vcc_lo
	v_ashrrev_i32_e32 v13, 31, v18
	v_cmp_le_u32_e32 vcc_lo, s27, v10
	s_delay_alu instid0(VALU_DEP_3) | instskip(NEXT) | instid1(VALU_DEP_3)
	v_add_nc_u32_e32 v14, 1, v12
	v_xor_b32_e32 v13, s19, v13
	s_delay_alu instid0(VALU_DEP_2) | instskip(NEXT) | instid1(VALU_DEP_1)
	v_cndmask_b32_e32 v10, v12, v14, vcc_lo
	v_xor_b32_e32 v10, v10, v13
	s_delay_alu instid0(VALU_DEP_1) | instskip(NEXT) | instid1(VALU_DEP_1)
	v_sub_nc_u32_e32 v10, v10, v13
	v_add_nc_u32_e32 v12, s39, v10
	v_cmp_lt_i32_e64 s0, s5, v10
	s_delay_alu instid0(VALU_DEP_2) | instskip(NEXT) | instid1(VALU_DEP_1)
	v_sub_nc_u32_e32 v13, 0, v12
	v_max_i32_e32 v13, v12, v13
	v_ashrrev_i32_e32 v12, 31, v12
	s_delay_alu instid0(VALU_DEP_2) | instskip(NEXT) | instid1(VALU_DEP_1)
	v_mul_hi_u32 v14, v13, v24
	v_mul_lo_u32 v14, v14, s10
	s_delay_alu instid0(VALU_DEP_1) | instskip(NEXT) | instid1(VALU_DEP_1)
	v_sub_nc_u32_e32 v13, v13, v14
	v_subrev_nc_u32_e32 v14, s10, v13
	v_cmp_le_u32_e32 vcc_lo, s10, v13
	s_delay_alu instid0(VALU_DEP_2) | instskip(NEXT) | instid1(VALU_DEP_1)
	v_cndmask_b32_e32 v13, v13, v14, vcc_lo
	v_subrev_nc_u32_e32 v14, s10, v13
	v_cmp_le_u32_e32 vcc_lo, s10, v13
	s_delay_alu instid0(VALU_DEP_2) | instskip(NEXT) | instid1(VALU_DEP_1)
	v_cndmask_b32_e32 v13, v13, v14, vcc_lo
	v_xor_b32_e32 v13, v13, v12
	s_delay_alu instid0(VALU_DEP_1) | instskip(NEXT) | instid1(VALU_DEP_1)
	v_sub_nc_u32_e32 v12, v13, v12
	v_cmp_eq_u32_e32 vcc_lo, 0, v12
	s_or_b32 s0, vcc_lo, s0
	s_delay_alu instid0(SALU_CYCLE_1)
	s_and_saveexec_b32 s13, s0
	s_cbranch_execz .LBB341_277
; %bb.279:                              ;   in Loop: Header=BB341_278 Depth=1
	global_load_b32 v10, v[6:7], off
	ds_load_2addr_b64 v[25:28], v23 offset1:1
	ds_load_2addr_b64 v[29:32], v23 offset0:2 offset1:3
	s_mov_b32 s0, exec_lo
	s_waitcnt lgkmcnt(1)
	;;#ASMSTART
	v_cvt_f16_f32 v33, v25;

	;;#ASMEND
	;;#ASMSTART
	v_cvt_f16_f32 v34, v26;

	;;#ASMEND
	;;#ASMSTART
	v_cvt_f16_f32 v37, v27;

	;;#ASMEND
	;;#ASMSTART
	v_cvt_f16_f32 v35, v28;

	;;#ASMEND
	s_waitcnt lgkmcnt(0)
	;;#ASMSTART
	v_cvt_f16_f32 v38, v29;

	;;#ASMEND
	;;#ASMSTART
	v_cvt_f16_f32 v36, v30;

	;;#ASMEND
	;;#ASMSTART
	v_cvt_f16_f32 v40, v31;

	;;#ASMEND
	;;#ASMSTART
	v_cvt_f16_f32 v39, v32;

	;;#ASMEND
	v_mov_b32_e32 v27, 0
	v_mov_b32_e32 v25, 0
	s_waitcnt vmcnt(0)
	v_mad_i64_i32 v[12:13], null, v10, s9, v[8:9]
	global_load_b64 v[14:15], v[12:13], off
	global_load_b32 v26, v11, s[6:7]
	s_waitcnt vmcnt(1)
	v_and_b32_e32 v10, 0xff, v14
	s_delay_alu instid0(VALU_DEP_1)
	v_cmpx_ne_u16_e32 0, v10
	s_cbranch_execz .LBB341_285
; %bb.280:                              ;   in Loop: Header=BB341_278 Depth=1
	v_bfrev_b32_e32 v27, 1
	s_mov_b32 s14, exec_lo
	v_cmpx_ne_u16_e32 0x80, v10
	s_cbranch_execz .LBB341_284
; %bb.281:                              ;   in Loop: Header=BB341_278 Depth=1
	v_and_b32_e32 v10, 0x7f, v14
	v_mov_b32_e32 v27, 0x7fc02000
	s_mov_b32 s15, exec_lo
	s_delay_alu instid0(VALU_DEP_2)
	v_cmpx_ne_u32_e32 0x7f, v10
	s_cbranch_execz .LBB341_283
; %bb.282:                              ;   in Loop: Header=BB341_278 Depth=1
	v_cmp_gt_u32_e32 vcc_lo, 8, v10
	v_and_b32_e32 v27, 7, v14
	v_lshrrev_b32_e32 v28, 3, v10
	s_delay_alu instid0(VALU_DEP_2) | instskip(NEXT) | instid1(VALU_DEP_1)
	v_clz_i32_u32_e32 v27, v27
	v_min_u32_e32 v27, 32, v27
	s_delay_alu instid0(VALU_DEP_1) | instskip(SKIP_1) | instid1(VALU_DEP_1)
	v_subrev_nc_u32_e32 v29, 28, v27
	v_sub_nc_u32_e32 v27, 29, v27
	v_dual_cndmask_b32 v10, 0, v29 :: v_dual_cndmask_b32 v29, v28, v27
	s_delay_alu instid0(VALU_DEP_1) | instskip(SKIP_1) | instid1(VALU_DEP_3)
	v_lshlrev_b64 v[27:28], v10, v[14:15]
	v_lshlrev_b32_e32 v10, 8, v14
	v_lshl_add_u32 v28, v29, 10, 0x2000
	s_delay_alu instid0(VALU_DEP_3) | instskip(NEXT) | instid1(VALU_DEP_2)
	v_lshlrev_b32_e32 v27, 7, v27
	v_and_or_b32 v10, 0x8000, v10, v28
	s_delay_alu instid0(VALU_DEP_1) | instskip(NEXT) | instid1(VALU_DEP_1)
	v_and_or_b32 v10, 0x380, v27, v10
	v_cvt_f32_f16_e32 v27, v10
.LBB341_283:                            ;   in Loop: Header=BB341_278 Depth=1
	s_or_b32 exec_lo, exec_lo, s15
.LBB341_284:                            ;   in Loop: Header=BB341_278 Depth=1
	s_delay_alu instid0(SALU_CYCLE_1)
	s_or_b32 exec_lo, exec_lo, s14
.LBB341_285:                            ;   in Loop: Header=BB341_278 Depth=1
	s_delay_alu instid0(SALU_CYCLE_1) | instskip(SKIP_2) | instid1(VALU_DEP_1)
	s_or_b32 exec_lo, exec_lo, s0
	v_lshrrev_b16 v10, 8, v14
	s_mov_b32 s0, exec_lo
	v_cmpx_ne_u16_e32 0, v10
	s_cbranch_execz .LBB341_293
; %bb.286:                              ;   in Loop: Header=BB341_278 Depth=1
	v_bfrev_b32_e32 v25, 1
	s_mov_b32 s14, exec_lo
	v_cmpx_ne_u16_e32 0x80, v10
	s_cbranch_execz .LBB341_292
; %bb.287:                              ;   in Loop: Header=BB341_278 Depth=1
	v_and_b32_e32 v28, 0xffff, v10
	v_mov_b32_e32 v25, 0x7fc02000
	s_mov_b32 s15, exec_lo
	s_delay_alu instid0(VALU_DEP_2) | instskip(NEXT) | instid1(VALU_DEP_1)
	v_and_b32_e32 v29, 0x7f, v28
	v_cmpx_ne_u32_e32 0x7f, v29
	s_cbranch_execz .LBB341_291
; %bb.288:                              ;   in Loop: Header=BB341_278 Depth=1
	v_and_b32_e32 v10, 7, v28
	v_lshrrev_b32_e32 v25, 3, v29
	s_mov_b32 s17, exec_lo
	v_cmpx_gt_u32_e32 8, v29
; %bb.289:                              ;   in Loop: Header=BB341_278 Depth=1
	s_delay_alu instid0(VALU_DEP_3) | instskip(NEXT) | instid1(VALU_DEP_1)
	v_clz_i32_u32_e32 v25, v10
	v_min_u32_e32 v25, 32, v25
	s_delay_alu instid0(VALU_DEP_1) | instskip(SKIP_1) | instid1(VALU_DEP_2)
	v_subrev_nc_u32_e32 v29, 28, v25
	v_sub_nc_u32_e32 v25, 29, v25
	v_lshlrev_b64 v[29:30], v29, v[10:11]
	s_delay_alu instid0(VALU_DEP_1)
	v_and_b32_e32 v10, 7, v29
; %bb.290:                              ;   in Loop: Header=BB341_278 Depth=1
	s_or_b32 exec_lo, exec_lo, s17
	v_lshlrev_b32_e32 v28, 8, v28
	v_lshl_add_u32 v25, v25, 10, 0x2000
	s_delay_alu instid0(VALU_DEP_1) | instskip(NEXT) | instid1(VALU_DEP_1)
	v_and_or_b32 v25, 0x8000, v28, v25
	v_lshl_or_b32 v10, v10, 7, v25
	s_delay_alu instid0(VALU_DEP_1)
	v_cvt_f32_f16_e32 v25, v10
.LBB341_291:                            ;   in Loop: Header=BB341_278 Depth=1
	s_or_b32 exec_lo, exec_lo, s15
.LBB341_292:                            ;   in Loop: Header=BB341_278 Depth=1
	s_delay_alu instid0(SALU_CYCLE_1)
	s_or_b32 exec_lo, exec_lo, s14
.LBB341_293:                            ;   in Loop: Header=BB341_278 Depth=1
	s_delay_alu instid0(SALU_CYCLE_1) | instskip(SKIP_3) | instid1(VALU_DEP_2)
	s_or_b32 exec_lo, exec_lo, s0
	v_lshrrev_b32_e32 v30, 16, v14
	v_mov_b32_e32 v28, 0
	s_mov_b32 s0, exec_lo
	v_dual_mov_b32 v29, 0 :: v_dual_and_b32 v10, 0xff, v30
	s_delay_alu instid0(VALU_DEP_1)
	v_cmpx_ne_u16_e32 0, v10
	s_cbranch_execz .LBB341_301
; %bb.294:                              ;   in Loop: Header=BB341_278 Depth=1
	v_bfrev_b32_e32 v28, 1
	s_mov_b32 s14, exec_lo
	v_cmpx_ne_u16_e32 0x80, v10
	s_cbranch_execz .LBB341_300
; %bb.295:                              ;   in Loop: Header=BB341_278 Depth=1
	v_bfe_u32 v31, v14, 16, 7
	v_mov_b32_e32 v28, 0x7fc02000
	s_mov_b32 s15, exec_lo
	s_delay_alu instid0(VALU_DEP_2)
	v_cmpx_ne_u32_e32 0x7f, v31
	s_cbranch_execz .LBB341_299
; %bb.296:                              ;   in Loop: Header=BB341_278 Depth=1
	v_and_b32_e32 v10, 7, v30
	v_lshrrev_b32_e32 v28, 3, v31
	s_mov_b32 s17, exec_lo
	v_cmpx_gt_u32_e32 8, v31
; %bb.297:                              ;   in Loop: Header=BB341_278 Depth=1
	s_delay_alu instid0(VALU_DEP_3) | instskip(NEXT) | instid1(VALU_DEP_1)
	v_clz_i32_u32_e32 v28, v10
	v_min_u32_e32 v28, 32, v28
	s_delay_alu instid0(VALU_DEP_1) | instskip(SKIP_1) | instid1(VALU_DEP_2)
	v_subrev_nc_u32_e32 v31, 28, v28
	v_sub_nc_u32_e32 v28, 29, v28
	v_lshlrev_b64 v[31:32], v31, v[10:11]
	s_delay_alu instid0(VALU_DEP_1)
	v_and_b32_e32 v10, 7, v31
; %bb.298:                              ;   in Loop: Header=BB341_278 Depth=1
	s_or_b32 exec_lo, exec_lo, s17
	v_lshlrev_b32_e32 v30, 8, v30
	v_lshl_add_u32 v28, v28, 10, 0x2000
	s_delay_alu instid0(VALU_DEP_1) | instskip(NEXT) | instid1(VALU_DEP_1)
	v_and_or_b32 v28, 0x8000, v30, v28
	v_lshl_or_b32 v10, v10, 7, v28
	s_delay_alu instid0(VALU_DEP_1)
	v_cvt_f32_f16_e32 v28, v10
.LBB341_299:                            ;   in Loop: Header=BB341_278 Depth=1
	s_or_b32 exec_lo, exec_lo, s15
.LBB341_300:                            ;   in Loop: Header=BB341_278 Depth=1
	s_delay_alu instid0(SALU_CYCLE_1)
	s_or_b32 exec_lo, exec_lo, s14
.LBB341_301:                            ;   in Loop: Header=BB341_278 Depth=1
	s_delay_alu instid0(SALU_CYCLE_1) | instskip(NEXT) | instid1(SALU_CYCLE_1)
	s_or_b32 exec_lo, exec_lo, s0
	s_mov_b32 s0, exec_lo
	v_cmpx_lt_u32_e32 0xffffff, v14
	s_cbranch_execz .LBB341_309
; %bb.302:                              ;   in Loop: Header=BB341_278 Depth=1
	v_lshrrev_b32_e32 v30, 24, v14
	v_bfrev_b32_e32 v29, 1
	s_mov_b32 s14, exec_lo
	s_delay_alu instid0(VALU_DEP_2)
	v_cmpx_ne_u32_e32 0x80, v30
	s_cbranch_execz .LBB341_308
; %bb.303:                              ;   in Loop: Header=BB341_278 Depth=1
	v_and_b32_e32 v31, 0x7f, v30
	v_mov_b32_e32 v29, 0x7fc02000
	s_mov_b32 s15, exec_lo
	s_delay_alu instid0(VALU_DEP_2)
	v_cmpx_ne_u32_e32 0x7f, v31
	s_cbranch_execz .LBB341_307
; %bb.304:                              ;   in Loop: Header=BB341_278 Depth=1
	v_and_b32_e32 v10, 7, v30
	v_lshrrev_b32_e32 v29, 3, v31
	s_mov_b32 s17, exec_lo
	v_cmpx_gt_u32_e32 8, v31
; %bb.305:                              ;   in Loop: Header=BB341_278 Depth=1
	s_delay_alu instid0(VALU_DEP_3) | instskip(NEXT) | instid1(VALU_DEP_1)
	v_clz_i32_u32_e32 v29, v10
	v_min_u32_e32 v29, 32, v29
	s_delay_alu instid0(VALU_DEP_1) | instskip(SKIP_1) | instid1(VALU_DEP_2)
	v_subrev_nc_u32_e32 v31, 28, v29
	v_sub_nc_u32_e32 v29, 29, v29
	v_lshlrev_b64 v[31:32], v31, v[10:11]
	s_delay_alu instid0(VALU_DEP_1)
	v_and_b32_e32 v10, 7, v31
; %bb.306:                              ;   in Loop: Header=BB341_278 Depth=1
	s_or_b32 exec_lo, exec_lo, s17
	v_lshlrev_b32_e32 v30, 8, v30
	v_lshl_add_u32 v29, v29, 10, 0x2000
	s_delay_alu instid0(VALU_DEP_1) | instskip(NEXT) | instid1(VALU_DEP_1)
	v_and_or_b32 v29, 0x8000, v30, v29
	v_lshl_or_b32 v10, v10, 7, v29
	s_delay_alu instid0(VALU_DEP_1)
	v_cvt_f32_f16_e32 v29, v10
.LBB341_307:                            ;   in Loop: Header=BB341_278 Depth=1
	s_or_b32 exec_lo, exec_lo, s15
.LBB341_308:                            ;   in Loop: Header=BB341_278 Depth=1
	s_delay_alu instid0(SALU_CYCLE_1)
	s_or_b32 exec_lo, exec_lo, s14
.LBB341_309:                            ;   in Loop: Header=BB341_278 Depth=1
	s_delay_alu instid0(SALU_CYCLE_1) | instskip(SKIP_4) | instid1(VALU_DEP_3)
	s_or_b32 exec_lo, exec_lo, s0
	v_dual_mov_b32 v31, 0 :: v_dual_and_b32 v32, 0xff, v15
	v_mov_b32_e32 v10, v15
	v_mov_b32_e32 v30, 0
	s_mov_b32 s0, exec_lo
	v_cmpx_ne_u16_e32 0, v32
	s_cbranch_execz .LBB341_315
; %bb.310:                              ;   in Loop: Header=BB341_278 Depth=1
	v_bfrev_b32_e32 v30, 1
	s_mov_b32 s14, exec_lo
	v_cmpx_ne_u16_e32 0x80, v32
	s_cbranch_execz .LBB341_314
; %bb.311:                              ;   in Loop: Header=BB341_278 Depth=1
	v_and_b32_e32 v32, 0x7f, v15
	v_mov_b32_e32 v30, 0x7fc02000
	s_mov_b32 s15, exec_lo
	s_delay_alu instid0(VALU_DEP_2)
	v_cmpx_ne_u32_e32 0x7f, v32
	s_cbranch_execz .LBB341_313
; %bb.312:                              ;   in Loop: Header=BB341_278 Depth=1
	v_and_b32_e32 v30, 7, v15
	v_cmp_gt_u32_e32 vcc_lo, 8, v32
	v_lshrrev_b32_e32 v41, 3, v32
	s_delay_alu instid0(VALU_DEP_3) | instskip(NEXT) | instid1(VALU_DEP_1)
	v_clz_i32_u32_e32 v30, v30
	v_min_u32_e32 v30, 32, v30
	s_delay_alu instid0(VALU_DEP_1) | instskip(SKIP_1) | instid1(VALU_DEP_2)
	v_subrev_nc_u32_e32 v42, 28, v30
	v_sub_nc_u32_e32 v30, 29, v30
	v_cndmask_b32_e32 v32, 0, v42, vcc_lo
	s_delay_alu instid0(VALU_DEP_2) | instskip(NEXT) | instid1(VALU_DEP_2)
	v_cndmask_b32_e32 v30, v41, v30, vcc_lo
	v_lshlrev_b64 v[41:42], v32, v[10:11]
	v_lshlrev_b32_e32 v32, 8, v15
	s_delay_alu instid0(VALU_DEP_3) | instskip(NEXT) | instid1(VALU_DEP_3)
	v_lshl_add_u32 v30, v30, 10, 0x2000
	v_lshlrev_b32_e32 v41, 7, v41
	s_delay_alu instid0(VALU_DEP_2) | instskip(NEXT) | instid1(VALU_DEP_1)
	v_and_or_b32 v30, 0x8000, v32, v30
	v_and_or_b32 v30, 0x380, v41, v30
	s_delay_alu instid0(VALU_DEP_1)
	v_cvt_f32_f16_e32 v30, v30
.LBB341_313:                            ;   in Loop: Header=BB341_278 Depth=1
	s_or_b32 exec_lo, exec_lo, s15
.LBB341_314:                            ;   in Loop: Header=BB341_278 Depth=1
	s_delay_alu instid0(SALU_CYCLE_1)
	s_or_b32 exec_lo, exec_lo, s14
.LBB341_315:                            ;   in Loop: Header=BB341_278 Depth=1
	s_delay_alu instid0(SALU_CYCLE_1) | instskip(SKIP_2) | instid1(VALU_DEP_1)
	s_or_b32 exec_lo, exec_lo, s0
	v_lshrrev_b16 v10, 8, v10
	s_mov_b32 s0, exec_lo
	v_cmpx_ne_u16_e32 0, v10
	s_cbranch_execz .LBB341_323
; %bb.316:                              ;   in Loop: Header=BB341_278 Depth=1
	v_bfrev_b32_e32 v31, 1
	s_mov_b32 s14, exec_lo
	v_cmpx_ne_u16_e32 0x80, v10
	s_cbranch_execz .LBB341_322
; %bb.317:                              ;   in Loop: Header=BB341_278 Depth=1
	v_and_b32_e32 v32, 0xffff, v10
	v_mov_b32_e32 v31, 0x7fc02000
	s_mov_b32 s15, exec_lo
	s_delay_alu instid0(VALU_DEP_2) | instskip(NEXT) | instid1(VALU_DEP_1)
	v_and_b32_e32 v41, 0x7f, v32
	v_cmpx_ne_u32_e32 0x7f, v41
	s_cbranch_execz .LBB341_321
; %bb.318:                              ;   in Loop: Header=BB341_278 Depth=1
	v_and_b32_e32 v10, 7, v32
	v_lshrrev_b32_e32 v31, 3, v41
	s_mov_b32 s17, exec_lo
	v_cmpx_gt_u32_e32 8, v41
; %bb.319:                              ;   in Loop: Header=BB341_278 Depth=1
	s_delay_alu instid0(VALU_DEP_3) | instskip(NEXT) | instid1(VALU_DEP_1)
	v_clz_i32_u32_e32 v31, v10
	v_min_u32_e32 v31, 32, v31
	s_delay_alu instid0(VALU_DEP_1) | instskip(SKIP_1) | instid1(VALU_DEP_2)
	v_subrev_nc_u32_e32 v41, 28, v31
	v_sub_nc_u32_e32 v31, 29, v31
	v_lshlrev_b64 v[41:42], v41, v[10:11]
	s_delay_alu instid0(VALU_DEP_1)
	v_and_b32_e32 v10, 7, v41
; %bb.320:                              ;   in Loop: Header=BB341_278 Depth=1
	s_or_b32 exec_lo, exec_lo, s17
	v_lshlrev_b32_e32 v32, 8, v32
	v_lshl_add_u32 v31, v31, 10, 0x2000
	s_delay_alu instid0(VALU_DEP_1) | instskip(NEXT) | instid1(VALU_DEP_1)
	v_and_or_b32 v31, 0x8000, v32, v31
	v_lshl_or_b32 v10, v10, 7, v31
	s_delay_alu instid0(VALU_DEP_1)
	v_cvt_f32_f16_e32 v31, v10
.LBB341_321:                            ;   in Loop: Header=BB341_278 Depth=1
	s_or_b32 exec_lo, exec_lo, s15
.LBB341_322:                            ;   in Loop: Header=BB341_278 Depth=1
	s_delay_alu instid0(SALU_CYCLE_1)
	s_or_b32 exec_lo, exec_lo, s14
.LBB341_323:                            ;   in Loop: Header=BB341_278 Depth=1
	s_delay_alu instid0(SALU_CYCLE_1) | instskip(SKIP_3) | instid1(VALU_DEP_2)
	s_or_b32 exec_lo, exec_lo, s0
	v_lshrrev_b32_e32 v42, 16, v15
	v_mov_b32_e32 v32, 0
	s_mov_b32 s0, exec_lo
	v_dual_mov_b32 v41, 0 :: v_dual_and_b32 v10, 0xff, v42
	s_delay_alu instid0(VALU_DEP_1)
	v_cmpx_ne_u16_e32 0, v10
	s_cbranch_execz .LBB341_331
; %bb.324:                              ;   in Loop: Header=BB341_278 Depth=1
	v_bfrev_b32_e32 v32, 1
	s_mov_b32 s14, exec_lo
	v_cmpx_ne_u16_e32 0x80, v10
	s_cbranch_execz .LBB341_330
; %bb.325:                              ;   in Loop: Header=BB341_278 Depth=1
	v_bfe_u32 v43, v15, 16, 7
	v_mov_b32_e32 v32, 0x7fc02000
	s_mov_b32 s15, exec_lo
	s_delay_alu instid0(VALU_DEP_2)
	v_cmpx_ne_u32_e32 0x7f, v43
	s_cbranch_execz .LBB341_329
; %bb.326:                              ;   in Loop: Header=BB341_278 Depth=1
	v_and_b32_e32 v10, 7, v42
	v_lshrrev_b32_e32 v32, 3, v43
	s_mov_b32 s17, exec_lo
	v_cmpx_gt_u32_e32 8, v43
; %bb.327:                              ;   in Loop: Header=BB341_278 Depth=1
	s_delay_alu instid0(VALU_DEP_3) | instskip(NEXT) | instid1(VALU_DEP_1)
	v_clz_i32_u32_e32 v32, v10
	v_min_u32_e32 v32, 32, v32
	s_delay_alu instid0(VALU_DEP_1) | instskip(SKIP_1) | instid1(VALU_DEP_2)
	v_subrev_nc_u32_e32 v43, 28, v32
	v_sub_nc_u32_e32 v32, 29, v32
	v_lshlrev_b64 v[43:44], v43, v[10:11]
	s_delay_alu instid0(VALU_DEP_1)
	v_and_b32_e32 v10, 7, v43
; %bb.328:                              ;   in Loop: Header=BB341_278 Depth=1
	s_or_b32 exec_lo, exec_lo, s17
	v_lshlrev_b32_e32 v42, 8, v42
	v_lshl_add_u32 v32, v32, 10, 0x2000
	s_delay_alu instid0(VALU_DEP_1) | instskip(NEXT) | instid1(VALU_DEP_1)
	v_and_or_b32 v32, 0x8000, v42, v32
	v_lshl_or_b32 v10, v10, 7, v32
	s_delay_alu instid0(VALU_DEP_1)
	v_cvt_f32_f16_e32 v32, v10
.LBB341_329:                            ;   in Loop: Header=BB341_278 Depth=1
	s_or_b32 exec_lo, exec_lo, s15
.LBB341_330:                            ;   in Loop: Header=BB341_278 Depth=1
	s_delay_alu instid0(SALU_CYCLE_1)
	s_or_b32 exec_lo, exec_lo, s14
.LBB341_331:                            ;   in Loop: Header=BB341_278 Depth=1
	s_delay_alu instid0(SALU_CYCLE_1) | instskip(NEXT) | instid1(SALU_CYCLE_1)
	s_or_b32 exec_lo, exec_lo, s0
	s_mov_b32 s0, exec_lo
	v_cmpx_lt_u64_e64 s[2:3], v[14:15]
	s_cbranch_execz .LBB341_339
; %bb.332:                              ;   in Loop: Header=BB341_278 Depth=1
	v_lshrrev_b32_e32 v14, 24, v15
	v_bfrev_b32_e32 v41, 1
	s_mov_b32 s14, exec_lo
	s_delay_alu instid0(VALU_DEP_2)
	v_cmpx_ne_u32_e32 0x80, v14
	s_cbranch_execz .LBB341_338
; %bb.333:                              ;   in Loop: Header=BB341_278 Depth=1
	v_and_b32_e32 v42, 0x7f, v14
	v_mov_b32_e32 v41, 0x7fc02000
	s_mov_b32 s15, exec_lo
	s_delay_alu instid0(VALU_DEP_2)
	v_cmpx_ne_u32_e32 0x7f, v42
	s_cbranch_execz .LBB341_337
; %bb.334:                              ;   in Loop: Header=BB341_278 Depth=1
	v_and_b32_e32 v10, 7, v14
	v_lshrrev_b32_e32 v15, 3, v42
	s_mov_b32 s17, exec_lo
	v_cmpx_gt_u32_e32 8, v42
; %bb.335:                              ;   in Loop: Header=BB341_278 Depth=1
	s_delay_alu instid0(VALU_DEP_3) | instskip(NEXT) | instid1(VALU_DEP_1)
	v_clz_i32_u32_e32 v15, v10
	v_min_u32_e32 v15, 32, v15
	s_delay_alu instid0(VALU_DEP_1) | instskip(SKIP_1) | instid1(VALU_DEP_2)
	v_subrev_nc_u32_e32 v41, 28, v15
	v_sub_nc_u32_e32 v15, 29, v15
	v_lshlrev_b64 v[41:42], v41, v[10:11]
	s_delay_alu instid0(VALU_DEP_1)
	v_and_b32_e32 v10, 7, v41
; %bb.336:                              ;   in Loop: Header=BB341_278 Depth=1
	s_or_b32 exec_lo, exec_lo, s17
	v_lshlrev_b32_e32 v14, 8, v14
	v_lshl_add_u32 v15, v15, 10, 0x2000
	s_delay_alu instid0(VALU_DEP_1) | instskip(NEXT) | instid1(VALU_DEP_1)
	v_and_or_b32 v14, 0x8000, v14, v15
	v_lshl_or_b32 v10, v10, 7, v14
	s_delay_alu instid0(VALU_DEP_1)
	v_cvt_f32_f16_e32 v41, v10
.LBB341_337:                            ;   in Loop: Header=BB341_278 Depth=1
	s_or_b32 exec_lo, exec_lo, s15
.LBB341_338:                            ;   in Loop: Header=BB341_278 Depth=1
	s_delay_alu instid0(SALU_CYCLE_1)
	s_or_b32 exec_lo, exec_lo, s14
.LBB341_339:                            ;   in Loop: Header=BB341_278 Depth=1
	s_delay_alu instid0(SALU_CYCLE_1)
	s_or_b32 exec_lo, exec_lo, s0
	s_waitcnt vmcnt(0)
	v_fma_mixlo_f16 v15, v26, v25, 0
	v_fma_mixlo_f16 v10, v26, v29, 0
	;; [unrolled: 1-line block ×5, first 2 shown]
	v_lshlrev_b32_e32 v28, 16, v15
	v_fma_mixlo_f16 v15, v26, v27, 0
	v_fma_mixlo_f16 v27, v26, v31, 0
	v_fma_mixlo_f16 v41, v26, v32, 0
	v_add_nc_u32_e32 v25, v22, v18
	v_lshlrev_b32_e32 v10, 16, v10
	v_and_b32_e32 v14, 0xffff, v14
	v_and_b32_e32 v26, 0xffff, v15
	v_lshlrev_b32_e32 v27, 16, v27
	v_and_b32_e32 v29, 0xffff, v29
	v_lshlrev_b32_e32 v30, 16, v30
	v_and_b32_e32 v31, 0xffff, v41
	v_cmp_eq_u32_e32 vcc_lo, s40, v5
	v_or_b32_e32 v15, v10, v14
	v_or_b32_e32 v42, v28, v26
	;; [unrolled: 1-line block ×4, first 2 shown]
	v_add_nc_u32_e32 v32, 1, v25
	v_or_b32_e32 v31, 3, v25
	v_or_b32_e32 v30, 2, v25
	;; [unrolled: 1-line block ×6, first 2 shown]
	s_and_saveexec_b32 s14, vcc_lo
	s_cbranch_execz .LBB341_341
; %bb.340:                              ;   in Loop: Header=BB341_278 Depth=1
	v_cmp_gt_i32_e64 s0, s33, v25
	v_lshrrev_b32_e32 v43, 16, v42
	v_lshrrev_b32_e32 v44, 16, v15
	v_lshrrev_b32_e32 v45, 16, v10
	v_lshrrev_b32_e32 v14, 16, v14
	v_cndmask_b32_e64 v42, 0, v42, s0
	v_cmp_gt_i32_e64 s0, s11, v32
	s_delay_alu instid0(VALU_DEP_1) | instskip(SKIP_1) | instid1(VALU_DEP_2)
	v_cndmask_b32_e64 v43, 0, v43, s0
	v_cmp_gt_i32_e64 s0, s11, v31
	v_perm_b32 v42, v43, v42, 0x5040100
	s_delay_alu instid0(VALU_DEP_2) | instskip(SKIP_1) | instid1(VALU_DEP_1)
	v_cndmask_b32_e64 v44, 0, v44, s0
	v_cmp_gt_i32_e64 s0, s33, v30
	v_cndmask_b32_e64 v15, 0, v15, s0
	v_cmp_gt_i32_e64 s0, s11, v29
	s_delay_alu instid0(VALU_DEP_2) | instskip(NEXT) | instid1(VALU_DEP_2)
	v_perm_b32 v15, v44, v15, 0x5040100
	v_cndmask_b32_e64 v45, 0, v45, s0
	v_cmp_gt_i32_e64 s0, s33, v28
	s_delay_alu instid0(VALU_DEP_1) | instskip(SKIP_1) | instid1(VALU_DEP_2)
	v_cndmask_b32_e64 v10, 0, v10, s0
	v_cmp_gt_i32_e64 s0, s11, v27
	v_perm_b32 v10, v45, v10, 0x5040100
	s_delay_alu instid0(VALU_DEP_2) | instskip(SKIP_1) | instid1(VALU_DEP_1)
	v_cndmask_b32_e64 v14, 0, v14, s0
	v_cmp_gt_i32_e64 s0, s33, v26
	v_cndmask_b32_e64 v41, 0, v41, s0
	s_delay_alu instid0(VALU_DEP_1)
	v_perm_b32 v14, v14, v41, 0x5040100
.LBB341_341:                            ;   in Loop: Header=BB341_278 Depth=1
	s_or_b32 exec_lo, exec_lo, s14
	v_and_b32_e32 v33, 0xffff, v33
	v_and_b32_e32 v37, 0xffff, v37
	;; [unrolled: 1-line block ×4, first 2 shown]
	s_mov_b32 s14, exec_lo
	s_delay_alu instid0(VALU_DEP_3) | instskip(NEXT) | instid1(VALU_DEP_3)
	v_lshl_or_b32 v37, v35, 16, v37
	v_lshl_or_b32 v36, v36, 16, v41
	v_mov_b32_e32 v41, 0
	v_lshl_or_b32 v35, v39, 16, v40
	v_mov_b32_e32 v40, 0
	v_lshl_or_b32 v38, v34, 16, v33
	;;#ASMSTART
	v_pk_mul_f16 v33, v38, v42;

	;;#ASMEND
	;;#ASMSTART
	v_pk_mul_f16 v15, v37, v15;

	;;#ASMEND
	;; [unrolled: 4-line block ×4, first 2 shown]
	;;#ASMSTART
	v_pk_add_f16 v15, v33, v15;

	;;#ASMEND
	;;#ASMSTART
	v_pk_add_f16 v10, v15, v10;

	;;#ASMEND
	;;#ASMSTART
	v_pk_add_f16 v10, v10, v14;

	;;#ASMEND
	v_and_b32_e32 v14, 0xffff, v10
	v_lshrrev_b32_e32 v10, 16, v10
	;;#ASMSTART
	v_cvt_f32_f16 v33, v14;
	;;#ASMEND
	;;#ASMSTART
	v_cvt_f32_f16 v34, v10;
	;;#ASMEND
	global_load_b64 v[14:15], v[12:13], off offset:256
	global_load_b32 v39, v11, s[6:7]
	s_waitcnt vmcnt(1)
	v_and_b32_e32 v10, 0xff, v14
	s_delay_alu instid0(VALU_DEP_1)
	v_cmpx_ne_u16_e32 0, v10
	s_cbranch_execz .LBB341_347
; %bb.342:                              ;   in Loop: Header=BB341_278 Depth=1
	v_bfrev_b32_e32 v40, 1
	s_mov_b32 s15, exec_lo
	v_cmpx_ne_u16_e32 0x80, v10
	s_cbranch_execz .LBB341_346
; %bb.343:                              ;   in Loop: Header=BB341_278 Depth=1
	v_and_b32_e32 v10, 0x7f, v14
	v_mov_b32_e32 v40, 0x7fc02000
	s_mov_b32 s17, exec_lo
	s_delay_alu instid0(VALU_DEP_2)
	v_cmpx_ne_u32_e32 0x7f, v10
	s_cbranch_execz .LBB341_345
; %bb.344:                              ;   in Loop: Header=BB341_278 Depth=1
	v_and_b32_e32 v40, 7, v14
	v_cmp_gt_u32_e64 s0, 8, v10
	v_lshrrev_b32_e32 v42, 3, v10
	s_delay_alu instid0(VALU_DEP_3) | instskip(NEXT) | instid1(VALU_DEP_1)
	v_clz_i32_u32_e32 v40, v40
	v_min_u32_e32 v40, 32, v40
	s_delay_alu instid0(VALU_DEP_1) | instskip(SKIP_1) | instid1(VALU_DEP_2)
	v_subrev_nc_u32_e32 v43, 28, v40
	v_sub_nc_u32_e32 v40, 29, v40
	v_cndmask_b32_e64 v10, 0, v43, s0
	s_delay_alu instid0(VALU_DEP_2) | instskip(NEXT) | instid1(VALU_DEP_2)
	v_cndmask_b32_e64 v40, v42, v40, s0
	v_lshlrev_b64 v[42:43], v10, v[14:15]
	v_lshlrev_b32_e32 v10, 8, v14
	s_delay_alu instid0(VALU_DEP_3) | instskip(NEXT) | instid1(VALU_DEP_3)
	v_lshl_add_u32 v40, v40, 10, 0x2000
	v_lshlrev_b32_e32 v42, 7, v42
	s_delay_alu instid0(VALU_DEP_2) | instskip(NEXT) | instid1(VALU_DEP_1)
	v_and_or_b32 v10, 0x8000, v10, v40
	v_and_or_b32 v10, 0x380, v42, v10
	s_delay_alu instid0(VALU_DEP_1)
	v_cvt_f32_f16_e32 v40, v10
.LBB341_345:                            ;   in Loop: Header=BB341_278 Depth=1
	s_or_b32 exec_lo, exec_lo, s17
.LBB341_346:                            ;   in Loop: Header=BB341_278 Depth=1
	s_delay_alu instid0(SALU_CYCLE_1)
	s_or_b32 exec_lo, exec_lo, s15
.LBB341_347:                            ;   in Loop: Header=BB341_278 Depth=1
	s_delay_alu instid0(SALU_CYCLE_1) | instskip(SKIP_2) | instid1(VALU_DEP_1)
	s_or_b32 exec_lo, exec_lo, s14
	v_lshrrev_b16 v10, 8, v14
	s_mov_b32 s14, exec_lo
	v_cmpx_ne_u16_e32 0, v10
	s_cbranch_execz .LBB341_355
; %bb.348:                              ;   in Loop: Header=BB341_278 Depth=1
	v_bfrev_b32_e32 v41, 1
	s_mov_b32 s15, exec_lo
	v_cmpx_ne_u16_e32 0x80, v10
	s_cbranch_execz .LBB341_354
; %bb.349:                              ;   in Loop: Header=BB341_278 Depth=1
	v_and_b32_e32 v42, 0xffff, v10
	v_mov_b32_e32 v41, 0x7fc02000
	s_mov_b32 s17, exec_lo
	s_delay_alu instid0(VALU_DEP_2) | instskip(NEXT) | instid1(VALU_DEP_1)
	v_and_b32_e32 v43, 0x7f, v42
	v_cmpx_ne_u32_e32 0x7f, v43
	s_cbranch_execz .LBB341_353
; %bb.350:                              ;   in Loop: Header=BB341_278 Depth=1
	v_and_b32_e32 v10, 7, v42
	v_lshrrev_b32_e32 v41, 3, v43
	s_mov_b32 s18, exec_lo
	v_cmpx_gt_u32_e32 8, v43
; %bb.351:                              ;   in Loop: Header=BB341_278 Depth=1
	s_delay_alu instid0(VALU_DEP_3) | instskip(NEXT) | instid1(VALU_DEP_1)
	v_clz_i32_u32_e32 v41, v10
	v_min_u32_e32 v41, 32, v41
	s_delay_alu instid0(VALU_DEP_1) | instskip(SKIP_1) | instid1(VALU_DEP_2)
	v_subrev_nc_u32_e32 v43, 28, v41
	v_sub_nc_u32_e32 v41, 29, v41
	v_lshlrev_b64 v[43:44], v43, v[10:11]
	s_delay_alu instid0(VALU_DEP_1)
	v_and_b32_e32 v10, 7, v43
; %bb.352:                              ;   in Loop: Header=BB341_278 Depth=1
	s_or_b32 exec_lo, exec_lo, s18
	v_lshlrev_b32_e32 v42, 8, v42
	v_lshl_add_u32 v41, v41, 10, 0x2000
	s_delay_alu instid0(VALU_DEP_1) | instskip(NEXT) | instid1(VALU_DEP_1)
	v_and_or_b32 v41, 0x8000, v42, v41
	v_lshl_or_b32 v10, v10, 7, v41
	s_delay_alu instid0(VALU_DEP_1)
	v_cvt_f32_f16_e32 v41, v10
.LBB341_353:                            ;   in Loop: Header=BB341_278 Depth=1
	s_or_b32 exec_lo, exec_lo, s17
.LBB341_354:                            ;   in Loop: Header=BB341_278 Depth=1
	s_delay_alu instid0(SALU_CYCLE_1)
	s_or_b32 exec_lo, exec_lo, s15
.LBB341_355:                            ;   in Loop: Header=BB341_278 Depth=1
	s_delay_alu instid0(SALU_CYCLE_1) | instskip(SKIP_3) | instid1(VALU_DEP_2)
	s_or_b32 exec_lo, exec_lo, s14
	v_lshrrev_b32_e32 v44, 16, v14
	v_mov_b32_e32 v42, 0
	s_mov_b32 s14, exec_lo
	v_dual_mov_b32 v43, 0 :: v_dual_and_b32 v10, 0xff, v44
	s_delay_alu instid0(VALU_DEP_1)
	v_cmpx_ne_u16_e32 0, v10
	s_cbranch_execz .LBB341_363
; %bb.356:                              ;   in Loop: Header=BB341_278 Depth=1
	v_bfrev_b32_e32 v42, 1
	s_mov_b32 s15, exec_lo
	v_cmpx_ne_u16_e32 0x80, v10
	s_cbranch_execz .LBB341_362
; %bb.357:                              ;   in Loop: Header=BB341_278 Depth=1
	v_bfe_u32 v45, v14, 16, 7
	v_mov_b32_e32 v42, 0x7fc02000
	s_mov_b32 s17, exec_lo
	s_delay_alu instid0(VALU_DEP_2)
	v_cmpx_ne_u32_e32 0x7f, v45
	s_cbranch_execz .LBB341_361
; %bb.358:                              ;   in Loop: Header=BB341_278 Depth=1
	v_and_b32_e32 v10, 7, v44
	v_lshrrev_b32_e32 v42, 3, v45
	s_mov_b32 s18, exec_lo
	v_cmpx_gt_u32_e32 8, v45
; %bb.359:                              ;   in Loop: Header=BB341_278 Depth=1
	s_delay_alu instid0(VALU_DEP_3) | instskip(NEXT) | instid1(VALU_DEP_1)
	v_clz_i32_u32_e32 v42, v10
	v_min_u32_e32 v42, 32, v42
	s_delay_alu instid0(VALU_DEP_1) | instskip(SKIP_1) | instid1(VALU_DEP_2)
	v_subrev_nc_u32_e32 v45, 28, v42
	v_sub_nc_u32_e32 v42, 29, v42
	v_lshlrev_b64 v[45:46], v45, v[10:11]
	s_delay_alu instid0(VALU_DEP_1)
	v_and_b32_e32 v10, 7, v45
; %bb.360:                              ;   in Loop: Header=BB341_278 Depth=1
	s_or_b32 exec_lo, exec_lo, s18
	v_lshlrev_b32_e32 v44, 8, v44
	v_lshl_add_u32 v42, v42, 10, 0x2000
	s_delay_alu instid0(VALU_DEP_1) | instskip(NEXT) | instid1(VALU_DEP_1)
	v_and_or_b32 v42, 0x8000, v44, v42
	v_lshl_or_b32 v10, v10, 7, v42
	s_delay_alu instid0(VALU_DEP_1)
	v_cvt_f32_f16_e32 v42, v10
.LBB341_361:                            ;   in Loop: Header=BB341_278 Depth=1
	s_or_b32 exec_lo, exec_lo, s17
.LBB341_362:                            ;   in Loop: Header=BB341_278 Depth=1
	s_delay_alu instid0(SALU_CYCLE_1)
	s_or_b32 exec_lo, exec_lo, s15
.LBB341_363:                            ;   in Loop: Header=BB341_278 Depth=1
	s_delay_alu instid0(SALU_CYCLE_1) | instskip(NEXT) | instid1(SALU_CYCLE_1)
	s_or_b32 exec_lo, exec_lo, s14
	s_mov_b32 s14, exec_lo
	v_cmpx_lt_u32_e32 0xffffff, v14
	s_cbranch_execz .LBB341_371
; %bb.364:                              ;   in Loop: Header=BB341_278 Depth=1
	v_lshrrev_b32_e32 v44, 24, v14
	v_bfrev_b32_e32 v43, 1
	s_mov_b32 s15, exec_lo
	s_delay_alu instid0(VALU_DEP_2)
	v_cmpx_ne_u32_e32 0x80, v44
	s_cbranch_execz .LBB341_370
; %bb.365:                              ;   in Loop: Header=BB341_278 Depth=1
	v_and_b32_e32 v45, 0x7f, v44
	v_mov_b32_e32 v43, 0x7fc02000
	s_mov_b32 s17, exec_lo
	s_delay_alu instid0(VALU_DEP_2)
	v_cmpx_ne_u32_e32 0x7f, v45
	s_cbranch_execz .LBB341_369
; %bb.366:                              ;   in Loop: Header=BB341_278 Depth=1
	v_and_b32_e32 v10, 7, v44
	v_lshrrev_b32_e32 v43, 3, v45
	s_mov_b32 s18, exec_lo
	v_cmpx_gt_u32_e32 8, v45
; %bb.367:                              ;   in Loop: Header=BB341_278 Depth=1
	s_delay_alu instid0(VALU_DEP_3) | instskip(NEXT) | instid1(VALU_DEP_1)
	v_clz_i32_u32_e32 v43, v10
	v_min_u32_e32 v43, 32, v43
	s_delay_alu instid0(VALU_DEP_1) | instskip(SKIP_1) | instid1(VALU_DEP_2)
	v_subrev_nc_u32_e32 v45, 28, v43
	v_sub_nc_u32_e32 v43, 29, v43
	v_lshlrev_b64 v[45:46], v45, v[10:11]
	s_delay_alu instid0(VALU_DEP_1)
	v_and_b32_e32 v10, 7, v45
; %bb.368:                              ;   in Loop: Header=BB341_278 Depth=1
	s_or_b32 exec_lo, exec_lo, s18
	v_lshlrev_b32_e32 v44, 8, v44
	v_lshl_add_u32 v43, v43, 10, 0x2000
	s_delay_alu instid0(VALU_DEP_1) | instskip(NEXT) | instid1(VALU_DEP_1)
	v_and_or_b32 v43, 0x8000, v44, v43
	v_lshl_or_b32 v10, v10, 7, v43
	s_delay_alu instid0(VALU_DEP_1)
	v_cvt_f32_f16_e32 v43, v10
.LBB341_369:                            ;   in Loop: Header=BB341_278 Depth=1
	s_or_b32 exec_lo, exec_lo, s17
.LBB341_370:                            ;   in Loop: Header=BB341_278 Depth=1
	s_delay_alu instid0(SALU_CYCLE_1)
	s_or_b32 exec_lo, exec_lo, s15
.LBB341_371:                            ;   in Loop: Header=BB341_278 Depth=1
	s_delay_alu instid0(SALU_CYCLE_1) | instskip(SKIP_4) | instid1(VALU_DEP_3)
	s_or_b32 exec_lo, exec_lo, s14
	v_dual_mov_b32 v45, 0 :: v_dual_and_b32 v46, 0xff, v15
	v_mov_b32_e32 v10, v15
	v_mov_b32_e32 v44, 0
	s_mov_b32 s14, exec_lo
	v_cmpx_ne_u16_e32 0, v46
	s_cbranch_execz .LBB341_377
; %bb.372:                              ;   in Loop: Header=BB341_278 Depth=1
	v_bfrev_b32_e32 v44, 1
	s_mov_b32 s15, exec_lo
	v_cmpx_ne_u16_e32 0x80, v46
	s_cbranch_execz .LBB341_376
; %bb.373:                              ;   in Loop: Header=BB341_278 Depth=1
	v_and_b32_e32 v46, 0x7f, v15
	v_mov_b32_e32 v44, 0x7fc02000
	s_mov_b32 s17, exec_lo
	s_delay_alu instid0(VALU_DEP_2)
	v_cmpx_ne_u32_e32 0x7f, v46
	s_cbranch_execz .LBB341_375
; %bb.374:                              ;   in Loop: Header=BB341_278 Depth=1
	v_and_b32_e32 v44, 7, v15
	v_cmp_gt_u32_e64 s0, 8, v46
	v_lshrrev_b32_e32 v47, 3, v46
	s_delay_alu instid0(VALU_DEP_3) | instskip(NEXT) | instid1(VALU_DEP_1)
	v_clz_i32_u32_e32 v44, v44
	v_min_u32_e32 v44, 32, v44
	s_delay_alu instid0(VALU_DEP_1) | instskip(SKIP_1) | instid1(VALU_DEP_2)
	v_subrev_nc_u32_e32 v48, 28, v44
	v_sub_nc_u32_e32 v44, 29, v44
	v_cndmask_b32_e64 v46, 0, v48, s0
	s_delay_alu instid0(VALU_DEP_2) | instskip(NEXT) | instid1(VALU_DEP_2)
	v_cndmask_b32_e64 v44, v47, v44, s0
	v_lshlrev_b64 v[46:47], v46, v[10:11]
	v_lshlrev_b32_e32 v47, 8, v15
	s_delay_alu instid0(VALU_DEP_3) | instskip(NEXT) | instid1(VALU_DEP_3)
	v_lshl_add_u32 v44, v44, 10, 0x2000
	v_lshlrev_b32_e32 v46, 7, v46
	s_delay_alu instid0(VALU_DEP_2) | instskip(NEXT) | instid1(VALU_DEP_1)
	v_and_or_b32 v44, 0x8000, v47, v44
	v_and_or_b32 v44, 0x380, v46, v44
	s_delay_alu instid0(VALU_DEP_1)
	v_cvt_f32_f16_e32 v44, v44
.LBB341_375:                            ;   in Loop: Header=BB341_278 Depth=1
	s_or_b32 exec_lo, exec_lo, s17
.LBB341_376:                            ;   in Loop: Header=BB341_278 Depth=1
	s_delay_alu instid0(SALU_CYCLE_1)
	s_or_b32 exec_lo, exec_lo, s15
.LBB341_377:                            ;   in Loop: Header=BB341_278 Depth=1
	s_delay_alu instid0(SALU_CYCLE_1) | instskip(SKIP_2) | instid1(VALU_DEP_1)
	s_or_b32 exec_lo, exec_lo, s14
	v_lshrrev_b16 v10, 8, v10
	s_mov_b32 s14, exec_lo
	v_cmpx_ne_u16_e32 0, v10
	s_cbranch_execz .LBB341_385
; %bb.378:                              ;   in Loop: Header=BB341_278 Depth=1
	v_bfrev_b32_e32 v45, 1
	s_mov_b32 s15, exec_lo
	v_cmpx_ne_u16_e32 0x80, v10
	s_cbranch_execz .LBB341_384
; %bb.379:                              ;   in Loop: Header=BB341_278 Depth=1
	v_and_b32_e32 v46, 0xffff, v10
	v_mov_b32_e32 v45, 0x7fc02000
	s_mov_b32 s17, exec_lo
	s_delay_alu instid0(VALU_DEP_2) | instskip(NEXT) | instid1(VALU_DEP_1)
	v_and_b32_e32 v47, 0x7f, v46
	v_cmpx_ne_u32_e32 0x7f, v47
	s_cbranch_execz .LBB341_383
; %bb.380:                              ;   in Loop: Header=BB341_278 Depth=1
	v_and_b32_e32 v10, 7, v46
	v_lshrrev_b32_e32 v45, 3, v47
	s_mov_b32 s18, exec_lo
	v_cmpx_gt_u32_e32 8, v47
; %bb.381:                              ;   in Loop: Header=BB341_278 Depth=1
	s_delay_alu instid0(VALU_DEP_3) | instskip(NEXT) | instid1(VALU_DEP_1)
	v_clz_i32_u32_e32 v45, v10
	v_min_u32_e32 v45, 32, v45
	s_delay_alu instid0(VALU_DEP_1) | instskip(SKIP_1) | instid1(VALU_DEP_2)
	v_subrev_nc_u32_e32 v47, 28, v45
	v_sub_nc_u32_e32 v45, 29, v45
	v_lshlrev_b64 v[47:48], v47, v[10:11]
	s_delay_alu instid0(VALU_DEP_1)
	v_and_b32_e32 v10, 7, v47
; %bb.382:                              ;   in Loop: Header=BB341_278 Depth=1
	s_or_b32 exec_lo, exec_lo, s18
	v_lshlrev_b32_e32 v46, 8, v46
	v_lshl_add_u32 v45, v45, 10, 0x2000
	s_delay_alu instid0(VALU_DEP_1) | instskip(NEXT) | instid1(VALU_DEP_1)
	v_and_or_b32 v45, 0x8000, v46, v45
	v_lshl_or_b32 v10, v10, 7, v45
	s_delay_alu instid0(VALU_DEP_1)
	v_cvt_f32_f16_e32 v45, v10
.LBB341_383:                            ;   in Loop: Header=BB341_278 Depth=1
	s_or_b32 exec_lo, exec_lo, s17
.LBB341_384:                            ;   in Loop: Header=BB341_278 Depth=1
	s_delay_alu instid0(SALU_CYCLE_1)
	s_or_b32 exec_lo, exec_lo, s15
.LBB341_385:                            ;   in Loop: Header=BB341_278 Depth=1
	s_delay_alu instid0(SALU_CYCLE_1) | instskip(SKIP_3) | instid1(VALU_DEP_2)
	s_or_b32 exec_lo, exec_lo, s14
	v_lshrrev_b32_e32 v48, 16, v15
	v_mov_b32_e32 v46, 0
	s_mov_b32 s14, exec_lo
	v_dual_mov_b32 v47, 0 :: v_dual_and_b32 v10, 0xff, v48
	s_delay_alu instid0(VALU_DEP_1)
	v_cmpx_ne_u16_e32 0, v10
	s_cbranch_execz .LBB341_393
; %bb.386:                              ;   in Loop: Header=BB341_278 Depth=1
	v_bfrev_b32_e32 v46, 1
	s_mov_b32 s15, exec_lo
	v_cmpx_ne_u16_e32 0x80, v10
	s_cbranch_execz .LBB341_392
; %bb.387:                              ;   in Loop: Header=BB341_278 Depth=1
	v_bfe_u32 v49, v15, 16, 7
	v_mov_b32_e32 v46, 0x7fc02000
	s_mov_b32 s17, exec_lo
	s_delay_alu instid0(VALU_DEP_2)
	v_cmpx_ne_u32_e32 0x7f, v49
	s_cbranch_execz .LBB341_391
; %bb.388:                              ;   in Loop: Header=BB341_278 Depth=1
	v_and_b32_e32 v10, 7, v48
	v_lshrrev_b32_e32 v46, 3, v49
	s_mov_b32 s18, exec_lo
	v_cmpx_gt_u32_e32 8, v49
; %bb.389:                              ;   in Loop: Header=BB341_278 Depth=1
	s_delay_alu instid0(VALU_DEP_3) | instskip(NEXT) | instid1(VALU_DEP_1)
	v_clz_i32_u32_e32 v46, v10
	v_min_u32_e32 v46, 32, v46
	s_delay_alu instid0(VALU_DEP_1) | instskip(SKIP_1) | instid1(VALU_DEP_2)
	v_subrev_nc_u32_e32 v49, 28, v46
	v_sub_nc_u32_e32 v46, 29, v46
	v_lshlrev_b64 v[49:50], v49, v[10:11]
	s_delay_alu instid0(VALU_DEP_1)
	v_and_b32_e32 v10, 7, v49
; %bb.390:                              ;   in Loop: Header=BB341_278 Depth=1
	s_or_b32 exec_lo, exec_lo, s18
	v_lshlrev_b32_e32 v48, 8, v48
	v_lshl_add_u32 v46, v46, 10, 0x2000
	s_delay_alu instid0(VALU_DEP_1) | instskip(NEXT) | instid1(VALU_DEP_1)
	v_and_or_b32 v46, 0x8000, v48, v46
	v_lshl_or_b32 v10, v10, 7, v46
	s_delay_alu instid0(VALU_DEP_1)
	v_cvt_f32_f16_e32 v46, v10
.LBB341_391:                            ;   in Loop: Header=BB341_278 Depth=1
	s_or_b32 exec_lo, exec_lo, s17
.LBB341_392:                            ;   in Loop: Header=BB341_278 Depth=1
	s_delay_alu instid0(SALU_CYCLE_1)
	s_or_b32 exec_lo, exec_lo, s15
.LBB341_393:                            ;   in Loop: Header=BB341_278 Depth=1
	s_delay_alu instid0(SALU_CYCLE_1) | instskip(NEXT) | instid1(SALU_CYCLE_1)
	s_or_b32 exec_lo, exec_lo, s14
	s_mov_b32 s14, exec_lo
	v_cmpx_lt_u64_e64 s[2:3], v[14:15]
	s_cbranch_execz .LBB341_401
; %bb.394:                              ;   in Loop: Header=BB341_278 Depth=1
	v_lshrrev_b32_e32 v14, 24, v15
	v_bfrev_b32_e32 v47, 1
	s_mov_b32 s15, exec_lo
	s_delay_alu instid0(VALU_DEP_2)
	v_cmpx_ne_u32_e32 0x80, v14
	s_cbranch_execz .LBB341_400
; %bb.395:                              ;   in Loop: Header=BB341_278 Depth=1
	v_and_b32_e32 v48, 0x7f, v14
	v_mov_b32_e32 v47, 0x7fc02000
	s_mov_b32 s17, exec_lo
	s_delay_alu instid0(VALU_DEP_2)
	v_cmpx_ne_u32_e32 0x7f, v48
	s_cbranch_execz .LBB341_399
; %bb.396:                              ;   in Loop: Header=BB341_278 Depth=1
	v_and_b32_e32 v10, 7, v14
	v_lshrrev_b32_e32 v15, 3, v48
	s_mov_b32 s18, exec_lo
	v_cmpx_gt_u32_e32 8, v48
; %bb.397:                              ;   in Loop: Header=BB341_278 Depth=1
	s_delay_alu instid0(VALU_DEP_3) | instskip(NEXT) | instid1(VALU_DEP_1)
	v_clz_i32_u32_e32 v15, v10
	v_min_u32_e32 v15, 32, v15
	s_delay_alu instid0(VALU_DEP_1) | instskip(SKIP_1) | instid1(VALU_DEP_2)
	v_subrev_nc_u32_e32 v47, 28, v15
	v_sub_nc_u32_e32 v15, 29, v15
	v_lshlrev_b64 v[47:48], v47, v[10:11]
	s_delay_alu instid0(VALU_DEP_1)
	v_and_b32_e32 v10, 7, v47
; %bb.398:                              ;   in Loop: Header=BB341_278 Depth=1
	s_or_b32 exec_lo, exec_lo, s18
	v_lshlrev_b32_e32 v14, 8, v14
	v_lshl_add_u32 v15, v15, 10, 0x2000
	s_delay_alu instid0(VALU_DEP_1) | instskip(NEXT) | instid1(VALU_DEP_1)
	v_and_or_b32 v14, 0x8000, v14, v15
	v_lshl_or_b32 v10, v10, 7, v14
	s_delay_alu instid0(VALU_DEP_1)
	v_cvt_f32_f16_e32 v47, v10
.LBB341_399:                            ;   in Loop: Header=BB341_278 Depth=1
	s_or_b32 exec_lo, exec_lo, s17
.LBB341_400:                            ;   in Loop: Header=BB341_278 Depth=1
	s_delay_alu instid0(SALU_CYCLE_1)
	s_or_b32 exec_lo, exec_lo, s15
.LBB341_401:                            ;   in Loop: Header=BB341_278 Depth=1
	s_delay_alu instid0(SALU_CYCLE_1)
	s_or_b32 exec_lo, exec_lo, s14
	s_waitcnt vmcnt(0)
	v_fma_mixlo_f16 v15, v39, v41, 0
	v_fma_mixlo_f16 v10, v39, v43, 0
	;; [unrolled: 1-line block ×5, first 2 shown]
	v_lshlrev_b32_e32 v41, 16, v15
	v_fma_mixlo_f16 v43, v39, v44, 0
	v_fma_mixlo_f16 v44, v39, v47, 0
	;; [unrolled: 1-line block ×3, first 2 shown]
	v_lshlrev_b32_e32 v10, 16, v10
	v_and_b32_e32 v14, 0xffff, v14
	v_and_b32_e32 v40, 0xffff, v40
	v_lshlrev_b32_e32 v42, 16, v42
	v_and_b32_e32 v43, 0xffff, v43
	v_lshlrev_b32_e32 v44, 16, v44
	v_and_b32_e32 v45, 0xffff, v15
	v_or_b32_e32 v39, v10, v14
	v_or_b32_e32 v40, v41, v40
	;; [unrolled: 1-line block ×3, first 2 shown]
	s_delay_alu instid0(VALU_DEP_4)
	v_or_b32_e32 v14, v44, v45
	s_and_saveexec_b32 s14, vcc_lo
	s_cbranch_execz .LBB341_403
; %bb.402:                              ;   in Loop: Header=BB341_278 Depth=1
	v_cmp_gt_i32_e64 s0, s33, v25
	v_lshrrev_b32_e32 v41, 16, v40
	v_lshrrev_b32_e32 v42, 16, v39
	;; [unrolled: 1-line block ×4, first 2 shown]
	v_cndmask_b32_e64 v40, 0, v40, s0
	v_cmp_gt_i32_e64 s0, s11, v32
	s_delay_alu instid0(VALU_DEP_1) | instskip(SKIP_1) | instid1(VALU_DEP_2)
	v_cndmask_b32_e64 v41, 0, v41, s0
	v_cmp_gt_i32_e64 s0, s11, v31
	v_perm_b32 v40, v41, v40, 0x5040100
	s_delay_alu instid0(VALU_DEP_2) | instskip(SKIP_1) | instid1(VALU_DEP_1)
	v_cndmask_b32_e64 v42, 0, v42, s0
	v_cmp_gt_i32_e64 s0, s33, v30
	v_cndmask_b32_e64 v39, 0, v39, s0
	v_cmp_gt_i32_e64 s0, s11, v29
	s_delay_alu instid0(VALU_DEP_2) | instskip(NEXT) | instid1(VALU_DEP_2)
	v_perm_b32 v39, v42, v39, 0x5040100
	v_cndmask_b32_e64 v43, 0, v43, s0
	v_cmp_gt_i32_e64 s0, s33, v28
	s_delay_alu instid0(VALU_DEP_1) | instskip(SKIP_1) | instid1(VALU_DEP_2)
	v_cndmask_b32_e64 v10, 0, v10, s0
	v_cmp_gt_i32_e64 s0, s11, v27
	v_perm_b32 v10, v43, v10, 0x5040100
	s_delay_alu instid0(VALU_DEP_2) | instskip(SKIP_1) | instid1(VALU_DEP_1)
	v_cndmask_b32_e64 v14, 0, v14, s0
	v_cmp_gt_i32_e64 s0, s33, v26
	v_cndmask_b32_e64 v15, 0, v15, s0
	s_delay_alu instid0(VALU_DEP_1)
	v_perm_b32 v14, v14, v15, 0x5040100
.LBB341_403:                            ;   in Loop: Header=BB341_278 Depth=1
	s_or_b32 exec_lo, exec_lo, s14
	;;#ASMSTART
	v_pk_mul_f16 v15, v38, v40;

	;;#ASMEND
	;;#ASMSTART
	v_pk_mul_f16 v39, v37, v39;

	;;#ASMEND
	;; [unrolled: 4-line block ×4, first 2 shown]
	;;#ASMSTART
	v_pk_add_f16 v15, v15, v39;

	;;#ASMEND
	;;#ASMSTART
	v_pk_add_f16 v10, v15, v10;

	;;#ASMEND
	;; [unrolled: 4-line block ×3, first 2 shown]
	v_dual_mov_b32 v43, 0 :: v_dual_and_b32 v14, 0xffff, v10
	v_lshrrev_b32_e32 v10, 16, v10
	;;#ASMSTART
	v_cvt_f32_f16 v39, v14;
	;;#ASMEND
	;;#ASMSTART
	v_cvt_f32_f16 v40, v10;
	;;#ASMEND
	global_load_b64 v[14:15], v[12:13], off offset:512
	global_load_b32 v41, v11, s[6:7]
	v_mov_b32_e32 v42, 0
	s_mov_b32 s14, exec_lo
	s_waitcnt vmcnt(1)
	v_and_b32_e32 v10, 0xff, v14
	s_delay_alu instid0(VALU_DEP_1)
	v_cmpx_ne_u16_e32 0, v10
	s_cbranch_execz .LBB341_409
; %bb.404:                              ;   in Loop: Header=BB341_278 Depth=1
	v_bfrev_b32_e32 v42, 1
	s_mov_b32 s15, exec_lo
	v_cmpx_ne_u16_e32 0x80, v10
	s_cbranch_execz .LBB341_408
; %bb.405:                              ;   in Loop: Header=BB341_278 Depth=1
	v_and_b32_e32 v10, 0x7f, v14
	v_mov_b32_e32 v42, 0x7fc02000
	s_mov_b32 s17, exec_lo
	s_delay_alu instid0(VALU_DEP_2)
	v_cmpx_ne_u32_e32 0x7f, v10
	s_cbranch_execz .LBB341_407
; %bb.406:                              ;   in Loop: Header=BB341_278 Depth=1
	v_and_b32_e32 v42, 7, v14
	v_cmp_gt_u32_e64 s0, 8, v10
	v_lshrrev_b32_e32 v44, 3, v10
	s_delay_alu instid0(VALU_DEP_3) | instskip(NEXT) | instid1(VALU_DEP_1)
	v_clz_i32_u32_e32 v42, v42
	v_min_u32_e32 v42, 32, v42
	s_delay_alu instid0(VALU_DEP_1) | instskip(SKIP_1) | instid1(VALU_DEP_2)
	v_subrev_nc_u32_e32 v45, 28, v42
	v_sub_nc_u32_e32 v42, 29, v42
	v_cndmask_b32_e64 v10, 0, v45, s0
	s_delay_alu instid0(VALU_DEP_2) | instskip(NEXT) | instid1(VALU_DEP_2)
	v_cndmask_b32_e64 v42, v44, v42, s0
	v_lshlrev_b64 v[44:45], v10, v[14:15]
	v_lshlrev_b32_e32 v10, 8, v14
	s_delay_alu instid0(VALU_DEP_3) | instskip(NEXT) | instid1(VALU_DEP_3)
	v_lshl_add_u32 v42, v42, 10, 0x2000
	v_lshlrev_b32_e32 v44, 7, v44
	s_delay_alu instid0(VALU_DEP_2) | instskip(NEXT) | instid1(VALU_DEP_1)
	v_and_or_b32 v10, 0x8000, v10, v42
	v_and_or_b32 v10, 0x380, v44, v10
	s_delay_alu instid0(VALU_DEP_1)
	v_cvt_f32_f16_e32 v42, v10
.LBB341_407:                            ;   in Loop: Header=BB341_278 Depth=1
	s_or_b32 exec_lo, exec_lo, s17
.LBB341_408:                            ;   in Loop: Header=BB341_278 Depth=1
	s_delay_alu instid0(SALU_CYCLE_1)
	s_or_b32 exec_lo, exec_lo, s15
.LBB341_409:                            ;   in Loop: Header=BB341_278 Depth=1
	s_delay_alu instid0(SALU_CYCLE_1) | instskip(SKIP_2) | instid1(VALU_DEP_1)
	s_or_b32 exec_lo, exec_lo, s14
	v_lshrrev_b16 v10, 8, v14
	s_mov_b32 s14, exec_lo
	v_cmpx_ne_u16_e32 0, v10
	s_cbranch_execz .LBB341_417
; %bb.410:                              ;   in Loop: Header=BB341_278 Depth=1
	v_bfrev_b32_e32 v43, 1
	s_mov_b32 s15, exec_lo
	v_cmpx_ne_u16_e32 0x80, v10
	s_cbranch_execz .LBB341_416
; %bb.411:                              ;   in Loop: Header=BB341_278 Depth=1
	v_and_b32_e32 v44, 0xffff, v10
	v_mov_b32_e32 v43, 0x7fc02000
	s_mov_b32 s17, exec_lo
	s_delay_alu instid0(VALU_DEP_2) | instskip(NEXT) | instid1(VALU_DEP_1)
	v_and_b32_e32 v45, 0x7f, v44
	v_cmpx_ne_u32_e32 0x7f, v45
	s_cbranch_execz .LBB341_415
; %bb.412:                              ;   in Loop: Header=BB341_278 Depth=1
	v_and_b32_e32 v10, 7, v44
	v_lshrrev_b32_e32 v43, 3, v45
	s_mov_b32 s18, exec_lo
	v_cmpx_gt_u32_e32 8, v45
; %bb.413:                              ;   in Loop: Header=BB341_278 Depth=1
	s_delay_alu instid0(VALU_DEP_3) | instskip(NEXT) | instid1(VALU_DEP_1)
	v_clz_i32_u32_e32 v43, v10
	v_min_u32_e32 v43, 32, v43
	s_delay_alu instid0(VALU_DEP_1) | instskip(SKIP_1) | instid1(VALU_DEP_2)
	v_subrev_nc_u32_e32 v45, 28, v43
	v_sub_nc_u32_e32 v43, 29, v43
	v_lshlrev_b64 v[45:46], v45, v[10:11]
	s_delay_alu instid0(VALU_DEP_1)
	v_and_b32_e32 v10, 7, v45
; %bb.414:                              ;   in Loop: Header=BB341_278 Depth=1
	s_or_b32 exec_lo, exec_lo, s18
	v_lshlrev_b32_e32 v44, 8, v44
	v_lshl_add_u32 v43, v43, 10, 0x2000
	s_delay_alu instid0(VALU_DEP_1) | instskip(NEXT) | instid1(VALU_DEP_1)
	v_and_or_b32 v43, 0x8000, v44, v43
	v_lshl_or_b32 v10, v10, 7, v43
	s_delay_alu instid0(VALU_DEP_1)
	v_cvt_f32_f16_e32 v43, v10
.LBB341_415:                            ;   in Loop: Header=BB341_278 Depth=1
	s_or_b32 exec_lo, exec_lo, s17
.LBB341_416:                            ;   in Loop: Header=BB341_278 Depth=1
	s_delay_alu instid0(SALU_CYCLE_1)
	s_or_b32 exec_lo, exec_lo, s15
.LBB341_417:                            ;   in Loop: Header=BB341_278 Depth=1
	s_delay_alu instid0(SALU_CYCLE_1) | instskip(SKIP_3) | instid1(VALU_DEP_2)
	s_or_b32 exec_lo, exec_lo, s14
	v_lshrrev_b32_e32 v46, 16, v14
	v_mov_b32_e32 v44, 0
	s_mov_b32 s14, exec_lo
	v_dual_mov_b32 v45, 0 :: v_dual_and_b32 v10, 0xff, v46
	s_delay_alu instid0(VALU_DEP_1)
	v_cmpx_ne_u16_e32 0, v10
	s_cbranch_execz .LBB341_425
; %bb.418:                              ;   in Loop: Header=BB341_278 Depth=1
	v_bfrev_b32_e32 v44, 1
	s_mov_b32 s15, exec_lo
	v_cmpx_ne_u16_e32 0x80, v10
	s_cbranch_execz .LBB341_424
; %bb.419:                              ;   in Loop: Header=BB341_278 Depth=1
	v_bfe_u32 v47, v14, 16, 7
	v_mov_b32_e32 v44, 0x7fc02000
	s_mov_b32 s17, exec_lo
	s_delay_alu instid0(VALU_DEP_2)
	v_cmpx_ne_u32_e32 0x7f, v47
	s_cbranch_execz .LBB341_423
; %bb.420:                              ;   in Loop: Header=BB341_278 Depth=1
	v_and_b32_e32 v10, 7, v46
	v_lshrrev_b32_e32 v44, 3, v47
	s_mov_b32 s18, exec_lo
	v_cmpx_gt_u32_e32 8, v47
; %bb.421:                              ;   in Loop: Header=BB341_278 Depth=1
	s_delay_alu instid0(VALU_DEP_3) | instskip(NEXT) | instid1(VALU_DEP_1)
	v_clz_i32_u32_e32 v44, v10
	v_min_u32_e32 v44, 32, v44
	s_delay_alu instid0(VALU_DEP_1) | instskip(SKIP_1) | instid1(VALU_DEP_2)
	v_subrev_nc_u32_e32 v47, 28, v44
	v_sub_nc_u32_e32 v44, 29, v44
	v_lshlrev_b64 v[47:48], v47, v[10:11]
	s_delay_alu instid0(VALU_DEP_1)
	v_and_b32_e32 v10, 7, v47
; %bb.422:                              ;   in Loop: Header=BB341_278 Depth=1
	s_or_b32 exec_lo, exec_lo, s18
	v_lshlrev_b32_e32 v46, 8, v46
	v_lshl_add_u32 v44, v44, 10, 0x2000
	s_delay_alu instid0(VALU_DEP_1) | instskip(NEXT) | instid1(VALU_DEP_1)
	v_and_or_b32 v44, 0x8000, v46, v44
	v_lshl_or_b32 v10, v10, 7, v44
	s_delay_alu instid0(VALU_DEP_1)
	v_cvt_f32_f16_e32 v44, v10
.LBB341_423:                            ;   in Loop: Header=BB341_278 Depth=1
	s_or_b32 exec_lo, exec_lo, s17
.LBB341_424:                            ;   in Loop: Header=BB341_278 Depth=1
	s_delay_alu instid0(SALU_CYCLE_1)
	s_or_b32 exec_lo, exec_lo, s15
.LBB341_425:                            ;   in Loop: Header=BB341_278 Depth=1
	s_delay_alu instid0(SALU_CYCLE_1) | instskip(NEXT) | instid1(SALU_CYCLE_1)
	s_or_b32 exec_lo, exec_lo, s14
	s_mov_b32 s14, exec_lo
	v_cmpx_lt_u32_e32 0xffffff, v14
	s_cbranch_execz .LBB341_433
; %bb.426:                              ;   in Loop: Header=BB341_278 Depth=1
	v_lshrrev_b32_e32 v46, 24, v14
	v_bfrev_b32_e32 v45, 1
	s_mov_b32 s15, exec_lo
	s_delay_alu instid0(VALU_DEP_2)
	v_cmpx_ne_u32_e32 0x80, v46
	s_cbranch_execz .LBB341_432
; %bb.427:                              ;   in Loop: Header=BB341_278 Depth=1
	v_and_b32_e32 v47, 0x7f, v46
	v_mov_b32_e32 v45, 0x7fc02000
	s_mov_b32 s17, exec_lo
	s_delay_alu instid0(VALU_DEP_2)
	v_cmpx_ne_u32_e32 0x7f, v47
	s_cbranch_execz .LBB341_431
; %bb.428:                              ;   in Loop: Header=BB341_278 Depth=1
	v_and_b32_e32 v10, 7, v46
	v_lshrrev_b32_e32 v45, 3, v47
	s_mov_b32 s18, exec_lo
	v_cmpx_gt_u32_e32 8, v47
; %bb.429:                              ;   in Loop: Header=BB341_278 Depth=1
	s_delay_alu instid0(VALU_DEP_3) | instskip(NEXT) | instid1(VALU_DEP_1)
	v_clz_i32_u32_e32 v45, v10
	v_min_u32_e32 v45, 32, v45
	s_delay_alu instid0(VALU_DEP_1) | instskip(SKIP_1) | instid1(VALU_DEP_2)
	v_subrev_nc_u32_e32 v47, 28, v45
	v_sub_nc_u32_e32 v45, 29, v45
	v_lshlrev_b64 v[47:48], v47, v[10:11]
	s_delay_alu instid0(VALU_DEP_1)
	v_and_b32_e32 v10, 7, v47
; %bb.430:                              ;   in Loop: Header=BB341_278 Depth=1
	s_or_b32 exec_lo, exec_lo, s18
	v_lshlrev_b32_e32 v46, 8, v46
	v_lshl_add_u32 v45, v45, 10, 0x2000
	s_delay_alu instid0(VALU_DEP_1) | instskip(NEXT) | instid1(VALU_DEP_1)
	v_and_or_b32 v45, 0x8000, v46, v45
	v_lshl_or_b32 v10, v10, 7, v45
	s_delay_alu instid0(VALU_DEP_1)
	v_cvt_f32_f16_e32 v45, v10
.LBB341_431:                            ;   in Loop: Header=BB341_278 Depth=1
	s_or_b32 exec_lo, exec_lo, s17
.LBB341_432:                            ;   in Loop: Header=BB341_278 Depth=1
	s_delay_alu instid0(SALU_CYCLE_1)
	s_or_b32 exec_lo, exec_lo, s15
.LBB341_433:                            ;   in Loop: Header=BB341_278 Depth=1
	s_delay_alu instid0(SALU_CYCLE_1) | instskip(SKIP_4) | instid1(VALU_DEP_3)
	s_or_b32 exec_lo, exec_lo, s14
	v_dual_mov_b32 v47, 0 :: v_dual_and_b32 v48, 0xff, v15
	v_mov_b32_e32 v10, v15
	v_mov_b32_e32 v46, 0
	s_mov_b32 s14, exec_lo
	v_cmpx_ne_u16_e32 0, v48
	s_cbranch_execz .LBB341_439
; %bb.434:                              ;   in Loop: Header=BB341_278 Depth=1
	v_bfrev_b32_e32 v46, 1
	s_mov_b32 s15, exec_lo
	v_cmpx_ne_u16_e32 0x80, v48
	s_cbranch_execz .LBB341_438
; %bb.435:                              ;   in Loop: Header=BB341_278 Depth=1
	v_and_b32_e32 v48, 0x7f, v15
	v_mov_b32_e32 v46, 0x7fc02000
	s_mov_b32 s17, exec_lo
	s_delay_alu instid0(VALU_DEP_2)
	v_cmpx_ne_u32_e32 0x7f, v48
	s_cbranch_execz .LBB341_437
; %bb.436:                              ;   in Loop: Header=BB341_278 Depth=1
	v_and_b32_e32 v46, 7, v15
	v_cmp_gt_u32_e64 s0, 8, v48
	v_lshrrev_b32_e32 v49, 3, v48
	s_delay_alu instid0(VALU_DEP_3) | instskip(NEXT) | instid1(VALU_DEP_1)
	v_clz_i32_u32_e32 v46, v46
	v_min_u32_e32 v46, 32, v46
	s_delay_alu instid0(VALU_DEP_1) | instskip(SKIP_1) | instid1(VALU_DEP_2)
	v_subrev_nc_u32_e32 v50, 28, v46
	v_sub_nc_u32_e32 v46, 29, v46
	v_cndmask_b32_e64 v48, 0, v50, s0
	s_delay_alu instid0(VALU_DEP_2) | instskip(NEXT) | instid1(VALU_DEP_2)
	v_cndmask_b32_e64 v46, v49, v46, s0
	v_lshlrev_b64 v[48:49], v48, v[10:11]
	v_lshlrev_b32_e32 v49, 8, v15
	s_delay_alu instid0(VALU_DEP_3) | instskip(NEXT) | instid1(VALU_DEP_3)
	v_lshl_add_u32 v46, v46, 10, 0x2000
	v_lshlrev_b32_e32 v48, 7, v48
	s_delay_alu instid0(VALU_DEP_2) | instskip(NEXT) | instid1(VALU_DEP_1)
	v_and_or_b32 v46, 0x8000, v49, v46
	v_and_or_b32 v46, 0x380, v48, v46
	s_delay_alu instid0(VALU_DEP_1)
	v_cvt_f32_f16_e32 v46, v46
.LBB341_437:                            ;   in Loop: Header=BB341_278 Depth=1
	s_or_b32 exec_lo, exec_lo, s17
.LBB341_438:                            ;   in Loop: Header=BB341_278 Depth=1
	s_delay_alu instid0(SALU_CYCLE_1)
	s_or_b32 exec_lo, exec_lo, s15
.LBB341_439:                            ;   in Loop: Header=BB341_278 Depth=1
	s_delay_alu instid0(SALU_CYCLE_1) | instskip(SKIP_2) | instid1(VALU_DEP_1)
	s_or_b32 exec_lo, exec_lo, s14
	v_lshrrev_b16 v10, 8, v10
	s_mov_b32 s14, exec_lo
	v_cmpx_ne_u16_e32 0, v10
	s_cbranch_execz .LBB341_447
; %bb.440:                              ;   in Loop: Header=BB341_278 Depth=1
	v_bfrev_b32_e32 v47, 1
	s_mov_b32 s15, exec_lo
	v_cmpx_ne_u16_e32 0x80, v10
	s_cbranch_execz .LBB341_446
; %bb.441:                              ;   in Loop: Header=BB341_278 Depth=1
	v_and_b32_e32 v48, 0xffff, v10
	v_mov_b32_e32 v47, 0x7fc02000
	s_mov_b32 s17, exec_lo
	s_delay_alu instid0(VALU_DEP_2) | instskip(NEXT) | instid1(VALU_DEP_1)
	v_and_b32_e32 v49, 0x7f, v48
	v_cmpx_ne_u32_e32 0x7f, v49
	s_cbranch_execz .LBB341_445
; %bb.442:                              ;   in Loop: Header=BB341_278 Depth=1
	v_and_b32_e32 v10, 7, v48
	v_lshrrev_b32_e32 v47, 3, v49
	s_mov_b32 s18, exec_lo
	v_cmpx_gt_u32_e32 8, v49
; %bb.443:                              ;   in Loop: Header=BB341_278 Depth=1
	s_delay_alu instid0(VALU_DEP_3) | instskip(NEXT) | instid1(VALU_DEP_1)
	v_clz_i32_u32_e32 v47, v10
	v_min_u32_e32 v47, 32, v47
	s_delay_alu instid0(VALU_DEP_1) | instskip(SKIP_1) | instid1(VALU_DEP_2)
	v_subrev_nc_u32_e32 v49, 28, v47
	v_sub_nc_u32_e32 v47, 29, v47
	v_lshlrev_b64 v[49:50], v49, v[10:11]
	s_delay_alu instid0(VALU_DEP_1)
	v_and_b32_e32 v10, 7, v49
; %bb.444:                              ;   in Loop: Header=BB341_278 Depth=1
	s_or_b32 exec_lo, exec_lo, s18
	v_lshlrev_b32_e32 v48, 8, v48
	v_lshl_add_u32 v47, v47, 10, 0x2000
	s_delay_alu instid0(VALU_DEP_1) | instskip(NEXT) | instid1(VALU_DEP_1)
	v_and_or_b32 v47, 0x8000, v48, v47
	v_lshl_or_b32 v10, v10, 7, v47
	s_delay_alu instid0(VALU_DEP_1)
	v_cvt_f32_f16_e32 v47, v10
.LBB341_445:                            ;   in Loop: Header=BB341_278 Depth=1
	s_or_b32 exec_lo, exec_lo, s17
.LBB341_446:                            ;   in Loop: Header=BB341_278 Depth=1
	s_delay_alu instid0(SALU_CYCLE_1)
	s_or_b32 exec_lo, exec_lo, s15
.LBB341_447:                            ;   in Loop: Header=BB341_278 Depth=1
	s_delay_alu instid0(SALU_CYCLE_1) | instskip(SKIP_3) | instid1(VALU_DEP_2)
	s_or_b32 exec_lo, exec_lo, s14
	v_lshrrev_b32_e32 v50, 16, v15
	v_mov_b32_e32 v48, 0
	s_mov_b32 s14, exec_lo
	v_dual_mov_b32 v49, 0 :: v_dual_and_b32 v10, 0xff, v50
	s_delay_alu instid0(VALU_DEP_1)
	v_cmpx_ne_u16_e32 0, v10
	s_cbranch_execz .LBB341_455
; %bb.448:                              ;   in Loop: Header=BB341_278 Depth=1
	v_bfrev_b32_e32 v48, 1
	s_mov_b32 s15, exec_lo
	v_cmpx_ne_u16_e32 0x80, v10
	s_cbranch_execz .LBB341_454
; %bb.449:                              ;   in Loop: Header=BB341_278 Depth=1
	v_bfe_u32 v51, v15, 16, 7
	v_mov_b32_e32 v48, 0x7fc02000
	s_mov_b32 s17, exec_lo
	s_delay_alu instid0(VALU_DEP_2)
	v_cmpx_ne_u32_e32 0x7f, v51
	s_cbranch_execz .LBB341_453
; %bb.450:                              ;   in Loop: Header=BB341_278 Depth=1
	v_and_b32_e32 v10, 7, v50
	v_lshrrev_b32_e32 v48, 3, v51
	s_mov_b32 s18, exec_lo
	v_cmpx_gt_u32_e32 8, v51
; %bb.451:                              ;   in Loop: Header=BB341_278 Depth=1
	s_delay_alu instid0(VALU_DEP_3) | instskip(NEXT) | instid1(VALU_DEP_1)
	v_clz_i32_u32_e32 v48, v10
	v_min_u32_e32 v48, 32, v48
	s_delay_alu instid0(VALU_DEP_1) | instskip(SKIP_1) | instid1(VALU_DEP_2)
	v_subrev_nc_u32_e32 v51, 28, v48
	v_sub_nc_u32_e32 v48, 29, v48
	v_lshlrev_b64 v[51:52], v51, v[10:11]
	s_delay_alu instid0(VALU_DEP_1)
	v_and_b32_e32 v10, 7, v51
; %bb.452:                              ;   in Loop: Header=BB341_278 Depth=1
	s_or_b32 exec_lo, exec_lo, s18
	v_lshlrev_b32_e32 v50, 8, v50
	v_lshl_add_u32 v48, v48, 10, 0x2000
	s_delay_alu instid0(VALU_DEP_1) | instskip(NEXT) | instid1(VALU_DEP_1)
	v_and_or_b32 v48, 0x8000, v50, v48
	v_lshl_or_b32 v10, v10, 7, v48
	s_delay_alu instid0(VALU_DEP_1)
	v_cvt_f32_f16_e32 v48, v10
.LBB341_453:                            ;   in Loop: Header=BB341_278 Depth=1
	s_or_b32 exec_lo, exec_lo, s17
.LBB341_454:                            ;   in Loop: Header=BB341_278 Depth=1
	s_delay_alu instid0(SALU_CYCLE_1)
	s_or_b32 exec_lo, exec_lo, s15
.LBB341_455:                            ;   in Loop: Header=BB341_278 Depth=1
	s_delay_alu instid0(SALU_CYCLE_1) | instskip(NEXT) | instid1(SALU_CYCLE_1)
	s_or_b32 exec_lo, exec_lo, s14
	s_mov_b32 s14, exec_lo
	v_cmpx_lt_u64_e64 s[2:3], v[14:15]
	s_cbranch_execz .LBB341_463
; %bb.456:                              ;   in Loop: Header=BB341_278 Depth=1
	v_lshrrev_b32_e32 v14, 24, v15
	v_bfrev_b32_e32 v49, 1
	s_mov_b32 s15, exec_lo
	s_delay_alu instid0(VALU_DEP_2)
	v_cmpx_ne_u32_e32 0x80, v14
	s_cbranch_execz .LBB341_462
; %bb.457:                              ;   in Loop: Header=BB341_278 Depth=1
	v_and_b32_e32 v50, 0x7f, v14
	v_mov_b32_e32 v49, 0x7fc02000
	s_mov_b32 s17, exec_lo
	s_delay_alu instid0(VALU_DEP_2)
	v_cmpx_ne_u32_e32 0x7f, v50
	s_cbranch_execz .LBB341_461
; %bb.458:                              ;   in Loop: Header=BB341_278 Depth=1
	v_and_b32_e32 v10, 7, v14
	v_lshrrev_b32_e32 v15, 3, v50
	s_mov_b32 s18, exec_lo
	v_cmpx_gt_u32_e32 8, v50
; %bb.459:                              ;   in Loop: Header=BB341_278 Depth=1
	s_delay_alu instid0(VALU_DEP_3) | instskip(NEXT) | instid1(VALU_DEP_1)
	v_clz_i32_u32_e32 v15, v10
	v_min_u32_e32 v15, 32, v15
	s_delay_alu instid0(VALU_DEP_1) | instskip(SKIP_1) | instid1(VALU_DEP_2)
	v_subrev_nc_u32_e32 v49, 28, v15
	v_sub_nc_u32_e32 v15, 29, v15
	v_lshlrev_b64 v[49:50], v49, v[10:11]
	s_delay_alu instid0(VALU_DEP_1)
	v_and_b32_e32 v10, 7, v49
; %bb.460:                              ;   in Loop: Header=BB341_278 Depth=1
	s_or_b32 exec_lo, exec_lo, s18
	v_lshlrev_b32_e32 v14, 8, v14
	v_lshl_add_u32 v15, v15, 10, 0x2000
	s_delay_alu instid0(VALU_DEP_1) | instskip(NEXT) | instid1(VALU_DEP_1)
	v_and_or_b32 v14, 0x8000, v14, v15
	v_lshl_or_b32 v10, v10, 7, v14
	s_delay_alu instid0(VALU_DEP_1)
	v_cvt_f32_f16_e32 v49, v10
.LBB341_461:                            ;   in Loop: Header=BB341_278 Depth=1
	s_or_b32 exec_lo, exec_lo, s17
.LBB341_462:                            ;   in Loop: Header=BB341_278 Depth=1
	s_delay_alu instid0(SALU_CYCLE_1)
	s_or_b32 exec_lo, exec_lo, s15
.LBB341_463:                            ;   in Loop: Header=BB341_278 Depth=1
	s_delay_alu instid0(SALU_CYCLE_1)
	s_or_b32 exec_lo, exec_lo, s14
	s_waitcnt vmcnt(0)
	v_fma_mixlo_f16 v15, v41, v43, 0
	v_fma_mixlo_f16 v10, v41, v45, 0
	;; [unrolled: 1-line block ×5, first 2 shown]
	v_lshlrev_b32_e32 v43, 16, v15
	v_fma_mixlo_f16 v45, v41, v46, 0
	v_fma_mixlo_f16 v46, v41, v49, 0
	v_fma_mixlo_f16 v15, v41, v48, 0
	v_lshlrev_b32_e32 v10, 16, v10
	v_and_b32_e32 v14, 0xffff, v14
	v_and_b32_e32 v42, 0xffff, v42
	v_lshlrev_b32_e32 v44, 16, v44
	v_and_b32_e32 v45, 0xffff, v45
	v_lshlrev_b32_e32 v46, 16, v46
	v_and_b32_e32 v47, 0xffff, v15
	v_or_b32_e32 v41, v10, v14
	v_or_b32_e32 v42, v43, v42
	;; [unrolled: 1-line block ×3, first 2 shown]
	s_delay_alu instid0(VALU_DEP_4)
	v_or_b32_e32 v14, v46, v47
	s_and_saveexec_b32 s14, vcc_lo
	s_cbranch_execz .LBB341_465
; %bb.464:                              ;   in Loop: Header=BB341_278 Depth=1
	v_cmp_gt_i32_e64 s0, s33, v25
	v_lshrrev_b32_e32 v43, 16, v42
	v_lshrrev_b32_e32 v44, 16, v41
	;; [unrolled: 1-line block ×4, first 2 shown]
	v_cndmask_b32_e64 v42, 0, v42, s0
	v_cmp_gt_i32_e64 s0, s11, v32
	s_delay_alu instid0(VALU_DEP_1) | instskip(SKIP_1) | instid1(VALU_DEP_2)
	v_cndmask_b32_e64 v43, 0, v43, s0
	v_cmp_gt_i32_e64 s0, s11, v31
	v_perm_b32 v42, v43, v42, 0x5040100
	s_delay_alu instid0(VALU_DEP_2) | instskip(SKIP_1) | instid1(VALU_DEP_1)
	v_cndmask_b32_e64 v44, 0, v44, s0
	v_cmp_gt_i32_e64 s0, s33, v30
	v_cndmask_b32_e64 v41, 0, v41, s0
	v_cmp_gt_i32_e64 s0, s11, v29
	s_delay_alu instid0(VALU_DEP_2) | instskip(NEXT) | instid1(VALU_DEP_2)
	v_perm_b32 v41, v44, v41, 0x5040100
	v_cndmask_b32_e64 v45, 0, v45, s0
	v_cmp_gt_i32_e64 s0, s33, v28
	s_delay_alu instid0(VALU_DEP_1) | instskip(SKIP_1) | instid1(VALU_DEP_2)
	v_cndmask_b32_e64 v10, 0, v10, s0
	v_cmp_gt_i32_e64 s0, s11, v27
	v_perm_b32 v10, v45, v10, 0x5040100
	s_delay_alu instid0(VALU_DEP_2) | instskip(SKIP_1) | instid1(VALU_DEP_1)
	v_cndmask_b32_e64 v14, 0, v14, s0
	v_cmp_gt_i32_e64 s0, s33, v26
	v_cndmask_b32_e64 v15, 0, v15, s0
	s_delay_alu instid0(VALU_DEP_1)
	v_perm_b32 v14, v14, v15, 0x5040100
.LBB341_465:                            ;   in Loop: Header=BB341_278 Depth=1
	s_or_b32 exec_lo, exec_lo, s14
	;;#ASMSTART
	v_pk_mul_f16 v15, v38, v42;

	;;#ASMEND
	;;#ASMSTART
	v_pk_mul_f16 v41, v37, v41;

	;;#ASMEND
	;; [unrolled: 4-line block ×4, first 2 shown]
	;;#ASMSTART
	v_pk_add_f16 v15, v15, v41;

	;;#ASMEND
	;;#ASMSTART
	v_pk_add_f16 v10, v15, v10;

	;;#ASMEND
	;; [unrolled: 4-line block ×3, first 2 shown]
	v_dual_mov_b32 v43, 0 :: v_dual_and_b32 v14, 0xffff, v10
	v_lshrrev_b32_e32 v10, 16, v10
	;;#ASMSTART
	v_cvt_f32_f16 v14, v14;
	;;#ASMEND
	;;#ASMSTART
	v_cvt_f32_f16 v15, v10;
	;;#ASMEND
	global_load_b64 v[12:13], v[12:13], off offset:768
	global_load_b32 v41, v11, s[6:7]
	v_mov_b32_e32 v42, 0
	s_mov_b32 s14, exec_lo
	s_waitcnt vmcnt(1)
	v_and_b32_e32 v10, 0xff, v12
	s_delay_alu instid0(VALU_DEP_1)
	v_cmpx_ne_u16_e32 0, v10
	s_cbranch_execz .LBB341_471
; %bb.466:                              ;   in Loop: Header=BB341_278 Depth=1
	v_bfrev_b32_e32 v42, 1
	s_mov_b32 s15, exec_lo
	v_cmpx_ne_u16_e32 0x80, v10
	s_cbranch_execz .LBB341_470
; %bb.467:                              ;   in Loop: Header=BB341_278 Depth=1
	v_and_b32_e32 v10, 0x7f, v12
	v_mov_b32_e32 v42, 0x7fc02000
	s_mov_b32 s17, exec_lo
	s_delay_alu instid0(VALU_DEP_2)
	v_cmpx_ne_u32_e32 0x7f, v10
	s_cbranch_execz .LBB341_469
; %bb.468:                              ;   in Loop: Header=BB341_278 Depth=1
	v_and_b32_e32 v42, 7, v12
	v_cmp_gt_u32_e64 s0, 8, v10
	v_lshrrev_b32_e32 v44, 3, v10
	s_delay_alu instid0(VALU_DEP_3) | instskip(NEXT) | instid1(VALU_DEP_1)
	v_clz_i32_u32_e32 v42, v42
	v_min_u32_e32 v42, 32, v42
	s_delay_alu instid0(VALU_DEP_1) | instskip(SKIP_1) | instid1(VALU_DEP_2)
	v_subrev_nc_u32_e32 v45, 28, v42
	v_sub_nc_u32_e32 v42, 29, v42
	v_cndmask_b32_e64 v10, 0, v45, s0
	s_delay_alu instid0(VALU_DEP_2) | instskip(NEXT) | instid1(VALU_DEP_2)
	v_cndmask_b32_e64 v42, v44, v42, s0
	v_lshlrev_b64 v[44:45], v10, v[12:13]
	v_lshlrev_b32_e32 v10, 8, v12
	s_delay_alu instid0(VALU_DEP_3) | instskip(NEXT) | instid1(VALU_DEP_3)
	v_lshl_add_u32 v42, v42, 10, 0x2000
	v_lshlrev_b32_e32 v44, 7, v44
	s_delay_alu instid0(VALU_DEP_2) | instskip(NEXT) | instid1(VALU_DEP_1)
	v_and_or_b32 v10, 0x8000, v10, v42
	v_and_or_b32 v10, 0x380, v44, v10
	s_delay_alu instid0(VALU_DEP_1)
	v_cvt_f32_f16_e32 v42, v10
.LBB341_469:                            ;   in Loop: Header=BB341_278 Depth=1
	s_or_b32 exec_lo, exec_lo, s17
.LBB341_470:                            ;   in Loop: Header=BB341_278 Depth=1
	s_delay_alu instid0(SALU_CYCLE_1)
	s_or_b32 exec_lo, exec_lo, s15
.LBB341_471:                            ;   in Loop: Header=BB341_278 Depth=1
	s_delay_alu instid0(SALU_CYCLE_1) | instskip(SKIP_2) | instid1(VALU_DEP_1)
	s_or_b32 exec_lo, exec_lo, s14
	v_lshrrev_b16 v10, 8, v12
	s_mov_b32 s14, exec_lo
	v_cmpx_ne_u16_e32 0, v10
	s_cbranch_execz .LBB341_479
; %bb.472:                              ;   in Loop: Header=BB341_278 Depth=1
	v_bfrev_b32_e32 v43, 1
	s_mov_b32 s15, exec_lo
	v_cmpx_ne_u16_e32 0x80, v10
	s_cbranch_execz .LBB341_478
; %bb.473:                              ;   in Loop: Header=BB341_278 Depth=1
	v_and_b32_e32 v44, 0xffff, v10
	v_mov_b32_e32 v43, 0x7fc02000
	s_mov_b32 s17, exec_lo
	s_delay_alu instid0(VALU_DEP_2) | instskip(NEXT) | instid1(VALU_DEP_1)
	v_and_b32_e32 v45, 0x7f, v44
	v_cmpx_ne_u32_e32 0x7f, v45
	s_cbranch_execz .LBB341_477
; %bb.474:                              ;   in Loop: Header=BB341_278 Depth=1
	v_and_b32_e32 v10, 7, v44
	v_lshrrev_b32_e32 v43, 3, v45
	s_mov_b32 s18, exec_lo
	v_cmpx_gt_u32_e32 8, v45
; %bb.475:                              ;   in Loop: Header=BB341_278 Depth=1
	s_delay_alu instid0(VALU_DEP_3) | instskip(NEXT) | instid1(VALU_DEP_1)
	v_clz_i32_u32_e32 v43, v10
	v_min_u32_e32 v43, 32, v43
	s_delay_alu instid0(VALU_DEP_1) | instskip(SKIP_1) | instid1(VALU_DEP_2)
	v_subrev_nc_u32_e32 v45, 28, v43
	v_sub_nc_u32_e32 v43, 29, v43
	v_lshlrev_b64 v[45:46], v45, v[10:11]
	s_delay_alu instid0(VALU_DEP_1)
	v_and_b32_e32 v10, 7, v45
; %bb.476:                              ;   in Loop: Header=BB341_278 Depth=1
	s_or_b32 exec_lo, exec_lo, s18
	v_lshlrev_b32_e32 v44, 8, v44
	v_lshl_add_u32 v43, v43, 10, 0x2000
	s_delay_alu instid0(VALU_DEP_1) | instskip(NEXT) | instid1(VALU_DEP_1)
	v_and_or_b32 v43, 0x8000, v44, v43
	v_lshl_or_b32 v10, v10, 7, v43
	s_delay_alu instid0(VALU_DEP_1)
	v_cvt_f32_f16_e32 v43, v10
.LBB341_477:                            ;   in Loop: Header=BB341_278 Depth=1
	s_or_b32 exec_lo, exec_lo, s17
.LBB341_478:                            ;   in Loop: Header=BB341_278 Depth=1
	s_delay_alu instid0(SALU_CYCLE_1)
	s_or_b32 exec_lo, exec_lo, s15
.LBB341_479:                            ;   in Loop: Header=BB341_278 Depth=1
	s_delay_alu instid0(SALU_CYCLE_1) | instskip(SKIP_3) | instid1(VALU_DEP_2)
	s_or_b32 exec_lo, exec_lo, s14
	v_lshrrev_b32_e32 v46, 16, v12
	v_mov_b32_e32 v44, 0
	s_mov_b32 s14, exec_lo
	v_dual_mov_b32 v45, 0 :: v_dual_and_b32 v10, 0xff, v46
	s_delay_alu instid0(VALU_DEP_1)
	v_cmpx_ne_u16_e32 0, v10
	s_cbranch_execz .LBB341_487
; %bb.480:                              ;   in Loop: Header=BB341_278 Depth=1
	v_bfrev_b32_e32 v44, 1
	s_mov_b32 s15, exec_lo
	v_cmpx_ne_u16_e32 0x80, v10
	s_cbranch_execz .LBB341_486
; %bb.481:                              ;   in Loop: Header=BB341_278 Depth=1
	v_bfe_u32 v47, v12, 16, 7
	v_mov_b32_e32 v44, 0x7fc02000
	s_mov_b32 s17, exec_lo
	s_delay_alu instid0(VALU_DEP_2)
	v_cmpx_ne_u32_e32 0x7f, v47
	s_cbranch_execz .LBB341_485
; %bb.482:                              ;   in Loop: Header=BB341_278 Depth=1
	v_and_b32_e32 v10, 7, v46
	v_lshrrev_b32_e32 v44, 3, v47
	s_mov_b32 s18, exec_lo
	v_cmpx_gt_u32_e32 8, v47
; %bb.483:                              ;   in Loop: Header=BB341_278 Depth=1
	s_delay_alu instid0(VALU_DEP_3) | instskip(NEXT) | instid1(VALU_DEP_1)
	v_clz_i32_u32_e32 v44, v10
	v_min_u32_e32 v44, 32, v44
	s_delay_alu instid0(VALU_DEP_1) | instskip(SKIP_1) | instid1(VALU_DEP_2)
	v_subrev_nc_u32_e32 v47, 28, v44
	v_sub_nc_u32_e32 v44, 29, v44
	v_lshlrev_b64 v[47:48], v47, v[10:11]
	s_delay_alu instid0(VALU_DEP_1)
	v_and_b32_e32 v10, 7, v47
; %bb.484:                              ;   in Loop: Header=BB341_278 Depth=1
	s_or_b32 exec_lo, exec_lo, s18
	v_lshlrev_b32_e32 v46, 8, v46
	v_lshl_add_u32 v44, v44, 10, 0x2000
	s_delay_alu instid0(VALU_DEP_1) | instskip(NEXT) | instid1(VALU_DEP_1)
	v_and_or_b32 v44, 0x8000, v46, v44
	v_lshl_or_b32 v10, v10, 7, v44
	s_delay_alu instid0(VALU_DEP_1)
	v_cvt_f32_f16_e32 v44, v10
.LBB341_485:                            ;   in Loop: Header=BB341_278 Depth=1
	s_or_b32 exec_lo, exec_lo, s17
.LBB341_486:                            ;   in Loop: Header=BB341_278 Depth=1
	s_delay_alu instid0(SALU_CYCLE_1)
	s_or_b32 exec_lo, exec_lo, s15
.LBB341_487:                            ;   in Loop: Header=BB341_278 Depth=1
	s_delay_alu instid0(SALU_CYCLE_1) | instskip(NEXT) | instid1(SALU_CYCLE_1)
	s_or_b32 exec_lo, exec_lo, s14
	s_mov_b32 s14, exec_lo
	v_cmpx_lt_u32_e32 0xffffff, v12
	s_cbranch_execz .LBB341_495
; %bb.488:                              ;   in Loop: Header=BB341_278 Depth=1
	v_lshrrev_b32_e32 v46, 24, v12
	v_bfrev_b32_e32 v45, 1
	s_mov_b32 s15, exec_lo
	s_delay_alu instid0(VALU_DEP_2)
	v_cmpx_ne_u32_e32 0x80, v46
	s_cbranch_execz .LBB341_494
; %bb.489:                              ;   in Loop: Header=BB341_278 Depth=1
	v_and_b32_e32 v47, 0x7f, v46
	v_mov_b32_e32 v45, 0x7fc02000
	s_mov_b32 s17, exec_lo
	s_delay_alu instid0(VALU_DEP_2)
	v_cmpx_ne_u32_e32 0x7f, v47
	s_cbranch_execz .LBB341_493
; %bb.490:                              ;   in Loop: Header=BB341_278 Depth=1
	v_and_b32_e32 v10, 7, v46
	v_lshrrev_b32_e32 v45, 3, v47
	s_mov_b32 s18, exec_lo
	v_cmpx_gt_u32_e32 8, v47
; %bb.491:                              ;   in Loop: Header=BB341_278 Depth=1
	s_delay_alu instid0(VALU_DEP_3) | instskip(NEXT) | instid1(VALU_DEP_1)
	v_clz_i32_u32_e32 v45, v10
	v_min_u32_e32 v45, 32, v45
	s_delay_alu instid0(VALU_DEP_1) | instskip(SKIP_1) | instid1(VALU_DEP_2)
	v_subrev_nc_u32_e32 v47, 28, v45
	v_sub_nc_u32_e32 v45, 29, v45
	v_lshlrev_b64 v[47:48], v47, v[10:11]
	s_delay_alu instid0(VALU_DEP_1)
	v_and_b32_e32 v10, 7, v47
; %bb.492:                              ;   in Loop: Header=BB341_278 Depth=1
	s_or_b32 exec_lo, exec_lo, s18
	v_lshlrev_b32_e32 v46, 8, v46
	v_lshl_add_u32 v45, v45, 10, 0x2000
	s_delay_alu instid0(VALU_DEP_1) | instskip(NEXT) | instid1(VALU_DEP_1)
	v_and_or_b32 v45, 0x8000, v46, v45
	v_lshl_or_b32 v10, v10, 7, v45
	s_delay_alu instid0(VALU_DEP_1)
	v_cvt_f32_f16_e32 v45, v10
.LBB341_493:                            ;   in Loop: Header=BB341_278 Depth=1
	s_or_b32 exec_lo, exec_lo, s17
.LBB341_494:                            ;   in Loop: Header=BB341_278 Depth=1
	s_delay_alu instid0(SALU_CYCLE_1)
	s_or_b32 exec_lo, exec_lo, s15
.LBB341_495:                            ;   in Loop: Header=BB341_278 Depth=1
	s_delay_alu instid0(SALU_CYCLE_1) | instskip(SKIP_4) | instid1(VALU_DEP_3)
	s_or_b32 exec_lo, exec_lo, s14
	v_dual_mov_b32 v47, 0 :: v_dual_and_b32 v48, 0xff, v13
	v_mov_b32_e32 v10, v13
	v_mov_b32_e32 v46, 0
	s_mov_b32 s14, exec_lo
	v_cmpx_ne_u16_e32 0, v48
	s_cbranch_execz .LBB341_501
; %bb.496:                              ;   in Loop: Header=BB341_278 Depth=1
	v_bfrev_b32_e32 v46, 1
	s_mov_b32 s15, exec_lo
	v_cmpx_ne_u16_e32 0x80, v48
	s_cbranch_execz .LBB341_500
; %bb.497:                              ;   in Loop: Header=BB341_278 Depth=1
	v_and_b32_e32 v48, 0x7f, v13
	v_mov_b32_e32 v46, 0x7fc02000
	s_mov_b32 s17, exec_lo
	s_delay_alu instid0(VALU_DEP_2)
	v_cmpx_ne_u32_e32 0x7f, v48
	s_cbranch_execz .LBB341_499
; %bb.498:                              ;   in Loop: Header=BB341_278 Depth=1
	v_and_b32_e32 v46, 7, v13
	v_cmp_gt_u32_e64 s0, 8, v48
	v_lshrrev_b32_e32 v49, 3, v48
	s_delay_alu instid0(VALU_DEP_3) | instskip(NEXT) | instid1(VALU_DEP_1)
	v_clz_i32_u32_e32 v46, v46
	v_min_u32_e32 v46, 32, v46
	s_delay_alu instid0(VALU_DEP_1) | instskip(SKIP_1) | instid1(VALU_DEP_2)
	v_subrev_nc_u32_e32 v50, 28, v46
	v_sub_nc_u32_e32 v46, 29, v46
	v_cndmask_b32_e64 v48, 0, v50, s0
	s_delay_alu instid0(VALU_DEP_2) | instskip(NEXT) | instid1(VALU_DEP_2)
	v_cndmask_b32_e64 v46, v49, v46, s0
	v_lshlrev_b64 v[48:49], v48, v[10:11]
	v_lshlrev_b32_e32 v49, 8, v13
	s_delay_alu instid0(VALU_DEP_3) | instskip(NEXT) | instid1(VALU_DEP_3)
	v_lshl_add_u32 v46, v46, 10, 0x2000
	v_lshlrev_b32_e32 v48, 7, v48
	s_delay_alu instid0(VALU_DEP_2) | instskip(NEXT) | instid1(VALU_DEP_1)
	v_and_or_b32 v46, 0x8000, v49, v46
	v_and_or_b32 v46, 0x380, v48, v46
	s_delay_alu instid0(VALU_DEP_1)
	v_cvt_f32_f16_e32 v46, v46
.LBB341_499:                            ;   in Loop: Header=BB341_278 Depth=1
	s_or_b32 exec_lo, exec_lo, s17
.LBB341_500:                            ;   in Loop: Header=BB341_278 Depth=1
	s_delay_alu instid0(SALU_CYCLE_1)
	s_or_b32 exec_lo, exec_lo, s15
.LBB341_501:                            ;   in Loop: Header=BB341_278 Depth=1
	s_delay_alu instid0(SALU_CYCLE_1) | instskip(SKIP_2) | instid1(VALU_DEP_1)
	s_or_b32 exec_lo, exec_lo, s14
	v_lshrrev_b16 v10, 8, v10
	s_mov_b32 s14, exec_lo
	v_cmpx_ne_u16_e32 0, v10
	s_cbranch_execz .LBB341_509
; %bb.502:                              ;   in Loop: Header=BB341_278 Depth=1
	v_bfrev_b32_e32 v47, 1
	s_mov_b32 s15, exec_lo
	v_cmpx_ne_u16_e32 0x80, v10
	s_cbranch_execz .LBB341_508
; %bb.503:                              ;   in Loop: Header=BB341_278 Depth=1
	v_and_b32_e32 v48, 0xffff, v10
	v_mov_b32_e32 v47, 0x7fc02000
	s_mov_b32 s17, exec_lo
	s_delay_alu instid0(VALU_DEP_2) | instskip(NEXT) | instid1(VALU_DEP_1)
	v_and_b32_e32 v49, 0x7f, v48
	v_cmpx_ne_u32_e32 0x7f, v49
	s_cbranch_execz .LBB341_507
; %bb.504:                              ;   in Loop: Header=BB341_278 Depth=1
	v_and_b32_e32 v10, 7, v48
	v_lshrrev_b32_e32 v47, 3, v49
	s_mov_b32 s18, exec_lo
	v_cmpx_gt_u32_e32 8, v49
; %bb.505:                              ;   in Loop: Header=BB341_278 Depth=1
	s_delay_alu instid0(VALU_DEP_3) | instskip(NEXT) | instid1(VALU_DEP_1)
	v_clz_i32_u32_e32 v47, v10
	v_min_u32_e32 v47, 32, v47
	s_delay_alu instid0(VALU_DEP_1) | instskip(SKIP_1) | instid1(VALU_DEP_2)
	v_subrev_nc_u32_e32 v49, 28, v47
	v_sub_nc_u32_e32 v47, 29, v47
	v_lshlrev_b64 v[49:50], v49, v[10:11]
	s_delay_alu instid0(VALU_DEP_1)
	v_and_b32_e32 v10, 7, v49
; %bb.506:                              ;   in Loop: Header=BB341_278 Depth=1
	s_or_b32 exec_lo, exec_lo, s18
	v_lshlrev_b32_e32 v48, 8, v48
	v_lshl_add_u32 v47, v47, 10, 0x2000
	s_delay_alu instid0(VALU_DEP_1) | instskip(NEXT) | instid1(VALU_DEP_1)
	v_and_or_b32 v47, 0x8000, v48, v47
	v_lshl_or_b32 v10, v10, 7, v47
	s_delay_alu instid0(VALU_DEP_1)
	v_cvt_f32_f16_e32 v47, v10
.LBB341_507:                            ;   in Loop: Header=BB341_278 Depth=1
	s_or_b32 exec_lo, exec_lo, s17
.LBB341_508:                            ;   in Loop: Header=BB341_278 Depth=1
	s_delay_alu instid0(SALU_CYCLE_1)
	s_or_b32 exec_lo, exec_lo, s15
.LBB341_509:                            ;   in Loop: Header=BB341_278 Depth=1
	s_delay_alu instid0(SALU_CYCLE_1) | instskip(SKIP_3) | instid1(VALU_DEP_2)
	s_or_b32 exec_lo, exec_lo, s14
	v_lshrrev_b32_e32 v50, 16, v13
	v_mov_b32_e32 v48, 0
	s_mov_b32 s14, exec_lo
	v_dual_mov_b32 v49, 0 :: v_dual_and_b32 v10, 0xff, v50
	s_delay_alu instid0(VALU_DEP_1)
	v_cmpx_ne_u16_e32 0, v10
	s_cbranch_execz .LBB341_517
; %bb.510:                              ;   in Loop: Header=BB341_278 Depth=1
	v_bfrev_b32_e32 v48, 1
	s_mov_b32 s15, exec_lo
	v_cmpx_ne_u16_e32 0x80, v10
	s_cbranch_execz .LBB341_516
; %bb.511:                              ;   in Loop: Header=BB341_278 Depth=1
	v_bfe_u32 v51, v13, 16, 7
	v_mov_b32_e32 v48, 0x7fc02000
	s_mov_b32 s17, exec_lo
	s_delay_alu instid0(VALU_DEP_2)
	v_cmpx_ne_u32_e32 0x7f, v51
	s_cbranch_execz .LBB341_515
; %bb.512:                              ;   in Loop: Header=BB341_278 Depth=1
	v_and_b32_e32 v10, 7, v50
	v_lshrrev_b32_e32 v48, 3, v51
	s_mov_b32 s18, exec_lo
	v_cmpx_gt_u32_e32 8, v51
; %bb.513:                              ;   in Loop: Header=BB341_278 Depth=1
	s_delay_alu instid0(VALU_DEP_3) | instskip(NEXT) | instid1(VALU_DEP_1)
	v_clz_i32_u32_e32 v48, v10
	v_min_u32_e32 v48, 32, v48
	s_delay_alu instid0(VALU_DEP_1) | instskip(SKIP_1) | instid1(VALU_DEP_2)
	v_subrev_nc_u32_e32 v51, 28, v48
	v_sub_nc_u32_e32 v48, 29, v48
	v_lshlrev_b64 v[51:52], v51, v[10:11]
	s_delay_alu instid0(VALU_DEP_1)
	v_and_b32_e32 v10, 7, v51
; %bb.514:                              ;   in Loop: Header=BB341_278 Depth=1
	s_or_b32 exec_lo, exec_lo, s18
	v_lshlrev_b32_e32 v50, 8, v50
	v_lshl_add_u32 v48, v48, 10, 0x2000
	s_delay_alu instid0(VALU_DEP_1) | instskip(NEXT) | instid1(VALU_DEP_1)
	v_and_or_b32 v48, 0x8000, v50, v48
	v_lshl_or_b32 v10, v10, 7, v48
	s_delay_alu instid0(VALU_DEP_1)
	v_cvt_f32_f16_e32 v48, v10
.LBB341_515:                            ;   in Loop: Header=BB341_278 Depth=1
	s_or_b32 exec_lo, exec_lo, s17
.LBB341_516:                            ;   in Loop: Header=BB341_278 Depth=1
	s_delay_alu instid0(SALU_CYCLE_1)
	s_or_b32 exec_lo, exec_lo, s15
.LBB341_517:                            ;   in Loop: Header=BB341_278 Depth=1
	s_delay_alu instid0(SALU_CYCLE_1) | instskip(NEXT) | instid1(SALU_CYCLE_1)
	s_or_b32 exec_lo, exec_lo, s14
	s_mov_b32 s14, exec_lo
	v_cmpx_lt_u64_e64 s[2:3], v[12:13]
	s_cbranch_execz .LBB341_525
; %bb.518:                              ;   in Loop: Header=BB341_278 Depth=1
	v_lshrrev_b32_e32 v12, 24, v13
	v_bfrev_b32_e32 v49, 1
	s_mov_b32 s15, exec_lo
	s_delay_alu instid0(VALU_DEP_2)
	v_cmpx_ne_u32_e32 0x80, v12
	s_cbranch_execz .LBB341_524
; %bb.519:                              ;   in Loop: Header=BB341_278 Depth=1
	v_and_b32_e32 v50, 0x7f, v12
	v_mov_b32_e32 v49, 0x7fc02000
	s_mov_b32 s17, exec_lo
	s_delay_alu instid0(VALU_DEP_2)
	v_cmpx_ne_u32_e32 0x7f, v50
	s_cbranch_execz .LBB341_523
; %bb.520:                              ;   in Loop: Header=BB341_278 Depth=1
	v_and_b32_e32 v10, 7, v12
	v_lshrrev_b32_e32 v13, 3, v50
	s_mov_b32 s18, exec_lo
	v_cmpx_gt_u32_e32 8, v50
; %bb.521:                              ;   in Loop: Header=BB341_278 Depth=1
	s_delay_alu instid0(VALU_DEP_3) | instskip(NEXT) | instid1(VALU_DEP_1)
	v_clz_i32_u32_e32 v13, v10
	v_min_u32_e32 v13, 32, v13
	s_delay_alu instid0(VALU_DEP_1) | instskip(SKIP_1) | instid1(VALU_DEP_2)
	v_subrev_nc_u32_e32 v49, 28, v13
	v_sub_nc_u32_e32 v13, 29, v13
	v_lshlrev_b64 v[49:50], v49, v[10:11]
	s_delay_alu instid0(VALU_DEP_1)
	v_and_b32_e32 v10, 7, v49
; %bb.522:                              ;   in Loop: Header=BB341_278 Depth=1
	s_or_b32 exec_lo, exec_lo, s18
	v_lshlrev_b32_e32 v12, 8, v12
	v_lshl_add_u32 v13, v13, 10, 0x2000
	s_delay_alu instid0(VALU_DEP_1) | instskip(NEXT) | instid1(VALU_DEP_1)
	v_and_or_b32 v12, 0x8000, v12, v13
	v_lshl_or_b32 v10, v10, 7, v12
	s_delay_alu instid0(VALU_DEP_1)
	v_cvt_f32_f16_e32 v49, v10
.LBB341_523:                            ;   in Loop: Header=BB341_278 Depth=1
	s_or_b32 exec_lo, exec_lo, s17
.LBB341_524:                            ;   in Loop: Header=BB341_278 Depth=1
	s_delay_alu instid0(SALU_CYCLE_1)
	s_or_b32 exec_lo, exec_lo, s15
.LBB341_525:                            ;   in Loop: Header=BB341_278 Depth=1
	s_delay_alu instid0(SALU_CYCLE_1)
	s_or_b32 exec_lo, exec_lo, s14
	s_waitcnt vmcnt(0)
	v_fma_mixlo_f16 v13, v41, v43, 0
	v_fma_mixlo_f16 v10, v41, v45, 0
	;; [unrolled: 1-line block ×5, first 2 shown]
	v_lshlrev_b32_e32 v43, 16, v13
	v_fma_mixlo_f16 v13, v41, v42, 0
	v_fma_mixlo_f16 v42, v41, v47, 0
	;; [unrolled: 1-line block ×3, first 2 shown]
	v_lshlrev_b32_e32 v10, 16, v10
	v_and_b32_e32 v12, 0xffff, v12
	v_and_b32_e32 v46, 0xffff, v13
	v_lshlrev_b32_e32 v47, 16, v42
	v_and_b32_e32 v44, 0xffff, v44
	v_lshlrev_b32_e32 v45, 16, v45
	v_and_b32_e32 v48, 0xffff, v41
	v_or_b32_e32 v13, v10, v12
	v_or_b32_e32 v42, v43, v46
	;; [unrolled: 1-line block ×3, first 2 shown]
	s_delay_alu instid0(VALU_DEP_4)
	v_or_b32_e32 v12, v45, v48
	s_and_saveexec_b32 s0, vcc_lo
	s_cbranch_execz .LBB341_276
; %bb.526:                              ;   in Loop: Header=BB341_278 Depth=1
	v_cmp_gt_i32_e32 vcc_lo, s33, v25
	v_lshrrev_b32_e32 v43, 16, v42
	v_lshrrev_b32_e32 v44, 16, v13
	;; [unrolled: 1-line block ×3, first 2 shown]
	v_cndmask_b32_e32 v25, 0, v42, vcc_lo
	v_cmp_gt_i32_e32 vcc_lo, s11, v32
	v_lshrrev_b32_e32 v42, 16, v10
	v_cndmask_b32_e32 v32, 0, v43, vcc_lo
	v_cmp_gt_i32_e32 vcc_lo, s11, v31
	v_cndmask_b32_e32 v31, 0, v44, vcc_lo
	v_cmp_gt_i32_e32 vcc_lo, s33, v30
	;; [unrolled: 2-line block ×4, first 2 shown]
	v_perm_b32 v42, v32, v25, 0x5040100
	v_cndmask_b32_e32 v10, 0, v10, vcc_lo
	v_cmp_gt_i32_e32 vcc_lo, s11, v27
	v_cndmask_b32_e32 v12, 0, v12, vcc_lo
	v_cmp_gt_i32_e32 vcc_lo, s33, v26
	v_perm_b32 v13, v31, v13, 0x5040100
	v_cndmask_b32_e32 v26, 0, v41, vcc_lo
	v_perm_b32 v10, v29, v10, 0x5040100
	s_delay_alu instid0(VALU_DEP_2)
	v_perm_b32 v12, v12, v26, 0x5040100
	s_branch .LBB341_276
.LBB341_527:
	s_or_b32 exec_lo, exec_lo, s12
.LBB341_528:
	s_delay_alu instid0(SALU_CYCLE_1)
	s_or_b32 exec_lo, exec_lo, s1
	ds_bpermute_b32 v5, v19, v1
	ds_bpermute_b32 v6, v19, v2
	;; [unrolled: 1-line block ×4, first 2 shown]
	s_mov_b32 s0, exec_lo
	s_waitcnt lgkmcnt(0)
	s_waitcnt_vscnt null, 0x0
	s_barrier
	buffer_gl0_inv
	v_dual_add_f32 v1, v1, v5 :: v_dual_add_f32 v2, v2, v6
	v_dual_add_f32 v6, v3, v7 :: v_dual_add_f32 v7, v4, v8
	v_lshrrev_b32_e32 v5, 2, v17
	ds_bpermute_b32 v3, v20, v1
	ds_bpermute_b32 v8, v20, v2
	;; [unrolled: 1-line block ×4, first 2 shown]
	s_waitcnt lgkmcnt(3)
	v_dual_add_f32 v4, v1, v3 :: v_dual_and_b32 v11, 0x3c3, v0
	s_waitcnt lgkmcnt(2)
	v_add_f32_e32 v3, v2, v8
	s_waitcnt lgkmcnt(0)
	v_dual_add_f32 v2, v6, v9 :: v_dual_add_f32 v1, v7, v10
	v_cmpx_eq_u32_e32 64, v11
	s_cbranch_execz .LBB341_530
; %bb.529:
	v_lshl_add_u32 v6, v16, 7, 0x60
	v_lshlrev_b32_e32 v7, 2, v5
	s_delay_alu instid0(VALU_DEP_1)
	v_add3_u32 v6, v6, v7, 0xffffff00
	ds_store_2addr_b32 v6, v4, v3 offset1:8
	ds_store_2addr_b32 v6, v2, v1 offset0:16 offset1:24
.LBB341_530:
	s_or_b32 exec_lo, exec_lo, s0
	v_and_b32_e32 v6, 0x3e0, v0
	v_cmp_eq_u32_e32 vcc_lo, 0, v21
	s_mov_b32 s1, exec_lo
	s_waitcnt lgkmcnt(0)
	s_barrier
	v_lshl_add_u32 v6, v6, 2, 0x60
	buffer_gl0_inv
	v_cmpx_gt_u32_e32 64, v0
	s_cbranch_execz .LBB341_537
; %bb.531:
	s_and_saveexec_b32 s0, vcc_lo
	s_cbranch_execnz .LBB341_549
; %bb.532:
	s_or_b32 exec_lo, exec_lo, s0
	s_and_saveexec_b32 s0, vcc_lo
	s_cbranch_execnz .LBB341_550
.LBB341_533:
	s_or_b32 exec_lo, exec_lo, s0
	s_and_saveexec_b32 s0, vcc_lo
	s_cbranch_execnz .LBB341_551
.LBB341_534:
	s_or_b32 exec_lo, exec_lo, s0
	s_and_saveexec_b32 s0, vcc_lo
	s_cbranch_execz .LBB341_536
.LBB341_535:
	v_lshl_add_u32 v7, v5, 2, v6
	ds_load_b32 v7, v7 offset:96
	s_waitcnt lgkmcnt(0)
	v_add_f32_e32 v1, v1, v7
.LBB341_536:
	s_or_b32 exec_lo, exec_lo, s0
.LBB341_537:
	s_delay_alu instid0(SALU_CYCLE_1)
	s_or_b32 exec_lo, exec_lo, s1
	v_and_b32_e32 v7, 0x3e3, v0
	s_mov_b32 s1, exec_lo
	s_barrier
	buffer_gl0_inv
	v_cmpx_eq_u32_e32 32, v7
	s_cbranch_execz .LBB341_539
; %bb.538:
	v_lshl_add_u32 v8, v5, 2, 0x60
	ds_store_2addr_b32 v8, v4, v3 offset1:8
	ds_store_2addr_b32 v8, v2, v1 offset0:16 offset1:24
.LBB341_539:
	s_or_b32 exec_lo, exec_lo, s1
	s_delay_alu instid0(SALU_CYCLE_1)
	s_mov_b32 s1, exec_lo
	s_waitcnt lgkmcnt(0)
	s_barrier
	buffer_gl0_inv
	v_cmpx_gt_u32_e32 32, v0
	s_cbranch_execz .LBB341_546
; %bb.540:
	v_lshl_add_u32 v5, v5, 2, v6
	s_and_saveexec_b32 s0, vcc_lo
	s_cbranch_execnz .LBB341_552
; %bb.541:
	s_or_b32 exec_lo, exec_lo, s0
	s_and_saveexec_b32 s0, vcc_lo
	s_cbranch_execnz .LBB341_553
.LBB341_542:
	s_or_b32 exec_lo, exec_lo, s0
	s_and_saveexec_b32 s0, vcc_lo
	s_cbranch_execnz .LBB341_554
.LBB341_543:
	s_or_b32 exec_lo, exec_lo, s0
	s_and_saveexec_b32 s0, vcc_lo
	s_cbranch_execz .LBB341_545
.LBB341_544:
	ds_load_b32 v5, v5 offset:96
	s_waitcnt lgkmcnt(0)
	v_add_f32_e32 v1, v1, v5
.LBB341_545:
	s_or_b32 exec_lo, exec_lo, s0
.LBB341_546:
	s_delay_alu instid0(SALU_CYCLE_1)
	s_or_b32 exec_lo, exec_lo, s1
	s_barrier
	buffer_gl0_inv
	s_mov_b32 s0, exec_lo
	v_cmpx_eq_u32_e32 0, v7
	s_cbranch_execz .LBB341_548
; %bb.547:
	s_lshl_b32 s0, s4, 5
	s_mul_i32 s2, s8, s26
	s_ashr_i32 s1, s0, 31
	v_lshrrev_b32_e32 v0, 1, v0
	s_lshl_b64 s[0:1], s[0:1], 1
	;;#ASMSTART
	v_cvt_f16_f32 v4, v4;

	;;#ASMEND
	s_add_u32 s4, s28, s0
	s_addc_u32 s5, s29, s1
	s_ashr_i32 s3, s2, 31
	s_delay_alu instid0(SALU_CYCLE_1) | instskip(NEXT) | instid1(SALU_CYCLE_1)
	s_lshl_b64 s[0:1], s[2:3], 1
	s_add_u32 s2, s4, s0
	s_addc_u32 s3, s5, s1
	s_lshl_b32 s0, s24, 5
	s_delay_alu instid0(SALU_CYCLE_1) | instskip(NEXT) | instid1(SALU_CYCLE_1)
	s_ashr_i32 s1, s0, 31
	s_lshl_b64 s[0:1], s[0:1], 1
	s_delay_alu instid0(SALU_CYCLE_1)
	s_add_u32 s0, s2, s0
	s_addc_u32 s1, s3, s1
	global_store_b16 v0, v4, s[0:1]
	;;#ASMSTART
	v_cvt_f16_f32 v3, v3;

	;;#ASMEND
	global_store_b16 v0, v3, s[0:1] offset:16
	;;#ASMSTART
	v_cvt_f16_f32 v2, v2;

	;;#ASMEND
	global_store_b16 v0, v2, s[0:1] offset:32
	;; [unrolled: 5-line block ×3, first 2 shown]
.LBB341_548:
	s_nop 0
	s_sendmsg sendmsg(MSG_DEALLOC_VGPRS)
	s_endpgm
.LBB341_549:
	v_lshl_add_u32 v7, v5, 2, v6
	ds_load_b32 v7, v7
	s_waitcnt lgkmcnt(0)
	v_add_f32_e32 v4, v4, v7
	s_or_b32 exec_lo, exec_lo, s0
	s_and_saveexec_b32 s0, vcc_lo
	s_cbranch_execz .LBB341_533
.LBB341_550:
	v_lshl_add_u32 v7, v5, 2, v6
	ds_load_b32 v7, v7 offset:32
	s_waitcnt lgkmcnt(0)
	v_add_f32_e32 v3, v3, v7
	s_or_b32 exec_lo, exec_lo, s0
	s_and_saveexec_b32 s0, vcc_lo
	s_cbranch_execz .LBB341_534
.LBB341_551:
	v_lshl_add_u32 v7, v5, 2, v6
	ds_load_b32 v7, v7 offset:64
	s_waitcnt lgkmcnt(0)
	v_add_f32_e32 v2, v2, v7
	s_or_b32 exec_lo, exec_lo, s0
	s_and_saveexec_b32 s0, vcc_lo
	s_cbranch_execnz .LBB341_535
	s_branch .LBB341_536
.LBB341_552:
	ds_load_b32 v6, v5
	s_waitcnt lgkmcnt(0)
	v_add_f32_e32 v4, v4, v6
	s_or_b32 exec_lo, exec_lo, s0
	s_and_saveexec_b32 s0, vcc_lo
	s_cbranch_execz .LBB341_542
.LBB341_553:
	ds_load_b32 v6, v5 offset:32
	s_waitcnt lgkmcnt(0)
	v_add_f32_e32 v3, v3, v6
	s_or_b32 exec_lo, exec_lo, s0
	s_and_saveexec_b32 s0, vcc_lo
	s_cbranch_execz .LBB341_543
.LBB341_554:
	ds_load_b32 v6, v5 offset:64
	s_waitcnt lgkmcnt(0)
	v_add_f32_e32 v2, v2, v6
	s_or_b32 exec_lo, exec_lo, s0
	s_and_saveexec_b32 s0, vcc_lo
	s_cbranch_execnz .LBB341_544
	s_branch .LBB341_545
	.section	.rodata,"a",@progbits
	.p2align	6, 0x0
	.amdhsa_kernel _ZN4vllm25paged_attention_v2_kernelIthLi32ELi32ELi128ELNS_18Fp8KVCacheDataTypeE1ELb1ELi512EEEvPfS2_PT_PKS3_PKT0_S9_ifPKiSB_iPKfiiiSD_SD_iiiii
		.amdhsa_group_segment_fixed_size 96
		.amdhsa_private_segment_fixed_size 0
		.amdhsa_kernarg_size 400
		.amdhsa_user_sgpr_count 13
		.amdhsa_user_sgpr_dispatch_ptr 0
		.amdhsa_user_sgpr_queue_ptr 0
		.amdhsa_user_sgpr_kernarg_segment_ptr 1
		.amdhsa_user_sgpr_dispatch_id 0
		.amdhsa_user_sgpr_private_segment_size 0
		.amdhsa_wavefront_size32 1
		.amdhsa_uses_dynamic_stack 0
		.amdhsa_enable_private_segment 0
		.amdhsa_system_sgpr_workgroup_id_x 1
		.amdhsa_system_sgpr_workgroup_id_y 1
		.amdhsa_system_sgpr_workgroup_id_z 1
		.amdhsa_system_sgpr_workgroup_info 0
		.amdhsa_system_vgpr_workitem_id 0
		.amdhsa_next_free_vgpr 75
		.amdhsa_next_free_sgpr 53
		.amdhsa_reserve_vcc 1
		.amdhsa_float_round_mode_32 0
		.amdhsa_float_round_mode_16_64 0
		.amdhsa_float_denorm_mode_32 3
		.amdhsa_float_denorm_mode_16_64 3
		.amdhsa_dx10_clamp 1
		.amdhsa_ieee_mode 1
		.amdhsa_fp16_overflow 0
		.amdhsa_workgroup_processor_mode 1
		.amdhsa_memory_ordered 1
		.amdhsa_forward_progress 0
		.amdhsa_shared_vgpr_count 0
		.amdhsa_exception_fp_ieee_invalid_op 0
		.amdhsa_exception_fp_denorm_src 0
		.amdhsa_exception_fp_ieee_div_zero 0
		.amdhsa_exception_fp_ieee_overflow 0
		.amdhsa_exception_fp_ieee_underflow 0
		.amdhsa_exception_fp_ieee_inexact 0
		.amdhsa_exception_int_div_zero 0
	.end_amdhsa_kernel
	.section	.text._ZN4vllm25paged_attention_v2_kernelIthLi32ELi32ELi128ELNS_18Fp8KVCacheDataTypeE1ELb1ELi512EEEvPfS2_PT_PKS3_PKT0_S9_ifPKiSB_iPKfiiiSD_SD_iiiii,"axG",@progbits,_ZN4vllm25paged_attention_v2_kernelIthLi32ELi32ELi128ELNS_18Fp8KVCacheDataTypeE1ELb1ELi512EEEvPfS2_PT_PKS3_PKT0_S9_ifPKiSB_iPKfiiiSD_SD_iiiii,comdat
.Lfunc_end341:
	.size	_ZN4vllm25paged_attention_v2_kernelIthLi32ELi32ELi128ELNS_18Fp8KVCacheDataTypeE1ELb1ELi512EEEvPfS2_PT_PKS3_PKT0_S9_ifPKiSB_iPKfiiiSD_SD_iiiii, .Lfunc_end341-_ZN4vllm25paged_attention_v2_kernelIthLi32ELi32ELi128ELNS_18Fp8KVCacheDataTypeE1ELb1ELi512EEEvPfS2_PT_PKS3_PKT0_S9_ifPKiSB_iPKfiiiSD_SD_iiiii
                                        ; -- End function
	.section	.AMDGPU.csdata,"",@progbits
; Kernel info:
; codeLenInByte = 23004
; NumSgprs: 55
; NumVgprs: 75
; ScratchSize: 0
; MemoryBound: 0
; FloatMode: 240
; IeeeMode: 1
; LDSByteSize: 96 bytes/workgroup (compile time only)
; SGPRBlocks: 6
; VGPRBlocks: 9
; NumSGPRsForWavesPerEU: 55
; NumVGPRsForWavesPerEU: 75
; Occupancy: 16
; WaveLimiterHint : 1
; COMPUTE_PGM_RSRC2:SCRATCH_EN: 0
; COMPUTE_PGM_RSRC2:USER_SGPR: 13
; COMPUTE_PGM_RSRC2:TRAP_HANDLER: 0
; COMPUTE_PGM_RSRC2:TGID_X_EN: 1
; COMPUTE_PGM_RSRC2:TGID_Y_EN: 1
; COMPUTE_PGM_RSRC2:TGID_Z_EN: 1
; COMPUTE_PGM_RSRC2:TIDIG_COMP_CNT: 0
	.text
	.p2align	2                               ; -- Begin function _ZN4vllm22paged_attention_kernelIthLi64ELi32ELi128ELNS_18Fp8KVCacheDataTypeE1ELb1ELi512EEEvPfS2_PT_PKS3_PKT0_S9_ifPKiSB_iPKfiiiSD_SD_iiiii
	.type	_ZN4vllm22paged_attention_kernelIthLi64ELi32ELi128ELNS_18Fp8KVCacheDataTypeE1ELb1ELi512EEEvPfS2_PT_PKS3_PKT0_S9_ifPKiSB_iPKfiiiSD_SD_iiiii,@function
_ZN4vllm22paged_attention_kernelIthLi64ELi32ELi128ELNS_18Fp8KVCacheDataTypeE1ELb1ELi512EEEvPfS2_PT_PKS3_PKT0_S9_ifPKiSB_iPKfiiiSD_SD_iiiii: ; @_ZN4vllm22paged_attention_kernelIthLi64ELi32ELi128ELNS_18Fp8KVCacheDataTypeE1ELb1ELi512EEEvPfS2_PT_PKS3_PKT0_S9_ifPKiSB_iPKfiiiSD_SD_iiiii
; %bb.0:
	s_waitcnt vmcnt(0) expcnt(0) lgkmcnt(0)
	s_clause 0x13
	scratch_store_b32 off, v40, s32 offset:84
	; meta instruction
	scratch_store_b32 off, v41, s32 offset:80
	; meta instruction
	;; [unrolled: 2-line block ×19, first 2 shown]
	scratch_store_b32 off, v75, s32 offset:8
	s_mov_b32 s10, s13
	s_ashr_i32 s11, s13, 31
	s_lshl_b32 s3, s14, 9
	s_lshl_b64 s[0:1], s[10:11], 2
	s_mov_b32 s11, exec_lo
	v_add_co_u32 v16, vcc_lo, v16, s0
	v_add_co_ci_u32_e32 v17, vcc_lo, s1, v17, vcc_lo
	flat_load_b32 v38, v[16:17]
	s_clause 0x1
	scratch_load_b32 v32, off, s32 offset:4
	scratch_load_b32 v33, off, s32
	s_waitcnt vmcnt(2) lgkmcnt(0)
	v_cmpx_lt_i32_e64 s3, v38
	s_cbranch_execz .LBB342_1108
; %bb.1:
	v_sub_nc_u32_e32 v16, 0, v12
	s_clause 0x1
	s_load_b32 s0, s[8:9], 0x10
	s_load_b32 s1, s[8:9], 0x0
	s_mov_b32 s6, s15
	v_mov_b32_e32 v65, 0
	v_max_i32_e32 v16, v12, v16
	s_delay_alu instid0(VALU_DEP_1) | instskip(SKIP_1) | instid1(VALU_DEP_2)
	v_cvt_f32_u32_e32 v17, v16
	v_sub_nc_u32_e32 v34, 0, v16
	v_rcp_iflag_f32_e32 v17, v17
	s_waitcnt lgkmcnt(0)
	s_lshr_b32 s0, s0, 16
	s_delay_alu instid0(SALU_CYCLE_1) | instskip(SKIP_3) | instid1(SALU_CYCLE_1)
	s_cmp_lg_u32 s0, 0
	s_waitcnt_depctr 0xfff
	v_mul_f32_e32 v17, 0x4f7ffffe, v17
	s_cselect_b32 s0, -1, 0
	s_cmp_lg_u32 s0, 0
	s_delay_alu instid0(VALU_DEP_1) | instskip(SKIP_3) | instid1(VALU_DEP_1)
	v_cvt_u32_f32_e32 v17, v17
	s_addc_u32 s15, s1, 0
	s_mov_b32 s1, exec_lo
	s_abs_i32 s0, s15
	v_mul_lo_u32 v34, v34, v17
	s_delay_alu instid0(VALU_DEP_1) | instskip(NEXT) | instid1(VALU_DEP_1)
	v_mul_hi_u32 v34, v17, v34
	v_add_nc_u32_e32 v17, v17, v34
	s_delay_alu instid0(VALU_DEP_1) | instskip(NEXT) | instid1(VALU_DEP_1)
	v_mul_hi_u32 v17, s0, v17
	v_mul_lo_u32 v34, v17, v16
	v_add_nc_u32_e32 v35, 1, v17
	s_delay_alu instid0(VALU_DEP_2) | instskip(SKIP_1) | instid1(VALU_DEP_1)
	v_sub_nc_u32_e32 v34, s0, v34
	s_abs_i32 s0, s12
	v_sub_nc_u32_e32 v36, v34, v16
	v_cmp_ge_u32_e32 vcc_lo, v34, v16
	s_delay_alu instid0(VALU_DEP_2) | instskip(SKIP_1) | instid1(VALU_DEP_2)
	v_dual_cndmask_b32 v17, v17, v35 :: v_dual_cndmask_b32 v34, v34, v36
	v_xor_b32_e32 v35, s15, v12
	v_add_nc_u32_e32 v36, 1, v17
	s_delay_alu instid0(VALU_DEP_3) | instskip(NEXT) | instid1(VALU_DEP_3)
	v_cmp_ge_u32_e32 vcc_lo, v34, v16
	v_ashrrev_i32_e32 v35, 31, v35
	s_delay_alu instid0(VALU_DEP_3) | instskip(NEXT) | instid1(VALU_DEP_1)
	v_cndmask_b32_e32 v16, v17, v36, vcc_lo
	v_xor_b32_e32 v16, v16, v35
	s_delay_alu instid0(VALU_DEP_1) | instskip(NEXT) | instid1(VALU_DEP_1)
	v_sub_nc_u32_e32 v35, v16, v35
	v_sub_nc_u32_e32 v16, 0, v35
	s_delay_alu instid0(VALU_DEP_1) | instskip(NEXT) | instid1(VALU_DEP_1)
	v_max_i32_e32 v34, v35, v16
	v_cvt_f32_u32_e32 v16, v34
	v_sub_nc_u32_e32 v17, 0, v34
	s_delay_alu instid0(VALU_DEP_2) | instskip(SKIP_2) | instid1(VALU_DEP_1)
	v_rcp_iflag_f32_e32 v16, v16
	s_waitcnt_depctr 0xfff
	v_mul_f32_e32 v16, 0x4f7ffffe, v16
	v_cvt_u32_f32_e32 v16, v16
	s_delay_alu instid0(VALU_DEP_1) | instskip(NEXT) | instid1(VALU_DEP_1)
	v_mul_lo_u32 v17, v17, v16
	v_mul_hi_u32 v17, v16, v17
	s_delay_alu instid0(VALU_DEP_1) | instskip(NEXT) | instid1(VALU_DEP_1)
	v_add_nc_u32_e32 v36, v16, v17
	v_mad_u64_u32 v[16:17], null, s0, v36, 0
	v_cmpx_ne_u64_e32 0, v[19:20]
	s_cbranch_execz .LBB342_3
; %bb.2:
	s_ashr_i32 s13, s12, 31
	s_delay_alu instid0(SALU_CYCLE_1) | instskip(NEXT) | instid1(SALU_CYCLE_1)
	s_lshl_b64 s[4:5], s[12:13], 2
	v_add_co_u32 v19, vcc_lo, v19, s4
	v_add_co_ci_u32_e32 v20, vcc_lo, s5, v20, vcc_lo
	flat_load_b32 v65, v[19:20]
.LBB342_3:
	s_or_b32 exec_lo, exec_lo, s1
	v_and_b32_e32 v37, 0x3ff, v31
	v_ashrrev_i32_e32 v16, 31, v35
	s_ashr_i32 s1, s12, 31
	s_lshl_b32 s4, s12, 6
	s_mov_b32 s2, exec_lo
	v_cmpx_gt_u32_e32 8, v37
	s_cbranch_execz .LBB342_5
; %bb.4:
	v_mul_lo_u32 v19, s10, v21
	s_ashr_i32 s5, s4, 31
	v_lshlrev_b32_e32 v21, 4, v37
	s_lshl_b64 s[16:17], s[4:5], 1
	s_delay_alu instid0(VALU_DEP_2) | instskip(NEXT) | instid1(VALU_DEP_1)
	v_ashrrev_i32_e32 v20, 31, v19
	v_lshlrev_b64 v[19:20], 1, v[19:20]
	s_delay_alu instid0(VALU_DEP_1) | instskip(NEXT) | instid1(VALU_DEP_2)
	v_add_co_u32 v6, vcc_lo, v6, v19
	v_add_co_ci_u32_e32 v7, vcc_lo, v7, v20, vcc_lo
	s_delay_alu instid0(VALU_DEP_2) | instskip(NEXT) | instid1(VALU_DEP_2)
	v_add_co_u32 v6, vcc_lo, v6, s16
	v_add_co_ci_u32_e32 v7, vcc_lo, s17, v7, vcc_lo
	s_delay_alu instid0(VALU_DEP_2) | instskip(NEXT) | instid1(VALU_DEP_2)
	v_add_co_u32 v6, vcc_lo, v6, v21
	v_add_co_ci_u32_e32 v7, vcc_lo, 0, v7, vcc_lo
	flat_load_b128 v[48:51], v[6:7]
	s_waitcnt vmcnt(0) lgkmcnt(0)
	ds_store_b128 v21, v[48:51]
.LBB342_5:
	s_or_b32 exec_lo, exec_lo, s2
	s_waitcnt vmcnt(0)
	v_sub_nc_u32_e32 v6, 0, v33
	v_mul_lo_u32 v7, v17, v34
	v_add_nc_u32_e32 v20, 1, v17
	v_xor_b32_e32 v35, s1, v16
	s_waitcnt lgkmcnt(0)
	s_waitcnt_vscnt null, 0x0
	v_max_i32_e32 v39, v33, v6
	s_barrier
	buffer_gl0_inv
	v_sub_nc_u32_e32 v19, s0, v7
	v_cvt_f32_u32_e32 v6, v39
	v_sub_nc_u32_e32 v7, 0, v39
	s_mov_b32 s0, exec_lo
	s_delay_alu instid0(VALU_DEP_3) | instskip(NEXT) | instid1(VALU_DEP_3)
	v_cmp_ge_u32_e32 vcc_lo, v19, v34
	v_rcp_iflag_f32_e32 v6, v6
	v_sub_nc_u32_e32 v21, v19, v34
	v_cndmask_b32_e32 v17, v17, v20, vcc_lo
	s_delay_alu instid0(VALU_DEP_2) | instskip(NEXT) | instid1(VALU_DEP_2)
	v_cndmask_b32_e32 v19, v19, v21, vcc_lo
	v_add_nc_u32_e32 v20, 1, v17
	s_waitcnt_depctr 0xfff
	v_mul_f32_e32 v6, 0x4f7ffffe, v6
	v_cmp_ge_u32_e32 vcc_lo, v19, v34
	s_delay_alu instid0(VALU_DEP_2) | instskip(SKIP_1) | instid1(VALU_DEP_2)
	v_cvt_u32_f32_e32 v6, v6
	v_cndmask_b32_e32 v16, v17, v20, vcc_lo
	v_mul_lo_u32 v31, v7, v6
	v_add_nc_u32_e32 v7, -1, v38
	s_delay_alu instid0(VALU_DEP_2) | instskip(NEXT) | instid1(VALU_DEP_2)
	v_mul_hi_u32 v21, v6, v31
	v_sub_nc_u32_e32 v31, 0, v7
	s_delay_alu instid0(VALU_DEP_1) | instskip(NEXT) | instid1(VALU_DEP_3)
	v_max_i32_e32 v19, v7, v31
	v_add_nc_u32_e32 v48, v6, v21
	v_xor_b32_e32 v6, v16, v35
	s_delay_alu instid0(VALU_DEP_2) | instskip(NEXT) | instid1(VALU_DEP_2)
	v_mad_u64_u32 v[16:17], null, v19, v48, 0
	v_sub_nc_u32_e32 v16, v6, v35
                                        ; implicit-def: $vgpr6
	v_cmpx_gt_i32_e32 0, v32
	s_xor_b32 s0, exec_lo, s0
; %bb.6:
	s_delay_alu instid0(VALU_DEP_2) | instskip(NEXT) | instid1(VALU_DEP_1)
	v_mad_u64_u32 v[20:21], null, v28, v12, v[16:17]
                                        ; implicit-def: $vgpr28
	v_mul_lo_u32 v6, v20, v32
                                        ; implicit-def: $vgpr32
	s_delay_alu instid0(VALU_DEP_1)
	v_sub_nc_u32_e32 v6, 1, v6
; %bb.7:
	s_or_saveexec_b32 s0, s0
	v_ashrrev_i32_e32 v12, 31, v7
	v_ashrrev_i32_e32 v51, 31, v33
	s_xor_b32 exec_lo, exec_lo, s0
; %bb.8:
	v_mad_u64_u32 v[20:21], null, s15, v28, s[12:13]
	s_delay_alu instid0(VALU_DEP_1)
	v_mad_u64_u32 v[6:7], null, v20, v32, 1
; %bb.9:
	s_or_b32 exec_lo, exec_lo, s0
	v_mul_lo_u32 v7, v17, v39
	v_xor_b32_e32 v21, v12, v51
	s_clause 0x1
	s_load_b32 s18, s[8:9], 0x14
	s_load_b32 s5, s[8:9], 0x8
	s_lshl_b32 s13, s14, 4
	v_lshrrev_b32_e32 v49, 5, v37
	v_mul_lo_u32 v18, s10, v18
	s_add_i32 s0, s13, 16
	v_sub_nc_u32_e32 v55, 0, v30
	v_sub_nc_u32_e32 v7, v19, v7
	v_add_nc_u32_e32 v19, 1, v17
	v_and_b32_e32 v50, 31, v37
	s_delay_alu instid0(VALU_DEP_3) | instskip(SKIP_2) | instid1(VALU_DEP_4)
	v_sub_nc_u32_e32 v28, v7, v39
	v_cmp_ge_u32_e32 vcc_lo, v7, v39
	v_add_nc_u32_e32 v20, 31, v38
	v_dual_cndmask_b32 v17, v17, v19 :: v_dual_lshlrev_b32 v66, 2, v50
	s_delay_alu instid0(VALU_DEP_2) | instskip(SKIP_1) | instid1(VALU_DEP_3)
	v_ashrrev_i32_e32 v12, 31, v20
	v_cndmask_b32_e32 v7, v7, v28, vcc_lo
	v_add_nc_u32_e32 v19, 1, v17
	s_delay_alu instid0(VALU_DEP_3) | instskip(NEXT) | instid1(VALU_DEP_3)
	v_lshrrev_b32_e32 v12, 27, v12
	v_cmp_ge_u32_e32 vcc_lo, v7, v39
	s_delay_alu instid0(VALU_DEP_2) | instskip(NEXT) | instid1(VALU_DEP_4)
	v_dual_mov_b32 v67, 0xff7fffff :: v_dual_add_nc_u32 v20, v20, v12
	v_cndmask_b32_e32 v7, v17, v19, vcc_lo
	v_mul_lo_u32 v12, v16, v23
	v_add_nc_u32_e32 v16, s13, v49
	v_ashrrev_i32_e32 v19, 31, v18
	v_ashrrev_i32_e32 v54, 5, v20
	v_xor_b32_e32 v7, v7, v21
	v_lshl_add_u32 v23, v49, 5, s3
	v_ashrrev_i32_e32 v17, 31, v16
	v_lshlrev_b64 v[18:19], 2, v[18:19]
	v_min_i32_e32 v52, s0, v54
	v_sub_nc_u32_e32 v7, v7, v21
	v_ashrrev_i32_e32 v64, 31, v12
	s_delay_alu instid0(VALU_DEP_3) | instskip(NEXT) | instid1(VALU_DEP_3)
	v_cmp_lt_i32_e64 s0, v16, v52
	v_sub_nc_u32_e32 v53, v7, v29
	s_delay_alu instid0(VALU_DEP_2)
	s_and_saveexec_b32 s19, s0
	s_cbranch_execz .LBB342_529
; %bb.10:
	v_max_i32_e32 v68, v30, v55
	s_ashr_i32 s7, s6, 31
	s_getpc_b64 s[16:17]
	s_add_u32 s16, s16, llvm.amdgcn.dynlds.offset.table@rel32@lo+4
	s_addc_u32 s17, s17, llvm.amdgcn.dynlds.offset.table@rel32@hi+12
	s_lshl_b64 s[20:21], s[6:7], 2
	v_add_co_u32 v20, vcc_lo, v8, v12
	v_cvt_f32_u32_e32 v7, v68
	v_sub_nc_u32_e32 v33, 0, v68
	s_add_u32 s16, s20, s16
	s_addc_u32 s17, s21, s17
	v_dual_mov_b32 v8, 0 :: v_dual_lshlrev_b32 v31, 4, v50
	v_rcp_iflag_f32_e32 v7, v7
	s_load_b32 s7, s[16:17], 0x0
	v_add_co_ci_u32_e32 v21, vcc_lo, v9, v64, vcc_lo
	v_lshlrev_b64 v[28:29], 2, v[16:17]
	v_add_co_u32 v20, s1, v20, v31
	s_delay_alu instid0(VALU_DEP_1) | instskip(SKIP_4) | instid1(VALU_DEP_1)
	v_add_co_ci_u32_e64 v21, s1, 0, v21, s1
	v_sub_nc_u32_e32 v32, v50, v38
	s_waitcnt_depctr 0xfff
	v_mul_f32_e32 v7, 0x4f7ffffe, v7
	v_add_co_u32 v28, s1, v18, v28
	v_add_co_ci_u32_e64 v29, s1, v19, v29, s1
	s_delay_alu instid0(VALU_DEP_3) | instskip(NEXT) | instid1(VALU_DEP_3)
	v_cvt_u32_f32_e32 v7, v7
	v_add_co_u32 v28, s1, v14, v28
	v_cmp_neq_f32_e32 vcc_lo, 0, v65
	v_lshl_add_u32 v9, v49, 5, s3
	s_delay_alu instid0(VALU_DEP_4)
	v_mul_lo_u32 v33, v33, v7
	v_lshl_or_b32 v69, v49, 7, v66
	v_dual_mov_b32 v70, 0xff7fffff :: v_dual_mov_b32 v67, 0xff7fffff
	v_add_nc_u32_e32 v71, 1, v32
	v_add_co_ci_u32_e64 v29, s1, v15, v29, s1
	s_mov_b32 s8, -1
	v_mul_hi_u32 v31, v7, v33
	s_mov_b32 s9, 0xffffff
	s_mov_b32 s20, 0
	s_delay_alu instid0(VALU_DEP_1)
	v_dual_mov_b32 v81, v16 :: v_dual_add_nc_u32 v80, v7, v31
	s_branch .LBB342_16
.LBB342_11:                             ;   in Loop: Header=BB342_16 Depth=1
	s_or_b32 exec_lo, exec_lo, s24
	v_lshlrev_b32_e32 v31, 8, v31
	v_lshl_add_u32 v32, v32, 10, 0x2000
	s_delay_alu instid0(VALU_DEP_1) | instskip(NEXT) | instid1(VALU_DEP_1)
	v_and_or_b32 v31, 0x8000, v31, v32
	v_lshl_or_b32 v7, v7, 7, v31
	s_delay_alu instid0(VALU_DEP_1)
	v_cvt_f32_f16_e32 v60, v7
.LBB342_12:                             ;   in Loop: Header=BB342_16 Depth=1
	s_or_b32 exec_lo, exec_lo, s23
.LBB342_13:                             ;   in Loop: Header=BB342_16 Depth=1
	s_delay_alu instid0(SALU_CYCLE_1)
	s_or_b32 exec_lo, exec_lo, s22
.LBB342_14:                             ;   in Loop: Header=BB342_16 Depth=1
	s_delay_alu instid0(SALU_CYCLE_1)
	s_or_b32 exec_lo, exec_lo, s21
	v_fma_mixlo_f16 v41, v82, v181, 0
	v_fma_mixlo_f16 v181, v82, v183, 0
	;; [unrolled: 1-line block ×14, first 2 shown]
	ds_load_b128 v[96:99], v8
	v_fma_mixlo_f16 v45, v82, v164, 0
	v_fma_mixlo_f16 v164, v82, v178, 0
	;; [unrolled: 1-line block ×50, first 2 shown]
	s_waitcnt lgkmcnt(0)
	v_lshrrev_b32_e32 v82, 16, v96
	s_load_b32 s21, s[16:17], 0x0
	v_and_b32_e32 v96, 0xffff, v96
	;;#ASMSTART
	v_cvt_f32_f16 v47, v96;
	;;#ASMEND
	;;#ASMSTART
	v_cvt_f32_f16 v56, v82;
	;;#ASMEND
	v_and_b32_e32 v82, 0xffff, v146
	;;#ASMSTART
	v_cvt_f32_f16 v146, v82;
	;;#ASMEND
	v_and_b32_e32 v82, 0xffff, v130
	;;#ASMSTART
	v_cvt_f32_f16 v130, v82;
	;;#ASMEND
	v_lshrrev_b32_e32 v82, 16, v97
	v_and_b32_e32 v96, 0xffff, v97
	;;#ASMSTART
	v_cvt_f32_f16 v57, v96;
	;;#ASMEND
	;;#ASMSTART
	v_cvt_f32_f16 v58, v82;
	;;#ASMEND
	v_and_b32_e32 v82, 0xffff, v129
	;;#ASMSTART
	v_cvt_f32_f16 v129, v82;
	;;#ASMEND
	v_and_b32_e32 v82, 0xffff, v86
	;;#ASMSTART
	v_cvt_f32_f16 v59, v82;
	;;#ASMEND
	v_lshrrev_b32_e32 v82, 16, v98
	;; [unrolled: 16-line block ×3, first 2 shown]
	v_and_b32_e32 v86, 0xffff, v99
	;;#ASMSTART
	v_cvt_f32_f16 v74, v86;
	;;#ASMEND
	;;#ASMSTART
	v_cvt_f32_f16 v75, v82;
	;;#ASMEND
	v_and_b32_e32 v82, 0xffff, v63
	;;#ASMSTART
	v_cvt_f32_f16 v63, v82;
	;;#ASMEND
	v_and_b32_e32 v82, 0xffff, v72
	;;#ASMSTART
	v_cvt_f32_f16 v72, v82;
	;;#ASMEND
	ds_load_b128 v[96:99], v8 offset:16
	v_and_b32_e32 v84, 0xffff, v84
	v_and_b32_e32 v36, 0xffff, v36
	v_and_b32_e32 v34, 0xffff, v34
	v_and_b32_e32 v32, 0xffff, v32
	v_and_b32_e32 v85, 0xffff, v85
	v_and_b32_e32 v83, 0xffff, v83
	v_and_b32_e32 v33, 0xffff, v33
	v_and_b32_e32 v35, 0xffff, v35
	s_waitcnt lgkmcnt(0)
	v_lshrrev_b32_e32 v82, 16, v96
	v_and_b32_e32 v86, 0xffff, v96
	;;#ASMSTART
	v_cvt_f32_f16 v86, v86;
	;;#ASMEND
	;;#ASMSTART
	v_cvt_f32_f16 v87, v82;
	;;#ASMEND
	v_and_b32_e32 v82, 0xffff, v128
	;;#ASMSTART
	v_cvt_f32_f16 v82, v82;
	;;#ASMEND
	s_delay_alu instid0(VALU_DEP_1) | instskip(SKIP_2) | instid1(VALU_DEP_1)
	v_dual_mul_f32 v82, v86, v82 :: v_dual_add_nc_u32 v7, v71, v9
	v_and_b32_e32 v96, 0xffff, v100
	;;#ASMSTART
	v_cvt_f32_f16 v96, v96;
	;;#ASMEND
	v_mul_f32_e32 v86, v87, v96
	s_delay_alu instid0(VALU_DEP_3)
	v_cvt_f32_i32_e32 v7, v7
	v_lshrrev_b32_e32 v87, 16, v97
	v_and_b32_e32 v96, 0xffff, v97
	v_and_b32_e32 v97, 0xffff, v101
	;;#ASMSTART
	v_cvt_f32_f16 v96, v96;
	;;#ASMEND
	v_mul_f32_e32 v7, v65, v7
	;;#ASMSTART
	v_cvt_f32_f16 v87, v87;
	;;#ASMEND
	;;#ASMSTART
	v_cvt_f32_f16 v97, v97;
	;;#ASMEND
	v_and_b32_e32 v100, 0xffff, v102
	;;#ASMSTART
	v_cvt_f32_f16 v100, v100;
	;;#ASMEND
	v_dual_cndmask_b32 v7, 0, v7 :: v_dual_mul_f32 v96, v96, v97
	v_and_b32_e32 v101, 0xffff, v112
	v_lshrrev_b32_e32 v97, 16, v98
	v_dual_mul_f32 v87, v87, v100 :: v_dual_and_b32 v98, 0xffff, v98
	;;#ASMSTART
	v_cvt_f32_f16 v98, v98;
	;;#ASMEND
	v_and_b32_e32 v100, 0xffff, v103
	;;#ASMSTART
	v_cvt_f32_f16 v97, v97;
	;;#ASMEND
	;;#ASMSTART
	v_cvt_f32_f16 v100, v100;
	;;#ASMEND
	s_delay_alu instid0(VALU_DEP_1) | instskip(SKIP_3) | instid1(VALU_DEP_3)
	v_mul_f32_e32 v98, v98, v100
	v_dual_fmac_f32 v82, v47, v146 :: v_dual_add_nc_u32 v31, v50, v9
	;;#ASMSTART
	v_cvt_f32_f16 v101, v101;
	;;#ASMEND
	v_fmac_f32_e32 v96, v57, v129
	v_fmac_f32_e32 v98, v60, v73
	v_mul_f32_e32 v97, v97, v101
	v_and_b32_e32 v101, 0xffff, v114
	v_lshrrev_b32_e32 v100, 16, v99
	v_and_b32_e32 v99, 0xffff, v99
	v_and_b32_e32 v102, 0xffff, v113
	v_cmp_lt_i32_e64 s1, v31, v38
	v_dual_fmac_f32 v86, v56, v130 :: v_dual_add_nc_u32 v31, s21, v69
	v_fmac_f32_e32 v87, v58, v59
	;;#ASMSTART
	v_cvt_f32_f16 v99, v99;
	;;#ASMEND
	;;#ASMSTART
	v_cvt_f32_f16 v100, v100;
	;;#ASMEND
	;; [unrolled: 3-line block ×4, first 2 shown]
	ds_load_b128 v[56:59], v8 offset:32
	v_dual_mul_f32 v100, v100, v102 :: v_dual_and_b32 v103, 0xffff, v145
	v_dual_mul_f32 v99, v99, v101 :: v_dual_and_b32 v112, 0xffff, v144
	s_delay_alu instid0(VALU_DEP_2) | instskip(NEXT) | instid1(VALU_DEP_2)
	v_dual_fmac_f32 v97, v61, v62 :: v_dual_fmac_f32 v100, v75, v72
	v_fmac_f32_e32 v99, v74, v63
	s_waitcnt lgkmcnt(0)
	v_lshrrev_b32_e32 v101, 16, v56
	v_and_b32_e32 v102, 0xffff, v56
	;;#ASMSTART
	v_cvt_f32_f16 v102, v102;
	;;#ASMEND
	;;#ASMSTART
	v_cvt_f32_f16 v101, v101;
	;;#ASMEND
	;; [unrolled: 3-line block ×4, first 2 shown]
	v_fmac_f32_e32 v82, v102, v103
	v_fmac_f32_e32 v86, v101, v112
	v_lshrrev_b32_e32 v101, 16, v57
	v_and_b32_e32 v102, 0xffff, v57
	v_and_b32_e32 v103, 0xffff, v135
	v_and_b32_e32 v112, 0xffff, v118
	;;#ASMSTART
	v_cvt_f32_f16 v102, v102;
	;;#ASMEND
	;;#ASMSTART
	v_cvt_f32_f16 v101, v101;
	;;#ASMEND
	;;#ASMSTART
	v_cvt_f32_f16 v103, v103;
	;;#ASMEND
	;;#ASMSTART
	v_cvt_f32_f16 v112, v112;
	;;#ASMEND
	v_dual_fmac_f32 v96, v102, v103 :: v_dual_fmac_f32 v87, v101, v112
	v_lshrrev_b32_e32 v101, 16, v58
	v_and_b32_e32 v102, 0xffff, v58
	v_and_b32_e32 v103, 0xffff, v119
	;; [unrolled: 1-line block ×3, first 2 shown]
	;;#ASMSTART
	v_cvt_f32_f16 v102, v102;
	;;#ASMEND
	;;#ASMSTART
	v_cvt_f32_f16 v101, v101;
	;;#ASMEND
	;; [unrolled: 3-line block ×4, first 2 shown]
	v_dual_fmac_f32 v98, v102, v103 :: v_dual_fmac_f32 v97, v101, v112
	v_lshrrev_b32_e32 v101, 16, v59
	v_and_b32_e32 v102, 0xffff, v59
	v_and_b32_e32 v103, 0xffff, v116
	;; [unrolled: 1-line block ×3, first 2 shown]
	;;#ASMSTART
	v_cvt_f32_f16 v102, v102;
	;;#ASMEND
	;;#ASMSTART
	v_cvt_f32_f16 v101, v101;
	;;#ASMEND
	;;#ASMSTART
	v_cvt_f32_f16 v103, v103;
	;;#ASMEND
	;;#ASMSTART
	v_cvt_f32_f16 v112, v112;
	;;#ASMEND
	v_fmac_f32_e32 v100, v101, v112
	ds_load_b128 v[112:115], v8 offset:48
	v_fmac_f32_e32 v99, v102, v103
	v_and_b32_e32 v103, 0xffff, v162
	s_waitcnt lgkmcnt(0)
	v_lshrrev_b32_e32 v101, 16, v112
	v_and_b32_e32 v102, 0xffff, v112
	v_and_b32_e32 v112, 0xffff, v161
	;;#ASMSTART
	v_cvt_f32_f16 v102, v102;
	;;#ASMEND
	;;#ASMSTART
	v_cvt_f32_f16 v101, v101;
	;;#ASMEND
	;; [unrolled: 3-line block ×4, first 2 shown]
	v_fmac_f32_e32 v82, v102, v103
	v_fmac_f32_e32 v86, v101, v112
	v_lshrrev_b32_e32 v101, 16, v113
	v_and_b32_e32 v102, 0xffff, v113
	v_and_b32_e32 v103, 0xffff, v160
	;; [unrolled: 1-line block ×3, first 2 shown]
	;;#ASMSTART
	v_cvt_f32_f16 v102, v102;
	;;#ASMEND
	;;#ASMSTART
	v_cvt_f32_f16 v101, v101;
	;;#ASMEND
	;; [unrolled: 3-line block ×4, first 2 shown]
	v_dual_fmac_f32 v96, v102, v103 :: v_dual_fmac_f32 v87, v101, v112
	v_lshrrev_b32_e32 v101, 16, v114
	v_and_b32_e32 v102, 0xffff, v114
	v_and_b32_e32 v103, 0xffff, v134
	v_and_b32_e32 v112, 0xffff, v133
	;;#ASMSTART
	v_cvt_f32_f16 v102, v102;
	;;#ASMEND
	;;#ASMSTART
	v_cvt_f32_f16 v101, v101;
	;;#ASMEND
	;; [unrolled: 3-line block ×4, first 2 shown]
	v_dual_fmac_f32 v98, v102, v103 :: v_dual_fmac_f32 v97, v101, v112
	v_lshrrev_b32_e32 v101, 16, v115
	v_and_b32_e32 v102, 0xffff, v115
	v_and_b32_e32 v103, 0xffff, v132
	;; [unrolled: 1-line block ×3, first 2 shown]
	;;#ASMSTART
	v_cvt_f32_f16 v102, v102;
	;;#ASMEND
	;;#ASMSTART
	v_cvt_f32_f16 v101, v101;
	;;#ASMEND
	;; [unrolled: 3-line block ×4, first 2 shown]
	v_fmac_f32_e32 v100, v101, v112
	ds_load_b128 v[112:115], v8 offset:64
	v_fmac_f32_e32 v99, v102, v103
	v_and_b32_e32 v103, 0xffff, v178
	s_waitcnt lgkmcnt(0)
	v_lshrrev_b32_e32 v101, 16, v112
	v_and_b32_e32 v102, 0xffff, v112
	v_and_b32_e32 v112, 0xffff, v177
	;;#ASMSTART
	v_cvt_f32_f16 v102, v102;
	;;#ASMEND
	;;#ASMSTART
	v_cvt_f32_f16 v101, v101;
	;;#ASMEND
	;; [unrolled: 3-line block ×4, first 2 shown]
	v_fmac_f32_e32 v82, v102, v103
	v_fmac_f32_e32 v86, v101, v112
	v_lshrrev_b32_e32 v101, 16, v113
	v_and_b32_e32 v102, 0xffff, v113
	v_and_b32_e32 v103, 0xffff, v176
	;; [unrolled: 1-line block ×3, first 2 shown]
	;;#ASMSTART
	v_cvt_f32_f16 v102, v102;
	;;#ASMEND
	;;#ASMSTART
	v_cvt_f32_f16 v101, v101;
	;;#ASMEND
	;; [unrolled: 3-line block ×4, first 2 shown]
	v_dual_fmac_f32 v96, v102, v103 :: v_dual_fmac_f32 v87, v101, v112
	v_lshrrev_b32_e32 v101, 16, v114
	v_and_b32_e32 v102, 0xffff, v114
	v_and_b32_e32 v103, 0xffff, v150
	;; [unrolled: 1-line block ×3, first 2 shown]
	;;#ASMSTART
	v_cvt_f32_f16 v102, v102;
	;;#ASMEND
	;;#ASMSTART
	v_cvt_f32_f16 v101, v101;
	;;#ASMEND
	;; [unrolled: 3-line block ×4, first 2 shown]
	v_dual_fmac_f32 v98, v102, v103 :: v_dual_fmac_f32 v97, v101, v112
	v_lshrrev_b32_e32 v101, 16, v115
	v_and_b32_e32 v102, 0xffff, v115
	v_and_b32_e32 v103, 0xffff, v148
	;; [unrolled: 1-line block ×3, first 2 shown]
	;;#ASMSTART
	v_cvt_f32_f16 v102, v102;
	;;#ASMEND
	;;#ASMSTART
	v_cvt_f32_f16 v101, v101;
	;;#ASMEND
	;; [unrolled: 3-line block ×4, first 2 shown]
	v_fmac_f32_e32 v99, v102, v103
	v_dual_fmac_f32 v100, v101, v112 :: v_dual_and_b32 v103, 0xffff, v46
	ds_load_b128 v[112:115], v8 offset:80
	s_waitcnt lgkmcnt(0)
	v_lshrrev_b32_e32 v101, 16, v112
	v_and_b32_e32 v102, 0xffff, v112
	v_and_b32_e32 v112, 0xffff, v45
	;;#ASMSTART
	v_cvt_f32_f16 v102, v102;
	;;#ASMEND
	;;#ASMSTART
	v_cvt_f32_f16 v101, v101;
	;;#ASMEND
	;; [unrolled: 3-line block ×4, first 2 shown]
	v_fmac_f32_e32 v82, v102, v103
	v_fmac_f32_e32 v86, v101, v112
	v_lshrrev_b32_e32 v101, 16, v113
	v_and_b32_e32 v102, 0xffff, v113
	v_and_b32_e32 v103, 0xffff, v44
	;; [unrolled: 1-line block ×3, first 2 shown]
	;;#ASMSTART
	v_cvt_f32_f16 v102, v102;
	;;#ASMEND
	;;#ASMSTART
	v_cvt_f32_f16 v101, v101;
	;;#ASMEND
	;; [unrolled: 3-line block ×4, first 2 shown]
	v_dual_fmac_f32 v96, v102, v103 :: v_dual_fmac_f32 v87, v101, v112
	v_lshrrev_b32_e32 v101, 16, v114
	v_and_b32_e32 v102, 0xffff, v114
	v_and_b32_e32 v103, 0xffff, v166
	;; [unrolled: 1-line block ×3, first 2 shown]
	;;#ASMSTART
	v_cvt_f32_f16 v102, v102;
	;;#ASMEND
	;;#ASMSTART
	v_cvt_f32_f16 v101, v101;
	;;#ASMEND
	;; [unrolled: 3-line block ×4, first 2 shown]
	v_dual_fmac_f32 v98, v102, v103 :: v_dual_fmac_f32 v97, v101, v112
	v_lshrrev_b32_e32 v101, 16, v115
	v_and_b32_e32 v102, 0xffff, v115
	v_and_b32_e32 v103, 0xffff, v164
	;; [unrolled: 1-line block ×3, first 2 shown]
	;;#ASMSTART
	v_cvt_f32_f16 v102, v102;
	;;#ASMEND
	;;#ASMSTART
	v_cvt_f32_f16 v101, v101;
	;;#ASMEND
	;; [unrolled: 3-line block ×4, first 2 shown]
	v_fmac_f32_e32 v99, v102, v103
	v_dual_fmac_f32 v100, v101, v112 :: v_dual_and_b32 v103, 0xffff, v43
	ds_load_b128 v[112:115], v8 offset:96
	s_waitcnt lgkmcnt(0)
	v_lshrrev_b32_e32 v101, 16, v112
	v_and_b32_e32 v102, 0xffff, v112
	v_and_b32_e32 v112, 0xffff, v42
	;;#ASMSTART
	v_cvt_f32_f16 v102, v102;
	;;#ASMEND
	;;#ASMSTART
	v_cvt_f32_f16 v101, v101;
	;;#ASMEND
	;; [unrolled: 3-line block ×4, first 2 shown]
	v_fmac_f32_e32 v82, v102, v103
	v_fmac_f32_e32 v86, v101, v112
	v_lshrrev_b32_e32 v101, 16, v113
	v_and_b32_e32 v102, 0xffff, v113
	v_and_b32_e32 v103, 0xffff, v41
	v_and_b32_e32 v112, 0xffff, v40
	;;#ASMSTART
	v_cvt_f32_f16 v102, v102;
	;;#ASMEND
	;;#ASMSTART
	v_cvt_f32_f16 v101, v101;
	;;#ASMEND
	;; [unrolled: 3-line block ×4, first 2 shown]
	v_dual_fmac_f32 v96, v102, v103 :: v_dual_fmac_f32 v87, v101, v112
	v_lshrrev_b32_e32 v101, 16, v114
	v_and_b32_e32 v102, 0xffff, v114
	v_and_b32_e32 v103, 0xffff, v182
	;; [unrolled: 1-line block ×3, first 2 shown]
	;;#ASMSTART
	v_cvt_f32_f16 v102, v102;
	;;#ASMEND
	;;#ASMSTART
	v_cvt_f32_f16 v101, v101;
	;;#ASMEND
	;; [unrolled: 3-line block ×4, first 2 shown]
	v_dual_fmac_f32 v98, v102, v103 :: v_dual_fmac_f32 v97, v101, v112
	v_lshrrev_b32_e32 v101, 16, v115
	v_and_b32_e32 v102, 0xffff, v115
	v_and_b32_e32 v103, 0xffff, v180
	;; [unrolled: 1-line block ×3, first 2 shown]
	;;#ASMSTART
	v_cvt_f32_f16 v102, v102;
	;;#ASMEND
	;;#ASMSTART
	v_cvt_f32_f16 v101, v101;
	;;#ASMEND
	;;#ASMSTART
	v_cvt_f32_f16 v103, v103;
	;;#ASMEND
	;;#ASMSTART
	v_cvt_f32_f16 v112, v112;
	;;#ASMEND
	v_fmac_f32_e32 v100, v101, v112
	ds_load_b128 v[112:115], v8 offset:112
	v_fmac_f32_e32 v99, v102, v103
	s_waitcnt lgkmcnt(0)
	v_lshrrev_b32_e32 v101, 16, v112
	v_and_b32_e32 v102, 0xffff, v112
	;;#ASMSTART
	v_cvt_f32_f16 v102, v102;
	;;#ASMEND
	;;#ASMSTART
	v_cvt_f32_f16 v101, v101;
	;;#ASMEND
	;; [unrolled: 3-line block ×4, first 2 shown]
	v_fmac_f32_e32 v82, v102, v85
	v_fmac_f32_e32 v86, v101, v84
	v_lshrrev_b32_e32 v84, 16, v113
	v_and_b32_e32 v85, 0xffff, v113
	;;#ASMSTART
	v_cvt_f32_f16 v85, v85;
	;;#ASMEND
	;;#ASMSTART
	v_cvt_f32_f16 v84, v84;
	;;#ASMEND
	;; [unrolled: 3-line block ×4, first 2 shown]
	v_dual_fmac_f32 v96, v85, v83 :: v_dual_fmac_f32 v87, v84, v36
	v_lshrrev_b32_e32 v36, 16, v114
	v_and_b32_e32 v83, 0xffff, v114
	;;#ASMSTART
	v_cvt_f32_f16 v83, v83;
	;;#ASMEND
	;;#ASMSTART
	v_cvt_f32_f16 v36, v36;
	;;#ASMEND
	;; [unrolled: 3-line block ×4, first 2 shown]
	v_fmac_f32_e32 v98, v83, v35
	v_and_b32_e32 v35, 0xffff, v115
	v_fmac_f32_e32 v97, v36, v34
	v_lshrrev_b32_e32 v34, 16, v115
	;;#ASMSTART
	v_cvt_f32_f16 v35, v35;
	;;#ASMEND
	;;#ASMSTART
	v_cvt_f32_f16 v34, v34;
	;;#ASMEND
	;; [unrolled: 3-line block ×4, first 2 shown]
	v_fmac_f32_e32 v100, v34, v32
	v_dual_add_f32 v32, v82, v86 :: v_dual_fmac_f32 v99, v35, v33
	s_delay_alu instid0(VALU_DEP_1) | instskip(NEXT) | instid1(VALU_DEP_1)
	v_add_f32_e32 v32, v32, v96
	v_add_f32_e32 v32, v87, v32
	s_delay_alu instid0(VALU_DEP_1) | instskip(NEXT) | instid1(VALU_DEP_1)
	v_add_f32_e32 v32, v32, v98
	v_add_f32_e32 v32, v97, v32
	;; [unrolled: 3-line block ×3, first 2 shown]
	s_delay_alu instid0(VALU_DEP_1) | instskip(NEXT) | instid1(VALU_DEP_1)
	v_fmac_f32_e32 v7, v32, v13
	v_cndmask_b32_e64 v32, 0, v7, s1
	ds_store_b32 v31, v32
	v_max_f32_e32 v31, v67, v67
	s_delay_alu instid0(VALU_DEP_1) | instskip(NEXT) | instid1(VALU_DEP_1)
	v_max_f32_e32 v7, v31, v7
	v_cndmask_b32_e64 v67, v67, v7, s1
.LBB342_15:                             ;   in Loop: Header=BB342_16 Depth=1
	s_or_b32 exec_lo, exec_lo, s2
	v_add_nc_u32_e32 v81, 4, v81
	v_add_co_u32 v28, s2, v28, 16
	s_delay_alu instid0(VALU_DEP_1) | instskip(NEXT) | instid1(VALU_DEP_3)
	v_add_co_ci_u32_e64 v29, s2, 0, v29, s2
	v_cmp_ge_i32_e64 s1, v81, v52
	v_add_nc_u32_e32 v9, 0x80, v9
	v_add_nc_u32_e32 v69, 0x200, v69
	s_delay_alu instid0(VALU_DEP_3) | instskip(NEXT) | instid1(SALU_CYCLE_1)
	s_or_b32 s20, s1, s20
	s_and_not1_b32 exec_lo, exec_lo, s20
	s_cbranch_execz .LBB342_528
.LBB342_16:                             ; =>This Inner Loop Header: Depth=1
	v_sub_nc_u32_e32 v7, 0, v9
	s_delay_alu instid0(VALU_DEP_1) | instskip(NEXT) | instid1(VALU_DEP_1)
	v_max_i32_e32 v7, v9, v7
	v_mul_hi_u32 v31, v7, v48
	s_delay_alu instid0(VALU_DEP_1) | instskip(NEXT) | instid1(VALU_DEP_1)
	v_mul_lo_u32 v32, v31, v39
	v_sub_nc_u32_e32 v7, v7, v32
	v_add_nc_u32_e32 v32, 1, v31
	s_delay_alu instid0(VALU_DEP_2) | instskip(SKIP_1) | instid1(VALU_DEP_1)
	v_sub_nc_u32_e32 v33, v7, v39
	v_cmp_ge_u32_e64 s1, v7, v39
	v_cndmask_b32_e64 v31, v31, v32, s1
	s_delay_alu instid0(VALU_DEP_3) | instskip(SKIP_1) | instid1(VALU_DEP_3)
	v_cndmask_b32_e64 v7, v7, v33, s1
	v_ashrrev_i32_e32 v32, 31, v9
	v_add_nc_u32_e32 v33, 1, v31
	s_delay_alu instid0(VALU_DEP_3) | instskip(NEXT) | instid1(VALU_DEP_3)
	v_cmp_ge_u32_e64 s1, v7, v39
	v_xor_b32_e32 v32, v32, v51
	s_delay_alu instid0(VALU_DEP_2) | instskip(NEXT) | instid1(VALU_DEP_1)
	v_cndmask_b32_e64 v7, v31, v33, s1
	v_xor_b32_e32 v7, v7, v32
	s_delay_alu instid0(VALU_DEP_1) | instskip(NEXT) | instid1(VALU_DEP_1)
	v_sub_nc_u32_e32 v7, v7, v32
	v_add_nc_u32_e32 v31, v7, v6
	v_cmp_le_i32_e64 s2, v7, v53
	s_delay_alu instid0(VALU_DEP_2) | instskip(NEXT) | instid1(VALU_DEP_1)
	v_sub_nc_u32_e32 v32, 0, v31
	v_max_i32_e32 v32, v31, v32
	v_ashrrev_i32_e32 v31, 31, v31
	s_delay_alu instid0(VALU_DEP_2) | instskip(NEXT) | instid1(VALU_DEP_1)
	v_mul_hi_u32 v33, v32, v80
	v_mul_lo_u32 v33, v33, v68
	s_delay_alu instid0(VALU_DEP_1) | instskip(NEXT) | instid1(VALU_DEP_1)
	v_sub_nc_u32_e32 v32, v32, v33
	v_sub_nc_u32_e32 v33, v32, v68
	v_cmp_ge_u32_e64 s1, v32, v68
	s_delay_alu instid0(VALU_DEP_1) | instskip(NEXT) | instid1(VALU_DEP_1)
	v_cndmask_b32_e64 v32, v32, v33, s1
	v_sub_nc_u32_e32 v33, v32, v68
	v_cmp_ge_u32_e64 s1, v32, v68
	s_delay_alu instid0(VALU_DEP_1) | instskip(NEXT) | instid1(VALU_DEP_1)
	v_cndmask_b32_e64 v32, v32, v33, s1
	v_xor_b32_e32 v32, v32, v31
	s_delay_alu instid0(VALU_DEP_1) | instskip(NEXT) | instid1(VALU_DEP_1)
	v_sub_nc_u32_e32 v31, v32, v31
	v_cmp_ne_u32_e64 s1, 0, v31
	s_delay_alu instid0(VALU_DEP_1) | instskip(NEXT) | instid1(SALU_CYCLE_1)
	s_and_b32 s1, s1, s2
	s_and_saveexec_b32 s2, s1
	s_delay_alu instid0(SALU_CYCLE_1)
	s_xor_b32 s1, exec_lo, s2
	s_cbranch_execz .LBB342_18
; %bb.17:                               ;   in Loop: Header=BB342_16 Depth=1
	s_waitcnt lgkmcnt(0)
	v_add_nc_u32_e32 v7, s7, v69
	ds_store_b32 v7, v70
.LBB342_18:                             ;   in Loop: Header=BB342_16 Depth=1
	s_and_not1_saveexec_b32 s2, s1
	s_cbranch_execz .LBB342_15
; %bb.19:                               ;   in Loop: Header=BB342_16 Depth=1
	flat_load_b32 v7, v[28:29]
	v_mov_b32_e32 v83, 0
	s_mov_b32 s21, exec_lo
	v_mov_b32_e32 v84, 0
	s_waitcnt vmcnt(0) lgkmcnt(0)
	v_mad_i64_i32 v[31:32], null, v7, v22, v[20:21]
	flat_load_b64 v[33:34], v[31:32]
	flat_load_b32 v82, v[24:25]
	s_waitcnt vmcnt(1) lgkmcnt(1)
	v_and_b32_e32 v7, 0xff, v33
	s_delay_alu instid0(VALU_DEP_1)
	v_cmpx_ne_u16_e32 0, v7
	s_cbranch_execz .LBB342_27
; %bb.20:                               ;   in Loop: Header=BB342_16 Depth=1
	v_bfrev_b32_e32 v83, 1
	s_mov_b32 s22, exec_lo
	v_cmpx_ne_u16_e32 0x80, v7
	s_cbranch_execz .LBB342_26
; %bb.21:                               ;   in Loop: Header=BB342_16 Depth=1
	v_and_b32_e32 v35, 0x7f, v33
	v_mov_b32_e32 v83, 0x7fc02000
	s_mov_b32 s23, exec_lo
	s_delay_alu instid0(VALU_DEP_2)
	v_cmpx_ne_u32_e32 0x7f, v35
	s_cbranch_execz .LBB342_25
; %bb.22:                               ;   in Loop: Header=BB342_16 Depth=1
	v_lshrrev_b32_e32 v7, 3, v35
	v_cmp_gt_u32_e64 s1, 8, v35
	v_dual_mov_b32 v36, v34 :: v_dual_mov_b32 v35, v33
	s_delay_alu instid0(VALU_DEP_2)
	s_and_saveexec_b32 s24, s1
; %bb.23:                               ;   in Loop: Header=BB342_16 Depth=1
	v_and_b32_e32 v7, 7, v33
	s_delay_alu instid0(VALU_DEP_1) | instskip(NEXT) | instid1(VALU_DEP_1)
	v_clz_i32_u32_e32 v7, v7
	v_min_u32_e32 v7, 32, v7
	s_delay_alu instid0(VALU_DEP_1) | instskip(SKIP_1) | instid1(VALU_DEP_2)
	v_subrev_nc_u32_e32 v35, 28, v7
	v_sub_nc_u32_e32 v7, 29, v7
	v_lshlrev_b64 v[35:36], v35, v[33:34]
; %bb.24:                               ;   in Loop: Header=BB342_16 Depth=1
	s_or_b32 exec_lo, exec_lo, s24
	v_lshlrev_b32_e32 v36, 8, v33
	s_delay_alu instid0(VALU_DEP_3) | instskip(NEXT) | instid1(VALU_DEP_3)
	v_lshl_add_u32 v7, v7, 10, 0x2000
	v_lshlrev_b32_e32 v35, 7, v35
	s_delay_alu instid0(VALU_DEP_2) | instskip(NEXT) | instid1(VALU_DEP_1)
	v_and_or_b32 v7, 0x8000, v36, v7
	v_and_or_b32 v7, 0x380, v35, v7
	s_delay_alu instid0(VALU_DEP_1)
	v_cvt_f32_f16_e32 v83, v7
.LBB342_25:                             ;   in Loop: Header=BB342_16 Depth=1
	s_or_b32 exec_lo, exec_lo, s23
.LBB342_26:                             ;   in Loop: Header=BB342_16 Depth=1
	s_delay_alu instid0(SALU_CYCLE_1)
	s_or_b32 exec_lo, exec_lo, s22
.LBB342_27:                             ;   in Loop: Header=BB342_16 Depth=1
	s_delay_alu instid0(SALU_CYCLE_1) | instskip(SKIP_2) | instid1(VALU_DEP_1)
	s_or_b32 exec_lo, exec_lo, s21
	v_lshrrev_b16 v7, 8, v33
	s_mov_b32 s21, exec_lo
	v_cmpx_ne_u16_e32 0, v7
	s_cbranch_execz .LBB342_35
; %bb.28:                               ;   in Loop: Header=BB342_16 Depth=1
	v_bfrev_b32_e32 v84, 1
	s_mov_b32 s22, exec_lo
	v_cmpx_ne_u16_e32 0x80, v7
	s_cbranch_execz .LBB342_34
; %bb.29:                               ;   in Loop: Header=BB342_16 Depth=1
	v_and_b32_e32 v35, 0xffff, v7
	v_mov_b32_e32 v84, 0x7fc02000
	s_mov_b32 s23, exec_lo
	s_delay_alu instid0(VALU_DEP_2) | instskip(NEXT) | instid1(VALU_DEP_1)
	v_and_b32_e32 v85, 0x7f, v35
	v_cmpx_ne_u32_e32 0x7f, v85
	s_cbranch_execz .LBB342_33
; %bb.30:                               ;   in Loop: Header=BB342_16 Depth=1
	v_and_b32_e32 v7, 7, v35
	v_lshrrev_b32_e32 v36, 3, v85
	s_mov_b32 s24, exec_lo
	v_cmpx_gt_u32_e32 8, v85
; %bb.31:                               ;   in Loop: Header=BB342_16 Depth=1
	s_delay_alu instid0(VALU_DEP_3) | instskip(NEXT) | instid1(VALU_DEP_1)
	v_clz_i32_u32_e32 v36, v7
	v_min_u32_e32 v36, 32, v36
	s_delay_alu instid0(VALU_DEP_1) | instskip(SKIP_1) | instid1(VALU_DEP_2)
	v_subrev_nc_u32_e32 v84, 28, v36
	v_sub_nc_u32_e32 v36, 29, v36
	v_lshlrev_b64 v[84:85], v84, v[7:8]
	s_delay_alu instid0(VALU_DEP_1)
	v_and_b32_e32 v7, 7, v84
; %bb.32:                               ;   in Loop: Header=BB342_16 Depth=1
	s_or_b32 exec_lo, exec_lo, s24
	v_lshlrev_b32_e32 v35, 8, v35
	v_lshl_add_u32 v36, v36, 10, 0x2000
	s_delay_alu instid0(VALU_DEP_1) | instskip(NEXT) | instid1(VALU_DEP_1)
	v_and_or_b32 v35, 0x8000, v35, v36
	v_lshl_or_b32 v7, v7, 7, v35
	s_delay_alu instid0(VALU_DEP_1)
	v_cvt_f32_f16_e32 v84, v7
.LBB342_33:                             ;   in Loop: Header=BB342_16 Depth=1
	s_or_b32 exec_lo, exec_lo, s23
.LBB342_34:                             ;   in Loop: Header=BB342_16 Depth=1
	s_delay_alu instid0(SALU_CYCLE_1)
	s_or_b32 exec_lo, exec_lo, s22
.LBB342_35:                             ;   in Loop: Header=BB342_16 Depth=1
	s_delay_alu instid0(SALU_CYCLE_1) | instskip(SKIP_3) | instid1(VALU_DEP_2)
	s_or_b32 exec_lo, exec_lo, s21
	v_lshrrev_b32_e32 v35, 16, v33
	v_mov_b32_e32 v85, 0
	s_mov_b32 s21, exec_lo
	v_dual_mov_b32 v86, 0 :: v_dual_and_b32 v7, 0xff, v35
	s_delay_alu instid0(VALU_DEP_1)
	v_cmpx_ne_u16_e32 0, v7
	s_cbranch_execz .LBB342_43
; %bb.36:                               ;   in Loop: Header=BB342_16 Depth=1
	v_bfrev_b32_e32 v85, 1
	s_mov_b32 s22, exec_lo
	v_cmpx_ne_u16_e32 0x80, v7
	s_cbranch_execz .LBB342_42
; %bb.37:                               ;   in Loop: Header=BB342_16 Depth=1
	v_bfe_u32 v87, v33, 16, 7
	v_mov_b32_e32 v85, 0x7fc02000
	s_mov_b32 s23, exec_lo
	s_delay_alu instid0(VALU_DEP_2)
	v_cmpx_ne_u32_e32 0x7f, v87
	s_cbranch_execz .LBB342_41
; %bb.38:                               ;   in Loop: Header=BB342_16 Depth=1
	v_and_b32_e32 v7, 7, v35
	v_lshrrev_b32_e32 v36, 3, v87
	s_mov_b32 s24, exec_lo
	v_cmpx_gt_u32_e32 8, v87
; %bb.39:                               ;   in Loop: Header=BB342_16 Depth=1
	s_delay_alu instid0(VALU_DEP_3) | instskip(NEXT) | instid1(VALU_DEP_1)
	v_clz_i32_u32_e32 v36, v7
	v_min_u32_e32 v36, 32, v36
	s_delay_alu instid0(VALU_DEP_1) | instskip(SKIP_1) | instid1(VALU_DEP_2)
	v_subrev_nc_u32_e32 v85, 28, v36
	v_sub_nc_u32_e32 v36, 29, v36
	v_lshlrev_b64 v[96:97], v85, v[7:8]
	s_delay_alu instid0(VALU_DEP_1)
	v_and_b32_e32 v7, 7, v96
; %bb.40:                               ;   in Loop: Header=BB342_16 Depth=1
	s_or_b32 exec_lo, exec_lo, s24
	v_lshlrev_b32_e32 v35, 8, v35
	v_lshl_add_u32 v36, v36, 10, 0x2000
	s_delay_alu instid0(VALU_DEP_1) | instskip(NEXT) | instid1(VALU_DEP_1)
	v_and_or_b32 v35, 0x8000, v35, v36
	v_lshl_or_b32 v7, v7, 7, v35
	s_delay_alu instid0(VALU_DEP_1)
	v_cvt_f32_f16_e32 v85, v7
.LBB342_41:                             ;   in Loop: Header=BB342_16 Depth=1
	s_or_b32 exec_lo, exec_lo, s23
.LBB342_42:                             ;   in Loop: Header=BB342_16 Depth=1
	s_delay_alu instid0(SALU_CYCLE_1)
	s_or_b32 exec_lo, exec_lo, s22
.LBB342_43:                             ;   in Loop: Header=BB342_16 Depth=1
	s_delay_alu instid0(SALU_CYCLE_1) | instskip(NEXT) | instid1(SALU_CYCLE_1)
	s_or_b32 exec_lo, exec_lo, s21
	s_mov_b32 s21, exec_lo
	v_cmpx_lt_u32_e32 0xffffff, v33
	s_cbranch_execz .LBB342_51
; %bb.44:                               ;   in Loop: Header=BB342_16 Depth=1
	v_lshrrev_b32_e32 v35, 24, v33
	v_bfrev_b32_e32 v86, 1
	s_mov_b32 s22, exec_lo
	s_delay_alu instid0(VALU_DEP_2)
	v_cmpx_ne_u32_e32 0x80, v35
	s_cbranch_execz .LBB342_50
; %bb.45:                               ;   in Loop: Header=BB342_16 Depth=1
	v_and_b32_e32 v87, 0x7f, v35
	v_mov_b32_e32 v86, 0x7fc02000
	s_mov_b32 s23, exec_lo
	s_delay_alu instid0(VALU_DEP_2)
	v_cmpx_ne_u32_e32 0x7f, v87
	s_cbranch_execz .LBB342_49
; %bb.46:                               ;   in Loop: Header=BB342_16 Depth=1
	v_and_b32_e32 v7, 7, v35
	v_lshrrev_b32_e32 v36, 3, v87
	s_mov_b32 s24, exec_lo
	v_cmpx_gt_u32_e32 8, v87
; %bb.47:                               ;   in Loop: Header=BB342_16 Depth=1
	s_delay_alu instid0(VALU_DEP_3) | instskip(NEXT) | instid1(VALU_DEP_1)
	v_clz_i32_u32_e32 v36, v7
	v_min_u32_e32 v36, 32, v36
	s_delay_alu instid0(VALU_DEP_1) | instskip(SKIP_1) | instid1(VALU_DEP_2)
	v_subrev_nc_u32_e32 v86, 28, v36
	v_sub_nc_u32_e32 v36, 29, v36
	v_lshlrev_b64 v[86:87], v86, v[7:8]
	s_delay_alu instid0(VALU_DEP_1)
	v_and_b32_e32 v7, 7, v86
; %bb.48:                               ;   in Loop: Header=BB342_16 Depth=1
	s_or_b32 exec_lo, exec_lo, s24
	v_lshlrev_b32_e32 v35, 8, v35
	v_lshl_add_u32 v36, v36, 10, 0x2000
	s_delay_alu instid0(VALU_DEP_1) | instskip(NEXT) | instid1(VALU_DEP_1)
	v_and_or_b32 v35, 0x8000, v35, v36
	v_lshl_or_b32 v7, v7, 7, v35
	s_delay_alu instid0(VALU_DEP_1)
	v_cvt_f32_f16_e32 v86, v7
.LBB342_49:                             ;   in Loop: Header=BB342_16 Depth=1
	s_or_b32 exec_lo, exec_lo, s23
.LBB342_50:                             ;   in Loop: Header=BB342_16 Depth=1
	s_delay_alu instid0(SALU_CYCLE_1)
	s_or_b32 exec_lo, exec_lo, s22
.LBB342_51:                             ;   in Loop: Header=BB342_16 Depth=1
	s_delay_alu instid0(SALU_CYCLE_1) | instskip(SKIP_4) | instid1(VALU_DEP_3)
	s_or_b32 exec_lo, exec_lo, s21
	v_dual_mov_b32 v96, 0 :: v_dual_and_b32 v35, 0xff, v34
	v_mov_b32_e32 v7, v34
	v_mov_b32_e32 v87, 0
	s_mov_b32 s21, exec_lo
	v_cmpx_ne_u16_e32 0, v35
	s_cbranch_execz .LBB342_59
; %bb.52:                               ;   in Loop: Header=BB342_16 Depth=1
	v_bfrev_b32_e32 v87, 1
	s_mov_b32 s22, exec_lo
	v_cmpx_ne_u16_e32 0x80, v35
	s_cbranch_execz .LBB342_58
; %bb.53:                               ;   in Loop: Header=BB342_16 Depth=1
	v_and_b32_e32 v35, 0x7f, v34
	v_mov_b32_e32 v87, 0x7fc02000
	s_mov_b32 s23, exec_lo
	s_delay_alu instid0(VALU_DEP_2)
	v_cmpx_ne_u32_e32 0x7f, v35
	s_cbranch_execz .LBB342_57
; %bb.54:                               ;   in Loop: Header=BB342_16 Depth=1
	v_lshrrev_b32_e32 v87, 3, v35
	v_cmp_gt_u32_e64 s1, 8, v35
	v_dual_mov_b32 v36, v8 :: v_dual_mov_b32 v35, v7
	s_delay_alu instid0(VALU_DEP_2)
	s_and_saveexec_b32 s24, s1
; %bb.55:                               ;   in Loop: Header=BB342_16 Depth=1
	v_and_b32_e32 v35, 7, v34
	s_delay_alu instid0(VALU_DEP_1) | instskip(NEXT) | instid1(VALU_DEP_1)
	v_clz_i32_u32_e32 v35, v35
	v_min_u32_e32 v87, 32, v35
	s_delay_alu instid0(VALU_DEP_1) | instskip(SKIP_1) | instid1(VALU_DEP_2)
	v_subrev_nc_u32_e32 v35, 28, v87
	v_sub_nc_u32_e32 v87, 29, v87
	v_lshlrev_b64 v[35:36], v35, v[7:8]
; %bb.56:                               ;   in Loop: Header=BB342_16 Depth=1
	s_or_b32 exec_lo, exec_lo, s24
	v_lshlrev_b32_e32 v36, 8, v34
	s_delay_alu instid0(VALU_DEP_3) | instskip(NEXT) | instid1(VALU_DEP_3)
	v_lshl_add_u32 v87, v87, 10, 0x2000
	v_lshlrev_b32_e32 v35, 7, v35
	s_delay_alu instid0(VALU_DEP_2) | instskip(NEXT) | instid1(VALU_DEP_1)
	v_and_or_b32 v36, 0x8000, v36, v87
	v_and_or_b32 v35, 0x380, v35, v36
	s_delay_alu instid0(VALU_DEP_1)
	v_cvt_f32_f16_e32 v87, v35
.LBB342_57:                             ;   in Loop: Header=BB342_16 Depth=1
	s_or_b32 exec_lo, exec_lo, s23
.LBB342_58:                             ;   in Loop: Header=BB342_16 Depth=1
	s_delay_alu instid0(SALU_CYCLE_1)
	s_or_b32 exec_lo, exec_lo, s22
.LBB342_59:                             ;   in Loop: Header=BB342_16 Depth=1
	s_delay_alu instid0(SALU_CYCLE_1) | instskip(SKIP_2) | instid1(VALU_DEP_1)
	s_or_b32 exec_lo, exec_lo, s21
	v_lshrrev_b16 v7, 8, v7
	s_mov_b32 s21, exec_lo
	v_cmpx_ne_u16_e32 0, v7
	s_cbranch_execz .LBB342_67
; %bb.60:                               ;   in Loop: Header=BB342_16 Depth=1
	v_bfrev_b32_e32 v96, 1
	s_mov_b32 s22, exec_lo
	v_cmpx_ne_u16_e32 0x80, v7
	s_cbranch_execz .LBB342_66
; %bb.61:                               ;   in Loop: Header=BB342_16 Depth=1
	v_and_b32_e32 v35, 0xffff, v7
	v_mov_b32_e32 v96, 0x7fc02000
	s_mov_b32 s23, exec_lo
	s_delay_alu instid0(VALU_DEP_2) | instskip(NEXT) | instid1(VALU_DEP_1)
	v_and_b32_e32 v97, 0x7f, v35
	v_cmpx_ne_u32_e32 0x7f, v97
	s_cbranch_execz .LBB342_65
; %bb.62:                               ;   in Loop: Header=BB342_16 Depth=1
	v_and_b32_e32 v7, 7, v35
	v_lshrrev_b32_e32 v36, 3, v97
	s_mov_b32 s24, exec_lo
	v_cmpx_gt_u32_e32 8, v97
; %bb.63:                               ;   in Loop: Header=BB342_16 Depth=1
	s_delay_alu instid0(VALU_DEP_3) | instskip(NEXT) | instid1(VALU_DEP_1)
	v_clz_i32_u32_e32 v36, v7
	v_min_u32_e32 v36, 32, v36
	s_delay_alu instid0(VALU_DEP_1) | instskip(SKIP_1) | instid1(VALU_DEP_2)
	v_subrev_nc_u32_e32 v96, 28, v36
	v_sub_nc_u32_e32 v36, 29, v36
	v_lshlrev_b64 v[96:97], v96, v[7:8]
	s_delay_alu instid0(VALU_DEP_1)
	v_and_b32_e32 v7, 7, v96
; %bb.64:                               ;   in Loop: Header=BB342_16 Depth=1
	s_or_b32 exec_lo, exec_lo, s24
	v_lshlrev_b32_e32 v35, 8, v35
	v_lshl_add_u32 v36, v36, 10, 0x2000
	s_delay_alu instid0(VALU_DEP_1) | instskip(NEXT) | instid1(VALU_DEP_1)
	v_and_or_b32 v35, 0x8000, v35, v36
	v_lshl_or_b32 v7, v7, 7, v35
	s_delay_alu instid0(VALU_DEP_1)
	v_cvt_f32_f16_e32 v96, v7
.LBB342_65:                             ;   in Loop: Header=BB342_16 Depth=1
	s_or_b32 exec_lo, exec_lo, s23
.LBB342_66:                             ;   in Loop: Header=BB342_16 Depth=1
	s_delay_alu instid0(SALU_CYCLE_1)
	s_or_b32 exec_lo, exec_lo, s22
.LBB342_67:                             ;   in Loop: Header=BB342_16 Depth=1
	s_delay_alu instid0(SALU_CYCLE_1) | instskip(SKIP_3) | instid1(VALU_DEP_2)
	s_or_b32 exec_lo, exec_lo, s21
	v_lshrrev_b32_e32 v35, 16, v34
	v_mov_b32_e32 v97, 0
	s_mov_b32 s21, exec_lo
	v_dual_mov_b32 v98, 0 :: v_dual_and_b32 v7, 0xff, v35
	s_delay_alu instid0(VALU_DEP_1)
	v_cmpx_ne_u16_e32 0, v7
	s_cbranch_execz .LBB342_75
; %bb.68:                               ;   in Loop: Header=BB342_16 Depth=1
	v_bfrev_b32_e32 v98, 1
	s_mov_b32 s22, exec_lo
	v_cmpx_ne_u16_e32 0x80, v7
	s_cbranch_execz .LBB342_74
; %bb.69:                               ;   in Loop: Header=BB342_16 Depth=1
	v_bfe_u32 v99, v34, 16, 7
	v_mov_b32_e32 v98, 0x7fc02000
	s_mov_b32 s23, exec_lo
	s_delay_alu instid0(VALU_DEP_2)
	v_cmpx_ne_u32_e32 0x7f, v99
	s_cbranch_execz .LBB342_73
; %bb.70:                               ;   in Loop: Header=BB342_16 Depth=1
	v_and_b32_e32 v7, 7, v35
	v_lshrrev_b32_e32 v36, 3, v99
	s_mov_b32 s24, exec_lo
	v_cmpx_gt_u32_e32 8, v99
; %bb.71:                               ;   in Loop: Header=BB342_16 Depth=1
	s_delay_alu instid0(VALU_DEP_3) | instskip(NEXT) | instid1(VALU_DEP_1)
	v_clz_i32_u32_e32 v36, v7
	v_min_u32_e32 v36, 32, v36
	s_delay_alu instid0(VALU_DEP_1) | instskip(SKIP_1) | instid1(VALU_DEP_2)
	v_subrev_nc_u32_e32 v98, 28, v36
	v_sub_nc_u32_e32 v36, 29, v36
	v_lshlrev_b64 v[98:99], v98, v[7:8]
	s_delay_alu instid0(VALU_DEP_1)
	v_and_b32_e32 v7, 7, v98
; %bb.72:                               ;   in Loop: Header=BB342_16 Depth=1
	s_or_b32 exec_lo, exec_lo, s24
	v_lshlrev_b32_e32 v35, 8, v35
	v_lshl_add_u32 v36, v36, 10, 0x2000
	s_delay_alu instid0(VALU_DEP_1) | instskip(NEXT) | instid1(VALU_DEP_1)
	v_and_or_b32 v35, 0x8000, v35, v36
	v_lshl_or_b32 v7, v7, 7, v35
	s_delay_alu instid0(VALU_DEP_1)
	v_cvt_f32_f16_e32 v98, v7
.LBB342_73:                             ;   in Loop: Header=BB342_16 Depth=1
	s_or_b32 exec_lo, exec_lo, s23
.LBB342_74:                             ;   in Loop: Header=BB342_16 Depth=1
	s_delay_alu instid0(SALU_CYCLE_1)
	s_or_b32 exec_lo, exec_lo, s22
.LBB342_75:                             ;   in Loop: Header=BB342_16 Depth=1
	s_delay_alu instid0(SALU_CYCLE_1) | instskip(NEXT) | instid1(SALU_CYCLE_1)
	s_or_b32 exec_lo, exec_lo, s21
	s_mov_b32 s21, exec_lo
	v_cmpx_lt_u64_e64 s[8:9], v[33:34]
	s_cbranch_execz .LBB342_83
; %bb.76:                               ;   in Loop: Header=BB342_16 Depth=1
	v_lshrrev_b32_e32 v33, 24, v34
	v_bfrev_b32_e32 v97, 1
	s_mov_b32 s22, exec_lo
	s_delay_alu instid0(VALU_DEP_2)
	v_cmpx_ne_u32_e32 0x80, v33
	s_cbranch_execz .LBB342_82
; %bb.77:                               ;   in Loop: Header=BB342_16 Depth=1
	v_and_b32_e32 v35, 0x7f, v33
	v_mov_b32_e32 v97, 0x7fc02000
	s_mov_b32 s23, exec_lo
	s_delay_alu instid0(VALU_DEP_2)
	v_cmpx_ne_u32_e32 0x7f, v35
	s_cbranch_execz .LBB342_81
; %bb.78:                               ;   in Loop: Header=BB342_16 Depth=1
	v_and_b32_e32 v7, 7, v33
	v_lshrrev_b32_e32 v34, 3, v35
	s_mov_b32 s24, exec_lo
	v_cmpx_gt_u32_e32 8, v35
; %bb.79:                               ;   in Loop: Header=BB342_16 Depth=1
	s_delay_alu instid0(VALU_DEP_3) | instskip(NEXT) | instid1(VALU_DEP_1)
	v_clz_i32_u32_e32 v34, v7
	v_min_u32_e32 v34, 32, v34
	s_delay_alu instid0(VALU_DEP_1) | instskip(SKIP_1) | instid1(VALU_DEP_2)
	v_subrev_nc_u32_e32 v35, 28, v34
	v_sub_nc_u32_e32 v34, 29, v34
	v_lshlrev_b64 v[35:36], v35, v[7:8]
	s_delay_alu instid0(VALU_DEP_1)
	v_and_b32_e32 v7, 7, v35
; %bb.80:                               ;   in Loop: Header=BB342_16 Depth=1
	s_or_b32 exec_lo, exec_lo, s24
	v_lshlrev_b32_e32 v33, 8, v33
	v_lshl_add_u32 v34, v34, 10, 0x2000
	s_delay_alu instid0(VALU_DEP_1) | instskip(NEXT) | instid1(VALU_DEP_1)
	v_and_or_b32 v33, 0x8000, v33, v34
	v_lshl_or_b32 v7, v7, 7, v33
	s_delay_alu instid0(VALU_DEP_1)
	v_cvt_f32_f16_e32 v97, v7
.LBB342_81:                             ;   in Loop: Header=BB342_16 Depth=1
	s_or_b32 exec_lo, exec_lo, s23
.LBB342_82:                             ;   in Loop: Header=BB342_16 Depth=1
	s_delay_alu instid0(SALU_CYCLE_1)
	s_or_b32 exec_lo, exec_lo, s22
.LBB342_83:                             ;   in Loop: Header=BB342_16 Depth=1
	s_delay_alu instid0(SALU_CYCLE_1)
	s_or_b32 exec_lo, exec_lo, s21
	flat_load_b64 v[33:34], v[31:32] offset:8
	v_mov_b32_e32 v99, 0
	s_mov_b32 s21, exec_lo
	s_waitcnt vmcnt(0) lgkmcnt(0)
	v_dual_mov_b32 v100, 0 :: v_dual_and_b32 v7, 0xff, v33
	s_delay_alu instid0(VALU_DEP_1)
	v_cmpx_ne_u16_e32 0, v7
	s_cbranch_execz .LBB342_91
; %bb.84:                               ;   in Loop: Header=BB342_16 Depth=1
	v_bfrev_b32_e32 v99, 1
	s_mov_b32 s22, exec_lo
	v_cmpx_ne_u16_e32 0x80, v7
	s_cbranch_execz .LBB342_90
; %bb.85:                               ;   in Loop: Header=BB342_16 Depth=1
	v_and_b32_e32 v35, 0x7f, v33
	v_mov_b32_e32 v99, 0x7fc02000
	s_mov_b32 s23, exec_lo
	s_delay_alu instid0(VALU_DEP_2)
	v_cmpx_ne_u32_e32 0x7f, v35
	s_cbranch_execz .LBB342_89
; %bb.86:                               ;   in Loop: Header=BB342_16 Depth=1
	v_lshrrev_b32_e32 v7, 3, v35
	v_cmp_gt_u32_e64 s1, 8, v35
	v_dual_mov_b32 v36, v34 :: v_dual_mov_b32 v35, v33
	s_delay_alu instid0(VALU_DEP_2)
	s_and_saveexec_b32 s24, s1
; %bb.87:                               ;   in Loop: Header=BB342_16 Depth=1
	v_and_b32_e32 v7, 7, v33
	s_delay_alu instid0(VALU_DEP_1) | instskip(NEXT) | instid1(VALU_DEP_1)
	v_clz_i32_u32_e32 v7, v7
	v_min_u32_e32 v7, 32, v7
	s_delay_alu instid0(VALU_DEP_1) | instskip(SKIP_1) | instid1(VALU_DEP_2)
	v_subrev_nc_u32_e32 v35, 28, v7
	v_sub_nc_u32_e32 v7, 29, v7
	v_lshlrev_b64 v[35:36], v35, v[33:34]
; %bb.88:                               ;   in Loop: Header=BB342_16 Depth=1
	s_or_b32 exec_lo, exec_lo, s24
	v_lshlrev_b32_e32 v36, 8, v33
	s_delay_alu instid0(VALU_DEP_3) | instskip(NEXT) | instid1(VALU_DEP_3)
	v_lshl_add_u32 v7, v7, 10, 0x2000
	v_lshlrev_b32_e32 v35, 7, v35
	s_delay_alu instid0(VALU_DEP_2) | instskip(NEXT) | instid1(VALU_DEP_1)
	v_and_or_b32 v7, 0x8000, v36, v7
	v_and_or_b32 v7, 0x380, v35, v7
	s_delay_alu instid0(VALU_DEP_1)
	v_cvt_f32_f16_e32 v99, v7
.LBB342_89:                             ;   in Loop: Header=BB342_16 Depth=1
	s_or_b32 exec_lo, exec_lo, s23
.LBB342_90:                             ;   in Loop: Header=BB342_16 Depth=1
	s_delay_alu instid0(SALU_CYCLE_1)
	s_or_b32 exec_lo, exec_lo, s22
.LBB342_91:                             ;   in Loop: Header=BB342_16 Depth=1
	s_delay_alu instid0(SALU_CYCLE_1) | instskip(SKIP_2) | instid1(VALU_DEP_1)
	s_or_b32 exec_lo, exec_lo, s21
	v_lshrrev_b16 v7, 8, v33
	s_mov_b32 s21, exec_lo
	v_cmpx_ne_u16_e32 0, v7
	s_cbranch_execz .LBB342_99
; %bb.92:                               ;   in Loop: Header=BB342_16 Depth=1
	v_bfrev_b32_e32 v100, 1
	s_mov_b32 s22, exec_lo
	v_cmpx_ne_u16_e32 0x80, v7
	s_cbranch_execz .LBB342_98
; %bb.93:                               ;   in Loop: Header=BB342_16 Depth=1
	v_and_b32_e32 v35, 0xffff, v7
	v_mov_b32_e32 v100, 0x7fc02000
	s_mov_b32 s23, exec_lo
	s_delay_alu instid0(VALU_DEP_2) | instskip(NEXT) | instid1(VALU_DEP_1)
	v_and_b32_e32 v101, 0x7f, v35
	v_cmpx_ne_u32_e32 0x7f, v101
	s_cbranch_execz .LBB342_97
; %bb.94:                               ;   in Loop: Header=BB342_16 Depth=1
	v_and_b32_e32 v7, 7, v35
	v_lshrrev_b32_e32 v36, 3, v101
	s_mov_b32 s24, exec_lo
	v_cmpx_gt_u32_e32 8, v101
; %bb.95:                               ;   in Loop: Header=BB342_16 Depth=1
	s_delay_alu instid0(VALU_DEP_3) | instskip(NEXT) | instid1(VALU_DEP_1)
	v_clz_i32_u32_e32 v36, v7
	v_min_u32_e32 v36, 32, v36
	s_delay_alu instid0(VALU_DEP_1) | instskip(SKIP_1) | instid1(VALU_DEP_2)
	v_subrev_nc_u32_e32 v100, 28, v36
	v_sub_nc_u32_e32 v36, 29, v36
	v_lshlrev_b64 v[100:101], v100, v[7:8]
	s_delay_alu instid0(VALU_DEP_1)
	v_and_b32_e32 v7, 7, v100
; %bb.96:                               ;   in Loop: Header=BB342_16 Depth=1
	s_or_b32 exec_lo, exec_lo, s24
	v_lshlrev_b32_e32 v35, 8, v35
	v_lshl_add_u32 v36, v36, 10, 0x2000
	s_delay_alu instid0(VALU_DEP_1) | instskip(NEXT) | instid1(VALU_DEP_1)
	v_and_or_b32 v35, 0x8000, v35, v36
	v_lshl_or_b32 v7, v7, 7, v35
	s_delay_alu instid0(VALU_DEP_1)
	v_cvt_f32_f16_e32 v100, v7
.LBB342_97:                             ;   in Loop: Header=BB342_16 Depth=1
	s_or_b32 exec_lo, exec_lo, s23
.LBB342_98:                             ;   in Loop: Header=BB342_16 Depth=1
	s_delay_alu instid0(SALU_CYCLE_1)
	s_or_b32 exec_lo, exec_lo, s22
.LBB342_99:                             ;   in Loop: Header=BB342_16 Depth=1
	s_delay_alu instid0(SALU_CYCLE_1) | instskip(SKIP_3) | instid1(VALU_DEP_2)
	s_or_b32 exec_lo, exec_lo, s21
	v_lshrrev_b32_e32 v35, 16, v33
	v_mov_b32_e32 v101, 0
	s_mov_b32 s21, exec_lo
	v_dual_mov_b32 v102, 0 :: v_dual_and_b32 v7, 0xff, v35
	s_delay_alu instid0(VALU_DEP_1)
	v_cmpx_ne_u16_e32 0, v7
	s_cbranch_execz .LBB342_107
; %bb.100:                              ;   in Loop: Header=BB342_16 Depth=1
	v_bfrev_b32_e32 v101, 1
	s_mov_b32 s22, exec_lo
	v_cmpx_ne_u16_e32 0x80, v7
	s_cbranch_execz .LBB342_106
; %bb.101:                              ;   in Loop: Header=BB342_16 Depth=1
	v_bfe_u32 v103, v33, 16, 7
	v_mov_b32_e32 v101, 0x7fc02000
	s_mov_b32 s23, exec_lo
	s_delay_alu instid0(VALU_DEP_2)
	v_cmpx_ne_u32_e32 0x7f, v103
	s_cbranch_execz .LBB342_105
; %bb.102:                              ;   in Loop: Header=BB342_16 Depth=1
	v_and_b32_e32 v7, 7, v35
	v_lshrrev_b32_e32 v36, 3, v103
	s_mov_b32 s24, exec_lo
	v_cmpx_gt_u32_e32 8, v103
; %bb.103:                              ;   in Loop: Header=BB342_16 Depth=1
	s_delay_alu instid0(VALU_DEP_3) | instskip(NEXT) | instid1(VALU_DEP_1)
	v_clz_i32_u32_e32 v36, v7
	v_min_u32_e32 v36, 32, v36
	s_delay_alu instid0(VALU_DEP_1) | instskip(SKIP_1) | instid1(VALU_DEP_2)
	v_subrev_nc_u32_e32 v101, 28, v36
	v_sub_nc_u32_e32 v36, 29, v36
	v_lshlrev_b64 v[112:113], v101, v[7:8]
	s_delay_alu instid0(VALU_DEP_1)
	v_and_b32_e32 v7, 7, v112
; %bb.104:                              ;   in Loop: Header=BB342_16 Depth=1
	s_or_b32 exec_lo, exec_lo, s24
	v_lshlrev_b32_e32 v35, 8, v35
	v_lshl_add_u32 v36, v36, 10, 0x2000
	s_delay_alu instid0(VALU_DEP_1) | instskip(NEXT) | instid1(VALU_DEP_1)
	v_and_or_b32 v35, 0x8000, v35, v36
	v_lshl_or_b32 v7, v7, 7, v35
	s_delay_alu instid0(VALU_DEP_1)
	v_cvt_f32_f16_e32 v101, v7
.LBB342_105:                            ;   in Loop: Header=BB342_16 Depth=1
	s_or_b32 exec_lo, exec_lo, s23
.LBB342_106:                            ;   in Loop: Header=BB342_16 Depth=1
	s_delay_alu instid0(SALU_CYCLE_1)
	s_or_b32 exec_lo, exec_lo, s22
.LBB342_107:                            ;   in Loop: Header=BB342_16 Depth=1
	s_delay_alu instid0(SALU_CYCLE_1) | instskip(NEXT) | instid1(SALU_CYCLE_1)
	s_or_b32 exec_lo, exec_lo, s21
	s_mov_b32 s21, exec_lo
	v_cmpx_lt_u32_e32 0xffffff, v33
	s_cbranch_execz .LBB342_115
; %bb.108:                              ;   in Loop: Header=BB342_16 Depth=1
	v_lshrrev_b32_e32 v35, 24, v33
	v_bfrev_b32_e32 v102, 1
	s_mov_b32 s22, exec_lo
	s_delay_alu instid0(VALU_DEP_2)
	v_cmpx_ne_u32_e32 0x80, v35
	s_cbranch_execz .LBB342_114
; %bb.109:                              ;   in Loop: Header=BB342_16 Depth=1
	v_and_b32_e32 v103, 0x7f, v35
	v_mov_b32_e32 v102, 0x7fc02000
	s_mov_b32 s23, exec_lo
	s_delay_alu instid0(VALU_DEP_2)
	v_cmpx_ne_u32_e32 0x7f, v103
	s_cbranch_execz .LBB342_113
; %bb.110:                              ;   in Loop: Header=BB342_16 Depth=1
	v_and_b32_e32 v7, 7, v35
	v_lshrrev_b32_e32 v36, 3, v103
	s_mov_b32 s24, exec_lo
	v_cmpx_gt_u32_e32 8, v103
; %bb.111:                              ;   in Loop: Header=BB342_16 Depth=1
	s_delay_alu instid0(VALU_DEP_3) | instskip(NEXT) | instid1(VALU_DEP_1)
	v_clz_i32_u32_e32 v36, v7
	v_min_u32_e32 v36, 32, v36
	s_delay_alu instid0(VALU_DEP_1) | instskip(SKIP_1) | instid1(VALU_DEP_2)
	v_subrev_nc_u32_e32 v102, 28, v36
	v_sub_nc_u32_e32 v36, 29, v36
	v_lshlrev_b64 v[102:103], v102, v[7:8]
	s_delay_alu instid0(VALU_DEP_1)
	v_and_b32_e32 v7, 7, v102
; %bb.112:                              ;   in Loop: Header=BB342_16 Depth=1
	s_or_b32 exec_lo, exec_lo, s24
	v_lshlrev_b32_e32 v35, 8, v35
	v_lshl_add_u32 v36, v36, 10, 0x2000
	s_delay_alu instid0(VALU_DEP_1) | instskip(NEXT) | instid1(VALU_DEP_1)
	v_and_or_b32 v35, 0x8000, v35, v36
	v_lshl_or_b32 v7, v7, 7, v35
	s_delay_alu instid0(VALU_DEP_1)
	v_cvt_f32_f16_e32 v102, v7
.LBB342_113:                            ;   in Loop: Header=BB342_16 Depth=1
	s_or_b32 exec_lo, exec_lo, s23
.LBB342_114:                            ;   in Loop: Header=BB342_16 Depth=1
	s_delay_alu instid0(SALU_CYCLE_1)
	s_or_b32 exec_lo, exec_lo, s22
.LBB342_115:                            ;   in Loop: Header=BB342_16 Depth=1
	s_delay_alu instid0(SALU_CYCLE_1) | instskip(SKIP_4) | instid1(VALU_DEP_3)
	s_or_b32 exec_lo, exec_lo, s21
	v_dual_mov_b32 v112, 0 :: v_dual_and_b32 v35, 0xff, v34
	v_mov_b32_e32 v7, v34
	v_mov_b32_e32 v103, 0
	s_mov_b32 s21, exec_lo
	v_cmpx_ne_u16_e32 0, v35
	s_cbranch_execz .LBB342_123
; %bb.116:                              ;   in Loop: Header=BB342_16 Depth=1
	v_bfrev_b32_e32 v103, 1
	s_mov_b32 s22, exec_lo
	v_cmpx_ne_u16_e32 0x80, v35
	s_cbranch_execz .LBB342_122
; %bb.117:                              ;   in Loop: Header=BB342_16 Depth=1
	v_and_b32_e32 v35, 0x7f, v34
	v_mov_b32_e32 v103, 0x7fc02000
	s_mov_b32 s23, exec_lo
	s_delay_alu instid0(VALU_DEP_2)
	v_cmpx_ne_u32_e32 0x7f, v35
	s_cbranch_execz .LBB342_121
; %bb.118:                              ;   in Loop: Header=BB342_16 Depth=1
	v_lshrrev_b32_e32 v103, 3, v35
	v_cmp_gt_u32_e64 s1, 8, v35
	v_dual_mov_b32 v36, v8 :: v_dual_mov_b32 v35, v7
	s_delay_alu instid0(VALU_DEP_2)
	s_and_saveexec_b32 s24, s1
; %bb.119:                              ;   in Loop: Header=BB342_16 Depth=1
	v_and_b32_e32 v35, 7, v34
	s_delay_alu instid0(VALU_DEP_1) | instskip(NEXT) | instid1(VALU_DEP_1)
	v_clz_i32_u32_e32 v35, v35
	v_min_u32_e32 v103, 32, v35
	s_delay_alu instid0(VALU_DEP_1) | instskip(SKIP_1) | instid1(VALU_DEP_2)
	v_subrev_nc_u32_e32 v35, 28, v103
	v_sub_nc_u32_e32 v103, 29, v103
	v_lshlrev_b64 v[35:36], v35, v[7:8]
; %bb.120:                              ;   in Loop: Header=BB342_16 Depth=1
	s_or_b32 exec_lo, exec_lo, s24
	v_lshlrev_b32_e32 v36, 8, v34
	s_delay_alu instid0(VALU_DEP_3) | instskip(NEXT) | instid1(VALU_DEP_3)
	v_lshl_add_u32 v103, v103, 10, 0x2000
	v_lshlrev_b32_e32 v35, 7, v35
	s_delay_alu instid0(VALU_DEP_2) | instskip(NEXT) | instid1(VALU_DEP_1)
	v_and_or_b32 v36, 0x8000, v36, v103
	v_and_or_b32 v35, 0x380, v35, v36
	s_delay_alu instid0(VALU_DEP_1)
	v_cvt_f32_f16_e32 v103, v35
.LBB342_121:                            ;   in Loop: Header=BB342_16 Depth=1
	s_or_b32 exec_lo, exec_lo, s23
.LBB342_122:                            ;   in Loop: Header=BB342_16 Depth=1
	s_delay_alu instid0(SALU_CYCLE_1)
	s_or_b32 exec_lo, exec_lo, s22
.LBB342_123:                            ;   in Loop: Header=BB342_16 Depth=1
	s_delay_alu instid0(SALU_CYCLE_1) | instskip(SKIP_2) | instid1(VALU_DEP_1)
	s_or_b32 exec_lo, exec_lo, s21
	v_lshrrev_b16 v7, 8, v7
	s_mov_b32 s21, exec_lo
	v_cmpx_ne_u16_e32 0, v7
	s_cbranch_execz .LBB342_131
; %bb.124:                              ;   in Loop: Header=BB342_16 Depth=1
	v_bfrev_b32_e32 v112, 1
	s_mov_b32 s22, exec_lo
	v_cmpx_ne_u16_e32 0x80, v7
	s_cbranch_execz .LBB342_130
; %bb.125:                              ;   in Loop: Header=BB342_16 Depth=1
	v_and_b32_e32 v35, 0xffff, v7
	v_mov_b32_e32 v112, 0x7fc02000
	s_mov_b32 s23, exec_lo
	s_delay_alu instid0(VALU_DEP_2) | instskip(NEXT) | instid1(VALU_DEP_1)
	v_and_b32_e32 v113, 0x7f, v35
	v_cmpx_ne_u32_e32 0x7f, v113
	s_cbranch_execz .LBB342_129
; %bb.126:                              ;   in Loop: Header=BB342_16 Depth=1
	v_and_b32_e32 v7, 7, v35
	v_lshrrev_b32_e32 v36, 3, v113
	s_mov_b32 s24, exec_lo
	v_cmpx_gt_u32_e32 8, v113
; %bb.127:                              ;   in Loop: Header=BB342_16 Depth=1
	s_delay_alu instid0(VALU_DEP_3) | instskip(NEXT) | instid1(VALU_DEP_1)
	v_clz_i32_u32_e32 v36, v7
	v_min_u32_e32 v36, 32, v36
	s_delay_alu instid0(VALU_DEP_1) | instskip(SKIP_1) | instid1(VALU_DEP_2)
	v_subrev_nc_u32_e32 v112, 28, v36
	v_sub_nc_u32_e32 v36, 29, v36
	v_lshlrev_b64 v[112:113], v112, v[7:8]
	s_delay_alu instid0(VALU_DEP_1)
	v_and_b32_e32 v7, 7, v112
; %bb.128:                              ;   in Loop: Header=BB342_16 Depth=1
	s_or_b32 exec_lo, exec_lo, s24
	v_lshlrev_b32_e32 v35, 8, v35
	v_lshl_add_u32 v36, v36, 10, 0x2000
	s_delay_alu instid0(VALU_DEP_1) | instskip(NEXT) | instid1(VALU_DEP_1)
	v_and_or_b32 v35, 0x8000, v35, v36
	v_lshl_or_b32 v7, v7, 7, v35
	s_delay_alu instid0(VALU_DEP_1)
	v_cvt_f32_f16_e32 v112, v7
.LBB342_129:                            ;   in Loop: Header=BB342_16 Depth=1
	s_or_b32 exec_lo, exec_lo, s23
.LBB342_130:                            ;   in Loop: Header=BB342_16 Depth=1
	s_delay_alu instid0(SALU_CYCLE_1)
	s_or_b32 exec_lo, exec_lo, s22
.LBB342_131:                            ;   in Loop: Header=BB342_16 Depth=1
	s_delay_alu instid0(SALU_CYCLE_1) | instskip(SKIP_3) | instid1(VALU_DEP_2)
	s_or_b32 exec_lo, exec_lo, s21
	v_lshrrev_b32_e32 v35, 16, v34
	v_mov_b32_e32 v113, 0
	s_mov_b32 s21, exec_lo
	v_dual_mov_b32 v114, 0 :: v_dual_and_b32 v7, 0xff, v35
	s_delay_alu instid0(VALU_DEP_1)
	v_cmpx_ne_u16_e32 0, v7
	s_cbranch_execz .LBB342_139
; %bb.132:                              ;   in Loop: Header=BB342_16 Depth=1
	v_bfrev_b32_e32 v114, 1
	s_mov_b32 s22, exec_lo
	v_cmpx_ne_u16_e32 0x80, v7
	s_cbranch_execz .LBB342_138
; %bb.133:                              ;   in Loop: Header=BB342_16 Depth=1
	v_bfe_u32 v115, v34, 16, 7
	v_mov_b32_e32 v114, 0x7fc02000
	s_mov_b32 s23, exec_lo
	s_delay_alu instid0(VALU_DEP_2)
	v_cmpx_ne_u32_e32 0x7f, v115
	s_cbranch_execz .LBB342_137
; %bb.134:                              ;   in Loop: Header=BB342_16 Depth=1
	v_and_b32_e32 v7, 7, v35
	v_lshrrev_b32_e32 v36, 3, v115
	s_mov_b32 s24, exec_lo
	v_cmpx_gt_u32_e32 8, v115
; %bb.135:                              ;   in Loop: Header=BB342_16 Depth=1
	s_delay_alu instid0(VALU_DEP_3) | instskip(NEXT) | instid1(VALU_DEP_1)
	v_clz_i32_u32_e32 v36, v7
	v_min_u32_e32 v36, 32, v36
	s_delay_alu instid0(VALU_DEP_1) | instskip(SKIP_1) | instid1(VALU_DEP_2)
	v_subrev_nc_u32_e32 v114, 28, v36
	v_sub_nc_u32_e32 v36, 29, v36
	v_lshlrev_b64 v[114:115], v114, v[7:8]
	s_delay_alu instid0(VALU_DEP_1)
	v_and_b32_e32 v7, 7, v114
; %bb.136:                              ;   in Loop: Header=BB342_16 Depth=1
	s_or_b32 exec_lo, exec_lo, s24
	v_lshlrev_b32_e32 v35, 8, v35
	v_lshl_add_u32 v36, v36, 10, 0x2000
	s_delay_alu instid0(VALU_DEP_1) | instskip(NEXT) | instid1(VALU_DEP_1)
	v_and_or_b32 v35, 0x8000, v35, v36
	v_lshl_or_b32 v7, v7, 7, v35
	s_delay_alu instid0(VALU_DEP_1)
	v_cvt_f32_f16_e32 v114, v7
.LBB342_137:                            ;   in Loop: Header=BB342_16 Depth=1
	s_or_b32 exec_lo, exec_lo, s23
.LBB342_138:                            ;   in Loop: Header=BB342_16 Depth=1
	s_delay_alu instid0(SALU_CYCLE_1)
	s_or_b32 exec_lo, exec_lo, s22
.LBB342_139:                            ;   in Loop: Header=BB342_16 Depth=1
	s_delay_alu instid0(SALU_CYCLE_1) | instskip(NEXT) | instid1(SALU_CYCLE_1)
	s_or_b32 exec_lo, exec_lo, s21
	s_mov_b32 s21, exec_lo
	v_cmpx_lt_u64_e64 s[8:9], v[33:34]
	s_cbranch_execz .LBB342_147
; %bb.140:                              ;   in Loop: Header=BB342_16 Depth=1
	v_lshrrev_b32_e32 v33, 24, v34
	v_bfrev_b32_e32 v113, 1
	s_mov_b32 s22, exec_lo
	s_delay_alu instid0(VALU_DEP_2)
	v_cmpx_ne_u32_e32 0x80, v33
	s_cbranch_execz .LBB342_146
; %bb.141:                              ;   in Loop: Header=BB342_16 Depth=1
	v_and_b32_e32 v35, 0x7f, v33
	v_mov_b32_e32 v113, 0x7fc02000
	s_mov_b32 s23, exec_lo
	s_delay_alu instid0(VALU_DEP_2)
	v_cmpx_ne_u32_e32 0x7f, v35
	s_cbranch_execz .LBB342_145
; %bb.142:                              ;   in Loop: Header=BB342_16 Depth=1
	v_and_b32_e32 v7, 7, v33
	v_lshrrev_b32_e32 v34, 3, v35
	s_mov_b32 s24, exec_lo
	v_cmpx_gt_u32_e32 8, v35
; %bb.143:                              ;   in Loop: Header=BB342_16 Depth=1
	s_delay_alu instid0(VALU_DEP_3) | instskip(NEXT) | instid1(VALU_DEP_1)
	v_clz_i32_u32_e32 v34, v7
	v_min_u32_e32 v34, 32, v34
	s_delay_alu instid0(VALU_DEP_1) | instskip(SKIP_1) | instid1(VALU_DEP_2)
	v_subrev_nc_u32_e32 v35, 28, v34
	v_sub_nc_u32_e32 v34, 29, v34
	v_lshlrev_b64 v[35:36], v35, v[7:8]
	s_delay_alu instid0(VALU_DEP_1)
	v_and_b32_e32 v7, 7, v35
; %bb.144:                              ;   in Loop: Header=BB342_16 Depth=1
	s_or_b32 exec_lo, exec_lo, s24
	v_lshlrev_b32_e32 v33, 8, v33
	v_lshl_add_u32 v34, v34, 10, 0x2000
	s_delay_alu instid0(VALU_DEP_1) | instskip(NEXT) | instid1(VALU_DEP_1)
	v_and_or_b32 v33, 0x8000, v33, v34
	v_lshl_or_b32 v7, v7, 7, v33
	s_delay_alu instid0(VALU_DEP_1)
	v_cvt_f32_f16_e32 v113, v7
.LBB342_145:                            ;   in Loop: Header=BB342_16 Depth=1
	s_or_b32 exec_lo, exec_lo, s23
.LBB342_146:                            ;   in Loop: Header=BB342_16 Depth=1
	s_delay_alu instid0(SALU_CYCLE_1)
	s_or_b32 exec_lo, exec_lo, s22
.LBB342_147:                            ;   in Loop: Header=BB342_16 Depth=1
	s_delay_alu instid0(SALU_CYCLE_1)
	s_or_b32 exec_lo, exec_lo, s21
	flat_load_b64 v[33:34], v[31:32] offset:512
	v_mov_b32_e32 v115, 0
	s_mov_b32 s21, exec_lo
	s_waitcnt vmcnt(0) lgkmcnt(0)
	v_dual_mov_b32 v116, 0 :: v_dual_and_b32 v7, 0xff, v33
	s_delay_alu instid0(VALU_DEP_1)
	v_cmpx_ne_u16_e32 0, v7
	s_cbranch_execz .LBB342_155
; %bb.148:                              ;   in Loop: Header=BB342_16 Depth=1
	v_bfrev_b32_e32 v115, 1
	s_mov_b32 s22, exec_lo
	v_cmpx_ne_u16_e32 0x80, v7
	s_cbranch_execz .LBB342_154
; %bb.149:                              ;   in Loop: Header=BB342_16 Depth=1
	v_and_b32_e32 v35, 0x7f, v33
	v_mov_b32_e32 v115, 0x7fc02000
	s_mov_b32 s23, exec_lo
	s_delay_alu instid0(VALU_DEP_2)
	v_cmpx_ne_u32_e32 0x7f, v35
	s_cbranch_execz .LBB342_153
; %bb.150:                              ;   in Loop: Header=BB342_16 Depth=1
	v_lshrrev_b32_e32 v7, 3, v35
	v_cmp_gt_u32_e64 s1, 8, v35
	v_dual_mov_b32 v36, v34 :: v_dual_mov_b32 v35, v33
	s_delay_alu instid0(VALU_DEP_2)
	s_and_saveexec_b32 s24, s1
; %bb.151:                              ;   in Loop: Header=BB342_16 Depth=1
	v_and_b32_e32 v7, 7, v33
	s_delay_alu instid0(VALU_DEP_1) | instskip(NEXT) | instid1(VALU_DEP_1)
	v_clz_i32_u32_e32 v7, v7
	v_min_u32_e32 v7, 32, v7
	s_delay_alu instid0(VALU_DEP_1) | instskip(SKIP_1) | instid1(VALU_DEP_2)
	v_subrev_nc_u32_e32 v35, 28, v7
	v_sub_nc_u32_e32 v7, 29, v7
	v_lshlrev_b64 v[35:36], v35, v[33:34]
; %bb.152:                              ;   in Loop: Header=BB342_16 Depth=1
	s_or_b32 exec_lo, exec_lo, s24
	v_lshlrev_b32_e32 v36, 8, v33
	s_delay_alu instid0(VALU_DEP_3) | instskip(NEXT) | instid1(VALU_DEP_3)
	v_lshl_add_u32 v7, v7, 10, 0x2000
	v_lshlrev_b32_e32 v35, 7, v35
	s_delay_alu instid0(VALU_DEP_2) | instskip(NEXT) | instid1(VALU_DEP_1)
	v_and_or_b32 v7, 0x8000, v36, v7
	v_and_or_b32 v7, 0x380, v35, v7
	s_delay_alu instid0(VALU_DEP_1)
	v_cvt_f32_f16_e32 v115, v7
.LBB342_153:                            ;   in Loop: Header=BB342_16 Depth=1
	s_or_b32 exec_lo, exec_lo, s23
.LBB342_154:                            ;   in Loop: Header=BB342_16 Depth=1
	s_delay_alu instid0(SALU_CYCLE_1)
	s_or_b32 exec_lo, exec_lo, s22
.LBB342_155:                            ;   in Loop: Header=BB342_16 Depth=1
	s_delay_alu instid0(SALU_CYCLE_1) | instskip(SKIP_2) | instid1(VALU_DEP_1)
	s_or_b32 exec_lo, exec_lo, s21
	v_lshrrev_b16 v7, 8, v33
	s_mov_b32 s21, exec_lo
	v_cmpx_ne_u16_e32 0, v7
	s_cbranch_execz .LBB342_163
; %bb.156:                              ;   in Loop: Header=BB342_16 Depth=1
	v_bfrev_b32_e32 v116, 1
	s_mov_b32 s22, exec_lo
	v_cmpx_ne_u16_e32 0x80, v7
	s_cbranch_execz .LBB342_162
; %bb.157:                              ;   in Loop: Header=BB342_16 Depth=1
	v_and_b32_e32 v35, 0xffff, v7
	v_mov_b32_e32 v116, 0x7fc02000
	s_mov_b32 s23, exec_lo
	s_delay_alu instid0(VALU_DEP_2) | instskip(NEXT) | instid1(VALU_DEP_1)
	v_and_b32_e32 v117, 0x7f, v35
	v_cmpx_ne_u32_e32 0x7f, v117
	s_cbranch_execz .LBB342_161
; %bb.158:                              ;   in Loop: Header=BB342_16 Depth=1
	v_and_b32_e32 v7, 7, v35
	v_lshrrev_b32_e32 v36, 3, v117
	s_mov_b32 s24, exec_lo
	v_cmpx_gt_u32_e32 8, v117
; %bb.159:                              ;   in Loop: Header=BB342_16 Depth=1
	s_delay_alu instid0(VALU_DEP_3) | instskip(NEXT) | instid1(VALU_DEP_1)
	v_clz_i32_u32_e32 v36, v7
	v_min_u32_e32 v36, 32, v36
	s_delay_alu instid0(VALU_DEP_1) | instskip(SKIP_1) | instid1(VALU_DEP_2)
	v_subrev_nc_u32_e32 v116, 28, v36
	v_sub_nc_u32_e32 v36, 29, v36
	v_lshlrev_b64 v[116:117], v116, v[7:8]
	s_delay_alu instid0(VALU_DEP_1)
	v_and_b32_e32 v7, 7, v116
; %bb.160:                              ;   in Loop: Header=BB342_16 Depth=1
	s_or_b32 exec_lo, exec_lo, s24
	v_lshlrev_b32_e32 v35, 8, v35
	v_lshl_add_u32 v36, v36, 10, 0x2000
	s_delay_alu instid0(VALU_DEP_1) | instskip(NEXT) | instid1(VALU_DEP_1)
	v_and_or_b32 v35, 0x8000, v35, v36
	v_lshl_or_b32 v7, v7, 7, v35
	s_delay_alu instid0(VALU_DEP_1)
	v_cvt_f32_f16_e32 v116, v7
.LBB342_161:                            ;   in Loop: Header=BB342_16 Depth=1
	s_or_b32 exec_lo, exec_lo, s23
.LBB342_162:                            ;   in Loop: Header=BB342_16 Depth=1
	s_delay_alu instid0(SALU_CYCLE_1)
	s_or_b32 exec_lo, exec_lo, s22
.LBB342_163:                            ;   in Loop: Header=BB342_16 Depth=1
	s_delay_alu instid0(SALU_CYCLE_1) | instskip(SKIP_3) | instid1(VALU_DEP_2)
	s_or_b32 exec_lo, exec_lo, s21
	v_lshrrev_b32_e32 v35, 16, v33
	v_mov_b32_e32 v117, 0
	s_mov_b32 s21, exec_lo
	v_dual_mov_b32 v118, 0 :: v_dual_and_b32 v7, 0xff, v35
	s_delay_alu instid0(VALU_DEP_1)
	v_cmpx_ne_u16_e32 0, v7
	s_cbranch_execz .LBB342_171
; %bb.164:                              ;   in Loop: Header=BB342_16 Depth=1
	v_bfrev_b32_e32 v117, 1
	s_mov_b32 s22, exec_lo
	v_cmpx_ne_u16_e32 0x80, v7
	s_cbranch_execz .LBB342_170
; %bb.165:                              ;   in Loop: Header=BB342_16 Depth=1
	v_bfe_u32 v119, v33, 16, 7
	v_mov_b32_e32 v117, 0x7fc02000
	s_mov_b32 s23, exec_lo
	s_delay_alu instid0(VALU_DEP_2)
	v_cmpx_ne_u32_e32 0x7f, v119
	s_cbranch_execz .LBB342_169
; %bb.166:                              ;   in Loop: Header=BB342_16 Depth=1
	v_and_b32_e32 v7, 7, v35
	v_lshrrev_b32_e32 v36, 3, v119
	s_mov_b32 s24, exec_lo
	v_cmpx_gt_u32_e32 8, v119
; %bb.167:                              ;   in Loop: Header=BB342_16 Depth=1
	s_delay_alu instid0(VALU_DEP_3) | instskip(NEXT) | instid1(VALU_DEP_1)
	v_clz_i32_u32_e32 v36, v7
	v_min_u32_e32 v36, 32, v36
	s_delay_alu instid0(VALU_DEP_1) | instskip(SKIP_1) | instid1(VALU_DEP_2)
	v_subrev_nc_u32_e32 v117, 28, v36
	v_sub_nc_u32_e32 v36, 29, v36
	v_lshlrev_b64 v[128:129], v117, v[7:8]
	s_delay_alu instid0(VALU_DEP_1)
	v_and_b32_e32 v7, 7, v128
; %bb.168:                              ;   in Loop: Header=BB342_16 Depth=1
	s_or_b32 exec_lo, exec_lo, s24
	v_lshlrev_b32_e32 v35, 8, v35
	v_lshl_add_u32 v36, v36, 10, 0x2000
	s_delay_alu instid0(VALU_DEP_1) | instskip(NEXT) | instid1(VALU_DEP_1)
	v_and_or_b32 v35, 0x8000, v35, v36
	v_lshl_or_b32 v7, v7, 7, v35
	s_delay_alu instid0(VALU_DEP_1)
	v_cvt_f32_f16_e32 v117, v7
.LBB342_169:                            ;   in Loop: Header=BB342_16 Depth=1
	s_or_b32 exec_lo, exec_lo, s23
.LBB342_170:                            ;   in Loop: Header=BB342_16 Depth=1
	s_delay_alu instid0(SALU_CYCLE_1)
	s_or_b32 exec_lo, exec_lo, s22
.LBB342_171:                            ;   in Loop: Header=BB342_16 Depth=1
	s_delay_alu instid0(SALU_CYCLE_1) | instskip(NEXT) | instid1(SALU_CYCLE_1)
	s_or_b32 exec_lo, exec_lo, s21
	s_mov_b32 s21, exec_lo
	v_cmpx_lt_u32_e32 0xffffff, v33
	s_cbranch_execz .LBB342_179
; %bb.172:                              ;   in Loop: Header=BB342_16 Depth=1
	v_lshrrev_b32_e32 v35, 24, v33
	v_bfrev_b32_e32 v118, 1
	s_mov_b32 s22, exec_lo
	s_delay_alu instid0(VALU_DEP_2)
	v_cmpx_ne_u32_e32 0x80, v35
	s_cbranch_execz .LBB342_178
; %bb.173:                              ;   in Loop: Header=BB342_16 Depth=1
	v_and_b32_e32 v119, 0x7f, v35
	v_mov_b32_e32 v118, 0x7fc02000
	s_mov_b32 s23, exec_lo
	s_delay_alu instid0(VALU_DEP_2)
	v_cmpx_ne_u32_e32 0x7f, v119
	s_cbranch_execz .LBB342_177
; %bb.174:                              ;   in Loop: Header=BB342_16 Depth=1
	v_and_b32_e32 v7, 7, v35
	v_lshrrev_b32_e32 v36, 3, v119
	s_mov_b32 s24, exec_lo
	v_cmpx_gt_u32_e32 8, v119
; %bb.175:                              ;   in Loop: Header=BB342_16 Depth=1
	s_delay_alu instid0(VALU_DEP_3) | instskip(NEXT) | instid1(VALU_DEP_1)
	v_clz_i32_u32_e32 v36, v7
	v_min_u32_e32 v36, 32, v36
	s_delay_alu instid0(VALU_DEP_1) | instskip(SKIP_1) | instid1(VALU_DEP_2)
	v_subrev_nc_u32_e32 v118, 28, v36
	v_sub_nc_u32_e32 v36, 29, v36
	v_lshlrev_b64 v[118:119], v118, v[7:8]
	s_delay_alu instid0(VALU_DEP_1)
	v_and_b32_e32 v7, 7, v118
; %bb.176:                              ;   in Loop: Header=BB342_16 Depth=1
	s_or_b32 exec_lo, exec_lo, s24
	v_lshlrev_b32_e32 v35, 8, v35
	v_lshl_add_u32 v36, v36, 10, 0x2000
	s_delay_alu instid0(VALU_DEP_1) | instskip(NEXT) | instid1(VALU_DEP_1)
	v_and_or_b32 v35, 0x8000, v35, v36
	v_lshl_or_b32 v7, v7, 7, v35
	s_delay_alu instid0(VALU_DEP_1)
	v_cvt_f32_f16_e32 v118, v7
.LBB342_177:                            ;   in Loop: Header=BB342_16 Depth=1
	s_or_b32 exec_lo, exec_lo, s23
.LBB342_178:                            ;   in Loop: Header=BB342_16 Depth=1
	s_delay_alu instid0(SALU_CYCLE_1)
	s_or_b32 exec_lo, exec_lo, s22
.LBB342_179:                            ;   in Loop: Header=BB342_16 Depth=1
	s_delay_alu instid0(SALU_CYCLE_1) | instskip(SKIP_4) | instid1(VALU_DEP_3)
	s_or_b32 exec_lo, exec_lo, s21
	v_dual_mov_b32 v128, 0 :: v_dual_and_b32 v35, 0xff, v34
	v_mov_b32_e32 v7, v34
	v_mov_b32_e32 v119, 0
	s_mov_b32 s21, exec_lo
	v_cmpx_ne_u16_e32 0, v35
	s_cbranch_execz .LBB342_187
; %bb.180:                              ;   in Loop: Header=BB342_16 Depth=1
	v_bfrev_b32_e32 v119, 1
	s_mov_b32 s22, exec_lo
	v_cmpx_ne_u16_e32 0x80, v35
	s_cbranch_execz .LBB342_186
; %bb.181:                              ;   in Loop: Header=BB342_16 Depth=1
	v_and_b32_e32 v35, 0x7f, v34
	v_mov_b32_e32 v119, 0x7fc02000
	s_mov_b32 s23, exec_lo
	s_delay_alu instid0(VALU_DEP_2)
	v_cmpx_ne_u32_e32 0x7f, v35
	s_cbranch_execz .LBB342_185
; %bb.182:                              ;   in Loop: Header=BB342_16 Depth=1
	v_lshrrev_b32_e32 v119, 3, v35
	v_cmp_gt_u32_e64 s1, 8, v35
	v_dual_mov_b32 v36, v8 :: v_dual_mov_b32 v35, v7
	s_delay_alu instid0(VALU_DEP_2)
	s_and_saveexec_b32 s24, s1
; %bb.183:                              ;   in Loop: Header=BB342_16 Depth=1
	v_and_b32_e32 v35, 7, v34
	s_delay_alu instid0(VALU_DEP_1) | instskip(NEXT) | instid1(VALU_DEP_1)
	v_clz_i32_u32_e32 v35, v35
	v_min_u32_e32 v119, 32, v35
	s_delay_alu instid0(VALU_DEP_1) | instskip(SKIP_1) | instid1(VALU_DEP_2)
	v_subrev_nc_u32_e32 v35, 28, v119
	v_sub_nc_u32_e32 v119, 29, v119
	v_lshlrev_b64 v[35:36], v35, v[7:8]
; %bb.184:                              ;   in Loop: Header=BB342_16 Depth=1
	s_or_b32 exec_lo, exec_lo, s24
	v_lshlrev_b32_e32 v36, 8, v34
	s_delay_alu instid0(VALU_DEP_3) | instskip(NEXT) | instid1(VALU_DEP_3)
	v_lshl_add_u32 v119, v119, 10, 0x2000
	v_lshlrev_b32_e32 v35, 7, v35
	s_delay_alu instid0(VALU_DEP_2) | instskip(NEXT) | instid1(VALU_DEP_1)
	v_and_or_b32 v36, 0x8000, v36, v119
	v_and_or_b32 v35, 0x380, v35, v36
	s_delay_alu instid0(VALU_DEP_1)
	v_cvt_f32_f16_e32 v119, v35
.LBB342_185:                            ;   in Loop: Header=BB342_16 Depth=1
	s_or_b32 exec_lo, exec_lo, s23
.LBB342_186:                            ;   in Loop: Header=BB342_16 Depth=1
	s_delay_alu instid0(SALU_CYCLE_1)
	s_or_b32 exec_lo, exec_lo, s22
.LBB342_187:                            ;   in Loop: Header=BB342_16 Depth=1
	s_delay_alu instid0(SALU_CYCLE_1) | instskip(SKIP_2) | instid1(VALU_DEP_1)
	s_or_b32 exec_lo, exec_lo, s21
	v_lshrrev_b16 v7, 8, v7
	s_mov_b32 s21, exec_lo
	v_cmpx_ne_u16_e32 0, v7
	s_cbranch_execz .LBB342_195
; %bb.188:                              ;   in Loop: Header=BB342_16 Depth=1
	v_bfrev_b32_e32 v128, 1
	s_mov_b32 s22, exec_lo
	v_cmpx_ne_u16_e32 0x80, v7
	s_cbranch_execz .LBB342_194
; %bb.189:                              ;   in Loop: Header=BB342_16 Depth=1
	v_and_b32_e32 v35, 0xffff, v7
	v_mov_b32_e32 v128, 0x7fc02000
	s_mov_b32 s23, exec_lo
	s_delay_alu instid0(VALU_DEP_2) | instskip(NEXT) | instid1(VALU_DEP_1)
	v_and_b32_e32 v129, 0x7f, v35
	v_cmpx_ne_u32_e32 0x7f, v129
	s_cbranch_execz .LBB342_193
; %bb.190:                              ;   in Loop: Header=BB342_16 Depth=1
	v_and_b32_e32 v7, 7, v35
	v_lshrrev_b32_e32 v36, 3, v129
	s_mov_b32 s24, exec_lo
	v_cmpx_gt_u32_e32 8, v129
; %bb.191:                              ;   in Loop: Header=BB342_16 Depth=1
	s_delay_alu instid0(VALU_DEP_3) | instskip(NEXT) | instid1(VALU_DEP_1)
	v_clz_i32_u32_e32 v36, v7
	v_min_u32_e32 v36, 32, v36
	s_delay_alu instid0(VALU_DEP_1) | instskip(SKIP_1) | instid1(VALU_DEP_2)
	v_subrev_nc_u32_e32 v128, 28, v36
	v_sub_nc_u32_e32 v36, 29, v36
	v_lshlrev_b64 v[128:129], v128, v[7:8]
	s_delay_alu instid0(VALU_DEP_1)
	v_and_b32_e32 v7, 7, v128
; %bb.192:                              ;   in Loop: Header=BB342_16 Depth=1
	s_or_b32 exec_lo, exec_lo, s24
	v_lshlrev_b32_e32 v35, 8, v35
	v_lshl_add_u32 v36, v36, 10, 0x2000
	s_delay_alu instid0(VALU_DEP_1) | instskip(NEXT) | instid1(VALU_DEP_1)
	v_and_or_b32 v35, 0x8000, v35, v36
	v_lshl_or_b32 v7, v7, 7, v35
	s_delay_alu instid0(VALU_DEP_1)
	v_cvt_f32_f16_e64 v128, v7
.LBB342_193:                            ;   in Loop: Header=BB342_16 Depth=1
	s_or_b32 exec_lo, exec_lo, s23
.LBB342_194:                            ;   in Loop: Header=BB342_16 Depth=1
	s_delay_alu instid0(SALU_CYCLE_1)
	s_or_b32 exec_lo, exec_lo, s22
.LBB342_195:                            ;   in Loop: Header=BB342_16 Depth=1
	s_delay_alu instid0(SALU_CYCLE_1) | instskip(SKIP_3) | instid1(VALU_DEP_2)
	s_or_b32 exec_lo, exec_lo, s21
	v_lshrrev_b32_e32 v35, 16, v34
	v_mov_b32_e32 v129, 0
	s_mov_b32 s21, exec_lo
	v_dual_mov_b32 v130, 0 :: v_dual_and_b32 v7, 0xff, v35
	s_delay_alu instid0(VALU_DEP_1)
	v_cmpx_ne_u16_e32 0, v7
	s_cbranch_execz .LBB342_203
; %bb.196:                              ;   in Loop: Header=BB342_16 Depth=1
	v_bfrev_b32_e32 v130, 1
	s_mov_b32 s22, exec_lo
	v_cmpx_ne_u16_e32 0x80, v7
	s_cbranch_execz .LBB342_202
; %bb.197:                              ;   in Loop: Header=BB342_16 Depth=1
	v_bfe_u32 v131, v34, 16, 7
	v_mov_b32_e32 v130, 0x7fc02000
	s_mov_b32 s23, exec_lo
	s_delay_alu instid0(VALU_DEP_2)
	v_cmpx_ne_u32_e32 0x7f, v131
	s_cbranch_execz .LBB342_201
; %bb.198:                              ;   in Loop: Header=BB342_16 Depth=1
	v_and_b32_e32 v7, 7, v35
	v_lshrrev_b32_e32 v36, 3, v131
	s_mov_b32 s24, exec_lo
	v_cmpx_gt_u32_e32 8, v131
; %bb.199:                              ;   in Loop: Header=BB342_16 Depth=1
	s_delay_alu instid0(VALU_DEP_3) | instskip(NEXT) | instid1(VALU_DEP_1)
	v_clz_i32_u32_e32 v36, v7
	v_min_u32_e32 v36, 32, v36
	s_delay_alu instid0(VALU_DEP_1) | instskip(SKIP_1) | instid1(VALU_DEP_2)
	v_subrev_nc_u32_e32 v130, 28, v36
	v_sub_nc_u32_e32 v36, 29, v36
	v_lshlrev_b64 v[130:131], v130, v[7:8]
	s_delay_alu instid0(VALU_DEP_1)
	v_and_b32_e32 v7, 7, v130
; %bb.200:                              ;   in Loop: Header=BB342_16 Depth=1
	s_or_b32 exec_lo, exec_lo, s24
	v_lshlrev_b32_e32 v35, 8, v35
	v_lshl_add_u32 v36, v36, 10, 0x2000
	s_delay_alu instid0(VALU_DEP_1) | instskip(NEXT) | instid1(VALU_DEP_1)
	v_and_or_b32 v35, 0x8000, v35, v36
	v_lshl_or_b32 v7, v7, 7, v35
	s_delay_alu instid0(VALU_DEP_1)
	v_cvt_f32_f16_e64 v130, v7
.LBB342_201:                            ;   in Loop: Header=BB342_16 Depth=1
	s_or_b32 exec_lo, exec_lo, s23
.LBB342_202:                            ;   in Loop: Header=BB342_16 Depth=1
	s_delay_alu instid0(SALU_CYCLE_1)
	s_or_b32 exec_lo, exec_lo, s22
.LBB342_203:                            ;   in Loop: Header=BB342_16 Depth=1
	s_delay_alu instid0(SALU_CYCLE_1) | instskip(NEXT) | instid1(SALU_CYCLE_1)
	s_or_b32 exec_lo, exec_lo, s21
	s_mov_b32 s21, exec_lo
	v_cmpx_lt_u64_e64 s[8:9], v[33:34]
	s_cbranch_execz .LBB342_211
; %bb.204:                              ;   in Loop: Header=BB342_16 Depth=1
	v_lshrrev_b32_e32 v33, 24, v34
	v_bfrev_b32_e32 v129, 1
	s_mov_b32 s22, exec_lo
	s_delay_alu instid0(VALU_DEP_2)
	v_cmpx_ne_u32_e32 0x80, v33
	s_cbranch_execz .LBB342_210
; %bb.205:                              ;   in Loop: Header=BB342_16 Depth=1
	v_and_b32_e32 v35, 0x7f, v33
	v_mov_b32_e32 v129, 0x7fc02000
	s_mov_b32 s23, exec_lo
	s_delay_alu instid0(VALU_DEP_2)
	v_cmpx_ne_u32_e32 0x7f, v35
	s_cbranch_execz .LBB342_209
; %bb.206:                              ;   in Loop: Header=BB342_16 Depth=1
	v_and_b32_e32 v7, 7, v33
	v_lshrrev_b32_e32 v34, 3, v35
	s_mov_b32 s24, exec_lo
	v_cmpx_gt_u32_e32 8, v35
; %bb.207:                              ;   in Loop: Header=BB342_16 Depth=1
	s_delay_alu instid0(VALU_DEP_3) | instskip(NEXT) | instid1(VALU_DEP_1)
	v_clz_i32_u32_e32 v34, v7
	v_min_u32_e32 v34, 32, v34
	s_delay_alu instid0(VALU_DEP_1) | instskip(SKIP_1) | instid1(VALU_DEP_2)
	v_subrev_nc_u32_e32 v35, 28, v34
	v_sub_nc_u32_e32 v34, 29, v34
	v_lshlrev_b64 v[35:36], v35, v[7:8]
	s_delay_alu instid0(VALU_DEP_1)
	v_and_b32_e32 v7, 7, v35
; %bb.208:                              ;   in Loop: Header=BB342_16 Depth=1
	s_or_b32 exec_lo, exec_lo, s24
	v_lshlrev_b32_e32 v33, 8, v33
	v_lshl_add_u32 v34, v34, 10, 0x2000
	s_delay_alu instid0(VALU_DEP_1) | instskip(NEXT) | instid1(VALU_DEP_1)
	v_and_or_b32 v33, 0x8000, v33, v34
	v_lshl_or_b32 v7, v7, 7, v33
	s_delay_alu instid0(VALU_DEP_1)
	v_cvt_f32_f16_e64 v129, v7
.LBB342_209:                            ;   in Loop: Header=BB342_16 Depth=1
	s_or_b32 exec_lo, exec_lo, s23
.LBB342_210:                            ;   in Loop: Header=BB342_16 Depth=1
	s_delay_alu instid0(SALU_CYCLE_1)
	s_or_b32 exec_lo, exec_lo, s22
.LBB342_211:                            ;   in Loop: Header=BB342_16 Depth=1
	s_delay_alu instid0(SALU_CYCLE_1)
	s_or_b32 exec_lo, exec_lo, s21
	flat_load_b64 v[33:34], v[31:32] offset:520
	v_mov_b32_e32 v131, 0
	s_mov_b32 s21, exec_lo
	s_waitcnt vmcnt(0) lgkmcnt(0)
	v_dual_mov_b32 v132, 0 :: v_dual_and_b32 v7, 0xff, v33
	s_delay_alu instid0(VALU_DEP_1)
	v_cmpx_ne_u16_e32 0, v7
	s_cbranch_execz .LBB342_219
; %bb.212:                              ;   in Loop: Header=BB342_16 Depth=1
	v_bfrev_b32_e32 v131, 1
	s_mov_b32 s22, exec_lo
	v_cmpx_ne_u16_e32 0x80, v7
	s_cbranch_execz .LBB342_218
; %bb.213:                              ;   in Loop: Header=BB342_16 Depth=1
	v_and_b32_e32 v35, 0x7f, v33
	v_mov_b32_e32 v131, 0x7fc02000
	s_mov_b32 s23, exec_lo
	s_delay_alu instid0(VALU_DEP_2)
	v_cmpx_ne_u32_e32 0x7f, v35
	s_cbranch_execz .LBB342_217
; %bb.214:                              ;   in Loop: Header=BB342_16 Depth=1
	v_lshrrev_b32_e32 v7, 3, v35
	v_cmp_gt_u32_e64 s1, 8, v35
	v_dual_mov_b32 v36, v34 :: v_dual_mov_b32 v35, v33
	s_delay_alu instid0(VALU_DEP_2)
	s_and_saveexec_b32 s24, s1
; %bb.215:                              ;   in Loop: Header=BB342_16 Depth=1
	v_and_b32_e32 v7, 7, v33
	s_delay_alu instid0(VALU_DEP_1) | instskip(NEXT) | instid1(VALU_DEP_1)
	v_clz_i32_u32_e32 v7, v7
	v_min_u32_e32 v7, 32, v7
	s_delay_alu instid0(VALU_DEP_1) | instskip(SKIP_1) | instid1(VALU_DEP_2)
	v_subrev_nc_u32_e32 v35, 28, v7
	v_sub_nc_u32_e32 v7, 29, v7
	v_lshlrev_b64 v[35:36], v35, v[33:34]
; %bb.216:                              ;   in Loop: Header=BB342_16 Depth=1
	s_or_b32 exec_lo, exec_lo, s24
	v_lshlrev_b32_e32 v36, 8, v33
	s_delay_alu instid0(VALU_DEP_3) | instskip(NEXT) | instid1(VALU_DEP_3)
	v_lshl_add_u32 v7, v7, 10, 0x2000
	v_lshlrev_b32_e32 v35, 7, v35
	s_delay_alu instid0(VALU_DEP_2) | instskip(NEXT) | instid1(VALU_DEP_1)
	v_and_or_b32 v7, 0x8000, v36, v7
	v_and_or_b32 v7, 0x380, v35, v7
	s_delay_alu instid0(VALU_DEP_1)
	v_cvt_f32_f16_e64 v131, v7
.LBB342_217:                            ;   in Loop: Header=BB342_16 Depth=1
	s_or_b32 exec_lo, exec_lo, s23
.LBB342_218:                            ;   in Loop: Header=BB342_16 Depth=1
	s_delay_alu instid0(SALU_CYCLE_1)
	s_or_b32 exec_lo, exec_lo, s22
.LBB342_219:                            ;   in Loop: Header=BB342_16 Depth=1
	s_delay_alu instid0(SALU_CYCLE_1) | instskip(SKIP_2) | instid1(VALU_DEP_1)
	s_or_b32 exec_lo, exec_lo, s21
	v_lshrrev_b16 v7, 8, v33
	s_mov_b32 s21, exec_lo
	v_cmpx_ne_u16_e32 0, v7
	s_cbranch_execz .LBB342_227
; %bb.220:                              ;   in Loop: Header=BB342_16 Depth=1
	v_bfrev_b32_e32 v132, 1
	s_mov_b32 s22, exec_lo
	v_cmpx_ne_u16_e32 0x80, v7
	s_cbranch_execz .LBB342_226
; %bb.221:                              ;   in Loop: Header=BB342_16 Depth=1
	v_and_b32_e32 v35, 0xffff, v7
	v_mov_b32_e32 v132, 0x7fc02000
	s_mov_b32 s23, exec_lo
	s_delay_alu instid0(VALU_DEP_2) | instskip(NEXT) | instid1(VALU_DEP_1)
	v_and_b32_e32 v133, 0x7f, v35
	v_cmpx_ne_u32_e32 0x7f, v133
	s_cbranch_execz .LBB342_225
; %bb.222:                              ;   in Loop: Header=BB342_16 Depth=1
	v_and_b32_e32 v7, 7, v35
	v_lshrrev_b32_e32 v36, 3, v133
	s_mov_b32 s24, exec_lo
	v_cmpx_gt_u32_e32 8, v133
; %bb.223:                              ;   in Loop: Header=BB342_16 Depth=1
	s_delay_alu instid0(VALU_DEP_3) | instskip(NEXT) | instid1(VALU_DEP_1)
	v_clz_i32_u32_e32 v36, v7
	v_min_u32_e32 v36, 32, v36
	s_delay_alu instid0(VALU_DEP_1) | instskip(SKIP_1) | instid1(VALU_DEP_2)
	v_subrev_nc_u32_e32 v132, 28, v36
	v_sub_nc_u32_e32 v36, 29, v36
	v_lshlrev_b64 v[132:133], v132, v[7:8]
	s_delay_alu instid0(VALU_DEP_1)
	v_and_b32_e32 v7, 7, v132
; %bb.224:                              ;   in Loop: Header=BB342_16 Depth=1
	s_or_b32 exec_lo, exec_lo, s24
	v_lshlrev_b32_e32 v35, 8, v35
	v_lshl_add_u32 v36, v36, 10, 0x2000
	s_delay_alu instid0(VALU_DEP_1) | instskip(NEXT) | instid1(VALU_DEP_1)
	v_and_or_b32 v35, 0x8000, v35, v36
	v_lshl_or_b32 v7, v7, 7, v35
	s_delay_alu instid0(VALU_DEP_1)
	v_cvt_f32_f16_e64 v132, v7
.LBB342_225:                            ;   in Loop: Header=BB342_16 Depth=1
	s_or_b32 exec_lo, exec_lo, s23
.LBB342_226:                            ;   in Loop: Header=BB342_16 Depth=1
	s_delay_alu instid0(SALU_CYCLE_1)
	s_or_b32 exec_lo, exec_lo, s22
.LBB342_227:                            ;   in Loop: Header=BB342_16 Depth=1
	s_delay_alu instid0(SALU_CYCLE_1) | instskip(SKIP_3) | instid1(VALU_DEP_2)
	s_or_b32 exec_lo, exec_lo, s21
	v_lshrrev_b32_e32 v35, 16, v33
	v_mov_b32_e32 v133, 0
	s_mov_b32 s21, exec_lo
	v_dual_mov_b32 v134, 0 :: v_dual_and_b32 v7, 0xff, v35
	s_delay_alu instid0(VALU_DEP_1)
	v_cmpx_ne_u16_e32 0, v7
	s_cbranch_execz .LBB342_235
; %bb.228:                              ;   in Loop: Header=BB342_16 Depth=1
	v_bfrev_b32_e32 v133, 1
	s_mov_b32 s22, exec_lo
	v_cmpx_ne_u16_e32 0x80, v7
	s_cbranch_execz .LBB342_234
; %bb.229:                              ;   in Loop: Header=BB342_16 Depth=1
	v_bfe_u32 v135, v33, 16, 7
	v_mov_b32_e32 v133, 0x7fc02000
	s_mov_b32 s23, exec_lo
	s_delay_alu instid0(VALU_DEP_2)
	v_cmpx_ne_u32_e32 0x7f, v135
	s_cbranch_execz .LBB342_233
; %bb.230:                              ;   in Loop: Header=BB342_16 Depth=1
	v_and_b32_e32 v7, 7, v35
	v_lshrrev_b32_e32 v36, 3, v135
	s_mov_b32 s24, exec_lo
	v_cmpx_gt_u32_e32 8, v135
; %bb.231:                              ;   in Loop: Header=BB342_16 Depth=1
	s_delay_alu instid0(VALU_DEP_3) | instskip(NEXT) | instid1(VALU_DEP_1)
	v_clz_i32_u32_e32 v36, v7
	v_min_u32_e32 v36, 32, v36
	s_delay_alu instid0(VALU_DEP_1) | instskip(SKIP_1) | instid1(VALU_DEP_2)
	v_subrev_nc_u32_e32 v133, 28, v36
	v_sub_nc_u32_e32 v36, 29, v36
	v_lshlrev_b64 v[144:145], v133, v[7:8]
	s_delay_alu instid0(VALU_DEP_1)
	v_and_b32_e32 v7, 7, v144
; %bb.232:                              ;   in Loop: Header=BB342_16 Depth=1
	s_or_b32 exec_lo, exec_lo, s24
	v_lshlrev_b32_e32 v35, 8, v35
	v_lshl_add_u32 v36, v36, 10, 0x2000
	s_delay_alu instid0(VALU_DEP_1) | instskip(NEXT) | instid1(VALU_DEP_1)
	v_and_or_b32 v35, 0x8000, v35, v36
	v_lshl_or_b32 v7, v7, 7, v35
	s_delay_alu instid0(VALU_DEP_1)
	v_cvt_f32_f16_e64 v133, v7
.LBB342_233:                            ;   in Loop: Header=BB342_16 Depth=1
	s_or_b32 exec_lo, exec_lo, s23
.LBB342_234:                            ;   in Loop: Header=BB342_16 Depth=1
	s_delay_alu instid0(SALU_CYCLE_1)
	s_or_b32 exec_lo, exec_lo, s22
.LBB342_235:                            ;   in Loop: Header=BB342_16 Depth=1
	s_delay_alu instid0(SALU_CYCLE_1) | instskip(NEXT) | instid1(SALU_CYCLE_1)
	s_or_b32 exec_lo, exec_lo, s21
	s_mov_b32 s21, exec_lo
	v_cmpx_lt_u32_e32 0xffffff, v33
	s_cbranch_execz .LBB342_243
; %bb.236:                              ;   in Loop: Header=BB342_16 Depth=1
	v_lshrrev_b32_e32 v35, 24, v33
	v_bfrev_b32_e32 v134, 1
	s_mov_b32 s22, exec_lo
	s_delay_alu instid0(VALU_DEP_2)
	v_cmpx_ne_u32_e32 0x80, v35
	s_cbranch_execz .LBB342_242
; %bb.237:                              ;   in Loop: Header=BB342_16 Depth=1
	v_and_b32_e32 v135, 0x7f, v35
	v_mov_b32_e32 v134, 0x7fc02000
	s_mov_b32 s23, exec_lo
	s_delay_alu instid0(VALU_DEP_2)
	v_cmpx_ne_u32_e32 0x7f, v135
	s_cbranch_execz .LBB342_241
; %bb.238:                              ;   in Loop: Header=BB342_16 Depth=1
	v_and_b32_e32 v7, 7, v35
	v_lshrrev_b32_e32 v36, 3, v135
	s_mov_b32 s24, exec_lo
	v_cmpx_gt_u32_e32 8, v135
; %bb.239:                              ;   in Loop: Header=BB342_16 Depth=1
	s_delay_alu instid0(VALU_DEP_3) | instskip(NEXT) | instid1(VALU_DEP_1)
	v_clz_i32_u32_e32 v36, v7
	v_min_u32_e32 v36, 32, v36
	s_delay_alu instid0(VALU_DEP_1) | instskip(SKIP_1) | instid1(VALU_DEP_2)
	v_subrev_nc_u32_e32 v134, 28, v36
	v_sub_nc_u32_e32 v36, 29, v36
	v_lshlrev_b64 v[134:135], v134, v[7:8]
	s_delay_alu instid0(VALU_DEP_1)
	v_and_b32_e32 v7, 7, v134
; %bb.240:                              ;   in Loop: Header=BB342_16 Depth=1
	s_or_b32 exec_lo, exec_lo, s24
	v_lshlrev_b32_e32 v35, 8, v35
	v_lshl_add_u32 v36, v36, 10, 0x2000
	s_delay_alu instid0(VALU_DEP_1) | instskip(NEXT) | instid1(VALU_DEP_1)
	v_and_or_b32 v35, 0x8000, v35, v36
	v_lshl_or_b32 v7, v7, 7, v35
	s_delay_alu instid0(VALU_DEP_1)
	v_cvt_f32_f16_e64 v134, v7
.LBB342_241:                            ;   in Loop: Header=BB342_16 Depth=1
	s_or_b32 exec_lo, exec_lo, s23
.LBB342_242:                            ;   in Loop: Header=BB342_16 Depth=1
	s_delay_alu instid0(SALU_CYCLE_1)
	s_or_b32 exec_lo, exec_lo, s22
.LBB342_243:                            ;   in Loop: Header=BB342_16 Depth=1
	s_delay_alu instid0(SALU_CYCLE_1) | instskip(SKIP_4) | instid1(VALU_DEP_3)
	s_or_b32 exec_lo, exec_lo, s21
	v_dual_mov_b32 v144, 0 :: v_dual_and_b32 v35, 0xff, v34
	v_mov_b32_e32 v7, v34
	v_mov_b32_e32 v135, 0
	s_mov_b32 s21, exec_lo
	v_cmpx_ne_u16_e32 0, v35
	s_cbranch_execz .LBB342_251
; %bb.244:                              ;   in Loop: Header=BB342_16 Depth=1
	v_bfrev_b32_e32 v135, 1
	s_mov_b32 s22, exec_lo
	v_cmpx_ne_u16_e32 0x80, v35
	s_cbranch_execz .LBB342_250
; %bb.245:                              ;   in Loop: Header=BB342_16 Depth=1
	v_and_b32_e32 v35, 0x7f, v34
	v_mov_b32_e32 v135, 0x7fc02000
	s_mov_b32 s23, exec_lo
	s_delay_alu instid0(VALU_DEP_2)
	v_cmpx_ne_u32_e32 0x7f, v35
	s_cbranch_execz .LBB342_249
; %bb.246:                              ;   in Loop: Header=BB342_16 Depth=1
	v_lshrrev_b32_e32 v135, 3, v35
	v_cmp_gt_u32_e64 s1, 8, v35
	v_dual_mov_b32 v36, v8 :: v_dual_mov_b32 v35, v7
	s_delay_alu instid0(VALU_DEP_2)
	s_and_saveexec_b32 s24, s1
; %bb.247:                              ;   in Loop: Header=BB342_16 Depth=1
	v_and_b32_e32 v35, 7, v34
	s_delay_alu instid0(VALU_DEP_1) | instskip(NEXT) | instid1(VALU_DEP_1)
	v_clz_i32_u32_e32 v35, v35
	v_min_u32_e32 v135, 32, v35
	s_delay_alu instid0(VALU_DEP_1) | instskip(SKIP_1) | instid1(VALU_DEP_2)
	v_subrev_nc_u32_e32 v35, 28, v135
	v_sub_nc_u32_e32 v135, 29, v135
	v_lshlrev_b64 v[35:36], v35, v[7:8]
; %bb.248:                              ;   in Loop: Header=BB342_16 Depth=1
	s_or_b32 exec_lo, exec_lo, s24
	v_lshlrev_b32_e32 v36, 8, v34
	s_delay_alu instid0(VALU_DEP_3) | instskip(NEXT) | instid1(VALU_DEP_3)
	v_lshl_add_u32 v135, v135, 10, 0x2000
	v_lshlrev_b32_e32 v35, 7, v35
	s_delay_alu instid0(VALU_DEP_2) | instskip(NEXT) | instid1(VALU_DEP_1)
	v_and_or_b32 v36, 0x8000, v36, v135
	v_and_or_b32 v35, 0x380, v35, v36
	s_delay_alu instid0(VALU_DEP_1)
	v_cvt_f32_f16_e64 v135, v35
.LBB342_249:                            ;   in Loop: Header=BB342_16 Depth=1
	s_or_b32 exec_lo, exec_lo, s23
.LBB342_250:                            ;   in Loop: Header=BB342_16 Depth=1
	s_delay_alu instid0(SALU_CYCLE_1)
	s_or_b32 exec_lo, exec_lo, s22
.LBB342_251:                            ;   in Loop: Header=BB342_16 Depth=1
	s_delay_alu instid0(SALU_CYCLE_1) | instskip(SKIP_2) | instid1(VALU_DEP_1)
	s_or_b32 exec_lo, exec_lo, s21
	v_lshrrev_b16 v7, 8, v7
	s_mov_b32 s21, exec_lo
	v_cmpx_ne_u16_e32 0, v7
	s_cbranch_execz .LBB342_259
; %bb.252:                              ;   in Loop: Header=BB342_16 Depth=1
	v_bfrev_b32_e32 v144, 1
	s_mov_b32 s22, exec_lo
	v_cmpx_ne_u16_e32 0x80, v7
	s_cbranch_execz .LBB342_258
; %bb.253:                              ;   in Loop: Header=BB342_16 Depth=1
	v_and_b32_e32 v35, 0xffff, v7
	v_mov_b32_e32 v144, 0x7fc02000
	s_mov_b32 s23, exec_lo
	s_delay_alu instid0(VALU_DEP_2) | instskip(NEXT) | instid1(VALU_DEP_1)
	v_and_b32_e32 v145, 0x7f, v35
	v_cmpx_ne_u32_e32 0x7f, v145
	s_cbranch_execz .LBB342_257
; %bb.254:                              ;   in Loop: Header=BB342_16 Depth=1
	v_and_b32_e32 v7, 7, v35
	v_lshrrev_b32_e32 v36, 3, v145
	s_mov_b32 s24, exec_lo
	v_cmpx_gt_u32_e32 8, v145
; %bb.255:                              ;   in Loop: Header=BB342_16 Depth=1
	s_delay_alu instid0(VALU_DEP_3) | instskip(NEXT) | instid1(VALU_DEP_1)
	v_clz_i32_u32_e32 v36, v7
	v_min_u32_e32 v36, 32, v36
	s_delay_alu instid0(VALU_DEP_1) | instskip(SKIP_1) | instid1(VALU_DEP_2)
	v_subrev_nc_u32_e32 v144, 28, v36
	v_sub_nc_u32_e32 v36, 29, v36
	v_lshlrev_b64 v[144:145], v144, v[7:8]
	s_delay_alu instid0(VALU_DEP_1)
	v_and_b32_e32 v7, 7, v144
; %bb.256:                              ;   in Loop: Header=BB342_16 Depth=1
	s_or_b32 exec_lo, exec_lo, s24
	v_lshlrev_b32_e32 v35, 8, v35
	v_lshl_add_u32 v36, v36, 10, 0x2000
	s_delay_alu instid0(VALU_DEP_1) | instskip(NEXT) | instid1(VALU_DEP_1)
	v_and_or_b32 v35, 0x8000, v35, v36
	v_lshl_or_b32 v7, v7, 7, v35
	s_delay_alu instid0(VALU_DEP_1)
	v_cvt_f32_f16_e64 v144, v7
.LBB342_257:                            ;   in Loop: Header=BB342_16 Depth=1
	s_or_b32 exec_lo, exec_lo, s23
.LBB342_258:                            ;   in Loop: Header=BB342_16 Depth=1
	s_delay_alu instid0(SALU_CYCLE_1)
	s_or_b32 exec_lo, exec_lo, s22
.LBB342_259:                            ;   in Loop: Header=BB342_16 Depth=1
	s_delay_alu instid0(SALU_CYCLE_1) | instskip(SKIP_3) | instid1(VALU_DEP_2)
	s_or_b32 exec_lo, exec_lo, s21
	v_lshrrev_b32_e32 v35, 16, v34
	v_mov_b32_e32 v145, 0
	s_mov_b32 s21, exec_lo
	v_dual_mov_b32 v146, 0 :: v_dual_and_b32 v7, 0xff, v35
	s_delay_alu instid0(VALU_DEP_1)
	v_cmpx_ne_u16_e32 0, v7
	s_cbranch_execz .LBB342_267
; %bb.260:                              ;   in Loop: Header=BB342_16 Depth=1
	v_bfrev_b32_e32 v146, 1
	s_mov_b32 s22, exec_lo
	v_cmpx_ne_u16_e32 0x80, v7
	s_cbranch_execz .LBB342_266
; %bb.261:                              ;   in Loop: Header=BB342_16 Depth=1
	v_bfe_u32 v147, v34, 16, 7
	v_mov_b32_e32 v146, 0x7fc02000
	s_mov_b32 s23, exec_lo
	s_delay_alu instid0(VALU_DEP_2)
	v_cmpx_ne_u32_e32 0x7f, v147
	s_cbranch_execz .LBB342_265
; %bb.262:                              ;   in Loop: Header=BB342_16 Depth=1
	v_and_b32_e32 v7, 7, v35
	v_lshrrev_b32_e32 v36, 3, v147
	s_mov_b32 s24, exec_lo
	v_cmpx_gt_u32_e32 8, v147
; %bb.263:                              ;   in Loop: Header=BB342_16 Depth=1
	s_delay_alu instid0(VALU_DEP_3) | instskip(NEXT) | instid1(VALU_DEP_1)
	v_clz_i32_u32_e32 v36, v7
	v_min_u32_e32 v36, 32, v36
	s_delay_alu instid0(VALU_DEP_1) | instskip(SKIP_1) | instid1(VALU_DEP_2)
	v_subrev_nc_u32_e32 v146, 28, v36
	v_sub_nc_u32_e32 v36, 29, v36
	v_lshlrev_b64 v[146:147], v146, v[7:8]
	s_delay_alu instid0(VALU_DEP_1)
	v_and_b32_e32 v7, 7, v146
; %bb.264:                              ;   in Loop: Header=BB342_16 Depth=1
	s_or_b32 exec_lo, exec_lo, s24
	v_lshlrev_b32_e32 v35, 8, v35
	v_lshl_add_u32 v36, v36, 10, 0x2000
	s_delay_alu instid0(VALU_DEP_1) | instskip(NEXT) | instid1(VALU_DEP_1)
	v_and_or_b32 v35, 0x8000, v35, v36
	v_lshl_or_b32 v7, v7, 7, v35
	s_delay_alu instid0(VALU_DEP_1)
	v_cvt_f32_f16_e64 v146, v7
.LBB342_265:                            ;   in Loop: Header=BB342_16 Depth=1
	s_or_b32 exec_lo, exec_lo, s23
.LBB342_266:                            ;   in Loop: Header=BB342_16 Depth=1
	s_delay_alu instid0(SALU_CYCLE_1)
	s_or_b32 exec_lo, exec_lo, s22
.LBB342_267:                            ;   in Loop: Header=BB342_16 Depth=1
	s_delay_alu instid0(SALU_CYCLE_1) | instskip(NEXT) | instid1(SALU_CYCLE_1)
	s_or_b32 exec_lo, exec_lo, s21
	s_mov_b32 s21, exec_lo
	v_cmpx_lt_u64_e64 s[8:9], v[33:34]
	s_cbranch_execz .LBB342_275
; %bb.268:                              ;   in Loop: Header=BB342_16 Depth=1
	v_lshrrev_b32_e32 v33, 24, v34
	v_bfrev_b32_e32 v145, 1
	s_mov_b32 s22, exec_lo
	s_delay_alu instid0(VALU_DEP_2)
	v_cmpx_ne_u32_e32 0x80, v33
	s_cbranch_execz .LBB342_274
; %bb.269:                              ;   in Loop: Header=BB342_16 Depth=1
	v_and_b32_e32 v35, 0x7f, v33
	v_mov_b32_e32 v145, 0x7fc02000
	s_mov_b32 s23, exec_lo
	s_delay_alu instid0(VALU_DEP_2)
	v_cmpx_ne_u32_e32 0x7f, v35
	s_cbranch_execz .LBB342_273
; %bb.270:                              ;   in Loop: Header=BB342_16 Depth=1
	v_and_b32_e32 v7, 7, v33
	v_lshrrev_b32_e32 v34, 3, v35
	s_mov_b32 s24, exec_lo
	v_cmpx_gt_u32_e32 8, v35
; %bb.271:                              ;   in Loop: Header=BB342_16 Depth=1
	s_delay_alu instid0(VALU_DEP_3) | instskip(NEXT) | instid1(VALU_DEP_1)
	v_clz_i32_u32_e32 v34, v7
	v_min_u32_e32 v34, 32, v34
	s_delay_alu instid0(VALU_DEP_1) | instskip(SKIP_1) | instid1(VALU_DEP_2)
	v_subrev_nc_u32_e32 v35, 28, v34
	v_sub_nc_u32_e32 v34, 29, v34
	v_lshlrev_b64 v[35:36], v35, v[7:8]
	s_delay_alu instid0(VALU_DEP_1)
	v_and_b32_e32 v7, 7, v35
; %bb.272:                              ;   in Loop: Header=BB342_16 Depth=1
	s_or_b32 exec_lo, exec_lo, s24
	v_lshlrev_b32_e32 v33, 8, v33
	v_lshl_add_u32 v34, v34, 10, 0x2000
	s_delay_alu instid0(VALU_DEP_1) | instskip(NEXT) | instid1(VALU_DEP_1)
	v_and_or_b32 v33, 0x8000, v33, v34
	v_lshl_or_b32 v7, v7, 7, v33
	s_delay_alu instid0(VALU_DEP_1)
	v_cvt_f32_f16_e64 v145, v7
.LBB342_273:                            ;   in Loop: Header=BB342_16 Depth=1
	s_or_b32 exec_lo, exec_lo, s23
.LBB342_274:                            ;   in Loop: Header=BB342_16 Depth=1
	s_delay_alu instid0(SALU_CYCLE_1)
	s_or_b32 exec_lo, exec_lo, s22
.LBB342_275:                            ;   in Loop: Header=BB342_16 Depth=1
	s_delay_alu instid0(SALU_CYCLE_1)
	s_or_b32 exec_lo, exec_lo, s21
	flat_load_b64 v[33:34], v[31:32] offset:1024
	v_mov_b32_e32 v147, 0
	s_mov_b32 s21, exec_lo
	s_waitcnt vmcnt(0) lgkmcnt(0)
	v_dual_mov_b32 v148, 0 :: v_dual_and_b32 v7, 0xff, v33
	s_delay_alu instid0(VALU_DEP_1)
	v_cmpx_ne_u16_e32 0, v7
	s_cbranch_execz .LBB342_283
; %bb.276:                              ;   in Loop: Header=BB342_16 Depth=1
	v_bfrev_b32_e32 v147, 1
	s_mov_b32 s22, exec_lo
	v_cmpx_ne_u16_e32 0x80, v7
	s_cbranch_execz .LBB342_282
; %bb.277:                              ;   in Loop: Header=BB342_16 Depth=1
	v_and_b32_e32 v35, 0x7f, v33
	v_mov_b32_e32 v147, 0x7fc02000
	s_mov_b32 s23, exec_lo
	s_delay_alu instid0(VALU_DEP_2)
	v_cmpx_ne_u32_e32 0x7f, v35
	s_cbranch_execz .LBB342_281
; %bb.278:                              ;   in Loop: Header=BB342_16 Depth=1
	v_lshrrev_b32_e32 v7, 3, v35
	v_cmp_gt_u32_e64 s1, 8, v35
	v_dual_mov_b32 v36, v34 :: v_dual_mov_b32 v35, v33
	s_delay_alu instid0(VALU_DEP_2)
	s_and_saveexec_b32 s24, s1
; %bb.279:                              ;   in Loop: Header=BB342_16 Depth=1
	v_and_b32_e32 v7, 7, v33
	s_delay_alu instid0(VALU_DEP_1) | instskip(NEXT) | instid1(VALU_DEP_1)
	v_clz_i32_u32_e32 v7, v7
	v_min_u32_e32 v7, 32, v7
	s_delay_alu instid0(VALU_DEP_1) | instskip(SKIP_1) | instid1(VALU_DEP_2)
	v_subrev_nc_u32_e32 v35, 28, v7
	v_sub_nc_u32_e32 v7, 29, v7
	v_lshlrev_b64 v[35:36], v35, v[33:34]
; %bb.280:                              ;   in Loop: Header=BB342_16 Depth=1
	s_or_b32 exec_lo, exec_lo, s24
	v_lshlrev_b32_e32 v36, 8, v33
	s_delay_alu instid0(VALU_DEP_3) | instskip(NEXT) | instid1(VALU_DEP_3)
	v_lshl_add_u32 v7, v7, 10, 0x2000
	v_lshlrev_b32_e32 v35, 7, v35
	s_delay_alu instid0(VALU_DEP_2) | instskip(NEXT) | instid1(VALU_DEP_1)
	v_and_or_b32 v7, 0x8000, v36, v7
	v_and_or_b32 v7, 0x380, v35, v7
	s_delay_alu instid0(VALU_DEP_1)
	v_cvt_f32_f16_e64 v147, v7
.LBB342_281:                            ;   in Loop: Header=BB342_16 Depth=1
	s_or_b32 exec_lo, exec_lo, s23
.LBB342_282:                            ;   in Loop: Header=BB342_16 Depth=1
	s_delay_alu instid0(SALU_CYCLE_1)
	s_or_b32 exec_lo, exec_lo, s22
.LBB342_283:                            ;   in Loop: Header=BB342_16 Depth=1
	s_delay_alu instid0(SALU_CYCLE_1) | instskip(SKIP_2) | instid1(VALU_DEP_1)
	s_or_b32 exec_lo, exec_lo, s21
	v_lshrrev_b16 v7, 8, v33
	s_mov_b32 s21, exec_lo
	v_cmpx_ne_u16_e32 0, v7
	s_cbranch_execz .LBB342_291
; %bb.284:                              ;   in Loop: Header=BB342_16 Depth=1
	v_bfrev_b32_e32 v148, 1
	s_mov_b32 s22, exec_lo
	v_cmpx_ne_u16_e32 0x80, v7
	s_cbranch_execz .LBB342_290
; %bb.285:                              ;   in Loop: Header=BB342_16 Depth=1
	v_and_b32_e32 v35, 0xffff, v7
	v_mov_b32_e32 v148, 0x7fc02000
	s_mov_b32 s23, exec_lo
	s_delay_alu instid0(VALU_DEP_2) | instskip(NEXT) | instid1(VALU_DEP_1)
	v_and_b32_e32 v149, 0x7f, v35
	v_cmpx_ne_u32_e32 0x7f, v149
	s_cbranch_execz .LBB342_289
; %bb.286:                              ;   in Loop: Header=BB342_16 Depth=1
	v_and_b32_e32 v7, 7, v35
	v_lshrrev_b32_e32 v36, 3, v149
	s_mov_b32 s24, exec_lo
	v_cmpx_gt_u32_e32 8, v149
; %bb.287:                              ;   in Loop: Header=BB342_16 Depth=1
	s_delay_alu instid0(VALU_DEP_3) | instskip(NEXT) | instid1(VALU_DEP_1)
	v_clz_i32_u32_e32 v36, v7
	v_min_u32_e32 v36, 32, v36
	s_delay_alu instid0(VALU_DEP_1) | instskip(SKIP_1) | instid1(VALU_DEP_2)
	v_subrev_nc_u32_e32 v148, 28, v36
	v_sub_nc_u32_e32 v36, 29, v36
	v_lshlrev_b64 v[148:149], v148, v[7:8]
	s_delay_alu instid0(VALU_DEP_1)
	v_and_b32_e32 v7, 7, v148
; %bb.288:                              ;   in Loop: Header=BB342_16 Depth=1
	s_or_b32 exec_lo, exec_lo, s24
	v_lshlrev_b32_e32 v35, 8, v35
	v_lshl_add_u32 v36, v36, 10, 0x2000
	s_delay_alu instid0(VALU_DEP_1) | instskip(NEXT) | instid1(VALU_DEP_1)
	v_and_or_b32 v35, 0x8000, v35, v36
	v_lshl_or_b32 v7, v7, 7, v35
	s_delay_alu instid0(VALU_DEP_1)
	v_cvt_f32_f16_e64 v148, v7
.LBB342_289:                            ;   in Loop: Header=BB342_16 Depth=1
	s_or_b32 exec_lo, exec_lo, s23
.LBB342_290:                            ;   in Loop: Header=BB342_16 Depth=1
	s_delay_alu instid0(SALU_CYCLE_1)
	s_or_b32 exec_lo, exec_lo, s22
.LBB342_291:                            ;   in Loop: Header=BB342_16 Depth=1
	s_delay_alu instid0(SALU_CYCLE_1) | instskip(SKIP_3) | instid1(VALU_DEP_2)
	s_or_b32 exec_lo, exec_lo, s21
	v_lshrrev_b32_e32 v35, 16, v33
	v_mov_b32_e32 v149, 0
	s_mov_b32 s21, exec_lo
	v_dual_mov_b32 v150, 0 :: v_dual_and_b32 v7, 0xff, v35
	s_delay_alu instid0(VALU_DEP_1)
	v_cmpx_ne_u16_e32 0, v7
	s_cbranch_execz .LBB342_299
; %bb.292:                              ;   in Loop: Header=BB342_16 Depth=1
	v_bfrev_b32_e32 v149, 1
	s_mov_b32 s22, exec_lo
	v_cmpx_ne_u16_e32 0x80, v7
	s_cbranch_execz .LBB342_298
; %bb.293:                              ;   in Loop: Header=BB342_16 Depth=1
	v_bfe_u32 v151, v33, 16, 7
	v_mov_b32_e32 v149, 0x7fc02000
	s_mov_b32 s23, exec_lo
	s_delay_alu instid0(VALU_DEP_2)
	v_cmpx_ne_u32_e32 0x7f, v151
	s_cbranch_execz .LBB342_297
; %bb.294:                              ;   in Loop: Header=BB342_16 Depth=1
	v_and_b32_e32 v7, 7, v35
	v_lshrrev_b32_e32 v36, 3, v151
	s_mov_b32 s24, exec_lo
	v_cmpx_gt_u32_e32 8, v151
; %bb.295:                              ;   in Loop: Header=BB342_16 Depth=1
	s_delay_alu instid0(VALU_DEP_3) | instskip(NEXT) | instid1(VALU_DEP_1)
	v_clz_i32_u32_e32 v36, v7
	v_min_u32_e32 v36, 32, v36
	s_delay_alu instid0(VALU_DEP_1) | instskip(SKIP_1) | instid1(VALU_DEP_2)
	v_subrev_nc_u32_e32 v149, 28, v36
	v_sub_nc_u32_e32 v36, 29, v36
	v_lshlrev_b64 v[160:161], v149, v[7:8]
	s_delay_alu instid0(VALU_DEP_1)
	v_and_b32_e32 v7, 7, v160
; %bb.296:                              ;   in Loop: Header=BB342_16 Depth=1
	s_or_b32 exec_lo, exec_lo, s24
	v_lshlrev_b32_e32 v35, 8, v35
	v_lshl_add_u32 v36, v36, 10, 0x2000
	s_delay_alu instid0(VALU_DEP_1) | instskip(NEXT) | instid1(VALU_DEP_1)
	v_and_or_b32 v35, 0x8000, v35, v36
	v_lshl_or_b32 v7, v7, 7, v35
	s_delay_alu instid0(VALU_DEP_1)
	v_cvt_f32_f16_e64 v149, v7
.LBB342_297:                            ;   in Loop: Header=BB342_16 Depth=1
	s_or_b32 exec_lo, exec_lo, s23
.LBB342_298:                            ;   in Loop: Header=BB342_16 Depth=1
	s_delay_alu instid0(SALU_CYCLE_1)
	s_or_b32 exec_lo, exec_lo, s22
.LBB342_299:                            ;   in Loop: Header=BB342_16 Depth=1
	s_delay_alu instid0(SALU_CYCLE_1) | instskip(NEXT) | instid1(SALU_CYCLE_1)
	s_or_b32 exec_lo, exec_lo, s21
	s_mov_b32 s21, exec_lo
	v_cmpx_lt_u32_e32 0xffffff, v33
	s_cbranch_execz .LBB342_307
; %bb.300:                              ;   in Loop: Header=BB342_16 Depth=1
	v_lshrrev_b32_e32 v35, 24, v33
	v_bfrev_b32_e32 v150, 1
	s_mov_b32 s22, exec_lo
	s_delay_alu instid0(VALU_DEP_2)
	v_cmpx_ne_u32_e32 0x80, v35
	s_cbranch_execz .LBB342_306
; %bb.301:                              ;   in Loop: Header=BB342_16 Depth=1
	v_and_b32_e32 v151, 0x7f, v35
	v_mov_b32_e32 v150, 0x7fc02000
	s_mov_b32 s23, exec_lo
	s_delay_alu instid0(VALU_DEP_2)
	v_cmpx_ne_u32_e32 0x7f, v151
	s_cbranch_execz .LBB342_305
; %bb.302:                              ;   in Loop: Header=BB342_16 Depth=1
	v_and_b32_e32 v7, 7, v35
	v_lshrrev_b32_e32 v36, 3, v151
	s_mov_b32 s24, exec_lo
	v_cmpx_gt_u32_e32 8, v151
; %bb.303:                              ;   in Loop: Header=BB342_16 Depth=1
	s_delay_alu instid0(VALU_DEP_3) | instskip(NEXT) | instid1(VALU_DEP_1)
	v_clz_i32_u32_e32 v36, v7
	v_min_u32_e32 v36, 32, v36
	s_delay_alu instid0(VALU_DEP_1) | instskip(SKIP_1) | instid1(VALU_DEP_2)
	v_subrev_nc_u32_e32 v150, 28, v36
	v_sub_nc_u32_e32 v36, 29, v36
	v_lshlrev_b64 v[150:151], v150, v[7:8]
	s_delay_alu instid0(VALU_DEP_1)
	v_and_b32_e32 v7, 7, v150
; %bb.304:                              ;   in Loop: Header=BB342_16 Depth=1
	s_or_b32 exec_lo, exec_lo, s24
	v_lshlrev_b32_e32 v35, 8, v35
	v_lshl_add_u32 v36, v36, 10, 0x2000
	s_delay_alu instid0(VALU_DEP_1) | instskip(NEXT) | instid1(VALU_DEP_1)
	v_and_or_b32 v35, 0x8000, v35, v36
	v_lshl_or_b32 v7, v7, 7, v35
	s_delay_alu instid0(VALU_DEP_1)
	v_cvt_f32_f16_e64 v150, v7
.LBB342_305:                            ;   in Loop: Header=BB342_16 Depth=1
	s_or_b32 exec_lo, exec_lo, s23
.LBB342_306:                            ;   in Loop: Header=BB342_16 Depth=1
	s_delay_alu instid0(SALU_CYCLE_1)
	s_or_b32 exec_lo, exec_lo, s22
.LBB342_307:                            ;   in Loop: Header=BB342_16 Depth=1
	s_delay_alu instid0(SALU_CYCLE_1) | instskip(SKIP_4) | instid1(VALU_DEP_3)
	s_or_b32 exec_lo, exec_lo, s21
	v_dual_mov_b32 v160, 0 :: v_dual_and_b32 v35, 0xff, v34
	v_mov_b32_e32 v7, v34
	v_mov_b32_e32 v151, 0
	s_mov_b32 s21, exec_lo
	v_cmpx_ne_u16_e32 0, v35
	s_cbranch_execz .LBB342_315
; %bb.308:                              ;   in Loop: Header=BB342_16 Depth=1
	v_bfrev_b32_e32 v151, 1
	s_mov_b32 s22, exec_lo
	v_cmpx_ne_u16_e32 0x80, v35
	s_cbranch_execz .LBB342_314
; %bb.309:                              ;   in Loop: Header=BB342_16 Depth=1
	v_and_b32_e32 v35, 0x7f, v34
	v_mov_b32_e32 v151, 0x7fc02000
	s_mov_b32 s23, exec_lo
	s_delay_alu instid0(VALU_DEP_2)
	v_cmpx_ne_u32_e32 0x7f, v35
	s_cbranch_execz .LBB342_313
; %bb.310:                              ;   in Loop: Header=BB342_16 Depth=1
	v_lshrrev_b32_e32 v151, 3, v35
	v_cmp_gt_u32_e64 s1, 8, v35
	v_dual_mov_b32 v36, v8 :: v_dual_mov_b32 v35, v7
	s_delay_alu instid0(VALU_DEP_2)
	s_and_saveexec_b32 s24, s1
; %bb.311:                              ;   in Loop: Header=BB342_16 Depth=1
	v_and_b32_e32 v35, 7, v34
	s_delay_alu instid0(VALU_DEP_1) | instskip(NEXT) | instid1(VALU_DEP_1)
	v_clz_i32_u32_e32 v35, v35
	v_min_u32_e32 v151, 32, v35
	s_delay_alu instid0(VALU_DEP_1) | instskip(SKIP_1) | instid1(VALU_DEP_2)
	v_subrev_nc_u32_e32 v35, 28, v151
	v_sub_nc_u32_e32 v151, 29, v151
	v_lshlrev_b64 v[35:36], v35, v[7:8]
; %bb.312:                              ;   in Loop: Header=BB342_16 Depth=1
	s_or_b32 exec_lo, exec_lo, s24
	v_lshlrev_b32_e32 v36, 8, v34
	s_delay_alu instid0(VALU_DEP_3) | instskip(NEXT) | instid1(VALU_DEP_3)
	v_lshl_add_u32 v151, v151, 10, 0x2000
	v_lshlrev_b32_e32 v35, 7, v35
	s_delay_alu instid0(VALU_DEP_2) | instskip(NEXT) | instid1(VALU_DEP_1)
	v_and_or_b32 v36, 0x8000, v36, v151
	v_and_or_b32 v35, 0x380, v35, v36
	s_delay_alu instid0(VALU_DEP_1)
	v_cvt_f32_f16_e64 v151, v35
.LBB342_313:                            ;   in Loop: Header=BB342_16 Depth=1
	s_or_b32 exec_lo, exec_lo, s23
.LBB342_314:                            ;   in Loop: Header=BB342_16 Depth=1
	s_delay_alu instid0(SALU_CYCLE_1)
	s_or_b32 exec_lo, exec_lo, s22
.LBB342_315:                            ;   in Loop: Header=BB342_16 Depth=1
	s_delay_alu instid0(SALU_CYCLE_1) | instskip(SKIP_2) | instid1(VALU_DEP_1)
	s_or_b32 exec_lo, exec_lo, s21
	v_lshrrev_b16 v7, 8, v7
	s_mov_b32 s21, exec_lo
	v_cmpx_ne_u16_e32 0, v7
	s_cbranch_execz .LBB342_323
; %bb.316:                              ;   in Loop: Header=BB342_16 Depth=1
	v_bfrev_b32_e32 v160, 1
	s_mov_b32 s22, exec_lo
	v_cmpx_ne_u16_e32 0x80, v7
	s_cbranch_execz .LBB342_322
; %bb.317:                              ;   in Loop: Header=BB342_16 Depth=1
	v_and_b32_e32 v35, 0xffff, v7
	v_mov_b32_e32 v160, 0x7fc02000
	s_mov_b32 s23, exec_lo
	s_delay_alu instid0(VALU_DEP_2) | instskip(NEXT) | instid1(VALU_DEP_1)
	v_and_b32_e32 v161, 0x7f, v35
	v_cmpx_ne_u32_e32 0x7f, v161
	s_cbranch_execz .LBB342_321
; %bb.318:                              ;   in Loop: Header=BB342_16 Depth=1
	v_and_b32_e32 v7, 7, v35
	v_lshrrev_b32_e32 v36, 3, v161
	s_mov_b32 s24, exec_lo
	v_cmpx_gt_u32_e32 8, v161
; %bb.319:                              ;   in Loop: Header=BB342_16 Depth=1
	s_delay_alu instid0(VALU_DEP_3) | instskip(NEXT) | instid1(VALU_DEP_1)
	v_clz_i32_u32_e32 v36, v7
	v_min_u32_e32 v36, 32, v36
	s_delay_alu instid0(VALU_DEP_1) | instskip(SKIP_1) | instid1(VALU_DEP_2)
	v_subrev_nc_u32_e32 v160, 28, v36
	v_sub_nc_u32_e32 v36, 29, v36
	v_lshlrev_b64 v[160:161], v160, v[7:8]
	s_delay_alu instid0(VALU_DEP_1)
	v_and_b32_e32 v7, 7, v160
; %bb.320:                              ;   in Loop: Header=BB342_16 Depth=1
	s_or_b32 exec_lo, exec_lo, s24
	v_lshlrev_b32_e32 v35, 8, v35
	v_lshl_add_u32 v36, v36, 10, 0x2000
	s_delay_alu instid0(VALU_DEP_1) | instskip(NEXT) | instid1(VALU_DEP_1)
	v_and_or_b32 v35, 0x8000, v35, v36
	v_lshl_or_b32 v7, v7, 7, v35
	s_delay_alu instid0(VALU_DEP_1)
	v_cvt_f32_f16_e64 v160, v7
.LBB342_321:                            ;   in Loop: Header=BB342_16 Depth=1
	s_or_b32 exec_lo, exec_lo, s23
.LBB342_322:                            ;   in Loop: Header=BB342_16 Depth=1
	s_delay_alu instid0(SALU_CYCLE_1)
	s_or_b32 exec_lo, exec_lo, s22
.LBB342_323:                            ;   in Loop: Header=BB342_16 Depth=1
	s_delay_alu instid0(SALU_CYCLE_1) | instskip(SKIP_3) | instid1(VALU_DEP_2)
	s_or_b32 exec_lo, exec_lo, s21
	v_lshrrev_b32_e32 v35, 16, v34
	v_mov_b32_e32 v161, 0
	s_mov_b32 s21, exec_lo
	v_dual_mov_b32 v162, 0 :: v_dual_and_b32 v7, 0xff, v35
	s_delay_alu instid0(VALU_DEP_1)
	v_cmpx_ne_u16_e32 0, v7
	s_cbranch_execz .LBB342_331
; %bb.324:                              ;   in Loop: Header=BB342_16 Depth=1
	v_bfrev_b32_e32 v162, 1
	s_mov_b32 s22, exec_lo
	v_cmpx_ne_u16_e32 0x80, v7
	s_cbranch_execz .LBB342_330
; %bb.325:                              ;   in Loop: Header=BB342_16 Depth=1
	v_bfe_u32 v163, v34, 16, 7
	v_mov_b32_e32 v162, 0x7fc02000
	s_mov_b32 s23, exec_lo
	s_delay_alu instid0(VALU_DEP_2)
	v_cmpx_ne_u32_e32 0x7f, v163
	s_cbranch_execz .LBB342_329
; %bb.326:                              ;   in Loop: Header=BB342_16 Depth=1
	v_and_b32_e32 v7, 7, v35
	v_lshrrev_b32_e32 v36, 3, v163
	s_mov_b32 s24, exec_lo
	v_cmpx_gt_u32_e32 8, v163
; %bb.327:                              ;   in Loop: Header=BB342_16 Depth=1
	s_delay_alu instid0(VALU_DEP_3) | instskip(NEXT) | instid1(VALU_DEP_1)
	v_clz_i32_u32_e32 v36, v7
	v_min_u32_e32 v36, 32, v36
	s_delay_alu instid0(VALU_DEP_1) | instskip(SKIP_1) | instid1(VALU_DEP_2)
	v_subrev_nc_u32_e32 v162, 28, v36
	v_sub_nc_u32_e32 v36, 29, v36
	v_lshlrev_b64 v[162:163], v162, v[7:8]
	s_delay_alu instid0(VALU_DEP_1)
	v_and_b32_e32 v7, 7, v162
; %bb.328:                              ;   in Loop: Header=BB342_16 Depth=1
	s_or_b32 exec_lo, exec_lo, s24
	v_lshlrev_b32_e32 v35, 8, v35
	v_lshl_add_u32 v36, v36, 10, 0x2000
	s_delay_alu instid0(VALU_DEP_1) | instskip(NEXT) | instid1(VALU_DEP_1)
	v_and_or_b32 v35, 0x8000, v35, v36
	v_lshl_or_b32 v7, v7, 7, v35
	s_delay_alu instid0(VALU_DEP_1)
	v_cvt_f32_f16_e64 v162, v7
.LBB342_329:                            ;   in Loop: Header=BB342_16 Depth=1
	s_or_b32 exec_lo, exec_lo, s23
.LBB342_330:                            ;   in Loop: Header=BB342_16 Depth=1
	s_delay_alu instid0(SALU_CYCLE_1)
	s_or_b32 exec_lo, exec_lo, s22
.LBB342_331:                            ;   in Loop: Header=BB342_16 Depth=1
	s_delay_alu instid0(SALU_CYCLE_1) | instskip(NEXT) | instid1(SALU_CYCLE_1)
	s_or_b32 exec_lo, exec_lo, s21
	s_mov_b32 s21, exec_lo
	v_cmpx_lt_u64_e64 s[8:9], v[33:34]
	s_cbranch_execz .LBB342_339
; %bb.332:                              ;   in Loop: Header=BB342_16 Depth=1
	v_lshrrev_b32_e32 v33, 24, v34
	v_bfrev_b32_e32 v161, 1
	s_mov_b32 s22, exec_lo
	s_delay_alu instid0(VALU_DEP_2)
	v_cmpx_ne_u32_e32 0x80, v33
	s_cbranch_execz .LBB342_338
; %bb.333:                              ;   in Loop: Header=BB342_16 Depth=1
	v_and_b32_e32 v35, 0x7f, v33
	v_mov_b32_e32 v161, 0x7fc02000
	s_mov_b32 s23, exec_lo
	s_delay_alu instid0(VALU_DEP_2)
	v_cmpx_ne_u32_e32 0x7f, v35
	s_cbranch_execz .LBB342_337
; %bb.334:                              ;   in Loop: Header=BB342_16 Depth=1
	v_and_b32_e32 v7, 7, v33
	v_lshrrev_b32_e32 v34, 3, v35
	s_mov_b32 s24, exec_lo
	v_cmpx_gt_u32_e32 8, v35
; %bb.335:                              ;   in Loop: Header=BB342_16 Depth=1
	s_delay_alu instid0(VALU_DEP_3) | instskip(NEXT) | instid1(VALU_DEP_1)
	v_clz_i32_u32_e32 v34, v7
	v_min_u32_e32 v34, 32, v34
	s_delay_alu instid0(VALU_DEP_1) | instskip(SKIP_1) | instid1(VALU_DEP_2)
	v_subrev_nc_u32_e32 v35, 28, v34
	v_sub_nc_u32_e32 v34, 29, v34
	v_lshlrev_b64 v[35:36], v35, v[7:8]
	s_delay_alu instid0(VALU_DEP_1)
	v_and_b32_e32 v7, 7, v35
; %bb.336:                              ;   in Loop: Header=BB342_16 Depth=1
	s_or_b32 exec_lo, exec_lo, s24
	v_lshlrev_b32_e32 v33, 8, v33
	v_lshl_add_u32 v34, v34, 10, 0x2000
	s_delay_alu instid0(VALU_DEP_1) | instskip(NEXT) | instid1(VALU_DEP_1)
	v_and_or_b32 v33, 0x8000, v33, v34
	v_lshl_or_b32 v7, v7, 7, v33
	s_delay_alu instid0(VALU_DEP_1)
	v_cvt_f32_f16_e64 v161, v7
.LBB342_337:                            ;   in Loop: Header=BB342_16 Depth=1
	s_or_b32 exec_lo, exec_lo, s23
.LBB342_338:                            ;   in Loop: Header=BB342_16 Depth=1
	s_delay_alu instid0(SALU_CYCLE_1)
	s_or_b32 exec_lo, exec_lo, s22
.LBB342_339:                            ;   in Loop: Header=BB342_16 Depth=1
	s_delay_alu instid0(SALU_CYCLE_1)
	s_or_b32 exec_lo, exec_lo, s21
	flat_load_b64 v[33:34], v[31:32] offset:1032
	v_mov_b32_e32 v163, 0
	s_mov_b32 s21, exec_lo
	s_waitcnt vmcnt(0) lgkmcnt(0)
	v_dual_mov_b32 v164, 0 :: v_dual_and_b32 v7, 0xff, v33
	s_delay_alu instid0(VALU_DEP_1)
	v_cmpx_ne_u16_e32 0, v7
	s_cbranch_execz .LBB342_347
; %bb.340:                              ;   in Loop: Header=BB342_16 Depth=1
	v_bfrev_b32_e32 v163, 1
	s_mov_b32 s22, exec_lo
	v_cmpx_ne_u16_e32 0x80, v7
	s_cbranch_execz .LBB342_346
; %bb.341:                              ;   in Loop: Header=BB342_16 Depth=1
	v_and_b32_e32 v35, 0x7f, v33
	v_mov_b32_e32 v163, 0x7fc02000
	s_mov_b32 s23, exec_lo
	s_delay_alu instid0(VALU_DEP_2)
	v_cmpx_ne_u32_e32 0x7f, v35
	s_cbranch_execz .LBB342_345
; %bb.342:                              ;   in Loop: Header=BB342_16 Depth=1
	v_lshrrev_b32_e32 v7, 3, v35
	v_cmp_gt_u32_e64 s1, 8, v35
	v_dual_mov_b32 v36, v34 :: v_dual_mov_b32 v35, v33
	s_delay_alu instid0(VALU_DEP_2)
	s_and_saveexec_b32 s24, s1
; %bb.343:                              ;   in Loop: Header=BB342_16 Depth=1
	v_and_b32_e32 v7, 7, v33
	s_delay_alu instid0(VALU_DEP_1) | instskip(NEXT) | instid1(VALU_DEP_1)
	v_clz_i32_u32_e32 v7, v7
	v_min_u32_e32 v7, 32, v7
	s_delay_alu instid0(VALU_DEP_1) | instskip(SKIP_1) | instid1(VALU_DEP_2)
	v_subrev_nc_u32_e32 v35, 28, v7
	v_sub_nc_u32_e32 v7, 29, v7
	v_lshlrev_b64 v[35:36], v35, v[33:34]
; %bb.344:                              ;   in Loop: Header=BB342_16 Depth=1
	s_or_b32 exec_lo, exec_lo, s24
	v_lshlrev_b32_e32 v36, 8, v33
	s_delay_alu instid0(VALU_DEP_3) | instskip(NEXT) | instid1(VALU_DEP_3)
	v_lshl_add_u32 v7, v7, 10, 0x2000
	v_lshlrev_b32_e32 v35, 7, v35
	s_delay_alu instid0(VALU_DEP_2) | instskip(NEXT) | instid1(VALU_DEP_1)
	v_and_or_b32 v7, 0x8000, v36, v7
	v_and_or_b32 v7, 0x380, v35, v7
	s_delay_alu instid0(VALU_DEP_1)
	v_cvt_f32_f16_e64 v163, v7
.LBB342_345:                            ;   in Loop: Header=BB342_16 Depth=1
	s_or_b32 exec_lo, exec_lo, s23
.LBB342_346:                            ;   in Loop: Header=BB342_16 Depth=1
	s_delay_alu instid0(SALU_CYCLE_1)
	s_or_b32 exec_lo, exec_lo, s22
.LBB342_347:                            ;   in Loop: Header=BB342_16 Depth=1
	s_delay_alu instid0(SALU_CYCLE_1) | instskip(SKIP_2) | instid1(VALU_DEP_1)
	s_or_b32 exec_lo, exec_lo, s21
	v_lshrrev_b16 v7, 8, v33
	s_mov_b32 s21, exec_lo
	v_cmpx_ne_u16_e32 0, v7
	s_cbranch_execz .LBB342_355
; %bb.348:                              ;   in Loop: Header=BB342_16 Depth=1
	v_bfrev_b32_e32 v164, 1
	s_mov_b32 s22, exec_lo
	v_cmpx_ne_u16_e32 0x80, v7
	s_cbranch_execz .LBB342_354
; %bb.349:                              ;   in Loop: Header=BB342_16 Depth=1
	v_and_b32_e32 v35, 0xffff, v7
	v_mov_b32_e32 v164, 0x7fc02000
	s_mov_b32 s23, exec_lo
	s_delay_alu instid0(VALU_DEP_2) | instskip(NEXT) | instid1(VALU_DEP_1)
	v_and_b32_e32 v165, 0x7f, v35
	v_cmpx_ne_u32_e32 0x7f, v165
	s_cbranch_execz .LBB342_353
; %bb.350:                              ;   in Loop: Header=BB342_16 Depth=1
	v_and_b32_e32 v7, 7, v35
	v_lshrrev_b32_e32 v36, 3, v165
	s_mov_b32 s24, exec_lo
	v_cmpx_gt_u32_e32 8, v165
; %bb.351:                              ;   in Loop: Header=BB342_16 Depth=1
	s_delay_alu instid0(VALU_DEP_3) | instskip(NEXT) | instid1(VALU_DEP_1)
	v_clz_i32_u32_e32 v36, v7
	v_min_u32_e32 v36, 32, v36
	s_delay_alu instid0(VALU_DEP_1) | instskip(SKIP_1) | instid1(VALU_DEP_2)
	v_subrev_nc_u32_e32 v164, 28, v36
	v_sub_nc_u32_e32 v36, 29, v36
	v_lshlrev_b64 v[164:165], v164, v[7:8]
	s_delay_alu instid0(VALU_DEP_1)
	v_and_b32_e32 v7, 7, v164
; %bb.352:                              ;   in Loop: Header=BB342_16 Depth=1
	s_or_b32 exec_lo, exec_lo, s24
	v_lshlrev_b32_e32 v35, 8, v35
	v_lshl_add_u32 v36, v36, 10, 0x2000
	s_delay_alu instid0(VALU_DEP_1) | instskip(NEXT) | instid1(VALU_DEP_1)
	v_and_or_b32 v35, 0x8000, v35, v36
	v_lshl_or_b32 v7, v7, 7, v35
	s_delay_alu instid0(VALU_DEP_1)
	v_cvt_f32_f16_e64 v164, v7
.LBB342_353:                            ;   in Loop: Header=BB342_16 Depth=1
	s_or_b32 exec_lo, exec_lo, s23
.LBB342_354:                            ;   in Loop: Header=BB342_16 Depth=1
	s_delay_alu instid0(SALU_CYCLE_1)
	s_or_b32 exec_lo, exec_lo, s22
.LBB342_355:                            ;   in Loop: Header=BB342_16 Depth=1
	s_delay_alu instid0(SALU_CYCLE_1) | instskip(SKIP_3) | instid1(VALU_DEP_2)
	s_or_b32 exec_lo, exec_lo, s21
	v_lshrrev_b32_e32 v35, 16, v33
	v_mov_b32_e32 v165, 0
	s_mov_b32 s21, exec_lo
	v_dual_mov_b32 v166, 0 :: v_dual_and_b32 v7, 0xff, v35
	s_delay_alu instid0(VALU_DEP_1)
	v_cmpx_ne_u16_e32 0, v7
	s_cbranch_execz .LBB342_363
; %bb.356:                              ;   in Loop: Header=BB342_16 Depth=1
	v_bfrev_b32_e32 v165, 1
	s_mov_b32 s22, exec_lo
	v_cmpx_ne_u16_e32 0x80, v7
	s_cbranch_execz .LBB342_362
; %bb.357:                              ;   in Loop: Header=BB342_16 Depth=1
	v_bfe_u32 v167, v33, 16, 7
	v_mov_b32_e32 v165, 0x7fc02000
	s_mov_b32 s23, exec_lo
	s_delay_alu instid0(VALU_DEP_2)
	v_cmpx_ne_u32_e32 0x7f, v167
	s_cbranch_execz .LBB342_361
; %bb.358:                              ;   in Loop: Header=BB342_16 Depth=1
	v_and_b32_e32 v7, 7, v35
	v_lshrrev_b32_e32 v36, 3, v167
	s_mov_b32 s24, exec_lo
	v_cmpx_gt_u32_e32 8, v167
; %bb.359:                              ;   in Loop: Header=BB342_16 Depth=1
	s_delay_alu instid0(VALU_DEP_3) | instskip(NEXT) | instid1(VALU_DEP_1)
	v_clz_i32_u32_e32 v36, v7
	v_min_u32_e32 v36, 32, v36
	s_delay_alu instid0(VALU_DEP_1) | instskip(SKIP_1) | instid1(VALU_DEP_2)
	v_subrev_nc_u32_e32 v165, 28, v36
	v_sub_nc_u32_e32 v36, 29, v36
	v_lshlrev_b64 v[176:177], v165, v[7:8]
	s_delay_alu instid0(VALU_DEP_1)
	v_and_b32_e32 v7, 7, v176
; %bb.360:                              ;   in Loop: Header=BB342_16 Depth=1
	s_or_b32 exec_lo, exec_lo, s24
	v_lshlrev_b32_e32 v35, 8, v35
	v_lshl_add_u32 v36, v36, 10, 0x2000
	s_delay_alu instid0(VALU_DEP_1) | instskip(NEXT) | instid1(VALU_DEP_1)
	v_and_or_b32 v35, 0x8000, v35, v36
	v_lshl_or_b32 v7, v7, 7, v35
	s_delay_alu instid0(VALU_DEP_1)
	v_cvt_f32_f16_e64 v165, v7
.LBB342_361:                            ;   in Loop: Header=BB342_16 Depth=1
	s_or_b32 exec_lo, exec_lo, s23
.LBB342_362:                            ;   in Loop: Header=BB342_16 Depth=1
	s_delay_alu instid0(SALU_CYCLE_1)
	s_or_b32 exec_lo, exec_lo, s22
.LBB342_363:                            ;   in Loop: Header=BB342_16 Depth=1
	s_delay_alu instid0(SALU_CYCLE_1) | instskip(NEXT) | instid1(SALU_CYCLE_1)
	s_or_b32 exec_lo, exec_lo, s21
	s_mov_b32 s21, exec_lo
	v_cmpx_lt_u32_e32 0xffffff, v33
	s_cbranch_execz .LBB342_371
; %bb.364:                              ;   in Loop: Header=BB342_16 Depth=1
	v_lshrrev_b32_e32 v35, 24, v33
	v_bfrev_b32_e32 v166, 1
	s_mov_b32 s22, exec_lo
	s_delay_alu instid0(VALU_DEP_2)
	v_cmpx_ne_u32_e32 0x80, v35
	s_cbranch_execz .LBB342_370
; %bb.365:                              ;   in Loop: Header=BB342_16 Depth=1
	v_and_b32_e32 v167, 0x7f, v35
	v_mov_b32_e32 v166, 0x7fc02000
	s_mov_b32 s23, exec_lo
	s_delay_alu instid0(VALU_DEP_2)
	v_cmpx_ne_u32_e32 0x7f, v167
	s_cbranch_execz .LBB342_369
; %bb.366:                              ;   in Loop: Header=BB342_16 Depth=1
	v_and_b32_e32 v7, 7, v35
	v_lshrrev_b32_e32 v36, 3, v167
	s_mov_b32 s24, exec_lo
	v_cmpx_gt_u32_e32 8, v167
; %bb.367:                              ;   in Loop: Header=BB342_16 Depth=1
	s_delay_alu instid0(VALU_DEP_3) | instskip(NEXT) | instid1(VALU_DEP_1)
	v_clz_i32_u32_e32 v36, v7
	v_min_u32_e32 v36, 32, v36
	s_delay_alu instid0(VALU_DEP_1) | instskip(SKIP_1) | instid1(VALU_DEP_2)
	v_subrev_nc_u32_e32 v166, 28, v36
	v_sub_nc_u32_e32 v36, 29, v36
	v_lshlrev_b64 v[166:167], v166, v[7:8]
	s_delay_alu instid0(VALU_DEP_1)
	v_and_b32_e32 v7, 7, v166
; %bb.368:                              ;   in Loop: Header=BB342_16 Depth=1
	s_or_b32 exec_lo, exec_lo, s24
	v_lshlrev_b32_e32 v35, 8, v35
	v_lshl_add_u32 v36, v36, 10, 0x2000
	s_delay_alu instid0(VALU_DEP_1) | instskip(NEXT) | instid1(VALU_DEP_1)
	v_and_or_b32 v35, 0x8000, v35, v36
	v_lshl_or_b32 v7, v7, 7, v35
	s_delay_alu instid0(VALU_DEP_1)
	v_cvt_f32_f16_e64 v166, v7
.LBB342_369:                            ;   in Loop: Header=BB342_16 Depth=1
	s_or_b32 exec_lo, exec_lo, s23
.LBB342_370:                            ;   in Loop: Header=BB342_16 Depth=1
	s_delay_alu instid0(SALU_CYCLE_1)
	s_or_b32 exec_lo, exec_lo, s22
.LBB342_371:                            ;   in Loop: Header=BB342_16 Depth=1
	s_delay_alu instid0(SALU_CYCLE_1) | instskip(SKIP_4) | instid1(VALU_DEP_3)
	s_or_b32 exec_lo, exec_lo, s21
	v_dual_mov_b32 v176, 0 :: v_dual_and_b32 v35, 0xff, v34
	v_mov_b32_e32 v7, v34
	v_mov_b32_e32 v167, 0
	s_mov_b32 s21, exec_lo
	v_cmpx_ne_u16_e32 0, v35
	s_cbranch_execz .LBB342_379
; %bb.372:                              ;   in Loop: Header=BB342_16 Depth=1
	v_bfrev_b32_e32 v167, 1
	s_mov_b32 s22, exec_lo
	v_cmpx_ne_u16_e32 0x80, v35
	s_cbranch_execz .LBB342_378
; %bb.373:                              ;   in Loop: Header=BB342_16 Depth=1
	v_and_b32_e32 v35, 0x7f, v34
	v_mov_b32_e32 v167, 0x7fc02000
	s_mov_b32 s23, exec_lo
	s_delay_alu instid0(VALU_DEP_2)
	v_cmpx_ne_u32_e32 0x7f, v35
	s_cbranch_execz .LBB342_377
; %bb.374:                              ;   in Loop: Header=BB342_16 Depth=1
	v_lshrrev_b32_e32 v167, 3, v35
	v_cmp_gt_u32_e64 s1, 8, v35
	v_dual_mov_b32 v36, v8 :: v_dual_mov_b32 v35, v7
	s_delay_alu instid0(VALU_DEP_2)
	s_and_saveexec_b32 s24, s1
; %bb.375:                              ;   in Loop: Header=BB342_16 Depth=1
	v_and_b32_e32 v35, 7, v34
	s_delay_alu instid0(VALU_DEP_1) | instskip(NEXT) | instid1(VALU_DEP_1)
	v_clz_i32_u32_e32 v35, v35
	v_min_u32_e32 v167, 32, v35
	s_delay_alu instid0(VALU_DEP_1) | instskip(SKIP_1) | instid1(VALU_DEP_2)
	v_subrev_nc_u32_e32 v35, 28, v167
	v_sub_nc_u32_e32 v167, 29, v167
	v_lshlrev_b64 v[35:36], v35, v[7:8]
; %bb.376:                              ;   in Loop: Header=BB342_16 Depth=1
	s_or_b32 exec_lo, exec_lo, s24
	v_lshlrev_b32_e32 v36, 8, v34
	s_delay_alu instid0(VALU_DEP_3) | instskip(NEXT) | instid1(VALU_DEP_3)
	v_lshl_add_u32 v167, v167, 10, 0x2000
	v_lshlrev_b32_e32 v35, 7, v35
	s_delay_alu instid0(VALU_DEP_2) | instskip(NEXT) | instid1(VALU_DEP_1)
	v_and_or_b32 v36, 0x8000, v36, v167
	v_and_or_b32 v35, 0x380, v35, v36
	s_delay_alu instid0(VALU_DEP_1)
	v_cvt_f32_f16_e64 v167, v35
.LBB342_377:                            ;   in Loop: Header=BB342_16 Depth=1
	s_or_b32 exec_lo, exec_lo, s23
.LBB342_378:                            ;   in Loop: Header=BB342_16 Depth=1
	s_delay_alu instid0(SALU_CYCLE_1)
	s_or_b32 exec_lo, exec_lo, s22
.LBB342_379:                            ;   in Loop: Header=BB342_16 Depth=1
	s_delay_alu instid0(SALU_CYCLE_1) | instskip(SKIP_2) | instid1(VALU_DEP_1)
	s_or_b32 exec_lo, exec_lo, s21
	v_lshrrev_b16 v7, 8, v7
	s_mov_b32 s21, exec_lo
	v_cmpx_ne_u16_e32 0, v7
	s_cbranch_execz .LBB342_387
; %bb.380:                              ;   in Loop: Header=BB342_16 Depth=1
	v_bfrev_b32_e32 v176, 1
	s_mov_b32 s22, exec_lo
	v_cmpx_ne_u16_e32 0x80, v7
	s_cbranch_execz .LBB342_386
; %bb.381:                              ;   in Loop: Header=BB342_16 Depth=1
	v_and_b32_e32 v35, 0xffff, v7
	v_mov_b32_e32 v176, 0x7fc02000
	s_mov_b32 s23, exec_lo
	s_delay_alu instid0(VALU_DEP_2) | instskip(NEXT) | instid1(VALU_DEP_1)
	v_and_b32_e32 v177, 0x7f, v35
	v_cmpx_ne_u32_e32 0x7f, v177
	s_cbranch_execz .LBB342_385
; %bb.382:                              ;   in Loop: Header=BB342_16 Depth=1
	v_and_b32_e32 v7, 7, v35
	v_lshrrev_b32_e32 v36, 3, v177
	s_mov_b32 s24, exec_lo
	v_cmpx_gt_u32_e32 8, v177
; %bb.383:                              ;   in Loop: Header=BB342_16 Depth=1
	s_delay_alu instid0(VALU_DEP_3) | instskip(NEXT) | instid1(VALU_DEP_1)
	v_clz_i32_u32_e32 v36, v7
	v_min_u32_e32 v36, 32, v36
	s_delay_alu instid0(VALU_DEP_1) | instskip(SKIP_1) | instid1(VALU_DEP_2)
	v_subrev_nc_u32_e32 v176, 28, v36
	v_sub_nc_u32_e32 v36, 29, v36
	v_lshlrev_b64 v[176:177], v176, v[7:8]
	s_delay_alu instid0(VALU_DEP_1)
	v_and_b32_e32 v7, 7, v176
; %bb.384:                              ;   in Loop: Header=BB342_16 Depth=1
	s_or_b32 exec_lo, exec_lo, s24
	v_lshlrev_b32_e32 v35, 8, v35
	v_lshl_add_u32 v36, v36, 10, 0x2000
	s_delay_alu instid0(VALU_DEP_1) | instskip(NEXT) | instid1(VALU_DEP_1)
	v_and_or_b32 v35, 0x8000, v35, v36
	v_lshl_or_b32 v7, v7, 7, v35
	s_delay_alu instid0(VALU_DEP_1)
	v_cvt_f32_f16_e64 v176, v7
.LBB342_385:                            ;   in Loop: Header=BB342_16 Depth=1
	s_or_b32 exec_lo, exec_lo, s23
.LBB342_386:                            ;   in Loop: Header=BB342_16 Depth=1
	s_delay_alu instid0(SALU_CYCLE_1)
	s_or_b32 exec_lo, exec_lo, s22
.LBB342_387:                            ;   in Loop: Header=BB342_16 Depth=1
	s_delay_alu instid0(SALU_CYCLE_1) | instskip(SKIP_3) | instid1(VALU_DEP_2)
	s_or_b32 exec_lo, exec_lo, s21
	v_lshrrev_b32_e32 v35, 16, v34
	v_mov_b32_e32 v177, 0
	s_mov_b32 s21, exec_lo
	v_dual_mov_b32 v178, 0 :: v_dual_and_b32 v7, 0xff, v35
	s_delay_alu instid0(VALU_DEP_1)
	v_cmpx_ne_u16_e32 0, v7
	s_cbranch_execz .LBB342_395
; %bb.388:                              ;   in Loop: Header=BB342_16 Depth=1
	v_bfrev_b32_e32 v178, 1
	s_mov_b32 s22, exec_lo
	v_cmpx_ne_u16_e32 0x80, v7
	s_cbranch_execz .LBB342_394
; %bb.389:                              ;   in Loop: Header=BB342_16 Depth=1
	v_bfe_u32 v179, v34, 16, 7
	v_mov_b32_e32 v178, 0x7fc02000
	s_mov_b32 s23, exec_lo
	s_delay_alu instid0(VALU_DEP_2)
	v_cmpx_ne_u32_e32 0x7f, v179
	s_cbranch_execz .LBB342_393
; %bb.390:                              ;   in Loop: Header=BB342_16 Depth=1
	v_and_b32_e32 v7, 7, v35
	v_lshrrev_b32_e32 v36, 3, v179
	s_mov_b32 s24, exec_lo
	v_cmpx_gt_u32_e32 8, v179
; %bb.391:                              ;   in Loop: Header=BB342_16 Depth=1
	s_delay_alu instid0(VALU_DEP_3) | instskip(NEXT) | instid1(VALU_DEP_1)
	v_clz_i32_u32_e32 v36, v7
	v_min_u32_e32 v36, 32, v36
	s_delay_alu instid0(VALU_DEP_1) | instskip(SKIP_1) | instid1(VALU_DEP_2)
	v_subrev_nc_u32_e32 v178, 28, v36
	v_sub_nc_u32_e32 v36, 29, v36
	v_lshlrev_b64 v[178:179], v178, v[7:8]
	s_delay_alu instid0(VALU_DEP_1)
	v_and_b32_e32 v7, 7, v178
; %bb.392:                              ;   in Loop: Header=BB342_16 Depth=1
	s_or_b32 exec_lo, exec_lo, s24
	v_lshlrev_b32_e32 v35, 8, v35
	v_lshl_add_u32 v36, v36, 10, 0x2000
	s_delay_alu instid0(VALU_DEP_1) | instskip(NEXT) | instid1(VALU_DEP_1)
	v_and_or_b32 v35, 0x8000, v35, v36
	v_lshl_or_b32 v7, v7, 7, v35
	s_delay_alu instid0(VALU_DEP_1)
	v_cvt_f32_f16_e64 v178, v7
.LBB342_393:                            ;   in Loop: Header=BB342_16 Depth=1
	s_or_b32 exec_lo, exec_lo, s23
.LBB342_394:                            ;   in Loop: Header=BB342_16 Depth=1
	s_delay_alu instid0(SALU_CYCLE_1)
	s_or_b32 exec_lo, exec_lo, s22
.LBB342_395:                            ;   in Loop: Header=BB342_16 Depth=1
	s_delay_alu instid0(SALU_CYCLE_1) | instskip(NEXT) | instid1(SALU_CYCLE_1)
	s_or_b32 exec_lo, exec_lo, s21
	s_mov_b32 s21, exec_lo
	v_cmpx_lt_u64_e64 s[8:9], v[33:34]
	s_cbranch_execz .LBB342_403
; %bb.396:                              ;   in Loop: Header=BB342_16 Depth=1
	v_lshrrev_b32_e32 v33, 24, v34
	v_bfrev_b32_e32 v177, 1
	s_mov_b32 s22, exec_lo
	s_delay_alu instid0(VALU_DEP_2)
	v_cmpx_ne_u32_e32 0x80, v33
	s_cbranch_execz .LBB342_402
; %bb.397:                              ;   in Loop: Header=BB342_16 Depth=1
	v_and_b32_e32 v35, 0x7f, v33
	v_mov_b32_e32 v177, 0x7fc02000
	s_mov_b32 s23, exec_lo
	s_delay_alu instid0(VALU_DEP_2)
	v_cmpx_ne_u32_e32 0x7f, v35
	s_cbranch_execz .LBB342_401
; %bb.398:                              ;   in Loop: Header=BB342_16 Depth=1
	v_and_b32_e32 v7, 7, v33
	v_lshrrev_b32_e32 v34, 3, v35
	s_mov_b32 s24, exec_lo
	v_cmpx_gt_u32_e32 8, v35
; %bb.399:                              ;   in Loop: Header=BB342_16 Depth=1
	s_delay_alu instid0(VALU_DEP_3) | instskip(NEXT) | instid1(VALU_DEP_1)
	v_clz_i32_u32_e32 v34, v7
	v_min_u32_e32 v34, 32, v34
	s_delay_alu instid0(VALU_DEP_1) | instskip(SKIP_1) | instid1(VALU_DEP_2)
	v_subrev_nc_u32_e32 v35, 28, v34
	v_sub_nc_u32_e32 v34, 29, v34
	v_lshlrev_b64 v[35:36], v35, v[7:8]
	s_delay_alu instid0(VALU_DEP_1)
	v_and_b32_e32 v7, 7, v35
; %bb.400:                              ;   in Loop: Header=BB342_16 Depth=1
	s_or_b32 exec_lo, exec_lo, s24
	v_lshlrev_b32_e32 v33, 8, v33
	v_lshl_add_u32 v34, v34, 10, 0x2000
	s_delay_alu instid0(VALU_DEP_1) | instskip(NEXT) | instid1(VALU_DEP_1)
	v_and_or_b32 v33, 0x8000, v33, v34
	v_lshl_or_b32 v7, v7, 7, v33
	s_delay_alu instid0(VALU_DEP_1)
	v_cvt_f32_f16_e64 v177, v7
.LBB342_401:                            ;   in Loop: Header=BB342_16 Depth=1
	s_or_b32 exec_lo, exec_lo, s23
.LBB342_402:                            ;   in Loop: Header=BB342_16 Depth=1
	s_delay_alu instid0(SALU_CYCLE_1)
	s_or_b32 exec_lo, exec_lo, s22
.LBB342_403:                            ;   in Loop: Header=BB342_16 Depth=1
	s_delay_alu instid0(SALU_CYCLE_1)
	s_or_b32 exec_lo, exec_lo, s21
	flat_load_b64 v[33:34], v[31:32] offset:1536
	v_mov_b32_e32 v179, 0
	s_mov_b32 s21, exec_lo
	s_waitcnt vmcnt(0) lgkmcnt(0)
	v_dual_mov_b32 v180, 0 :: v_dual_and_b32 v7, 0xff, v33
	s_delay_alu instid0(VALU_DEP_1)
	v_cmpx_ne_u16_e32 0, v7
	s_cbranch_execz .LBB342_411
; %bb.404:                              ;   in Loop: Header=BB342_16 Depth=1
	v_bfrev_b32_e32 v179, 1
	s_mov_b32 s22, exec_lo
	v_cmpx_ne_u16_e32 0x80, v7
	s_cbranch_execz .LBB342_410
; %bb.405:                              ;   in Loop: Header=BB342_16 Depth=1
	v_and_b32_e32 v35, 0x7f, v33
	v_mov_b32_e32 v179, 0x7fc02000
	s_mov_b32 s23, exec_lo
	s_delay_alu instid0(VALU_DEP_2)
	v_cmpx_ne_u32_e32 0x7f, v35
	s_cbranch_execz .LBB342_409
; %bb.406:                              ;   in Loop: Header=BB342_16 Depth=1
	v_lshrrev_b32_e32 v7, 3, v35
	v_cmp_gt_u32_e64 s1, 8, v35
	v_dual_mov_b32 v36, v34 :: v_dual_mov_b32 v35, v33
	s_delay_alu instid0(VALU_DEP_2)
	s_and_saveexec_b32 s24, s1
; %bb.407:                              ;   in Loop: Header=BB342_16 Depth=1
	v_and_b32_e32 v7, 7, v33
	s_delay_alu instid0(VALU_DEP_1) | instskip(NEXT) | instid1(VALU_DEP_1)
	v_clz_i32_u32_e32 v7, v7
	v_min_u32_e32 v7, 32, v7
	s_delay_alu instid0(VALU_DEP_1) | instskip(SKIP_1) | instid1(VALU_DEP_2)
	v_subrev_nc_u32_e32 v35, 28, v7
	v_sub_nc_u32_e32 v7, 29, v7
	v_lshlrev_b64 v[35:36], v35, v[33:34]
; %bb.408:                              ;   in Loop: Header=BB342_16 Depth=1
	s_or_b32 exec_lo, exec_lo, s24
	v_lshlrev_b32_e32 v36, 8, v33
	s_delay_alu instid0(VALU_DEP_3) | instskip(NEXT) | instid1(VALU_DEP_3)
	v_lshl_add_u32 v7, v7, 10, 0x2000
	v_lshlrev_b32_e32 v35, 7, v35
	s_delay_alu instid0(VALU_DEP_2) | instskip(NEXT) | instid1(VALU_DEP_1)
	v_and_or_b32 v7, 0x8000, v36, v7
	v_and_or_b32 v7, 0x380, v35, v7
	s_delay_alu instid0(VALU_DEP_1)
	v_cvt_f32_f16_e64 v179, v7
.LBB342_409:                            ;   in Loop: Header=BB342_16 Depth=1
	s_or_b32 exec_lo, exec_lo, s23
.LBB342_410:                            ;   in Loop: Header=BB342_16 Depth=1
	s_delay_alu instid0(SALU_CYCLE_1)
	s_or_b32 exec_lo, exec_lo, s22
.LBB342_411:                            ;   in Loop: Header=BB342_16 Depth=1
	s_delay_alu instid0(SALU_CYCLE_1) | instskip(SKIP_2) | instid1(VALU_DEP_1)
	s_or_b32 exec_lo, exec_lo, s21
	v_lshrrev_b16 v7, 8, v33
	s_mov_b32 s21, exec_lo
	v_cmpx_ne_u16_e32 0, v7
	s_cbranch_execz .LBB342_419
; %bb.412:                              ;   in Loop: Header=BB342_16 Depth=1
	v_bfrev_b32_e32 v180, 1
	s_mov_b32 s22, exec_lo
	v_cmpx_ne_u16_e32 0x80, v7
	s_cbranch_execz .LBB342_418
; %bb.413:                              ;   in Loop: Header=BB342_16 Depth=1
	v_and_b32_e32 v35, 0xffff, v7
	v_mov_b32_e32 v180, 0x7fc02000
	s_mov_b32 s23, exec_lo
	s_delay_alu instid0(VALU_DEP_2) | instskip(NEXT) | instid1(VALU_DEP_1)
	v_and_b32_e32 v181, 0x7f, v35
	v_cmpx_ne_u32_e32 0x7f, v181
	s_cbranch_execz .LBB342_417
; %bb.414:                              ;   in Loop: Header=BB342_16 Depth=1
	v_and_b32_e32 v7, 7, v35
	v_lshrrev_b32_e32 v36, 3, v181
	s_mov_b32 s24, exec_lo
	v_cmpx_gt_u32_e32 8, v181
; %bb.415:                              ;   in Loop: Header=BB342_16 Depth=1
	s_delay_alu instid0(VALU_DEP_3) | instskip(NEXT) | instid1(VALU_DEP_1)
	v_clz_i32_u32_e32 v36, v7
	v_min_u32_e32 v36, 32, v36
	s_delay_alu instid0(VALU_DEP_1) | instskip(SKIP_1) | instid1(VALU_DEP_2)
	v_subrev_nc_u32_e32 v180, 28, v36
	v_sub_nc_u32_e32 v36, 29, v36
	v_lshlrev_b64 v[180:181], v180, v[7:8]
	s_delay_alu instid0(VALU_DEP_1)
	v_and_b32_e32 v7, 7, v180
; %bb.416:                              ;   in Loop: Header=BB342_16 Depth=1
	s_or_b32 exec_lo, exec_lo, s24
	v_lshlrev_b32_e32 v35, 8, v35
	v_lshl_add_u32 v36, v36, 10, 0x2000
	s_delay_alu instid0(VALU_DEP_1) | instskip(NEXT) | instid1(VALU_DEP_1)
	v_and_or_b32 v35, 0x8000, v35, v36
	v_lshl_or_b32 v7, v7, 7, v35
	s_delay_alu instid0(VALU_DEP_1)
	v_cvt_f32_f16_e64 v180, v7
.LBB342_417:                            ;   in Loop: Header=BB342_16 Depth=1
	s_or_b32 exec_lo, exec_lo, s23
.LBB342_418:                            ;   in Loop: Header=BB342_16 Depth=1
	s_delay_alu instid0(SALU_CYCLE_1)
	s_or_b32 exec_lo, exec_lo, s22
.LBB342_419:                            ;   in Loop: Header=BB342_16 Depth=1
	s_delay_alu instid0(SALU_CYCLE_1) | instskip(SKIP_3) | instid1(VALU_DEP_2)
	s_or_b32 exec_lo, exec_lo, s21
	v_lshrrev_b32_e32 v35, 16, v33
	v_mov_b32_e32 v181, 0
	s_mov_b32 s21, exec_lo
	v_dual_mov_b32 v182, 0 :: v_dual_and_b32 v7, 0xff, v35
	s_delay_alu instid0(VALU_DEP_1)
	v_cmpx_ne_u16_e32 0, v7
	s_cbranch_execz .LBB342_427
; %bb.420:                              ;   in Loop: Header=BB342_16 Depth=1
	v_bfrev_b32_e32 v181, 1
	s_mov_b32 s22, exec_lo
	v_cmpx_ne_u16_e32 0x80, v7
	s_cbranch_execz .LBB342_426
; %bb.421:                              ;   in Loop: Header=BB342_16 Depth=1
	v_bfe_u32 v183, v33, 16, 7
	v_mov_b32_e32 v181, 0x7fc02000
	s_mov_b32 s23, exec_lo
	s_delay_alu instid0(VALU_DEP_2)
	v_cmpx_ne_u32_e32 0x7f, v183
	s_cbranch_execz .LBB342_425
; %bb.422:                              ;   in Loop: Header=BB342_16 Depth=1
	v_and_b32_e32 v7, 7, v35
	v_lshrrev_b32_e32 v36, 3, v183
	s_mov_b32 s24, exec_lo
	v_cmpx_gt_u32_e32 8, v183
; %bb.423:                              ;   in Loop: Header=BB342_16 Depth=1
	s_delay_alu instid0(VALU_DEP_3) | instskip(NEXT) | instid1(VALU_DEP_1)
	v_clz_i32_u32_e32 v36, v7
	v_min_u32_e32 v36, 32, v36
	s_delay_alu instid0(VALU_DEP_1) | instskip(SKIP_1) | instid1(VALU_DEP_2)
	v_subrev_nc_u32_e32 v181, 28, v36
	v_sub_nc_u32_e32 v36, 29, v36
	v_lshlrev_b64 v[40:41], v181, v[7:8]
	s_delay_alu instid0(VALU_DEP_1)
	v_and_b32_e32 v7, 7, v40
; %bb.424:                              ;   in Loop: Header=BB342_16 Depth=1
	s_or_b32 exec_lo, exec_lo, s24
	v_lshlrev_b32_e32 v35, 8, v35
	v_lshl_add_u32 v36, v36, 10, 0x2000
	s_delay_alu instid0(VALU_DEP_1) | instskip(NEXT) | instid1(VALU_DEP_1)
	v_and_or_b32 v35, 0x8000, v35, v36
	v_lshl_or_b32 v7, v7, 7, v35
	s_delay_alu instid0(VALU_DEP_1)
	v_cvt_f32_f16_e64 v181, v7
.LBB342_425:                            ;   in Loop: Header=BB342_16 Depth=1
	s_or_b32 exec_lo, exec_lo, s23
.LBB342_426:                            ;   in Loop: Header=BB342_16 Depth=1
	s_delay_alu instid0(SALU_CYCLE_1)
	s_or_b32 exec_lo, exec_lo, s22
.LBB342_427:                            ;   in Loop: Header=BB342_16 Depth=1
	s_delay_alu instid0(SALU_CYCLE_1) | instskip(NEXT) | instid1(SALU_CYCLE_1)
	s_or_b32 exec_lo, exec_lo, s21
	s_mov_b32 s21, exec_lo
	v_cmpx_lt_u32_e32 0xffffff, v33
	s_cbranch_execz .LBB342_435
; %bb.428:                              ;   in Loop: Header=BB342_16 Depth=1
	v_lshrrev_b32_e32 v35, 24, v33
	v_bfrev_b32_e32 v182, 1
	s_mov_b32 s22, exec_lo
	s_delay_alu instid0(VALU_DEP_2)
	v_cmpx_ne_u32_e32 0x80, v35
	s_cbranch_execz .LBB342_434
; %bb.429:                              ;   in Loop: Header=BB342_16 Depth=1
	v_and_b32_e32 v183, 0x7f, v35
	v_mov_b32_e32 v182, 0x7fc02000
	s_mov_b32 s23, exec_lo
	s_delay_alu instid0(VALU_DEP_2)
	v_cmpx_ne_u32_e32 0x7f, v183
	s_cbranch_execz .LBB342_433
; %bb.430:                              ;   in Loop: Header=BB342_16 Depth=1
	v_and_b32_e32 v7, 7, v35
	v_lshrrev_b32_e32 v36, 3, v183
	s_mov_b32 s24, exec_lo
	v_cmpx_gt_u32_e32 8, v183
; %bb.431:                              ;   in Loop: Header=BB342_16 Depth=1
	s_delay_alu instid0(VALU_DEP_3) | instskip(NEXT) | instid1(VALU_DEP_1)
	v_clz_i32_u32_e32 v36, v7
	v_min_u32_e32 v36, 32, v36
	s_delay_alu instid0(VALU_DEP_1) | instskip(SKIP_1) | instid1(VALU_DEP_2)
	v_subrev_nc_u32_e32 v182, 28, v36
	v_sub_nc_u32_e32 v36, 29, v36
	v_lshlrev_b64 v[182:183], v182, v[7:8]
	s_delay_alu instid0(VALU_DEP_1)
	v_and_b32_e32 v7, 7, v182
; %bb.432:                              ;   in Loop: Header=BB342_16 Depth=1
	s_or_b32 exec_lo, exec_lo, s24
	v_lshlrev_b32_e32 v35, 8, v35
	v_lshl_add_u32 v36, v36, 10, 0x2000
	s_delay_alu instid0(VALU_DEP_1) | instskip(NEXT) | instid1(VALU_DEP_1)
	v_and_or_b32 v35, 0x8000, v35, v36
	v_lshl_or_b32 v7, v7, 7, v35
	s_delay_alu instid0(VALU_DEP_1)
	v_cvt_f32_f16_e64 v182, v7
.LBB342_433:                            ;   in Loop: Header=BB342_16 Depth=1
	s_or_b32 exec_lo, exec_lo, s23
.LBB342_434:                            ;   in Loop: Header=BB342_16 Depth=1
	s_delay_alu instid0(SALU_CYCLE_1)
	s_or_b32 exec_lo, exec_lo, s22
.LBB342_435:                            ;   in Loop: Header=BB342_16 Depth=1
	s_delay_alu instid0(SALU_CYCLE_1) | instskip(SKIP_4) | instid1(VALU_DEP_3)
	s_or_b32 exec_lo, exec_lo, s21
	v_dual_mov_b32 v7, v34 :: v_dual_and_b32 v36, 0xff, v34
	v_mov_b32_e32 v183, 0
	v_mov_b32_e32 v35, 0
	s_mov_b32 s21, exec_lo
	v_cmpx_ne_u16_e32 0, v36
	s_cbranch_execz .LBB342_443
; %bb.436:                              ;   in Loop: Header=BB342_16 Depth=1
	v_bfrev_b32_e32 v35, 1
	s_mov_b32 s22, exec_lo
	v_cmpx_ne_u16_e32 0x80, v36
	s_cbranch_execz .LBB342_442
; %bb.437:                              ;   in Loop: Header=BB342_16 Depth=1
	v_and_b32_e32 v36, 0x7f, v34
	v_mov_b32_e32 v35, 0x7fc02000
	s_mov_b32 s23, exec_lo
	s_delay_alu instid0(VALU_DEP_2)
	v_cmpx_ne_u32_e32 0x7f, v36
	s_cbranch_execz .LBB342_441
; %bb.438:                              ;   in Loop: Header=BB342_16 Depth=1
	v_lshrrev_b32_e32 v40, 3, v36
	v_cmp_gt_u32_e64 s1, 8, v36
	v_dual_mov_b32 v36, v8 :: v_dual_mov_b32 v35, v7
	s_delay_alu instid0(VALU_DEP_2)
	s_and_saveexec_b32 s24, s1
; %bb.439:                              ;   in Loop: Header=BB342_16 Depth=1
	v_and_b32_e32 v35, 7, v34
	s_delay_alu instid0(VALU_DEP_1) | instskip(NEXT) | instid1(VALU_DEP_1)
	v_clz_i32_u32_e32 v35, v35
	v_min_u32_e32 v40, 32, v35
	s_delay_alu instid0(VALU_DEP_1) | instskip(SKIP_1) | instid1(VALU_DEP_2)
	v_subrev_nc_u32_e32 v35, 28, v40
	v_sub_nc_u32_e32 v40, 29, v40
	v_lshlrev_b64 v[35:36], v35, v[7:8]
; %bb.440:                              ;   in Loop: Header=BB342_16 Depth=1
	s_or_b32 exec_lo, exec_lo, s24
	v_lshlrev_b32_e32 v36, 8, v34
	s_delay_alu instid0(VALU_DEP_3) | instskip(NEXT) | instid1(VALU_DEP_3)
	v_lshl_add_u32 v40, v40, 10, 0x2000
	v_lshlrev_b32_e32 v35, 7, v35
	s_delay_alu instid0(VALU_DEP_2) | instskip(NEXT) | instid1(VALU_DEP_1)
	v_and_or_b32 v36, 0x8000, v36, v40
	v_and_or_b32 v35, 0x380, v35, v36
	s_delay_alu instid0(VALU_DEP_1)
	v_cvt_f32_f16_e32 v35, v35
.LBB342_441:                            ;   in Loop: Header=BB342_16 Depth=1
	s_or_b32 exec_lo, exec_lo, s23
.LBB342_442:                            ;   in Loop: Header=BB342_16 Depth=1
	s_delay_alu instid0(SALU_CYCLE_1)
	s_or_b32 exec_lo, exec_lo, s22
.LBB342_443:                            ;   in Loop: Header=BB342_16 Depth=1
	s_delay_alu instid0(SALU_CYCLE_1) | instskip(SKIP_2) | instid1(VALU_DEP_1)
	s_or_b32 exec_lo, exec_lo, s21
	v_lshrrev_b16 v7, 8, v7
	s_mov_b32 s21, exec_lo
	v_cmpx_ne_u16_e32 0, v7
	s_cbranch_execz .LBB342_451
; %bb.444:                              ;   in Loop: Header=BB342_16 Depth=1
	v_bfrev_b32_e32 v183, 1
	s_mov_b32 s22, exec_lo
	v_cmpx_ne_u16_e32 0x80, v7
	s_cbranch_execz .LBB342_450
; %bb.445:                              ;   in Loop: Header=BB342_16 Depth=1
	v_and_b32_e32 v36, 0xffff, v7
	v_mov_b32_e32 v183, 0x7fc02000
	s_mov_b32 s23, exec_lo
	s_delay_alu instid0(VALU_DEP_2) | instskip(NEXT) | instid1(VALU_DEP_1)
	v_and_b32_e32 v40, 0x7f, v36
	v_cmpx_ne_u32_e32 0x7f, v40
	s_cbranch_execz .LBB342_449
; %bb.446:                              ;   in Loop: Header=BB342_16 Depth=1
	v_and_b32_e32 v7, 7, v36
	v_lshrrev_b32_e32 v183, 3, v40
	s_mov_b32 s24, exec_lo
	v_cmpx_gt_u32_e32 8, v40
; %bb.447:                              ;   in Loop: Header=BB342_16 Depth=1
	s_delay_alu instid0(VALU_DEP_3) | instskip(NEXT) | instid1(VALU_DEP_1)
	v_clz_i32_u32_e32 v183, v7
	v_min_u32_e32 v183, 32, v183
	s_delay_alu instid0(VALU_DEP_1) | instskip(SKIP_1) | instid1(VALU_DEP_2)
	v_subrev_nc_u32_e32 v40, 28, v183
	v_sub_nc_u32_e32 v183, 29, v183
	v_lshlrev_b64 v[40:41], v40, v[7:8]
	s_delay_alu instid0(VALU_DEP_1)
	v_and_b32_e32 v7, 7, v40
; %bb.448:                              ;   in Loop: Header=BB342_16 Depth=1
	s_or_b32 exec_lo, exec_lo, s24
	v_lshlrev_b32_e32 v36, 8, v36
	v_lshl_add_u32 v183, v183, 10, 0x2000
	s_delay_alu instid0(VALU_DEP_1) | instskip(NEXT) | instid1(VALU_DEP_1)
	v_and_or_b32 v36, 0x8000, v36, v183
	v_lshl_or_b32 v7, v7, 7, v36
	s_delay_alu instid0(VALU_DEP_1)
	v_cvt_f32_f16_e64 v183, v7
.LBB342_449:                            ;   in Loop: Header=BB342_16 Depth=1
	s_or_b32 exec_lo, exec_lo, s23
.LBB342_450:                            ;   in Loop: Header=BB342_16 Depth=1
	s_delay_alu instid0(SALU_CYCLE_1)
	s_or_b32 exec_lo, exec_lo, s22
.LBB342_451:                            ;   in Loop: Header=BB342_16 Depth=1
	s_delay_alu instid0(SALU_CYCLE_1) | instskip(SKIP_3) | instid1(VALU_DEP_2)
	s_or_b32 exec_lo, exec_lo, s21
	v_lshrrev_b32_e32 v40, 16, v34
	v_mov_b32_e32 v44, 0
	s_mov_b32 s21, exec_lo
	v_dual_mov_b32 v36, 0 :: v_dual_and_b32 v7, 0xff, v40
	s_delay_alu instid0(VALU_DEP_1)
	v_cmpx_ne_u16_e32 0, v7
	s_cbranch_execz .LBB342_459
; %bb.452:                              ;   in Loop: Header=BB342_16 Depth=1
	v_bfrev_b32_e32 v44, 1
	s_mov_b32 s22, exec_lo
	v_cmpx_ne_u16_e32 0x80, v7
	s_cbranch_execz .LBB342_458
; %bb.453:                              ;   in Loop: Header=BB342_16 Depth=1
	v_bfe_u32 v42, v34, 16, 7
	v_mov_b32_e32 v44, 0x7fc02000
	s_mov_b32 s23, exec_lo
	s_delay_alu instid0(VALU_DEP_2)
	v_cmpx_ne_u32_e32 0x7f, v42
	s_cbranch_execz .LBB342_457
; %bb.454:                              ;   in Loop: Header=BB342_16 Depth=1
	v_and_b32_e32 v7, 7, v40
	v_lshrrev_b32_e32 v41, 3, v42
	s_mov_b32 s24, exec_lo
	v_cmpx_gt_u32_e32 8, v42
; %bb.455:                              ;   in Loop: Header=BB342_16 Depth=1
	s_delay_alu instid0(VALU_DEP_3) | instskip(NEXT) | instid1(VALU_DEP_1)
	v_clz_i32_u32_e32 v41, v7
	v_min_u32_e32 v41, 32, v41
	s_delay_alu instid0(VALU_DEP_1) | instskip(SKIP_1) | instid1(VALU_DEP_2)
	v_subrev_nc_u32_e32 v42, 28, v41
	v_sub_nc_u32_e32 v41, 29, v41
	v_lshlrev_b64 v[42:43], v42, v[7:8]
	s_delay_alu instid0(VALU_DEP_1)
	v_and_b32_e32 v7, 7, v42
; %bb.456:                              ;   in Loop: Header=BB342_16 Depth=1
	s_or_b32 exec_lo, exec_lo, s24
	v_lshlrev_b32_e32 v40, 8, v40
	v_lshl_add_u32 v41, v41, 10, 0x2000
	s_delay_alu instid0(VALU_DEP_1) | instskip(NEXT) | instid1(VALU_DEP_1)
	v_and_or_b32 v40, 0x8000, v40, v41
	v_lshl_or_b32 v7, v7, 7, v40
	s_delay_alu instid0(VALU_DEP_1)
	v_cvt_f32_f16_e32 v44, v7
.LBB342_457:                            ;   in Loop: Header=BB342_16 Depth=1
	s_or_b32 exec_lo, exec_lo, s23
.LBB342_458:                            ;   in Loop: Header=BB342_16 Depth=1
	s_delay_alu instid0(SALU_CYCLE_1)
	s_or_b32 exec_lo, exec_lo, s22
.LBB342_459:                            ;   in Loop: Header=BB342_16 Depth=1
	s_delay_alu instid0(SALU_CYCLE_1) | instskip(NEXT) | instid1(SALU_CYCLE_1)
	s_or_b32 exec_lo, exec_lo, s21
	s_mov_b32 s21, exec_lo
	v_cmpx_lt_u64_e64 s[8:9], v[33:34]
	s_cbranch_execz .LBB342_467
; %bb.460:                              ;   in Loop: Header=BB342_16 Depth=1
	v_lshrrev_b32_e32 v33, 24, v34
	v_bfrev_b32_e32 v36, 1
	s_mov_b32 s22, exec_lo
	s_delay_alu instid0(VALU_DEP_2)
	v_cmpx_ne_u32_e32 0x80, v33
	s_cbranch_execz .LBB342_466
; %bb.461:                              ;   in Loop: Header=BB342_16 Depth=1
	v_and_b32_e32 v40, 0x7f, v33
	v_mov_b32_e32 v36, 0x7fc02000
	s_mov_b32 s23, exec_lo
	s_delay_alu instid0(VALU_DEP_2)
	v_cmpx_ne_u32_e32 0x7f, v40
	s_cbranch_execz .LBB342_465
; %bb.462:                              ;   in Loop: Header=BB342_16 Depth=1
	v_and_b32_e32 v7, 7, v33
	v_lshrrev_b32_e32 v34, 3, v40
	s_mov_b32 s24, exec_lo
	v_cmpx_gt_u32_e32 8, v40
; %bb.463:                              ;   in Loop: Header=BB342_16 Depth=1
	s_delay_alu instid0(VALU_DEP_3) | instskip(NEXT) | instid1(VALU_DEP_1)
	v_clz_i32_u32_e32 v34, v7
	v_min_u32_e32 v34, 32, v34
	s_delay_alu instid0(VALU_DEP_1) | instskip(SKIP_1) | instid1(VALU_DEP_2)
	v_subrev_nc_u32_e32 v36, 28, v34
	v_sub_nc_u32_e32 v34, 29, v34
	v_lshlrev_b64 v[40:41], v36, v[7:8]
	s_delay_alu instid0(VALU_DEP_1)
	v_and_b32_e32 v7, 7, v40
; %bb.464:                              ;   in Loop: Header=BB342_16 Depth=1
	s_or_b32 exec_lo, exec_lo, s24
	v_lshlrev_b32_e32 v33, 8, v33
	v_lshl_add_u32 v34, v34, 10, 0x2000
	s_delay_alu instid0(VALU_DEP_1) | instskip(NEXT) | instid1(VALU_DEP_1)
	v_and_or_b32 v33, 0x8000, v33, v34
	v_lshl_or_b32 v7, v7, 7, v33
	s_delay_alu instid0(VALU_DEP_1)
	v_cvt_f32_f16_e32 v36, v7
.LBB342_465:                            ;   in Loop: Header=BB342_16 Depth=1
	s_or_b32 exec_lo, exec_lo, s23
.LBB342_466:                            ;   in Loop: Header=BB342_16 Depth=1
	s_delay_alu instid0(SALU_CYCLE_1)
	s_or_b32 exec_lo, exec_lo, s22
.LBB342_467:                            ;   in Loop: Header=BB342_16 Depth=1
	s_delay_alu instid0(SALU_CYCLE_1)
	s_or_b32 exec_lo, exec_lo, s21
	flat_load_b64 v[31:32], v[31:32] offset:1544
	v_mov_b32_e32 v47, 0
	s_mov_b32 s21, exec_lo
	s_waitcnt vmcnt(0) lgkmcnt(0)
	v_dual_mov_b32 v56, 0 :: v_dual_and_b32 v7, 0xff, v31
	s_delay_alu instid0(VALU_DEP_1)
	v_cmpx_ne_u16_e32 0, v7
	s_cbranch_execz .LBB342_475
; %bb.468:                              ;   in Loop: Header=BB342_16 Depth=1
	v_bfrev_b32_e32 v47, 1
	s_mov_b32 s22, exec_lo
	v_cmpx_ne_u16_e32 0x80, v7
	s_cbranch_execz .LBB342_474
; %bb.469:                              ;   in Loop: Header=BB342_16 Depth=1
	v_and_b32_e32 v33, 0x7f, v31
	v_mov_b32_e32 v47, 0x7fc02000
	s_mov_b32 s23, exec_lo
	s_delay_alu instid0(VALU_DEP_2)
	v_cmpx_ne_u32_e32 0x7f, v33
	s_cbranch_execz .LBB342_473
; %bb.470:                              ;   in Loop: Header=BB342_16 Depth=1
	v_lshrrev_b32_e32 v7, 3, v33
	v_cmp_gt_u32_e64 s1, 8, v33
	v_dual_mov_b32 v34, v32 :: v_dual_mov_b32 v33, v31
	s_delay_alu instid0(VALU_DEP_2)
	s_and_saveexec_b32 s24, s1
; %bb.471:                              ;   in Loop: Header=BB342_16 Depth=1
	v_and_b32_e32 v7, 7, v31
	s_delay_alu instid0(VALU_DEP_1) | instskip(NEXT) | instid1(VALU_DEP_1)
	v_clz_i32_u32_e32 v7, v7
	v_min_u32_e32 v7, 32, v7
	s_delay_alu instid0(VALU_DEP_1) | instskip(SKIP_1) | instid1(VALU_DEP_2)
	v_subrev_nc_u32_e32 v33, 28, v7
	v_sub_nc_u32_e32 v7, 29, v7
	v_lshlrev_b64 v[33:34], v33, v[31:32]
; %bb.472:                              ;   in Loop: Header=BB342_16 Depth=1
	s_or_b32 exec_lo, exec_lo, s24
	v_lshlrev_b32_e32 v34, 8, v31
	s_delay_alu instid0(VALU_DEP_3) | instskip(NEXT) | instid1(VALU_DEP_3)
	v_lshl_add_u32 v7, v7, 10, 0x2000
	v_lshlrev_b32_e32 v33, 7, v33
	s_delay_alu instid0(VALU_DEP_2) | instskip(NEXT) | instid1(VALU_DEP_1)
	v_and_or_b32 v7, 0x8000, v34, v7
	v_and_or_b32 v7, 0x380, v33, v7
	s_delay_alu instid0(VALU_DEP_1)
	v_cvt_f32_f16_e32 v47, v7
.LBB342_473:                            ;   in Loop: Header=BB342_16 Depth=1
	s_or_b32 exec_lo, exec_lo, s23
.LBB342_474:                            ;   in Loop: Header=BB342_16 Depth=1
	s_delay_alu instid0(SALU_CYCLE_1)
	s_or_b32 exec_lo, exec_lo, s22
.LBB342_475:                            ;   in Loop: Header=BB342_16 Depth=1
	s_delay_alu instid0(SALU_CYCLE_1) | instskip(SKIP_2) | instid1(VALU_DEP_1)
	s_or_b32 exec_lo, exec_lo, s21
	v_lshrrev_b16 v7, 8, v31
	s_mov_b32 s21, exec_lo
	v_cmpx_ne_u16_e32 0, v7
	s_cbranch_execz .LBB342_483
; %bb.476:                              ;   in Loop: Header=BB342_16 Depth=1
	v_bfrev_b32_e32 v56, 1
	s_mov_b32 s22, exec_lo
	v_cmpx_ne_u16_e32 0x80, v7
	s_cbranch_execz .LBB342_482
; %bb.477:                              ;   in Loop: Header=BB342_16 Depth=1
	v_and_b32_e32 v33, 0xffff, v7
	v_mov_b32_e32 v56, 0x7fc02000
	s_mov_b32 s23, exec_lo
	s_delay_alu instid0(VALU_DEP_2) | instskip(NEXT) | instid1(VALU_DEP_1)
	v_and_b32_e32 v40, 0x7f, v33
	v_cmpx_ne_u32_e32 0x7f, v40
	s_cbranch_execz .LBB342_481
; %bb.478:                              ;   in Loop: Header=BB342_16 Depth=1
	v_and_b32_e32 v7, 7, v33
	v_lshrrev_b32_e32 v34, 3, v40
	s_mov_b32 s24, exec_lo
	v_cmpx_gt_u32_e32 8, v40
; %bb.479:                              ;   in Loop: Header=BB342_16 Depth=1
	s_delay_alu instid0(VALU_DEP_3) | instskip(NEXT) | instid1(VALU_DEP_1)
	v_clz_i32_u32_e32 v34, v7
	v_min_u32_e32 v34, 32, v34
	s_delay_alu instid0(VALU_DEP_1) | instskip(SKIP_1) | instid1(VALU_DEP_2)
	v_subrev_nc_u32_e32 v40, 28, v34
	v_sub_nc_u32_e32 v34, 29, v34
	v_lshlrev_b64 v[40:41], v40, v[7:8]
	s_delay_alu instid0(VALU_DEP_1)
	v_and_b32_e32 v7, 7, v40
; %bb.480:                              ;   in Loop: Header=BB342_16 Depth=1
	s_or_b32 exec_lo, exec_lo, s24
	v_lshlrev_b32_e32 v33, 8, v33
	v_lshl_add_u32 v34, v34, 10, 0x2000
	s_delay_alu instid0(VALU_DEP_1) | instskip(NEXT) | instid1(VALU_DEP_1)
	v_and_or_b32 v33, 0x8000, v33, v34
	v_lshl_or_b32 v7, v7, 7, v33
	s_delay_alu instid0(VALU_DEP_1)
	v_cvt_f32_f16_e32 v56, v7
.LBB342_481:                            ;   in Loop: Header=BB342_16 Depth=1
	s_or_b32 exec_lo, exec_lo, s23
.LBB342_482:                            ;   in Loop: Header=BB342_16 Depth=1
	s_delay_alu instid0(SALU_CYCLE_1)
	s_or_b32 exec_lo, exec_lo, s22
.LBB342_483:                            ;   in Loop: Header=BB342_16 Depth=1
	s_delay_alu instid0(SALU_CYCLE_1) | instskip(SKIP_3) | instid1(VALU_DEP_2)
	s_or_b32 exec_lo, exec_lo, s21
	v_lshrrev_b32_e32 v33, 16, v31
	v_mov_b32_e32 v57, 0
	s_mov_b32 s21, exec_lo
	v_dual_mov_b32 v58, 0 :: v_dual_and_b32 v7, 0xff, v33
	s_delay_alu instid0(VALU_DEP_1)
	v_cmpx_ne_u16_e32 0, v7
	s_cbranch_execz .LBB342_491
; %bb.484:                              ;   in Loop: Header=BB342_16 Depth=1
	v_bfrev_b32_e32 v57, 1
	s_mov_b32 s22, exec_lo
	v_cmpx_ne_u16_e32 0x80, v7
	s_cbranch_execz .LBB342_490
; %bb.485:                              ;   in Loop: Header=BB342_16 Depth=1
	v_bfe_u32 v40, v31, 16, 7
	v_mov_b32_e32 v57, 0x7fc02000
	s_mov_b32 s23, exec_lo
	s_delay_alu instid0(VALU_DEP_2)
	v_cmpx_ne_u32_e32 0x7f, v40
	s_cbranch_execz .LBB342_489
; %bb.486:                              ;   in Loop: Header=BB342_16 Depth=1
	v_and_b32_e32 v7, 7, v33
	v_lshrrev_b32_e32 v34, 3, v40
	s_mov_b32 s24, exec_lo
	v_cmpx_gt_u32_e32 8, v40
; %bb.487:                              ;   in Loop: Header=BB342_16 Depth=1
	s_delay_alu instid0(VALU_DEP_3) | instskip(NEXT) | instid1(VALU_DEP_1)
	v_clz_i32_u32_e32 v34, v7
	v_min_u32_e32 v34, 32, v34
	s_delay_alu instid0(VALU_DEP_1) | instskip(SKIP_1) | instid1(VALU_DEP_2)
	v_subrev_nc_u32_e32 v40, 28, v34
	v_sub_nc_u32_e32 v34, 29, v34
	v_lshlrev_b64 v[40:41], v40, v[7:8]
	s_delay_alu instid0(VALU_DEP_1)
	v_and_b32_e32 v7, 7, v40
; %bb.488:                              ;   in Loop: Header=BB342_16 Depth=1
	s_or_b32 exec_lo, exec_lo, s24
	v_lshlrev_b32_e32 v33, 8, v33
	v_lshl_add_u32 v34, v34, 10, 0x2000
	s_delay_alu instid0(VALU_DEP_1) | instskip(NEXT) | instid1(VALU_DEP_1)
	v_and_or_b32 v33, 0x8000, v33, v34
	v_lshl_or_b32 v7, v7, 7, v33
	s_delay_alu instid0(VALU_DEP_1)
	v_cvt_f32_f16_e32 v57, v7
.LBB342_489:                            ;   in Loop: Header=BB342_16 Depth=1
	s_or_b32 exec_lo, exec_lo, s23
.LBB342_490:                            ;   in Loop: Header=BB342_16 Depth=1
	s_delay_alu instid0(SALU_CYCLE_1)
	s_or_b32 exec_lo, exec_lo, s22
.LBB342_491:                            ;   in Loop: Header=BB342_16 Depth=1
	s_delay_alu instid0(SALU_CYCLE_1) | instskip(NEXT) | instid1(SALU_CYCLE_1)
	s_or_b32 exec_lo, exec_lo, s21
	s_mov_b32 s21, exec_lo
	v_cmpx_lt_u32_e32 0xffffff, v31
	s_cbranch_execz .LBB342_499
; %bb.492:                              ;   in Loop: Header=BB342_16 Depth=1
	v_lshrrev_b32_e32 v33, 24, v31
	v_bfrev_b32_e32 v58, 1
	s_mov_b32 s22, exec_lo
	s_delay_alu instid0(VALU_DEP_2)
	v_cmpx_ne_u32_e32 0x80, v33
	s_cbranch_execz .LBB342_498
; %bb.493:                              ;   in Loop: Header=BB342_16 Depth=1
	v_and_b32_e32 v40, 0x7f, v33
	v_mov_b32_e32 v58, 0x7fc02000
	s_mov_b32 s23, exec_lo
	s_delay_alu instid0(VALU_DEP_2)
	v_cmpx_ne_u32_e32 0x7f, v40
	s_cbranch_execz .LBB342_497
; %bb.494:                              ;   in Loop: Header=BB342_16 Depth=1
	v_and_b32_e32 v7, 7, v33
	v_lshrrev_b32_e32 v34, 3, v40
	s_mov_b32 s24, exec_lo
	v_cmpx_gt_u32_e32 8, v40
; %bb.495:                              ;   in Loop: Header=BB342_16 Depth=1
	s_delay_alu instid0(VALU_DEP_3) | instskip(NEXT) | instid1(VALU_DEP_1)
	v_clz_i32_u32_e32 v34, v7
	v_min_u32_e32 v34, 32, v34
	s_delay_alu instid0(VALU_DEP_1) | instskip(SKIP_1) | instid1(VALU_DEP_2)
	v_subrev_nc_u32_e32 v40, 28, v34
	v_sub_nc_u32_e32 v34, 29, v34
	v_lshlrev_b64 v[40:41], v40, v[7:8]
	s_delay_alu instid0(VALU_DEP_1)
	v_and_b32_e32 v7, 7, v40
; %bb.496:                              ;   in Loop: Header=BB342_16 Depth=1
	s_or_b32 exec_lo, exec_lo, s24
	v_lshlrev_b32_e32 v33, 8, v33
	v_lshl_add_u32 v34, v34, 10, 0x2000
	s_delay_alu instid0(VALU_DEP_1) | instskip(NEXT) | instid1(VALU_DEP_1)
	v_and_or_b32 v33, 0x8000, v33, v34
	v_lshl_or_b32 v7, v7, 7, v33
	s_delay_alu instid0(VALU_DEP_1)
	v_cvt_f32_f16_e32 v58, v7
.LBB342_497:                            ;   in Loop: Header=BB342_16 Depth=1
	s_or_b32 exec_lo, exec_lo, s23
.LBB342_498:                            ;   in Loop: Header=BB342_16 Depth=1
	s_delay_alu instid0(SALU_CYCLE_1)
	s_or_b32 exec_lo, exec_lo, s22
.LBB342_499:                            ;   in Loop: Header=BB342_16 Depth=1
	s_delay_alu instid0(SALU_CYCLE_1) | instskip(SKIP_4) | instid1(VALU_DEP_3)
	s_or_b32 exec_lo, exec_lo, s21
	v_dual_mov_b32 v7, v32 :: v_dual_and_b32 v34, 0xff, v32
	v_mov_b32_e32 v59, 0
	v_mov_b32_e32 v33, 0
	s_mov_b32 s21, exec_lo
	v_cmpx_ne_u16_e32 0, v34
	s_cbranch_execz .LBB342_507
; %bb.500:                              ;   in Loop: Header=BB342_16 Depth=1
	v_bfrev_b32_e32 v33, 1
	s_mov_b32 s22, exec_lo
	v_cmpx_ne_u16_e32 0x80, v34
	s_cbranch_execz .LBB342_506
; %bb.501:                              ;   in Loop: Header=BB342_16 Depth=1
	v_and_b32_e32 v34, 0x7f, v32
	v_mov_b32_e32 v33, 0x7fc02000
	s_mov_b32 s23, exec_lo
	s_delay_alu instid0(VALU_DEP_2)
	v_cmpx_ne_u32_e32 0x7f, v34
	s_cbranch_execz .LBB342_505
; %bb.502:                              ;   in Loop: Header=BB342_16 Depth=1
	v_lshrrev_b32_e32 v40, 3, v34
	v_cmp_gt_u32_e64 s1, 8, v34
	v_dual_mov_b32 v34, v8 :: v_dual_mov_b32 v33, v7
	s_delay_alu instid0(VALU_DEP_2)
	s_and_saveexec_b32 s24, s1
; %bb.503:                              ;   in Loop: Header=BB342_16 Depth=1
	v_and_b32_e32 v33, 7, v32
	s_delay_alu instid0(VALU_DEP_1) | instskip(NEXT) | instid1(VALU_DEP_1)
	v_clz_i32_u32_e32 v33, v33
	v_min_u32_e32 v40, 32, v33
	s_delay_alu instid0(VALU_DEP_1) | instskip(SKIP_1) | instid1(VALU_DEP_2)
	v_subrev_nc_u32_e32 v33, 28, v40
	v_sub_nc_u32_e32 v40, 29, v40
	v_lshlrev_b64 v[33:34], v33, v[7:8]
; %bb.504:                              ;   in Loop: Header=BB342_16 Depth=1
	s_or_b32 exec_lo, exec_lo, s24
	v_lshlrev_b32_e32 v34, 8, v32
	s_delay_alu instid0(VALU_DEP_3) | instskip(NEXT) | instid1(VALU_DEP_3)
	v_lshl_add_u32 v40, v40, 10, 0x2000
	v_lshlrev_b32_e32 v33, 7, v33
	s_delay_alu instid0(VALU_DEP_2) | instskip(NEXT) | instid1(VALU_DEP_1)
	v_and_or_b32 v34, 0x8000, v34, v40
	v_and_or_b32 v33, 0x380, v33, v34
	s_delay_alu instid0(VALU_DEP_1)
	v_cvt_f32_f16_e32 v33, v33
.LBB342_505:                            ;   in Loop: Header=BB342_16 Depth=1
	s_or_b32 exec_lo, exec_lo, s23
.LBB342_506:                            ;   in Loop: Header=BB342_16 Depth=1
	s_delay_alu instid0(SALU_CYCLE_1)
	s_or_b32 exec_lo, exec_lo, s22
.LBB342_507:                            ;   in Loop: Header=BB342_16 Depth=1
	s_delay_alu instid0(SALU_CYCLE_1) | instskip(SKIP_2) | instid1(VALU_DEP_1)
	s_or_b32 exec_lo, exec_lo, s21
	v_lshrrev_b16 v7, 8, v7
	s_mov_b32 s21, exec_lo
	v_cmpx_ne_u16_e32 0, v7
	s_cbranch_execz .LBB342_515
; %bb.508:                              ;   in Loop: Header=BB342_16 Depth=1
	v_bfrev_b32_e32 v59, 1
	s_mov_b32 s22, exec_lo
	v_cmpx_ne_u16_e32 0x80, v7
	s_cbranch_execz .LBB342_514
; %bb.509:                              ;   in Loop: Header=BB342_16 Depth=1
	v_and_b32_e32 v34, 0xffff, v7
	v_mov_b32_e32 v59, 0x7fc02000
	s_mov_b32 s23, exec_lo
	s_delay_alu instid0(VALU_DEP_2) | instskip(NEXT) | instid1(VALU_DEP_1)
	v_and_b32_e32 v41, 0x7f, v34
	v_cmpx_ne_u32_e32 0x7f, v41
	s_cbranch_execz .LBB342_513
; %bb.510:                              ;   in Loop: Header=BB342_16 Depth=1
	v_and_b32_e32 v7, 7, v34
	v_lshrrev_b32_e32 v40, 3, v41
	s_mov_b32 s24, exec_lo
	v_cmpx_gt_u32_e32 8, v41
; %bb.511:                              ;   in Loop: Header=BB342_16 Depth=1
	s_delay_alu instid0(VALU_DEP_3) | instskip(NEXT) | instid1(VALU_DEP_1)
	v_clz_i32_u32_e32 v40, v7
	v_min_u32_e32 v40, 32, v40
	s_delay_alu instid0(VALU_DEP_1) | instskip(SKIP_1) | instid1(VALU_DEP_2)
	v_subrev_nc_u32_e32 v41, 28, v40
	v_sub_nc_u32_e32 v40, 29, v40
	v_lshlrev_b64 v[41:42], v41, v[7:8]
	s_delay_alu instid0(VALU_DEP_1)
	v_and_b32_e32 v7, 7, v41
; %bb.512:                              ;   in Loop: Header=BB342_16 Depth=1
	s_or_b32 exec_lo, exec_lo, s24
	v_lshlrev_b32_e32 v34, 8, v34
	v_lshl_add_u32 v40, v40, 10, 0x2000
	s_delay_alu instid0(VALU_DEP_1) | instskip(NEXT) | instid1(VALU_DEP_1)
	v_and_or_b32 v34, 0x8000, v34, v40
	v_lshl_or_b32 v7, v7, 7, v34
	s_delay_alu instid0(VALU_DEP_1)
	v_cvt_f32_f16_e32 v59, v7
.LBB342_513:                            ;   in Loop: Header=BB342_16 Depth=1
	s_or_b32 exec_lo, exec_lo, s23
.LBB342_514:                            ;   in Loop: Header=BB342_16 Depth=1
	s_delay_alu instid0(SALU_CYCLE_1)
	s_or_b32 exec_lo, exec_lo, s22
.LBB342_515:                            ;   in Loop: Header=BB342_16 Depth=1
	s_delay_alu instid0(SALU_CYCLE_1) | instskip(SKIP_3) | instid1(VALU_DEP_2)
	s_or_b32 exec_lo, exec_lo, s21
	v_lshrrev_b32_e32 v34, 16, v32
	v_mov_b32_e32 v61, 0
	s_mov_b32 s21, exec_lo
	v_dual_mov_b32 v60, 0 :: v_dual_and_b32 v7, 0xff, v34
	s_delay_alu instid0(VALU_DEP_1)
	v_cmpx_ne_u16_e32 0, v7
	s_cbranch_execz .LBB342_523
; %bb.516:                              ;   in Loop: Header=BB342_16 Depth=1
	v_bfrev_b32_e32 v61, 1
	s_mov_b32 s22, exec_lo
	v_cmpx_ne_u16_e32 0x80, v7
	s_cbranch_execz .LBB342_522
; %bb.517:                              ;   in Loop: Header=BB342_16 Depth=1
	v_bfe_u32 v41, v32, 16, 7
	v_mov_b32_e32 v61, 0x7fc02000
	s_mov_b32 s23, exec_lo
	s_delay_alu instid0(VALU_DEP_2)
	v_cmpx_ne_u32_e32 0x7f, v41
	s_cbranch_execz .LBB342_521
; %bb.518:                              ;   in Loop: Header=BB342_16 Depth=1
	v_and_b32_e32 v7, 7, v34
	v_lshrrev_b32_e32 v40, 3, v41
	s_mov_b32 s24, exec_lo
	v_cmpx_gt_u32_e32 8, v41
; %bb.519:                              ;   in Loop: Header=BB342_16 Depth=1
	s_delay_alu instid0(VALU_DEP_3) | instskip(NEXT) | instid1(VALU_DEP_1)
	v_clz_i32_u32_e32 v40, v7
	v_min_u32_e32 v40, 32, v40
	s_delay_alu instid0(VALU_DEP_1) | instskip(SKIP_1) | instid1(VALU_DEP_2)
	v_subrev_nc_u32_e32 v41, 28, v40
	v_sub_nc_u32_e32 v40, 29, v40
	v_lshlrev_b64 v[41:42], v41, v[7:8]
	s_delay_alu instid0(VALU_DEP_1)
	v_and_b32_e32 v7, 7, v41
; %bb.520:                              ;   in Loop: Header=BB342_16 Depth=1
	s_or_b32 exec_lo, exec_lo, s24
	v_lshlrev_b32_e32 v34, 8, v34
	v_lshl_add_u32 v40, v40, 10, 0x2000
	s_delay_alu instid0(VALU_DEP_1) | instskip(NEXT) | instid1(VALU_DEP_1)
	v_and_or_b32 v34, 0x8000, v34, v40
	v_lshl_or_b32 v7, v7, 7, v34
	s_delay_alu instid0(VALU_DEP_1)
	v_cvt_f32_f16_e32 v61, v7
.LBB342_521:                            ;   in Loop: Header=BB342_16 Depth=1
	s_or_b32 exec_lo, exec_lo, s23
.LBB342_522:                            ;   in Loop: Header=BB342_16 Depth=1
	s_delay_alu instid0(SALU_CYCLE_1)
	s_or_b32 exec_lo, exec_lo, s22
.LBB342_523:                            ;   in Loop: Header=BB342_16 Depth=1
	s_delay_alu instid0(SALU_CYCLE_1) | instskip(NEXT) | instid1(SALU_CYCLE_1)
	s_or_b32 exec_lo, exec_lo, s21
	s_mov_b32 s21, exec_lo
	v_cmpx_lt_u64_e64 s[8:9], v[31:32]
	s_cbranch_execz .LBB342_14
; %bb.524:                              ;   in Loop: Header=BB342_16 Depth=1
	v_lshrrev_b32_e32 v31, 24, v32
	v_bfrev_b32_e32 v60, 1
	s_mov_b32 s22, exec_lo
	s_delay_alu instid0(VALU_DEP_2)
	v_cmpx_ne_u32_e32 0x80, v31
	s_cbranch_execz .LBB342_13
; %bb.525:                              ;   in Loop: Header=BB342_16 Depth=1
	v_and_b32_e32 v34, 0x7f, v31
	v_mov_b32_e32 v60, 0x7fc02000
	s_mov_b32 s23, exec_lo
	s_delay_alu instid0(VALU_DEP_2)
	v_cmpx_ne_u32_e32 0x7f, v34
	s_cbranch_execz .LBB342_12
; %bb.526:                              ;   in Loop: Header=BB342_16 Depth=1
	v_and_b32_e32 v7, 7, v31
	v_lshrrev_b32_e32 v32, 3, v34
	s_mov_b32 s24, exec_lo
	v_cmpx_gt_u32_e32 8, v34
	s_cbranch_execz .LBB342_11
; %bb.527:                              ;   in Loop: Header=BB342_16 Depth=1
	v_clz_i32_u32_e32 v32, v7
	s_delay_alu instid0(VALU_DEP_1) | instskip(NEXT) | instid1(VALU_DEP_1)
	v_min_u32_e32 v32, 32, v32
	v_subrev_nc_u32_e32 v34, 28, v32
	v_sub_nc_u32_e32 v32, 29, v32
	s_delay_alu instid0(VALU_DEP_2) | instskip(NEXT) | instid1(VALU_DEP_1)
	v_lshlrev_b64 v[40:41], v34, v[7:8]
	v_and_b32_e32 v7, 7, v40
	s_branch .LBB342_11
.LBB342_528:
	s_or_b32 exec_lo, exec_lo, s20
.LBB342_529:
	s_delay_alu instid0(SALU_CYCLE_1) | instskip(SKIP_4) | instid1(VALU_DEP_2)
	s_or_b32 exec_lo, exec_lo, s19
	v_mbcnt_lo_u32_b32 v7, -1, 0
	s_waitcnt lgkmcnt(0)
	s_lshr_b32 s8, s18, 16
	v_max_f32_e32 v20, v67, v67
	v_xor_b32_e32 v8, 16, v7
	v_xor_b32_e32 v13, 8, v7
	;; [unrolled: 1-line block ×4, first 2 shown]
	s_delay_alu instid0(VALU_DEP_4) | instskip(SKIP_4) | instid1(VALU_DEP_2)
	v_cmp_gt_i32_e32 vcc_lo, 32, v8
	v_cndmask_b32_e32 v8, v7, v8, vcc_lo
	v_cmp_gt_i32_e32 vcc_lo, 32, v13
	v_cndmask_b32_e32 v13, v7, v13, vcc_lo
	v_cmp_gt_i32_e32 vcc_lo, 32, v21
	v_lshlrev_b32_e32 v13, 2, v13
	v_lshlrev_b32_e32 v9, 2, v8
	v_cndmask_b32_e32 v21, v7, v21, vcc_lo
	ds_bpermute_b32 v8, v9, v67
	v_lshlrev_b32_e32 v24, 2, v21
	v_xor_b32_e32 v21, 2, v7
	s_delay_alu instid0(VALU_DEP_1) | instskip(SKIP_2) | instid1(VALU_DEP_2)
	v_cmp_gt_i32_e32 vcc_lo, 32, v21
	v_cndmask_b32_e32 v21, v7, v21, vcc_lo
	v_cmp_gt_i32_e32 vcc_lo, 32, v25
	v_lshlrev_b32_e32 v21, 2, v21
	v_cndmask_b32_e32 v25, v7, v25, vcc_lo
	v_cmp_eq_u32_e32 vcc_lo, 0, v50
	s_waitcnt lgkmcnt(0)
	v_max_f32_e32 v8, v8, v8
	s_delay_alu instid0(VALU_DEP_1) | instskip(SKIP_3) | instid1(VALU_DEP_1)
	v_max_f32_e32 v8, v20, v8
	ds_bpermute_b32 v20, v13, v8
	s_waitcnt lgkmcnt(0)
	v_max_f32_e32 v20, v20, v20
	v_max_f32_e32 v8, v8, v20
	ds_bpermute_b32 v20, v24, v8
	s_waitcnt lgkmcnt(0)
	v_max_f32_e32 v20, v20, v20
	s_delay_alu instid0(VALU_DEP_1) | instskip(SKIP_3) | instid1(VALU_DEP_1)
	v_max_f32_e32 v8, v8, v20
	ds_bpermute_b32 v20, v21, v8
	s_waitcnt lgkmcnt(0)
	v_max_f32_e32 v20, v20, v20
	v_dual_max_f32 v7, v8, v20 :: v_dual_lshlrev_b32 v20, 2, v25
	v_lshlrev_b32_e32 v25, 2, v49
	ds_bpermute_b32 v8, v20, v7
	s_and_saveexec_b32 s1, vcc_lo
	s_cbranch_execz .LBB342_531
; %bb.530:
	s_waitcnt lgkmcnt(0)
	v_dual_max_f32 v8, v8, v8 :: v_dual_max_f32 v7, v7, v7
	s_delay_alu instid0(VALU_DEP_1)
	v_max_f32_e32 v7, v7, v8
	ds_store_b32 v25, v7 offset:128
.LBB342_531:
	s_or_b32 exec_lo, exec_lo, s1
	v_cmp_gt_u32_e64 s1, 4, v50
	v_mov_b32_e32 v7, 0xff7fffff
	s_waitcnt lgkmcnt(0)
	s_barrier
	buffer_gl0_inv
	s_and_saveexec_b32 s2, s1
	s_cbranch_execz .LBB342_533
; %bb.532:
	ds_load_b32 v7, v66 offset:128
.LBB342_533:
	s_or_b32 exec_lo, exec_lo, s2
	s_waitcnt lgkmcnt(0)
	ds_bpermute_b32 v8, v21, v7
	v_max_f32_e32 v7, v7, v7
	v_subrev_nc_u32_e32 v29, s13, v52
	v_mov_b32_e32 v28, 0
	s_waitcnt lgkmcnt(0)
	v_max_f32_e32 v8, v8, v8
	s_delay_alu instid0(VALU_DEP_1) | instskip(SKIP_3) | instid1(VALU_DEP_1)
	v_max_f32_e32 v7, v7, v8
	ds_bpermute_b32 v8, v20, v7
	s_waitcnt lgkmcnt(0)
	v_max_f32_e32 v8, v8, v8
	v_max_f32_e32 v7, v7, v8
	v_lshl_add_u32 v8, v29, 5, s3
	ds_bpermute_b32 v7, v28, v7
	v_min_i32_e32 v8, v8, v38
	s_delay_alu instid0(VALU_DEP_1) | instskip(NEXT) | instid1(VALU_DEP_1)
	v_subrev_nc_u32_e32 v8, s3, v8
	v_cmp_lt_i32_e64 s2, v37, v8
	s_delay_alu instid0(VALU_DEP_1)
	s_and_saveexec_b32 s9, s2
	s_cbranch_execz .LBB342_537
; %bb.534:
	s_getpc_b64 s[16:17]
	s_add_u32 s16, s16, llvm.amdgcn.dynlds.offset.table@rel32@lo+4
	s_addc_u32 s17, s17, llvm.amdgcn.dynlds.offset.table@rel32@hi+12
	s_ashr_i32 s7, s6, 31
	v_dual_mov_b32 v28, 0 :: v_dual_mov_b32 v31, v37
	s_lshl_b64 s[18:19], s[6:7], 2
	s_mov_b32 s7, 0
	s_add_u32 s16, s18, s16
	s_addc_u32 s17, s19, s17
	s_load_b32 s3, s[16:17], 0x0
	s_waitcnt lgkmcnt(0)
	v_lshl_add_u32 v29, v37, 2, s3
	.p2align	6
.LBB342_535:                            ; =>This Inner Loop Header: Depth=1
	ds_load_b32 v32, v29
	s_waitcnt lgkmcnt(0)
	v_sub_f32_e32 v32, v32, v7
	s_delay_alu instid0(VALU_DEP_1) | instskip(NEXT) | instid1(VALU_DEP_1)
	v_mul_f32_e32 v32, 0x3fb8aa3b, v32
	v_exp_f32_e32 v32, v32
	s_waitcnt_depctr 0xfff
	v_dual_add_f32 v28, v28, v32 :: v_dual_add_nc_u32 v31, 0x80, v31
	s_delay_alu instid0(VALU_DEP_1) | instskip(SKIP_3) | instid1(SALU_CYCLE_1)
	v_cmp_ge_i32_e64 s3, v31, v8
	ds_store_b32 v29, v32
	v_add_nc_u32_e32 v29, 0x200, v29
	s_or_b32 s7, s3, s7
	s_and_not1_b32 exec_lo, exec_lo, s7
	s_cbranch_execnz .LBB342_535
; %bb.536:
	s_or_b32 exec_lo, exec_lo, s7
.LBB342_537:
	s_delay_alu instid0(SALU_CYCLE_1)
	s_or_b32 exec_lo, exec_lo, s9
	ds_bpermute_b32 v9, v9, v28
	s_waitcnt lgkmcnt(0)
	v_add_f32_e32 v9, v28, v9
	ds_bpermute_b32 v13, v13, v9
	s_waitcnt lgkmcnt(0)
	v_add_f32_e32 v9, v9, v13
	;; [unrolled: 3-line block ×5, first 2 shown]
	s_and_saveexec_b32 s3, vcc_lo
	s_cbranch_execz .LBB342_539
; %bb.538:
	ds_store_b32 v25, v9 offset:144
.LBB342_539:
	s_or_b32 exec_lo, exec_lo, s3
	s_waitcnt lgkmcnt(0)
	s_barrier
	buffer_gl0_inv
	s_and_saveexec_b32 s3, s1
	s_cbranch_execz .LBB342_541
; %bb.540:
	ds_load_b32 v9, v66 offset:144
.LBB342_541:
	s_or_b32 exec_lo, exec_lo, s3
	s_waitcnt lgkmcnt(0)
	ds_bpermute_b32 v13, v21, v9
	s_waitcnt lgkmcnt(0)
	v_add_f32_e32 v9, v9, v13
	ds_bpermute_b32 v13, v20, v9
	s_waitcnt lgkmcnt(0)
	v_add_f32_e32 v9, v9, v13
	v_mov_b32_e32 v13, 0
	ds_bpermute_b32 v9, v13, v9
	s_and_saveexec_b32 s1, s2
	s_cbranch_execz .LBB342_544
; %bb.542:
	s_waitcnt lgkmcnt(0)
	v_add_f32_e32 v24, 0x358637bd, v9
	s_getpc_b64 s[2:3]
	s_add_u32 s2, s2, llvm.amdgcn.dynlds.offset.table@rel32@lo+4
	s_addc_u32 s3, s3, llvm.amdgcn.dynlds.offset.table@rel32@hi+12
	s_ashr_i32 s7, s6, 31
	s_delay_alu instid0(SALU_CYCLE_1) | instskip(SKIP_3) | instid1(VALU_DEP_2)
	s_lshl_b64 s[16:17], s[6:7], 2
	v_div_scale_f32 v13, null, v24, v24, 1.0
	v_div_scale_f32 v29, vcc_lo, 1.0, v24, 1.0
	s_add_u32 s2, s16, s2
	v_rcp_f32_e32 v25, v13
	s_addc_u32 s3, s17, s3
	s_load_b32 s2, s[2:3], 0x0
	s_waitcnt_depctr 0xfff
	v_fma_f32 v28, -v13, v25, 1.0
	s_delay_alu instid0(VALU_DEP_1) | instskip(NEXT) | instid1(VALU_DEP_1)
	v_fmac_f32_e32 v25, v28, v25
	v_mul_f32_e32 v28, v29, v25
	s_delay_alu instid0(VALU_DEP_1) | instskip(NEXT) | instid1(VALU_DEP_1)
	v_fma_f32 v31, -v13, v28, v29
	v_fmac_f32_e32 v28, v31, v25
	s_delay_alu instid0(VALU_DEP_1) | instskip(NEXT) | instid1(VALU_DEP_1)
	v_fma_f32 v13, -v13, v28, v29
	v_div_fmas_f32 v25, v13, v25, v28
	s_waitcnt lgkmcnt(0)
	v_lshl_add_u32 v13, v37, 2, s2
	s_mov_b32 s2, 0
	s_delay_alu instid0(VALU_DEP_2)
	v_div_fixup_f32 v24, v25, v24, 1.0
	v_mov_b32_e32 v25, v37
.LBB342_543:                            ; =>This Inner Loop Header: Depth=1
	ds_load_b32 v28, v13
	s_waitcnt lgkmcnt(0)
	v_dual_mul_f32 v28, v24, v28 :: v_dual_add_nc_u32 v25, 0x80, v25
	s_delay_alu instid0(VALU_DEP_1) | instskip(SKIP_3) | instid1(SALU_CYCLE_1)
	v_cmp_ge_i32_e32 vcc_lo, v25, v8
	ds_store_b32 v13, v28
	v_add_nc_u32_e32 v13, 0x200, v13
	s_or_b32 s2, vcc_lo, s2
	s_and_not1_b32 exec_lo, exec_lo, s2
	s_cbranch_execnz .LBB342_543
.LBB342_544:
	s_or_b32 exec_lo, exec_lo, s1
	v_cmp_ne_u16_e64 s1, s8, 0
	s_waitcnt lgkmcnt(0)
	s_barrier
	buffer_gl0_inv
	s_cmp_lg_u32 s1, 0
	s_addc_u32 s1, s5, 0
	s_mov_b32 s5, exec_lo
	s_mul_i32 s2, s1, s10
	s_delay_alu instid0(SALU_CYCLE_1)
	s_mul_i32 s2, s2, s15
	v_cmpx_eq_u32_e32 0, v37
	s_cbranch_execz .LBB342_546
; %bb.545:
	s_mul_i32 s8, s1, s12
	s_ashr_i32 s15, s14, 31
	s_ashr_i32 s9, s8, 31
	;; [unrolled: 1-line block ×3, first 2 shown]
	s_lshl_b64 s[8:9], s[8:9], 2
	s_lshl_b64 s[12:13], s[14:15], 2
	;; [unrolled: 1-line block ×3, first 2 shown]
	s_add_u32 s3, s12, s8
	s_addc_u32 s7, s13, s9
	s_add_u32 s3, s3, s16
	s_addc_u32 s7, s7, s17
	v_add_co_u32 v2, vcc_lo, s3, v2
	v_add_co_ci_u32_e32 v3, vcc_lo, s7, v3, vcc_lo
	v_add_co_u32 v0, vcc_lo, s3, v0
	v_add_co_ci_u32_e32 v1, vcc_lo, s7, v1, vcc_lo
	flat_store_b32 v[2:3], v7
	flat_store_b32 v[0:1], v9
.LBB342_546:
	s_or_b32 exec_lo, exec_lo, s5
	s_getpc_b64 s[8:9]
	s_add_u32 s8, s8, llvm.amdgcn.dynlds.offset.table@rel32@lo+4
	s_addc_u32 s9, s9, llvm.amdgcn.dynlds.offset.table@rel32@hi+12
	s_ashr_i32 s7, s6, 31
	v_dual_mov_b32 v35, 0 :: v_dual_and_b32 v24, 3, v37
	s_lshl_b64 s[6:7], s[6:7], 2
	v_dual_mov_b32 v25, 0 :: v_dual_mov_b32 v28, 0
	s_add_u32 s6, s6, s8
	s_addc_u32 s7, s7, s9
	v_dual_mov_b32 v31, 0 :: v_dual_mov_b32 v32, 0
	s_load_b32 s10, s[6:7], 0x0
	v_dual_mov_b32 v33, 0 :: v_dual_mov_b32 v34, 0
	v_mov_b32_e32 v29, 0
	s_mov_b32 s5, 0
	s_waitcnt lgkmcnt(0)
	v_mov_b32_e32 v13, s10
	s_and_saveexec_b32 s3, s0
	s_cbranch_execz .LBB342_1080
; %bb.547:
	v_max_i32_e32 v30, v30, v55
	v_add_co_u32 v8, vcc_lo, v10, v12
	v_add_co_ci_u32_e32 v9, vcc_lo, v11, v64, vcc_lo
	s_delay_alu instid0(VALU_DEP_3)
	v_cvt_f32_u32_e32 v0, v30
	v_sub_nc_u32_e32 v11, 0, v30
	v_lshlrev_b32_e32 v7, 3, v37
	v_lshlrev_b64 v[2:3], 2, v[16:17]
	v_dual_mov_b32 v1, 0 :: v_dual_add_nc_u32 v36, -1, v54
	v_rcp_iflag_f32_e32 v0, v0
	v_mov_b32_e32 v54, v38
	v_dual_mov_b32 v29, 0 :: v_dual_lshlrev_b32 v10, 5, v24
	v_dual_mov_b32 v28, 0 :: v_dual_and_b32 v17, 24, v7
	v_and_b32_e32 v7, 0xf8, v7
	v_add_co_u32 v12, vcc_lo, v18, v2
	s_waitcnt_depctr 0xfff
	v_dual_mov_b32 v33, 0 :: v_dual_mul_f32 v0, 0x4f7ffffe, v0
	v_add_co_ci_u32_e32 v13, vcc_lo, v19, v3, vcc_lo
	v_lshl_or_b32 v10, v49, 7, v10
	v_add_co_u32 v2, vcc_lo, v8, v7
	s_delay_alu instid0(VALU_DEP_4) | instskip(SKIP_2) | instid1(VALU_DEP_3)
	v_cvt_u32_f32_e32 v0, v0
	v_add_co_ci_u32_e32 v3, vcc_lo, 0, v9, vcc_lo
	v_add_co_u32 v7, vcc_lo, v14, v12
	v_mul_lo_u32 v11, v11, v0
	v_dual_mov_b32 v34, 0 :: v_dual_mov_b32 v31, 0
	v_dual_mov_b32 v32, 0 :: v_dual_mov_b32 v25, 0
	v_dual_mov_b32 v35, 0 :: v_dual_add_nc_u32 v18, s10, v10
	v_add_co_ci_u32_e32 v8, vcc_lo, v15, v13, vcc_lo
	v_mul_hi_u32 v11, v0, v11
	s_mov_b32 s8, -1
	s_mov_b32 s9, 0xffffff
	s_delay_alu instid0(VALU_DEP_1)
	v_add_nc_u32_e32 v15, v0, v11
	s_branch .LBB342_550
.LBB342_548:                            ;   in Loop: Header=BB342_550 Depth=1
	s_or_b32 exec_lo, exec_lo, s0
	v_dual_add_f32 v11, v13, v14 :: v_dual_add_f32 v14, v98, v99
	v_add_f32_e32 v13, v100, v101
	;;#ASMSTART
	v_pk_mul_f16 v12, v83, v12;

	;;#ASMEND
	;;#ASMSTART
	v_pk_mul_f16 v10, v82, v10;

	;;#ASMEND
	;; [unrolled: 4-line block ×3, first 2 shown]
	v_add_f32_e32 v31, v31, v14
	;;#ASMSTART
	v_pk_mul_f16 v9, v80, v9;

	;;#ASMEND
	;;#ASMSTART
	v_pk_add_f16 v10, v12, v10;

	;;#ASMEND
	v_add_f32_e32 v12, v84, v85
	;;#ASMSTART
	v_pk_add_f16 v0, v10, v0;

	;;#ASMEND
	v_add_f32_e32 v10, v86, v87
	v_dual_add_f32 v25, v25, v11 :: v_dual_add_f32 v28, v28, v13
	s_delay_alu instid0(VALU_DEP_3) | instskip(SKIP_3) | instid1(VALU_DEP_3)
	v_dual_add_f32 v13, v70, v71 :: v_dual_add_f32 v32, v32, v12
	;;#ASMSTART
	v_pk_add_f16 v0, v0, v9;

	;;#ASMEND
	v_and_b32_e32 v9, 0xffff, v0
	v_lshrrev_b32_e32 v0, 16, v0
	v_add_f32_e32 v34, v34, v13
	;;#ASMSTART
	v_cvt_f32_f16 v9, v9;
	;;#ASMEND
	;;#ASMSTART
	v_cvt_f32_f16 v0, v0;
	;;#ASMEND
	s_delay_alu instid0(VALU_DEP_2) | instskip(SKIP_1) | instid1(VALU_DEP_2)
	v_dual_add_f32 v11, v96, v97 :: v_dual_add_f32 v0, v9, v0
	v_add_f32_e32 v29, v29, v10
	v_add_f32_e32 v33, v33, v11
	s_delay_alu instid0(VALU_DEP_3)
	v_add_f32_e32 v35, v35, v0
.LBB342_549:                            ;   in Loop: Header=BB342_550 Depth=1
	s_or_b32 exec_lo, exec_lo, s10
	v_add_nc_u32_e32 v16, 4, v16
	v_add_co_u32 v7, s0, v7, 16
	s_delay_alu instid0(VALU_DEP_1) | instskip(NEXT) | instid1(VALU_DEP_3)
	v_add_co_ci_u32_e64 v8, s0, 0, v8, s0
	v_cmp_ge_i32_e32 vcc_lo, v16, v52
	v_add_nc_u32_e32 v23, 0x80, v23
	v_add_nc_u32_e32 v18, 0x200, v18
	s_or_b32 s5, vcc_lo, s5
	s_delay_alu instid0(SALU_CYCLE_1)
	s_and_not1_b32 exec_lo, exec_lo, s5
	s_cbranch_execz .LBB342_1079
.LBB342_550:                            ; =>This Inner Loop Header: Depth=1
	v_sub_nc_u32_e32 v0, 0, v23
	s_delay_alu instid0(VALU_DEP_1) | instskip(NEXT) | instid1(VALU_DEP_1)
	v_max_i32_e32 v0, v23, v0
	v_mul_hi_u32 v9, v0, v48
	s_delay_alu instid0(VALU_DEP_1) | instskip(NEXT) | instid1(VALU_DEP_1)
	v_mul_lo_u32 v10, v9, v39
	v_sub_nc_u32_e32 v0, v0, v10
	v_add_nc_u32_e32 v10, 1, v9
	s_delay_alu instid0(VALU_DEP_2) | instskip(SKIP_1) | instid1(VALU_DEP_2)
	v_sub_nc_u32_e32 v11, v0, v39
	v_cmp_ge_u32_e32 vcc_lo, v0, v39
	v_dual_cndmask_b32 v9, v9, v10 :: v_dual_cndmask_b32 v0, v0, v11
	v_ashrrev_i32_e32 v10, 31, v23
	s_delay_alu instid0(VALU_DEP_2) | instskip(NEXT) | instid1(VALU_DEP_3)
	v_add_nc_u32_e32 v11, 1, v9
	v_cmp_ge_u32_e32 vcc_lo, v0, v39
	s_delay_alu instid0(VALU_DEP_3) | instskip(NEXT) | instid1(VALU_DEP_3)
	v_xor_b32_e32 v10, v10, v51
	v_cndmask_b32_e32 v0, v9, v11, vcc_lo
	s_delay_alu instid0(VALU_DEP_1) | instskip(NEXT) | instid1(VALU_DEP_1)
	v_xor_b32_e32 v0, v0, v10
	v_sub_nc_u32_e32 v0, v0, v10
	s_delay_alu instid0(VALU_DEP_1) | instskip(SKIP_1) | instid1(VALU_DEP_2)
	v_add_nc_u32_e32 v9, v0, v6
	v_cmp_gt_i32_e64 s0, v0, v53
	v_sub_nc_u32_e32 v10, 0, v9
	s_delay_alu instid0(VALU_DEP_1) | instskip(NEXT) | instid1(VALU_DEP_1)
	v_max_i32_e32 v10, v9, v10
	v_mul_hi_u32 v11, v10, v15
	s_delay_alu instid0(VALU_DEP_1) | instskip(NEXT) | instid1(VALU_DEP_1)
	v_mul_lo_u32 v11, v11, v30
	v_sub_nc_u32_e32 v10, v10, v11
	s_delay_alu instid0(VALU_DEP_1) | instskip(SKIP_1) | instid1(VALU_DEP_2)
	v_sub_nc_u32_e32 v11, v10, v30
	v_cmp_ge_u32_e32 vcc_lo, v10, v30
	v_cndmask_b32_e32 v10, v10, v11, vcc_lo
	v_ashrrev_i32_e32 v9, 31, v9
	s_delay_alu instid0(VALU_DEP_2) | instskip(SKIP_1) | instid1(VALU_DEP_2)
	v_sub_nc_u32_e32 v11, v10, v30
	v_cmp_ge_u32_e32 vcc_lo, v10, v30
	v_cndmask_b32_e32 v10, v10, v11, vcc_lo
	s_delay_alu instid0(VALU_DEP_1) | instskip(NEXT) | instid1(VALU_DEP_1)
	v_xor_b32_e32 v10, v10, v9
	v_sub_nc_u32_e32 v9, v10, v9
	s_delay_alu instid0(VALU_DEP_1) | instskip(SKIP_1) | instid1(SALU_CYCLE_1)
	v_cmp_eq_u32_e32 vcc_lo, 0, v9
	s_or_b32 s0, vcc_lo, s0
	s_and_saveexec_b32 s10, s0
	s_cbranch_execz .LBB342_549
; %bb.551:                              ;   in Loop: Header=BB342_550 Depth=1
	flat_load_b32 v0, v[7:8]
	ds_load_2addr_b64 v[10:13], v18 offset1:1
	ds_load_2addr_b64 v[64:67], v18 offset0:2 offset1:3
	s_mov_b32 s0, exec_lo
	s_waitcnt lgkmcnt(1)
	;;#ASMSTART
	v_cvt_f16_f32 v70, v10;

	;;#ASMEND
	;;#ASMSTART
	v_cvt_f16_f32 v71, v11;

	;;#ASMEND
	;; [unrolled: 4-line block ×4, first 2 shown]
	s_waitcnt lgkmcnt(0)
	;;#ASMSTART
	v_cvt_f16_f32 v83, v64;

	;;#ASMEND
	;;#ASMSTART
	v_cvt_f16_f32 v81, v65;

	;;#ASMEND
	;; [unrolled: 4-line block ×4, first 2 shown]
	v_dual_mov_b32 v64, 0 :: v_dual_mov_b32 v19, 0
	s_waitcnt vmcnt(0)
	v_mad_i64_i32 v[9:10], null, v0, v22, v[2:3]
	flat_load_b64 v[11:12], v[9:10]
	flat_load_b32 v55, v[26:27]
	s_waitcnt vmcnt(1) lgkmcnt(1)
	v_and_b32_e32 v0, 0xff, v11
	s_delay_alu instid0(VALU_DEP_1)
	v_cmpx_ne_u16_e32 0, v0
	s_cbranch_execz .LBB342_559
; %bb.552:                              ;   in Loop: Header=BB342_550 Depth=1
	v_bfrev_b32_e32 v64, 1
	s_mov_b32 s12, exec_lo
	v_cmpx_ne_u16_e32 0x80, v0
	s_cbranch_execz .LBB342_558
; %bb.553:                              ;   in Loop: Header=BB342_550 Depth=1
	v_and_b32_e32 v13, 0x7f, v11
	v_mov_b32_e32 v64, 0x7fc02000
	s_mov_b32 s13, exec_lo
	s_delay_alu instid0(VALU_DEP_2)
	v_cmpx_ne_u32_e32 0x7f, v13
	s_cbranch_execz .LBB342_557
; %bb.554:                              ;   in Loop: Header=BB342_550 Depth=1
	v_lshrrev_b32_e32 v0, 3, v13
	v_cmp_gt_u32_e32 vcc_lo, 8, v13
	v_dual_mov_b32 v14, v12 :: v_dual_mov_b32 v13, v11
	s_and_saveexec_b32 s15, vcc_lo
; %bb.555:                              ;   in Loop: Header=BB342_550 Depth=1
	v_and_b32_e32 v0, 7, v11
	s_delay_alu instid0(VALU_DEP_1) | instskip(NEXT) | instid1(VALU_DEP_1)
	v_clz_i32_u32_e32 v0, v0
	v_min_u32_e32 v0, 32, v0
	s_delay_alu instid0(VALU_DEP_1) | instskip(SKIP_1) | instid1(VALU_DEP_2)
	v_subrev_nc_u32_e32 v13, 28, v0
	v_sub_nc_u32_e32 v0, 29, v0
	v_lshlrev_b64 v[13:14], v13, v[11:12]
; %bb.556:                              ;   in Loop: Header=BB342_550 Depth=1
	s_or_b32 exec_lo, exec_lo, s15
	v_lshlrev_b32_e32 v14, 8, v11
	s_delay_alu instid0(VALU_DEP_3) | instskip(NEXT) | instid1(VALU_DEP_3)
	v_lshl_add_u32 v0, v0, 10, 0x2000
	v_lshlrev_b32_e32 v13, 7, v13
	s_delay_alu instid0(VALU_DEP_2) | instskip(NEXT) | instid1(VALU_DEP_1)
	v_and_or_b32 v0, 0x8000, v14, v0
	v_and_or_b32 v0, 0x380, v13, v0
	s_delay_alu instid0(VALU_DEP_1)
	v_cvt_f32_f16_e32 v64, v0
.LBB342_557:                            ;   in Loop: Header=BB342_550 Depth=1
	s_or_b32 exec_lo, exec_lo, s13
.LBB342_558:                            ;   in Loop: Header=BB342_550 Depth=1
	s_delay_alu instid0(SALU_CYCLE_1)
	s_or_b32 exec_lo, exec_lo, s12
.LBB342_559:                            ;   in Loop: Header=BB342_550 Depth=1
	s_delay_alu instid0(SALU_CYCLE_1) | instskip(SKIP_2) | instid1(VALU_DEP_1)
	s_or_b32 exec_lo, exec_lo, s0
	v_lshrrev_b16 v0, 8, v11
	s_mov_b32 s0, exec_lo
	v_cmpx_ne_u16_e32 0, v0
	s_cbranch_execz .LBB342_567
; %bb.560:                              ;   in Loop: Header=BB342_550 Depth=1
	v_bfrev_b32_e32 v19, 1
	s_mov_b32 s12, exec_lo
	v_cmpx_ne_u16_e32 0x80, v0
	s_cbranch_execz .LBB342_566
; %bb.561:                              ;   in Loop: Header=BB342_550 Depth=1
	v_and_b32_e32 v13, 0xffff, v0
	v_mov_b32_e32 v19, 0x7fc02000
	s_mov_b32 s13, exec_lo
	s_delay_alu instid0(VALU_DEP_2) | instskip(NEXT) | instid1(VALU_DEP_1)
	v_and_b32_e32 v65, 0x7f, v13
	v_cmpx_ne_u32_e32 0x7f, v65
	s_cbranch_execz .LBB342_565
; %bb.562:                              ;   in Loop: Header=BB342_550 Depth=1
	v_and_b32_e32 v0, 7, v13
	v_lshrrev_b32_e32 v14, 3, v65
	s_mov_b32 s15, exec_lo
	v_cmpx_gt_u32_e32 8, v65
; %bb.563:                              ;   in Loop: Header=BB342_550 Depth=1
	s_delay_alu instid0(VALU_DEP_3) | instskip(NEXT) | instid1(VALU_DEP_1)
	v_clz_i32_u32_e32 v14, v0
	v_min_u32_e32 v14, 32, v14
	s_delay_alu instid0(VALU_DEP_1) | instskip(SKIP_1) | instid1(VALU_DEP_2)
	v_subrev_nc_u32_e32 v19, 28, v14
	v_sub_nc_u32_e32 v14, 29, v14
	v_lshlrev_b64 v[65:66], v19, v[0:1]
	s_delay_alu instid0(VALU_DEP_1)
	v_and_b32_e32 v0, 7, v65
; %bb.564:                              ;   in Loop: Header=BB342_550 Depth=1
	s_or_b32 exec_lo, exec_lo, s15
	v_lshlrev_b32_e32 v13, 8, v13
	v_lshl_add_u32 v14, v14, 10, 0x2000
	s_delay_alu instid0(VALU_DEP_1) | instskip(NEXT) | instid1(VALU_DEP_1)
	v_and_or_b32 v13, 0x8000, v13, v14
	v_lshl_or_b32 v0, v0, 7, v13
	s_delay_alu instid0(VALU_DEP_1)
	v_cvt_f32_f16_e32 v19, v0
.LBB342_565:                            ;   in Loop: Header=BB342_550 Depth=1
	s_or_b32 exec_lo, exec_lo, s13
.LBB342_566:                            ;   in Loop: Header=BB342_550 Depth=1
	s_delay_alu instid0(SALU_CYCLE_1)
	s_or_b32 exec_lo, exec_lo, s12
.LBB342_567:                            ;   in Loop: Header=BB342_550 Depth=1
	s_delay_alu instid0(SALU_CYCLE_1) | instskip(SKIP_3) | instid1(VALU_DEP_2)
	s_or_b32 exec_lo, exec_lo, s0
	v_lshrrev_b32_e32 v13, 16, v11
	v_mov_b32_e32 v66, 0
	s_mov_b32 s0, exec_lo
	v_dual_mov_b32 v65, 0 :: v_dual_and_b32 v0, 0xff, v13
	s_delay_alu instid0(VALU_DEP_1)
	v_cmpx_ne_u16_e32 0, v0
	s_cbranch_execz .LBB342_575
; %bb.568:                              ;   in Loop: Header=BB342_550 Depth=1
	v_bfrev_b32_e32 v65, 1
	s_mov_b32 s12, exec_lo
	v_cmpx_ne_u16_e32 0x80, v0
	s_cbranch_execz .LBB342_574
; %bb.569:                              ;   in Loop: Header=BB342_550 Depth=1
	v_bfe_u32 v67, v11, 16, 7
	v_mov_b32_e32 v65, 0x7fc02000
	s_mov_b32 s13, exec_lo
	s_delay_alu instid0(VALU_DEP_2)
	v_cmpx_ne_u32_e32 0x7f, v67
	s_cbranch_execz .LBB342_573
; %bb.570:                              ;   in Loop: Header=BB342_550 Depth=1
	v_and_b32_e32 v0, 7, v13
	v_lshrrev_b32_e32 v14, 3, v67
	s_mov_b32 s15, exec_lo
	v_cmpx_gt_u32_e32 8, v67
; %bb.571:                              ;   in Loop: Header=BB342_550 Depth=1
	s_delay_alu instid0(VALU_DEP_3) | instskip(NEXT) | instid1(VALU_DEP_1)
	v_clz_i32_u32_e32 v14, v0
	v_min_u32_e32 v14, 32, v14
	s_delay_alu instid0(VALU_DEP_1) | instskip(SKIP_1) | instid1(VALU_DEP_2)
	v_subrev_nc_u32_e32 v65, 28, v14
	v_sub_nc_u32_e32 v14, 29, v14
	v_lshlrev_b64 v[67:68], v65, v[0:1]
	s_delay_alu instid0(VALU_DEP_1)
	v_and_b32_e32 v0, 7, v67
; %bb.572:                              ;   in Loop: Header=BB342_550 Depth=1
	s_or_b32 exec_lo, exec_lo, s15
	v_lshlrev_b32_e32 v13, 8, v13
	v_lshl_add_u32 v14, v14, 10, 0x2000
	s_delay_alu instid0(VALU_DEP_1) | instskip(NEXT) | instid1(VALU_DEP_1)
	v_and_or_b32 v13, 0x8000, v13, v14
	v_lshl_or_b32 v0, v0, 7, v13
	s_delay_alu instid0(VALU_DEP_1)
	v_cvt_f32_f16_e32 v65, v0
.LBB342_573:                            ;   in Loop: Header=BB342_550 Depth=1
	s_or_b32 exec_lo, exec_lo, s13
.LBB342_574:                            ;   in Loop: Header=BB342_550 Depth=1
	s_delay_alu instid0(SALU_CYCLE_1)
	s_or_b32 exec_lo, exec_lo, s12
.LBB342_575:                            ;   in Loop: Header=BB342_550 Depth=1
	s_delay_alu instid0(SALU_CYCLE_1) | instskip(NEXT) | instid1(SALU_CYCLE_1)
	s_or_b32 exec_lo, exec_lo, s0
	s_mov_b32 s0, exec_lo
	v_cmpx_lt_u32_e32 0xffffff, v11
	s_cbranch_execz .LBB342_583
; %bb.576:                              ;   in Loop: Header=BB342_550 Depth=1
	v_lshrrev_b32_e32 v13, 24, v11
	v_bfrev_b32_e32 v66, 1
	s_mov_b32 s12, exec_lo
	s_delay_alu instid0(VALU_DEP_2)
	v_cmpx_ne_u32_e32 0x80, v13
	s_cbranch_execz .LBB342_582
; %bb.577:                              ;   in Loop: Header=BB342_550 Depth=1
	v_and_b32_e32 v67, 0x7f, v13
	v_mov_b32_e32 v66, 0x7fc02000
	s_mov_b32 s13, exec_lo
	s_delay_alu instid0(VALU_DEP_2)
	v_cmpx_ne_u32_e32 0x7f, v67
	s_cbranch_execz .LBB342_581
; %bb.578:                              ;   in Loop: Header=BB342_550 Depth=1
	v_and_b32_e32 v0, 7, v13
	v_lshrrev_b32_e32 v14, 3, v67
	s_mov_b32 s15, exec_lo
	v_cmpx_gt_u32_e32 8, v67
; %bb.579:                              ;   in Loop: Header=BB342_550 Depth=1
	s_delay_alu instid0(VALU_DEP_3) | instskip(NEXT) | instid1(VALU_DEP_1)
	v_clz_i32_u32_e32 v14, v0
	v_min_u32_e32 v14, 32, v14
	s_delay_alu instid0(VALU_DEP_1) | instskip(SKIP_1) | instid1(VALU_DEP_2)
	v_subrev_nc_u32_e32 v66, 28, v14
	v_sub_nc_u32_e32 v14, 29, v14
	v_lshlrev_b64 v[66:67], v66, v[0:1]
	s_delay_alu instid0(VALU_DEP_1)
	v_and_b32_e32 v0, 7, v66
; %bb.580:                              ;   in Loop: Header=BB342_550 Depth=1
	s_or_b32 exec_lo, exec_lo, s15
	v_lshlrev_b32_e32 v13, 8, v13
	v_lshl_add_u32 v14, v14, 10, 0x2000
	s_delay_alu instid0(VALU_DEP_1) | instskip(NEXT) | instid1(VALU_DEP_1)
	v_and_or_b32 v13, 0x8000, v13, v14
	v_lshl_or_b32 v0, v0, 7, v13
	s_delay_alu instid0(VALU_DEP_1)
	v_cvt_f32_f16_e32 v66, v0
.LBB342_581:                            ;   in Loop: Header=BB342_550 Depth=1
	s_or_b32 exec_lo, exec_lo, s13
.LBB342_582:                            ;   in Loop: Header=BB342_550 Depth=1
	s_delay_alu instid0(SALU_CYCLE_1)
	s_or_b32 exec_lo, exec_lo, s12
.LBB342_583:                            ;   in Loop: Header=BB342_550 Depth=1
	s_delay_alu instid0(SALU_CYCLE_1) | instskip(SKIP_3) | instid1(VALU_DEP_2)
	s_or_b32 exec_lo, exec_lo, s0
	v_dual_mov_b32 v67, 0 :: v_dual_and_b32 v14, 0xff, v12
	v_dual_mov_b32 v0, v12 :: v_dual_mov_b32 v13, 0
	s_mov_b32 s0, exec_lo
	v_cmpx_ne_u16_e32 0, v14
	s_cbranch_execz .LBB342_591
; %bb.584:                              ;   in Loop: Header=BB342_550 Depth=1
	v_bfrev_b32_e32 v13, 1
	s_mov_b32 s12, exec_lo
	v_cmpx_ne_u16_e32 0x80, v14
	s_cbranch_execz .LBB342_590
; %bb.585:                              ;   in Loop: Header=BB342_550 Depth=1
	v_and_b32_e32 v14, 0x7f, v12
	v_mov_b32_e32 v13, 0x7fc02000
	s_mov_b32 s13, exec_lo
	s_delay_alu instid0(VALU_DEP_2)
	v_cmpx_ne_u32_e32 0x7f, v14
	s_cbranch_execz .LBB342_589
; %bb.586:                              ;   in Loop: Header=BB342_550 Depth=1
	v_lshrrev_b32_e32 v68, 3, v14
	v_cmp_gt_u32_e32 vcc_lo, 8, v14
	v_dual_mov_b32 v14, v1 :: v_dual_mov_b32 v13, v0
	s_and_saveexec_b32 s15, vcc_lo
; %bb.587:                              ;   in Loop: Header=BB342_550 Depth=1
	v_and_b32_e32 v13, 7, v12
	s_delay_alu instid0(VALU_DEP_1) | instskip(NEXT) | instid1(VALU_DEP_1)
	v_clz_i32_u32_e32 v13, v13
	v_min_u32_e32 v68, 32, v13
	s_delay_alu instid0(VALU_DEP_1) | instskip(SKIP_1) | instid1(VALU_DEP_2)
	v_subrev_nc_u32_e32 v13, 28, v68
	v_sub_nc_u32_e32 v68, 29, v68
	v_lshlrev_b64 v[13:14], v13, v[0:1]
; %bb.588:                              ;   in Loop: Header=BB342_550 Depth=1
	s_or_b32 exec_lo, exec_lo, s15
	v_lshlrev_b32_e32 v14, 8, v12
	s_delay_alu instid0(VALU_DEP_3) | instskip(NEXT) | instid1(VALU_DEP_3)
	v_lshl_add_u32 v68, v68, 10, 0x2000
	v_lshlrev_b32_e32 v13, 7, v13
	s_delay_alu instid0(VALU_DEP_2) | instskip(NEXT) | instid1(VALU_DEP_1)
	v_and_or_b32 v14, 0x8000, v14, v68
	v_and_or_b32 v13, 0x380, v13, v14
	s_delay_alu instid0(VALU_DEP_1)
	v_cvt_f32_f16_e32 v13, v13
.LBB342_589:                            ;   in Loop: Header=BB342_550 Depth=1
	s_or_b32 exec_lo, exec_lo, s13
.LBB342_590:                            ;   in Loop: Header=BB342_550 Depth=1
	s_delay_alu instid0(SALU_CYCLE_1)
	s_or_b32 exec_lo, exec_lo, s12
.LBB342_591:                            ;   in Loop: Header=BB342_550 Depth=1
	s_delay_alu instid0(SALU_CYCLE_1) | instskip(SKIP_2) | instid1(VALU_DEP_1)
	s_or_b32 exec_lo, exec_lo, s0
	v_lshrrev_b16 v0, 8, v0
	s_mov_b32 s0, exec_lo
	v_cmpx_ne_u16_e32 0, v0
	s_cbranch_execz .LBB342_599
; %bb.592:                              ;   in Loop: Header=BB342_550 Depth=1
	v_bfrev_b32_e32 v67, 1
	s_mov_b32 s12, exec_lo
	v_cmpx_ne_u16_e32 0x80, v0
	s_cbranch_execz .LBB342_598
; %bb.593:                              ;   in Loop: Header=BB342_550 Depth=1
	v_and_b32_e32 v14, 0xffff, v0
	v_mov_b32_e32 v67, 0x7fc02000
	s_mov_b32 s13, exec_lo
	s_delay_alu instid0(VALU_DEP_2) | instskip(NEXT) | instid1(VALU_DEP_1)
	v_and_b32_e32 v68, 0x7f, v14
	v_cmpx_ne_u32_e32 0x7f, v68
	s_cbranch_execz .LBB342_597
; %bb.594:                              ;   in Loop: Header=BB342_550 Depth=1
	v_and_b32_e32 v0, 7, v14
	v_lshrrev_b32_e32 v67, 3, v68
	s_mov_b32 s15, exec_lo
	v_cmpx_gt_u32_e32 8, v68
; %bb.595:                              ;   in Loop: Header=BB342_550 Depth=1
	s_delay_alu instid0(VALU_DEP_3) | instskip(NEXT) | instid1(VALU_DEP_1)
	v_clz_i32_u32_e32 v67, v0
	v_min_u32_e32 v67, 32, v67
	s_delay_alu instid0(VALU_DEP_1) | instskip(SKIP_1) | instid1(VALU_DEP_2)
	v_subrev_nc_u32_e32 v68, 28, v67
	v_sub_nc_u32_e32 v67, 29, v67
	v_lshlrev_b64 v[68:69], v68, v[0:1]
	s_delay_alu instid0(VALU_DEP_1)
	v_and_b32_e32 v0, 7, v68
; %bb.596:                              ;   in Loop: Header=BB342_550 Depth=1
	s_or_b32 exec_lo, exec_lo, s15
	v_lshlrev_b32_e32 v14, 8, v14
	v_lshl_add_u32 v67, v67, 10, 0x2000
	s_delay_alu instid0(VALU_DEP_1) | instskip(NEXT) | instid1(VALU_DEP_1)
	v_and_or_b32 v14, 0x8000, v14, v67
	v_lshl_or_b32 v0, v0, 7, v14
	s_delay_alu instid0(VALU_DEP_1)
	v_cvt_f32_f16_e32 v67, v0
.LBB342_597:                            ;   in Loop: Header=BB342_550 Depth=1
	s_or_b32 exec_lo, exec_lo, s13
.LBB342_598:                            ;   in Loop: Header=BB342_550 Depth=1
	s_delay_alu instid0(SALU_CYCLE_1)
	s_or_b32 exec_lo, exec_lo, s12
.LBB342_599:                            ;   in Loop: Header=BB342_550 Depth=1
	s_delay_alu instid0(SALU_CYCLE_1) | instskip(SKIP_4) | instid1(VALU_DEP_3)
	s_or_b32 exec_lo, exec_lo, s0
	v_lshrrev_b32_e32 v69, 16, v12
	v_mov_b32_e32 v68, 0
	v_mov_b32_e32 v14, 0
	s_mov_b32 s0, exec_lo
	v_and_b32_e32 v0, 0xff, v69
	s_delay_alu instid0(VALU_DEP_1)
	v_cmpx_ne_u16_e32 0, v0
	s_cbranch_execz .LBB342_607
; %bb.600:                              ;   in Loop: Header=BB342_550 Depth=1
	v_bfrev_b32_e32 v14, 1
	s_mov_b32 s12, exec_lo
	v_cmpx_ne_u16_e32 0x80, v0
	s_cbranch_execz .LBB342_606
; %bb.601:                              ;   in Loop: Header=BB342_550 Depth=1
	v_bfe_u32 v86, v12, 16, 7
	v_mov_b32_e32 v14, 0x7fc02000
	s_mov_b32 s13, exec_lo
	s_delay_alu instid0(VALU_DEP_2)
	v_cmpx_ne_u32_e32 0x7f, v86
	s_cbranch_execz .LBB342_605
; %bb.602:                              ;   in Loop: Header=BB342_550 Depth=1
	v_and_b32_e32 v0, 7, v69
	v_lshrrev_b32_e32 v14, 3, v86
	s_mov_b32 s15, exec_lo
	v_cmpx_gt_u32_e32 8, v86
; %bb.603:                              ;   in Loop: Header=BB342_550 Depth=1
	s_delay_alu instid0(VALU_DEP_3) | instskip(NEXT) | instid1(VALU_DEP_1)
	v_clz_i32_u32_e32 v14, v0
	v_min_u32_e32 v14, 32, v14
	s_delay_alu instid0(VALU_DEP_1) | instskip(SKIP_1) | instid1(VALU_DEP_2)
	v_subrev_nc_u32_e32 v86, 28, v14
	v_sub_nc_u32_e32 v14, 29, v14
	v_lshlrev_b64 v[86:87], v86, v[0:1]
	s_delay_alu instid0(VALU_DEP_1)
	v_and_b32_e32 v0, 7, v86
; %bb.604:                              ;   in Loop: Header=BB342_550 Depth=1
	s_or_b32 exec_lo, exec_lo, s15
	v_lshlrev_b32_e32 v69, 8, v69
	v_lshl_add_u32 v14, v14, 10, 0x2000
	s_delay_alu instid0(VALU_DEP_1) | instskip(NEXT) | instid1(VALU_DEP_1)
	v_and_or_b32 v14, 0x8000, v69, v14
	v_lshl_or_b32 v0, v0, 7, v14
	s_delay_alu instid0(VALU_DEP_1)
	v_cvt_f32_f16_e32 v14, v0
.LBB342_605:                            ;   in Loop: Header=BB342_550 Depth=1
	s_or_b32 exec_lo, exec_lo, s13
.LBB342_606:                            ;   in Loop: Header=BB342_550 Depth=1
	s_delay_alu instid0(SALU_CYCLE_1)
	s_or_b32 exec_lo, exec_lo, s12
.LBB342_607:                            ;   in Loop: Header=BB342_550 Depth=1
	s_delay_alu instid0(SALU_CYCLE_1) | instskip(NEXT) | instid1(SALU_CYCLE_1)
	s_or_b32 exec_lo, exec_lo, s0
	s_mov_b32 s0, exec_lo
	v_cmpx_lt_u64_e64 s[8:9], v[11:12]
	s_cbranch_execz .LBB342_615
; %bb.608:                              ;   in Loop: Header=BB342_550 Depth=1
	v_lshrrev_b32_e32 v11, 24, v12
	v_bfrev_b32_e32 v68, 1
	s_mov_b32 s12, exec_lo
	s_delay_alu instid0(VALU_DEP_2)
	v_cmpx_ne_u32_e32 0x80, v11
	s_cbranch_execz .LBB342_614
; %bb.609:                              ;   in Loop: Header=BB342_550 Depth=1
	v_and_b32_e32 v69, 0x7f, v11
	v_mov_b32_e32 v68, 0x7fc02000
	s_mov_b32 s13, exec_lo
	s_delay_alu instid0(VALU_DEP_2)
	v_cmpx_ne_u32_e32 0x7f, v69
	s_cbranch_execz .LBB342_613
; %bb.610:                              ;   in Loop: Header=BB342_550 Depth=1
	v_and_b32_e32 v0, 7, v11
	v_lshrrev_b32_e32 v12, 3, v69
	s_mov_b32 s15, exec_lo
	v_cmpx_gt_u32_e32 8, v69
; %bb.611:                              ;   in Loop: Header=BB342_550 Depth=1
	s_delay_alu instid0(VALU_DEP_3) | instskip(NEXT) | instid1(VALU_DEP_1)
	v_clz_i32_u32_e32 v12, v0
	v_min_u32_e32 v12, 32, v12
	s_delay_alu instid0(VALU_DEP_1) | instskip(SKIP_1) | instid1(VALU_DEP_2)
	v_subrev_nc_u32_e32 v68, 28, v12
	v_sub_nc_u32_e32 v12, 29, v12
	v_lshlrev_b64 v[68:69], v68, v[0:1]
	s_delay_alu instid0(VALU_DEP_1)
	v_and_b32_e32 v0, 7, v68
; %bb.612:                              ;   in Loop: Header=BB342_550 Depth=1
	s_or_b32 exec_lo, exec_lo, s15
	v_lshlrev_b32_e32 v11, 8, v11
	v_lshl_add_u32 v12, v12, 10, 0x2000
	s_delay_alu instid0(VALU_DEP_1) | instskip(NEXT) | instid1(VALU_DEP_1)
	v_and_or_b32 v11, 0x8000, v11, v12
	v_lshl_or_b32 v0, v0, 7, v11
	s_delay_alu instid0(VALU_DEP_1)
	v_cvt_f32_f16_e32 v68, v0
.LBB342_613:                            ;   in Loop: Header=BB342_550 Depth=1
	s_or_b32 exec_lo, exec_lo, s13
.LBB342_614:                            ;   in Loop: Header=BB342_550 Depth=1
	s_delay_alu instid0(SALU_CYCLE_1)
	s_or_b32 exec_lo, exec_lo, s12
.LBB342_615:                            ;   in Loop: Header=BB342_550 Depth=1
	s_delay_alu instid0(SALU_CYCLE_1)
	s_or_b32 exec_lo, exec_lo, s0
	s_waitcnt vmcnt(0) lgkmcnt(0)
	v_fma_mixlo_f16 v12, v55, v19, 0
	v_fma_mixlo_f16 v0, v55, v66, 0
	;; [unrolled: 1-line block ×5, first 2 shown]
	v_lshlrev_b32_e32 v65, 16, v12
	v_fma_mixlo_f16 v12, v55, v64, 0
	v_fma_mixlo_f16 v64, v55, v67, 0
	;; [unrolled: 1-line block ×3, first 2 shown]
	v_add_nc_u32_e32 v19, v17, v23
	v_lshlrev_b32_e32 v0, 16, v0
	v_and_b32_e32 v11, 0xffff, v11
	v_and_b32_e32 v14, 0xffff, v12
	v_lshlrev_b32_e32 v55, 16, v64
	v_and_b32_e32 v64, 0xffff, v66
	v_lshlrev_b32_e32 v66, 16, v67
	v_and_b32_e32 v67, 0xffff, v13
	v_cmp_eq_u32_e32 vcc_lo, v36, v16
	v_or_b32_e32 v12, v0, v11
	v_or_b32_e32 v14, v65, v14
	;; [unrolled: 1-line block ×4, first 2 shown]
	v_add_nc_u32_e32 v69, 1, v19
	v_or_b32_e32 v68, 3, v19
	v_or_b32_e32 v67, 2, v19
	;; [unrolled: 1-line block ×6, first 2 shown]
	s_and_saveexec_b32 s12, vcc_lo
	s_cbranch_execz .LBB342_617
; %bb.616:                              ;   in Loop: Header=BB342_550 Depth=1
	v_cmp_lt_i32_e64 s0, v19, v38
	v_lshrrev_b32_e32 v86, 16, v14
	v_lshrrev_b32_e32 v87, 16, v12
	;; [unrolled: 1-line block ×4, first 2 shown]
	v_cndmask_b32_e64 v14, 0, v14, s0
	v_cmp_lt_i32_e64 s0, v69, v54
	s_delay_alu instid0(VALU_DEP_1) | instskip(SKIP_1) | instid1(VALU_DEP_2)
	v_cndmask_b32_e64 v86, 0, v86, s0
	v_cmp_lt_i32_e64 s0, v68, v54
	v_perm_b32 v14, v86, v14, 0x5040100
	s_delay_alu instid0(VALU_DEP_2) | instskip(SKIP_1) | instid1(VALU_DEP_1)
	v_cndmask_b32_e64 v87, 0, v87, s0
	v_cmp_lt_i32_e64 s0, v67, v38
	v_cndmask_b32_e64 v12, 0, v12, s0
	v_cmp_lt_i32_e64 s0, v66, v54
	s_delay_alu instid0(VALU_DEP_2) | instskip(NEXT) | instid1(VALU_DEP_2)
	v_perm_b32 v12, v87, v12, 0x5040100
	v_cndmask_b32_e64 v96, 0, v96, s0
	v_cmp_lt_i32_e64 s0, v65, v38
	s_delay_alu instid0(VALU_DEP_1) | instskip(SKIP_1) | instid1(VALU_DEP_2)
	v_cndmask_b32_e64 v0, 0, v0, s0
	v_cmp_lt_i32_e64 s0, v64, v54
	v_perm_b32 v0, v96, v0, 0x5040100
	s_delay_alu instid0(VALU_DEP_2) | instskip(SKIP_1) | instid1(VALU_DEP_1)
	v_cndmask_b32_e64 v11, 0, v11, s0
	v_cmp_lt_i32_e64 s0, v55, v38
	v_cndmask_b32_e64 v13, 0, v13, s0
	s_delay_alu instid0(VALU_DEP_1)
	v_perm_b32 v11, v11, v13, 0x5040100
.LBB342_617:                            ;   in Loop: Header=BB342_550 Depth=1
	s_or_b32 exec_lo, exec_lo, s12
	v_and_b32_e32 v13, 0xffff, v70
	v_and_b32_e32 v70, 0xffff, v82
	;; [unrolled: 1-line block ×4, first 2 shown]
	s_mov_b32 s12, exec_lo
	s_delay_alu instid0(VALU_DEP_3) | instskip(NEXT) | instid1(VALU_DEP_3)
	v_lshl_or_b32 v82, v80, 16, v70
	v_lshl_or_b32 v81, v81, 16, v86
	v_mov_b32_e32 v86, 0
	v_lshl_or_b32 v83, v71, 16, v13
	;;#ASMSTART
	v_pk_mul_f16 v13, v83, v14;

	;;#ASMEND
	;;#ASMSTART
	v_pk_mul_f16 v12, v82, v12;

	;;#ASMEND
	;; [unrolled: 4-line block ×3, first 2 shown]
	v_lshl_or_b32 v80, v84, 16, v85
	v_mov_b32_e32 v85, 0
	;;#ASMSTART
	v_pk_mul_f16 v11, v80, v11;

	;;#ASMEND
	;;#ASMSTART
	v_pk_add_f16 v12, v13, v12;

	;;#ASMEND
	;;#ASMSTART
	v_pk_add_f16 v0, v12, v0;
	;; [unrolled: 4-line block ×3, first 2 shown]

	;;#ASMEND
	v_and_b32_e32 v11, 0xffff, v0
	v_lshrrev_b32_e32 v0, 16, v0
	;;#ASMSTART
	v_cvt_f32_f16 v70, v11;
	;;#ASMEND
	;;#ASMSTART
	v_cvt_f32_f16 v71, v0;
	;;#ASMEND
	flat_load_b64 v[11:12], v[9:10] offset:256
	flat_load_b32 v84, v[26:27]
	s_waitcnt vmcnt(1) lgkmcnt(1)
	v_and_b32_e32 v0, 0xff, v11
	s_delay_alu instid0(VALU_DEP_1)
	v_cmpx_ne_u16_e32 0, v0
	s_cbranch_execz .LBB342_625
; %bb.618:                              ;   in Loop: Header=BB342_550 Depth=1
	v_bfrev_b32_e32 v85, 1
	s_mov_b32 s13, exec_lo
	v_cmpx_ne_u16_e32 0x80, v0
	s_cbranch_execz .LBB342_624
; %bb.619:                              ;   in Loop: Header=BB342_550 Depth=1
	v_and_b32_e32 v13, 0x7f, v11
	v_mov_b32_e32 v85, 0x7fc02000
	s_mov_b32 s15, exec_lo
	s_delay_alu instid0(VALU_DEP_2)
	v_cmpx_ne_u32_e32 0x7f, v13
	s_cbranch_execz .LBB342_623
; %bb.620:                              ;   in Loop: Header=BB342_550 Depth=1
	v_lshrrev_b32_e32 v0, 3, v13
	v_cmp_gt_u32_e64 s0, 8, v13
	v_dual_mov_b32 v14, v12 :: v_dual_mov_b32 v13, v11
	s_delay_alu instid0(VALU_DEP_2)
	s_and_saveexec_b32 s16, s0
; %bb.621:                              ;   in Loop: Header=BB342_550 Depth=1
	v_and_b32_e32 v0, 7, v11
	s_delay_alu instid0(VALU_DEP_1) | instskip(NEXT) | instid1(VALU_DEP_1)
	v_clz_i32_u32_e32 v0, v0
	v_min_u32_e32 v0, 32, v0
	s_delay_alu instid0(VALU_DEP_1) | instskip(SKIP_1) | instid1(VALU_DEP_2)
	v_subrev_nc_u32_e32 v13, 28, v0
	v_sub_nc_u32_e32 v0, 29, v0
	v_lshlrev_b64 v[13:14], v13, v[11:12]
; %bb.622:                              ;   in Loop: Header=BB342_550 Depth=1
	s_or_b32 exec_lo, exec_lo, s16
	v_lshlrev_b32_e32 v14, 8, v11
	s_delay_alu instid0(VALU_DEP_3) | instskip(NEXT) | instid1(VALU_DEP_3)
	v_lshl_add_u32 v0, v0, 10, 0x2000
	v_lshlrev_b32_e32 v13, 7, v13
	s_delay_alu instid0(VALU_DEP_2) | instskip(NEXT) | instid1(VALU_DEP_1)
	v_and_or_b32 v0, 0x8000, v14, v0
	v_and_or_b32 v0, 0x380, v13, v0
	s_delay_alu instid0(VALU_DEP_1)
	v_cvt_f32_f16_e32 v85, v0
.LBB342_623:                            ;   in Loop: Header=BB342_550 Depth=1
	s_or_b32 exec_lo, exec_lo, s15
.LBB342_624:                            ;   in Loop: Header=BB342_550 Depth=1
	s_delay_alu instid0(SALU_CYCLE_1)
	s_or_b32 exec_lo, exec_lo, s13
.LBB342_625:                            ;   in Loop: Header=BB342_550 Depth=1
	s_delay_alu instid0(SALU_CYCLE_1) | instskip(SKIP_2) | instid1(VALU_DEP_1)
	s_or_b32 exec_lo, exec_lo, s12
	v_lshrrev_b16 v0, 8, v11
	s_mov_b32 s12, exec_lo
	v_cmpx_ne_u16_e32 0, v0
	s_cbranch_execz .LBB342_633
; %bb.626:                              ;   in Loop: Header=BB342_550 Depth=1
	v_bfrev_b32_e32 v86, 1
	s_mov_b32 s13, exec_lo
	v_cmpx_ne_u16_e32 0x80, v0
	s_cbranch_execz .LBB342_632
; %bb.627:                              ;   in Loop: Header=BB342_550 Depth=1
	v_and_b32_e32 v13, 0xffff, v0
	v_mov_b32_e32 v86, 0x7fc02000
	s_mov_b32 s15, exec_lo
	s_delay_alu instid0(VALU_DEP_2) | instskip(NEXT) | instid1(VALU_DEP_1)
	v_and_b32_e32 v87, 0x7f, v13
	v_cmpx_ne_u32_e32 0x7f, v87
	s_cbranch_execz .LBB342_631
; %bb.628:                              ;   in Loop: Header=BB342_550 Depth=1
	v_and_b32_e32 v0, 7, v13
	v_lshrrev_b32_e32 v14, 3, v87
	s_mov_b32 s16, exec_lo
	v_cmpx_gt_u32_e32 8, v87
; %bb.629:                              ;   in Loop: Header=BB342_550 Depth=1
	s_delay_alu instid0(VALU_DEP_3) | instskip(NEXT) | instid1(VALU_DEP_1)
	v_clz_i32_u32_e32 v14, v0
	v_min_u32_e32 v14, 32, v14
	s_delay_alu instid0(VALU_DEP_1) | instskip(SKIP_1) | instid1(VALU_DEP_2)
	v_subrev_nc_u32_e32 v86, 28, v14
	v_sub_nc_u32_e32 v14, 29, v14
	v_lshlrev_b64 v[86:87], v86, v[0:1]
	s_delay_alu instid0(VALU_DEP_1)
	v_and_b32_e32 v0, 7, v86
; %bb.630:                              ;   in Loop: Header=BB342_550 Depth=1
	s_or_b32 exec_lo, exec_lo, s16
	v_lshlrev_b32_e32 v13, 8, v13
	v_lshl_add_u32 v14, v14, 10, 0x2000
	s_delay_alu instid0(VALU_DEP_1) | instskip(NEXT) | instid1(VALU_DEP_1)
	v_and_or_b32 v13, 0x8000, v13, v14
	v_lshl_or_b32 v0, v0, 7, v13
	s_delay_alu instid0(VALU_DEP_1)
	v_cvt_f32_f16_e32 v86, v0
.LBB342_631:                            ;   in Loop: Header=BB342_550 Depth=1
	s_or_b32 exec_lo, exec_lo, s15
.LBB342_632:                            ;   in Loop: Header=BB342_550 Depth=1
	s_delay_alu instid0(SALU_CYCLE_1)
	s_or_b32 exec_lo, exec_lo, s13
.LBB342_633:                            ;   in Loop: Header=BB342_550 Depth=1
	s_delay_alu instid0(SALU_CYCLE_1) | instskip(SKIP_3) | instid1(VALU_DEP_2)
	s_or_b32 exec_lo, exec_lo, s12
	v_lshrrev_b32_e32 v13, 16, v11
	v_mov_b32_e32 v96, 0
	s_mov_b32 s12, exec_lo
	v_dual_mov_b32 v87, 0 :: v_dual_and_b32 v0, 0xff, v13
	s_delay_alu instid0(VALU_DEP_1)
	v_cmpx_ne_u16_e32 0, v0
	s_cbranch_execz .LBB342_641
; %bb.634:                              ;   in Loop: Header=BB342_550 Depth=1
	v_bfrev_b32_e32 v87, 1
	s_mov_b32 s13, exec_lo
	v_cmpx_ne_u16_e32 0x80, v0
	s_cbranch_execz .LBB342_640
; %bb.635:                              ;   in Loop: Header=BB342_550 Depth=1
	v_bfe_u32 v97, v11, 16, 7
	v_mov_b32_e32 v87, 0x7fc02000
	s_mov_b32 s15, exec_lo
	s_delay_alu instid0(VALU_DEP_2)
	v_cmpx_ne_u32_e32 0x7f, v97
	s_cbranch_execz .LBB342_639
; %bb.636:                              ;   in Loop: Header=BB342_550 Depth=1
	v_and_b32_e32 v0, 7, v13
	v_lshrrev_b32_e32 v14, 3, v97
	s_mov_b32 s16, exec_lo
	v_cmpx_gt_u32_e32 8, v97
; %bb.637:                              ;   in Loop: Header=BB342_550 Depth=1
	s_delay_alu instid0(VALU_DEP_3) | instskip(NEXT) | instid1(VALU_DEP_1)
	v_clz_i32_u32_e32 v14, v0
	v_min_u32_e32 v14, 32, v14
	s_delay_alu instid0(VALU_DEP_1) | instskip(SKIP_1) | instid1(VALU_DEP_2)
	v_subrev_nc_u32_e32 v87, 28, v14
	v_sub_nc_u32_e32 v14, 29, v14
	v_lshlrev_b64 v[97:98], v87, v[0:1]
	s_delay_alu instid0(VALU_DEP_1)
	v_and_b32_e32 v0, 7, v97
; %bb.638:                              ;   in Loop: Header=BB342_550 Depth=1
	s_or_b32 exec_lo, exec_lo, s16
	v_lshlrev_b32_e32 v13, 8, v13
	v_lshl_add_u32 v14, v14, 10, 0x2000
	s_delay_alu instid0(VALU_DEP_1) | instskip(NEXT) | instid1(VALU_DEP_1)
	v_and_or_b32 v13, 0x8000, v13, v14
	v_lshl_or_b32 v0, v0, 7, v13
	s_delay_alu instid0(VALU_DEP_1)
	v_cvt_f32_f16_e32 v87, v0
.LBB342_639:                            ;   in Loop: Header=BB342_550 Depth=1
	s_or_b32 exec_lo, exec_lo, s15
.LBB342_640:                            ;   in Loop: Header=BB342_550 Depth=1
	s_delay_alu instid0(SALU_CYCLE_1)
	s_or_b32 exec_lo, exec_lo, s13
.LBB342_641:                            ;   in Loop: Header=BB342_550 Depth=1
	s_delay_alu instid0(SALU_CYCLE_1) | instskip(NEXT) | instid1(SALU_CYCLE_1)
	s_or_b32 exec_lo, exec_lo, s12
	s_mov_b32 s12, exec_lo
	v_cmpx_lt_u32_e32 0xffffff, v11
	s_cbranch_execz .LBB342_649
; %bb.642:                              ;   in Loop: Header=BB342_550 Depth=1
	v_lshrrev_b32_e32 v13, 24, v11
	v_bfrev_b32_e32 v96, 1
	s_mov_b32 s13, exec_lo
	s_delay_alu instid0(VALU_DEP_2)
	v_cmpx_ne_u32_e32 0x80, v13
	s_cbranch_execz .LBB342_648
; %bb.643:                              ;   in Loop: Header=BB342_550 Depth=1
	v_and_b32_e32 v97, 0x7f, v13
	v_mov_b32_e32 v96, 0x7fc02000
	s_mov_b32 s15, exec_lo
	s_delay_alu instid0(VALU_DEP_2)
	v_cmpx_ne_u32_e32 0x7f, v97
	s_cbranch_execz .LBB342_647
; %bb.644:                              ;   in Loop: Header=BB342_550 Depth=1
	v_and_b32_e32 v0, 7, v13
	v_lshrrev_b32_e32 v14, 3, v97
	s_mov_b32 s16, exec_lo
	v_cmpx_gt_u32_e32 8, v97
; %bb.645:                              ;   in Loop: Header=BB342_550 Depth=1
	s_delay_alu instid0(VALU_DEP_3) | instskip(NEXT) | instid1(VALU_DEP_1)
	v_clz_i32_u32_e32 v14, v0
	v_min_u32_e32 v14, 32, v14
	s_delay_alu instid0(VALU_DEP_1) | instskip(SKIP_1) | instid1(VALU_DEP_2)
	v_subrev_nc_u32_e32 v96, 28, v14
	v_sub_nc_u32_e32 v14, 29, v14
	v_lshlrev_b64 v[96:97], v96, v[0:1]
	s_delay_alu instid0(VALU_DEP_1)
	v_and_b32_e32 v0, 7, v96
; %bb.646:                              ;   in Loop: Header=BB342_550 Depth=1
	s_or_b32 exec_lo, exec_lo, s16
	v_lshlrev_b32_e32 v13, 8, v13
	v_lshl_add_u32 v14, v14, 10, 0x2000
	s_delay_alu instid0(VALU_DEP_1) | instskip(NEXT) | instid1(VALU_DEP_1)
	v_and_or_b32 v13, 0x8000, v13, v14
	v_lshl_or_b32 v0, v0, 7, v13
	s_delay_alu instid0(VALU_DEP_1)
	v_cvt_f32_f16_e32 v96, v0
.LBB342_647:                            ;   in Loop: Header=BB342_550 Depth=1
	s_or_b32 exec_lo, exec_lo, s15
.LBB342_648:                            ;   in Loop: Header=BB342_550 Depth=1
	s_delay_alu instid0(SALU_CYCLE_1)
	s_or_b32 exec_lo, exec_lo, s13
.LBB342_649:                            ;   in Loop: Header=BB342_550 Depth=1
	s_delay_alu instid0(SALU_CYCLE_1) | instskip(SKIP_3) | instid1(VALU_DEP_2)
	s_or_b32 exec_lo, exec_lo, s12
	v_dual_mov_b32 v97, 0 :: v_dual_and_b32 v14, 0xff, v12
	v_dual_mov_b32 v0, v12 :: v_dual_mov_b32 v13, 0
	s_mov_b32 s12, exec_lo
	v_cmpx_ne_u16_e32 0, v14
	s_cbranch_execz .LBB342_657
; %bb.650:                              ;   in Loop: Header=BB342_550 Depth=1
	v_bfrev_b32_e32 v13, 1
	s_mov_b32 s13, exec_lo
	v_cmpx_ne_u16_e32 0x80, v14
	s_cbranch_execz .LBB342_656
; %bb.651:                              ;   in Loop: Header=BB342_550 Depth=1
	v_and_b32_e32 v14, 0x7f, v12
	v_mov_b32_e32 v13, 0x7fc02000
	s_mov_b32 s15, exec_lo
	s_delay_alu instid0(VALU_DEP_2)
	v_cmpx_ne_u32_e32 0x7f, v14
	s_cbranch_execz .LBB342_655
; %bb.652:                              ;   in Loop: Header=BB342_550 Depth=1
	v_lshrrev_b32_e32 v98, 3, v14
	v_cmp_gt_u32_e64 s0, 8, v14
	v_dual_mov_b32 v14, v1 :: v_dual_mov_b32 v13, v0
	s_delay_alu instid0(VALU_DEP_2)
	s_and_saveexec_b32 s16, s0
; %bb.653:                              ;   in Loop: Header=BB342_550 Depth=1
	v_and_b32_e32 v13, 7, v12
	s_delay_alu instid0(VALU_DEP_1) | instskip(NEXT) | instid1(VALU_DEP_1)
	v_clz_i32_u32_e32 v13, v13
	v_min_u32_e32 v98, 32, v13
	s_delay_alu instid0(VALU_DEP_1) | instskip(SKIP_1) | instid1(VALU_DEP_2)
	v_subrev_nc_u32_e32 v13, 28, v98
	v_sub_nc_u32_e32 v98, 29, v98
	v_lshlrev_b64 v[13:14], v13, v[0:1]
; %bb.654:                              ;   in Loop: Header=BB342_550 Depth=1
	s_or_b32 exec_lo, exec_lo, s16
	v_lshlrev_b32_e32 v14, 8, v12
	s_delay_alu instid0(VALU_DEP_3) | instskip(NEXT) | instid1(VALU_DEP_3)
	v_lshl_add_u32 v98, v98, 10, 0x2000
	v_lshlrev_b32_e32 v13, 7, v13
	s_delay_alu instid0(VALU_DEP_2) | instskip(NEXT) | instid1(VALU_DEP_1)
	v_and_or_b32 v14, 0x8000, v14, v98
	v_and_or_b32 v13, 0x380, v13, v14
	s_delay_alu instid0(VALU_DEP_1)
	v_cvt_f32_f16_e32 v13, v13
.LBB342_655:                            ;   in Loop: Header=BB342_550 Depth=1
	s_or_b32 exec_lo, exec_lo, s15
.LBB342_656:                            ;   in Loop: Header=BB342_550 Depth=1
	s_delay_alu instid0(SALU_CYCLE_1)
	s_or_b32 exec_lo, exec_lo, s13
.LBB342_657:                            ;   in Loop: Header=BB342_550 Depth=1
	s_delay_alu instid0(SALU_CYCLE_1) | instskip(SKIP_2) | instid1(VALU_DEP_1)
	s_or_b32 exec_lo, exec_lo, s12
	v_lshrrev_b16 v0, 8, v0
	s_mov_b32 s12, exec_lo
	v_cmpx_ne_u16_e32 0, v0
	s_cbranch_execz .LBB342_665
; %bb.658:                              ;   in Loop: Header=BB342_550 Depth=1
	v_bfrev_b32_e32 v97, 1
	s_mov_b32 s13, exec_lo
	v_cmpx_ne_u16_e32 0x80, v0
	s_cbranch_execz .LBB342_664
; %bb.659:                              ;   in Loop: Header=BB342_550 Depth=1
	v_and_b32_e32 v14, 0xffff, v0
	v_mov_b32_e32 v97, 0x7fc02000
	s_mov_b32 s15, exec_lo
	s_delay_alu instid0(VALU_DEP_2) | instskip(NEXT) | instid1(VALU_DEP_1)
	v_and_b32_e32 v98, 0x7f, v14
	v_cmpx_ne_u32_e32 0x7f, v98
	s_cbranch_execz .LBB342_663
; %bb.660:                              ;   in Loop: Header=BB342_550 Depth=1
	v_and_b32_e32 v0, 7, v14
	v_lshrrev_b32_e32 v97, 3, v98
	s_mov_b32 s16, exec_lo
	v_cmpx_gt_u32_e32 8, v98
; %bb.661:                              ;   in Loop: Header=BB342_550 Depth=1
	s_delay_alu instid0(VALU_DEP_3) | instskip(NEXT) | instid1(VALU_DEP_1)
	v_clz_i32_u32_e32 v97, v0
	v_min_u32_e32 v97, 32, v97
	s_delay_alu instid0(VALU_DEP_1) | instskip(SKIP_1) | instid1(VALU_DEP_2)
	v_subrev_nc_u32_e32 v98, 28, v97
	v_sub_nc_u32_e32 v97, 29, v97
	v_lshlrev_b64 v[98:99], v98, v[0:1]
	s_delay_alu instid0(VALU_DEP_1)
	v_and_b32_e32 v0, 7, v98
; %bb.662:                              ;   in Loop: Header=BB342_550 Depth=1
	s_or_b32 exec_lo, exec_lo, s16
	v_lshlrev_b32_e32 v14, 8, v14
	v_lshl_add_u32 v97, v97, 10, 0x2000
	s_delay_alu instid0(VALU_DEP_1) | instskip(NEXT) | instid1(VALU_DEP_1)
	v_and_or_b32 v14, 0x8000, v14, v97
	v_lshl_or_b32 v0, v0, 7, v14
	s_delay_alu instid0(VALU_DEP_1)
	v_cvt_f32_f16_e32 v97, v0
.LBB342_663:                            ;   in Loop: Header=BB342_550 Depth=1
	s_or_b32 exec_lo, exec_lo, s15
.LBB342_664:                            ;   in Loop: Header=BB342_550 Depth=1
	s_delay_alu instid0(SALU_CYCLE_1)
	s_or_b32 exec_lo, exec_lo, s13
.LBB342_665:                            ;   in Loop: Header=BB342_550 Depth=1
	s_delay_alu instid0(SALU_CYCLE_1) | instskip(SKIP_4) | instid1(VALU_DEP_3)
	s_or_b32 exec_lo, exec_lo, s12
	v_lshrrev_b32_e32 v99, 16, v12
	v_mov_b32_e32 v98, 0
	v_mov_b32_e32 v14, 0
	s_mov_b32 s12, exec_lo
	v_and_b32_e32 v0, 0xff, v99
	s_delay_alu instid0(VALU_DEP_1)
	v_cmpx_ne_u16_e32 0, v0
	s_cbranch_execz .LBB342_673
; %bb.666:                              ;   in Loop: Header=BB342_550 Depth=1
	v_bfrev_b32_e32 v14, 1
	s_mov_b32 s13, exec_lo
	v_cmpx_ne_u16_e32 0x80, v0
	s_cbranch_execz .LBB342_672
; %bb.667:                              ;   in Loop: Header=BB342_550 Depth=1
	v_bfe_u32 v100, v12, 16, 7
	v_mov_b32_e32 v14, 0x7fc02000
	s_mov_b32 s15, exec_lo
	s_delay_alu instid0(VALU_DEP_2)
	v_cmpx_ne_u32_e32 0x7f, v100
	s_cbranch_execz .LBB342_671
; %bb.668:                              ;   in Loop: Header=BB342_550 Depth=1
	v_and_b32_e32 v0, 7, v99
	v_lshrrev_b32_e32 v14, 3, v100
	s_mov_b32 s16, exec_lo
	v_cmpx_gt_u32_e32 8, v100
; %bb.669:                              ;   in Loop: Header=BB342_550 Depth=1
	s_delay_alu instid0(VALU_DEP_3) | instskip(NEXT) | instid1(VALU_DEP_1)
	v_clz_i32_u32_e32 v14, v0
	v_min_u32_e32 v14, 32, v14
	s_delay_alu instid0(VALU_DEP_1) | instskip(SKIP_1) | instid1(VALU_DEP_2)
	v_subrev_nc_u32_e32 v100, 28, v14
	v_sub_nc_u32_e32 v14, 29, v14
	v_lshlrev_b64 v[100:101], v100, v[0:1]
	s_delay_alu instid0(VALU_DEP_1)
	v_and_b32_e32 v0, 7, v100
; %bb.670:                              ;   in Loop: Header=BB342_550 Depth=1
	s_or_b32 exec_lo, exec_lo, s16
	v_lshlrev_b32_e32 v99, 8, v99
	v_lshl_add_u32 v14, v14, 10, 0x2000
	s_delay_alu instid0(VALU_DEP_1) | instskip(NEXT) | instid1(VALU_DEP_1)
	v_and_or_b32 v14, 0x8000, v99, v14
	v_lshl_or_b32 v0, v0, 7, v14
	s_delay_alu instid0(VALU_DEP_1)
	v_cvt_f32_f16_e32 v14, v0
.LBB342_671:                            ;   in Loop: Header=BB342_550 Depth=1
	s_or_b32 exec_lo, exec_lo, s15
.LBB342_672:                            ;   in Loop: Header=BB342_550 Depth=1
	s_delay_alu instid0(SALU_CYCLE_1)
	s_or_b32 exec_lo, exec_lo, s13
.LBB342_673:                            ;   in Loop: Header=BB342_550 Depth=1
	s_delay_alu instid0(SALU_CYCLE_1) | instskip(NEXT) | instid1(SALU_CYCLE_1)
	s_or_b32 exec_lo, exec_lo, s12
	s_mov_b32 s12, exec_lo
	v_cmpx_lt_u64_e64 s[8:9], v[11:12]
	s_cbranch_execz .LBB342_681
; %bb.674:                              ;   in Loop: Header=BB342_550 Depth=1
	v_lshrrev_b32_e32 v11, 24, v12
	v_bfrev_b32_e32 v98, 1
	s_mov_b32 s13, exec_lo
	s_delay_alu instid0(VALU_DEP_2)
	v_cmpx_ne_u32_e32 0x80, v11
	s_cbranch_execz .LBB342_680
; %bb.675:                              ;   in Loop: Header=BB342_550 Depth=1
	v_and_b32_e32 v99, 0x7f, v11
	v_mov_b32_e32 v98, 0x7fc02000
	s_mov_b32 s15, exec_lo
	s_delay_alu instid0(VALU_DEP_2)
	v_cmpx_ne_u32_e32 0x7f, v99
	s_cbranch_execz .LBB342_679
; %bb.676:                              ;   in Loop: Header=BB342_550 Depth=1
	v_and_b32_e32 v0, 7, v11
	v_lshrrev_b32_e32 v12, 3, v99
	s_mov_b32 s16, exec_lo
	v_cmpx_gt_u32_e32 8, v99
; %bb.677:                              ;   in Loop: Header=BB342_550 Depth=1
	s_delay_alu instid0(VALU_DEP_3) | instskip(NEXT) | instid1(VALU_DEP_1)
	v_clz_i32_u32_e32 v12, v0
	v_min_u32_e32 v12, 32, v12
	s_delay_alu instid0(VALU_DEP_1) | instskip(SKIP_1) | instid1(VALU_DEP_2)
	v_subrev_nc_u32_e32 v98, 28, v12
	v_sub_nc_u32_e32 v12, 29, v12
	v_lshlrev_b64 v[98:99], v98, v[0:1]
	s_delay_alu instid0(VALU_DEP_1)
	v_and_b32_e32 v0, 7, v98
; %bb.678:                              ;   in Loop: Header=BB342_550 Depth=1
	s_or_b32 exec_lo, exec_lo, s16
	v_lshlrev_b32_e32 v11, 8, v11
	v_lshl_add_u32 v12, v12, 10, 0x2000
	s_delay_alu instid0(VALU_DEP_1) | instskip(NEXT) | instid1(VALU_DEP_1)
	v_and_or_b32 v11, 0x8000, v11, v12
	v_lshl_or_b32 v0, v0, 7, v11
	s_delay_alu instid0(VALU_DEP_1)
	v_cvt_f32_f16_e32 v98, v0
.LBB342_679:                            ;   in Loop: Header=BB342_550 Depth=1
	s_or_b32 exec_lo, exec_lo, s15
.LBB342_680:                            ;   in Loop: Header=BB342_550 Depth=1
	s_delay_alu instid0(SALU_CYCLE_1)
	s_or_b32 exec_lo, exec_lo, s13
.LBB342_681:                            ;   in Loop: Header=BB342_550 Depth=1
	s_delay_alu instid0(SALU_CYCLE_1)
	s_or_b32 exec_lo, exec_lo, s12
	s_waitcnt vmcnt(0) lgkmcnt(0)
	v_fma_mixlo_f16 v12, v84, v86, 0
	v_fma_mixlo_f16 v0, v84, v96, 0
	;; [unrolled: 1-line block ×5, first 2 shown]
	v_lshlrev_b32_e32 v86, 16, v12
	v_fma_mixlo_f16 v13, v84, v13, 0
	v_fma_mixlo_f16 v96, v84, v98, 0
	;; [unrolled: 1-line block ×3, first 2 shown]
	v_lshlrev_b32_e32 v0, 16, v0
	v_and_b32_e32 v11, 0xffff, v11
	v_and_b32_e32 v14, 0xffff, v85
	v_lshlrev_b32_e32 v84, 16, v87
	v_and_b32_e32 v85, 0xffff, v13
	v_lshlrev_b32_e32 v87, 16, v96
	v_and_b32_e32 v96, 0xffff, v12
	v_or_b32_e32 v13, v0, v11
	v_or_b32_e32 v14, v86, v14
	;; [unrolled: 1-line block ×3, first 2 shown]
	s_delay_alu instid0(VALU_DEP_4)
	v_or_b32_e32 v11, v87, v96
	s_and_saveexec_b32 s12, vcc_lo
	s_cbranch_execz .LBB342_683
; %bb.682:                              ;   in Loop: Header=BB342_550 Depth=1
	v_cmp_lt_i32_e64 s0, v19, v38
	v_lshrrev_b32_e32 v84, 16, v14
	v_lshrrev_b32_e32 v85, 16, v13
	;; [unrolled: 1-line block ×4, first 2 shown]
	v_cndmask_b32_e64 v14, 0, v14, s0
	v_cmp_lt_i32_e64 s0, v69, v54
	s_delay_alu instid0(VALU_DEP_1) | instskip(SKIP_1) | instid1(VALU_DEP_2)
	v_cndmask_b32_e64 v84, 0, v84, s0
	v_cmp_lt_i32_e64 s0, v68, v54
	v_perm_b32 v14, v84, v14, 0x5040100
	s_delay_alu instid0(VALU_DEP_2) | instskip(SKIP_1) | instid1(VALU_DEP_1)
	v_cndmask_b32_e64 v85, 0, v85, s0
	v_cmp_lt_i32_e64 s0, v67, v38
	v_cndmask_b32_e64 v13, 0, v13, s0
	v_cmp_lt_i32_e64 s0, v66, v54
	s_delay_alu instid0(VALU_DEP_2) | instskip(NEXT) | instid1(VALU_DEP_2)
	v_perm_b32 v13, v85, v13, 0x5040100
	v_cndmask_b32_e64 v86, 0, v86, s0
	v_cmp_lt_i32_e64 s0, v65, v38
	s_delay_alu instid0(VALU_DEP_1) | instskip(SKIP_1) | instid1(VALU_DEP_2)
	v_cndmask_b32_e64 v0, 0, v0, s0
	v_cmp_lt_i32_e64 s0, v64, v54
	v_perm_b32 v0, v86, v0, 0x5040100
	s_delay_alu instid0(VALU_DEP_2) | instskip(SKIP_1) | instid1(VALU_DEP_1)
	v_cndmask_b32_e64 v11, 0, v11, s0
	v_cmp_lt_i32_e64 s0, v55, v38
	v_cndmask_b32_e64 v12, 0, v12, s0
	s_delay_alu instid0(VALU_DEP_1)
	v_perm_b32 v11, v11, v12, 0x5040100
.LBB342_683:                            ;   in Loop: Header=BB342_550 Depth=1
	s_or_b32 exec_lo, exec_lo, s12
	;;#ASMSTART
	v_pk_mul_f16 v12, v83, v14;

	;;#ASMEND
	;;#ASMSTART
	v_pk_mul_f16 v13, v82, v13;

	;;#ASMEND
	;; [unrolled: 4-line block ×4, first 2 shown]
	;;#ASMSTART
	v_pk_add_f16 v12, v12, v13;

	;;#ASMEND
	;;#ASMSTART
	v_pk_add_f16 v0, v12, v0;

	;;#ASMEND
	;; [unrolled: 4-line block ×3, first 2 shown]
	v_dual_mov_b32 v96, 0 :: v_dual_and_b32 v11, 0xffff, v0
	v_lshrrev_b32_e32 v0, 16, v0
	;;#ASMSTART
	v_cvt_f32_f16 v84, v11;
	;;#ASMEND
	;;#ASMSTART
	v_cvt_f32_f16 v85, v0;
	;;#ASMEND
	flat_load_b64 v[11:12], v[9:10] offset:512
	flat_load_b32 v86, v[26:27]
	s_mov_b32 s12, exec_lo
	s_waitcnt vmcnt(1) lgkmcnt(1)
	v_dual_mov_b32 v87, 0 :: v_dual_and_b32 v0, 0xff, v11
	s_delay_alu instid0(VALU_DEP_1)
	v_cmpx_ne_u16_e32 0, v0
	s_cbranch_execz .LBB342_691
; %bb.684:                              ;   in Loop: Header=BB342_550 Depth=1
	v_bfrev_b32_e32 v87, 1
	s_mov_b32 s13, exec_lo
	v_cmpx_ne_u16_e32 0x80, v0
	s_cbranch_execz .LBB342_690
; %bb.685:                              ;   in Loop: Header=BB342_550 Depth=1
	v_and_b32_e32 v13, 0x7f, v11
	v_mov_b32_e32 v87, 0x7fc02000
	s_mov_b32 s15, exec_lo
	s_delay_alu instid0(VALU_DEP_2)
	v_cmpx_ne_u32_e32 0x7f, v13
	s_cbranch_execz .LBB342_689
; %bb.686:                              ;   in Loop: Header=BB342_550 Depth=1
	v_lshrrev_b32_e32 v0, 3, v13
	v_cmp_gt_u32_e64 s0, 8, v13
	v_dual_mov_b32 v14, v12 :: v_dual_mov_b32 v13, v11
	s_delay_alu instid0(VALU_DEP_2)
	s_and_saveexec_b32 s16, s0
; %bb.687:                              ;   in Loop: Header=BB342_550 Depth=1
	v_and_b32_e32 v0, 7, v11
	s_delay_alu instid0(VALU_DEP_1) | instskip(NEXT) | instid1(VALU_DEP_1)
	v_clz_i32_u32_e32 v0, v0
	v_min_u32_e32 v0, 32, v0
	s_delay_alu instid0(VALU_DEP_1) | instskip(SKIP_1) | instid1(VALU_DEP_2)
	v_subrev_nc_u32_e32 v13, 28, v0
	v_sub_nc_u32_e32 v0, 29, v0
	v_lshlrev_b64 v[13:14], v13, v[11:12]
; %bb.688:                              ;   in Loop: Header=BB342_550 Depth=1
	s_or_b32 exec_lo, exec_lo, s16
	v_lshlrev_b32_e32 v14, 8, v11
	s_delay_alu instid0(VALU_DEP_3) | instskip(NEXT) | instid1(VALU_DEP_3)
	v_lshl_add_u32 v0, v0, 10, 0x2000
	v_lshlrev_b32_e32 v13, 7, v13
	s_delay_alu instid0(VALU_DEP_2) | instskip(NEXT) | instid1(VALU_DEP_1)
	v_and_or_b32 v0, 0x8000, v14, v0
	v_and_or_b32 v0, 0x380, v13, v0
	s_delay_alu instid0(VALU_DEP_1)
	v_cvt_f32_f16_e32 v87, v0
.LBB342_689:                            ;   in Loop: Header=BB342_550 Depth=1
	s_or_b32 exec_lo, exec_lo, s15
.LBB342_690:                            ;   in Loop: Header=BB342_550 Depth=1
	s_delay_alu instid0(SALU_CYCLE_1)
	s_or_b32 exec_lo, exec_lo, s13
.LBB342_691:                            ;   in Loop: Header=BB342_550 Depth=1
	s_delay_alu instid0(SALU_CYCLE_1) | instskip(SKIP_2) | instid1(VALU_DEP_1)
	s_or_b32 exec_lo, exec_lo, s12
	v_lshrrev_b16 v0, 8, v11
	s_mov_b32 s12, exec_lo
	v_cmpx_ne_u16_e32 0, v0
	s_cbranch_execz .LBB342_699
; %bb.692:                              ;   in Loop: Header=BB342_550 Depth=1
	v_bfrev_b32_e32 v96, 1
	s_mov_b32 s13, exec_lo
	v_cmpx_ne_u16_e32 0x80, v0
	s_cbranch_execz .LBB342_698
; %bb.693:                              ;   in Loop: Header=BB342_550 Depth=1
	v_and_b32_e32 v13, 0xffff, v0
	v_mov_b32_e32 v96, 0x7fc02000
	s_mov_b32 s15, exec_lo
	s_delay_alu instid0(VALU_DEP_2) | instskip(NEXT) | instid1(VALU_DEP_1)
	v_and_b32_e32 v97, 0x7f, v13
	v_cmpx_ne_u32_e32 0x7f, v97
	s_cbranch_execz .LBB342_697
; %bb.694:                              ;   in Loop: Header=BB342_550 Depth=1
	v_and_b32_e32 v0, 7, v13
	v_lshrrev_b32_e32 v14, 3, v97
	s_mov_b32 s16, exec_lo
	v_cmpx_gt_u32_e32 8, v97
; %bb.695:                              ;   in Loop: Header=BB342_550 Depth=1
	s_delay_alu instid0(VALU_DEP_3) | instskip(NEXT) | instid1(VALU_DEP_1)
	v_clz_i32_u32_e32 v14, v0
	v_min_u32_e32 v14, 32, v14
	s_delay_alu instid0(VALU_DEP_1) | instskip(SKIP_1) | instid1(VALU_DEP_2)
	v_subrev_nc_u32_e32 v96, 28, v14
	v_sub_nc_u32_e32 v14, 29, v14
	v_lshlrev_b64 v[96:97], v96, v[0:1]
	s_delay_alu instid0(VALU_DEP_1)
	v_and_b32_e32 v0, 7, v96
; %bb.696:                              ;   in Loop: Header=BB342_550 Depth=1
	s_or_b32 exec_lo, exec_lo, s16
	v_lshlrev_b32_e32 v13, 8, v13
	v_lshl_add_u32 v14, v14, 10, 0x2000
	s_delay_alu instid0(VALU_DEP_1) | instskip(NEXT) | instid1(VALU_DEP_1)
	v_and_or_b32 v13, 0x8000, v13, v14
	v_lshl_or_b32 v0, v0, 7, v13
	s_delay_alu instid0(VALU_DEP_1)
	v_cvt_f32_f16_e32 v96, v0
.LBB342_697:                            ;   in Loop: Header=BB342_550 Depth=1
	s_or_b32 exec_lo, exec_lo, s15
.LBB342_698:                            ;   in Loop: Header=BB342_550 Depth=1
	s_delay_alu instid0(SALU_CYCLE_1)
	s_or_b32 exec_lo, exec_lo, s13
.LBB342_699:                            ;   in Loop: Header=BB342_550 Depth=1
	s_delay_alu instid0(SALU_CYCLE_1) | instskip(SKIP_3) | instid1(VALU_DEP_2)
	s_or_b32 exec_lo, exec_lo, s12
	v_lshrrev_b32_e32 v13, 16, v11
	v_mov_b32_e32 v98, 0
	s_mov_b32 s12, exec_lo
	v_dual_mov_b32 v97, 0 :: v_dual_and_b32 v0, 0xff, v13
	s_delay_alu instid0(VALU_DEP_1)
	v_cmpx_ne_u16_e32 0, v0
	s_cbranch_execz .LBB342_707
; %bb.700:                              ;   in Loop: Header=BB342_550 Depth=1
	v_bfrev_b32_e32 v97, 1
	s_mov_b32 s13, exec_lo
	v_cmpx_ne_u16_e32 0x80, v0
	s_cbranch_execz .LBB342_706
; %bb.701:                              ;   in Loop: Header=BB342_550 Depth=1
	v_bfe_u32 v99, v11, 16, 7
	v_mov_b32_e32 v97, 0x7fc02000
	s_mov_b32 s15, exec_lo
	s_delay_alu instid0(VALU_DEP_2)
	v_cmpx_ne_u32_e32 0x7f, v99
	s_cbranch_execz .LBB342_705
; %bb.702:                              ;   in Loop: Header=BB342_550 Depth=1
	v_and_b32_e32 v0, 7, v13
	v_lshrrev_b32_e32 v14, 3, v99
	s_mov_b32 s16, exec_lo
	v_cmpx_gt_u32_e32 8, v99
; %bb.703:                              ;   in Loop: Header=BB342_550 Depth=1
	s_delay_alu instid0(VALU_DEP_3) | instskip(NEXT) | instid1(VALU_DEP_1)
	v_clz_i32_u32_e32 v14, v0
	v_min_u32_e32 v14, 32, v14
	s_delay_alu instid0(VALU_DEP_1) | instskip(SKIP_1) | instid1(VALU_DEP_2)
	v_subrev_nc_u32_e32 v97, 28, v14
	v_sub_nc_u32_e32 v14, 29, v14
	v_lshlrev_b64 v[99:100], v97, v[0:1]
	s_delay_alu instid0(VALU_DEP_1)
	v_and_b32_e32 v0, 7, v99
; %bb.704:                              ;   in Loop: Header=BB342_550 Depth=1
	s_or_b32 exec_lo, exec_lo, s16
	v_lshlrev_b32_e32 v13, 8, v13
	v_lshl_add_u32 v14, v14, 10, 0x2000
	s_delay_alu instid0(VALU_DEP_1) | instskip(NEXT) | instid1(VALU_DEP_1)
	v_and_or_b32 v13, 0x8000, v13, v14
	v_lshl_or_b32 v0, v0, 7, v13
	s_delay_alu instid0(VALU_DEP_1)
	v_cvt_f32_f16_e32 v97, v0
.LBB342_705:                            ;   in Loop: Header=BB342_550 Depth=1
	s_or_b32 exec_lo, exec_lo, s15
.LBB342_706:                            ;   in Loop: Header=BB342_550 Depth=1
	s_delay_alu instid0(SALU_CYCLE_1)
	s_or_b32 exec_lo, exec_lo, s13
.LBB342_707:                            ;   in Loop: Header=BB342_550 Depth=1
	s_delay_alu instid0(SALU_CYCLE_1) | instskip(NEXT) | instid1(SALU_CYCLE_1)
	s_or_b32 exec_lo, exec_lo, s12
	s_mov_b32 s12, exec_lo
	v_cmpx_lt_u32_e32 0xffffff, v11
	s_cbranch_execz .LBB342_715
; %bb.708:                              ;   in Loop: Header=BB342_550 Depth=1
	v_lshrrev_b32_e32 v13, 24, v11
	v_bfrev_b32_e32 v98, 1
	s_mov_b32 s13, exec_lo
	s_delay_alu instid0(VALU_DEP_2)
	v_cmpx_ne_u32_e32 0x80, v13
	s_cbranch_execz .LBB342_714
; %bb.709:                              ;   in Loop: Header=BB342_550 Depth=1
	v_and_b32_e32 v99, 0x7f, v13
	v_mov_b32_e32 v98, 0x7fc02000
	s_mov_b32 s15, exec_lo
	s_delay_alu instid0(VALU_DEP_2)
	v_cmpx_ne_u32_e32 0x7f, v99
	s_cbranch_execz .LBB342_713
; %bb.710:                              ;   in Loop: Header=BB342_550 Depth=1
	v_and_b32_e32 v0, 7, v13
	v_lshrrev_b32_e32 v14, 3, v99
	s_mov_b32 s16, exec_lo
	v_cmpx_gt_u32_e32 8, v99
; %bb.711:                              ;   in Loop: Header=BB342_550 Depth=1
	s_delay_alu instid0(VALU_DEP_3) | instskip(NEXT) | instid1(VALU_DEP_1)
	v_clz_i32_u32_e32 v14, v0
	v_min_u32_e32 v14, 32, v14
	s_delay_alu instid0(VALU_DEP_1) | instskip(SKIP_1) | instid1(VALU_DEP_2)
	v_subrev_nc_u32_e32 v98, 28, v14
	v_sub_nc_u32_e32 v14, 29, v14
	v_lshlrev_b64 v[98:99], v98, v[0:1]
	s_delay_alu instid0(VALU_DEP_1)
	v_and_b32_e32 v0, 7, v98
; %bb.712:                              ;   in Loop: Header=BB342_550 Depth=1
	s_or_b32 exec_lo, exec_lo, s16
	v_lshlrev_b32_e32 v13, 8, v13
	v_lshl_add_u32 v14, v14, 10, 0x2000
	s_delay_alu instid0(VALU_DEP_1) | instskip(NEXT) | instid1(VALU_DEP_1)
	v_and_or_b32 v13, 0x8000, v13, v14
	v_lshl_or_b32 v0, v0, 7, v13
	s_delay_alu instid0(VALU_DEP_1)
	v_cvt_f32_f16_e32 v98, v0
.LBB342_713:                            ;   in Loop: Header=BB342_550 Depth=1
	s_or_b32 exec_lo, exec_lo, s15
.LBB342_714:                            ;   in Loop: Header=BB342_550 Depth=1
	s_delay_alu instid0(SALU_CYCLE_1)
	s_or_b32 exec_lo, exec_lo, s13
.LBB342_715:                            ;   in Loop: Header=BB342_550 Depth=1
	s_delay_alu instid0(SALU_CYCLE_1) | instskip(SKIP_3) | instid1(VALU_DEP_2)
	s_or_b32 exec_lo, exec_lo, s12
	v_dual_mov_b32 v99, 0 :: v_dual_and_b32 v14, 0xff, v12
	v_dual_mov_b32 v0, v12 :: v_dual_mov_b32 v13, 0
	s_mov_b32 s12, exec_lo
	v_cmpx_ne_u16_e32 0, v14
	s_cbranch_execz .LBB342_723
; %bb.716:                              ;   in Loop: Header=BB342_550 Depth=1
	v_bfrev_b32_e32 v13, 1
	s_mov_b32 s13, exec_lo
	v_cmpx_ne_u16_e32 0x80, v14
	s_cbranch_execz .LBB342_722
; %bb.717:                              ;   in Loop: Header=BB342_550 Depth=1
	v_and_b32_e32 v14, 0x7f, v12
	v_mov_b32_e32 v13, 0x7fc02000
	s_mov_b32 s15, exec_lo
	s_delay_alu instid0(VALU_DEP_2)
	v_cmpx_ne_u32_e32 0x7f, v14
	s_cbranch_execz .LBB342_721
; %bb.718:                              ;   in Loop: Header=BB342_550 Depth=1
	v_lshrrev_b32_e32 v100, 3, v14
	v_cmp_gt_u32_e64 s0, 8, v14
	v_dual_mov_b32 v14, v1 :: v_dual_mov_b32 v13, v0
	s_delay_alu instid0(VALU_DEP_2)
	s_and_saveexec_b32 s16, s0
; %bb.719:                              ;   in Loop: Header=BB342_550 Depth=1
	v_and_b32_e32 v13, 7, v12
	s_delay_alu instid0(VALU_DEP_1) | instskip(NEXT) | instid1(VALU_DEP_1)
	v_clz_i32_u32_e32 v13, v13
	v_min_u32_e32 v100, 32, v13
	s_delay_alu instid0(VALU_DEP_1) | instskip(SKIP_1) | instid1(VALU_DEP_2)
	v_subrev_nc_u32_e32 v13, 28, v100
	v_sub_nc_u32_e32 v100, 29, v100
	v_lshlrev_b64 v[13:14], v13, v[0:1]
; %bb.720:                              ;   in Loop: Header=BB342_550 Depth=1
	s_or_b32 exec_lo, exec_lo, s16
	v_lshlrev_b32_e32 v14, 8, v12
	s_delay_alu instid0(VALU_DEP_3) | instskip(NEXT) | instid1(VALU_DEP_3)
	v_lshl_add_u32 v100, v100, 10, 0x2000
	v_lshlrev_b32_e32 v13, 7, v13
	s_delay_alu instid0(VALU_DEP_2) | instskip(NEXT) | instid1(VALU_DEP_1)
	v_and_or_b32 v14, 0x8000, v14, v100
	v_and_or_b32 v13, 0x380, v13, v14
	s_delay_alu instid0(VALU_DEP_1)
	v_cvt_f32_f16_e32 v13, v13
.LBB342_721:                            ;   in Loop: Header=BB342_550 Depth=1
	s_or_b32 exec_lo, exec_lo, s15
.LBB342_722:                            ;   in Loop: Header=BB342_550 Depth=1
	s_delay_alu instid0(SALU_CYCLE_1)
	s_or_b32 exec_lo, exec_lo, s13
.LBB342_723:                            ;   in Loop: Header=BB342_550 Depth=1
	s_delay_alu instid0(SALU_CYCLE_1) | instskip(SKIP_2) | instid1(VALU_DEP_1)
	s_or_b32 exec_lo, exec_lo, s12
	v_lshrrev_b16 v0, 8, v0
	s_mov_b32 s12, exec_lo
	v_cmpx_ne_u16_e32 0, v0
	s_cbranch_execz .LBB342_731
; %bb.724:                              ;   in Loop: Header=BB342_550 Depth=1
	v_bfrev_b32_e32 v99, 1
	s_mov_b32 s13, exec_lo
	v_cmpx_ne_u16_e32 0x80, v0
	s_cbranch_execz .LBB342_730
; %bb.725:                              ;   in Loop: Header=BB342_550 Depth=1
	v_and_b32_e32 v14, 0xffff, v0
	v_mov_b32_e32 v99, 0x7fc02000
	s_mov_b32 s15, exec_lo
	s_delay_alu instid0(VALU_DEP_2) | instskip(NEXT) | instid1(VALU_DEP_1)
	v_and_b32_e32 v100, 0x7f, v14
	v_cmpx_ne_u32_e32 0x7f, v100
	s_cbranch_execz .LBB342_729
; %bb.726:                              ;   in Loop: Header=BB342_550 Depth=1
	v_and_b32_e32 v0, 7, v14
	v_lshrrev_b32_e32 v99, 3, v100
	s_mov_b32 s16, exec_lo
	v_cmpx_gt_u32_e32 8, v100
; %bb.727:                              ;   in Loop: Header=BB342_550 Depth=1
	s_delay_alu instid0(VALU_DEP_3) | instskip(NEXT) | instid1(VALU_DEP_1)
	v_clz_i32_u32_e32 v99, v0
	v_min_u32_e32 v99, 32, v99
	s_delay_alu instid0(VALU_DEP_1) | instskip(SKIP_1) | instid1(VALU_DEP_2)
	v_subrev_nc_u32_e32 v100, 28, v99
	v_sub_nc_u32_e32 v99, 29, v99
	v_lshlrev_b64 v[100:101], v100, v[0:1]
	s_delay_alu instid0(VALU_DEP_1)
	v_and_b32_e32 v0, 7, v100
; %bb.728:                              ;   in Loop: Header=BB342_550 Depth=1
	s_or_b32 exec_lo, exec_lo, s16
	v_lshlrev_b32_e32 v14, 8, v14
	v_lshl_add_u32 v99, v99, 10, 0x2000
	s_delay_alu instid0(VALU_DEP_1) | instskip(NEXT) | instid1(VALU_DEP_1)
	v_and_or_b32 v14, 0x8000, v14, v99
	v_lshl_or_b32 v0, v0, 7, v14
	s_delay_alu instid0(VALU_DEP_1)
	v_cvt_f32_f16_e32 v99, v0
.LBB342_729:                            ;   in Loop: Header=BB342_550 Depth=1
	s_or_b32 exec_lo, exec_lo, s15
.LBB342_730:                            ;   in Loop: Header=BB342_550 Depth=1
	s_delay_alu instid0(SALU_CYCLE_1)
	s_or_b32 exec_lo, exec_lo, s13
.LBB342_731:                            ;   in Loop: Header=BB342_550 Depth=1
	s_delay_alu instid0(SALU_CYCLE_1) | instskip(SKIP_4) | instid1(VALU_DEP_3)
	s_or_b32 exec_lo, exec_lo, s12
	v_lshrrev_b32_e32 v101, 16, v12
	v_mov_b32_e32 v100, 0
	v_mov_b32_e32 v14, 0
	s_mov_b32 s12, exec_lo
	v_and_b32_e32 v0, 0xff, v101
	s_delay_alu instid0(VALU_DEP_1)
	v_cmpx_ne_u16_e32 0, v0
	s_cbranch_execz .LBB342_739
; %bb.732:                              ;   in Loop: Header=BB342_550 Depth=1
	v_bfrev_b32_e32 v14, 1
	s_mov_b32 s13, exec_lo
	v_cmpx_ne_u16_e32 0x80, v0
	s_cbranch_execz .LBB342_738
; %bb.733:                              ;   in Loop: Header=BB342_550 Depth=1
	v_bfe_u32 v102, v12, 16, 7
	v_mov_b32_e32 v14, 0x7fc02000
	s_mov_b32 s15, exec_lo
	s_delay_alu instid0(VALU_DEP_2)
	v_cmpx_ne_u32_e32 0x7f, v102
	s_cbranch_execz .LBB342_737
; %bb.734:                              ;   in Loop: Header=BB342_550 Depth=1
	v_and_b32_e32 v0, 7, v101
	v_lshrrev_b32_e32 v14, 3, v102
	s_mov_b32 s16, exec_lo
	v_cmpx_gt_u32_e32 8, v102
; %bb.735:                              ;   in Loop: Header=BB342_550 Depth=1
	s_delay_alu instid0(VALU_DEP_3) | instskip(NEXT) | instid1(VALU_DEP_1)
	v_clz_i32_u32_e32 v14, v0
	v_min_u32_e32 v14, 32, v14
	s_delay_alu instid0(VALU_DEP_1) | instskip(SKIP_1) | instid1(VALU_DEP_2)
	v_subrev_nc_u32_e32 v102, 28, v14
	v_sub_nc_u32_e32 v14, 29, v14
	v_lshlrev_b64 v[102:103], v102, v[0:1]
	s_delay_alu instid0(VALU_DEP_1)
	v_and_b32_e32 v0, 7, v102
; %bb.736:                              ;   in Loop: Header=BB342_550 Depth=1
	s_or_b32 exec_lo, exec_lo, s16
	v_lshlrev_b32_e32 v101, 8, v101
	v_lshl_add_u32 v14, v14, 10, 0x2000
	s_delay_alu instid0(VALU_DEP_1) | instskip(NEXT) | instid1(VALU_DEP_1)
	v_and_or_b32 v14, 0x8000, v101, v14
	v_lshl_or_b32 v0, v0, 7, v14
	s_delay_alu instid0(VALU_DEP_1)
	v_cvt_f32_f16_e32 v14, v0
.LBB342_737:                            ;   in Loop: Header=BB342_550 Depth=1
	s_or_b32 exec_lo, exec_lo, s15
.LBB342_738:                            ;   in Loop: Header=BB342_550 Depth=1
	s_delay_alu instid0(SALU_CYCLE_1)
	s_or_b32 exec_lo, exec_lo, s13
.LBB342_739:                            ;   in Loop: Header=BB342_550 Depth=1
	s_delay_alu instid0(SALU_CYCLE_1) | instskip(NEXT) | instid1(SALU_CYCLE_1)
	s_or_b32 exec_lo, exec_lo, s12
	s_mov_b32 s12, exec_lo
	v_cmpx_lt_u64_e64 s[8:9], v[11:12]
	s_cbranch_execz .LBB342_747
; %bb.740:                              ;   in Loop: Header=BB342_550 Depth=1
	v_lshrrev_b32_e32 v11, 24, v12
	v_bfrev_b32_e32 v100, 1
	s_mov_b32 s13, exec_lo
	s_delay_alu instid0(VALU_DEP_2)
	v_cmpx_ne_u32_e32 0x80, v11
	s_cbranch_execz .LBB342_746
; %bb.741:                              ;   in Loop: Header=BB342_550 Depth=1
	v_and_b32_e32 v101, 0x7f, v11
	v_mov_b32_e32 v100, 0x7fc02000
	s_mov_b32 s15, exec_lo
	s_delay_alu instid0(VALU_DEP_2)
	v_cmpx_ne_u32_e32 0x7f, v101
	s_cbranch_execz .LBB342_745
; %bb.742:                              ;   in Loop: Header=BB342_550 Depth=1
	v_and_b32_e32 v0, 7, v11
	v_lshrrev_b32_e32 v12, 3, v101
	s_mov_b32 s16, exec_lo
	v_cmpx_gt_u32_e32 8, v101
; %bb.743:                              ;   in Loop: Header=BB342_550 Depth=1
	s_delay_alu instid0(VALU_DEP_3) | instskip(NEXT) | instid1(VALU_DEP_1)
	v_clz_i32_u32_e32 v12, v0
	v_min_u32_e32 v12, 32, v12
	s_delay_alu instid0(VALU_DEP_1) | instskip(SKIP_1) | instid1(VALU_DEP_2)
	v_subrev_nc_u32_e32 v100, 28, v12
	v_sub_nc_u32_e32 v12, 29, v12
	v_lshlrev_b64 v[100:101], v100, v[0:1]
	s_delay_alu instid0(VALU_DEP_1)
	v_and_b32_e32 v0, 7, v100
; %bb.744:                              ;   in Loop: Header=BB342_550 Depth=1
	s_or_b32 exec_lo, exec_lo, s16
	v_lshlrev_b32_e32 v11, 8, v11
	v_lshl_add_u32 v12, v12, 10, 0x2000
	s_delay_alu instid0(VALU_DEP_1) | instskip(NEXT) | instid1(VALU_DEP_1)
	v_and_or_b32 v11, 0x8000, v11, v12
	v_lshl_or_b32 v0, v0, 7, v11
	s_delay_alu instid0(VALU_DEP_1)
	v_cvt_f32_f16_e32 v100, v0
.LBB342_745:                            ;   in Loop: Header=BB342_550 Depth=1
	s_or_b32 exec_lo, exec_lo, s15
.LBB342_746:                            ;   in Loop: Header=BB342_550 Depth=1
	s_delay_alu instid0(SALU_CYCLE_1)
	s_or_b32 exec_lo, exec_lo, s13
.LBB342_747:                            ;   in Loop: Header=BB342_550 Depth=1
	s_delay_alu instid0(SALU_CYCLE_1)
	s_or_b32 exec_lo, exec_lo, s12
	s_waitcnt vmcnt(0) lgkmcnt(0)
	v_fma_mixlo_f16 v12, v86, v96, 0
	v_fma_mixlo_f16 v0, v86, v98, 0
	;; [unrolled: 1-line block ×5, first 2 shown]
	v_lshlrev_b32_e32 v96, 16, v12
	v_fma_mixlo_f16 v13, v86, v13, 0
	v_fma_mixlo_f16 v98, v86, v100, 0
	;; [unrolled: 1-line block ×3, first 2 shown]
	v_lshlrev_b32_e32 v0, 16, v0
	v_and_b32_e32 v11, 0xffff, v11
	v_and_b32_e32 v14, 0xffff, v87
	v_lshlrev_b32_e32 v86, 16, v97
	v_and_b32_e32 v87, 0xffff, v13
	v_lshlrev_b32_e32 v97, 16, v98
	v_and_b32_e32 v98, 0xffff, v12
	v_or_b32_e32 v13, v0, v11
	v_or_b32_e32 v14, v96, v14
	;; [unrolled: 1-line block ×3, first 2 shown]
	s_delay_alu instid0(VALU_DEP_4)
	v_or_b32_e32 v11, v97, v98
	s_and_saveexec_b32 s12, vcc_lo
	s_cbranch_execz .LBB342_749
; %bb.748:                              ;   in Loop: Header=BB342_550 Depth=1
	v_cmp_lt_i32_e64 s0, v19, v38
	v_lshrrev_b32_e32 v86, 16, v14
	v_lshrrev_b32_e32 v87, 16, v13
	;; [unrolled: 1-line block ×4, first 2 shown]
	v_cndmask_b32_e64 v14, 0, v14, s0
	v_cmp_lt_i32_e64 s0, v69, v54
	s_delay_alu instid0(VALU_DEP_1) | instskip(SKIP_1) | instid1(VALU_DEP_2)
	v_cndmask_b32_e64 v86, 0, v86, s0
	v_cmp_lt_i32_e64 s0, v68, v54
	v_perm_b32 v14, v86, v14, 0x5040100
	s_delay_alu instid0(VALU_DEP_2) | instskip(SKIP_1) | instid1(VALU_DEP_1)
	v_cndmask_b32_e64 v87, 0, v87, s0
	v_cmp_lt_i32_e64 s0, v67, v38
	v_cndmask_b32_e64 v13, 0, v13, s0
	v_cmp_lt_i32_e64 s0, v66, v54
	s_delay_alu instid0(VALU_DEP_2) | instskip(NEXT) | instid1(VALU_DEP_2)
	v_perm_b32 v13, v87, v13, 0x5040100
	v_cndmask_b32_e64 v96, 0, v96, s0
	v_cmp_lt_i32_e64 s0, v65, v38
	s_delay_alu instid0(VALU_DEP_1) | instskip(SKIP_1) | instid1(VALU_DEP_2)
	v_cndmask_b32_e64 v0, 0, v0, s0
	v_cmp_lt_i32_e64 s0, v64, v54
	v_perm_b32 v0, v96, v0, 0x5040100
	s_delay_alu instid0(VALU_DEP_2) | instskip(SKIP_1) | instid1(VALU_DEP_1)
	v_cndmask_b32_e64 v11, 0, v11, s0
	v_cmp_lt_i32_e64 s0, v55, v38
	v_cndmask_b32_e64 v12, 0, v12, s0
	s_delay_alu instid0(VALU_DEP_1)
	v_perm_b32 v11, v11, v12, 0x5040100
.LBB342_749:                            ;   in Loop: Header=BB342_550 Depth=1
	s_or_b32 exec_lo, exec_lo, s12
	;;#ASMSTART
	v_pk_mul_f16 v12, v83, v14;

	;;#ASMEND
	;;#ASMSTART
	v_pk_mul_f16 v13, v82, v13;

	;;#ASMEND
	;; [unrolled: 4-line block ×4, first 2 shown]
	;;#ASMSTART
	v_pk_add_f16 v12, v12, v13;

	;;#ASMEND
	;;#ASMSTART
	v_pk_add_f16 v0, v12, v0;

	;;#ASMEND
	;; [unrolled: 4-line block ×3, first 2 shown]
	v_dual_mov_b32 v98, 0 :: v_dual_and_b32 v11, 0xffff, v0
	v_lshrrev_b32_e32 v0, 16, v0
	;;#ASMSTART
	v_cvt_f32_f16 v86, v11;
	;;#ASMEND
	;;#ASMSTART
	v_cvt_f32_f16 v87, v0;
	;;#ASMEND
	flat_load_b64 v[11:12], v[9:10] offset:768
	flat_load_b32 v96, v[26:27]
	s_mov_b32 s12, exec_lo
	s_waitcnt vmcnt(1) lgkmcnt(1)
	v_dual_mov_b32 v97, 0 :: v_dual_and_b32 v0, 0xff, v11
	s_delay_alu instid0(VALU_DEP_1)
	v_cmpx_ne_u16_e32 0, v0
	s_cbranch_execz .LBB342_757
; %bb.750:                              ;   in Loop: Header=BB342_550 Depth=1
	v_bfrev_b32_e32 v97, 1
	s_mov_b32 s13, exec_lo
	v_cmpx_ne_u16_e32 0x80, v0
	s_cbranch_execz .LBB342_756
; %bb.751:                              ;   in Loop: Header=BB342_550 Depth=1
	v_and_b32_e32 v13, 0x7f, v11
	v_mov_b32_e32 v97, 0x7fc02000
	s_mov_b32 s15, exec_lo
	s_delay_alu instid0(VALU_DEP_2)
	v_cmpx_ne_u32_e32 0x7f, v13
	s_cbranch_execz .LBB342_755
; %bb.752:                              ;   in Loop: Header=BB342_550 Depth=1
	v_lshrrev_b32_e32 v0, 3, v13
	v_cmp_gt_u32_e64 s0, 8, v13
	v_dual_mov_b32 v14, v12 :: v_dual_mov_b32 v13, v11
	s_delay_alu instid0(VALU_DEP_2)
	s_and_saveexec_b32 s16, s0
; %bb.753:                              ;   in Loop: Header=BB342_550 Depth=1
	v_and_b32_e32 v0, 7, v11
	s_delay_alu instid0(VALU_DEP_1) | instskip(NEXT) | instid1(VALU_DEP_1)
	v_clz_i32_u32_e32 v0, v0
	v_min_u32_e32 v0, 32, v0
	s_delay_alu instid0(VALU_DEP_1) | instskip(SKIP_1) | instid1(VALU_DEP_2)
	v_subrev_nc_u32_e32 v13, 28, v0
	v_sub_nc_u32_e32 v0, 29, v0
	v_lshlrev_b64 v[13:14], v13, v[11:12]
; %bb.754:                              ;   in Loop: Header=BB342_550 Depth=1
	s_or_b32 exec_lo, exec_lo, s16
	v_lshlrev_b32_e32 v14, 8, v11
	s_delay_alu instid0(VALU_DEP_3) | instskip(NEXT) | instid1(VALU_DEP_3)
	v_lshl_add_u32 v0, v0, 10, 0x2000
	v_lshlrev_b32_e32 v13, 7, v13
	s_delay_alu instid0(VALU_DEP_2) | instskip(NEXT) | instid1(VALU_DEP_1)
	v_and_or_b32 v0, 0x8000, v14, v0
	v_and_or_b32 v0, 0x380, v13, v0
	s_delay_alu instid0(VALU_DEP_1)
	v_cvt_f32_f16_e32 v97, v0
.LBB342_755:                            ;   in Loop: Header=BB342_550 Depth=1
	s_or_b32 exec_lo, exec_lo, s15
.LBB342_756:                            ;   in Loop: Header=BB342_550 Depth=1
	s_delay_alu instid0(SALU_CYCLE_1)
	s_or_b32 exec_lo, exec_lo, s13
.LBB342_757:                            ;   in Loop: Header=BB342_550 Depth=1
	s_delay_alu instid0(SALU_CYCLE_1) | instskip(SKIP_2) | instid1(VALU_DEP_1)
	s_or_b32 exec_lo, exec_lo, s12
	v_lshrrev_b16 v0, 8, v11
	s_mov_b32 s12, exec_lo
	v_cmpx_ne_u16_e32 0, v0
	s_cbranch_execz .LBB342_765
; %bb.758:                              ;   in Loop: Header=BB342_550 Depth=1
	v_bfrev_b32_e32 v98, 1
	s_mov_b32 s13, exec_lo
	v_cmpx_ne_u16_e32 0x80, v0
	s_cbranch_execz .LBB342_764
; %bb.759:                              ;   in Loop: Header=BB342_550 Depth=1
	v_and_b32_e32 v13, 0xffff, v0
	v_mov_b32_e32 v98, 0x7fc02000
	s_mov_b32 s15, exec_lo
	s_delay_alu instid0(VALU_DEP_2) | instskip(NEXT) | instid1(VALU_DEP_1)
	v_and_b32_e32 v99, 0x7f, v13
	v_cmpx_ne_u32_e32 0x7f, v99
	s_cbranch_execz .LBB342_763
; %bb.760:                              ;   in Loop: Header=BB342_550 Depth=1
	v_and_b32_e32 v0, 7, v13
	v_lshrrev_b32_e32 v14, 3, v99
	s_mov_b32 s16, exec_lo
	v_cmpx_gt_u32_e32 8, v99
; %bb.761:                              ;   in Loop: Header=BB342_550 Depth=1
	s_delay_alu instid0(VALU_DEP_3) | instskip(NEXT) | instid1(VALU_DEP_1)
	v_clz_i32_u32_e32 v14, v0
	v_min_u32_e32 v14, 32, v14
	s_delay_alu instid0(VALU_DEP_1) | instskip(SKIP_1) | instid1(VALU_DEP_2)
	v_subrev_nc_u32_e32 v98, 28, v14
	v_sub_nc_u32_e32 v14, 29, v14
	v_lshlrev_b64 v[98:99], v98, v[0:1]
	s_delay_alu instid0(VALU_DEP_1)
	v_and_b32_e32 v0, 7, v98
; %bb.762:                              ;   in Loop: Header=BB342_550 Depth=1
	s_or_b32 exec_lo, exec_lo, s16
	v_lshlrev_b32_e32 v13, 8, v13
	v_lshl_add_u32 v14, v14, 10, 0x2000
	s_delay_alu instid0(VALU_DEP_1) | instskip(NEXT) | instid1(VALU_DEP_1)
	v_and_or_b32 v13, 0x8000, v13, v14
	v_lshl_or_b32 v0, v0, 7, v13
	s_delay_alu instid0(VALU_DEP_1)
	v_cvt_f32_f16_e32 v98, v0
.LBB342_763:                            ;   in Loop: Header=BB342_550 Depth=1
	s_or_b32 exec_lo, exec_lo, s15
.LBB342_764:                            ;   in Loop: Header=BB342_550 Depth=1
	s_delay_alu instid0(SALU_CYCLE_1)
	s_or_b32 exec_lo, exec_lo, s13
.LBB342_765:                            ;   in Loop: Header=BB342_550 Depth=1
	s_delay_alu instid0(SALU_CYCLE_1) | instskip(SKIP_3) | instid1(VALU_DEP_2)
	s_or_b32 exec_lo, exec_lo, s12
	v_lshrrev_b32_e32 v13, 16, v11
	v_mov_b32_e32 v100, 0
	s_mov_b32 s12, exec_lo
	v_dual_mov_b32 v99, 0 :: v_dual_and_b32 v0, 0xff, v13
	s_delay_alu instid0(VALU_DEP_1)
	v_cmpx_ne_u16_e32 0, v0
	s_cbranch_execz .LBB342_773
; %bb.766:                              ;   in Loop: Header=BB342_550 Depth=1
	v_bfrev_b32_e32 v99, 1
	s_mov_b32 s13, exec_lo
	v_cmpx_ne_u16_e32 0x80, v0
	s_cbranch_execz .LBB342_772
; %bb.767:                              ;   in Loop: Header=BB342_550 Depth=1
	v_bfe_u32 v101, v11, 16, 7
	v_mov_b32_e32 v99, 0x7fc02000
	s_mov_b32 s15, exec_lo
	s_delay_alu instid0(VALU_DEP_2)
	v_cmpx_ne_u32_e32 0x7f, v101
	s_cbranch_execz .LBB342_771
; %bb.768:                              ;   in Loop: Header=BB342_550 Depth=1
	v_and_b32_e32 v0, 7, v13
	v_lshrrev_b32_e32 v14, 3, v101
	s_mov_b32 s16, exec_lo
	v_cmpx_gt_u32_e32 8, v101
; %bb.769:                              ;   in Loop: Header=BB342_550 Depth=1
	s_delay_alu instid0(VALU_DEP_3) | instskip(NEXT) | instid1(VALU_DEP_1)
	v_clz_i32_u32_e32 v14, v0
	v_min_u32_e32 v14, 32, v14
	s_delay_alu instid0(VALU_DEP_1) | instskip(SKIP_1) | instid1(VALU_DEP_2)
	v_subrev_nc_u32_e32 v99, 28, v14
	v_sub_nc_u32_e32 v14, 29, v14
	v_lshlrev_b64 v[101:102], v99, v[0:1]
	s_delay_alu instid0(VALU_DEP_1)
	v_and_b32_e32 v0, 7, v101
; %bb.770:                              ;   in Loop: Header=BB342_550 Depth=1
	s_or_b32 exec_lo, exec_lo, s16
	v_lshlrev_b32_e32 v13, 8, v13
	v_lshl_add_u32 v14, v14, 10, 0x2000
	s_delay_alu instid0(VALU_DEP_1) | instskip(NEXT) | instid1(VALU_DEP_1)
	v_and_or_b32 v13, 0x8000, v13, v14
	v_lshl_or_b32 v0, v0, 7, v13
	s_delay_alu instid0(VALU_DEP_1)
	v_cvt_f32_f16_e32 v99, v0
.LBB342_771:                            ;   in Loop: Header=BB342_550 Depth=1
	s_or_b32 exec_lo, exec_lo, s15
.LBB342_772:                            ;   in Loop: Header=BB342_550 Depth=1
	s_delay_alu instid0(SALU_CYCLE_1)
	s_or_b32 exec_lo, exec_lo, s13
.LBB342_773:                            ;   in Loop: Header=BB342_550 Depth=1
	s_delay_alu instid0(SALU_CYCLE_1) | instskip(NEXT) | instid1(SALU_CYCLE_1)
	s_or_b32 exec_lo, exec_lo, s12
	s_mov_b32 s12, exec_lo
	v_cmpx_lt_u32_e32 0xffffff, v11
	s_cbranch_execz .LBB342_781
; %bb.774:                              ;   in Loop: Header=BB342_550 Depth=1
	v_lshrrev_b32_e32 v13, 24, v11
	v_bfrev_b32_e32 v100, 1
	s_mov_b32 s13, exec_lo
	s_delay_alu instid0(VALU_DEP_2)
	v_cmpx_ne_u32_e32 0x80, v13
	s_cbranch_execz .LBB342_780
; %bb.775:                              ;   in Loop: Header=BB342_550 Depth=1
	v_and_b32_e32 v101, 0x7f, v13
	v_mov_b32_e32 v100, 0x7fc02000
	s_mov_b32 s15, exec_lo
	s_delay_alu instid0(VALU_DEP_2)
	v_cmpx_ne_u32_e32 0x7f, v101
	s_cbranch_execz .LBB342_779
; %bb.776:                              ;   in Loop: Header=BB342_550 Depth=1
	v_and_b32_e32 v0, 7, v13
	v_lshrrev_b32_e32 v14, 3, v101
	s_mov_b32 s16, exec_lo
	v_cmpx_gt_u32_e32 8, v101
; %bb.777:                              ;   in Loop: Header=BB342_550 Depth=1
	s_delay_alu instid0(VALU_DEP_3) | instskip(NEXT) | instid1(VALU_DEP_1)
	v_clz_i32_u32_e32 v14, v0
	v_min_u32_e32 v14, 32, v14
	s_delay_alu instid0(VALU_DEP_1) | instskip(SKIP_1) | instid1(VALU_DEP_2)
	v_subrev_nc_u32_e32 v100, 28, v14
	v_sub_nc_u32_e32 v14, 29, v14
	v_lshlrev_b64 v[100:101], v100, v[0:1]
	s_delay_alu instid0(VALU_DEP_1)
	v_and_b32_e32 v0, 7, v100
; %bb.778:                              ;   in Loop: Header=BB342_550 Depth=1
	s_or_b32 exec_lo, exec_lo, s16
	v_lshlrev_b32_e32 v13, 8, v13
	v_lshl_add_u32 v14, v14, 10, 0x2000
	s_delay_alu instid0(VALU_DEP_1) | instskip(NEXT) | instid1(VALU_DEP_1)
	v_and_or_b32 v13, 0x8000, v13, v14
	v_lshl_or_b32 v0, v0, 7, v13
	s_delay_alu instid0(VALU_DEP_1)
	v_cvt_f32_f16_e32 v100, v0
.LBB342_779:                            ;   in Loop: Header=BB342_550 Depth=1
	s_or_b32 exec_lo, exec_lo, s15
.LBB342_780:                            ;   in Loop: Header=BB342_550 Depth=1
	s_delay_alu instid0(SALU_CYCLE_1)
	s_or_b32 exec_lo, exec_lo, s13
.LBB342_781:                            ;   in Loop: Header=BB342_550 Depth=1
	s_delay_alu instid0(SALU_CYCLE_1) | instskip(SKIP_3) | instid1(VALU_DEP_2)
	s_or_b32 exec_lo, exec_lo, s12
	v_dual_mov_b32 v101, 0 :: v_dual_and_b32 v14, 0xff, v12
	v_dual_mov_b32 v0, v12 :: v_dual_mov_b32 v13, 0
	s_mov_b32 s12, exec_lo
	v_cmpx_ne_u16_e32 0, v14
	s_cbranch_execz .LBB342_789
; %bb.782:                              ;   in Loop: Header=BB342_550 Depth=1
	v_bfrev_b32_e32 v13, 1
	s_mov_b32 s13, exec_lo
	v_cmpx_ne_u16_e32 0x80, v14
	s_cbranch_execz .LBB342_788
; %bb.783:                              ;   in Loop: Header=BB342_550 Depth=1
	v_and_b32_e32 v14, 0x7f, v12
	v_mov_b32_e32 v13, 0x7fc02000
	s_mov_b32 s15, exec_lo
	s_delay_alu instid0(VALU_DEP_2)
	v_cmpx_ne_u32_e32 0x7f, v14
	s_cbranch_execz .LBB342_787
; %bb.784:                              ;   in Loop: Header=BB342_550 Depth=1
	v_lshrrev_b32_e32 v102, 3, v14
	v_cmp_gt_u32_e64 s0, 8, v14
	v_dual_mov_b32 v14, v1 :: v_dual_mov_b32 v13, v0
	s_delay_alu instid0(VALU_DEP_2)
	s_and_saveexec_b32 s16, s0
; %bb.785:                              ;   in Loop: Header=BB342_550 Depth=1
	v_and_b32_e32 v13, 7, v12
	s_delay_alu instid0(VALU_DEP_1) | instskip(NEXT) | instid1(VALU_DEP_1)
	v_clz_i32_u32_e32 v13, v13
	v_min_u32_e32 v102, 32, v13
	s_delay_alu instid0(VALU_DEP_1) | instskip(SKIP_1) | instid1(VALU_DEP_2)
	v_subrev_nc_u32_e32 v13, 28, v102
	v_sub_nc_u32_e32 v102, 29, v102
	v_lshlrev_b64 v[13:14], v13, v[0:1]
; %bb.786:                              ;   in Loop: Header=BB342_550 Depth=1
	s_or_b32 exec_lo, exec_lo, s16
	v_lshlrev_b32_e32 v14, 8, v12
	s_delay_alu instid0(VALU_DEP_3) | instskip(NEXT) | instid1(VALU_DEP_3)
	v_lshl_add_u32 v102, v102, 10, 0x2000
	v_lshlrev_b32_e32 v13, 7, v13
	s_delay_alu instid0(VALU_DEP_2) | instskip(NEXT) | instid1(VALU_DEP_1)
	v_and_or_b32 v14, 0x8000, v14, v102
	v_and_or_b32 v13, 0x380, v13, v14
	s_delay_alu instid0(VALU_DEP_1)
	v_cvt_f32_f16_e32 v13, v13
.LBB342_787:                            ;   in Loop: Header=BB342_550 Depth=1
	s_or_b32 exec_lo, exec_lo, s15
.LBB342_788:                            ;   in Loop: Header=BB342_550 Depth=1
	s_delay_alu instid0(SALU_CYCLE_1)
	s_or_b32 exec_lo, exec_lo, s13
.LBB342_789:                            ;   in Loop: Header=BB342_550 Depth=1
	s_delay_alu instid0(SALU_CYCLE_1) | instskip(SKIP_2) | instid1(VALU_DEP_1)
	s_or_b32 exec_lo, exec_lo, s12
	v_lshrrev_b16 v0, 8, v0
	s_mov_b32 s12, exec_lo
	v_cmpx_ne_u16_e32 0, v0
	s_cbranch_execz .LBB342_797
; %bb.790:                              ;   in Loop: Header=BB342_550 Depth=1
	v_bfrev_b32_e32 v101, 1
	s_mov_b32 s13, exec_lo
	v_cmpx_ne_u16_e32 0x80, v0
	s_cbranch_execz .LBB342_796
; %bb.791:                              ;   in Loop: Header=BB342_550 Depth=1
	v_and_b32_e32 v14, 0xffff, v0
	v_mov_b32_e32 v101, 0x7fc02000
	s_mov_b32 s15, exec_lo
	s_delay_alu instid0(VALU_DEP_2) | instskip(NEXT) | instid1(VALU_DEP_1)
	v_and_b32_e32 v102, 0x7f, v14
	v_cmpx_ne_u32_e32 0x7f, v102
	s_cbranch_execz .LBB342_795
; %bb.792:                              ;   in Loop: Header=BB342_550 Depth=1
	v_and_b32_e32 v0, 7, v14
	v_lshrrev_b32_e32 v101, 3, v102
	s_mov_b32 s16, exec_lo
	v_cmpx_gt_u32_e32 8, v102
; %bb.793:                              ;   in Loop: Header=BB342_550 Depth=1
	s_delay_alu instid0(VALU_DEP_3) | instskip(NEXT) | instid1(VALU_DEP_1)
	v_clz_i32_u32_e32 v101, v0
	v_min_u32_e32 v101, 32, v101
	s_delay_alu instid0(VALU_DEP_1) | instskip(SKIP_1) | instid1(VALU_DEP_2)
	v_subrev_nc_u32_e32 v102, 28, v101
	v_sub_nc_u32_e32 v101, 29, v101
	v_lshlrev_b64 v[102:103], v102, v[0:1]
	s_delay_alu instid0(VALU_DEP_1)
	v_and_b32_e32 v0, 7, v102
; %bb.794:                              ;   in Loop: Header=BB342_550 Depth=1
	s_or_b32 exec_lo, exec_lo, s16
	v_lshlrev_b32_e32 v14, 8, v14
	v_lshl_add_u32 v101, v101, 10, 0x2000
	s_delay_alu instid0(VALU_DEP_1) | instskip(NEXT) | instid1(VALU_DEP_1)
	v_and_or_b32 v14, 0x8000, v14, v101
	v_lshl_or_b32 v0, v0, 7, v14
	s_delay_alu instid0(VALU_DEP_1)
	v_cvt_f32_f16_e32 v101, v0
.LBB342_795:                            ;   in Loop: Header=BB342_550 Depth=1
	s_or_b32 exec_lo, exec_lo, s15
.LBB342_796:                            ;   in Loop: Header=BB342_550 Depth=1
	s_delay_alu instid0(SALU_CYCLE_1)
	s_or_b32 exec_lo, exec_lo, s13
.LBB342_797:                            ;   in Loop: Header=BB342_550 Depth=1
	s_delay_alu instid0(SALU_CYCLE_1) | instskip(SKIP_4) | instid1(VALU_DEP_3)
	s_or_b32 exec_lo, exec_lo, s12
	v_lshrrev_b32_e32 v103, 16, v12
	v_mov_b32_e32 v102, 0
	v_mov_b32_e32 v14, 0
	s_mov_b32 s12, exec_lo
	v_and_b32_e32 v0, 0xff, v103
	s_delay_alu instid0(VALU_DEP_1)
	v_cmpx_ne_u16_e32 0, v0
	s_cbranch_execz .LBB342_805
; %bb.798:                              ;   in Loop: Header=BB342_550 Depth=1
	v_bfrev_b32_e32 v14, 1
	s_mov_b32 s13, exec_lo
	v_cmpx_ne_u16_e32 0x80, v0
	s_cbranch_execz .LBB342_804
; %bb.799:                              ;   in Loop: Header=BB342_550 Depth=1
	v_bfe_u32 v112, v12, 16, 7
	v_mov_b32_e32 v14, 0x7fc02000
	s_mov_b32 s15, exec_lo
	s_delay_alu instid0(VALU_DEP_2)
	v_cmpx_ne_u32_e32 0x7f, v112
	s_cbranch_execz .LBB342_803
; %bb.800:                              ;   in Loop: Header=BB342_550 Depth=1
	v_and_b32_e32 v0, 7, v103
	v_lshrrev_b32_e32 v14, 3, v112
	s_mov_b32 s16, exec_lo
	v_cmpx_gt_u32_e32 8, v112
; %bb.801:                              ;   in Loop: Header=BB342_550 Depth=1
	s_delay_alu instid0(VALU_DEP_3) | instskip(NEXT) | instid1(VALU_DEP_1)
	v_clz_i32_u32_e32 v14, v0
	v_min_u32_e32 v14, 32, v14
	s_delay_alu instid0(VALU_DEP_1) | instskip(SKIP_1) | instid1(VALU_DEP_2)
	v_subrev_nc_u32_e32 v112, 28, v14
	v_sub_nc_u32_e32 v14, 29, v14
	v_lshlrev_b64 v[112:113], v112, v[0:1]
	s_delay_alu instid0(VALU_DEP_1)
	v_and_b32_e32 v0, 7, v112
; %bb.802:                              ;   in Loop: Header=BB342_550 Depth=1
	s_or_b32 exec_lo, exec_lo, s16
	v_lshlrev_b32_e32 v103, 8, v103
	v_lshl_add_u32 v14, v14, 10, 0x2000
	s_delay_alu instid0(VALU_DEP_1) | instskip(NEXT) | instid1(VALU_DEP_1)
	v_and_or_b32 v14, 0x8000, v103, v14
	v_lshl_or_b32 v0, v0, 7, v14
	s_delay_alu instid0(VALU_DEP_1)
	v_cvt_f32_f16_e32 v14, v0
.LBB342_803:                            ;   in Loop: Header=BB342_550 Depth=1
	s_or_b32 exec_lo, exec_lo, s15
.LBB342_804:                            ;   in Loop: Header=BB342_550 Depth=1
	s_delay_alu instid0(SALU_CYCLE_1)
	s_or_b32 exec_lo, exec_lo, s13
.LBB342_805:                            ;   in Loop: Header=BB342_550 Depth=1
	s_delay_alu instid0(SALU_CYCLE_1) | instskip(NEXT) | instid1(SALU_CYCLE_1)
	s_or_b32 exec_lo, exec_lo, s12
	s_mov_b32 s12, exec_lo
	v_cmpx_lt_u64_e64 s[8:9], v[11:12]
	s_cbranch_execz .LBB342_813
; %bb.806:                              ;   in Loop: Header=BB342_550 Depth=1
	v_lshrrev_b32_e32 v11, 24, v12
	v_bfrev_b32_e32 v102, 1
	s_mov_b32 s13, exec_lo
	s_delay_alu instid0(VALU_DEP_2)
	v_cmpx_ne_u32_e32 0x80, v11
	s_cbranch_execz .LBB342_812
; %bb.807:                              ;   in Loop: Header=BB342_550 Depth=1
	v_and_b32_e32 v103, 0x7f, v11
	v_mov_b32_e32 v102, 0x7fc02000
	s_mov_b32 s15, exec_lo
	s_delay_alu instid0(VALU_DEP_2)
	v_cmpx_ne_u32_e32 0x7f, v103
	s_cbranch_execz .LBB342_811
; %bb.808:                              ;   in Loop: Header=BB342_550 Depth=1
	v_and_b32_e32 v0, 7, v11
	v_lshrrev_b32_e32 v12, 3, v103
	s_mov_b32 s16, exec_lo
	v_cmpx_gt_u32_e32 8, v103
; %bb.809:                              ;   in Loop: Header=BB342_550 Depth=1
	s_delay_alu instid0(VALU_DEP_3) | instskip(NEXT) | instid1(VALU_DEP_1)
	v_clz_i32_u32_e32 v12, v0
	v_min_u32_e32 v12, 32, v12
	s_delay_alu instid0(VALU_DEP_1) | instskip(SKIP_1) | instid1(VALU_DEP_2)
	v_subrev_nc_u32_e32 v102, 28, v12
	v_sub_nc_u32_e32 v12, 29, v12
	v_lshlrev_b64 v[102:103], v102, v[0:1]
	s_delay_alu instid0(VALU_DEP_1)
	v_and_b32_e32 v0, 7, v102
; %bb.810:                              ;   in Loop: Header=BB342_550 Depth=1
	s_or_b32 exec_lo, exec_lo, s16
	v_lshlrev_b32_e32 v11, 8, v11
	v_lshl_add_u32 v12, v12, 10, 0x2000
	s_delay_alu instid0(VALU_DEP_1) | instskip(NEXT) | instid1(VALU_DEP_1)
	v_and_or_b32 v11, 0x8000, v11, v12
	v_lshl_or_b32 v0, v0, 7, v11
	s_delay_alu instid0(VALU_DEP_1)
	v_cvt_f32_f16_e32 v102, v0
.LBB342_811:                            ;   in Loop: Header=BB342_550 Depth=1
	s_or_b32 exec_lo, exec_lo, s15
.LBB342_812:                            ;   in Loop: Header=BB342_550 Depth=1
	s_delay_alu instid0(SALU_CYCLE_1)
	s_or_b32 exec_lo, exec_lo, s13
.LBB342_813:                            ;   in Loop: Header=BB342_550 Depth=1
	s_delay_alu instid0(SALU_CYCLE_1)
	s_or_b32 exec_lo, exec_lo, s12
	s_waitcnt vmcnt(0) lgkmcnt(0)
	v_fma_mixlo_f16 v12, v96, v98, 0
	v_fma_mixlo_f16 v0, v96, v100, 0
	;; [unrolled: 1-line block ×5, first 2 shown]
	v_lshlrev_b32_e32 v98, 16, v12
	v_fma_mixlo_f16 v13, v96, v13, 0
	v_fma_mixlo_f16 v100, v96, v102, 0
	;; [unrolled: 1-line block ×3, first 2 shown]
	v_lshlrev_b32_e32 v0, 16, v0
	v_and_b32_e32 v11, 0xffff, v11
	v_and_b32_e32 v14, 0xffff, v97
	v_lshlrev_b32_e32 v96, 16, v99
	v_and_b32_e32 v97, 0xffff, v13
	v_lshlrev_b32_e32 v99, 16, v100
	v_and_b32_e32 v100, 0xffff, v12
	v_or_b32_e32 v13, v0, v11
	v_or_b32_e32 v14, v98, v14
	;; [unrolled: 1-line block ×3, first 2 shown]
	s_delay_alu instid0(VALU_DEP_4)
	v_or_b32_e32 v11, v99, v100
	s_and_saveexec_b32 s12, vcc_lo
	s_cbranch_execz .LBB342_815
; %bb.814:                              ;   in Loop: Header=BB342_550 Depth=1
	v_cmp_lt_i32_e64 s0, v19, v38
	v_lshrrev_b32_e32 v96, 16, v14
	v_lshrrev_b32_e32 v97, 16, v13
	;; [unrolled: 1-line block ×4, first 2 shown]
	v_cndmask_b32_e64 v14, 0, v14, s0
	v_cmp_lt_i32_e64 s0, v69, v54
	s_delay_alu instid0(VALU_DEP_1) | instskip(SKIP_1) | instid1(VALU_DEP_2)
	v_cndmask_b32_e64 v96, 0, v96, s0
	v_cmp_lt_i32_e64 s0, v68, v54
	v_perm_b32 v14, v96, v14, 0x5040100
	s_delay_alu instid0(VALU_DEP_2) | instskip(SKIP_1) | instid1(VALU_DEP_1)
	v_cndmask_b32_e64 v97, 0, v97, s0
	v_cmp_lt_i32_e64 s0, v67, v38
	v_cndmask_b32_e64 v13, 0, v13, s0
	v_cmp_lt_i32_e64 s0, v66, v54
	s_delay_alu instid0(VALU_DEP_2) | instskip(NEXT) | instid1(VALU_DEP_2)
	v_perm_b32 v13, v97, v13, 0x5040100
	v_cndmask_b32_e64 v98, 0, v98, s0
	v_cmp_lt_i32_e64 s0, v65, v38
	s_delay_alu instid0(VALU_DEP_1) | instskip(SKIP_1) | instid1(VALU_DEP_2)
	v_cndmask_b32_e64 v0, 0, v0, s0
	v_cmp_lt_i32_e64 s0, v64, v54
	v_perm_b32 v0, v98, v0, 0x5040100
	s_delay_alu instid0(VALU_DEP_2) | instskip(SKIP_1) | instid1(VALU_DEP_1)
	v_cndmask_b32_e64 v11, 0, v11, s0
	v_cmp_lt_i32_e64 s0, v55, v38
	v_cndmask_b32_e64 v12, 0, v12, s0
	s_delay_alu instid0(VALU_DEP_1)
	v_perm_b32 v11, v11, v12, 0x5040100
.LBB342_815:                            ;   in Loop: Header=BB342_550 Depth=1
	s_or_b32 exec_lo, exec_lo, s12
	;;#ASMSTART
	v_pk_mul_f16 v12, v83, v14;

	;;#ASMEND
	;;#ASMSTART
	v_pk_mul_f16 v13, v82, v13;

	;;#ASMEND
	;; [unrolled: 4-line block ×4, first 2 shown]
	;;#ASMSTART
	v_pk_add_f16 v12, v12, v13;

	;;#ASMEND
	;;#ASMSTART
	v_pk_add_f16 v0, v12, v0;

	;;#ASMEND
	;; [unrolled: 4-line block ×3, first 2 shown]
	v_dual_mov_b32 v100, 0 :: v_dual_and_b32 v11, 0xffff, v0
	v_lshrrev_b32_e32 v0, 16, v0
	;;#ASMSTART
	v_cvt_f32_f16 v96, v11;
	;;#ASMEND
	;;#ASMSTART
	v_cvt_f32_f16 v97, v0;
	;;#ASMEND
	flat_load_b64 v[11:12], v[9:10] offset:1024
	flat_load_b32 v98, v[26:27]
	s_mov_b32 s12, exec_lo
	s_waitcnt vmcnt(1) lgkmcnt(1)
	v_dual_mov_b32 v99, 0 :: v_dual_and_b32 v0, 0xff, v11
	s_delay_alu instid0(VALU_DEP_1)
	v_cmpx_ne_u16_e32 0, v0
	s_cbranch_execz .LBB342_823
; %bb.816:                              ;   in Loop: Header=BB342_550 Depth=1
	v_bfrev_b32_e32 v99, 1
	s_mov_b32 s13, exec_lo
	v_cmpx_ne_u16_e32 0x80, v0
	s_cbranch_execz .LBB342_822
; %bb.817:                              ;   in Loop: Header=BB342_550 Depth=1
	v_and_b32_e32 v13, 0x7f, v11
	v_mov_b32_e32 v99, 0x7fc02000
	s_mov_b32 s15, exec_lo
	s_delay_alu instid0(VALU_DEP_2)
	v_cmpx_ne_u32_e32 0x7f, v13
	s_cbranch_execz .LBB342_821
; %bb.818:                              ;   in Loop: Header=BB342_550 Depth=1
	v_lshrrev_b32_e32 v0, 3, v13
	v_cmp_gt_u32_e64 s0, 8, v13
	v_dual_mov_b32 v14, v12 :: v_dual_mov_b32 v13, v11
	s_delay_alu instid0(VALU_DEP_2)
	s_and_saveexec_b32 s16, s0
; %bb.819:                              ;   in Loop: Header=BB342_550 Depth=1
	v_and_b32_e32 v0, 7, v11
	s_delay_alu instid0(VALU_DEP_1) | instskip(NEXT) | instid1(VALU_DEP_1)
	v_clz_i32_u32_e32 v0, v0
	v_min_u32_e32 v0, 32, v0
	s_delay_alu instid0(VALU_DEP_1) | instskip(SKIP_1) | instid1(VALU_DEP_2)
	v_subrev_nc_u32_e32 v13, 28, v0
	v_sub_nc_u32_e32 v0, 29, v0
	v_lshlrev_b64 v[13:14], v13, v[11:12]
; %bb.820:                              ;   in Loop: Header=BB342_550 Depth=1
	s_or_b32 exec_lo, exec_lo, s16
	v_lshlrev_b32_e32 v14, 8, v11
	s_delay_alu instid0(VALU_DEP_3) | instskip(NEXT) | instid1(VALU_DEP_3)
	v_lshl_add_u32 v0, v0, 10, 0x2000
	v_lshlrev_b32_e32 v13, 7, v13
	s_delay_alu instid0(VALU_DEP_2) | instskip(NEXT) | instid1(VALU_DEP_1)
	v_and_or_b32 v0, 0x8000, v14, v0
	v_and_or_b32 v0, 0x380, v13, v0
	s_delay_alu instid0(VALU_DEP_1)
	v_cvt_f32_f16_e32 v99, v0
.LBB342_821:                            ;   in Loop: Header=BB342_550 Depth=1
	s_or_b32 exec_lo, exec_lo, s15
.LBB342_822:                            ;   in Loop: Header=BB342_550 Depth=1
	s_delay_alu instid0(SALU_CYCLE_1)
	s_or_b32 exec_lo, exec_lo, s13
.LBB342_823:                            ;   in Loop: Header=BB342_550 Depth=1
	s_delay_alu instid0(SALU_CYCLE_1) | instskip(SKIP_2) | instid1(VALU_DEP_1)
	s_or_b32 exec_lo, exec_lo, s12
	v_lshrrev_b16 v0, 8, v11
	s_mov_b32 s12, exec_lo
	v_cmpx_ne_u16_e32 0, v0
	s_cbranch_execz .LBB342_831
; %bb.824:                              ;   in Loop: Header=BB342_550 Depth=1
	v_bfrev_b32_e32 v100, 1
	s_mov_b32 s13, exec_lo
	v_cmpx_ne_u16_e32 0x80, v0
	s_cbranch_execz .LBB342_830
; %bb.825:                              ;   in Loop: Header=BB342_550 Depth=1
	v_and_b32_e32 v13, 0xffff, v0
	v_mov_b32_e32 v100, 0x7fc02000
	s_mov_b32 s15, exec_lo
	s_delay_alu instid0(VALU_DEP_2) | instskip(NEXT) | instid1(VALU_DEP_1)
	v_and_b32_e32 v101, 0x7f, v13
	v_cmpx_ne_u32_e32 0x7f, v101
	s_cbranch_execz .LBB342_829
; %bb.826:                              ;   in Loop: Header=BB342_550 Depth=1
	v_and_b32_e32 v0, 7, v13
	v_lshrrev_b32_e32 v14, 3, v101
	s_mov_b32 s16, exec_lo
	v_cmpx_gt_u32_e32 8, v101
; %bb.827:                              ;   in Loop: Header=BB342_550 Depth=1
	s_delay_alu instid0(VALU_DEP_3) | instskip(NEXT) | instid1(VALU_DEP_1)
	v_clz_i32_u32_e32 v14, v0
	v_min_u32_e32 v14, 32, v14
	s_delay_alu instid0(VALU_DEP_1) | instskip(SKIP_1) | instid1(VALU_DEP_2)
	v_subrev_nc_u32_e32 v100, 28, v14
	v_sub_nc_u32_e32 v14, 29, v14
	v_lshlrev_b64 v[100:101], v100, v[0:1]
	s_delay_alu instid0(VALU_DEP_1)
	v_and_b32_e32 v0, 7, v100
; %bb.828:                              ;   in Loop: Header=BB342_550 Depth=1
	s_or_b32 exec_lo, exec_lo, s16
	v_lshlrev_b32_e32 v13, 8, v13
	v_lshl_add_u32 v14, v14, 10, 0x2000
	s_delay_alu instid0(VALU_DEP_1) | instskip(NEXT) | instid1(VALU_DEP_1)
	v_and_or_b32 v13, 0x8000, v13, v14
	v_lshl_or_b32 v0, v0, 7, v13
	s_delay_alu instid0(VALU_DEP_1)
	v_cvt_f32_f16_e32 v100, v0
.LBB342_829:                            ;   in Loop: Header=BB342_550 Depth=1
	s_or_b32 exec_lo, exec_lo, s15
.LBB342_830:                            ;   in Loop: Header=BB342_550 Depth=1
	s_delay_alu instid0(SALU_CYCLE_1)
	s_or_b32 exec_lo, exec_lo, s13
.LBB342_831:                            ;   in Loop: Header=BB342_550 Depth=1
	s_delay_alu instid0(SALU_CYCLE_1) | instskip(SKIP_3) | instid1(VALU_DEP_2)
	s_or_b32 exec_lo, exec_lo, s12
	v_lshrrev_b32_e32 v13, 16, v11
	v_mov_b32_e32 v102, 0
	s_mov_b32 s12, exec_lo
	v_dual_mov_b32 v101, 0 :: v_dual_and_b32 v0, 0xff, v13
	s_delay_alu instid0(VALU_DEP_1)
	v_cmpx_ne_u16_e32 0, v0
	s_cbranch_execz .LBB342_839
; %bb.832:                              ;   in Loop: Header=BB342_550 Depth=1
	v_bfrev_b32_e32 v101, 1
	s_mov_b32 s13, exec_lo
	v_cmpx_ne_u16_e32 0x80, v0
	s_cbranch_execz .LBB342_838
; %bb.833:                              ;   in Loop: Header=BB342_550 Depth=1
	v_bfe_u32 v103, v11, 16, 7
	v_mov_b32_e32 v101, 0x7fc02000
	s_mov_b32 s15, exec_lo
	s_delay_alu instid0(VALU_DEP_2)
	v_cmpx_ne_u32_e32 0x7f, v103
	s_cbranch_execz .LBB342_837
; %bb.834:                              ;   in Loop: Header=BB342_550 Depth=1
	v_and_b32_e32 v0, 7, v13
	v_lshrrev_b32_e32 v14, 3, v103
	s_mov_b32 s16, exec_lo
	v_cmpx_gt_u32_e32 8, v103
; %bb.835:                              ;   in Loop: Header=BB342_550 Depth=1
	s_delay_alu instid0(VALU_DEP_3) | instskip(NEXT) | instid1(VALU_DEP_1)
	v_clz_i32_u32_e32 v14, v0
	v_min_u32_e32 v14, 32, v14
	s_delay_alu instid0(VALU_DEP_1) | instskip(SKIP_1) | instid1(VALU_DEP_2)
	v_subrev_nc_u32_e32 v101, 28, v14
	v_sub_nc_u32_e32 v14, 29, v14
	v_lshlrev_b64 v[112:113], v101, v[0:1]
	s_delay_alu instid0(VALU_DEP_1)
	v_and_b32_e32 v0, 7, v112
; %bb.836:                              ;   in Loop: Header=BB342_550 Depth=1
	s_or_b32 exec_lo, exec_lo, s16
	v_lshlrev_b32_e32 v13, 8, v13
	v_lshl_add_u32 v14, v14, 10, 0x2000
	s_delay_alu instid0(VALU_DEP_1) | instskip(NEXT) | instid1(VALU_DEP_1)
	v_and_or_b32 v13, 0x8000, v13, v14
	v_lshl_or_b32 v0, v0, 7, v13
	s_delay_alu instid0(VALU_DEP_1)
	v_cvt_f32_f16_e32 v101, v0
.LBB342_837:                            ;   in Loop: Header=BB342_550 Depth=1
	s_or_b32 exec_lo, exec_lo, s15
.LBB342_838:                            ;   in Loop: Header=BB342_550 Depth=1
	s_delay_alu instid0(SALU_CYCLE_1)
	s_or_b32 exec_lo, exec_lo, s13
.LBB342_839:                            ;   in Loop: Header=BB342_550 Depth=1
	s_delay_alu instid0(SALU_CYCLE_1) | instskip(NEXT) | instid1(SALU_CYCLE_1)
	s_or_b32 exec_lo, exec_lo, s12
	s_mov_b32 s12, exec_lo
	v_cmpx_lt_u32_e32 0xffffff, v11
	s_cbranch_execz .LBB342_847
; %bb.840:                              ;   in Loop: Header=BB342_550 Depth=1
	v_lshrrev_b32_e32 v13, 24, v11
	v_bfrev_b32_e32 v102, 1
	s_mov_b32 s13, exec_lo
	s_delay_alu instid0(VALU_DEP_2)
	v_cmpx_ne_u32_e32 0x80, v13
	s_cbranch_execz .LBB342_846
; %bb.841:                              ;   in Loop: Header=BB342_550 Depth=1
	v_and_b32_e32 v103, 0x7f, v13
	v_mov_b32_e32 v102, 0x7fc02000
	s_mov_b32 s15, exec_lo
	s_delay_alu instid0(VALU_DEP_2)
	v_cmpx_ne_u32_e32 0x7f, v103
	s_cbranch_execz .LBB342_845
; %bb.842:                              ;   in Loop: Header=BB342_550 Depth=1
	v_and_b32_e32 v0, 7, v13
	v_lshrrev_b32_e32 v14, 3, v103
	s_mov_b32 s16, exec_lo
	v_cmpx_gt_u32_e32 8, v103
; %bb.843:                              ;   in Loop: Header=BB342_550 Depth=1
	s_delay_alu instid0(VALU_DEP_3) | instskip(NEXT) | instid1(VALU_DEP_1)
	v_clz_i32_u32_e32 v14, v0
	v_min_u32_e32 v14, 32, v14
	s_delay_alu instid0(VALU_DEP_1) | instskip(SKIP_1) | instid1(VALU_DEP_2)
	v_subrev_nc_u32_e32 v102, 28, v14
	v_sub_nc_u32_e32 v14, 29, v14
	v_lshlrev_b64 v[102:103], v102, v[0:1]
	s_delay_alu instid0(VALU_DEP_1)
	v_and_b32_e32 v0, 7, v102
; %bb.844:                              ;   in Loop: Header=BB342_550 Depth=1
	s_or_b32 exec_lo, exec_lo, s16
	v_lshlrev_b32_e32 v13, 8, v13
	v_lshl_add_u32 v14, v14, 10, 0x2000
	s_delay_alu instid0(VALU_DEP_1) | instskip(NEXT) | instid1(VALU_DEP_1)
	v_and_or_b32 v13, 0x8000, v13, v14
	v_lshl_or_b32 v0, v0, 7, v13
	s_delay_alu instid0(VALU_DEP_1)
	v_cvt_f32_f16_e32 v102, v0
.LBB342_845:                            ;   in Loop: Header=BB342_550 Depth=1
	s_or_b32 exec_lo, exec_lo, s15
.LBB342_846:                            ;   in Loop: Header=BB342_550 Depth=1
	s_delay_alu instid0(SALU_CYCLE_1)
	s_or_b32 exec_lo, exec_lo, s13
.LBB342_847:                            ;   in Loop: Header=BB342_550 Depth=1
	s_delay_alu instid0(SALU_CYCLE_1) | instskip(SKIP_3) | instid1(VALU_DEP_2)
	s_or_b32 exec_lo, exec_lo, s12
	v_dual_mov_b32 v103, 0 :: v_dual_and_b32 v14, 0xff, v12
	v_dual_mov_b32 v0, v12 :: v_dual_mov_b32 v13, 0
	s_mov_b32 s12, exec_lo
	v_cmpx_ne_u16_e32 0, v14
	s_cbranch_execz .LBB342_855
; %bb.848:                              ;   in Loop: Header=BB342_550 Depth=1
	v_bfrev_b32_e32 v13, 1
	s_mov_b32 s13, exec_lo
	v_cmpx_ne_u16_e32 0x80, v14
	s_cbranch_execz .LBB342_854
; %bb.849:                              ;   in Loop: Header=BB342_550 Depth=1
	v_and_b32_e32 v14, 0x7f, v12
	v_mov_b32_e32 v13, 0x7fc02000
	s_mov_b32 s15, exec_lo
	s_delay_alu instid0(VALU_DEP_2)
	v_cmpx_ne_u32_e32 0x7f, v14
	s_cbranch_execz .LBB342_853
; %bb.850:                              ;   in Loop: Header=BB342_550 Depth=1
	v_lshrrev_b32_e32 v112, 3, v14
	v_cmp_gt_u32_e64 s0, 8, v14
	v_dual_mov_b32 v14, v1 :: v_dual_mov_b32 v13, v0
	s_delay_alu instid0(VALU_DEP_2)
	s_and_saveexec_b32 s16, s0
; %bb.851:                              ;   in Loop: Header=BB342_550 Depth=1
	v_and_b32_e32 v13, 7, v12
	s_delay_alu instid0(VALU_DEP_1) | instskip(NEXT) | instid1(VALU_DEP_1)
	v_clz_i32_u32_e32 v13, v13
	v_min_u32_e32 v112, 32, v13
	s_delay_alu instid0(VALU_DEP_1) | instskip(SKIP_1) | instid1(VALU_DEP_2)
	v_subrev_nc_u32_e32 v13, 28, v112
	v_sub_nc_u32_e32 v112, 29, v112
	v_lshlrev_b64 v[13:14], v13, v[0:1]
; %bb.852:                              ;   in Loop: Header=BB342_550 Depth=1
	s_or_b32 exec_lo, exec_lo, s16
	v_lshlrev_b32_e32 v14, 8, v12
	s_delay_alu instid0(VALU_DEP_3) | instskip(NEXT) | instid1(VALU_DEP_3)
	v_lshl_add_u32 v112, v112, 10, 0x2000
	v_lshlrev_b32_e32 v13, 7, v13
	s_delay_alu instid0(VALU_DEP_2) | instskip(NEXT) | instid1(VALU_DEP_1)
	v_and_or_b32 v14, 0x8000, v14, v112
	v_and_or_b32 v13, 0x380, v13, v14
	s_delay_alu instid0(VALU_DEP_1)
	v_cvt_f32_f16_e32 v13, v13
.LBB342_853:                            ;   in Loop: Header=BB342_550 Depth=1
	s_or_b32 exec_lo, exec_lo, s15
.LBB342_854:                            ;   in Loop: Header=BB342_550 Depth=1
	s_delay_alu instid0(SALU_CYCLE_1)
	s_or_b32 exec_lo, exec_lo, s13
.LBB342_855:                            ;   in Loop: Header=BB342_550 Depth=1
	s_delay_alu instid0(SALU_CYCLE_1) | instskip(SKIP_2) | instid1(VALU_DEP_1)
	s_or_b32 exec_lo, exec_lo, s12
	v_lshrrev_b16 v0, 8, v0
	s_mov_b32 s12, exec_lo
	v_cmpx_ne_u16_e32 0, v0
	s_cbranch_execz .LBB342_863
; %bb.856:                              ;   in Loop: Header=BB342_550 Depth=1
	v_bfrev_b32_e32 v103, 1
	s_mov_b32 s13, exec_lo
	v_cmpx_ne_u16_e32 0x80, v0
	s_cbranch_execz .LBB342_862
; %bb.857:                              ;   in Loop: Header=BB342_550 Depth=1
	v_and_b32_e32 v14, 0xffff, v0
	v_mov_b32_e32 v103, 0x7fc02000
	s_mov_b32 s15, exec_lo
	s_delay_alu instid0(VALU_DEP_2) | instskip(NEXT) | instid1(VALU_DEP_1)
	v_and_b32_e32 v112, 0x7f, v14
	v_cmpx_ne_u32_e32 0x7f, v112
	s_cbranch_execz .LBB342_861
; %bb.858:                              ;   in Loop: Header=BB342_550 Depth=1
	v_and_b32_e32 v0, 7, v14
	v_lshrrev_b32_e32 v103, 3, v112
	s_mov_b32 s16, exec_lo
	v_cmpx_gt_u32_e32 8, v112
; %bb.859:                              ;   in Loop: Header=BB342_550 Depth=1
	s_delay_alu instid0(VALU_DEP_3) | instskip(NEXT) | instid1(VALU_DEP_1)
	v_clz_i32_u32_e32 v103, v0
	v_min_u32_e32 v103, 32, v103
	s_delay_alu instid0(VALU_DEP_1) | instskip(SKIP_1) | instid1(VALU_DEP_2)
	v_subrev_nc_u32_e32 v112, 28, v103
	v_sub_nc_u32_e32 v103, 29, v103
	v_lshlrev_b64 v[112:113], v112, v[0:1]
	s_delay_alu instid0(VALU_DEP_1)
	v_and_b32_e32 v0, 7, v112
; %bb.860:                              ;   in Loop: Header=BB342_550 Depth=1
	s_or_b32 exec_lo, exec_lo, s16
	v_lshlrev_b32_e32 v14, 8, v14
	v_lshl_add_u32 v103, v103, 10, 0x2000
	s_delay_alu instid0(VALU_DEP_1) | instskip(NEXT) | instid1(VALU_DEP_1)
	v_and_or_b32 v14, 0x8000, v14, v103
	v_lshl_or_b32 v0, v0, 7, v14
	s_delay_alu instid0(VALU_DEP_1)
	v_cvt_f32_f16_e32 v103, v0
.LBB342_861:                            ;   in Loop: Header=BB342_550 Depth=1
	s_or_b32 exec_lo, exec_lo, s15
.LBB342_862:                            ;   in Loop: Header=BB342_550 Depth=1
	s_delay_alu instid0(SALU_CYCLE_1)
	s_or_b32 exec_lo, exec_lo, s13
.LBB342_863:                            ;   in Loop: Header=BB342_550 Depth=1
	s_delay_alu instid0(SALU_CYCLE_1) | instskip(SKIP_4) | instid1(VALU_DEP_3)
	s_or_b32 exec_lo, exec_lo, s12
	v_lshrrev_b32_e32 v113, 16, v12
	v_mov_b32_e32 v112, 0
	v_mov_b32_e32 v14, 0
	s_mov_b32 s12, exec_lo
	v_and_b32_e32 v0, 0xff, v113
	s_delay_alu instid0(VALU_DEP_1)
	v_cmpx_ne_u16_e32 0, v0
	s_cbranch_execz .LBB342_871
; %bb.864:                              ;   in Loop: Header=BB342_550 Depth=1
	v_bfrev_b32_e32 v14, 1
	s_mov_b32 s13, exec_lo
	v_cmpx_ne_u16_e32 0x80, v0
	s_cbranch_execz .LBB342_870
; %bb.865:                              ;   in Loop: Header=BB342_550 Depth=1
	v_bfe_u32 v114, v12, 16, 7
	v_mov_b32_e32 v14, 0x7fc02000
	s_mov_b32 s15, exec_lo
	s_delay_alu instid0(VALU_DEP_2)
	v_cmpx_ne_u32_e32 0x7f, v114
	s_cbranch_execz .LBB342_869
; %bb.866:                              ;   in Loop: Header=BB342_550 Depth=1
	v_and_b32_e32 v0, 7, v113
	v_lshrrev_b32_e32 v14, 3, v114
	s_mov_b32 s16, exec_lo
	v_cmpx_gt_u32_e32 8, v114
; %bb.867:                              ;   in Loop: Header=BB342_550 Depth=1
	s_delay_alu instid0(VALU_DEP_3) | instskip(NEXT) | instid1(VALU_DEP_1)
	v_clz_i32_u32_e32 v14, v0
	v_min_u32_e32 v14, 32, v14
	s_delay_alu instid0(VALU_DEP_1) | instskip(SKIP_1) | instid1(VALU_DEP_2)
	v_subrev_nc_u32_e32 v114, 28, v14
	v_sub_nc_u32_e32 v14, 29, v14
	v_lshlrev_b64 v[114:115], v114, v[0:1]
	s_delay_alu instid0(VALU_DEP_1)
	v_and_b32_e32 v0, 7, v114
; %bb.868:                              ;   in Loop: Header=BB342_550 Depth=1
	s_or_b32 exec_lo, exec_lo, s16
	v_lshlrev_b32_e32 v113, 8, v113
	v_lshl_add_u32 v14, v14, 10, 0x2000
	s_delay_alu instid0(VALU_DEP_1) | instskip(NEXT) | instid1(VALU_DEP_1)
	v_and_or_b32 v14, 0x8000, v113, v14
	v_lshl_or_b32 v0, v0, 7, v14
	s_delay_alu instid0(VALU_DEP_1)
	v_cvt_f32_f16_e32 v14, v0
.LBB342_869:                            ;   in Loop: Header=BB342_550 Depth=1
	s_or_b32 exec_lo, exec_lo, s15
.LBB342_870:                            ;   in Loop: Header=BB342_550 Depth=1
	s_delay_alu instid0(SALU_CYCLE_1)
	s_or_b32 exec_lo, exec_lo, s13
.LBB342_871:                            ;   in Loop: Header=BB342_550 Depth=1
	s_delay_alu instid0(SALU_CYCLE_1) | instskip(NEXT) | instid1(SALU_CYCLE_1)
	s_or_b32 exec_lo, exec_lo, s12
	s_mov_b32 s12, exec_lo
	v_cmpx_lt_u64_e64 s[8:9], v[11:12]
	s_cbranch_execz .LBB342_879
; %bb.872:                              ;   in Loop: Header=BB342_550 Depth=1
	v_lshrrev_b32_e32 v11, 24, v12
	v_bfrev_b32_e32 v112, 1
	s_mov_b32 s13, exec_lo
	s_delay_alu instid0(VALU_DEP_2)
	v_cmpx_ne_u32_e32 0x80, v11
	s_cbranch_execz .LBB342_878
; %bb.873:                              ;   in Loop: Header=BB342_550 Depth=1
	v_and_b32_e32 v113, 0x7f, v11
	v_mov_b32_e32 v112, 0x7fc02000
	s_mov_b32 s15, exec_lo
	s_delay_alu instid0(VALU_DEP_2)
	v_cmpx_ne_u32_e32 0x7f, v113
	s_cbranch_execz .LBB342_877
; %bb.874:                              ;   in Loop: Header=BB342_550 Depth=1
	v_and_b32_e32 v0, 7, v11
	v_lshrrev_b32_e32 v12, 3, v113
	s_mov_b32 s16, exec_lo
	v_cmpx_gt_u32_e32 8, v113
; %bb.875:                              ;   in Loop: Header=BB342_550 Depth=1
	s_delay_alu instid0(VALU_DEP_3) | instskip(NEXT) | instid1(VALU_DEP_1)
	v_clz_i32_u32_e32 v12, v0
	v_min_u32_e32 v12, 32, v12
	s_delay_alu instid0(VALU_DEP_1) | instskip(SKIP_1) | instid1(VALU_DEP_2)
	v_subrev_nc_u32_e32 v112, 28, v12
	v_sub_nc_u32_e32 v12, 29, v12
	v_lshlrev_b64 v[112:113], v112, v[0:1]
	s_delay_alu instid0(VALU_DEP_1)
	v_and_b32_e32 v0, 7, v112
; %bb.876:                              ;   in Loop: Header=BB342_550 Depth=1
	s_or_b32 exec_lo, exec_lo, s16
	v_lshlrev_b32_e32 v11, 8, v11
	v_lshl_add_u32 v12, v12, 10, 0x2000
	s_delay_alu instid0(VALU_DEP_1) | instskip(NEXT) | instid1(VALU_DEP_1)
	v_and_or_b32 v11, 0x8000, v11, v12
	v_lshl_or_b32 v0, v0, 7, v11
	s_delay_alu instid0(VALU_DEP_1)
	v_cvt_f32_f16_e32 v112, v0
.LBB342_877:                            ;   in Loop: Header=BB342_550 Depth=1
	s_or_b32 exec_lo, exec_lo, s15
.LBB342_878:                            ;   in Loop: Header=BB342_550 Depth=1
	s_delay_alu instid0(SALU_CYCLE_1)
	s_or_b32 exec_lo, exec_lo, s13
.LBB342_879:                            ;   in Loop: Header=BB342_550 Depth=1
	s_delay_alu instid0(SALU_CYCLE_1)
	s_or_b32 exec_lo, exec_lo, s12
	s_waitcnt vmcnt(0) lgkmcnt(0)
	v_fma_mixlo_f16 v12, v98, v100, 0
	v_fma_mixlo_f16 v0, v98, v102, 0
	;; [unrolled: 1-line block ×5, first 2 shown]
	v_lshlrev_b32_e32 v100, 16, v12
	v_fma_mixlo_f16 v13, v98, v13, 0
	v_fma_mixlo_f16 v102, v98, v112, 0
	v_fma_mixlo_f16 v12, v98, v14, 0
	v_lshlrev_b32_e32 v0, 16, v0
	v_and_b32_e32 v11, 0xffff, v11
	v_and_b32_e32 v14, 0xffff, v99
	v_lshlrev_b32_e32 v98, 16, v101
	v_and_b32_e32 v99, 0xffff, v13
	v_lshlrev_b32_e32 v101, 16, v102
	v_and_b32_e32 v102, 0xffff, v12
	v_or_b32_e32 v13, v0, v11
	v_or_b32_e32 v14, v100, v14
	;; [unrolled: 1-line block ×3, first 2 shown]
	s_delay_alu instid0(VALU_DEP_4)
	v_or_b32_e32 v11, v101, v102
	s_and_saveexec_b32 s12, vcc_lo
	s_cbranch_execz .LBB342_881
; %bb.880:                              ;   in Loop: Header=BB342_550 Depth=1
	v_cmp_lt_i32_e64 s0, v19, v38
	v_lshrrev_b32_e32 v98, 16, v14
	v_lshrrev_b32_e32 v99, 16, v13
	;; [unrolled: 1-line block ×4, first 2 shown]
	v_cndmask_b32_e64 v14, 0, v14, s0
	v_cmp_lt_i32_e64 s0, v69, v54
	s_delay_alu instid0(VALU_DEP_1) | instskip(SKIP_1) | instid1(VALU_DEP_2)
	v_cndmask_b32_e64 v98, 0, v98, s0
	v_cmp_lt_i32_e64 s0, v68, v54
	v_perm_b32 v14, v98, v14, 0x5040100
	s_delay_alu instid0(VALU_DEP_2) | instskip(SKIP_1) | instid1(VALU_DEP_1)
	v_cndmask_b32_e64 v99, 0, v99, s0
	v_cmp_lt_i32_e64 s0, v67, v38
	v_cndmask_b32_e64 v13, 0, v13, s0
	v_cmp_lt_i32_e64 s0, v66, v54
	s_delay_alu instid0(VALU_DEP_2) | instskip(NEXT) | instid1(VALU_DEP_2)
	v_perm_b32 v13, v99, v13, 0x5040100
	v_cndmask_b32_e64 v100, 0, v100, s0
	v_cmp_lt_i32_e64 s0, v65, v38
	s_delay_alu instid0(VALU_DEP_1) | instskip(SKIP_1) | instid1(VALU_DEP_2)
	v_cndmask_b32_e64 v0, 0, v0, s0
	v_cmp_lt_i32_e64 s0, v64, v54
	v_perm_b32 v0, v100, v0, 0x5040100
	s_delay_alu instid0(VALU_DEP_2) | instskip(SKIP_1) | instid1(VALU_DEP_1)
	v_cndmask_b32_e64 v11, 0, v11, s0
	v_cmp_lt_i32_e64 s0, v55, v38
	v_cndmask_b32_e64 v12, 0, v12, s0
	s_delay_alu instid0(VALU_DEP_1)
	v_perm_b32 v11, v11, v12, 0x5040100
.LBB342_881:                            ;   in Loop: Header=BB342_550 Depth=1
	s_or_b32 exec_lo, exec_lo, s12
	;;#ASMSTART
	v_pk_mul_f16 v12, v83, v14;

	;;#ASMEND
	;;#ASMSTART
	v_pk_mul_f16 v13, v82, v13;

	;;#ASMEND
	;; [unrolled: 4-line block ×4, first 2 shown]
	;;#ASMSTART
	v_pk_add_f16 v12, v12, v13;

	;;#ASMEND
	;;#ASMSTART
	v_pk_add_f16 v0, v12, v0;

	;;#ASMEND
	;; [unrolled: 4-line block ×3, first 2 shown]
	v_dual_mov_b32 v102, 0 :: v_dual_and_b32 v11, 0xffff, v0
	v_lshrrev_b32_e32 v0, 16, v0
	;;#ASMSTART
	v_cvt_f32_f16 v98, v11;
	;;#ASMEND
	;;#ASMSTART
	v_cvt_f32_f16 v99, v0;
	;;#ASMEND
	flat_load_b64 v[11:12], v[9:10] offset:1280
	flat_load_b32 v100, v[26:27]
	s_mov_b32 s12, exec_lo
	s_waitcnt vmcnt(1) lgkmcnt(1)
	v_dual_mov_b32 v101, 0 :: v_dual_and_b32 v0, 0xff, v11
	s_delay_alu instid0(VALU_DEP_1)
	v_cmpx_ne_u16_e32 0, v0
	s_cbranch_execz .LBB342_889
; %bb.882:                              ;   in Loop: Header=BB342_550 Depth=1
	v_bfrev_b32_e32 v101, 1
	s_mov_b32 s13, exec_lo
	v_cmpx_ne_u16_e32 0x80, v0
	s_cbranch_execz .LBB342_888
; %bb.883:                              ;   in Loop: Header=BB342_550 Depth=1
	v_and_b32_e32 v13, 0x7f, v11
	v_mov_b32_e32 v101, 0x7fc02000
	s_mov_b32 s15, exec_lo
	s_delay_alu instid0(VALU_DEP_2)
	v_cmpx_ne_u32_e32 0x7f, v13
	s_cbranch_execz .LBB342_887
; %bb.884:                              ;   in Loop: Header=BB342_550 Depth=1
	v_lshrrev_b32_e32 v0, 3, v13
	v_cmp_gt_u32_e64 s0, 8, v13
	v_dual_mov_b32 v14, v12 :: v_dual_mov_b32 v13, v11
	s_delay_alu instid0(VALU_DEP_2)
	s_and_saveexec_b32 s16, s0
; %bb.885:                              ;   in Loop: Header=BB342_550 Depth=1
	v_and_b32_e32 v0, 7, v11
	s_delay_alu instid0(VALU_DEP_1) | instskip(NEXT) | instid1(VALU_DEP_1)
	v_clz_i32_u32_e32 v0, v0
	v_min_u32_e32 v0, 32, v0
	s_delay_alu instid0(VALU_DEP_1) | instskip(SKIP_1) | instid1(VALU_DEP_2)
	v_subrev_nc_u32_e32 v13, 28, v0
	v_sub_nc_u32_e32 v0, 29, v0
	v_lshlrev_b64 v[13:14], v13, v[11:12]
; %bb.886:                              ;   in Loop: Header=BB342_550 Depth=1
	s_or_b32 exec_lo, exec_lo, s16
	v_lshlrev_b32_e32 v14, 8, v11
	s_delay_alu instid0(VALU_DEP_3) | instskip(NEXT) | instid1(VALU_DEP_3)
	v_lshl_add_u32 v0, v0, 10, 0x2000
	v_lshlrev_b32_e32 v13, 7, v13
	s_delay_alu instid0(VALU_DEP_2) | instskip(NEXT) | instid1(VALU_DEP_1)
	v_and_or_b32 v0, 0x8000, v14, v0
	v_and_or_b32 v0, 0x380, v13, v0
	s_delay_alu instid0(VALU_DEP_1)
	v_cvt_f32_f16_e32 v101, v0
.LBB342_887:                            ;   in Loop: Header=BB342_550 Depth=1
	s_or_b32 exec_lo, exec_lo, s15
.LBB342_888:                            ;   in Loop: Header=BB342_550 Depth=1
	s_delay_alu instid0(SALU_CYCLE_1)
	s_or_b32 exec_lo, exec_lo, s13
.LBB342_889:                            ;   in Loop: Header=BB342_550 Depth=1
	s_delay_alu instid0(SALU_CYCLE_1) | instskip(SKIP_2) | instid1(VALU_DEP_1)
	s_or_b32 exec_lo, exec_lo, s12
	v_lshrrev_b16 v0, 8, v11
	s_mov_b32 s12, exec_lo
	v_cmpx_ne_u16_e32 0, v0
	s_cbranch_execz .LBB342_897
; %bb.890:                              ;   in Loop: Header=BB342_550 Depth=1
	v_bfrev_b32_e32 v102, 1
	s_mov_b32 s13, exec_lo
	v_cmpx_ne_u16_e32 0x80, v0
	s_cbranch_execz .LBB342_896
; %bb.891:                              ;   in Loop: Header=BB342_550 Depth=1
	v_and_b32_e32 v13, 0xffff, v0
	v_mov_b32_e32 v102, 0x7fc02000
	s_mov_b32 s15, exec_lo
	s_delay_alu instid0(VALU_DEP_2) | instskip(NEXT) | instid1(VALU_DEP_1)
	v_and_b32_e32 v103, 0x7f, v13
	v_cmpx_ne_u32_e32 0x7f, v103
	s_cbranch_execz .LBB342_895
; %bb.892:                              ;   in Loop: Header=BB342_550 Depth=1
	v_and_b32_e32 v0, 7, v13
	v_lshrrev_b32_e32 v14, 3, v103
	s_mov_b32 s16, exec_lo
	v_cmpx_gt_u32_e32 8, v103
; %bb.893:                              ;   in Loop: Header=BB342_550 Depth=1
	s_delay_alu instid0(VALU_DEP_3) | instskip(NEXT) | instid1(VALU_DEP_1)
	v_clz_i32_u32_e32 v14, v0
	v_min_u32_e32 v14, 32, v14
	s_delay_alu instid0(VALU_DEP_1) | instskip(SKIP_1) | instid1(VALU_DEP_2)
	v_subrev_nc_u32_e32 v102, 28, v14
	v_sub_nc_u32_e32 v14, 29, v14
	v_lshlrev_b64 v[102:103], v102, v[0:1]
	s_delay_alu instid0(VALU_DEP_1)
	v_and_b32_e32 v0, 7, v102
; %bb.894:                              ;   in Loop: Header=BB342_550 Depth=1
	s_or_b32 exec_lo, exec_lo, s16
	v_lshlrev_b32_e32 v13, 8, v13
	v_lshl_add_u32 v14, v14, 10, 0x2000
	s_delay_alu instid0(VALU_DEP_1) | instskip(NEXT) | instid1(VALU_DEP_1)
	v_and_or_b32 v13, 0x8000, v13, v14
	v_lshl_or_b32 v0, v0, 7, v13
	s_delay_alu instid0(VALU_DEP_1)
	v_cvt_f32_f16_e32 v102, v0
.LBB342_895:                            ;   in Loop: Header=BB342_550 Depth=1
	s_or_b32 exec_lo, exec_lo, s15
.LBB342_896:                            ;   in Loop: Header=BB342_550 Depth=1
	s_delay_alu instid0(SALU_CYCLE_1)
	s_or_b32 exec_lo, exec_lo, s13
.LBB342_897:                            ;   in Loop: Header=BB342_550 Depth=1
	s_delay_alu instid0(SALU_CYCLE_1) | instskip(SKIP_3) | instid1(VALU_DEP_2)
	s_or_b32 exec_lo, exec_lo, s12
	v_lshrrev_b32_e32 v13, 16, v11
	v_mov_b32_e32 v112, 0
	s_mov_b32 s12, exec_lo
	v_dual_mov_b32 v103, 0 :: v_dual_and_b32 v0, 0xff, v13
	s_delay_alu instid0(VALU_DEP_1)
	v_cmpx_ne_u16_e32 0, v0
	s_cbranch_execz .LBB342_905
; %bb.898:                              ;   in Loop: Header=BB342_550 Depth=1
	v_bfrev_b32_e32 v103, 1
	s_mov_b32 s13, exec_lo
	v_cmpx_ne_u16_e32 0x80, v0
	s_cbranch_execz .LBB342_904
; %bb.899:                              ;   in Loop: Header=BB342_550 Depth=1
	v_bfe_u32 v113, v11, 16, 7
	v_mov_b32_e32 v103, 0x7fc02000
	s_mov_b32 s15, exec_lo
	s_delay_alu instid0(VALU_DEP_2)
	v_cmpx_ne_u32_e32 0x7f, v113
	s_cbranch_execz .LBB342_903
; %bb.900:                              ;   in Loop: Header=BB342_550 Depth=1
	v_and_b32_e32 v0, 7, v13
	v_lshrrev_b32_e32 v14, 3, v113
	s_mov_b32 s16, exec_lo
	v_cmpx_gt_u32_e32 8, v113
; %bb.901:                              ;   in Loop: Header=BB342_550 Depth=1
	s_delay_alu instid0(VALU_DEP_3) | instskip(NEXT) | instid1(VALU_DEP_1)
	v_clz_i32_u32_e32 v14, v0
	v_min_u32_e32 v14, 32, v14
	s_delay_alu instid0(VALU_DEP_1) | instskip(SKIP_1) | instid1(VALU_DEP_2)
	v_subrev_nc_u32_e32 v103, 28, v14
	v_sub_nc_u32_e32 v14, 29, v14
	v_lshlrev_b64 v[113:114], v103, v[0:1]
	s_delay_alu instid0(VALU_DEP_1)
	v_and_b32_e32 v0, 7, v113
; %bb.902:                              ;   in Loop: Header=BB342_550 Depth=1
	s_or_b32 exec_lo, exec_lo, s16
	v_lshlrev_b32_e32 v13, 8, v13
	v_lshl_add_u32 v14, v14, 10, 0x2000
	s_delay_alu instid0(VALU_DEP_1) | instskip(NEXT) | instid1(VALU_DEP_1)
	v_and_or_b32 v13, 0x8000, v13, v14
	v_lshl_or_b32 v0, v0, 7, v13
	s_delay_alu instid0(VALU_DEP_1)
	v_cvt_f32_f16_e32 v103, v0
.LBB342_903:                            ;   in Loop: Header=BB342_550 Depth=1
	s_or_b32 exec_lo, exec_lo, s15
.LBB342_904:                            ;   in Loop: Header=BB342_550 Depth=1
	s_delay_alu instid0(SALU_CYCLE_1)
	s_or_b32 exec_lo, exec_lo, s13
.LBB342_905:                            ;   in Loop: Header=BB342_550 Depth=1
	s_delay_alu instid0(SALU_CYCLE_1) | instskip(NEXT) | instid1(SALU_CYCLE_1)
	s_or_b32 exec_lo, exec_lo, s12
	s_mov_b32 s12, exec_lo
	v_cmpx_lt_u32_e32 0xffffff, v11
	s_cbranch_execz .LBB342_913
; %bb.906:                              ;   in Loop: Header=BB342_550 Depth=1
	v_lshrrev_b32_e32 v13, 24, v11
	v_bfrev_b32_e32 v112, 1
	s_mov_b32 s13, exec_lo
	s_delay_alu instid0(VALU_DEP_2)
	v_cmpx_ne_u32_e32 0x80, v13
	s_cbranch_execz .LBB342_912
; %bb.907:                              ;   in Loop: Header=BB342_550 Depth=1
	v_and_b32_e32 v113, 0x7f, v13
	v_mov_b32_e32 v112, 0x7fc02000
	s_mov_b32 s15, exec_lo
	s_delay_alu instid0(VALU_DEP_2)
	v_cmpx_ne_u32_e32 0x7f, v113
	s_cbranch_execz .LBB342_911
; %bb.908:                              ;   in Loop: Header=BB342_550 Depth=1
	v_and_b32_e32 v0, 7, v13
	v_lshrrev_b32_e32 v14, 3, v113
	s_mov_b32 s16, exec_lo
	v_cmpx_gt_u32_e32 8, v113
; %bb.909:                              ;   in Loop: Header=BB342_550 Depth=1
	s_delay_alu instid0(VALU_DEP_3) | instskip(NEXT) | instid1(VALU_DEP_1)
	v_clz_i32_u32_e32 v14, v0
	v_min_u32_e32 v14, 32, v14
	s_delay_alu instid0(VALU_DEP_1) | instskip(SKIP_1) | instid1(VALU_DEP_2)
	v_subrev_nc_u32_e32 v112, 28, v14
	v_sub_nc_u32_e32 v14, 29, v14
	v_lshlrev_b64 v[112:113], v112, v[0:1]
	s_delay_alu instid0(VALU_DEP_1)
	v_and_b32_e32 v0, 7, v112
; %bb.910:                              ;   in Loop: Header=BB342_550 Depth=1
	s_or_b32 exec_lo, exec_lo, s16
	v_lshlrev_b32_e32 v13, 8, v13
	v_lshl_add_u32 v14, v14, 10, 0x2000
	s_delay_alu instid0(VALU_DEP_1) | instskip(NEXT) | instid1(VALU_DEP_1)
	v_and_or_b32 v13, 0x8000, v13, v14
	v_lshl_or_b32 v0, v0, 7, v13
	s_delay_alu instid0(VALU_DEP_1)
	v_cvt_f32_f16_e32 v112, v0
.LBB342_911:                            ;   in Loop: Header=BB342_550 Depth=1
	s_or_b32 exec_lo, exec_lo, s15
.LBB342_912:                            ;   in Loop: Header=BB342_550 Depth=1
	s_delay_alu instid0(SALU_CYCLE_1)
	s_or_b32 exec_lo, exec_lo, s13
.LBB342_913:                            ;   in Loop: Header=BB342_550 Depth=1
	s_delay_alu instid0(SALU_CYCLE_1) | instskip(SKIP_3) | instid1(VALU_DEP_2)
	s_or_b32 exec_lo, exec_lo, s12
	v_dual_mov_b32 v113, 0 :: v_dual_and_b32 v14, 0xff, v12
	v_dual_mov_b32 v0, v12 :: v_dual_mov_b32 v13, 0
	s_mov_b32 s12, exec_lo
	v_cmpx_ne_u16_e32 0, v14
	s_cbranch_execz .LBB342_921
; %bb.914:                              ;   in Loop: Header=BB342_550 Depth=1
	v_bfrev_b32_e32 v13, 1
	s_mov_b32 s13, exec_lo
	v_cmpx_ne_u16_e32 0x80, v14
	s_cbranch_execz .LBB342_920
; %bb.915:                              ;   in Loop: Header=BB342_550 Depth=1
	v_and_b32_e32 v14, 0x7f, v12
	v_mov_b32_e32 v13, 0x7fc02000
	s_mov_b32 s15, exec_lo
	s_delay_alu instid0(VALU_DEP_2)
	v_cmpx_ne_u32_e32 0x7f, v14
	s_cbranch_execz .LBB342_919
; %bb.916:                              ;   in Loop: Header=BB342_550 Depth=1
	v_lshrrev_b32_e32 v114, 3, v14
	v_cmp_gt_u32_e64 s0, 8, v14
	v_dual_mov_b32 v14, v1 :: v_dual_mov_b32 v13, v0
	s_delay_alu instid0(VALU_DEP_2)
	s_and_saveexec_b32 s16, s0
; %bb.917:                              ;   in Loop: Header=BB342_550 Depth=1
	v_and_b32_e32 v13, 7, v12
	s_delay_alu instid0(VALU_DEP_1) | instskip(NEXT) | instid1(VALU_DEP_1)
	v_clz_i32_u32_e32 v13, v13
	v_min_u32_e32 v114, 32, v13
	s_delay_alu instid0(VALU_DEP_1) | instskip(SKIP_1) | instid1(VALU_DEP_2)
	v_subrev_nc_u32_e32 v13, 28, v114
	v_sub_nc_u32_e32 v114, 29, v114
	v_lshlrev_b64 v[13:14], v13, v[0:1]
; %bb.918:                              ;   in Loop: Header=BB342_550 Depth=1
	s_or_b32 exec_lo, exec_lo, s16
	v_lshlrev_b32_e32 v14, 8, v12
	s_delay_alu instid0(VALU_DEP_3) | instskip(NEXT) | instid1(VALU_DEP_3)
	v_lshl_add_u32 v114, v114, 10, 0x2000
	v_lshlrev_b32_e32 v13, 7, v13
	s_delay_alu instid0(VALU_DEP_2) | instskip(NEXT) | instid1(VALU_DEP_1)
	v_and_or_b32 v14, 0x8000, v14, v114
	v_and_or_b32 v13, 0x380, v13, v14
	s_delay_alu instid0(VALU_DEP_1)
	v_cvt_f32_f16_e32 v13, v13
.LBB342_919:                            ;   in Loop: Header=BB342_550 Depth=1
	s_or_b32 exec_lo, exec_lo, s15
.LBB342_920:                            ;   in Loop: Header=BB342_550 Depth=1
	s_delay_alu instid0(SALU_CYCLE_1)
	s_or_b32 exec_lo, exec_lo, s13
.LBB342_921:                            ;   in Loop: Header=BB342_550 Depth=1
	s_delay_alu instid0(SALU_CYCLE_1) | instskip(SKIP_2) | instid1(VALU_DEP_1)
	s_or_b32 exec_lo, exec_lo, s12
	v_lshrrev_b16 v0, 8, v0
	s_mov_b32 s12, exec_lo
	v_cmpx_ne_u16_e32 0, v0
	s_cbranch_execz .LBB342_929
; %bb.922:                              ;   in Loop: Header=BB342_550 Depth=1
	v_bfrev_b32_e32 v113, 1
	s_mov_b32 s13, exec_lo
	v_cmpx_ne_u16_e32 0x80, v0
	s_cbranch_execz .LBB342_928
; %bb.923:                              ;   in Loop: Header=BB342_550 Depth=1
	v_and_b32_e32 v14, 0xffff, v0
	v_mov_b32_e32 v113, 0x7fc02000
	s_mov_b32 s15, exec_lo
	s_delay_alu instid0(VALU_DEP_2) | instskip(NEXT) | instid1(VALU_DEP_1)
	v_and_b32_e32 v114, 0x7f, v14
	v_cmpx_ne_u32_e32 0x7f, v114
	s_cbranch_execz .LBB342_927
; %bb.924:                              ;   in Loop: Header=BB342_550 Depth=1
	v_and_b32_e32 v0, 7, v14
	v_lshrrev_b32_e32 v113, 3, v114
	s_mov_b32 s16, exec_lo
	v_cmpx_gt_u32_e32 8, v114
; %bb.925:                              ;   in Loop: Header=BB342_550 Depth=1
	s_delay_alu instid0(VALU_DEP_3) | instskip(NEXT) | instid1(VALU_DEP_1)
	v_clz_i32_u32_e32 v113, v0
	v_min_u32_e32 v113, 32, v113
	s_delay_alu instid0(VALU_DEP_1) | instskip(SKIP_1) | instid1(VALU_DEP_2)
	v_subrev_nc_u32_e32 v114, 28, v113
	v_sub_nc_u32_e32 v113, 29, v113
	v_lshlrev_b64 v[114:115], v114, v[0:1]
	s_delay_alu instid0(VALU_DEP_1)
	v_and_b32_e32 v0, 7, v114
; %bb.926:                              ;   in Loop: Header=BB342_550 Depth=1
	s_or_b32 exec_lo, exec_lo, s16
	v_lshlrev_b32_e32 v14, 8, v14
	v_lshl_add_u32 v113, v113, 10, 0x2000
	s_delay_alu instid0(VALU_DEP_1) | instskip(NEXT) | instid1(VALU_DEP_1)
	v_and_or_b32 v14, 0x8000, v14, v113
	v_lshl_or_b32 v0, v0, 7, v14
	s_delay_alu instid0(VALU_DEP_1)
	v_cvt_f32_f16_e32 v113, v0
.LBB342_927:                            ;   in Loop: Header=BB342_550 Depth=1
	s_or_b32 exec_lo, exec_lo, s15
.LBB342_928:                            ;   in Loop: Header=BB342_550 Depth=1
	s_delay_alu instid0(SALU_CYCLE_1)
	s_or_b32 exec_lo, exec_lo, s13
.LBB342_929:                            ;   in Loop: Header=BB342_550 Depth=1
	s_delay_alu instid0(SALU_CYCLE_1) | instskip(SKIP_4) | instid1(VALU_DEP_3)
	s_or_b32 exec_lo, exec_lo, s12
	v_lshrrev_b32_e32 v115, 16, v12
	v_mov_b32_e32 v114, 0
	v_mov_b32_e32 v14, 0
	s_mov_b32 s12, exec_lo
	v_and_b32_e32 v0, 0xff, v115
	s_delay_alu instid0(VALU_DEP_1)
	v_cmpx_ne_u16_e32 0, v0
	s_cbranch_execz .LBB342_937
; %bb.930:                              ;   in Loop: Header=BB342_550 Depth=1
	v_bfrev_b32_e32 v14, 1
	s_mov_b32 s13, exec_lo
	v_cmpx_ne_u16_e32 0x80, v0
	s_cbranch_execz .LBB342_936
; %bb.931:                              ;   in Loop: Header=BB342_550 Depth=1
	v_bfe_u32 v116, v12, 16, 7
	v_mov_b32_e32 v14, 0x7fc02000
	s_mov_b32 s15, exec_lo
	s_delay_alu instid0(VALU_DEP_2)
	v_cmpx_ne_u32_e32 0x7f, v116
	s_cbranch_execz .LBB342_935
; %bb.932:                              ;   in Loop: Header=BB342_550 Depth=1
	v_and_b32_e32 v0, 7, v115
	v_lshrrev_b32_e32 v14, 3, v116
	s_mov_b32 s16, exec_lo
	v_cmpx_gt_u32_e32 8, v116
; %bb.933:                              ;   in Loop: Header=BB342_550 Depth=1
	s_delay_alu instid0(VALU_DEP_3) | instskip(NEXT) | instid1(VALU_DEP_1)
	v_clz_i32_u32_e32 v14, v0
	v_min_u32_e32 v14, 32, v14
	s_delay_alu instid0(VALU_DEP_1) | instskip(SKIP_1) | instid1(VALU_DEP_2)
	v_subrev_nc_u32_e32 v116, 28, v14
	v_sub_nc_u32_e32 v14, 29, v14
	v_lshlrev_b64 v[116:117], v116, v[0:1]
	s_delay_alu instid0(VALU_DEP_1)
	v_and_b32_e32 v0, 7, v116
; %bb.934:                              ;   in Loop: Header=BB342_550 Depth=1
	s_or_b32 exec_lo, exec_lo, s16
	v_lshlrev_b32_e32 v115, 8, v115
	v_lshl_add_u32 v14, v14, 10, 0x2000
	s_delay_alu instid0(VALU_DEP_1) | instskip(NEXT) | instid1(VALU_DEP_1)
	v_and_or_b32 v14, 0x8000, v115, v14
	v_lshl_or_b32 v0, v0, 7, v14
	s_delay_alu instid0(VALU_DEP_1)
	v_cvt_f32_f16_e32 v14, v0
.LBB342_935:                            ;   in Loop: Header=BB342_550 Depth=1
	s_or_b32 exec_lo, exec_lo, s15
.LBB342_936:                            ;   in Loop: Header=BB342_550 Depth=1
	s_delay_alu instid0(SALU_CYCLE_1)
	s_or_b32 exec_lo, exec_lo, s13
.LBB342_937:                            ;   in Loop: Header=BB342_550 Depth=1
	s_delay_alu instid0(SALU_CYCLE_1) | instskip(NEXT) | instid1(SALU_CYCLE_1)
	s_or_b32 exec_lo, exec_lo, s12
	s_mov_b32 s12, exec_lo
	v_cmpx_lt_u64_e64 s[8:9], v[11:12]
	s_cbranch_execz .LBB342_945
; %bb.938:                              ;   in Loop: Header=BB342_550 Depth=1
	v_lshrrev_b32_e32 v11, 24, v12
	v_bfrev_b32_e32 v114, 1
	s_mov_b32 s13, exec_lo
	s_delay_alu instid0(VALU_DEP_2)
	v_cmpx_ne_u32_e32 0x80, v11
	s_cbranch_execz .LBB342_944
; %bb.939:                              ;   in Loop: Header=BB342_550 Depth=1
	v_and_b32_e32 v115, 0x7f, v11
	v_mov_b32_e32 v114, 0x7fc02000
	s_mov_b32 s15, exec_lo
	s_delay_alu instid0(VALU_DEP_2)
	v_cmpx_ne_u32_e32 0x7f, v115
	s_cbranch_execz .LBB342_943
; %bb.940:                              ;   in Loop: Header=BB342_550 Depth=1
	v_and_b32_e32 v0, 7, v11
	v_lshrrev_b32_e32 v12, 3, v115
	s_mov_b32 s16, exec_lo
	v_cmpx_gt_u32_e32 8, v115
; %bb.941:                              ;   in Loop: Header=BB342_550 Depth=1
	s_delay_alu instid0(VALU_DEP_3) | instskip(NEXT) | instid1(VALU_DEP_1)
	v_clz_i32_u32_e32 v12, v0
	v_min_u32_e32 v12, 32, v12
	s_delay_alu instid0(VALU_DEP_1) | instskip(SKIP_1) | instid1(VALU_DEP_2)
	v_subrev_nc_u32_e32 v114, 28, v12
	v_sub_nc_u32_e32 v12, 29, v12
	v_lshlrev_b64 v[114:115], v114, v[0:1]
	s_delay_alu instid0(VALU_DEP_1)
	v_and_b32_e32 v0, 7, v114
; %bb.942:                              ;   in Loop: Header=BB342_550 Depth=1
	s_or_b32 exec_lo, exec_lo, s16
	v_lshlrev_b32_e32 v11, 8, v11
	v_lshl_add_u32 v12, v12, 10, 0x2000
	s_delay_alu instid0(VALU_DEP_1) | instskip(NEXT) | instid1(VALU_DEP_1)
	v_and_or_b32 v11, 0x8000, v11, v12
	v_lshl_or_b32 v0, v0, 7, v11
	s_delay_alu instid0(VALU_DEP_1)
	v_cvt_f32_f16_e32 v114, v0
.LBB342_943:                            ;   in Loop: Header=BB342_550 Depth=1
	s_or_b32 exec_lo, exec_lo, s15
.LBB342_944:                            ;   in Loop: Header=BB342_550 Depth=1
	s_delay_alu instid0(SALU_CYCLE_1)
	s_or_b32 exec_lo, exec_lo, s13
.LBB342_945:                            ;   in Loop: Header=BB342_550 Depth=1
	s_delay_alu instid0(SALU_CYCLE_1)
	s_or_b32 exec_lo, exec_lo, s12
	s_waitcnt vmcnt(0) lgkmcnt(0)
	v_fma_mixlo_f16 v12, v100, v102, 0
	v_fma_mixlo_f16 v0, v100, v112, 0
	v_fma_mixlo_f16 v11, v100, v103, 0
	v_fma_mixlo_f16 v101, v100, v101, 0
	v_fma_mixlo_f16 v103, v100, v113, 0
	v_lshlrev_b32_e32 v102, 16, v12
	v_fma_mixlo_f16 v13, v100, v13, 0
	v_fma_mixlo_f16 v112, v100, v114, 0
	;; [unrolled: 1-line block ×3, first 2 shown]
	v_lshlrev_b32_e32 v0, 16, v0
	v_and_b32_e32 v11, 0xffff, v11
	v_and_b32_e32 v14, 0xffff, v101
	v_lshlrev_b32_e32 v100, 16, v103
	v_and_b32_e32 v101, 0xffff, v13
	v_lshlrev_b32_e32 v103, 16, v112
	v_and_b32_e32 v112, 0xffff, v12
	v_or_b32_e32 v13, v0, v11
	v_or_b32_e32 v14, v102, v14
	;; [unrolled: 1-line block ×3, first 2 shown]
	s_delay_alu instid0(VALU_DEP_4)
	v_or_b32_e32 v11, v103, v112
	s_and_saveexec_b32 s12, vcc_lo
	s_cbranch_execz .LBB342_947
; %bb.946:                              ;   in Loop: Header=BB342_550 Depth=1
	v_cmp_lt_i32_e64 s0, v19, v38
	v_lshrrev_b32_e32 v100, 16, v14
	v_lshrrev_b32_e32 v101, 16, v13
	v_lshrrev_b32_e32 v102, 16, v0
	v_lshrrev_b32_e32 v11, 16, v11
	v_cndmask_b32_e64 v14, 0, v14, s0
	v_cmp_lt_i32_e64 s0, v69, v54
	s_delay_alu instid0(VALU_DEP_1) | instskip(SKIP_1) | instid1(VALU_DEP_2)
	v_cndmask_b32_e64 v100, 0, v100, s0
	v_cmp_lt_i32_e64 s0, v68, v54
	v_perm_b32 v14, v100, v14, 0x5040100
	s_delay_alu instid0(VALU_DEP_2) | instskip(SKIP_1) | instid1(VALU_DEP_1)
	v_cndmask_b32_e64 v101, 0, v101, s0
	v_cmp_lt_i32_e64 s0, v67, v38
	v_cndmask_b32_e64 v13, 0, v13, s0
	v_cmp_lt_i32_e64 s0, v66, v54
	s_delay_alu instid0(VALU_DEP_2) | instskip(NEXT) | instid1(VALU_DEP_2)
	v_perm_b32 v13, v101, v13, 0x5040100
	v_cndmask_b32_e64 v102, 0, v102, s0
	v_cmp_lt_i32_e64 s0, v65, v38
	s_delay_alu instid0(VALU_DEP_1) | instskip(SKIP_1) | instid1(VALU_DEP_2)
	v_cndmask_b32_e64 v0, 0, v0, s0
	v_cmp_lt_i32_e64 s0, v64, v54
	v_perm_b32 v0, v102, v0, 0x5040100
	s_delay_alu instid0(VALU_DEP_2) | instskip(SKIP_1) | instid1(VALU_DEP_1)
	v_cndmask_b32_e64 v11, 0, v11, s0
	v_cmp_lt_i32_e64 s0, v55, v38
	v_cndmask_b32_e64 v12, 0, v12, s0
	s_delay_alu instid0(VALU_DEP_1)
	v_perm_b32 v11, v11, v12, 0x5040100
.LBB342_947:                            ;   in Loop: Header=BB342_550 Depth=1
	s_or_b32 exec_lo, exec_lo, s12
	;;#ASMSTART
	v_pk_mul_f16 v12, v83, v14;

	;;#ASMEND
	;;#ASMSTART
	v_pk_mul_f16 v13, v82, v13;

	;;#ASMEND
	;; [unrolled: 4-line block ×4, first 2 shown]
	;;#ASMSTART
	v_pk_add_f16 v12, v12, v13;

	;;#ASMEND
	;;#ASMSTART
	v_pk_add_f16 v0, v12, v0;

	;;#ASMEND
	;; [unrolled: 4-line block ×3, first 2 shown]
	v_dual_mov_b32 v112, 0 :: v_dual_and_b32 v11, 0xffff, v0
	v_lshrrev_b32_e32 v0, 16, v0
	;;#ASMSTART
	v_cvt_f32_f16 v100, v11;
	;;#ASMEND
	;;#ASMSTART
	v_cvt_f32_f16 v101, v0;
	;;#ASMEND
	flat_load_b64 v[11:12], v[9:10] offset:1536
	flat_load_b32 v102, v[26:27]
	s_mov_b32 s12, exec_lo
	s_waitcnt vmcnt(1) lgkmcnt(1)
	v_dual_mov_b32 v103, 0 :: v_dual_and_b32 v0, 0xff, v11
	s_delay_alu instid0(VALU_DEP_1)
	v_cmpx_ne_u16_e32 0, v0
	s_cbranch_execz .LBB342_955
; %bb.948:                              ;   in Loop: Header=BB342_550 Depth=1
	v_bfrev_b32_e32 v103, 1
	s_mov_b32 s13, exec_lo
	v_cmpx_ne_u16_e32 0x80, v0
	s_cbranch_execz .LBB342_954
; %bb.949:                              ;   in Loop: Header=BB342_550 Depth=1
	v_and_b32_e32 v13, 0x7f, v11
	v_mov_b32_e32 v103, 0x7fc02000
	s_mov_b32 s15, exec_lo
	s_delay_alu instid0(VALU_DEP_2)
	v_cmpx_ne_u32_e32 0x7f, v13
	s_cbranch_execz .LBB342_953
; %bb.950:                              ;   in Loop: Header=BB342_550 Depth=1
	v_lshrrev_b32_e32 v0, 3, v13
	v_cmp_gt_u32_e64 s0, 8, v13
	v_dual_mov_b32 v14, v12 :: v_dual_mov_b32 v13, v11
	s_delay_alu instid0(VALU_DEP_2)
	s_and_saveexec_b32 s16, s0
; %bb.951:                              ;   in Loop: Header=BB342_550 Depth=1
	v_and_b32_e32 v0, 7, v11
	s_delay_alu instid0(VALU_DEP_1) | instskip(NEXT) | instid1(VALU_DEP_1)
	v_clz_i32_u32_e32 v0, v0
	v_min_u32_e32 v0, 32, v0
	s_delay_alu instid0(VALU_DEP_1) | instskip(SKIP_1) | instid1(VALU_DEP_2)
	v_subrev_nc_u32_e32 v13, 28, v0
	v_sub_nc_u32_e32 v0, 29, v0
	v_lshlrev_b64 v[13:14], v13, v[11:12]
; %bb.952:                              ;   in Loop: Header=BB342_550 Depth=1
	s_or_b32 exec_lo, exec_lo, s16
	v_lshlrev_b32_e32 v14, 8, v11
	s_delay_alu instid0(VALU_DEP_3) | instskip(NEXT) | instid1(VALU_DEP_3)
	v_lshl_add_u32 v0, v0, 10, 0x2000
	v_lshlrev_b32_e32 v13, 7, v13
	s_delay_alu instid0(VALU_DEP_2) | instskip(NEXT) | instid1(VALU_DEP_1)
	v_and_or_b32 v0, 0x8000, v14, v0
	v_and_or_b32 v0, 0x380, v13, v0
	s_delay_alu instid0(VALU_DEP_1)
	v_cvt_f32_f16_e32 v103, v0
.LBB342_953:                            ;   in Loop: Header=BB342_550 Depth=1
	s_or_b32 exec_lo, exec_lo, s15
.LBB342_954:                            ;   in Loop: Header=BB342_550 Depth=1
	s_delay_alu instid0(SALU_CYCLE_1)
	s_or_b32 exec_lo, exec_lo, s13
.LBB342_955:                            ;   in Loop: Header=BB342_550 Depth=1
	s_delay_alu instid0(SALU_CYCLE_1) | instskip(SKIP_2) | instid1(VALU_DEP_1)
	s_or_b32 exec_lo, exec_lo, s12
	v_lshrrev_b16 v0, 8, v11
	s_mov_b32 s12, exec_lo
	v_cmpx_ne_u16_e32 0, v0
	s_cbranch_execz .LBB342_963
; %bb.956:                              ;   in Loop: Header=BB342_550 Depth=1
	v_bfrev_b32_e32 v112, 1
	s_mov_b32 s13, exec_lo
	v_cmpx_ne_u16_e32 0x80, v0
	s_cbranch_execz .LBB342_962
; %bb.957:                              ;   in Loop: Header=BB342_550 Depth=1
	v_and_b32_e32 v13, 0xffff, v0
	v_mov_b32_e32 v112, 0x7fc02000
	s_mov_b32 s15, exec_lo
	s_delay_alu instid0(VALU_DEP_2) | instskip(NEXT) | instid1(VALU_DEP_1)
	v_and_b32_e32 v113, 0x7f, v13
	v_cmpx_ne_u32_e32 0x7f, v113
	s_cbranch_execz .LBB342_961
; %bb.958:                              ;   in Loop: Header=BB342_550 Depth=1
	v_and_b32_e32 v0, 7, v13
	v_lshrrev_b32_e32 v14, 3, v113
	s_mov_b32 s16, exec_lo
	v_cmpx_gt_u32_e32 8, v113
; %bb.959:                              ;   in Loop: Header=BB342_550 Depth=1
	s_delay_alu instid0(VALU_DEP_3) | instskip(NEXT) | instid1(VALU_DEP_1)
	v_clz_i32_u32_e32 v14, v0
	v_min_u32_e32 v14, 32, v14
	s_delay_alu instid0(VALU_DEP_1) | instskip(SKIP_1) | instid1(VALU_DEP_2)
	v_subrev_nc_u32_e32 v112, 28, v14
	v_sub_nc_u32_e32 v14, 29, v14
	v_lshlrev_b64 v[112:113], v112, v[0:1]
	s_delay_alu instid0(VALU_DEP_1)
	v_and_b32_e32 v0, 7, v112
; %bb.960:                              ;   in Loop: Header=BB342_550 Depth=1
	s_or_b32 exec_lo, exec_lo, s16
	v_lshlrev_b32_e32 v13, 8, v13
	v_lshl_add_u32 v14, v14, 10, 0x2000
	s_delay_alu instid0(VALU_DEP_1) | instskip(NEXT) | instid1(VALU_DEP_1)
	v_and_or_b32 v13, 0x8000, v13, v14
	v_lshl_or_b32 v0, v0, 7, v13
	s_delay_alu instid0(VALU_DEP_1)
	v_cvt_f32_f16_e32 v112, v0
.LBB342_961:                            ;   in Loop: Header=BB342_550 Depth=1
	s_or_b32 exec_lo, exec_lo, s15
.LBB342_962:                            ;   in Loop: Header=BB342_550 Depth=1
	s_delay_alu instid0(SALU_CYCLE_1)
	s_or_b32 exec_lo, exec_lo, s13
.LBB342_963:                            ;   in Loop: Header=BB342_550 Depth=1
	s_delay_alu instid0(SALU_CYCLE_1) | instskip(SKIP_3) | instid1(VALU_DEP_2)
	s_or_b32 exec_lo, exec_lo, s12
	v_lshrrev_b32_e32 v13, 16, v11
	v_mov_b32_e32 v114, 0
	s_mov_b32 s12, exec_lo
	v_dual_mov_b32 v113, 0 :: v_dual_and_b32 v0, 0xff, v13
	s_delay_alu instid0(VALU_DEP_1)
	v_cmpx_ne_u16_e32 0, v0
	s_cbranch_execz .LBB342_971
; %bb.964:                              ;   in Loop: Header=BB342_550 Depth=1
	v_bfrev_b32_e32 v113, 1
	s_mov_b32 s13, exec_lo
	v_cmpx_ne_u16_e32 0x80, v0
	s_cbranch_execz .LBB342_970
; %bb.965:                              ;   in Loop: Header=BB342_550 Depth=1
	v_bfe_u32 v115, v11, 16, 7
	v_mov_b32_e32 v113, 0x7fc02000
	s_mov_b32 s15, exec_lo
	s_delay_alu instid0(VALU_DEP_2)
	v_cmpx_ne_u32_e32 0x7f, v115
	s_cbranch_execz .LBB342_969
; %bb.966:                              ;   in Loop: Header=BB342_550 Depth=1
	v_and_b32_e32 v0, 7, v13
	v_lshrrev_b32_e32 v14, 3, v115
	s_mov_b32 s16, exec_lo
	v_cmpx_gt_u32_e32 8, v115
; %bb.967:                              ;   in Loop: Header=BB342_550 Depth=1
	s_delay_alu instid0(VALU_DEP_3) | instskip(NEXT) | instid1(VALU_DEP_1)
	v_clz_i32_u32_e32 v14, v0
	v_min_u32_e32 v14, 32, v14
	s_delay_alu instid0(VALU_DEP_1) | instskip(SKIP_1) | instid1(VALU_DEP_2)
	v_subrev_nc_u32_e32 v113, 28, v14
	v_sub_nc_u32_e32 v14, 29, v14
	v_lshlrev_b64 v[115:116], v113, v[0:1]
	s_delay_alu instid0(VALU_DEP_1)
	v_and_b32_e32 v0, 7, v115
; %bb.968:                              ;   in Loop: Header=BB342_550 Depth=1
	s_or_b32 exec_lo, exec_lo, s16
	v_lshlrev_b32_e32 v13, 8, v13
	v_lshl_add_u32 v14, v14, 10, 0x2000
	s_delay_alu instid0(VALU_DEP_1) | instskip(NEXT) | instid1(VALU_DEP_1)
	v_and_or_b32 v13, 0x8000, v13, v14
	v_lshl_or_b32 v0, v0, 7, v13
	s_delay_alu instid0(VALU_DEP_1)
	v_cvt_f32_f16_e32 v113, v0
.LBB342_969:                            ;   in Loop: Header=BB342_550 Depth=1
	s_or_b32 exec_lo, exec_lo, s15
.LBB342_970:                            ;   in Loop: Header=BB342_550 Depth=1
	s_delay_alu instid0(SALU_CYCLE_1)
	s_or_b32 exec_lo, exec_lo, s13
.LBB342_971:                            ;   in Loop: Header=BB342_550 Depth=1
	s_delay_alu instid0(SALU_CYCLE_1) | instskip(NEXT) | instid1(SALU_CYCLE_1)
	s_or_b32 exec_lo, exec_lo, s12
	s_mov_b32 s12, exec_lo
	v_cmpx_lt_u32_e32 0xffffff, v11
	s_cbranch_execz .LBB342_979
; %bb.972:                              ;   in Loop: Header=BB342_550 Depth=1
	v_lshrrev_b32_e32 v13, 24, v11
	v_bfrev_b32_e32 v114, 1
	s_mov_b32 s13, exec_lo
	s_delay_alu instid0(VALU_DEP_2)
	v_cmpx_ne_u32_e32 0x80, v13
	s_cbranch_execz .LBB342_978
; %bb.973:                              ;   in Loop: Header=BB342_550 Depth=1
	v_and_b32_e32 v115, 0x7f, v13
	v_mov_b32_e32 v114, 0x7fc02000
	s_mov_b32 s15, exec_lo
	s_delay_alu instid0(VALU_DEP_2)
	v_cmpx_ne_u32_e32 0x7f, v115
	s_cbranch_execz .LBB342_977
; %bb.974:                              ;   in Loop: Header=BB342_550 Depth=1
	v_and_b32_e32 v0, 7, v13
	v_lshrrev_b32_e32 v14, 3, v115
	s_mov_b32 s16, exec_lo
	v_cmpx_gt_u32_e32 8, v115
; %bb.975:                              ;   in Loop: Header=BB342_550 Depth=1
	s_delay_alu instid0(VALU_DEP_3) | instskip(NEXT) | instid1(VALU_DEP_1)
	v_clz_i32_u32_e32 v14, v0
	v_min_u32_e32 v14, 32, v14
	s_delay_alu instid0(VALU_DEP_1) | instskip(SKIP_1) | instid1(VALU_DEP_2)
	v_subrev_nc_u32_e32 v114, 28, v14
	v_sub_nc_u32_e32 v14, 29, v14
	v_lshlrev_b64 v[114:115], v114, v[0:1]
	s_delay_alu instid0(VALU_DEP_1)
	v_and_b32_e32 v0, 7, v114
; %bb.976:                              ;   in Loop: Header=BB342_550 Depth=1
	s_or_b32 exec_lo, exec_lo, s16
	v_lshlrev_b32_e32 v13, 8, v13
	v_lshl_add_u32 v14, v14, 10, 0x2000
	s_delay_alu instid0(VALU_DEP_1) | instskip(NEXT) | instid1(VALU_DEP_1)
	v_and_or_b32 v13, 0x8000, v13, v14
	v_lshl_or_b32 v0, v0, 7, v13
	s_delay_alu instid0(VALU_DEP_1)
	v_cvt_f32_f16_e32 v114, v0
.LBB342_977:                            ;   in Loop: Header=BB342_550 Depth=1
	s_or_b32 exec_lo, exec_lo, s15
.LBB342_978:                            ;   in Loop: Header=BB342_550 Depth=1
	s_delay_alu instid0(SALU_CYCLE_1)
	s_or_b32 exec_lo, exec_lo, s13
.LBB342_979:                            ;   in Loop: Header=BB342_550 Depth=1
	s_delay_alu instid0(SALU_CYCLE_1) | instskip(SKIP_3) | instid1(VALU_DEP_2)
	s_or_b32 exec_lo, exec_lo, s12
	v_dual_mov_b32 v115, 0 :: v_dual_and_b32 v14, 0xff, v12
	v_dual_mov_b32 v0, v12 :: v_dual_mov_b32 v13, 0
	s_mov_b32 s12, exec_lo
	v_cmpx_ne_u16_e32 0, v14
	s_cbranch_execz .LBB342_987
; %bb.980:                              ;   in Loop: Header=BB342_550 Depth=1
	v_bfrev_b32_e32 v13, 1
	s_mov_b32 s13, exec_lo
	v_cmpx_ne_u16_e32 0x80, v14
	s_cbranch_execz .LBB342_986
; %bb.981:                              ;   in Loop: Header=BB342_550 Depth=1
	v_and_b32_e32 v14, 0x7f, v12
	v_mov_b32_e32 v13, 0x7fc02000
	s_mov_b32 s15, exec_lo
	s_delay_alu instid0(VALU_DEP_2)
	v_cmpx_ne_u32_e32 0x7f, v14
	s_cbranch_execz .LBB342_985
; %bb.982:                              ;   in Loop: Header=BB342_550 Depth=1
	v_lshrrev_b32_e32 v116, 3, v14
	v_cmp_gt_u32_e64 s0, 8, v14
	v_dual_mov_b32 v14, v1 :: v_dual_mov_b32 v13, v0
	s_delay_alu instid0(VALU_DEP_2)
	s_and_saveexec_b32 s16, s0
; %bb.983:                              ;   in Loop: Header=BB342_550 Depth=1
	v_and_b32_e32 v13, 7, v12
	s_delay_alu instid0(VALU_DEP_1) | instskip(NEXT) | instid1(VALU_DEP_1)
	v_clz_i32_u32_e32 v13, v13
	v_min_u32_e32 v116, 32, v13
	s_delay_alu instid0(VALU_DEP_1) | instskip(SKIP_1) | instid1(VALU_DEP_2)
	v_subrev_nc_u32_e32 v13, 28, v116
	v_sub_nc_u32_e32 v116, 29, v116
	v_lshlrev_b64 v[13:14], v13, v[0:1]
; %bb.984:                              ;   in Loop: Header=BB342_550 Depth=1
	s_or_b32 exec_lo, exec_lo, s16
	v_lshlrev_b32_e32 v14, 8, v12
	s_delay_alu instid0(VALU_DEP_3) | instskip(NEXT) | instid1(VALU_DEP_3)
	v_lshl_add_u32 v116, v116, 10, 0x2000
	v_lshlrev_b32_e32 v13, 7, v13
	s_delay_alu instid0(VALU_DEP_2) | instskip(NEXT) | instid1(VALU_DEP_1)
	v_and_or_b32 v14, 0x8000, v14, v116
	v_and_or_b32 v13, 0x380, v13, v14
	s_delay_alu instid0(VALU_DEP_1)
	v_cvt_f32_f16_e32 v13, v13
.LBB342_985:                            ;   in Loop: Header=BB342_550 Depth=1
	s_or_b32 exec_lo, exec_lo, s15
.LBB342_986:                            ;   in Loop: Header=BB342_550 Depth=1
	s_delay_alu instid0(SALU_CYCLE_1)
	s_or_b32 exec_lo, exec_lo, s13
.LBB342_987:                            ;   in Loop: Header=BB342_550 Depth=1
	s_delay_alu instid0(SALU_CYCLE_1) | instskip(SKIP_2) | instid1(VALU_DEP_1)
	s_or_b32 exec_lo, exec_lo, s12
	v_lshrrev_b16 v0, 8, v0
	s_mov_b32 s12, exec_lo
	v_cmpx_ne_u16_e32 0, v0
	s_cbranch_execz .LBB342_995
; %bb.988:                              ;   in Loop: Header=BB342_550 Depth=1
	v_bfrev_b32_e32 v115, 1
	s_mov_b32 s13, exec_lo
	v_cmpx_ne_u16_e32 0x80, v0
	s_cbranch_execz .LBB342_994
; %bb.989:                              ;   in Loop: Header=BB342_550 Depth=1
	v_and_b32_e32 v14, 0xffff, v0
	v_mov_b32_e32 v115, 0x7fc02000
	s_mov_b32 s15, exec_lo
	s_delay_alu instid0(VALU_DEP_2) | instskip(NEXT) | instid1(VALU_DEP_1)
	v_and_b32_e32 v116, 0x7f, v14
	v_cmpx_ne_u32_e32 0x7f, v116
	s_cbranch_execz .LBB342_993
; %bb.990:                              ;   in Loop: Header=BB342_550 Depth=1
	v_and_b32_e32 v0, 7, v14
	v_lshrrev_b32_e32 v115, 3, v116
	s_mov_b32 s16, exec_lo
	v_cmpx_gt_u32_e32 8, v116
; %bb.991:                              ;   in Loop: Header=BB342_550 Depth=1
	s_delay_alu instid0(VALU_DEP_3) | instskip(NEXT) | instid1(VALU_DEP_1)
	v_clz_i32_u32_e32 v115, v0
	v_min_u32_e32 v115, 32, v115
	s_delay_alu instid0(VALU_DEP_1) | instskip(SKIP_1) | instid1(VALU_DEP_2)
	v_subrev_nc_u32_e32 v116, 28, v115
	v_sub_nc_u32_e32 v115, 29, v115
	v_lshlrev_b64 v[116:117], v116, v[0:1]
	s_delay_alu instid0(VALU_DEP_1)
	v_and_b32_e32 v0, 7, v116
; %bb.992:                              ;   in Loop: Header=BB342_550 Depth=1
	s_or_b32 exec_lo, exec_lo, s16
	v_lshlrev_b32_e32 v14, 8, v14
	v_lshl_add_u32 v115, v115, 10, 0x2000
	s_delay_alu instid0(VALU_DEP_1) | instskip(NEXT) | instid1(VALU_DEP_1)
	v_and_or_b32 v14, 0x8000, v14, v115
	v_lshl_or_b32 v0, v0, 7, v14
	s_delay_alu instid0(VALU_DEP_1)
	v_cvt_f32_f16_e32 v115, v0
.LBB342_993:                            ;   in Loop: Header=BB342_550 Depth=1
	s_or_b32 exec_lo, exec_lo, s15
.LBB342_994:                            ;   in Loop: Header=BB342_550 Depth=1
	s_delay_alu instid0(SALU_CYCLE_1)
	s_or_b32 exec_lo, exec_lo, s13
.LBB342_995:                            ;   in Loop: Header=BB342_550 Depth=1
	s_delay_alu instid0(SALU_CYCLE_1) | instskip(SKIP_4) | instid1(VALU_DEP_3)
	s_or_b32 exec_lo, exec_lo, s12
	v_lshrrev_b32_e32 v117, 16, v12
	v_mov_b32_e32 v116, 0
	v_mov_b32_e32 v14, 0
	s_mov_b32 s12, exec_lo
	v_and_b32_e32 v0, 0xff, v117
	s_delay_alu instid0(VALU_DEP_1)
	v_cmpx_ne_u16_e32 0, v0
	s_cbranch_execz .LBB342_1003
; %bb.996:                              ;   in Loop: Header=BB342_550 Depth=1
	v_bfrev_b32_e32 v14, 1
	s_mov_b32 s13, exec_lo
	v_cmpx_ne_u16_e32 0x80, v0
	s_cbranch_execz .LBB342_1002
; %bb.997:                              ;   in Loop: Header=BB342_550 Depth=1
	v_bfe_u32 v118, v12, 16, 7
	v_mov_b32_e32 v14, 0x7fc02000
	s_mov_b32 s15, exec_lo
	s_delay_alu instid0(VALU_DEP_2)
	v_cmpx_ne_u32_e32 0x7f, v118
	s_cbranch_execz .LBB342_1001
; %bb.998:                              ;   in Loop: Header=BB342_550 Depth=1
	v_and_b32_e32 v0, 7, v117
	v_lshrrev_b32_e32 v14, 3, v118
	s_mov_b32 s16, exec_lo
	v_cmpx_gt_u32_e32 8, v118
; %bb.999:                              ;   in Loop: Header=BB342_550 Depth=1
	s_delay_alu instid0(VALU_DEP_3) | instskip(NEXT) | instid1(VALU_DEP_1)
	v_clz_i32_u32_e32 v14, v0
	v_min_u32_e32 v14, 32, v14
	s_delay_alu instid0(VALU_DEP_1) | instskip(SKIP_1) | instid1(VALU_DEP_2)
	v_subrev_nc_u32_e32 v118, 28, v14
	v_sub_nc_u32_e32 v14, 29, v14
	v_lshlrev_b64 v[118:119], v118, v[0:1]
	s_delay_alu instid0(VALU_DEP_1)
	v_and_b32_e32 v0, 7, v118
; %bb.1000:                             ;   in Loop: Header=BB342_550 Depth=1
	s_or_b32 exec_lo, exec_lo, s16
	v_lshlrev_b32_e32 v117, 8, v117
	v_lshl_add_u32 v14, v14, 10, 0x2000
	s_delay_alu instid0(VALU_DEP_1) | instskip(NEXT) | instid1(VALU_DEP_1)
	v_and_or_b32 v14, 0x8000, v117, v14
	v_lshl_or_b32 v0, v0, 7, v14
	s_delay_alu instid0(VALU_DEP_1)
	v_cvt_f32_f16_e32 v14, v0
.LBB342_1001:                           ;   in Loop: Header=BB342_550 Depth=1
	s_or_b32 exec_lo, exec_lo, s15
.LBB342_1002:                           ;   in Loop: Header=BB342_550 Depth=1
	s_delay_alu instid0(SALU_CYCLE_1)
	s_or_b32 exec_lo, exec_lo, s13
.LBB342_1003:                           ;   in Loop: Header=BB342_550 Depth=1
	s_delay_alu instid0(SALU_CYCLE_1) | instskip(NEXT) | instid1(SALU_CYCLE_1)
	s_or_b32 exec_lo, exec_lo, s12
	s_mov_b32 s12, exec_lo
	v_cmpx_lt_u64_e64 s[8:9], v[11:12]
	s_cbranch_execz .LBB342_1011
; %bb.1004:                             ;   in Loop: Header=BB342_550 Depth=1
	v_lshrrev_b32_e32 v11, 24, v12
	v_bfrev_b32_e32 v116, 1
	s_mov_b32 s13, exec_lo
	s_delay_alu instid0(VALU_DEP_2)
	v_cmpx_ne_u32_e32 0x80, v11
	s_cbranch_execz .LBB342_1010
; %bb.1005:                             ;   in Loop: Header=BB342_550 Depth=1
	v_and_b32_e32 v117, 0x7f, v11
	v_mov_b32_e32 v116, 0x7fc02000
	s_mov_b32 s15, exec_lo
	s_delay_alu instid0(VALU_DEP_2)
	v_cmpx_ne_u32_e32 0x7f, v117
	s_cbranch_execz .LBB342_1009
; %bb.1006:                             ;   in Loop: Header=BB342_550 Depth=1
	v_and_b32_e32 v0, 7, v11
	v_lshrrev_b32_e32 v12, 3, v117
	s_mov_b32 s16, exec_lo
	v_cmpx_gt_u32_e32 8, v117
; %bb.1007:                             ;   in Loop: Header=BB342_550 Depth=1
	s_delay_alu instid0(VALU_DEP_3) | instskip(NEXT) | instid1(VALU_DEP_1)
	v_clz_i32_u32_e32 v12, v0
	v_min_u32_e32 v12, 32, v12
	s_delay_alu instid0(VALU_DEP_1) | instskip(SKIP_1) | instid1(VALU_DEP_2)
	v_subrev_nc_u32_e32 v116, 28, v12
	v_sub_nc_u32_e32 v12, 29, v12
	v_lshlrev_b64 v[116:117], v116, v[0:1]
	s_delay_alu instid0(VALU_DEP_1)
	v_and_b32_e32 v0, 7, v116
; %bb.1008:                             ;   in Loop: Header=BB342_550 Depth=1
	s_or_b32 exec_lo, exec_lo, s16
	v_lshlrev_b32_e32 v11, 8, v11
	v_lshl_add_u32 v12, v12, 10, 0x2000
	s_delay_alu instid0(VALU_DEP_1) | instskip(NEXT) | instid1(VALU_DEP_1)
	v_and_or_b32 v11, 0x8000, v11, v12
	v_lshl_or_b32 v0, v0, 7, v11
	s_delay_alu instid0(VALU_DEP_1)
	v_cvt_f32_f16_e32 v116, v0
.LBB342_1009:                           ;   in Loop: Header=BB342_550 Depth=1
	s_or_b32 exec_lo, exec_lo, s15
.LBB342_1010:                           ;   in Loop: Header=BB342_550 Depth=1
	s_delay_alu instid0(SALU_CYCLE_1)
	s_or_b32 exec_lo, exec_lo, s13
.LBB342_1011:                           ;   in Loop: Header=BB342_550 Depth=1
	s_delay_alu instid0(SALU_CYCLE_1)
	s_or_b32 exec_lo, exec_lo, s12
	s_waitcnt vmcnt(0) lgkmcnt(0)
	v_fma_mixlo_f16 v12, v102, v112, 0
	v_fma_mixlo_f16 v0, v102, v114, 0
	;; [unrolled: 1-line block ×5, first 2 shown]
	v_lshlrev_b32_e32 v112, 16, v12
	v_fma_mixlo_f16 v13, v102, v13, 0
	v_fma_mixlo_f16 v114, v102, v116, 0
	;; [unrolled: 1-line block ×3, first 2 shown]
	v_lshlrev_b32_e32 v0, 16, v0
	v_and_b32_e32 v11, 0xffff, v11
	v_and_b32_e32 v14, 0xffff, v103
	v_lshlrev_b32_e32 v102, 16, v113
	v_and_b32_e32 v103, 0xffff, v13
	v_lshlrev_b32_e32 v113, 16, v114
	v_and_b32_e32 v114, 0xffff, v12
	v_or_b32_e32 v13, v0, v11
	v_or_b32_e32 v14, v112, v14
	;; [unrolled: 1-line block ×3, first 2 shown]
	s_delay_alu instid0(VALU_DEP_4)
	v_or_b32_e32 v11, v113, v114
	s_and_saveexec_b32 s12, vcc_lo
	s_cbranch_execz .LBB342_1013
; %bb.1012:                             ;   in Loop: Header=BB342_550 Depth=1
	v_cmp_lt_i32_e64 s0, v19, v38
	v_lshrrev_b32_e32 v102, 16, v14
	v_lshrrev_b32_e32 v103, 16, v13
	;; [unrolled: 1-line block ×4, first 2 shown]
	v_cndmask_b32_e64 v14, 0, v14, s0
	v_cmp_lt_i32_e64 s0, v69, v54
	s_delay_alu instid0(VALU_DEP_1) | instskip(SKIP_1) | instid1(VALU_DEP_2)
	v_cndmask_b32_e64 v102, 0, v102, s0
	v_cmp_lt_i32_e64 s0, v68, v54
	v_perm_b32 v14, v102, v14, 0x5040100
	s_delay_alu instid0(VALU_DEP_2) | instskip(SKIP_1) | instid1(VALU_DEP_1)
	v_cndmask_b32_e64 v103, 0, v103, s0
	v_cmp_lt_i32_e64 s0, v67, v38
	v_cndmask_b32_e64 v13, 0, v13, s0
	v_cmp_lt_i32_e64 s0, v66, v54
	s_delay_alu instid0(VALU_DEP_2) | instskip(NEXT) | instid1(VALU_DEP_2)
	v_perm_b32 v13, v103, v13, 0x5040100
	v_cndmask_b32_e64 v112, 0, v112, s0
	v_cmp_lt_i32_e64 s0, v65, v38
	s_delay_alu instid0(VALU_DEP_1) | instskip(SKIP_1) | instid1(VALU_DEP_2)
	v_cndmask_b32_e64 v0, 0, v0, s0
	v_cmp_lt_i32_e64 s0, v64, v54
	v_perm_b32 v0, v112, v0, 0x5040100
	s_delay_alu instid0(VALU_DEP_2) | instskip(SKIP_1) | instid1(VALU_DEP_1)
	v_cndmask_b32_e64 v11, 0, v11, s0
	v_cmp_lt_i32_e64 s0, v55, v38
	v_cndmask_b32_e64 v12, 0, v12, s0
	s_delay_alu instid0(VALU_DEP_1)
	v_perm_b32 v11, v11, v12, 0x5040100
.LBB342_1013:                           ;   in Loop: Header=BB342_550 Depth=1
	s_or_b32 exec_lo, exec_lo, s12
	;;#ASMSTART
	v_pk_mul_f16 v12, v83, v14;

	;;#ASMEND
	;;#ASMSTART
	v_pk_mul_f16 v13, v82, v13;

	;;#ASMEND
	;; [unrolled: 4-line block ×4, first 2 shown]
	;;#ASMSTART
	v_pk_add_f16 v12, v12, v13;

	;;#ASMEND
	;;#ASMSTART
	v_pk_add_f16 v0, v12, v0;

	;;#ASMEND
	;; [unrolled: 4-line block ×3, first 2 shown]
	v_dual_mov_b32 v112, 0 :: v_dual_and_b32 v11, 0xffff, v0
	v_lshrrev_b32_e32 v0, 16, v0
	;;#ASMSTART
	v_cvt_f32_f16 v13, v11;
	;;#ASMEND
	;;#ASMSTART
	v_cvt_f32_f16 v14, v0;
	;;#ASMEND
	flat_load_b64 v[9:10], v[9:10] offset:1792
	flat_load_b32 v102, v[26:27]
	s_mov_b32 s12, exec_lo
	s_waitcnt vmcnt(1) lgkmcnt(1)
	v_dual_mov_b32 v103, 0 :: v_dual_and_b32 v0, 0xff, v9
	s_delay_alu instid0(VALU_DEP_1)
	v_cmpx_ne_u16_e32 0, v0
	s_cbranch_execz .LBB342_1021
; %bb.1014:                             ;   in Loop: Header=BB342_550 Depth=1
	v_bfrev_b32_e32 v103, 1
	s_mov_b32 s13, exec_lo
	v_cmpx_ne_u16_e32 0x80, v0
	s_cbranch_execz .LBB342_1020
; %bb.1015:                             ;   in Loop: Header=BB342_550 Depth=1
	v_and_b32_e32 v11, 0x7f, v9
	v_mov_b32_e32 v103, 0x7fc02000
	s_mov_b32 s15, exec_lo
	s_delay_alu instid0(VALU_DEP_2)
	v_cmpx_ne_u32_e32 0x7f, v11
	s_cbranch_execz .LBB342_1019
; %bb.1016:                             ;   in Loop: Header=BB342_550 Depth=1
	v_lshrrev_b32_e32 v0, 3, v11
	v_cmp_gt_u32_e64 s0, 8, v11
	v_dual_mov_b32 v12, v10 :: v_dual_mov_b32 v11, v9
	s_delay_alu instid0(VALU_DEP_2)
	s_and_saveexec_b32 s16, s0
; %bb.1017:                             ;   in Loop: Header=BB342_550 Depth=1
	v_and_b32_e32 v0, 7, v9
	s_delay_alu instid0(VALU_DEP_1) | instskip(NEXT) | instid1(VALU_DEP_1)
	v_clz_i32_u32_e32 v0, v0
	v_min_u32_e32 v0, 32, v0
	s_delay_alu instid0(VALU_DEP_1) | instskip(SKIP_1) | instid1(VALU_DEP_2)
	v_subrev_nc_u32_e32 v11, 28, v0
	v_sub_nc_u32_e32 v0, 29, v0
	v_lshlrev_b64 v[11:12], v11, v[9:10]
; %bb.1018:                             ;   in Loop: Header=BB342_550 Depth=1
	s_or_b32 exec_lo, exec_lo, s16
	v_lshlrev_b32_e32 v12, 8, v9
	s_delay_alu instid0(VALU_DEP_3) | instskip(NEXT) | instid1(VALU_DEP_3)
	v_lshl_add_u32 v0, v0, 10, 0x2000
	v_lshlrev_b32_e32 v11, 7, v11
	s_delay_alu instid0(VALU_DEP_2) | instskip(NEXT) | instid1(VALU_DEP_1)
	v_and_or_b32 v0, 0x8000, v12, v0
	v_and_or_b32 v0, 0x380, v11, v0
	s_delay_alu instid0(VALU_DEP_1)
	v_cvt_f32_f16_e32 v103, v0
.LBB342_1019:                           ;   in Loop: Header=BB342_550 Depth=1
	s_or_b32 exec_lo, exec_lo, s15
.LBB342_1020:                           ;   in Loop: Header=BB342_550 Depth=1
	s_delay_alu instid0(SALU_CYCLE_1)
	s_or_b32 exec_lo, exec_lo, s13
.LBB342_1021:                           ;   in Loop: Header=BB342_550 Depth=1
	s_delay_alu instid0(SALU_CYCLE_1) | instskip(SKIP_2) | instid1(VALU_DEP_1)
	s_or_b32 exec_lo, exec_lo, s12
	v_lshrrev_b16 v0, 8, v9
	s_mov_b32 s12, exec_lo
	v_cmpx_ne_u16_e32 0, v0
	s_cbranch_execz .LBB342_1029
; %bb.1022:                             ;   in Loop: Header=BB342_550 Depth=1
	v_bfrev_b32_e32 v112, 1
	s_mov_b32 s13, exec_lo
	v_cmpx_ne_u16_e32 0x80, v0
	s_cbranch_execz .LBB342_1028
; %bb.1023:                             ;   in Loop: Header=BB342_550 Depth=1
	v_and_b32_e32 v11, 0xffff, v0
	v_mov_b32_e32 v112, 0x7fc02000
	s_mov_b32 s15, exec_lo
	s_delay_alu instid0(VALU_DEP_2) | instskip(NEXT) | instid1(VALU_DEP_1)
	v_and_b32_e32 v113, 0x7f, v11
	v_cmpx_ne_u32_e32 0x7f, v113
	s_cbranch_execz .LBB342_1027
; %bb.1024:                             ;   in Loop: Header=BB342_550 Depth=1
	v_and_b32_e32 v0, 7, v11
	v_lshrrev_b32_e32 v12, 3, v113
	s_mov_b32 s16, exec_lo
	v_cmpx_gt_u32_e32 8, v113
; %bb.1025:                             ;   in Loop: Header=BB342_550 Depth=1
	s_delay_alu instid0(VALU_DEP_3) | instskip(NEXT) | instid1(VALU_DEP_1)
	v_clz_i32_u32_e32 v12, v0
	v_min_u32_e32 v12, 32, v12
	s_delay_alu instid0(VALU_DEP_1) | instskip(SKIP_1) | instid1(VALU_DEP_2)
	v_subrev_nc_u32_e32 v112, 28, v12
	v_sub_nc_u32_e32 v12, 29, v12
	v_lshlrev_b64 v[112:113], v112, v[0:1]
	s_delay_alu instid0(VALU_DEP_1)
	v_and_b32_e32 v0, 7, v112
; %bb.1026:                             ;   in Loop: Header=BB342_550 Depth=1
	s_or_b32 exec_lo, exec_lo, s16
	v_lshlrev_b32_e32 v11, 8, v11
	v_lshl_add_u32 v12, v12, 10, 0x2000
	s_delay_alu instid0(VALU_DEP_1) | instskip(NEXT) | instid1(VALU_DEP_1)
	v_and_or_b32 v11, 0x8000, v11, v12
	v_lshl_or_b32 v0, v0, 7, v11
	s_delay_alu instid0(VALU_DEP_1)
	v_cvt_f32_f16_e32 v112, v0
.LBB342_1027:                           ;   in Loop: Header=BB342_550 Depth=1
	s_or_b32 exec_lo, exec_lo, s15
.LBB342_1028:                           ;   in Loop: Header=BB342_550 Depth=1
	s_delay_alu instid0(SALU_CYCLE_1)
	s_or_b32 exec_lo, exec_lo, s13
.LBB342_1029:                           ;   in Loop: Header=BB342_550 Depth=1
	s_delay_alu instid0(SALU_CYCLE_1) | instskip(SKIP_3) | instid1(VALU_DEP_2)
	s_or_b32 exec_lo, exec_lo, s12
	v_lshrrev_b32_e32 v11, 16, v9
	v_mov_b32_e32 v114, 0
	s_mov_b32 s12, exec_lo
	v_dual_mov_b32 v113, 0 :: v_dual_and_b32 v0, 0xff, v11
	s_delay_alu instid0(VALU_DEP_1)
	v_cmpx_ne_u16_e32 0, v0
	s_cbranch_execz .LBB342_1037
; %bb.1030:                             ;   in Loop: Header=BB342_550 Depth=1
	v_bfrev_b32_e32 v113, 1
	s_mov_b32 s13, exec_lo
	v_cmpx_ne_u16_e32 0x80, v0
	s_cbranch_execz .LBB342_1036
; %bb.1031:                             ;   in Loop: Header=BB342_550 Depth=1
	v_bfe_u32 v115, v9, 16, 7
	v_mov_b32_e32 v113, 0x7fc02000
	s_mov_b32 s15, exec_lo
	s_delay_alu instid0(VALU_DEP_2)
	v_cmpx_ne_u32_e32 0x7f, v115
	s_cbranch_execz .LBB342_1035
; %bb.1032:                             ;   in Loop: Header=BB342_550 Depth=1
	v_and_b32_e32 v0, 7, v11
	v_lshrrev_b32_e32 v12, 3, v115
	s_mov_b32 s16, exec_lo
	v_cmpx_gt_u32_e32 8, v115
; %bb.1033:                             ;   in Loop: Header=BB342_550 Depth=1
	s_delay_alu instid0(VALU_DEP_3) | instskip(NEXT) | instid1(VALU_DEP_1)
	v_clz_i32_u32_e32 v12, v0
	v_min_u32_e32 v12, 32, v12
	s_delay_alu instid0(VALU_DEP_1) | instskip(SKIP_1) | instid1(VALU_DEP_2)
	v_subrev_nc_u32_e32 v113, 28, v12
	v_sub_nc_u32_e32 v12, 29, v12
	v_lshlrev_b64 v[115:116], v113, v[0:1]
	s_delay_alu instid0(VALU_DEP_1)
	v_and_b32_e32 v0, 7, v115
; %bb.1034:                             ;   in Loop: Header=BB342_550 Depth=1
	s_or_b32 exec_lo, exec_lo, s16
	v_lshlrev_b32_e32 v11, 8, v11
	v_lshl_add_u32 v12, v12, 10, 0x2000
	s_delay_alu instid0(VALU_DEP_1) | instskip(NEXT) | instid1(VALU_DEP_1)
	v_and_or_b32 v11, 0x8000, v11, v12
	v_lshl_or_b32 v0, v0, 7, v11
	s_delay_alu instid0(VALU_DEP_1)
	v_cvt_f32_f16_e32 v113, v0
.LBB342_1035:                           ;   in Loop: Header=BB342_550 Depth=1
	s_or_b32 exec_lo, exec_lo, s15
.LBB342_1036:                           ;   in Loop: Header=BB342_550 Depth=1
	s_delay_alu instid0(SALU_CYCLE_1)
	s_or_b32 exec_lo, exec_lo, s13
.LBB342_1037:                           ;   in Loop: Header=BB342_550 Depth=1
	s_delay_alu instid0(SALU_CYCLE_1) | instskip(NEXT) | instid1(SALU_CYCLE_1)
	s_or_b32 exec_lo, exec_lo, s12
	s_mov_b32 s12, exec_lo
	v_cmpx_lt_u32_e32 0xffffff, v9
	s_cbranch_execz .LBB342_1045
; %bb.1038:                             ;   in Loop: Header=BB342_550 Depth=1
	v_lshrrev_b32_e32 v11, 24, v9
	v_bfrev_b32_e32 v114, 1
	s_mov_b32 s13, exec_lo
	s_delay_alu instid0(VALU_DEP_2)
	v_cmpx_ne_u32_e32 0x80, v11
	s_cbranch_execz .LBB342_1044
; %bb.1039:                             ;   in Loop: Header=BB342_550 Depth=1
	v_and_b32_e32 v115, 0x7f, v11
	v_mov_b32_e32 v114, 0x7fc02000
	s_mov_b32 s15, exec_lo
	s_delay_alu instid0(VALU_DEP_2)
	v_cmpx_ne_u32_e32 0x7f, v115
	s_cbranch_execz .LBB342_1043
; %bb.1040:                             ;   in Loop: Header=BB342_550 Depth=1
	v_and_b32_e32 v0, 7, v11
	v_lshrrev_b32_e32 v12, 3, v115
	s_mov_b32 s16, exec_lo
	v_cmpx_gt_u32_e32 8, v115
; %bb.1041:                             ;   in Loop: Header=BB342_550 Depth=1
	s_delay_alu instid0(VALU_DEP_3) | instskip(NEXT) | instid1(VALU_DEP_1)
	v_clz_i32_u32_e32 v12, v0
	v_min_u32_e32 v12, 32, v12
	s_delay_alu instid0(VALU_DEP_1) | instskip(SKIP_1) | instid1(VALU_DEP_2)
	v_subrev_nc_u32_e32 v114, 28, v12
	v_sub_nc_u32_e32 v12, 29, v12
	v_lshlrev_b64 v[114:115], v114, v[0:1]
	s_delay_alu instid0(VALU_DEP_1)
	v_and_b32_e32 v0, 7, v114
; %bb.1042:                             ;   in Loop: Header=BB342_550 Depth=1
	s_or_b32 exec_lo, exec_lo, s16
	v_lshlrev_b32_e32 v11, 8, v11
	v_lshl_add_u32 v12, v12, 10, 0x2000
	s_delay_alu instid0(VALU_DEP_1) | instskip(NEXT) | instid1(VALU_DEP_1)
	v_and_or_b32 v11, 0x8000, v11, v12
	v_lshl_or_b32 v0, v0, 7, v11
	s_delay_alu instid0(VALU_DEP_1)
	v_cvt_f32_f16_e32 v114, v0
.LBB342_1043:                           ;   in Loop: Header=BB342_550 Depth=1
	s_or_b32 exec_lo, exec_lo, s15
.LBB342_1044:                           ;   in Loop: Header=BB342_550 Depth=1
	s_delay_alu instid0(SALU_CYCLE_1)
	s_or_b32 exec_lo, exec_lo, s13
.LBB342_1045:                           ;   in Loop: Header=BB342_550 Depth=1
	s_delay_alu instid0(SALU_CYCLE_1) | instskip(SKIP_3) | instid1(VALU_DEP_2)
	s_or_b32 exec_lo, exec_lo, s12
	v_dual_mov_b32 v115, 0 :: v_dual_and_b32 v12, 0xff, v10
	v_dual_mov_b32 v0, v10 :: v_dual_mov_b32 v11, 0
	s_mov_b32 s12, exec_lo
	v_cmpx_ne_u16_e32 0, v12
	s_cbranch_execz .LBB342_1053
; %bb.1046:                             ;   in Loop: Header=BB342_550 Depth=1
	v_bfrev_b32_e32 v11, 1
	s_mov_b32 s13, exec_lo
	v_cmpx_ne_u16_e32 0x80, v12
	s_cbranch_execz .LBB342_1052
; %bb.1047:                             ;   in Loop: Header=BB342_550 Depth=1
	v_and_b32_e32 v12, 0x7f, v10
	v_mov_b32_e32 v11, 0x7fc02000
	s_mov_b32 s15, exec_lo
	s_delay_alu instid0(VALU_DEP_2)
	v_cmpx_ne_u32_e32 0x7f, v12
	s_cbranch_execz .LBB342_1051
; %bb.1048:                             ;   in Loop: Header=BB342_550 Depth=1
	v_lshrrev_b32_e32 v116, 3, v12
	v_cmp_gt_u32_e64 s0, 8, v12
	v_dual_mov_b32 v12, v1 :: v_dual_mov_b32 v11, v0
	s_delay_alu instid0(VALU_DEP_2)
	s_and_saveexec_b32 s16, s0
; %bb.1049:                             ;   in Loop: Header=BB342_550 Depth=1
	v_and_b32_e32 v11, 7, v10
	s_delay_alu instid0(VALU_DEP_1) | instskip(NEXT) | instid1(VALU_DEP_1)
	v_clz_i32_u32_e32 v11, v11
	v_min_u32_e32 v116, 32, v11
	s_delay_alu instid0(VALU_DEP_1) | instskip(SKIP_1) | instid1(VALU_DEP_2)
	v_subrev_nc_u32_e32 v11, 28, v116
	v_sub_nc_u32_e32 v116, 29, v116
	v_lshlrev_b64 v[11:12], v11, v[0:1]
; %bb.1050:                             ;   in Loop: Header=BB342_550 Depth=1
	s_or_b32 exec_lo, exec_lo, s16
	v_lshlrev_b32_e32 v12, 8, v10
	s_delay_alu instid0(VALU_DEP_3) | instskip(NEXT) | instid1(VALU_DEP_3)
	v_lshl_add_u32 v116, v116, 10, 0x2000
	v_lshlrev_b32_e32 v11, 7, v11
	s_delay_alu instid0(VALU_DEP_2) | instskip(NEXT) | instid1(VALU_DEP_1)
	v_and_or_b32 v12, 0x8000, v12, v116
	v_and_or_b32 v11, 0x380, v11, v12
	s_delay_alu instid0(VALU_DEP_1)
	v_cvt_f32_f16_e32 v11, v11
.LBB342_1051:                           ;   in Loop: Header=BB342_550 Depth=1
	s_or_b32 exec_lo, exec_lo, s15
.LBB342_1052:                           ;   in Loop: Header=BB342_550 Depth=1
	s_delay_alu instid0(SALU_CYCLE_1)
	s_or_b32 exec_lo, exec_lo, s13
.LBB342_1053:                           ;   in Loop: Header=BB342_550 Depth=1
	s_delay_alu instid0(SALU_CYCLE_1) | instskip(SKIP_2) | instid1(VALU_DEP_1)
	s_or_b32 exec_lo, exec_lo, s12
	v_lshrrev_b16 v0, 8, v0
	s_mov_b32 s12, exec_lo
	v_cmpx_ne_u16_e32 0, v0
	s_cbranch_execz .LBB342_1061
; %bb.1054:                             ;   in Loop: Header=BB342_550 Depth=1
	v_bfrev_b32_e32 v115, 1
	s_mov_b32 s13, exec_lo
	v_cmpx_ne_u16_e32 0x80, v0
	s_cbranch_execz .LBB342_1060
; %bb.1055:                             ;   in Loop: Header=BB342_550 Depth=1
	v_and_b32_e32 v12, 0xffff, v0
	v_mov_b32_e32 v115, 0x7fc02000
	s_mov_b32 s15, exec_lo
	s_delay_alu instid0(VALU_DEP_2) | instskip(NEXT) | instid1(VALU_DEP_1)
	v_and_b32_e32 v116, 0x7f, v12
	v_cmpx_ne_u32_e32 0x7f, v116
	s_cbranch_execz .LBB342_1059
; %bb.1056:                             ;   in Loop: Header=BB342_550 Depth=1
	v_and_b32_e32 v0, 7, v12
	v_lshrrev_b32_e32 v115, 3, v116
	s_mov_b32 s16, exec_lo
	v_cmpx_gt_u32_e32 8, v116
; %bb.1057:                             ;   in Loop: Header=BB342_550 Depth=1
	s_delay_alu instid0(VALU_DEP_3) | instskip(NEXT) | instid1(VALU_DEP_1)
	v_clz_i32_u32_e32 v115, v0
	v_min_u32_e32 v115, 32, v115
	s_delay_alu instid0(VALU_DEP_1) | instskip(SKIP_1) | instid1(VALU_DEP_2)
	v_subrev_nc_u32_e32 v116, 28, v115
	v_sub_nc_u32_e32 v115, 29, v115
	v_lshlrev_b64 v[116:117], v116, v[0:1]
	s_delay_alu instid0(VALU_DEP_1)
	v_and_b32_e32 v0, 7, v116
; %bb.1058:                             ;   in Loop: Header=BB342_550 Depth=1
	s_or_b32 exec_lo, exec_lo, s16
	v_lshlrev_b32_e32 v12, 8, v12
	v_lshl_add_u32 v115, v115, 10, 0x2000
	s_delay_alu instid0(VALU_DEP_1) | instskip(NEXT) | instid1(VALU_DEP_1)
	v_and_or_b32 v12, 0x8000, v12, v115
	v_lshl_or_b32 v0, v0, 7, v12
	s_delay_alu instid0(VALU_DEP_1)
	v_cvt_f32_f16_e32 v115, v0
.LBB342_1059:                           ;   in Loop: Header=BB342_550 Depth=1
	s_or_b32 exec_lo, exec_lo, s15
.LBB342_1060:                           ;   in Loop: Header=BB342_550 Depth=1
	s_delay_alu instid0(SALU_CYCLE_1)
	s_or_b32 exec_lo, exec_lo, s13
.LBB342_1061:                           ;   in Loop: Header=BB342_550 Depth=1
	s_delay_alu instid0(SALU_CYCLE_1) | instskip(SKIP_4) | instid1(VALU_DEP_3)
	s_or_b32 exec_lo, exec_lo, s12
	v_lshrrev_b32_e32 v117, 16, v10
	v_mov_b32_e32 v116, 0
	v_mov_b32_e32 v12, 0
	s_mov_b32 s12, exec_lo
	v_and_b32_e32 v0, 0xff, v117
	s_delay_alu instid0(VALU_DEP_1)
	v_cmpx_ne_u16_e32 0, v0
	s_cbranch_execz .LBB342_1069
; %bb.1062:                             ;   in Loop: Header=BB342_550 Depth=1
	v_bfrev_b32_e32 v12, 1
	s_mov_b32 s13, exec_lo
	v_cmpx_ne_u16_e32 0x80, v0
	s_cbranch_execz .LBB342_1068
; %bb.1063:                             ;   in Loop: Header=BB342_550 Depth=1
	v_bfe_u32 v118, v10, 16, 7
	v_mov_b32_e32 v12, 0x7fc02000
	s_mov_b32 s15, exec_lo
	s_delay_alu instid0(VALU_DEP_2)
	v_cmpx_ne_u32_e32 0x7f, v118
	s_cbranch_execz .LBB342_1067
; %bb.1064:                             ;   in Loop: Header=BB342_550 Depth=1
	v_and_b32_e32 v0, 7, v117
	v_lshrrev_b32_e32 v12, 3, v118
	s_mov_b32 s16, exec_lo
	v_cmpx_gt_u32_e32 8, v118
; %bb.1065:                             ;   in Loop: Header=BB342_550 Depth=1
	s_delay_alu instid0(VALU_DEP_3) | instskip(NEXT) | instid1(VALU_DEP_1)
	v_clz_i32_u32_e32 v12, v0
	v_min_u32_e32 v12, 32, v12
	s_delay_alu instid0(VALU_DEP_1) | instskip(SKIP_1) | instid1(VALU_DEP_2)
	v_subrev_nc_u32_e32 v118, 28, v12
	v_sub_nc_u32_e32 v12, 29, v12
	v_lshlrev_b64 v[118:119], v118, v[0:1]
	s_delay_alu instid0(VALU_DEP_1)
	v_and_b32_e32 v0, 7, v118
; %bb.1066:                             ;   in Loop: Header=BB342_550 Depth=1
	s_or_b32 exec_lo, exec_lo, s16
	v_lshlrev_b32_e32 v117, 8, v117
	v_lshl_add_u32 v12, v12, 10, 0x2000
	s_delay_alu instid0(VALU_DEP_1) | instskip(NEXT) | instid1(VALU_DEP_1)
	v_and_or_b32 v12, 0x8000, v117, v12
	v_lshl_or_b32 v0, v0, 7, v12
	s_delay_alu instid0(VALU_DEP_1)
	v_cvt_f32_f16_e32 v12, v0
.LBB342_1067:                           ;   in Loop: Header=BB342_550 Depth=1
	s_or_b32 exec_lo, exec_lo, s15
.LBB342_1068:                           ;   in Loop: Header=BB342_550 Depth=1
	s_delay_alu instid0(SALU_CYCLE_1)
	s_or_b32 exec_lo, exec_lo, s13
.LBB342_1069:                           ;   in Loop: Header=BB342_550 Depth=1
	s_delay_alu instid0(SALU_CYCLE_1) | instskip(NEXT) | instid1(SALU_CYCLE_1)
	s_or_b32 exec_lo, exec_lo, s12
	s_mov_b32 s12, exec_lo
	v_cmpx_lt_u64_e64 s[8:9], v[9:10]
	s_cbranch_execz .LBB342_1077
; %bb.1070:                             ;   in Loop: Header=BB342_550 Depth=1
	v_lshrrev_b32_e32 v9, 24, v10
	v_bfrev_b32_e32 v116, 1
	s_mov_b32 s13, exec_lo
	s_delay_alu instid0(VALU_DEP_2)
	v_cmpx_ne_u32_e32 0x80, v9
	s_cbranch_execz .LBB342_1076
; %bb.1071:                             ;   in Loop: Header=BB342_550 Depth=1
	v_and_b32_e32 v117, 0x7f, v9
	v_mov_b32_e32 v116, 0x7fc02000
	s_mov_b32 s15, exec_lo
	s_delay_alu instid0(VALU_DEP_2)
	v_cmpx_ne_u32_e32 0x7f, v117
	s_cbranch_execz .LBB342_1075
; %bb.1072:                             ;   in Loop: Header=BB342_550 Depth=1
	v_and_b32_e32 v0, 7, v9
	v_lshrrev_b32_e32 v10, 3, v117
	s_mov_b32 s16, exec_lo
	v_cmpx_gt_u32_e32 8, v117
; %bb.1073:                             ;   in Loop: Header=BB342_550 Depth=1
	s_delay_alu instid0(VALU_DEP_3) | instskip(NEXT) | instid1(VALU_DEP_1)
	v_clz_i32_u32_e32 v10, v0
	v_min_u32_e32 v10, 32, v10
	s_delay_alu instid0(VALU_DEP_1) | instskip(SKIP_1) | instid1(VALU_DEP_2)
	v_subrev_nc_u32_e32 v116, 28, v10
	v_sub_nc_u32_e32 v10, 29, v10
	v_lshlrev_b64 v[116:117], v116, v[0:1]
	s_delay_alu instid0(VALU_DEP_1)
	v_and_b32_e32 v0, 7, v116
; %bb.1074:                             ;   in Loop: Header=BB342_550 Depth=1
	s_or_b32 exec_lo, exec_lo, s16
	v_lshlrev_b32_e32 v9, 8, v9
	v_lshl_add_u32 v10, v10, 10, 0x2000
	s_delay_alu instid0(VALU_DEP_1) | instskip(NEXT) | instid1(VALU_DEP_1)
	v_and_or_b32 v9, 0x8000, v9, v10
	v_lshl_or_b32 v0, v0, 7, v9
	s_delay_alu instid0(VALU_DEP_1)
	v_cvt_f32_f16_e32 v116, v0
.LBB342_1075:                           ;   in Loop: Header=BB342_550 Depth=1
	s_or_b32 exec_lo, exec_lo, s15
.LBB342_1076:                           ;   in Loop: Header=BB342_550 Depth=1
	s_delay_alu instid0(SALU_CYCLE_1)
	s_or_b32 exec_lo, exec_lo, s13
.LBB342_1077:                           ;   in Loop: Header=BB342_550 Depth=1
	s_delay_alu instid0(SALU_CYCLE_1)
	s_or_b32 exec_lo, exec_lo, s12
	s_waitcnt vmcnt(0) lgkmcnt(0)
	v_fma_mixlo_f16 v10, v102, v112, 0
	v_fma_mixlo_f16 v0, v102, v114, 0
	;; [unrolled: 1-line block ×5, first 2 shown]
	v_lshlrev_b32_e32 v112, 16, v10
	v_fma_mixlo_f16 v10, v102, v103, 0
	v_fma_mixlo_f16 v103, v102, v115, 0
	;; [unrolled: 1-line block ×3, first 2 shown]
	v_lshlrev_b32_e32 v0, 16, v0
	v_and_b32_e32 v9, 0xffff, v9
	v_and_b32_e32 v12, 0xffff, v10
	v_lshlrev_b32_e32 v102, 16, v103
	v_and_b32_e32 v103, 0xffff, v113
	v_lshlrev_b32_e32 v113, 16, v114
	v_and_b32_e32 v114, 0xffff, v11
	v_or_b32_e32 v10, v0, v9
	v_or_b32_e32 v12, v112, v12
	v_or_b32_e32 v0, v102, v103
	s_delay_alu instid0(VALU_DEP_4)
	v_or_b32_e32 v9, v113, v114
	s_and_saveexec_b32 s0, vcc_lo
	s_cbranch_execz .LBB342_548
; %bb.1078:                             ;   in Loop: Header=BB342_550 Depth=1
	v_cmp_lt_i32_e32 vcc_lo, v19, v38
	v_lshrrev_b32_e32 v102, 16, v12
	v_lshrrev_b32_e32 v103, 16, v10
	;; [unrolled: 1-line block ×3, first 2 shown]
	v_cndmask_b32_e32 v12, 0, v12, vcc_lo
	v_cmp_lt_i32_e32 vcc_lo, v69, v54
	v_lshrrev_b32_e32 v69, 16, v0
	v_cndmask_b32_e32 v19, 0, v102, vcc_lo
	v_cmp_lt_i32_e32 vcc_lo, v68, v54
	s_delay_alu instid0(VALU_DEP_2)
	v_perm_b32 v12, v19, v12, 0x5040100
	v_cndmask_b32_e32 v68, 0, v103, vcc_lo
	v_cmp_lt_i32_e32 vcc_lo, v67, v38
	v_cndmask_b32_e32 v10, 0, v10, vcc_lo
	v_cmp_lt_i32_e32 vcc_lo, v66, v54
	;; [unrolled: 2-line block ×4, first 2 shown]
	s_delay_alu instid0(VALU_DEP_2) | instskip(SKIP_4) | instid1(VALU_DEP_2)
	v_perm_b32 v0, v66, v0, 0x5040100
	v_cndmask_b32_e32 v9, 0, v9, vcc_lo
	v_cmp_lt_i32_e32 vcc_lo, v55, v38
	v_cndmask_b32_e32 v11, 0, v11, vcc_lo
	v_perm_b32 v10, v68, v10, 0x5040100
	v_perm_b32 v9, v9, v11, 0x5040100
	s_branch .LBB342_548
.LBB342_1079:
	s_or_b32 exec_lo, exec_lo, s5
	s_load_b32 s0, s[6:7], 0x0
	s_waitcnt lgkmcnt(0)
	v_mov_b32_e32 v13, s0
.LBB342_1080:
	s_or_b32 exec_lo, exec_lo, s3
	ds_bpermute_b32 v0, v21, v34
	ds_bpermute_b32 v1, v21, v32
	;; [unrolled: 1-line block ×8, first 2 shown]
	v_lshrrev_b32_e32 v10, 2, v50
	v_lshl_add_u32 v11, v49, 8, v13
	s_mov_b32 s0, exec_lo
	s_waitcnt lgkmcnt(0)
	s_waitcnt_vscnt null, 0x0
	s_barrier
	buffer_gl0_inv
	v_dual_add_f32 v0, v34, v0 :: v_dual_and_b32 v23, 0x3c3, v37
	v_add_f32_e32 v1, v32, v1
	v_dual_add_f32 v3, v33, v3 :: v_dual_add_f32 v12, v31, v6
	v_add_f32_e32 v2, v29, v2
	ds_bpermute_b32 v6, v20, v0
	v_dual_add_f32 v14, v28, v7 :: v_dual_add_f32 v15, v25, v8
	v_add_f32_e32 v16, v35, v9
	ds_bpermute_b32 v7, v20, v1
	ds_bpermute_b32 v17, v20, v2
	;; [unrolled: 1-line block ×6, first 2 shown]
	s_waitcnt lgkmcnt(6)
	v_add_f32_e32 v9, v0, v6
	ds_bpermute_b32 v20, v20, v16
	s_waitcnt lgkmcnt(5)
	v_dual_add_f32 v8, v1, v7 :: v_dual_add_f32 v7, v2, v17
	s_waitcnt lgkmcnt(3)
	v_dual_add_f32 v6, v3, v18 :: v_dual_add_f32 v3, v12, v19
	;; [unrolled: 2-line block ×3, first 2 shown]
	s_waitcnt lgkmcnt(0)
	v_add_f32_e32 v0, v16, v20
	v_cmpx_eq_u32_e32 64, v23
	s_cbranch_execz .LBB342_1082
; %bb.1081:
	v_lshlrev_b32_e32 v12, 2, v10
	s_delay_alu instid0(VALU_DEP_1)
	v_add3_u32 v12, v11, v12, 0xfffffe00
	ds_store_2addr_b32 v12, v9, v8 offset1:8
	ds_store_2addr_b32 v12, v7, v6 offset0:16 offset1:24
	ds_store_2addr_b32 v12, v3, v2 offset0:32 offset1:40
	;; [unrolled: 1-line block ×3, first 2 shown]
.LBB342_1082:
	s_or_b32 exec_lo, exec_lo, s0
	v_cmp_eq_u32_e32 vcc_lo, 0, v24
	s_mov_b32 s3, exec_lo
	s_waitcnt lgkmcnt(0)
	s_barrier
	buffer_gl0_inv
	v_cmpx_gt_u32_e32 64, v37
	s_cbranch_execz .LBB342_1093
; %bb.1083:
	s_and_saveexec_b32 s0, vcc_lo
	s_cbranch_execnz .LBB342_1109
; %bb.1084:
	s_or_b32 exec_lo, exec_lo, s0
	s_and_saveexec_b32 s0, vcc_lo
	s_cbranch_execnz .LBB342_1110
.LBB342_1085:
	s_or_b32 exec_lo, exec_lo, s0
	s_and_saveexec_b32 s0, vcc_lo
	s_cbranch_execnz .LBB342_1111
.LBB342_1086:
	s_or_b32 exec_lo, exec_lo, s0
	s_and_saveexec_b32 s0, vcc_lo
	s_cbranch_execnz .LBB342_1112
.LBB342_1087:
	s_or_b32 exec_lo, exec_lo, s0
	s_and_saveexec_b32 s0, vcc_lo
	s_cbranch_execnz .LBB342_1113
.LBB342_1088:
	s_or_b32 exec_lo, exec_lo, s0
	s_and_saveexec_b32 s0, vcc_lo
	s_cbranch_execnz .LBB342_1114
.LBB342_1089:
	s_or_b32 exec_lo, exec_lo, s0
	s_and_saveexec_b32 s0, vcc_lo
	s_cbranch_execnz .LBB342_1115
.LBB342_1090:
	s_or_b32 exec_lo, exec_lo, s0
	s_and_saveexec_b32 s0, vcc_lo
	s_cbranch_execz .LBB342_1092
.LBB342_1091:
	v_lshl_add_u32 v12, v10, 2, v11
	ds_load_b32 v12, v12 offset:224
	s_waitcnt lgkmcnt(0)
	v_add_f32_e32 v0, v0, v12
.LBB342_1092:
	s_or_b32 exec_lo, exec_lo, s0
.LBB342_1093:
	s_delay_alu instid0(SALU_CYCLE_1)
	s_or_b32 exec_lo, exec_lo, s3
	v_and_b32_e32 v12, 0x3e3, v37
	s_mov_b32 s3, exec_lo
	s_barrier
	buffer_gl0_inv
	v_cmpx_eq_u32_e32 32, v12
	s_cbranch_execz .LBB342_1095
; %bb.1094:
	v_lshl_add_u32 v13, v10, 2, v13
	ds_store_2addr_b32 v13, v9, v8 offset1:8
	ds_store_2addr_b32 v13, v7, v6 offset0:16 offset1:24
	ds_store_2addr_b32 v13, v3, v2 offset0:32 offset1:40
	;; [unrolled: 1-line block ×3, first 2 shown]
.LBB342_1095:
	s_or_b32 exec_lo, exec_lo, s3
	s_delay_alu instid0(SALU_CYCLE_1)
	s_mov_b32 s3, exec_lo
	s_waitcnt lgkmcnt(0)
	s_barrier
	buffer_gl0_inv
	v_cmpx_gt_u32_e32 32, v37
	s_cbranch_execz .LBB342_1106
; %bb.1096:
	v_lshl_add_u32 v10, v10, 2, v11
	s_and_saveexec_b32 s0, vcc_lo
	s_cbranch_execnz .LBB342_1116
; %bb.1097:
	s_or_b32 exec_lo, exec_lo, s0
	s_and_saveexec_b32 s0, vcc_lo
	s_cbranch_execnz .LBB342_1117
.LBB342_1098:
	s_or_b32 exec_lo, exec_lo, s0
	s_and_saveexec_b32 s0, vcc_lo
	s_cbranch_execnz .LBB342_1118
.LBB342_1099:
	s_or_b32 exec_lo, exec_lo, s0
	s_and_saveexec_b32 s0, vcc_lo
	s_cbranch_execnz .LBB342_1119
.LBB342_1100:
	s_or_b32 exec_lo, exec_lo, s0
	s_and_saveexec_b32 s0, vcc_lo
	s_cbranch_execnz .LBB342_1120
.LBB342_1101:
	s_or_b32 exec_lo, exec_lo, s0
	s_and_saveexec_b32 s0, vcc_lo
	s_cbranch_execnz .LBB342_1121
.LBB342_1102:
	s_or_b32 exec_lo, exec_lo, s0
	s_and_saveexec_b32 s0, vcc_lo
	s_cbranch_execnz .LBB342_1122
.LBB342_1103:
	s_or_b32 exec_lo, exec_lo, s0
	s_and_saveexec_b32 s0, vcc_lo
	s_cbranch_execz .LBB342_1105
.LBB342_1104:
	ds_load_b32 v10, v10 offset:224
	s_waitcnt lgkmcnt(0)
	v_add_f32_e32 v0, v0, v10
.LBB342_1105:
	s_or_b32 exec_lo, exec_lo, s0
.LBB342_1106:
	s_delay_alu instid0(SALU_CYCLE_1)
	s_or_b32 exec_lo, exec_lo, s3
	v_cmp_eq_u32_e32 vcc_lo, 0, v12
	s_barrier
	buffer_gl0_inv
	s_and_b32 exec_lo, exec_lo, vcc_lo
	s_cbranch_execz .LBB342_1108
; %bb.1107:
	s_lshl_b32 s0, s2, 6
	s_mul_i32 s2, s4, s1
	s_lshl_b32 s4, s14, 6
	s_ashr_i32 s3, s2, 31
	s_ashr_i32 s5, s4, 31
	;; [unrolled: 1-line block ×3, first 2 shown]
	s_lshl_b64 s[2:3], s[2:3], 1
	s_lshl_b64 s[4:5], s[4:5], 1
	;; [unrolled: 1-line block ×3, first 2 shown]
	s_add_u32 s2, s4, s2
	s_addc_u32 s3, s5, s3
	s_add_u32 s0, s2, s0
	s_addc_u32 s1, s3, s1
	v_lshrrev_b32_e32 v10, 1, v37
	v_add_co_u32 v4, vcc_lo, s0, v4
	v_add_co_ci_u32_e32 v5, vcc_lo, s1, v5, vcc_lo
	;;#ASMSTART
	v_cvt_f16_f32 v9, v9;

	;;#ASMEND
	s_delay_alu instid0(VALU_DEP_2) | instskip(NEXT) | instid1(VALU_DEP_2)
	v_add_co_u32 v4, vcc_lo, v4, v10
	v_add_co_ci_u32_e32 v5, vcc_lo, 0, v5, vcc_lo
	flat_store_b16 v[4:5], v9
	;;#ASMSTART
	v_cvt_f16_f32 v8, v8;

	;;#ASMEND
	flat_store_b16 v[4:5], v8 offset:16
	;;#ASMSTART
	v_cvt_f16_f32 v7, v7;

	;;#ASMEND
	flat_store_b16 v[4:5], v7 offset:32
	;; [unrolled: 5-line block ×7, first 2 shown]
.LBB342_1108:
	s_or_b32 exec_lo, exec_lo, s11
	s_clause 0x13
	scratch_load_b32 v75, off, s32 offset:8
	scratch_load_b32 v74, off, s32 offset:12
	;; [unrolled: 1-line block ×20, first 2 shown]
	s_waitcnt vmcnt(0) lgkmcnt(0)
	s_setpc_b64 s[30:31]
.LBB342_1109:
	v_lshl_add_u32 v12, v10, 2, v11
	ds_load_b32 v12, v12
	s_waitcnt lgkmcnt(0)
	v_add_f32_e32 v9, v9, v12
	s_or_b32 exec_lo, exec_lo, s0
	s_and_saveexec_b32 s0, vcc_lo
	s_cbranch_execz .LBB342_1085
.LBB342_1110:
	v_lshl_add_u32 v12, v10, 2, v11
	ds_load_b32 v12, v12 offset:32
	s_waitcnt lgkmcnt(0)
	v_add_f32_e32 v8, v8, v12
	s_or_b32 exec_lo, exec_lo, s0
	s_and_saveexec_b32 s0, vcc_lo
	s_cbranch_execz .LBB342_1086
.LBB342_1111:
	v_lshl_add_u32 v12, v10, 2, v11
	ds_load_b32 v12, v12 offset:64
	s_waitcnt lgkmcnt(0)
	v_add_f32_e32 v7, v7, v12
	s_or_b32 exec_lo, exec_lo, s0
	s_and_saveexec_b32 s0, vcc_lo
	s_cbranch_execz .LBB342_1087
.LBB342_1112:
	v_lshl_add_u32 v12, v10, 2, v11
	ds_load_b32 v12, v12 offset:96
	s_waitcnt lgkmcnt(0)
	v_add_f32_e32 v6, v6, v12
	s_or_b32 exec_lo, exec_lo, s0
	s_and_saveexec_b32 s0, vcc_lo
	s_cbranch_execz .LBB342_1088
.LBB342_1113:
	v_lshl_add_u32 v12, v10, 2, v11
	ds_load_b32 v12, v12 offset:128
	s_waitcnt lgkmcnt(0)
	v_add_f32_e32 v3, v3, v12
	s_or_b32 exec_lo, exec_lo, s0
	s_and_saveexec_b32 s0, vcc_lo
	s_cbranch_execz .LBB342_1089
.LBB342_1114:
	v_lshl_add_u32 v12, v10, 2, v11
	ds_load_b32 v12, v12 offset:160
	s_waitcnt lgkmcnt(0)
	v_add_f32_e32 v2, v2, v12
	s_or_b32 exec_lo, exec_lo, s0
	s_and_saveexec_b32 s0, vcc_lo
	s_cbranch_execz .LBB342_1090
.LBB342_1115:
	v_lshl_add_u32 v12, v10, 2, v11
	ds_load_b32 v12, v12 offset:192
	s_waitcnt lgkmcnt(0)
	v_add_f32_e32 v1, v1, v12
	s_or_b32 exec_lo, exec_lo, s0
	s_and_saveexec_b32 s0, vcc_lo
	s_cbranch_execnz .LBB342_1091
	s_branch .LBB342_1092
.LBB342_1116:
	ds_load_b32 v11, v10
	s_waitcnt lgkmcnt(0)
	v_add_f32_e32 v9, v9, v11
	s_or_b32 exec_lo, exec_lo, s0
	s_and_saveexec_b32 s0, vcc_lo
	s_cbranch_execz .LBB342_1098
.LBB342_1117:
	ds_load_b32 v11, v10 offset:32
	s_waitcnt lgkmcnt(0)
	v_add_f32_e32 v8, v8, v11
	s_or_b32 exec_lo, exec_lo, s0
	s_and_saveexec_b32 s0, vcc_lo
	s_cbranch_execz .LBB342_1099
.LBB342_1118:
	ds_load_b32 v11, v10 offset:64
	s_waitcnt lgkmcnt(0)
	v_add_f32_e32 v7, v7, v11
	s_or_b32 exec_lo, exec_lo, s0
	s_and_saveexec_b32 s0, vcc_lo
	s_cbranch_execz .LBB342_1100
.LBB342_1119:
	ds_load_b32 v11, v10 offset:96
	s_waitcnt lgkmcnt(0)
	v_add_f32_e32 v6, v6, v11
	s_or_b32 exec_lo, exec_lo, s0
	s_and_saveexec_b32 s0, vcc_lo
	s_cbranch_execz .LBB342_1101
.LBB342_1120:
	ds_load_b32 v11, v10 offset:128
	s_waitcnt lgkmcnt(0)
	v_add_f32_e32 v3, v3, v11
	s_or_b32 exec_lo, exec_lo, s0
	s_and_saveexec_b32 s0, vcc_lo
	s_cbranch_execz .LBB342_1102
.LBB342_1121:
	ds_load_b32 v11, v10 offset:160
	s_waitcnt lgkmcnt(0)
	v_add_f32_e32 v2, v2, v11
	s_or_b32 exec_lo, exec_lo, s0
	s_and_saveexec_b32 s0, vcc_lo
	s_cbranch_execz .LBB342_1103
.LBB342_1122:
	ds_load_b32 v11, v10 offset:192
	s_waitcnt lgkmcnt(0)
	v_add_f32_e32 v1, v1, v11
	s_or_b32 exec_lo, exec_lo, s0
	s_and_saveexec_b32 s0, vcc_lo
	s_cbranch_execnz .LBB342_1104
	s_branch .LBB342_1105
.Lfunc_end342:
	.size	_ZN4vllm22paged_attention_kernelIthLi64ELi32ELi128ELNS_18Fp8KVCacheDataTypeE1ELb1ELi512EEEvPfS2_PT_PKS3_PKT0_S9_ifPKiSB_iPKfiiiSD_SD_iiiii, .Lfunc_end342-_ZN4vllm22paged_attention_kernelIthLi64ELi32ELi128ELNS_18Fp8KVCacheDataTypeE1ELb1ELi512EEEvPfS2_PT_PKS3_PKT0_S9_ifPKiSB_iPKfiiiSD_SD_iiiii
                                        ; -- End function
	.section	.AMDGPU.csdata,"",@progbits
; Function info:
; codeLenInByte = 42944
; NumSgprs: 35
; NumVgprs: 184
; ScratchSize: 92
; MemoryBound: 0
	.section	.text._ZN4vllm25paged_attention_v2_kernelIthLi64ELi32ELi128ELNS_18Fp8KVCacheDataTypeE1ELb1ELi512EEEvPfS2_PT_PKS3_PKT0_S9_ifPKiSB_iPKfiiiSD_SD_iiiii,"axG",@progbits,_ZN4vllm25paged_attention_v2_kernelIthLi64ELi32ELi128ELNS_18Fp8KVCacheDataTypeE1ELb1ELi512EEEvPfS2_PT_PKS3_PKT0_S9_ifPKiSB_iPKfiiiSD_SD_iiiii,comdat
	.protected	_ZN4vllm25paged_attention_v2_kernelIthLi64ELi32ELi128ELNS_18Fp8KVCacheDataTypeE1ELb1ELi512EEEvPfS2_PT_PKS3_PKT0_S9_ifPKiSB_iPKfiiiSD_SD_iiiii ; -- Begin function _ZN4vllm25paged_attention_v2_kernelIthLi64ELi32ELi128ELNS_18Fp8KVCacheDataTypeE1ELb1ELi512EEEvPfS2_PT_PKS3_PKT0_S9_ifPKiSB_iPKfiiiSD_SD_iiiii
	.globl	_ZN4vllm25paged_attention_v2_kernelIthLi64ELi32ELi128ELNS_18Fp8KVCacheDataTypeE1ELb1ELi512EEEvPfS2_PT_PKS3_PKT0_S9_ifPKiSB_iPKfiiiSD_SD_iiiii
	.p2align	8
	.type	_ZN4vllm25paged_attention_v2_kernelIthLi64ELi32ELi128ELNS_18Fp8KVCacheDataTypeE1ELb1ELi512EEEvPfS2_PT_PKS3_PKT0_S9_ifPKiSB_iPKfiiiSD_SD_iiiii,@function
_ZN4vllm25paged_attention_v2_kernelIthLi64ELi32ELi128ELNS_18Fp8KVCacheDataTypeE1ELb1ELi512EEEvPfS2_PT_PKS3_PKT0_S9_ifPKiSB_iPKfiiiSD_SD_iiiii: ; @_ZN4vllm25paged_attention_v2_kernelIthLi64ELi32ELi128ELNS_18Fp8KVCacheDataTypeE1ELb1ELi512EEEvPfS2_PT_PKS3_PKT0_S9_ifPKiSB_iPKfiiiSD_SD_iiiii
; %bb.0:
	s_mov_b32 s12, s13
	s_clause 0x7
	s_load_b128 s[4:7], s[0:1], 0x78
	s_load_b32 s8, s[0:1], 0x88
	s_load_b256 s[24:31], s[0:1], 0x0
	s_load_b256 s[36:43], s[0:1], 0x20
	s_load_b64 s[2:3], s[0:1], 0x40
	s_load_b64 s[10:11], s[0:1], 0x50
	s_load_b32 s13, s[0:1], 0x48
	s_load_b256 s[16:23], s[0:1], 0x58
	s_mov_b32 s32, 0
	v_mov_b32_e32 v31, v0
	s_waitcnt lgkmcnt(0)
	v_dual_mov_b32 v1, s7 :: v_dual_mov_b32 v2, s8
	v_dual_mov_b32 v0, s24 :: v_dual_mov_b32 v3, s27
	;; [unrolled: 1-line block ×3, first 2 shown]
	v_mov_b32_e32 v6, s30
	scratch_store_b64 off, v[1:2], s32
	v_dual_mov_b32 v1, s25 :: v_dual_mov_b32 v2, s26
	v_dual_mov_b32 v7, s31 :: v_dual_mov_b32 v8, s36
	v_dual_mov_b32 v9, s37 :: v_dual_mov_b32 v10, s38
	v_dual_mov_b32 v11, s39 :: v_dual_mov_b32 v12, s40
	v_dual_mov_b32 v13, s41 :: v_dual_mov_b32 v14, s42
	v_dual_mov_b32 v15, s43 :: v_dual_mov_b32 v16, s2
	v_dual_mov_b32 v17, s3 :: v_dual_mov_b32 v18, s13
	v_dual_mov_b32 v19, s10 :: v_dual_mov_b32 v20, s11
	v_dual_mov_b32 v21, s16 :: v_dual_mov_b32 v22, s17
	v_dual_mov_b32 v23, s18 :: v_dual_mov_b32 v24, s20
	v_dual_mov_b32 v25, s21 :: v_dual_mov_b32 v26, s22
	v_dual_mov_b32 v27, s23 :: v_dual_mov_b32 v28, s4
	v_dual_mov_b32 v29, s5 :: v_dual_mov_b32 v30, s6
	s_add_u32 s8, s0, 0x90
	s_addc_u32 s9, s1, 0
	s_mov_b32 s13, s14
	s_mov_b32 s14, s15
	s_movk_i32 s15, 0x6c
	s_getpc_b64 s[0:1]
	s_add_u32 s0, s0, _ZN4vllm22paged_attention_kernelIthLi64ELi32ELi128ELNS_18Fp8KVCacheDataTypeE1ELb1ELi512EEEvPfS2_PT_PKS3_PKT0_S9_ifPKiSB_iPKfiiiSD_SD_iiiii@rel32@lo+4
	s_addc_u32 s1, s1, _ZN4vllm22paged_attention_kernelIthLi64ELi32ELi128ELNS_18Fp8KVCacheDataTypeE1ELb1ELi512EEEvPfS2_PT_PKS3_PKT0_S9_ifPKiSB_iPKfiiiSD_SD_iiiii@rel32@hi+12
	s_delay_alu instid0(SALU_CYCLE_1)
	s_swappc_b64 s[30:31], s[0:1]
	s_endpgm
	.section	.rodata,"a",@progbits
	.p2align	6, 0x0
	.amdhsa_kernel _ZN4vllm25paged_attention_v2_kernelIthLi64ELi32ELi128ELNS_18Fp8KVCacheDataTypeE1ELb1ELi512EEEvPfS2_PT_PKS3_PKT0_S9_ifPKiSB_iPKfiiiSD_SD_iiiii
		.amdhsa_group_segment_fixed_size 160
		.amdhsa_private_segment_fixed_size 92
		.amdhsa_kernarg_size 400
		.amdhsa_user_sgpr_count 13
		.amdhsa_user_sgpr_dispatch_ptr 0
		.amdhsa_user_sgpr_queue_ptr 0
		.amdhsa_user_sgpr_kernarg_segment_ptr 1
		.amdhsa_user_sgpr_dispatch_id 0
		.amdhsa_user_sgpr_private_segment_size 0
		.amdhsa_wavefront_size32 1
		.amdhsa_uses_dynamic_stack 0
		.amdhsa_enable_private_segment 1
		.amdhsa_system_sgpr_workgroup_id_x 1
		.amdhsa_system_sgpr_workgroup_id_y 1
		.amdhsa_system_sgpr_workgroup_id_z 1
		.amdhsa_system_sgpr_workgroup_info 0
		.amdhsa_system_vgpr_workitem_id 0
		.amdhsa_next_free_vgpr 184
		.amdhsa_next_free_sgpr 44
		.amdhsa_reserve_vcc 1
		.amdhsa_float_round_mode_32 0
		.amdhsa_float_round_mode_16_64 0
		.amdhsa_float_denorm_mode_32 3
		.amdhsa_float_denorm_mode_16_64 3
		.amdhsa_dx10_clamp 1
		.amdhsa_ieee_mode 1
		.amdhsa_fp16_overflow 0
		.amdhsa_workgroup_processor_mode 1
		.amdhsa_memory_ordered 1
		.amdhsa_forward_progress 0
		.amdhsa_shared_vgpr_count 0
		.amdhsa_exception_fp_ieee_invalid_op 0
		.amdhsa_exception_fp_denorm_src 0
		.amdhsa_exception_fp_ieee_div_zero 0
		.amdhsa_exception_fp_ieee_overflow 0
		.amdhsa_exception_fp_ieee_underflow 0
		.amdhsa_exception_fp_ieee_inexact 0
		.amdhsa_exception_int_div_zero 0
	.end_amdhsa_kernel
	.section	.text._ZN4vllm25paged_attention_v2_kernelIthLi64ELi32ELi128ELNS_18Fp8KVCacheDataTypeE1ELb1ELi512EEEvPfS2_PT_PKS3_PKT0_S9_ifPKiSB_iPKfiiiSD_SD_iiiii,"axG",@progbits,_ZN4vllm25paged_attention_v2_kernelIthLi64ELi32ELi128ELNS_18Fp8KVCacheDataTypeE1ELb1ELi512EEEvPfS2_PT_PKS3_PKT0_S9_ifPKiSB_iPKfiiiSD_SD_iiiii,comdat
.Lfunc_end343:
	.size	_ZN4vllm25paged_attention_v2_kernelIthLi64ELi32ELi128ELNS_18Fp8KVCacheDataTypeE1ELb1ELi512EEEvPfS2_PT_PKS3_PKT0_S9_ifPKiSB_iPKfiiiSD_SD_iiiii, .Lfunc_end343-_ZN4vllm25paged_attention_v2_kernelIthLi64ELi32ELi128ELNS_18Fp8KVCacheDataTypeE1ELb1ELi512EEEvPfS2_PT_PKS3_PKT0_S9_ifPKiSB_iPKfiiiSD_SD_iiiii
                                        ; -- End function
	.section	.AMDGPU.csdata,"",@progbits
; Kernel info:
; codeLenInByte = 280
; NumSgprs: 46
; NumVgprs: 184
; ScratchSize: 92
; MemoryBound: 0
; FloatMode: 240
; IeeeMode: 1
; LDSByteSize: 160 bytes/workgroup (compile time only)
; SGPRBlocks: 5
; VGPRBlocks: 22
; NumSGPRsForWavesPerEU: 46
; NumVGPRsForWavesPerEU: 184
; Occupancy: 8
; WaveLimiterHint : 1
; COMPUTE_PGM_RSRC2:SCRATCH_EN: 1
; COMPUTE_PGM_RSRC2:USER_SGPR: 13
; COMPUTE_PGM_RSRC2:TRAP_HANDLER: 0
; COMPUTE_PGM_RSRC2:TGID_X_EN: 1
; COMPUTE_PGM_RSRC2:TGID_Y_EN: 1
; COMPUTE_PGM_RSRC2:TGID_Z_EN: 1
; COMPUTE_PGM_RSRC2:TIDIG_COMP_CNT: 0
	.text
	.p2align	2                               ; -- Begin function _ZN4vllm22paged_attention_kernelIthLi80ELi32ELi128ELNS_18Fp8KVCacheDataTypeE1ELb1ELi512EEEvPfS2_PT_PKS3_PKT0_S9_ifPKiSB_iPKfiiiSD_SD_iiiii
	.type	_ZN4vllm22paged_attention_kernelIthLi80ELi32ELi128ELNS_18Fp8KVCacheDataTypeE1ELb1ELi512EEEvPfS2_PT_PKS3_PKT0_S9_ifPKiSB_iPKfiiiSD_SD_iiiii,@function
_ZN4vllm22paged_attention_kernelIthLi80ELi32ELi128ELNS_18Fp8KVCacheDataTypeE1ELb1ELi512EEEvPfS2_PT_PKS3_PKT0_S9_ifPKiSB_iPKfiiiSD_SD_iiiii: ; @_ZN4vllm22paged_attention_kernelIthLi80ELi32ELi128ELNS_18Fp8KVCacheDataTypeE1ELb1ELi512EEEvPfS2_PT_PKS3_PKT0_S9_ifPKiSB_iPKfiiiSD_SD_iiiii
; %bb.0:
	s_waitcnt vmcnt(0) expcnt(0) lgkmcnt(0)
	s_clause 0x1f
	scratch_store_b32 off, v40, s32 offset:144
	; meta instruction
	scratch_store_b32 off, v41, s32 offset:140
	; meta instruction
	;; [unrolled: 2-line block ×31, first 2 shown]
	scratch_store_b32 off, v95, s32 offset:20
	s_clause 0x2
	scratch_store_b32 off, v104, s32 offset:16
	; meta instruction
	scratch_store_b32 off, v105, s32 offset:12
	; meta instruction
	scratch_store_b32 off, v106, s32 offset:8
	s_mov_b32 s10, s13
	s_ashr_i32 s11, s13, 31
	s_lshl_b32 s3, s14, 9
	s_lshl_b64 s[0:1], s[10:11], 2
	s_mov_b32 s11, exec_lo
	v_add_co_u32 v16, vcc_lo, v16, s0
	v_add_co_ci_u32_e32 v17, vcc_lo, s1, v17, vcc_lo
	flat_load_b32 v38, v[16:17]
	s_clause 0x1
	scratch_load_b32 v32, off, s32 offset:4
	scratch_load_b32 v33, off, s32
	s_waitcnt vmcnt(2) lgkmcnt(0)
	v_cmpx_lt_i32_e64 s3, v38
	s_cbranch_execz .LBB344_1372
; %bb.1:
	v_sub_nc_u32_e32 v16, 0, v12
	s_clause 0x1
	s_load_b32 s0, s[8:9], 0x10
	s_load_b32 s1, s[8:9], 0x0
	s_mov_b32 s6, s15
	v_mov_b32_e32 v65, 0
	v_max_i32_e32 v16, v12, v16
	s_delay_alu instid0(VALU_DEP_1) | instskip(SKIP_1) | instid1(VALU_DEP_2)
	v_cvt_f32_u32_e32 v17, v16
	v_sub_nc_u32_e32 v34, 0, v16
	v_rcp_iflag_f32_e32 v17, v17
	s_waitcnt lgkmcnt(0)
	s_lshr_b32 s0, s0, 16
	s_delay_alu instid0(SALU_CYCLE_1) | instskip(SKIP_3) | instid1(SALU_CYCLE_1)
	s_cmp_lg_u32 s0, 0
	s_waitcnt_depctr 0xfff
	v_mul_f32_e32 v17, 0x4f7ffffe, v17
	s_cselect_b32 s0, -1, 0
	s_cmp_lg_u32 s0, 0
	s_delay_alu instid0(VALU_DEP_1) | instskip(SKIP_3) | instid1(VALU_DEP_1)
	v_cvt_u32_f32_e32 v17, v17
	s_addc_u32 s15, s1, 0
	s_mov_b32 s1, exec_lo
	s_abs_i32 s0, s15
	v_mul_lo_u32 v34, v34, v17
	s_delay_alu instid0(VALU_DEP_1) | instskip(NEXT) | instid1(VALU_DEP_1)
	v_mul_hi_u32 v34, v17, v34
	v_add_nc_u32_e32 v17, v17, v34
	s_delay_alu instid0(VALU_DEP_1) | instskip(NEXT) | instid1(VALU_DEP_1)
	v_mul_hi_u32 v17, s0, v17
	v_mul_lo_u32 v34, v17, v16
	v_add_nc_u32_e32 v35, 1, v17
	s_delay_alu instid0(VALU_DEP_2) | instskip(SKIP_1) | instid1(VALU_DEP_1)
	v_sub_nc_u32_e32 v34, s0, v34
	s_abs_i32 s0, s12
	v_sub_nc_u32_e32 v36, v34, v16
	v_cmp_ge_u32_e32 vcc_lo, v34, v16
	s_delay_alu instid0(VALU_DEP_2) | instskip(SKIP_1) | instid1(VALU_DEP_2)
	v_dual_cndmask_b32 v17, v17, v35 :: v_dual_cndmask_b32 v34, v34, v36
	v_xor_b32_e32 v35, s15, v12
	v_add_nc_u32_e32 v36, 1, v17
	s_delay_alu instid0(VALU_DEP_3) | instskip(NEXT) | instid1(VALU_DEP_3)
	v_cmp_ge_u32_e32 vcc_lo, v34, v16
	v_ashrrev_i32_e32 v35, 31, v35
	s_delay_alu instid0(VALU_DEP_3) | instskip(NEXT) | instid1(VALU_DEP_1)
	v_cndmask_b32_e32 v16, v17, v36, vcc_lo
	v_xor_b32_e32 v16, v16, v35
	s_delay_alu instid0(VALU_DEP_1) | instskip(NEXT) | instid1(VALU_DEP_1)
	v_sub_nc_u32_e32 v35, v16, v35
	v_sub_nc_u32_e32 v16, 0, v35
	s_delay_alu instid0(VALU_DEP_1) | instskip(NEXT) | instid1(VALU_DEP_1)
	v_max_i32_e32 v34, v35, v16
	v_cvt_f32_u32_e32 v16, v34
	v_sub_nc_u32_e32 v17, 0, v34
	s_delay_alu instid0(VALU_DEP_2) | instskip(SKIP_2) | instid1(VALU_DEP_1)
	v_rcp_iflag_f32_e32 v16, v16
	s_waitcnt_depctr 0xfff
	v_mul_f32_e32 v16, 0x4f7ffffe, v16
	v_cvt_u32_f32_e32 v16, v16
	s_delay_alu instid0(VALU_DEP_1) | instskip(NEXT) | instid1(VALU_DEP_1)
	v_mul_lo_u32 v17, v17, v16
	v_mul_hi_u32 v17, v16, v17
	s_delay_alu instid0(VALU_DEP_1) | instskip(NEXT) | instid1(VALU_DEP_1)
	v_add_nc_u32_e32 v36, v16, v17
	v_mad_u64_u32 v[16:17], null, s0, v36, 0
	v_cmpx_ne_u64_e32 0, v[19:20]
	s_cbranch_execz .LBB344_3
; %bb.2:
	s_ashr_i32 s13, s12, 31
	s_delay_alu instid0(SALU_CYCLE_1) | instskip(NEXT) | instid1(SALU_CYCLE_1)
	s_lshl_b64 s[4:5], s[12:13], 2
	v_add_co_u32 v19, vcc_lo, v19, s4
	v_add_co_ci_u32_e32 v20, vcc_lo, s5, v20, vcc_lo
	flat_load_b32 v65, v[19:20]
.LBB344_3:
	s_or_b32 exec_lo, exec_lo, s1
	v_and_b32_e32 v37, 0x3ff, v31
	v_ashrrev_i32_e32 v16, 31, v35
	s_ashr_i32 s1, s12, 31
	s_mul_i32 s4, s12, 0x50
	s_mov_b32 s2, exec_lo
	v_cmpx_gt_u32_e32 10, v37
	s_cbranch_execz .LBB344_5
; %bb.4:
	v_mul_lo_u32 v19, s10, v21
	s_ashr_i32 s5, s4, 31
	v_lshlrev_b32_e32 v21, 4, v37
	s_lshl_b64 s[16:17], s[4:5], 1
	s_delay_alu instid0(VALU_DEP_2) | instskip(NEXT) | instid1(VALU_DEP_1)
	v_ashrrev_i32_e32 v20, 31, v19
	v_lshlrev_b64 v[19:20], 1, v[19:20]
	s_delay_alu instid0(VALU_DEP_1) | instskip(NEXT) | instid1(VALU_DEP_2)
	v_add_co_u32 v6, vcc_lo, v6, v19
	v_add_co_ci_u32_e32 v7, vcc_lo, v7, v20, vcc_lo
	s_delay_alu instid0(VALU_DEP_2) | instskip(NEXT) | instid1(VALU_DEP_2)
	v_add_co_u32 v6, vcc_lo, v6, s16
	v_add_co_ci_u32_e32 v7, vcc_lo, s17, v7, vcc_lo
	s_delay_alu instid0(VALU_DEP_2) | instskip(NEXT) | instid1(VALU_DEP_2)
	v_add_co_u32 v6, vcc_lo, v6, v21
	v_add_co_ci_u32_e32 v7, vcc_lo, 0, v7, vcc_lo
	flat_load_b128 v[48:51], v[6:7]
	s_waitcnt vmcnt(0) lgkmcnt(0)
	ds_store_b128 v21, v[48:51]
.LBB344_5:
	s_or_b32 exec_lo, exec_lo, s2
	s_waitcnt vmcnt(0)
	v_sub_nc_u32_e32 v6, 0, v33
	v_mul_lo_u32 v7, v17, v34
	v_add_nc_u32_e32 v20, 1, v17
	v_xor_b32_e32 v35, s1, v16
	s_waitcnt lgkmcnt(0)
	s_waitcnt_vscnt null, 0x0
	v_max_i32_e32 v39, v33, v6
	s_barrier
	buffer_gl0_inv
	v_sub_nc_u32_e32 v19, s0, v7
	v_cvt_f32_u32_e32 v6, v39
	v_sub_nc_u32_e32 v7, 0, v39
	s_mov_b32 s0, exec_lo
	s_delay_alu instid0(VALU_DEP_3) | instskip(NEXT) | instid1(VALU_DEP_3)
	v_cmp_ge_u32_e32 vcc_lo, v19, v34
	v_rcp_iflag_f32_e32 v6, v6
	v_sub_nc_u32_e32 v21, v19, v34
	v_cndmask_b32_e32 v17, v17, v20, vcc_lo
	s_delay_alu instid0(VALU_DEP_2) | instskip(NEXT) | instid1(VALU_DEP_2)
	v_cndmask_b32_e32 v19, v19, v21, vcc_lo
	v_add_nc_u32_e32 v20, 1, v17
	s_waitcnt_depctr 0xfff
	v_mul_f32_e32 v6, 0x4f7ffffe, v6
	v_cmp_ge_u32_e32 vcc_lo, v19, v34
	s_delay_alu instid0(VALU_DEP_2) | instskip(SKIP_1) | instid1(VALU_DEP_2)
	v_cvt_u32_f32_e32 v6, v6
	v_cndmask_b32_e32 v16, v17, v20, vcc_lo
	v_mul_lo_u32 v31, v7, v6
	v_add_nc_u32_e32 v7, -1, v38
	s_delay_alu instid0(VALU_DEP_2) | instskip(NEXT) | instid1(VALU_DEP_2)
	v_mul_hi_u32 v21, v6, v31
	v_sub_nc_u32_e32 v31, 0, v7
	s_delay_alu instid0(VALU_DEP_1) | instskip(NEXT) | instid1(VALU_DEP_3)
	v_max_i32_e32 v19, v7, v31
	v_add_nc_u32_e32 v50, v6, v21
	v_xor_b32_e32 v6, v16, v35
	s_delay_alu instid0(VALU_DEP_2) | instskip(NEXT) | instid1(VALU_DEP_2)
	v_mad_u64_u32 v[16:17], null, v19, v50, 0
	v_sub_nc_u32_e32 v16, v6, v35
                                        ; implicit-def: $vgpr6
	v_cmpx_gt_i32_e32 0, v32
	s_xor_b32 s0, exec_lo, s0
; %bb.6:
	s_delay_alu instid0(VALU_DEP_2) | instskip(NEXT) | instid1(VALU_DEP_1)
	v_mad_u64_u32 v[20:21], null, v28, v12, v[16:17]
                                        ; implicit-def: $vgpr28
	v_mul_lo_u32 v6, v20, v32
                                        ; implicit-def: $vgpr32
	s_delay_alu instid0(VALU_DEP_1)
	v_sub_nc_u32_e32 v6, 1, v6
; %bb.7:
	s_or_saveexec_b32 s0, s0
	v_ashrrev_i32_e32 v12, 31, v7
	v_ashrrev_i32_e32 v51, 31, v33
	s_xor_b32 exec_lo, exec_lo, s0
; %bb.8:
	v_mad_u64_u32 v[20:21], null, s15, v28, s[12:13]
	s_delay_alu instid0(VALU_DEP_1)
	v_mad_u64_u32 v[6:7], null, v20, v32, 1
; %bb.9:
	s_or_b32 exec_lo, exec_lo, s0
	v_mul_lo_u32 v7, v17, v39
	v_xor_b32_e32 v21, v12, v51
	v_and_b32_e32 v49, 31, v37
	s_clause 0x1
	s_load_b32 s18, s[8:9], 0x14
	s_load_b32 s5, s[8:9], 0x8
	s_lshl_b32 s13, s14, 4
	v_lshrrev_b32_e32 v48, 5, v37
	v_mul_lo_u32 v18, s10, v18
	s_add_i32 s0, s13, 16
	v_sub_nc_u32_e32 v7, v19, v7
	v_add_nc_u32_e32 v19, 1, v17
	v_sub_nc_u32_e32 v55, 0, v30
	v_lshlrev_b32_e32 v66, 2, v49
	s_delay_alu instid0(VALU_DEP_4) | instskip(SKIP_2) | instid1(VALU_DEP_1)
	v_sub_nc_u32_e32 v28, v7, v39
	v_cmp_ge_u32_e32 vcc_lo, v7, v39
	v_dual_cndmask_b32 v17, v17, v19 :: v_dual_add_nc_u32 v20, 31, v38
	v_ashrrev_i32_e32 v12, 31, v20
	s_delay_alu instid0(VALU_DEP_4) | instskip(NEXT) | instid1(VALU_DEP_3)
	v_cndmask_b32_e32 v7, v7, v28, vcc_lo
	v_add_nc_u32_e32 v19, 1, v17
	s_delay_alu instid0(VALU_DEP_3) | instskip(NEXT) | instid1(VALU_DEP_3)
	v_lshrrev_b32_e32 v12, 27, v12
	v_cmp_ge_u32_e32 vcc_lo, v7, v39
	s_delay_alu instid0(VALU_DEP_2) | instskip(NEXT) | instid1(VALU_DEP_4)
	v_dual_mov_b32 v67, 0xff7fffff :: v_dual_add_nc_u32 v20, v20, v12
	v_cndmask_b32_e32 v7, v17, v19, vcc_lo
	v_mul_lo_u32 v12, v16, v23
	v_add_nc_u32_e32 v16, s13, v48
	v_ashrrev_i32_e32 v19, 31, v18
	v_ashrrev_i32_e32 v54, 5, v20
	v_xor_b32_e32 v7, v7, v21
	v_lshl_add_u32 v23, v48, 5, s3
	v_ashrrev_i32_e32 v17, 31, v16
	v_lshlrev_b64 v[18:19], 2, v[18:19]
	v_min_i32_e32 v52, s0, v54
	v_sub_nc_u32_e32 v7, v7, v21
	v_ashrrev_i32_e32 v64, 31, v12
	s_delay_alu instid0(VALU_DEP_3) | instskip(NEXT) | instid1(VALU_DEP_3)
	v_cmp_lt_i32_e64 s0, v16, v52
	v_sub_nc_u32_e32 v53, v7, v29
	s_delay_alu instid0(VALU_DEP_2)
	s_and_saveexec_b32 s19, s0
	s_cbranch_execz .LBB344_657
; %bb.10:
	v_max_i32_e32 v68, v30, v55
	s_ashr_i32 s7, s6, 31
	s_getpc_b64 s[16:17]
	s_add_u32 s16, s16, llvm.amdgcn.dynlds.offset.table@rel32@lo+4
	s_addc_u32 s17, s17, llvm.amdgcn.dynlds.offset.table@rel32@hi+12
	s_lshl_b64 s[20:21], s[6:7], 2
	v_add_co_u32 v20, vcc_lo, v8, v12
	v_cvt_f32_u32_e32 v7, v68
	v_sub_nc_u32_e32 v33, 0, v68
	s_add_u32 s16, s20, s16
	s_addc_u32 s17, s21, s17
	v_dual_mov_b32 v8, 0 :: v_dual_lshlrev_b32 v31, 4, v49
	v_rcp_iflag_f32_e32 v7, v7
	s_load_b32 s7, s[16:17], 0x0
	v_add_co_ci_u32_e32 v21, vcc_lo, v9, v64, vcc_lo
	v_lshlrev_b64 v[28:29], 2, v[16:17]
	v_add_co_u32 v20, s1, v20, v31
	s_delay_alu instid0(VALU_DEP_1) | instskip(SKIP_4) | instid1(VALU_DEP_1)
	v_add_co_ci_u32_e64 v21, s1, 0, v21, s1
	v_sub_nc_u32_e32 v32, v49, v38
	s_waitcnt_depctr 0xfff
	v_mul_f32_e32 v7, 0x4f7ffffe, v7
	v_add_co_u32 v28, s1, v18, v28
	v_add_co_ci_u32_e64 v29, s1, v19, v29, s1
	s_delay_alu instid0(VALU_DEP_3) | instskip(NEXT) | instid1(VALU_DEP_3)
	v_cvt_u32_f32_e32 v7, v7
	v_add_co_u32 v28, s1, v14, v28
	v_cmp_neq_f32_e32 vcc_lo, 0, v65
	v_lshl_add_u32 v9, v48, 5, s3
	s_delay_alu instid0(VALU_DEP_4)
	v_mul_lo_u32 v33, v33, v7
	v_lshl_or_b32 v69, v48, 7, v66
	v_dual_mov_b32 v70, 0xff7fffff :: v_dual_mov_b32 v67, 0xff7fffff
	v_add_nc_u32_e32 v71, 1, v32
	v_add_co_ci_u32_e64 v29, s1, v15, v29, s1
	s_mov_b32 s8, -1
	v_mul_hi_u32 v31, v7, v33
	s_mov_b32 s9, 0xffffff
	s_mov_b32 s20, 0
	s_delay_alu instid0(VALU_DEP_1)
	v_dual_mov_b32 v81, v16 :: v_dual_add_nc_u32 v80, v7, v31
	s_branch .LBB344_16
.LBB344_11:                             ;   in Loop: Header=BB344_16 Depth=1
	s_or_b32 exec_lo, exec_lo, s24
	v_lshlrev_b32_e32 v7, 8, v34
	v_lshl_add_u32 v32, v43, 10, 0x2000
	s_delay_alu instid0(VALU_DEP_1) | instskip(NEXT) | instid1(VALU_DEP_1)
	v_and_or_b32 v7, 0x8000, v7, v32
	v_lshl_or_b32 v7, v31, 7, v7
	s_delay_alu instid0(VALU_DEP_1)
	v_cvt_f32_f16_e32 v92, v7
.LBB344_12:                             ;   in Loop: Header=BB344_16 Depth=1
	s_or_b32 exec_lo, exec_lo, s23
.LBB344_13:                             ;   in Loop: Header=BB344_16 Depth=1
	s_delay_alu instid0(SALU_CYCLE_1)
	s_or_b32 exec_lo, exec_lo, s22
.LBB344_14:                             ;   in Loop: Header=BB344_16 Depth=1
	s_delay_alu instid0(SALU_CYCLE_1)
	s_or_b32 exec_lo, exec_lo, s21
	v_fma_mixlo_f16 v45, v82, v40, 0
	v_fma_mixlo_f16 v46, v82, v183, 0
	v_fma_mixlo_f16 v40, v82, v35, 0
	v_fma_mixlo_f16 v183, v82, v73, 0
	v_fma_mixlo_f16 v73, v82, v58, 0
	v_fma_mixlo_f16 v58, v82, v78, 0
	v_fma_mixlo_f16 v78, v82, v179, 0
	v_fma_mixlo_f16 v179, v82, v60, 0
	v_fma_mixlo_f16 v60, v82, v164, 0
	v_fma_mixlo_f16 v164, v82, v178, 0
	v_fma_mixlo_f16 v178, v82, v147, 0
	v_fma_mixlo_f16 v147, v82, v161, 0
	v_fma_mixlo_f16 v161, v82, v132, 0
	v_fma_mixlo_f16 v132, v82, v146, 0
	v_fma_mixlo_f16 v146, v82, v115, 0
	v_fma_mixlo_f16 v115, v82, v129, 0
	v_fma_mixlo_f16 v129, v82, v100, 0
	v_fma_mixlo_f16 v100, v82, v114, 0
	v_fma_mixlo_f16 v114, v82, v84, 0
	v_fma_mixlo_f16 v93, v82, v83, 0
	v_fma_mixlo_f16 v83, v82, v89, 0
	v_fma_mixlo_f16 v84, v82, v88, 0
	v_fma_mixlo_f16 v34, v82, v91, 0
	v_fma_mixlo_f16 v35, v82, v90, 0
	ds_load_b128 v[88:91], v8
	v_fma_mixlo_f16 v74, v82, v57, 0
	v_fma_mixlo_f16 v57, v82, v77, 0
	;; [unrolled: 1-line block ×56, first 2 shown]
	s_waitcnt lgkmcnt(0)
	v_lshrrev_b32_e32 v82, 16, v88
	v_and_b32_e32 v97, 0xffff, v88
	s_load_b32 s21, s[16:17], 0x0
	;;#ASMSTART
	v_cvt_f32_f16 v97, v97;
	;;#ASMEND
	;;#ASMSTART
	v_cvt_f32_f16 v98, v82;
	;;#ASMEND
	v_and_b32_e32 v82, 0xffff, v93
	;;#ASMSTART
	v_cvt_f32_f16 v79, v82;
	;;#ASMEND
	v_and_b32_e32 v82, 0xffff, v114
	;;#ASMSTART
	v_cvt_f32_f16 v114, v82;
	;;#ASMEND
	v_lshrrev_b32_e32 v82, 16, v89
	v_and_b32_e32 v88, 0xffff, v89
	;;#ASMSTART
	v_cvt_f32_f16 v92, v88;
	;;#ASMEND
	;;#ASMSTART
	v_cvt_f32_f16 v93, v82;
	;;#ASMEND
	v_and_b32_e32 v82, 0xffff, v113
	;;#ASMSTART
	v_cvt_f32_f16 v113, v82;
	;;#ASMEND
	v_and_b32_e32 v82, 0xffff, v112
	;;#ASMSTART
	v_cvt_f32_f16 v112, v82;
	;;#ASMEND
	v_lshrrev_b32_e32 v82, 16, v90
	v_and_b32_e32 v88, 0xffff, v90
	;; [unrolled: 16-line block ×3, first 2 shown]
	;;#ASMSTART
	v_cvt_f32_f16 v91, v96;
	;;#ASMEND
	;;#ASMSTART
	v_cvt_f32_f16 v104, v82;
	;;#ASMEND
	v_and_b32_e32 v82, 0xffff, v87
	;;#ASMSTART
	v_cvt_f32_f16 v105, v82;
	;;#ASMEND
	v_and_b32_e32 v82, 0xffff, v86
	;;#ASMSTART
	v_cvt_f32_f16 v106, v82;
	;;#ASMEND
	ds_load_b128 v[86:89], v8 offset:16
	v_and_b32_e32 v129, 0xffff, v129
	v_and_b32_e32 v102, 0xffff, v102
	;; [unrolled: 1-line block ×11, first 2 shown]
	s_waitcnt lgkmcnt(0)
	v_lshrrev_b32_e32 v82, 16, v86
	v_and_b32_e32 v86, 0xffff, v86
	;;#ASMSTART
	v_cvt_f32_f16 v86, v86;
	;;#ASMEND
	;;#ASMSTART
	v_cvt_f32_f16 v96, v82;
	;;#ASMEND
	v_and_b32_e32 v82, 0xffff, v130
	;;#ASMSTART
	v_cvt_f32_f16 v82, v82;
	;;#ASMEND
	s_delay_alu instid0(VALU_DEP_1)
	v_dual_mul_f32 v82, v86, v82 :: v_dual_add_nc_u32 v31, v49, v9
	v_add_nc_u32_e32 v7, v71, v9
	;;#ASMSTART
	v_cvt_f32_f16 v129, v129;
	;;#ASMEND
	v_mul_f32_e32 v86, v96, v129
	v_lshrrev_b32_e32 v96, 16, v87
	v_fmac_f32_e32 v82, v97, v79
	v_cvt_f32_i32_e32 v7, v7
	s_delay_alu instid0(VALU_DEP_4) | instskip(SKIP_2) | instid1(VALU_DEP_2)
	v_dual_fmac_f32 v86, v98, v114 :: v_dual_and_b32 v87, 0xffff, v87
	;;#ASMSTART
	v_cvt_f32_f16 v87, v87;
	;;#ASMEND
	;;#ASMSTART
	v_cvt_f32_f16 v97, v96;
	;;#ASMEND
	v_mul_f32_e32 v7, v65, v7
	v_and_b32_e32 v98, 0xffff, v119
	v_cmp_lt_i32_e64 s1, v31, v38
	s_delay_alu instid0(VALU_DEP_3) | instskip(SKIP_2) | instid1(VALU_DEP_1)
	v_dual_cndmask_b32 v7, 0, v7 :: v_dual_and_b32 v96, 0xffff, v128
	;;#ASMSTART
	v_cvt_f32_f16 v96, v96;
	;;#ASMEND
	;;#ASMSTART
	v_cvt_f32_f16 v98, v98;
	;;#ASMEND
	v_dual_mul_f32 v96, v87, v96 :: v_dual_add_nc_u32 v31, s21, v69
	v_dual_mul_f32 v87, v97, v98 :: v_dual_and_b32 v98, 0xffff, v88
	v_lshrrev_b32_e32 v97, 16, v88
	;;#ASMSTART
	v_cvt_f32_f16 v98, v98;
	;;#ASMEND
	;;#ASMSTART
	v_cvt_f32_f16 v97, v97;
	;;#ASMEND
	;; [unrolled: 3-line block ×3, first 2 shown]
	v_dual_mul_f32 v98, v98, v102 :: v_dual_and_b32 v101, 0xffff, v101
	v_and_b32_e32 v102, 0xffff, v89
	v_dual_fmac_f32 v96, v92, v113 :: v_dual_fmac_f32 v87, v93, v112
	s_delay_alu instid0(VALU_DEP_3)
	v_fmac_f32_e32 v98, v90, v103
	;;#ASMSTART
	v_cvt_f32_f16 v101, v101;
	;;#ASMEND
	v_mul_f32_e32 v97, v97, v101
	v_lshrrev_b32_e32 v101, 16, v89
	;;#ASMSTART
	v_cvt_f32_f16 v102, v102;
	;;#ASMEND
	;;#ASMSTART
	v_cvt_f32_f16 v101, v101;
	;;#ASMEND
	;;#ASMSTART
	v_cvt_f32_f16 v100, v100;
	;;#ASMEND
	v_dual_mul_f32 v100, v102, v100 :: v_dual_and_b32 v99, 0xffff, v99
	v_dual_fmac_f32 v97, v94, v95 :: v_dual_and_b32 v112, 0xffff, v145
	s_delay_alu instid0(VALU_DEP_2) | instskip(SKIP_3) | instid1(VALU_DEP_1)
	v_fmac_f32_e32 v100, v91, v105
	;;#ASMSTART
	v_cvt_f32_f16 v99, v99;
	;;#ASMEND
	ds_load_b128 v[88:91], v8 offset:32
	v_mul_f32_e32 v99, v101, v99
	v_fmac_f32_e32 v99, v104, v106
	s_waitcnt lgkmcnt(0)
	v_lshrrev_b32_e32 v101, 16, v88
	v_and_b32_e32 v102, 0xffff, v88
	;;#ASMSTART
	v_cvt_f32_f16 v102, v102;
	;;#ASMEND
	;;#ASMSTART
	v_cvt_f32_f16 v101, v101;
	;;#ASMEND
	v_and_b32_e32 v103, 0xffff, v146
	;;#ASMSTART
	v_cvt_f32_f16 v103, v103;
	;;#ASMEND
	;;#ASMSTART
	v_cvt_f32_f16 v112, v112;
	;;#ASMEND
	v_fmac_f32_e32 v86, v101, v112
	s_delay_alu instid0(VALU_DEP_2)
	v_dual_fmac_f32 v82, v102, v103 :: v_dual_and_b32 v103, 0xffff, v144
	v_lshrrev_b32_e32 v101, 16, v89
	v_and_b32_e32 v102, 0xffff, v89
	v_and_b32_e32 v112, 0xffff, v135
	;;#ASMSTART
	v_cvt_f32_f16 v102, v102;
	;;#ASMEND
	;;#ASMSTART
	v_cvt_f32_f16 v101, v101;
	;;#ASMEND
	;; [unrolled: 3-line block ×4, first 2 shown]
	v_dual_fmac_f32 v96, v102, v103 :: v_dual_and_b32 v103, 0xffff, v118
	v_fmac_f32_e32 v87, v101, v112
	v_lshrrev_b32_e32 v101, 16, v90
	v_and_b32_e32 v102, 0xffff, v90
	v_and_b32_e32 v112, 0xffff, v117
	;;#ASMSTART
	v_cvt_f32_f16 v102, v102;
	;;#ASMEND
	;;#ASMSTART
	v_cvt_f32_f16 v101, v101;
	;;#ASMEND
	;; [unrolled: 3-line block ×4, first 2 shown]
	v_dual_fmac_f32 v98, v102, v103 :: v_dual_and_b32 v103, 0xffff, v116
	v_fmac_f32_e32 v97, v101, v112
	v_lshrrev_b32_e32 v101, 16, v91
	v_and_b32_e32 v102, 0xffff, v91
	v_and_b32_e32 v112, 0xffff, v115
	;;#ASMSTART
	v_cvt_f32_f16 v102, v102;
	;;#ASMEND
	;;#ASMSTART
	v_cvt_f32_f16 v101, v101;
	;;#ASMEND
	;; [unrolled: 3-line block ×4, first 2 shown]
	v_fmac_f32_e32 v99, v101, v112
	ds_load_b128 v[112:115], v8 offset:48
	v_dual_fmac_f32 v100, v102, v103 :: v_dual_and_b32 v103, 0xffff, v162
	s_waitcnt lgkmcnt(0)
	v_lshrrev_b32_e32 v101, 16, v112
	v_and_b32_e32 v102, 0xffff, v112
	v_and_b32_e32 v112, 0xffff, v161
	;;#ASMSTART
	v_cvt_f32_f16 v102, v102;
	;;#ASMEND
	;;#ASMSTART
	v_cvt_f32_f16 v101, v101;
	;;#ASMEND
	;; [unrolled: 3-line block ×4, first 2 shown]
	v_dual_fmac_f32 v82, v102, v103 :: v_dual_and_b32 v103, 0xffff, v160
	v_fmac_f32_e32 v86, v101, v112
	v_lshrrev_b32_e32 v101, 16, v113
	v_and_b32_e32 v102, 0xffff, v113
	v_and_b32_e32 v112, 0xffff, v151
	;;#ASMSTART
	v_cvt_f32_f16 v102, v102;
	;;#ASMEND
	;;#ASMSTART
	v_cvt_f32_f16 v101, v101;
	;;#ASMEND
	;; [unrolled: 3-line block ×4, first 2 shown]
	v_dual_fmac_f32 v96, v102, v103 :: v_dual_fmac_f32 v87, v101, v112
	v_lshrrev_b32_e32 v101, 16, v114
	v_and_b32_e32 v102, 0xffff, v114
	v_and_b32_e32 v103, 0xffff, v134
	;; [unrolled: 1-line block ×3, first 2 shown]
	;;#ASMSTART
	v_cvt_f32_f16 v102, v102;
	;;#ASMEND
	;;#ASMSTART
	v_cvt_f32_f16 v101, v101;
	;;#ASMEND
	;; [unrolled: 3-line block ×4, first 2 shown]
	v_dual_fmac_f32 v98, v102, v103 :: v_dual_fmac_f32 v97, v101, v112
	v_lshrrev_b32_e32 v101, 16, v115
	v_and_b32_e32 v102, 0xffff, v115
	v_and_b32_e32 v103, 0xffff, v132
	v_and_b32_e32 v112, 0xffff, v131
	;;#ASMSTART
	v_cvt_f32_f16 v102, v102;
	;;#ASMEND
	;;#ASMSTART
	v_cvt_f32_f16 v101, v101;
	;;#ASMEND
	;; [unrolled: 3-line block ×4, first 2 shown]
	v_fmac_f32_e32 v99, v101, v112
	ds_load_b128 v[112:115], v8 offset:64
	v_dual_fmac_f32 v100, v102, v103 :: v_dual_and_b32 v103, 0xffff, v178
	s_waitcnt lgkmcnt(0)
	v_lshrrev_b32_e32 v101, 16, v112
	v_and_b32_e32 v102, 0xffff, v112
	v_and_b32_e32 v112, 0xffff, v177
	;;#ASMSTART
	v_cvt_f32_f16 v102, v102;
	;;#ASMEND
	;;#ASMSTART
	v_cvt_f32_f16 v101, v101;
	;;#ASMEND
	;;#ASMSTART
	v_cvt_f32_f16 v103, v103;
	;;#ASMEND
	;;#ASMSTART
	v_cvt_f32_f16 v112, v112;
	;;#ASMEND
	v_fmac_f32_e32 v82, v102, v103
	v_fmac_f32_e32 v86, v101, v112
	v_lshrrev_b32_e32 v101, 16, v113
	v_and_b32_e32 v102, 0xffff, v113
	v_and_b32_e32 v103, 0xffff, v176
	;; [unrolled: 1-line block ×3, first 2 shown]
	;;#ASMSTART
	v_cvt_f32_f16 v102, v102;
	;;#ASMEND
	;;#ASMSTART
	v_cvt_f32_f16 v101, v101;
	;;#ASMEND
	;; [unrolled: 3-line block ×4, first 2 shown]
	v_dual_fmac_f32 v96, v102, v103 :: v_dual_fmac_f32 v87, v101, v112
	v_lshrrev_b32_e32 v101, 16, v114
	v_and_b32_e32 v102, 0xffff, v114
	v_and_b32_e32 v103, 0xffff, v150
	;; [unrolled: 1-line block ×3, first 2 shown]
	;;#ASMSTART
	v_cvt_f32_f16 v102, v102;
	;;#ASMEND
	;;#ASMSTART
	v_cvt_f32_f16 v101, v101;
	;;#ASMEND
	;; [unrolled: 3-line block ×4, first 2 shown]
	v_dual_fmac_f32 v98, v102, v103 :: v_dual_fmac_f32 v97, v101, v112
	v_lshrrev_b32_e32 v101, 16, v115
	v_and_b32_e32 v102, 0xffff, v115
	v_and_b32_e32 v103, 0xffff, v148
	;; [unrolled: 1-line block ×3, first 2 shown]
	;;#ASMSTART
	v_cvt_f32_f16 v102, v102;
	;;#ASMEND
	;;#ASMSTART
	v_cvt_f32_f16 v101, v101;
	;;#ASMEND
	;; [unrolled: 3-line block ×4, first 2 shown]
	v_fmac_f32_e32 v99, v101, v112
	ds_load_b128 v[112:115], v8 offset:80
	v_dual_fmac_f32 v100, v102, v103 :: v_dual_and_b32 v103, 0xffff, v61
	s_waitcnt lgkmcnt(0)
	v_lshrrev_b32_e32 v101, 16, v112
	v_and_b32_e32 v102, 0xffff, v112
	v_and_b32_e32 v112, 0xffff, v60
	;;#ASMSTART
	v_cvt_f32_f16 v102, v102;
	;;#ASMEND
	;;#ASMSTART
	v_cvt_f32_f16 v101, v101;
	;;#ASMEND
	;; [unrolled: 3-line block ×4, first 2 shown]
	v_fmac_f32_e32 v82, v102, v103
	v_fmac_f32_e32 v86, v101, v112
	v_lshrrev_b32_e32 v101, 16, v113
	v_and_b32_e32 v102, 0xffff, v113
	v_and_b32_e32 v103, 0xffff, v56
	;; [unrolled: 1-line block ×3, first 2 shown]
	;;#ASMSTART
	v_cvt_f32_f16 v102, v102;
	;;#ASMEND
	;;#ASMSTART
	v_cvt_f32_f16 v101, v101;
	;;#ASMEND
	;; [unrolled: 3-line block ×4, first 2 shown]
	v_dual_fmac_f32 v96, v102, v103 :: v_dual_fmac_f32 v87, v101, v112
	v_lshrrev_b32_e32 v101, 16, v114
	v_and_b32_e32 v102, 0xffff, v114
	v_and_b32_e32 v103, 0xffff, v166
	;; [unrolled: 1-line block ×3, first 2 shown]
	;;#ASMSTART
	v_cvt_f32_f16 v102, v102;
	;;#ASMEND
	;;#ASMSTART
	v_cvt_f32_f16 v101, v101;
	;;#ASMEND
	;; [unrolled: 3-line block ×4, first 2 shown]
	v_dual_fmac_f32 v98, v102, v103 :: v_dual_fmac_f32 v97, v101, v112
	v_lshrrev_b32_e32 v101, 16, v115
	v_and_b32_e32 v102, 0xffff, v115
	v_and_b32_e32 v103, 0xffff, v164
	;; [unrolled: 1-line block ×3, first 2 shown]
	;;#ASMSTART
	v_cvt_f32_f16 v102, v102;
	;;#ASMEND
	;;#ASMSTART
	v_cvt_f32_f16 v101, v101;
	;;#ASMEND
	;;#ASMSTART
	v_cvt_f32_f16 v103, v103;
	;;#ASMEND
	;;#ASMSTART
	v_cvt_f32_f16 v112, v112;
	;;#ASMEND
	v_fmac_f32_e32 v99, v101, v112
	ds_load_b128 v[112:115], v8 offset:96
	v_dual_fmac_f32 v100, v102, v103 :: v_dual_and_b32 v103, 0xffff, v78
	s_waitcnt lgkmcnt(0)
	v_lshrrev_b32_e32 v101, 16, v112
	v_and_b32_e32 v102, 0xffff, v112
	v_and_b32_e32 v112, 0xffff, v77
	;;#ASMSTART
	v_cvt_f32_f16 v102, v102;
	;;#ASMEND
	;;#ASMSTART
	v_cvt_f32_f16 v101, v101;
	;;#ASMEND
	;;#ASMSTART
	v_cvt_f32_f16 v103, v103;
	;;#ASMEND
	;;#ASMSTART
	v_cvt_f32_f16 v112, v112;
	;;#ASMEND
	v_fmac_f32_e32 v82, v102, v103
	v_fmac_f32_e32 v86, v101, v112
	v_lshrrev_b32_e32 v101, 16, v113
	v_and_b32_e32 v102, 0xffff, v113
	v_and_b32_e32 v103, 0xffff, v76
	;; [unrolled: 1-line block ×3, first 2 shown]
	;;#ASMSTART
	v_cvt_f32_f16 v102, v102;
	;;#ASMEND
	;;#ASMSTART
	v_cvt_f32_f16 v101, v101;
	;;#ASMEND
	;; [unrolled: 3-line block ×4, first 2 shown]
	v_dual_fmac_f32 v96, v102, v103 :: v_dual_fmac_f32 v87, v101, v112
	v_lshrrev_b32_e32 v101, 16, v114
	v_and_b32_e32 v102, 0xffff, v114
	v_and_b32_e32 v103, 0xffff, v182
	;; [unrolled: 1-line block ×3, first 2 shown]
	;;#ASMSTART
	v_cvt_f32_f16 v102, v102;
	;;#ASMEND
	;;#ASMSTART
	v_cvt_f32_f16 v101, v101;
	;;#ASMEND
	;; [unrolled: 3-line block ×4, first 2 shown]
	v_dual_fmac_f32 v98, v102, v103 :: v_dual_fmac_f32 v97, v101, v112
	v_lshrrev_b32_e32 v101, 16, v115
	v_and_b32_e32 v102, 0xffff, v115
	v_and_b32_e32 v103, 0xffff, v180
	;; [unrolled: 1-line block ×3, first 2 shown]
	;;#ASMSTART
	v_cvt_f32_f16 v102, v102;
	;;#ASMEND
	;;#ASMSTART
	v_cvt_f32_f16 v101, v101;
	;;#ASMEND
	;; [unrolled: 3-line block ×4, first 2 shown]
	v_fmac_f32_e32 v99, v101, v112
	ds_load_b128 v[112:115], v8 offset:112
	v_dual_fmac_f32 v100, v102, v103 :: v_dual_and_b32 v103, 0xffff, v74
	s_waitcnt lgkmcnt(0)
	v_lshrrev_b32_e32 v101, 16, v112
	v_and_b32_e32 v102, 0xffff, v112
	v_and_b32_e32 v112, 0xffff, v73
	;;#ASMSTART
	v_cvt_f32_f16 v102, v102;
	;;#ASMEND
	;;#ASMSTART
	v_cvt_f32_f16 v101, v101;
	;;#ASMEND
	;;#ASMSTART
	v_cvt_f32_f16 v103, v103;
	;;#ASMEND
	;;#ASMSTART
	v_cvt_f32_f16 v112, v112;
	;;#ASMEND
	v_fmac_f32_e32 v82, v102, v103
	v_fmac_f32_e32 v86, v101, v112
	v_lshrrev_b32_e32 v101, 16, v113
	v_and_b32_e32 v102, 0xffff, v113
	v_and_b32_e32 v103, 0xffff, v72
	;; [unrolled: 1-line block ×3, first 2 shown]
	;;#ASMSTART
	v_cvt_f32_f16 v102, v102;
	;;#ASMEND
	;;#ASMSTART
	v_cvt_f32_f16 v101, v101;
	;;#ASMEND
	;; [unrolled: 3-line block ×4, first 2 shown]
	v_dual_fmac_f32 v96, v102, v103 :: v_dual_fmac_f32 v87, v101, v112
	v_lshrrev_b32_e32 v101, 16, v114
	v_and_b32_e32 v102, 0xffff, v114
	v_and_b32_e32 v103, 0xffff, v62
	;; [unrolled: 1-line block ×3, first 2 shown]
	;;#ASMSTART
	v_cvt_f32_f16 v102, v102;
	;;#ASMEND
	;;#ASMSTART
	v_cvt_f32_f16 v101, v101;
	;;#ASMEND
	;; [unrolled: 3-line block ×4, first 2 shown]
	v_dual_fmac_f32 v98, v102, v103 :: v_dual_fmac_f32 v97, v101, v112
	v_lshrrev_b32_e32 v101, 16, v115
	v_and_b32_e32 v102, 0xffff, v115
	v_and_b32_e32 v103, 0xffff, v58
	;; [unrolled: 1-line block ×3, first 2 shown]
	;;#ASMSTART
	v_cvt_f32_f16 v102, v102;
	;;#ASMEND
	;;#ASMSTART
	v_cvt_f32_f16 v101, v101;
	;;#ASMEND
	;; [unrolled: 3-line block ×4, first 2 shown]
	v_fmac_f32_e32 v99, v101, v112
	ds_load_b128 v[112:115], v8 offset:128
	v_dual_fmac_f32 v100, v102, v103 :: v_dual_and_b32 v103, 0xffff, v46
	s_waitcnt lgkmcnt(0)
	v_lshrrev_b32_e32 v101, 16, v112
	v_and_b32_e32 v102, 0xffff, v112
	v_and_b32_e32 v112, 0xffff, v45
	;;#ASMSTART
	v_cvt_f32_f16 v102, v102;
	;;#ASMEND
	;;#ASMSTART
	v_cvt_f32_f16 v101, v101;
	;;#ASMEND
	;; [unrolled: 3-line block ×4, first 2 shown]
	v_fmac_f32_e32 v82, v102, v103
	v_fmac_f32_e32 v86, v101, v112
	v_lshrrev_b32_e32 v101, 16, v113
	v_and_b32_e32 v102, 0xffff, v113
	v_and_b32_e32 v103, 0xffff, v44
	;; [unrolled: 1-line block ×3, first 2 shown]
	;;#ASMSTART
	v_cvt_f32_f16 v102, v102;
	;;#ASMEND
	;;#ASMSTART
	v_cvt_f32_f16 v101, v101;
	;;#ASMEND
	;; [unrolled: 3-line block ×4, first 2 shown]
	v_dual_fmac_f32 v96, v102, v103 :: v_dual_fmac_f32 v87, v101, v112
	v_lshrrev_b32_e32 v101, 16, v114
	v_and_b32_e32 v102, 0xffff, v114
	v_and_b32_e32 v103, 0xffff, v42
	;; [unrolled: 1-line block ×3, first 2 shown]
	;;#ASMSTART
	v_cvt_f32_f16 v102, v102;
	;;#ASMEND
	;;#ASMSTART
	v_cvt_f32_f16 v101, v101;
	;;#ASMEND
	;; [unrolled: 3-line block ×4, first 2 shown]
	v_dual_fmac_f32 v98, v102, v103 :: v_dual_fmac_f32 v97, v101, v112
	v_lshrrev_b32_e32 v101, 16, v115
	v_and_b32_e32 v102, 0xffff, v115
	v_and_b32_e32 v103, 0xffff, v40
	;; [unrolled: 1-line block ×3, first 2 shown]
	;;#ASMSTART
	v_cvt_f32_f16 v102, v102;
	;;#ASMEND
	;;#ASMSTART
	v_cvt_f32_f16 v101, v101;
	;;#ASMEND
	;; [unrolled: 3-line block ×4, first 2 shown]
	v_fmac_f32_e32 v99, v101, v112
	ds_load_b128 v[112:115], v8 offset:144
	v_fmac_f32_e32 v100, v102, v103
	s_waitcnt lgkmcnt(0)
	v_lshrrev_b32_e32 v101, 16, v112
	v_and_b32_e32 v102, 0xffff, v112
	;;#ASMSTART
	v_cvt_f32_f16 v102, v102;
	;;#ASMEND
	;;#ASMSTART
	v_cvt_f32_f16 v101, v101;
	;;#ASMEND
	;; [unrolled: 3-line block ×4, first 2 shown]
	v_fmac_f32_e32 v82, v102, v85
	v_fmac_f32_e32 v86, v101, v84
	v_lshrrev_b32_e32 v84, 16, v113
	v_and_b32_e32 v85, 0xffff, v113
	;;#ASMSTART
	v_cvt_f32_f16 v85, v85;
	;;#ASMEND
	;;#ASMSTART
	v_cvt_f32_f16 v84, v84;
	;;#ASMEND
	;; [unrolled: 3-line block ×4, first 2 shown]
	v_dual_fmac_f32 v96, v85, v83 :: v_dual_fmac_f32 v87, v84, v36
	v_lshrrev_b32_e32 v36, 16, v114
	v_and_b32_e32 v83, 0xffff, v114
	;;#ASMSTART
	v_cvt_f32_f16 v83, v83;
	;;#ASMEND
	;;#ASMSTART
	v_cvt_f32_f16 v36, v36;
	;;#ASMEND
	;; [unrolled: 3-line block ×4, first 2 shown]
	v_fmac_f32_e32 v98, v83, v35
	v_and_b32_e32 v35, 0xffff, v115
	v_fmac_f32_e32 v97, v36, v34
	v_lshrrev_b32_e32 v34, 16, v115
	;;#ASMSTART
	v_cvt_f32_f16 v35, v35;
	;;#ASMEND
	;;#ASMSTART
	v_cvt_f32_f16 v34, v34;
	;;#ASMEND
	;; [unrolled: 3-line block ×4, first 2 shown]
	v_fmac_f32_e32 v99, v34, v32
	v_add_f32_e32 v32, v82, v86
	v_fmac_f32_e32 v100, v35, v33
	s_delay_alu instid0(VALU_DEP_2) | instskip(NEXT) | instid1(VALU_DEP_1)
	v_add_f32_e32 v32, v32, v96
	v_add_f32_e32 v32, v87, v32
	s_delay_alu instid0(VALU_DEP_1) | instskip(NEXT) | instid1(VALU_DEP_1)
	v_add_f32_e32 v32, v32, v98
	v_add_f32_e32 v32, v97, v32
	s_delay_alu instid0(VALU_DEP_1) | instskip(NEXT) | instid1(VALU_DEP_1)
	;; [unrolled: 3-line block ×3, first 2 shown]
	v_fmac_f32_e32 v7, v32, v13
	v_cndmask_b32_e64 v32, 0, v7, s1
	ds_store_b32 v31, v32
	v_max_f32_e32 v31, v67, v67
	s_delay_alu instid0(VALU_DEP_1) | instskip(NEXT) | instid1(VALU_DEP_1)
	v_max_f32_e32 v7, v31, v7
	v_cndmask_b32_e64 v67, v67, v7, s1
.LBB344_15:                             ;   in Loop: Header=BB344_16 Depth=1
	s_or_b32 exec_lo, exec_lo, s2
	v_add_nc_u32_e32 v81, 4, v81
	v_add_co_u32 v28, s2, v28, 16
	s_delay_alu instid0(VALU_DEP_1) | instskip(NEXT) | instid1(VALU_DEP_3)
	v_add_co_ci_u32_e64 v29, s2, 0, v29, s2
	v_cmp_ge_i32_e64 s1, v81, v52
	v_add_nc_u32_e32 v9, 0x80, v9
	v_add_nc_u32_e32 v69, 0x200, v69
	s_delay_alu instid0(VALU_DEP_3) | instskip(NEXT) | instid1(SALU_CYCLE_1)
	s_or_b32 s20, s1, s20
	s_and_not1_b32 exec_lo, exec_lo, s20
	s_cbranch_execz .LBB344_656
.LBB344_16:                             ; =>This Inner Loop Header: Depth=1
	v_sub_nc_u32_e32 v7, 0, v9
	s_delay_alu instid0(VALU_DEP_1) | instskip(NEXT) | instid1(VALU_DEP_1)
	v_max_i32_e32 v7, v9, v7
	v_mul_hi_u32 v31, v7, v50
	s_delay_alu instid0(VALU_DEP_1) | instskip(NEXT) | instid1(VALU_DEP_1)
	v_mul_lo_u32 v32, v31, v39
	v_sub_nc_u32_e32 v7, v7, v32
	v_add_nc_u32_e32 v32, 1, v31
	s_delay_alu instid0(VALU_DEP_2) | instskip(SKIP_1) | instid1(VALU_DEP_1)
	v_sub_nc_u32_e32 v33, v7, v39
	v_cmp_ge_u32_e64 s1, v7, v39
	v_cndmask_b32_e64 v31, v31, v32, s1
	s_delay_alu instid0(VALU_DEP_3) | instskip(SKIP_1) | instid1(VALU_DEP_3)
	v_cndmask_b32_e64 v7, v7, v33, s1
	v_ashrrev_i32_e32 v32, 31, v9
	v_add_nc_u32_e32 v33, 1, v31
	s_delay_alu instid0(VALU_DEP_3) | instskip(NEXT) | instid1(VALU_DEP_3)
	v_cmp_ge_u32_e64 s1, v7, v39
	v_xor_b32_e32 v32, v32, v51
	s_delay_alu instid0(VALU_DEP_2) | instskip(NEXT) | instid1(VALU_DEP_1)
	v_cndmask_b32_e64 v7, v31, v33, s1
	v_xor_b32_e32 v7, v7, v32
	s_delay_alu instid0(VALU_DEP_1) | instskip(NEXT) | instid1(VALU_DEP_1)
	v_sub_nc_u32_e32 v7, v7, v32
	v_add_nc_u32_e32 v31, v7, v6
	v_cmp_le_i32_e64 s2, v7, v53
	s_delay_alu instid0(VALU_DEP_2) | instskip(NEXT) | instid1(VALU_DEP_1)
	v_sub_nc_u32_e32 v32, 0, v31
	v_max_i32_e32 v32, v31, v32
	v_ashrrev_i32_e32 v31, 31, v31
	s_delay_alu instid0(VALU_DEP_2) | instskip(NEXT) | instid1(VALU_DEP_1)
	v_mul_hi_u32 v33, v32, v80
	v_mul_lo_u32 v33, v33, v68
	s_delay_alu instid0(VALU_DEP_1) | instskip(NEXT) | instid1(VALU_DEP_1)
	v_sub_nc_u32_e32 v32, v32, v33
	v_sub_nc_u32_e32 v33, v32, v68
	v_cmp_ge_u32_e64 s1, v32, v68
	s_delay_alu instid0(VALU_DEP_1) | instskip(NEXT) | instid1(VALU_DEP_1)
	v_cndmask_b32_e64 v32, v32, v33, s1
	v_sub_nc_u32_e32 v33, v32, v68
	v_cmp_ge_u32_e64 s1, v32, v68
	s_delay_alu instid0(VALU_DEP_1) | instskip(NEXT) | instid1(VALU_DEP_1)
	v_cndmask_b32_e64 v32, v32, v33, s1
	v_xor_b32_e32 v32, v32, v31
	s_delay_alu instid0(VALU_DEP_1) | instskip(NEXT) | instid1(VALU_DEP_1)
	v_sub_nc_u32_e32 v31, v32, v31
	v_cmp_ne_u32_e64 s1, 0, v31
	s_delay_alu instid0(VALU_DEP_1) | instskip(NEXT) | instid1(SALU_CYCLE_1)
	s_and_b32 s1, s1, s2
	s_and_saveexec_b32 s2, s1
	s_delay_alu instid0(SALU_CYCLE_1)
	s_xor_b32 s1, exec_lo, s2
	s_cbranch_execz .LBB344_18
; %bb.17:                               ;   in Loop: Header=BB344_16 Depth=1
	s_waitcnt lgkmcnt(0)
	v_add_nc_u32_e32 v7, s7, v69
	ds_store_b32 v7, v70
.LBB344_18:                             ;   in Loop: Header=BB344_16 Depth=1
	s_and_not1_saveexec_b32 s2, s1
	s_cbranch_execz .LBB344_15
; %bb.19:                               ;   in Loop: Header=BB344_16 Depth=1
	flat_load_b32 v7, v[28:29]
	v_mov_b32_e32 v83, 0
	s_mov_b32 s21, exec_lo
	v_mov_b32_e32 v84, 0
	s_waitcnt vmcnt(0) lgkmcnt(0)
	v_mad_i64_i32 v[31:32], null, v7, v22, v[20:21]
	flat_load_b64 v[33:34], v[31:32]
	flat_load_b32 v82, v[24:25]
	s_waitcnt vmcnt(1) lgkmcnt(1)
	v_and_b32_e32 v7, 0xff, v33
	s_delay_alu instid0(VALU_DEP_1)
	v_cmpx_ne_u16_e32 0, v7
	s_cbranch_execz .LBB344_27
; %bb.20:                               ;   in Loop: Header=BB344_16 Depth=1
	v_bfrev_b32_e32 v83, 1
	s_mov_b32 s22, exec_lo
	v_cmpx_ne_u16_e32 0x80, v7
	s_cbranch_execz .LBB344_26
; %bb.21:                               ;   in Loop: Header=BB344_16 Depth=1
	v_and_b32_e32 v35, 0x7f, v33
	v_mov_b32_e32 v83, 0x7fc02000
	s_mov_b32 s23, exec_lo
	s_delay_alu instid0(VALU_DEP_2)
	v_cmpx_ne_u32_e32 0x7f, v35
	s_cbranch_execz .LBB344_25
; %bb.22:                               ;   in Loop: Header=BB344_16 Depth=1
	v_lshrrev_b32_e32 v7, 3, v35
	v_cmp_gt_u32_e64 s1, 8, v35
	v_dual_mov_b32 v36, v34 :: v_dual_mov_b32 v35, v33
	s_delay_alu instid0(VALU_DEP_2)
	s_and_saveexec_b32 s24, s1
; %bb.23:                               ;   in Loop: Header=BB344_16 Depth=1
	v_and_b32_e32 v7, 7, v33
	s_delay_alu instid0(VALU_DEP_1) | instskip(NEXT) | instid1(VALU_DEP_1)
	v_clz_i32_u32_e32 v7, v7
	v_min_u32_e32 v7, 32, v7
	s_delay_alu instid0(VALU_DEP_1) | instskip(SKIP_1) | instid1(VALU_DEP_2)
	v_subrev_nc_u32_e32 v35, 28, v7
	v_sub_nc_u32_e32 v7, 29, v7
	v_lshlrev_b64 v[35:36], v35, v[33:34]
; %bb.24:                               ;   in Loop: Header=BB344_16 Depth=1
	s_or_b32 exec_lo, exec_lo, s24
	v_lshlrev_b32_e32 v36, 8, v33
	s_delay_alu instid0(VALU_DEP_3) | instskip(NEXT) | instid1(VALU_DEP_3)
	v_lshl_add_u32 v7, v7, 10, 0x2000
	v_lshlrev_b32_e32 v35, 7, v35
	s_delay_alu instid0(VALU_DEP_2) | instskip(NEXT) | instid1(VALU_DEP_1)
	v_and_or_b32 v7, 0x8000, v36, v7
	v_and_or_b32 v7, 0x380, v35, v7
	s_delay_alu instid0(VALU_DEP_1)
	v_cvt_f32_f16_e32 v83, v7
.LBB344_25:                             ;   in Loop: Header=BB344_16 Depth=1
	s_or_b32 exec_lo, exec_lo, s23
.LBB344_26:                             ;   in Loop: Header=BB344_16 Depth=1
	s_delay_alu instid0(SALU_CYCLE_1)
	s_or_b32 exec_lo, exec_lo, s22
.LBB344_27:                             ;   in Loop: Header=BB344_16 Depth=1
	s_delay_alu instid0(SALU_CYCLE_1) | instskip(SKIP_2) | instid1(VALU_DEP_1)
	s_or_b32 exec_lo, exec_lo, s21
	v_lshrrev_b16 v7, 8, v33
	s_mov_b32 s21, exec_lo
	v_cmpx_ne_u16_e32 0, v7
	s_cbranch_execz .LBB344_35
; %bb.28:                               ;   in Loop: Header=BB344_16 Depth=1
	v_bfrev_b32_e32 v84, 1
	s_mov_b32 s22, exec_lo
	v_cmpx_ne_u16_e32 0x80, v7
	s_cbranch_execz .LBB344_34
; %bb.29:                               ;   in Loop: Header=BB344_16 Depth=1
	v_and_b32_e32 v35, 0xffff, v7
	v_mov_b32_e32 v84, 0x7fc02000
	s_mov_b32 s23, exec_lo
	s_delay_alu instid0(VALU_DEP_2) | instskip(NEXT) | instid1(VALU_DEP_1)
	v_and_b32_e32 v85, 0x7f, v35
	v_cmpx_ne_u32_e32 0x7f, v85
	s_cbranch_execz .LBB344_33
; %bb.30:                               ;   in Loop: Header=BB344_16 Depth=1
	v_and_b32_e32 v7, 7, v35
	v_lshrrev_b32_e32 v36, 3, v85
	s_mov_b32 s24, exec_lo
	v_cmpx_gt_u32_e32 8, v85
; %bb.31:                               ;   in Loop: Header=BB344_16 Depth=1
	s_delay_alu instid0(VALU_DEP_3) | instskip(NEXT) | instid1(VALU_DEP_1)
	v_clz_i32_u32_e32 v36, v7
	v_min_u32_e32 v36, 32, v36
	s_delay_alu instid0(VALU_DEP_1) | instskip(SKIP_1) | instid1(VALU_DEP_2)
	v_subrev_nc_u32_e32 v84, 28, v36
	v_sub_nc_u32_e32 v36, 29, v36
	v_lshlrev_b64 v[84:85], v84, v[7:8]
	s_delay_alu instid0(VALU_DEP_1)
	v_and_b32_e32 v7, 7, v84
; %bb.32:                               ;   in Loop: Header=BB344_16 Depth=1
	s_or_b32 exec_lo, exec_lo, s24
	v_lshlrev_b32_e32 v35, 8, v35
	v_lshl_add_u32 v36, v36, 10, 0x2000
	s_delay_alu instid0(VALU_DEP_1) | instskip(NEXT) | instid1(VALU_DEP_1)
	v_and_or_b32 v35, 0x8000, v35, v36
	v_lshl_or_b32 v7, v7, 7, v35
	s_delay_alu instid0(VALU_DEP_1)
	v_cvt_f32_f16_e32 v84, v7
.LBB344_33:                             ;   in Loop: Header=BB344_16 Depth=1
	s_or_b32 exec_lo, exec_lo, s23
.LBB344_34:                             ;   in Loop: Header=BB344_16 Depth=1
	s_delay_alu instid0(SALU_CYCLE_1)
	s_or_b32 exec_lo, exec_lo, s22
.LBB344_35:                             ;   in Loop: Header=BB344_16 Depth=1
	s_delay_alu instid0(SALU_CYCLE_1) | instskip(SKIP_3) | instid1(VALU_DEP_2)
	s_or_b32 exec_lo, exec_lo, s21
	v_lshrrev_b32_e32 v35, 16, v33
	v_mov_b32_e32 v85, 0
	s_mov_b32 s21, exec_lo
	v_dual_mov_b32 v86, 0 :: v_dual_and_b32 v7, 0xff, v35
	s_delay_alu instid0(VALU_DEP_1)
	v_cmpx_ne_u16_e32 0, v7
	s_cbranch_execz .LBB344_43
; %bb.36:                               ;   in Loop: Header=BB344_16 Depth=1
	v_bfrev_b32_e32 v85, 1
	s_mov_b32 s22, exec_lo
	v_cmpx_ne_u16_e32 0x80, v7
	s_cbranch_execz .LBB344_42
; %bb.37:                               ;   in Loop: Header=BB344_16 Depth=1
	v_bfe_u32 v87, v33, 16, 7
	v_mov_b32_e32 v85, 0x7fc02000
	s_mov_b32 s23, exec_lo
	s_delay_alu instid0(VALU_DEP_2)
	v_cmpx_ne_u32_e32 0x7f, v87
	s_cbranch_execz .LBB344_41
; %bb.38:                               ;   in Loop: Header=BB344_16 Depth=1
	v_and_b32_e32 v7, 7, v35
	v_lshrrev_b32_e32 v36, 3, v87
	s_mov_b32 s24, exec_lo
	v_cmpx_gt_u32_e32 8, v87
; %bb.39:                               ;   in Loop: Header=BB344_16 Depth=1
	s_delay_alu instid0(VALU_DEP_3) | instskip(NEXT) | instid1(VALU_DEP_1)
	v_clz_i32_u32_e32 v36, v7
	v_min_u32_e32 v36, 32, v36
	s_delay_alu instid0(VALU_DEP_1) | instskip(SKIP_1) | instid1(VALU_DEP_2)
	v_subrev_nc_u32_e32 v85, 28, v36
	v_sub_nc_u32_e32 v36, 29, v36
	v_lshlrev_b64 v[96:97], v85, v[7:8]
	s_delay_alu instid0(VALU_DEP_1)
	v_and_b32_e32 v7, 7, v96
; %bb.40:                               ;   in Loop: Header=BB344_16 Depth=1
	s_or_b32 exec_lo, exec_lo, s24
	v_lshlrev_b32_e32 v35, 8, v35
	v_lshl_add_u32 v36, v36, 10, 0x2000
	s_delay_alu instid0(VALU_DEP_1) | instskip(NEXT) | instid1(VALU_DEP_1)
	v_and_or_b32 v35, 0x8000, v35, v36
	v_lshl_or_b32 v7, v7, 7, v35
	s_delay_alu instid0(VALU_DEP_1)
	v_cvt_f32_f16_e32 v85, v7
.LBB344_41:                             ;   in Loop: Header=BB344_16 Depth=1
	s_or_b32 exec_lo, exec_lo, s23
.LBB344_42:                             ;   in Loop: Header=BB344_16 Depth=1
	s_delay_alu instid0(SALU_CYCLE_1)
	s_or_b32 exec_lo, exec_lo, s22
.LBB344_43:                             ;   in Loop: Header=BB344_16 Depth=1
	s_delay_alu instid0(SALU_CYCLE_1) | instskip(NEXT) | instid1(SALU_CYCLE_1)
	s_or_b32 exec_lo, exec_lo, s21
	s_mov_b32 s21, exec_lo
	v_cmpx_lt_u32_e32 0xffffff, v33
	s_cbranch_execz .LBB344_51
; %bb.44:                               ;   in Loop: Header=BB344_16 Depth=1
	v_lshrrev_b32_e32 v35, 24, v33
	v_bfrev_b32_e32 v86, 1
	s_mov_b32 s22, exec_lo
	s_delay_alu instid0(VALU_DEP_2)
	v_cmpx_ne_u32_e32 0x80, v35
	s_cbranch_execz .LBB344_50
; %bb.45:                               ;   in Loop: Header=BB344_16 Depth=1
	v_and_b32_e32 v87, 0x7f, v35
	v_mov_b32_e32 v86, 0x7fc02000
	s_mov_b32 s23, exec_lo
	s_delay_alu instid0(VALU_DEP_2)
	v_cmpx_ne_u32_e32 0x7f, v87
	s_cbranch_execz .LBB344_49
; %bb.46:                               ;   in Loop: Header=BB344_16 Depth=1
	v_and_b32_e32 v7, 7, v35
	v_lshrrev_b32_e32 v36, 3, v87
	s_mov_b32 s24, exec_lo
	v_cmpx_gt_u32_e32 8, v87
; %bb.47:                               ;   in Loop: Header=BB344_16 Depth=1
	s_delay_alu instid0(VALU_DEP_3) | instskip(NEXT) | instid1(VALU_DEP_1)
	v_clz_i32_u32_e32 v36, v7
	v_min_u32_e32 v36, 32, v36
	s_delay_alu instid0(VALU_DEP_1) | instskip(SKIP_1) | instid1(VALU_DEP_2)
	v_subrev_nc_u32_e32 v86, 28, v36
	v_sub_nc_u32_e32 v36, 29, v36
	v_lshlrev_b64 v[86:87], v86, v[7:8]
	s_delay_alu instid0(VALU_DEP_1)
	v_and_b32_e32 v7, 7, v86
; %bb.48:                               ;   in Loop: Header=BB344_16 Depth=1
	s_or_b32 exec_lo, exec_lo, s24
	v_lshlrev_b32_e32 v35, 8, v35
	v_lshl_add_u32 v36, v36, 10, 0x2000
	s_delay_alu instid0(VALU_DEP_1) | instskip(NEXT) | instid1(VALU_DEP_1)
	v_and_or_b32 v35, 0x8000, v35, v36
	v_lshl_or_b32 v7, v7, 7, v35
	s_delay_alu instid0(VALU_DEP_1)
	v_cvt_f32_f16_e32 v86, v7
.LBB344_49:                             ;   in Loop: Header=BB344_16 Depth=1
	s_or_b32 exec_lo, exec_lo, s23
.LBB344_50:                             ;   in Loop: Header=BB344_16 Depth=1
	s_delay_alu instid0(SALU_CYCLE_1)
	s_or_b32 exec_lo, exec_lo, s22
.LBB344_51:                             ;   in Loop: Header=BB344_16 Depth=1
	s_delay_alu instid0(SALU_CYCLE_1) | instskip(SKIP_4) | instid1(VALU_DEP_3)
	s_or_b32 exec_lo, exec_lo, s21
	v_dual_mov_b32 v96, 0 :: v_dual_and_b32 v35, 0xff, v34
	v_mov_b32_e32 v7, v34
	v_mov_b32_e32 v87, 0
	s_mov_b32 s21, exec_lo
	v_cmpx_ne_u16_e32 0, v35
	s_cbranch_execz .LBB344_59
; %bb.52:                               ;   in Loop: Header=BB344_16 Depth=1
	v_bfrev_b32_e32 v87, 1
	s_mov_b32 s22, exec_lo
	v_cmpx_ne_u16_e32 0x80, v35
	s_cbranch_execz .LBB344_58
; %bb.53:                               ;   in Loop: Header=BB344_16 Depth=1
	v_and_b32_e32 v35, 0x7f, v34
	v_mov_b32_e32 v87, 0x7fc02000
	s_mov_b32 s23, exec_lo
	s_delay_alu instid0(VALU_DEP_2)
	v_cmpx_ne_u32_e32 0x7f, v35
	s_cbranch_execz .LBB344_57
; %bb.54:                               ;   in Loop: Header=BB344_16 Depth=1
	v_lshrrev_b32_e32 v87, 3, v35
	v_cmp_gt_u32_e64 s1, 8, v35
	v_dual_mov_b32 v36, v8 :: v_dual_mov_b32 v35, v7
	s_delay_alu instid0(VALU_DEP_2)
	s_and_saveexec_b32 s24, s1
; %bb.55:                               ;   in Loop: Header=BB344_16 Depth=1
	v_and_b32_e32 v35, 7, v34
	s_delay_alu instid0(VALU_DEP_1) | instskip(NEXT) | instid1(VALU_DEP_1)
	v_clz_i32_u32_e32 v35, v35
	v_min_u32_e32 v87, 32, v35
	s_delay_alu instid0(VALU_DEP_1) | instskip(SKIP_1) | instid1(VALU_DEP_2)
	v_subrev_nc_u32_e32 v35, 28, v87
	v_sub_nc_u32_e32 v87, 29, v87
	v_lshlrev_b64 v[35:36], v35, v[7:8]
; %bb.56:                               ;   in Loop: Header=BB344_16 Depth=1
	s_or_b32 exec_lo, exec_lo, s24
	v_lshlrev_b32_e32 v36, 8, v34
	s_delay_alu instid0(VALU_DEP_3) | instskip(NEXT) | instid1(VALU_DEP_3)
	v_lshl_add_u32 v87, v87, 10, 0x2000
	v_lshlrev_b32_e32 v35, 7, v35
	s_delay_alu instid0(VALU_DEP_2) | instskip(NEXT) | instid1(VALU_DEP_1)
	v_and_or_b32 v36, 0x8000, v36, v87
	v_and_or_b32 v35, 0x380, v35, v36
	s_delay_alu instid0(VALU_DEP_1)
	v_cvt_f32_f16_e32 v87, v35
.LBB344_57:                             ;   in Loop: Header=BB344_16 Depth=1
	s_or_b32 exec_lo, exec_lo, s23
.LBB344_58:                             ;   in Loop: Header=BB344_16 Depth=1
	s_delay_alu instid0(SALU_CYCLE_1)
	s_or_b32 exec_lo, exec_lo, s22
.LBB344_59:                             ;   in Loop: Header=BB344_16 Depth=1
	s_delay_alu instid0(SALU_CYCLE_1) | instskip(SKIP_2) | instid1(VALU_DEP_1)
	s_or_b32 exec_lo, exec_lo, s21
	v_lshrrev_b16 v7, 8, v7
	s_mov_b32 s21, exec_lo
	v_cmpx_ne_u16_e32 0, v7
	s_cbranch_execz .LBB344_67
; %bb.60:                               ;   in Loop: Header=BB344_16 Depth=1
	v_bfrev_b32_e32 v96, 1
	s_mov_b32 s22, exec_lo
	v_cmpx_ne_u16_e32 0x80, v7
	s_cbranch_execz .LBB344_66
; %bb.61:                               ;   in Loop: Header=BB344_16 Depth=1
	v_and_b32_e32 v35, 0xffff, v7
	v_mov_b32_e32 v96, 0x7fc02000
	s_mov_b32 s23, exec_lo
	s_delay_alu instid0(VALU_DEP_2) | instskip(NEXT) | instid1(VALU_DEP_1)
	v_and_b32_e32 v97, 0x7f, v35
	v_cmpx_ne_u32_e32 0x7f, v97
	s_cbranch_execz .LBB344_65
; %bb.62:                               ;   in Loop: Header=BB344_16 Depth=1
	v_and_b32_e32 v7, 7, v35
	v_lshrrev_b32_e32 v36, 3, v97
	s_mov_b32 s24, exec_lo
	v_cmpx_gt_u32_e32 8, v97
; %bb.63:                               ;   in Loop: Header=BB344_16 Depth=1
	s_delay_alu instid0(VALU_DEP_3) | instskip(NEXT) | instid1(VALU_DEP_1)
	v_clz_i32_u32_e32 v36, v7
	v_min_u32_e32 v36, 32, v36
	s_delay_alu instid0(VALU_DEP_1) | instskip(SKIP_1) | instid1(VALU_DEP_2)
	v_subrev_nc_u32_e32 v96, 28, v36
	v_sub_nc_u32_e32 v36, 29, v36
	v_lshlrev_b64 v[96:97], v96, v[7:8]
	s_delay_alu instid0(VALU_DEP_1)
	v_and_b32_e32 v7, 7, v96
; %bb.64:                               ;   in Loop: Header=BB344_16 Depth=1
	s_or_b32 exec_lo, exec_lo, s24
	v_lshlrev_b32_e32 v35, 8, v35
	v_lshl_add_u32 v36, v36, 10, 0x2000
	s_delay_alu instid0(VALU_DEP_1) | instskip(NEXT) | instid1(VALU_DEP_1)
	v_and_or_b32 v35, 0x8000, v35, v36
	v_lshl_or_b32 v7, v7, 7, v35
	s_delay_alu instid0(VALU_DEP_1)
	v_cvt_f32_f16_e32 v96, v7
.LBB344_65:                             ;   in Loop: Header=BB344_16 Depth=1
	s_or_b32 exec_lo, exec_lo, s23
.LBB344_66:                             ;   in Loop: Header=BB344_16 Depth=1
	s_delay_alu instid0(SALU_CYCLE_1)
	s_or_b32 exec_lo, exec_lo, s22
.LBB344_67:                             ;   in Loop: Header=BB344_16 Depth=1
	s_delay_alu instid0(SALU_CYCLE_1) | instskip(SKIP_3) | instid1(VALU_DEP_2)
	s_or_b32 exec_lo, exec_lo, s21
	v_lshrrev_b32_e32 v35, 16, v34
	v_mov_b32_e32 v97, 0
	s_mov_b32 s21, exec_lo
	v_dual_mov_b32 v98, 0 :: v_dual_and_b32 v7, 0xff, v35
	s_delay_alu instid0(VALU_DEP_1)
	v_cmpx_ne_u16_e32 0, v7
	s_cbranch_execz .LBB344_75
; %bb.68:                               ;   in Loop: Header=BB344_16 Depth=1
	v_bfrev_b32_e32 v98, 1
	s_mov_b32 s22, exec_lo
	v_cmpx_ne_u16_e32 0x80, v7
	s_cbranch_execz .LBB344_74
; %bb.69:                               ;   in Loop: Header=BB344_16 Depth=1
	v_bfe_u32 v99, v34, 16, 7
	v_mov_b32_e32 v98, 0x7fc02000
	s_mov_b32 s23, exec_lo
	s_delay_alu instid0(VALU_DEP_2)
	v_cmpx_ne_u32_e32 0x7f, v99
	s_cbranch_execz .LBB344_73
; %bb.70:                               ;   in Loop: Header=BB344_16 Depth=1
	v_and_b32_e32 v7, 7, v35
	v_lshrrev_b32_e32 v36, 3, v99
	s_mov_b32 s24, exec_lo
	v_cmpx_gt_u32_e32 8, v99
; %bb.71:                               ;   in Loop: Header=BB344_16 Depth=1
	s_delay_alu instid0(VALU_DEP_3) | instskip(NEXT) | instid1(VALU_DEP_1)
	v_clz_i32_u32_e32 v36, v7
	v_min_u32_e32 v36, 32, v36
	s_delay_alu instid0(VALU_DEP_1) | instskip(SKIP_1) | instid1(VALU_DEP_2)
	v_subrev_nc_u32_e32 v98, 28, v36
	v_sub_nc_u32_e32 v36, 29, v36
	v_lshlrev_b64 v[98:99], v98, v[7:8]
	s_delay_alu instid0(VALU_DEP_1)
	v_and_b32_e32 v7, 7, v98
; %bb.72:                               ;   in Loop: Header=BB344_16 Depth=1
	s_or_b32 exec_lo, exec_lo, s24
	v_lshlrev_b32_e32 v35, 8, v35
	v_lshl_add_u32 v36, v36, 10, 0x2000
	s_delay_alu instid0(VALU_DEP_1) | instskip(NEXT) | instid1(VALU_DEP_1)
	v_and_or_b32 v35, 0x8000, v35, v36
	v_lshl_or_b32 v7, v7, 7, v35
	s_delay_alu instid0(VALU_DEP_1)
	v_cvt_f32_f16_e32 v98, v7
.LBB344_73:                             ;   in Loop: Header=BB344_16 Depth=1
	s_or_b32 exec_lo, exec_lo, s23
.LBB344_74:                             ;   in Loop: Header=BB344_16 Depth=1
	s_delay_alu instid0(SALU_CYCLE_1)
	s_or_b32 exec_lo, exec_lo, s22
.LBB344_75:                             ;   in Loop: Header=BB344_16 Depth=1
	s_delay_alu instid0(SALU_CYCLE_1) | instskip(NEXT) | instid1(SALU_CYCLE_1)
	s_or_b32 exec_lo, exec_lo, s21
	s_mov_b32 s21, exec_lo
	v_cmpx_lt_u64_e64 s[8:9], v[33:34]
	s_cbranch_execz .LBB344_83
; %bb.76:                               ;   in Loop: Header=BB344_16 Depth=1
	v_lshrrev_b32_e32 v33, 24, v34
	v_bfrev_b32_e32 v97, 1
	s_mov_b32 s22, exec_lo
	s_delay_alu instid0(VALU_DEP_2)
	v_cmpx_ne_u32_e32 0x80, v33
	s_cbranch_execz .LBB344_82
; %bb.77:                               ;   in Loop: Header=BB344_16 Depth=1
	v_and_b32_e32 v35, 0x7f, v33
	v_mov_b32_e32 v97, 0x7fc02000
	s_mov_b32 s23, exec_lo
	s_delay_alu instid0(VALU_DEP_2)
	v_cmpx_ne_u32_e32 0x7f, v35
	s_cbranch_execz .LBB344_81
; %bb.78:                               ;   in Loop: Header=BB344_16 Depth=1
	v_and_b32_e32 v7, 7, v33
	v_lshrrev_b32_e32 v34, 3, v35
	s_mov_b32 s24, exec_lo
	v_cmpx_gt_u32_e32 8, v35
; %bb.79:                               ;   in Loop: Header=BB344_16 Depth=1
	s_delay_alu instid0(VALU_DEP_3) | instskip(NEXT) | instid1(VALU_DEP_1)
	v_clz_i32_u32_e32 v34, v7
	v_min_u32_e32 v34, 32, v34
	s_delay_alu instid0(VALU_DEP_1) | instskip(SKIP_1) | instid1(VALU_DEP_2)
	v_subrev_nc_u32_e32 v35, 28, v34
	v_sub_nc_u32_e32 v34, 29, v34
	v_lshlrev_b64 v[35:36], v35, v[7:8]
	s_delay_alu instid0(VALU_DEP_1)
	v_and_b32_e32 v7, 7, v35
; %bb.80:                               ;   in Loop: Header=BB344_16 Depth=1
	s_or_b32 exec_lo, exec_lo, s24
	v_lshlrev_b32_e32 v33, 8, v33
	v_lshl_add_u32 v34, v34, 10, 0x2000
	s_delay_alu instid0(VALU_DEP_1) | instskip(NEXT) | instid1(VALU_DEP_1)
	v_and_or_b32 v33, 0x8000, v33, v34
	v_lshl_or_b32 v7, v7, 7, v33
	s_delay_alu instid0(VALU_DEP_1)
	v_cvt_f32_f16_e32 v97, v7
.LBB344_81:                             ;   in Loop: Header=BB344_16 Depth=1
	s_or_b32 exec_lo, exec_lo, s23
.LBB344_82:                             ;   in Loop: Header=BB344_16 Depth=1
	s_delay_alu instid0(SALU_CYCLE_1)
	s_or_b32 exec_lo, exec_lo, s22
.LBB344_83:                             ;   in Loop: Header=BB344_16 Depth=1
	s_delay_alu instid0(SALU_CYCLE_1)
	s_or_b32 exec_lo, exec_lo, s21
	flat_load_b64 v[33:34], v[31:32] offset:8
	v_mov_b32_e32 v99, 0
	s_mov_b32 s21, exec_lo
	s_waitcnt vmcnt(0) lgkmcnt(0)
	v_dual_mov_b32 v100, 0 :: v_dual_and_b32 v7, 0xff, v33
	s_delay_alu instid0(VALU_DEP_1)
	v_cmpx_ne_u16_e32 0, v7
	s_cbranch_execz .LBB344_91
; %bb.84:                               ;   in Loop: Header=BB344_16 Depth=1
	v_bfrev_b32_e32 v99, 1
	s_mov_b32 s22, exec_lo
	v_cmpx_ne_u16_e32 0x80, v7
	s_cbranch_execz .LBB344_90
; %bb.85:                               ;   in Loop: Header=BB344_16 Depth=1
	v_and_b32_e32 v35, 0x7f, v33
	v_mov_b32_e32 v99, 0x7fc02000
	s_mov_b32 s23, exec_lo
	s_delay_alu instid0(VALU_DEP_2)
	v_cmpx_ne_u32_e32 0x7f, v35
	s_cbranch_execz .LBB344_89
; %bb.86:                               ;   in Loop: Header=BB344_16 Depth=1
	v_lshrrev_b32_e32 v7, 3, v35
	v_cmp_gt_u32_e64 s1, 8, v35
	v_dual_mov_b32 v36, v34 :: v_dual_mov_b32 v35, v33
	s_delay_alu instid0(VALU_DEP_2)
	s_and_saveexec_b32 s24, s1
; %bb.87:                               ;   in Loop: Header=BB344_16 Depth=1
	v_and_b32_e32 v7, 7, v33
	s_delay_alu instid0(VALU_DEP_1) | instskip(NEXT) | instid1(VALU_DEP_1)
	v_clz_i32_u32_e32 v7, v7
	v_min_u32_e32 v7, 32, v7
	s_delay_alu instid0(VALU_DEP_1) | instskip(SKIP_1) | instid1(VALU_DEP_2)
	v_subrev_nc_u32_e32 v35, 28, v7
	v_sub_nc_u32_e32 v7, 29, v7
	v_lshlrev_b64 v[35:36], v35, v[33:34]
; %bb.88:                               ;   in Loop: Header=BB344_16 Depth=1
	s_or_b32 exec_lo, exec_lo, s24
	v_lshlrev_b32_e32 v36, 8, v33
	s_delay_alu instid0(VALU_DEP_3) | instskip(NEXT) | instid1(VALU_DEP_3)
	v_lshl_add_u32 v7, v7, 10, 0x2000
	v_lshlrev_b32_e32 v35, 7, v35
	s_delay_alu instid0(VALU_DEP_2) | instskip(NEXT) | instid1(VALU_DEP_1)
	v_and_or_b32 v7, 0x8000, v36, v7
	v_and_or_b32 v7, 0x380, v35, v7
	s_delay_alu instid0(VALU_DEP_1)
	v_cvt_f32_f16_e32 v99, v7
.LBB344_89:                             ;   in Loop: Header=BB344_16 Depth=1
	s_or_b32 exec_lo, exec_lo, s23
.LBB344_90:                             ;   in Loop: Header=BB344_16 Depth=1
	s_delay_alu instid0(SALU_CYCLE_1)
	s_or_b32 exec_lo, exec_lo, s22
.LBB344_91:                             ;   in Loop: Header=BB344_16 Depth=1
	s_delay_alu instid0(SALU_CYCLE_1) | instskip(SKIP_2) | instid1(VALU_DEP_1)
	s_or_b32 exec_lo, exec_lo, s21
	v_lshrrev_b16 v7, 8, v33
	s_mov_b32 s21, exec_lo
	v_cmpx_ne_u16_e32 0, v7
	s_cbranch_execz .LBB344_99
; %bb.92:                               ;   in Loop: Header=BB344_16 Depth=1
	v_bfrev_b32_e32 v100, 1
	s_mov_b32 s22, exec_lo
	v_cmpx_ne_u16_e32 0x80, v7
	s_cbranch_execz .LBB344_98
; %bb.93:                               ;   in Loop: Header=BB344_16 Depth=1
	v_and_b32_e32 v35, 0xffff, v7
	v_mov_b32_e32 v100, 0x7fc02000
	s_mov_b32 s23, exec_lo
	s_delay_alu instid0(VALU_DEP_2) | instskip(NEXT) | instid1(VALU_DEP_1)
	v_and_b32_e32 v101, 0x7f, v35
	v_cmpx_ne_u32_e32 0x7f, v101
	s_cbranch_execz .LBB344_97
; %bb.94:                               ;   in Loop: Header=BB344_16 Depth=1
	v_and_b32_e32 v7, 7, v35
	v_lshrrev_b32_e32 v36, 3, v101
	s_mov_b32 s24, exec_lo
	v_cmpx_gt_u32_e32 8, v101
; %bb.95:                               ;   in Loop: Header=BB344_16 Depth=1
	s_delay_alu instid0(VALU_DEP_3) | instskip(NEXT) | instid1(VALU_DEP_1)
	v_clz_i32_u32_e32 v36, v7
	v_min_u32_e32 v36, 32, v36
	s_delay_alu instid0(VALU_DEP_1) | instskip(SKIP_1) | instid1(VALU_DEP_2)
	v_subrev_nc_u32_e32 v100, 28, v36
	v_sub_nc_u32_e32 v36, 29, v36
	v_lshlrev_b64 v[100:101], v100, v[7:8]
	s_delay_alu instid0(VALU_DEP_1)
	v_and_b32_e32 v7, 7, v100
; %bb.96:                               ;   in Loop: Header=BB344_16 Depth=1
	s_or_b32 exec_lo, exec_lo, s24
	v_lshlrev_b32_e32 v35, 8, v35
	v_lshl_add_u32 v36, v36, 10, 0x2000
	s_delay_alu instid0(VALU_DEP_1) | instskip(NEXT) | instid1(VALU_DEP_1)
	v_and_or_b32 v35, 0x8000, v35, v36
	v_lshl_or_b32 v7, v7, 7, v35
	s_delay_alu instid0(VALU_DEP_1)
	v_cvt_f32_f16_e32 v100, v7
.LBB344_97:                             ;   in Loop: Header=BB344_16 Depth=1
	s_or_b32 exec_lo, exec_lo, s23
.LBB344_98:                             ;   in Loop: Header=BB344_16 Depth=1
	s_delay_alu instid0(SALU_CYCLE_1)
	s_or_b32 exec_lo, exec_lo, s22
.LBB344_99:                             ;   in Loop: Header=BB344_16 Depth=1
	s_delay_alu instid0(SALU_CYCLE_1) | instskip(SKIP_3) | instid1(VALU_DEP_2)
	s_or_b32 exec_lo, exec_lo, s21
	v_lshrrev_b32_e32 v35, 16, v33
	v_mov_b32_e32 v101, 0
	s_mov_b32 s21, exec_lo
	v_dual_mov_b32 v102, 0 :: v_dual_and_b32 v7, 0xff, v35
	s_delay_alu instid0(VALU_DEP_1)
	v_cmpx_ne_u16_e32 0, v7
	s_cbranch_execz .LBB344_107
; %bb.100:                              ;   in Loop: Header=BB344_16 Depth=1
	v_bfrev_b32_e32 v101, 1
	s_mov_b32 s22, exec_lo
	v_cmpx_ne_u16_e32 0x80, v7
	s_cbranch_execz .LBB344_106
; %bb.101:                              ;   in Loop: Header=BB344_16 Depth=1
	v_bfe_u32 v103, v33, 16, 7
	v_mov_b32_e32 v101, 0x7fc02000
	s_mov_b32 s23, exec_lo
	s_delay_alu instid0(VALU_DEP_2)
	v_cmpx_ne_u32_e32 0x7f, v103
	s_cbranch_execz .LBB344_105
; %bb.102:                              ;   in Loop: Header=BB344_16 Depth=1
	v_and_b32_e32 v7, 7, v35
	v_lshrrev_b32_e32 v36, 3, v103
	s_mov_b32 s24, exec_lo
	v_cmpx_gt_u32_e32 8, v103
; %bb.103:                              ;   in Loop: Header=BB344_16 Depth=1
	s_delay_alu instid0(VALU_DEP_3) | instskip(NEXT) | instid1(VALU_DEP_1)
	v_clz_i32_u32_e32 v36, v7
	v_min_u32_e32 v36, 32, v36
	s_delay_alu instid0(VALU_DEP_1) | instskip(SKIP_1) | instid1(VALU_DEP_2)
	v_subrev_nc_u32_e32 v101, 28, v36
	v_sub_nc_u32_e32 v36, 29, v36
	v_lshlrev_b64 v[112:113], v101, v[7:8]
	s_delay_alu instid0(VALU_DEP_1)
	v_and_b32_e32 v7, 7, v112
; %bb.104:                              ;   in Loop: Header=BB344_16 Depth=1
	s_or_b32 exec_lo, exec_lo, s24
	v_lshlrev_b32_e32 v35, 8, v35
	v_lshl_add_u32 v36, v36, 10, 0x2000
	s_delay_alu instid0(VALU_DEP_1) | instskip(NEXT) | instid1(VALU_DEP_1)
	v_and_or_b32 v35, 0x8000, v35, v36
	v_lshl_or_b32 v7, v7, 7, v35
	s_delay_alu instid0(VALU_DEP_1)
	v_cvt_f32_f16_e32 v101, v7
.LBB344_105:                            ;   in Loop: Header=BB344_16 Depth=1
	s_or_b32 exec_lo, exec_lo, s23
.LBB344_106:                            ;   in Loop: Header=BB344_16 Depth=1
	s_delay_alu instid0(SALU_CYCLE_1)
	s_or_b32 exec_lo, exec_lo, s22
.LBB344_107:                            ;   in Loop: Header=BB344_16 Depth=1
	s_delay_alu instid0(SALU_CYCLE_1) | instskip(NEXT) | instid1(SALU_CYCLE_1)
	s_or_b32 exec_lo, exec_lo, s21
	s_mov_b32 s21, exec_lo
	v_cmpx_lt_u32_e32 0xffffff, v33
	s_cbranch_execz .LBB344_115
; %bb.108:                              ;   in Loop: Header=BB344_16 Depth=1
	v_lshrrev_b32_e32 v35, 24, v33
	v_bfrev_b32_e32 v102, 1
	s_mov_b32 s22, exec_lo
	s_delay_alu instid0(VALU_DEP_2)
	v_cmpx_ne_u32_e32 0x80, v35
	s_cbranch_execz .LBB344_114
; %bb.109:                              ;   in Loop: Header=BB344_16 Depth=1
	v_and_b32_e32 v103, 0x7f, v35
	v_mov_b32_e32 v102, 0x7fc02000
	s_mov_b32 s23, exec_lo
	s_delay_alu instid0(VALU_DEP_2)
	v_cmpx_ne_u32_e32 0x7f, v103
	s_cbranch_execz .LBB344_113
; %bb.110:                              ;   in Loop: Header=BB344_16 Depth=1
	v_and_b32_e32 v7, 7, v35
	v_lshrrev_b32_e32 v36, 3, v103
	s_mov_b32 s24, exec_lo
	v_cmpx_gt_u32_e32 8, v103
; %bb.111:                              ;   in Loop: Header=BB344_16 Depth=1
	s_delay_alu instid0(VALU_DEP_3) | instskip(NEXT) | instid1(VALU_DEP_1)
	v_clz_i32_u32_e32 v36, v7
	v_min_u32_e32 v36, 32, v36
	s_delay_alu instid0(VALU_DEP_1) | instskip(SKIP_1) | instid1(VALU_DEP_2)
	v_subrev_nc_u32_e32 v102, 28, v36
	v_sub_nc_u32_e32 v36, 29, v36
	v_lshlrev_b64 v[102:103], v102, v[7:8]
	s_delay_alu instid0(VALU_DEP_1)
	v_and_b32_e32 v7, 7, v102
; %bb.112:                              ;   in Loop: Header=BB344_16 Depth=1
	s_or_b32 exec_lo, exec_lo, s24
	v_lshlrev_b32_e32 v35, 8, v35
	v_lshl_add_u32 v36, v36, 10, 0x2000
	s_delay_alu instid0(VALU_DEP_1) | instskip(NEXT) | instid1(VALU_DEP_1)
	v_and_or_b32 v35, 0x8000, v35, v36
	v_lshl_or_b32 v7, v7, 7, v35
	s_delay_alu instid0(VALU_DEP_1)
	v_cvt_f32_f16_e32 v102, v7
.LBB344_113:                            ;   in Loop: Header=BB344_16 Depth=1
	s_or_b32 exec_lo, exec_lo, s23
.LBB344_114:                            ;   in Loop: Header=BB344_16 Depth=1
	s_delay_alu instid0(SALU_CYCLE_1)
	s_or_b32 exec_lo, exec_lo, s22
.LBB344_115:                            ;   in Loop: Header=BB344_16 Depth=1
	s_delay_alu instid0(SALU_CYCLE_1) | instskip(SKIP_4) | instid1(VALU_DEP_3)
	s_or_b32 exec_lo, exec_lo, s21
	v_dual_mov_b32 v112, 0 :: v_dual_and_b32 v35, 0xff, v34
	v_mov_b32_e32 v7, v34
	v_mov_b32_e32 v103, 0
	s_mov_b32 s21, exec_lo
	v_cmpx_ne_u16_e32 0, v35
	s_cbranch_execz .LBB344_123
; %bb.116:                              ;   in Loop: Header=BB344_16 Depth=1
	v_bfrev_b32_e32 v103, 1
	s_mov_b32 s22, exec_lo
	v_cmpx_ne_u16_e32 0x80, v35
	s_cbranch_execz .LBB344_122
; %bb.117:                              ;   in Loop: Header=BB344_16 Depth=1
	v_and_b32_e32 v35, 0x7f, v34
	v_mov_b32_e32 v103, 0x7fc02000
	s_mov_b32 s23, exec_lo
	s_delay_alu instid0(VALU_DEP_2)
	v_cmpx_ne_u32_e32 0x7f, v35
	s_cbranch_execz .LBB344_121
; %bb.118:                              ;   in Loop: Header=BB344_16 Depth=1
	v_lshrrev_b32_e32 v103, 3, v35
	v_cmp_gt_u32_e64 s1, 8, v35
	v_dual_mov_b32 v36, v8 :: v_dual_mov_b32 v35, v7
	s_delay_alu instid0(VALU_DEP_2)
	s_and_saveexec_b32 s24, s1
; %bb.119:                              ;   in Loop: Header=BB344_16 Depth=1
	v_and_b32_e32 v35, 7, v34
	s_delay_alu instid0(VALU_DEP_1) | instskip(NEXT) | instid1(VALU_DEP_1)
	v_clz_i32_u32_e32 v35, v35
	v_min_u32_e32 v103, 32, v35
	s_delay_alu instid0(VALU_DEP_1) | instskip(SKIP_1) | instid1(VALU_DEP_2)
	v_subrev_nc_u32_e32 v35, 28, v103
	v_sub_nc_u32_e32 v103, 29, v103
	v_lshlrev_b64 v[35:36], v35, v[7:8]
; %bb.120:                              ;   in Loop: Header=BB344_16 Depth=1
	s_or_b32 exec_lo, exec_lo, s24
	v_lshlrev_b32_e32 v36, 8, v34
	s_delay_alu instid0(VALU_DEP_3) | instskip(NEXT) | instid1(VALU_DEP_3)
	v_lshl_add_u32 v103, v103, 10, 0x2000
	v_lshlrev_b32_e32 v35, 7, v35
	s_delay_alu instid0(VALU_DEP_2) | instskip(NEXT) | instid1(VALU_DEP_1)
	v_and_or_b32 v36, 0x8000, v36, v103
	v_and_or_b32 v35, 0x380, v35, v36
	s_delay_alu instid0(VALU_DEP_1)
	v_cvt_f32_f16_e32 v103, v35
.LBB344_121:                            ;   in Loop: Header=BB344_16 Depth=1
	s_or_b32 exec_lo, exec_lo, s23
.LBB344_122:                            ;   in Loop: Header=BB344_16 Depth=1
	s_delay_alu instid0(SALU_CYCLE_1)
	s_or_b32 exec_lo, exec_lo, s22
.LBB344_123:                            ;   in Loop: Header=BB344_16 Depth=1
	s_delay_alu instid0(SALU_CYCLE_1) | instskip(SKIP_2) | instid1(VALU_DEP_1)
	s_or_b32 exec_lo, exec_lo, s21
	v_lshrrev_b16 v7, 8, v7
	s_mov_b32 s21, exec_lo
	v_cmpx_ne_u16_e32 0, v7
	s_cbranch_execz .LBB344_131
; %bb.124:                              ;   in Loop: Header=BB344_16 Depth=1
	v_bfrev_b32_e32 v112, 1
	s_mov_b32 s22, exec_lo
	v_cmpx_ne_u16_e32 0x80, v7
	s_cbranch_execz .LBB344_130
; %bb.125:                              ;   in Loop: Header=BB344_16 Depth=1
	v_and_b32_e32 v35, 0xffff, v7
	v_mov_b32_e32 v112, 0x7fc02000
	s_mov_b32 s23, exec_lo
	s_delay_alu instid0(VALU_DEP_2) | instskip(NEXT) | instid1(VALU_DEP_1)
	v_and_b32_e32 v113, 0x7f, v35
	v_cmpx_ne_u32_e32 0x7f, v113
	s_cbranch_execz .LBB344_129
; %bb.126:                              ;   in Loop: Header=BB344_16 Depth=1
	v_and_b32_e32 v7, 7, v35
	v_lshrrev_b32_e32 v36, 3, v113
	s_mov_b32 s24, exec_lo
	v_cmpx_gt_u32_e32 8, v113
; %bb.127:                              ;   in Loop: Header=BB344_16 Depth=1
	s_delay_alu instid0(VALU_DEP_3) | instskip(NEXT) | instid1(VALU_DEP_1)
	v_clz_i32_u32_e32 v36, v7
	v_min_u32_e32 v36, 32, v36
	s_delay_alu instid0(VALU_DEP_1) | instskip(SKIP_1) | instid1(VALU_DEP_2)
	v_subrev_nc_u32_e32 v112, 28, v36
	v_sub_nc_u32_e32 v36, 29, v36
	v_lshlrev_b64 v[112:113], v112, v[7:8]
	s_delay_alu instid0(VALU_DEP_1)
	v_and_b32_e32 v7, 7, v112
; %bb.128:                              ;   in Loop: Header=BB344_16 Depth=1
	s_or_b32 exec_lo, exec_lo, s24
	v_lshlrev_b32_e32 v35, 8, v35
	v_lshl_add_u32 v36, v36, 10, 0x2000
	s_delay_alu instid0(VALU_DEP_1) | instskip(NEXT) | instid1(VALU_DEP_1)
	v_and_or_b32 v35, 0x8000, v35, v36
	v_lshl_or_b32 v7, v7, 7, v35
	s_delay_alu instid0(VALU_DEP_1)
	v_cvt_f32_f16_e32 v112, v7
.LBB344_129:                            ;   in Loop: Header=BB344_16 Depth=1
	s_or_b32 exec_lo, exec_lo, s23
.LBB344_130:                            ;   in Loop: Header=BB344_16 Depth=1
	s_delay_alu instid0(SALU_CYCLE_1)
	s_or_b32 exec_lo, exec_lo, s22
.LBB344_131:                            ;   in Loop: Header=BB344_16 Depth=1
	s_delay_alu instid0(SALU_CYCLE_1) | instskip(SKIP_3) | instid1(VALU_DEP_2)
	s_or_b32 exec_lo, exec_lo, s21
	v_lshrrev_b32_e32 v35, 16, v34
	v_mov_b32_e32 v113, 0
	s_mov_b32 s21, exec_lo
	v_dual_mov_b32 v114, 0 :: v_dual_and_b32 v7, 0xff, v35
	s_delay_alu instid0(VALU_DEP_1)
	v_cmpx_ne_u16_e32 0, v7
	s_cbranch_execz .LBB344_139
; %bb.132:                              ;   in Loop: Header=BB344_16 Depth=1
	v_bfrev_b32_e32 v114, 1
	s_mov_b32 s22, exec_lo
	v_cmpx_ne_u16_e32 0x80, v7
	s_cbranch_execz .LBB344_138
; %bb.133:                              ;   in Loop: Header=BB344_16 Depth=1
	v_bfe_u32 v115, v34, 16, 7
	v_mov_b32_e32 v114, 0x7fc02000
	s_mov_b32 s23, exec_lo
	s_delay_alu instid0(VALU_DEP_2)
	v_cmpx_ne_u32_e32 0x7f, v115
	s_cbranch_execz .LBB344_137
; %bb.134:                              ;   in Loop: Header=BB344_16 Depth=1
	v_and_b32_e32 v7, 7, v35
	v_lshrrev_b32_e32 v36, 3, v115
	s_mov_b32 s24, exec_lo
	v_cmpx_gt_u32_e32 8, v115
; %bb.135:                              ;   in Loop: Header=BB344_16 Depth=1
	s_delay_alu instid0(VALU_DEP_3) | instskip(NEXT) | instid1(VALU_DEP_1)
	v_clz_i32_u32_e32 v36, v7
	v_min_u32_e32 v36, 32, v36
	s_delay_alu instid0(VALU_DEP_1) | instskip(SKIP_1) | instid1(VALU_DEP_2)
	v_subrev_nc_u32_e32 v114, 28, v36
	v_sub_nc_u32_e32 v36, 29, v36
	v_lshlrev_b64 v[114:115], v114, v[7:8]
	s_delay_alu instid0(VALU_DEP_1)
	v_and_b32_e32 v7, 7, v114
; %bb.136:                              ;   in Loop: Header=BB344_16 Depth=1
	s_or_b32 exec_lo, exec_lo, s24
	v_lshlrev_b32_e32 v35, 8, v35
	v_lshl_add_u32 v36, v36, 10, 0x2000
	s_delay_alu instid0(VALU_DEP_1) | instskip(NEXT) | instid1(VALU_DEP_1)
	v_and_or_b32 v35, 0x8000, v35, v36
	v_lshl_or_b32 v7, v7, 7, v35
	s_delay_alu instid0(VALU_DEP_1)
	v_cvt_f32_f16_e32 v114, v7
.LBB344_137:                            ;   in Loop: Header=BB344_16 Depth=1
	s_or_b32 exec_lo, exec_lo, s23
.LBB344_138:                            ;   in Loop: Header=BB344_16 Depth=1
	s_delay_alu instid0(SALU_CYCLE_1)
	s_or_b32 exec_lo, exec_lo, s22
.LBB344_139:                            ;   in Loop: Header=BB344_16 Depth=1
	s_delay_alu instid0(SALU_CYCLE_1) | instskip(NEXT) | instid1(SALU_CYCLE_1)
	s_or_b32 exec_lo, exec_lo, s21
	s_mov_b32 s21, exec_lo
	v_cmpx_lt_u64_e64 s[8:9], v[33:34]
	s_cbranch_execz .LBB344_147
; %bb.140:                              ;   in Loop: Header=BB344_16 Depth=1
	v_lshrrev_b32_e32 v33, 24, v34
	v_bfrev_b32_e32 v113, 1
	s_mov_b32 s22, exec_lo
	s_delay_alu instid0(VALU_DEP_2)
	v_cmpx_ne_u32_e32 0x80, v33
	s_cbranch_execz .LBB344_146
; %bb.141:                              ;   in Loop: Header=BB344_16 Depth=1
	v_and_b32_e32 v35, 0x7f, v33
	v_mov_b32_e32 v113, 0x7fc02000
	s_mov_b32 s23, exec_lo
	s_delay_alu instid0(VALU_DEP_2)
	v_cmpx_ne_u32_e32 0x7f, v35
	s_cbranch_execz .LBB344_145
; %bb.142:                              ;   in Loop: Header=BB344_16 Depth=1
	v_and_b32_e32 v7, 7, v33
	v_lshrrev_b32_e32 v34, 3, v35
	s_mov_b32 s24, exec_lo
	v_cmpx_gt_u32_e32 8, v35
; %bb.143:                              ;   in Loop: Header=BB344_16 Depth=1
	s_delay_alu instid0(VALU_DEP_3) | instskip(NEXT) | instid1(VALU_DEP_1)
	v_clz_i32_u32_e32 v34, v7
	v_min_u32_e32 v34, 32, v34
	s_delay_alu instid0(VALU_DEP_1) | instskip(SKIP_1) | instid1(VALU_DEP_2)
	v_subrev_nc_u32_e32 v35, 28, v34
	v_sub_nc_u32_e32 v34, 29, v34
	v_lshlrev_b64 v[35:36], v35, v[7:8]
	s_delay_alu instid0(VALU_DEP_1)
	v_and_b32_e32 v7, 7, v35
; %bb.144:                              ;   in Loop: Header=BB344_16 Depth=1
	s_or_b32 exec_lo, exec_lo, s24
	v_lshlrev_b32_e32 v33, 8, v33
	v_lshl_add_u32 v34, v34, 10, 0x2000
	s_delay_alu instid0(VALU_DEP_1) | instskip(NEXT) | instid1(VALU_DEP_1)
	v_and_or_b32 v33, 0x8000, v33, v34
	v_lshl_or_b32 v7, v7, 7, v33
	s_delay_alu instid0(VALU_DEP_1)
	v_cvt_f32_f16_e32 v113, v7
.LBB344_145:                            ;   in Loop: Header=BB344_16 Depth=1
	s_or_b32 exec_lo, exec_lo, s23
.LBB344_146:                            ;   in Loop: Header=BB344_16 Depth=1
	s_delay_alu instid0(SALU_CYCLE_1)
	s_or_b32 exec_lo, exec_lo, s22
.LBB344_147:                            ;   in Loop: Header=BB344_16 Depth=1
	s_delay_alu instid0(SALU_CYCLE_1)
	s_or_b32 exec_lo, exec_lo, s21
	flat_load_b64 v[33:34], v[31:32] offset:512
	v_mov_b32_e32 v115, 0
	s_mov_b32 s21, exec_lo
	s_waitcnt vmcnt(0) lgkmcnt(0)
	v_dual_mov_b32 v116, 0 :: v_dual_and_b32 v7, 0xff, v33
	s_delay_alu instid0(VALU_DEP_1)
	v_cmpx_ne_u16_e32 0, v7
	s_cbranch_execz .LBB344_155
; %bb.148:                              ;   in Loop: Header=BB344_16 Depth=1
	v_bfrev_b32_e32 v115, 1
	s_mov_b32 s22, exec_lo
	v_cmpx_ne_u16_e32 0x80, v7
	s_cbranch_execz .LBB344_154
; %bb.149:                              ;   in Loop: Header=BB344_16 Depth=1
	v_and_b32_e32 v35, 0x7f, v33
	v_mov_b32_e32 v115, 0x7fc02000
	s_mov_b32 s23, exec_lo
	s_delay_alu instid0(VALU_DEP_2)
	v_cmpx_ne_u32_e32 0x7f, v35
	s_cbranch_execz .LBB344_153
; %bb.150:                              ;   in Loop: Header=BB344_16 Depth=1
	v_lshrrev_b32_e32 v7, 3, v35
	v_cmp_gt_u32_e64 s1, 8, v35
	v_dual_mov_b32 v36, v34 :: v_dual_mov_b32 v35, v33
	s_delay_alu instid0(VALU_DEP_2)
	s_and_saveexec_b32 s24, s1
; %bb.151:                              ;   in Loop: Header=BB344_16 Depth=1
	v_and_b32_e32 v7, 7, v33
	s_delay_alu instid0(VALU_DEP_1) | instskip(NEXT) | instid1(VALU_DEP_1)
	v_clz_i32_u32_e32 v7, v7
	v_min_u32_e32 v7, 32, v7
	s_delay_alu instid0(VALU_DEP_1) | instskip(SKIP_1) | instid1(VALU_DEP_2)
	v_subrev_nc_u32_e32 v35, 28, v7
	v_sub_nc_u32_e32 v7, 29, v7
	v_lshlrev_b64 v[35:36], v35, v[33:34]
; %bb.152:                              ;   in Loop: Header=BB344_16 Depth=1
	s_or_b32 exec_lo, exec_lo, s24
	v_lshlrev_b32_e32 v36, 8, v33
	s_delay_alu instid0(VALU_DEP_3) | instskip(NEXT) | instid1(VALU_DEP_3)
	v_lshl_add_u32 v7, v7, 10, 0x2000
	v_lshlrev_b32_e32 v35, 7, v35
	s_delay_alu instid0(VALU_DEP_2) | instskip(NEXT) | instid1(VALU_DEP_1)
	v_and_or_b32 v7, 0x8000, v36, v7
	v_and_or_b32 v7, 0x380, v35, v7
	s_delay_alu instid0(VALU_DEP_1)
	v_cvt_f32_f16_e32 v115, v7
.LBB344_153:                            ;   in Loop: Header=BB344_16 Depth=1
	s_or_b32 exec_lo, exec_lo, s23
.LBB344_154:                            ;   in Loop: Header=BB344_16 Depth=1
	s_delay_alu instid0(SALU_CYCLE_1)
	s_or_b32 exec_lo, exec_lo, s22
.LBB344_155:                            ;   in Loop: Header=BB344_16 Depth=1
	s_delay_alu instid0(SALU_CYCLE_1) | instskip(SKIP_2) | instid1(VALU_DEP_1)
	s_or_b32 exec_lo, exec_lo, s21
	v_lshrrev_b16 v7, 8, v33
	s_mov_b32 s21, exec_lo
	v_cmpx_ne_u16_e32 0, v7
	s_cbranch_execz .LBB344_163
; %bb.156:                              ;   in Loop: Header=BB344_16 Depth=1
	v_bfrev_b32_e32 v116, 1
	s_mov_b32 s22, exec_lo
	v_cmpx_ne_u16_e32 0x80, v7
	s_cbranch_execz .LBB344_162
; %bb.157:                              ;   in Loop: Header=BB344_16 Depth=1
	v_and_b32_e32 v35, 0xffff, v7
	v_mov_b32_e32 v116, 0x7fc02000
	s_mov_b32 s23, exec_lo
	s_delay_alu instid0(VALU_DEP_2) | instskip(NEXT) | instid1(VALU_DEP_1)
	v_and_b32_e32 v117, 0x7f, v35
	v_cmpx_ne_u32_e32 0x7f, v117
	s_cbranch_execz .LBB344_161
; %bb.158:                              ;   in Loop: Header=BB344_16 Depth=1
	v_and_b32_e32 v7, 7, v35
	v_lshrrev_b32_e32 v36, 3, v117
	s_mov_b32 s24, exec_lo
	v_cmpx_gt_u32_e32 8, v117
; %bb.159:                              ;   in Loop: Header=BB344_16 Depth=1
	s_delay_alu instid0(VALU_DEP_3) | instskip(NEXT) | instid1(VALU_DEP_1)
	v_clz_i32_u32_e32 v36, v7
	v_min_u32_e32 v36, 32, v36
	s_delay_alu instid0(VALU_DEP_1) | instskip(SKIP_1) | instid1(VALU_DEP_2)
	v_subrev_nc_u32_e32 v116, 28, v36
	v_sub_nc_u32_e32 v36, 29, v36
	v_lshlrev_b64 v[116:117], v116, v[7:8]
	s_delay_alu instid0(VALU_DEP_1)
	v_and_b32_e32 v7, 7, v116
; %bb.160:                              ;   in Loop: Header=BB344_16 Depth=1
	s_or_b32 exec_lo, exec_lo, s24
	v_lshlrev_b32_e32 v35, 8, v35
	v_lshl_add_u32 v36, v36, 10, 0x2000
	s_delay_alu instid0(VALU_DEP_1) | instskip(NEXT) | instid1(VALU_DEP_1)
	v_and_or_b32 v35, 0x8000, v35, v36
	v_lshl_or_b32 v7, v7, 7, v35
	s_delay_alu instid0(VALU_DEP_1)
	v_cvt_f32_f16_e32 v116, v7
.LBB344_161:                            ;   in Loop: Header=BB344_16 Depth=1
	s_or_b32 exec_lo, exec_lo, s23
.LBB344_162:                            ;   in Loop: Header=BB344_16 Depth=1
	s_delay_alu instid0(SALU_CYCLE_1)
	s_or_b32 exec_lo, exec_lo, s22
.LBB344_163:                            ;   in Loop: Header=BB344_16 Depth=1
	s_delay_alu instid0(SALU_CYCLE_1) | instskip(SKIP_3) | instid1(VALU_DEP_2)
	s_or_b32 exec_lo, exec_lo, s21
	v_lshrrev_b32_e32 v35, 16, v33
	v_mov_b32_e32 v117, 0
	s_mov_b32 s21, exec_lo
	v_dual_mov_b32 v118, 0 :: v_dual_and_b32 v7, 0xff, v35
	s_delay_alu instid0(VALU_DEP_1)
	v_cmpx_ne_u16_e32 0, v7
	s_cbranch_execz .LBB344_171
; %bb.164:                              ;   in Loop: Header=BB344_16 Depth=1
	v_bfrev_b32_e32 v117, 1
	s_mov_b32 s22, exec_lo
	v_cmpx_ne_u16_e32 0x80, v7
	s_cbranch_execz .LBB344_170
; %bb.165:                              ;   in Loop: Header=BB344_16 Depth=1
	v_bfe_u32 v119, v33, 16, 7
	v_mov_b32_e32 v117, 0x7fc02000
	s_mov_b32 s23, exec_lo
	s_delay_alu instid0(VALU_DEP_2)
	v_cmpx_ne_u32_e32 0x7f, v119
	s_cbranch_execz .LBB344_169
; %bb.166:                              ;   in Loop: Header=BB344_16 Depth=1
	v_and_b32_e32 v7, 7, v35
	v_lshrrev_b32_e32 v36, 3, v119
	s_mov_b32 s24, exec_lo
	v_cmpx_gt_u32_e32 8, v119
; %bb.167:                              ;   in Loop: Header=BB344_16 Depth=1
	s_delay_alu instid0(VALU_DEP_3) | instskip(NEXT) | instid1(VALU_DEP_1)
	v_clz_i32_u32_e32 v36, v7
	v_min_u32_e32 v36, 32, v36
	s_delay_alu instid0(VALU_DEP_1) | instskip(SKIP_1) | instid1(VALU_DEP_2)
	v_subrev_nc_u32_e32 v117, 28, v36
	v_sub_nc_u32_e32 v36, 29, v36
	v_lshlrev_b64 v[128:129], v117, v[7:8]
	s_delay_alu instid0(VALU_DEP_1)
	v_and_b32_e32 v7, 7, v128
; %bb.168:                              ;   in Loop: Header=BB344_16 Depth=1
	s_or_b32 exec_lo, exec_lo, s24
	v_lshlrev_b32_e32 v35, 8, v35
	v_lshl_add_u32 v36, v36, 10, 0x2000
	s_delay_alu instid0(VALU_DEP_1) | instskip(NEXT) | instid1(VALU_DEP_1)
	v_and_or_b32 v35, 0x8000, v35, v36
	v_lshl_or_b32 v7, v7, 7, v35
	s_delay_alu instid0(VALU_DEP_1)
	v_cvt_f32_f16_e32 v117, v7
.LBB344_169:                            ;   in Loop: Header=BB344_16 Depth=1
	s_or_b32 exec_lo, exec_lo, s23
.LBB344_170:                            ;   in Loop: Header=BB344_16 Depth=1
	s_delay_alu instid0(SALU_CYCLE_1)
	s_or_b32 exec_lo, exec_lo, s22
.LBB344_171:                            ;   in Loop: Header=BB344_16 Depth=1
	s_delay_alu instid0(SALU_CYCLE_1) | instskip(NEXT) | instid1(SALU_CYCLE_1)
	s_or_b32 exec_lo, exec_lo, s21
	s_mov_b32 s21, exec_lo
	v_cmpx_lt_u32_e32 0xffffff, v33
	s_cbranch_execz .LBB344_179
; %bb.172:                              ;   in Loop: Header=BB344_16 Depth=1
	v_lshrrev_b32_e32 v35, 24, v33
	v_bfrev_b32_e32 v118, 1
	s_mov_b32 s22, exec_lo
	s_delay_alu instid0(VALU_DEP_2)
	v_cmpx_ne_u32_e32 0x80, v35
	s_cbranch_execz .LBB344_178
; %bb.173:                              ;   in Loop: Header=BB344_16 Depth=1
	v_and_b32_e32 v119, 0x7f, v35
	v_mov_b32_e32 v118, 0x7fc02000
	s_mov_b32 s23, exec_lo
	s_delay_alu instid0(VALU_DEP_2)
	v_cmpx_ne_u32_e32 0x7f, v119
	s_cbranch_execz .LBB344_177
; %bb.174:                              ;   in Loop: Header=BB344_16 Depth=1
	v_and_b32_e32 v7, 7, v35
	v_lshrrev_b32_e32 v36, 3, v119
	s_mov_b32 s24, exec_lo
	v_cmpx_gt_u32_e32 8, v119
; %bb.175:                              ;   in Loop: Header=BB344_16 Depth=1
	s_delay_alu instid0(VALU_DEP_3) | instskip(NEXT) | instid1(VALU_DEP_1)
	v_clz_i32_u32_e32 v36, v7
	v_min_u32_e32 v36, 32, v36
	s_delay_alu instid0(VALU_DEP_1) | instskip(SKIP_1) | instid1(VALU_DEP_2)
	v_subrev_nc_u32_e32 v118, 28, v36
	v_sub_nc_u32_e32 v36, 29, v36
	v_lshlrev_b64 v[118:119], v118, v[7:8]
	s_delay_alu instid0(VALU_DEP_1)
	v_and_b32_e32 v7, 7, v118
; %bb.176:                              ;   in Loop: Header=BB344_16 Depth=1
	s_or_b32 exec_lo, exec_lo, s24
	v_lshlrev_b32_e32 v35, 8, v35
	v_lshl_add_u32 v36, v36, 10, 0x2000
	s_delay_alu instid0(VALU_DEP_1) | instskip(NEXT) | instid1(VALU_DEP_1)
	v_and_or_b32 v35, 0x8000, v35, v36
	v_lshl_or_b32 v7, v7, 7, v35
	s_delay_alu instid0(VALU_DEP_1)
	v_cvt_f32_f16_e32 v118, v7
.LBB344_177:                            ;   in Loop: Header=BB344_16 Depth=1
	s_or_b32 exec_lo, exec_lo, s23
.LBB344_178:                            ;   in Loop: Header=BB344_16 Depth=1
	s_delay_alu instid0(SALU_CYCLE_1)
	s_or_b32 exec_lo, exec_lo, s22
.LBB344_179:                            ;   in Loop: Header=BB344_16 Depth=1
	s_delay_alu instid0(SALU_CYCLE_1) | instskip(SKIP_4) | instid1(VALU_DEP_3)
	s_or_b32 exec_lo, exec_lo, s21
	v_dual_mov_b32 v128, 0 :: v_dual_and_b32 v35, 0xff, v34
	v_mov_b32_e32 v7, v34
	v_mov_b32_e32 v119, 0
	s_mov_b32 s21, exec_lo
	v_cmpx_ne_u16_e32 0, v35
	s_cbranch_execz .LBB344_187
; %bb.180:                              ;   in Loop: Header=BB344_16 Depth=1
	v_bfrev_b32_e32 v119, 1
	s_mov_b32 s22, exec_lo
	v_cmpx_ne_u16_e32 0x80, v35
	s_cbranch_execz .LBB344_186
; %bb.181:                              ;   in Loop: Header=BB344_16 Depth=1
	v_and_b32_e32 v35, 0x7f, v34
	v_mov_b32_e32 v119, 0x7fc02000
	s_mov_b32 s23, exec_lo
	s_delay_alu instid0(VALU_DEP_2)
	v_cmpx_ne_u32_e32 0x7f, v35
	s_cbranch_execz .LBB344_185
; %bb.182:                              ;   in Loop: Header=BB344_16 Depth=1
	v_lshrrev_b32_e32 v119, 3, v35
	v_cmp_gt_u32_e64 s1, 8, v35
	v_dual_mov_b32 v36, v8 :: v_dual_mov_b32 v35, v7
	s_delay_alu instid0(VALU_DEP_2)
	s_and_saveexec_b32 s24, s1
; %bb.183:                              ;   in Loop: Header=BB344_16 Depth=1
	v_and_b32_e32 v35, 7, v34
	s_delay_alu instid0(VALU_DEP_1) | instskip(NEXT) | instid1(VALU_DEP_1)
	v_clz_i32_u32_e32 v35, v35
	v_min_u32_e32 v119, 32, v35
	s_delay_alu instid0(VALU_DEP_1) | instskip(SKIP_1) | instid1(VALU_DEP_2)
	v_subrev_nc_u32_e32 v35, 28, v119
	v_sub_nc_u32_e32 v119, 29, v119
	v_lshlrev_b64 v[35:36], v35, v[7:8]
; %bb.184:                              ;   in Loop: Header=BB344_16 Depth=1
	s_or_b32 exec_lo, exec_lo, s24
	v_lshlrev_b32_e32 v36, 8, v34
	s_delay_alu instid0(VALU_DEP_3) | instskip(NEXT) | instid1(VALU_DEP_3)
	v_lshl_add_u32 v119, v119, 10, 0x2000
	v_lshlrev_b32_e32 v35, 7, v35
	s_delay_alu instid0(VALU_DEP_2) | instskip(NEXT) | instid1(VALU_DEP_1)
	v_and_or_b32 v36, 0x8000, v36, v119
	v_and_or_b32 v35, 0x380, v35, v36
	s_delay_alu instid0(VALU_DEP_1)
	v_cvt_f32_f16_e32 v119, v35
.LBB344_185:                            ;   in Loop: Header=BB344_16 Depth=1
	s_or_b32 exec_lo, exec_lo, s23
.LBB344_186:                            ;   in Loop: Header=BB344_16 Depth=1
	s_delay_alu instid0(SALU_CYCLE_1)
	s_or_b32 exec_lo, exec_lo, s22
.LBB344_187:                            ;   in Loop: Header=BB344_16 Depth=1
	s_delay_alu instid0(SALU_CYCLE_1) | instskip(SKIP_2) | instid1(VALU_DEP_1)
	s_or_b32 exec_lo, exec_lo, s21
	v_lshrrev_b16 v7, 8, v7
	s_mov_b32 s21, exec_lo
	v_cmpx_ne_u16_e32 0, v7
	s_cbranch_execz .LBB344_195
; %bb.188:                              ;   in Loop: Header=BB344_16 Depth=1
	v_bfrev_b32_e32 v128, 1
	s_mov_b32 s22, exec_lo
	v_cmpx_ne_u16_e32 0x80, v7
	s_cbranch_execz .LBB344_194
; %bb.189:                              ;   in Loop: Header=BB344_16 Depth=1
	v_and_b32_e32 v35, 0xffff, v7
	v_mov_b32_e32 v128, 0x7fc02000
	s_mov_b32 s23, exec_lo
	s_delay_alu instid0(VALU_DEP_2) | instskip(NEXT) | instid1(VALU_DEP_1)
	v_and_b32_e32 v129, 0x7f, v35
	v_cmpx_ne_u32_e32 0x7f, v129
	s_cbranch_execz .LBB344_193
; %bb.190:                              ;   in Loop: Header=BB344_16 Depth=1
	v_and_b32_e32 v7, 7, v35
	v_lshrrev_b32_e32 v36, 3, v129
	s_mov_b32 s24, exec_lo
	v_cmpx_gt_u32_e32 8, v129
; %bb.191:                              ;   in Loop: Header=BB344_16 Depth=1
	s_delay_alu instid0(VALU_DEP_3) | instskip(NEXT) | instid1(VALU_DEP_1)
	v_clz_i32_u32_e32 v36, v7
	v_min_u32_e32 v36, 32, v36
	s_delay_alu instid0(VALU_DEP_1) | instskip(SKIP_1) | instid1(VALU_DEP_2)
	v_subrev_nc_u32_e32 v128, 28, v36
	v_sub_nc_u32_e32 v36, 29, v36
	v_lshlrev_b64 v[128:129], v128, v[7:8]
	s_delay_alu instid0(VALU_DEP_1)
	v_and_b32_e32 v7, 7, v128
; %bb.192:                              ;   in Loop: Header=BB344_16 Depth=1
	s_or_b32 exec_lo, exec_lo, s24
	v_lshlrev_b32_e32 v35, 8, v35
	v_lshl_add_u32 v36, v36, 10, 0x2000
	s_delay_alu instid0(VALU_DEP_1) | instskip(NEXT) | instid1(VALU_DEP_1)
	v_and_or_b32 v35, 0x8000, v35, v36
	v_lshl_or_b32 v7, v7, 7, v35
	s_delay_alu instid0(VALU_DEP_1)
	v_cvt_f32_f16_e64 v128, v7
.LBB344_193:                            ;   in Loop: Header=BB344_16 Depth=1
	s_or_b32 exec_lo, exec_lo, s23
.LBB344_194:                            ;   in Loop: Header=BB344_16 Depth=1
	s_delay_alu instid0(SALU_CYCLE_1)
	s_or_b32 exec_lo, exec_lo, s22
.LBB344_195:                            ;   in Loop: Header=BB344_16 Depth=1
	s_delay_alu instid0(SALU_CYCLE_1) | instskip(SKIP_3) | instid1(VALU_DEP_2)
	s_or_b32 exec_lo, exec_lo, s21
	v_lshrrev_b32_e32 v35, 16, v34
	v_mov_b32_e32 v129, 0
	s_mov_b32 s21, exec_lo
	v_dual_mov_b32 v130, 0 :: v_dual_and_b32 v7, 0xff, v35
	s_delay_alu instid0(VALU_DEP_1)
	v_cmpx_ne_u16_e32 0, v7
	s_cbranch_execz .LBB344_203
; %bb.196:                              ;   in Loop: Header=BB344_16 Depth=1
	v_bfrev_b32_e32 v130, 1
	s_mov_b32 s22, exec_lo
	v_cmpx_ne_u16_e32 0x80, v7
	s_cbranch_execz .LBB344_202
; %bb.197:                              ;   in Loop: Header=BB344_16 Depth=1
	v_bfe_u32 v131, v34, 16, 7
	v_mov_b32_e32 v130, 0x7fc02000
	s_mov_b32 s23, exec_lo
	s_delay_alu instid0(VALU_DEP_2)
	v_cmpx_ne_u32_e32 0x7f, v131
	s_cbranch_execz .LBB344_201
; %bb.198:                              ;   in Loop: Header=BB344_16 Depth=1
	v_and_b32_e32 v7, 7, v35
	v_lshrrev_b32_e32 v36, 3, v131
	s_mov_b32 s24, exec_lo
	v_cmpx_gt_u32_e32 8, v131
; %bb.199:                              ;   in Loop: Header=BB344_16 Depth=1
	s_delay_alu instid0(VALU_DEP_3) | instskip(NEXT) | instid1(VALU_DEP_1)
	v_clz_i32_u32_e32 v36, v7
	v_min_u32_e32 v36, 32, v36
	s_delay_alu instid0(VALU_DEP_1) | instskip(SKIP_1) | instid1(VALU_DEP_2)
	v_subrev_nc_u32_e32 v130, 28, v36
	v_sub_nc_u32_e32 v36, 29, v36
	v_lshlrev_b64 v[130:131], v130, v[7:8]
	s_delay_alu instid0(VALU_DEP_1)
	v_and_b32_e32 v7, 7, v130
; %bb.200:                              ;   in Loop: Header=BB344_16 Depth=1
	s_or_b32 exec_lo, exec_lo, s24
	v_lshlrev_b32_e32 v35, 8, v35
	v_lshl_add_u32 v36, v36, 10, 0x2000
	s_delay_alu instid0(VALU_DEP_1) | instskip(NEXT) | instid1(VALU_DEP_1)
	v_and_or_b32 v35, 0x8000, v35, v36
	v_lshl_or_b32 v7, v7, 7, v35
	s_delay_alu instid0(VALU_DEP_1)
	v_cvt_f32_f16_e64 v130, v7
.LBB344_201:                            ;   in Loop: Header=BB344_16 Depth=1
	s_or_b32 exec_lo, exec_lo, s23
.LBB344_202:                            ;   in Loop: Header=BB344_16 Depth=1
	s_delay_alu instid0(SALU_CYCLE_1)
	s_or_b32 exec_lo, exec_lo, s22
.LBB344_203:                            ;   in Loop: Header=BB344_16 Depth=1
	s_delay_alu instid0(SALU_CYCLE_1) | instskip(NEXT) | instid1(SALU_CYCLE_1)
	s_or_b32 exec_lo, exec_lo, s21
	s_mov_b32 s21, exec_lo
	v_cmpx_lt_u64_e64 s[8:9], v[33:34]
	s_cbranch_execz .LBB344_211
; %bb.204:                              ;   in Loop: Header=BB344_16 Depth=1
	v_lshrrev_b32_e32 v33, 24, v34
	v_bfrev_b32_e32 v129, 1
	s_mov_b32 s22, exec_lo
	s_delay_alu instid0(VALU_DEP_2)
	v_cmpx_ne_u32_e32 0x80, v33
	s_cbranch_execz .LBB344_210
; %bb.205:                              ;   in Loop: Header=BB344_16 Depth=1
	v_and_b32_e32 v35, 0x7f, v33
	v_mov_b32_e32 v129, 0x7fc02000
	s_mov_b32 s23, exec_lo
	s_delay_alu instid0(VALU_DEP_2)
	v_cmpx_ne_u32_e32 0x7f, v35
	s_cbranch_execz .LBB344_209
; %bb.206:                              ;   in Loop: Header=BB344_16 Depth=1
	v_and_b32_e32 v7, 7, v33
	v_lshrrev_b32_e32 v34, 3, v35
	s_mov_b32 s24, exec_lo
	v_cmpx_gt_u32_e32 8, v35
; %bb.207:                              ;   in Loop: Header=BB344_16 Depth=1
	s_delay_alu instid0(VALU_DEP_3) | instskip(NEXT) | instid1(VALU_DEP_1)
	v_clz_i32_u32_e32 v34, v7
	v_min_u32_e32 v34, 32, v34
	s_delay_alu instid0(VALU_DEP_1) | instskip(SKIP_1) | instid1(VALU_DEP_2)
	v_subrev_nc_u32_e32 v35, 28, v34
	v_sub_nc_u32_e32 v34, 29, v34
	v_lshlrev_b64 v[35:36], v35, v[7:8]
	s_delay_alu instid0(VALU_DEP_1)
	v_and_b32_e32 v7, 7, v35
; %bb.208:                              ;   in Loop: Header=BB344_16 Depth=1
	s_or_b32 exec_lo, exec_lo, s24
	v_lshlrev_b32_e32 v33, 8, v33
	v_lshl_add_u32 v34, v34, 10, 0x2000
	s_delay_alu instid0(VALU_DEP_1) | instskip(NEXT) | instid1(VALU_DEP_1)
	v_and_or_b32 v33, 0x8000, v33, v34
	v_lshl_or_b32 v7, v7, 7, v33
	s_delay_alu instid0(VALU_DEP_1)
	v_cvt_f32_f16_e64 v129, v7
.LBB344_209:                            ;   in Loop: Header=BB344_16 Depth=1
	s_or_b32 exec_lo, exec_lo, s23
.LBB344_210:                            ;   in Loop: Header=BB344_16 Depth=1
	s_delay_alu instid0(SALU_CYCLE_1)
	s_or_b32 exec_lo, exec_lo, s22
.LBB344_211:                            ;   in Loop: Header=BB344_16 Depth=1
	s_delay_alu instid0(SALU_CYCLE_1)
	s_or_b32 exec_lo, exec_lo, s21
	flat_load_b64 v[33:34], v[31:32] offset:520
	v_mov_b32_e32 v131, 0
	s_mov_b32 s21, exec_lo
	s_waitcnt vmcnt(0) lgkmcnt(0)
	v_dual_mov_b32 v132, 0 :: v_dual_and_b32 v7, 0xff, v33
	s_delay_alu instid0(VALU_DEP_1)
	v_cmpx_ne_u16_e32 0, v7
	s_cbranch_execz .LBB344_219
; %bb.212:                              ;   in Loop: Header=BB344_16 Depth=1
	v_bfrev_b32_e32 v131, 1
	s_mov_b32 s22, exec_lo
	v_cmpx_ne_u16_e32 0x80, v7
	s_cbranch_execz .LBB344_218
; %bb.213:                              ;   in Loop: Header=BB344_16 Depth=1
	v_and_b32_e32 v35, 0x7f, v33
	v_mov_b32_e32 v131, 0x7fc02000
	s_mov_b32 s23, exec_lo
	s_delay_alu instid0(VALU_DEP_2)
	v_cmpx_ne_u32_e32 0x7f, v35
	s_cbranch_execz .LBB344_217
; %bb.214:                              ;   in Loop: Header=BB344_16 Depth=1
	v_lshrrev_b32_e32 v7, 3, v35
	v_cmp_gt_u32_e64 s1, 8, v35
	v_dual_mov_b32 v36, v34 :: v_dual_mov_b32 v35, v33
	s_delay_alu instid0(VALU_DEP_2)
	s_and_saveexec_b32 s24, s1
; %bb.215:                              ;   in Loop: Header=BB344_16 Depth=1
	v_and_b32_e32 v7, 7, v33
	s_delay_alu instid0(VALU_DEP_1) | instskip(NEXT) | instid1(VALU_DEP_1)
	v_clz_i32_u32_e32 v7, v7
	v_min_u32_e32 v7, 32, v7
	s_delay_alu instid0(VALU_DEP_1) | instskip(SKIP_1) | instid1(VALU_DEP_2)
	v_subrev_nc_u32_e32 v35, 28, v7
	v_sub_nc_u32_e32 v7, 29, v7
	v_lshlrev_b64 v[35:36], v35, v[33:34]
; %bb.216:                              ;   in Loop: Header=BB344_16 Depth=1
	s_or_b32 exec_lo, exec_lo, s24
	v_lshlrev_b32_e32 v36, 8, v33
	s_delay_alu instid0(VALU_DEP_3) | instskip(NEXT) | instid1(VALU_DEP_3)
	v_lshl_add_u32 v7, v7, 10, 0x2000
	v_lshlrev_b32_e32 v35, 7, v35
	s_delay_alu instid0(VALU_DEP_2) | instskip(NEXT) | instid1(VALU_DEP_1)
	v_and_or_b32 v7, 0x8000, v36, v7
	v_and_or_b32 v7, 0x380, v35, v7
	s_delay_alu instid0(VALU_DEP_1)
	v_cvt_f32_f16_e64 v131, v7
.LBB344_217:                            ;   in Loop: Header=BB344_16 Depth=1
	s_or_b32 exec_lo, exec_lo, s23
.LBB344_218:                            ;   in Loop: Header=BB344_16 Depth=1
	s_delay_alu instid0(SALU_CYCLE_1)
	s_or_b32 exec_lo, exec_lo, s22
.LBB344_219:                            ;   in Loop: Header=BB344_16 Depth=1
	s_delay_alu instid0(SALU_CYCLE_1) | instskip(SKIP_2) | instid1(VALU_DEP_1)
	s_or_b32 exec_lo, exec_lo, s21
	v_lshrrev_b16 v7, 8, v33
	s_mov_b32 s21, exec_lo
	v_cmpx_ne_u16_e32 0, v7
	s_cbranch_execz .LBB344_227
; %bb.220:                              ;   in Loop: Header=BB344_16 Depth=1
	v_bfrev_b32_e32 v132, 1
	s_mov_b32 s22, exec_lo
	v_cmpx_ne_u16_e32 0x80, v7
	s_cbranch_execz .LBB344_226
; %bb.221:                              ;   in Loop: Header=BB344_16 Depth=1
	v_and_b32_e32 v35, 0xffff, v7
	v_mov_b32_e32 v132, 0x7fc02000
	s_mov_b32 s23, exec_lo
	s_delay_alu instid0(VALU_DEP_2) | instskip(NEXT) | instid1(VALU_DEP_1)
	v_and_b32_e32 v133, 0x7f, v35
	v_cmpx_ne_u32_e32 0x7f, v133
	s_cbranch_execz .LBB344_225
; %bb.222:                              ;   in Loop: Header=BB344_16 Depth=1
	v_and_b32_e32 v7, 7, v35
	v_lshrrev_b32_e32 v36, 3, v133
	s_mov_b32 s24, exec_lo
	v_cmpx_gt_u32_e32 8, v133
; %bb.223:                              ;   in Loop: Header=BB344_16 Depth=1
	s_delay_alu instid0(VALU_DEP_3) | instskip(NEXT) | instid1(VALU_DEP_1)
	v_clz_i32_u32_e32 v36, v7
	v_min_u32_e32 v36, 32, v36
	s_delay_alu instid0(VALU_DEP_1) | instskip(SKIP_1) | instid1(VALU_DEP_2)
	v_subrev_nc_u32_e32 v132, 28, v36
	v_sub_nc_u32_e32 v36, 29, v36
	v_lshlrev_b64 v[132:133], v132, v[7:8]
	s_delay_alu instid0(VALU_DEP_1)
	v_and_b32_e32 v7, 7, v132
; %bb.224:                              ;   in Loop: Header=BB344_16 Depth=1
	s_or_b32 exec_lo, exec_lo, s24
	v_lshlrev_b32_e32 v35, 8, v35
	v_lshl_add_u32 v36, v36, 10, 0x2000
	s_delay_alu instid0(VALU_DEP_1) | instskip(NEXT) | instid1(VALU_DEP_1)
	v_and_or_b32 v35, 0x8000, v35, v36
	v_lshl_or_b32 v7, v7, 7, v35
	s_delay_alu instid0(VALU_DEP_1)
	v_cvt_f32_f16_e64 v132, v7
.LBB344_225:                            ;   in Loop: Header=BB344_16 Depth=1
	s_or_b32 exec_lo, exec_lo, s23
.LBB344_226:                            ;   in Loop: Header=BB344_16 Depth=1
	s_delay_alu instid0(SALU_CYCLE_1)
	s_or_b32 exec_lo, exec_lo, s22
.LBB344_227:                            ;   in Loop: Header=BB344_16 Depth=1
	s_delay_alu instid0(SALU_CYCLE_1) | instskip(SKIP_3) | instid1(VALU_DEP_2)
	s_or_b32 exec_lo, exec_lo, s21
	v_lshrrev_b32_e32 v35, 16, v33
	v_mov_b32_e32 v133, 0
	s_mov_b32 s21, exec_lo
	v_dual_mov_b32 v134, 0 :: v_dual_and_b32 v7, 0xff, v35
	s_delay_alu instid0(VALU_DEP_1)
	v_cmpx_ne_u16_e32 0, v7
	s_cbranch_execz .LBB344_235
; %bb.228:                              ;   in Loop: Header=BB344_16 Depth=1
	v_bfrev_b32_e32 v133, 1
	s_mov_b32 s22, exec_lo
	v_cmpx_ne_u16_e32 0x80, v7
	s_cbranch_execz .LBB344_234
; %bb.229:                              ;   in Loop: Header=BB344_16 Depth=1
	v_bfe_u32 v135, v33, 16, 7
	v_mov_b32_e32 v133, 0x7fc02000
	s_mov_b32 s23, exec_lo
	s_delay_alu instid0(VALU_DEP_2)
	v_cmpx_ne_u32_e32 0x7f, v135
	s_cbranch_execz .LBB344_233
; %bb.230:                              ;   in Loop: Header=BB344_16 Depth=1
	v_and_b32_e32 v7, 7, v35
	v_lshrrev_b32_e32 v36, 3, v135
	s_mov_b32 s24, exec_lo
	v_cmpx_gt_u32_e32 8, v135
; %bb.231:                              ;   in Loop: Header=BB344_16 Depth=1
	s_delay_alu instid0(VALU_DEP_3) | instskip(NEXT) | instid1(VALU_DEP_1)
	v_clz_i32_u32_e32 v36, v7
	v_min_u32_e32 v36, 32, v36
	s_delay_alu instid0(VALU_DEP_1) | instskip(SKIP_1) | instid1(VALU_DEP_2)
	v_subrev_nc_u32_e32 v133, 28, v36
	v_sub_nc_u32_e32 v36, 29, v36
	v_lshlrev_b64 v[144:145], v133, v[7:8]
	s_delay_alu instid0(VALU_DEP_1)
	v_and_b32_e32 v7, 7, v144
; %bb.232:                              ;   in Loop: Header=BB344_16 Depth=1
	s_or_b32 exec_lo, exec_lo, s24
	v_lshlrev_b32_e32 v35, 8, v35
	v_lshl_add_u32 v36, v36, 10, 0x2000
	s_delay_alu instid0(VALU_DEP_1) | instskip(NEXT) | instid1(VALU_DEP_1)
	v_and_or_b32 v35, 0x8000, v35, v36
	v_lshl_or_b32 v7, v7, 7, v35
	s_delay_alu instid0(VALU_DEP_1)
	v_cvt_f32_f16_e64 v133, v7
.LBB344_233:                            ;   in Loop: Header=BB344_16 Depth=1
	s_or_b32 exec_lo, exec_lo, s23
.LBB344_234:                            ;   in Loop: Header=BB344_16 Depth=1
	s_delay_alu instid0(SALU_CYCLE_1)
	s_or_b32 exec_lo, exec_lo, s22
.LBB344_235:                            ;   in Loop: Header=BB344_16 Depth=1
	s_delay_alu instid0(SALU_CYCLE_1) | instskip(NEXT) | instid1(SALU_CYCLE_1)
	s_or_b32 exec_lo, exec_lo, s21
	s_mov_b32 s21, exec_lo
	v_cmpx_lt_u32_e32 0xffffff, v33
	s_cbranch_execz .LBB344_243
; %bb.236:                              ;   in Loop: Header=BB344_16 Depth=1
	v_lshrrev_b32_e32 v35, 24, v33
	v_bfrev_b32_e32 v134, 1
	s_mov_b32 s22, exec_lo
	s_delay_alu instid0(VALU_DEP_2)
	v_cmpx_ne_u32_e32 0x80, v35
	s_cbranch_execz .LBB344_242
; %bb.237:                              ;   in Loop: Header=BB344_16 Depth=1
	v_and_b32_e32 v135, 0x7f, v35
	v_mov_b32_e32 v134, 0x7fc02000
	s_mov_b32 s23, exec_lo
	s_delay_alu instid0(VALU_DEP_2)
	v_cmpx_ne_u32_e32 0x7f, v135
	s_cbranch_execz .LBB344_241
; %bb.238:                              ;   in Loop: Header=BB344_16 Depth=1
	v_and_b32_e32 v7, 7, v35
	v_lshrrev_b32_e32 v36, 3, v135
	s_mov_b32 s24, exec_lo
	v_cmpx_gt_u32_e32 8, v135
; %bb.239:                              ;   in Loop: Header=BB344_16 Depth=1
	s_delay_alu instid0(VALU_DEP_3) | instskip(NEXT) | instid1(VALU_DEP_1)
	v_clz_i32_u32_e32 v36, v7
	v_min_u32_e32 v36, 32, v36
	s_delay_alu instid0(VALU_DEP_1) | instskip(SKIP_1) | instid1(VALU_DEP_2)
	v_subrev_nc_u32_e32 v134, 28, v36
	v_sub_nc_u32_e32 v36, 29, v36
	v_lshlrev_b64 v[134:135], v134, v[7:8]
	s_delay_alu instid0(VALU_DEP_1)
	v_and_b32_e32 v7, 7, v134
; %bb.240:                              ;   in Loop: Header=BB344_16 Depth=1
	s_or_b32 exec_lo, exec_lo, s24
	v_lshlrev_b32_e32 v35, 8, v35
	v_lshl_add_u32 v36, v36, 10, 0x2000
	s_delay_alu instid0(VALU_DEP_1) | instskip(NEXT) | instid1(VALU_DEP_1)
	v_and_or_b32 v35, 0x8000, v35, v36
	v_lshl_or_b32 v7, v7, 7, v35
	s_delay_alu instid0(VALU_DEP_1)
	v_cvt_f32_f16_e64 v134, v7
.LBB344_241:                            ;   in Loop: Header=BB344_16 Depth=1
	s_or_b32 exec_lo, exec_lo, s23
.LBB344_242:                            ;   in Loop: Header=BB344_16 Depth=1
	s_delay_alu instid0(SALU_CYCLE_1)
	s_or_b32 exec_lo, exec_lo, s22
.LBB344_243:                            ;   in Loop: Header=BB344_16 Depth=1
	s_delay_alu instid0(SALU_CYCLE_1) | instskip(SKIP_4) | instid1(VALU_DEP_3)
	s_or_b32 exec_lo, exec_lo, s21
	v_dual_mov_b32 v144, 0 :: v_dual_and_b32 v35, 0xff, v34
	v_mov_b32_e32 v7, v34
	v_mov_b32_e32 v135, 0
	s_mov_b32 s21, exec_lo
	v_cmpx_ne_u16_e32 0, v35
	s_cbranch_execz .LBB344_251
; %bb.244:                              ;   in Loop: Header=BB344_16 Depth=1
	v_bfrev_b32_e32 v135, 1
	s_mov_b32 s22, exec_lo
	v_cmpx_ne_u16_e32 0x80, v35
	s_cbranch_execz .LBB344_250
; %bb.245:                              ;   in Loop: Header=BB344_16 Depth=1
	v_and_b32_e32 v35, 0x7f, v34
	v_mov_b32_e32 v135, 0x7fc02000
	s_mov_b32 s23, exec_lo
	s_delay_alu instid0(VALU_DEP_2)
	v_cmpx_ne_u32_e32 0x7f, v35
	s_cbranch_execz .LBB344_249
; %bb.246:                              ;   in Loop: Header=BB344_16 Depth=1
	v_lshrrev_b32_e32 v135, 3, v35
	v_cmp_gt_u32_e64 s1, 8, v35
	v_dual_mov_b32 v36, v8 :: v_dual_mov_b32 v35, v7
	s_delay_alu instid0(VALU_DEP_2)
	s_and_saveexec_b32 s24, s1
; %bb.247:                              ;   in Loop: Header=BB344_16 Depth=1
	v_and_b32_e32 v35, 7, v34
	s_delay_alu instid0(VALU_DEP_1) | instskip(NEXT) | instid1(VALU_DEP_1)
	v_clz_i32_u32_e32 v35, v35
	v_min_u32_e32 v135, 32, v35
	s_delay_alu instid0(VALU_DEP_1) | instskip(SKIP_1) | instid1(VALU_DEP_2)
	v_subrev_nc_u32_e32 v35, 28, v135
	v_sub_nc_u32_e32 v135, 29, v135
	v_lshlrev_b64 v[35:36], v35, v[7:8]
; %bb.248:                              ;   in Loop: Header=BB344_16 Depth=1
	s_or_b32 exec_lo, exec_lo, s24
	v_lshlrev_b32_e32 v36, 8, v34
	s_delay_alu instid0(VALU_DEP_3) | instskip(NEXT) | instid1(VALU_DEP_3)
	v_lshl_add_u32 v135, v135, 10, 0x2000
	v_lshlrev_b32_e32 v35, 7, v35
	s_delay_alu instid0(VALU_DEP_2) | instskip(NEXT) | instid1(VALU_DEP_1)
	v_and_or_b32 v36, 0x8000, v36, v135
	v_and_or_b32 v35, 0x380, v35, v36
	s_delay_alu instid0(VALU_DEP_1)
	v_cvt_f32_f16_e64 v135, v35
.LBB344_249:                            ;   in Loop: Header=BB344_16 Depth=1
	s_or_b32 exec_lo, exec_lo, s23
.LBB344_250:                            ;   in Loop: Header=BB344_16 Depth=1
	s_delay_alu instid0(SALU_CYCLE_1)
	s_or_b32 exec_lo, exec_lo, s22
.LBB344_251:                            ;   in Loop: Header=BB344_16 Depth=1
	s_delay_alu instid0(SALU_CYCLE_1) | instskip(SKIP_2) | instid1(VALU_DEP_1)
	s_or_b32 exec_lo, exec_lo, s21
	v_lshrrev_b16 v7, 8, v7
	s_mov_b32 s21, exec_lo
	v_cmpx_ne_u16_e32 0, v7
	s_cbranch_execz .LBB344_259
; %bb.252:                              ;   in Loop: Header=BB344_16 Depth=1
	v_bfrev_b32_e32 v144, 1
	s_mov_b32 s22, exec_lo
	v_cmpx_ne_u16_e32 0x80, v7
	s_cbranch_execz .LBB344_258
; %bb.253:                              ;   in Loop: Header=BB344_16 Depth=1
	v_and_b32_e32 v35, 0xffff, v7
	v_mov_b32_e32 v144, 0x7fc02000
	s_mov_b32 s23, exec_lo
	s_delay_alu instid0(VALU_DEP_2) | instskip(NEXT) | instid1(VALU_DEP_1)
	v_and_b32_e32 v145, 0x7f, v35
	v_cmpx_ne_u32_e32 0x7f, v145
	s_cbranch_execz .LBB344_257
; %bb.254:                              ;   in Loop: Header=BB344_16 Depth=1
	v_and_b32_e32 v7, 7, v35
	v_lshrrev_b32_e32 v36, 3, v145
	s_mov_b32 s24, exec_lo
	v_cmpx_gt_u32_e32 8, v145
; %bb.255:                              ;   in Loop: Header=BB344_16 Depth=1
	s_delay_alu instid0(VALU_DEP_3) | instskip(NEXT) | instid1(VALU_DEP_1)
	v_clz_i32_u32_e32 v36, v7
	v_min_u32_e32 v36, 32, v36
	s_delay_alu instid0(VALU_DEP_1) | instskip(SKIP_1) | instid1(VALU_DEP_2)
	v_subrev_nc_u32_e32 v144, 28, v36
	v_sub_nc_u32_e32 v36, 29, v36
	v_lshlrev_b64 v[144:145], v144, v[7:8]
	s_delay_alu instid0(VALU_DEP_1)
	v_and_b32_e32 v7, 7, v144
; %bb.256:                              ;   in Loop: Header=BB344_16 Depth=1
	s_or_b32 exec_lo, exec_lo, s24
	v_lshlrev_b32_e32 v35, 8, v35
	v_lshl_add_u32 v36, v36, 10, 0x2000
	s_delay_alu instid0(VALU_DEP_1) | instskip(NEXT) | instid1(VALU_DEP_1)
	v_and_or_b32 v35, 0x8000, v35, v36
	v_lshl_or_b32 v7, v7, 7, v35
	s_delay_alu instid0(VALU_DEP_1)
	v_cvt_f32_f16_e64 v144, v7
.LBB344_257:                            ;   in Loop: Header=BB344_16 Depth=1
	s_or_b32 exec_lo, exec_lo, s23
.LBB344_258:                            ;   in Loop: Header=BB344_16 Depth=1
	s_delay_alu instid0(SALU_CYCLE_1)
	s_or_b32 exec_lo, exec_lo, s22
.LBB344_259:                            ;   in Loop: Header=BB344_16 Depth=1
	s_delay_alu instid0(SALU_CYCLE_1) | instskip(SKIP_3) | instid1(VALU_DEP_2)
	s_or_b32 exec_lo, exec_lo, s21
	v_lshrrev_b32_e32 v35, 16, v34
	v_mov_b32_e32 v145, 0
	s_mov_b32 s21, exec_lo
	v_dual_mov_b32 v146, 0 :: v_dual_and_b32 v7, 0xff, v35
	s_delay_alu instid0(VALU_DEP_1)
	v_cmpx_ne_u16_e32 0, v7
	s_cbranch_execz .LBB344_267
; %bb.260:                              ;   in Loop: Header=BB344_16 Depth=1
	v_bfrev_b32_e32 v146, 1
	s_mov_b32 s22, exec_lo
	v_cmpx_ne_u16_e32 0x80, v7
	s_cbranch_execz .LBB344_266
; %bb.261:                              ;   in Loop: Header=BB344_16 Depth=1
	v_bfe_u32 v147, v34, 16, 7
	v_mov_b32_e32 v146, 0x7fc02000
	s_mov_b32 s23, exec_lo
	s_delay_alu instid0(VALU_DEP_2)
	v_cmpx_ne_u32_e32 0x7f, v147
	s_cbranch_execz .LBB344_265
; %bb.262:                              ;   in Loop: Header=BB344_16 Depth=1
	v_and_b32_e32 v7, 7, v35
	v_lshrrev_b32_e32 v36, 3, v147
	s_mov_b32 s24, exec_lo
	v_cmpx_gt_u32_e32 8, v147
; %bb.263:                              ;   in Loop: Header=BB344_16 Depth=1
	s_delay_alu instid0(VALU_DEP_3) | instskip(NEXT) | instid1(VALU_DEP_1)
	v_clz_i32_u32_e32 v36, v7
	v_min_u32_e32 v36, 32, v36
	s_delay_alu instid0(VALU_DEP_1) | instskip(SKIP_1) | instid1(VALU_DEP_2)
	v_subrev_nc_u32_e32 v146, 28, v36
	v_sub_nc_u32_e32 v36, 29, v36
	v_lshlrev_b64 v[146:147], v146, v[7:8]
	s_delay_alu instid0(VALU_DEP_1)
	v_and_b32_e32 v7, 7, v146
; %bb.264:                              ;   in Loop: Header=BB344_16 Depth=1
	s_or_b32 exec_lo, exec_lo, s24
	v_lshlrev_b32_e32 v35, 8, v35
	v_lshl_add_u32 v36, v36, 10, 0x2000
	s_delay_alu instid0(VALU_DEP_1) | instskip(NEXT) | instid1(VALU_DEP_1)
	v_and_or_b32 v35, 0x8000, v35, v36
	v_lshl_or_b32 v7, v7, 7, v35
	s_delay_alu instid0(VALU_DEP_1)
	v_cvt_f32_f16_e64 v146, v7
.LBB344_265:                            ;   in Loop: Header=BB344_16 Depth=1
	s_or_b32 exec_lo, exec_lo, s23
.LBB344_266:                            ;   in Loop: Header=BB344_16 Depth=1
	s_delay_alu instid0(SALU_CYCLE_1)
	s_or_b32 exec_lo, exec_lo, s22
.LBB344_267:                            ;   in Loop: Header=BB344_16 Depth=1
	s_delay_alu instid0(SALU_CYCLE_1) | instskip(NEXT) | instid1(SALU_CYCLE_1)
	s_or_b32 exec_lo, exec_lo, s21
	s_mov_b32 s21, exec_lo
	v_cmpx_lt_u64_e64 s[8:9], v[33:34]
	s_cbranch_execz .LBB344_275
; %bb.268:                              ;   in Loop: Header=BB344_16 Depth=1
	v_lshrrev_b32_e32 v33, 24, v34
	v_bfrev_b32_e32 v145, 1
	s_mov_b32 s22, exec_lo
	s_delay_alu instid0(VALU_DEP_2)
	v_cmpx_ne_u32_e32 0x80, v33
	s_cbranch_execz .LBB344_274
; %bb.269:                              ;   in Loop: Header=BB344_16 Depth=1
	v_and_b32_e32 v35, 0x7f, v33
	v_mov_b32_e32 v145, 0x7fc02000
	s_mov_b32 s23, exec_lo
	s_delay_alu instid0(VALU_DEP_2)
	v_cmpx_ne_u32_e32 0x7f, v35
	s_cbranch_execz .LBB344_273
; %bb.270:                              ;   in Loop: Header=BB344_16 Depth=1
	v_and_b32_e32 v7, 7, v33
	v_lshrrev_b32_e32 v34, 3, v35
	s_mov_b32 s24, exec_lo
	v_cmpx_gt_u32_e32 8, v35
; %bb.271:                              ;   in Loop: Header=BB344_16 Depth=1
	s_delay_alu instid0(VALU_DEP_3) | instskip(NEXT) | instid1(VALU_DEP_1)
	v_clz_i32_u32_e32 v34, v7
	v_min_u32_e32 v34, 32, v34
	s_delay_alu instid0(VALU_DEP_1) | instskip(SKIP_1) | instid1(VALU_DEP_2)
	v_subrev_nc_u32_e32 v35, 28, v34
	v_sub_nc_u32_e32 v34, 29, v34
	v_lshlrev_b64 v[35:36], v35, v[7:8]
	s_delay_alu instid0(VALU_DEP_1)
	v_and_b32_e32 v7, 7, v35
; %bb.272:                              ;   in Loop: Header=BB344_16 Depth=1
	s_or_b32 exec_lo, exec_lo, s24
	v_lshlrev_b32_e32 v33, 8, v33
	v_lshl_add_u32 v34, v34, 10, 0x2000
	s_delay_alu instid0(VALU_DEP_1) | instskip(NEXT) | instid1(VALU_DEP_1)
	v_and_or_b32 v33, 0x8000, v33, v34
	v_lshl_or_b32 v7, v7, 7, v33
	s_delay_alu instid0(VALU_DEP_1)
	v_cvt_f32_f16_e64 v145, v7
.LBB344_273:                            ;   in Loop: Header=BB344_16 Depth=1
	s_or_b32 exec_lo, exec_lo, s23
.LBB344_274:                            ;   in Loop: Header=BB344_16 Depth=1
	s_delay_alu instid0(SALU_CYCLE_1)
	s_or_b32 exec_lo, exec_lo, s22
.LBB344_275:                            ;   in Loop: Header=BB344_16 Depth=1
	s_delay_alu instid0(SALU_CYCLE_1)
	s_or_b32 exec_lo, exec_lo, s21
	flat_load_b64 v[33:34], v[31:32] offset:1024
	v_mov_b32_e32 v147, 0
	s_mov_b32 s21, exec_lo
	s_waitcnt vmcnt(0) lgkmcnt(0)
	v_dual_mov_b32 v148, 0 :: v_dual_and_b32 v7, 0xff, v33
	s_delay_alu instid0(VALU_DEP_1)
	v_cmpx_ne_u16_e32 0, v7
	s_cbranch_execz .LBB344_283
; %bb.276:                              ;   in Loop: Header=BB344_16 Depth=1
	v_bfrev_b32_e32 v147, 1
	s_mov_b32 s22, exec_lo
	v_cmpx_ne_u16_e32 0x80, v7
	s_cbranch_execz .LBB344_282
; %bb.277:                              ;   in Loop: Header=BB344_16 Depth=1
	v_and_b32_e32 v35, 0x7f, v33
	v_mov_b32_e32 v147, 0x7fc02000
	s_mov_b32 s23, exec_lo
	s_delay_alu instid0(VALU_DEP_2)
	v_cmpx_ne_u32_e32 0x7f, v35
	s_cbranch_execz .LBB344_281
; %bb.278:                              ;   in Loop: Header=BB344_16 Depth=1
	v_lshrrev_b32_e32 v7, 3, v35
	v_cmp_gt_u32_e64 s1, 8, v35
	v_dual_mov_b32 v36, v34 :: v_dual_mov_b32 v35, v33
	s_delay_alu instid0(VALU_DEP_2)
	s_and_saveexec_b32 s24, s1
; %bb.279:                              ;   in Loop: Header=BB344_16 Depth=1
	v_and_b32_e32 v7, 7, v33
	s_delay_alu instid0(VALU_DEP_1) | instskip(NEXT) | instid1(VALU_DEP_1)
	v_clz_i32_u32_e32 v7, v7
	v_min_u32_e32 v7, 32, v7
	s_delay_alu instid0(VALU_DEP_1) | instskip(SKIP_1) | instid1(VALU_DEP_2)
	v_subrev_nc_u32_e32 v35, 28, v7
	v_sub_nc_u32_e32 v7, 29, v7
	v_lshlrev_b64 v[35:36], v35, v[33:34]
; %bb.280:                              ;   in Loop: Header=BB344_16 Depth=1
	s_or_b32 exec_lo, exec_lo, s24
	v_lshlrev_b32_e32 v36, 8, v33
	s_delay_alu instid0(VALU_DEP_3) | instskip(NEXT) | instid1(VALU_DEP_3)
	v_lshl_add_u32 v7, v7, 10, 0x2000
	v_lshlrev_b32_e32 v35, 7, v35
	s_delay_alu instid0(VALU_DEP_2) | instskip(NEXT) | instid1(VALU_DEP_1)
	v_and_or_b32 v7, 0x8000, v36, v7
	v_and_or_b32 v7, 0x380, v35, v7
	s_delay_alu instid0(VALU_DEP_1)
	v_cvt_f32_f16_e64 v147, v7
.LBB344_281:                            ;   in Loop: Header=BB344_16 Depth=1
	s_or_b32 exec_lo, exec_lo, s23
.LBB344_282:                            ;   in Loop: Header=BB344_16 Depth=1
	s_delay_alu instid0(SALU_CYCLE_1)
	s_or_b32 exec_lo, exec_lo, s22
.LBB344_283:                            ;   in Loop: Header=BB344_16 Depth=1
	s_delay_alu instid0(SALU_CYCLE_1) | instskip(SKIP_2) | instid1(VALU_DEP_1)
	s_or_b32 exec_lo, exec_lo, s21
	v_lshrrev_b16 v7, 8, v33
	s_mov_b32 s21, exec_lo
	v_cmpx_ne_u16_e32 0, v7
	s_cbranch_execz .LBB344_291
; %bb.284:                              ;   in Loop: Header=BB344_16 Depth=1
	v_bfrev_b32_e32 v148, 1
	s_mov_b32 s22, exec_lo
	v_cmpx_ne_u16_e32 0x80, v7
	s_cbranch_execz .LBB344_290
; %bb.285:                              ;   in Loop: Header=BB344_16 Depth=1
	v_and_b32_e32 v35, 0xffff, v7
	v_mov_b32_e32 v148, 0x7fc02000
	s_mov_b32 s23, exec_lo
	s_delay_alu instid0(VALU_DEP_2) | instskip(NEXT) | instid1(VALU_DEP_1)
	v_and_b32_e32 v149, 0x7f, v35
	v_cmpx_ne_u32_e32 0x7f, v149
	s_cbranch_execz .LBB344_289
; %bb.286:                              ;   in Loop: Header=BB344_16 Depth=1
	v_and_b32_e32 v7, 7, v35
	v_lshrrev_b32_e32 v36, 3, v149
	s_mov_b32 s24, exec_lo
	v_cmpx_gt_u32_e32 8, v149
; %bb.287:                              ;   in Loop: Header=BB344_16 Depth=1
	s_delay_alu instid0(VALU_DEP_3) | instskip(NEXT) | instid1(VALU_DEP_1)
	v_clz_i32_u32_e32 v36, v7
	v_min_u32_e32 v36, 32, v36
	s_delay_alu instid0(VALU_DEP_1) | instskip(SKIP_1) | instid1(VALU_DEP_2)
	v_subrev_nc_u32_e32 v148, 28, v36
	v_sub_nc_u32_e32 v36, 29, v36
	v_lshlrev_b64 v[148:149], v148, v[7:8]
	s_delay_alu instid0(VALU_DEP_1)
	v_and_b32_e32 v7, 7, v148
; %bb.288:                              ;   in Loop: Header=BB344_16 Depth=1
	s_or_b32 exec_lo, exec_lo, s24
	v_lshlrev_b32_e32 v35, 8, v35
	v_lshl_add_u32 v36, v36, 10, 0x2000
	s_delay_alu instid0(VALU_DEP_1) | instskip(NEXT) | instid1(VALU_DEP_1)
	v_and_or_b32 v35, 0x8000, v35, v36
	v_lshl_or_b32 v7, v7, 7, v35
	s_delay_alu instid0(VALU_DEP_1)
	v_cvt_f32_f16_e64 v148, v7
.LBB344_289:                            ;   in Loop: Header=BB344_16 Depth=1
	s_or_b32 exec_lo, exec_lo, s23
.LBB344_290:                            ;   in Loop: Header=BB344_16 Depth=1
	s_delay_alu instid0(SALU_CYCLE_1)
	s_or_b32 exec_lo, exec_lo, s22
.LBB344_291:                            ;   in Loop: Header=BB344_16 Depth=1
	s_delay_alu instid0(SALU_CYCLE_1) | instskip(SKIP_3) | instid1(VALU_DEP_2)
	s_or_b32 exec_lo, exec_lo, s21
	v_lshrrev_b32_e32 v35, 16, v33
	v_mov_b32_e32 v149, 0
	s_mov_b32 s21, exec_lo
	v_dual_mov_b32 v150, 0 :: v_dual_and_b32 v7, 0xff, v35
	s_delay_alu instid0(VALU_DEP_1)
	v_cmpx_ne_u16_e32 0, v7
	s_cbranch_execz .LBB344_299
; %bb.292:                              ;   in Loop: Header=BB344_16 Depth=1
	v_bfrev_b32_e32 v149, 1
	s_mov_b32 s22, exec_lo
	v_cmpx_ne_u16_e32 0x80, v7
	s_cbranch_execz .LBB344_298
; %bb.293:                              ;   in Loop: Header=BB344_16 Depth=1
	v_bfe_u32 v151, v33, 16, 7
	v_mov_b32_e32 v149, 0x7fc02000
	s_mov_b32 s23, exec_lo
	s_delay_alu instid0(VALU_DEP_2)
	v_cmpx_ne_u32_e32 0x7f, v151
	s_cbranch_execz .LBB344_297
; %bb.294:                              ;   in Loop: Header=BB344_16 Depth=1
	v_and_b32_e32 v7, 7, v35
	v_lshrrev_b32_e32 v36, 3, v151
	s_mov_b32 s24, exec_lo
	v_cmpx_gt_u32_e32 8, v151
; %bb.295:                              ;   in Loop: Header=BB344_16 Depth=1
	s_delay_alu instid0(VALU_DEP_3) | instskip(NEXT) | instid1(VALU_DEP_1)
	v_clz_i32_u32_e32 v36, v7
	v_min_u32_e32 v36, 32, v36
	s_delay_alu instid0(VALU_DEP_1) | instskip(SKIP_1) | instid1(VALU_DEP_2)
	v_subrev_nc_u32_e32 v149, 28, v36
	v_sub_nc_u32_e32 v36, 29, v36
	v_lshlrev_b64 v[160:161], v149, v[7:8]
	s_delay_alu instid0(VALU_DEP_1)
	v_and_b32_e32 v7, 7, v160
; %bb.296:                              ;   in Loop: Header=BB344_16 Depth=1
	s_or_b32 exec_lo, exec_lo, s24
	v_lshlrev_b32_e32 v35, 8, v35
	v_lshl_add_u32 v36, v36, 10, 0x2000
	s_delay_alu instid0(VALU_DEP_1) | instskip(NEXT) | instid1(VALU_DEP_1)
	v_and_or_b32 v35, 0x8000, v35, v36
	v_lshl_or_b32 v7, v7, 7, v35
	s_delay_alu instid0(VALU_DEP_1)
	v_cvt_f32_f16_e64 v149, v7
.LBB344_297:                            ;   in Loop: Header=BB344_16 Depth=1
	s_or_b32 exec_lo, exec_lo, s23
.LBB344_298:                            ;   in Loop: Header=BB344_16 Depth=1
	s_delay_alu instid0(SALU_CYCLE_1)
	s_or_b32 exec_lo, exec_lo, s22
.LBB344_299:                            ;   in Loop: Header=BB344_16 Depth=1
	s_delay_alu instid0(SALU_CYCLE_1) | instskip(NEXT) | instid1(SALU_CYCLE_1)
	s_or_b32 exec_lo, exec_lo, s21
	s_mov_b32 s21, exec_lo
	v_cmpx_lt_u32_e32 0xffffff, v33
	s_cbranch_execz .LBB344_307
; %bb.300:                              ;   in Loop: Header=BB344_16 Depth=1
	v_lshrrev_b32_e32 v35, 24, v33
	v_bfrev_b32_e32 v150, 1
	s_mov_b32 s22, exec_lo
	s_delay_alu instid0(VALU_DEP_2)
	v_cmpx_ne_u32_e32 0x80, v35
	s_cbranch_execz .LBB344_306
; %bb.301:                              ;   in Loop: Header=BB344_16 Depth=1
	v_and_b32_e32 v151, 0x7f, v35
	v_mov_b32_e32 v150, 0x7fc02000
	s_mov_b32 s23, exec_lo
	s_delay_alu instid0(VALU_DEP_2)
	v_cmpx_ne_u32_e32 0x7f, v151
	s_cbranch_execz .LBB344_305
; %bb.302:                              ;   in Loop: Header=BB344_16 Depth=1
	v_and_b32_e32 v7, 7, v35
	v_lshrrev_b32_e32 v36, 3, v151
	s_mov_b32 s24, exec_lo
	v_cmpx_gt_u32_e32 8, v151
; %bb.303:                              ;   in Loop: Header=BB344_16 Depth=1
	s_delay_alu instid0(VALU_DEP_3) | instskip(NEXT) | instid1(VALU_DEP_1)
	v_clz_i32_u32_e32 v36, v7
	v_min_u32_e32 v36, 32, v36
	s_delay_alu instid0(VALU_DEP_1) | instskip(SKIP_1) | instid1(VALU_DEP_2)
	v_subrev_nc_u32_e32 v150, 28, v36
	v_sub_nc_u32_e32 v36, 29, v36
	v_lshlrev_b64 v[150:151], v150, v[7:8]
	s_delay_alu instid0(VALU_DEP_1)
	v_and_b32_e32 v7, 7, v150
; %bb.304:                              ;   in Loop: Header=BB344_16 Depth=1
	s_or_b32 exec_lo, exec_lo, s24
	v_lshlrev_b32_e32 v35, 8, v35
	v_lshl_add_u32 v36, v36, 10, 0x2000
	s_delay_alu instid0(VALU_DEP_1) | instskip(NEXT) | instid1(VALU_DEP_1)
	v_and_or_b32 v35, 0x8000, v35, v36
	v_lshl_or_b32 v7, v7, 7, v35
	s_delay_alu instid0(VALU_DEP_1)
	v_cvt_f32_f16_e64 v150, v7
.LBB344_305:                            ;   in Loop: Header=BB344_16 Depth=1
	s_or_b32 exec_lo, exec_lo, s23
.LBB344_306:                            ;   in Loop: Header=BB344_16 Depth=1
	s_delay_alu instid0(SALU_CYCLE_1)
	s_or_b32 exec_lo, exec_lo, s22
.LBB344_307:                            ;   in Loop: Header=BB344_16 Depth=1
	s_delay_alu instid0(SALU_CYCLE_1) | instskip(SKIP_4) | instid1(VALU_DEP_3)
	s_or_b32 exec_lo, exec_lo, s21
	v_dual_mov_b32 v160, 0 :: v_dual_and_b32 v35, 0xff, v34
	v_mov_b32_e32 v7, v34
	v_mov_b32_e32 v151, 0
	s_mov_b32 s21, exec_lo
	v_cmpx_ne_u16_e32 0, v35
	s_cbranch_execz .LBB344_315
; %bb.308:                              ;   in Loop: Header=BB344_16 Depth=1
	v_bfrev_b32_e32 v151, 1
	s_mov_b32 s22, exec_lo
	v_cmpx_ne_u16_e32 0x80, v35
	s_cbranch_execz .LBB344_314
; %bb.309:                              ;   in Loop: Header=BB344_16 Depth=1
	v_and_b32_e32 v35, 0x7f, v34
	v_mov_b32_e32 v151, 0x7fc02000
	s_mov_b32 s23, exec_lo
	s_delay_alu instid0(VALU_DEP_2)
	v_cmpx_ne_u32_e32 0x7f, v35
	s_cbranch_execz .LBB344_313
; %bb.310:                              ;   in Loop: Header=BB344_16 Depth=1
	v_lshrrev_b32_e32 v151, 3, v35
	v_cmp_gt_u32_e64 s1, 8, v35
	v_dual_mov_b32 v36, v8 :: v_dual_mov_b32 v35, v7
	s_delay_alu instid0(VALU_DEP_2)
	s_and_saveexec_b32 s24, s1
; %bb.311:                              ;   in Loop: Header=BB344_16 Depth=1
	v_and_b32_e32 v35, 7, v34
	s_delay_alu instid0(VALU_DEP_1) | instskip(NEXT) | instid1(VALU_DEP_1)
	v_clz_i32_u32_e32 v35, v35
	v_min_u32_e32 v151, 32, v35
	s_delay_alu instid0(VALU_DEP_1) | instskip(SKIP_1) | instid1(VALU_DEP_2)
	v_subrev_nc_u32_e32 v35, 28, v151
	v_sub_nc_u32_e32 v151, 29, v151
	v_lshlrev_b64 v[35:36], v35, v[7:8]
; %bb.312:                              ;   in Loop: Header=BB344_16 Depth=1
	s_or_b32 exec_lo, exec_lo, s24
	v_lshlrev_b32_e32 v36, 8, v34
	s_delay_alu instid0(VALU_DEP_3) | instskip(NEXT) | instid1(VALU_DEP_3)
	v_lshl_add_u32 v151, v151, 10, 0x2000
	v_lshlrev_b32_e32 v35, 7, v35
	s_delay_alu instid0(VALU_DEP_2) | instskip(NEXT) | instid1(VALU_DEP_1)
	v_and_or_b32 v36, 0x8000, v36, v151
	v_and_or_b32 v35, 0x380, v35, v36
	s_delay_alu instid0(VALU_DEP_1)
	v_cvt_f32_f16_e64 v151, v35
.LBB344_313:                            ;   in Loop: Header=BB344_16 Depth=1
	s_or_b32 exec_lo, exec_lo, s23
.LBB344_314:                            ;   in Loop: Header=BB344_16 Depth=1
	s_delay_alu instid0(SALU_CYCLE_1)
	s_or_b32 exec_lo, exec_lo, s22
.LBB344_315:                            ;   in Loop: Header=BB344_16 Depth=1
	s_delay_alu instid0(SALU_CYCLE_1) | instskip(SKIP_2) | instid1(VALU_DEP_1)
	s_or_b32 exec_lo, exec_lo, s21
	v_lshrrev_b16 v7, 8, v7
	s_mov_b32 s21, exec_lo
	v_cmpx_ne_u16_e32 0, v7
	s_cbranch_execz .LBB344_323
; %bb.316:                              ;   in Loop: Header=BB344_16 Depth=1
	v_bfrev_b32_e32 v160, 1
	s_mov_b32 s22, exec_lo
	v_cmpx_ne_u16_e32 0x80, v7
	s_cbranch_execz .LBB344_322
; %bb.317:                              ;   in Loop: Header=BB344_16 Depth=1
	v_and_b32_e32 v35, 0xffff, v7
	v_mov_b32_e32 v160, 0x7fc02000
	s_mov_b32 s23, exec_lo
	s_delay_alu instid0(VALU_DEP_2) | instskip(NEXT) | instid1(VALU_DEP_1)
	v_and_b32_e32 v161, 0x7f, v35
	v_cmpx_ne_u32_e32 0x7f, v161
	s_cbranch_execz .LBB344_321
; %bb.318:                              ;   in Loop: Header=BB344_16 Depth=1
	v_and_b32_e32 v7, 7, v35
	v_lshrrev_b32_e32 v36, 3, v161
	s_mov_b32 s24, exec_lo
	v_cmpx_gt_u32_e32 8, v161
; %bb.319:                              ;   in Loop: Header=BB344_16 Depth=1
	s_delay_alu instid0(VALU_DEP_3) | instskip(NEXT) | instid1(VALU_DEP_1)
	v_clz_i32_u32_e32 v36, v7
	v_min_u32_e32 v36, 32, v36
	s_delay_alu instid0(VALU_DEP_1) | instskip(SKIP_1) | instid1(VALU_DEP_2)
	v_subrev_nc_u32_e32 v160, 28, v36
	v_sub_nc_u32_e32 v36, 29, v36
	v_lshlrev_b64 v[160:161], v160, v[7:8]
	s_delay_alu instid0(VALU_DEP_1)
	v_and_b32_e32 v7, 7, v160
; %bb.320:                              ;   in Loop: Header=BB344_16 Depth=1
	s_or_b32 exec_lo, exec_lo, s24
	v_lshlrev_b32_e32 v35, 8, v35
	v_lshl_add_u32 v36, v36, 10, 0x2000
	s_delay_alu instid0(VALU_DEP_1) | instskip(NEXT) | instid1(VALU_DEP_1)
	v_and_or_b32 v35, 0x8000, v35, v36
	v_lshl_or_b32 v7, v7, 7, v35
	s_delay_alu instid0(VALU_DEP_1)
	v_cvt_f32_f16_e64 v160, v7
.LBB344_321:                            ;   in Loop: Header=BB344_16 Depth=1
	s_or_b32 exec_lo, exec_lo, s23
.LBB344_322:                            ;   in Loop: Header=BB344_16 Depth=1
	s_delay_alu instid0(SALU_CYCLE_1)
	s_or_b32 exec_lo, exec_lo, s22
.LBB344_323:                            ;   in Loop: Header=BB344_16 Depth=1
	s_delay_alu instid0(SALU_CYCLE_1) | instskip(SKIP_3) | instid1(VALU_DEP_2)
	s_or_b32 exec_lo, exec_lo, s21
	v_lshrrev_b32_e32 v35, 16, v34
	v_mov_b32_e32 v161, 0
	s_mov_b32 s21, exec_lo
	v_dual_mov_b32 v162, 0 :: v_dual_and_b32 v7, 0xff, v35
	s_delay_alu instid0(VALU_DEP_1)
	v_cmpx_ne_u16_e32 0, v7
	s_cbranch_execz .LBB344_331
; %bb.324:                              ;   in Loop: Header=BB344_16 Depth=1
	v_bfrev_b32_e32 v162, 1
	s_mov_b32 s22, exec_lo
	v_cmpx_ne_u16_e32 0x80, v7
	s_cbranch_execz .LBB344_330
; %bb.325:                              ;   in Loop: Header=BB344_16 Depth=1
	v_bfe_u32 v163, v34, 16, 7
	v_mov_b32_e32 v162, 0x7fc02000
	s_mov_b32 s23, exec_lo
	s_delay_alu instid0(VALU_DEP_2)
	v_cmpx_ne_u32_e32 0x7f, v163
	s_cbranch_execz .LBB344_329
; %bb.326:                              ;   in Loop: Header=BB344_16 Depth=1
	v_and_b32_e32 v7, 7, v35
	v_lshrrev_b32_e32 v36, 3, v163
	s_mov_b32 s24, exec_lo
	v_cmpx_gt_u32_e32 8, v163
; %bb.327:                              ;   in Loop: Header=BB344_16 Depth=1
	s_delay_alu instid0(VALU_DEP_3) | instskip(NEXT) | instid1(VALU_DEP_1)
	v_clz_i32_u32_e32 v36, v7
	v_min_u32_e32 v36, 32, v36
	s_delay_alu instid0(VALU_DEP_1) | instskip(SKIP_1) | instid1(VALU_DEP_2)
	v_subrev_nc_u32_e32 v162, 28, v36
	v_sub_nc_u32_e32 v36, 29, v36
	v_lshlrev_b64 v[162:163], v162, v[7:8]
	s_delay_alu instid0(VALU_DEP_1)
	v_and_b32_e32 v7, 7, v162
; %bb.328:                              ;   in Loop: Header=BB344_16 Depth=1
	s_or_b32 exec_lo, exec_lo, s24
	v_lshlrev_b32_e32 v35, 8, v35
	v_lshl_add_u32 v36, v36, 10, 0x2000
	s_delay_alu instid0(VALU_DEP_1) | instskip(NEXT) | instid1(VALU_DEP_1)
	v_and_or_b32 v35, 0x8000, v35, v36
	v_lshl_or_b32 v7, v7, 7, v35
	s_delay_alu instid0(VALU_DEP_1)
	v_cvt_f32_f16_e64 v162, v7
.LBB344_329:                            ;   in Loop: Header=BB344_16 Depth=1
	s_or_b32 exec_lo, exec_lo, s23
.LBB344_330:                            ;   in Loop: Header=BB344_16 Depth=1
	s_delay_alu instid0(SALU_CYCLE_1)
	s_or_b32 exec_lo, exec_lo, s22
.LBB344_331:                            ;   in Loop: Header=BB344_16 Depth=1
	s_delay_alu instid0(SALU_CYCLE_1) | instskip(NEXT) | instid1(SALU_CYCLE_1)
	s_or_b32 exec_lo, exec_lo, s21
	s_mov_b32 s21, exec_lo
	v_cmpx_lt_u64_e64 s[8:9], v[33:34]
	s_cbranch_execz .LBB344_339
; %bb.332:                              ;   in Loop: Header=BB344_16 Depth=1
	v_lshrrev_b32_e32 v33, 24, v34
	v_bfrev_b32_e32 v161, 1
	s_mov_b32 s22, exec_lo
	s_delay_alu instid0(VALU_DEP_2)
	v_cmpx_ne_u32_e32 0x80, v33
	s_cbranch_execz .LBB344_338
; %bb.333:                              ;   in Loop: Header=BB344_16 Depth=1
	v_and_b32_e32 v35, 0x7f, v33
	v_mov_b32_e32 v161, 0x7fc02000
	s_mov_b32 s23, exec_lo
	s_delay_alu instid0(VALU_DEP_2)
	v_cmpx_ne_u32_e32 0x7f, v35
	s_cbranch_execz .LBB344_337
; %bb.334:                              ;   in Loop: Header=BB344_16 Depth=1
	v_and_b32_e32 v7, 7, v33
	v_lshrrev_b32_e32 v34, 3, v35
	s_mov_b32 s24, exec_lo
	v_cmpx_gt_u32_e32 8, v35
; %bb.335:                              ;   in Loop: Header=BB344_16 Depth=1
	s_delay_alu instid0(VALU_DEP_3) | instskip(NEXT) | instid1(VALU_DEP_1)
	v_clz_i32_u32_e32 v34, v7
	v_min_u32_e32 v34, 32, v34
	s_delay_alu instid0(VALU_DEP_1) | instskip(SKIP_1) | instid1(VALU_DEP_2)
	v_subrev_nc_u32_e32 v35, 28, v34
	v_sub_nc_u32_e32 v34, 29, v34
	v_lshlrev_b64 v[35:36], v35, v[7:8]
	s_delay_alu instid0(VALU_DEP_1)
	v_and_b32_e32 v7, 7, v35
; %bb.336:                              ;   in Loop: Header=BB344_16 Depth=1
	s_or_b32 exec_lo, exec_lo, s24
	v_lshlrev_b32_e32 v33, 8, v33
	v_lshl_add_u32 v34, v34, 10, 0x2000
	s_delay_alu instid0(VALU_DEP_1) | instskip(NEXT) | instid1(VALU_DEP_1)
	v_and_or_b32 v33, 0x8000, v33, v34
	v_lshl_or_b32 v7, v7, 7, v33
	s_delay_alu instid0(VALU_DEP_1)
	v_cvt_f32_f16_e64 v161, v7
.LBB344_337:                            ;   in Loop: Header=BB344_16 Depth=1
	s_or_b32 exec_lo, exec_lo, s23
.LBB344_338:                            ;   in Loop: Header=BB344_16 Depth=1
	s_delay_alu instid0(SALU_CYCLE_1)
	s_or_b32 exec_lo, exec_lo, s22
.LBB344_339:                            ;   in Loop: Header=BB344_16 Depth=1
	s_delay_alu instid0(SALU_CYCLE_1)
	s_or_b32 exec_lo, exec_lo, s21
	flat_load_b64 v[33:34], v[31:32] offset:1032
	v_mov_b32_e32 v163, 0
	s_mov_b32 s21, exec_lo
	s_waitcnt vmcnt(0) lgkmcnt(0)
	v_dual_mov_b32 v164, 0 :: v_dual_and_b32 v7, 0xff, v33
	s_delay_alu instid0(VALU_DEP_1)
	v_cmpx_ne_u16_e32 0, v7
	s_cbranch_execz .LBB344_347
; %bb.340:                              ;   in Loop: Header=BB344_16 Depth=1
	v_bfrev_b32_e32 v163, 1
	s_mov_b32 s22, exec_lo
	v_cmpx_ne_u16_e32 0x80, v7
	s_cbranch_execz .LBB344_346
; %bb.341:                              ;   in Loop: Header=BB344_16 Depth=1
	v_and_b32_e32 v35, 0x7f, v33
	v_mov_b32_e32 v163, 0x7fc02000
	s_mov_b32 s23, exec_lo
	s_delay_alu instid0(VALU_DEP_2)
	v_cmpx_ne_u32_e32 0x7f, v35
	s_cbranch_execz .LBB344_345
; %bb.342:                              ;   in Loop: Header=BB344_16 Depth=1
	v_lshrrev_b32_e32 v7, 3, v35
	v_cmp_gt_u32_e64 s1, 8, v35
	v_dual_mov_b32 v36, v34 :: v_dual_mov_b32 v35, v33
	s_delay_alu instid0(VALU_DEP_2)
	s_and_saveexec_b32 s24, s1
; %bb.343:                              ;   in Loop: Header=BB344_16 Depth=1
	v_and_b32_e32 v7, 7, v33
	s_delay_alu instid0(VALU_DEP_1) | instskip(NEXT) | instid1(VALU_DEP_1)
	v_clz_i32_u32_e32 v7, v7
	v_min_u32_e32 v7, 32, v7
	s_delay_alu instid0(VALU_DEP_1) | instskip(SKIP_1) | instid1(VALU_DEP_2)
	v_subrev_nc_u32_e32 v35, 28, v7
	v_sub_nc_u32_e32 v7, 29, v7
	v_lshlrev_b64 v[35:36], v35, v[33:34]
; %bb.344:                              ;   in Loop: Header=BB344_16 Depth=1
	s_or_b32 exec_lo, exec_lo, s24
	v_lshlrev_b32_e32 v36, 8, v33
	s_delay_alu instid0(VALU_DEP_3) | instskip(NEXT) | instid1(VALU_DEP_3)
	v_lshl_add_u32 v7, v7, 10, 0x2000
	v_lshlrev_b32_e32 v35, 7, v35
	s_delay_alu instid0(VALU_DEP_2) | instskip(NEXT) | instid1(VALU_DEP_1)
	v_and_or_b32 v7, 0x8000, v36, v7
	v_and_or_b32 v7, 0x380, v35, v7
	s_delay_alu instid0(VALU_DEP_1)
	v_cvt_f32_f16_e64 v163, v7
.LBB344_345:                            ;   in Loop: Header=BB344_16 Depth=1
	s_or_b32 exec_lo, exec_lo, s23
.LBB344_346:                            ;   in Loop: Header=BB344_16 Depth=1
	s_delay_alu instid0(SALU_CYCLE_1)
	s_or_b32 exec_lo, exec_lo, s22
.LBB344_347:                            ;   in Loop: Header=BB344_16 Depth=1
	s_delay_alu instid0(SALU_CYCLE_1) | instskip(SKIP_2) | instid1(VALU_DEP_1)
	s_or_b32 exec_lo, exec_lo, s21
	v_lshrrev_b16 v7, 8, v33
	s_mov_b32 s21, exec_lo
	v_cmpx_ne_u16_e32 0, v7
	s_cbranch_execz .LBB344_355
; %bb.348:                              ;   in Loop: Header=BB344_16 Depth=1
	v_bfrev_b32_e32 v164, 1
	s_mov_b32 s22, exec_lo
	v_cmpx_ne_u16_e32 0x80, v7
	s_cbranch_execz .LBB344_354
; %bb.349:                              ;   in Loop: Header=BB344_16 Depth=1
	v_and_b32_e32 v35, 0xffff, v7
	v_mov_b32_e32 v164, 0x7fc02000
	s_mov_b32 s23, exec_lo
	s_delay_alu instid0(VALU_DEP_2) | instskip(NEXT) | instid1(VALU_DEP_1)
	v_and_b32_e32 v165, 0x7f, v35
	v_cmpx_ne_u32_e32 0x7f, v165
	s_cbranch_execz .LBB344_353
; %bb.350:                              ;   in Loop: Header=BB344_16 Depth=1
	v_and_b32_e32 v7, 7, v35
	v_lshrrev_b32_e32 v36, 3, v165
	s_mov_b32 s24, exec_lo
	v_cmpx_gt_u32_e32 8, v165
; %bb.351:                              ;   in Loop: Header=BB344_16 Depth=1
	s_delay_alu instid0(VALU_DEP_3) | instskip(NEXT) | instid1(VALU_DEP_1)
	v_clz_i32_u32_e32 v36, v7
	v_min_u32_e32 v36, 32, v36
	s_delay_alu instid0(VALU_DEP_1) | instskip(SKIP_1) | instid1(VALU_DEP_2)
	v_subrev_nc_u32_e32 v164, 28, v36
	v_sub_nc_u32_e32 v36, 29, v36
	v_lshlrev_b64 v[164:165], v164, v[7:8]
	s_delay_alu instid0(VALU_DEP_1)
	v_and_b32_e32 v7, 7, v164
; %bb.352:                              ;   in Loop: Header=BB344_16 Depth=1
	s_or_b32 exec_lo, exec_lo, s24
	v_lshlrev_b32_e32 v35, 8, v35
	v_lshl_add_u32 v36, v36, 10, 0x2000
	s_delay_alu instid0(VALU_DEP_1) | instskip(NEXT) | instid1(VALU_DEP_1)
	v_and_or_b32 v35, 0x8000, v35, v36
	v_lshl_or_b32 v7, v7, 7, v35
	s_delay_alu instid0(VALU_DEP_1)
	v_cvt_f32_f16_e64 v164, v7
.LBB344_353:                            ;   in Loop: Header=BB344_16 Depth=1
	s_or_b32 exec_lo, exec_lo, s23
.LBB344_354:                            ;   in Loop: Header=BB344_16 Depth=1
	s_delay_alu instid0(SALU_CYCLE_1)
	s_or_b32 exec_lo, exec_lo, s22
.LBB344_355:                            ;   in Loop: Header=BB344_16 Depth=1
	s_delay_alu instid0(SALU_CYCLE_1) | instskip(SKIP_3) | instid1(VALU_DEP_2)
	s_or_b32 exec_lo, exec_lo, s21
	v_lshrrev_b32_e32 v35, 16, v33
	v_mov_b32_e32 v165, 0
	s_mov_b32 s21, exec_lo
	v_dual_mov_b32 v166, 0 :: v_dual_and_b32 v7, 0xff, v35
	s_delay_alu instid0(VALU_DEP_1)
	v_cmpx_ne_u16_e32 0, v7
	s_cbranch_execz .LBB344_363
; %bb.356:                              ;   in Loop: Header=BB344_16 Depth=1
	v_bfrev_b32_e32 v165, 1
	s_mov_b32 s22, exec_lo
	v_cmpx_ne_u16_e32 0x80, v7
	s_cbranch_execz .LBB344_362
; %bb.357:                              ;   in Loop: Header=BB344_16 Depth=1
	v_bfe_u32 v167, v33, 16, 7
	v_mov_b32_e32 v165, 0x7fc02000
	s_mov_b32 s23, exec_lo
	s_delay_alu instid0(VALU_DEP_2)
	v_cmpx_ne_u32_e32 0x7f, v167
	s_cbranch_execz .LBB344_361
; %bb.358:                              ;   in Loop: Header=BB344_16 Depth=1
	v_and_b32_e32 v7, 7, v35
	v_lshrrev_b32_e32 v36, 3, v167
	s_mov_b32 s24, exec_lo
	v_cmpx_gt_u32_e32 8, v167
; %bb.359:                              ;   in Loop: Header=BB344_16 Depth=1
	s_delay_alu instid0(VALU_DEP_3) | instskip(NEXT) | instid1(VALU_DEP_1)
	v_clz_i32_u32_e32 v36, v7
	v_min_u32_e32 v36, 32, v36
	s_delay_alu instid0(VALU_DEP_1) | instskip(SKIP_1) | instid1(VALU_DEP_2)
	v_subrev_nc_u32_e32 v165, 28, v36
	v_sub_nc_u32_e32 v36, 29, v36
	v_lshlrev_b64 v[176:177], v165, v[7:8]
	s_delay_alu instid0(VALU_DEP_1)
	v_and_b32_e32 v7, 7, v176
; %bb.360:                              ;   in Loop: Header=BB344_16 Depth=1
	s_or_b32 exec_lo, exec_lo, s24
	v_lshlrev_b32_e32 v35, 8, v35
	v_lshl_add_u32 v36, v36, 10, 0x2000
	s_delay_alu instid0(VALU_DEP_1) | instskip(NEXT) | instid1(VALU_DEP_1)
	v_and_or_b32 v35, 0x8000, v35, v36
	v_lshl_or_b32 v7, v7, 7, v35
	s_delay_alu instid0(VALU_DEP_1)
	v_cvt_f32_f16_e64 v165, v7
.LBB344_361:                            ;   in Loop: Header=BB344_16 Depth=1
	s_or_b32 exec_lo, exec_lo, s23
.LBB344_362:                            ;   in Loop: Header=BB344_16 Depth=1
	s_delay_alu instid0(SALU_CYCLE_1)
	s_or_b32 exec_lo, exec_lo, s22
.LBB344_363:                            ;   in Loop: Header=BB344_16 Depth=1
	s_delay_alu instid0(SALU_CYCLE_1) | instskip(NEXT) | instid1(SALU_CYCLE_1)
	s_or_b32 exec_lo, exec_lo, s21
	s_mov_b32 s21, exec_lo
	v_cmpx_lt_u32_e32 0xffffff, v33
	s_cbranch_execz .LBB344_371
; %bb.364:                              ;   in Loop: Header=BB344_16 Depth=1
	v_lshrrev_b32_e32 v35, 24, v33
	v_bfrev_b32_e32 v166, 1
	s_mov_b32 s22, exec_lo
	s_delay_alu instid0(VALU_DEP_2)
	v_cmpx_ne_u32_e32 0x80, v35
	s_cbranch_execz .LBB344_370
; %bb.365:                              ;   in Loop: Header=BB344_16 Depth=1
	v_and_b32_e32 v167, 0x7f, v35
	v_mov_b32_e32 v166, 0x7fc02000
	s_mov_b32 s23, exec_lo
	s_delay_alu instid0(VALU_DEP_2)
	v_cmpx_ne_u32_e32 0x7f, v167
	s_cbranch_execz .LBB344_369
; %bb.366:                              ;   in Loop: Header=BB344_16 Depth=1
	v_and_b32_e32 v7, 7, v35
	v_lshrrev_b32_e32 v36, 3, v167
	s_mov_b32 s24, exec_lo
	v_cmpx_gt_u32_e32 8, v167
; %bb.367:                              ;   in Loop: Header=BB344_16 Depth=1
	s_delay_alu instid0(VALU_DEP_3) | instskip(NEXT) | instid1(VALU_DEP_1)
	v_clz_i32_u32_e32 v36, v7
	v_min_u32_e32 v36, 32, v36
	s_delay_alu instid0(VALU_DEP_1) | instskip(SKIP_1) | instid1(VALU_DEP_2)
	v_subrev_nc_u32_e32 v166, 28, v36
	v_sub_nc_u32_e32 v36, 29, v36
	v_lshlrev_b64 v[166:167], v166, v[7:8]
	s_delay_alu instid0(VALU_DEP_1)
	v_and_b32_e32 v7, 7, v166
; %bb.368:                              ;   in Loop: Header=BB344_16 Depth=1
	s_or_b32 exec_lo, exec_lo, s24
	v_lshlrev_b32_e32 v35, 8, v35
	v_lshl_add_u32 v36, v36, 10, 0x2000
	s_delay_alu instid0(VALU_DEP_1) | instskip(NEXT) | instid1(VALU_DEP_1)
	v_and_or_b32 v35, 0x8000, v35, v36
	v_lshl_or_b32 v7, v7, 7, v35
	s_delay_alu instid0(VALU_DEP_1)
	v_cvt_f32_f16_e64 v166, v7
.LBB344_369:                            ;   in Loop: Header=BB344_16 Depth=1
	s_or_b32 exec_lo, exec_lo, s23
.LBB344_370:                            ;   in Loop: Header=BB344_16 Depth=1
	s_delay_alu instid0(SALU_CYCLE_1)
	s_or_b32 exec_lo, exec_lo, s22
.LBB344_371:                            ;   in Loop: Header=BB344_16 Depth=1
	s_delay_alu instid0(SALU_CYCLE_1) | instskip(SKIP_4) | instid1(VALU_DEP_3)
	s_or_b32 exec_lo, exec_lo, s21
	v_dual_mov_b32 v176, 0 :: v_dual_and_b32 v35, 0xff, v34
	v_mov_b32_e32 v7, v34
	v_mov_b32_e32 v167, 0
	s_mov_b32 s21, exec_lo
	v_cmpx_ne_u16_e32 0, v35
	s_cbranch_execz .LBB344_379
; %bb.372:                              ;   in Loop: Header=BB344_16 Depth=1
	v_bfrev_b32_e32 v167, 1
	s_mov_b32 s22, exec_lo
	v_cmpx_ne_u16_e32 0x80, v35
	s_cbranch_execz .LBB344_378
; %bb.373:                              ;   in Loop: Header=BB344_16 Depth=1
	v_and_b32_e32 v35, 0x7f, v34
	v_mov_b32_e32 v167, 0x7fc02000
	s_mov_b32 s23, exec_lo
	s_delay_alu instid0(VALU_DEP_2)
	v_cmpx_ne_u32_e32 0x7f, v35
	s_cbranch_execz .LBB344_377
; %bb.374:                              ;   in Loop: Header=BB344_16 Depth=1
	v_lshrrev_b32_e32 v167, 3, v35
	v_cmp_gt_u32_e64 s1, 8, v35
	v_dual_mov_b32 v36, v8 :: v_dual_mov_b32 v35, v7
	s_delay_alu instid0(VALU_DEP_2)
	s_and_saveexec_b32 s24, s1
; %bb.375:                              ;   in Loop: Header=BB344_16 Depth=1
	v_and_b32_e32 v35, 7, v34
	s_delay_alu instid0(VALU_DEP_1) | instskip(NEXT) | instid1(VALU_DEP_1)
	v_clz_i32_u32_e32 v35, v35
	v_min_u32_e32 v167, 32, v35
	s_delay_alu instid0(VALU_DEP_1) | instskip(SKIP_1) | instid1(VALU_DEP_2)
	v_subrev_nc_u32_e32 v35, 28, v167
	v_sub_nc_u32_e32 v167, 29, v167
	v_lshlrev_b64 v[35:36], v35, v[7:8]
; %bb.376:                              ;   in Loop: Header=BB344_16 Depth=1
	s_or_b32 exec_lo, exec_lo, s24
	v_lshlrev_b32_e32 v36, 8, v34
	s_delay_alu instid0(VALU_DEP_3) | instskip(NEXT) | instid1(VALU_DEP_3)
	v_lshl_add_u32 v167, v167, 10, 0x2000
	v_lshlrev_b32_e32 v35, 7, v35
	s_delay_alu instid0(VALU_DEP_2) | instskip(NEXT) | instid1(VALU_DEP_1)
	v_and_or_b32 v36, 0x8000, v36, v167
	v_and_or_b32 v35, 0x380, v35, v36
	s_delay_alu instid0(VALU_DEP_1)
	v_cvt_f32_f16_e64 v167, v35
.LBB344_377:                            ;   in Loop: Header=BB344_16 Depth=1
	s_or_b32 exec_lo, exec_lo, s23
.LBB344_378:                            ;   in Loop: Header=BB344_16 Depth=1
	s_delay_alu instid0(SALU_CYCLE_1)
	s_or_b32 exec_lo, exec_lo, s22
.LBB344_379:                            ;   in Loop: Header=BB344_16 Depth=1
	s_delay_alu instid0(SALU_CYCLE_1) | instskip(SKIP_2) | instid1(VALU_DEP_1)
	s_or_b32 exec_lo, exec_lo, s21
	v_lshrrev_b16 v7, 8, v7
	s_mov_b32 s21, exec_lo
	v_cmpx_ne_u16_e32 0, v7
	s_cbranch_execz .LBB344_387
; %bb.380:                              ;   in Loop: Header=BB344_16 Depth=1
	v_bfrev_b32_e32 v176, 1
	s_mov_b32 s22, exec_lo
	v_cmpx_ne_u16_e32 0x80, v7
	s_cbranch_execz .LBB344_386
; %bb.381:                              ;   in Loop: Header=BB344_16 Depth=1
	v_and_b32_e32 v35, 0xffff, v7
	v_mov_b32_e32 v176, 0x7fc02000
	s_mov_b32 s23, exec_lo
	s_delay_alu instid0(VALU_DEP_2) | instskip(NEXT) | instid1(VALU_DEP_1)
	v_and_b32_e32 v177, 0x7f, v35
	v_cmpx_ne_u32_e32 0x7f, v177
	s_cbranch_execz .LBB344_385
; %bb.382:                              ;   in Loop: Header=BB344_16 Depth=1
	v_and_b32_e32 v7, 7, v35
	v_lshrrev_b32_e32 v36, 3, v177
	s_mov_b32 s24, exec_lo
	v_cmpx_gt_u32_e32 8, v177
; %bb.383:                              ;   in Loop: Header=BB344_16 Depth=1
	s_delay_alu instid0(VALU_DEP_3) | instskip(NEXT) | instid1(VALU_DEP_1)
	v_clz_i32_u32_e32 v36, v7
	v_min_u32_e32 v36, 32, v36
	s_delay_alu instid0(VALU_DEP_1) | instskip(SKIP_1) | instid1(VALU_DEP_2)
	v_subrev_nc_u32_e32 v176, 28, v36
	v_sub_nc_u32_e32 v36, 29, v36
	v_lshlrev_b64 v[176:177], v176, v[7:8]
	s_delay_alu instid0(VALU_DEP_1)
	v_and_b32_e32 v7, 7, v176
; %bb.384:                              ;   in Loop: Header=BB344_16 Depth=1
	s_or_b32 exec_lo, exec_lo, s24
	v_lshlrev_b32_e32 v35, 8, v35
	v_lshl_add_u32 v36, v36, 10, 0x2000
	s_delay_alu instid0(VALU_DEP_1) | instskip(NEXT) | instid1(VALU_DEP_1)
	v_and_or_b32 v35, 0x8000, v35, v36
	v_lshl_or_b32 v7, v7, 7, v35
	s_delay_alu instid0(VALU_DEP_1)
	v_cvt_f32_f16_e64 v176, v7
.LBB344_385:                            ;   in Loop: Header=BB344_16 Depth=1
	s_or_b32 exec_lo, exec_lo, s23
.LBB344_386:                            ;   in Loop: Header=BB344_16 Depth=1
	s_delay_alu instid0(SALU_CYCLE_1)
	s_or_b32 exec_lo, exec_lo, s22
.LBB344_387:                            ;   in Loop: Header=BB344_16 Depth=1
	s_delay_alu instid0(SALU_CYCLE_1) | instskip(SKIP_3) | instid1(VALU_DEP_2)
	s_or_b32 exec_lo, exec_lo, s21
	v_lshrrev_b32_e32 v35, 16, v34
	v_mov_b32_e32 v177, 0
	s_mov_b32 s21, exec_lo
	v_dual_mov_b32 v178, 0 :: v_dual_and_b32 v7, 0xff, v35
	s_delay_alu instid0(VALU_DEP_1)
	v_cmpx_ne_u16_e32 0, v7
	s_cbranch_execz .LBB344_395
; %bb.388:                              ;   in Loop: Header=BB344_16 Depth=1
	v_bfrev_b32_e32 v178, 1
	s_mov_b32 s22, exec_lo
	v_cmpx_ne_u16_e32 0x80, v7
	s_cbranch_execz .LBB344_394
; %bb.389:                              ;   in Loop: Header=BB344_16 Depth=1
	v_bfe_u32 v179, v34, 16, 7
	v_mov_b32_e32 v178, 0x7fc02000
	s_mov_b32 s23, exec_lo
	s_delay_alu instid0(VALU_DEP_2)
	v_cmpx_ne_u32_e32 0x7f, v179
	s_cbranch_execz .LBB344_393
; %bb.390:                              ;   in Loop: Header=BB344_16 Depth=1
	v_and_b32_e32 v7, 7, v35
	v_lshrrev_b32_e32 v36, 3, v179
	s_mov_b32 s24, exec_lo
	v_cmpx_gt_u32_e32 8, v179
; %bb.391:                              ;   in Loop: Header=BB344_16 Depth=1
	s_delay_alu instid0(VALU_DEP_3) | instskip(NEXT) | instid1(VALU_DEP_1)
	v_clz_i32_u32_e32 v36, v7
	v_min_u32_e32 v36, 32, v36
	s_delay_alu instid0(VALU_DEP_1) | instskip(SKIP_1) | instid1(VALU_DEP_2)
	v_subrev_nc_u32_e32 v178, 28, v36
	v_sub_nc_u32_e32 v36, 29, v36
	v_lshlrev_b64 v[178:179], v178, v[7:8]
	s_delay_alu instid0(VALU_DEP_1)
	v_and_b32_e32 v7, 7, v178
; %bb.392:                              ;   in Loop: Header=BB344_16 Depth=1
	s_or_b32 exec_lo, exec_lo, s24
	v_lshlrev_b32_e32 v35, 8, v35
	v_lshl_add_u32 v36, v36, 10, 0x2000
	s_delay_alu instid0(VALU_DEP_1) | instskip(NEXT) | instid1(VALU_DEP_1)
	v_and_or_b32 v35, 0x8000, v35, v36
	v_lshl_or_b32 v7, v7, 7, v35
	s_delay_alu instid0(VALU_DEP_1)
	v_cvt_f32_f16_e64 v178, v7
.LBB344_393:                            ;   in Loop: Header=BB344_16 Depth=1
	s_or_b32 exec_lo, exec_lo, s23
.LBB344_394:                            ;   in Loop: Header=BB344_16 Depth=1
	s_delay_alu instid0(SALU_CYCLE_1)
	s_or_b32 exec_lo, exec_lo, s22
.LBB344_395:                            ;   in Loop: Header=BB344_16 Depth=1
	s_delay_alu instid0(SALU_CYCLE_1) | instskip(NEXT) | instid1(SALU_CYCLE_1)
	s_or_b32 exec_lo, exec_lo, s21
	s_mov_b32 s21, exec_lo
	v_cmpx_lt_u64_e64 s[8:9], v[33:34]
	s_cbranch_execz .LBB344_403
; %bb.396:                              ;   in Loop: Header=BB344_16 Depth=1
	v_lshrrev_b32_e32 v33, 24, v34
	v_bfrev_b32_e32 v177, 1
	s_mov_b32 s22, exec_lo
	s_delay_alu instid0(VALU_DEP_2)
	v_cmpx_ne_u32_e32 0x80, v33
	s_cbranch_execz .LBB344_402
; %bb.397:                              ;   in Loop: Header=BB344_16 Depth=1
	v_and_b32_e32 v35, 0x7f, v33
	v_mov_b32_e32 v177, 0x7fc02000
	s_mov_b32 s23, exec_lo
	s_delay_alu instid0(VALU_DEP_2)
	v_cmpx_ne_u32_e32 0x7f, v35
	s_cbranch_execz .LBB344_401
; %bb.398:                              ;   in Loop: Header=BB344_16 Depth=1
	v_and_b32_e32 v7, 7, v33
	v_lshrrev_b32_e32 v34, 3, v35
	s_mov_b32 s24, exec_lo
	v_cmpx_gt_u32_e32 8, v35
; %bb.399:                              ;   in Loop: Header=BB344_16 Depth=1
	s_delay_alu instid0(VALU_DEP_3) | instskip(NEXT) | instid1(VALU_DEP_1)
	v_clz_i32_u32_e32 v34, v7
	v_min_u32_e32 v34, 32, v34
	s_delay_alu instid0(VALU_DEP_1) | instskip(SKIP_1) | instid1(VALU_DEP_2)
	v_subrev_nc_u32_e32 v35, 28, v34
	v_sub_nc_u32_e32 v34, 29, v34
	v_lshlrev_b64 v[35:36], v35, v[7:8]
	s_delay_alu instid0(VALU_DEP_1)
	v_and_b32_e32 v7, 7, v35
; %bb.400:                              ;   in Loop: Header=BB344_16 Depth=1
	s_or_b32 exec_lo, exec_lo, s24
	v_lshlrev_b32_e32 v33, 8, v33
	v_lshl_add_u32 v34, v34, 10, 0x2000
	s_delay_alu instid0(VALU_DEP_1) | instskip(NEXT) | instid1(VALU_DEP_1)
	v_and_or_b32 v33, 0x8000, v33, v34
	v_lshl_or_b32 v7, v7, 7, v33
	s_delay_alu instid0(VALU_DEP_1)
	v_cvt_f32_f16_e64 v177, v7
.LBB344_401:                            ;   in Loop: Header=BB344_16 Depth=1
	s_or_b32 exec_lo, exec_lo, s23
.LBB344_402:                            ;   in Loop: Header=BB344_16 Depth=1
	s_delay_alu instid0(SALU_CYCLE_1)
	s_or_b32 exec_lo, exec_lo, s22
.LBB344_403:                            ;   in Loop: Header=BB344_16 Depth=1
	s_delay_alu instid0(SALU_CYCLE_1)
	s_or_b32 exec_lo, exec_lo, s21
	flat_load_b64 v[33:34], v[31:32] offset:1536
	v_mov_b32_e32 v179, 0
	s_mov_b32 s21, exec_lo
	s_waitcnt vmcnt(0) lgkmcnt(0)
	v_dual_mov_b32 v180, 0 :: v_dual_and_b32 v7, 0xff, v33
	s_delay_alu instid0(VALU_DEP_1)
	v_cmpx_ne_u16_e32 0, v7
	s_cbranch_execz .LBB344_411
; %bb.404:                              ;   in Loop: Header=BB344_16 Depth=1
	v_bfrev_b32_e32 v179, 1
	s_mov_b32 s22, exec_lo
	v_cmpx_ne_u16_e32 0x80, v7
	s_cbranch_execz .LBB344_410
; %bb.405:                              ;   in Loop: Header=BB344_16 Depth=1
	v_and_b32_e32 v35, 0x7f, v33
	v_mov_b32_e32 v179, 0x7fc02000
	s_mov_b32 s23, exec_lo
	s_delay_alu instid0(VALU_DEP_2)
	v_cmpx_ne_u32_e32 0x7f, v35
	s_cbranch_execz .LBB344_409
; %bb.406:                              ;   in Loop: Header=BB344_16 Depth=1
	v_lshrrev_b32_e32 v7, 3, v35
	v_cmp_gt_u32_e64 s1, 8, v35
	v_dual_mov_b32 v36, v34 :: v_dual_mov_b32 v35, v33
	s_delay_alu instid0(VALU_DEP_2)
	s_and_saveexec_b32 s24, s1
; %bb.407:                              ;   in Loop: Header=BB344_16 Depth=1
	v_and_b32_e32 v7, 7, v33
	s_delay_alu instid0(VALU_DEP_1) | instskip(NEXT) | instid1(VALU_DEP_1)
	v_clz_i32_u32_e32 v7, v7
	v_min_u32_e32 v7, 32, v7
	s_delay_alu instid0(VALU_DEP_1) | instskip(SKIP_1) | instid1(VALU_DEP_2)
	v_subrev_nc_u32_e32 v35, 28, v7
	v_sub_nc_u32_e32 v7, 29, v7
	v_lshlrev_b64 v[35:36], v35, v[33:34]
; %bb.408:                              ;   in Loop: Header=BB344_16 Depth=1
	s_or_b32 exec_lo, exec_lo, s24
	v_lshlrev_b32_e32 v36, 8, v33
	s_delay_alu instid0(VALU_DEP_3) | instskip(NEXT) | instid1(VALU_DEP_3)
	v_lshl_add_u32 v7, v7, 10, 0x2000
	v_lshlrev_b32_e32 v35, 7, v35
	s_delay_alu instid0(VALU_DEP_2) | instskip(NEXT) | instid1(VALU_DEP_1)
	v_and_or_b32 v7, 0x8000, v36, v7
	v_and_or_b32 v7, 0x380, v35, v7
	s_delay_alu instid0(VALU_DEP_1)
	v_cvt_f32_f16_e64 v179, v7
.LBB344_409:                            ;   in Loop: Header=BB344_16 Depth=1
	s_or_b32 exec_lo, exec_lo, s23
.LBB344_410:                            ;   in Loop: Header=BB344_16 Depth=1
	s_delay_alu instid0(SALU_CYCLE_1)
	s_or_b32 exec_lo, exec_lo, s22
.LBB344_411:                            ;   in Loop: Header=BB344_16 Depth=1
	s_delay_alu instid0(SALU_CYCLE_1) | instskip(SKIP_2) | instid1(VALU_DEP_1)
	s_or_b32 exec_lo, exec_lo, s21
	v_lshrrev_b16 v7, 8, v33
	s_mov_b32 s21, exec_lo
	v_cmpx_ne_u16_e32 0, v7
	s_cbranch_execz .LBB344_419
; %bb.412:                              ;   in Loop: Header=BB344_16 Depth=1
	v_bfrev_b32_e32 v180, 1
	s_mov_b32 s22, exec_lo
	v_cmpx_ne_u16_e32 0x80, v7
	s_cbranch_execz .LBB344_418
; %bb.413:                              ;   in Loop: Header=BB344_16 Depth=1
	v_and_b32_e32 v35, 0xffff, v7
	v_mov_b32_e32 v180, 0x7fc02000
	s_mov_b32 s23, exec_lo
	s_delay_alu instid0(VALU_DEP_2) | instskip(NEXT) | instid1(VALU_DEP_1)
	v_and_b32_e32 v181, 0x7f, v35
	v_cmpx_ne_u32_e32 0x7f, v181
	s_cbranch_execz .LBB344_417
; %bb.414:                              ;   in Loop: Header=BB344_16 Depth=1
	v_and_b32_e32 v7, 7, v35
	v_lshrrev_b32_e32 v36, 3, v181
	s_mov_b32 s24, exec_lo
	v_cmpx_gt_u32_e32 8, v181
; %bb.415:                              ;   in Loop: Header=BB344_16 Depth=1
	s_delay_alu instid0(VALU_DEP_3) | instskip(NEXT) | instid1(VALU_DEP_1)
	v_clz_i32_u32_e32 v36, v7
	v_min_u32_e32 v36, 32, v36
	s_delay_alu instid0(VALU_DEP_1) | instskip(SKIP_1) | instid1(VALU_DEP_2)
	v_subrev_nc_u32_e32 v180, 28, v36
	v_sub_nc_u32_e32 v36, 29, v36
	v_lshlrev_b64 v[180:181], v180, v[7:8]
	s_delay_alu instid0(VALU_DEP_1)
	v_and_b32_e32 v7, 7, v180
; %bb.416:                              ;   in Loop: Header=BB344_16 Depth=1
	s_or_b32 exec_lo, exec_lo, s24
	v_lshlrev_b32_e32 v35, 8, v35
	v_lshl_add_u32 v36, v36, 10, 0x2000
	s_delay_alu instid0(VALU_DEP_1) | instskip(NEXT) | instid1(VALU_DEP_1)
	v_and_or_b32 v35, 0x8000, v35, v36
	v_lshl_or_b32 v7, v7, 7, v35
	s_delay_alu instid0(VALU_DEP_1)
	v_cvt_f32_f16_e64 v180, v7
.LBB344_417:                            ;   in Loop: Header=BB344_16 Depth=1
	s_or_b32 exec_lo, exec_lo, s23
.LBB344_418:                            ;   in Loop: Header=BB344_16 Depth=1
	s_delay_alu instid0(SALU_CYCLE_1)
	s_or_b32 exec_lo, exec_lo, s22
.LBB344_419:                            ;   in Loop: Header=BB344_16 Depth=1
	s_delay_alu instid0(SALU_CYCLE_1) | instskip(SKIP_3) | instid1(VALU_DEP_2)
	s_or_b32 exec_lo, exec_lo, s21
	v_lshrrev_b32_e32 v35, 16, v33
	v_mov_b32_e32 v181, 0
	s_mov_b32 s21, exec_lo
	v_dual_mov_b32 v182, 0 :: v_dual_and_b32 v7, 0xff, v35
	s_delay_alu instid0(VALU_DEP_1)
	v_cmpx_ne_u16_e32 0, v7
	s_cbranch_execz .LBB344_427
; %bb.420:                              ;   in Loop: Header=BB344_16 Depth=1
	v_bfrev_b32_e32 v181, 1
	s_mov_b32 s22, exec_lo
	v_cmpx_ne_u16_e32 0x80, v7
	s_cbranch_execz .LBB344_426
; %bb.421:                              ;   in Loop: Header=BB344_16 Depth=1
	v_bfe_u32 v183, v33, 16, 7
	v_mov_b32_e32 v181, 0x7fc02000
	s_mov_b32 s23, exec_lo
	s_delay_alu instid0(VALU_DEP_2)
	v_cmpx_ne_u32_e32 0x7f, v183
	s_cbranch_execz .LBB344_425
; %bb.422:                              ;   in Loop: Header=BB344_16 Depth=1
	v_and_b32_e32 v7, 7, v35
	v_lshrrev_b32_e32 v36, 3, v183
	s_mov_b32 s24, exec_lo
	v_cmpx_gt_u32_e32 8, v183
; %bb.423:                              ;   in Loop: Header=BB344_16 Depth=1
	s_delay_alu instid0(VALU_DEP_3) | instskip(NEXT) | instid1(VALU_DEP_1)
	v_clz_i32_u32_e32 v36, v7
	v_min_u32_e32 v36, 32, v36
	s_delay_alu instid0(VALU_DEP_1) | instskip(SKIP_1) | instid1(VALU_DEP_2)
	v_subrev_nc_u32_e32 v181, 28, v36
	v_sub_nc_u32_e32 v36, 29, v36
	v_lshlrev_b64 v[40:41], v181, v[7:8]
	s_delay_alu instid0(VALU_DEP_1)
	v_and_b32_e32 v7, 7, v40
; %bb.424:                              ;   in Loop: Header=BB344_16 Depth=1
	s_or_b32 exec_lo, exec_lo, s24
	v_lshlrev_b32_e32 v35, 8, v35
	v_lshl_add_u32 v36, v36, 10, 0x2000
	s_delay_alu instid0(VALU_DEP_1) | instskip(NEXT) | instid1(VALU_DEP_1)
	v_and_or_b32 v35, 0x8000, v35, v36
	v_lshl_or_b32 v7, v7, 7, v35
	s_delay_alu instid0(VALU_DEP_1)
	v_cvt_f32_f16_e64 v181, v7
.LBB344_425:                            ;   in Loop: Header=BB344_16 Depth=1
	s_or_b32 exec_lo, exec_lo, s23
.LBB344_426:                            ;   in Loop: Header=BB344_16 Depth=1
	s_delay_alu instid0(SALU_CYCLE_1)
	s_or_b32 exec_lo, exec_lo, s22
.LBB344_427:                            ;   in Loop: Header=BB344_16 Depth=1
	s_delay_alu instid0(SALU_CYCLE_1) | instskip(NEXT) | instid1(SALU_CYCLE_1)
	s_or_b32 exec_lo, exec_lo, s21
	s_mov_b32 s21, exec_lo
	v_cmpx_lt_u32_e32 0xffffff, v33
	s_cbranch_execz .LBB344_435
; %bb.428:                              ;   in Loop: Header=BB344_16 Depth=1
	v_lshrrev_b32_e32 v35, 24, v33
	v_bfrev_b32_e32 v182, 1
	s_mov_b32 s22, exec_lo
	s_delay_alu instid0(VALU_DEP_2)
	v_cmpx_ne_u32_e32 0x80, v35
	s_cbranch_execz .LBB344_434
; %bb.429:                              ;   in Loop: Header=BB344_16 Depth=1
	v_and_b32_e32 v183, 0x7f, v35
	v_mov_b32_e32 v182, 0x7fc02000
	s_mov_b32 s23, exec_lo
	s_delay_alu instid0(VALU_DEP_2)
	v_cmpx_ne_u32_e32 0x7f, v183
	s_cbranch_execz .LBB344_433
; %bb.430:                              ;   in Loop: Header=BB344_16 Depth=1
	v_and_b32_e32 v7, 7, v35
	v_lshrrev_b32_e32 v36, 3, v183
	s_mov_b32 s24, exec_lo
	v_cmpx_gt_u32_e32 8, v183
; %bb.431:                              ;   in Loop: Header=BB344_16 Depth=1
	s_delay_alu instid0(VALU_DEP_3) | instskip(NEXT) | instid1(VALU_DEP_1)
	v_clz_i32_u32_e32 v36, v7
	v_min_u32_e32 v36, 32, v36
	s_delay_alu instid0(VALU_DEP_1) | instskip(SKIP_1) | instid1(VALU_DEP_2)
	v_subrev_nc_u32_e32 v182, 28, v36
	v_sub_nc_u32_e32 v36, 29, v36
	v_lshlrev_b64 v[182:183], v182, v[7:8]
	s_delay_alu instid0(VALU_DEP_1)
	v_and_b32_e32 v7, 7, v182
; %bb.432:                              ;   in Loop: Header=BB344_16 Depth=1
	s_or_b32 exec_lo, exec_lo, s24
	v_lshlrev_b32_e32 v35, 8, v35
	v_lshl_add_u32 v36, v36, 10, 0x2000
	s_delay_alu instid0(VALU_DEP_1) | instskip(NEXT) | instid1(VALU_DEP_1)
	v_and_or_b32 v35, 0x8000, v35, v36
	v_lshl_or_b32 v7, v7, 7, v35
	s_delay_alu instid0(VALU_DEP_1)
	v_cvt_f32_f16_e64 v182, v7
.LBB344_433:                            ;   in Loop: Header=BB344_16 Depth=1
	s_or_b32 exec_lo, exec_lo, s23
.LBB344_434:                            ;   in Loop: Header=BB344_16 Depth=1
	s_delay_alu instid0(SALU_CYCLE_1)
	s_or_b32 exec_lo, exec_lo, s22
.LBB344_435:                            ;   in Loop: Header=BB344_16 Depth=1
	s_delay_alu instid0(SALU_CYCLE_1) | instskip(SKIP_4) | instid1(VALU_DEP_3)
	s_or_b32 exec_lo, exec_lo, s21
	v_dual_mov_b32 v56, 0 :: v_dual_and_b32 v35, 0xff, v34
	v_mov_b32_e32 v7, v34
	v_mov_b32_e32 v47, 0
	s_mov_b32 s21, exec_lo
	v_cmpx_ne_u16_e32 0, v35
	s_cbranch_execz .LBB344_443
; %bb.436:                              ;   in Loop: Header=BB344_16 Depth=1
	v_bfrev_b32_e32 v47, 1
	s_mov_b32 s22, exec_lo
	v_cmpx_ne_u16_e32 0x80, v35
	s_cbranch_execz .LBB344_442
; %bb.437:                              ;   in Loop: Header=BB344_16 Depth=1
	v_and_b32_e32 v35, 0x7f, v34
	v_mov_b32_e32 v47, 0x7fc02000
	s_mov_b32 s23, exec_lo
	s_delay_alu instid0(VALU_DEP_2)
	v_cmpx_ne_u32_e32 0x7f, v35
	s_cbranch_execz .LBB344_441
; %bb.438:                              ;   in Loop: Header=BB344_16 Depth=1
	v_lshrrev_b32_e32 v183, 3, v35
	v_cmp_gt_u32_e64 s1, 8, v35
	v_dual_mov_b32 v36, v8 :: v_dual_mov_b32 v35, v7
	s_delay_alu instid0(VALU_DEP_2)
	s_and_saveexec_b32 s24, s1
; %bb.439:                              ;   in Loop: Header=BB344_16 Depth=1
	v_and_b32_e32 v35, 7, v34
	s_delay_alu instid0(VALU_DEP_1) | instskip(NEXT) | instid1(VALU_DEP_1)
	v_clz_i32_u32_e32 v35, v35
	v_min_u32_e32 v183, 32, v35
	s_delay_alu instid0(VALU_DEP_1) | instskip(SKIP_1) | instid1(VALU_DEP_2)
	v_subrev_nc_u32_e32 v35, 28, v183
	v_sub_nc_u32_e32 v183, 29, v183
	v_lshlrev_b64 v[35:36], v35, v[7:8]
; %bb.440:                              ;   in Loop: Header=BB344_16 Depth=1
	s_or_b32 exec_lo, exec_lo, s24
	v_lshlrev_b32_e32 v36, 8, v34
	s_delay_alu instid0(VALU_DEP_3) | instskip(NEXT) | instid1(VALU_DEP_3)
	v_lshl_add_u32 v183, v183, 10, 0x2000
	v_lshlrev_b32_e32 v35, 7, v35
	s_delay_alu instid0(VALU_DEP_2) | instskip(NEXT) | instid1(VALU_DEP_1)
	v_and_or_b32 v36, 0x8000, v36, v183
	v_and_or_b32 v35, 0x380, v35, v36
	s_delay_alu instid0(VALU_DEP_1)
	v_cvt_f32_f16_e32 v47, v35
.LBB344_441:                            ;   in Loop: Header=BB344_16 Depth=1
	s_or_b32 exec_lo, exec_lo, s23
.LBB344_442:                            ;   in Loop: Header=BB344_16 Depth=1
	s_delay_alu instid0(SALU_CYCLE_1)
	s_or_b32 exec_lo, exec_lo, s22
.LBB344_443:                            ;   in Loop: Header=BB344_16 Depth=1
	s_delay_alu instid0(SALU_CYCLE_1) | instskip(SKIP_2) | instid1(VALU_DEP_1)
	s_or_b32 exec_lo, exec_lo, s21
	v_lshrrev_b16 v7, 8, v7
	s_mov_b32 s21, exec_lo
	v_cmpx_ne_u16_e32 0, v7
	s_cbranch_execz .LBB344_451
; %bb.444:                              ;   in Loop: Header=BB344_16 Depth=1
	v_bfrev_b32_e32 v56, 1
	s_mov_b32 s22, exec_lo
	v_cmpx_ne_u16_e32 0x80, v7
	s_cbranch_execz .LBB344_450
; %bb.445:                              ;   in Loop: Header=BB344_16 Depth=1
	v_and_b32_e32 v35, 0xffff, v7
	v_mov_b32_e32 v56, 0x7fc02000
	s_mov_b32 s23, exec_lo
	s_delay_alu instid0(VALU_DEP_2) | instskip(NEXT) | instid1(VALU_DEP_1)
	v_and_b32_e32 v183, 0x7f, v35
	v_cmpx_ne_u32_e32 0x7f, v183
	s_cbranch_execz .LBB344_449
; %bb.446:                              ;   in Loop: Header=BB344_16 Depth=1
	v_and_b32_e32 v7, 7, v35
	v_lshrrev_b32_e32 v36, 3, v183
	s_mov_b32 s24, exec_lo
	v_cmpx_gt_u32_e32 8, v183
; %bb.447:                              ;   in Loop: Header=BB344_16 Depth=1
	s_delay_alu instid0(VALU_DEP_3) | instskip(NEXT) | instid1(VALU_DEP_1)
	v_clz_i32_u32_e32 v36, v7
	v_min_u32_e32 v36, 32, v36
	s_delay_alu instid0(VALU_DEP_1) | instskip(SKIP_1) | instid1(VALU_DEP_2)
	v_subrev_nc_u32_e32 v183, 28, v36
	v_sub_nc_u32_e32 v36, 29, v36
	v_lshlrev_b64 v[40:41], v183, v[7:8]
	s_delay_alu instid0(VALU_DEP_1)
	v_and_b32_e32 v7, 7, v40
; %bb.448:                              ;   in Loop: Header=BB344_16 Depth=1
	s_or_b32 exec_lo, exec_lo, s24
	v_lshlrev_b32_e32 v35, 8, v35
	v_lshl_add_u32 v36, v36, 10, 0x2000
	s_delay_alu instid0(VALU_DEP_1) | instskip(NEXT) | instid1(VALU_DEP_1)
	v_and_or_b32 v35, 0x8000, v35, v36
	v_lshl_or_b32 v7, v7, 7, v35
	s_delay_alu instid0(VALU_DEP_1)
	v_cvt_f32_f16_e32 v56, v7
.LBB344_449:                            ;   in Loop: Header=BB344_16 Depth=1
	s_or_b32 exec_lo, exec_lo, s23
.LBB344_450:                            ;   in Loop: Header=BB344_16 Depth=1
	s_delay_alu instid0(SALU_CYCLE_1)
	s_or_b32 exec_lo, exec_lo, s22
.LBB344_451:                            ;   in Loop: Header=BB344_16 Depth=1
	s_delay_alu instid0(SALU_CYCLE_1) | instskip(SKIP_3) | instid1(VALU_DEP_2)
	s_or_b32 exec_lo, exec_lo, s21
	v_lshrrev_b32_e32 v35, 16, v34
	v_mov_b32_e32 v61, 0
	s_mov_b32 s21, exec_lo
	v_dual_mov_b32 v60, 0 :: v_dual_and_b32 v7, 0xff, v35
	s_delay_alu instid0(VALU_DEP_1)
	v_cmpx_ne_u16_e32 0, v7
	s_cbranch_execz .LBB344_459
; %bb.452:                              ;   in Loop: Header=BB344_16 Depth=1
	v_bfrev_b32_e32 v61, 1
	s_mov_b32 s22, exec_lo
	v_cmpx_ne_u16_e32 0x80, v7
	s_cbranch_execz .LBB344_458
; %bb.453:                              ;   in Loop: Header=BB344_16 Depth=1
	v_bfe_u32 v183, v34, 16, 7
	v_mov_b32_e32 v61, 0x7fc02000
	s_mov_b32 s23, exec_lo
	s_delay_alu instid0(VALU_DEP_2)
	v_cmpx_ne_u32_e32 0x7f, v183
	s_cbranch_execz .LBB344_457
; %bb.454:                              ;   in Loop: Header=BB344_16 Depth=1
	v_and_b32_e32 v7, 7, v35
	v_lshrrev_b32_e32 v36, 3, v183
	s_mov_b32 s24, exec_lo
	v_cmpx_gt_u32_e32 8, v183
; %bb.455:                              ;   in Loop: Header=BB344_16 Depth=1
	s_delay_alu instid0(VALU_DEP_3) | instskip(NEXT) | instid1(VALU_DEP_1)
	v_clz_i32_u32_e32 v36, v7
	v_min_u32_e32 v36, 32, v36
	s_delay_alu instid0(VALU_DEP_1) | instskip(SKIP_1) | instid1(VALU_DEP_2)
	v_subrev_nc_u32_e32 v183, 28, v36
	v_sub_nc_u32_e32 v36, 29, v36
	v_lshlrev_b64 v[40:41], v183, v[7:8]
	s_delay_alu instid0(VALU_DEP_1)
	v_and_b32_e32 v7, 7, v40
; %bb.456:                              ;   in Loop: Header=BB344_16 Depth=1
	s_or_b32 exec_lo, exec_lo, s24
	v_lshlrev_b32_e32 v35, 8, v35
	v_lshl_add_u32 v36, v36, 10, 0x2000
	s_delay_alu instid0(VALU_DEP_1) | instskip(NEXT) | instid1(VALU_DEP_1)
	v_and_or_b32 v35, 0x8000, v35, v36
	v_lshl_or_b32 v7, v7, 7, v35
	s_delay_alu instid0(VALU_DEP_1)
	v_cvt_f32_f16_e32 v61, v7
.LBB344_457:                            ;   in Loop: Header=BB344_16 Depth=1
	s_or_b32 exec_lo, exec_lo, s23
.LBB344_458:                            ;   in Loop: Header=BB344_16 Depth=1
	s_delay_alu instid0(SALU_CYCLE_1)
	s_or_b32 exec_lo, exec_lo, s22
.LBB344_459:                            ;   in Loop: Header=BB344_16 Depth=1
	s_delay_alu instid0(SALU_CYCLE_1) | instskip(NEXT) | instid1(SALU_CYCLE_1)
	s_or_b32 exec_lo, exec_lo, s21
	s_mov_b32 s21, exec_lo
	v_cmpx_lt_u64_e64 s[8:9], v[33:34]
	s_cbranch_execz .LBB344_467
; %bb.460:                              ;   in Loop: Header=BB344_16 Depth=1
	v_lshrrev_b32_e32 v33, 24, v34
	v_bfrev_b32_e32 v60, 1
	s_mov_b32 s22, exec_lo
	s_delay_alu instid0(VALU_DEP_2)
	v_cmpx_ne_u32_e32 0x80, v33
	s_cbranch_execz .LBB344_466
; %bb.461:                              ;   in Loop: Header=BB344_16 Depth=1
	v_and_b32_e32 v35, 0x7f, v33
	v_mov_b32_e32 v60, 0x7fc02000
	s_mov_b32 s23, exec_lo
	s_delay_alu instid0(VALU_DEP_2)
	v_cmpx_ne_u32_e32 0x7f, v35
	s_cbranch_execz .LBB344_465
; %bb.462:                              ;   in Loop: Header=BB344_16 Depth=1
	v_and_b32_e32 v7, 7, v33
	v_lshrrev_b32_e32 v34, 3, v35
	s_mov_b32 s24, exec_lo
	v_cmpx_gt_u32_e32 8, v35
; %bb.463:                              ;   in Loop: Header=BB344_16 Depth=1
	s_delay_alu instid0(VALU_DEP_3) | instskip(NEXT) | instid1(VALU_DEP_1)
	v_clz_i32_u32_e32 v34, v7
	v_min_u32_e32 v34, 32, v34
	s_delay_alu instid0(VALU_DEP_1) | instskip(SKIP_1) | instid1(VALU_DEP_2)
	v_subrev_nc_u32_e32 v35, 28, v34
	v_sub_nc_u32_e32 v34, 29, v34
	v_lshlrev_b64 v[35:36], v35, v[7:8]
	s_delay_alu instid0(VALU_DEP_1)
	v_and_b32_e32 v7, 7, v35
; %bb.464:                              ;   in Loop: Header=BB344_16 Depth=1
	s_or_b32 exec_lo, exec_lo, s24
	v_lshlrev_b32_e32 v33, 8, v33
	v_lshl_add_u32 v34, v34, 10, 0x2000
	s_delay_alu instid0(VALU_DEP_1) | instskip(NEXT) | instid1(VALU_DEP_1)
	v_and_or_b32 v33, 0x8000, v33, v34
	v_lshl_or_b32 v7, v7, 7, v33
	s_delay_alu instid0(VALU_DEP_1)
	v_cvt_f32_f16_e32 v60, v7
.LBB344_465:                            ;   in Loop: Header=BB344_16 Depth=1
	s_or_b32 exec_lo, exec_lo, s23
.LBB344_466:                            ;   in Loop: Header=BB344_16 Depth=1
	s_delay_alu instid0(SALU_CYCLE_1)
	s_or_b32 exec_lo, exec_lo, s22
.LBB344_467:                            ;   in Loop: Header=BB344_16 Depth=1
	s_delay_alu instid0(SALU_CYCLE_1)
	s_or_b32 exec_lo, exec_lo, s21
	flat_load_b64 v[33:34], v[31:32] offset:1544
	v_mov_b32_e32 v57, 0
	s_mov_b32 s21, exec_lo
	s_waitcnt vmcnt(0) lgkmcnt(0)
	v_dual_mov_b32 v58, 0 :: v_dual_and_b32 v7, 0xff, v33
	s_delay_alu instid0(VALU_DEP_1)
	v_cmpx_ne_u16_e32 0, v7
	s_cbranch_execz .LBB344_475
; %bb.468:                              ;   in Loop: Header=BB344_16 Depth=1
	v_bfrev_b32_e32 v57, 1
	s_mov_b32 s22, exec_lo
	v_cmpx_ne_u16_e32 0x80, v7
	s_cbranch_execz .LBB344_474
; %bb.469:                              ;   in Loop: Header=BB344_16 Depth=1
	v_and_b32_e32 v35, 0x7f, v33
	v_mov_b32_e32 v57, 0x7fc02000
	s_mov_b32 s23, exec_lo
	s_delay_alu instid0(VALU_DEP_2)
	v_cmpx_ne_u32_e32 0x7f, v35
	s_cbranch_execz .LBB344_473
; %bb.470:                              ;   in Loop: Header=BB344_16 Depth=1
	v_lshrrev_b32_e32 v7, 3, v35
	v_cmp_gt_u32_e64 s1, 8, v35
	v_dual_mov_b32 v36, v34 :: v_dual_mov_b32 v35, v33
	s_delay_alu instid0(VALU_DEP_2)
	s_and_saveexec_b32 s24, s1
; %bb.471:                              ;   in Loop: Header=BB344_16 Depth=1
	v_and_b32_e32 v7, 7, v33
	s_delay_alu instid0(VALU_DEP_1) | instskip(NEXT) | instid1(VALU_DEP_1)
	v_clz_i32_u32_e32 v7, v7
	v_min_u32_e32 v7, 32, v7
	s_delay_alu instid0(VALU_DEP_1) | instskip(SKIP_1) | instid1(VALU_DEP_2)
	v_subrev_nc_u32_e32 v35, 28, v7
	v_sub_nc_u32_e32 v7, 29, v7
	v_lshlrev_b64 v[35:36], v35, v[33:34]
; %bb.472:                              ;   in Loop: Header=BB344_16 Depth=1
	s_or_b32 exec_lo, exec_lo, s24
	v_lshlrev_b32_e32 v36, 8, v33
	s_delay_alu instid0(VALU_DEP_3) | instskip(NEXT) | instid1(VALU_DEP_3)
	v_lshl_add_u32 v7, v7, 10, 0x2000
	v_lshlrev_b32_e32 v35, 7, v35
	s_delay_alu instid0(VALU_DEP_2) | instskip(NEXT) | instid1(VALU_DEP_1)
	v_and_or_b32 v7, 0x8000, v36, v7
	v_and_or_b32 v7, 0x380, v35, v7
	s_delay_alu instid0(VALU_DEP_1)
	v_cvt_f32_f16_e32 v57, v7
.LBB344_473:                            ;   in Loop: Header=BB344_16 Depth=1
	s_or_b32 exec_lo, exec_lo, s23
.LBB344_474:                            ;   in Loop: Header=BB344_16 Depth=1
	s_delay_alu instid0(SALU_CYCLE_1)
	s_or_b32 exec_lo, exec_lo, s22
.LBB344_475:                            ;   in Loop: Header=BB344_16 Depth=1
	s_delay_alu instid0(SALU_CYCLE_1) | instskip(SKIP_2) | instid1(VALU_DEP_1)
	s_or_b32 exec_lo, exec_lo, s21
	v_lshrrev_b16 v7, 8, v33
	s_mov_b32 s21, exec_lo
	v_cmpx_ne_u16_e32 0, v7
	s_cbranch_execz .LBB344_483
; %bb.476:                              ;   in Loop: Header=BB344_16 Depth=1
	v_bfrev_b32_e32 v58, 1
	s_mov_b32 s22, exec_lo
	v_cmpx_ne_u16_e32 0x80, v7
	s_cbranch_execz .LBB344_482
; %bb.477:                              ;   in Loop: Header=BB344_16 Depth=1
	v_and_b32_e32 v35, 0xffff, v7
	v_mov_b32_e32 v58, 0x7fc02000
	s_mov_b32 s23, exec_lo
	s_delay_alu instid0(VALU_DEP_2) | instskip(NEXT) | instid1(VALU_DEP_1)
	v_and_b32_e32 v183, 0x7f, v35
	v_cmpx_ne_u32_e32 0x7f, v183
	s_cbranch_execz .LBB344_481
; %bb.478:                              ;   in Loop: Header=BB344_16 Depth=1
	v_and_b32_e32 v7, 7, v35
	v_lshrrev_b32_e32 v36, 3, v183
	s_mov_b32 s24, exec_lo
	v_cmpx_gt_u32_e32 8, v183
; %bb.479:                              ;   in Loop: Header=BB344_16 Depth=1
	s_delay_alu instid0(VALU_DEP_3) | instskip(NEXT) | instid1(VALU_DEP_1)
	v_clz_i32_u32_e32 v36, v7
	v_min_u32_e32 v36, 32, v36
	s_delay_alu instid0(VALU_DEP_1) | instskip(SKIP_1) | instid1(VALU_DEP_2)
	v_subrev_nc_u32_e32 v183, 28, v36
	v_sub_nc_u32_e32 v36, 29, v36
	v_lshlrev_b64 v[40:41], v183, v[7:8]
	s_delay_alu instid0(VALU_DEP_1)
	v_and_b32_e32 v7, 7, v40
; %bb.480:                              ;   in Loop: Header=BB344_16 Depth=1
	s_or_b32 exec_lo, exec_lo, s24
	v_lshlrev_b32_e32 v35, 8, v35
	v_lshl_add_u32 v36, v36, 10, 0x2000
	s_delay_alu instid0(VALU_DEP_1) | instskip(NEXT) | instid1(VALU_DEP_1)
	v_and_or_b32 v35, 0x8000, v35, v36
	v_lshl_or_b32 v7, v7, 7, v35
	s_delay_alu instid0(VALU_DEP_1)
	v_cvt_f32_f16_e32 v58, v7
.LBB344_481:                            ;   in Loop: Header=BB344_16 Depth=1
	s_or_b32 exec_lo, exec_lo, s23
.LBB344_482:                            ;   in Loop: Header=BB344_16 Depth=1
	s_delay_alu instid0(SALU_CYCLE_1)
	s_or_b32 exec_lo, exec_lo, s22
.LBB344_483:                            ;   in Loop: Header=BB344_16 Depth=1
	s_delay_alu instid0(SALU_CYCLE_1) | instskip(SKIP_3) | instid1(VALU_DEP_2)
	s_or_b32 exec_lo, exec_lo, s21
	v_lshrrev_b32_e32 v35, 16, v33
	v_mov_b32_e32 v59, 0
	s_mov_b32 s21, exec_lo
	v_dual_mov_b32 v62, 0 :: v_dual_and_b32 v7, 0xff, v35
	s_delay_alu instid0(VALU_DEP_1)
	v_cmpx_ne_u16_e32 0, v7
	s_cbranch_execz .LBB344_491
; %bb.484:                              ;   in Loop: Header=BB344_16 Depth=1
	v_bfrev_b32_e32 v59, 1
	s_mov_b32 s22, exec_lo
	v_cmpx_ne_u16_e32 0x80, v7
	s_cbranch_execz .LBB344_490
; %bb.485:                              ;   in Loop: Header=BB344_16 Depth=1
	v_bfe_u32 v183, v33, 16, 7
	v_mov_b32_e32 v59, 0x7fc02000
	s_mov_b32 s23, exec_lo
	s_delay_alu instid0(VALU_DEP_2)
	v_cmpx_ne_u32_e32 0x7f, v183
	s_cbranch_execz .LBB344_489
; %bb.486:                              ;   in Loop: Header=BB344_16 Depth=1
	v_and_b32_e32 v7, 7, v35
	v_lshrrev_b32_e32 v36, 3, v183
	s_mov_b32 s24, exec_lo
	v_cmpx_gt_u32_e32 8, v183
; %bb.487:                              ;   in Loop: Header=BB344_16 Depth=1
	s_delay_alu instid0(VALU_DEP_3) | instskip(NEXT) | instid1(VALU_DEP_1)
	v_clz_i32_u32_e32 v36, v7
	v_min_u32_e32 v36, 32, v36
	s_delay_alu instid0(VALU_DEP_1) | instskip(SKIP_1) | instid1(VALU_DEP_2)
	v_subrev_nc_u32_e32 v183, 28, v36
	v_sub_nc_u32_e32 v36, 29, v36
	v_lshlrev_b64 v[40:41], v183, v[7:8]
	s_delay_alu instid0(VALU_DEP_1)
	v_and_b32_e32 v7, 7, v40
; %bb.488:                              ;   in Loop: Header=BB344_16 Depth=1
	s_or_b32 exec_lo, exec_lo, s24
	v_lshlrev_b32_e32 v35, 8, v35
	v_lshl_add_u32 v36, v36, 10, 0x2000
	s_delay_alu instid0(VALU_DEP_1) | instskip(NEXT) | instid1(VALU_DEP_1)
	v_and_or_b32 v35, 0x8000, v35, v36
	v_lshl_or_b32 v7, v7, 7, v35
	s_delay_alu instid0(VALU_DEP_1)
	v_cvt_f32_f16_e32 v59, v7
.LBB344_489:                            ;   in Loop: Header=BB344_16 Depth=1
	s_or_b32 exec_lo, exec_lo, s23
.LBB344_490:                            ;   in Loop: Header=BB344_16 Depth=1
	s_delay_alu instid0(SALU_CYCLE_1)
	s_or_b32 exec_lo, exec_lo, s22
.LBB344_491:                            ;   in Loop: Header=BB344_16 Depth=1
	s_delay_alu instid0(SALU_CYCLE_1) | instskip(NEXT) | instid1(SALU_CYCLE_1)
	s_or_b32 exec_lo, exec_lo, s21
	s_mov_b32 s21, exec_lo
	v_cmpx_lt_u32_e32 0xffffff, v33
	s_cbranch_execz .LBB344_499
; %bb.492:                              ;   in Loop: Header=BB344_16 Depth=1
	v_lshrrev_b32_e32 v35, 24, v33
	v_bfrev_b32_e32 v62, 1
	s_mov_b32 s22, exec_lo
	s_delay_alu instid0(VALU_DEP_2)
	v_cmpx_ne_u32_e32 0x80, v35
	s_cbranch_execz .LBB344_498
; %bb.493:                              ;   in Loop: Header=BB344_16 Depth=1
	v_and_b32_e32 v183, 0x7f, v35
	v_mov_b32_e32 v62, 0x7fc02000
	s_mov_b32 s23, exec_lo
	s_delay_alu instid0(VALU_DEP_2)
	v_cmpx_ne_u32_e32 0x7f, v183
	s_cbranch_execz .LBB344_497
; %bb.494:                              ;   in Loop: Header=BB344_16 Depth=1
	v_and_b32_e32 v7, 7, v35
	v_lshrrev_b32_e32 v36, 3, v183
	s_mov_b32 s24, exec_lo
	v_cmpx_gt_u32_e32 8, v183
; %bb.495:                              ;   in Loop: Header=BB344_16 Depth=1
	s_delay_alu instid0(VALU_DEP_3) | instskip(NEXT) | instid1(VALU_DEP_1)
	v_clz_i32_u32_e32 v36, v7
	v_min_u32_e32 v36, 32, v36
	s_delay_alu instid0(VALU_DEP_1) | instskip(SKIP_1) | instid1(VALU_DEP_2)
	v_subrev_nc_u32_e32 v183, 28, v36
	v_sub_nc_u32_e32 v36, 29, v36
	v_lshlrev_b64 v[40:41], v183, v[7:8]
	s_delay_alu instid0(VALU_DEP_1)
	v_and_b32_e32 v7, 7, v40
; %bb.496:                              ;   in Loop: Header=BB344_16 Depth=1
	s_or_b32 exec_lo, exec_lo, s24
	v_lshlrev_b32_e32 v35, 8, v35
	v_lshl_add_u32 v36, v36, 10, 0x2000
	s_delay_alu instid0(VALU_DEP_1) | instskip(NEXT) | instid1(VALU_DEP_1)
	v_and_or_b32 v35, 0x8000, v35, v36
	v_lshl_or_b32 v7, v7, 7, v35
	s_delay_alu instid0(VALU_DEP_1)
	v_cvt_f32_f16_e32 v62, v7
.LBB344_497:                            ;   in Loop: Header=BB344_16 Depth=1
	s_or_b32 exec_lo, exec_lo, s23
.LBB344_498:                            ;   in Loop: Header=BB344_16 Depth=1
	s_delay_alu instid0(SALU_CYCLE_1)
	s_or_b32 exec_lo, exec_lo, s22
.LBB344_499:                            ;   in Loop: Header=BB344_16 Depth=1
	s_delay_alu instid0(SALU_CYCLE_1) | instskip(SKIP_4) | instid1(VALU_DEP_3)
	s_or_b32 exec_lo, exec_lo, s21
	v_dual_mov_b32 v76, 0 :: v_dual_and_b32 v35, 0xff, v34
	v_mov_b32_e32 v7, v34
	v_mov_b32_e32 v75, 0
	s_mov_b32 s21, exec_lo
	v_cmpx_ne_u16_e32 0, v35
	s_cbranch_execz .LBB344_507
; %bb.500:                              ;   in Loop: Header=BB344_16 Depth=1
	v_bfrev_b32_e32 v75, 1
	s_mov_b32 s22, exec_lo
	v_cmpx_ne_u16_e32 0x80, v35
	s_cbranch_execz .LBB344_506
; %bb.501:                              ;   in Loop: Header=BB344_16 Depth=1
	v_and_b32_e32 v35, 0x7f, v34
	v_mov_b32_e32 v75, 0x7fc02000
	s_mov_b32 s23, exec_lo
	s_delay_alu instid0(VALU_DEP_2)
	v_cmpx_ne_u32_e32 0x7f, v35
	s_cbranch_execz .LBB344_505
; %bb.502:                              ;   in Loop: Header=BB344_16 Depth=1
	v_lshrrev_b32_e32 v183, 3, v35
	v_cmp_gt_u32_e64 s1, 8, v35
	v_dual_mov_b32 v36, v8 :: v_dual_mov_b32 v35, v7
	s_delay_alu instid0(VALU_DEP_2)
	s_and_saveexec_b32 s24, s1
; %bb.503:                              ;   in Loop: Header=BB344_16 Depth=1
	v_and_b32_e32 v35, 7, v34
	s_delay_alu instid0(VALU_DEP_1) | instskip(NEXT) | instid1(VALU_DEP_1)
	v_clz_i32_u32_e32 v35, v35
	v_min_u32_e32 v183, 32, v35
	s_delay_alu instid0(VALU_DEP_1) | instskip(SKIP_1) | instid1(VALU_DEP_2)
	v_subrev_nc_u32_e32 v35, 28, v183
	v_sub_nc_u32_e32 v183, 29, v183
	v_lshlrev_b64 v[35:36], v35, v[7:8]
; %bb.504:                              ;   in Loop: Header=BB344_16 Depth=1
	s_or_b32 exec_lo, exec_lo, s24
	v_lshlrev_b32_e32 v36, 8, v34
	s_delay_alu instid0(VALU_DEP_3) | instskip(NEXT) | instid1(VALU_DEP_3)
	v_lshl_add_u32 v183, v183, 10, 0x2000
	v_lshlrev_b32_e32 v35, 7, v35
	s_delay_alu instid0(VALU_DEP_2) | instskip(NEXT) | instid1(VALU_DEP_1)
	v_and_or_b32 v36, 0x8000, v36, v183
	v_and_or_b32 v35, 0x380, v35, v36
	s_delay_alu instid0(VALU_DEP_1)
	v_cvt_f32_f16_e32 v75, v35
.LBB344_505:                            ;   in Loop: Header=BB344_16 Depth=1
	s_or_b32 exec_lo, exec_lo, s23
.LBB344_506:                            ;   in Loop: Header=BB344_16 Depth=1
	s_delay_alu instid0(SALU_CYCLE_1)
	s_or_b32 exec_lo, exec_lo, s22
.LBB344_507:                            ;   in Loop: Header=BB344_16 Depth=1
	s_delay_alu instid0(SALU_CYCLE_1) | instskip(SKIP_2) | instid1(VALU_DEP_1)
	s_or_b32 exec_lo, exec_lo, s21
	v_lshrrev_b16 v7, 8, v7
	s_mov_b32 s21, exec_lo
	v_cmpx_ne_u16_e32 0, v7
	s_cbranch_execz .LBB344_515
; %bb.508:                              ;   in Loop: Header=BB344_16 Depth=1
	v_bfrev_b32_e32 v76, 1
	s_mov_b32 s22, exec_lo
	v_cmpx_ne_u16_e32 0x80, v7
	s_cbranch_execz .LBB344_514
; %bb.509:                              ;   in Loop: Header=BB344_16 Depth=1
	v_and_b32_e32 v35, 0xffff, v7
	v_mov_b32_e32 v76, 0x7fc02000
	s_mov_b32 s23, exec_lo
	s_delay_alu instid0(VALU_DEP_2) | instskip(NEXT) | instid1(VALU_DEP_1)
	v_and_b32_e32 v183, 0x7f, v35
	v_cmpx_ne_u32_e32 0x7f, v183
	s_cbranch_execz .LBB344_513
; %bb.510:                              ;   in Loop: Header=BB344_16 Depth=1
	v_and_b32_e32 v7, 7, v35
	v_lshrrev_b32_e32 v36, 3, v183
	s_mov_b32 s24, exec_lo
	v_cmpx_gt_u32_e32 8, v183
; %bb.511:                              ;   in Loop: Header=BB344_16 Depth=1
	s_delay_alu instid0(VALU_DEP_3) | instskip(NEXT) | instid1(VALU_DEP_1)
	v_clz_i32_u32_e32 v36, v7
	v_min_u32_e32 v36, 32, v36
	s_delay_alu instid0(VALU_DEP_1) | instskip(SKIP_1) | instid1(VALU_DEP_2)
	v_subrev_nc_u32_e32 v183, 28, v36
	v_sub_nc_u32_e32 v36, 29, v36
	v_lshlrev_b64 v[40:41], v183, v[7:8]
	s_delay_alu instid0(VALU_DEP_1)
	v_and_b32_e32 v7, 7, v40
; %bb.512:                              ;   in Loop: Header=BB344_16 Depth=1
	s_or_b32 exec_lo, exec_lo, s24
	v_lshlrev_b32_e32 v35, 8, v35
	v_lshl_add_u32 v36, v36, 10, 0x2000
	s_delay_alu instid0(VALU_DEP_1) | instskip(NEXT) | instid1(VALU_DEP_1)
	v_and_or_b32 v35, 0x8000, v35, v36
	v_lshl_or_b32 v7, v7, 7, v35
	s_delay_alu instid0(VALU_DEP_1)
	v_cvt_f32_f16_e32 v76, v7
.LBB344_513:                            ;   in Loop: Header=BB344_16 Depth=1
	s_or_b32 exec_lo, exec_lo, s23
.LBB344_514:                            ;   in Loop: Header=BB344_16 Depth=1
	s_delay_alu instid0(SALU_CYCLE_1)
	s_or_b32 exec_lo, exec_lo, s22
.LBB344_515:                            ;   in Loop: Header=BB344_16 Depth=1
	s_delay_alu instid0(SALU_CYCLE_1) | instskip(SKIP_3) | instid1(VALU_DEP_2)
	s_or_b32 exec_lo, exec_lo, s21
	v_lshrrev_b32_e32 v35, 16, v34
	v_mov_b32_e32 v77, 0
	s_mov_b32 s21, exec_lo
	v_dual_mov_b32 v78, 0 :: v_dual_and_b32 v7, 0xff, v35
	s_delay_alu instid0(VALU_DEP_1)
	v_cmpx_ne_u16_e32 0, v7
	s_cbranch_execz .LBB344_523
; %bb.516:                              ;   in Loop: Header=BB344_16 Depth=1
	v_bfrev_b32_e32 v78, 1
	s_mov_b32 s22, exec_lo
	v_cmpx_ne_u16_e32 0x80, v7
	s_cbranch_execz .LBB344_522
; %bb.517:                              ;   in Loop: Header=BB344_16 Depth=1
	v_bfe_u32 v183, v34, 16, 7
	v_mov_b32_e32 v78, 0x7fc02000
	s_mov_b32 s23, exec_lo
	s_delay_alu instid0(VALU_DEP_2)
	v_cmpx_ne_u32_e32 0x7f, v183
	s_cbranch_execz .LBB344_521
; %bb.518:                              ;   in Loop: Header=BB344_16 Depth=1
	v_and_b32_e32 v7, 7, v35
	v_lshrrev_b32_e32 v36, 3, v183
	s_mov_b32 s24, exec_lo
	v_cmpx_gt_u32_e32 8, v183
; %bb.519:                              ;   in Loop: Header=BB344_16 Depth=1
	s_delay_alu instid0(VALU_DEP_3) | instskip(NEXT) | instid1(VALU_DEP_1)
	v_clz_i32_u32_e32 v36, v7
	v_min_u32_e32 v36, 32, v36
	s_delay_alu instid0(VALU_DEP_1) | instskip(SKIP_1) | instid1(VALU_DEP_2)
	v_subrev_nc_u32_e32 v183, 28, v36
	v_sub_nc_u32_e32 v36, 29, v36
	v_lshlrev_b64 v[40:41], v183, v[7:8]
	s_delay_alu instid0(VALU_DEP_1)
	v_and_b32_e32 v7, 7, v40
; %bb.520:                              ;   in Loop: Header=BB344_16 Depth=1
	s_or_b32 exec_lo, exec_lo, s24
	v_lshlrev_b32_e32 v35, 8, v35
	v_lshl_add_u32 v36, v36, 10, 0x2000
	s_delay_alu instid0(VALU_DEP_1) | instskip(NEXT) | instid1(VALU_DEP_1)
	v_and_or_b32 v35, 0x8000, v35, v36
	v_lshl_or_b32 v7, v7, 7, v35
	s_delay_alu instid0(VALU_DEP_1)
	v_cvt_f32_f16_e32 v78, v7
.LBB344_521:                            ;   in Loop: Header=BB344_16 Depth=1
	s_or_b32 exec_lo, exec_lo, s23
.LBB344_522:                            ;   in Loop: Header=BB344_16 Depth=1
	s_delay_alu instid0(SALU_CYCLE_1)
	s_or_b32 exec_lo, exec_lo, s22
.LBB344_523:                            ;   in Loop: Header=BB344_16 Depth=1
	s_delay_alu instid0(SALU_CYCLE_1) | instskip(NEXT) | instid1(SALU_CYCLE_1)
	s_or_b32 exec_lo, exec_lo, s21
	s_mov_b32 s21, exec_lo
	v_cmpx_lt_u64_e64 s[8:9], v[33:34]
	s_cbranch_execz .LBB344_531
; %bb.524:                              ;   in Loop: Header=BB344_16 Depth=1
	v_lshrrev_b32_e32 v33, 24, v34
	v_bfrev_b32_e32 v77, 1
	s_mov_b32 s22, exec_lo
	s_delay_alu instid0(VALU_DEP_2)
	v_cmpx_ne_u32_e32 0x80, v33
	s_cbranch_execz .LBB344_530
; %bb.525:                              ;   in Loop: Header=BB344_16 Depth=1
	v_and_b32_e32 v35, 0x7f, v33
	v_mov_b32_e32 v77, 0x7fc02000
	s_mov_b32 s23, exec_lo
	s_delay_alu instid0(VALU_DEP_2)
	v_cmpx_ne_u32_e32 0x7f, v35
	s_cbranch_execz .LBB344_529
; %bb.526:                              ;   in Loop: Header=BB344_16 Depth=1
	v_and_b32_e32 v7, 7, v33
	v_lshrrev_b32_e32 v34, 3, v35
	s_mov_b32 s24, exec_lo
	v_cmpx_gt_u32_e32 8, v35
; %bb.527:                              ;   in Loop: Header=BB344_16 Depth=1
	s_delay_alu instid0(VALU_DEP_3) | instskip(NEXT) | instid1(VALU_DEP_1)
	v_clz_i32_u32_e32 v34, v7
	v_min_u32_e32 v34, 32, v34
	s_delay_alu instid0(VALU_DEP_1) | instskip(SKIP_1) | instid1(VALU_DEP_2)
	v_subrev_nc_u32_e32 v35, 28, v34
	v_sub_nc_u32_e32 v34, 29, v34
	v_lshlrev_b64 v[35:36], v35, v[7:8]
	s_delay_alu instid0(VALU_DEP_1)
	v_and_b32_e32 v7, 7, v35
; %bb.528:                              ;   in Loop: Header=BB344_16 Depth=1
	s_or_b32 exec_lo, exec_lo, s24
	v_lshlrev_b32_e32 v33, 8, v33
	v_lshl_add_u32 v34, v34, 10, 0x2000
	s_delay_alu instid0(VALU_DEP_1) | instskip(NEXT) | instid1(VALU_DEP_1)
	v_and_or_b32 v33, 0x8000, v33, v34
	v_lshl_or_b32 v7, v7, 7, v33
	s_delay_alu instid0(VALU_DEP_1)
	v_cvt_f32_f16_e32 v77, v7
.LBB344_529:                            ;   in Loop: Header=BB344_16 Depth=1
	s_or_b32 exec_lo, exec_lo, s23
.LBB344_530:                            ;   in Loop: Header=BB344_16 Depth=1
	s_delay_alu instid0(SALU_CYCLE_1)
	s_or_b32 exec_lo, exec_lo, s22
.LBB344_531:                            ;   in Loop: Header=BB344_16 Depth=1
	s_delay_alu instid0(SALU_CYCLE_1)
	s_or_b32 exec_lo, exec_lo, s21
	flat_load_b64 v[33:34], v[31:32] offset:2048
	v_mov_b32_e32 v183, 0
	s_mov_b32 s21, exec_lo
	s_waitcnt vmcnt(0) lgkmcnt(0)
	v_dual_mov_b32 v40, 0 :: v_dual_and_b32 v7, 0xff, v33
	s_delay_alu instid0(VALU_DEP_1)
	v_cmpx_ne_u16_e32 0, v7
	s_cbranch_execz .LBB344_539
; %bb.532:                              ;   in Loop: Header=BB344_16 Depth=1
	v_bfrev_b32_e32 v183, 1
	s_mov_b32 s22, exec_lo
	v_cmpx_ne_u16_e32 0x80, v7
	s_cbranch_execz .LBB344_538
; %bb.533:                              ;   in Loop: Header=BB344_16 Depth=1
	v_and_b32_e32 v35, 0x7f, v33
	v_mov_b32_e32 v183, 0x7fc02000
	s_mov_b32 s23, exec_lo
	s_delay_alu instid0(VALU_DEP_2)
	v_cmpx_ne_u32_e32 0x7f, v35
	s_cbranch_execz .LBB344_537
; %bb.534:                              ;   in Loop: Header=BB344_16 Depth=1
	v_lshrrev_b32_e32 v7, 3, v35
	v_cmp_gt_u32_e64 s1, 8, v35
	v_dual_mov_b32 v36, v34 :: v_dual_mov_b32 v35, v33
	s_delay_alu instid0(VALU_DEP_2)
	s_and_saveexec_b32 s24, s1
; %bb.535:                              ;   in Loop: Header=BB344_16 Depth=1
	v_and_b32_e32 v7, 7, v33
	s_delay_alu instid0(VALU_DEP_1) | instskip(NEXT) | instid1(VALU_DEP_1)
	v_clz_i32_u32_e32 v7, v7
	v_min_u32_e32 v7, 32, v7
	s_delay_alu instid0(VALU_DEP_1) | instskip(SKIP_1) | instid1(VALU_DEP_2)
	v_subrev_nc_u32_e32 v35, 28, v7
	v_sub_nc_u32_e32 v7, 29, v7
	v_lshlrev_b64 v[35:36], v35, v[33:34]
; %bb.536:                              ;   in Loop: Header=BB344_16 Depth=1
	s_or_b32 exec_lo, exec_lo, s24
	v_lshlrev_b32_e32 v36, 8, v33
	s_delay_alu instid0(VALU_DEP_3) | instskip(NEXT) | instid1(VALU_DEP_3)
	v_lshl_add_u32 v7, v7, 10, 0x2000
	v_lshlrev_b32_e32 v35, 7, v35
	s_delay_alu instid0(VALU_DEP_2) | instskip(NEXT) | instid1(VALU_DEP_1)
	v_and_or_b32 v7, 0x8000, v36, v7
	v_and_or_b32 v7, 0x380, v35, v7
	s_delay_alu instid0(VALU_DEP_1)
	v_cvt_f32_f16_e64 v183, v7
.LBB344_537:                            ;   in Loop: Header=BB344_16 Depth=1
	s_or_b32 exec_lo, exec_lo, s23
.LBB344_538:                            ;   in Loop: Header=BB344_16 Depth=1
	s_delay_alu instid0(SALU_CYCLE_1)
	s_or_b32 exec_lo, exec_lo, s22
.LBB344_539:                            ;   in Loop: Header=BB344_16 Depth=1
	s_delay_alu instid0(SALU_CYCLE_1) | instskip(SKIP_2) | instid1(VALU_DEP_1)
	s_or_b32 exec_lo, exec_lo, s21
	v_lshrrev_b16 v7, 8, v33
	s_mov_b32 s21, exec_lo
	v_cmpx_ne_u16_e32 0, v7
	s_cbranch_execz .LBB344_547
; %bb.540:                              ;   in Loop: Header=BB344_16 Depth=1
	v_bfrev_b32_e32 v40, 1
	s_mov_b32 s22, exec_lo
	v_cmpx_ne_u16_e32 0x80, v7
	s_cbranch_execz .LBB344_546
; %bb.541:                              ;   in Loop: Header=BB344_16 Depth=1
	v_and_b32_e32 v41, 0xffff, v7
	v_mov_b32_e32 v40, 0x7fc02000
	s_mov_b32 s23, exec_lo
	s_delay_alu instid0(VALU_DEP_2) | instskip(NEXT) | instid1(VALU_DEP_1)
	v_and_b32_e32 v35, 0x7f, v41
	v_cmpx_ne_u32_e32 0x7f, v35
	s_cbranch_execz .LBB344_545
; %bb.542:                              ;   in Loop: Header=BB344_16 Depth=1
	v_and_b32_e32 v7, 7, v41
	v_lshrrev_b32_e32 v40, 3, v35
	v_cmp_gt_u32_e64 s1, 8, v35
	s_delay_alu instid0(VALU_DEP_3) | instskip(NEXT) | instid1(VALU_DEP_2)
	v_dual_mov_b32 v36, v8 :: v_dual_mov_b32 v35, v7
	s_and_saveexec_b32 s24, s1
; %bb.543:                              ;   in Loop: Header=BB344_16 Depth=1
	v_clz_i32_u32_e32 v35, v7
	s_delay_alu instid0(VALU_DEP_1) | instskip(NEXT) | instid1(VALU_DEP_1)
	v_min_u32_e32 v40, 32, v35
	v_subrev_nc_u32_e32 v35, 28, v40
	v_sub_nc_u32_e32 v40, 29, v40
	s_delay_alu instid0(VALU_DEP_2) | instskip(NEXT) | instid1(VALU_DEP_1)
	v_lshlrev_b64 v[35:36], v35, v[7:8]
	v_and_b32_e32 v35, 7, v35
; %bb.544:                              ;   in Loop: Header=BB344_16 Depth=1
	s_or_b32 exec_lo, exec_lo, s24
	v_lshlrev_b32_e32 v7, 8, v41
	v_lshl_add_u32 v36, v40, 10, 0x2000
	s_delay_alu instid0(VALU_DEP_1) | instskip(NEXT) | instid1(VALU_DEP_1)
	v_and_or_b32 v7, 0x8000, v7, v36
	v_lshl_or_b32 v7, v35, 7, v7
	s_delay_alu instid0(VALU_DEP_1)
	v_cvt_f32_f16_e32 v40, v7
.LBB344_545:                            ;   in Loop: Header=BB344_16 Depth=1
	s_or_b32 exec_lo, exec_lo, s23
.LBB344_546:                            ;   in Loop: Header=BB344_16 Depth=1
	s_delay_alu instid0(SALU_CYCLE_1)
	s_or_b32 exec_lo, exec_lo, s22
.LBB344_547:                            ;   in Loop: Header=BB344_16 Depth=1
	s_delay_alu instid0(SALU_CYCLE_1) | instskip(SKIP_3) | instid1(VALU_DEP_2)
	s_or_b32 exec_lo, exec_lo, s21
	v_lshrrev_b32_e32 v43, 16, v33
	v_mov_b32_e32 v41, 0
	s_mov_b32 s21, exec_lo
	v_dual_mov_b32 v42, 0 :: v_dual_and_b32 v7, 0xff, v43
	s_delay_alu instid0(VALU_DEP_1)
	v_cmpx_ne_u16_e32 0, v7
	s_cbranch_execz .LBB344_555
; %bb.548:                              ;   in Loop: Header=BB344_16 Depth=1
	v_bfrev_b32_e32 v41, 1
	s_mov_b32 s22, exec_lo
	v_cmpx_ne_u16_e32 0x80, v7
	s_cbranch_execz .LBB344_554
; %bb.549:                              ;   in Loop: Header=BB344_16 Depth=1
	v_bfe_u32 v35, v33, 16, 7
	v_mov_b32_e32 v41, 0x7fc02000
	s_mov_b32 s23, exec_lo
	s_delay_alu instid0(VALU_DEP_2)
	v_cmpx_ne_u32_e32 0x7f, v35
	s_cbranch_execz .LBB344_553
; %bb.550:                              ;   in Loop: Header=BB344_16 Depth=1
	v_and_b32_e32 v7, 7, v43
	v_lshrrev_b32_e32 v41, 3, v35
	v_cmp_gt_u32_e64 s1, 8, v35
	s_delay_alu instid0(VALU_DEP_3) | instskip(NEXT) | instid1(VALU_DEP_2)
	v_dual_mov_b32 v36, v8 :: v_dual_mov_b32 v35, v7
	s_and_saveexec_b32 s24, s1
; %bb.551:                              ;   in Loop: Header=BB344_16 Depth=1
	v_clz_i32_u32_e32 v35, v7
	s_delay_alu instid0(VALU_DEP_1) | instskip(NEXT) | instid1(VALU_DEP_1)
	v_min_u32_e32 v41, 32, v35
	v_subrev_nc_u32_e32 v35, 28, v41
	v_sub_nc_u32_e32 v41, 29, v41
	s_delay_alu instid0(VALU_DEP_2) | instskip(NEXT) | instid1(VALU_DEP_1)
	v_lshlrev_b64 v[35:36], v35, v[7:8]
	v_and_b32_e32 v35, 7, v35
; %bb.552:                              ;   in Loop: Header=BB344_16 Depth=1
	s_or_b32 exec_lo, exec_lo, s24
	v_lshlrev_b32_e32 v7, 8, v43
	v_lshl_add_u32 v36, v41, 10, 0x2000
	s_delay_alu instid0(VALU_DEP_1) | instskip(NEXT) | instid1(VALU_DEP_1)
	v_and_or_b32 v7, 0x8000, v7, v36
	v_lshl_or_b32 v7, v35, 7, v7
	s_delay_alu instid0(VALU_DEP_1)
	v_cvt_f32_f16_e32 v41, v7
.LBB344_553:                            ;   in Loop: Header=BB344_16 Depth=1
	s_or_b32 exec_lo, exec_lo, s23
.LBB344_554:                            ;   in Loop: Header=BB344_16 Depth=1
	s_delay_alu instid0(SALU_CYCLE_1)
	s_or_b32 exec_lo, exec_lo, s22
.LBB344_555:                            ;   in Loop: Header=BB344_16 Depth=1
	s_delay_alu instid0(SALU_CYCLE_1) | instskip(NEXT) | instid1(SALU_CYCLE_1)
	s_or_b32 exec_lo, exec_lo, s21
	s_mov_b32 s21, exec_lo
	v_cmpx_lt_u32_e32 0xffffff, v33
	s_cbranch_execz .LBB344_563
; %bb.556:                              ;   in Loop: Header=BB344_16 Depth=1
	v_lshrrev_b32_e32 v43, 24, v33
	v_bfrev_b32_e32 v42, 1
	s_mov_b32 s22, exec_lo
	s_delay_alu instid0(VALU_DEP_2)
	v_cmpx_ne_u32_e32 0x80, v43
	s_cbranch_execz .LBB344_562
; %bb.557:                              ;   in Loop: Header=BB344_16 Depth=1
	v_and_b32_e32 v35, 0x7f, v43
	v_mov_b32_e32 v42, 0x7fc02000
	s_mov_b32 s23, exec_lo
	s_delay_alu instid0(VALU_DEP_2)
	v_cmpx_ne_u32_e32 0x7f, v35
	s_cbranch_execz .LBB344_561
; %bb.558:                              ;   in Loop: Header=BB344_16 Depth=1
	v_and_b32_e32 v7, 7, v43
	v_lshrrev_b32_e32 v42, 3, v35
	v_cmp_gt_u32_e64 s1, 8, v35
	s_delay_alu instid0(VALU_DEP_3) | instskip(NEXT) | instid1(VALU_DEP_2)
	v_dual_mov_b32 v36, v8 :: v_dual_mov_b32 v35, v7
	s_and_saveexec_b32 s24, s1
; %bb.559:                              ;   in Loop: Header=BB344_16 Depth=1
	v_clz_i32_u32_e32 v35, v7
	s_delay_alu instid0(VALU_DEP_1) | instskip(NEXT) | instid1(VALU_DEP_1)
	v_min_u32_e32 v42, 32, v35
	v_subrev_nc_u32_e32 v35, 28, v42
	v_sub_nc_u32_e32 v42, 29, v42
	s_delay_alu instid0(VALU_DEP_2) | instskip(NEXT) | instid1(VALU_DEP_1)
	v_lshlrev_b64 v[35:36], v35, v[7:8]
	v_and_b32_e32 v35, 7, v35
; %bb.560:                              ;   in Loop: Header=BB344_16 Depth=1
	s_or_b32 exec_lo, exec_lo, s24
	v_lshlrev_b32_e32 v7, 8, v43
	v_lshl_add_u32 v36, v42, 10, 0x2000
	s_delay_alu instid0(VALU_DEP_1) | instskip(NEXT) | instid1(VALU_DEP_1)
	v_and_or_b32 v7, 0x8000, v7, v36
	v_lshl_or_b32 v7, v35, 7, v7
	s_delay_alu instid0(VALU_DEP_1)
	v_cvt_f32_f16_e32 v42, v7
.LBB344_561:                            ;   in Loop: Header=BB344_16 Depth=1
	s_or_b32 exec_lo, exec_lo, s23
.LBB344_562:                            ;   in Loop: Header=BB344_16 Depth=1
	s_delay_alu instid0(SALU_CYCLE_1)
	s_or_b32 exec_lo, exec_lo, s22
.LBB344_563:                            ;   in Loop: Header=BB344_16 Depth=1
	s_delay_alu instid0(SALU_CYCLE_1) | instskip(SKIP_4) | instid1(VALU_DEP_3)
	s_or_b32 exec_lo, exec_lo, s21
	v_dual_mov_b32 v72, 0 :: v_dual_and_b32 v35, 0xff, v34
	v_mov_b32_e32 v7, v34
	v_mov_b32_e32 v63, 0
	s_mov_b32 s21, exec_lo
	v_cmpx_ne_u16_e32 0, v35
	s_cbranch_execz .LBB344_571
; %bb.564:                              ;   in Loop: Header=BB344_16 Depth=1
	v_bfrev_b32_e32 v63, 1
	s_mov_b32 s22, exec_lo
	v_cmpx_ne_u16_e32 0x80, v35
	s_cbranch_execz .LBB344_570
; %bb.565:                              ;   in Loop: Header=BB344_16 Depth=1
	v_and_b32_e32 v35, 0x7f, v34
	v_mov_b32_e32 v63, 0x7fc02000
	s_mov_b32 s23, exec_lo
	s_delay_alu instid0(VALU_DEP_2)
	v_cmpx_ne_u32_e32 0x7f, v35
	s_cbranch_execz .LBB344_569
; %bb.566:                              ;   in Loop: Header=BB344_16 Depth=1
	v_lshrrev_b32_e32 v43, 3, v35
	v_cmp_gt_u32_e64 s1, 8, v35
	v_dual_mov_b32 v36, v8 :: v_dual_mov_b32 v35, v7
	s_delay_alu instid0(VALU_DEP_2)
	s_and_saveexec_b32 s24, s1
; %bb.567:                              ;   in Loop: Header=BB344_16 Depth=1
	v_and_b32_e32 v35, 7, v34
	s_delay_alu instid0(VALU_DEP_1) | instskip(NEXT) | instid1(VALU_DEP_1)
	v_clz_i32_u32_e32 v35, v35
	v_min_u32_e32 v43, 32, v35
	s_delay_alu instid0(VALU_DEP_1) | instskip(SKIP_1) | instid1(VALU_DEP_2)
	v_subrev_nc_u32_e32 v35, 28, v43
	v_sub_nc_u32_e32 v43, 29, v43
	v_lshlrev_b64 v[35:36], v35, v[7:8]
; %bb.568:                              ;   in Loop: Header=BB344_16 Depth=1
	s_or_b32 exec_lo, exec_lo, s24
	v_lshlrev_b32_e32 v36, 8, v34
	s_delay_alu instid0(VALU_DEP_3) | instskip(NEXT) | instid1(VALU_DEP_3)
	v_lshl_add_u32 v43, v43, 10, 0x2000
	v_lshlrev_b32_e32 v35, 7, v35
	s_delay_alu instid0(VALU_DEP_2) | instskip(NEXT) | instid1(VALU_DEP_1)
	v_and_or_b32 v36, 0x8000, v36, v43
	v_and_or_b32 v35, 0x380, v35, v36
	s_delay_alu instid0(VALU_DEP_1)
	v_cvt_f32_f16_e32 v63, v35
.LBB344_569:                            ;   in Loop: Header=BB344_16 Depth=1
	s_or_b32 exec_lo, exec_lo, s23
.LBB344_570:                            ;   in Loop: Header=BB344_16 Depth=1
	s_delay_alu instid0(SALU_CYCLE_1)
	s_or_b32 exec_lo, exec_lo, s22
.LBB344_571:                            ;   in Loop: Header=BB344_16 Depth=1
	s_delay_alu instid0(SALU_CYCLE_1) | instskip(SKIP_2) | instid1(VALU_DEP_1)
	s_or_b32 exec_lo, exec_lo, s21
	v_lshrrev_b16 v7, 8, v7
	s_mov_b32 s21, exec_lo
	v_cmpx_ne_u16_e32 0, v7
	s_cbranch_execz .LBB344_579
; %bb.572:                              ;   in Loop: Header=BB344_16 Depth=1
	v_bfrev_b32_e32 v72, 1
	s_mov_b32 s22, exec_lo
	v_cmpx_ne_u16_e32 0x80, v7
	s_cbranch_execz .LBB344_578
; %bb.573:                              ;   in Loop: Header=BB344_16 Depth=1
	v_and_b32_e32 v43, 0xffff, v7
	v_mov_b32_e32 v72, 0x7fc02000
	s_mov_b32 s23, exec_lo
	s_delay_alu instid0(VALU_DEP_2) | instskip(NEXT) | instid1(VALU_DEP_1)
	v_and_b32_e32 v35, 0x7f, v43
	v_cmpx_ne_u32_e32 0x7f, v35
	s_cbranch_execz .LBB344_577
; %bb.574:                              ;   in Loop: Header=BB344_16 Depth=1
	v_and_b32_e32 v7, 7, v43
	v_lshrrev_b32_e32 v44, 3, v35
	v_cmp_gt_u32_e64 s1, 8, v35
	s_delay_alu instid0(VALU_DEP_3) | instskip(NEXT) | instid1(VALU_DEP_2)
	v_dual_mov_b32 v36, v8 :: v_dual_mov_b32 v35, v7
	s_and_saveexec_b32 s24, s1
; %bb.575:                              ;   in Loop: Header=BB344_16 Depth=1
	v_clz_i32_u32_e32 v35, v7
	s_delay_alu instid0(VALU_DEP_1) | instskip(NEXT) | instid1(VALU_DEP_1)
	v_min_u32_e32 v44, 32, v35
	v_subrev_nc_u32_e32 v35, 28, v44
	v_sub_nc_u32_e32 v44, 29, v44
	s_delay_alu instid0(VALU_DEP_2) | instskip(NEXT) | instid1(VALU_DEP_1)
	v_lshlrev_b64 v[35:36], v35, v[7:8]
	v_and_b32_e32 v35, 7, v35
; %bb.576:                              ;   in Loop: Header=BB344_16 Depth=1
	s_or_b32 exec_lo, exec_lo, s24
	v_lshlrev_b32_e32 v7, 8, v43
	v_lshl_add_u32 v36, v44, 10, 0x2000
	s_delay_alu instid0(VALU_DEP_1) | instskip(NEXT) | instid1(VALU_DEP_1)
	v_and_or_b32 v7, 0x8000, v7, v36
	v_lshl_or_b32 v7, v35, 7, v7
	s_delay_alu instid0(VALU_DEP_1)
	v_cvt_f32_f16_e32 v72, v7
.LBB344_577:                            ;   in Loop: Header=BB344_16 Depth=1
	s_or_b32 exec_lo, exec_lo, s23
.LBB344_578:                            ;   in Loop: Header=BB344_16 Depth=1
	s_delay_alu instid0(SALU_CYCLE_1)
	s_or_b32 exec_lo, exec_lo, s22
.LBB344_579:                            ;   in Loop: Header=BB344_16 Depth=1
	s_delay_alu instid0(SALU_CYCLE_1) | instskip(SKIP_4) | instid1(VALU_DEP_3)
	s_or_b32 exec_lo, exec_lo, s21
	v_lshrrev_b32_e32 v43, 16, v34
	v_mov_b32_e32 v73, 0
	v_mov_b32_e32 v35, 0
	s_mov_b32 s21, exec_lo
	v_and_b32_e32 v7, 0xff, v43
	s_delay_alu instid0(VALU_DEP_1)
	v_cmpx_ne_u16_e32 0, v7
	s_cbranch_execz .LBB344_587
; %bb.580:                              ;   in Loop: Header=BB344_16 Depth=1
	v_bfrev_b32_e32 v35, 1
	s_mov_b32 s22, exec_lo
	v_cmpx_ne_u16_e32 0x80, v7
	s_cbranch_execz .LBB344_586
; %bb.581:                              ;   in Loop: Header=BB344_16 Depth=1
	v_bfe_u32 v36, v34, 16, 7
	v_mov_b32_e32 v35, 0x7fc02000
	s_mov_b32 s23, exec_lo
	s_delay_alu instid0(VALU_DEP_2)
	v_cmpx_ne_u32_e32 0x7f, v36
	s_cbranch_execz .LBB344_585
; %bb.582:                              ;   in Loop: Header=BB344_16 Depth=1
	v_and_b32_e32 v7, 7, v43
	v_lshrrev_b32_e32 v44, 3, v36
	v_cmp_gt_u32_e64 s1, 8, v36
	s_delay_alu instid0(VALU_DEP_3) | instskip(NEXT) | instid1(VALU_DEP_2)
	v_dual_mov_b32 v36, v8 :: v_dual_mov_b32 v35, v7
	s_and_saveexec_b32 s24, s1
; %bb.583:                              ;   in Loop: Header=BB344_16 Depth=1
	v_clz_i32_u32_e32 v35, v7
	s_delay_alu instid0(VALU_DEP_1) | instskip(NEXT) | instid1(VALU_DEP_1)
	v_min_u32_e32 v44, 32, v35
	v_subrev_nc_u32_e32 v35, 28, v44
	v_sub_nc_u32_e32 v44, 29, v44
	s_delay_alu instid0(VALU_DEP_2) | instskip(NEXT) | instid1(VALU_DEP_1)
	v_lshlrev_b64 v[35:36], v35, v[7:8]
	v_and_b32_e32 v35, 7, v35
; %bb.584:                              ;   in Loop: Header=BB344_16 Depth=1
	s_or_b32 exec_lo, exec_lo, s24
	v_lshlrev_b32_e32 v7, 8, v43
	v_lshl_add_u32 v36, v44, 10, 0x2000
	s_delay_alu instid0(VALU_DEP_1) | instskip(NEXT) | instid1(VALU_DEP_1)
	v_and_or_b32 v7, 0x8000, v7, v36
	v_lshl_or_b32 v7, v35, 7, v7
	s_delay_alu instid0(VALU_DEP_1)
	v_cvt_f32_f16_e32 v35, v7
.LBB344_585:                            ;   in Loop: Header=BB344_16 Depth=1
	s_or_b32 exec_lo, exec_lo, s23
.LBB344_586:                            ;   in Loop: Header=BB344_16 Depth=1
	s_delay_alu instid0(SALU_CYCLE_1)
	s_or_b32 exec_lo, exec_lo, s22
.LBB344_587:                            ;   in Loop: Header=BB344_16 Depth=1
	s_delay_alu instid0(SALU_CYCLE_1) | instskip(NEXT) | instid1(SALU_CYCLE_1)
	s_or_b32 exec_lo, exec_lo, s21
	s_mov_b32 s21, exec_lo
	v_cmpx_lt_u64_e64 s[8:9], v[33:34]
	s_cbranch_execz .LBB344_595
; %bb.588:                              ;   in Loop: Header=BB344_16 Depth=1
	v_lshrrev_b32_e32 v36, 24, v34
	v_bfrev_b32_e32 v73, 1
	s_mov_b32 s22, exec_lo
	s_delay_alu instid0(VALU_DEP_2)
	v_cmpx_ne_u32_e32 0x80, v36
	s_cbranch_execz .LBB344_594
; %bb.589:                              ;   in Loop: Header=BB344_16 Depth=1
	v_and_b32_e32 v33, 0x7f, v36
	v_mov_b32_e32 v73, 0x7fc02000
	s_mov_b32 s23, exec_lo
	s_delay_alu instid0(VALU_DEP_2)
	v_cmpx_ne_u32_e32 0x7f, v33
	s_cbranch_execz .LBB344_593
; %bb.590:                              ;   in Loop: Header=BB344_16 Depth=1
	v_and_b32_e32 v7, 7, v36
	v_lshrrev_b32_e32 v43, 3, v33
	v_cmp_gt_u32_e64 s1, 8, v33
	s_delay_alu instid0(VALU_DEP_3) | instskip(NEXT) | instid1(VALU_DEP_2)
	v_dual_mov_b32 v34, v8 :: v_dual_mov_b32 v33, v7
	s_and_saveexec_b32 s24, s1
; %bb.591:                              ;   in Loop: Header=BB344_16 Depth=1
	v_clz_i32_u32_e32 v33, v7
	s_delay_alu instid0(VALU_DEP_1) | instskip(NEXT) | instid1(VALU_DEP_1)
	v_min_u32_e32 v43, 32, v33
	v_subrev_nc_u32_e32 v33, 28, v43
	v_sub_nc_u32_e32 v43, 29, v43
	s_delay_alu instid0(VALU_DEP_2) | instskip(NEXT) | instid1(VALU_DEP_1)
	v_lshlrev_b64 v[33:34], v33, v[7:8]
	v_and_b32_e32 v33, 7, v33
; %bb.592:                              ;   in Loop: Header=BB344_16 Depth=1
	s_or_b32 exec_lo, exec_lo, s24
	v_lshlrev_b32_e32 v7, 8, v36
	v_lshl_add_u32 v34, v43, 10, 0x2000
	s_delay_alu instid0(VALU_DEP_1) | instskip(NEXT) | instid1(VALU_DEP_1)
	v_and_or_b32 v7, 0x8000, v7, v34
	v_lshl_or_b32 v7, v33, 7, v7
	s_delay_alu instid0(VALU_DEP_1)
	v_cvt_f32_f16_e32 v73, v7
.LBB344_593:                            ;   in Loop: Header=BB344_16 Depth=1
	s_or_b32 exec_lo, exec_lo, s23
.LBB344_594:                            ;   in Loop: Header=BB344_16 Depth=1
	s_delay_alu instid0(SALU_CYCLE_1)
	s_or_b32 exec_lo, exec_lo, s22
.LBB344_595:                            ;   in Loop: Header=BB344_16 Depth=1
	s_delay_alu instid0(SALU_CYCLE_1)
	s_or_b32 exec_lo, exec_lo, s21
	flat_load_b64 v[31:32], v[31:32] offset:2056
	v_mov_b32_e32 v79, 0
	s_mov_b32 s21, exec_lo
	s_waitcnt vmcnt(0) lgkmcnt(0)
	v_dual_mov_b32 v88, 0 :: v_dual_and_b32 v7, 0xff, v31
	s_delay_alu instid0(VALU_DEP_1)
	v_cmpx_ne_u16_e32 0, v7
	s_cbranch_execz .LBB344_603
; %bb.596:                              ;   in Loop: Header=BB344_16 Depth=1
	v_bfrev_b32_e32 v79, 1
	s_mov_b32 s22, exec_lo
	v_cmpx_ne_u16_e32 0x80, v7
	s_cbranch_execz .LBB344_602
; %bb.597:                              ;   in Loop: Header=BB344_16 Depth=1
	v_and_b32_e32 v33, 0x7f, v31
	v_mov_b32_e32 v79, 0x7fc02000
	s_mov_b32 s23, exec_lo
	s_delay_alu instid0(VALU_DEP_2)
	v_cmpx_ne_u32_e32 0x7f, v33
	s_cbranch_execz .LBB344_601
; %bb.598:                              ;   in Loop: Header=BB344_16 Depth=1
	v_lshrrev_b32_e32 v7, 3, v33
	v_cmp_gt_u32_e64 s1, 8, v33
	v_dual_mov_b32 v34, v32 :: v_dual_mov_b32 v33, v31
	s_delay_alu instid0(VALU_DEP_2)
	s_and_saveexec_b32 s24, s1
; %bb.599:                              ;   in Loop: Header=BB344_16 Depth=1
	v_and_b32_e32 v7, 7, v31
	s_delay_alu instid0(VALU_DEP_1) | instskip(NEXT) | instid1(VALU_DEP_1)
	v_clz_i32_u32_e32 v7, v7
	v_min_u32_e32 v7, 32, v7
	s_delay_alu instid0(VALU_DEP_1) | instskip(SKIP_1) | instid1(VALU_DEP_2)
	v_subrev_nc_u32_e32 v33, 28, v7
	v_sub_nc_u32_e32 v7, 29, v7
	v_lshlrev_b64 v[33:34], v33, v[31:32]
; %bb.600:                              ;   in Loop: Header=BB344_16 Depth=1
	s_or_b32 exec_lo, exec_lo, s24
	v_lshlrev_b32_e32 v34, 8, v31
	s_delay_alu instid0(VALU_DEP_3) | instskip(NEXT) | instid1(VALU_DEP_3)
	v_lshl_add_u32 v7, v7, 10, 0x2000
	v_lshlrev_b32_e32 v33, 7, v33
	s_delay_alu instid0(VALU_DEP_2) | instskip(NEXT) | instid1(VALU_DEP_1)
	v_and_or_b32 v7, 0x8000, v34, v7
	v_and_or_b32 v7, 0x380, v33, v7
	s_delay_alu instid0(VALU_DEP_1)
	v_cvt_f32_f16_e32 v79, v7
.LBB344_601:                            ;   in Loop: Header=BB344_16 Depth=1
	s_or_b32 exec_lo, exec_lo, s23
.LBB344_602:                            ;   in Loop: Header=BB344_16 Depth=1
	s_delay_alu instid0(SALU_CYCLE_1)
	s_or_b32 exec_lo, exec_lo, s22
.LBB344_603:                            ;   in Loop: Header=BB344_16 Depth=1
	s_delay_alu instid0(SALU_CYCLE_1) | instskip(SKIP_2) | instid1(VALU_DEP_1)
	s_or_b32 exec_lo, exec_lo, s21
	v_lshrrev_b16 v7, 8, v31
	s_mov_b32 s21, exec_lo
	v_cmpx_ne_u16_e32 0, v7
	s_cbranch_execz .LBB344_611
; %bb.604:                              ;   in Loop: Header=BB344_16 Depth=1
	v_bfrev_b32_e32 v88, 1
	s_mov_b32 s22, exec_lo
	v_cmpx_ne_u16_e32 0x80, v7
	s_cbranch_execz .LBB344_610
; %bb.605:                              ;   in Loop: Header=BB344_16 Depth=1
	v_and_b32_e32 v36, 0xffff, v7
	v_mov_b32_e32 v88, 0x7fc02000
	s_mov_b32 s23, exec_lo
	s_delay_alu instid0(VALU_DEP_2) | instskip(NEXT) | instid1(VALU_DEP_1)
	v_and_b32_e32 v33, 0x7f, v36
	v_cmpx_ne_u32_e32 0x7f, v33
	s_cbranch_execz .LBB344_609
; %bb.606:                              ;   in Loop: Header=BB344_16 Depth=1
	v_and_b32_e32 v7, 7, v36
	v_lshrrev_b32_e32 v43, 3, v33
	v_cmp_gt_u32_e64 s1, 8, v33
	s_delay_alu instid0(VALU_DEP_3) | instskip(NEXT) | instid1(VALU_DEP_2)
	v_dual_mov_b32 v34, v8 :: v_dual_mov_b32 v33, v7
	s_and_saveexec_b32 s24, s1
; %bb.607:                              ;   in Loop: Header=BB344_16 Depth=1
	v_clz_i32_u32_e32 v33, v7
	s_delay_alu instid0(VALU_DEP_1) | instskip(NEXT) | instid1(VALU_DEP_1)
	v_min_u32_e32 v43, 32, v33
	v_subrev_nc_u32_e32 v33, 28, v43
	v_sub_nc_u32_e32 v43, 29, v43
	s_delay_alu instid0(VALU_DEP_2) | instskip(NEXT) | instid1(VALU_DEP_1)
	v_lshlrev_b64 v[33:34], v33, v[7:8]
	v_and_b32_e32 v33, 7, v33
; %bb.608:                              ;   in Loop: Header=BB344_16 Depth=1
	s_or_b32 exec_lo, exec_lo, s24
	v_lshlrev_b32_e32 v7, 8, v36
	v_lshl_add_u32 v34, v43, 10, 0x2000
	s_delay_alu instid0(VALU_DEP_1) | instskip(NEXT) | instid1(VALU_DEP_1)
	v_and_or_b32 v7, 0x8000, v7, v34
	v_lshl_or_b32 v7, v33, 7, v7
	s_delay_alu instid0(VALU_DEP_1)
	v_cvt_f32_f16_e32 v88, v7
.LBB344_609:                            ;   in Loop: Header=BB344_16 Depth=1
	s_or_b32 exec_lo, exec_lo, s23
.LBB344_610:                            ;   in Loop: Header=BB344_16 Depth=1
	s_delay_alu instid0(SALU_CYCLE_1)
	s_or_b32 exec_lo, exec_lo, s22
.LBB344_611:                            ;   in Loop: Header=BB344_16 Depth=1
	s_delay_alu instid0(SALU_CYCLE_1) | instskip(SKIP_3) | instid1(VALU_DEP_2)
	s_or_b32 exec_lo, exec_lo, s21
	v_lshrrev_b32_e32 v43, 16, v31
	v_mov_b32_e32 v89, 0
	s_mov_b32 s21, exec_lo
	v_dual_mov_b32 v36, 0 :: v_dual_and_b32 v7, 0xff, v43
	s_delay_alu instid0(VALU_DEP_1)
	v_cmpx_ne_u16_e32 0, v7
	s_cbranch_execz .LBB344_619
; %bb.612:                              ;   in Loop: Header=BB344_16 Depth=1
	v_bfrev_b32_e32 v89, 1
	s_mov_b32 s22, exec_lo
	v_cmpx_ne_u16_e32 0x80, v7
	s_cbranch_execz .LBB344_618
; %bb.613:                              ;   in Loop: Header=BB344_16 Depth=1
	v_bfe_u32 v33, v31, 16, 7
	v_mov_b32_e32 v89, 0x7fc02000
	s_mov_b32 s23, exec_lo
	s_delay_alu instid0(VALU_DEP_2)
	v_cmpx_ne_u32_e32 0x7f, v33
	s_cbranch_execz .LBB344_617
; %bb.614:                              ;   in Loop: Header=BB344_16 Depth=1
	v_and_b32_e32 v7, 7, v43
	v_lshrrev_b32_e32 v44, 3, v33
	v_cmp_gt_u32_e64 s1, 8, v33
	s_delay_alu instid0(VALU_DEP_3) | instskip(NEXT) | instid1(VALU_DEP_2)
	v_dual_mov_b32 v34, v8 :: v_dual_mov_b32 v33, v7
	s_and_saveexec_b32 s24, s1
; %bb.615:                              ;   in Loop: Header=BB344_16 Depth=1
	v_clz_i32_u32_e32 v33, v7
	s_delay_alu instid0(VALU_DEP_1) | instskip(NEXT) | instid1(VALU_DEP_1)
	v_min_u32_e32 v44, 32, v33
	v_subrev_nc_u32_e32 v33, 28, v44
	v_sub_nc_u32_e32 v44, 29, v44
	s_delay_alu instid0(VALU_DEP_2) | instskip(NEXT) | instid1(VALU_DEP_1)
	v_lshlrev_b64 v[33:34], v33, v[7:8]
	v_and_b32_e32 v33, 7, v33
; %bb.616:                              ;   in Loop: Header=BB344_16 Depth=1
	s_or_b32 exec_lo, exec_lo, s24
	v_lshlrev_b32_e32 v7, 8, v43
	v_lshl_add_u32 v34, v44, 10, 0x2000
	s_delay_alu instid0(VALU_DEP_1) | instskip(NEXT) | instid1(VALU_DEP_1)
	v_and_or_b32 v7, 0x8000, v7, v34
	v_lshl_or_b32 v7, v33, 7, v7
	s_delay_alu instid0(VALU_DEP_1)
	v_cvt_f32_f16_e32 v89, v7
.LBB344_617:                            ;   in Loop: Header=BB344_16 Depth=1
	s_or_b32 exec_lo, exec_lo, s23
.LBB344_618:                            ;   in Loop: Header=BB344_16 Depth=1
	s_delay_alu instid0(SALU_CYCLE_1)
	s_or_b32 exec_lo, exec_lo, s22
.LBB344_619:                            ;   in Loop: Header=BB344_16 Depth=1
	s_delay_alu instid0(SALU_CYCLE_1) | instskip(NEXT) | instid1(SALU_CYCLE_1)
	s_or_b32 exec_lo, exec_lo, s21
	s_mov_b32 s21, exec_lo
	v_cmpx_lt_u32_e32 0xffffff, v31
	s_cbranch_execz .LBB344_627
; %bb.620:                              ;   in Loop: Header=BB344_16 Depth=1
	v_lshrrev_b32_e32 v43, 24, v31
	v_bfrev_b32_e32 v36, 1
	s_mov_b32 s22, exec_lo
	s_delay_alu instid0(VALU_DEP_2)
	v_cmpx_ne_u32_e32 0x80, v43
	s_cbranch_execz .LBB344_626
; %bb.621:                              ;   in Loop: Header=BB344_16 Depth=1
	v_and_b32_e32 v33, 0x7f, v43
	v_mov_b32_e32 v36, 0x7fc02000
	s_mov_b32 s23, exec_lo
	s_delay_alu instid0(VALU_DEP_2)
	v_cmpx_ne_u32_e32 0x7f, v33
	s_cbranch_execz .LBB344_625
; %bb.622:                              ;   in Loop: Header=BB344_16 Depth=1
	v_and_b32_e32 v7, 7, v43
	v_lshrrev_b32_e32 v36, 3, v33
	v_cmp_gt_u32_e64 s1, 8, v33
	s_delay_alu instid0(VALU_DEP_3) | instskip(NEXT) | instid1(VALU_DEP_2)
	v_dual_mov_b32 v34, v8 :: v_dual_mov_b32 v33, v7
	s_and_saveexec_b32 s24, s1
; %bb.623:                              ;   in Loop: Header=BB344_16 Depth=1
	v_clz_i32_u32_e32 v33, v7
	s_delay_alu instid0(VALU_DEP_1) | instskip(NEXT) | instid1(VALU_DEP_1)
	v_min_u32_e32 v36, 32, v33
	v_subrev_nc_u32_e32 v33, 28, v36
	v_sub_nc_u32_e32 v36, 29, v36
	s_delay_alu instid0(VALU_DEP_2) | instskip(NEXT) | instid1(VALU_DEP_1)
	v_lshlrev_b64 v[33:34], v33, v[7:8]
	v_and_b32_e32 v33, 7, v33
; %bb.624:                              ;   in Loop: Header=BB344_16 Depth=1
	s_or_b32 exec_lo, exec_lo, s24
	v_lshlrev_b32_e32 v7, 8, v43
	v_lshl_add_u32 v34, v36, 10, 0x2000
	s_delay_alu instid0(VALU_DEP_1) | instskip(NEXT) | instid1(VALU_DEP_1)
	v_and_or_b32 v7, 0x8000, v7, v34
	v_lshl_or_b32 v7, v33, 7, v7
	s_delay_alu instid0(VALU_DEP_1)
	v_cvt_f32_f16_e32 v36, v7
.LBB344_625:                            ;   in Loop: Header=BB344_16 Depth=1
	s_or_b32 exec_lo, exec_lo, s23
.LBB344_626:                            ;   in Loop: Header=BB344_16 Depth=1
	s_delay_alu instid0(SALU_CYCLE_1)
	s_or_b32 exec_lo, exec_lo, s22
.LBB344_627:                            ;   in Loop: Header=BB344_16 Depth=1
	s_delay_alu instid0(SALU_CYCLE_1) | instskip(SKIP_4) | instid1(VALU_DEP_3)
	s_or_b32 exec_lo, exec_lo, s21
	v_dual_mov_b32 v90, 0 :: v_dual_and_b32 v33, 0xff, v32
	v_mov_b32_e32 v7, v32
	v_mov_b32_e32 v91, 0
	s_mov_b32 s21, exec_lo
	v_cmpx_ne_u16_e32 0, v33
	s_cbranch_execz .LBB344_635
; %bb.628:                              ;   in Loop: Header=BB344_16 Depth=1
	v_bfrev_b32_e32 v90, 1
	s_mov_b32 s22, exec_lo
	v_cmpx_ne_u16_e32 0x80, v33
	s_cbranch_execz .LBB344_634
; %bb.629:                              ;   in Loop: Header=BB344_16 Depth=1
	v_and_b32_e32 v33, 0x7f, v32
	v_mov_b32_e32 v90, 0x7fc02000
	s_mov_b32 s23, exec_lo
	s_delay_alu instid0(VALU_DEP_2)
	v_cmpx_ne_u32_e32 0x7f, v33
	s_cbranch_execz .LBB344_633
; %bb.630:                              ;   in Loop: Header=BB344_16 Depth=1
	v_lshrrev_b32_e32 v43, 3, v33
	v_cmp_gt_u32_e64 s1, 8, v33
	v_dual_mov_b32 v34, v8 :: v_dual_mov_b32 v33, v7
	s_delay_alu instid0(VALU_DEP_2)
	s_and_saveexec_b32 s24, s1
; %bb.631:                              ;   in Loop: Header=BB344_16 Depth=1
	v_and_b32_e32 v33, 7, v32
	s_delay_alu instid0(VALU_DEP_1) | instskip(NEXT) | instid1(VALU_DEP_1)
	v_clz_i32_u32_e32 v33, v33
	v_min_u32_e32 v43, 32, v33
	s_delay_alu instid0(VALU_DEP_1) | instskip(SKIP_1) | instid1(VALU_DEP_2)
	v_subrev_nc_u32_e32 v33, 28, v43
	v_sub_nc_u32_e32 v43, 29, v43
	v_lshlrev_b64 v[33:34], v33, v[7:8]
; %bb.632:                              ;   in Loop: Header=BB344_16 Depth=1
	s_or_b32 exec_lo, exec_lo, s24
	v_lshlrev_b32_e32 v34, 8, v32
	s_delay_alu instid0(VALU_DEP_3) | instskip(NEXT) | instid1(VALU_DEP_3)
	v_lshl_add_u32 v43, v43, 10, 0x2000
	v_lshlrev_b32_e32 v33, 7, v33
	s_delay_alu instid0(VALU_DEP_2) | instskip(NEXT) | instid1(VALU_DEP_1)
	v_and_or_b32 v34, 0x8000, v34, v43
	v_and_or_b32 v33, 0x380, v33, v34
	s_delay_alu instid0(VALU_DEP_1)
	v_cvt_f32_f16_e32 v90, v33
.LBB344_633:                            ;   in Loop: Header=BB344_16 Depth=1
	s_or_b32 exec_lo, exec_lo, s23
.LBB344_634:                            ;   in Loop: Header=BB344_16 Depth=1
	s_delay_alu instid0(SALU_CYCLE_1)
	s_or_b32 exec_lo, exec_lo, s22
.LBB344_635:                            ;   in Loop: Header=BB344_16 Depth=1
	s_delay_alu instid0(SALU_CYCLE_1) | instskip(SKIP_2) | instid1(VALU_DEP_1)
	s_or_b32 exec_lo, exec_lo, s21
	v_lshrrev_b16 v7, 8, v7
	s_mov_b32 s21, exec_lo
	v_cmpx_ne_u16_e32 0, v7
	s_cbranch_execz .LBB344_643
; %bb.636:                              ;   in Loop: Header=BB344_16 Depth=1
	v_bfrev_b32_e32 v91, 1
	s_mov_b32 s22, exec_lo
	v_cmpx_ne_u16_e32 0x80, v7
	s_cbranch_execz .LBB344_642
; %bb.637:                              ;   in Loop: Header=BB344_16 Depth=1
	v_and_b32_e32 v43, 0xffff, v7
	v_mov_b32_e32 v91, 0x7fc02000
	s_mov_b32 s23, exec_lo
	s_delay_alu instid0(VALU_DEP_2) | instskip(NEXT) | instid1(VALU_DEP_1)
	v_and_b32_e32 v33, 0x7f, v43
	v_cmpx_ne_u32_e32 0x7f, v33
	s_cbranch_execz .LBB344_641
; %bb.638:                              ;   in Loop: Header=BB344_16 Depth=1
	v_and_b32_e32 v7, 7, v43
	v_lshrrev_b32_e32 v44, 3, v33
	v_cmp_gt_u32_e64 s1, 8, v33
	s_delay_alu instid0(VALU_DEP_3) | instskip(NEXT) | instid1(VALU_DEP_2)
	v_dual_mov_b32 v34, v8 :: v_dual_mov_b32 v33, v7
	s_and_saveexec_b32 s24, s1
; %bb.639:                              ;   in Loop: Header=BB344_16 Depth=1
	v_clz_i32_u32_e32 v33, v7
	s_delay_alu instid0(VALU_DEP_1) | instskip(NEXT) | instid1(VALU_DEP_1)
	v_min_u32_e32 v44, 32, v33
	v_subrev_nc_u32_e32 v33, 28, v44
	v_sub_nc_u32_e32 v44, 29, v44
	s_delay_alu instid0(VALU_DEP_2) | instskip(NEXT) | instid1(VALU_DEP_1)
	v_lshlrev_b64 v[33:34], v33, v[7:8]
	v_and_b32_e32 v33, 7, v33
; %bb.640:                              ;   in Loop: Header=BB344_16 Depth=1
	s_or_b32 exec_lo, exec_lo, s24
	v_lshlrev_b32_e32 v7, 8, v43
	v_lshl_add_u32 v34, v44, 10, 0x2000
	s_delay_alu instid0(VALU_DEP_1) | instskip(NEXT) | instid1(VALU_DEP_1)
	v_and_or_b32 v7, 0x8000, v7, v34
	v_lshl_or_b32 v7, v33, 7, v7
	s_delay_alu instid0(VALU_DEP_1)
	v_cvt_f32_f16_e32 v91, v7
.LBB344_641:                            ;   in Loop: Header=BB344_16 Depth=1
	s_or_b32 exec_lo, exec_lo, s23
.LBB344_642:                            ;   in Loop: Header=BB344_16 Depth=1
	s_delay_alu instid0(SALU_CYCLE_1)
	s_or_b32 exec_lo, exec_lo, s22
.LBB344_643:                            ;   in Loop: Header=BB344_16 Depth=1
	s_delay_alu instid0(SALU_CYCLE_1) | instskip(SKIP_3) | instid1(VALU_DEP_2)
	s_or_b32 exec_lo, exec_lo, s21
	v_lshrrev_b32_e32 v43, 16, v32
	v_mov_b32_e32 v33, 0
	s_mov_b32 s21, exec_lo
	v_dual_mov_b32 v92, 0 :: v_dual_and_b32 v7, 0xff, v43
	s_delay_alu instid0(VALU_DEP_1)
	v_cmpx_ne_u16_e32 0, v7
	s_cbranch_execz .LBB344_651
; %bb.644:                              ;   in Loop: Header=BB344_16 Depth=1
	v_bfrev_b32_e32 v33, 1
	s_mov_b32 s22, exec_lo
	v_cmpx_ne_u16_e32 0x80, v7
	s_cbranch_execz .LBB344_650
; %bb.645:                              ;   in Loop: Header=BB344_16 Depth=1
	v_bfe_u32 v34, v32, 16, 7
	v_mov_b32_e32 v33, 0x7fc02000
	s_mov_b32 s23, exec_lo
	s_delay_alu instid0(VALU_DEP_2)
	v_cmpx_ne_u32_e32 0x7f, v34
	s_cbranch_execz .LBB344_649
; %bb.646:                              ;   in Loop: Header=BB344_16 Depth=1
	v_and_b32_e32 v7, 7, v43
	v_lshrrev_b32_e32 v44, 3, v34
	v_cmp_gt_u32_e64 s1, 8, v34
	s_delay_alu instid0(VALU_DEP_3) | instskip(NEXT) | instid1(VALU_DEP_2)
	v_dual_mov_b32 v34, v8 :: v_dual_mov_b32 v33, v7
	s_and_saveexec_b32 s24, s1
; %bb.647:                              ;   in Loop: Header=BB344_16 Depth=1
	v_clz_i32_u32_e32 v33, v7
	s_delay_alu instid0(VALU_DEP_1) | instskip(NEXT) | instid1(VALU_DEP_1)
	v_min_u32_e32 v44, 32, v33
	v_subrev_nc_u32_e32 v33, 28, v44
	v_sub_nc_u32_e32 v44, 29, v44
	s_delay_alu instid0(VALU_DEP_2) | instskip(NEXT) | instid1(VALU_DEP_1)
	v_lshlrev_b64 v[33:34], v33, v[7:8]
	v_and_b32_e32 v33, 7, v33
; %bb.648:                              ;   in Loop: Header=BB344_16 Depth=1
	s_or_b32 exec_lo, exec_lo, s24
	v_lshlrev_b32_e32 v7, 8, v43
	v_lshl_add_u32 v34, v44, 10, 0x2000
	s_delay_alu instid0(VALU_DEP_1) | instskip(NEXT) | instid1(VALU_DEP_1)
	v_and_or_b32 v7, 0x8000, v7, v34
	v_lshl_or_b32 v7, v33, 7, v7
	s_delay_alu instid0(VALU_DEP_1)
	v_cvt_f32_f16_e32 v33, v7
.LBB344_649:                            ;   in Loop: Header=BB344_16 Depth=1
	s_or_b32 exec_lo, exec_lo, s23
.LBB344_650:                            ;   in Loop: Header=BB344_16 Depth=1
	s_delay_alu instid0(SALU_CYCLE_1)
	s_or_b32 exec_lo, exec_lo, s22
.LBB344_651:                            ;   in Loop: Header=BB344_16 Depth=1
	s_delay_alu instid0(SALU_CYCLE_1) | instskip(NEXT) | instid1(SALU_CYCLE_1)
	s_or_b32 exec_lo, exec_lo, s21
	s_mov_b32 s21, exec_lo
	v_cmpx_lt_u64_e64 s[8:9], v[31:32]
	s_cbranch_execz .LBB344_14
; %bb.652:                              ;   in Loop: Header=BB344_16 Depth=1
	v_lshrrev_b32_e32 v34, 24, v32
	v_bfrev_b32_e32 v92, 1
	s_mov_b32 s22, exec_lo
	s_delay_alu instid0(VALU_DEP_2)
	v_cmpx_ne_u32_e32 0x80, v34
	s_cbranch_execz .LBB344_13
; %bb.653:                              ;   in Loop: Header=BB344_16 Depth=1
	v_and_b32_e32 v31, 0x7f, v34
	v_mov_b32_e32 v92, 0x7fc02000
	s_mov_b32 s23, exec_lo
	s_delay_alu instid0(VALU_DEP_2)
	v_cmpx_ne_u32_e32 0x7f, v31
	s_cbranch_execz .LBB344_12
; %bb.654:                              ;   in Loop: Header=BB344_16 Depth=1
	v_and_b32_e32 v7, 7, v34
	v_lshrrev_b32_e32 v43, 3, v31
	v_cmp_gt_u32_e64 s1, 8, v31
	s_delay_alu instid0(VALU_DEP_3) | instskip(NEXT) | instid1(VALU_DEP_2)
	v_dual_mov_b32 v32, v8 :: v_dual_mov_b32 v31, v7
	s_and_saveexec_b32 s24, s1
	s_cbranch_execz .LBB344_11
; %bb.655:                              ;   in Loop: Header=BB344_16 Depth=1
	v_clz_i32_u32_e32 v31, v7
	s_delay_alu instid0(VALU_DEP_1) | instskip(NEXT) | instid1(VALU_DEP_1)
	v_min_u32_e32 v43, 32, v31
	v_subrev_nc_u32_e32 v31, 28, v43
	v_sub_nc_u32_e32 v43, 29, v43
	s_delay_alu instid0(VALU_DEP_2) | instskip(NEXT) | instid1(VALU_DEP_1)
	v_lshlrev_b64 v[31:32], v31, v[7:8]
	v_and_b32_e32 v31, 7, v31
	s_branch .LBB344_11
.LBB344_656:
	s_or_b32 exec_lo, exec_lo, s20
.LBB344_657:
	s_delay_alu instid0(SALU_CYCLE_1) | instskip(SKIP_4) | instid1(VALU_DEP_2)
	s_or_b32 exec_lo, exec_lo, s19
	v_mbcnt_lo_u32_b32 v7, -1, 0
	s_waitcnt lgkmcnt(0)
	s_lshr_b32 s8, s18, 16
	v_max_f32_e32 v20, v67, v67
	v_xor_b32_e32 v8, 16, v7
	v_xor_b32_e32 v13, 8, v7
	;; [unrolled: 1-line block ×4, first 2 shown]
	s_delay_alu instid0(VALU_DEP_4) | instskip(SKIP_4) | instid1(VALU_DEP_2)
	v_cmp_gt_i32_e32 vcc_lo, 32, v8
	v_cndmask_b32_e32 v8, v7, v8, vcc_lo
	v_cmp_gt_i32_e32 vcc_lo, 32, v13
	v_cndmask_b32_e32 v13, v7, v13, vcc_lo
	v_cmp_gt_i32_e32 vcc_lo, 32, v21
	v_lshlrev_b32_e32 v13, 2, v13
	v_lshlrev_b32_e32 v9, 2, v8
	v_cndmask_b32_e32 v21, v7, v21, vcc_lo
	ds_bpermute_b32 v8, v9, v67
	v_lshlrev_b32_e32 v24, 2, v21
	v_xor_b32_e32 v21, 2, v7
	s_delay_alu instid0(VALU_DEP_1) | instskip(SKIP_2) | instid1(VALU_DEP_2)
	v_cmp_gt_i32_e32 vcc_lo, 32, v21
	v_cndmask_b32_e32 v21, v7, v21, vcc_lo
	v_cmp_gt_i32_e32 vcc_lo, 32, v25
	v_lshlrev_b32_e32 v21, 2, v21
	v_cndmask_b32_e32 v25, v7, v25, vcc_lo
	v_cmp_eq_u32_e32 vcc_lo, 0, v49
	s_waitcnt lgkmcnt(0)
	v_max_f32_e32 v8, v8, v8
	s_delay_alu instid0(VALU_DEP_1) | instskip(SKIP_3) | instid1(VALU_DEP_1)
	v_max_f32_e32 v8, v20, v8
	ds_bpermute_b32 v20, v13, v8
	s_waitcnt lgkmcnt(0)
	v_max_f32_e32 v20, v20, v20
	v_max_f32_e32 v8, v8, v20
	ds_bpermute_b32 v20, v24, v8
	s_waitcnt lgkmcnt(0)
	v_max_f32_e32 v20, v20, v20
	s_delay_alu instid0(VALU_DEP_1) | instskip(SKIP_3) | instid1(VALU_DEP_1)
	v_max_f32_e32 v8, v8, v20
	ds_bpermute_b32 v20, v21, v8
	s_waitcnt lgkmcnt(0)
	v_max_f32_e32 v20, v20, v20
	v_dual_max_f32 v7, v8, v20 :: v_dual_lshlrev_b32 v20, 2, v25
	v_lshlrev_b32_e32 v25, 2, v48
	ds_bpermute_b32 v8, v20, v7
	s_and_saveexec_b32 s1, vcc_lo
	s_cbranch_execz .LBB344_659
; %bb.658:
	s_waitcnt lgkmcnt(0)
	v_dual_max_f32 v8, v8, v8 :: v_dual_max_f32 v7, v7, v7
	s_delay_alu instid0(VALU_DEP_1)
	v_max_f32_e32 v7, v7, v8
	ds_store_b32 v25, v7 offset:160
.LBB344_659:
	s_or_b32 exec_lo, exec_lo, s1
	v_cmp_gt_u32_e64 s1, 4, v49
	v_mov_b32_e32 v7, 0xff7fffff
	s_waitcnt lgkmcnt(0)
	s_barrier
	buffer_gl0_inv
	s_and_saveexec_b32 s2, s1
	s_cbranch_execz .LBB344_661
; %bb.660:
	ds_load_b32 v7, v66 offset:160
.LBB344_661:
	s_or_b32 exec_lo, exec_lo, s2
	s_waitcnt lgkmcnt(0)
	ds_bpermute_b32 v8, v21, v7
	v_max_f32_e32 v7, v7, v7
	v_subrev_nc_u32_e32 v29, s13, v52
	v_mov_b32_e32 v28, 0
	s_waitcnt lgkmcnt(0)
	v_max_f32_e32 v8, v8, v8
	s_delay_alu instid0(VALU_DEP_1) | instskip(SKIP_3) | instid1(VALU_DEP_1)
	v_max_f32_e32 v7, v7, v8
	ds_bpermute_b32 v8, v20, v7
	s_waitcnt lgkmcnt(0)
	v_max_f32_e32 v8, v8, v8
	v_max_f32_e32 v7, v7, v8
	v_lshl_add_u32 v8, v29, 5, s3
	ds_bpermute_b32 v7, v28, v7
	v_min_i32_e32 v8, v8, v38
	s_delay_alu instid0(VALU_DEP_1) | instskip(NEXT) | instid1(VALU_DEP_1)
	v_subrev_nc_u32_e32 v8, s3, v8
	v_cmp_lt_i32_e64 s2, v37, v8
	s_delay_alu instid0(VALU_DEP_1)
	s_and_saveexec_b32 s9, s2
	s_cbranch_execz .LBB344_665
; %bb.662:
	s_getpc_b64 s[16:17]
	s_add_u32 s16, s16, llvm.amdgcn.dynlds.offset.table@rel32@lo+4
	s_addc_u32 s17, s17, llvm.amdgcn.dynlds.offset.table@rel32@hi+12
	s_ashr_i32 s7, s6, 31
	v_dual_mov_b32 v28, 0 :: v_dual_mov_b32 v31, v37
	s_lshl_b64 s[18:19], s[6:7], 2
	s_mov_b32 s7, 0
	s_add_u32 s16, s18, s16
	s_addc_u32 s17, s19, s17
	s_load_b32 s3, s[16:17], 0x0
	s_waitcnt lgkmcnt(0)
	v_lshl_add_u32 v29, v37, 2, s3
	.p2align	6
.LBB344_663:                            ; =>This Inner Loop Header: Depth=1
	ds_load_b32 v32, v29
	s_waitcnt lgkmcnt(0)
	v_sub_f32_e32 v32, v32, v7
	s_delay_alu instid0(VALU_DEP_1) | instskip(NEXT) | instid1(VALU_DEP_1)
	v_mul_f32_e32 v32, 0x3fb8aa3b, v32
	v_exp_f32_e32 v32, v32
	s_waitcnt_depctr 0xfff
	v_dual_add_f32 v28, v28, v32 :: v_dual_add_nc_u32 v31, 0x80, v31
	s_delay_alu instid0(VALU_DEP_1) | instskip(SKIP_3) | instid1(SALU_CYCLE_1)
	v_cmp_ge_i32_e64 s3, v31, v8
	ds_store_b32 v29, v32
	v_add_nc_u32_e32 v29, 0x200, v29
	s_or_b32 s7, s3, s7
	s_and_not1_b32 exec_lo, exec_lo, s7
	s_cbranch_execnz .LBB344_663
; %bb.664:
	s_or_b32 exec_lo, exec_lo, s7
.LBB344_665:
	s_delay_alu instid0(SALU_CYCLE_1)
	s_or_b32 exec_lo, exec_lo, s9
	ds_bpermute_b32 v9, v9, v28
	s_waitcnt lgkmcnt(0)
	v_add_f32_e32 v9, v28, v9
	ds_bpermute_b32 v13, v13, v9
	s_waitcnt lgkmcnt(0)
	v_add_f32_e32 v9, v9, v13
	;; [unrolled: 3-line block ×5, first 2 shown]
	s_and_saveexec_b32 s3, vcc_lo
	s_cbranch_execz .LBB344_667
; %bb.666:
	ds_store_b32 v25, v9 offset:176
.LBB344_667:
	s_or_b32 exec_lo, exec_lo, s3
	s_waitcnt lgkmcnt(0)
	s_barrier
	buffer_gl0_inv
	s_and_saveexec_b32 s3, s1
	s_cbranch_execz .LBB344_669
; %bb.668:
	ds_load_b32 v9, v66 offset:176
.LBB344_669:
	s_or_b32 exec_lo, exec_lo, s3
	s_waitcnt lgkmcnt(0)
	ds_bpermute_b32 v13, v21, v9
	s_waitcnt lgkmcnt(0)
	v_add_f32_e32 v9, v9, v13
	ds_bpermute_b32 v13, v20, v9
	s_waitcnt lgkmcnt(0)
	v_add_f32_e32 v9, v9, v13
	v_mov_b32_e32 v13, 0
	ds_bpermute_b32 v9, v13, v9
	s_and_saveexec_b32 s1, s2
	s_cbranch_execz .LBB344_672
; %bb.670:
	s_waitcnt lgkmcnt(0)
	v_add_f32_e32 v24, 0x358637bd, v9
	s_getpc_b64 s[2:3]
	s_add_u32 s2, s2, llvm.amdgcn.dynlds.offset.table@rel32@lo+4
	s_addc_u32 s3, s3, llvm.amdgcn.dynlds.offset.table@rel32@hi+12
	s_ashr_i32 s7, s6, 31
	s_delay_alu instid0(SALU_CYCLE_1) | instskip(SKIP_3) | instid1(VALU_DEP_2)
	s_lshl_b64 s[16:17], s[6:7], 2
	v_div_scale_f32 v13, null, v24, v24, 1.0
	v_div_scale_f32 v29, vcc_lo, 1.0, v24, 1.0
	s_add_u32 s2, s16, s2
	v_rcp_f32_e32 v25, v13
	s_addc_u32 s3, s17, s3
	s_load_b32 s2, s[2:3], 0x0
	s_waitcnt_depctr 0xfff
	v_fma_f32 v28, -v13, v25, 1.0
	s_delay_alu instid0(VALU_DEP_1) | instskip(NEXT) | instid1(VALU_DEP_1)
	v_fmac_f32_e32 v25, v28, v25
	v_mul_f32_e32 v28, v29, v25
	s_delay_alu instid0(VALU_DEP_1) | instskip(NEXT) | instid1(VALU_DEP_1)
	v_fma_f32 v31, -v13, v28, v29
	v_fmac_f32_e32 v28, v31, v25
	s_delay_alu instid0(VALU_DEP_1) | instskip(NEXT) | instid1(VALU_DEP_1)
	v_fma_f32 v13, -v13, v28, v29
	v_div_fmas_f32 v25, v13, v25, v28
	s_waitcnt lgkmcnt(0)
	v_lshl_add_u32 v13, v37, 2, s2
	s_mov_b32 s2, 0
	s_delay_alu instid0(VALU_DEP_2)
	v_div_fixup_f32 v24, v25, v24, 1.0
	v_mov_b32_e32 v25, v37
.LBB344_671:                            ; =>This Inner Loop Header: Depth=1
	ds_load_b32 v28, v13
	s_waitcnt lgkmcnt(0)
	v_dual_mul_f32 v28, v24, v28 :: v_dual_add_nc_u32 v25, 0x80, v25
	s_delay_alu instid0(VALU_DEP_1) | instskip(SKIP_3) | instid1(SALU_CYCLE_1)
	v_cmp_ge_i32_e32 vcc_lo, v25, v8
	ds_store_b32 v13, v28
	v_add_nc_u32_e32 v13, 0x200, v13
	s_or_b32 s2, vcc_lo, s2
	s_and_not1_b32 exec_lo, exec_lo, s2
	s_cbranch_execnz .LBB344_671
.LBB344_672:
	s_or_b32 exec_lo, exec_lo, s1
	v_cmp_ne_u16_e64 s1, s8, 0
	s_waitcnt lgkmcnt(0)
	s_barrier
	buffer_gl0_inv
	s_cmp_lg_u32 s1, 0
	s_addc_u32 s1, s5, 0
	s_mov_b32 s5, exec_lo
	s_mul_i32 s2, s1, s10
	s_delay_alu instid0(SALU_CYCLE_1)
	s_mul_i32 s2, s2, s15
	v_cmpx_eq_u32_e32 0, v37
	s_cbranch_execz .LBB344_674
; %bb.673:
	s_mul_i32 s8, s1, s12
	s_ashr_i32 s15, s14, 31
	s_ashr_i32 s9, s8, 31
	;; [unrolled: 1-line block ×3, first 2 shown]
	s_lshl_b64 s[8:9], s[8:9], 2
	s_lshl_b64 s[12:13], s[14:15], 2
	s_lshl_b64 s[16:17], s[2:3], 2
	s_add_u32 s3, s12, s8
	s_addc_u32 s7, s13, s9
	s_add_u32 s3, s3, s16
	s_addc_u32 s7, s7, s17
	v_add_co_u32 v2, vcc_lo, s3, v2
	v_add_co_ci_u32_e32 v3, vcc_lo, s7, v3, vcc_lo
	v_add_co_u32 v0, vcc_lo, s3, v0
	v_add_co_ci_u32_e32 v1, vcc_lo, s7, v1, vcc_lo
	flat_store_b32 v[2:3], v7
	flat_store_b32 v[0:1], v9
.LBB344_674:
	s_or_b32 exec_lo, exec_lo, s5
	s_ashr_i32 s7, s6, 31
	s_getpc_b64 s[8:9]
	s_add_u32 s8, s8, llvm.amdgcn.dynlds.offset.table@rel32@lo+4
	s_addc_u32 s9, s9, llvm.amdgcn.dynlds.offset.table@rel32@hi+12
	s_lshl_b64 s[6:7], s[6:7], 2
	v_dual_mov_b32 v65, 0 :: v_dual_and_b32 v24, 3, v37
	v_dual_mov_b32 v36, 0 :: v_dual_mov_b32 v35, 0
	v_dual_mov_b32 v34, 0 :: v_dual_mov_b32 v33, 0
	;; [unrolled: 1-line block ×4, first 2 shown]
	v_mov_b32_e32 v25, 0
	s_add_u32 s6, s6, s8
	s_addc_u32 s7, s7, s9
	s_mov_b32 s5, 0
	s_and_saveexec_b32 s3, s0
	s_cbranch_execz .LBB344_1340
; %bb.675:
	v_max_i32_e32 v30, v30, v55
	v_add_co_u32 v7, vcc_lo, v10, v12
	v_add_co_ci_u32_e32 v8, vcc_lo, v11, v64, vcc_lo
	s_delay_alu instid0(VALU_DEP_3)
	v_cvt_f32_u32_e32 v1, v30
	v_sub_nc_u32_e32 v11, 0, v30
	s_load_b32 s0, s[6:7], 0x0
	v_lshlrev_b32_e32 v0, 3, v37
	v_lshlrev_b64 v[2:3], 2, v[16:17]
	v_rcp_iflag_f32_e32 v9, v1
	v_dual_mov_b32 v1, 0 :: v_dual_mov_b32 v28, 0
	v_dual_mov_b32 v25, 0 :: v_dual_lshlrev_b32 v10, 5, v24
	v_mov_b32_e32 v35, 0
	v_and_b32_e32 v17, 24, v0
	v_and_b32_e32 v0, 0xf8, v0
	v_add_co_u32 v12, vcc_lo, v18, v2
	s_delay_alu instid0(TRANS32_DEP_1) | instskip(SKIP_3) | instid1(VALU_DEP_4)
	v_mul_f32_e32 v9, 0x4f7ffffe, v9
	v_add_co_ci_u32_e32 v13, vcc_lo, v19, v3, vcc_lo
	v_lshl_or_b32 v10, v48, 7, v10
	v_add_co_u32 v2, vcc_lo, v7, v0
	v_cvt_u32_f32_e32 v9, v9
	v_add_co_ci_u32_e32 v3, vcc_lo, 0, v8, vcc_lo
	v_add_co_u32 v7, vcc_lo, v14, v12
	s_delay_alu instid0(VALU_DEP_3)
	v_mul_lo_u32 v11, v11, v9
	v_dual_mov_b32 v55, v38 :: v_dual_add_nc_u32 v54, -1, v54
	v_dual_mov_b32 v29, 0 :: v_dual_mov_b32 v32, 0
	v_dual_mov_b32 v31, 0 :: v_dual_mov_b32 v34, 0
	v_dual_mov_b32 v33, 0 :: v_dual_mov_b32 v36, 0
	v_mul_hi_u32 v11, v9, v11
	v_add_co_ci_u32_e32 v8, vcc_lo, v15, v13, vcc_lo
	s_waitcnt lgkmcnt(0)
	v_add_nc_u32_e32 v15, s0, v10
	s_mov_b32 s8, -1
	s_mov_b32 s9, 0xffffff
	s_delay_alu instid0(VALU_DEP_3)
	v_dual_mov_b32 v65, 0 :: v_dual_add_nc_u32 v18, v9, v11
	s_branch .LBB344_678
.LBB344_676:                            ;   in Loop: Header=BB344_678 Depth=1
	s_or_b32 exec_lo, exec_lo, s0
	v_dual_add_f32 v12, v13, v14 :: v_dual_add_f32 v13, v114, v115
	;;#ASMSTART
	v_pk_mul_f16 v11, v85, v11;

	;;#ASMEND
	;;#ASMSTART
	v_pk_mul_f16 v10, v84, v10;

	;;#ASMEND
	;; [unrolled: 4-line block ×4, first 2 shown]
	;;#ASMSTART
	v_pk_add_f16 v10, v11, v10;

	;;#ASMEND
	;;#ASMSTART
	v_pk_add_f16 v0, v10, v0;

	;;#ASMEND
	;;#ASMSTART
	v_pk_add_f16 v0, v0, v9;

	;;#ASMEND
	v_dual_add_f32 v28, v28, v12 :: v_dual_add_f32 v29, v29, v13
	v_dual_add_f32 v12, v98, v99 :: v_dual_and_b32 v9, 0xffff, v0
	v_lshrrev_b32_e32 v0, 16, v0
	;;#ASMSTART
	v_cvt_f32_f16 v9, v9;
	;;#ASMEND
	;;#ASMSTART
	v_cvt_f32_f16 v0, v0;
	;;#ASMEND
	v_dual_add_f32 v14, v112, v113 :: v_dual_add_f32 v19, v102, v103
	v_add_f32_e32 v64, v100, v101
	v_dual_add_f32 v10, v96, v97 :: v_dual_add_f32 v11, v86, v87
	v_dual_add_f32 v13, v80, v81 :: v_dual_add_f32 v0, v9, v0
	s_delay_alu instid0(VALU_DEP_4) | instskip(NEXT) | instid1(VALU_DEP_4)
	v_dual_add_f32 v31, v31, v14 :: v_dual_add_f32 v32, v32, v19
	v_add_f32_e32 v33, v33, v64
	s_delay_alu instid0(VALU_DEP_4) | instskip(NEXT) | instid1(VALU_DEP_4)
	v_dual_add_f32 v34, v34, v12 :: v_dual_add_f32 v35, v35, v10
	v_dual_add_f32 v36, v36, v11 :: v_dual_add_f32 v65, v65, v13
	v_add_f32_e32 v25, v25, v0
.LBB344_677:                            ;   in Loop: Header=BB344_678 Depth=1
	s_or_b32 exec_lo, exec_lo, s10
	v_add_nc_u32_e32 v16, 4, v16
	v_add_co_u32 v7, s0, v7, 16
	s_delay_alu instid0(VALU_DEP_1) | instskip(NEXT) | instid1(VALU_DEP_3)
	v_add_co_ci_u32_e64 v8, s0, 0, v8, s0
	v_cmp_ge_i32_e32 vcc_lo, v16, v52
	v_add_nc_u32_e32 v23, 0x80, v23
	v_add_nc_u32_e32 v15, 0x200, v15
	s_or_b32 s5, vcc_lo, s5
	s_delay_alu instid0(SALU_CYCLE_1)
	s_and_not1_b32 exec_lo, exec_lo, s5
	s_cbranch_execz .LBB344_1339
.LBB344_678:                            ; =>This Inner Loop Header: Depth=1
	v_sub_nc_u32_e32 v0, 0, v23
	s_delay_alu instid0(VALU_DEP_1) | instskip(NEXT) | instid1(VALU_DEP_1)
	v_max_i32_e32 v0, v23, v0
	v_mul_hi_u32 v9, v0, v50
	s_delay_alu instid0(VALU_DEP_1) | instskip(NEXT) | instid1(VALU_DEP_1)
	v_mul_lo_u32 v10, v9, v39
	v_sub_nc_u32_e32 v0, v0, v10
	v_add_nc_u32_e32 v10, 1, v9
	s_delay_alu instid0(VALU_DEP_2) | instskip(SKIP_1) | instid1(VALU_DEP_2)
	v_sub_nc_u32_e32 v11, v0, v39
	v_cmp_ge_u32_e32 vcc_lo, v0, v39
	v_dual_cndmask_b32 v9, v9, v10 :: v_dual_cndmask_b32 v0, v0, v11
	v_ashrrev_i32_e32 v10, 31, v23
	s_delay_alu instid0(VALU_DEP_2) | instskip(NEXT) | instid1(VALU_DEP_3)
	v_add_nc_u32_e32 v11, 1, v9
	v_cmp_ge_u32_e32 vcc_lo, v0, v39
	s_delay_alu instid0(VALU_DEP_3) | instskip(NEXT) | instid1(VALU_DEP_3)
	v_xor_b32_e32 v10, v10, v51
	v_cndmask_b32_e32 v0, v9, v11, vcc_lo
	s_delay_alu instid0(VALU_DEP_1) | instskip(NEXT) | instid1(VALU_DEP_1)
	v_xor_b32_e32 v0, v0, v10
	v_sub_nc_u32_e32 v0, v0, v10
	s_delay_alu instid0(VALU_DEP_1) | instskip(SKIP_1) | instid1(VALU_DEP_2)
	v_add_nc_u32_e32 v9, v0, v6
	v_cmp_gt_i32_e64 s0, v0, v53
	v_sub_nc_u32_e32 v10, 0, v9
	s_delay_alu instid0(VALU_DEP_1) | instskip(NEXT) | instid1(VALU_DEP_1)
	v_max_i32_e32 v10, v9, v10
	v_mul_hi_u32 v11, v10, v18
	s_delay_alu instid0(VALU_DEP_1) | instskip(NEXT) | instid1(VALU_DEP_1)
	v_mul_lo_u32 v11, v11, v30
	v_sub_nc_u32_e32 v10, v10, v11
	s_delay_alu instid0(VALU_DEP_1) | instskip(SKIP_1) | instid1(VALU_DEP_2)
	v_sub_nc_u32_e32 v11, v10, v30
	v_cmp_ge_u32_e32 vcc_lo, v10, v30
	v_cndmask_b32_e32 v10, v10, v11, vcc_lo
	v_ashrrev_i32_e32 v9, 31, v9
	s_delay_alu instid0(VALU_DEP_2) | instskip(SKIP_1) | instid1(VALU_DEP_2)
	v_sub_nc_u32_e32 v11, v10, v30
	v_cmp_ge_u32_e32 vcc_lo, v10, v30
	v_cndmask_b32_e32 v10, v10, v11, vcc_lo
	s_delay_alu instid0(VALU_DEP_1) | instskip(NEXT) | instid1(VALU_DEP_1)
	v_xor_b32_e32 v10, v10, v9
	v_sub_nc_u32_e32 v9, v10, v9
	s_delay_alu instid0(VALU_DEP_1) | instskip(SKIP_1) | instid1(SALU_CYCLE_1)
	v_cmp_eq_u32_e32 vcc_lo, 0, v9
	s_or_b32 s0, vcc_lo, s0
	s_and_saveexec_b32 s10, s0
	s_cbranch_execz .LBB344_677
; %bb.679:                              ;   in Loop: Header=BB344_678 Depth=1
	flat_load_b32 v0, v[7:8]
	ds_load_2addr_b64 v[10:13], v15 offset1:1
	ds_load_2addr_b64 v[66:69], v15 offset0:2 offset1:3
	s_mov_b32 s0, exec_lo
	s_waitcnt lgkmcnt(1)
	;;#ASMSTART
	v_cvt_f16_f32 v80, v10;

	;;#ASMEND
	;;#ASMSTART
	v_cvt_f16_f32 v81, v11;

	;;#ASMEND
	;; [unrolled: 4-line block ×4, first 2 shown]
	s_waitcnt lgkmcnt(0)
	;;#ASMSTART
	v_cvt_f16_f32 v85, v66;

	;;#ASMEND
	;;#ASMSTART
	v_cvt_f16_f32 v83, v67;

	;;#ASMEND
	;; [unrolled: 4-line block ×4, first 2 shown]
	v_dual_mov_b32 v66, 0 :: v_dual_mov_b32 v19, 0
	s_waitcnt vmcnt(0)
	v_mad_i64_i32 v[9:10], null, v0, v22, v[2:3]
	flat_load_b64 v[11:12], v[9:10]
	flat_load_b32 v64, v[26:27]
	s_waitcnt vmcnt(1) lgkmcnt(1)
	v_and_b32_e32 v0, 0xff, v11
	s_delay_alu instid0(VALU_DEP_1)
	v_cmpx_ne_u16_e32 0, v0
	s_cbranch_execz .LBB344_687
; %bb.680:                              ;   in Loop: Header=BB344_678 Depth=1
	v_bfrev_b32_e32 v66, 1
	s_mov_b32 s12, exec_lo
	v_cmpx_ne_u16_e32 0x80, v0
	s_cbranch_execz .LBB344_686
; %bb.681:                              ;   in Loop: Header=BB344_678 Depth=1
	v_and_b32_e32 v13, 0x7f, v11
	v_mov_b32_e32 v66, 0x7fc02000
	s_mov_b32 s13, exec_lo
	s_delay_alu instid0(VALU_DEP_2)
	v_cmpx_ne_u32_e32 0x7f, v13
	s_cbranch_execz .LBB344_685
; %bb.682:                              ;   in Loop: Header=BB344_678 Depth=1
	v_lshrrev_b32_e32 v0, 3, v13
	v_cmp_gt_u32_e32 vcc_lo, 8, v13
	v_dual_mov_b32 v14, v12 :: v_dual_mov_b32 v13, v11
	s_and_saveexec_b32 s15, vcc_lo
; %bb.683:                              ;   in Loop: Header=BB344_678 Depth=1
	v_and_b32_e32 v0, 7, v11
	s_delay_alu instid0(VALU_DEP_1) | instskip(NEXT) | instid1(VALU_DEP_1)
	v_clz_i32_u32_e32 v0, v0
	v_min_u32_e32 v0, 32, v0
	s_delay_alu instid0(VALU_DEP_1) | instskip(SKIP_1) | instid1(VALU_DEP_2)
	v_subrev_nc_u32_e32 v13, 28, v0
	v_sub_nc_u32_e32 v0, 29, v0
	v_lshlrev_b64 v[13:14], v13, v[11:12]
; %bb.684:                              ;   in Loop: Header=BB344_678 Depth=1
	s_or_b32 exec_lo, exec_lo, s15
	v_lshlrev_b32_e32 v14, 8, v11
	s_delay_alu instid0(VALU_DEP_3) | instskip(NEXT) | instid1(VALU_DEP_3)
	v_lshl_add_u32 v0, v0, 10, 0x2000
	v_lshlrev_b32_e32 v13, 7, v13
	s_delay_alu instid0(VALU_DEP_2) | instskip(NEXT) | instid1(VALU_DEP_1)
	v_and_or_b32 v0, 0x8000, v14, v0
	v_and_or_b32 v0, 0x380, v13, v0
	s_delay_alu instid0(VALU_DEP_1)
	v_cvt_f32_f16_e32 v66, v0
.LBB344_685:                            ;   in Loop: Header=BB344_678 Depth=1
	s_or_b32 exec_lo, exec_lo, s13
.LBB344_686:                            ;   in Loop: Header=BB344_678 Depth=1
	s_delay_alu instid0(SALU_CYCLE_1)
	s_or_b32 exec_lo, exec_lo, s12
.LBB344_687:                            ;   in Loop: Header=BB344_678 Depth=1
	s_delay_alu instid0(SALU_CYCLE_1) | instskip(SKIP_2) | instid1(VALU_DEP_1)
	s_or_b32 exec_lo, exec_lo, s0
	v_lshrrev_b16 v0, 8, v11
	s_mov_b32 s0, exec_lo
	v_cmpx_ne_u16_e32 0, v0
	s_cbranch_execz .LBB344_695
; %bb.688:                              ;   in Loop: Header=BB344_678 Depth=1
	v_bfrev_b32_e32 v19, 1
	s_mov_b32 s12, exec_lo
	v_cmpx_ne_u16_e32 0x80, v0
	s_cbranch_execz .LBB344_694
; %bb.689:                              ;   in Loop: Header=BB344_678 Depth=1
	v_and_b32_e32 v13, 0xffff, v0
	v_mov_b32_e32 v19, 0x7fc02000
	s_mov_b32 s13, exec_lo
	s_delay_alu instid0(VALU_DEP_2) | instskip(NEXT) | instid1(VALU_DEP_1)
	v_and_b32_e32 v67, 0x7f, v13
	v_cmpx_ne_u32_e32 0x7f, v67
	s_cbranch_execz .LBB344_693
; %bb.690:                              ;   in Loop: Header=BB344_678 Depth=1
	v_and_b32_e32 v0, 7, v13
	v_lshrrev_b32_e32 v14, 3, v67
	s_mov_b32 s15, exec_lo
	v_cmpx_gt_u32_e32 8, v67
; %bb.691:                              ;   in Loop: Header=BB344_678 Depth=1
	s_delay_alu instid0(VALU_DEP_3) | instskip(NEXT) | instid1(VALU_DEP_1)
	v_clz_i32_u32_e32 v14, v0
	v_min_u32_e32 v14, 32, v14
	s_delay_alu instid0(VALU_DEP_1) | instskip(SKIP_1) | instid1(VALU_DEP_2)
	v_subrev_nc_u32_e32 v19, 28, v14
	v_sub_nc_u32_e32 v14, 29, v14
	v_lshlrev_b64 v[67:68], v19, v[0:1]
	s_delay_alu instid0(VALU_DEP_1)
	v_and_b32_e32 v0, 7, v67
; %bb.692:                              ;   in Loop: Header=BB344_678 Depth=1
	s_or_b32 exec_lo, exec_lo, s15
	v_lshlrev_b32_e32 v13, 8, v13
	v_lshl_add_u32 v14, v14, 10, 0x2000
	s_delay_alu instid0(VALU_DEP_1) | instskip(NEXT) | instid1(VALU_DEP_1)
	v_and_or_b32 v13, 0x8000, v13, v14
	v_lshl_or_b32 v0, v0, 7, v13
	s_delay_alu instid0(VALU_DEP_1)
	v_cvt_f32_f16_e32 v19, v0
.LBB344_693:                            ;   in Loop: Header=BB344_678 Depth=1
	s_or_b32 exec_lo, exec_lo, s13
.LBB344_694:                            ;   in Loop: Header=BB344_678 Depth=1
	s_delay_alu instid0(SALU_CYCLE_1)
	s_or_b32 exec_lo, exec_lo, s12
.LBB344_695:                            ;   in Loop: Header=BB344_678 Depth=1
	s_delay_alu instid0(SALU_CYCLE_1) | instskip(SKIP_3) | instid1(VALU_DEP_2)
	s_or_b32 exec_lo, exec_lo, s0
	v_lshrrev_b32_e32 v13, 16, v11
	v_mov_b32_e32 v68, 0
	s_mov_b32 s0, exec_lo
	v_dual_mov_b32 v67, 0 :: v_dual_and_b32 v0, 0xff, v13
	s_delay_alu instid0(VALU_DEP_1)
	v_cmpx_ne_u16_e32 0, v0
	s_cbranch_execz .LBB344_703
; %bb.696:                              ;   in Loop: Header=BB344_678 Depth=1
	v_bfrev_b32_e32 v67, 1
	s_mov_b32 s12, exec_lo
	v_cmpx_ne_u16_e32 0x80, v0
	s_cbranch_execz .LBB344_702
; %bb.697:                              ;   in Loop: Header=BB344_678 Depth=1
	v_bfe_u32 v69, v11, 16, 7
	v_mov_b32_e32 v67, 0x7fc02000
	s_mov_b32 s13, exec_lo
	s_delay_alu instid0(VALU_DEP_2)
	v_cmpx_ne_u32_e32 0x7f, v69
	s_cbranch_execz .LBB344_701
; %bb.698:                              ;   in Loop: Header=BB344_678 Depth=1
	v_and_b32_e32 v0, 7, v13
	v_lshrrev_b32_e32 v14, 3, v69
	s_mov_b32 s15, exec_lo
	v_cmpx_gt_u32_e32 8, v69
; %bb.699:                              ;   in Loop: Header=BB344_678 Depth=1
	s_delay_alu instid0(VALU_DEP_3) | instskip(NEXT) | instid1(VALU_DEP_1)
	v_clz_i32_u32_e32 v14, v0
	v_min_u32_e32 v14, 32, v14
	s_delay_alu instid0(VALU_DEP_1) | instskip(SKIP_1) | instid1(VALU_DEP_2)
	v_subrev_nc_u32_e32 v67, 28, v14
	v_sub_nc_u32_e32 v14, 29, v14
	v_lshlrev_b64 v[69:70], v67, v[0:1]
	s_delay_alu instid0(VALU_DEP_1)
	v_and_b32_e32 v0, 7, v69
; %bb.700:                              ;   in Loop: Header=BB344_678 Depth=1
	s_or_b32 exec_lo, exec_lo, s15
	v_lshlrev_b32_e32 v13, 8, v13
	v_lshl_add_u32 v14, v14, 10, 0x2000
	s_delay_alu instid0(VALU_DEP_1) | instskip(NEXT) | instid1(VALU_DEP_1)
	v_and_or_b32 v13, 0x8000, v13, v14
	v_lshl_or_b32 v0, v0, 7, v13
	s_delay_alu instid0(VALU_DEP_1)
	v_cvt_f32_f16_e32 v67, v0
.LBB344_701:                            ;   in Loop: Header=BB344_678 Depth=1
	s_or_b32 exec_lo, exec_lo, s13
.LBB344_702:                            ;   in Loop: Header=BB344_678 Depth=1
	s_delay_alu instid0(SALU_CYCLE_1)
	s_or_b32 exec_lo, exec_lo, s12
.LBB344_703:                            ;   in Loop: Header=BB344_678 Depth=1
	s_delay_alu instid0(SALU_CYCLE_1) | instskip(NEXT) | instid1(SALU_CYCLE_1)
	s_or_b32 exec_lo, exec_lo, s0
	s_mov_b32 s0, exec_lo
	v_cmpx_lt_u32_e32 0xffffff, v11
	s_cbranch_execz .LBB344_711
; %bb.704:                              ;   in Loop: Header=BB344_678 Depth=1
	v_lshrrev_b32_e32 v13, 24, v11
	v_bfrev_b32_e32 v68, 1
	s_mov_b32 s12, exec_lo
	s_delay_alu instid0(VALU_DEP_2)
	v_cmpx_ne_u32_e32 0x80, v13
	s_cbranch_execz .LBB344_710
; %bb.705:                              ;   in Loop: Header=BB344_678 Depth=1
	v_and_b32_e32 v69, 0x7f, v13
	v_mov_b32_e32 v68, 0x7fc02000
	s_mov_b32 s13, exec_lo
	s_delay_alu instid0(VALU_DEP_2)
	v_cmpx_ne_u32_e32 0x7f, v69
	s_cbranch_execz .LBB344_709
; %bb.706:                              ;   in Loop: Header=BB344_678 Depth=1
	v_and_b32_e32 v0, 7, v13
	v_lshrrev_b32_e32 v14, 3, v69
	s_mov_b32 s15, exec_lo
	v_cmpx_gt_u32_e32 8, v69
; %bb.707:                              ;   in Loop: Header=BB344_678 Depth=1
	s_delay_alu instid0(VALU_DEP_3) | instskip(NEXT) | instid1(VALU_DEP_1)
	v_clz_i32_u32_e32 v14, v0
	v_min_u32_e32 v14, 32, v14
	s_delay_alu instid0(VALU_DEP_1) | instskip(SKIP_1) | instid1(VALU_DEP_2)
	v_subrev_nc_u32_e32 v68, 28, v14
	v_sub_nc_u32_e32 v14, 29, v14
	v_lshlrev_b64 v[68:69], v68, v[0:1]
	s_delay_alu instid0(VALU_DEP_1)
	v_and_b32_e32 v0, 7, v68
; %bb.708:                              ;   in Loop: Header=BB344_678 Depth=1
	s_or_b32 exec_lo, exec_lo, s15
	v_lshlrev_b32_e32 v13, 8, v13
	v_lshl_add_u32 v14, v14, 10, 0x2000
	s_delay_alu instid0(VALU_DEP_1) | instskip(NEXT) | instid1(VALU_DEP_1)
	v_and_or_b32 v13, 0x8000, v13, v14
	v_lshl_or_b32 v0, v0, 7, v13
	s_delay_alu instid0(VALU_DEP_1)
	v_cvt_f32_f16_e32 v68, v0
.LBB344_709:                            ;   in Loop: Header=BB344_678 Depth=1
	s_or_b32 exec_lo, exec_lo, s13
.LBB344_710:                            ;   in Loop: Header=BB344_678 Depth=1
	s_delay_alu instid0(SALU_CYCLE_1)
	s_or_b32 exec_lo, exec_lo, s12
.LBB344_711:                            ;   in Loop: Header=BB344_678 Depth=1
	s_delay_alu instid0(SALU_CYCLE_1) | instskip(SKIP_3) | instid1(VALU_DEP_2)
	s_or_b32 exec_lo, exec_lo, s0
	v_dual_mov_b32 v69, 0 :: v_dual_and_b32 v14, 0xff, v12
	v_dual_mov_b32 v0, v12 :: v_dual_mov_b32 v13, 0
	s_mov_b32 s0, exec_lo
	v_cmpx_ne_u16_e32 0, v14
	s_cbranch_execz .LBB344_719
; %bb.712:                              ;   in Loop: Header=BB344_678 Depth=1
	v_bfrev_b32_e32 v13, 1
	s_mov_b32 s12, exec_lo
	v_cmpx_ne_u16_e32 0x80, v14
	s_cbranch_execz .LBB344_718
; %bb.713:                              ;   in Loop: Header=BB344_678 Depth=1
	v_and_b32_e32 v14, 0x7f, v12
	v_mov_b32_e32 v13, 0x7fc02000
	s_mov_b32 s13, exec_lo
	s_delay_alu instid0(VALU_DEP_2)
	v_cmpx_ne_u32_e32 0x7f, v14
	s_cbranch_execz .LBB344_717
; %bb.714:                              ;   in Loop: Header=BB344_678 Depth=1
	v_lshrrev_b32_e32 v70, 3, v14
	v_cmp_gt_u32_e32 vcc_lo, 8, v14
	v_dual_mov_b32 v14, v1 :: v_dual_mov_b32 v13, v0
	s_and_saveexec_b32 s15, vcc_lo
; %bb.715:                              ;   in Loop: Header=BB344_678 Depth=1
	v_and_b32_e32 v13, 7, v12
	s_delay_alu instid0(VALU_DEP_1) | instskip(NEXT) | instid1(VALU_DEP_1)
	v_clz_i32_u32_e32 v13, v13
	v_min_u32_e32 v70, 32, v13
	s_delay_alu instid0(VALU_DEP_1) | instskip(SKIP_1) | instid1(VALU_DEP_2)
	v_subrev_nc_u32_e32 v13, 28, v70
	v_sub_nc_u32_e32 v70, 29, v70
	v_lshlrev_b64 v[13:14], v13, v[0:1]
; %bb.716:                              ;   in Loop: Header=BB344_678 Depth=1
	s_or_b32 exec_lo, exec_lo, s15
	v_lshlrev_b32_e32 v14, 8, v12
	s_delay_alu instid0(VALU_DEP_3) | instskip(NEXT) | instid1(VALU_DEP_3)
	v_lshl_add_u32 v70, v70, 10, 0x2000
	v_lshlrev_b32_e32 v13, 7, v13
	s_delay_alu instid0(VALU_DEP_2) | instskip(NEXT) | instid1(VALU_DEP_1)
	v_and_or_b32 v14, 0x8000, v14, v70
	v_and_or_b32 v13, 0x380, v13, v14
	s_delay_alu instid0(VALU_DEP_1)
	v_cvt_f32_f16_e32 v13, v13
.LBB344_717:                            ;   in Loop: Header=BB344_678 Depth=1
	s_or_b32 exec_lo, exec_lo, s13
.LBB344_718:                            ;   in Loop: Header=BB344_678 Depth=1
	s_delay_alu instid0(SALU_CYCLE_1)
	s_or_b32 exec_lo, exec_lo, s12
.LBB344_719:                            ;   in Loop: Header=BB344_678 Depth=1
	s_delay_alu instid0(SALU_CYCLE_1) | instskip(SKIP_2) | instid1(VALU_DEP_1)
	s_or_b32 exec_lo, exec_lo, s0
	v_lshrrev_b16 v0, 8, v0
	s_mov_b32 s0, exec_lo
	v_cmpx_ne_u16_e32 0, v0
	s_cbranch_execz .LBB344_727
; %bb.720:                              ;   in Loop: Header=BB344_678 Depth=1
	v_bfrev_b32_e32 v69, 1
	s_mov_b32 s12, exec_lo
	v_cmpx_ne_u16_e32 0x80, v0
	s_cbranch_execz .LBB344_726
; %bb.721:                              ;   in Loop: Header=BB344_678 Depth=1
	v_and_b32_e32 v14, 0xffff, v0
	v_mov_b32_e32 v69, 0x7fc02000
	s_mov_b32 s13, exec_lo
	s_delay_alu instid0(VALU_DEP_2) | instskip(NEXT) | instid1(VALU_DEP_1)
	v_and_b32_e32 v70, 0x7f, v14
	v_cmpx_ne_u32_e32 0x7f, v70
	s_cbranch_execz .LBB344_725
; %bb.722:                              ;   in Loop: Header=BB344_678 Depth=1
	v_and_b32_e32 v0, 7, v14
	v_lshrrev_b32_e32 v69, 3, v70
	s_mov_b32 s15, exec_lo
	v_cmpx_gt_u32_e32 8, v70
; %bb.723:                              ;   in Loop: Header=BB344_678 Depth=1
	s_delay_alu instid0(VALU_DEP_3) | instskip(NEXT) | instid1(VALU_DEP_1)
	v_clz_i32_u32_e32 v69, v0
	v_min_u32_e32 v69, 32, v69
	s_delay_alu instid0(VALU_DEP_1) | instskip(SKIP_1) | instid1(VALU_DEP_2)
	v_subrev_nc_u32_e32 v70, 28, v69
	v_sub_nc_u32_e32 v69, 29, v69
	v_lshlrev_b64 v[70:71], v70, v[0:1]
	s_delay_alu instid0(VALU_DEP_1)
	v_and_b32_e32 v0, 7, v70
; %bb.724:                              ;   in Loop: Header=BB344_678 Depth=1
	s_or_b32 exec_lo, exec_lo, s15
	v_lshlrev_b32_e32 v14, 8, v14
	v_lshl_add_u32 v69, v69, 10, 0x2000
	s_delay_alu instid0(VALU_DEP_1) | instskip(NEXT) | instid1(VALU_DEP_1)
	v_and_or_b32 v14, 0x8000, v14, v69
	v_lshl_or_b32 v0, v0, 7, v14
	s_delay_alu instid0(VALU_DEP_1)
	v_cvt_f32_f16_e32 v69, v0
.LBB344_725:                            ;   in Loop: Header=BB344_678 Depth=1
	s_or_b32 exec_lo, exec_lo, s13
.LBB344_726:                            ;   in Loop: Header=BB344_678 Depth=1
	s_delay_alu instid0(SALU_CYCLE_1)
	s_or_b32 exec_lo, exec_lo, s12
.LBB344_727:                            ;   in Loop: Header=BB344_678 Depth=1
	s_delay_alu instid0(SALU_CYCLE_1) | instskip(SKIP_4) | instid1(VALU_DEP_3)
	s_or_b32 exec_lo, exec_lo, s0
	v_lshrrev_b32_e32 v71, 16, v12
	v_mov_b32_e32 v70, 0
	v_mov_b32_e32 v14, 0
	s_mov_b32 s0, exec_lo
	v_and_b32_e32 v0, 0xff, v71
	s_delay_alu instid0(VALU_DEP_1)
	v_cmpx_ne_u16_e32 0, v0
	s_cbranch_execz .LBB344_735
; %bb.728:                              ;   in Loop: Header=BB344_678 Depth=1
	v_bfrev_b32_e32 v14, 1
	s_mov_b32 s12, exec_lo
	v_cmpx_ne_u16_e32 0x80, v0
	s_cbranch_execz .LBB344_734
; %bb.729:                              ;   in Loop: Header=BB344_678 Depth=1
	v_bfe_u32 v96, v12, 16, 7
	v_mov_b32_e32 v14, 0x7fc02000
	s_mov_b32 s13, exec_lo
	s_delay_alu instid0(VALU_DEP_2)
	v_cmpx_ne_u32_e32 0x7f, v96
	s_cbranch_execz .LBB344_733
; %bb.730:                              ;   in Loop: Header=BB344_678 Depth=1
	v_and_b32_e32 v0, 7, v71
	v_lshrrev_b32_e32 v14, 3, v96
	s_mov_b32 s15, exec_lo
	v_cmpx_gt_u32_e32 8, v96
; %bb.731:                              ;   in Loop: Header=BB344_678 Depth=1
	s_delay_alu instid0(VALU_DEP_3) | instskip(NEXT) | instid1(VALU_DEP_1)
	v_clz_i32_u32_e32 v14, v0
	v_min_u32_e32 v14, 32, v14
	s_delay_alu instid0(VALU_DEP_1) | instskip(SKIP_1) | instid1(VALU_DEP_2)
	v_subrev_nc_u32_e32 v96, 28, v14
	v_sub_nc_u32_e32 v14, 29, v14
	v_lshlrev_b64 v[96:97], v96, v[0:1]
	s_delay_alu instid0(VALU_DEP_1)
	v_and_b32_e32 v0, 7, v96
; %bb.732:                              ;   in Loop: Header=BB344_678 Depth=1
	s_or_b32 exec_lo, exec_lo, s15
	v_lshlrev_b32_e32 v71, 8, v71
	v_lshl_add_u32 v14, v14, 10, 0x2000
	s_delay_alu instid0(VALU_DEP_1) | instskip(NEXT) | instid1(VALU_DEP_1)
	v_and_or_b32 v14, 0x8000, v71, v14
	v_lshl_or_b32 v0, v0, 7, v14
	s_delay_alu instid0(VALU_DEP_1)
	v_cvt_f32_f16_e32 v14, v0
.LBB344_733:                            ;   in Loop: Header=BB344_678 Depth=1
	s_or_b32 exec_lo, exec_lo, s13
.LBB344_734:                            ;   in Loop: Header=BB344_678 Depth=1
	s_delay_alu instid0(SALU_CYCLE_1)
	s_or_b32 exec_lo, exec_lo, s12
.LBB344_735:                            ;   in Loop: Header=BB344_678 Depth=1
	s_delay_alu instid0(SALU_CYCLE_1) | instskip(NEXT) | instid1(SALU_CYCLE_1)
	s_or_b32 exec_lo, exec_lo, s0
	s_mov_b32 s0, exec_lo
	v_cmpx_lt_u64_e64 s[8:9], v[11:12]
	s_cbranch_execz .LBB344_743
; %bb.736:                              ;   in Loop: Header=BB344_678 Depth=1
	v_lshrrev_b32_e32 v11, 24, v12
	v_bfrev_b32_e32 v70, 1
	s_mov_b32 s12, exec_lo
	s_delay_alu instid0(VALU_DEP_2)
	v_cmpx_ne_u32_e32 0x80, v11
	s_cbranch_execz .LBB344_742
; %bb.737:                              ;   in Loop: Header=BB344_678 Depth=1
	v_and_b32_e32 v71, 0x7f, v11
	v_mov_b32_e32 v70, 0x7fc02000
	s_mov_b32 s13, exec_lo
	s_delay_alu instid0(VALU_DEP_2)
	v_cmpx_ne_u32_e32 0x7f, v71
	s_cbranch_execz .LBB344_741
; %bb.738:                              ;   in Loop: Header=BB344_678 Depth=1
	v_and_b32_e32 v0, 7, v11
	v_lshrrev_b32_e32 v12, 3, v71
	s_mov_b32 s15, exec_lo
	v_cmpx_gt_u32_e32 8, v71
; %bb.739:                              ;   in Loop: Header=BB344_678 Depth=1
	s_delay_alu instid0(VALU_DEP_3) | instskip(NEXT) | instid1(VALU_DEP_1)
	v_clz_i32_u32_e32 v12, v0
	v_min_u32_e32 v12, 32, v12
	s_delay_alu instid0(VALU_DEP_1) | instskip(SKIP_1) | instid1(VALU_DEP_2)
	v_subrev_nc_u32_e32 v70, 28, v12
	v_sub_nc_u32_e32 v12, 29, v12
	v_lshlrev_b64 v[70:71], v70, v[0:1]
	s_delay_alu instid0(VALU_DEP_1)
	v_and_b32_e32 v0, 7, v70
; %bb.740:                              ;   in Loop: Header=BB344_678 Depth=1
	s_or_b32 exec_lo, exec_lo, s15
	v_lshlrev_b32_e32 v11, 8, v11
	v_lshl_add_u32 v12, v12, 10, 0x2000
	s_delay_alu instid0(VALU_DEP_1) | instskip(NEXT) | instid1(VALU_DEP_1)
	v_and_or_b32 v11, 0x8000, v11, v12
	v_lshl_or_b32 v0, v0, 7, v11
	s_delay_alu instid0(VALU_DEP_1)
	v_cvt_f32_f16_e32 v70, v0
.LBB344_741:                            ;   in Loop: Header=BB344_678 Depth=1
	s_or_b32 exec_lo, exec_lo, s13
.LBB344_742:                            ;   in Loop: Header=BB344_678 Depth=1
	s_delay_alu instid0(SALU_CYCLE_1)
	s_or_b32 exec_lo, exec_lo, s12
.LBB344_743:                            ;   in Loop: Header=BB344_678 Depth=1
	s_delay_alu instid0(SALU_CYCLE_1)
	s_or_b32 exec_lo, exec_lo, s0
	s_waitcnt vmcnt(0) lgkmcnt(0)
	v_fma_mixlo_f16 v12, v64, v19, 0
	v_fma_mixlo_f16 v0, v64, v68, 0
	v_fma_mixlo_f16 v11, v64, v67, 0
	v_fma_mixlo_f16 v68, v64, v13, 0
	v_fma_mixlo_f16 v13, v64, v14, 0
	v_lshlrev_b32_e32 v67, 16, v12
	v_fma_mixlo_f16 v12, v64, v66, 0
	v_fma_mixlo_f16 v66, v64, v69, 0
	;; [unrolled: 1-line block ×3, first 2 shown]
	v_add_nc_u32_e32 v19, v17, v23
	v_lshlrev_b32_e32 v0, 16, v0
	v_and_b32_e32 v11, 0xffff, v11
	v_and_b32_e32 v14, 0xffff, v12
	v_lshlrev_b32_e32 v64, 16, v66
	v_and_b32_e32 v66, 0xffff, v68
	v_lshlrev_b32_e32 v68, 16, v69
	v_and_b32_e32 v69, 0xffff, v13
	v_cmp_eq_u32_e32 vcc_lo, v54, v16
	v_or_b32_e32 v12, v0, v11
	v_or_b32_e32 v14, v67, v14
	;; [unrolled: 1-line block ×4, first 2 shown]
	v_add_nc_u32_e32 v71, 1, v19
	v_or_b32_e32 v70, 3, v19
	v_or_b32_e32 v69, 2, v19
	;; [unrolled: 1-line block ×6, first 2 shown]
	s_and_saveexec_b32 s12, vcc_lo
	s_cbranch_execz .LBB344_745
; %bb.744:                              ;   in Loop: Header=BB344_678 Depth=1
	v_cmp_lt_i32_e64 s0, v19, v38
	v_lshrrev_b32_e32 v96, 16, v14
	v_lshrrev_b32_e32 v97, 16, v12
	;; [unrolled: 1-line block ×4, first 2 shown]
	v_cndmask_b32_e64 v14, 0, v14, s0
	v_cmp_lt_i32_e64 s0, v71, v55
	s_delay_alu instid0(VALU_DEP_1) | instskip(SKIP_1) | instid1(VALU_DEP_2)
	v_cndmask_b32_e64 v96, 0, v96, s0
	v_cmp_lt_i32_e64 s0, v70, v55
	v_perm_b32 v14, v96, v14, 0x5040100
	s_delay_alu instid0(VALU_DEP_2) | instskip(SKIP_1) | instid1(VALU_DEP_1)
	v_cndmask_b32_e64 v97, 0, v97, s0
	v_cmp_lt_i32_e64 s0, v69, v38
	v_cndmask_b32_e64 v12, 0, v12, s0
	v_cmp_lt_i32_e64 s0, v68, v55
	s_delay_alu instid0(VALU_DEP_2) | instskip(NEXT) | instid1(VALU_DEP_2)
	v_perm_b32 v12, v97, v12, 0x5040100
	v_cndmask_b32_e64 v98, 0, v98, s0
	v_cmp_lt_i32_e64 s0, v67, v38
	s_delay_alu instid0(VALU_DEP_1) | instskip(SKIP_1) | instid1(VALU_DEP_2)
	v_cndmask_b32_e64 v0, 0, v0, s0
	v_cmp_lt_i32_e64 s0, v66, v55
	v_perm_b32 v0, v98, v0, 0x5040100
	s_delay_alu instid0(VALU_DEP_2) | instskip(SKIP_1) | instid1(VALU_DEP_1)
	v_cndmask_b32_e64 v11, 0, v11, s0
	v_cmp_lt_i32_e64 s0, v64, v38
	v_cndmask_b32_e64 v13, 0, v13, s0
	s_delay_alu instid0(VALU_DEP_1)
	v_perm_b32 v11, v11, v13, 0x5040100
.LBB344_745:                            ;   in Loop: Header=BB344_678 Depth=1
	s_or_b32 exec_lo, exec_lo, s12
	v_and_b32_e32 v13, 0xffff, v80
	v_and_b32_e32 v80, 0xffff, v84
	v_and_b32_e32 v96, 0xffff, v85
	v_and_b32_e32 v87, 0xffff, v87
	s_mov_b32 s12, exec_lo
	s_delay_alu instid0(VALU_DEP_3) | instskip(NEXT) | instid1(VALU_DEP_3)
	v_lshl_or_b32 v84, v82, 16, v80
	v_lshl_or_b32 v83, v83, 16, v96
	v_mov_b32_e32 v96, 0
	v_lshl_or_b32 v85, v81, 16, v13
	;;#ASMSTART
	v_pk_mul_f16 v13, v85, v14;

	;;#ASMEND
	;;#ASMSTART
	v_pk_mul_f16 v12, v84, v12;

	;;#ASMEND
	;; [unrolled: 4-line block ×3, first 2 shown]
	v_lshl_or_b32 v82, v86, 16, v87
	v_mov_b32_e32 v87, 0
	;;#ASMSTART
	v_pk_mul_f16 v11, v82, v11;

	;;#ASMEND
	;;#ASMSTART
	v_pk_add_f16 v12, v13, v12;

	;;#ASMEND
	;;#ASMSTART
	v_pk_add_f16 v0, v12, v0;
	;; [unrolled: 4-line block ×3, first 2 shown]

	;;#ASMEND
	v_and_b32_e32 v11, 0xffff, v0
	v_lshrrev_b32_e32 v0, 16, v0
	;;#ASMSTART
	v_cvt_f32_f16 v80, v11;
	;;#ASMEND
	;;#ASMSTART
	v_cvt_f32_f16 v81, v0;
	;;#ASMEND
	flat_load_b64 v[11:12], v[9:10] offset:256
	flat_load_b32 v86, v[26:27]
	s_waitcnt vmcnt(1) lgkmcnt(1)
	v_and_b32_e32 v0, 0xff, v11
	s_delay_alu instid0(VALU_DEP_1)
	v_cmpx_ne_u16_e32 0, v0
	s_cbranch_execz .LBB344_753
; %bb.746:                              ;   in Loop: Header=BB344_678 Depth=1
	v_bfrev_b32_e32 v87, 1
	s_mov_b32 s13, exec_lo
	v_cmpx_ne_u16_e32 0x80, v0
	s_cbranch_execz .LBB344_752
; %bb.747:                              ;   in Loop: Header=BB344_678 Depth=1
	v_and_b32_e32 v13, 0x7f, v11
	v_mov_b32_e32 v87, 0x7fc02000
	s_mov_b32 s15, exec_lo
	s_delay_alu instid0(VALU_DEP_2)
	v_cmpx_ne_u32_e32 0x7f, v13
	s_cbranch_execz .LBB344_751
; %bb.748:                              ;   in Loop: Header=BB344_678 Depth=1
	v_lshrrev_b32_e32 v0, 3, v13
	v_cmp_gt_u32_e64 s0, 8, v13
	v_dual_mov_b32 v14, v12 :: v_dual_mov_b32 v13, v11
	s_delay_alu instid0(VALU_DEP_2)
	s_and_saveexec_b32 s16, s0
; %bb.749:                              ;   in Loop: Header=BB344_678 Depth=1
	v_and_b32_e32 v0, 7, v11
	s_delay_alu instid0(VALU_DEP_1) | instskip(NEXT) | instid1(VALU_DEP_1)
	v_clz_i32_u32_e32 v0, v0
	v_min_u32_e32 v0, 32, v0
	s_delay_alu instid0(VALU_DEP_1) | instskip(SKIP_1) | instid1(VALU_DEP_2)
	v_subrev_nc_u32_e32 v13, 28, v0
	v_sub_nc_u32_e32 v0, 29, v0
	v_lshlrev_b64 v[13:14], v13, v[11:12]
; %bb.750:                              ;   in Loop: Header=BB344_678 Depth=1
	s_or_b32 exec_lo, exec_lo, s16
	v_lshlrev_b32_e32 v14, 8, v11
	s_delay_alu instid0(VALU_DEP_3) | instskip(NEXT) | instid1(VALU_DEP_3)
	v_lshl_add_u32 v0, v0, 10, 0x2000
	v_lshlrev_b32_e32 v13, 7, v13
	s_delay_alu instid0(VALU_DEP_2) | instskip(NEXT) | instid1(VALU_DEP_1)
	v_and_or_b32 v0, 0x8000, v14, v0
	v_and_or_b32 v0, 0x380, v13, v0
	s_delay_alu instid0(VALU_DEP_1)
	v_cvt_f32_f16_e32 v87, v0
.LBB344_751:                            ;   in Loop: Header=BB344_678 Depth=1
	s_or_b32 exec_lo, exec_lo, s15
.LBB344_752:                            ;   in Loop: Header=BB344_678 Depth=1
	s_delay_alu instid0(SALU_CYCLE_1)
	s_or_b32 exec_lo, exec_lo, s13
.LBB344_753:                            ;   in Loop: Header=BB344_678 Depth=1
	s_delay_alu instid0(SALU_CYCLE_1) | instskip(SKIP_2) | instid1(VALU_DEP_1)
	s_or_b32 exec_lo, exec_lo, s12
	v_lshrrev_b16 v0, 8, v11
	s_mov_b32 s12, exec_lo
	v_cmpx_ne_u16_e32 0, v0
	s_cbranch_execz .LBB344_761
; %bb.754:                              ;   in Loop: Header=BB344_678 Depth=1
	v_bfrev_b32_e32 v96, 1
	s_mov_b32 s13, exec_lo
	v_cmpx_ne_u16_e32 0x80, v0
	s_cbranch_execz .LBB344_760
; %bb.755:                              ;   in Loop: Header=BB344_678 Depth=1
	v_and_b32_e32 v13, 0xffff, v0
	v_mov_b32_e32 v96, 0x7fc02000
	s_mov_b32 s15, exec_lo
	s_delay_alu instid0(VALU_DEP_2) | instskip(NEXT) | instid1(VALU_DEP_1)
	v_and_b32_e32 v97, 0x7f, v13
	v_cmpx_ne_u32_e32 0x7f, v97
	s_cbranch_execz .LBB344_759
; %bb.756:                              ;   in Loop: Header=BB344_678 Depth=1
	v_and_b32_e32 v0, 7, v13
	v_lshrrev_b32_e32 v14, 3, v97
	s_mov_b32 s16, exec_lo
	v_cmpx_gt_u32_e32 8, v97
; %bb.757:                              ;   in Loop: Header=BB344_678 Depth=1
	s_delay_alu instid0(VALU_DEP_3) | instskip(NEXT) | instid1(VALU_DEP_1)
	v_clz_i32_u32_e32 v14, v0
	v_min_u32_e32 v14, 32, v14
	s_delay_alu instid0(VALU_DEP_1) | instskip(SKIP_1) | instid1(VALU_DEP_2)
	v_subrev_nc_u32_e32 v96, 28, v14
	v_sub_nc_u32_e32 v14, 29, v14
	v_lshlrev_b64 v[96:97], v96, v[0:1]
	s_delay_alu instid0(VALU_DEP_1)
	v_and_b32_e32 v0, 7, v96
; %bb.758:                              ;   in Loop: Header=BB344_678 Depth=1
	s_or_b32 exec_lo, exec_lo, s16
	v_lshlrev_b32_e32 v13, 8, v13
	v_lshl_add_u32 v14, v14, 10, 0x2000
	s_delay_alu instid0(VALU_DEP_1) | instskip(NEXT) | instid1(VALU_DEP_1)
	v_and_or_b32 v13, 0x8000, v13, v14
	v_lshl_or_b32 v0, v0, 7, v13
	s_delay_alu instid0(VALU_DEP_1)
	v_cvt_f32_f16_e32 v96, v0
.LBB344_759:                            ;   in Loop: Header=BB344_678 Depth=1
	s_or_b32 exec_lo, exec_lo, s15
.LBB344_760:                            ;   in Loop: Header=BB344_678 Depth=1
	s_delay_alu instid0(SALU_CYCLE_1)
	s_or_b32 exec_lo, exec_lo, s13
.LBB344_761:                            ;   in Loop: Header=BB344_678 Depth=1
	s_delay_alu instid0(SALU_CYCLE_1) | instskip(SKIP_3) | instid1(VALU_DEP_2)
	s_or_b32 exec_lo, exec_lo, s12
	v_lshrrev_b32_e32 v13, 16, v11
	v_mov_b32_e32 v98, 0
	s_mov_b32 s12, exec_lo
	v_dual_mov_b32 v97, 0 :: v_dual_and_b32 v0, 0xff, v13
	s_delay_alu instid0(VALU_DEP_1)
	v_cmpx_ne_u16_e32 0, v0
	s_cbranch_execz .LBB344_769
; %bb.762:                              ;   in Loop: Header=BB344_678 Depth=1
	v_bfrev_b32_e32 v97, 1
	s_mov_b32 s13, exec_lo
	v_cmpx_ne_u16_e32 0x80, v0
	s_cbranch_execz .LBB344_768
; %bb.763:                              ;   in Loop: Header=BB344_678 Depth=1
	v_bfe_u32 v99, v11, 16, 7
	v_mov_b32_e32 v97, 0x7fc02000
	s_mov_b32 s15, exec_lo
	s_delay_alu instid0(VALU_DEP_2)
	v_cmpx_ne_u32_e32 0x7f, v99
	s_cbranch_execz .LBB344_767
; %bb.764:                              ;   in Loop: Header=BB344_678 Depth=1
	v_and_b32_e32 v0, 7, v13
	v_lshrrev_b32_e32 v14, 3, v99
	s_mov_b32 s16, exec_lo
	v_cmpx_gt_u32_e32 8, v99
; %bb.765:                              ;   in Loop: Header=BB344_678 Depth=1
	s_delay_alu instid0(VALU_DEP_3) | instskip(NEXT) | instid1(VALU_DEP_1)
	v_clz_i32_u32_e32 v14, v0
	v_min_u32_e32 v14, 32, v14
	s_delay_alu instid0(VALU_DEP_1) | instskip(SKIP_1) | instid1(VALU_DEP_2)
	v_subrev_nc_u32_e32 v97, 28, v14
	v_sub_nc_u32_e32 v14, 29, v14
	v_lshlrev_b64 v[99:100], v97, v[0:1]
	s_delay_alu instid0(VALU_DEP_1)
	v_and_b32_e32 v0, 7, v99
; %bb.766:                              ;   in Loop: Header=BB344_678 Depth=1
	s_or_b32 exec_lo, exec_lo, s16
	v_lshlrev_b32_e32 v13, 8, v13
	v_lshl_add_u32 v14, v14, 10, 0x2000
	s_delay_alu instid0(VALU_DEP_1) | instskip(NEXT) | instid1(VALU_DEP_1)
	v_and_or_b32 v13, 0x8000, v13, v14
	v_lshl_or_b32 v0, v0, 7, v13
	s_delay_alu instid0(VALU_DEP_1)
	v_cvt_f32_f16_e32 v97, v0
.LBB344_767:                            ;   in Loop: Header=BB344_678 Depth=1
	s_or_b32 exec_lo, exec_lo, s15
.LBB344_768:                            ;   in Loop: Header=BB344_678 Depth=1
	s_delay_alu instid0(SALU_CYCLE_1)
	s_or_b32 exec_lo, exec_lo, s13
.LBB344_769:                            ;   in Loop: Header=BB344_678 Depth=1
	s_delay_alu instid0(SALU_CYCLE_1) | instskip(NEXT) | instid1(SALU_CYCLE_1)
	s_or_b32 exec_lo, exec_lo, s12
	s_mov_b32 s12, exec_lo
	v_cmpx_lt_u32_e32 0xffffff, v11
	s_cbranch_execz .LBB344_777
; %bb.770:                              ;   in Loop: Header=BB344_678 Depth=1
	v_lshrrev_b32_e32 v13, 24, v11
	v_bfrev_b32_e32 v98, 1
	s_mov_b32 s13, exec_lo
	s_delay_alu instid0(VALU_DEP_2)
	v_cmpx_ne_u32_e32 0x80, v13
	s_cbranch_execz .LBB344_776
; %bb.771:                              ;   in Loop: Header=BB344_678 Depth=1
	v_and_b32_e32 v99, 0x7f, v13
	v_mov_b32_e32 v98, 0x7fc02000
	s_mov_b32 s15, exec_lo
	s_delay_alu instid0(VALU_DEP_2)
	v_cmpx_ne_u32_e32 0x7f, v99
	s_cbranch_execz .LBB344_775
; %bb.772:                              ;   in Loop: Header=BB344_678 Depth=1
	v_and_b32_e32 v0, 7, v13
	v_lshrrev_b32_e32 v14, 3, v99
	s_mov_b32 s16, exec_lo
	v_cmpx_gt_u32_e32 8, v99
; %bb.773:                              ;   in Loop: Header=BB344_678 Depth=1
	s_delay_alu instid0(VALU_DEP_3) | instskip(NEXT) | instid1(VALU_DEP_1)
	v_clz_i32_u32_e32 v14, v0
	v_min_u32_e32 v14, 32, v14
	s_delay_alu instid0(VALU_DEP_1) | instskip(SKIP_1) | instid1(VALU_DEP_2)
	v_subrev_nc_u32_e32 v98, 28, v14
	v_sub_nc_u32_e32 v14, 29, v14
	v_lshlrev_b64 v[98:99], v98, v[0:1]
	s_delay_alu instid0(VALU_DEP_1)
	v_and_b32_e32 v0, 7, v98
; %bb.774:                              ;   in Loop: Header=BB344_678 Depth=1
	s_or_b32 exec_lo, exec_lo, s16
	v_lshlrev_b32_e32 v13, 8, v13
	v_lshl_add_u32 v14, v14, 10, 0x2000
	s_delay_alu instid0(VALU_DEP_1) | instskip(NEXT) | instid1(VALU_DEP_1)
	v_and_or_b32 v13, 0x8000, v13, v14
	v_lshl_or_b32 v0, v0, 7, v13
	s_delay_alu instid0(VALU_DEP_1)
	v_cvt_f32_f16_e32 v98, v0
.LBB344_775:                            ;   in Loop: Header=BB344_678 Depth=1
	s_or_b32 exec_lo, exec_lo, s15
.LBB344_776:                            ;   in Loop: Header=BB344_678 Depth=1
	s_delay_alu instid0(SALU_CYCLE_1)
	s_or_b32 exec_lo, exec_lo, s13
.LBB344_777:                            ;   in Loop: Header=BB344_678 Depth=1
	s_delay_alu instid0(SALU_CYCLE_1) | instskip(SKIP_3) | instid1(VALU_DEP_2)
	s_or_b32 exec_lo, exec_lo, s12
	v_dual_mov_b32 v99, 0 :: v_dual_and_b32 v14, 0xff, v12
	v_dual_mov_b32 v0, v12 :: v_dual_mov_b32 v13, 0
	s_mov_b32 s12, exec_lo
	v_cmpx_ne_u16_e32 0, v14
	s_cbranch_execz .LBB344_785
; %bb.778:                              ;   in Loop: Header=BB344_678 Depth=1
	v_bfrev_b32_e32 v13, 1
	s_mov_b32 s13, exec_lo
	v_cmpx_ne_u16_e32 0x80, v14
	s_cbranch_execz .LBB344_784
; %bb.779:                              ;   in Loop: Header=BB344_678 Depth=1
	v_and_b32_e32 v14, 0x7f, v12
	v_mov_b32_e32 v13, 0x7fc02000
	s_mov_b32 s15, exec_lo
	s_delay_alu instid0(VALU_DEP_2)
	v_cmpx_ne_u32_e32 0x7f, v14
	s_cbranch_execz .LBB344_783
; %bb.780:                              ;   in Loop: Header=BB344_678 Depth=1
	v_lshrrev_b32_e32 v100, 3, v14
	v_cmp_gt_u32_e64 s0, 8, v14
	v_dual_mov_b32 v14, v1 :: v_dual_mov_b32 v13, v0
	s_delay_alu instid0(VALU_DEP_2)
	s_and_saveexec_b32 s16, s0
; %bb.781:                              ;   in Loop: Header=BB344_678 Depth=1
	v_and_b32_e32 v13, 7, v12
	s_delay_alu instid0(VALU_DEP_1) | instskip(NEXT) | instid1(VALU_DEP_1)
	v_clz_i32_u32_e32 v13, v13
	v_min_u32_e32 v100, 32, v13
	s_delay_alu instid0(VALU_DEP_1) | instskip(SKIP_1) | instid1(VALU_DEP_2)
	v_subrev_nc_u32_e32 v13, 28, v100
	v_sub_nc_u32_e32 v100, 29, v100
	v_lshlrev_b64 v[13:14], v13, v[0:1]
; %bb.782:                              ;   in Loop: Header=BB344_678 Depth=1
	s_or_b32 exec_lo, exec_lo, s16
	v_lshlrev_b32_e32 v14, 8, v12
	s_delay_alu instid0(VALU_DEP_3) | instskip(NEXT) | instid1(VALU_DEP_3)
	v_lshl_add_u32 v100, v100, 10, 0x2000
	v_lshlrev_b32_e32 v13, 7, v13
	s_delay_alu instid0(VALU_DEP_2) | instskip(NEXT) | instid1(VALU_DEP_1)
	v_and_or_b32 v14, 0x8000, v14, v100
	v_and_or_b32 v13, 0x380, v13, v14
	s_delay_alu instid0(VALU_DEP_1)
	v_cvt_f32_f16_e32 v13, v13
.LBB344_783:                            ;   in Loop: Header=BB344_678 Depth=1
	s_or_b32 exec_lo, exec_lo, s15
.LBB344_784:                            ;   in Loop: Header=BB344_678 Depth=1
	s_delay_alu instid0(SALU_CYCLE_1)
	s_or_b32 exec_lo, exec_lo, s13
.LBB344_785:                            ;   in Loop: Header=BB344_678 Depth=1
	s_delay_alu instid0(SALU_CYCLE_1) | instskip(SKIP_2) | instid1(VALU_DEP_1)
	s_or_b32 exec_lo, exec_lo, s12
	v_lshrrev_b16 v0, 8, v0
	s_mov_b32 s12, exec_lo
	v_cmpx_ne_u16_e32 0, v0
	s_cbranch_execz .LBB344_793
; %bb.786:                              ;   in Loop: Header=BB344_678 Depth=1
	v_bfrev_b32_e32 v99, 1
	s_mov_b32 s13, exec_lo
	v_cmpx_ne_u16_e32 0x80, v0
	s_cbranch_execz .LBB344_792
; %bb.787:                              ;   in Loop: Header=BB344_678 Depth=1
	v_and_b32_e32 v14, 0xffff, v0
	v_mov_b32_e32 v99, 0x7fc02000
	s_mov_b32 s15, exec_lo
	s_delay_alu instid0(VALU_DEP_2) | instskip(NEXT) | instid1(VALU_DEP_1)
	v_and_b32_e32 v100, 0x7f, v14
	v_cmpx_ne_u32_e32 0x7f, v100
	s_cbranch_execz .LBB344_791
; %bb.788:                              ;   in Loop: Header=BB344_678 Depth=1
	v_and_b32_e32 v0, 7, v14
	v_lshrrev_b32_e32 v99, 3, v100
	s_mov_b32 s16, exec_lo
	v_cmpx_gt_u32_e32 8, v100
; %bb.789:                              ;   in Loop: Header=BB344_678 Depth=1
	s_delay_alu instid0(VALU_DEP_3) | instskip(NEXT) | instid1(VALU_DEP_1)
	v_clz_i32_u32_e32 v99, v0
	v_min_u32_e32 v99, 32, v99
	s_delay_alu instid0(VALU_DEP_1) | instskip(SKIP_1) | instid1(VALU_DEP_2)
	v_subrev_nc_u32_e32 v100, 28, v99
	v_sub_nc_u32_e32 v99, 29, v99
	v_lshlrev_b64 v[100:101], v100, v[0:1]
	s_delay_alu instid0(VALU_DEP_1)
	v_and_b32_e32 v0, 7, v100
; %bb.790:                              ;   in Loop: Header=BB344_678 Depth=1
	s_or_b32 exec_lo, exec_lo, s16
	v_lshlrev_b32_e32 v14, 8, v14
	v_lshl_add_u32 v99, v99, 10, 0x2000
	s_delay_alu instid0(VALU_DEP_1) | instskip(NEXT) | instid1(VALU_DEP_1)
	v_and_or_b32 v14, 0x8000, v14, v99
	v_lshl_or_b32 v0, v0, 7, v14
	s_delay_alu instid0(VALU_DEP_1)
	v_cvt_f32_f16_e32 v99, v0
.LBB344_791:                            ;   in Loop: Header=BB344_678 Depth=1
	s_or_b32 exec_lo, exec_lo, s15
.LBB344_792:                            ;   in Loop: Header=BB344_678 Depth=1
	s_delay_alu instid0(SALU_CYCLE_1)
	s_or_b32 exec_lo, exec_lo, s13
.LBB344_793:                            ;   in Loop: Header=BB344_678 Depth=1
	s_delay_alu instid0(SALU_CYCLE_1) | instskip(SKIP_4) | instid1(VALU_DEP_3)
	s_or_b32 exec_lo, exec_lo, s12
	v_lshrrev_b32_e32 v101, 16, v12
	v_mov_b32_e32 v100, 0
	v_mov_b32_e32 v14, 0
	s_mov_b32 s12, exec_lo
	v_and_b32_e32 v0, 0xff, v101
	s_delay_alu instid0(VALU_DEP_1)
	v_cmpx_ne_u16_e32 0, v0
	s_cbranch_execz .LBB344_801
; %bb.794:                              ;   in Loop: Header=BB344_678 Depth=1
	v_bfrev_b32_e32 v14, 1
	s_mov_b32 s13, exec_lo
	v_cmpx_ne_u16_e32 0x80, v0
	s_cbranch_execz .LBB344_800
; %bb.795:                              ;   in Loop: Header=BB344_678 Depth=1
	v_bfe_u32 v102, v12, 16, 7
	v_mov_b32_e32 v14, 0x7fc02000
	s_mov_b32 s15, exec_lo
	s_delay_alu instid0(VALU_DEP_2)
	v_cmpx_ne_u32_e32 0x7f, v102
	s_cbranch_execz .LBB344_799
; %bb.796:                              ;   in Loop: Header=BB344_678 Depth=1
	v_and_b32_e32 v0, 7, v101
	v_lshrrev_b32_e32 v14, 3, v102
	s_mov_b32 s16, exec_lo
	v_cmpx_gt_u32_e32 8, v102
; %bb.797:                              ;   in Loop: Header=BB344_678 Depth=1
	s_delay_alu instid0(VALU_DEP_3) | instskip(NEXT) | instid1(VALU_DEP_1)
	v_clz_i32_u32_e32 v14, v0
	v_min_u32_e32 v14, 32, v14
	s_delay_alu instid0(VALU_DEP_1) | instskip(SKIP_1) | instid1(VALU_DEP_2)
	v_subrev_nc_u32_e32 v102, 28, v14
	v_sub_nc_u32_e32 v14, 29, v14
	v_lshlrev_b64 v[102:103], v102, v[0:1]
	s_delay_alu instid0(VALU_DEP_1)
	v_and_b32_e32 v0, 7, v102
; %bb.798:                              ;   in Loop: Header=BB344_678 Depth=1
	s_or_b32 exec_lo, exec_lo, s16
	v_lshlrev_b32_e32 v101, 8, v101
	v_lshl_add_u32 v14, v14, 10, 0x2000
	s_delay_alu instid0(VALU_DEP_1) | instskip(NEXT) | instid1(VALU_DEP_1)
	v_and_or_b32 v14, 0x8000, v101, v14
	v_lshl_or_b32 v0, v0, 7, v14
	s_delay_alu instid0(VALU_DEP_1)
	v_cvt_f32_f16_e32 v14, v0
.LBB344_799:                            ;   in Loop: Header=BB344_678 Depth=1
	s_or_b32 exec_lo, exec_lo, s15
.LBB344_800:                            ;   in Loop: Header=BB344_678 Depth=1
	s_delay_alu instid0(SALU_CYCLE_1)
	s_or_b32 exec_lo, exec_lo, s13
.LBB344_801:                            ;   in Loop: Header=BB344_678 Depth=1
	s_delay_alu instid0(SALU_CYCLE_1) | instskip(NEXT) | instid1(SALU_CYCLE_1)
	s_or_b32 exec_lo, exec_lo, s12
	s_mov_b32 s12, exec_lo
	v_cmpx_lt_u64_e64 s[8:9], v[11:12]
	s_cbranch_execz .LBB344_809
; %bb.802:                              ;   in Loop: Header=BB344_678 Depth=1
	v_lshrrev_b32_e32 v11, 24, v12
	v_bfrev_b32_e32 v100, 1
	s_mov_b32 s13, exec_lo
	s_delay_alu instid0(VALU_DEP_2)
	v_cmpx_ne_u32_e32 0x80, v11
	s_cbranch_execz .LBB344_808
; %bb.803:                              ;   in Loop: Header=BB344_678 Depth=1
	v_and_b32_e32 v101, 0x7f, v11
	v_mov_b32_e32 v100, 0x7fc02000
	s_mov_b32 s15, exec_lo
	s_delay_alu instid0(VALU_DEP_2)
	v_cmpx_ne_u32_e32 0x7f, v101
	s_cbranch_execz .LBB344_807
; %bb.804:                              ;   in Loop: Header=BB344_678 Depth=1
	v_and_b32_e32 v0, 7, v11
	v_lshrrev_b32_e32 v12, 3, v101
	s_mov_b32 s16, exec_lo
	v_cmpx_gt_u32_e32 8, v101
; %bb.805:                              ;   in Loop: Header=BB344_678 Depth=1
	s_delay_alu instid0(VALU_DEP_3) | instskip(NEXT) | instid1(VALU_DEP_1)
	v_clz_i32_u32_e32 v12, v0
	v_min_u32_e32 v12, 32, v12
	s_delay_alu instid0(VALU_DEP_1) | instskip(SKIP_1) | instid1(VALU_DEP_2)
	v_subrev_nc_u32_e32 v100, 28, v12
	v_sub_nc_u32_e32 v12, 29, v12
	v_lshlrev_b64 v[100:101], v100, v[0:1]
	s_delay_alu instid0(VALU_DEP_1)
	v_and_b32_e32 v0, 7, v100
; %bb.806:                              ;   in Loop: Header=BB344_678 Depth=1
	s_or_b32 exec_lo, exec_lo, s16
	v_lshlrev_b32_e32 v11, 8, v11
	v_lshl_add_u32 v12, v12, 10, 0x2000
	s_delay_alu instid0(VALU_DEP_1) | instskip(NEXT) | instid1(VALU_DEP_1)
	v_and_or_b32 v11, 0x8000, v11, v12
	v_lshl_or_b32 v0, v0, 7, v11
	s_delay_alu instid0(VALU_DEP_1)
	v_cvt_f32_f16_e32 v100, v0
.LBB344_807:                            ;   in Loop: Header=BB344_678 Depth=1
	s_or_b32 exec_lo, exec_lo, s15
.LBB344_808:                            ;   in Loop: Header=BB344_678 Depth=1
	s_delay_alu instid0(SALU_CYCLE_1)
	s_or_b32 exec_lo, exec_lo, s13
.LBB344_809:                            ;   in Loop: Header=BB344_678 Depth=1
	s_delay_alu instid0(SALU_CYCLE_1)
	s_or_b32 exec_lo, exec_lo, s12
	s_waitcnt vmcnt(0) lgkmcnt(0)
	v_fma_mixlo_f16 v12, v86, v96, 0
	v_fma_mixlo_f16 v0, v86, v98, 0
	;; [unrolled: 1-line block ×5, first 2 shown]
	v_lshlrev_b32_e32 v96, 16, v12
	v_fma_mixlo_f16 v13, v86, v13, 0
	v_fma_mixlo_f16 v98, v86, v100, 0
	;; [unrolled: 1-line block ×3, first 2 shown]
	v_lshlrev_b32_e32 v0, 16, v0
	v_and_b32_e32 v11, 0xffff, v11
	v_and_b32_e32 v14, 0xffff, v87
	v_lshlrev_b32_e32 v86, 16, v97
	v_and_b32_e32 v87, 0xffff, v13
	v_lshlrev_b32_e32 v97, 16, v98
	v_and_b32_e32 v98, 0xffff, v12
	v_or_b32_e32 v13, v0, v11
	v_or_b32_e32 v14, v96, v14
	;; [unrolled: 1-line block ×3, first 2 shown]
	s_delay_alu instid0(VALU_DEP_4)
	v_or_b32_e32 v11, v97, v98
	s_and_saveexec_b32 s12, vcc_lo
	s_cbranch_execz .LBB344_811
; %bb.810:                              ;   in Loop: Header=BB344_678 Depth=1
	v_cmp_lt_i32_e64 s0, v19, v38
	v_lshrrev_b32_e32 v86, 16, v14
	v_lshrrev_b32_e32 v87, 16, v13
	;; [unrolled: 1-line block ×4, first 2 shown]
	v_cndmask_b32_e64 v14, 0, v14, s0
	v_cmp_lt_i32_e64 s0, v71, v55
	s_delay_alu instid0(VALU_DEP_1) | instskip(SKIP_1) | instid1(VALU_DEP_2)
	v_cndmask_b32_e64 v86, 0, v86, s0
	v_cmp_lt_i32_e64 s0, v70, v55
	v_perm_b32 v14, v86, v14, 0x5040100
	s_delay_alu instid0(VALU_DEP_2) | instskip(SKIP_1) | instid1(VALU_DEP_1)
	v_cndmask_b32_e64 v87, 0, v87, s0
	v_cmp_lt_i32_e64 s0, v69, v38
	v_cndmask_b32_e64 v13, 0, v13, s0
	v_cmp_lt_i32_e64 s0, v68, v55
	s_delay_alu instid0(VALU_DEP_2) | instskip(NEXT) | instid1(VALU_DEP_2)
	v_perm_b32 v13, v87, v13, 0x5040100
	v_cndmask_b32_e64 v96, 0, v96, s0
	v_cmp_lt_i32_e64 s0, v67, v38
	s_delay_alu instid0(VALU_DEP_1) | instskip(SKIP_1) | instid1(VALU_DEP_2)
	v_cndmask_b32_e64 v0, 0, v0, s0
	v_cmp_lt_i32_e64 s0, v66, v55
	v_perm_b32 v0, v96, v0, 0x5040100
	s_delay_alu instid0(VALU_DEP_2) | instskip(SKIP_1) | instid1(VALU_DEP_1)
	v_cndmask_b32_e64 v11, 0, v11, s0
	v_cmp_lt_i32_e64 s0, v64, v38
	v_cndmask_b32_e64 v12, 0, v12, s0
	s_delay_alu instid0(VALU_DEP_1)
	v_perm_b32 v11, v11, v12, 0x5040100
.LBB344_811:                            ;   in Loop: Header=BB344_678 Depth=1
	s_or_b32 exec_lo, exec_lo, s12
	;;#ASMSTART
	v_pk_mul_f16 v12, v85, v14;

	;;#ASMEND
	;;#ASMSTART
	v_pk_mul_f16 v13, v84, v13;

	;;#ASMEND
	;;#ASMSTART
	v_pk_mul_f16 v0, v83, v0;

	;;#ASMEND
	;;#ASMSTART
	v_pk_mul_f16 v11, v82, v11;

	;;#ASMEND
	;;#ASMSTART
	v_pk_add_f16 v12, v12, v13;

	;;#ASMEND
	;;#ASMSTART
	v_pk_add_f16 v0, v12, v0;

	;;#ASMEND
	;; [unrolled: 4-line block ×3, first 2 shown]
	v_dual_mov_b32 v98, 0 :: v_dual_and_b32 v11, 0xffff, v0
	v_lshrrev_b32_e32 v0, 16, v0
	;;#ASMSTART
	v_cvt_f32_f16 v86, v11;
	;;#ASMEND
	;;#ASMSTART
	v_cvt_f32_f16 v87, v0;
	;;#ASMEND
	flat_load_b64 v[11:12], v[9:10] offset:512
	flat_load_b32 v96, v[26:27]
	s_mov_b32 s12, exec_lo
	s_waitcnt vmcnt(1) lgkmcnt(1)
	v_dual_mov_b32 v97, 0 :: v_dual_and_b32 v0, 0xff, v11
	s_delay_alu instid0(VALU_DEP_1)
	v_cmpx_ne_u16_e32 0, v0
	s_cbranch_execz .LBB344_819
; %bb.812:                              ;   in Loop: Header=BB344_678 Depth=1
	v_bfrev_b32_e32 v97, 1
	s_mov_b32 s13, exec_lo
	v_cmpx_ne_u16_e32 0x80, v0
	s_cbranch_execz .LBB344_818
; %bb.813:                              ;   in Loop: Header=BB344_678 Depth=1
	v_and_b32_e32 v13, 0x7f, v11
	v_mov_b32_e32 v97, 0x7fc02000
	s_mov_b32 s15, exec_lo
	s_delay_alu instid0(VALU_DEP_2)
	v_cmpx_ne_u32_e32 0x7f, v13
	s_cbranch_execz .LBB344_817
; %bb.814:                              ;   in Loop: Header=BB344_678 Depth=1
	v_lshrrev_b32_e32 v0, 3, v13
	v_cmp_gt_u32_e64 s0, 8, v13
	v_dual_mov_b32 v14, v12 :: v_dual_mov_b32 v13, v11
	s_delay_alu instid0(VALU_DEP_2)
	s_and_saveexec_b32 s16, s0
; %bb.815:                              ;   in Loop: Header=BB344_678 Depth=1
	v_and_b32_e32 v0, 7, v11
	s_delay_alu instid0(VALU_DEP_1) | instskip(NEXT) | instid1(VALU_DEP_1)
	v_clz_i32_u32_e32 v0, v0
	v_min_u32_e32 v0, 32, v0
	s_delay_alu instid0(VALU_DEP_1) | instskip(SKIP_1) | instid1(VALU_DEP_2)
	v_subrev_nc_u32_e32 v13, 28, v0
	v_sub_nc_u32_e32 v0, 29, v0
	v_lshlrev_b64 v[13:14], v13, v[11:12]
; %bb.816:                              ;   in Loop: Header=BB344_678 Depth=1
	s_or_b32 exec_lo, exec_lo, s16
	v_lshlrev_b32_e32 v14, 8, v11
	s_delay_alu instid0(VALU_DEP_3) | instskip(NEXT) | instid1(VALU_DEP_3)
	v_lshl_add_u32 v0, v0, 10, 0x2000
	v_lshlrev_b32_e32 v13, 7, v13
	s_delay_alu instid0(VALU_DEP_2) | instskip(NEXT) | instid1(VALU_DEP_1)
	v_and_or_b32 v0, 0x8000, v14, v0
	v_and_or_b32 v0, 0x380, v13, v0
	s_delay_alu instid0(VALU_DEP_1)
	v_cvt_f32_f16_e32 v97, v0
.LBB344_817:                            ;   in Loop: Header=BB344_678 Depth=1
	s_or_b32 exec_lo, exec_lo, s15
.LBB344_818:                            ;   in Loop: Header=BB344_678 Depth=1
	s_delay_alu instid0(SALU_CYCLE_1)
	s_or_b32 exec_lo, exec_lo, s13
.LBB344_819:                            ;   in Loop: Header=BB344_678 Depth=1
	s_delay_alu instid0(SALU_CYCLE_1) | instskip(SKIP_2) | instid1(VALU_DEP_1)
	s_or_b32 exec_lo, exec_lo, s12
	v_lshrrev_b16 v0, 8, v11
	s_mov_b32 s12, exec_lo
	v_cmpx_ne_u16_e32 0, v0
	s_cbranch_execz .LBB344_827
; %bb.820:                              ;   in Loop: Header=BB344_678 Depth=1
	v_bfrev_b32_e32 v98, 1
	s_mov_b32 s13, exec_lo
	v_cmpx_ne_u16_e32 0x80, v0
	s_cbranch_execz .LBB344_826
; %bb.821:                              ;   in Loop: Header=BB344_678 Depth=1
	v_and_b32_e32 v13, 0xffff, v0
	v_mov_b32_e32 v98, 0x7fc02000
	s_mov_b32 s15, exec_lo
	s_delay_alu instid0(VALU_DEP_2) | instskip(NEXT) | instid1(VALU_DEP_1)
	v_and_b32_e32 v99, 0x7f, v13
	v_cmpx_ne_u32_e32 0x7f, v99
	s_cbranch_execz .LBB344_825
; %bb.822:                              ;   in Loop: Header=BB344_678 Depth=1
	v_and_b32_e32 v0, 7, v13
	v_lshrrev_b32_e32 v14, 3, v99
	s_mov_b32 s16, exec_lo
	v_cmpx_gt_u32_e32 8, v99
; %bb.823:                              ;   in Loop: Header=BB344_678 Depth=1
	s_delay_alu instid0(VALU_DEP_3) | instskip(NEXT) | instid1(VALU_DEP_1)
	v_clz_i32_u32_e32 v14, v0
	v_min_u32_e32 v14, 32, v14
	s_delay_alu instid0(VALU_DEP_1) | instskip(SKIP_1) | instid1(VALU_DEP_2)
	v_subrev_nc_u32_e32 v98, 28, v14
	v_sub_nc_u32_e32 v14, 29, v14
	v_lshlrev_b64 v[98:99], v98, v[0:1]
	s_delay_alu instid0(VALU_DEP_1)
	v_and_b32_e32 v0, 7, v98
; %bb.824:                              ;   in Loop: Header=BB344_678 Depth=1
	s_or_b32 exec_lo, exec_lo, s16
	v_lshlrev_b32_e32 v13, 8, v13
	v_lshl_add_u32 v14, v14, 10, 0x2000
	s_delay_alu instid0(VALU_DEP_1) | instskip(NEXT) | instid1(VALU_DEP_1)
	v_and_or_b32 v13, 0x8000, v13, v14
	v_lshl_or_b32 v0, v0, 7, v13
	s_delay_alu instid0(VALU_DEP_1)
	v_cvt_f32_f16_e32 v98, v0
.LBB344_825:                            ;   in Loop: Header=BB344_678 Depth=1
	s_or_b32 exec_lo, exec_lo, s15
.LBB344_826:                            ;   in Loop: Header=BB344_678 Depth=1
	s_delay_alu instid0(SALU_CYCLE_1)
	s_or_b32 exec_lo, exec_lo, s13
.LBB344_827:                            ;   in Loop: Header=BB344_678 Depth=1
	s_delay_alu instid0(SALU_CYCLE_1) | instskip(SKIP_3) | instid1(VALU_DEP_2)
	s_or_b32 exec_lo, exec_lo, s12
	v_lshrrev_b32_e32 v13, 16, v11
	v_mov_b32_e32 v100, 0
	s_mov_b32 s12, exec_lo
	v_dual_mov_b32 v99, 0 :: v_dual_and_b32 v0, 0xff, v13
	s_delay_alu instid0(VALU_DEP_1)
	v_cmpx_ne_u16_e32 0, v0
	s_cbranch_execz .LBB344_835
; %bb.828:                              ;   in Loop: Header=BB344_678 Depth=1
	v_bfrev_b32_e32 v99, 1
	s_mov_b32 s13, exec_lo
	v_cmpx_ne_u16_e32 0x80, v0
	s_cbranch_execz .LBB344_834
; %bb.829:                              ;   in Loop: Header=BB344_678 Depth=1
	v_bfe_u32 v101, v11, 16, 7
	v_mov_b32_e32 v99, 0x7fc02000
	s_mov_b32 s15, exec_lo
	s_delay_alu instid0(VALU_DEP_2)
	v_cmpx_ne_u32_e32 0x7f, v101
	s_cbranch_execz .LBB344_833
; %bb.830:                              ;   in Loop: Header=BB344_678 Depth=1
	v_and_b32_e32 v0, 7, v13
	v_lshrrev_b32_e32 v14, 3, v101
	s_mov_b32 s16, exec_lo
	v_cmpx_gt_u32_e32 8, v101
; %bb.831:                              ;   in Loop: Header=BB344_678 Depth=1
	s_delay_alu instid0(VALU_DEP_3) | instskip(NEXT) | instid1(VALU_DEP_1)
	v_clz_i32_u32_e32 v14, v0
	v_min_u32_e32 v14, 32, v14
	s_delay_alu instid0(VALU_DEP_1) | instskip(SKIP_1) | instid1(VALU_DEP_2)
	v_subrev_nc_u32_e32 v99, 28, v14
	v_sub_nc_u32_e32 v14, 29, v14
	v_lshlrev_b64 v[101:102], v99, v[0:1]
	s_delay_alu instid0(VALU_DEP_1)
	v_and_b32_e32 v0, 7, v101
; %bb.832:                              ;   in Loop: Header=BB344_678 Depth=1
	s_or_b32 exec_lo, exec_lo, s16
	v_lshlrev_b32_e32 v13, 8, v13
	v_lshl_add_u32 v14, v14, 10, 0x2000
	s_delay_alu instid0(VALU_DEP_1) | instskip(NEXT) | instid1(VALU_DEP_1)
	v_and_or_b32 v13, 0x8000, v13, v14
	v_lshl_or_b32 v0, v0, 7, v13
	s_delay_alu instid0(VALU_DEP_1)
	v_cvt_f32_f16_e32 v99, v0
.LBB344_833:                            ;   in Loop: Header=BB344_678 Depth=1
	s_or_b32 exec_lo, exec_lo, s15
.LBB344_834:                            ;   in Loop: Header=BB344_678 Depth=1
	s_delay_alu instid0(SALU_CYCLE_1)
	s_or_b32 exec_lo, exec_lo, s13
.LBB344_835:                            ;   in Loop: Header=BB344_678 Depth=1
	s_delay_alu instid0(SALU_CYCLE_1) | instskip(NEXT) | instid1(SALU_CYCLE_1)
	s_or_b32 exec_lo, exec_lo, s12
	s_mov_b32 s12, exec_lo
	v_cmpx_lt_u32_e32 0xffffff, v11
	s_cbranch_execz .LBB344_843
; %bb.836:                              ;   in Loop: Header=BB344_678 Depth=1
	v_lshrrev_b32_e32 v13, 24, v11
	v_bfrev_b32_e32 v100, 1
	s_mov_b32 s13, exec_lo
	s_delay_alu instid0(VALU_DEP_2)
	v_cmpx_ne_u32_e32 0x80, v13
	s_cbranch_execz .LBB344_842
; %bb.837:                              ;   in Loop: Header=BB344_678 Depth=1
	v_and_b32_e32 v101, 0x7f, v13
	v_mov_b32_e32 v100, 0x7fc02000
	s_mov_b32 s15, exec_lo
	s_delay_alu instid0(VALU_DEP_2)
	v_cmpx_ne_u32_e32 0x7f, v101
	s_cbranch_execz .LBB344_841
; %bb.838:                              ;   in Loop: Header=BB344_678 Depth=1
	v_and_b32_e32 v0, 7, v13
	v_lshrrev_b32_e32 v14, 3, v101
	s_mov_b32 s16, exec_lo
	v_cmpx_gt_u32_e32 8, v101
; %bb.839:                              ;   in Loop: Header=BB344_678 Depth=1
	s_delay_alu instid0(VALU_DEP_3) | instskip(NEXT) | instid1(VALU_DEP_1)
	v_clz_i32_u32_e32 v14, v0
	v_min_u32_e32 v14, 32, v14
	s_delay_alu instid0(VALU_DEP_1) | instskip(SKIP_1) | instid1(VALU_DEP_2)
	v_subrev_nc_u32_e32 v100, 28, v14
	v_sub_nc_u32_e32 v14, 29, v14
	v_lshlrev_b64 v[100:101], v100, v[0:1]
	s_delay_alu instid0(VALU_DEP_1)
	v_and_b32_e32 v0, 7, v100
; %bb.840:                              ;   in Loop: Header=BB344_678 Depth=1
	s_or_b32 exec_lo, exec_lo, s16
	v_lshlrev_b32_e32 v13, 8, v13
	v_lshl_add_u32 v14, v14, 10, 0x2000
	s_delay_alu instid0(VALU_DEP_1) | instskip(NEXT) | instid1(VALU_DEP_1)
	v_and_or_b32 v13, 0x8000, v13, v14
	v_lshl_or_b32 v0, v0, 7, v13
	s_delay_alu instid0(VALU_DEP_1)
	v_cvt_f32_f16_e32 v100, v0
.LBB344_841:                            ;   in Loop: Header=BB344_678 Depth=1
	s_or_b32 exec_lo, exec_lo, s15
.LBB344_842:                            ;   in Loop: Header=BB344_678 Depth=1
	s_delay_alu instid0(SALU_CYCLE_1)
	s_or_b32 exec_lo, exec_lo, s13
.LBB344_843:                            ;   in Loop: Header=BB344_678 Depth=1
	s_delay_alu instid0(SALU_CYCLE_1) | instskip(SKIP_3) | instid1(VALU_DEP_2)
	s_or_b32 exec_lo, exec_lo, s12
	v_dual_mov_b32 v101, 0 :: v_dual_and_b32 v14, 0xff, v12
	v_dual_mov_b32 v0, v12 :: v_dual_mov_b32 v13, 0
	s_mov_b32 s12, exec_lo
	v_cmpx_ne_u16_e32 0, v14
	s_cbranch_execz .LBB344_851
; %bb.844:                              ;   in Loop: Header=BB344_678 Depth=1
	v_bfrev_b32_e32 v13, 1
	s_mov_b32 s13, exec_lo
	v_cmpx_ne_u16_e32 0x80, v14
	s_cbranch_execz .LBB344_850
; %bb.845:                              ;   in Loop: Header=BB344_678 Depth=1
	v_and_b32_e32 v14, 0x7f, v12
	v_mov_b32_e32 v13, 0x7fc02000
	s_mov_b32 s15, exec_lo
	s_delay_alu instid0(VALU_DEP_2)
	v_cmpx_ne_u32_e32 0x7f, v14
	s_cbranch_execz .LBB344_849
; %bb.846:                              ;   in Loop: Header=BB344_678 Depth=1
	v_lshrrev_b32_e32 v102, 3, v14
	v_cmp_gt_u32_e64 s0, 8, v14
	v_dual_mov_b32 v14, v1 :: v_dual_mov_b32 v13, v0
	s_delay_alu instid0(VALU_DEP_2)
	s_and_saveexec_b32 s16, s0
; %bb.847:                              ;   in Loop: Header=BB344_678 Depth=1
	v_and_b32_e32 v13, 7, v12
	s_delay_alu instid0(VALU_DEP_1) | instskip(NEXT) | instid1(VALU_DEP_1)
	v_clz_i32_u32_e32 v13, v13
	v_min_u32_e32 v102, 32, v13
	s_delay_alu instid0(VALU_DEP_1) | instskip(SKIP_1) | instid1(VALU_DEP_2)
	v_subrev_nc_u32_e32 v13, 28, v102
	v_sub_nc_u32_e32 v102, 29, v102
	v_lshlrev_b64 v[13:14], v13, v[0:1]
; %bb.848:                              ;   in Loop: Header=BB344_678 Depth=1
	s_or_b32 exec_lo, exec_lo, s16
	v_lshlrev_b32_e32 v14, 8, v12
	s_delay_alu instid0(VALU_DEP_3) | instskip(NEXT) | instid1(VALU_DEP_3)
	v_lshl_add_u32 v102, v102, 10, 0x2000
	v_lshlrev_b32_e32 v13, 7, v13
	s_delay_alu instid0(VALU_DEP_2) | instskip(NEXT) | instid1(VALU_DEP_1)
	v_and_or_b32 v14, 0x8000, v14, v102
	v_and_or_b32 v13, 0x380, v13, v14
	s_delay_alu instid0(VALU_DEP_1)
	v_cvt_f32_f16_e32 v13, v13
.LBB344_849:                            ;   in Loop: Header=BB344_678 Depth=1
	s_or_b32 exec_lo, exec_lo, s15
.LBB344_850:                            ;   in Loop: Header=BB344_678 Depth=1
	s_delay_alu instid0(SALU_CYCLE_1)
	s_or_b32 exec_lo, exec_lo, s13
.LBB344_851:                            ;   in Loop: Header=BB344_678 Depth=1
	s_delay_alu instid0(SALU_CYCLE_1) | instskip(SKIP_2) | instid1(VALU_DEP_1)
	s_or_b32 exec_lo, exec_lo, s12
	v_lshrrev_b16 v0, 8, v0
	s_mov_b32 s12, exec_lo
	v_cmpx_ne_u16_e32 0, v0
	s_cbranch_execz .LBB344_859
; %bb.852:                              ;   in Loop: Header=BB344_678 Depth=1
	v_bfrev_b32_e32 v101, 1
	s_mov_b32 s13, exec_lo
	v_cmpx_ne_u16_e32 0x80, v0
	s_cbranch_execz .LBB344_858
; %bb.853:                              ;   in Loop: Header=BB344_678 Depth=1
	v_and_b32_e32 v14, 0xffff, v0
	v_mov_b32_e32 v101, 0x7fc02000
	s_mov_b32 s15, exec_lo
	s_delay_alu instid0(VALU_DEP_2) | instskip(NEXT) | instid1(VALU_DEP_1)
	v_and_b32_e32 v102, 0x7f, v14
	v_cmpx_ne_u32_e32 0x7f, v102
	s_cbranch_execz .LBB344_857
; %bb.854:                              ;   in Loop: Header=BB344_678 Depth=1
	v_and_b32_e32 v0, 7, v14
	v_lshrrev_b32_e32 v101, 3, v102
	s_mov_b32 s16, exec_lo
	v_cmpx_gt_u32_e32 8, v102
; %bb.855:                              ;   in Loop: Header=BB344_678 Depth=1
	s_delay_alu instid0(VALU_DEP_3) | instskip(NEXT) | instid1(VALU_DEP_1)
	v_clz_i32_u32_e32 v101, v0
	v_min_u32_e32 v101, 32, v101
	s_delay_alu instid0(VALU_DEP_1) | instskip(SKIP_1) | instid1(VALU_DEP_2)
	v_subrev_nc_u32_e32 v102, 28, v101
	v_sub_nc_u32_e32 v101, 29, v101
	v_lshlrev_b64 v[102:103], v102, v[0:1]
	s_delay_alu instid0(VALU_DEP_1)
	v_and_b32_e32 v0, 7, v102
; %bb.856:                              ;   in Loop: Header=BB344_678 Depth=1
	s_or_b32 exec_lo, exec_lo, s16
	v_lshlrev_b32_e32 v14, 8, v14
	v_lshl_add_u32 v101, v101, 10, 0x2000
	s_delay_alu instid0(VALU_DEP_1) | instskip(NEXT) | instid1(VALU_DEP_1)
	v_and_or_b32 v14, 0x8000, v14, v101
	v_lshl_or_b32 v0, v0, 7, v14
	s_delay_alu instid0(VALU_DEP_1)
	v_cvt_f32_f16_e32 v101, v0
.LBB344_857:                            ;   in Loop: Header=BB344_678 Depth=1
	s_or_b32 exec_lo, exec_lo, s15
.LBB344_858:                            ;   in Loop: Header=BB344_678 Depth=1
	s_delay_alu instid0(SALU_CYCLE_1)
	s_or_b32 exec_lo, exec_lo, s13
.LBB344_859:                            ;   in Loop: Header=BB344_678 Depth=1
	s_delay_alu instid0(SALU_CYCLE_1) | instskip(SKIP_4) | instid1(VALU_DEP_3)
	s_or_b32 exec_lo, exec_lo, s12
	v_lshrrev_b32_e32 v103, 16, v12
	v_mov_b32_e32 v102, 0
	v_mov_b32_e32 v14, 0
	s_mov_b32 s12, exec_lo
	v_and_b32_e32 v0, 0xff, v103
	s_delay_alu instid0(VALU_DEP_1)
	v_cmpx_ne_u16_e32 0, v0
	s_cbranch_execz .LBB344_867
; %bb.860:                              ;   in Loop: Header=BB344_678 Depth=1
	v_bfrev_b32_e32 v14, 1
	s_mov_b32 s13, exec_lo
	v_cmpx_ne_u16_e32 0x80, v0
	s_cbranch_execz .LBB344_866
; %bb.861:                              ;   in Loop: Header=BB344_678 Depth=1
	v_bfe_u32 v112, v12, 16, 7
	v_mov_b32_e32 v14, 0x7fc02000
	s_mov_b32 s15, exec_lo
	s_delay_alu instid0(VALU_DEP_2)
	v_cmpx_ne_u32_e32 0x7f, v112
	s_cbranch_execz .LBB344_865
; %bb.862:                              ;   in Loop: Header=BB344_678 Depth=1
	v_and_b32_e32 v0, 7, v103
	v_lshrrev_b32_e32 v14, 3, v112
	s_mov_b32 s16, exec_lo
	v_cmpx_gt_u32_e32 8, v112
; %bb.863:                              ;   in Loop: Header=BB344_678 Depth=1
	s_delay_alu instid0(VALU_DEP_3) | instskip(NEXT) | instid1(VALU_DEP_1)
	v_clz_i32_u32_e32 v14, v0
	v_min_u32_e32 v14, 32, v14
	s_delay_alu instid0(VALU_DEP_1) | instskip(SKIP_1) | instid1(VALU_DEP_2)
	v_subrev_nc_u32_e32 v112, 28, v14
	v_sub_nc_u32_e32 v14, 29, v14
	v_lshlrev_b64 v[112:113], v112, v[0:1]
	s_delay_alu instid0(VALU_DEP_1)
	v_and_b32_e32 v0, 7, v112
; %bb.864:                              ;   in Loop: Header=BB344_678 Depth=1
	s_or_b32 exec_lo, exec_lo, s16
	v_lshlrev_b32_e32 v103, 8, v103
	v_lshl_add_u32 v14, v14, 10, 0x2000
	s_delay_alu instid0(VALU_DEP_1) | instskip(NEXT) | instid1(VALU_DEP_1)
	v_and_or_b32 v14, 0x8000, v103, v14
	v_lshl_or_b32 v0, v0, 7, v14
	s_delay_alu instid0(VALU_DEP_1)
	v_cvt_f32_f16_e32 v14, v0
.LBB344_865:                            ;   in Loop: Header=BB344_678 Depth=1
	s_or_b32 exec_lo, exec_lo, s15
.LBB344_866:                            ;   in Loop: Header=BB344_678 Depth=1
	s_delay_alu instid0(SALU_CYCLE_1)
	s_or_b32 exec_lo, exec_lo, s13
.LBB344_867:                            ;   in Loop: Header=BB344_678 Depth=1
	s_delay_alu instid0(SALU_CYCLE_1) | instskip(NEXT) | instid1(SALU_CYCLE_1)
	s_or_b32 exec_lo, exec_lo, s12
	s_mov_b32 s12, exec_lo
	v_cmpx_lt_u64_e64 s[8:9], v[11:12]
	s_cbranch_execz .LBB344_875
; %bb.868:                              ;   in Loop: Header=BB344_678 Depth=1
	v_lshrrev_b32_e32 v11, 24, v12
	v_bfrev_b32_e32 v102, 1
	s_mov_b32 s13, exec_lo
	s_delay_alu instid0(VALU_DEP_2)
	v_cmpx_ne_u32_e32 0x80, v11
	s_cbranch_execz .LBB344_874
; %bb.869:                              ;   in Loop: Header=BB344_678 Depth=1
	v_and_b32_e32 v103, 0x7f, v11
	v_mov_b32_e32 v102, 0x7fc02000
	s_mov_b32 s15, exec_lo
	s_delay_alu instid0(VALU_DEP_2)
	v_cmpx_ne_u32_e32 0x7f, v103
	s_cbranch_execz .LBB344_873
; %bb.870:                              ;   in Loop: Header=BB344_678 Depth=1
	v_and_b32_e32 v0, 7, v11
	v_lshrrev_b32_e32 v12, 3, v103
	s_mov_b32 s16, exec_lo
	v_cmpx_gt_u32_e32 8, v103
; %bb.871:                              ;   in Loop: Header=BB344_678 Depth=1
	s_delay_alu instid0(VALU_DEP_3) | instskip(NEXT) | instid1(VALU_DEP_1)
	v_clz_i32_u32_e32 v12, v0
	v_min_u32_e32 v12, 32, v12
	s_delay_alu instid0(VALU_DEP_1) | instskip(SKIP_1) | instid1(VALU_DEP_2)
	v_subrev_nc_u32_e32 v102, 28, v12
	v_sub_nc_u32_e32 v12, 29, v12
	v_lshlrev_b64 v[102:103], v102, v[0:1]
	s_delay_alu instid0(VALU_DEP_1)
	v_and_b32_e32 v0, 7, v102
; %bb.872:                              ;   in Loop: Header=BB344_678 Depth=1
	s_or_b32 exec_lo, exec_lo, s16
	v_lshlrev_b32_e32 v11, 8, v11
	v_lshl_add_u32 v12, v12, 10, 0x2000
	s_delay_alu instid0(VALU_DEP_1) | instskip(NEXT) | instid1(VALU_DEP_1)
	v_and_or_b32 v11, 0x8000, v11, v12
	v_lshl_or_b32 v0, v0, 7, v11
	s_delay_alu instid0(VALU_DEP_1)
	v_cvt_f32_f16_e32 v102, v0
.LBB344_873:                            ;   in Loop: Header=BB344_678 Depth=1
	s_or_b32 exec_lo, exec_lo, s15
.LBB344_874:                            ;   in Loop: Header=BB344_678 Depth=1
	s_delay_alu instid0(SALU_CYCLE_1)
	s_or_b32 exec_lo, exec_lo, s13
.LBB344_875:                            ;   in Loop: Header=BB344_678 Depth=1
	s_delay_alu instid0(SALU_CYCLE_1)
	s_or_b32 exec_lo, exec_lo, s12
	s_waitcnt vmcnt(0) lgkmcnt(0)
	v_fma_mixlo_f16 v12, v96, v98, 0
	v_fma_mixlo_f16 v0, v96, v100, 0
	;; [unrolled: 1-line block ×5, first 2 shown]
	v_lshlrev_b32_e32 v98, 16, v12
	v_fma_mixlo_f16 v13, v96, v13, 0
	v_fma_mixlo_f16 v100, v96, v102, 0
	;; [unrolled: 1-line block ×3, first 2 shown]
	v_lshlrev_b32_e32 v0, 16, v0
	v_and_b32_e32 v11, 0xffff, v11
	v_and_b32_e32 v14, 0xffff, v97
	v_lshlrev_b32_e32 v96, 16, v99
	v_and_b32_e32 v97, 0xffff, v13
	v_lshlrev_b32_e32 v99, 16, v100
	v_and_b32_e32 v100, 0xffff, v12
	v_or_b32_e32 v13, v0, v11
	v_or_b32_e32 v14, v98, v14
	;; [unrolled: 1-line block ×3, first 2 shown]
	s_delay_alu instid0(VALU_DEP_4)
	v_or_b32_e32 v11, v99, v100
	s_and_saveexec_b32 s12, vcc_lo
	s_cbranch_execz .LBB344_877
; %bb.876:                              ;   in Loop: Header=BB344_678 Depth=1
	v_cmp_lt_i32_e64 s0, v19, v38
	v_lshrrev_b32_e32 v96, 16, v14
	v_lshrrev_b32_e32 v97, 16, v13
	;; [unrolled: 1-line block ×4, first 2 shown]
	v_cndmask_b32_e64 v14, 0, v14, s0
	v_cmp_lt_i32_e64 s0, v71, v55
	s_delay_alu instid0(VALU_DEP_1) | instskip(SKIP_1) | instid1(VALU_DEP_2)
	v_cndmask_b32_e64 v96, 0, v96, s0
	v_cmp_lt_i32_e64 s0, v70, v55
	v_perm_b32 v14, v96, v14, 0x5040100
	s_delay_alu instid0(VALU_DEP_2) | instskip(SKIP_1) | instid1(VALU_DEP_1)
	v_cndmask_b32_e64 v97, 0, v97, s0
	v_cmp_lt_i32_e64 s0, v69, v38
	v_cndmask_b32_e64 v13, 0, v13, s0
	v_cmp_lt_i32_e64 s0, v68, v55
	s_delay_alu instid0(VALU_DEP_2) | instskip(NEXT) | instid1(VALU_DEP_2)
	v_perm_b32 v13, v97, v13, 0x5040100
	v_cndmask_b32_e64 v98, 0, v98, s0
	v_cmp_lt_i32_e64 s0, v67, v38
	s_delay_alu instid0(VALU_DEP_1) | instskip(SKIP_1) | instid1(VALU_DEP_2)
	v_cndmask_b32_e64 v0, 0, v0, s0
	v_cmp_lt_i32_e64 s0, v66, v55
	v_perm_b32 v0, v98, v0, 0x5040100
	s_delay_alu instid0(VALU_DEP_2) | instskip(SKIP_1) | instid1(VALU_DEP_1)
	v_cndmask_b32_e64 v11, 0, v11, s0
	v_cmp_lt_i32_e64 s0, v64, v38
	v_cndmask_b32_e64 v12, 0, v12, s0
	s_delay_alu instid0(VALU_DEP_1)
	v_perm_b32 v11, v11, v12, 0x5040100
.LBB344_877:                            ;   in Loop: Header=BB344_678 Depth=1
	s_or_b32 exec_lo, exec_lo, s12
	;;#ASMSTART
	v_pk_mul_f16 v12, v85, v14;

	;;#ASMEND
	;;#ASMSTART
	v_pk_mul_f16 v13, v84, v13;

	;;#ASMEND
	;;#ASMSTART
	v_pk_mul_f16 v0, v83, v0;

	;;#ASMEND
	;;#ASMSTART
	v_pk_mul_f16 v11, v82, v11;

	;;#ASMEND
	;;#ASMSTART
	v_pk_add_f16 v12, v12, v13;

	;;#ASMEND
	;;#ASMSTART
	v_pk_add_f16 v0, v12, v0;

	;;#ASMEND
	;; [unrolled: 4-line block ×3, first 2 shown]
	v_dual_mov_b32 v100, 0 :: v_dual_and_b32 v11, 0xffff, v0
	v_lshrrev_b32_e32 v0, 16, v0
	;;#ASMSTART
	v_cvt_f32_f16 v96, v11;
	;;#ASMEND
	;;#ASMSTART
	v_cvt_f32_f16 v97, v0;
	;;#ASMEND
	flat_load_b64 v[11:12], v[9:10] offset:768
	flat_load_b32 v98, v[26:27]
	s_mov_b32 s12, exec_lo
	s_waitcnt vmcnt(1) lgkmcnt(1)
	v_dual_mov_b32 v99, 0 :: v_dual_and_b32 v0, 0xff, v11
	s_delay_alu instid0(VALU_DEP_1)
	v_cmpx_ne_u16_e32 0, v0
	s_cbranch_execz .LBB344_885
; %bb.878:                              ;   in Loop: Header=BB344_678 Depth=1
	v_bfrev_b32_e32 v99, 1
	s_mov_b32 s13, exec_lo
	v_cmpx_ne_u16_e32 0x80, v0
	s_cbranch_execz .LBB344_884
; %bb.879:                              ;   in Loop: Header=BB344_678 Depth=1
	v_and_b32_e32 v13, 0x7f, v11
	v_mov_b32_e32 v99, 0x7fc02000
	s_mov_b32 s15, exec_lo
	s_delay_alu instid0(VALU_DEP_2)
	v_cmpx_ne_u32_e32 0x7f, v13
	s_cbranch_execz .LBB344_883
; %bb.880:                              ;   in Loop: Header=BB344_678 Depth=1
	v_lshrrev_b32_e32 v0, 3, v13
	v_cmp_gt_u32_e64 s0, 8, v13
	v_dual_mov_b32 v14, v12 :: v_dual_mov_b32 v13, v11
	s_delay_alu instid0(VALU_DEP_2)
	s_and_saveexec_b32 s16, s0
; %bb.881:                              ;   in Loop: Header=BB344_678 Depth=1
	v_and_b32_e32 v0, 7, v11
	s_delay_alu instid0(VALU_DEP_1) | instskip(NEXT) | instid1(VALU_DEP_1)
	v_clz_i32_u32_e32 v0, v0
	v_min_u32_e32 v0, 32, v0
	s_delay_alu instid0(VALU_DEP_1) | instskip(SKIP_1) | instid1(VALU_DEP_2)
	v_subrev_nc_u32_e32 v13, 28, v0
	v_sub_nc_u32_e32 v0, 29, v0
	v_lshlrev_b64 v[13:14], v13, v[11:12]
; %bb.882:                              ;   in Loop: Header=BB344_678 Depth=1
	s_or_b32 exec_lo, exec_lo, s16
	v_lshlrev_b32_e32 v14, 8, v11
	s_delay_alu instid0(VALU_DEP_3) | instskip(NEXT) | instid1(VALU_DEP_3)
	v_lshl_add_u32 v0, v0, 10, 0x2000
	v_lshlrev_b32_e32 v13, 7, v13
	s_delay_alu instid0(VALU_DEP_2) | instskip(NEXT) | instid1(VALU_DEP_1)
	v_and_or_b32 v0, 0x8000, v14, v0
	v_and_or_b32 v0, 0x380, v13, v0
	s_delay_alu instid0(VALU_DEP_1)
	v_cvt_f32_f16_e32 v99, v0
.LBB344_883:                            ;   in Loop: Header=BB344_678 Depth=1
	s_or_b32 exec_lo, exec_lo, s15
.LBB344_884:                            ;   in Loop: Header=BB344_678 Depth=1
	s_delay_alu instid0(SALU_CYCLE_1)
	s_or_b32 exec_lo, exec_lo, s13
.LBB344_885:                            ;   in Loop: Header=BB344_678 Depth=1
	s_delay_alu instid0(SALU_CYCLE_1) | instskip(SKIP_2) | instid1(VALU_DEP_1)
	s_or_b32 exec_lo, exec_lo, s12
	v_lshrrev_b16 v0, 8, v11
	s_mov_b32 s12, exec_lo
	v_cmpx_ne_u16_e32 0, v0
	s_cbranch_execz .LBB344_893
; %bb.886:                              ;   in Loop: Header=BB344_678 Depth=1
	v_bfrev_b32_e32 v100, 1
	s_mov_b32 s13, exec_lo
	v_cmpx_ne_u16_e32 0x80, v0
	s_cbranch_execz .LBB344_892
; %bb.887:                              ;   in Loop: Header=BB344_678 Depth=1
	v_and_b32_e32 v13, 0xffff, v0
	v_mov_b32_e32 v100, 0x7fc02000
	s_mov_b32 s15, exec_lo
	s_delay_alu instid0(VALU_DEP_2) | instskip(NEXT) | instid1(VALU_DEP_1)
	v_and_b32_e32 v101, 0x7f, v13
	v_cmpx_ne_u32_e32 0x7f, v101
	s_cbranch_execz .LBB344_891
; %bb.888:                              ;   in Loop: Header=BB344_678 Depth=1
	v_and_b32_e32 v0, 7, v13
	v_lshrrev_b32_e32 v14, 3, v101
	s_mov_b32 s16, exec_lo
	v_cmpx_gt_u32_e32 8, v101
; %bb.889:                              ;   in Loop: Header=BB344_678 Depth=1
	s_delay_alu instid0(VALU_DEP_3) | instskip(NEXT) | instid1(VALU_DEP_1)
	v_clz_i32_u32_e32 v14, v0
	v_min_u32_e32 v14, 32, v14
	s_delay_alu instid0(VALU_DEP_1) | instskip(SKIP_1) | instid1(VALU_DEP_2)
	v_subrev_nc_u32_e32 v100, 28, v14
	v_sub_nc_u32_e32 v14, 29, v14
	v_lshlrev_b64 v[100:101], v100, v[0:1]
	s_delay_alu instid0(VALU_DEP_1)
	v_and_b32_e32 v0, 7, v100
; %bb.890:                              ;   in Loop: Header=BB344_678 Depth=1
	s_or_b32 exec_lo, exec_lo, s16
	v_lshlrev_b32_e32 v13, 8, v13
	v_lshl_add_u32 v14, v14, 10, 0x2000
	s_delay_alu instid0(VALU_DEP_1) | instskip(NEXT) | instid1(VALU_DEP_1)
	v_and_or_b32 v13, 0x8000, v13, v14
	v_lshl_or_b32 v0, v0, 7, v13
	s_delay_alu instid0(VALU_DEP_1)
	v_cvt_f32_f16_e32 v100, v0
.LBB344_891:                            ;   in Loop: Header=BB344_678 Depth=1
	s_or_b32 exec_lo, exec_lo, s15
.LBB344_892:                            ;   in Loop: Header=BB344_678 Depth=1
	s_delay_alu instid0(SALU_CYCLE_1)
	s_or_b32 exec_lo, exec_lo, s13
.LBB344_893:                            ;   in Loop: Header=BB344_678 Depth=1
	s_delay_alu instid0(SALU_CYCLE_1) | instskip(SKIP_3) | instid1(VALU_DEP_2)
	s_or_b32 exec_lo, exec_lo, s12
	v_lshrrev_b32_e32 v13, 16, v11
	v_mov_b32_e32 v102, 0
	s_mov_b32 s12, exec_lo
	v_dual_mov_b32 v101, 0 :: v_dual_and_b32 v0, 0xff, v13
	s_delay_alu instid0(VALU_DEP_1)
	v_cmpx_ne_u16_e32 0, v0
	s_cbranch_execz .LBB344_901
; %bb.894:                              ;   in Loop: Header=BB344_678 Depth=1
	v_bfrev_b32_e32 v101, 1
	s_mov_b32 s13, exec_lo
	v_cmpx_ne_u16_e32 0x80, v0
	s_cbranch_execz .LBB344_900
; %bb.895:                              ;   in Loop: Header=BB344_678 Depth=1
	v_bfe_u32 v103, v11, 16, 7
	v_mov_b32_e32 v101, 0x7fc02000
	s_mov_b32 s15, exec_lo
	s_delay_alu instid0(VALU_DEP_2)
	v_cmpx_ne_u32_e32 0x7f, v103
	s_cbranch_execz .LBB344_899
; %bb.896:                              ;   in Loop: Header=BB344_678 Depth=1
	v_and_b32_e32 v0, 7, v13
	v_lshrrev_b32_e32 v14, 3, v103
	s_mov_b32 s16, exec_lo
	v_cmpx_gt_u32_e32 8, v103
; %bb.897:                              ;   in Loop: Header=BB344_678 Depth=1
	s_delay_alu instid0(VALU_DEP_3) | instskip(NEXT) | instid1(VALU_DEP_1)
	v_clz_i32_u32_e32 v14, v0
	v_min_u32_e32 v14, 32, v14
	s_delay_alu instid0(VALU_DEP_1) | instskip(SKIP_1) | instid1(VALU_DEP_2)
	v_subrev_nc_u32_e32 v101, 28, v14
	v_sub_nc_u32_e32 v14, 29, v14
	v_lshlrev_b64 v[112:113], v101, v[0:1]
	s_delay_alu instid0(VALU_DEP_1)
	v_and_b32_e32 v0, 7, v112
; %bb.898:                              ;   in Loop: Header=BB344_678 Depth=1
	s_or_b32 exec_lo, exec_lo, s16
	v_lshlrev_b32_e32 v13, 8, v13
	v_lshl_add_u32 v14, v14, 10, 0x2000
	s_delay_alu instid0(VALU_DEP_1) | instskip(NEXT) | instid1(VALU_DEP_1)
	v_and_or_b32 v13, 0x8000, v13, v14
	v_lshl_or_b32 v0, v0, 7, v13
	s_delay_alu instid0(VALU_DEP_1)
	v_cvt_f32_f16_e32 v101, v0
.LBB344_899:                            ;   in Loop: Header=BB344_678 Depth=1
	s_or_b32 exec_lo, exec_lo, s15
.LBB344_900:                            ;   in Loop: Header=BB344_678 Depth=1
	s_delay_alu instid0(SALU_CYCLE_1)
	s_or_b32 exec_lo, exec_lo, s13
.LBB344_901:                            ;   in Loop: Header=BB344_678 Depth=1
	s_delay_alu instid0(SALU_CYCLE_1) | instskip(NEXT) | instid1(SALU_CYCLE_1)
	s_or_b32 exec_lo, exec_lo, s12
	s_mov_b32 s12, exec_lo
	v_cmpx_lt_u32_e32 0xffffff, v11
	s_cbranch_execz .LBB344_909
; %bb.902:                              ;   in Loop: Header=BB344_678 Depth=1
	v_lshrrev_b32_e32 v13, 24, v11
	v_bfrev_b32_e32 v102, 1
	s_mov_b32 s13, exec_lo
	s_delay_alu instid0(VALU_DEP_2)
	v_cmpx_ne_u32_e32 0x80, v13
	s_cbranch_execz .LBB344_908
; %bb.903:                              ;   in Loop: Header=BB344_678 Depth=1
	v_and_b32_e32 v103, 0x7f, v13
	v_mov_b32_e32 v102, 0x7fc02000
	s_mov_b32 s15, exec_lo
	s_delay_alu instid0(VALU_DEP_2)
	v_cmpx_ne_u32_e32 0x7f, v103
	s_cbranch_execz .LBB344_907
; %bb.904:                              ;   in Loop: Header=BB344_678 Depth=1
	v_and_b32_e32 v0, 7, v13
	v_lshrrev_b32_e32 v14, 3, v103
	s_mov_b32 s16, exec_lo
	v_cmpx_gt_u32_e32 8, v103
; %bb.905:                              ;   in Loop: Header=BB344_678 Depth=1
	s_delay_alu instid0(VALU_DEP_3) | instskip(NEXT) | instid1(VALU_DEP_1)
	v_clz_i32_u32_e32 v14, v0
	v_min_u32_e32 v14, 32, v14
	s_delay_alu instid0(VALU_DEP_1) | instskip(SKIP_1) | instid1(VALU_DEP_2)
	v_subrev_nc_u32_e32 v102, 28, v14
	v_sub_nc_u32_e32 v14, 29, v14
	v_lshlrev_b64 v[102:103], v102, v[0:1]
	s_delay_alu instid0(VALU_DEP_1)
	v_and_b32_e32 v0, 7, v102
; %bb.906:                              ;   in Loop: Header=BB344_678 Depth=1
	s_or_b32 exec_lo, exec_lo, s16
	v_lshlrev_b32_e32 v13, 8, v13
	v_lshl_add_u32 v14, v14, 10, 0x2000
	s_delay_alu instid0(VALU_DEP_1) | instskip(NEXT) | instid1(VALU_DEP_1)
	v_and_or_b32 v13, 0x8000, v13, v14
	v_lshl_or_b32 v0, v0, 7, v13
	s_delay_alu instid0(VALU_DEP_1)
	v_cvt_f32_f16_e32 v102, v0
.LBB344_907:                            ;   in Loop: Header=BB344_678 Depth=1
	s_or_b32 exec_lo, exec_lo, s15
.LBB344_908:                            ;   in Loop: Header=BB344_678 Depth=1
	s_delay_alu instid0(SALU_CYCLE_1)
	s_or_b32 exec_lo, exec_lo, s13
.LBB344_909:                            ;   in Loop: Header=BB344_678 Depth=1
	s_delay_alu instid0(SALU_CYCLE_1) | instskip(SKIP_3) | instid1(VALU_DEP_2)
	s_or_b32 exec_lo, exec_lo, s12
	v_dual_mov_b32 v103, 0 :: v_dual_and_b32 v14, 0xff, v12
	v_dual_mov_b32 v0, v12 :: v_dual_mov_b32 v13, 0
	s_mov_b32 s12, exec_lo
	v_cmpx_ne_u16_e32 0, v14
	s_cbranch_execz .LBB344_917
; %bb.910:                              ;   in Loop: Header=BB344_678 Depth=1
	v_bfrev_b32_e32 v13, 1
	s_mov_b32 s13, exec_lo
	v_cmpx_ne_u16_e32 0x80, v14
	s_cbranch_execz .LBB344_916
; %bb.911:                              ;   in Loop: Header=BB344_678 Depth=1
	v_and_b32_e32 v14, 0x7f, v12
	v_mov_b32_e32 v13, 0x7fc02000
	s_mov_b32 s15, exec_lo
	s_delay_alu instid0(VALU_DEP_2)
	v_cmpx_ne_u32_e32 0x7f, v14
	s_cbranch_execz .LBB344_915
; %bb.912:                              ;   in Loop: Header=BB344_678 Depth=1
	v_lshrrev_b32_e32 v112, 3, v14
	v_cmp_gt_u32_e64 s0, 8, v14
	v_dual_mov_b32 v14, v1 :: v_dual_mov_b32 v13, v0
	s_delay_alu instid0(VALU_DEP_2)
	s_and_saveexec_b32 s16, s0
; %bb.913:                              ;   in Loop: Header=BB344_678 Depth=1
	v_and_b32_e32 v13, 7, v12
	s_delay_alu instid0(VALU_DEP_1) | instskip(NEXT) | instid1(VALU_DEP_1)
	v_clz_i32_u32_e32 v13, v13
	v_min_u32_e32 v112, 32, v13
	s_delay_alu instid0(VALU_DEP_1) | instskip(SKIP_1) | instid1(VALU_DEP_2)
	v_subrev_nc_u32_e32 v13, 28, v112
	v_sub_nc_u32_e32 v112, 29, v112
	v_lshlrev_b64 v[13:14], v13, v[0:1]
; %bb.914:                              ;   in Loop: Header=BB344_678 Depth=1
	s_or_b32 exec_lo, exec_lo, s16
	v_lshlrev_b32_e32 v14, 8, v12
	s_delay_alu instid0(VALU_DEP_3) | instskip(NEXT) | instid1(VALU_DEP_3)
	v_lshl_add_u32 v112, v112, 10, 0x2000
	v_lshlrev_b32_e32 v13, 7, v13
	s_delay_alu instid0(VALU_DEP_2) | instskip(NEXT) | instid1(VALU_DEP_1)
	v_and_or_b32 v14, 0x8000, v14, v112
	v_and_or_b32 v13, 0x380, v13, v14
	s_delay_alu instid0(VALU_DEP_1)
	v_cvt_f32_f16_e32 v13, v13
.LBB344_915:                            ;   in Loop: Header=BB344_678 Depth=1
	s_or_b32 exec_lo, exec_lo, s15
.LBB344_916:                            ;   in Loop: Header=BB344_678 Depth=1
	s_delay_alu instid0(SALU_CYCLE_1)
	s_or_b32 exec_lo, exec_lo, s13
.LBB344_917:                            ;   in Loop: Header=BB344_678 Depth=1
	s_delay_alu instid0(SALU_CYCLE_1) | instskip(SKIP_2) | instid1(VALU_DEP_1)
	s_or_b32 exec_lo, exec_lo, s12
	v_lshrrev_b16 v0, 8, v0
	s_mov_b32 s12, exec_lo
	v_cmpx_ne_u16_e32 0, v0
	s_cbranch_execz .LBB344_925
; %bb.918:                              ;   in Loop: Header=BB344_678 Depth=1
	v_bfrev_b32_e32 v103, 1
	s_mov_b32 s13, exec_lo
	v_cmpx_ne_u16_e32 0x80, v0
	s_cbranch_execz .LBB344_924
; %bb.919:                              ;   in Loop: Header=BB344_678 Depth=1
	v_and_b32_e32 v14, 0xffff, v0
	v_mov_b32_e32 v103, 0x7fc02000
	s_mov_b32 s15, exec_lo
	s_delay_alu instid0(VALU_DEP_2) | instskip(NEXT) | instid1(VALU_DEP_1)
	v_and_b32_e32 v112, 0x7f, v14
	v_cmpx_ne_u32_e32 0x7f, v112
	s_cbranch_execz .LBB344_923
; %bb.920:                              ;   in Loop: Header=BB344_678 Depth=1
	v_and_b32_e32 v0, 7, v14
	v_lshrrev_b32_e32 v103, 3, v112
	s_mov_b32 s16, exec_lo
	v_cmpx_gt_u32_e32 8, v112
; %bb.921:                              ;   in Loop: Header=BB344_678 Depth=1
	s_delay_alu instid0(VALU_DEP_3) | instskip(NEXT) | instid1(VALU_DEP_1)
	v_clz_i32_u32_e32 v103, v0
	v_min_u32_e32 v103, 32, v103
	s_delay_alu instid0(VALU_DEP_1) | instskip(SKIP_1) | instid1(VALU_DEP_2)
	v_subrev_nc_u32_e32 v112, 28, v103
	v_sub_nc_u32_e32 v103, 29, v103
	v_lshlrev_b64 v[112:113], v112, v[0:1]
	s_delay_alu instid0(VALU_DEP_1)
	v_and_b32_e32 v0, 7, v112
; %bb.922:                              ;   in Loop: Header=BB344_678 Depth=1
	s_or_b32 exec_lo, exec_lo, s16
	v_lshlrev_b32_e32 v14, 8, v14
	v_lshl_add_u32 v103, v103, 10, 0x2000
	s_delay_alu instid0(VALU_DEP_1) | instskip(NEXT) | instid1(VALU_DEP_1)
	v_and_or_b32 v14, 0x8000, v14, v103
	v_lshl_or_b32 v0, v0, 7, v14
	s_delay_alu instid0(VALU_DEP_1)
	v_cvt_f32_f16_e32 v103, v0
.LBB344_923:                            ;   in Loop: Header=BB344_678 Depth=1
	s_or_b32 exec_lo, exec_lo, s15
.LBB344_924:                            ;   in Loop: Header=BB344_678 Depth=1
	s_delay_alu instid0(SALU_CYCLE_1)
	s_or_b32 exec_lo, exec_lo, s13
.LBB344_925:                            ;   in Loop: Header=BB344_678 Depth=1
	s_delay_alu instid0(SALU_CYCLE_1) | instskip(SKIP_4) | instid1(VALU_DEP_3)
	s_or_b32 exec_lo, exec_lo, s12
	v_lshrrev_b32_e32 v113, 16, v12
	v_mov_b32_e32 v112, 0
	v_mov_b32_e32 v14, 0
	s_mov_b32 s12, exec_lo
	v_and_b32_e32 v0, 0xff, v113
	s_delay_alu instid0(VALU_DEP_1)
	v_cmpx_ne_u16_e32 0, v0
	s_cbranch_execz .LBB344_933
; %bb.926:                              ;   in Loop: Header=BB344_678 Depth=1
	v_bfrev_b32_e32 v14, 1
	s_mov_b32 s13, exec_lo
	v_cmpx_ne_u16_e32 0x80, v0
	s_cbranch_execz .LBB344_932
; %bb.927:                              ;   in Loop: Header=BB344_678 Depth=1
	v_bfe_u32 v114, v12, 16, 7
	v_mov_b32_e32 v14, 0x7fc02000
	s_mov_b32 s15, exec_lo
	s_delay_alu instid0(VALU_DEP_2)
	v_cmpx_ne_u32_e32 0x7f, v114
	s_cbranch_execz .LBB344_931
; %bb.928:                              ;   in Loop: Header=BB344_678 Depth=1
	v_and_b32_e32 v0, 7, v113
	v_lshrrev_b32_e32 v14, 3, v114
	s_mov_b32 s16, exec_lo
	v_cmpx_gt_u32_e32 8, v114
; %bb.929:                              ;   in Loop: Header=BB344_678 Depth=1
	s_delay_alu instid0(VALU_DEP_3) | instskip(NEXT) | instid1(VALU_DEP_1)
	v_clz_i32_u32_e32 v14, v0
	v_min_u32_e32 v14, 32, v14
	s_delay_alu instid0(VALU_DEP_1) | instskip(SKIP_1) | instid1(VALU_DEP_2)
	v_subrev_nc_u32_e32 v114, 28, v14
	v_sub_nc_u32_e32 v14, 29, v14
	v_lshlrev_b64 v[114:115], v114, v[0:1]
	s_delay_alu instid0(VALU_DEP_1)
	v_and_b32_e32 v0, 7, v114
; %bb.930:                              ;   in Loop: Header=BB344_678 Depth=1
	s_or_b32 exec_lo, exec_lo, s16
	v_lshlrev_b32_e32 v113, 8, v113
	v_lshl_add_u32 v14, v14, 10, 0x2000
	s_delay_alu instid0(VALU_DEP_1) | instskip(NEXT) | instid1(VALU_DEP_1)
	v_and_or_b32 v14, 0x8000, v113, v14
	v_lshl_or_b32 v0, v0, 7, v14
	s_delay_alu instid0(VALU_DEP_1)
	v_cvt_f32_f16_e32 v14, v0
.LBB344_931:                            ;   in Loop: Header=BB344_678 Depth=1
	s_or_b32 exec_lo, exec_lo, s15
.LBB344_932:                            ;   in Loop: Header=BB344_678 Depth=1
	s_delay_alu instid0(SALU_CYCLE_1)
	s_or_b32 exec_lo, exec_lo, s13
.LBB344_933:                            ;   in Loop: Header=BB344_678 Depth=1
	s_delay_alu instid0(SALU_CYCLE_1) | instskip(NEXT) | instid1(SALU_CYCLE_1)
	s_or_b32 exec_lo, exec_lo, s12
	s_mov_b32 s12, exec_lo
	v_cmpx_lt_u64_e64 s[8:9], v[11:12]
	s_cbranch_execz .LBB344_941
; %bb.934:                              ;   in Loop: Header=BB344_678 Depth=1
	v_lshrrev_b32_e32 v11, 24, v12
	v_bfrev_b32_e32 v112, 1
	s_mov_b32 s13, exec_lo
	s_delay_alu instid0(VALU_DEP_2)
	v_cmpx_ne_u32_e32 0x80, v11
	s_cbranch_execz .LBB344_940
; %bb.935:                              ;   in Loop: Header=BB344_678 Depth=1
	v_and_b32_e32 v113, 0x7f, v11
	v_mov_b32_e32 v112, 0x7fc02000
	s_mov_b32 s15, exec_lo
	s_delay_alu instid0(VALU_DEP_2)
	v_cmpx_ne_u32_e32 0x7f, v113
	s_cbranch_execz .LBB344_939
; %bb.936:                              ;   in Loop: Header=BB344_678 Depth=1
	v_and_b32_e32 v0, 7, v11
	v_lshrrev_b32_e32 v12, 3, v113
	s_mov_b32 s16, exec_lo
	v_cmpx_gt_u32_e32 8, v113
; %bb.937:                              ;   in Loop: Header=BB344_678 Depth=1
	s_delay_alu instid0(VALU_DEP_3) | instskip(NEXT) | instid1(VALU_DEP_1)
	v_clz_i32_u32_e32 v12, v0
	v_min_u32_e32 v12, 32, v12
	s_delay_alu instid0(VALU_DEP_1) | instskip(SKIP_1) | instid1(VALU_DEP_2)
	v_subrev_nc_u32_e32 v112, 28, v12
	v_sub_nc_u32_e32 v12, 29, v12
	v_lshlrev_b64 v[112:113], v112, v[0:1]
	s_delay_alu instid0(VALU_DEP_1)
	v_and_b32_e32 v0, 7, v112
; %bb.938:                              ;   in Loop: Header=BB344_678 Depth=1
	s_or_b32 exec_lo, exec_lo, s16
	v_lshlrev_b32_e32 v11, 8, v11
	v_lshl_add_u32 v12, v12, 10, 0x2000
	s_delay_alu instid0(VALU_DEP_1) | instskip(NEXT) | instid1(VALU_DEP_1)
	v_and_or_b32 v11, 0x8000, v11, v12
	v_lshl_or_b32 v0, v0, 7, v11
	s_delay_alu instid0(VALU_DEP_1)
	v_cvt_f32_f16_e32 v112, v0
.LBB344_939:                            ;   in Loop: Header=BB344_678 Depth=1
	s_or_b32 exec_lo, exec_lo, s15
.LBB344_940:                            ;   in Loop: Header=BB344_678 Depth=1
	s_delay_alu instid0(SALU_CYCLE_1)
	s_or_b32 exec_lo, exec_lo, s13
.LBB344_941:                            ;   in Loop: Header=BB344_678 Depth=1
	s_delay_alu instid0(SALU_CYCLE_1)
	s_or_b32 exec_lo, exec_lo, s12
	s_waitcnt vmcnt(0) lgkmcnt(0)
	v_fma_mixlo_f16 v12, v98, v100, 0
	v_fma_mixlo_f16 v0, v98, v102, 0
	;; [unrolled: 1-line block ×5, first 2 shown]
	v_lshlrev_b32_e32 v100, 16, v12
	v_fma_mixlo_f16 v13, v98, v13, 0
	v_fma_mixlo_f16 v102, v98, v112, 0
	;; [unrolled: 1-line block ×3, first 2 shown]
	v_lshlrev_b32_e32 v0, 16, v0
	v_and_b32_e32 v11, 0xffff, v11
	v_and_b32_e32 v14, 0xffff, v99
	v_lshlrev_b32_e32 v98, 16, v101
	v_and_b32_e32 v99, 0xffff, v13
	v_lshlrev_b32_e32 v101, 16, v102
	v_and_b32_e32 v102, 0xffff, v12
	v_or_b32_e32 v13, v0, v11
	v_or_b32_e32 v14, v100, v14
	;; [unrolled: 1-line block ×3, first 2 shown]
	s_delay_alu instid0(VALU_DEP_4)
	v_or_b32_e32 v11, v101, v102
	s_and_saveexec_b32 s12, vcc_lo
	s_cbranch_execz .LBB344_943
; %bb.942:                              ;   in Loop: Header=BB344_678 Depth=1
	v_cmp_lt_i32_e64 s0, v19, v38
	v_lshrrev_b32_e32 v98, 16, v14
	v_lshrrev_b32_e32 v99, 16, v13
	;; [unrolled: 1-line block ×4, first 2 shown]
	v_cndmask_b32_e64 v14, 0, v14, s0
	v_cmp_lt_i32_e64 s0, v71, v55
	s_delay_alu instid0(VALU_DEP_1) | instskip(SKIP_1) | instid1(VALU_DEP_2)
	v_cndmask_b32_e64 v98, 0, v98, s0
	v_cmp_lt_i32_e64 s0, v70, v55
	v_perm_b32 v14, v98, v14, 0x5040100
	s_delay_alu instid0(VALU_DEP_2) | instskip(SKIP_1) | instid1(VALU_DEP_1)
	v_cndmask_b32_e64 v99, 0, v99, s0
	v_cmp_lt_i32_e64 s0, v69, v38
	v_cndmask_b32_e64 v13, 0, v13, s0
	v_cmp_lt_i32_e64 s0, v68, v55
	s_delay_alu instid0(VALU_DEP_2) | instskip(NEXT) | instid1(VALU_DEP_2)
	v_perm_b32 v13, v99, v13, 0x5040100
	v_cndmask_b32_e64 v100, 0, v100, s0
	v_cmp_lt_i32_e64 s0, v67, v38
	s_delay_alu instid0(VALU_DEP_1) | instskip(SKIP_1) | instid1(VALU_DEP_2)
	v_cndmask_b32_e64 v0, 0, v0, s0
	v_cmp_lt_i32_e64 s0, v66, v55
	v_perm_b32 v0, v100, v0, 0x5040100
	s_delay_alu instid0(VALU_DEP_2) | instskip(SKIP_1) | instid1(VALU_DEP_1)
	v_cndmask_b32_e64 v11, 0, v11, s0
	v_cmp_lt_i32_e64 s0, v64, v38
	v_cndmask_b32_e64 v12, 0, v12, s0
	s_delay_alu instid0(VALU_DEP_1)
	v_perm_b32 v11, v11, v12, 0x5040100
.LBB344_943:                            ;   in Loop: Header=BB344_678 Depth=1
	s_or_b32 exec_lo, exec_lo, s12
	;;#ASMSTART
	v_pk_mul_f16 v12, v85, v14;

	;;#ASMEND
	;;#ASMSTART
	v_pk_mul_f16 v13, v84, v13;

	;;#ASMEND
	;; [unrolled: 4-line block ×4, first 2 shown]
	;;#ASMSTART
	v_pk_add_f16 v12, v12, v13;

	;;#ASMEND
	;;#ASMSTART
	v_pk_add_f16 v0, v12, v0;

	;;#ASMEND
	;; [unrolled: 4-line block ×3, first 2 shown]
	v_dual_mov_b32 v102, 0 :: v_dual_and_b32 v11, 0xffff, v0
	v_lshrrev_b32_e32 v0, 16, v0
	;;#ASMSTART
	v_cvt_f32_f16 v98, v11;
	;;#ASMEND
	;;#ASMSTART
	v_cvt_f32_f16 v99, v0;
	;;#ASMEND
	flat_load_b64 v[11:12], v[9:10] offset:1024
	flat_load_b32 v100, v[26:27]
	s_mov_b32 s12, exec_lo
	s_waitcnt vmcnt(1) lgkmcnt(1)
	v_dual_mov_b32 v101, 0 :: v_dual_and_b32 v0, 0xff, v11
	s_delay_alu instid0(VALU_DEP_1)
	v_cmpx_ne_u16_e32 0, v0
	s_cbranch_execz .LBB344_951
; %bb.944:                              ;   in Loop: Header=BB344_678 Depth=1
	v_bfrev_b32_e32 v101, 1
	s_mov_b32 s13, exec_lo
	v_cmpx_ne_u16_e32 0x80, v0
	s_cbranch_execz .LBB344_950
; %bb.945:                              ;   in Loop: Header=BB344_678 Depth=1
	v_and_b32_e32 v13, 0x7f, v11
	v_mov_b32_e32 v101, 0x7fc02000
	s_mov_b32 s15, exec_lo
	s_delay_alu instid0(VALU_DEP_2)
	v_cmpx_ne_u32_e32 0x7f, v13
	s_cbranch_execz .LBB344_949
; %bb.946:                              ;   in Loop: Header=BB344_678 Depth=1
	v_lshrrev_b32_e32 v0, 3, v13
	v_cmp_gt_u32_e64 s0, 8, v13
	v_dual_mov_b32 v14, v12 :: v_dual_mov_b32 v13, v11
	s_delay_alu instid0(VALU_DEP_2)
	s_and_saveexec_b32 s16, s0
; %bb.947:                              ;   in Loop: Header=BB344_678 Depth=1
	v_and_b32_e32 v0, 7, v11
	s_delay_alu instid0(VALU_DEP_1) | instskip(NEXT) | instid1(VALU_DEP_1)
	v_clz_i32_u32_e32 v0, v0
	v_min_u32_e32 v0, 32, v0
	s_delay_alu instid0(VALU_DEP_1) | instskip(SKIP_1) | instid1(VALU_DEP_2)
	v_subrev_nc_u32_e32 v13, 28, v0
	v_sub_nc_u32_e32 v0, 29, v0
	v_lshlrev_b64 v[13:14], v13, v[11:12]
; %bb.948:                              ;   in Loop: Header=BB344_678 Depth=1
	s_or_b32 exec_lo, exec_lo, s16
	v_lshlrev_b32_e32 v14, 8, v11
	s_delay_alu instid0(VALU_DEP_3) | instskip(NEXT) | instid1(VALU_DEP_3)
	v_lshl_add_u32 v0, v0, 10, 0x2000
	v_lshlrev_b32_e32 v13, 7, v13
	s_delay_alu instid0(VALU_DEP_2) | instskip(NEXT) | instid1(VALU_DEP_1)
	v_and_or_b32 v0, 0x8000, v14, v0
	v_and_or_b32 v0, 0x380, v13, v0
	s_delay_alu instid0(VALU_DEP_1)
	v_cvt_f32_f16_e32 v101, v0
.LBB344_949:                            ;   in Loop: Header=BB344_678 Depth=1
	s_or_b32 exec_lo, exec_lo, s15
.LBB344_950:                            ;   in Loop: Header=BB344_678 Depth=1
	s_delay_alu instid0(SALU_CYCLE_1)
	s_or_b32 exec_lo, exec_lo, s13
.LBB344_951:                            ;   in Loop: Header=BB344_678 Depth=1
	s_delay_alu instid0(SALU_CYCLE_1) | instskip(SKIP_2) | instid1(VALU_DEP_1)
	s_or_b32 exec_lo, exec_lo, s12
	v_lshrrev_b16 v0, 8, v11
	s_mov_b32 s12, exec_lo
	v_cmpx_ne_u16_e32 0, v0
	s_cbranch_execz .LBB344_959
; %bb.952:                              ;   in Loop: Header=BB344_678 Depth=1
	v_bfrev_b32_e32 v102, 1
	s_mov_b32 s13, exec_lo
	v_cmpx_ne_u16_e32 0x80, v0
	s_cbranch_execz .LBB344_958
; %bb.953:                              ;   in Loop: Header=BB344_678 Depth=1
	v_and_b32_e32 v13, 0xffff, v0
	v_mov_b32_e32 v102, 0x7fc02000
	s_mov_b32 s15, exec_lo
	s_delay_alu instid0(VALU_DEP_2) | instskip(NEXT) | instid1(VALU_DEP_1)
	v_and_b32_e32 v103, 0x7f, v13
	v_cmpx_ne_u32_e32 0x7f, v103
	s_cbranch_execz .LBB344_957
; %bb.954:                              ;   in Loop: Header=BB344_678 Depth=1
	v_and_b32_e32 v0, 7, v13
	v_lshrrev_b32_e32 v14, 3, v103
	s_mov_b32 s16, exec_lo
	v_cmpx_gt_u32_e32 8, v103
; %bb.955:                              ;   in Loop: Header=BB344_678 Depth=1
	s_delay_alu instid0(VALU_DEP_3) | instskip(NEXT) | instid1(VALU_DEP_1)
	v_clz_i32_u32_e32 v14, v0
	v_min_u32_e32 v14, 32, v14
	s_delay_alu instid0(VALU_DEP_1) | instskip(SKIP_1) | instid1(VALU_DEP_2)
	v_subrev_nc_u32_e32 v102, 28, v14
	v_sub_nc_u32_e32 v14, 29, v14
	v_lshlrev_b64 v[102:103], v102, v[0:1]
	s_delay_alu instid0(VALU_DEP_1)
	v_and_b32_e32 v0, 7, v102
; %bb.956:                              ;   in Loop: Header=BB344_678 Depth=1
	s_or_b32 exec_lo, exec_lo, s16
	v_lshlrev_b32_e32 v13, 8, v13
	v_lshl_add_u32 v14, v14, 10, 0x2000
	s_delay_alu instid0(VALU_DEP_1) | instskip(NEXT) | instid1(VALU_DEP_1)
	v_and_or_b32 v13, 0x8000, v13, v14
	v_lshl_or_b32 v0, v0, 7, v13
	s_delay_alu instid0(VALU_DEP_1)
	v_cvt_f32_f16_e32 v102, v0
.LBB344_957:                            ;   in Loop: Header=BB344_678 Depth=1
	s_or_b32 exec_lo, exec_lo, s15
.LBB344_958:                            ;   in Loop: Header=BB344_678 Depth=1
	s_delay_alu instid0(SALU_CYCLE_1)
	s_or_b32 exec_lo, exec_lo, s13
.LBB344_959:                            ;   in Loop: Header=BB344_678 Depth=1
	s_delay_alu instid0(SALU_CYCLE_1) | instskip(SKIP_3) | instid1(VALU_DEP_2)
	s_or_b32 exec_lo, exec_lo, s12
	v_lshrrev_b32_e32 v13, 16, v11
	v_mov_b32_e32 v112, 0
	s_mov_b32 s12, exec_lo
	v_dual_mov_b32 v103, 0 :: v_dual_and_b32 v0, 0xff, v13
	s_delay_alu instid0(VALU_DEP_1)
	v_cmpx_ne_u16_e32 0, v0
	s_cbranch_execz .LBB344_967
; %bb.960:                              ;   in Loop: Header=BB344_678 Depth=1
	v_bfrev_b32_e32 v103, 1
	s_mov_b32 s13, exec_lo
	v_cmpx_ne_u16_e32 0x80, v0
	s_cbranch_execz .LBB344_966
; %bb.961:                              ;   in Loop: Header=BB344_678 Depth=1
	v_bfe_u32 v113, v11, 16, 7
	v_mov_b32_e32 v103, 0x7fc02000
	s_mov_b32 s15, exec_lo
	s_delay_alu instid0(VALU_DEP_2)
	v_cmpx_ne_u32_e32 0x7f, v113
	s_cbranch_execz .LBB344_965
; %bb.962:                              ;   in Loop: Header=BB344_678 Depth=1
	v_and_b32_e32 v0, 7, v13
	v_lshrrev_b32_e32 v14, 3, v113
	s_mov_b32 s16, exec_lo
	v_cmpx_gt_u32_e32 8, v113
; %bb.963:                              ;   in Loop: Header=BB344_678 Depth=1
	s_delay_alu instid0(VALU_DEP_3) | instskip(NEXT) | instid1(VALU_DEP_1)
	v_clz_i32_u32_e32 v14, v0
	v_min_u32_e32 v14, 32, v14
	s_delay_alu instid0(VALU_DEP_1) | instskip(SKIP_1) | instid1(VALU_DEP_2)
	v_subrev_nc_u32_e32 v103, 28, v14
	v_sub_nc_u32_e32 v14, 29, v14
	v_lshlrev_b64 v[113:114], v103, v[0:1]
	s_delay_alu instid0(VALU_DEP_1)
	v_and_b32_e32 v0, 7, v113
; %bb.964:                              ;   in Loop: Header=BB344_678 Depth=1
	s_or_b32 exec_lo, exec_lo, s16
	v_lshlrev_b32_e32 v13, 8, v13
	v_lshl_add_u32 v14, v14, 10, 0x2000
	s_delay_alu instid0(VALU_DEP_1) | instskip(NEXT) | instid1(VALU_DEP_1)
	v_and_or_b32 v13, 0x8000, v13, v14
	v_lshl_or_b32 v0, v0, 7, v13
	s_delay_alu instid0(VALU_DEP_1)
	v_cvt_f32_f16_e32 v103, v0
.LBB344_965:                            ;   in Loop: Header=BB344_678 Depth=1
	s_or_b32 exec_lo, exec_lo, s15
.LBB344_966:                            ;   in Loop: Header=BB344_678 Depth=1
	s_delay_alu instid0(SALU_CYCLE_1)
	s_or_b32 exec_lo, exec_lo, s13
.LBB344_967:                            ;   in Loop: Header=BB344_678 Depth=1
	s_delay_alu instid0(SALU_CYCLE_1) | instskip(NEXT) | instid1(SALU_CYCLE_1)
	s_or_b32 exec_lo, exec_lo, s12
	s_mov_b32 s12, exec_lo
	v_cmpx_lt_u32_e32 0xffffff, v11
	s_cbranch_execz .LBB344_975
; %bb.968:                              ;   in Loop: Header=BB344_678 Depth=1
	v_lshrrev_b32_e32 v13, 24, v11
	v_bfrev_b32_e32 v112, 1
	s_mov_b32 s13, exec_lo
	s_delay_alu instid0(VALU_DEP_2)
	v_cmpx_ne_u32_e32 0x80, v13
	s_cbranch_execz .LBB344_974
; %bb.969:                              ;   in Loop: Header=BB344_678 Depth=1
	v_and_b32_e32 v113, 0x7f, v13
	v_mov_b32_e32 v112, 0x7fc02000
	s_mov_b32 s15, exec_lo
	s_delay_alu instid0(VALU_DEP_2)
	v_cmpx_ne_u32_e32 0x7f, v113
	s_cbranch_execz .LBB344_973
; %bb.970:                              ;   in Loop: Header=BB344_678 Depth=1
	v_and_b32_e32 v0, 7, v13
	v_lshrrev_b32_e32 v14, 3, v113
	s_mov_b32 s16, exec_lo
	v_cmpx_gt_u32_e32 8, v113
; %bb.971:                              ;   in Loop: Header=BB344_678 Depth=1
	s_delay_alu instid0(VALU_DEP_3) | instskip(NEXT) | instid1(VALU_DEP_1)
	v_clz_i32_u32_e32 v14, v0
	v_min_u32_e32 v14, 32, v14
	s_delay_alu instid0(VALU_DEP_1) | instskip(SKIP_1) | instid1(VALU_DEP_2)
	v_subrev_nc_u32_e32 v112, 28, v14
	v_sub_nc_u32_e32 v14, 29, v14
	v_lshlrev_b64 v[112:113], v112, v[0:1]
	s_delay_alu instid0(VALU_DEP_1)
	v_and_b32_e32 v0, 7, v112
; %bb.972:                              ;   in Loop: Header=BB344_678 Depth=1
	s_or_b32 exec_lo, exec_lo, s16
	v_lshlrev_b32_e32 v13, 8, v13
	v_lshl_add_u32 v14, v14, 10, 0x2000
	s_delay_alu instid0(VALU_DEP_1) | instskip(NEXT) | instid1(VALU_DEP_1)
	v_and_or_b32 v13, 0x8000, v13, v14
	v_lshl_or_b32 v0, v0, 7, v13
	s_delay_alu instid0(VALU_DEP_1)
	v_cvt_f32_f16_e32 v112, v0
.LBB344_973:                            ;   in Loop: Header=BB344_678 Depth=1
	s_or_b32 exec_lo, exec_lo, s15
.LBB344_974:                            ;   in Loop: Header=BB344_678 Depth=1
	s_delay_alu instid0(SALU_CYCLE_1)
	s_or_b32 exec_lo, exec_lo, s13
.LBB344_975:                            ;   in Loop: Header=BB344_678 Depth=1
	s_delay_alu instid0(SALU_CYCLE_1) | instskip(SKIP_3) | instid1(VALU_DEP_2)
	s_or_b32 exec_lo, exec_lo, s12
	v_dual_mov_b32 v113, 0 :: v_dual_and_b32 v14, 0xff, v12
	v_dual_mov_b32 v0, v12 :: v_dual_mov_b32 v13, 0
	s_mov_b32 s12, exec_lo
	v_cmpx_ne_u16_e32 0, v14
	s_cbranch_execz .LBB344_983
; %bb.976:                              ;   in Loop: Header=BB344_678 Depth=1
	v_bfrev_b32_e32 v13, 1
	s_mov_b32 s13, exec_lo
	v_cmpx_ne_u16_e32 0x80, v14
	s_cbranch_execz .LBB344_982
; %bb.977:                              ;   in Loop: Header=BB344_678 Depth=1
	v_and_b32_e32 v14, 0x7f, v12
	v_mov_b32_e32 v13, 0x7fc02000
	s_mov_b32 s15, exec_lo
	s_delay_alu instid0(VALU_DEP_2)
	v_cmpx_ne_u32_e32 0x7f, v14
	s_cbranch_execz .LBB344_981
; %bb.978:                              ;   in Loop: Header=BB344_678 Depth=1
	v_lshrrev_b32_e32 v114, 3, v14
	v_cmp_gt_u32_e64 s0, 8, v14
	v_dual_mov_b32 v14, v1 :: v_dual_mov_b32 v13, v0
	s_delay_alu instid0(VALU_DEP_2)
	s_and_saveexec_b32 s16, s0
; %bb.979:                              ;   in Loop: Header=BB344_678 Depth=1
	v_and_b32_e32 v13, 7, v12
	s_delay_alu instid0(VALU_DEP_1) | instskip(NEXT) | instid1(VALU_DEP_1)
	v_clz_i32_u32_e32 v13, v13
	v_min_u32_e32 v114, 32, v13
	s_delay_alu instid0(VALU_DEP_1) | instskip(SKIP_1) | instid1(VALU_DEP_2)
	v_subrev_nc_u32_e32 v13, 28, v114
	v_sub_nc_u32_e32 v114, 29, v114
	v_lshlrev_b64 v[13:14], v13, v[0:1]
; %bb.980:                              ;   in Loop: Header=BB344_678 Depth=1
	s_or_b32 exec_lo, exec_lo, s16
	v_lshlrev_b32_e32 v14, 8, v12
	s_delay_alu instid0(VALU_DEP_3) | instskip(NEXT) | instid1(VALU_DEP_3)
	v_lshl_add_u32 v114, v114, 10, 0x2000
	v_lshlrev_b32_e32 v13, 7, v13
	s_delay_alu instid0(VALU_DEP_2) | instskip(NEXT) | instid1(VALU_DEP_1)
	v_and_or_b32 v14, 0x8000, v14, v114
	v_and_or_b32 v13, 0x380, v13, v14
	s_delay_alu instid0(VALU_DEP_1)
	v_cvt_f32_f16_e32 v13, v13
.LBB344_981:                            ;   in Loop: Header=BB344_678 Depth=1
	s_or_b32 exec_lo, exec_lo, s15
.LBB344_982:                            ;   in Loop: Header=BB344_678 Depth=1
	s_delay_alu instid0(SALU_CYCLE_1)
	s_or_b32 exec_lo, exec_lo, s13
.LBB344_983:                            ;   in Loop: Header=BB344_678 Depth=1
	s_delay_alu instid0(SALU_CYCLE_1) | instskip(SKIP_2) | instid1(VALU_DEP_1)
	s_or_b32 exec_lo, exec_lo, s12
	v_lshrrev_b16 v0, 8, v0
	s_mov_b32 s12, exec_lo
	v_cmpx_ne_u16_e32 0, v0
	s_cbranch_execz .LBB344_991
; %bb.984:                              ;   in Loop: Header=BB344_678 Depth=1
	v_bfrev_b32_e32 v113, 1
	s_mov_b32 s13, exec_lo
	v_cmpx_ne_u16_e32 0x80, v0
	s_cbranch_execz .LBB344_990
; %bb.985:                              ;   in Loop: Header=BB344_678 Depth=1
	v_and_b32_e32 v14, 0xffff, v0
	v_mov_b32_e32 v113, 0x7fc02000
	s_mov_b32 s15, exec_lo
	s_delay_alu instid0(VALU_DEP_2) | instskip(NEXT) | instid1(VALU_DEP_1)
	v_and_b32_e32 v114, 0x7f, v14
	v_cmpx_ne_u32_e32 0x7f, v114
	s_cbranch_execz .LBB344_989
; %bb.986:                              ;   in Loop: Header=BB344_678 Depth=1
	v_and_b32_e32 v0, 7, v14
	v_lshrrev_b32_e32 v113, 3, v114
	s_mov_b32 s16, exec_lo
	v_cmpx_gt_u32_e32 8, v114
; %bb.987:                              ;   in Loop: Header=BB344_678 Depth=1
	s_delay_alu instid0(VALU_DEP_3) | instskip(NEXT) | instid1(VALU_DEP_1)
	v_clz_i32_u32_e32 v113, v0
	v_min_u32_e32 v113, 32, v113
	s_delay_alu instid0(VALU_DEP_1) | instskip(SKIP_1) | instid1(VALU_DEP_2)
	v_subrev_nc_u32_e32 v114, 28, v113
	v_sub_nc_u32_e32 v113, 29, v113
	v_lshlrev_b64 v[114:115], v114, v[0:1]
	s_delay_alu instid0(VALU_DEP_1)
	v_and_b32_e32 v0, 7, v114
; %bb.988:                              ;   in Loop: Header=BB344_678 Depth=1
	s_or_b32 exec_lo, exec_lo, s16
	v_lshlrev_b32_e32 v14, 8, v14
	v_lshl_add_u32 v113, v113, 10, 0x2000
	s_delay_alu instid0(VALU_DEP_1) | instskip(NEXT) | instid1(VALU_DEP_1)
	v_and_or_b32 v14, 0x8000, v14, v113
	v_lshl_or_b32 v0, v0, 7, v14
	s_delay_alu instid0(VALU_DEP_1)
	v_cvt_f32_f16_e32 v113, v0
.LBB344_989:                            ;   in Loop: Header=BB344_678 Depth=1
	s_or_b32 exec_lo, exec_lo, s15
.LBB344_990:                            ;   in Loop: Header=BB344_678 Depth=1
	s_delay_alu instid0(SALU_CYCLE_1)
	s_or_b32 exec_lo, exec_lo, s13
.LBB344_991:                            ;   in Loop: Header=BB344_678 Depth=1
	s_delay_alu instid0(SALU_CYCLE_1) | instskip(SKIP_4) | instid1(VALU_DEP_3)
	s_or_b32 exec_lo, exec_lo, s12
	v_lshrrev_b32_e32 v115, 16, v12
	v_mov_b32_e32 v114, 0
	v_mov_b32_e32 v14, 0
	s_mov_b32 s12, exec_lo
	v_and_b32_e32 v0, 0xff, v115
	s_delay_alu instid0(VALU_DEP_1)
	v_cmpx_ne_u16_e32 0, v0
	s_cbranch_execz .LBB344_999
; %bb.992:                              ;   in Loop: Header=BB344_678 Depth=1
	v_bfrev_b32_e32 v14, 1
	s_mov_b32 s13, exec_lo
	v_cmpx_ne_u16_e32 0x80, v0
	s_cbranch_execz .LBB344_998
; %bb.993:                              ;   in Loop: Header=BB344_678 Depth=1
	v_bfe_u32 v116, v12, 16, 7
	v_mov_b32_e32 v14, 0x7fc02000
	s_mov_b32 s15, exec_lo
	s_delay_alu instid0(VALU_DEP_2)
	v_cmpx_ne_u32_e32 0x7f, v116
	s_cbranch_execz .LBB344_997
; %bb.994:                              ;   in Loop: Header=BB344_678 Depth=1
	v_and_b32_e32 v0, 7, v115
	v_lshrrev_b32_e32 v14, 3, v116
	s_mov_b32 s16, exec_lo
	v_cmpx_gt_u32_e32 8, v116
; %bb.995:                              ;   in Loop: Header=BB344_678 Depth=1
	s_delay_alu instid0(VALU_DEP_3) | instskip(NEXT) | instid1(VALU_DEP_1)
	v_clz_i32_u32_e32 v14, v0
	v_min_u32_e32 v14, 32, v14
	s_delay_alu instid0(VALU_DEP_1) | instskip(SKIP_1) | instid1(VALU_DEP_2)
	v_subrev_nc_u32_e32 v116, 28, v14
	v_sub_nc_u32_e32 v14, 29, v14
	v_lshlrev_b64 v[116:117], v116, v[0:1]
	s_delay_alu instid0(VALU_DEP_1)
	v_and_b32_e32 v0, 7, v116
; %bb.996:                              ;   in Loop: Header=BB344_678 Depth=1
	s_or_b32 exec_lo, exec_lo, s16
	v_lshlrev_b32_e32 v115, 8, v115
	v_lshl_add_u32 v14, v14, 10, 0x2000
	s_delay_alu instid0(VALU_DEP_1) | instskip(NEXT) | instid1(VALU_DEP_1)
	v_and_or_b32 v14, 0x8000, v115, v14
	v_lshl_or_b32 v0, v0, 7, v14
	s_delay_alu instid0(VALU_DEP_1)
	v_cvt_f32_f16_e32 v14, v0
.LBB344_997:                            ;   in Loop: Header=BB344_678 Depth=1
	s_or_b32 exec_lo, exec_lo, s15
.LBB344_998:                            ;   in Loop: Header=BB344_678 Depth=1
	s_delay_alu instid0(SALU_CYCLE_1)
	s_or_b32 exec_lo, exec_lo, s13
.LBB344_999:                            ;   in Loop: Header=BB344_678 Depth=1
	s_delay_alu instid0(SALU_CYCLE_1) | instskip(NEXT) | instid1(SALU_CYCLE_1)
	s_or_b32 exec_lo, exec_lo, s12
	s_mov_b32 s12, exec_lo
	v_cmpx_lt_u64_e64 s[8:9], v[11:12]
	s_cbranch_execz .LBB344_1007
; %bb.1000:                             ;   in Loop: Header=BB344_678 Depth=1
	v_lshrrev_b32_e32 v11, 24, v12
	v_bfrev_b32_e32 v114, 1
	s_mov_b32 s13, exec_lo
	s_delay_alu instid0(VALU_DEP_2)
	v_cmpx_ne_u32_e32 0x80, v11
	s_cbranch_execz .LBB344_1006
; %bb.1001:                             ;   in Loop: Header=BB344_678 Depth=1
	v_and_b32_e32 v115, 0x7f, v11
	v_mov_b32_e32 v114, 0x7fc02000
	s_mov_b32 s15, exec_lo
	s_delay_alu instid0(VALU_DEP_2)
	v_cmpx_ne_u32_e32 0x7f, v115
	s_cbranch_execz .LBB344_1005
; %bb.1002:                             ;   in Loop: Header=BB344_678 Depth=1
	v_and_b32_e32 v0, 7, v11
	v_lshrrev_b32_e32 v12, 3, v115
	s_mov_b32 s16, exec_lo
	v_cmpx_gt_u32_e32 8, v115
; %bb.1003:                             ;   in Loop: Header=BB344_678 Depth=1
	s_delay_alu instid0(VALU_DEP_3) | instskip(NEXT) | instid1(VALU_DEP_1)
	v_clz_i32_u32_e32 v12, v0
	v_min_u32_e32 v12, 32, v12
	s_delay_alu instid0(VALU_DEP_1) | instskip(SKIP_1) | instid1(VALU_DEP_2)
	v_subrev_nc_u32_e32 v114, 28, v12
	v_sub_nc_u32_e32 v12, 29, v12
	v_lshlrev_b64 v[114:115], v114, v[0:1]
	s_delay_alu instid0(VALU_DEP_1)
	v_and_b32_e32 v0, 7, v114
; %bb.1004:                             ;   in Loop: Header=BB344_678 Depth=1
	s_or_b32 exec_lo, exec_lo, s16
	v_lshlrev_b32_e32 v11, 8, v11
	v_lshl_add_u32 v12, v12, 10, 0x2000
	s_delay_alu instid0(VALU_DEP_1) | instskip(NEXT) | instid1(VALU_DEP_1)
	v_and_or_b32 v11, 0x8000, v11, v12
	v_lshl_or_b32 v0, v0, 7, v11
	s_delay_alu instid0(VALU_DEP_1)
	v_cvt_f32_f16_e32 v114, v0
.LBB344_1005:                           ;   in Loop: Header=BB344_678 Depth=1
	s_or_b32 exec_lo, exec_lo, s15
.LBB344_1006:                           ;   in Loop: Header=BB344_678 Depth=1
	s_delay_alu instid0(SALU_CYCLE_1)
	s_or_b32 exec_lo, exec_lo, s13
.LBB344_1007:                           ;   in Loop: Header=BB344_678 Depth=1
	s_delay_alu instid0(SALU_CYCLE_1)
	s_or_b32 exec_lo, exec_lo, s12
	s_waitcnt vmcnt(0) lgkmcnt(0)
	v_fma_mixlo_f16 v12, v100, v102, 0
	v_fma_mixlo_f16 v0, v100, v112, 0
	;; [unrolled: 1-line block ×5, first 2 shown]
	v_lshlrev_b32_e32 v102, 16, v12
	v_fma_mixlo_f16 v13, v100, v13, 0
	v_fma_mixlo_f16 v112, v100, v114, 0
	;; [unrolled: 1-line block ×3, first 2 shown]
	v_lshlrev_b32_e32 v0, 16, v0
	v_and_b32_e32 v11, 0xffff, v11
	v_and_b32_e32 v14, 0xffff, v101
	v_lshlrev_b32_e32 v100, 16, v103
	v_and_b32_e32 v101, 0xffff, v13
	v_lshlrev_b32_e32 v103, 16, v112
	v_and_b32_e32 v112, 0xffff, v12
	v_or_b32_e32 v13, v0, v11
	v_or_b32_e32 v14, v102, v14
	;; [unrolled: 1-line block ×3, first 2 shown]
	s_delay_alu instid0(VALU_DEP_4)
	v_or_b32_e32 v11, v103, v112
	s_and_saveexec_b32 s12, vcc_lo
	s_cbranch_execz .LBB344_1009
; %bb.1008:                             ;   in Loop: Header=BB344_678 Depth=1
	v_cmp_lt_i32_e64 s0, v19, v38
	v_lshrrev_b32_e32 v100, 16, v14
	v_lshrrev_b32_e32 v101, 16, v13
	;; [unrolled: 1-line block ×4, first 2 shown]
	v_cndmask_b32_e64 v14, 0, v14, s0
	v_cmp_lt_i32_e64 s0, v71, v55
	s_delay_alu instid0(VALU_DEP_1) | instskip(SKIP_1) | instid1(VALU_DEP_2)
	v_cndmask_b32_e64 v100, 0, v100, s0
	v_cmp_lt_i32_e64 s0, v70, v55
	v_perm_b32 v14, v100, v14, 0x5040100
	s_delay_alu instid0(VALU_DEP_2) | instskip(SKIP_1) | instid1(VALU_DEP_1)
	v_cndmask_b32_e64 v101, 0, v101, s0
	v_cmp_lt_i32_e64 s0, v69, v38
	v_cndmask_b32_e64 v13, 0, v13, s0
	v_cmp_lt_i32_e64 s0, v68, v55
	s_delay_alu instid0(VALU_DEP_2) | instskip(NEXT) | instid1(VALU_DEP_2)
	v_perm_b32 v13, v101, v13, 0x5040100
	v_cndmask_b32_e64 v102, 0, v102, s0
	v_cmp_lt_i32_e64 s0, v67, v38
	s_delay_alu instid0(VALU_DEP_1) | instskip(SKIP_1) | instid1(VALU_DEP_2)
	v_cndmask_b32_e64 v0, 0, v0, s0
	v_cmp_lt_i32_e64 s0, v66, v55
	v_perm_b32 v0, v102, v0, 0x5040100
	s_delay_alu instid0(VALU_DEP_2) | instskip(SKIP_1) | instid1(VALU_DEP_1)
	v_cndmask_b32_e64 v11, 0, v11, s0
	v_cmp_lt_i32_e64 s0, v64, v38
	v_cndmask_b32_e64 v12, 0, v12, s0
	s_delay_alu instid0(VALU_DEP_1)
	v_perm_b32 v11, v11, v12, 0x5040100
.LBB344_1009:                           ;   in Loop: Header=BB344_678 Depth=1
	s_or_b32 exec_lo, exec_lo, s12
	;;#ASMSTART
	v_pk_mul_f16 v12, v85, v14;

	;;#ASMEND
	;;#ASMSTART
	v_pk_mul_f16 v13, v84, v13;

	;;#ASMEND
	;; [unrolled: 4-line block ×4, first 2 shown]
	;;#ASMSTART
	v_pk_add_f16 v12, v12, v13;

	;;#ASMEND
	;;#ASMSTART
	v_pk_add_f16 v0, v12, v0;

	;;#ASMEND
	;;#ASMSTART
	v_pk_add_f16 v0, v0, v11;

	;;#ASMEND
	v_dual_mov_b32 v112, 0 :: v_dual_and_b32 v11, 0xffff, v0
	v_lshrrev_b32_e32 v0, 16, v0
	;;#ASMSTART
	v_cvt_f32_f16 v100, v11;
	;;#ASMEND
	;;#ASMSTART
	v_cvt_f32_f16 v101, v0;
	;;#ASMEND
	flat_load_b64 v[11:12], v[9:10] offset:1280
	flat_load_b32 v102, v[26:27]
	s_mov_b32 s12, exec_lo
	s_waitcnt vmcnt(1) lgkmcnt(1)
	v_dual_mov_b32 v103, 0 :: v_dual_and_b32 v0, 0xff, v11
	s_delay_alu instid0(VALU_DEP_1)
	v_cmpx_ne_u16_e32 0, v0
	s_cbranch_execz .LBB344_1017
; %bb.1010:                             ;   in Loop: Header=BB344_678 Depth=1
	v_bfrev_b32_e32 v103, 1
	s_mov_b32 s13, exec_lo
	v_cmpx_ne_u16_e32 0x80, v0
	s_cbranch_execz .LBB344_1016
; %bb.1011:                             ;   in Loop: Header=BB344_678 Depth=1
	v_and_b32_e32 v13, 0x7f, v11
	v_mov_b32_e32 v103, 0x7fc02000
	s_mov_b32 s15, exec_lo
	s_delay_alu instid0(VALU_DEP_2)
	v_cmpx_ne_u32_e32 0x7f, v13
	s_cbranch_execz .LBB344_1015
; %bb.1012:                             ;   in Loop: Header=BB344_678 Depth=1
	v_lshrrev_b32_e32 v0, 3, v13
	v_cmp_gt_u32_e64 s0, 8, v13
	v_dual_mov_b32 v14, v12 :: v_dual_mov_b32 v13, v11
	s_delay_alu instid0(VALU_DEP_2)
	s_and_saveexec_b32 s16, s0
; %bb.1013:                             ;   in Loop: Header=BB344_678 Depth=1
	v_and_b32_e32 v0, 7, v11
	s_delay_alu instid0(VALU_DEP_1) | instskip(NEXT) | instid1(VALU_DEP_1)
	v_clz_i32_u32_e32 v0, v0
	v_min_u32_e32 v0, 32, v0
	s_delay_alu instid0(VALU_DEP_1) | instskip(SKIP_1) | instid1(VALU_DEP_2)
	v_subrev_nc_u32_e32 v13, 28, v0
	v_sub_nc_u32_e32 v0, 29, v0
	v_lshlrev_b64 v[13:14], v13, v[11:12]
; %bb.1014:                             ;   in Loop: Header=BB344_678 Depth=1
	s_or_b32 exec_lo, exec_lo, s16
	v_lshlrev_b32_e32 v14, 8, v11
	s_delay_alu instid0(VALU_DEP_3) | instskip(NEXT) | instid1(VALU_DEP_3)
	v_lshl_add_u32 v0, v0, 10, 0x2000
	v_lshlrev_b32_e32 v13, 7, v13
	s_delay_alu instid0(VALU_DEP_2) | instskip(NEXT) | instid1(VALU_DEP_1)
	v_and_or_b32 v0, 0x8000, v14, v0
	v_and_or_b32 v0, 0x380, v13, v0
	s_delay_alu instid0(VALU_DEP_1)
	v_cvt_f32_f16_e32 v103, v0
.LBB344_1015:                           ;   in Loop: Header=BB344_678 Depth=1
	s_or_b32 exec_lo, exec_lo, s15
.LBB344_1016:                           ;   in Loop: Header=BB344_678 Depth=1
	s_delay_alu instid0(SALU_CYCLE_1)
	s_or_b32 exec_lo, exec_lo, s13
.LBB344_1017:                           ;   in Loop: Header=BB344_678 Depth=1
	s_delay_alu instid0(SALU_CYCLE_1) | instskip(SKIP_2) | instid1(VALU_DEP_1)
	s_or_b32 exec_lo, exec_lo, s12
	v_lshrrev_b16 v0, 8, v11
	s_mov_b32 s12, exec_lo
	v_cmpx_ne_u16_e32 0, v0
	s_cbranch_execz .LBB344_1025
; %bb.1018:                             ;   in Loop: Header=BB344_678 Depth=1
	v_bfrev_b32_e32 v112, 1
	s_mov_b32 s13, exec_lo
	v_cmpx_ne_u16_e32 0x80, v0
	s_cbranch_execz .LBB344_1024
; %bb.1019:                             ;   in Loop: Header=BB344_678 Depth=1
	v_and_b32_e32 v13, 0xffff, v0
	v_mov_b32_e32 v112, 0x7fc02000
	s_mov_b32 s15, exec_lo
	s_delay_alu instid0(VALU_DEP_2) | instskip(NEXT) | instid1(VALU_DEP_1)
	v_and_b32_e32 v113, 0x7f, v13
	v_cmpx_ne_u32_e32 0x7f, v113
	s_cbranch_execz .LBB344_1023
; %bb.1020:                             ;   in Loop: Header=BB344_678 Depth=1
	v_and_b32_e32 v0, 7, v13
	v_lshrrev_b32_e32 v14, 3, v113
	s_mov_b32 s16, exec_lo
	v_cmpx_gt_u32_e32 8, v113
; %bb.1021:                             ;   in Loop: Header=BB344_678 Depth=1
	s_delay_alu instid0(VALU_DEP_3) | instskip(NEXT) | instid1(VALU_DEP_1)
	v_clz_i32_u32_e32 v14, v0
	v_min_u32_e32 v14, 32, v14
	s_delay_alu instid0(VALU_DEP_1) | instskip(SKIP_1) | instid1(VALU_DEP_2)
	v_subrev_nc_u32_e32 v112, 28, v14
	v_sub_nc_u32_e32 v14, 29, v14
	v_lshlrev_b64 v[112:113], v112, v[0:1]
	s_delay_alu instid0(VALU_DEP_1)
	v_and_b32_e32 v0, 7, v112
; %bb.1022:                             ;   in Loop: Header=BB344_678 Depth=1
	s_or_b32 exec_lo, exec_lo, s16
	v_lshlrev_b32_e32 v13, 8, v13
	v_lshl_add_u32 v14, v14, 10, 0x2000
	s_delay_alu instid0(VALU_DEP_1) | instskip(NEXT) | instid1(VALU_DEP_1)
	v_and_or_b32 v13, 0x8000, v13, v14
	v_lshl_or_b32 v0, v0, 7, v13
	s_delay_alu instid0(VALU_DEP_1)
	v_cvt_f32_f16_e32 v112, v0
.LBB344_1023:                           ;   in Loop: Header=BB344_678 Depth=1
	s_or_b32 exec_lo, exec_lo, s15
.LBB344_1024:                           ;   in Loop: Header=BB344_678 Depth=1
	s_delay_alu instid0(SALU_CYCLE_1)
	s_or_b32 exec_lo, exec_lo, s13
.LBB344_1025:                           ;   in Loop: Header=BB344_678 Depth=1
	s_delay_alu instid0(SALU_CYCLE_1) | instskip(SKIP_3) | instid1(VALU_DEP_2)
	s_or_b32 exec_lo, exec_lo, s12
	v_lshrrev_b32_e32 v13, 16, v11
	v_mov_b32_e32 v114, 0
	s_mov_b32 s12, exec_lo
	v_dual_mov_b32 v113, 0 :: v_dual_and_b32 v0, 0xff, v13
	s_delay_alu instid0(VALU_DEP_1)
	v_cmpx_ne_u16_e32 0, v0
	s_cbranch_execz .LBB344_1033
; %bb.1026:                             ;   in Loop: Header=BB344_678 Depth=1
	v_bfrev_b32_e32 v113, 1
	s_mov_b32 s13, exec_lo
	v_cmpx_ne_u16_e32 0x80, v0
	s_cbranch_execz .LBB344_1032
; %bb.1027:                             ;   in Loop: Header=BB344_678 Depth=1
	v_bfe_u32 v115, v11, 16, 7
	v_mov_b32_e32 v113, 0x7fc02000
	s_mov_b32 s15, exec_lo
	s_delay_alu instid0(VALU_DEP_2)
	v_cmpx_ne_u32_e32 0x7f, v115
	s_cbranch_execz .LBB344_1031
; %bb.1028:                             ;   in Loop: Header=BB344_678 Depth=1
	v_and_b32_e32 v0, 7, v13
	v_lshrrev_b32_e32 v14, 3, v115
	s_mov_b32 s16, exec_lo
	v_cmpx_gt_u32_e32 8, v115
; %bb.1029:                             ;   in Loop: Header=BB344_678 Depth=1
	s_delay_alu instid0(VALU_DEP_3) | instskip(NEXT) | instid1(VALU_DEP_1)
	v_clz_i32_u32_e32 v14, v0
	v_min_u32_e32 v14, 32, v14
	s_delay_alu instid0(VALU_DEP_1) | instskip(SKIP_1) | instid1(VALU_DEP_2)
	v_subrev_nc_u32_e32 v113, 28, v14
	v_sub_nc_u32_e32 v14, 29, v14
	v_lshlrev_b64 v[115:116], v113, v[0:1]
	s_delay_alu instid0(VALU_DEP_1)
	v_and_b32_e32 v0, 7, v115
; %bb.1030:                             ;   in Loop: Header=BB344_678 Depth=1
	s_or_b32 exec_lo, exec_lo, s16
	v_lshlrev_b32_e32 v13, 8, v13
	v_lshl_add_u32 v14, v14, 10, 0x2000
	s_delay_alu instid0(VALU_DEP_1) | instskip(NEXT) | instid1(VALU_DEP_1)
	v_and_or_b32 v13, 0x8000, v13, v14
	v_lshl_or_b32 v0, v0, 7, v13
	s_delay_alu instid0(VALU_DEP_1)
	v_cvt_f32_f16_e32 v113, v0
.LBB344_1031:                           ;   in Loop: Header=BB344_678 Depth=1
	s_or_b32 exec_lo, exec_lo, s15
.LBB344_1032:                           ;   in Loop: Header=BB344_678 Depth=1
	s_delay_alu instid0(SALU_CYCLE_1)
	s_or_b32 exec_lo, exec_lo, s13
.LBB344_1033:                           ;   in Loop: Header=BB344_678 Depth=1
	s_delay_alu instid0(SALU_CYCLE_1) | instskip(NEXT) | instid1(SALU_CYCLE_1)
	s_or_b32 exec_lo, exec_lo, s12
	s_mov_b32 s12, exec_lo
	v_cmpx_lt_u32_e32 0xffffff, v11
	s_cbranch_execz .LBB344_1041
; %bb.1034:                             ;   in Loop: Header=BB344_678 Depth=1
	v_lshrrev_b32_e32 v13, 24, v11
	v_bfrev_b32_e32 v114, 1
	s_mov_b32 s13, exec_lo
	s_delay_alu instid0(VALU_DEP_2)
	v_cmpx_ne_u32_e32 0x80, v13
	s_cbranch_execz .LBB344_1040
; %bb.1035:                             ;   in Loop: Header=BB344_678 Depth=1
	v_and_b32_e32 v115, 0x7f, v13
	v_mov_b32_e32 v114, 0x7fc02000
	s_mov_b32 s15, exec_lo
	s_delay_alu instid0(VALU_DEP_2)
	v_cmpx_ne_u32_e32 0x7f, v115
	s_cbranch_execz .LBB344_1039
; %bb.1036:                             ;   in Loop: Header=BB344_678 Depth=1
	v_and_b32_e32 v0, 7, v13
	v_lshrrev_b32_e32 v14, 3, v115
	s_mov_b32 s16, exec_lo
	v_cmpx_gt_u32_e32 8, v115
; %bb.1037:                             ;   in Loop: Header=BB344_678 Depth=1
	s_delay_alu instid0(VALU_DEP_3) | instskip(NEXT) | instid1(VALU_DEP_1)
	v_clz_i32_u32_e32 v14, v0
	v_min_u32_e32 v14, 32, v14
	s_delay_alu instid0(VALU_DEP_1) | instskip(SKIP_1) | instid1(VALU_DEP_2)
	v_subrev_nc_u32_e32 v114, 28, v14
	v_sub_nc_u32_e32 v14, 29, v14
	v_lshlrev_b64 v[114:115], v114, v[0:1]
	s_delay_alu instid0(VALU_DEP_1)
	v_and_b32_e32 v0, 7, v114
; %bb.1038:                             ;   in Loop: Header=BB344_678 Depth=1
	s_or_b32 exec_lo, exec_lo, s16
	v_lshlrev_b32_e32 v13, 8, v13
	v_lshl_add_u32 v14, v14, 10, 0x2000
	s_delay_alu instid0(VALU_DEP_1) | instskip(NEXT) | instid1(VALU_DEP_1)
	v_and_or_b32 v13, 0x8000, v13, v14
	v_lshl_or_b32 v0, v0, 7, v13
	s_delay_alu instid0(VALU_DEP_1)
	v_cvt_f32_f16_e32 v114, v0
.LBB344_1039:                           ;   in Loop: Header=BB344_678 Depth=1
	s_or_b32 exec_lo, exec_lo, s15
.LBB344_1040:                           ;   in Loop: Header=BB344_678 Depth=1
	s_delay_alu instid0(SALU_CYCLE_1)
	s_or_b32 exec_lo, exec_lo, s13
.LBB344_1041:                           ;   in Loop: Header=BB344_678 Depth=1
	s_delay_alu instid0(SALU_CYCLE_1) | instskip(SKIP_3) | instid1(VALU_DEP_2)
	s_or_b32 exec_lo, exec_lo, s12
	v_dual_mov_b32 v115, 0 :: v_dual_and_b32 v14, 0xff, v12
	v_dual_mov_b32 v0, v12 :: v_dual_mov_b32 v13, 0
	s_mov_b32 s12, exec_lo
	v_cmpx_ne_u16_e32 0, v14
	s_cbranch_execz .LBB344_1049
; %bb.1042:                             ;   in Loop: Header=BB344_678 Depth=1
	v_bfrev_b32_e32 v13, 1
	s_mov_b32 s13, exec_lo
	v_cmpx_ne_u16_e32 0x80, v14
	s_cbranch_execz .LBB344_1048
; %bb.1043:                             ;   in Loop: Header=BB344_678 Depth=1
	v_and_b32_e32 v14, 0x7f, v12
	v_mov_b32_e32 v13, 0x7fc02000
	s_mov_b32 s15, exec_lo
	s_delay_alu instid0(VALU_DEP_2)
	v_cmpx_ne_u32_e32 0x7f, v14
	s_cbranch_execz .LBB344_1047
; %bb.1044:                             ;   in Loop: Header=BB344_678 Depth=1
	v_lshrrev_b32_e32 v116, 3, v14
	v_cmp_gt_u32_e64 s0, 8, v14
	v_dual_mov_b32 v14, v1 :: v_dual_mov_b32 v13, v0
	s_delay_alu instid0(VALU_DEP_2)
	s_and_saveexec_b32 s16, s0
; %bb.1045:                             ;   in Loop: Header=BB344_678 Depth=1
	v_and_b32_e32 v13, 7, v12
	s_delay_alu instid0(VALU_DEP_1) | instskip(NEXT) | instid1(VALU_DEP_1)
	v_clz_i32_u32_e32 v13, v13
	v_min_u32_e32 v116, 32, v13
	s_delay_alu instid0(VALU_DEP_1) | instskip(SKIP_1) | instid1(VALU_DEP_2)
	v_subrev_nc_u32_e32 v13, 28, v116
	v_sub_nc_u32_e32 v116, 29, v116
	v_lshlrev_b64 v[13:14], v13, v[0:1]
; %bb.1046:                             ;   in Loop: Header=BB344_678 Depth=1
	s_or_b32 exec_lo, exec_lo, s16
	v_lshlrev_b32_e32 v14, 8, v12
	s_delay_alu instid0(VALU_DEP_3) | instskip(NEXT) | instid1(VALU_DEP_3)
	v_lshl_add_u32 v116, v116, 10, 0x2000
	v_lshlrev_b32_e32 v13, 7, v13
	s_delay_alu instid0(VALU_DEP_2) | instskip(NEXT) | instid1(VALU_DEP_1)
	v_and_or_b32 v14, 0x8000, v14, v116
	v_and_or_b32 v13, 0x380, v13, v14
	s_delay_alu instid0(VALU_DEP_1)
	v_cvt_f32_f16_e32 v13, v13
.LBB344_1047:                           ;   in Loop: Header=BB344_678 Depth=1
	s_or_b32 exec_lo, exec_lo, s15
.LBB344_1048:                           ;   in Loop: Header=BB344_678 Depth=1
	s_delay_alu instid0(SALU_CYCLE_1)
	s_or_b32 exec_lo, exec_lo, s13
.LBB344_1049:                           ;   in Loop: Header=BB344_678 Depth=1
	s_delay_alu instid0(SALU_CYCLE_1) | instskip(SKIP_2) | instid1(VALU_DEP_1)
	s_or_b32 exec_lo, exec_lo, s12
	v_lshrrev_b16 v0, 8, v0
	s_mov_b32 s12, exec_lo
	v_cmpx_ne_u16_e32 0, v0
	s_cbranch_execz .LBB344_1057
; %bb.1050:                             ;   in Loop: Header=BB344_678 Depth=1
	v_bfrev_b32_e32 v115, 1
	s_mov_b32 s13, exec_lo
	v_cmpx_ne_u16_e32 0x80, v0
	s_cbranch_execz .LBB344_1056
; %bb.1051:                             ;   in Loop: Header=BB344_678 Depth=1
	v_and_b32_e32 v14, 0xffff, v0
	v_mov_b32_e32 v115, 0x7fc02000
	s_mov_b32 s15, exec_lo
	s_delay_alu instid0(VALU_DEP_2) | instskip(NEXT) | instid1(VALU_DEP_1)
	v_and_b32_e32 v116, 0x7f, v14
	v_cmpx_ne_u32_e32 0x7f, v116
	s_cbranch_execz .LBB344_1055
; %bb.1052:                             ;   in Loop: Header=BB344_678 Depth=1
	v_and_b32_e32 v0, 7, v14
	v_lshrrev_b32_e32 v115, 3, v116
	s_mov_b32 s16, exec_lo
	v_cmpx_gt_u32_e32 8, v116
; %bb.1053:                             ;   in Loop: Header=BB344_678 Depth=1
	s_delay_alu instid0(VALU_DEP_3) | instskip(NEXT) | instid1(VALU_DEP_1)
	v_clz_i32_u32_e32 v115, v0
	v_min_u32_e32 v115, 32, v115
	s_delay_alu instid0(VALU_DEP_1) | instskip(SKIP_1) | instid1(VALU_DEP_2)
	v_subrev_nc_u32_e32 v116, 28, v115
	v_sub_nc_u32_e32 v115, 29, v115
	v_lshlrev_b64 v[116:117], v116, v[0:1]
	s_delay_alu instid0(VALU_DEP_1)
	v_and_b32_e32 v0, 7, v116
; %bb.1054:                             ;   in Loop: Header=BB344_678 Depth=1
	s_or_b32 exec_lo, exec_lo, s16
	v_lshlrev_b32_e32 v14, 8, v14
	v_lshl_add_u32 v115, v115, 10, 0x2000
	s_delay_alu instid0(VALU_DEP_1) | instskip(NEXT) | instid1(VALU_DEP_1)
	v_and_or_b32 v14, 0x8000, v14, v115
	v_lshl_or_b32 v0, v0, 7, v14
	s_delay_alu instid0(VALU_DEP_1)
	v_cvt_f32_f16_e32 v115, v0
.LBB344_1055:                           ;   in Loop: Header=BB344_678 Depth=1
	s_or_b32 exec_lo, exec_lo, s15
.LBB344_1056:                           ;   in Loop: Header=BB344_678 Depth=1
	s_delay_alu instid0(SALU_CYCLE_1)
	s_or_b32 exec_lo, exec_lo, s13
.LBB344_1057:                           ;   in Loop: Header=BB344_678 Depth=1
	s_delay_alu instid0(SALU_CYCLE_1) | instskip(SKIP_4) | instid1(VALU_DEP_3)
	s_or_b32 exec_lo, exec_lo, s12
	v_lshrrev_b32_e32 v117, 16, v12
	v_mov_b32_e32 v116, 0
	v_mov_b32_e32 v14, 0
	s_mov_b32 s12, exec_lo
	v_and_b32_e32 v0, 0xff, v117
	s_delay_alu instid0(VALU_DEP_1)
	v_cmpx_ne_u16_e32 0, v0
	s_cbranch_execz .LBB344_1065
; %bb.1058:                             ;   in Loop: Header=BB344_678 Depth=1
	v_bfrev_b32_e32 v14, 1
	s_mov_b32 s13, exec_lo
	v_cmpx_ne_u16_e32 0x80, v0
	s_cbranch_execz .LBB344_1064
; %bb.1059:                             ;   in Loop: Header=BB344_678 Depth=1
	v_bfe_u32 v118, v12, 16, 7
	v_mov_b32_e32 v14, 0x7fc02000
	s_mov_b32 s15, exec_lo
	s_delay_alu instid0(VALU_DEP_2)
	v_cmpx_ne_u32_e32 0x7f, v118
	s_cbranch_execz .LBB344_1063
; %bb.1060:                             ;   in Loop: Header=BB344_678 Depth=1
	v_and_b32_e32 v0, 7, v117
	v_lshrrev_b32_e32 v14, 3, v118
	s_mov_b32 s16, exec_lo
	v_cmpx_gt_u32_e32 8, v118
; %bb.1061:                             ;   in Loop: Header=BB344_678 Depth=1
	s_delay_alu instid0(VALU_DEP_3) | instskip(NEXT) | instid1(VALU_DEP_1)
	v_clz_i32_u32_e32 v14, v0
	v_min_u32_e32 v14, 32, v14
	s_delay_alu instid0(VALU_DEP_1) | instskip(SKIP_1) | instid1(VALU_DEP_2)
	v_subrev_nc_u32_e32 v118, 28, v14
	v_sub_nc_u32_e32 v14, 29, v14
	v_lshlrev_b64 v[118:119], v118, v[0:1]
	s_delay_alu instid0(VALU_DEP_1)
	v_and_b32_e32 v0, 7, v118
; %bb.1062:                             ;   in Loop: Header=BB344_678 Depth=1
	s_or_b32 exec_lo, exec_lo, s16
	v_lshlrev_b32_e32 v117, 8, v117
	v_lshl_add_u32 v14, v14, 10, 0x2000
	s_delay_alu instid0(VALU_DEP_1) | instskip(NEXT) | instid1(VALU_DEP_1)
	v_and_or_b32 v14, 0x8000, v117, v14
	v_lshl_or_b32 v0, v0, 7, v14
	s_delay_alu instid0(VALU_DEP_1)
	v_cvt_f32_f16_e32 v14, v0
.LBB344_1063:                           ;   in Loop: Header=BB344_678 Depth=1
	s_or_b32 exec_lo, exec_lo, s15
.LBB344_1064:                           ;   in Loop: Header=BB344_678 Depth=1
	s_delay_alu instid0(SALU_CYCLE_1)
	s_or_b32 exec_lo, exec_lo, s13
.LBB344_1065:                           ;   in Loop: Header=BB344_678 Depth=1
	s_delay_alu instid0(SALU_CYCLE_1) | instskip(NEXT) | instid1(SALU_CYCLE_1)
	s_or_b32 exec_lo, exec_lo, s12
	s_mov_b32 s12, exec_lo
	v_cmpx_lt_u64_e64 s[8:9], v[11:12]
	s_cbranch_execz .LBB344_1073
; %bb.1066:                             ;   in Loop: Header=BB344_678 Depth=1
	v_lshrrev_b32_e32 v11, 24, v12
	v_bfrev_b32_e32 v116, 1
	s_mov_b32 s13, exec_lo
	s_delay_alu instid0(VALU_DEP_2)
	v_cmpx_ne_u32_e32 0x80, v11
	s_cbranch_execz .LBB344_1072
; %bb.1067:                             ;   in Loop: Header=BB344_678 Depth=1
	v_and_b32_e32 v117, 0x7f, v11
	v_mov_b32_e32 v116, 0x7fc02000
	s_mov_b32 s15, exec_lo
	s_delay_alu instid0(VALU_DEP_2)
	v_cmpx_ne_u32_e32 0x7f, v117
	s_cbranch_execz .LBB344_1071
; %bb.1068:                             ;   in Loop: Header=BB344_678 Depth=1
	v_and_b32_e32 v0, 7, v11
	v_lshrrev_b32_e32 v12, 3, v117
	s_mov_b32 s16, exec_lo
	v_cmpx_gt_u32_e32 8, v117
; %bb.1069:                             ;   in Loop: Header=BB344_678 Depth=1
	s_delay_alu instid0(VALU_DEP_3) | instskip(NEXT) | instid1(VALU_DEP_1)
	v_clz_i32_u32_e32 v12, v0
	v_min_u32_e32 v12, 32, v12
	s_delay_alu instid0(VALU_DEP_1) | instskip(SKIP_1) | instid1(VALU_DEP_2)
	v_subrev_nc_u32_e32 v116, 28, v12
	v_sub_nc_u32_e32 v12, 29, v12
	v_lshlrev_b64 v[116:117], v116, v[0:1]
	s_delay_alu instid0(VALU_DEP_1)
	v_and_b32_e32 v0, 7, v116
; %bb.1070:                             ;   in Loop: Header=BB344_678 Depth=1
	s_or_b32 exec_lo, exec_lo, s16
	v_lshlrev_b32_e32 v11, 8, v11
	v_lshl_add_u32 v12, v12, 10, 0x2000
	s_delay_alu instid0(VALU_DEP_1) | instskip(NEXT) | instid1(VALU_DEP_1)
	v_and_or_b32 v11, 0x8000, v11, v12
	v_lshl_or_b32 v0, v0, 7, v11
	s_delay_alu instid0(VALU_DEP_1)
	v_cvt_f32_f16_e32 v116, v0
.LBB344_1071:                           ;   in Loop: Header=BB344_678 Depth=1
	s_or_b32 exec_lo, exec_lo, s15
.LBB344_1072:                           ;   in Loop: Header=BB344_678 Depth=1
	s_delay_alu instid0(SALU_CYCLE_1)
	s_or_b32 exec_lo, exec_lo, s13
.LBB344_1073:                           ;   in Loop: Header=BB344_678 Depth=1
	s_delay_alu instid0(SALU_CYCLE_1)
	s_or_b32 exec_lo, exec_lo, s12
	s_waitcnt vmcnt(0) lgkmcnt(0)
	v_fma_mixlo_f16 v12, v102, v112, 0
	v_fma_mixlo_f16 v0, v102, v114, 0
	;; [unrolled: 1-line block ×5, first 2 shown]
	v_lshlrev_b32_e32 v112, 16, v12
	v_fma_mixlo_f16 v13, v102, v13, 0
	v_fma_mixlo_f16 v114, v102, v116, 0
	;; [unrolled: 1-line block ×3, first 2 shown]
	v_lshlrev_b32_e32 v0, 16, v0
	v_and_b32_e32 v11, 0xffff, v11
	v_and_b32_e32 v14, 0xffff, v103
	v_lshlrev_b32_e32 v102, 16, v113
	v_and_b32_e32 v103, 0xffff, v13
	v_lshlrev_b32_e32 v113, 16, v114
	v_and_b32_e32 v114, 0xffff, v12
	v_or_b32_e32 v13, v0, v11
	v_or_b32_e32 v14, v112, v14
	;; [unrolled: 1-line block ×3, first 2 shown]
	s_delay_alu instid0(VALU_DEP_4)
	v_or_b32_e32 v11, v113, v114
	s_and_saveexec_b32 s12, vcc_lo
	s_cbranch_execz .LBB344_1075
; %bb.1074:                             ;   in Loop: Header=BB344_678 Depth=1
	v_cmp_lt_i32_e64 s0, v19, v38
	v_lshrrev_b32_e32 v102, 16, v14
	v_lshrrev_b32_e32 v103, 16, v13
	;; [unrolled: 1-line block ×4, first 2 shown]
	v_cndmask_b32_e64 v14, 0, v14, s0
	v_cmp_lt_i32_e64 s0, v71, v55
	s_delay_alu instid0(VALU_DEP_1) | instskip(SKIP_1) | instid1(VALU_DEP_2)
	v_cndmask_b32_e64 v102, 0, v102, s0
	v_cmp_lt_i32_e64 s0, v70, v55
	v_perm_b32 v14, v102, v14, 0x5040100
	s_delay_alu instid0(VALU_DEP_2) | instskip(SKIP_1) | instid1(VALU_DEP_1)
	v_cndmask_b32_e64 v103, 0, v103, s0
	v_cmp_lt_i32_e64 s0, v69, v38
	v_cndmask_b32_e64 v13, 0, v13, s0
	v_cmp_lt_i32_e64 s0, v68, v55
	s_delay_alu instid0(VALU_DEP_2) | instskip(NEXT) | instid1(VALU_DEP_2)
	v_perm_b32 v13, v103, v13, 0x5040100
	v_cndmask_b32_e64 v112, 0, v112, s0
	v_cmp_lt_i32_e64 s0, v67, v38
	s_delay_alu instid0(VALU_DEP_1) | instskip(SKIP_1) | instid1(VALU_DEP_2)
	v_cndmask_b32_e64 v0, 0, v0, s0
	v_cmp_lt_i32_e64 s0, v66, v55
	v_perm_b32 v0, v112, v0, 0x5040100
	s_delay_alu instid0(VALU_DEP_2) | instskip(SKIP_1) | instid1(VALU_DEP_1)
	v_cndmask_b32_e64 v11, 0, v11, s0
	v_cmp_lt_i32_e64 s0, v64, v38
	v_cndmask_b32_e64 v12, 0, v12, s0
	s_delay_alu instid0(VALU_DEP_1)
	v_perm_b32 v11, v11, v12, 0x5040100
.LBB344_1075:                           ;   in Loop: Header=BB344_678 Depth=1
	s_or_b32 exec_lo, exec_lo, s12
	;;#ASMSTART
	v_pk_mul_f16 v12, v85, v14;

	;;#ASMEND
	;;#ASMSTART
	v_pk_mul_f16 v13, v84, v13;

	;;#ASMEND
	;; [unrolled: 4-line block ×4, first 2 shown]
	;;#ASMSTART
	v_pk_add_f16 v12, v12, v13;

	;;#ASMEND
	;;#ASMSTART
	v_pk_add_f16 v0, v12, v0;

	;;#ASMEND
	;; [unrolled: 4-line block ×3, first 2 shown]
	v_dual_mov_b32 v114, 0 :: v_dual_and_b32 v11, 0xffff, v0
	v_lshrrev_b32_e32 v0, 16, v0
	;;#ASMSTART
	v_cvt_f32_f16 v102, v11;
	;;#ASMEND
	;;#ASMSTART
	v_cvt_f32_f16 v103, v0;
	;;#ASMEND
	flat_load_b64 v[11:12], v[9:10] offset:1536
	flat_load_b32 v112, v[26:27]
	s_mov_b32 s12, exec_lo
	s_waitcnt vmcnt(1) lgkmcnt(1)
	v_dual_mov_b32 v113, 0 :: v_dual_and_b32 v0, 0xff, v11
	s_delay_alu instid0(VALU_DEP_1)
	v_cmpx_ne_u16_e32 0, v0
	s_cbranch_execz .LBB344_1083
; %bb.1076:                             ;   in Loop: Header=BB344_678 Depth=1
	v_bfrev_b32_e32 v113, 1
	s_mov_b32 s13, exec_lo
	v_cmpx_ne_u16_e32 0x80, v0
	s_cbranch_execz .LBB344_1082
; %bb.1077:                             ;   in Loop: Header=BB344_678 Depth=1
	v_and_b32_e32 v13, 0x7f, v11
	v_mov_b32_e32 v113, 0x7fc02000
	s_mov_b32 s15, exec_lo
	s_delay_alu instid0(VALU_DEP_2)
	v_cmpx_ne_u32_e32 0x7f, v13
	s_cbranch_execz .LBB344_1081
; %bb.1078:                             ;   in Loop: Header=BB344_678 Depth=1
	v_lshrrev_b32_e32 v0, 3, v13
	v_cmp_gt_u32_e64 s0, 8, v13
	v_dual_mov_b32 v14, v12 :: v_dual_mov_b32 v13, v11
	s_delay_alu instid0(VALU_DEP_2)
	s_and_saveexec_b32 s16, s0
; %bb.1079:                             ;   in Loop: Header=BB344_678 Depth=1
	v_and_b32_e32 v0, 7, v11
	s_delay_alu instid0(VALU_DEP_1) | instskip(NEXT) | instid1(VALU_DEP_1)
	v_clz_i32_u32_e32 v0, v0
	v_min_u32_e32 v0, 32, v0
	s_delay_alu instid0(VALU_DEP_1) | instskip(SKIP_1) | instid1(VALU_DEP_2)
	v_subrev_nc_u32_e32 v13, 28, v0
	v_sub_nc_u32_e32 v0, 29, v0
	v_lshlrev_b64 v[13:14], v13, v[11:12]
; %bb.1080:                             ;   in Loop: Header=BB344_678 Depth=1
	s_or_b32 exec_lo, exec_lo, s16
	v_lshlrev_b32_e32 v14, 8, v11
	s_delay_alu instid0(VALU_DEP_3) | instskip(NEXT) | instid1(VALU_DEP_3)
	v_lshl_add_u32 v0, v0, 10, 0x2000
	v_lshlrev_b32_e32 v13, 7, v13
	s_delay_alu instid0(VALU_DEP_2) | instskip(NEXT) | instid1(VALU_DEP_1)
	v_and_or_b32 v0, 0x8000, v14, v0
	v_and_or_b32 v0, 0x380, v13, v0
	s_delay_alu instid0(VALU_DEP_1)
	v_cvt_f32_f16_e32 v113, v0
.LBB344_1081:                           ;   in Loop: Header=BB344_678 Depth=1
	s_or_b32 exec_lo, exec_lo, s15
.LBB344_1082:                           ;   in Loop: Header=BB344_678 Depth=1
	s_delay_alu instid0(SALU_CYCLE_1)
	s_or_b32 exec_lo, exec_lo, s13
.LBB344_1083:                           ;   in Loop: Header=BB344_678 Depth=1
	s_delay_alu instid0(SALU_CYCLE_1) | instskip(SKIP_2) | instid1(VALU_DEP_1)
	s_or_b32 exec_lo, exec_lo, s12
	v_lshrrev_b16 v0, 8, v11
	s_mov_b32 s12, exec_lo
	v_cmpx_ne_u16_e32 0, v0
	s_cbranch_execz .LBB344_1091
; %bb.1084:                             ;   in Loop: Header=BB344_678 Depth=1
	v_bfrev_b32_e32 v114, 1
	s_mov_b32 s13, exec_lo
	v_cmpx_ne_u16_e32 0x80, v0
	s_cbranch_execz .LBB344_1090
; %bb.1085:                             ;   in Loop: Header=BB344_678 Depth=1
	v_and_b32_e32 v13, 0xffff, v0
	v_mov_b32_e32 v114, 0x7fc02000
	s_mov_b32 s15, exec_lo
	s_delay_alu instid0(VALU_DEP_2) | instskip(NEXT) | instid1(VALU_DEP_1)
	v_and_b32_e32 v115, 0x7f, v13
	v_cmpx_ne_u32_e32 0x7f, v115
	s_cbranch_execz .LBB344_1089
; %bb.1086:                             ;   in Loop: Header=BB344_678 Depth=1
	v_and_b32_e32 v0, 7, v13
	v_lshrrev_b32_e32 v14, 3, v115
	s_mov_b32 s16, exec_lo
	v_cmpx_gt_u32_e32 8, v115
; %bb.1087:                             ;   in Loop: Header=BB344_678 Depth=1
	s_delay_alu instid0(VALU_DEP_3) | instskip(NEXT) | instid1(VALU_DEP_1)
	v_clz_i32_u32_e32 v14, v0
	v_min_u32_e32 v14, 32, v14
	s_delay_alu instid0(VALU_DEP_1) | instskip(SKIP_1) | instid1(VALU_DEP_2)
	v_subrev_nc_u32_e32 v114, 28, v14
	v_sub_nc_u32_e32 v14, 29, v14
	v_lshlrev_b64 v[114:115], v114, v[0:1]
	s_delay_alu instid0(VALU_DEP_1)
	v_and_b32_e32 v0, 7, v114
; %bb.1088:                             ;   in Loop: Header=BB344_678 Depth=1
	s_or_b32 exec_lo, exec_lo, s16
	v_lshlrev_b32_e32 v13, 8, v13
	v_lshl_add_u32 v14, v14, 10, 0x2000
	s_delay_alu instid0(VALU_DEP_1) | instskip(NEXT) | instid1(VALU_DEP_1)
	v_and_or_b32 v13, 0x8000, v13, v14
	v_lshl_or_b32 v0, v0, 7, v13
	s_delay_alu instid0(VALU_DEP_1)
	v_cvt_f32_f16_e32 v114, v0
.LBB344_1089:                           ;   in Loop: Header=BB344_678 Depth=1
	s_or_b32 exec_lo, exec_lo, s15
.LBB344_1090:                           ;   in Loop: Header=BB344_678 Depth=1
	s_delay_alu instid0(SALU_CYCLE_1)
	s_or_b32 exec_lo, exec_lo, s13
.LBB344_1091:                           ;   in Loop: Header=BB344_678 Depth=1
	s_delay_alu instid0(SALU_CYCLE_1) | instskip(SKIP_3) | instid1(VALU_DEP_2)
	s_or_b32 exec_lo, exec_lo, s12
	v_lshrrev_b32_e32 v13, 16, v11
	v_mov_b32_e32 v116, 0
	s_mov_b32 s12, exec_lo
	v_dual_mov_b32 v115, 0 :: v_dual_and_b32 v0, 0xff, v13
	s_delay_alu instid0(VALU_DEP_1)
	v_cmpx_ne_u16_e32 0, v0
	s_cbranch_execz .LBB344_1099
; %bb.1092:                             ;   in Loop: Header=BB344_678 Depth=1
	v_bfrev_b32_e32 v115, 1
	s_mov_b32 s13, exec_lo
	v_cmpx_ne_u16_e32 0x80, v0
	s_cbranch_execz .LBB344_1098
; %bb.1093:                             ;   in Loop: Header=BB344_678 Depth=1
	v_bfe_u32 v117, v11, 16, 7
	v_mov_b32_e32 v115, 0x7fc02000
	s_mov_b32 s15, exec_lo
	s_delay_alu instid0(VALU_DEP_2)
	v_cmpx_ne_u32_e32 0x7f, v117
	s_cbranch_execz .LBB344_1097
; %bb.1094:                             ;   in Loop: Header=BB344_678 Depth=1
	v_and_b32_e32 v0, 7, v13
	v_lshrrev_b32_e32 v14, 3, v117
	s_mov_b32 s16, exec_lo
	v_cmpx_gt_u32_e32 8, v117
; %bb.1095:                             ;   in Loop: Header=BB344_678 Depth=1
	s_delay_alu instid0(VALU_DEP_3) | instskip(NEXT) | instid1(VALU_DEP_1)
	v_clz_i32_u32_e32 v14, v0
	v_min_u32_e32 v14, 32, v14
	s_delay_alu instid0(VALU_DEP_1) | instskip(SKIP_1) | instid1(VALU_DEP_2)
	v_subrev_nc_u32_e32 v115, 28, v14
	v_sub_nc_u32_e32 v14, 29, v14
	v_lshlrev_b64 v[117:118], v115, v[0:1]
	s_delay_alu instid0(VALU_DEP_1)
	v_and_b32_e32 v0, 7, v117
; %bb.1096:                             ;   in Loop: Header=BB344_678 Depth=1
	s_or_b32 exec_lo, exec_lo, s16
	v_lshlrev_b32_e32 v13, 8, v13
	v_lshl_add_u32 v14, v14, 10, 0x2000
	s_delay_alu instid0(VALU_DEP_1) | instskip(NEXT) | instid1(VALU_DEP_1)
	v_and_or_b32 v13, 0x8000, v13, v14
	v_lshl_or_b32 v0, v0, 7, v13
	s_delay_alu instid0(VALU_DEP_1)
	v_cvt_f32_f16_e32 v115, v0
.LBB344_1097:                           ;   in Loop: Header=BB344_678 Depth=1
	s_or_b32 exec_lo, exec_lo, s15
.LBB344_1098:                           ;   in Loop: Header=BB344_678 Depth=1
	s_delay_alu instid0(SALU_CYCLE_1)
	s_or_b32 exec_lo, exec_lo, s13
.LBB344_1099:                           ;   in Loop: Header=BB344_678 Depth=1
	s_delay_alu instid0(SALU_CYCLE_1) | instskip(NEXT) | instid1(SALU_CYCLE_1)
	s_or_b32 exec_lo, exec_lo, s12
	s_mov_b32 s12, exec_lo
	v_cmpx_lt_u32_e32 0xffffff, v11
	s_cbranch_execz .LBB344_1107
; %bb.1100:                             ;   in Loop: Header=BB344_678 Depth=1
	v_lshrrev_b32_e32 v13, 24, v11
	v_bfrev_b32_e32 v116, 1
	s_mov_b32 s13, exec_lo
	s_delay_alu instid0(VALU_DEP_2)
	v_cmpx_ne_u32_e32 0x80, v13
	s_cbranch_execz .LBB344_1106
; %bb.1101:                             ;   in Loop: Header=BB344_678 Depth=1
	v_and_b32_e32 v117, 0x7f, v13
	v_mov_b32_e32 v116, 0x7fc02000
	s_mov_b32 s15, exec_lo
	s_delay_alu instid0(VALU_DEP_2)
	v_cmpx_ne_u32_e32 0x7f, v117
	s_cbranch_execz .LBB344_1105
; %bb.1102:                             ;   in Loop: Header=BB344_678 Depth=1
	v_and_b32_e32 v0, 7, v13
	v_lshrrev_b32_e32 v14, 3, v117
	s_mov_b32 s16, exec_lo
	v_cmpx_gt_u32_e32 8, v117
; %bb.1103:                             ;   in Loop: Header=BB344_678 Depth=1
	s_delay_alu instid0(VALU_DEP_3) | instskip(NEXT) | instid1(VALU_DEP_1)
	v_clz_i32_u32_e32 v14, v0
	v_min_u32_e32 v14, 32, v14
	s_delay_alu instid0(VALU_DEP_1) | instskip(SKIP_1) | instid1(VALU_DEP_2)
	v_subrev_nc_u32_e32 v116, 28, v14
	v_sub_nc_u32_e32 v14, 29, v14
	v_lshlrev_b64 v[116:117], v116, v[0:1]
	s_delay_alu instid0(VALU_DEP_1)
	v_and_b32_e32 v0, 7, v116
; %bb.1104:                             ;   in Loop: Header=BB344_678 Depth=1
	s_or_b32 exec_lo, exec_lo, s16
	v_lshlrev_b32_e32 v13, 8, v13
	v_lshl_add_u32 v14, v14, 10, 0x2000
	s_delay_alu instid0(VALU_DEP_1) | instskip(NEXT) | instid1(VALU_DEP_1)
	v_and_or_b32 v13, 0x8000, v13, v14
	v_lshl_or_b32 v0, v0, 7, v13
	s_delay_alu instid0(VALU_DEP_1)
	v_cvt_f32_f16_e32 v116, v0
.LBB344_1105:                           ;   in Loop: Header=BB344_678 Depth=1
	s_or_b32 exec_lo, exec_lo, s15
.LBB344_1106:                           ;   in Loop: Header=BB344_678 Depth=1
	s_delay_alu instid0(SALU_CYCLE_1)
	s_or_b32 exec_lo, exec_lo, s13
.LBB344_1107:                           ;   in Loop: Header=BB344_678 Depth=1
	s_delay_alu instid0(SALU_CYCLE_1) | instskip(SKIP_3) | instid1(VALU_DEP_2)
	s_or_b32 exec_lo, exec_lo, s12
	v_dual_mov_b32 v0, v12 :: v_dual_and_b32 v13, 0xff, v12
	v_dual_mov_b32 v118, 0 :: v_dual_mov_b32 v117, 0
	s_mov_b32 s12, exec_lo
	v_cmpx_ne_u16_e32 0, v13
	s_cbranch_execz .LBB344_1115
; %bb.1108:                             ;   in Loop: Header=BB344_678 Depth=1
	v_bfrev_b32_e32 v117, 1
	s_mov_b32 s13, exec_lo
	v_cmpx_ne_u16_e32 0x80, v13
	s_cbranch_execz .LBB344_1114
; %bb.1109:                             ;   in Loop: Header=BB344_678 Depth=1
	v_and_b32_e32 v13, 0x7f, v12
	v_mov_b32_e32 v117, 0x7fc02000
	s_mov_b32 s15, exec_lo
	s_delay_alu instid0(VALU_DEP_2)
	v_cmpx_ne_u32_e32 0x7f, v13
	s_cbranch_execz .LBB344_1113
; %bb.1110:                             ;   in Loop: Header=BB344_678 Depth=1
	v_lshrrev_b32_e32 v117, 3, v13
	v_cmp_gt_u32_e64 s0, 8, v13
	v_dual_mov_b32 v14, v1 :: v_dual_mov_b32 v13, v0
	s_delay_alu instid0(VALU_DEP_2)
	s_and_saveexec_b32 s16, s0
; %bb.1111:                             ;   in Loop: Header=BB344_678 Depth=1
	v_and_b32_e32 v13, 7, v12
	s_delay_alu instid0(VALU_DEP_1) | instskip(NEXT) | instid1(VALU_DEP_1)
	v_clz_i32_u32_e32 v13, v13
	v_min_u32_e32 v117, 32, v13
	s_delay_alu instid0(VALU_DEP_1) | instskip(SKIP_1) | instid1(VALU_DEP_2)
	v_subrev_nc_u32_e32 v13, 28, v117
	v_sub_nc_u32_e32 v117, 29, v117
	v_lshlrev_b64 v[13:14], v13, v[0:1]
; %bb.1112:                             ;   in Loop: Header=BB344_678 Depth=1
	s_or_b32 exec_lo, exec_lo, s16
	v_lshlrev_b32_e32 v14, 8, v12
	s_delay_alu instid0(VALU_DEP_3) | instskip(NEXT) | instid1(VALU_DEP_3)
	v_lshl_add_u32 v117, v117, 10, 0x2000
	v_lshlrev_b32_e32 v13, 7, v13
	s_delay_alu instid0(VALU_DEP_2) | instskip(NEXT) | instid1(VALU_DEP_1)
	v_and_or_b32 v14, 0x8000, v14, v117
	v_and_or_b32 v13, 0x380, v13, v14
	s_delay_alu instid0(VALU_DEP_1)
	v_cvt_f32_f16_e32 v117, v13
.LBB344_1113:                           ;   in Loop: Header=BB344_678 Depth=1
	s_or_b32 exec_lo, exec_lo, s15
.LBB344_1114:                           ;   in Loop: Header=BB344_678 Depth=1
	s_delay_alu instid0(SALU_CYCLE_1)
	s_or_b32 exec_lo, exec_lo, s13
.LBB344_1115:                           ;   in Loop: Header=BB344_678 Depth=1
	s_delay_alu instid0(SALU_CYCLE_1) | instskip(SKIP_2) | instid1(VALU_DEP_1)
	s_or_b32 exec_lo, exec_lo, s12
	v_lshrrev_b16 v0, 8, v0
	s_mov_b32 s12, exec_lo
	v_cmpx_ne_u16_e32 0, v0
	s_cbranch_execz .LBB344_1123
; %bb.1116:                             ;   in Loop: Header=BB344_678 Depth=1
	v_bfrev_b32_e32 v118, 1
	s_mov_b32 s13, exec_lo
	v_cmpx_ne_u16_e32 0x80, v0
	s_cbranch_execz .LBB344_1122
; %bb.1117:                             ;   in Loop: Header=BB344_678 Depth=1
	v_and_b32_e32 v119, 0xffff, v0
	v_mov_b32_e32 v118, 0x7fc02000
	s_mov_b32 s15, exec_lo
	s_delay_alu instid0(VALU_DEP_2) | instskip(NEXT) | instid1(VALU_DEP_1)
	v_and_b32_e32 v13, 0x7f, v119
	v_cmpx_ne_u32_e32 0x7f, v13
	s_cbranch_execz .LBB344_1121
; %bb.1118:                             ;   in Loop: Header=BB344_678 Depth=1
	v_and_b32_e32 v0, 7, v119
	v_lshrrev_b32_e32 v118, 3, v13
	v_cmp_gt_u32_e64 s0, 8, v13
	s_delay_alu instid0(VALU_DEP_3) | instskip(NEXT) | instid1(VALU_DEP_2)
	v_dual_mov_b32 v14, v1 :: v_dual_mov_b32 v13, v0
	s_and_saveexec_b32 s16, s0
; %bb.1119:                             ;   in Loop: Header=BB344_678 Depth=1
	v_clz_i32_u32_e32 v13, v0
	s_delay_alu instid0(VALU_DEP_1) | instskip(NEXT) | instid1(VALU_DEP_1)
	v_min_u32_e32 v118, 32, v13
	v_subrev_nc_u32_e32 v13, 28, v118
	v_sub_nc_u32_e32 v118, 29, v118
	s_delay_alu instid0(VALU_DEP_2) | instskip(NEXT) | instid1(VALU_DEP_1)
	v_lshlrev_b64 v[13:14], v13, v[0:1]
	v_and_b32_e32 v13, 7, v13
; %bb.1120:                             ;   in Loop: Header=BB344_678 Depth=1
	s_or_b32 exec_lo, exec_lo, s16
	v_lshlrev_b32_e32 v0, 8, v119
	v_lshl_add_u32 v14, v118, 10, 0x2000
	s_delay_alu instid0(VALU_DEP_1) | instskip(NEXT) | instid1(VALU_DEP_1)
	v_and_or_b32 v0, 0x8000, v0, v14
	v_lshl_or_b32 v0, v13, 7, v0
	s_delay_alu instid0(VALU_DEP_1)
	v_cvt_f32_f16_e32 v118, v0
.LBB344_1121:                           ;   in Loop: Header=BB344_678 Depth=1
	s_or_b32 exec_lo, exec_lo, s15
.LBB344_1122:                           ;   in Loop: Header=BB344_678 Depth=1
	s_delay_alu instid0(SALU_CYCLE_1)
	s_or_b32 exec_lo, exec_lo, s13
.LBB344_1123:                           ;   in Loop: Header=BB344_678 Depth=1
	s_delay_alu instid0(SALU_CYCLE_1) | instskip(SKIP_3) | instid1(VALU_DEP_2)
	s_or_b32 exec_lo, exec_lo, s12
	v_lshrrev_b32_e32 v128, 16, v12
	v_mov_b32_e32 v13, 0
	s_mov_b32 s12, exec_lo
	v_dual_mov_b32 v119, 0 :: v_dual_and_b32 v0, 0xff, v128
	s_delay_alu instid0(VALU_DEP_1)
	v_cmpx_ne_u16_e32 0, v0
	s_cbranch_execz .LBB344_1131
; %bb.1124:                             ;   in Loop: Header=BB344_678 Depth=1
	v_bfrev_b32_e32 v13, 1
	s_mov_b32 s13, exec_lo
	v_cmpx_ne_u16_e32 0x80, v0
	s_cbranch_execz .LBB344_1130
; %bb.1125:                             ;   in Loop: Header=BB344_678 Depth=1
	v_bfe_u32 v14, v12, 16, 7
	v_mov_b32_e32 v13, 0x7fc02000
	s_mov_b32 s15, exec_lo
	s_delay_alu instid0(VALU_DEP_2)
	v_cmpx_ne_u32_e32 0x7f, v14
	s_cbranch_execz .LBB344_1129
; %bb.1126:                             ;   in Loop: Header=BB344_678 Depth=1
	v_and_b32_e32 v0, 7, v128
	v_lshrrev_b32_e32 v129, 3, v14
	v_cmp_gt_u32_e64 s0, 8, v14
	s_delay_alu instid0(VALU_DEP_3) | instskip(NEXT) | instid1(VALU_DEP_2)
	v_dual_mov_b32 v14, v1 :: v_dual_mov_b32 v13, v0
	s_and_saveexec_b32 s16, s0
; %bb.1127:                             ;   in Loop: Header=BB344_678 Depth=1
	v_clz_i32_u32_e32 v13, v0
	s_delay_alu instid0(VALU_DEP_1) | instskip(NEXT) | instid1(VALU_DEP_1)
	v_min_u32_e32 v129, 32, v13
	v_subrev_nc_u32_e32 v13, 28, v129
	v_sub_nc_u32_e32 v129, 29, v129
	s_delay_alu instid0(VALU_DEP_2) | instskip(NEXT) | instid1(VALU_DEP_1)
	v_lshlrev_b64 v[13:14], v13, v[0:1]
	v_and_b32_e32 v13, 7, v13
; %bb.1128:                             ;   in Loop: Header=BB344_678 Depth=1
	s_or_b32 exec_lo, exec_lo, s16
	v_lshlrev_b32_e32 v0, 8, v128
	v_lshl_add_u32 v14, v129, 10, 0x2000
	s_delay_alu instid0(VALU_DEP_1) | instskip(NEXT) | instid1(VALU_DEP_1)
	v_and_or_b32 v0, 0x8000, v0, v14
	v_lshl_or_b32 v0, v13, 7, v0
	s_delay_alu instid0(VALU_DEP_1)
	v_cvt_f32_f16_e32 v13, v0
.LBB344_1129:                           ;   in Loop: Header=BB344_678 Depth=1
	s_or_b32 exec_lo, exec_lo, s15
.LBB344_1130:                           ;   in Loop: Header=BB344_678 Depth=1
	s_delay_alu instid0(SALU_CYCLE_1)
	s_or_b32 exec_lo, exec_lo, s13
.LBB344_1131:                           ;   in Loop: Header=BB344_678 Depth=1
	s_delay_alu instid0(SALU_CYCLE_1) | instskip(NEXT) | instid1(SALU_CYCLE_1)
	s_or_b32 exec_lo, exec_lo, s12
	s_mov_b32 s12, exec_lo
	v_cmpx_lt_u64_e64 s[8:9], v[11:12]
	s_cbranch_execz .LBB344_1139
; %bb.1132:                             ;   in Loop: Header=BB344_678 Depth=1
	v_lshrrev_b32_e32 v14, 24, v12
	v_bfrev_b32_e32 v119, 1
	s_mov_b32 s13, exec_lo
	s_delay_alu instid0(VALU_DEP_2)
	v_cmpx_ne_u32_e32 0x80, v14
	s_cbranch_execz .LBB344_1138
; %bb.1133:                             ;   in Loop: Header=BB344_678 Depth=1
	v_and_b32_e32 v11, 0x7f, v14
	v_mov_b32_e32 v119, 0x7fc02000
	s_mov_b32 s15, exec_lo
	s_delay_alu instid0(VALU_DEP_2)
	v_cmpx_ne_u32_e32 0x7f, v11
	s_cbranch_execz .LBB344_1137
; %bb.1134:                             ;   in Loop: Header=BB344_678 Depth=1
	v_and_b32_e32 v0, 7, v14
	v_lshrrev_b32_e32 v119, 3, v11
	v_cmp_gt_u32_e64 s0, 8, v11
	s_delay_alu instid0(VALU_DEP_3) | instskip(NEXT) | instid1(VALU_DEP_2)
	v_dual_mov_b32 v12, v1 :: v_dual_mov_b32 v11, v0
	s_and_saveexec_b32 s16, s0
; %bb.1135:                             ;   in Loop: Header=BB344_678 Depth=1
	v_clz_i32_u32_e32 v11, v0
	s_delay_alu instid0(VALU_DEP_1) | instskip(NEXT) | instid1(VALU_DEP_1)
	v_min_u32_e32 v119, 32, v11
	v_subrev_nc_u32_e32 v11, 28, v119
	v_sub_nc_u32_e32 v119, 29, v119
	s_delay_alu instid0(VALU_DEP_2) | instskip(NEXT) | instid1(VALU_DEP_1)
	v_lshlrev_b64 v[11:12], v11, v[0:1]
	v_and_b32_e32 v11, 7, v11
; %bb.1136:                             ;   in Loop: Header=BB344_678 Depth=1
	s_or_b32 exec_lo, exec_lo, s16
	v_lshlrev_b32_e32 v0, 8, v14
	v_lshl_add_u32 v12, v119, 10, 0x2000
	s_delay_alu instid0(VALU_DEP_1) | instskip(NEXT) | instid1(VALU_DEP_1)
	v_and_or_b32 v0, 0x8000, v0, v12
	v_lshl_or_b32 v0, v11, 7, v0
	s_delay_alu instid0(VALU_DEP_1)
	v_cvt_f32_f16_e32 v119, v0
.LBB344_1137:                           ;   in Loop: Header=BB344_678 Depth=1
	s_or_b32 exec_lo, exec_lo, s15
.LBB344_1138:                           ;   in Loop: Header=BB344_678 Depth=1
	s_delay_alu instid0(SALU_CYCLE_1)
	s_or_b32 exec_lo, exec_lo, s13
.LBB344_1139:                           ;   in Loop: Header=BB344_678 Depth=1
	s_delay_alu instid0(SALU_CYCLE_1)
	s_or_b32 exec_lo, exec_lo, s12
	s_waitcnt vmcnt(0) lgkmcnt(0)
	v_fma_mixlo_f16 v12, v112, v114, 0
	v_fma_mixlo_f16 v0, v112, v116, 0
	;; [unrolled: 1-line block ×5, first 2 shown]
	v_lshlrev_b32_e32 v14, 16, v12
	v_fma_mixlo_f16 v115, v112, v117, 0
	v_fma_mixlo_f16 v116, v112, v119, 0
	;; [unrolled: 1-line block ×3, first 2 shown]
	v_lshlrev_b32_e32 v0, 16, v0
	v_and_b32_e32 v11, 0xffff, v11
	v_and_b32_e32 v112, 0xffff, v113
	v_lshlrev_b32_e32 v113, 16, v114
	v_and_b32_e32 v114, 0xffff, v115
	v_lshlrev_b32_e32 v115, 16, v116
	v_and_b32_e32 v116, 0xffff, v12
	v_or_b32_e32 v13, v0, v11
	v_or_b32_e32 v14, v14, v112
	;; [unrolled: 1-line block ×3, first 2 shown]
	s_delay_alu instid0(VALU_DEP_4)
	v_or_b32_e32 v11, v115, v116
	s_and_saveexec_b32 s12, vcc_lo
	s_cbranch_execz .LBB344_1141
; %bb.1140:                             ;   in Loop: Header=BB344_678 Depth=1
	v_cmp_lt_i32_e64 s0, v19, v38
	v_lshrrev_b32_e32 v112, 16, v14
	v_lshrrev_b32_e32 v113, 16, v13
	;; [unrolled: 1-line block ×4, first 2 shown]
	v_cndmask_b32_e64 v14, 0, v14, s0
	v_cmp_lt_i32_e64 s0, v71, v55
	s_delay_alu instid0(VALU_DEP_1) | instskip(SKIP_1) | instid1(VALU_DEP_2)
	v_cndmask_b32_e64 v112, 0, v112, s0
	v_cmp_lt_i32_e64 s0, v70, v55
	v_perm_b32 v14, v112, v14, 0x5040100
	s_delay_alu instid0(VALU_DEP_2) | instskip(SKIP_1) | instid1(VALU_DEP_1)
	v_cndmask_b32_e64 v113, 0, v113, s0
	v_cmp_lt_i32_e64 s0, v69, v38
	v_cndmask_b32_e64 v13, 0, v13, s0
	v_cmp_lt_i32_e64 s0, v68, v55
	s_delay_alu instid0(VALU_DEP_2) | instskip(NEXT) | instid1(VALU_DEP_2)
	v_perm_b32 v13, v113, v13, 0x5040100
	v_cndmask_b32_e64 v114, 0, v114, s0
	v_cmp_lt_i32_e64 s0, v67, v38
	s_delay_alu instid0(VALU_DEP_1) | instskip(SKIP_1) | instid1(VALU_DEP_2)
	v_cndmask_b32_e64 v0, 0, v0, s0
	v_cmp_lt_i32_e64 s0, v66, v55
	v_perm_b32 v0, v114, v0, 0x5040100
	s_delay_alu instid0(VALU_DEP_2) | instskip(SKIP_1) | instid1(VALU_DEP_1)
	v_cndmask_b32_e64 v11, 0, v11, s0
	v_cmp_lt_i32_e64 s0, v64, v38
	v_cndmask_b32_e64 v12, 0, v12, s0
	s_delay_alu instid0(VALU_DEP_1)
	v_perm_b32 v11, v11, v12, 0x5040100
.LBB344_1141:                           ;   in Loop: Header=BB344_678 Depth=1
	s_or_b32 exec_lo, exec_lo, s12
	;;#ASMSTART
	v_pk_mul_f16 v12, v85, v14;

	;;#ASMEND
	;;#ASMSTART
	v_pk_mul_f16 v13, v84, v13;

	;;#ASMEND
	;;#ASMSTART
	v_pk_mul_f16 v0, v83, v0;

	;;#ASMEND
	;;#ASMSTART
	v_pk_mul_f16 v11, v82, v11;

	;;#ASMEND
	;;#ASMSTART
	v_pk_add_f16 v12, v12, v13;

	;;#ASMEND
	;;#ASMSTART
	v_pk_add_f16 v0, v12, v0;

	;;#ASMEND
	;; [unrolled: 4-line block ×3, first 2 shown]
	v_dual_mov_b32 v116, 0 :: v_dual_and_b32 v11, 0xffff, v0
	v_lshrrev_b32_e32 v0, 16, v0
	;;#ASMSTART
	v_cvt_f32_f16 v112, v11;
	;;#ASMEND
	;;#ASMSTART
	v_cvt_f32_f16 v113, v0;
	;;#ASMEND
	flat_load_b64 v[11:12], v[9:10] offset:1792
	flat_load_b32 v114, v[26:27]
	s_mov_b32 s12, exec_lo
	s_waitcnt vmcnt(1) lgkmcnt(1)
	v_dual_mov_b32 v115, 0 :: v_dual_and_b32 v0, 0xff, v11
	s_delay_alu instid0(VALU_DEP_1)
	v_cmpx_ne_u16_e32 0, v0
	s_cbranch_execz .LBB344_1149
; %bb.1142:                             ;   in Loop: Header=BB344_678 Depth=1
	v_bfrev_b32_e32 v115, 1
	s_mov_b32 s13, exec_lo
	v_cmpx_ne_u16_e32 0x80, v0
	s_cbranch_execz .LBB344_1148
; %bb.1143:                             ;   in Loop: Header=BB344_678 Depth=1
	v_and_b32_e32 v13, 0x7f, v11
	v_mov_b32_e32 v115, 0x7fc02000
	s_mov_b32 s15, exec_lo
	s_delay_alu instid0(VALU_DEP_2)
	v_cmpx_ne_u32_e32 0x7f, v13
	s_cbranch_execz .LBB344_1147
; %bb.1144:                             ;   in Loop: Header=BB344_678 Depth=1
	v_lshrrev_b32_e32 v0, 3, v13
	v_cmp_gt_u32_e64 s0, 8, v13
	v_dual_mov_b32 v14, v12 :: v_dual_mov_b32 v13, v11
	s_delay_alu instid0(VALU_DEP_2)
	s_and_saveexec_b32 s16, s0
; %bb.1145:                             ;   in Loop: Header=BB344_678 Depth=1
	v_and_b32_e32 v0, 7, v11
	s_delay_alu instid0(VALU_DEP_1) | instskip(NEXT) | instid1(VALU_DEP_1)
	v_clz_i32_u32_e32 v0, v0
	v_min_u32_e32 v0, 32, v0
	s_delay_alu instid0(VALU_DEP_1) | instskip(SKIP_1) | instid1(VALU_DEP_2)
	v_subrev_nc_u32_e32 v13, 28, v0
	v_sub_nc_u32_e32 v0, 29, v0
	v_lshlrev_b64 v[13:14], v13, v[11:12]
; %bb.1146:                             ;   in Loop: Header=BB344_678 Depth=1
	s_or_b32 exec_lo, exec_lo, s16
	v_lshlrev_b32_e32 v14, 8, v11
	s_delay_alu instid0(VALU_DEP_3) | instskip(NEXT) | instid1(VALU_DEP_3)
	v_lshl_add_u32 v0, v0, 10, 0x2000
	v_lshlrev_b32_e32 v13, 7, v13
	s_delay_alu instid0(VALU_DEP_2) | instskip(NEXT) | instid1(VALU_DEP_1)
	v_and_or_b32 v0, 0x8000, v14, v0
	v_and_or_b32 v0, 0x380, v13, v0
	s_delay_alu instid0(VALU_DEP_1)
	v_cvt_f32_f16_e32 v115, v0
.LBB344_1147:                           ;   in Loop: Header=BB344_678 Depth=1
	s_or_b32 exec_lo, exec_lo, s15
.LBB344_1148:                           ;   in Loop: Header=BB344_678 Depth=1
	s_delay_alu instid0(SALU_CYCLE_1)
	s_or_b32 exec_lo, exec_lo, s13
.LBB344_1149:                           ;   in Loop: Header=BB344_678 Depth=1
	s_delay_alu instid0(SALU_CYCLE_1) | instskip(SKIP_2) | instid1(VALU_DEP_1)
	s_or_b32 exec_lo, exec_lo, s12
	v_lshrrev_b16 v0, 8, v11
	s_mov_b32 s12, exec_lo
	v_cmpx_ne_u16_e32 0, v0
	s_cbranch_execz .LBB344_1157
; %bb.1150:                             ;   in Loop: Header=BB344_678 Depth=1
	v_bfrev_b32_e32 v116, 1
	s_mov_b32 s13, exec_lo
	v_cmpx_ne_u16_e32 0x80, v0
	s_cbranch_execz .LBB344_1156
; %bb.1151:                             ;   in Loop: Header=BB344_678 Depth=1
	v_and_b32_e32 v117, 0xffff, v0
	v_mov_b32_e32 v116, 0x7fc02000
	s_mov_b32 s15, exec_lo
	s_delay_alu instid0(VALU_DEP_2) | instskip(NEXT) | instid1(VALU_DEP_1)
	v_and_b32_e32 v13, 0x7f, v117
	v_cmpx_ne_u32_e32 0x7f, v13
	s_cbranch_execz .LBB344_1155
; %bb.1152:                             ;   in Loop: Header=BB344_678 Depth=1
	v_and_b32_e32 v0, 7, v117
	v_lshrrev_b32_e32 v116, 3, v13
	v_cmp_gt_u32_e64 s0, 8, v13
	s_delay_alu instid0(VALU_DEP_3) | instskip(NEXT) | instid1(VALU_DEP_2)
	v_dual_mov_b32 v14, v1 :: v_dual_mov_b32 v13, v0
	s_and_saveexec_b32 s16, s0
; %bb.1153:                             ;   in Loop: Header=BB344_678 Depth=1
	v_clz_i32_u32_e32 v13, v0
	s_delay_alu instid0(VALU_DEP_1) | instskip(NEXT) | instid1(VALU_DEP_1)
	v_min_u32_e32 v116, 32, v13
	v_subrev_nc_u32_e32 v13, 28, v116
	v_sub_nc_u32_e32 v116, 29, v116
	s_delay_alu instid0(VALU_DEP_2) | instskip(NEXT) | instid1(VALU_DEP_1)
	v_lshlrev_b64 v[13:14], v13, v[0:1]
	v_and_b32_e32 v13, 7, v13
; %bb.1154:                             ;   in Loop: Header=BB344_678 Depth=1
	s_or_b32 exec_lo, exec_lo, s16
	v_lshlrev_b32_e32 v0, 8, v117
	v_lshl_add_u32 v14, v116, 10, 0x2000
	s_delay_alu instid0(VALU_DEP_1) | instskip(NEXT) | instid1(VALU_DEP_1)
	v_and_or_b32 v0, 0x8000, v0, v14
	v_lshl_or_b32 v0, v13, 7, v0
	s_delay_alu instid0(VALU_DEP_1)
	v_cvt_f32_f16_e32 v116, v0
.LBB344_1155:                           ;   in Loop: Header=BB344_678 Depth=1
	s_or_b32 exec_lo, exec_lo, s15
.LBB344_1156:                           ;   in Loop: Header=BB344_678 Depth=1
	s_delay_alu instid0(SALU_CYCLE_1)
	s_or_b32 exec_lo, exec_lo, s13
.LBB344_1157:                           ;   in Loop: Header=BB344_678 Depth=1
	s_delay_alu instid0(SALU_CYCLE_1) | instskip(SKIP_3) | instid1(VALU_DEP_2)
	s_or_b32 exec_lo, exec_lo, s12
	v_lshrrev_b32_e32 v119, 16, v11
	v_mov_b32_e32 v118, 0
	s_mov_b32 s12, exec_lo
	v_dual_mov_b32 v117, 0 :: v_dual_and_b32 v0, 0xff, v119
	s_delay_alu instid0(VALU_DEP_1)
	v_cmpx_ne_u16_e32 0, v0
	s_cbranch_execz .LBB344_1165
; %bb.1158:                             ;   in Loop: Header=BB344_678 Depth=1
	v_bfrev_b32_e32 v117, 1
	s_mov_b32 s13, exec_lo
	v_cmpx_ne_u16_e32 0x80, v0
	s_cbranch_execz .LBB344_1164
; %bb.1159:                             ;   in Loop: Header=BB344_678 Depth=1
	v_bfe_u32 v13, v11, 16, 7
	v_mov_b32_e32 v117, 0x7fc02000
	s_mov_b32 s15, exec_lo
	s_delay_alu instid0(VALU_DEP_2)
	v_cmpx_ne_u32_e32 0x7f, v13
	s_cbranch_execz .LBB344_1163
; %bb.1160:                             ;   in Loop: Header=BB344_678 Depth=1
	v_and_b32_e32 v0, 7, v119
	v_lshrrev_b32_e32 v117, 3, v13
	v_cmp_gt_u32_e64 s0, 8, v13
	s_delay_alu instid0(VALU_DEP_3) | instskip(NEXT) | instid1(VALU_DEP_2)
	v_dual_mov_b32 v14, v1 :: v_dual_mov_b32 v13, v0
	s_and_saveexec_b32 s16, s0
; %bb.1161:                             ;   in Loop: Header=BB344_678 Depth=1
	v_clz_i32_u32_e32 v13, v0
	s_delay_alu instid0(VALU_DEP_1) | instskip(NEXT) | instid1(VALU_DEP_1)
	v_min_u32_e32 v117, 32, v13
	v_subrev_nc_u32_e32 v13, 28, v117
	v_sub_nc_u32_e32 v117, 29, v117
	s_delay_alu instid0(VALU_DEP_2) | instskip(NEXT) | instid1(VALU_DEP_1)
	v_lshlrev_b64 v[13:14], v13, v[0:1]
	v_and_b32_e32 v13, 7, v13
; %bb.1162:                             ;   in Loop: Header=BB344_678 Depth=1
	s_or_b32 exec_lo, exec_lo, s16
	v_lshlrev_b32_e32 v0, 8, v119
	v_lshl_add_u32 v14, v117, 10, 0x2000
	s_delay_alu instid0(VALU_DEP_1) | instskip(NEXT) | instid1(VALU_DEP_1)
	v_and_or_b32 v0, 0x8000, v0, v14
	v_lshl_or_b32 v0, v13, 7, v0
	s_delay_alu instid0(VALU_DEP_1)
	v_cvt_f32_f16_e32 v117, v0
.LBB344_1163:                           ;   in Loop: Header=BB344_678 Depth=1
	s_or_b32 exec_lo, exec_lo, s15
.LBB344_1164:                           ;   in Loop: Header=BB344_678 Depth=1
	s_delay_alu instid0(SALU_CYCLE_1)
	s_or_b32 exec_lo, exec_lo, s13
.LBB344_1165:                           ;   in Loop: Header=BB344_678 Depth=1
	s_delay_alu instid0(SALU_CYCLE_1) | instskip(NEXT) | instid1(SALU_CYCLE_1)
	s_or_b32 exec_lo, exec_lo, s12
	s_mov_b32 s12, exec_lo
	v_cmpx_lt_u32_e32 0xffffff, v11
	s_cbranch_execz .LBB344_1173
; %bb.1166:                             ;   in Loop: Header=BB344_678 Depth=1
	v_lshrrev_b32_e32 v119, 24, v11
	v_bfrev_b32_e32 v118, 1
	s_mov_b32 s13, exec_lo
	s_delay_alu instid0(VALU_DEP_2)
	v_cmpx_ne_u32_e32 0x80, v119
	s_cbranch_execz .LBB344_1172
; %bb.1167:                             ;   in Loop: Header=BB344_678 Depth=1
	v_and_b32_e32 v13, 0x7f, v119
	v_mov_b32_e32 v118, 0x7fc02000
	s_mov_b32 s15, exec_lo
	s_delay_alu instid0(VALU_DEP_2)
	v_cmpx_ne_u32_e32 0x7f, v13
	s_cbranch_execz .LBB344_1171
; %bb.1168:                             ;   in Loop: Header=BB344_678 Depth=1
	v_and_b32_e32 v0, 7, v119
	v_lshrrev_b32_e32 v118, 3, v13
	v_cmp_gt_u32_e64 s0, 8, v13
	s_delay_alu instid0(VALU_DEP_3) | instskip(NEXT) | instid1(VALU_DEP_2)
	v_dual_mov_b32 v14, v1 :: v_dual_mov_b32 v13, v0
	s_and_saveexec_b32 s16, s0
; %bb.1169:                             ;   in Loop: Header=BB344_678 Depth=1
	v_clz_i32_u32_e32 v13, v0
	s_delay_alu instid0(VALU_DEP_1) | instskip(NEXT) | instid1(VALU_DEP_1)
	v_min_u32_e32 v118, 32, v13
	v_subrev_nc_u32_e32 v13, 28, v118
	v_sub_nc_u32_e32 v118, 29, v118
	s_delay_alu instid0(VALU_DEP_2) | instskip(NEXT) | instid1(VALU_DEP_1)
	v_lshlrev_b64 v[13:14], v13, v[0:1]
	v_and_b32_e32 v13, 7, v13
; %bb.1170:                             ;   in Loop: Header=BB344_678 Depth=1
	s_or_b32 exec_lo, exec_lo, s16
	v_lshlrev_b32_e32 v0, 8, v119
	v_lshl_add_u32 v14, v118, 10, 0x2000
	s_delay_alu instid0(VALU_DEP_1) | instskip(NEXT) | instid1(VALU_DEP_1)
	v_and_or_b32 v0, 0x8000, v0, v14
	v_lshl_or_b32 v0, v13, 7, v0
	s_delay_alu instid0(VALU_DEP_1)
	v_cvt_f32_f16_e32 v118, v0
.LBB344_1171:                           ;   in Loop: Header=BB344_678 Depth=1
	s_or_b32 exec_lo, exec_lo, s15
.LBB344_1172:                           ;   in Loop: Header=BB344_678 Depth=1
	s_delay_alu instid0(SALU_CYCLE_1)
	s_or_b32 exec_lo, exec_lo, s13
.LBB344_1173:                           ;   in Loop: Header=BB344_678 Depth=1
	s_delay_alu instid0(SALU_CYCLE_1) | instskip(SKIP_3) | instid1(VALU_DEP_2)
	s_or_b32 exec_lo, exec_lo, s12
	v_dual_mov_b32 v0, v12 :: v_dual_and_b32 v13, 0xff, v12
	v_dual_mov_b32 v128, 0 :: v_dual_mov_b32 v119, 0
	s_mov_b32 s12, exec_lo
	v_cmpx_ne_u16_e32 0, v13
	s_cbranch_execz .LBB344_1181
; %bb.1174:                             ;   in Loop: Header=BB344_678 Depth=1
	v_bfrev_b32_e32 v119, 1
	s_mov_b32 s13, exec_lo
	v_cmpx_ne_u16_e32 0x80, v13
	s_cbranch_execz .LBB344_1180
; %bb.1175:                             ;   in Loop: Header=BB344_678 Depth=1
	v_and_b32_e32 v13, 0x7f, v12
	v_mov_b32_e32 v119, 0x7fc02000
	s_mov_b32 s15, exec_lo
	s_delay_alu instid0(VALU_DEP_2)
	v_cmpx_ne_u32_e32 0x7f, v13
	s_cbranch_execz .LBB344_1179
; %bb.1176:                             ;   in Loop: Header=BB344_678 Depth=1
	v_lshrrev_b32_e32 v119, 3, v13
	v_cmp_gt_u32_e64 s0, 8, v13
	v_dual_mov_b32 v14, v1 :: v_dual_mov_b32 v13, v0
	s_delay_alu instid0(VALU_DEP_2)
	s_and_saveexec_b32 s16, s0
; %bb.1177:                             ;   in Loop: Header=BB344_678 Depth=1
	v_and_b32_e32 v13, 7, v12
	s_delay_alu instid0(VALU_DEP_1) | instskip(NEXT) | instid1(VALU_DEP_1)
	v_clz_i32_u32_e32 v13, v13
	v_min_u32_e32 v119, 32, v13
	s_delay_alu instid0(VALU_DEP_1) | instskip(SKIP_1) | instid1(VALU_DEP_2)
	v_subrev_nc_u32_e32 v13, 28, v119
	v_sub_nc_u32_e32 v119, 29, v119
	v_lshlrev_b64 v[13:14], v13, v[0:1]
; %bb.1178:                             ;   in Loop: Header=BB344_678 Depth=1
	s_or_b32 exec_lo, exec_lo, s16
	v_lshlrev_b32_e32 v14, 8, v12
	s_delay_alu instid0(VALU_DEP_3) | instskip(NEXT) | instid1(VALU_DEP_3)
	v_lshl_add_u32 v119, v119, 10, 0x2000
	v_lshlrev_b32_e32 v13, 7, v13
	s_delay_alu instid0(VALU_DEP_2) | instskip(NEXT) | instid1(VALU_DEP_1)
	v_and_or_b32 v14, 0x8000, v14, v119
	v_and_or_b32 v13, 0x380, v13, v14
	s_delay_alu instid0(VALU_DEP_1)
	v_cvt_f32_f16_e32 v119, v13
.LBB344_1179:                           ;   in Loop: Header=BB344_678 Depth=1
	s_or_b32 exec_lo, exec_lo, s15
.LBB344_1180:                           ;   in Loop: Header=BB344_678 Depth=1
	s_delay_alu instid0(SALU_CYCLE_1)
	s_or_b32 exec_lo, exec_lo, s13
.LBB344_1181:                           ;   in Loop: Header=BB344_678 Depth=1
	s_delay_alu instid0(SALU_CYCLE_1) | instskip(SKIP_2) | instid1(VALU_DEP_1)
	s_or_b32 exec_lo, exec_lo, s12
	v_lshrrev_b16 v0, 8, v0
	s_mov_b32 s12, exec_lo
	v_cmpx_ne_u16_e32 0, v0
	s_cbranch_execz .LBB344_1189
; %bb.1182:                             ;   in Loop: Header=BB344_678 Depth=1
	v_bfrev_b32_e32 v128, 1
	s_mov_b32 s13, exec_lo
	v_cmpx_ne_u16_e32 0x80, v0
	s_cbranch_execz .LBB344_1188
; %bb.1183:                             ;   in Loop: Header=BB344_678 Depth=1
	v_and_b32_e32 v129, 0xffff, v0
	v_mov_b32_e32 v128, 0x7fc02000
	s_mov_b32 s15, exec_lo
	s_delay_alu instid0(VALU_DEP_2) | instskip(NEXT) | instid1(VALU_DEP_1)
	v_and_b32_e32 v13, 0x7f, v129
	v_cmpx_ne_u32_e32 0x7f, v13
	s_cbranch_execz .LBB344_1187
; %bb.1184:                             ;   in Loop: Header=BB344_678 Depth=1
	v_and_b32_e32 v0, 7, v129
	v_lshrrev_b32_e32 v128, 3, v13
	v_cmp_gt_u32_e64 s0, 8, v13
	s_delay_alu instid0(VALU_DEP_3) | instskip(NEXT) | instid1(VALU_DEP_2)
	v_dual_mov_b32 v14, v1 :: v_dual_mov_b32 v13, v0
	s_and_saveexec_b32 s16, s0
; %bb.1185:                             ;   in Loop: Header=BB344_678 Depth=1
	v_clz_i32_u32_e32 v13, v0
	s_delay_alu instid0(VALU_DEP_1) | instskip(NEXT) | instid1(VALU_DEP_1)
	v_min_u32_e32 v128, 32, v13
	v_subrev_nc_u32_e32 v13, 28, v128
	v_sub_nc_u32_e32 v128, 29, v128
	s_delay_alu instid0(VALU_DEP_2) | instskip(NEXT) | instid1(VALU_DEP_1)
	v_lshlrev_b64 v[13:14], v13, v[0:1]
	v_and_b32_e32 v13, 7, v13
; %bb.1186:                             ;   in Loop: Header=BB344_678 Depth=1
	s_or_b32 exec_lo, exec_lo, s16
	v_lshlrev_b32_e32 v0, 8, v129
	v_lshl_add_u32 v14, v128, 10, 0x2000
	s_delay_alu instid0(VALU_DEP_1) | instskip(NEXT) | instid1(VALU_DEP_1)
	v_and_or_b32 v0, 0x8000, v0, v14
	v_lshl_or_b32 v0, v13, 7, v0
	s_delay_alu instid0(VALU_DEP_1)
	v_cvt_f32_f16_e64 v128, v0
.LBB344_1187:                           ;   in Loop: Header=BB344_678 Depth=1
	s_or_b32 exec_lo, exec_lo, s15
.LBB344_1188:                           ;   in Loop: Header=BB344_678 Depth=1
	s_delay_alu instid0(SALU_CYCLE_1)
	s_or_b32 exec_lo, exec_lo, s13
.LBB344_1189:                           ;   in Loop: Header=BB344_678 Depth=1
	s_delay_alu instid0(SALU_CYCLE_1) | instskip(SKIP_3) | instid1(VALU_DEP_2)
	s_or_b32 exec_lo, exec_lo, s12
	v_lshrrev_b32_e32 v130, 16, v12
	v_mov_b32_e32 v13, 0
	s_mov_b32 s12, exec_lo
	v_dual_mov_b32 v129, 0 :: v_dual_and_b32 v0, 0xff, v130
	s_delay_alu instid0(VALU_DEP_1)
	v_cmpx_ne_u16_e32 0, v0
	s_cbranch_execz .LBB344_1197
; %bb.1190:                             ;   in Loop: Header=BB344_678 Depth=1
	v_bfrev_b32_e32 v13, 1
	s_mov_b32 s13, exec_lo
	v_cmpx_ne_u16_e32 0x80, v0
	s_cbranch_execz .LBB344_1196
; %bb.1191:                             ;   in Loop: Header=BB344_678 Depth=1
	v_bfe_u32 v14, v12, 16, 7
	v_mov_b32_e32 v13, 0x7fc02000
	s_mov_b32 s15, exec_lo
	s_delay_alu instid0(VALU_DEP_2)
	v_cmpx_ne_u32_e32 0x7f, v14
	s_cbranch_execz .LBB344_1195
; %bb.1192:                             ;   in Loop: Header=BB344_678 Depth=1
	v_and_b32_e32 v0, 7, v130
	v_lshrrev_b32_e32 v131, 3, v14
	v_cmp_gt_u32_e64 s0, 8, v14
	s_delay_alu instid0(VALU_DEP_3) | instskip(NEXT) | instid1(VALU_DEP_2)
	v_dual_mov_b32 v14, v1 :: v_dual_mov_b32 v13, v0
	s_and_saveexec_b32 s16, s0
; %bb.1193:                             ;   in Loop: Header=BB344_678 Depth=1
	v_clz_i32_u32_e32 v13, v0
	s_delay_alu instid0(VALU_DEP_1) | instskip(NEXT) | instid1(VALU_DEP_1)
	v_min_u32_e32 v131, 32, v13
	v_subrev_nc_u32_e32 v13, 28, v131
	v_sub_nc_u32_e32 v131, 29, v131
	s_delay_alu instid0(VALU_DEP_2) | instskip(NEXT) | instid1(VALU_DEP_1)
	v_lshlrev_b64 v[13:14], v13, v[0:1]
	v_and_b32_e32 v13, 7, v13
; %bb.1194:                             ;   in Loop: Header=BB344_678 Depth=1
	s_or_b32 exec_lo, exec_lo, s16
	v_lshlrev_b32_e32 v0, 8, v130
	v_lshl_add_u32 v14, v131, 10, 0x2000
	s_delay_alu instid0(VALU_DEP_1) | instskip(NEXT) | instid1(VALU_DEP_1)
	v_and_or_b32 v0, 0x8000, v0, v14
	v_lshl_or_b32 v0, v13, 7, v0
	s_delay_alu instid0(VALU_DEP_1)
	v_cvt_f32_f16_e32 v13, v0
.LBB344_1195:                           ;   in Loop: Header=BB344_678 Depth=1
	s_or_b32 exec_lo, exec_lo, s15
.LBB344_1196:                           ;   in Loop: Header=BB344_678 Depth=1
	s_delay_alu instid0(SALU_CYCLE_1)
	s_or_b32 exec_lo, exec_lo, s13
.LBB344_1197:                           ;   in Loop: Header=BB344_678 Depth=1
	s_delay_alu instid0(SALU_CYCLE_1) | instskip(NEXT) | instid1(SALU_CYCLE_1)
	s_or_b32 exec_lo, exec_lo, s12
	s_mov_b32 s12, exec_lo
	v_cmpx_lt_u64_e64 s[8:9], v[11:12]
	s_cbranch_execz .LBB344_1205
; %bb.1198:                             ;   in Loop: Header=BB344_678 Depth=1
	v_lshrrev_b32_e32 v14, 24, v12
	v_bfrev_b32_e32 v129, 1
	s_mov_b32 s13, exec_lo
	s_delay_alu instid0(VALU_DEP_2)
	v_cmpx_ne_u32_e32 0x80, v14
	s_cbranch_execz .LBB344_1204
; %bb.1199:                             ;   in Loop: Header=BB344_678 Depth=1
	v_and_b32_e32 v11, 0x7f, v14
	v_mov_b32_e32 v129, 0x7fc02000
	s_mov_b32 s15, exec_lo
	s_delay_alu instid0(VALU_DEP_2)
	v_cmpx_ne_u32_e32 0x7f, v11
	s_cbranch_execz .LBB344_1203
; %bb.1200:                             ;   in Loop: Header=BB344_678 Depth=1
	v_and_b32_e32 v0, 7, v14
	v_lshrrev_b32_e32 v129, 3, v11
	v_cmp_gt_u32_e64 s0, 8, v11
	s_delay_alu instid0(VALU_DEP_3) | instskip(NEXT) | instid1(VALU_DEP_2)
	v_dual_mov_b32 v12, v1 :: v_dual_mov_b32 v11, v0
	s_and_saveexec_b32 s16, s0
; %bb.1201:                             ;   in Loop: Header=BB344_678 Depth=1
	v_clz_i32_u32_e32 v11, v0
	s_delay_alu instid0(VALU_DEP_1) | instskip(NEXT) | instid1(VALU_DEP_1)
	v_min_u32_e32 v129, 32, v11
	v_subrev_nc_u32_e32 v11, 28, v129
	v_sub_nc_u32_e32 v129, 29, v129
	s_delay_alu instid0(VALU_DEP_2) | instskip(NEXT) | instid1(VALU_DEP_1)
	v_lshlrev_b64 v[11:12], v11, v[0:1]
	v_and_b32_e32 v11, 7, v11
; %bb.1202:                             ;   in Loop: Header=BB344_678 Depth=1
	s_or_b32 exec_lo, exec_lo, s16
	v_lshlrev_b32_e32 v0, 8, v14
	v_lshl_add_u32 v12, v129, 10, 0x2000
	s_delay_alu instid0(VALU_DEP_1) | instskip(NEXT) | instid1(VALU_DEP_1)
	v_and_or_b32 v0, 0x8000, v0, v12
	v_lshl_or_b32 v0, v11, 7, v0
	s_delay_alu instid0(VALU_DEP_1)
	v_cvt_f32_f16_e64 v129, v0
.LBB344_1203:                           ;   in Loop: Header=BB344_678 Depth=1
	s_or_b32 exec_lo, exec_lo, s15
.LBB344_1204:                           ;   in Loop: Header=BB344_678 Depth=1
	s_delay_alu instid0(SALU_CYCLE_1)
	s_or_b32 exec_lo, exec_lo, s13
.LBB344_1205:                           ;   in Loop: Header=BB344_678 Depth=1
	s_delay_alu instid0(SALU_CYCLE_1)
	s_or_b32 exec_lo, exec_lo, s12
	s_waitcnt vmcnt(0) lgkmcnt(0)
	v_fma_mixlo_f16 v12, v114, v116, 0
	v_fma_mixlo_f16 v0, v114, v118, 0
	;; [unrolled: 1-line block ×5, first 2 shown]
	v_lshlrev_b32_e32 v14, 16, v12
	v_fma_mixlo_f16 v117, v114, v119, 0
	v_fma_mixlo_f16 v118, v114, v129, 0
	;; [unrolled: 1-line block ×3, first 2 shown]
	v_lshlrev_b32_e32 v0, 16, v0
	v_and_b32_e32 v11, 0xffff, v11
	v_and_b32_e32 v114, 0xffff, v115
	v_lshlrev_b32_e32 v115, 16, v116
	v_and_b32_e32 v116, 0xffff, v117
	v_lshlrev_b32_e32 v117, 16, v118
	v_and_b32_e32 v118, 0xffff, v12
	v_or_b32_e32 v13, v0, v11
	v_or_b32_e32 v14, v14, v114
	;; [unrolled: 1-line block ×3, first 2 shown]
	s_delay_alu instid0(VALU_DEP_4)
	v_or_b32_e32 v11, v117, v118
	s_and_saveexec_b32 s12, vcc_lo
	s_cbranch_execz .LBB344_1207
; %bb.1206:                             ;   in Loop: Header=BB344_678 Depth=1
	v_cmp_lt_i32_e64 s0, v19, v38
	v_lshrrev_b32_e32 v114, 16, v14
	v_lshrrev_b32_e32 v115, 16, v13
	;; [unrolled: 1-line block ×4, first 2 shown]
	v_cndmask_b32_e64 v14, 0, v14, s0
	v_cmp_lt_i32_e64 s0, v71, v55
	s_delay_alu instid0(VALU_DEP_1) | instskip(SKIP_1) | instid1(VALU_DEP_2)
	v_cndmask_b32_e64 v114, 0, v114, s0
	v_cmp_lt_i32_e64 s0, v70, v55
	v_perm_b32 v14, v114, v14, 0x5040100
	s_delay_alu instid0(VALU_DEP_2) | instskip(SKIP_1) | instid1(VALU_DEP_1)
	v_cndmask_b32_e64 v115, 0, v115, s0
	v_cmp_lt_i32_e64 s0, v69, v38
	v_cndmask_b32_e64 v13, 0, v13, s0
	v_cmp_lt_i32_e64 s0, v68, v55
	s_delay_alu instid0(VALU_DEP_2) | instskip(NEXT) | instid1(VALU_DEP_2)
	v_perm_b32 v13, v115, v13, 0x5040100
	v_cndmask_b32_e64 v116, 0, v116, s0
	v_cmp_lt_i32_e64 s0, v67, v38
	s_delay_alu instid0(VALU_DEP_1) | instskip(SKIP_1) | instid1(VALU_DEP_2)
	v_cndmask_b32_e64 v0, 0, v0, s0
	v_cmp_lt_i32_e64 s0, v66, v55
	v_perm_b32 v0, v116, v0, 0x5040100
	s_delay_alu instid0(VALU_DEP_2) | instskip(SKIP_1) | instid1(VALU_DEP_1)
	v_cndmask_b32_e64 v11, 0, v11, s0
	v_cmp_lt_i32_e64 s0, v64, v38
	v_cndmask_b32_e64 v12, 0, v12, s0
	s_delay_alu instid0(VALU_DEP_1)
	v_perm_b32 v11, v11, v12, 0x5040100
.LBB344_1207:                           ;   in Loop: Header=BB344_678 Depth=1
	s_or_b32 exec_lo, exec_lo, s12
	;;#ASMSTART
	v_pk_mul_f16 v12, v85, v14;

	;;#ASMEND
	;;#ASMSTART
	v_pk_mul_f16 v13, v84, v13;

	;;#ASMEND
	;; [unrolled: 4-line block ×4, first 2 shown]
	;;#ASMSTART
	v_pk_add_f16 v12, v12, v13;

	;;#ASMEND
	;;#ASMSTART
	v_pk_add_f16 v0, v12, v0;

	;;#ASMEND
	;; [unrolled: 4-line block ×3, first 2 shown]
	v_dual_mov_b32 v118, 0 :: v_dual_and_b32 v11, 0xffff, v0
	v_lshrrev_b32_e32 v0, 16, v0
	;;#ASMSTART
	v_cvt_f32_f16 v114, v11;
	;;#ASMEND
	;;#ASMSTART
	v_cvt_f32_f16 v115, v0;
	;;#ASMEND
	flat_load_b64 v[11:12], v[9:10] offset:2048
	flat_load_b32 v116, v[26:27]
	s_mov_b32 s12, exec_lo
	s_waitcnt vmcnt(1) lgkmcnt(1)
	v_dual_mov_b32 v117, 0 :: v_dual_and_b32 v0, 0xff, v11
	s_delay_alu instid0(VALU_DEP_1)
	v_cmpx_ne_u16_e32 0, v0
	s_cbranch_execz .LBB344_1215
; %bb.1208:                             ;   in Loop: Header=BB344_678 Depth=1
	v_bfrev_b32_e32 v117, 1
	s_mov_b32 s13, exec_lo
	v_cmpx_ne_u16_e32 0x80, v0
	s_cbranch_execz .LBB344_1214
; %bb.1209:                             ;   in Loop: Header=BB344_678 Depth=1
	v_and_b32_e32 v13, 0x7f, v11
	v_mov_b32_e32 v117, 0x7fc02000
	s_mov_b32 s15, exec_lo
	s_delay_alu instid0(VALU_DEP_2)
	v_cmpx_ne_u32_e32 0x7f, v13
	s_cbranch_execz .LBB344_1213
; %bb.1210:                             ;   in Loop: Header=BB344_678 Depth=1
	v_lshrrev_b32_e32 v0, 3, v13
	v_cmp_gt_u32_e64 s0, 8, v13
	v_dual_mov_b32 v14, v12 :: v_dual_mov_b32 v13, v11
	s_delay_alu instid0(VALU_DEP_2)
	s_and_saveexec_b32 s16, s0
; %bb.1211:                             ;   in Loop: Header=BB344_678 Depth=1
	v_and_b32_e32 v0, 7, v11
	s_delay_alu instid0(VALU_DEP_1) | instskip(NEXT) | instid1(VALU_DEP_1)
	v_clz_i32_u32_e32 v0, v0
	v_min_u32_e32 v0, 32, v0
	s_delay_alu instid0(VALU_DEP_1) | instskip(SKIP_1) | instid1(VALU_DEP_2)
	v_subrev_nc_u32_e32 v13, 28, v0
	v_sub_nc_u32_e32 v0, 29, v0
	v_lshlrev_b64 v[13:14], v13, v[11:12]
; %bb.1212:                             ;   in Loop: Header=BB344_678 Depth=1
	s_or_b32 exec_lo, exec_lo, s16
	v_lshlrev_b32_e32 v14, 8, v11
	s_delay_alu instid0(VALU_DEP_3) | instskip(NEXT) | instid1(VALU_DEP_3)
	v_lshl_add_u32 v0, v0, 10, 0x2000
	v_lshlrev_b32_e32 v13, 7, v13
	s_delay_alu instid0(VALU_DEP_2) | instskip(NEXT) | instid1(VALU_DEP_1)
	v_and_or_b32 v0, 0x8000, v14, v0
	v_and_or_b32 v0, 0x380, v13, v0
	s_delay_alu instid0(VALU_DEP_1)
	v_cvt_f32_f16_e32 v117, v0
.LBB344_1213:                           ;   in Loop: Header=BB344_678 Depth=1
	s_or_b32 exec_lo, exec_lo, s15
.LBB344_1214:                           ;   in Loop: Header=BB344_678 Depth=1
	s_delay_alu instid0(SALU_CYCLE_1)
	s_or_b32 exec_lo, exec_lo, s13
.LBB344_1215:                           ;   in Loop: Header=BB344_678 Depth=1
	s_delay_alu instid0(SALU_CYCLE_1) | instskip(SKIP_2) | instid1(VALU_DEP_1)
	s_or_b32 exec_lo, exec_lo, s12
	v_lshrrev_b16 v0, 8, v11
	s_mov_b32 s12, exec_lo
	v_cmpx_ne_u16_e32 0, v0
	s_cbranch_execz .LBB344_1223
; %bb.1216:                             ;   in Loop: Header=BB344_678 Depth=1
	v_bfrev_b32_e32 v118, 1
	s_mov_b32 s13, exec_lo
	v_cmpx_ne_u16_e32 0x80, v0
	s_cbranch_execz .LBB344_1222
; %bb.1217:                             ;   in Loop: Header=BB344_678 Depth=1
	v_and_b32_e32 v119, 0xffff, v0
	v_mov_b32_e32 v118, 0x7fc02000
	s_mov_b32 s15, exec_lo
	s_delay_alu instid0(VALU_DEP_2) | instskip(NEXT) | instid1(VALU_DEP_1)
	v_and_b32_e32 v13, 0x7f, v119
	v_cmpx_ne_u32_e32 0x7f, v13
	s_cbranch_execz .LBB344_1221
; %bb.1218:                             ;   in Loop: Header=BB344_678 Depth=1
	v_and_b32_e32 v0, 7, v119
	v_lshrrev_b32_e32 v118, 3, v13
	v_cmp_gt_u32_e64 s0, 8, v13
	s_delay_alu instid0(VALU_DEP_3) | instskip(NEXT) | instid1(VALU_DEP_2)
	v_dual_mov_b32 v14, v1 :: v_dual_mov_b32 v13, v0
	s_and_saveexec_b32 s16, s0
; %bb.1219:                             ;   in Loop: Header=BB344_678 Depth=1
	v_clz_i32_u32_e32 v13, v0
	s_delay_alu instid0(VALU_DEP_1) | instskip(NEXT) | instid1(VALU_DEP_1)
	v_min_u32_e32 v118, 32, v13
	v_subrev_nc_u32_e32 v13, 28, v118
	v_sub_nc_u32_e32 v118, 29, v118
	s_delay_alu instid0(VALU_DEP_2) | instskip(NEXT) | instid1(VALU_DEP_1)
	v_lshlrev_b64 v[13:14], v13, v[0:1]
	v_and_b32_e32 v13, 7, v13
; %bb.1220:                             ;   in Loop: Header=BB344_678 Depth=1
	s_or_b32 exec_lo, exec_lo, s16
	v_lshlrev_b32_e32 v0, 8, v119
	v_lshl_add_u32 v14, v118, 10, 0x2000
	s_delay_alu instid0(VALU_DEP_1) | instskip(NEXT) | instid1(VALU_DEP_1)
	v_and_or_b32 v0, 0x8000, v0, v14
	v_lshl_or_b32 v0, v13, 7, v0
	s_delay_alu instid0(VALU_DEP_1)
	v_cvt_f32_f16_e32 v118, v0
.LBB344_1221:                           ;   in Loop: Header=BB344_678 Depth=1
	s_or_b32 exec_lo, exec_lo, s15
.LBB344_1222:                           ;   in Loop: Header=BB344_678 Depth=1
	s_delay_alu instid0(SALU_CYCLE_1)
	s_or_b32 exec_lo, exec_lo, s13
.LBB344_1223:                           ;   in Loop: Header=BB344_678 Depth=1
	s_delay_alu instid0(SALU_CYCLE_1) | instskip(SKIP_3) | instid1(VALU_DEP_2)
	s_or_b32 exec_lo, exec_lo, s12
	v_lshrrev_b32_e32 v129, 16, v11
	v_mov_b32_e32 v128, 0
	s_mov_b32 s12, exec_lo
	v_dual_mov_b32 v119, 0 :: v_dual_and_b32 v0, 0xff, v129
	s_delay_alu instid0(VALU_DEP_1)
	v_cmpx_ne_u16_e32 0, v0
	s_cbranch_execz .LBB344_1231
; %bb.1224:                             ;   in Loop: Header=BB344_678 Depth=1
	v_bfrev_b32_e32 v119, 1
	s_mov_b32 s13, exec_lo
	v_cmpx_ne_u16_e32 0x80, v0
	s_cbranch_execz .LBB344_1230
; %bb.1225:                             ;   in Loop: Header=BB344_678 Depth=1
	v_bfe_u32 v13, v11, 16, 7
	v_mov_b32_e32 v119, 0x7fc02000
	s_mov_b32 s15, exec_lo
	s_delay_alu instid0(VALU_DEP_2)
	v_cmpx_ne_u32_e32 0x7f, v13
	s_cbranch_execz .LBB344_1229
; %bb.1226:                             ;   in Loop: Header=BB344_678 Depth=1
	v_and_b32_e32 v0, 7, v129
	v_lshrrev_b32_e32 v119, 3, v13
	v_cmp_gt_u32_e64 s0, 8, v13
	s_delay_alu instid0(VALU_DEP_3) | instskip(NEXT) | instid1(VALU_DEP_2)
	v_dual_mov_b32 v14, v1 :: v_dual_mov_b32 v13, v0
	s_and_saveexec_b32 s16, s0
; %bb.1227:                             ;   in Loop: Header=BB344_678 Depth=1
	v_clz_i32_u32_e32 v13, v0
	s_delay_alu instid0(VALU_DEP_1) | instskip(NEXT) | instid1(VALU_DEP_1)
	v_min_u32_e32 v119, 32, v13
	v_subrev_nc_u32_e32 v13, 28, v119
	v_sub_nc_u32_e32 v119, 29, v119
	s_delay_alu instid0(VALU_DEP_2) | instskip(NEXT) | instid1(VALU_DEP_1)
	v_lshlrev_b64 v[13:14], v13, v[0:1]
	v_and_b32_e32 v13, 7, v13
; %bb.1228:                             ;   in Loop: Header=BB344_678 Depth=1
	s_or_b32 exec_lo, exec_lo, s16
	v_lshlrev_b32_e32 v0, 8, v129
	v_lshl_add_u32 v14, v119, 10, 0x2000
	s_delay_alu instid0(VALU_DEP_1) | instskip(NEXT) | instid1(VALU_DEP_1)
	v_and_or_b32 v0, 0x8000, v0, v14
	v_lshl_or_b32 v0, v13, 7, v0
	s_delay_alu instid0(VALU_DEP_1)
	v_cvt_f32_f16_e32 v119, v0
.LBB344_1229:                           ;   in Loop: Header=BB344_678 Depth=1
	s_or_b32 exec_lo, exec_lo, s15
.LBB344_1230:                           ;   in Loop: Header=BB344_678 Depth=1
	s_delay_alu instid0(SALU_CYCLE_1)
	s_or_b32 exec_lo, exec_lo, s13
.LBB344_1231:                           ;   in Loop: Header=BB344_678 Depth=1
	s_delay_alu instid0(SALU_CYCLE_1) | instskip(NEXT) | instid1(SALU_CYCLE_1)
	s_or_b32 exec_lo, exec_lo, s12
	s_mov_b32 s12, exec_lo
	v_cmpx_lt_u32_e32 0xffffff, v11
	s_cbranch_execz .LBB344_1239
; %bb.1232:                             ;   in Loop: Header=BB344_678 Depth=1
	v_lshrrev_b32_e32 v129, 24, v11
	v_bfrev_b32_e32 v128, 1
	s_mov_b32 s13, exec_lo
	s_delay_alu instid0(VALU_DEP_2)
	v_cmpx_ne_u32_e32 0x80, v129
	s_cbranch_execz .LBB344_1238
; %bb.1233:                             ;   in Loop: Header=BB344_678 Depth=1
	v_and_b32_e32 v13, 0x7f, v129
	v_mov_b32_e32 v128, 0x7fc02000
	s_mov_b32 s15, exec_lo
	s_delay_alu instid0(VALU_DEP_2)
	v_cmpx_ne_u32_e32 0x7f, v13
	s_cbranch_execz .LBB344_1237
; %bb.1234:                             ;   in Loop: Header=BB344_678 Depth=1
	v_and_b32_e32 v0, 7, v129
	v_lshrrev_b32_e32 v128, 3, v13
	v_cmp_gt_u32_e64 s0, 8, v13
	s_delay_alu instid0(VALU_DEP_3) | instskip(NEXT) | instid1(VALU_DEP_2)
	v_dual_mov_b32 v14, v1 :: v_dual_mov_b32 v13, v0
	s_and_saveexec_b32 s16, s0
; %bb.1235:                             ;   in Loop: Header=BB344_678 Depth=1
	v_clz_i32_u32_e32 v13, v0
	s_delay_alu instid0(VALU_DEP_1) | instskip(NEXT) | instid1(VALU_DEP_1)
	v_min_u32_e32 v128, 32, v13
	v_subrev_nc_u32_e32 v13, 28, v128
	v_sub_nc_u32_e32 v128, 29, v128
	s_delay_alu instid0(VALU_DEP_2) | instskip(NEXT) | instid1(VALU_DEP_1)
	v_lshlrev_b64 v[13:14], v13, v[0:1]
	v_and_b32_e32 v13, 7, v13
; %bb.1236:                             ;   in Loop: Header=BB344_678 Depth=1
	s_or_b32 exec_lo, exec_lo, s16
	v_lshlrev_b32_e32 v0, 8, v129
	v_lshl_add_u32 v14, v128, 10, 0x2000
	s_delay_alu instid0(VALU_DEP_1) | instskip(NEXT) | instid1(VALU_DEP_1)
	v_and_or_b32 v0, 0x8000, v0, v14
	v_lshl_or_b32 v0, v13, 7, v0
	s_delay_alu instid0(VALU_DEP_1)
	v_cvt_f32_f16_e64 v128, v0
.LBB344_1237:                           ;   in Loop: Header=BB344_678 Depth=1
	s_or_b32 exec_lo, exec_lo, s15
.LBB344_1238:                           ;   in Loop: Header=BB344_678 Depth=1
	s_delay_alu instid0(SALU_CYCLE_1)
	s_or_b32 exec_lo, exec_lo, s13
.LBB344_1239:                           ;   in Loop: Header=BB344_678 Depth=1
	s_delay_alu instid0(SALU_CYCLE_1) | instskip(SKIP_3) | instid1(VALU_DEP_2)
	s_or_b32 exec_lo, exec_lo, s12
	v_dual_mov_b32 v0, v12 :: v_dual_and_b32 v13, 0xff, v12
	v_dual_mov_b32 v130, 0 :: v_dual_mov_b32 v129, 0
	s_mov_b32 s12, exec_lo
	v_cmpx_ne_u16_e32 0, v13
	s_cbranch_execz .LBB344_1247
; %bb.1240:                             ;   in Loop: Header=BB344_678 Depth=1
	v_bfrev_b32_e32 v129, 1
	s_mov_b32 s13, exec_lo
	v_cmpx_ne_u16_e32 0x80, v13
	s_cbranch_execz .LBB344_1246
; %bb.1241:                             ;   in Loop: Header=BB344_678 Depth=1
	v_and_b32_e32 v13, 0x7f, v12
	v_mov_b32_e32 v129, 0x7fc02000
	s_mov_b32 s15, exec_lo
	s_delay_alu instid0(VALU_DEP_2)
	v_cmpx_ne_u32_e32 0x7f, v13
	s_cbranch_execz .LBB344_1245
; %bb.1242:                             ;   in Loop: Header=BB344_678 Depth=1
	v_lshrrev_b32_e32 v129, 3, v13
	v_cmp_gt_u32_e64 s0, 8, v13
	v_dual_mov_b32 v14, v1 :: v_dual_mov_b32 v13, v0
	s_delay_alu instid0(VALU_DEP_2)
	s_and_saveexec_b32 s16, s0
; %bb.1243:                             ;   in Loop: Header=BB344_678 Depth=1
	v_and_b32_e32 v13, 7, v12
	s_delay_alu instid0(VALU_DEP_1) | instskip(NEXT) | instid1(VALU_DEP_1)
	v_clz_i32_u32_e32 v13, v13
	v_min_u32_e32 v129, 32, v13
	s_delay_alu instid0(VALU_DEP_1) | instskip(SKIP_1) | instid1(VALU_DEP_2)
	v_subrev_nc_u32_e32 v13, 28, v129
	v_sub_nc_u32_e32 v129, 29, v129
	v_lshlrev_b64 v[13:14], v13, v[0:1]
; %bb.1244:                             ;   in Loop: Header=BB344_678 Depth=1
	s_or_b32 exec_lo, exec_lo, s16
	v_lshlrev_b32_e32 v14, 8, v12
	s_delay_alu instid0(VALU_DEP_3) | instskip(NEXT) | instid1(VALU_DEP_3)
	v_lshl_add_u32 v129, v129, 10, 0x2000
	v_lshlrev_b32_e32 v13, 7, v13
	s_delay_alu instid0(VALU_DEP_2) | instskip(NEXT) | instid1(VALU_DEP_1)
	v_and_or_b32 v14, 0x8000, v14, v129
	v_and_or_b32 v13, 0x380, v13, v14
	s_delay_alu instid0(VALU_DEP_1)
	v_cvt_f32_f16_e64 v129, v13
.LBB344_1245:                           ;   in Loop: Header=BB344_678 Depth=1
	s_or_b32 exec_lo, exec_lo, s15
.LBB344_1246:                           ;   in Loop: Header=BB344_678 Depth=1
	s_delay_alu instid0(SALU_CYCLE_1)
	s_or_b32 exec_lo, exec_lo, s13
.LBB344_1247:                           ;   in Loop: Header=BB344_678 Depth=1
	s_delay_alu instid0(SALU_CYCLE_1) | instskip(SKIP_2) | instid1(VALU_DEP_1)
	s_or_b32 exec_lo, exec_lo, s12
	v_lshrrev_b16 v0, 8, v0
	s_mov_b32 s12, exec_lo
	v_cmpx_ne_u16_e32 0, v0
	s_cbranch_execz .LBB344_1255
; %bb.1248:                             ;   in Loop: Header=BB344_678 Depth=1
	v_bfrev_b32_e32 v130, 1
	s_mov_b32 s13, exec_lo
	v_cmpx_ne_u16_e32 0x80, v0
	s_cbranch_execz .LBB344_1254
; %bb.1249:                             ;   in Loop: Header=BB344_678 Depth=1
	v_and_b32_e32 v131, 0xffff, v0
	v_mov_b32_e32 v130, 0x7fc02000
	s_mov_b32 s15, exec_lo
	s_delay_alu instid0(VALU_DEP_2) | instskip(NEXT) | instid1(VALU_DEP_1)
	v_and_b32_e32 v13, 0x7f, v131
	v_cmpx_ne_u32_e32 0x7f, v13
	s_cbranch_execz .LBB344_1253
; %bb.1250:                             ;   in Loop: Header=BB344_678 Depth=1
	v_and_b32_e32 v0, 7, v131
	v_lshrrev_b32_e32 v130, 3, v13
	v_cmp_gt_u32_e64 s0, 8, v13
	s_delay_alu instid0(VALU_DEP_3) | instskip(NEXT) | instid1(VALU_DEP_2)
	v_dual_mov_b32 v14, v1 :: v_dual_mov_b32 v13, v0
	s_and_saveexec_b32 s16, s0
; %bb.1251:                             ;   in Loop: Header=BB344_678 Depth=1
	v_clz_i32_u32_e32 v13, v0
	s_delay_alu instid0(VALU_DEP_1) | instskip(NEXT) | instid1(VALU_DEP_1)
	v_min_u32_e32 v130, 32, v13
	v_subrev_nc_u32_e32 v13, 28, v130
	v_sub_nc_u32_e32 v130, 29, v130
	s_delay_alu instid0(VALU_DEP_2) | instskip(NEXT) | instid1(VALU_DEP_1)
	v_lshlrev_b64 v[13:14], v13, v[0:1]
	v_and_b32_e32 v13, 7, v13
; %bb.1252:                             ;   in Loop: Header=BB344_678 Depth=1
	s_or_b32 exec_lo, exec_lo, s16
	v_lshlrev_b32_e32 v0, 8, v131
	v_lshl_add_u32 v14, v130, 10, 0x2000
	s_delay_alu instid0(VALU_DEP_1) | instskip(NEXT) | instid1(VALU_DEP_1)
	v_and_or_b32 v0, 0x8000, v0, v14
	v_lshl_or_b32 v0, v13, 7, v0
	s_delay_alu instid0(VALU_DEP_1)
	v_cvt_f32_f16_e64 v130, v0
.LBB344_1253:                           ;   in Loop: Header=BB344_678 Depth=1
	s_or_b32 exec_lo, exec_lo, s15
.LBB344_1254:                           ;   in Loop: Header=BB344_678 Depth=1
	s_delay_alu instid0(SALU_CYCLE_1)
	s_or_b32 exec_lo, exec_lo, s13
.LBB344_1255:                           ;   in Loop: Header=BB344_678 Depth=1
	s_delay_alu instid0(SALU_CYCLE_1) | instskip(SKIP_3) | instid1(VALU_DEP_2)
	s_or_b32 exec_lo, exec_lo, s12
	v_lshrrev_b32_e32 v132, 16, v12
	v_mov_b32_e32 v13, 0
	s_mov_b32 s12, exec_lo
	v_dual_mov_b32 v131, 0 :: v_dual_and_b32 v0, 0xff, v132
	s_delay_alu instid0(VALU_DEP_1)
	v_cmpx_ne_u16_e32 0, v0
	s_cbranch_execz .LBB344_1263
; %bb.1256:                             ;   in Loop: Header=BB344_678 Depth=1
	v_bfrev_b32_e32 v13, 1
	s_mov_b32 s13, exec_lo
	v_cmpx_ne_u16_e32 0x80, v0
	s_cbranch_execz .LBB344_1262
; %bb.1257:                             ;   in Loop: Header=BB344_678 Depth=1
	v_bfe_u32 v14, v12, 16, 7
	v_mov_b32_e32 v13, 0x7fc02000
	s_mov_b32 s15, exec_lo
	s_delay_alu instid0(VALU_DEP_2)
	v_cmpx_ne_u32_e32 0x7f, v14
	s_cbranch_execz .LBB344_1261
; %bb.1258:                             ;   in Loop: Header=BB344_678 Depth=1
	v_and_b32_e32 v0, 7, v132
	v_lshrrev_b32_e32 v133, 3, v14
	v_cmp_gt_u32_e64 s0, 8, v14
	s_delay_alu instid0(VALU_DEP_3) | instskip(NEXT) | instid1(VALU_DEP_2)
	v_dual_mov_b32 v14, v1 :: v_dual_mov_b32 v13, v0
	s_and_saveexec_b32 s16, s0
; %bb.1259:                             ;   in Loop: Header=BB344_678 Depth=1
	v_clz_i32_u32_e32 v13, v0
	s_delay_alu instid0(VALU_DEP_1) | instskip(NEXT) | instid1(VALU_DEP_1)
	v_min_u32_e32 v133, 32, v13
	v_subrev_nc_u32_e32 v13, 28, v133
	v_sub_nc_u32_e32 v133, 29, v133
	s_delay_alu instid0(VALU_DEP_2) | instskip(NEXT) | instid1(VALU_DEP_1)
	v_lshlrev_b64 v[13:14], v13, v[0:1]
	v_and_b32_e32 v13, 7, v13
; %bb.1260:                             ;   in Loop: Header=BB344_678 Depth=1
	s_or_b32 exec_lo, exec_lo, s16
	v_lshlrev_b32_e32 v0, 8, v132
	v_lshl_add_u32 v14, v133, 10, 0x2000
	s_delay_alu instid0(VALU_DEP_1) | instskip(NEXT) | instid1(VALU_DEP_1)
	v_and_or_b32 v0, 0x8000, v0, v14
	v_lshl_or_b32 v0, v13, 7, v0
	s_delay_alu instid0(VALU_DEP_1)
	v_cvt_f32_f16_e32 v13, v0
.LBB344_1261:                           ;   in Loop: Header=BB344_678 Depth=1
	s_or_b32 exec_lo, exec_lo, s15
.LBB344_1262:                           ;   in Loop: Header=BB344_678 Depth=1
	s_delay_alu instid0(SALU_CYCLE_1)
	s_or_b32 exec_lo, exec_lo, s13
.LBB344_1263:                           ;   in Loop: Header=BB344_678 Depth=1
	s_delay_alu instid0(SALU_CYCLE_1) | instskip(NEXT) | instid1(SALU_CYCLE_1)
	s_or_b32 exec_lo, exec_lo, s12
	s_mov_b32 s12, exec_lo
	v_cmpx_lt_u64_e64 s[8:9], v[11:12]
	s_cbranch_execz .LBB344_1271
; %bb.1264:                             ;   in Loop: Header=BB344_678 Depth=1
	v_lshrrev_b32_e32 v14, 24, v12
	v_bfrev_b32_e32 v131, 1
	s_mov_b32 s13, exec_lo
	s_delay_alu instid0(VALU_DEP_2)
	v_cmpx_ne_u32_e32 0x80, v14
	s_cbranch_execz .LBB344_1270
; %bb.1265:                             ;   in Loop: Header=BB344_678 Depth=1
	v_and_b32_e32 v11, 0x7f, v14
	v_mov_b32_e32 v131, 0x7fc02000
	s_mov_b32 s15, exec_lo
	s_delay_alu instid0(VALU_DEP_2)
	v_cmpx_ne_u32_e32 0x7f, v11
	s_cbranch_execz .LBB344_1269
; %bb.1266:                             ;   in Loop: Header=BB344_678 Depth=1
	v_and_b32_e32 v0, 7, v14
	v_lshrrev_b32_e32 v131, 3, v11
	v_cmp_gt_u32_e64 s0, 8, v11
	s_delay_alu instid0(VALU_DEP_3) | instskip(NEXT) | instid1(VALU_DEP_2)
	v_dual_mov_b32 v12, v1 :: v_dual_mov_b32 v11, v0
	s_and_saveexec_b32 s16, s0
; %bb.1267:                             ;   in Loop: Header=BB344_678 Depth=1
	v_clz_i32_u32_e32 v11, v0
	s_delay_alu instid0(VALU_DEP_1) | instskip(NEXT) | instid1(VALU_DEP_1)
	v_min_u32_e32 v131, 32, v11
	v_subrev_nc_u32_e32 v11, 28, v131
	v_sub_nc_u32_e32 v131, 29, v131
	s_delay_alu instid0(VALU_DEP_2) | instskip(NEXT) | instid1(VALU_DEP_1)
	v_lshlrev_b64 v[11:12], v11, v[0:1]
	v_and_b32_e32 v11, 7, v11
; %bb.1268:                             ;   in Loop: Header=BB344_678 Depth=1
	s_or_b32 exec_lo, exec_lo, s16
	v_lshlrev_b32_e32 v0, 8, v14
	v_lshl_add_u32 v12, v131, 10, 0x2000
	s_delay_alu instid0(VALU_DEP_1) | instskip(NEXT) | instid1(VALU_DEP_1)
	v_and_or_b32 v0, 0x8000, v0, v12
	v_lshl_or_b32 v0, v11, 7, v0
	s_delay_alu instid0(VALU_DEP_1)
	v_cvt_f32_f16_e64 v131, v0
.LBB344_1269:                           ;   in Loop: Header=BB344_678 Depth=1
	s_or_b32 exec_lo, exec_lo, s15
.LBB344_1270:                           ;   in Loop: Header=BB344_678 Depth=1
	s_delay_alu instid0(SALU_CYCLE_1)
	s_or_b32 exec_lo, exec_lo, s13
.LBB344_1271:                           ;   in Loop: Header=BB344_678 Depth=1
	s_delay_alu instid0(SALU_CYCLE_1)
	s_or_b32 exec_lo, exec_lo, s12
	s_waitcnt vmcnt(0) lgkmcnt(0)
	v_fma_mixlo_f16 v12, v116, v118, 0
	v_fma_mixlo_f16 v0, v116, v128, 0
	;; [unrolled: 1-line block ×5, first 2 shown]
	v_lshlrev_b32_e32 v14, 16, v12
	v_fma_mixlo_f16 v119, v116, v129, 0
	v_fma_mixlo_f16 v128, v116, v131, 0
	;; [unrolled: 1-line block ×3, first 2 shown]
	v_lshlrev_b32_e32 v0, 16, v0
	v_and_b32_e32 v11, 0xffff, v11
	v_and_b32_e32 v116, 0xffff, v117
	v_lshlrev_b32_e32 v117, 16, v118
	v_and_b32_e32 v118, 0xffff, v119
	v_lshlrev_b32_e32 v119, 16, v128
	v_and_b32_e32 v128, 0xffff, v12
	v_or_b32_e32 v13, v0, v11
	v_or_b32_e32 v14, v14, v116
	;; [unrolled: 1-line block ×3, first 2 shown]
	s_delay_alu instid0(VALU_DEP_4)
	v_or_b32_e32 v11, v119, v128
	s_and_saveexec_b32 s12, vcc_lo
	s_cbranch_execz .LBB344_1273
; %bb.1272:                             ;   in Loop: Header=BB344_678 Depth=1
	v_cmp_lt_i32_e64 s0, v19, v38
	v_lshrrev_b32_e32 v116, 16, v14
	v_lshrrev_b32_e32 v117, 16, v13
	;; [unrolled: 1-line block ×4, first 2 shown]
	v_cndmask_b32_e64 v14, 0, v14, s0
	v_cmp_lt_i32_e64 s0, v71, v55
	s_delay_alu instid0(VALU_DEP_1) | instskip(SKIP_1) | instid1(VALU_DEP_2)
	v_cndmask_b32_e64 v116, 0, v116, s0
	v_cmp_lt_i32_e64 s0, v70, v55
	v_perm_b32 v14, v116, v14, 0x5040100
	s_delay_alu instid0(VALU_DEP_2) | instskip(SKIP_1) | instid1(VALU_DEP_1)
	v_cndmask_b32_e64 v117, 0, v117, s0
	v_cmp_lt_i32_e64 s0, v69, v38
	v_cndmask_b32_e64 v13, 0, v13, s0
	v_cmp_lt_i32_e64 s0, v68, v55
	s_delay_alu instid0(VALU_DEP_2) | instskip(NEXT) | instid1(VALU_DEP_2)
	v_perm_b32 v13, v117, v13, 0x5040100
	v_cndmask_b32_e64 v118, 0, v118, s0
	v_cmp_lt_i32_e64 s0, v67, v38
	s_delay_alu instid0(VALU_DEP_1) | instskip(SKIP_1) | instid1(VALU_DEP_2)
	v_cndmask_b32_e64 v0, 0, v0, s0
	v_cmp_lt_i32_e64 s0, v66, v55
	v_perm_b32 v0, v118, v0, 0x5040100
	s_delay_alu instid0(VALU_DEP_2) | instskip(SKIP_1) | instid1(VALU_DEP_1)
	v_cndmask_b32_e64 v11, 0, v11, s0
	v_cmp_lt_i32_e64 s0, v64, v38
	v_cndmask_b32_e64 v12, 0, v12, s0
	s_delay_alu instid0(VALU_DEP_1)
	v_perm_b32 v11, v11, v12, 0x5040100
.LBB344_1273:                           ;   in Loop: Header=BB344_678 Depth=1
	s_or_b32 exec_lo, exec_lo, s12
	;;#ASMSTART
	v_pk_mul_f16 v12, v85, v14;

	;;#ASMEND
	;;#ASMSTART
	v_pk_mul_f16 v13, v84, v13;

	;;#ASMEND
	;;#ASMSTART
	v_pk_mul_f16 v0, v83, v0;

	;;#ASMEND
	;;#ASMSTART
	v_pk_mul_f16 v11, v82, v11;

	;;#ASMEND
	;;#ASMSTART
	v_pk_add_f16 v12, v12, v13;

	;;#ASMEND
	;;#ASMSTART
	v_pk_add_f16 v0, v12, v0;

	;;#ASMEND
	;; [unrolled: 4-line block ×3, first 2 shown]
	v_dual_mov_b32 v118, 0 :: v_dual_and_b32 v11, 0xffff, v0
	v_lshrrev_b32_e32 v0, 16, v0
	;;#ASMSTART
	v_cvt_f32_f16 v13, v11;
	;;#ASMEND
	;;#ASMSTART
	v_cvt_f32_f16 v14, v0;
	;;#ASMEND
	flat_load_b64 v[9:10], v[9:10] offset:2304
	flat_load_b32 v116, v[26:27]
	s_mov_b32 s12, exec_lo
	s_waitcnt vmcnt(1) lgkmcnt(1)
	v_dual_mov_b32 v117, 0 :: v_dual_and_b32 v0, 0xff, v9
	s_delay_alu instid0(VALU_DEP_1)
	v_cmpx_ne_u16_e32 0, v0
	s_cbranch_execz .LBB344_1281
; %bb.1274:                             ;   in Loop: Header=BB344_678 Depth=1
	v_bfrev_b32_e32 v117, 1
	s_mov_b32 s13, exec_lo
	v_cmpx_ne_u16_e32 0x80, v0
	s_cbranch_execz .LBB344_1280
; %bb.1275:                             ;   in Loop: Header=BB344_678 Depth=1
	v_and_b32_e32 v11, 0x7f, v9
	v_mov_b32_e32 v117, 0x7fc02000
	s_mov_b32 s15, exec_lo
	s_delay_alu instid0(VALU_DEP_2)
	v_cmpx_ne_u32_e32 0x7f, v11
	s_cbranch_execz .LBB344_1279
; %bb.1276:                             ;   in Loop: Header=BB344_678 Depth=1
	v_lshrrev_b32_e32 v0, 3, v11
	v_cmp_gt_u32_e64 s0, 8, v11
	v_dual_mov_b32 v12, v10 :: v_dual_mov_b32 v11, v9
	s_delay_alu instid0(VALU_DEP_2)
	s_and_saveexec_b32 s16, s0
; %bb.1277:                             ;   in Loop: Header=BB344_678 Depth=1
	v_and_b32_e32 v0, 7, v9
	s_delay_alu instid0(VALU_DEP_1) | instskip(NEXT) | instid1(VALU_DEP_1)
	v_clz_i32_u32_e32 v0, v0
	v_min_u32_e32 v0, 32, v0
	s_delay_alu instid0(VALU_DEP_1) | instskip(SKIP_1) | instid1(VALU_DEP_2)
	v_subrev_nc_u32_e32 v11, 28, v0
	v_sub_nc_u32_e32 v0, 29, v0
	v_lshlrev_b64 v[11:12], v11, v[9:10]
; %bb.1278:                             ;   in Loop: Header=BB344_678 Depth=1
	s_or_b32 exec_lo, exec_lo, s16
	v_lshlrev_b32_e32 v12, 8, v9
	s_delay_alu instid0(VALU_DEP_3) | instskip(NEXT) | instid1(VALU_DEP_3)
	v_lshl_add_u32 v0, v0, 10, 0x2000
	v_lshlrev_b32_e32 v11, 7, v11
	s_delay_alu instid0(VALU_DEP_2) | instskip(NEXT) | instid1(VALU_DEP_1)
	v_and_or_b32 v0, 0x8000, v12, v0
	v_and_or_b32 v0, 0x380, v11, v0
	s_delay_alu instid0(VALU_DEP_1)
	v_cvt_f32_f16_e32 v117, v0
.LBB344_1279:                           ;   in Loop: Header=BB344_678 Depth=1
	s_or_b32 exec_lo, exec_lo, s15
.LBB344_1280:                           ;   in Loop: Header=BB344_678 Depth=1
	s_delay_alu instid0(SALU_CYCLE_1)
	s_or_b32 exec_lo, exec_lo, s13
.LBB344_1281:                           ;   in Loop: Header=BB344_678 Depth=1
	s_delay_alu instid0(SALU_CYCLE_1) | instskip(SKIP_2) | instid1(VALU_DEP_1)
	s_or_b32 exec_lo, exec_lo, s12
	v_lshrrev_b16 v0, 8, v9
	s_mov_b32 s12, exec_lo
	v_cmpx_ne_u16_e32 0, v0
	s_cbranch_execz .LBB344_1289
; %bb.1282:                             ;   in Loop: Header=BB344_678 Depth=1
	v_bfrev_b32_e32 v118, 1
	s_mov_b32 s13, exec_lo
	v_cmpx_ne_u16_e32 0x80, v0
	s_cbranch_execz .LBB344_1288
; %bb.1283:                             ;   in Loop: Header=BB344_678 Depth=1
	v_and_b32_e32 v119, 0xffff, v0
	v_mov_b32_e32 v118, 0x7fc02000
	s_mov_b32 s15, exec_lo
	s_delay_alu instid0(VALU_DEP_2) | instskip(NEXT) | instid1(VALU_DEP_1)
	v_and_b32_e32 v11, 0x7f, v119
	v_cmpx_ne_u32_e32 0x7f, v11
	s_cbranch_execz .LBB344_1287
; %bb.1284:                             ;   in Loop: Header=BB344_678 Depth=1
	v_and_b32_e32 v0, 7, v119
	v_lshrrev_b32_e32 v118, 3, v11
	v_cmp_gt_u32_e64 s0, 8, v11
	s_delay_alu instid0(VALU_DEP_3) | instskip(NEXT) | instid1(VALU_DEP_2)
	v_dual_mov_b32 v12, v1 :: v_dual_mov_b32 v11, v0
	s_and_saveexec_b32 s16, s0
; %bb.1285:                             ;   in Loop: Header=BB344_678 Depth=1
	v_clz_i32_u32_e32 v11, v0
	s_delay_alu instid0(VALU_DEP_1) | instskip(NEXT) | instid1(VALU_DEP_1)
	v_min_u32_e32 v118, 32, v11
	v_subrev_nc_u32_e32 v11, 28, v118
	v_sub_nc_u32_e32 v118, 29, v118
	s_delay_alu instid0(VALU_DEP_2) | instskip(NEXT) | instid1(VALU_DEP_1)
	v_lshlrev_b64 v[11:12], v11, v[0:1]
	v_and_b32_e32 v11, 7, v11
; %bb.1286:                             ;   in Loop: Header=BB344_678 Depth=1
	s_or_b32 exec_lo, exec_lo, s16
	v_lshlrev_b32_e32 v0, 8, v119
	v_lshl_add_u32 v12, v118, 10, 0x2000
	s_delay_alu instid0(VALU_DEP_1) | instskip(NEXT) | instid1(VALU_DEP_1)
	v_and_or_b32 v0, 0x8000, v0, v12
	v_lshl_or_b32 v0, v11, 7, v0
	s_delay_alu instid0(VALU_DEP_1)
	v_cvt_f32_f16_e32 v118, v0
.LBB344_1287:                           ;   in Loop: Header=BB344_678 Depth=1
	s_or_b32 exec_lo, exec_lo, s15
.LBB344_1288:                           ;   in Loop: Header=BB344_678 Depth=1
	s_delay_alu instid0(SALU_CYCLE_1)
	s_or_b32 exec_lo, exec_lo, s13
.LBB344_1289:                           ;   in Loop: Header=BB344_678 Depth=1
	s_delay_alu instid0(SALU_CYCLE_1) | instskip(SKIP_3) | instid1(VALU_DEP_2)
	s_or_b32 exec_lo, exec_lo, s12
	v_lshrrev_b32_e32 v129, 16, v9
	v_mov_b32_e32 v128, 0
	s_mov_b32 s12, exec_lo
	v_dual_mov_b32 v119, 0 :: v_dual_and_b32 v0, 0xff, v129
	s_delay_alu instid0(VALU_DEP_1)
	v_cmpx_ne_u16_e32 0, v0
	s_cbranch_execz .LBB344_1297
; %bb.1290:                             ;   in Loop: Header=BB344_678 Depth=1
	v_bfrev_b32_e32 v119, 1
	s_mov_b32 s13, exec_lo
	v_cmpx_ne_u16_e32 0x80, v0
	s_cbranch_execz .LBB344_1296
; %bb.1291:                             ;   in Loop: Header=BB344_678 Depth=1
	v_bfe_u32 v11, v9, 16, 7
	v_mov_b32_e32 v119, 0x7fc02000
	s_mov_b32 s15, exec_lo
	s_delay_alu instid0(VALU_DEP_2)
	v_cmpx_ne_u32_e32 0x7f, v11
	s_cbranch_execz .LBB344_1295
; %bb.1292:                             ;   in Loop: Header=BB344_678 Depth=1
	v_and_b32_e32 v0, 7, v129
	v_lshrrev_b32_e32 v119, 3, v11
	v_cmp_gt_u32_e64 s0, 8, v11
	s_delay_alu instid0(VALU_DEP_3) | instskip(NEXT) | instid1(VALU_DEP_2)
	v_dual_mov_b32 v12, v1 :: v_dual_mov_b32 v11, v0
	s_and_saveexec_b32 s16, s0
; %bb.1293:                             ;   in Loop: Header=BB344_678 Depth=1
	v_clz_i32_u32_e32 v11, v0
	s_delay_alu instid0(VALU_DEP_1) | instskip(NEXT) | instid1(VALU_DEP_1)
	v_min_u32_e32 v119, 32, v11
	v_subrev_nc_u32_e32 v11, 28, v119
	v_sub_nc_u32_e32 v119, 29, v119
	s_delay_alu instid0(VALU_DEP_2) | instskip(NEXT) | instid1(VALU_DEP_1)
	v_lshlrev_b64 v[11:12], v11, v[0:1]
	v_and_b32_e32 v11, 7, v11
; %bb.1294:                             ;   in Loop: Header=BB344_678 Depth=1
	s_or_b32 exec_lo, exec_lo, s16
	v_lshlrev_b32_e32 v0, 8, v129
	v_lshl_add_u32 v12, v119, 10, 0x2000
	s_delay_alu instid0(VALU_DEP_1) | instskip(NEXT) | instid1(VALU_DEP_1)
	v_and_or_b32 v0, 0x8000, v0, v12
	v_lshl_or_b32 v0, v11, 7, v0
	s_delay_alu instid0(VALU_DEP_1)
	v_cvt_f32_f16_e32 v119, v0
.LBB344_1295:                           ;   in Loop: Header=BB344_678 Depth=1
	s_or_b32 exec_lo, exec_lo, s15
.LBB344_1296:                           ;   in Loop: Header=BB344_678 Depth=1
	s_delay_alu instid0(SALU_CYCLE_1)
	s_or_b32 exec_lo, exec_lo, s13
.LBB344_1297:                           ;   in Loop: Header=BB344_678 Depth=1
	s_delay_alu instid0(SALU_CYCLE_1) | instskip(NEXT) | instid1(SALU_CYCLE_1)
	s_or_b32 exec_lo, exec_lo, s12
	s_mov_b32 s12, exec_lo
	v_cmpx_lt_u32_e32 0xffffff, v9
	s_cbranch_execz .LBB344_1305
; %bb.1298:                             ;   in Loop: Header=BB344_678 Depth=1
	v_lshrrev_b32_e32 v129, 24, v9
	v_bfrev_b32_e32 v128, 1
	s_mov_b32 s13, exec_lo
	s_delay_alu instid0(VALU_DEP_2)
	v_cmpx_ne_u32_e32 0x80, v129
	s_cbranch_execz .LBB344_1304
; %bb.1299:                             ;   in Loop: Header=BB344_678 Depth=1
	v_and_b32_e32 v11, 0x7f, v129
	v_mov_b32_e32 v128, 0x7fc02000
	s_mov_b32 s15, exec_lo
	s_delay_alu instid0(VALU_DEP_2)
	v_cmpx_ne_u32_e32 0x7f, v11
	s_cbranch_execz .LBB344_1303
; %bb.1300:                             ;   in Loop: Header=BB344_678 Depth=1
	v_and_b32_e32 v0, 7, v129
	v_lshrrev_b32_e32 v128, 3, v11
	v_cmp_gt_u32_e64 s0, 8, v11
	s_delay_alu instid0(VALU_DEP_3) | instskip(NEXT) | instid1(VALU_DEP_2)
	v_dual_mov_b32 v12, v1 :: v_dual_mov_b32 v11, v0
	s_and_saveexec_b32 s16, s0
; %bb.1301:                             ;   in Loop: Header=BB344_678 Depth=1
	v_clz_i32_u32_e32 v11, v0
	s_delay_alu instid0(VALU_DEP_1) | instskip(NEXT) | instid1(VALU_DEP_1)
	v_min_u32_e32 v128, 32, v11
	v_subrev_nc_u32_e32 v11, 28, v128
	v_sub_nc_u32_e32 v128, 29, v128
	s_delay_alu instid0(VALU_DEP_2) | instskip(NEXT) | instid1(VALU_DEP_1)
	v_lshlrev_b64 v[11:12], v11, v[0:1]
	v_and_b32_e32 v11, 7, v11
; %bb.1302:                             ;   in Loop: Header=BB344_678 Depth=1
	s_or_b32 exec_lo, exec_lo, s16
	v_lshlrev_b32_e32 v0, 8, v129
	v_lshl_add_u32 v12, v128, 10, 0x2000
	s_delay_alu instid0(VALU_DEP_1) | instskip(NEXT) | instid1(VALU_DEP_1)
	v_and_or_b32 v0, 0x8000, v0, v12
	v_lshl_or_b32 v0, v11, 7, v0
	s_delay_alu instid0(VALU_DEP_1)
	v_cvt_f32_f16_e64 v128, v0
.LBB344_1303:                           ;   in Loop: Header=BB344_678 Depth=1
	s_or_b32 exec_lo, exec_lo, s15
.LBB344_1304:                           ;   in Loop: Header=BB344_678 Depth=1
	s_delay_alu instid0(SALU_CYCLE_1)
	s_or_b32 exec_lo, exec_lo, s13
.LBB344_1305:                           ;   in Loop: Header=BB344_678 Depth=1
	s_delay_alu instid0(SALU_CYCLE_1) | instskip(SKIP_3) | instid1(VALU_DEP_2)
	s_or_b32 exec_lo, exec_lo, s12
	v_dual_mov_b32 v0, v10 :: v_dual_and_b32 v11, 0xff, v10
	v_dual_mov_b32 v130, 0 :: v_dual_mov_b32 v129, 0
	s_mov_b32 s12, exec_lo
	v_cmpx_ne_u16_e32 0, v11
	s_cbranch_execz .LBB344_1313
; %bb.1306:                             ;   in Loop: Header=BB344_678 Depth=1
	v_bfrev_b32_e32 v129, 1
	s_mov_b32 s13, exec_lo
	v_cmpx_ne_u16_e32 0x80, v11
	s_cbranch_execz .LBB344_1312
; %bb.1307:                             ;   in Loop: Header=BB344_678 Depth=1
	v_and_b32_e32 v11, 0x7f, v10
	v_mov_b32_e32 v129, 0x7fc02000
	s_mov_b32 s15, exec_lo
	s_delay_alu instid0(VALU_DEP_2)
	v_cmpx_ne_u32_e32 0x7f, v11
	s_cbranch_execz .LBB344_1311
; %bb.1308:                             ;   in Loop: Header=BB344_678 Depth=1
	v_lshrrev_b32_e32 v129, 3, v11
	v_cmp_gt_u32_e64 s0, 8, v11
	v_dual_mov_b32 v12, v1 :: v_dual_mov_b32 v11, v0
	s_delay_alu instid0(VALU_DEP_2)
	s_and_saveexec_b32 s16, s0
; %bb.1309:                             ;   in Loop: Header=BB344_678 Depth=1
	v_and_b32_e32 v11, 7, v10
	s_delay_alu instid0(VALU_DEP_1) | instskip(NEXT) | instid1(VALU_DEP_1)
	v_clz_i32_u32_e32 v11, v11
	v_min_u32_e32 v129, 32, v11
	s_delay_alu instid0(VALU_DEP_1) | instskip(SKIP_1) | instid1(VALU_DEP_2)
	v_subrev_nc_u32_e32 v11, 28, v129
	v_sub_nc_u32_e32 v129, 29, v129
	v_lshlrev_b64 v[11:12], v11, v[0:1]
; %bb.1310:                             ;   in Loop: Header=BB344_678 Depth=1
	s_or_b32 exec_lo, exec_lo, s16
	v_lshlrev_b32_e32 v12, 8, v10
	s_delay_alu instid0(VALU_DEP_3) | instskip(NEXT) | instid1(VALU_DEP_3)
	v_lshl_add_u32 v129, v129, 10, 0x2000
	v_lshlrev_b32_e32 v11, 7, v11
	s_delay_alu instid0(VALU_DEP_2) | instskip(NEXT) | instid1(VALU_DEP_1)
	v_and_or_b32 v12, 0x8000, v12, v129
	v_and_or_b32 v11, 0x380, v11, v12
	s_delay_alu instid0(VALU_DEP_1)
	v_cvt_f32_f16_e64 v129, v11
.LBB344_1311:                           ;   in Loop: Header=BB344_678 Depth=1
	s_or_b32 exec_lo, exec_lo, s15
.LBB344_1312:                           ;   in Loop: Header=BB344_678 Depth=1
	s_delay_alu instid0(SALU_CYCLE_1)
	s_or_b32 exec_lo, exec_lo, s13
.LBB344_1313:                           ;   in Loop: Header=BB344_678 Depth=1
	s_delay_alu instid0(SALU_CYCLE_1) | instskip(SKIP_2) | instid1(VALU_DEP_1)
	s_or_b32 exec_lo, exec_lo, s12
	v_lshrrev_b16 v0, 8, v0
	s_mov_b32 s12, exec_lo
	v_cmpx_ne_u16_e32 0, v0
	s_cbranch_execz .LBB344_1321
; %bb.1314:                             ;   in Loop: Header=BB344_678 Depth=1
	v_bfrev_b32_e32 v130, 1
	s_mov_b32 s13, exec_lo
	v_cmpx_ne_u16_e32 0x80, v0
	s_cbranch_execz .LBB344_1320
; %bb.1315:                             ;   in Loop: Header=BB344_678 Depth=1
	v_and_b32_e32 v131, 0xffff, v0
	v_mov_b32_e32 v130, 0x7fc02000
	s_mov_b32 s15, exec_lo
	s_delay_alu instid0(VALU_DEP_2) | instskip(NEXT) | instid1(VALU_DEP_1)
	v_and_b32_e32 v11, 0x7f, v131
	v_cmpx_ne_u32_e32 0x7f, v11
	s_cbranch_execz .LBB344_1319
; %bb.1316:                             ;   in Loop: Header=BB344_678 Depth=1
	v_and_b32_e32 v0, 7, v131
	v_lshrrev_b32_e32 v130, 3, v11
	v_cmp_gt_u32_e64 s0, 8, v11
	s_delay_alu instid0(VALU_DEP_3) | instskip(NEXT) | instid1(VALU_DEP_2)
	v_dual_mov_b32 v12, v1 :: v_dual_mov_b32 v11, v0
	s_and_saveexec_b32 s16, s0
; %bb.1317:                             ;   in Loop: Header=BB344_678 Depth=1
	v_clz_i32_u32_e32 v11, v0
	s_delay_alu instid0(VALU_DEP_1) | instskip(NEXT) | instid1(VALU_DEP_1)
	v_min_u32_e32 v130, 32, v11
	v_subrev_nc_u32_e32 v11, 28, v130
	v_sub_nc_u32_e32 v130, 29, v130
	s_delay_alu instid0(VALU_DEP_2) | instskip(NEXT) | instid1(VALU_DEP_1)
	v_lshlrev_b64 v[11:12], v11, v[0:1]
	v_and_b32_e32 v11, 7, v11
; %bb.1318:                             ;   in Loop: Header=BB344_678 Depth=1
	s_or_b32 exec_lo, exec_lo, s16
	v_lshlrev_b32_e32 v0, 8, v131
	v_lshl_add_u32 v12, v130, 10, 0x2000
	s_delay_alu instid0(VALU_DEP_1) | instskip(NEXT) | instid1(VALU_DEP_1)
	v_and_or_b32 v0, 0x8000, v0, v12
	v_lshl_or_b32 v0, v11, 7, v0
	s_delay_alu instid0(VALU_DEP_1)
	v_cvt_f32_f16_e64 v130, v0
.LBB344_1319:                           ;   in Loop: Header=BB344_678 Depth=1
	s_or_b32 exec_lo, exec_lo, s15
.LBB344_1320:                           ;   in Loop: Header=BB344_678 Depth=1
	s_delay_alu instid0(SALU_CYCLE_1)
	s_or_b32 exec_lo, exec_lo, s13
.LBB344_1321:                           ;   in Loop: Header=BB344_678 Depth=1
	s_delay_alu instid0(SALU_CYCLE_1) | instskip(SKIP_3) | instid1(VALU_DEP_2)
	s_or_b32 exec_lo, exec_lo, s12
	v_lshrrev_b32_e32 v132, 16, v10
	v_mov_b32_e32 v11, 0
	s_mov_b32 s12, exec_lo
	v_dual_mov_b32 v131, 0 :: v_dual_and_b32 v0, 0xff, v132
	s_delay_alu instid0(VALU_DEP_1)
	v_cmpx_ne_u16_e32 0, v0
	s_cbranch_execz .LBB344_1329
; %bb.1322:                             ;   in Loop: Header=BB344_678 Depth=1
	v_bfrev_b32_e32 v11, 1
	s_mov_b32 s13, exec_lo
	v_cmpx_ne_u16_e32 0x80, v0
	s_cbranch_execz .LBB344_1328
; %bb.1323:                             ;   in Loop: Header=BB344_678 Depth=1
	v_bfe_u32 v12, v10, 16, 7
	v_mov_b32_e32 v11, 0x7fc02000
	s_mov_b32 s15, exec_lo
	s_delay_alu instid0(VALU_DEP_2)
	v_cmpx_ne_u32_e32 0x7f, v12
	s_cbranch_execz .LBB344_1327
; %bb.1324:                             ;   in Loop: Header=BB344_678 Depth=1
	v_and_b32_e32 v0, 7, v132
	v_lshrrev_b32_e32 v133, 3, v12
	v_cmp_gt_u32_e64 s0, 8, v12
	s_delay_alu instid0(VALU_DEP_3) | instskip(NEXT) | instid1(VALU_DEP_2)
	v_dual_mov_b32 v12, v1 :: v_dual_mov_b32 v11, v0
	s_and_saveexec_b32 s16, s0
; %bb.1325:                             ;   in Loop: Header=BB344_678 Depth=1
	v_clz_i32_u32_e32 v11, v0
	s_delay_alu instid0(VALU_DEP_1) | instskip(NEXT) | instid1(VALU_DEP_1)
	v_min_u32_e32 v133, 32, v11
	v_subrev_nc_u32_e32 v11, 28, v133
	v_sub_nc_u32_e32 v133, 29, v133
	s_delay_alu instid0(VALU_DEP_2) | instskip(NEXT) | instid1(VALU_DEP_1)
	v_lshlrev_b64 v[11:12], v11, v[0:1]
	v_and_b32_e32 v11, 7, v11
; %bb.1326:                             ;   in Loop: Header=BB344_678 Depth=1
	s_or_b32 exec_lo, exec_lo, s16
	v_lshlrev_b32_e32 v0, 8, v132
	v_lshl_add_u32 v12, v133, 10, 0x2000
	s_delay_alu instid0(VALU_DEP_1) | instskip(NEXT) | instid1(VALU_DEP_1)
	v_and_or_b32 v0, 0x8000, v0, v12
	v_lshl_or_b32 v0, v11, 7, v0
	s_delay_alu instid0(VALU_DEP_1)
	v_cvt_f32_f16_e32 v11, v0
.LBB344_1327:                           ;   in Loop: Header=BB344_678 Depth=1
	s_or_b32 exec_lo, exec_lo, s15
.LBB344_1328:                           ;   in Loop: Header=BB344_678 Depth=1
	s_delay_alu instid0(SALU_CYCLE_1)
	s_or_b32 exec_lo, exec_lo, s13
.LBB344_1329:                           ;   in Loop: Header=BB344_678 Depth=1
	s_delay_alu instid0(SALU_CYCLE_1) | instskip(NEXT) | instid1(SALU_CYCLE_1)
	s_or_b32 exec_lo, exec_lo, s12
	s_mov_b32 s12, exec_lo
	v_cmpx_lt_u64_e64 s[8:9], v[9:10]
	s_cbranch_execz .LBB344_1337
; %bb.1330:                             ;   in Loop: Header=BB344_678 Depth=1
	v_lshrrev_b32_e32 v12, 24, v10
	v_bfrev_b32_e32 v131, 1
	s_mov_b32 s13, exec_lo
	s_delay_alu instid0(VALU_DEP_2)
	v_cmpx_ne_u32_e32 0x80, v12
	s_cbranch_execz .LBB344_1336
; %bb.1331:                             ;   in Loop: Header=BB344_678 Depth=1
	v_and_b32_e32 v9, 0x7f, v12
	v_mov_b32_e32 v131, 0x7fc02000
	s_mov_b32 s15, exec_lo
	s_delay_alu instid0(VALU_DEP_2)
	v_cmpx_ne_u32_e32 0x7f, v9
	s_cbranch_execz .LBB344_1335
; %bb.1332:                             ;   in Loop: Header=BB344_678 Depth=1
	v_and_b32_e32 v0, 7, v12
	v_lshrrev_b32_e32 v131, 3, v9
	v_cmp_gt_u32_e64 s0, 8, v9
	s_delay_alu instid0(VALU_DEP_3) | instskip(NEXT) | instid1(VALU_DEP_2)
	v_dual_mov_b32 v10, v1 :: v_dual_mov_b32 v9, v0
	s_and_saveexec_b32 s16, s0
; %bb.1333:                             ;   in Loop: Header=BB344_678 Depth=1
	v_clz_i32_u32_e32 v9, v0
	s_delay_alu instid0(VALU_DEP_1) | instskip(NEXT) | instid1(VALU_DEP_1)
	v_min_u32_e32 v131, 32, v9
	v_subrev_nc_u32_e32 v9, 28, v131
	v_sub_nc_u32_e32 v131, 29, v131
	s_delay_alu instid0(VALU_DEP_2) | instskip(NEXT) | instid1(VALU_DEP_1)
	v_lshlrev_b64 v[9:10], v9, v[0:1]
	v_and_b32_e32 v9, 7, v9
; %bb.1334:                             ;   in Loop: Header=BB344_678 Depth=1
	s_or_b32 exec_lo, exec_lo, s16
	v_lshlrev_b32_e32 v0, 8, v12
	v_lshl_add_u32 v10, v131, 10, 0x2000
	s_delay_alu instid0(VALU_DEP_1) | instskip(NEXT) | instid1(VALU_DEP_1)
	v_and_or_b32 v0, 0x8000, v0, v10
	v_lshl_or_b32 v0, v9, 7, v0
	s_delay_alu instid0(VALU_DEP_1)
	v_cvt_f32_f16_e64 v131, v0
.LBB344_1335:                           ;   in Loop: Header=BB344_678 Depth=1
	s_or_b32 exec_lo, exec_lo, s15
.LBB344_1336:                           ;   in Loop: Header=BB344_678 Depth=1
	s_delay_alu instid0(SALU_CYCLE_1)
	s_or_b32 exec_lo, exec_lo, s13
.LBB344_1337:                           ;   in Loop: Header=BB344_678 Depth=1
	s_delay_alu instid0(SALU_CYCLE_1)
	s_or_b32 exec_lo, exec_lo, s12
	s_waitcnt vmcnt(0) lgkmcnt(0)
	v_fma_mixlo_f16 v10, v116, v118, 0
	v_fma_mixlo_f16 v0, v116, v128, 0
	;; [unrolled: 1-line block ×5, first 2 shown]
	v_lshlrev_b32_e32 v118, 16, v10
	v_fma_mixlo_f16 v10, v116, v117, 0
	v_fma_mixlo_f16 v117, v116, v130, 0
	;; [unrolled: 1-line block ×3, first 2 shown]
	v_lshlrev_b32_e32 v0, 16, v0
	v_and_b32_e32 v9, 0xffff, v9
	v_and_b32_e32 v11, 0xffff, v10
	v_lshlrev_b32_e32 v116, 16, v117
	v_and_b32_e32 v117, 0xffff, v119
	v_lshlrev_b32_e32 v119, 16, v128
	v_and_b32_e32 v128, 0xffff, v12
	v_or_b32_e32 v10, v0, v9
	v_or_b32_e32 v11, v118, v11
	;; [unrolled: 1-line block ×3, first 2 shown]
	s_delay_alu instid0(VALU_DEP_4)
	v_or_b32_e32 v9, v119, v128
	s_and_saveexec_b32 s0, vcc_lo
	s_cbranch_execz .LBB344_676
; %bb.1338:                             ;   in Loop: Header=BB344_678 Depth=1
	v_cmp_lt_i32_e32 vcc_lo, v19, v38
	v_lshrrev_b32_e32 v116, 16, v11
	v_lshrrev_b32_e32 v117, 16, v10
	;; [unrolled: 1-line block ×3, first 2 shown]
	v_cndmask_b32_e32 v11, 0, v11, vcc_lo
	v_cmp_lt_i32_e32 vcc_lo, v71, v55
	v_lshrrev_b32_e32 v71, 16, v0
	v_cndmask_b32_e32 v19, 0, v116, vcc_lo
	v_cmp_lt_i32_e32 vcc_lo, v70, v55
	v_cndmask_b32_e32 v70, 0, v117, vcc_lo
	v_cmp_lt_i32_e32 vcc_lo, v69, v38
	;; [unrolled: 2-line block ×3, first 2 shown]
	v_perm_b32 v11, v19, v11, 0x5040100
	s_delay_alu instid0(VALU_DEP_3)
	v_perm_b32 v10, v70, v10, 0x5040100
	v_cndmask_b32_e32 v68, 0, v71, vcc_lo
	v_cmp_lt_i32_e32 vcc_lo, v67, v38
	v_cndmask_b32_e32 v0, 0, v0, vcc_lo
	v_cmp_lt_i32_e32 vcc_lo, v66, v55
	;; [unrolled: 2-line block ×3, first 2 shown]
	s_delay_alu instid0(VALU_DEP_4) | instskip(SKIP_1) | instid1(VALU_DEP_1)
	v_perm_b32 v0, v68, v0, 0x5040100
	v_cndmask_b32_e32 v12, 0, v12, vcc_lo
	v_perm_b32 v9, v9, v12, 0x5040100
	s_branch .LBB344_676
.LBB344_1339:
	s_or_b32 exec_lo, exec_lo, s5
.LBB344_1340:
	s_delay_alu instid0(SALU_CYCLE_1)
	s_or_b32 exec_lo, exec_lo, s3
	ds_bpermute_b32 v0, v21, v65
	ds_bpermute_b32 v1, v21, v36
	;; [unrolled: 1-line block ×10, first 2 shown]
	s_waitcnt lgkmcnt(0)
	s_waitcnt_vscnt null, 0x0
	s_barrier
	buffer_gl0_inv
	s_load_b32 s0, s[6:7], 0x0
	v_lshrrev_b32_e32 v12, 2, v49
	v_dual_add_f32 v0, v65, v0 :: v_dual_add_f32 v1, v36, v1
	v_dual_add_f32 v2, v35, v2 :: v_dual_add_f32 v3, v34, v3
	;; [unrolled: 1-line block ×5, first 2 shown]
	ds_bpermute_b32 v7, v20, v0
	ds_bpermute_b32 v8, v20, v1
	;; [unrolled: 1-line block ×10, first 2 shown]
	s_waitcnt lgkmcnt(0)
	v_dual_add_f32 v11, v0, v7 :: v_dual_and_b32 v26, 0x3c3, v37
	v_dual_add_f32 v10, v1, v8 :: v_dual_add_f32 v9, v2, v9
	v_dual_add_f32 v8, v3, v18 :: v_dual_add_f32 v7, v6, v19
	;; [unrolled: 1-line block ×4, first 2 shown]
	v_add_f32_e32 v0, v17, v20
	v_mad_u32_u24 v13, 0x140, v48, s0
	v_lshlrev_b32_e32 v14, 2, v12
	s_mov_b32 s0, exec_lo
	v_cmpx_eq_u32_e32 64, v26
	s_cbranch_execz .LBB344_1342
; %bb.1341:
	s_delay_alu instid0(VALU_DEP_2)
	v_add3_u32 v15, v13, v14, 0xfffffd80
	ds_store_2addr_b32 v15, v11, v10 offset1:8
	ds_store_2addr_b32 v15, v9, v8 offset0:16 offset1:24
	ds_store_2addr_b32 v15, v7, v6 offset0:32 offset1:40
	;; [unrolled: 1-line block ×4, first 2 shown]
.LBB344_1342:
	s_or_b32 exec_lo, exec_lo, s0
	v_cmp_eq_u32_e32 vcc_lo, 0, v24
	s_mov_b32 s3, exec_lo
	s_waitcnt lgkmcnt(0)
	s_barrier
	buffer_gl0_inv
	v_cmpx_gt_u32_e32 64, v37
	s_cbranch_execz .LBB344_1355
; %bb.1343:
	s_and_saveexec_b32 s0, vcc_lo
	s_cbranch_execnz .LBB344_1373
; %bb.1344:
	s_or_b32 exec_lo, exec_lo, s0
	s_and_saveexec_b32 s0, vcc_lo
	s_cbranch_execnz .LBB344_1374
.LBB344_1345:
	s_or_b32 exec_lo, exec_lo, s0
	s_and_saveexec_b32 s0, vcc_lo
	s_cbranch_execnz .LBB344_1375
.LBB344_1346:
	s_or_b32 exec_lo, exec_lo, s0
	s_and_saveexec_b32 s0, vcc_lo
	s_cbranch_execnz .LBB344_1376
.LBB344_1347:
	s_or_b32 exec_lo, exec_lo, s0
	s_and_saveexec_b32 s0, vcc_lo
	s_cbranch_execnz .LBB344_1377
.LBB344_1348:
	s_or_b32 exec_lo, exec_lo, s0
	s_and_saveexec_b32 s0, vcc_lo
	s_cbranch_execnz .LBB344_1378
.LBB344_1349:
	s_or_b32 exec_lo, exec_lo, s0
	s_and_saveexec_b32 s0, vcc_lo
	s_cbranch_execnz .LBB344_1379
.LBB344_1350:
	s_or_b32 exec_lo, exec_lo, s0
	s_and_saveexec_b32 s0, vcc_lo
	s_cbranch_execnz .LBB344_1380
.LBB344_1351:
	s_or_b32 exec_lo, exec_lo, s0
	s_and_saveexec_b32 s0, vcc_lo
	s_cbranch_execnz .LBB344_1381
.LBB344_1352:
	s_or_b32 exec_lo, exec_lo, s0
	s_and_saveexec_b32 s0, vcc_lo
	s_cbranch_execz .LBB344_1354
.LBB344_1353:
	v_lshl_add_u32 v15, v12, 2, v13
	ds_load_b32 v15, v15 offset:288
	s_waitcnt lgkmcnt(0)
	v_add_f32_e32 v0, v15, v0
.LBB344_1354:
	s_or_b32 exec_lo, exec_lo, s0
.LBB344_1355:
	s_delay_alu instid0(SALU_CYCLE_1)
	s_or_b32 exec_lo, exec_lo, s3
	v_and_b32_e32 v15, 0x3e3, v37
	s_mov_b32 s3, exec_lo
	s_barrier
	buffer_gl0_inv
	v_cmpx_eq_u32_e32 32, v15
	s_cbranch_execz .LBB344_1357
; %bb.1356:
	v_add3_u32 v14, v13, v14, 0xfffffec0
	ds_store_2addr_b32 v14, v11, v10 offset1:8
	ds_store_2addr_b32 v14, v9, v8 offset0:16 offset1:24
	ds_store_2addr_b32 v14, v7, v6 offset0:32 offset1:40
	;; [unrolled: 1-line block ×4, first 2 shown]
.LBB344_1357:
	s_or_b32 exec_lo, exec_lo, s3
	s_delay_alu instid0(SALU_CYCLE_1)
	s_mov_b32 s3, exec_lo
	s_waitcnt lgkmcnt(0)
	s_barrier
	buffer_gl0_inv
	v_cmpx_gt_u32_e32 32, v37
	s_cbranch_execz .LBB344_1370
; %bb.1358:
	v_lshl_add_u32 v12, v12, 2, v13
	s_and_saveexec_b32 s0, vcc_lo
	s_cbranch_execnz .LBB344_1382
; %bb.1359:
	s_or_b32 exec_lo, exec_lo, s0
	s_and_saveexec_b32 s0, vcc_lo
	s_cbranch_execnz .LBB344_1383
.LBB344_1360:
	s_or_b32 exec_lo, exec_lo, s0
	s_and_saveexec_b32 s0, vcc_lo
	s_cbranch_execnz .LBB344_1384
.LBB344_1361:
	s_or_b32 exec_lo, exec_lo, s0
	s_and_saveexec_b32 s0, vcc_lo
	s_cbranch_execnz .LBB344_1385
.LBB344_1362:
	s_or_b32 exec_lo, exec_lo, s0
	s_and_saveexec_b32 s0, vcc_lo
	s_cbranch_execnz .LBB344_1386
.LBB344_1363:
	s_or_b32 exec_lo, exec_lo, s0
	s_and_saveexec_b32 s0, vcc_lo
	s_cbranch_execnz .LBB344_1387
.LBB344_1364:
	s_or_b32 exec_lo, exec_lo, s0
	s_and_saveexec_b32 s0, vcc_lo
	s_cbranch_execnz .LBB344_1388
.LBB344_1365:
	s_or_b32 exec_lo, exec_lo, s0
	s_and_saveexec_b32 s0, vcc_lo
	s_cbranch_execnz .LBB344_1389
.LBB344_1366:
	s_or_b32 exec_lo, exec_lo, s0
	s_and_saveexec_b32 s0, vcc_lo
	s_cbranch_execnz .LBB344_1390
.LBB344_1367:
	s_or_b32 exec_lo, exec_lo, s0
	s_and_saveexec_b32 s0, vcc_lo
	s_cbranch_execz .LBB344_1369
.LBB344_1368:
	ds_load_b32 v12, v12 offset:288
	s_waitcnt lgkmcnt(0)
	v_add_f32_e32 v0, v12, v0
.LBB344_1369:
	s_or_b32 exec_lo, exec_lo, s0
.LBB344_1370:
	s_delay_alu instid0(SALU_CYCLE_1)
	s_or_b32 exec_lo, exec_lo, s3
	v_cmp_eq_u32_e32 vcc_lo, 0, v15
	s_barrier
	buffer_gl0_inv
	s_and_b32 exec_lo, exec_lo, vcc_lo
	s_cbranch_execz .LBB344_1372
; %bb.1371:
	s_mul_i32 s0, s2, 0x50
	s_mul_i32 s2, s4, s1
	;; [unrolled: 1-line block ×3, first 2 shown]
	s_ashr_i32 s3, s2, 31
	s_ashr_i32 s5, s4, 31
	;; [unrolled: 1-line block ×3, first 2 shown]
	s_lshl_b64 s[2:3], s[2:3], 1
	s_lshl_b64 s[4:5], s[4:5], 1
	s_lshl_b64 s[0:1], s[0:1], 1
	s_add_u32 s2, s4, s2
	s_addc_u32 s3, s5, s3
	s_add_u32 s0, s2, s0
	s_addc_u32 s1, s3, s1
	v_lshrrev_b32_e32 v12, 1, v37
	v_add_co_u32 v4, vcc_lo, s0, v4
	v_add_co_ci_u32_e32 v5, vcc_lo, s1, v5, vcc_lo
	;;#ASMSTART
	v_cvt_f16_f32 v11, v11;

	;;#ASMEND
	s_delay_alu instid0(VALU_DEP_2) | instskip(NEXT) | instid1(VALU_DEP_2)
	v_add_co_u32 v4, vcc_lo, v4, v12
	v_add_co_ci_u32_e32 v5, vcc_lo, 0, v5, vcc_lo
	flat_store_b16 v[4:5], v11
	;;#ASMSTART
	v_cvt_f16_f32 v10, v10;

	;;#ASMEND
	flat_store_b16 v[4:5], v10 offset:16
	;;#ASMSTART
	v_cvt_f16_f32 v9, v9;

	;;#ASMEND
	flat_store_b16 v[4:5], v9 offset:32
	;; [unrolled: 5-line block ×9, first 2 shown]
.LBB344_1372:
	s_or_b32 exec_lo, exec_lo, s11
	s_clause 0x1f
	scratch_load_b32 v106, off, s32 offset:8
	scratch_load_b32 v105, off, s32 offset:12
	;; [unrolled: 1-line block ×32, first 2 shown]
	s_clause 0x2
	scratch_load_b32 v42, off, s32 offset:136
	scratch_load_b32 v41, off, s32 offset:140
	;; [unrolled: 1-line block ×3, first 2 shown]
	s_waitcnt vmcnt(0) lgkmcnt(0)
	s_setpc_b64 s[30:31]
.LBB344_1373:
	v_lshl_add_u32 v15, v12, 2, v13
	ds_load_b32 v15, v15
	s_waitcnt lgkmcnt(0)
	v_add_f32_e32 v11, v15, v11
	s_or_b32 exec_lo, exec_lo, s0
	s_and_saveexec_b32 s0, vcc_lo
	s_cbranch_execz .LBB344_1345
.LBB344_1374:
	v_lshl_add_u32 v15, v12, 2, v13
	ds_load_b32 v15, v15 offset:32
	s_waitcnt lgkmcnt(0)
	v_add_f32_e32 v10, v15, v10
	s_or_b32 exec_lo, exec_lo, s0
	s_and_saveexec_b32 s0, vcc_lo
	s_cbranch_execz .LBB344_1346
.LBB344_1375:
	v_lshl_add_u32 v15, v12, 2, v13
	ds_load_b32 v15, v15 offset:64
	s_waitcnt lgkmcnt(0)
	v_add_f32_e32 v9, v15, v9
	s_or_b32 exec_lo, exec_lo, s0
	s_and_saveexec_b32 s0, vcc_lo
	s_cbranch_execz .LBB344_1347
.LBB344_1376:
	v_lshl_add_u32 v15, v12, 2, v13
	ds_load_b32 v15, v15 offset:96
	s_waitcnt lgkmcnt(0)
	v_add_f32_e32 v8, v15, v8
	s_or_b32 exec_lo, exec_lo, s0
	s_and_saveexec_b32 s0, vcc_lo
	s_cbranch_execz .LBB344_1348
.LBB344_1377:
	v_lshl_add_u32 v15, v12, 2, v13
	ds_load_b32 v15, v15 offset:128
	s_waitcnt lgkmcnt(0)
	v_add_f32_e32 v7, v15, v7
	s_or_b32 exec_lo, exec_lo, s0
	s_and_saveexec_b32 s0, vcc_lo
	s_cbranch_execz .LBB344_1349
.LBB344_1378:
	v_lshl_add_u32 v15, v12, 2, v13
	ds_load_b32 v15, v15 offset:160
	s_waitcnt lgkmcnt(0)
	v_add_f32_e32 v6, v15, v6
	s_or_b32 exec_lo, exec_lo, s0
	s_and_saveexec_b32 s0, vcc_lo
	s_cbranch_execz .LBB344_1350
.LBB344_1379:
	v_lshl_add_u32 v15, v12, 2, v13
	ds_load_b32 v15, v15 offset:192
	s_waitcnt lgkmcnt(0)
	v_add_f32_e32 v3, v15, v3
	s_or_b32 exec_lo, exec_lo, s0
	s_and_saveexec_b32 s0, vcc_lo
	s_cbranch_execz .LBB344_1351
.LBB344_1380:
	v_lshl_add_u32 v15, v12, 2, v13
	ds_load_b32 v15, v15 offset:224
	s_waitcnt lgkmcnt(0)
	v_add_f32_e32 v2, v15, v2
	s_or_b32 exec_lo, exec_lo, s0
	s_and_saveexec_b32 s0, vcc_lo
	s_cbranch_execz .LBB344_1352
.LBB344_1381:
	v_lshl_add_u32 v15, v12, 2, v13
	ds_load_b32 v15, v15 offset:256
	s_waitcnt lgkmcnt(0)
	v_add_f32_e32 v1, v15, v1
	s_or_b32 exec_lo, exec_lo, s0
	s_and_saveexec_b32 s0, vcc_lo
	s_cbranch_execnz .LBB344_1353
	s_branch .LBB344_1354
.LBB344_1382:
	ds_load_b32 v13, v12
	s_waitcnt lgkmcnt(0)
	v_add_f32_e32 v11, v13, v11
	s_or_b32 exec_lo, exec_lo, s0
	s_and_saveexec_b32 s0, vcc_lo
	s_cbranch_execz .LBB344_1360
.LBB344_1383:
	ds_load_b32 v13, v12 offset:32
	s_waitcnt lgkmcnt(0)
	v_add_f32_e32 v10, v13, v10
	s_or_b32 exec_lo, exec_lo, s0
	s_and_saveexec_b32 s0, vcc_lo
	s_cbranch_execz .LBB344_1361
.LBB344_1384:
	ds_load_b32 v13, v12 offset:64
	s_waitcnt lgkmcnt(0)
	v_add_f32_e32 v9, v13, v9
	s_or_b32 exec_lo, exec_lo, s0
	s_and_saveexec_b32 s0, vcc_lo
	s_cbranch_execz .LBB344_1362
.LBB344_1385:
	ds_load_b32 v13, v12 offset:96
	s_waitcnt lgkmcnt(0)
	v_add_f32_e32 v8, v13, v8
	s_or_b32 exec_lo, exec_lo, s0
	s_and_saveexec_b32 s0, vcc_lo
	s_cbranch_execz .LBB344_1363
.LBB344_1386:
	ds_load_b32 v13, v12 offset:128
	s_waitcnt lgkmcnt(0)
	v_add_f32_e32 v7, v13, v7
	s_or_b32 exec_lo, exec_lo, s0
	s_and_saveexec_b32 s0, vcc_lo
	s_cbranch_execz .LBB344_1364
.LBB344_1387:
	ds_load_b32 v13, v12 offset:160
	s_waitcnt lgkmcnt(0)
	v_add_f32_e32 v6, v13, v6
	s_or_b32 exec_lo, exec_lo, s0
	s_and_saveexec_b32 s0, vcc_lo
	s_cbranch_execz .LBB344_1365
.LBB344_1388:
	ds_load_b32 v13, v12 offset:192
	s_waitcnt lgkmcnt(0)
	v_add_f32_e32 v3, v13, v3
	s_or_b32 exec_lo, exec_lo, s0
	s_and_saveexec_b32 s0, vcc_lo
	s_cbranch_execz .LBB344_1366
.LBB344_1389:
	ds_load_b32 v13, v12 offset:224
	s_waitcnt lgkmcnt(0)
	v_add_f32_e32 v2, v13, v2
	s_or_b32 exec_lo, exec_lo, s0
	s_and_saveexec_b32 s0, vcc_lo
	s_cbranch_execz .LBB344_1367
.LBB344_1390:
	ds_load_b32 v13, v12 offset:256
	s_waitcnt lgkmcnt(0)
	v_add_f32_e32 v1, v13, v1
	s_or_b32 exec_lo, exec_lo, s0
	s_and_saveexec_b32 s0, vcc_lo
	s_cbranch_execnz .LBB344_1368
	s_branch .LBB344_1369
.Lfunc_end344:
	.size	_ZN4vllm22paged_attention_kernelIthLi80ELi32ELi128ELNS_18Fp8KVCacheDataTypeE1ELb1ELi512EEEvPfS2_PT_PKS3_PKT0_S9_ifPKiSB_iPKfiiiSD_SD_iiiii, .Lfunc_end344-_ZN4vllm22paged_attention_kernelIthLi80ELi32ELi128ELNS_18Fp8KVCacheDataTypeE1ELb1ELi512EEEvPfS2_PT_PKS3_PKT0_S9_ifPKiSB_iPKfiiiSD_SD_iiiii
                                        ; -- End function
	.section	.AMDGPU.csdata,"",@progbits
; Function info:
; codeLenInByte = 53224
; NumSgprs: 35
; NumVgprs: 184
; ScratchSize: 152
; MemoryBound: 0
	.section	.text._ZN4vllm25paged_attention_v2_kernelIthLi80ELi32ELi128ELNS_18Fp8KVCacheDataTypeE1ELb1ELi512EEEvPfS2_PT_PKS3_PKT0_S9_ifPKiSB_iPKfiiiSD_SD_iiiii,"axG",@progbits,_ZN4vllm25paged_attention_v2_kernelIthLi80ELi32ELi128ELNS_18Fp8KVCacheDataTypeE1ELb1ELi512EEEvPfS2_PT_PKS3_PKT0_S9_ifPKiSB_iPKfiiiSD_SD_iiiii,comdat
	.protected	_ZN4vllm25paged_attention_v2_kernelIthLi80ELi32ELi128ELNS_18Fp8KVCacheDataTypeE1ELb1ELi512EEEvPfS2_PT_PKS3_PKT0_S9_ifPKiSB_iPKfiiiSD_SD_iiiii ; -- Begin function _ZN4vllm25paged_attention_v2_kernelIthLi80ELi32ELi128ELNS_18Fp8KVCacheDataTypeE1ELb1ELi512EEEvPfS2_PT_PKS3_PKT0_S9_ifPKiSB_iPKfiiiSD_SD_iiiii
	.globl	_ZN4vllm25paged_attention_v2_kernelIthLi80ELi32ELi128ELNS_18Fp8KVCacheDataTypeE1ELb1ELi512EEEvPfS2_PT_PKS3_PKT0_S9_ifPKiSB_iPKfiiiSD_SD_iiiii
	.p2align	8
	.type	_ZN4vllm25paged_attention_v2_kernelIthLi80ELi32ELi128ELNS_18Fp8KVCacheDataTypeE1ELb1ELi512EEEvPfS2_PT_PKS3_PKT0_S9_ifPKiSB_iPKfiiiSD_SD_iiiii,@function
_ZN4vllm25paged_attention_v2_kernelIthLi80ELi32ELi128ELNS_18Fp8KVCacheDataTypeE1ELb1ELi512EEEvPfS2_PT_PKS3_PKT0_S9_ifPKiSB_iPKfiiiSD_SD_iiiii: ; @_ZN4vllm25paged_attention_v2_kernelIthLi80ELi32ELi128ELNS_18Fp8KVCacheDataTypeE1ELb1ELi512EEEvPfS2_PT_PKS3_PKT0_S9_ifPKiSB_iPKfiiiSD_SD_iiiii
; %bb.0:
	s_mov_b32 s12, s13
	s_clause 0x7
	s_load_b128 s[4:7], s[0:1], 0x78
	s_load_b32 s8, s[0:1], 0x88
	s_load_b256 s[24:31], s[0:1], 0x0
	s_load_b256 s[36:43], s[0:1], 0x20
	s_load_b64 s[2:3], s[0:1], 0x40
	s_load_b64 s[10:11], s[0:1], 0x50
	s_load_b32 s13, s[0:1], 0x48
	s_load_b256 s[16:23], s[0:1], 0x58
	s_mov_b32 s32, 0
	v_mov_b32_e32 v31, v0
	s_waitcnt lgkmcnt(0)
	v_dual_mov_b32 v1, s7 :: v_dual_mov_b32 v2, s8
	v_dual_mov_b32 v0, s24 :: v_dual_mov_b32 v3, s27
	;; [unrolled: 1-line block ×3, first 2 shown]
	v_mov_b32_e32 v6, s30
	scratch_store_b64 off, v[1:2], s32
	v_dual_mov_b32 v1, s25 :: v_dual_mov_b32 v2, s26
	v_dual_mov_b32 v7, s31 :: v_dual_mov_b32 v8, s36
	;; [unrolled: 1-line block ×13, first 2 shown]
	s_add_u32 s8, s0, 0x90
	s_addc_u32 s9, s1, 0
	s_mov_b32 s13, s14
	s_mov_b32 s14, s15
	s_movk_i32 s15, 0x6e
	s_getpc_b64 s[0:1]
	s_add_u32 s0, s0, _ZN4vllm22paged_attention_kernelIthLi80ELi32ELi128ELNS_18Fp8KVCacheDataTypeE1ELb1ELi512EEEvPfS2_PT_PKS3_PKT0_S9_ifPKiSB_iPKfiiiSD_SD_iiiii@rel32@lo+4
	s_addc_u32 s1, s1, _ZN4vllm22paged_attention_kernelIthLi80ELi32ELi128ELNS_18Fp8KVCacheDataTypeE1ELb1ELi512EEEvPfS2_PT_PKS3_PKT0_S9_ifPKiSB_iPKfiiiSD_SD_iiiii@rel32@hi+12
	s_delay_alu instid0(SALU_CYCLE_1)
	s_swappc_b64 s[30:31], s[0:1]
	s_endpgm
	.section	.rodata,"a",@progbits
	.p2align	6, 0x0
	.amdhsa_kernel _ZN4vllm25paged_attention_v2_kernelIthLi80ELi32ELi128ELNS_18Fp8KVCacheDataTypeE1ELb1ELi512EEEvPfS2_PT_PKS3_PKT0_S9_ifPKiSB_iPKfiiiSD_SD_iiiii
		.amdhsa_group_segment_fixed_size 192
		.amdhsa_private_segment_fixed_size 152
		.amdhsa_kernarg_size 400
		.amdhsa_user_sgpr_count 13
		.amdhsa_user_sgpr_dispatch_ptr 0
		.amdhsa_user_sgpr_queue_ptr 0
		.amdhsa_user_sgpr_kernarg_segment_ptr 1
		.amdhsa_user_sgpr_dispatch_id 0
		.amdhsa_user_sgpr_private_segment_size 0
		.amdhsa_wavefront_size32 1
		.amdhsa_uses_dynamic_stack 0
		.amdhsa_enable_private_segment 1
		.amdhsa_system_sgpr_workgroup_id_x 1
		.amdhsa_system_sgpr_workgroup_id_y 1
		.amdhsa_system_sgpr_workgroup_id_z 1
		.amdhsa_system_sgpr_workgroup_info 0
		.amdhsa_system_vgpr_workitem_id 0
		.amdhsa_next_free_vgpr 184
		.amdhsa_next_free_sgpr 44
		.amdhsa_reserve_vcc 1
		.amdhsa_float_round_mode_32 0
		.amdhsa_float_round_mode_16_64 0
		.amdhsa_float_denorm_mode_32 3
		.amdhsa_float_denorm_mode_16_64 3
		.amdhsa_dx10_clamp 1
		.amdhsa_ieee_mode 1
		.amdhsa_fp16_overflow 0
		.amdhsa_workgroup_processor_mode 1
		.amdhsa_memory_ordered 1
		.amdhsa_forward_progress 0
		.amdhsa_shared_vgpr_count 0
		.amdhsa_exception_fp_ieee_invalid_op 0
		.amdhsa_exception_fp_denorm_src 0
		.amdhsa_exception_fp_ieee_div_zero 0
		.amdhsa_exception_fp_ieee_overflow 0
		.amdhsa_exception_fp_ieee_underflow 0
		.amdhsa_exception_fp_ieee_inexact 0
		.amdhsa_exception_int_div_zero 0
	.end_amdhsa_kernel
	.section	.text._ZN4vllm25paged_attention_v2_kernelIthLi80ELi32ELi128ELNS_18Fp8KVCacheDataTypeE1ELb1ELi512EEEvPfS2_PT_PKS3_PKT0_S9_ifPKiSB_iPKfiiiSD_SD_iiiii,"axG",@progbits,_ZN4vllm25paged_attention_v2_kernelIthLi80ELi32ELi128ELNS_18Fp8KVCacheDataTypeE1ELb1ELi512EEEvPfS2_PT_PKS3_PKT0_S9_ifPKiSB_iPKfiiiSD_SD_iiiii,comdat
.Lfunc_end345:
	.size	_ZN4vllm25paged_attention_v2_kernelIthLi80ELi32ELi128ELNS_18Fp8KVCacheDataTypeE1ELb1ELi512EEEvPfS2_PT_PKS3_PKT0_S9_ifPKiSB_iPKfiiiSD_SD_iiiii, .Lfunc_end345-_ZN4vllm25paged_attention_v2_kernelIthLi80ELi32ELi128ELNS_18Fp8KVCacheDataTypeE1ELb1ELi512EEEvPfS2_PT_PKS3_PKT0_S9_ifPKiSB_iPKfiiiSD_SD_iiiii
                                        ; -- End function
	.section	.AMDGPU.csdata,"",@progbits
; Kernel info:
; codeLenInByte = 280
; NumSgprs: 46
; NumVgprs: 184
; ScratchSize: 152
; MemoryBound: 0
; FloatMode: 240
; IeeeMode: 1
; LDSByteSize: 192 bytes/workgroup (compile time only)
; SGPRBlocks: 5
; VGPRBlocks: 22
; NumSGPRsForWavesPerEU: 46
; NumVGPRsForWavesPerEU: 184
; Occupancy: 8
; WaveLimiterHint : 1
; COMPUTE_PGM_RSRC2:SCRATCH_EN: 1
; COMPUTE_PGM_RSRC2:USER_SGPR: 13
; COMPUTE_PGM_RSRC2:TRAP_HANDLER: 0
; COMPUTE_PGM_RSRC2:TGID_X_EN: 1
; COMPUTE_PGM_RSRC2:TGID_Y_EN: 1
; COMPUTE_PGM_RSRC2:TGID_Z_EN: 1
; COMPUTE_PGM_RSRC2:TIDIG_COMP_CNT: 0
	.text
	.p2align	2                               ; -- Begin function _ZN4vllm22paged_attention_kernelIthLi96ELi32ELi128ELNS_18Fp8KVCacheDataTypeE1ELb1ELi512EEEvPfS2_PT_PKS3_PKT0_S9_ifPKiSB_iPKfiiiSD_SD_iiiii
	.type	_ZN4vllm22paged_attention_kernelIthLi96ELi32ELi128ELNS_18Fp8KVCacheDataTypeE1ELb1ELi512EEEvPfS2_PT_PKS3_PKT0_S9_ifPKiSB_iPKfiiiSD_SD_iiiii,@function
_ZN4vllm22paged_attention_kernelIthLi96ELi32ELi128ELNS_18Fp8KVCacheDataTypeE1ELb1ELi512EEEvPfS2_PT_PKS3_PKT0_S9_ifPKiSB_iPKfiiiSD_SD_iiiii: ; @_ZN4vllm22paged_attention_kernelIthLi96ELi32ELi128ELNS_18Fp8KVCacheDataTypeE1ELb1ELi512EEEvPfS2_PT_PKS3_PKT0_S9_ifPKiSB_iPKfiiiSD_SD_iiiii
; %bb.0:
	s_waitcnt vmcnt(0) expcnt(0) lgkmcnt(0)
	s_clause 0x1f
	scratch_store_b32 off, v40, s32 offset:216
	; meta instruction
	scratch_store_b32 off, v41, s32 offset:212
	; meta instruction
	;; [unrolled: 2-line block ×31, first 2 shown]
	scratch_store_b32 off, v95, s32 offset:92
	s_clause 0x14
	scratch_store_b32 off, v104, s32 offset:88
	; meta instruction
	scratch_store_b32 off, v105, s32 offset:84
	; meta instruction
	;; [unrolled: 2-line block ×20, first 2 shown]
	scratch_store_b32 off, v140, s32 offset:8
	s_mov_b32 s10, s13
	s_ashr_i32 s11, s13, 31
	s_lshl_b32 s3, s14, 9
	s_lshl_b64 s[0:1], s[10:11], 2
	s_mov_b32 s11, exec_lo
	v_add_co_u32 v16, vcc_lo, v16, s0
	v_add_co_ci_u32_e32 v17, vcc_lo, s1, v17, vcc_lo
	flat_load_b32 v38, v[16:17]
	s_clause 0x1
	scratch_load_b32 v32, off, s32 offset:4
	scratch_load_b32 v33, off, s32
	s_waitcnt vmcnt(2) lgkmcnt(0)
	v_cmpx_lt_i32_e64 s3, v38
	s_cbranch_execz .LBB346_1636
; %bb.1:
	v_sub_nc_u32_e32 v16, 0, v12
	s_clause 0x1
	s_load_b32 s0, s[8:9], 0x10
	s_load_b32 s1, s[8:9], 0x0
	s_mov_b32 s6, s15
	v_mov_b32_e32 v65, 0
	v_max_i32_e32 v16, v12, v16
	s_delay_alu instid0(VALU_DEP_1) | instskip(SKIP_1) | instid1(VALU_DEP_2)
	v_cvt_f32_u32_e32 v17, v16
	v_sub_nc_u32_e32 v34, 0, v16
	v_rcp_iflag_f32_e32 v17, v17
	s_waitcnt lgkmcnt(0)
	s_lshr_b32 s0, s0, 16
	s_delay_alu instid0(SALU_CYCLE_1) | instskip(SKIP_3) | instid1(SALU_CYCLE_1)
	s_cmp_lg_u32 s0, 0
	s_waitcnt_depctr 0xfff
	v_mul_f32_e32 v17, 0x4f7ffffe, v17
	s_cselect_b32 s0, -1, 0
	s_cmp_lg_u32 s0, 0
	s_delay_alu instid0(VALU_DEP_1) | instskip(SKIP_3) | instid1(VALU_DEP_1)
	v_cvt_u32_f32_e32 v17, v17
	s_addc_u32 s15, s1, 0
	s_mov_b32 s1, exec_lo
	s_abs_i32 s0, s15
	v_mul_lo_u32 v34, v34, v17
	s_delay_alu instid0(VALU_DEP_1) | instskip(NEXT) | instid1(VALU_DEP_1)
	v_mul_hi_u32 v34, v17, v34
	v_add_nc_u32_e32 v17, v17, v34
	s_delay_alu instid0(VALU_DEP_1) | instskip(NEXT) | instid1(VALU_DEP_1)
	v_mul_hi_u32 v17, s0, v17
	v_mul_lo_u32 v34, v17, v16
	v_add_nc_u32_e32 v35, 1, v17
	s_delay_alu instid0(VALU_DEP_2) | instskip(SKIP_1) | instid1(VALU_DEP_1)
	v_sub_nc_u32_e32 v34, s0, v34
	s_abs_i32 s0, s12
	v_sub_nc_u32_e32 v36, v34, v16
	v_cmp_ge_u32_e32 vcc_lo, v34, v16
	s_delay_alu instid0(VALU_DEP_2) | instskip(SKIP_1) | instid1(VALU_DEP_2)
	v_dual_cndmask_b32 v17, v17, v35 :: v_dual_cndmask_b32 v34, v34, v36
	v_xor_b32_e32 v35, s15, v12
	v_add_nc_u32_e32 v36, 1, v17
	s_delay_alu instid0(VALU_DEP_3) | instskip(NEXT) | instid1(VALU_DEP_3)
	v_cmp_ge_u32_e32 vcc_lo, v34, v16
	v_ashrrev_i32_e32 v35, 31, v35
	s_delay_alu instid0(VALU_DEP_3) | instskip(NEXT) | instid1(VALU_DEP_1)
	v_cndmask_b32_e32 v16, v17, v36, vcc_lo
	v_xor_b32_e32 v16, v16, v35
	s_delay_alu instid0(VALU_DEP_1) | instskip(NEXT) | instid1(VALU_DEP_1)
	v_sub_nc_u32_e32 v35, v16, v35
	v_sub_nc_u32_e32 v16, 0, v35
	s_delay_alu instid0(VALU_DEP_1) | instskip(NEXT) | instid1(VALU_DEP_1)
	v_max_i32_e32 v34, v35, v16
	v_cvt_f32_u32_e32 v16, v34
	v_sub_nc_u32_e32 v17, 0, v34
	s_delay_alu instid0(VALU_DEP_2) | instskip(SKIP_2) | instid1(VALU_DEP_1)
	v_rcp_iflag_f32_e32 v16, v16
	s_waitcnt_depctr 0xfff
	v_mul_f32_e32 v16, 0x4f7ffffe, v16
	v_cvt_u32_f32_e32 v16, v16
	s_delay_alu instid0(VALU_DEP_1) | instskip(NEXT) | instid1(VALU_DEP_1)
	v_mul_lo_u32 v17, v17, v16
	v_mul_hi_u32 v17, v16, v17
	s_delay_alu instid0(VALU_DEP_1) | instskip(NEXT) | instid1(VALU_DEP_1)
	v_add_nc_u32_e32 v36, v16, v17
	v_mad_u64_u32 v[16:17], null, s0, v36, 0
	v_cmpx_ne_u64_e32 0, v[19:20]
	s_cbranch_execz .LBB346_3
; %bb.2:
	s_ashr_i32 s13, s12, 31
	s_delay_alu instid0(SALU_CYCLE_1) | instskip(NEXT) | instid1(SALU_CYCLE_1)
	s_lshl_b64 s[4:5], s[12:13], 2
	v_add_co_u32 v19, vcc_lo, v19, s4
	v_add_co_ci_u32_e32 v20, vcc_lo, s5, v20, vcc_lo
	flat_load_b32 v65, v[19:20]
.LBB346_3:
	s_or_b32 exec_lo, exec_lo, s1
	v_and_b32_e32 v37, 0x3ff, v31
	v_ashrrev_i32_e32 v16, 31, v35
	s_ashr_i32 s1, s12, 31
	s_mul_i32 s4, s12, 0x60
	s_mov_b32 s2, exec_lo
	v_cmpx_gt_u32_e32 12, v37
	s_cbranch_execz .LBB346_5
; %bb.4:
	v_mul_lo_u32 v19, s10, v21
	s_ashr_i32 s5, s4, 31
	v_lshlrev_b32_e32 v21, 4, v37
	s_lshl_b64 s[16:17], s[4:5], 1
	s_delay_alu instid0(VALU_DEP_2) | instskip(NEXT) | instid1(VALU_DEP_1)
	v_ashrrev_i32_e32 v20, 31, v19
	v_lshlrev_b64 v[19:20], 1, v[19:20]
	s_delay_alu instid0(VALU_DEP_1) | instskip(NEXT) | instid1(VALU_DEP_2)
	v_add_co_u32 v6, vcc_lo, v6, v19
	v_add_co_ci_u32_e32 v7, vcc_lo, v7, v20, vcc_lo
	s_delay_alu instid0(VALU_DEP_2) | instskip(NEXT) | instid1(VALU_DEP_2)
	v_add_co_u32 v6, vcc_lo, v6, s16
	v_add_co_ci_u32_e32 v7, vcc_lo, s17, v7, vcc_lo
	s_delay_alu instid0(VALU_DEP_2) | instskip(NEXT) | instid1(VALU_DEP_2)
	v_add_co_u32 v6, vcc_lo, v6, v21
	v_add_co_ci_u32_e32 v7, vcc_lo, 0, v7, vcc_lo
	flat_load_b128 v[48:51], v[6:7]
	s_waitcnt vmcnt(0) lgkmcnt(0)
	ds_store_b128 v21, v[48:51]
.LBB346_5:
	s_or_b32 exec_lo, exec_lo, s2
	s_waitcnt vmcnt(0)
	v_sub_nc_u32_e32 v6, 0, v33
	v_mul_lo_u32 v7, v17, v34
	v_add_nc_u32_e32 v20, 1, v17
	v_xor_b32_e32 v35, s1, v16
	s_waitcnt lgkmcnt(0)
	s_waitcnt_vscnt null, 0x0
	v_max_i32_e32 v49, v33, v6
	s_barrier
	buffer_gl0_inv
	v_sub_nc_u32_e32 v19, s0, v7
	v_cvt_f32_u32_e32 v6, v49
	v_sub_nc_u32_e32 v7, 0, v49
	s_mov_b32 s0, exec_lo
	s_delay_alu instid0(VALU_DEP_3) | instskip(NEXT) | instid1(VALU_DEP_3)
	v_cmp_ge_u32_e32 vcc_lo, v19, v34
	v_rcp_iflag_f32_e32 v6, v6
	v_sub_nc_u32_e32 v21, v19, v34
	v_cndmask_b32_e32 v17, v17, v20, vcc_lo
	s_delay_alu instid0(VALU_DEP_2) | instskip(NEXT) | instid1(VALU_DEP_2)
	v_cndmask_b32_e32 v19, v19, v21, vcc_lo
	v_add_nc_u32_e32 v20, 1, v17
	s_waitcnt_depctr 0xfff
	v_mul_f32_e32 v6, 0x4f7ffffe, v6
	v_cmp_ge_u32_e32 vcc_lo, v19, v34
	s_delay_alu instid0(VALU_DEP_2) | instskip(SKIP_1) | instid1(VALU_DEP_2)
	v_cvt_u32_f32_e32 v6, v6
	v_cndmask_b32_e32 v16, v17, v20, vcc_lo
	v_mul_lo_u32 v31, v7, v6
	v_add_nc_u32_e32 v7, -1, v38
	s_delay_alu instid0(VALU_DEP_2) | instskip(NEXT) | instid1(VALU_DEP_2)
	v_mul_hi_u32 v21, v6, v31
	v_sub_nc_u32_e32 v31, 0, v7
	s_delay_alu instid0(VALU_DEP_1) | instskip(NEXT) | instid1(VALU_DEP_3)
	v_max_i32_e32 v19, v7, v31
	v_add_nc_u32_e32 v50, v6, v21
	v_xor_b32_e32 v6, v16, v35
	s_delay_alu instid0(VALU_DEP_2) | instskip(NEXT) | instid1(VALU_DEP_2)
	v_mad_u64_u32 v[16:17], null, v19, v50, 0
	v_sub_nc_u32_e32 v16, v6, v35
                                        ; implicit-def: $vgpr6
	v_cmpx_gt_i32_e32 0, v32
	s_xor_b32 s0, exec_lo, s0
; %bb.6:
	s_delay_alu instid0(VALU_DEP_2) | instskip(NEXT) | instid1(VALU_DEP_1)
	v_mad_u64_u32 v[20:21], null, v28, v12, v[16:17]
                                        ; implicit-def: $vgpr28
	v_mul_lo_u32 v6, v20, v32
                                        ; implicit-def: $vgpr32
	s_delay_alu instid0(VALU_DEP_1)
	v_sub_nc_u32_e32 v6, 1, v6
; %bb.7:
	s_or_saveexec_b32 s0, s0
	v_ashrrev_i32_e32 v12, 31, v7
	v_ashrrev_i32_e32 v51, 31, v33
	s_xor_b32 exec_lo, exec_lo, s0
; %bb.8:
	v_mad_u64_u32 v[20:21], null, s15, v28, s[12:13]
	s_delay_alu instid0(VALU_DEP_1)
	v_mad_u64_u32 v[6:7], null, v20, v32, 1
; %bb.9:
	s_or_b32 exec_lo, exec_lo, s0
	v_mul_lo_u32 v7, v17, v49
	v_xor_b32_e32 v21, v12, v51
	s_clause 0x1
	s_load_b32 s18, s[8:9], 0x14
	s_load_b32 s5, s[8:9], 0x8
	v_mul_lo_u32 v18, s10, v18
	v_lshrrev_b32_e32 v39, 5, v37
	s_lshl_b32 s13, s14, 4
	v_sub_nc_u32_e32 v55, 0, v30
	s_add_i32 s0, s13, 16
	v_sub_nc_u32_e32 v7, v19, v7
	v_add_nc_u32_e32 v19, 1, v17
	v_and_b32_e32 v48, 31, v37
	s_delay_alu instid0(VALU_DEP_3) | instskip(SKIP_2) | instid1(VALU_DEP_4)
	v_sub_nc_u32_e32 v28, v7, v49
	v_cmp_ge_u32_e32 vcc_lo, v7, v49
	v_add_nc_u32_e32 v20, 31, v38
	v_dual_cndmask_b32 v17, v17, v19 :: v_dual_lshlrev_b32 v66, 2, v48
	s_delay_alu instid0(VALU_DEP_2) | instskip(SKIP_1) | instid1(VALU_DEP_3)
	v_ashrrev_i32_e32 v12, 31, v20
	v_cndmask_b32_e32 v7, v7, v28, vcc_lo
	v_add_nc_u32_e32 v19, 1, v17
	s_delay_alu instid0(VALU_DEP_3) | instskip(NEXT) | instid1(VALU_DEP_3)
	v_lshrrev_b32_e32 v12, 27, v12
	v_cmp_ge_u32_e32 vcc_lo, v7, v49
	s_delay_alu instid0(VALU_DEP_2) | instskip(NEXT) | instid1(VALU_DEP_4)
	v_dual_mov_b32 v67, 0xff7fffff :: v_dual_add_nc_u32 v20, v20, v12
	v_cndmask_b32_e32 v7, v17, v19, vcc_lo
	v_mul_lo_u32 v12, v16, v23
	v_ashrrev_i32_e32 v19, 31, v18
	v_add_nc_u32_e32 v16, s13, v39
	v_ashrrev_i32_e32 v54, 5, v20
	v_xor_b32_e32 v7, v7, v21
	v_lshl_add_u32 v23, v39, 5, s3
	v_lshlrev_b64 v[18:19], 2, v[18:19]
	v_ashrrev_i32_e32 v17, 31, v16
	v_min_i32_e32 v52, s0, v54
	v_sub_nc_u32_e32 v7, v7, v21
	v_ashrrev_i32_e32 v64, 31, v12
	s_delay_alu instid0(VALU_DEP_3) | instskip(NEXT) | instid1(VALU_DEP_3)
	v_cmp_lt_i32_e64 s0, v16, v52
	v_sub_nc_u32_e32 v53, v7, v29
	s_delay_alu instid0(VALU_DEP_2)
	s_and_saveexec_b32 s19, s0
	s_cbranch_execz .LBB346_785
; %bb.10:
	v_max_i32_e32 v68, v30, v55
	s_ashr_i32 s7, s6, 31
	s_getpc_b64 s[16:17]
	s_add_u32 s16, s16, llvm.amdgcn.dynlds.offset.table@rel32@lo+4
	s_addc_u32 s17, s17, llvm.amdgcn.dynlds.offset.table@rel32@hi+12
	s_lshl_b64 s[20:21], s[6:7], 2
	v_add_co_u32 v20, vcc_lo, v8, v12
	v_cvt_f32_u32_e32 v7, v68
	v_sub_nc_u32_e32 v33, 0, v68
	s_add_u32 s16, s20, s16
	s_addc_u32 s17, s21, s17
	v_dual_mov_b32 v8, 0 :: v_dual_lshlrev_b32 v31, 4, v48
	v_rcp_iflag_f32_e32 v7, v7
	s_load_b32 s7, s[16:17], 0x0
	v_add_co_ci_u32_e32 v21, vcc_lo, v9, v64, vcc_lo
	v_lshlrev_b64 v[28:29], 2, v[16:17]
	v_add_co_u32 v20, s1, v20, v31
	s_delay_alu instid0(VALU_DEP_1) | instskip(SKIP_4) | instid1(VALU_DEP_1)
	v_add_co_ci_u32_e64 v21, s1, 0, v21, s1
	v_sub_nc_u32_e32 v32, v48, v38
	s_waitcnt_depctr 0xfff
	v_mul_f32_e32 v7, 0x4f7ffffe, v7
	v_add_co_u32 v28, s1, v18, v28
	v_add_co_ci_u32_e64 v29, s1, v19, v29, s1
	s_delay_alu instid0(VALU_DEP_3) | instskip(NEXT) | instid1(VALU_DEP_3)
	v_cvt_u32_f32_e32 v7, v7
	v_add_co_u32 v28, s1, v14, v28
	v_cmp_neq_f32_e32 vcc_lo, 0, v65
	v_lshl_add_u32 v9, v39, 5, s3
	s_delay_alu instid0(VALU_DEP_4)
	v_mul_lo_u32 v33, v33, v7
	v_lshl_or_b32 v69, v39, 7, v66
	v_dual_mov_b32 v70, 0xff7fffff :: v_dual_mov_b32 v67, 0xff7fffff
	v_add_nc_u32_e32 v71, 1, v32
	v_add_co_ci_u32_e64 v29, s1, v15, v29, s1
	s_mov_b32 s8, -1
	v_mul_hi_u32 v31, v7, v33
	s_mov_b32 s9, 0xffffff
	s_mov_b32 s20, 0
	s_delay_alu instid0(VALU_DEP_1)
	v_dual_mov_b32 v81, v16 :: v_dual_add_nc_u32 v80, v7, v31
	s_branch .LBB346_16
.LBB346_11:                             ;   in Loop: Header=BB346_16 Depth=1
	s_or_b32 exec_lo, exec_lo, s24
	v_lshlrev_b32_e32 v7, 8, v34
	v_lshl_add_u32 v32, v61, 10, 0x2000
	s_delay_alu instid0(VALU_DEP_1) | instskip(NEXT) | instid1(VALU_DEP_1)
	v_and_or_b32 v7, 0x8000, v7, v32
	v_lshl_or_b32 v7, v31, 7, v7
	s_delay_alu instid0(VALU_DEP_1)
	v_cvt_f32_f16_e32 v124, v7
.LBB346_12:                             ;   in Loop: Header=BB346_16 Depth=1
	s_or_b32 exec_lo, exec_lo, s23
.LBB346_13:                             ;   in Loop: Header=BB346_16 Depth=1
	s_delay_alu instid0(SALU_CYCLE_1)
	s_or_b32 exec_lo, exec_lo, s22
.LBB346_14:                             ;   in Loop: Header=BB346_16 Depth=1
	s_delay_alu instid0(SALU_CYCLE_1)
	s_or_b32 exec_lo, exec_lo, s21
	v_fma_mixlo_f16 v62, v82, v57, 0
	v_fma_mixlo_f16 v72, v82, v47, 0
	;; [unrolled: 1-line block ×60, first 2 shown]
	ds_load_b128 v[111:114], v8
	v_fma_mixlo_f16 v136, v82, v83, 0
	v_fma_mixlo_f16 v127, v82, v84, 0
	v_fma_mixlo_f16 v61, v82, v58, 0
	v_fma_mixlo_f16 v63, v82, v56, 0
	v_fma_mixlo_f16 v58, v82, v79, 0
	v_fma_mixlo_f16 v56, v82, v35, 0
	v_fma_mixlo_f16 v79, v82, v78, 0
	v_fma_mixlo_f16 v78, v82, v95, 0
	v_fma_mixlo_f16 v95, v82, v94, 0
	v_fma_mixlo_f16 v94, v82, v107, 0
	v_fma_mixlo_f16 v107, v82, v46, 0
	v_fma_mixlo_f16 v46, v82, v59, 0
	v_fma_mixlo_f16 v59, v82, v182, 0
	v_fma_mixlo_f16 v182, v82, v183, 0
	v_fma_mixlo_f16 v183, v82, v166, 0
	v_fma_mixlo_f16 v166, v82, v167, 0
	v_fma_mixlo_f16 v167, v82, v150, 0
	v_fma_mixlo_f16 v150, v82, v151, 0
	v_fma_mixlo_f16 v151, v82, v134, 0
	v_fma_mixlo_f16 v134, v82, v135, 0
	v_fma_mixlo_f16 v135, v82, v118, 0
	v_fma_mixlo_f16 v118, v82, v119, 0
	v_fma_mixlo_f16 v119, v82, v102, 0
	v_fma_mixlo_f16 v102, v82, v103, 0
	v_fma_mixlo_f16 v125, v82, v86, 0
	v_fma_mixlo_f16 v96, v82, v96, 0
	v_fma_mixlo_f16 v103, v82, v87, 0
	v_fma_mixlo_f16 v87, v82, v98, 0
	v_fma_mixlo_f16 v86, v82, v97, 0
	v_fma_mixlo_f16 v36, v82, v36, 0
	v_fma_mixlo_f16 v83, v82, v121, 0
	v_fma_mixlo_f16 v84, v82, v120, 0
	v_fma_mixlo_f16 v34, v82, v123, 0
	v_fma_mixlo_f16 v35, v82, v122, 0
	v_fma_mixlo_f16 v33, v82, v33, 0
	v_fma_mixlo_f16 v32, v82, v124, 0
	s_waitcnt lgkmcnt(0)
	v_lshrrev_b32_e32 v82, 16, v111
	v_and_b32_e32 v97, 0xffff, v111
	s_load_b32 s21, s[16:17], 0x0
	;;#ASMSTART
	v_cvt_f32_f16 v97, v97;
	;;#ASMEND
	;;#ASMSTART
	v_cvt_f32_f16 v98, v82;
	;;#ASMEND
	v_and_b32_e32 v82, 0xffff, v136
	;;#ASMSTART
	v_cvt_f32_f16 v120, v82;
	;;#ASMEND
	v_and_b32_e32 v82, 0xffff, v127
	;;#ASMSTART
	v_cvt_f32_f16 v121, v82;
	;;#ASMEND
	v_lshrrev_b32_e32 v82, 16, v112
	v_and_b32_e32 v112, 0xffff, v112
	;;#ASMSTART
	v_cvt_f32_f16 v122, v112;
	;;#ASMEND
	;;#ASMSTART
	v_cvt_f32_f16 v123, v82;
	;;#ASMEND
	v_and_b32_e32 v82, 0xffff, v126
	;;#ASMSTART
	v_cvt_f32_f16 v124, v82;
	;;#ASMEND
	v_and_b32_e32 v82, 0xffff, v125
	;;#ASMSTART
	v_cvt_f32_f16 v125, v82;
	;;#ASMEND
	v_lshrrev_b32_e32 v82, 16, v113
	v_and_b32_e32 v112, 0xffff, v113
	;; [unrolled: 16-line block ×3, first 2 shown]
	;;#ASMSTART
	v_cvt_f32_f16 v137, v96;
	;;#ASMEND
	;;#ASMSTART
	v_cvt_f32_f16 v138, v82;
	;;#ASMEND
	v_and_b32_e32 v82, 0xffff, v87
	;;#ASMSTART
	v_cvt_f32_f16 v139, v82;
	;;#ASMEND
	v_and_b32_e32 v82, 0xffff, v86
	;;#ASMSTART
	v_cvt_f32_f16 v140, v82;
	;;#ASMEND
	ds_load_b128 v[111:114], v8 offset:16
	v_and_b32_e32 v96, 0xffff, v129
	v_and_b32_e32 v102, 0xffff, v102
	;; [unrolled: 1-line block ×12, first 2 shown]
	s_waitcnt lgkmcnt(0)
	v_lshrrev_b32_e32 v82, 16, v111
	v_and_b32_e32 v86, 0xffff, v111
	;;#ASMSTART
	v_cvt_f32_f16 v86, v86;
	;;#ASMEND
	;;#ASMSTART
	v_cvt_f32_f16 v87, v82;
	;;#ASMEND
	v_and_b32_e32 v82, 0xffff, v130
	;;#ASMSTART
	v_cvt_f32_f16 v82, v82;
	;;#ASMEND
	s_delay_alu instid0(VALU_DEP_1)
	v_dual_mul_f32 v82, v86, v82 :: v_dual_add_nc_u32 v31, v48, v9
	v_add_nc_u32_e32 v7, v71, v9
	;;#ASMSTART
	v_cvt_f32_f16 v96, v96;
	;;#ASMEND
	v_mul_f32_e32 v86, v87, v96
	v_lshrrev_b32_e32 v87, 16, v112
	v_fmac_f32_e32 v82, v97, v120
	v_cvt_f32_i32_e32 v7, v7
	s_delay_alu instid0(VALU_DEP_4) | instskip(SKIP_2) | instid1(VALU_DEP_4)
	v_dual_fmac_f32 v86, v98, v121 :: v_dual_and_b32 v97, 0xffff, v128
	v_and_b32_e32 v98, 0xffff, v119
	v_cmp_lt_i32_e64 s1, v31, v38
	v_mul_f32_e32 v7, v65, v7
	v_and_b32_e32 v119, 0xffff, v145
	s_delay_alu instid0(VALU_DEP_2)
	v_dual_cndmask_b32 v7, 0, v7 :: v_dual_and_b32 v96, 0xffff, v112
	;;#ASMSTART
	v_cvt_f32_f16 v96, v96;
	;;#ASMEND
	;;#ASMSTART
	v_cvt_f32_f16 v87, v87;
	;;#ASMEND
	;; [unrolled: 3-line block ×4, first 2 shown]
	v_dual_mul_f32 v87, v87, v98 :: v_dual_and_b32 v98, 0xffff, v113
	v_mul_f32_e32 v96, v96, v97
	v_lshrrev_b32_e32 v97, 16, v113
	;;#ASMSTART
	v_cvt_f32_f16 v98, v98;
	;;#ASMEND
	;;#ASMSTART
	v_cvt_f32_f16 v97, v97;
	;;#ASMEND
	;; [unrolled: 3-line block ×3, first 2 shown]
	v_dual_mul_f32 v98, v98, v102 :: v_dual_and_b32 v101, 0xffff, v101
	v_and_b32_e32 v102, 0xffff, v114
	v_dual_fmac_f32 v96, v122, v124 :: v_dual_add_nc_u32 v31, s21, v69
	s_delay_alu instid0(VALU_DEP_3)
	v_fmac_f32_e32 v98, v126, v103
	;;#ASMSTART
	v_cvt_f32_f16 v101, v101;
	;;#ASMEND
	v_mul_f32_e32 v97, v97, v101
	v_lshrrev_b32_e32 v101, 16, v114
	;;#ASMSTART
	v_cvt_f32_f16 v102, v102;
	;;#ASMEND
	;;#ASMSTART
	v_cvt_f32_f16 v101, v101;
	;;#ASMEND
	;; [unrolled: 3-line block ×4, first 2 shown]
	ds_load_b128 v[111:114], v8 offset:32
	v_dual_mul_f32 v100, v102, v100 :: v_dual_and_b32 v103, 0xffff, v146
	v_mul_f32_e32 v99, v101, v99
	v_fmac_f32_e32 v87, v123, v125
	s_delay_alu instid0(VALU_DEP_3) | instskip(NEXT) | instid1(VALU_DEP_3)
	v_dual_fmac_f32 v97, v127, v136 :: v_dual_fmac_f32 v100, v137, v139
	v_fmac_f32_e32 v99, v138, v140
	s_waitcnt lgkmcnt(0)
	v_lshrrev_b32_e32 v101, 16, v111
	v_and_b32_e32 v102, 0xffff, v111
	;;#ASMSTART
	v_cvt_f32_f16 v102, v102;
	;;#ASMEND
	;;#ASMSTART
	v_cvt_f32_f16 v101, v101;
	;;#ASMEND
	;; [unrolled: 3-line block ×4, first 2 shown]
	v_dual_fmac_f32 v82, v102, v103 :: v_dual_and_b32 v103, 0xffff, v144
	v_fmac_f32_e32 v86, v101, v119
	v_lshrrev_b32_e32 v101, 16, v112
	v_and_b32_e32 v102, 0xffff, v112
	v_and_b32_e32 v112, 0xffff, v135
	;;#ASMSTART
	v_cvt_f32_f16 v102, v102;
	;;#ASMEND
	;;#ASMSTART
	v_cvt_f32_f16 v101, v101;
	;;#ASMEND
	;; [unrolled: 3-line block ×4, first 2 shown]
	v_dual_fmac_f32 v96, v102, v103 :: v_dual_fmac_f32 v87, v101, v112
	v_lshrrev_b32_e32 v101, 16, v113
	v_and_b32_e32 v102, 0xffff, v113
	v_and_b32_e32 v103, 0xffff, v118
	;; [unrolled: 1-line block ×3, first 2 shown]
	;;#ASMSTART
	v_cvt_f32_f16 v102, v102;
	;;#ASMEND
	;;#ASMSTART
	v_cvt_f32_f16 v101, v101;
	;;#ASMEND
	;; [unrolled: 3-line block ×4, first 2 shown]
	v_dual_fmac_f32 v98, v102, v103 :: v_dual_fmac_f32 v97, v101, v112
	v_lshrrev_b32_e32 v101, 16, v114
	v_and_b32_e32 v102, 0xffff, v114
	v_and_b32_e32 v103, 0xffff, v116
	;; [unrolled: 1-line block ×3, first 2 shown]
	;;#ASMSTART
	v_cvt_f32_f16 v102, v102;
	;;#ASMEND
	;;#ASMSTART
	v_cvt_f32_f16 v101, v101;
	;;#ASMEND
	;; [unrolled: 3-line block ×4, first 2 shown]
	v_fmac_f32_e32 v99, v101, v112
	ds_load_b128 v[112:115], v8 offset:48
	v_dual_fmac_f32 v100, v102, v103 :: v_dual_and_b32 v103, 0xffff, v162
	s_waitcnt lgkmcnt(0)
	v_lshrrev_b32_e32 v101, 16, v112
	v_and_b32_e32 v102, 0xffff, v112
	v_and_b32_e32 v112, 0xffff, v161
	;;#ASMSTART
	v_cvt_f32_f16 v102, v102;
	;;#ASMEND
	;;#ASMSTART
	v_cvt_f32_f16 v101, v101;
	;;#ASMEND
	;; [unrolled: 3-line block ×4, first 2 shown]
	v_fmac_f32_e32 v82, v102, v103
	v_fmac_f32_e32 v86, v101, v112
	v_lshrrev_b32_e32 v101, 16, v113
	v_and_b32_e32 v102, 0xffff, v113
	v_and_b32_e32 v103, 0xffff, v160
	;; [unrolled: 1-line block ×3, first 2 shown]
	;;#ASMSTART
	v_cvt_f32_f16 v102, v102;
	;;#ASMEND
	;;#ASMSTART
	v_cvt_f32_f16 v101, v101;
	;;#ASMEND
	;;#ASMSTART
	v_cvt_f32_f16 v103, v103;
	;;#ASMEND
	;;#ASMSTART
	v_cvt_f32_f16 v112, v112;
	;;#ASMEND
	v_dual_fmac_f32 v96, v102, v103 :: v_dual_fmac_f32 v87, v101, v112
	v_lshrrev_b32_e32 v101, 16, v114
	v_and_b32_e32 v102, 0xffff, v114
	v_and_b32_e32 v103, 0xffff, v134
	v_and_b32_e32 v112, 0xffff, v133
	;;#ASMSTART
	v_cvt_f32_f16 v102, v102;
	;;#ASMEND
	;;#ASMSTART
	v_cvt_f32_f16 v101, v101;
	;;#ASMEND
	;; [unrolled: 3-line block ×4, first 2 shown]
	v_dual_fmac_f32 v98, v102, v103 :: v_dual_fmac_f32 v97, v101, v112
	v_lshrrev_b32_e32 v101, 16, v115
	v_and_b32_e32 v102, 0xffff, v115
	v_and_b32_e32 v103, 0xffff, v132
	;; [unrolled: 1-line block ×3, first 2 shown]
	;;#ASMSTART
	v_cvt_f32_f16 v102, v102;
	;;#ASMEND
	;;#ASMSTART
	v_cvt_f32_f16 v101, v101;
	;;#ASMEND
	;; [unrolled: 3-line block ×4, first 2 shown]
	v_fmac_f32_e32 v99, v101, v112
	ds_load_b128 v[112:115], v8 offset:64
	v_dual_fmac_f32 v100, v102, v103 :: v_dual_and_b32 v103, 0xffff, v178
	s_waitcnt lgkmcnt(0)
	v_lshrrev_b32_e32 v101, 16, v112
	v_and_b32_e32 v102, 0xffff, v112
	v_and_b32_e32 v112, 0xffff, v177
	;;#ASMSTART
	v_cvt_f32_f16 v102, v102;
	;;#ASMEND
	;;#ASMSTART
	v_cvt_f32_f16 v101, v101;
	;;#ASMEND
	;; [unrolled: 3-line block ×4, first 2 shown]
	v_fmac_f32_e32 v82, v102, v103
	v_fmac_f32_e32 v86, v101, v112
	v_lshrrev_b32_e32 v101, 16, v113
	v_and_b32_e32 v102, 0xffff, v113
	v_and_b32_e32 v103, 0xffff, v176
	;; [unrolled: 1-line block ×3, first 2 shown]
	;;#ASMSTART
	v_cvt_f32_f16 v102, v102;
	;;#ASMEND
	;;#ASMSTART
	v_cvt_f32_f16 v101, v101;
	;;#ASMEND
	;; [unrolled: 3-line block ×4, first 2 shown]
	v_dual_fmac_f32 v96, v102, v103 :: v_dual_fmac_f32 v87, v101, v112
	v_lshrrev_b32_e32 v101, 16, v114
	v_and_b32_e32 v102, 0xffff, v114
	v_and_b32_e32 v103, 0xffff, v150
	;; [unrolled: 1-line block ×3, first 2 shown]
	;;#ASMSTART
	v_cvt_f32_f16 v102, v102;
	;;#ASMEND
	;;#ASMSTART
	v_cvt_f32_f16 v101, v101;
	;;#ASMEND
	;; [unrolled: 3-line block ×4, first 2 shown]
	v_dual_fmac_f32 v98, v102, v103 :: v_dual_fmac_f32 v97, v101, v112
	v_lshrrev_b32_e32 v101, 16, v115
	v_and_b32_e32 v102, 0xffff, v115
	v_and_b32_e32 v103, 0xffff, v148
	;; [unrolled: 1-line block ×3, first 2 shown]
	;;#ASMSTART
	v_cvt_f32_f16 v102, v102;
	;;#ASMEND
	;;#ASMSTART
	v_cvt_f32_f16 v101, v101;
	;;#ASMEND
	;;#ASMSTART
	v_cvt_f32_f16 v103, v103;
	;;#ASMEND
	;;#ASMSTART
	v_cvt_f32_f16 v112, v112;
	;;#ASMEND
	v_fmac_f32_e32 v99, v101, v112
	ds_load_b128 v[112:115], v8 offset:80
	v_dual_fmac_f32 v100, v102, v103 :: v_dual_and_b32 v103, 0xffff, v42
	s_waitcnt lgkmcnt(0)
	v_lshrrev_b32_e32 v101, 16, v112
	v_and_b32_e32 v102, 0xffff, v112
	v_and_b32_e32 v112, 0xffff, v41
	;;#ASMSTART
	v_cvt_f32_f16 v102, v102;
	;;#ASMEND
	;;#ASMSTART
	v_cvt_f32_f16 v101, v101;
	;;#ASMEND
	;; [unrolled: 3-line block ×4, first 2 shown]
	v_fmac_f32_e32 v82, v102, v103
	v_fmac_f32_e32 v86, v101, v112
	v_lshrrev_b32_e32 v101, 16, v113
	v_and_b32_e32 v102, 0xffff, v113
	v_and_b32_e32 v103, 0xffff, v40
	;; [unrolled: 1-line block ×3, first 2 shown]
	;;#ASMSTART
	v_cvt_f32_f16 v102, v102;
	;;#ASMEND
	;;#ASMSTART
	v_cvt_f32_f16 v101, v101;
	;;#ASMEND
	;; [unrolled: 3-line block ×4, first 2 shown]
	v_dual_fmac_f32 v96, v102, v103 :: v_dual_fmac_f32 v87, v101, v112
	v_lshrrev_b32_e32 v101, 16, v114
	v_and_b32_e32 v102, 0xffff, v114
	v_and_b32_e32 v103, 0xffff, v166
	;; [unrolled: 1-line block ×3, first 2 shown]
	;;#ASMSTART
	v_cvt_f32_f16 v102, v102;
	;;#ASMEND
	;;#ASMSTART
	v_cvt_f32_f16 v101, v101;
	;;#ASMEND
	;; [unrolled: 3-line block ×4, first 2 shown]
	v_dual_fmac_f32 v98, v102, v103 :: v_dual_fmac_f32 v97, v101, v112
	v_lshrrev_b32_e32 v101, 16, v115
	v_and_b32_e32 v102, 0xffff, v115
	v_and_b32_e32 v103, 0xffff, v164
	;; [unrolled: 1-line block ×3, first 2 shown]
	;;#ASMSTART
	v_cvt_f32_f16 v102, v102;
	;;#ASMEND
	;;#ASMSTART
	v_cvt_f32_f16 v101, v101;
	;;#ASMEND
	;; [unrolled: 3-line block ×4, first 2 shown]
	v_fmac_f32_e32 v99, v101, v112
	ds_load_b128 v[112:115], v8 offset:96
	v_dual_fmac_f32 v100, v102, v103 :: v_dual_and_b32 v103, 0xffff, v76
	s_waitcnt lgkmcnt(0)
	v_lshrrev_b32_e32 v101, 16, v112
	v_and_b32_e32 v102, 0xffff, v112
	v_and_b32_e32 v112, 0xffff, v75
	;;#ASMSTART
	v_cvt_f32_f16 v102, v102;
	;;#ASMEND
	;;#ASMSTART
	v_cvt_f32_f16 v101, v101;
	;;#ASMEND
	;; [unrolled: 3-line block ×4, first 2 shown]
	v_fmac_f32_e32 v82, v102, v103
	v_fmac_f32_e32 v86, v101, v112
	v_lshrrev_b32_e32 v101, 16, v113
	v_and_b32_e32 v102, 0xffff, v113
	v_and_b32_e32 v103, 0xffff, v60
	;; [unrolled: 1-line block ×3, first 2 shown]
	;;#ASMSTART
	v_cvt_f32_f16 v102, v102;
	;;#ASMEND
	;;#ASMSTART
	v_cvt_f32_f16 v101, v101;
	;;#ASMEND
	;;#ASMSTART
	v_cvt_f32_f16 v103, v103;
	;;#ASMEND
	;;#ASMSTART
	v_cvt_f32_f16 v112, v112;
	;;#ASMEND
	v_dual_fmac_f32 v96, v102, v103 :: v_dual_fmac_f32 v87, v101, v112
	v_lshrrev_b32_e32 v101, 16, v114
	v_and_b32_e32 v102, 0xffff, v114
	v_and_b32_e32 v103, 0xffff, v182
	;; [unrolled: 1-line block ×3, first 2 shown]
	;;#ASMSTART
	v_cvt_f32_f16 v102, v102;
	;;#ASMEND
	;;#ASMSTART
	v_cvt_f32_f16 v101, v101;
	;;#ASMEND
	;; [unrolled: 3-line block ×4, first 2 shown]
	v_dual_fmac_f32 v98, v102, v103 :: v_dual_fmac_f32 v97, v101, v112
	v_lshrrev_b32_e32 v101, 16, v115
	v_and_b32_e32 v102, 0xffff, v115
	v_and_b32_e32 v103, 0xffff, v180
	;; [unrolled: 1-line block ×3, first 2 shown]
	;;#ASMSTART
	v_cvt_f32_f16 v102, v102;
	;;#ASMEND
	;;#ASMSTART
	v_cvt_f32_f16 v101, v101;
	;;#ASMEND
	;; [unrolled: 3-line block ×4, first 2 shown]
	v_fmac_f32_e32 v99, v101, v112
	ds_load_b128 v[112:115], v8 offset:112
	v_dual_fmac_f32 v100, v102, v103 :: v_dual_and_b32 v103, 0xffff, v110
	s_waitcnt lgkmcnt(0)
	v_lshrrev_b32_e32 v101, 16, v112
	v_and_b32_e32 v102, 0xffff, v112
	v_and_b32_e32 v112, 0xffff, v109
	;;#ASMSTART
	v_cvt_f32_f16 v102, v102;
	;;#ASMEND
	;;#ASMSTART
	v_cvt_f32_f16 v101, v101;
	;;#ASMEND
	;; [unrolled: 3-line block ×4, first 2 shown]
	v_fmac_f32_e32 v82, v102, v103
	v_fmac_f32_e32 v86, v101, v112
	v_lshrrev_b32_e32 v101, 16, v113
	v_and_b32_e32 v102, 0xffff, v113
	v_and_b32_e32 v103, 0xffff, v108
	;; [unrolled: 1-line block ×3, first 2 shown]
	;;#ASMSTART
	v_cvt_f32_f16 v102, v102;
	;;#ASMEND
	;;#ASMSTART
	v_cvt_f32_f16 v101, v101;
	;;#ASMEND
	;; [unrolled: 3-line block ×4, first 2 shown]
	v_dual_fmac_f32 v96, v102, v103 :: v_dual_fmac_f32 v87, v101, v112
	v_lshrrev_b32_e32 v101, 16, v114
	v_and_b32_e32 v102, 0xffff, v114
	v_and_b32_e32 v103, 0xffff, v46
	;; [unrolled: 1-line block ×3, first 2 shown]
	;;#ASMSTART
	v_cvt_f32_f16 v102, v102;
	;;#ASMEND
	;;#ASMSTART
	v_cvt_f32_f16 v101, v101;
	;;#ASMEND
	;; [unrolled: 3-line block ×4, first 2 shown]
	v_dual_fmac_f32 v98, v102, v103 :: v_dual_fmac_f32 v97, v101, v112
	v_lshrrev_b32_e32 v101, 16, v115
	v_and_b32_e32 v102, 0xffff, v115
	v_and_b32_e32 v103, 0xffff, v44
	;; [unrolled: 1-line block ×3, first 2 shown]
	;;#ASMSTART
	v_cvt_f32_f16 v102, v102;
	;;#ASMEND
	;;#ASMSTART
	v_cvt_f32_f16 v101, v101;
	;;#ASMEND
	;;#ASMSTART
	v_cvt_f32_f16 v103, v103;
	;;#ASMEND
	;;#ASMSTART
	v_cvt_f32_f16 v112, v112;
	;;#ASMEND
	v_fmac_f32_e32 v99, v101, v112
	ds_load_b128 v[112:115], v8 offset:128
	v_dual_fmac_f32 v100, v102, v103 :: v_dual_and_b32 v103, 0xffff, v106
	s_waitcnt lgkmcnt(0)
	v_lshrrev_b32_e32 v101, 16, v112
	v_and_b32_e32 v102, 0xffff, v112
	v_and_b32_e32 v112, 0xffff, v105
	;;#ASMSTART
	v_cvt_f32_f16 v102, v102;
	;;#ASMEND
	;;#ASMSTART
	v_cvt_f32_f16 v101, v101;
	;;#ASMEND
	;; [unrolled: 3-line block ×4, first 2 shown]
	v_fmac_f32_e32 v82, v102, v103
	v_fmac_f32_e32 v86, v101, v112
	v_lshrrev_b32_e32 v101, 16, v113
	v_and_b32_e32 v102, 0xffff, v113
	v_and_b32_e32 v103, 0xffff, v104
	;; [unrolled: 1-line block ×3, first 2 shown]
	;;#ASMSTART
	v_cvt_f32_f16 v102, v102;
	;;#ASMEND
	;;#ASMSTART
	v_cvt_f32_f16 v101, v101;
	;;#ASMEND
	;; [unrolled: 3-line block ×4, first 2 shown]
	v_dual_fmac_f32 v96, v102, v103 :: v_dual_fmac_f32 v87, v101, v112
	v_lshrrev_b32_e32 v101, 16, v114
	v_and_b32_e32 v102, 0xffff, v114
	v_and_b32_e32 v103, 0xffff, v94
	;; [unrolled: 1-line block ×3, first 2 shown]
	;;#ASMSTART
	v_cvt_f32_f16 v102, v102;
	;;#ASMEND
	;;#ASMSTART
	v_cvt_f32_f16 v101, v101;
	;;#ASMEND
	;; [unrolled: 3-line block ×4, first 2 shown]
	v_dual_fmac_f32 v98, v102, v103 :: v_dual_fmac_f32 v97, v101, v112
	v_lshrrev_b32_e32 v101, 16, v115
	v_and_b32_e32 v102, 0xffff, v115
	v_and_b32_e32 v103, 0xffff, v92
	;; [unrolled: 1-line block ×3, first 2 shown]
	;;#ASMSTART
	v_cvt_f32_f16 v102, v102;
	;;#ASMEND
	;;#ASMSTART
	v_cvt_f32_f16 v101, v101;
	;;#ASMEND
	;; [unrolled: 3-line block ×4, first 2 shown]
	v_fmac_f32_e32 v99, v101, v112
	ds_load_b128 v[112:115], v8 offset:144
	v_dual_fmac_f32 v100, v102, v103 :: v_dual_and_b32 v103, 0xffff, v90
	s_waitcnt lgkmcnt(0)
	v_lshrrev_b32_e32 v101, 16, v112
	v_and_b32_e32 v102, 0xffff, v112
	v_and_b32_e32 v112, 0xffff, v89
	;;#ASMSTART
	v_cvt_f32_f16 v102, v102;
	;;#ASMEND
	;;#ASMSTART
	v_cvt_f32_f16 v101, v101;
	;;#ASMEND
	;;#ASMSTART
	v_cvt_f32_f16 v103, v103;
	;;#ASMEND
	;;#ASMSTART
	v_cvt_f32_f16 v112, v112;
	;;#ASMEND
	v_fmac_f32_e32 v82, v102, v103
	v_fmac_f32_e32 v86, v101, v112
	v_lshrrev_b32_e32 v101, 16, v113
	v_and_b32_e32 v102, 0xffff, v113
	v_and_b32_e32 v103, 0xffff, v88
	;; [unrolled: 1-line block ×3, first 2 shown]
	;;#ASMSTART
	v_cvt_f32_f16 v102, v102;
	;;#ASMEND
	;;#ASMSTART
	v_cvt_f32_f16 v101, v101;
	;;#ASMEND
	;; [unrolled: 3-line block ×4, first 2 shown]
	v_dual_fmac_f32 v96, v102, v103 :: v_dual_fmac_f32 v87, v101, v112
	v_lshrrev_b32_e32 v101, 16, v114
	v_and_b32_e32 v102, 0xffff, v114
	v_and_b32_e32 v103, 0xffff, v78
	;; [unrolled: 1-line block ×3, first 2 shown]
	;;#ASMSTART
	v_cvt_f32_f16 v102, v102;
	;;#ASMEND
	;;#ASMSTART
	v_cvt_f32_f16 v101, v101;
	;;#ASMEND
	;; [unrolled: 3-line block ×4, first 2 shown]
	v_dual_fmac_f32 v98, v102, v103 :: v_dual_fmac_f32 v97, v101, v112
	v_lshrrev_b32_e32 v101, 16, v115
	v_and_b32_e32 v102, 0xffff, v115
	v_and_b32_e32 v103, 0xffff, v74
	;; [unrolled: 1-line block ×3, first 2 shown]
	;;#ASMSTART
	v_cvt_f32_f16 v102, v102;
	;;#ASMEND
	;;#ASMSTART
	v_cvt_f32_f16 v101, v101;
	;;#ASMEND
	;; [unrolled: 3-line block ×4, first 2 shown]
	v_fmac_f32_e32 v99, v101, v112
	ds_load_b128 v[112:115], v8 offset:160
	v_dual_fmac_f32 v100, v102, v103 :: v_dual_and_b32 v103, 0xffff, v72
	s_waitcnt lgkmcnt(0)
	v_lshrrev_b32_e32 v101, 16, v112
	v_and_b32_e32 v102, 0xffff, v112
	v_and_b32_e32 v112, 0xffff, v63
	;;#ASMSTART
	v_cvt_f32_f16 v102, v102;
	;;#ASMEND
	;;#ASMSTART
	v_cvt_f32_f16 v101, v101;
	;;#ASMEND
	;; [unrolled: 3-line block ×4, first 2 shown]
	v_fmac_f32_e32 v82, v102, v103
	v_fmac_f32_e32 v86, v101, v112
	v_lshrrev_b32_e32 v101, 16, v113
	v_and_b32_e32 v102, 0xffff, v113
	v_and_b32_e32 v103, 0xffff, v62
	v_and_b32_e32 v112, 0xffff, v61
	;;#ASMSTART
	v_cvt_f32_f16 v102, v102;
	;;#ASMEND
	;;#ASMSTART
	v_cvt_f32_f16 v101, v101;
	;;#ASMEND
	;; [unrolled: 3-line block ×4, first 2 shown]
	v_dual_fmac_f32 v96, v102, v103 :: v_dual_fmac_f32 v87, v101, v112
	v_lshrrev_b32_e32 v101, 16, v114
	v_and_b32_e32 v102, 0xffff, v114
	v_and_b32_e32 v103, 0xffff, v58
	;; [unrolled: 1-line block ×3, first 2 shown]
	;;#ASMSTART
	v_cvt_f32_f16 v102, v102;
	;;#ASMEND
	;;#ASMSTART
	v_cvt_f32_f16 v101, v101;
	;;#ASMEND
	;;#ASMSTART
	v_cvt_f32_f16 v103, v103;
	;;#ASMEND
	;;#ASMSTART
	v_cvt_f32_f16 v112, v112;
	;;#ASMEND
	v_dual_fmac_f32 v98, v102, v103 :: v_dual_fmac_f32 v97, v101, v112
	v_lshrrev_b32_e32 v101, 16, v115
	v_and_b32_e32 v102, 0xffff, v115
	v_and_b32_e32 v103, 0xffff, v56
	;; [unrolled: 1-line block ×3, first 2 shown]
	;;#ASMSTART
	v_cvt_f32_f16 v102, v102;
	;;#ASMEND
	;;#ASMSTART
	v_cvt_f32_f16 v101, v101;
	;;#ASMEND
	;; [unrolled: 3-line block ×4, first 2 shown]
	v_fmac_f32_e32 v99, v101, v112
	ds_load_b128 v[112:115], v8 offset:176
	v_fmac_f32_e32 v100, v102, v103
	s_waitcnt lgkmcnt(0)
	v_lshrrev_b32_e32 v101, 16, v112
	v_and_b32_e32 v102, 0xffff, v112
	;;#ASMSTART
	v_cvt_f32_f16 v102, v102;
	;;#ASMEND
	;;#ASMSTART
	v_cvt_f32_f16 v101, v101;
	;;#ASMEND
	;; [unrolled: 3-line block ×4, first 2 shown]
	v_fmac_f32_e32 v82, v102, v85
	v_fmac_f32_e32 v86, v101, v84
	v_lshrrev_b32_e32 v84, 16, v113
	v_and_b32_e32 v85, 0xffff, v113
	;;#ASMSTART
	v_cvt_f32_f16 v85, v85;
	;;#ASMEND
	;;#ASMSTART
	v_cvt_f32_f16 v84, v84;
	;;#ASMEND
	;; [unrolled: 3-line block ×4, first 2 shown]
	v_dual_fmac_f32 v96, v85, v83 :: v_dual_fmac_f32 v87, v84, v36
	v_lshrrev_b32_e32 v36, 16, v114
	v_and_b32_e32 v83, 0xffff, v114
	;;#ASMSTART
	v_cvt_f32_f16 v83, v83;
	;;#ASMEND
	;;#ASMSTART
	v_cvt_f32_f16 v36, v36;
	;;#ASMEND
	;; [unrolled: 3-line block ×4, first 2 shown]
	v_fmac_f32_e32 v98, v83, v35
	v_and_b32_e32 v35, 0xffff, v115
	v_fmac_f32_e32 v97, v36, v34
	v_lshrrev_b32_e32 v34, 16, v115
	;;#ASMSTART
	v_cvt_f32_f16 v35, v35;
	;;#ASMEND
	;;#ASMSTART
	v_cvt_f32_f16 v34, v34;
	;;#ASMEND
	;;#ASMSTART
	v_cvt_f32_f16 v33, v33;
	;;#ASMEND
	;;#ASMSTART
	v_cvt_f32_f16 v32, v32;
	;;#ASMEND
	v_fmac_f32_e32 v99, v34, v32
	v_add_f32_e32 v32, v82, v86
	v_fmac_f32_e32 v100, v35, v33
	s_delay_alu instid0(VALU_DEP_2) | instskip(NEXT) | instid1(VALU_DEP_1)
	v_add_f32_e32 v32, v32, v96
	v_add_f32_e32 v32, v87, v32
	s_delay_alu instid0(VALU_DEP_1) | instskip(NEXT) | instid1(VALU_DEP_1)
	v_add_f32_e32 v32, v32, v98
	v_add_f32_e32 v32, v97, v32
	s_delay_alu instid0(VALU_DEP_1) | instskip(NEXT) | instid1(VALU_DEP_1)
	;; [unrolled: 3-line block ×3, first 2 shown]
	v_fmac_f32_e32 v7, v32, v13
	v_cndmask_b32_e64 v32, 0, v7, s1
	ds_store_b32 v31, v32
	v_max_f32_e32 v31, v67, v67
	s_delay_alu instid0(VALU_DEP_1) | instskip(NEXT) | instid1(VALU_DEP_1)
	v_max_f32_e32 v7, v31, v7
	v_cndmask_b32_e64 v67, v67, v7, s1
.LBB346_15:                             ;   in Loop: Header=BB346_16 Depth=1
	s_or_b32 exec_lo, exec_lo, s2
	v_add_nc_u32_e32 v81, 4, v81
	v_add_co_u32 v28, s2, v28, 16
	s_delay_alu instid0(VALU_DEP_1) | instskip(NEXT) | instid1(VALU_DEP_3)
	v_add_co_ci_u32_e64 v29, s2, 0, v29, s2
	v_cmp_ge_i32_e64 s1, v81, v52
	v_add_nc_u32_e32 v9, 0x80, v9
	v_add_nc_u32_e32 v69, 0x200, v69
	s_delay_alu instid0(VALU_DEP_3) | instskip(NEXT) | instid1(SALU_CYCLE_1)
	s_or_b32 s20, s1, s20
	s_and_not1_b32 exec_lo, exec_lo, s20
	s_cbranch_execz .LBB346_784
.LBB346_16:                             ; =>This Inner Loop Header: Depth=1
	v_sub_nc_u32_e32 v7, 0, v9
	s_delay_alu instid0(VALU_DEP_1) | instskip(NEXT) | instid1(VALU_DEP_1)
	v_max_i32_e32 v7, v9, v7
	v_mul_hi_u32 v31, v7, v50
	s_delay_alu instid0(VALU_DEP_1) | instskip(NEXT) | instid1(VALU_DEP_1)
	v_mul_lo_u32 v32, v31, v49
	v_sub_nc_u32_e32 v7, v7, v32
	v_add_nc_u32_e32 v32, 1, v31
	s_delay_alu instid0(VALU_DEP_2) | instskip(SKIP_1) | instid1(VALU_DEP_1)
	v_sub_nc_u32_e32 v33, v7, v49
	v_cmp_ge_u32_e64 s1, v7, v49
	v_cndmask_b32_e64 v31, v31, v32, s1
	s_delay_alu instid0(VALU_DEP_3) | instskip(SKIP_1) | instid1(VALU_DEP_3)
	v_cndmask_b32_e64 v7, v7, v33, s1
	v_ashrrev_i32_e32 v32, 31, v9
	v_add_nc_u32_e32 v33, 1, v31
	s_delay_alu instid0(VALU_DEP_3) | instskip(NEXT) | instid1(VALU_DEP_3)
	v_cmp_ge_u32_e64 s1, v7, v49
	v_xor_b32_e32 v32, v32, v51
	s_delay_alu instid0(VALU_DEP_2) | instskip(NEXT) | instid1(VALU_DEP_1)
	v_cndmask_b32_e64 v7, v31, v33, s1
	v_xor_b32_e32 v7, v7, v32
	s_delay_alu instid0(VALU_DEP_1) | instskip(NEXT) | instid1(VALU_DEP_1)
	v_sub_nc_u32_e32 v7, v7, v32
	v_add_nc_u32_e32 v31, v7, v6
	v_cmp_le_i32_e64 s2, v7, v53
	s_delay_alu instid0(VALU_DEP_2) | instskip(NEXT) | instid1(VALU_DEP_1)
	v_sub_nc_u32_e32 v32, 0, v31
	v_max_i32_e32 v32, v31, v32
	v_ashrrev_i32_e32 v31, 31, v31
	s_delay_alu instid0(VALU_DEP_2) | instskip(NEXT) | instid1(VALU_DEP_1)
	v_mul_hi_u32 v33, v32, v80
	v_mul_lo_u32 v33, v33, v68
	s_delay_alu instid0(VALU_DEP_1) | instskip(NEXT) | instid1(VALU_DEP_1)
	v_sub_nc_u32_e32 v32, v32, v33
	v_sub_nc_u32_e32 v33, v32, v68
	v_cmp_ge_u32_e64 s1, v32, v68
	s_delay_alu instid0(VALU_DEP_1) | instskip(NEXT) | instid1(VALU_DEP_1)
	v_cndmask_b32_e64 v32, v32, v33, s1
	v_sub_nc_u32_e32 v33, v32, v68
	v_cmp_ge_u32_e64 s1, v32, v68
	s_delay_alu instid0(VALU_DEP_1) | instskip(NEXT) | instid1(VALU_DEP_1)
	v_cndmask_b32_e64 v32, v32, v33, s1
	v_xor_b32_e32 v32, v32, v31
	s_delay_alu instid0(VALU_DEP_1) | instskip(NEXT) | instid1(VALU_DEP_1)
	v_sub_nc_u32_e32 v31, v32, v31
	v_cmp_ne_u32_e64 s1, 0, v31
	s_delay_alu instid0(VALU_DEP_1) | instskip(NEXT) | instid1(SALU_CYCLE_1)
	s_and_b32 s1, s1, s2
	s_and_saveexec_b32 s2, s1
	s_delay_alu instid0(SALU_CYCLE_1)
	s_xor_b32 s1, exec_lo, s2
	s_cbranch_execz .LBB346_18
; %bb.17:                               ;   in Loop: Header=BB346_16 Depth=1
	s_waitcnt lgkmcnt(0)
	v_add_nc_u32_e32 v7, s7, v69
	ds_store_b32 v7, v70
.LBB346_18:                             ;   in Loop: Header=BB346_16 Depth=1
	s_and_not1_saveexec_b32 s2, s1
	s_cbranch_execz .LBB346_15
; %bb.19:                               ;   in Loop: Header=BB346_16 Depth=1
	flat_load_b32 v7, v[28:29]
	v_mov_b32_e32 v83, 0
	s_mov_b32 s21, exec_lo
	v_mov_b32_e32 v84, 0
	s_waitcnt vmcnt(0) lgkmcnt(0)
	v_mad_i64_i32 v[31:32], null, v7, v22, v[20:21]
	flat_load_b64 v[33:34], v[31:32]
	flat_load_b32 v82, v[24:25]
	s_waitcnt vmcnt(1) lgkmcnt(1)
	v_and_b32_e32 v7, 0xff, v33
	s_delay_alu instid0(VALU_DEP_1)
	v_cmpx_ne_u16_e32 0, v7
	s_cbranch_execz .LBB346_27
; %bb.20:                               ;   in Loop: Header=BB346_16 Depth=1
	v_bfrev_b32_e32 v83, 1
	s_mov_b32 s22, exec_lo
	v_cmpx_ne_u16_e32 0x80, v7
	s_cbranch_execz .LBB346_26
; %bb.21:                               ;   in Loop: Header=BB346_16 Depth=1
	v_and_b32_e32 v35, 0x7f, v33
	v_mov_b32_e32 v83, 0x7fc02000
	s_mov_b32 s23, exec_lo
	s_delay_alu instid0(VALU_DEP_2)
	v_cmpx_ne_u32_e32 0x7f, v35
	s_cbranch_execz .LBB346_25
; %bb.22:                               ;   in Loop: Header=BB346_16 Depth=1
	v_lshrrev_b32_e32 v7, 3, v35
	v_cmp_gt_u32_e64 s1, 8, v35
	v_dual_mov_b32 v36, v34 :: v_dual_mov_b32 v35, v33
	s_delay_alu instid0(VALU_DEP_2)
	s_and_saveexec_b32 s24, s1
; %bb.23:                               ;   in Loop: Header=BB346_16 Depth=1
	v_and_b32_e32 v7, 7, v33
	s_delay_alu instid0(VALU_DEP_1) | instskip(NEXT) | instid1(VALU_DEP_1)
	v_clz_i32_u32_e32 v7, v7
	v_min_u32_e32 v7, 32, v7
	s_delay_alu instid0(VALU_DEP_1) | instskip(SKIP_1) | instid1(VALU_DEP_2)
	v_subrev_nc_u32_e32 v35, 28, v7
	v_sub_nc_u32_e32 v7, 29, v7
	v_lshlrev_b64 v[35:36], v35, v[33:34]
; %bb.24:                               ;   in Loop: Header=BB346_16 Depth=1
	s_or_b32 exec_lo, exec_lo, s24
	v_lshlrev_b32_e32 v36, 8, v33
	s_delay_alu instid0(VALU_DEP_3) | instskip(NEXT) | instid1(VALU_DEP_3)
	v_lshl_add_u32 v7, v7, 10, 0x2000
	v_lshlrev_b32_e32 v35, 7, v35
	s_delay_alu instid0(VALU_DEP_2) | instskip(NEXT) | instid1(VALU_DEP_1)
	v_and_or_b32 v7, 0x8000, v36, v7
	v_and_or_b32 v7, 0x380, v35, v7
	s_delay_alu instid0(VALU_DEP_1)
	v_cvt_f32_f16_e32 v83, v7
.LBB346_25:                             ;   in Loop: Header=BB346_16 Depth=1
	s_or_b32 exec_lo, exec_lo, s23
.LBB346_26:                             ;   in Loop: Header=BB346_16 Depth=1
	s_delay_alu instid0(SALU_CYCLE_1)
	s_or_b32 exec_lo, exec_lo, s22
.LBB346_27:                             ;   in Loop: Header=BB346_16 Depth=1
	s_delay_alu instid0(SALU_CYCLE_1) | instskip(SKIP_2) | instid1(VALU_DEP_1)
	s_or_b32 exec_lo, exec_lo, s21
	v_lshrrev_b16 v7, 8, v33
	s_mov_b32 s21, exec_lo
	v_cmpx_ne_u16_e32 0, v7
	s_cbranch_execz .LBB346_35
; %bb.28:                               ;   in Loop: Header=BB346_16 Depth=1
	v_bfrev_b32_e32 v84, 1
	s_mov_b32 s22, exec_lo
	v_cmpx_ne_u16_e32 0x80, v7
	s_cbranch_execz .LBB346_34
; %bb.29:                               ;   in Loop: Header=BB346_16 Depth=1
	v_and_b32_e32 v35, 0xffff, v7
	v_mov_b32_e32 v84, 0x7fc02000
	s_mov_b32 s23, exec_lo
	s_delay_alu instid0(VALU_DEP_2) | instskip(NEXT) | instid1(VALU_DEP_1)
	v_and_b32_e32 v85, 0x7f, v35
	v_cmpx_ne_u32_e32 0x7f, v85
	s_cbranch_execz .LBB346_33
; %bb.30:                               ;   in Loop: Header=BB346_16 Depth=1
	v_and_b32_e32 v7, 7, v35
	v_lshrrev_b32_e32 v36, 3, v85
	s_mov_b32 s24, exec_lo
	v_cmpx_gt_u32_e32 8, v85
; %bb.31:                               ;   in Loop: Header=BB346_16 Depth=1
	s_delay_alu instid0(VALU_DEP_3) | instskip(NEXT) | instid1(VALU_DEP_1)
	v_clz_i32_u32_e32 v36, v7
	v_min_u32_e32 v36, 32, v36
	s_delay_alu instid0(VALU_DEP_1) | instskip(SKIP_1) | instid1(VALU_DEP_2)
	v_subrev_nc_u32_e32 v84, 28, v36
	v_sub_nc_u32_e32 v36, 29, v36
	v_lshlrev_b64 v[84:85], v84, v[7:8]
	s_delay_alu instid0(VALU_DEP_1)
	v_and_b32_e32 v7, 7, v84
; %bb.32:                               ;   in Loop: Header=BB346_16 Depth=1
	s_or_b32 exec_lo, exec_lo, s24
	v_lshlrev_b32_e32 v35, 8, v35
	v_lshl_add_u32 v36, v36, 10, 0x2000
	s_delay_alu instid0(VALU_DEP_1) | instskip(NEXT) | instid1(VALU_DEP_1)
	v_and_or_b32 v35, 0x8000, v35, v36
	v_lshl_or_b32 v7, v7, 7, v35
	s_delay_alu instid0(VALU_DEP_1)
	v_cvt_f32_f16_e32 v84, v7
.LBB346_33:                             ;   in Loop: Header=BB346_16 Depth=1
	s_or_b32 exec_lo, exec_lo, s23
.LBB346_34:                             ;   in Loop: Header=BB346_16 Depth=1
	s_delay_alu instid0(SALU_CYCLE_1)
	s_or_b32 exec_lo, exec_lo, s22
.LBB346_35:                             ;   in Loop: Header=BB346_16 Depth=1
	s_delay_alu instid0(SALU_CYCLE_1) | instskip(SKIP_3) | instid1(VALU_DEP_2)
	s_or_b32 exec_lo, exec_lo, s21
	v_lshrrev_b32_e32 v35, 16, v33
	v_mov_b32_e32 v85, 0
	s_mov_b32 s21, exec_lo
	v_dual_mov_b32 v86, 0 :: v_dual_and_b32 v7, 0xff, v35
	s_delay_alu instid0(VALU_DEP_1)
	v_cmpx_ne_u16_e32 0, v7
	s_cbranch_execz .LBB346_43
; %bb.36:                               ;   in Loop: Header=BB346_16 Depth=1
	v_bfrev_b32_e32 v85, 1
	s_mov_b32 s22, exec_lo
	v_cmpx_ne_u16_e32 0x80, v7
	s_cbranch_execz .LBB346_42
; %bb.37:                               ;   in Loop: Header=BB346_16 Depth=1
	v_bfe_u32 v87, v33, 16, 7
	v_mov_b32_e32 v85, 0x7fc02000
	s_mov_b32 s23, exec_lo
	s_delay_alu instid0(VALU_DEP_2)
	v_cmpx_ne_u32_e32 0x7f, v87
	s_cbranch_execz .LBB346_41
; %bb.38:                               ;   in Loop: Header=BB346_16 Depth=1
	v_and_b32_e32 v7, 7, v35
	v_lshrrev_b32_e32 v36, 3, v87
	s_mov_b32 s24, exec_lo
	v_cmpx_gt_u32_e32 8, v87
; %bb.39:                               ;   in Loop: Header=BB346_16 Depth=1
	s_delay_alu instid0(VALU_DEP_3) | instskip(NEXT) | instid1(VALU_DEP_1)
	v_clz_i32_u32_e32 v36, v7
	v_min_u32_e32 v36, 32, v36
	s_delay_alu instid0(VALU_DEP_1) | instskip(SKIP_1) | instid1(VALU_DEP_2)
	v_subrev_nc_u32_e32 v85, 28, v36
	v_sub_nc_u32_e32 v36, 29, v36
	v_lshlrev_b64 v[96:97], v85, v[7:8]
	s_delay_alu instid0(VALU_DEP_1)
	v_and_b32_e32 v7, 7, v96
; %bb.40:                               ;   in Loop: Header=BB346_16 Depth=1
	s_or_b32 exec_lo, exec_lo, s24
	v_lshlrev_b32_e32 v35, 8, v35
	v_lshl_add_u32 v36, v36, 10, 0x2000
	s_delay_alu instid0(VALU_DEP_1) | instskip(NEXT) | instid1(VALU_DEP_1)
	v_and_or_b32 v35, 0x8000, v35, v36
	v_lshl_or_b32 v7, v7, 7, v35
	s_delay_alu instid0(VALU_DEP_1)
	v_cvt_f32_f16_e32 v85, v7
.LBB346_41:                             ;   in Loop: Header=BB346_16 Depth=1
	s_or_b32 exec_lo, exec_lo, s23
.LBB346_42:                             ;   in Loop: Header=BB346_16 Depth=1
	s_delay_alu instid0(SALU_CYCLE_1)
	s_or_b32 exec_lo, exec_lo, s22
.LBB346_43:                             ;   in Loop: Header=BB346_16 Depth=1
	s_delay_alu instid0(SALU_CYCLE_1) | instskip(NEXT) | instid1(SALU_CYCLE_1)
	s_or_b32 exec_lo, exec_lo, s21
	s_mov_b32 s21, exec_lo
	v_cmpx_lt_u32_e32 0xffffff, v33
	s_cbranch_execz .LBB346_51
; %bb.44:                               ;   in Loop: Header=BB346_16 Depth=1
	v_lshrrev_b32_e32 v35, 24, v33
	v_bfrev_b32_e32 v86, 1
	s_mov_b32 s22, exec_lo
	s_delay_alu instid0(VALU_DEP_2)
	v_cmpx_ne_u32_e32 0x80, v35
	s_cbranch_execz .LBB346_50
; %bb.45:                               ;   in Loop: Header=BB346_16 Depth=1
	v_and_b32_e32 v87, 0x7f, v35
	v_mov_b32_e32 v86, 0x7fc02000
	s_mov_b32 s23, exec_lo
	s_delay_alu instid0(VALU_DEP_2)
	v_cmpx_ne_u32_e32 0x7f, v87
	s_cbranch_execz .LBB346_49
; %bb.46:                               ;   in Loop: Header=BB346_16 Depth=1
	v_and_b32_e32 v7, 7, v35
	v_lshrrev_b32_e32 v36, 3, v87
	s_mov_b32 s24, exec_lo
	v_cmpx_gt_u32_e32 8, v87
; %bb.47:                               ;   in Loop: Header=BB346_16 Depth=1
	s_delay_alu instid0(VALU_DEP_3) | instskip(NEXT) | instid1(VALU_DEP_1)
	v_clz_i32_u32_e32 v36, v7
	v_min_u32_e32 v36, 32, v36
	s_delay_alu instid0(VALU_DEP_1) | instskip(SKIP_1) | instid1(VALU_DEP_2)
	v_subrev_nc_u32_e32 v86, 28, v36
	v_sub_nc_u32_e32 v36, 29, v36
	v_lshlrev_b64 v[86:87], v86, v[7:8]
	s_delay_alu instid0(VALU_DEP_1)
	v_and_b32_e32 v7, 7, v86
; %bb.48:                               ;   in Loop: Header=BB346_16 Depth=1
	s_or_b32 exec_lo, exec_lo, s24
	v_lshlrev_b32_e32 v35, 8, v35
	v_lshl_add_u32 v36, v36, 10, 0x2000
	s_delay_alu instid0(VALU_DEP_1) | instskip(NEXT) | instid1(VALU_DEP_1)
	v_and_or_b32 v35, 0x8000, v35, v36
	v_lshl_or_b32 v7, v7, 7, v35
	s_delay_alu instid0(VALU_DEP_1)
	v_cvt_f32_f16_e32 v86, v7
.LBB346_49:                             ;   in Loop: Header=BB346_16 Depth=1
	s_or_b32 exec_lo, exec_lo, s23
.LBB346_50:                             ;   in Loop: Header=BB346_16 Depth=1
	s_delay_alu instid0(SALU_CYCLE_1)
	s_or_b32 exec_lo, exec_lo, s22
.LBB346_51:                             ;   in Loop: Header=BB346_16 Depth=1
	s_delay_alu instid0(SALU_CYCLE_1) | instskip(SKIP_4) | instid1(VALU_DEP_3)
	s_or_b32 exec_lo, exec_lo, s21
	v_dual_mov_b32 v96, 0 :: v_dual_and_b32 v35, 0xff, v34
	v_mov_b32_e32 v7, v34
	v_mov_b32_e32 v87, 0
	s_mov_b32 s21, exec_lo
	v_cmpx_ne_u16_e32 0, v35
	s_cbranch_execz .LBB346_59
; %bb.52:                               ;   in Loop: Header=BB346_16 Depth=1
	v_bfrev_b32_e32 v87, 1
	s_mov_b32 s22, exec_lo
	v_cmpx_ne_u16_e32 0x80, v35
	s_cbranch_execz .LBB346_58
; %bb.53:                               ;   in Loop: Header=BB346_16 Depth=1
	v_and_b32_e32 v35, 0x7f, v34
	v_mov_b32_e32 v87, 0x7fc02000
	s_mov_b32 s23, exec_lo
	s_delay_alu instid0(VALU_DEP_2)
	v_cmpx_ne_u32_e32 0x7f, v35
	s_cbranch_execz .LBB346_57
; %bb.54:                               ;   in Loop: Header=BB346_16 Depth=1
	v_lshrrev_b32_e32 v87, 3, v35
	v_cmp_gt_u32_e64 s1, 8, v35
	v_dual_mov_b32 v36, v8 :: v_dual_mov_b32 v35, v7
	s_delay_alu instid0(VALU_DEP_2)
	s_and_saveexec_b32 s24, s1
; %bb.55:                               ;   in Loop: Header=BB346_16 Depth=1
	v_and_b32_e32 v35, 7, v34
	s_delay_alu instid0(VALU_DEP_1) | instskip(NEXT) | instid1(VALU_DEP_1)
	v_clz_i32_u32_e32 v35, v35
	v_min_u32_e32 v87, 32, v35
	s_delay_alu instid0(VALU_DEP_1) | instskip(SKIP_1) | instid1(VALU_DEP_2)
	v_subrev_nc_u32_e32 v35, 28, v87
	v_sub_nc_u32_e32 v87, 29, v87
	v_lshlrev_b64 v[35:36], v35, v[7:8]
; %bb.56:                               ;   in Loop: Header=BB346_16 Depth=1
	s_or_b32 exec_lo, exec_lo, s24
	v_lshlrev_b32_e32 v36, 8, v34
	s_delay_alu instid0(VALU_DEP_3) | instskip(NEXT) | instid1(VALU_DEP_3)
	v_lshl_add_u32 v87, v87, 10, 0x2000
	v_lshlrev_b32_e32 v35, 7, v35
	s_delay_alu instid0(VALU_DEP_2) | instskip(NEXT) | instid1(VALU_DEP_1)
	v_and_or_b32 v36, 0x8000, v36, v87
	v_and_or_b32 v35, 0x380, v35, v36
	s_delay_alu instid0(VALU_DEP_1)
	v_cvt_f32_f16_e32 v87, v35
.LBB346_57:                             ;   in Loop: Header=BB346_16 Depth=1
	s_or_b32 exec_lo, exec_lo, s23
.LBB346_58:                             ;   in Loop: Header=BB346_16 Depth=1
	s_delay_alu instid0(SALU_CYCLE_1)
	s_or_b32 exec_lo, exec_lo, s22
.LBB346_59:                             ;   in Loop: Header=BB346_16 Depth=1
	s_delay_alu instid0(SALU_CYCLE_1) | instskip(SKIP_2) | instid1(VALU_DEP_1)
	s_or_b32 exec_lo, exec_lo, s21
	v_lshrrev_b16 v7, 8, v7
	s_mov_b32 s21, exec_lo
	v_cmpx_ne_u16_e32 0, v7
	s_cbranch_execz .LBB346_67
; %bb.60:                               ;   in Loop: Header=BB346_16 Depth=1
	v_bfrev_b32_e32 v96, 1
	s_mov_b32 s22, exec_lo
	v_cmpx_ne_u16_e32 0x80, v7
	s_cbranch_execz .LBB346_66
; %bb.61:                               ;   in Loop: Header=BB346_16 Depth=1
	v_and_b32_e32 v35, 0xffff, v7
	v_mov_b32_e32 v96, 0x7fc02000
	s_mov_b32 s23, exec_lo
	s_delay_alu instid0(VALU_DEP_2) | instskip(NEXT) | instid1(VALU_DEP_1)
	v_and_b32_e32 v97, 0x7f, v35
	v_cmpx_ne_u32_e32 0x7f, v97
	s_cbranch_execz .LBB346_65
; %bb.62:                               ;   in Loop: Header=BB346_16 Depth=1
	v_and_b32_e32 v7, 7, v35
	v_lshrrev_b32_e32 v36, 3, v97
	s_mov_b32 s24, exec_lo
	v_cmpx_gt_u32_e32 8, v97
; %bb.63:                               ;   in Loop: Header=BB346_16 Depth=1
	s_delay_alu instid0(VALU_DEP_3) | instskip(NEXT) | instid1(VALU_DEP_1)
	v_clz_i32_u32_e32 v36, v7
	v_min_u32_e32 v36, 32, v36
	s_delay_alu instid0(VALU_DEP_1) | instskip(SKIP_1) | instid1(VALU_DEP_2)
	v_subrev_nc_u32_e32 v96, 28, v36
	v_sub_nc_u32_e32 v36, 29, v36
	v_lshlrev_b64 v[96:97], v96, v[7:8]
	s_delay_alu instid0(VALU_DEP_1)
	v_and_b32_e32 v7, 7, v96
; %bb.64:                               ;   in Loop: Header=BB346_16 Depth=1
	s_or_b32 exec_lo, exec_lo, s24
	v_lshlrev_b32_e32 v35, 8, v35
	v_lshl_add_u32 v36, v36, 10, 0x2000
	s_delay_alu instid0(VALU_DEP_1) | instskip(NEXT) | instid1(VALU_DEP_1)
	v_and_or_b32 v35, 0x8000, v35, v36
	v_lshl_or_b32 v7, v7, 7, v35
	s_delay_alu instid0(VALU_DEP_1)
	v_cvt_f32_f16_e32 v96, v7
.LBB346_65:                             ;   in Loop: Header=BB346_16 Depth=1
	s_or_b32 exec_lo, exec_lo, s23
.LBB346_66:                             ;   in Loop: Header=BB346_16 Depth=1
	s_delay_alu instid0(SALU_CYCLE_1)
	s_or_b32 exec_lo, exec_lo, s22
.LBB346_67:                             ;   in Loop: Header=BB346_16 Depth=1
	s_delay_alu instid0(SALU_CYCLE_1) | instskip(SKIP_3) | instid1(VALU_DEP_2)
	s_or_b32 exec_lo, exec_lo, s21
	v_lshrrev_b32_e32 v35, 16, v34
	v_mov_b32_e32 v97, 0
	s_mov_b32 s21, exec_lo
	v_dual_mov_b32 v98, 0 :: v_dual_and_b32 v7, 0xff, v35
	s_delay_alu instid0(VALU_DEP_1)
	v_cmpx_ne_u16_e32 0, v7
	s_cbranch_execz .LBB346_75
; %bb.68:                               ;   in Loop: Header=BB346_16 Depth=1
	v_bfrev_b32_e32 v98, 1
	s_mov_b32 s22, exec_lo
	v_cmpx_ne_u16_e32 0x80, v7
	s_cbranch_execz .LBB346_74
; %bb.69:                               ;   in Loop: Header=BB346_16 Depth=1
	v_bfe_u32 v99, v34, 16, 7
	v_mov_b32_e32 v98, 0x7fc02000
	s_mov_b32 s23, exec_lo
	s_delay_alu instid0(VALU_DEP_2)
	v_cmpx_ne_u32_e32 0x7f, v99
	s_cbranch_execz .LBB346_73
; %bb.70:                               ;   in Loop: Header=BB346_16 Depth=1
	v_and_b32_e32 v7, 7, v35
	v_lshrrev_b32_e32 v36, 3, v99
	s_mov_b32 s24, exec_lo
	v_cmpx_gt_u32_e32 8, v99
; %bb.71:                               ;   in Loop: Header=BB346_16 Depth=1
	s_delay_alu instid0(VALU_DEP_3) | instskip(NEXT) | instid1(VALU_DEP_1)
	v_clz_i32_u32_e32 v36, v7
	v_min_u32_e32 v36, 32, v36
	s_delay_alu instid0(VALU_DEP_1) | instskip(SKIP_1) | instid1(VALU_DEP_2)
	v_subrev_nc_u32_e32 v98, 28, v36
	v_sub_nc_u32_e32 v36, 29, v36
	v_lshlrev_b64 v[98:99], v98, v[7:8]
	s_delay_alu instid0(VALU_DEP_1)
	v_and_b32_e32 v7, 7, v98
; %bb.72:                               ;   in Loop: Header=BB346_16 Depth=1
	s_or_b32 exec_lo, exec_lo, s24
	v_lshlrev_b32_e32 v35, 8, v35
	v_lshl_add_u32 v36, v36, 10, 0x2000
	s_delay_alu instid0(VALU_DEP_1) | instskip(NEXT) | instid1(VALU_DEP_1)
	v_and_or_b32 v35, 0x8000, v35, v36
	v_lshl_or_b32 v7, v7, 7, v35
	s_delay_alu instid0(VALU_DEP_1)
	v_cvt_f32_f16_e32 v98, v7
.LBB346_73:                             ;   in Loop: Header=BB346_16 Depth=1
	s_or_b32 exec_lo, exec_lo, s23
.LBB346_74:                             ;   in Loop: Header=BB346_16 Depth=1
	s_delay_alu instid0(SALU_CYCLE_1)
	s_or_b32 exec_lo, exec_lo, s22
.LBB346_75:                             ;   in Loop: Header=BB346_16 Depth=1
	s_delay_alu instid0(SALU_CYCLE_1) | instskip(NEXT) | instid1(SALU_CYCLE_1)
	s_or_b32 exec_lo, exec_lo, s21
	s_mov_b32 s21, exec_lo
	v_cmpx_lt_u64_e64 s[8:9], v[33:34]
	s_cbranch_execz .LBB346_83
; %bb.76:                               ;   in Loop: Header=BB346_16 Depth=1
	v_lshrrev_b32_e32 v33, 24, v34
	v_bfrev_b32_e32 v97, 1
	s_mov_b32 s22, exec_lo
	s_delay_alu instid0(VALU_DEP_2)
	v_cmpx_ne_u32_e32 0x80, v33
	s_cbranch_execz .LBB346_82
; %bb.77:                               ;   in Loop: Header=BB346_16 Depth=1
	v_and_b32_e32 v35, 0x7f, v33
	v_mov_b32_e32 v97, 0x7fc02000
	s_mov_b32 s23, exec_lo
	s_delay_alu instid0(VALU_DEP_2)
	v_cmpx_ne_u32_e32 0x7f, v35
	s_cbranch_execz .LBB346_81
; %bb.78:                               ;   in Loop: Header=BB346_16 Depth=1
	v_and_b32_e32 v7, 7, v33
	v_lshrrev_b32_e32 v34, 3, v35
	s_mov_b32 s24, exec_lo
	v_cmpx_gt_u32_e32 8, v35
; %bb.79:                               ;   in Loop: Header=BB346_16 Depth=1
	s_delay_alu instid0(VALU_DEP_3) | instskip(NEXT) | instid1(VALU_DEP_1)
	v_clz_i32_u32_e32 v34, v7
	v_min_u32_e32 v34, 32, v34
	s_delay_alu instid0(VALU_DEP_1) | instskip(SKIP_1) | instid1(VALU_DEP_2)
	v_subrev_nc_u32_e32 v35, 28, v34
	v_sub_nc_u32_e32 v34, 29, v34
	v_lshlrev_b64 v[35:36], v35, v[7:8]
	s_delay_alu instid0(VALU_DEP_1)
	v_and_b32_e32 v7, 7, v35
; %bb.80:                               ;   in Loop: Header=BB346_16 Depth=1
	s_or_b32 exec_lo, exec_lo, s24
	v_lshlrev_b32_e32 v33, 8, v33
	v_lshl_add_u32 v34, v34, 10, 0x2000
	s_delay_alu instid0(VALU_DEP_1) | instskip(NEXT) | instid1(VALU_DEP_1)
	v_and_or_b32 v33, 0x8000, v33, v34
	v_lshl_or_b32 v7, v7, 7, v33
	s_delay_alu instid0(VALU_DEP_1)
	v_cvt_f32_f16_e32 v97, v7
.LBB346_81:                             ;   in Loop: Header=BB346_16 Depth=1
	s_or_b32 exec_lo, exec_lo, s23
.LBB346_82:                             ;   in Loop: Header=BB346_16 Depth=1
	s_delay_alu instid0(SALU_CYCLE_1)
	s_or_b32 exec_lo, exec_lo, s22
.LBB346_83:                             ;   in Loop: Header=BB346_16 Depth=1
	s_delay_alu instid0(SALU_CYCLE_1)
	s_or_b32 exec_lo, exec_lo, s21
	flat_load_b64 v[33:34], v[31:32] offset:8
	v_mov_b32_e32 v99, 0
	s_mov_b32 s21, exec_lo
	s_waitcnt vmcnt(0) lgkmcnt(0)
	v_dual_mov_b32 v100, 0 :: v_dual_and_b32 v7, 0xff, v33
	s_delay_alu instid0(VALU_DEP_1)
	v_cmpx_ne_u16_e32 0, v7
	s_cbranch_execz .LBB346_91
; %bb.84:                               ;   in Loop: Header=BB346_16 Depth=1
	v_bfrev_b32_e32 v99, 1
	s_mov_b32 s22, exec_lo
	v_cmpx_ne_u16_e32 0x80, v7
	s_cbranch_execz .LBB346_90
; %bb.85:                               ;   in Loop: Header=BB346_16 Depth=1
	v_and_b32_e32 v35, 0x7f, v33
	v_mov_b32_e32 v99, 0x7fc02000
	s_mov_b32 s23, exec_lo
	s_delay_alu instid0(VALU_DEP_2)
	v_cmpx_ne_u32_e32 0x7f, v35
	s_cbranch_execz .LBB346_89
; %bb.86:                               ;   in Loop: Header=BB346_16 Depth=1
	v_lshrrev_b32_e32 v7, 3, v35
	v_cmp_gt_u32_e64 s1, 8, v35
	v_dual_mov_b32 v36, v34 :: v_dual_mov_b32 v35, v33
	s_delay_alu instid0(VALU_DEP_2)
	s_and_saveexec_b32 s24, s1
; %bb.87:                               ;   in Loop: Header=BB346_16 Depth=1
	v_and_b32_e32 v7, 7, v33
	s_delay_alu instid0(VALU_DEP_1) | instskip(NEXT) | instid1(VALU_DEP_1)
	v_clz_i32_u32_e32 v7, v7
	v_min_u32_e32 v7, 32, v7
	s_delay_alu instid0(VALU_DEP_1) | instskip(SKIP_1) | instid1(VALU_DEP_2)
	v_subrev_nc_u32_e32 v35, 28, v7
	v_sub_nc_u32_e32 v7, 29, v7
	v_lshlrev_b64 v[35:36], v35, v[33:34]
; %bb.88:                               ;   in Loop: Header=BB346_16 Depth=1
	s_or_b32 exec_lo, exec_lo, s24
	v_lshlrev_b32_e32 v36, 8, v33
	s_delay_alu instid0(VALU_DEP_3) | instskip(NEXT) | instid1(VALU_DEP_3)
	v_lshl_add_u32 v7, v7, 10, 0x2000
	v_lshlrev_b32_e32 v35, 7, v35
	s_delay_alu instid0(VALU_DEP_2) | instskip(NEXT) | instid1(VALU_DEP_1)
	v_and_or_b32 v7, 0x8000, v36, v7
	v_and_or_b32 v7, 0x380, v35, v7
	s_delay_alu instid0(VALU_DEP_1)
	v_cvt_f32_f16_e32 v99, v7
.LBB346_89:                             ;   in Loop: Header=BB346_16 Depth=1
	s_or_b32 exec_lo, exec_lo, s23
.LBB346_90:                             ;   in Loop: Header=BB346_16 Depth=1
	s_delay_alu instid0(SALU_CYCLE_1)
	s_or_b32 exec_lo, exec_lo, s22
.LBB346_91:                             ;   in Loop: Header=BB346_16 Depth=1
	s_delay_alu instid0(SALU_CYCLE_1) | instskip(SKIP_2) | instid1(VALU_DEP_1)
	s_or_b32 exec_lo, exec_lo, s21
	v_lshrrev_b16 v7, 8, v33
	s_mov_b32 s21, exec_lo
	v_cmpx_ne_u16_e32 0, v7
	s_cbranch_execz .LBB346_99
; %bb.92:                               ;   in Loop: Header=BB346_16 Depth=1
	v_bfrev_b32_e32 v100, 1
	s_mov_b32 s22, exec_lo
	v_cmpx_ne_u16_e32 0x80, v7
	s_cbranch_execz .LBB346_98
; %bb.93:                               ;   in Loop: Header=BB346_16 Depth=1
	v_and_b32_e32 v35, 0xffff, v7
	v_mov_b32_e32 v100, 0x7fc02000
	s_mov_b32 s23, exec_lo
	s_delay_alu instid0(VALU_DEP_2) | instskip(NEXT) | instid1(VALU_DEP_1)
	v_and_b32_e32 v101, 0x7f, v35
	v_cmpx_ne_u32_e32 0x7f, v101
	s_cbranch_execz .LBB346_97
; %bb.94:                               ;   in Loop: Header=BB346_16 Depth=1
	v_and_b32_e32 v7, 7, v35
	v_lshrrev_b32_e32 v36, 3, v101
	s_mov_b32 s24, exec_lo
	v_cmpx_gt_u32_e32 8, v101
; %bb.95:                               ;   in Loop: Header=BB346_16 Depth=1
	s_delay_alu instid0(VALU_DEP_3) | instskip(NEXT) | instid1(VALU_DEP_1)
	v_clz_i32_u32_e32 v36, v7
	v_min_u32_e32 v36, 32, v36
	s_delay_alu instid0(VALU_DEP_1) | instskip(SKIP_1) | instid1(VALU_DEP_2)
	v_subrev_nc_u32_e32 v100, 28, v36
	v_sub_nc_u32_e32 v36, 29, v36
	v_lshlrev_b64 v[100:101], v100, v[7:8]
	s_delay_alu instid0(VALU_DEP_1)
	v_and_b32_e32 v7, 7, v100
; %bb.96:                               ;   in Loop: Header=BB346_16 Depth=1
	s_or_b32 exec_lo, exec_lo, s24
	v_lshlrev_b32_e32 v35, 8, v35
	v_lshl_add_u32 v36, v36, 10, 0x2000
	s_delay_alu instid0(VALU_DEP_1) | instskip(NEXT) | instid1(VALU_DEP_1)
	v_and_or_b32 v35, 0x8000, v35, v36
	v_lshl_or_b32 v7, v7, 7, v35
	s_delay_alu instid0(VALU_DEP_1)
	v_cvt_f32_f16_e32 v100, v7
.LBB346_97:                             ;   in Loop: Header=BB346_16 Depth=1
	s_or_b32 exec_lo, exec_lo, s23
.LBB346_98:                             ;   in Loop: Header=BB346_16 Depth=1
	s_delay_alu instid0(SALU_CYCLE_1)
	s_or_b32 exec_lo, exec_lo, s22
.LBB346_99:                             ;   in Loop: Header=BB346_16 Depth=1
	s_delay_alu instid0(SALU_CYCLE_1) | instskip(SKIP_3) | instid1(VALU_DEP_2)
	s_or_b32 exec_lo, exec_lo, s21
	v_lshrrev_b32_e32 v35, 16, v33
	v_mov_b32_e32 v101, 0
	s_mov_b32 s21, exec_lo
	v_dual_mov_b32 v102, 0 :: v_dual_and_b32 v7, 0xff, v35
	s_delay_alu instid0(VALU_DEP_1)
	v_cmpx_ne_u16_e32 0, v7
	s_cbranch_execz .LBB346_107
; %bb.100:                              ;   in Loop: Header=BB346_16 Depth=1
	v_bfrev_b32_e32 v101, 1
	s_mov_b32 s22, exec_lo
	v_cmpx_ne_u16_e32 0x80, v7
	s_cbranch_execz .LBB346_106
; %bb.101:                              ;   in Loop: Header=BB346_16 Depth=1
	v_bfe_u32 v103, v33, 16, 7
	v_mov_b32_e32 v101, 0x7fc02000
	s_mov_b32 s23, exec_lo
	s_delay_alu instid0(VALU_DEP_2)
	v_cmpx_ne_u32_e32 0x7f, v103
	s_cbranch_execz .LBB346_105
; %bb.102:                              ;   in Loop: Header=BB346_16 Depth=1
	v_and_b32_e32 v7, 7, v35
	v_lshrrev_b32_e32 v36, 3, v103
	s_mov_b32 s24, exec_lo
	v_cmpx_gt_u32_e32 8, v103
; %bb.103:                              ;   in Loop: Header=BB346_16 Depth=1
	s_delay_alu instid0(VALU_DEP_3) | instskip(NEXT) | instid1(VALU_DEP_1)
	v_clz_i32_u32_e32 v36, v7
	v_min_u32_e32 v36, 32, v36
	s_delay_alu instid0(VALU_DEP_1) | instskip(SKIP_1) | instid1(VALU_DEP_2)
	v_subrev_nc_u32_e32 v101, 28, v36
	v_sub_nc_u32_e32 v36, 29, v36
	v_lshlrev_b64 v[112:113], v101, v[7:8]
	s_delay_alu instid0(VALU_DEP_1)
	v_and_b32_e32 v7, 7, v112
; %bb.104:                              ;   in Loop: Header=BB346_16 Depth=1
	s_or_b32 exec_lo, exec_lo, s24
	v_lshlrev_b32_e32 v35, 8, v35
	v_lshl_add_u32 v36, v36, 10, 0x2000
	s_delay_alu instid0(VALU_DEP_1) | instskip(NEXT) | instid1(VALU_DEP_1)
	v_and_or_b32 v35, 0x8000, v35, v36
	v_lshl_or_b32 v7, v7, 7, v35
	s_delay_alu instid0(VALU_DEP_1)
	v_cvt_f32_f16_e32 v101, v7
.LBB346_105:                            ;   in Loop: Header=BB346_16 Depth=1
	s_or_b32 exec_lo, exec_lo, s23
.LBB346_106:                            ;   in Loop: Header=BB346_16 Depth=1
	s_delay_alu instid0(SALU_CYCLE_1)
	s_or_b32 exec_lo, exec_lo, s22
.LBB346_107:                            ;   in Loop: Header=BB346_16 Depth=1
	s_delay_alu instid0(SALU_CYCLE_1) | instskip(NEXT) | instid1(SALU_CYCLE_1)
	s_or_b32 exec_lo, exec_lo, s21
	s_mov_b32 s21, exec_lo
	v_cmpx_lt_u32_e32 0xffffff, v33
	s_cbranch_execz .LBB346_115
; %bb.108:                              ;   in Loop: Header=BB346_16 Depth=1
	v_lshrrev_b32_e32 v35, 24, v33
	v_bfrev_b32_e32 v102, 1
	s_mov_b32 s22, exec_lo
	s_delay_alu instid0(VALU_DEP_2)
	v_cmpx_ne_u32_e32 0x80, v35
	s_cbranch_execz .LBB346_114
; %bb.109:                              ;   in Loop: Header=BB346_16 Depth=1
	v_and_b32_e32 v103, 0x7f, v35
	v_mov_b32_e32 v102, 0x7fc02000
	s_mov_b32 s23, exec_lo
	s_delay_alu instid0(VALU_DEP_2)
	v_cmpx_ne_u32_e32 0x7f, v103
	s_cbranch_execz .LBB346_113
; %bb.110:                              ;   in Loop: Header=BB346_16 Depth=1
	v_and_b32_e32 v7, 7, v35
	v_lshrrev_b32_e32 v36, 3, v103
	s_mov_b32 s24, exec_lo
	v_cmpx_gt_u32_e32 8, v103
; %bb.111:                              ;   in Loop: Header=BB346_16 Depth=1
	s_delay_alu instid0(VALU_DEP_3) | instskip(NEXT) | instid1(VALU_DEP_1)
	v_clz_i32_u32_e32 v36, v7
	v_min_u32_e32 v36, 32, v36
	s_delay_alu instid0(VALU_DEP_1) | instskip(SKIP_1) | instid1(VALU_DEP_2)
	v_subrev_nc_u32_e32 v102, 28, v36
	v_sub_nc_u32_e32 v36, 29, v36
	v_lshlrev_b64 v[102:103], v102, v[7:8]
	s_delay_alu instid0(VALU_DEP_1)
	v_and_b32_e32 v7, 7, v102
; %bb.112:                              ;   in Loop: Header=BB346_16 Depth=1
	s_or_b32 exec_lo, exec_lo, s24
	v_lshlrev_b32_e32 v35, 8, v35
	v_lshl_add_u32 v36, v36, 10, 0x2000
	s_delay_alu instid0(VALU_DEP_1) | instskip(NEXT) | instid1(VALU_DEP_1)
	v_and_or_b32 v35, 0x8000, v35, v36
	v_lshl_or_b32 v7, v7, 7, v35
	s_delay_alu instid0(VALU_DEP_1)
	v_cvt_f32_f16_e32 v102, v7
.LBB346_113:                            ;   in Loop: Header=BB346_16 Depth=1
	s_or_b32 exec_lo, exec_lo, s23
.LBB346_114:                            ;   in Loop: Header=BB346_16 Depth=1
	s_delay_alu instid0(SALU_CYCLE_1)
	s_or_b32 exec_lo, exec_lo, s22
.LBB346_115:                            ;   in Loop: Header=BB346_16 Depth=1
	s_delay_alu instid0(SALU_CYCLE_1) | instskip(SKIP_4) | instid1(VALU_DEP_3)
	s_or_b32 exec_lo, exec_lo, s21
	v_dual_mov_b32 v112, 0 :: v_dual_and_b32 v35, 0xff, v34
	v_mov_b32_e32 v7, v34
	v_mov_b32_e32 v103, 0
	s_mov_b32 s21, exec_lo
	v_cmpx_ne_u16_e32 0, v35
	s_cbranch_execz .LBB346_123
; %bb.116:                              ;   in Loop: Header=BB346_16 Depth=1
	v_bfrev_b32_e32 v103, 1
	s_mov_b32 s22, exec_lo
	v_cmpx_ne_u16_e32 0x80, v35
	s_cbranch_execz .LBB346_122
; %bb.117:                              ;   in Loop: Header=BB346_16 Depth=1
	v_and_b32_e32 v35, 0x7f, v34
	v_mov_b32_e32 v103, 0x7fc02000
	s_mov_b32 s23, exec_lo
	s_delay_alu instid0(VALU_DEP_2)
	v_cmpx_ne_u32_e32 0x7f, v35
	s_cbranch_execz .LBB346_121
; %bb.118:                              ;   in Loop: Header=BB346_16 Depth=1
	v_lshrrev_b32_e32 v103, 3, v35
	v_cmp_gt_u32_e64 s1, 8, v35
	v_dual_mov_b32 v36, v8 :: v_dual_mov_b32 v35, v7
	s_delay_alu instid0(VALU_DEP_2)
	s_and_saveexec_b32 s24, s1
; %bb.119:                              ;   in Loop: Header=BB346_16 Depth=1
	v_and_b32_e32 v35, 7, v34
	s_delay_alu instid0(VALU_DEP_1) | instskip(NEXT) | instid1(VALU_DEP_1)
	v_clz_i32_u32_e32 v35, v35
	v_min_u32_e32 v103, 32, v35
	s_delay_alu instid0(VALU_DEP_1) | instskip(SKIP_1) | instid1(VALU_DEP_2)
	v_subrev_nc_u32_e32 v35, 28, v103
	v_sub_nc_u32_e32 v103, 29, v103
	v_lshlrev_b64 v[35:36], v35, v[7:8]
; %bb.120:                              ;   in Loop: Header=BB346_16 Depth=1
	s_or_b32 exec_lo, exec_lo, s24
	v_lshlrev_b32_e32 v36, 8, v34
	s_delay_alu instid0(VALU_DEP_3) | instskip(NEXT) | instid1(VALU_DEP_3)
	v_lshl_add_u32 v103, v103, 10, 0x2000
	v_lshlrev_b32_e32 v35, 7, v35
	s_delay_alu instid0(VALU_DEP_2) | instskip(NEXT) | instid1(VALU_DEP_1)
	v_and_or_b32 v36, 0x8000, v36, v103
	v_and_or_b32 v35, 0x380, v35, v36
	s_delay_alu instid0(VALU_DEP_1)
	v_cvt_f32_f16_e32 v103, v35
.LBB346_121:                            ;   in Loop: Header=BB346_16 Depth=1
	s_or_b32 exec_lo, exec_lo, s23
.LBB346_122:                            ;   in Loop: Header=BB346_16 Depth=1
	s_delay_alu instid0(SALU_CYCLE_1)
	s_or_b32 exec_lo, exec_lo, s22
.LBB346_123:                            ;   in Loop: Header=BB346_16 Depth=1
	s_delay_alu instid0(SALU_CYCLE_1) | instskip(SKIP_2) | instid1(VALU_DEP_1)
	s_or_b32 exec_lo, exec_lo, s21
	v_lshrrev_b16 v7, 8, v7
	s_mov_b32 s21, exec_lo
	v_cmpx_ne_u16_e32 0, v7
	s_cbranch_execz .LBB346_131
; %bb.124:                              ;   in Loop: Header=BB346_16 Depth=1
	v_bfrev_b32_e32 v112, 1
	s_mov_b32 s22, exec_lo
	v_cmpx_ne_u16_e32 0x80, v7
	s_cbranch_execz .LBB346_130
; %bb.125:                              ;   in Loop: Header=BB346_16 Depth=1
	v_and_b32_e32 v35, 0xffff, v7
	v_mov_b32_e32 v112, 0x7fc02000
	s_mov_b32 s23, exec_lo
	s_delay_alu instid0(VALU_DEP_2) | instskip(NEXT) | instid1(VALU_DEP_1)
	v_and_b32_e32 v113, 0x7f, v35
	v_cmpx_ne_u32_e32 0x7f, v113
	s_cbranch_execz .LBB346_129
; %bb.126:                              ;   in Loop: Header=BB346_16 Depth=1
	v_and_b32_e32 v7, 7, v35
	v_lshrrev_b32_e32 v36, 3, v113
	s_mov_b32 s24, exec_lo
	v_cmpx_gt_u32_e32 8, v113
; %bb.127:                              ;   in Loop: Header=BB346_16 Depth=1
	s_delay_alu instid0(VALU_DEP_3) | instskip(NEXT) | instid1(VALU_DEP_1)
	v_clz_i32_u32_e32 v36, v7
	v_min_u32_e32 v36, 32, v36
	s_delay_alu instid0(VALU_DEP_1) | instskip(SKIP_1) | instid1(VALU_DEP_2)
	v_subrev_nc_u32_e32 v112, 28, v36
	v_sub_nc_u32_e32 v36, 29, v36
	v_lshlrev_b64 v[112:113], v112, v[7:8]
	s_delay_alu instid0(VALU_DEP_1)
	v_and_b32_e32 v7, 7, v112
; %bb.128:                              ;   in Loop: Header=BB346_16 Depth=1
	s_or_b32 exec_lo, exec_lo, s24
	v_lshlrev_b32_e32 v35, 8, v35
	v_lshl_add_u32 v36, v36, 10, 0x2000
	s_delay_alu instid0(VALU_DEP_1) | instskip(NEXT) | instid1(VALU_DEP_1)
	v_and_or_b32 v35, 0x8000, v35, v36
	v_lshl_or_b32 v7, v7, 7, v35
	s_delay_alu instid0(VALU_DEP_1)
	v_cvt_f32_f16_e32 v112, v7
.LBB346_129:                            ;   in Loop: Header=BB346_16 Depth=1
	s_or_b32 exec_lo, exec_lo, s23
.LBB346_130:                            ;   in Loop: Header=BB346_16 Depth=1
	s_delay_alu instid0(SALU_CYCLE_1)
	s_or_b32 exec_lo, exec_lo, s22
.LBB346_131:                            ;   in Loop: Header=BB346_16 Depth=1
	s_delay_alu instid0(SALU_CYCLE_1) | instskip(SKIP_3) | instid1(VALU_DEP_2)
	s_or_b32 exec_lo, exec_lo, s21
	v_lshrrev_b32_e32 v35, 16, v34
	v_mov_b32_e32 v113, 0
	s_mov_b32 s21, exec_lo
	v_dual_mov_b32 v114, 0 :: v_dual_and_b32 v7, 0xff, v35
	s_delay_alu instid0(VALU_DEP_1)
	v_cmpx_ne_u16_e32 0, v7
	s_cbranch_execz .LBB346_139
; %bb.132:                              ;   in Loop: Header=BB346_16 Depth=1
	v_bfrev_b32_e32 v114, 1
	s_mov_b32 s22, exec_lo
	v_cmpx_ne_u16_e32 0x80, v7
	s_cbranch_execz .LBB346_138
; %bb.133:                              ;   in Loop: Header=BB346_16 Depth=1
	v_bfe_u32 v115, v34, 16, 7
	v_mov_b32_e32 v114, 0x7fc02000
	s_mov_b32 s23, exec_lo
	s_delay_alu instid0(VALU_DEP_2)
	v_cmpx_ne_u32_e32 0x7f, v115
	s_cbranch_execz .LBB346_137
; %bb.134:                              ;   in Loop: Header=BB346_16 Depth=1
	v_and_b32_e32 v7, 7, v35
	v_lshrrev_b32_e32 v36, 3, v115
	s_mov_b32 s24, exec_lo
	v_cmpx_gt_u32_e32 8, v115
; %bb.135:                              ;   in Loop: Header=BB346_16 Depth=1
	s_delay_alu instid0(VALU_DEP_3) | instskip(NEXT) | instid1(VALU_DEP_1)
	v_clz_i32_u32_e32 v36, v7
	v_min_u32_e32 v36, 32, v36
	s_delay_alu instid0(VALU_DEP_1) | instskip(SKIP_1) | instid1(VALU_DEP_2)
	v_subrev_nc_u32_e32 v114, 28, v36
	v_sub_nc_u32_e32 v36, 29, v36
	v_lshlrev_b64 v[114:115], v114, v[7:8]
	s_delay_alu instid0(VALU_DEP_1)
	v_and_b32_e32 v7, 7, v114
; %bb.136:                              ;   in Loop: Header=BB346_16 Depth=1
	s_or_b32 exec_lo, exec_lo, s24
	v_lshlrev_b32_e32 v35, 8, v35
	v_lshl_add_u32 v36, v36, 10, 0x2000
	s_delay_alu instid0(VALU_DEP_1) | instskip(NEXT) | instid1(VALU_DEP_1)
	v_and_or_b32 v35, 0x8000, v35, v36
	v_lshl_or_b32 v7, v7, 7, v35
	s_delay_alu instid0(VALU_DEP_1)
	v_cvt_f32_f16_e32 v114, v7
.LBB346_137:                            ;   in Loop: Header=BB346_16 Depth=1
	s_or_b32 exec_lo, exec_lo, s23
.LBB346_138:                            ;   in Loop: Header=BB346_16 Depth=1
	s_delay_alu instid0(SALU_CYCLE_1)
	s_or_b32 exec_lo, exec_lo, s22
.LBB346_139:                            ;   in Loop: Header=BB346_16 Depth=1
	s_delay_alu instid0(SALU_CYCLE_1) | instskip(NEXT) | instid1(SALU_CYCLE_1)
	s_or_b32 exec_lo, exec_lo, s21
	s_mov_b32 s21, exec_lo
	v_cmpx_lt_u64_e64 s[8:9], v[33:34]
	s_cbranch_execz .LBB346_147
; %bb.140:                              ;   in Loop: Header=BB346_16 Depth=1
	v_lshrrev_b32_e32 v33, 24, v34
	v_bfrev_b32_e32 v113, 1
	s_mov_b32 s22, exec_lo
	s_delay_alu instid0(VALU_DEP_2)
	v_cmpx_ne_u32_e32 0x80, v33
	s_cbranch_execz .LBB346_146
; %bb.141:                              ;   in Loop: Header=BB346_16 Depth=1
	v_and_b32_e32 v35, 0x7f, v33
	v_mov_b32_e32 v113, 0x7fc02000
	s_mov_b32 s23, exec_lo
	s_delay_alu instid0(VALU_DEP_2)
	v_cmpx_ne_u32_e32 0x7f, v35
	s_cbranch_execz .LBB346_145
; %bb.142:                              ;   in Loop: Header=BB346_16 Depth=1
	v_and_b32_e32 v7, 7, v33
	v_lshrrev_b32_e32 v34, 3, v35
	s_mov_b32 s24, exec_lo
	v_cmpx_gt_u32_e32 8, v35
; %bb.143:                              ;   in Loop: Header=BB346_16 Depth=1
	s_delay_alu instid0(VALU_DEP_3) | instskip(NEXT) | instid1(VALU_DEP_1)
	v_clz_i32_u32_e32 v34, v7
	v_min_u32_e32 v34, 32, v34
	s_delay_alu instid0(VALU_DEP_1) | instskip(SKIP_1) | instid1(VALU_DEP_2)
	v_subrev_nc_u32_e32 v35, 28, v34
	v_sub_nc_u32_e32 v34, 29, v34
	v_lshlrev_b64 v[35:36], v35, v[7:8]
	s_delay_alu instid0(VALU_DEP_1)
	v_and_b32_e32 v7, 7, v35
; %bb.144:                              ;   in Loop: Header=BB346_16 Depth=1
	s_or_b32 exec_lo, exec_lo, s24
	v_lshlrev_b32_e32 v33, 8, v33
	v_lshl_add_u32 v34, v34, 10, 0x2000
	s_delay_alu instid0(VALU_DEP_1) | instskip(NEXT) | instid1(VALU_DEP_1)
	v_and_or_b32 v33, 0x8000, v33, v34
	v_lshl_or_b32 v7, v7, 7, v33
	s_delay_alu instid0(VALU_DEP_1)
	v_cvt_f32_f16_e32 v113, v7
.LBB346_145:                            ;   in Loop: Header=BB346_16 Depth=1
	s_or_b32 exec_lo, exec_lo, s23
.LBB346_146:                            ;   in Loop: Header=BB346_16 Depth=1
	s_delay_alu instid0(SALU_CYCLE_1)
	s_or_b32 exec_lo, exec_lo, s22
.LBB346_147:                            ;   in Loop: Header=BB346_16 Depth=1
	s_delay_alu instid0(SALU_CYCLE_1)
	s_or_b32 exec_lo, exec_lo, s21
	flat_load_b64 v[33:34], v[31:32] offset:512
	v_mov_b32_e32 v115, 0
	s_mov_b32 s21, exec_lo
	s_waitcnt vmcnt(0) lgkmcnt(0)
	v_dual_mov_b32 v116, 0 :: v_dual_and_b32 v7, 0xff, v33
	s_delay_alu instid0(VALU_DEP_1)
	v_cmpx_ne_u16_e32 0, v7
	s_cbranch_execz .LBB346_155
; %bb.148:                              ;   in Loop: Header=BB346_16 Depth=1
	v_bfrev_b32_e32 v115, 1
	s_mov_b32 s22, exec_lo
	v_cmpx_ne_u16_e32 0x80, v7
	s_cbranch_execz .LBB346_154
; %bb.149:                              ;   in Loop: Header=BB346_16 Depth=1
	v_and_b32_e32 v35, 0x7f, v33
	v_mov_b32_e32 v115, 0x7fc02000
	s_mov_b32 s23, exec_lo
	s_delay_alu instid0(VALU_DEP_2)
	v_cmpx_ne_u32_e32 0x7f, v35
	s_cbranch_execz .LBB346_153
; %bb.150:                              ;   in Loop: Header=BB346_16 Depth=1
	v_lshrrev_b32_e32 v7, 3, v35
	v_cmp_gt_u32_e64 s1, 8, v35
	v_dual_mov_b32 v36, v34 :: v_dual_mov_b32 v35, v33
	s_delay_alu instid0(VALU_DEP_2)
	s_and_saveexec_b32 s24, s1
; %bb.151:                              ;   in Loop: Header=BB346_16 Depth=1
	v_and_b32_e32 v7, 7, v33
	s_delay_alu instid0(VALU_DEP_1) | instskip(NEXT) | instid1(VALU_DEP_1)
	v_clz_i32_u32_e32 v7, v7
	v_min_u32_e32 v7, 32, v7
	s_delay_alu instid0(VALU_DEP_1) | instskip(SKIP_1) | instid1(VALU_DEP_2)
	v_subrev_nc_u32_e32 v35, 28, v7
	v_sub_nc_u32_e32 v7, 29, v7
	v_lshlrev_b64 v[35:36], v35, v[33:34]
; %bb.152:                              ;   in Loop: Header=BB346_16 Depth=1
	s_or_b32 exec_lo, exec_lo, s24
	v_lshlrev_b32_e32 v36, 8, v33
	s_delay_alu instid0(VALU_DEP_3) | instskip(NEXT) | instid1(VALU_DEP_3)
	v_lshl_add_u32 v7, v7, 10, 0x2000
	v_lshlrev_b32_e32 v35, 7, v35
	s_delay_alu instid0(VALU_DEP_2) | instskip(NEXT) | instid1(VALU_DEP_1)
	v_and_or_b32 v7, 0x8000, v36, v7
	v_and_or_b32 v7, 0x380, v35, v7
	s_delay_alu instid0(VALU_DEP_1)
	v_cvt_f32_f16_e32 v115, v7
.LBB346_153:                            ;   in Loop: Header=BB346_16 Depth=1
	s_or_b32 exec_lo, exec_lo, s23
.LBB346_154:                            ;   in Loop: Header=BB346_16 Depth=1
	s_delay_alu instid0(SALU_CYCLE_1)
	s_or_b32 exec_lo, exec_lo, s22
.LBB346_155:                            ;   in Loop: Header=BB346_16 Depth=1
	s_delay_alu instid0(SALU_CYCLE_1) | instskip(SKIP_2) | instid1(VALU_DEP_1)
	s_or_b32 exec_lo, exec_lo, s21
	v_lshrrev_b16 v7, 8, v33
	s_mov_b32 s21, exec_lo
	v_cmpx_ne_u16_e32 0, v7
	s_cbranch_execz .LBB346_163
; %bb.156:                              ;   in Loop: Header=BB346_16 Depth=1
	v_bfrev_b32_e32 v116, 1
	s_mov_b32 s22, exec_lo
	v_cmpx_ne_u16_e32 0x80, v7
	s_cbranch_execz .LBB346_162
; %bb.157:                              ;   in Loop: Header=BB346_16 Depth=1
	v_and_b32_e32 v35, 0xffff, v7
	v_mov_b32_e32 v116, 0x7fc02000
	s_mov_b32 s23, exec_lo
	s_delay_alu instid0(VALU_DEP_2) | instskip(NEXT) | instid1(VALU_DEP_1)
	v_and_b32_e32 v117, 0x7f, v35
	v_cmpx_ne_u32_e32 0x7f, v117
	s_cbranch_execz .LBB346_161
; %bb.158:                              ;   in Loop: Header=BB346_16 Depth=1
	v_and_b32_e32 v7, 7, v35
	v_lshrrev_b32_e32 v36, 3, v117
	s_mov_b32 s24, exec_lo
	v_cmpx_gt_u32_e32 8, v117
; %bb.159:                              ;   in Loop: Header=BB346_16 Depth=1
	s_delay_alu instid0(VALU_DEP_3) | instskip(NEXT) | instid1(VALU_DEP_1)
	v_clz_i32_u32_e32 v36, v7
	v_min_u32_e32 v36, 32, v36
	s_delay_alu instid0(VALU_DEP_1) | instskip(SKIP_1) | instid1(VALU_DEP_2)
	v_subrev_nc_u32_e32 v116, 28, v36
	v_sub_nc_u32_e32 v36, 29, v36
	v_lshlrev_b64 v[116:117], v116, v[7:8]
	s_delay_alu instid0(VALU_DEP_1)
	v_and_b32_e32 v7, 7, v116
; %bb.160:                              ;   in Loop: Header=BB346_16 Depth=1
	s_or_b32 exec_lo, exec_lo, s24
	v_lshlrev_b32_e32 v35, 8, v35
	v_lshl_add_u32 v36, v36, 10, 0x2000
	s_delay_alu instid0(VALU_DEP_1) | instskip(NEXT) | instid1(VALU_DEP_1)
	v_and_or_b32 v35, 0x8000, v35, v36
	v_lshl_or_b32 v7, v7, 7, v35
	s_delay_alu instid0(VALU_DEP_1)
	v_cvt_f32_f16_e32 v116, v7
.LBB346_161:                            ;   in Loop: Header=BB346_16 Depth=1
	s_or_b32 exec_lo, exec_lo, s23
.LBB346_162:                            ;   in Loop: Header=BB346_16 Depth=1
	s_delay_alu instid0(SALU_CYCLE_1)
	s_or_b32 exec_lo, exec_lo, s22
.LBB346_163:                            ;   in Loop: Header=BB346_16 Depth=1
	s_delay_alu instid0(SALU_CYCLE_1) | instskip(SKIP_3) | instid1(VALU_DEP_2)
	s_or_b32 exec_lo, exec_lo, s21
	v_lshrrev_b32_e32 v35, 16, v33
	v_mov_b32_e32 v117, 0
	s_mov_b32 s21, exec_lo
	v_dual_mov_b32 v118, 0 :: v_dual_and_b32 v7, 0xff, v35
	s_delay_alu instid0(VALU_DEP_1)
	v_cmpx_ne_u16_e32 0, v7
	s_cbranch_execz .LBB346_171
; %bb.164:                              ;   in Loop: Header=BB346_16 Depth=1
	v_bfrev_b32_e32 v117, 1
	s_mov_b32 s22, exec_lo
	v_cmpx_ne_u16_e32 0x80, v7
	s_cbranch_execz .LBB346_170
; %bb.165:                              ;   in Loop: Header=BB346_16 Depth=1
	v_bfe_u32 v119, v33, 16, 7
	v_mov_b32_e32 v117, 0x7fc02000
	s_mov_b32 s23, exec_lo
	s_delay_alu instid0(VALU_DEP_2)
	v_cmpx_ne_u32_e32 0x7f, v119
	s_cbranch_execz .LBB346_169
; %bb.166:                              ;   in Loop: Header=BB346_16 Depth=1
	v_and_b32_e32 v7, 7, v35
	v_lshrrev_b32_e32 v36, 3, v119
	s_mov_b32 s24, exec_lo
	v_cmpx_gt_u32_e32 8, v119
; %bb.167:                              ;   in Loop: Header=BB346_16 Depth=1
	s_delay_alu instid0(VALU_DEP_3) | instskip(NEXT) | instid1(VALU_DEP_1)
	v_clz_i32_u32_e32 v36, v7
	v_min_u32_e32 v36, 32, v36
	s_delay_alu instid0(VALU_DEP_1) | instskip(SKIP_1) | instid1(VALU_DEP_2)
	v_subrev_nc_u32_e32 v117, 28, v36
	v_sub_nc_u32_e32 v36, 29, v36
	v_lshlrev_b64 v[128:129], v117, v[7:8]
	s_delay_alu instid0(VALU_DEP_1)
	v_and_b32_e32 v7, 7, v128
; %bb.168:                              ;   in Loop: Header=BB346_16 Depth=1
	s_or_b32 exec_lo, exec_lo, s24
	v_lshlrev_b32_e32 v35, 8, v35
	v_lshl_add_u32 v36, v36, 10, 0x2000
	s_delay_alu instid0(VALU_DEP_1) | instskip(NEXT) | instid1(VALU_DEP_1)
	v_and_or_b32 v35, 0x8000, v35, v36
	v_lshl_or_b32 v7, v7, 7, v35
	s_delay_alu instid0(VALU_DEP_1)
	v_cvt_f32_f16_e32 v117, v7
.LBB346_169:                            ;   in Loop: Header=BB346_16 Depth=1
	s_or_b32 exec_lo, exec_lo, s23
.LBB346_170:                            ;   in Loop: Header=BB346_16 Depth=1
	s_delay_alu instid0(SALU_CYCLE_1)
	s_or_b32 exec_lo, exec_lo, s22
.LBB346_171:                            ;   in Loop: Header=BB346_16 Depth=1
	s_delay_alu instid0(SALU_CYCLE_1) | instskip(NEXT) | instid1(SALU_CYCLE_1)
	s_or_b32 exec_lo, exec_lo, s21
	s_mov_b32 s21, exec_lo
	v_cmpx_lt_u32_e32 0xffffff, v33
	s_cbranch_execz .LBB346_179
; %bb.172:                              ;   in Loop: Header=BB346_16 Depth=1
	v_lshrrev_b32_e32 v119, 24, v33
	v_bfrev_b32_e32 v118, 1
	s_mov_b32 s22, exec_lo
	s_delay_alu instid0(VALU_DEP_2)
	v_cmpx_ne_u32_e32 0x80, v119
	s_cbranch_execz .LBB346_178
; %bb.173:                              ;   in Loop: Header=BB346_16 Depth=1
	v_and_b32_e32 v35, 0x7f, v119
	v_mov_b32_e32 v118, 0x7fc02000
	s_mov_b32 s23, exec_lo
	s_delay_alu instid0(VALU_DEP_2)
	v_cmpx_ne_u32_e32 0x7f, v35
	s_cbranch_execz .LBB346_177
; %bb.174:                              ;   in Loop: Header=BB346_16 Depth=1
	v_and_b32_e32 v7, 7, v119
	v_lshrrev_b32_e32 v118, 3, v35
	v_cmp_gt_u32_e64 s1, 8, v35
	s_delay_alu instid0(VALU_DEP_3) | instskip(NEXT) | instid1(VALU_DEP_2)
	v_dual_mov_b32 v36, v8 :: v_dual_mov_b32 v35, v7
	s_and_saveexec_b32 s24, s1
; %bb.175:                              ;   in Loop: Header=BB346_16 Depth=1
	v_clz_i32_u32_e32 v35, v7
	s_delay_alu instid0(VALU_DEP_1) | instskip(NEXT) | instid1(VALU_DEP_1)
	v_min_u32_e32 v118, 32, v35
	v_subrev_nc_u32_e32 v35, 28, v118
	v_sub_nc_u32_e32 v118, 29, v118
	s_delay_alu instid0(VALU_DEP_2) | instskip(NEXT) | instid1(VALU_DEP_1)
	v_lshlrev_b64 v[35:36], v35, v[7:8]
	v_and_b32_e32 v35, 7, v35
; %bb.176:                              ;   in Loop: Header=BB346_16 Depth=1
	s_or_b32 exec_lo, exec_lo, s24
	v_lshlrev_b32_e32 v7, 8, v119
	v_lshl_add_u32 v36, v118, 10, 0x2000
	s_delay_alu instid0(VALU_DEP_1) | instskip(NEXT) | instid1(VALU_DEP_1)
	v_and_or_b32 v7, 0x8000, v7, v36
	v_lshl_or_b32 v7, v35, 7, v7
	s_delay_alu instid0(VALU_DEP_1)
	v_cvt_f32_f16_e32 v118, v7
.LBB346_177:                            ;   in Loop: Header=BB346_16 Depth=1
	s_or_b32 exec_lo, exec_lo, s23
.LBB346_178:                            ;   in Loop: Header=BB346_16 Depth=1
	s_delay_alu instid0(SALU_CYCLE_1)
	s_or_b32 exec_lo, exec_lo, s22
.LBB346_179:                            ;   in Loop: Header=BB346_16 Depth=1
	s_delay_alu instid0(SALU_CYCLE_1) | instskip(SKIP_4) | instid1(VALU_DEP_3)
	s_or_b32 exec_lo, exec_lo, s21
	v_dual_mov_b32 v128, 0 :: v_dual_and_b32 v35, 0xff, v34
	v_mov_b32_e32 v7, v34
	v_mov_b32_e32 v119, 0
	s_mov_b32 s21, exec_lo
	v_cmpx_ne_u16_e32 0, v35
	s_cbranch_execz .LBB346_187
; %bb.180:                              ;   in Loop: Header=BB346_16 Depth=1
	v_bfrev_b32_e32 v119, 1
	s_mov_b32 s22, exec_lo
	v_cmpx_ne_u16_e32 0x80, v35
	s_cbranch_execz .LBB346_186
; %bb.181:                              ;   in Loop: Header=BB346_16 Depth=1
	v_and_b32_e32 v35, 0x7f, v34
	v_mov_b32_e32 v119, 0x7fc02000
	s_mov_b32 s23, exec_lo
	s_delay_alu instid0(VALU_DEP_2)
	v_cmpx_ne_u32_e32 0x7f, v35
	s_cbranch_execz .LBB346_185
; %bb.182:                              ;   in Loop: Header=BB346_16 Depth=1
	v_lshrrev_b32_e32 v119, 3, v35
	v_cmp_gt_u32_e64 s1, 8, v35
	v_dual_mov_b32 v36, v8 :: v_dual_mov_b32 v35, v7
	s_delay_alu instid0(VALU_DEP_2)
	s_and_saveexec_b32 s24, s1
; %bb.183:                              ;   in Loop: Header=BB346_16 Depth=1
	v_and_b32_e32 v35, 7, v34
	s_delay_alu instid0(VALU_DEP_1) | instskip(NEXT) | instid1(VALU_DEP_1)
	v_clz_i32_u32_e32 v35, v35
	v_min_u32_e32 v119, 32, v35
	s_delay_alu instid0(VALU_DEP_1) | instskip(SKIP_1) | instid1(VALU_DEP_2)
	v_subrev_nc_u32_e32 v35, 28, v119
	v_sub_nc_u32_e32 v119, 29, v119
	v_lshlrev_b64 v[35:36], v35, v[7:8]
; %bb.184:                              ;   in Loop: Header=BB346_16 Depth=1
	s_or_b32 exec_lo, exec_lo, s24
	v_lshlrev_b32_e32 v36, 8, v34
	s_delay_alu instid0(VALU_DEP_3) | instskip(NEXT) | instid1(VALU_DEP_3)
	v_lshl_add_u32 v119, v119, 10, 0x2000
	v_lshlrev_b32_e32 v35, 7, v35
	s_delay_alu instid0(VALU_DEP_2) | instskip(NEXT) | instid1(VALU_DEP_1)
	v_and_or_b32 v36, 0x8000, v36, v119
	v_and_or_b32 v35, 0x380, v35, v36
	s_delay_alu instid0(VALU_DEP_1)
	v_cvt_f32_f16_e32 v119, v35
.LBB346_185:                            ;   in Loop: Header=BB346_16 Depth=1
	s_or_b32 exec_lo, exec_lo, s23
.LBB346_186:                            ;   in Loop: Header=BB346_16 Depth=1
	s_delay_alu instid0(SALU_CYCLE_1)
	s_or_b32 exec_lo, exec_lo, s22
.LBB346_187:                            ;   in Loop: Header=BB346_16 Depth=1
	s_delay_alu instid0(SALU_CYCLE_1) | instskip(SKIP_2) | instid1(VALU_DEP_1)
	s_or_b32 exec_lo, exec_lo, s21
	v_lshrrev_b16 v7, 8, v7
	s_mov_b32 s21, exec_lo
	v_cmpx_ne_u16_e32 0, v7
	s_cbranch_execz .LBB346_195
; %bb.188:                              ;   in Loop: Header=BB346_16 Depth=1
	v_bfrev_b32_e32 v128, 1
	s_mov_b32 s22, exec_lo
	v_cmpx_ne_u16_e32 0x80, v7
	s_cbranch_execz .LBB346_194
; %bb.189:                              ;   in Loop: Header=BB346_16 Depth=1
	v_and_b32_e32 v129, 0xffff, v7
	v_mov_b32_e32 v128, 0x7fc02000
	s_mov_b32 s23, exec_lo
	s_delay_alu instid0(VALU_DEP_2) | instskip(NEXT) | instid1(VALU_DEP_1)
	v_and_b32_e32 v35, 0x7f, v129
	v_cmpx_ne_u32_e32 0x7f, v35
	s_cbranch_execz .LBB346_193
; %bb.190:                              ;   in Loop: Header=BB346_16 Depth=1
	v_and_b32_e32 v7, 7, v129
	v_lshrrev_b32_e32 v128, 3, v35
	v_cmp_gt_u32_e64 s1, 8, v35
	s_delay_alu instid0(VALU_DEP_3) | instskip(NEXT) | instid1(VALU_DEP_2)
	v_dual_mov_b32 v36, v8 :: v_dual_mov_b32 v35, v7
	s_and_saveexec_b32 s24, s1
; %bb.191:                              ;   in Loop: Header=BB346_16 Depth=1
	v_clz_i32_u32_e32 v35, v7
	s_delay_alu instid0(VALU_DEP_1) | instskip(NEXT) | instid1(VALU_DEP_1)
	v_min_u32_e32 v128, 32, v35
	v_subrev_nc_u32_e32 v35, 28, v128
	v_sub_nc_u32_e32 v128, 29, v128
	s_delay_alu instid0(VALU_DEP_2) | instskip(NEXT) | instid1(VALU_DEP_1)
	v_lshlrev_b64 v[35:36], v35, v[7:8]
	v_and_b32_e32 v35, 7, v35
; %bb.192:                              ;   in Loop: Header=BB346_16 Depth=1
	s_or_b32 exec_lo, exec_lo, s24
	v_lshlrev_b32_e32 v7, 8, v129
	v_lshl_add_u32 v36, v128, 10, 0x2000
	s_delay_alu instid0(VALU_DEP_1) | instskip(NEXT) | instid1(VALU_DEP_1)
	v_and_or_b32 v7, 0x8000, v7, v36
	v_lshl_or_b32 v7, v35, 7, v7
	s_delay_alu instid0(VALU_DEP_1)
	v_cvt_f32_f16_e64 v128, v7
.LBB346_193:                            ;   in Loop: Header=BB346_16 Depth=1
	s_or_b32 exec_lo, exec_lo, s23
.LBB346_194:                            ;   in Loop: Header=BB346_16 Depth=1
	s_delay_alu instid0(SALU_CYCLE_1)
	s_or_b32 exec_lo, exec_lo, s22
.LBB346_195:                            ;   in Loop: Header=BB346_16 Depth=1
	s_delay_alu instid0(SALU_CYCLE_1) | instskip(SKIP_3) | instid1(VALU_DEP_2)
	s_or_b32 exec_lo, exec_lo, s21
	v_lshrrev_b32_e32 v131, 16, v34
	v_mov_b32_e32 v129, 0
	s_mov_b32 s21, exec_lo
	v_dual_mov_b32 v130, 0 :: v_dual_and_b32 v7, 0xff, v131
	s_delay_alu instid0(VALU_DEP_1)
	v_cmpx_ne_u16_e32 0, v7
	s_cbranch_execz .LBB346_203
; %bb.196:                              ;   in Loop: Header=BB346_16 Depth=1
	v_bfrev_b32_e32 v130, 1
	s_mov_b32 s22, exec_lo
	v_cmpx_ne_u16_e32 0x80, v7
	s_cbranch_execz .LBB346_202
; %bb.197:                              ;   in Loop: Header=BB346_16 Depth=1
	v_bfe_u32 v35, v34, 16, 7
	v_mov_b32_e32 v130, 0x7fc02000
	s_mov_b32 s23, exec_lo
	s_delay_alu instid0(VALU_DEP_2)
	v_cmpx_ne_u32_e32 0x7f, v35
	s_cbranch_execz .LBB346_201
; %bb.198:                              ;   in Loop: Header=BB346_16 Depth=1
	v_and_b32_e32 v7, 7, v131
	v_lshrrev_b32_e32 v130, 3, v35
	v_cmp_gt_u32_e64 s1, 8, v35
	s_delay_alu instid0(VALU_DEP_3) | instskip(NEXT) | instid1(VALU_DEP_2)
	v_dual_mov_b32 v36, v8 :: v_dual_mov_b32 v35, v7
	s_and_saveexec_b32 s24, s1
; %bb.199:                              ;   in Loop: Header=BB346_16 Depth=1
	v_clz_i32_u32_e32 v35, v7
	s_delay_alu instid0(VALU_DEP_1) | instskip(NEXT) | instid1(VALU_DEP_1)
	v_min_u32_e32 v130, 32, v35
	v_subrev_nc_u32_e32 v35, 28, v130
	v_sub_nc_u32_e32 v130, 29, v130
	s_delay_alu instid0(VALU_DEP_2) | instskip(NEXT) | instid1(VALU_DEP_1)
	v_lshlrev_b64 v[35:36], v35, v[7:8]
	v_and_b32_e32 v35, 7, v35
; %bb.200:                              ;   in Loop: Header=BB346_16 Depth=1
	s_or_b32 exec_lo, exec_lo, s24
	v_lshlrev_b32_e32 v7, 8, v131
	v_lshl_add_u32 v36, v130, 10, 0x2000
	s_delay_alu instid0(VALU_DEP_1) | instskip(NEXT) | instid1(VALU_DEP_1)
	v_and_or_b32 v7, 0x8000, v7, v36
	v_lshl_or_b32 v7, v35, 7, v7
	s_delay_alu instid0(VALU_DEP_1)
	v_cvt_f32_f16_e64 v130, v7
.LBB346_201:                            ;   in Loop: Header=BB346_16 Depth=1
	s_or_b32 exec_lo, exec_lo, s23
.LBB346_202:                            ;   in Loop: Header=BB346_16 Depth=1
	s_delay_alu instid0(SALU_CYCLE_1)
	s_or_b32 exec_lo, exec_lo, s22
.LBB346_203:                            ;   in Loop: Header=BB346_16 Depth=1
	s_delay_alu instid0(SALU_CYCLE_1) | instskip(NEXT) | instid1(SALU_CYCLE_1)
	s_or_b32 exec_lo, exec_lo, s21
	s_mov_b32 s21, exec_lo
	v_cmpx_lt_u64_e64 s[8:9], v[33:34]
	s_cbranch_execz .LBB346_211
; %bb.204:                              ;   in Loop: Header=BB346_16 Depth=1
	v_lshrrev_b32_e32 v35, 24, v34
	v_bfrev_b32_e32 v129, 1
	s_mov_b32 s22, exec_lo
	s_delay_alu instid0(VALU_DEP_2)
	v_cmpx_ne_u32_e32 0x80, v35
	s_cbranch_execz .LBB346_210
; %bb.205:                              ;   in Loop: Header=BB346_16 Depth=1
	v_and_b32_e32 v33, 0x7f, v35
	v_mov_b32_e32 v129, 0x7fc02000
	s_mov_b32 s23, exec_lo
	s_delay_alu instid0(VALU_DEP_2)
	v_cmpx_ne_u32_e32 0x7f, v33
	s_cbranch_execz .LBB346_209
; %bb.206:                              ;   in Loop: Header=BB346_16 Depth=1
	v_and_b32_e32 v7, 7, v35
	v_lshrrev_b32_e32 v36, 3, v33
	v_cmp_gt_u32_e64 s1, 8, v33
	s_delay_alu instid0(VALU_DEP_3) | instskip(NEXT) | instid1(VALU_DEP_2)
	v_dual_mov_b32 v34, v8 :: v_dual_mov_b32 v33, v7
	s_and_saveexec_b32 s24, s1
; %bb.207:                              ;   in Loop: Header=BB346_16 Depth=1
	v_clz_i32_u32_e32 v33, v7
	s_delay_alu instid0(VALU_DEP_1) | instskip(NEXT) | instid1(VALU_DEP_1)
	v_min_u32_e32 v36, 32, v33
	v_subrev_nc_u32_e32 v33, 28, v36
	v_sub_nc_u32_e32 v36, 29, v36
	s_delay_alu instid0(VALU_DEP_2) | instskip(NEXT) | instid1(VALU_DEP_1)
	v_lshlrev_b64 v[33:34], v33, v[7:8]
	v_and_b32_e32 v33, 7, v33
; %bb.208:                              ;   in Loop: Header=BB346_16 Depth=1
	s_or_b32 exec_lo, exec_lo, s24
	v_lshlrev_b32_e32 v7, 8, v35
	v_lshl_add_u32 v34, v36, 10, 0x2000
	s_delay_alu instid0(VALU_DEP_1) | instskip(NEXT) | instid1(VALU_DEP_1)
	v_and_or_b32 v7, 0x8000, v7, v34
	v_lshl_or_b32 v7, v33, 7, v7
	s_delay_alu instid0(VALU_DEP_1)
	v_cvt_f32_f16_e64 v129, v7
.LBB346_209:                            ;   in Loop: Header=BB346_16 Depth=1
	s_or_b32 exec_lo, exec_lo, s23
.LBB346_210:                            ;   in Loop: Header=BB346_16 Depth=1
	s_delay_alu instid0(SALU_CYCLE_1)
	s_or_b32 exec_lo, exec_lo, s22
.LBB346_211:                            ;   in Loop: Header=BB346_16 Depth=1
	s_delay_alu instid0(SALU_CYCLE_1)
	s_or_b32 exec_lo, exec_lo, s21
	flat_load_b64 v[33:34], v[31:32] offset:520
	v_mov_b32_e32 v131, 0
	s_mov_b32 s21, exec_lo
	s_waitcnt vmcnt(0) lgkmcnt(0)
	v_dual_mov_b32 v132, 0 :: v_dual_and_b32 v7, 0xff, v33
	s_delay_alu instid0(VALU_DEP_1)
	v_cmpx_ne_u16_e32 0, v7
	s_cbranch_execz .LBB346_219
; %bb.212:                              ;   in Loop: Header=BB346_16 Depth=1
	v_bfrev_b32_e32 v131, 1
	s_mov_b32 s22, exec_lo
	v_cmpx_ne_u16_e32 0x80, v7
	s_cbranch_execz .LBB346_218
; %bb.213:                              ;   in Loop: Header=BB346_16 Depth=1
	v_and_b32_e32 v35, 0x7f, v33
	v_mov_b32_e32 v131, 0x7fc02000
	s_mov_b32 s23, exec_lo
	s_delay_alu instid0(VALU_DEP_2)
	v_cmpx_ne_u32_e32 0x7f, v35
	s_cbranch_execz .LBB346_217
; %bb.214:                              ;   in Loop: Header=BB346_16 Depth=1
	v_lshrrev_b32_e32 v7, 3, v35
	v_cmp_gt_u32_e64 s1, 8, v35
	v_dual_mov_b32 v36, v34 :: v_dual_mov_b32 v35, v33
	s_delay_alu instid0(VALU_DEP_2)
	s_and_saveexec_b32 s24, s1
; %bb.215:                              ;   in Loop: Header=BB346_16 Depth=1
	v_and_b32_e32 v7, 7, v33
	s_delay_alu instid0(VALU_DEP_1) | instskip(NEXT) | instid1(VALU_DEP_1)
	v_clz_i32_u32_e32 v7, v7
	v_min_u32_e32 v7, 32, v7
	s_delay_alu instid0(VALU_DEP_1) | instskip(SKIP_1) | instid1(VALU_DEP_2)
	v_subrev_nc_u32_e32 v35, 28, v7
	v_sub_nc_u32_e32 v7, 29, v7
	v_lshlrev_b64 v[35:36], v35, v[33:34]
; %bb.216:                              ;   in Loop: Header=BB346_16 Depth=1
	s_or_b32 exec_lo, exec_lo, s24
	v_lshlrev_b32_e32 v36, 8, v33
	s_delay_alu instid0(VALU_DEP_3) | instskip(NEXT) | instid1(VALU_DEP_3)
	v_lshl_add_u32 v7, v7, 10, 0x2000
	v_lshlrev_b32_e32 v35, 7, v35
	s_delay_alu instid0(VALU_DEP_2) | instskip(NEXT) | instid1(VALU_DEP_1)
	v_and_or_b32 v7, 0x8000, v36, v7
	v_and_or_b32 v7, 0x380, v35, v7
	s_delay_alu instid0(VALU_DEP_1)
	v_cvt_f32_f16_e64 v131, v7
.LBB346_217:                            ;   in Loop: Header=BB346_16 Depth=1
	s_or_b32 exec_lo, exec_lo, s23
.LBB346_218:                            ;   in Loop: Header=BB346_16 Depth=1
	s_delay_alu instid0(SALU_CYCLE_1)
	s_or_b32 exec_lo, exec_lo, s22
.LBB346_219:                            ;   in Loop: Header=BB346_16 Depth=1
	s_delay_alu instid0(SALU_CYCLE_1) | instskip(SKIP_2) | instid1(VALU_DEP_1)
	s_or_b32 exec_lo, exec_lo, s21
	v_lshrrev_b16 v7, 8, v33
	s_mov_b32 s21, exec_lo
	v_cmpx_ne_u16_e32 0, v7
	s_cbranch_execz .LBB346_227
; %bb.220:                              ;   in Loop: Header=BB346_16 Depth=1
	v_bfrev_b32_e32 v132, 1
	s_mov_b32 s22, exec_lo
	v_cmpx_ne_u16_e32 0x80, v7
	s_cbranch_execz .LBB346_226
; %bb.221:                              ;   in Loop: Header=BB346_16 Depth=1
	v_and_b32_e32 v133, 0xffff, v7
	v_mov_b32_e32 v132, 0x7fc02000
	s_mov_b32 s23, exec_lo
	s_delay_alu instid0(VALU_DEP_2) | instskip(NEXT) | instid1(VALU_DEP_1)
	v_and_b32_e32 v35, 0x7f, v133
	v_cmpx_ne_u32_e32 0x7f, v35
	s_cbranch_execz .LBB346_225
; %bb.222:                              ;   in Loop: Header=BB346_16 Depth=1
	v_and_b32_e32 v7, 7, v133
	v_lshrrev_b32_e32 v132, 3, v35
	v_cmp_gt_u32_e64 s1, 8, v35
	s_delay_alu instid0(VALU_DEP_3) | instskip(NEXT) | instid1(VALU_DEP_2)
	v_dual_mov_b32 v36, v8 :: v_dual_mov_b32 v35, v7
	s_and_saveexec_b32 s24, s1
; %bb.223:                              ;   in Loop: Header=BB346_16 Depth=1
	v_clz_i32_u32_e32 v35, v7
	s_delay_alu instid0(VALU_DEP_1) | instskip(NEXT) | instid1(VALU_DEP_1)
	v_min_u32_e32 v132, 32, v35
	v_subrev_nc_u32_e32 v35, 28, v132
	v_sub_nc_u32_e32 v132, 29, v132
	s_delay_alu instid0(VALU_DEP_2) | instskip(NEXT) | instid1(VALU_DEP_1)
	v_lshlrev_b64 v[35:36], v35, v[7:8]
	v_and_b32_e32 v35, 7, v35
; %bb.224:                              ;   in Loop: Header=BB346_16 Depth=1
	s_or_b32 exec_lo, exec_lo, s24
	v_lshlrev_b32_e32 v7, 8, v133
	v_lshl_add_u32 v36, v132, 10, 0x2000
	s_delay_alu instid0(VALU_DEP_1) | instskip(NEXT) | instid1(VALU_DEP_1)
	v_and_or_b32 v7, 0x8000, v7, v36
	v_lshl_or_b32 v7, v35, 7, v7
	s_delay_alu instid0(VALU_DEP_1)
	v_cvt_f32_f16_e64 v132, v7
.LBB346_225:                            ;   in Loop: Header=BB346_16 Depth=1
	s_or_b32 exec_lo, exec_lo, s23
.LBB346_226:                            ;   in Loop: Header=BB346_16 Depth=1
	s_delay_alu instid0(SALU_CYCLE_1)
	s_or_b32 exec_lo, exec_lo, s22
.LBB346_227:                            ;   in Loop: Header=BB346_16 Depth=1
	s_delay_alu instid0(SALU_CYCLE_1) | instskip(SKIP_3) | instid1(VALU_DEP_2)
	s_or_b32 exec_lo, exec_lo, s21
	v_lshrrev_b32_e32 v135, 16, v33
	v_mov_b32_e32 v133, 0
	s_mov_b32 s21, exec_lo
	v_dual_mov_b32 v134, 0 :: v_dual_and_b32 v7, 0xff, v135
	s_delay_alu instid0(VALU_DEP_1)
	v_cmpx_ne_u16_e32 0, v7
	s_cbranch_execz .LBB346_235
; %bb.228:                              ;   in Loop: Header=BB346_16 Depth=1
	v_bfrev_b32_e32 v133, 1
	s_mov_b32 s22, exec_lo
	v_cmpx_ne_u16_e32 0x80, v7
	s_cbranch_execz .LBB346_234
; %bb.229:                              ;   in Loop: Header=BB346_16 Depth=1
	v_bfe_u32 v35, v33, 16, 7
	v_mov_b32_e32 v133, 0x7fc02000
	s_mov_b32 s23, exec_lo
	s_delay_alu instid0(VALU_DEP_2)
	v_cmpx_ne_u32_e32 0x7f, v35
	s_cbranch_execz .LBB346_233
; %bb.230:                              ;   in Loop: Header=BB346_16 Depth=1
	v_and_b32_e32 v7, 7, v135
	v_lshrrev_b32_e32 v133, 3, v35
	v_cmp_gt_u32_e64 s1, 8, v35
	s_delay_alu instid0(VALU_DEP_3) | instskip(NEXT) | instid1(VALU_DEP_2)
	v_dual_mov_b32 v36, v8 :: v_dual_mov_b32 v35, v7
	s_and_saveexec_b32 s24, s1
; %bb.231:                              ;   in Loop: Header=BB346_16 Depth=1
	v_clz_i32_u32_e32 v35, v7
	s_delay_alu instid0(VALU_DEP_1) | instskip(NEXT) | instid1(VALU_DEP_1)
	v_min_u32_e32 v133, 32, v35
	v_subrev_nc_u32_e32 v35, 28, v133
	v_sub_nc_u32_e32 v133, 29, v133
	s_delay_alu instid0(VALU_DEP_2) | instskip(NEXT) | instid1(VALU_DEP_1)
	v_lshlrev_b64 v[35:36], v35, v[7:8]
	v_and_b32_e32 v35, 7, v35
; %bb.232:                              ;   in Loop: Header=BB346_16 Depth=1
	s_or_b32 exec_lo, exec_lo, s24
	v_lshlrev_b32_e32 v7, 8, v135
	v_lshl_add_u32 v36, v133, 10, 0x2000
	s_delay_alu instid0(VALU_DEP_1) | instskip(NEXT) | instid1(VALU_DEP_1)
	v_and_or_b32 v7, 0x8000, v7, v36
	v_lshl_or_b32 v7, v35, 7, v7
	s_delay_alu instid0(VALU_DEP_1)
	v_cvt_f32_f16_e64 v133, v7
.LBB346_233:                            ;   in Loop: Header=BB346_16 Depth=1
	s_or_b32 exec_lo, exec_lo, s23
.LBB346_234:                            ;   in Loop: Header=BB346_16 Depth=1
	s_delay_alu instid0(SALU_CYCLE_1)
	s_or_b32 exec_lo, exec_lo, s22
.LBB346_235:                            ;   in Loop: Header=BB346_16 Depth=1
	s_delay_alu instid0(SALU_CYCLE_1) | instskip(NEXT) | instid1(SALU_CYCLE_1)
	s_or_b32 exec_lo, exec_lo, s21
	s_mov_b32 s21, exec_lo
	v_cmpx_lt_u32_e32 0xffffff, v33
	s_cbranch_execz .LBB346_243
; %bb.236:                              ;   in Loop: Header=BB346_16 Depth=1
	v_lshrrev_b32_e32 v135, 24, v33
	v_bfrev_b32_e32 v134, 1
	s_mov_b32 s22, exec_lo
	s_delay_alu instid0(VALU_DEP_2)
	v_cmpx_ne_u32_e32 0x80, v135
	s_cbranch_execz .LBB346_242
; %bb.237:                              ;   in Loop: Header=BB346_16 Depth=1
	v_and_b32_e32 v35, 0x7f, v135
	v_mov_b32_e32 v134, 0x7fc02000
	s_mov_b32 s23, exec_lo
	s_delay_alu instid0(VALU_DEP_2)
	v_cmpx_ne_u32_e32 0x7f, v35
	s_cbranch_execz .LBB346_241
; %bb.238:                              ;   in Loop: Header=BB346_16 Depth=1
	v_and_b32_e32 v7, 7, v135
	v_lshrrev_b32_e32 v134, 3, v35
	v_cmp_gt_u32_e64 s1, 8, v35
	s_delay_alu instid0(VALU_DEP_3) | instskip(NEXT) | instid1(VALU_DEP_2)
	v_dual_mov_b32 v36, v8 :: v_dual_mov_b32 v35, v7
	s_and_saveexec_b32 s24, s1
; %bb.239:                              ;   in Loop: Header=BB346_16 Depth=1
	v_clz_i32_u32_e32 v35, v7
	s_delay_alu instid0(VALU_DEP_1) | instskip(NEXT) | instid1(VALU_DEP_1)
	v_min_u32_e32 v134, 32, v35
	v_subrev_nc_u32_e32 v35, 28, v134
	v_sub_nc_u32_e32 v134, 29, v134
	s_delay_alu instid0(VALU_DEP_2) | instskip(NEXT) | instid1(VALU_DEP_1)
	v_lshlrev_b64 v[35:36], v35, v[7:8]
	v_and_b32_e32 v35, 7, v35
; %bb.240:                              ;   in Loop: Header=BB346_16 Depth=1
	s_or_b32 exec_lo, exec_lo, s24
	v_lshlrev_b32_e32 v7, 8, v135
	v_lshl_add_u32 v36, v134, 10, 0x2000
	s_delay_alu instid0(VALU_DEP_1) | instskip(NEXT) | instid1(VALU_DEP_1)
	v_and_or_b32 v7, 0x8000, v7, v36
	v_lshl_or_b32 v7, v35, 7, v7
	s_delay_alu instid0(VALU_DEP_1)
	v_cvt_f32_f16_e64 v134, v7
.LBB346_241:                            ;   in Loop: Header=BB346_16 Depth=1
	s_or_b32 exec_lo, exec_lo, s23
.LBB346_242:                            ;   in Loop: Header=BB346_16 Depth=1
	s_delay_alu instid0(SALU_CYCLE_1)
	s_or_b32 exec_lo, exec_lo, s22
.LBB346_243:                            ;   in Loop: Header=BB346_16 Depth=1
	s_delay_alu instid0(SALU_CYCLE_1) | instskip(SKIP_4) | instid1(VALU_DEP_3)
	s_or_b32 exec_lo, exec_lo, s21
	v_dual_mov_b32 v144, 0 :: v_dual_and_b32 v35, 0xff, v34
	v_mov_b32_e32 v7, v34
	v_mov_b32_e32 v135, 0
	s_mov_b32 s21, exec_lo
	v_cmpx_ne_u16_e32 0, v35
	s_cbranch_execz .LBB346_251
; %bb.244:                              ;   in Loop: Header=BB346_16 Depth=1
	v_bfrev_b32_e32 v135, 1
	s_mov_b32 s22, exec_lo
	v_cmpx_ne_u16_e32 0x80, v35
	s_cbranch_execz .LBB346_250
; %bb.245:                              ;   in Loop: Header=BB346_16 Depth=1
	v_and_b32_e32 v35, 0x7f, v34
	v_mov_b32_e32 v135, 0x7fc02000
	s_mov_b32 s23, exec_lo
	s_delay_alu instid0(VALU_DEP_2)
	v_cmpx_ne_u32_e32 0x7f, v35
	s_cbranch_execz .LBB346_249
; %bb.246:                              ;   in Loop: Header=BB346_16 Depth=1
	v_lshrrev_b32_e32 v135, 3, v35
	v_cmp_gt_u32_e64 s1, 8, v35
	v_dual_mov_b32 v36, v8 :: v_dual_mov_b32 v35, v7
	s_delay_alu instid0(VALU_DEP_2)
	s_and_saveexec_b32 s24, s1
; %bb.247:                              ;   in Loop: Header=BB346_16 Depth=1
	v_and_b32_e32 v35, 7, v34
	s_delay_alu instid0(VALU_DEP_1) | instskip(NEXT) | instid1(VALU_DEP_1)
	v_clz_i32_u32_e32 v35, v35
	v_min_u32_e32 v135, 32, v35
	s_delay_alu instid0(VALU_DEP_1) | instskip(SKIP_1) | instid1(VALU_DEP_2)
	v_subrev_nc_u32_e32 v35, 28, v135
	v_sub_nc_u32_e32 v135, 29, v135
	v_lshlrev_b64 v[35:36], v35, v[7:8]
; %bb.248:                              ;   in Loop: Header=BB346_16 Depth=1
	s_or_b32 exec_lo, exec_lo, s24
	v_lshlrev_b32_e32 v36, 8, v34
	s_delay_alu instid0(VALU_DEP_3) | instskip(NEXT) | instid1(VALU_DEP_3)
	v_lshl_add_u32 v135, v135, 10, 0x2000
	v_lshlrev_b32_e32 v35, 7, v35
	s_delay_alu instid0(VALU_DEP_2) | instskip(NEXT) | instid1(VALU_DEP_1)
	v_and_or_b32 v36, 0x8000, v36, v135
	v_and_or_b32 v35, 0x380, v35, v36
	s_delay_alu instid0(VALU_DEP_1)
	v_cvt_f32_f16_e64 v135, v35
.LBB346_249:                            ;   in Loop: Header=BB346_16 Depth=1
	s_or_b32 exec_lo, exec_lo, s23
.LBB346_250:                            ;   in Loop: Header=BB346_16 Depth=1
	s_delay_alu instid0(SALU_CYCLE_1)
	s_or_b32 exec_lo, exec_lo, s22
.LBB346_251:                            ;   in Loop: Header=BB346_16 Depth=1
	s_delay_alu instid0(SALU_CYCLE_1) | instskip(SKIP_2) | instid1(VALU_DEP_1)
	s_or_b32 exec_lo, exec_lo, s21
	v_lshrrev_b16 v7, 8, v7
	s_mov_b32 s21, exec_lo
	v_cmpx_ne_u16_e32 0, v7
	s_cbranch_execz .LBB346_259
; %bb.252:                              ;   in Loop: Header=BB346_16 Depth=1
	v_bfrev_b32_e32 v144, 1
	s_mov_b32 s22, exec_lo
	v_cmpx_ne_u16_e32 0x80, v7
	s_cbranch_execz .LBB346_258
; %bb.253:                              ;   in Loop: Header=BB346_16 Depth=1
	v_and_b32_e32 v145, 0xffff, v7
	v_mov_b32_e32 v144, 0x7fc02000
	s_mov_b32 s23, exec_lo
	s_delay_alu instid0(VALU_DEP_2) | instskip(NEXT) | instid1(VALU_DEP_1)
	v_and_b32_e32 v35, 0x7f, v145
	v_cmpx_ne_u32_e32 0x7f, v35
	s_cbranch_execz .LBB346_257
; %bb.254:                              ;   in Loop: Header=BB346_16 Depth=1
	v_and_b32_e32 v7, 7, v145
	v_lshrrev_b32_e32 v144, 3, v35
	v_cmp_gt_u32_e64 s1, 8, v35
	s_delay_alu instid0(VALU_DEP_3) | instskip(NEXT) | instid1(VALU_DEP_2)
	v_dual_mov_b32 v36, v8 :: v_dual_mov_b32 v35, v7
	s_and_saveexec_b32 s24, s1
; %bb.255:                              ;   in Loop: Header=BB346_16 Depth=1
	v_clz_i32_u32_e32 v35, v7
	s_delay_alu instid0(VALU_DEP_1) | instskip(NEXT) | instid1(VALU_DEP_1)
	v_min_u32_e32 v144, 32, v35
	v_subrev_nc_u32_e32 v35, 28, v144
	v_sub_nc_u32_e32 v144, 29, v144
	s_delay_alu instid0(VALU_DEP_2) | instskip(NEXT) | instid1(VALU_DEP_1)
	v_lshlrev_b64 v[35:36], v35, v[7:8]
	v_and_b32_e32 v35, 7, v35
; %bb.256:                              ;   in Loop: Header=BB346_16 Depth=1
	s_or_b32 exec_lo, exec_lo, s24
	v_lshlrev_b32_e32 v7, 8, v145
	v_lshl_add_u32 v36, v144, 10, 0x2000
	s_delay_alu instid0(VALU_DEP_1) | instskip(NEXT) | instid1(VALU_DEP_1)
	v_and_or_b32 v7, 0x8000, v7, v36
	v_lshl_or_b32 v7, v35, 7, v7
	s_delay_alu instid0(VALU_DEP_1)
	v_cvt_f32_f16_e64 v144, v7
.LBB346_257:                            ;   in Loop: Header=BB346_16 Depth=1
	s_or_b32 exec_lo, exec_lo, s23
.LBB346_258:                            ;   in Loop: Header=BB346_16 Depth=1
	s_delay_alu instid0(SALU_CYCLE_1)
	s_or_b32 exec_lo, exec_lo, s22
.LBB346_259:                            ;   in Loop: Header=BB346_16 Depth=1
	s_delay_alu instid0(SALU_CYCLE_1) | instskip(SKIP_3) | instid1(VALU_DEP_2)
	s_or_b32 exec_lo, exec_lo, s21
	v_lshrrev_b32_e32 v147, 16, v34
	v_mov_b32_e32 v145, 0
	s_mov_b32 s21, exec_lo
	v_dual_mov_b32 v146, 0 :: v_dual_and_b32 v7, 0xff, v147
	s_delay_alu instid0(VALU_DEP_1)
	v_cmpx_ne_u16_e32 0, v7
	s_cbranch_execz .LBB346_267
; %bb.260:                              ;   in Loop: Header=BB346_16 Depth=1
	v_bfrev_b32_e32 v146, 1
	s_mov_b32 s22, exec_lo
	v_cmpx_ne_u16_e32 0x80, v7
	s_cbranch_execz .LBB346_266
; %bb.261:                              ;   in Loop: Header=BB346_16 Depth=1
	v_bfe_u32 v35, v34, 16, 7
	v_mov_b32_e32 v146, 0x7fc02000
	s_mov_b32 s23, exec_lo
	s_delay_alu instid0(VALU_DEP_2)
	v_cmpx_ne_u32_e32 0x7f, v35
	s_cbranch_execz .LBB346_265
; %bb.262:                              ;   in Loop: Header=BB346_16 Depth=1
	v_and_b32_e32 v7, 7, v147
	v_lshrrev_b32_e32 v146, 3, v35
	v_cmp_gt_u32_e64 s1, 8, v35
	s_delay_alu instid0(VALU_DEP_3) | instskip(NEXT) | instid1(VALU_DEP_2)
	v_dual_mov_b32 v36, v8 :: v_dual_mov_b32 v35, v7
	s_and_saveexec_b32 s24, s1
; %bb.263:                              ;   in Loop: Header=BB346_16 Depth=1
	v_clz_i32_u32_e32 v35, v7
	s_delay_alu instid0(VALU_DEP_1) | instskip(NEXT) | instid1(VALU_DEP_1)
	v_min_u32_e32 v146, 32, v35
	v_subrev_nc_u32_e32 v35, 28, v146
	v_sub_nc_u32_e32 v146, 29, v146
	s_delay_alu instid0(VALU_DEP_2) | instskip(NEXT) | instid1(VALU_DEP_1)
	v_lshlrev_b64 v[35:36], v35, v[7:8]
	v_and_b32_e32 v35, 7, v35
; %bb.264:                              ;   in Loop: Header=BB346_16 Depth=1
	s_or_b32 exec_lo, exec_lo, s24
	v_lshlrev_b32_e32 v7, 8, v147
	v_lshl_add_u32 v36, v146, 10, 0x2000
	s_delay_alu instid0(VALU_DEP_1) | instskip(NEXT) | instid1(VALU_DEP_1)
	v_and_or_b32 v7, 0x8000, v7, v36
	v_lshl_or_b32 v7, v35, 7, v7
	s_delay_alu instid0(VALU_DEP_1)
	v_cvt_f32_f16_e64 v146, v7
.LBB346_265:                            ;   in Loop: Header=BB346_16 Depth=1
	s_or_b32 exec_lo, exec_lo, s23
.LBB346_266:                            ;   in Loop: Header=BB346_16 Depth=1
	s_delay_alu instid0(SALU_CYCLE_1)
	s_or_b32 exec_lo, exec_lo, s22
.LBB346_267:                            ;   in Loop: Header=BB346_16 Depth=1
	s_delay_alu instid0(SALU_CYCLE_1) | instskip(NEXT) | instid1(SALU_CYCLE_1)
	s_or_b32 exec_lo, exec_lo, s21
	s_mov_b32 s21, exec_lo
	v_cmpx_lt_u64_e64 s[8:9], v[33:34]
	s_cbranch_execz .LBB346_275
; %bb.268:                              ;   in Loop: Header=BB346_16 Depth=1
	v_lshrrev_b32_e32 v35, 24, v34
	v_bfrev_b32_e32 v145, 1
	s_mov_b32 s22, exec_lo
	s_delay_alu instid0(VALU_DEP_2)
	v_cmpx_ne_u32_e32 0x80, v35
	s_cbranch_execz .LBB346_274
; %bb.269:                              ;   in Loop: Header=BB346_16 Depth=1
	v_and_b32_e32 v33, 0x7f, v35
	v_mov_b32_e32 v145, 0x7fc02000
	s_mov_b32 s23, exec_lo
	s_delay_alu instid0(VALU_DEP_2)
	v_cmpx_ne_u32_e32 0x7f, v33
	s_cbranch_execz .LBB346_273
; %bb.270:                              ;   in Loop: Header=BB346_16 Depth=1
	v_and_b32_e32 v7, 7, v35
	v_lshrrev_b32_e32 v36, 3, v33
	v_cmp_gt_u32_e64 s1, 8, v33
	s_delay_alu instid0(VALU_DEP_3) | instskip(NEXT) | instid1(VALU_DEP_2)
	v_dual_mov_b32 v34, v8 :: v_dual_mov_b32 v33, v7
	s_and_saveexec_b32 s24, s1
; %bb.271:                              ;   in Loop: Header=BB346_16 Depth=1
	v_clz_i32_u32_e32 v33, v7
	s_delay_alu instid0(VALU_DEP_1) | instskip(NEXT) | instid1(VALU_DEP_1)
	v_min_u32_e32 v36, 32, v33
	v_subrev_nc_u32_e32 v33, 28, v36
	v_sub_nc_u32_e32 v36, 29, v36
	s_delay_alu instid0(VALU_DEP_2) | instskip(NEXT) | instid1(VALU_DEP_1)
	v_lshlrev_b64 v[33:34], v33, v[7:8]
	v_and_b32_e32 v33, 7, v33
; %bb.272:                              ;   in Loop: Header=BB346_16 Depth=1
	s_or_b32 exec_lo, exec_lo, s24
	v_lshlrev_b32_e32 v7, 8, v35
	v_lshl_add_u32 v34, v36, 10, 0x2000
	s_delay_alu instid0(VALU_DEP_1) | instskip(NEXT) | instid1(VALU_DEP_1)
	v_and_or_b32 v7, 0x8000, v7, v34
	v_lshl_or_b32 v7, v33, 7, v7
	s_delay_alu instid0(VALU_DEP_1)
	v_cvt_f32_f16_e64 v145, v7
.LBB346_273:                            ;   in Loop: Header=BB346_16 Depth=1
	s_or_b32 exec_lo, exec_lo, s23
.LBB346_274:                            ;   in Loop: Header=BB346_16 Depth=1
	s_delay_alu instid0(SALU_CYCLE_1)
	s_or_b32 exec_lo, exec_lo, s22
.LBB346_275:                            ;   in Loop: Header=BB346_16 Depth=1
	s_delay_alu instid0(SALU_CYCLE_1)
	s_or_b32 exec_lo, exec_lo, s21
	flat_load_b64 v[33:34], v[31:32] offset:1024
	v_mov_b32_e32 v147, 0
	s_mov_b32 s21, exec_lo
	s_waitcnt vmcnt(0) lgkmcnt(0)
	v_dual_mov_b32 v148, 0 :: v_dual_and_b32 v7, 0xff, v33
	s_delay_alu instid0(VALU_DEP_1)
	v_cmpx_ne_u16_e32 0, v7
	s_cbranch_execz .LBB346_283
; %bb.276:                              ;   in Loop: Header=BB346_16 Depth=1
	v_bfrev_b32_e32 v147, 1
	s_mov_b32 s22, exec_lo
	v_cmpx_ne_u16_e32 0x80, v7
	s_cbranch_execz .LBB346_282
; %bb.277:                              ;   in Loop: Header=BB346_16 Depth=1
	v_and_b32_e32 v35, 0x7f, v33
	v_mov_b32_e32 v147, 0x7fc02000
	s_mov_b32 s23, exec_lo
	s_delay_alu instid0(VALU_DEP_2)
	v_cmpx_ne_u32_e32 0x7f, v35
	s_cbranch_execz .LBB346_281
; %bb.278:                              ;   in Loop: Header=BB346_16 Depth=1
	v_lshrrev_b32_e32 v7, 3, v35
	v_cmp_gt_u32_e64 s1, 8, v35
	v_dual_mov_b32 v36, v34 :: v_dual_mov_b32 v35, v33
	s_delay_alu instid0(VALU_DEP_2)
	s_and_saveexec_b32 s24, s1
; %bb.279:                              ;   in Loop: Header=BB346_16 Depth=1
	v_and_b32_e32 v7, 7, v33
	s_delay_alu instid0(VALU_DEP_1) | instskip(NEXT) | instid1(VALU_DEP_1)
	v_clz_i32_u32_e32 v7, v7
	v_min_u32_e32 v7, 32, v7
	s_delay_alu instid0(VALU_DEP_1) | instskip(SKIP_1) | instid1(VALU_DEP_2)
	v_subrev_nc_u32_e32 v35, 28, v7
	v_sub_nc_u32_e32 v7, 29, v7
	v_lshlrev_b64 v[35:36], v35, v[33:34]
; %bb.280:                              ;   in Loop: Header=BB346_16 Depth=1
	s_or_b32 exec_lo, exec_lo, s24
	v_lshlrev_b32_e32 v36, 8, v33
	s_delay_alu instid0(VALU_DEP_3) | instskip(NEXT) | instid1(VALU_DEP_3)
	v_lshl_add_u32 v7, v7, 10, 0x2000
	v_lshlrev_b32_e32 v35, 7, v35
	s_delay_alu instid0(VALU_DEP_2) | instskip(NEXT) | instid1(VALU_DEP_1)
	v_and_or_b32 v7, 0x8000, v36, v7
	v_and_or_b32 v7, 0x380, v35, v7
	s_delay_alu instid0(VALU_DEP_1)
	v_cvt_f32_f16_e64 v147, v7
.LBB346_281:                            ;   in Loop: Header=BB346_16 Depth=1
	s_or_b32 exec_lo, exec_lo, s23
.LBB346_282:                            ;   in Loop: Header=BB346_16 Depth=1
	s_delay_alu instid0(SALU_CYCLE_1)
	s_or_b32 exec_lo, exec_lo, s22
.LBB346_283:                            ;   in Loop: Header=BB346_16 Depth=1
	s_delay_alu instid0(SALU_CYCLE_1) | instskip(SKIP_2) | instid1(VALU_DEP_1)
	s_or_b32 exec_lo, exec_lo, s21
	v_lshrrev_b16 v7, 8, v33
	s_mov_b32 s21, exec_lo
	v_cmpx_ne_u16_e32 0, v7
	s_cbranch_execz .LBB346_291
; %bb.284:                              ;   in Loop: Header=BB346_16 Depth=1
	v_bfrev_b32_e32 v148, 1
	s_mov_b32 s22, exec_lo
	v_cmpx_ne_u16_e32 0x80, v7
	s_cbranch_execz .LBB346_290
; %bb.285:                              ;   in Loop: Header=BB346_16 Depth=1
	v_and_b32_e32 v149, 0xffff, v7
	v_mov_b32_e32 v148, 0x7fc02000
	s_mov_b32 s23, exec_lo
	s_delay_alu instid0(VALU_DEP_2) | instskip(NEXT) | instid1(VALU_DEP_1)
	v_and_b32_e32 v35, 0x7f, v149
	v_cmpx_ne_u32_e32 0x7f, v35
	s_cbranch_execz .LBB346_289
; %bb.286:                              ;   in Loop: Header=BB346_16 Depth=1
	v_and_b32_e32 v7, 7, v149
	v_lshrrev_b32_e32 v148, 3, v35
	v_cmp_gt_u32_e64 s1, 8, v35
	s_delay_alu instid0(VALU_DEP_3) | instskip(NEXT) | instid1(VALU_DEP_2)
	v_dual_mov_b32 v36, v8 :: v_dual_mov_b32 v35, v7
	s_and_saveexec_b32 s24, s1
; %bb.287:                              ;   in Loop: Header=BB346_16 Depth=1
	v_clz_i32_u32_e32 v35, v7
	s_delay_alu instid0(VALU_DEP_1) | instskip(NEXT) | instid1(VALU_DEP_1)
	v_min_u32_e32 v148, 32, v35
	v_subrev_nc_u32_e32 v35, 28, v148
	v_sub_nc_u32_e32 v148, 29, v148
	s_delay_alu instid0(VALU_DEP_2) | instskip(NEXT) | instid1(VALU_DEP_1)
	v_lshlrev_b64 v[35:36], v35, v[7:8]
	v_and_b32_e32 v35, 7, v35
; %bb.288:                              ;   in Loop: Header=BB346_16 Depth=1
	s_or_b32 exec_lo, exec_lo, s24
	v_lshlrev_b32_e32 v7, 8, v149
	v_lshl_add_u32 v36, v148, 10, 0x2000
	s_delay_alu instid0(VALU_DEP_1) | instskip(NEXT) | instid1(VALU_DEP_1)
	v_and_or_b32 v7, 0x8000, v7, v36
	v_lshl_or_b32 v7, v35, 7, v7
	s_delay_alu instid0(VALU_DEP_1)
	v_cvt_f32_f16_e64 v148, v7
.LBB346_289:                            ;   in Loop: Header=BB346_16 Depth=1
	s_or_b32 exec_lo, exec_lo, s23
.LBB346_290:                            ;   in Loop: Header=BB346_16 Depth=1
	s_delay_alu instid0(SALU_CYCLE_1)
	s_or_b32 exec_lo, exec_lo, s22
.LBB346_291:                            ;   in Loop: Header=BB346_16 Depth=1
	s_delay_alu instid0(SALU_CYCLE_1) | instskip(SKIP_3) | instid1(VALU_DEP_2)
	s_or_b32 exec_lo, exec_lo, s21
	v_lshrrev_b32_e32 v151, 16, v33
	v_mov_b32_e32 v149, 0
	s_mov_b32 s21, exec_lo
	v_dual_mov_b32 v150, 0 :: v_dual_and_b32 v7, 0xff, v151
	s_delay_alu instid0(VALU_DEP_1)
	v_cmpx_ne_u16_e32 0, v7
	s_cbranch_execz .LBB346_299
; %bb.292:                              ;   in Loop: Header=BB346_16 Depth=1
	v_bfrev_b32_e32 v149, 1
	s_mov_b32 s22, exec_lo
	v_cmpx_ne_u16_e32 0x80, v7
	s_cbranch_execz .LBB346_298
; %bb.293:                              ;   in Loop: Header=BB346_16 Depth=1
	v_bfe_u32 v35, v33, 16, 7
	v_mov_b32_e32 v149, 0x7fc02000
	s_mov_b32 s23, exec_lo
	s_delay_alu instid0(VALU_DEP_2)
	v_cmpx_ne_u32_e32 0x7f, v35
	s_cbranch_execz .LBB346_297
; %bb.294:                              ;   in Loop: Header=BB346_16 Depth=1
	v_and_b32_e32 v7, 7, v151
	v_lshrrev_b32_e32 v149, 3, v35
	v_cmp_gt_u32_e64 s1, 8, v35
	s_delay_alu instid0(VALU_DEP_3) | instskip(NEXT) | instid1(VALU_DEP_2)
	v_dual_mov_b32 v36, v8 :: v_dual_mov_b32 v35, v7
	s_and_saveexec_b32 s24, s1
; %bb.295:                              ;   in Loop: Header=BB346_16 Depth=1
	v_clz_i32_u32_e32 v35, v7
	s_delay_alu instid0(VALU_DEP_1) | instskip(NEXT) | instid1(VALU_DEP_1)
	v_min_u32_e32 v149, 32, v35
	v_subrev_nc_u32_e32 v35, 28, v149
	v_sub_nc_u32_e32 v149, 29, v149
	s_delay_alu instid0(VALU_DEP_2) | instskip(NEXT) | instid1(VALU_DEP_1)
	v_lshlrev_b64 v[35:36], v35, v[7:8]
	v_and_b32_e32 v35, 7, v35
; %bb.296:                              ;   in Loop: Header=BB346_16 Depth=1
	s_or_b32 exec_lo, exec_lo, s24
	v_lshlrev_b32_e32 v7, 8, v151
	v_lshl_add_u32 v36, v149, 10, 0x2000
	s_delay_alu instid0(VALU_DEP_1) | instskip(NEXT) | instid1(VALU_DEP_1)
	v_and_or_b32 v7, 0x8000, v7, v36
	v_lshl_or_b32 v7, v35, 7, v7
	s_delay_alu instid0(VALU_DEP_1)
	v_cvt_f32_f16_e64 v149, v7
.LBB346_297:                            ;   in Loop: Header=BB346_16 Depth=1
	s_or_b32 exec_lo, exec_lo, s23
.LBB346_298:                            ;   in Loop: Header=BB346_16 Depth=1
	s_delay_alu instid0(SALU_CYCLE_1)
	s_or_b32 exec_lo, exec_lo, s22
.LBB346_299:                            ;   in Loop: Header=BB346_16 Depth=1
	s_delay_alu instid0(SALU_CYCLE_1) | instskip(NEXT) | instid1(SALU_CYCLE_1)
	s_or_b32 exec_lo, exec_lo, s21
	s_mov_b32 s21, exec_lo
	v_cmpx_lt_u32_e32 0xffffff, v33
	s_cbranch_execz .LBB346_307
; %bb.300:                              ;   in Loop: Header=BB346_16 Depth=1
	v_lshrrev_b32_e32 v151, 24, v33
	v_bfrev_b32_e32 v150, 1
	s_mov_b32 s22, exec_lo
	s_delay_alu instid0(VALU_DEP_2)
	v_cmpx_ne_u32_e32 0x80, v151
	s_cbranch_execz .LBB346_306
; %bb.301:                              ;   in Loop: Header=BB346_16 Depth=1
	v_and_b32_e32 v35, 0x7f, v151
	v_mov_b32_e32 v150, 0x7fc02000
	s_mov_b32 s23, exec_lo
	s_delay_alu instid0(VALU_DEP_2)
	v_cmpx_ne_u32_e32 0x7f, v35
	s_cbranch_execz .LBB346_305
; %bb.302:                              ;   in Loop: Header=BB346_16 Depth=1
	v_and_b32_e32 v7, 7, v151
	v_lshrrev_b32_e32 v150, 3, v35
	v_cmp_gt_u32_e64 s1, 8, v35
	s_delay_alu instid0(VALU_DEP_3) | instskip(NEXT) | instid1(VALU_DEP_2)
	v_dual_mov_b32 v36, v8 :: v_dual_mov_b32 v35, v7
	s_and_saveexec_b32 s24, s1
; %bb.303:                              ;   in Loop: Header=BB346_16 Depth=1
	v_clz_i32_u32_e32 v35, v7
	s_delay_alu instid0(VALU_DEP_1) | instskip(NEXT) | instid1(VALU_DEP_1)
	v_min_u32_e32 v150, 32, v35
	v_subrev_nc_u32_e32 v35, 28, v150
	v_sub_nc_u32_e32 v150, 29, v150
	s_delay_alu instid0(VALU_DEP_2) | instskip(NEXT) | instid1(VALU_DEP_1)
	v_lshlrev_b64 v[35:36], v35, v[7:8]
	v_and_b32_e32 v35, 7, v35
; %bb.304:                              ;   in Loop: Header=BB346_16 Depth=1
	s_or_b32 exec_lo, exec_lo, s24
	v_lshlrev_b32_e32 v7, 8, v151
	v_lshl_add_u32 v36, v150, 10, 0x2000
	s_delay_alu instid0(VALU_DEP_1) | instskip(NEXT) | instid1(VALU_DEP_1)
	v_and_or_b32 v7, 0x8000, v7, v36
	v_lshl_or_b32 v7, v35, 7, v7
	s_delay_alu instid0(VALU_DEP_1)
	v_cvt_f32_f16_e64 v150, v7
.LBB346_305:                            ;   in Loop: Header=BB346_16 Depth=1
	s_or_b32 exec_lo, exec_lo, s23
.LBB346_306:                            ;   in Loop: Header=BB346_16 Depth=1
	s_delay_alu instid0(SALU_CYCLE_1)
	s_or_b32 exec_lo, exec_lo, s22
.LBB346_307:                            ;   in Loop: Header=BB346_16 Depth=1
	s_delay_alu instid0(SALU_CYCLE_1) | instskip(SKIP_4) | instid1(VALU_DEP_3)
	s_or_b32 exec_lo, exec_lo, s21
	v_dual_mov_b32 v160, 0 :: v_dual_and_b32 v35, 0xff, v34
	v_mov_b32_e32 v7, v34
	v_mov_b32_e32 v151, 0
	s_mov_b32 s21, exec_lo
	v_cmpx_ne_u16_e32 0, v35
	s_cbranch_execz .LBB346_315
; %bb.308:                              ;   in Loop: Header=BB346_16 Depth=1
	v_bfrev_b32_e32 v151, 1
	s_mov_b32 s22, exec_lo
	v_cmpx_ne_u16_e32 0x80, v35
	s_cbranch_execz .LBB346_314
; %bb.309:                              ;   in Loop: Header=BB346_16 Depth=1
	v_and_b32_e32 v35, 0x7f, v34
	v_mov_b32_e32 v151, 0x7fc02000
	s_mov_b32 s23, exec_lo
	s_delay_alu instid0(VALU_DEP_2)
	v_cmpx_ne_u32_e32 0x7f, v35
	s_cbranch_execz .LBB346_313
; %bb.310:                              ;   in Loop: Header=BB346_16 Depth=1
	v_lshrrev_b32_e32 v151, 3, v35
	v_cmp_gt_u32_e64 s1, 8, v35
	v_dual_mov_b32 v36, v8 :: v_dual_mov_b32 v35, v7
	s_delay_alu instid0(VALU_DEP_2)
	s_and_saveexec_b32 s24, s1
; %bb.311:                              ;   in Loop: Header=BB346_16 Depth=1
	v_and_b32_e32 v35, 7, v34
	s_delay_alu instid0(VALU_DEP_1) | instskip(NEXT) | instid1(VALU_DEP_1)
	v_clz_i32_u32_e32 v35, v35
	v_min_u32_e32 v151, 32, v35
	s_delay_alu instid0(VALU_DEP_1) | instskip(SKIP_1) | instid1(VALU_DEP_2)
	v_subrev_nc_u32_e32 v35, 28, v151
	v_sub_nc_u32_e32 v151, 29, v151
	v_lshlrev_b64 v[35:36], v35, v[7:8]
; %bb.312:                              ;   in Loop: Header=BB346_16 Depth=1
	s_or_b32 exec_lo, exec_lo, s24
	v_lshlrev_b32_e32 v36, 8, v34
	s_delay_alu instid0(VALU_DEP_3) | instskip(NEXT) | instid1(VALU_DEP_3)
	v_lshl_add_u32 v151, v151, 10, 0x2000
	v_lshlrev_b32_e32 v35, 7, v35
	s_delay_alu instid0(VALU_DEP_2) | instskip(NEXT) | instid1(VALU_DEP_1)
	v_and_or_b32 v36, 0x8000, v36, v151
	v_and_or_b32 v35, 0x380, v35, v36
	s_delay_alu instid0(VALU_DEP_1)
	v_cvt_f32_f16_e64 v151, v35
.LBB346_313:                            ;   in Loop: Header=BB346_16 Depth=1
	s_or_b32 exec_lo, exec_lo, s23
.LBB346_314:                            ;   in Loop: Header=BB346_16 Depth=1
	s_delay_alu instid0(SALU_CYCLE_1)
	s_or_b32 exec_lo, exec_lo, s22
.LBB346_315:                            ;   in Loop: Header=BB346_16 Depth=1
	s_delay_alu instid0(SALU_CYCLE_1) | instskip(SKIP_2) | instid1(VALU_DEP_1)
	s_or_b32 exec_lo, exec_lo, s21
	v_lshrrev_b16 v7, 8, v7
	s_mov_b32 s21, exec_lo
	v_cmpx_ne_u16_e32 0, v7
	s_cbranch_execz .LBB346_323
; %bb.316:                              ;   in Loop: Header=BB346_16 Depth=1
	v_bfrev_b32_e32 v160, 1
	s_mov_b32 s22, exec_lo
	v_cmpx_ne_u16_e32 0x80, v7
	s_cbranch_execz .LBB346_322
; %bb.317:                              ;   in Loop: Header=BB346_16 Depth=1
	v_and_b32_e32 v161, 0xffff, v7
	v_mov_b32_e32 v160, 0x7fc02000
	s_mov_b32 s23, exec_lo
	s_delay_alu instid0(VALU_DEP_2) | instskip(NEXT) | instid1(VALU_DEP_1)
	v_and_b32_e32 v35, 0x7f, v161
	v_cmpx_ne_u32_e32 0x7f, v35
	s_cbranch_execz .LBB346_321
; %bb.318:                              ;   in Loop: Header=BB346_16 Depth=1
	v_and_b32_e32 v7, 7, v161
	v_lshrrev_b32_e32 v160, 3, v35
	v_cmp_gt_u32_e64 s1, 8, v35
	s_delay_alu instid0(VALU_DEP_3) | instskip(NEXT) | instid1(VALU_DEP_2)
	v_dual_mov_b32 v36, v8 :: v_dual_mov_b32 v35, v7
	s_and_saveexec_b32 s24, s1
; %bb.319:                              ;   in Loop: Header=BB346_16 Depth=1
	v_clz_i32_u32_e32 v35, v7
	s_delay_alu instid0(VALU_DEP_1) | instskip(NEXT) | instid1(VALU_DEP_1)
	v_min_u32_e32 v160, 32, v35
	v_subrev_nc_u32_e32 v35, 28, v160
	v_sub_nc_u32_e32 v160, 29, v160
	s_delay_alu instid0(VALU_DEP_2) | instskip(NEXT) | instid1(VALU_DEP_1)
	v_lshlrev_b64 v[35:36], v35, v[7:8]
	v_and_b32_e32 v35, 7, v35
; %bb.320:                              ;   in Loop: Header=BB346_16 Depth=1
	s_or_b32 exec_lo, exec_lo, s24
	v_lshlrev_b32_e32 v7, 8, v161
	v_lshl_add_u32 v36, v160, 10, 0x2000
	s_delay_alu instid0(VALU_DEP_1) | instskip(NEXT) | instid1(VALU_DEP_1)
	v_and_or_b32 v7, 0x8000, v7, v36
	v_lshl_or_b32 v7, v35, 7, v7
	s_delay_alu instid0(VALU_DEP_1)
	v_cvt_f32_f16_e64 v160, v7
.LBB346_321:                            ;   in Loop: Header=BB346_16 Depth=1
	s_or_b32 exec_lo, exec_lo, s23
.LBB346_322:                            ;   in Loop: Header=BB346_16 Depth=1
	s_delay_alu instid0(SALU_CYCLE_1)
	s_or_b32 exec_lo, exec_lo, s22
.LBB346_323:                            ;   in Loop: Header=BB346_16 Depth=1
	s_delay_alu instid0(SALU_CYCLE_1) | instskip(SKIP_3) | instid1(VALU_DEP_2)
	s_or_b32 exec_lo, exec_lo, s21
	v_lshrrev_b32_e32 v163, 16, v34
	v_mov_b32_e32 v161, 0
	s_mov_b32 s21, exec_lo
	v_dual_mov_b32 v162, 0 :: v_dual_and_b32 v7, 0xff, v163
	s_delay_alu instid0(VALU_DEP_1)
	v_cmpx_ne_u16_e32 0, v7
	s_cbranch_execz .LBB346_331
; %bb.324:                              ;   in Loop: Header=BB346_16 Depth=1
	v_bfrev_b32_e32 v162, 1
	s_mov_b32 s22, exec_lo
	v_cmpx_ne_u16_e32 0x80, v7
	s_cbranch_execz .LBB346_330
; %bb.325:                              ;   in Loop: Header=BB346_16 Depth=1
	v_bfe_u32 v35, v34, 16, 7
	v_mov_b32_e32 v162, 0x7fc02000
	s_mov_b32 s23, exec_lo
	s_delay_alu instid0(VALU_DEP_2)
	v_cmpx_ne_u32_e32 0x7f, v35
	s_cbranch_execz .LBB346_329
; %bb.326:                              ;   in Loop: Header=BB346_16 Depth=1
	v_and_b32_e32 v7, 7, v163
	v_lshrrev_b32_e32 v162, 3, v35
	v_cmp_gt_u32_e64 s1, 8, v35
	s_delay_alu instid0(VALU_DEP_3) | instskip(NEXT) | instid1(VALU_DEP_2)
	v_dual_mov_b32 v36, v8 :: v_dual_mov_b32 v35, v7
	s_and_saveexec_b32 s24, s1
; %bb.327:                              ;   in Loop: Header=BB346_16 Depth=1
	v_clz_i32_u32_e32 v35, v7
	s_delay_alu instid0(VALU_DEP_1) | instskip(NEXT) | instid1(VALU_DEP_1)
	v_min_u32_e32 v162, 32, v35
	v_subrev_nc_u32_e32 v35, 28, v162
	v_sub_nc_u32_e32 v162, 29, v162
	s_delay_alu instid0(VALU_DEP_2) | instskip(NEXT) | instid1(VALU_DEP_1)
	v_lshlrev_b64 v[35:36], v35, v[7:8]
	v_and_b32_e32 v35, 7, v35
; %bb.328:                              ;   in Loop: Header=BB346_16 Depth=1
	s_or_b32 exec_lo, exec_lo, s24
	v_lshlrev_b32_e32 v7, 8, v163
	v_lshl_add_u32 v36, v162, 10, 0x2000
	s_delay_alu instid0(VALU_DEP_1) | instskip(NEXT) | instid1(VALU_DEP_1)
	v_and_or_b32 v7, 0x8000, v7, v36
	v_lshl_or_b32 v7, v35, 7, v7
	s_delay_alu instid0(VALU_DEP_1)
	v_cvt_f32_f16_e64 v162, v7
.LBB346_329:                            ;   in Loop: Header=BB346_16 Depth=1
	s_or_b32 exec_lo, exec_lo, s23
.LBB346_330:                            ;   in Loop: Header=BB346_16 Depth=1
	s_delay_alu instid0(SALU_CYCLE_1)
	s_or_b32 exec_lo, exec_lo, s22
.LBB346_331:                            ;   in Loop: Header=BB346_16 Depth=1
	s_delay_alu instid0(SALU_CYCLE_1) | instskip(NEXT) | instid1(SALU_CYCLE_1)
	s_or_b32 exec_lo, exec_lo, s21
	s_mov_b32 s21, exec_lo
	v_cmpx_lt_u64_e64 s[8:9], v[33:34]
	s_cbranch_execz .LBB346_339
; %bb.332:                              ;   in Loop: Header=BB346_16 Depth=1
	v_lshrrev_b32_e32 v35, 24, v34
	v_bfrev_b32_e32 v161, 1
	s_mov_b32 s22, exec_lo
	s_delay_alu instid0(VALU_DEP_2)
	v_cmpx_ne_u32_e32 0x80, v35
	s_cbranch_execz .LBB346_338
; %bb.333:                              ;   in Loop: Header=BB346_16 Depth=1
	v_and_b32_e32 v33, 0x7f, v35
	v_mov_b32_e32 v161, 0x7fc02000
	s_mov_b32 s23, exec_lo
	s_delay_alu instid0(VALU_DEP_2)
	v_cmpx_ne_u32_e32 0x7f, v33
	s_cbranch_execz .LBB346_337
; %bb.334:                              ;   in Loop: Header=BB346_16 Depth=1
	v_and_b32_e32 v7, 7, v35
	v_lshrrev_b32_e32 v36, 3, v33
	v_cmp_gt_u32_e64 s1, 8, v33
	s_delay_alu instid0(VALU_DEP_3) | instskip(NEXT) | instid1(VALU_DEP_2)
	v_dual_mov_b32 v34, v8 :: v_dual_mov_b32 v33, v7
	s_and_saveexec_b32 s24, s1
; %bb.335:                              ;   in Loop: Header=BB346_16 Depth=1
	v_clz_i32_u32_e32 v33, v7
	s_delay_alu instid0(VALU_DEP_1) | instskip(NEXT) | instid1(VALU_DEP_1)
	v_min_u32_e32 v36, 32, v33
	v_subrev_nc_u32_e32 v33, 28, v36
	v_sub_nc_u32_e32 v36, 29, v36
	s_delay_alu instid0(VALU_DEP_2) | instskip(NEXT) | instid1(VALU_DEP_1)
	v_lshlrev_b64 v[33:34], v33, v[7:8]
	v_and_b32_e32 v33, 7, v33
; %bb.336:                              ;   in Loop: Header=BB346_16 Depth=1
	s_or_b32 exec_lo, exec_lo, s24
	v_lshlrev_b32_e32 v7, 8, v35
	v_lshl_add_u32 v34, v36, 10, 0x2000
	s_delay_alu instid0(VALU_DEP_1) | instskip(NEXT) | instid1(VALU_DEP_1)
	v_and_or_b32 v7, 0x8000, v7, v34
	v_lshl_or_b32 v7, v33, 7, v7
	s_delay_alu instid0(VALU_DEP_1)
	v_cvt_f32_f16_e64 v161, v7
.LBB346_337:                            ;   in Loop: Header=BB346_16 Depth=1
	s_or_b32 exec_lo, exec_lo, s23
.LBB346_338:                            ;   in Loop: Header=BB346_16 Depth=1
	s_delay_alu instid0(SALU_CYCLE_1)
	s_or_b32 exec_lo, exec_lo, s22
.LBB346_339:                            ;   in Loop: Header=BB346_16 Depth=1
	s_delay_alu instid0(SALU_CYCLE_1)
	s_or_b32 exec_lo, exec_lo, s21
	flat_load_b64 v[33:34], v[31:32] offset:1032
	v_mov_b32_e32 v163, 0
	s_mov_b32 s21, exec_lo
	s_waitcnt vmcnt(0) lgkmcnt(0)
	v_dual_mov_b32 v164, 0 :: v_dual_and_b32 v7, 0xff, v33
	s_delay_alu instid0(VALU_DEP_1)
	v_cmpx_ne_u16_e32 0, v7
	s_cbranch_execz .LBB346_347
; %bb.340:                              ;   in Loop: Header=BB346_16 Depth=1
	v_bfrev_b32_e32 v163, 1
	s_mov_b32 s22, exec_lo
	v_cmpx_ne_u16_e32 0x80, v7
	s_cbranch_execz .LBB346_346
; %bb.341:                              ;   in Loop: Header=BB346_16 Depth=1
	v_and_b32_e32 v35, 0x7f, v33
	v_mov_b32_e32 v163, 0x7fc02000
	s_mov_b32 s23, exec_lo
	s_delay_alu instid0(VALU_DEP_2)
	v_cmpx_ne_u32_e32 0x7f, v35
	s_cbranch_execz .LBB346_345
; %bb.342:                              ;   in Loop: Header=BB346_16 Depth=1
	v_lshrrev_b32_e32 v7, 3, v35
	v_cmp_gt_u32_e64 s1, 8, v35
	v_dual_mov_b32 v36, v34 :: v_dual_mov_b32 v35, v33
	s_delay_alu instid0(VALU_DEP_2)
	s_and_saveexec_b32 s24, s1
; %bb.343:                              ;   in Loop: Header=BB346_16 Depth=1
	v_and_b32_e32 v7, 7, v33
	s_delay_alu instid0(VALU_DEP_1) | instskip(NEXT) | instid1(VALU_DEP_1)
	v_clz_i32_u32_e32 v7, v7
	v_min_u32_e32 v7, 32, v7
	s_delay_alu instid0(VALU_DEP_1) | instskip(SKIP_1) | instid1(VALU_DEP_2)
	v_subrev_nc_u32_e32 v35, 28, v7
	v_sub_nc_u32_e32 v7, 29, v7
	v_lshlrev_b64 v[35:36], v35, v[33:34]
; %bb.344:                              ;   in Loop: Header=BB346_16 Depth=1
	s_or_b32 exec_lo, exec_lo, s24
	v_lshlrev_b32_e32 v36, 8, v33
	s_delay_alu instid0(VALU_DEP_3) | instskip(NEXT) | instid1(VALU_DEP_3)
	v_lshl_add_u32 v7, v7, 10, 0x2000
	v_lshlrev_b32_e32 v35, 7, v35
	s_delay_alu instid0(VALU_DEP_2) | instskip(NEXT) | instid1(VALU_DEP_1)
	v_and_or_b32 v7, 0x8000, v36, v7
	v_and_or_b32 v7, 0x380, v35, v7
	s_delay_alu instid0(VALU_DEP_1)
	v_cvt_f32_f16_e64 v163, v7
.LBB346_345:                            ;   in Loop: Header=BB346_16 Depth=1
	s_or_b32 exec_lo, exec_lo, s23
.LBB346_346:                            ;   in Loop: Header=BB346_16 Depth=1
	s_delay_alu instid0(SALU_CYCLE_1)
	s_or_b32 exec_lo, exec_lo, s22
.LBB346_347:                            ;   in Loop: Header=BB346_16 Depth=1
	s_delay_alu instid0(SALU_CYCLE_1) | instskip(SKIP_2) | instid1(VALU_DEP_1)
	s_or_b32 exec_lo, exec_lo, s21
	v_lshrrev_b16 v7, 8, v33
	s_mov_b32 s21, exec_lo
	v_cmpx_ne_u16_e32 0, v7
	s_cbranch_execz .LBB346_355
; %bb.348:                              ;   in Loop: Header=BB346_16 Depth=1
	v_bfrev_b32_e32 v164, 1
	s_mov_b32 s22, exec_lo
	v_cmpx_ne_u16_e32 0x80, v7
	s_cbranch_execz .LBB346_354
; %bb.349:                              ;   in Loop: Header=BB346_16 Depth=1
	v_and_b32_e32 v165, 0xffff, v7
	v_mov_b32_e32 v164, 0x7fc02000
	s_mov_b32 s23, exec_lo
	s_delay_alu instid0(VALU_DEP_2) | instskip(NEXT) | instid1(VALU_DEP_1)
	v_and_b32_e32 v35, 0x7f, v165
	v_cmpx_ne_u32_e32 0x7f, v35
	s_cbranch_execz .LBB346_353
; %bb.350:                              ;   in Loop: Header=BB346_16 Depth=1
	v_and_b32_e32 v7, 7, v165
	v_lshrrev_b32_e32 v164, 3, v35
	v_cmp_gt_u32_e64 s1, 8, v35
	s_delay_alu instid0(VALU_DEP_3) | instskip(NEXT) | instid1(VALU_DEP_2)
	v_dual_mov_b32 v36, v8 :: v_dual_mov_b32 v35, v7
	s_and_saveexec_b32 s24, s1
; %bb.351:                              ;   in Loop: Header=BB346_16 Depth=1
	v_clz_i32_u32_e32 v35, v7
	s_delay_alu instid0(VALU_DEP_1) | instskip(NEXT) | instid1(VALU_DEP_1)
	v_min_u32_e32 v164, 32, v35
	v_subrev_nc_u32_e32 v35, 28, v164
	v_sub_nc_u32_e32 v164, 29, v164
	s_delay_alu instid0(VALU_DEP_2) | instskip(NEXT) | instid1(VALU_DEP_1)
	v_lshlrev_b64 v[35:36], v35, v[7:8]
	v_and_b32_e32 v35, 7, v35
; %bb.352:                              ;   in Loop: Header=BB346_16 Depth=1
	s_or_b32 exec_lo, exec_lo, s24
	v_lshlrev_b32_e32 v7, 8, v165
	v_lshl_add_u32 v36, v164, 10, 0x2000
	s_delay_alu instid0(VALU_DEP_1) | instskip(NEXT) | instid1(VALU_DEP_1)
	v_and_or_b32 v7, 0x8000, v7, v36
	v_lshl_or_b32 v7, v35, 7, v7
	s_delay_alu instid0(VALU_DEP_1)
	v_cvt_f32_f16_e64 v164, v7
.LBB346_353:                            ;   in Loop: Header=BB346_16 Depth=1
	s_or_b32 exec_lo, exec_lo, s23
.LBB346_354:                            ;   in Loop: Header=BB346_16 Depth=1
	s_delay_alu instid0(SALU_CYCLE_1)
	s_or_b32 exec_lo, exec_lo, s22
.LBB346_355:                            ;   in Loop: Header=BB346_16 Depth=1
	s_delay_alu instid0(SALU_CYCLE_1) | instskip(SKIP_3) | instid1(VALU_DEP_2)
	s_or_b32 exec_lo, exec_lo, s21
	v_lshrrev_b32_e32 v167, 16, v33
	v_mov_b32_e32 v165, 0
	s_mov_b32 s21, exec_lo
	v_dual_mov_b32 v166, 0 :: v_dual_and_b32 v7, 0xff, v167
	s_delay_alu instid0(VALU_DEP_1)
	v_cmpx_ne_u16_e32 0, v7
	s_cbranch_execz .LBB346_363
; %bb.356:                              ;   in Loop: Header=BB346_16 Depth=1
	v_bfrev_b32_e32 v165, 1
	s_mov_b32 s22, exec_lo
	v_cmpx_ne_u16_e32 0x80, v7
	s_cbranch_execz .LBB346_362
; %bb.357:                              ;   in Loop: Header=BB346_16 Depth=1
	v_bfe_u32 v35, v33, 16, 7
	v_mov_b32_e32 v165, 0x7fc02000
	s_mov_b32 s23, exec_lo
	s_delay_alu instid0(VALU_DEP_2)
	v_cmpx_ne_u32_e32 0x7f, v35
	s_cbranch_execz .LBB346_361
; %bb.358:                              ;   in Loop: Header=BB346_16 Depth=1
	v_and_b32_e32 v7, 7, v167
	v_lshrrev_b32_e32 v165, 3, v35
	v_cmp_gt_u32_e64 s1, 8, v35
	s_delay_alu instid0(VALU_DEP_3) | instskip(NEXT) | instid1(VALU_DEP_2)
	v_dual_mov_b32 v36, v8 :: v_dual_mov_b32 v35, v7
	s_and_saveexec_b32 s24, s1
; %bb.359:                              ;   in Loop: Header=BB346_16 Depth=1
	v_clz_i32_u32_e32 v35, v7
	s_delay_alu instid0(VALU_DEP_1) | instskip(NEXT) | instid1(VALU_DEP_1)
	v_min_u32_e32 v165, 32, v35
	v_subrev_nc_u32_e32 v35, 28, v165
	v_sub_nc_u32_e32 v165, 29, v165
	s_delay_alu instid0(VALU_DEP_2) | instskip(NEXT) | instid1(VALU_DEP_1)
	v_lshlrev_b64 v[35:36], v35, v[7:8]
	v_and_b32_e32 v35, 7, v35
; %bb.360:                              ;   in Loop: Header=BB346_16 Depth=1
	s_or_b32 exec_lo, exec_lo, s24
	v_lshlrev_b32_e32 v7, 8, v167
	v_lshl_add_u32 v36, v165, 10, 0x2000
	s_delay_alu instid0(VALU_DEP_1) | instskip(NEXT) | instid1(VALU_DEP_1)
	v_and_or_b32 v7, 0x8000, v7, v36
	v_lshl_or_b32 v7, v35, 7, v7
	s_delay_alu instid0(VALU_DEP_1)
	v_cvt_f32_f16_e64 v165, v7
.LBB346_361:                            ;   in Loop: Header=BB346_16 Depth=1
	s_or_b32 exec_lo, exec_lo, s23
.LBB346_362:                            ;   in Loop: Header=BB346_16 Depth=1
	s_delay_alu instid0(SALU_CYCLE_1)
	s_or_b32 exec_lo, exec_lo, s22
.LBB346_363:                            ;   in Loop: Header=BB346_16 Depth=1
	s_delay_alu instid0(SALU_CYCLE_1) | instskip(NEXT) | instid1(SALU_CYCLE_1)
	s_or_b32 exec_lo, exec_lo, s21
	s_mov_b32 s21, exec_lo
	v_cmpx_lt_u32_e32 0xffffff, v33
	s_cbranch_execz .LBB346_371
; %bb.364:                              ;   in Loop: Header=BB346_16 Depth=1
	v_lshrrev_b32_e32 v167, 24, v33
	v_bfrev_b32_e32 v166, 1
	s_mov_b32 s22, exec_lo
	s_delay_alu instid0(VALU_DEP_2)
	v_cmpx_ne_u32_e32 0x80, v167
	s_cbranch_execz .LBB346_370
; %bb.365:                              ;   in Loop: Header=BB346_16 Depth=1
	v_and_b32_e32 v35, 0x7f, v167
	v_mov_b32_e32 v166, 0x7fc02000
	s_mov_b32 s23, exec_lo
	s_delay_alu instid0(VALU_DEP_2)
	v_cmpx_ne_u32_e32 0x7f, v35
	s_cbranch_execz .LBB346_369
; %bb.366:                              ;   in Loop: Header=BB346_16 Depth=1
	v_and_b32_e32 v7, 7, v167
	v_lshrrev_b32_e32 v166, 3, v35
	v_cmp_gt_u32_e64 s1, 8, v35
	s_delay_alu instid0(VALU_DEP_3) | instskip(NEXT) | instid1(VALU_DEP_2)
	v_dual_mov_b32 v36, v8 :: v_dual_mov_b32 v35, v7
	s_and_saveexec_b32 s24, s1
; %bb.367:                              ;   in Loop: Header=BB346_16 Depth=1
	v_clz_i32_u32_e32 v35, v7
	s_delay_alu instid0(VALU_DEP_1) | instskip(NEXT) | instid1(VALU_DEP_1)
	v_min_u32_e32 v166, 32, v35
	v_subrev_nc_u32_e32 v35, 28, v166
	v_sub_nc_u32_e32 v166, 29, v166
	s_delay_alu instid0(VALU_DEP_2) | instskip(NEXT) | instid1(VALU_DEP_1)
	v_lshlrev_b64 v[35:36], v35, v[7:8]
	v_and_b32_e32 v35, 7, v35
; %bb.368:                              ;   in Loop: Header=BB346_16 Depth=1
	s_or_b32 exec_lo, exec_lo, s24
	v_lshlrev_b32_e32 v7, 8, v167
	v_lshl_add_u32 v36, v166, 10, 0x2000
	s_delay_alu instid0(VALU_DEP_1) | instskip(NEXT) | instid1(VALU_DEP_1)
	v_and_or_b32 v7, 0x8000, v7, v36
	v_lshl_or_b32 v7, v35, 7, v7
	s_delay_alu instid0(VALU_DEP_1)
	v_cvt_f32_f16_e64 v166, v7
.LBB346_369:                            ;   in Loop: Header=BB346_16 Depth=1
	s_or_b32 exec_lo, exec_lo, s23
.LBB346_370:                            ;   in Loop: Header=BB346_16 Depth=1
	s_delay_alu instid0(SALU_CYCLE_1)
	s_or_b32 exec_lo, exec_lo, s22
.LBB346_371:                            ;   in Loop: Header=BB346_16 Depth=1
	s_delay_alu instid0(SALU_CYCLE_1) | instskip(SKIP_4) | instid1(VALU_DEP_3)
	s_or_b32 exec_lo, exec_lo, s21
	v_dual_mov_b32 v176, 0 :: v_dual_and_b32 v35, 0xff, v34
	v_mov_b32_e32 v7, v34
	v_mov_b32_e32 v167, 0
	s_mov_b32 s21, exec_lo
	v_cmpx_ne_u16_e32 0, v35
	s_cbranch_execz .LBB346_379
; %bb.372:                              ;   in Loop: Header=BB346_16 Depth=1
	v_bfrev_b32_e32 v167, 1
	s_mov_b32 s22, exec_lo
	v_cmpx_ne_u16_e32 0x80, v35
	s_cbranch_execz .LBB346_378
; %bb.373:                              ;   in Loop: Header=BB346_16 Depth=1
	v_and_b32_e32 v35, 0x7f, v34
	v_mov_b32_e32 v167, 0x7fc02000
	s_mov_b32 s23, exec_lo
	s_delay_alu instid0(VALU_DEP_2)
	v_cmpx_ne_u32_e32 0x7f, v35
	s_cbranch_execz .LBB346_377
; %bb.374:                              ;   in Loop: Header=BB346_16 Depth=1
	v_lshrrev_b32_e32 v167, 3, v35
	v_cmp_gt_u32_e64 s1, 8, v35
	v_dual_mov_b32 v36, v8 :: v_dual_mov_b32 v35, v7
	s_delay_alu instid0(VALU_DEP_2)
	s_and_saveexec_b32 s24, s1
; %bb.375:                              ;   in Loop: Header=BB346_16 Depth=1
	v_and_b32_e32 v35, 7, v34
	s_delay_alu instid0(VALU_DEP_1) | instskip(NEXT) | instid1(VALU_DEP_1)
	v_clz_i32_u32_e32 v35, v35
	v_min_u32_e32 v167, 32, v35
	s_delay_alu instid0(VALU_DEP_1) | instskip(SKIP_1) | instid1(VALU_DEP_2)
	v_subrev_nc_u32_e32 v35, 28, v167
	v_sub_nc_u32_e32 v167, 29, v167
	v_lshlrev_b64 v[35:36], v35, v[7:8]
; %bb.376:                              ;   in Loop: Header=BB346_16 Depth=1
	s_or_b32 exec_lo, exec_lo, s24
	v_lshlrev_b32_e32 v36, 8, v34
	s_delay_alu instid0(VALU_DEP_3) | instskip(NEXT) | instid1(VALU_DEP_3)
	v_lshl_add_u32 v167, v167, 10, 0x2000
	v_lshlrev_b32_e32 v35, 7, v35
	s_delay_alu instid0(VALU_DEP_2) | instskip(NEXT) | instid1(VALU_DEP_1)
	v_and_or_b32 v36, 0x8000, v36, v167
	v_and_or_b32 v35, 0x380, v35, v36
	s_delay_alu instid0(VALU_DEP_1)
	v_cvt_f32_f16_e64 v167, v35
.LBB346_377:                            ;   in Loop: Header=BB346_16 Depth=1
	s_or_b32 exec_lo, exec_lo, s23
.LBB346_378:                            ;   in Loop: Header=BB346_16 Depth=1
	s_delay_alu instid0(SALU_CYCLE_1)
	s_or_b32 exec_lo, exec_lo, s22
.LBB346_379:                            ;   in Loop: Header=BB346_16 Depth=1
	s_delay_alu instid0(SALU_CYCLE_1) | instskip(SKIP_2) | instid1(VALU_DEP_1)
	s_or_b32 exec_lo, exec_lo, s21
	v_lshrrev_b16 v7, 8, v7
	s_mov_b32 s21, exec_lo
	v_cmpx_ne_u16_e32 0, v7
	s_cbranch_execz .LBB346_387
; %bb.380:                              ;   in Loop: Header=BB346_16 Depth=1
	v_bfrev_b32_e32 v176, 1
	s_mov_b32 s22, exec_lo
	v_cmpx_ne_u16_e32 0x80, v7
	s_cbranch_execz .LBB346_386
; %bb.381:                              ;   in Loop: Header=BB346_16 Depth=1
	v_and_b32_e32 v177, 0xffff, v7
	v_mov_b32_e32 v176, 0x7fc02000
	s_mov_b32 s23, exec_lo
	s_delay_alu instid0(VALU_DEP_2) | instskip(NEXT) | instid1(VALU_DEP_1)
	v_and_b32_e32 v35, 0x7f, v177
	v_cmpx_ne_u32_e32 0x7f, v35
	s_cbranch_execz .LBB346_385
; %bb.382:                              ;   in Loop: Header=BB346_16 Depth=1
	v_and_b32_e32 v7, 7, v177
	v_lshrrev_b32_e32 v176, 3, v35
	v_cmp_gt_u32_e64 s1, 8, v35
	s_delay_alu instid0(VALU_DEP_3) | instskip(NEXT) | instid1(VALU_DEP_2)
	v_dual_mov_b32 v36, v8 :: v_dual_mov_b32 v35, v7
	s_and_saveexec_b32 s24, s1
; %bb.383:                              ;   in Loop: Header=BB346_16 Depth=1
	v_clz_i32_u32_e32 v35, v7
	s_delay_alu instid0(VALU_DEP_1) | instskip(NEXT) | instid1(VALU_DEP_1)
	v_min_u32_e32 v176, 32, v35
	v_subrev_nc_u32_e32 v35, 28, v176
	v_sub_nc_u32_e32 v176, 29, v176
	s_delay_alu instid0(VALU_DEP_2) | instskip(NEXT) | instid1(VALU_DEP_1)
	v_lshlrev_b64 v[35:36], v35, v[7:8]
	v_and_b32_e32 v35, 7, v35
; %bb.384:                              ;   in Loop: Header=BB346_16 Depth=1
	s_or_b32 exec_lo, exec_lo, s24
	v_lshlrev_b32_e32 v7, 8, v177
	v_lshl_add_u32 v36, v176, 10, 0x2000
	s_delay_alu instid0(VALU_DEP_1) | instskip(NEXT) | instid1(VALU_DEP_1)
	v_and_or_b32 v7, 0x8000, v7, v36
	v_lshl_or_b32 v7, v35, 7, v7
	s_delay_alu instid0(VALU_DEP_1)
	v_cvt_f32_f16_e64 v176, v7
.LBB346_385:                            ;   in Loop: Header=BB346_16 Depth=1
	s_or_b32 exec_lo, exec_lo, s23
.LBB346_386:                            ;   in Loop: Header=BB346_16 Depth=1
	s_delay_alu instid0(SALU_CYCLE_1)
	s_or_b32 exec_lo, exec_lo, s22
.LBB346_387:                            ;   in Loop: Header=BB346_16 Depth=1
	s_delay_alu instid0(SALU_CYCLE_1) | instskip(SKIP_3) | instid1(VALU_DEP_2)
	s_or_b32 exec_lo, exec_lo, s21
	v_lshrrev_b32_e32 v179, 16, v34
	v_mov_b32_e32 v177, 0
	s_mov_b32 s21, exec_lo
	v_dual_mov_b32 v178, 0 :: v_dual_and_b32 v7, 0xff, v179
	s_delay_alu instid0(VALU_DEP_1)
	v_cmpx_ne_u16_e32 0, v7
	s_cbranch_execz .LBB346_395
; %bb.388:                              ;   in Loop: Header=BB346_16 Depth=1
	v_bfrev_b32_e32 v178, 1
	s_mov_b32 s22, exec_lo
	v_cmpx_ne_u16_e32 0x80, v7
	s_cbranch_execz .LBB346_394
; %bb.389:                              ;   in Loop: Header=BB346_16 Depth=1
	v_bfe_u32 v35, v34, 16, 7
	v_mov_b32_e32 v178, 0x7fc02000
	s_mov_b32 s23, exec_lo
	s_delay_alu instid0(VALU_DEP_2)
	v_cmpx_ne_u32_e32 0x7f, v35
	s_cbranch_execz .LBB346_393
; %bb.390:                              ;   in Loop: Header=BB346_16 Depth=1
	v_and_b32_e32 v7, 7, v179
	v_lshrrev_b32_e32 v178, 3, v35
	v_cmp_gt_u32_e64 s1, 8, v35
	s_delay_alu instid0(VALU_DEP_3) | instskip(NEXT) | instid1(VALU_DEP_2)
	v_dual_mov_b32 v36, v8 :: v_dual_mov_b32 v35, v7
	s_and_saveexec_b32 s24, s1
; %bb.391:                              ;   in Loop: Header=BB346_16 Depth=1
	v_clz_i32_u32_e32 v35, v7
	s_delay_alu instid0(VALU_DEP_1) | instskip(NEXT) | instid1(VALU_DEP_1)
	v_min_u32_e32 v178, 32, v35
	v_subrev_nc_u32_e32 v35, 28, v178
	v_sub_nc_u32_e32 v178, 29, v178
	s_delay_alu instid0(VALU_DEP_2) | instskip(NEXT) | instid1(VALU_DEP_1)
	v_lshlrev_b64 v[35:36], v35, v[7:8]
	v_and_b32_e32 v35, 7, v35
; %bb.392:                              ;   in Loop: Header=BB346_16 Depth=1
	s_or_b32 exec_lo, exec_lo, s24
	v_lshlrev_b32_e32 v7, 8, v179
	v_lshl_add_u32 v36, v178, 10, 0x2000
	s_delay_alu instid0(VALU_DEP_1) | instskip(NEXT) | instid1(VALU_DEP_1)
	v_and_or_b32 v7, 0x8000, v7, v36
	v_lshl_or_b32 v7, v35, 7, v7
	s_delay_alu instid0(VALU_DEP_1)
	v_cvt_f32_f16_e64 v178, v7
.LBB346_393:                            ;   in Loop: Header=BB346_16 Depth=1
	s_or_b32 exec_lo, exec_lo, s23
.LBB346_394:                            ;   in Loop: Header=BB346_16 Depth=1
	s_delay_alu instid0(SALU_CYCLE_1)
	s_or_b32 exec_lo, exec_lo, s22
.LBB346_395:                            ;   in Loop: Header=BB346_16 Depth=1
	s_delay_alu instid0(SALU_CYCLE_1) | instskip(NEXT) | instid1(SALU_CYCLE_1)
	s_or_b32 exec_lo, exec_lo, s21
	s_mov_b32 s21, exec_lo
	v_cmpx_lt_u64_e64 s[8:9], v[33:34]
	s_cbranch_execz .LBB346_403
; %bb.396:                              ;   in Loop: Header=BB346_16 Depth=1
	v_lshrrev_b32_e32 v35, 24, v34
	v_bfrev_b32_e32 v177, 1
	s_mov_b32 s22, exec_lo
	s_delay_alu instid0(VALU_DEP_2)
	v_cmpx_ne_u32_e32 0x80, v35
	s_cbranch_execz .LBB346_402
; %bb.397:                              ;   in Loop: Header=BB346_16 Depth=1
	v_and_b32_e32 v33, 0x7f, v35
	v_mov_b32_e32 v177, 0x7fc02000
	s_mov_b32 s23, exec_lo
	s_delay_alu instid0(VALU_DEP_2)
	v_cmpx_ne_u32_e32 0x7f, v33
	s_cbranch_execz .LBB346_401
; %bb.398:                              ;   in Loop: Header=BB346_16 Depth=1
	v_and_b32_e32 v7, 7, v35
	v_lshrrev_b32_e32 v36, 3, v33
	v_cmp_gt_u32_e64 s1, 8, v33
	s_delay_alu instid0(VALU_DEP_3) | instskip(NEXT) | instid1(VALU_DEP_2)
	v_dual_mov_b32 v34, v8 :: v_dual_mov_b32 v33, v7
	s_and_saveexec_b32 s24, s1
; %bb.399:                              ;   in Loop: Header=BB346_16 Depth=1
	v_clz_i32_u32_e32 v33, v7
	s_delay_alu instid0(VALU_DEP_1) | instskip(NEXT) | instid1(VALU_DEP_1)
	v_min_u32_e32 v36, 32, v33
	v_subrev_nc_u32_e32 v33, 28, v36
	v_sub_nc_u32_e32 v36, 29, v36
	s_delay_alu instid0(VALU_DEP_2) | instskip(NEXT) | instid1(VALU_DEP_1)
	v_lshlrev_b64 v[33:34], v33, v[7:8]
	v_and_b32_e32 v33, 7, v33
; %bb.400:                              ;   in Loop: Header=BB346_16 Depth=1
	s_or_b32 exec_lo, exec_lo, s24
	v_lshlrev_b32_e32 v7, 8, v35
	v_lshl_add_u32 v34, v36, 10, 0x2000
	s_delay_alu instid0(VALU_DEP_1) | instskip(NEXT) | instid1(VALU_DEP_1)
	v_and_or_b32 v7, 0x8000, v7, v34
	v_lshl_or_b32 v7, v33, 7, v7
	s_delay_alu instid0(VALU_DEP_1)
	v_cvt_f32_f16_e64 v177, v7
.LBB346_401:                            ;   in Loop: Header=BB346_16 Depth=1
	s_or_b32 exec_lo, exec_lo, s23
.LBB346_402:                            ;   in Loop: Header=BB346_16 Depth=1
	s_delay_alu instid0(SALU_CYCLE_1)
	s_or_b32 exec_lo, exec_lo, s22
.LBB346_403:                            ;   in Loop: Header=BB346_16 Depth=1
	s_delay_alu instid0(SALU_CYCLE_1)
	s_or_b32 exec_lo, exec_lo, s21
	flat_load_b64 v[33:34], v[31:32] offset:1536
	v_mov_b32_e32 v179, 0
	s_mov_b32 s21, exec_lo
	s_waitcnt vmcnt(0) lgkmcnt(0)
	v_dual_mov_b32 v180, 0 :: v_dual_and_b32 v7, 0xff, v33
	s_delay_alu instid0(VALU_DEP_1)
	v_cmpx_ne_u16_e32 0, v7
	s_cbranch_execz .LBB346_411
; %bb.404:                              ;   in Loop: Header=BB346_16 Depth=1
	v_bfrev_b32_e32 v179, 1
	s_mov_b32 s22, exec_lo
	v_cmpx_ne_u16_e32 0x80, v7
	s_cbranch_execz .LBB346_410
; %bb.405:                              ;   in Loop: Header=BB346_16 Depth=1
	v_and_b32_e32 v35, 0x7f, v33
	v_mov_b32_e32 v179, 0x7fc02000
	s_mov_b32 s23, exec_lo
	s_delay_alu instid0(VALU_DEP_2)
	v_cmpx_ne_u32_e32 0x7f, v35
	s_cbranch_execz .LBB346_409
; %bb.406:                              ;   in Loop: Header=BB346_16 Depth=1
	v_lshrrev_b32_e32 v7, 3, v35
	v_cmp_gt_u32_e64 s1, 8, v35
	v_dual_mov_b32 v36, v34 :: v_dual_mov_b32 v35, v33
	s_delay_alu instid0(VALU_DEP_2)
	s_and_saveexec_b32 s24, s1
; %bb.407:                              ;   in Loop: Header=BB346_16 Depth=1
	v_and_b32_e32 v7, 7, v33
	s_delay_alu instid0(VALU_DEP_1) | instskip(NEXT) | instid1(VALU_DEP_1)
	v_clz_i32_u32_e32 v7, v7
	v_min_u32_e32 v7, 32, v7
	s_delay_alu instid0(VALU_DEP_1) | instskip(SKIP_1) | instid1(VALU_DEP_2)
	v_subrev_nc_u32_e32 v35, 28, v7
	v_sub_nc_u32_e32 v7, 29, v7
	v_lshlrev_b64 v[35:36], v35, v[33:34]
; %bb.408:                              ;   in Loop: Header=BB346_16 Depth=1
	s_or_b32 exec_lo, exec_lo, s24
	v_lshlrev_b32_e32 v36, 8, v33
	s_delay_alu instid0(VALU_DEP_3) | instskip(NEXT) | instid1(VALU_DEP_3)
	v_lshl_add_u32 v7, v7, 10, 0x2000
	v_lshlrev_b32_e32 v35, 7, v35
	s_delay_alu instid0(VALU_DEP_2) | instskip(NEXT) | instid1(VALU_DEP_1)
	v_and_or_b32 v7, 0x8000, v36, v7
	v_and_or_b32 v7, 0x380, v35, v7
	s_delay_alu instid0(VALU_DEP_1)
	v_cvt_f32_f16_e64 v179, v7
.LBB346_409:                            ;   in Loop: Header=BB346_16 Depth=1
	s_or_b32 exec_lo, exec_lo, s23
.LBB346_410:                            ;   in Loop: Header=BB346_16 Depth=1
	s_delay_alu instid0(SALU_CYCLE_1)
	s_or_b32 exec_lo, exec_lo, s22
.LBB346_411:                            ;   in Loop: Header=BB346_16 Depth=1
	s_delay_alu instid0(SALU_CYCLE_1) | instskip(SKIP_2) | instid1(VALU_DEP_1)
	s_or_b32 exec_lo, exec_lo, s21
	v_lshrrev_b16 v7, 8, v33
	s_mov_b32 s21, exec_lo
	v_cmpx_ne_u16_e32 0, v7
	s_cbranch_execz .LBB346_419
; %bb.412:                              ;   in Loop: Header=BB346_16 Depth=1
	v_bfrev_b32_e32 v180, 1
	s_mov_b32 s22, exec_lo
	v_cmpx_ne_u16_e32 0x80, v7
	s_cbranch_execz .LBB346_418
; %bb.413:                              ;   in Loop: Header=BB346_16 Depth=1
	v_and_b32_e32 v181, 0xffff, v7
	v_mov_b32_e32 v180, 0x7fc02000
	s_mov_b32 s23, exec_lo
	s_delay_alu instid0(VALU_DEP_2) | instskip(NEXT) | instid1(VALU_DEP_1)
	v_and_b32_e32 v35, 0x7f, v181
	v_cmpx_ne_u32_e32 0x7f, v35
	s_cbranch_execz .LBB346_417
; %bb.414:                              ;   in Loop: Header=BB346_16 Depth=1
	v_and_b32_e32 v7, 7, v181
	v_lshrrev_b32_e32 v180, 3, v35
	v_cmp_gt_u32_e64 s1, 8, v35
	s_delay_alu instid0(VALU_DEP_3) | instskip(NEXT) | instid1(VALU_DEP_2)
	v_dual_mov_b32 v36, v8 :: v_dual_mov_b32 v35, v7
	s_and_saveexec_b32 s24, s1
; %bb.415:                              ;   in Loop: Header=BB346_16 Depth=1
	v_clz_i32_u32_e32 v35, v7
	s_delay_alu instid0(VALU_DEP_1) | instskip(NEXT) | instid1(VALU_DEP_1)
	v_min_u32_e32 v180, 32, v35
	v_subrev_nc_u32_e32 v35, 28, v180
	v_sub_nc_u32_e32 v180, 29, v180
	s_delay_alu instid0(VALU_DEP_2) | instskip(NEXT) | instid1(VALU_DEP_1)
	v_lshlrev_b64 v[35:36], v35, v[7:8]
	v_and_b32_e32 v35, 7, v35
; %bb.416:                              ;   in Loop: Header=BB346_16 Depth=1
	s_or_b32 exec_lo, exec_lo, s24
	v_lshlrev_b32_e32 v7, 8, v181
	v_lshl_add_u32 v36, v180, 10, 0x2000
	s_delay_alu instid0(VALU_DEP_1) | instskip(NEXT) | instid1(VALU_DEP_1)
	v_and_or_b32 v7, 0x8000, v7, v36
	v_lshl_or_b32 v7, v35, 7, v7
	s_delay_alu instid0(VALU_DEP_1)
	v_cvt_f32_f16_e64 v180, v7
.LBB346_417:                            ;   in Loop: Header=BB346_16 Depth=1
	s_or_b32 exec_lo, exec_lo, s23
.LBB346_418:                            ;   in Loop: Header=BB346_16 Depth=1
	s_delay_alu instid0(SALU_CYCLE_1)
	s_or_b32 exec_lo, exec_lo, s22
.LBB346_419:                            ;   in Loop: Header=BB346_16 Depth=1
	s_delay_alu instid0(SALU_CYCLE_1) | instskip(SKIP_3) | instid1(VALU_DEP_2)
	s_or_b32 exec_lo, exec_lo, s21
	v_lshrrev_b32_e32 v183, 16, v33
	v_mov_b32_e32 v181, 0
	s_mov_b32 s21, exec_lo
	v_dual_mov_b32 v182, 0 :: v_dual_and_b32 v7, 0xff, v183
	s_delay_alu instid0(VALU_DEP_1)
	v_cmpx_ne_u16_e32 0, v7
	s_cbranch_execz .LBB346_427
; %bb.420:                              ;   in Loop: Header=BB346_16 Depth=1
	v_bfrev_b32_e32 v181, 1
	s_mov_b32 s22, exec_lo
	v_cmpx_ne_u16_e32 0x80, v7
	s_cbranch_execz .LBB346_426
; %bb.421:                              ;   in Loop: Header=BB346_16 Depth=1
	v_bfe_u32 v35, v33, 16, 7
	v_mov_b32_e32 v181, 0x7fc02000
	s_mov_b32 s23, exec_lo
	s_delay_alu instid0(VALU_DEP_2)
	v_cmpx_ne_u32_e32 0x7f, v35
	s_cbranch_execz .LBB346_425
; %bb.422:                              ;   in Loop: Header=BB346_16 Depth=1
	v_and_b32_e32 v7, 7, v183
	v_lshrrev_b32_e32 v181, 3, v35
	v_cmp_gt_u32_e64 s1, 8, v35
	s_delay_alu instid0(VALU_DEP_3) | instskip(NEXT) | instid1(VALU_DEP_2)
	v_dual_mov_b32 v36, v8 :: v_dual_mov_b32 v35, v7
	s_and_saveexec_b32 s24, s1
; %bb.423:                              ;   in Loop: Header=BB346_16 Depth=1
	v_clz_i32_u32_e32 v35, v7
	s_delay_alu instid0(VALU_DEP_1) | instskip(NEXT) | instid1(VALU_DEP_1)
	v_min_u32_e32 v181, 32, v35
	v_subrev_nc_u32_e32 v35, 28, v181
	v_sub_nc_u32_e32 v181, 29, v181
	s_delay_alu instid0(VALU_DEP_2) | instskip(NEXT) | instid1(VALU_DEP_1)
	v_lshlrev_b64 v[35:36], v35, v[7:8]
	v_and_b32_e32 v35, 7, v35
; %bb.424:                              ;   in Loop: Header=BB346_16 Depth=1
	s_or_b32 exec_lo, exec_lo, s24
	v_lshlrev_b32_e32 v7, 8, v183
	v_lshl_add_u32 v36, v181, 10, 0x2000
	s_delay_alu instid0(VALU_DEP_1) | instskip(NEXT) | instid1(VALU_DEP_1)
	v_and_or_b32 v7, 0x8000, v7, v36
	v_lshl_or_b32 v7, v35, 7, v7
	s_delay_alu instid0(VALU_DEP_1)
	v_cvt_f32_f16_e64 v181, v7
.LBB346_425:                            ;   in Loop: Header=BB346_16 Depth=1
	s_or_b32 exec_lo, exec_lo, s23
.LBB346_426:                            ;   in Loop: Header=BB346_16 Depth=1
	s_delay_alu instid0(SALU_CYCLE_1)
	s_or_b32 exec_lo, exec_lo, s22
.LBB346_427:                            ;   in Loop: Header=BB346_16 Depth=1
	s_delay_alu instid0(SALU_CYCLE_1) | instskip(NEXT) | instid1(SALU_CYCLE_1)
	s_or_b32 exec_lo, exec_lo, s21
	s_mov_b32 s21, exec_lo
	v_cmpx_lt_u32_e32 0xffffff, v33
	s_cbranch_execz .LBB346_435
; %bb.428:                              ;   in Loop: Header=BB346_16 Depth=1
	v_lshrrev_b32_e32 v183, 24, v33
	v_bfrev_b32_e32 v182, 1
	s_mov_b32 s22, exec_lo
	s_delay_alu instid0(VALU_DEP_2)
	v_cmpx_ne_u32_e32 0x80, v183
	s_cbranch_execz .LBB346_434
; %bb.429:                              ;   in Loop: Header=BB346_16 Depth=1
	v_and_b32_e32 v35, 0x7f, v183
	v_mov_b32_e32 v182, 0x7fc02000
	s_mov_b32 s23, exec_lo
	s_delay_alu instid0(VALU_DEP_2)
	v_cmpx_ne_u32_e32 0x7f, v35
	s_cbranch_execz .LBB346_433
; %bb.430:                              ;   in Loop: Header=BB346_16 Depth=1
	v_and_b32_e32 v7, 7, v183
	v_lshrrev_b32_e32 v182, 3, v35
	v_cmp_gt_u32_e64 s1, 8, v35
	s_delay_alu instid0(VALU_DEP_3) | instskip(NEXT) | instid1(VALU_DEP_2)
	v_dual_mov_b32 v36, v8 :: v_dual_mov_b32 v35, v7
	s_and_saveexec_b32 s24, s1
; %bb.431:                              ;   in Loop: Header=BB346_16 Depth=1
	v_clz_i32_u32_e32 v35, v7
	s_delay_alu instid0(VALU_DEP_1) | instskip(NEXT) | instid1(VALU_DEP_1)
	v_min_u32_e32 v182, 32, v35
	v_subrev_nc_u32_e32 v35, 28, v182
	v_sub_nc_u32_e32 v182, 29, v182
	s_delay_alu instid0(VALU_DEP_2) | instskip(NEXT) | instid1(VALU_DEP_1)
	v_lshlrev_b64 v[35:36], v35, v[7:8]
	v_and_b32_e32 v35, 7, v35
; %bb.432:                              ;   in Loop: Header=BB346_16 Depth=1
	s_or_b32 exec_lo, exec_lo, s24
	v_lshlrev_b32_e32 v7, 8, v183
	v_lshl_add_u32 v36, v182, 10, 0x2000
	s_delay_alu instid0(VALU_DEP_1) | instskip(NEXT) | instid1(VALU_DEP_1)
	v_and_or_b32 v7, 0x8000, v7, v36
	v_lshl_or_b32 v7, v35, 7, v7
	s_delay_alu instid0(VALU_DEP_1)
	v_cvt_f32_f16_e64 v182, v7
.LBB346_433:                            ;   in Loop: Header=BB346_16 Depth=1
	s_or_b32 exec_lo, exec_lo, s23
.LBB346_434:                            ;   in Loop: Header=BB346_16 Depth=1
	s_delay_alu instid0(SALU_CYCLE_1)
	s_or_b32 exec_lo, exec_lo, s22
.LBB346_435:                            ;   in Loop: Header=BB346_16 Depth=1
	s_delay_alu instid0(SALU_CYCLE_1) | instskip(SKIP_4) | instid1(VALU_DEP_3)
	s_or_b32 exec_lo, exec_lo, s21
	v_dual_mov_b32 v40, 0 :: v_dual_and_b32 v35, 0xff, v34
	v_mov_b32_e32 v7, v34
	v_mov_b32_e32 v183, 0
	s_mov_b32 s21, exec_lo
	v_cmpx_ne_u16_e32 0, v35
	s_cbranch_execz .LBB346_443
; %bb.436:                              ;   in Loop: Header=BB346_16 Depth=1
	v_bfrev_b32_e32 v183, 1
	s_mov_b32 s22, exec_lo
	v_cmpx_ne_u16_e32 0x80, v35
	s_cbranch_execz .LBB346_442
; %bb.437:                              ;   in Loop: Header=BB346_16 Depth=1
	v_and_b32_e32 v35, 0x7f, v34
	v_mov_b32_e32 v183, 0x7fc02000
	s_mov_b32 s23, exec_lo
	s_delay_alu instid0(VALU_DEP_2)
	v_cmpx_ne_u32_e32 0x7f, v35
	s_cbranch_execz .LBB346_441
; %bb.438:                              ;   in Loop: Header=BB346_16 Depth=1
	v_lshrrev_b32_e32 v183, 3, v35
	v_cmp_gt_u32_e64 s1, 8, v35
	v_dual_mov_b32 v36, v8 :: v_dual_mov_b32 v35, v7
	s_delay_alu instid0(VALU_DEP_2)
	s_and_saveexec_b32 s24, s1
; %bb.439:                              ;   in Loop: Header=BB346_16 Depth=1
	v_and_b32_e32 v35, 7, v34
	s_delay_alu instid0(VALU_DEP_1) | instskip(NEXT) | instid1(VALU_DEP_1)
	v_clz_i32_u32_e32 v35, v35
	v_min_u32_e32 v183, 32, v35
	s_delay_alu instid0(VALU_DEP_1) | instskip(SKIP_1) | instid1(VALU_DEP_2)
	v_subrev_nc_u32_e32 v35, 28, v183
	v_sub_nc_u32_e32 v183, 29, v183
	v_lshlrev_b64 v[35:36], v35, v[7:8]
; %bb.440:                              ;   in Loop: Header=BB346_16 Depth=1
	s_or_b32 exec_lo, exec_lo, s24
	v_lshlrev_b32_e32 v36, 8, v34
	s_delay_alu instid0(VALU_DEP_3) | instskip(NEXT) | instid1(VALU_DEP_3)
	v_lshl_add_u32 v183, v183, 10, 0x2000
	v_lshlrev_b32_e32 v35, 7, v35
	s_delay_alu instid0(VALU_DEP_2) | instskip(NEXT) | instid1(VALU_DEP_1)
	v_and_or_b32 v36, 0x8000, v36, v183
	v_and_or_b32 v35, 0x380, v35, v36
	s_delay_alu instid0(VALU_DEP_1)
	v_cvt_f32_f16_e64 v183, v35
.LBB346_441:                            ;   in Loop: Header=BB346_16 Depth=1
	s_or_b32 exec_lo, exec_lo, s23
.LBB346_442:                            ;   in Loop: Header=BB346_16 Depth=1
	s_delay_alu instid0(SALU_CYCLE_1)
	s_or_b32 exec_lo, exec_lo, s22
.LBB346_443:                            ;   in Loop: Header=BB346_16 Depth=1
	s_delay_alu instid0(SALU_CYCLE_1) | instskip(SKIP_2) | instid1(VALU_DEP_1)
	s_or_b32 exec_lo, exec_lo, s21
	v_lshrrev_b16 v7, 8, v7
	s_mov_b32 s21, exec_lo
	v_cmpx_ne_u16_e32 0, v7
	s_cbranch_execz .LBB346_451
; %bb.444:                              ;   in Loop: Header=BB346_16 Depth=1
	v_bfrev_b32_e32 v40, 1
	s_mov_b32 s22, exec_lo
	v_cmpx_ne_u16_e32 0x80, v7
	s_cbranch_execz .LBB346_450
; %bb.445:                              ;   in Loop: Header=BB346_16 Depth=1
	v_and_b32_e32 v41, 0xffff, v7
	v_mov_b32_e32 v40, 0x7fc02000
	s_mov_b32 s23, exec_lo
	s_delay_alu instid0(VALU_DEP_2) | instskip(NEXT) | instid1(VALU_DEP_1)
	v_and_b32_e32 v35, 0x7f, v41
	v_cmpx_ne_u32_e32 0x7f, v35
	s_cbranch_execz .LBB346_449
; %bb.446:                              ;   in Loop: Header=BB346_16 Depth=1
	v_and_b32_e32 v7, 7, v41
	v_lshrrev_b32_e32 v40, 3, v35
	v_cmp_gt_u32_e64 s1, 8, v35
	s_delay_alu instid0(VALU_DEP_3) | instskip(NEXT) | instid1(VALU_DEP_2)
	v_dual_mov_b32 v36, v8 :: v_dual_mov_b32 v35, v7
	s_and_saveexec_b32 s24, s1
; %bb.447:                              ;   in Loop: Header=BB346_16 Depth=1
	v_clz_i32_u32_e32 v35, v7
	s_delay_alu instid0(VALU_DEP_1) | instskip(NEXT) | instid1(VALU_DEP_1)
	v_min_u32_e32 v40, 32, v35
	v_subrev_nc_u32_e32 v35, 28, v40
	v_sub_nc_u32_e32 v40, 29, v40
	s_delay_alu instid0(VALU_DEP_2) | instskip(NEXT) | instid1(VALU_DEP_1)
	v_lshlrev_b64 v[35:36], v35, v[7:8]
	v_and_b32_e32 v35, 7, v35
; %bb.448:                              ;   in Loop: Header=BB346_16 Depth=1
	s_or_b32 exec_lo, exec_lo, s24
	v_lshlrev_b32_e32 v7, 8, v41
	v_lshl_add_u32 v36, v40, 10, 0x2000
	s_delay_alu instid0(VALU_DEP_1) | instskip(NEXT) | instid1(VALU_DEP_1)
	v_and_or_b32 v7, 0x8000, v7, v36
	v_lshl_or_b32 v7, v35, 7, v7
	s_delay_alu instid0(VALU_DEP_1)
	v_cvt_f32_f16_e32 v40, v7
.LBB346_449:                            ;   in Loop: Header=BB346_16 Depth=1
	s_or_b32 exec_lo, exec_lo, s23
.LBB346_450:                            ;   in Loop: Header=BB346_16 Depth=1
	s_delay_alu instid0(SALU_CYCLE_1)
	s_or_b32 exec_lo, exec_lo, s22
.LBB346_451:                            ;   in Loop: Header=BB346_16 Depth=1
	s_delay_alu instid0(SALU_CYCLE_1) | instskip(SKIP_3) | instid1(VALU_DEP_2)
	s_or_b32 exec_lo, exec_lo, s21
	v_lshrrev_b32_e32 v43, 16, v34
	v_mov_b32_e32 v41, 0
	s_mov_b32 s21, exec_lo
	v_dual_mov_b32 v42, 0 :: v_dual_and_b32 v7, 0xff, v43
	s_delay_alu instid0(VALU_DEP_1)
	v_cmpx_ne_u16_e32 0, v7
	s_cbranch_execz .LBB346_459
; %bb.452:                              ;   in Loop: Header=BB346_16 Depth=1
	v_bfrev_b32_e32 v42, 1
	s_mov_b32 s22, exec_lo
	v_cmpx_ne_u16_e32 0x80, v7
	s_cbranch_execz .LBB346_458
; %bb.453:                              ;   in Loop: Header=BB346_16 Depth=1
	v_bfe_u32 v35, v34, 16, 7
	v_mov_b32_e32 v42, 0x7fc02000
	s_mov_b32 s23, exec_lo
	s_delay_alu instid0(VALU_DEP_2)
	v_cmpx_ne_u32_e32 0x7f, v35
	s_cbranch_execz .LBB346_457
; %bb.454:                              ;   in Loop: Header=BB346_16 Depth=1
	v_and_b32_e32 v7, 7, v43
	v_lshrrev_b32_e32 v42, 3, v35
	v_cmp_gt_u32_e64 s1, 8, v35
	s_delay_alu instid0(VALU_DEP_3) | instskip(NEXT) | instid1(VALU_DEP_2)
	v_dual_mov_b32 v36, v8 :: v_dual_mov_b32 v35, v7
	s_and_saveexec_b32 s24, s1
; %bb.455:                              ;   in Loop: Header=BB346_16 Depth=1
	v_clz_i32_u32_e32 v35, v7
	s_delay_alu instid0(VALU_DEP_1) | instskip(NEXT) | instid1(VALU_DEP_1)
	v_min_u32_e32 v42, 32, v35
	v_subrev_nc_u32_e32 v35, 28, v42
	v_sub_nc_u32_e32 v42, 29, v42
	s_delay_alu instid0(VALU_DEP_2) | instskip(NEXT) | instid1(VALU_DEP_1)
	v_lshlrev_b64 v[35:36], v35, v[7:8]
	v_and_b32_e32 v35, 7, v35
; %bb.456:                              ;   in Loop: Header=BB346_16 Depth=1
	s_or_b32 exec_lo, exec_lo, s24
	v_lshlrev_b32_e32 v7, 8, v43
	v_lshl_add_u32 v36, v42, 10, 0x2000
	s_delay_alu instid0(VALU_DEP_1) | instskip(NEXT) | instid1(VALU_DEP_1)
	v_and_or_b32 v7, 0x8000, v7, v36
	v_lshl_or_b32 v7, v35, 7, v7
	s_delay_alu instid0(VALU_DEP_1)
	v_cvt_f32_f16_e32 v42, v7
.LBB346_457:                            ;   in Loop: Header=BB346_16 Depth=1
	s_or_b32 exec_lo, exec_lo, s23
.LBB346_458:                            ;   in Loop: Header=BB346_16 Depth=1
	s_delay_alu instid0(SALU_CYCLE_1)
	s_or_b32 exec_lo, exec_lo, s22
.LBB346_459:                            ;   in Loop: Header=BB346_16 Depth=1
	s_delay_alu instid0(SALU_CYCLE_1) | instskip(NEXT) | instid1(SALU_CYCLE_1)
	s_or_b32 exec_lo, exec_lo, s21
	s_mov_b32 s21, exec_lo
	v_cmpx_lt_u64_e64 s[8:9], v[33:34]
	s_cbranch_execz .LBB346_467
; %bb.460:                              ;   in Loop: Header=BB346_16 Depth=1
	v_lshrrev_b32_e32 v35, 24, v34
	v_bfrev_b32_e32 v41, 1
	s_mov_b32 s22, exec_lo
	s_delay_alu instid0(VALU_DEP_2)
	v_cmpx_ne_u32_e32 0x80, v35
	s_cbranch_execz .LBB346_466
; %bb.461:                              ;   in Loop: Header=BB346_16 Depth=1
	v_and_b32_e32 v33, 0x7f, v35
	v_mov_b32_e32 v41, 0x7fc02000
	s_mov_b32 s23, exec_lo
	s_delay_alu instid0(VALU_DEP_2)
	v_cmpx_ne_u32_e32 0x7f, v33
	s_cbranch_execz .LBB346_465
; %bb.462:                              ;   in Loop: Header=BB346_16 Depth=1
	v_and_b32_e32 v7, 7, v35
	v_lshrrev_b32_e32 v36, 3, v33
	v_cmp_gt_u32_e64 s1, 8, v33
	s_delay_alu instid0(VALU_DEP_3) | instskip(NEXT) | instid1(VALU_DEP_2)
	v_dual_mov_b32 v34, v8 :: v_dual_mov_b32 v33, v7
	s_and_saveexec_b32 s24, s1
; %bb.463:                              ;   in Loop: Header=BB346_16 Depth=1
	v_clz_i32_u32_e32 v33, v7
	s_delay_alu instid0(VALU_DEP_1) | instskip(NEXT) | instid1(VALU_DEP_1)
	v_min_u32_e32 v36, 32, v33
	v_subrev_nc_u32_e32 v33, 28, v36
	v_sub_nc_u32_e32 v36, 29, v36
	s_delay_alu instid0(VALU_DEP_2) | instskip(NEXT) | instid1(VALU_DEP_1)
	v_lshlrev_b64 v[33:34], v33, v[7:8]
	v_and_b32_e32 v33, 7, v33
; %bb.464:                              ;   in Loop: Header=BB346_16 Depth=1
	s_or_b32 exec_lo, exec_lo, s24
	v_lshlrev_b32_e32 v7, 8, v35
	v_lshl_add_u32 v34, v36, 10, 0x2000
	s_delay_alu instid0(VALU_DEP_1) | instskip(NEXT) | instid1(VALU_DEP_1)
	v_and_or_b32 v7, 0x8000, v7, v34
	v_lshl_or_b32 v7, v33, 7, v7
	s_delay_alu instid0(VALU_DEP_1)
	v_cvt_f32_f16_e32 v41, v7
.LBB346_465:                            ;   in Loop: Header=BB346_16 Depth=1
	s_or_b32 exec_lo, exec_lo, s23
.LBB346_466:                            ;   in Loop: Header=BB346_16 Depth=1
	s_delay_alu instid0(SALU_CYCLE_1)
	s_or_b32 exec_lo, exec_lo, s22
.LBB346_467:                            ;   in Loop: Header=BB346_16 Depth=1
	s_delay_alu instid0(SALU_CYCLE_1)
	s_or_b32 exec_lo, exec_lo, s21
	flat_load_b64 v[33:34], v[31:32] offset:1544
	v_mov_b32_e32 v43, 0
	s_mov_b32 s21, exec_lo
	s_waitcnt vmcnt(0) lgkmcnt(0)
	v_dual_mov_b32 v44, 0 :: v_dual_and_b32 v7, 0xff, v33
	s_delay_alu instid0(VALU_DEP_1)
	v_cmpx_ne_u16_e32 0, v7
	s_cbranch_execz .LBB346_475
; %bb.468:                              ;   in Loop: Header=BB346_16 Depth=1
	v_bfrev_b32_e32 v43, 1
	s_mov_b32 s22, exec_lo
	v_cmpx_ne_u16_e32 0x80, v7
	s_cbranch_execz .LBB346_474
; %bb.469:                              ;   in Loop: Header=BB346_16 Depth=1
	v_and_b32_e32 v35, 0x7f, v33
	v_mov_b32_e32 v43, 0x7fc02000
	s_mov_b32 s23, exec_lo
	s_delay_alu instid0(VALU_DEP_2)
	v_cmpx_ne_u32_e32 0x7f, v35
	s_cbranch_execz .LBB346_473
; %bb.470:                              ;   in Loop: Header=BB346_16 Depth=1
	v_lshrrev_b32_e32 v7, 3, v35
	v_cmp_gt_u32_e64 s1, 8, v35
	v_dual_mov_b32 v36, v34 :: v_dual_mov_b32 v35, v33
	s_delay_alu instid0(VALU_DEP_2)
	s_and_saveexec_b32 s24, s1
; %bb.471:                              ;   in Loop: Header=BB346_16 Depth=1
	v_and_b32_e32 v7, 7, v33
	s_delay_alu instid0(VALU_DEP_1) | instskip(NEXT) | instid1(VALU_DEP_1)
	v_clz_i32_u32_e32 v7, v7
	v_min_u32_e32 v7, 32, v7
	s_delay_alu instid0(VALU_DEP_1) | instskip(SKIP_1) | instid1(VALU_DEP_2)
	v_subrev_nc_u32_e32 v35, 28, v7
	v_sub_nc_u32_e32 v7, 29, v7
	v_lshlrev_b64 v[35:36], v35, v[33:34]
; %bb.472:                              ;   in Loop: Header=BB346_16 Depth=1
	s_or_b32 exec_lo, exec_lo, s24
	v_lshlrev_b32_e32 v36, 8, v33
	s_delay_alu instid0(VALU_DEP_3) | instskip(NEXT) | instid1(VALU_DEP_3)
	v_lshl_add_u32 v7, v7, 10, 0x2000
	v_lshlrev_b32_e32 v35, 7, v35
	s_delay_alu instid0(VALU_DEP_2) | instskip(NEXT) | instid1(VALU_DEP_1)
	v_and_or_b32 v7, 0x8000, v36, v7
	v_and_or_b32 v7, 0x380, v35, v7
	s_delay_alu instid0(VALU_DEP_1)
	v_cvt_f32_f16_e32 v43, v7
.LBB346_473:                            ;   in Loop: Header=BB346_16 Depth=1
	s_or_b32 exec_lo, exec_lo, s23
.LBB346_474:                            ;   in Loop: Header=BB346_16 Depth=1
	s_delay_alu instid0(SALU_CYCLE_1)
	s_or_b32 exec_lo, exec_lo, s22
.LBB346_475:                            ;   in Loop: Header=BB346_16 Depth=1
	s_delay_alu instid0(SALU_CYCLE_1) | instskip(SKIP_2) | instid1(VALU_DEP_1)
	s_or_b32 exec_lo, exec_lo, s21
	v_lshrrev_b16 v7, 8, v33
	s_mov_b32 s21, exec_lo
	v_cmpx_ne_u16_e32 0, v7
	s_cbranch_execz .LBB346_483
; %bb.476:                              ;   in Loop: Header=BB346_16 Depth=1
	v_bfrev_b32_e32 v44, 1
	s_mov_b32 s22, exec_lo
	v_cmpx_ne_u16_e32 0x80, v7
	s_cbranch_execz .LBB346_482
; %bb.477:                              ;   in Loop: Header=BB346_16 Depth=1
	v_and_b32_e32 v45, 0xffff, v7
	v_mov_b32_e32 v44, 0x7fc02000
	s_mov_b32 s23, exec_lo
	s_delay_alu instid0(VALU_DEP_2) | instskip(NEXT) | instid1(VALU_DEP_1)
	v_and_b32_e32 v35, 0x7f, v45
	v_cmpx_ne_u32_e32 0x7f, v35
	s_cbranch_execz .LBB346_481
; %bb.478:                              ;   in Loop: Header=BB346_16 Depth=1
	v_and_b32_e32 v7, 7, v45
	v_lshrrev_b32_e32 v44, 3, v35
	v_cmp_gt_u32_e64 s1, 8, v35
	s_delay_alu instid0(VALU_DEP_3) | instskip(NEXT) | instid1(VALU_DEP_2)
	v_dual_mov_b32 v36, v8 :: v_dual_mov_b32 v35, v7
	s_and_saveexec_b32 s24, s1
; %bb.479:                              ;   in Loop: Header=BB346_16 Depth=1
	v_clz_i32_u32_e32 v35, v7
	s_delay_alu instid0(VALU_DEP_1) | instskip(NEXT) | instid1(VALU_DEP_1)
	v_min_u32_e32 v44, 32, v35
	v_subrev_nc_u32_e32 v35, 28, v44
	v_sub_nc_u32_e32 v44, 29, v44
	s_delay_alu instid0(VALU_DEP_2) | instskip(NEXT) | instid1(VALU_DEP_1)
	v_lshlrev_b64 v[35:36], v35, v[7:8]
	v_and_b32_e32 v35, 7, v35
; %bb.480:                              ;   in Loop: Header=BB346_16 Depth=1
	s_or_b32 exec_lo, exec_lo, s24
	v_lshlrev_b32_e32 v7, 8, v45
	v_lshl_add_u32 v36, v44, 10, 0x2000
	s_delay_alu instid0(VALU_DEP_1) | instskip(NEXT) | instid1(VALU_DEP_1)
	v_and_or_b32 v7, 0x8000, v7, v36
	v_lshl_or_b32 v7, v35, 7, v7
	s_delay_alu instid0(VALU_DEP_1)
	v_cvt_f32_f16_e32 v44, v7
.LBB346_481:                            ;   in Loop: Header=BB346_16 Depth=1
	s_or_b32 exec_lo, exec_lo, s23
.LBB346_482:                            ;   in Loop: Header=BB346_16 Depth=1
	s_delay_alu instid0(SALU_CYCLE_1)
	s_or_b32 exec_lo, exec_lo, s22
.LBB346_483:                            ;   in Loop: Header=BB346_16 Depth=1
	s_delay_alu instid0(SALU_CYCLE_1) | instskip(SKIP_3) | instid1(VALU_DEP_2)
	s_or_b32 exec_lo, exec_lo, s21
	v_lshrrev_b32_e32 v47, 16, v33
	v_mov_b32_e32 v45, 0
	s_mov_b32 s21, exec_lo
	v_dual_mov_b32 v46, 0 :: v_dual_and_b32 v7, 0xff, v47
	s_delay_alu instid0(VALU_DEP_1)
	v_cmpx_ne_u16_e32 0, v7
	s_cbranch_execz .LBB346_491
; %bb.484:                              ;   in Loop: Header=BB346_16 Depth=1
	v_bfrev_b32_e32 v45, 1
	s_mov_b32 s22, exec_lo
	v_cmpx_ne_u16_e32 0x80, v7
	s_cbranch_execz .LBB346_490
; %bb.485:                              ;   in Loop: Header=BB346_16 Depth=1
	v_bfe_u32 v35, v33, 16, 7
	v_mov_b32_e32 v45, 0x7fc02000
	s_mov_b32 s23, exec_lo
	s_delay_alu instid0(VALU_DEP_2)
	v_cmpx_ne_u32_e32 0x7f, v35
	s_cbranch_execz .LBB346_489
; %bb.486:                              ;   in Loop: Header=BB346_16 Depth=1
	v_and_b32_e32 v7, 7, v47
	v_lshrrev_b32_e32 v45, 3, v35
	v_cmp_gt_u32_e64 s1, 8, v35
	s_delay_alu instid0(VALU_DEP_3) | instskip(NEXT) | instid1(VALU_DEP_2)
	v_dual_mov_b32 v36, v8 :: v_dual_mov_b32 v35, v7
	s_and_saveexec_b32 s24, s1
; %bb.487:                              ;   in Loop: Header=BB346_16 Depth=1
	v_clz_i32_u32_e32 v35, v7
	s_delay_alu instid0(VALU_DEP_1) | instskip(NEXT) | instid1(VALU_DEP_1)
	v_min_u32_e32 v45, 32, v35
	v_subrev_nc_u32_e32 v35, 28, v45
	v_sub_nc_u32_e32 v45, 29, v45
	s_delay_alu instid0(VALU_DEP_2) | instskip(NEXT) | instid1(VALU_DEP_1)
	v_lshlrev_b64 v[35:36], v35, v[7:8]
	v_and_b32_e32 v35, 7, v35
; %bb.488:                              ;   in Loop: Header=BB346_16 Depth=1
	s_or_b32 exec_lo, exec_lo, s24
	v_lshlrev_b32_e32 v7, 8, v47
	v_lshl_add_u32 v36, v45, 10, 0x2000
	s_delay_alu instid0(VALU_DEP_1) | instskip(NEXT) | instid1(VALU_DEP_1)
	v_and_or_b32 v7, 0x8000, v7, v36
	v_lshl_or_b32 v7, v35, 7, v7
	s_delay_alu instid0(VALU_DEP_1)
	v_cvt_f32_f16_e32 v45, v7
.LBB346_489:                            ;   in Loop: Header=BB346_16 Depth=1
	s_or_b32 exec_lo, exec_lo, s23
.LBB346_490:                            ;   in Loop: Header=BB346_16 Depth=1
	s_delay_alu instid0(SALU_CYCLE_1)
	s_or_b32 exec_lo, exec_lo, s22
.LBB346_491:                            ;   in Loop: Header=BB346_16 Depth=1
	s_delay_alu instid0(SALU_CYCLE_1) | instskip(NEXT) | instid1(SALU_CYCLE_1)
	s_or_b32 exec_lo, exec_lo, s21
	s_mov_b32 s21, exec_lo
	v_cmpx_lt_u32_e32 0xffffff, v33
	s_cbranch_execz .LBB346_499
; %bb.492:                              ;   in Loop: Header=BB346_16 Depth=1
	v_lshrrev_b32_e32 v47, 24, v33
	v_bfrev_b32_e32 v46, 1
	s_mov_b32 s22, exec_lo
	s_delay_alu instid0(VALU_DEP_2)
	v_cmpx_ne_u32_e32 0x80, v47
	s_cbranch_execz .LBB346_498
; %bb.493:                              ;   in Loop: Header=BB346_16 Depth=1
	v_and_b32_e32 v35, 0x7f, v47
	v_mov_b32_e32 v46, 0x7fc02000
	s_mov_b32 s23, exec_lo
	s_delay_alu instid0(VALU_DEP_2)
	v_cmpx_ne_u32_e32 0x7f, v35
	s_cbranch_execz .LBB346_497
; %bb.494:                              ;   in Loop: Header=BB346_16 Depth=1
	v_and_b32_e32 v7, 7, v47
	v_lshrrev_b32_e32 v46, 3, v35
	v_cmp_gt_u32_e64 s1, 8, v35
	s_delay_alu instid0(VALU_DEP_3) | instskip(NEXT) | instid1(VALU_DEP_2)
	v_dual_mov_b32 v36, v8 :: v_dual_mov_b32 v35, v7
	s_and_saveexec_b32 s24, s1
; %bb.495:                              ;   in Loop: Header=BB346_16 Depth=1
	v_clz_i32_u32_e32 v35, v7
	s_delay_alu instid0(VALU_DEP_1) | instskip(NEXT) | instid1(VALU_DEP_1)
	v_min_u32_e32 v46, 32, v35
	v_subrev_nc_u32_e32 v35, 28, v46
	v_sub_nc_u32_e32 v46, 29, v46
	s_delay_alu instid0(VALU_DEP_2) | instskip(NEXT) | instid1(VALU_DEP_1)
	v_lshlrev_b64 v[35:36], v35, v[7:8]
	v_and_b32_e32 v35, 7, v35
; %bb.496:                              ;   in Loop: Header=BB346_16 Depth=1
	s_or_b32 exec_lo, exec_lo, s24
	v_lshlrev_b32_e32 v7, 8, v47
	v_lshl_add_u32 v36, v46, 10, 0x2000
	s_delay_alu instid0(VALU_DEP_1) | instskip(NEXT) | instid1(VALU_DEP_1)
	v_and_or_b32 v7, 0x8000, v7, v36
	v_lshl_or_b32 v7, v35, 7, v7
	s_delay_alu instid0(VALU_DEP_1)
	v_cvt_f32_f16_e32 v46, v7
.LBB346_497:                            ;   in Loop: Header=BB346_16 Depth=1
	s_or_b32 exec_lo, exec_lo, s23
.LBB346_498:                            ;   in Loop: Header=BB346_16 Depth=1
	s_delay_alu instid0(SALU_CYCLE_1)
	s_or_b32 exec_lo, exec_lo, s22
.LBB346_499:                            ;   in Loop: Header=BB346_16 Depth=1
	s_delay_alu instid0(SALU_CYCLE_1) | instskip(SKIP_4) | instid1(VALU_DEP_3)
	s_or_b32 exec_lo, exec_lo, s21
	v_dual_mov_b32 v60, 0 :: v_dual_and_b32 v35, 0xff, v34
	v_mov_b32_e32 v7, v34
	v_mov_b32_e32 v59, 0
	s_mov_b32 s21, exec_lo
	v_cmpx_ne_u16_e32 0, v35
	s_cbranch_execz .LBB346_507
; %bb.500:                              ;   in Loop: Header=BB346_16 Depth=1
	v_bfrev_b32_e32 v59, 1
	s_mov_b32 s22, exec_lo
	v_cmpx_ne_u16_e32 0x80, v35
	s_cbranch_execz .LBB346_506
; %bb.501:                              ;   in Loop: Header=BB346_16 Depth=1
	v_and_b32_e32 v35, 0x7f, v34
	v_mov_b32_e32 v59, 0x7fc02000
	s_mov_b32 s23, exec_lo
	s_delay_alu instid0(VALU_DEP_2)
	v_cmpx_ne_u32_e32 0x7f, v35
	s_cbranch_execz .LBB346_505
; %bb.502:                              ;   in Loop: Header=BB346_16 Depth=1
	v_lshrrev_b32_e32 v47, 3, v35
	v_cmp_gt_u32_e64 s1, 8, v35
	v_dual_mov_b32 v36, v8 :: v_dual_mov_b32 v35, v7
	s_delay_alu instid0(VALU_DEP_2)
	s_and_saveexec_b32 s24, s1
; %bb.503:                              ;   in Loop: Header=BB346_16 Depth=1
	v_and_b32_e32 v35, 7, v34
	s_delay_alu instid0(VALU_DEP_1) | instskip(NEXT) | instid1(VALU_DEP_1)
	v_clz_i32_u32_e32 v35, v35
	v_min_u32_e32 v47, 32, v35
	s_delay_alu instid0(VALU_DEP_1) | instskip(SKIP_1) | instid1(VALU_DEP_2)
	v_subrev_nc_u32_e32 v35, 28, v47
	v_sub_nc_u32_e32 v47, 29, v47
	v_lshlrev_b64 v[35:36], v35, v[7:8]
; %bb.504:                              ;   in Loop: Header=BB346_16 Depth=1
	s_or_b32 exec_lo, exec_lo, s24
	v_lshlrev_b32_e32 v36, 8, v34
	s_delay_alu instid0(VALU_DEP_3) | instskip(NEXT) | instid1(VALU_DEP_3)
	v_lshl_add_u32 v47, v47, 10, 0x2000
	v_lshlrev_b32_e32 v35, 7, v35
	s_delay_alu instid0(VALU_DEP_2) | instskip(NEXT) | instid1(VALU_DEP_1)
	v_and_or_b32 v36, 0x8000, v36, v47
	v_and_or_b32 v35, 0x380, v35, v36
	s_delay_alu instid0(VALU_DEP_1)
	v_cvt_f32_f16_e32 v59, v35
.LBB346_505:                            ;   in Loop: Header=BB346_16 Depth=1
	s_or_b32 exec_lo, exec_lo, s23
.LBB346_506:                            ;   in Loop: Header=BB346_16 Depth=1
	s_delay_alu instid0(SALU_CYCLE_1)
	s_or_b32 exec_lo, exec_lo, s22
.LBB346_507:                            ;   in Loop: Header=BB346_16 Depth=1
	s_delay_alu instid0(SALU_CYCLE_1) | instskip(SKIP_2) | instid1(VALU_DEP_1)
	s_or_b32 exec_lo, exec_lo, s21
	v_lshrrev_b16 v7, 8, v7
	s_mov_b32 s21, exec_lo
	v_cmpx_ne_u16_e32 0, v7
	s_cbranch_execz .LBB346_515
; %bb.508:                              ;   in Loop: Header=BB346_16 Depth=1
	v_bfrev_b32_e32 v60, 1
	s_mov_b32 s22, exec_lo
	v_cmpx_ne_u16_e32 0x80, v7
	s_cbranch_execz .LBB346_514
; %bb.509:                              ;   in Loop: Header=BB346_16 Depth=1
	v_and_b32_e32 v47, 0xffff, v7
	v_mov_b32_e32 v60, 0x7fc02000
	s_mov_b32 s23, exec_lo
	s_delay_alu instid0(VALU_DEP_2) | instskip(NEXT) | instid1(VALU_DEP_1)
	v_and_b32_e32 v35, 0x7f, v47
	v_cmpx_ne_u32_e32 0x7f, v35
	s_cbranch_execz .LBB346_513
; %bb.510:                              ;   in Loop: Header=BB346_16 Depth=1
	v_and_b32_e32 v7, 7, v47
	v_lshrrev_b32_e32 v56, 3, v35
	v_cmp_gt_u32_e64 s1, 8, v35
	s_delay_alu instid0(VALU_DEP_3) | instskip(NEXT) | instid1(VALU_DEP_2)
	v_dual_mov_b32 v36, v8 :: v_dual_mov_b32 v35, v7
	s_and_saveexec_b32 s24, s1
; %bb.511:                              ;   in Loop: Header=BB346_16 Depth=1
	v_clz_i32_u32_e32 v35, v7
	s_delay_alu instid0(VALU_DEP_1) | instskip(NEXT) | instid1(VALU_DEP_1)
	v_min_u32_e32 v56, 32, v35
	v_subrev_nc_u32_e32 v35, 28, v56
	v_sub_nc_u32_e32 v56, 29, v56
	s_delay_alu instid0(VALU_DEP_2) | instskip(NEXT) | instid1(VALU_DEP_1)
	v_lshlrev_b64 v[35:36], v35, v[7:8]
	v_and_b32_e32 v35, 7, v35
; %bb.512:                              ;   in Loop: Header=BB346_16 Depth=1
	s_or_b32 exec_lo, exec_lo, s24
	v_lshlrev_b32_e32 v7, 8, v47
	v_lshl_add_u32 v36, v56, 10, 0x2000
	s_delay_alu instid0(VALU_DEP_1) | instskip(NEXT) | instid1(VALU_DEP_1)
	v_and_or_b32 v7, 0x8000, v7, v36
	v_lshl_or_b32 v7, v35, 7, v7
	s_delay_alu instid0(VALU_DEP_1)
	v_cvt_f32_f16_e32 v60, v7
.LBB346_513:                            ;   in Loop: Header=BB346_16 Depth=1
	s_or_b32 exec_lo, exec_lo, s23
.LBB346_514:                            ;   in Loop: Header=BB346_16 Depth=1
	s_delay_alu instid0(SALU_CYCLE_1)
	s_or_b32 exec_lo, exec_lo, s22
.LBB346_515:                            ;   in Loop: Header=BB346_16 Depth=1
	s_delay_alu instid0(SALU_CYCLE_1) | instskip(SKIP_3) | instid1(VALU_DEP_2)
	s_or_b32 exec_lo, exec_lo, s21
	v_lshrrev_b32_e32 v47, 16, v34
	v_mov_b32_e32 v75, 0
	s_mov_b32 s21, exec_lo
	v_dual_mov_b32 v76, 0 :: v_dual_and_b32 v7, 0xff, v47
	s_delay_alu instid0(VALU_DEP_1)
	v_cmpx_ne_u16_e32 0, v7
	s_cbranch_execz .LBB346_523
; %bb.516:                              ;   in Loop: Header=BB346_16 Depth=1
	v_bfrev_b32_e32 v76, 1
	s_mov_b32 s22, exec_lo
	v_cmpx_ne_u16_e32 0x80, v7
	s_cbranch_execz .LBB346_522
; %bb.517:                              ;   in Loop: Header=BB346_16 Depth=1
	v_bfe_u32 v35, v34, 16, 7
	v_mov_b32_e32 v76, 0x7fc02000
	s_mov_b32 s23, exec_lo
	s_delay_alu instid0(VALU_DEP_2)
	v_cmpx_ne_u32_e32 0x7f, v35
	s_cbranch_execz .LBB346_521
; %bb.518:                              ;   in Loop: Header=BB346_16 Depth=1
	v_and_b32_e32 v7, 7, v47
	v_lshrrev_b32_e32 v56, 3, v35
	v_cmp_gt_u32_e64 s1, 8, v35
	s_delay_alu instid0(VALU_DEP_3) | instskip(NEXT) | instid1(VALU_DEP_2)
	v_dual_mov_b32 v36, v8 :: v_dual_mov_b32 v35, v7
	s_and_saveexec_b32 s24, s1
; %bb.519:                              ;   in Loop: Header=BB346_16 Depth=1
	v_clz_i32_u32_e32 v35, v7
	s_delay_alu instid0(VALU_DEP_1) | instskip(NEXT) | instid1(VALU_DEP_1)
	v_min_u32_e32 v56, 32, v35
	v_subrev_nc_u32_e32 v35, 28, v56
	v_sub_nc_u32_e32 v56, 29, v56
	s_delay_alu instid0(VALU_DEP_2) | instskip(NEXT) | instid1(VALU_DEP_1)
	v_lshlrev_b64 v[35:36], v35, v[7:8]
	v_and_b32_e32 v35, 7, v35
; %bb.520:                              ;   in Loop: Header=BB346_16 Depth=1
	s_or_b32 exec_lo, exec_lo, s24
	v_lshlrev_b32_e32 v7, 8, v47
	v_lshl_add_u32 v36, v56, 10, 0x2000
	s_delay_alu instid0(VALU_DEP_1) | instskip(NEXT) | instid1(VALU_DEP_1)
	v_and_or_b32 v7, 0x8000, v7, v36
	v_lshl_or_b32 v7, v35, 7, v7
	s_delay_alu instid0(VALU_DEP_1)
	v_cvt_f32_f16_e32 v76, v7
.LBB346_521:                            ;   in Loop: Header=BB346_16 Depth=1
	s_or_b32 exec_lo, exec_lo, s23
.LBB346_522:                            ;   in Loop: Header=BB346_16 Depth=1
	s_delay_alu instid0(SALU_CYCLE_1)
	s_or_b32 exec_lo, exec_lo, s22
.LBB346_523:                            ;   in Loop: Header=BB346_16 Depth=1
	s_delay_alu instid0(SALU_CYCLE_1) | instskip(NEXT) | instid1(SALU_CYCLE_1)
	s_or_b32 exec_lo, exec_lo, s21
	s_mov_b32 s21, exec_lo
	v_cmpx_lt_u64_e64 s[8:9], v[33:34]
	s_cbranch_execz .LBB346_531
; %bb.524:                              ;   in Loop: Header=BB346_16 Depth=1
	v_lshrrev_b32_e32 v35, 24, v34
	v_bfrev_b32_e32 v75, 1
	s_mov_b32 s22, exec_lo
	s_delay_alu instid0(VALU_DEP_2)
	v_cmpx_ne_u32_e32 0x80, v35
	s_cbranch_execz .LBB346_530
; %bb.525:                              ;   in Loop: Header=BB346_16 Depth=1
	v_and_b32_e32 v33, 0x7f, v35
	v_mov_b32_e32 v75, 0x7fc02000
	s_mov_b32 s23, exec_lo
	s_delay_alu instid0(VALU_DEP_2)
	v_cmpx_ne_u32_e32 0x7f, v33
	s_cbranch_execz .LBB346_529
; %bb.526:                              ;   in Loop: Header=BB346_16 Depth=1
	v_and_b32_e32 v7, 7, v35
	v_lshrrev_b32_e32 v36, 3, v33
	v_cmp_gt_u32_e64 s1, 8, v33
	s_delay_alu instid0(VALU_DEP_3) | instskip(NEXT) | instid1(VALU_DEP_2)
	v_dual_mov_b32 v34, v8 :: v_dual_mov_b32 v33, v7
	s_and_saveexec_b32 s24, s1
; %bb.527:                              ;   in Loop: Header=BB346_16 Depth=1
	v_clz_i32_u32_e32 v33, v7
	s_delay_alu instid0(VALU_DEP_1) | instskip(NEXT) | instid1(VALU_DEP_1)
	v_min_u32_e32 v36, 32, v33
	v_subrev_nc_u32_e32 v33, 28, v36
	v_sub_nc_u32_e32 v36, 29, v36
	s_delay_alu instid0(VALU_DEP_2) | instskip(NEXT) | instid1(VALU_DEP_1)
	v_lshlrev_b64 v[33:34], v33, v[7:8]
	v_and_b32_e32 v33, 7, v33
; %bb.528:                              ;   in Loop: Header=BB346_16 Depth=1
	s_or_b32 exec_lo, exec_lo, s24
	v_lshlrev_b32_e32 v7, 8, v35
	v_lshl_add_u32 v34, v36, 10, 0x2000
	s_delay_alu instid0(VALU_DEP_1) | instskip(NEXT) | instid1(VALU_DEP_1)
	v_and_or_b32 v7, 0x8000, v7, v34
	v_lshl_or_b32 v7, v33, 7, v7
	s_delay_alu instid0(VALU_DEP_1)
	v_cvt_f32_f16_e32 v75, v7
.LBB346_529:                            ;   in Loop: Header=BB346_16 Depth=1
	s_or_b32 exec_lo, exec_lo, s23
.LBB346_530:                            ;   in Loop: Header=BB346_16 Depth=1
	s_delay_alu instid0(SALU_CYCLE_1)
	s_or_b32 exec_lo, exec_lo, s22
.LBB346_531:                            ;   in Loop: Header=BB346_16 Depth=1
	s_delay_alu instid0(SALU_CYCLE_1)
	s_or_b32 exec_lo, exec_lo, s21
	flat_load_b64 v[33:34], v[31:32] offset:2048
	v_mov_b32_e32 v91, 0
	s_mov_b32 s21, exec_lo
	s_waitcnt vmcnt(0) lgkmcnt(0)
	v_dual_mov_b32 v92, 0 :: v_dual_and_b32 v7, 0xff, v33
	s_delay_alu instid0(VALU_DEP_1)
	v_cmpx_ne_u16_e32 0, v7
	s_cbranch_execz .LBB346_539
; %bb.532:                              ;   in Loop: Header=BB346_16 Depth=1
	v_bfrev_b32_e32 v91, 1
	s_mov_b32 s22, exec_lo
	v_cmpx_ne_u16_e32 0x80, v7
	s_cbranch_execz .LBB346_538
; %bb.533:                              ;   in Loop: Header=BB346_16 Depth=1
	v_and_b32_e32 v35, 0x7f, v33
	v_mov_b32_e32 v91, 0x7fc02000
	s_mov_b32 s23, exec_lo
	s_delay_alu instid0(VALU_DEP_2)
	v_cmpx_ne_u32_e32 0x7f, v35
	s_cbranch_execz .LBB346_537
; %bb.534:                              ;   in Loop: Header=BB346_16 Depth=1
	v_lshrrev_b32_e32 v7, 3, v35
	v_cmp_gt_u32_e64 s1, 8, v35
	v_dual_mov_b32 v36, v34 :: v_dual_mov_b32 v35, v33
	s_delay_alu instid0(VALU_DEP_2)
	s_and_saveexec_b32 s24, s1
; %bb.535:                              ;   in Loop: Header=BB346_16 Depth=1
	v_and_b32_e32 v7, 7, v33
	s_delay_alu instid0(VALU_DEP_1) | instskip(NEXT) | instid1(VALU_DEP_1)
	v_clz_i32_u32_e32 v7, v7
	v_min_u32_e32 v7, 32, v7
	s_delay_alu instid0(VALU_DEP_1) | instskip(SKIP_1) | instid1(VALU_DEP_2)
	v_subrev_nc_u32_e32 v35, 28, v7
	v_sub_nc_u32_e32 v7, 29, v7
	v_lshlrev_b64 v[35:36], v35, v[33:34]
; %bb.536:                              ;   in Loop: Header=BB346_16 Depth=1
	s_or_b32 exec_lo, exec_lo, s24
	v_lshlrev_b32_e32 v36, 8, v33
	s_delay_alu instid0(VALU_DEP_3) | instskip(NEXT) | instid1(VALU_DEP_3)
	v_lshl_add_u32 v7, v7, 10, 0x2000
	v_lshlrev_b32_e32 v35, 7, v35
	s_delay_alu instid0(VALU_DEP_2) | instskip(NEXT) | instid1(VALU_DEP_1)
	v_and_or_b32 v7, 0x8000, v36, v7
	v_and_or_b32 v7, 0x380, v35, v7
	s_delay_alu instid0(VALU_DEP_1)
	v_cvt_f32_f16_e32 v91, v7
.LBB346_537:                            ;   in Loop: Header=BB346_16 Depth=1
	s_or_b32 exec_lo, exec_lo, s23
.LBB346_538:                            ;   in Loop: Header=BB346_16 Depth=1
	s_delay_alu instid0(SALU_CYCLE_1)
	s_or_b32 exec_lo, exec_lo, s22
.LBB346_539:                            ;   in Loop: Header=BB346_16 Depth=1
	s_delay_alu instid0(SALU_CYCLE_1) | instskip(SKIP_2) | instid1(VALU_DEP_1)
	s_or_b32 exec_lo, exec_lo, s21
	v_lshrrev_b16 v7, 8, v33
	s_mov_b32 s21, exec_lo
	v_cmpx_ne_u16_e32 0, v7
	s_cbranch_execz .LBB346_547
; %bb.540:                              ;   in Loop: Header=BB346_16 Depth=1
	v_bfrev_b32_e32 v92, 1
	s_mov_b32 s22, exec_lo
	v_cmpx_ne_u16_e32 0x80, v7
	s_cbranch_execz .LBB346_546
; %bb.541:                              ;   in Loop: Header=BB346_16 Depth=1
	v_and_b32_e32 v47, 0xffff, v7
	v_mov_b32_e32 v92, 0x7fc02000
	s_mov_b32 s23, exec_lo
	s_delay_alu instid0(VALU_DEP_2) | instskip(NEXT) | instid1(VALU_DEP_1)
	v_and_b32_e32 v35, 0x7f, v47
	v_cmpx_ne_u32_e32 0x7f, v35
	s_cbranch_execz .LBB346_545
; %bb.542:                              ;   in Loop: Header=BB346_16 Depth=1
	v_and_b32_e32 v7, 7, v47
	v_lshrrev_b32_e32 v56, 3, v35
	v_cmp_gt_u32_e64 s1, 8, v35
	s_delay_alu instid0(VALU_DEP_3) | instskip(NEXT) | instid1(VALU_DEP_2)
	v_dual_mov_b32 v36, v8 :: v_dual_mov_b32 v35, v7
	s_and_saveexec_b32 s24, s1
; %bb.543:                              ;   in Loop: Header=BB346_16 Depth=1
	v_clz_i32_u32_e32 v35, v7
	s_delay_alu instid0(VALU_DEP_1) | instskip(NEXT) | instid1(VALU_DEP_1)
	v_min_u32_e32 v56, 32, v35
	v_subrev_nc_u32_e32 v35, 28, v56
	v_sub_nc_u32_e32 v56, 29, v56
	s_delay_alu instid0(VALU_DEP_2) | instskip(NEXT) | instid1(VALU_DEP_1)
	v_lshlrev_b64 v[35:36], v35, v[7:8]
	v_and_b32_e32 v35, 7, v35
; %bb.544:                              ;   in Loop: Header=BB346_16 Depth=1
	s_or_b32 exec_lo, exec_lo, s24
	v_lshlrev_b32_e32 v7, 8, v47
	v_lshl_add_u32 v36, v56, 10, 0x2000
	s_delay_alu instid0(VALU_DEP_1) | instskip(NEXT) | instid1(VALU_DEP_1)
	v_and_or_b32 v7, 0x8000, v7, v36
	v_lshl_or_b32 v7, v35, 7, v7
	s_delay_alu instid0(VALU_DEP_1)
	v_cvt_f32_f16_e32 v92, v7
.LBB346_545:                            ;   in Loop: Header=BB346_16 Depth=1
	s_or_b32 exec_lo, exec_lo, s23
.LBB346_546:                            ;   in Loop: Header=BB346_16 Depth=1
	s_delay_alu instid0(SALU_CYCLE_1)
	s_or_b32 exec_lo, exec_lo, s22
.LBB346_547:                            ;   in Loop: Header=BB346_16 Depth=1
	s_delay_alu instid0(SALU_CYCLE_1) | instskip(SKIP_3) | instid1(VALU_DEP_2)
	s_or_b32 exec_lo, exec_lo, s21
	v_lshrrev_b32_e32 v47, 16, v33
	v_mov_b32_e32 v93, 0
	s_mov_b32 s21, exec_lo
	v_dual_mov_b32 v94, 0 :: v_dual_and_b32 v7, 0xff, v47
	s_delay_alu instid0(VALU_DEP_1)
	v_cmpx_ne_u16_e32 0, v7
	s_cbranch_execz .LBB346_555
; %bb.548:                              ;   in Loop: Header=BB346_16 Depth=1
	v_bfrev_b32_e32 v93, 1
	s_mov_b32 s22, exec_lo
	v_cmpx_ne_u16_e32 0x80, v7
	s_cbranch_execz .LBB346_554
; %bb.549:                              ;   in Loop: Header=BB346_16 Depth=1
	v_bfe_u32 v35, v33, 16, 7
	v_mov_b32_e32 v93, 0x7fc02000
	s_mov_b32 s23, exec_lo
	s_delay_alu instid0(VALU_DEP_2)
	v_cmpx_ne_u32_e32 0x7f, v35
	s_cbranch_execz .LBB346_553
; %bb.550:                              ;   in Loop: Header=BB346_16 Depth=1
	v_and_b32_e32 v7, 7, v47
	v_lshrrev_b32_e32 v56, 3, v35
	v_cmp_gt_u32_e64 s1, 8, v35
	s_delay_alu instid0(VALU_DEP_3) | instskip(NEXT) | instid1(VALU_DEP_2)
	v_dual_mov_b32 v36, v8 :: v_dual_mov_b32 v35, v7
	s_and_saveexec_b32 s24, s1
; %bb.551:                              ;   in Loop: Header=BB346_16 Depth=1
	v_clz_i32_u32_e32 v35, v7
	s_delay_alu instid0(VALU_DEP_1) | instskip(NEXT) | instid1(VALU_DEP_1)
	v_min_u32_e32 v56, 32, v35
	v_subrev_nc_u32_e32 v35, 28, v56
	v_sub_nc_u32_e32 v56, 29, v56
	s_delay_alu instid0(VALU_DEP_2) | instskip(NEXT) | instid1(VALU_DEP_1)
	v_lshlrev_b64 v[35:36], v35, v[7:8]
	v_and_b32_e32 v35, 7, v35
; %bb.552:                              ;   in Loop: Header=BB346_16 Depth=1
	s_or_b32 exec_lo, exec_lo, s24
	v_lshlrev_b32_e32 v7, 8, v47
	v_lshl_add_u32 v36, v56, 10, 0x2000
	s_delay_alu instid0(VALU_DEP_1) | instskip(NEXT) | instid1(VALU_DEP_1)
	v_and_or_b32 v7, 0x8000, v7, v36
	v_lshl_or_b32 v7, v35, 7, v7
	s_delay_alu instid0(VALU_DEP_1)
	v_cvt_f32_f16_e32 v93, v7
.LBB346_553:                            ;   in Loop: Header=BB346_16 Depth=1
	s_or_b32 exec_lo, exec_lo, s23
.LBB346_554:                            ;   in Loop: Header=BB346_16 Depth=1
	s_delay_alu instid0(SALU_CYCLE_1)
	s_or_b32 exec_lo, exec_lo, s22
.LBB346_555:                            ;   in Loop: Header=BB346_16 Depth=1
	s_delay_alu instid0(SALU_CYCLE_1) | instskip(NEXT) | instid1(SALU_CYCLE_1)
	s_or_b32 exec_lo, exec_lo, s21
	s_mov_b32 s21, exec_lo
	v_cmpx_lt_u32_e32 0xffffff, v33
	s_cbranch_execz .LBB346_563
; %bb.556:                              ;   in Loop: Header=BB346_16 Depth=1
	v_lshrrev_b32_e32 v47, 24, v33
	v_bfrev_b32_e32 v94, 1
	s_mov_b32 s22, exec_lo
	s_delay_alu instid0(VALU_DEP_2)
	v_cmpx_ne_u32_e32 0x80, v47
	s_cbranch_execz .LBB346_562
; %bb.557:                              ;   in Loop: Header=BB346_16 Depth=1
	v_and_b32_e32 v35, 0x7f, v47
	v_mov_b32_e32 v94, 0x7fc02000
	s_mov_b32 s23, exec_lo
	s_delay_alu instid0(VALU_DEP_2)
	v_cmpx_ne_u32_e32 0x7f, v35
	s_cbranch_execz .LBB346_561
; %bb.558:                              ;   in Loop: Header=BB346_16 Depth=1
	v_and_b32_e32 v7, 7, v47
	v_lshrrev_b32_e32 v56, 3, v35
	v_cmp_gt_u32_e64 s1, 8, v35
	s_delay_alu instid0(VALU_DEP_3) | instskip(NEXT) | instid1(VALU_DEP_2)
	v_dual_mov_b32 v36, v8 :: v_dual_mov_b32 v35, v7
	s_and_saveexec_b32 s24, s1
; %bb.559:                              ;   in Loop: Header=BB346_16 Depth=1
	v_clz_i32_u32_e32 v35, v7
	s_delay_alu instid0(VALU_DEP_1) | instskip(NEXT) | instid1(VALU_DEP_1)
	v_min_u32_e32 v56, 32, v35
	v_subrev_nc_u32_e32 v35, 28, v56
	v_sub_nc_u32_e32 v56, 29, v56
	s_delay_alu instid0(VALU_DEP_2) | instskip(NEXT) | instid1(VALU_DEP_1)
	v_lshlrev_b64 v[35:36], v35, v[7:8]
	v_and_b32_e32 v35, 7, v35
; %bb.560:                              ;   in Loop: Header=BB346_16 Depth=1
	s_or_b32 exec_lo, exec_lo, s24
	v_lshlrev_b32_e32 v7, 8, v47
	v_lshl_add_u32 v36, v56, 10, 0x2000
	s_delay_alu instid0(VALU_DEP_1) | instskip(NEXT) | instid1(VALU_DEP_1)
	v_and_or_b32 v7, 0x8000, v7, v36
	v_lshl_or_b32 v7, v35, 7, v7
	s_delay_alu instid0(VALU_DEP_1)
	v_cvt_f32_f16_e32 v94, v7
.LBB346_561:                            ;   in Loop: Header=BB346_16 Depth=1
	s_or_b32 exec_lo, exec_lo, s23
.LBB346_562:                            ;   in Loop: Header=BB346_16 Depth=1
	s_delay_alu instid0(SALU_CYCLE_1)
	s_or_b32 exec_lo, exec_lo, s22
.LBB346_563:                            ;   in Loop: Header=BB346_16 Depth=1
	s_delay_alu instid0(SALU_CYCLE_1) | instskip(SKIP_4) | instid1(VALU_DEP_3)
	s_or_b32 exec_lo, exec_lo, s21
	v_dual_mov_b32 v108, 0 :: v_dual_and_b32 v35, 0xff, v34
	v_mov_b32_e32 v7, v34
	v_mov_b32_e32 v107, 0
	s_mov_b32 s21, exec_lo
	v_cmpx_ne_u16_e32 0, v35
	s_cbranch_execz .LBB346_571
; %bb.564:                              ;   in Loop: Header=BB346_16 Depth=1
	v_bfrev_b32_e32 v107, 1
	s_mov_b32 s22, exec_lo
	v_cmpx_ne_u16_e32 0x80, v35
	s_cbranch_execz .LBB346_570
; %bb.565:                              ;   in Loop: Header=BB346_16 Depth=1
	v_and_b32_e32 v35, 0x7f, v34
	v_mov_b32_e32 v107, 0x7fc02000
	s_mov_b32 s23, exec_lo
	s_delay_alu instid0(VALU_DEP_2)
	v_cmpx_ne_u32_e32 0x7f, v35
	s_cbranch_execz .LBB346_569
; %bb.566:                              ;   in Loop: Header=BB346_16 Depth=1
	v_lshrrev_b32_e32 v47, 3, v35
	v_cmp_gt_u32_e64 s1, 8, v35
	v_dual_mov_b32 v36, v8 :: v_dual_mov_b32 v35, v7
	s_delay_alu instid0(VALU_DEP_2)
	s_and_saveexec_b32 s24, s1
; %bb.567:                              ;   in Loop: Header=BB346_16 Depth=1
	v_and_b32_e32 v35, 7, v34
	s_delay_alu instid0(VALU_DEP_1) | instskip(NEXT) | instid1(VALU_DEP_1)
	v_clz_i32_u32_e32 v35, v35
	v_min_u32_e32 v47, 32, v35
	s_delay_alu instid0(VALU_DEP_1) | instskip(SKIP_1) | instid1(VALU_DEP_2)
	v_subrev_nc_u32_e32 v35, 28, v47
	v_sub_nc_u32_e32 v47, 29, v47
	v_lshlrev_b64 v[35:36], v35, v[7:8]
; %bb.568:                              ;   in Loop: Header=BB346_16 Depth=1
	s_or_b32 exec_lo, exec_lo, s24
	v_lshlrev_b32_e32 v36, 8, v34
	s_delay_alu instid0(VALU_DEP_3) | instskip(NEXT) | instid1(VALU_DEP_3)
	v_lshl_add_u32 v47, v47, 10, 0x2000
	v_lshlrev_b32_e32 v35, 7, v35
	s_delay_alu instid0(VALU_DEP_2) | instskip(NEXT) | instid1(VALU_DEP_1)
	v_and_or_b32 v36, 0x8000, v36, v47
	v_and_or_b32 v35, 0x380, v35, v36
	s_delay_alu instid0(VALU_DEP_1)
	v_cvt_f32_f16_e32 v107, v35
.LBB346_569:                            ;   in Loop: Header=BB346_16 Depth=1
	s_or_b32 exec_lo, exec_lo, s23
.LBB346_570:                            ;   in Loop: Header=BB346_16 Depth=1
	s_delay_alu instid0(SALU_CYCLE_1)
	s_or_b32 exec_lo, exec_lo, s22
.LBB346_571:                            ;   in Loop: Header=BB346_16 Depth=1
	s_delay_alu instid0(SALU_CYCLE_1) | instskip(SKIP_2) | instid1(VALU_DEP_1)
	s_or_b32 exec_lo, exec_lo, s21
	v_lshrrev_b16 v7, 8, v7
	s_mov_b32 s21, exec_lo
	v_cmpx_ne_u16_e32 0, v7
	s_cbranch_execz .LBB346_579
; %bb.572:                              ;   in Loop: Header=BB346_16 Depth=1
	v_bfrev_b32_e32 v108, 1
	s_mov_b32 s22, exec_lo
	v_cmpx_ne_u16_e32 0x80, v7
	s_cbranch_execz .LBB346_578
; %bb.573:                              ;   in Loop: Header=BB346_16 Depth=1
	v_and_b32_e32 v47, 0xffff, v7
	v_mov_b32_e32 v108, 0x7fc02000
	s_mov_b32 s23, exec_lo
	s_delay_alu instid0(VALU_DEP_2) | instskip(NEXT) | instid1(VALU_DEP_1)
	v_and_b32_e32 v35, 0x7f, v47
	v_cmpx_ne_u32_e32 0x7f, v35
	s_cbranch_execz .LBB346_577
; %bb.574:                              ;   in Loop: Header=BB346_16 Depth=1
	v_and_b32_e32 v7, 7, v47
	v_lshrrev_b32_e32 v56, 3, v35
	v_cmp_gt_u32_e64 s1, 8, v35
	s_delay_alu instid0(VALU_DEP_3) | instskip(NEXT) | instid1(VALU_DEP_2)
	v_dual_mov_b32 v36, v8 :: v_dual_mov_b32 v35, v7
	s_and_saveexec_b32 s24, s1
; %bb.575:                              ;   in Loop: Header=BB346_16 Depth=1
	v_clz_i32_u32_e32 v35, v7
	s_delay_alu instid0(VALU_DEP_1) | instskip(NEXT) | instid1(VALU_DEP_1)
	v_min_u32_e32 v56, 32, v35
	v_subrev_nc_u32_e32 v35, 28, v56
	v_sub_nc_u32_e32 v56, 29, v56
	s_delay_alu instid0(VALU_DEP_2) | instskip(NEXT) | instid1(VALU_DEP_1)
	v_lshlrev_b64 v[35:36], v35, v[7:8]
	v_and_b32_e32 v35, 7, v35
; %bb.576:                              ;   in Loop: Header=BB346_16 Depth=1
	s_or_b32 exec_lo, exec_lo, s24
	v_lshlrev_b32_e32 v7, 8, v47
	v_lshl_add_u32 v36, v56, 10, 0x2000
	s_delay_alu instid0(VALU_DEP_1) | instskip(NEXT) | instid1(VALU_DEP_1)
	v_and_or_b32 v7, 0x8000, v7, v36
	v_lshl_or_b32 v7, v35, 7, v7
	s_delay_alu instid0(VALU_DEP_1)
	v_cvt_f32_f16_e32 v108, v7
.LBB346_577:                            ;   in Loop: Header=BB346_16 Depth=1
	s_or_b32 exec_lo, exec_lo, s23
.LBB346_578:                            ;   in Loop: Header=BB346_16 Depth=1
	s_delay_alu instid0(SALU_CYCLE_1)
	s_or_b32 exec_lo, exec_lo, s22
.LBB346_579:                            ;   in Loop: Header=BB346_16 Depth=1
	s_delay_alu instid0(SALU_CYCLE_1) | instskip(SKIP_3) | instid1(VALU_DEP_2)
	s_or_b32 exec_lo, exec_lo, s21
	v_lshrrev_b32_e32 v47, 16, v34
	v_mov_b32_e32 v109, 0
	s_mov_b32 s21, exec_lo
	v_dual_mov_b32 v110, 0 :: v_dual_and_b32 v7, 0xff, v47
	s_delay_alu instid0(VALU_DEP_1)
	v_cmpx_ne_u16_e32 0, v7
	s_cbranch_execz .LBB346_587
; %bb.580:                              ;   in Loop: Header=BB346_16 Depth=1
	v_bfrev_b32_e32 v110, 1
	s_mov_b32 s22, exec_lo
	v_cmpx_ne_u16_e32 0x80, v7
	s_cbranch_execz .LBB346_586
; %bb.581:                              ;   in Loop: Header=BB346_16 Depth=1
	v_bfe_u32 v35, v34, 16, 7
	v_mov_b32_e32 v110, 0x7fc02000
	s_mov_b32 s23, exec_lo
	s_delay_alu instid0(VALU_DEP_2)
	v_cmpx_ne_u32_e32 0x7f, v35
	s_cbranch_execz .LBB346_585
; %bb.582:                              ;   in Loop: Header=BB346_16 Depth=1
	v_and_b32_e32 v7, 7, v47
	v_lshrrev_b32_e32 v56, 3, v35
	v_cmp_gt_u32_e64 s1, 8, v35
	s_delay_alu instid0(VALU_DEP_3) | instskip(NEXT) | instid1(VALU_DEP_2)
	v_dual_mov_b32 v36, v8 :: v_dual_mov_b32 v35, v7
	s_and_saveexec_b32 s24, s1
; %bb.583:                              ;   in Loop: Header=BB346_16 Depth=1
	v_clz_i32_u32_e32 v35, v7
	s_delay_alu instid0(VALU_DEP_1) | instskip(NEXT) | instid1(VALU_DEP_1)
	v_min_u32_e32 v56, 32, v35
	v_subrev_nc_u32_e32 v35, 28, v56
	v_sub_nc_u32_e32 v56, 29, v56
	s_delay_alu instid0(VALU_DEP_2) | instskip(NEXT) | instid1(VALU_DEP_1)
	v_lshlrev_b64 v[35:36], v35, v[7:8]
	v_and_b32_e32 v35, 7, v35
; %bb.584:                              ;   in Loop: Header=BB346_16 Depth=1
	s_or_b32 exec_lo, exec_lo, s24
	v_lshlrev_b32_e32 v7, 8, v47
	v_lshl_add_u32 v36, v56, 10, 0x2000
	s_delay_alu instid0(VALU_DEP_1) | instskip(NEXT) | instid1(VALU_DEP_1)
	v_and_or_b32 v7, 0x8000, v7, v36
	v_lshl_or_b32 v7, v35, 7, v7
	s_delay_alu instid0(VALU_DEP_1)
	v_cvt_f32_f16_e32 v110, v7
.LBB346_585:                            ;   in Loop: Header=BB346_16 Depth=1
	s_or_b32 exec_lo, exec_lo, s23
.LBB346_586:                            ;   in Loop: Header=BB346_16 Depth=1
	s_delay_alu instid0(SALU_CYCLE_1)
	s_or_b32 exec_lo, exec_lo, s22
.LBB346_587:                            ;   in Loop: Header=BB346_16 Depth=1
	s_delay_alu instid0(SALU_CYCLE_1) | instskip(NEXT) | instid1(SALU_CYCLE_1)
	s_or_b32 exec_lo, exec_lo, s21
	s_mov_b32 s21, exec_lo
	v_cmpx_lt_u64_e64 s[8:9], v[33:34]
	s_cbranch_execz .LBB346_595
; %bb.588:                              ;   in Loop: Header=BB346_16 Depth=1
	v_lshrrev_b32_e32 v35, 24, v34
	v_bfrev_b32_e32 v109, 1
	s_mov_b32 s22, exec_lo
	s_delay_alu instid0(VALU_DEP_2)
	v_cmpx_ne_u32_e32 0x80, v35
	s_cbranch_execz .LBB346_594
; %bb.589:                              ;   in Loop: Header=BB346_16 Depth=1
	v_and_b32_e32 v33, 0x7f, v35
	v_mov_b32_e32 v109, 0x7fc02000
	s_mov_b32 s23, exec_lo
	s_delay_alu instid0(VALU_DEP_2)
	v_cmpx_ne_u32_e32 0x7f, v33
	s_cbranch_execz .LBB346_593
; %bb.590:                              ;   in Loop: Header=BB346_16 Depth=1
	v_and_b32_e32 v7, 7, v35
	v_lshrrev_b32_e32 v36, 3, v33
	v_cmp_gt_u32_e64 s1, 8, v33
	s_delay_alu instid0(VALU_DEP_3) | instskip(NEXT) | instid1(VALU_DEP_2)
	v_dual_mov_b32 v34, v8 :: v_dual_mov_b32 v33, v7
	s_and_saveexec_b32 s24, s1
; %bb.591:                              ;   in Loop: Header=BB346_16 Depth=1
	v_clz_i32_u32_e32 v33, v7
	s_delay_alu instid0(VALU_DEP_1) | instskip(NEXT) | instid1(VALU_DEP_1)
	v_min_u32_e32 v36, 32, v33
	v_subrev_nc_u32_e32 v33, 28, v36
	v_sub_nc_u32_e32 v36, 29, v36
	s_delay_alu instid0(VALU_DEP_2) | instskip(NEXT) | instid1(VALU_DEP_1)
	v_lshlrev_b64 v[33:34], v33, v[7:8]
	v_and_b32_e32 v33, 7, v33
; %bb.592:                              ;   in Loop: Header=BB346_16 Depth=1
	s_or_b32 exec_lo, exec_lo, s24
	v_lshlrev_b32_e32 v7, 8, v35
	v_lshl_add_u32 v34, v36, 10, 0x2000
	s_delay_alu instid0(VALU_DEP_1) | instskip(NEXT) | instid1(VALU_DEP_1)
	v_and_or_b32 v7, 0x8000, v7, v34
	v_lshl_or_b32 v7, v33, 7, v7
	s_delay_alu instid0(VALU_DEP_1)
	v_cvt_f32_f16_e32 v109, v7
.LBB346_593:                            ;   in Loop: Header=BB346_16 Depth=1
	s_or_b32 exec_lo, exec_lo, s23
.LBB346_594:                            ;   in Loop: Header=BB346_16 Depth=1
	s_delay_alu instid0(SALU_CYCLE_1)
	s_or_b32 exec_lo, exec_lo, s22
.LBB346_595:                            ;   in Loop: Header=BB346_16 Depth=1
	s_delay_alu instid0(SALU_CYCLE_1)
	s_or_b32 exec_lo, exec_lo, s21
	flat_load_b64 v[33:34], v[31:32] offset:2056
	v_mov_b32_e32 v73, 0
	s_mov_b32 s21, exec_lo
	s_waitcnt vmcnt(0) lgkmcnt(0)
	v_dual_mov_b32 v74, 0 :: v_dual_and_b32 v7, 0xff, v33
	s_delay_alu instid0(VALU_DEP_1)
	v_cmpx_ne_u16_e32 0, v7
	s_cbranch_execz .LBB346_603
; %bb.596:                              ;   in Loop: Header=BB346_16 Depth=1
	v_bfrev_b32_e32 v73, 1
	s_mov_b32 s22, exec_lo
	v_cmpx_ne_u16_e32 0x80, v7
	s_cbranch_execz .LBB346_602
; %bb.597:                              ;   in Loop: Header=BB346_16 Depth=1
	v_and_b32_e32 v35, 0x7f, v33
	v_mov_b32_e32 v73, 0x7fc02000
	s_mov_b32 s23, exec_lo
	s_delay_alu instid0(VALU_DEP_2)
	v_cmpx_ne_u32_e32 0x7f, v35
	s_cbranch_execz .LBB346_601
; %bb.598:                              ;   in Loop: Header=BB346_16 Depth=1
	v_lshrrev_b32_e32 v7, 3, v35
	v_cmp_gt_u32_e64 s1, 8, v35
	v_dual_mov_b32 v36, v34 :: v_dual_mov_b32 v35, v33
	s_delay_alu instid0(VALU_DEP_2)
	s_and_saveexec_b32 s24, s1
; %bb.599:                              ;   in Loop: Header=BB346_16 Depth=1
	v_and_b32_e32 v7, 7, v33
	s_delay_alu instid0(VALU_DEP_1) | instskip(NEXT) | instid1(VALU_DEP_1)
	v_clz_i32_u32_e32 v7, v7
	v_min_u32_e32 v7, 32, v7
	s_delay_alu instid0(VALU_DEP_1) | instskip(SKIP_1) | instid1(VALU_DEP_2)
	v_subrev_nc_u32_e32 v35, 28, v7
	v_sub_nc_u32_e32 v7, 29, v7
	v_lshlrev_b64 v[35:36], v35, v[33:34]
; %bb.600:                              ;   in Loop: Header=BB346_16 Depth=1
	s_or_b32 exec_lo, exec_lo, s24
	v_lshlrev_b32_e32 v36, 8, v33
	s_delay_alu instid0(VALU_DEP_3) | instskip(NEXT) | instid1(VALU_DEP_3)
	v_lshl_add_u32 v7, v7, 10, 0x2000
	v_lshlrev_b32_e32 v35, 7, v35
	s_delay_alu instid0(VALU_DEP_2) | instskip(NEXT) | instid1(VALU_DEP_1)
	v_and_or_b32 v7, 0x8000, v36, v7
	v_and_or_b32 v7, 0x380, v35, v7
	s_delay_alu instid0(VALU_DEP_1)
	v_cvt_f32_f16_e32 v73, v7
.LBB346_601:                            ;   in Loop: Header=BB346_16 Depth=1
	s_or_b32 exec_lo, exec_lo, s23
.LBB346_602:                            ;   in Loop: Header=BB346_16 Depth=1
	s_delay_alu instid0(SALU_CYCLE_1)
	s_or_b32 exec_lo, exec_lo, s22
.LBB346_603:                            ;   in Loop: Header=BB346_16 Depth=1
	s_delay_alu instid0(SALU_CYCLE_1) | instskip(SKIP_2) | instid1(VALU_DEP_1)
	s_or_b32 exec_lo, exec_lo, s21
	v_lshrrev_b16 v7, 8, v33
	s_mov_b32 s21, exec_lo
	v_cmpx_ne_u16_e32 0, v7
	s_cbranch_execz .LBB346_611
; %bb.604:                              ;   in Loop: Header=BB346_16 Depth=1
	v_bfrev_b32_e32 v74, 1
	s_mov_b32 s22, exec_lo
	v_cmpx_ne_u16_e32 0x80, v7
	s_cbranch_execz .LBB346_610
; %bb.605:                              ;   in Loop: Header=BB346_16 Depth=1
	v_and_b32_e32 v47, 0xffff, v7
	v_mov_b32_e32 v74, 0x7fc02000
	s_mov_b32 s23, exec_lo
	s_delay_alu instid0(VALU_DEP_2) | instskip(NEXT) | instid1(VALU_DEP_1)
	v_and_b32_e32 v35, 0x7f, v47
	v_cmpx_ne_u32_e32 0x7f, v35
	s_cbranch_execz .LBB346_609
; %bb.606:                              ;   in Loop: Header=BB346_16 Depth=1
	v_and_b32_e32 v7, 7, v47
	v_lshrrev_b32_e32 v56, 3, v35
	v_cmp_gt_u32_e64 s1, 8, v35
	s_delay_alu instid0(VALU_DEP_3) | instskip(NEXT) | instid1(VALU_DEP_2)
	v_dual_mov_b32 v36, v8 :: v_dual_mov_b32 v35, v7
	s_and_saveexec_b32 s24, s1
; %bb.607:                              ;   in Loop: Header=BB346_16 Depth=1
	v_clz_i32_u32_e32 v35, v7
	s_delay_alu instid0(VALU_DEP_1) | instskip(NEXT) | instid1(VALU_DEP_1)
	v_min_u32_e32 v56, 32, v35
	v_subrev_nc_u32_e32 v35, 28, v56
	v_sub_nc_u32_e32 v56, 29, v56
	s_delay_alu instid0(VALU_DEP_2) | instskip(NEXT) | instid1(VALU_DEP_1)
	v_lshlrev_b64 v[35:36], v35, v[7:8]
	v_and_b32_e32 v35, 7, v35
; %bb.608:                              ;   in Loop: Header=BB346_16 Depth=1
	s_or_b32 exec_lo, exec_lo, s24
	v_lshlrev_b32_e32 v7, 8, v47
	v_lshl_add_u32 v36, v56, 10, 0x2000
	s_delay_alu instid0(VALU_DEP_1) | instskip(NEXT) | instid1(VALU_DEP_1)
	v_and_or_b32 v7, 0x8000, v7, v36
	v_lshl_or_b32 v7, v35, 7, v7
	s_delay_alu instid0(VALU_DEP_1)
	v_cvt_f32_f16_e32 v74, v7
.LBB346_609:                            ;   in Loop: Header=BB346_16 Depth=1
	s_or_b32 exec_lo, exec_lo, s23
.LBB346_610:                            ;   in Loop: Header=BB346_16 Depth=1
	s_delay_alu instid0(SALU_CYCLE_1)
	s_or_b32 exec_lo, exec_lo, s22
.LBB346_611:                            ;   in Loop: Header=BB346_16 Depth=1
	s_delay_alu instid0(SALU_CYCLE_1) | instskip(SKIP_3) | instid1(VALU_DEP_2)
	s_or_b32 exec_lo, exec_lo, s21
	v_lshrrev_b32_e32 v47, 16, v33
	v_mov_b32_e32 v77, 0
	s_mov_b32 s21, exec_lo
	v_dual_mov_b32 v78, 0 :: v_dual_and_b32 v7, 0xff, v47
	s_delay_alu instid0(VALU_DEP_1)
	v_cmpx_ne_u16_e32 0, v7
	s_cbranch_execz .LBB346_619
; %bb.612:                              ;   in Loop: Header=BB346_16 Depth=1
	v_bfrev_b32_e32 v77, 1
	s_mov_b32 s22, exec_lo
	v_cmpx_ne_u16_e32 0x80, v7
	s_cbranch_execz .LBB346_618
; %bb.613:                              ;   in Loop: Header=BB346_16 Depth=1
	v_bfe_u32 v35, v33, 16, 7
	v_mov_b32_e32 v77, 0x7fc02000
	s_mov_b32 s23, exec_lo
	s_delay_alu instid0(VALU_DEP_2)
	v_cmpx_ne_u32_e32 0x7f, v35
	s_cbranch_execz .LBB346_617
; %bb.614:                              ;   in Loop: Header=BB346_16 Depth=1
	v_and_b32_e32 v7, 7, v47
	v_lshrrev_b32_e32 v56, 3, v35
	v_cmp_gt_u32_e64 s1, 8, v35
	s_delay_alu instid0(VALU_DEP_3) | instskip(NEXT) | instid1(VALU_DEP_2)
	v_dual_mov_b32 v36, v8 :: v_dual_mov_b32 v35, v7
	s_and_saveexec_b32 s24, s1
; %bb.615:                              ;   in Loop: Header=BB346_16 Depth=1
	v_clz_i32_u32_e32 v35, v7
	s_delay_alu instid0(VALU_DEP_1) | instskip(NEXT) | instid1(VALU_DEP_1)
	v_min_u32_e32 v56, 32, v35
	v_subrev_nc_u32_e32 v35, 28, v56
	v_sub_nc_u32_e32 v56, 29, v56
	s_delay_alu instid0(VALU_DEP_2) | instskip(NEXT) | instid1(VALU_DEP_1)
	v_lshlrev_b64 v[35:36], v35, v[7:8]
	v_and_b32_e32 v35, 7, v35
; %bb.616:                              ;   in Loop: Header=BB346_16 Depth=1
	s_or_b32 exec_lo, exec_lo, s24
	v_lshlrev_b32_e32 v7, 8, v47
	v_lshl_add_u32 v36, v56, 10, 0x2000
	s_delay_alu instid0(VALU_DEP_1) | instskip(NEXT) | instid1(VALU_DEP_1)
	v_and_or_b32 v7, 0x8000, v7, v36
	v_lshl_or_b32 v7, v35, 7, v7
	s_delay_alu instid0(VALU_DEP_1)
	v_cvt_f32_f16_e32 v77, v7
.LBB346_617:                            ;   in Loop: Header=BB346_16 Depth=1
	s_or_b32 exec_lo, exec_lo, s23
.LBB346_618:                            ;   in Loop: Header=BB346_16 Depth=1
	s_delay_alu instid0(SALU_CYCLE_1)
	s_or_b32 exec_lo, exec_lo, s22
.LBB346_619:                            ;   in Loop: Header=BB346_16 Depth=1
	s_delay_alu instid0(SALU_CYCLE_1) | instskip(NEXT) | instid1(SALU_CYCLE_1)
	s_or_b32 exec_lo, exec_lo, s21
	s_mov_b32 s21, exec_lo
	v_cmpx_lt_u32_e32 0xffffff, v33
	s_cbranch_execz .LBB346_627
; %bb.620:                              ;   in Loop: Header=BB346_16 Depth=1
	v_lshrrev_b32_e32 v47, 24, v33
	v_bfrev_b32_e32 v78, 1
	s_mov_b32 s22, exec_lo
	s_delay_alu instid0(VALU_DEP_2)
	v_cmpx_ne_u32_e32 0x80, v47
	s_cbranch_execz .LBB346_626
; %bb.621:                              ;   in Loop: Header=BB346_16 Depth=1
	v_and_b32_e32 v35, 0x7f, v47
	v_mov_b32_e32 v78, 0x7fc02000
	s_mov_b32 s23, exec_lo
	s_delay_alu instid0(VALU_DEP_2)
	v_cmpx_ne_u32_e32 0x7f, v35
	s_cbranch_execz .LBB346_625
; %bb.622:                              ;   in Loop: Header=BB346_16 Depth=1
	v_and_b32_e32 v7, 7, v47
	v_lshrrev_b32_e32 v56, 3, v35
	v_cmp_gt_u32_e64 s1, 8, v35
	s_delay_alu instid0(VALU_DEP_3) | instskip(NEXT) | instid1(VALU_DEP_2)
	v_dual_mov_b32 v36, v8 :: v_dual_mov_b32 v35, v7
	s_and_saveexec_b32 s24, s1
; %bb.623:                              ;   in Loop: Header=BB346_16 Depth=1
	v_clz_i32_u32_e32 v35, v7
	s_delay_alu instid0(VALU_DEP_1) | instskip(NEXT) | instid1(VALU_DEP_1)
	v_min_u32_e32 v56, 32, v35
	v_subrev_nc_u32_e32 v35, 28, v56
	v_sub_nc_u32_e32 v56, 29, v56
	s_delay_alu instid0(VALU_DEP_2) | instskip(NEXT) | instid1(VALU_DEP_1)
	v_lshlrev_b64 v[35:36], v35, v[7:8]
	v_and_b32_e32 v35, 7, v35
; %bb.624:                              ;   in Loop: Header=BB346_16 Depth=1
	s_or_b32 exec_lo, exec_lo, s24
	v_lshlrev_b32_e32 v7, 8, v47
	v_lshl_add_u32 v36, v56, 10, 0x2000
	s_delay_alu instid0(VALU_DEP_1) | instskip(NEXT) | instid1(VALU_DEP_1)
	v_and_or_b32 v7, 0x8000, v7, v36
	v_lshl_or_b32 v7, v35, 7, v7
	s_delay_alu instid0(VALU_DEP_1)
	v_cvt_f32_f16_e32 v78, v7
.LBB346_625:                            ;   in Loop: Header=BB346_16 Depth=1
	s_or_b32 exec_lo, exec_lo, s23
.LBB346_626:                            ;   in Loop: Header=BB346_16 Depth=1
	s_delay_alu instid0(SALU_CYCLE_1)
	s_or_b32 exec_lo, exec_lo, s22
.LBB346_627:                            ;   in Loop: Header=BB346_16 Depth=1
	s_delay_alu instid0(SALU_CYCLE_1) | instskip(SKIP_4) | instid1(VALU_DEP_3)
	s_or_b32 exec_lo, exec_lo, s21
	v_dual_mov_b32 v104, 0 :: v_dual_and_b32 v35, 0xff, v34
	v_mov_b32_e32 v7, v34
	v_mov_b32_e32 v95, 0
	s_mov_b32 s21, exec_lo
	v_cmpx_ne_u16_e32 0, v35
	s_cbranch_execz .LBB346_635
; %bb.628:                              ;   in Loop: Header=BB346_16 Depth=1
	v_bfrev_b32_e32 v95, 1
	s_mov_b32 s22, exec_lo
	v_cmpx_ne_u16_e32 0x80, v35
	s_cbranch_execz .LBB346_634
; %bb.629:                              ;   in Loop: Header=BB346_16 Depth=1
	v_and_b32_e32 v35, 0x7f, v34
	v_mov_b32_e32 v95, 0x7fc02000
	s_mov_b32 s23, exec_lo
	s_delay_alu instid0(VALU_DEP_2)
	v_cmpx_ne_u32_e32 0x7f, v35
	s_cbranch_execz .LBB346_633
; %bb.630:                              ;   in Loop: Header=BB346_16 Depth=1
	v_lshrrev_b32_e32 v47, 3, v35
	v_cmp_gt_u32_e64 s1, 8, v35
	v_dual_mov_b32 v36, v8 :: v_dual_mov_b32 v35, v7
	s_delay_alu instid0(VALU_DEP_2)
	s_and_saveexec_b32 s24, s1
; %bb.631:                              ;   in Loop: Header=BB346_16 Depth=1
	v_and_b32_e32 v35, 7, v34
	s_delay_alu instid0(VALU_DEP_1) | instskip(NEXT) | instid1(VALU_DEP_1)
	v_clz_i32_u32_e32 v35, v35
	v_min_u32_e32 v47, 32, v35
	s_delay_alu instid0(VALU_DEP_1) | instskip(SKIP_1) | instid1(VALU_DEP_2)
	v_subrev_nc_u32_e32 v35, 28, v47
	v_sub_nc_u32_e32 v47, 29, v47
	v_lshlrev_b64 v[35:36], v35, v[7:8]
; %bb.632:                              ;   in Loop: Header=BB346_16 Depth=1
	s_or_b32 exec_lo, exec_lo, s24
	v_lshlrev_b32_e32 v36, 8, v34
	s_delay_alu instid0(VALU_DEP_3) | instskip(NEXT) | instid1(VALU_DEP_3)
	v_lshl_add_u32 v47, v47, 10, 0x2000
	v_lshlrev_b32_e32 v35, 7, v35
	s_delay_alu instid0(VALU_DEP_2) | instskip(NEXT) | instid1(VALU_DEP_1)
	v_and_or_b32 v36, 0x8000, v36, v47
	v_and_or_b32 v35, 0x380, v35, v36
	s_delay_alu instid0(VALU_DEP_1)
	v_cvt_f32_f16_e32 v95, v35
.LBB346_633:                            ;   in Loop: Header=BB346_16 Depth=1
	s_or_b32 exec_lo, exec_lo, s23
.LBB346_634:                            ;   in Loop: Header=BB346_16 Depth=1
	s_delay_alu instid0(SALU_CYCLE_1)
	s_or_b32 exec_lo, exec_lo, s22
.LBB346_635:                            ;   in Loop: Header=BB346_16 Depth=1
	s_delay_alu instid0(SALU_CYCLE_1) | instskip(SKIP_2) | instid1(VALU_DEP_1)
	s_or_b32 exec_lo, exec_lo, s21
	v_lshrrev_b16 v7, 8, v7
	s_mov_b32 s21, exec_lo
	v_cmpx_ne_u16_e32 0, v7
	s_cbranch_execz .LBB346_643
; %bb.636:                              ;   in Loop: Header=BB346_16 Depth=1
	v_bfrev_b32_e32 v104, 1
	s_mov_b32 s22, exec_lo
	v_cmpx_ne_u16_e32 0x80, v7
	s_cbranch_execz .LBB346_642
; %bb.637:                              ;   in Loop: Header=BB346_16 Depth=1
	v_and_b32_e32 v47, 0xffff, v7
	v_mov_b32_e32 v104, 0x7fc02000
	s_mov_b32 s23, exec_lo
	s_delay_alu instid0(VALU_DEP_2) | instskip(NEXT) | instid1(VALU_DEP_1)
	v_and_b32_e32 v35, 0x7f, v47
	v_cmpx_ne_u32_e32 0x7f, v35
	s_cbranch_execz .LBB346_641
; %bb.638:                              ;   in Loop: Header=BB346_16 Depth=1
	v_and_b32_e32 v7, 7, v47
	v_lshrrev_b32_e32 v56, 3, v35
	v_cmp_gt_u32_e64 s1, 8, v35
	s_delay_alu instid0(VALU_DEP_3) | instskip(NEXT) | instid1(VALU_DEP_2)
	v_dual_mov_b32 v36, v8 :: v_dual_mov_b32 v35, v7
	s_and_saveexec_b32 s24, s1
; %bb.639:                              ;   in Loop: Header=BB346_16 Depth=1
	v_clz_i32_u32_e32 v35, v7
	s_delay_alu instid0(VALU_DEP_1) | instskip(NEXT) | instid1(VALU_DEP_1)
	v_min_u32_e32 v56, 32, v35
	v_subrev_nc_u32_e32 v35, 28, v56
	v_sub_nc_u32_e32 v56, 29, v56
	s_delay_alu instid0(VALU_DEP_2) | instskip(NEXT) | instid1(VALU_DEP_1)
	v_lshlrev_b64 v[35:36], v35, v[7:8]
	v_and_b32_e32 v35, 7, v35
; %bb.640:                              ;   in Loop: Header=BB346_16 Depth=1
	s_or_b32 exec_lo, exec_lo, s24
	v_lshlrev_b32_e32 v7, 8, v47
	v_lshl_add_u32 v36, v56, 10, 0x2000
	s_delay_alu instid0(VALU_DEP_1) | instskip(NEXT) | instid1(VALU_DEP_1)
	v_and_or_b32 v7, 0x8000, v7, v36
	v_lshl_or_b32 v7, v35, 7, v7
	s_delay_alu instid0(VALU_DEP_1)
	v_cvt_f32_f16_e32 v104, v7
.LBB346_641:                            ;   in Loop: Header=BB346_16 Depth=1
	s_or_b32 exec_lo, exec_lo, s23
.LBB346_642:                            ;   in Loop: Header=BB346_16 Depth=1
	s_delay_alu instid0(SALU_CYCLE_1)
	s_or_b32 exec_lo, exec_lo, s22
.LBB346_643:                            ;   in Loop: Header=BB346_16 Depth=1
	s_delay_alu instid0(SALU_CYCLE_1) | instskip(SKIP_3) | instid1(VALU_DEP_2)
	s_or_b32 exec_lo, exec_lo, s21
	v_lshrrev_b32_e32 v47, 16, v34
	v_mov_b32_e32 v105, 0
	s_mov_b32 s21, exec_lo
	v_dual_mov_b32 v106, 0 :: v_dual_and_b32 v7, 0xff, v47
	s_delay_alu instid0(VALU_DEP_1)
	v_cmpx_ne_u16_e32 0, v7
	s_cbranch_execz .LBB346_651
; %bb.644:                              ;   in Loop: Header=BB346_16 Depth=1
	v_bfrev_b32_e32 v106, 1
	s_mov_b32 s22, exec_lo
	v_cmpx_ne_u16_e32 0x80, v7
	s_cbranch_execz .LBB346_650
; %bb.645:                              ;   in Loop: Header=BB346_16 Depth=1
	v_bfe_u32 v35, v34, 16, 7
	v_mov_b32_e32 v106, 0x7fc02000
	s_mov_b32 s23, exec_lo
	s_delay_alu instid0(VALU_DEP_2)
	v_cmpx_ne_u32_e32 0x7f, v35
	s_cbranch_execz .LBB346_649
; %bb.646:                              ;   in Loop: Header=BB346_16 Depth=1
	v_and_b32_e32 v7, 7, v47
	v_lshrrev_b32_e32 v56, 3, v35
	v_cmp_gt_u32_e64 s1, 8, v35
	s_delay_alu instid0(VALU_DEP_3) | instskip(NEXT) | instid1(VALU_DEP_2)
	v_dual_mov_b32 v36, v8 :: v_dual_mov_b32 v35, v7
	s_and_saveexec_b32 s24, s1
; %bb.647:                              ;   in Loop: Header=BB346_16 Depth=1
	v_clz_i32_u32_e32 v35, v7
	s_delay_alu instid0(VALU_DEP_1) | instskip(NEXT) | instid1(VALU_DEP_1)
	v_min_u32_e32 v56, 32, v35
	v_subrev_nc_u32_e32 v35, 28, v56
	v_sub_nc_u32_e32 v56, 29, v56
	s_delay_alu instid0(VALU_DEP_2) | instskip(NEXT) | instid1(VALU_DEP_1)
	v_lshlrev_b64 v[35:36], v35, v[7:8]
	v_and_b32_e32 v35, 7, v35
; %bb.648:                              ;   in Loop: Header=BB346_16 Depth=1
	s_or_b32 exec_lo, exec_lo, s24
	v_lshlrev_b32_e32 v7, 8, v47
	v_lshl_add_u32 v36, v56, 10, 0x2000
	s_delay_alu instid0(VALU_DEP_1) | instskip(NEXT) | instid1(VALU_DEP_1)
	v_and_or_b32 v7, 0x8000, v7, v36
	v_lshl_or_b32 v7, v35, 7, v7
	s_delay_alu instid0(VALU_DEP_1)
	v_cvt_f32_f16_e32 v106, v7
.LBB346_649:                            ;   in Loop: Header=BB346_16 Depth=1
	s_or_b32 exec_lo, exec_lo, s23
.LBB346_650:                            ;   in Loop: Header=BB346_16 Depth=1
	s_delay_alu instid0(SALU_CYCLE_1)
	s_or_b32 exec_lo, exec_lo, s22
.LBB346_651:                            ;   in Loop: Header=BB346_16 Depth=1
	s_delay_alu instid0(SALU_CYCLE_1) | instskip(NEXT) | instid1(SALU_CYCLE_1)
	s_or_b32 exec_lo, exec_lo, s21
	s_mov_b32 s21, exec_lo
	v_cmpx_lt_u64_e64 s[8:9], v[33:34]
	s_cbranch_execz .LBB346_659
; %bb.652:                              ;   in Loop: Header=BB346_16 Depth=1
	v_lshrrev_b32_e32 v35, 24, v34
	v_bfrev_b32_e32 v105, 1
	s_mov_b32 s22, exec_lo
	s_delay_alu instid0(VALU_DEP_2)
	v_cmpx_ne_u32_e32 0x80, v35
	s_cbranch_execz .LBB346_658
; %bb.653:                              ;   in Loop: Header=BB346_16 Depth=1
	v_and_b32_e32 v33, 0x7f, v35
	v_mov_b32_e32 v105, 0x7fc02000
	s_mov_b32 s23, exec_lo
	s_delay_alu instid0(VALU_DEP_2)
	v_cmpx_ne_u32_e32 0x7f, v33
	s_cbranch_execz .LBB346_657
; %bb.654:                              ;   in Loop: Header=BB346_16 Depth=1
	v_and_b32_e32 v7, 7, v35
	v_lshrrev_b32_e32 v36, 3, v33
	v_cmp_gt_u32_e64 s1, 8, v33
	s_delay_alu instid0(VALU_DEP_3) | instskip(NEXT) | instid1(VALU_DEP_2)
	v_dual_mov_b32 v34, v8 :: v_dual_mov_b32 v33, v7
	s_and_saveexec_b32 s24, s1
; %bb.655:                              ;   in Loop: Header=BB346_16 Depth=1
	v_clz_i32_u32_e32 v33, v7
	s_delay_alu instid0(VALU_DEP_1) | instskip(NEXT) | instid1(VALU_DEP_1)
	v_min_u32_e32 v36, 32, v33
	v_subrev_nc_u32_e32 v33, 28, v36
	v_sub_nc_u32_e32 v36, 29, v36
	s_delay_alu instid0(VALU_DEP_2) | instskip(NEXT) | instid1(VALU_DEP_1)
	v_lshlrev_b64 v[33:34], v33, v[7:8]
	v_and_b32_e32 v33, 7, v33
; %bb.656:                              ;   in Loop: Header=BB346_16 Depth=1
	s_or_b32 exec_lo, exec_lo, s24
	v_lshlrev_b32_e32 v7, 8, v35
	v_lshl_add_u32 v34, v36, 10, 0x2000
	s_delay_alu instid0(VALU_DEP_1) | instskip(NEXT) | instid1(VALU_DEP_1)
	v_and_or_b32 v7, 0x8000, v7, v34
	v_lshl_or_b32 v7, v33, 7, v7
	s_delay_alu instid0(VALU_DEP_1)
	v_cvt_f32_f16_e32 v105, v7
.LBB346_657:                            ;   in Loop: Header=BB346_16 Depth=1
	s_or_b32 exec_lo, exec_lo, s23
.LBB346_658:                            ;   in Loop: Header=BB346_16 Depth=1
	s_delay_alu instid0(SALU_CYCLE_1)
	s_or_b32 exec_lo, exec_lo, s22
.LBB346_659:                            ;   in Loop: Header=BB346_16 Depth=1
	s_delay_alu instid0(SALU_CYCLE_1)
	s_or_b32 exec_lo, exec_lo, s21
	flat_load_b64 v[33:34], v[31:32] offset:2560
	v_mov_b32_e32 v47, 0
	s_mov_b32 s21, exec_lo
	s_waitcnt vmcnt(0) lgkmcnt(0)
	v_dual_mov_b32 v56, 0 :: v_dual_and_b32 v7, 0xff, v33
	s_delay_alu instid0(VALU_DEP_1)
	v_cmpx_ne_u16_e32 0, v7
	s_cbranch_execz .LBB346_667
; %bb.660:                              ;   in Loop: Header=BB346_16 Depth=1
	v_bfrev_b32_e32 v47, 1
	s_mov_b32 s22, exec_lo
	v_cmpx_ne_u16_e32 0x80, v7
	s_cbranch_execz .LBB346_666
; %bb.661:                              ;   in Loop: Header=BB346_16 Depth=1
	v_and_b32_e32 v35, 0x7f, v33
	v_mov_b32_e32 v47, 0x7fc02000
	s_mov_b32 s23, exec_lo
	s_delay_alu instid0(VALU_DEP_2)
	v_cmpx_ne_u32_e32 0x7f, v35
	s_cbranch_execz .LBB346_665
; %bb.662:                              ;   in Loop: Header=BB346_16 Depth=1
	v_lshrrev_b32_e32 v7, 3, v35
	v_cmp_gt_u32_e64 s1, 8, v35
	v_dual_mov_b32 v36, v34 :: v_dual_mov_b32 v35, v33
	s_delay_alu instid0(VALU_DEP_2)
	s_and_saveexec_b32 s24, s1
; %bb.663:                              ;   in Loop: Header=BB346_16 Depth=1
	v_and_b32_e32 v7, 7, v33
	s_delay_alu instid0(VALU_DEP_1) | instskip(NEXT) | instid1(VALU_DEP_1)
	v_clz_i32_u32_e32 v7, v7
	v_min_u32_e32 v7, 32, v7
	s_delay_alu instid0(VALU_DEP_1) | instskip(SKIP_1) | instid1(VALU_DEP_2)
	v_subrev_nc_u32_e32 v35, 28, v7
	v_sub_nc_u32_e32 v7, 29, v7
	v_lshlrev_b64 v[35:36], v35, v[33:34]
; %bb.664:                              ;   in Loop: Header=BB346_16 Depth=1
	s_or_b32 exec_lo, exec_lo, s24
	v_lshlrev_b32_e32 v36, 8, v33
	s_delay_alu instid0(VALU_DEP_3) | instskip(NEXT) | instid1(VALU_DEP_3)
	v_lshl_add_u32 v7, v7, 10, 0x2000
	v_lshlrev_b32_e32 v35, 7, v35
	s_delay_alu instid0(VALU_DEP_2) | instskip(NEXT) | instid1(VALU_DEP_1)
	v_and_or_b32 v7, 0x8000, v36, v7
	v_and_or_b32 v7, 0x380, v35, v7
	s_delay_alu instid0(VALU_DEP_1)
	v_cvt_f32_f16_e32 v47, v7
.LBB346_665:                            ;   in Loop: Header=BB346_16 Depth=1
	s_or_b32 exec_lo, exec_lo, s23
.LBB346_666:                            ;   in Loop: Header=BB346_16 Depth=1
	s_delay_alu instid0(SALU_CYCLE_1)
	s_or_b32 exec_lo, exec_lo, s22
.LBB346_667:                            ;   in Loop: Header=BB346_16 Depth=1
	s_delay_alu instid0(SALU_CYCLE_1) | instskip(SKIP_2) | instid1(VALU_DEP_1)
	s_or_b32 exec_lo, exec_lo, s21
	v_lshrrev_b16 v7, 8, v33
	s_mov_b32 s21, exec_lo
	v_cmpx_ne_u16_e32 0, v7
	s_cbranch_execz .LBB346_675
; %bb.668:                              ;   in Loop: Header=BB346_16 Depth=1
	v_bfrev_b32_e32 v56, 1
	s_mov_b32 s22, exec_lo
	v_cmpx_ne_u16_e32 0x80, v7
	s_cbranch_execz .LBB346_674
; %bb.669:                              ;   in Loop: Header=BB346_16 Depth=1
	v_and_b32_e32 v57, 0xffff, v7
	v_mov_b32_e32 v56, 0x7fc02000
	s_mov_b32 s23, exec_lo
	s_delay_alu instid0(VALU_DEP_2) | instskip(NEXT) | instid1(VALU_DEP_1)
	v_and_b32_e32 v35, 0x7f, v57
	v_cmpx_ne_u32_e32 0x7f, v35
	s_cbranch_execz .LBB346_673
; %bb.670:                              ;   in Loop: Header=BB346_16 Depth=1
	v_and_b32_e32 v7, 7, v57
	v_lshrrev_b32_e32 v56, 3, v35
	v_cmp_gt_u32_e64 s1, 8, v35
	s_delay_alu instid0(VALU_DEP_3) | instskip(NEXT) | instid1(VALU_DEP_2)
	v_dual_mov_b32 v36, v8 :: v_dual_mov_b32 v35, v7
	s_and_saveexec_b32 s24, s1
; %bb.671:                              ;   in Loop: Header=BB346_16 Depth=1
	v_clz_i32_u32_e32 v35, v7
	s_delay_alu instid0(VALU_DEP_1) | instskip(NEXT) | instid1(VALU_DEP_1)
	v_min_u32_e32 v56, 32, v35
	v_subrev_nc_u32_e32 v35, 28, v56
	v_sub_nc_u32_e32 v56, 29, v56
	s_delay_alu instid0(VALU_DEP_2) | instskip(NEXT) | instid1(VALU_DEP_1)
	v_lshlrev_b64 v[35:36], v35, v[7:8]
	v_and_b32_e32 v35, 7, v35
; %bb.672:                              ;   in Loop: Header=BB346_16 Depth=1
	s_or_b32 exec_lo, exec_lo, s24
	v_lshlrev_b32_e32 v7, 8, v57
	v_lshl_add_u32 v36, v56, 10, 0x2000
	s_delay_alu instid0(VALU_DEP_1) | instskip(NEXT) | instid1(VALU_DEP_1)
	v_and_or_b32 v7, 0x8000, v7, v36
	v_lshl_or_b32 v7, v35, 7, v7
	s_delay_alu instid0(VALU_DEP_1)
	v_cvt_f32_f16_e32 v56, v7
.LBB346_673:                            ;   in Loop: Header=BB346_16 Depth=1
	s_or_b32 exec_lo, exec_lo, s23
.LBB346_674:                            ;   in Loop: Header=BB346_16 Depth=1
	s_delay_alu instid0(SALU_CYCLE_1)
	s_or_b32 exec_lo, exec_lo, s22
.LBB346_675:                            ;   in Loop: Header=BB346_16 Depth=1
	s_delay_alu instid0(SALU_CYCLE_1) | instskip(SKIP_3) | instid1(VALU_DEP_2)
	s_or_b32 exec_lo, exec_lo, s21
	v_lshrrev_b32_e32 v61, 16, v33
	v_mov_b32_e32 v57, 0
	s_mov_b32 s21, exec_lo
	v_dual_mov_b32 v58, 0 :: v_dual_and_b32 v7, 0xff, v61
	s_delay_alu instid0(VALU_DEP_1)
	v_cmpx_ne_u16_e32 0, v7
	s_cbranch_execz .LBB346_683
; %bb.676:                              ;   in Loop: Header=BB346_16 Depth=1
	v_bfrev_b32_e32 v57, 1
	s_mov_b32 s22, exec_lo
	v_cmpx_ne_u16_e32 0x80, v7
	s_cbranch_execz .LBB346_682
; %bb.677:                              ;   in Loop: Header=BB346_16 Depth=1
	v_bfe_u32 v35, v33, 16, 7
	v_mov_b32_e32 v57, 0x7fc02000
	s_mov_b32 s23, exec_lo
	s_delay_alu instid0(VALU_DEP_2)
	v_cmpx_ne_u32_e32 0x7f, v35
	s_cbranch_execz .LBB346_681
; %bb.678:                              ;   in Loop: Header=BB346_16 Depth=1
	v_and_b32_e32 v7, 7, v61
	v_lshrrev_b32_e32 v57, 3, v35
	v_cmp_gt_u32_e64 s1, 8, v35
	s_delay_alu instid0(VALU_DEP_3) | instskip(NEXT) | instid1(VALU_DEP_2)
	v_dual_mov_b32 v36, v8 :: v_dual_mov_b32 v35, v7
	s_and_saveexec_b32 s24, s1
; %bb.679:                              ;   in Loop: Header=BB346_16 Depth=1
	v_clz_i32_u32_e32 v35, v7
	s_delay_alu instid0(VALU_DEP_1) | instskip(NEXT) | instid1(VALU_DEP_1)
	v_min_u32_e32 v57, 32, v35
	v_subrev_nc_u32_e32 v35, 28, v57
	v_sub_nc_u32_e32 v57, 29, v57
	s_delay_alu instid0(VALU_DEP_2) | instskip(NEXT) | instid1(VALU_DEP_1)
	v_lshlrev_b64 v[35:36], v35, v[7:8]
	v_and_b32_e32 v35, 7, v35
; %bb.680:                              ;   in Loop: Header=BB346_16 Depth=1
	s_or_b32 exec_lo, exec_lo, s24
	v_lshlrev_b32_e32 v7, 8, v61
	v_lshl_add_u32 v36, v57, 10, 0x2000
	s_delay_alu instid0(VALU_DEP_1) | instskip(NEXT) | instid1(VALU_DEP_1)
	v_and_or_b32 v7, 0x8000, v7, v36
	v_lshl_or_b32 v7, v35, 7, v7
	s_delay_alu instid0(VALU_DEP_1)
	v_cvt_f32_f16_e32 v57, v7
.LBB346_681:                            ;   in Loop: Header=BB346_16 Depth=1
	s_or_b32 exec_lo, exec_lo, s23
.LBB346_682:                            ;   in Loop: Header=BB346_16 Depth=1
	s_delay_alu instid0(SALU_CYCLE_1)
	s_or_b32 exec_lo, exec_lo, s22
.LBB346_683:                            ;   in Loop: Header=BB346_16 Depth=1
	s_delay_alu instid0(SALU_CYCLE_1) | instskip(NEXT) | instid1(SALU_CYCLE_1)
	s_or_b32 exec_lo, exec_lo, s21
	s_mov_b32 s21, exec_lo
	v_cmpx_lt_u32_e32 0xffffff, v33
	s_cbranch_execz .LBB346_691
; %bb.684:                              ;   in Loop: Header=BB346_16 Depth=1
	v_lshrrev_b32_e32 v61, 24, v33
	v_bfrev_b32_e32 v58, 1
	s_mov_b32 s22, exec_lo
	s_delay_alu instid0(VALU_DEP_2)
	v_cmpx_ne_u32_e32 0x80, v61
	s_cbranch_execz .LBB346_690
; %bb.685:                              ;   in Loop: Header=BB346_16 Depth=1
	v_and_b32_e32 v35, 0x7f, v61
	v_mov_b32_e32 v58, 0x7fc02000
	s_mov_b32 s23, exec_lo
	s_delay_alu instid0(VALU_DEP_2)
	v_cmpx_ne_u32_e32 0x7f, v35
	s_cbranch_execz .LBB346_689
; %bb.686:                              ;   in Loop: Header=BB346_16 Depth=1
	v_and_b32_e32 v7, 7, v61
	v_lshrrev_b32_e32 v58, 3, v35
	v_cmp_gt_u32_e64 s1, 8, v35
	s_delay_alu instid0(VALU_DEP_3) | instskip(NEXT) | instid1(VALU_DEP_2)
	v_dual_mov_b32 v36, v8 :: v_dual_mov_b32 v35, v7
	s_and_saveexec_b32 s24, s1
; %bb.687:                              ;   in Loop: Header=BB346_16 Depth=1
	v_clz_i32_u32_e32 v35, v7
	s_delay_alu instid0(VALU_DEP_1) | instskip(NEXT) | instid1(VALU_DEP_1)
	v_min_u32_e32 v58, 32, v35
	v_subrev_nc_u32_e32 v35, 28, v58
	v_sub_nc_u32_e32 v58, 29, v58
	s_delay_alu instid0(VALU_DEP_2) | instskip(NEXT) | instid1(VALU_DEP_1)
	v_lshlrev_b64 v[35:36], v35, v[7:8]
	v_and_b32_e32 v35, 7, v35
; %bb.688:                              ;   in Loop: Header=BB346_16 Depth=1
	s_or_b32 exec_lo, exec_lo, s24
	v_lshlrev_b32_e32 v7, 8, v61
	v_lshl_add_u32 v36, v58, 10, 0x2000
	s_delay_alu instid0(VALU_DEP_1) | instskip(NEXT) | instid1(VALU_DEP_1)
	v_and_or_b32 v7, 0x8000, v7, v36
	v_lshl_or_b32 v7, v35, 7, v7
	s_delay_alu instid0(VALU_DEP_1)
	v_cvt_f32_f16_e32 v58, v7
.LBB346_689:                            ;   in Loop: Header=BB346_16 Depth=1
	s_or_b32 exec_lo, exec_lo, s23
.LBB346_690:                            ;   in Loop: Header=BB346_16 Depth=1
	s_delay_alu instid0(SALU_CYCLE_1)
	s_or_b32 exec_lo, exec_lo, s22
.LBB346_691:                            ;   in Loop: Header=BB346_16 Depth=1
	s_delay_alu instid0(SALU_CYCLE_1) | instskip(SKIP_4) | instid1(VALU_DEP_3)
	s_or_b32 exec_lo, exec_lo, s21
	v_dual_mov_b32 v88, 0 :: v_dual_and_b32 v35, 0xff, v34
	v_mov_b32_e32 v7, v34
	v_mov_b32_e32 v79, 0
	s_mov_b32 s21, exec_lo
	v_cmpx_ne_u16_e32 0, v35
	s_cbranch_execz .LBB346_699
; %bb.692:                              ;   in Loop: Header=BB346_16 Depth=1
	v_bfrev_b32_e32 v79, 1
	s_mov_b32 s22, exec_lo
	v_cmpx_ne_u16_e32 0x80, v35
	s_cbranch_execz .LBB346_698
; %bb.693:                              ;   in Loop: Header=BB346_16 Depth=1
	v_and_b32_e32 v35, 0x7f, v34
	v_mov_b32_e32 v79, 0x7fc02000
	s_mov_b32 s23, exec_lo
	s_delay_alu instid0(VALU_DEP_2)
	v_cmpx_ne_u32_e32 0x7f, v35
	s_cbranch_execz .LBB346_697
; %bb.694:                              ;   in Loop: Header=BB346_16 Depth=1
	v_lshrrev_b32_e32 v61, 3, v35
	v_cmp_gt_u32_e64 s1, 8, v35
	v_dual_mov_b32 v36, v8 :: v_dual_mov_b32 v35, v7
	s_delay_alu instid0(VALU_DEP_2)
	s_and_saveexec_b32 s24, s1
; %bb.695:                              ;   in Loop: Header=BB346_16 Depth=1
	v_and_b32_e32 v35, 7, v34
	s_delay_alu instid0(VALU_DEP_1) | instskip(NEXT) | instid1(VALU_DEP_1)
	v_clz_i32_u32_e32 v35, v35
	v_min_u32_e32 v61, 32, v35
	s_delay_alu instid0(VALU_DEP_1) | instskip(SKIP_1) | instid1(VALU_DEP_2)
	v_subrev_nc_u32_e32 v35, 28, v61
	v_sub_nc_u32_e32 v61, 29, v61
	v_lshlrev_b64 v[35:36], v35, v[7:8]
; %bb.696:                              ;   in Loop: Header=BB346_16 Depth=1
	s_or_b32 exec_lo, exec_lo, s24
	v_lshlrev_b32_e32 v36, 8, v34
	s_delay_alu instid0(VALU_DEP_3) | instskip(NEXT) | instid1(VALU_DEP_3)
	v_lshl_add_u32 v61, v61, 10, 0x2000
	v_lshlrev_b32_e32 v35, 7, v35
	s_delay_alu instid0(VALU_DEP_2) | instskip(NEXT) | instid1(VALU_DEP_1)
	v_and_or_b32 v36, 0x8000, v36, v61
	v_and_or_b32 v35, 0x380, v35, v36
	s_delay_alu instid0(VALU_DEP_1)
	v_cvt_f32_f16_e32 v79, v35
.LBB346_697:                            ;   in Loop: Header=BB346_16 Depth=1
	s_or_b32 exec_lo, exec_lo, s23
.LBB346_698:                            ;   in Loop: Header=BB346_16 Depth=1
	s_delay_alu instid0(SALU_CYCLE_1)
	s_or_b32 exec_lo, exec_lo, s22
.LBB346_699:                            ;   in Loop: Header=BB346_16 Depth=1
	s_delay_alu instid0(SALU_CYCLE_1) | instskip(SKIP_2) | instid1(VALU_DEP_1)
	s_or_b32 exec_lo, exec_lo, s21
	v_lshrrev_b16 v7, 8, v7
	s_mov_b32 s21, exec_lo
	v_cmpx_ne_u16_e32 0, v7
	s_cbranch_execz .LBB346_707
; %bb.700:                              ;   in Loop: Header=BB346_16 Depth=1
	v_bfrev_b32_e32 v88, 1
	s_mov_b32 s22, exec_lo
	v_cmpx_ne_u16_e32 0x80, v7
	s_cbranch_execz .LBB346_706
; %bb.701:                              ;   in Loop: Header=BB346_16 Depth=1
	v_and_b32_e32 v61, 0xffff, v7
	v_mov_b32_e32 v88, 0x7fc02000
	s_mov_b32 s23, exec_lo
	s_delay_alu instid0(VALU_DEP_2) | instskip(NEXT) | instid1(VALU_DEP_1)
	v_and_b32_e32 v35, 0x7f, v61
	v_cmpx_ne_u32_e32 0x7f, v35
	s_cbranch_execz .LBB346_705
; %bb.702:                              ;   in Loop: Header=BB346_16 Depth=1
	v_and_b32_e32 v7, 7, v61
	v_lshrrev_b32_e32 v62, 3, v35
	v_cmp_gt_u32_e64 s1, 8, v35
	s_delay_alu instid0(VALU_DEP_3) | instskip(NEXT) | instid1(VALU_DEP_2)
	v_dual_mov_b32 v36, v8 :: v_dual_mov_b32 v35, v7
	s_and_saveexec_b32 s24, s1
; %bb.703:                              ;   in Loop: Header=BB346_16 Depth=1
	v_clz_i32_u32_e32 v35, v7
	s_delay_alu instid0(VALU_DEP_1) | instskip(NEXT) | instid1(VALU_DEP_1)
	v_min_u32_e32 v62, 32, v35
	v_subrev_nc_u32_e32 v35, 28, v62
	v_sub_nc_u32_e32 v62, 29, v62
	s_delay_alu instid0(VALU_DEP_2) | instskip(NEXT) | instid1(VALU_DEP_1)
	v_lshlrev_b64 v[35:36], v35, v[7:8]
	v_and_b32_e32 v35, 7, v35
; %bb.704:                              ;   in Loop: Header=BB346_16 Depth=1
	s_or_b32 exec_lo, exec_lo, s24
	v_lshlrev_b32_e32 v7, 8, v61
	v_lshl_add_u32 v36, v62, 10, 0x2000
	s_delay_alu instid0(VALU_DEP_1) | instskip(NEXT) | instid1(VALU_DEP_1)
	v_and_or_b32 v7, 0x8000, v7, v36
	v_lshl_or_b32 v7, v35, 7, v7
	s_delay_alu instid0(VALU_DEP_1)
	v_cvt_f32_f16_e32 v88, v7
.LBB346_705:                            ;   in Loop: Header=BB346_16 Depth=1
	s_or_b32 exec_lo, exec_lo, s23
.LBB346_706:                            ;   in Loop: Header=BB346_16 Depth=1
	s_delay_alu instid0(SALU_CYCLE_1)
	s_or_b32 exec_lo, exec_lo, s22
.LBB346_707:                            ;   in Loop: Header=BB346_16 Depth=1
	s_delay_alu instid0(SALU_CYCLE_1) | instskip(SKIP_4) | instid1(VALU_DEP_3)
	s_or_b32 exec_lo, exec_lo, s21
	v_lshrrev_b32_e32 v61, 16, v34
	v_mov_b32_e32 v89, 0
	v_mov_b32_e32 v35, 0
	s_mov_b32 s21, exec_lo
	v_and_b32_e32 v7, 0xff, v61
	s_delay_alu instid0(VALU_DEP_1)
	v_cmpx_ne_u16_e32 0, v7
	s_cbranch_execz .LBB346_715
; %bb.708:                              ;   in Loop: Header=BB346_16 Depth=1
	v_bfrev_b32_e32 v35, 1
	s_mov_b32 s22, exec_lo
	v_cmpx_ne_u16_e32 0x80, v7
	s_cbranch_execz .LBB346_714
; %bb.709:                              ;   in Loop: Header=BB346_16 Depth=1
	v_bfe_u32 v36, v34, 16, 7
	v_mov_b32_e32 v35, 0x7fc02000
	s_mov_b32 s23, exec_lo
	s_delay_alu instid0(VALU_DEP_2)
	v_cmpx_ne_u32_e32 0x7f, v36
	s_cbranch_execz .LBB346_713
; %bb.710:                              ;   in Loop: Header=BB346_16 Depth=1
	v_and_b32_e32 v7, 7, v61
	v_lshrrev_b32_e32 v62, 3, v36
	v_cmp_gt_u32_e64 s1, 8, v36
	s_delay_alu instid0(VALU_DEP_3) | instskip(NEXT) | instid1(VALU_DEP_2)
	v_dual_mov_b32 v36, v8 :: v_dual_mov_b32 v35, v7
	s_and_saveexec_b32 s24, s1
; %bb.711:                              ;   in Loop: Header=BB346_16 Depth=1
	v_clz_i32_u32_e32 v35, v7
	s_delay_alu instid0(VALU_DEP_1) | instskip(NEXT) | instid1(VALU_DEP_1)
	v_min_u32_e32 v62, 32, v35
	v_subrev_nc_u32_e32 v35, 28, v62
	v_sub_nc_u32_e32 v62, 29, v62
	s_delay_alu instid0(VALU_DEP_2) | instskip(NEXT) | instid1(VALU_DEP_1)
	v_lshlrev_b64 v[35:36], v35, v[7:8]
	v_and_b32_e32 v35, 7, v35
; %bb.712:                              ;   in Loop: Header=BB346_16 Depth=1
	s_or_b32 exec_lo, exec_lo, s24
	v_lshlrev_b32_e32 v7, 8, v61
	v_lshl_add_u32 v36, v62, 10, 0x2000
	s_delay_alu instid0(VALU_DEP_1) | instskip(NEXT) | instid1(VALU_DEP_1)
	v_and_or_b32 v7, 0x8000, v7, v36
	v_lshl_or_b32 v7, v35, 7, v7
	s_delay_alu instid0(VALU_DEP_1)
	v_cvt_f32_f16_e32 v35, v7
.LBB346_713:                            ;   in Loop: Header=BB346_16 Depth=1
	s_or_b32 exec_lo, exec_lo, s23
.LBB346_714:                            ;   in Loop: Header=BB346_16 Depth=1
	s_delay_alu instid0(SALU_CYCLE_1)
	s_or_b32 exec_lo, exec_lo, s22
.LBB346_715:                            ;   in Loop: Header=BB346_16 Depth=1
	s_delay_alu instid0(SALU_CYCLE_1) | instskip(NEXT) | instid1(SALU_CYCLE_1)
	s_or_b32 exec_lo, exec_lo, s21
	s_mov_b32 s21, exec_lo
	v_cmpx_lt_u64_e64 s[8:9], v[33:34]
	s_cbranch_execz .LBB346_723
; %bb.716:                              ;   in Loop: Header=BB346_16 Depth=1
	v_lshrrev_b32_e32 v36, 24, v34
	v_bfrev_b32_e32 v89, 1
	s_mov_b32 s22, exec_lo
	s_delay_alu instid0(VALU_DEP_2)
	v_cmpx_ne_u32_e32 0x80, v36
	s_cbranch_execz .LBB346_722
; %bb.717:                              ;   in Loop: Header=BB346_16 Depth=1
	v_and_b32_e32 v33, 0x7f, v36
	v_mov_b32_e32 v89, 0x7fc02000
	s_mov_b32 s23, exec_lo
	s_delay_alu instid0(VALU_DEP_2)
	v_cmpx_ne_u32_e32 0x7f, v33
	s_cbranch_execz .LBB346_721
; %bb.718:                              ;   in Loop: Header=BB346_16 Depth=1
	v_and_b32_e32 v7, 7, v36
	v_lshrrev_b32_e32 v61, 3, v33
	v_cmp_gt_u32_e64 s1, 8, v33
	s_delay_alu instid0(VALU_DEP_3) | instskip(NEXT) | instid1(VALU_DEP_2)
	v_dual_mov_b32 v34, v8 :: v_dual_mov_b32 v33, v7
	s_and_saveexec_b32 s24, s1
; %bb.719:                              ;   in Loop: Header=BB346_16 Depth=1
	v_clz_i32_u32_e32 v33, v7
	s_delay_alu instid0(VALU_DEP_1) | instskip(NEXT) | instid1(VALU_DEP_1)
	v_min_u32_e32 v61, 32, v33
	v_subrev_nc_u32_e32 v33, 28, v61
	v_sub_nc_u32_e32 v61, 29, v61
	s_delay_alu instid0(VALU_DEP_2) | instskip(NEXT) | instid1(VALU_DEP_1)
	v_lshlrev_b64 v[33:34], v33, v[7:8]
	v_and_b32_e32 v33, 7, v33
; %bb.720:                              ;   in Loop: Header=BB346_16 Depth=1
	s_or_b32 exec_lo, exec_lo, s24
	v_lshlrev_b32_e32 v7, 8, v36
	v_lshl_add_u32 v34, v61, 10, 0x2000
	s_delay_alu instid0(VALU_DEP_1) | instskip(NEXT) | instid1(VALU_DEP_1)
	v_and_or_b32 v7, 0x8000, v7, v34
	v_lshl_or_b32 v7, v33, 7, v7
	s_delay_alu instid0(VALU_DEP_1)
	v_cvt_f32_f16_e32 v89, v7
.LBB346_721:                            ;   in Loop: Header=BB346_16 Depth=1
	s_or_b32 exec_lo, exec_lo, s23
.LBB346_722:                            ;   in Loop: Header=BB346_16 Depth=1
	s_delay_alu instid0(SALU_CYCLE_1)
	s_or_b32 exec_lo, exec_lo, s22
.LBB346_723:                            ;   in Loop: Header=BB346_16 Depth=1
	s_delay_alu instid0(SALU_CYCLE_1)
	s_or_b32 exec_lo, exec_lo, s21
	flat_load_b64 v[31:32], v[31:32] offset:2568
	v_mov_b32_e32 v111, 0
	s_mov_b32 s21, exec_lo
	s_waitcnt vmcnt(0) lgkmcnt(0)
	v_dual_mov_b32 v120, 0 :: v_dual_and_b32 v7, 0xff, v31
	s_delay_alu instid0(VALU_DEP_1)
	v_cmpx_ne_u16_e32 0, v7
	s_cbranch_execz .LBB346_731
; %bb.724:                              ;   in Loop: Header=BB346_16 Depth=1
	v_bfrev_b32_e32 v111, 1
	s_mov_b32 s22, exec_lo
	v_cmpx_ne_u16_e32 0x80, v7
	s_cbranch_execz .LBB346_730
; %bb.725:                              ;   in Loop: Header=BB346_16 Depth=1
	v_and_b32_e32 v33, 0x7f, v31
	v_mov_b32_e32 v111, 0x7fc02000
	s_mov_b32 s23, exec_lo
	s_delay_alu instid0(VALU_DEP_2)
	v_cmpx_ne_u32_e32 0x7f, v33
	s_cbranch_execz .LBB346_729
; %bb.726:                              ;   in Loop: Header=BB346_16 Depth=1
	v_lshrrev_b32_e32 v7, 3, v33
	v_cmp_gt_u32_e64 s1, 8, v33
	v_dual_mov_b32 v34, v32 :: v_dual_mov_b32 v33, v31
	s_delay_alu instid0(VALU_DEP_2)
	s_and_saveexec_b32 s24, s1
; %bb.727:                              ;   in Loop: Header=BB346_16 Depth=1
	v_and_b32_e32 v7, 7, v31
	s_delay_alu instid0(VALU_DEP_1) | instskip(NEXT) | instid1(VALU_DEP_1)
	v_clz_i32_u32_e32 v7, v7
	v_min_u32_e32 v7, 32, v7
	s_delay_alu instid0(VALU_DEP_1) | instskip(SKIP_1) | instid1(VALU_DEP_2)
	v_subrev_nc_u32_e32 v33, 28, v7
	v_sub_nc_u32_e32 v7, 29, v7
	v_lshlrev_b64 v[33:34], v33, v[31:32]
; %bb.728:                              ;   in Loop: Header=BB346_16 Depth=1
	s_or_b32 exec_lo, exec_lo, s24
	v_lshlrev_b32_e32 v34, 8, v31
	s_delay_alu instid0(VALU_DEP_3) | instskip(NEXT) | instid1(VALU_DEP_3)
	v_lshl_add_u32 v7, v7, 10, 0x2000
	v_lshlrev_b32_e32 v33, 7, v33
	s_delay_alu instid0(VALU_DEP_2) | instskip(NEXT) | instid1(VALU_DEP_1)
	v_and_or_b32 v7, 0x8000, v34, v7
	v_and_or_b32 v7, 0x380, v33, v7
	s_delay_alu instid0(VALU_DEP_1)
	v_cvt_f32_f16_e32 v111, v7
.LBB346_729:                            ;   in Loop: Header=BB346_16 Depth=1
	s_or_b32 exec_lo, exec_lo, s23
.LBB346_730:                            ;   in Loop: Header=BB346_16 Depth=1
	s_delay_alu instid0(SALU_CYCLE_1)
	s_or_b32 exec_lo, exec_lo, s22
.LBB346_731:                            ;   in Loop: Header=BB346_16 Depth=1
	s_delay_alu instid0(SALU_CYCLE_1) | instskip(SKIP_2) | instid1(VALU_DEP_1)
	s_or_b32 exec_lo, exec_lo, s21
	v_lshrrev_b16 v7, 8, v31
	s_mov_b32 s21, exec_lo
	v_cmpx_ne_u16_e32 0, v7
	s_cbranch_execz .LBB346_739
; %bb.732:                              ;   in Loop: Header=BB346_16 Depth=1
	v_bfrev_b32_e32 v120, 1
	s_mov_b32 s22, exec_lo
	v_cmpx_ne_u16_e32 0x80, v7
	s_cbranch_execz .LBB346_738
; %bb.733:                              ;   in Loop: Header=BB346_16 Depth=1
	v_and_b32_e32 v36, 0xffff, v7
	v_mov_b32_e32 v120, 0x7fc02000
	s_mov_b32 s23, exec_lo
	s_delay_alu instid0(VALU_DEP_2) | instskip(NEXT) | instid1(VALU_DEP_1)
	v_and_b32_e32 v33, 0x7f, v36
	v_cmpx_ne_u32_e32 0x7f, v33
	s_cbranch_execz .LBB346_737
; %bb.734:                              ;   in Loop: Header=BB346_16 Depth=1
	v_and_b32_e32 v7, 7, v36
	v_lshrrev_b32_e32 v61, 3, v33
	v_cmp_gt_u32_e64 s1, 8, v33
	s_delay_alu instid0(VALU_DEP_3) | instskip(NEXT) | instid1(VALU_DEP_2)
	v_dual_mov_b32 v34, v8 :: v_dual_mov_b32 v33, v7
	s_and_saveexec_b32 s24, s1
; %bb.735:                              ;   in Loop: Header=BB346_16 Depth=1
	v_clz_i32_u32_e32 v33, v7
	s_delay_alu instid0(VALU_DEP_1) | instskip(NEXT) | instid1(VALU_DEP_1)
	v_min_u32_e32 v61, 32, v33
	v_subrev_nc_u32_e32 v33, 28, v61
	v_sub_nc_u32_e32 v61, 29, v61
	s_delay_alu instid0(VALU_DEP_2) | instskip(NEXT) | instid1(VALU_DEP_1)
	v_lshlrev_b64 v[33:34], v33, v[7:8]
	v_and_b32_e32 v33, 7, v33
; %bb.736:                              ;   in Loop: Header=BB346_16 Depth=1
	s_or_b32 exec_lo, exec_lo, s24
	v_lshlrev_b32_e32 v7, 8, v36
	v_lshl_add_u32 v34, v61, 10, 0x2000
	s_delay_alu instid0(VALU_DEP_1) | instskip(NEXT) | instid1(VALU_DEP_1)
	v_and_or_b32 v7, 0x8000, v7, v34
	v_lshl_or_b32 v7, v33, 7, v7
	s_delay_alu instid0(VALU_DEP_1)
	v_cvt_f32_f16_e32 v120, v7
.LBB346_737:                            ;   in Loop: Header=BB346_16 Depth=1
	s_or_b32 exec_lo, exec_lo, s23
.LBB346_738:                            ;   in Loop: Header=BB346_16 Depth=1
	s_delay_alu instid0(SALU_CYCLE_1)
	s_or_b32 exec_lo, exec_lo, s22
.LBB346_739:                            ;   in Loop: Header=BB346_16 Depth=1
	s_delay_alu instid0(SALU_CYCLE_1) | instskip(SKIP_3) | instid1(VALU_DEP_2)
	s_or_b32 exec_lo, exec_lo, s21
	v_lshrrev_b32_e32 v61, 16, v31
	v_mov_b32_e32 v121, 0
	s_mov_b32 s21, exec_lo
	v_dual_mov_b32 v36, 0 :: v_dual_and_b32 v7, 0xff, v61
	s_delay_alu instid0(VALU_DEP_1)
	v_cmpx_ne_u16_e32 0, v7
	s_cbranch_execz .LBB346_747
; %bb.740:                              ;   in Loop: Header=BB346_16 Depth=1
	v_bfrev_b32_e32 v121, 1
	s_mov_b32 s22, exec_lo
	v_cmpx_ne_u16_e32 0x80, v7
	s_cbranch_execz .LBB346_746
; %bb.741:                              ;   in Loop: Header=BB346_16 Depth=1
	v_bfe_u32 v33, v31, 16, 7
	v_mov_b32_e32 v121, 0x7fc02000
	s_mov_b32 s23, exec_lo
	s_delay_alu instid0(VALU_DEP_2)
	v_cmpx_ne_u32_e32 0x7f, v33
	s_cbranch_execz .LBB346_745
; %bb.742:                              ;   in Loop: Header=BB346_16 Depth=1
	v_and_b32_e32 v7, 7, v61
	v_lshrrev_b32_e32 v62, 3, v33
	v_cmp_gt_u32_e64 s1, 8, v33
	s_delay_alu instid0(VALU_DEP_3) | instskip(NEXT) | instid1(VALU_DEP_2)
	v_dual_mov_b32 v34, v8 :: v_dual_mov_b32 v33, v7
	s_and_saveexec_b32 s24, s1
; %bb.743:                              ;   in Loop: Header=BB346_16 Depth=1
	v_clz_i32_u32_e32 v33, v7
	s_delay_alu instid0(VALU_DEP_1) | instskip(NEXT) | instid1(VALU_DEP_1)
	v_min_u32_e32 v62, 32, v33
	v_subrev_nc_u32_e32 v33, 28, v62
	v_sub_nc_u32_e32 v62, 29, v62
	s_delay_alu instid0(VALU_DEP_2) | instskip(NEXT) | instid1(VALU_DEP_1)
	v_lshlrev_b64 v[33:34], v33, v[7:8]
	v_and_b32_e32 v33, 7, v33
; %bb.744:                              ;   in Loop: Header=BB346_16 Depth=1
	s_or_b32 exec_lo, exec_lo, s24
	v_lshlrev_b32_e32 v7, 8, v61
	v_lshl_add_u32 v34, v62, 10, 0x2000
	s_delay_alu instid0(VALU_DEP_1) | instskip(NEXT) | instid1(VALU_DEP_1)
	v_and_or_b32 v7, 0x8000, v7, v34
	v_lshl_or_b32 v7, v33, 7, v7
	s_delay_alu instid0(VALU_DEP_1)
	v_cvt_f32_f16_e32 v121, v7
.LBB346_745:                            ;   in Loop: Header=BB346_16 Depth=1
	s_or_b32 exec_lo, exec_lo, s23
.LBB346_746:                            ;   in Loop: Header=BB346_16 Depth=1
	s_delay_alu instid0(SALU_CYCLE_1)
	s_or_b32 exec_lo, exec_lo, s22
.LBB346_747:                            ;   in Loop: Header=BB346_16 Depth=1
	s_delay_alu instid0(SALU_CYCLE_1) | instskip(NEXT) | instid1(SALU_CYCLE_1)
	s_or_b32 exec_lo, exec_lo, s21
	s_mov_b32 s21, exec_lo
	v_cmpx_lt_u32_e32 0xffffff, v31
	s_cbranch_execz .LBB346_755
; %bb.748:                              ;   in Loop: Header=BB346_16 Depth=1
	v_lshrrev_b32_e32 v61, 24, v31
	v_bfrev_b32_e32 v36, 1
	s_mov_b32 s22, exec_lo
	s_delay_alu instid0(VALU_DEP_2)
	v_cmpx_ne_u32_e32 0x80, v61
	s_cbranch_execz .LBB346_754
; %bb.749:                              ;   in Loop: Header=BB346_16 Depth=1
	v_and_b32_e32 v33, 0x7f, v61
	v_mov_b32_e32 v36, 0x7fc02000
	s_mov_b32 s23, exec_lo
	s_delay_alu instid0(VALU_DEP_2)
	v_cmpx_ne_u32_e32 0x7f, v33
	s_cbranch_execz .LBB346_753
; %bb.750:                              ;   in Loop: Header=BB346_16 Depth=1
	v_and_b32_e32 v7, 7, v61
	v_lshrrev_b32_e32 v36, 3, v33
	v_cmp_gt_u32_e64 s1, 8, v33
	s_delay_alu instid0(VALU_DEP_3) | instskip(NEXT) | instid1(VALU_DEP_2)
	v_dual_mov_b32 v34, v8 :: v_dual_mov_b32 v33, v7
	s_and_saveexec_b32 s24, s1
; %bb.751:                              ;   in Loop: Header=BB346_16 Depth=1
	v_clz_i32_u32_e32 v33, v7
	s_delay_alu instid0(VALU_DEP_1) | instskip(NEXT) | instid1(VALU_DEP_1)
	v_min_u32_e32 v36, 32, v33
	v_subrev_nc_u32_e32 v33, 28, v36
	v_sub_nc_u32_e32 v36, 29, v36
	s_delay_alu instid0(VALU_DEP_2) | instskip(NEXT) | instid1(VALU_DEP_1)
	v_lshlrev_b64 v[33:34], v33, v[7:8]
	v_and_b32_e32 v33, 7, v33
; %bb.752:                              ;   in Loop: Header=BB346_16 Depth=1
	s_or_b32 exec_lo, exec_lo, s24
	v_lshlrev_b32_e32 v7, 8, v61
	v_lshl_add_u32 v34, v36, 10, 0x2000
	s_delay_alu instid0(VALU_DEP_1) | instskip(NEXT) | instid1(VALU_DEP_1)
	v_and_or_b32 v7, 0x8000, v7, v34
	v_lshl_or_b32 v7, v33, 7, v7
	s_delay_alu instid0(VALU_DEP_1)
	v_cvt_f32_f16_e32 v36, v7
.LBB346_753:                            ;   in Loop: Header=BB346_16 Depth=1
	s_or_b32 exec_lo, exec_lo, s23
.LBB346_754:                            ;   in Loop: Header=BB346_16 Depth=1
	s_delay_alu instid0(SALU_CYCLE_1)
	s_or_b32 exec_lo, exec_lo, s22
.LBB346_755:                            ;   in Loop: Header=BB346_16 Depth=1
	s_delay_alu instid0(SALU_CYCLE_1) | instskip(SKIP_4) | instid1(VALU_DEP_3)
	s_or_b32 exec_lo, exec_lo, s21
	v_dual_mov_b32 v122, 0 :: v_dual_and_b32 v33, 0xff, v32
	v_mov_b32_e32 v7, v32
	v_mov_b32_e32 v123, 0
	s_mov_b32 s21, exec_lo
	v_cmpx_ne_u16_e32 0, v33
	s_cbranch_execz .LBB346_763
; %bb.756:                              ;   in Loop: Header=BB346_16 Depth=1
	v_bfrev_b32_e32 v122, 1
	s_mov_b32 s22, exec_lo
	v_cmpx_ne_u16_e32 0x80, v33
	s_cbranch_execz .LBB346_762
; %bb.757:                              ;   in Loop: Header=BB346_16 Depth=1
	v_and_b32_e32 v33, 0x7f, v32
	v_mov_b32_e32 v122, 0x7fc02000
	s_mov_b32 s23, exec_lo
	s_delay_alu instid0(VALU_DEP_2)
	v_cmpx_ne_u32_e32 0x7f, v33
	s_cbranch_execz .LBB346_761
; %bb.758:                              ;   in Loop: Header=BB346_16 Depth=1
	v_lshrrev_b32_e32 v61, 3, v33
	v_cmp_gt_u32_e64 s1, 8, v33
	v_dual_mov_b32 v34, v8 :: v_dual_mov_b32 v33, v7
	s_delay_alu instid0(VALU_DEP_2)
	s_and_saveexec_b32 s24, s1
; %bb.759:                              ;   in Loop: Header=BB346_16 Depth=1
	v_and_b32_e32 v33, 7, v32
	s_delay_alu instid0(VALU_DEP_1) | instskip(NEXT) | instid1(VALU_DEP_1)
	v_clz_i32_u32_e32 v33, v33
	v_min_u32_e32 v61, 32, v33
	s_delay_alu instid0(VALU_DEP_1) | instskip(SKIP_1) | instid1(VALU_DEP_2)
	v_subrev_nc_u32_e32 v33, 28, v61
	v_sub_nc_u32_e32 v61, 29, v61
	v_lshlrev_b64 v[33:34], v33, v[7:8]
; %bb.760:                              ;   in Loop: Header=BB346_16 Depth=1
	s_or_b32 exec_lo, exec_lo, s24
	v_lshlrev_b32_e32 v34, 8, v32
	s_delay_alu instid0(VALU_DEP_3) | instskip(NEXT) | instid1(VALU_DEP_3)
	v_lshl_add_u32 v61, v61, 10, 0x2000
	v_lshlrev_b32_e32 v33, 7, v33
	s_delay_alu instid0(VALU_DEP_2) | instskip(NEXT) | instid1(VALU_DEP_1)
	v_and_or_b32 v34, 0x8000, v34, v61
	v_and_or_b32 v33, 0x380, v33, v34
	s_delay_alu instid0(VALU_DEP_1)
	v_cvt_f32_f16_e32 v122, v33
.LBB346_761:                            ;   in Loop: Header=BB346_16 Depth=1
	s_or_b32 exec_lo, exec_lo, s23
.LBB346_762:                            ;   in Loop: Header=BB346_16 Depth=1
	s_delay_alu instid0(SALU_CYCLE_1)
	s_or_b32 exec_lo, exec_lo, s22
.LBB346_763:                            ;   in Loop: Header=BB346_16 Depth=1
	s_delay_alu instid0(SALU_CYCLE_1) | instskip(SKIP_2) | instid1(VALU_DEP_1)
	s_or_b32 exec_lo, exec_lo, s21
	v_lshrrev_b16 v7, 8, v7
	s_mov_b32 s21, exec_lo
	v_cmpx_ne_u16_e32 0, v7
	s_cbranch_execz .LBB346_771
; %bb.764:                              ;   in Loop: Header=BB346_16 Depth=1
	v_bfrev_b32_e32 v123, 1
	s_mov_b32 s22, exec_lo
	v_cmpx_ne_u16_e32 0x80, v7
	s_cbranch_execz .LBB346_770
; %bb.765:                              ;   in Loop: Header=BB346_16 Depth=1
	v_and_b32_e32 v61, 0xffff, v7
	v_mov_b32_e32 v123, 0x7fc02000
	s_mov_b32 s23, exec_lo
	s_delay_alu instid0(VALU_DEP_2) | instskip(NEXT) | instid1(VALU_DEP_1)
	v_and_b32_e32 v33, 0x7f, v61
	v_cmpx_ne_u32_e32 0x7f, v33
	s_cbranch_execz .LBB346_769
; %bb.766:                              ;   in Loop: Header=BB346_16 Depth=1
	v_and_b32_e32 v7, 7, v61
	v_lshrrev_b32_e32 v62, 3, v33
	v_cmp_gt_u32_e64 s1, 8, v33
	s_delay_alu instid0(VALU_DEP_3) | instskip(NEXT) | instid1(VALU_DEP_2)
	v_dual_mov_b32 v34, v8 :: v_dual_mov_b32 v33, v7
	s_and_saveexec_b32 s24, s1
; %bb.767:                              ;   in Loop: Header=BB346_16 Depth=1
	v_clz_i32_u32_e32 v33, v7
	s_delay_alu instid0(VALU_DEP_1) | instskip(NEXT) | instid1(VALU_DEP_1)
	v_min_u32_e32 v62, 32, v33
	v_subrev_nc_u32_e32 v33, 28, v62
	v_sub_nc_u32_e32 v62, 29, v62
	s_delay_alu instid0(VALU_DEP_2) | instskip(NEXT) | instid1(VALU_DEP_1)
	v_lshlrev_b64 v[33:34], v33, v[7:8]
	v_and_b32_e32 v33, 7, v33
; %bb.768:                              ;   in Loop: Header=BB346_16 Depth=1
	s_or_b32 exec_lo, exec_lo, s24
	v_lshlrev_b32_e32 v7, 8, v61
	v_lshl_add_u32 v34, v62, 10, 0x2000
	s_delay_alu instid0(VALU_DEP_1) | instskip(NEXT) | instid1(VALU_DEP_1)
	v_and_or_b32 v7, 0x8000, v7, v34
	v_lshl_or_b32 v7, v33, 7, v7
	s_delay_alu instid0(VALU_DEP_1)
	v_cvt_f32_f16_e32 v123, v7
.LBB346_769:                            ;   in Loop: Header=BB346_16 Depth=1
	s_or_b32 exec_lo, exec_lo, s23
.LBB346_770:                            ;   in Loop: Header=BB346_16 Depth=1
	s_delay_alu instid0(SALU_CYCLE_1)
	s_or_b32 exec_lo, exec_lo, s22
.LBB346_771:                            ;   in Loop: Header=BB346_16 Depth=1
	s_delay_alu instid0(SALU_CYCLE_1) | instskip(SKIP_3) | instid1(VALU_DEP_2)
	s_or_b32 exec_lo, exec_lo, s21
	v_lshrrev_b32_e32 v61, 16, v32
	v_mov_b32_e32 v33, 0
	s_mov_b32 s21, exec_lo
	v_dual_mov_b32 v124, 0 :: v_dual_and_b32 v7, 0xff, v61
	s_delay_alu instid0(VALU_DEP_1)
	v_cmpx_ne_u16_e32 0, v7
	s_cbranch_execz .LBB346_779
; %bb.772:                              ;   in Loop: Header=BB346_16 Depth=1
	v_bfrev_b32_e32 v33, 1
	s_mov_b32 s22, exec_lo
	v_cmpx_ne_u16_e32 0x80, v7
	s_cbranch_execz .LBB346_778
; %bb.773:                              ;   in Loop: Header=BB346_16 Depth=1
	v_bfe_u32 v34, v32, 16, 7
	v_mov_b32_e32 v33, 0x7fc02000
	s_mov_b32 s23, exec_lo
	s_delay_alu instid0(VALU_DEP_2)
	v_cmpx_ne_u32_e32 0x7f, v34
	s_cbranch_execz .LBB346_777
; %bb.774:                              ;   in Loop: Header=BB346_16 Depth=1
	v_and_b32_e32 v7, 7, v61
	v_lshrrev_b32_e32 v62, 3, v34
	v_cmp_gt_u32_e64 s1, 8, v34
	s_delay_alu instid0(VALU_DEP_3) | instskip(NEXT) | instid1(VALU_DEP_2)
	v_dual_mov_b32 v34, v8 :: v_dual_mov_b32 v33, v7
	s_and_saveexec_b32 s24, s1
; %bb.775:                              ;   in Loop: Header=BB346_16 Depth=1
	v_clz_i32_u32_e32 v33, v7
	s_delay_alu instid0(VALU_DEP_1) | instskip(NEXT) | instid1(VALU_DEP_1)
	v_min_u32_e32 v62, 32, v33
	v_subrev_nc_u32_e32 v33, 28, v62
	v_sub_nc_u32_e32 v62, 29, v62
	s_delay_alu instid0(VALU_DEP_2) | instskip(NEXT) | instid1(VALU_DEP_1)
	v_lshlrev_b64 v[33:34], v33, v[7:8]
	v_and_b32_e32 v33, 7, v33
; %bb.776:                              ;   in Loop: Header=BB346_16 Depth=1
	s_or_b32 exec_lo, exec_lo, s24
	v_lshlrev_b32_e32 v7, 8, v61
	v_lshl_add_u32 v34, v62, 10, 0x2000
	s_delay_alu instid0(VALU_DEP_1) | instskip(NEXT) | instid1(VALU_DEP_1)
	v_and_or_b32 v7, 0x8000, v7, v34
	v_lshl_or_b32 v7, v33, 7, v7
	s_delay_alu instid0(VALU_DEP_1)
	v_cvt_f32_f16_e32 v33, v7
.LBB346_777:                            ;   in Loop: Header=BB346_16 Depth=1
	s_or_b32 exec_lo, exec_lo, s23
.LBB346_778:                            ;   in Loop: Header=BB346_16 Depth=1
	s_delay_alu instid0(SALU_CYCLE_1)
	s_or_b32 exec_lo, exec_lo, s22
.LBB346_779:                            ;   in Loop: Header=BB346_16 Depth=1
	s_delay_alu instid0(SALU_CYCLE_1) | instskip(NEXT) | instid1(SALU_CYCLE_1)
	s_or_b32 exec_lo, exec_lo, s21
	s_mov_b32 s21, exec_lo
	v_cmpx_lt_u64_e64 s[8:9], v[31:32]
	s_cbranch_execz .LBB346_14
; %bb.780:                              ;   in Loop: Header=BB346_16 Depth=1
	v_lshrrev_b32_e32 v34, 24, v32
	v_bfrev_b32_e32 v124, 1
	s_mov_b32 s22, exec_lo
	s_delay_alu instid0(VALU_DEP_2)
	v_cmpx_ne_u32_e32 0x80, v34
	s_cbranch_execz .LBB346_13
; %bb.781:                              ;   in Loop: Header=BB346_16 Depth=1
	v_and_b32_e32 v31, 0x7f, v34
	v_mov_b32_e32 v124, 0x7fc02000
	s_mov_b32 s23, exec_lo
	s_delay_alu instid0(VALU_DEP_2)
	v_cmpx_ne_u32_e32 0x7f, v31
	s_cbranch_execz .LBB346_12
; %bb.782:                              ;   in Loop: Header=BB346_16 Depth=1
	v_and_b32_e32 v7, 7, v34
	v_lshrrev_b32_e32 v61, 3, v31
	v_cmp_gt_u32_e64 s1, 8, v31
	s_delay_alu instid0(VALU_DEP_3) | instskip(NEXT) | instid1(VALU_DEP_2)
	v_dual_mov_b32 v32, v8 :: v_dual_mov_b32 v31, v7
	s_and_saveexec_b32 s24, s1
	s_cbranch_execz .LBB346_11
; %bb.783:                              ;   in Loop: Header=BB346_16 Depth=1
	v_clz_i32_u32_e32 v31, v7
	s_delay_alu instid0(VALU_DEP_1) | instskip(NEXT) | instid1(VALU_DEP_1)
	v_min_u32_e32 v61, 32, v31
	v_subrev_nc_u32_e32 v31, 28, v61
	v_sub_nc_u32_e32 v61, 29, v61
	s_delay_alu instid0(VALU_DEP_2) | instskip(NEXT) | instid1(VALU_DEP_1)
	v_lshlrev_b64 v[31:32], v31, v[7:8]
	v_and_b32_e32 v31, 7, v31
	s_branch .LBB346_11
.LBB346_784:
	s_or_b32 exec_lo, exec_lo, s20
.LBB346_785:
	s_delay_alu instid0(SALU_CYCLE_1) | instskip(SKIP_4) | instid1(VALU_DEP_2)
	s_or_b32 exec_lo, exec_lo, s19
	v_mbcnt_lo_u32_b32 v7, -1, 0
	s_waitcnt lgkmcnt(0)
	s_lshr_b32 s8, s18, 16
	v_max_f32_e32 v20, v67, v67
	v_xor_b32_e32 v8, 16, v7
	v_xor_b32_e32 v13, 8, v7
	;; [unrolled: 1-line block ×4, first 2 shown]
	s_delay_alu instid0(VALU_DEP_4) | instskip(SKIP_4) | instid1(VALU_DEP_2)
	v_cmp_gt_i32_e32 vcc_lo, 32, v8
	v_cndmask_b32_e32 v8, v7, v8, vcc_lo
	v_cmp_gt_i32_e32 vcc_lo, 32, v13
	v_cndmask_b32_e32 v13, v7, v13, vcc_lo
	v_cmp_gt_i32_e32 vcc_lo, 32, v21
	v_lshlrev_b32_e32 v13, 2, v13
	v_lshlrev_b32_e32 v9, 2, v8
	v_cndmask_b32_e32 v21, v7, v21, vcc_lo
	ds_bpermute_b32 v8, v9, v67
	v_lshlrev_b32_e32 v24, 2, v21
	v_xor_b32_e32 v21, 2, v7
	s_delay_alu instid0(VALU_DEP_1) | instskip(SKIP_2) | instid1(VALU_DEP_2)
	v_cmp_gt_i32_e32 vcc_lo, 32, v21
	v_cndmask_b32_e32 v21, v7, v21, vcc_lo
	v_cmp_gt_i32_e32 vcc_lo, 32, v25
	v_lshlrev_b32_e32 v21, 2, v21
	v_cndmask_b32_e32 v25, v7, v25, vcc_lo
	v_cmp_eq_u32_e32 vcc_lo, 0, v48
	s_waitcnt lgkmcnt(0)
	v_max_f32_e32 v8, v8, v8
	s_delay_alu instid0(VALU_DEP_1) | instskip(SKIP_3) | instid1(VALU_DEP_1)
	v_max_f32_e32 v8, v20, v8
	ds_bpermute_b32 v20, v13, v8
	s_waitcnt lgkmcnt(0)
	v_max_f32_e32 v20, v20, v20
	v_max_f32_e32 v8, v8, v20
	ds_bpermute_b32 v20, v24, v8
	s_waitcnt lgkmcnt(0)
	v_max_f32_e32 v20, v20, v20
	s_delay_alu instid0(VALU_DEP_1) | instskip(SKIP_3) | instid1(VALU_DEP_1)
	v_max_f32_e32 v8, v8, v20
	ds_bpermute_b32 v20, v21, v8
	s_waitcnt lgkmcnt(0)
	v_max_f32_e32 v20, v20, v20
	v_dual_max_f32 v7, v8, v20 :: v_dual_lshlrev_b32 v20, 2, v25
	v_lshlrev_b32_e32 v25, 2, v39
	ds_bpermute_b32 v8, v20, v7
	s_and_saveexec_b32 s1, vcc_lo
	s_cbranch_execz .LBB346_787
; %bb.786:
	s_waitcnt lgkmcnt(0)
	v_dual_max_f32 v8, v8, v8 :: v_dual_max_f32 v7, v7, v7
	s_delay_alu instid0(VALU_DEP_1)
	v_max_f32_e32 v7, v7, v8
	ds_store_b32 v25, v7 offset:192
.LBB346_787:
	s_or_b32 exec_lo, exec_lo, s1
	v_cmp_gt_u32_e64 s1, 4, v48
	v_mov_b32_e32 v7, 0xff7fffff
	s_waitcnt lgkmcnt(0)
	s_barrier
	buffer_gl0_inv
	s_and_saveexec_b32 s2, s1
	s_cbranch_execz .LBB346_789
; %bb.788:
	ds_load_b32 v7, v66 offset:192
.LBB346_789:
	s_or_b32 exec_lo, exec_lo, s2
	s_waitcnt lgkmcnt(0)
	ds_bpermute_b32 v8, v21, v7
	v_max_f32_e32 v7, v7, v7
	v_subrev_nc_u32_e32 v29, s13, v52
	v_mov_b32_e32 v28, 0
	s_waitcnt lgkmcnt(0)
	v_max_f32_e32 v8, v8, v8
	s_delay_alu instid0(VALU_DEP_1) | instskip(SKIP_3) | instid1(VALU_DEP_1)
	v_max_f32_e32 v7, v7, v8
	ds_bpermute_b32 v8, v20, v7
	s_waitcnt lgkmcnt(0)
	v_max_f32_e32 v8, v8, v8
	v_max_f32_e32 v7, v7, v8
	v_lshl_add_u32 v8, v29, 5, s3
	ds_bpermute_b32 v7, v28, v7
	v_min_i32_e32 v8, v8, v38
	s_delay_alu instid0(VALU_DEP_1) | instskip(NEXT) | instid1(VALU_DEP_1)
	v_subrev_nc_u32_e32 v8, s3, v8
	v_cmp_lt_i32_e64 s2, v37, v8
	s_delay_alu instid0(VALU_DEP_1)
	s_and_saveexec_b32 s9, s2
	s_cbranch_execz .LBB346_793
; %bb.790:
	s_getpc_b64 s[16:17]
	s_add_u32 s16, s16, llvm.amdgcn.dynlds.offset.table@rel32@lo+4
	s_addc_u32 s17, s17, llvm.amdgcn.dynlds.offset.table@rel32@hi+12
	s_ashr_i32 s7, s6, 31
	v_dual_mov_b32 v28, 0 :: v_dual_mov_b32 v31, v37
	s_lshl_b64 s[18:19], s[6:7], 2
	s_mov_b32 s7, 0
	s_add_u32 s16, s18, s16
	s_addc_u32 s17, s19, s17
	s_load_b32 s3, s[16:17], 0x0
	s_waitcnt lgkmcnt(0)
	v_lshl_add_u32 v29, v37, 2, s3
	.p2align	6
.LBB346_791:                            ; =>This Inner Loop Header: Depth=1
	ds_load_b32 v32, v29
	s_waitcnt lgkmcnt(0)
	v_sub_f32_e32 v32, v32, v7
	s_delay_alu instid0(VALU_DEP_1) | instskip(NEXT) | instid1(VALU_DEP_1)
	v_mul_f32_e32 v32, 0x3fb8aa3b, v32
	v_exp_f32_e32 v32, v32
	s_waitcnt_depctr 0xfff
	v_dual_add_f32 v28, v28, v32 :: v_dual_add_nc_u32 v31, 0x80, v31
	s_delay_alu instid0(VALU_DEP_1) | instskip(SKIP_3) | instid1(SALU_CYCLE_1)
	v_cmp_ge_i32_e64 s3, v31, v8
	ds_store_b32 v29, v32
	v_add_nc_u32_e32 v29, 0x200, v29
	s_or_b32 s7, s3, s7
	s_and_not1_b32 exec_lo, exec_lo, s7
	s_cbranch_execnz .LBB346_791
; %bb.792:
	s_or_b32 exec_lo, exec_lo, s7
.LBB346_793:
	s_delay_alu instid0(SALU_CYCLE_1)
	s_or_b32 exec_lo, exec_lo, s9
	ds_bpermute_b32 v9, v9, v28
	s_waitcnt lgkmcnt(0)
	v_add_f32_e32 v9, v28, v9
	ds_bpermute_b32 v13, v13, v9
	s_waitcnt lgkmcnt(0)
	v_add_f32_e32 v9, v9, v13
	;; [unrolled: 3-line block ×5, first 2 shown]
	s_and_saveexec_b32 s3, vcc_lo
	s_cbranch_execz .LBB346_795
; %bb.794:
	ds_store_b32 v25, v9 offset:208
.LBB346_795:
	s_or_b32 exec_lo, exec_lo, s3
	s_waitcnt lgkmcnt(0)
	s_barrier
	buffer_gl0_inv
	s_and_saveexec_b32 s3, s1
	s_cbranch_execz .LBB346_797
; %bb.796:
	ds_load_b32 v9, v66 offset:208
.LBB346_797:
	s_or_b32 exec_lo, exec_lo, s3
	s_waitcnt lgkmcnt(0)
	ds_bpermute_b32 v13, v21, v9
	s_waitcnt lgkmcnt(0)
	v_add_f32_e32 v9, v9, v13
	ds_bpermute_b32 v13, v20, v9
	s_waitcnt lgkmcnt(0)
	v_add_f32_e32 v9, v9, v13
	v_mov_b32_e32 v13, 0
	ds_bpermute_b32 v9, v13, v9
	s_and_saveexec_b32 s1, s2
	s_cbranch_execz .LBB346_800
; %bb.798:
	s_waitcnt lgkmcnt(0)
	v_add_f32_e32 v24, 0x358637bd, v9
	s_getpc_b64 s[2:3]
	s_add_u32 s2, s2, llvm.amdgcn.dynlds.offset.table@rel32@lo+4
	s_addc_u32 s3, s3, llvm.amdgcn.dynlds.offset.table@rel32@hi+12
	s_ashr_i32 s7, s6, 31
	s_delay_alu instid0(SALU_CYCLE_1) | instskip(SKIP_3) | instid1(VALU_DEP_2)
	s_lshl_b64 s[16:17], s[6:7], 2
	v_div_scale_f32 v13, null, v24, v24, 1.0
	v_div_scale_f32 v29, vcc_lo, 1.0, v24, 1.0
	s_add_u32 s2, s16, s2
	v_rcp_f32_e32 v25, v13
	s_addc_u32 s3, s17, s3
	s_load_b32 s2, s[2:3], 0x0
	s_waitcnt_depctr 0xfff
	v_fma_f32 v28, -v13, v25, 1.0
	s_delay_alu instid0(VALU_DEP_1) | instskip(NEXT) | instid1(VALU_DEP_1)
	v_fmac_f32_e32 v25, v28, v25
	v_mul_f32_e32 v28, v29, v25
	s_delay_alu instid0(VALU_DEP_1) | instskip(NEXT) | instid1(VALU_DEP_1)
	v_fma_f32 v31, -v13, v28, v29
	v_fmac_f32_e32 v28, v31, v25
	s_delay_alu instid0(VALU_DEP_1) | instskip(NEXT) | instid1(VALU_DEP_1)
	v_fma_f32 v13, -v13, v28, v29
	v_div_fmas_f32 v25, v13, v25, v28
	s_waitcnt lgkmcnt(0)
	v_lshl_add_u32 v13, v37, 2, s2
	s_mov_b32 s2, 0
	s_delay_alu instid0(VALU_DEP_2)
	v_div_fixup_f32 v24, v25, v24, 1.0
	v_mov_b32_e32 v25, v37
.LBB346_799:                            ; =>This Inner Loop Header: Depth=1
	ds_load_b32 v28, v13
	s_waitcnt lgkmcnt(0)
	v_dual_mul_f32 v28, v24, v28 :: v_dual_add_nc_u32 v25, 0x80, v25
	s_delay_alu instid0(VALU_DEP_1) | instskip(SKIP_3) | instid1(SALU_CYCLE_1)
	v_cmp_ge_i32_e32 vcc_lo, v25, v8
	ds_store_b32 v13, v28
	v_add_nc_u32_e32 v13, 0x200, v13
	s_or_b32 s2, vcc_lo, s2
	s_and_not1_b32 exec_lo, exec_lo, s2
	s_cbranch_execnz .LBB346_799
.LBB346_800:
	s_or_b32 exec_lo, exec_lo, s1
	v_cmp_ne_u16_e64 s1, s8, 0
	s_waitcnt lgkmcnt(0)
	s_barrier
	buffer_gl0_inv
	s_cmp_lg_u32 s1, 0
	s_addc_u32 s1, s5, 0
	s_mov_b32 s5, exec_lo
	s_mul_i32 s2, s1, s10
	s_delay_alu instid0(SALU_CYCLE_1)
	s_mul_i32 s2, s2, s15
	v_cmpx_eq_u32_e32 0, v37
	s_cbranch_execz .LBB346_802
; %bb.801:
	s_mul_i32 s8, s1, s12
	s_ashr_i32 s15, s14, 31
	s_ashr_i32 s9, s8, 31
	;; [unrolled: 1-line block ×3, first 2 shown]
	s_lshl_b64 s[8:9], s[8:9], 2
	s_lshl_b64 s[12:13], s[14:15], 2
	;; [unrolled: 1-line block ×3, first 2 shown]
	s_add_u32 s3, s12, s8
	s_addc_u32 s7, s13, s9
	s_add_u32 s3, s3, s16
	s_addc_u32 s7, s7, s17
	v_add_co_u32 v2, vcc_lo, s3, v2
	v_add_co_ci_u32_e32 v3, vcc_lo, s7, v3, vcc_lo
	v_add_co_u32 v0, vcc_lo, s3, v0
	v_add_co_ci_u32_e32 v1, vcc_lo, s7, v1, vcc_lo
	flat_store_b32 v[2:3], v7
	flat_store_b32 v[0:1], v9
.LBB346_802:
	s_or_b32 exec_lo, exec_lo, s5
	s_ashr_i32 s7, s6, 31
	s_getpc_b64 s[8:9]
	s_add_u32 s8, s8, llvm.amdgcn.dynlds.offset.table@rel32@lo+4
	s_addc_u32 s9, s9, llvm.amdgcn.dynlds.offset.table@rel32@hi+12
	s_lshl_b64 s[6:7], s[6:7], 2
	v_dual_mov_b32 v66, 0 :: v_dual_mov_b32 v67, 0
	v_dual_mov_b32 v65, 0 :: v_dual_and_b32 v24, 3, v37
	v_dual_mov_b32 v36, 0 :: v_dual_mov_b32 v35, 0
	v_dual_mov_b32 v34, 0 :: v_dual_mov_b32 v33, 0
	;; [unrolled: 1-line block ×4, first 2 shown]
	v_mov_b32_e32 v25, 0
	s_add_u32 s6, s6, s8
	s_addc_u32 s7, s7, s9
	s_mov_b32 s5, 0
	s_and_saveexec_b32 s3, s0
	s_cbranch_execz .LBB346_1600
; %bb.803:
	v_max_i32_e32 v30, v30, v55
	v_add_co_u32 v7, vcc_lo, v10, v12
	v_add_co_ci_u32_e32 v8, vcc_lo, v11, v64, vcc_lo
	s_delay_alu instid0(VALU_DEP_3)
	v_cvt_f32_u32_e32 v1, v30
	v_sub_nc_u32_e32 v11, 0, v30
	s_load_b32 s0, s[6:7], 0x0
	v_lshlrev_b32_e32 v0, 3, v37
	v_lshlrev_b64 v[2:3], 2, v[16:17]
	v_rcp_iflag_f32_e32 v9, v1
	v_dual_mov_b32 v1, 0 :: v_dual_mov_b32 v28, 0
	v_dual_mov_b32 v25, 0 :: v_dual_lshlrev_b32 v10, 5, v24
	v_mov_b32_e32 v35, 0
	v_dual_mov_b32 v66, 0 :: v_dual_and_b32 v17, 24, v0
	v_and_b32_e32 v0, 0xf8, v0
	v_add_co_u32 v12, vcc_lo, v18, v2
	s_delay_alu instid0(TRANS32_DEP_1) | instskip(SKIP_3) | instid1(VALU_DEP_4)
	v_mul_f32_e32 v9, 0x4f7ffffe, v9
	v_add_co_ci_u32_e32 v13, vcc_lo, v19, v3, vcc_lo
	v_lshl_or_b32 v10, v39, 7, v10
	v_add_co_u32 v2, vcc_lo, v7, v0
	v_cvt_u32_f32_e32 v9, v9
	v_add_co_ci_u32_e32 v3, vcc_lo, 0, v8, vcc_lo
	v_add_co_u32 v7, vcc_lo, v14, v12
	s_delay_alu instid0(VALU_DEP_3)
	v_mul_lo_u32 v11, v11, v9
	v_dual_mov_b32 v55, v38 :: v_dual_add_nc_u32 v54, -1, v54
	v_dual_mov_b32 v29, 0 :: v_dual_mov_b32 v32, 0
	v_dual_mov_b32 v31, 0 :: v_dual_mov_b32 v34, 0
	;; [unrolled: 1-line block ×3, first 2 shown]
	v_mul_hi_u32 v11, v9, v11
	v_add_co_ci_u32_e32 v8, vcc_lo, v15, v13, vcc_lo
	s_waitcnt lgkmcnt(0)
	v_add_nc_u32_e32 v15, s0, v10
	v_mov_b32_e32 v67, 0
	v_mov_b32_e32 v65, 0
	s_mov_b32 s8, -1
	s_mov_b32 s9, 0xffffff
	v_add_nc_u32_e32 v18, v9, v11
	s_branch .LBB346_806
.LBB346_804:                            ;   in Loop: Header=BB346_806 Depth=1
	s_or_b32 exec_lo, exec_lo, s0
	v_dual_add_f32 v12, v13, v14 :: v_dual_add_f32 v13, v128, v129
	v_dual_add_f32 v14, v118, v119 :: v_dual_add_f32 v19, v116, v117
	;;#ASMSTART
	v_pk_mul_f16 v11, v87, v11;

	;;#ASMEND
	s_delay_alu instid0(VALU_DEP_2)
	v_dual_add_f32 v28, v28, v12 :: v_dual_add_f32 v29, v29, v13
	v_dual_add_f32 v12, v114, v115 :: v_dual_add_f32 v13, v112, v113
	;;#ASMSTART
	v_pk_mul_f16 v10, v86, v10;

	;;#ASMEND
	;;#ASMSTART
	v_pk_mul_f16 v0, v85, v0;

	;;#ASMEND
	;; [unrolled: 4-line block ×3, first 2 shown]
	;;#ASMSTART
	v_pk_add_f16 v10, v11, v10;

	;;#ASMEND
	;;#ASMSTART
	v_pk_add_f16 v0, v10, v0;

	;;#ASMEND
	;; [unrolled: 4-line block ×3, first 2 shown]
	v_dual_add_f32 v32, v32, v19 :: v_dual_add_f32 v33, v33, v12
	v_dual_add_f32 v12, v100, v101 :: v_dual_and_b32 v9, 0xffff, v0
	v_lshrrev_b32_e32 v0, 16, v0
	;;#ASMSTART
	v_cvt_f32_f16 v9, v9;
	;;#ASMEND
	;;#ASMSTART
	v_cvt_f32_f16 v0, v0;
	;;#ASMEND
	v_dual_add_f32 v64, v102, v103 :: v_dual_add_f32 v31, v31, v14
	v_add_f32_e32 v34, v34, v13
	v_dual_add_f32 v10, v98, v99 :: v_dual_add_f32 v11, v96, v97
	v_dual_add_f32 v13, v80, v81 :: v_dual_add_f32 v0, v9, v0
	s_delay_alu instid0(VALU_DEP_4) | instskip(NEXT) | instid1(VALU_DEP_3)
	v_add_f32_e32 v35, v35, v64
	v_dual_add_f32 v36, v36, v12 :: v_dual_add_f32 v65, v65, v10
	s_delay_alu instid0(VALU_DEP_3) | instskip(NEXT) | instid1(VALU_DEP_4)
	v_dual_add_f32 v67, v67, v11 :: v_dual_add_f32 v66, v66, v13
	v_add_f32_e32 v25, v25, v0
.LBB346_805:                            ;   in Loop: Header=BB346_806 Depth=1
	s_or_b32 exec_lo, exec_lo, s10
	v_add_nc_u32_e32 v16, 4, v16
	v_add_co_u32 v7, s0, v7, 16
	s_delay_alu instid0(VALU_DEP_1) | instskip(NEXT) | instid1(VALU_DEP_3)
	v_add_co_ci_u32_e64 v8, s0, 0, v8, s0
	v_cmp_ge_i32_e32 vcc_lo, v16, v52
	v_add_nc_u32_e32 v23, 0x80, v23
	v_add_nc_u32_e32 v15, 0x200, v15
	s_or_b32 s5, vcc_lo, s5
	s_delay_alu instid0(SALU_CYCLE_1)
	s_and_not1_b32 exec_lo, exec_lo, s5
	s_cbranch_execz .LBB346_1599
.LBB346_806:                            ; =>This Inner Loop Header: Depth=1
	v_sub_nc_u32_e32 v0, 0, v23
	s_delay_alu instid0(VALU_DEP_1) | instskip(NEXT) | instid1(VALU_DEP_1)
	v_max_i32_e32 v0, v23, v0
	v_mul_hi_u32 v9, v0, v50
	s_delay_alu instid0(VALU_DEP_1) | instskip(NEXT) | instid1(VALU_DEP_1)
	v_mul_lo_u32 v10, v9, v49
	v_sub_nc_u32_e32 v0, v0, v10
	v_add_nc_u32_e32 v10, 1, v9
	s_delay_alu instid0(VALU_DEP_2) | instskip(SKIP_1) | instid1(VALU_DEP_2)
	v_sub_nc_u32_e32 v11, v0, v49
	v_cmp_ge_u32_e32 vcc_lo, v0, v49
	v_dual_cndmask_b32 v9, v9, v10 :: v_dual_cndmask_b32 v0, v0, v11
	v_ashrrev_i32_e32 v10, 31, v23
	s_delay_alu instid0(VALU_DEP_2) | instskip(NEXT) | instid1(VALU_DEP_3)
	v_add_nc_u32_e32 v11, 1, v9
	v_cmp_ge_u32_e32 vcc_lo, v0, v49
	s_delay_alu instid0(VALU_DEP_3) | instskip(NEXT) | instid1(VALU_DEP_3)
	v_xor_b32_e32 v10, v10, v51
	v_cndmask_b32_e32 v0, v9, v11, vcc_lo
	s_delay_alu instid0(VALU_DEP_1) | instskip(NEXT) | instid1(VALU_DEP_1)
	v_xor_b32_e32 v0, v0, v10
	v_sub_nc_u32_e32 v0, v0, v10
	s_delay_alu instid0(VALU_DEP_1) | instskip(SKIP_1) | instid1(VALU_DEP_2)
	v_add_nc_u32_e32 v9, v0, v6
	v_cmp_gt_i32_e64 s0, v0, v53
	v_sub_nc_u32_e32 v10, 0, v9
	s_delay_alu instid0(VALU_DEP_1) | instskip(NEXT) | instid1(VALU_DEP_1)
	v_max_i32_e32 v10, v9, v10
	v_mul_hi_u32 v11, v10, v18
	s_delay_alu instid0(VALU_DEP_1) | instskip(NEXT) | instid1(VALU_DEP_1)
	v_mul_lo_u32 v11, v11, v30
	v_sub_nc_u32_e32 v10, v10, v11
	s_delay_alu instid0(VALU_DEP_1) | instskip(SKIP_1) | instid1(VALU_DEP_2)
	v_sub_nc_u32_e32 v11, v10, v30
	v_cmp_ge_u32_e32 vcc_lo, v10, v30
	v_cndmask_b32_e32 v10, v10, v11, vcc_lo
	v_ashrrev_i32_e32 v9, 31, v9
	s_delay_alu instid0(VALU_DEP_2) | instskip(SKIP_1) | instid1(VALU_DEP_2)
	v_sub_nc_u32_e32 v11, v10, v30
	v_cmp_ge_u32_e32 vcc_lo, v10, v30
	v_cndmask_b32_e32 v10, v10, v11, vcc_lo
	s_delay_alu instid0(VALU_DEP_1) | instskip(NEXT) | instid1(VALU_DEP_1)
	v_xor_b32_e32 v10, v10, v9
	v_sub_nc_u32_e32 v9, v10, v9
	s_delay_alu instid0(VALU_DEP_1) | instskip(SKIP_1) | instid1(SALU_CYCLE_1)
	v_cmp_eq_u32_e32 vcc_lo, 0, v9
	s_or_b32 s0, vcc_lo, s0
	s_and_saveexec_b32 s10, s0
	s_cbranch_execz .LBB346_805
; %bb.807:                              ;   in Loop: Header=BB346_806 Depth=1
	flat_load_b32 v0, v[7:8]
	ds_load_2addr_b64 v[10:13], v15 offset1:1
	ds_load_2addr_b64 v[68:71], v15 offset0:2 offset1:3
	s_mov_b32 s0, exec_lo
	s_waitcnt lgkmcnt(1)
	;;#ASMSTART
	v_cvt_f16_f32 v80, v10;

	;;#ASMEND
	;;#ASMSTART
	v_cvt_f16_f32 v81, v11;

	;;#ASMEND
	;; [unrolled: 4-line block ×4, first 2 shown]
	s_waitcnt lgkmcnt(0)
	;;#ASMSTART
	v_cvt_f16_f32 v87, v68;

	;;#ASMEND
	;;#ASMSTART
	v_cvt_f16_f32 v85, v69;

	;;#ASMEND
	;; [unrolled: 4-line block ×4, first 2 shown]
	v_dual_mov_b32 v68, 0 :: v_dual_mov_b32 v19, 0
	s_waitcnt vmcnt(0)
	v_mad_i64_i32 v[9:10], null, v0, v22, v[2:3]
	flat_load_b64 v[11:12], v[9:10]
	flat_load_b32 v64, v[26:27]
	s_waitcnt vmcnt(1) lgkmcnt(1)
	v_and_b32_e32 v0, 0xff, v11
	s_delay_alu instid0(VALU_DEP_1)
	v_cmpx_ne_u16_e32 0, v0
	s_cbranch_execz .LBB346_815
; %bb.808:                              ;   in Loop: Header=BB346_806 Depth=1
	v_bfrev_b32_e32 v68, 1
	s_mov_b32 s12, exec_lo
	v_cmpx_ne_u16_e32 0x80, v0
	s_cbranch_execz .LBB346_814
; %bb.809:                              ;   in Loop: Header=BB346_806 Depth=1
	v_and_b32_e32 v13, 0x7f, v11
	v_mov_b32_e32 v68, 0x7fc02000
	s_mov_b32 s13, exec_lo
	s_delay_alu instid0(VALU_DEP_2)
	v_cmpx_ne_u32_e32 0x7f, v13
	s_cbranch_execz .LBB346_813
; %bb.810:                              ;   in Loop: Header=BB346_806 Depth=1
	v_lshrrev_b32_e32 v0, 3, v13
	v_cmp_gt_u32_e32 vcc_lo, 8, v13
	v_dual_mov_b32 v14, v12 :: v_dual_mov_b32 v13, v11
	s_and_saveexec_b32 s15, vcc_lo
; %bb.811:                              ;   in Loop: Header=BB346_806 Depth=1
	v_and_b32_e32 v0, 7, v11
	s_delay_alu instid0(VALU_DEP_1) | instskip(NEXT) | instid1(VALU_DEP_1)
	v_clz_i32_u32_e32 v0, v0
	v_min_u32_e32 v0, 32, v0
	s_delay_alu instid0(VALU_DEP_1) | instskip(SKIP_1) | instid1(VALU_DEP_2)
	v_subrev_nc_u32_e32 v13, 28, v0
	v_sub_nc_u32_e32 v0, 29, v0
	v_lshlrev_b64 v[13:14], v13, v[11:12]
; %bb.812:                              ;   in Loop: Header=BB346_806 Depth=1
	s_or_b32 exec_lo, exec_lo, s15
	v_lshlrev_b32_e32 v14, 8, v11
	s_delay_alu instid0(VALU_DEP_3) | instskip(NEXT) | instid1(VALU_DEP_3)
	v_lshl_add_u32 v0, v0, 10, 0x2000
	v_lshlrev_b32_e32 v13, 7, v13
	s_delay_alu instid0(VALU_DEP_2) | instskip(NEXT) | instid1(VALU_DEP_1)
	v_and_or_b32 v0, 0x8000, v14, v0
	v_and_or_b32 v0, 0x380, v13, v0
	s_delay_alu instid0(VALU_DEP_1)
	v_cvt_f32_f16_e32 v68, v0
.LBB346_813:                            ;   in Loop: Header=BB346_806 Depth=1
	s_or_b32 exec_lo, exec_lo, s13
.LBB346_814:                            ;   in Loop: Header=BB346_806 Depth=1
	s_delay_alu instid0(SALU_CYCLE_1)
	s_or_b32 exec_lo, exec_lo, s12
.LBB346_815:                            ;   in Loop: Header=BB346_806 Depth=1
	s_delay_alu instid0(SALU_CYCLE_1) | instskip(SKIP_2) | instid1(VALU_DEP_1)
	s_or_b32 exec_lo, exec_lo, s0
	v_lshrrev_b16 v0, 8, v11
	s_mov_b32 s0, exec_lo
	v_cmpx_ne_u16_e32 0, v0
	s_cbranch_execz .LBB346_823
; %bb.816:                              ;   in Loop: Header=BB346_806 Depth=1
	v_bfrev_b32_e32 v19, 1
	s_mov_b32 s12, exec_lo
	v_cmpx_ne_u16_e32 0x80, v0
	s_cbranch_execz .LBB346_822
; %bb.817:                              ;   in Loop: Header=BB346_806 Depth=1
	v_and_b32_e32 v13, 0xffff, v0
	v_mov_b32_e32 v19, 0x7fc02000
	s_mov_b32 s13, exec_lo
	s_delay_alu instid0(VALU_DEP_2) | instskip(NEXT) | instid1(VALU_DEP_1)
	v_and_b32_e32 v69, 0x7f, v13
	v_cmpx_ne_u32_e32 0x7f, v69
	s_cbranch_execz .LBB346_821
; %bb.818:                              ;   in Loop: Header=BB346_806 Depth=1
	v_and_b32_e32 v0, 7, v13
	v_lshrrev_b32_e32 v14, 3, v69
	s_mov_b32 s15, exec_lo
	v_cmpx_gt_u32_e32 8, v69
; %bb.819:                              ;   in Loop: Header=BB346_806 Depth=1
	s_delay_alu instid0(VALU_DEP_3) | instskip(NEXT) | instid1(VALU_DEP_1)
	v_clz_i32_u32_e32 v14, v0
	v_min_u32_e32 v14, 32, v14
	s_delay_alu instid0(VALU_DEP_1) | instskip(SKIP_1) | instid1(VALU_DEP_2)
	v_subrev_nc_u32_e32 v19, 28, v14
	v_sub_nc_u32_e32 v14, 29, v14
	v_lshlrev_b64 v[69:70], v19, v[0:1]
	s_delay_alu instid0(VALU_DEP_1)
	v_and_b32_e32 v0, 7, v69
; %bb.820:                              ;   in Loop: Header=BB346_806 Depth=1
	s_or_b32 exec_lo, exec_lo, s15
	v_lshlrev_b32_e32 v13, 8, v13
	v_lshl_add_u32 v14, v14, 10, 0x2000
	s_delay_alu instid0(VALU_DEP_1) | instskip(NEXT) | instid1(VALU_DEP_1)
	v_and_or_b32 v13, 0x8000, v13, v14
	v_lshl_or_b32 v0, v0, 7, v13
	s_delay_alu instid0(VALU_DEP_1)
	v_cvt_f32_f16_e32 v19, v0
.LBB346_821:                            ;   in Loop: Header=BB346_806 Depth=1
	s_or_b32 exec_lo, exec_lo, s13
.LBB346_822:                            ;   in Loop: Header=BB346_806 Depth=1
	s_delay_alu instid0(SALU_CYCLE_1)
	s_or_b32 exec_lo, exec_lo, s12
.LBB346_823:                            ;   in Loop: Header=BB346_806 Depth=1
	s_delay_alu instid0(SALU_CYCLE_1) | instskip(SKIP_3) | instid1(VALU_DEP_2)
	s_or_b32 exec_lo, exec_lo, s0
	v_lshrrev_b32_e32 v13, 16, v11
	v_mov_b32_e32 v70, 0
	s_mov_b32 s0, exec_lo
	v_dual_mov_b32 v69, 0 :: v_dual_and_b32 v0, 0xff, v13
	s_delay_alu instid0(VALU_DEP_1)
	v_cmpx_ne_u16_e32 0, v0
	s_cbranch_execz .LBB346_831
; %bb.824:                              ;   in Loop: Header=BB346_806 Depth=1
	v_bfrev_b32_e32 v69, 1
	s_mov_b32 s12, exec_lo
	v_cmpx_ne_u16_e32 0x80, v0
	s_cbranch_execz .LBB346_830
; %bb.825:                              ;   in Loop: Header=BB346_806 Depth=1
	v_bfe_u32 v71, v11, 16, 7
	v_mov_b32_e32 v69, 0x7fc02000
	s_mov_b32 s13, exec_lo
	s_delay_alu instid0(VALU_DEP_2)
	v_cmpx_ne_u32_e32 0x7f, v71
	s_cbranch_execz .LBB346_829
; %bb.826:                              ;   in Loop: Header=BB346_806 Depth=1
	v_and_b32_e32 v0, 7, v13
	v_lshrrev_b32_e32 v14, 3, v71
	s_mov_b32 s15, exec_lo
	v_cmpx_gt_u32_e32 8, v71
; %bb.827:                              ;   in Loop: Header=BB346_806 Depth=1
	s_delay_alu instid0(VALU_DEP_3) | instskip(NEXT) | instid1(VALU_DEP_1)
	v_clz_i32_u32_e32 v14, v0
	v_min_u32_e32 v14, 32, v14
	s_delay_alu instid0(VALU_DEP_1) | instskip(SKIP_1) | instid1(VALU_DEP_2)
	v_subrev_nc_u32_e32 v69, 28, v14
	v_sub_nc_u32_e32 v14, 29, v14
	v_lshlrev_b64 v[83:84], v69, v[0:1]
	s_delay_alu instid0(VALU_DEP_1)
	v_and_b32_e32 v0, 7, v83
; %bb.828:                              ;   in Loop: Header=BB346_806 Depth=1
	s_or_b32 exec_lo, exec_lo, s15
	v_lshlrev_b32_e32 v13, 8, v13
	v_lshl_add_u32 v14, v14, 10, 0x2000
	s_delay_alu instid0(VALU_DEP_1) | instskip(NEXT) | instid1(VALU_DEP_1)
	v_and_or_b32 v13, 0x8000, v13, v14
	v_lshl_or_b32 v0, v0, 7, v13
	s_delay_alu instid0(VALU_DEP_1)
	v_cvt_f32_f16_e32 v69, v0
.LBB346_829:                            ;   in Loop: Header=BB346_806 Depth=1
	s_or_b32 exec_lo, exec_lo, s13
.LBB346_830:                            ;   in Loop: Header=BB346_806 Depth=1
	s_delay_alu instid0(SALU_CYCLE_1)
	s_or_b32 exec_lo, exec_lo, s12
.LBB346_831:                            ;   in Loop: Header=BB346_806 Depth=1
	s_delay_alu instid0(SALU_CYCLE_1) | instskip(NEXT) | instid1(SALU_CYCLE_1)
	s_or_b32 exec_lo, exec_lo, s0
	s_mov_b32 s0, exec_lo
	v_cmpx_lt_u32_e32 0xffffff, v11
	s_cbranch_execz .LBB346_839
; %bb.832:                              ;   in Loop: Header=BB346_806 Depth=1
	v_lshrrev_b32_e32 v13, 24, v11
	v_bfrev_b32_e32 v70, 1
	s_mov_b32 s12, exec_lo
	s_delay_alu instid0(VALU_DEP_2)
	v_cmpx_ne_u32_e32 0x80, v13
	s_cbranch_execz .LBB346_838
; %bb.833:                              ;   in Loop: Header=BB346_806 Depth=1
	v_and_b32_e32 v71, 0x7f, v13
	v_mov_b32_e32 v70, 0x7fc02000
	s_mov_b32 s13, exec_lo
	s_delay_alu instid0(VALU_DEP_2)
	v_cmpx_ne_u32_e32 0x7f, v71
	s_cbranch_execz .LBB346_837
; %bb.834:                              ;   in Loop: Header=BB346_806 Depth=1
	v_and_b32_e32 v0, 7, v13
	v_lshrrev_b32_e32 v14, 3, v71
	s_mov_b32 s15, exec_lo
	v_cmpx_gt_u32_e32 8, v71
; %bb.835:                              ;   in Loop: Header=BB346_806 Depth=1
	s_delay_alu instid0(VALU_DEP_3) | instskip(NEXT) | instid1(VALU_DEP_1)
	v_clz_i32_u32_e32 v14, v0
	v_min_u32_e32 v14, 32, v14
	s_delay_alu instid0(VALU_DEP_1) | instskip(SKIP_1) | instid1(VALU_DEP_2)
	v_subrev_nc_u32_e32 v70, 28, v14
	v_sub_nc_u32_e32 v14, 29, v14
	v_lshlrev_b64 v[70:71], v70, v[0:1]
	s_delay_alu instid0(VALU_DEP_1)
	v_and_b32_e32 v0, 7, v70
; %bb.836:                              ;   in Loop: Header=BB346_806 Depth=1
	s_or_b32 exec_lo, exec_lo, s15
	v_lshlrev_b32_e32 v13, 8, v13
	v_lshl_add_u32 v14, v14, 10, 0x2000
	s_delay_alu instid0(VALU_DEP_1) | instskip(NEXT) | instid1(VALU_DEP_1)
	v_and_or_b32 v13, 0x8000, v13, v14
	v_lshl_or_b32 v0, v0, 7, v13
	s_delay_alu instid0(VALU_DEP_1)
	v_cvt_f32_f16_e32 v70, v0
.LBB346_837:                            ;   in Loop: Header=BB346_806 Depth=1
	s_or_b32 exec_lo, exec_lo, s13
.LBB346_838:                            ;   in Loop: Header=BB346_806 Depth=1
	s_delay_alu instid0(SALU_CYCLE_1)
	s_or_b32 exec_lo, exec_lo, s12
.LBB346_839:                            ;   in Loop: Header=BB346_806 Depth=1
	s_delay_alu instid0(SALU_CYCLE_1) | instskip(SKIP_4) | instid1(VALU_DEP_3)
	s_or_b32 exec_lo, exec_lo, s0
	v_dual_mov_b32 v0, v12 :: v_dual_and_b32 v13, 0xff, v12
	v_mov_b32_e32 v83, 0
	v_mov_b32_e32 v71, 0
	s_mov_b32 s0, exec_lo
	v_cmpx_ne_u16_e32 0, v13
	s_cbranch_execz .LBB346_847
; %bb.840:                              ;   in Loop: Header=BB346_806 Depth=1
	v_bfrev_b32_e32 v71, 1
	s_mov_b32 s12, exec_lo
	v_cmpx_ne_u16_e32 0x80, v13
	s_cbranch_execz .LBB346_846
; %bb.841:                              ;   in Loop: Header=BB346_806 Depth=1
	v_and_b32_e32 v13, 0x7f, v12
	v_mov_b32_e32 v71, 0x7fc02000
	s_mov_b32 s13, exec_lo
	s_delay_alu instid0(VALU_DEP_2)
	v_cmpx_ne_u32_e32 0x7f, v13
	s_cbranch_execz .LBB346_845
; %bb.842:                              ;   in Loop: Header=BB346_806 Depth=1
	v_lshrrev_b32_e32 v71, 3, v13
	v_cmp_gt_u32_e32 vcc_lo, 8, v13
	v_dual_mov_b32 v14, v1 :: v_dual_mov_b32 v13, v0
	s_and_saveexec_b32 s15, vcc_lo
; %bb.843:                              ;   in Loop: Header=BB346_806 Depth=1
	v_and_b32_e32 v13, 7, v12
	s_delay_alu instid0(VALU_DEP_1) | instskip(NEXT) | instid1(VALU_DEP_1)
	v_clz_i32_u32_e32 v13, v13
	v_min_u32_e32 v71, 32, v13
	s_delay_alu instid0(VALU_DEP_1) | instskip(SKIP_1) | instid1(VALU_DEP_2)
	v_subrev_nc_u32_e32 v13, 28, v71
	v_sub_nc_u32_e32 v71, 29, v71
	v_lshlrev_b64 v[13:14], v13, v[0:1]
; %bb.844:                              ;   in Loop: Header=BB346_806 Depth=1
	s_or_b32 exec_lo, exec_lo, s15
	v_lshlrev_b32_e32 v14, 8, v12
	s_delay_alu instid0(VALU_DEP_3) | instskip(NEXT) | instid1(VALU_DEP_3)
	v_lshl_add_u32 v71, v71, 10, 0x2000
	v_lshlrev_b32_e32 v13, 7, v13
	s_delay_alu instid0(VALU_DEP_2) | instskip(NEXT) | instid1(VALU_DEP_1)
	v_and_or_b32 v14, 0x8000, v14, v71
	v_and_or_b32 v13, 0x380, v13, v14
	s_delay_alu instid0(VALU_DEP_1)
	v_cvt_f32_f16_e32 v71, v13
.LBB346_845:                            ;   in Loop: Header=BB346_806 Depth=1
	s_or_b32 exec_lo, exec_lo, s13
.LBB346_846:                            ;   in Loop: Header=BB346_806 Depth=1
	s_delay_alu instid0(SALU_CYCLE_1)
	s_or_b32 exec_lo, exec_lo, s12
.LBB346_847:                            ;   in Loop: Header=BB346_806 Depth=1
	s_delay_alu instid0(SALU_CYCLE_1) | instskip(SKIP_2) | instid1(VALU_DEP_1)
	s_or_b32 exec_lo, exec_lo, s0
	v_lshrrev_b16 v0, 8, v0
	s_mov_b32 s0, exec_lo
	v_cmpx_ne_u16_e32 0, v0
	s_cbranch_execz .LBB346_855
; %bb.848:                              ;   in Loop: Header=BB346_806 Depth=1
	v_bfrev_b32_e32 v83, 1
	s_mov_b32 s12, exec_lo
	v_cmpx_ne_u16_e32 0x80, v0
	s_cbranch_execz .LBB346_854
; %bb.849:                              ;   in Loop: Header=BB346_806 Depth=1
	v_and_b32_e32 v84, 0xffff, v0
	v_mov_b32_e32 v83, 0x7fc02000
	s_mov_b32 s13, exec_lo
	s_delay_alu instid0(VALU_DEP_2) | instskip(NEXT) | instid1(VALU_DEP_1)
	v_and_b32_e32 v13, 0x7f, v84
	v_cmpx_ne_u32_e32 0x7f, v13
	s_cbranch_execz .LBB346_853
; %bb.850:                              ;   in Loop: Header=BB346_806 Depth=1
	v_and_b32_e32 v0, 7, v84
	v_lshrrev_b32_e32 v83, 3, v13
	v_cmp_gt_u32_e32 vcc_lo, 8, v13
	s_delay_alu instid0(VALU_DEP_3)
	v_dual_mov_b32 v14, v1 :: v_dual_mov_b32 v13, v0
	s_and_saveexec_b32 s15, vcc_lo
; %bb.851:                              ;   in Loop: Header=BB346_806 Depth=1
	v_clz_i32_u32_e32 v13, v0
	s_delay_alu instid0(VALU_DEP_1) | instskip(NEXT) | instid1(VALU_DEP_1)
	v_min_u32_e32 v83, 32, v13
	v_subrev_nc_u32_e32 v13, 28, v83
	v_sub_nc_u32_e32 v83, 29, v83
	s_delay_alu instid0(VALU_DEP_2) | instskip(NEXT) | instid1(VALU_DEP_1)
	v_lshlrev_b64 v[13:14], v13, v[0:1]
	v_and_b32_e32 v13, 7, v13
; %bb.852:                              ;   in Loop: Header=BB346_806 Depth=1
	s_or_b32 exec_lo, exec_lo, s15
	v_lshlrev_b32_e32 v0, 8, v84
	v_lshl_add_u32 v14, v83, 10, 0x2000
	s_delay_alu instid0(VALU_DEP_1) | instskip(NEXT) | instid1(VALU_DEP_1)
	v_and_or_b32 v0, 0x8000, v0, v14
	v_lshl_or_b32 v0, v13, 7, v0
	s_delay_alu instid0(VALU_DEP_1)
	v_cvt_f32_f16_e32 v83, v0
.LBB346_853:                            ;   in Loop: Header=BB346_806 Depth=1
	s_or_b32 exec_lo, exec_lo, s13
.LBB346_854:                            ;   in Loop: Header=BB346_806 Depth=1
	s_delay_alu instid0(SALU_CYCLE_1)
	s_or_b32 exec_lo, exec_lo, s12
.LBB346_855:                            ;   in Loop: Header=BB346_806 Depth=1
	s_delay_alu instid0(SALU_CYCLE_1) | instskip(SKIP_3) | instid1(VALU_DEP_2)
	s_or_b32 exec_lo, exec_lo, s0
	v_lshrrev_b32_e32 v98, 16, v12
	v_mov_b32_e32 v84, 0
	s_mov_b32 s0, exec_lo
	v_dual_mov_b32 v13, 0 :: v_dual_and_b32 v0, 0xff, v98
	s_delay_alu instid0(VALU_DEP_1)
	v_cmpx_ne_u16_e32 0, v0
	s_cbranch_execz .LBB346_863
; %bb.856:                              ;   in Loop: Header=BB346_806 Depth=1
	v_bfrev_b32_e32 v13, 1
	s_mov_b32 s12, exec_lo
	v_cmpx_ne_u16_e32 0x80, v0
	s_cbranch_execz .LBB346_862
; %bb.857:                              ;   in Loop: Header=BB346_806 Depth=1
	v_bfe_u32 v14, v12, 16, 7
	v_mov_b32_e32 v13, 0x7fc02000
	s_mov_b32 s13, exec_lo
	s_delay_alu instid0(VALU_DEP_2)
	v_cmpx_ne_u32_e32 0x7f, v14
	s_cbranch_execz .LBB346_861
; %bb.858:                              ;   in Loop: Header=BB346_806 Depth=1
	v_and_b32_e32 v0, 7, v98
	v_lshrrev_b32_e32 v99, 3, v14
	v_cmp_gt_u32_e32 vcc_lo, 8, v14
	s_delay_alu instid0(VALU_DEP_3)
	v_dual_mov_b32 v14, v1 :: v_dual_mov_b32 v13, v0
	s_and_saveexec_b32 s15, vcc_lo
; %bb.859:                              ;   in Loop: Header=BB346_806 Depth=1
	v_clz_i32_u32_e32 v13, v0
	s_delay_alu instid0(VALU_DEP_1) | instskip(NEXT) | instid1(VALU_DEP_1)
	v_min_u32_e32 v99, 32, v13
	v_subrev_nc_u32_e32 v13, 28, v99
	v_sub_nc_u32_e32 v99, 29, v99
	s_delay_alu instid0(VALU_DEP_2) | instskip(NEXT) | instid1(VALU_DEP_1)
	v_lshlrev_b64 v[13:14], v13, v[0:1]
	v_and_b32_e32 v13, 7, v13
; %bb.860:                              ;   in Loop: Header=BB346_806 Depth=1
	s_or_b32 exec_lo, exec_lo, s15
	v_lshlrev_b32_e32 v0, 8, v98
	v_lshl_add_u32 v14, v99, 10, 0x2000
	s_delay_alu instid0(VALU_DEP_1) | instskip(NEXT) | instid1(VALU_DEP_1)
	v_and_or_b32 v0, 0x8000, v0, v14
	v_lshl_or_b32 v0, v13, 7, v0
	s_delay_alu instid0(VALU_DEP_1)
	v_cvt_f32_f16_e32 v13, v0
.LBB346_861:                            ;   in Loop: Header=BB346_806 Depth=1
	s_or_b32 exec_lo, exec_lo, s13
.LBB346_862:                            ;   in Loop: Header=BB346_806 Depth=1
	s_delay_alu instid0(SALU_CYCLE_1)
	s_or_b32 exec_lo, exec_lo, s12
.LBB346_863:                            ;   in Loop: Header=BB346_806 Depth=1
	s_delay_alu instid0(SALU_CYCLE_1) | instskip(NEXT) | instid1(SALU_CYCLE_1)
	s_or_b32 exec_lo, exec_lo, s0
	s_mov_b32 s0, exec_lo
	v_cmpx_lt_u64_e64 s[8:9], v[11:12]
	s_cbranch_execz .LBB346_871
; %bb.864:                              ;   in Loop: Header=BB346_806 Depth=1
	v_lshrrev_b32_e32 v14, 24, v12
	v_bfrev_b32_e32 v84, 1
	s_mov_b32 s12, exec_lo
	s_delay_alu instid0(VALU_DEP_2)
	v_cmpx_ne_u32_e32 0x80, v14
	s_cbranch_execz .LBB346_870
; %bb.865:                              ;   in Loop: Header=BB346_806 Depth=1
	v_and_b32_e32 v11, 0x7f, v14
	v_mov_b32_e32 v84, 0x7fc02000
	s_mov_b32 s13, exec_lo
	s_delay_alu instid0(VALU_DEP_2)
	v_cmpx_ne_u32_e32 0x7f, v11
	s_cbranch_execz .LBB346_869
; %bb.866:                              ;   in Loop: Header=BB346_806 Depth=1
	v_and_b32_e32 v0, 7, v14
	v_lshrrev_b32_e32 v84, 3, v11
	v_cmp_gt_u32_e32 vcc_lo, 8, v11
	s_delay_alu instid0(VALU_DEP_3)
	v_dual_mov_b32 v12, v1 :: v_dual_mov_b32 v11, v0
	s_and_saveexec_b32 s15, vcc_lo
; %bb.867:                              ;   in Loop: Header=BB346_806 Depth=1
	v_clz_i32_u32_e32 v11, v0
	s_delay_alu instid0(VALU_DEP_1) | instskip(NEXT) | instid1(VALU_DEP_1)
	v_min_u32_e32 v84, 32, v11
	v_subrev_nc_u32_e32 v11, 28, v84
	v_sub_nc_u32_e32 v84, 29, v84
	s_delay_alu instid0(VALU_DEP_2) | instskip(NEXT) | instid1(VALU_DEP_1)
	v_lshlrev_b64 v[11:12], v11, v[0:1]
	v_and_b32_e32 v11, 7, v11
; %bb.868:                              ;   in Loop: Header=BB346_806 Depth=1
	s_or_b32 exec_lo, exec_lo, s15
	v_lshlrev_b32_e32 v0, 8, v14
	v_lshl_add_u32 v12, v84, 10, 0x2000
	s_delay_alu instid0(VALU_DEP_1) | instskip(NEXT) | instid1(VALU_DEP_1)
	v_and_or_b32 v0, 0x8000, v0, v12
	v_lshl_or_b32 v0, v11, 7, v0
	s_delay_alu instid0(VALU_DEP_1)
	v_cvt_f32_f16_e32 v84, v0
.LBB346_869:                            ;   in Loop: Header=BB346_806 Depth=1
	s_or_b32 exec_lo, exec_lo, s13
.LBB346_870:                            ;   in Loop: Header=BB346_806 Depth=1
	s_delay_alu instid0(SALU_CYCLE_1)
	s_or_b32 exec_lo, exec_lo, s12
.LBB346_871:                            ;   in Loop: Header=BB346_806 Depth=1
	s_delay_alu instid0(SALU_CYCLE_1)
	s_or_b32 exec_lo, exec_lo, s0
	s_waitcnt vmcnt(0) lgkmcnt(0)
	v_fma_mixlo_f16 v12, v64, v19, 0
	v_fma_mixlo_f16 v0, v64, v70, 0
	;; [unrolled: 1-line block ×5, first 2 shown]
	v_lshlrev_b32_e32 v14, 16, v12
	v_fma_mixlo_f16 v12, v64, v68, 0
	v_fma_mixlo_f16 v68, v64, v83, 0
	;; [unrolled: 1-line block ×3, first 2 shown]
	v_add_nc_u32_e32 v19, v17, v23
	v_lshlrev_b32_e32 v0, 16, v0
	v_and_b32_e32 v11, 0xffff, v11
	v_and_b32_e32 v64, 0xffff, v12
	v_lshlrev_b32_e32 v68, 16, v68
	v_and_b32_e32 v69, 0xffff, v69
	v_lshlrev_b32_e32 v70, 16, v70
	v_and_b32_e32 v71, 0xffff, v13
	v_cmp_eq_u32_e32 vcc_lo, v54, v16
	v_or_b32_e32 v12, v0, v11
	v_or_b32_e32 v14, v14, v64
	;; [unrolled: 1-line block ×4, first 2 shown]
	v_add_nc_u32_e32 v84, 1, v19
	v_or_b32_e32 v83, 3, v19
	v_or_b32_e32 v71, 2, v19
	;; [unrolled: 1-line block ×6, first 2 shown]
	s_and_saveexec_b32 s12, vcc_lo
	s_cbranch_execz .LBB346_873
; %bb.872:                              ;   in Loop: Header=BB346_806 Depth=1
	v_cmp_lt_i32_e64 s0, v19, v38
	v_lshrrev_b32_e32 v98, 16, v14
	v_lshrrev_b32_e32 v99, 16, v12
	;; [unrolled: 1-line block ×4, first 2 shown]
	v_cndmask_b32_e64 v14, 0, v14, s0
	v_cmp_lt_i32_e64 s0, v84, v55
	s_delay_alu instid0(VALU_DEP_1) | instskip(SKIP_1) | instid1(VALU_DEP_2)
	v_cndmask_b32_e64 v98, 0, v98, s0
	v_cmp_lt_i32_e64 s0, v83, v55
	v_perm_b32 v14, v98, v14, 0x5040100
	s_delay_alu instid0(VALU_DEP_2) | instskip(SKIP_1) | instid1(VALU_DEP_1)
	v_cndmask_b32_e64 v99, 0, v99, s0
	v_cmp_lt_i32_e64 s0, v71, v38
	v_cndmask_b32_e64 v12, 0, v12, s0
	v_cmp_lt_i32_e64 s0, v70, v55
	s_delay_alu instid0(VALU_DEP_2) | instskip(NEXT) | instid1(VALU_DEP_2)
	v_perm_b32 v12, v99, v12, 0x5040100
	v_cndmask_b32_e64 v100, 0, v100, s0
	v_cmp_lt_i32_e64 s0, v69, v38
	s_delay_alu instid0(VALU_DEP_1) | instskip(SKIP_1) | instid1(VALU_DEP_2)
	v_cndmask_b32_e64 v0, 0, v0, s0
	v_cmp_lt_i32_e64 s0, v68, v55
	v_perm_b32 v0, v100, v0, 0x5040100
	s_delay_alu instid0(VALU_DEP_2) | instskip(SKIP_1) | instid1(VALU_DEP_1)
	v_cndmask_b32_e64 v11, 0, v11, s0
	v_cmp_lt_i32_e64 s0, v64, v38
	v_cndmask_b32_e64 v13, 0, v13, s0
	s_delay_alu instid0(VALU_DEP_1)
	v_perm_b32 v11, v11, v13, 0x5040100
.LBB346_873:                            ;   in Loop: Header=BB346_806 Depth=1
	s_or_b32 exec_lo, exec_lo, s12
	v_and_b32_e32 v13, 0xffff, v80
	v_and_b32_e32 v80, 0xffff, v86
	;; [unrolled: 1-line block ×4, first 2 shown]
	s_mov_b32 s12, exec_lo
	s_delay_alu instid0(VALU_DEP_3) | instskip(NEXT) | instid1(VALU_DEP_3)
	v_lshl_or_b32 v86, v82, 16, v80
	v_lshl_or_b32 v85, v85, 16, v98
	v_mov_b32_e32 v98, 0
	v_lshl_or_b32 v87, v81, 16, v13
	;;#ASMSTART
	v_pk_mul_f16 v13, v87, v14;

	;;#ASMEND
	;;#ASMSTART
	v_pk_mul_f16 v12, v86, v12;

	;;#ASMEND
	;; [unrolled: 4-line block ×3, first 2 shown]
	v_lshl_or_b32 v82, v96, 16, v97
	v_mov_b32_e32 v97, 0
	;;#ASMSTART
	v_pk_mul_f16 v11, v82, v11;

	;;#ASMEND
	;;#ASMSTART
	v_pk_add_f16 v12, v13, v12;

	;;#ASMEND
	;;#ASMSTART
	v_pk_add_f16 v0, v12, v0;
	;; [unrolled: 4-line block ×3, first 2 shown]

	;;#ASMEND
	v_and_b32_e32 v11, 0xffff, v0
	v_lshrrev_b32_e32 v0, 16, v0
	;;#ASMSTART
	v_cvt_f32_f16 v80, v11;
	;;#ASMEND
	;;#ASMSTART
	v_cvt_f32_f16 v81, v0;
	;;#ASMEND
	flat_load_b64 v[11:12], v[9:10] offset:256
	flat_load_b32 v96, v[26:27]
	s_waitcnt vmcnt(1) lgkmcnt(1)
	v_and_b32_e32 v0, 0xff, v11
	s_delay_alu instid0(VALU_DEP_1)
	v_cmpx_ne_u16_e32 0, v0
	s_cbranch_execz .LBB346_881
; %bb.874:                              ;   in Loop: Header=BB346_806 Depth=1
	v_bfrev_b32_e32 v97, 1
	s_mov_b32 s13, exec_lo
	v_cmpx_ne_u16_e32 0x80, v0
	s_cbranch_execz .LBB346_880
; %bb.875:                              ;   in Loop: Header=BB346_806 Depth=1
	v_and_b32_e32 v13, 0x7f, v11
	v_mov_b32_e32 v97, 0x7fc02000
	s_mov_b32 s15, exec_lo
	s_delay_alu instid0(VALU_DEP_2)
	v_cmpx_ne_u32_e32 0x7f, v13
	s_cbranch_execz .LBB346_879
; %bb.876:                              ;   in Loop: Header=BB346_806 Depth=1
	v_lshrrev_b32_e32 v0, 3, v13
	v_cmp_gt_u32_e64 s0, 8, v13
	v_dual_mov_b32 v14, v12 :: v_dual_mov_b32 v13, v11
	s_delay_alu instid0(VALU_DEP_2)
	s_and_saveexec_b32 s16, s0
; %bb.877:                              ;   in Loop: Header=BB346_806 Depth=1
	v_and_b32_e32 v0, 7, v11
	s_delay_alu instid0(VALU_DEP_1) | instskip(NEXT) | instid1(VALU_DEP_1)
	v_clz_i32_u32_e32 v0, v0
	v_min_u32_e32 v0, 32, v0
	s_delay_alu instid0(VALU_DEP_1) | instskip(SKIP_1) | instid1(VALU_DEP_2)
	v_subrev_nc_u32_e32 v13, 28, v0
	v_sub_nc_u32_e32 v0, 29, v0
	v_lshlrev_b64 v[13:14], v13, v[11:12]
; %bb.878:                              ;   in Loop: Header=BB346_806 Depth=1
	s_or_b32 exec_lo, exec_lo, s16
	v_lshlrev_b32_e32 v14, 8, v11
	s_delay_alu instid0(VALU_DEP_3) | instskip(NEXT) | instid1(VALU_DEP_3)
	v_lshl_add_u32 v0, v0, 10, 0x2000
	v_lshlrev_b32_e32 v13, 7, v13
	s_delay_alu instid0(VALU_DEP_2) | instskip(NEXT) | instid1(VALU_DEP_1)
	v_and_or_b32 v0, 0x8000, v14, v0
	v_and_or_b32 v0, 0x380, v13, v0
	s_delay_alu instid0(VALU_DEP_1)
	v_cvt_f32_f16_e32 v97, v0
.LBB346_879:                            ;   in Loop: Header=BB346_806 Depth=1
	s_or_b32 exec_lo, exec_lo, s15
.LBB346_880:                            ;   in Loop: Header=BB346_806 Depth=1
	s_delay_alu instid0(SALU_CYCLE_1)
	s_or_b32 exec_lo, exec_lo, s13
.LBB346_881:                            ;   in Loop: Header=BB346_806 Depth=1
	s_delay_alu instid0(SALU_CYCLE_1) | instskip(SKIP_2) | instid1(VALU_DEP_1)
	s_or_b32 exec_lo, exec_lo, s12
	v_lshrrev_b16 v0, 8, v11
	s_mov_b32 s12, exec_lo
	v_cmpx_ne_u16_e32 0, v0
	s_cbranch_execz .LBB346_889
; %bb.882:                              ;   in Loop: Header=BB346_806 Depth=1
	v_bfrev_b32_e32 v98, 1
	s_mov_b32 s13, exec_lo
	v_cmpx_ne_u16_e32 0x80, v0
	s_cbranch_execz .LBB346_888
; %bb.883:                              ;   in Loop: Header=BB346_806 Depth=1
	v_and_b32_e32 v99, 0xffff, v0
	v_mov_b32_e32 v98, 0x7fc02000
	s_mov_b32 s15, exec_lo
	s_delay_alu instid0(VALU_DEP_2) | instskip(NEXT) | instid1(VALU_DEP_1)
	v_and_b32_e32 v13, 0x7f, v99
	v_cmpx_ne_u32_e32 0x7f, v13
	s_cbranch_execz .LBB346_887
; %bb.884:                              ;   in Loop: Header=BB346_806 Depth=1
	v_and_b32_e32 v0, 7, v99
	v_lshrrev_b32_e32 v98, 3, v13
	v_cmp_gt_u32_e64 s0, 8, v13
	s_delay_alu instid0(VALU_DEP_3) | instskip(NEXT) | instid1(VALU_DEP_2)
	v_dual_mov_b32 v14, v1 :: v_dual_mov_b32 v13, v0
	s_and_saveexec_b32 s16, s0
; %bb.885:                              ;   in Loop: Header=BB346_806 Depth=1
	v_clz_i32_u32_e32 v13, v0
	s_delay_alu instid0(VALU_DEP_1) | instskip(NEXT) | instid1(VALU_DEP_1)
	v_min_u32_e32 v98, 32, v13
	v_subrev_nc_u32_e32 v13, 28, v98
	v_sub_nc_u32_e32 v98, 29, v98
	s_delay_alu instid0(VALU_DEP_2) | instskip(NEXT) | instid1(VALU_DEP_1)
	v_lshlrev_b64 v[13:14], v13, v[0:1]
	v_and_b32_e32 v13, 7, v13
; %bb.886:                              ;   in Loop: Header=BB346_806 Depth=1
	s_or_b32 exec_lo, exec_lo, s16
	v_lshlrev_b32_e32 v0, 8, v99
	v_lshl_add_u32 v14, v98, 10, 0x2000
	s_delay_alu instid0(VALU_DEP_1) | instskip(NEXT) | instid1(VALU_DEP_1)
	v_and_or_b32 v0, 0x8000, v0, v14
	v_lshl_or_b32 v0, v13, 7, v0
	s_delay_alu instid0(VALU_DEP_1)
	v_cvt_f32_f16_e32 v98, v0
.LBB346_887:                            ;   in Loop: Header=BB346_806 Depth=1
	s_or_b32 exec_lo, exec_lo, s15
.LBB346_888:                            ;   in Loop: Header=BB346_806 Depth=1
	s_delay_alu instid0(SALU_CYCLE_1)
	s_or_b32 exec_lo, exec_lo, s13
.LBB346_889:                            ;   in Loop: Header=BB346_806 Depth=1
	s_delay_alu instid0(SALU_CYCLE_1) | instskip(SKIP_3) | instid1(VALU_DEP_2)
	s_or_b32 exec_lo, exec_lo, s12
	v_lshrrev_b32_e32 v101, 16, v11
	v_mov_b32_e32 v100, 0
	s_mov_b32 s12, exec_lo
	v_dual_mov_b32 v99, 0 :: v_dual_and_b32 v0, 0xff, v101
	s_delay_alu instid0(VALU_DEP_1)
	v_cmpx_ne_u16_e32 0, v0
	s_cbranch_execz .LBB346_897
; %bb.890:                              ;   in Loop: Header=BB346_806 Depth=1
	v_bfrev_b32_e32 v99, 1
	s_mov_b32 s13, exec_lo
	v_cmpx_ne_u16_e32 0x80, v0
	s_cbranch_execz .LBB346_896
; %bb.891:                              ;   in Loop: Header=BB346_806 Depth=1
	v_bfe_u32 v13, v11, 16, 7
	v_mov_b32_e32 v99, 0x7fc02000
	s_mov_b32 s15, exec_lo
	s_delay_alu instid0(VALU_DEP_2)
	v_cmpx_ne_u32_e32 0x7f, v13
	s_cbranch_execz .LBB346_895
; %bb.892:                              ;   in Loop: Header=BB346_806 Depth=1
	v_and_b32_e32 v0, 7, v101
	v_lshrrev_b32_e32 v99, 3, v13
	v_cmp_gt_u32_e64 s0, 8, v13
	s_delay_alu instid0(VALU_DEP_3) | instskip(NEXT) | instid1(VALU_DEP_2)
	v_dual_mov_b32 v14, v1 :: v_dual_mov_b32 v13, v0
	s_and_saveexec_b32 s16, s0
; %bb.893:                              ;   in Loop: Header=BB346_806 Depth=1
	v_clz_i32_u32_e32 v13, v0
	s_delay_alu instid0(VALU_DEP_1) | instskip(NEXT) | instid1(VALU_DEP_1)
	v_min_u32_e32 v99, 32, v13
	v_subrev_nc_u32_e32 v13, 28, v99
	v_sub_nc_u32_e32 v99, 29, v99
	s_delay_alu instid0(VALU_DEP_2) | instskip(NEXT) | instid1(VALU_DEP_1)
	v_lshlrev_b64 v[13:14], v13, v[0:1]
	v_and_b32_e32 v13, 7, v13
; %bb.894:                              ;   in Loop: Header=BB346_806 Depth=1
	s_or_b32 exec_lo, exec_lo, s16
	v_lshlrev_b32_e32 v0, 8, v101
	v_lshl_add_u32 v14, v99, 10, 0x2000
	s_delay_alu instid0(VALU_DEP_1) | instskip(NEXT) | instid1(VALU_DEP_1)
	v_and_or_b32 v0, 0x8000, v0, v14
	v_lshl_or_b32 v0, v13, 7, v0
	s_delay_alu instid0(VALU_DEP_1)
	v_cvt_f32_f16_e32 v99, v0
.LBB346_895:                            ;   in Loop: Header=BB346_806 Depth=1
	s_or_b32 exec_lo, exec_lo, s15
.LBB346_896:                            ;   in Loop: Header=BB346_806 Depth=1
	s_delay_alu instid0(SALU_CYCLE_1)
	s_or_b32 exec_lo, exec_lo, s13
.LBB346_897:                            ;   in Loop: Header=BB346_806 Depth=1
	s_delay_alu instid0(SALU_CYCLE_1) | instskip(NEXT) | instid1(SALU_CYCLE_1)
	s_or_b32 exec_lo, exec_lo, s12
	s_mov_b32 s12, exec_lo
	v_cmpx_lt_u32_e32 0xffffff, v11
	s_cbranch_execz .LBB346_905
; %bb.898:                              ;   in Loop: Header=BB346_806 Depth=1
	v_lshrrev_b32_e32 v101, 24, v11
	v_bfrev_b32_e32 v100, 1
	s_mov_b32 s13, exec_lo
	s_delay_alu instid0(VALU_DEP_2)
	v_cmpx_ne_u32_e32 0x80, v101
	s_cbranch_execz .LBB346_904
; %bb.899:                              ;   in Loop: Header=BB346_806 Depth=1
	v_and_b32_e32 v13, 0x7f, v101
	v_mov_b32_e32 v100, 0x7fc02000
	s_mov_b32 s15, exec_lo
	s_delay_alu instid0(VALU_DEP_2)
	v_cmpx_ne_u32_e32 0x7f, v13
	s_cbranch_execz .LBB346_903
; %bb.900:                              ;   in Loop: Header=BB346_806 Depth=1
	v_and_b32_e32 v0, 7, v101
	v_lshrrev_b32_e32 v100, 3, v13
	v_cmp_gt_u32_e64 s0, 8, v13
	s_delay_alu instid0(VALU_DEP_3) | instskip(NEXT) | instid1(VALU_DEP_2)
	v_dual_mov_b32 v14, v1 :: v_dual_mov_b32 v13, v0
	s_and_saveexec_b32 s16, s0
; %bb.901:                              ;   in Loop: Header=BB346_806 Depth=1
	v_clz_i32_u32_e32 v13, v0
	s_delay_alu instid0(VALU_DEP_1) | instskip(NEXT) | instid1(VALU_DEP_1)
	v_min_u32_e32 v100, 32, v13
	v_subrev_nc_u32_e32 v13, 28, v100
	v_sub_nc_u32_e32 v100, 29, v100
	s_delay_alu instid0(VALU_DEP_2) | instskip(NEXT) | instid1(VALU_DEP_1)
	v_lshlrev_b64 v[13:14], v13, v[0:1]
	v_and_b32_e32 v13, 7, v13
; %bb.902:                              ;   in Loop: Header=BB346_806 Depth=1
	s_or_b32 exec_lo, exec_lo, s16
	v_lshlrev_b32_e32 v0, 8, v101
	v_lshl_add_u32 v14, v100, 10, 0x2000
	s_delay_alu instid0(VALU_DEP_1) | instskip(NEXT) | instid1(VALU_DEP_1)
	v_and_or_b32 v0, 0x8000, v0, v14
	v_lshl_or_b32 v0, v13, 7, v0
	s_delay_alu instid0(VALU_DEP_1)
	v_cvt_f32_f16_e32 v100, v0
.LBB346_903:                            ;   in Loop: Header=BB346_806 Depth=1
	s_or_b32 exec_lo, exec_lo, s15
.LBB346_904:                            ;   in Loop: Header=BB346_806 Depth=1
	s_delay_alu instid0(SALU_CYCLE_1)
	s_or_b32 exec_lo, exec_lo, s13
.LBB346_905:                            ;   in Loop: Header=BB346_806 Depth=1
	s_delay_alu instid0(SALU_CYCLE_1) | instskip(SKIP_3) | instid1(VALU_DEP_2)
	s_or_b32 exec_lo, exec_lo, s12
	v_dual_mov_b32 v0, v12 :: v_dual_and_b32 v13, 0xff, v12
	v_dual_mov_b32 v102, 0 :: v_dual_mov_b32 v101, 0
	s_mov_b32 s12, exec_lo
	v_cmpx_ne_u16_e32 0, v13
	s_cbranch_execz .LBB346_913
; %bb.906:                              ;   in Loop: Header=BB346_806 Depth=1
	v_bfrev_b32_e32 v101, 1
	s_mov_b32 s13, exec_lo
	v_cmpx_ne_u16_e32 0x80, v13
	s_cbranch_execz .LBB346_912
; %bb.907:                              ;   in Loop: Header=BB346_806 Depth=1
	v_and_b32_e32 v13, 0x7f, v12
	v_mov_b32_e32 v101, 0x7fc02000
	s_mov_b32 s15, exec_lo
	s_delay_alu instid0(VALU_DEP_2)
	v_cmpx_ne_u32_e32 0x7f, v13
	s_cbranch_execz .LBB346_911
; %bb.908:                              ;   in Loop: Header=BB346_806 Depth=1
	v_lshrrev_b32_e32 v101, 3, v13
	v_cmp_gt_u32_e64 s0, 8, v13
	v_dual_mov_b32 v14, v1 :: v_dual_mov_b32 v13, v0
	s_delay_alu instid0(VALU_DEP_2)
	s_and_saveexec_b32 s16, s0
; %bb.909:                              ;   in Loop: Header=BB346_806 Depth=1
	v_and_b32_e32 v13, 7, v12
	s_delay_alu instid0(VALU_DEP_1) | instskip(NEXT) | instid1(VALU_DEP_1)
	v_clz_i32_u32_e32 v13, v13
	v_min_u32_e32 v101, 32, v13
	s_delay_alu instid0(VALU_DEP_1) | instskip(SKIP_1) | instid1(VALU_DEP_2)
	v_subrev_nc_u32_e32 v13, 28, v101
	v_sub_nc_u32_e32 v101, 29, v101
	v_lshlrev_b64 v[13:14], v13, v[0:1]
; %bb.910:                              ;   in Loop: Header=BB346_806 Depth=1
	s_or_b32 exec_lo, exec_lo, s16
	v_lshlrev_b32_e32 v14, 8, v12
	s_delay_alu instid0(VALU_DEP_3) | instskip(NEXT) | instid1(VALU_DEP_3)
	v_lshl_add_u32 v101, v101, 10, 0x2000
	v_lshlrev_b32_e32 v13, 7, v13
	s_delay_alu instid0(VALU_DEP_2) | instskip(NEXT) | instid1(VALU_DEP_1)
	v_and_or_b32 v14, 0x8000, v14, v101
	v_and_or_b32 v13, 0x380, v13, v14
	s_delay_alu instid0(VALU_DEP_1)
	v_cvt_f32_f16_e32 v101, v13
.LBB346_911:                            ;   in Loop: Header=BB346_806 Depth=1
	s_or_b32 exec_lo, exec_lo, s15
.LBB346_912:                            ;   in Loop: Header=BB346_806 Depth=1
	s_delay_alu instid0(SALU_CYCLE_1)
	s_or_b32 exec_lo, exec_lo, s13
.LBB346_913:                            ;   in Loop: Header=BB346_806 Depth=1
	s_delay_alu instid0(SALU_CYCLE_1) | instskip(SKIP_2) | instid1(VALU_DEP_1)
	s_or_b32 exec_lo, exec_lo, s12
	v_lshrrev_b16 v0, 8, v0
	s_mov_b32 s12, exec_lo
	v_cmpx_ne_u16_e32 0, v0
	s_cbranch_execz .LBB346_921
; %bb.914:                              ;   in Loop: Header=BB346_806 Depth=1
	v_bfrev_b32_e32 v102, 1
	s_mov_b32 s13, exec_lo
	v_cmpx_ne_u16_e32 0x80, v0
	s_cbranch_execz .LBB346_920
; %bb.915:                              ;   in Loop: Header=BB346_806 Depth=1
	v_and_b32_e32 v103, 0xffff, v0
	v_mov_b32_e32 v102, 0x7fc02000
	s_mov_b32 s15, exec_lo
	s_delay_alu instid0(VALU_DEP_2) | instskip(NEXT) | instid1(VALU_DEP_1)
	v_and_b32_e32 v13, 0x7f, v103
	v_cmpx_ne_u32_e32 0x7f, v13
	s_cbranch_execz .LBB346_919
; %bb.916:                              ;   in Loop: Header=BB346_806 Depth=1
	v_and_b32_e32 v0, 7, v103
	v_lshrrev_b32_e32 v102, 3, v13
	v_cmp_gt_u32_e64 s0, 8, v13
	s_delay_alu instid0(VALU_DEP_3) | instskip(NEXT) | instid1(VALU_DEP_2)
	v_dual_mov_b32 v14, v1 :: v_dual_mov_b32 v13, v0
	s_and_saveexec_b32 s16, s0
; %bb.917:                              ;   in Loop: Header=BB346_806 Depth=1
	v_clz_i32_u32_e32 v13, v0
	s_delay_alu instid0(VALU_DEP_1) | instskip(NEXT) | instid1(VALU_DEP_1)
	v_min_u32_e32 v102, 32, v13
	v_subrev_nc_u32_e32 v13, 28, v102
	v_sub_nc_u32_e32 v102, 29, v102
	s_delay_alu instid0(VALU_DEP_2) | instskip(NEXT) | instid1(VALU_DEP_1)
	v_lshlrev_b64 v[13:14], v13, v[0:1]
	v_and_b32_e32 v13, 7, v13
; %bb.918:                              ;   in Loop: Header=BB346_806 Depth=1
	s_or_b32 exec_lo, exec_lo, s16
	v_lshlrev_b32_e32 v0, 8, v103
	v_lshl_add_u32 v14, v102, 10, 0x2000
	s_delay_alu instid0(VALU_DEP_1) | instskip(NEXT) | instid1(VALU_DEP_1)
	v_and_or_b32 v0, 0x8000, v0, v14
	v_lshl_or_b32 v0, v13, 7, v0
	s_delay_alu instid0(VALU_DEP_1)
	v_cvt_f32_f16_e32 v102, v0
.LBB346_919:                            ;   in Loop: Header=BB346_806 Depth=1
	s_or_b32 exec_lo, exec_lo, s15
.LBB346_920:                            ;   in Loop: Header=BB346_806 Depth=1
	s_delay_alu instid0(SALU_CYCLE_1)
	s_or_b32 exec_lo, exec_lo, s13
.LBB346_921:                            ;   in Loop: Header=BB346_806 Depth=1
	s_delay_alu instid0(SALU_CYCLE_1) | instskip(SKIP_3) | instid1(VALU_DEP_2)
	s_or_b32 exec_lo, exec_lo, s12
	v_lshrrev_b32_e32 v112, 16, v12
	v_mov_b32_e32 v13, 0
	s_mov_b32 s12, exec_lo
	v_dual_mov_b32 v103, 0 :: v_dual_and_b32 v0, 0xff, v112
	s_delay_alu instid0(VALU_DEP_1)
	v_cmpx_ne_u16_e32 0, v0
	s_cbranch_execz .LBB346_929
; %bb.922:                              ;   in Loop: Header=BB346_806 Depth=1
	v_bfrev_b32_e32 v13, 1
	s_mov_b32 s13, exec_lo
	v_cmpx_ne_u16_e32 0x80, v0
	s_cbranch_execz .LBB346_928
; %bb.923:                              ;   in Loop: Header=BB346_806 Depth=1
	v_bfe_u32 v14, v12, 16, 7
	v_mov_b32_e32 v13, 0x7fc02000
	s_mov_b32 s15, exec_lo
	s_delay_alu instid0(VALU_DEP_2)
	v_cmpx_ne_u32_e32 0x7f, v14
	s_cbranch_execz .LBB346_927
; %bb.924:                              ;   in Loop: Header=BB346_806 Depth=1
	v_and_b32_e32 v0, 7, v112
	v_lshrrev_b32_e32 v113, 3, v14
	v_cmp_gt_u32_e64 s0, 8, v14
	s_delay_alu instid0(VALU_DEP_3) | instskip(NEXT) | instid1(VALU_DEP_2)
	v_dual_mov_b32 v14, v1 :: v_dual_mov_b32 v13, v0
	s_and_saveexec_b32 s16, s0
; %bb.925:                              ;   in Loop: Header=BB346_806 Depth=1
	v_clz_i32_u32_e32 v13, v0
	s_delay_alu instid0(VALU_DEP_1) | instskip(NEXT) | instid1(VALU_DEP_1)
	v_min_u32_e32 v113, 32, v13
	v_subrev_nc_u32_e32 v13, 28, v113
	v_sub_nc_u32_e32 v113, 29, v113
	s_delay_alu instid0(VALU_DEP_2) | instskip(NEXT) | instid1(VALU_DEP_1)
	v_lshlrev_b64 v[13:14], v13, v[0:1]
	v_and_b32_e32 v13, 7, v13
; %bb.926:                              ;   in Loop: Header=BB346_806 Depth=1
	s_or_b32 exec_lo, exec_lo, s16
	v_lshlrev_b32_e32 v0, 8, v112
	v_lshl_add_u32 v14, v113, 10, 0x2000
	s_delay_alu instid0(VALU_DEP_1) | instskip(NEXT) | instid1(VALU_DEP_1)
	v_and_or_b32 v0, 0x8000, v0, v14
	v_lshl_or_b32 v0, v13, 7, v0
	s_delay_alu instid0(VALU_DEP_1)
	v_cvt_f32_f16_e32 v13, v0
.LBB346_927:                            ;   in Loop: Header=BB346_806 Depth=1
	s_or_b32 exec_lo, exec_lo, s15
.LBB346_928:                            ;   in Loop: Header=BB346_806 Depth=1
	s_delay_alu instid0(SALU_CYCLE_1)
	s_or_b32 exec_lo, exec_lo, s13
.LBB346_929:                            ;   in Loop: Header=BB346_806 Depth=1
	s_delay_alu instid0(SALU_CYCLE_1) | instskip(NEXT) | instid1(SALU_CYCLE_1)
	s_or_b32 exec_lo, exec_lo, s12
	s_mov_b32 s12, exec_lo
	v_cmpx_lt_u64_e64 s[8:9], v[11:12]
	s_cbranch_execz .LBB346_937
; %bb.930:                              ;   in Loop: Header=BB346_806 Depth=1
	v_lshrrev_b32_e32 v14, 24, v12
	v_bfrev_b32_e32 v103, 1
	s_mov_b32 s13, exec_lo
	s_delay_alu instid0(VALU_DEP_2)
	v_cmpx_ne_u32_e32 0x80, v14
	s_cbranch_execz .LBB346_936
; %bb.931:                              ;   in Loop: Header=BB346_806 Depth=1
	v_and_b32_e32 v11, 0x7f, v14
	v_mov_b32_e32 v103, 0x7fc02000
	s_mov_b32 s15, exec_lo
	s_delay_alu instid0(VALU_DEP_2)
	v_cmpx_ne_u32_e32 0x7f, v11
	s_cbranch_execz .LBB346_935
; %bb.932:                              ;   in Loop: Header=BB346_806 Depth=1
	v_and_b32_e32 v0, 7, v14
	v_lshrrev_b32_e32 v103, 3, v11
	v_cmp_gt_u32_e64 s0, 8, v11
	s_delay_alu instid0(VALU_DEP_3) | instskip(NEXT) | instid1(VALU_DEP_2)
	v_dual_mov_b32 v12, v1 :: v_dual_mov_b32 v11, v0
	s_and_saveexec_b32 s16, s0
; %bb.933:                              ;   in Loop: Header=BB346_806 Depth=1
	v_clz_i32_u32_e32 v11, v0
	s_delay_alu instid0(VALU_DEP_1) | instskip(NEXT) | instid1(VALU_DEP_1)
	v_min_u32_e32 v103, 32, v11
	v_subrev_nc_u32_e32 v11, 28, v103
	v_sub_nc_u32_e32 v103, 29, v103
	s_delay_alu instid0(VALU_DEP_2) | instskip(NEXT) | instid1(VALU_DEP_1)
	v_lshlrev_b64 v[11:12], v11, v[0:1]
	v_and_b32_e32 v11, 7, v11
; %bb.934:                              ;   in Loop: Header=BB346_806 Depth=1
	s_or_b32 exec_lo, exec_lo, s16
	v_lshlrev_b32_e32 v0, 8, v14
	v_lshl_add_u32 v12, v103, 10, 0x2000
	s_delay_alu instid0(VALU_DEP_1) | instskip(NEXT) | instid1(VALU_DEP_1)
	v_and_or_b32 v0, 0x8000, v0, v12
	v_lshl_or_b32 v0, v11, 7, v0
	s_delay_alu instid0(VALU_DEP_1)
	v_cvt_f32_f16_e32 v103, v0
.LBB346_935:                            ;   in Loop: Header=BB346_806 Depth=1
	s_or_b32 exec_lo, exec_lo, s15
.LBB346_936:                            ;   in Loop: Header=BB346_806 Depth=1
	s_delay_alu instid0(SALU_CYCLE_1)
	s_or_b32 exec_lo, exec_lo, s13
.LBB346_937:                            ;   in Loop: Header=BB346_806 Depth=1
	s_delay_alu instid0(SALU_CYCLE_1)
	s_or_b32 exec_lo, exec_lo, s12
	s_waitcnt vmcnt(0) lgkmcnt(0)
	v_fma_mixlo_f16 v12, v96, v98, 0
	v_fma_mixlo_f16 v0, v96, v100, 0
	v_fma_mixlo_f16 v11, v96, v99, 0
	v_fma_mixlo_f16 v97, v96, v97, 0
	v_fma_mixlo_f16 v98, v96, v102, 0
	v_lshlrev_b32_e32 v14, 16, v12
	v_fma_mixlo_f16 v99, v96, v101, 0
	v_fma_mixlo_f16 v100, v96, v103, 0
	;; [unrolled: 1-line block ×3, first 2 shown]
	v_lshlrev_b32_e32 v0, 16, v0
	v_and_b32_e32 v11, 0xffff, v11
	v_and_b32_e32 v96, 0xffff, v97
	v_lshlrev_b32_e32 v97, 16, v98
	v_and_b32_e32 v98, 0xffff, v99
	v_lshlrev_b32_e32 v99, 16, v100
	v_and_b32_e32 v100, 0xffff, v12
	v_or_b32_e32 v13, v0, v11
	v_or_b32_e32 v14, v14, v96
	;; [unrolled: 1-line block ×3, first 2 shown]
	s_delay_alu instid0(VALU_DEP_4)
	v_or_b32_e32 v11, v99, v100
	s_and_saveexec_b32 s12, vcc_lo
	s_cbranch_execz .LBB346_939
; %bb.938:                              ;   in Loop: Header=BB346_806 Depth=1
	v_cmp_lt_i32_e64 s0, v19, v38
	v_lshrrev_b32_e32 v96, 16, v14
	v_lshrrev_b32_e32 v97, 16, v13
	;; [unrolled: 1-line block ×4, first 2 shown]
	v_cndmask_b32_e64 v14, 0, v14, s0
	v_cmp_lt_i32_e64 s0, v84, v55
	s_delay_alu instid0(VALU_DEP_1) | instskip(SKIP_1) | instid1(VALU_DEP_2)
	v_cndmask_b32_e64 v96, 0, v96, s0
	v_cmp_lt_i32_e64 s0, v83, v55
	v_perm_b32 v14, v96, v14, 0x5040100
	s_delay_alu instid0(VALU_DEP_2) | instskip(SKIP_1) | instid1(VALU_DEP_1)
	v_cndmask_b32_e64 v97, 0, v97, s0
	v_cmp_lt_i32_e64 s0, v71, v38
	v_cndmask_b32_e64 v13, 0, v13, s0
	v_cmp_lt_i32_e64 s0, v70, v55
	s_delay_alu instid0(VALU_DEP_2) | instskip(NEXT) | instid1(VALU_DEP_2)
	v_perm_b32 v13, v97, v13, 0x5040100
	v_cndmask_b32_e64 v98, 0, v98, s0
	v_cmp_lt_i32_e64 s0, v69, v38
	s_delay_alu instid0(VALU_DEP_1) | instskip(SKIP_1) | instid1(VALU_DEP_2)
	v_cndmask_b32_e64 v0, 0, v0, s0
	v_cmp_lt_i32_e64 s0, v68, v55
	v_perm_b32 v0, v98, v0, 0x5040100
	s_delay_alu instid0(VALU_DEP_2) | instskip(SKIP_1) | instid1(VALU_DEP_1)
	v_cndmask_b32_e64 v11, 0, v11, s0
	v_cmp_lt_i32_e64 s0, v64, v38
	v_cndmask_b32_e64 v12, 0, v12, s0
	s_delay_alu instid0(VALU_DEP_1)
	v_perm_b32 v11, v11, v12, 0x5040100
.LBB346_939:                            ;   in Loop: Header=BB346_806 Depth=1
	s_or_b32 exec_lo, exec_lo, s12
	;;#ASMSTART
	v_pk_mul_f16 v12, v87, v14;

	;;#ASMEND
	;;#ASMSTART
	v_pk_mul_f16 v13, v86, v13;

	;;#ASMEND
	;; [unrolled: 4-line block ×4, first 2 shown]
	;;#ASMSTART
	v_pk_add_f16 v12, v12, v13;

	;;#ASMEND
	;;#ASMSTART
	v_pk_add_f16 v0, v12, v0;

	;;#ASMEND
	;; [unrolled: 4-line block ×3, first 2 shown]
	v_dual_mov_b32 v100, 0 :: v_dual_and_b32 v11, 0xffff, v0
	v_lshrrev_b32_e32 v0, 16, v0
	;;#ASMSTART
	v_cvt_f32_f16 v96, v11;
	;;#ASMEND
	;;#ASMSTART
	v_cvt_f32_f16 v97, v0;
	;;#ASMEND
	flat_load_b64 v[11:12], v[9:10] offset:512
	flat_load_b32 v98, v[26:27]
	s_mov_b32 s12, exec_lo
	s_waitcnt vmcnt(1) lgkmcnt(1)
	v_dual_mov_b32 v99, 0 :: v_dual_and_b32 v0, 0xff, v11
	s_delay_alu instid0(VALU_DEP_1)
	v_cmpx_ne_u16_e32 0, v0
	s_cbranch_execz .LBB346_947
; %bb.940:                              ;   in Loop: Header=BB346_806 Depth=1
	v_bfrev_b32_e32 v99, 1
	s_mov_b32 s13, exec_lo
	v_cmpx_ne_u16_e32 0x80, v0
	s_cbranch_execz .LBB346_946
; %bb.941:                              ;   in Loop: Header=BB346_806 Depth=1
	v_and_b32_e32 v13, 0x7f, v11
	v_mov_b32_e32 v99, 0x7fc02000
	s_mov_b32 s15, exec_lo
	s_delay_alu instid0(VALU_DEP_2)
	v_cmpx_ne_u32_e32 0x7f, v13
	s_cbranch_execz .LBB346_945
; %bb.942:                              ;   in Loop: Header=BB346_806 Depth=1
	v_lshrrev_b32_e32 v0, 3, v13
	v_cmp_gt_u32_e64 s0, 8, v13
	v_dual_mov_b32 v14, v12 :: v_dual_mov_b32 v13, v11
	s_delay_alu instid0(VALU_DEP_2)
	s_and_saveexec_b32 s16, s0
; %bb.943:                              ;   in Loop: Header=BB346_806 Depth=1
	v_and_b32_e32 v0, 7, v11
	s_delay_alu instid0(VALU_DEP_1) | instskip(NEXT) | instid1(VALU_DEP_1)
	v_clz_i32_u32_e32 v0, v0
	v_min_u32_e32 v0, 32, v0
	s_delay_alu instid0(VALU_DEP_1) | instskip(SKIP_1) | instid1(VALU_DEP_2)
	v_subrev_nc_u32_e32 v13, 28, v0
	v_sub_nc_u32_e32 v0, 29, v0
	v_lshlrev_b64 v[13:14], v13, v[11:12]
; %bb.944:                              ;   in Loop: Header=BB346_806 Depth=1
	s_or_b32 exec_lo, exec_lo, s16
	v_lshlrev_b32_e32 v14, 8, v11
	s_delay_alu instid0(VALU_DEP_3) | instskip(NEXT) | instid1(VALU_DEP_3)
	v_lshl_add_u32 v0, v0, 10, 0x2000
	v_lshlrev_b32_e32 v13, 7, v13
	s_delay_alu instid0(VALU_DEP_2) | instskip(NEXT) | instid1(VALU_DEP_1)
	v_and_or_b32 v0, 0x8000, v14, v0
	v_and_or_b32 v0, 0x380, v13, v0
	s_delay_alu instid0(VALU_DEP_1)
	v_cvt_f32_f16_e32 v99, v0
.LBB346_945:                            ;   in Loop: Header=BB346_806 Depth=1
	s_or_b32 exec_lo, exec_lo, s15
.LBB346_946:                            ;   in Loop: Header=BB346_806 Depth=1
	s_delay_alu instid0(SALU_CYCLE_1)
	s_or_b32 exec_lo, exec_lo, s13
.LBB346_947:                            ;   in Loop: Header=BB346_806 Depth=1
	s_delay_alu instid0(SALU_CYCLE_1) | instskip(SKIP_2) | instid1(VALU_DEP_1)
	s_or_b32 exec_lo, exec_lo, s12
	v_lshrrev_b16 v0, 8, v11
	s_mov_b32 s12, exec_lo
	v_cmpx_ne_u16_e32 0, v0
	s_cbranch_execz .LBB346_955
; %bb.948:                              ;   in Loop: Header=BB346_806 Depth=1
	v_bfrev_b32_e32 v100, 1
	s_mov_b32 s13, exec_lo
	v_cmpx_ne_u16_e32 0x80, v0
	s_cbranch_execz .LBB346_954
; %bb.949:                              ;   in Loop: Header=BB346_806 Depth=1
	v_and_b32_e32 v101, 0xffff, v0
	v_mov_b32_e32 v100, 0x7fc02000
	s_mov_b32 s15, exec_lo
	s_delay_alu instid0(VALU_DEP_2) | instskip(NEXT) | instid1(VALU_DEP_1)
	v_and_b32_e32 v13, 0x7f, v101
	v_cmpx_ne_u32_e32 0x7f, v13
	s_cbranch_execz .LBB346_953
; %bb.950:                              ;   in Loop: Header=BB346_806 Depth=1
	v_and_b32_e32 v0, 7, v101
	v_lshrrev_b32_e32 v100, 3, v13
	v_cmp_gt_u32_e64 s0, 8, v13
	s_delay_alu instid0(VALU_DEP_3) | instskip(NEXT) | instid1(VALU_DEP_2)
	v_dual_mov_b32 v14, v1 :: v_dual_mov_b32 v13, v0
	s_and_saveexec_b32 s16, s0
; %bb.951:                              ;   in Loop: Header=BB346_806 Depth=1
	v_clz_i32_u32_e32 v13, v0
	s_delay_alu instid0(VALU_DEP_1) | instskip(NEXT) | instid1(VALU_DEP_1)
	v_min_u32_e32 v100, 32, v13
	v_subrev_nc_u32_e32 v13, 28, v100
	v_sub_nc_u32_e32 v100, 29, v100
	s_delay_alu instid0(VALU_DEP_2) | instskip(NEXT) | instid1(VALU_DEP_1)
	v_lshlrev_b64 v[13:14], v13, v[0:1]
	v_and_b32_e32 v13, 7, v13
; %bb.952:                              ;   in Loop: Header=BB346_806 Depth=1
	s_or_b32 exec_lo, exec_lo, s16
	v_lshlrev_b32_e32 v0, 8, v101
	v_lshl_add_u32 v14, v100, 10, 0x2000
	s_delay_alu instid0(VALU_DEP_1) | instskip(NEXT) | instid1(VALU_DEP_1)
	v_and_or_b32 v0, 0x8000, v0, v14
	v_lshl_or_b32 v0, v13, 7, v0
	s_delay_alu instid0(VALU_DEP_1)
	v_cvt_f32_f16_e32 v100, v0
.LBB346_953:                            ;   in Loop: Header=BB346_806 Depth=1
	s_or_b32 exec_lo, exec_lo, s15
.LBB346_954:                            ;   in Loop: Header=BB346_806 Depth=1
	s_delay_alu instid0(SALU_CYCLE_1)
	s_or_b32 exec_lo, exec_lo, s13
.LBB346_955:                            ;   in Loop: Header=BB346_806 Depth=1
	s_delay_alu instid0(SALU_CYCLE_1) | instskip(SKIP_3) | instid1(VALU_DEP_2)
	s_or_b32 exec_lo, exec_lo, s12
	v_lshrrev_b32_e32 v103, 16, v11
	v_mov_b32_e32 v102, 0
	s_mov_b32 s12, exec_lo
	v_dual_mov_b32 v101, 0 :: v_dual_and_b32 v0, 0xff, v103
	s_delay_alu instid0(VALU_DEP_1)
	v_cmpx_ne_u16_e32 0, v0
	s_cbranch_execz .LBB346_963
; %bb.956:                              ;   in Loop: Header=BB346_806 Depth=1
	v_bfrev_b32_e32 v101, 1
	s_mov_b32 s13, exec_lo
	v_cmpx_ne_u16_e32 0x80, v0
	s_cbranch_execz .LBB346_962
; %bb.957:                              ;   in Loop: Header=BB346_806 Depth=1
	v_bfe_u32 v13, v11, 16, 7
	v_mov_b32_e32 v101, 0x7fc02000
	s_mov_b32 s15, exec_lo
	s_delay_alu instid0(VALU_DEP_2)
	v_cmpx_ne_u32_e32 0x7f, v13
	s_cbranch_execz .LBB346_961
; %bb.958:                              ;   in Loop: Header=BB346_806 Depth=1
	v_and_b32_e32 v0, 7, v103
	v_lshrrev_b32_e32 v101, 3, v13
	v_cmp_gt_u32_e64 s0, 8, v13
	s_delay_alu instid0(VALU_DEP_3) | instskip(NEXT) | instid1(VALU_DEP_2)
	v_dual_mov_b32 v14, v1 :: v_dual_mov_b32 v13, v0
	s_and_saveexec_b32 s16, s0
; %bb.959:                              ;   in Loop: Header=BB346_806 Depth=1
	v_clz_i32_u32_e32 v13, v0
	s_delay_alu instid0(VALU_DEP_1) | instskip(NEXT) | instid1(VALU_DEP_1)
	v_min_u32_e32 v101, 32, v13
	v_subrev_nc_u32_e32 v13, 28, v101
	v_sub_nc_u32_e32 v101, 29, v101
	s_delay_alu instid0(VALU_DEP_2) | instskip(NEXT) | instid1(VALU_DEP_1)
	v_lshlrev_b64 v[13:14], v13, v[0:1]
	v_and_b32_e32 v13, 7, v13
; %bb.960:                              ;   in Loop: Header=BB346_806 Depth=1
	s_or_b32 exec_lo, exec_lo, s16
	v_lshlrev_b32_e32 v0, 8, v103
	v_lshl_add_u32 v14, v101, 10, 0x2000
	s_delay_alu instid0(VALU_DEP_1) | instskip(NEXT) | instid1(VALU_DEP_1)
	v_and_or_b32 v0, 0x8000, v0, v14
	v_lshl_or_b32 v0, v13, 7, v0
	s_delay_alu instid0(VALU_DEP_1)
	v_cvt_f32_f16_e32 v101, v0
.LBB346_961:                            ;   in Loop: Header=BB346_806 Depth=1
	s_or_b32 exec_lo, exec_lo, s15
.LBB346_962:                            ;   in Loop: Header=BB346_806 Depth=1
	s_delay_alu instid0(SALU_CYCLE_1)
	s_or_b32 exec_lo, exec_lo, s13
.LBB346_963:                            ;   in Loop: Header=BB346_806 Depth=1
	s_delay_alu instid0(SALU_CYCLE_1) | instskip(NEXT) | instid1(SALU_CYCLE_1)
	s_or_b32 exec_lo, exec_lo, s12
	s_mov_b32 s12, exec_lo
	v_cmpx_lt_u32_e32 0xffffff, v11
	s_cbranch_execz .LBB346_971
; %bb.964:                              ;   in Loop: Header=BB346_806 Depth=1
	v_lshrrev_b32_e32 v103, 24, v11
	v_bfrev_b32_e32 v102, 1
	s_mov_b32 s13, exec_lo
	s_delay_alu instid0(VALU_DEP_2)
	v_cmpx_ne_u32_e32 0x80, v103
	s_cbranch_execz .LBB346_970
; %bb.965:                              ;   in Loop: Header=BB346_806 Depth=1
	v_and_b32_e32 v13, 0x7f, v103
	v_mov_b32_e32 v102, 0x7fc02000
	s_mov_b32 s15, exec_lo
	s_delay_alu instid0(VALU_DEP_2)
	v_cmpx_ne_u32_e32 0x7f, v13
	s_cbranch_execz .LBB346_969
; %bb.966:                              ;   in Loop: Header=BB346_806 Depth=1
	v_and_b32_e32 v0, 7, v103
	v_lshrrev_b32_e32 v102, 3, v13
	v_cmp_gt_u32_e64 s0, 8, v13
	s_delay_alu instid0(VALU_DEP_3) | instskip(NEXT) | instid1(VALU_DEP_2)
	v_dual_mov_b32 v14, v1 :: v_dual_mov_b32 v13, v0
	s_and_saveexec_b32 s16, s0
; %bb.967:                              ;   in Loop: Header=BB346_806 Depth=1
	v_clz_i32_u32_e32 v13, v0
	s_delay_alu instid0(VALU_DEP_1) | instskip(NEXT) | instid1(VALU_DEP_1)
	v_min_u32_e32 v102, 32, v13
	v_subrev_nc_u32_e32 v13, 28, v102
	v_sub_nc_u32_e32 v102, 29, v102
	s_delay_alu instid0(VALU_DEP_2) | instskip(NEXT) | instid1(VALU_DEP_1)
	v_lshlrev_b64 v[13:14], v13, v[0:1]
	v_and_b32_e32 v13, 7, v13
; %bb.968:                              ;   in Loop: Header=BB346_806 Depth=1
	s_or_b32 exec_lo, exec_lo, s16
	v_lshlrev_b32_e32 v0, 8, v103
	v_lshl_add_u32 v14, v102, 10, 0x2000
	s_delay_alu instid0(VALU_DEP_1) | instskip(NEXT) | instid1(VALU_DEP_1)
	v_and_or_b32 v0, 0x8000, v0, v14
	v_lshl_or_b32 v0, v13, 7, v0
	s_delay_alu instid0(VALU_DEP_1)
	v_cvt_f32_f16_e32 v102, v0
.LBB346_969:                            ;   in Loop: Header=BB346_806 Depth=1
	s_or_b32 exec_lo, exec_lo, s15
.LBB346_970:                            ;   in Loop: Header=BB346_806 Depth=1
	s_delay_alu instid0(SALU_CYCLE_1)
	s_or_b32 exec_lo, exec_lo, s13
.LBB346_971:                            ;   in Loop: Header=BB346_806 Depth=1
	s_delay_alu instid0(SALU_CYCLE_1) | instskip(SKIP_3) | instid1(VALU_DEP_2)
	s_or_b32 exec_lo, exec_lo, s12
	v_dual_mov_b32 v0, v12 :: v_dual_and_b32 v13, 0xff, v12
	v_dual_mov_b32 v112, 0 :: v_dual_mov_b32 v103, 0
	s_mov_b32 s12, exec_lo
	v_cmpx_ne_u16_e32 0, v13
	s_cbranch_execz .LBB346_979
; %bb.972:                              ;   in Loop: Header=BB346_806 Depth=1
	v_bfrev_b32_e32 v103, 1
	s_mov_b32 s13, exec_lo
	v_cmpx_ne_u16_e32 0x80, v13
	s_cbranch_execz .LBB346_978
; %bb.973:                              ;   in Loop: Header=BB346_806 Depth=1
	v_and_b32_e32 v13, 0x7f, v12
	v_mov_b32_e32 v103, 0x7fc02000
	s_mov_b32 s15, exec_lo
	s_delay_alu instid0(VALU_DEP_2)
	v_cmpx_ne_u32_e32 0x7f, v13
	s_cbranch_execz .LBB346_977
; %bb.974:                              ;   in Loop: Header=BB346_806 Depth=1
	v_lshrrev_b32_e32 v103, 3, v13
	v_cmp_gt_u32_e64 s0, 8, v13
	v_dual_mov_b32 v14, v1 :: v_dual_mov_b32 v13, v0
	s_delay_alu instid0(VALU_DEP_2)
	s_and_saveexec_b32 s16, s0
; %bb.975:                              ;   in Loop: Header=BB346_806 Depth=1
	v_and_b32_e32 v13, 7, v12
	s_delay_alu instid0(VALU_DEP_1) | instskip(NEXT) | instid1(VALU_DEP_1)
	v_clz_i32_u32_e32 v13, v13
	v_min_u32_e32 v103, 32, v13
	s_delay_alu instid0(VALU_DEP_1) | instskip(SKIP_1) | instid1(VALU_DEP_2)
	v_subrev_nc_u32_e32 v13, 28, v103
	v_sub_nc_u32_e32 v103, 29, v103
	v_lshlrev_b64 v[13:14], v13, v[0:1]
; %bb.976:                              ;   in Loop: Header=BB346_806 Depth=1
	s_or_b32 exec_lo, exec_lo, s16
	v_lshlrev_b32_e32 v14, 8, v12
	s_delay_alu instid0(VALU_DEP_3) | instskip(NEXT) | instid1(VALU_DEP_3)
	v_lshl_add_u32 v103, v103, 10, 0x2000
	v_lshlrev_b32_e32 v13, 7, v13
	s_delay_alu instid0(VALU_DEP_2) | instskip(NEXT) | instid1(VALU_DEP_1)
	v_and_or_b32 v14, 0x8000, v14, v103
	v_and_or_b32 v13, 0x380, v13, v14
	s_delay_alu instid0(VALU_DEP_1)
	v_cvt_f32_f16_e32 v103, v13
.LBB346_977:                            ;   in Loop: Header=BB346_806 Depth=1
	s_or_b32 exec_lo, exec_lo, s15
.LBB346_978:                            ;   in Loop: Header=BB346_806 Depth=1
	s_delay_alu instid0(SALU_CYCLE_1)
	s_or_b32 exec_lo, exec_lo, s13
.LBB346_979:                            ;   in Loop: Header=BB346_806 Depth=1
	s_delay_alu instid0(SALU_CYCLE_1) | instskip(SKIP_2) | instid1(VALU_DEP_1)
	s_or_b32 exec_lo, exec_lo, s12
	v_lshrrev_b16 v0, 8, v0
	s_mov_b32 s12, exec_lo
	v_cmpx_ne_u16_e32 0, v0
	s_cbranch_execz .LBB346_987
; %bb.980:                              ;   in Loop: Header=BB346_806 Depth=1
	v_bfrev_b32_e32 v112, 1
	s_mov_b32 s13, exec_lo
	v_cmpx_ne_u16_e32 0x80, v0
	s_cbranch_execz .LBB346_986
; %bb.981:                              ;   in Loop: Header=BB346_806 Depth=1
	v_and_b32_e32 v113, 0xffff, v0
	v_mov_b32_e32 v112, 0x7fc02000
	s_mov_b32 s15, exec_lo
	s_delay_alu instid0(VALU_DEP_2) | instskip(NEXT) | instid1(VALU_DEP_1)
	v_and_b32_e32 v13, 0x7f, v113
	v_cmpx_ne_u32_e32 0x7f, v13
	s_cbranch_execz .LBB346_985
; %bb.982:                              ;   in Loop: Header=BB346_806 Depth=1
	v_and_b32_e32 v0, 7, v113
	v_lshrrev_b32_e32 v112, 3, v13
	v_cmp_gt_u32_e64 s0, 8, v13
	s_delay_alu instid0(VALU_DEP_3) | instskip(NEXT) | instid1(VALU_DEP_2)
	v_dual_mov_b32 v14, v1 :: v_dual_mov_b32 v13, v0
	s_and_saveexec_b32 s16, s0
; %bb.983:                              ;   in Loop: Header=BB346_806 Depth=1
	v_clz_i32_u32_e32 v13, v0
	s_delay_alu instid0(VALU_DEP_1) | instskip(NEXT) | instid1(VALU_DEP_1)
	v_min_u32_e32 v112, 32, v13
	v_subrev_nc_u32_e32 v13, 28, v112
	v_sub_nc_u32_e32 v112, 29, v112
	s_delay_alu instid0(VALU_DEP_2) | instskip(NEXT) | instid1(VALU_DEP_1)
	v_lshlrev_b64 v[13:14], v13, v[0:1]
	v_and_b32_e32 v13, 7, v13
; %bb.984:                              ;   in Loop: Header=BB346_806 Depth=1
	s_or_b32 exec_lo, exec_lo, s16
	v_lshlrev_b32_e32 v0, 8, v113
	v_lshl_add_u32 v14, v112, 10, 0x2000
	s_delay_alu instid0(VALU_DEP_1) | instskip(NEXT) | instid1(VALU_DEP_1)
	v_and_or_b32 v0, 0x8000, v0, v14
	v_lshl_or_b32 v0, v13, 7, v0
	s_delay_alu instid0(VALU_DEP_1)
	v_cvt_f32_f16_e32 v112, v0
.LBB346_985:                            ;   in Loop: Header=BB346_806 Depth=1
	s_or_b32 exec_lo, exec_lo, s15
.LBB346_986:                            ;   in Loop: Header=BB346_806 Depth=1
	s_delay_alu instid0(SALU_CYCLE_1)
	s_or_b32 exec_lo, exec_lo, s13
.LBB346_987:                            ;   in Loop: Header=BB346_806 Depth=1
	s_delay_alu instid0(SALU_CYCLE_1) | instskip(SKIP_3) | instid1(VALU_DEP_2)
	s_or_b32 exec_lo, exec_lo, s12
	v_lshrrev_b32_e32 v114, 16, v12
	v_mov_b32_e32 v13, 0
	s_mov_b32 s12, exec_lo
	v_dual_mov_b32 v113, 0 :: v_dual_and_b32 v0, 0xff, v114
	s_delay_alu instid0(VALU_DEP_1)
	v_cmpx_ne_u16_e32 0, v0
	s_cbranch_execz .LBB346_995
; %bb.988:                              ;   in Loop: Header=BB346_806 Depth=1
	v_bfrev_b32_e32 v13, 1
	s_mov_b32 s13, exec_lo
	v_cmpx_ne_u16_e32 0x80, v0
	s_cbranch_execz .LBB346_994
; %bb.989:                              ;   in Loop: Header=BB346_806 Depth=1
	v_bfe_u32 v14, v12, 16, 7
	v_mov_b32_e32 v13, 0x7fc02000
	s_mov_b32 s15, exec_lo
	s_delay_alu instid0(VALU_DEP_2)
	v_cmpx_ne_u32_e32 0x7f, v14
	s_cbranch_execz .LBB346_993
; %bb.990:                              ;   in Loop: Header=BB346_806 Depth=1
	v_and_b32_e32 v0, 7, v114
	v_lshrrev_b32_e32 v115, 3, v14
	v_cmp_gt_u32_e64 s0, 8, v14
	s_delay_alu instid0(VALU_DEP_3) | instskip(NEXT) | instid1(VALU_DEP_2)
	v_dual_mov_b32 v14, v1 :: v_dual_mov_b32 v13, v0
	s_and_saveexec_b32 s16, s0
; %bb.991:                              ;   in Loop: Header=BB346_806 Depth=1
	v_clz_i32_u32_e32 v13, v0
	s_delay_alu instid0(VALU_DEP_1) | instskip(NEXT) | instid1(VALU_DEP_1)
	v_min_u32_e32 v115, 32, v13
	v_subrev_nc_u32_e32 v13, 28, v115
	v_sub_nc_u32_e32 v115, 29, v115
	s_delay_alu instid0(VALU_DEP_2) | instskip(NEXT) | instid1(VALU_DEP_1)
	v_lshlrev_b64 v[13:14], v13, v[0:1]
	v_and_b32_e32 v13, 7, v13
; %bb.992:                              ;   in Loop: Header=BB346_806 Depth=1
	s_or_b32 exec_lo, exec_lo, s16
	v_lshlrev_b32_e32 v0, 8, v114
	v_lshl_add_u32 v14, v115, 10, 0x2000
	s_delay_alu instid0(VALU_DEP_1) | instskip(NEXT) | instid1(VALU_DEP_1)
	v_and_or_b32 v0, 0x8000, v0, v14
	v_lshl_or_b32 v0, v13, 7, v0
	s_delay_alu instid0(VALU_DEP_1)
	v_cvt_f32_f16_e32 v13, v0
.LBB346_993:                            ;   in Loop: Header=BB346_806 Depth=1
	s_or_b32 exec_lo, exec_lo, s15
.LBB346_994:                            ;   in Loop: Header=BB346_806 Depth=1
	s_delay_alu instid0(SALU_CYCLE_1)
	s_or_b32 exec_lo, exec_lo, s13
.LBB346_995:                            ;   in Loop: Header=BB346_806 Depth=1
	s_delay_alu instid0(SALU_CYCLE_1) | instskip(NEXT) | instid1(SALU_CYCLE_1)
	s_or_b32 exec_lo, exec_lo, s12
	s_mov_b32 s12, exec_lo
	v_cmpx_lt_u64_e64 s[8:9], v[11:12]
	s_cbranch_execz .LBB346_1003
; %bb.996:                              ;   in Loop: Header=BB346_806 Depth=1
	v_lshrrev_b32_e32 v14, 24, v12
	v_bfrev_b32_e32 v113, 1
	s_mov_b32 s13, exec_lo
	s_delay_alu instid0(VALU_DEP_2)
	v_cmpx_ne_u32_e32 0x80, v14
	s_cbranch_execz .LBB346_1002
; %bb.997:                              ;   in Loop: Header=BB346_806 Depth=1
	v_and_b32_e32 v11, 0x7f, v14
	v_mov_b32_e32 v113, 0x7fc02000
	s_mov_b32 s15, exec_lo
	s_delay_alu instid0(VALU_DEP_2)
	v_cmpx_ne_u32_e32 0x7f, v11
	s_cbranch_execz .LBB346_1001
; %bb.998:                              ;   in Loop: Header=BB346_806 Depth=1
	v_and_b32_e32 v0, 7, v14
	v_lshrrev_b32_e32 v113, 3, v11
	v_cmp_gt_u32_e64 s0, 8, v11
	s_delay_alu instid0(VALU_DEP_3) | instskip(NEXT) | instid1(VALU_DEP_2)
	v_dual_mov_b32 v12, v1 :: v_dual_mov_b32 v11, v0
	s_and_saveexec_b32 s16, s0
; %bb.999:                              ;   in Loop: Header=BB346_806 Depth=1
	v_clz_i32_u32_e32 v11, v0
	s_delay_alu instid0(VALU_DEP_1) | instskip(NEXT) | instid1(VALU_DEP_1)
	v_min_u32_e32 v113, 32, v11
	v_subrev_nc_u32_e32 v11, 28, v113
	v_sub_nc_u32_e32 v113, 29, v113
	s_delay_alu instid0(VALU_DEP_2) | instskip(NEXT) | instid1(VALU_DEP_1)
	v_lshlrev_b64 v[11:12], v11, v[0:1]
	v_and_b32_e32 v11, 7, v11
; %bb.1000:                             ;   in Loop: Header=BB346_806 Depth=1
	s_or_b32 exec_lo, exec_lo, s16
	v_lshlrev_b32_e32 v0, 8, v14
	v_lshl_add_u32 v12, v113, 10, 0x2000
	s_delay_alu instid0(VALU_DEP_1) | instskip(NEXT) | instid1(VALU_DEP_1)
	v_and_or_b32 v0, 0x8000, v0, v12
	v_lshl_or_b32 v0, v11, 7, v0
	s_delay_alu instid0(VALU_DEP_1)
	v_cvt_f32_f16_e32 v113, v0
.LBB346_1001:                           ;   in Loop: Header=BB346_806 Depth=1
	s_or_b32 exec_lo, exec_lo, s15
.LBB346_1002:                           ;   in Loop: Header=BB346_806 Depth=1
	s_delay_alu instid0(SALU_CYCLE_1)
	s_or_b32 exec_lo, exec_lo, s13
.LBB346_1003:                           ;   in Loop: Header=BB346_806 Depth=1
	s_delay_alu instid0(SALU_CYCLE_1)
	s_or_b32 exec_lo, exec_lo, s12
	s_waitcnt vmcnt(0) lgkmcnt(0)
	v_fma_mixlo_f16 v12, v98, v100, 0
	v_fma_mixlo_f16 v0, v98, v102, 0
	;; [unrolled: 1-line block ×5, first 2 shown]
	v_lshlrev_b32_e32 v14, 16, v12
	v_fma_mixlo_f16 v101, v98, v103, 0
	v_fma_mixlo_f16 v102, v98, v113, 0
	;; [unrolled: 1-line block ×3, first 2 shown]
	v_lshlrev_b32_e32 v0, 16, v0
	v_and_b32_e32 v11, 0xffff, v11
	v_and_b32_e32 v98, 0xffff, v99
	v_lshlrev_b32_e32 v99, 16, v100
	v_and_b32_e32 v100, 0xffff, v101
	v_lshlrev_b32_e32 v101, 16, v102
	v_and_b32_e32 v102, 0xffff, v12
	v_or_b32_e32 v13, v0, v11
	v_or_b32_e32 v14, v14, v98
	;; [unrolled: 1-line block ×3, first 2 shown]
	s_delay_alu instid0(VALU_DEP_4)
	v_or_b32_e32 v11, v101, v102
	s_and_saveexec_b32 s12, vcc_lo
	s_cbranch_execz .LBB346_1005
; %bb.1004:                             ;   in Loop: Header=BB346_806 Depth=1
	v_cmp_lt_i32_e64 s0, v19, v38
	v_lshrrev_b32_e32 v98, 16, v14
	v_lshrrev_b32_e32 v99, 16, v13
	;; [unrolled: 1-line block ×4, first 2 shown]
	v_cndmask_b32_e64 v14, 0, v14, s0
	v_cmp_lt_i32_e64 s0, v84, v55
	s_delay_alu instid0(VALU_DEP_1) | instskip(SKIP_1) | instid1(VALU_DEP_2)
	v_cndmask_b32_e64 v98, 0, v98, s0
	v_cmp_lt_i32_e64 s0, v83, v55
	v_perm_b32 v14, v98, v14, 0x5040100
	s_delay_alu instid0(VALU_DEP_2) | instskip(SKIP_1) | instid1(VALU_DEP_1)
	v_cndmask_b32_e64 v99, 0, v99, s0
	v_cmp_lt_i32_e64 s0, v71, v38
	v_cndmask_b32_e64 v13, 0, v13, s0
	v_cmp_lt_i32_e64 s0, v70, v55
	s_delay_alu instid0(VALU_DEP_2) | instskip(NEXT) | instid1(VALU_DEP_2)
	v_perm_b32 v13, v99, v13, 0x5040100
	v_cndmask_b32_e64 v100, 0, v100, s0
	v_cmp_lt_i32_e64 s0, v69, v38
	s_delay_alu instid0(VALU_DEP_1) | instskip(SKIP_1) | instid1(VALU_DEP_2)
	v_cndmask_b32_e64 v0, 0, v0, s0
	v_cmp_lt_i32_e64 s0, v68, v55
	v_perm_b32 v0, v100, v0, 0x5040100
	s_delay_alu instid0(VALU_DEP_2) | instskip(SKIP_1) | instid1(VALU_DEP_1)
	v_cndmask_b32_e64 v11, 0, v11, s0
	v_cmp_lt_i32_e64 s0, v64, v38
	v_cndmask_b32_e64 v12, 0, v12, s0
	s_delay_alu instid0(VALU_DEP_1)
	v_perm_b32 v11, v11, v12, 0x5040100
.LBB346_1005:                           ;   in Loop: Header=BB346_806 Depth=1
	s_or_b32 exec_lo, exec_lo, s12
	;;#ASMSTART
	v_pk_mul_f16 v12, v87, v14;

	;;#ASMEND
	;;#ASMSTART
	v_pk_mul_f16 v13, v86, v13;

	;;#ASMEND
	;; [unrolled: 4-line block ×4, first 2 shown]
	;;#ASMSTART
	v_pk_add_f16 v12, v12, v13;

	;;#ASMEND
	;;#ASMSTART
	v_pk_add_f16 v0, v12, v0;

	;;#ASMEND
	;; [unrolled: 4-line block ×3, first 2 shown]
	v_dual_mov_b32 v102, 0 :: v_dual_and_b32 v11, 0xffff, v0
	v_lshrrev_b32_e32 v0, 16, v0
	;;#ASMSTART
	v_cvt_f32_f16 v98, v11;
	;;#ASMEND
	;;#ASMSTART
	v_cvt_f32_f16 v99, v0;
	;;#ASMEND
	flat_load_b64 v[11:12], v[9:10] offset:768
	flat_load_b32 v100, v[26:27]
	s_mov_b32 s12, exec_lo
	s_waitcnt vmcnt(1) lgkmcnt(1)
	v_dual_mov_b32 v101, 0 :: v_dual_and_b32 v0, 0xff, v11
	s_delay_alu instid0(VALU_DEP_1)
	v_cmpx_ne_u16_e32 0, v0
	s_cbranch_execz .LBB346_1013
; %bb.1006:                             ;   in Loop: Header=BB346_806 Depth=1
	v_bfrev_b32_e32 v101, 1
	s_mov_b32 s13, exec_lo
	v_cmpx_ne_u16_e32 0x80, v0
	s_cbranch_execz .LBB346_1012
; %bb.1007:                             ;   in Loop: Header=BB346_806 Depth=1
	v_and_b32_e32 v13, 0x7f, v11
	v_mov_b32_e32 v101, 0x7fc02000
	s_mov_b32 s15, exec_lo
	s_delay_alu instid0(VALU_DEP_2)
	v_cmpx_ne_u32_e32 0x7f, v13
	s_cbranch_execz .LBB346_1011
; %bb.1008:                             ;   in Loop: Header=BB346_806 Depth=1
	v_lshrrev_b32_e32 v0, 3, v13
	v_cmp_gt_u32_e64 s0, 8, v13
	v_dual_mov_b32 v14, v12 :: v_dual_mov_b32 v13, v11
	s_delay_alu instid0(VALU_DEP_2)
	s_and_saveexec_b32 s16, s0
; %bb.1009:                             ;   in Loop: Header=BB346_806 Depth=1
	v_and_b32_e32 v0, 7, v11
	s_delay_alu instid0(VALU_DEP_1) | instskip(NEXT) | instid1(VALU_DEP_1)
	v_clz_i32_u32_e32 v0, v0
	v_min_u32_e32 v0, 32, v0
	s_delay_alu instid0(VALU_DEP_1) | instskip(SKIP_1) | instid1(VALU_DEP_2)
	v_subrev_nc_u32_e32 v13, 28, v0
	v_sub_nc_u32_e32 v0, 29, v0
	v_lshlrev_b64 v[13:14], v13, v[11:12]
; %bb.1010:                             ;   in Loop: Header=BB346_806 Depth=1
	s_or_b32 exec_lo, exec_lo, s16
	v_lshlrev_b32_e32 v14, 8, v11
	s_delay_alu instid0(VALU_DEP_3) | instskip(NEXT) | instid1(VALU_DEP_3)
	v_lshl_add_u32 v0, v0, 10, 0x2000
	v_lshlrev_b32_e32 v13, 7, v13
	s_delay_alu instid0(VALU_DEP_2) | instskip(NEXT) | instid1(VALU_DEP_1)
	v_and_or_b32 v0, 0x8000, v14, v0
	v_and_or_b32 v0, 0x380, v13, v0
	s_delay_alu instid0(VALU_DEP_1)
	v_cvt_f32_f16_e32 v101, v0
.LBB346_1011:                           ;   in Loop: Header=BB346_806 Depth=1
	s_or_b32 exec_lo, exec_lo, s15
.LBB346_1012:                           ;   in Loop: Header=BB346_806 Depth=1
	s_delay_alu instid0(SALU_CYCLE_1)
	s_or_b32 exec_lo, exec_lo, s13
.LBB346_1013:                           ;   in Loop: Header=BB346_806 Depth=1
	s_delay_alu instid0(SALU_CYCLE_1) | instskip(SKIP_2) | instid1(VALU_DEP_1)
	s_or_b32 exec_lo, exec_lo, s12
	v_lshrrev_b16 v0, 8, v11
	s_mov_b32 s12, exec_lo
	v_cmpx_ne_u16_e32 0, v0
	s_cbranch_execz .LBB346_1021
; %bb.1014:                             ;   in Loop: Header=BB346_806 Depth=1
	v_bfrev_b32_e32 v102, 1
	s_mov_b32 s13, exec_lo
	v_cmpx_ne_u16_e32 0x80, v0
	s_cbranch_execz .LBB346_1020
; %bb.1015:                             ;   in Loop: Header=BB346_806 Depth=1
	v_and_b32_e32 v103, 0xffff, v0
	v_mov_b32_e32 v102, 0x7fc02000
	s_mov_b32 s15, exec_lo
	s_delay_alu instid0(VALU_DEP_2) | instskip(NEXT) | instid1(VALU_DEP_1)
	v_and_b32_e32 v13, 0x7f, v103
	v_cmpx_ne_u32_e32 0x7f, v13
	s_cbranch_execz .LBB346_1019
; %bb.1016:                             ;   in Loop: Header=BB346_806 Depth=1
	v_and_b32_e32 v0, 7, v103
	v_lshrrev_b32_e32 v102, 3, v13
	v_cmp_gt_u32_e64 s0, 8, v13
	s_delay_alu instid0(VALU_DEP_3) | instskip(NEXT) | instid1(VALU_DEP_2)
	v_dual_mov_b32 v14, v1 :: v_dual_mov_b32 v13, v0
	s_and_saveexec_b32 s16, s0
; %bb.1017:                             ;   in Loop: Header=BB346_806 Depth=1
	v_clz_i32_u32_e32 v13, v0
	s_delay_alu instid0(VALU_DEP_1) | instskip(NEXT) | instid1(VALU_DEP_1)
	v_min_u32_e32 v102, 32, v13
	v_subrev_nc_u32_e32 v13, 28, v102
	v_sub_nc_u32_e32 v102, 29, v102
	s_delay_alu instid0(VALU_DEP_2) | instskip(NEXT) | instid1(VALU_DEP_1)
	v_lshlrev_b64 v[13:14], v13, v[0:1]
	v_and_b32_e32 v13, 7, v13
; %bb.1018:                             ;   in Loop: Header=BB346_806 Depth=1
	s_or_b32 exec_lo, exec_lo, s16
	v_lshlrev_b32_e32 v0, 8, v103
	v_lshl_add_u32 v14, v102, 10, 0x2000
	s_delay_alu instid0(VALU_DEP_1) | instskip(NEXT) | instid1(VALU_DEP_1)
	v_and_or_b32 v0, 0x8000, v0, v14
	v_lshl_or_b32 v0, v13, 7, v0
	s_delay_alu instid0(VALU_DEP_1)
	v_cvt_f32_f16_e32 v102, v0
.LBB346_1019:                           ;   in Loop: Header=BB346_806 Depth=1
	s_or_b32 exec_lo, exec_lo, s15
.LBB346_1020:                           ;   in Loop: Header=BB346_806 Depth=1
	s_delay_alu instid0(SALU_CYCLE_1)
	s_or_b32 exec_lo, exec_lo, s13
.LBB346_1021:                           ;   in Loop: Header=BB346_806 Depth=1
	s_delay_alu instid0(SALU_CYCLE_1) | instskip(SKIP_3) | instid1(VALU_DEP_2)
	s_or_b32 exec_lo, exec_lo, s12
	v_lshrrev_b32_e32 v113, 16, v11
	v_mov_b32_e32 v112, 0
	s_mov_b32 s12, exec_lo
	v_dual_mov_b32 v103, 0 :: v_dual_and_b32 v0, 0xff, v113
	s_delay_alu instid0(VALU_DEP_1)
	v_cmpx_ne_u16_e32 0, v0
	s_cbranch_execz .LBB346_1029
; %bb.1022:                             ;   in Loop: Header=BB346_806 Depth=1
	v_bfrev_b32_e32 v103, 1
	s_mov_b32 s13, exec_lo
	v_cmpx_ne_u16_e32 0x80, v0
	s_cbranch_execz .LBB346_1028
; %bb.1023:                             ;   in Loop: Header=BB346_806 Depth=1
	v_bfe_u32 v13, v11, 16, 7
	v_mov_b32_e32 v103, 0x7fc02000
	s_mov_b32 s15, exec_lo
	s_delay_alu instid0(VALU_DEP_2)
	v_cmpx_ne_u32_e32 0x7f, v13
	s_cbranch_execz .LBB346_1027
; %bb.1024:                             ;   in Loop: Header=BB346_806 Depth=1
	v_and_b32_e32 v0, 7, v113
	v_lshrrev_b32_e32 v103, 3, v13
	v_cmp_gt_u32_e64 s0, 8, v13
	s_delay_alu instid0(VALU_DEP_3) | instskip(NEXT) | instid1(VALU_DEP_2)
	v_dual_mov_b32 v14, v1 :: v_dual_mov_b32 v13, v0
	s_and_saveexec_b32 s16, s0
; %bb.1025:                             ;   in Loop: Header=BB346_806 Depth=1
	v_clz_i32_u32_e32 v13, v0
	s_delay_alu instid0(VALU_DEP_1) | instskip(NEXT) | instid1(VALU_DEP_1)
	v_min_u32_e32 v103, 32, v13
	v_subrev_nc_u32_e32 v13, 28, v103
	v_sub_nc_u32_e32 v103, 29, v103
	s_delay_alu instid0(VALU_DEP_2) | instskip(NEXT) | instid1(VALU_DEP_1)
	v_lshlrev_b64 v[13:14], v13, v[0:1]
	v_and_b32_e32 v13, 7, v13
; %bb.1026:                             ;   in Loop: Header=BB346_806 Depth=1
	s_or_b32 exec_lo, exec_lo, s16
	v_lshlrev_b32_e32 v0, 8, v113
	v_lshl_add_u32 v14, v103, 10, 0x2000
	s_delay_alu instid0(VALU_DEP_1) | instskip(NEXT) | instid1(VALU_DEP_1)
	v_and_or_b32 v0, 0x8000, v0, v14
	v_lshl_or_b32 v0, v13, 7, v0
	s_delay_alu instid0(VALU_DEP_1)
	v_cvt_f32_f16_e32 v103, v0
.LBB346_1027:                           ;   in Loop: Header=BB346_806 Depth=1
	s_or_b32 exec_lo, exec_lo, s15
.LBB346_1028:                           ;   in Loop: Header=BB346_806 Depth=1
	s_delay_alu instid0(SALU_CYCLE_1)
	s_or_b32 exec_lo, exec_lo, s13
.LBB346_1029:                           ;   in Loop: Header=BB346_806 Depth=1
	s_delay_alu instid0(SALU_CYCLE_1) | instskip(NEXT) | instid1(SALU_CYCLE_1)
	s_or_b32 exec_lo, exec_lo, s12
	s_mov_b32 s12, exec_lo
	v_cmpx_lt_u32_e32 0xffffff, v11
	s_cbranch_execz .LBB346_1037
; %bb.1030:                             ;   in Loop: Header=BB346_806 Depth=1
	v_lshrrev_b32_e32 v113, 24, v11
	v_bfrev_b32_e32 v112, 1
	s_mov_b32 s13, exec_lo
	s_delay_alu instid0(VALU_DEP_2)
	v_cmpx_ne_u32_e32 0x80, v113
	s_cbranch_execz .LBB346_1036
; %bb.1031:                             ;   in Loop: Header=BB346_806 Depth=1
	v_and_b32_e32 v13, 0x7f, v113
	v_mov_b32_e32 v112, 0x7fc02000
	s_mov_b32 s15, exec_lo
	s_delay_alu instid0(VALU_DEP_2)
	v_cmpx_ne_u32_e32 0x7f, v13
	s_cbranch_execz .LBB346_1035
; %bb.1032:                             ;   in Loop: Header=BB346_806 Depth=1
	v_and_b32_e32 v0, 7, v113
	v_lshrrev_b32_e32 v112, 3, v13
	v_cmp_gt_u32_e64 s0, 8, v13
	s_delay_alu instid0(VALU_DEP_3) | instskip(NEXT) | instid1(VALU_DEP_2)
	v_dual_mov_b32 v14, v1 :: v_dual_mov_b32 v13, v0
	s_and_saveexec_b32 s16, s0
; %bb.1033:                             ;   in Loop: Header=BB346_806 Depth=1
	v_clz_i32_u32_e32 v13, v0
	s_delay_alu instid0(VALU_DEP_1) | instskip(NEXT) | instid1(VALU_DEP_1)
	v_min_u32_e32 v112, 32, v13
	v_subrev_nc_u32_e32 v13, 28, v112
	v_sub_nc_u32_e32 v112, 29, v112
	s_delay_alu instid0(VALU_DEP_2) | instskip(NEXT) | instid1(VALU_DEP_1)
	v_lshlrev_b64 v[13:14], v13, v[0:1]
	v_and_b32_e32 v13, 7, v13
; %bb.1034:                             ;   in Loop: Header=BB346_806 Depth=1
	s_or_b32 exec_lo, exec_lo, s16
	v_lshlrev_b32_e32 v0, 8, v113
	v_lshl_add_u32 v14, v112, 10, 0x2000
	s_delay_alu instid0(VALU_DEP_1) | instskip(NEXT) | instid1(VALU_DEP_1)
	v_and_or_b32 v0, 0x8000, v0, v14
	v_lshl_or_b32 v0, v13, 7, v0
	s_delay_alu instid0(VALU_DEP_1)
	v_cvt_f32_f16_e32 v112, v0
.LBB346_1035:                           ;   in Loop: Header=BB346_806 Depth=1
	s_or_b32 exec_lo, exec_lo, s15
.LBB346_1036:                           ;   in Loop: Header=BB346_806 Depth=1
	s_delay_alu instid0(SALU_CYCLE_1)
	s_or_b32 exec_lo, exec_lo, s13
.LBB346_1037:                           ;   in Loop: Header=BB346_806 Depth=1
	s_delay_alu instid0(SALU_CYCLE_1) | instskip(SKIP_3) | instid1(VALU_DEP_2)
	s_or_b32 exec_lo, exec_lo, s12
	v_dual_mov_b32 v0, v12 :: v_dual_and_b32 v13, 0xff, v12
	v_dual_mov_b32 v114, 0 :: v_dual_mov_b32 v113, 0
	s_mov_b32 s12, exec_lo
	v_cmpx_ne_u16_e32 0, v13
	s_cbranch_execz .LBB346_1045
; %bb.1038:                             ;   in Loop: Header=BB346_806 Depth=1
	v_bfrev_b32_e32 v113, 1
	s_mov_b32 s13, exec_lo
	v_cmpx_ne_u16_e32 0x80, v13
	s_cbranch_execz .LBB346_1044
; %bb.1039:                             ;   in Loop: Header=BB346_806 Depth=1
	v_and_b32_e32 v13, 0x7f, v12
	v_mov_b32_e32 v113, 0x7fc02000
	s_mov_b32 s15, exec_lo
	s_delay_alu instid0(VALU_DEP_2)
	v_cmpx_ne_u32_e32 0x7f, v13
	s_cbranch_execz .LBB346_1043
; %bb.1040:                             ;   in Loop: Header=BB346_806 Depth=1
	v_lshrrev_b32_e32 v113, 3, v13
	v_cmp_gt_u32_e64 s0, 8, v13
	v_dual_mov_b32 v14, v1 :: v_dual_mov_b32 v13, v0
	s_delay_alu instid0(VALU_DEP_2)
	s_and_saveexec_b32 s16, s0
; %bb.1041:                             ;   in Loop: Header=BB346_806 Depth=1
	v_and_b32_e32 v13, 7, v12
	s_delay_alu instid0(VALU_DEP_1) | instskip(NEXT) | instid1(VALU_DEP_1)
	v_clz_i32_u32_e32 v13, v13
	v_min_u32_e32 v113, 32, v13
	s_delay_alu instid0(VALU_DEP_1) | instskip(SKIP_1) | instid1(VALU_DEP_2)
	v_subrev_nc_u32_e32 v13, 28, v113
	v_sub_nc_u32_e32 v113, 29, v113
	v_lshlrev_b64 v[13:14], v13, v[0:1]
; %bb.1042:                             ;   in Loop: Header=BB346_806 Depth=1
	s_or_b32 exec_lo, exec_lo, s16
	v_lshlrev_b32_e32 v14, 8, v12
	s_delay_alu instid0(VALU_DEP_3) | instskip(NEXT) | instid1(VALU_DEP_3)
	v_lshl_add_u32 v113, v113, 10, 0x2000
	v_lshlrev_b32_e32 v13, 7, v13
	s_delay_alu instid0(VALU_DEP_2) | instskip(NEXT) | instid1(VALU_DEP_1)
	v_and_or_b32 v14, 0x8000, v14, v113
	v_and_or_b32 v13, 0x380, v13, v14
	s_delay_alu instid0(VALU_DEP_1)
	v_cvt_f32_f16_e32 v113, v13
.LBB346_1043:                           ;   in Loop: Header=BB346_806 Depth=1
	s_or_b32 exec_lo, exec_lo, s15
.LBB346_1044:                           ;   in Loop: Header=BB346_806 Depth=1
	s_delay_alu instid0(SALU_CYCLE_1)
	s_or_b32 exec_lo, exec_lo, s13
.LBB346_1045:                           ;   in Loop: Header=BB346_806 Depth=1
	s_delay_alu instid0(SALU_CYCLE_1) | instskip(SKIP_2) | instid1(VALU_DEP_1)
	s_or_b32 exec_lo, exec_lo, s12
	v_lshrrev_b16 v0, 8, v0
	s_mov_b32 s12, exec_lo
	v_cmpx_ne_u16_e32 0, v0
	s_cbranch_execz .LBB346_1053
; %bb.1046:                             ;   in Loop: Header=BB346_806 Depth=1
	v_bfrev_b32_e32 v114, 1
	s_mov_b32 s13, exec_lo
	v_cmpx_ne_u16_e32 0x80, v0
	s_cbranch_execz .LBB346_1052
; %bb.1047:                             ;   in Loop: Header=BB346_806 Depth=1
	v_and_b32_e32 v115, 0xffff, v0
	v_mov_b32_e32 v114, 0x7fc02000
	s_mov_b32 s15, exec_lo
	s_delay_alu instid0(VALU_DEP_2) | instskip(NEXT) | instid1(VALU_DEP_1)
	v_and_b32_e32 v13, 0x7f, v115
	v_cmpx_ne_u32_e32 0x7f, v13
	s_cbranch_execz .LBB346_1051
; %bb.1048:                             ;   in Loop: Header=BB346_806 Depth=1
	v_and_b32_e32 v0, 7, v115
	v_lshrrev_b32_e32 v114, 3, v13
	v_cmp_gt_u32_e64 s0, 8, v13
	s_delay_alu instid0(VALU_DEP_3) | instskip(NEXT) | instid1(VALU_DEP_2)
	v_dual_mov_b32 v14, v1 :: v_dual_mov_b32 v13, v0
	s_and_saveexec_b32 s16, s0
; %bb.1049:                             ;   in Loop: Header=BB346_806 Depth=1
	v_clz_i32_u32_e32 v13, v0
	s_delay_alu instid0(VALU_DEP_1) | instskip(NEXT) | instid1(VALU_DEP_1)
	v_min_u32_e32 v114, 32, v13
	v_subrev_nc_u32_e32 v13, 28, v114
	v_sub_nc_u32_e32 v114, 29, v114
	s_delay_alu instid0(VALU_DEP_2) | instskip(NEXT) | instid1(VALU_DEP_1)
	v_lshlrev_b64 v[13:14], v13, v[0:1]
	v_and_b32_e32 v13, 7, v13
; %bb.1050:                             ;   in Loop: Header=BB346_806 Depth=1
	s_or_b32 exec_lo, exec_lo, s16
	v_lshlrev_b32_e32 v0, 8, v115
	v_lshl_add_u32 v14, v114, 10, 0x2000
	s_delay_alu instid0(VALU_DEP_1) | instskip(NEXT) | instid1(VALU_DEP_1)
	v_and_or_b32 v0, 0x8000, v0, v14
	v_lshl_or_b32 v0, v13, 7, v0
	s_delay_alu instid0(VALU_DEP_1)
	v_cvt_f32_f16_e32 v114, v0
.LBB346_1051:                           ;   in Loop: Header=BB346_806 Depth=1
	s_or_b32 exec_lo, exec_lo, s15
.LBB346_1052:                           ;   in Loop: Header=BB346_806 Depth=1
	s_delay_alu instid0(SALU_CYCLE_1)
	s_or_b32 exec_lo, exec_lo, s13
.LBB346_1053:                           ;   in Loop: Header=BB346_806 Depth=1
	s_delay_alu instid0(SALU_CYCLE_1) | instskip(SKIP_3) | instid1(VALU_DEP_2)
	s_or_b32 exec_lo, exec_lo, s12
	v_lshrrev_b32_e32 v116, 16, v12
	v_mov_b32_e32 v13, 0
	s_mov_b32 s12, exec_lo
	v_dual_mov_b32 v115, 0 :: v_dual_and_b32 v0, 0xff, v116
	s_delay_alu instid0(VALU_DEP_1)
	v_cmpx_ne_u16_e32 0, v0
	s_cbranch_execz .LBB346_1061
; %bb.1054:                             ;   in Loop: Header=BB346_806 Depth=1
	v_bfrev_b32_e32 v13, 1
	s_mov_b32 s13, exec_lo
	v_cmpx_ne_u16_e32 0x80, v0
	s_cbranch_execz .LBB346_1060
; %bb.1055:                             ;   in Loop: Header=BB346_806 Depth=1
	v_bfe_u32 v14, v12, 16, 7
	v_mov_b32_e32 v13, 0x7fc02000
	s_mov_b32 s15, exec_lo
	s_delay_alu instid0(VALU_DEP_2)
	v_cmpx_ne_u32_e32 0x7f, v14
	s_cbranch_execz .LBB346_1059
; %bb.1056:                             ;   in Loop: Header=BB346_806 Depth=1
	v_and_b32_e32 v0, 7, v116
	v_lshrrev_b32_e32 v117, 3, v14
	v_cmp_gt_u32_e64 s0, 8, v14
	s_delay_alu instid0(VALU_DEP_3) | instskip(NEXT) | instid1(VALU_DEP_2)
	v_dual_mov_b32 v14, v1 :: v_dual_mov_b32 v13, v0
	s_and_saveexec_b32 s16, s0
; %bb.1057:                             ;   in Loop: Header=BB346_806 Depth=1
	v_clz_i32_u32_e32 v13, v0
	s_delay_alu instid0(VALU_DEP_1) | instskip(NEXT) | instid1(VALU_DEP_1)
	v_min_u32_e32 v117, 32, v13
	v_subrev_nc_u32_e32 v13, 28, v117
	v_sub_nc_u32_e32 v117, 29, v117
	s_delay_alu instid0(VALU_DEP_2) | instskip(NEXT) | instid1(VALU_DEP_1)
	v_lshlrev_b64 v[13:14], v13, v[0:1]
	v_and_b32_e32 v13, 7, v13
; %bb.1058:                             ;   in Loop: Header=BB346_806 Depth=1
	s_or_b32 exec_lo, exec_lo, s16
	v_lshlrev_b32_e32 v0, 8, v116
	v_lshl_add_u32 v14, v117, 10, 0x2000
	s_delay_alu instid0(VALU_DEP_1) | instskip(NEXT) | instid1(VALU_DEP_1)
	v_and_or_b32 v0, 0x8000, v0, v14
	v_lshl_or_b32 v0, v13, 7, v0
	s_delay_alu instid0(VALU_DEP_1)
	v_cvt_f32_f16_e32 v13, v0
.LBB346_1059:                           ;   in Loop: Header=BB346_806 Depth=1
	s_or_b32 exec_lo, exec_lo, s15
.LBB346_1060:                           ;   in Loop: Header=BB346_806 Depth=1
	s_delay_alu instid0(SALU_CYCLE_1)
	s_or_b32 exec_lo, exec_lo, s13
.LBB346_1061:                           ;   in Loop: Header=BB346_806 Depth=1
	s_delay_alu instid0(SALU_CYCLE_1) | instskip(NEXT) | instid1(SALU_CYCLE_1)
	s_or_b32 exec_lo, exec_lo, s12
	s_mov_b32 s12, exec_lo
	v_cmpx_lt_u64_e64 s[8:9], v[11:12]
	s_cbranch_execz .LBB346_1069
; %bb.1062:                             ;   in Loop: Header=BB346_806 Depth=1
	v_lshrrev_b32_e32 v14, 24, v12
	v_bfrev_b32_e32 v115, 1
	s_mov_b32 s13, exec_lo
	s_delay_alu instid0(VALU_DEP_2)
	v_cmpx_ne_u32_e32 0x80, v14
	s_cbranch_execz .LBB346_1068
; %bb.1063:                             ;   in Loop: Header=BB346_806 Depth=1
	v_and_b32_e32 v11, 0x7f, v14
	v_mov_b32_e32 v115, 0x7fc02000
	s_mov_b32 s15, exec_lo
	s_delay_alu instid0(VALU_DEP_2)
	v_cmpx_ne_u32_e32 0x7f, v11
	s_cbranch_execz .LBB346_1067
; %bb.1064:                             ;   in Loop: Header=BB346_806 Depth=1
	v_and_b32_e32 v0, 7, v14
	v_lshrrev_b32_e32 v115, 3, v11
	v_cmp_gt_u32_e64 s0, 8, v11
	s_delay_alu instid0(VALU_DEP_3) | instskip(NEXT) | instid1(VALU_DEP_2)
	v_dual_mov_b32 v12, v1 :: v_dual_mov_b32 v11, v0
	s_and_saveexec_b32 s16, s0
; %bb.1065:                             ;   in Loop: Header=BB346_806 Depth=1
	v_clz_i32_u32_e32 v11, v0
	s_delay_alu instid0(VALU_DEP_1) | instskip(NEXT) | instid1(VALU_DEP_1)
	v_min_u32_e32 v115, 32, v11
	v_subrev_nc_u32_e32 v11, 28, v115
	v_sub_nc_u32_e32 v115, 29, v115
	s_delay_alu instid0(VALU_DEP_2) | instskip(NEXT) | instid1(VALU_DEP_1)
	v_lshlrev_b64 v[11:12], v11, v[0:1]
	v_and_b32_e32 v11, 7, v11
; %bb.1066:                             ;   in Loop: Header=BB346_806 Depth=1
	s_or_b32 exec_lo, exec_lo, s16
	v_lshlrev_b32_e32 v0, 8, v14
	v_lshl_add_u32 v12, v115, 10, 0x2000
	s_delay_alu instid0(VALU_DEP_1) | instskip(NEXT) | instid1(VALU_DEP_1)
	v_and_or_b32 v0, 0x8000, v0, v12
	v_lshl_or_b32 v0, v11, 7, v0
	s_delay_alu instid0(VALU_DEP_1)
	v_cvt_f32_f16_e32 v115, v0
.LBB346_1067:                           ;   in Loop: Header=BB346_806 Depth=1
	s_or_b32 exec_lo, exec_lo, s15
.LBB346_1068:                           ;   in Loop: Header=BB346_806 Depth=1
	s_delay_alu instid0(SALU_CYCLE_1)
	s_or_b32 exec_lo, exec_lo, s13
.LBB346_1069:                           ;   in Loop: Header=BB346_806 Depth=1
	s_delay_alu instid0(SALU_CYCLE_1)
	s_or_b32 exec_lo, exec_lo, s12
	s_waitcnt vmcnt(0) lgkmcnt(0)
	v_fma_mixlo_f16 v12, v100, v102, 0
	v_fma_mixlo_f16 v0, v100, v112, 0
	;; [unrolled: 1-line block ×5, first 2 shown]
	v_lshlrev_b32_e32 v14, 16, v12
	v_fma_mixlo_f16 v103, v100, v113, 0
	v_fma_mixlo_f16 v112, v100, v115, 0
	;; [unrolled: 1-line block ×3, first 2 shown]
	v_lshlrev_b32_e32 v0, 16, v0
	v_and_b32_e32 v11, 0xffff, v11
	v_and_b32_e32 v100, 0xffff, v101
	v_lshlrev_b32_e32 v101, 16, v102
	v_and_b32_e32 v102, 0xffff, v103
	v_lshlrev_b32_e32 v103, 16, v112
	v_and_b32_e32 v112, 0xffff, v12
	v_or_b32_e32 v13, v0, v11
	v_or_b32_e32 v14, v14, v100
	;; [unrolled: 1-line block ×3, first 2 shown]
	s_delay_alu instid0(VALU_DEP_4)
	v_or_b32_e32 v11, v103, v112
	s_and_saveexec_b32 s12, vcc_lo
	s_cbranch_execz .LBB346_1071
; %bb.1070:                             ;   in Loop: Header=BB346_806 Depth=1
	v_cmp_lt_i32_e64 s0, v19, v38
	v_lshrrev_b32_e32 v100, 16, v14
	v_lshrrev_b32_e32 v101, 16, v13
	;; [unrolled: 1-line block ×4, first 2 shown]
	v_cndmask_b32_e64 v14, 0, v14, s0
	v_cmp_lt_i32_e64 s0, v84, v55
	s_delay_alu instid0(VALU_DEP_1) | instskip(SKIP_1) | instid1(VALU_DEP_2)
	v_cndmask_b32_e64 v100, 0, v100, s0
	v_cmp_lt_i32_e64 s0, v83, v55
	v_perm_b32 v14, v100, v14, 0x5040100
	s_delay_alu instid0(VALU_DEP_2) | instskip(SKIP_1) | instid1(VALU_DEP_1)
	v_cndmask_b32_e64 v101, 0, v101, s0
	v_cmp_lt_i32_e64 s0, v71, v38
	v_cndmask_b32_e64 v13, 0, v13, s0
	v_cmp_lt_i32_e64 s0, v70, v55
	s_delay_alu instid0(VALU_DEP_2) | instskip(NEXT) | instid1(VALU_DEP_2)
	v_perm_b32 v13, v101, v13, 0x5040100
	v_cndmask_b32_e64 v102, 0, v102, s0
	v_cmp_lt_i32_e64 s0, v69, v38
	s_delay_alu instid0(VALU_DEP_1) | instskip(SKIP_1) | instid1(VALU_DEP_2)
	v_cndmask_b32_e64 v0, 0, v0, s0
	v_cmp_lt_i32_e64 s0, v68, v55
	v_perm_b32 v0, v102, v0, 0x5040100
	s_delay_alu instid0(VALU_DEP_2) | instskip(SKIP_1) | instid1(VALU_DEP_1)
	v_cndmask_b32_e64 v11, 0, v11, s0
	v_cmp_lt_i32_e64 s0, v64, v38
	v_cndmask_b32_e64 v12, 0, v12, s0
	s_delay_alu instid0(VALU_DEP_1)
	v_perm_b32 v11, v11, v12, 0x5040100
.LBB346_1071:                           ;   in Loop: Header=BB346_806 Depth=1
	s_or_b32 exec_lo, exec_lo, s12
	;;#ASMSTART
	v_pk_mul_f16 v12, v87, v14;

	;;#ASMEND
	;;#ASMSTART
	v_pk_mul_f16 v13, v86, v13;

	;;#ASMEND
	;; [unrolled: 4-line block ×4, first 2 shown]
	;;#ASMSTART
	v_pk_add_f16 v12, v12, v13;

	;;#ASMEND
	;;#ASMSTART
	v_pk_add_f16 v0, v12, v0;

	;;#ASMEND
	;; [unrolled: 4-line block ×3, first 2 shown]
	v_dual_mov_b32 v112, 0 :: v_dual_and_b32 v11, 0xffff, v0
	v_lshrrev_b32_e32 v0, 16, v0
	;;#ASMSTART
	v_cvt_f32_f16 v100, v11;
	;;#ASMEND
	;;#ASMSTART
	v_cvt_f32_f16 v101, v0;
	;;#ASMEND
	flat_load_b64 v[11:12], v[9:10] offset:1024
	flat_load_b32 v102, v[26:27]
	s_mov_b32 s12, exec_lo
	s_waitcnt vmcnt(1) lgkmcnt(1)
	v_dual_mov_b32 v103, 0 :: v_dual_and_b32 v0, 0xff, v11
	s_delay_alu instid0(VALU_DEP_1)
	v_cmpx_ne_u16_e32 0, v0
	s_cbranch_execz .LBB346_1079
; %bb.1072:                             ;   in Loop: Header=BB346_806 Depth=1
	v_bfrev_b32_e32 v103, 1
	s_mov_b32 s13, exec_lo
	v_cmpx_ne_u16_e32 0x80, v0
	s_cbranch_execz .LBB346_1078
; %bb.1073:                             ;   in Loop: Header=BB346_806 Depth=1
	v_and_b32_e32 v13, 0x7f, v11
	v_mov_b32_e32 v103, 0x7fc02000
	s_mov_b32 s15, exec_lo
	s_delay_alu instid0(VALU_DEP_2)
	v_cmpx_ne_u32_e32 0x7f, v13
	s_cbranch_execz .LBB346_1077
; %bb.1074:                             ;   in Loop: Header=BB346_806 Depth=1
	v_lshrrev_b32_e32 v0, 3, v13
	v_cmp_gt_u32_e64 s0, 8, v13
	v_dual_mov_b32 v14, v12 :: v_dual_mov_b32 v13, v11
	s_delay_alu instid0(VALU_DEP_2)
	s_and_saveexec_b32 s16, s0
; %bb.1075:                             ;   in Loop: Header=BB346_806 Depth=1
	v_and_b32_e32 v0, 7, v11
	s_delay_alu instid0(VALU_DEP_1) | instskip(NEXT) | instid1(VALU_DEP_1)
	v_clz_i32_u32_e32 v0, v0
	v_min_u32_e32 v0, 32, v0
	s_delay_alu instid0(VALU_DEP_1) | instskip(SKIP_1) | instid1(VALU_DEP_2)
	v_subrev_nc_u32_e32 v13, 28, v0
	v_sub_nc_u32_e32 v0, 29, v0
	v_lshlrev_b64 v[13:14], v13, v[11:12]
; %bb.1076:                             ;   in Loop: Header=BB346_806 Depth=1
	s_or_b32 exec_lo, exec_lo, s16
	v_lshlrev_b32_e32 v14, 8, v11
	s_delay_alu instid0(VALU_DEP_3) | instskip(NEXT) | instid1(VALU_DEP_3)
	v_lshl_add_u32 v0, v0, 10, 0x2000
	v_lshlrev_b32_e32 v13, 7, v13
	s_delay_alu instid0(VALU_DEP_2) | instskip(NEXT) | instid1(VALU_DEP_1)
	v_and_or_b32 v0, 0x8000, v14, v0
	v_and_or_b32 v0, 0x380, v13, v0
	s_delay_alu instid0(VALU_DEP_1)
	v_cvt_f32_f16_e32 v103, v0
.LBB346_1077:                           ;   in Loop: Header=BB346_806 Depth=1
	s_or_b32 exec_lo, exec_lo, s15
.LBB346_1078:                           ;   in Loop: Header=BB346_806 Depth=1
	s_delay_alu instid0(SALU_CYCLE_1)
	s_or_b32 exec_lo, exec_lo, s13
.LBB346_1079:                           ;   in Loop: Header=BB346_806 Depth=1
	s_delay_alu instid0(SALU_CYCLE_1) | instskip(SKIP_2) | instid1(VALU_DEP_1)
	s_or_b32 exec_lo, exec_lo, s12
	v_lshrrev_b16 v0, 8, v11
	s_mov_b32 s12, exec_lo
	v_cmpx_ne_u16_e32 0, v0
	s_cbranch_execz .LBB346_1087
; %bb.1080:                             ;   in Loop: Header=BB346_806 Depth=1
	v_bfrev_b32_e32 v112, 1
	s_mov_b32 s13, exec_lo
	v_cmpx_ne_u16_e32 0x80, v0
	s_cbranch_execz .LBB346_1086
; %bb.1081:                             ;   in Loop: Header=BB346_806 Depth=1
	v_and_b32_e32 v113, 0xffff, v0
	v_mov_b32_e32 v112, 0x7fc02000
	s_mov_b32 s15, exec_lo
	s_delay_alu instid0(VALU_DEP_2) | instskip(NEXT) | instid1(VALU_DEP_1)
	v_and_b32_e32 v13, 0x7f, v113
	v_cmpx_ne_u32_e32 0x7f, v13
	s_cbranch_execz .LBB346_1085
; %bb.1082:                             ;   in Loop: Header=BB346_806 Depth=1
	v_and_b32_e32 v0, 7, v113
	v_lshrrev_b32_e32 v112, 3, v13
	v_cmp_gt_u32_e64 s0, 8, v13
	s_delay_alu instid0(VALU_DEP_3) | instskip(NEXT) | instid1(VALU_DEP_2)
	v_dual_mov_b32 v14, v1 :: v_dual_mov_b32 v13, v0
	s_and_saveexec_b32 s16, s0
; %bb.1083:                             ;   in Loop: Header=BB346_806 Depth=1
	v_clz_i32_u32_e32 v13, v0
	s_delay_alu instid0(VALU_DEP_1) | instskip(NEXT) | instid1(VALU_DEP_1)
	v_min_u32_e32 v112, 32, v13
	v_subrev_nc_u32_e32 v13, 28, v112
	v_sub_nc_u32_e32 v112, 29, v112
	s_delay_alu instid0(VALU_DEP_2) | instskip(NEXT) | instid1(VALU_DEP_1)
	v_lshlrev_b64 v[13:14], v13, v[0:1]
	v_and_b32_e32 v13, 7, v13
; %bb.1084:                             ;   in Loop: Header=BB346_806 Depth=1
	s_or_b32 exec_lo, exec_lo, s16
	v_lshlrev_b32_e32 v0, 8, v113
	v_lshl_add_u32 v14, v112, 10, 0x2000
	s_delay_alu instid0(VALU_DEP_1) | instskip(NEXT) | instid1(VALU_DEP_1)
	v_and_or_b32 v0, 0x8000, v0, v14
	v_lshl_or_b32 v0, v13, 7, v0
	s_delay_alu instid0(VALU_DEP_1)
	v_cvt_f32_f16_e32 v112, v0
.LBB346_1085:                           ;   in Loop: Header=BB346_806 Depth=1
	s_or_b32 exec_lo, exec_lo, s15
.LBB346_1086:                           ;   in Loop: Header=BB346_806 Depth=1
	s_delay_alu instid0(SALU_CYCLE_1)
	s_or_b32 exec_lo, exec_lo, s13
.LBB346_1087:                           ;   in Loop: Header=BB346_806 Depth=1
	s_delay_alu instid0(SALU_CYCLE_1) | instskip(SKIP_3) | instid1(VALU_DEP_2)
	s_or_b32 exec_lo, exec_lo, s12
	v_lshrrev_b32_e32 v115, 16, v11
	v_mov_b32_e32 v114, 0
	s_mov_b32 s12, exec_lo
	v_dual_mov_b32 v113, 0 :: v_dual_and_b32 v0, 0xff, v115
	s_delay_alu instid0(VALU_DEP_1)
	v_cmpx_ne_u16_e32 0, v0
	s_cbranch_execz .LBB346_1095
; %bb.1088:                             ;   in Loop: Header=BB346_806 Depth=1
	v_bfrev_b32_e32 v113, 1
	s_mov_b32 s13, exec_lo
	v_cmpx_ne_u16_e32 0x80, v0
	s_cbranch_execz .LBB346_1094
; %bb.1089:                             ;   in Loop: Header=BB346_806 Depth=1
	v_bfe_u32 v13, v11, 16, 7
	v_mov_b32_e32 v113, 0x7fc02000
	s_mov_b32 s15, exec_lo
	s_delay_alu instid0(VALU_DEP_2)
	v_cmpx_ne_u32_e32 0x7f, v13
	s_cbranch_execz .LBB346_1093
; %bb.1090:                             ;   in Loop: Header=BB346_806 Depth=1
	v_and_b32_e32 v0, 7, v115
	v_lshrrev_b32_e32 v113, 3, v13
	v_cmp_gt_u32_e64 s0, 8, v13
	s_delay_alu instid0(VALU_DEP_3) | instskip(NEXT) | instid1(VALU_DEP_2)
	v_dual_mov_b32 v14, v1 :: v_dual_mov_b32 v13, v0
	s_and_saveexec_b32 s16, s0
; %bb.1091:                             ;   in Loop: Header=BB346_806 Depth=1
	v_clz_i32_u32_e32 v13, v0
	s_delay_alu instid0(VALU_DEP_1) | instskip(NEXT) | instid1(VALU_DEP_1)
	v_min_u32_e32 v113, 32, v13
	v_subrev_nc_u32_e32 v13, 28, v113
	v_sub_nc_u32_e32 v113, 29, v113
	s_delay_alu instid0(VALU_DEP_2) | instskip(NEXT) | instid1(VALU_DEP_1)
	v_lshlrev_b64 v[13:14], v13, v[0:1]
	v_and_b32_e32 v13, 7, v13
; %bb.1092:                             ;   in Loop: Header=BB346_806 Depth=1
	s_or_b32 exec_lo, exec_lo, s16
	v_lshlrev_b32_e32 v0, 8, v115
	v_lshl_add_u32 v14, v113, 10, 0x2000
	s_delay_alu instid0(VALU_DEP_1) | instskip(NEXT) | instid1(VALU_DEP_1)
	v_and_or_b32 v0, 0x8000, v0, v14
	v_lshl_or_b32 v0, v13, 7, v0
	s_delay_alu instid0(VALU_DEP_1)
	v_cvt_f32_f16_e32 v113, v0
.LBB346_1093:                           ;   in Loop: Header=BB346_806 Depth=1
	s_or_b32 exec_lo, exec_lo, s15
.LBB346_1094:                           ;   in Loop: Header=BB346_806 Depth=1
	s_delay_alu instid0(SALU_CYCLE_1)
	s_or_b32 exec_lo, exec_lo, s13
.LBB346_1095:                           ;   in Loop: Header=BB346_806 Depth=1
	s_delay_alu instid0(SALU_CYCLE_1) | instskip(NEXT) | instid1(SALU_CYCLE_1)
	s_or_b32 exec_lo, exec_lo, s12
	s_mov_b32 s12, exec_lo
	v_cmpx_lt_u32_e32 0xffffff, v11
	s_cbranch_execz .LBB346_1103
; %bb.1096:                             ;   in Loop: Header=BB346_806 Depth=1
	v_lshrrev_b32_e32 v115, 24, v11
	v_bfrev_b32_e32 v114, 1
	s_mov_b32 s13, exec_lo
	s_delay_alu instid0(VALU_DEP_2)
	v_cmpx_ne_u32_e32 0x80, v115
	s_cbranch_execz .LBB346_1102
; %bb.1097:                             ;   in Loop: Header=BB346_806 Depth=1
	v_and_b32_e32 v13, 0x7f, v115
	v_mov_b32_e32 v114, 0x7fc02000
	s_mov_b32 s15, exec_lo
	s_delay_alu instid0(VALU_DEP_2)
	v_cmpx_ne_u32_e32 0x7f, v13
	s_cbranch_execz .LBB346_1101
; %bb.1098:                             ;   in Loop: Header=BB346_806 Depth=1
	v_and_b32_e32 v0, 7, v115
	v_lshrrev_b32_e32 v114, 3, v13
	v_cmp_gt_u32_e64 s0, 8, v13
	s_delay_alu instid0(VALU_DEP_3) | instskip(NEXT) | instid1(VALU_DEP_2)
	v_dual_mov_b32 v14, v1 :: v_dual_mov_b32 v13, v0
	s_and_saveexec_b32 s16, s0
; %bb.1099:                             ;   in Loop: Header=BB346_806 Depth=1
	v_clz_i32_u32_e32 v13, v0
	s_delay_alu instid0(VALU_DEP_1) | instskip(NEXT) | instid1(VALU_DEP_1)
	v_min_u32_e32 v114, 32, v13
	v_subrev_nc_u32_e32 v13, 28, v114
	v_sub_nc_u32_e32 v114, 29, v114
	s_delay_alu instid0(VALU_DEP_2) | instskip(NEXT) | instid1(VALU_DEP_1)
	v_lshlrev_b64 v[13:14], v13, v[0:1]
	v_and_b32_e32 v13, 7, v13
; %bb.1100:                             ;   in Loop: Header=BB346_806 Depth=1
	s_or_b32 exec_lo, exec_lo, s16
	v_lshlrev_b32_e32 v0, 8, v115
	v_lshl_add_u32 v14, v114, 10, 0x2000
	s_delay_alu instid0(VALU_DEP_1) | instskip(NEXT) | instid1(VALU_DEP_1)
	v_and_or_b32 v0, 0x8000, v0, v14
	v_lshl_or_b32 v0, v13, 7, v0
	s_delay_alu instid0(VALU_DEP_1)
	v_cvt_f32_f16_e32 v114, v0
.LBB346_1101:                           ;   in Loop: Header=BB346_806 Depth=1
	s_or_b32 exec_lo, exec_lo, s15
.LBB346_1102:                           ;   in Loop: Header=BB346_806 Depth=1
	s_delay_alu instid0(SALU_CYCLE_1)
	s_or_b32 exec_lo, exec_lo, s13
.LBB346_1103:                           ;   in Loop: Header=BB346_806 Depth=1
	s_delay_alu instid0(SALU_CYCLE_1) | instskip(SKIP_3) | instid1(VALU_DEP_2)
	s_or_b32 exec_lo, exec_lo, s12
	v_dual_mov_b32 v0, v12 :: v_dual_and_b32 v13, 0xff, v12
	v_dual_mov_b32 v116, 0 :: v_dual_mov_b32 v115, 0
	s_mov_b32 s12, exec_lo
	v_cmpx_ne_u16_e32 0, v13
	s_cbranch_execz .LBB346_1111
; %bb.1104:                             ;   in Loop: Header=BB346_806 Depth=1
	v_bfrev_b32_e32 v115, 1
	s_mov_b32 s13, exec_lo
	v_cmpx_ne_u16_e32 0x80, v13
	s_cbranch_execz .LBB346_1110
; %bb.1105:                             ;   in Loop: Header=BB346_806 Depth=1
	v_and_b32_e32 v13, 0x7f, v12
	v_mov_b32_e32 v115, 0x7fc02000
	s_mov_b32 s15, exec_lo
	s_delay_alu instid0(VALU_DEP_2)
	v_cmpx_ne_u32_e32 0x7f, v13
	s_cbranch_execz .LBB346_1109
; %bb.1106:                             ;   in Loop: Header=BB346_806 Depth=1
	v_lshrrev_b32_e32 v115, 3, v13
	v_cmp_gt_u32_e64 s0, 8, v13
	v_dual_mov_b32 v14, v1 :: v_dual_mov_b32 v13, v0
	s_delay_alu instid0(VALU_DEP_2)
	s_and_saveexec_b32 s16, s0
; %bb.1107:                             ;   in Loop: Header=BB346_806 Depth=1
	v_and_b32_e32 v13, 7, v12
	s_delay_alu instid0(VALU_DEP_1) | instskip(NEXT) | instid1(VALU_DEP_1)
	v_clz_i32_u32_e32 v13, v13
	v_min_u32_e32 v115, 32, v13
	s_delay_alu instid0(VALU_DEP_1) | instskip(SKIP_1) | instid1(VALU_DEP_2)
	v_subrev_nc_u32_e32 v13, 28, v115
	v_sub_nc_u32_e32 v115, 29, v115
	v_lshlrev_b64 v[13:14], v13, v[0:1]
; %bb.1108:                             ;   in Loop: Header=BB346_806 Depth=1
	s_or_b32 exec_lo, exec_lo, s16
	v_lshlrev_b32_e32 v14, 8, v12
	s_delay_alu instid0(VALU_DEP_3) | instskip(NEXT) | instid1(VALU_DEP_3)
	v_lshl_add_u32 v115, v115, 10, 0x2000
	v_lshlrev_b32_e32 v13, 7, v13
	s_delay_alu instid0(VALU_DEP_2) | instskip(NEXT) | instid1(VALU_DEP_1)
	v_and_or_b32 v14, 0x8000, v14, v115
	v_and_or_b32 v13, 0x380, v13, v14
	s_delay_alu instid0(VALU_DEP_1)
	v_cvt_f32_f16_e32 v115, v13
.LBB346_1109:                           ;   in Loop: Header=BB346_806 Depth=1
	s_or_b32 exec_lo, exec_lo, s15
.LBB346_1110:                           ;   in Loop: Header=BB346_806 Depth=1
	s_delay_alu instid0(SALU_CYCLE_1)
	s_or_b32 exec_lo, exec_lo, s13
.LBB346_1111:                           ;   in Loop: Header=BB346_806 Depth=1
	s_delay_alu instid0(SALU_CYCLE_1) | instskip(SKIP_2) | instid1(VALU_DEP_1)
	s_or_b32 exec_lo, exec_lo, s12
	v_lshrrev_b16 v0, 8, v0
	s_mov_b32 s12, exec_lo
	v_cmpx_ne_u16_e32 0, v0
	s_cbranch_execz .LBB346_1119
; %bb.1112:                             ;   in Loop: Header=BB346_806 Depth=1
	v_bfrev_b32_e32 v116, 1
	s_mov_b32 s13, exec_lo
	v_cmpx_ne_u16_e32 0x80, v0
	s_cbranch_execz .LBB346_1118
; %bb.1113:                             ;   in Loop: Header=BB346_806 Depth=1
	v_and_b32_e32 v117, 0xffff, v0
	v_mov_b32_e32 v116, 0x7fc02000
	s_mov_b32 s15, exec_lo
	s_delay_alu instid0(VALU_DEP_2) | instskip(NEXT) | instid1(VALU_DEP_1)
	v_and_b32_e32 v13, 0x7f, v117
	v_cmpx_ne_u32_e32 0x7f, v13
	s_cbranch_execz .LBB346_1117
; %bb.1114:                             ;   in Loop: Header=BB346_806 Depth=1
	v_and_b32_e32 v0, 7, v117
	v_lshrrev_b32_e32 v116, 3, v13
	v_cmp_gt_u32_e64 s0, 8, v13
	s_delay_alu instid0(VALU_DEP_3) | instskip(NEXT) | instid1(VALU_DEP_2)
	v_dual_mov_b32 v14, v1 :: v_dual_mov_b32 v13, v0
	s_and_saveexec_b32 s16, s0
; %bb.1115:                             ;   in Loop: Header=BB346_806 Depth=1
	v_clz_i32_u32_e32 v13, v0
	s_delay_alu instid0(VALU_DEP_1) | instskip(NEXT) | instid1(VALU_DEP_1)
	v_min_u32_e32 v116, 32, v13
	v_subrev_nc_u32_e32 v13, 28, v116
	v_sub_nc_u32_e32 v116, 29, v116
	s_delay_alu instid0(VALU_DEP_2) | instskip(NEXT) | instid1(VALU_DEP_1)
	v_lshlrev_b64 v[13:14], v13, v[0:1]
	v_and_b32_e32 v13, 7, v13
; %bb.1116:                             ;   in Loop: Header=BB346_806 Depth=1
	s_or_b32 exec_lo, exec_lo, s16
	v_lshlrev_b32_e32 v0, 8, v117
	v_lshl_add_u32 v14, v116, 10, 0x2000
	s_delay_alu instid0(VALU_DEP_1) | instskip(NEXT) | instid1(VALU_DEP_1)
	v_and_or_b32 v0, 0x8000, v0, v14
	v_lshl_or_b32 v0, v13, 7, v0
	s_delay_alu instid0(VALU_DEP_1)
	v_cvt_f32_f16_e32 v116, v0
.LBB346_1117:                           ;   in Loop: Header=BB346_806 Depth=1
	s_or_b32 exec_lo, exec_lo, s15
.LBB346_1118:                           ;   in Loop: Header=BB346_806 Depth=1
	s_delay_alu instid0(SALU_CYCLE_1)
	s_or_b32 exec_lo, exec_lo, s13
.LBB346_1119:                           ;   in Loop: Header=BB346_806 Depth=1
	s_delay_alu instid0(SALU_CYCLE_1) | instskip(SKIP_3) | instid1(VALU_DEP_2)
	s_or_b32 exec_lo, exec_lo, s12
	v_lshrrev_b32_e32 v118, 16, v12
	v_mov_b32_e32 v13, 0
	s_mov_b32 s12, exec_lo
	v_dual_mov_b32 v117, 0 :: v_dual_and_b32 v0, 0xff, v118
	s_delay_alu instid0(VALU_DEP_1)
	v_cmpx_ne_u16_e32 0, v0
	s_cbranch_execz .LBB346_1127
; %bb.1120:                             ;   in Loop: Header=BB346_806 Depth=1
	v_bfrev_b32_e32 v13, 1
	s_mov_b32 s13, exec_lo
	v_cmpx_ne_u16_e32 0x80, v0
	s_cbranch_execz .LBB346_1126
; %bb.1121:                             ;   in Loop: Header=BB346_806 Depth=1
	v_bfe_u32 v14, v12, 16, 7
	v_mov_b32_e32 v13, 0x7fc02000
	s_mov_b32 s15, exec_lo
	s_delay_alu instid0(VALU_DEP_2)
	v_cmpx_ne_u32_e32 0x7f, v14
	s_cbranch_execz .LBB346_1125
; %bb.1122:                             ;   in Loop: Header=BB346_806 Depth=1
	v_and_b32_e32 v0, 7, v118
	v_lshrrev_b32_e32 v119, 3, v14
	v_cmp_gt_u32_e64 s0, 8, v14
	s_delay_alu instid0(VALU_DEP_3) | instskip(NEXT) | instid1(VALU_DEP_2)
	v_dual_mov_b32 v14, v1 :: v_dual_mov_b32 v13, v0
	s_and_saveexec_b32 s16, s0
; %bb.1123:                             ;   in Loop: Header=BB346_806 Depth=1
	v_clz_i32_u32_e32 v13, v0
	s_delay_alu instid0(VALU_DEP_1) | instskip(NEXT) | instid1(VALU_DEP_1)
	v_min_u32_e32 v119, 32, v13
	v_subrev_nc_u32_e32 v13, 28, v119
	v_sub_nc_u32_e32 v119, 29, v119
	s_delay_alu instid0(VALU_DEP_2) | instskip(NEXT) | instid1(VALU_DEP_1)
	v_lshlrev_b64 v[13:14], v13, v[0:1]
	v_and_b32_e32 v13, 7, v13
; %bb.1124:                             ;   in Loop: Header=BB346_806 Depth=1
	s_or_b32 exec_lo, exec_lo, s16
	v_lshlrev_b32_e32 v0, 8, v118
	v_lshl_add_u32 v14, v119, 10, 0x2000
	s_delay_alu instid0(VALU_DEP_1) | instskip(NEXT) | instid1(VALU_DEP_1)
	v_and_or_b32 v0, 0x8000, v0, v14
	v_lshl_or_b32 v0, v13, 7, v0
	s_delay_alu instid0(VALU_DEP_1)
	v_cvt_f32_f16_e32 v13, v0
.LBB346_1125:                           ;   in Loop: Header=BB346_806 Depth=1
	s_or_b32 exec_lo, exec_lo, s15
.LBB346_1126:                           ;   in Loop: Header=BB346_806 Depth=1
	s_delay_alu instid0(SALU_CYCLE_1)
	s_or_b32 exec_lo, exec_lo, s13
.LBB346_1127:                           ;   in Loop: Header=BB346_806 Depth=1
	s_delay_alu instid0(SALU_CYCLE_1) | instskip(NEXT) | instid1(SALU_CYCLE_1)
	s_or_b32 exec_lo, exec_lo, s12
	s_mov_b32 s12, exec_lo
	v_cmpx_lt_u64_e64 s[8:9], v[11:12]
	s_cbranch_execz .LBB346_1135
; %bb.1128:                             ;   in Loop: Header=BB346_806 Depth=1
	v_lshrrev_b32_e32 v14, 24, v12
	v_bfrev_b32_e32 v117, 1
	s_mov_b32 s13, exec_lo
	s_delay_alu instid0(VALU_DEP_2)
	v_cmpx_ne_u32_e32 0x80, v14
	s_cbranch_execz .LBB346_1134
; %bb.1129:                             ;   in Loop: Header=BB346_806 Depth=1
	v_and_b32_e32 v11, 0x7f, v14
	v_mov_b32_e32 v117, 0x7fc02000
	s_mov_b32 s15, exec_lo
	s_delay_alu instid0(VALU_DEP_2)
	v_cmpx_ne_u32_e32 0x7f, v11
	s_cbranch_execz .LBB346_1133
; %bb.1130:                             ;   in Loop: Header=BB346_806 Depth=1
	v_and_b32_e32 v0, 7, v14
	v_lshrrev_b32_e32 v117, 3, v11
	v_cmp_gt_u32_e64 s0, 8, v11
	s_delay_alu instid0(VALU_DEP_3) | instskip(NEXT) | instid1(VALU_DEP_2)
	v_dual_mov_b32 v12, v1 :: v_dual_mov_b32 v11, v0
	s_and_saveexec_b32 s16, s0
; %bb.1131:                             ;   in Loop: Header=BB346_806 Depth=1
	v_clz_i32_u32_e32 v11, v0
	s_delay_alu instid0(VALU_DEP_1) | instskip(NEXT) | instid1(VALU_DEP_1)
	v_min_u32_e32 v117, 32, v11
	v_subrev_nc_u32_e32 v11, 28, v117
	v_sub_nc_u32_e32 v117, 29, v117
	s_delay_alu instid0(VALU_DEP_2) | instskip(NEXT) | instid1(VALU_DEP_1)
	v_lshlrev_b64 v[11:12], v11, v[0:1]
	v_and_b32_e32 v11, 7, v11
; %bb.1132:                             ;   in Loop: Header=BB346_806 Depth=1
	s_or_b32 exec_lo, exec_lo, s16
	v_lshlrev_b32_e32 v0, 8, v14
	v_lshl_add_u32 v12, v117, 10, 0x2000
	s_delay_alu instid0(VALU_DEP_1) | instskip(NEXT) | instid1(VALU_DEP_1)
	v_and_or_b32 v0, 0x8000, v0, v12
	v_lshl_or_b32 v0, v11, 7, v0
	s_delay_alu instid0(VALU_DEP_1)
	v_cvt_f32_f16_e32 v117, v0
.LBB346_1133:                           ;   in Loop: Header=BB346_806 Depth=1
	s_or_b32 exec_lo, exec_lo, s15
.LBB346_1134:                           ;   in Loop: Header=BB346_806 Depth=1
	s_delay_alu instid0(SALU_CYCLE_1)
	s_or_b32 exec_lo, exec_lo, s13
.LBB346_1135:                           ;   in Loop: Header=BB346_806 Depth=1
	s_delay_alu instid0(SALU_CYCLE_1)
	s_or_b32 exec_lo, exec_lo, s12
	s_waitcnt vmcnt(0) lgkmcnt(0)
	v_fma_mixlo_f16 v12, v102, v112, 0
	v_fma_mixlo_f16 v0, v102, v114, 0
	;; [unrolled: 1-line block ×5, first 2 shown]
	v_lshlrev_b32_e32 v14, 16, v12
	v_fma_mixlo_f16 v113, v102, v115, 0
	v_fma_mixlo_f16 v114, v102, v117, 0
	;; [unrolled: 1-line block ×3, first 2 shown]
	v_lshlrev_b32_e32 v0, 16, v0
	v_and_b32_e32 v11, 0xffff, v11
	v_and_b32_e32 v102, 0xffff, v103
	v_lshlrev_b32_e32 v103, 16, v112
	v_and_b32_e32 v112, 0xffff, v113
	v_lshlrev_b32_e32 v113, 16, v114
	v_and_b32_e32 v114, 0xffff, v12
	v_or_b32_e32 v13, v0, v11
	v_or_b32_e32 v14, v14, v102
	v_or_b32_e32 v0, v103, v112
	s_delay_alu instid0(VALU_DEP_4)
	v_or_b32_e32 v11, v113, v114
	s_and_saveexec_b32 s12, vcc_lo
	s_cbranch_execz .LBB346_1137
; %bb.1136:                             ;   in Loop: Header=BB346_806 Depth=1
	v_cmp_lt_i32_e64 s0, v19, v38
	v_lshrrev_b32_e32 v102, 16, v14
	v_lshrrev_b32_e32 v103, 16, v13
	;; [unrolled: 1-line block ×4, first 2 shown]
	v_cndmask_b32_e64 v14, 0, v14, s0
	v_cmp_lt_i32_e64 s0, v84, v55
	s_delay_alu instid0(VALU_DEP_1) | instskip(SKIP_1) | instid1(VALU_DEP_2)
	v_cndmask_b32_e64 v102, 0, v102, s0
	v_cmp_lt_i32_e64 s0, v83, v55
	v_perm_b32 v14, v102, v14, 0x5040100
	s_delay_alu instid0(VALU_DEP_2) | instskip(SKIP_1) | instid1(VALU_DEP_1)
	v_cndmask_b32_e64 v103, 0, v103, s0
	v_cmp_lt_i32_e64 s0, v71, v38
	v_cndmask_b32_e64 v13, 0, v13, s0
	v_cmp_lt_i32_e64 s0, v70, v55
	s_delay_alu instid0(VALU_DEP_2) | instskip(NEXT) | instid1(VALU_DEP_2)
	v_perm_b32 v13, v103, v13, 0x5040100
	v_cndmask_b32_e64 v112, 0, v112, s0
	v_cmp_lt_i32_e64 s0, v69, v38
	s_delay_alu instid0(VALU_DEP_1) | instskip(SKIP_1) | instid1(VALU_DEP_2)
	v_cndmask_b32_e64 v0, 0, v0, s0
	v_cmp_lt_i32_e64 s0, v68, v55
	v_perm_b32 v0, v112, v0, 0x5040100
	s_delay_alu instid0(VALU_DEP_2) | instskip(SKIP_1) | instid1(VALU_DEP_1)
	v_cndmask_b32_e64 v11, 0, v11, s0
	v_cmp_lt_i32_e64 s0, v64, v38
	v_cndmask_b32_e64 v12, 0, v12, s0
	s_delay_alu instid0(VALU_DEP_1)
	v_perm_b32 v11, v11, v12, 0x5040100
.LBB346_1137:                           ;   in Loop: Header=BB346_806 Depth=1
	s_or_b32 exec_lo, exec_lo, s12
	;;#ASMSTART
	v_pk_mul_f16 v12, v87, v14;

	;;#ASMEND
	;;#ASMSTART
	v_pk_mul_f16 v13, v86, v13;

	;;#ASMEND
	;; [unrolled: 4-line block ×4, first 2 shown]
	;;#ASMSTART
	v_pk_add_f16 v12, v12, v13;

	;;#ASMEND
	;;#ASMSTART
	v_pk_add_f16 v0, v12, v0;

	;;#ASMEND
	;; [unrolled: 4-line block ×3, first 2 shown]
	v_dual_mov_b32 v114, 0 :: v_dual_and_b32 v11, 0xffff, v0
	v_lshrrev_b32_e32 v0, 16, v0
	;;#ASMSTART
	v_cvt_f32_f16 v102, v11;
	;;#ASMEND
	;;#ASMSTART
	v_cvt_f32_f16 v103, v0;
	;;#ASMEND
	flat_load_b64 v[11:12], v[9:10] offset:1280
	flat_load_b32 v112, v[26:27]
	s_mov_b32 s12, exec_lo
	s_waitcnt vmcnt(1) lgkmcnt(1)
	v_dual_mov_b32 v113, 0 :: v_dual_and_b32 v0, 0xff, v11
	s_delay_alu instid0(VALU_DEP_1)
	v_cmpx_ne_u16_e32 0, v0
	s_cbranch_execz .LBB346_1145
; %bb.1138:                             ;   in Loop: Header=BB346_806 Depth=1
	v_bfrev_b32_e32 v113, 1
	s_mov_b32 s13, exec_lo
	v_cmpx_ne_u16_e32 0x80, v0
	s_cbranch_execz .LBB346_1144
; %bb.1139:                             ;   in Loop: Header=BB346_806 Depth=1
	v_and_b32_e32 v13, 0x7f, v11
	v_mov_b32_e32 v113, 0x7fc02000
	s_mov_b32 s15, exec_lo
	s_delay_alu instid0(VALU_DEP_2)
	v_cmpx_ne_u32_e32 0x7f, v13
	s_cbranch_execz .LBB346_1143
; %bb.1140:                             ;   in Loop: Header=BB346_806 Depth=1
	v_lshrrev_b32_e32 v0, 3, v13
	v_cmp_gt_u32_e64 s0, 8, v13
	v_dual_mov_b32 v14, v12 :: v_dual_mov_b32 v13, v11
	s_delay_alu instid0(VALU_DEP_2)
	s_and_saveexec_b32 s16, s0
; %bb.1141:                             ;   in Loop: Header=BB346_806 Depth=1
	v_and_b32_e32 v0, 7, v11
	s_delay_alu instid0(VALU_DEP_1) | instskip(NEXT) | instid1(VALU_DEP_1)
	v_clz_i32_u32_e32 v0, v0
	v_min_u32_e32 v0, 32, v0
	s_delay_alu instid0(VALU_DEP_1) | instskip(SKIP_1) | instid1(VALU_DEP_2)
	v_subrev_nc_u32_e32 v13, 28, v0
	v_sub_nc_u32_e32 v0, 29, v0
	v_lshlrev_b64 v[13:14], v13, v[11:12]
; %bb.1142:                             ;   in Loop: Header=BB346_806 Depth=1
	s_or_b32 exec_lo, exec_lo, s16
	v_lshlrev_b32_e32 v14, 8, v11
	s_delay_alu instid0(VALU_DEP_3) | instskip(NEXT) | instid1(VALU_DEP_3)
	v_lshl_add_u32 v0, v0, 10, 0x2000
	v_lshlrev_b32_e32 v13, 7, v13
	s_delay_alu instid0(VALU_DEP_2) | instskip(NEXT) | instid1(VALU_DEP_1)
	v_and_or_b32 v0, 0x8000, v14, v0
	v_and_or_b32 v0, 0x380, v13, v0
	s_delay_alu instid0(VALU_DEP_1)
	v_cvt_f32_f16_e32 v113, v0
.LBB346_1143:                           ;   in Loop: Header=BB346_806 Depth=1
	s_or_b32 exec_lo, exec_lo, s15
.LBB346_1144:                           ;   in Loop: Header=BB346_806 Depth=1
	s_delay_alu instid0(SALU_CYCLE_1)
	s_or_b32 exec_lo, exec_lo, s13
.LBB346_1145:                           ;   in Loop: Header=BB346_806 Depth=1
	s_delay_alu instid0(SALU_CYCLE_1) | instskip(SKIP_2) | instid1(VALU_DEP_1)
	s_or_b32 exec_lo, exec_lo, s12
	v_lshrrev_b16 v0, 8, v11
	s_mov_b32 s12, exec_lo
	v_cmpx_ne_u16_e32 0, v0
	s_cbranch_execz .LBB346_1153
; %bb.1146:                             ;   in Loop: Header=BB346_806 Depth=1
	v_bfrev_b32_e32 v114, 1
	s_mov_b32 s13, exec_lo
	v_cmpx_ne_u16_e32 0x80, v0
	s_cbranch_execz .LBB346_1152
; %bb.1147:                             ;   in Loop: Header=BB346_806 Depth=1
	v_and_b32_e32 v115, 0xffff, v0
	v_mov_b32_e32 v114, 0x7fc02000
	s_mov_b32 s15, exec_lo
	s_delay_alu instid0(VALU_DEP_2) | instskip(NEXT) | instid1(VALU_DEP_1)
	v_and_b32_e32 v13, 0x7f, v115
	v_cmpx_ne_u32_e32 0x7f, v13
	s_cbranch_execz .LBB346_1151
; %bb.1148:                             ;   in Loop: Header=BB346_806 Depth=1
	v_and_b32_e32 v0, 7, v115
	v_lshrrev_b32_e32 v114, 3, v13
	v_cmp_gt_u32_e64 s0, 8, v13
	s_delay_alu instid0(VALU_DEP_3) | instskip(NEXT) | instid1(VALU_DEP_2)
	v_dual_mov_b32 v14, v1 :: v_dual_mov_b32 v13, v0
	s_and_saveexec_b32 s16, s0
; %bb.1149:                             ;   in Loop: Header=BB346_806 Depth=1
	v_clz_i32_u32_e32 v13, v0
	s_delay_alu instid0(VALU_DEP_1) | instskip(NEXT) | instid1(VALU_DEP_1)
	v_min_u32_e32 v114, 32, v13
	v_subrev_nc_u32_e32 v13, 28, v114
	v_sub_nc_u32_e32 v114, 29, v114
	s_delay_alu instid0(VALU_DEP_2) | instskip(NEXT) | instid1(VALU_DEP_1)
	v_lshlrev_b64 v[13:14], v13, v[0:1]
	v_and_b32_e32 v13, 7, v13
; %bb.1150:                             ;   in Loop: Header=BB346_806 Depth=1
	s_or_b32 exec_lo, exec_lo, s16
	v_lshlrev_b32_e32 v0, 8, v115
	v_lshl_add_u32 v14, v114, 10, 0x2000
	s_delay_alu instid0(VALU_DEP_1) | instskip(NEXT) | instid1(VALU_DEP_1)
	v_and_or_b32 v0, 0x8000, v0, v14
	v_lshl_or_b32 v0, v13, 7, v0
	s_delay_alu instid0(VALU_DEP_1)
	v_cvt_f32_f16_e32 v114, v0
.LBB346_1151:                           ;   in Loop: Header=BB346_806 Depth=1
	s_or_b32 exec_lo, exec_lo, s15
.LBB346_1152:                           ;   in Loop: Header=BB346_806 Depth=1
	s_delay_alu instid0(SALU_CYCLE_1)
	s_or_b32 exec_lo, exec_lo, s13
.LBB346_1153:                           ;   in Loop: Header=BB346_806 Depth=1
	s_delay_alu instid0(SALU_CYCLE_1) | instskip(SKIP_3) | instid1(VALU_DEP_2)
	s_or_b32 exec_lo, exec_lo, s12
	v_lshrrev_b32_e32 v117, 16, v11
	v_mov_b32_e32 v116, 0
	s_mov_b32 s12, exec_lo
	v_dual_mov_b32 v115, 0 :: v_dual_and_b32 v0, 0xff, v117
	s_delay_alu instid0(VALU_DEP_1)
	v_cmpx_ne_u16_e32 0, v0
	s_cbranch_execz .LBB346_1161
; %bb.1154:                             ;   in Loop: Header=BB346_806 Depth=1
	v_bfrev_b32_e32 v115, 1
	s_mov_b32 s13, exec_lo
	v_cmpx_ne_u16_e32 0x80, v0
	s_cbranch_execz .LBB346_1160
; %bb.1155:                             ;   in Loop: Header=BB346_806 Depth=1
	v_bfe_u32 v13, v11, 16, 7
	v_mov_b32_e32 v115, 0x7fc02000
	s_mov_b32 s15, exec_lo
	s_delay_alu instid0(VALU_DEP_2)
	v_cmpx_ne_u32_e32 0x7f, v13
	s_cbranch_execz .LBB346_1159
; %bb.1156:                             ;   in Loop: Header=BB346_806 Depth=1
	v_and_b32_e32 v0, 7, v117
	v_lshrrev_b32_e32 v115, 3, v13
	v_cmp_gt_u32_e64 s0, 8, v13
	s_delay_alu instid0(VALU_DEP_3) | instskip(NEXT) | instid1(VALU_DEP_2)
	v_dual_mov_b32 v14, v1 :: v_dual_mov_b32 v13, v0
	s_and_saveexec_b32 s16, s0
; %bb.1157:                             ;   in Loop: Header=BB346_806 Depth=1
	v_clz_i32_u32_e32 v13, v0
	s_delay_alu instid0(VALU_DEP_1) | instskip(NEXT) | instid1(VALU_DEP_1)
	v_min_u32_e32 v115, 32, v13
	v_subrev_nc_u32_e32 v13, 28, v115
	v_sub_nc_u32_e32 v115, 29, v115
	s_delay_alu instid0(VALU_DEP_2) | instskip(NEXT) | instid1(VALU_DEP_1)
	v_lshlrev_b64 v[13:14], v13, v[0:1]
	v_and_b32_e32 v13, 7, v13
; %bb.1158:                             ;   in Loop: Header=BB346_806 Depth=1
	s_or_b32 exec_lo, exec_lo, s16
	v_lshlrev_b32_e32 v0, 8, v117
	v_lshl_add_u32 v14, v115, 10, 0x2000
	s_delay_alu instid0(VALU_DEP_1) | instskip(NEXT) | instid1(VALU_DEP_1)
	v_and_or_b32 v0, 0x8000, v0, v14
	v_lshl_or_b32 v0, v13, 7, v0
	s_delay_alu instid0(VALU_DEP_1)
	v_cvt_f32_f16_e32 v115, v0
.LBB346_1159:                           ;   in Loop: Header=BB346_806 Depth=1
	s_or_b32 exec_lo, exec_lo, s15
.LBB346_1160:                           ;   in Loop: Header=BB346_806 Depth=1
	s_delay_alu instid0(SALU_CYCLE_1)
	s_or_b32 exec_lo, exec_lo, s13
.LBB346_1161:                           ;   in Loop: Header=BB346_806 Depth=1
	s_delay_alu instid0(SALU_CYCLE_1) | instskip(NEXT) | instid1(SALU_CYCLE_1)
	s_or_b32 exec_lo, exec_lo, s12
	s_mov_b32 s12, exec_lo
	v_cmpx_lt_u32_e32 0xffffff, v11
	s_cbranch_execz .LBB346_1169
; %bb.1162:                             ;   in Loop: Header=BB346_806 Depth=1
	v_lshrrev_b32_e32 v117, 24, v11
	v_bfrev_b32_e32 v116, 1
	s_mov_b32 s13, exec_lo
	s_delay_alu instid0(VALU_DEP_2)
	v_cmpx_ne_u32_e32 0x80, v117
	s_cbranch_execz .LBB346_1168
; %bb.1163:                             ;   in Loop: Header=BB346_806 Depth=1
	v_and_b32_e32 v13, 0x7f, v117
	v_mov_b32_e32 v116, 0x7fc02000
	s_mov_b32 s15, exec_lo
	s_delay_alu instid0(VALU_DEP_2)
	v_cmpx_ne_u32_e32 0x7f, v13
	s_cbranch_execz .LBB346_1167
; %bb.1164:                             ;   in Loop: Header=BB346_806 Depth=1
	v_and_b32_e32 v0, 7, v117
	v_lshrrev_b32_e32 v116, 3, v13
	v_cmp_gt_u32_e64 s0, 8, v13
	s_delay_alu instid0(VALU_DEP_3) | instskip(NEXT) | instid1(VALU_DEP_2)
	v_dual_mov_b32 v14, v1 :: v_dual_mov_b32 v13, v0
	s_and_saveexec_b32 s16, s0
; %bb.1165:                             ;   in Loop: Header=BB346_806 Depth=1
	v_clz_i32_u32_e32 v13, v0
	s_delay_alu instid0(VALU_DEP_1) | instskip(NEXT) | instid1(VALU_DEP_1)
	v_min_u32_e32 v116, 32, v13
	v_subrev_nc_u32_e32 v13, 28, v116
	v_sub_nc_u32_e32 v116, 29, v116
	s_delay_alu instid0(VALU_DEP_2) | instskip(NEXT) | instid1(VALU_DEP_1)
	v_lshlrev_b64 v[13:14], v13, v[0:1]
	v_and_b32_e32 v13, 7, v13
; %bb.1166:                             ;   in Loop: Header=BB346_806 Depth=1
	s_or_b32 exec_lo, exec_lo, s16
	v_lshlrev_b32_e32 v0, 8, v117
	v_lshl_add_u32 v14, v116, 10, 0x2000
	s_delay_alu instid0(VALU_DEP_1) | instskip(NEXT) | instid1(VALU_DEP_1)
	v_and_or_b32 v0, 0x8000, v0, v14
	v_lshl_or_b32 v0, v13, 7, v0
	s_delay_alu instid0(VALU_DEP_1)
	v_cvt_f32_f16_e32 v116, v0
.LBB346_1167:                           ;   in Loop: Header=BB346_806 Depth=1
	s_or_b32 exec_lo, exec_lo, s15
.LBB346_1168:                           ;   in Loop: Header=BB346_806 Depth=1
	s_delay_alu instid0(SALU_CYCLE_1)
	s_or_b32 exec_lo, exec_lo, s13
.LBB346_1169:                           ;   in Loop: Header=BB346_806 Depth=1
	s_delay_alu instid0(SALU_CYCLE_1) | instskip(SKIP_3) | instid1(VALU_DEP_2)
	s_or_b32 exec_lo, exec_lo, s12
	v_dual_mov_b32 v0, v12 :: v_dual_and_b32 v13, 0xff, v12
	v_dual_mov_b32 v118, 0 :: v_dual_mov_b32 v117, 0
	s_mov_b32 s12, exec_lo
	v_cmpx_ne_u16_e32 0, v13
	s_cbranch_execz .LBB346_1177
; %bb.1170:                             ;   in Loop: Header=BB346_806 Depth=1
	v_bfrev_b32_e32 v117, 1
	s_mov_b32 s13, exec_lo
	v_cmpx_ne_u16_e32 0x80, v13
	s_cbranch_execz .LBB346_1176
; %bb.1171:                             ;   in Loop: Header=BB346_806 Depth=1
	v_and_b32_e32 v13, 0x7f, v12
	v_mov_b32_e32 v117, 0x7fc02000
	s_mov_b32 s15, exec_lo
	s_delay_alu instid0(VALU_DEP_2)
	v_cmpx_ne_u32_e32 0x7f, v13
	s_cbranch_execz .LBB346_1175
; %bb.1172:                             ;   in Loop: Header=BB346_806 Depth=1
	v_lshrrev_b32_e32 v117, 3, v13
	v_cmp_gt_u32_e64 s0, 8, v13
	v_dual_mov_b32 v14, v1 :: v_dual_mov_b32 v13, v0
	s_delay_alu instid0(VALU_DEP_2)
	s_and_saveexec_b32 s16, s0
; %bb.1173:                             ;   in Loop: Header=BB346_806 Depth=1
	v_and_b32_e32 v13, 7, v12
	s_delay_alu instid0(VALU_DEP_1) | instskip(NEXT) | instid1(VALU_DEP_1)
	v_clz_i32_u32_e32 v13, v13
	v_min_u32_e32 v117, 32, v13
	s_delay_alu instid0(VALU_DEP_1) | instskip(SKIP_1) | instid1(VALU_DEP_2)
	v_subrev_nc_u32_e32 v13, 28, v117
	v_sub_nc_u32_e32 v117, 29, v117
	v_lshlrev_b64 v[13:14], v13, v[0:1]
; %bb.1174:                             ;   in Loop: Header=BB346_806 Depth=1
	s_or_b32 exec_lo, exec_lo, s16
	v_lshlrev_b32_e32 v14, 8, v12
	s_delay_alu instid0(VALU_DEP_3) | instskip(NEXT) | instid1(VALU_DEP_3)
	v_lshl_add_u32 v117, v117, 10, 0x2000
	v_lshlrev_b32_e32 v13, 7, v13
	s_delay_alu instid0(VALU_DEP_2) | instskip(NEXT) | instid1(VALU_DEP_1)
	v_and_or_b32 v14, 0x8000, v14, v117
	v_and_or_b32 v13, 0x380, v13, v14
	s_delay_alu instid0(VALU_DEP_1)
	v_cvt_f32_f16_e32 v117, v13
.LBB346_1175:                           ;   in Loop: Header=BB346_806 Depth=1
	s_or_b32 exec_lo, exec_lo, s15
.LBB346_1176:                           ;   in Loop: Header=BB346_806 Depth=1
	s_delay_alu instid0(SALU_CYCLE_1)
	s_or_b32 exec_lo, exec_lo, s13
.LBB346_1177:                           ;   in Loop: Header=BB346_806 Depth=1
	s_delay_alu instid0(SALU_CYCLE_1) | instskip(SKIP_2) | instid1(VALU_DEP_1)
	s_or_b32 exec_lo, exec_lo, s12
	v_lshrrev_b16 v0, 8, v0
	s_mov_b32 s12, exec_lo
	v_cmpx_ne_u16_e32 0, v0
	s_cbranch_execz .LBB346_1185
; %bb.1178:                             ;   in Loop: Header=BB346_806 Depth=1
	v_bfrev_b32_e32 v118, 1
	s_mov_b32 s13, exec_lo
	v_cmpx_ne_u16_e32 0x80, v0
	s_cbranch_execz .LBB346_1184
; %bb.1179:                             ;   in Loop: Header=BB346_806 Depth=1
	v_and_b32_e32 v119, 0xffff, v0
	v_mov_b32_e32 v118, 0x7fc02000
	s_mov_b32 s15, exec_lo
	s_delay_alu instid0(VALU_DEP_2) | instskip(NEXT) | instid1(VALU_DEP_1)
	v_and_b32_e32 v13, 0x7f, v119
	v_cmpx_ne_u32_e32 0x7f, v13
	s_cbranch_execz .LBB346_1183
; %bb.1180:                             ;   in Loop: Header=BB346_806 Depth=1
	v_and_b32_e32 v0, 7, v119
	v_lshrrev_b32_e32 v118, 3, v13
	v_cmp_gt_u32_e64 s0, 8, v13
	s_delay_alu instid0(VALU_DEP_3) | instskip(NEXT) | instid1(VALU_DEP_2)
	v_dual_mov_b32 v14, v1 :: v_dual_mov_b32 v13, v0
	s_and_saveexec_b32 s16, s0
; %bb.1181:                             ;   in Loop: Header=BB346_806 Depth=1
	v_clz_i32_u32_e32 v13, v0
	s_delay_alu instid0(VALU_DEP_1) | instskip(NEXT) | instid1(VALU_DEP_1)
	v_min_u32_e32 v118, 32, v13
	v_subrev_nc_u32_e32 v13, 28, v118
	v_sub_nc_u32_e32 v118, 29, v118
	s_delay_alu instid0(VALU_DEP_2) | instskip(NEXT) | instid1(VALU_DEP_1)
	v_lshlrev_b64 v[13:14], v13, v[0:1]
	v_and_b32_e32 v13, 7, v13
; %bb.1182:                             ;   in Loop: Header=BB346_806 Depth=1
	s_or_b32 exec_lo, exec_lo, s16
	v_lshlrev_b32_e32 v0, 8, v119
	v_lshl_add_u32 v14, v118, 10, 0x2000
	s_delay_alu instid0(VALU_DEP_1) | instskip(NEXT) | instid1(VALU_DEP_1)
	v_and_or_b32 v0, 0x8000, v0, v14
	v_lshl_or_b32 v0, v13, 7, v0
	s_delay_alu instid0(VALU_DEP_1)
	v_cvt_f32_f16_e32 v118, v0
.LBB346_1183:                           ;   in Loop: Header=BB346_806 Depth=1
	s_or_b32 exec_lo, exec_lo, s15
.LBB346_1184:                           ;   in Loop: Header=BB346_806 Depth=1
	s_delay_alu instid0(SALU_CYCLE_1)
	s_or_b32 exec_lo, exec_lo, s13
.LBB346_1185:                           ;   in Loop: Header=BB346_806 Depth=1
	s_delay_alu instid0(SALU_CYCLE_1) | instskip(SKIP_3) | instid1(VALU_DEP_2)
	s_or_b32 exec_lo, exec_lo, s12
	v_lshrrev_b32_e32 v128, 16, v12
	v_mov_b32_e32 v13, 0
	s_mov_b32 s12, exec_lo
	v_dual_mov_b32 v119, 0 :: v_dual_and_b32 v0, 0xff, v128
	s_delay_alu instid0(VALU_DEP_1)
	v_cmpx_ne_u16_e32 0, v0
	s_cbranch_execz .LBB346_1193
; %bb.1186:                             ;   in Loop: Header=BB346_806 Depth=1
	v_bfrev_b32_e32 v13, 1
	s_mov_b32 s13, exec_lo
	v_cmpx_ne_u16_e32 0x80, v0
	s_cbranch_execz .LBB346_1192
; %bb.1187:                             ;   in Loop: Header=BB346_806 Depth=1
	v_bfe_u32 v14, v12, 16, 7
	v_mov_b32_e32 v13, 0x7fc02000
	s_mov_b32 s15, exec_lo
	s_delay_alu instid0(VALU_DEP_2)
	v_cmpx_ne_u32_e32 0x7f, v14
	s_cbranch_execz .LBB346_1191
; %bb.1188:                             ;   in Loop: Header=BB346_806 Depth=1
	v_and_b32_e32 v0, 7, v128
	v_lshrrev_b32_e32 v129, 3, v14
	v_cmp_gt_u32_e64 s0, 8, v14
	s_delay_alu instid0(VALU_DEP_3) | instskip(NEXT) | instid1(VALU_DEP_2)
	v_dual_mov_b32 v14, v1 :: v_dual_mov_b32 v13, v0
	s_and_saveexec_b32 s16, s0
; %bb.1189:                             ;   in Loop: Header=BB346_806 Depth=1
	v_clz_i32_u32_e32 v13, v0
	s_delay_alu instid0(VALU_DEP_1) | instskip(NEXT) | instid1(VALU_DEP_1)
	v_min_u32_e32 v129, 32, v13
	v_subrev_nc_u32_e32 v13, 28, v129
	v_sub_nc_u32_e32 v129, 29, v129
	s_delay_alu instid0(VALU_DEP_2) | instskip(NEXT) | instid1(VALU_DEP_1)
	v_lshlrev_b64 v[13:14], v13, v[0:1]
	v_and_b32_e32 v13, 7, v13
; %bb.1190:                             ;   in Loop: Header=BB346_806 Depth=1
	s_or_b32 exec_lo, exec_lo, s16
	v_lshlrev_b32_e32 v0, 8, v128
	v_lshl_add_u32 v14, v129, 10, 0x2000
	s_delay_alu instid0(VALU_DEP_1) | instskip(NEXT) | instid1(VALU_DEP_1)
	v_and_or_b32 v0, 0x8000, v0, v14
	v_lshl_or_b32 v0, v13, 7, v0
	s_delay_alu instid0(VALU_DEP_1)
	v_cvt_f32_f16_e32 v13, v0
.LBB346_1191:                           ;   in Loop: Header=BB346_806 Depth=1
	s_or_b32 exec_lo, exec_lo, s15
.LBB346_1192:                           ;   in Loop: Header=BB346_806 Depth=1
	s_delay_alu instid0(SALU_CYCLE_1)
	s_or_b32 exec_lo, exec_lo, s13
.LBB346_1193:                           ;   in Loop: Header=BB346_806 Depth=1
	s_delay_alu instid0(SALU_CYCLE_1) | instskip(NEXT) | instid1(SALU_CYCLE_1)
	s_or_b32 exec_lo, exec_lo, s12
	s_mov_b32 s12, exec_lo
	v_cmpx_lt_u64_e64 s[8:9], v[11:12]
	s_cbranch_execz .LBB346_1201
; %bb.1194:                             ;   in Loop: Header=BB346_806 Depth=1
	v_lshrrev_b32_e32 v14, 24, v12
	v_bfrev_b32_e32 v119, 1
	s_mov_b32 s13, exec_lo
	s_delay_alu instid0(VALU_DEP_2)
	v_cmpx_ne_u32_e32 0x80, v14
	s_cbranch_execz .LBB346_1200
; %bb.1195:                             ;   in Loop: Header=BB346_806 Depth=1
	v_and_b32_e32 v11, 0x7f, v14
	v_mov_b32_e32 v119, 0x7fc02000
	s_mov_b32 s15, exec_lo
	s_delay_alu instid0(VALU_DEP_2)
	v_cmpx_ne_u32_e32 0x7f, v11
	s_cbranch_execz .LBB346_1199
; %bb.1196:                             ;   in Loop: Header=BB346_806 Depth=1
	v_and_b32_e32 v0, 7, v14
	v_lshrrev_b32_e32 v119, 3, v11
	v_cmp_gt_u32_e64 s0, 8, v11
	s_delay_alu instid0(VALU_DEP_3) | instskip(NEXT) | instid1(VALU_DEP_2)
	v_dual_mov_b32 v12, v1 :: v_dual_mov_b32 v11, v0
	s_and_saveexec_b32 s16, s0
; %bb.1197:                             ;   in Loop: Header=BB346_806 Depth=1
	v_clz_i32_u32_e32 v11, v0
	s_delay_alu instid0(VALU_DEP_1) | instskip(NEXT) | instid1(VALU_DEP_1)
	v_min_u32_e32 v119, 32, v11
	v_subrev_nc_u32_e32 v11, 28, v119
	v_sub_nc_u32_e32 v119, 29, v119
	s_delay_alu instid0(VALU_DEP_2) | instskip(NEXT) | instid1(VALU_DEP_1)
	v_lshlrev_b64 v[11:12], v11, v[0:1]
	v_and_b32_e32 v11, 7, v11
; %bb.1198:                             ;   in Loop: Header=BB346_806 Depth=1
	s_or_b32 exec_lo, exec_lo, s16
	v_lshlrev_b32_e32 v0, 8, v14
	v_lshl_add_u32 v12, v119, 10, 0x2000
	s_delay_alu instid0(VALU_DEP_1) | instskip(NEXT) | instid1(VALU_DEP_1)
	v_and_or_b32 v0, 0x8000, v0, v12
	v_lshl_or_b32 v0, v11, 7, v0
	s_delay_alu instid0(VALU_DEP_1)
	v_cvt_f32_f16_e32 v119, v0
.LBB346_1199:                           ;   in Loop: Header=BB346_806 Depth=1
	s_or_b32 exec_lo, exec_lo, s15
.LBB346_1200:                           ;   in Loop: Header=BB346_806 Depth=1
	s_delay_alu instid0(SALU_CYCLE_1)
	s_or_b32 exec_lo, exec_lo, s13
.LBB346_1201:                           ;   in Loop: Header=BB346_806 Depth=1
	s_delay_alu instid0(SALU_CYCLE_1)
	s_or_b32 exec_lo, exec_lo, s12
	s_waitcnt vmcnt(0) lgkmcnt(0)
	v_fma_mixlo_f16 v12, v112, v114, 0
	v_fma_mixlo_f16 v0, v112, v116, 0
	;; [unrolled: 1-line block ×5, first 2 shown]
	v_lshlrev_b32_e32 v14, 16, v12
	v_fma_mixlo_f16 v115, v112, v117, 0
	v_fma_mixlo_f16 v116, v112, v119, 0
	;; [unrolled: 1-line block ×3, first 2 shown]
	v_lshlrev_b32_e32 v0, 16, v0
	v_and_b32_e32 v11, 0xffff, v11
	v_and_b32_e32 v112, 0xffff, v113
	v_lshlrev_b32_e32 v113, 16, v114
	v_and_b32_e32 v114, 0xffff, v115
	v_lshlrev_b32_e32 v115, 16, v116
	v_and_b32_e32 v116, 0xffff, v12
	v_or_b32_e32 v13, v0, v11
	v_or_b32_e32 v14, v14, v112
	;; [unrolled: 1-line block ×3, first 2 shown]
	s_delay_alu instid0(VALU_DEP_4)
	v_or_b32_e32 v11, v115, v116
	s_and_saveexec_b32 s12, vcc_lo
	s_cbranch_execz .LBB346_1203
; %bb.1202:                             ;   in Loop: Header=BB346_806 Depth=1
	v_cmp_lt_i32_e64 s0, v19, v38
	v_lshrrev_b32_e32 v112, 16, v14
	v_lshrrev_b32_e32 v113, 16, v13
	;; [unrolled: 1-line block ×4, first 2 shown]
	v_cndmask_b32_e64 v14, 0, v14, s0
	v_cmp_lt_i32_e64 s0, v84, v55
	s_delay_alu instid0(VALU_DEP_1) | instskip(SKIP_1) | instid1(VALU_DEP_2)
	v_cndmask_b32_e64 v112, 0, v112, s0
	v_cmp_lt_i32_e64 s0, v83, v55
	v_perm_b32 v14, v112, v14, 0x5040100
	s_delay_alu instid0(VALU_DEP_2) | instskip(SKIP_1) | instid1(VALU_DEP_1)
	v_cndmask_b32_e64 v113, 0, v113, s0
	v_cmp_lt_i32_e64 s0, v71, v38
	v_cndmask_b32_e64 v13, 0, v13, s0
	v_cmp_lt_i32_e64 s0, v70, v55
	s_delay_alu instid0(VALU_DEP_2) | instskip(NEXT) | instid1(VALU_DEP_2)
	v_perm_b32 v13, v113, v13, 0x5040100
	v_cndmask_b32_e64 v114, 0, v114, s0
	v_cmp_lt_i32_e64 s0, v69, v38
	s_delay_alu instid0(VALU_DEP_1) | instskip(SKIP_1) | instid1(VALU_DEP_2)
	v_cndmask_b32_e64 v0, 0, v0, s0
	v_cmp_lt_i32_e64 s0, v68, v55
	v_perm_b32 v0, v114, v0, 0x5040100
	s_delay_alu instid0(VALU_DEP_2) | instskip(SKIP_1) | instid1(VALU_DEP_1)
	v_cndmask_b32_e64 v11, 0, v11, s0
	v_cmp_lt_i32_e64 s0, v64, v38
	v_cndmask_b32_e64 v12, 0, v12, s0
	s_delay_alu instid0(VALU_DEP_1)
	v_perm_b32 v11, v11, v12, 0x5040100
.LBB346_1203:                           ;   in Loop: Header=BB346_806 Depth=1
	s_or_b32 exec_lo, exec_lo, s12
	;;#ASMSTART
	v_pk_mul_f16 v12, v87, v14;

	;;#ASMEND
	;;#ASMSTART
	v_pk_mul_f16 v13, v86, v13;

	;;#ASMEND
	;;#ASMSTART
	v_pk_mul_f16 v0, v85, v0;

	;;#ASMEND
	;;#ASMSTART
	v_pk_mul_f16 v11, v82, v11;

	;;#ASMEND
	;;#ASMSTART
	v_pk_add_f16 v12, v12, v13;

	;;#ASMEND
	;;#ASMSTART
	v_pk_add_f16 v0, v12, v0;

	;;#ASMEND
	;; [unrolled: 4-line block ×3, first 2 shown]
	v_dual_mov_b32 v116, 0 :: v_dual_and_b32 v11, 0xffff, v0
	v_lshrrev_b32_e32 v0, 16, v0
	;;#ASMSTART
	v_cvt_f32_f16 v112, v11;
	;;#ASMEND
	;;#ASMSTART
	v_cvt_f32_f16 v113, v0;
	;;#ASMEND
	flat_load_b64 v[11:12], v[9:10] offset:1536
	flat_load_b32 v114, v[26:27]
	s_mov_b32 s12, exec_lo
	s_waitcnt vmcnt(1) lgkmcnt(1)
	v_dual_mov_b32 v115, 0 :: v_dual_and_b32 v0, 0xff, v11
	s_delay_alu instid0(VALU_DEP_1)
	v_cmpx_ne_u16_e32 0, v0
	s_cbranch_execz .LBB346_1211
; %bb.1204:                             ;   in Loop: Header=BB346_806 Depth=1
	v_bfrev_b32_e32 v115, 1
	s_mov_b32 s13, exec_lo
	v_cmpx_ne_u16_e32 0x80, v0
	s_cbranch_execz .LBB346_1210
; %bb.1205:                             ;   in Loop: Header=BB346_806 Depth=1
	v_and_b32_e32 v13, 0x7f, v11
	v_mov_b32_e32 v115, 0x7fc02000
	s_mov_b32 s15, exec_lo
	s_delay_alu instid0(VALU_DEP_2)
	v_cmpx_ne_u32_e32 0x7f, v13
	s_cbranch_execz .LBB346_1209
; %bb.1206:                             ;   in Loop: Header=BB346_806 Depth=1
	v_lshrrev_b32_e32 v0, 3, v13
	v_cmp_gt_u32_e64 s0, 8, v13
	v_dual_mov_b32 v14, v12 :: v_dual_mov_b32 v13, v11
	s_delay_alu instid0(VALU_DEP_2)
	s_and_saveexec_b32 s16, s0
; %bb.1207:                             ;   in Loop: Header=BB346_806 Depth=1
	v_and_b32_e32 v0, 7, v11
	s_delay_alu instid0(VALU_DEP_1) | instskip(NEXT) | instid1(VALU_DEP_1)
	v_clz_i32_u32_e32 v0, v0
	v_min_u32_e32 v0, 32, v0
	s_delay_alu instid0(VALU_DEP_1) | instskip(SKIP_1) | instid1(VALU_DEP_2)
	v_subrev_nc_u32_e32 v13, 28, v0
	v_sub_nc_u32_e32 v0, 29, v0
	v_lshlrev_b64 v[13:14], v13, v[11:12]
; %bb.1208:                             ;   in Loop: Header=BB346_806 Depth=1
	s_or_b32 exec_lo, exec_lo, s16
	v_lshlrev_b32_e32 v14, 8, v11
	s_delay_alu instid0(VALU_DEP_3) | instskip(NEXT) | instid1(VALU_DEP_3)
	v_lshl_add_u32 v0, v0, 10, 0x2000
	v_lshlrev_b32_e32 v13, 7, v13
	s_delay_alu instid0(VALU_DEP_2) | instskip(NEXT) | instid1(VALU_DEP_1)
	v_and_or_b32 v0, 0x8000, v14, v0
	v_and_or_b32 v0, 0x380, v13, v0
	s_delay_alu instid0(VALU_DEP_1)
	v_cvt_f32_f16_e32 v115, v0
.LBB346_1209:                           ;   in Loop: Header=BB346_806 Depth=1
	s_or_b32 exec_lo, exec_lo, s15
.LBB346_1210:                           ;   in Loop: Header=BB346_806 Depth=1
	s_delay_alu instid0(SALU_CYCLE_1)
	s_or_b32 exec_lo, exec_lo, s13
.LBB346_1211:                           ;   in Loop: Header=BB346_806 Depth=1
	s_delay_alu instid0(SALU_CYCLE_1) | instskip(SKIP_2) | instid1(VALU_DEP_1)
	s_or_b32 exec_lo, exec_lo, s12
	v_lshrrev_b16 v0, 8, v11
	s_mov_b32 s12, exec_lo
	v_cmpx_ne_u16_e32 0, v0
	s_cbranch_execz .LBB346_1219
; %bb.1212:                             ;   in Loop: Header=BB346_806 Depth=1
	v_bfrev_b32_e32 v116, 1
	s_mov_b32 s13, exec_lo
	v_cmpx_ne_u16_e32 0x80, v0
	s_cbranch_execz .LBB346_1218
; %bb.1213:                             ;   in Loop: Header=BB346_806 Depth=1
	v_and_b32_e32 v117, 0xffff, v0
	v_mov_b32_e32 v116, 0x7fc02000
	s_mov_b32 s15, exec_lo
	s_delay_alu instid0(VALU_DEP_2) | instskip(NEXT) | instid1(VALU_DEP_1)
	v_and_b32_e32 v13, 0x7f, v117
	v_cmpx_ne_u32_e32 0x7f, v13
	s_cbranch_execz .LBB346_1217
; %bb.1214:                             ;   in Loop: Header=BB346_806 Depth=1
	v_and_b32_e32 v0, 7, v117
	v_lshrrev_b32_e32 v116, 3, v13
	v_cmp_gt_u32_e64 s0, 8, v13
	s_delay_alu instid0(VALU_DEP_3) | instskip(NEXT) | instid1(VALU_DEP_2)
	v_dual_mov_b32 v14, v1 :: v_dual_mov_b32 v13, v0
	s_and_saveexec_b32 s16, s0
; %bb.1215:                             ;   in Loop: Header=BB346_806 Depth=1
	v_clz_i32_u32_e32 v13, v0
	s_delay_alu instid0(VALU_DEP_1) | instskip(NEXT) | instid1(VALU_DEP_1)
	v_min_u32_e32 v116, 32, v13
	v_subrev_nc_u32_e32 v13, 28, v116
	v_sub_nc_u32_e32 v116, 29, v116
	s_delay_alu instid0(VALU_DEP_2) | instskip(NEXT) | instid1(VALU_DEP_1)
	v_lshlrev_b64 v[13:14], v13, v[0:1]
	v_and_b32_e32 v13, 7, v13
; %bb.1216:                             ;   in Loop: Header=BB346_806 Depth=1
	s_or_b32 exec_lo, exec_lo, s16
	v_lshlrev_b32_e32 v0, 8, v117
	v_lshl_add_u32 v14, v116, 10, 0x2000
	s_delay_alu instid0(VALU_DEP_1) | instskip(NEXT) | instid1(VALU_DEP_1)
	v_and_or_b32 v0, 0x8000, v0, v14
	v_lshl_or_b32 v0, v13, 7, v0
	s_delay_alu instid0(VALU_DEP_1)
	v_cvt_f32_f16_e32 v116, v0
.LBB346_1217:                           ;   in Loop: Header=BB346_806 Depth=1
	s_or_b32 exec_lo, exec_lo, s15
.LBB346_1218:                           ;   in Loop: Header=BB346_806 Depth=1
	s_delay_alu instid0(SALU_CYCLE_1)
	s_or_b32 exec_lo, exec_lo, s13
.LBB346_1219:                           ;   in Loop: Header=BB346_806 Depth=1
	s_delay_alu instid0(SALU_CYCLE_1) | instskip(SKIP_3) | instid1(VALU_DEP_2)
	s_or_b32 exec_lo, exec_lo, s12
	v_lshrrev_b32_e32 v119, 16, v11
	v_mov_b32_e32 v118, 0
	s_mov_b32 s12, exec_lo
	v_dual_mov_b32 v117, 0 :: v_dual_and_b32 v0, 0xff, v119
	s_delay_alu instid0(VALU_DEP_1)
	v_cmpx_ne_u16_e32 0, v0
	s_cbranch_execz .LBB346_1227
; %bb.1220:                             ;   in Loop: Header=BB346_806 Depth=1
	v_bfrev_b32_e32 v117, 1
	s_mov_b32 s13, exec_lo
	v_cmpx_ne_u16_e32 0x80, v0
	s_cbranch_execz .LBB346_1226
; %bb.1221:                             ;   in Loop: Header=BB346_806 Depth=1
	v_bfe_u32 v13, v11, 16, 7
	v_mov_b32_e32 v117, 0x7fc02000
	s_mov_b32 s15, exec_lo
	s_delay_alu instid0(VALU_DEP_2)
	v_cmpx_ne_u32_e32 0x7f, v13
	s_cbranch_execz .LBB346_1225
; %bb.1222:                             ;   in Loop: Header=BB346_806 Depth=1
	v_and_b32_e32 v0, 7, v119
	v_lshrrev_b32_e32 v117, 3, v13
	v_cmp_gt_u32_e64 s0, 8, v13
	s_delay_alu instid0(VALU_DEP_3) | instskip(NEXT) | instid1(VALU_DEP_2)
	v_dual_mov_b32 v14, v1 :: v_dual_mov_b32 v13, v0
	s_and_saveexec_b32 s16, s0
; %bb.1223:                             ;   in Loop: Header=BB346_806 Depth=1
	v_clz_i32_u32_e32 v13, v0
	s_delay_alu instid0(VALU_DEP_1) | instskip(NEXT) | instid1(VALU_DEP_1)
	v_min_u32_e32 v117, 32, v13
	v_subrev_nc_u32_e32 v13, 28, v117
	v_sub_nc_u32_e32 v117, 29, v117
	s_delay_alu instid0(VALU_DEP_2) | instskip(NEXT) | instid1(VALU_DEP_1)
	v_lshlrev_b64 v[13:14], v13, v[0:1]
	v_and_b32_e32 v13, 7, v13
; %bb.1224:                             ;   in Loop: Header=BB346_806 Depth=1
	s_or_b32 exec_lo, exec_lo, s16
	v_lshlrev_b32_e32 v0, 8, v119
	v_lshl_add_u32 v14, v117, 10, 0x2000
	s_delay_alu instid0(VALU_DEP_1) | instskip(NEXT) | instid1(VALU_DEP_1)
	v_and_or_b32 v0, 0x8000, v0, v14
	v_lshl_or_b32 v0, v13, 7, v0
	s_delay_alu instid0(VALU_DEP_1)
	v_cvt_f32_f16_e32 v117, v0
.LBB346_1225:                           ;   in Loop: Header=BB346_806 Depth=1
	s_or_b32 exec_lo, exec_lo, s15
.LBB346_1226:                           ;   in Loop: Header=BB346_806 Depth=1
	s_delay_alu instid0(SALU_CYCLE_1)
	s_or_b32 exec_lo, exec_lo, s13
.LBB346_1227:                           ;   in Loop: Header=BB346_806 Depth=1
	s_delay_alu instid0(SALU_CYCLE_1) | instskip(NEXT) | instid1(SALU_CYCLE_1)
	s_or_b32 exec_lo, exec_lo, s12
	s_mov_b32 s12, exec_lo
	v_cmpx_lt_u32_e32 0xffffff, v11
	s_cbranch_execz .LBB346_1235
; %bb.1228:                             ;   in Loop: Header=BB346_806 Depth=1
	v_lshrrev_b32_e32 v119, 24, v11
	v_bfrev_b32_e32 v118, 1
	s_mov_b32 s13, exec_lo
	s_delay_alu instid0(VALU_DEP_2)
	v_cmpx_ne_u32_e32 0x80, v119
	s_cbranch_execz .LBB346_1234
; %bb.1229:                             ;   in Loop: Header=BB346_806 Depth=1
	v_and_b32_e32 v13, 0x7f, v119
	v_mov_b32_e32 v118, 0x7fc02000
	s_mov_b32 s15, exec_lo
	s_delay_alu instid0(VALU_DEP_2)
	v_cmpx_ne_u32_e32 0x7f, v13
	s_cbranch_execz .LBB346_1233
; %bb.1230:                             ;   in Loop: Header=BB346_806 Depth=1
	v_and_b32_e32 v0, 7, v119
	v_lshrrev_b32_e32 v118, 3, v13
	v_cmp_gt_u32_e64 s0, 8, v13
	s_delay_alu instid0(VALU_DEP_3) | instskip(NEXT) | instid1(VALU_DEP_2)
	v_dual_mov_b32 v14, v1 :: v_dual_mov_b32 v13, v0
	s_and_saveexec_b32 s16, s0
; %bb.1231:                             ;   in Loop: Header=BB346_806 Depth=1
	v_clz_i32_u32_e32 v13, v0
	s_delay_alu instid0(VALU_DEP_1) | instskip(NEXT) | instid1(VALU_DEP_1)
	v_min_u32_e32 v118, 32, v13
	v_subrev_nc_u32_e32 v13, 28, v118
	v_sub_nc_u32_e32 v118, 29, v118
	s_delay_alu instid0(VALU_DEP_2) | instskip(NEXT) | instid1(VALU_DEP_1)
	v_lshlrev_b64 v[13:14], v13, v[0:1]
	v_and_b32_e32 v13, 7, v13
; %bb.1232:                             ;   in Loop: Header=BB346_806 Depth=1
	s_or_b32 exec_lo, exec_lo, s16
	v_lshlrev_b32_e32 v0, 8, v119
	v_lshl_add_u32 v14, v118, 10, 0x2000
	s_delay_alu instid0(VALU_DEP_1) | instskip(NEXT) | instid1(VALU_DEP_1)
	v_and_or_b32 v0, 0x8000, v0, v14
	v_lshl_or_b32 v0, v13, 7, v0
	s_delay_alu instid0(VALU_DEP_1)
	v_cvt_f32_f16_e32 v118, v0
.LBB346_1233:                           ;   in Loop: Header=BB346_806 Depth=1
	s_or_b32 exec_lo, exec_lo, s15
.LBB346_1234:                           ;   in Loop: Header=BB346_806 Depth=1
	s_delay_alu instid0(SALU_CYCLE_1)
	s_or_b32 exec_lo, exec_lo, s13
.LBB346_1235:                           ;   in Loop: Header=BB346_806 Depth=1
	s_delay_alu instid0(SALU_CYCLE_1) | instskip(SKIP_3) | instid1(VALU_DEP_2)
	s_or_b32 exec_lo, exec_lo, s12
	v_dual_mov_b32 v0, v12 :: v_dual_and_b32 v13, 0xff, v12
	v_dual_mov_b32 v128, 0 :: v_dual_mov_b32 v119, 0
	s_mov_b32 s12, exec_lo
	v_cmpx_ne_u16_e32 0, v13
	s_cbranch_execz .LBB346_1243
; %bb.1236:                             ;   in Loop: Header=BB346_806 Depth=1
	v_bfrev_b32_e32 v119, 1
	s_mov_b32 s13, exec_lo
	v_cmpx_ne_u16_e32 0x80, v13
	s_cbranch_execz .LBB346_1242
; %bb.1237:                             ;   in Loop: Header=BB346_806 Depth=1
	v_and_b32_e32 v13, 0x7f, v12
	v_mov_b32_e32 v119, 0x7fc02000
	s_mov_b32 s15, exec_lo
	s_delay_alu instid0(VALU_DEP_2)
	v_cmpx_ne_u32_e32 0x7f, v13
	s_cbranch_execz .LBB346_1241
; %bb.1238:                             ;   in Loop: Header=BB346_806 Depth=1
	v_lshrrev_b32_e32 v119, 3, v13
	v_cmp_gt_u32_e64 s0, 8, v13
	v_dual_mov_b32 v14, v1 :: v_dual_mov_b32 v13, v0
	s_delay_alu instid0(VALU_DEP_2)
	s_and_saveexec_b32 s16, s0
; %bb.1239:                             ;   in Loop: Header=BB346_806 Depth=1
	v_and_b32_e32 v13, 7, v12
	s_delay_alu instid0(VALU_DEP_1) | instskip(NEXT) | instid1(VALU_DEP_1)
	v_clz_i32_u32_e32 v13, v13
	v_min_u32_e32 v119, 32, v13
	s_delay_alu instid0(VALU_DEP_1) | instskip(SKIP_1) | instid1(VALU_DEP_2)
	v_subrev_nc_u32_e32 v13, 28, v119
	v_sub_nc_u32_e32 v119, 29, v119
	v_lshlrev_b64 v[13:14], v13, v[0:1]
; %bb.1240:                             ;   in Loop: Header=BB346_806 Depth=1
	s_or_b32 exec_lo, exec_lo, s16
	v_lshlrev_b32_e32 v14, 8, v12
	s_delay_alu instid0(VALU_DEP_3) | instskip(NEXT) | instid1(VALU_DEP_3)
	v_lshl_add_u32 v119, v119, 10, 0x2000
	v_lshlrev_b32_e32 v13, 7, v13
	s_delay_alu instid0(VALU_DEP_2) | instskip(NEXT) | instid1(VALU_DEP_1)
	v_and_or_b32 v14, 0x8000, v14, v119
	v_and_or_b32 v13, 0x380, v13, v14
	s_delay_alu instid0(VALU_DEP_1)
	v_cvt_f32_f16_e32 v119, v13
.LBB346_1241:                           ;   in Loop: Header=BB346_806 Depth=1
	s_or_b32 exec_lo, exec_lo, s15
.LBB346_1242:                           ;   in Loop: Header=BB346_806 Depth=1
	s_delay_alu instid0(SALU_CYCLE_1)
	s_or_b32 exec_lo, exec_lo, s13
.LBB346_1243:                           ;   in Loop: Header=BB346_806 Depth=1
	s_delay_alu instid0(SALU_CYCLE_1) | instskip(SKIP_2) | instid1(VALU_DEP_1)
	s_or_b32 exec_lo, exec_lo, s12
	v_lshrrev_b16 v0, 8, v0
	s_mov_b32 s12, exec_lo
	v_cmpx_ne_u16_e32 0, v0
	s_cbranch_execz .LBB346_1251
; %bb.1244:                             ;   in Loop: Header=BB346_806 Depth=1
	v_bfrev_b32_e32 v128, 1
	s_mov_b32 s13, exec_lo
	v_cmpx_ne_u16_e32 0x80, v0
	s_cbranch_execz .LBB346_1250
; %bb.1245:                             ;   in Loop: Header=BB346_806 Depth=1
	v_and_b32_e32 v129, 0xffff, v0
	v_mov_b32_e32 v128, 0x7fc02000
	s_mov_b32 s15, exec_lo
	s_delay_alu instid0(VALU_DEP_2) | instskip(NEXT) | instid1(VALU_DEP_1)
	v_and_b32_e32 v13, 0x7f, v129
	v_cmpx_ne_u32_e32 0x7f, v13
	s_cbranch_execz .LBB346_1249
; %bb.1246:                             ;   in Loop: Header=BB346_806 Depth=1
	v_and_b32_e32 v0, 7, v129
	v_lshrrev_b32_e32 v128, 3, v13
	v_cmp_gt_u32_e64 s0, 8, v13
	s_delay_alu instid0(VALU_DEP_3) | instskip(NEXT) | instid1(VALU_DEP_2)
	v_dual_mov_b32 v14, v1 :: v_dual_mov_b32 v13, v0
	s_and_saveexec_b32 s16, s0
; %bb.1247:                             ;   in Loop: Header=BB346_806 Depth=1
	v_clz_i32_u32_e32 v13, v0
	s_delay_alu instid0(VALU_DEP_1) | instskip(NEXT) | instid1(VALU_DEP_1)
	v_min_u32_e32 v128, 32, v13
	v_subrev_nc_u32_e32 v13, 28, v128
	v_sub_nc_u32_e32 v128, 29, v128
	s_delay_alu instid0(VALU_DEP_2) | instskip(NEXT) | instid1(VALU_DEP_1)
	v_lshlrev_b64 v[13:14], v13, v[0:1]
	v_and_b32_e32 v13, 7, v13
; %bb.1248:                             ;   in Loop: Header=BB346_806 Depth=1
	s_or_b32 exec_lo, exec_lo, s16
	v_lshlrev_b32_e32 v0, 8, v129
	v_lshl_add_u32 v14, v128, 10, 0x2000
	s_delay_alu instid0(VALU_DEP_1) | instskip(NEXT) | instid1(VALU_DEP_1)
	v_and_or_b32 v0, 0x8000, v0, v14
	v_lshl_or_b32 v0, v13, 7, v0
	s_delay_alu instid0(VALU_DEP_1)
	v_cvt_f32_f16_e64 v128, v0
.LBB346_1249:                           ;   in Loop: Header=BB346_806 Depth=1
	s_or_b32 exec_lo, exec_lo, s15
.LBB346_1250:                           ;   in Loop: Header=BB346_806 Depth=1
	s_delay_alu instid0(SALU_CYCLE_1)
	s_or_b32 exec_lo, exec_lo, s13
.LBB346_1251:                           ;   in Loop: Header=BB346_806 Depth=1
	s_delay_alu instid0(SALU_CYCLE_1) | instskip(SKIP_3) | instid1(VALU_DEP_2)
	s_or_b32 exec_lo, exec_lo, s12
	v_lshrrev_b32_e32 v130, 16, v12
	v_mov_b32_e32 v13, 0
	s_mov_b32 s12, exec_lo
	v_dual_mov_b32 v129, 0 :: v_dual_and_b32 v0, 0xff, v130
	s_delay_alu instid0(VALU_DEP_1)
	v_cmpx_ne_u16_e32 0, v0
	s_cbranch_execz .LBB346_1259
; %bb.1252:                             ;   in Loop: Header=BB346_806 Depth=1
	v_bfrev_b32_e32 v13, 1
	s_mov_b32 s13, exec_lo
	v_cmpx_ne_u16_e32 0x80, v0
	s_cbranch_execz .LBB346_1258
; %bb.1253:                             ;   in Loop: Header=BB346_806 Depth=1
	v_bfe_u32 v14, v12, 16, 7
	v_mov_b32_e32 v13, 0x7fc02000
	s_mov_b32 s15, exec_lo
	s_delay_alu instid0(VALU_DEP_2)
	v_cmpx_ne_u32_e32 0x7f, v14
	s_cbranch_execz .LBB346_1257
; %bb.1254:                             ;   in Loop: Header=BB346_806 Depth=1
	v_and_b32_e32 v0, 7, v130
	v_lshrrev_b32_e32 v131, 3, v14
	v_cmp_gt_u32_e64 s0, 8, v14
	s_delay_alu instid0(VALU_DEP_3) | instskip(NEXT) | instid1(VALU_DEP_2)
	v_dual_mov_b32 v14, v1 :: v_dual_mov_b32 v13, v0
	s_and_saveexec_b32 s16, s0
; %bb.1255:                             ;   in Loop: Header=BB346_806 Depth=1
	v_clz_i32_u32_e32 v13, v0
	s_delay_alu instid0(VALU_DEP_1) | instskip(NEXT) | instid1(VALU_DEP_1)
	v_min_u32_e32 v131, 32, v13
	v_subrev_nc_u32_e32 v13, 28, v131
	v_sub_nc_u32_e32 v131, 29, v131
	s_delay_alu instid0(VALU_DEP_2) | instskip(NEXT) | instid1(VALU_DEP_1)
	v_lshlrev_b64 v[13:14], v13, v[0:1]
	v_and_b32_e32 v13, 7, v13
; %bb.1256:                             ;   in Loop: Header=BB346_806 Depth=1
	s_or_b32 exec_lo, exec_lo, s16
	v_lshlrev_b32_e32 v0, 8, v130
	v_lshl_add_u32 v14, v131, 10, 0x2000
	s_delay_alu instid0(VALU_DEP_1) | instskip(NEXT) | instid1(VALU_DEP_1)
	v_and_or_b32 v0, 0x8000, v0, v14
	v_lshl_or_b32 v0, v13, 7, v0
	s_delay_alu instid0(VALU_DEP_1)
	v_cvt_f32_f16_e32 v13, v0
.LBB346_1257:                           ;   in Loop: Header=BB346_806 Depth=1
	s_or_b32 exec_lo, exec_lo, s15
.LBB346_1258:                           ;   in Loop: Header=BB346_806 Depth=1
	s_delay_alu instid0(SALU_CYCLE_1)
	s_or_b32 exec_lo, exec_lo, s13
.LBB346_1259:                           ;   in Loop: Header=BB346_806 Depth=1
	s_delay_alu instid0(SALU_CYCLE_1) | instskip(NEXT) | instid1(SALU_CYCLE_1)
	s_or_b32 exec_lo, exec_lo, s12
	s_mov_b32 s12, exec_lo
	v_cmpx_lt_u64_e64 s[8:9], v[11:12]
	s_cbranch_execz .LBB346_1267
; %bb.1260:                             ;   in Loop: Header=BB346_806 Depth=1
	v_lshrrev_b32_e32 v14, 24, v12
	v_bfrev_b32_e32 v129, 1
	s_mov_b32 s13, exec_lo
	s_delay_alu instid0(VALU_DEP_2)
	v_cmpx_ne_u32_e32 0x80, v14
	s_cbranch_execz .LBB346_1266
; %bb.1261:                             ;   in Loop: Header=BB346_806 Depth=1
	v_and_b32_e32 v11, 0x7f, v14
	v_mov_b32_e32 v129, 0x7fc02000
	s_mov_b32 s15, exec_lo
	s_delay_alu instid0(VALU_DEP_2)
	v_cmpx_ne_u32_e32 0x7f, v11
	s_cbranch_execz .LBB346_1265
; %bb.1262:                             ;   in Loop: Header=BB346_806 Depth=1
	v_and_b32_e32 v0, 7, v14
	v_lshrrev_b32_e32 v129, 3, v11
	v_cmp_gt_u32_e64 s0, 8, v11
	s_delay_alu instid0(VALU_DEP_3) | instskip(NEXT) | instid1(VALU_DEP_2)
	v_dual_mov_b32 v12, v1 :: v_dual_mov_b32 v11, v0
	s_and_saveexec_b32 s16, s0
; %bb.1263:                             ;   in Loop: Header=BB346_806 Depth=1
	v_clz_i32_u32_e32 v11, v0
	s_delay_alu instid0(VALU_DEP_1) | instskip(NEXT) | instid1(VALU_DEP_1)
	v_min_u32_e32 v129, 32, v11
	v_subrev_nc_u32_e32 v11, 28, v129
	v_sub_nc_u32_e32 v129, 29, v129
	s_delay_alu instid0(VALU_DEP_2) | instskip(NEXT) | instid1(VALU_DEP_1)
	v_lshlrev_b64 v[11:12], v11, v[0:1]
	v_and_b32_e32 v11, 7, v11
; %bb.1264:                             ;   in Loop: Header=BB346_806 Depth=1
	s_or_b32 exec_lo, exec_lo, s16
	v_lshlrev_b32_e32 v0, 8, v14
	v_lshl_add_u32 v12, v129, 10, 0x2000
	s_delay_alu instid0(VALU_DEP_1) | instskip(NEXT) | instid1(VALU_DEP_1)
	v_and_or_b32 v0, 0x8000, v0, v12
	v_lshl_or_b32 v0, v11, 7, v0
	s_delay_alu instid0(VALU_DEP_1)
	v_cvt_f32_f16_e64 v129, v0
.LBB346_1265:                           ;   in Loop: Header=BB346_806 Depth=1
	s_or_b32 exec_lo, exec_lo, s15
.LBB346_1266:                           ;   in Loop: Header=BB346_806 Depth=1
	s_delay_alu instid0(SALU_CYCLE_1)
	s_or_b32 exec_lo, exec_lo, s13
.LBB346_1267:                           ;   in Loop: Header=BB346_806 Depth=1
	s_delay_alu instid0(SALU_CYCLE_1)
	s_or_b32 exec_lo, exec_lo, s12
	s_waitcnt vmcnt(0) lgkmcnt(0)
	v_fma_mixlo_f16 v12, v114, v116, 0
	v_fma_mixlo_f16 v0, v114, v118, 0
	;; [unrolled: 1-line block ×5, first 2 shown]
	v_lshlrev_b32_e32 v14, 16, v12
	v_fma_mixlo_f16 v117, v114, v119, 0
	v_fma_mixlo_f16 v118, v114, v129, 0
	;; [unrolled: 1-line block ×3, first 2 shown]
	v_lshlrev_b32_e32 v0, 16, v0
	v_and_b32_e32 v11, 0xffff, v11
	v_and_b32_e32 v114, 0xffff, v115
	v_lshlrev_b32_e32 v115, 16, v116
	v_and_b32_e32 v116, 0xffff, v117
	v_lshlrev_b32_e32 v117, 16, v118
	v_and_b32_e32 v118, 0xffff, v12
	v_or_b32_e32 v13, v0, v11
	v_or_b32_e32 v14, v14, v114
	;; [unrolled: 1-line block ×3, first 2 shown]
	s_delay_alu instid0(VALU_DEP_4)
	v_or_b32_e32 v11, v117, v118
	s_and_saveexec_b32 s12, vcc_lo
	s_cbranch_execz .LBB346_1269
; %bb.1268:                             ;   in Loop: Header=BB346_806 Depth=1
	v_cmp_lt_i32_e64 s0, v19, v38
	v_lshrrev_b32_e32 v114, 16, v14
	v_lshrrev_b32_e32 v115, 16, v13
	;; [unrolled: 1-line block ×4, first 2 shown]
	v_cndmask_b32_e64 v14, 0, v14, s0
	v_cmp_lt_i32_e64 s0, v84, v55
	s_delay_alu instid0(VALU_DEP_1) | instskip(SKIP_1) | instid1(VALU_DEP_2)
	v_cndmask_b32_e64 v114, 0, v114, s0
	v_cmp_lt_i32_e64 s0, v83, v55
	v_perm_b32 v14, v114, v14, 0x5040100
	s_delay_alu instid0(VALU_DEP_2) | instskip(SKIP_1) | instid1(VALU_DEP_1)
	v_cndmask_b32_e64 v115, 0, v115, s0
	v_cmp_lt_i32_e64 s0, v71, v38
	v_cndmask_b32_e64 v13, 0, v13, s0
	v_cmp_lt_i32_e64 s0, v70, v55
	s_delay_alu instid0(VALU_DEP_2) | instskip(NEXT) | instid1(VALU_DEP_2)
	v_perm_b32 v13, v115, v13, 0x5040100
	v_cndmask_b32_e64 v116, 0, v116, s0
	v_cmp_lt_i32_e64 s0, v69, v38
	s_delay_alu instid0(VALU_DEP_1) | instskip(SKIP_1) | instid1(VALU_DEP_2)
	v_cndmask_b32_e64 v0, 0, v0, s0
	v_cmp_lt_i32_e64 s0, v68, v55
	v_perm_b32 v0, v116, v0, 0x5040100
	s_delay_alu instid0(VALU_DEP_2) | instskip(SKIP_1) | instid1(VALU_DEP_1)
	v_cndmask_b32_e64 v11, 0, v11, s0
	v_cmp_lt_i32_e64 s0, v64, v38
	v_cndmask_b32_e64 v12, 0, v12, s0
	s_delay_alu instid0(VALU_DEP_1)
	v_perm_b32 v11, v11, v12, 0x5040100
.LBB346_1269:                           ;   in Loop: Header=BB346_806 Depth=1
	s_or_b32 exec_lo, exec_lo, s12
	;;#ASMSTART
	v_pk_mul_f16 v12, v87, v14;

	;;#ASMEND
	;;#ASMSTART
	v_pk_mul_f16 v13, v86, v13;

	;;#ASMEND
	;; [unrolled: 4-line block ×4, first 2 shown]
	;;#ASMSTART
	v_pk_add_f16 v12, v12, v13;

	;;#ASMEND
	;;#ASMSTART
	v_pk_add_f16 v0, v12, v0;

	;;#ASMEND
	;; [unrolled: 4-line block ×3, first 2 shown]
	v_dual_mov_b32 v118, 0 :: v_dual_and_b32 v11, 0xffff, v0
	v_lshrrev_b32_e32 v0, 16, v0
	;;#ASMSTART
	v_cvt_f32_f16 v114, v11;
	;;#ASMEND
	;;#ASMSTART
	v_cvt_f32_f16 v115, v0;
	;;#ASMEND
	flat_load_b64 v[11:12], v[9:10] offset:1792
	flat_load_b32 v116, v[26:27]
	s_mov_b32 s12, exec_lo
	s_waitcnt vmcnt(1) lgkmcnt(1)
	v_dual_mov_b32 v117, 0 :: v_dual_and_b32 v0, 0xff, v11
	s_delay_alu instid0(VALU_DEP_1)
	v_cmpx_ne_u16_e32 0, v0
	s_cbranch_execz .LBB346_1277
; %bb.1270:                             ;   in Loop: Header=BB346_806 Depth=1
	v_bfrev_b32_e32 v117, 1
	s_mov_b32 s13, exec_lo
	v_cmpx_ne_u16_e32 0x80, v0
	s_cbranch_execz .LBB346_1276
; %bb.1271:                             ;   in Loop: Header=BB346_806 Depth=1
	v_and_b32_e32 v13, 0x7f, v11
	v_mov_b32_e32 v117, 0x7fc02000
	s_mov_b32 s15, exec_lo
	s_delay_alu instid0(VALU_DEP_2)
	v_cmpx_ne_u32_e32 0x7f, v13
	s_cbranch_execz .LBB346_1275
; %bb.1272:                             ;   in Loop: Header=BB346_806 Depth=1
	v_lshrrev_b32_e32 v0, 3, v13
	v_cmp_gt_u32_e64 s0, 8, v13
	v_dual_mov_b32 v14, v12 :: v_dual_mov_b32 v13, v11
	s_delay_alu instid0(VALU_DEP_2)
	s_and_saveexec_b32 s16, s0
; %bb.1273:                             ;   in Loop: Header=BB346_806 Depth=1
	v_and_b32_e32 v0, 7, v11
	s_delay_alu instid0(VALU_DEP_1) | instskip(NEXT) | instid1(VALU_DEP_1)
	v_clz_i32_u32_e32 v0, v0
	v_min_u32_e32 v0, 32, v0
	s_delay_alu instid0(VALU_DEP_1) | instskip(SKIP_1) | instid1(VALU_DEP_2)
	v_subrev_nc_u32_e32 v13, 28, v0
	v_sub_nc_u32_e32 v0, 29, v0
	v_lshlrev_b64 v[13:14], v13, v[11:12]
; %bb.1274:                             ;   in Loop: Header=BB346_806 Depth=1
	s_or_b32 exec_lo, exec_lo, s16
	v_lshlrev_b32_e32 v14, 8, v11
	s_delay_alu instid0(VALU_DEP_3) | instskip(NEXT) | instid1(VALU_DEP_3)
	v_lshl_add_u32 v0, v0, 10, 0x2000
	v_lshlrev_b32_e32 v13, 7, v13
	s_delay_alu instid0(VALU_DEP_2) | instskip(NEXT) | instid1(VALU_DEP_1)
	v_and_or_b32 v0, 0x8000, v14, v0
	v_and_or_b32 v0, 0x380, v13, v0
	s_delay_alu instid0(VALU_DEP_1)
	v_cvt_f32_f16_e32 v117, v0
.LBB346_1275:                           ;   in Loop: Header=BB346_806 Depth=1
	s_or_b32 exec_lo, exec_lo, s15
.LBB346_1276:                           ;   in Loop: Header=BB346_806 Depth=1
	s_delay_alu instid0(SALU_CYCLE_1)
	s_or_b32 exec_lo, exec_lo, s13
.LBB346_1277:                           ;   in Loop: Header=BB346_806 Depth=1
	s_delay_alu instid0(SALU_CYCLE_1) | instskip(SKIP_2) | instid1(VALU_DEP_1)
	s_or_b32 exec_lo, exec_lo, s12
	v_lshrrev_b16 v0, 8, v11
	s_mov_b32 s12, exec_lo
	v_cmpx_ne_u16_e32 0, v0
	s_cbranch_execz .LBB346_1285
; %bb.1278:                             ;   in Loop: Header=BB346_806 Depth=1
	v_bfrev_b32_e32 v118, 1
	s_mov_b32 s13, exec_lo
	v_cmpx_ne_u16_e32 0x80, v0
	s_cbranch_execz .LBB346_1284
; %bb.1279:                             ;   in Loop: Header=BB346_806 Depth=1
	v_and_b32_e32 v119, 0xffff, v0
	v_mov_b32_e32 v118, 0x7fc02000
	s_mov_b32 s15, exec_lo
	s_delay_alu instid0(VALU_DEP_2) | instskip(NEXT) | instid1(VALU_DEP_1)
	v_and_b32_e32 v13, 0x7f, v119
	v_cmpx_ne_u32_e32 0x7f, v13
	s_cbranch_execz .LBB346_1283
; %bb.1280:                             ;   in Loop: Header=BB346_806 Depth=1
	v_and_b32_e32 v0, 7, v119
	v_lshrrev_b32_e32 v118, 3, v13
	v_cmp_gt_u32_e64 s0, 8, v13
	s_delay_alu instid0(VALU_DEP_3) | instskip(NEXT) | instid1(VALU_DEP_2)
	v_dual_mov_b32 v14, v1 :: v_dual_mov_b32 v13, v0
	s_and_saveexec_b32 s16, s0
; %bb.1281:                             ;   in Loop: Header=BB346_806 Depth=1
	v_clz_i32_u32_e32 v13, v0
	s_delay_alu instid0(VALU_DEP_1) | instskip(NEXT) | instid1(VALU_DEP_1)
	v_min_u32_e32 v118, 32, v13
	v_subrev_nc_u32_e32 v13, 28, v118
	v_sub_nc_u32_e32 v118, 29, v118
	s_delay_alu instid0(VALU_DEP_2) | instskip(NEXT) | instid1(VALU_DEP_1)
	v_lshlrev_b64 v[13:14], v13, v[0:1]
	v_and_b32_e32 v13, 7, v13
; %bb.1282:                             ;   in Loop: Header=BB346_806 Depth=1
	s_or_b32 exec_lo, exec_lo, s16
	v_lshlrev_b32_e32 v0, 8, v119
	v_lshl_add_u32 v14, v118, 10, 0x2000
	s_delay_alu instid0(VALU_DEP_1) | instskip(NEXT) | instid1(VALU_DEP_1)
	v_and_or_b32 v0, 0x8000, v0, v14
	v_lshl_or_b32 v0, v13, 7, v0
	s_delay_alu instid0(VALU_DEP_1)
	v_cvt_f32_f16_e32 v118, v0
.LBB346_1283:                           ;   in Loop: Header=BB346_806 Depth=1
	s_or_b32 exec_lo, exec_lo, s15
.LBB346_1284:                           ;   in Loop: Header=BB346_806 Depth=1
	s_delay_alu instid0(SALU_CYCLE_1)
	s_or_b32 exec_lo, exec_lo, s13
.LBB346_1285:                           ;   in Loop: Header=BB346_806 Depth=1
	s_delay_alu instid0(SALU_CYCLE_1) | instskip(SKIP_3) | instid1(VALU_DEP_2)
	s_or_b32 exec_lo, exec_lo, s12
	v_lshrrev_b32_e32 v129, 16, v11
	v_mov_b32_e32 v128, 0
	s_mov_b32 s12, exec_lo
	v_dual_mov_b32 v119, 0 :: v_dual_and_b32 v0, 0xff, v129
	s_delay_alu instid0(VALU_DEP_1)
	v_cmpx_ne_u16_e32 0, v0
	s_cbranch_execz .LBB346_1293
; %bb.1286:                             ;   in Loop: Header=BB346_806 Depth=1
	v_bfrev_b32_e32 v119, 1
	s_mov_b32 s13, exec_lo
	v_cmpx_ne_u16_e32 0x80, v0
	s_cbranch_execz .LBB346_1292
; %bb.1287:                             ;   in Loop: Header=BB346_806 Depth=1
	v_bfe_u32 v13, v11, 16, 7
	v_mov_b32_e32 v119, 0x7fc02000
	s_mov_b32 s15, exec_lo
	s_delay_alu instid0(VALU_DEP_2)
	v_cmpx_ne_u32_e32 0x7f, v13
	s_cbranch_execz .LBB346_1291
; %bb.1288:                             ;   in Loop: Header=BB346_806 Depth=1
	v_and_b32_e32 v0, 7, v129
	v_lshrrev_b32_e32 v119, 3, v13
	v_cmp_gt_u32_e64 s0, 8, v13
	s_delay_alu instid0(VALU_DEP_3) | instskip(NEXT) | instid1(VALU_DEP_2)
	v_dual_mov_b32 v14, v1 :: v_dual_mov_b32 v13, v0
	s_and_saveexec_b32 s16, s0
; %bb.1289:                             ;   in Loop: Header=BB346_806 Depth=1
	v_clz_i32_u32_e32 v13, v0
	s_delay_alu instid0(VALU_DEP_1) | instskip(NEXT) | instid1(VALU_DEP_1)
	v_min_u32_e32 v119, 32, v13
	v_subrev_nc_u32_e32 v13, 28, v119
	v_sub_nc_u32_e32 v119, 29, v119
	s_delay_alu instid0(VALU_DEP_2) | instskip(NEXT) | instid1(VALU_DEP_1)
	v_lshlrev_b64 v[13:14], v13, v[0:1]
	v_and_b32_e32 v13, 7, v13
; %bb.1290:                             ;   in Loop: Header=BB346_806 Depth=1
	s_or_b32 exec_lo, exec_lo, s16
	v_lshlrev_b32_e32 v0, 8, v129
	v_lshl_add_u32 v14, v119, 10, 0x2000
	s_delay_alu instid0(VALU_DEP_1) | instskip(NEXT) | instid1(VALU_DEP_1)
	v_and_or_b32 v0, 0x8000, v0, v14
	v_lshl_or_b32 v0, v13, 7, v0
	s_delay_alu instid0(VALU_DEP_1)
	v_cvt_f32_f16_e32 v119, v0
.LBB346_1291:                           ;   in Loop: Header=BB346_806 Depth=1
	s_or_b32 exec_lo, exec_lo, s15
.LBB346_1292:                           ;   in Loop: Header=BB346_806 Depth=1
	s_delay_alu instid0(SALU_CYCLE_1)
	s_or_b32 exec_lo, exec_lo, s13
.LBB346_1293:                           ;   in Loop: Header=BB346_806 Depth=1
	s_delay_alu instid0(SALU_CYCLE_1) | instskip(NEXT) | instid1(SALU_CYCLE_1)
	s_or_b32 exec_lo, exec_lo, s12
	s_mov_b32 s12, exec_lo
	v_cmpx_lt_u32_e32 0xffffff, v11
	s_cbranch_execz .LBB346_1301
; %bb.1294:                             ;   in Loop: Header=BB346_806 Depth=1
	v_lshrrev_b32_e32 v129, 24, v11
	v_bfrev_b32_e32 v128, 1
	s_mov_b32 s13, exec_lo
	s_delay_alu instid0(VALU_DEP_2)
	v_cmpx_ne_u32_e32 0x80, v129
	s_cbranch_execz .LBB346_1300
; %bb.1295:                             ;   in Loop: Header=BB346_806 Depth=1
	v_and_b32_e32 v13, 0x7f, v129
	v_mov_b32_e32 v128, 0x7fc02000
	s_mov_b32 s15, exec_lo
	s_delay_alu instid0(VALU_DEP_2)
	v_cmpx_ne_u32_e32 0x7f, v13
	s_cbranch_execz .LBB346_1299
; %bb.1296:                             ;   in Loop: Header=BB346_806 Depth=1
	v_and_b32_e32 v0, 7, v129
	v_lshrrev_b32_e32 v128, 3, v13
	v_cmp_gt_u32_e64 s0, 8, v13
	s_delay_alu instid0(VALU_DEP_3) | instskip(NEXT) | instid1(VALU_DEP_2)
	v_dual_mov_b32 v14, v1 :: v_dual_mov_b32 v13, v0
	s_and_saveexec_b32 s16, s0
; %bb.1297:                             ;   in Loop: Header=BB346_806 Depth=1
	v_clz_i32_u32_e32 v13, v0
	s_delay_alu instid0(VALU_DEP_1) | instskip(NEXT) | instid1(VALU_DEP_1)
	v_min_u32_e32 v128, 32, v13
	v_subrev_nc_u32_e32 v13, 28, v128
	v_sub_nc_u32_e32 v128, 29, v128
	s_delay_alu instid0(VALU_DEP_2) | instskip(NEXT) | instid1(VALU_DEP_1)
	v_lshlrev_b64 v[13:14], v13, v[0:1]
	v_and_b32_e32 v13, 7, v13
; %bb.1298:                             ;   in Loop: Header=BB346_806 Depth=1
	s_or_b32 exec_lo, exec_lo, s16
	v_lshlrev_b32_e32 v0, 8, v129
	v_lshl_add_u32 v14, v128, 10, 0x2000
	s_delay_alu instid0(VALU_DEP_1) | instskip(NEXT) | instid1(VALU_DEP_1)
	v_and_or_b32 v0, 0x8000, v0, v14
	v_lshl_or_b32 v0, v13, 7, v0
	s_delay_alu instid0(VALU_DEP_1)
	v_cvt_f32_f16_e64 v128, v0
.LBB346_1299:                           ;   in Loop: Header=BB346_806 Depth=1
	s_or_b32 exec_lo, exec_lo, s15
.LBB346_1300:                           ;   in Loop: Header=BB346_806 Depth=1
	s_delay_alu instid0(SALU_CYCLE_1)
	s_or_b32 exec_lo, exec_lo, s13
.LBB346_1301:                           ;   in Loop: Header=BB346_806 Depth=1
	s_delay_alu instid0(SALU_CYCLE_1) | instskip(SKIP_3) | instid1(VALU_DEP_2)
	s_or_b32 exec_lo, exec_lo, s12
	v_dual_mov_b32 v0, v12 :: v_dual_and_b32 v13, 0xff, v12
	v_dual_mov_b32 v130, 0 :: v_dual_mov_b32 v129, 0
	s_mov_b32 s12, exec_lo
	v_cmpx_ne_u16_e32 0, v13
	s_cbranch_execz .LBB346_1309
; %bb.1302:                             ;   in Loop: Header=BB346_806 Depth=1
	v_bfrev_b32_e32 v129, 1
	s_mov_b32 s13, exec_lo
	v_cmpx_ne_u16_e32 0x80, v13
	s_cbranch_execz .LBB346_1308
; %bb.1303:                             ;   in Loop: Header=BB346_806 Depth=1
	v_and_b32_e32 v13, 0x7f, v12
	v_mov_b32_e32 v129, 0x7fc02000
	s_mov_b32 s15, exec_lo
	s_delay_alu instid0(VALU_DEP_2)
	v_cmpx_ne_u32_e32 0x7f, v13
	s_cbranch_execz .LBB346_1307
; %bb.1304:                             ;   in Loop: Header=BB346_806 Depth=1
	v_lshrrev_b32_e32 v129, 3, v13
	v_cmp_gt_u32_e64 s0, 8, v13
	v_dual_mov_b32 v14, v1 :: v_dual_mov_b32 v13, v0
	s_delay_alu instid0(VALU_DEP_2)
	s_and_saveexec_b32 s16, s0
; %bb.1305:                             ;   in Loop: Header=BB346_806 Depth=1
	v_and_b32_e32 v13, 7, v12
	s_delay_alu instid0(VALU_DEP_1) | instskip(NEXT) | instid1(VALU_DEP_1)
	v_clz_i32_u32_e32 v13, v13
	v_min_u32_e32 v129, 32, v13
	s_delay_alu instid0(VALU_DEP_1) | instskip(SKIP_1) | instid1(VALU_DEP_2)
	v_subrev_nc_u32_e32 v13, 28, v129
	v_sub_nc_u32_e32 v129, 29, v129
	v_lshlrev_b64 v[13:14], v13, v[0:1]
; %bb.1306:                             ;   in Loop: Header=BB346_806 Depth=1
	s_or_b32 exec_lo, exec_lo, s16
	v_lshlrev_b32_e32 v14, 8, v12
	s_delay_alu instid0(VALU_DEP_3) | instskip(NEXT) | instid1(VALU_DEP_3)
	v_lshl_add_u32 v129, v129, 10, 0x2000
	v_lshlrev_b32_e32 v13, 7, v13
	s_delay_alu instid0(VALU_DEP_2) | instskip(NEXT) | instid1(VALU_DEP_1)
	v_and_or_b32 v14, 0x8000, v14, v129
	v_and_or_b32 v13, 0x380, v13, v14
	s_delay_alu instid0(VALU_DEP_1)
	v_cvt_f32_f16_e64 v129, v13
.LBB346_1307:                           ;   in Loop: Header=BB346_806 Depth=1
	s_or_b32 exec_lo, exec_lo, s15
.LBB346_1308:                           ;   in Loop: Header=BB346_806 Depth=1
	s_delay_alu instid0(SALU_CYCLE_1)
	s_or_b32 exec_lo, exec_lo, s13
.LBB346_1309:                           ;   in Loop: Header=BB346_806 Depth=1
	s_delay_alu instid0(SALU_CYCLE_1) | instskip(SKIP_2) | instid1(VALU_DEP_1)
	s_or_b32 exec_lo, exec_lo, s12
	v_lshrrev_b16 v0, 8, v0
	s_mov_b32 s12, exec_lo
	v_cmpx_ne_u16_e32 0, v0
	s_cbranch_execz .LBB346_1317
; %bb.1310:                             ;   in Loop: Header=BB346_806 Depth=1
	v_bfrev_b32_e32 v130, 1
	s_mov_b32 s13, exec_lo
	v_cmpx_ne_u16_e32 0x80, v0
	s_cbranch_execz .LBB346_1316
; %bb.1311:                             ;   in Loop: Header=BB346_806 Depth=1
	v_and_b32_e32 v131, 0xffff, v0
	v_mov_b32_e32 v130, 0x7fc02000
	s_mov_b32 s15, exec_lo
	s_delay_alu instid0(VALU_DEP_2) | instskip(NEXT) | instid1(VALU_DEP_1)
	v_and_b32_e32 v13, 0x7f, v131
	v_cmpx_ne_u32_e32 0x7f, v13
	s_cbranch_execz .LBB346_1315
; %bb.1312:                             ;   in Loop: Header=BB346_806 Depth=1
	v_and_b32_e32 v0, 7, v131
	v_lshrrev_b32_e32 v130, 3, v13
	v_cmp_gt_u32_e64 s0, 8, v13
	s_delay_alu instid0(VALU_DEP_3) | instskip(NEXT) | instid1(VALU_DEP_2)
	v_dual_mov_b32 v14, v1 :: v_dual_mov_b32 v13, v0
	s_and_saveexec_b32 s16, s0
; %bb.1313:                             ;   in Loop: Header=BB346_806 Depth=1
	v_clz_i32_u32_e32 v13, v0
	s_delay_alu instid0(VALU_DEP_1) | instskip(NEXT) | instid1(VALU_DEP_1)
	v_min_u32_e32 v130, 32, v13
	v_subrev_nc_u32_e32 v13, 28, v130
	v_sub_nc_u32_e32 v130, 29, v130
	s_delay_alu instid0(VALU_DEP_2) | instskip(NEXT) | instid1(VALU_DEP_1)
	v_lshlrev_b64 v[13:14], v13, v[0:1]
	v_and_b32_e32 v13, 7, v13
; %bb.1314:                             ;   in Loop: Header=BB346_806 Depth=1
	s_or_b32 exec_lo, exec_lo, s16
	v_lshlrev_b32_e32 v0, 8, v131
	v_lshl_add_u32 v14, v130, 10, 0x2000
	s_delay_alu instid0(VALU_DEP_1) | instskip(NEXT) | instid1(VALU_DEP_1)
	v_and_or_b32 v0, 0x8000, v0, v14
	v_lshl_or_b32 v0, v13, 7, v0
	s_delay_alu instid0(VALU_DEP_1)
	v_cvt_f32_f16_e64 v130, v0
.LBB346_1315:                           ;   in Loop: Header=BB346_806 Depth=1
	s_or_b32 exec_lo, exec_lo, s15
.LBB346_1316:                           ;   in Loop: Header=BB346_806 Depth=1
	s_delay_alu instid0(SALU_CYCLE_1)
	s_or_b32 exec_lo, exec_lo, s13
.LBB346_1317:                           ;   in Loop: Header=BB346_806 Depth=1
	s_delay_alu instid0(SALU_CYCLE_1) | instskip(SKIP_3) | instid1(VALU_DEP_2)
	s_or_b32 exec_lo, exec_lo, s12
	v_lshrrev_b32_e32 v132, 16, v12
	v_mov_b32_e32 v13, 0
	s_mov_b32 s12, exec_lo
	v_dual_mov_b32 v131, 0 :: v_dual_and_b32 v0, 0xff, v132
	s_delay_alu instid0(VALU_DEP_1)
	v_cmpx_ne_u16_e32 0, v0
	s_cbranch_execz .LBB346_1325
; %bb.1318:                             ;   in Loop: Header=BB346_806 Depth=1
	v_bfrev_b32_e32 v13, 1
	s_mov_b32 s13, exec_lo
	v_cmpx_ne_u16_e32 0x80, v0
	s_cbranch_execz .LBB346_1324
; %bb.1319:                             ;   in Loop: Header=BB346_806 Depth=1
	v_bfe_u32 v14, v12, 16, 7
	v_mov_b32_e32 v13, 0x7fc02000
	s_mov_b32 s15, exec_lo
	s_delay_alu instid0(VALU_DEP_2)
	v_cmpx_ne_u32_e32 0x7f, v14
	s_cbranch_execz .LBB346_1323
; %bb.1320:                             ;   in Loop: Header=BB346_806 Depth=1
	v_and_b32_e32 v0, 7, v132
	v_lshrrev_b32_e32 v133, 3, v14
	v_cmp_gt_u32_e64 s0, 8, v14
	s_delay_alu instid0(VALU_DEP_3) | instskip(NEXT) | instid1(VALU_DEP_2)
	v_dual_mov_b32 v14, v1 :: v_dual_mov_b32 v13, v0
	s_and_saveexec_b32 s16, s0
; %bb.1321:                             ;   in Loop: Header=BB346_806 Depth=1
	v_clz_i32_u32_e32 v13, v0
	s_delay_alu instid0(VALU_DEP_1) | instskip(NEXT) | instid1(VALU_DEP_1)
	v_min_u32_e32 v133, 32, v13
	v_subrev_nc_u32_e32 v13, 28, v133
	v_sub_nc_u32_e32 v133, 29, v133
	s_delay_alu instid0(VALU_DEP_2) | instskip(NEXT) | instid1(VALU_DEP_1)
	v_lshlrev_b64 v[13:14], v13, v[0:1]
	v_and_b32_e32 v13, 7, v13
; %bb.1322:                             ;   in Loop: Header=BB346_806 Depth=1
	s_or_b32 exec_lo, exec_lo, s16
	v_lshlrev_b32_e32 v0, 8, v132
	v_lshl_add_u32 v14, v133, 10, 0x2000
	s_delay_alu instid0(VALU_DEP_1) | instskip(NEXT) | instid1(VALU_DEP_1)
	v_and_or_b32 v0, 0x8000, v0, v14
	v_lshl_or_b32 v0, v13, 7, v0
	s_delay_alu instid0(VALU_DEP_1)
	v_cvt_f32_f16_e32 v13, v0
.LBB346_1323:                           ;   in Loop: Header=BB346_806 Depth=1
	s_or_b32 exec_lo, exec_lo, s15
.LBB346_1324:                           ;   in Loop: Header=BB346_806 Depth=1
	s_delay_alu instid0(SALU_CYCLE_1)
	s_or_b32 exec_lo, exec_lo, s13
.LBB346_1325:                           ;   in Loop: Header=BB346_806 Depth=1
	s_delay_alu instid0(SALU_CYCLE_1) | instskip(NEXT) | instid1(SALU_CYCLE_1)
	s_or_b32 exec_lo, exec_lo, s12
	s_mov_b32 s12, exec_lo
	v_cmpx_lt_u64_e64 s[8:9], v[11:12]
	s_cbranch_execz .LBB346_1333
; %bb.1326:                             ;   in Loop: Header=BB346_806 Depth=1
	v_lshrrev_b32_e32 v14, 24, v12
	v_bfrev_b32_e32 v131, 1
	s_mov_b32 s13, exec_lo
	s_delay_alu instid0(VALU_DEP_2)
	v_cmpx_ne_u32_e32 0x80, v14
	s_cbranch_execz .LBB346_1332
; %bb.1327:                             ;   in Loop: Header=BB346_806 Depth=1
	v_and_b32_e32 v11, 0x7f, v14
	v_mov_b32_e32 v131, 0x7fc02000
	s_mov_b32 s15, exec_lo
	s_delay_alu instid0(VALU_DEP_2)
	v_cmpx_ne_u32_e32 0x7f, v11
	s_cbranch_execz .LBB346_1331
; %bb.1328:                             ;   in Loop: Header=BB346_806 Depth=1
	v_and_b32_e32 v0, 7, v14
	v_lshrrev_b32_e32 v131, 3, v11
	v_cmp_gt_u32_e64 s0, 8, v11
	s_delay_alu instid0(VALU_DEP_3) | instskip(NEXT) | instid1(VALU_DEP_2)
	v_dual_mov_b32 v12, v1 :: v_dual_mov_b32 v11, v0
	s_and_saveexec_b32 s16, s0
; %bb.1329:                             ;   in Loop: Header=BB346_806 Depth=1
	v_clz_i32_u32_e32 v11, v0
	s_delay_alu instid0(VALU_DEP_1) | instskip(NEXT) | instid1(VALU_DEP_1)
	v_min_u32_e32 v131, 32, v11
	v_subrev_nc_u32_e32 v11, 28, v131
	v_sub_nc_u32_e32 v131, 29, v131
	s_delay_alu instid0(VALU_DEP_2) | instskip(NEXT) | instid1(VALU_DEP_1)
	v_lshlrev_b64 v[11:12], v11, v[0:1]
	v_and_b32_e32 v11, 7, v11
; %bb.1330:                             ;   in Loop: Header=BB346_806 Depth=1
	s_or_b32 exec_lo, exec_lo, s16
	v_lshlrev_b32_e32 v0, 8, v14
	v_lshl_add_u32 v12, v131, 10, 0x2000
	s_delay_alu instid0(VALU_DEP_1) | instskip(NEXT) | instid1(VALU_DEP_1)
	v_and_or_b32 v0, 0x8000, v0, v12
	v_lshl_or_b32 v0, v11, 7, v0
	s_delay_alu instid0(VALU_DEP_1)
	v_cvt_f32_f16_e64 v131, v0
.LBB346_1331:                           ;   in Loop: Header=BB346_806 Depth=1
	s_or_b32 exec_lo, exec_lo, s15
.LBB346_1332:                           ;   in Loop: Header=BB346_806 Depth=1
	s_delay_alu instid0(SALU_CYCLE_1)
	s_or_b32 exec_lo, exec_lo, s13
.LBB346_1333:                           ;   in Loop: Header=BB346_806 Depth=1
	s_delay_alu instid0(SALU_CYCLE_1)
	s_or_b32 exec_lo, exec_lo, s12
	s_waitcnt vmcnt(0) lgkmcnt(0)
	v_fma_mixlo_f16 v12, v116, v118, 0
	v_fma_mixlo_f16 v0, v116, v128, 0
	;; [unrolled: 1-line block ×5, first 2 shown]
	v_lshlrev_b32_e32 v14, 16, v12
	v_fma_mixlo_f16 v119, v116, v129, 0
	v_fma_mixlo_f16 v128, v116, v131, 0
	;; [unrolled: 1-line block ×3, first 2 shown]
	v_lshlrev_b32_e32 v0, 16, v0
	v_and_b32_e32 v11, 0xffff, v11
	v_and_b32_e32 v116, 0xffff, v117
	v_lshlrev_b32_e32 v117, 16, v118
	v_and_b32_e32 v118, 0xffff, v119
	v_lshlrev_b32_e32 v119, 16, v128
	v_and_b32_e32 v128, 0xffff, v12
	v_or_b32_e32 v13, v0, v11
	v_or_b32_e32 v14, v14, v116
	;; [unrolled: 1-line block ×3, first 2 shown]
	s_delay_alu instid0(VALU_DEP_4)
	v_or_b32_e32 v11, v119, v128
	s_and_saveexec_b32 s12, vcc_lo
	s_cbranch_execz .LBB346_1335
; %bb.1334:                             ;   in Loop: Header=BB346_806 Depth=1
	v_cmp_lt_i32_e64 s0, v19, v38
	v_lshrrev_b32_e32 v116, 16, v14
	v_lshrrev_b32_e32 v117, 16, v13
	;; [unrolled: 1-line block ×4, first 2 shown]
	v_cndmask_b32_e64 v14, 0, v14, s0
	v_cmp_lt_i32_e64 s0, v84, v55
	s_delay_alu instid0(VALU_DEP_1) | instskip(SKIP_1) | instid1(VALU_DEP_2)
	v_cndmask_b32_e64 v116, 0, v116, s0
	v_cmp_lt_i32_e64 s0, v83, v55
	v_perm_b32 v14, v116, v14, 0x5040100
	s_delay_alu instid0(VALU_DEP_2) | instskip(SKIP_1) | instid1(VALU_DEP_1)
	v_cndmask_b32_e64 v117, 0, v117, s0
	v_cmp_lt_i32_e64 s0, v71, v38
	v_cndmask_b32_e64 v13, 0, v13, s0
	v_cmp_lt_i32_e64 s0, v70, v55
	s_delay_alu instid0(VALU_DEP_2) | instskip(NEXT) | instid1(VALU_DEP_2)
	v_perm_b32 v13, v117, v13, 0x5040100
	v_cndmask_b32_e64 v118, 0, v118, s0
	v_cmp_lt_i32_e64 s0, v69, v38
	s_delay_alu instid0(VALU_DEP_1) | instskip(SKIP_1) | instid1(VALU_DEP_2)
	v_cndmask_b32_e64 v0, 0, v0, s0
	v_cmp_lt_i32_e64 s0, v68, v55
	v_perm_b32 v0, v118, v0, 0x5040100
	s_delay_alu instid0(VALU_DEP_2) | instskip(SKIP_1) | instid1(VALU_DEP_1)
	v_cndmask_b32_e64 v11, 0, v11, s0
	v_cmp_lt_i32_e64 s0, v64, v38
	v_cndmask_b32_e64 v12, 0, v12, s0
	s_delay_alu instid0(VALU_DEP_1)
	v_perm_b32 v11, v11, v12, 0x5040100
.LBB346_1335:                           ;   in Loop: Header=BB346_806 Depth=1
	s_or_b32 exec_lo, exec_lo, s12
	;;#ASMSTART
	v_pk_mul_f16 v12, v87, v14;

	;;#ASMEND
	;;#ASMSTART
	v_pk_mul_f16 v13, v86, v13;

	;;#ASMEND
	;; [unrolled: 4-line block ×4, first 2 shown]
	;;#ASMSTART
	v_pk_add_f16 v12, v12, v13;

	;;#ASMEND
	;;#ASMSTART
	v_pk_add_f16 v0, v12, v0;

	;;#ASMEND
	;; [unrolled: 4-line block ×3, first 2 shown]
	v_dual_mov_b32 v128, 0 :: v_dual_and_b32 v11, 0xffff, v0
	v_lshrrev_b32_e32 v0, 16, v0
	;;#ASMSTART
	v_cvt_f32_f16 v116, v11;
	;;#ASMEND
	;;#ASMSTART
	v_cvt_f32_f16 v117, v0;
	;;#ASMEND
	flat_load_b64 v[11:12], v[9:10] offset:2048
	flat_load_b32 v118, v[26:27]
	s_mov_b32 s12, exec_lo
	s_waitcnt vmcnt(1) lgkmcnt(1)
	v_dual_mov_b32 v119, 0 :: v_dual_and_b32 v0, 0xff, v11
	s_delay_alu instid0(VALU_DEP_1)
	v_cmpx_ne_u16_e32 0, v0
	s_cbranch_execz .LBB346_1343
; %bb.1336:                             ;   in Loop: Header=BB346_806 Depth=1
	v_bfrev_b32_e32 v119, 1
	s_mov_b32 s13, exec_lo
	v_cmpx_ne_u16_e32 0x80, v0
	s_cbranch_execz .LBB346_1342
; %bb.1337:                             ;   in Loop: Header=BB346_806 Depth=1
	v_and_b32_e32 v13, 0x7f, v11
	v_mov_b32_e32 v119, 0x7fc02000
	s_mov_b32 s15, exec_lo
	s_delay_alu instid0(VALU_DEP_2)
	v_cmpx_ne_u32_e32 0x7f, v13
	s_cbranch_execz .LBB346_1341
; %bb.1338:                             ;   in Loop: Header=BB346_806 Depth=1
	v_lshrrev_b32_e32 v0, 3, v13
	v_cmp_gt_u32_e64 s0, 8, v13
	v_dual_mov_b32 v14, v12 :: v_dual_mov_b32 v13, v11
	s_delay_alu instid0(VALU_DEP_2)
	s_and_saveexec_b32 s16, s0
; %bb.1339:                             ;   in Loop: Header=BB346_806 Depth=1
	v_and_b32_e32 v0, 7, v11
	s_delay_alu instid0(VALU_DEP_1) | instskip(NEXT) | instid1(VALU_DEP_1)
	v_clz_i32_u32_e32 v0, v0
	v_min_u32_e32 v0, 32, v0
	s_delay_alu instid0(VALU_DEP_1) | instskip(SKIP_1) | instid1(VALU_DEP_2)
	v_subrev_nc_u32_e32 v13, 28, v0
	v_sub_nc_u32_e32 v0, 29, v0
	v_lshlrev_b64 v[13:14], v13, v[11:12]
; %bb.1340:                             ;   in Loop: Header=BB346_806 Depth=1
	s_or_b32 exec_lo, exec_lo, s16
	v_lshlrev_b32_e32 v14, 8, v11
	s_delay_alu instid0(VALU_DEP_3) | instskip(NEXT) | instid1(VALU_DEP_3)
	v_lshl_add_u32 v0, v0, 10, 0x2000
	v_lshlrev_b32_e32 v13, 7, v13
	s_delay_alu instid0(VALU_DEP_2) | instskip(NEXT) | instid1(VALU_DEP_1)
	v_and_or_b32 v0, 0x8000, v14, v0
	v_and_or_b32 v0, 0x380, v13, v0
	s_delay_alu instid0(VALU_DEP_1)
	v_cvt_f32_f16_e32 v119, v0
.LBB346_1341:                           ;   in Loop: Header=BB346_806 Depth=1
	s_or_b32 exec_lo, exec_lo, s15
.LBB346_1342:                           ;   in Loop: Header=BB346_806 Depth=1
	s_delay_alu instid0(SALU_CYCLE_1)
	s_or_b32 exec_lo, exec_lo, s13
.LBB346_1343:                           ;   in Loop: Header=BB346_806 Depth=1
	s_delay_alu instid0(SALU_CYCLE_1) | instskip(SKIP_2) | instid1(VALU_DEP_1)
	s_or_b32 exec_lo, exec_lo, s12
	v_lshrrev_b16 v0, 8, v11
	s_mov_b32 s12, exec_lo
	v_cmpx_ne_u16_e32 0, v0
	s_cbranch_execz .LBB346_1351
; %bb.1344:                             ;   in Loop: Header=BB346_806 Depth=1
	v_bfrev_b32_e32 v128, 1
	s_mov_b32 s13, exec_lo
	v_cmpx_ne_u16_e32 0x80, v0
	s_cbranch_execz .LBB346_1350
; %bb.1345:                             ;   in Loop: Header=BB346_806 Depth=1
	v_and_b32_e32 v129, 0xffff, v0
	v_mov_b32_e32 v128, 0x7fc02000
	s_mov_b32 s15, exec_lo
	s_delay_alu instid0(VALU_DEP_2) | instskip(NEXT) | instid1(VALU_DEP_1)
	v_and_b32_e32 v13, 0x7f, v129
	v_cmpx_ne_u32_e32 0x7f, v13
	s_cbranch_execz .LBB346_1349
; %bb.1346:                             ;   in Loop: Header=BB346_806 Depth=1
	v_and_b32_e32 v0, 7, v129
	v_lshrrev_b32_e32 v128, 3, v13
	v_cmp_gt_u32_e64 s0, 8, v13
	s_delay_alu instid0(VALU_DEP_3) | instskip(NEXT) | instid1(VALU_DEP_2)
	v_dual_mov_b32 v14, v1 :: v_dual_mov_b32 v13, v0
	s_and_saveexec_b32 s16, s0
; %bb.1347:                             ;   in Loop: Header=BB346_806 Depth=1
	v_clz_i32_u32_e32 v13, v0
	s_delay_alu instid0(VALU_DEP_1) | instskip(NEXT) | instid1(VALU_DEP_1)
	v_min_u32_e32 v128, 32, v13
	v_subrev_nc_u32_e32 v13, 28, v128
	v_sub_nc_u32_e32 v128, 29, v128
	s_delay_alu instid0(VALU_DEP_2) | instskip(NEXT) | instid1(VALU_DEP_1)
	v_lshlrev_b64 v[13:14], v13, v[0:1]
	v_and_b32_e32 v13, 7, v13
; %bb.1348:                             ;   in Loop: Header=BB346_806 Depth=1
	s_or_b32 exec_lo, exec_lo, s16
	v_lshlrev_b32_e32 v0, 8, v129
	v_lshl_add_u32 v14, v128, 10, 0x2000
	s_delay_alu instid0(VALU_DEP_1) | instskip(NEXT) | instid1(VALU_DEP_1)
	v_and_or_b32 v0, 0x8000, v0, v14
	v_lshl_or_b32 v0, v13, 7, v0
	s_delay_alu instid0(VALU_DEP_1)
	v_cvt_f32_f16_e64 v128, v0
.LBB346_1349:                           ;   in Loop: Header=BB346_806 Depth=1
	s_or_b32 exec_lo, exec_lo, s15
.LBB346_1350:                           ;   in Loop: Header=BB346_806 Depth=1
	s_delay_alu instid0(SALU_CYCLE_1)
	s_or_b32 exec_lo, exec_lo, s13
.LBB346_1351:                           ;   in Loop: Header=BB346_806 Depth=1
	s_delay_alu instid0(SALU_CYCLE_1) | instskip(SKIP_3) | instid1(VALU_DEP_2)
	s_or_b32 exec_lo, exec_lo, s12
	v_lshrrev_b32_e32 v131, 16, v11
	v_mov_b32_e32 v130, 0
	s_mov_b32 s12, exec_lo
	v_dual_mov_b32 v129, 0 :: v_dual_and_b32 v0, 0xff, v131
	s_delay_alu instid0(VALU_DEP_1)
	v_cmpx_ne_u16_e32 0, v0
	s_cbranch_execz .LBB346_1359
; %bb.1352:                             ;   in Loop: Header=BB346_806 Depth=1
	v_bfrev_b32_e32 v129, 1
	s_mov_b32 s13, exec_lo
	v_cmpx_ne_u16_e32 0x80, v0
	s_cbranch_execz .LBB346_1358
; %bb.1353:                             ;   in Loop: Header=BB346_806 Depth=1
	v_bfe_u32 v13, v11, 16, 7
	v_mov_b32_e32 v129, 0x7fc02000
	s_mov_b32 s15, exec_lo
	s_delay_alu instid0(VALU_DEP_2)
	v_cmpx_ne_u32_e32 0x7f, v13
	s_cbranch_execz .LBB346_1357
; %bb.1354:                             ;   in Loop: Header=BB346_806 Depth=1
	v_and_b32_e32 v0, 7, v131
	v_lshrrev_b32_e32 v129, 3, v13
	v_cmp_gt_u32_e64 s0, 8, v13
	s_delay_alu instid0(VALU_DEP_3) | instskip(NEXT) | instid1(VALU_DEP_2)
	v_dual_mov_b32 v14, v1 :: v_dual_mov_b32 v13, v0
	s_and_saveexec_b32 s16, s0
; %bb.1355:                             ;   in Loop: Header=BB346_806 Depth=1
	v_clz_i32_u32_e32 v13, v0
	s_delay_alu instid0(VALU_DEP_1) | instskip(NEXT) | instid1(VALU_DEP_1)
	v_min_u32_e32 v129, 32, v13
	v_subrev_nc_u32_e32 v13, 28, v129
	v_sub_nc_u32_e32 v129, 29, v129
	s_delay_alu instid0(VALU_DEP_2) | instskip(NEXT) | instid1(VALU_DEP_1)
	v_lshlrev_b64 v[13:14], v13, v[0:1]
	v_and_b32_e32 v13, 7, v13
; %bb.1356:                             ;   in Loop: Header=BB346_806 Depth=1
	s_or_b32 exec_lo, exec_lo, s16
	v_lshlrev_b32_e32 v0, 8, v131
	v_lshl_add_u32 v14, v129, 10, 0x2000
	s_delay_alu instid0(VALU_DEP_1) | instskip(NEXT) | instid1(VALU_DEP_1)
	v_and_or_b32 v0, 0x8000, v0, v14
	v_lshl_or_b32 v0, v13, 7, v0
	s_delay_alu instid0(VALU_DEP_1)
	v_cvt_f32_f16_e64 v129, v0
.LBB346_1357:                           ;   in Loop: Header=BB346_806 Depth=1
	s_or_b32 exec_lo, exec_lo, s15
.LBB346_1358:                           ;   in Loop: Header=BB346_806 Depth=1
	s_delay_alu instid0(SALU_CYCLE_1)
	s_or_b32 exec_lo, exec_lo, s13
.LBB346_1359:                           ;   in Loop: Header=BB346_806 Depth=1
	s_delay_alu instid0(SALU_CYCLE_1) | instskip(NEXT) | instid1(SALU_CYCLE_1)
	s_or_b32 exec_lo, exec_lo, s12
	s_mov_b32 s12, exec_lo
	v_cmpx_lt_u32_e32 0xffffff, v11
	s_cbranch_execz .LBB346_1367
; %bb.1360:                             ;   in Loop: Header=BB346_806 Depth=1
	v_lshrrev_b32_e32 v131, 24, v11
	v_bfrev_b32_e32 v130, 1
	s_mov_b32 s13, exec_lo
	s_delay_alu instid0(VALU_DEP_2)
	v_cmpx_ne_u32_e32 0x80, v131
	s_cbranch_execz .LBB346_1366
; %bb.1361:                             ;   in Loop: Header=BB346_806 Depth=1
	v_and_b32_e32 v13, 0x7f, v131
	v_mov_b32_e32 v130, 0x7fc02000
	s_mov_b32 s15, exec_lo
	s_delay_alu instid0(VALU_DEP_2)
	v_cmpx_ne_u32_e32 0x7f, v13
	s_cbranch_execz .LBB346_1365
; %bb.1362:                             ;   in Loop: Header=BB346_806 Depth=1
	v_and_b32_e32 v0, 7, v131
	v_lshrrev_b32_e32 v130, 3, v13
	v_cmp_gt_u32_e64 s0, 8, v13
	s_delay_alu instid0(VALU_DEP_3) | instskip(NEXT) | instid1(VALU_DEP_2)
	v_dual_mov_b32 v14, v1 :: v_dual_mov_b32 v13, v0
	s_and_saveexec_b32 s16, s0
; %bb.1363:                             ;   in Loop: Header=BB346_806 Depth=1
	v_clz_i32_u32_e32 v13, v0
	s_delay_alu instid0(VALU_DEP_1) | instskip(NEXT) | instid1(VALU_DEP_1)
	v_min_u32_e32 v130, 32, v13
	v_subrev_nc_u32_e32 v13, 28, v130
	v_sub_nc_u32_e32 v130, 29, v130
	s_delay_alu instid0(VALU_DEP_2) | instskip(NEXT) | instid1(VALU_DEP_1)
	v_lshlrev_b64 v[13:14], v13, v[0:1]
	v_and_b32_e32 v13, 7, v13
; %bb.1364:                             ;   in Loop: Header=BB346_806 Depth=1
	s_or_b32 exec_lo, exec_lo, s16
	v_lshlrev_b32_e32 v0, 8, v131
	v_lshl_add_u32 v14, v130, 10, 0x2000
	s_delay_alu instid0(VALU_DEP_1) | instskip(NEXT) | instid1(VALU_DEP_1)
	v_and_or_b32 v0, 0x8000, v0, v14
	v_lshl_or_b32 v0, v13, 7, v0
	s_delay_alu instid0(VALU_DEP_1)
	v_cvt_f32_f16_e64 v130, v0
.LBB346_1365:                           ;   in Loop: Header=BB346_806 Depth=1
	s_or_b32 exec_lo, exec_lo, s15
.LBB346_1366:                           ;   in Loop: Header=BB346_806 Depth=1
	s_delay_alu instid0(SALU_CYCLE_1)
	s_or_b32 exec_lo, exec_lo, s13
.LBB346_1367:                           ;   in Loop: Header=BB346_806 Depth=1
	s_delay_alu instid0(SALU_CYCLE_1) | instskip(SKIP_3) | instid1(VALU_DEP_2)
	s_or_b32 exec_lo, exec_lo, s12
	v_dual_mov_b32 v0, v12 :: v_dual_and_b32 v13, 0xff, v12
	v_dual_mov_b32 v132, 0 :: v_dual_mov_b32 v131, 0
	s_mov_b32 s12, exec_lo
	v_cmpx_ne_u16_e32 0, v13
	s_cbranch_execz .LBB346_1375
; %bb.1368:                             ;   in Loop: Header=BB346_806 Depth=1
	v_bfrev_b32_e32 v131, 1
	s_mov_b32 s13, exec_lo
	v_cmpx_ne_u16_e32 0x80, v13
	s_cbranch_execz .LBB346_1374
; %bb.1369:                             ;   in Loop: Header=BB346_806 Depth=1
	v_and_b32_e32 v13, 0x7f, v12
	v_mov_b32_e32 v131, 0x7fc02000
	s_mov_b32 s15, exec_lo
	s_delay_alu instid0(VALU_DEP_2)
	v_cmpx_ne_u32_e32 0x7f, v13
	s_cbranch_execz .LBB346_1373
; %bb.1370:                             ;   in Loop: Header=BB346_806 Depth=1
	v_lshrrev_b32_e32 v131, 3, v13
	v_cmp_gt_u32_e64 s0, 8, v13
	v_dual_mov_b32 v14, v1 :: v_dual_mov_b32 v13, v0
	s_delay_alu instid0(VALU_DEP_2)
	s_and_saveexec_b32 s16, s0
; %bb.1371:                             ;   in Loop: Header=BB346_806 Depth=1
	v_and_b32_e32 v13, 7, v12
	s_delay_alu instid0(VALU_DEP_1) | instskip(NEXT) | instid1(VALU_DEP_1)
	v_clz_i32_u32_e32 v13, v13
	v_min_u32_e32 v131, 32, v13
	s_delay_alu instid0(VALU_DEP_1) | instskip(SKIP_1) | instid1(VALU_DEP_2)
	v_subrev_nc_u32_e32 v13, 28, v131
	v_sub_nc_u32_e32 v131, 29, v131
	v_lshlrev_b64 v[13:14], v13, v[0:1]
; %bb.1372:                             ;   in Loop: Header=BB346_806 Depth=1
	s_or_b32 exec_lo, exec_lo, s16
	v_lshlrev_b32_e32 v14, 8, v12
	s_delay_alu instid0(VALU_DEP_3) | instskip(NEXT) | instid1(VALU_DEP_3)
	v_lshl_add_u32 v131, v131, 10, 0x2000
	v_lshlrev_b32_e32 v13, 7, v13
	s_delay_alu instid0(VALU_DEP_2) | instskip(NEXT) | instid1(VALU_DEP_1)
	v_and_or_b32 v14, 0x8000, v14, v131
	v_and_or_b32 v13, 0x380, v13, v14
	s_delay_alu instid0(VALU_DEP_1)
	v_cvt_f32_f16_e64 v131, v13
.LBB346_1373:                           ;   in Loop: Header=BB346_806 Depth=1
	s_or_b32 exec_lo, exec_lo, s15
.LBB346_1374:                           ;   in Loop: Header=BB346_806 Depth=1
	s_delay_alu instid0(SALU_CYCLE_1)
	s_or_b32 exec_lo, exec_lo, s13
.LBB346_1375:                           ;   in Loop: Header=BB346_806 Depth=1
	s_delay_alu instid0(SALU_CYCLE_1) | instskip(SKIP_2) | instid1(VALU_DEP_1)
	s_or_b32 exec_lo, exec_lo, s12
	v_lshrrev_b16 v0, 8, v0
	s_mov_b32 s12, exec_lo
	v_cmpx_ne_u16_e32 0, v0
	s_cbranch_execz .LBB346_1383
; %bb.1376:                             ;   in Loop: Header=BB346_806 Depth=1
	v_bfrev_b32_e32 v132, 1
	s_mov_b32 s13, exec_lo
	v_cmpx_ne_u16_e32 0x80, v0
	s_cbranch_execz .LBB346_1382
; %bb.1377:                             ;   in Loop: Header=BB346_806 Depth=1
	v_and_b32_e32 v133, 0xffff, v0
	v_mov_b32_e32 v132, 0x7fc02000
	s_mov_b32 s15, exec_lo
	s_delay_alu instid0(VALU_DEP_2) | instskip(NEXT) | instid1(VALU_DEP_1)
	v_and_b32_e32 v13, 0x7f, v133
	v_cmpx_ne_u32_e32 0x7f, v13
	s_cbranch_execz .LBB346_1381
; %bb.1378:                             ;   in Loop: Header=BB346_806 Depth=1
	v_and_b32_e32 v0, 7, v133
	v_lshrrev_b32_e32 v132, 3, v13
	v_cmp_gt_u32_e64 s0, 8, v13
	s_delay_alu instid0(VALU_DEP_3) | instskip(NEXT) | instid1(VALU_DEP_2)
	v_dual_mov_b32 v14, v1 :: v_dual_mov_b32 v13, v0
	s_and_saveexec_b32 s16, s0
; %bb.1379:                             ;   in Loop: Header=BB346_806 Depth=1
	v_clz_i32_u32_e32 v13, v0
	s_delay_alu instid0(VALU_DEP_1) | instskip(NEXT) | instid1(VALU_DEP_1)
	v_min_u32_e32 v132, 32, v13
	v_subrev_nc_u32_e32 v13, 28, v132
	v_sub_nc_u32_e32 v132, 29, v132
	s_delay_alu instid0(VALU_DEP_2) | instskip(NEXT) | instid1(VALU_DEP_1)
	v_lshlrev_b64 v[13:14], v13, v[0:1]
	v_and_b32_e32 v13, 7, v13
; %bb.1380:                             ;   in Loop: Header=BB346_806 Depth=1
	s_or_b32 exec_lo, exec_lo, s16
	v_lshlrev_b32_e32 v0, 8, v133
	v_lshl_add_u32 v14, v132, 10, 0x2000
	s_delay_alu instid0(VALU_DEP_1) | instskip(NEXT) | instid1(VALU_DEP_1)
	v_and_or_b32 v0, 0x8000, v0, v14
	v_lshl_or_b32 v0, v13, 7, v0
	s_delay_alu instid0(VALU_DEP_1)
	v_cvt_f32_f16_e64 v132, v0
.LBB346_1381:                           ;   in Loop: Header=BB346_806 Depth=1
	s_or_b32 exec_lo, exec_lo, s15
.LBB346_1382:                           ;   in Loop: Header=BB346_806 Depth=1
	s_delay_alu instid0(SALU_CYCLE_1)
	s_or_b32 exec_lo, exec_lo, s13
.LBB346_1383:                           ;   in Loop: Header=BB346_806 Depth=1
	s_delay_alu instid0(SALU_CYCLE_1) | instskip(SKIP_3) | instid1(VALU_DEP_2)
	s_or_b32 exec_lo, exec_lo, s12
	v_lshrrev_b32_e32 v134, 16, v12
	v_mov_b32_e32 v13, 0
	s_mov_b32 s12, exec_lo
	v_dual_mov_b32 v133, 0 :: v_dual_and_b32 v0, 0xff, v134
	s_delay_alu instid0(VALU_DEP_1)
	v_cmpx_ne_u16_e32 0, v0
	s_cbranch_execz .LBB346_1391
; %bb.1384:                             ;   in Loop: Header=BB346_806 Depth=1
	v_bfrev_b32_e32 v13, 1
	s_mov_b32 s13, exec_lo
	v_cmpx_ne_u16_e32 0x80, v0
	s_cbranch_execz .LBB346_1390
; %bb.1385:                             ;   in Loop: Header=BB346_806 Depth=1
	v_bfe_u32 v14, v12, 16, 7
	v_mov_b32_e32 v13, 0x7fc02000
	s_mov_b32 s15, exec_lo
	s_delay_alu instid0(VALU_DEP_2)
	v_cmpx_ne_u32_e32 0x7f, v14
	s_cbranch_execz .LBB346_1389
; %bb.1386:                             ;   in Loop: Header=BB346_806 Depth=1
	v_and_b32_e32 v0, 7, v134
	v_lshrrev_b32_e32 v135, 3, v14
	v_cmp_gt_u32_e64 s0, 8, v14
	s_delay_alu instid0(VALU_DEP_3) | instskip(NEXT) | instid1(VALU_DEP_2)
	v_dual_mov_b32 v14, v1 :: v_dual_mov_b32 v13, v0
	s_and_saveexec_b32 s16, s0
; %bb.1387:                             ;   in Loop: Header=BB346_806 Depth=1
	v_clz_i32_u32_e32 v13, v0
	s_delay_alu instid0(VALU_DEP_1) | instskip(NEXT) | instid1(VALU_DEP_1)
	v_min_u32_e32 v135, 32, v13
	v_subrev_nc_u32_e32 v13, 28, v135
	v_sub_nc_u32_e32 v135, 29, v135
	s_delay_alu instid0(VALU_DEP_2) | instskip(NEXT) | instid1(VALU_DEP_1)
	v_lshlrev_b64 v[13:14], v13, v[0:1]
	v_and_b32_e32 v13, 7, v13
; %bb.1388:                             ;   in Loop: Header=BB346_806 Depth=1
	s_or_b32 exec_lo, exec_lo, s16
	v_lshlrev_b32_e32 v0, 8, v134
	v_lshl_add_u32 v14, v135, 10, 0x2000
	s_delay_alu instid0(VALU_DEP_1) | instskip(NEXT) | instid1(VALU_DEP_1)
	v_and_or_b32 v0, 0x8000, v0, v14
	v_lshl_or_b32 v0, v13, 7, v0
	s_delay_alu instid0(VALU_DEP_1)
	v_cvt_f32_f16_e32 v13, v0
.LBB346_1389:                           ;   in Loop: Header=BB346_806 Depth=1
	s_or_b32 exec_lo, exec_lo, s15
.LBB346_1390:                           ;   in Loop: Header=BB346_806 Depth=1
	s_delay_alu instid0(SALU_CYCLE_1)
	s_or_b32 exec_lo, exec_lo, s13
.LBB346_1391:                           ;   in Loop: Header=BB346_806 Depth=1
	s_delay_alu instid0(SALU_CYCLE_1) | instskip(NEXT) | instid1(SALU_CYCLE_1)
	s_or_b32 exec_lo, exec_lo, s12
	s_mov_b32 s12, exec_lo
	v_cmpx_lt_u64_e64 s[8:9], v[11:12]
	s_cbranch_execz .LBB346_1399
; %bb.1392:                             ;   in Loop: Header=BB346_806 Depth=1
	v_lshrrev_b32_e32 v14, 24, v12
	v_bfrev_b32_e32 v133, 1
	s_mov_b32 s13, exec_lo
	s_delay_alu instid0(VALU_DEP_2)
	v_cmpx_ne_u32_e32 0x80, v14
	s_cbranch_execz .LBB346_1398
; %bb.1393:                             ;   in Loop: Header=BB346_806 Depth=1
	v_and_b32_e32 v11, 0x7f, v14
	v_mov_b32_e32 v133, 0x7fc02000
	s_mov_b32 s15, exec_lo
	s_delay_alu instid0(VALU_DEP_2)
	v_cmpx_ne_u32_e32 0x7f, v11
	s_cbranch_execz .LBB346_1397
; %bb.1394:                             ;   in Loop: Header=BB346_806 Depth=1
	v_and_b32_e32 v0, 7, v14
	v_lshrrev_b32_e32 v133, 3, v11
	v_cmp_gt_u32_e64 s0, 8, v11
	s_delay_alu instid0(VALU_DEP_3) | instskip(NEXT) | instid1(VALU_DEP_2)
	v_dual_mov_b32 v12, v1 :: v_dual_mov_b32 v11, v0
	s_and_saveexec_b32 s16, s0
; %bb.1395:                             ;   in Loop: Header=BB346_806 Depth=1
	v_clz_i32_u32_e32 v11, v0
	s_delay_alu instid0(VALU_DEP_1) | instskip(NEXT) | instid1(VALU_DEP_1)
	v_min_u32_e32 v133, 32, v11
	v_subrev_nc_u32_e32 v11, 28, v133
	v_sub_nc_u32_e32 v133, 29, v133
	s_delay_alu instid0(VALU_DEP_2) | instskip(NEXT) | instid1(VALU_DEP_1)
	v_lshlrev_b64 v[11:12], v11, v[0:1]
	v_and_b32_e32 v11, 7, v11
; %bb.1396:                             ;   in Loop: Header=BB346_806 Depth=1
	s_or_b32 exec_lo, exec_lo, s16
	v_lshlrev_b32_e32 v0, 8, v14
	v_lshl_add_u32 v12, v133, 10, 0x2000
	s_delay_alu instid0(VALU_DEP_1) | instskip(NEXT) | instid1(VALU_DEP_1)
	v_and_or_b32 v0, 0x8000, v0, v12
	v_lshl_or_b32 v0, v11, 7, v0
	s_delay_alu instid0(VALU_DEP_1)
	v_cvt_f32_f16_e64 v133, v0
.LBB346_1397:                           ;   in Loop: Header=BB346_806 Depth=1
	s_or_b32 exec_lo, exec_lo, s15
.LBB346_1398:                           ;   in Loop: Header=BB346_806 Depth=1
	s_delay_alu instid0(SALU_CYCLE_1)
	s_or_b32 exec_lo, exec_lo, s13
.LBB346_1399:                           ;   in Loop: Header=BB346_806 Depth=1
	s_delay_alu instid0(SALU_CYCLE_1)
	s_or_b32 exec_lo, exec_lo, s12
	s_waitcnt vmcnt(0) lgkmcnt(0)
	v_fma_mixlo_f16 v12, v118, v128, 0
	v_fma_mixlo_f16 v0, v118, v130, 0
	;; [unrolled: 1-line block ×5, first 2 shown]
	v_lshlrev_b32_e32 v14, 16, v12
	v_fma_mixlo_f16 v129, v118, v131, 0
	v_fma_mixlo_f16 v130, v118, v133, 0
	;; [unrolled: 1-line block ×3, first 2 shown]
	v_lshlrev_b32_e32 v0, 16, v0
	v_and_b32_e32 v11, 0xffff, v11
	v_and_b32_e32 v118, 0xffff, v119
	v_lshlrev_b32_e32 v119, 16, v128
	v_and_b32_e32 v128, 0xffff, v129
	v_lshlrev_b32_e32 v129, 16, v130
	v_and_b32_e32 v130, 0xffff, v12
	v_or_b32_e32 v13, v0, v11
	v_or_b32_e32 v14, v14, v118
	;; [unrolled: 1-line block ×3, first 2 shown]
	s_delay_alu instid0(VALU_DEP_4)
	v_or_b32_e32 v11, v129, v130
	s_and_saveexec_b32 s12, vcc_lo
	s_cbranch_execz .LBB346_1401
; %bb.1400:                             ;   in Loop: Header=BB346_806 Depth=1
	v_cmp_lt_i32_e64 s0, v19, v38
	v_lshrrev_b32_e32 v118, 16, v14
	v_lshrrev_b32_e32 v119, 16, v13
	;; [unrolled: 1-line block ×4, first 2 shown]
	v_cndmask_b32_e64 v14, 0, v14, s0
	v_cmp_lt_i32_e64 s0, v84, v55
	s_delay_alu instid0(VALU_DEP_1) | instskip(SKIP_1) | instid1(VALU_DEP_2)
	v_cndmask_b32_e64 v118, 0, v118, s0
	v_cmp_lt_i32_e64 s0, v83, v55
	v_perm_b32 v14, v118, v14, 0x5040100
	s_delay_alu instid0(VALU_DEP_2) | instskip(SKIP_1) | instid1(VALU_DEP_1)
	v_cndmask_b32_e64 v119, 0, v119, s0
	v_cmp_lt_i32_e64 s0, v71, v38
	v_cndmask_b32_e64 v13, 0, v13, s0
	v_cmp_lt_i32_e64 s0, v70, v55
	s_delay_alu instid0(VALU_DEP_2) | instskip(NEXT) | instid1(VALU_DEP_2)
	v_perm_b32 v13, v119, v13, 0x5040100
	v_cndmask_b32_e64 v128, 0, v128, s0
	v_cmp_lt_i32_e64 s0, v69, v38
	s_delay_alu instid0(VALU_DEP_1) | instskip(SKIP_1) | instid1(VALU_DEP_2)
	v_cndmask_b32_e64 v0, 0, v0, s0
	v_cmp_lt_i32_e64 s0, v68, v55
	v_perm_b32 v0, v128, v0, 0x5040100
	s_delay_alu instid0(VALU_DEP_2) | instskip(SKIP_1) | instid1(VALU_DEP_1)
	v_cndmask_b32_e64 v11, 0, v11, s0
	v_cmp_lt_i32_e64 s0, v64, v38
	v_cndmask_b32_e64 v12, 0, v12, s0
	s_delay_alu instid0(VALU_DEP_1)
	v_perm_b32 v11, v11, v12, 0x5040100
.LBB346_1401:                           ;   in Loop: Header=BB346_806 Depth=1
	s_or_b32 exec_lo, exec_lo, s12
	;;#ASMSTART
	v_pk_mul_f16 v12, v87, v14;

	;;#ASMEND
	;;#ASMSTART
	v_pk_mul_f16 v13, v86, v13;

	;;#ASMEND
	;;#ASMSTART
	v_pk_mul_f16 v0, v85, v0;

	;;#ASMEND
	;;#ASMSTART
	v_pk_mul_f16 v11, v82, v11;

	;;#ASMEND
	;;#ASMSTART
	v_pk_add_f16 v12, v12, v13;

	;;#ASMEND
	;;#ASMSTART
	v_pk_add_f16 v0, v12, v0;

	;;#ASMEND
	;;#ASMSTART
	v_pk_add_f16 v0, v0, v11;

	;;#ASMEND
	v_dual_mov_b32 v130, 0 :: v_dual_and_b32 v11, 0xffff, v0
	v_lshrrev_b32_e32 v0, 16, v0
	;;#ASMSTART
	v_cvt_f32_f16 v118, v11;
	;;#ASMEND
	;;#ASMSTART
	v_cvt_f32_f16 v119, v0;
	;;#ASMEND
	flat_load_b64 v[11:12], v[9:10] offset:2304
	flat_load_b32 v128, v[26:27]
	s_mov_b32 s12, exec_lo
	s_waitcnt vmcnt(1) lgkmcnt(1)
	v_dual_mov_b32 v129, 0 :: v_dual_and_b32 v0, 0xff, v11
	s_delay_alu instid0(VALU_DEP_1)
	v_cmpx_ne_u16_e32 0, v0
	s_cbranch_execz .LBB346_1409
; %bb.1402:                             ;   in Loop: Header=BB346_806 Depth=1
	v_bfrev_b32_e32 v129, 1
	s_mov_b32 s13, exec_lo
	v_cmpx_ne_u16_e32 0x80, v0
	s_cbranch_execz .LBB346_1408
; %bb.1403:                             ;   in Loop: Header=BB346_806 Depth=1
	v_and_b32_e32 v13, 0x7f, v11
	v_mov_b32_e32 v129, 0x7fc02000
	s_mov_b32 s15, exec_lo
	s_delay_alu instid0(VALU_DEP_2)
	v_cmpx_ne_u32_e32 0x7f, v13
	s_cbranch_execz .LBB346_1407
; %bb.1404:                             ;   in Loop: Header=BB346_806 Depth=1
	v_lshrrev_b32_e32 v0, 3, v13
	v_cmp_gt_u32_e64 s0, 8, v13
	v_dual_mov_b32 v14, v12 :: v_dual_mov_b32 v13, v11
	s_delay_alu instid0(VALU_DEP_2)
	s_and_saveexec_b32 s16, s0
; %bb.1405:                             ;   in Loop: Header=BB346_806 Depth=1
	v_and_b32_e32 v0, 7, v11
	s_delay_alu instid0(VALU_DEP_1) | instskip(NEXT) | instid1(VALU_DEP_1)
	v_clz_i32_u32_e32 v0, v0
	v_min_u32_e32 v0, 32, v0
	s_delay_alu instid0(VALU_DEP_1) | instskip(SKIP_1) | instid1(VALU_DEP_2)
	v_subrev_nc_u32_e32 v13, 28, v0
	v_sub_nc_u32_e32 v0, 29, v0
	v_lshlrev_b64 v[13:14], v13, v[11:12]
; %bb.1406:                             ;   in Loop: Header=BB346_806 Depth=1
	s_or_b32 exec_lo, exec_lo, s16
	v_lshlrev_b32_e32 v14, 8, v11
	s_delay_alu instid0(VALU_DEP_3) | instskip(NEXT) | instid1(VALU_DEP_3)
	v_lshl_add_u32 v0, v0, 10, 0x2000
	v_lshlrev_b32_e32 v13, 7, v13
	s_delay_alu instid0(VALU_DEP_2) | instskip(NEXT) | instid1(VALU_DEP_1)
	v_and_or_b32 v0, 0x8000, v14, v0
	v_and_or_b32 v0, 0x380, v13, v0
	s_delay_alu instid0(VALU_DEP_1)
	v_cvt_f32_f16_e64 v129, v0
.LBB346_1407:                           ;   in Loop: Header=BB346_806 Depth=1
	s_or_b32 exec_lo, exec_lo, s15
.LBB346_1408:                           ;   in Loop: Header=BB346_806 Depth=1
	s_delay_alu instid0(SALU_CYCLE_1)
	s_or_b32 exec_lo, exec_lo, s13
.LBB346_1409:                           ;   in Loop: Header=BB346_806 Depth=1
	s_delay_alu instid0(SALU_CYCLE_1) | instskip(SKIP_2) | instid1(VALU_DEP_1)
	s_or_b32 exec_lo, exec_lo, s12
	v_lshrrev_b16 v0, 8, v11
	s_mov_b32 s12, exec_lo
	v_cmpx_ne_u16_e32 0, v0
	s_cbranch_execz .LBB346_1417
; %bb.1410:                             ;   in Loop: Header=BB346_806 Depth=1
	v_bfrev_b32_e32 v130, 1
	s_mov_b32 s13, exec_lo
	v_cmpx_ne_u16_e32 0x80, v0
	s_cbranch_execz .LBB346_1416
; %bb.1411:                             ;   in Loop: Header=BB346_806 Depth=1
	v_and_b32_e32 v131, 0xffff, v0
	v_mov_b32_e32 v130, 0x7fc02000
	s_mov_b32 s15, exec_lo
	s_delay_alu instid0(VALU_DEP_2) | instskip(NEXT) | instid1(VALU_DEP_1)
	v_and_b32_e32 v13, 0x7f, v131
	v_cmpx_ne_u32_e32 0x7f, v13
	s_cbranch_execz .LBB346_1415
; %bb.1412:                             ;   in Loop: Header=BB346_806 Depth=1
	v_and_b32_e32 v0, 7, v131
	v_lshrrev_b32_e32 v130, 3, v13
	v_cmp_gt_u32_e64 s0, 8, v13
	s_delay_alu instid0(VALU_DEP_3) | instskip(NEXT) | instid1(VALU_DEP_2)
	v_dual_mov_b32 v14, v1 :: v_dual_mov_b32 v13, v0
	s_and_saveexec_b32 s16, s0
; %bb.1413:                             ;   in Loop: Header=BB346_806 Depth=1
	v_clz_i32_u32_e32 v13, v0
	s_delay_alu instid0(VALU_DEP_1) | instskip(NEXT) | instid1(VALU_DEP_1)
	v_min_u32_e32 v130, 32, v13
	v_subrev_nc_u32_e32 v13, 28, v130
	v_sub_nc_u32_e32 v130, 29, v130
	s_delay_alu instid0(VALU_DEP_2) | instskip(NEXT) | instid1(VALU_DEP_1)
	v_lshlrev_b64 v[13:14], v13, v[0:1]
	v_and_b32_e32 v13, 7, v13
; %bb.1414:                             ;   in Loop: Header=BB346_806 Depth=1
	s_or_b32 exec_lo, exec_lo, s16
	v_lshlrev_b32_e32 v0, 8, v131
	v_lshl_add_u32 v14, v130, 10, 0x2000
	s_delay_alu instid0(VALU_DEP_1) | instskip(NEXT) | instid1(VALU_DEP_1)
	v_and_or_b32 v0, 0x8000, v0, v14
	v_lshl_or_b32 v0, v13, 7, v0
	s_delay_alu instid0(VALU_DEP_1)
	v_cvt_f32_f16_e64 v130, v0
.LBB346_1415:                           ;   in Loop: Header=BB346_806 Depth=1
	s_or_b32 exec_lo, exec_lo, s15
.LBB346_1416:                           ;   in Loop: Header=BB346_806 Depth=1
	s_delay_alu instid0(SALU_CYCLE_1)
	s_or_b32 exec_lo, exec_lo, s13
.LBB346_1417:                           ;   in Loop: Header=BB346_806 Depth=1
	s_delay_alu instid0(SALU_CYCLE_1) | instskip(SKIP_3) | instid1(VALU_DEP_2)
	s_or_b32 exec_lo, exec_lo, s12
	v_lshrrev_b32_e32 v133, 16, v11
	v_mov_b32_e32 v132, 0
	s_mov_b32 s12, exec_lo
	v_dual_mov_b32 v131, 0 :: v_dual_and_b32 v0, 0xff, v133
	s_delay_alu instid0(VALU_DEP_1)
	v_cmpx_ne_u16_e32 0, v0
	s_cbranch_execz .LBB346_1425
; %bb.1418:                             ;   in Loop: Header=BB346_806 Depth=1
	v_bfrev_b32_e32 v131, 1
	s_mov_b32 s13, exec_lo
	v_cmpx_ne_u16_e32 0x80, v0
	s_cbranch_execz .LBB346_1424
; %bb.1419:                             ;   in Loop: Header=BB346_806 Depth=1
	v_bfe_u32 v13, v11, 16, 7
	v_mov_b32_e32 v131, 0x7fc02000
	s_mov_b32 s15, exec_lo
	s_delay_alu instid0(VALU_DEP_2)
	v_cmpx_ne_u32_e32 0x7f, v13
	s_cbranch_execz .LBB346_1423
; %bb.1420:                             ;   in Loop: Header=BB346_806 Depth=1
	v_and_b32_e32 v0, 7, v133
	v_lshrrev_b32_e32 v131, 3, v13
	v_cmp_gt_u32_e64 s0, 8, v13
	s_delay_alu instid0(VALU_DEP_3) | instskip(NEXT) | instid1(VALU_DEP_2)
	v_dual_mov_b32 v14, v1 :: v_dual_mov_b32 v13, v0
	s_and_saveexec_b32 s16, s0
; %bb.1421:                             ;   in Loop: Header=BB346_806 Depth=1
	v_clz_i32_u32_e32 v13, v0
	s_delay_alu instid0(VALU_DEP_1) | instskip(NEXT) | instid1(VALU_DEP_1)
	v_min_u32_e32 v131, 32, v13
	v_subrev_nc_u32_e32 v13, 28, v131
	v_sub_nc_u32_e32 v131, 29, v131
	s_delay_alu instid0(VALU_DEP_2) | instskip(NEXT) | instid1(VALU_DEP_1)
	v_lshlrev_b64 v[13:14], v13, v[0:1]
	v_and_b32_e32 v13, 7, v13
; %bb.1422:                             ;   in Loop: Header=BB346_806 Depth=1
	s_or_b32 exec_lo, exec_lo, s16
	v_lshlrev_b32_e32 v0, 8, v133
	v_lshl_add_u32 v14, v131, 10, 0x2000
	s_delay_alu instid0(VALU_DEP_1) | instskip(NEXT) | instid1(VALU_DEP_1)
	v_and_or_b32 v0, 0x8000, v0, v14
	v_lshl_or_b32 v0, v13, 7, v0
	s_delay_alu instid0(VALU_DEP_1)
	v_cvt_f32_f16_e64 v131, v0
.LBB346_1423:                           ;   in Loop: Header=BB346_806 Depth=1
	s_or_b32 exec_lo, exec_lo, s15
.LBB346_1424:                           ;   in Loop: Header=BB346_806 Depth=1
	s_delay_alu instid0(SALU_CYCLE_1)
	s_or_b32 exec_lo, exec_lo, s13
.LBB346_1425:                           ;   in Loop: Header=BB346_806 Depth=1
	s_delay_alu instid0(SALU_CYCLE_1) | instskip(NEXT) | instid1(SALU_CYCLE_1)
	s_or_b32 exec_lo, exec_lo, s12
	s_mov_b32 s12, exec_lo
	v_cmpx_lt_u32_e32 0xffffff, v11
	s_cbranch_execz .LBB346_1433
; %bb.1426:                             ;   in Loop: Header=BB346_806 Depth=1
	v_lshrrev_b32_e32 v133, 24, v11
	v_bfrev_b32_e32 v132, 1
	s_mov_b32 s13, exec_lo
	s_delay_alu instid0(VALU_DEP_2)
	v_cmpx_ne_u32_e32 0x80, v133
	s_cbranch_execz .LBB346_1432
; %bb.1427:                             ;   in Loop: Header=BB346_806 Depth=1
	v_and_b32_e32 v13, 0x7f, v133
	v_mov_b32_e32 v132, 0x7fc02000
	s_mov_b32 s15, exec_lo
	s_delay_alu instid0(VALU_DEP_2)
	v_cmpx_ne_u32_e32 0x7f, v13
	s_cbranch_execz .LBB346_1431
; %bb.1428:                             ;   in Loop: Header=BB346_806 Depth=1
	v_and_b32_e32 v0, 7, v133
	v_lshrrev_b32_e32 v132, 3, v13
	v_cmp_gt_u32_e64 s0, 8, v13
	s_delay_alu instid0(VALU_DEP_3) | instskip(NEXT) | instid1(VALU_DEP_2)
	v_dual_mov_b32 v14, v1 :: v_dual_mov_b32 v13, v0
	s_and_saveexec_b32 s16, s0
; %bb.1429:                             ;   in Loop: Header=BB346_806 Depth=1
	v_clz_i32_u32_e32 v13, v0
	s_delay_alu instid0(VALU_DEP_1) | instskip(NEXT) | instid1(VALU_DEP_1)
	v_min_u32_e32 v132, 32, v13
	v_subrev_nc_u32_e32 v13, 28, v132
	v_sub_nc_u32_e32 v132, 29, v132
	s_delay_alu instid0(VALU_DEP_2) | instskip(NEXT) | instid1(VALU_DEP_1)
	v_lshlrev_b64 v[13:14], v13, v[0:1]
	v_and_b32_e32 v13, 7, v13
; %bb.1430:                             ;   in Loop: Header=BB346_806 Depth=1
	s_or_b32 exec_lo, exec_lo, s16
	v_lshlrev_b32_e32 v0, 8, v133
	v_lshl_add_u32 v14, v132, 10, 0x2000
	s_delay_alu instid0(VALU_DEP_1) | instskip(NEXT) | instid1(VALU_DEP_1)
	v_and_or_b32 v0, 0x8000, v0, v14
	v_lshl_or_b32 v0, v13, 7, v0
	s_delay_alu instid0(VALU_DEP_1)
	v_cvt_f32_f16_e64 v132, v0
.LBB346_1431:                           ;   in Loop: Header=BB346_806 Depth=1
	s_or_b32 exec_lo, exec_lo, s15
.LBB346_1432:                           ;   in Loop: Header=BB346_806 Depth=1
	s_delay_alu instid0(SALU_CYCLE_1)
	s_or_b32 exec_lo, exec_lo, s13
.LBB346_1433:                           ;   in Loop: Header=BB346_806 Depth=1
	s_delay_alu instid0(SALU_CYCLE_1) | instskip(SKIP_3) | instid1(VALU_DEP_2)
	s_or_b32 exec_lo, exec_lo, s12
	v_dual_mov_b32 v0, v12 :: v_dual_and_b32 v13, 0xff, v12
	v_dual_mov_b32 v134, 0 :: v_dual_mov_b32 v133, 0
	s_mov_b32 s12, exec_lo
	v_cmpx_ne_u16_e32 0, v13
	s_cbranch_execz .LBB346_1441
; %bb.1434:                             ;   in Loop: Header=BB346_806 Depth=1
	v_bfrev_b32_e32 v133, 1
	s_mov_b32 s13, exec_lo
	v_cmpx_ne_u16_e32 0x80, v13
	s_cbranch_execz .LBB346_1440
; %bb.1435:                             ;   in Loop: Header=BB346_806 Depth=1
	v_and_b32_e32 v13, 0x7f, v12
	v_mov_b32_e32 v133, 0x7fc02000
	s_mov_b32 s15, exec_lo
	s_delay_alu instid0(VALU_DEP_2)
	v_cmpx_ne_u32_e32 0x7f, v13
	s_cbranch_execz .LBB346_1439
; %bb.1436:                             ;   in Loop: Header=BB346_806 Depth=1
	v_lshrrev_b32_e32 v133, 3, v13
	v_cmp_gt_u32_e64 s0, 8, v13
	v_dual_mov_b32 v14, v1 :: v_dual_mov_b32 v13, v0
	s_delay_alu instid0(VALU_DEP_2)
	s_and_saveexec_b32 s16, s0
; %bb.1437:                             ;   in Loop: Header=BB346_806 Depth=1
	v_and_b32_e32 v13, 7, v12
	s_delay_alu instid0(VALU_DEP_1) | instskip(NEXT) | instid1(VALU_DEP_1)
	v_clz_i32_u32_e32 v13, v13
	v_min_u32_e32 v133, 32, v13
	s_delay_alu instid0(VALU_DEP_1) | instskip(SKIP_1) | instid1(VALU_DEP_2)
	v_subrev_nc_u32_e32 v13, 28, v133
	v_sub_nc_u32_e32 v133, 29, v133
	v_lshlrev_b64 v[13:14], v13, v[0:1]
; %bb.1438:                             ;   in Loop: Header=BB346_806 Depth=1
	s_or_b32 exec_lo, exec_lo, s16
	v_lshlrev_b32_e32 v14, 8, v12
	s_delay_alu instid0(VALU_DEP_3) | instskip(NEXT) | instid1(VALU_DEP_3)
	v_lshl_add_u32 v133, v133, 10, 0x2000
	v_lshlrev_b32_e32 v13, 7, v13
	s_delay_alu instid0(VALU_DEP_2) | instskip(NEXT) | instid1(VALU_DEP_1)
	v_and_or_b32 v14, 0x8000, v14, v133
	v_and_or_b32 v13, 0x380, v13, v14
	s_delay_alu instid0(VALU_DEP_1)
	v_cvt_f32_f16_e64 v133, v13
.LBB346_1439:                           ;   in Loop: Header=BB346_806 Depth=1
	s_or_b32 exec_lo, exec_lo, s15
.LBB346_1440:                           ;   in Loop: Header=BB346_806 Depth=1
	s_delay_alu instid0(SALU_CYCLE_1)
	s_or_b32 exec_lo, exec_lo, s13
.LBB346_1441:                           ;   in Loop: Header=BB346_806 Depth=1
	s_delay_alu instid0(SALU_CYCLE_1) | instskip(SKIP_2) | instid1(VALU_DEP_1)
	s_or_b32 exec_lo, exec_lo, s12
	v_lshrrev_b16 v0, 8, v0
	s_mov_b32 s12, exec_lo
	v_cmpx_ne_u16_e32 0, v0
	s_cbranch_execz .LBB346_1449
; %bb.1442:                             ;   in Loop: Header=BB346_806 Depth=1
	v_bfrev_b32_e32 v134, 1
	s_mov_b32 s13, exec_lo
	v_cmpx_ne_u16_e32 0x80, v0
	s_cbranch_execz .LBB346_1448
; %bb.1443:                             ;   in Loop: Header=BB346_806 Depth=1
	v_and_b32_e32 v135, 0xffff, v0
	v_mov_b32_e32 v134, 0x7fc02000
	s_mov_b32 s15, exec_lo
	s_delay_alu instid0(VALU_DEP_2) | instskip(NEXT) | instid1(VALU_DEP_1)
	v_and_b32_e32 v13, 0x7f, v135
	v_cmpx_ne_u32_e32 0x7f, v13
	s_cbranch_execz .LBB346_1447
; %bb.1444:                             ;   in Loop: Header=BB346_806 Depth=1
	v_and_b32_e32 v0, 7, v135
	v_lshrrev_b32_e32 v134, 3, v13
	v_cmp_gt_u32_e64 s0, 8, v13
	s_delay_alu instid0(VALU_DEP_3) | instskip(NEXT) | instid1(VALU_DEP_2)
	v_dual_mov_b32 v14, v1 :: v_dual_mov_b32 v13, v0
	s_and_saveexec_b32 s16, s0
; %bb.1445:                             ;   in Loop: Header=BB346_806 Depth=1
	v_clz_i32_u32_e32 v13, v0
	s_delay_alu instid0(VALU_DEP_1) | instskip(NEXT) | instid1(VALU_DEP_1)
	v_min_u32_e32 v134, 32, v13
	v_subrev_nc_u32_e32 v13, 28, v134
	v_sub_nc_u32_e32 v134, 29, v134
	s_delay_alu instid0(VALU_DEP_2) | instskip(NEXT) | instid1(VALU_DEP_1)
	v_lshlrev_b64 v[13:14], v13, v[0:1]
	v_and_b32_e32 v13, 7, v13
; %bb.1446:                             ;   in Loop: Header=BB346_806 Depth=1
	s_or_b32 exec_lo, exec_lo, s16
	v_lshlrev_b32_e32 v0, 8, v135
	v_lshl_add_u32 v14, v134, 10, 0x2000
	s_delay_alu instid0(VALU_DEP_1) | instskip(NEXT) | instid1(VALU_DEP_1)
	v_and_or_b32 v0, 0x8000, v0, v14
	v_lshl_or_b32 v0, v13, 7, v0
	s_delay_alu instid0(VALU_DEP_1)
	v_cvt_f32_f16_e64 v134, v0
.LBB346_1447:                           ;   in Loop: Header=BB346_806 Depth=1
	s_or_b32 exec_lo, exec_lo, s15
.LBB346_1448:                           ;   in Loop: Header=BB346_806 Depth=1
	s_delay_alu instid0(SALU_CYCLE_1)
	s_or_b32 exec_lo, exec_lo, s13
.LBB346_1449:                           ;   in Loop: Header=BB346_806 Depth=1
	s_delay_alu instid0(SALU_CYCLE_1) | instskip(SKIP_3) | instid1(VALU_DEP_2)
	s_or_b32 exec_lo, exec_lo, s12
	v_lshrrev_b32_e32 v144, 16, v12
	v_mov_b32_e32 v13, 0
	s_mov_b32 s12, exec_lo
	v_dual_mov_b32 v135, 0 :: v_dual_and_b32 v0, 0xff, v144
	s_delay_alu instid0(VALU_DEP_1)
	v_cmpx_ne_u16_e32 0, v0
	s_cbranch_execz .LBB346_1457
; %bb.1450:                             ;   in Loop: Header=BB346_806 Depth=1
	v_bfrev_b32_e32 v13, 1
	s_mov_b32 s13, exec_lo
	v_cmpx_ne_u16_e32 0x80, v0
	s_cbranch_execz .LBB346_1456
; %bb.1451:                             ;   in Loop: Header=BB346_806 Depth=1
	v_bfe_u32 v14, v12, 16, 7
	v_mov_b32_e32 v13, 0x7fc02000
	s_mov_b32 s15, exec_lo
	s_delay_alu instid0(VALU_DEP_2)
	v_cmpx_ne_u32_e32 0x7f, v14
	s_cbranch_execz .LBB346_1455
; %bb.1452:                             ;   in Loop: Header=BB346_806 Depth=1
	v_and_b32_e32 v0, 7, v144
	v_lshrrev_b32_e32 v145, 3, v14
	v_cmp_gt_u32_e64 s0, 8, v14
	s_delay_alu instid0(VALU_DEP_3) | instskip(NEXT) | instid1(VALU_DEP_2)
	v_dual_mov_b32 v14, v1 :: v_dual_mov_b32 v13, v0
	s_and_saveexec_b32 s16, s0
; %bb.1453:                             ;   in Loop: Header=BB346_806 Depth=1
	v_clz_i32_u32_e32 v13, v0
	s_delay_alu instid0(VALU_DEP_1) | instskip(NEXT) | instid1(VALU_DEP_1)
	v_min_u32_e32 v145, 32, v13
	v_subrev_nc_u32_e32 v13, 28, v145
	v_sub_nc_u32_e32 v145, 29, v145
	s_delay_alu instid0(VALU_DEP_2) | instskip(NEXT) | instid1(VALU_DEP_1)
	v_lshlrev_b64 v[13:14], v13, v[0:1]
	v_and_b32_e32 v13, 7, v13
; %bb.1454:                             ;   in Loop: Header=BB346_806 Depth=1
	s_or_b32 exec_lo, exec_lo, s16
	v_lshlrev_b32_e32 v0, 8, v144
	v_lshl_add_u32 v14, v145, 10, 0x2000
	s_delay_alu instid0(VALU_DEP_1) | instskip(NEXT) | instid1(VALU_DEP_1)
	v_and_or_b32 v0, 0x8000, v0, v14
	v_lshl_or_b32 v0, v13, 7, v0
	s_delay_alu instid0(VALU_DEP_1)
	v_cvt_f32_f16_e32 v13, v0
.LBB346_1455:                           ;   in Loop: Header=BB346_806 Depth=1
	s_or_b32 exec_lo, exec_lo, s15
.LBB346_1456:                           ;   in Loop: Header=BB346_806 Depth=1
	s_delay_alu instid0(SALU_CYCLE_1)
	s_or_b32 exec_lo, exec_lo, s13
.LBB346_1457:                           ;   in Loop: Header=BB346_806 Depth=1
	s_delay_alu instid0(SALU_CYCLE_1) | instskip(NEXT) | instid1(SALU_CYCLE_1)
	s_or_b32 exec_lo, exec_lo, s12
	s_mov_b32 s12, exec_lo
	v_cmpx_lt_u64_e64 s[8:9], v[11:12]
	s_cbranch_execz .LBB346_1465
; %bb.1458:                             ;   in Loop: Header=BB346_806 Depth=1
	v_lshrrev_b32_e32 v14, 24, v12
	v_bfrev_b32_e32 v135, 1
	s_mov_b32 s13, exec_lo
	s_delay_alu instid0(VALU_DEP_2)
	v_cmpx_ne_u32_e32 0x80, v14
	s_cbranch_execz .LBB346_1464
; %bb.1459:                             ;   in Loop: Header=BB346_806 Depth=1
	v_and_b32_e32 v11, 0x7f, v14
	v_mov_b32_e32 v135, 0x7fc02000
	s_mov_b32 s15, exec_lo
	s_delay_alu instid0(VALU_DEP_2)
	v_cmpx_ne_u32_e32 0x7f, v11
	s_cbranch_execz .LBB346_1463
; %bb.1460:                             ;   in Loop: Header=BB346_806 Depth=1
	v_and_b32_e32 v0, 7, v14
	v_lshrrev_b32_e32 v135, 3, v11
	v_cmp_gt_u32_e64 s0, 8, v11
	s_delay_alu instid0(VALU_DEP_3) | instskip(NEXT) | instid1(VALU_DEP_2)
	v_dual_mov_b32 v12, v1 :: v_dual_mov_b32 v11, v0
	s_and_saveexec_b32 s16, s0
; %bb.1461:                             ;   in Loop: Header=BB346_806 Depth=1
	v_clz_i32_u32_e32 v11, v0
	s_delay_alu instid0(VALU_DEP_1) | instskip(NEXT) | instid1(VALU_DEP_1)
	v_min_u32_e32 v135, 32, v11
	v_subrev_nc_u32_e32 v11, 28, v135
	v_sub_nc_u32_e32 v135, 29, v135
	s_delay_alu instid0(VALU_DEP_2) | instskip(NEXT) | instid1(VALU_DEP_1)
	v_lshlrev_b64 v[11:12], v11, v[0:1]
	v_and_b32_e32 v11, 7, v11
; %bb.1462:                             ;   in Loop: Header=BB346_806 Depth=1
	s_or_b32 exec_lo, exec_lo, s16
	v_lshlrev_b32_e32 v0, 8, v14
	v_lshl_add_u32 v12, v135, 10, 0x2000
	s_delay_alu instid0(VALU_DEP_1) | instskip(NEXT) | instid1(VALU_DEP_1)
	v_and_or_b32 v0, 0x8000, v0, v12
	v_lshl_or_b32 v0, v11, 7, v0
	s_delay_alu instid0(VALU_DEP_1)
	v_cvt_f32_f16_e64 v135, v0
.LBB346_1463:                           ;   in Loop: Header=BB346_806 Depth=1
	s_or_b32 exec_lo, exec_lo, s15
.LBB346_1464:                           ;   in Loop: Header=BB346_806 Depth=1
	s_delay_alu instid0(SALU_CYCLE_1)
	s_or_b32 exec_lo, exec_lo, s13
.LBB346_1465:                           ;   in Loop: Header=BB346_806 Depth=1
	s_delay_alu instid0(SALU_CYCLE_1)
	s_or_b32 exec_lo, exec_lo, s12
	s_waitcnt vmcnt(0) lgkmcnt(0)
	v_fma_mixlo_f16 v12, v128, v130, 0
	v_fma_mixlo_f16 v0, v128, v132, 0
	;; [unrolled: 1-line block ×5, first 2 shown]
	v_lshlrev_b32_e32 v14, 16, v12
	v_fma_mixlo_f16 v131, v128, v133, 0
	v_fma_mixlo_f16 v132, v128, v135, 0
	;; [unrolled: 1-line block ×3, first 2 shown]
	v_lshlrev_b32_e32 v0, 16, v0
	v_and_b32_e32 v11, 0xffff, v11
	v_and_b32_e32 v128, 0xffff, v129
	v_lshlrev_b32_e32 v129, 16, v130
	v_and_b32_e32 v130, 0xffff, v131
	v_lshlrev_b32_e32 v131, 16, v132
	v_and_b32_e32 v132, 0xffff, v12
	v_or_b32_e32 v13, v0, v11
	v_or_b32_e32 v14, v14, v128
	;; [unrolled: 1-line block ×3, first 2 shown]
	s_delay_alu instid0(VALU_DEP_4)
	v_or_b32_e32 v11, v131, v132
	s_and_saveexec_b32 s12, vcc_lo
	s_cbranch_execz .LBB346_1467
; %bb.1466:                             ;   in Loop: Header=BB346_806 Depth=1
	v_cmp_lt_i32_e64 s0, v19, v38
	v_lshrrev_b32_e32 v128, 16, v14
	v_lshrrev_b32_e32 v129, 16, v13
	;; [unrolled: 1-line block ×4, first 2 shown]
	v_cndmask_b32_e64 v14, 0, v14, s0
	v_cmp_lt_i32_e64 s0, v84, v55
	s_delay_alu instid0(VALU_DEP_1) | instskip(SKIP_1) | instid1(VALU_DEP_2)
	v_cndmask_b32_e64 v128, 0, v128, s0
	v_cmp_lt_i32_e64 s0, v83, v55
	v_perm_b32 v14, v128, v14, 0x5040100
	s_delay_alu instid0(VALU_DEP_2) | instskip(SKIP_1) | instid1(VALU_DEP_1)
	v_cndmask_b32_e64 v129, 0, v129, s0
	v_cmp_lt_i32_e64 s0, v71, v38
	v_cndmask_b32_e64 v13, 0, v13, s0
	v_cmp_lt_i32_e64 s0, v70, v55
	s_delay_alu instid0(VALU_DEP_2) | instskip(NEXT) | instid1(VALU_DEP_2)
	v_perm_b32 v13, v129, v13, 0x5040100
	v_cndmask_b32_e64 v130, 0, v130, s0
	v_cmp_lt_i32_e64 s0, v69, v38
	s_delay_alu instid0(VALU_DEP_1) | instskip(SKIP_1) | instid1(VALU_DEP_2)
	v_cndmask_b32_e64 v0, 0, v0, s0
	v_cmp_lt_i32_e64 s0, v68, v55
	v_perm_b32 v0, v130, v0, 0x5040100
	s_delay_alu instid0(VALU_DEP_2) | instskip(SKIP_1) | instid1(VALU_DEP_1)
	v_cndmask_b32_e64 v11, 0, v11, s0
	v_cmp_lt_i32_e64 s0, v64, v38
	v_cndmask_b32_e64 v12, 0, v12, s0
	s_delay_alu instid0(VALU_DEP_1)
	v_perm_b32 v11, v11, v12, 0x5040100
.LBB346_1467:                           ;   in Loop: Header=BB346_806 Depth=1
	s_or_b32 exec_lo, exec_lo, s12
	;;#ASMSTART
	v_pk_mul_f16 v12, v87, v14;

	;;#ASMEND
	;;#ASMSTART
	v_pk_mul_f16 v13, v86, v13;

	;;#ASMEND
	;; [unrolled: 4-line block ×4, first 2 shown]
	;;#ASMSTART
	v_pk_add_f16 v12, v12, v13;

	;;#ASMEND
	;;#ASMSTART
	v_pk_add_f16 v0, v12, v0;

	;;#ASMEND
	;; [unrolled: 4-line block ×3, first 2 shown]
	v_dual_mov_b32 v132, 0 :: v_dual_and_b32 v11, 0xffff, v0
	v_lshrrev_b32_e32 v0, 16, v0
	;;#ASMSTART
	v_cvt_f32_f16 v128, v11;
	;;#ASMEND
	;;#ASMSTART
	v_cvt_f32_f16 v129, v0;
	;;#ASMEND
	flat_load_b64 v[11:12], v[9:10] offset:2560
	flat_load_b32 v130, v[26:27]
	s_mov_b32 s12, exec_lo
	s_waitcnt vmcnt(1) lgkmcnt(1)
	v_dual_mov_b32 v131, 0 :: v_dual_and_b32 v0, 0xff, v11
	s_delay_alu instid0(VALU_DEP_1)
	v_cmpx_ne_u16_e32 0, v0
	s_cbranch_execz .LBB346_1475
; %bb.1468:                             ;   in Loop: Header=BB346_806 Depth=1
	v_bfrev_b32_e32 v131, 1
	s_mov_b32 s13, exec_lo
	v_cmpx_ne_u16_e32 0x80, v0
	s_cbranch_execz .LBB346_1474
; %bb.1469:                             ;   in Loop: Header=BB346_806 Depth=1
	v_and_b32_e32 v13, 0x7f, v11
	v_mov_b32_e32 v131, 0x7fc02000
	s_mov_b32 s15, exec_lo
	s_delay_alu instid0(VALU_DEP_2)
	v_cmpx_ne_u32_e32 0x7f, v13
	s_cbranch_execz .LBB346_1473
; %bb.1470:                             ;   in Loop: Header=BB346_806 Depth=1
	v_lshrrev_b32_e32 v0, 3, v13
	v_cmp_gt_u32_e64 s0, 8, v13
	v_dual_mov_b32 v14, v12 :: v_dual_mov_b32 v13, v11
	s_delay_alu instid0(VALU_DEP_2)
	s_and_saveexec_b32 s16, s0
; %bb.1471:                             ;   in Loop: Header=BB346_806 Depth=1
	v_and_b32_e32 v0, 7, v11
	s_delay_alu instid0(VALU_DEP_1) | instskip(NEXT) | instid1(VALU_DEP_1)
	v_clz_i32_u32_e32 v0, v0
	v_min_u32_e32 v0, 32, v0
	s_delay_alu instid0(VALU_DEP_1) | instskip(SKIP_1) | instid1(VALU_DEP_2)
	v_subrev_nc_u32_e32 v13, 28, v0
	v_sub_nc_u32_e32 v0, 29, v0
	v_lshlrev_b64 v[13:14], v13, v[11:12]
; %bb.1472:                             ;   in Loop: Header=BB346_806 Depth=1
	s_or_b32 exec_lo, exec_lo, s16
	v_lshlrev_b32_e32 v14, 8, v11
	s_delay_alu instid0(VALU_DEP_3) | instskip(NEXT) | instid1(VALU_DEP_3)
	v_lshl_add_u32 v0, v0, 10, 0x2000
	v_lshlrev_b32_e32 v13, 7, v13
	s_delay_alu instid0(VALU_DEP_2) | instskip(NEXT) | instid1(VALU_DEP_1)
	v_and_or_b32 v0, 0x8000, v14, v0
	v_and_or_b32 v0, 0x380, v13, v0
	s_delay_alu instid0(VALU_DEP_1)
	v_cvt_f32_f16_e64 v131, v0
.LBB346_1473:                           ;   in Loop: Header=BB346_806 Depth=1
	s_or_b32 exec_lo, exec_lo, s15
.LBB346_1474:                           ;   in Loop: Header=BB346_806 Depth=1
	s_delay_alu instid0(SALU_CYCLE_1)
	s_or_b32 exec_lo, exec_lo, s13
.LBB346_1475:                           ;   in Loop: Header=BB346_806 Depth=1
	s_delay_alu instid0(SALU_CYCLE_1) | instskip(SKIP_2) | instid1(VALU_DEP_1)
	s_or_b32 exec_lo, exec_lo, s12
	v_lshrrev_b16 v0, 8, v11
	s_mov_b32 s12, exec_lo
	v_cmpx_ne_u16_e32 0, v0
	s_cbranch_execz .LBB346_1483
; %bb.1476:                             ;   in Loop: Header=BB346_806 Depth=1
	v_bfrev_b32_e32 v132, 1
	s_mov_b32 s13, exec_lo
	v_cmpx_ne_u16_e32 0x80, v0
	s_cbranch_execz .LBB346_1482
; %bb.1477:                             ;   in Loop: Header=BB346_806 Depth=1
	v_and_b32_e32 v133, 0xffff, v0
	v_mov_b32_e32 v132, 0x7fc02000
	s_mov_b32 s15, exec_lo
	s_delay_alu instid0(VALU_DEP_2) | instskip(NEXT) | instid1(VALU_DEP_1)
	v_and_b32_e32 v13, 0x7f, v133
	v_cmpx_ne_u32_e32 0x7f, v13
	s_cbranch_execz .LBB346_1481
; %bb.1478:                             ;   in Loop: Header=BB346_806 Depth=1
	v_and_b32_e32 v0, 7, v133
	v_lshrrev_b32_e32 v132, 3, v13
	v_cmp_gt_u32_e64 s0, 8, v13
	s_delay_alu instid0(VALU_DEP_3) | instskip(NEXT) | instid1(VALU_DEP_2)
	v_dual_mov_b32 v14, v1 :: v_dual_mov_b32 v13, v0
	s_and_saveexec_b32 s16, s0
; %bb.1479:                             ;   in Loop: Header=BB346_806 Depth=1
	v_clz_i32_u32_e32 v13, v0
	s_delay_alu instid0(VALU_DEP_1) | instskip(NEXT) | instid1(VALU_DEP_1)
	v_min_u32_e32 v132, 32, v13
	v_subrev_nc_u32_e32 v13, 28, v132
	v_sub_nc_u32_e32 v132, 29, v132
	s_delay_alu instid0(VALU_DEP_2) | instskip(NEXT) | instid1(VALU_DEP_1)
	v_lshlrev_b64 v[13:14], v13, v[0:1]
	v_and_b32_e32 v13, 7, v13
; %bb.1480:                             ;   in Loop: Header=BB346_806 Depth=1
	s_or_b32 exec_lo, exec_lo, s16
	v_lshlrev_b32_e32 v0, 8, v133
	v_lshl_add_u32 v14, v132, 10, 0x2000
	s_delay_alu instid0(VALU_DEP_1) | instskip(NEXT) | instid1(VALU_DEP_1)
	v_and_or_b32 v0, 0x8000, v0, v14
	v_lshl_or_b32 v0, v13, 7, v0
	s_delay_alu instid0(VALU_DEP_1)
	v_cvt_f32_f16_e64 v132, v0
.LBB346_1481:                           ;   in Loop: Header=BB346_806 Depth=1
	s_or_b32 exec_lo, exec_lo, s15
.LBB346_1482:                           ;   in Loop: Header=BB346_806 Depth=1
	s_delay_alu instid0(SALU_CYCLE_1)
	s_or_b32 exec_lo, exec_lo, s13
.LBB346_1483:                           ;   in Loop: Header=BB346_806 Depth=1
	s_delay_alu instid0(SALU_CYCLE_1) | instskip(SKIP_3) | instid1(VALU_DEP_2)
	s_or_b32 exec_lo, exec_lo, s12
	v_lshrrev_b32_e32 v135, 16, v11
	v_mov_b32_e32 v134, 0
	s_mov_b32 s12, exec_lo
	v_dual_mov_b32 v133, 0 :: v_dual_and_b32 v0, 0xff, v135
	s_delay_alu instid0(VALU_DEP_1)
	v_cmpx_ne_u16_e32 0, v0
	s_cbranch_execz .LBB346_1491
; %bb.1484:                             ;   in Loop: Header=BB346_806 Depth=1
	v_bfrev_b32_e32 v133, 1
	s_mov_b32 s13, exec_lo
	v_cmpx_ne_u16_e32 0x80, v0
	s_cbranch_execz .LBB346_1490
; %bb.1485:                             ;   in Loop: Header=BB346_806 Depth=1
	v_bfe_u32 v13, v11, 16, 7
	v_mov_b32_e32 v133, 0x7fc02000
	s_mov_b32 s15, exec_lo
	s_delay_alu instid0(VALU_DEP_2)
	v_cmpx_ne_u32_e32 0x7f, v13
	s_cbranch_execz .LBB346_1489
; %bb.1486:                             ;   in Loop: Header=BB346_806 Depth=1
	v_and_b32_e32 v0, 7, v135
	v_lshrrev_b32_e32 v133, 3, v13
	v_cmp_gt_u32_e64 s0, 8, v13
	s_delay_alu instid0(VALU_DEP_3) | instskip(NEXT) | instid1(VALU_DEP_2)
	v_dual_mov_b32 v14, v1 :: v_dual_mov_b32 v13, v0
	s_and_saveexec_b32 s16, s0
; %bb.1487:                             ;   in Loop: Header=BB346_806 Depth=1
	v_clz_i32_u32_e32 v13, v0
	s_delay_alu instid0(VALU_DEP_1) | instskip(NEXT) | instid1(VALU_DEP_1)
	v_min_u32_e32 v133, 32, v13
	v_subrev_nc_u32_e32 v13, 28, v133
	v_sub_nc_u32_e32 v133, 29, v133
	s_delay_alu instid0(VALU_DEP_2) | instskip(NEXT) | instid1(VALU_DEP_1)
	v_lshlrev_b64 v[13:14], v13, v[0:1]
	v_and_b32_e32 v13, 7, v13
; %bb.1488:                             ;   in Loop: Header=BB346_806 Depth=1
	s_or_b32 exec_lo, exec_lo, s16
	v_lshlrev_b32_e32 v0, 8, v135
	v_lshl_add_u32 v14, v133, 10, 0x2000
	s_delay_alu instid0(VALU_DEP_1) | instskip(NEXT) | instid1(VALU_DEP_1)
	v_and_or_b32 v0, 0x8000, v0, v14
	v_lshl_or_b32 v0, v13, 7, v0
	s_delay_alu instid0(VALU_DEP_1)
	v_cvt_f32_f16_e64 v133, v0
.LBB346_1489:                           ;   in Loop: Header=BB346_806 Depth=1
	s_or_b32 exec_lo, exec_lo, s15
.LBB346_1490:                           ;   in Loop: Header=BB346_806 Depth=1
	s_delay_alu instid0(SALU_CYCLE_1)
	s_or_b32 exec_lo, exec_lo, s13
.LBB346_1491:                           ;   in Loop: Header=BB346_806 Depth=1
	s_delay_alu instid0(SALU_CYCLE_1) | instskip(NEXT) | instid1(SALU_CYCLE_1)
	s_or_b32 exec_lo, exec_lo, s12
	s_mov_b32 s12, exec_lo
	v_cmpx_lt_u32_e32 0xffffff, v11
	s_cbranch_execz .LBB346_1499
; %bb.1492:                             ;   in Loop: Header=BB346_806 Depth=1
	v_lshrrev_b32_e32 v135, 24, v11
	v_bfrev_b32_e32 v134, 1
	s_mov_b32 s13, exec_lo
	s_delay_alu instid0(VALU_DEP_2)
	v_cmpx_ne_u32_e32 0x80, v135
	s_cbranch_execz .LBB346_1498
; %bb.1493:                             ;   in Loop: Header=BB346_806 Depth=1
	v_and_b32_e32 v13, 0x7f, v135
	v_mov_b32_e32 v134, 0x7fc02000
	s_mov_b32 s15, exec_lo
	s_delay_alu instid0(VALU_DEP_2)
	v_cmpx_ne_u32_e32 0x7f, v13
	s_cbranch_execz .LBB346_1497
; %bb.1494:                             ;   in Loop: Header=BB346_806 Depth=1
	v_and_b32_e32 v0, 7, v135
	v_lshrrev_b32_e32 v134, 3, v13
	v_cmp_gt_u32_e64 s0, 8, v13
	s_delay_alu instid0(VALU_DEP_3) | instskip(NEXT) | instid1(VALU_DEP_2)
	v_dual_mov_b32 v14, v1 :: v_dual_mov_b32 v13, v0
	s_and_saveexec_b32 s16, s0
; %bb.1495:                             ;   in Loop: Header=BB346_806 Depth=1
	v_clz_i32_u32_e32 v13, v0
	s_delay_alu instid0(VALU_DEP_1) | instskip(NEXT) | instid1(VALU_DEP_1)
	v_min_u32_e32 v134, 32, v13
	v_subrev_nc_u32_e32 v13, 28, v134
	v_sub_nc_u32_e32 v134, 29, v134
	s_delay_alu instid0(VALU_DEP_2) | instskip(NEXT) | instid1(VALU_DEP_1)
	v_lshlrev_b64 v[13:14], v13, v[0:1]
	v_and_b32_e32 v13, 7, v13
; %bb.1496:                             ;   in Loop: Header=BB346_806 Depth=1
	s_or_b32 exec_lo, exec_lo, s16
	v_lshlrev_b32_e32 v0, 8, v135
	v_lshl_add_u32 v14, v134, 10, 0x2000
	s_delay_alu instid0(VALU_DEP_1) | instskip(NEXT) | instid1(VALU_DEP_1)
	v_and_or_b32 v0, 0x8000, v0, v14
	v_lshl_or_b32 v0, v13, 7, v0
	s_delay_alu instid0(VALU_DEP_1)
	v_cvt_f32_f16_e64 v134, v0
.LBB346_1497:                           ;   in Loop: Header=BB346_806 Depth=1
	s_or_b32 exec_lo, exec_lo, s15
.LBB346_1498:                           ;   in Loop: Header=BB346_806 Depth=1
	s_delay_alu instid0(SALU_CYCLE_1)
	s_or_b32 exec_lo, exec_lo, s13
.LBB346_1499:                           ;   in Loop: Header=BB346_806 Depth=1
	s_delay_alu instid0(SALU_CYCLE_1) | instskip(SKIP_3) | instid1(VALU_DEP_2)
	s_or_b32 exec_lo, exec_lo, s12
	v_dual_mov_b32 v0, v12 :: v_dual_and_b32 v13, 0xff, v12
	v_dual_mov_b32 v144, 0 :: v_dual_mov_b32 v135, 0
	s_mov_b32 s12, exec_lo
	v_cmpx_ne_u16_e32 0, v13
	s_cbranch_execz .LBB346_1507
; %bb.1500:                             ;   in Loop: Header=BB346_806 Depth=1
	v_bfrev_b32_e32 v135, 1
	s_mov_b32 s13, exec_lo
	v_cmpx_ne_u16_e32 0x80, v13
	s_cbranch_execz .LBB346_1506
; %bb.1501:                             ;   in Loop: Header=BB346_806 Depth=1
	v_and_b32_e32 v13, 0x7f, v12
	v_mov_b32_e32 v135, 0x7fc02000
	s_mov_b32 s15, exec_lo
	s_delay_alu instid0(VALU_DEP_2)
	v_cmpx_ne_u32_e32 0x7f, v13
	s_cbranch_execz .LBB346_1505
; %bb.1502:                             ;   in Loop: Header=BB346_806 Depth=1
	v_lshrrev_b32_e32 v135, 3, v13
	v_cmp_gt_u32_e64 s0, 8, v13
	v_dual_mov_b32 v14, v1 :: v_dual_mov_b32 v13, v0
	s_delay_alu instid0(VALU_DEP_2)
	s_and_saveexec_b32 s16, s0
; %bb.1503:                             ;   in Loop: Header=BB346_806 Depth=1
	v_and_b32_e32 v13, 7, v12
	s_delay_alu instid0(VALU_DEP_1) | instskip(NEXT) | instid1(VALU_DEP_1)
	v_clz_i32_u32_e32 v13, v13
	v_min_u32_e32 v135, 32, v13
	s_delay_alu instid0(VALU_DEP_1) | instskip(SKIP_1) | instid1(VALU_DEP_2)
	v_subrev_nc_u32_e32 v13, 28, v135
	v_sub_nc_u32_e32 v135, 29, v135
	v_lshlrev_b64 v[13:14], v13, v[0:1]
; %bb.1504:                             ;   in Loop: Header=BB346_806 Depth=1
	s_or_b32 exec_lo, exec_lo, s16
	v_lshlrev_b32_e32 v14, 8, v12
	s_delay_alu instid0(VALU_DEP_3) | instskip(NEXT) | instid1(VALU_DEP_3)
	v_lshl_add_u32 v135, v135, 10, 0x2000
	v_lshlrev_b32_e32 v13, 7, v13
	s_delay_alu instid0(VALU_DEP_2) | instskip(NEXT) | instid1(VALU_DEP_1)
	v_and_or_b32 v14, 0x8000, v14, v135
	v_and_or_b32 v13, 0x380, v13, v14
	s_delay_alu instid0(VALU_DEP_1)
	v_cvt_f32_f16_e64 v135, v13
.LBB346_1505:                           ;   in Loop: Header=BB346_806 Depth=1
	s_or_b32 exec_lo, exec_lo, s15
.LBB346_1506:                           ;   in Loop: Header=BB346_806 Depth=1
	s_delay_alu instid0(SALU_CYCLE_1)
	s_or_b32 exec_lo, exec_lo, s13
.LBB346_1507:                           ;   in Loop: Header=BB346_806 Depth=1
	s_delay_alu instid0(SALU_CYCLE_1) | instskip(SKIP_2) | instid1(VALU_DEP_1)
	s_or_b32 exec_lo, exec_lo, s12
	v_lshrrev_b16 v0, 8, v0
	s_mov_b32 s12, exec_lo
	v_cmpx_ne_u16_e32 0, v0
	s_cbranch_execz .LBB346_1515
; %bb.1508:                             ;   in Loop: Header=BB346_806 Depth=1
	v_bfrev_b32_e32 v144, 1
	s_mov_b32 s13, exec_lo
	v_cmpx_ne_u16_e32 0x80, v0
	s_cbranch_execz .LBB346_1514
; %bb.1509:                             ;   in Loop: Header=BB346_806 Depth=1
	v_and_b32_e32 v145, 0xffff, v0
	v_mov_b32_e32 v144, 0x7fc02000
	s_mov_b32 s15, exec_lo
	s_delay_alu instid0(VALU_DEP_2) | instskip(NEXT) | instid1(VALU_DEP_1)
	v_and_b32_e32 v13, 0x7f, v145
	v_cmpx_ne_u32_e32 0x7f, v13
	s_cbranch_execz .LBB346_1513
; %bb.1510:                             ;   in Loop: Header=BB346_806 Depth=1
	v_and_b32_e32 v0, 7, v145
	v_lshrrev_b32_e32 v144, 3, v13
	v_cmp_gt_u32_e64 s0, 8, v13
	s_delay_alu instid0(VALU_DEP_3) | instskip(NEXT) | instid1(VALU_DEP_2)
	v_dual_mov_b32 v14, v1 :: v_dual_mov_b32 v13, v0
	s_and_saveexec_b32 s16, s0
; %bb.1511:                             ;   in Loop: Header=BB346_806 Depth=1
	v_clz_i32_u32_e32 v13, v0
	s_delay_alu instid0(VALU_DEP_1) | instskip(NEXT) | instid1(VALU_DEP_1)
	v_min_u32_e32 v144, 32, v13
	v_subrev_nc_u32_e32 v13, 28, v144
	v_sub_nc_u32_e32 v144, 29, v144
	s_delay_alu instid0(VALU_DEP_2) | instskip(NEXT) | instid1(VALU_DEP_1)
	v_lshlrev_b64 v[13:14], v13, v[0:1]
	v_and_b32_e32 v13, 7, v13
; %bb.1512:                             ;   in Loop: Header=BB346_806 Depth=1
	s_or_b32 exec_lo, exec_lo, s16
	v_lshlrev_b32_e32 v0, 8, v145
	v_lshl_add_u32 v14, v144, 10, 0x2000
	s_delay_alu instid0(VALU_DEP_1) | instskip(NEXT) | instid1(VALU_DEP_1)
	v_and_or_b32 v0, 0x8000, v0, v14
	v_lshl_or_b32 v0, v13, 7, v0
	s_delay_alu instid0(VALU_DEP_1)
	v_cvt_f32_f16_e64 v144, v0
.LBB346_1513:                           ;   in Loop: Header=BB346_806 Depth=1
	s_or_b32 exec_lo, exec_lo, s15
.LBB346_1514:                           ;   in Loop: Header=BB346_806 Depth=1
	s_delay_alu instid0(SALU_CYCLE_1)
	s_or_b32 exec_lo, exec_lo, s13
.LBB346_1515:                           ;   in Loop: Header=BB346_806 Depth=1
	s_delay_alu instid0(SALU_CYCLE_1) | instskip(SKIP_3) | instid1(VALU_DEP_2)
	s_or_b32 exec_lo, exec_lo, s12
	v_lshrrev_b32_e32 v146, 16, v12
	v_mov_b32_e32 v13, 0
	s_mov_b32 s12, exec_lo
	v_dual_mov_b32 v145, 0 :: v_dual_and_b32 v0, 0xff, v146
	s_delay_alu instid0(VALU_DEP_1)
	v_cmpx_ne_u16_e32 0, v0
	s_cbranch_execz .LBB346_1523
; %bb.1516:                             ;   in Loop: Header=BB346_806 Depth=1
	v_bfrev_b32_e32 v13, 1
	s_mov_b32 s13, exec_lo
	v_cmpx_ne_u16_e32 0x80, v0
	s_cbranch_execz .LBB346_1522
; %bb.1517:                             ;   in Loop: Header=BB346_806 Depth=1
	v_bfe_u32 v14, v12, 16, 7
	v_mov_b32_e32 v13, 0x7fc02000
	s_mov_b32 s15, exec_lo
	s_delay_alu instid0(VALU_DEP_2)
	v_cmpx_ne_u32_e32 0x7f, v14
	s_cbranch_execz .LBB346_1521
; %bb.1518:                             ;   in Loop: Header=BB346_806 Depth=1
	v_and_b32_e32 v0, 7, v146
	v_lshrrev_b32_e32 v147, 3, v14
	v_cmp_gt_u32_e64 s0, 8, v14
	s_delay_alu instid0(VALU_DEP_3) | instskip(NEXT) | instid1(VALU_DEP_2)
	v_dual_mov_b32 v14, v1 :: v_dual_mov_b32 v13, v0
	s_and_saveexec_b32 s16, s0
; %bb.1519:                             ;   in Loop: Header=BB346_806 Depth=1
	v_clz_i32_u32_e32 v13, v0
	s_delay_alu instid0(VALU_DEP_1) | instskip(NEXT) | instid1(VALU_DEP_1)
	v_min_u32_e32 v147, 32, v13
	v_subrev_nc_u32_e32 v13, 28, v147
	v_sub_nc_u32_e32 v147, 29, v147
	s_delay_alu instid0(VALU_DEP_2) | instskip(NEXT) | instid1(VALU_DEP_1)
	v_lshlrev_b64 v[13:14], v13, v[0:1]
	v_and_b32_e32 v13, 7, v13
; %bb.1520:                             ;   in Loop: Header=BB346_806 Depth=1
	s_or_b32 exec_lo, exec_lo, s16
	v_lshlrev_b32_e32 v0, 8, v146
	v_lshl_add_u32 v14, v147, 10, 0x2000
	s_delay_alu instid0(VALU_DEP_1) | instskip(NEXT) | instid1(VALU_DEP_1)
	v_and_or_b32 v0, 0x8000, v0, v14
	v_lshl_or_b32 v0, v13, 7, v0
	s_delay_alu instid0(VALU_DEP_1)
	v_cvt_f32_f16_e32 v13, v0
.LBB346_1521:                           ;   in Loop: Header=BB346_806 Depth=1
	s_or_b32 exec_lo, exec_lo, s15
.LBB346_1522:                           ;   in Loop: Header=BB346_806 Depth=1
	s_delay_alu instid0(SALU_CYCLE_1)
	s_or_b32 exec_lo, exec_lo, s13
.LBB346_1523:                           ;   in Loop: Header=BB346_806 Depth=1
	s_delay_alu instid0(SALU_CYCLE_1) | instskip(NEXT) | instid1(SALU_CYCLE_1)
	s_or_b32 exec_lo, exec_lo, s12
	s_mov_b32 s12, exec_lo
	v_cmpx_lt_u64_e64 s[8:9], v[11:12]
	s_cbranch_execz .LBB346_1531
; %bb.1524:                             ;   in Loop: Header=BB346_806 Depth=1
	v_lshrrev_b32_e32 v14, 24, v12
	v_bfrev_b32_e32 v145, 1
	s_mov_b32 s13, exec_lo
	s_delay_alu instid0(VALU_DEP_2)
	v_cmpx_ne_u32_e32 0x80, v14
	s_cbranch_execz .LBB346_1530
; %bb.1525:                             ;   in Loop: Header=BB346_806 Depth=1
	v_and_b32_e32 v11, 0x7f, v14
	v_mov_b32_e32 v145, 0x7fc02000
	s_mov_b32 s15, exec_lo
	s_delay_alu instid0(VALU_DEP_2)
	v_cmpx_ne_u32_e32 0x7f, v11
	s_cbranch_execz .LBB346_1529
; %bb.1526:                             ;   in Loop: Header=BB346_806 Depth=1
	v_and_b32_e32 v0, 7, v14
	v_lshrrev_b32_e32 v145, 3, v11
	v_cmp_gt_u32_e64 s0, 8, v11
	s_delay_alu instid0(VALU_DEP_3) | instskip(NEXT) | instid1(VALU_DEP_2)
	v_dual_mov_b32 v12, v1 :: v_dual_mov_b32 v11, v0
	s_and_saveexec_b32 s16, s0
; %bb.1527:                             ;   in Loop: Header=BB346_806 Depth=1
	v_clz_i32_u32_e32 v11, v0
	s_delay_alu instid0(VALU_DEP_1) | instskip(NEXT) | instid1(VALU_DEP_1)
	v_min_u32_e32 v145, 32, v11
	v_subrev_nc_u32_e32 v11, 28, v145
	v_sub_nc_u32_e32 v145, 29, v145
	s_delay_alu instid0(VALU_DEP_2) | instskip(NEXT) | instid1(VALU_DEP_1)
	v_lshlrev_b64 v[11:12], v11, v[0:1]
	v_and_b32_e32 v11, 7, v11
; %bb.1528:                             ;   in Loop: Header=BB346_806 Depth=1
	s_or_b32 exec_lo, exec_lo, s16
	v_lshlrev_b32_e32 v0, 8, v14
	v_lshl_add_u32 v12, v145, 10, 0x2000
	s_delay_alu instid0(VALU_DEP_1) | instskip(NEXT) | instid1(VALU_DEP_1)
	v_and_or_b32 v0, 0x8000, v0, v12
	v_lshl_or_b32 v0, v11, 7, v0
	s_delay_alu instid0(VALU_DEP_1)
	v_cvt_f32_f16_e64 v145, v0
.LBB346_1529:                           ;   in Loop: Header=BB346_806 Depth=1
	s_or_b32 exec_lo, exec_lo, s15
.LBB346_1530:                           ;   in Loop: Header=BB346_806 Depth=1
	s_delay_alu instid0(SALU_CYCLE_1)
	s_or_b32 exec_lo, exec_lo, s13
.LBB346_1531:                           ;   in Loop: Header=BB346_806 Depth=1
	s_delay_alu instid0(SALU_CYCLE_1)
	s_or_b32 exec_lo, exec_lo, s12
	s_waitcnt vmcnt(0) lgkmcnt(0)
	v_fma_mixlo_f16 v12, v130, v132, 0
	v_fma_mixlo_f16 v0, v130, v134, 0
	;; [unrolled: 1-line block ×5, first 2 shown]
	v_lshlrev_b32_e32 v14, 16, v12
	v_fma_mixlo_f16 v133, v130, v135, 0
	v_fma_mixlo_f16 v134, v130, v145, 0
	;; [unrolled: 1-line block ×3, first 2 shown]
	v_lshlrev_b32_e32 v0, 16, v0
	v_and_b32_e32 v11, 0xffff, v11
	v_and_b32_e32 v130, 0xffff, v131
	v_lshlrev_b32_e32 v131, 16, v132
	v_and_b32_e32 v132, 0xffff, v133
	v_lshlrev_b32_e32 v133, 16, v134
	v_and_b32_e32 v134, 0xffff, v12
	v_or_b32_e32 v13, v0, v11
	v_or_b32_e32 v14, v14, v130
	;; [unrolled: 1-line block ×3, first 2 shown]
	s_delay_alu instid0(VALU_DEP_4)
	v_or_b32_e32 v11, v133, v134
	s_and_saveexec_b32 s12, vcc_lo
	s_cbranch_execz .LBB346_1533
; %bb.1532:                             ;   in Loop: Header=BB346_806 Depth=1
	v_cmp_lt_i32_e64 s0, v19, v38
	v_lshrrev_b32_e32 v130, 16, v14
	v_lshrrev_b32_e32 v131, 16, v13
	;; [unrolled: 1-line block ×4, first 2 shown]
	v_cndmask_b32_e64 v14, 0, v14, s0
	v_cmp_lt_i32_e64 s0, v84, v55
	s_delay_alu instid0(VALU_DEP_1) | instskip(SKIP_1) | instid1(VALU_DEP_2)
	v_cndmask_b32_e64 v130, 0, v130, s0
	v_cmp_lt_i32_e64 s0, v83, v55
	v_perm_b32 v14, v130, v14, 0x5040100
	s_delay_alu instid0(VALU_DEP_2) | instskip(SKIP_1) | instid1(VALU_DEP_1)
	v_cndmask_b32_e64 v131, 0, v131, s0
	v_cmp_lt_i32_e64 s0, v71, v38
	v_cndmask_b32_e64 v13, 0, v13, s0
	v_cmp_lt_i32_e64 s0, v70, v55
	s_delay_alu instid0(VALU_DEP_2) | instskip(NEXT) | instid1(VALU_DEP_2)
	v_perm_b32 v13, v131, v13, 0x5040100
	v_cndmask_b32_e64 v132, 0, v132, s0
	v_cmp_lt_i32_e64 s0, v69, v38
	s_delay_alu instid0(VALU_DEP_1) | instskip(SKIP_1) | instid1(VALU_DEP_2)
	v_cndmask_b32_e64 v0, 0, v0, s0
	v_cmp_lt_i32_e64 s0, v68, v55
	v_perm_b32 v0, v132, v0, 0x5040100
	s_delay_alu instid0(VALU_DEP_2) | instskip(SKIP_1) | instid1(VALU_DEP_1)
	v_cndmask_b32_e64 v11, 0, v11, s0
	v_cmp_lt_i32_e64 s0, v64, v38
	v_cndmask_b32_e64 v12, 0, v12, s0
	s_delay_alu instid0(VALU_DEP_1)
	v_perm_b32 v11, v11, v12, 0x5040100
.LBB346_1533:                           ;   in Loop: Header=BB346_806 Depth=1
	s_or_b32 exec_lo, exec_lo, s12
	;;#ASMSTART
	v_pk_mul_f16 v12, v87, v14;

	;;#ASMEND
	;;#ASMSTART
	v_pk_mul_f16 v13, v86, v13;

	;;#ASMEND
	;; [unrolled: 4-line block ×4, first 2 shown]
	;;#ASMSTART
	v_pk_add_f16 v12, v12, v13;

	;;#ASMEND
	;;#ASMSTART
	v_pk_add_f16 v0, v12, v0;

	;;#ASMEND
	;; [unrolled: 4-line block ×3, first 2 shown]
	v_dual_mov_b32 v132, 0 :: v_dual_and_b32 v11, 0xffff, v0
	v_lshrrev_b32_e32 v0, 16, v0
	;;#ASMSTART
	v_cvt_f32_f16 v13, v11;
	;;#ASMEND
	;;#ASMSTART
	v_cvt_f32_f16 v14, v0;
	;;#ASMEND
	flat_load_b64 v[9:10], v[9:10] offset:2816
	flat_load_b32 v130, v[26:27]
	s_mov_b32 s12, exec_lo
	s_waitcnt vmcnt(1) lgkmcnt(1)
	v_dual_mov_b32 v131, 0 :: v_dual_and_b32 v0, 0xff, v9
	s_delay_alu instid0(VALU_DEP_1)
	v_cmpx_ne_u16_e32 0, v0
	s_cbranch_execz .LBB346_1541
; %bb.1534:                             ;   in Loop: Header=BB346_806 Depth=1
	v_bfrev_b32_e32 v131, 1
	s_mov_b32 s13, exec_lo
	v_cmpx_ne_u16_e32 0x80, v0
	s_cbranch_execz .LBB346_1540
; %bb.1535:                             ;   in Loop: Header=BB346_806 Depth=1
	v_and_b32_e32 v11, 0x7f, v9
	v_mov_b32_e32 v131, 0x7fc02000
	s_mov_b32 s15, exec_lo
	s_delay_alu instid0(VALU_DEP_2)
	v_cmpx_ne_u32_e32 0x7f, v11
	s_cbranch_execz .LBB346_1539
; %bb.1536:                             ;   in Loop: Header=BB346_806 Depth=1
	v_lshrrev_b32_e32 v0, 3, v11
	v_cmp_gt_u32_e64 s0, 8, v11
	v_dual_mov_b32 v12, v10 :: v_dual_mov_b32 v11, v9
	s_delay_alu instid0(VALU_DEP_2)
	s_and_saveexec_b32 s16, s0
; %bb.1537:                             ;   in Loop: Header=BB346_806 Depth=1
	v_and_b32_e32 v0, 7, v9
	s_delay_alu instid0(VALU_DEP_1) | instskip(NEXT) | instid1(VALU_DEP_1)
	v_clz_i32_u32_e32 v0, v0
	v_min_u32_e32 v0, 32, v0
	s_delay_alu instid0(VALU_DEP_1) | instskip(SKIP_1) | instid1(VALU_DEP_2)
	v_subrev_nc_u32_e32 v11, 28, v0
	v_sub_nc_u32_e32 v0, 29, v0
	v_lshlrev_b64 v[11:12], v11, v[9:10]
; %bb.1538:                             ;   in Loop: Header=BB346_806 Depth=1
	s_or_b32 exec_lo, exec_lo, s16
	v_lshlrev_b32_e32 v12, 8, v9
	s_delay_alu instid0(VALU_DEP_3) | instskip(NEXT) | instid1(VALU_DEP_3)
	v_lshl_add_u32 v0, v0, 10, 0x2000
	v_lshlrev_b32_e32 v11, 7, v11
	s_delay_alu instid0(VALU_DEP_2) | instskip(NEXT) | instid1(VALU_DEP_1)
	v_and_or_b32 v0, 0x8000, v12, v0
	v_and_or_b32 v0, 0x380, v11, v0
	s_delay_alu instid0(VALU_DEP_1)
	v_cvt_f32_f16_e64 v131, v0
.LBB346_1539:                           ;   in Loop: Header=BB346_806 Depth=1
	s_or_b32 exec_lo, exec_lo, s15
.LBB346_1540:                           ;   in Loop: Header=BB346_806 Depth=1
	s_delay_alu instid0(SALU_CYCLE_1)
	s_or_b32 exec_lo, exec_lo, s13
.LBB346_1541:                           ;   in Loop: Header=BB346_806 Depth=1
	s_delay_alu instid0(SALU_CYCLE_1) | instskip(SKIP_2) | instid1(VALU_DEP_1)
	s_or_b32 exec_lo, exec_lo, s12
	v_lshrrev_b16 v0, 8, v9
	s_mov_b32 s12, exec_lo
	v_cmpx_ne_u16_e32 0, v0
	s_cbranch_execz .LBB346_1549
; %bb.1542:                             ;   in Loop: Header=BB346_806 Depth=1
	v_bfrev_b32_e32 v132, 1
	s_mov_b32 s13, exec_lo
	v_cmpx_ne_u16_e32 0x80, v0
	s_cbranch_execz .LBB346_1548
; %bb.1543:                             ;   in Loop: Header=BB346_806 Depth=1
	v_and_b32_e32 v133, 0xffff, v0
	v_mov_b32_e32 v132, 0x7fc02000
	s_mov_b32 s15, exec_lo
	s_delay_alu instid0(VALU_DEP_2) | instskip(NEXT) | instid1(VALU_DEP_1)
	v_and_b32_e32 v11, 0x7f, v133
	v_cmpx_ne_u32_e32 0x7f, v11
	s_cbranch_execz .LBB346_1547
; %bb.1544:                             ;   in Loop: Header=BB346_806 Depth=1
	v_and_b32_e32 v0, 7, v133
	v_lshrrev_b32_e32 v132, 3, v11
	v_cmp_gt_u32_e64 s0, 8, v11
	s_delay_alu instid0(VALU_DEP_3) | instskip(NEXT) | instid1(VALU_DEP_2)
	v_dual_mov_b32 v12, v1 :: v_dual_mov_b32 v11, v0
	s_and_saveexec_b32 s16, s0
; %bb.1545:                             ;   in Loop: Header=BB346_806 Depth=1
	v_clz_i32_u32_e32 v11, v0
	s_delay_alu instid0(VALU_DEP_1) | instskip(NEXT) | instid1(VALU_DEP_1)
	v_min_u32_e32 v132, 32, v11
	v_subrev_nc_u32_e32 v11, 28, v132
	v_sub_nc_u32_e32 v132, 29, v132
	s_delay_alu instid0(VALU_DEP_2) | instskip(NEXT) | instid1(VALU_DEP_1)
	v_lshlrev_b64 v[11:12], v11, v[0:1]
	v_and_b32_e32 v11, 7, v11
; %bb.1546:                             ;   in Loop: Header=BB346_806 Depth=1
	s_or_b32 exec_lo, exec_lo, s16
	v_lshlrev_b32_e32 v0, 8, v133
	v_lshl_add_u32 v12, v132, 10, 0x2000
	s_delay_alu instid0(VALU_DEP_1) | instskip(NEXT) | instid1(VALU_DEP_1)
	v_and_or_b32 v0, 0x8000, v0, v12
	v_lshl_or_b32 v0, v11, 7, v0
	s_delay_alu instid0(VALU_DEP_1)
	v_cvt_f32_f16_e64 v132, v0
.LBB346_1547:                           ;   in Loop: Header=BB346_806 Depth=1
	s_or_b32 exec_lo, exec_lo, s15
.LBB346_1548:                           ;   in Loop: Header=BB346_806 Depth=1
	s_delay_alu instid0(SALU_CYCLE_1)
	s_or_b32 exec_lo, exec_lo, s13
.LBB346_1549:                           ;   in Loop: Header=BB346_806 Depth=1
	s_delay_alu instid0(SALU_CYCLE_1) | instskip(SKIP_3) | instid1(VALU_DEP_2)
	s_or_b32 exec_lo, exec_lo, s12
	v_lshrrev_b32_e32 v135, 16, v9
	v_mov_b32_e32 v134, 0
	s_mov_b32 s12, exec_lo
	v_dual_mov_b32 v133, 0 :: v_dual_and_b32 v0, 0xff, v135
	s_delay_alu instid0(VALU_DEP_1)
	v_cmpx_ne_u16_e32 0, v0
	s_cbranch_execz .LBB346_1557
; %bb.1550:                             ;   in Loop: Header=BB346_806 Depth=1
	v_bfrev_b32_e32 v133, 1
	s_mov_b32 s13, exec_lo
	v_cmpx_ne_u16_e32 0x80, v0
	s_cbranch_execz .LBB346_1556
; %bb.1551:                             ;   in Loop: Header=BB346_806 Depth=1
	v_bfe_u32 v11, v9, 16, 7
	v_mov_b32_e32 v133, 0x7fc02000
	s_mov_b32 s15, exec_lo
	s_delay_alu instid0(VALU_DEP_2)
	v_cmpx_ne_u32_e32 0x7f, v11
	s_cbranch_execz .LBB346_1555
; %bb.1552:                             ;   in Loop: Header=BB346_806 Depth=1
	v_and_b32_e32 v0, 7, v135
	v_lshrrev_b32_e32 v133, 3, v11
	v_cmp_gt_u32_e64 s0, 8, v11
	s_delay_alu instid0(VALU_DEP_3) | instskip(NEXT) | instid1(VALU_DEP_2)
	v_dual_mov_b32 v12, v1 :: v_dual_mov_b32 v11, v0
	s_and_saveexec_b32 s16, s0
; %bb.1553:                             ;   in Loop: Header=BB346_806 Depth=1
	v_clz_i32_u32_e32 v11, v0
	s_delay_alu instid0(VALU_DEP_1) | instskip(NEXT) | instid1(VALU_DEP_1)
	v_min_u32_e32 v133, 32, v11
	v_subrev_nc_u32_e32 v11, 28, v133
	v_sub_nc_u32_e32 v133, 29, v133
	s_delay_alu instid0(VALU_DEP_2) | instskip(NEXT) | instid1(VALU_DEP_1)
	v_lshlrev_b64 v[11:12], v11, v[0:1]
	v_and_b32_e32 v11, 7, v11
; %bb.1554:                             ;   in Loop: Header=BB346_806 Depth=1
	s_or_b32 exec_lo, exec_lo, s16
	v_lshlrev_b32_e32 v0, 8, v135
	v_lshl_add_u32 v12, v133, 10, 0x2000
	s_delay_alu instid0(VALU_DEP_1) | instskip(NEXT) | instid1(VALU_DEP_1)
	v_and_or_b32 v0, 0x8000, v0, v12
	v_lshl_or_b32 v0, v11, 7, v0
	s_delay_alu instid0(VALU_DEP_1)
	v_cvt_f32_f16_e64 v133, v0
.LBB346_1555:                           ;   in Loop: Header=BB346_806 Depth=1
	s_or_b32 exec_lo, exec_lo, s15
.LBB346_1556:                           ;   in Loop: Header=BB346_806 Depth=1
	s_delay_alu instid0(SALU_CYCLE_1)
	s_or_b32 exec_lo, exec_lo, s13
.LBB346_1557:                           ;   in Loop: Header=BB346_806 Depth=1
	s_delay_alu instid0(SALU_CYCLE_1) | instskip(NEXT) | instid1(SALU_CYCLE_1)
	s_or_b32 exec_lo, exec_lo, s12
	s_mov_b32 s12, exec_lo
	v_cmpx_lt_u32_e32 0xffffff, v9
	s_cbranch_execz .LBB346_1565
; %bb.1558:                             ;   in Loop: Header=BB346_806 Depth=1
	v_lshrrev_b32_e32 v135, 24, v9
	v_bfrev_b32_e32 v134, 1
	s_mov_b32 s13, exec_lo
	s_delay_alu instid0(VALU_DEP_2)
	v_cmpx_ne_u32_e32 0x80, v135
	s_cbranch_execz .LBB346_1564
; %bb.1559:                             ;   in Loop: Header=BB346_806 Depth=1
	v_and_b32_e32 v11, 0x7f, v135
	v_mov_b32_e32 v134, 0x7fc02000
	s_mov_b32 s15, exec_lo
	s_delay_alu instid0(VALU_DEP_2)
	v_cmpx_ne_u32_e32 0x7f, v11
	s_cbranch_execz .LBB346_1563
; %bb.1560:                             ;   in Loop: Header=BB346_806 Depth=1
	v_and_b32_e32 v0, 7, v135
	v_lshrrev_b32_e32 v134, 3, v11
	v_cmp_gt_u32_e64 s0, 8, v11
	s_delay_alu instid0(VALU_DEP_3) | instskip(NEXT) | instid1(VALU_DEP_2)
	v_dual_mov_b32 v12, v1 :: v_dual_mov_b32 v11, v0
	s_and_saveexec_b32 s16, s0
; %bb.1561:                             ;   in Loop: Header=BB346_806 Depth=1
	v_clz_i32_u32_e32 v11, v0
	s_delay_alu instid0(VALU_DEP_1) | instskip(NEXT) | instid1(VALU_DEP_1)
	v_min_u32_e32 v134, 32, v11
	v_subrev_nc_u32_e32 v11, 28, v134
	v_sub_nc_u32_e32 v134, 29, v134
	s_delay_alu instid0(VALU_DEP_2) | instskip(NEXT) | instid1(VALU_DEP_1)
	v_lshlrev_b64 v[11:12], v11, v[0:1]
	v_and_b32_e32 v11, 7, v11
; %bb.1562:                             ;   in Loop: Header=BB346_806 Depth=1
	s_or_b32 exec_lo, exec_lo, s16
	v_lshlrev_b32_e32 v0, 8, v135
	v_lshl_add_u32 v12, v134, 10, 0x2000
	s_delay_alu instid0(VALU_DEP_1) | instskip(NEXT) | instid1(VALU_DEP_1)
	v_and_or_b32 v0, 0x8000, v0, v12
	v_lshl_or_b32 v0, v11, 7, v0
	s_delay_alu instid0(VALU_DEP_1)
	v_cvt_f32_f16_e64 v134, v0
.LBB346_1563:                           ;   in Loop: Header=BB346_806 Depth=1
	s_or_b32 exec_lo, exec_lo, s15
.LBB346_1564:                           ;   in Loop: Header=BB346_806 Depth=1
	s_delay_alu instid0(SALU_CYCLE_1)
	s_or_b32 exec_lo, exec_lo, s13
.LBB346_1565:                           ;   in Loop: Header=BB346_806 Depth=1
	s_delay_alu instid0(SALU_CYCLE_1) | instskip(SKIP_3) | instid1(VALU_DEP_2)
	s_or_b32 exec_lo, exec_lo, s12
	v_dual_mov_b32 v0, v10 :: v_dual_and_b32 v11, 0xff, v10
	v_dual_mov_b32 v144, 0 :: v_dual_mov_b32 v135, 0
	s_mov_b32 s12, exec_lo
	v_cmpx_ne_u16_e32 0, v11
	s_cbranch_execz .LBB346_1573
; %bb.1566:                             ;   in Loop: Header=BB346_806 Depth=1
	v_bfrev_b32_e32 v135, 1
	s_mov_b32 s13, exec_lo
	v_cmpx_ne_u16_e32 0x80, v11
	s_cbranch_execz .LBB346_1572
; %bb.1567:                             ;   in Loop: Header=BB346_806 Depth=1
	v_and_b32_e32 v11, 0x7f, v10
	v_mov_b32_e32 v135, 0x7fc02000
	s_mov_b32 s15, exec_lo
	s_delay_alu instid0(VALU_DEP_2)
	v_cmpx_ne_u32_e32 0x7f, v11
	s_cbranch_execz .LBB346_1571
; %bb.1568:                             ;   in Loop: Header=BB346_806 Depth=1
	v_lshrrev_b32_e32 v135, 3, v11
	v_cmp_gt_u32_e64 s0, 8, v11
	v_dual_mov_b32 v12, v1 :: v_dual_mov_b32 v11, v0
	s_delay_alu instid0(VALU_DEP_2)
	s_and_saveexec_b32 s16, s0
; %bb.1569:                             ;   in Loop: Header=BB346_806 Depth=1
	v_and_b32_e32 v11, 7, v10
	s_delay_alu instid0(VALU_DEP_1) | instskip(NEXT) | instid1(VALU_DEP_1)
	v_clz_i32_u32_e32 v11, v11
	v_min_u32_e32 v135, 32, v11
	s_delay_alu instid0(VALU_DEP_1) | instskip(SKIP_1) | instid1(VALU_DEP_2)
	v_subrev_nc_u32_e32 v11, 28, v135
	v_sub_nc_u32_e32 v135, 29, v135
	v_lshlrev_b64 v[11:12], v11, v[0:1]
; %bb.1570:                             ;   in Loop: Header=BB346_806 Depth=1
	s_or_b32 exec_lo, exec_lo, s16
	v_lshlrev_b32_e32 v12, 8, v10
	s_delay_alu instid0(VALU_DEP_3) | instskip(NEXT) | instid1(VALU_DEP_3)
	v_lshl_add_u32 v135, v135, 10, 0x2000
	v_lshlrev_b32_e32 v11, 7, v11
	s_delay_alu instid0(VALU_DEP_2) | instskip(NEXT) | instid1(VALU_DEP_1)
	v_and_or_b32 v12, 0x8000, v12, v135
	v_and_or_b32 v11, 0x380, v11, v12
	s_delay_alu instid0(VALU_DEP_1)
	v_cvt_f32_f16_e64 v135, v11
.LBB346_1571:                           ;   in Loop: Header=BB346_806 Depth=1
	s_or_b32 exec_lo, exec_lo, s15
.LBB346_1572:                           ;   in Loop: Header=BB346_806 Depth=1
	s_delay_alu instid0(SALU_CYCLE_1)
	s_or_b32 exec_lo, exec_lo, s13
.LBB346_1573:                           ;   in Loop: Header=BB346_806 Depth=1
	s_delay_alu instid0(SALU_CYCLE_1) | instskip(SKIP_2) | instid1(VALU_DEP_1)
	s_or_b32 exec_lo, exec_lo, s12
	v_lshrrev_b16 v0, 8, v0
	s_mov_b32 s12, exec_lo
	v_cmpx_ne_u16_e32 0, v0
	s_cbranch_execz .LBB346_1581
; %bb.1574:                             ;   in Loop: Header=BB346_806 Depth=1
	v_bfrev_b32_e32 v144, 1
	s_mov_b32 s13, exec_lo
	v_cmpx_ne_u16_e32 0x80, v0
	s_cbranch_execz .LBB346_1580
; %bb.1575:                             ;   in Loop: Header=BB346_806 Depth=1
	v_and_b32_e32 v145, 0xffff, v0
	v_mov_b32_e32 v144, 0x7fc02000
	s_mov_b32 s15, exec_lo
	s_delay_alu instid0(VALU_DEP_2) | instskip(NEXT) | instid1(VALU_DEP_1)
	v_and_b32_e32 v11, 0x7f, v145
	v_cmpx_ne_u32_e32 0x7f, v11
	s_cbranch_execz .LBB346_1579
; %bb.1576:                             ;   in Loop: Header=BB346_806 Depth=1
	v_and_b32_e32 v0, 7, v145
	v_lshrrev_b32_e32 v144, 3, v11
	v_cmp_gt_u32_e64 s0, 8, v11
	s_delay_alu instid0(VALU_DEP_3) | instskip(NEXT) | instid1(VALU_DEP_2)
	v_dual_mov_b32 v12, v1 :: v_dual_mov_b32 v11, v0
	s_and_saveexec_b32 s16, s0
; %bb.1577:                             ;   in Loop: Header=BB346_806 Depth=1
	v_clz_i32_u32_e32 v11, v0
	s_delay_alu instid0(VALU_DEP_1) | instskip(NEXT) | instid1(VALU_DEP_1)
	v_min_u32_e32 v144, 32, v11
	v_subrev_nc_u32_e32 v11, 28, v144
	v_sub_nc_u32_e32 v144, 29, v144
	s_delay_alu instid0(VALU_DEP_2) | instskip(NEXT) | instid1(VALU_DEP_1)
	v_lshlrev_b64 v[11:12], v11, v[0:1]
	v_and_b32_e32 v11, 7, v11
; %bb.1578:                             ;   in Loop: Header=BB346_806 Depth=1
	s_or_b32 exec_lo, exec_lo, s16
	v_lshlrev_b32_e32 v0, 8, v145
	v_lshl_add_u32 v12, v144, 10, 0x2000
	s_delay_alu instid0(VALU_DEP_1) | instskip(NEXT) | instid1(VALU_DEP_1)
	v_and_or_b32 v0, 0x8000, v0, v12
	v_lshl_or_b32 v0, v11, 7, v0
	s_delay_alu instid0(VALU_DEP_1)
	v_cvt_f32_f16_e64 v144, v0
.LBB346_1579:                           ;   in Loop: Header=BB346_806 Depth=1
	s_or_b32 exec_lo, exec_lo, s15
.LBB346_1580:                           ;   in Loop: Header=BB346_806 Depth=1
	s_delay_alu instid0(SALU_CYCLE_1)
	s_or_b32 exec_lo, exec_lo, s13
.LBB346_1581:                           ;   in Loop: Header=BB346_806 Depth=1
	s_delay_alu instid0(SALU_CYCLE_1) | instskip(SKIP_3) | instid1(VALU_DEP_2)
	s_or_b32 exec_lo, exec_lo, s12
	v_lshrrev_b32_e32 v146, 16, v10
	v_mov_b32_e32 v11, 0
	s_mov_b32 s12, exec_lo
	v_dual_mov_b32 v145, 0 :: v_dual_and_b32 v0, 0xff, v146
	s_delay_alu instid0(VALU_DEP_1)
	v_cmpx_ne_u16_e32 0, v0
	s_cbranch_execz .LBB346_1589
; %bb.1582:                             ;   in Loop: Header=BB346_806 Depth=1
	v_bfrev_b32_e32 v11, 1
	s_mov_b32 s13, exec_lo
	v_cmpx_ne_u16_e32 0x80, v0
	s_cbranch_execz .LBB346_1588
; %bb.1583:                             ;   in Loop: Header=BB346_806 Depth=1
	v_bfe_u32 v12, v10, 16, 7
	v_mov_b32_e32 v11, 0x7fc02000
	s_mov_b32 s15, exec_lo
	s_delay_alu instid0(VALU_DEP_2)
	v_cmpx_ne_u32_e32 0x7f, v12
	s_cbranch_execz .LBB346_1587
; %bb.1584:                             ;   in Loop: Header=BB346_806 Depth=1
	v_and_b32_e32 v0, 7, v146
	v_lshrrev_b32_e32 v147, 3, v12
	v_cmp_gt_u32_e64 s0, 8, v12
	s_delay_alu instid0(VALU_DEP_3) | instskip(NEXT) | instid1(VALU_DEP_2)
	v_dual_mov_b32 v12, v1 :: v_dual_mov_b32 v11, v0
	s_and_saveexec_b32 s16, s0
; %bb.1585:                             ;   in Loop: Header=BB346_806 Depth=1
	v_clz_i32_u32_e32 v11, v0
	s_delay_alu instid0(VALU_DEP_1) | instskip(NEXT) | instid1(VALU_DEP_1)
	v_min_u32_e32 v147, 32, v11
	v_subrev_nc_u32_e32 v11, 28, v147
	v_sub_nc_u32_e32 v147, 29, v147
	s_delay_alu instid0(VALU_DEP_2) | instskip(NEXT) | instid1(VALU_DEP_1)
	v_lshlrev_b64 v[11:12], v11, v[0:1]
	v_and_b32_e32 v11, 7, v11
; %bb.1586:                             ;   in Loop: Header=BB346_806 Depth=1
	s_or_b32 exec_lo, exec_lo, s16
	v_lshlrev_b32_e32 v0, 8, v146
	v_lshl_add_u32 v12, v147, 10, 0x2000
	s_delay_alu instid0(VALU_DEP_1) | instskip(NEXT) | instid1(VALU_DEP_1)
	v_and_or_b32 v0, 0x8000, v0, v12
	v_lshl_or_b32 v0, v11, 7, v0
	s_delay_alu instid0(VALU_DEP_1)
	v_cvt_f32_f16_e32 v11, v0
.LBB346_1587:                           ;   in Loop: Header=BB346_806 Depth=1
	s_or_b32 exec_lo, exec_lo, s15
.LBB346_1588:                           ;   in Loop: Header=BB346_806 Depth=1
	s_delay_alu instid0(SALU_CYCLE_1)
	s_or_b32 exec_lo, exec_lo, s13
.LBB346_1589:                           ;   in Loop: Header=BB346_806 Depth=1
	s_delay_alu instid0(SALU_CYCLE_1) | instskip(NEXT) | instid1(SALU_CYCLE_1)
	s_or_b32 exec_lo, exec_lo, s12
	s_mov_b32 s12, exec_lo
	v_cmpx_lt_u64_e64 s[8:9], v[9:10]
	s_cbranch_execz .LBB346_1597
; %bb.1590:                             ;   in Loop: Header=BB346_806 Depth=1
	v_lshrrev_b32_e32 v12, 24, v10
	v_bfrev_b32_e32 v145, 1
	s_mov_b32 s13, exec_lo
	s_delay_alu instid0(VALU_DEP_2)
	v_cmpx_ne_u32_e32 0x80, v12
	s_cbranch_execz .LBB346_1596
; %bb.1591:                             ;   in Loop: Header=BB346_806 Depth=1
	v_and_b32_e32 v9, 0x7f, v12
	v_mov_b32_e32 v145, 0x7fc02000
	s_mov_b32 s15, exec_lo
	s_delay_alu instid0(VALU_DEP_2)
	v_cmpx_ne_u32_e32 0x7f, v9
	s_cbranch_execz .LBB346_1595
; %bb.1592:                             ;   in Loop: Header=BB346_806 Depth=1
	v_and_b32_e32 v0, 7, v12
	v_lshrrev_b32_e32 v145, 3, v9
	v_cmp_gt_u32_e64 s0, 8, v9
	s_delay_alu instid0(VALU_DEP_3) | instskip(NEXT) | instid1(VALU_DEP_2)
	v_dual_mov_b32 v10, v1 :: v_dual_mov_b32 v9, v0
	s_and_saveexec_b32 s16, s0
; %bb.1593:                             ;   in Loop: Header=BB346_806 Depth=1
	v_clz_i32_u32_e32 v9, v0
	s_delay_alu instid0(VALU_DEP_1) | instskip(NEXT) | instid1(VALU_DEP_1)
	v_min_u32_e32 v145, 32, v9
	v_subrev_nc_u32_e32 v9, 28, v145
	v_sub_nc_u32_e32 v145, 29, v145
	s_delay_alu instid0(VALU_DEP_2) | instskip(NEXT) | instid1(VALU_DEP_1)
	v_lshlrev_b64 v[9:10], v9, v[0:1]
	v_and_b32_e32 v9, 7, v9
; %bb.1594:                             ;   in Loop: Header=BB346_806 Depth=1
	s_or_b32 exec_lo, exec_lo, s16
	v_lshlrev_b32_e32 v0, 8, v12
	v_lshl_add_u32 v10, v145, 10, 0x2000
	s_delay_alu instid0(VALU_DEP_1) | instskip(NEXT) | instid1(VALU_DEP_1)
	v_and_or_b32 v0, 0x8000, v0, v10
	v_lshl_or_b32 v0, v9, 7, v0
	s_delay_alu instid0(VALU_DEP_1)
	v_cvt_f32_f16_e64 v145, v0
.LBB346_1595:                           ;   in Loop: Header=BB346_806 Depth=1
	s_or_b32 exec_lo, exec_lo, s15
.LBB346_1596:                           ;   in Loop: Header=BB346_806 Depth=1
	s_delay_alu instid0(SALU_CYCLE_1)
	s_or_b32 exec_lo, exec_lo, s13
.LBB346_1597:                           ;   in Loop: Header=BB346_806 Depth=1
	s_delay_alu instid0(SALU_CYCLE_1)
	s_or_b32 exec_lo, exec_lo, s12
	s_waitcnt vmcnt(0) lgkmcnt(0)
	v_fma_mixlo_f16 v10, v130, v132, 0
	v_fma_mixlo_f16 v0, v130, v134, 0
	;; [unrolled: 1-line block ×5, first 2 shown]
	v_lshlrev_b32_e32 v132, 16, v10
	v_fma_mixlo_f16 v10, v130, v131, 0
	v_fma_mixlo_f16 v131, v130, v144, 0
	;; [unrolled: 1-line block ×3, first 2 shown]
	v_lshlrev_b32_e32 v0, 16, v0
	v_and_b32_e32 v9, 0xffff, v9
	v_and_b32_e32 v11, 0xffff, v10
	v_lshlrev_b32_e32 v130, 16, v131
	v_and_b32_e32 v131, 0xffff, v133
	v_lshlrev_b32_e32 v133, 16, v134
	v_and_b32_e32 v134, 0xffff, v12
	v_or_b32_e32 v10, v0, v9
	v_or_b32_e32 v11, v132, v11
	v_or_b32_e32 v0, v130, v131
	s_delay_alu instid0(VALU_DEP_4)
	v_or_b32_e32 v9, v133, v134
	s_and_saveexec_b32 s0, vcc_lo
	s_cbranch_execz .LBB346_804
; %bb.1598:                             ;   in Loop: Header=BB346_806 Depth=1
	v_cmp_lt_i32_e32 vcc_lo, v19, v38
	v_lshrrev_b32_e32 v130, 16, v11
	v_lshrrev_b32_e32 v131, 16, v10
	;; [unrolled: 1-line block ×3, first 2 shown]
	v_cndmask_b32_e32 v11, 0, v11, vcc_lo
	v_cmp_lt_i32_e32 vcc_lo, v84, v55
	v_lshrrev_b32_e32 v84, 16, v0
	v_cndmask_b32_e32 v19, 0, v130, vcc_lo
	v_cmp_lt_i32_e32 vcc_lo, v83, v55
	v_cndmask_b32_e32 v83, 0, v131, vcc_lo
	v_cmp_lt_i32_e32 vcc_lo, v71, v38
	;; [unrolled: 2-line block ×4, first 2 shown]
	v_perm_b32 v11, v19, v11, 0x5040100
	v_cndmask_b32_e32 v0, 0, v0, vcc_lo
	v_cmp_lt_i32_e32 vcc_lo, v68, v55
	v_perm_b32 v10, v83, v10, 0x5040100
	s_delay_alu instid0(VALU_DEP_3) | instskip(SKIP_3) | instid1(VALU_DEP_1)
	v_perm_b32 v0, v70, v0, 0x5040100
	v_cndmask_b32_e32 v9, 0, v9, vcc_lo
	v_cmp_lt_i32_e32 vcc_lo, v64, v38
	v_cndmask_b32_e32 v12, 0, v12, vcc_lo
	v_perm_b32 v9, v9, v12, 0x5040100
	s_branch .LBB346_804
.LBB346_1599:
	s_or_b32 exec_lo, exec_lo, s5
.LBB346_1600:
	s_delay_alu instid0(SALU_CYCLE_1)
	s_or_b32 exec_lo, exec_lo, s3
	ds_bpermute_b32 v0, v21, v66
	ds_bpermute_b32 v1, v21, v67
	;; [unrolled: 1-line block ×12, first 2 shown]
	s_waitcnt lgkmcnt(0)
	s_waitcnt_vscnt null, 0x0
	s_barrier
	buffer_gl0_inv
	s_load_b32 s0, s[6:7], 0x0
	v_dual_add_f32 v0, v66, v0 :: v_dual_add_f32 v1, v67, v1
	v_dual_add_f32 v2, v65, v2 :: v_dual_add_f32 v3, v36, v3
	;; [unrolled: 1-line block ×3, first 2 shown]
	v_add_f32_e32 v14, v33, v8
	v_dual_add_f32 v16, v31, v10 :: v_dual_add_f32 v15, v32, v9
	v_dual_add_f32 v17, v29, v11 :: v_dual_add_f32 v18, v28, v12
	v_add_f32_e32 v19, v25, v13
	ds_bpermute_b32 v8, v20, v0
	ds_bpermute_b32 v9, v20, v1
	;; [unrolled: 1-line block ×12, first 2 shown]
	s_waitcnt lgkmcnt(0)
	v_dual_add_f32 v13, v0, v8 :: v_dual_add_f32 v12, v1, v9
	v_dual_add_f32 v11, v2, v10 :: v_dual_add_f32 v10, v3, v21
	;; [unrolled: 1-line block ×3, first 2 shown]
	v_add_f32_e32 v7, v14, v25
	v_dual_add_f32 v3, v16, v27 :: v_dual_and_b32 v16, 0x3c3, v37
	v_lshrrev_b32_e32 v14, 2, v48
	v_dual_add_f32 v6, v15, v26 :: v_dual_add_f32 v1, v17, v28
	v_add_f32_e32 v2, v18, v29
	v_add_f32_e32 v0, v19, v20
	v_mad_u32_u24 v15, 0x180, v39, s0
	v_cmp_eq_u32_e32 vcc_lo, 64, v16
	v_lshlrev_b32_e32 v16, 2, v14
	s_and_saveexec_b32 s0, vcc_lo
	s_cbranch_execz .LBB346_1602
; %bb.1601:
	s_delay_alu instid0(VALU_DEP_1)
	v_add3_u32 v17, v15, v16, 0xfffffd00
	ds_store_2addr_b32 v17, v13, v12 offset1:8
	ds_store_2addr_b32 v17, v11, v10 offset0:16 offset1:24
	ds_store_2addr_b32 v17, v9, v8 offset0:32 offset1:40
	;; [unrolled: 1-line block ×5, first 2 shown]
.LBB346_1602:
	s_or_b32 exec_lo, exec_lo, s0
	v_cmp_eq_u32_e32 vcc_lo, 0, v24
	s_mov_b32 s3, exec_lo
	s_waitcnt lgkmcnt(0)
	s_barrier
	buffer_gl0_inv
	v_cmpx_gt_u32_e32 64, v37
	s_cbranch_execz .LBB346_1617
; %bb.1603:
	s_and_saveexec_b32 s0, vcc_lo
	s_cbranch_execnz .LBB346_1637
; %bb.1604:
	s_or_b32 exec_lo, exec_lo, s0
	s_and_saveexec_b32 s0, vcc_lo
	s_cbranch_execnz .LBB346_1638
.LBB346_1605:
	s_or_b32 exec_lo, exec_lo, s0
	s_and_saveexec_b32 s0, vcc_lo
	s_cbranch_execnz .LBB346_1639
.LBB346_1606:
	s_or_b32 exec_lo, exec_lo, s0
	s_and_saveexec_b32 s0, vcc_lo
	s_cbranch_execnz .LBB346_1640
.LBB346_1607:
	s_or_b32 exec_lo, exec_lo, s0
	s_and_saveexec_b32 s0, vcc_lo
	s_cbranch_execnz .LBB346_1641
.LBB346_1608:
	s_or_b32 exec_lo, exec_lo, s0
	s_and_saveexec_b32 s0, vcc_lo
	s_cbranch_execnz .LBB346_1642
.LBB346_1609:
	s_or_b32 exec_lo, exec_lo, s0
	s_and_saveexec_b32 s0, vcc_lo
	s_cbranch_execnz .LBB346_1643
.LBB346_1610:
	s_or_b32 exec_lo, exec_lo, s0
	s_and_saveexec_b32 s0, vcc_lo
	s_cbranch_execnz .LBB346_1644
.LBB346_1611:
	s_or_b32 exec_lo, exec_lo, s0
	s_and_saveexec_b32 s0, vcc_lo
	s_cbranch_execnz .LBB346_1645
.LBB346_1612:
	s_or_b32 exec_lo, exec_lo, s0
	s_and_saveexec_b32 s0, vcc_lo
	s_cbranch_execnz .LBB346_1646
.LBB346_1613:
	s_or_b32 exec_lo, exec_lo, s0
	s_and_saveexec_b32 s0, vcc_lo
	s_cbranch_execnz .LBB346_1647
.LBB346_1614:
	s_or_b32 exec_lo, exec_lo, s0
	s_and_saveexec_b32 s0, vcc_lo
	s_cbranch_execz .LBB346_1616
.LBB346_1615:
	v_lshl_add_u32 v17, v14, 2, v15
	ds_load_b32 v17, v17 offset:352
	s_waitcnt lgkmcnt(0)
	v_add_f32_e32 v0, v17, v0
.LBB346_1616:
	s_or_b32 exec_lo, exec_lo, s0
.LBB346_1617:
	s_delay_alu instid0(SALU_CYCLE_1)
	s_or_b32 exec_lo, exec_lo, s3
	v_and_b32_e32 v17, 0x3e3, v37
	s_mov_b32 s3, exec_lo
	s_barrier
	buffer_gl0_inv
	v_cmpx_eq_u32_e32 32, v17
	s_cbranch_execz .LBB346_1619
; %bb.1618:
	v_add3_u32 v16, v15, v16, 0xfffffe80
	ds_store_2addr_b32 v16, v13, v12 offset1:8
	ds_store_2addr_b32 v16, v11, v10 offset0:16 offset1:24
	ds_store_2addr_b32 v16, v9, v8 offset0:32 offset1:40
	;; [unrolled: 1-line block ×5, first 2 shown]
.LBB346_1619:
	s_or_b32 exec_lo, exec_lo, s3
	s_delay_alu instid0(SALU_CYCLE_1)
	s_mov_b32 s3, exec_lo
	s_waitcnt lgkmcnt(0)
	s_barrier
	buffer_gl0_inv
	v_cmpx_gt_u32_e32 32, v37
	s_cbranch_execz .LBB346_1634
; %bb.1620:
	v_lshl_add_u32 v14, v14, 2, v15
	s_and_saveexec_b32 s0, vcc_lo
	s_cbranch_execnz .LBB346_1648
; %bb.1621:
	s_or_b32 exec_lo, exec_lo, s0
	s_and_saveexec_b32 s0, vcc_lo
	s_cbranch_execnz .LBB346_1649
.LBB346_1622:
	s_or_b32 exec_lo, exec_lo, s0
	s_and_saveexec_b32 s0, vcc_lo
	s_cbranch_execnz .LBB346_1650
.LBB346_1623:
	s_or_b32 exec_lo, exec_lo, s0
	s_and_saveexec_b32 s0, vcc_lo
	s_cbranch_execnz .LBB346_1651
.LBB346_1624:
	s_or_b32 exec_lo, exec_lo, s0
	s_and_saveexec_b32 s0, vcc_lo
	s_cbranch_execnz .LBB346_1652
.LBB346_1625:
	s_or_b32 exec_lo, exec_lo, s0
	s_and_saveexec_b32 s0, vcc_lo
	s_cbranch_execnz .LBB346_1653
.LBB346_1626:
	s_or_b32 exec_lo, exec_lo, s0
	s_and_saveexec_b32 s0, vcc_lo
	s_cbranch_execnz .LBB346_1654
.LBB346_1627:
	s_or_b32 exec_lo, exec_lo, s0
	s_and_saveexec_b32 s0, vcc_lo
	s_cbranch_execnz .LBB346_1655
.LBB346_1628:
	s_or_b32 exec_lo, exec_lo, s0
	s_and_saveexec_b32 s0, vcc_lo
	s_cbranch_execnz .LBB346_1656
.LBB346_1629:
	s_or_b32 exec_lo, exec_lo, s0
	s_and_saveexec_b32 s0, vcc_lo
	s_cbranch_execnz .LBB346_1657
.LBB346_1630:
	s_or_b32 exec_lo, exec_lo, s0
	s_and_saveexec_b32 s0, vcc_lo
	s_cbranch_execnz .LBB346_1658
.LBB346_1631:
	s_or_b32 exec_lo, exec_lo, s0
	s_and_saveexec_b32 s0, vcc_lo
	s_cbranch_execz .LBB346_1633
.LBB346_1632:
	ds_load_b32 v14, v14 offset:352
	s_waitcnt lgkmcnt(0)
	v_add_f32_e32 v0, v14, v0
.LBB346_1633:
	s_or_b32 exec_lo, exec_lo, s0
.LBB346_1634:
	s_delay_alu instid0(SALU_CYCLE_1)
	s_or_b32 exec_lo, exec_lo, s3
	v_cmp_eq_u32_e32 vcc_lo, 0, v17
	s_barrier
	buffer_gl0_inv
	s_and_b32 exec_lo, exec_lo, vcc_lo
	s_cbranch_execz .LBB346_1636
; %bb.1635:
	s_mul_i32 s0, s2, 0x60
	s_mul_i32 s2, s4, s1
	;; [unrolled: 1-line block ×3, first 2 shown]
	s_ashr_i32 s3, s2, 31
	s_ashr_i32 s5, s4, 31
	;; [unrolled: 1-line block ×3, first 2 shown]
	s_lshl_b64 s[2:3], s[2:3], 1
	s_lshl_b64 s[4:5], s[4:5], 1
	;; [unrolled: 1-line block ×3, first 2 shown]
	s_add_u32 s2, s4, s2
	s_addc_u32 s3, s5, s3
	s_add_u32 s0, s2, s0
	s_addc_u32 s1, s3, s1
	v_lshrrev_b32_e32 v14, 1, v37
	v_add_co_u32 v4, vcc_lo, s0, v4
	v_add_co_ci_u32_e32 v5, vcc_lo, s1, v5, vcc_lo
	;;#ASMSTART
	v_cvt_f16_f32 v13, v13;

	;;#ASMEND
	s_delay_alu instid0(VALU_DEP_2) | instskip(NEXT) | instid1(VALU_DEP_2)
	v_add_co_u32 v4, vcc_lo, v4, v14
	v_add_co_ci_u32_e32 v5, vcc_lo, 0, v5, vcc_lo
	flat_store_b16 v[4:5], v13
	;;#ASMSTART
	v_cvt_f16_f32 v12, v12;

	;;#ASMEND
	flat_store_b16 v[4:5], v12 offset:16
	;;#ASMSTART
	v_cvt_f16_f32 v11, v11;

	;;#ASMEND
	flat_store_b16 v[4:5], v11 offset:32
	;;#ASMSTART
	v_cvt_f16_f32 v10, v10;

	;;#ASMEND
	flat_store_b16 v[4:5], v10 offset:48
	;;#ASMSTART
	v_cvt_f16_f32 v9, v9;

	;;#ASMEND
	flat_store_b16 v[4:5], v9 offset:64
	;;#ASMSTART
	v_cvt_f16_f32 v8, v8;

	;;#ASMEND
	flat_store_b16 v[4:5], v8 offset:80
	;;#ASMSTART
	v_cvt_f16_f32 v7, v7;

	;;#ASMEND
	flat_store_b16 v[4:5], v7 offset:96
	;;#ASMSTART
	v_cvt_f16_f32 v6, v6;

	;;#ASMEND
	flat_store_b16 v[4:5], v6 offset:112
	;;#ASMSTART
	v_cvt_f16_f32 v3, v3;

	;;#ASMEND
	flat_store_b16 v[4:5], v3 offset:128
	;;#ASMSTART
	v_cvt_f16_f32 v1, v1;

	;;#ASMEND
	flat_store_b16 v[4:5], v1 offset:144
	;;#ASMSTART
	v_cvt_f16_f32 v1, v2;

	;;#ASMEND
	flat_store_b16 v[4:5], v1 offset:160
	;;#ASMSTART
	v_cvt_f16_f32 v0, v0;

	;;#ASMEND
	flat_store_b16 v[4:5], v0 offset:176
.LBB346_1636:
	s_or_b32 exec_lo, exec_lo, s11
	s_clause 0x1f
	scratch_load_b32 v140, off, s32 offset:8
	scratch_load_b32 v139, off, s32 offset:12
	;; [unrolled: 1-line block ×32, first 2 shown]
	s_clause 0x14
	scratch_load_b32 v76, off, s32 offset:136
	scratch_load_b32 v75, off, s32 offset:140
	;; [unrolled: 1-line block ×21, first 2 shown]
	s_waitcnt vmcnt(0) lgkmcnt(0)
	s_setpc_b64 s[30:31]
.LBB346_1637:
	v_lshl_add_u32 v17, v14, 2, v15
	ds_load_b32 v17, v17
	s_waitcnt lgkmcnt(0)
	v_add_f32_e32 v13, v17, v13
	s_or_b32 exec_lo, exec_lo, s0
	s_and_saveexec_b32 s0, vcc_lo
	s_cbranch_execz .LBB346_1605
.LBB346_1638:
	v_lshl_add_u32 v17, v14, 2, v15
	ds_load_b32 v17, v17 offset:32
	s_waitcnt lgkmcnt(0)
	v_add_f32_e32 v12, v17, v12
	s_or_b32 exec_lo, exec_lo, s0
	s_and_saveexec_b32 s0, vcc_lo
	s_cbranch_execz .LBB346_1606
.LBB346_1639:
	v_lshl_add_u32 v17, v14, 2, v15
	ds_load_b32 v17, v17 offset:64
	s_waitcnt lgkmcnt(0)
	v_add_f32_e32 v11, v17, v11
	s_or_b32 exec_lo, exec_lo, s0
	s_and_saveexec_b32 s0, vcc_lo
	s_cbranch_execz .LBB346_1607
.LBB346_1640:
	v_lshl_add_u32 v17, v14, 2, v15
	ds_load_b32 v17, v17 offset:96
	s_waitcnt lgkmcnt(0)
	v_add_f32_e32 v10, v17, v10
	s_or_b32 exec_lo, exec_lo, s0
	s_and_saveexec_b32 s0, vcc_lo
	s_cbranch_execz .LBB346_1608
.LBB346_1641:
	v_lshl_add_u32 v17, v14, 2, v15
	ds_load_b32 v17, v17 offset:128
	s_waitcnt lgkmcnt(0)
	v_add_f32_e32 v9, v17, v9
	s_or_b32 exec_lo, exec_lo, s0
	s_and_saveexec_b32 s0, vcc_lo
	s_cbranch_execz .LBB346_1609
.LBB346_1642:
	v_lshl_add_u32 v17, v14, 2, v15
	ds_load_b32 v17, v17 offset:160
	s_waitcnt lgkmcnt(0)
	v_add_f32_e32 v8, v17, v8
	s_or_b32 exec_lo, exec_lo, s0
	s_and_saveexec_b32 s0, vcc_lo
	s_cbranch_execz .LBB346_1610
.LBB346_1643:
	v_lshl_add_u32 v17, v14, 2, v15
	ds_load_b32 v17, v17 offset:192
	s_waitcnt lgkmcnt(0)
	v_add_f32_e32 v7, v17, v7
	s_or_b32 exec_lo, exec_lo, s0
	s_and_saveexec_b32 s0, vcc_lo
	s_cbranch_execz .LBB346_1611
.LBB346_1644:
	v_lshl_add_u32 v17, v14, 2, v15
	ds_load_b32 v17, v17 offset:224
	s_waitcnt lgkmcnt(0)
	v_add_f32_e32 v6, v17, v6
	s_or_b32 exec_lo, exec_lo, s0
	s_and_saveexec_b32 s0, vcc_lo
	s_cbranch_execz .LBB346_1612
.LBB346_1645:
	v_lshl_add_u32 v17, v14, 2, v15
	ds_load_b32 v17, v17 offset:256
	s_waitcnt lgkmcnt(0)
	v_add_f32_e32 v3, v17, v3
	s_or_b32 exec_lo, exec_lo, s0
	s_and_saveexec_b32 s0, vcc_lo
	s_cbranch_execz .LBB346_1613
.LBB346_1646:
	v_lshl_add_u32 v17, v14, 2, v15
	ds_load_b32 v17, v17 offset:288
	s_waitcnt lgkmcnt(0)
	v_add_f32_e32 v1, v17, v1
	s_or_b32 exec_lo, exec_lo, s0
	s_and_saveexec_b32 s0, vcc_lo
	s_cbranch_execz .LBB346_1614
.LBB346_1647:
	v_lshl_add_u32 v17, v14, 2, v15
	ds_load_b32 v17, v17 offset:320
	s_waitcnt lgkmcnt(0)
	v_add_f32_e32 v2, v17, v2
	s_or_b32 exec_lo, exec_lo, s0
	s_and_saveexec_b32 s0, vcc_lo
	s_cbranch_execnz .LBB346_1615
	s_branch .LBB346_1616
.LBB346_1648:
	ds_load_b32 v15, v14
	s_waitcnt lgkmcnt(0)
	v_add_f32_e32 v13, v15, v13
	s_or_b32 exec_lo, exec_lo, s0
	s_and_saveexec_b32 s0, vcc_lo
	s_cbranch_execz .LBB346_1622
.LBB346_1649:
	ds_load_b32 v15, v14 offset:32
	s_waitcnt lgkmcnt(0)
	v_add_f32_e32 v12, v15, v12
	s_or_b32 exec_lo, exec_lo, s0
	s_and_saveexec_b32 s0, vcc_lo
	s_cbranch_execz .LBB346_1623
.LBB346_1650:
	ds_load_b32 v15, v14 offset:64
	s_waitcnt lgkmcnt(0)
	v_add_f32_e32 v11, v15, v11
	s_or_b32 exec_lo, exec_lo, s0
	s_and_saveexec_b32 s0, vcc_lo
	s_cbranch_execz .LBB346_1624
.LBB346_1651:
	ds_load_b32 v15, v14 offset:96
	s_waitcnt lgkmcnt(0)
	v_add_f32_e32 v10, v15, v10
	s_or_b32 exec_lo, exec_lo, s0
	s_and_saveexec_b32 s0, vcc_lo
	s_cbranch_execz .LBB346_1625
.LBB346_1652:
	ds_load_b32 v15, v14 offset:128
	s_waitcnt lgkmcnt(0)
	v_add_f32_e32 v9, v15, v9
	s_or_b32 exec_lo, exec_lo, s0
	s_and_saveexec_b32 s0, vcc_lo
	s_cbranch_execz .LBB346_1626
.LBB346_1653:
	ds_load_b32 v15, v14 offset:160
	s_waitcnt lgkmcnt(0)
	v_add_f32_e32 v8, v15, v8
	s_or_b32 exec_lo, exec_lo, s0
	s_and_saveexec_b32 s0, vcc_lo
	s_cbranch_execz .LBB346_1627
.LBB346_1654:
	ds_load_b32 v15, v14 offset:192
	s_waitcnt lgkmcnt(0)
	v_add_f32_e32 v7, v15, v7
	s_or_b32 exec_lo, exec_lo, s0
	s_and_saveexec_b32 s0, vcc_lo
	s_cbranch_execz .LBB346_1628
.LBB346_1655:
	ds_load_b32 v15, v14 offset:224
	s_waitcnt lgkmcnt(0)
	v_add_f32_e32 v6, v15, v6
	s_or_b32 exec_lo, exec_lo, s0
	s_and_saveexec_b32 s0, vcc_lo
	s_cbranch_execz .LBB346_1629
.LBB346_1656:
	ds_load_b32 v15, v14 offset:256
	s_waitcnt lgkmcnt(0)
	v_add_f32_e32 v3, v15, v3
	s_or_b32 exec_lo, exec_lo, s0
	s_and_saveexec_b32 s0, vcc_lo
	s_cbranch_execz .LBB346_1630
.LBB346_1657:
	ds_load_b32 v15, v14 offset:288
	s_waitcnt lgkmcnt(0)
	v_add_f32_e32 v1, v15, v1
	s_or_b32 exec_lo, exec_lo, s0
	s_and_saveexec_b32 s0, vcc_lo
	s_cbranch_execz .LBB346_1631
.LBB346_1658:
	ds_load_b32 v15, v14 offset:320
	s_waitcnt lgkmcnt(0)
	v_add_f32_e32 v2, v15, v2
	s_or_b32 exec_lo, exec_lo, s0
	s_and_saveexec_b32 s0, vcc_lo
	s_cbranch_execnz .LBB346_1632
	s_branch .LBB346_1633
.Lfunc_end346:
	.size	_ZN4vllm22paged_attention_kernelIthLi96ELi32ELi128ELNS_18Fp8KVCacheDataTypeE1ELb1ELi512EEEvPfS2_PT_PKS3_PKT0_S9_ifPKiSB_iPKfiiiSD_SD_iiiii, .Lfunc_end346-_ZN4vllm22paged_attention_kernelIthLi96ELi32ELi128ELNS_18Fp8KVCacheDataTypeE1ELb1ELi512EEEvPfS2_PT_PKS3_PKT0_S9_ifPKiSB_iPKfiiiSD_SD_iiiii
                                        ; -- End function
	.section	.AMDGPU.csdata,"",@progbits
; Function info:
; codeLenInByte = 64304
; NumSgprs: 35
; NumVgprs: 184
; ScratchSize: 224
; MemoryBound: 0
	.section	.text._ZN4vllm25paged_attention_v2_kernelIthLi96ELi32ELi128ELNS_18Fp8KVCacheDataTypeE1ELb1ELi512EEEvPfS2_PT_PKS3_PKT0_S9_ifPKiSB_iPKfiiiSD_SD_iiiii,"axG",@progbits,_ZN4vllm25paged_attention_v2_kernelIthLi96ELi32ELi128ELNS_18Fp8KVCacheDataTypeE1ELb1ELi512EEEvPfS2_PT_PKS3_PKT0_S9_ifPKiSB_iPKfiiiSD_SD_iiiii,comdat
	.protected	_ZN4vllm25paged_attention_v2_kernelIthLi96ELi32ELi128ELNS_18Fp8KVCacheDataTypeE1ELb1ELi512EEEvPfS2_PT_PKS3_PKT0_S9_ifPKiSB_iPKfiiiSD_SD_iiiii ; -- Begin function _ZN4vllm25paged_attention_v2_kernelIthLi96ELi32ELi128ELNS_18Fp8KVCacheDataTypeE1ELb1ELi512EEEvPfS2_PT_PKS3_PKT0_S9_ifPKiSB_iPKfiiiSD_SD_iiiii
	.globl	_ZN4vllm25paged_attention_v2_kernelIthLi96ELi32ELi128ELNS_18Fp8KVCacheDataTypeE1ELb1ELi512EEEvPfS2_PT_PKS3_PKT0_S9_ifPKiSB_iPKfiiiSD_SD_iiiii
	.p2align	8
	.type	_ZN4vllm25paged_attention_v2_kernelIthLi96ELi32ELi128ELNS_18Fp8KVCacheDataTypeE1ELb1ELi512EEEvPfS2_PT_PKS3_PKT0_S9_ifPKiSB_iPKfiiiSD_SD_iiiii,@function
_ZN4vllm25paged_attention_v2_kernelIthLi96ELi32ELi128ELNS_18Fp8KVCacheDataTypeE1ELb1ELi512EEEvPfS2_PT_PKS3_PKT0_S9_ifPKiSB_iPKfiiiSD_SD_iiiii: ; @_ZN4vllm25paged_attention_v2_kernelIthLi96ELi32ELi128ELNS_18Fp8KVCacheDataTypeE1ELb1ELi512EEEvPfS2_PT_PKS3_PKT0_S9_ifPKiSB_iPKfiiiSD_SD_iiiii
; %bb.0:
	s_mov_b32 s12, s13
	s_clause 0x7
	s_load_b128 s[4:7], s[0:1], 0x78
	s_load_b32 s8, s[0:1], 0x88
	s_load_b256 s[24:31], s[0:1], 0x0
	s_load_b256 s[36:43], s[0:1], 0x20
	s_load_b64 s[2:3], s[0:1], 0x40
	s_load_b64 s[10:11], s[0:1], 0x50
	s_load_b32 s13, s[0:1], 0x48
	s_load_b256 s[16:23], s[0:1], 0x58
	s_mov_b32 s32, 0
	v_mov_b32_e32 v31, v0
	s_waitcnt lgkmcnt(0)
	v_dual_mov_b32 v1, s7 :: v_dual_mov_b32 v2, s8
	v_dual_mov_b32 v0, s24 :: v_dual_mov_b32 v3, s27
	;; [unrolled: 1-line block ×3, first 2 shown]
	v_mov_b32_e32 v6, s30
	scratch_store_b64 off, v[1:2], s32
	v_dual_mov_b32 v1, s25 :: v_dual_mov_b32 v2, s26
	v_dual_mov_b32 v7, s31 :: v_dual_mov_b32 v8, s36
	;; [unrolled: 1-line block ×13, first 2 shown]
	s_add_u32 s8, s0, 0x90
	s_addc_u32 s9, s1, 0
	s_mov_b32 s13, s14
	s_mov_b32 s14, s15
	s_movk_i32 s15, 0x72
	s_getpc_b64 s[0:1]
	s_add_u32 s0, s0, _ZN4vllm22paged_attention_kernelIthLi96ELi32ELi128ELNS_18Fp8KVCacheDataTypeE1ELb1ELi512EEEvPfS2_PT_PKS3_PKT0_S9_ifPKiSB_iPKfiiiSD_SD_iiiii@rel32@lo+4
	s_addc_u32 s1, s1, _ZN4vllm22paged_attention_kernelIthLi96ELi32ELi128ELNS_18Fp8KVCacheDataTypeE1ELb1ELi512EEEvPfS2_PT_PKS3_PKT0_S9_ifPKiSB_iPKfiiiSD_SD_iiiii@rel32@hi+12
	s_delay_alu instid0(SALU_CYCLE_1)
	s_swappc_b64 s[30:31], s[0:1]
	s_endpgm
	.section	.rodata,"a",@progbits
	.p2align	6, 0x0
	.amdhsa_kernel _ZN4vllm25paged_attention_v2_kernelIthLi96ELi32ELi128ELNS_18Fp8KVCacheDataTypeE1ELb1ELi512EEEvPfS2_PT_PKS3_PKT0_S9_ifPKiSB_iPKfiiiSD_SD_iiiii
		.amdhsa_group_segment_fixed_size 224
		.amdhsa_private_segment_fixed_size 224
		.amdhsa_kernarg_size 400
		.amdhsa_user_sgpr_count 13
		.amdhsa_user_sgpr_dispatch_ptr 0
		.amdhsa_user_sgpr_queue_ptr 0
		.amdhsa_user_sgpr_kernarg_segment_ptr 1
		.amdhsa_user_sgpr_dispatch_id 0
		.amdhsa_user_sgpr_private_segment_size 0
		.amdhsa_wavefront_size32 1
		.amdhsa_uses_dynamic_stack 0
		.amdhsa_enable_private_segment 1
		.amdhsa_system_sgpr_workgroup_id_x 1
		.amdhsa_system_sgpr_workgroup_id_y 1
		.amdhsa_system_sgpr_workgroup_id_z 1
		.amdhsa_system_sgpr_workgroup_info 0
		.amdhsa_system_vgpr_workitem_id 0
		.amdhsa_next_free_vgpr 184
		.amdhsa_next_free_sgpr 44
		.amdhsa_reserve_vcc 1
		.amdhsa_float_round_mode_32 0
		.amdhsa_float_round_mode_16_64 0
		.amdhsa_float_denorm_mode_32 3
		.amdhsa_float_denorm_mode_16_64 3
		.amdhsa_dx10_clamp 1
		.amdhsa_ieee_mode 1
		.amdhsa_fp16_overflow 0
		.amdhsa_workgroup_processor_mode 1
		.amdhsa_memory_ordered 1
		.amdhsa_forward_progress 0
		.amdhsa_shared_vgpr_count 0
		.amdhsa_exception_fp_ieee_invalid_op 0
		.amdhsa_exception_fp_denorm_src 0
		.amdhsa_exception_fp_ieee_div_zero 0
		.amdhsa_exception_fp_ieee_overflow 0
		.amdhsa_exception_fp_ieee_underflow 0
		.amdhsa_exception_fp_ieee_inexact 0
		.amdhsa_exception_int_div_zero 0
	.end_amdhsa_kernel
	.section	.text._ZN4vllm25paged_attention_v2_kernelIthLi96ELi32ELi128ELNS_18Fp8KVCacheDataTypeE1ELb1ELi512EEEvPfS2_PT_PKS3_PKT0_S9_ifPKiSB_iPKfiiiSD_SD_iiiii,"axG",@progbits,_ZN4vllm25paged_attention_v2_kernelIthLi96ELi32ELi128ELNS_18Fp8KVCacheDataTypeE1ELb1ELi512EEEvPfS2_PT_PKS3_PKT0_S9_ifPKiSB_iPKfiiiSD_SD_iiiii,comdat
.Lfunc_end347:
	.size	_ZN4vllm25paged_attention_v2_kernelIthLi96ELi32ELi128ELNS_18Fp8KVCacheDataTypeE1ELb1ELi512EEEvPfS2_PT_PKS3_PKT0_S9_ifPKiSB_iPKfiiiSD_SD_iiiii, .Lfunc_end347-_ZN4vllm25paged_attention_v2_kernelIthLi96ELi32ELi128ELNS_18Fp8KVCacheDataTypeE1ELb1ELi512EEEvPfS2_PT_PKS3_PKT0_S9_ifPKiSB_iPKfiiiSD_SD_iiiii
                                        ; -- End function
	.section	.AMDGPU.csdata,"",@progbits
; Kernel info:
; codeLenInByte = 280
; NumSgprs: 46
; NumVgprs: 184
; ScratchSize: 224
; MemoryBound: 0
; FloatMode: 240
; IeeeMode: 1
; LDSByteSize: 224 bytes/workgroup (compile time only)
; SGPRBlocks: 5
; VGPRBlocks: 22
; NumSGPRsForWavesPerEU: 46
; NumVGPRsForWavesPerEU: 184
; Occupancy: 8
; WaveLimiterHint : 1
; COMPUTE_PGM_RSRC2:SCRATCH_EN: 1
; COMPUTE_PGM_RSRC2:USER_SGPR: 13
; COMPUTE_PGM_RSRC2:TRAP_HANDLER: 0
; COMPUTE_PGM_RSRC2:TGID_X_EN: 1
; COMPUTE_PGM_RSRC2:TGID_Y_EN: 1
; COMPUTE_PGM_RSRC2:TGID_Z_EN: 1
; COMPUTE_PGM_RSRC2:TIDIG_COMP_CNT: 0
	.text
	.p2align	2                               ; -- Begin function _ZN4vllm22paged_attention_kernelIthLi112ELi32ELi128ELNS_18Fp8KVCacheDataTypeE1ELb1ELi512EEEvPfS2_PT_PKS3_PKT0_S9_ifPKiSB_iPKfiiiSD_SD_iiiii
	.type	_ZN4vllm22paged_attention_kernelIthLi112ELi32ELi128ELNS_18Fp8KVCacheDataTypeE1ELb1ELi512EEEvPfS2_PT_PKS3_PKT0_S9_ifPKiSB_iPKfiiiSD_SD_iiiii,@function
_ZN4vllm22paged_attention_kernelIthLi112ELi32ELi128ELNS_18Fp8KVCacheDataTypeE1ELb1ELi512EEEvPfS2_PT_PKS3_PKT0_S9_ifPKiSB_iPKfiiiSD_SD_iiiii: ; @_ZN4vllm22paged_attention_kernelIthLi112ELi32ELi128ELNS_18Fp8KVCacheDataTypeE1ELb1ELi512EEEvPfS2_PT_PKS3_PKT0_S9_ifPKiSB_iPKfiiiSD_SD_iiiii
; %bb.0:
	s_waitcnt vmcnt(0) expcnt(0) lgkmcnt(0)
	s_clause 0x1f
	scratch_store_b32 off, v40, s32 offset:276
	; meta instruction
	scratch_store_b32 off, v41, s32 offset:272
	; meta instruction
	;; [unrolled: 2-line block ×31, first 2 shown]
	scratch_store_b32 off, v95, s32 offset:152
	s_clause 0x1f
	scratch_store_b32 off, v104, s32 offset:148
	; meta instruction
	scratch_store_b32 off, v105, s32 offset:144
	; meta instruction
	;; [unrolled: 2-line block ×31, first 2 shown]
	scratch_store_b32 off, v159, s32 offset:24
	s_clause 0x3
	scratch_store_b32 off, v168, s32 offset:20
	; meta instruction
	scratch_store_b32 off, v169, s32 offset:16
	; meta instruction
	scratch_store_b32 off, v170, s32 offset:12
	; meta instruction
	scratch_store_b32 off, v171, s32 offset:8
	s_mov_b32 s10, s13
	s_ashr_i32 s11, s13, 31
	s_lshl_b32 s3, s14, 9
	s_lshl_b64 s[0:1], s[10:11], 2
	s_mov_b32 s11, exec_lo
	v_add_co_u32 v16, vcc_lo, v16, s0
	v_add_co_ci_u32_e32 v17, vcc_lo, s1, v17, vcc_lo
	flat_load_b32 v38, v[16:17]
	s_clause 0x1
	scratch_load_b32 v32, off, s32 offset:4
	scratch_load_b32 v33, off, s32
	s_waitcnt vmcnt(2) lgkmcnt(0)
	v_cmpx_lt_i32_e64 s3, v38
	s_cbranch_execz .LBB348_1900
; %bb.1:
	v_sub_nc_u32_e32 v16, 0, v12
	s_clause 0x1
	s_load_b32 s0, s[8:9], 0x10
	s_load_b32 s1, s[8:9], 0x0
	s_mov_b32 s6, s15
	v_mov_b32_e32 v65, 0
	v_max_i32_e32 v16, v12, v16
	s_delay_alu instid0(VALU_DEP_1) | instskip(SKIP_1) | instid1(VALU_DEP_2)
	v_cvt_f32_u32_e32 v17, v16
	v_sub_nc_u32_e32 v34, 0, v16
	v_rcp_iflag_f32_e32 v17, v17
	s_waitcnt lgkmcnt(0)
	s_lshr_b32 s0, s0, 16
	s_delay_alu instid0(SALU_CYCLE_1) | instskip(SKIP_3) | instid1(SALU_CYCLE_1)
	s_cmp_lg_u32 s0, 0
	s_waitcnt_depctr 0xfff
	v_mul_f32_e32 v17, 0x4f7ffffe, v17
	s_cselect_b32 s0, -1, 0
	s_cmp_lg_u32 s0, 0
	s_delay_alu instid0(VALU_DEP_1) | instskip(SKIP_3) | instid1(VALU_DEP_1)
	v_cvt_u32_f32_e32 v17, v17
	s_addc_u32 s15, s1, 0
	s_mov_b32 s1, exec_lo
	s_abs_i32 s0, s15
	v_mul_lo_u32 v34, v34, v17
	s_delay_alu instid0(VALU_DEP_1) | instskip(NEXT) | instid1(VALU_DEP_1)
	v_mul_hi_u32 v34, v17, v34
	v_add_nc_u32_e32 v17, v17, v34
	s_delay_alu instid0(VALU_DEP_1) | instskip(NEXT) | instid1(VALU_DEP_1)
	v_mul_hi_u32 v17, s0, v17
	v_mul_lo_u32 v34, v17, v16
	v_add_nc_u32_e32 v35, 1, v17
	s_delay_alu instid0(VALU_DEP_2) | instskip(SKIP_1) | instid1(VALU_DEP_1)
	v_sub_nc_u32_e32 v34, s0, v34
	s_abs_i32 s0, s12
	v_sub_nc_u32_e32 v36, v34, v16
	v_cmp_ge_u32_e32 vcc_lo, v34, v16
	s_delay_alu instid0(VALU_DEP_2) | instskip(SKIP_1) | instid1(VALU_DEP_2)
	v_dual_cndmask_b32 v17, v17, v35 :: v_dual_cndmask_b32 v34, v34, v36
	v_xor_b32_e32 v35, s15, v12
	v_add_nc_u32_e32 v36, 1, v17
	s_delay_alu instid0(VALU_DEP_3) | instskip(NEXT) | instid1(VALU_DEP_3)
	v_cmp_ge_u32_e32 vcc_lo, v34, v16
	v_ashrrev_i32_e32 v35, 31, v35
	s_delay_alu instid0(VALU_DEP_3) | instskip(NEXT) | instid1(VALU_DEP_1)
	v_cndmask_b32_e32 v16, v17, v36, vcc_lo
	v_xor_b32_e32 v16, v16, v35
	s_delay_alu instid0(VALU_DEP_1) | instskip(NEXT) | instid1(VALU_DEP_1)
	v_sub_nc_u32_e32 v35, v16, v35
	v_sub_nc_u32_e32 v16, 0, v35
	s_delay_alu instid0(VALU_DEP_1) | instskip(NEXT) | instid1(VALU_DEP_1)
	v_max_i32_e32 v34, v35, v16
	v_cvt_f32_u32_e32 v16, v34
	v_sub_nc_u32_e32 v17, 0, v34
	s_delay_alu instid0(VALU_DEP_2) | instskip(SKIP_2) | instid1(VALU_DEP_1)
	v_rcp_iflag_f32_e32 v16, v16
	s_waitcnt_depctr 0xfff
	v_mul_f32_e32 v16, 0x4f7ffffe, v16
	v_cvt_u32_f32_e32 v16, v16
	s_delay_alu instid0(VALU_DEP_1) | instskip(NEXT) | instid1(VALU_DEP_1)
	v_mul_lo_u32 v17, v17, v16
	v_mul_hi_u32 v17, v16, v17
	s_delay_alu instid0(VALU_DEP_1) | instskip(NEXT) | instid1(VALU_DEP_1)
	v_add_nc_u32_e32 v36, v16, v17
	v_mad_u64_u32 v[16:17], null, s0, v36, 0
	v_cmpx_ne_u64_e32 0, v[19:20]
	s_cbranch_execz .LBB348_3
; %bb.2:
	s_ashr_i32 s13, s12, 31
	s_delay_alu instid0(SALU_CYCLE_1) | instskip(NEXT) | instid1(SALU_CYCLE_1)
	s_lshl_b64 s[4:5], s[12:13], 2
	v_add_co_u32 v19, vcc_lo, v19, s4
	v_add_co_ci_u32_e32 v20, vcc_lo, s5, v20, vcc_lo
	flat_load_b32 v65, v[19:20]
.LBB348_3:
	s_or_b32 exec_lo, exec_lo, s1
	v_and_b32_e32 v37, 0x3ff, v31
	v_ashrrev_i32_e32 v16, 31, v35
	s_ashr_i32 s1, s12, 31
	s_mul_i32 s4, s12, 0x70
	s_mov_b32 s2, exec_lo
	v_cmpx_gt_u32_e32 14, v37
	s_cbranch_execz .LBB348_5
; %bb.4:
	v_mul_lo_u32 v19, s10, v21
	s_ashr_i32 s5, s4, 31
	v_lshlrev_b32_e32 v21, 4, v37
	s_lshl_b64 s[16:17], s[4:5], 1
	s_delay_alu instid0(VALU_DEP_2) | instskip(NEXT) | instid1(VALU_DEP_1)
	v_ashrrev_i32_e32 v20, 31, v19
	v_lshlrev_b64 v[19:20], 1, v[19:20]
	s_delay_alu instid0(VALU_DEP_1) | instskip(NEXT) | instid1(VALU_DEP_2)
	v_add_co_u32 v6, vcc_lo, v6, v19
	v_add_co_ci_u32_e32 v7, vcc_lo, v7, v20, vcc_lo
	s_delay_alu instid0(VALU_DEP_2) | instskip(NEXT) | instid1(VALU_DEP_2)
	v_add_co_u32 v6, vcc_lo, v6, s16
	v_add_co_ci_u32_e32 v7, vcc_lo, s17, v7, vcc_lo
	s_delay_alu instid0(VALU_DEP_2) | instskip(NEXT) | instid1(VALU_DEP_2)
	v_add_co_u32 v6, vcc_lo, v6, v21
	v_add_co_ci_u32_e32 v7, vcc_lo, 0, v7, vcc_lo
	flat_load_b128 v[48:51], v[6:7]
	s_waitcnt vmcnt(0) lgkmcnt(0)
	ds_store_b128 v21, v[48:51]
.LBB348_5:
	s_or_b32 exec_lo, exec_lo, s2
	s_waitcnt vmcnt(0)
	v_sub_nc_u32_e32 v6, 0, v33
	v_mul_lo_u32 v7, v17, v34
	v_add_nc_u32_e32 v20, 1, v17
	v_xor_b32_e32 v35, s1, v16
	s_waitcnt lgkmcnt(0)
	s_waitcnt_vscnt null, 0x0
	v_max_i32_e32 v49, v33, v6
	s_barrier
	buffer_gl0_inv
	v_sub_nc_u32_e32 v19, s0, v7
	v_cvt_f32_u32_e32 v6, v49
	v_sub_nc_u32_e32 v7, 0, v49
	s_mov_b32 s0, exec_lo
	s_delay_alu instid0(VALU_DEP_3) | instskip(NEXT) | instid1(VALU_DEP_3)
	v_cmp_ge_u32_e32 vcc_lo, v19, v34
	v_rcp_iflag_f32_e32 v6, v6
	v_sub_nc_u32_e32 v21, v19, v34
	v_cndmask_b32_e32 v17, v17, v20, vcc_lo
	s_delay_alu instid0(VALU_DEP_2) | instskip(NEXT) | instid1(VALU_DEP_2)
	v_cndmask_b32_e32 v19, v19, v21, vcc_lo
	v_add_nc_u32_e32 v20, 1, v17
	s_waitcnt_depctr 0xfff
	v_mul_f32_e32 v6, 0x4f7ffffe, v6
	v_cmp_ge_u32_e32 vcc_lo, v19, v34
	s_delay_alu instid0(VALU_DEP_2) | instskip(SKIP_1) | instid1(VALU_DEP_2)
	v_cvt_u32_f32_e32 v6, v6
	v_cndmask_b32_e32 v16, v17, v20, vcc_lo
	v_mul_lo_u32 v31, v7, v6
	v_add_nc_u32_e32 v7, -1, v38
	s_delay_alu instid0(VALU_DEP_2) | instskip(NEXT) | instid1(VALU_DEP_2)
	v_mul_hi_u32 v21, v6, v31
	v_sub_nc_u32_e32 v31, 0, v7
	s_delay_alu instid0(VALU_DEP_1) | instskip(NEXT) | instid1(VALU_DEP_3)
	v_max_i32_e32 v19, v7, v31
	v_add_nc_u32_e32 v50, v6, v21
	v_xor_b32_e32 v6, v16, v35
	s_delay_alu instid0(VALU_DEP_2) | instskip(NEXT) | instid1(VALU_DEP_2)
	v_mad_u64_u32 v[16:17], null, v19, v50, 0
	v_sub_nc_u32_e32 v16, v6, v35
                                        ; implicit-def: $vgpr6
	v_cmpx_gt_i32_e32 0, v32
	s_xor_b32 s0, exec_lo, s0
; %bb.6:
	s_delay_alu instid0(VALU_DEP_2) | instskip(NEXT) | instid1(VALU_DEP_1)
	v_mad_u64_u32 v[20:21], null, v28, v12, v[16:17]
                                        ; implicit-def: $vgpr28
	v_mul_lo_u32 v6, v20, v32
                                        ; implicit-def: $vgpr32
	s_delay_alu instid0(VALU_DEP_1)
	v_sub_nc_u32_e32 v6, 1, v6
; %bb.7:
	s_or_saveexec_b32 s0, s0
	v_ashrrev_i32_e32 v12, 31, v7
	v_ashrrev_i32_e32 v51, 31, v33
	s_xor_b32 exec_lo, exec_lo, s0
; %bb.8:
	v_mad_u64_u32 v[20:21], null, s15, v28, s[12:13]
	s_delay_alu instid0(VALU_DEP_1)
	v_mad_u64_u32 v[6:7], null, v20, v32, 1
; %bb.9:
	s_or_b32 exec_lo, exec_lo, s0
	v_mul_lo_u32 v7, v17, v49
	v_xor_b32_e32 v21, v12, v51
	s_clause 0x1
	s_load_b32 s18, s[8:9], 0x14
	s_load_b32 s5, s[8:9], 0x8
	v_mul_lo_u32 v18, s10, v18
	v_lshrrev_b32_e32 v39, 5, v37
	s_lshl_b32 s13, s14, 4
	v_sub_nc_u32_e32 v55, 0, v30
	s_add_i32 s0, s13, 16
	v_sub_nc_u32_e32 v7, v19, v7
	v_add_nc_u32_e32 v19, 1, v17
	v_and_b32_e32 v48, 31, v37
	s_delay_alu instid0(VALU_DEP_3) | instskip(SKIP_2) | instid1(VALU_DEP_4)
	v_sub_nc_u32_e32 v28, v7, v49
	v_cmp_ge_u32_e32 vcc_lo, v7, v49
	v_add_nc_u32_e32 v20, 31, v38
	v_dual_cndmask_b32 v17, v17, v19 :: v_dual_lshlrev_b32 v66, 2, v48
	s_delay_alu instid0(VALU_DEP_2) | instskip(SKIP_1) | instid1(VALU_DEP_3)
	v_ashrrev_i32_e32 v12, 31, v20
	v_cndmask_b32_e32 v7, v7, v28, vcc_lo
	v_add_nc_u32_e32 v19, 1, v17
	s_delay_alu instid0(VALU_DEP_3) | instskip(NEXT) | instid1(VALU_DEP_3)
	v_lshrrev_b32_e32 v12, 27, v12
	v_cmp_ge_u32_e32 vcc_lo, v7, v49
	s_delay_alu instid0(VALU_DEP_2) | instskip(NEXT) | instid1(VALU_DEP_4)
	v_dual_mov_b32 v67, 0xff7fffff :: v_dual_add_nc_u32 v20, v20, v12
	v_cndmask_b32_e32 v7, v17, v19, vcc_lo
	v_mul_lo_u32 v12, v16, v23
	v_ashrrev_i32_e32 v19, 31, v18
	v_add_nc_u32_e32 v16, s13, v39
	v_ashrrev_i32_e32 v54, 5, v20
	v_xor_b32_e32 v7, v7, v21
	v_lshl_add_u32 v23, v39, 5, s3
	v_lshlrev_b64 v[18:19], 2, v[18:19]
	v_ashrrev_i32_e32 v17, 31, v16
	v_min_i32_e32 v52, s0, v54
	v_sub_nc_u32_e32 v7, v7, v21
	v_ashrrev_i32_e32 v64, 31, v12
	s_delay_alu instid0(VALU_DEP_3) | instskip(NEXT) | instid1(VALU_DEP_3)
	v_cmp_lt_i32_e64 s0, v16, v52
	v_sub_nc_u32_e32 v53, v7, v29
	s_delay_alu instid0(VALU_DEP_2)
	s_and_saveexec_b32 s19, s0
	s_cbranch_execz .LBB348_913
; %bb.10:
	v_max_i32_e32 v68, v30, v55
	s_ashr_i32 s7, s6, 31
	s_getpc_b64 s[16:17]
	s_add_u32 s16, s16, llvm.amdgcn.dynlds.offset.table@rel32@lo+4
	s_addc_u32 s17, s17, llvm.amdgcn.dynlds.offset.table@rel32@hi+12
	s_lshl_b64 s[20:21], s[6:7], 2
	v_add_co_u32 v20, vcc_lo, v8, v12
	v_cvt_f32_u32_e32 v7, v68
	v_sub_nc_u32_e32 v33, 0, v68
	s_add_u32 s16, s20, s16
	s_addc_u32 s17, s21, s17
	v_dual_mov_b32 v8, 0 :: v_dual_lshlrev_b32 v31, 4, v48
	v_rcp_iflag_f32_e32 v7, v7
	s_load_b32 s7, s[16:17], 0x0
	v_add_co_ci_u32_e32 v21, vcc_lo, v9, v64, vcc_lo
	v_lshlrev_b64 v[28:29], 2, v[16:17]
	v_add_co_u32 v20, s1, v20, v31
	s_delay_alu instid0(VALU_DEP_1) | instskip(SKIP_4) | instid1(VALU_DEP_1)
	v_add_co_ci_u32_e64 v21, s1, 0, v21, s1
	v_sub_nc_u32_e32 v32, v48, v38
	s_waitcnt_depctr 0xfff
	v_mul_f32_e32 v7, 0x4f7ffffe, v7
	v_add_co_u32 v28, s1, v18, v28
	v_add_co_ci_u32_e64 v29, s1, v19, v29, s1
	s_delay_alu instid0(VALU_DEP_3) | instskip(NEXT) | instid1(VALU_DEP_3)
	v_cvt_u32_f32_e32 v7, v7
	v_add_co_u32 v28, s1, v14, v28
	v_cmp_neq_f32_e32 vcc_lo, 0, v65
	v_lshl_add_u32 v9, v39, 5, s3
	s_delay_alu instid0(VALU_DEP_4)
	v_mul_lo_u32 v33, v33, v7
	v_lshl_or_b32 v69, v39, 7, v66
	v_dual_mov_b32 v70, 0xff7fffff :: v_dual_mov_b32 v67, 0xff7fffff
	v_add_nc_u32_e32 v71, 1, v32
	v_add_co_ci_u32_e64 v29, s1, v15, v29, s1
	s_mov_b32 s8, -1
	v_mul_hi_u32 v31, v7, v33
	s_mov_b32 s9, 0xffffff
	s_mov_b32 s20, 0
	s_delay_alu instid0(VALU_DEP_1)
	v_dual_mov_b32 v81, v16 :: v_dual_add_nc_u32 v80, v7, v31
	s_branch .LBB348_16
.LBB348_11:                             ;   in Loop: Header=BB348_16 Depth=1
	s_or_b32 exec_lo, exec_lo, s24
	v_lshlrev_b32_e32 v7, 8, v34
	v_lshl_add_u32 v32, v36, 10, 0x2000
	s_delay_alu instid0(VALU_DEP_1) | instskip(NEXT) | instid1(VALU_DEP_1)
	v_and_or_b32 v7, 0x8000, v7, v32
	v_lshl_or_b32 v7, v31, 7, v7
	s_delay_alu instid0(VALU_DEP_1)
	v_cvt_f32_f16_e64 v158, v7
.LBB348_12:                             ;   in Loop: Header=BB348_16 Depth=1
	s_or_b32 exec_lo, exec_lo, s23
.LBB348_13:                             ;   in Loop: Header=BB348_16 Depth=1
	s_delay_alu instid0(SALU_CYCLE_1)
	s_or_b32 exec_lo, exec_lo, s22
.LBB348_14:                             ;   in Loop: Header=BB348_16 Depth=1
	s_delay_alu instid0(SALU_CYCLE_1)
	s_or_b32 exec_lo, exec_lo, s21
	v_fma_mixlo_f16 v89, v82, v73, 0
	v_fma_mixlo_f16 v73, v82, v35, 0
	;; [unrolled: 1-line block ×5, first 2 shown]
	ds_load_b128 v[156:159], v8
	v_fma_mixlo_f16 v155, v82, v83, 0
	v_fma_mixlo_f16 v154, v82, v84, 0
	;; [unrolled: 1-line block ×107, first 2 shown]
	s_waitcnt lgkmcnt(0)
	v_lshrrev_b32_e32 v82, 16, v156
	v_and_b32_e32 v97, 0xffff, v156
	s_load_b32 s21, s[16:17], 0x0
	;;#ASMSTART
	v_cvt_f32_f16 v97, v97;
	;;#ASMEND
	;;#ASMSTART
	v_cvt_f32_f16 v98, v82;
	;;#ASMEND
	v_and_b32_e32 v82, 0xffff, v155
	;;#ASMSTART
	v_cvt_f32_f16 v142, v82;
	;;#ASMEND
	v_and_b32_e32 v82, 0xffff, v154
	;;#ASMSTART
	v_cvt_f32_f16 v143, v82;
	;;#ASMEND
	v_lshrrev_b32_e32 v82, 16, v157
	v_and_b32_e32 v152, 0xffff, v157
	;;#ASMSTART
	v_cvt_f32_f16 v156, v152;
	;;#ASMEND
	;;#ASMSTART
	v_cvt_f32_f16 v157, v82;
	;;#ASMEND
	v_and_b32_e32 v82, 0xffff, v114
	;;#ASMSTART
	v_cvt_f32_f16 v114, v82;
	;;#ASMEND
	v_and_b32_e32 v82, 0xffff, v113
	;;#ASMSTART
	v_cvt_f32_f16 v113, v82;
	;;#ASMEND
	v_lshrrev_b32_e32 v82, 16, v158
	v_and_b32_e32 v152, 0xffff, v158
	;; [unrolled: 16-line block ×3, first 2 shown]
	;;#ASMSTART
	v_cvt_f32_f16 v159, v152;
	;;#ASMEND
	;;#ASMSTART
	v_cvt_f32_f16 v169, v82;
	;;#ASMEND
	v_and_b32_e32 v82, 0xffff, v96
	;;#ASMSTART
	v_cvt_f32_f16 v170, v82;
	;;#ASMEND
	v_and_b32_e32 v82, 0xffff, v87
	;;#ASMSTART
	v_cvt_f32_f16 v171, v82;
	;;#ASMEND
	ds_load_b128 v[152:155], v8 offset:16
	v_and_b32_e32 v129, 0xffff, v129
	v_and_b32_e32 v102, 0xffff, v102
	;; [unrolled: 1-line block ×13, first 2 shown]
	s_waitcnt lgkmcnt(0)
	v_lshrrev_b32_e32 v82, 16, v152
	v_and_b32_e32 v87, 0xffff, v152
	;;#ASMSTART
	v_cvt_f32_f16 v87, v87;
	;;#ASMEND
	;;#ASMSTART
	v_cvt_f32_f16 v96, v82;
	;;#ASMEND
	v_and_b32_e32 v82, 0xffff, v130
	;;#ASMSTART
	v_cvt_f32_f16 v82, v82;
	;;#ASMEND
	s_delay_alu instid0(VALU_DEP_1)
	v_dual_mul_f32 v82, v87, v82 :: v_dual_add_nc_u32 v31, v48, v9
	v_add_nc_u32_e32 v7, v71, v9
	;;#ASMSTART
	v_cvt_f32_f16 v129, v129;
	;;#ASMEND
	v_mul_f32_e32 v87, v96, v129
	v_lshrrev_b32_e32 v96, 16, v153
	v_fmac_f32_e32 v82, v97, v142
	v_cvt_f32_i32_e32 v7, v7
	v_and_b32_e32 v97, 0xffff, v153
	v_fmac_f32_e32 v87, v98, v143
	;;#ASMSTART
	v_cvt_f32_f16 v97, v97;
	;;#ASMEND
	;;#ASMSTART
	v_cvt_f32_f16 v96, v96;
	;;#ASMEND
	v_dual_mul_f32 v7, v65, v7 :: v_dual_and_b32 v98, 0xffff, v128
	v_and_b32_e32 v119, 0xffff, v119
	v_cmp_lt_i32_e64 s1, v31, v38
	;;#ASMSTART
	v_cvt_f32_f16 v98, v98;
	;;#ASMEND
	;;#ASMSTART
	v_cvt_f32_f16 v119, v119;
	;;#ASMEND
	s_delay_alu instid0(VALU_DEP_2) | instskip(SKIP_3) | instid1(VALU_DEP_4)
	v_dual_mul_f32 v96, v96, v119 :: v_dual_add_nc_u32 v31, s21, v69
	v_mul_f32_e32 v97, v97, v98
	v_cndmask_b32_e32 v7, 0, v7, vcc_lo
	v_lshrrev_b32_e32 v98, 16, v154
	v_dual_fmac_f32 v96, v157, v113 :: v_dual_and_b32 v113, 0xffff, v154
	;;#ASMSTART
	v_cvt_f32_f16 v113, v113;
	;;#ASMEND
	;;#ASMSTART
	v_cvt_f32_f16 v98, v98;
	;;#ASMEND
	v_fmac_f32_e32 v97, v156, v114
	;;#ASMSTART
	v_cvt_f32_f16 v102, v102;
	;;#ASMEND
	v_and_b32_e32 v99, 0xffff, v99
	;;#ASMSTART
	v_cvt_f32_f16 v114, v99;
	;;#ASMEND
	v_mul_f32_e32 v98, v98, v114
	v_mul_f32_e32 v99, v113, v102
	v_lshrrev_b32_e32 v102, 16, v155
	s_delay_alu instid0(VALU_DEP_3)
	v_dual_fmac_f32 v98, v168, v103 :: v_dual_and_b32 v113, 0xffff, v145
	v_and_b32_e32 v103, 0xffff, v155
	;;#ASMSTART
	v_cvt_f32_f16 v103, v103;
	;;#ASMEND
	;;#ASMSTART
	v_cvt_f32_f16 v102, v102;
	;;#ASMEND
	;;#ASMSTART
	v_cvt_f32_f16 v101, v101;
	;;#ASMEND
	;;#ASMSTART
	v_cvt_f32_f16 v100, v100;
	;;#ASMEND
	ds_load_b128 v[152:155], v8 offset:32
	v_dual_mul_f32 v100, v102, v100 :: v_dual_mul_f32 v101, v103, v101
	v_dual_fmac_f32 v99, v158, v112 :: v_dual_and_b32 v112, 0xffff, v146
	s_delay_alu instid0(VALU_DEP_2)
	v_dual_fmac_f32 v100, v169, v171 :: v_dual_fmac_f32 v101, v159, v170
	s_waitcnt lgkmcnt(0)
	v_lshrrev_b32_e32 v102, 16, v152
	v_and_b32_e32 v103, 0xffff, v152
	;;#ASMSTART
	v_cvt_f32_f16 v103, v103;
	;;#ASMEND
	;;#ASMSTART
	v_cvt_f32_f16 v102, v102;
	;;#ASMEND
	;;#ASMSTART
	v_cvt_f32_f16 v112, v112;
	;;#ASMEND
	;;#ASMSTART
	v_cvt_f32_f16 v113, v113;
	;;#ASMEND
	v_dual_fmac_f32 v82, v103, v112 :: v_dual_fmac_f32 v87, v102, v113
	v_lshrrev_b32_e32 v102, 16, v153
	v_and_b32_e32 v103, 0xffff, v153
	v_and_b32_e32 v112, 0xffff, v144
	v_and_b32_e32 v113, 0xffff, v135
	;;#ASMSTART
	v_cvt_f32_f16 v103, v103;
	;;#ASMEND
	;;#ASMSTART
	v_cvt_f32_f16 v102, v102;
	;;#ASMEND
	;;#ASMSTART
	v_cvt_f32_f16 v112, v112;
	;;#ASMEND
	;;#ASMSTART
	v_cvt_f32_f16 v113, v113;
	;;#ASMEND
	v_dual_fmac_f32 v97, v103, v112 :: v_dual_fmac_f32 v96, v102, v113
	v_lshrrev_b32_e32 v102, 16, v154
	v_and_b32_e32 v103, 0xffff, v154
	v_and_b32_e32 v112, 0xffff, v118
	;; [unrolled: 17-line block ×3, first 2 shown]
	v_and_b32_e32 v113, 0xffff, v115
	;;#ASMSTART
	v_cvt_f32_f16 v103, v103;
	;;#ASMEND
	;;#ASMSTART
	v_cvt_f32_f16 v102, v102;
	;;#ASMEND
	;; [unrolled: 3-line block ×4, first 2 shown]
	v_dual_fmac_f32 v101, v103, v112 :: v_dual_fmac_f32 v100, v102, v113
	ds_load_b128 v[112:115], v8 offset:48
	v_and_b32_e32 v116, 0xffff, v161
	s_waitcnt lgkmcnt(0)
	v_lshrrev_b32_e32 v102, 16, v112
	v_and_b32_e32 v103, 0xffff, v112
	v_and_b32_e32 v112, 0xffff, v162
	;;#ASMSTART
	v_cvt_f32_f16 v103, v103;
	;;#ASMEND
	;;#ASMSTART
	v_cvt_f32_f16 v102, v102;
	;;#ASMEND
	;; [unrolled: 3-line block ×4, first 2 shown]
	v_fmac_f32_e32 v82, v103, v112
	v_fmac_f32_e32 v87, v102, v116
	v_lshrrev_b32_e32 v102, 16, v113
	v_and_b32_e32 v103, 0xffff, v113
	v_and_b32_e32 v112, 0xffff, v160
	;; [unrolled: 1-line block ×3, first 2 shown]
	;;#ASMSTART
	v_cvt_f32_f16 v103, v103;
	;;#ASMEND
	;;#ASMSTART
	v_cvt_f32_f16 v102, v102;
	;;#ASMEND
	;;#ASMSTART
	v_cvt_f32_f16 v112, v112;
	;;#ASMEND
	;;#ASMSTART
	v_cvt_f32_f16 v113, v113;
	;;#ASMEND
	v_dual_fmac_f32 v97, v103, v112 :: v_dual_fmac_f32 v96, v102, v113
	v_lshrrev_b32_e32 v102, 16, v114
	v_and_b32_e32 v103, 0xffff, v114
	v_and_b32_e32 v112, 0xffff, v134
	v_and_b32_e32 v113, 0xffff, v133
	;;#ASMSTART
	v_cvt_f32_f16 v103, v103;
	;;#ASMEND
	;;#ASMSTART
	v_cvt_f32_f16 v102, v102;
	;;#ASMEND
	;; [unrolled: 3-line block ×4, first 2 shown]
	v_dual_fmac_f32 v99, v103, v112 :: v_dual_fmac_f32 v98, v102, v113
	v_lshrrev_b32_e32 v102, 16, v115
	v_and_b32_e32 v103, 0xffff, v115
	v_and_b32_e32 v112, 0xffff, v132
	;; [unrolled: 1-line block ×3, first 2 shown]
	;;#ASMSTART
	v_cvt_f32_f16 v103, v103;
	;;#ASMEND
	;;#ASMSTART
	v_cvt_f32_f16 v102, v102;
	;;#ASMEND
	;; [unrolled: 3-line block ×4, first 2 shown]
	v_dual_fmac_f32 v101, v103, v112 :: v_dual_and_b32 v116, 0xffff, v177
	v_fmac_f32_e32 v100, v102, v113
	ds_load_b128 v[112:115], v8 offset:64
	s_waitcnt lgkmcnt(0)
	v_lshrrev_b32_e32 v102, 16, v112
	v_and_b32_e32 v103, 0xffff, v112
	v_and_b32_e32 v112, 0xffff, v178
	;;#ASMSTART
	v_cvt_f32_f16 v103, v103;
	;;#ASMEND
	;;#ASMSTART
	v_cvt_f32_f16 v102, v102;
	;;#ASMEND
	;; [unrolled: 3-line block ×4, first 2 shown]
	v_fmac_f32_e32 v82, v103, v112
	v_fmac_f32_e32 v87, v102, v116
	v_lshrrev_b32_e32 v102, 16, v113
	v_and_b32_e32 v103, 0xffff, v113
	v_and_b32_e32 v112, 0xffff, v176
	;; [unrolled: 1-line block ×3, first 2 shown]
	;;#ASMSTART
	v_cvt_f32_f16 v103, v103;
	;;#ASMEND
	;;#ASMSTART
	v_cvt_f32_f16 v102, v102;
	;;#ASMEND
	;; [unrolled: 3-line block ×4, first 2 shown]
	v_dual_fmac_f32 v97, v103, v112 :: v_dual_and_b32 v112, 0xffff, v150
	v_fmac_f32_e32 v96, v102, v113
	v_lshrrev_b32_e32 v102, 16, v114
	v_and_b32_e32 v103, 0xffff, v114
	v_and_b32_e32 v113, 0xffff, v149
	;;#ASMSTART
	v_cvt_f32_f16 v103, v103;
	;;#ASMEND
	;;#ASMSTART
	v_cvt_f32_f16 v102, v102;
	;;#ASMEND
	;; [unrolled: 3-line block ×4, first 2 shown]
	v_dual_fmac_f32 v99, v103, v112 :: v_dual_fmac_f32 v98, v102, v113
	v_lshrrev_b32_e32 v102, 16, v115
	v_and_b32_e32 v103, 0xffff, v115
	v_and_b32_e32 v112, 0xffff, v148
	;; [unrolled: 1-line block ×3, first 2 shown]
	;;#ASMSTART
	v_cvt_f32_f16 v103, v103;
	;;#ASMEND
	;;#ASMSTART
	v_cvt_f32_f16 v102, v102;
	;;#ASMEND
	;; [unrolled: 3-line block ×4, first 2 shown]
	v_dual_fmac_f32 v101, v103, v112 :: v_dual_and_b32 v116, 0xffff, v41
	v_fmac_f32_e32 v100, v102, v113
	ds_load_b128 v[112:115], v8 offset:80
	s_waitcnt lgkmcnt(0)
	v_lshrrev_b32_e32 v102, 16, v112
	v_and_b32_e32 v103, 0xffff, v112
	v_and_b32_e32 v112, 0xffff, v42
	;;#ASMSTART
	v_cvt_f32_f16 v103, v103;
	;;#ASMEND
	;;#ASMSTART
	v_cvt_f32_f16 v102, v102;
	;;#ASMEND
	;; [unrolled: 3-line block ×4, first 2 shown]
	v_fmac_f32_e32 v82, v103, v112
	v_fmac_f32_e32 v87, v102, v116
	v_lshrrev_b32_e32 v102, 16, v113
	v_and_b32_e32 v103, 0xffff, v113
	v_and_b32_e32 v112, 0xffff, v40
	;; [unrolled: 1-line block ×3, first 2 shown]
	;;#ASMSTART
	v_cvt_f32_f16 v103, v103;
	;;#ASMEND
	;;#ASMSTART
	v_cvt_f32_f16 v102, v102;
	;;#ASMEND
	;; [unrolled: 3-line block ×4, first 2 shown]
	v_dual_fmac_f32 v97, v103, v112 :: v_dual_and_b32 v112, 0xffff, v166
	v_fmac_f32_e32 v96, v102, v113
	v_lshrrev_b32_e32 v102, 16, v114
	v_and_b32_e32 v103, 0xffff, v114
	v_and_b32_e32 v113, 0xffff, v165
	;;#ASMSTART
	v_cvt_f32_f16 v103, v103;
	;;#ASMEND
	;;#ASMSTART
	v_cvt_f32_f16 v102, v102;
	;;#ASMEND
	;; [unrolled: 3-line block ×4, first 2 shown]
	v_dual_fmac_f32 v99, v103, v112 :: v_dual_fmac_f32 v98, v102, v113
	v_lshrrev_b32_e32 v102, 16, v115
	v_and_b32_e32 v103, 0xffff, v115
	v_and_b32_e32 v112, 0xffff, v164
	;; [unrolled: 1-line block ×3, first 2 shown]
	;;#ASMSTART
	v_cvt_f32_f16 v103, v103;
	;;#ASMEND
	;;#ASMSTART
	v_cvt_f32_f16 v102, v102;
	;;#ASMEND
	;; [unrolled: 3-line block ×4, first 2 shown]
	v_dual_fmac_f32 v101, v103, v112 :: v_dual_and_b32 v116, 0xffff, v57
	v_fmac_f32_e32 v100, v102, v113
	ds_load_b128 v[112:115], v8 offset:96
	s_waitcnt lgkmcnt(0)
	v_lshrrev_b32_e32 v102, 16, v112
	v_and_b32_e32 v103, 0xffff, v112
	v_and_b32_e32 v112, 0xffff, v58
	;;#ASMSTART
	v_cvt_f32_f16 v103, v103;
	;;#ASMEND
	;;#ASMSTART
	v_cvt_f32_f16 v102, v102;
	;;#ASMEND
	;;#ASMSTART
	v_cvt_f32_f16 v112, v112;
	;;#ASMEND
	;;#ASMSTART
	v_cvt_f32_f16 v116, v116;
	;;#ASMEND
	v_fmac_f32_e32 v82, v103, v112
	v_fmac_f32_e32 v87, v102, v116
	v_lshrrev_b32_e32 v102, 16, v113
	v_and_b32_e32 v103, 0xffff, v113
	v_and_b32_e32 v112, 0xffff, v56
	;; [unrolled: 1-line block ×3, first 2 shown]
	;;#ASMSTART
	v_cvt_f32_f16 v103, v103;
	;;#ASMEND
	;;#ASMSTART
	v_cvt_f32_f16 v102, v102;
	;;#ASMEND
	;; [unrolled: 3-line block ×4, first 2 shown]
	v_dual_fmac_f32 v97, v103, v112 :: v_dual_and_b32 v112, 0xffff, v182
	v_fmac_f32_e32 v96, v102, v113
	v_lshrrev_b32_e32 v102, 16, v114
	v_and_b32_e32 v103, 0xffff, v114
	v_and_b32_e32 v113, 0xffff, v181
	;;#ASMSTART
	v_cvt_f32_f16 v103, v103;
	;;#ASMEND
	;;#ASMSTART
	v_cvt_f32_f16 v102, v102;
	;;#ASMEND
	;; [unrolled: 3-line block ×4, first 2 shown]
	v_dual_fmac_f32 v99, v103, v112 :: v_dual_fmac_f32 v98, v102, v113
	v_lshrrev_b32_e32 v102, 16, v115
	v_and_b32_e32 v103, 0xffff, v115
	v_and_b32_e32 v112, 0xffff, v180
	;; [unrolled: 1-line block ×3, first 2 shown]
	;;#ASMSTART
	v_cvt_f32_f16 v103, v103;
	;;#ASMEND
	;;#ASMSTART
	v_cvt_f32_f16 v102, v102;
	;;#ASMEND
	;; [unrolled: 3-line block ×4, first 2 shown]
	v_dual_fmac_f32 v101, v103, v112 :: v_dual_and_b32 v116, 0xffff, v78
	v_fmac_f32_e32 v100, v102, v113
	ds_load_b128 v[112:115], v8 offset:112
	s_waitcnt lgkmcnt(0)
	v_lshrrev_b32_e32 v102, 16, v112
	v_and_b32_e32 v103, 0xffff, v112
	v_and_b32_e32 v112, 0xffff, v79
	;;#ASMSTART
	v_cvt_f32_f16 v103, v103;
	;;#ASMEND
	;;#ASMSTART
	v_cvt_f32_f16 v102, v102;
	;;#ASMEND
	;; [unrolled: 3-line block ×4, first 2 shown]
	v_fmac_f32_e32 v82, v103, v112
	v_fmac_f32_e32 v87, v102, v116
	v_lshrrev_b32_e32 v102, 16, v113
	v_and_b32_e32 v103, 0xffff, v113
	v_and_b32_e32 v112, 0xffff, v72
	v_and_b32_e32 v113, 0xffff, v63
	;;#ASMSTART
	v_cvt_f32_f16 v103, v103;
	;;#ASMEND
	;;#ASMSTART
	v_cvt_f32_f16 v102, v102;
	;;#ASMEND
	;;#ASMSTART
	v_cvt_f32_f16 v112, v112;
	;;#ASMEND
	;;#ASMSTART
	v_cvt_f32_f16 v113, v113;
	;;#ASMEND
	v_dual_fmac_f32 v97, v103, v112 :: v_dual_fmac_f32 v96, v102, v113
	v_lshrrev_b32_e32 v102, 16, v114
	v_and_b32_e32 v103, 0xffff, v114
	v_and_b32_e32 v112, 0xffff, v46
	v_and_b32_e32 v113, 0xffff, v45
	;;#ASMSTART
	v_cvt_f32_f16 v103, v103;
	;;#ASMEND
	;;#ASMSTART
	v_cvt_f32_f16 v102, v102;
	;;#ASMEND
	;;#ASMSTART
	v_cvt_f32_f16 v112, v112;
	;;#ASMEND
	;;#ASMSTART
	v_cvt_f32_f16 v113, v113;
	;;#ASMEND
	v_dual_fmac_f32 v99, v103, v112 :: v_dual_fmac_f32 v98, v102, v113
	;; [unrolled: 17-line block ×3, first 2 shown]
	ds_load_b128 v[112:115], v8 offset:128
	v_and_b32_e32 v116, 0xffff, v136
	s_waitcnt lgkmcnt(0)
	v_lshrrev_b32_e32 v102, 16, v112
	v_and_b32_e32 v103, 0xffff, v112
	v_and_b32_e32 v112, 0xffff, v137
	;;#ASMSTART
	v_cvt_f32_f16 v103, v103;
	;;#ASMEND
	;;#ASMSTART
	v_cvt_f32_f16 v102, v102;
	;;#ASMEND
	;; [unrolled: 3-line block ×4, first 2 shown]
	v_fmac_f32_e32 v82, v103, v112
	v_fmac_f32_e32 v87, v102, v116
	v_lshrrev_b32_e32 v102, 16, v113
	v_and_b32_e32 v103, 0xffff, v113
	v_and_b32_e32 v112, 0xffff, v123
	v_and_b32_e32 v113, 0xffff, v122
	;;#ASMSTART
	v_cvt_f32_f16 v103, v103;
	;;#ASMEND
	;;#ASMSTART
	v_cvt_f32_f16 v102, v102;
	;;#ASMEND
	;;#ASMSTART
	v_cvt_f32_f16 v112, v112;
	;;#ASMEND
	;;#ASMSTART
	v_cvt_f32_f16 v113, v113;
	;;#ASMEND
	v_dual_fmac_f32 v97, v103, v112 :: v_dual_fmac_f32 v96, v102, v113
	v_lshrrev_b32_e32 v102, 16, v114
	v_and_b32_e32 v103, 0xffff, v114
	v_and_b32_e32 v112, 0xffff, v62
	v_and_b32_e32 v113, 0xffff, v61
	;;#ASMSTART
	v_cvt_f32_f16 v103, v103;
	;;#ASMEND
	;;#ASMSTART
	v_cvt_f32_f16 v102, v102;
	;;#ASMEND
	;;#ASMSTART
	v_cvt_f32_f16 v112, v112;
	;;#ASMEND
	;;#ASMSTART
	v_cvt_f32_f16 v113, v113;
	;;#ASMEND
	v_dual_fmac_f32 v99, v103, v112 :: v_dual_fmac_f32 v98, v102, v113
	;; [unrolled: 17-line block ×3, first 2 shown]
	ds_load_b128 v[112:115], v8 offset:144
	v_and_b32_e32 v116, 0xffff, v140
	s_waitcnt lgkmcnt(0)
	v_lshrrev_b32_e32 v102, 16, v112
	v_and_b32_e32 v103, 0xffff, v112
	v_and_b32_e32 v112, 0xffff, v141
	;;#ASMSTART
	v_cvt_f32_f16 v103, v103;
	;;#ASMEND
	;;#ASMSTART
	v_cvt_f32_f16 v102, v102;
	;;#ASMEND
	;; [unrolled: 3-line block ×4, first 2 shown]
	v_fmac_f32_e32 v82, v103, v112
	v_fmac_f32_e32 v87, v102, v116
	v_lshrrev_b32_e32 v102, 16, v113
	v_and_b32_e32 v103, 0xffff, v113
	v_and_b32_e32 v112, 0xffff, v139
	v_and_b32_e32 v113, 0xffff, v138
	;;#ASMSTART
	v_cvt_f32_f16 v103, v103;
	;;#ASMEND
	;;#ASMSTART
	v_cvt_f32_f16 v102, v102;
	;;#ASMEND
	;;#ASMSTART
	v_cvt_f32_f16 v112, v112;
	;;#ASMEND
	;;#ASMSTART
	v_cvt_f32_f16 v113, v113;
	;;#ASMEND
	v_dual_fmac_f32 v97, v103, v112 :: v_dual_and_b32 v116, 0xffff, v126
	v_fmac_f32_e32 v96, v102, v113
	v_lshrrev_b32_e32 v102, 16, v114
	v_and_b32_e32 v103, 0xffff, v114
	v_and_b32_e32 v112, 0xffff, v109
	;; [unrolled: 1-line block ×3, first 2 shown]
	;;#ASMSTART
	v_cvt_f32_f16 v103, v103;
	;;#ASMEND
	;;#ASMSTART
	v_cvt_f32_f16 v102, v102;
	;;#ASMEND
	;; [unrolled: 3-line block ×4, first 2 shown]
	v_dual_fmac_f32 v99, v103, v112 :: v_dual_fmac_f32 v98, v102, v113
	v_lshrrev_b32_e32 v102, 16, v115
	v_and_b32_e32 v103, 0xffff, v115
	v_and_b32_e32 v112, 0xffff, v93
	;; [unrolled: 1-line block ×3, first 2 shown]
	;;#ASMSTART
	v_cvt_f32_f16 v103, v103;
	;;#ASMEND
	;;#ASMSTART
	v_cvt_f32_f16 v102, v102;
	;;#ASMEND
	;; [unrolled: 3-line block ×4, first 2 shown]
	v_dual_fmac_f32 v101, v103, v112 :: v_dual_fmac_f32 v100, v102, v113
	ds_load_b128 v[112:115], v8 offset:160
	s_waitcnt lgkmcnt(0)
	v_lshrrev_b32_e32 v102, 16, v112
	v_and_b32_e32 v103, 0xffff, v112
	v_and_b32_e32 v112, 0xffff, v127
	;;#ASMSTART
	v_cvt_f32_f16 v103, v103;
	;;#ASMEND
	;;#ASMSTART
	v_cvt_f32_f16 v102, v102;
	;;#ASMEND
	;; [unrolled: 3-line block ×4, first 2 shown]
	v_fmac_f32_e32 v82, v103, v112
	v_fmac_f32_e32 v87, v102, v116
	v_lshrrev_b32_e32 v102, 16, v113
	v_and_b32_e32 v103, 0xffff, v113
	v_and_b32_e32 v112, 0xffff, v125
	;; [unrolled: 1-line block ×3, first 2 shown]
	;;#ASMSTART
	v_cvt_f32_f16 v103, v103;
	;;#ASMEND
	;;#ASMSTART
	v_cvt_f32_f16 v102, v102;
	;;#ASMEND
	;; [unrolled: 3-line block ×4, first 2 shown]
	v_dual_fmac_f32 v97, v103, v112 :: v_dual_fmac_f32 v96, v102, v113
	v_lshrrev_b32_e32 v102, 16, v114
	v_and_b32_e32 v103, 0xffff, v114
	v_and_b32_e32 v112, 0xffff, v121
	;; [unrolled: 1-line block ×3, first 2 shown]
	;;#ASMSTART
	v_cvt_f32_f16 v103, v103;
	;;#ASMEND
	;;#ASMSTART
	v_cvt_f32_f16 v102, v102;
	;;#ASMEND
	;; [unrolled: 3-line block ×4, first 2 shown]
	v_dual_fmac_f32 v99, v103, v112 :: v_dual_and_b32 v116, 0xffff, v106
	v_fmac_f32_e32 v98, v102, v113
	v_lshrrev_b32_e32 v102, 16, v115
	v_and_b32_e32 v103, 0xffff, v115
	v_and_b32_e32 v112, 0xffff, v111
	;; [unrolled: 1-line block ×3, first 2 shown]
	;;#ASMSTART
	v_cvt_f32_f16 v103, v103;
	;;#ASMEND
	;;#ASMSTART
	v_cvt_f32_f16 v102, v102;
	;;#ASMEND
	;; [unrolled: 3-line block ×4, first 2 shown]
	v_dual_fmac_f32 v101, v103, v112 :: v_dual_fmac_f32 v100, v102, v113
	ds_load_b128 v[112:115], v8 offset:176
	s_waitcnt lgkmcnt(0)
	v_lshrrev_b32_e32 v102, 16, v112
	v_and_b32_e32 v103, 0xffff, v112
	v_and_b32_e32 v112, 0xffff, v107
	;;#ASMSTART
	v_cvt_f32_f16 v103, v103;
	;;#ASMEND
	;;#ASMSTART
	v_cvt_f32_f16 v102, v102;
	;;#ASMEND
	;;#ASMSTART
	v_cvt_f32_f16 v112, v112;
	;;#ASMEND
	;;#ASMSTART
	v_cvt_f32_f16 v116, v116;
	;;#ASMEND
	v_fmac_f32_e32 v82, v103, v112
	v_fmac_f32_e32 v87, v102, v116
	v_lshrrev_b32_e32 v102, 16, v113
	v_and_b32_e32 v103, 0xffff, v113
	v_and_b32_e32 v112, 0xffff, v105
	v_and_b32_e32 v113, 0xffff, v104
	;;#ASMSTART
	v_cvt_f32_f16 v103, v103;
	;;#ASMEND
	;;#ASMSTART
	v_cvt_f32_f16 v102, v102;
	;;#ASMEND
	;;#ASMSTART
	v_cvt_f32_f16 v112, v112;
	;;#ASMEND
	;;#ASMSTART
	v_cvt_f32_f16 v113, v113;
	;;#ASMEND
	v_dual_fmac_f32 v97, v103, v112 :: v_dual_fmac_f32 v96, v102, v113
	v_lshrrev_b32_e32 v102, 16, v114
	v_and_b32_e32 v103, 0xffff, v114
	v_and_b32_e32 v112, 0xffff, v95
	v_and_b32_e32 v113, 0xffff, v94
	;;#ASMSTART
	v_cvt_f32_f16 v103, v103;
	;;#ASMEND
	;;#ASMSTART
	v_cvt_f32_f16 v102, v102;
	;;#ASMEND
	;;#ASMSTART
	v_cvt_f32_f16 v112, v112;
	;;#ASMEND
	;;#ASMSTART
	v_cvt_f32_f16 v113, v113;
	;;#ASMEND
	v_dual_fmac_f32 v99, v103, v112 :: v_dual_fmac_f32 v98, v102, v113
	;; [unrolled: 17-line block ×3, first 2 shown]
	ds_load_b128 v[112:115], v8 offset:192
	v_and_b32_e32 v116, 0xffff, v88
	s_waitcnt lgkmcnt(0)
	v_lshrrev_b32_e32 v102, 16, v112
	v_and_b32_e32 v103, 0xffff, v112
	v_and_b32_e32 v112, 0xffff, v89
	;;#ASMSTART
	v_cvt_f32_f16 v103, v103;
	;;#ASMEND
	;;#ASMSTART
	v_cvt_f32_f16 v102, v102;
	;;#ASMEND
	;; [unrolled: 3-line block ×4, first 2 shown]
	v_fmac_f32_e32 v82, v103, v112
	v_dual_fmac_f32 v87, v102, v116 :: v_dual_and_b32 v112, 0xffff, v77
	v_lshrrev_b32_e32 v102, 16, v113
	v_and_b32_e32 v103, 0xffff, v113
	;;#ASMSTART
	v_cvt_f32_f16 v103, v103;
	;;#ASMEND
	;;#ASMSTART
	v_cvt_f32_f16 v102, v102;
	;;#ASMEND
	;; [unrolled: 3-line block ×3, first 2 shown]
	v_and_b32_e32 v113, 0xffff, v76
	;;#ASMSTART
	v_cvt_f32_f16 v113, v113;
	;;#ASMEND
	s_delay_alu instid0(VALU_DEP_1)
	v_dual_fmac_f32 v97, v103, v112 :: v_dual_fmac_f32 v96, v102, v113
	v_lshrrev_b32_e32 v102, 16, v114
	v_and_b32_e32 v103, 0xffff, v114
	v_and_b32_e32 v112, 0xffff, v75
	;;#ASMSTART
	v_cvt_f32_f16 v103, v103;
	;;#ASMEND
	;;#ASMSTART
	v_cvt_f32_f16 v102, v102;
	;;#ASMEND
	;; [unrolled: 3-line block ×3, first 2 shown]
	v_and_b32_e32 v113, 0xffff, v74
	;;#ASMSTART
	v_cvt_f32_f16 v113, v113;
	;;#ASMEND
	s_delay_alu instid0(VALU_DEP_1)
	v_dual_fmac_f32 v99, v103, v112 :: v_dual_fmac_f32 v98, v102, v113
	v_lshrrev_b32_e32 v102, 16, v115
	v_and_b32_e32 v103, 0xffff, v115
	v_and_b32_e32 v112, 0xffff, v73
	;;#ASMSTART
	v_cvt_f32_f16 v103, v103;
	;;#ASMEND
	;;#ASMSTART
	v_cvt_f32_f16 v102, v102;
	;;#ASMEND
	;; [unrolled: 3-line block ×4, first 2 shown]
	v_fmac_f32_e32 v101, v103, v112
	ds_load_b128 v[112:115], v8 offset:208
	v_fmac_f32_e32 v100, v102, v36
	s_waitcnt lgkmcnt(0)
	v_lshrrev_b32_e32 v36, 16, v112
	v_and_b32_e32 v102, 0xffff, v112
	;;#ASMSTART
	v_cvt_f32_f16 v102, v102;
	;;#ASMEND
	;;#ASMSTART
	v_cvt_f32_f16 v36, v36;
	;;#ASMEND
	;; [unrolled: 3-line block ×4, first 2 shown]
	v_fmac_f32_e32 v87, v36, v85
	v_lshrrev_b32_e32 v36, 16, v113
	v_dual_fmac_f32 v82, v102, v86 :: v_dual_and_b32 v85, 0xffff, v113
	;;#ASMSTART
	v_cvt_f32_f16 v85, v85;
	;;#ASMEND
	;;#ASMSTART
	v_cvt_f32_f16 v36, v36;
	;;#ASMEND
	;; [unrolled: 3-line block ×4, first 2 shown]
	v_fmac_f32_e32 v96, v36, v83
	v_lshrrev_b32_e32 v36, 16, v114
	v_and_b32_e32 v83, 0xffff, v114
	;;#ASMSTART
	v_cvt_f32_f16 v83, v83;
	;;#ASMEND
	;;#ASMSTART
	v_cvt_f32_f16 v36, v36;
	;;#ASMEND
	;; [unrolled: 3-line block ×4, first 2 shown]
	v_dual_fmac_f32 v99, v83, v35 :: v_dual_fmac_f32 v98, v36, v34
	v_lshrrev_b32_e32 v34, 16, v115
	v_and_b32_e32 v35, 0xffff, v115
	;;#ASMSTART
	v_cvt_f32_f16 v35, v35;
	;;#ASMEND
	;;#ASMSTART
	v_cvt_f32_f16 v34, v34;
	;;#ASMEND
	;; [unrolled: 3-line block ×4, first 2 shown]
	v_fmac_f32_e32 v97, v85, v84
	v_fmac_f32_e32 v100, v34, v32
	v_dual_add_f32 v32, v82, v87 :: v_dual_fmac_f32 v101, v35, v33
	s_delay_alu instid0(VALU_DEP_1) | instskip(NEXT) | instid1(VALU_DEP_1)
	v_add_f32_e32 v32, v32, v97
	v_add_f32_e32 v32, v96, v32
	s_delay_alu instid0(VALU_DEP_1) | instskip(NEXT) | instid1(VALU_DEP_1)
	v_add_f32_e32 v32, v32, v99
	v_add_f32_e32 v32, v98, v32
	;; [unrolled: 3-line block ×3, first 2 shown]
	s_delay_alu instid0(VALU_DEP_1) | instskip(NEXT) | instid1(VALU_DEP_1)
	v_fmac_f32_e32 v7, v32, v13
	v_cndmask_b32_e64 v32, 0, v7, s1
	ds_store_b32 v31, v32
	v_max_f32_e32 v31, v67, v67
	s_delay_alu instid0(VALU_DEP_1) | instskip(NEXT) | instid1(VALU_DEP_1)
	v_max_f32_e32 v7, v31, v7
	v_cndmask_b32_e64 v67, v67, v7, s1
.LBB348_15:                             ;   in Loop: Header=BB348_16 Depth=1
	s_or_b32 exec_lo, exec_lo, s2
	v_add_nc_u32_e32 v81, 4, v81
	v_add_co_u32 v28, s2, v28, 16
	s_delay_alu instid0(VALU_DEP_1) | instskip(NEXT) | instid1(VALU_DEP_3)
	v_add_co_ci_u32_e64 v29, s2, 0, v29, s2
	v_cmp_ge_i32_e64 s1, v81, v52
	v_add_nc_u32_e32 v9, 0x80, v9
	v_add_nc_u32_e32 v69, 0x200, v69
	s_delay_alu instid0(VALU_DEP_3) | instskip(NEXT) | instid1(SALU_CYCLE_1)
	s_or_b32 s20, s1, s20
	s_and_not1_b32 exec_lo, exec_lo, s20
	s_cbranch_execz .LBB348_912
.LBB348_16:                             ; =>This Inner Loop Header: Depth=1
	v_sub_nc_u32_e32 v7, 0, v9
	s_delay_alu instid0(VALU_DEP_1) | instskip(NEXT) | instid1(VALU_DEP_1)
	v_max_i32_e32 v7, v9, v7
	v_mul_hi_u32 v31, v7, v50
	s_delay_alu instid0(VALU_DEP_1) | instskip(NEXT) | instid1(VALU_DEP_1)
	v_mul_lo_u32 v32, v31, v49
	v_sub_nc_u32_e32 v7, v7, v32
	v_add_nc_u32_e32 v32, 1, v31
	s_delay_alu instid0(VALU_DEP_2) | instskip(SKIP_1) | instid1(VALU_DEP_1)
	v_sub_nc_u32_e32 v33, v7, v49
	v_cmp_ge_u32_e64 s1, v7, v49
	v_cndmask_b32_e64 v31, v31, v32, s1
	s_delay_alu instid0(VALU_DEP_3) | instskip(SKIP_1) | instid1(VALU_DEP_3)
	v_cndmask_b32_e64 v7, v7, v33, s1
	v_ashrrev_i32_e32 v32, 31, v9
	v_add_nc_u32_e32 v33, 1, v31
	s_delay_alu instid0(VALU_DEP_3) | instskip(NEXT) | instid1(VALU_DEP_3)
	v_cmp_ge_u32_e64 s1, v7, v49
	v_xor_b32_e32 v32, v32, v51
	s_delay_alu instid0(VALU_DEP_2) | instskip(NEXT) | instid1(VALU_DEP_1)
	v_cndmask_b32_e64 v7, v31, v33, s1
	v_xor_b32_e32 v7, v7, v32
	s_delay_alu instid0(VALU_DEP_1) | instskip(NEXT) | instid1(VALU_DEP_1)
	v_sub_nc_u32_e32 v7, v7, v32
	v_add_nc_u32_e32 v31, v7, v6
	v_cmp_le_i32_e64 s2, v7, v53
	s_delay_alu instid0(VALU_DEP_2) | instskip(NEXT) | instid1(VALU_DEP_1)
	v_sub_nc_u32_e32 v32, 0, v31
	v_max_i32_e32 v32, v31, v32
	v_ashrrev_i32_e32 v31, 31, v31
	s_delay_alu instid0(VALU_DEP_2) | instskip(NEXT) | instid1(VALU_DEP_1)
	v_mul_hi_u32 v33, v32, v80
	v_mul_lo_u32 v33, v33, v68
	s_delay_alu instid0(VALU_DEP_1) | instskip(NEXT) | instid1(VALU_DEP_1)
	v_sub_nc_u32_e32 v32, v32, v33
	v_sub_nc_u32_e32 v33, v32, v68
	v_cmp_ge_u32_e64 s1, v32, v68
	s_delay_alu instid0(VALU_DEP_1) | instskip(NEXT) | instid1(VALU_DEP_1)
	v_cndmask_b32_e64 v32, v32, v33, s1
	v_sub_nc_u32_e32 v33, v32, v68
	v_cmp_ge_u32_e64 s1, v32, v68
	s_delay_alu instid0(VALU_DEP_1) | instskip(NEXT) | instid1(VALU_DEP_1)
	v_cndmask_b32_e64 v32, v32, v33, s1
	v_xor_b32_e32 v32, v32, v31
	s_delay_alu instid0(VALU_DEP_1) | instskip(NEXT) | instid1(VALU_DEP_1)
	v_sub_nc_u32_e32 v31, v32, v31
	v_cmp_ne_u32_e64 s1, 0, v31
	s_delay_alu instid0(VALU_DEP_1) | instskip(NEXT) | instid1(SALU_CYCLE_1)
	s_and_b32 s1, s1, s2
	s_and_saveexec_b32 s2, s1
	s_delay_alu instid0(SALU_CYCLE_1)
	s_xor_b32 s1, exec_lo, s2
	s_cbranch_execz .LBB348_18
; %bb.17:                               ;   in Loop: Header=BB348_16 Depth=1
	s_waitcnt lgkmcnt(0)
	v_add_nc_u32_e32 v7, s7, v69
	ds_store_b32 v7, v70
.LBB348_18:                             ;   in Loop: Header=BB348_16 Depth=1
	s_and_not1_saveexec_b32 s2, s1
	s_cbranch_execz .LBB348_15
; %bb.19:                               ;   in Loop: Header=BB348_16 Depth=1
	flat_load_b32 v7, v[28:29]
	v_mov_b32_e32 v83, 0
	s_mov_b32 s21, exec_lo
	v_mov_b32_e32 v84, 0
	s_waitcnt vmcnt(0) lgkmcnt(0)
	v_mad_i64_i32 v[31:32], null, v7, v22, v[20:21]
	flat_load_b64 v[33:34], v[31:32]
	flat_load_b32 v82, v[24:25]
	s_waitcnt vmcnt(1) lgkmcnt(1)
	v_and_b32_e32 v7, 0xff, v33
	s_delay_alu instid0(VALU_DEP_1)
	v_cmpx_ne_u16_e32 0, v7
	s_cbranch_execz .LBB348_27
; %bb.20:                               ;   in Loop: Header=BB348_16 Depth=1
	v_bfrev_b32_e32 v83, 1
	s_mov_b32 s22, exec_lo
	v_cmpx_ne_u16_e32 0x80, v7
	s_cbranch_execz .LBB348_26
; %bb.21:                               ;   in Loop: Header=BB348_16 Depth=1
	v_and_b32_e32 v35, 0x7f, v33
	v_mov_b32_e32 v83, 0x7fc02000
	s_mov_b32 s23, exec_lo
	s_delay_alu instid0(VALU_DEP_2)
	v_cmpx_ne_u32_e32 0x7f, v35
	s_cbranch_execz .LBB348_25
; %bb.22:                               ;   in Loop: Header=BB348_16 Depth=1
	v_lshrrev_b32_e32 v7, 3, v35
	v_cmp_gt_u32_e64 s1, 8, v35
	v_dual_mov_b32 v36, v34 :: v_dual_mov_b32 v35, v33
	s_delay_alu instid0(VALU_DEP_2)
	s_and_saveexec_b32 s24, s1
; %bb.23:                               ;   in Loop: Header=BB348_16 Depth=1
	v_and_b32_e32 v7, 7, v33
	s_delay_alu instid0(VALU_DEP_1) | instskip(NEXT) | instid1(VALU_DEP_1)
	v_clz_i32_u32_e32 v7, v7
	v_min_u32_e32 v7, 32, v7
	s_delay_alu instid0(VALU_DEP_1) | instskip(SKIP_1) | instid1(VALU_DEP_2)
	v_subrev_nc_u32_e32 v35, 28, v7
	v_sub_nc_u32_e32 v7, 29, v7
	v_lshlrev_b64 v[35:36], v35, v[33:34]
; %bb.24:                               ;   in Loop: Header=BB348_16 Depth=1
	s_or_b32 exec_lo, exec_lo, s24
	v_lshlrev_b32_e32 v36, 8, v33
	s_delay_alu instid0(VALU_DEP_3) | instskip(NEXT) | instid1(VALU_DEP_3)
	v_lshl_add_u32 v7, v7, 10, 0x2000
	v_lshlrev_b32_e32 v35, 7, v35
	s_delay_alu instid0(VALU_DEP_2) | instskip(NEXT) | instid1(VALU_DEP_1)
	v_and_or_b32 v7, 0x8000, v36, v7
	v_and_or_b32 v7, 0x380, v35, v7
	s_delay_alu instid0(VALU_DEP_1)
	v_cvt_f32_f16_e32 v83, v7
.LBB348_25:                             ;   in Loop: Header=BB348_16 Depth=1
	s_or_b32 exec_lo, exec_lo, s23
.LBB348_26:                             ;   in Loop: Header=BB348_16 Depth=1
	s_delay_alu instid0(SALU_CYCLE_1)
	s_or_b32 exec_lo, exec_lo, s22
.LBB348_27:                             ;   in Loop: Header=BB348_16 Depth=1
	s_delay_alu instid0(SALU_CYCLE_1) | instskip(SKIP_2) | instid1(VALU_DEP_1)
	s_or_b32 exec_lo, exec_lo, s21
	v_lshrrev_b16 v7, 8, v33
	s_mov_b32 s21, exec_lo
	v_cmpx_ne_u16_e32 0, v7
	s_cbranch_execz .LBB348_35
; %bb.28:                               ;   in Loop: Header=BB348_16 Depth=1
	v_bfrev_b32_e32 v84, 1
	s_mov_b32 s22, exec_lo
	v_cmpx_ne_u16_e32 0x80, v7
	s_cbranch_execz .LBB348_34
; %bb.29:                               ;   in Loop: Header=BB348_16 Depth=1
	v_and_b32_e32 v85, 0xffff, v7
	v_mov_b32_e32 v84, 0x7fc02000
	s_mov_b32 s23, exec_lo
	s_delay_alu instid0(VALU_DEP_2) | instskip(NEXT) | instid1(VALU_DEP_1)
	v_and_b32_e32 v35, 0x7f, v85
	v_cmpx_ne_u32_e32 0x7f, v35
	s_cbranch_execz .LBB348_33
; %bb.30:                               ;   in Loop: Header=BB348_16 Depth=1
	v_and_b32_e32 v7, 7, v85
	v_lshrrev_b32_e32 v84, 3, v35
	v_cmp_gt_u32_e64 s1, 8, v35
	s_delay_alu instid0(VALU_DEP_3) | instskip(NEXT) | instid1(VALU_DEP_2)
	v_dual_mov_b32 v36, v8 :: v_dual_mov_b32 v35, v7
	s_and_saveexec_b32 s24, s1
; %bb.31:                               ;   in Loop: Header=BB348_16 Depth=1
	v_clz_i32_u32_e32 v35, v7
	s_delay_alu instid0(VALU_DEP_1) | instskip(NEXT) | instid1(VALU_DEP_1)
	v_min_u32_e32 v84, 32, v35
	v_subrev_nc_u32_e32 v35, 28, v84
	v_sub_nc_u32_e32 v84, 29, v84
	s_delay_alu instid0(VALU_DEP_2) | instskip(NEXT) | instid1(VALU_DEP_1)
	v_lshlrev_b64 v[35:36], v35, v[7:8]
	v_and_b32_e32 v35, 7, v35
; %bb.32:                               ;   in Loop: Header=BB348_16 Depth=1
	s_or_b32 exec_lo, exec_lo, s24
	v_lshlrev_b32_e32 v7, 8, v85
	v_lshl_add_u32 v36, v84, 10, 0x2000
	s_delay_alu instid0(VALU_DEP_1) | instskip(NEXT) | instid1(VALU_DEP_1)
	v_and_or_b32 v7, 0x8000, v7, v36
	v_lshl_or_b32 v7, v35, 7, v7
	s_delay_alu instid0(VALU_DEP_1)
	v_cvt_f32_f16_e32 v84, v7
.LBB348_33:                             ;   in Loop: Header=BB348_16 Depth=1
	s_or_b32 exec_lo, exec_lo, s23
.LBB348_34:                             ;   in Loop: Header=BB348_16 Depth=1
	s_delay_alu instid0(SALU_CYCLE_1)
	s_or_b32 exec_lo, exec_lo, s22
.LBB348_35:                             ;   in Loop: Header=BB348_16 Depth=1
	s_delay_alu instid0(SALU_CYCLE_1) | instskip(SKIP_3) | instid1(VALU_DEP_2)
	s_or_b32 exec_lo, exec_lo, s21
	v_lshrrev_b32_e32 v87, 16, v33
	v_mov_b32_e32 v85, 0
	s_mov_b32 s21, exec_lo
	v_dual_mov_b32 v86, 0 :: v_dual_and_b32 v7, 0xff, v87
	s_delay_alu instid0(VALU_DEP_1)
	v_cmpx_ne_u16_e32 0, v7
	s_cbranch_execz .LBB348_43
; %bb.36:                               ;   in Loop: Header=BB348_16 Depth=1
	v_bfrev_b32_e32 v85, 1
	s_mov_b32 s22, exec_lo
	v_cmpx_ne_u16_e32 0x80, v7
	s_cbranch_execz .LBB348_42
; %bb.37:                               ;   in Loop: Header=BB348_16 Depth=1
	v_bfe_u32 v35, v33, 16, 7
	v_mov_b32_e32 v85, 0x7fc02000
	s_mov_b32 s23, exec_lo
	s_delay_alu instid0(VALU_DEP_2)
	v_cmpx_ne_u32_e32 0x7f, v35
	s_cbranch_execz .LBB348_41
; %bb.38:                               ;   in Loop: Header=BB348_16 Depth=1
	v_and_b32_e32 v7, 7, v87
	v_lshrrev_b32_e32 v85, 3, v35
	v_cmp_gt_u32_e64 s1, 8, v35
	s_delay_alu instid0(VALU_DEP_3) | instskip(NEXT) | instid1(VALU_DEP_2)
	v_dual_mov_b32 v36, v8 :: v_dual_mov_b32 v35, v7
	s_and_saveexec_b32 s24, s1
; %bb.39:                               ;   in Loop: Header=BB348_16 Depth=1
	v_clz_i32_u32_e32 v35, v7
	s_delay_alu instid0(VALU_DEP_1) | instskip(NEXT) | instid1(VALU_DEP_1)
	v_min_u32_e32 v85, 32, v35
	v_subrev_nc_u32_e32 v35, 28, v85
	v_sub_nc_u32_e32 v85, 29, v85
	s_delay_alu instid0(VALU_DEP_2) | instskip(NEXT) | instid1(VALU_DEP_1)
	v_lshlrev_b64 v[35:36], v35, v[7:8]
	v_and_b32_e32 v35, 7, v35
; %bb.40:                               ;   in Loop: Header=BB348_16 Depth=1
	s_or_b32 exec_lo, exec_lo, s24
	v_lshlrev_b32_e32 v7, 8, v87
	v_lshl_add_u32 v36, v85, 10, 0x2000
	s_delay_alu instid0(VALU_DEP_1) | instskip(NEXT) | instid1(VALU_DEP_1)
	v_and_or_b32 v7, 0x8000, v7, v36
	v_lshl_or_b32 v7, v35, 7, v7
	s_delay_alu instid0(VALU_DEP_1)
	v_cvt_f32_f16_e32 v85, v7
.LBB348_41:                             ;   in Loop: Header=BB348_16 Depth=1
	s_or_b32 exec_lo, exec_lo, s23
.LBB348_42:                             ;   in Loop: Header=BB348_16 Depth=1
	s_delay_alu instid0(SALU_CYCLE_1)
	s_or_b32 exec_lo, exec_lo, s22
.LBB348_43:                             ;   in Loop: Header=BB348_16 Depth=1
	s_delay_alu instid0(SALU_CYCLE_1) | instskip(NEXT) | instid1(SALU_CYCLE_1)
	s_or_b32 exec_lo, exec_lo, s21
	s_mov_b32 s21, exec_lo
	v_cmpx_lt_u32_e32 0xffffff, v33
	s_cbranch_execz .LBB348_51
; %bb.44:                               ;   in Loop: Header=BB348_16 Depth=1
	v_lshrrev_b32_e32 v87, 24, v33
	v_bfrev_b32_e32 v86, 1
	s_mov_b32 s22, exec_lo
	s_delay_alu instid0(VALU_DEP_2)
	v_cmpx_ne_u32_e32 0x80, v87
	s_cbranch_execz .LBB348_50
; %bb.45:                               ;   in Loop: Header=BB348_16 Depth=1
	v_and_b32_e32 v35, 0x7f, v87
	v_mov_b32_e32 v86, 0x7fc02000
	s_mov_b32 s23, exec_lo
	s_delay_alu instid0(VALU_DEP_2)
	v_cmpx_ne_u32_e32 0x7f, v35
	s_cbranch_execz .LBB348_49
; %bb.46:                               ;   in Loop: Header=BB348_16 Depth=1
	v_and_b32_e32 v7, 7, v87
	v_lshrrev_b32_e32 v86, 3, v35
	v_cmp_gt_u32_e64 s1, 8, v35
	s_delay_alu instid0(VALU_DEP_3) | instskip(NEXT) | instid1(VALU_DEP_2)
	v_dual_mov_b32 v36, v8 :: v_dual_mov_b32 v35, v7
	s_and_saveexec_b32 s24, s1
; %bb.47:                               ;   in Loop: Header=BB348_16 Depth=1
	v_clz_i32_u32_e32 v35, v7
	s_delay_alu instid0(VALU_DEP_1) | instskip(NEXT) | instid1(VALU_DEP_1)
	v_min_u32_e32 v86, 32, v35
	v_subrev_nc_u32_e32 v35, 28, v86
	v_sub_nc_u32_e32 v86, 29, v86
	s_delay_alu instid0(VALU_DEP_2) | instskip(NEXT) | instid1(VALU_DEP_1)
	v_lshlrev_b64 v[35:36], v35, v[7:8]
	v_and_b32_e32 v35, 7, v35
; %bb.48:                               ;   in Loop: Header=BB348_16 Depth=1
	s_or_b32 exec_lo, exec_lo, s24
	v_lshlrev_b32_e32 v7, 8, v87
	v_lshl_add_u32 v36, v86, 10, 0x2000
	s_delay_alu instid0(VALU_DEP_1) | instskip(NEXT) | instid1(VALU_DEP_1)
	v_and_or_b32 v7, 0x8000, v7, v36
	v_lshl_or_b32 v7, v35, 7, v7
	s_delay_alu instid0(VALU_DEP_1)
	v_cvt_f32_f16_e32 v86, v7
.LBB348_49:                             ;   in Loop: Header=BB348_16 Depth=1
	s_or_b32 exec_lo, exec_lo, s23
.LBB348_50:                             ;   in Loop: Header=BB348_16 Depth=1
	s_delay_alu instid0(SALU_CYCLE_1)
	s_or_b32 exec_lo, exec_lo, s22
.LBB348_51:                             ;   in Loop: Header=BB348_16 Depth=1
	s_delay_alu instid0(SALU_CYCLE_1) | instskip(SKIP_4) | instid1(VALU_DEP_3)
	s_or_b32 exec_lo, exec_lo, s21
	v_dual_mov_b32 v96, 0 :: v_dual_and_b32 v35, 0xff, v34
	v_mov_b32_e32 v7, v34
	v_mov_b32_e32 v87, 0
	s_mov_b32 s21, exec_lo
	v_cmpx_ne_u16_e32 0, v35
	s_cbranch_execz .LBB348_59
; %bb.52:                               ;   in Loop: Header=BB348_16 Depth=1
	v_bfrev_b32_e32 v87, 1
	s_mov_b32 s22, exec_lo
	v_cmpx_ne_u16_e32 0x80, v35
	s_cbranch_execz .LBB348_58
; %bb.53:                               ;   in Loop: Header=BB348_16 Depth=1
	v_and_b32_e32 v35, 0x7f, v34
	v_mov_b32_e32 v87, 0x7fc02000
	s_mov_b32 s23, exec_lo
	s_delay_alu instid0(VALU_DEP_2)
	v_cmpx_ne_u32_e32 0x7f, v35
	s_cbranch_execz .LBB348_57
; %bb.54:                               ;   in Loop: Header=BB348_16 Depth=1
	v_lshrrev_b32_e32 v87, 3, v35
	v_cmp_gt_u32_e64 s1, 8, v35
	v_dual_mov_b32 v36, v8 :: v_dual_mov_b32 v35, v7
	s_delay_alu instid0(VALU_DEP_2)
	s_and_saveexec_b32 s24, s1
; %bb.55:                               ;   in Loop: Header=BB348_16 Depth=1
	v_and_b32_e32 v35, 7, v34
	s_delay_alu instid0(VALU_DEP_1) | instskip(NEXT) | instid1(VALU_DEP_1)
	v_clz_i32_u32_e32 v35, v35
	v_min_u32_e32 v87, 32, v35
	s_delay_alu instid0(VALU_DEP_1) | instskip(SKIP_1) | instid1(VALU_DEP_2)
	v_subrev_nc_u32_e32 v35, 28, v87
	v_sub_nc_u32_e32 v87, 29, v87
	v_lshlrev_b64 v[35:36], v35, v[7:8]
; %bb.56:                               ;   in Loop: Header=BB348_16 Depth=1
	s_or_b32 exec_lo, exec_lo, s24
	v_lshlrev_b32_e32 v36, 8, v34
	s_delay_alu instid0(VALU_DEP_3) | instskip(NEXT) | instid1(VALU_DEP_3)
	v_lshl_add_u32 v87, v87, 10, 0x2000
	v_lshlrev_b32_e32 v35, 7, v35
	s_delay_alu instid0(VALU_DEP_2) | instskip(NEXT) | instid1(VALU_DEP_1)
	v_and_or_b32 v36, 0x8000, v36, v87
	v_and_or_b32 v35, 0x380, v35, v36
	s_delay_alu instid0(VALU_DEP_1)
	v_cvt_f32_f16_e32 v87, v35
.LBB348_57:                             ;   in Loop: Header=BB348_16 Depth=1
	s_or_b32 exec_lo, exec_lo, s23
.LBB348_58:                             ;   in Loop: Header=BB348_16 Depth=1
	s_delay_alu instid0(SALU_CYCLE_1)
	s_or_b32 exec_lo, exec_lo, s22
.LBB348_59:                             ;   in Loop: Header=BB348_16 Depth=1
	s_delay_alu instid0(SALU_CYCLE_1) | instskip(SKIP_2) | instid1(VALU_DEP_1)
	s_or_b32 exec_lo, exec_lo, s21
	v_lshrrev_b16 v7, 8, v7
	s_mov_b32 s21, exec_lo
	v_cmpx_ne_u16_e32 0, v7
	s_cbranch_execz .LBB348_67
; %bb.60:                               ;   in Loop: Header=BB348_16 Depth=1
	v_bfrev_b32_e32 v96, 1
	s_mov_b32 s22, exec_lo
	v_cmpx_ne_u16_e32 0x80, v7
	s_cbranch_execz .LBB348_66
; %bb.61:                               ;   in Loop: Header=BB348_16 Depth=1
	v_and_b32_e32 v97, 0xffff, v7
	v_mov_b32_e32 v96, 0x7fc02000
	s_mov_b32 s23, exec_lo
	s_delay_alu instid0(VALU_DEP_2) | instskip(NEXT) | instid1(VALU_DEP_1)
	v_and_b32_e32 v35, 0x7f, v97
	v_cmpx_ne_u32_e32 0x7f, v35
	s_cbranch_execz .LBB348_65
; %bb.62:                               ;   in Loop: Header=BB348_16 Depth=1
	v_and_b32_e32 v7, 7, v97
	v_lshrrev_b32_e32 v96, 3, v35
	v_cmp_gt_u32_e64 s1, 8, v35
	s_delay_alu instid0(VALU_DEP_3) | instskip(NEXT) | instid1(VALU_DEP_2)
	v_dual_mov_b32 v36, v8 :: v_dual_mov_b32 v35, v7
	s_and_saveexec_b32 s24, s1
; %bb.63:                               ;   in Loop: Header=BB348_16 Depth=1
	v_clz_i32_u32_e32 v35, v7
	s_delay_alu instid0(VALU_DEP_1) | instskip(NEXT) | instid1(VALU_DEP_1)
	v_min_u32_e32 v96, 32, v35
	v_subrev_nc_u32_e32 v35, 28, v96
	v_sub_nc_u32_e32 v96, 29, v96
	s_delay_alu instid0(VALU_DEP_2) | instskip(NEXT) | instid1(VALU_DEP_1)
	v_lshlrev_b64 v[35:36], v35, v[7:8]
	v_and_b32_e32 v35, 7, v35
; %bb.64:                               ;   in Loop: Header=BB348_16 Depth=1
	s_or_b32 exec_lo, exec_lo, s24
	v_lshlrev_b32_e32 v7, 8, v97
	v_lshl_add_u32 v36, v96, 10, 0x2000
	s_delay_alu instid0(VALU_DEP_1) | instskip(NEXT) | instid1(VALU_DEP_1)
	v_and_or_b32 v7, 0x8000, v7, v36
	v_lshl_or_b32 v7, v35, 7, v7
	s_delay_alu instid0(VALU_DEP_1)
	v_cvt_f32_f16_e32 v96, v7
.LBB348_65:                             ;   in Loop: Header=BB348_16 Depth=1
	s_or_b32 exec_lo, exec_lo, s23
.LBB348_66:                             ;   in Loop: Header=BB348_16 Depth=1
	s_delay_alu instid0(SALU_CYCLE_1)
	s_or_b32 exec_lo, exec_lo, s22
.LBB348_67:                             ;   in Loop: Header=BB348_16 Depth=1
	s_delay_alu instid0(SALU_CYCLE_1) | instskip(SKIP_3) | instid1(VALU_DEP_2)
	s_or_b32 exec_lo, exec_lo, s21
	v_lshrrev_b32_e32 v99, 16, v34
	v_mov_b32_e32 v97, 0
	s_mov_b32 s21, exec_lo
	v_dual_mov_b32 v98, 0 :: v_dual_and_b32 v7, 0xff, v99
	s_delay_alu instid0(VALU_DEP_1)
	v_cmpx_ne_u16_e32 0, v7
	s_cbranch_execz .LBB348_75
; %bb.68:                               ;   in Loop: Header=BB348_16 Depth=1
	v_bfrev_b32_e32 v98, 1
	s_mov_b32 s22, exec_lo
	v_cmpx_ne_u16_e32 0x80, v7
	s_cbranch_execz .LBB348_74
; %bb.69:                               ;   in Loop: Header=BB348_16 Depth=1
	v_bfe_u32 v35, v34, 16, 7
	v_mov_b32_e32 v98, 0x7fc02000
	s_mov_b32 s23, exec_lo
	s_delay_alu instid0(VALU_DEP_2)
	v_cmpx_ne_u32_e32 0x7f, v35
	s_cbranch_execz .LBB348_73
; %bb.70:                               ;   in Loop: Header=BB348_16 Depth=1
	v_and_b32_e32 v7, 7, v99
	v_lshrrev_b32_e32 v98, 3, v35
	v_cmp_gt_u32_e64 s1, 8, v35
	s_delay_alu instid0(VALU_DEP_3) | instskip(NEXT) | instid1(VALU_DEP_2)
	v_dual_mov_b32 v36, v8 :: v_dual_mov_b32 v35, v7
	s_and_saveexec_b32 s24, s1
; %bb.71:                               ;   in Loop: Header=BB348_16 Depth=1
	v_clz_i32_u32_e32 v35, v7
	s_delay_alu instid0(VALU_DEP_1) | instskip(NEXT) | instid1(VALU_DEP_1)
	v_min_u32_e32 v98, 32, v35
	v_subrev_nc_u32_e32 v35, 28, v98
	v_sub_nc_u32_e32 v98, 29, v98
	s_delay_alu instid0(VALU_DEP_2) | instskip(NEXT) | instid1(VALU_DEP_1)
	v_lshlrev_b64 v[35:36], v35, v[7:8]
	v_and_b32_e32 v35, 7, v35
; %bb.72:                               ;   in Loop: Header=BB348_16 Depth=1
	s_or_b32 exec_lo, exec_lo, s24
	v_lshlrev_b32_e32 v7, 8, v99
	v_lshl_add_u32 v36, v98, 10, 0x2000
	s_delay_alu instid0(VALU_DEP_1) | instskip(NEXT) | instid1(VALU_DEP_1)
	v_and_or_b32 v7, 0x8000, v7, v36
	v_lshl_or_b32 v7, v35, 7, v7
	s_delay_alu instid0(VALU_DEP_1)
	v_cvt_f32_f16_e32 v98, v7
.LBB348_73:                             ;   in Loop: Header=BB348_16 Depth=1
	s_or_b32 exec_lo, exec_lo, s23
.LBB348_74:                             ;   in Loop: Header=BB348_16 Depth=1
	s_delay_alu instid0(SALU_CYCLE_1)
	s_or_b32 exec_lo, exec_lo, s22
.LBB348_75:                             ;   in Loop: Header=BB348_16 Depth=1
	s_delay_alu instid0(SALU_CYCLE_1) | instskip(NEXT) | instid1(SALU_CYCLE_1)
	s_or_b32 exec_lo, exec_lo, s21
	s_mov_b32 s21, exec_lo
	v_cmpx_lt_u64_e64 s[8:9], v[33:34]
	s_cbranch_execz .LBB348_83
; %bb.76:                               ;   in Loop: Header=BB348_16 Depth=1
	v_lshrrev_b32_e32 v35, 24, v34
	v_bfrev_b32_e32 v97, 1
	s_mov_b32 s22, exec_lo
	s_delay_alu instid0(VALU_DEP_2)
	v_cmpx_ne_u32_e32 0x80, v35
	s_cbranch_execz .LBB348_82
; %bb.77:                               ;   in Loop: Header=BB348_16 Depth=1
	v_and_b32_e32 v33, 0x7f, v35
	v_mov_b32_e32 v97, 0x7fc02000
	s_mov_b32 s23, exec_lo
	s_delay_alu instid0(VALU_DEP_2)
	v_cmpx_ne_u32_e32 0x7f, v33
	s_cbranch_execz .LBB348_81
; %bb.78:                               ;   in Loop: Header=BB348_16 Depth=1
	v_and_b32_e32 v7, 7, v35
	v_lshrrev_b32_e32 v36, 3, v33
	v_cmp_gt_u32_e64 s1, 8, v33
	s_delay_alu instid0(VALU_DEP_3) | instskip(NEXT) | instid1(VALU_DEP_2)
	v_dual_mov_b32 v34, v8 :: v_dual_mov_b32 v33, v7
	s_and_saveexec_b32 s24, s1
; %bb.79:                               ;   in Loop: Header=BB348_16 Depth=1
	v_clz_i32_u32_e32 v33, v7
	s_delay_alu instid0(VALU_DEP_1) | instskip(NEXT) | instid1(VALU_DEP_1)
	v_min_u32_e32 v36, 32, v33
	v_subrev_nc_u32_e32 v33, 28, v36
	v_sub_nc_u32_e32 v36, 29, v36
	s_delay_alu instid0(VALU_DEP_2) | instskip(NEXT) | instid1(VALU_DEP_1)
	v_lshlrev_b64 v[33:34], v33, v[7:8]
	v_and_b32_e32 v33, 7, v33
; %bb.80:                               ;   in Loop: Header=BB348_16 Depth=1
	s_or_b32 exec_lo, exec_lo, s24
	v_lshlrev_b32_e32 v7, 8, v35
	v_lshl_add_u32 v34, v36, 10, 0x2000
	s_delay_alu instid0(VALU_DEP_1) | instskip(NEXT) | instid1(VALU_DEP_1)
	v_and_or_b32 v7, 0x8000, v7, v34
	v_lshl_or_b32 v7, v33, 7, v7
	s_delay_alu instid0(VALU_DEP_1)
	v_cvt_f32_f16_e32 v97, v7
.LBB348_81:                             ;   in Loop: Header=BB348_16 Depth=1
	s_or_b32 exec_lo, exec_lo, s23
.LBB348_82:                             ;   in Loop: Header=BB348_16 Depth=1
	s_delay_alu instid0(SALU_CYCLE_1)
	s_or_b32 exec_lo, exec_lo, s22
.LBB348_83:                             ;   in Loop: Header=BB348_16 Depth=1
	s_delay_alu instid0(SALU_CYCLE_1)
	s_or_b32 exec_lo, exec_lo, s21
	flat_load_b64 v[33:34], v[31:32] offset:8
	v_mov_b32_e32 v99, 0
	s_mov_b32 s21, exec_lo
	s_waitcnt vmcnt(0) lgkmcnt(0)
	v_dual_mov_b32 v100, 0 :: v_dual_and_b32 v7, 0xff, v33
	s_delay_alu instid0(VALU_DEP_1)
	v_cmpx_ne_u16_e32 0, v7
	s_cbranch_execz .LBB348_91
; %bb.84:                               ;   in Loop: Header=BB348_16 Depth=1
	v_bfrev_b32_e32 v99, 1
	s_mov_b32 s22, exec_lo
	v_cmpx_ne_u16_e32 0x80, v7
	s_cbranch_execz .LBB348_90
; %bb.85:                               ;   in Loop: Header=BB348_16 Depth=1
	v_and_b32_e32 v35, 0x7f, v33
	v_mov_b32_e32 v99, 0x7fc02000
	s_mov_b32 s23, exec_lo
	s_delay_alu instid0(VALU_DEP_2)
	v_cmpx_ne_u32_e32 0x7f, v35
	s_cbranch_execz .LBB348_89
; %bb.86:                               ;   in Loop: Header=BB348_16 Depth=1
	v_lshrrev_b32_e32 v7, 3, v35
	v_cmp_gt_u32_e64 s1, 8, v35
	v_dual_mov_b32 v36, v34 :: v_dual_mov_b32 v35, v33
	s_delay_alu instid0(VALU_DEP_2)
	s_and_saveexec_b32 s24, s1
; %bb.87:                               ;   in Loop: Header=BB348_16 Depth=1
	v_and_b32_e32 v7, 7, v33
	s_delay_alu instid0(VALU_DEP_1) | instskip(NEXT) | instid1(VALU_DEP_1)
	v_clz_i32_u32_e32 v7, v7
	v_min_u32_e32 v7, 32, v7
	s_delay_alu instid0(VALU_DEP_1) | instskip(SKIP_1) | instid1(VALU_DEP_2)
	v_subrev_nc_u32_e32 v35, 28, v7
	v_sub_nc_u32_e32 v7, 29, v7
	v_lshlrev_b64 v[35:36], v35, v[33:34]
; %bb.88:                               ;   in Loop: Header=BB348_16 Depth=1
	s_or_b32 exec_lo, exec_lo, s24
	v_lshlrev_b32_e32 v36, 8, v33
	s_delay_alu instid0(VALU_DEP_3) | instskip(NEXT) | instid1(VALU_DEP_3)
	v_lshl_add_u32 v7, v7, 10, 0x2000
	v_lshlrev_b32_e32 v35, 7, v35
	s_delay_alu instid0(VALU_DEP_2) | instskip(NEXT) | instid1(VALU_DEP_1)
	v_and_or_b32 v7, 0x8000, v36, v7
	v_and_or_b32 v7, 0x380, v35, v7
	s_delay_alu instid0(VALU_DEP_1)
	v_cvt_f32_f16_e32 v99, v7
.LBB348_89:                             ;   in Loop: Header=BB348_16 Depth=1
	s_or_b32 exec_lo, exec_lo, s23
.LBB348_90:                             ;   in Loop: Header=BB348_16 Depth=1
	s_delay_alu instid0(SALU_CYCLE_1)
	s_or_b32 exec_lo, exec_lo, s22
.LBB348_91:                             ;   in Loop: Header=BB348_16 Depth=1
	s_delay_alu instid0(SALU_CYCLE_1) | instskip(SKIP_2) | instid1(VALU_DEP_1)
	s_or_b32 exec_lo, exec_lo, s21
	v_lshrrev_b16 v7, 8, v33
	s_mov_b32 s21, exec_lo
	v_cmpx_ne_u16_e32 0, v7
	s_cbranch_execz .LBB348_99
; %bb.92:                               ;   in Loop: Header=BB348_16 Depth=1
	v_bfrev_b32_e32 v100, 1
	s_mov_b32 s22, exec_lo
	v_cmpx_ne_u16_e32 0x80, v7
	s_cbranch_execz .LBB348_98
; %bb.93:                               ;   in Loop: Header=BB348_16 Depth=1
	v_and_b32_e32 v101, 0xffff, v7
	v_mov_b32_e32 v100, 0x7fc02000
	s_mov_b32 s23, exec_lo
	s_delay_alu instid0(VALU_DEP_2) | instskip(NEXT) | instid1(VALU_DEP_1)
	v_and_b32_e32 v35, 0x7f, v101
	v_cmpx_ne_u32_e32 0x7f, v35
	s_cbranch_execz .LBB348_97
; %bb.94:                               ;   in Loop: Header=BB348_16 Depth=1
	v_and_b32_e32 v7, 7, v101
	v_lshrrev_b32_e32 v100, 3, v35
	v_cmp_gt_u32_e64 s1, 8, v35
	s_delay_alu instid0(VALU_DEP_3) | instskip(NEXT) | instid1(VALU_DEP_2)
	v_dual_mov_b32 v36, v8 :: v_dual_mov_b32 v35, v7
	s_and_saveexec_b32 s24, s1
; %bb.95:                               ;   in Loop: Header=BB348_16 Depth=1
	v_clz_i32_u32_e32 v35, v7
	s_delay_alu instid0(VALU_DEP_1) | instskip(NEXT) | instid1(VALU_DEP_1)
	v_min_u32_e32 v100, 32, v35
	v_subrev_nc_u32_e32 v35, 28, v100
	v_sub_nc_u32_e32 v100, 29, v100
	s_delay_alu instid0(VALU_DEP_2) | instskip(NEXT) | instid1(VALU_DEP_1)
	v_lshlrev_b64 v[35:36], v35, v[7:8]
	v_and_b32_e32 v35, 7, v35
; %bb.96:                               ;   in Loop: Header=BB348_16 Depth=1
	s_or_b32 exec_lo, exec_lo, s24
	v_lshlrev_b32_e32 v7, 8, v101
	v_lshl_add_u32 v36, v100, 10, 0x2000
	s_delay_alu instid0(VALU_DEP_1) | instskip(NEXT) | instid1(VALU_DEP_1)
	v_and_or_b32 v7, 0x8000, v7, v36
	v_lshl_or_b32 v7, v35, 7, v7
	s_delay_alu instid0(VALU_DEP_1)
	v_cvt_f32_f16_e32 v100, v7
.LBB348_97:                             ;   in Loop: Header=BB348_16 Depth=1
	s_or_b32 exec_lo, exec_lo, s23
.LBB348_98:                             ;   in Loop: Header=BB348_16 Depth=1
	s_delay_alu instid0(SALU_CYCLE_1)
	s_or_b32 exec_lo, exec_lo, s22
.LBB348_99:                             ;   in Loop: Header=BB348_16 Depth=1
	s_delay_alu instid0(SALU_CYCLE_1) | instskip(SKIP_3) | instid1(VALU_DEP_2)
	s_or_b32 exec_lo, exec_lo, s21
	v_lshrrev_b32_e32 v103, 16, v33
	v_mov_b32_e32 v101, 0
	s_mov_b32 s21, exec_lo
	v_dual_mov_b32 v102, 0 :: v_dual_and_b32 v7, 0xff, v103
	s_delay_alu instid0(VALU_DEP_1)
	v_cmpx_ne_u16_e32 0, v7
	s_cbranch_execz .LBB348_107
; %bb.100:                              ;   in Loop: Header=BB348_16 Depth=1
	v_bfrev_b32_e32 v101, 1
	s_mov_b32 s22, exec_lo
	v_cmpx_ne_u16_e32 0x80, v7
	s_cbranch_execz .LBB348_106
; %bb.101:                              ;   in Loop: Header=BB348_16 Depth=1
	v_bfe_u32 v35, v33, 16, 7
	v_mov_b32_e32 v101, 0x7fc02000
	s_mov_b32 s23, exec_lo
	s_delay_alu instid0(VALU_DEP_2)
	v_cmpx_ne_u32_e32 0x7f, v35
	s_cbranch_execz .LBB348_105
; %bb.102:                              ;   in Loop: Header=BB348_16 Depth=1
	v_and_b32_e32 v7, 7, v103
	v_lshrrev_b32_e32 v101, 3, v35
	v_cmp_gt_u32_e64 s1, 8, v35
	s_delay_alu instid0(VALU_DEP_3) | instskip(NEXT) | instid1(VALU_DEP_2)
	v_dual_mov_b32 v36, v8 :: v_dual_mov_b32 v35, v7
	s_and_saveexec_b32 s24, s1
; %bb.103:                              ;   in Loop: Header=BB348_16 Depth=1
	v_clz_i32_u32_e32 v35, v7
	s_delay_alu instid0(VALU_DEP_1) | instskip(NEXT) | instid1(VALU_DEP_1)
	v_min_u32_e32 v101, 32, v35
	v_subrev_nc_u32_e32 v35, 28, v101
	v_sub_nc_u32_e32 v101, 29, v101
	s_delay_alu instid0(VALU_DEP_2) | instskip(NEXT) | instid1(VALU_DEP_1)
	v_lshlrev_b64 v[35:36], v35, v[7:8]
	v_and_b32_e32 v35, 7, v35
; %bb.104:                              ;   in Loop: Header=BB348_16 Depth=1
	s_or_b32 exec_lo, exec_lo, s24
	v_lshlrev_b32_e32 v7, 8, v103
	v_lshl_add_u32 v36, v101, 10, 0x2000
	s_delay_alu instid0(VALU_DEP_1) | instskip(NEXT) | instid1(VALU_DEP_1)
	v_and_or_b32 v7, 0x8000, v7, v36
	v_lshl_or_b32 v7, v35, 7, v7
	s_delay_alu instid0(VALU_DEP_1)
	v_cvt_f32_f16_e32 v101, v7
.LBB348_105:                            ;   in Loop: Header=BB348_16 Depth=1
	s_or_b32 exec_lo, exec_lo, s23
.LBB348_106:                            ;   in Loop: Header=BB348_16 Depth=1
	s_delay_alu instid0(SALU_CYCLE_1)
	s_or_b32 exec_lo, exec_lo, s22
.LBB348_107:                            ;   in Loop: Header=BB348_16 Depth=1
	s_delay_alu instid0(SALU_CYCLE_1) | instskip(NEXT) | instid1(SALU_CYCLE_1)
	s_or_b32 exec_lo, exec_lo, s21
	s_mov_b32 s21, exec_lo
	v_cmpx_lt_u32_e32 0xffffff, v33
	s_cbranch_execz .LBB348_115
; %bb.108:                              ;   in Loop: Header=BB348_16 Depth=1
	v_lshrrev_b32_e32 v103, 24, v33
	v_bfrev_b32_e32 v102, 1
	s_mov_b32 s22, exec_lo
	s_delay_alu instid0(VALU_DEP_2)
	v_cmpx_ne_u32_e32 0x80, v103
	s_cbranch_execz .LBB348_114
; %bb.109:                              ;   in Loop: Header=BB348_16 Depth=1
	v_and_b32_e32 v35, 0x7f, v103
	v_mov_b32_e32 v102, 0x7fc02000
	s_mov_b32 s23, exec_lo
	s_delay_alu instid0(VALU_DEP_2)
	v_cmpx_ne_u32_e32 0x7f, v35
	s_cbranch_execz .LBB348_113
; %bb.110:                              ;   in Loop: Header=BB348_16 Depth=1
	v_and_b32_e32 v7, 7, v103
	v_lshrrev_b32_e32 v102, 3, v35
	v_cmp_gt_u32_e64 s1, 8, v35
	s_delay_alu instid0(VALU_DEP_3) | instskip(NEXT) | instid1(VALU_DEP_2)
	v_dual_mov_b32 v36, v8 :: v_dual_mov_b32 v35, v7
	s_and_saveexec_b32 s24, s1
; %bb.111:                              ;   in Loop: Header=BB348_16 Depth=1
	v_clz_i32_u32_e32 v35, v7
	s_delay_alu instid0(VALU_DEP_1) | instskip(NEXT) | instid1(VALU_DEP_1)
	v_min_u32_e32 v102, 32, v35
	v_subrev_nc_u32_e32 v35, 28, v102
	v_sub_nc_u32_e32 v102, 29, v102
	s_delay_alu instid0(VALU_DEP_2) | instskip(NEXT) | instid1(VALU_DEP_1)
	v_lshlrev_b64 v[35:36], v35, v[7:8]
	v_and_b32_e32 v35, 7, v35
; %bb.112:                              ;   in Loop: Header=BB348_16 Depth=1
	s_or_b32 exec_lo, exec_lo, s24
	v_lshlrev_b32_e32 v7, 8, v103
	v_lshl_add_u32 v36, v102, 10, 0x2000
	s_delay_alu instid0(VALU_DEP_1) | instskip(NEXT) | instid1(VALU_DEP_1)
	v_and_or_b32 v7, 0x8000, v7, v36
	v_lshl_or_b32 v7, v35, 7, v7
	s_delay_alu instid0(VALU_DEP_1)
	v_cvt_f32_f16_e32 v102, v7
.LBB348_113:                            ;   in Loop: Header=BB348_16 Depth=1
	s_or_b32 exec_lo, exec_lo, s23
.LBB348_114:                            ;   in Loop: Header=BB348_16 Depth=1
	s_delay_alu instid0(SALU_CYCLE_1)
	s_or_b32 exec_lo, exec_lo, s22
.LBB348_115:                            ;   in Loop: Header=BB348_16 Depth=1
	s_delay_alu instid0(SALU_CYCLE_1) | instskip(SKIP_4) | instid1(VALU_DEP_3)
	s_or_b32 exec_lo, exec_lo, s21
	v_dual_mov_b32 v112, 0 :: v_dual_and_b32 v35, 0xff, v34
	v_mov_b32_e32 v7, v34
	v_mov_b32_e32 v103, 0
	s_mov_b32 s21, exec_lo
	v_cmpx_ne_u16_e32 0, v35
	s_cbranch_execz .LBB348_123
; %bb.116:                              ;   in Loop: Header=BB348_16 Depth=1
	v_bfrev_b32_e32 v103, 1
	s_mov_b32 s22, exec_lo
	v_cmpx_ne_u16_e32 0x80, v35
	s_cbranch_execz .LBB348_122
; %bb.117:                              ;   in Loop: Header=BB348_16 Depth=1
	v_and_b32_e32 v35, 0x7f, v34
	v_mov_b32_e32 v103, 0x7fc02000
	s_mov_b32 s23, exec_lo
	s_delay_alu instid0(VALU_DEP_2)
	v_cmpx_ne_u32_e32 0x7f, v35
	s_cbranch_execz .LBB348_121
; %bb.118:                              ;   in Loop: Header=BB348_16 Depth=1
	v_lshrrev_b32_e32 v103, 3, v35
	v_cmp_gt_u32_e64 s1, 8, v35
	v_dual_mov_b32 v36, v8 :: v_dual_mov_b32 v35, v7
	s_delay_alu instid0(VALU_DEP_2)
	s_and_saveexec_b32 s24, s1
; %bb.119:                              ;   in Loop: Header=BB348_16 Depth=1
	v_and_b32_e32 v35, 7, v34
	s_delay_alu instid0(VALU_DEP_1) | instskip(NEXT) | instid1(VALU_DEP_1)
	v_clz_i32_u32_e32 v35, v35
	v_min_u32_e32 v103, 32, v35
	s_delay_alu instid0(VALU_DEP_1) | instskip(SKIP_1) | instid1(VALU_DEP_2)
	v_subrev_nc_u32_e32 v35, 28, v103
	v_sub_nc_u32_e32 v103, 29, v103
	v_lshlrev_b64 v[35:36], v35, v[7:8]
; %bb.120:                              ;   in Loop: Header=BB348_16 Depth=1
	s_or_b32 exec_lo, exec_lo, s24
	v_lshlrev_b32_e32 v36, 8, v34
	s_delay_alu instid0(VALU_DEP_3) | instskip(NEXT) | instid1(VALU_DEP_3)
	v_lshl_add_u32 v103, v103, 10, 0x2000
	v_lshlrev_b32_e32 v35, 7, v35
	s_delay_alu instid0(VALU_DEP_2) | instskip(NEXT) | instid1(VALU_DEP_1)
	v_and_or_b32 v36, 0x8000, v36, v103
	v_and_or_b32 v35, 0x380, v35, v36
	s_delay_alu instid0(VALU_DEP_1)
	v_cvt_f32_f16_e32 v103, v35
.LBB348_121:                            ;   in Loop: Header=BB348_16 Depth=1
	s_or_b32 exec_lo, exec_lo, s23
.LBB348_122:                            ;   in Loop: Header=BB348_16 Depth=1
	s_delay_alu instid0(SALU_CYCLE_1)
	s_or_b32 exec_lo, exec_lo, s22
.LBB348_123:                            ;   in Loop: Header=BB348_16 Depth=1
	s_delay_alu instid0(SALU_CYCLE_1) | instskip(SKIP_2) | instid1(VALU_DEP_1)
	s_or_b32 exec_lo, exec_lo, s21
	v_lshrrev_b16 v7, 8, v7
	s_mov_b32 s21, exec_lo
	v_cmpx_ne_u16_e32 0, v7
	s_cbranch_execz .LBB348_131
; %bb.124:                              ;   in Loop: Header=BB348_16 Depth=1
	v_bfrev_b32_e32 v112, 1
	s_mov_b32 s22, exec_lo
	v_cmpx_ne_u16_e32 0x80, v7
	s_cbranch_execz .LBB348_130
; %bb.125:                              ;   in Loop: Header=BB348_16 Depth=1
	v_and_b32_e32 v113, 0xffff, v7
	v_mov_b32_e32 v112, 0x7fc02000
	s_mov_b32 s23, exec_lo
	s_delay_alu instid0(VALU_DEP_2) | instskip(NEXT) | instid1(VALU_DEP_1)
	v_and_b32_e32 v35, 0x7f, v113
	v_cmpx_ne_u32_e32 0x7f, v35
	s_cbranch_execz .LBB348_129
; %bb.126:                              ;   in Loop: Header=BB348_16 Depth=1
	v_and_b32_e32 v7, 7, v113
	v_lshrrev_b32_e32 v112, 3, v35
	v_cmp_gt_u32_e64 s1, 8, v35
	s_delay_alu instid0(VALU_DEP_3) | instskip(NEXT) | instid1(VALU_DEP_2)
	v_dual_mov_b32 v36, v8 :: v_dual_mov_b32 v35, v7
	s_and_saveexec_b32 s24, s1
; %bb.127:                              ;   in Loop: Header=BB348_16 Depth=1
	v_clz_i32_u32_e32 v35, v7
	s_delay_alu instid0(VALU_DEP_1) | instskip(NEXT) | instid1(VALU_DEP_1)
	v_min_u32_e32 v112, 32, v35
	v_subrev_nc_u32_e32 v35, 28, v112
	v_sub_nc_u32_e32 v112, 29, v112
	s_delay_alu instid0(VALU_DEP_2) | instskip(NEXT) | instid1(VALU_DEP_1)
	v_lshlrev_b64 v[35:36], v35, v[7:8]
	v_and_b32_e32 v35, 7, v35
; %bb.128:                              ;   in Loop: Header=BB348_16 Depth=1
	s_or_b32 exec_lo, exec_lo, s24
	v_lshlrev_b32_e32 v7, 8, v113
	v_lshl_add_u32 v36, v112, 10, 0x2000
	s_delay_alu instid0(VALU_DEP_1) | instskip(NEXT) | instid1(VALU_DEP_1)
	v_and_or_b32 v7, 0x8000, v7, v36
	v_lshl_or_b32 v7, v35, 7, v7
	s_delay_alu instid0(VALU_DEP_1)
	v_cvt_f32_f16_e32 v112, v7
.LBB348_129:                            ;   in Loop: Header=BB348_16 Depth=1
	s_or_b32 exec_lo, exec_lo, s23
.LBB348_130:                            ;   in Loop: Header=BB348_16 Depth=1
	s_delay_alu instid0(SALU_CYCLE_1)
	s_or_b32 exec_lo, exec_lo, s22
.LBB348_131:                            ;   in Loop: Header=BB348_16 Depth=1
	s_delay_alu instid0(SALU_CYCLE_1) | instskip(SKIP_3) | instid1(VALU_DEP_2)
	s_or_b32 exec_lo, exec_lo, s21
	v_lshrrev_b32_e32 v115, 16, v34
	v_mov_b32_e32 v113, 0
	s_mov_b32 s21, exec_lo
	v_dual_mov_b32 v114, 0 :: v_dual_and_b32 v7, 0xff, v115
	s_delay_alu instid0(VALU_DEP_1)
	v_cmpx_ne_u16_e32 0, v7
	s_cbranch_execz .LBB348_139
; %bb.132:                              ;   in Loop: Header=BB348_16 Depth=1
	v_bfrev_b32_e32 v114, 1
	s_mov_b32 s22, exec_lo
	v_cmpx_ne_u16_e32 0x80, v7
	s_cbranch_execz .LBB348_138
; %bb.133:                              ;   in Loop: Header=BB348_16 Depth=1
	v_bfe_u32 v35, v34, 16, 7
	v_mov_b32_e32 v114, 0x7fc02000
	s_mov_b32 s23, exec_lo
	s_delay_alu instid0(VALU_DEP_2)
	v_cmpx_ne_u32_e32 0x7f, v35
	s_cbranch_execz .LBB348_137
; %bb.134:                              ;   in Loop: Header=BB348_16 Depth=1
	v_and_b32_e32 v7, 7, v115
	v_lshrrev_b32_e32 v114, 3, v35
	v_cmp_gt_u32_e64 s1, 8, v35
	s_delay_alu instid0(VALU_DEP_3) | instskip(NEXT) | instid1(VALU_DEP_2)
	v_dual_mov_b32 v36, v8 :: v_dual_mov_b32 v35, v7
	s_and_saveexec_b32 s24, s1
; %bb.135:                              ;   in Loop: Header=BB348_16 Depth=1
	v_clz_i32_u32_e32 v35, v7
	s_delay_alu instid0(VALU_DEP_1) | instskip(NEXT) | instid1(VALU_DEP_1)
	v_min_u32_e32 v114, 32, v35
	v_subrev_nc_u32_e32 v35, 28, v114
	v_sub_nc_u32_e32 v114, 29, v114
	s_delay_alu instid0(VALU_DEP_2) | instskip(NEXT) | instid1(VALU_DEP_1)
	v_lshlrev_b64 v[35:36], v35, v[7:8]
	v_and_b32_e32 v35, 7, v35
; %bb.136:                              ;   in Loop: Header=BB348_16 Depth=1
	s_or_b32 exec_lo, exec_lo, s24
	v_lshlrev_b32_e32 v7, 8, v115
	v_lshl_add_u32 v36, v114, 10, 0x2000
	s_delay_alu instid0(VALU_DEP_1) | instskip(NEXT) | instid1(VALU_DEP_1)
	v_and_or_b32 v7, 0x8000, v7, v36
	v_lshl_or_b32 v7, v35, 7, v7
	s_delay_alu instid0(VALU_DEP_1)
	v_cvt_f32_f16_e32 v114, v7
.LBB348_137:                            ;   in Loop: Header=BB348_16 Depth=1
	s_or_b32 exec_lo, exec_lo, s23
.LBB348_138:                            ;   in Loop: Header=BB348_16 Depth=1
	s_delay_alu instid0(SALU_CYCLE_1)
	s_or_b32 exec_lo, exec_lo, s22
.LBB348_139:                            ;   in Loop: Header=BB348_16 Depth=1
	s_delay_alu instid0(SALU_CYCLE_1) | instskip(NEXT) | instid1(SALU_CYCLE_1)
	s_or_b32 exec_lo, exec_lo, s21
	s_mov_b32 s21, exec_lo
	v_cmpx_lt_u64_e64 s[8:9], v[33:34]
	s_cbranch_execz .LBB348_147
; %bb.140:                              ;   in Loop: Header=BB348_16 Depth=1
	v_lshrrev_b32_e32 v35, 24, v34
	v_bfrev_b32_e32 v113, 1
	s_mov_b32 s22, exec_lo
	s_delay_alu instid0(VALU_DEP_2)
	v_cmpx_ne_u32_e32 0x80, v35
	s_cbranch_execz .LBB348_146
; %bb.141:                              ;   in Loop: Header=BB348_16 Depth=1
	v_and_b32_e32 v33, 0x7f, v35
	v_mov_b32_e32 v113, 0x7fc02000
	s_mov_b32 s23, exec_lo
	s_delay_alu instid0(VALU_DEP_2)
	v_cmpx_ne_u32_e32 0x7f, v33
	s_cbranch_execz .LBB348_145
; %bb.142:                              ;   in Loop: Header=BB348_16 Depth=1
	v_and_b32_e32 v7, 7, v35
	v_lshrrev_b32_e32 v36, 3, v33
	v_cmp_gt_u32_e64 s1, 8, v33
	s_delay_alu instid0(VALU_DEP_3) | instskip(NEXT) | instid1(VALU_DEP_2)
	v_dual_mov_b32 v34, v8 :: v_dual_mov_b32 v33, v7
	s_and_saveexec_b32 s24, s1
; %bb.143:                              ;   in Loop: Header=BB348_16 Depth=1
	v_clz_i32_u32_e32 v33, v7
	s_delay_alu instid0(VALU_DEP_1) | instskip(NEXT) | instid1(VALU_DEP_1)
	v_min_u32_e32 v36, 32, v33
	v_subrev_nc_u32_e32 v33, 28, v36
	v_sub_nc_u32_e32 v36, 29, v36
	s_delay_alu instid0(VALU_DEP_2) | instskip(NEXT) | instid1(VALU_DEP_1)
	v_lshlrev_b64 v[33:34], v33, v[7:8]
	v_and_b32_e32 v33, 7, v33
; %bb.144:                              ;   in Loop: Header=BB348_16 Depth=1
	s_or_b32 exec_lo, exec_lo, s24
	v_lshlrev_b32_e32 v7, 8, v35
	v_lshl_add_u32 v34, v36, 10, 0x2000
	s_delay_alu instid0(VALU_DEP_1) | instskip(NEXT) | instid1(VALU_DEP_1)
	v_and_or_b32 v7, 0x8000, v7, v34
	v_lshl_or_b32 v7, v33, 7, v7
	s_delay_alu instid0(VALU_DEP_1)
	v_cvt_f32_f16_e32 v113, v7
.LBB348_145:                            ;   in Loop: Header=BB348_16 Depth=1
	s_or_b32 exec_lo, exec_lo, s23
.LBB348_146:                            ;   in Loop: Header=BB348_16 Depth=1
	s_delay_alu instid0(SALU_CYCLE_1)
	s_or_b32 exec_lo, exec_lo, s22
.LBB348_147:                            ;   in Loop: Header=BB348_16 Depth=1
	s_delay_alu instid0(SALU_CYCLE_1)
	s_or_b32 exec_lo, exec_lo, s21
	flat_load_b64 v[33:34], v[31:32] offset:512
	v_mov_b32_e32 v115, 0
	s_mov_b32 s21, exec_lo
	s_waitcnt vmcnt(0) lgkmcnt(0)
	v_dual_mov_b32 v116, 0 :: v_dual_and_b32 v7, 0xff, v33
	s_delay_alu instid0(VALU_DEP_1)
	v_cmpx_ne_u16_e32 0, v7
	s_cbranch_execz .LBB348_155
; %bb.148:                              ;   in Loop: Header=BB348_16 Depth=1
	v_bfrev_b32_e32 v115, 1
	s_mov_b32 s22, exec_lo
	v_cmpx_ne_u16_e32 0x80, v7
	s_cbranch_execz .LBB348_154
; %bb.149:                              ;   in Loop: Header=BB348_16 Depth=1
	v_and_b32_e32 v35, 0x7f, v33
	v_mov_b32_e32 v115, 0x7fc02000
	s_mov_b32 s23, exec_lo
	s_delay_alu instid0(VALU_DEP_2)
	v_cmpx_ne_u32_e32 0x7f, v35
	s_cbranch_execz .LBB348_153
; %bb.150:                              ;   in Loop: Header=BB348_16 Depth=1
	v_lshrrev_b32_e32 v7, 3, v35
	v_cmp_gt_u32_e64 s1, 8, v35
	v_dual_mov_b32 v36, v34 :: v_dual_mov_b32 v35, v33
	s_delay_alu instid0(VALU_DEP_2)
	s_and_saveexec_b32 s24, s1
; %bb.151:                              ;   in Loop: Header=BB348_16 Depth=1
	v_and_b32_e32 v7, 7, v33
	s_delay_alu instid0(VALU_DEP_1) | instskip(NEXT) | instid1(VALU_DEP_1)
	v_clz_i32_u32_e32 v7, v7
	v_min_u32_e32 v7, 32, v7
	s_delay_alu instid0(VALU_DEP_1) | instskip(SKIP_1) | instid1(VALU_DEP_2)
	v_subrev_nc_u32_e32 v35, 28, v7
	v_sub_nc_u32_e32 v7, 29, v7
	v_lshlrev_b64 v[35:36], v35, v[33:34]
; %bb.152:                              ;   in Loop: Header=BB348_16 Depth=1
	s_or_b32 exec_lo, exec_lo, s24
	v_lshlrev_b32_e32 v36, 8, v33
	s_delay_alu instid0(VALU_DEP_3) | instskip(NEXT) | instid1(VALU_DEP_3)
	v_lshl_add_u32 v7, v7, 10, 0x2000
	v_lshlrev_b32_e32 v35, 7, v35
	s_delay_alu instid0(VALU_DEP_2) | instskip(NEXT) | instid1(VALU_DEP_1)
	v_and_or_b32 v7, 0x8000, v36, v7
	v_and_or_b32 v7, 0x380, v35, v7
	s_delay_alu instid0(VALU_DEP_1)
	v_cvt_f32_f16_e32 v115, v7
.LBB348_153:                            ;   in Loop: Header=BB348_16 Depth=1
	s_or_b32 exec_lo, exec_lo, s23
.LBB348_154:                            ;   in Loop: Header=BB348_16 Depth=1
	s_delay_alu instid0(SALU_CYCLE_1)
	s_or_b32 exec_lo, exec_lo, s22
.LBB348_155:                            ;   in Loop: Header=BB348_16 Depth=1
	s_delay_alu instid0(SALU_CYCLE_1) | instskip(SKIP_2) | instid1(VALU_DEP_1)
	s_or_b32 exec_lo, exec_lo, s21
	v_lshrrev_b16 v7, 8, v33
	s_mov_b32 s21, exec_lo
	v_cmpx_ne_u16_e32 0, v7
	s_cbranch_execz .LBB348_163
; %bb.156:                              ;   in Loop: Header=BB348_16 Depth=1
	v_bfrev_b32_e32 v116, 1
	s_mov_b32 s22, exec_lo
	v_cmpx_ne_u16_e32 0x80, v7
	s_cbranch_execz .LBB348_162
; %bb.157:                              ;   in Loop: Header=BB348_16 Depth=1
	v_and_b32_e32 v117, 0xffff, v7
	v_mov_b32_e32 v116, 0x7fc02000
	s_mov_b32 s23, exec_lo
	s_delay_alu instid0(VALU_DEP_2) | instskip(NEXT) | instid1(VALU_DEP_1)
	v_and_b32_e32 v35, 0x7f, v117
	v_cmpx_ne_u32_e32 0x7f, v35
	s_cbranch_execz .LBB348_161
; %bb.158:                              ;   in Loop: Header=BB348_16 Depth=1
	v_and_b32_e32 v7, 7, v117
	v_lshrrev_b32_e32 v116, 3, v35
	v_cmp_gt_u32_e64 s1, 8, v35
	s_delay_alu instid0(VALU_DEP_3) | instskip(NEXT) | instid1(VALU_DEP_2)
	v_dual_mov_b32 v36, v8 :: v_dual_mov_b32 v35, v7
	s_and_saveexec_b32 s24, s1
; %bb.159:                              ;   in Loop: Header=BB348_16 Depth=1
	v_clz_i32_u32_e32 v35, v7
	s_delay_alu instid0(VALU_DEP_1) | instskip(NEXT) | instid1(VALU_DEP_1)
	v_min_u32_e32 v116, 32, v35
	v_subrev_nc_u32_e32 v35, 28, v116
	v_sub_nc_u32_e32 v116, 29, v116
	s_delay_alu instid0(VALU_DEP_2) | instskip(NEXT) | instid1(VALU_DEP_1)
	v_lshlrev_b64 v[35:36], v35, v[7:8]
	v_and_b32_e32 v35, 7, v35
; %bb.160:                              ;   in Loop: Header=BB348_16 Depth=1
	s_or_b32 exec_lo, exec_lo, s24
	v_lshlrev_b32_e32 v7, 8, v117
	v_lshl_add_u32 v36, v116, 10, 0x2000
	s_delay_alu instid0(VALU_DEP_1) | instskip(NEXT) | instid1(VALU_DEP_1)
	v_and_or_b32 v7, 0x8000, v7, v36
	v_lshl_or_b32 v7, v35, 7, v7
	s_delay_alu instid0(VALU_DEP_1)
	v_cvt_f32_f16_e32 v116, v7
.LBB348_161:                            ;   in Loop: Header=BB348_16 Depth=1
	s_or_b32 exec_lo, exec_lo, s23
.LBB348_162:                            ;   in Loop: Header=BB348_16 Depth=1
	s_delay_alu instid0(SALU_CYCLE_1)
	s_or_b32 exec_lo, exec_lo, s22
.LBB348_163:                            ;   in Loop: Header=BB348_16 Depth=1
	s_delay_alu instid0(SALU_CYCLE_1) | instskip(SKIP_3) | instid1(VALU_DEP_2)
	s_or_b32 exec_lo, exec_lo, s21
	v_lshrrev_b32_e32 v119, 16, v33
	v_mov_b32_e32 v117, 0
	s_mov_b32 s21, exec_lo
	v_dual_mov_b32 v118, 0 :: v_dual_and_b32 v7, 0xff, v119
	s_delay_alu instid0(VALU_DEP_1)
	v_cmpx_ne_u16_e32 0, v7
	s_cbranch_execz .LBB348_171
; %bb.164:                              ;   in Loop: Header=BB348_16 Depth=1
	v_bfrev_b32_e32 v117, 1
	s_mov_b32 s22, exec_lo
	v_cmpx_ne_u16_e32 0x80, v7
	s_cbranch_execz .LBB348_170
; %bb.165:                              ;   in Loop: Header=BB348_16 Depth=1
	v_bfe_u32 v35, v33, 16, 7
	v_mov_b32_e32 v117, 0x7fc02000
	s_mov_b32 s23, exec_lo
	s_delay_alu instid0(VALU_DEP_2)
	v_cmpx_ne_u32_e32 0x7f, v35
	s_cbranch_execz .LBB348_169
; %bb.166:                              ;   in Loop: Header=BB348_16 Depth=1
	v_and_b32_e32 v7, 7, v119
	v_lshrrev_b32_e32 v117, 3, v35
	v_cmp_gt_u32_e64 s1, 8, v35
	s_delay_alu instid0(VALU_DEP_3) | instskip(NEXT) | instid1(VALU_DEP_2)
	v_dual_mov_b32 v36, v8 :: v_dual_mov_b32 v35, v7
	s_and_saveexec_b32 s24, s1
; %bb.167:                              ;   in Loop: Header=BB348_16 Depth=1
	v_clz_i32_u32_e32 v35, v7
	s_delay_alu instid0(VALU_DEP_1) | instskip(NEXT) | instid1(VALU_DEP_1)
	v_min_u32_e32 v117, 32, v35
	v_subrev_nc_u32_e32 v35, 28, v117
	v_sub_nc_u32_e32 v117, 29, v117
	s_delay_alu instid0(VALU_DEP_2) | instskip(NEXT) | instid1(VALU_DEP_1)
	v_lshlrev_b64 v[35:36], v35, v[7:8]
	v_and_b32_e32 v35, 7, v35
; %bb.168:                              ;   in Loop: Header=BB348_16 Depth=1
	s_or_b32 exec_lo, exec_lo, s24
	v_lshlrev_b32_e32 v7, 8, v119
	v_lshl_add_u32 v36, v117, 10, 0x2000
	s_delay_alu instid0(VALU_DEP_1) | instskip(NEXT) | instid1(VALU_DEP_1)
	v_and_or_b32 v7, 0x8000, v7, v36
	v_lshl_or_b32 v7, v35, 7, v7
	s_delay_alu instid0(VALU_DEP_1)
	v_cvt_f32_f16_e32 v117, v7
.LBB348_169:                            ;   in Loop: Header=BB348_16 Depth=1
	s_or_b32 exec_lo, exec_lo, s23
.LBB348_170:                            ;   in Loop: Header=BB348_16 Depth=1
	s_delay_alu instid0(SALU_CYCLE_1)
	s_or_b32 exec_lo, exec_lo, s22
.LBB348_171:                            ;   in Loop: Header=BB348_16 Depth=1
	s_delay_alu instid0(SALU_CYCLE_1) | instskip(NEXT) | instid1(SALU_CYCLE_1)
	s_or_b32 exec_lo, exec_lo, s21
	s_mov_b32 s21, exec_lo
	v_cmpx_lt_u32_e32 0xffffff, v33
	s_cbranch_execz .LBB348_179
; %bb.172:                              ;   in Loop: Header=BB348_16 Depth=1
	v_lshrrev_b32_e32 v119, 24, v33
	v_bfrev_b32_e32 v118, 1
	s_mov_b32 s22, exec_lo
	s_delay_alu instid0(VALU_DEP_2)
	v_cmpx_ne_u32_e32 0x80, v119
	s_cbranch_execz .LBB348_178
; %bb.173:                              ;   in Loop: Header=BB348_16 Depth=1
	v_and_b32_e32 v35, 0x7f, v119
	v_mov_b32_e32 v118, 0x7fc02000
	s_mov_b32 s23, exec_lo
	s_delay_alu instid0(VALU_DEP_2)
	v_cmpx_ne_u32_e32 0x7f, v35
	s_cbranch_execz .LBB348_177
; %bb.174:                              ;   in Loop: Header=BB348_16 Depth=1
	v_and_b32_e32 v7, 7, v119
	v_lshrrev_b32_e32 v118, 3, v35
	v_cmp_gt_u32_e64 s1, 8, v35
	s_delay_alu instid0(VALU_DEP_3) | instskip(NEXT) | instid1(VALU_DEP_2)
	v_dual_mov_b32 v36, v8 :: v_dual_mov_b32 v35, v7
	s_and_saveexec_b32 s24, s1
; %bb.175:                              ;   in Loop: Header=BB348_16 Depth=1
	v_clz_i32_u32_e32 v35, v7
	s_delay_alu instid0(VALU_DEP_1) | instskip(NEXT) | instid1(VALU_DEP_1)
	v_min_u32_e32 v118, 32, v35
	v_subrev_nc_u32_e32 v35, 28, v118
	v_sub_nc_u32_e32 v118, 29, v118
	s_delay_alu instid0(VALU_DEP_2) | instskip(NEXT) | instid1(VALU_DEP_1)
	v_lshlrev_b64 v[35:36], v35, v[7:8]
	v_and_b32_e32 v35, 7, v35
; %bb.176:                              ;   in Loop: Header=BB348_16 Depth=1
	s_or_b32 exec_lo, exec_lo, s24
	v_lshlrev_b32_e32 v7, 8, v119
	v_lshl_add_u32 v36, v118, 10, 0x2000
	s_delay_alu instid0(VALU_DEP_1) | instskip(NEXT) | instid1(VALU_DEP_1)
	v_and_or_b32 v7, 0x8000, v7, v36
	v_lshl_or_b32 v7, v35, 7, v7
	s_delay_alu instid0(VALU_DEP_1)
	v_cvt_f32_f16_e32 v118, v7
.LBB348_177:                            ;   in Loop: Header=BB348_16 Depth=1
	s_or_b32 exec_lo, exec_lo, s23
.LBB348_178:                            ;   in Loop: Header=BB348_16 Depth=1
	s_delay_alu instid0(SALU_CYCLE_1)
	s_or_b32 exec_lo, exec_lo, s22
.LBB348_179:                            ;   in Loop: Header=BB348_16 Depth=1
	s_delay_alu instid0(SALU_CYCLE_1) | instskip(SKIP_4) | instid1(VALU_DEP_3)
	s_or_b32 exec_lo, exec_lo, s21
	v_dual_mov_b32 v128, 0 :: v_dual_and_b32 v35, 0xff, v34
	v_mov_b32_e32 v7, v34
	v_mov_b32_e32 v119, 0
	s_mov_b32 s21, exec_lo
	v_cmpx_ne_u16_e32 0, v35
	s_cbranch_execz .LBB348_187
; %bb.180:                              ;   in Loop: Header=BB348_16 Depth=1
	v_bfrev_b32_e32 v119, 1
	s_mov_b32 s22, exec_lo
	v_cmpx_ne_u16_e32 0x80, v35
	s_cbranch_execz .LBB348_186
; %bb.181:                              ;   in Loop: Header=BB348_16 Depth=1
	v_and_b32_e32 v35, 0x7f, v34
	v_mov_b32_e32 v119, 0x7fc02000
	s_mov_b32 s23, exec_lo
	s_delay_alu instid0(VALU_DEP_2)
	v_cmpx_ne_u32_e32 0x7f, v35
	s_cbranch_execz .LBB348_185
; %bb.182:                              ;   in Loop: Header=BB348_16 Depth=1
	v_lshrrev_b32_e32 v119, 3, v35
	v_cmp_gt_u32_e64 s1, 8, v35
	v_dual_mov_b32 v36, v8 :: v_dual_mov_b32 v35, v7
	s_delay_alu instid0(VALU_DEP_2)
	s_and_saveexec_b32 s24, s1
; %bb.183:                              ;   in Loop: Header=BB348_16 Depth=1
	v_and_b32_e32 v35, 7, v34
	s_delay_alu instid0(VALU_DEP_1) | instskip(NEXT) | instid1(VALU_DEP_1)
	v_clz_i32_u32_e32 v35, v35
	v_min_u32_e32 v119, 32, v35
	s_delay_alu instid0(VALU_DEP_1) | instskip(SKIP_1) | instid1(VALU_DEP_2)
	v_subrev_nc_u32_e32 v35, 28, v119
	v_sub_nc_u32_e32 v119, 29, v119
	v_lshlrev_b64 v[35:36], v35, v[7:8]
; %bb.184:                              ;   in Loop: Header=BB348_16 Depth=1
	s_or_b32 exec_lo, exec_lo, s24
	v_lshlrev_b32_e32 v36, 8, v34
	s_delay_alu instid0(VALU_DEP_3) | instskip(NEXT) | instid1(VALU_DEP_3)
	v_lshl_add_u32 v119, v119, 10, 0x2000
	v_lshlrev_b32_e32 v35, 7, v35
	s_delay_alu instid0(VALU_DEP_2) | instskip(NEXT) | instid1(VALU_DEP_1)
	v_and_or_b32 v36, 0x8000, v36, v119
	v_and_or_b32 v35, 0x380, v35, v36
	s_delay_alu instid0(VALU_DEP_1)
	v_cvt_f32_f16_e32 v119, v35
.LBB348_185:                            ;   in Loop: Header=BB348_16 Depth=1
	s_or_b32 exec_lo, exec_lo, s23
.LBB348_186:                            ;   in Loop: Header=BB348_16 Depth=1
	s_delay_alu instid0(SALU_CYCLE_1)
	s_or_b32 exec_lo, exec_lo, s22
.LBB348_187:                            ;   in Loop: Header=BB348_16 Depth=1
	s_delay_alu instid0(SALU_CYCLE_1) | instskip(SKIP_2) | instid1(VALU_DEP_1)
	s_or_b32 exec_lo, exec_lo, s21
	v_lshrrev_b16 v7, 8, v7
	s_mov_b32 s21, exec_lo
	v_cmpx_ne_u16_e32 0, v7
	s_cbranch_execz .LBB348_195
; %bb.188:                              ;   in Loop: Header=BB348_16 Depth=1
	v_bfrev_b32_e32 v128, 1
	s_mov_b32 s22, exec_lo
	v_cmpx_ne_u16_e32 0x80, v7
	s_cbranch_execz .LBB348_194
; %bb.189:                              ;   in Loop: Header=BB348_16 Depth=1
	v_and_b32_e32 v129, 0xffff, v7
	v_mov_b32_e32 v128, 0x7fc02000
	s_mov_b32 s23, exec_lo
	s_delay_alu instid0(VALU_DEP_2) | instskip(NEXT) | instid1(VALU_DEP_1)
	v_and_b32_e32 v35, 0x7f, v129
	v_cmpx_ne_u32_e32 0x7f, v35
	s_cbranch_execz .LBB348_193
; %bb.190:                              ;   in Loop: Header=BB348_16 Depth=1
	v_and_b32_e32 v7, 7, v129
	v_lshrrev_b32_e32 v128, 3, v35
	v_cmp_gt_u32_e64 s1, 8, v35
	s_delay_alu instid0(VALU_DEP_3) | instskip(NEXT) | instid1(VALU_DEP_2)
	v_dual_mov_b32 v36, v8 :: v_dual_mov_b32 v35, v7
	s_and_saveexec_b32 s24, s1
; %bb.191:                              ;   in Loop: Header=BB348_16 Depth=1
	v_clz_i32_u32_e32 v35, v7
	s_delay_alu instid0(VALU_DEP_1) | instskip(NEXT) | instid1(VALU_DEP_1)
	v_min_u32_e32 v128, 32, v35
	v_subrev_nc_u32_e32 v35, 28, v128
	v_sub_nc_u32_e32 v128, 29, v128
	s_delay_alu instid0(VALU_DEP_2) | instskip(NEXT) | instid1(VALU_DEP_1)
	v_lshlrev_b64 v[35:36], v35, v[7:8]
	v_and_b32_e32 v35, 7, v35
; %bb.192:                              ;   in Loop: Header=BB348_16 Depth=1
	s_or_b32 exec_lo, exec_lo, s24
	v_lshlrev_b32_e32 v7, 8, v129
	v_lshl_add_u32 v36, v128, 10, 0x2000
	s_delay_alu instid0(VALU_DEP_1) | instskip(NEXT) | instid1(VALU_DEP_1)
	v_and_or_b32 v7, 0x8000, v7, v36
	v_lshl_or_b32 v7, v35, 7, v7
	s_delay_alu instid0(VALU_DEP_1)
	v_cvt_f32_f16_e64 v128, v7
.LBB348_193:                            ;   in Loop: Header=BB348_16 Depth=1
	s_or_b32 exec_lo, exec_lo, s23
.LBB348_194:                            ;   in Loop: Header=BB348_16 Depth=1
	s_delay_alu instid0(SALU_CYCLE_1)
	s_or_b32 exec_lo, exec_lo, s22
.LBB348_195:                            ;   in Loop: Header=BB348_16 Depth=1
	s_delay_alu instid0(SALU_CYCLE_1) | instskip(SKIP_3) | instid1(VALU_DEP_2)
	s_or_b32 exec_lo, exec_lo, s21
	v_lshrrev_b32_e32 v131, 16, v34
	v_mov_b32_e32 v129, 0
	s_mov_b32 s21, exec_lo
	v_dual_mov_b32 v130, 0 :: v_dual_and_b32 v7, 0xff, v131
	s_delay_alu instid0(VALU_DEP_1)
	v_cmpx_ne_u16_e32 0, v7
	s_cbranch_execz .LBB348_203
; %bb.196:                              ;   in Loop: Header=BB348_16 Depth=1
	v_bfrev_b32_e32 v130, 1
	s_mov_b32 s22, exec_lo
	v_cmpx_ne_u16_e32 0x80, v7
	s_cbranch_execz .LBB348_202
; %bb.197:                              ;   in Loop: Header=BB348_16 Depth=1
	v_bfe_u32 v35, v34, 16, 7
	v_mov_b32_e32 v130, 0x7fc02000
	s_mov_b32 s23, exec_lo
	s_delay_alu instid0(VALU_DEP_2)
	v_cmpx_ne_u32_e32 0x7f, v35
	s_cbranch_execz .LBB348_201
; %bb.198:                              ;   in Loop: Header=BB348_16 Depth=1
	v_and_b32_e32 v7, 7, v131
	v_lshrrev_b32_e32 v130, 3, v35
	v_cmp_gt_u32_e64 s1, 8, v35
	s_delay_alu instid0(VALU_DEP_3) | instskip(NEXT) | instid1(VALU_DEP_2)
	v_dual_mov_b32 v36, v8 :: v_dual_mov_b32 v35, v7
	s_and_saveexec_b32 s24, s1
; %bb.199:                              ;   in Loop: Header=BB348_16 Depth=1
	v_clz_i32_u32_e32 v35, v7
	s_delay_alu instid0(VALU_DEP_1) | instskip(NEXT) | instid1(VALU_DEP_1)
	v_min_u32_e32 v130, 32, v35
	v_subrev_nc_u32_e32 v35, 28, v130
	v_sub_nc_u32_e32 v130, 29, v130
	s_delay_alu instid0(VALU_DEP_2) | instskip(NEXT) | instid1(VALU_DEP_1)
	v_lshlrev_b64 v[35:36], v35, v[7:8]
	v_and_b32_e32 v35, 7, v35
; %bb.200:                              ;   in Loop: Header=BB348_16 Depth=1
	s_or_b32 exec_lo, exec_lo, s24
	v_lshlrev_b32_e32 v7, 8, v131
	v_lshl_add_u32 v36, v130, 10, 0x2000
	s_delay_alu instid0(VALU_DEP_1) | instskip(NEXT) | instid1(VALU_DEP_1)
	v_and_or_b32 v7, 0x8000, v7, v36
	v_lshl_or_b32 v7, v35, 7, v7
	s_delay_alu instid0(VALU_DEP_1)
	v_cvt_f32_f16_e64 v130, v7
.LBB348_201:                            ;   in Loop: Header=BB348_16 Depth=1
	s_or_b32 exec_lo, exec_lo, s23
.LBB348_202:                            ;   in Loop: Header=BB348_16 Depth=1
	s_delay_alu instid0(SALU_CYCLE_1)
	s_or_b32 exec_lo, exec_lo, s22
.LBB348_203:                            ;   in Loop: Header=BB348_16 Depth=1
	s_delay_alu instid0(SALU_CYCLE_1) | instskip(NEXT) | instid1(SALU_CYCLE_1)
	s_or_b32 exec_lo, exec_lo, s21
	s_mov_b32 s21, exec_lo
	v_cmpx_lt_u64_e64 s[8:9], v[33:34]
	s_cbranch_execz .LBB348_211
; %bb.204:                              ;   in Loop: Header=BB348_16 Depth=1
	v_lshrrev_b32_e32 v35, 24, v34
	v_bfrev_b32_e32 v129, 1
	s_mov_b32 s22, exec_lo
	s_delay_alu instid0(VALU_DEP_2)
	v_cmpx_ne_u32_e32 0x80, v35
	s_cbranch_execz .LBB348_210
; %bb.205:                              ;   in Loop: Header=BB348_16 Depth=1
	v_and_b32_e32 v33, 0x7f, v35
	v_mov_b32_e32 v129, 0x7fc02000
	s_mov_b32 s23, exec_lo
	s_delay_alu instid0(VALU_DEP_2)
	v_cmpx_ne_u32_e32 0x7f, v33
	s_cbranch_execz .LBB348_209
; %bb.206:                              ;   in Loop: Header=BB348_16 Depth=1
	v_and_b32_e32 v7, 7, v35
	v_lshrrev_b32_e32 v36, 3, v33
	v_cmp_gt_u32_e64 s1, 8, v33
	s_delay_alu instid0(VALU_DEP_3) | instskip(NEXT) | instid1(VALU_DEP_2)
	v_dual_mov_b32 v34, v8 :: v_dual_mov_b32 v33, v7
	s_and_saveexec_b32 s24, s1
; %bb.207:                              ;   in Loop: Header=BB348_16 Depth=1
	v_clz_i32_u32_e32 v33, v7
	s_delay_alu instid0(VALU_DEP_1) | instskip(NEXT) | instid1(VALU_DEP_1)
	v_min_u32_e32 v36, 32, v33
	v_subrev_nc_u32_e32 v33, 28, v36
	v_sub_nc_u32_e32 v36, 29, v36
	s_delay_alu instid0(VALU_DEP_2) | instskip(NEXT) | instid1(VALU_DEP_1)
	v_lshlrev_b64 v[33:34], v33, v[7:8]
	v_and_b32_e32 v33, 7, v33
; %bb.208:                              ;   in Loop: Header=BB348_16 Depth=1
	s_or_b32 exec_lo, exec_lo, s24
	v_lshlrev_b32_e32 v7, 8, v35
	v_lshl_add_u32 v34, v36, 10, 0x2000
	s_delay_alu instid0(VALU_DEP_1) | instskip(NEXT) | instid1(VALU_DEP_1)
	v_and_or_b32 v7, 0x8000, v7, v34
	v_lshl_or_b32 v7, v33, 7, v7
	s_delay_alu instid0(VALU_DEP_1)
	v_cvt_f32_f16_e64 v129, v7
.LBB348_209:                            ;   in Loop: Header=BB348_16 Depth=1
	s_or_b32 exec_lo, exec_lo, s23
.LBB348_210:                            ;   in Loop: Header=BB348_16 Depth=1
	s_delay_alu instid0(SALU_CYCLE_1)
	s_or_b32 exec_lo, exec_lo, s22
.LBB348_211:                            ;   in Loop: Header=BB348_16 Depth=1
	s_delay_alu instid0(SALU_CYCLE_1)
	s_or_b32 exec_lo, exec_lo, s21
	flat_load_b64 v[33:34], v[31:32] offset:520
	v_mov_b32_e32 v131, 0
	s_mov_b32 s21, exec_lo
	s_waitcnt vmcnt(0) lgkmcnt(0)
	v_dual_mov_b32 v132, 0 :: v_dual_and_b32 v7, 0xff, v33
	s_delay_alu instid0(VALU_DEP_1)
	v_cmpx_ne_u16_e32 0, v7
	s_cbranch_execz .LBB348_219
; %bb.212:                              ;   in Loop: Header=BB348_16 Depth=1
	v_bfrev_b32_e32 v131, 1
	s_mov_b32 s22, exec_lo
	v_cmpx_ne_u16_e32 0x80, v7
	s_cbranch_execz .LBB348_218
; %bb.213:                              ;   in Loop: Header=BB348_16 Depth=1
	v_and_b32_e32 v35, 0x7f, v33
	v_mov_b32_e32 v131, 0x7fc02000
	s_mov_b32 s23, exec_lo
	s_delay_alu instid0(VALU_DEP_2)
	v_cmpx_ne_u32_e32 0x7f, v35
	s_cbranch_execz .LBB348_217
; %bb.214:                              ;   in Loop: Header=BB348_16 Depth=1
	v_lshrrev_b32_e32 v7, 3, v35
	v_cmp_gt_u32_e64 s1, 8, v35
	v_dual_mov_b32 v36, v34 :: v_dual_mov_b32 v35, v33
	s_delay_alu instid0(VALU_DEP_2)
	s_and_saveexec_b32 s24, s1
; %bb.215:                              ;   in Loop: Header=BB348_16 Depth=1
	v_and_b32_e32 v7, 7, v33
	s_delay_alu instid0(VALU_DEP_1) | instskip(NEXT) | instid1(VALU_DEP_1)
	v_clz_i32_u32_e32 v7, v7
	v_min_u32_e32 v7, 32, v7
	s_delay_alu instid0(VALU_DEP_1) | instskip(SKIP_1) | instid1(VALU_DEP_2)
	v_subrev_nc_u32_e32 v35, 28, v7
	v_sub_nc_u32_e32 v7, 29, v7
	v_lshlrev_b64 v[35:36], v35, v[33:34]
; %bb.216:                              ;   in Loop: Header=BB348_16 Depth=1
	s_or_b32 exec_lo, exec_lo, s24
	v_lshlrev_b32_e32 v36, 8, v33
	s_delay_alu instid0(VALU_DEP_3) | instskip(NEXT) | instid1(VALU_DEP_3)
	v_lshl_add_u32 v7, v7, 10, 0x2000
	v_lshlrev_b32_e32 v35, 7, v35
	s_delay_alu instid0(VALU_DEP_2) | instskip(NEXT) | instid1(VALU_DEP_1)
	v_and_or_b32 v7, 0x8000, v36, v7
	v_and_or_b32 v7, 0x380, v35, v7
	s_delay_alu instid0(VALU_DEP_1)
	v_cvt_f32_f16_e64 v131, v7
.LBB348_217:                            ;   in Loop: Header=BB348_16 Depth=1
	s_or_b32 exec_lo, exec_lo, s23
.LBB348_218:                            ;   in Loop: Header=BB348_16 Depth=1
	s_delay_alu instid0(SALU_CYCLE_1)
	s_or_b32 exec_lo, exec_lo, s22
.LBB348_219:                            ;   in Loop: Header=BB348_16 Depth=1
	s_delay_alu instid0(SALU_CYCLE_1) | instskip(SKIP_2) | instid1(VALU_DEP_1)
	s_or_b32 exec_lo, exec_lo, s21
	v_lshrrev_b16 v7, 8, v33
	s_mov_b32 s21, exec_lo
	v_cmpx_ne_u16_e32 0, v7
	s_cbranch_execz .LBB348_227
; %bb.220:                              ;   in Loop: Header=BB348_16 Depth=1
	v_bfrev_b32_e32 v132, 1
	s_mov_b32 s22, exec_lo
	v_cmpx_ne_u16_e32 0x80, v7
	s_cbranch_execz .LBB348_226
; %bb.221:                              ;   in Loop: Header=BB348_16 Depth=1
	v_and_b32_e32 v133, 0xffff, v7
	v_mov_b32_e32 v132, 0x7fc02000
	s_mov_b32 s23, exec_lo
	s_delay_alu instid0(VALU_DEP_2) | instskip(NEXT) | instid1(VALU_DEP_1)
	v_and_b32_e32 v35, 0x7f, v133
	v_cmpx_ne_u32_e32 0x7f, v35
	s_cbranch_execz .LBB348_225
; %bb.222:                              ;   in Loop: Header=BB348_16 Depth=1
	v_and_b32_e32 v7, 7, v133
	v_lshrrev_b32_e32 v132, 3, v35
	v_cmp_gt_u32_e64 s1, 8, v35
	s_delay_alu instid0(VALU_DEP_3) | instskip(NEXT) | instid1(VALU_DEP_2)
	v_dual_mov_b32 v36, v8 :: v_dual_mov_b32 v35, v7
	s_and_saveexec_b32 s24, s1
; %bb.223:                              ;   in Loop: Header=BB348_16 Depth=1
	v_clz_i32_u32_e32 v35, v7
	s_delay_alu instid0(VALU_DEP_1) | instskip(NEXT) | instid1(VALU_DEP_1)
	v_min_u32_e32 v132, 32, v35
	v_subrev_nc_u32_e32 v35, 28, v132
	v_sub_nc_u32_e32 v132, 29, v132
	s_delay_alu instid0(VALU_DEP_2) | instskip(NEXT) | instid1(VALU_DEP_1)
	v_lshlrev_b64 v[35:36], v35, v[7:8]
	v_and_b32_e32 v35, 7, v35
; %bb.224:                              ;   in Loop: Header=BB348_16 Depth=1
	s_or_b32 exec_lo, exec_lo, s24
	v_lshlrev_b32_e32 v7, 8, v133
	v_lshl_add_u32 v36, v132, 10, 0x2000
	s_delay_alu instid0(VALU_DEP_1) | instskip(NEXT) | instid1(VALU_DEP_1)
	v_and_or_b32 v7, 0x8000, v7, v36
	v_lshl_or_b32 v7, v35, 7, v7
	s_delay_alu instid0(VALU_DEP_1)
	v_cvt_f32_f16_e64 v132, v7
.LBB348_225:                            ;   in Loop: Header=BB348_16 Depth=1
	s_or_b32 exec_lo, exec_lo, s23
.LBB348_226:                            ;   in Loop: Header=BB348_16 Depth=1
	s_delay_alu instid0(SALU_CYCLE_1)
	s_or_b32 exec_lo, exec_lo, s22
.LBB348_227:                            ;   in Loop: Header=BB348_16 Depth=1
	s_delay_alu instid0(SALU_CYCLE_1) | instskip(SKIP_3) | instid1(VALU_DEP_2)
	s_or_b32 exec_lo, exec_lo, s21
	v_lshrrev_b32_e32 v135, 16, v33
	v_mov_b32_e32 v133, 0
	s_mov_b32 s21, exec_lo
	v_dual_mov_b32 v134, 0 :: v_dual_and_b32 v7, 0xff, v135
	s_delay_alu instid0(VALU_DEP_1)
	v_cmpx_ne_u16_e32 0, v7
	s_cbranch_execz .LBB348_235
; %bb.228:                              ;   in Loop: Header=BB348_16 Depth=1
	v_bfrev_b32_e32 v133, 1
	s_mov_b32 s22, exec_lo
	v_cmpx_ne_u16_e32 0x80, v7
	s_cbranch_execz .LBB348_234
; %bb.229:                              ;   in Loop: Header=BB348_16 Depth=1
	v_bfe_u32 v35, v33, 16, 7
	v_mov_b32_e32 v133, 0x7fc02000
	s_mov_b32 s23, exec_lo
	s_delay_alu instid0(VALU_DEP_2)
	v_cmpx_ne_u32_e32 0x7f, v35
	s_cbranch_execz .LBB348_233
; %bb.230:                              ;   in Loop: Header=BB348_16 Depth=1
	v_and_b32_e32 v7, 7, v135
	v_lshrrev_b32_e32 v133, 3, v35
	v_cmp_gt_u32_e64 s1, 8, v35
	s_delay_alu instid0(VALU_DEP_3) | instskip(NEXT) | instid1(VALU_DEP_2)
	v_dual_mov_b32 v36, v8 :: v_dual_mov_b32 v35, v7
	s_and_saveexec_b32 s24, s1
; %bb.231:                              ;   in Loop: Header=BB348_16 Depth=1
	v_clz_i32_u32_e32 v35, v7
	s_delay_alu instid0(VALU_DEP_1) | instskip(NEXT) | instid1(VALU_DEP_1)
	v_min_u32_e32 v133, 32, v35
	v_subrev_nc_u32_e32 v35, 28, v133
	v_sub_nc_u32_e32 v133, 29, v133
	s_delay_alu instid0(VALU_DEP_2) | instskip(NEXT) | instid1(VALU_DEP_1)
	v_lshlrev_b64 v[35:36], v35, v[7:8]
	v_and_b32_e32 v35, 7, v35
; %bb.232:                              ;   in Loop: Header=BB348_16 Depth=1
	s_or_b32 exec_lo, exec_lo, s24
	v_lshlrev_b32_e32 v7, 8, v135
	v_lshl_add_u32 v36, v133, 10, 0x2000
	s_delay_alu instid0(VALU_DEP_1) | instskip(NEXT) | instid1(VALU_DEP_1)
	v_and_or_b32 v7, 0x8000, v7, v36
	v_lshl_or_b32 v7, v35, 7, v7
	s_delay_alu instid0(VALU_DEP_1)
	v_cvt_f32_f16_e64 v133, v7
.LBB348_233:                            ;   in Loop: Header=BB348_16 Depth=1
	s_or_b32 exec_lo, exec_lo, s23
.LBB348_234:                            ;   in Loop: Header=BB348_16 Depth=1
	s_delay_alu instid0(SALU_CYCLE_1)
	s_or_b32 exec_lo, exec_lo, s22
.LBB348_235:                            ;   in Loop: Header=BB348_16 Depth=1
	s_delay_alu instid0(SALU_CYCLE_1) | instskip(NEXT) | instid1(SALU_CYCLE_1)
	s_or_b32 exec_lo, exec_lo, s21
	s_mov_b32 s21, exec_lo
	v_cmpx_lt_u32_e32 0xffffff, v33
	s_cbranch_execz .LBB348_243
; %bb.236:                              ;   in Loop: Header=BB348_16 Depth=1
	v_lshrrev_b32_e32 v135, 24, v33
	v_bfrev_b32_e32 v134, 1
	s_mov_b32 s22, exec_lo
	s_delay_alu instid0(VALU_DEP_2)
	v_cmpx_ne_u32_e32 0x80, v135
	s_cbranch_execz .LBB348_242
; %bb.237:                              ;   in Loop: Header=BB348_16 Depth=1
	v_and_b32_e32 v35, 0x7f, v135
	v_mov_b32_e32 v134, 0x7fc02000
	s_mov_b32 s23, exec_lo
	s_delay_alu instid0(VALU_DEP_2)
	v_cmpx_ne_u32_e32 0x7f, v35
	s_cbranch_execz .LBB348_241
; %bb.238:                              ;   in Loop: Header=BB348_16 Depth=1
	v_and_b32_e32 v7, 7, v135
	v_lshrrev_b32_e32 v134, 3, v35
	v_cmp_gt_u32_e64 s1, 8, v35
	s_delay_alu instid0(VALU_DEP_3) | instskip(NEXT) | instid1(VALU_DEP_2)
	v_dual_mov_b32 v36, v8 :: v_dual_mov_b32 v35, v7
	s_and_saveexec_b32 s24, s1
; %bb.239:                              ;   in Loop: Header=BB348_16 Depth=1
	v_clz_i32_u32_e32 v35, v7
	s_delay_alu instid0(VALU_DEP_1) | instskip(NEXT) | instid1(VALU_DEP_1)
	v_min_u32_e32 v134, 32, v35
	v_subrev_nc_u32_e32 v35, 28, v134
	v_sub_nc_u32_e32 v134, 29, v134
	s_delay_alu instid0(VALU_DEP_2) | instskip(NEXT) | instid1(VALU_DEP_1)
	v_lshlrev_b64 v[35:36], v35, v[7:8]
	v_and_b32_e32 v35, 7, v35
; %bb.240:                              ;   in Loop: Header=BB348_16 Depth=1
	s_or_b32 exec_lo, exec_lo, s24
	v_lshlrev_b32_e32 v7, 8, v135
	v_lshl_add_u32 v36, v134, 10, 0x2000
	s_delay_alu instid0(VALU_DEP_1) | instskip(NEXT) | instid1(VALU_DEP_1)
	v_and_or_b32 v7, 0x8000, v7, v36
	v_lshl_or_b32 v7, v35, 7, v7
	s_delay_alu instid0(VALU_DEP_1)
	v_cvt_f32_f16_e64 v134, v7
.LBB348_241:                            ;   in Loop: Header=BB348_16 Depth=1
	s_or_b32 exec_lo, exec_lo, s23
.LBB348_242:                            ;   in Loop: Header=BB348_16 Depth=1
	s_delay_alu instid0(SALU_CYCLE_1)
	s_or_b32 exec_lo, exec_lo, s22
.LBB348_243:                            ;   in Loop: Header=BB348_16 Depth=1
	s_delay_alu instid0(SALU_CYCLE_1) | instskip(SKIP_4) | instid1(VALU_DEP_3)
	s_or_b32 exec_lo, exec_lo, s21
	v_dual_mov_b32 v144, 0 :: v_dual_and_b32 v35, 0xff, v34
	v_mov_b32_e32 v7, v34
	v_mov_b32_e32 v135, 0
	s_mov_b32 s21, exec_lo
	v_cmpx_ne_u16_e32 0, v35
	s_cbranch_execz .LBB348_251
; %bb.244:                              ;   in Loop: Header=BB348_16 Depth=1
	v_bfrev_b32_e32 v135, 1
	s_mov_b32 s22, exec_lo
	v_cmpx_ne_u16_e32 0x80, v35
	s_cbranch_execz .LBB348_250
; %bb.245:                              ;   in Loop: Header=BB348_16 Depth=1
	v_and_b32_e32 v35, 0x7f, v34
	v_mov_b32_e32 v135, 0x7fc02000
	s_mov_b32 s23, exec_lo
	s_delay_alu instid0(VALU_DEP_2)
	v_cmpx_ne_u32_e32 0x7f, v35
	s_cbranch_execz .LBB348_249
; %bb.246:                              ;   in Loop: Header=BB348_16 Depth=1
	v_lshrrev_b32_e32 v135, 3, v35
	v_cmp_gt_u32_e64 s1, 8, v35
	v_dual_mov_b32 v36, v8 :: v_dual_mov_b32 v35, v7
	s_delay_alu instid0(VALU_DEP_2)
	s_and_saveexec_b32 s24, s1
; %bb.247:                              ;   in Loop: Header=BB348_16 Depth=1
	v_and_b32_e32 v35, 7, v34
	s_delay_alu instid0(VALU_DEP_1) | instskip(NEXT) | instid1(VALU_DEP_1)
	v_clz_i32_u32_e32 v35, v35
	v_min_u32_e32 v135, 32, v35
	s_delay_alu instid0(VALU_DEP_1) | instskip(SKIP_1) | instid1(VALU_DEP_2)
	v_subrev_nc_u32_e32 v35, 28, v135
	v_sub_nc_u32_e32 v135, 29, v135
	v_lshlrev_b64 v[35:36], v35, v[7:8]
; %bb.248:                              ;   in Loop: Header=BB348_16 Depth=1
	s_or_b32 exec_lo, exec_lo, s24
	v_lshlrev_b32_e32 v36, 8, v34
	s_delay_alu instid0(VALU_DEP_3) | instskip(NEXT) | instid1(VALU_DEP_3)
	v_lshl_add_u32 v135, v135, 10, 0x2000
	v_lshlrev_b32_e32 v35, 7, v35
	s_delay_alu instid0(VALU_DEP_2) | instskip(NEXT) | instid1(VALU_DEP_1)
	v_and_or_b32 v36, 0x8000, v36, v135
	v_and_or_b32 v35, 0x380, v35, v36
	s_delay_alu instid0(VALU_DEP_1)
	v_cvt_f32_f16_e64 v135, v35
.LBB348_249:                            ;   in Loop: Header=BB348_16 Depth=1
	s_or_b32 exec_lo, exec_lo, s23
.LBB348_250:                            ;   in Loop: Header=BB348_16 Depth=1
	s_delay_alu instid0(SALU_CYCLE_1)
	s_or_b32 exec_lo, exec_lo, s22
.LBB348_251:                            ;   in Loop: Header=BB348_16 Depth=1
	s_delay_alu instid0(SALU_CYCLE_1) | instskip(SKIP_2) | instid1(VALU_DEP_1)
	s_or_b32 exec_lo, exec_lo, s21
	v_lshrrev_b16 v7, 8, v7
	s_mov_b32 s21, exec_lo
	v_cmpx_ne_u16_e32 0, v7
	s_cbranch_execz .LBB348_259
; %bb.252:                              ;   in Loop: Header=BB348_16 Depth=1
	v_bfrev_b32_e32 v144, 1
	s_mov_b32 s22, exec_lo
	v_cmpx_ne_u16_e32 0x80, v7
	s_cbranch_execz .LBB348_258
; %bb.253:                              ;   in Loop: Header=BB348_16 Depth=1
	v_and_b32_e32 v145, 0xffff, v7
	v_mov_b32_e32 v144, 0x7fc02000
	s_mov_b32 s23, exec_lo
	s_delay_alu instid0(VALU_DEP_2) | instskip(NEXT) | instid1(VALU_DEP_1)
	v_and_b32_e32 v35, 0x7f, v145
	v_cmpx_ne_u32_e32 0x7f, v35
	s_cbranch_execz .LBB348_257
; %bb.254:                              ;   in Loop: Header=BB348_16 Depth=1
	v_and_b32_e32 v7, 7, v145
	v_lshrrev_b32_e32 v144, 3, v35
	v_cmp_gt_u32_e64 s1, 8, v35
	s_delay_alu instid0(VALU_DEP_3) | instskip(NEXT) | instid1(VALU_DEP_2)
	v_dual_mov_b32 v36, v8 :: v_dual_mov_b32 v35, v7
	s_and_saveexec_b32 s24, s1
; %bb.255:                              ;   in Loop: Header=BB348_16 Depth=1
	v_clz_i32_u32_e32 v35, v7
	s_delay_alu instid0(VALU_DEP_1) | instskip(NEXT) | instid1(VALU_DEP_1)
	v_min_u32_e32 v144, 32, v35
	v_subrev_nc_u32_e32 v35, 28, v144
	v_sub_nc_u32_e32 v144, 29, v144
	s_delay_alu instid0(VALU_DEP_2) | instskip(NEXT) | instid1(VALU_DEP_1)
	v_lshlrev_b64 v[35:36], v35, v[7:8]
	v_and_b32_e32 v35, 7, v35
; %bb.256:                              ;   in Loop: Header=BB348_16 Depth=1
	s_or_b32 exec_lo, exec_lo, s24
	v_lshlrev_b32_e32 v7, 8, v145
	v_lshl_add_u32 v36, v144, 10, 0x2000
	s_delay_alu instid0(VALU_DEP_1) | instskip(NEXT) | instid1(VALU_DEP_1)
	v_and_or_b32 v7, 0x8000, v7, v36
	v_lshl_or_b32 v7, v35, 7, v7
	s_delay_alu instid0(VALU_DEP_1)
	v_cvt_f32_f16_e64 v144, v7
.LBB348_257:                            ;   in Loop: Header=BB348_16 Depth=1
	s_or_b32 exec_lo, exec_lo, s23
.LBB348_258:                            ;   in Loop: Header=BB348_16 Depth=1
	s_delay_alu instid0(SALU_CYCLE_1)
	s_or_b32 exec_lo, exec_lo, s22
.LBB348_259:                            ;   in Loop: Header=BB348_16 Depth=1
	s_delay_alu instid0(SALU_CYCLE_1) | instskip(SKIP_3) | instid1(VALU_DEP_2)
	s_or_b32 exec_lo, exec_lo, s21
	v_lshrrev_b32_e32 v147, 16, v34
	v_mov_b32_e32 v145, 0
	s_mov_b32 s21, exec_lo
	v_dual_mov_b32 v146, 0 :: v_dual_and_b32 v7, 0xff, v147
	s_delay_alu instid0(VALU_DEP_1)
	v_cmpx_ne_u16_e32 0, v7
	s_cbranch_execz .LBB348_267
; %bb.260:                              ;   in Loop: Header=BB348_16 Depth=1
	v_bfrev_b32_e32 v146, 1
	s_mov_b32 s22, exec_lo
	v_cmpx_ne_u16_e32 0x80, v7
	s_cbranch_execz .LBB348_266
; %bb.261:                              ;   in Loop: Header=BB348_16 Depth=1
	v_bfe_u32 v35, v34, 16, 7
	v_mov_b32_e32 v146, 0x7fc02000
	s_mov_b32 s23, exec_lo
	s_delay_alu instid0(VALU_DEP_2)
	v_cmpx_ne_u32_e32 0x7f, v35
	s_cbranch_execz .LBB348_265
; %bb.262:                              ;   in Loop: Header=BB348_16 Depth=1
	v_and_b32_e32 v7, 7, v147
	v_lshrrev_b32_e32 v146, 3, v35
	v_cmp_gt_u32_e64 s1, 8, v35
	s_delay_alu instid0(VALU_DEP_3) | instskip(NEXT) | instid1(VALU_DEP_2)
	v_dual_mov_b32 v36, v8 :: v_dual_mov_b32 v35, v7
	s_and_saveexec_b32 s24, s1
; %bb.263:                              ;   in Loop: Header=BB348_16 Depth=1
	v_clz_i32_u32_e32 v35, v7
	s_delay_alu instid0(VALU_DEP_1) | instskip(NEXT) | instid1(VALU_DEP_1)
	v_min_u32_e32 v146, 32, v35
	v_subrev_nc_u32_e32 v35, 28, v146
	v_sub_nc_u32_e32 v146, 29, v146
	s_delay_alu instid0(VALU_DEP_2) | instskip(NEXT) | instid1(VALU_DEP_1)
	v_lshlrev_b64 v[35:36], v35, v[7:8]
	v_and_b32_e32 v35, 7, v35
; %bb.264:                              ;   in Loop: Header=BB348_16 Depth=1
	s_or_b32 exec_lo, exec_lo, s24
	v_lshlrev_b32_e32 v7, 8, v147
	v_lshl_add_u32 v36, v146, 10, 0x2000
	s_delay_alu instid0(VALU_DEP_1) | instskip(NEXT) | instid1(VALU_DEP_1)
	v_and_or_b32 v7, 0x8000, v7, v36
	v_lshl_or_b32 v7, v35, 7, v7
	s_delay_alu instid0(VALU_DEP_1)
	v_cvt_f32_f16_e64 v146, v7
.LBB348_265:                            ;   in Loop: Header=BB348_16 Depth=1
	s_or_b32 exec_lo, exec_lo, s23
.LBB348_266:                            ;   in Loop: Header=BB348_16 Depth=1
	s_delay_alu instid0(SALU_CYCLE_1)
	s_or_b32 exec_lo, exec_lo, s22
.LBB348_267:                            ;   in Loop: Header=BB348_16 Depth=1
	s_delay_alu instid0(SALU_CYCLE_1) | instskip(NEXT) | instid1(SALU_CYCLE_1)
	s_or_b32 exec_lo, exec_lo, s21
	s_mov_b32 s21, exec_lo
	v_cmpx_lt_u64_e64 s[8:9], v[33:34]
	s_cbranch_execz .LBB348_275
; %bb.268:                              ;   in Loop: Header=BB348_16 Depth=1
	v_lshrrev_b32_e32 v35, 24, v34
	v_bfrev_b32_e32 v145, 1
	s_mov_b32 s22, exec_lo
	s_delay_alu instid0(VALU_DEP_2)
	v_cmpx_ne_u32_e32 0x80, v35
	s_cbranch_execz .LBB348_274
; %bb.269:                              ;   in Loop: Header=BB348_16 Depth=1
	v_and_b32_e32 v33, 0x7f, v35
	v_mov_b32_e32 v145, 0x7fc02000
	s_mov_b32 s23, exec_lo
	s_delay_alu instid0(VALU_DEP_2)
	v_cmpx_ne_u32_e32 0x7f, v33
	s_cbranch_execz .LBB348_273
; %bb.270:                              ;   in Loop: Header=BB348_16 Depth=1
	v_and_b32_e32 v7, 7, v35
	v_lshrrev_b32_e32 v36, 3, v33
	v_cmp_gt_u32_e64 s1, 8, v33
	s_delay_alu instid0(VALU_DEP_3) | instskip(NEXT) | instid1(VALU_DEP_2)
	v_dual_mov_b32 v34, v8 :: v_dual_mov_b32 v33, v7
	s_and_saveexec_b32 s24, s1
; %bb.271:                              ;   in Loop: Header=BB348_16 Depth=1
	v_clz_i32_u32_e32 v33, v7
	s_delay_alu instid0(VALU_DEP_1) | instskip(NEXT) | instid1(VALU_DEP_1)
	v_min_u32_e32 v36, 32, v33
	v_subrev_nc_u32_e32 v33, 28, v36
	v_sub_nc_u32_e32 v36, 29, v36
	s_delay_alu instid0(VALU_DEP_2) | instskip(NEXT) | instid1(VALU_DEP_1)
	v_lshlrev_b64 v[33:34], v33, v[7:8]
	v_and_b32_e32 v33, 7, v33
; %bb.272:                              ;   in Loop: Header=BB348_16 Depth=1
	s_or_b32 exec_lo, exec_lo, s24
	v_lshlrev_b32_e32 v7, 8, v35
	v_lshl_add_u32 v34, v36, 10, 0x2000
	s_delay_alu instid0(VALU_DEP_1) | instskip(NEXT) | instid1(VALU_DEP_1)
	v_and_or_b32 v7, 0x8000, v7, v34
	v_lshl_or_b32 v7, v33, 7, v7
	s_delay_alu instid0(VALU_DEP_1)
	v_cvt_f32_f16_e64 v145, v7
.LBB348_273:                            ;   in Loop: Header=BB348_16 Depth=1
	s_or_b32 exec_lo, exec_lo, s23
.LBB348_274:                            ;   in Loop: Header=BB348_16 Depth=1
	s_delay_alu instid0(SALU_CYCLE_1)
	s_or_b32 exec_lo, exec_lo, s22
.LBB348_275:                            ;   in Loop: Header=BB348_16 Depth=1
	s_delay_alu instid0(SALU_CYCLE_1)
	s_or_b32 exec_lo, exec_lo, s21
	flat_load_b64 v[33:34], v[31:32] offset:1024
	v_mov_b32_e32 v147, 0
	s_mov_b32 s21, exec_lo
	s_waitcnt vmcnt(0) lgkmcnt(0)
	v_dual_mov_b32 v148, 0 :: v_dual_and_b32 v7, 0xff, v33
	s_delay_alu instid0(VALU_DEP_1)
	v_cmpx_ne_u16_e32 0, v7
	s_cbranch_execz .LBB348_283
; %bb.276:                              ;   in Loop: Header=BB348_16 Depth=1
	v_bfrev_b32_e32 v147, 1
	s_mov_b32 s22, exec_lo
	v_cmpx_ne_u16_e32 0x80, v7
	s_cbranch_execz .LBB348_282
; %bb.277:                              ;   in Loop: Header=BB348_16 Depth=1
	v_and_b32_e32 v35, 0x7f, v33
	v_mov_b32_e32 v147, 0x7fc02000
	s_mov_b32 s23, exec_lo
	s_delay_alu instid0(VALU_DEP_2)
	v_cmpx_ne_u32_e32 0x7f, v35
	s_cbranch_execz .LBB348_281
; %bb.278:                              ;   in Loop: Header=BB348_16 Depth=1
	v_lshrrev_b32_e32 v7, 3, v35
	v_cmp_gt_u32_e64 s1, 8, v35
	v_dual_mov_b32 v36, v34 :: v_dual_mov_b32 v35, v33
	s_delay_alu instid0(VALU_DEP_2)
	s_and_saveexec_b32 s24, s1
; %bb.279:                              ;   in Loop: Header=BB348_16 Depth=1
	v_and_b32_e32 v7, 7, v33
	s_delay_alu instid0(VALU_DEP_1) | instskip(NEXT) | instid1(VALU_DEP_1)
	v_clz_i32_u32_e32 v7, v7
	v_min_u32_e32 v7, 32, v7
	s_delay_alu instid0(VALU_DEP_1) | instskip(SKIP_1) | instid1(VALU_DEP_2)
	v_subrev_nc_u32_e32 v35, 28, v7
	v_sub_nc_u32_e32 v7, 29, v7
	v_lshlrev_b64 v[35:36], v35, v[33:34]
; %bb.280:                              ;   in Loop: Header=BB348_16 Depth=1
	s_or_b32 exec_lo, exec_lo, s24
	v_lshlrev_b32_e32 v36, 8, v33
	s_delay_alu instid0(VALU_DEP_3) | instskip(NEXT) | instid1(VALU_DEP_3)
	v_lshl_add_u32 v7, v7, 10, 0x2000
	v_lshlrev_b32_e32 v35, 7, v35
	s_delay_alu instid0(VALU_DEP_2) | instskip(NEXT) | instid1(VALU_DEP_1)
	v_and_or_b32 v7, 0x8000, v36, v7
	v_and_or_b32 v7, 0x380, v35, v7
	s_delay_alu instid0(VALU_DEP_1)
	v_cvt_f32_f16_e64 v147, v7
.LBB348_281:                            ;   in Loop: Header=BB348_16 Depth=1
	s_or_b32 exec_lo, exec_lo, s23
.LBB348_282:                            ;   in Loop: Header=BB348_16 Depth=1
	s_delay_alu instid0(SALU_CYCLE_1)
	s_or_b32 exec_lo, exec_lo, s22
.LBB348_283:                            ;   in Loop: Header=BB348_16 Depth=1
	s_delay_alu instid0(SALU_CYCLE_1) | instskip(SKIP_2) | instid1(VALU_DEP_1)
	s_or_b32 exec_lo, exec_lo, s21
	v_lshrrev_b16 v7, 8, v33
	s_mov_b32 s21, exec_lo
	v_cmpx_ne_u16_e32 0, v7
	s_cbranch_execz .LBB348_291
; %bb.284:                              ;   in Loop: Header=BB348_16 Depth=1
	v_bfrev_b32_e32 v148, 1
	s_mov_b32 s22, exec_lo
	v_cmpx_ne_u16_e32 0x80, v7
	s_cbranch_execz .LBB348_290
; %bb.285:                              ;   in Loop: Header=BB348_16 Depth=1
	v_and_b32_e32 v149, 0xffff, v7
	v_mov_b32_e32 v148, 0x7fc02000
	s_mov_b32 s23, exec_lo
	s_delay_alu instid0(VALU_DEP_2) | instskip(NEXT) | instid1(VALU_DEP_1)
	v_and_b32_e32 v35, 0x7f, v149
	v_cmpx_ne_u32_e32 0x7f, v35
	s_cbranch_execz .LBB348_289
; %bb.286:                              ;   in Loop: Header=BB348_16 Depth=1
	v_and_b32_e32 v7, 7, v149
	v_lshrrev_b32_e32 v148, 3, v35
	v_cmp_gt_u32_e64 s1, 8, v35
	s_delay_alu instid0(VALU_DEP_3) | instskip(NEXT) | instid1(VALU_DEP_2)
	v_dual_mov_b32 v36, v8 :: v_dual_mov_b32 v35, v7
	s_and_saveexec_b32 s24, s1
; %bb.287:                              ;   in Loop: Header=BB348_16 Depth=1
	v_clz_i32_u32_e32 v35, v7
	s_delay_alu instid0(VALU_DEP_1) | instskip(NEXT) | instid1(VALU_DEP_1)
	v_min_u32_e32 v148, 32, v35
	v_subrev_nc_u32_e32 v35, 28, v148
	v_sub_nc_u32_e32 v148, 29, v148
	s_delay_alu instid0(VALU_DEP_2) | instskip(NEXT) | instid1(VALU_DEP_1)
	v_lshlrev_b64 v[35:36], v35, v[7:8]
	v_and_b32_e32 v35, 7, v35
; %bb.288:                              ;   in Loop: Header=BB348_16 Depth=1
	s_or_b32 exec_lo, exec_lo, s24
	v_lshlrev_b32_e32 v7, 8, v149
	v_lshl_add_u32 v36, v148, 10, 0x2000
	s_delay_alu instid0(VALU_DEP_1) | instskip(NEXT) | instid1(VALU_DEP_1)
	v_and_or_b32 v7, 0x8000, v7, v36
	v_lshl_or_b32 v7, v35, 7, v7
	s_delay_alu instid0(VALU_DEP_1)
	v_cvt_f32_f16_e64 v148, v7
.LBB348_289:                            ;   in Loop: Header=BB348_16 Depth=1
	s_or_b32 exec_lo, exec_lo, s23
.LBB348_290:                            ;   in Loop: Header=BB348_16 Depth=1
	s_delay_alu instid0(SALU_CYCLE_1)
	s_or_b32 exec_lo, exec_lo, s22
.LBB348_291:                            ;   in Loop: Header=BB348_16 Depth=1
	s_delay_alu instid0(SALU_CYCLE_1) | instskip(SKIP_3) | instid1(VALU_DEP_2)
	s_or_b32 exec_lo, exec_lo, s21
	v_lshrrev_b32_e32 v151, 16, v33
	v_mov_b32_e32 v149, 0
	s_mov_b32 s21, exec_lo
	v_dual_mov_b32 v150, 0 :: v_dual_and_b32 v7, 0xff, v151
	s_delay_alu instid0(VALU_DEP_1)
	v_cmpx_ne_u16_e32 0, v7
	s_cbranch_execz .LBB348_299
; %bb.292:                              ;   in Loop: Header=BB348_16 Depth=1
	v_bfrev_b32_e32 v149, 1
	s_mov_b32 s22, exec_lo
	v_cmpx_ne_u16_e32 0x80, v7
	s_cbranch_execz .LBB348_298
; %bb.293:                              ;   in Loop: Header=BB348_16 Depth=1
	v_bfe_u32 v35, v33, 16, 7
	v_mov_b32_e32 v149, 0x7fc02000
	s_mov_b32 s23, exec_lo
	s_delay_alu instid0(VALU_DEP_2)
	v_cmpx_ne_u32_e32 0x7f, v35
	s_cbranch_execz .LBB348_297
; %bb.294:                              ;   in Loop: Header=BB348_16 Depth=1
	v_and_b32_e32 v7, 7, v151
	v_lshrrev_b32_e32 v149, 3, v35
	v_cmp_gt_u32_e64 s1, 8, v35
	s_delay_alu instid0(VALU_DEP_3) | instskip(NEXT) | instid1(VALU_DEP_2)
	v_dual_mov_b32 v36, v8 :: v_dual_mov_b32 v35, v7
	s_and_saveexec_b32 s24, s1
; %bb.295:                              ;   in Loop: Header=BB348_16 Depth=1
	v_clz_i32_u32_e32 v35, v7
	s_delay_alu instid0(VALU_DEP_1) | instskip(NEXT) | instid1(VALU_DEP_1)
	v_min_u32_e32 v149, 32, v35
	v_subrev_nc_u32_e32 v35, 28, v149
	v_sub_nc_u32_e32 v149, 29, v149
	s_delay_alu instid0(VALU_DEP_2) | instskip(NEXT) | instid1(VALU_DEP_1)
	v_lshlrev_b64 v[35:36], v35, v[7:8]
	v_and_b32_e32 v35, 7, v35
; %bb.296:                              ;   in Loop: Header=BB348_16 Depth=1
	s_or_b32 exec_lo, exec_lo, s24
	v_lshlrev_b32_e32 v7, 8, v151
	v_lshl_add_u32 v36, v149, 10, 0x2000
	s_delay_alu instid0(VALU_DEP_1) | instskip(NEXT) | instid1(VALU_DEP_1)
	v_and_or_b32 v7, 0x8000, v7, v36
	v_lshl_or_b32 v7, v35, 7, v7
	s_delay_alu instid0(VALU_DEP_1)
	v_cvt_f32_f16_e64 v149, v7
.LBB348_297:                            ;   in Loop: Header=BB348_16 Depth=1
	s_or_b32 exec_lo, exec_lo, s23
.LBB348_298:                            ;   in Loop: Header=BB348_16 Depth=1
	s_delay_alu instid0(SALU_CYCLE_1)
	s_or_b32 exec_lo, exec_lo, s22
.LBB348_299:                            ;   in Loop: Header=BB348_16 Depth=1
	s_delay_alu instid0(SALU_CYCLE_1) | instskip(NEXT) | instid1(SALU_CYCLE_1)
	s_or_b32 exec_lo, exec_lo, s21
	s_mov_b32 s21, exec_lo
	v_cmpx_lt_u32_e32 0xffffff, v33
	s_cbranch_execz .LBB348_307
; %bb.300:                              ;   in Loop: Header=BB348_16 Depth=1
	v_lshrrev_b32_e32 v151, 24, v33
	v_bfrev_b32_e32 v150, 1
	s_mov_b32 s22, exec_lo
	s_delay_alu instid0(VALU_DEP_2)
	v_cmpx_ne_u32_e32 0x80, v151
	s_cbranch_execz .LBB348_306
; %bb.301:                              ;   in Loop: Header=BB348_16 Depth=1
	v_and_b32_e32 v35, 0x7f, v151
	v_mov_b32_e32 v150, 0x7fc02000
	s_mov_b32 s23, exec_lo
	s_delay_alu instid0(VALU_DEP_2)
	v_cmpx_ne_u32_e32 0x7f, v35
	s_cbranch_execz .LBB348_305
; %bb.302:                              ;   in Loop: Header=BB348_16 Depth=1
	v_and_b32_e32 v7, 7, v151
	v_lshrrev_b32_e32 v150, 3, v35
	v_cmp_gt_u32_e64 s1, 8, v35
	s_delay_alu instid0(VALU_DEP_3) | instskip(NEXT) | instid1(VALU_DEP_2)
	v_dual_mov_b32 v36, v8 :: v_dual_mov_b32 v35, v7
	s_and_saveexec_b32 s24, s1
; %bb.303:                              ;   in Loop: Header=BB348_16 Depth=1
	v_clz_i32_u32_e32 v35, v7
	s_delay_alu instid0(VALU_DEP_1) | instskip(NEXT) | instid1(VALU_DEP_1)
	v_min_u32_e32 v150, 32, v35
	v_subrev_nc_u32_e32 v35, 28, v150
	v_sub_nc_u32_e32 v150, 29, v150
	s_delay_alu instid0(VALU_DEP_2) | instskip(NEXT) | instid1(VALU_DEP_1)
	v_lshlrev_b64 v[35:36], v35, v[7:8]
	v_and_b32_e32 v35, 7, v35
; %bb.304:                              ;   in Loop: Header=BB348_16 Depth=1
	s_or_b32 exec_lo, exec_lo, s24
	v_lshlrev_b32_e32 v7, 8, v151
	v_lshl_add_u32 v36, v150, 10, 0x2000
	s_delay_alu instid0(VALU_DEP_1) | instskip(NEXT) | instid1(VALU_DEP_1)
	v_and_or_b32 v7, 0x8000, v7, v36
	v_lshl_or_b32 v7, v35, 7, v7
	s_delay_alu instid0(VALU_DEP_1)
	v_cvt_f32_f16_e64 v150, v7
.LBB348_305:                            ;   in Loop: Header=BB348_16 Depth=1
	s_or_b32 exec_lo, exec_lo, s23
.LBB348_306:                            ;   in Loop: Header=BB348_16 Depth=1
	s_delay_alu instid0(SALU_CYCLE_1)
	s_or_b32 exec_lo, exec_lo, s22
.LBB348_307:                            ;   in Loop: Header=BB348_16 Depth=1
	s_delay_alu instid0(SALU_CYCLE_1) | instskip(SKIP_4) | instid1(VALU_DEP_3)
	s_or_b32 exec_lo, exec_lo, s21
	v_dual_mov_b32 v160, 0 :: v_dual_and_b32 v35, 0xff, v34
	v_mov_b32_e32 v7, v34
	v_mov_b32_e32 v151, 0
	s_mov_b32 s21, exec_lo
	v_cmpx_ne_u16_e32 0, v35
	s_cbranch_execz .LBB348_315
; %bb.308:                              ;   in Loop: Header=BB348_16 Depth=1
	v_bfrev_b32_e32 v151, 1
	s_mov_b32 s22, exec_lo
	v_cmpx_ne_u16_e32 0x80, v35
	s_cbranch_execz .LBB348_314
; %bb.309:                              ;   in Loop: Header=BB348_16 Depth=1
	v_and_b32_e32 v35, 0x7f, v34
	v_mov_b32_e32 v151, 0x7fc02000
	s_mov_b32 s23, exec_lo
	s_delay_alu instid0(VALU_DEP_2)
	v_cmpx_ne_u32_e32 0x7f, v35
	s_cbranch_execz .LBB348_313
; %bb.310:                              ;   in Loop: Header=BB348_16 Depth=1
	v_lshrrev_b32_e32 v151, 3, v35
	v_cmp_gt_u32_e64 s1, 8, v35
	v_dual_mov_b32 v36, v8 :: v_dual_mov_b32 v35, v7
	s_delay_alu instid0(VALU_DEP_2)
	s_and_saveexec_b32 s24, s1
; %bb.311:                              ;   in Loop: Header=BB348_16 Depth=1
	v_and_b32_e32 v35, 7, v34
	s_delay_alu instid0(VALU_DEP_1) | instskip(NEXT) | instid1(VALU_DEP_1)
	v_clz_i32_u32_e32 v35, v35
	v_min_u32_e32 v151, 32, v35
	s_delay_alu instid0(VALU_DEP_1) | instskip(SKIP_1) | instid1(VALU_DEP_2)
	v_subrev_nc_u32_e32 v35, 28, v151
	v_sub_nc_u32_e32 v151, 29, v151
	v_lshlrev_b64 v[35:36], v35, v[7:8]
; %bb.312:                              ;   in Loop: Header=BB348_16 Depth=1
	s_or_b32 exec_lo, exec_lo, s24
	v_lshlrev_b32_e32 v36, 8, v34
	s_delay_alu instid0(VALU_DEP_3) | instskip(NEXT) | instid1(VALU_DEP_3)
	v_lshl_add_u32 v151, v151, 10, 0x2000
	v_lshlrev_b32_e32 v35, 7, v35
	s_delay_alu instid0(VALU_DEP_2) | instskip(NEXT) | instid1(VALU_DEP_1)
	v_and_or_b32 v36, 0x8000, v36, v151
	v_and_or_b32 v35, 0x380, v35, v36
	s_delay_alu instid0(VALU_DEP_1)
	v_cvt_f32_f16_e64 v151, v35
.LBB348_313:                            ;   in Loop: Header=BB348_16 Depth=1
	s_or_b32 exec_lo, exec_lo, s23
.LBB348_314:                            ;   in Loop: Header=BB348_16 Depth=1
	s_delay_alu instid0(SALU_CYCLE_1)
	s_or_b32 exec_lo, exec_lo, s22
.LBB348_315:                            ;   in Loop: Header=BB348_16 Depth=1
	s_delay_alu instid0(SALU_CYCLE_1) | instskip(SKIP_2) | instid1(VALU_DEP_1)
	s_or_b32 exec_lo, exec_lo, s21
	v_lshrrev_b16 v7, 8, v7
	s_mov_b32 s21, exec_lo
	v_cmpx_ne_u16_e32 0, v7
	s_cbranch_execz .LBB348_323
; %bb.316:                              ;   in Loop: Header=BB348_16 Depth=1
	v_bfrev_b32_e32 v160, 1
	s_mov_b32 s22, exec_lo
	v_cmpx_ne_u16_e32 0x80, v7
	s_cbranch_execz .LBB348_322
; %bb.317:                              ;   in Loop: Header=BB348_16 Depth=1
	v_and_b32_e32 v161, 0xffff, v7
	v_mov_b32_e32 v160, 0x7fc02000
	s_mov_b32 s23, exec_lo
	s_delay_alu instid0(VALU_DEP_2) | instskip(NEXT) | instid1(VALU_DEP_1)
	v_and_b32_e32 v35, 0x7f, v161
	v_cmpx_ne_u32_e32 0x7f, v35
	s_cbranch_execz .LBB348_321
; %bb.318:                              ;   in Loop: Header=BB348_16 Depth=1
	v_and_b32_e32 v7, 7, v161
	v_lshrrev_b32_e32 v160, 3, v35
	v_cmp_gt_u32_e64 s1, 8, v35
	s_delay_alu instid0(VALU_DEP_3) | instskip(NEXT) | instid1(VALU_DEP_2)
	v_dual_mov_b32 v36, v8 :: v_dual_mov_b32 v35, v7
	s_and_saveexec_b32 s24, s1
; %bb.319:                              ;   in Loop: Header=BB348_16 Depth=1
	v_clz_i32_u32_e32 v35, v7
	s_delay_alu instid0(VALU_DEP_1) | instskip(NEXT) | instid1(VALU_DEP_1)
	v_min_u32_e32 v160, 32, v35
	v_subrev_nc_u32_e32 v35, 28, v160
	v_sub_nc_u32_e32 v160, 29, v160
	s_delay_alu instid0(VALU_DEP_2) | instskip(NEXT) | instid1(VALU_DEP_1)
	v_lshlrev_b64 v[35:36], v35, v[7:8]
	v_and_b32_e32 v35, 7, v35
; %bb.320:                              ;   in Loop: Header=BB348_16 Depth=1
	s_or_b32 exec_lo, exec_lo, s24
	v_lshlrev_b32_e32 v7, 8, v161
	v_lshl_add_u32 v36, v160, 10, 0x2000
	s_delay_alu instid0(VALU_DEP_1) | instskip(NEXT) | instid1(VALU_DEP_1)
	v_and_or_b32 v7, 0x8000, v7, v36
	v_lshl_or_b32 v7, v35, 7, v7
	s_delay_alu instid0(VALU_DEP_1)
	v_cvt_f32_f16_e64 v160, v7
.LBB348_321:                            ;   in Loop: Header=BB348_16 Depth=1
	s_or_b32 exec_lo, exec_lo, s23
.LBB348_322:                            ;   in Loop: Header=BB348_16 Depth=1
	s_delay_alu instid0(SALU_CYCLE_1)
	s_or_b32 exec_lo, exec_lo, s22
.LBB348_323:                            ;   in Loop: Header=BB348_16 Depth=1
	s_delay_alu instid0(SALU_CYCLE_1) | instskip(SKIP_3) | instid1(VALU_DEP_2)
	s_or_b32 exec_lo, exec_lo, s21
	v_lshrrev_b32_e32 v163, 16, v34
	v_mov_b32_e32 v161, 0
	s_mov_b32 s21, exec_lo
	v_dual_mov_b32 v162, 0 :: v_dual_and_b32 v7, 0xff, v163
	s_delay_alu instid0(VALU_DEP_1)
	v_cmpx_ne_u16_e32 0, v7
	s_cbranch_execz .LBB348_331
; %bb.324:                              ;   in Loop: Header=BB348_16 Depth=1
	v_bfrev_b32_e32 v162, 1
	s_mov_b32 s22, exec_lo
	v_cmpx_ne_u16_e32 0x80, v7
	s_cbranch_execz .LBB348_330
; %bb.325:                              ;   in Loop: Header=BB348_16 Depth=1
	v_bfe_u32 v35, v34, 16, 7
	v_mov_b32_e32 v162, 0x7fc02000
	s_mov_b32 s23, exec_lo
	s_delay_alu instid0(VALU_DEP_2)
	v_cmpx_ne_u32_e32 0x7f, v35
	s_cbranch_execz .LBB348_329
; %bb.326:                              ;   in Loop: Header=BB348_16 Depth=1
	v_and_b32_e32 v7, 7, v163
	v_lshrrev_b32_e32 v162, 3, v35
	v_cmp_gt_u32_e64 s1, 8, v35
	s_delay_alu instid0(VALU_DEP_3) | instskip(NEXT) | instid1(VALU_DEP_2)
	v_dual_mov_b32 v36, v8 :: v_dual_mov_b32 v35, v7
	s_and_saveexec_b32 s24, s1
; %bb.327:                              ;   in Loop: Header=BB348_16 Depth=1
	v_clz_i32_u32_e32 v35, v7
	s_delay_alu instid0(VALU_DEP_1) | instskip(NEXT) | instid1(VALU_DEP_1)
	v_min_u32_e32 v162, 32, v35
	v_subrev_nc_u32_e32 v35, 28, v162
	v_sub_nc_u32_e32 v162, 29, v162
	s_delay_alu instid0(VALU_DEP_2) | instskip(NEXT) | instid1(VALU_DEP_1)
	v_lshlrev_b64 v[35:36], v35, v[7:8]
	v_and_b32_e32 v35, 7, v35
; %bb.328:                              ;   in Loop: Header=BB348_16 Depth=1
	s_or_b32 exec_lo, exec_lo, s24
	v_lshlrev_b32_e32 v7, 8, v163
	v_lshl_add_u32 v36, v162, 10, 0x2000
	s_delay_alu instid0(VALU_DEP_1) | instskip(NEXT) | instid1(VALU_DEP_1)
	v_and_or_b32 v7, 0x8000, v7, v36
	v_lshl_or_b32 v7, v35, 7, v7
	s_delay_alu instid0(VALU_DEP_1)
	v_cvt_f32_f16_e64 v162, v7
.LBB348_329:                            ;   in Loop: Header=BB348_16 Depth=1
	s_or_b32 exec_lo, exec_lo, s23
.LBB348_330:                            ;   in Loop: Header=BB348_16 Depth=1
	s_delay_alu instid0(SALU_CYCLE_1)
	s_or_b32 exec_lo, exec_lo, s22
.LBB348_331:                            ;   in Loop: Header=BB348_16 Depth=1
	s_delay_alu instid0(SALU_CYCLE_1) | instskip(NEXT) | instid1(SALU_CYCLE_1)
	s_or_b32 exec_lo, exec_lo, s21
	s_mov_b32 s21, exec_lo
	v_cmpx_lt_u64_e64 s[8:9], v[33:34]
	s_cbranch_execz .LBB348_339
; %bb.332:                              ;   in Loop: Header=BB348_16 Depth=1
	v_lshrrev_b32_e32 v35, 24, v34
	v_bfrev_b32_e32 v161, 1
	s_mov_b32 s22, exec_lo
	s_delay_alu instid0(VALU_DEP_2)
	v_cmpx_ne_u32_e32 0x80, v35
	s_cbranch_execz .LBB348_338
; %bb.333:                              ;   in Loop: Header=BB348_16 Depth=1
	v_and_b32_e32 v33, 0x7f, v35
	v_mov_b32_e32 v161, 0x7fc02000
	s_mov_b32 s23, exec_lo
	s_delay_alu instid0(VALU_DEP_2)
	v_cmpx_ne_u32_e32 0x7f, v33
	s_cbranch_execz .LBB348_337
; %bb.334:                              ;   in Loop: Header=BB348_16 Depth=1
	v_and_b32_e32 v7, 7, v35
	v_lshrrev_b32_e32 v36, 3, v33
	v_cmp_gt_u32_e64 s1, 8, v33
	s_delay_alu instid0(VALU_DEP_3) | instskip(NEXT) | instid1(VALU_DEP_2)
	v_dual_mov_b32 v34, v8 :: v_dual_mov_b32 v33, v7
	s_and_saveexec_b32 s24, s1
; %bb.335:                              ;   in Loop: Header=BB348_16 Depth=1
	v_clz_i32_u32_e32 v33, v7
	s_delay_alu instid0(VALU_DEP_1) | instskip(NEXT) | instid1(VALU_DEP_1)
	v_min_u32_e32 v36, 32, v33
	v_subrev_nc_u32_e32 v33, 28, v36
	v_sub_nc_u32_e32 v36, 29, v36
	s_delay_alu instid0(VALU_DEP_2) | instskip(NEXT) | instid1(VALU_DEP_1)
	v_lshlrev_b64 v[33:34], v33, v[7:8]
	v_and_b32_e32 v33, 7, v33
; %bb.336:                              ;   in Loop: Header=BB348_16 Depth=1
	s_or_b32 exec_lo, exec_lo, s24
	v_lshlrev_b32_e32 v7, 8, v35
	v_lshl_add_u32 v34, v36, 10, 0x2000
	s_delay_alu instid0(VALU_DEP_1) | instskip(NEXT) | instid1(VALU_DEP_1)
	v_and_or_b32 v7, 0x8000, v7, v34
	v_lshl_or_b32 v7, v33, 7, v7
	s_delay_alu instid0(VALU_DEP_1)
	v_cvt_f32_f16_e64 v161, v7
.LBB348_337:                            ;   in Loop: Header=BB348_16 Depth=1
	s_or_b32 exec_lo, exec_lo, s23
.LBB348_338:                            ;   in Loop: Header=BB348_16 Depth=1
	s_delay_alu instid0(SALU_CYCLE_1)
	s_or_b32 exec_lo, exec_lo, s22
.LBB348_339:                            ;   in Loop: Header=BB348_16 Depth=1
	s_delay_alu instid0(SALU_CYCLE_1)
	s_or_b32 exec_lo, exec_lo, s21
	flat_load_b64 v[33:34], v[31:32] offset:1032
	v_mov_b32_e32 v163, 0
	s_mov_b32 s21, exec_lo
	s_waitcnt vmcnt(0) lgkmcnt(0)
	v_dual_mov_b32 v164, 0 :: v_dual_and_b32 v7, 0xff, v33
	s_delay_alu instid0(VALU_DEP_1)
	v_cmpx_ne_u16_e32 0, v7
	s_cbranch_execz .LBB348_347
; %bb.340:                              ;   in Loop: Header=BB348_16 Depth=1
	v_bfrev_b32_e32 v163, 1
	s_mov_b32 s22, exec_lo
	v_cmpx_ne_u16_e32 0x80, v7
	s_cbranch_execz .LBB348_346
; %bb.341:                              ;   in Loop: Header=BB348_16 Depth=1
	v_and_b32_e32 v35, 0x7f, v33
	v_mov_b32_e32 v163, 0x7fc02000
	s_mov_b32 s23, exec_lo
	s_delay_alu instid0(VALU_DEP_2)
	v_cmpx_ne_u32_e32 0x7f, v35
	s_cbranch_execz .LBB348_345
; %bb.342:                              ;   in Loop: Header=BB348_16 Depth=1
	v_lshrrev_b32_e32 v7, 3, v35
	v_cmp_gt_u32_e64 s1, 8, v35
	v_dual_mov_b32 v36, v34 :: v_dual_mov_b32 v35, v33
	s_delay_alu instid0(VALU_DEP_2)
	s_and_saveexec_b32 s24, s1
; %bb.343:                              ;   in Loop: Header=BB348_16 Depth=1
	v_and_b32_e32 v7, 7, v33
	s_delay_alu instid0(VALU_DEP_1) | instskip(NEXT) | instid1(VALU_DEP_1)
	v_clz_i32_u32_e32 v7, v7
	v_min_u32_e32 v7, 32, v7
	s_delay_alu instid0(VALU_DEP_1) | instskip(SKIP_1) | instid1(VALU_DEP_2)
	v_subrev_nc_u32_e32 v35, 28, v7
	v_sub_nc_u32_e32 v7, 29, v7
	v_lshlrev_b64 v[35:36], v35, v[33:34]
; %bb.344:                              ;   in Loop: Header=BB348_16 Depth=1
	s_or_b32 exec_lo, exec_lo, s24
	v_lshlrev_b32_e32 v36, 8, v33
	s_delay_alu instid0(VALU_DEP_3) | instskip(NEXT) | instid1(VALU_DEP_3)
	v_lshl_add_u32 v7, v7, 10, 0x2000
	v_lshlrev_b32_e32 v35, 7, v35
	s_delay_alu instid0(VALU_DEP_2) | instskip(NEXT) | instid1(VALU_DEP_1)
	v_and_or_b32 v7, 0x8000, v36, v7
	v_and_or_b32 v7, 0x380, v35, v7
	s_delay_alu instid0(VALU_DEP_1)
	v_cvt_f32_f16_e64 v163, v7
.LBB348_345:                            ;   in Loop: Header=BB348_16 Depth=1
	s_or_b32 exec_lo, exec_lo, s23
.LBB348_346:                            ;   in Loop: Header=BB348_16 Depth=1
	s_delay_alu instid0(SALU_CYCLE_1)
	s_or_b32 exec_lo, exec_lo, s22
.LBB348_347:                            ;   in Loop: Header=BB348_16 Depth=1
	s_delay_alu instid0(SALU_CYCLE_1) | instskip(SKIP_2) | instid1(VALU_DEP_1)
	s_or_b32 exec_lo, exec_lo, s21
	v_lshrrev_b16 v7, 8, v33
	s_mov_b32 s21, exec_lo
	v_cmpx_ne_u16_e32 0, v7
	s_cbranch_execz .LBB348_355
; %bb.348:                              ;   in Loop: Header=BB348_16 Depth=1
	v_bfrev_b32_e32 v164, 1
	s_mov_b32 s22, exec_lo
	v_cmpx_ne_u16_e32 0x80, v7
	s_cbranch_execz .LBB348_354
; %bb.349:                              ;   in Loop: Header=BB348_16 Depth=1
	v_and_b32_e32 v165, 0xffff, v7
	v_mov_b32_e32 v164, 0x7fc02000
	s_mov_b32 s23, exec_lo
	s_delay_alu instid0(VALU_DEP_2) | instskip(NEXT) | instid1(VALU_DEP_1)
	v_and_b32_e32 v35, 0x7f, v165
	v_cmpx_ne_u32_e32 0x7f, v35
	s_cbranch_execz .LBB348_353
; %bb.350:                              ;   in Loop: Header=BB348_16 Depth=1
	v_and_b32_e32 v7, 7, v165
	v_lshrrev_b32_e32 v164, 3, v35
	v_cmp_gt_u32_e64 s1, 8, v35
	s_delay_alu instid0(VALU_DEP_3) | instskip(NEXT) | instid1(VALU_DEP_2)
	v_dual_mov_b32 v36, v8 :: v_dual_mov_b32 v35, v7
	s_and_saveexec_b32 s24, s1
; %bb.351:                              ;   in Loop: Header=BB348_16 Depth=1
	v_clz_i32_u32_e32 v35, v7
	s_delay_alu instid0(VALU_DEP_1) | instskip(NEXT) | instid1(VALU_DEP_1)
	v_min_u32_e32 v164, 32, v35
	v_subrev_nc_u32_e32 v35, 28, v164
	v_sub_nc_u32_e32 v164, 29, v164
	s_delay_alu instid0(VALU_DEP_2) | instskip(NEXT) | instid1(VALU_DEP_1)
	v_lshlrev_b64 v[35:36], v35, v[7:8]
	v_and_b32_e32 v35, 7, v35
; %bb.352:                              ;   in Loop: Header=BB348_16 Depth=1
	s_or_b32 exec_lo, exec_lo, s24
	v_lshlrev_b32_e32 v7, 8, v165
	v_lshl_add_u32 v36, v164, 10, 0x2000
	s_delay_alu instid0(VALU_DEP_1) | instskip(NEXT) | instid1(VALU_DEP_1)
	v_and_or_b32 v7, 0x8000, v7, v36
	v_lshl_or_b32 v7, v35, 7, v7
	s_delay_alu instid0(VALU_DEP_1)
	v_cvt_f32_f16_e64 v164, v7
.LBB348_353:                            ;   in Loop: Header=BB348_16 Depth=1
	s_or_b32 exec_lo, exec_lo, s23
.LBB348_354:                            ;   in Loop: Header=BB348_16 Depth=1
	s_delay_alu instid0(SALU_CYCLE_1)
	s_or_b32 exec_lo, exec_lo, s22
.LBB348_355:                            ;   in Loop: Header=BB348_16 Depth=1
	s_delay_alu instid0(SALU_CYCLE_1) | instskip(SKIP_3) | instid1(VALU_DEP_2)
	s_or_b32 exec_lo, exec_lo, s21
	v_lshrrev_b32_e32 v167, 16, v33
	v_mov_b32_e32 v165, 0
	s_mov_b32 s21, exec_lo
	v_dual_mov_b32 v166, 0 :: v_dual_and_b32 v7, 0xff, v167
	s_delay_alu instid0(VALU_DEP_1)
	v_cmpx_ne_u16_e32 0, v7
	s_cbranch_execz .LBB348_363
; %bb.356:                              ;   in Loop: Header=BB348_16 Depth=1
	v_bfrev_b32_e32 v165, 1
	s_mov_b32 s22, exec_lo
	v_cmpx_ne_u16_e32 0x80, v7
	s_cbranch_execz .LBB348_362
; %bb.357:                              ;   in Loop: Header=BB348_16 Depth=1
	v_bfe_u32 v35, v33, 16, 7
	v_mov_b32_e32 v165, 0x7fc02000
	s_mov_b32 s23, exec_lo
	s_delay_alu instid0(VALU_DEP_2)
	v_cmpx_ne_u32_e32 0x7f, v35
	s_cbranch_execz .LBB348_361
; %bb.358:                              ;   in Loop: Header=BB348_16 Depth=1
	v_and_b32_e32 v7, 7, v167
	v_lshrrev_b32_e32 v165, 3, v35
	v_cmp_gt_u32_e64 s1, 8, v35
	s_delay_alu instid0(VALU_DEP_3) | instskip(NEXT) | instid1(VALU_DEP_2)
	v_dual_mov_b32 v36, v8 :: v_dual_mov_b32 v35, v7
	s_and_saveexec_b32 s24, s1
; %bb.359:                              ;   in Loop: Header=BB348_16 Depth=1
	v_clz_i32_u32_e32 v35, v7
	s_delay_alu instid0(VALU_DEP_1) | instskip(NEXT) | instid1(VALU_DEP_1)
	v_min_u32_e32 v165, 32, v35
	v_subrev_nc_u32_e32 v35, 28, v165
	v_sub_nc_u32_e32 v165, 29, v165
	s_delay_alu instid0(VALU_DEP_2) | instskip(NEXT) | instid1(VALU_DEP_1)
	v_lshlrev_b64 v[35:36], v35, v[7:8]
	v_and_b32_e32 v35, 7, v35
; %bb.360:                              ;   in Loop: Header=BB348_16 Depth=1
	s_or_b32 exec_lo, exec_lo, s24
	v_lshlrev_b32_e32 v7, 8, v167
	v_lshl_add_u32 v36, v165, 10, 0x2000
	s_delay_alu instid0(VALU_DEP_1) | instskip(NEXT) | instid1(VALU_DEP_1)
	v_and_or_b32 v7, 0x8000, v7, v36
	v_lshl_or_b32 v7, v35, 7, v7
	s_delay_alu instid0(VALU_DEP_1)
	v_cvt_f32_f16_e64 v165, v7
.LBB348_361:                            ;   in Loop: Header=BB348_16 Depth=1
	s_or_b32 exec_lo, exec_lo, s23
.LBB348_362:                            ;   in Loop: Header=BB348_16 Depth=1
	s_delay_alu instid0(SALU_CYCLE_1)
	s_or_b32 exec_lo, exec_lo, s22
.LBB348_363:                            ;   in Loop: Header=BB348_16 Depth=1
	s_delay_alu instid0(SALU_CYCLE_1) | instskip(NEXT) | instid1(SALU_CYCLE_1)
	s_or_b32 exec_lo, exec_lo, s21
	s_mov_b32 s21, exec_lo
	v_cmpx_lt_u32_e32 0xffffff, v33
	s_cbranch_execz .LBB348_371
; %bb.364:                              ;   in Loop: Header=BB348_16 Depth=1
	v_lshrrev_b32_e32 v167, 24, v33
	v_bfrev_b32_e32 v166, 1
	s_mov_b32 s22, exec_lo
	s_delay_alu instid0(VALU_DEP_2)
	v_cmpx_ne_u32_e32 0x80, v167
	s_cbranch_execz .LBB348_370
; %bb.365:                              ;   in Loop: Header=BB348_16 Depth=1
	v_and_b32_e32 v35, 0x7f, v167
	v_mov_b32_e32 v166, 0x7fc02000
	s_mov_b32 s23, exec_lo
	s_delay_alu instid0(VALU_DEP_2)
	v_cmpx_ne_u32_e32 0x7f, v35
	s_cbranch_execz .LBB348_369
; %bb.366:                              ;   in Loop: Header=BB348_16 Depth=1
	v_and_b32_e32 v7, 7, v167
	v_lshrrev_b32_e32 v166, 3, v35
	v_cmp_gt_u32_e64 s1, 8, v35
	s_delay_alu instid0(VALU_DEP_3) | instskip(NEXT) | instid1(VALU_DEP_2)
	v_dual_mov_b32 v36, v8 :: v_dual_mov_b32 v35, v7
	s_and_saveexec_b32 s24, s1
; %bb.367:                              ;   in Loop: Header=BB348_16 Depth=1
	v_clz_i32_u32_e32 v35, v7
	s_delay_alu instid0(VALU_DEP_1) | instskip(NEXT) | instid1(VALU_DEP_1)
	v_min_u32_e32 v166, 32, v35
	v_subrev_nc_u32_e32 v35, 28, v166
	v_sub_nc_u32_e32 v166, 29, v166
	s_delay_alu instid0(VALU_DEP_2) | instskip(NEXT) | instid1(VALU_DEP_1)
	v_lshlrev_b64 v[35:36], v35, v[7:8]
	v_and_b32_e32 v35, 7, v35
; %bb.368:                              ;   in Loop: Header=BB348_16 Depth=1
	s_or_b32 exec_lo, exec_lo, s24
	v_lshlrev_b32_e32 v7, 8, v167
	v_lshl_add_u32 v36, v166, 10, 0x2000
	s_delay_alu instid0(VALU_DEP_1) | instskip(NEXT) | instid1(VALU_DEP_1)
	v_and_or_b32 v7, 0x8000, v7, v36
	v_lshl_or_b32 v7, v35, 7, v7
	s_delay_alu instid0(VALU_DEP_1)
	v_cvt_f32_f16_e64 v166, v7
.LBB348_369:                            ;   in Loop: Header=BB348_16 Depth=1
	s_or_b32 exec_lo, exec_lo, s23
.LBB348_370:                            ;   in Loop: Header=BB348_16 Depth=1
	s_delay_alu instid0(SALU_CYCLE_1)
	s_or_b32 exec_lo, exec_lo, s22
.LBB348_371:                            ;   in Loop: Header=BB348_16 Depth=1
	s_delay_alu instid0(SALU_CYCLE_1) | instskip(SKIP_4) | instid1(VALU_DEP_3)
	s_or_b32 exec_lo, exec_lo, s21
	v_dual_mov_b32 v176, 0 :: v_dual_and_b32 v35, 0xff, v34
	v_mov_b32_e32 v7, v34
	v_mov_b32_e32 v167, 0
	s_mov_b32 s21, exec_lo
	v_cmpx_ne_u16_e32 0, v35
	s_cbranch_execz .LBB348_379
; %bb.372:                              ;   in Loop: Header=BB348_16 Depth=1
	v_bfrev_b32_e32 v167, 1
	s_mov_b32 s22, exec_lo
	v_cmpx_ne_u16_e32 0x80, v35
	s_cbranch_execz .LBB348_378
; %bb.373:                              ;   in Loop: Header=BB348_16 Depth=1
	v_and_b32_e32 v35, 0x7f, v34
	v_mov_b32_e32 v167, 0x7fc02000
	s_mov_b32 s23, exec_lo
	s_delay_alu instid0(VALU_DEP_2)
	v_cmpx_ne_u32_e32 0x7f, v35
	s_cbranch_execz .LBB348_377
; %bb.374:                              ;   in Loop: Header=BB348_16 Depth=1
	v_lshrrev_b32_e32 v167, 3, v35
	v_cmp_gt_u32_e64 s1, 8, v35
	v_dual_mov_b32 v36, v8 :: v_dual_mov_b32 v35, v7
	s_delay_alu instid0(VALU_DEP_2)
	s_and_saveexec_b32 s24, s1
; %bb.375:                              ;   in Loop: Header=BB348_16 Depth=1
	v_and_b32_e32 v35, 7, v34
	s_delay_alu instid0(VALU_DEP_1) | instskip(NEXT) | instid1(VALU_DEP_1)
	v_clz_i32_u32_e32 v35, v35
	v_min_u32_e32 v167, 32, v35
	s_delay_alu instid0(VALU_DEP_1) | instskip(SKIP_1) | instid1(VALU_DEP_2)
	v_subrev_nc_u32_e32 v35, 28, v167
	v_sub_nc_u32_e32 v167, 29, v167
	v_lshlrev_b64 v[35:36], v35, v[7:8]
; %bb.376:                              ;   in Loop: Header=BB348_16 Depth=1
	s_or_b32 exec_lo, exec_lo, s24
	v_lshlrev_b32_e32 v36, 8, v34
	s_delay_alu instid0(VALU_DEP_3) | instskip(NEXT) | instid1(VALU_DEP_3)
	v_lshl_add_u32 v167, v167, 10, 0x2000
	v_lshlrev_b32_e32 v35, 7, v35
	s_delay_alu instid0(VALU_DEP_2) | instskip(NEXT) | instid1(VALU_DEP_1)
	v_and_or_b32 v36, 0x8000, v36, v167
	v_and_or_b32 v35, 0x380, v35, v36
	s_delay_alu instid0(VALU_DEP_1)
	v_cvt_f32_f16_e64 v167, v35
.LBB348_377:                            ;   in Loop: Header=BB348_16 Depth=1
	s_or_b32 exec_lo, exec_lo, s23
.LBB348_378:                            ;   in Loop: Header=BB348_16 Depth=1
	s_delay_alu instid0(SALU_CYCLE_1)
	s_or_b32 exec_lo, exec_lo, s22
.LBB348_379:                            ;   in Loop: Header=BB348_16 Depth=1
	s_delay_alu instid0(SALU_CYCLE_1) | instskip(SKIP_2) | instid1(VALU_DEP_1)
	s_or_b32 exec_lo, exec_lo, s21
	v_lshrrev_b16 v7, 8, v7
	s_mov_b32 s21, exec_lo
	v_cmpx_ne_u16_e32 0, v7
	s_cbranch_execz .LBB348_387
; %bb.380:                              ;   in Loop: Header=BB348_16 Depth=1
	v_bfrev_b32_e32 v176, 1
	s_mov_b32 s22, exec_lo
	v_cmpx_ne_u16_e32 0x80, v7
	s_cbranch_execz .LBB348_386
; %bb.381:                              ;   in Loop: Header=BB348_16 Depth=1
	v_and_b32_e32 v177, 0xffff, v7
	v_mov_b32_e32 v176, 0x7fc02000
	s_mov_b32 s23, exec_lo
	s_delay_alu instid0(VALU_DEP_2) | instskip(NEXT) | instid1(VALU_DEP_1)
	v_and_b32_e32 v35, 0x7f, v177
	v_cmpx_ne_u32_e32 0x7f, v35
	s_cbranch_execz .LBB348_385
; %bb.382:                              ;   in Loop: Header=BB348_16 Depth=1
	v_and_b32_e32 v7, 7, v177
	v_lshrrev_b32_e32 v176, 3, v35
	v_cmp_gt_u32_e64 s1, 8, v35
	s_delay_alu instid0(VALU_DEP_3) | instskip(NEXT) | instid1(VALU_DEP_2)
	v_dual_mov_b32 v36, v8 :: v_dual_mov_b32 v35, v7
	s_and_saveexec_b32 s24, s1
; %bb.383:                              ;   in Loop: Header=BB348_16 Depth=1
	v_clz_i32_u32_e32 v35, v7
	s_delay_alu instid0(VALU_DEP_1) | instskip(NEXT) | instid1(VALU_DEP_1)
	v_min_u32_e32 v176, 32, v35
	v_subrev_nc_u32_e32 v35, 28, v176
	v_sub_nc_u32_e32 v176, 29, v176
	s_delay_alu instid0(VALU_DEP_2) | instskip(NEXT) | instid1(VALU_DEP_1)
	v_lshlrev_b64 v[35:36], v35, v[7:8]
	v_and_b32_e32 v35, 7, v35
; %bb.384:                              ;   in Loop: Header=BB348_16 Depth=1
	s_or_b32 exec_lo, exec_lo, s24
	v_lshlrev_b32_e32 v7, 8, v177
	v_lshl_add_u32 v36, v176, 10, 0x2000
	s_delay_alu instid0(VALU_DEP_1) | instskip(NEXT) | instid1(VALU_DEP_1)
	v_and_or_b32 v7, 0x8000, v7, v36
	v_lshl_or_b32 v7, v35, 7, v7
	s_delay_alu instid0(VALU_DEP_1)
	v_cvt_f32_f16_e64 v176, v7
.LBB348_385:                            ;   in Loop: Header=BB348_16 Depth=1
	s_or_b32 exec_lo, exec_lo, s23
.LBB348_386:                            ;   in Loop: Header=BB348_16 Depth=1
	s_delay_alu instid0(SALU_CYCLE_1)
	s_or_b32 exec_lo, exec_lo, s22
.LBB348_387:                            ;   in Loop: Header=BB348_16 Depth=1
	s_delay_alu instid0(SALU_CYCLE_1) | instskip(SKIP_3) | instid1(VALU_DEP_2)
	s_or_b32 exec_lo, exec_lo, s21
	v_lshrrev_b32_e32 v179, 16, v34
	v_mov_b32_e32 v177, 0
	s_mov_b32 s21, exec_lo
	v_dual_mov_b32 v178, 0 :: v_dual_and_b32 v7, 0xff, v179
	s_delay_alu instid0(VALU_DEP_1)
	v_cmpx_ne_u16_e32 0, v7
	s_cbranch_execz .LBB348_395
; %bb.388:                              ;   in Loop: Header=BB348_16 Depth=1
	v_bfrev_b32_e32 v178, 1
	s_mov_b32 s22, exec_lo
	v_cmpx_ne_u16_e32 0x80, v7
	s_cbranch_execz .LBB348_394
; %bb.389:                              ;   in Loop: Header=BB348_16 Depth=1
	v_bfe_u32 v35, v34, 16, 7
	v_mov_b32_e32 v178, 0x7fc02000
	s_mov_b32 s23, exec_lo
	s_delay_alu instid0(VALU_DEP_2)
	v_cmpx_ne_u32_e32 0x7f, v35
	s_cbranch_execz .LBB348_393
; %bb.390:                              ;   in Loop: Header=BB348_16 Depth=1
	v_and_b32_e32 v7, 7, v179
	v_lshrrev_b32_e32 v178, 3, v35
	v_cmp_gt_u32_e64 s1, 8, v35
	s_delay_alu instid0(VALU_DEP_3) | instskip(NEXT) | instid1(VALU_DEP_2)
	v_dual_mov_b32 v36, v8 :: v_dual_mov_b32 v35, v7
	s_and_saveexec_b32 s24, s1
; %bb.391:                              ;   in Loop: Header=BB348_16 Depth=1
	v_clz_i32_u32_e32 v35, v7
	s_delay_alu instid0(VALU_DEP_1) | instskip(NEXT) | instid1(VALU_DEP_1)
	v_min_u32_e32 v178, 32, v35
	v_subrev_nc_u32_e32 v35, 28, v178
	v_sub_nc_u32_e32 v178, 29, v178
	s_delay_alu instid0(VALU_DEP_2) | instskip(NEXT) | instid1(VALU_DEP_1)
	v_lshlrev_b64 v[35:36], v35, v[7:8]
	v_and_b32_e32 v35, 7, v35
; %bb.392:                              ;   in Loop: Header=BB348_16 Depth=1
	s_or_b32 exec_lo, exec_lo, s24
	v_lshlrev_b32_e32 v7, 8, v179
	v_lshl_add_u32 v36, v178, 10, 0x2000
	s_delay_alu instid0(VALU_DEP_1) | instskip(NEXT) | instid1(VALU_DEP_1)
	v_and_or_b32 v7, 0x8000, v7, v36
	v_lshl_or_b32 v7, v35, 7, v7
	s_delay_alu instid0(VALU_DEP_1)
	v_cvt_f32_f16_e64 v178, v7
.LBB348_393:                            ;   in Loop: Header=BB348_16 Depth=1
	s_or_b32 exec_lo, exec_lo, s23
.LBB348_394:                            ;   in Loop: Header=BB348_16 Depth=1
	s_delay_alu instid0(SALU_CYCLE_1)
	s_or_b32 exec_lo, exec_lo, s22
.LBB348_395:                            ;   in Loop: Header=BB348_16 Depth=1
	s_delay_alu instid0(SALU_CYCLE_1) | instskip(NEXT) | instid1(SALU_CYCLE_1)
	s_or_b32 exec_lo, exec_lo, s21
	s_mov_b32 s21, exec_lo
	v_cmpx_lt_u64_e64 s[8:9], v[33:34]
	s_cbranch_execz .LBB348_403
; %bb.396:                              ;   in Loop: Header=BB348_16 Depth=1
	v_lshrrev_b32_e32 v35, 24, v34
	v_bfrev_b32_e32 v177, 1
	s_mov_b32 s22, exec_lo
	s_delay_alu instid0(VALU_DEP_2)
	v_cmpx_ne_u32_e32 0x80, v35
	s_cbranch_execz .LBB348_402
; %bb.397:                              ;   in Loop: Header=BB348_16 Depth=1
	v_and_b32_e32 v33, 0x7f, v35
	v_mov_b32_e32 v177, 0x7fc02000
	s_mov_b32 s23, exec_lo
	s_delay_alu instid0(VALU_DEP_2)
	v_cmpx_ne_u32_e32 0x7f, v33
	s_cbranch_execz .LBB348_401
; %bb.398:                              ;   in Loop: Header=BB348_16 Depth=1
	v_and_b32_e32 v7, 7, v35
	v_lshrrev_b32_e32 v36, 3, v33
	v_cmp_gt_u32_e64 s1, 8, v33
	s_delay_alu instid0(VALU_DEP_3) | instskip(NEXT) | instid1(VALU_DEP_2)
	v_dual_mov_b32 v34, v8 :: v_dual_mov_b32 v33, v7
	s_and_saveexec_b32 s24, s1
; %bb.399:                              ;   in Loop: Header=BB348_16 Depth=1
	v_clz_i32_u32_e32 v33, v7
	s_delay_alu instid0(VALU_DEP_1) | instskip(NEXT) | instid1(VALU_DEP_1)
	v_min_u32_e32 v36, 32, v33
	v_subrev_nc_u32_e32 v33, 28, v36
	v_sub_nc_u32_e32 v36, 29, v36
	s_delay_alu instid0(VALU_DEP_2) | instskip(NEXT) | instid1(VALU_DEP_1)
	v_lshlrev_b64 v[33:34], v33, v[7:8]
	v_and_b32_e32 v33, 7, v33
; %bb.400:                              ;   in Loop: Header=BB348_16 Depth=1
	s_or_b32 exec_lo, exec_lo, s24
	v_lshlrev_b32_e32 v7, 8, v35
	v_lshl_add_u32 v34, v36, 10, 0x2000
	s_delay_alu instid0(VALU_DEP_1) | instskip(NEXT) | instid1(VALU_DEP_1)
	v_and_or_b32 v7, 0x8000, v7, v34
	v_lshl_or_b32 v7, v33, 7, v7
	s_delay_alu instid0(VALU_DEP_1)
	v_cvt_f32_f16_e64 v177, v7
.LBB348_401:                            ;   in Loop: Header=BB348_16 Depth=1
	s_or_b32 exec_lo, exec_lo, s23
.LBB348_402:                            ;   in Loop: Header=BB348_16 Depth=1
	s_delay_alu instid0(SALU_CYCLE_1)
	s_or_b32 exec_lo, exec_lo, s22
.LBB348_403:                            ;   in Loop: Header=BB348_16 Depth=1
	s_delay_alu instid0(SALU_CYCLE_1)
	s_or_b32 exec_lo, exec_lo, s21
	flat_load_b64 v[33:34], v[31:32] offset:1536
	v_mov_b32_e32 v179, 0
	s_mov_b32 s21, exec_lo
	s_waitcnt vmcnt(0) lgkmcnt(0)
	v_dual_mov_b32 v180, 0 :: v_dual_and_b32 v7, 0xff, v33
	s_delay_alu instid0(VALU_DEP_1)
	v_cmpx_ne_u16_e32 0, v7
	s_cbranch_execz .LBB348_411
; %bb.404:                              ;   in Loop: Header=BB348_16 Depth=1
	v_bfrev_b32_e32 v179, 1
	s_mov_b32 s22, exec_lo
	v_cmpx_ne_u16_e32 0x80, v7
	s_cbranch_execz .LBB348_410
; %bb.405:                              ;   in Loop: Header=BB348_16 Depth=1
	v_and_b32_e32 v35, 0x7f, v33
	v_mov_b32_e32 v179, 0x7fc02000
	s_mov_b32 s23, exec_lo
	s_delay_alu instid0(VALU_DEP_2)
	v_cmpx_ne_u32_e32 0x7f, v35
	s_cbranch_execz .LBB348_409
; %bb.406:                              ;   in Loop: Header=BB348_16 Depth=1
	v_lshrrev_b32_e32 v7, 3, v35
	v_cmp_gt_u32_e64 s1, 8, v35
	v_dual_mov_b32 v36, v34 :: v_dual_mov_b32 v35, v33
	s_delay_alu instid0(VALU_DEP_2)
	s_and_saveexec_b32 s24, s1
; %bb.407:                              ;   in Loop: Header=BB348_16 Depth=1
	v_and_b32_e32 v7, 7, v33
	s_delay_alu instid0(VALU_DEP_1) | instskip(NEXT) | instid1(VALU_DEP_1)
	v_clz_i32_u32_e32 v7, v7
	v_min_u32_e32 v7, 32, v7
	s_delay_alu instid0(VALU_DEP_1) | instskip(SKIP_1) | instid1(VALU_DEP_2)
	v_subrev_nc_u32_e32 v35, 28, v7
	v_sub_nc_u32_e32 v7, 29, v7
	v_lshlrev_b64 v[35:36], v35, v[33:34]
; %bb.408:                              ;   in Loop: Header=BB348_16 Depth=1
	s_or_b32 exec_lo, exec_lo, s24
	v_lshlrev_b32_e32 v36, 8, v33
	s_delay_alu instid0(VALU_DEP_3) | instskip(NEXT) | instid1(VALU_DEP_3)
	v_lshl_add_u32 v7, v7, 10, 0x2000
	v_lshlrev_b32_e32 v35, 7, v35
	s_delay_alu instid0(VALU_DEP_2) | instskip(NEXT) | instid1(VALU_DEP_1)
	v_and_or_b32 v7, 0x8000, v36, v7
	v_and_or_b32 v7, 0x380, v35, v7
	s_delay_alu instid0(VALU_DEP_1)
	v_cvt_f32_f16_e64 v179, v7
.LBB348_409:                            ;   in Loop: Header=BB348_16 Depth=1
	s_or_b32 exec_lo, exec_lo, s23
.LBB348_410:                            ;   in Loop: Header=BB348_16 Depth=1
	s_delay_alu instid0(SALU_CYCLE_1)
	s_or_b32 exec_lo, exec_lo, s22
.LBB348_411:                            ;   in Loop: Header=BB348_16 Depth=1
	s_delay_alu instid0(SALU_CYCLE_1) | instskip(SKIP_2) | instid1(VALU_DEP_1)
	s_or_b32 exec_lo, exec_lo, s21
	v_lshrrev_b16 v7, 8, v33
	s_mov_b32 s21, exec_lo
	v_cmpx_ne_u16_e32 0, v7
	s_cbranch_execz .LBB348_419
; %bb.412:                              ;   in Loop: Header=BB348_16 Depth=1
	v_bfrev_b32_e32 v180, 1
	s_mov_b32 s22, exec_lo
	v_cmpx_ne_u16_e32 0x80, v7
	s_cbranch_execz .LBB348_418
; %bb.413:                              ;   in Loop: Header=BB348_16 Depth=1
	v_and_b32_e32 v181, 0xffff, v7
	v_mov_b32_e32 v180, 0x7fc02000
	s_mov_b32 s23, exec_lo
	s_delay_alu instid0(VALU_DEP_2) | instskip(NEXT) | instid1(VALU_DEP_1)
	v_and_b32_e32 v35, 0x7f, v181
	v_cmpx_ne_u32_e32 0x7f, v35
	s_cbranch_execz .LBB348_417
; %bb.414:                              ;   in Loop: Header=BB348_16 Depth=1
	v_and_b32_e32 v7, 7, v181
	v_lshrrev_b32_e32 v180, 3, v35
	v_cmp_gt_u32_e64 s1, 8, v35
	s_delay_alu instid0(VALU_DEP_3) | instskip(NEXT) | instid1(VALU_DEP_2)
	v_dual_mov_b32 v36, v8 :: v_dual_mov_b32 v35, v7
	s_and_saveexec_b32 s24, s1
; %bb.415:                              ;   in Loop: Header=BB348_16 Depth=1
	v_clz_i32_u32_e32 v35, v7
	s_delay_alu instid0(VALU_DEP_1) | instskip(NEXT) | instid1(VALU_DEP_1)
	v_min_u32_e32 v180, 32, v35
	v_subrev_nc_u32_e32 v35, 28, v180
	v_sub_nc_u32_e32 v180, 29, v180
	s_delay_alu instid0(VALU_DEP_2) | instskip(NEXT) | instid1(VALU_DEP_1)
	v_lshlrev_b64 v[35:36], v35, v[7:8]
	v_and_b32_e32 v35, 7, v35
; %bb.416:                              ;   in Loop: Header=BB348_16 Depth=1
	s_or_b32 exec_lo, exec_lo, s24
	v_lshlrev_b32_e32 v7, 8, v181
	v_lshl_add_u32 v36, v180, 10, 0x2000
	s_delay_alu instid0(VALU_DEP_1) | instskip(NEXT) | instid1(VALU_DEP_1)
	v_and_or_b32 v7, 0x8000, v7, v36
	v_lshl_or_b32 v7, v35, 7, v7
	s_delay_alu instid0(VALU_DEP_1)
	v_cvt_f32_f16_e64 v180, v7
.LBB348_417:                            ;   in Loop: Header=BB348_16 Depth=1
	s_or_b32 exec_lo, exec_lo, s23
.LBB348_418:                            ;   in Loop: Header=BB348_16 Depth=1
	s_delay_alu instid0(SALU_CYCLE_1)
	s_or_b32 exec_lo, exec_lo, s22
.LBB348_419:                            ;   in Loop: Header=BB348_16 Depth=1
	s_delay_alu instid0(SALU_CYCLE_1) | instskip(SKIP_3) | instid1(VALU_DEP_2)
	s_or_b32 exec_lo, exec_lo, s21
	v_lshrrev_b32_e32 v183, 16, v33
	v_mov_b32_e32 v181, 0
	s_mov_b32 s21, exec_lo
	v_dual_mov_b32 v182, 0 :: v_dual_and_b32 v7, 0xff, v183
	s_delay_alu instid0(VALU_DEP_1)
	v_cmpx_ne_u16_e32 0, v7
	s_cbranch_execz .LBB348_427
; %bb.420:                              ;   in Loop: Header=BB348_16 Depth=1
	v_bfrev_b32_e32 v181, 1
	s_mov_b32 s22, exec_lo
	v_cmpx_ne_u16_e32 0x80, v7
	s_cbranch_execz .LBB348_426
; %bb.421:                              ;   in Loop: Header=BB348_16 Depth=1
	v_bfe_u32 v35, v33, 16, 7
	v_mov_b32_e32 v181, 0x7fc02000
	s_mov_b32 s23, exec_lo
	s_delay_alu instid0(VALU_DEP_2)
	v_cmpx_ne_u32_e32 0x7f, v35
	s_cbranch_execz .LBB348_425
; %bb.422:                              ;   in Loop: Header=BB348_16 Depth=1
	v_and_b32_e32 v7, 7, v183
	v_lshrrev_b32_e32 v181, 3, v35
	v_cmp_gt_u32_e64 s1, 8, v35
	s_delay_alu instid0(VALU_DEP_3) | instskip(NEXT) | instid1(VALU_DEP_2)
	v_dual_mov_b32 v36, v8 :: v_dual_mov_b32 v35, v7
	s_and_saveexec_b32 s24, s1
; %bb.423:                              ;   in Loop: Header=BB348_16 Depth=1
	v_clz_i32_u32_e32 v35, v7
	s_delay_alu instid0(VALU_DEP_1) | instskip(NEXT) | instid1(VALU_DEP_1)
	v_min_u32_e32 v181, 32, v35
	v_subrev_nc_u32_e32 v35, 28, v181
	v_sub_nc_u32_e32 v181, 29, v181
	s_delay_alu instid0(VALU_DEP_2) | instskip(NEXT) | instid1(VALU_DEP_1)
	v_lshlrev_b64 v[35:36], v35, v[7:8]
	v_and_b32_e32 v35, 7, v35
; %bb.424:                              ;   in Loop: Header=BB348_16 Depth=1
	s_or_b32 exec_lo, exec_lo, s24
	v_lshlrev_b32_e32 v7, 8, v183
	v_lshl_add_u32 v36, v181, 10, 0x2000
	s_delay_alu instid0(VALU_DEP_1) | instskip(NEXT) | instid1(VALU_DEP_1)
	v_and_or_b32 v7, 0x8000, v7, v36
	v_lshl_or_b32 v7, v35, 7, v7
	s_delay_alu instid0(VALU_DEP_1)
	v_cvt_f32_f16_e64 v181, v7
.LBB348_425:                            ;   in Loop: Header=BB348_16 Depth=1
	s_or_b32 exec_lo, exec_lo, s23
.LBB348_426:                            ;   in Loop: Header=BB348_16 Depth=1
	s_delay_alu instid0(SALU_CYCLE_1)
	s_or_b32 exec_lo, exec_lo, s22
.LBB348_427:                            ;   in Loop: Header=BB348_16 Depth=1
	s_delay_alu instid0(SALU_CYCLE_1) | instskip(NEXT) | instid1(SALU_CYCLE_1)
	s_or_b32 exec_lo, exec_lo, s21
	s_mov_b32 s21, exec_lo
	v_cmpx_lt_u32_e32 0xffffff, v33
	s_cbranch_execz .LBB348_435
; %bb.428:                              ;   in Loop: Header=BB348_16 Depth=1
	v_lshrrev_b32_e32 v183, 24, v33
	v_bfrev_b32_e32 v182, 1
	s_mov_b32 s22, exec_lo
	s_delay_alu instid0(VALU_DEP_2)
	v_cmpx_ne_u32_e32 0x80, v183
	s_cbranch_execz .LBB348_434
; %bb.429:                              ;   in Loop: Header=BB348_16 Depth=1
	v_and_b32_e32 v35, 0x7f, v183
	v_mov_b32_e32 v182, 0x7fc02000
	s_mov_b32 s23, exec_lo
	s_delay_alu instid0(VALU_DEP_2)
	v_cmpx_ne_u32_e32 0x7f, v35
	s_cbranch_execz .LBB348_433
; %bb.430:                              ;   in Loop: Header=BB348_16 Depth=1
	v_and_b32_e32 v7, 7, v183
	v_lshrrev_b32_e32 v182, 3, v35
	v_cmp_gt_u32_e64 s1, 8, v35
	s_delay_alu instid0(VALU_DEP_3) | instskip(NEXT) | instid1(VALU_DEP_2)
	v_dual_mov_b32 v36, v8 :: v_dual_mov_b32 v35, v7
	s_and_saveexec_b32 s24, s1
; %bb.431:                              ;   in Loop: Header=BB348_16 Depth=1
	v_clz_i32_u32_e32 v35, v7
	s_delay_alu instid0(VALU_DEP_1) | instskip(NEXT) | instid1(VALU_DEP_1)
	v_min_u32_e32 v182, 32, v35
	v_subrev_nc_u32_e32 v35, 28, v182
	v_sub_nc_u32_e32 v182, 29, v182
	s_delay_alu instid0(VALU_DEP_2) | instskip(NEXT) | instid1(VALU_DEP_1)
	v_lshlrev_b64 v[35:36], v35, v[7:8]
	v_and_b32_e32 v35, 7, v35
; %bb.432:                              ;   in Loop: Header=BB348_16 Depth=1
	s_or_b32 exec_lo, exec_lo, s24
	v_lshlrev_b32_e32 v7, 8, v183
	v_lshl_add_u32 v36, v182, 10, 0x2000
	s_delay_alu instid0(VALU_DEP_1) | instskip(NEXT) | instid1(VALU_DEP_1)
	v_and_or_b32 v7, 0x8000, v7, v36
	v_lshl_or_b32 v7, v35, 7, v7
	s_delay_alu instid0(VALU_DEP_1)
	v_cvt_f32_f16_e64 v182, v7
.LBB348_433:                            ;   in Loop: Header=BB348_16 Depth=1
	s_or_b32 exec_lo, exec_lo, s23
.LBB348_434:                            ;   in Loop: Header=BB348_16 Depth=1
	s_delay_alu instid0(SALU_CYCLE_1)
	s_or_b32 exec_lo, exec_lo, s22
.LBB348_435:                            ;   in Loop: Header=BB348_16 Depth=1
	s_delay_alu instid0(SALU_CYCLE_1) | instskip(SKIP_4) | instid1(VALU_DEP_3)
	s_or_b32 exec_lo, exec_lo, s21
	v_dual_mov_b32 v40, 0 :: v_dual_and_b32 v35, 0xff, v34
	v_mov_b32_e32 v7, v34
	v_mov_b32_e32 v183, 0
	s_mov_b32 s21, exec_lo
	v_cmpx_ne_u16_e32 0, v35
	s_cbranch_execz .LBB348_443
; %bb.436:                              ;   in Loop: Header=BB348_16 Depth=1
	v_bfrev_b32_e32 v183, 1
	s_mov_b32 s22, exec_lo
	v_cmpx_ne_u16_e32 0x80, v35
	s_cbranch_execz .LBB348_442
; %bb.437:                              ;   in Loop: Header=BB348_16 Depth=1
	v_and_b32_e32 v35, 0x7f, v34
	v_mov_b32_e32 v183, 0x7fc02000
	s_mov_b32 s23, exec_lo
	s_delay_alu instid0(VALU_DEP_2)
	v_cmpx_ne_u32_e32 0x7f, v35
	s_cbranch_execz .LBB348_441
; %bb.438:                              ;   in Loop: Header=BB348_16 Depth=1
	v_lshrrev_b32_e32 v183, 3, v35
	v_cmp_gt_u32_e64 s1, 8, v35
	v_dual_mov_b32 v36, v8 :: v_dual_mov_b32 v35, v7
	s_delay_alu instid0(VALU_DEP_2)
	s_and_saveexec_b32 s24, s1
; %bb.439:                              ;   in Loop: Header=BB348_16 Depth=1
	v_and_b32_e32 v35, 7, v34
	s_delay_alu instid0(VALU_DEP_1) | instskip(NEXT) | instid1(VALU_DEP_1)
	v_clz_i32_u32_e32 v35, v35
	v_min_u32_e32 v183, 32, v35
	s_delay_alu instid0(VALU_DEP_1) | instskip(SKIP_1) | instid1(VALU_DEP_2)
	v_subrev_nc_u32_e32 v35, 28, v183
	v_sub_nc_u32_e32 v183, 29, v183
	v_lshlrev_b64 v[35:36], v35, v[7:8]
; %bb.440:                              ;   in Loop: Header=BB348_16 Depth=1
	s_or_b32 exec_lo, exec_lo, s24
	v_lshlrev_b32_e32 v36, 8, v34
	s_delay_alu instid0(VALU_DEP_3) | instskip(NEXT) | instid1(VALU_DEP_3)
	v_lshl_add_u32 v183, v183, 10, 0x2000
	v_lshlrev_b32_e32 v35, 7, v35
	s_delay_alu instid0(VALU_DEP_2) | instskip(NEXT) | instid1(VALU_DEP_1)
	v_and_or_b32 v36, 0x8000, v36, v183
	v_and_or_b32 v35, 0x380, v35, v36
	s_delay_alu instid0(VALU_DEP_1)
	v_cvt_f32_f16_e64 v183, v35
.LBB348_441:                            ;   in Loop: Header=BB348_16 Depth=1
	s_or_b32 exec_lo, exec_lo, s23
.LBB348_442:                            ;   in Loop: Header=BB348_16 Depth=1
	s_delay_alu instid0(SALU_CYCLE_1)
	s_or_b32 exec_lo, exec_lo, s22
.LBB348_443:                            ;   in Loop: Header=BB348_16 Depth=1
	s_delay_alu instid0(SALU_CYCLE_1) | instskip(SKIP_2) | instid1(VALU_DEP_1)
	s_or_b32 exec_lo, exec_lo, s21
	v_lshrrev_b16 v7, 8, v7
	s_mov_b32 s21, exec_lo
	v_cmpx_ne_u16_e32 0, v7
	s_cbranch_execz .LBB348_451
; %bb.444:                              ;   in Loop: Header=BB348_16 Depth=1
	v_bfrev_b32_e32 v40, 1
	s_mov_b32 s22, exec_lo
	v_cmpx_ne_u16_e32 0x80, v7
	s_cbranch_execz .LBB348_450
; %bb.445:                              ;   in Loop: Header=BB348_16 Depth=1
	v_and_b32_e32 v41, 0xffff, v7
	v_mov_b32_e32 v40, 0x7fc02000
	s_mov_b32 s23, exec_lo
	s_delay_alu instid0(VALU_DEP_2) | instskip(NEXT) | instid1(VALU_DEP_1)
	v_and_b32_e32 v35, 0x7f, v41
	v_cmpx_ne_u32_e32 0x7f, v35
	s_cbranch_execz .LBB348_449
; %bb.446:                              ;   in Loop: Header=BB348_16 Depth=1
	v_and_b32_e32 v7, 7, v41
	v_lshrrev_b32_e32 v40, 3, v35
	v_cmp_gt_u32_e64 s1, 8, v35
	s_delay_alu instid0(VALU_DEP_3) | instskip(NEXT) | instid1(VALU_DEP_2)
	v_dual_mov_b32 v36, v8 :: v_dual_mov_b32 v35, v7
	s_and_saveexec_b32 s24, s1
; %bb.447:                              ;   in Loop: Header=BB348_16 Depth=1
	v_clz_i32_u32_e32 v35, v7
	s_delay_alu instid0(VALU_DEP_1) | instskip(NEXT) | instid1(VALU_DEP_1)
	v_min_u32_e32 v40, 32, v35
	v_subrev_nc_u32_e32 v35, 28, v40
	v_sub_nc_u32_e32 v40, 29, v40
	s_delay_alu instid0(VALU_DEP_2) | instskip(NEXT) | instid1(VALU_DEP_1)
	v_lshlrev_b64 v[35:36], v35, v[7:8]
	v_and_b32_e32 v35, 7, v35
; %bb.448:                              ;   in Loop: Header=BB348_16 Depth=1
	s_or_b32 exec_lo, exec_lo, s24
	v_lshlrev_b32_e32 v7, 8, v41
	v_lshl_add_u32 v36, v40, 10, 0x2000
	s_delay_alu instid0(VALU_DEP_1) | instskip(NEXT) | instid1(VALU_DEP_1)
	v_and_or_b32 v7, 0x8000, v7, v36
	v_lshl_or_b32 v7, v35, 7, v7
	s_delay_alu instid0(VALU_DEP_1)
	v_cvt_f32_f16_e32 v40, v7
.LBB348_449:                            ;   in Loop: Header=BB348_16 Depth=1
	s_or_b32 exec_lo, exec_lo, s23
.LBB348_450:                            ;   in Loop: Header=BB348_16 Depth=1
	s_delay_alu instid0(SALU_CYCLE_1)
	s_or_b32 exec_lo, exec_lo, s22
.LBB348_451:                            ;   in Loop: Header=BB348_16 Depth=1
	s_delay_alu instid0(SALU_CYCLE_1) | instskip(SKIP_3) | instid1(VALU_DEP_2)
	s_or_b32 exec_lo, exec_lo, s21
	v_lshrrev_b32_e32 v43, 16, v34
	v_mov_b32_e32 v41, 0
	s_mov_b32 s21, exec_lo
	v_dual_mov_b32 v42, 0 :: v_dual_and_b32 v7, 0xff, v43
	s_delay_alu instid0(VALU_DEP_1)
	v_cmpx_ne_u16_e32 0, v7
	s_cbranch_execz .LBB348_459
; %bb.452:                              ;   in Loop: Header=BB348_16 Depth=1
	v_bfrev_b32_e32 v42, 1
	s_mov_b32 s22, exec_lo
	v_cmpx_ne_u16_e32 0x80, v7
	s_cbranch_execz .LBB348_458
; %bb.453:                              ;   in Loop: Header=BB348_16 Depth=1
	v_bfe_u32 v35, v34, 16, 7
	v_mov_b32_e32 v42, 0x7fc02000
	s_mov_b32 s23, exec_lo
	s_delay_alu instid0(VALU_DEP_2)
	v_cmpx_ne_u32_e32 0x7f, v35
	s_cbranch_execz .LBB348_457
; %bb.454:                              ;   in Loop: Header=BB348_16 Depth=1
	v_and_b32_e32 v7, 7, v43
	v_lshrrev_b32_e32 v42, 3, v35
	v_cmp_gt_u32_e64 s1, 8, v35
	s_delay_alu instid0(VALU_DEP_3) | instskip(NEXT) | instid1(VALU_DEP_2)
	v_dual_mov_b32 v36, v8 :: v_dual_mov_b32 v35, v7
	s_and_saveexec_b32 s24, s1
; %bb.455:                              ;   in Loop: Header=BB348_16 Depth=1
	v_clz_i32_u32_e32 v35, v7
	s_delay_alu instid0(VALU_DEP_1) | instskip(NEXT) | instid1(VALU_DEP_1)
	v_min_u32_e32 v42, 32, v35
	v_subrev_nc_u32_e32 v35, 28, v42
	v_sub_nc_u32_e32 v42, 29, v42
	s_delay_alu instid0(VALU_DEP_2) | instskip(NEXT) | instid1(VALU_DEP_1)
	v_lshlrev_b64 v[35:36], v35, v[7:8]
	v_and_b32_e32 v35, 7, v35
; %bb.456:                              ;   in Loop: Header=BB348_16 Depth=1
	s_or_b32 exec_lo, exec_lo, s24
	v_lshlrev_b32_e32 v7, 8, v43
	v_lshl_add_u32 v36, v42, 10, 0x2000
	s_delay_alu instid0(VALU_DEP_1) | instskip(NEXT) | instid1(VALU_DEP_1)
	v_and_or_b32 v7, 0x8000, v7, v36
	v_lshl_or_b32 v7, v35, 7, v7
	s_delay_alu instid0(VALU_DEP_1)
	v_cvt_f32_f16_e32 v42, v7
.LBB348_457:                            ;   in Loop: Header=BB348_16 Depth=1
	s_or_b32 exec_lo, exec_lo, s23
.LBB348_458:                            ;   in Loop: Header=BB348_16 Depth=1
	s_delay_alu instid0(SALU_CYCLE_1)
	s_or_b32 exec_lo, exec_lo, s22
.LBB348_459:                            ;   in Loop: Header=BB348_16 Depth=1
	s_delay_alu instid0(SALU_CYCLE_1) | instskip(NEXT) | instid1(SALU_CYCLE_1)
	s_or_b32 exec_lo, exec_lo, s21
	s_mov_b32 s21, exec_lo
	v_cmpx_lt_u64_e64 s[8:9], v[33:34]
	s_cbranch_execz .LBB348_467
; %bb.460:                              ;   in Loop: Header=BB348_16 Depth=1
	v_lshrrev_b32_e32 v35, 24, v34
	v_bfrev_b32_e32 v41, 1
	s_mov_b32 s22, exec_lo
	s_delay_alu instid0(VALU_DEP_2)
	v_cmpx_ne_u32_e32 0x80, v35
	s_cbranch_execz .LBB348_466
; %bb.461:                              ;   in Loop: Header=BB348_16 Depth=1
	v_and_b32_e32 v33, 0x7f, v35
	v_mov_b32_e32 v41, 0x7fc02000
	s_mov_b32 s23, exec_lo
	s_delay_alu instid0(VALU_DEP_2)
	v_cmpx_ne_u32_e32 0x7f, v33
	s_cbranch_execz .LBB348_465
; %bb.462:                              ;   in Loop: Header=BB348_16 Depth=1
	v_and_b32_e32 v7, 7, v35
	v_lshrrev_b32_e32 v36, 3, v33
	v_cmp_gt_u32_e64 s1, 8, v33
	s_delay_alu instid0(VALU_DEP_3) | instskip(NEXT) | instid1(VALU_DEP_2)
	v_dual_mov_b32 v34, v8 :: v_dual_mov_b32 v33, v7
	s_and_saveexec_b32 s24, s1
; %bb.463:                              ;   in Loop: Header=BB348_16 Depth=1
	v_clz_i32_u32_e32 v33, v7
	s_delay_alu instid0(VALU_DEP_1) | instskip(NEXT) | instid1(VALU_DEP_1)
	v_min_u32_e32 v36, 32, v33
	v_subrev_nc_u32_e32 v33, 28, v36
	v_sub_nc_u32_e32 v36, 29, v36
	s_delay_alu instid0(VALU_DEP_2) | instskip(NEXT) | instid1(VALU_DEP_1)
	v_lshlrev_b64 v[33:34], v33, v[7:8]
	v_and_b32_e32 v33, 7, v33
; %bb.464:                              ;   in Loop: Header=BB348_16 Depth=1
	s_or_b32 exec_lo, exec_lo, s24
	v_lshlrev_b32_e32 v7, 8, v35
	v_lshl_add_u32 v34, v36, 10, 0x2000
	s_delay_alu instid0(VALU_DEP_1) | instskip(NEXT) | instid1(VALU_DEP_1)
	v_and_or_b32 v7, 0x8000, v7, v34
	v_lshl_or_b32 v7, v33, 7, v7
	s_delay_alu instid0(VALU_DEP_1)
	v_cvt_f32_f16_e32 v41, v7
.LBB348_465:                            ;   in Loop: Header=BB348_16 Depth=1
	s_or_b32 exec_lo, exec_lo, s23
.LBB348_466:                            ;   in Loop: Header=BB348_16 Depth=1
	s_delay_alu instid0(SALU_CYCLE_1)
	s_or_b32 exec_lo, exec_lo, s22
.LBB348_467:                            ;   in Loop: Header=BB348_16 Depth=1
	s_delay_alu instid0(SALU_CYCLE_1)
	s_or_b32 exec_lo, exec_lo, s21
	flat_load_b64 v[33:34], v[31:32] offset:1544
	v_mov_b32_e32 v43, 0
	s_mov_b32 s21, exec_lo
	s_waitcnt vmcnt(0) lgkmcnt(0)
	v_dual_mov_b32 v44, 0 :: v_dual_and_b32 v7, 0xff, v33
	s_delay_alu instid0(VALU_DEP_1)
	v_cmpx_ne_u16_e32 0, v7
	s_cbranch_execz .LBB348_475
; %bb.468:                              ;   in Loop: Header=BB348_16 Depth=1
	v_bfrev_b32_e32 v43, 1
	s_mov_b32 s22, exec_lo
	v_cmpx_ne_u16_e32 0x80, v7
	s_cbranch_execz .LBB348_474
; %bb.469:                              ;   in Loop: Header=BB348_16 Depth=1
	v_and_b32_e32 v35, 0x7f, v33
	v_mov_b32_e32 v43, 0x7fc02000
	s_mov_b32 s23, exec_lo
	s_delay_alu instid0(VALU_DEP_2)
	v_cmpx_ne_u32_e32 0x7f, v35
	s_cbranch_execz .LBB348_473
; %bb.470:                              ;   in Loop: Header=BB348_16 Depth=1
	v_lshrrev_b32_e32 v7, 3, v35
	v_cmp_gt_u32_e64 s1, 8, v35
	v_dual_mov_b32 v36, v34 :: v_dual_mov_b32 v35, v33
	s_delay_alu instid0(VALU_DEP_2)
	s_and_saveexec_b32 s24, s1
; %bb.471:                              ;   in Loop: Header=BB348_16 Depth=1
	v_and_b32_e32 v7, 7, v33
	s_delay_alu instid0(VALU_DEP_1) | instskip(NEXT) | instid1(VALU_DEP_1)
	v_clz_i32_u32_e32 v7, v7
	v_min_u32_e32 v7, 32, v7
	s_delay_alu instid0(VALU_DEP_1) | instskip(SKIP_1) | instid1(VALU_DEP_2)
	v_subrev_nc_u32_e32 v35, 28, v7
	v_sub_nc_u32_e32 v7, 29, v7
	v_lshlrev_b64 v[35:36], v35, v[33:34]
; %bb.472:                              ;   in Loop: Header=BB348_16 Depth=1
	s_or_b32 exec_lo, exec_lo, s24
	v_lshlrev_b32_e32 v36, 8, v33
	s_delay_alu instid0(VALU_DEP_3) | instskip(NEXT) | instid1(VALU_DEP_3)
	v_lshl_add_u32 v7, v7, 10, 0x2000
	v_lshlrev_b32_e32 v35, 7, v35
	s_delay_alu instid0(VALU_DEP_2) | instskip(NEXT) | instid1(VALU_DEP_1)
	v_and_or_b32 v7, 0x8000, v36, v7
	v_and_or_b32 v7, 0x380, v35, v7
	s_delay_alu instid0(VALU_DEP_1)
	v_cvt_f32_f16_e32 v43, v7
.LBB348_473:                            ;   in Loop: Header=BB348_16 Depth=1
	s_or_b32 exec_lo, exec_lo, s23
.LBB348_474:                            ;   in Loop: Header=BB348_16 Depth=1
	s_delay_alu instid0(SALU_CYCLE_1)
	s_or_b32 exec_lo, exec_lo, s22
.LBB348_475:                            ;   in Loop: Header=BB348_16 Depth=1
	s_delay_alu instid0(SALU_CYCLE_1) | instskip(SKIP_2) | instid1(VALU_DEP_1)
	s_or_b32 exec_lo, exec_lo, s21
	v_lshrrev_b16 v7, 8, v33
	s_mov_b32 s21, exec_lo
	v_cmpx_ne_u16_e32 0, v7
	s_cbranch_execz .LBB348_483
; %bb.476:                              ;   in Loop: Header=BB348_16 Depth=1
	v_bfrev_b32_e32 v44, 1
	s_mov_b32 s22, exec_lo
	v_cmpx_ne_u16_e32 0x80, v7
	s_cbranch_execz .LBB348_482
; %bb.477:                              ;   in Loop: Header=BB348_16 Depth=1
	v_and_b32_e32 v45, 0xffff, v7
	v_mov_b32_e32 v44, 0x7fc02000
	s_mov_b32 s23, exec_lo
	s_delay_alu instid0(VALU_DEP_2) | instskip(NEXT) | instid1(VALU_DEP_1)
	v_and_b32_e32 v35, 0x7f, v45
	v_cmpx_ne_u32_e32 0x7f, v35
	s_cbranch_execz .LBB348_481
; %bb.478:                              ;   in Loop: Header=BB348_16 Depth=1
	v_and_b32_e32 v7, 7, v45
	v_lshrrev_b32_e32 v44, 3, v35
	v_cmp_gt_u32_e64 s1, 8, v35
	s_delay_alu instid0(VALU_DEP_3) | instskip(NEXT) | instid1(VALU_DEP_2)
	v_dual_mov_b32 v36, v8 :: v_dual_mov_b32 v35, v7
	s_and_saveexec_b32 s24, s1
; %bb.479:                              ;   in Loop: Header=BB348_16 Depth=1
	v_clz_i32_u32_e32 v35, v7
	s_delay_alu instid0(VALU_DEP_1) | instskip(NEXT) | instid1(VALU_DEP_1)
	v_min_u32_e32 v44, 32, v35
	v_subrev_nc_u32_e32 v35, 28, v44
	v_sub_nc_u32_e32 v44, 29, v44
	s_delay_alu instid0(VALU_DEP_2) | instskip(NEXT) | instid1(VALU_DEP_1)
	v_lshlrev_b64 v[35:36], v35, v[7:8]
	v_and_b32_e32 v35, 7, v35
; %bb.480:                              ;   in Loop: Header=BB348_16 Depth=1
	s_or_b32 exec_lo, exec_lo, s24
	v_lshlrev_b32_e32 v7, 8, v45
	v_lshl_add_u32 v36, v44, 10, 0x2000
	s_delay_alu instid0(VALU_DEP_1) | instskip(NEXT) | instid1(VALU_DEP_1)
	v_and_or_b32 v7, 0x8000, v7, v36
	v_lshl_or_b32 v7, v35, 7, v7
	s_delay_alu instid0(VALU_DEP_1)
	v_cvt_f32_f16_e32 v44, v7
.LBB348_481:                            ;   in Loop: Header=BB348_16 Depth=1
	s_or_b32 exec_lo, exec_lo, s23
.LBB348_482:                            ;   in Loop: Header=BB348_16 Depth=1
	s_delay_alu instid0(SALU_CYCLE_1)
	s_or_b32 exec_lo, exec_lo, s22
.LBB348_483:                            ;   in Loop: Header=BB348_16 Depth=1
	s_delay_alu instid0(SALU_CYCLE_1) | instskip(SKIP_3) | instid1(VALU_DEP_2)
	s_or_b32 exec_lo, exec_lo, s21
	v_lshrrev_b32_e32 v47, 16, v33
	v_mov_b32_e32 v45, 0
	s_mov_b32 s21, exec_lo
	v_dual_mov_b32 v46, 0 :: v_dual_and_b32 v7, 0xff, v47
	s_delay_alu instid0(VALU_DEP_1)
	v_cmpx_ne_u16_e32 0, v7
	s_cbranch_execz .LBB348_491
; %bb.484:                              ;   in Loop: Header=BB348_16 Depth=1
	v_bfrev_b32_e32 v45, 1
	s_mov_b32 s22, exec_lo
	v_cmpx_ne_u16_e32 0x80, v7
	s_cbranch_execz .LBB348_490
; %bb.485:                              ;   in Loop: Header=BB348_16 Depth=1
	v_bfe_u32 v35, v33, 16, 7
	v_mov_b32_e32 v45, 0x7fc02000
	s_mov_b32 s23, exec_lo
	s_delay_alu instid0(VALU_DEP_2)
	v_cmpx_ne_u32_e32 0x7f, v35
	s_cbranch_execz .LBB348_489
; %bb.486:                              ;   in Loop: Header=BB348_16 Depth=1
	v_and_b32_e32 v7, 7, v47
	v_lshrrev_b32_e32 v45, 3, v35
	v_cmp_gt_u32_e64 s1, 8, v35
	s_delay_alu instid0(VALU_DEP_3) | instskip(NEXT) | instid1(VALU_DEP_2)
	v_dual_mov_b32 v36, v8 :: v_dual_mov_b32 v35, v7
	s_and_saveexec_b32 s24, s1
; %bb.487:                              ;   in Loop: Header=BB348_16 Depth=1
	v_clz_i32_u32_e32 v35, v7
	s_delay_alu instid0(VALU_DEP_1) | instskip(NEXT) | instid1(VALU_DEP_1)
	v_min_u32_e32 v45, 32, v35
	v_subrev_nc_u32_e32 v35, 28, v45
	v_sub_nc_u32_e32 v45, 29, v45
	s_delay_alu instid0(VALU_DEP_2) | instskip(NEXT) | instid1(VALU_DEP_1)
	v_lshlrev_b64 v[35:36], v35, v[7:8]
	v_and_b32_e32 v35, 7, v35
; %bb.488:                              ;   in Loop: Header=BB348_16 Depth=1
	s_or_b32 exec_lo, exec_lo, s24
	v_lshlrev_b32_e32 v7, 8, v47
	v_lshl_add_u32 v36, v45, 10, 0x2000
	s_delay_alu instid0(VALU_DEP_1) | instskip(NEXT) | instid1(VALU_DEP_1)
	v_and_or_b32 v7, 0x8000, v7, v36
	v_lshl_or_b32 v7, v35, 7, v7
	s_delay_alu instid0(VALU_DEP_1)
	v_cvt_f32_f16_e32 v45, v7
.LBB348_489:                            ;   in Loop: Header=BB348_16 Depth=1
	s_or_b32 exec_lo, exec_lo, s23
.LBB348_490:                            ;   in Loop: Header=BB348_16 Depth=1
	s_delay_alu instid0(SALU_CYCLE_1)
	s_or_b32 exec_lo, exec_lo, s22
.LBB348_491:                            ;   in Loop: Header=BB348_16 Depth=1
	s_delay_alu instid0(SALU_CYCLE_1) | instskip(NEXT) | instid1(SALU_CYCLE_1)
	s_or_b32 exec_lo, exec_lo, s21
	s_mov_b32 s21, exec_lo
	v_cmpx_lt_u32_e32 0xffffff, v33
	s_cbranch_execz .LBB348_499
; %bb.492:                              ;   in Loop: Header=BB348_16 Depth=1
	v_lshrrev_b32_e32 v47, 24, v33
	v_bfrev_b32_e32 v46, 1
	s_mov_b32 s22, exec_lo
	s_delay_alu instid0(VALU_DEP_2)
	v_cmpx_ne_u32_e32 0x80, v47
	s_cbranch_execz .LBB348_498
; %bb.493:                              ;   in Loop: Header=BB348_16 Depth=1
	v_and_b32_e32 v35, 0x7f, v47
	v_mov_b32_e32 v46, 0x7fc02000
	s_mov_b32 s23, exec_lo
	s_delay_alu instid0(VALU_DEP_2)
	v_cmpx_ne_u32_e32 0x7f, v35
	s_cbranch_execz .LBB348_497
; %bb.494:                              ;   in Loop: Header=BB348_16 Depth=1
	v_and_b32_e32 v7, 7, v47
	v_lshrrev_b32_e32 v46, 3, v35
	v_cmp_gt_u32_e64 s1, 8, v35
	s_delay_alu instid0(VALU_DEP_3) | instskip(NEXT) | instid1(VALU_DEP_2)
	v_dual_mov_b32 v36, v8 :: v_dual_mov_b32 v35, v7
	s_and_saveexec_b32 s24, s1
; %bb.495:                              ;   in Loop: Header=BB348_16 Depth=1
	v_clz_i32_u32_e32 v35, v7
	s_delay_alu instid0(VALU_DEP_1) | instskip(NEXT) | instid1(VALU_DEP_1)
	v_min_u32_e32 v46, 32, v35
	v_subrev_nc_u32_e32 v35, 28, v46
	v_sub_nc_u32_e32 v46, 29, v46
	s_delay_alu instid0(VALU_DEP_2) | instskip(NEXT) | instid1(VALU_DEP_1)
	v_lshlrev_b64 v[35:36], v35, v[7:8]
	v_and_b32_e32 v35, 7, v35
; %bb.496:                              ;   in Loop: Header=BB348_16 Depth=1
	s_or_b32 exec_lo, exec_lo, s24
	v_lshlrev_b32_e32 v7, 8, v47
	v_lshl_add_u32 v36, v46, 10, 0x2000
	s_delay_alu instid0(VALU_DEP_1) | instskip(NEXT) | instid1(VALU_DEP_1)
	v_and_or_b32 v7, 0x8000, v7, v36
	v_lshl_or_b32 v7, v35, 7, v7
	s_delay_alu instid0(VALU_DEP_1)
	v_cvt_f32_f16_e32 v46, v7
.LBB348_497:                            ;   in Loop: Header=BB348_16 Depth=1
	s_or_b32 exec_lo, exec_lo, s23
.LBB348_498:                            ;   in Loop: Header=BB348_16 Depth=1
	s_delay_alu instid0(SALU_CYCLE_1)
	s_or_b32 exec_lo, exec_lo, s22
.LBB348_499:                            ;   in Loop: Header=BB348_16 Depth=1
	s_delay_alu instid0(SALU_CYCLE_1) | instskip(SKIP_4) | instid1(VALU_DEP_3)
	s_or_b32 exec_lo, exec_lo, s21
	v_dual_mov_b32 v56, 0 :: v_dual_and_b32 v35, 0xff, v34
	v_mov_b32_e32 v7, v34
	v_mov_b32_e32 v47, 0
	s_mov_b32 s21, exec_lo
	v_cmpx_ne_u16_e32 0, v35
	s_cbranch_execz .LBB348_507
; %bb.500:                              ;   in Loop: Header=BB348_16 Depth=1
	v_bfrev_b32_e32 v47, 1
	s_mov_b32 s22, exec_lo
	v_cmpx_ne_u16_e32 0x80, v35
	s_cbranch_execz .LBB348_506
; %bb.501:                              ;   in Loop: Header=BB348_16 Depth=1
	v_and_b32_e32 v35, 0x7f, v34
	v_mov_b32_e32 v47, 0x7fc02000
	s_mov_b32 s23, exec_lo
	s_delay_alu instid0(VALU_DEP_2)
	v_cmpx_ne_u32_e32 0x7f, v35
	s_cbranch_execz .LBB348_505
; %bb.502:                              ;   in Loop: Header=BB348_16 Depth=1
	v_lshrrev_b32_e32 v47, 3, v35
	v_cmp_gt_u32_e64 s1, 8, v35
	v_dual_mov_b32 v36, v8 :: v_dual_mov_b32 v35, v7
	s_delay_alu instid0(VALU_DEP_2)
	s_and_saveexec_b32 s24, s1
; %bb.503:                              ;   in Loop: Header=BB348_16 Depth=1
	v_and_b32_e32 v35, 7, v34
	s_delay_alu instid0(VALU_DEP_1) | instskip(NEXT) | instid1(VALU_DEP_1)
	v_clz_i32_u32_e32 v35, v35
	v_min_u32_e32 v47, 32, v35
	s_delay_alu instid0(VALU_DEP_1) | instskip(SKIP_1) | instid1(VALU_DEP_2)
	v_subrev_nc_u32_e32 v35, 28, v47
	v_sub_nc_u32_e32 v47, 29, v47
	v_lshlrev_b64 v[35:36], v35, v[7:8]
; %bb.504:                              ;   in Loop: Header=BB348_16 Depth=1
	s_or_b32 exec_lo, exec_lo, s24
	v_lshlrev_b32_e32 v36, 8, v34
	s_delay_alu instid0(VALU_DEP_3) | instskip(NEXT) | instid1(VALU_DEP_3)
	v_lshl_add_u32 v47, v47, 10, 0x2000
	v_lshlrev_b32_e32 v35, 7, v35
	s_delay_alu instid0(VALU_DEP_2) | instskip(NEXT) | instid1(VALU_DEP_1)
	v_and_or_b32 v36, 0x8000, v36, v47
	v_and_or_b32 v35, 0x380, v35, v36
	s_delay_alu instid0(VALU_DEP_1)
	v_cvt_f32_f16_e32 v47, v35
.LBB348_505:                            ;   in Loop: Header=BB348_16 Depth=1
	s_or_b32 exec_lo, exec_lo, s23
.LBB348_506:                            ;   in Loop: Header=BB348_16 Depth=1
	s_delay_alu instid0(SALU_CYCLE_1)
	s_or_b32 exec_lo, exec_lo, s22
.LBB348_507:                            ;   in Loop: Header=BB348_16 Depth=1
	s_delay_alu instid0(SALU_CYCLE_1) | instskip(SKIP_2) | instid1(VALU_DEP_1)
	s_or_b32 exec_lo, exec_lo, s21
	v_lshrrev_b16 v7, 8, v7
	s_mov_b32 s21, exec_lo
	v_cmpx_ne_u16_e32 0, v7
	s_cbranch_execz .LBB348_515
; %bb.508:                              ;   in Loop: Header=BB348_16 Depth=1
	v_bfrev_b32_e32 v56, 1
	s_mov_b32 s22, exec_lo
	v_cmpx_ne_u16_e32 0x80, v7
	s_cbranch_execz .LBB348_514
; %bb.509:                              ;   in Loop: Header=BB348_16 Depth=1
	v_and_b32_e32 v57, 0xffff, v7
	v_mov_b32_e32 v56, 0x7fc02000
	s_mov_b32 s23, exec_lo
	s_delay_alu instid0(VALU_DEP_2) | instskip(NEXT) | instid1(VALU_DEP_1)
	v_and_b32_e32 v35, 0x7f, v57
	v_cmpx_ne_u32_e32 0x7f, v35
	s_cbranch_execz .LBB348_513
; %bb.510:                              ;   in Loop: Header=BB348_16 Depth=1
	v_and_b32_e32 v7, 7, v57
	v_lshrrev_b32_e32 v56, 3, v35
	v_cmp_gt_u32_e64 s1, 8, v35
	s_delay_alu instid0(VALU_DEP_3) | instskip(NEXT) | instid1(VALU_DEP_2)
	v_dual_mov_b32 v36, v8 :: v_dual_mov_b32 v35, v7
	s_and_saveexec_b32 s24, s1
; %bb.511:                              ;   in Loop: Header=BB348_16 Depth=1
	v_clz_i32_u32_e32 v35, v7
	s_delay_alu instid0(VALU_DEP_1) | instskip(NEXT) | instid1(VALU_DEP_1)
	v_min_u32_e32 v56, 32, v35
	v_subrev_nc_u32_e32 v35, 28, v56
	v_sub_nc_u32_e32 v56, 29, v56
	s_delay_alu instid0(VALU_DEP_2) | instskip(NEXT) | instid1(VALU_DEP_1)
	v_lshlrev_b64 v[35:36], v35, v[7:8]
	v_and_b32_e32 v35, 7, v35
; %bb.512:                              ;   in Loop: Header=BB348_16 Depth=1
	s_or_b32 exec_lo, exec_lo, s24
	v_lshlrev_b32_e32 v7, 8, v57
	v_lshl_add_u32 v36, v56, 10, 0x2000
	s_delay_alu instid0(VALU_DEP_1) | instskip(NEXT) | instid1(VALU_DEP_1)
	v_and_or_b32 v7, 0x8000, v7, v36
	v_lshl_or_b32 v7, v35, 7, v7
	s_delay_alu instid0(VALU_DEP_1)
	v_cvt_f32_f16_e32 v56, v7
.LBB348_513:                            ;   in Loop: Header=BB348_16 Depth=1
	s_or_b32 exec_lo, exec_lo, s23
.LBB348_514:                            ;   in Loop: Header=BB348_16 Depth=1
	s_delay_alu instid0(SALU_CYCLE_1)
	s_or_b32 exec_lo, exec_lo, s22
.LBB348_515:                            ;   in Loop: Header=BB348_16 Depth=1
	s_delay_alu instid0(SALU_CYCLE_1) | instskip(SKIP_3) | instid1(VALU_DEP_2)
	s_or_b32 exec_lo, exec_lo, s21
	v_lshrrev_b32_e32 v59, 16, v34
	v_mov_b32_e32 v57, 0
	s_mov_b32 s21, exec_lo
	v_dual_mov_b32 v58, 0 :: v_dual_and_b32 v7, 0xff, v59
	s_delay_alu instid0(VALU_DEP_1)
	v_cmpx_ne_u16_e32 0, v7
	s_cbranch_execz .LBB348_523
; %bb.516:                              ;   in Loop: Header=BB348_16 Depth=1
	v_bfrev_b32_e32 v58, 1
	s_mov_b32 s22, exec_lo
	v_cmpx_ne_u16_e32 0x80, v7
	s_cbranch_execz .LBB348_522
; %bb.517:                              ;   in Loop: Header=BB348_16 Depth=1
	v_bfe_u32 v35, v34, 16, 7
	v_mov_b32_e32 v58, 0x7fc02000
	s_mov_b32 s23, exec_lo
	s_delay_alu instid0(VALU_DEP_2)
	v_cmpx_ne_u32_e32 0x7f, v35
	s_cbranch_execz .LBB348_521
; %bb.518:                              ;   in Loop: Header=BB348_16 Depth=1
	v_and_b32_e32 v7, 7, v59
	v_lshrrev_b32_e32 v58, 3, v35
	v_cmp_gt_u32_e64 s1, 8, v35
	s_delay_alu instid0(VALU_DEP_3) | instskip(NEXT) | instid1(VALU_DEP_2)
	v_dual_mov_b32 v36, v8 :: v_dual_mov_b32 v35, v7
	s_and_saveexec_b32 s24, s1
; %bb.519:                              ;   in Loop: Header=BB348_16 Depth=1
	v_clz_i32_u32_e32 v35, v7
	s_delay_alu instid0(VALU_DEP_1) | instskip(NEXT) | instid1(VALU_DEP_1)
	v_min_u32_e32 v58, 32, v35
	v_subrev_nc_u32_e32 v35, 28, v58
	v_sub_nc_u32_e32 v58, 29, v58
	s_delay_alu instid0(VALU_DEP_2) | instskip(NEXT) | instid1(VALU_DEP_1)
	v_lshlrev_b64 v[35:36], v35, v[7:8]
	v_and_b32_e32 v35, 7, v35
; %bb.520:                              ;   in Loop: Header=BB348_16 Depth=1
	s_or_b32 exec_lo, exec_lo, s24
	v_lshlrev_b32_e32 v7, 8, v59
	v_lshl_add_u32 v36, v58, 10, 0x2000
	s_delay_alu instid0(VALU_DEP_1) | instskip(NEXT) | instid1(VALU_DEP_1)
	v_and_or_b32 v7, 0x8000, v7, v36
	v_lshl_or_b32 v7, v35, 7, v7
	s_delay_alu instid0(VALU_DEP_1)
	v_cvt_f32_f16_e32 v58, v7
.LBB348_521:                            ;   in Loop: Header=BB348_16 Depth=1
	s_or_b32 exec_lo, exec_lo, s23
.LBB348_522:                            ;   in Loop: Header=BB348_16 Depth=1
	s_delay_alu instid0(SALU_CYCLE_1)
	s_or_b32 exec_lo, exec_lo, s22
.LBB348_523:                            ;   in Loop: Header=BB348_16 Depth=1
	s_delay_alu instid0(SALU_CYCLE_1) | instskip(NEXT) | instid1(SALU_CYCLE_1)
	s_or_b32 exec_lo, exec_lo, s21
	s_mov_b32 s21, exec_lo
	v_cmpx_lt_u64_e64 s[8:9], v[33:34]
	s_cbranch_execz .LBB348_531
; %bb.524:                              ;   in Loop: Header=BB348_16 Depth=1
	v_lshrrev_b32_e32 v35, 24, v34
	v_bfrev_b32_e32 v57, 1
	s_mov_b32 s22, exec_lo
	s_delay_alu instid0(VALU_DEP_2)
	v_cmpx_ne_u32_e32 0x80, v35
	s_cbranch_execz .LBB348_530
; %bb.525:                              ;   in Loop: Header=BB348_16 Depth=1
	v_and_b32_e32 v33, 0x7f, v35
	v_mov_b32_e32 v57, 0x7fc02000
	s_mov_b32 s23, exec_lo
	s_delay_alu instid0(VALU_DEP_2)
	v_cmpx_ne_u32_e32 0x7f, v33
	s_cbranch_execz .LBB348_529
; %bb.526:                              ;   in Loop: Header=BB348_16 Depth=1
	v_and_b32_e32 v7, 7, v35
	v_lshrrev_b32_e32 v36, 3, v33
	v_cmp_gt_u32_e64 s1, 8, v33
	s_delay_alu instid0(VALU_DEP_3) | instskip(NEXT) | instid1(VALU_DEP_2)
	v_dual_mov_b32 v34, v8 :: v_dual_mov_b32 v33, v7
	s_and_saveexec_b32 s24, s1
; %bb.527:                              ;   in Loop: Header=BB348_16 Depth=1
	v_clz_i32_u32_e32 v33, v7
	s_delay_alu instid0(VALU_DEP_1) | instskip(NEXT) | instid1(VALU_DEP_1)
	v_min_u32_e32 v36, 32, v33
	v_subrev_nc_u32_e32 v33, 28, v36
	v_sub_nc_u32_e32 v36, 29, v36
	s_delay_alu instid0(VALU_DEP_2) | instskip(NEXT) | instid1(VALU_DEP_1)
	v_lshlrev_b64 v[33:34], v33, v[7:8]
	v_and_b32_e32 v33, 7, v33
; %bb.528:                              ;   in Loop: Header=BB348_16 Depth=1
	s_or_b32 exec_lo, exec_lo, s24
	v_lshlrev_b32_e32 v7, 8, v35
	v_lshl_add_u32 v34, v36, 10, 0x2000
	s_delay_alu instid0(VALU_DEP_1) | instskip(NEXT) | instid1(VALU_DEP_1)
	v_and_or_b32 v7, 0x8000, v7, v34
	v_lshl_or_b32 v7, v33, 7, v7
	s_delay_alu instid0(VALU_DEP_1)
	v_cvt_f32_f16_e32 v57, v7
.LBB348_529:                            ;   in Loop: Header=BB348_16 Depth=1
	s_or_b32 exec_lo, exec_lo, s23
.LBB348_530:                            ;   in Loop: Header=BB348_16 Depth=1
	s_delay_alu instid0(SALU_CYCLE_1)
	s_or_b32 exec_lo, exec_lo, s22
.LBB348_531:                            ;   in Loop: Header=BB348_16 Depth=1
	s_delay_alu instid0(SALU_CYCLE_1)
	s_or_b32 exec_lo, exec_lo, s21
	flat_load_b64 v[33:34], v[31:32] offset:2048
	v_mov_b32_e32 v59, 0
	s_mov_b32 s21, exec_lo
	s_waitcnt vmcnt(0) lgkmcnt(0)
	v_dual_mov_b32 v60, 0 :: v_dual_and_b32 v7, 0xff, v33
	s_delay_alu instid0(VALU_DEP_1)
	v_cmpx_ne_u16_e32 0, v7
	s_cbranch_execz .LBB348_539
; %bb.532:                              ;   in Loop: Header=BB348_16 Depth=1
	v_bfrev_b32_e32 v59, 1
	s_mov_b32 s22, exec_lo
	v_cmpx_ne_u16_e32 0x80, v7
	s_cbranch_execz .LBB348_538
; %bb.533:                              ;   in Loop: Header=BB348_16 Depth=1
	v_and_b32_e32 v35, 0x7f, v33
	v_mov_b32_e32 v59, 0x7fc02000
	s_mov_b32 s23, exec_lo
	s_delay_alu instid0(VALU_DEP_2)
	v_cmpx_ne_u32_e32 0x7f, v35
	s_cbranch_execz .LBB348_537
; %bb.534:                              ;   in Loop: Header=BB348_16 Depth=1
	v_lshrrev_b32_e32 v7, 3, v35
	v_cmp_gt_u32_e64 s1, 8, v35
	v_dual_mov_b32 v36, v34 :: v_dual_mov_b32 v35, v33
	s_delay_alu instid0(VALU_DEP_2)
	s_and_saveexec_b32 s24, s1
; %bb.535:                              ;   in Loop: Header=BB348_16 Depth=1
	v_and_b32_e32 v7, 7, v33
	s_delay_alu instid0(VALU_DEP_1) | instskip(NEXT) | instid1(VALU_DEP_1)
	v_clz_i32_u32_e32 v7, v7
	v_min_u32_e32 v7, 32, v7
	s_delay_alu instid0(VALU_DEP_1) | instskip(SKIP_1) | instid1(VALU_DEP_2)
	v_subrev_nc_u32_e32 v35, 28, v7
	v_sub_nc_u32_e32 v7, 29, v7
	v_lshlrev_b64 v[35:36], v35, v[33:34]
; %bb.536:                              ;   in Loop: Header=BB348_16 Depth=1
	s_or_b32 exec_lo, exec_lo, s24
	v_lshlrev_b32_e32 v36, 8, v33
	s_delay_alu instid0(VALU_DEP_3) | instskip(NEXT) | instid1(VALU_DEP_3)
	v_lshl_add_u32 v7, v7, 10, 0x2000
	v_lshlrev_b32_e32 v35, 7, v35
	s_delay_alu instid0(VALU_DEP_2) | instskip(NEXT) | instid1(VALU_DEP_1)
	v_and_or_b32 v7, 0x8000, v36, v7
	v_and_or_b32 v7, 0x380, v35, v7
	s_delay_alu instid0(VALU_DEP_1)
	v_cvt_f32_f16_e32 v59, v7
.LBB348_537:                            ;   in Loop: Header=BB348_16 Depth=1
	s_or_b32 exec_lo, exec_lo, s23
.LBB348_538:                            ;   in Loop: Header=BB348_16 Depth=1
	s_delay_alu instid0(SALU_CYCLE_1)
	s_or_b32 exec_lo, exec_lo, s22
.LBB348_539:                            ;   in Loop: Header=BB348_16 Depth=1
	s_delay_alu instid0(SALU_CYCLE_1) | instskip(SKIP_2) | instid1(VALU_DEP_1)
	s_or_b32 exec_lo, exec_lo, s21
	v_lshrrev_b16 v7, 8, v33
	s_mov_b32 s21, exec_lo
	v_cmpx_ne_u16_e32 0, v7
	s_cbranch_execz .LBB348_547
; %bb.540:                              ;   in Loop: Header=BB348_16 Depth=1
	v_bfrev_b32_e32 v60, 1
	s_mov_b32 s22, exec_lo
	v_cmpx_ne_u16_e32 0x80, v7
	s_cbranch_execz .LBB348_546
; %bb.541:                              ;   in Loop: Header=BB348_16 Depth=1
	v_and_b32_e32 v61, 0xffff, v7
	v_mov_b32_e32 v60, 0x7fc02000
	s_mov_b32 s23, exec_lo
	s_delay_alu instid0(VALU_DEP_2) | instskip(NEXT) | instid1(VALU_DEP_1)
	v_and_b32_e32 v35, 0x7f, v61
	v_cmpx_ne_u32_e32 0x7f, v35
	s_cbranch_execz .LBB348_545
; %bb.542:                              ;   in Loop: Header=BB348_16 Depth=1
	v_and_b32_e32 v7, 7, v61
	v_lshrrev_b32_e32 v60, 3, v35
	v_cmp_gt_u32_e64 s1, 8, v35
	s_delay_alu instid0(VALU_DEP_3) | instskip(NEXT) | instid1(VALU_DEP_2)
	v_dual_mov_b32 v36, v8 :: v_dual_mov_b32 v35, v7
	s_and_saveexec_b32 s24, s1
; %bb.543:                              ;   in Loop: Header=BB348_16 Depth=1
	v_clz_i32_u32_e32 v35, v7
	s_delay_alu instid0(VALU_DEP_1) | instskip(NEXT) | instid1(VALU_DEP_1)
	v_min_u32_e32 v60, 32, v35
	v_subrev_nc_u32_e32 v35, 28, v60
	v_sub_nc_u32_e32 v60, 29, v60
	s_delay_alu instid0(VALU_DEP_2) | instskip(NEXT) | instid1(VALU_DEP_1)
	v_lshlrev_b64 v[35:36], v35, v[7:8]
	v_and_b32_e32 v35, 7, v35
; %bb.544:                              ;   in Loop: Header=BB348_16 Depth=1
	s_or_b32 exec_lo, exec_lo, s24
	v_lshlrev_b32_e32 v7, 8, v61
	v_lshl_add_u32 v36, v60, 10, 0x2000
	s_delay_alu instid0(VALU_DEP_1) | instskip(NEXT) | instid1(VALU_DEP_1)
	v_and_or_b32 v7, 0x8000, v7, v36
	v_lshl_or_b32 v7, v35, 7, v7
	s_delay_alu instid0(VALU_DEP_1)
	v_cvt_f32_f16_e32 v60, v7
.LBB348_545:                            ;   in Loop: Header=BB348_16 Depth=1
	s_or_b32 exec_lo, exec_lo, s23
.LBB348_546:                            ;   in Loop: Header=BB348_16 Depth=1
	s_delay_alu instid0(SALU_CYCLE_1)
	s_or_b32 exec_lo, exec_lo, s22
.LBB348_547:                            ;   in Loop: Header=BB348_16 Depth=1
	s_delay_alu instid0(SALU_CYCLE_1) | instskip(SKIP_3) | instid1(VALU_DEP_2)
	s_or_b32 exec_lo, exec_lo, s21
	v_lshrrev_b32_e32 v63, 16, v33
	v_mov_b32_e32 v61, 0
	s_mov_b32 s21, exec_lo
	v_dual_mov_b32 v62, 0 :: v_dual_and_b32 v7, 0xff, v63
	s_delay_alu instid0(VALU_DEP_1)
	v_cmpx_ne_u16_e32 0, v7
	s_cbranch_execz .LBB348_555
; %bb.548:                              ;   in Loop: Header=BB348_16 Depth=1
	v_bfrev_b32_e32 v61, 1
	s_mov_b32 s22, exec_lo
	v_cmpx_ne_u16_e32 0x80, v7
	s_cbranch_execz .LBB348_554
; %bb.549:                              ;   in Loop: Header=BB348_16 Depth=1
	v_bfe_u32 v35, v33, 16, 7
	v_mov_b32_e32 v61, 0x7fc02000
	s_mov_b32 s23, exec_lo
	s_delay_alu instid0(VALU_DEP_2)
	v_cmpx_ne_u32_e32 0x7f, v35
	s_cbranch_execz .LBB348_553
; %bb.550:                              ;   in Loop: Header=BB348_16 Depth=1
	v_and_b32_e32 v7, 7, v63
	v_lshrrev_b32_e32 v61, 3, v35
	v_cmp_gt_u32_e64 s1, 8, v35
	s_delay_alu instid0(VALU_DEP_3) | instskip(NEXT) | instid1(VALU_DEP_2)
	v_dual_mov_b32 v36, v8 :: v_dual_mov_b32 v35, v7
	s_and_saveexec_b32 s24, s1
; %bb.551:                              ;   in Loop: Header=BB348_16 Depth=1
	v_clz_i32_u32_e32 v35, v7
	s_delay_alu instid0(VALU_DEP_1) | instskip(NEXT) | instid1(VALU_DEP_1)
	v_min_u32_e32 v61, 32, v35
	v_subrev_nc_u32_e32 v35, 28, v61
	v_sub_nc_u32_e32 v61, 29, v61
	s_delay_alu instid0(VALU_DEP_2) | instskip(NEXT) | instid1(VALU_DEP_1)
	v_lshlrev_b64 v[35:36], v35, v[7:8]
	v_and_b32_e32 v35, 7, v35
; %bb.552:                              ;   in Loop: Header=BB348_16 Depth=1
	s_or_b32 exec_lo, exec_lo, s24
	v_lshlrev_b32_e32 v7, 8, v63
	v_lshl_add_u32 v36, v61, 10, 0x2000
	s_delay_alu instid0(VALU_DEP_1) | instskip(NEXT) | instid1(VALU_DEP_1)
	v_and_or_b32 v7, 0x8000, v7, v36
	v_lshl_or_b32 v7, v35, 7, v7
	s_delay_alu instid0(VALU_DEP_1)
	v_cvt_f32_f16_e32 v61, v7
.LBB348_553:                            ;   in Loop: Header=BB348_16 Depth=1
	s_or_b32 exec_lo, exec_lo, s23
.LBB348_554:                            ;   in Loop: Header=BB348_16 Depth=1
	s_delay_alu instid0(SALU_CYCLE_1)
	s_or_b32 exec_lo, exec_lo, s22
.LBB348_555:                            ;   in Loop: Header=BB348_16 Depth=1
	s_delay_alu instid0(SALU_CYCLE_1) | instskip(NEXT) | instid1(SALU_CYCLE_1)
	s_or_b32 exec_lo, exec_lo, s21
	s_mov_b32 s21, exec_lo
	v_cmpx_lt_u32_e32 0xffffff, v33
	s_cbranch_execz .LBB348_563
; %bb.556:                              ;   in Loop: Header=BB348_16 Depth=1
	v_lshrrev_b32_e32 v63, 24, v33
	v_bfrev_b32_e32 v62, 1
	s_mov_b32 s22, exec_lo
	s_delay_alu instid0(VALU_DEP_2)
	v_cmpx_ne_u32_e32 0x80, v63
	s_cbranch_execz .LBB348_562
; %bb.557:                              ;   in Loop: Header=BB348_16 Depth=1
	v_and_b32_e32 v35, 0x7f, v63
	v_mov_b32_e32 v62, 0x7fc02000
	s_mov_b32 s23, exec_lo
	s_delay_alu instid0(VALU_DEP_2)
	v_cmpx_ne_u32_e32 0x7f, v35
	s_cbranch_execz .LBB348_561
; %bb.558:                              ;   in Loop: Header=BB348_16 Depth=1
	v_and_b32_e32 v7, 7, v63
	v_lshrrev_b32_e32 v62, 3, v35
	v_cmp_gt_u32_e64 s1, 8, v35
	s_delay_alu instid0(VALU_DEP_3) | instskip(NEXT) | instid1(VALU_DEP_2)
	v_dual_mov_b32 v36, v8 :: v_dual_mov_b32 v35, v7
	s_and_saveexec_b32 s24, s1
; %bb.559:                              ;   in Loop: Header=BB348_16 Depth=1
	v_clz_i32_u32_e32 v35, v7
	s_delay_alu instid0(VALU_DEP_1) | instskip(NEXT) | instid1(VALU_DEP_1)
	v_min_u32_e32 v62, 32, v35
	v_subrev_nc_u32_e32 v35, 28, v62
	v_sub_nc_u32_e32 v62, 29, v62
	s_delay_alu instid0(VALU_DEP_2) | instskip(NEXT) | instid1(VALU_DEP_1)
	v_lshlrev_b64 v[35:36], v35, v[7:8]
	v_and_b32_e32 v35, 7, v35
; %bb.560:                              ;   in Loop: Header=BB348_16 Depth=1
	s_or_b32 exec_lo, exec_lo, s24
	v_lshlrev_b32_e32 v7, 8, v63
	v_lshl_add_u32 v36, v62, 10, 0x2000
	s_delay_alu instid0(VALU_DEP_1) | instskip(NEXT) | instid1(VALU_DEP_1)
	v_and_or_b32 v7, 0x8000, v7, v36
	v_lshl_or_b32 v7, v35, 7, v7
	s_delay_alu instid0(VALU_DEP_1)
	v_cvt_f32_f16_e32 v62, v7
.LBB348_561:                            ;   in Loop: Header=BB348_16 Depth=1
	s_or_b32 exec_lo, exec_lo, s23
.LBB348_562:                            ;   in Loop: Header=BB348_16 Depth=1
	s_delay_alu instid0(SALU_CYCLE_1)
	s_or_b32 exec_lo, exec_lo, s22
.LBB348_563:                            ;   in Loop: Header=BB348_16 Depth=1
	s_delay_alu instid0(SALU_CYCLE_1) | instskip(SKIP_4) | instid1(VALU_DEP_3)
	s_or_b32 exec_lo, exec_lo, s21
	v_dual_mov_b32 v72, 0 :: v_dual_and_b32 v35, 0xff, v34
	v_mov_b32_e32 v7, v34
	v_mov_b32_e32 v63, 0
	s_mov_b32 s21, exec_lo
	v_cmpx_ne_u16_e32 0, v35
	s_cbranch_execz .LBB348_571
; %bb.564:                              ;   in Loop: Header=BB348_16 Depth=1
	v_bfrev_b32_e32 v63, 1
	s_mov_b32 s22, exec_lo
	v_cmpx_ne_u16_e32 0x80, v35
	s_cbranch_execz .LBB348_570
; %bb.565:                              ;   in Loop: Header=BB348_16 Depth=1
	v_and_b32_e32 v35, 0x7f, v34
	v_mov_b32_e32 v63, 0x7fc02000
	s_mov_b32 s23, exec_lo
	s_delay_alu instid0(VALU_DEP_2)
	v_cmpx_ne_u32_e32 0x7f, v35
	s_cbranch_execz .LBB348_569
; %bb.566:                              ;   in Loop: Header=BB348_16 Depth=1
	v_lshrrev_b32_e32 v63, 3, v35
	v_cmp_gt_u32_e64 s1, 8, v35
	v_dual_mov_b32 v36, v8 :: v_dual_mov_b32 v35, v7
	s_delay_alu instid0(VALU_DEP_2)
	s_and_saveexec_b32 s24, s1
; %bb.567:                              ;   in Loop: Header=BB348_16 Depth=1
	v_and_b32_e32 v35, 7, v34
	s_delay_alu instid0(VALU_DEP_1) | instskip(NEXT) | instid1(VALU_DEP_1)
	v_clz_i32_u32_e32 v35, v35
	v_min_u32_e32 v63, 32, v35
	s_delay_alu instid0(VALU_DEP_1) | instskip(SKIP_1) | instid1(VALU_DEP_2)
	v_subrev_nc_u32_e32 v35, 28, v63
	v_sub_nc_u32_e32 v63, 29, v63
	v_lshlrev_b64 v[35:36], v35, v[7:8]
; %bb.568:                              ;   in Loop: Header=BB348_16 Depth=1
	s_or_b32 exec_lo, exec_lo, s24
	v_lshlrev_b32_e32 v36, 8, v34
	s_delay_alu instid0(VALU_DEP_3) | instskip(NEXT) | instid1(VALU_DEP_3)
	v_lshl_add_u32 v63, v63, 10, 0x2000
	v_lshlrev_b32_e32 v35, 7, v35
	s_delay_alu instid0(VALU_DEP_2) | instskip(NEXT) | instid1(VALU_DEP_1)
	v_and_or_b32 v36, 0x8000, v36, v63
	v_and_or_b32 v35, 0x380, v35, v36
	s_delay_alu instid0(VALU_DEP_1)
	v_cvt_f32_f16_e32 v63, v35
.LBB348_569:                            ;   in Loop: Header=BB348_16 Depth=1
	s_or_b32 exec_lo, exec_lo, s23
.LBB348_570:                            ;   in Loop: Header=BB348_16 Depth=1
	s_delay_alu instid0(SALU_CYCLE_1)
	s_or_b32 exec_lo, exec_lo, s22
.LBB348_571:                            ;   in Loop: Header=BB348_16 Depth=1
	s_delay_alu instid0(SALU_CYCLE_1) | instskip(SKIP_2) | instid1(VALU_DEP_1)
	s_or_b32 exec_lo, exec_lo, s21
	v_lshrrev_b16 v7, 8, v7
	s_mov_b32 s21, exec_lo
	v_cmpx_ne_u16_e32 0, v7
	s_cbranch_execz .LBB348_579
; %bb.572:                              ;   in Loop: Header=BB348_16 Depth=1
	v_bfrev_b32_e32 v72, 1
	s_mov_b32 s22, exec_lo
	v_cmpx_ne_u16_e32 0x80, v7
	s_cbranch_execz .LBB348_578
; %bb.573:                              ;   in Loop: Header=BB348_16 Depth=1
	v_and_b32_e32 v73, 0xffff, v7
	v_mov_b32_e32 v72, 0x7fc02000
	s_mov_b32 s23, exec_lo
	s_delay_alu instid0(VALU_DEP_2) | instskip(NEXT) | instid1(VALU_DEP_1)
	v_and_b32_e32 v35, 0x7f, v73
	v_cmpx_ne_u32_e32 0x7f, v35
	s_cbranch_execz .LBB348_577
; %bb.574:                              ;   in Loop: Header=BB348_16 Depth=1
	v_and_b32_e32 v7, 7, v73
	v_lshrrev_b32_e32 v72, 3, v35
	v_cmp_gt_u32_e64 s1, 8, v35
	s_delay_alu instid0(VALU_DEP_3) | instskip(NEXT) | instid1(VALU_DEP_2)
	v_dual_mov_b32 v36, v8 :: v_dual_mov_b32 v35, v7
	s_and_saveexec_b32 s24, s1
; %bb.575:                              ;   in Loop: Header=BB348_16 Depth=1
	v_clz_i32_u32_e32 v35, v7
	s_delay_alu instid0(VALU_DEP_1) | instskip(NEXT) | instid1(VALU_DEP_1)
	v_min_u32_e32 v72, 32, v35
	v_subrev_nc_u32_e32 v35, 28, v72
	v_sub_nc_u32_e32 v72, 29, v72
	s_delay_alu instid0(VALU_DEP_2) | instskip(NEXT) | instid1(VALU_DEP_1)
	v_lshlrev_b64 v[35:36], v35, v[7:8]
	v_and_b32_e32 v35, 7, v35
; %bb.576:                              ;   in Loop: Header=BB348_16 Depth=1
	s_or_b32 exec_lo, exec_lo, s24
	v_lshlrev_b32_e32 v7, 8, v73
	v_lshl_add_u32 v36, v72, 10, 0x2000
	s_delay_alu instid0(VALU_DEP_1) | instskip(NEXT) | instid1(VALU_DEP_1)
	v_and_or_b32 v7, 0x8000, v7, v36
	v_lshl_or_b32 v7, v35, 7, v7
	s_delay_alu instid0(VALU_DEP_1)
	v_cvt_f32_f16_e32 v72, v7
.LBB348_577:                            ;   in Loop: Header=BB348_16 Depth=1
	s_or_b32 exec_lo, exec_lo, s23
.LBB348_578:                            ;   in Loop: Header=BB348_16 Depth=1
	s_delay_alu instid0(SALU_CYCLE_1)
	s_or_b32 exec_lo, exec_lo, s22
.LBB348_579:                            ;   in Loop: Header=BB348_16 Depth=1
	s_delay_alu instid0(SALU_CYCLE_1) | instskip(SKIP_3) | instid1(VALU_DEP_2)
	s_or_b32 exec_lo, exec_lo, s21
	v_lshrrev_b32_e32 v73, 16, v34
	v_mov_b32_e32 v79, 0
	s_mov_b32 s21, exec_lo
	v_dual_mov_b32 v78, 0 :: v_dual_and_b32 v7, 0xff, v73
	s_delay_alu instid0(VALU_DEP_1)
	v_cmpx_ne_u16_e32 0, v7
	s_cbranch_execz .LBB348_587
; %bb.580:                              ;   in Loop: Header=BB348_16 Depth=1
	v_bfrev_b32_e32 v79, 1
	s_mov_b32 s22, exec_lo
	v_cmpx_ne_u16_e32 0x80, v7
	s_cbranch_execz .LBB348_586
; %bb.581:                              ;   in Loop: Header=BB348_16 Depth=1
	v_bfe_u32 v35, v34, 16, 7
	v_mov_b32_e32 v79, 0x7fc02000
	s_mov_b32 s23, exec_lo
	s_delay_alu instid0(VALU_DEP_2)
	v_cmpx_ne_u32_e32 0x7f, v35
	s_cbranch_execz .LBB348_585
; %bb.582:                              ;   in Loop: Header=BB348_16 Depth=1
	v_and_b32_e32 v7, 7, v73
	v_lshrrev_b32_e32 v74, 3, v35
	v_cmp_gt_u32_e64 s1, 8, v35
	s_delay_alu instid0(VALU_DEP_3) | instskip(NEXT) | instid1(VALU_DEP_2)
	v_dual_mov_b32 v36, v8 :: v_dual_mov_b32 v35, v7
	s_and_saveexec_b32 s24, s1
; %bb.583:                              ;   in Loop: Header=BB348_16 Depth=1
	v_clz_i32_u32_e32 v35, v7
	s_delay_alu instid0(VALU_DEP_1) | instskip(NEXT) | instid1(VALU_DEP_1)
	v_min_u32_e32 v74, 32, v35
	v_subrev_nc_u32_e32 v35, 28, v74
	v_sub_nc_u32_e32 v74, 29, v74
	s_delay_alu instid0(VALU_DEP_2) | instskip(NEXT) | instid1(VALU_DEP_1)
	v_lshlrev_b64 v[35:36], v35, v[7:8]
	v_and_b32_e32 v35, 7, v35
; %bb.584:                              ;   in Loop: Header=BB348_16 Depth=1
	s_or_b32 exec_lo, exec_lo, s24
	v_lshlrev_b32_e32 v7, 8, v73
	v_lshl_add_u32 v36, v74, 10, 0x2000
	s_delay_alu instid0(VALU_DEP_1) | instskip(NEXT) | instid1(VALU_DEP_1)
	v_and_or_b32 v7, 0x8000, v7, v36
	v_lshl_or_b32 v7, v35, 7, v7
	s_delay_alu instid0(VALU_DEP_1)
	v_cvt_f32_f16_e32 v79, v7
.LBB348_585:                            ;   in Loop: Header=BB348_16 Depth=1
	s_or_b32 exec_lo, exec_lo, s23
.LBB348_586:                            ;   in Loop: Header=BB348_16 Depth=1
	s_delay_alu instid0(SALU_CYCLE_1)
	s_or_b32 exec_lo, exec_lo, s22
.LBB348_587:                            ;   in Loop: Header=BB348_16 Depth=1
	s_delay_alu instid0(SALU_CYCLE_1) | instskip(NEXT) | instid1(SALU_CYCLE_1)
	s_or_b32 exec_lo, exec_lo, s21
	s_mov_b32 s21, exec_lo
	v_cmpx_lt_u64_e64 s[8:9], v[33:34]
	s_cbranch_execz .LBB348_595
; %bb.588:                              ;   in Loop: Header=BB348_16 Depth=1
	v_lshrrev_b32_e32 v35, 24, v34
	v_bfrev_b32_e32 v78, 1
	s_mov_b32 s22, exec_lo
	s_delay_alu instid0(VALU_DEP_2)
	v_cmpx_ne_u32_e32 0x80, v35
	s_cbranch_execz .LBB348_594
; %bb.589:                              ;   in Loop: Header=BB348_16 Depth=1
	v_and_b32_e32 v33, 0x7f, v35
	v_mov_b32_e32 v78, 0x7fc02000
	s_mov_b32 s23, exec_lo
	s_delay_alu instid0(VALU_DEP_2)
	v_cmpx_ne_u32_e32 0x7f, v33
	s_cbranch_execz .LBB348_593
; %bb.590:                              ;   in Loop: Header=BB348_16 Depth=1
	v_and_b32_e32 v7, 7, v35
	v_lshrrev_b32_e32 v36, 3, v33
	v_cmp_gt_u32_e64 s1, 8, v33
	s_delay_alu instid0(VALU_DEP_3) | instskip(NEXT) | instid1(VALU_DEP_2)
	v_dual_mov_b32 v34, v8 :: v_dual_mov_b32 v33, v7
	s_and_saveexec_b32 s24, s1
; %bb.591:                              ;   in Loop: Header=BB348_16 Depth=1
	v_clz_i32_u32_e32 v33, v7
	s_delay_alu instid0(VALU_DEP_1) | instskip(NEXT) | instid1(VALU_DEP_1)
	v_min_u32_e32 v36, 32, v33
	v_subrev_nc_u32_e32 v33, 28, v36
	v_sub_nc_u32_e32 v36, 29, v36
	s_delay_alu instid0(VALU_DEP_2) | instskip(NEXT) | instid1(VALU_DEP_1)
	v_lshlrev_b64 v[33:34], v33, v[7:8]
	v_and_b32_e32 v33, 7, v33
; %bb.592:                              ;   in Loop: Header=BB348_16 Depth=1
	s_or_b32 exec_lo, exec_lo, s24
	v_lshlrev_b32_e32 v7, 8, v35
	v_lshl_add_u32 v34, v36, 10, 0x2000
	s_delay_alu instid0(VALU_DEP_1) | instskip(NEXT) | instid1(VALU_DEP_1)
	v_and_or_b32 v7, 0x8000, v7, v34
	v_lshl_or_b32 v7, v33, 7, v7
	s_delay_alu instid0(VALU_DEP_1)
	v_cvt_f32_f16_e32 v78, v7
.LBB348_593:                            ;   in Loop: Header=BB348_16 Depth=1
	s_or_b32 exec_lo, exec_lo, s23
.LBB348_594:                            ;   in Loop: Header=BB348_16 Depth=1
	s_delay_alu instid0(SALU_CYCLE_1)
	s_or_b32 exec_lo, exec_lo, s22
.LBB348_595:                            ;   in Loop: Header=BB348_16 Depth=1
	s_delay_alu instid0(SALU_CYCLE_1)
	s_or_b32 exec_lo, exec_lo, s21
	flat_load_b64 v[33:34], v[31:32] offset:2056
	v_mov_b32_e32 v93, 0
	s_mov_b32 s21, exec_lo
	s_waitcnt vmcnt(0) lgkmcnt(0)
	v_dual_mov_b32 v92, 0 :: v_dual_and_b32 v7, 0xff, v33
	s_delay_alu instid0(VALU_DEP_1)
	v_cmpx_ne_u16_e32 0, v7
	s_cbranch_execz .LBB348_603
; %bb.596:                              ;   in Loop: Header=BB348_16 Depth=1
	v_bfrev_b32_e32 v92, 1
	s_mov_b32 s22, exec_lo
	v_cmpx_ne_u16_e32 0x80, v7
	s_cbranch_execz .LBB348_602
; %bb.597:                              ;   in Loop: Header=BB348_16 Depth=1
	v_and_b32_e32 v35, 0x7f, v33
	v_mov_b32_e32 v92, 0x7fc02000
	s_mov_b32 s23, exec_lo
	s_delay_alu instid0(VALU_DEP_2)
	v_cmpx_ne_u32_e32 0x7f, v35
	s_cbranch_execz .LBB348_601
; %bb.598:                              ;   in Loop: Header=BB348_16 Depth=1
	v_lshrrev_b32_e32 v7, 3, v35
	v_cmp_gt_u32_e64 s1, 8, v35
	v_dual_mov_b32 v36, v34 :: v_dual_mov_b32 v35, v33
	s_delay_alu instid0(VALU_DEP_2)
	s_and_saveexec_b32 s24, s1
; %bb.599:                              ;   in Loop: Header=BB348_16 Depth=1
	v_and_b32_e32 v7, 7, v33
	s_delay_alu instid0(VALU_DEP_1) | instskip(NEXT) | instid1(VALU_DEP_1)
	v_clz_i32_u32_e32 v7, v7
	v_min_u32_e32 v7, 32, v7
	s_delay_alu instid0(VALU_DEP_1) | instskip(SKIP_1) | instid1(VALU_DEP_2)
	v_subrev_nc_u32_e32 v35, 28, v7
	v_sub_nc_u32_e32 v7, 29, v7
	v_lshlrev_b64 v[35:36], v35, v[33:34]
; %bb.600:                              ;   in Loop: Header=BB348_16 Depth=1
	s_or_b32 exec_lo, exec_lo, s24
	v_lshlrev_b32_e32 v36, 8, v33
	s_delay_alu instid0(VALU_DEP_3) | instskip(NEXT) | instid1(VALU_DEP_3)
	v_lshl_add_u32 v7, v7, 10, 0x2000
	v_lshlrev_b32_e32 v35, 7, v35
	s_delay_alu instid0(VALU_DEP_2) | instskip(NEXT) | instid1(VALU_DEP_1)
	v_and_or_b32 v7, 0x8000, v36, v7
	v_and_or_b32 v7, 0x380, v35, v7
	s_delay_alu instid0(VALU_DEP_1)
	v_cvt_f32_f16_e32 v92, v7
.LBB348_601:                            ;   in Loop: Header=BB348_16 Depth=1
	s_or_b32 exec_lo, exec_lo, s23
.LBB348_602:                            ;   in Loop: Header=BB348_16 Depth=1
	s_delay_alu instid0(SALU_CYCLE_1)
	s_or_b32 exec_lo, exec_lo, s22
.LBB348_603:                            ;   in Loop: Header=BB348_16 Depth=1
	s_delay_alu instid0(SALU_CYCLE_1) | instskip(SKIP_2) | instid1(VALU_DEP_1)
	s_or_b32 exec_lo, exec_lo, s21
	v_lshrrev_b16 v7, 8, v33
	s_mov_b32 s21, exec_lo
	v_cmpx_ne_u16_e32 0, v7
	s_cbranch_execz .LBB348_611
; %bb.604:                              ;   in Loop: Header=BB348_16 Depth=1
	v_bfrev_b32_e32 v93, 1
	s_mov_b32 s22, exec_lo
	v_cmpx_ne_u16_e32 0x80, v7
	s_cbranch_execz .LBB348_610
; %bb.605:                              ;   in Loop: Header=BB348_16 Depth=1
	v_and_b32_e32 v73, 0xffff, v7
	v_mov_b32_e32 v93, 0x7fc02000
	s_mov_b32 s23, exec_lo
	s_delay_alu instid0(VALU_DEP_2) | instskip(NEXT) | instid1(VALU_DEP_1)
	v_and_b32_e32 v35, 0x7f, v73
	v_cmpx_ne_u32_e32 0x7f, v35
	s_cbranch_execz .LBB348_609
; %bb.606:                              ;   in Loop: Header=BB348_16 Depth=1
	v_and_b32_e32 v7, 7, v73
	v_lshrrev_b32_e32 v74, 3, v35
	v_cmp_gt_u32_e64 s1, 8, v35
	s_delay_alu instid0(VALU_DEP_3) | instskip(NEXT) | instid1(VALU_DEP_2)
	v_dual_mov_b32 v36, v8 :: v_dual_mov_b32 v35, v7
	s_and_saveexec_b32 s24, s1
; %bb.607:                              ;   in Loop: Header=BB348_16 Depth=1
	v_clz_i32_u32_e32 v35, v7
	s_delay_alu instid0(VALU_DEP_1) | instskip(NEXT) | instid1(VALU_DEP_1)
	v_min_u32_e32 v74, 32, v35
	v_subrev_nc_u32_e32 v35, 28, v74
	v_sub_nc_u32_e32 v74, 29, v74
	s_delay_alu instid0(VALU_DEP_2) | instskip(NEXT) | instid1(VALU_DEP_1)
	v_lshlrev_b64 v[35:36], v35, v[7:8]
	v_and_b32_e32 v35, 7, v35
; %bb.608:                              ;   in Loop: Header=BB348_16 Depth=1
	s_or_b32 exec_lo, exec_lo, s24
	v_lshlrev_b32_e32 v7, 8, v73
	v_lshl_add_u32 v36, v74, 10, 0x2000
	s_delay_alu instid0(VALU_DEP_1) | instskip(NEXT) | instid1(VALU_DEP_1)
	v_and_or_b32 v7, 0x8000, v7, v36
	v_lshl_or_b32 v7, v35, 7, v7
	s_delay_alu instid0(VALU_DEP_1)
	v_cvt_f32_f16_e32 v93, v7
.LBB348_609:                            ;   in Loop: Header=BB348_16 Depth=1
	s_or_b32 exec_lo, exec_lo, s23
.LBB348_610:                            ;   in Loop: Header=BB348_16 Depth=1
	s_delay_alu instid0(SALU_CYCLE_1)
	s_or_b32 exec_lo, exec_lo, s22
.LBB348_611:                            ;   in Loop: Header=BB348_16 Depth=1
	s_delay_alu instid0(SALU_CYCLE_1) | instskip(SKIP_3) | instid1(VALU_DEP_2)
	s_or_b32 exec_lo, exec_lo, s21
	v_lshrrev_b32_e32 v73, 16, v33
	v_mov_b32_e32 v109, 0
	s_mov_b32 s21, exec_lo
	v_dual_mov_b32 v108, 0 :: v_dual_and_b32 v7, 0xff, v73
	s_delay_alu instid0(VALU_DEP_1)
	v_cmpx_ne_u16_e32 0, v7
	s_cbranch_execz .LBB348_619
; %bb.612:                              ;   in Loop: Header=BB348_16 Depth=1
	v_bfrev_b32_e32 v108, 1
	s_mov_b32 s22, exec_lo
	v_cmpx_ne_u16_e32 0x80, v7
	s_cbranch_execz .LBB348_618
; %bb.613:                              ;   in Loop: Header=BB348_16 Depth=1
	v_bfe_u32 v35, v33, 16, 7
	v_mov_b32_e32 v108, 0x7fc02000
	s_mov_b32 s23, exec_lo
	s_delay_alu instid0(VALU_DEP_2)
	v_cmpx_ne_u32_e32 0x7f, v35
	s_cbranch_execz .LBB348_617
; %bb.614:                              ;   in Loop: Header=BB348_16 Depth=1
	v_and_b32_e32 v7, 7, v73
	v_lshrrev_b32_e32 v74, 3, v35
	v_cmp_gt_u32_e64 s1, 8, v35
	s_delay_alu instid0(VALU_DEP_3) | instskip(NEXT) | instid1(VALU_DEP_2)
	v_dual_mov_b32 v36, v8 :: v_dual_mov_b32 v35, v7
	s_and_saveexec_b32 s24, s1
; %bb.615:                              ;   in Loop: Header=BB348_16 Depth=1
	v_clz_i32_u32_e32 v35, v7
	s_delay_alu instid0(VALU_DEP_1) | instskip(NEXT) | instid1(VALU_DEP_1)
	v_min_u32_e32 v74, 32, v35
	v_subrev_nc_u32_e32 v35, 28, v74
	v_sub_nc_u32_e32 v74, 29, v74
	s_delay_alu instid0(VALU_DEP_2) | instskip(NEXT) | instid1(VALU_DEP_1)
	v_lshlrev_b64 v[35:36], v35, v[7:8]
	v_and_b32_e32 v35, 7, v35
; %bb.616:                              ;   in Loop: Header=BB348_16 Depth=1
	s_or_b32 exec_lo, exec_lo, s24
	v_lshlrev_b32_e32 v7, 8, v73
	v_lshl_add_u32 v36, v74, 10, 0x2000
	s_delay_alu instid0(VALU_DEP_1) | instskip(NEXT) | instid1(VALU_DEP_1)
	v_and_or_b32 v7, 0x8000, v7, v36
	v_lshl_or_b32 v7, v35, 7, v7
	s_delay_alu instid0(VALU_DEP_1)
	v_cvt_f32_f16_e32 v108, v7
.LBB348_617:                            ;   in Loop: Header=BB348_16 Depth=1
	s_or_b32 exec_lo, exec_lo, s23
.LBB348_618:                            ;   in Loop: Header=BB348_16 Depth=1
	s_delay_alu instid0(SALU_CYCLE_1)
	s_or_b32 exec_lo, exec_lo, s22
.LBB348_619:                            ;   in Loop: Header=BB348_16 Depth=1
	s_delay_alu instid0(SALU_CYCLE_1) | instskip(NEXT) | instid1(SALU_CYCLE_1)
	s_or_b32 exec_lo, exec_lo, s21
	s_mov_b32 s21, exec_lo
	v_cmpx_lt_u32_e32 0xffffff, v33
	s_cbranch_execz .LBB348_627
; %bb.620:                              ;   in Loop: Header=BB348_16 Depth=1
	v_lshrrev_b32_e32 v73, 24, v33
	v_bfrev_b32_e32 v109, 1
	s_mov_b32 s22, exec_lo
	s_delay_alu instid0(VALU_DEP_2)
	v_cmpx_ne_u32_e32 0x80, v73
	s_cbranch_execz .LBB348_626
; %bb.621:                              ;   in Loop: Header=BB348_16 Depth=1
	v_and_b32_e32 v35, 0x7f, v73
	v_mov_b32_e32 v109, 0x7fc02000
	s_mov_b32 s23, exec_lo
	s_delay_alu instid0(VALU_DEP_2)
	v_cmpx_ne_u32_e32 0x7f, v35
	s_cbranch_execz .LBB348_625
; %bb.622:                              ;   in Loop: Header=BB348_16 Depth=1
	v_and_b32_e32 v7, 7, v73
	v_lshrrev_b32_e32 v74, 3, v35
	v_cmp_gt_u32_e64 s1, 8, v35
	s_delay_alu instid0(VALU_DEP_3) | instskip(NEXT) | instid1(VALU_DEP_2)
	v_dual_mov_b32 v36, v8 :: v_dual_mov_b32 v35, v7
	s_and_saveexec_b32 s24, s1
; %bb.623:                              ;   in Loop: Header=BB348_16 Depth=1
	v_clz_i32_u32_e32 v35, v7
	s_delay_alu instid0(VALU_DEP_1) | instskip(NEXT) | instid1(VALU_DEP_1)
	v_min_u32_e32 v74, 32, v35
	v_subrev_nc_u32_e32 v35, 28, v74
	v_sub_nc_u32_e32 v74, 29, v74
	s_delay_alu instid0(VALU_DEP_2) | instskip(NEXT) | instid1(VALU_DEP_1)
	v_lshlrev_b64 v[35:36], v35, v[7:8]
	v_and_b32_e32 v35, 7, v35
; %bb.624:                              ;   in Loop: Header=BB348_16 Depth=1
	s_or_b32 exec_lo, exec_lo, s24
	v_lshlrev_b32_e32 v7, 8, v73
	v_lshl_add_u32 v36, v74, 10, 0x2000
	s_delay_alu instid0(VALU_DEP_1) | instskip(NEXT) | instid1(VALU_DEP_1)
	v_and_or_b32 v7, 0x8000, v7, v36
	v_lshl_or_b32 v7, v35, 7, v7
	s_delay_alu instid0(VALU_DEP_1)
	v_cvt_f32_f16_e32 v109, v7
.LBB348_625:                            ;   in Loop: Header=BB348_16 Depth=1
	s_or_b32 exec_lo, exec_lo, s23
.LBB348_626:                            ;   in Loop: Header=BB348_16 Depth=1
	s_delay_alu instid0(SALU_CYCLE_1)
	s_or_b32 exec_lo, exec_lo, s22
.LBB348_627:                            ;   in Loop: Header=BB348_16 Depth=1
	s_delay_alu instid0(SALU_CYCLE_1) | instskip(SKIP_4) | instid1(VALU_DEP_3)
	s_or_b32 exec_lo, exec_lo, s21
	v_dual_mov_b32 v122, 0 :: v_dual_and_b32 v35, 0xff, v34
	v_mov_b32_e32 v7, v34
	v_mov_b32_e32 v123, 0
	s_mov_b32 s21, exec_lo
	v_cmpx_ne_u16_e32 0, v35
	s_cbranch_execz .LBB348_635
; %bb.628:                              ;   in Loop: Header=BB348_16 Depth=1
	v_bfrev_b32_e32 v122, 1
	s_mov_b32 s22, exec_lo
	v_cmpx_ne_u16_e32 0x80, v35
	s_cbranch_execz .LBB348_634
; %bb.629:                              ;   in Loop: Header=BB348_16 Depth=1
	v_and_b32_e32 v35, 0x7f, v34
	v_mov_b32_e32 v122, 0x7fc02000
	s_mov_b32 s23, exec_lo
	s_delay_alu instid0(VALU_DEP_2)
	v_cmpx_ne_u32_e32 0x7f, v35
	s_cbranch_execz .LBB348_633
; %bb.630:                              ;   in Loop: Header=BB348_16 Depth=1
	v_lshrrev_b32_e32 v73, 3, v35
	v_cmp_gt_u32_e64 s1, 8, v35
	v_dual_mov_b32 v36, v8 :: v_dual_mov_b32 v35, v7
	s_delay_alu instid0(VALU_DEP_2)
	s_and_saveexec_b32 s24, s1
; %bb.631:                              ;   in Loop: Header=BB348_16 Depth=1
	v_and_b32_e32 v35, 7, v34
	s_delay_alu instid0(VALU_DEP_1) | instskip(NEXT) | instid1(VALU_DEP_1)
	v_clz_i32_u32_e32 v35, v35
	v_min_u32_e32 v73, 32, v35
	s_delay_alu instid0(VALU_DEP_1) | instskip(SKIP_1) | instid1(VALU_DEP_2)
	v_subrev_nc_u32_e32 v35, 28, v73
	v_sub_nc_u32_e32 v73, 29, v73
	v_lshlrev_b64 v[35:36], v35, v[7:8]
; %bb.632:                              ;   in Loop: Header=BB348_16 Depth=1
	s_or_b32 exec_lo, exec_lo, s24
	v_lshlrev_b32_e32 v36, 8, v34
	s_delay_alu instid0(VALU_DEP_3) | instskip(NEXT) | instid1(VALU_DEP_3)
	v_lshl_add_u32 v73, v73, 10, 0x2000
	v_lshlrev_b32_e32 v35, 7, v35
	s_delay_alu instid0(VALU_DEP_2) | instskip(NEXT) | instid1(VALU_DEP_1)
	v_and_or_b32 v36, 0x8000, v36, v73
	v_and_or_b32 v35, 0x380, v35, v36
	s_delay_alu instid0(VALU_DEP_1)
	v_cvt_f32_f16_e32 v122, v35
.LBB348_633:                            ;   in Loop: Header=BB348_16 Depth=1
	s_or_b32 exec_lo, exec_lo, s23
.LBB348_634:                            ;   in Loop: Header=BB348_16 Depth=1
	s_delay_alu instid0(SALU_CYCLE_1)
	s_or_b32 exec_lo, exec_lo, s22
.LBB348_635:                            ;   in Loop: Header=BB348_16 Depth=1
	s_delay_alu instid0(SALU_CYCLE_1) | instskip(SKIP_2) | instid1(VALU_DEP_1)
	s_or_b32 exec_lo, exec_lo, s21
	v_lshrrev_b16 v7, 8, v7
	s_mov_b32 s21, exec_lo
	v_cmpx_ne_u16_e32 0, v7
	s_cbranch_execz .LBB348_643
; %bb.636:                              ;   in Loop: Header=BB348_16 Depth=1
	v_bfrev_b32_e32 v123, 1
	s_mov_b32 s22, exec_lo
	v_cmpx_ne_u16_e32 0x80, v7
	s_cbranch_execz .LBB348_642
; %bb.637:                              ;   in Loop: Header=BB348_16 Depth=1
	v_and_b32_e32 v73, 0xffff, v7
	v_mov_b32_e32 v123, 0x7fc02000
	s_mov_b32 s23, exec_lo
	s_delay_alu instid0(VALU_DEP_2) | instskip(NEXT) | instid1(VALU_DEP_1)
	v_and_b32_e32 v35, 0x7f, v73
	v_cmpx_ne_u32_e32 0x7f, v35
	s_cbranch_execz .LBB348_641
; %bb.638:                              ;   in Loop: Header=BB348_16 Depth=1
	v_and_b32_e32 v7, 7, v73
	v_lshrrev_b32_e32 v74, 3, v35
	v_cmp_gt_u32_e64 s1, 8, v35
	s_delay_alu instid0(VALU_DEP_3) | instskip(NEXT) | instid1(VALU_DEP_2)
	v_dual_mov_b32 v36, v8 :: v_dual_mov_b32 v35, v7
	s_and_saveexec_b32 s24, s1
; %bb.639:                              ;   in Loop: Header=BB348_16 Depth=1
	v_clz_i32_u32_e32 v35, v7
	s_delay_alu instid0(VALU_DEP_1) | instskip(NEXT) | instid1(VALU_DEP_1)
	v_min_u32_e32 v74, 32, v35
	v_subrev_nc_u32_e32 v35, 28, v74
	v_sub_nc_u32_e32 v74, 29, v74
	s_delay_alu instid0(VALU_DEP_2) | instskip(NEXT) | instid1(VALU_DEP_1)
	v_lshlrev_b64 v[35:36], v35, v[7:8]
	v_and_b32_e32 v35, 7, v35
; %bb.640:                              ;   in Loop: Header=BB348_16 Depth=1
	s_or_b32 exec_lo, exec_lo, s24
	v_lshlrev_b32_e32 v7, 8, v73
	v_lshl_add_u32 v36, v74, 10, 0x2000
	s_delay_alu instid0(VALU_DEP_1) | instskip(NEXT) | instid1(VALU_DEP_1)
	v_and_or_b32 v7, 0x8000, v7, v36
	v_lshl_or_b32 v7, v35, 7, v7
	s_delay_alu instid0(VALU_DEP_1)
	v_cvt_f32_f16_e32 v123, v7
.LBB348_641:                            ;   in Loop: Header=BB348_16 Depth=1
	s_or_b32 exec_lo, exec_lo, s23
.LBB348_642:                            ;   in Loop: Header=BB348_16 Depth=1
	s_delay_alu instid0(SALU_CYCLE_1)
	s_or_b32 exec_lo, exec_lo, s22
.LBB348_643:                            ;   in Loop: Header=BB348_16 Depth=1
	s_delay_alu instid0(SALU_CYCLE_1) | instskip(SKIP_3) | instid1(VALU_DEP_2)
	s_or_b32 exec_lo, exec_lo, s21
	v_lshrrev_b32_e32 v73, 16, v34
	v_mov_b32_e32 v137, 0
	s_mov_b32 s21, exec_lo
	v_dual_mov_b32 v136, 0 :: v_dual_and_b32 v7, 0xff, v73
	s_delay_alu instid0(VALU_DEP_1)
	v_cmpx_ne_u16_e32 0, v7
	s_cbranch_execz .LBB348_651
; %bb.644:                              ;   in Loop: Header=BB348_16 Depth=1
	v_bfrev_b32_e32 v137, 1
	s_mov_b32 s22, exec_lo
	v_cmpx_ne_u16_e32 0x80, v7
	s_cbranch_execz .LBB348_650
; %bb.645:                              ;   in Loop: Header=BB348_16 Depth=1
	v_bfe_u32 v35, v34, 16, 7
	v_mov_b32_e32 v137, 0x7fc02000
	s_mov_b32 s23, exec_lo
	s_delay_alu instid0(VALU_DEP_2)
	v_cmpx_ne_u32_e32 0x7f, v35
	s_cbranch_execz .LBB348_649
; %bb.646:                              ;   in Loop: Header=BB348_16 Depth=1
	v_and_b32_e32 v7, 7, v73
	v_lshrrev_b32_e32 v74, 3, v35
	v_cmp_gt_u32_e64 s1, 8, v35
	s_delay_alu instid0(VALU_DEP_3) | instskip(NEXT) | instid1(VALU_DEP_2)
	v_dual_mov_b32 v36, v8 :: v_dual_mov_b32 v35, v7
	s_and_saveexec_b32 s24, s1
; %bb.647:                              ;   in Loop: Header=BB348_16 Depth=1
	v_clz_i32_u32_e32 v35, v7
	s_delay_alu instid0(VALU_DEP_1) | instskip(NEXT) | instid1(VALU_DEP_1)
	v_min_u32_e32 v74, 32, v35
	v_subrev_nc_u32_e32 v35, 28, v74
	v_sub_nc_u32_e32 v74, 29, v74
	s_delay_alu instid0(VALU_DEP_2) | instskip(NEXT) | instid1(VALU_DEP_1)
	v_lshlrev_b64 v[35:36], v35, v[7:8]
	v_and_b32_e32 v35, 7, v35
; %bb.648:                              ;   in Loop: Header=BB348_16 Depth=1
	s_or_b32 exec_lo, exec_lo, s24
	v_lshlrev_b32_e32 v7, 8, v73
	v_lshl_add_u32 v36, v74, 10, 0x2000
	s_delay_alu instid0(VALU_DEP_1) | instskip(NEXT) | instid1(VALU_DEP_1)
	v_and_or_b32 v7, 0x8000, v7, v36
	v_lshl_or_b32 v7, v35, 7, v7
	s_delay_alu instid0(VALU_DEP_1)
	v_cvt_f32_f16_e64 v137, v7
.LBB348_649:                            ;   in Loop: Header=BB348_16 Depth=1
	s_or_b32 exec_lo, exec_lo, s23
.LBB348_650:                            ;   in Loop: Header=BB348_16 Depth=1
	s_delay_alu instid0(SALU_CYCLE_1)
	s_or_b32 exec_lo, exec_lo, s22
.LBB348_651:                            ;   in Loop: Header=BB348_16 Depth=1
	s_delay_alu instid0(SALU_CYCLE_1) | instskip(NEXT) | instid1(SALU_CYCLE_1)
	s_or_b32 exec_lo, exec_lo, s21
	s_mov_b32 s21, exec_lo
	v_cmpx_lt_u64_e64 s[8:9], v[33:34]
	s_cbranch_execz .LBB348_659
; %bb.652:                              ;   in Loop: Header=BB348_16 Depth=1
	v_lshrrev_b32_e32 v35, 24, v34
	v_bfrev_b32_e32 v136, 1
	s_mov_b32 s22, exec_lo
	s_delay_alu instid0(VALU_DEP_2)
	v_cmpx_ne_u32_e32 0x80, v35
	s_cbranch_execz .LBB348_658
; %bb.653:                              ;   in Loop: Header=BB348_16 Depth=1
	v_and_b32_e32 v33, 0x7f, v35
	v_mov_b32_e32 v136, 0x7fc02000
	s_mov_b32 s23, exec_lo
	s_delay_alu instid0(VALU_DEP_2)
	v_cmpx_ne_u32_e32 0x7f, v33
	s_cbranch_execz .LBB348_657
; %bb.654:                              ;   in Loop: Header=BB348_16 Depth=1
	v_and_b32_e32 v7, 7, v35
	v_lshrrev_b32_e32 v36, 3, v33
	v_cmp_gt_u32_e64 s1, 8, v33
	s_delay_alu instid0(VALU_DEP_3) | instskip(NEXT) | instid1(VALU_DEP_2)
	v_dual_mov_b32 v34, v8 :: v_dual_mov_b32 v33, v7
	s_and_saveexec_b32 s24, s1
; %bb.655:                              ;   in Loop: Header=BB348_16 Depth=1
	v_clz_i32_u32_e32 v33, v7
	s_delay_alu instid0(VALU_DEP_1) | instskip(NEXT) | instid1(VALU_DEP_1)
	v_min_u32_e32 v36, 32, v33
	v_subrev_nc_u32_e32 v33, 28, v36
	v_sub_nc_u32_e32 v36, 29, v36
	s_delay_alu instid0(VALU_DEP_2) | instskip(NEXT) | instid1(VALU_DEP_1)
	v_lshlrev_b64 v[33:34], v33, v[7:8]
	v_and_b32_e32 v33, 7, v33
; %bb.656:                              ;   in Loop: Header=BB348_16 Depth=1
	s_or_b32 exec_lo, exec_lo, s24
	v_lshlrev_b32_e32 v7, 8, v35
	v_lshl_add_u32 v34, v36, 10, 0x2000
	s_delay_alu instid0(VALU_DEP_1) | instskip(NEXT) | instid1(VALU_DEP_1)
	v_and_or_b32 v7, 0x8000, v7, v34
	v_lshl_or_b32 v7, v33, 7, v7
	s_delay_alu instid0(VALU_DEP_1)
	v_cvt_f32_f16_e64 v136, v7
.LBB348_657:                            ;   in Loop: Header=BB348_16 Depth=1
	s_or_b32 exec_lo, exec_lo, s23
.LBB348_658:                            ;   in Loop: Header=BB348_16 Depth=1
	s_delay_alu instid0(SALU_CYCLE_1)
	s_or_b32 exec_lo, exec_lo, s22
.LBB348_659:                            ;   in Loop: Header=BB348_16 Depth=1
	s_delay_alu instid0(SALU_CYCLE_1)
	s_or_b32 exec_lo, exec_lo, s21
	flat_load_b64 v[33:34], v[31:32] offset:2560
	v_mov_b32_e32 v111, 0
	s_mov_b32 s21, exec_lo
	s_waitcnt vmcnt(0) lgkmcnt(0)
	v_dual_mov_b32 v110, 0 :: v_dual_and_b32 v7, 0xff, v33
	s_delay_alu instid0(VALU_DEP_1)
	v_cmpx_ne_u16_e32 0, v7
	s_cbranch_execz .LBB348_667
; %bb.660:                              ;   in Loop: Header=BB348_16 Depth=1
	v_bfrev_b32_e32 v110, 1
	s_mov_b32 s22, exec_lo
	v_cmpx_ne_u16_e32 0x80, v7
	s_cbranch_execz .LBB348_666
; %bb.661:                              ;   in Loop: Header=BB348_16 Depth=1
	v_and_b32_e32 v35, 0x7f, v33
	v_mov_b32_e32 v110, 0x7fc02000
	s_mov_b32 s23, exec_lo
	s_delay_alu instid0(VALU_DEP_2)
	v_cmpx_ne_u32_e32 0x7f, v35
	s_cbranch_execz .LBB348_665
; %bb.662:                              ;   in Loop: Header=BB348_16 Depth=1
	v_lshrrev_b32_e32 v7, 3, v35
	v_cmp_gt_u32_e64 s1, 8, v35
	v_dual_mov_b32 v36, v34 :: v_dual_mov_b32 v35, v33
	s_delay_alu instid0(VALU_DEP_2)
	s_and_saveexec_b32 s24, s1
; %bb.663:                              ;   in Loop: Header=BB348_16 Depth=1
	v_and_b32_e32 v7, 7, v33
	s_delay_alu instid0(VALU_DEP_1) | instskip(NEXT) | instid1(VALU_DEP_1)
	v_clz_i32_u32_e32 v7, v7
	v_min_u32_e32 v7, 32, v7
	s_delay_alu instid0(VALU_DEP_1) | instskip(SKIP_1) | instid1(VALU_DEP_2)
	v_subrev_nc_u32_e32 v35, 28, v7
	v_sub_nc_u32_e32 v7, 29, v7
	v_lshlrev_b64 v[35:36], v35, v[33:34]
; %bb.664:                              ;   in Loop: Header=BB348_16 Depth=1
	s_or_b32 exec_lo, exec_lo, s24
	v_lshlrev_b32_e32 v36, 8, v33
	s_delay_alu instid0(VALU_DEP_3) | instskip(NEXT) | instid1(VALU_DEP_3)
	v_lshl_add_u32 v7, v7, 10, 0x2000
	v_lshlrev_b32_e32 v35, 7, v35
	s_delay_alu instid0(VALU_DEP_2) | instskip(NEXT) | instid1(VALU_DEP_1)
	v_and_or_b32 v7, 0x8000, v36, v7
	v_and_or_b32 v7, 0x380, v35, v7
	s_delay_alu instid0(VALU_DEP_1)
	v_cvt_f32_f16_e32 v110, v7
.LBB348_665:                            ;   in Loop: Header=BB348_16 Depth=1
	s_or_b32 exec_lo, exec_lo, s23
.LBB348_666:                            ;   in Loop: Header=BB348_16 Depth=1
	s_delay_alu instid0(SALU_CYCLE_1)
	s_or_b32 exec_lo, exec_lo, s22
.LBB348_667:                            ;   in Loop: Header=BB348_16 Depth=1
	s_delay_alu instid0(SALU_CYCLE_1) | instskip(SKIP_2) | instid1(VALU_DEP_1)
	s_or_b32 exec_lo, exec_lo, s21
	v_lshrrev_b16 v7, 8, v33
	s_mov_b32 s21, exec_lo
	v_cmpx_ne_u16_e32 0, v7
	s_cbranch_execz .LBB348_675
; %bb.668:                              ;   in Loop: Header=BB348_16 Depth=1
	v_bfrev_b32_e32 v111, 1
	s_mov_b32 s22, exec_lo
	v_cmpx_ne_u16_e32 0x80, v7
	s_cbranch_execz .LBB348_674
; %bb.669:                              ;   in Loop: Header=BB348_16 Depth=1
	v_and_b32_e32 v73, 0xffff, v7
	v_mov_b32_e32 v111, 0x7fc02000
	s_mov_b32 s23, exec_lo
	s_delay_alu instid0(VALU_DEP_2) | instskip(NEXT) | instid1(VALU_DEP_1)
	v_and_b32_e32 v35, 0x7f, v73
	v_cmpx_ne_u32_e32 0x7f, v35
	s_cbranch_execz .LBB348_673
; %bb.670:                              ;   in Loop: Header=BB348_16 Depth=1
	v_and_b32_e32 v7, 7, v73
	v_lshrrev_b32_e32 v74, 3, v35
	v_cmp_gt_u32_e64 s1, 8, v35
	s_delay_alu instid0(VALU_DEP_3) | instskip(NEXT) | instid1(VALU_DEP_2)
	v_dual_mov_b32 v36, v8 :: v_dual_mov_b32 v35, v7
	s_and_saveexec_b32 s24, s1
; %bb.671:                              ;   in Loop: Header=BB348_16 Depth=1
	v_clz_i32_u32_e32 v35, v7
	s_delay_alu instid0(VALU_DEP_1) | instskip(NEXT) | instid1(VALU_DEP_1)
	v_min_u32_e32 v74, 32, v35
	v_subrev_nc_u32_e32 v35, 28, v74
	v_sub_nc_u32_e32 v74, 29, v74
	s_delay_alu instid0(VALU_DEP_2) | instskip(NEXT) | instid1(VALU_DEP_1)
	v_lshlrev_b64 v[35:36], v35, v[7:8]
	v_and_b32_e32 v35, 7, v35
; %bb.672:                              ;   in Loop: Header=BB348_16 Depth=1
	s_or_b32 exec_lo, exec_lo, s24
	v_lshlrev_b32_e32 v7, 8, v73
	v_lshl_add_u32 v36, v74, 10, 0x2000
	s_delay_alu instid0(VALU_DEP_1) | instskip(NEXT) | instid1(VALU_DEP_1)
	v_and_or_b32 v7, 0x8000, v7, v36
	v_lshl_or_b32 v7, v35, 7, v7
	s_delay_alu instid0(VALU_DEP_1)
	v_cvt_f32_f16_e32 v111, v7
.LBB348_673:                            ;   in Loop: Header=BB348_16 Depth=1
	s_or_b32 exec_lo, exec_lo, s23
.LBB348_674:                            ;   in Loop: Header=BB348_16 Depth=1
	s_delay_alu instid0(SALU_CYCLE_1)
	s_or_b32 exec_lo, exec_lo, s22
.LBB348_675:                            ;   in Loop: Header=BB348_16 Depth=1
	s_delay_alu instid0(SALU_CYCLE_1) | instskip(SKIP_3) | instid1(VALU_DEP_2)
	s_or_b32 exec_lo, exec_lo, s21
	v_lshrrev_b32_e32 v73, 16, v33
	v_mov_b32_e32 v121, 0
	s_mov_b32 s21, exec_lo
	v_dual_mov_b32 v120, 0 :: v_dual_and_b32 v7, 0xff, v73
	s_delay_alu instid0(VALU_DEP_1)
	v_cmpx_ne_u16_e32 0, v7
	s_cbranch_execz .LBB348_683
; %bb.676:                              ;   in Loop: Header=BB348_16 Depth=1
	v_bfrev_b32_e32 v120, 1
	s_mov_b32 s22, exec_lo
	v_cmpx_ne_u16_e32 0x80, v7
	s_cbranch_execz .LBB348_682
; %bb.677:                              ;   in Loop: Header=BB348_16 Depth=1
	v_bfe_u32 v35, v33, 16, 7
	v_mov_b32_e32 v120, 0x7fc02000
	s_mov_b32 s23, exec_lo
	s_delay_alu instid0(VALU_DEP_2)
	v_cmpx_ne_u32_e32 0x7f, v35
	s_cbranch_execz .LBB348_681
; %bb.678:                              ;   in Loop: Header=BB348_16 Depth=1
	v_and_b32_e32 v7, 7, v73
	v_lshrrev_b32_e32 v74, 3, v35
	v_cmp_gt_u32_e64 s1, 8, v35
	s_delay_alu instid0(VALU_DEP_3) | instskip(NEXT) | instid1(VALU_DEP_2)
	v_dual_mov_b32 v36, v8 :: v_dual_mov_b32 v35, v7
	s_and_saveexec_b32 s24, s1
; %bb.679:                              ;   in Loop: Header=BB348_16 Depth=1
	v_clz_i32_u32_e32 v35, v7
	s_delay_alu instid0(VALU_DEP_1) | instskip(NEXT) | instid1(VALU_DEP_1)
	v_min_u32_e32 v74, 32, v35
	v_subrev_nc_u32_e32 v35, 28, v74
	v_sub_nc_u32_e32 v74, 29, v74
	s_delay_alu instid0(VALU_DEP_2) | instskip(NEXT) | instid1(VALU_DEP_1)
	v_lshlrev_b64 v[35:36], v35, v[7:8]
	v_and_b32_e32 v35, 7, v35
; %bb.680:                              ;   in Loop: Header=BB348_16 Depth=1
	s_or_b32 exec_lo, exec_lo, s24
	v_lshlrev_b32_e32 v7, 8, v73
	v_lshl_add_u32 v36, v74, 10, 0x2000
	s_delay_alu instid0(VALU_DEP_1) | instskip(NEXT) | instid1(VALU_DEP_1)
	v_and_or_b32 v7, 0x8000, v7, v36
	v_lshl_or_b32 v7, v35, 7, v7
	s_delay_alu instid0(VALU_DEP_1)
	v_cvt_f32_f16_e32 v120, v7
.LBB348_681:                            ;   in Loop: Header=BB348_16 Depth=1
	s_or_b32 exec_lo, exec_lo, s23
.LBB348_682:                            ;   in Loop: Header=BB348_16 Depth=1
	s_delay_alu instid0(SALU_CYCLE_1)
	s_or_b32 exec_lo, exec_lo, s22
.LBB348_683:                            ;   in Loop: Header=BB348_16 Depth=1
	s_delay_alu instid0(SALU_CYCLE_1) | instskip(NEXT) | instid1(SALU_CYCLE_1)
	s_or_b32 exec_lo, exec_lo, s21
	s_mov_b32 s21, exec_lo
	v_cmpx_lt_u32_e32 0xffffff, v33
	s_cbranch_execz .LBB348_691
; %bb.684:                              ;   in Loop: Header=BB348_16 Depth=1
	v_lshrrev_b32_e32 v73, 24, v33
	v_bfrev_b32_e32 v121, 1
	s_mov_b32 s22, exec_lo
	s_delay_alu instid0(VALU_DEP_2)
	v_cmpx_ne_u32_e32 0x80, v73
	s_cbranch_execz .LBB348_690
; %bb.685:                              ;   in Loop: Header=BB348_16 Depth=1
	v_and_b32_e32 v35, 0x7f, v73
	v_mov_b32_e32 v121, 0x7fc02000
	s_mov_b32 s23, exec_lo
	s_delay_alu instid0(VALU_DEP_2)
	v_cmpx_ne_u32_e32 0x7f, v35
	s_cbranch_execz .LBB348_689
; %bb.686:                              ;   in Loop: Header=BB348_16 Depth=1
	v_and_b32_e32 v7, 7, v73
	v_lshrrev_b32_e32 v74, 3, v35
	v_cmp_gt_u32_e64 s1, 8, v35
	s_delay_alu instid0(VALU_DEP_3) | instskip(NEXT) | instid1(VALU_DEP_2)
	v_dual_mov_b32 v36, v8 :: v_dual_mov_b32 v35, v7
	s_and_saveexec_b32 s24, s1
; %bb.687:                              ;   in Loop: Header=BB348_16 Depth=1
	v_clz_i32_u32_e32 v35, v7
	s_delay_alu instid0(VALU_DEP_1) | instskip(NEXT) | instid1(VALU_DEP_1)
	v_min_u32_e32 v74, 32, v35
	v_subrev_nc_u32_e32 v35, 28, v74
	v_sub_nc_u32_e32 v74, 29, v74
	s_delay_alu instid0(VALU_DEP_2) | instskip(NEXT) | instid1(VALU_DEP_1)
	v_lshlrev_b64 v[35:36], v35, v[7:8]
	v_and_b32_e32 v35, 7, v35
; %bb.688:                              ;   in Loop: Header=BB348_16 Depth=1
	s_or_b32 exec_lo, exec_lo, s24
	v_lshlrev_b32_e32 v7, 8, v73
	v_lshl_add_u32 v36, v74, 10, 0x2000
	s_delay_alu instid0(VALU_DEP_1) | instskip(NEXT) | instid1(VALU_DEP_1)
	v_and_or_b32 v7, 0x8000, v7, v36
	v_lshl_or_b32 v7, v35, 7, v7
	s_delay_alu instid0(VALU_DEP_1)
	v_cvt_f32_f16_e32 v121, v7
.LBB348_689:                            ;   in Loop: Header=BB348_16 Depth=1
	s_or_b32 exec_lo, exec_lo, s23
.LBB348_690:                            ;   in Loop: Header=BB348_16 Depth=1
	s_delay_alu instid0(SALU_CYCLE_1)
	s_or_b32 exec_lo, exec_lo, s22
.LBB348_691:                            ;   in Loop: Header=BB348_16 Depth=1
	s_delay_alu instid0(SALU_CYCLE_1) | instskip(SKIP_4) | instid1(VALU_DEP_3)
	s_or_b32 exec_lo, exec_lo, s21
	v_dual_mov_b32 v138, 0 :: v_dual_and_b32 v35, 0xff, v34
	v_mov_b32_e32 v7, v34
	v_mov_b32_e32 v139, 0
	s_mov_b32 s21, exec_lo
	v_cmpx_ne_u16_e32 0, v35
	s_cbranch_execz .LBB348_699
; %bb.692:                              ;   in Loop: Header=BB348_16 Depth=1
	v_bfrev_b32_e32 v138, 1
	s_mov_b32 s22, exec_lo
	v_cmpx_ne_u16_e32 0x80, v35
	s_cbranch_execz .LBB348_698
; %bb.693:                              ;   in Loop: Header=BB348_16 Depth=1
	v_and_b32_e32 v35, 0x7f, v34
	v_mov_b32_e32 v138, 0x7fc02000
	s_mov_b32 s23, exec_lo
	s_delay_alu instid0(VALU_DEP_2)
	v_cmpx_ne_u32_e32 0x7f, v35
	s_cbranch_execz .LBB348_697
; %bb.694:                              ;   in Loop: Header=BB348_16 Depth=1
	v_lshrrev_b32_e32 v73, 3, v35
	v_cmp_gt_u32_e64 s1, 8, v35
	v_dual_mov_b32 v36, v8 :: v_dual_mov_b32 v35, v7
	s_delay_alu instid0(VALU_DEP_2)
	s_and_saveexec_b32 s24, s1
; %bb.695:                              ;   in Loop: Header=BB348_16 Depth=1
	v_and_b32_e32 v35, 7, v34
	s_delay_alu instid0(VALU_DEP_1) | instskip(NEXT) | instid1(VALU_DEP_1)
	v_clz_i32_u32_e32 v35, v35
	v_min_u32_e32 v73, 32, v35
	s_delay_alu instid0(VALU_DEP_1) | instskip(SKIP_1) | instid1(VALU_DEP_2)
	v_subrev_nc_u32_e32 v35, 28, v73
	v_sub_nc_u32_e32 v73, 29, v73
	v_lshlrev_b64 v[35:36], v35, v[7:8]
; %bb.696:                              ;   in Loop: Header=BB348_16 Depth=1
	s_or_b32 exec_lo, exec_lo, s24
	v_lshlrev_b32_e32 v36, 8, v34
	s_delay_alu instid0(VALU_DEP_3) | instskip(NEXT) | instid1(VALU_DEP_3)
	v_lshl_add_u32 v73, v73, 10, 0x2000
	v_lshlrev_b32_e32 v35, 7, v35
	s_delay_alu instid0(VALU_DEP_2) | instskip(NEXT) | instid1(VALU_DEP_1)
	v_and_or_b32 v36, 0x8000, v36, v73
	v_and_or_b32 v35, 0x380, v35, v36
	s_delay_alu instid0(VALU_DEP_1)
	v_cvt_f32_f16_e64 v138, v35
.LBB348_697:                            ;   in Loop: Header=BB348_16 Depth=1
	s_or_b32 exec_lo, exec_lo, s23
.LBB348_698:                            ;   in Loop: Header=BB348_16 Depth=1
	s_delay_alu instid0(SALU_CYCLE_1)
	s_or_b32 exec_lo, exec_lo, s22
.LBB348_699:                            ;   in Loop: Header=BB348_16 Depth=1
	s_delay_alu instid0(SALU_CYCLE_1) | instskip(SKIP_2) | instid1(VALU_DEP_1)
	s_or_b32 exec_lo, exec_lo, s21
	v_lshrrev_b16 v7, 8, v7
	s_mov_b32 s21, exec_lo
	v_cmpx_ne_u16_e32 0, v7
	s_cbranch_execz .LBB348_707
; %bb.700:                              ;   in Loop: Header=BB348_16 Depth=1
	v_bfrev_b32_e32 v139, 1
	s_mov_b32 s22, exec_lo
	v_cmpx_ne_u16_e32 0x80, v7
	s_cbranch_execz .LBB348_706
; %bb.701:                              ;   in Loop: Header=BB348_16 Depth=1
	v_and_b32_e32 v73, 0xffff, v7
	v_mov_b32_e32 v139, 0x7fc02000
	s_mov_b32 s23, exec_lo
	s_delay_alu instid0(VALU_DEP_2) | instskip(NEXT) | instid1(VALU_DEP_1)
	v_and_b32_e32 v35, 0x7f, v73
	v_cmpx_ne_u32_e32 0x7f, v35
	s_cbranch_execz .LBB348_705
; %bb.702:                              ;   in Loop: Header=BB348_16 Depth=1
	v_and_b32_e32 v7, 7, v73
	v_lshrrev_b32_e32 v74, 3, v35
	v_cmp_gt_u32_e64 s1, 8, v35
	s_delay_alu instid0(VALU_DEP_3) | instskip(NEXT) | instid1(VALU_DEP_2)
	v_dual_mov_b32 v36, v8 :: v_dual_mov_b32 v35, v7
	s_and_saveexec_b32 s24, s1
; %bb.703:                              ;   in Loop: Header=BB348_16 Depth=1
	v_clz_i32_u32_e32 v35, v7
	s_delay_alu instid0(VALU_DEP_1) | instskip(NEXT) | instid1(VALU_DEP_1)
	v_min_u32_e32 v74, 32, v35
	v_subrev_nc_u32_e32 v35, 28, v74
	v_sub_nc_u32_e32 v74, 29, v74
	s_delay_alu instid0(VALU_DEP_2) | instskip(NEXT) | instid1(VALU_DEP_1)
	v_lshlrev_b64 v[35:36], v35, v[7:8]
	v_and_b32_e32 v35, 7, v35
; %bb.704:                              ;   in Loop: Header=BB348_16 Depth=1
	s_or_b32 exec_lo, exec_lo, s24
	v_lshlrev_b32_e32 v7, 8, v73
	v_lshl_add_u32 v36, v74, 10, 0x2000
	s_delay_alu instid0(VALU_DEP_1) | instskip(NEXT) | instid1(VALU_DEP_1)
	v_and_or_b32 v7, 0x8000, v7, v36
	v_lshl_or_b32 v7, v35, 7, v7
	s_delay_alu instid0(VALU_DEP_1)
	v_cvt_f32_f16_e64 v139, v7
.LBB348_705:                            ;   in Loop: Header=BB348_16 Depth=1
	s_or_b32 exec_lo, exec_lo, s23
.LBB348_706:                            ;   in Loop: Header=BB348_16 Depth=1
	s_delay_alu instid0(SALU_CYCLE_1)
	s_or_b32 exec_lo, exec_lo, s22
.LBB348_707:                            ;   in Loop: Header=BB348_16 Depth=1
	s_delay_alu instid0(SALU_CYCLE_1) | instskip(SKIP_3) | instid1(VALU_DEP_2)
	s_or_b32 exec_lo, exec_lo, s21
	v_lshrrev_b32_e32 v73, 16, v34
	v_mov_b32_e32 v141, 0
	s_mov_b32 s21, exec_lo
	v_dual_mov_b32 v140, 0 :: v_dual_and_b32 v7, 0xff, v73
	s_delay_alu instid0(VALU_DEP_1)
	v_cmpx_ne_u16_e32 0, v7
	s_cbranch_execz .LBB348_715
; %bb.708:                              ;   in Loop: Header=BB348_16 Depth=1
	v_bfrev_b32_e32 v141, 1
	s_mov_b32 s22, exec_lo
	v_cmpx_ne_u16_e32 0x80, v7
	s_cbranch_execz .LBB348_714
; %bb.709:                              ;   in Loop: Header=BB348_16 Depth=1
	v_bfe_u32 v35, v34, 16, 7
	v_mov_b32_e32 v141, 0x7fc02000
	s_mov_b32 s23, exec_lo
	s_delay_alu instid0(VALU_DEP_2)
	v_cmpx_ne_u32_e32 0x7f, v35
	s_cbranch_execz .LBB348_713
; %bb.710:                              ;   in Loop: Header=BB348_16 Depth=1
	v_and_b32_e32 v7, 7, v73
	v_lshrrev_b32_e32 v74, 3, v35
	v_cmp_gt_u32_e64 s1, 8, v35
	s_delay_alu instid0(VALU_DEP_3) | instskip(NEXT) | instid1(VALU_DEP_2)
	v_dual_mov_b32 v36, v8 :: v_dual_mov_b32 v35, v7
	s_and_saveexec_b32 s24, s1
; %bb.711:                              ;   in Loop: Header=BB348_16 Depth=1
	v_clz_i32_u32_e32 v35, v7
	s_delay_alu instid0(VALU_DEP_1) | instskip(NEXT) | instid1(VALU_DEP_1)
	v_min_u32_e32 v74, 32, v35
	v_subrev_nc_u32_e32 v35, 28, v74
	v_sub_nc_u32_e32 v74, 29, v74
	s_delay_alu instid0(VALU_DEP_2) | instskip(NEXT) | instid1(VALU_DEP_1)
	v_lshlrev_b64 v[35:36], v35, v[7:8]
	v_and_b32_e32 v35, 7, v35
; %bb.712:                              ;   in Loop: Header=BB348_16 Depth=1
	s_or_b32 exec_lo, exec_lo, s24
	v_lshlrev_b32_e32 v7, 8, v73
	v_lshl_add_u32 v36, v74, 10, 0x2000
	s_delay_alu instid0(VALU_DEP_1) | instskip(NEXT) | instid1(VALU_DEP_1)
	v_and_or_b32 v7, 0x8000, v7, v36
	v_lshl_or_b32 v7, v35, 7, v7
	s_delay_alu instid0(VALU_DEP_1)
	v_cvt_f32_f16_e64 v141, v7
.LBB348_713:                            ;   in Loop: Header=BB348_16 Depth=1
	s_or_b32 exec_lo, exec_lo, s23
.LBB348_714:                            ;   in Loop: Header=BB348_16 Depth=1
	s_delay_alu instid0(SALU_CYCLE_1)
	s_or_b32 exec_lo, exec_lo, s22
.LBB348_715:                            ;   in Loop: Header=BB348_16 Depth=1
	s_delay_alu instid0(SALU_CYCLE_1) | instskip(NEXT) | instid1(SALU_CYCLE_1)
	s_or_b32 exec_lo, exec_lo, s21
	s_mov_b32 s21, exec_lo
	v_cmpx_lt_u64_e64 s[8:9], v[33:34]
	s_cbranch_execz .LBB348_723
; %bb.716:                              ;   in Loop: Header=BB348_16 Depth=1
	v_lshrrev_b32_e32 v35, 24, v34
	v_bfrev_b32_e32 v140, 1
	s_mov_b32 s22, exec_lo
	s_delay_alu instid0(VALU_DEP_2)
	v_cmpx_ne_u32_e32 0x80, v35
	s_cbranch_execz .LBB348_722
; %bb.717:                              ;   in Loop: Header=BB348_16 Depth=1
	v_and_b32_e32 v33, 0x7f, v35
	v_mov_b32_e32 v140, 0x7fc02000
	s_mov_b32 s23, exec_lo
	s_delay_alu instid0(VALU_DEP_2)
	v_cmpx_ne_u32_e32 0x7f, v33
	s_cbranch_execz .LBB348_721
; %bb.718:                              ;   in Loop: Header=BB348_16 Depth=1
	v_and_b32_e32 v7, 7, v35
	v_lshrrev_b32_e32 v36, 3, v33
	v_cmp_gt_u32_e64 s1, 8, v33
	s_delay_alu instid0(VALU_DEP_3) | instskip(NEXT) | instid1(VALU_DEP_2)
	v_dual_mov_b32 v34, v8 :: v_dual_mov_b32 v33, v7
	s_and_saveexec_b32 s24, s1
; %bb.719:                              ;   in Loop: Header=BB348_16 Depth=1
	v_clz_i32_u32_e32 v33, v7
	s_delay_alu instid0(VALU_DEP_1) | instskip(NEXT) | instid1(VALU_DEP_1)
	v_min_u32_e32 v36, 32, v33
	v_subrev_nc_u32_e32 v33, 28, v36
	v_sub_nc_u32_e32 v36, 29, v36
	s_delay_alu instid0(VALU_DEP_2) | instskip(NEXT) | instid1(VALU_DEP_1)
	v_lshlrev_b64 v[33:34], v33, v[7:8]
	v_and_b32_e32 v33, 7, v33
; %bb.720:                              ;   in Loop: Header=BB348_16 Depth=1
	s_or_b32 exec_lo, exec_lo, s24
	v_lshlrev_b32_e32 v7, 8, v35
	v_lshl_add_u32 v34, v36, 10, 0x2000
	s_delay_alu instid0(VALU_DEP_1) | instskip(NEXT) | instid1(VALU_DEP_1)
	v_and_or_b32 v7, 0x8000, v7, v34
	v_lshl_or_b32 v7, v33, 7, v7
	s_delay_alu instid0(VALU_DEP_1)
	v_cvt_f32_f16_e64 v140, v7
.LBB348_721:                            ;   in Loop: Header=BB348_16 Depth=1
	s_or_b32 exec_lo, exec_lo, s23
.LBB348_722:                            ;   in Loop: Header=BB348_16 Depth=1
	s_delay_alu instid0(SALU_CYCLE_1)
	s_or_b32 exec_lo, exec_lo, s22
.LBB348_723:                            ;   in Loop: Header=BB348_16 Depth=1
	s_delay_alu instid0(SALU_CYCLE_1)
	s_or_b32 exec_lo, exec_lo, s21
	flat_load_b64 v[33:34], v[31:32] offset:2568
	v_mov_b32_e32 v91, 0
	s_mov_b32 s21, exec_lo
	s_waitcnt vmcnt(0) lgkmcnt(0)
	v_dual_mov_b32 v90, 0 :: v_dual_and_b32 v7, 0xff, v33
	s_delay_alu instid0(VALU_DEP_1)
	v_cmpx_ne_u16_e32 0, v7
	s_cbranch_execz .LBB348_731
; %bb.724:                              ;   in Loop: Header=BB348_16 Depth=1
	v_bfrev_b32_e32 v90, 1
	s_mov_b32 s22, exec_lo
	v_cmpx_ne_u16_e32 0x80, v7
	s_cbranch_execz .LBB348_730
; %bb.725:                              ;   in Loop: Header=BB348_16 Depth=1
	v_and_b32_e32 v35, 0x7f, v33
	v_mov_b32_e32 v90, 0x7fc02000
	s_mov_b32 s23, exec_lo
	s_delay_alu instid0(VALU_DEP_2)
	v_cmpx_ne_u32_e32 0x7f, v35
	s_cbranch_execz .LBB348_729
; %bb.726:                              ;   in Loop: Header=BB348_16 Depth=1
	v_lshrrev_b32_e32 v7, 3, v35
	v_cmp_gt_u32_e64 s1, 8, v35
	v_dual_mov_b32 v36, v34 :: v_dual_mov_b32 v35, v33
	s_delay_alu instid0(VALU_DEP_2)
	s_and_saveexec_b32 s24, s1
; %bb.727:                              ;   in Loop: Header=BB348_16 Depth=1
	v_and_b32_e32 v7, 7, v33
	s_delay_alu instid0(VALU_DEP_1) | instskip(NEXT) | instid1(VALU_DEP_1)
	v_clz_i32_u32_e32 v7, v7
	v_min_u32_e32 v7, 32, v7
	s_delay_alu instid0(VALU_DEP_1) | instskip(SKIP_1) | instid1(VALU_DEP_2)
	v_subrev_nc_u32_e32 v35, 28, v7
	v_sub_nc_u32_e32 v7, 29, v7
	v_lshlrev_b64 v[35:36], v35, v[33:34]
; %bb.728:                              ;   in Loop: Header=BB348_16 Depth=1
	s_or_b32 exec_lo, exec_lo, s24
	v_lshlrev_b32_e32 v36, 8, v33
	s_delay_alu instid0(VALU_DEP_3) | instskip(NEXT) | instid1(VALU_DEP_3)
	v_lshl_add_u32 v7, v7, 10, 0x2000
	v_lshlrev_b32_e32 v35, 7, v35
	s_delay_alu instid0(VALU_DEP_2) | instskip(NEXT) | instid1(VALU_DEP_1)
	v_and_or_b32 v7, 0x8000, v36, v7
	v_and_or_b32 v7, 0x380, v35, v7
	s_delay_alu instid0(VALU_DEP_1)
	v_cvt_f32_f16_e32 v90, v7
.LBB348_729:                            ;   in Loop: Header=BB348_16 Depth=1
	s_or_b32 exec_lo, exec_lo, s23
.LBB348_730:                            ;   in Loop: Header=BB348_16 Depth=1
	s_delay_alu instid0(SALU_CYCLE_1)
	s_or_b32 exec_lo, exec_lo, s22
.LBB348_731:                            ;   in Loop: Header=BB348_16 Depth=1
	s_delay_alu instid0(SALU_CYCLE_1) | instskip(SKIP_2) | instid1(VALU_DEP_1)
	s_or_b32 exec_lo, exec_lo, s21
	v_lshrrev_b16 v7, 8, v33
	s_mov_b32 s21, exec_lo
	v_cmpx_ne_u16_e32 0, v7
	s_cbranch_execz .LBB348_739
; %bb.732:                              ;   in Loop: Header=BB348_16 Depth=1
	v_bfrev_b32_e32 v91, 1
	s_mov_b32 s22, exec_lo
	v_cmpx_ne_u16_e32 0x80, v7
	s_cbranch_execz .LBB348_738
; %bb.733:                              ;   in Loop: Header=BB348_16 Depth=1
	v_and_b32_e32 v73, 0xffff, v7
	v_mov_b32_e32 v91, 0x7fc02000
	s_mov_b32 s23, exec_lo
	s_delay_alu instid0(VALU_DEP_2) | instskip(NEXT) | instid1(VALU_DEP_1)
	v_and_b32_e32 v35, 0x7f, v73
	v_cmpx_ne_u32_e32 0x7f, v35
	s_cbranch_execz .LBB348_737
; %bb.734:                              ;   in Loop: Header=BB348_16 Depth=1
	v_and_b32_e32 v7, 7, v73
	v_lshrrev_b32_e32 v74, 3, v35
	v_cmp_gt_u32_e64 s1, 8, v35
	s_delay_alu instid0(VALU_DEP_3) | instskip(NEXT) | instid1(VALU_DEP_2)
	v_dual_mov_b32 v36, v8 :: v_dual_mov_b32 v35, v7
	s_and_saveexec_b32 s24, s1
; %bb.735:                              ;   in Loop: Header=BB348_16 Depth=1
	v_clz_i32_u32_e32 v35, v7
	s_delay_alu instid0(VALU_DEP_1) | instskip(NEXT) | instid1(VALU_DEP_1)
	v_min_u32_e32 v74, 32, v35
	v_subrev_nc_u32_e32 v35, 28, v74
	v_sub_nc_u32_e32 v74, 29, v74
	s_delay_alu instid0(VALU_DEP_2) | instskip(NEXT) | instid1(VALU_DEP_1)
	v_lshlrev_b64 v[35:36], v35, v[7:8]
	v_and_b32_e32 v35, 7, v35
; %bb.736:                              ;   in Loop: Header=BB348_16 Depth=1
	s_or_b32 exec_lo, exec_lo, s24
	v_lshlrev_b32_e32 v7, 8, v73
	v_lshl_add_u32 v36, v74, 10, 0x2000
	s_delay_alu instid0(VALU_DEP_1) | instskip(NEXT) | instid1(VALU_DEP_1)
	v_and_or_b32 v7, 0x8000, v7, v36
	v_lshl_or_b32 v7, v35, 7, v7
	s_delay_alu instid0(VALU_DEP_1)
	v_cvt_f32_f16_e32 v91, v7
.LBB348_737:                            ;   in Loop: Header=BB348_16 Depth=1
	s_or_b32 exec_lo, exec_lo, s23
.LBB348_738:                            ;   in Loop: Header=BB348_16 Depth=1
	s_delay_alu instid0(SALU_CYCLE_1)
	s_or_b32 exec_lo, exec_lo, s22
.LBB348_739:                            ;   in Loop: Header=BB348_16 Depth=1
	s_delay_alu instid0(SALU_CYCLE_1) | instskip(SKIP_3) | instid1(VALU_DEP_2)
	s_or_b32 exec_lo, exec_lo, s21
	v_lshrrev_b32_e32 v73, 16, v33
	v_mov_b32_e32 v95, 0
	s_mov_b32 s21, exec_lo
	v_dual_mov_b32 v94, 0 :: v_dual_and_b32 v7, 0xff, v73
	s_delay_alu instid0(VALU_DEP_1)
	v_cmpx_ne_u16_e32 0, v7
	s_cbranch_execz .LBB348_747
; %bb.740:                              ;   in Loop: Header=BB348_16 Depth=1
	v_bfrev_b32_e32 v94, 1
	s_mov_b32 s22, exec_lo
	v_cmpx_ne_u16_e32 0x80, v7
	s_cbranch_execz .LBB348_746
; %bb.741:                              ;   in Loop: Header=BB348_16 Depth=1
	v_bfe_u32 v35, v33, 16, 7
	v_mov_b32_e32 v94, 0x7fc02000
	s_mov_b32 s23, exec_lo
	s_delay_alu instid0(VALU_DEP_2)
	v_cmpx_ne_u32_e32 0x7f, v35
	s_cbranch_execz .LBB348_745
; %bb.742:                              ;   in Loop: Header=BB348_16 Depth=1
	v_and_b32_e32 v7, 7, v73
	v_lshrrev_b32_e32 v74, 3, v35
	v_cmp_gt_u32_e64 s1, 8, v35
	s_delay_alu instid0(VALU_DEP_3) | instskip(NEXT) | instid1(VALU_DEP_2)
	v_dual_mov_b32 v36, v8 :: v_dual_mov_b32 v35, v7
	s_and_saveexec_b32 s24, s1
; %bb.743:                              ;   in Loop: Header=BB348_16 Depth=1
	v_clz_i32_u32_e32 v35, v7
	s_delay_alu instid0(VALU_DEP_1) | instskip(NEXT) | instid1(VALU_DEP_1)
	v_min_u32_e32 v74, 32, v35
	v_subrev_nc_u32_e32 v35, 28, v74
	v_sub_nc_u32_e32 v74, 29, v74
	s_delay_alu instid0(VALU_DEP_2) | instskip(NEXT) | instid1(VALU_DEP_1)
	v_lshlrev_b64 v[35:36], v35, v[7:8]
	v_and_b32_e32 v35, 7, v35
; %bb.744:                              ;   in Loop: Header=BB348_16 Depth=1
	s_or_b32 exec_lo, exec_lo, s24
	v_lshlrev_b32_e32 v7, 8, v73
	v_lshl_add_u32 v36, v74, 10, 0x2000
	s_delay_alu instid0(VALU_DEP_1) | instskip(NEXT) | instid1(VALU_DEP_1)
	v_and_or_b32 v7, 0x8000, v7, v36
	v_lshl_or_b32 v7, v35, 7, v7
	s_delay_alu instid0(VALU_DEP_1)
	v_cvt_f32_f16_e32 v94, v7
.LBB348_745:                            ;   in Loop: Header=BB348_16 Depth=1
	s_or_b32 exec_lo, exec_lo, s23
.LBB348_746:                            ;   in Loop: Header=BB348_16 Depth=1
	s_delay_alu instid0(SALU_CYCLE_1)
	s_or_b32 exec_lo, exec_lo, s22
.LBB348_747:                            ;   in Loop: Header=BB348_16 Depth=1
	s_delay_alu instid0(SALU_CYCLE_1) | instskip(NEXT) | instid1(SALU_CYCLE_1)
	s_or_b32 exec_lo, exec_lo, s21
	s_mov_b32 s21, exec_lo
	v_cmpx_lt_u32_e32 0xffffff, v33
	s_cbranch_execz .LBB348_755
; %bb.748:                              ;   in Loop: Header=BB348_16 Depth=1
	v_lshrrev_b32_e32 v73, 24, v33
	v_bfrev_b32_e32 v95, 1
	s_mov_b32 s22, exec_lo
	s_delay_alu instid0(VALU_DEP_2)
	v_cmpx_ne_u32_e32 0x80, v73
	s_cbranch_execz .LBB348_754
; %bb.749:                              ;   in Loop: Header=BB348_16 Depth=1
	v_and_b32_e32 v35, 0x7f, v73
	v_mov_b32_e32 v95, 0x7fc02000
	s_mov_b32 s23, exec_lo
	s_delay_alu instid0(VALU_DEP_2)
	v_cmpx_ne_u32_e32 0x7f, v35
	s_cbranch_execz .LBB348_753
; %bb.750:                              ;   in Loop: Header=BB348_16 Depth=1
	v_and_b32_e32 v7, 7, v73
	v_lshrrev_b32_e32 v74, 3, v35
	v_cmp_gt_u32_e64 s1, 8, v35
	s_delay_alu instid0(VALU_DEP_3) | instskip(NEXT) | instid1(VALU_DEP_2)
	v_dual_mov_b32 v36, v8 :: v_dual_mov_b32 v35, v7
	s_and_saveexec_b32 s24, s1
; %bb.751:                              ;   in Loop: Header=BB348_16 Depth=1
	v_clz_i32_u32_e32 v35, v7
	s_delay_alu instid0(VALU_DEP_1) | instskip(NEXT) | instid1(VALU_DEP_1)
	v_min_u32_e32 v74, 32, v35
	v_subrev_nc_u32_e32 v35, 28, v74
	v_sub_nc_u32_e32 v74, 29, v74
	s_delay_alu instid0(VALU_DEP_2) | instskip(NEXT) | instid1(VALU_DEP_1)
	v_lshlrev_b64 v[35:36], v35, v[7:8]
	v_and_b32_e32 v35, 7, v35
; %bb.752:                              ;   in Loop: Header=BB348_16 Depth=1
	s_or_b32 exec_lo, exec_lo, s24
	v_lshlrev_b32_e32 v7, 8, v73
	v_lshl_add_u32 v36, v74, 10, 0x2000
	s_delay_alu instid0(VALU_DEP_1) | instskip(NEXT) | instid1(VALU_DEP_1)
	v_and_or_b32 v7, 0x8000, v7, v36
	v_lshl_or_b32 v7, v35, 7, v7
	s_delay_alu instid0(VALU_DEP_1)
	v_cvt_f32_f16_e32 v95, v7
.LBB348_753:                            ;   in Loop: Header=BB348_16 Depth=1
	s_or_b32 exec_lo, exec_lo, s23
.LBB348_754:                            ;   in Loop: Header=BB348_16 Depth=1
	s_delay_alu instid0(SALU_CYCLE_1)
	s_or_b32 exec_lo, exec_lo, s22
.LBB348_755:                            ;   in Loop: Header=BB348_16 Depth=1
	s_delay_alu instid0(SALU_CYCLE_1) | instskip(SKIP_4) | instid1(VALU_DEP_3)
	s_or_b32 exec_lo, exec_lo, s21
	v_dual_mov_b32 v124, 0 :: v_dual_and_b32 v35, 0xff, v34
	v_mov_b32_e32 v7, v34
	v_mov_b32_e32 v125, 0
	s_mov_b32 s21, exec_lo
	v_cmpx_ne_u16_e32 0, v35
	s_cbranch_execz .LBB348_763
; %bb.756:                              ;   in Loop: Header=BB348_16 Depth=1
	v_bfrev_b32_e32 v124, 1
	s_mov_b32 s22, exec_lo
	v_cmpx_ne_u16_e32 0x80, v35
	s_cbranch_execz .LBB348_762
; %bb.757:                              ;   in Loop: Header=BB348_16 Depth=1
	v_and_b32_e32 v35, 0x7f, v34
	v_mov_b32_e32 v124, 0x7fc02000
	s_mov_b32 s23, exec_lo
	s_delay_alu instid0(VALU_DEP_2)
	v_cmpx_ne_u32_e32 0x7f, v35
	s_cbranch_execz .LBB348_761
; %bb.758:                              ;   in Loop: Header=BB348_16 Depth=1
	v_lshrrev_b32_e32 v73, 3, v35
	v_cmp_gt_u32_e64 s1, 8, v35
	v_dual_mov_b32 v36, v8 :: v_dual_mov_b32 v35, v7
	s_delay_alu instid0(VALU_DEP_2)
	s_and_saveexec_b32 s24, s1
; %bb.759:                              ;   in Loop: Header=BB348_16 Depth=1
	v_and_b32_e32 v35, 7, v34
	s_delay_alu instid0(VALU_DEP_1) | instskip(NEXT) | instid1(VALU_DEP_1)
	v_clz_i32_u32_e32 v35, v35
	v_min_u32_e32 v73, 32, v35
	s_delay_alu instid0(VALU_DEP_1) | instskip(SKIP_1) | instid1(VALU_DEP_2)
	v_subrev_nc_u32_e32 v35, 28, v73
	v_sub_nc_u32_e32 v73, 29, v73
	v_lshlrev_b64 v[35:36], v35, v[7:8]
; %bb.760:                              ;   in Loop: Header=BB348_16 Depth=1
	s_or_b32 exec_lo, exec_lo, s24
	v_lshlrev_b32_e32 v36, 8, v34
	s_delay_alu instid0(VALU_DEP_3) | instskip(NEXT) | instid1(VALU_DEP_3)
	v_lshl_add_u32 v73, v73, 10, 0x2000
	v_lshlrev_b32_e32 v35, 7, v35
	s_delay_alu instid0(VALU_DEP_2) | instskip(NEXT) | instid1(VALU_DEP_1)
	v_and_or_b32 v36, 0x8000, v36, v73
	v_and_or_b32 v35, 0x380, v35, v36
	s_delay_alu instid0(VALU_DEP_1)
	v_cvt_f32_f16_e32 v124, v35
.LBB348_761:                            ;   in Loop: Header=BB348_16 Depth=1
	s_or_b32 exec_lo, exec_lo, s23
.LBB348_762:                            ;   in Loop: Header=BB348_16 Depth=1
	s_delay_alu instid0(SALU_CYCLE_1)
	s_or_b32 exec_lo, exec_lo, s22
.LBB348_763:                            ;   in Loop: Header=BB348_16 Depth=1
	s_delay_alu instid0(SALU_CYCLE_1) | instskip(SKIP_2) | instid1(VALU_DEP_1)
	s_or_b32 exec_lo, exec_lo, s21
	v_lshrrev_b16 v7, 8, v7
	s_mov_b32 s21, exec_lo
	v_cmpx_ne_u16_e32 0, v7
	s_cbranch_execz .LBB348_771
; %bb.764:                              ;   in Loop: Header=BB348_16 Depth=1
	v_bfrev_b32_e32 v125, 1
	s_mov_b32 s22, exec_lo
	v_cmpx_ne_u16_e32 0x80, v7
	s_cbranch_execz .LBB348_770
; %bb.765:                              ;   in Loop: Header=BB348_16 Depth=1
	v_and_b32_e32 v73, 0xffff, v7
	v_mov_b32_e32 v125, 0x7fc02000
	s_mov_b32 s23, exec_lo
	s_delay_alu instid0(VALU_DEP_2) | instskip(NEXT) | instid1(VALU_DEP_1)
	v_and_b32_e32 v35, 0x7f, v73
	v_cmpx_ne_u32_e32 0x7f, v35
	s_cbranch_execz .LBB348_769
; %bb.766:                              ;   in Loop: Header=BB348_16 Depth=1
	v_and_b32_e32 v7, 7, v73
	v_lshrrev_b32_e32 v74, 3, v35
	v_cmp_gt_u32_e64 s1, 8, v35
	s_delay_alu instid0(VALU_DEP_3) | instskip(NEXT) | instid1(VALU_DEP_2)
	v_dual_mov_b32 v36, v8 :: v_dual_mov_b32 v35, v7
	s_and_saveexec_b32 s24, s1
; %bb.767:                              ;   in Loop: Header=BB348_16 Depth=1
	v_clz_i32_u32_e32 v35, v7
	s_delay_alu instid0(VALU_DEP_1) | instskip(NEXT) | instid1(VALU_DEP_1)
	v_min_u32_e32 v74, 32, v35
	v_subrev_nc_u32_e32 v35, 28, v74
	v_sub_nc_u32_e32 v74, 29, v74
	s_delay_alu instid0(VALU_DEP_2) | instskip(NEXT) | instid1(VALU_DEP_1)
	v_lshlrev_b64 v[35:36], v35, v[7:8]
	v_and_b32_e32 v35, 7, v35
; %bb.768:                              ;   in Loop: Header=BB348_16 Depth=1
	s_or_b32 exec_lo, exec_lo, s24
	v_lshlrev_b32_e32 v7, 8, v73
	v_lshl_add_u32 v36, v74, 10, 0x2000
	s_delay_alu instid0(VALU_DEP_1) | instskip(NEXT) | instid1(VALU_DEP_1)
	v_and_or_b32 v7, 0x8000, v7, v36
	v_lshl_or_b32 v7, v35, 7, v7
	s_delay_alu instid0(VALU_DEP_1)
	v_cvt_f32_f16_e32 v125, v7
.LBB348_769:                            ;   in Loop: Header=BB348_16 Depth=1
	s_or_b32 exec_lo, exec_lo, s23
.LBB348_770:                            ;   in Loop: Header=BB348_16 Depth=1
	s_delay_alu instid0(SALU_CYCLE_1)
	s_or_b32 exec_lo, exec_lo, s22
.LBB348_771:                            ;   in Loop: Header=BB348_16 Depth=1
	s_delay_alu instid0(SALU_CYCLE_1) | instskip(SKIP_3) | instid1(VALU_DEP_2)
	s_or_b32 exec_lo, exec_lo, s21
	v_lshrrev_b32_e32 v73, 16, v34
	v_mov_b32_e32 v127, 0
	s_mov_b32 s21, exec_lo
	v_dual_mov_b32 v126, 0 :: v_dual_and_b32 v7, 0xff, v73
	s_delay_alu instid0(VALU_DEP_1)
	v_cmpx_ne_u16_e32 0, v7
	s_cbranch_execz .LBB348_779
; %bb.772:                              ;   in Loop: Header=BB348_16 Depth=1
	v_bfrev_b32_e32 v127, 1
	s_mov_b32 s22, exec_lo
	v_cmpx_ne_u16_e32 0x80, v7
	s_cbranch_execz .LBB348_778
; %bb.773:                              ;   in Loop: Header=BB348_16 Depth=1
	v_bfe_u32 v35, v34, 16, 7
	v_mov_b32_e32 v127, 0x7fc02000
	s_mov_b32 s23, exec_lo
	s_delay_alu instid0(VALU_DEP_2)
	v_cmpx_ne_u32_e32 0x7f, v35
	s_cbranch_execz .LBB348_777
; %bb.774:                              ;   in Loop: Header=BB348_16 Depth=1
	v_and_b32_e32 v7, 7, v73
	v_lshrrev_b32_e32 v74, 3, v35
	v_cmp_gt_u32_e64 s1, 8, v35
	s_delay_alu instid0(VALU_DEP_3) | instskip(NEXT) | instid1(VALU_DEP_2)
	v_dual_mov_b32 v36, v8 :: v_dual_mov_b32 v35, v7
	s_and_saveexec_b32 s24, s1
; %bb.775:                              ;   in Loop: Header=BB348_16 Depth=1
	v_clz_i32_u32_e32 v35, v7
	s_delay_alu instid0(VALU_DEP_1) | instskip(NEXT) | instid1(VALU_DEP_1)
	v_min_u32_e32 v74, 32, v35
	v_subrev_nc_u32_e32 v35, 28, v74
	v_sub_nc_u32_e32 v74, 29, v74
	s_delay_alu instid0(VALU_DEP_2) | instskip(NEXT) | instid1(VALU_DEP_1)
	v_lshlrev_b64 v[35:36], v35, v[7:8]
	v_and_b32_e32 v35, 7, v35
; %bb.776:                              ;   in Loop: Header=BB348_16 Depth=1
	s_or_b32 exec_lo, exec_lo, s24
	v_lshlrev_b32_e32 v7, 8, v73
	v_lshl_add_u32 v36, v74, 10, 0x2000
	s_delay_alu instid0(VALU_DEP_1) | instskip(NEXT) | instid1(VALU_DEP_1)
	v_and_or_b32 v7, 0x8000, v7, v36
	v_lshl_or_b32 v7, v35, 7, v7
	s_delay_alu instid0(VALU_DEP_1)
	v_cvt_f32_f16_e32 v127, v7
.LBB348_777:                            ;   in Loop: Header=BB348_16 Depth=1
	s_or_b32 exec_lo, exec_lo, s23
.LBB348_778:                            ;   in Loop: Header=BB348_16 Depth=1
	s_delay_alu instid0(SALU_CYCLE_1)
	s_or_b32 exec_lo, exec_lo, s22
.LBB348_779:                            ;   in Loop: Header=BB348_16 Depth=1
	s_delay_alu instid0(SALU_CYCLE_1) | instskip(NEXT) | instid1(SALU_CYCLE_1)
	s_or_b32 exec_lo, exec_lo, s21
	s_mov_b32 s21, exec_lo
	v_cmpx_lt_u64_e64 s[8:9], v[33:34]
	s_cbranch_execz .LBB348_787
; %bb.780:                              ;   in Loop: Header=BB348_16 Depth=1
	v_lshrrev_b32_e32 v35, 24, v34
	v_bfrev_b32_e32 v126, 1
	s_mov_b32 s22, exec_lo
	s_delay_alu instid0(VALU_DEP_2)
	v_cmpx_ne_u32_e32 0x80, v35
	s_cbranch_execz .LBB348_786
; %bb.781:                              ;   in Loop: Header=BB348_16 Depth=1
	v_and_b32_e32 v33, 0x7f, v35
	v_mov_b32_e32 v126, 0x7fc02000
	s_mov_b32 s23, exec_lo
	s_delay_alu instid0(VALU_DEP_2)
	v_cmpx_ne_u32_e32 0x7f, v33
	s_cbranch_execz .LBB348_785
; %bb.782:                              ;   in Loop: Header=BB348_16 Depth=1
	v_and_b32_e32 v7, 7, v35
	v_lshrrev_b32_e32 v36, 3, v33
	v_cmp_gt_u32_e64 s1, 8, v33
	s_delay_alu instid0(VALU_DEP_3) | instskip(NEXT) | instid1(VALU_DEP_2)
	v_dual_mov_b32 v34, v8 :: v_dual_mov_b32 v33, v7
	s_and_saveexec_b32 s24, s1
; %bb.783:                              ;   in Loop: Header=BB348_16 Depth=1
	v_clz_i32_u32_e32 v33, v7
	s_delay_alu instid0(VALU_DEP_1) | instskip(NEXT) | instid1(VALU_DEP_1)
	v_min_u32_e32 v36, 32, v33
	v_subrev_nc_u32_e32 v33, 28, v36
	v_sub_nc_u32_e32 v36, 29, v36
	s_delay_alu instid0(VALU_DEP_2) | instskip(NEXT) | instid1(VALU_DEP_1)
	v_lshlrev_b64 v[33:34], v33, v[7:8]
	v_and_b32_e32 v33, 7, v33
; %bb.784:                              ;   in Loop: Header=BB348_16 Depth=1
	s_or_b32 exec_lo, exec_lo, s24
	v_lshlrev_b32_e32 v7, 8, v35
	v_lshl_add_u32 v34, v36, 10, 0x2000
	s_delay_alu instid0(VALU_DEP_1) | instskip(NEXT) | instid1(VALU_DEP_1)
	v_and_or_b32 v7, 0x8000, v7, v34
	v_lshl_or_b32 v7, v33, 7, v7
	s_delay_alu instid0(VALU_DEP_1)
	v_cvt_f32_f16_e32 v126, v7
.LBB348_785:                            ;   in Loop: Header=BB348_16 Depth=1
	s_or_b32 exec_lo, exec_lo, s23
.LBB348_786:                            ;   in Loop: Header=BB348_16 Depth=1
	s_delay_alu instid0(SALU_CYCLE_1)
	s_or_b32 exec_lo, exec_lo, s22
.LBB348_787:                            ;   in Loop: Header=BB348_16 Depth=1
	s_delay_alu instid0(SALU_CYCLE_1)
	s_or_b32 exec_lo, exec_lo, s21
	flat_load_b64 v[33:34], v[31:32] offset:3072
	v_mov_b32_e32 v73, 0
	s_mov_b32 s21, exec_lo
	s_waitcnt vmcnt(0) lgkmcnt(0)
	v_dual_mov_b32 v74, 0 :: v_dual_and_b32 v7, 0xff, v33
	s_delay_alu instid0(VALU_DEP_1)
	v_cmpx_ne_u16_e32 0, v7
	s_cbranch_execz .LBB348_795
; %bb.788:                              ;   in Loop: Header=BB348_16 Depth=1
	v_bfrev_b32_e32 v73, 1
	s_mov_b32 s22, exec_lo
	v_cmpx_ne_u16_e32 0x80, v7
	s_cbranch_execz .LBB348_794
; %bb.789:                              ;   in Loop: Header=BB348_16 Depth=1
	v_and_b32_e32 v35, 0x7f, v33
	v_mov_b32_e32 v73, 0x7fc02000
	s_mov_b32 s23, exec_lo
	s_delay_alu instid0(VALU_DEP_2)
	v_cmpx_ne_u32_e32 0x7f, v35
	s_cbranch_execz .LBB348_793
; %bb.790:                              ;   in Loop: Header=BB348_16 Depth=1
	v_lshrrev_b32_e32 v7, 3, v35
	v_cmp_gt_u32_e64 s1, 8, v35
	v_dual_mov_b32 v36, v34 :: v_dual_mov_b32 v35, v33
	s_delay_alu instid0(VALU_DEP_2)
	s_and_saveexec_b32 s24, s1
; %bb.791:                              ;   in Loop: Header=BB348_16 Depth=1
	v_and_b32_e32 v7, 7, v33
	s_delay_alu instid0(VALU_DEP_1) | instskip(NEXT) | instid1(VALU_DEP_1)
	v_clz_i32_u32_e32 v7, v7
	v_min_u32_e32 v7, 32, v7
	s_delay_alu instid0(VALU_DEP_1) | instskip(SKIP_1) | instid1(VALU_DEP_2)
	v_subrev_nc_u32_e32 v35, 28, v7
	v_sub_nc_u32_e32 v7, 29, v7
	v_lshlrev_b64 v[35:36], v35, v[33:34]
; %bb.792:                              ;   in Loop: Header=BB348_16 Depth=1
	s_or_b32 exec_lo, exec_lo, s24
	v_lshlrev_b32_e32 v36, 8, v33
	s_delay_alu instid0(VALU_DEP_3) | instskip(NEXT) | instid1(VALU_DEP_3)
	v_lshl_add_u32 v7, v7, 10, 0x2000
	v_lshlrev_b32_e32 v35, 7, v35
	s_delay_alu instid0(VALU_DEP_2) | instskip(NEXT) | instid1(VALU_DEP_1)
	v_and_or_b32 v7, 0x8000, v36, v7
	v_and_or_b32 v7, 0x380, v35, v7
	s_delay_alu instid0(VALU_DEP_1)
	v_cvt_f32_f16_e32 v73, v7
.LBB348_793:                            ;   in Loop: Header=BB348_16 Depth=1
	s_or_b32 exec_lo, exec_lo, s23
.LBB348_794:                            ;   in Loop: Header=BB348_16 Depth=1
	s_delay_alu instid0(SALU_CYCLE_1)
	s_or_b32 exec_lo, exec_lo, s22
.LBB348_795:                            ;   in Loop: Header=BB348_16 Depth=1
	s_delay_alu instid0(SALU_CYCLE_1) | instskip(SKIP_2) | instid1(VALU_DEP_1)
	s_or_b32 exec_lo, exec_lo, s21
	v_lshrrev_b16 v7, 8, v33
	s_mov_b32 s21, exec_lo
	v_cmpx_ne_u16_e32 0, v7
	s_cbranch_execz .LBB348_803
; %bb.796:                              ;   in Loop: Header=BB348_16 Depth=1
	v_bfrev_b32_e32 v74, 1
	s_mov_b32 s22, exec_lo
	v_cmpx_ne_u16_e32 0x80, v7
	s_cbranch_execz .LBB348_802
; %bb.797:                              ;   in Loop: Header=BB348_16 Depth=1
	v_and_b32_e32 v75, 0xffff, v7
	v_mov_b32_e32 v74, 0x7fc02000
	s_mov_b32 s23, exec_lo
	s_delay_alu instid0(VALU_DEP_2) | instskip(NEXT) | instid1(VALU_DEP_1)
	v_and_b32_e32 v35, 0x7f, v75
	v_cmpx_ne_u32_e32 0x7f, v35
	s_cbranch_execz .LBB348_801
; %bb.798:                              ;   in Loop: Header=BB348_16 Depth=1
	v_and_b32_e32 v7, 7, v75
	v_lshrrev_b32_e32 v74, 3, v35
	v_cmp_gt_u32_e64 s1, 8, v35
	s_delay_alu instid0(VALU_DEP_3) | instskip(NEXT) | instid1(VALU_DEP_2)
	v_dual_mov_b32 v36, v8 :: v_dual_mov_b32 v35, v7
	s_and_saveexec_b32 s24, s1
; %bb.799:                              ;   in Loop: Header=BB348_16 Depth=1
	v_clz_i32_u32_e32 v35, v7
	s_delay_alu instid0(VALU_DEP_1) | instskip(NEXT) | instid1(VALU_DEP_1)
	v_min_u32_e32 v74, 32, v35
	v_subrev_nc_u32_e32 v35, 28, v74
	v_sub_nc_u32_e32 v74, 29, v74
	s_delay_alu instid0(VALU_DEP_2) | instskip(NEXT) | instid1(VALU_DEP_1)
	v_lshlrev_b64 v[35:36], v35, v[7:8]
	v_and_b32_e32 v35, 7, v35
; %bb.800:                              ;   in Loop: Header=BB348_16 Depth=1
	s_or_b32 exec_lo, exec_lo, s24
	v_lshlrev_b32_e32 v7, 8, v75
	v_lshl_add_u32 v36, v74, 10, 0x2000
	s_delay_alu instid0(VALU_DEP_1) | instskip(NEXT) | instid1(VALU_DEP_1)
	v_and_or_b32 v7, 0x8000, v7, v36
	v_lshl_or_b32 v7, v35, 7, v7
	s_delay_alu instid0(VALU_DEP_1)
	v_cvt_f32_f16_e32 v74, v7
.LBB348_801:                            ;   in Loop: Header=BB348_16 Depth=1
	s_or_b32 exec_lo, exec_lo, s23
.LBB348_802:                            ;   in Loop: Header=BB348_16 Depth=1
	s_delay_alu instid0(SALU_CYCLE_1)
	s_or_b32 exec_lo, exec_lo, s22
.LBB348_803:                            ;   in Loop: Header=BB348_16 Depth=1
	s_delay_alu instid0(SALU_CYCLE_1) | instskip(SKIP_3) | instid1(VALU_DEP_2)
	s_or_b32 exec_lo, exec_lo, s21
	v_lshrrev_b32_e32 v77, 16, v33
	v_mov_b32_e32 v75, 0
	s_mov_b32 s21, exec_lo
	v_dual_mov_b32 v76, 0 :: v_dual_and_b32 v7, 0xff, v77
	s_delay_alu instid0(VALU_DEP_1)
	v_cmpx_ne_u16_e32 0, v7
	s_cbranch_execz .LBB348_811
; %bb.804:                              ;   in Loop: Header=BB348_16 Depth=1
	v_bfrev_b32_e32 v75, 1
	s_mov_b32 s22, exec_lo
	v_cmpx_ne_u16_e32 0x80, v7
	s_cbranch_execz .LBB348_810
; %bb.805:                              ;   in Loop: Header=BB348_16 Depth=1
	v_bfe_u32 v35, v33, 16, 7
	v_mov_b32_e32 v75, 0x7fc02000
	s_mov_b32 s23, exec_lo
	s_delay_alu instid0(VALU_DEP_2)
	v_cmpx_ne_u32_e32 0x7f, v35
	s_cbranch_execz .LBB348_809
; %bb.806:                              ;   in Loop: Header=BB348_16 Depth=1
	v_and_b32_e32 v7, 7, v77
	v_lshrrev_b32_e32 v75, 3, v35
	v_cmp_gt_u32_e64 s1, 8, v35
	s_delay_alu instid0(VALU_DEP_3) | instskip(NEXT) | instid1(VALU_DEP_2)
	v_dual_mov_b32 v36, v8 :: v_dual_mov_b32 v35, v7
	s_and_saveexec_b32 s24, s1
; %bb.807:                              ;   in Loop: Header=BB348_16 Depth=1
	v_clz_i32_u32_e32 v35, v7
	s_delay_alu instid0(VALU_DEP_1) | instskip(NEXT) | instid1(VALU_DEP_1)
	v_min_u32_e32 v75, 32, v35
	v_subrev_nc_u32_e32 v35, 28, v75
	v_sub_nc_u32_e32 v75, 29, v75
	s_delay_alu instid0(VALU_DEP_2) | instskip(NEXT) | instid1(VALU_DEP_1)
	v_lshlrev_b64 v[35:36], v35, v[7:8]
	v_and_b32_e32 v35, 7, v35
; %bb.808:                              ;   in Loop: Header=BB348_16 Depth=1
	s_or_b32 exec_lo, exec_lo, s24
	v_lshlrev_b32_e32 v7, 8, v77
	v_lshl_add_u32 v36, v75, 10, 0x2000
	s_delay_alu instid0(VALU_DEP_1) | instskip(NEXT) | instid1(VALU_DEP_1)
	v_and_or_b32 v7, 0x8000, v7, v36
	v_lshl_or_b32 v7, v35, 7, v7
	s_delay_alu instid0(VALU_DEP_1)
	v_cvt_f32_f16_e32 v75, v7
.LBB348_809:                            ;   in Loop: Header=BB348_16 Depth=1
	s_or_b32 exec_lo, exec_lo, s23
.LBB348_810:                            ;   in Loop: Header=BB348_16 Depth=1
	s_delay_alu instid0(SALU_CYCLE_1)
	s_or_b32 exec_lo, exec_lo, s22
.LBB348_811:                            ;   in Loop: Header=BB348_16 Depth=1
	s_delay_alu instid0(SALU_CYCLE_1) | instskip(NEXT) | instid1(SALU_CYCLE_1)
	s_or_b32 exec_lo, exec_lo, s21
	s_mov_b32 s21, exec_lo
	v_cmpx_lt_u32_e32 0xffffff, v33
	s_cbranch_execz .LBB348_819
; %bb.812:                              ;   in Loop: Header=BB348_16 Depth=1
	v_lshrrev_b32_e32 v77, 24, v33
	v_bfrev_b32_e32 v76, 1
	s_mov_b32 s22, exec_lo
	s_delay_alu instid0(VALU_DEP_2)
	v_cmpx_ne_u32_e32 0x80, v77
	s_cbranch_execz .LBB348_818
; %bb.813:                              ;   in Loop: Header=BB348_16 Depth=1
	v_and_b32_e32 v35, 0x7f, v77
	v_mov_b32_e32 v76, 0x7fc02000
	s_mov_b32 s23, exec_lo
	s_delay_alu instid0(VALU_DEP_2)
	v_cmpx_ne_u32_e32 0x7f, v35
	s_cbranch_execz .LBB348_817
; %bb.814:                              ;   in Loop: Header=BB348_16 Depth=1
	v_and_b32_e32 v7, 7, v77
	v_lshrrev_b32_e32 v76, 3, v35
	v_cmp_gt_u32_e64 s1, 8, v35
	s_delay_alu instid0(VALU_DEP_3) | instskip(NEXT) | instid1(VALU_DEP_2)
	v_dual_mov_b32 v36, v8 :: v_dual_mov_b32 v35, v7
	s_and_saveexec_b32 s24, s1
; %bb.815:                              ;   in Loop: Header=BB348_16 Depth=1
	v_clz_i32_u32_e32 v35, v7
	s_delay_alu instid0(VALU_DEP_1) | instskip(NEXT) | instid1(VALU_DEP_1)
	v_min_u32_e32 v76, 32, v35
	v_subrev_nc_u32_e32 v35, 28, v76
	v_sub_nc_u32_e32 v76, 29, v76
	s_delay_alu instid0(VALU_DEP_2) | instskip(NEXT) | instid1(VALU_DEP_1)
	v_lshlrev_b64 v[35:36], v35, v[7:8]
	v_and_b32_e32 v35, 7, v35
; %bb.816:                              ;   in Loop: Header=BB348_16 Depth=1
	s_or_b32 exec_lo, exec_lo, s24
	v_lshlrev_b32_e32 v7, 8, v77
	v_lshl_add_u32 v36, v76, 10, 0x2000
	s_delay_alu instid0(VALU_DEP_1) | instskip(NEXT) | instid1(VALU_DEP_1)
	v_and_or_b32 v7, 0x8000, v7, v36
	v_lshl_or_b32 v7, v35, 7, v7
	s_delay_alu instid0(VALU_DEP_1)
	v_cvt_f32_f16_e32 v76, v7
.LBB348_817:                            ;   in Loop: Header=BB348_16 Depth=1
	s_or_b32 exec_lo, exec_lo, s23
.LBB348_818:                            ;   in Loop: Header=BB348_16 Depth=1
	s_delay_alu instid0(SALU_CYCLE_1)
	s_or_b32 exec_lo, exec_lo, s22
.LBB348_819:                            ;   in Loop: Header=BB348_16 Depth=1
	s_delay_alu instid0(SALU_CYCLE_1) | instskip(SKIP_4) | instid1(VALU_DEP_3)
	s_or_b32 exec_lo, exec_lo, s21
	v_dual_mov_b32 v104, 0 :: v_dual_and_b32 v35, 0xff, v34
	v_mov_b32_e32 v7, v34
	v_mov_b32_e32 v105, 0
	s_mov_b32 s21, exec_lo
	v_cmpx_ne_u16_e32 0, v35
	s_cbranch_execz .LBB348_827
; %bb.820:                              ;   in Loop: Header=BB348_16 Depth=1
	v_bfrev_b32_e32 v104, 1
	s_mov_b32 s22, exec_lo
	v_cmpx_ne_u16_e32 0x80, v35
	s_cbranch_execz .LBB348_826
; %bb.821:                              ;   in Loop: Header=BB348_16 Depth=1
	v_and_b32_e32 v35, 0x7f, v34
	v_mov_b32_e32 v104, 0x7fc02000
	s_mov_b32 s23, exec_lo
	s_delay_alu instid0(VALU_DEP_2)
	v_cmpx_ne_u32_e32 0x7f, v35
	s_cbranch_execz .LBB348_825
; %bb.822:                              ;   in Loop: Header=BB348_16 Depth=1
	v_lshrrev_b32_e32 v77, 3, v35
	v_cmp_gt_u32_e64 s1, 8, v35
	v_dual_mov_b32 v36, v8 :: v_dual_mov_b32 v35, v7
	s_delay_alu instid0(VALU_DEP_2)
	s_and_saveexec_b32 s24, s1
; %bb.823:                              ;   in Loop: Header=BB348_16 Depth=1
	v_and_b32_e32 v35, 7, v34
	s_delay_alu instid0(VALU_DEP_1) | instskip(NEXT) | instid1(VALU_DEP_1)
	v_clz_i32_u32_e32 v35, v35
	v_min_u32_e32 v77, 32, v35
	s_delay_alu instid0(VALU_DEP_1) | instskip(SKIP_1) | instid1(VALU_DEP_2)
	v_subrev_nc_u32_e32 v35, 28, v77
	v_sub_nc_u32_e32 v77, 29, v77
	v_lshlrev_b64 v[35:36], v35, v[7:8]
; %bb.824:                              ;   in Loop: Header=BB348_16 Depth=1
	s_or_b32 exec_lo, exec_lo, s24
	v_lshlrev_b32_e32 v36, 8, v34
	s_delay_alu instid0(VALU_DEP_3) | instskip(NEXT) | instid1(VALU_DEP_3)
	v_lshl_add_u32 v77, v77, 10, 0x2000
	v_lshlrev_b32_e32 v35, 7, v35
	s_delay_alu instid0(VALU_DEP_2) | instskip(NEXT) | instid1(VALU_DEP_1)
	v_and_or_b32 v36, 0x8000, v36, v77
	v_and_or_b32 v35, 0x380, v35, v36
	s_delay_alu instid0(VALU_DEP_1)
	v_cvt_f32_f16_e32 v104, v35
.LBB348_825:                            ;   in Loop: Header=BB348_16 Depth=1
	s_or_b32 exec_lo, exec_lo, s23
.LBB348_826:                            ;   in Loop: Header=BB348_16 Depth=1
	s_delay_alu instid0(SALU_CYCLE_1)
	s_or_b32 exec_lo, exec_lo, s22
.LBB348_827:                            ;   in Loop: Header=BB348_16 Depth=1
	s_delay_alu instid0(SALU_CYCLE_1) | instskip(SKIP_2) | instid1(VALU_DEP_1)
	s_or_b32 exec_lo, exec_lo, s21
	v_lshrrev_b16 v7, 8, v7
	s_mov_b32 s21, exec_lo
	v_cmpx_ne_u16_e32 0, v7
	s_cbranch_execz .LBB348_835
; %bb.828:                              ;   in Loop: Header=BB348_16 Depth=1
	v_bfrev_b32_e32 v105, 1
	s_mov_b32 s22, exec_lo
	v_cmpx_ne_u16_e32 0x80, v7
	s_cbranch_execz .LBB348_834
; %bb.829:                              ;   in Loop: Header=BB348_16 Depth=1
	v_and_b32_e32 v77, 0xffff, v7
	v_mov_b32_e32 v105, 0x7fc02000
	s_mov_b32 s23, exec_lo
	s_delay_alu instid0(VALU_DEP_2) | instskip(NEXT) | instid1(VALU_DEP_1)
	v_and_b32_e32 v35, 0x7f, v77
	v_cmpx_ne_u32_e32 0x7f, v35
	s_cbranch_execz .LBB348_833
; %bb.830:                              ;   in Loop: Header=BB348_16 Depth=1
	v_and_b32_e32 v7, 7, v77
	v_lshrrev_b32_e32 v88, 3, v35
	v_cmp_gt_u32_e64 s1, 8, v35
	s_delay_alu instid0(VALU_DEP_3) | instskip(NEXT) | instid1(VALU_DEP_2)
	v_dual_mov_b32 v36, v8 :: v_dual_mov_b32 v35, v7
	s_and_saveexec_b32 s24, s1
; %bb.831:                              ;   in Loop: Header=BB348_16 Depth=1
	v_clz_i32_u32_e32 v35, v7
	s_delay_alu instid0(VALU_DEP_1) | instskip(NEXT) | instid1(VALU_DEP_1)
	v_min_u32_e32 v88, 32, v35
	v_subrev_nc_u32_e32 v35, 28, v88
	v_sub_nc_u32_e32 v88, 29, v88
	s_delay_alu instid0(VALU_DEP_2) | instskip(NEXT) | instid1(VALU_DEP_1)
	v_lshlrev_b64 v[35:36], v35, v[7:8]
	v_and_b32_e32 v35, 7, v35
; %bb.832:                              ;   in Loop: Header=BB348_16 Depth=1
	s_or_b32 exec_lo, exec_lo, s24
	v_lshlrev_b32_e32 v7, 8, v77
	v_lshl_add_u32 v36, v88, 10, 0x2000
	s_delay_alu instid0(VALU_DEP_1) | instskip(NEXT) | instid1(VALU_DEP_1)
	v_and_or_b32 v7, 0x8000, v7, v36
	v_lshl_or_b32 v7, v35, 7, v7
	s_delay_alu instid0(VALU_DEP_1)
	v_cvt_f32_f16_e32 v105, v7
.LBB348_833:                            ;   in Loop: Header=BB348_16 Depth=1
	s_or_b32 exec_lo, exec_lo, s23
.LBB348_834:                            ;   in Loop: Header=BB348_16 Depth=1
	s_delay_alu instid0(SALU_CYCLE_1)
	s_or_b32 exec_lo, exec_lo, s22
.LBB348_835:                            ;   in Loop: Header=BB348_16 Depth=1
	s_delay_alu instid0(SALU_CYCLE_1) | instskip(SKIP_3) | instid1(VALU_DEP_2)
	s_or_b32 exec_lo, exec_lo, s21
	v_lshrrev_b32_e32 v77, 16, v34
	v_mov_b32_e32 v35, 0
	s_mov_b32 s21, exec_lo
	v_dual_mov_b32 v106, 0 :: v_dual_and_b32 v7, 0xff, v77
	s_delay_alu instid0(VALU_DEP_1)
	v_cmpx_ne_u16_e32 0, v7
	s_cbranch_execz .LBB348_843
; %bb.836:                              ;   in Loop: Header=BB348_16 Depth=1
	v_bfrev_b32_e32 v35, 1
	s_mov_b32 s22, exec_lo
	v_cmpx_ne_u16_e32 0x80, v7
	s_cbranch_execz .LBB348_842
; %bb.837:                              ;   in Loop: Header=BB348_16 Depth=1
	v_bfe_u32 v36, v34, 16, 7
	v_mov_b32_e32 v35, 0x7fc02000
	s_mov_b32 s23, exec_lo
	s_delay_alu instid0(VALU_DEP_2)
	v_cmpx_ne_u32_e32 0x7f, v36
	s_cbranch_execz .LBB348_841
; %bb.838:                              ;   in Loop: Header=BB348_16 Depth=1
	v_and_b32_e32 v7, 7, v77
	v_lshrrev_b32_e32 v88, 3, v36
	v_cmp_gt_u32_e64 s1, 8, v36
	s_delay_alu instid0(VALU_DEP_3) | instskip(NEXT) | instid1(VALU_DEP_2)
	v_dual_mov_b32 v36, v8 :: v_dual_mov_b32 v35, v7
	s_and_saveexec_b32 s24, s1
; %bb.839:                              ;   in Loop: Header=BB348_16 Depth=1
	v_clz_i32_u32_e32 v35, v7
	s_delay_alu instid0(VALU_DEP_1) | instskip(NEXT) | instid1(VALU_DEP_1)
	v_min_u32_e32 v88, 32, v35
	v_subrev_nc_u32_e32 v35, 28, v88
	v_sub_nc_u32_e32 v88, 29, v88
	s_delay_alu instid0(VALU_DEP_2) | instskip(NEXT) | instid1(VALU_DEP_1)
	v_lshlrev_b64 v[35:36], v35, v[7:8]
	v_and_b32_e32 v35, 7, v35
; %bb.840:                              ;   in Loop: Header=BB348_16 Depth=1
	s_or_b32 exec_lo, exec_lo, s24
	v_lshlrev_b32_e32 v7, 8, v77
	v_lshl_add_u32 v36, v88, 10, 0x2000
	s_delay_alu instid0(VALU_DEP_1) | instskip(NEXT) | instid1(VALU_DEP_1)
	v_and_or_b32 v7, 0x8000, v7, v36
	v_lshl_or_b32 v7, v35, 7, v7
	s_delay_alu instid0(VALU_DEP_1)
	v_cvt_f32_f16_e32 v35, v7
.LBB348_841:                            ;   in Loop: Header=BB348_16 Depth=1
	s_or_b32 exec_lo, exec_lo, s23
.LBB348_842:                            ;   in Loop: Header=BB348_16 Depth=1
	s_delay_alu instid0(SALU_CYCLE_1)
	s_or_b32 exec_lo, exec_lo, s22
.LBB348_843:                            ;   in Loop: Header=BB348_16 Depth=1
	s_delay_alu instid0(SALU_CYCLE_1) | instskip(NEXT) | instid1(SALU_CYCLE_1)
	s_or_b32 exec_lo, exec_lo, s21
	s_mov_b32 s21, exec_lo
	v_cmpx_lt_u64_e64 s[8:9], v[33:34]
	s_cbranch_execz .LBB348_851
; %bb.844:                              ;   in Loop: Header=BB348_16 Depth=1
	v_lshrrev_b32_e32 v36, 24, v34
	v_bfrev_b32_e32 v106, 1
	s_mov_b32 s22, exec_lo
	s_delay_alu instid0(VALU_DEP_2)
	v_cmpx_ne_u32_e32 0x80, v36
	s_cbranch_execz .LBB348_850
; %bb.845:                              ;   in Loop: Header=BB348_16 Depth=1
	v_and_b32_e32 v88, 0x7f, v36
	v_mov_b32_e32 v106, 0x7fc02000
	s_mov_b32 s23, exec_lo
	s_delay_alu instid0(VALU_DEP_2)
	v_cmpx_ne_u32_e32 0x7f, v88
	s_cbranch_execz .LBB348_849
; %bb.846:                              ;   in Loop: Header=BB348_16 Depth=1
	v_and_b32_e32 v7, 7, v36
	v_lshrrev_b32_e32 v77, 3, v88
	v_mov_b32_e32 v34, v8
	s_mov_b32 s24, exec_lo
	s_delay_alu instid0(VALU_DEP_3)
	v_mov_b32_e32 v33, v7
	v_cmpx_gt_u32_e32 8, v88
; %bb.847:                              ;   in Loop: Header=BB348_16 Depth=1
	v_clz_i32_u32_e32 v33, v7
	s_delay_alu instid0(VALU_DEP_1) | instskip(NEXT) | instid1(VALU_DEP_1)
	v_min_u32_e32 v77, 32, v33
	v_subrev_nc_u32_e32 v33, 28, v77
	v_sub_nc_u32_e32 v77, 29, v77
	s_delay_alu instid0(VALU_DEP_2) | instskip(NEXT) | instid1(VALU_DEP_1)
	v_lshlrev_b64 v[33:34], v33, v[7:8]
	v_and_b32_e32 v33, 7, v33
; %bb.848:                              ;   in Loop: Header=BB348_16 Depth=1
	s_or_b32 exec_lo, exec_lo, s24
	v_lshlrev_b32_e32 v7, 8, v36
	v_lshl_add_u32 v34, v77, 10, 0x2000
	s_delay_alu instid0(VALU_DEP_1) | instskip(NEXT) | instid1(VALU_DEP_1)
	v_and_or_b32 v7, 0x8000, v7, v34
	v_lshl_or_b32 v7, v33, 7, v7
	s_delay_alu instid0(VALU_DEP_1)
	v_cvt_f32_f16_e32 v106, v7
.LBB348_849:                            ;   in Loop: Header=BB348_16 Depth=1
	s_or_b32 exec_lo, exec_lo, s23
.LBB348_850:                            ;   in Loop: Header=BB348_16 Depth=1
	s_delay_alu instid0(SALU_CYCLE_1)
	s_or_b32 exec_lo, exec_lo, s22
.LBB348_851:                            ;   in Loop: Header=BB348_16 Depth=1
	s_delay_alu instid0(SALU_CYCLE_1)
	s_or_b32 exec_lo, exec_lo, s21
	flat_load_b64 v[31:32], v[31:32] offset:3080
	v_mov_b32_e32 v143, 0
	s_mov_b32 s21, exec_lo
	s_waitcnt vmcnt(0) lgkmcnt(0)
	v_dual_mov_b32 v142, 0 :: v_dual_and_b32 v7, 0xff, v31
	s_delay_alu instid0(VALU_DEP_1)
	v_cmpx_ne_u16_e32 0, v7
	s_cbranch_execz .LBB348_859
; %bb.852:                              ;   in Loop: Header=BB348_16 Depth=1
	v_bfrev_b32_e32 v142, 1
	s_mov_b32 s22, exec_lo
	v_cmpx_ne_u16_e32 0x80, v7
	s_cbranch_execz .LBB348_858
; %bb.853:                              ;   in Loop: Header=BB348_16 Depth=1
	v_and_b32_e32 v33, 0x7f, v31
	v_mov_b32_e32 v142, 0x7fc02000
	s_mov_b32 s23, exec_lo
	s_delay_alu instid0(VALU_DEP_2)
	v_cmpx_ne_u32_e32 0x7f, v33
	s_cbranch_execz .LBB348_857
; %bb.854:                              ;   in Loop: Header=BB348_16 Depth=1
	v_lshrrev_b32_e32 v7, 3, v33
	v_cmp_gt_u32_e64 s1, 8, v33
	v_dual_mov_b32 v34, v32 :: v_dual_mov_b32 v33, v31
	s_delay_alu instid0(VALU_DEP_2)
	s_and_saveexec_b32 s24, s1
; %bb.855:                              ;   in Loop: Header=BB348_16 Depth=1
	v_and_b32_e32 v7, 7, v31
	s_delay_alu instid0(VALU_DEP_1) | instskip(NEXT) | instid1(VALU_DEP_1)
	v_clz_i32_u32_e32 v7, v7
	v_min_u32_e32 v7, 32, v7
	s_delay_alu instid0(VALU_DEP_1) | instskip(SKIP_1) | instid1(VALU_DEP_2)
	v_subrev_nc_u32_e32 v33, 28, v7
	v_sub_nc_u32_e32 v7, 29, v7
	v_lshlrev_b64 v[33:34], v33, v[31:32]
; %bb.856:                              ;   in Loop: Header=BB348_16 Depth=1
	s_or_b32 exec_lo, exec_lo, s24
	v_lshlrev_b32_e32 v34, 8, v31
	s_delay_alu instid0(VALU_DEP_3) | instskip(NEXT) | instid1(VALU_DEP_3)
	v_lshl_add_u32 v7, v7, 10, 0x2000
	v_lshlrev_b32_e32 v33, 7, v33
	s_delay_alu instid0(VALU_DEP_2) | instskip(NEXT) | instid1(VALU_DEP_1)
	v_and_or_b32 v7, 0x8000, v34, v7
	v_and_or_b32 v7, 0x380, v33, v7
	s_delay_alu instid0(VALU_DEP_1)
	v_cvt_f32_f16_e64 v142, v7
.LBB348_857:                            ;   in Loop: Header=BB348_16 Depth=1
	s_or_b32 exec_lo, exec_lo, s23
.LBB348_858:                            ;   in Loop: Header=BB348_16 Depth=1
	s_delay_alu instid0(SALU_CYCLE_1)
	s_or_b32 exec_lo, exec_lo, s22
.LBB348_859:                            ;   in Loop: Header=BB348_16 Depth=1
	s_delay_alu instid0(SALU_CYCLE_1) | instskip(SKIP_2) | instid1(VALU_DEP_1)
	s_or_b32 exec_lo, exec_lo, s21
	v_lshrrev_b16 v7, 8, v31
	s_mov_b32 s21, exec_lo
	v_cmpx_ne_u16_e32 0, v7
	s_cbranch_execz .LBB348_867
; %bb.860:                              ;   in Loop: Header=BB348_16 Depth=1
	v_bfrev_b32_e32 v143, 1
	s_mov_b32 s22, exec_lo
	v_cmpx_ne_u16_e32 0x80, v7
	s_cbranch_execz .LBB348_866
; %bb.861:                              ;   in Loop: Header=BB348_16 Depth=1
	v_and_b32_e32 v36, 0xffff, v7
	v_mov_b32_e32 v143, 0x7fc02000
	s_mov_b32 s23, exec_lo
	s_delay_alu instid0(VALU_DEP_2) | instskip(NEXT) | instid1(VALU_DEP_1)
	v_and_b32_e32 v88, 0x7f, v36
	v_cmpx_ne_u32_e32 0x7f, v88
	s_cbranch_execz .LBB348_865
; %bb.862:                              ;   in Loop: Header=BB348_16 Depth=1
	v_and_b32_e32 v7, 7, v36
	v_lshrrev_b32_e32 v77, 3, v88
	v_mov_b32_e32 v34, v8
	s_mov_b32 s24, exec_lo
	s_delay_alu instid0(VALU_DEP_3)
	v_mov_b32_e32 v33, v7
	v_cmpx_gt_u32_e32 8, v88
; %bb.863:                              ;   in Loop: Header=BB348_16 Depth=1
	v_clz_i32_u32_e32 v33, v7
	s_delay_alu instid0(VALU_DEP_1) | instskip(NEXT) | instid1(VALU_DEP_1)
	v_min_u32_e32 v77, 32, v33
	v_subrev_nc_u32_e32 v33, 28, v77
	v_sub_nc_u32_e32 v77, 29, v77
	s_delay_alu instid0(VALU_DEP_2) | instskip(NEXT) | instid1(VALU_DEP_1)
	v_lshlrev_b64 v[33:34], v33, v[7:8]
	v_and_b32_e32 v33, 7, v33
; %bb.864:                              ;   in Loop: Header=BB348_16 Depth=1
	s_or_b32 exec_lo, exec_lo, s24
	v_lshlrev_b32_e32 v7, 8, v36
	v_lshl_add_u32 v34, v77, 10, 0x2000
	s_delay_alu instid0(VALU_DEP_1) | instskip(NEXT) | instid1(VALU_DEP_1)
	v_and_or_b32 v7, 0x8000, v7, v34
	v_lshl_or_b32 v7, v33, 7, v7
	s_delay_alu instid0(VALU_DEP_1)
	v_cvt_f32_f16_e64 v143, v7
.LBB348_865:                            ;   in Loop: Header=BB348_16 Depth=1
	s_or_b32 exec_lo, exec_lo, s23
.LBB348_866:                            ;   in Loop: Header=BB348_16 Depth=1
	s_delay_alu instid0(SALU_CYCLE_1)
	s_or_b32 exec_lo, exec_lo, s22
.LBB348_867:                            ;   in Loop: Header=BB348_16 Depth=1
	s_delay_alu instid0(SALU_CYCLE_1) | instskip(SKIP_3) | instid1(VALU_DEP_2)
	s_or_b32 exec_lo, exec_lo, s21
	v_lshrrev_b32_e32 v36, 16, v31
	v_mov_b32_e32 v153, 0
	s_mov_b32 s21, exec_lo
	v_dual_mov_b32 v152, 0 :: v_dual_and_b32 v7, 0xff, v36
	s_delay_alu instid0(VALU_DEP_1)
	v_cmpx_ne_u16_e32 0, v7
	s_cbranch_execz .LBB348_875
; %bb.868:                              ;   in Loop: Header=BB348_16 Depth=1
	v_bfrev_b32_e32 v152, 1
	s_mov_b32 s22, exec_lo
	v_cmpx_ne_u16_e32 0x80, v7
	s_cbranch_execz .LBB348_874
; %bb.869:                              ;   in Loop: Header=BB348_16 Depth=1
	v_bfe_u32 v88, v31, 16, 7
	v_mov_b32_e32 v152, 0x7fc02000
	s_mov_b32 s23, exec_lo
	s_delay_alu instid0(VALU_DEP_2)
	v_cmpx_ne_u32_e32 0x7f, v88
	s_cbranch_execz .LBB348_873
; %bb.870:                              ;   in Loop: Header=BB348_16 Depth=1
	v_and_b32_e32 v7, 7, v36
	v_lshrrev_b32_e32 v77, 3, v88
	v_mov_b32_e32 v34, v8
	s_mov_b32 s24, exec_lo
	s_delay_alu instid0(VALU_DEP_3)
	v_mov_b32_e32 v33, v7
	v_cmpx_gt_u32_e32 8, v88
; %bb.871:                              ;   in Loop: Header=BB348_16 Depth=1
	v_clz_i32_u32_e32 v33, v7
	s_delay_alu instid0(VALU_DEP_1) | instskip(NEXT) | instid1(VALU_DEP_1)
	v_min_u32_e32 v77, 32, v33
	v_subrev_nc_u32_e32 v33, 28, v77
	v_sub_nc_u32_e32 v77, 29, v77
	s_delay_alu instid0(VALU_DEP_2) | instskip(NEXT) | instid1(VALU_DEP_1)
	v_lshlrev_b64 v[33:34], v33, v[7:8]
	v_and_b32_e32 v33, 7, v33
; %bb.872:                              ;   in Loop: Header=BB348_16 Depth=1
	s_or_b32 exec_lo, exec_lo, s24
	v_lshlrev_b32_e32 v7, 8, v36
	v_lshl_add_u32 v34, v77, 10, 0x2000
	s_delay_alu instid0(VALU_DEP_1) | instskip(NEXT) | instid1(VALU_DEP_1)
	v_and_or_b32 v7, 0x8000, v7, v34
	v_lshl_or_b32 v7, v33, 7, v7
	s_delay_alu instid0(VALU_DEP_1)
	v_cvt_f32_f16_e64 v152, v7
.LBB348_873:                            ;   in Loop: Header=BB348_16 Depth=1
	s_or_b32 exec_lo, exec_lo, s23
.LBB348_874:                            ;   in Loop: Header=BB348_16 Depth=1
	s_delay_alu instid0(SALU_CYCLE_1)
	s_or_b32 exec_lo, exec_lo, s22
.LBB348_875:                            ;   in Loop: Header=BB348_16 Depth=1
	s_delay_alu instid0(SALU_CYCLE_1) | instskip(NEXT) | instid1(SALU_CYCLE_1)
	s_or_b32 exec_lo, exec_lo, s21
	s_mov_b32 s21, exec_lo
	v_cmpx_lt_u32_e32 0xffffff, v31
	s_cbranch_execz .LBB348_883
; %bb.876:                              ;   in Loop: Header=BB348_16 Depth=1
	v_lshrrev_b32_e32 v36, 24, v31
	v_bfrev_b32_e32 v153, 1
	s_mov_b32 s22, exec_lo
	s_delay_alu instid0(VALU_DEP_2)
	v_cmpx_ne_u32_e32 0x80, v36
	s_cbranch_execz .LBB348_882
; %bb.877:                              ;   in Loop: Header=BB348_16 Depth=1
	v_and_b32_e32 v88, 0x7f, v36
	v_mov_b32_e32 v153, 0x7fc02000
	s_mov_b32 s23, exec_lo
	s_delay_alu instid0(VALU_DEP_2)
	v_cmpx_ne_u32_e32 0x7f, v88
	s_cbranch_execz .LBB348_881
; %bb.878:                              ;   in Loop: Header=BB348_16 Depth=1
	v_and_b32_e32 v7, 7, v36
	v_lshrrev_b32_e32 v77, 3, v88
	v_mov_b32_e32 v34, v8
	s_mov_b32 s24, exec_lo
	s_delay_alu instid0(VALU_DEP_3)
	v_mov_b32_e32 v33, v7
	v_cmpx_gt_u32_e32 8, v88
; %bb.879:                              ;   in Loop: Header=BB348_16 Depth=1
	v_clz_i32_u32_e32 v33, v7
	s_delay_alu instid0(VALU_DEP_1) | instskip(NEXT) | instid1(VALU_DEP_1)
	v_min_u32_e32 v77, 32, v33
	v_subrev_nc_u32_e32 v33, 28, v77
	v_sub_nc_u32_e32 v77, 29, v77
	s_delay_alu instid0(VALU_DEP_2) | instskip(NEXT) | instid1(VALU_DEP_1)
	v_lshlrev_b64 v[33:34], v33, v[7:8]
	v_and_b32_e32 v33, 7, v33
; %bb.880:                              ;   in Loop: Header=BB348_16 Depth=1
	s_or_b32 exec_lo, exec_lo, s24
	v_lshlrev_b32_e32 v7, 8, v36
	v_lshl_add_u32 v34, v77, 10, 0x2000
	s_delay_alu instid0(VALU_DEP_1) | instskip(NEXT) | instid1(VALU_DEP_1)
	v_and_or_b32 v7, 0x8000, v7, v34
	v_lshl_or_b32 v7, v33, 7, v7
	s_delay_alu instid0(VALU_DEP_1)
	v_cvt_f32_f16_e64 v153, v7
.LBB348_881:                            ;   in Loop: Header=BB348_16 Depth=1
	s_or_b32 exec_lo, exec_lo, s23
.LBB348_882:                            ;   in Loop: Header=BB348_16 Depth=1
	s_delay_alu instid0(SALU_CYCLE_1)
	s_or_b32 exec_lo, exec_lo, s22
.LBB348_883:                            ;   in Loop: Header=BB348_16 Depth=1
	s_delay_alu instid0(SALU_CYCLE_1) | instskip(SKIP_4) | instid1(VALU_DEP_3)
	s_or_b32 exec_lo, exec_lo, s21
	v_dual_mov_b32 v156, 0 :: v_dual_and_b32 v33, 0xff, v32
	v_mov_b32_e32 v7, v32
	v_mov_b32_e32 v157, 0
	s_mov_b32 s21, exec_lo
	v_cmpx_ne_u16_e32 0, v33
	s_cbranch_execz .LBB348_891
; %bb.884:                              ;   in Loop: Header=BB348_16 Depth=1
	v_bfrev_b32_e32 v156, 1
	s_mov_b32 s22, exec_lo
	v_cmpx_ne_u16_e32 0x80, v33
	s_cbranch_execz .LBB348_890
; %bb.885:                              ;   in Loop: Header=BB348_16 Depth=1
	v_and_b32_e32 v36, 0x7f, v32
	v_mov_b32_e32 v156, 0x7fc02000
	s_mov_b32 s23, exec_lo
	s_delay_alu instid0(VALU_DEP_2)
	v_cmpx_ne_u32_e32 0x7f, v36
	s_cbranch_execz .LBB348_889
; %bb.886:                              ;   in Loop: Header=BB348_16 Depth=1
	v_dual_mov_b32 v34, v8 :: v_dual_mov_b32 v33, v7
	v_lshrrev_b32_e32 v34, 3, v36
	s_mov_b32 s24, exec_lo
	v_cmpx_gt_u32_e32 8, v36
; %bb.887:                              ;   in Loop: Header=BB348_16 Depth=1
	v_and_b32_e32 v33, 7, v32
	s_delay_alu instid0(VALU_DEP_1) | instskip(NEXT) | instid1(VALU_DEP_1)
	v_clz_i32_u32_e32 v33, v33
	v_min_u32_e32 v36, 32, v33
	s_delay_alu instid0(VALU_DEP_1) | instskip(NEXT) | instid1(VALU_DEP_1)
	v_subrev_nc_u32_e32 v33, 28, v36
	v_lshlrev_b64 v[33:34], v33, v[7:8]
	v_sub_nc_u32_e32 v34, 29, v36
; %bb.888:                              ;   in Loop: Header=BB348_16 Depth=1
	s_or_b32 exec_lo, exec_lo, s24
	v_lshlrev_b32_e32 v36, 8, v32
	s_delay_alu instid0(VALU_DEP_2) | instskip(NEXT) | instid1(VALU_DEP_4)
	v_lshl_add_u32 v34, v34, 10, 0x2000
	v_lshlrev_b32_e32 v33, 7, v33
	s_delay_alu instid0(VALU_DEP_2) | instskip(NEXT) | instid1(VALU_DEP_1)
	v_and_or_b32 v34, 0x8000, v36, v34
	v_and_or_b32 v33, 0x380, v33, v34
	s_delay_alu instid0(VALU_DEP_1)
	v_cvt_f32_f16_e64 v156, v33
.LBB348_889:                            ;   in Loop: Header=BB348_16 Depth=1
	s_or_b32 exec_lo, exec_lo, s23
.LBB348_890:                            ;   in Loop: Header=BB348_16 Depth=1
	s_delay_alu instid0(SALU_CYCLE_1)
	s_or_b32 exec_lo, exec_lo, s22
.LBB348_891:                            ;   in Loop: Header=BB348_16 Depth=1
	s_delay_alu instid0(SALU_CYCLE_1) | instskip(SKIP_2) | instid1(VALU_DEP_1)
	s_or_b32 exec_lo, exec_lo, s21
	v_lshrrev_b16 v7, 8, v7
	s_mov_b32 s21, exec_lo
	v_cmpx_ne_u16_e32 0, v7
	s_cbranch_execz .LBB348_899
; %bb.892:                              ;   in Loop: Header=BB348_16 Depth=1
	v_bfrev_b32_e32 v157, 1
	s_mov_b32 s22, exec_lo
	v_cmpx_ne_u16_e32 0x80, v7
	s_cbranch_execz .LBB348_898
; %bb.893:                              ;   in Loop: Header=BB348_16 Depth=1
	v_and_b32_e32 v36, 0xffff, v7
	v_mov_b32_e32 v157, 0x7fc02000
	s_mov_b32 s23, exec_lo
	s_delay_alu instid0(VALU_DEP_2) | instskip(NEXT) | instid1(VALU_DEP_1)
	v_and_b32_e32 v77, 0x7f, v36
	v_cmpx_ne_u32_e32 0x7f, v77
	s_cbranch_execz .LBB348_897
; %bb.894:                              ;   in Loop: Header=BB348_16 Depth=1
	v_and_b32_e32 v7, 7, v36
	v_mov_b32_e32 v34, v8
	v_lshrrev_b32_e32 v34, 3, v77
	s_mov_b32 s24, exec_lo
	s_delay_alu instid0(VALU_DEP_3)
	v_mov_b32_e32 v33, v7
	v_cmpx_gt_u32_e32 8, v77
; %bb.895:                              ;   in Loop: Header=BB348_16 Depth=1
	v_clz_i32_u32_e32 v33, v7
	s_delay_alu instid0(VALU_DEP_1) | instskip(NEXT) | instid1(VALU_DEP_1)
	v_min_u32_e32 v77, 32, v33
	v_subrev_nc_u32_e32 v33, 28, v77
	s_delay_alu instid0(VALU_DEP_1) | instskip(SKIP_1) | instid1(VALU_DEP_2)
	v_lshlrev_b64 v[33:34], v33, v[7:8]
	v_sub_nc_u32_e32 v34, 29, v77
	v_and_b32_e32 v33, 7, v33
; %bb.896:                              ;   in Loop: Header=BB348_16 Depth=1
	s_or_b32 exec_lo, exec_lo, s24
	v_lshlrev_b32_e32 v7, 8, v36
	s_delay_alu instid0(VALU_DEP_3) | instskip(NEXT) | instid1(VALU_DEP_1)
	v_lshl_add_u32 v34, v34, 10, 0x2000
	v_and_or_b32 v7, 0x8000, v7, v34
	s_delay_alu instid0(VALU_DEP_1) | instskip(NEXT) | instid1(VALU_DEP_1)
	v_lshl_or_b32 v7, v33, 7, v7
	v_cvt_f32_f16_e64 v157, v7
.LBB348_897:                            ;   in Loop: Header=BB348_16 Depth=1
	s_or_b32 exec_lo, exec_lo, s23
.LBB348_898:                            ;   in Loop: Header=BB348_16 Depth=1
	s_delay_alu instid0(SALU_CYCLE_1)
	s_or_b32 exec_lo, exec_lo, s22
.LBB348_899:                            ;   in Loop: Header=BB348_16 Depth=1
	s_delay_alu instid0(SALU_CYCLE_1) | instskip(SKIP_3) | instid1(VALU_DEP_2)
	s_or_b32 exec_lo, exec_lo, s21
	v_lshrrev_b32_e32 v36, 16, v32
	v_mov_b32_e32 v33, 0
	s_mov_b32 s21, exec_lo
	v_dual_mov_b32 v158, 0 :: v_dual_and_b32 v7, 0xff, v36
	s_delay_alu instid0(VALU_DEP_1)
	v_cmpx_ne_u16_e32 0, v7
	s_cbranch_execz .LBB348_907
; %bb.900:                              ;   in Loop: Header=BB348_16 Depth=1
	v_bfrev_b32_e32 v33, 1
	s_mov_b32 s22, exec_lo
	v_cmpx_ne_u16_e32 0x80, v7
	s_cbranch_execz .LBB348_906
; %bb.901:                              ;   in Loop: Header=BB348_16 Depth=1
	v_bfe_u32 v88, v32, 16, 7
	v_mov_b32_e32 v33, 0x7fc02000
	s_mov_b32 s23, exec_lo
	s_delay_alu instid0(VALU_DEP_2)
	v_cmpx_ne_u32_e32 0x7f, v88
	s_cbranch_execz .LBB348_905
; %bb.902:                              ;   in Loop: Header=BB348_16 Depth=1
	v_and_b32_e32 v7, 7, v36
	v_lshrrev_b32_e32 v77, 3, v88
	v_mov_b32_e32 v34, v8
	s_mov_b32 s24, exec_lo
	s_delay_alu instid0(VALU_DEP_3)
	v_mov_b32_e32 v33, v7
	v_cmpx_gt_u32_e32 8, v88
; %bb.903:                              ;   in Loop: Header=BB348_16 Depth=1
	v_clz_i32_u32_e32 v33, v7
	s_delay_alu instid0(VALU_DEP_1) | instskip(NEXT) | instid1(VALU_DEP_1)
	v_min_u32_e32 v77, 32, v33
	v_subrev_nc_u32_e32 v33, 28, v77
	v_sub_nc_u32_e32 v77, 29, v77
	s_delay_alu instid0(VALU_DEP_2) | instskip(NEXT) | instid1(VALU_DEP_1)
	v_lshlrev_b64 v[33:34], v33, v[7:8]
	v_and_b32_e32 v33, 7, v33
; %bb.904:                              ;   in Loop: Header=BB348_16 Depth=1
	s_or_b32 exec_lo, exec_lo, s24
	v_lshlrev_b32_e32 v7, 8, v36
	v_lshl_add_u32 v34, v77, 10, 0x2000
	s_delay_alu instid0(VALU_DEP_1) | instskip(NEXT) | instid1(VALU_DEP_1)
	v_and_or_b32 v7, 0x8000, v7, v34
	v_lshl_or_b32 v7, v33, 7, v7
	s_delay_alu instid0(VALU_DEP_1)
	v_cvt_f32_f16_e32 v33, v7
.LBB348_905:                            ;   in Loop: Header=BB348_16 Depth=1
	s_or_b32 exec_lo, exec_lo, s23
.LBB348_906:                            ;   in Loop: Header=BB348_16 Depth=1
	s_delay_alu instid0(SALU_CYCLE_1)
	s_or_b32 exec_lo, exec_lo, s22
.LBB348_907:                            ;   in Loop: Header=BB348_16 Depth=1
	s_delay_alu instid0(SALU_CYCLE_1) | instskip(NEXT) | instid1(SALU_CYCLE_1)
	s_or_b32 exec_lo, exec_lo, s21
	s_mov_b32 s21, exec_lo
	v_cmpx_lt_u64_e64 s[8:9], v[31:32]
	s_cbranch_execz .LBB348_14
; %bb.908:                              ;   in Loop: Header=BB348_16 Depth=1
	v_lshrrev_b32_e32 v34, 24, v32
	v_bfrev_b32_e32 v158, 1
	s_mov_b32 s22, exec_lo
	s_delay_alu instid0(VALU_DEP_2)
	v_cmpx_ne_u32_e32 0x80, v34
	s_cbranch_execz .LBB348_13
; %bb.909:                              ;   in Loop: Header=BB348_16 Depth=1
	v_and_b32_e32 v77, 0x7f, v34
	v_mov_b32_e32 v158, 0x7fc02000
	s_mov_b32 s23, exec_lo
	s_delay_alu instid0(VALU_DEP_2)
	v_cmpx_ne_u32_e32 0x7f, v77
	s_cbranch_execz .LBB348_12
; %bb.910:                              ;   in Loop: Header=BB348_16 Depth=1
	v_and_b32_e32 v7, 7, v34
	v_lshrrev_b32_e32 v36, 3, v77
	v_mov_b32_e32 v32, v8
	s_mov_b32 s24, exec_lo
	s_delay_alu instid0(VALU_DEP_3)
	v_mov_b32_e32 v31, v7
	v_cmpx_gt_u32_e32 8, v77
	s_cbranch_execz .LBB348_11
; %bb.911:                              ;   in Loop: Header=BB348_16 Depth=1
	v_clz_i32_u32_e32 v31, v7
	s_delay_alu instid0(VALU_DEP_1) | instskip(NEXT) | instid1(VALU_DEP_1)
	v_min_u32_e32 v36, 32, v31
	v_subrev_nc_u32_e32 v31, 28, v36
	v_sub_nc_u32_e32 v36, 29, v36
	s_delay_alu instid0(VALU_DEP_2) | instskip(NEXT) | instid1(VALU_DEP_1)
	v_lshlrev_b64 v[31:32], v31, v[7:8]
	v_and_b32_e32 v31, 7, v31
	s_branch .LBB348_11
.LBB348_912:
	s_or_b32 exec_lo, exec_lo, s20
.LBB348_913:
	s_delay_alu instid0(SALU_CYCLE_1) | instskip(SKIP_4) | instid1(VALU_DEP_2)
	s_or_b32 exec_lo, exec_lo, s19
	v_mbcnt_lo_u32_b32 v7, -1, 0
	s_waitcnt lgkmcnt(0)
	s_lshr_b32 s8, s18, 16
	v_max_f32_e32 v20, v67, v67
	v_xor_b32_e32 v8, 16, v7
	v_xor_b32_e32 v13, 8, v7
	;; [unrolled: 1-line block ×4, first 2 shown]
	s_delay_alu instid0(VALU_DEP_4) | instskip(SKIP_4) | instid1(VALU_DEP_2)
	v_cmp_gt_i32_e32 vcc_lo, 32, v8
	v_cndmask_b32_e32 v8, v7, v8, vcc_lo
	v_cmp_gt_i32_e32 vcc_lo, 32, v13
	v_cndmask_b32_e32 v13, v7, v13, vcc_lo
	v_cmp_gt_i32_e32 vcc_lo, 32, v21
	v_lshlrev_b32_e32 v13, 2, v13
	v_lshlrev_b32_e32 v9, 2, v8
	v_cndmask_b32_e32 v21, v7, v21, vcc_lo
	ds_bpermute_b32 v8, v9, v67
	v_lshlrev_b32_e32 v24, 2, v21
	v_xor_b32_e32 v21, 2, v7
	s_delay_alu instid0(VALU_DEP_1) | instskip(SKIP_2) | instid1(VALU_DEP_2)
	v_cmp_gt_i32_e32 vcc_lo, 32, v21
	v_cndmask_b32_e32 v21, v7, v21, vcc_lo
	v_cmp_gt_i32_e32 vcc_lo, 32, v25
	v_lshlrev_b32_e32 v21, 2, v21
	v_cndmask_b32_e32 v25, v7, v25, vcc_lo
	v_cmp_eq_u32_e32 vcc_lo, 0, v48
	s_waitcnt lgkmcnt(0)
	v_max_f32_e32 v8, v8, v8
	s_delay_alu instid0(VALU_DEP_1) | instskip(SKIP_3) | instid1(VALU_DEP_1)
	v_max_f32_e32 v8, v20, v8
	ds_bpermute_b32 v20, v13, v8
	s_waitcnt lgkmcnt(0)
	v_max_f32_e32 v20, v20, v20
	v_max_f32_e32 v8, v8, v20
	ds_bpermute_b32 v20, v24, v8
	s_waitcnt lgkmcnt(0)
	v_max_f32_e32 v20, v20, v20
	s_delay_alu instid0(VALU_DEP_1) | instskip(SKIP_3) | instid1(VALU_DEP_1)
	v_max_f32_e32 v8, v8, v20
	ds_bpermute_b32 v20, v21, v8
	s_waitcnt lgkmcnt(0)
	v_max_f32_e32 v20, v20, v20
	v_dual_max_f32 v7, v8, v20 :: v_dual_lshlrev_b32 v20, 2, v25
	v_lshlrev_b32_e32 v25, 2, v39
	ds_bpermute_b32 v8, v20, v7
	s_and_saveexec_b32 s1, vcc_lo
	s_cbranch_execz .LBB348_915
; %bb.914:
	s_waitcnt lgkmcnt(0)
	v_dual_max_f32 v8, v8, v8 :: v_dual_max_f32 v7, v7, v7
	s_delay_alu instid0(VALU_DEP_1)
	v_max_f32_e32 v7, v7, v8
	ds_store_b32 v25, v7 offset:224
.LBB348_915:
	s_or_b32 exec_lo, exec_lo, s1
	v_cmp_gt_u32_e64 s1, 4, v48
	v_mov_b32_e32 v7, 0xff7fffff
	s_waitcnt lgkmcnt(0)
	s_barrier
	buffer_gl0_inv
	s_and_saveexec_b32 s2, s1
	s_cbranch_execz .LBB348_917
; %bb.916:
	ds_load_b32 v7, v66 offset:224
.LBB348_917:
	s_or_b32 exec_lo, exec_lo, s2
	s_waitcnt lgkmcnt(0)
	ds_bpermute_b32 v8, v21, v7
	v_max_f32_e32 v7, v7, v7
	v_subrev_nc_u32_e32 v29, s13, v52
	v_mov_b32_e32 v28, 0
	s_waitcnt lgkmcnt(0)
	v_max_f32_e32 v8, v8, v8
	s_delay_alu instid0(VALU_DEP_1) | instskip(SKIP_3) | instid1(VALU_DEP_1)
	v_max_f32_e32 v7, v7, v8
	ds_bpermute_b32 v8, v20, v7
	s_waitcnt lgkmcnt(0)
	v_max_f32_e32 v8, v8, v8
	v_max_f32_e32 v7, v7, v8
	v_lshl_add_u32 v8, v29, 5, s3
	ds_bpermute_b32 v7, v28, v7
	v_min_i32_e32 v8, v8, v38
	s_delay_alu instid0(VALU_DEP_1) | instskip(NEXT) | instid1(VALU_DEP_1)
	v_subrev_nc_u32_e32 v8, s3, v8
	v_cmp_lt_i32_e64 s2, v37, v8
	s_delay_alu instid0(VALU_DEP_1)
	s_and_saveexec_b32 s9, s2
	s_cbranch_execz .LBB348_921
; %bb.918:
	s_getpc_b64 s[16:17]
	s_add_u32 s16, s16, llvm.amdgcn.dynlds.offset.table@rel32@lo+4
	s_addc_u32 s17, s17, llvm.amdgcn.dynlds.offset.table@rel32@hi+12
	s_ashr_i32 s7, s6, 31
	v_dual_mov_b32 v28, 0 :: v_dual_mov_b32 v31, v37
	s_lshl_b64 s[18:19], s[6:7], 2
	s_mov_b32 s7, 0
	s_add_u32 s16, s18, s16
	s_addc_u32 s17, s19, s17
	s_load_b32 s3, s[16:17], 0x0
	s_waitcnt lgkmcnt(0)
	v_lshl_add_u32 v29, v37, 2, s3
	.p2align	6
.LBB348_919:                            ; =>This Inner Loop Header: Depth=1
	ds_load_b32 v32, v29
	s_waitcnt lgkmcnt(0)
	v_sub_f32_e32 v32, v32, v7
	s_delay_alu instid0(VALU_DEP_1) | instskip(NEXT) | instid1(VALU_DEP_1)
	v_mul_f32_e32 v32, 0x3fb8aa3b, v32
	v_exp_f32_e32 v32, v32
	s_waitcnt_depctr 0xfff
	v_dual_add_f32 v28, v28, v32 :: v_dual_add_nc_u32 v31, 0x80, v31
	s_delay_alu instid0(VALU_DEP_1) | instskip(SKIP_3) | instid1(SALU_CYCLE_1)
	v_cmp_ge_i32_e64 s3, v31, v8
	ds_store_b32 v29, v32
	v_add_nc_u32_e32 v29, 0x200, v29
	s_or_b32 s7, s3, s7
	s_and_not1_b32 exec_lo, exec_lo, s7
	s_cbranch_execnz .LBB348_919
; %bb.920:
	s_or_b32 exec_lo, exec_lo, s7
.LBB348_921:
	s_delay_alu instid0(SALU_CYCLE_1)
	s_or_b32 exec_lo, exec_lo, s9
	ds_bpermute_b32 v9, v9, v28
	s_waitcnt lgkmcnt(0)
	v_add_f32_e32 v9, v28, v9
	ds_bpermute_b32 v13, v13, v9
	s_waitcnt lgkmcnt(0)
	v_add_f32_e32 v9, v9, v13
	;; [unrolled: 3-line block ×5, first 2 shown]
	s_and_saveexec_b32 s3, vcc_lo
	s_cbranch_execz .LBB348_923
; %bb.922:
	ds_store_b32 v25, v9 offset:240
.LBB348_923:
	s_or_b32 exec_lo, exec_lo, s3
	s_waitcnt lgkmcnt(0)
	s_barrier
	buffer_gl0_inv
	s_and_saveexec_b32 s3, s1
	s_cbranch_execz .LBB348_925
; %bb.924:
	ds_load_b32 v9, v66 offset:240
.LBB348_925:
	s_or_b32 exec_lo, exec_lo, s3
	s_waitcnt lgkmcnt(0)
	ds_bpermute_b32 v13, v21, v9
	s_waitcnt lgkmcnt(0)
	v_add_f32_e32 v9, v9, v13
	ds_bpermute_b32 v13, v20, v9
	s_waitcnt lgkmcnt(0)
	v_add_f32_e32 v9, v9, v13
	v_mov_b32_e32 v13, 0
	ds_bpermute_b32 v9, v13, v9
	s_and_saveexec_b32 s1, s2
	s_cbranch_execz .LBB348_928
; %bb.926:
	s_waitcnt lgkmcnt(0)
	v_add_f32_e32 v24, 0x358637bd, v9
	s_getpc_b64 s[2:3]
	s_add_u32 s2, s2, llvm.amdgcn.dynlds.offset.table@rel32@lo+4
	s_addc_u32 s3, s3, llvm.amdgcn.dynlds.offset.table@rel32@hi+12
	s_ashr_i32 s7, s6, 31
	s_delay_alu instid0(SALU_CYCLE_1) | instskip(SKIP_3) | instid1(VALU_DEP_2)
	s_lshl_b64 s[16:17], s[6:7], 2
	v_div_scale_f32 v13, null, v24, v24, 1.0
	v_div_scale_f32 v29, vcc_lo, 1.0, v24, 1.0
	s_add_u32 s2, s16, s2
	v_rcp_f32_e32 v25, v13
	s_addc_u32 s3, s17, s3
	s_load_b32 s2, s[2:3], 0x0
	s_waitcnt_depctr 0xfff
	v_fma_f32 v28, -v13, v25, 1.0
	s_delay_alu instid0(VALU_DEP_1) | instskip(NEXT) | instid1(VALU_DEP_1)
	v_fmac_f32_e32 v25, v28, v25
	v_mul_f32_e32 v28, v29, v25
	s_delay_alu instid0(VALU_DEP_1) | instskip(NEXT) | instid1(VALU_DEP_1)
	v_fma_f32 v31, -v13, v28, v29
	v_fmac_f32_e32 v28, v31, v25
	s_delay_alu instid0(VALU_DEP_1) | instskip(NEXT) | instid1(VALU_DEP_1)
	v_fma_f32 v13, -v13, v28, v29
	v_div_fmas_f32 v25, v13, v25, v28
	s_waitcnt lgkmcnt(0)
	v_lshl_add_u32 v13, v37, 2, s2
	s_mov_b32 s2, 0
	s_delay_alu instid0(VALU_DEP_2)
	v_div_fixup_f32 v24, v25, v24, 1.0
	v_mov_b32_e32 v25, v37
.LBB348_927:                            ; =>This Inner Loop Header: Depth=1
	ds_load_b32 v28, v13
	s_waitcnt lgkmcnt(0)
	v_dual_mul_f32 v28, v24, v28 :: v_dual_add_nc_u32 v25, 0x80, v25
	s_delay_alu instid0(VALU_DEP_1) | instskip(SKIP_3) | instid1(SALU_CYCLE_1)
	v_cmp_ge_i32_e32 vcc_lo, v25, v8
	ds_store_b32 v13, v28
	v_add_nc_u32_e32 v13, 0x200, v13
	s_or_b32 s2, vcc_lo, s2
	s_and_not1_b32 exec_lo, exec_lo, s2
	s_cbranch_execnz .LBB348_927
.LBB348_928:
	s_or_b32 exec_lo, exec_lo, s1
	v_cmp_ne_u16_e64 s1, s8, 0
	s_waitcnt lgkmcnt(0)
	s_barrier
	buffer_gl0_inv
	s_cmp_lg_u32 s1, 0
	s_addc_u32 s1, s5, 0
	s_mov_b32 s5, exec_lo
	s_mul_i32 s2, s1, s10
	s_delay_alu instid0(SALU_CYCLE_1)
	s_mul_i32 s2, s2, s15
	v_cmpx_eq_u32_e32 0, v37
	s_cbranch_execz .LBB348_930
; %bb.929:
	s_mul_i32 s8, s1, s12
	s_ashr_i32 s15, s14, 31
	s_ashr_i32 s9, s8, 31
	;; [unrolled: 1-line block ×3, first 2 shown]
	s_lshl_b64 s[8:9], s[8:9], 2
	s_lshl_b64 s[12:13], s[14:15], 2
	;; [unrolled: 1-line block ×3, first 2 shown]
	s_add_u32 s3, s12, s8
	s_addc_u32 s7, s13, s9
	s_add_u32 s3, s3, s16
	s_addc_u32 s7, s7, s17
	v_add_co_u32 v2, vcc_lo, s3, v2
	v_add_co_ci_u32_e32 v3, vcc_lo, s7, v3, vcc_lo
	v_add_co_u32 v0, vcc_lo, s3, v0
	v_add_co_ci_u32_e32 v1, vcc_lo, s7, v1, vcc_lo
	flat_store_b32 v[2:3], v7
	flat_store_b32 v[0:1], v9
.LBB348_930:
	s_or_b32 exec_lo, exec_lo, s5
	s_ashr_i32 s7, s6, 31
	s_getpc_b64 s[8:9]
	s_add_u32 s8, s8, llvm.amdgcn.dynlds.offset.table@rel32@lo+4
	s_addc_u32 s9, s9, llvm.amdgcn.dynlds.offset.table@rel32@hi+12
	s_lshl_b64 s[6:7], s[6:7], 2
	v_dual_mov_b32 v68, 0 :: v_dual_mov_b32 v69, 0
	v_dual_mov_b32 v67, 0 :: v_dual_and_b32 v24, 3, v37
	v_dual_mov_b32 v66, 0 :: v_dual_mov_b32 v65, 0
	v_dual_mov_b32 v36, 0 :: v_dual_mov_b32 v35, 0
	;; [unrolled: 1-line block ×5, first 2 shown]
	v_mov_b32_e32 v25, 0
	s_add_u32 s6, s6, s8
	s_addc_u32 s7, s7, s9
	s_mov_b32 s5, 0
	s_and_saveexec_b32 s3, s0
	s_cbranch_execz .LBB348_1860
; %bb.931:
	v_max_i32_e32 v30, v30, v55
	v_add_co_u32 v7, vcc_lo, v10, v12
	v_add_co_ci_u32_e32 v8, vcc_lo, v11, v64, vcc_lo
	s_delay_alu instid0(VALU_DEP_3)
	v_cvt_f32_u32_e32 v1, v30
	v_sub_nc_u32_e32 v11, 0, v30
	s_load_b32 s0, s[6:7], 0x0
	v_lshlrev_b32_e32 v0, 3, v37
	v_lshlrev_b64 v[2:3], 2, v[16:17]
	v_rcp_iflag_f32_e32 v9, v1
	v_dual_mov_b32 v1, 0 :: v_dual_mov_b32 v28, 0
	v_dual_mov_b32 v25, 0 :: v_dual_lshlrev_b32 v10, 5, v24
	v_mov_b32_e32 v35, 0
	v_dual_mov_b32 v66, 0 :: v_dual_and_b32 v17, 24, v0
	v_and_b32_e32 v0, 0xf8, v0
	v_add_co_u32 v12, vcc_lo, v18, v2
	s_delay_alu instid0(TRANS32_DEP_1) | instskip(SKIP_3) | instid1(VALU_DEP_4)
	v_mul_f32_e32 v9, 0x4f7ffffe, v9
	v_add_co_ci_u32_e32 v13, vcc_lo, v19, v3, vcc_lo
	v_lshl_or_b32 v10, v39, 7, v10
	v_add_co_u32 v2, vcc_lo, v7, v0
	v_cvt_u32_f32_e32 v9, v9
	v_add_co_ci_u32_e32 v3, vcc_lo, 0, v8, vcc_lo
	v_add_co_u32 v7, vcc_lo, v14, v12
	s_delay_alu instid0(VALU_DEP_3)
	v_mul_lo_u32 v11, v11, v9
	v_dual_mov_b32 v55, v38 :: v_dual_add_nc_u32 v54, -1, v54
	v_dual_mov_b32 v29, 0 :: v_dual_mov_b32 v32, 0
	v_dual_mov_b32 v31, 0 :: v_dual_mov_b32 v34, 0
	;; [unrolled: 1-line block ×3, first 2 shown]
	v_mul_hi_u32 v11, v9, v11
	v_add_co_ci_u32_e32 v8, vcc_lo, v15, v13, vcc_lo
	s_waitcnt lgkmcnt(0)
	v_dual_mov_b32 v68, 0 :: v_dual_add_nc_u32 v15, s0, v10
	v_mov_b32_e32 v65, 0
	v_mov_b32_e32 v67, 0
	v_dual_mov_b32 v69, 0 :: v_dual_add_nc_u32 v18, v9, v11
	s_mov_b32 s8, -1
	s_mov_b32 s9, 0xffffff
	s_branch .LBB348_934
.LBB348_932:                            ;   in Loop: Header=BB348_934 Depth=1
	s_or_b32 exec_lo, exec_lo, s0
	v_dual_add_f32 v12, v13, v14 :: v_dual_add_f32 v13, v134, v135
	v_dual_add_f32 v14, v132, v133 :: v_dual_add_f32 v19, v130, v131
	;;#ASMSTART
	v_pk_mul_f16 v11, v96, v11;

	;;#ASMEND
	s_delay_alu instid0(VALU_DEP_2)
	v_dual_add_f32 v28, v28, v12 :: v_dual_add_f32 v29, v29, v13
	v_dual_add_f32 v12, v128, v129 :: v_dual_add_f32 v13, v118, v119
	;;#ASMSTART
	v_pk_mul_f16 v10, v86, v10;

	;;#ASMEND
	;;#ASMSTART
	v_pk_mul_f16 v0, v85, v0;

	;;#ASMEND
	;; [unrolled: 4-line block ×3, first 2 shown]
	;;#ASMSTART
	v_pk_add_f16 v10, v11, v10;

	;;#ASMEND
	;;#ASMSTART
	v_pk_add_f16 v0, v10, v0;

	;;#ASMEND
	;; [unrolled: 4-line block ×3, first 2 shown]
	v_dual_add_f32 v64, v112, v113 :: v_dual_add_f32 v33, v33, v12
	v_dual_add_f32 v12, v102, v103 :: v_dual_and_b32 v9, 0xffff, v0
	v_lshrrev_b32_e32 v0, 16, v0
	;;#ASMSTART
	v_cvt_f32_f16 v9, v9;
	;;#ASMEND
	;;#ASMSTART
	v_cvt_f32_f16 v0, v0;
	;;#ASMEND
	v_dual_add_f32 v31, v31, v14 :: v_dual_add_f32 v32, v32, v19
	v_dual_add_f32 v14, v116, v117 :: v_dual_add_f32 v19, v114, v115
	v_add_f32_e32 v34, v34, v13
	v_dual_add_f32 v10, v100, v101 :: v_dual_add_f32 v11, v98, v99
	v_dual_add_f32 v13, v81, v82 :: v_dual_add_f32 v66, v66, v12
	s_delay_alu instid0(VALU_DEP_2) | instskip(SKIP_2) | instid1(VALU_DEP_4)
	v_dual_add_f32 v0, v9, v0 :: v_dual_add_f32 v67, v67, v10
	v_dual_add_f32 v35, v35, v14 :: v_dual_add_f32 v36, v36, v19
	v_add_f32_e32 v65, v65, v64
	v_dual_add_f32 v69, v69, v11 :: v_dual_add_f32 v68, v68, v13
	s_delay_alu instid0(VALU_DEP_4)
	v_add_f32_e32 v25, v25, v0
.LBB348_933:                            ;   in Loop: Header=BB348_934 Depth=1
	s_or_b32 exec_lo, exec_lo, s10
	v_add_nc_u32_e32 v16, 4, v16
	v_add_co_u32 v7, s0, v7, 16
	s_delay_alu instid0(VALU_DEP_1) | instskip(NEXT) | instid1(VALU_DEP_3)
	v_add_co_ci_u32_e64 v8, s0, 0, v8, s0
	v_cmp_ge_i32_e32 vcc_lo, v16, v52
	v_add_nc_u32_e32 v23, 0x80, v23
	v_add_nc_u32_e32 v15, 0x200, v15
	s_or_b32 s5, vcc_lo, s5
	s_delay_alu instid0(SALU_CYCLE_1)
	s_and_not1_b32 exec_lo, exec_lo, s5
	s_cbranch_execz .LBB348_1859
.LBB348_934:                            ; =>This Inner Loop Header: Depth=1
	v_sub_nc_u32_e32 v0, 0, v23
	s_delay_alu instid0(VALU_DEP_1) | instskip(NEXT) | instid1(VALU_DEP_1)
	v_max_i32_e32 v0, v23, v0
	v_mul_hi_u32 v9, v0, v50
	s_delay_alu instid0(VALU_DEP_1) | instskip(NEXT) | instid1(VALU_DEP_1)
	v_mul_lo_u32 v10, v9, v49
	v_sub_nc_u32_e32 v0, v0, v10
	v_add_nc_u32_e32 v10, 1, v9
	s_delay_alu instid0(VALU_DEP_2) | instskip(SKIP_1) | instid1(VALU_DEP_2)
	v_sub_nc_u32_e32 v11, v0, v49
	v_cmp_ge_u32_e32 vcc_lo, v0, v49
	v_dual_cndmask_b32 v9, v9, v10 :: v_dual_cndmask_b32 v0, v0, v11
	v_ashrrev_i32_e32 v10, 31, v23
	s_delay_alu instid0(VALU_DEP_2) | instskip(NEXT) | instid1(VALU_DEP_3)
	v_add_nc_u32_e32 v11, 1, v9
	v_cmp_ge_u32_e32 vcc_lo, v0, v49
	s_delay_alu instid0(VALU_DEP_3) | instskip(NEXT) | instid1(VALU_DEP_3)
	v_xor_b32_e32 v10, v10, v51
	v_cndmask_b32_e32 v0, v9, v11, vcc_lo
	s_delay_alu instid0(VALU_DEP_1) | instskip(NEXT) | instid1(VALU_DEP_1)
	v_xor_b32_e32 v0, v0, v10
	v_sub_nc_u32_e32 v0, v0, v10
	s_delay_alu instid0(VALU_DEP_1) | instskip(SKIP_1) | instid1(VALU_DEP_2)
	v_add_nc_u32_e32 v9, v0, v6
	v_cmp_gt_i32_e64 s0, v0, v53
	v_sub_nc_u32_e32 v10, 0, v9
	s_delay_alu instid0(VALU_DEP_1) | instskip(NEXT) | instid1(VALU_DEP_1)
	v_max_i32_e32 v10, v9, v10
	v_mul_hi_u32 v11, v10, v18
	s_delay_alu instid0(VALU_DEP_1) | instskip(NEXT) | instid1(VALU_DEP_1)
	v_mul_lo_u32 v11, v11, v30
	v_sub_nc_u32_e32 v10, v10, v11
	s_delay_alu instid0(VALU_DEP_1) | instskip(SKIP_1) | instid1(VALU_DEP_2)
	v_sub_nc_u32_e32 v11, v10, v30
	v_cmp_ge_u32_e32 vcc_lo, v10, v30
	v_cndmask_b32_e32 v10, v10, v11, vcc_lo
	v_ashrrev_i32_e32 v9, 31, v9
	s_delay_alu instid0(VALU_DEP_2) | instskip(SKIP_1) | instid1(VALU_DEP_2)
	v_sub_nc_u32_e32 v11, v10, v30
	v_cmp_ge_u32_e32 vcc_lo, v10, v30
	v_cndmask_b32_e32 v10, v10, v11, vcc_lo
	s_delay_alu instid0(VALU_DEP_1) | instskip(NEXT) | instid1(VALU_DEP_1)
	v_xor_b32_e32 v10, v10, v9
	v_sub_nc_u32_e32 v9, v10, v9
	s_delay_alu instid0(VALU_DEP_1) | instskip(SKIP_1) | instid1(SALU_CYCLE_1)
	v_cmp_eq_u32_e32 vcc_lo, 0, v9
	s_or_b32 s0, vcc_lo, s0
	s_and_saveexec_b32 s10, s0
	s_cbranch_execz .LBB348_933
; %bb.935:                              ;   in Loop: Header=BB348_934 Depth=1
	flat_load_b32 v0, v[7:8]
	ds_load_2addr_b64 v[10:13], v15 offset1:1
	ds_load_2addr_b64 v[97:100], v15 offset0:2 offset1:3
	v_mov_b32_e32 v70, 0
	s_mov_b32 s0, exec_lo
	s_waitcnt lgkmcnt(1)
	;;#ASMSTART
	v_cvt_f16_f32 v81, v10;

	;;#ASMEND
	;;#ASMSTART
	v_cvt_f16_f32 v82, v11;

	;;#ASMEND
	;; [unrolled: 4-line block ×4, first 2 shown]
	s_waitcnt lgkmcnt(0)
	;;#ASMSTART
	v_cvt_f16_f32 v96, v97;

	;;#ASMEND
	;;#ASMSTART
	v_cvt_f16_f32 v85, v98;

	;;#ASMEND
	;; [unrolled: 4-line block ×4, first 2 shown]
	v_mov_b32_e32 v19, 0
	s_waitcnt vmcnt(0)
	v_mad_i64_i32 v[9:10], null, v0, v22, v[2:3]
	flat_load_b64 v[11:12], v[9:10]
	flat_load_b32 v64, v[26:27]
	s_waitcnt vmcnt(1) lgkmcnt(1)
	v_and_b32_e32 v0, 0xff, v11
	s_delay_alu instid0(VALU_DEP_1)
	v_cmpx_ne_u16_e32 0, v0
	s_cbranch_execz .LBB348_943
; %bb.936:                              ;   in Loop: Header=BB348_934 Depth=1
	v_bfrev_b32_e32 v70, 1
	s_mov_b32 s12, exec_lo
	v_cmpx_ne_u16_e32 0x80, v0
	s_cbranch_execz .LBB348_942
; %bb.937:                              ;   in Loop: Header=BB348_934 Depth=1
	v_and_b32_e32 v13, 0x7f, v11
	v_mov_b32_e32 v70, 0x7fc02000
	s_mov_b32 s13, exec_lo
	s_delay_alu instid0(VALU_DEP_2)
	v_cmpx_ne_u32_e32 0x7f, v13
	s_cbranch_execz .LBB348_941
; %bb.938:                              ;   in Loop: Header=BB348_934 Depth=1
	v_lshrrev_b32_e32 v0, 3, v13
	v_cmp_gt_u32_e32 vcc_lo, 8, v13
	v_dual_mov_b32 v14, v12 :: v_dual_mov_b32 v13, v11
	s_and_saveexec_b32 s15, vcc_lo
; %bb.939:                              ;   in Loop: Header=BB348_934 Depth=1
	v_and_b32_e32 v0, 7, v11
	s_delay_alu instid0(VALU_DEP_1) | instskip(NEXT) | instid1(VALU_DEP_1)
	v_clz_i32_u32_e32 v0, v0
	v_min_u32_e32 v0, 32, v0
	s_delay_alu instid0(VALU_DEP_1) | instskip(SKIP_1) | instid1(VALU_DEP_2)
	v_subrev_nc_u32_e32 v13, 28, v0
	v_sub_nc_u32_e32 v0, 29, v0
	v_lshlrev_b64 v[13:14], v13, v[11:12]
; %bb.940:                              ;   in Loop: Header=BB348_934 Depth=1
	s_or_b32 exec_lo, exec_lo, s15
	v_lshlrev_b32_e32 v14, 8, v11
	s_delay_alu instid0(VALU_DEP_3) | instskip(NEXT) | instid1(VALU_DEP_3)
	v_lshl_add_u32 v0, v0, 10, 0x2000
	v_lshlrev_b32_e32 v13, 7, v13
	s_delay_alu instid0(VALU_DEP_2) | instskip(NEXT) | instid1(VALU_DEP_1)
	v_and_or_b32 v0, 0x8000, v14, v0
	v_and_or_b32 v0, 0x380, v13, v0
	s_delay_alu instid0(VALU_DEP_1)
	v_cvt_f32_f16_e32 v70, v0
.LBB348_941:                            ;   in Loop: Header=BB348_934 Depth=1
	s_or_b32 exec_lo, exec_lo, s13
.LBB348_942:                            ;   in Loop: Header=BB348_934 Depth=1
	s_delay_alu instid0(SALU_CYCLE_1)
	s_or_b32 exec_lo, exec_lo, s12
.LBB348_943:                            ;   in Loop: Header=BB348_934 Depth=1
	s_delay_alu instid0(SALU_CYCLE_1) | instskip(SKIP_2) | instid1(VALU_DEP_1)
	s_or_b32 exec_lo, exec_lo, s0
	v_lshrrev_b16 v0, 8, v11
	s_mov_b32 s0, exec_lo
	v_cmpx_ne_u16_e32 0, v0
	s_cbranch_execz .LBB348_951
; %bb.944:                              ;   in Loop: Header=BB348_934 Depth=1
	v_bfrev_b32_e32 v19, 1
	s_mov_b32 s12, exec_lo
	v_cmpx_ne_u16_e32 0x80, v0
	s_cbranch_execz .LBB348_950
; %bb.945:                              ;   in Loop: Header=BB348_934 Depth=1
	v_and_b32_e32 v71, 0xffff, v0
	v_mov_b32_e32 v19, 0x7fc02000
	s_mov_b32 s13, exec_lo
	s_delay_alu instid0(VALU_DEP_2) | instskip(NEXT) | instid1(VALU_DEP_1)
	v_and_b32_e32 v13, 0x7f, v71
	v_cmpx_ne_u32_e32 0x7f, v13
	s_cbranch_execz .LBB348_949
; %bb.946:                              ;   in Loop: Header=BB348_934 Depth=1
	v_and_b32_e32 v0, 7, v71
	v_lshrrev_b32_e32 v19, 3, v13
	v_cmp_gt_u32_e32 vcc_lo, 8, v13
	s_delay_alu instid0(VALU_DEP_3)
	v_dual_mov_b32 v14, v1 :: v_dual_mov_b32 v13, v0
	s_and_saveexec_b32 s15, vcc_lo
; %bb.947:                              ;   in Loop: Header=BB348_934 Depth=1
	v_clz_i32_u32_e32 v13, v0
	s_delay_alu instid0(VALU_DEP_1) | instskip(NEXT) | instid1(VALU_DEP_1)
	v_min_u32_e32 v19, 32, v13
	v_subrev_nc_u32_e32 v13, 28, v19
	v_sub_nc_u32_e32 v19, 29, v19
	s_delay_alu instid0(VALU_DEP_2) | instskip(NEXT) | instid1(VALU_DEP_1)
	v_lshlrev_b64 v[13:14], v13, v[0:1]
	v_and_b32_e32 v13, 7, v13
; %bb.948:                              ;   in Loop: Header=BB348_934 Depth=1
	s_or_b32 exec_lo, exec_lo, s15
	v_lshlrev_b32_e32 v0, 8, v71
	v_lshl_add_u32 v14, v19, 10, 0x2000
	s_delay_alu instid0(VALU_DEP_1) | instskip(NEXT) | instid1(VALU_DEP_1)
	v_and_or_b32 v0, 0x8000, v0, v14
	v_lshl_or_b32 v0, v13, 7, v0
	s_delay_alu instid0(VALU_DEP_1)
	v_cvt_f32_f16_e32 v19, v0
.LBB348_949:                            ;   in Loop: Header=BB348_934 Depth=1
	s_or_b32 exec_lo, exec_lo, s13
.LBB348_950:                            ;   in Loop: Header=BB348_934 Depth=1
	s_delay_alu instid0(SALU_CYCLE_1)
	s_or_b32 exec_lo, exec_lo, s12
.LBB348_951:                            ;   in Loop: Header=BB348_934 Depth=1
	s_delay_alu instid0(SALU_CYCLE_1) | instskip(SKIP_3) | instid1(VALU_DEP_2)
	s_or_b32 exec_lo, exec_lo, s0
	v_lshrrev_b32_e32 v83, 16, v11
	v_mov_b32_e32 v80, 0
	s_mov_b32 s0, exec_lo
	v_dual_mov_b32 v71, 0 :: v_dual_and_b32 v0, 0xff, v83
	s_delay_alu instid0(VALU_DEP_1)
	v_cmpx_ne_u16_e32 0, v0
	s_cbranch_execz .LBB348_959
; %bb.952:                              ;   in Loop: Header=BB348_934 Depth=1
	v_bfrev_b32_e32 v71, 1
	s_mov_b32 s12, exec_lo
	v_cmpx_ne_u16_e32 0x80, v0
	s_cbranch_execz .LBB348_958
; %bb.953:                              ;   in Loop: Header=BB348_934 Depth=1
	v_bfe_u32 v13, v11, 16, 7
	v_mov_b32_e32 v71, 0x7fc02000
	s_mov_b32 s13, exec_lo
	s_delay_alu instid0(VALU_DEP_2)
	v_cmpx_ne_u32_e32 0x7f, v13
	s_cbranch_execz .LBB348_957
; %bb.954:                              ;   in Loop: Header=BB348_934 Depth=1
	v_and_b32_e32 v0, 7, v83
	v_lshrrev_b32_e32 v71, 3, v13
	v_cmp_gt_u32_e32 vcc_lo, 8, v13
	s_delay_alu instid0(VALU_DEP_3)
	v_dual_mov_b32 v14, v1 :: v_dual_mov_b32 v13, v0
	s_and_saveexec_b32 s15, vcc_lo
; %bb.955:                              ;   in Loop: Header=BB348_934 Depth=1
	v_clz_i32_u32_e32 v13, v0
	s_delay_alu instid0(VALU_DEP_1) | instskip(NEXT) | instid1(VALU_DEP_1)
	v_min_u32_e32 v71, 32, v13
	v_subrev_nc_u32_e32 v13, 28, v71
	v_sub_nc_u32_e32 v71, 29, v71
	s_delay_alu instid0(VALU_DEP_2) | instskip(NEXT) | instid1(VALU_DEP_1)
	v_lshlrev_b64 v[13:14], v13, v[0:1]
	v_and_b32_e32 v13, 7, v13
; %bb.956:                              ;   in Loop: Header=BB348_934 Depth=1
	s_or_b32 exec_lo, exec_lo, s15
	v_lshlrev_b32_e32 v0, 8, v83
	v_lshl_add_u32 v14, v71, 10, 0x2000
	s_delay_alu instid0(VALU_DEP_1) | instskip(NEXT) | instid1(VALU_DEP_1)
	v_and_or_b32 v0, 0x8000, v0, v14
	v_lshl_or_b32 v0, v13, 7, v0
	s_delay_alu instid0(VALU_DEP_1)
	v_cvt_f32_f16_e32 v71, v0
.LBB348_957:                            ;   in Loop: Header=BB348_934 Depth=1
	s_or_b32 exec_lo, exec_lo, s13
.LBB348_958:                            ;   in Loop: Header=BB348_934 Depth=1
	s_delay_alu instid0(SALU_CYCLE_1)
	s_or_b32 exec_lo, exec_lo, s12
.LBB348_959:                            ;   in Loop: Header=BB348_934 Depth=1
	s_delay_alu instid0(SALU_CYCLE_1) | instskip(NEXT) | instid1(SALU_CYCLE_1)
	s_or_b32 exec_lo, exec_lo, s0
	s_mov_b32 s0, exec_lo
	v_cmpx_lt_u32_e32 0xffffff, v11
	s_cbranch_execz .LBB348_967
; %bb.960:                              ;   in Loop: Header=BB348_934 Depth=1
	v_lshrrev_b32_e32 v83, 24, v11
	v_bfrev_b32_e32 v80, 1
	s_mov_b32 s12, exec_lo
	s_delay_alu instid0(VALU_DEP_2)
	v_cmpx_ne_u32_e32 0x80, v83
	s_cbranch_execz .LBB348_966
; %bb.961:                              ;   in Loop: Header=BB348_934 Depth=1
	v_and_b32_e32 v13, 0x7f, v83
	v_mov_b32_e32 v80, 0x7fc02000
	s_mov_b32 s13, exec_lo
	s_delay_alu instid0(VALU_DEP_2)
	v_cmpx_ne_u32_e32 0x7f, v13
	s_cbranch_execz .LBB348_965
; %bb.962:                              ;   in Loop: Header=BB348_934 Depth=1
	v_and_b32_e32 v0, 7, v83
	v_lshrrev_b32_e32 v80, 3, v13
	v_cmp_gt_u32_e32 vcc_lo, 8, v13
	s_delay_alu instid0(VALU_DEP_3)
	v_dual_mov_b32 v14, v1 :: v_dual_mov_b32 v13, v0
	s_and_saveexec_b32 s15, vcc_lo
; %bb.963:                              ;   in Loop: Header=BB348_934 Depth=1
	v_clz_i32_u32_e32 v13, v0
	s_delay_alu instid0(VALU_DEP_1) | instskip(NEXT) | instid1(VALU_DEP_1)
	v_min_u32_e32 v80, 32, v13
	v_subrev_nc_u32_e32 v13, 28, v80
	v_sub_nc_u32_e32 v80, 29, v80
	s_delay_alu instid0(VALU_DEP_2) | instskip(NEXT) | instid1(VALU_DEP_1)
	v_lshlrev_b64 v[13:14], v13, v[0:1]
	v_and_b32_e32 v13, 7, v13
; %bb.964:                              ;   in Loop: Header=BB348_934 Depth=1
	s_or_b32 exec_lo, exec_lo, s15
	v_lshlrev_b32_e32 v0, 8, v83
	v_lshl_add_u32 v14, v80, 10, 0x2000
	s_delay_alu instid0(VALU_DEP_1) | instskip(NEXT) | instid1(VALU_DEP_1)
	v_and_or_b32 v0, 0x8000, v0, v14
	v_lshl_or_b32 v0, v13, 7, v0
	s_delay_alu instid0(VALU_DEP_1)
	v_cvt_f32_f16_e32 v80, v0
.LBB348_965:                            ;   in Loop: Header=BB348_934 Depth=1
	s_or_b32 exec_lo, exec_lo, s13
.LBB348_966:                            ;   in Loop: Header=BB348_934 Depth=1
	s_delay_alu instid0(SALU_CYCLE_1)
	s_or_b32 exec_lo, exec_lo, s12
.LBB348_967:                            ;   in Loop: Header=BB348_934 Depth=1
	s_delay_alu instid0(SALU_CYCLE_1) | instskip(SKIP_4) | instid1(VALU_DEP_3)
	s_or_b32 exec_lo, exec_lo, s0
	v_dual_mov_b32 v0, v12 :: v_dual_and_b32 v13, 0xff, v12
	v_mov_b32_e32 v87, 0
	v_mov_b32_e32 v83, 0
	s_mov_b32 s0, exec_lo
	v_cmpx_ne_u16_e32 0, v13
	s_cbranch_execz .LBB348_975
; %bb.968:                              ;   in Loop: Header=BB348_934 Depth=1
	v_bfrev_b32_e32 v83, 1
	s_mov_b32 s12, exec_lo
	v_cmpx_ne_u16_e32 0x80, v13
	s_cbranch_execz .LBB348_974
; %bb.969:                              ;   in Loop: Header=BB348_934 Depth=1
	v_and_b32_e32 v13, 0x7f, v12
	v_mov_b32_e32 v83, 0x7fc02000
	s_mov_b32 s13, exec_lo
	s_delay_alu instid0(VALU_DEP_2)
	v_cmpx_ne_u32_e32 0x7f, v13
	s_cbranch_execz .LBB348_973
; %bb.970:                              ;   in Loop: Header=BB348_934 Depth=1
	v_lshrrev_b32_e32 v83, 3, v13
	v_cmp_gt_u32_e32 vcc_lo, 8, v13
	v_dual_mov_b32 v14, v1 :: v_dual_mov_b32 v13, v0
	s_and_saveexec_b32 s15, vcc_lo
; %bb.971:                              ;   in Loop: Header=BB348_934 Depth=1
	v_and_b32_e32 v13, 7, v12
	s_delay_alu instid0(VALU_DEP_1) | instskip(NEXT) | instid1(VALU_DEP_1)
	v_clz_i32_u32_e32 v13, v13
	v_min_u32_e32 v83, 32, v13
	s_delay_alu instid0(VALU_DEP_1) | instskip(SKIP_1) | instid1(VALU_DEP_2)
	v_subrev_nc_u32_e32 v13, 28, v83
	v_sub_nc_u32_e32 v83, 29, v83
	v_lshlrev_b64 v[13:14], v13, v[0:1]
; %bb.972:                              ;   in Loop: Header=BB348_934 Depth=1
	s_or_b32 exec_lo, exec_lo, s15
	v_lshlrev_b32_e32 v14, 8, v12
	s_delay_alu instid0(VALU_DEP_3) | instskip(NEXT) | instid1(VALU_DEP_3)
	v_lshl_add_u32 v83, v83, 10, 0x2000
	v_lshlrev_b32_e32 v13, 7, v13
	s_delay_alu instid0(VALU_DEP_2) | instskip(NEXT) | instid1(VALU_DEP_1)
	v_and_or_b32 v14, 0x8000, v14, v83
	v_and_or_b32 v13, 0x380, v13, v14
	s_delay_alu instid0(VALU_DEP_1)
	v_cvt_f32_f16_e32 v83, v13
.LBB348_973:                            ;   in Loop: Header=BB348_934 Depth=1
	s_or_b32 exec_lo, exec_lo, s13
.LBB348_974:                            ;   in Loop: Header=BB348_934 Depth=1
	s_delay_alu instid0(SALU_CYCLE_1)
	s_or_b32 exec_lo, exec_lo, s12
.LBB348_975:                            ;   in Loop: Header=BB348_934 Depth=1
	s_delay_alu instid0(SALU_CYCLE_1) | instskip(SKIP_2) | instid1(VALU_DEP_1)
	s_or_b32 exec_lo, exec_lo, s0
	v_lshrrev_b16 v0, 8, v0
	s_mov_b32 s0, exec_lo
	v_cmpx_ne_u16_e32 0, v0
	s_cbranch_execz .LBB348_983
; %bb.976:                              ;   in Loop: Header=BB348_934 Depth=1
	v_bfrev_b32_e32 v87, 1
	s_mov_b32 s12, exec_lo
	v_cmpx_ne_u16_e32 0x80, v0
	s_cbranch_execz .LBB348_982
; %bb.977:                              ;   in Loop: Header=BB348_934 Depth=1
	v_and_b32_e32 v97, 0xffff, v0
	v_mov_b32_e32 v87, 0x7fc02000
	s_mov_b32 s13, exec_lo
	s_delay_alu instid0(VALU_DEP_2) | instskip(NEXT) | instid1(VALU_DEP_1)
	v_and_b32_e32 v13, 0x7f, v97
	v_cmpx_ne_u32_e32 0x7f, v13
	s_cbranch_execz .LBB348_981
; %bb.978:                              ;   in Loop: Header=BB348_934 Depth=1
	v_and_b32_e32 v0, 7, v97
	v_lshrrev_b32_e32 v87, 3, v13
	v_cmp_gt_u32_e32 vcc_lo, 8, v13
	s_delay_alu instid0(VALU_DEP_3)
	v_dual_mov_b32 v14, v1 :: v_dual_mov_b32 v13, v0
	s_and_saveexec_b32 s15, vcc_lo
; %bb.979:                              ;   in Loop: Header=BB348_934 Depth=1
	v_clz_i32_u32_e32 v13, v0
	s_delay_alu instid0(VALU_DEP_1) | instskip(NEXT) | instid1(VALU_DEP_1)
	v_min_u32_e32 v87, 32, v13
	v_subrev_nc_u32_e32 v13, 28, v87
	v_sub_nc_u32_e32 v87, 29, v87
	s_delay_alu instid0(VALU_DEP_2) | instskip(NEXT) | instid1(VALU_DEP_1)
	v_lshlrev_b64 v[13:14], v13, v[0:1]
	v_and_b32_e32 v13, 7, v13
; %bb.980:                              ;   in Loop: Header=BB348_934 Depth=1
	s_or_b32 exec_lo, exec_lo, s15
	v_lshlrev_b32_e32 v0, 8, v97
	v_lshl_add_u32 v14, v87, 10, 0x2000
	s_delay_alu instid0(VALU_DEP_1) | instskip(NEXT) | instid1(VALU_DEP_1)
	v_and_or_b32 v0, 0x8000, v0, v14
	v_lshl_or_b32 v0, v13, 7, v0
	s_delay_alu instid0(VALU_DEP_1)
	v_cvt_f32_f16_e32 v87, v0
.LBB348_981:                            ;   in Loop: Header=BB348_934 Depth=1
	s_or_b32 exec_lo, exec_lo, s13
.LBB348_982:                            ;   in Loop: Header=BB348_934 Depth=1
	s_delay_alu instid0(SALU_CYCLE_1)
	s_or_b32 exec_lo, exec_lo, s12
.LBB348_983:                            ;   in Loop: Header=BB348_934 Depth=1
	s_delay_alu instid0(SALU_CYCLE_1) | instskip(SKIP_3) | instid1(VALU_DEP_2)
	s_or_b32 exec_lo, exec_lo, s0
	v_lshrrev_b32_e32 v100, 16, v12
	v_mov_b32_e32 v13, 0
	s_mov_b32 s0, exec_lo
	v_dual_mov_b32 v97, 0 :: v_dual_and_b32 v0, 0xff, v100
	s_delay_alu instid0(VALU_DEP_1)
	v_cmpx_ne_u16_e32 0, v0
	s_cbranch_execz .LBB348_991
; %bb.984:                              ;   in Loop: Header=BB348_934 Depth=1
	v_bfrev_b32_e32 v13, 1
	s_mov_b32 s12, exec_lo
	v_cmpx_ne_u16_e32 0x80, v0
	s_cbranch_execz .LBB348_990
; %bb.985:                              ;   in Loop: Header=BB348_934 Depth=1
	v_bfe_u32 v14, v12, 16, 7
	v_mov_b32_e32 v13, 0x7fc02000
	s_mov_b32 s13, exec_lo
	s_delay_alu instid0(VALU_DEP_2)
	v_cmpx_ne_u32_e32 0x7f, v14
	s_cbranch_execz .LBB348_989
; %bb.986:                              ;   in Loop: Header=BB348_934 Depth=1
	v_and_b32_e32 v0, 7, v100
	v_lshrrev_b32_e32 v101, 3, v14
	v_cmp_gt_u32_e32 vcc_lo, 8, v14
	s_delay_alu instid0(VALU_DEP_3)
	v_dual_mov_b32 v14, v1 :: v_dual_mov_b32 v13, v0
	s_and_saveexec_b32 s15, vcc_lo
; %bb.987:                              ;   in Loop: Header=BB348_934 Depth=1
	v_clz_i32_u32_e32 v13, v0
	s_delay_alu instid0(VALU_DEP_1) | instskip(NEXT) | instid1(VALU_DEP_1)
	v_min_u32_e32 v101, 32, v13
	v_subrev_nc_u32_e32 v13, 28, v101
	v_sub_nc_u32_e32 v101, 29, v101
	s_delay_alu instid0(VALU_DEP_2) | instskip(NEXT) | instid1(VALU_DEP_1)
	v_lshlrev_b64 v[13:14], v13, v[0:1]
	v_and_b32_e32 v13, 7, v13
; %bb.988:                              ;   in Loop: Header=BB348_934 Depth=1
	s_or_b32 exec_lo, exec_lo, s15
	v_lshlrev_b32_e32 v0, 8, v100
	v_lshl_add_u32 v14, v101, 10, 0x2000
	s_delay_alu instid0(VALU_DEP_1) | instskip(NEXT) | instid1(VALU_DEP_1)
	v_and_or_b32 v0, 0x8000, v0, v14
	v_lshl_or_b32 v0, v13, 7, v0
	s_delay_alu instid0(VALU_DEP_1)
	v_cvt_f32_f16_e32 v13, v0
.LBB348_989:                            ;   in Loop: Header=BB348_934 Depth=1
	s_or_b32 exec_lo, exec_lo, s13
.LBB348_990:                            ;   in Loop: Header=BB348_934 Depth=1
	s_delay_alu instid0(SALU_CYCLE_1)
	s_or_b32 exec_lo, exec_lo, s12
.LBB348_991:                            ;   in Loop: Header=BB348_934 Depth=1
	s_delay_alu instid0(SALU_CYCLE_1) | instskip(NEXT) | instid1(SALU_CYCLE_1)
	s_or_b32 exec_lo, exec_lo, s0
	s_mov_b32 s0, exec_lo
	v_cmpx_lt_u64_e64 s[8:9], v[11:12]
	s_cbranch_execz .LBB348_999
; %bb.992:                              ;   in Loop: Header=BB348_934 Depth=1
	v_lshrrev_b32_e32 v14, 24, v12
	v_bfrev_b32_e32 v97, 1
	s_mov_b32 s12, exec_lo
	s_delay_alu instid0(VALU_DEP_2)
	v_cmpx_ne_u32_e32 0x80, v14
	s_cbranch_execz .LBB348_998
; %bb.993:                              ;   in Loop: Header=BB348_934 Depth=1
	v_and_b32_e32 v11, 0x7f, v14
	v_mov_b32_e32 v97, 0x7fc02000
	s_mov_b32 s13, exec_lo
	s_delay_alu instid0(VALU_DEP_2)
	v_cmpx_ne_u32_e32 0x7f, v11
	s_cbranch_execz .LBB348_997
; %bb.994:                              ;   in Loop: Header=BB348_934 Depth=1
	v_and_b32_e32 v0, 7, v14
	v_lshrrev_b32_e32 v97, 3, v11
	v_cmp_gt_u32_e32 vcc_lo, 8, v11
	s_delay_alu instid0(VALU_DEP_3)
	v_dual_mov_b32 v12, v1 :: v_dual_mov_b32 v11, v0
	s_and_saveexec_b32 s15, vcc_lo
; %bb.995:                              ;   in Loop: Header=BB348_934 Depth=1
	v_clz_i32_u32_e32 v11, v0
	s_delay_alu instid0(VALU_DEP_1) | instskip(NEXT) | instid1(VALU_DEP_1)
	v_min_u32_e32 v97, 32, v11
	v_subrev_nc_u32_e32 v11, 28, v97
	v_sub_nc_u32_e32 v97, 29, v97
	s_delay_alu instid0(VALU_DEP_2) | instskip(NEXT) | instid1(VALU_DEP_1)
	v_lshlrev_b64 v[11:12], v11, v[0:1]
	v_and_b32_e32 v11, 7, v11
; %bb.996:                              ;   in Loop: Header=BB348_934 Depth=1
	s_or_b32 exec_lo, exec_lo, s15
	v_lshlrev_b32_e32 v0, 8, v14
	v_lshl_add_u32 v12, v97, 10, 0x2000
	s_delay_alu instid0(VALU_DEP_1) | instskip(NEXT) | instid1(VALU_DEP_1)
	v_and_or_b32 v0, 0x8000, v0, v12
	v_lshl_or_b32 v0, v11, 7, v0
	s_delay_alu instid0(VALU_DEP_1)
	v_cvt_f32_f16_e32 v97, v0
.LBB348_997:                            ;   in Loop: Header=BB348_934 Depth=1
	s_or_b32 exec_lo, exec_lo, s13
.LBB348_998:                            ;   in Loop: Header=BB348_934 Depth=1
	s_delay_alu instid0(SALU_CYCLE_1)
	s_or_b32 exec_lo, exec_lo, s12
.LBB348_999:                            ;   in Loop: Header=BB348_934 Depth=1
	s_delay_alu instid0(SALU_CYCLE_1)
	s_or_b32 exec_lo, exec_lo, s0
	s_waitcnt vmcnt(0) lgkmcnt(0)
	v_fma_mixlo_f16 v12, v64, v19, 0
	v_fma_mixlo_f16 v0, v64, v80, 0
	;; [unrolled: 1-line block ×5, first 2 shown]
	v_lshlrev_b32_e32 v14, 16, v12
	v_fma_mixlo_f16 v12, v64, v70, 0
	v_fma_mixlo_f16 v70, v64, v87, 0
	;; [unrolled: 1-line block ×3, first 2 shown]
	v_add_nc_u32_e32 v19, v17, v23
	v_lshlrev_b32_e32 v0, 16, v0
	v_and_b32_e32 v11, 0xffff, v11
	v_and_b32_e32 v64, 0xffff, v12
	v_lshlrev_b32_e32 v70, 16, v70
	v_and_b32_e32 v71, 0xffff, v71
	v_lshlrev_b32_e32 v80, 16, v80
	v_and_b32_e32 v83, 0xffff, v13
	v_cmp_eq_u32_e32 vcc_lo, v54, v16
	v_or_b32_e32 v12, v0, v11
	v_or_b32_e32 v14, v14, v64
	;; [unrolled: 1-line block ×4, first 2 shown]
	v_add_nc_u32_e32 v97, 1, v19
	v_or_b32_e32 v87, 3, v19
	v_or_b32_e32 v83, 2, v19
	;; [unrolled: 1-line block ×6, first 2 shown]
	s_and_saveexec_b32 s12, vcc_lo
	s_cbranch_execz .LBB348_1001
; %bb.1000:                             ;   in Loop: Header=BB348_934 Depth=1
	v_cmp_lt_i32_e64 s0, v19, v38
	v_lshrrev_b32_e32 v100, 16, v14
	v_lshrrev_b32_e32 v101, 16, v12
	;; [unrolled: 1-line block ×4, first 2 shown]
	v_cndmask_b32_e64 v14, 0, v14, s0
	v_cmp_lt_i32_e64 s0, v97, v55
	s_delay_alu instid0(VALU_DEP_1) | instskip(SKIP_1) | instid1(VALU_DEP_2)
	v_cndmask_b32_e64 v100, 0, v100, s0
	v_cmp_lt_i32_e64 s0, v87, v55
	v_perm_b32 v14, v100, v14, 0x5040100
	s_delay_alu instid0(VALU_DEP_2) | instskip(SKIP_1) | instid1(VALU_DEP_1)
	v_cndmask_b32_e64 v101, 0, v101, s0
	v_cmp_lt_i32_e64 s0, v83, v38
	v_cndmask_b32_e64 v12, 0, v12, s0
	v_cmp_lt_i32_e64 s0, v80, v55
	s_delay_alu instid0(VALU_DEP_2) | instskip(NEXT) | instid1(VALU_DEP_2)
	v_perm_b32 v12, v101, v12, 0x5040100
	v_cndmask_b32_e64 v102, 0, v102, s0
	v_cmp_lt_i32_e64 s0, v71, v38
	s_delay_alu instid0(VALU_DEP_1) | instskip(SKIP_1) | instid1(VALU_DEP_2)
	v_cndmask_b32_e64 v0, 0, v0, s0
	v_cmp_lt_i32_e64 s0, v70, v55
	v_perm_b32 v0, v102, v0, 0x5040100
	s_delay_alu instid0(VALU_DEP_2) | instskip(SKIP_1) | instid1(VALU_DEP_1)
	v_cndmask_b32_e64 v11, 0, v11, s0
	v_cmp_lt_i32_e64 s0, v64, v38
	v_cndmask_b32_e64 v13, 0, v13, s0
	s_delay_alu instid0(VALU_DEP_1)
	v_perm_b32 v11, v11, v13, 0x5040100
.LBB348_1001:                           ;   in Loop: Header=BB348_934 Depth=1
	s_or_b32 exec_lo, exec_lo, s12
	v_and_b32_e32 v13, 0xffff, v81
	v_and_b32_e32 v81, 0xffff, v86
	;; [unrolled: 1-line block ×4, first 2 shown]
	s_mov_b32 s12, exec_lo
	s_delay_alu instid0(VALU_DEP_3) | instskip(NEXT) | instid1(VALU_DEP_2)
	v_lshl_or_b32 v86, v84, 16, v81
	v_lshl_or_b32 v84, v98, 16, v99
	v_mov_b32_e32 v99, 0
	v_lshl_or_b32 v85, v85, 16, v100
	v_mov_b32_e32 v100, 0
	v_lshl_or_b32 v96, v82, 16, v13
	;;#ASMSTART
	v_pk_mul_f16 v13, v96, v14;

	;;#ASMEND
	;;#ASMSTART
	v_pk_mul_f16 v12, v86, v12;

	;;#ASMEND
	;; [unrolled: 4-line block ×4, first 2 shown]
	;;#ASMSTART
	v_pk_add_f16 v12, v13, v12;

	;;#ASMEND
	;;#ASMSTART
	v_pk_add_f16 v0, v12, v0;

	;;#ASMEND
	;; [unrolled: 4-line block ×3, first 2 shown]
	v_and_b32_e32 v11, 0xffff, v0
	v_lshrrev_b32_e32 v0, 16, v0
	;;#ASMSTART
	v_cvt_f32_f16 v81, v11;
	;;#ASMEND
	;;#ASMSTART
	v_cvt_f32_f16 v82, v0;
	;;#ASMEND
	flat_load_b64 v[11:12], v[9:10] offset:256
	flat_load_b32 v98, v[26:27]
	s_waitcnt vmcnt(1) lgkmcnt(1)
	v_and_b32_e32 v0, 0xff, v11
	s_delay_alu instid0(VALU_DEP_1)
	v_cmpx_ne_u16_e32 0, v0
	s_cbranch_execz .LBB348_1009
; %bb.1002:                             ;   in Loop: Header=BB348_934 Depth=1
	v_bfrev_b32_e32 v99, 1
	s_mov_b32 s13, exec_lo
	v_cmpx_ne_u16_e32 0x80, v0
	s_cbranch_execz .LBB348_1008
; %bb.1003:                             ;   in Loop: Header=BB348_934 Depth=1
	v_and_b32_e32 v13, 0x7f, v11
	v_mov_b32_e32 v99, 0x7fc02000
	s_mov_b32 s15, exec_lo
	s_delay_alu instid0(VALU_DEP_2)
	v_cmpx_ne_u32_e32 0x7f, v13
	s_cbranch_execz .LBB348_1007
; %bb.1004:                             ;   in Loop: Header=BB348_934 Depth=1
	v_lshrrev_b32_e32 v0, 3, v13
	v_cmp_gt_u32_e64 s0, 8, v13
	v_dual_mov_b32 v14, v12 :: v_dual_mov_b32 v13, v11
	s_delay_alu instid0(VALU_DEP_2)
	s_and_saveexec_b32 s16, s0
; %bb.1005:                             ;   in Loop: Header=BB348_934 Depth=1
	v_and_b32_e32 v0, 7, v11
	s_delay_alu instid0(VALU_DEP_1) | instskip(NEXT) | instid1(VALU_DEP_1)
	v_clz_i32_u32_e32 v0, v0
	v_min_u32_e32 v0, 32, v0
	s_delay_alu instid0(VALU_DEP_1) | instskip(SKIP_1) | instid1(VALU_DEP_2)
	v_subrev_nc_u32_e32 v13, 28, v0
	v_sub_nc_u32_e32 v0, 29, v0
	v_lshlrev_b64 v[13:14], v13, v[11:12]
; %bb.1006:                             ;   in Loop: Header=BB348_934 Depth=1
	s_or_b32 exec_lo, exec_lo, s16
	v_lshlrev_b32_e32 v14, 8, v11
	s_delay_alu instid0(VALU_DEP_3) | instskip(NEXT) | instid1(VALU_DEP_3)
	v_lshl_add_u32 v0, v0, 10, 0x2000
	v_lshlrev_b32_e32 v13, 7, v13
	s_delay_alu instid0(VALU_DEP_2) | instskip(NEXT) | instid1(VALU_DEP_1)
	v_and_or_b32 v0, 0x8000, v14, v0
	v_and_or_b32 v0, 0x380, v13, v0
	s_delay_alu instid0(VALU_DEP_1)
	v_cvt_f32_f16_e32 v99, v0
.LBB348_1007:                           ;   in Loop: Header=BB348_934 Depth=1
	s_or_b32 exec_lo, exec_lo, s15
.LBB348_1008:                           ;   in Loop: Header=BB348_934 Depth=1
	s_delay_alu instid0(SALU_CYCLE_1)
	s_or_b32 exec_lo, exec_lo, s13
.LBB348_1009:                           ;   in Loop: Header=BB348_934 Depth=1
	s_delay_alu instid0(SALU_CYCLE_1) | instskip(SKIP_2) | instid1(VALU_DEP_1)
	s_or_b32 exec_lo, exec_lo, s12
	v_lshrrev_b16 v0, 8, v11
	s_mov_b32 s12, exec_lo
	v_cmpx_ne_u16_e32 0, v0
	s_cbranch_execz .LBB348_1017
; %bb.1010:                             ;   in Loop: Header=BB348_934 Depth=1
	v_bfrev_b32_e32 v100, 1
	s_mov_b32 s13, exec_lo
	v_cmpx_ne_u16_e32 0x80, v0
	s_cbranch_execz .LBB348_1016
; %bb.1011:                             ;   in Loop: Header=BB348_934 Depth=1
	v_and_b32_e32 v101, 0xffff, v0
	v_mov_b32_e32 v100, 0x7fc02000
	s_mov_b32 s15, exec_lo
	s_delay_alu instid0(VALU_DEP_2) | instskip(NEXT) | instid1(VALU_DEP_1)
	v_and_b32_e32 v13, 0x7f, v101
	v_cmpx_ne_u32_e32 0x7f, v13
	s_cbranch_execz .LBB348_1015
; %bb.1012:                             ;   in Loop: Header=BB348_934 Depth=1
	v_and_b32_e32 v0, 7, v101
	v_lshrrev_b32_e32 v100, 3, v13
	v_cmp_gt_u32_e64 s0, 8, v13
	s_delay_alu instid0(VALU_DEP_3) | instskip(NEXT) | instid1(VALU_DEP_2)
	v_dual_mov_b32 v14, v1 :: v_dual_mov_b32 v13, v0
	s_and_saveexec_b32 s16, s0
; %bb.1013:                             ;   in Loop: Header=BB348_934 Depth=1
	v_clz_i32_u32_e32 v13, v0
	s_delay_alu instid0(VALU_DEP_1) | instskip(NEXT) | instid1(VALU_DEP_1)
	v_min_u32_e32 v100, 32, v13
	v_subrev_nc_u32_e32 v13, 28, v100
	v_sub_nc_u32_e32 v100, 29, v100
	s_delay_alu instid0(VALU_DEP_2) | instskip(NEXT) | instid1(VALU_DEP_1)
	v_lshlrev_b64 v[13:14], v13, v[0:1]
	v_and_b32_e32 v13, 7, v13
; %bb.1014:                             ;   in Loop: Header=BB348_934 Depth=1
	s_or_b32 exec_lo, exec_lo, s16
	v_lshlrev_b32_e32 v0, 8, v101
	v_lshl_add_u32 v14, v100, 10, 0x2000
	s_delay_alu instid0(VALU_DEP_1) | instskip(NEXT) | instid1(VALU_DEP_1)
	v_and_or_b32 v0, 0x8000, v0, v14
	v_lshl_or_b32 v0, v13, 7, v0
	s_delay_alu instid0(VALU_DEP_1)
	v_cvt_f32_f16_e32 v100, v0
.LBB348_1015:                           ;   in Loop: Header=BB348_934 Depth=1
	s_or_b32 exec_lo, exec_lo, s15
.LBB348_1016:                           ;   in Loop: Header=BB348_934 Depth=1
	s_delay_alu instid0(SALU_CYCLE_1)
	s_or_b32 exec_lo, exec_lo, s13
.LBB348_1017:                           ;   in Loop: Header=BB348_934 Depth=1
	s_delay_alu instid0(SALU_CYCLE_1) | instskip(SKIP_3) | instid1(VALU_DEP_2)
	s_or_b32 exec_lo, exec_lo, s12
	v_lshrrev_b32_e32 v103, 16, v11
	v_mov_b32_e32 v102, 0
	s_mov_b32 s12, exec_lo
	v_dual_mov_b32 v101, 0 :: v_dual_and_b32 v0, 0xff, v103
	s_delay_alu instid0(VALU_DEP_1)
	v_cmpx_ne_u16_e32 0, v0
	s_cbranch_execz .LBB348_1025
; %bb.1018:                             ;   in Loop: Header=BB348_934 Depth=1
	v_bfrev_b32_e32 v101, 1
	s_mov_b32 s13, exec_lo
	v_cmpx_ne_u16_e32 0x80, v0
	s_cbranch_execz .LBB348_1024
; %bb.1019:                             ;   in Loop: Header=BB348_934 Depth=1
	v_bfe_u32 v13, v11, 16, 7
	v_mov_b32_e32 v101, 0x7fc02000
	s_mov_b32 s15, exec_lo
	s_delay_alu instid0(VALU_DEP_2)
	v_cmpx_ne_u32_e32 0x7f, v13
	s_cbranch_execz .LBB348_1023
; %bb.1020:                             ;   in Loop: Header=BB348_934 Depth=1
	v_and_b32_e32 v0, 7, v103
	v_lshrrev_b32_e32 v101, 3, v13
	v_cmp_gt_u32_e64 s0, 8, v13
	s_delay_alu instid0(VALU_DEP_3) | instskip(NEXT) | instid1(VALU_DEP_2)
	v_dual_mov_b32 v14, v1 :: v_dual_mov_b32 v13, v0
	s_and_saveexec_b32 s16, s0
; %bb.1021:                             ;   in Loop: Header=BB348_934 Depth=1
	v_clz_i32_u32_e32 v13, v0
	s_delay_alu instid0(VALU_DEP_1) | instskip(NEXT) | instid1(VALU_DEP_1)
	v_min_u32_e32 v101, 32, v13
	v_subrev_nc_u32_e32 v13, 28, v101
	v_sub_nc_u32_e32 v101, 29, v101
	s_delay_alu instid0(VALU_DEP_2) | instskip(NEXT) | instid1(VALU_DEP_1)
	v_lshlrev_b64 v[13:14], v13, v[0:1]
	v_and_b32_e32 v13, 7, v13
; %bb.1022:                             ;   in Loop: Header=BB348_934 Depth=1
	s_or_b32 exec_lo, exec_lo, s16
	v_lshlrev_b32_e32 v0, 8, v103
	v_lshl_add_u32 v14, v101, 10, 0x2000
	s_delay_alu instid0(VALU_DEP_1) | instskip(NEXT) | instid1(VALU_DEP_1)
	v_and_or_b32 v0, 0x8000, v0, v14
	v_lshl_or_b32 v0, v13, 7, v0
	s_delay_alu instid0(VALU_DEP_1)
	v_cvt_f32_f16_e32 v101, v0
.LBB348_1023:                           ;   in Loop: Header=BB348_934 Depth=1
	s_or_b32 exec_lo, exec_lo, s15
.LBB348_1024:                           ;   in Loop: Header=BB348_934 Depth=1
	s_delay_alu instid0(SALU_CYCLE_1)
	s_or_b32 exec_lo, exec_lo, s13
.LBB348_1025:                           ;   in Loop: Header=BB348_934 Depth=1
	s_delay_alu instid0(SALU_CYCLE_1) | instskip(NEXT) | instid1(SALU_CYCLE_1)
	s_or_b32 exec_lo, exec_lo, s12
	s_mov_b32 s12, exec_lo
	v_cmpx_lt_u32_e32 0xffffff, v11
	s_cbranch_execz .LBB348_1033
; %bb.1026:                             ;   in Loop: Header=BB348_934 Depth=1
	v_lshrrev_b32_e32 v103, 24, v11
	v_bfrev_b32_e32 v102, 1
	s_mov_b32 s13, exec_lo
	s_delay_alu instid0(VALU_DEP_2)
	v_cmpx_ne_u32_e32 0x80, v103
	s_cbranch_execz .LBB348_1032
; %bb.1027:                             ;   in Loop: Header=BB348_934 Depth=1
	v_and_b32_e32 v13, 0x7f, v103
	v_mov_b32_e32 v102, 0x7fc02000
	s_mov_b32 s15, exec_lo
	s_delay_alu instid0(VALU_DEP_2)
	v_cmpx_ne_u32_e32 0x7f, v13
	s_cbranch_execz .LBB348_1031
; %bb.1028:                             ;   in Loop: Header=BB348_934 Depth=1
	v_and_b32_e32 v0, 7, v103
	v_lshrrev_b32_e32 v102, 3, v13
	v_cmp_gt_u32_e64 s0, 8, v13
	s_delay_alu instid0(VALU_DEP_3) | instskip(NEXT) | instid1(VALU_DEP_2)
	v_dual_mov_b32 v14, v1 :: v_dual_mov_b32 v13, v0
	s_and_saveexec_b32 s16, s0
; %bb.1029:                             ;   in Loop: Header=BB348_934 Depth=1
	v_clz_i32_u32_e32 v13, v0
	s_delay_alu instid0(VALU_DEP_1) | instskip(NEXT) | instid1(VALU_DEP_1)
	v_min_u32_e32 v102, 32, v13
	v_subrev_nc_u32_e32 v13, 28, v102
	v_sub_nc_u32_e32 v102, 29, v102
	s_delay_alu instid0(VALU_DEP_2) | instskip(NEXT) | instid1(VALU_DEP_1)
	v_lshlrev_b64 v[13:14], v13, v[0:1]
	v_and_b32_e32 v13, 7, v13
; %bb.1030:                             ;   in Loop: Header=BB348_934 Depth=1
	s_or_b32 exec_lo, exec_lo, s16
	v_lshlrev_b32_e32 v0, 8, v103
	v_lshl_add_u32 v14, v102, 10, 0x2000
	s_delay_alu instid0(VALU_DEP_1) | instskip(NEXT) | instid1(VALU_DEP_1)
	v_and_or_b32 v0, 0x8000, v0, v14
	v_lshl_or_b32 v0, v13, 7, v0
	s_delay_alu instid0(VALU_DEP_1)
	v_cvt_f32_f16_e32 v102, v0
.LBB348_1031:                           ;   in Loop: Header=BB348_934 Depth=1
	s_or_b32 exec_lo, exec_lo, s15
.LBB348_1032:                           ;   in Loop: Header=BB348_934 Depth=1
	s_delay_alu instid0(SALU_CYCLE_1)
	s_or_b32 exec_lo, exec_lo, s13
.LBB348_1033:                           ;   in Loop: Header=BB348_934 Depth=1
	s_delay_alu instid0(SALU_CYCLE_1) | instskip(SKIP_3) | instid1(VALU_DEP_2)
	s_or_b32 exec_lo, exec_lo, s12
	v_dual_mov_b32 v0, v12 :: v_dual_and_b32 v13, 0xff, v12
	v_dual_mov_b32 v112, 0 :: v_dual_mov_b32 v103, 0
	s_mov_b32 s12, exec_lo
	v_cmpx_ne_u16_e32 0, v13
	s_cbranch_execz .LBB348_1041
; %bb.1034:                             ;   in Loop: Header=BB348_934 Depth=1
	v_bfrev_b32_e32 v103, 1
	s_mov_b32 s13, exec_lo
	v_cmpx_ne_u16_e32 0x80, v13
	s_cbranch_execz .LBB348_1040
; %bb.1035:                             ;   in Loop: Header=BB348_934 Depth=1
	v_and_b32_e32 v13, 0x7f, v12
	v_mov_b32_e32 v103, 0x7fc02000
	s_mov_b32 s15, exec_lo
	s_delay_alu instid0(VALU_DEP_2)
	v_cmpx_ne_u32_e32 0x7f, v13
	s_cbranch_execz .LBB348_1039
; %bb.1036:                             ;   in Loop: Header=BB348_934 Depth=1
	v_lshrrev_b32_e32 v103, 3, v13
	v_cmp_gt_u32_e64 s0, 8, v13
	v_dual_mov_b32 v14, v1 :: v_dual_mov_b32 v13, v0
	s_delay_alu instid0(VALU_DEP_2)
	s_and_saveexec_b32 s16, s0
; %bb.1037:                             ;   in Loop: Header=BB348_934 Depth=1
	v_and_b32_e32 v13, 7, v12
	s_delay_alu instid0(VALU_DEP_1) | instskip(NEXT) | instid1(VALU_DEP_1)
	v_clz_i32_u32_e32 v13, v13
	v_min_u32_e32 v103, 32, v13
	s_delay_alu instid0(VALU_DEP_1) | instskip(SKIP_1) | instid1(VALU_DEP_2)
	v_subrev_nc_u32_e32 v13, 28, v103
	v_sub_nc_u32_e32 v103, 29, v103
	v_lshlrev_b64 v[13:14], v13, v[0:1]
; %bb.1038:                             ;   in Loop: Header=BB348_934 Depth=1
	s_or_b32 exec_lo, exec_lo, s16
	v_lshlrev_b32_e32 v14, 8, v12
	s_delay_alu instid0(VALU_DEP_3) | instskip(NEXT) | instid1(VALU_DEP_3)
	v_lshl_add_u32 v103, v103, 10, 0x2000
	v_lshlrev_b32_e32 v13, 7, v13
	s_delay_alu instid0(VALU_DEP_2) | instskip(NEXT) | instid1(VALU_DEP_1)
	v_and_or_b32 v14, 0x8000, v14, v103
	v_and_or_b32 v13, 0x380, v13, v14
	s_delay_alu instid0(VALU_DEP_1)
	v_cvt_f32_f16_e32 v103, v13
.LBB348_1039:                           ;   in Loop: Header=BB348_934 Depth=1
	s_or_b32 exec_lo, exec_lo, s15
.LBB348_1040:                           ;   in Loop: Header=BB348_934 Depth=1
	s_delay_alu instid0(SALU_CYCLE_1)
	s_or_b32 exec_lo, exec_lo, s13
.LBB348_1041:                           ;   in Loop: Header=BB348_934 Depth=1
	s_delay_alu instid0(SALU_CYCLE_1) | instskip(SKIP_2) | instid1(VALU_DEP_1)
	s_or_b32 exec_lo, exec_lo, s12
	v_lshrrev_b16 v0, 8, v0
	s_mov_b32 s12, exec_lo
	v_cmpx_ne_u16_e32 0, v0
	s_cbranch_execz .LBB348_1049
; %bb.1042:                             ;   in Loop: Header=BB348_934 Depth=1
	v_bfrev_b32_e32 v112, 1
	s_mov_b32 s13, exec_lo
	v_cmpx_ne_u16_e32 0x80, v0
	s_cbranch_execz .LBB348_1048
; %bb.1043:                             ;   in Loop: Header=BB348_934 Depth=1
	v_and_b32_e32 v113, 0xffff, v0
	v_mov_b32_e32 v112, 0x7fc02000
	s_mov_b32 s15, exec_lo
	s_delay_alu instid0(VALU_DEP_2) | instskip(NEXT) | instid1(VALU_DEP_1)
	v_and_b32_e32 v13, 0x7f, v113
	v_cmpx_ne_u32_e32 0x7f, v13
	s_cbranch_execz .LBB348_1047
; %bb.1044:                             ;   in Loop: Header=BB348_934 Depth=1
	v_and_b32_e32 v0, 7, v113
	v_lshrrev_b32_e32 v112, 3, v13
	v_cmp_gt_u32_e64 s0, 8, v13
	s_delay_alu instid0(VALU_DEP_3) | instskip(NEXT) | instid1(VALU_DEP_2)
	v_dual_mov_b32 v14, v1 :: v_dual_mov_b32 v13, v0
	s_and_saveexec_b32 s16, s0
; %bb.1045:                             ;   in Loop: Header=BB348_934 Depth=1
	v_clz_i32_u32_e32 v13, v0
	s_delay_alu instid0(VALU_DEP_1) | instskip(NEXT) | instid1(VALU_DEP_1)
	v_min_u32_e32 v112, 32, v13
	v_subrev_nc_u32_e32 v13, 28, v112
	v_sub_nc_u32_e32 v112, 29, v112
	s_delay_alu instid0(VALU_DEP_2) | instskip(NEXT) | instid1(VALU_DEP_1)
	v_lshlrev_b64 v[13:14], v13, v[0:1]
	v_and_b32_e32 v13, 7, v13
; %bb.1046:                             ;   in Loop: Header=BB348_934 Depth=1
	s_or_b32 exec_lo, exec_lo, s16
	v_lshlrev_b32_e32 v0, 8, v113
	v_lshl_add_u32 v14, v112, 10, 0x2000
	s_delay_alu instid0(VALU_DEP_1) | instskip(NEXT) | instid1(VALU_DEP_1)
	v_and_or_b32 v0, 0x8000, v0, v14
	v_lshl_or_b32 v0, v13, 7, v0
	s_delay_alu instid0(VALU_DEP_1)
	v_cvt_f32_f16_e32 v112, v0
.LBB348_1047:                           ;   in Loop: Header=BB348_934 Depth=1
	s_or_b32 exec_lo, exec_lo, s15
.LBB348_1048:                           ;   in Loop: Header=BB348_934 Depth=1
	s_delay_alu instid0(SALU_CYCLE_1)
	s_or_b32 exec_lo, exec_lo, s13
.LBB348_1049:                           ;   in Loop: Header=BB348_934 Depth=1
	s_delay_alu instid0(SALU_CYCLE_1) | instskip(SKIP_3) | instid1(VALU_DEP_2)
	s_or_b32 exec_lo, exec_lo, s12
	v_lshrrev_b32_e32 v114, 16, v12
	v_mov_b32_e32 v13, 0
	s_mov_b32 s12, exec_lo
	v_dual_mov_b32 v113, 0 :: v_dual_and_b32 v0, 0xff, v114
	s_delay_alu instid0(VALU_DEP_1)
	v_cmpx_ne_u16_e32 0, v0
	s_cbranch_execz .LBB348_1057
; %bb.1050:                             ;   in Loop: Header=BB348_934 Depth=1
	v_bfrev_b32_e32 v13, 1
	s_mov_b32 s13, exec_lo
	v_cmpx_ne_u16_e32 0x80, v0
	s_cbranch_execz .LBB348_1056
; %bb.1051:                             ;   in Loop: Header=BB348_934 Depth=1
	v_bfe_u32 v14, v12, 16, 7
	v_mov_b32_e32 v13, 0x7fc02000
	s_mov_b32 s15, exec_lo
	s_delay_alu instid0(VALU_DEP_2)
	v_cmpx_ne_u32_e32 0x7f, v14
	s_cbranch_execz .LBB348_1055
; %bb.1052:                             ;   in Loop: Header=BB348_934 Depth=1
	v_and_b32_e32 v0, 7, v114
	v_lshrrev_b32_e32 v115, 3, v14
	v_cmp_gt_u32_e64 s0, 8, v14
	s_delay_alu instid0(VALU_DEP_3) | instskip(NEXT) | instid1(VALU_DEP_2)
	v_dual_mov_b32 v14, v1 :: v_dual_mov_b32 v13, v0
	s_and_saveexec_b32 s16, s0
; %bb.1053:                             ;   in Loop: Header=BB348_934 Depth=1
	v_clz_i32_u32_e32 v13, v0
	s_delay_alu instid0(VALU_DEP_1) | instskip(NEXT) | instid1(VALU_DEP_1)
	v_min_u32_e32 v115, 32, v13
	v_subrev_nc_u32_e32 v13, 28, v115
	v_sub_nc_u32_e32 v115, 29, v115
	s_delay_alu instid0(VALU_DEP_2) | instskip(NEXT) | instid1(VALU_DEP_1)
	v_lshlrev_b64 v[13:14], v13, v[0:1]
	v_and_b32_e32 v13, 7, v13
; %bb.1054:                             ;   in Loop: Header=BB348_934 Depth=1
	s_or_b32 exec_lo, exec_lo, s16
	v_lshlrev_b32_e32 v0, 8, v114
	v_lshl_add_u32 v14, v115, 10, 0x2000
	s_delay_alu instid0(VALU_DEP_1) | instskip(NEXT) | instid1(VALU_DEP_1)
	v_and_or_b32 v0, 0x8000, v0, v14
	v_lshl_or_b32 v0, v13, 7, v0
	s_delay_alu instid0(VALU_DEP_1)
	v_cvt_f32_f16_e32 v13, v0
.LBB348_1055:                           ;   in Loop: Header=BB348_934 Depth=1
	s_or_b32 exec_lo, exec_lo, s15
.LBB348_1056:                           ;   in Loop: Header=BB348_934 Depth=1
	s_delay_alu instid0(SALU_CYCLE_1)
	s_or_b32 exec_lo, exec_lo, s13
.LBB348_1057:                           ;   in Loop: Header=BB348_934 Depth=1
	s_delay_alu instid0(SALU_CYCLE_1) | instskip(NEXT) | instid1(SALU_CYCLE_1)
	s_or_b32 exec_lo, exec_lo, s12
	s_mov_b32 s12, exec_lo
	v_cmpx_lt_u64_e64 s[8:9], v[11:12]
	s_cbranch_execz .LBB348_1065
; %bb.1058:                             ;   in Loop: Header=BB348_934 Depth=1
	v_lshrrev_b32_e32 v14, 24, v12
	v_bfrev_b32_e32 v113, 1
	s_mov_b32 s13, exec_lo
	s_delay_alu instid0(VALU_DEP_2)
	v_cmpx_ne_u32_e32 0x80, v14
	s_cbranch_execz .LBB348_1064
; %bb.1059:                             ;   in Loop: Header=BB348_934 Depth=1
	v_and_b32_e32 v11, 0x7f, v14
	v_mov_b32_e32 v113, 0x7fc02000
	s_mov_b32 s15, exec_lo
	s_delay_alu instid0(VALU_DEP_2)
	v_cmpx_ne_u32_e32 0x7f, v11
	s_cbranch_execz .LBB348_1063
; %bb.1060:                             ;   in Loop: Header=BB348_934 Depth=1
	v_and_b32_e32 v0, 7, v14
	v_lshrrev_b32_e32 v113, 3, v11
	v_cmp_gt_u32_e64 s0, 8, v11
	s_delay_alu instid0(VALU_DEP_3) | instskip(NEXT) | instid1(VALU_DEP_2)
	v_dual_mov_b32 v12, v1 :: v_dual_mov_b32 v11, v0
	s_and_saveexec_b32 s16, s0
; %bb.1061:                             ;   in Loop: Header=BB348_934 Depth=1
	v_clz_i32_u32_e32 v11, v0
	s_delay_alu instid0(VALU_DEP_1) | instskip(NEXT) | instid1(VALU_DEP_1)
	v_min_u32_e32 v113, 32, v11
	v_subrev_nc_u32_e32 v11, 28, v113
	v_sub_nc_u32_e32 v113, 29, v113
	s_delay_alu instid0(VALU_DEP_2) | instskip(NEXT) | instid1(VALU_DEP_1)
	v_lshlrev_b64 v[11:12], v11, v[0:1]
	v_and_b32_e32 v11, 7, v11
; %bb.1062:                             ;   in Loop: Header=BB348_934 Depth=1
	s_or_b32 exec_lo, exec_lo, s16
	v_lshlrev_b32_e32 v0, 8, v14
	v_lshl_add_u32 v12, v113, 10, 0x2000
	s_delay_alu instid0(VALU_DEP_1) | instskip(NEXT) | instid1(VALU_DEP_1)
	v_and_or_b32 v0, 0x8000, v0, v12
	v_lshl_or_b32 v0, v11, 7, v0
	s_delay_alu instid0(VALU_DEP_1)
	v_cvt_f32_f16_e32 v113, v0
.LBB348_1063:                           ;   in Loop: Header=BB348_934 Depth=1
	s_or_b32 exec_lo, exec_lo, s15
.LBB348_1064:                           ;   in Loop: Header=BB348_934 Depth=1
	s_delay_alu instid0(SALU_CYCLE_1)
	s_or_b32 exec_lo, exec_lo, s13
.LBB348_1065:                           ;   in Loop: Header=BB348_934 Depth=1
	s_delay_alu instid0(SALU_CYCLE_1)
	s_or_b32 exec_lo, exec_lo, s12
	s_waitcnt vmcnt(0) lgkmcnt(0)
	v_fma_mixlo_f16 v12, v98, v100, 0
	v_fma_mixlo_f16 v0, v98, v102, 0
	;; [unrolled: 1-line block ×5, first 2 shown]
	v_lshlrev_b32_e32 v14, 16, v12
	v_fma_mixlo_f16 v101, v98, v103, 0
	v_fma_mixlo_f16 v102, v98, v113, 0
	;; [unrolled: 1-line block ×3, first 2 shown]
	v_lshlrev_b32_e32 v0, 16, v0
	v_and_b32_e32 v11, 0xffff, v11
	v_and_b32_e32 v98, 0xffff, v99
	v_lshlrev_b32_e32 v99, 16, v100
	v_and_b32_e32 v100, 0xffff, v101
	v_lshlrev_b32_e32 v101, 16, v102
	v_and_b32_e32 v102, 0xffff, v12
	v_or_b32_e32 v13, v0, v11
	v_or_b32_e32 v14, v14, v98
	;; [unrolled: 1-line block ×3, first 2 shown]
	s_delay_alu instid0(VALU_DEP_4)
	v_or_b32_e32 v11, v101, v102
	s_and_saveexec_b32 s12, vcc_lo
	s_cbranch_execz .LBB348_1067
; %bb.1066:                             ;   in Loop: Header=BB348_934 Depth=1
	v_cmp_lt_i32_e64 s0, v19, v38
	v_lshrrev_b32_e32 v98, 16, v14
	v_lshrrev_b32_e32 v99, 16, v13
	;; [unrolled: 1-line block ×4, first 2 shown]
	v_cndmask_b32_e64 v14, 0, v14, s0
	v_cmp_lt_i32_e64 s0, v97, v55
	s_delay_alu instid0(VALU_DEP_1) | instskip(SKIP_1) | instid1(VALU_DEP_2)
	v_cndmask_b32_e64 v98, 0, v98, s0
	v_cmp_lt_i32_e64 s0, v87, v55
	v_perm_b32 v14, v98, v14, 0x5040100
	s_delay_alu instid0(VALU_DEP_2) | instskip(SKIP_1) | instid1(VALU_DEP_1)
	v_cndmask_b32_e64 v99, 0, v99, s0
	v_cmp_lt_i32_e64 s0, v83, v38
	v_cndmask_b32_e64 v13, 0, v13, s0
	v_cmp_lt_i32_e64 s0, v80, v55
	s_delay_alu instid0(VALU_DEP_2) | instskip(NEXT) | instid1(VALU_DEP_2)
	v_perm_b32 v13, v99, v13, 0x5040100
	v_cndmask_b32_e64 v100, 0, v100, s0
	v_cmp_lt_i32_e64 s0, v71, v38
	s_delay_alu instid0(VALU_DEP_1) | instskip(SKIP_1) | instid1(VALU_DEP_2)
	v_cndmask_b32_e64 v0, 0, v0, s0
	v_cmp_lt_i32_e64 s0, v70, v55
	v_perm_b32 v0, v100, v0, 0x5040100
	s_delay_alu instid0(VALU_DEP_2) | instskip(SKIP_1) | instid1(VALU_DEP_1)
	v_cndmask_b32_e64 v11, 0, v11, s0
	v_cmp_lt_i32_e64 s0, v64, v38
	v_cndmask_b32_e64 v12, 0, v12, s0
	s_delay_alu instid0(VALU_DEP_1)
	v_perm_b32 v11, v11, v12, 0x5040100
.LBB348_1067:                           ;   in Loop: Header=BB348_934 Depth=1
	s_or_b32 exec_lo, exec_lo, s12
	;;#ASMSTART
	v_pk_mul_f16 v12, v96, v14;

	;;#ASMEND
	;;#ASMSTART
	v_pk_mul_f16 v13, v86, v13;

	;;#ASMEND
	;; [unrolled: 4-line block ×4, first 2 shown]
	;;#ASMSTART
	v_pk_add_f16 v12, v12, v13;

	;;#ASMEND
	;;#ASMSTART
	v_pk_add_f16 v0, v12, v0;

	;;#ASMEND
	;;#ASMSTART
	v_pk_add_f16 v0, v0, v11;

	;;#ASMEND
	v_dual_mov_b32 v102, 0 :: v_dual_and_b32 v11, 0xffff, v0
	v_lshrrev_b32_e32 v0, 16, v0
	;;#ASMSTART
	v_cvt_f32_f16 v98, v11;
	;;#ASMEND
	;;#ASMSTART
	v_cvt_f32_f16 v99, v0;
	;;#ASMEND
	flat_load_b64 v[11:12], v[9:10] offset:512
	flat_load_b32 v100, v[26:27]
	s_mov_b32 s12, exec_lo
	s_waitcnt vmcnt(1) lgkmcnt(1)
	v_dual_mov_b32 v101, 0 :: v_dual_and_b32 v0, 0xff, v11
	s_delay_alu instid0(VALU_DEP_1)
	v_cmpx_ne_u16_e32 0, v0
	s_cbranch_execz .LBB348_1075
; %bb.1068:                             ;   in Loop: Header=BB348_934 Depth=1
	v_bfrev_b32_e32 v101, 1
	s_mov_b32 s13, exec_lo
	v_cmpx_ne_u16_e32 0x80, v0
	s_cbranch_execz .LBB348_1074
; %bb.1069:                             ;   in Loop: Header=BB348_934 Depth=1
	v_and_b32_e32 v13, 0x7f, v11
	v_mov_b32_e32 v101, 0x7fc02000
	s_mov_b32 s15, exec_lo
	s_delay_alu instid0(VALU_DEP_2)
	v_cmpx_ne_u32_e32 0x7f, v13
	s_cbranch_execz .LBB348_1073
; %bb.1070:                             ;   in Loop: Header=BB348_934 Depth=1
	v_lshrrev_b32_e32 v0, 3, v13
	v_cmp_gt_u32_e64 s0, 8, v13
	v_dual_mov_b32 v14, v12 :: v_dual_mov_b32 v13, v11
	s_delay_alu instid0(VALU_DEP_2)
	s_and_saveexec_b32 s16, s0
; %bb.1071:                             ;   in Loop: Header=BB348_934 Depth=1
	v_and_b32_e32 v0, 7, v11
	s_delay_alu instid0(VALU_DEP_1) | instskip(NEXT) | instid1(VALU_DEP_1)
	v_clz_i32_u32_e32 v0, v0
	v_min_u32_e32 v0, 32, v0
	s_delay_alu instid0(VALU_DEP_1) | instskip(SKIP_1) | instid1(VALU_DEP_2)
	v_subrev_nc_u32_e32 v13, 28, v0
	v_sub_nc_u32_e32 v0, 29, v0
	v_lshlrev_b64 v[13:14], v13, v[11:12]
; %bb.1072:                             ;   in Loop: Header=BB348_934 Depth=1
	s_or_b32 exec_lo, exec_lo, s16
	v_lshlrev_b32_e32 v14, 8, v11
	s_delay_alu instid0(VALU_DEP_3) | instskip(NEXT) | instid1(VALU_DEP_3)
	v_lshl_add_u32 v0, v0, 10, 0x2000
	v_lshlrev_b32_e32 v13, 7, v13
	s_delay_alu instid0(VALU_DEP_2) | instskip(NEXT) | instid1(VALU_DEP_1)
	v_and_or_b32 v0, 0x8000, v14, v0
	v_and_or_b32 v0, 0x380, v13, v0
	s_delay_alu instid0(VALU_DEP_1)
	v_cvt_f32_f16_e32 v101, v0
.LBB348_1073:                           ;   in Loop: Header=BB348_934 Depth=1
	s_or_b32 exec_lo, exec_lo, s15
.LBB348_1074:                           ;   in Loop: Header=BB348_934 Depth=1
	s_delay_alu instid0(SALU_CYCLE_1)
	s_or_b32 exec_lo, exec_lo, s13
.LBB348_1075:                           ;   in Loop: Header=BB348_934 Depth=1
	s_delay_alu instid0(SALU_CYCLE_1) | instskip(SKIP_2) | instid1(VALU_DEP_1)
	s_or_b32 exec_lo, exec_lo, s12
	v_lshrrev_b16 v0, 8, v11
	s_mov_b32 s12, exec_lo
	v_cmpx_ne_u16_e32 0, v0
	s_cbranch_execz .LBB348_1083
; %bb.1076:                             ;   in Loop: Header=BB348_934 Depth=1
	v_bfrev_b32_e32 v102, 1
	s_mov_b32 s13, exec_lo
	v_cmpx_ne_u16_e32 0x80, v0
	s_cbranch_execz .LBB348_1082
; %bb.1077:                             ;   in Loop: Header=BB348_934 Depth=1
	v_and_b32_e32 v103, 0xffff, v0
	v_mov_b32_e32 v102, 0x7fc02000
	s_mov_b32 s15, exec_lo
	s_delay_alu instid0(VALU_DEP_2) | instskip(NEXT) | instid1(VALU_DEP_1)
	v_and_b32_e32 v13, 0x7f, v103
	v_cmpx_ne_u32_e32 0x7f, v13
	s_cbranch_execz .LBB348_1081
; %bb.1078:                             ;   in Loop: Header=BB348_934 Depth=1
	v_and_b32_e32 v0, 7, v103
	v_lshrrev_b32_e32 v102, 3, v13
	v_cmp_gt_u32_e64 s0, 8, v13
	s_delay_alu instid0(VALU_DEP_3) | instskip(NEXT) | instid1(VALU_DEP_2)
	v_dual_mov_b32 v14, v1 :: v_dual_mov_b32 v13, v0
	s_and_saveexec_b32 s16, s0
; %bb.1079:                             ;   in Loop: Header=BB348_934 Depth=1
	v_clz_i32_u32_e32 v13, v0
	s_delay_alu instid0(VALU_DEP_1) | instskip(NEXT) | instid1(VALU_DEP_1)
	v_min_u32_e32 v102, 32, v13
	v_subrev_nc_u32_e32 v13, 28, v102
	v_sub_nc_u32_e32 v102, 29, v102
	s_delay_alu instid0(VALU_DEP_2) | instskip(NEXT) | instid1(VALU_DEP_1)
	v_lshlrev_b64 v[13:14], v13, v[0:1]
	v_and_b32_e32 v13, 7, v13
; %bb.1080:                             ;   in Loop: Header=BB348_934 Depth=1
	s_or_b32 exec_lo, exec_lo, s16
	v_lshlrev_b32_e32 v0, 8, v103
	v_lshl_add_u32 v14, v102, 10, 0x2000
	s_delay_alu instid0(VALU_DEP_1) | instskip(NEXT) | instid1(VALU_DEP_1)
	v_and_or_b32 v0, 0x8000, v0, v14
	v_lshl_or_b32 v0, v13, 7, v0
	s_delay_alu instid0(VALU_DEP_1)
	v_cvt_f32_f16_e32 v102, v0
.LBB348_1081:                           ;   in Loop: Header=BB348_934 Depth=1
	s_or_b32 exec_lo, exec_lo, s15
.LBB348_1082:                           ;   in Loop: Header=BB348_934 Depth=1
	s_delay_alu instid0(SALU_CYCLE_1)
	s_or_b32 exec_lo, exec_lo, s13
.LBB348_1083:                           ;   in Loop: Header=BB348_934 Depth=1
	s_delay_alu instid0(SALU_CYCLE_1) | instskip(SKIP_3) | instid1(VALU_DEP_2)
	s_or_b32 exec_lo, exec_lo, s12
	v_lshrrev_b32_e32 v113, 16, v11
	v_mov_b32_e32 v112, 0
	s_mov_b32 s12, exec_lo
	v_dual_mov_b32 v103, 0 :: v_dual_and_b32 v0, 0xff, v113
	s_delay_alu instid0(VALU_DEP_1)
	v_cmpx_ne_u16_e32 0, v0
	s_cbranch_execz .LBB348_1091
; %bb.1084:                             ;   in Loop: Header=BB348_934 Depth=1
	v_bfrev_b32_e32 v103, 1
	s_mov_b32 s13, exec_lo
	v_cmpx_ne_u16_e32 0x80, v0
	s_cbranch_execz .LBB348_1090
; %bb.1085:                             ;   in Loop: Header=BB348_934 Depth=1
	v_bfe_u32 v13, v11, 16, 7
	v_mov_b32_e32 v103, 0x7fc02000
	s_mov_b32 s15, exec_lo
	s_delay_alu instid0(VALU_DEP_2)
	v_cmpx_ne_u32_e32 0x7f, v13
	s_cbranch_execz .LBB348_1089
; %bb.1086:                             ;   in Loop: Header=BB348_934 Depth=1
	v_and_b32_e32 v0, 7, v113
	v_lshrrev_b32_e32 v103, 3, v13
	v_cmp_gt_u32_e64 s0, 8, v13
	s_delay_alu instid0(VALU_DEP_3) | instskip(NEXT) | instid1(VALU_DEP_2)
	v_dual_mov_b32 v14, v1 :: v_dual_mov_b32 v13, v0
	s_and_saveexec_b32 s16, s0
; %bb.1087:                             ;   in Loop: Header=BB348_934 Depth=1
	v_clz_i32_u32_e32 v13, v0
	s_delay_alu instid0(VALU_DEP_1) | instskip(NEXT) | instid1(VALU_DEP_1)
	v_min_u32_e32 v103, 32, v13
	v_subrev_nc_u32_e32 v13, 28, v103
	v_sub_nc_u32_e32 v103, 29, v103
	s_delay_alu instid0(VALU_DEP_2) | instskip(NEXT) | instid1(VALU_DEP_1)
	v_lshlrev_b64 v[13:14], v13, v[0:1]
	v_and_b32_e32 v13, 7, v13
; %bb.1088:                             ;   in Loop: Header=BB348_934 Depth=1
	s_or_b32 exec_lo, exec_lo, s16
	v_lshlrev_b32_e32 v0, 8, v113
	v_lshl_add_u32 v14, v103, 10, 0x2000
	s_delay_alu instid0(VALU_DEP_1) | instskip(NEXT) | instid1(VALU_DEP_1)
	v_and_or_b32 v0, 0x8000, v0, v14
	v_lshl_or_b32 v0, v13, 7, v0
	s_delay_alu instid0(VALU_DEP_1)
	v_cvt_f32_f16_e32 v103, v0
.LBB348_1089:                           ;   in Loop: Header=BB348_934 Depth=1
	s_or_b32 exec_lo, exec_lo, s15
.LBB348_1090:                           ;   in Loop: Header=BB348_934 Depth=1
	s_delay_alu instid0(SALU_CYCLE_1)
	s_or_b32 exec_lo, exec_lo, s13
.LBB348_1091:                           ;   in Loop: Header=BB348_934 Depth=1
	s_delay_alu instid0(SALU_CYCLE_1) | instskip(NEXT) | instid1(SALU_CYCLE_1)
	s_or_b32 exec_lo, exec_lo, s12
	s_mov_b32 s12, exec_lo
	v_cmpx_lt_u32_e32 0xffffff, v11
	s_cbranch_execz .LBB348_1099
; %bb.1092:                             ;   in Loop: Header=BB348_934 Depth=1
	v_lshrrev_b32_e32 v113, 24, v11
	v_bfrev_b32_e32 v112, 1
	s_mov_b32 s13, exec_lo
	s_delay_alu instid0(VALU_DEP_2)
	v_cmpx_ne_u32_e32 0x80, v113
	s_cbranch_execz .LBB348_1098
; %bb.1093:                             ;   in Loop: Header=BB348_934 Depth=1
	v_and_b32_e32 v13, 0x7f, v113
	v_mov_b32_e32 v112, 0x7fc02000
	s_mov_b32 s15, exec_lo
	s_delay_alu instid0(VALU_DEP_2)
	v_cmpx_ne_u32_e32 0x7f, v13
	s_cbranch_execz .LBB348_1097
; %bb.1094:                             ;   in Loop: Header=BB348_934 Depth=1
	v_and_b32_e32 v0, 7, v113
	v_lshrrev_b32_e32 v112, 3, v13
	v_cmp_gt_u32_e64 s0, 8, v13
	s_delay_alu instid0(VALU_DEP_3) | instskip(NEXT) | instid1(VALU_DEP_2)
	v_dual_mov_b32 v14, v1 :: v_dual_mov_b32 v13, v0
	s_and_saveexec_b32 s16, s0
; %bb.1095:                             ;   in Loop: Header=BB348_934 Depth=1
	v_clz_i32_u32_e32 v13, v0
	s_delay_alu instid0(VALU_DEP_1) | instskip(NEXT) | instid1(VALU_DEP_1)
	v_min_u32_e32 v112, 32, v13
	v_subrev_nc_u32_e32 v13, 28, v112
	v_sub_nc_u32_e32 v112, 29, v112
	s_delay_alu instid0(VALU_DEP_2) | instskip(NEXT) | instid1(VALU_DEP_1)
	v_lshlrev_b64 v[13:14], v13, v[0:1]
	v_and_b32_e32 v13, 7, v13
; %bb.1096:                             ;   in Loop: Header=BB348_934 Depth=1
	s_or_b32 exec_lo, exec_lo, s16
	v_lshlrev_b32_e32 v0, 8, v113
	v_lshl_add_u32 v14, v112, 10, 0x2000
	s_delay_alu instid0(VALU_DEP_1) | instskip(NEXT) | instid1(VALU_DEP_1)
	v_and_or_b32 v0, 0x8000, v0, v14
	v_lshl_or_b32 v0, v13, 7, v0
	s_delay_alu instid0(VALU_DEP_1)
	v_cvt_f32_f16_e32 v112, v0
.LBB348_1097:                           ;   in Loop: Header=BB348_934 Depth=1
	s_or_b32 exec_lo, exec_lo, s15
.LBB348_1098:                           ;   in Loop: Header=BB348_934 Depth=1
	s_delay_alu instid0(SALU_CYCLE_1)
	s_or_b32 exec_lo, exec_lo, s13
.LBB348_1099:                           ;   in Loop: Header=BB348_934 Depth=1
	s_delay_alu instid0(SALU_CYCLE_1) | instskip(SKIP_3) | instid1(VALU_DEP_2)
	s_or_b32 exec_lo, exec_lo, s12
	v_dual_mov_b32 v0, v12 :: v_dual_and_b32 v13, 0xff, v12
	v_dual_mov_b32 v114, 0 :: v_dual_mov_b32 v113, 0
	s_mov_b32 s12, exec_lo
	v_cmpx_ne_u16_e32 0, v13
	s_cbranch_execz .LBB348_1107
; %bb.1100:                             ;   in Loop: Header=BB348_934 Depth=1
	v_bfrev_b32_e32 v113, 1
	s_mov_b32 s13, exec_lo
	v_cmpx_ne_u16_e32 0x80, v13
	s_cbranch_execz .LBB348_1106
; %bb.1101:                             ;   in Loop: Header=BB348_934 Depth=1
	v_and_b32_e32 v13, 0x7f, v12
	v_mov_b32_e32 v113, 0x7fc02000
	s_mov_b32 s15, exec_lo
	s_delay_alu instid0(VALU_DEP_2)
	v_cmpx_ne_u32_e32 0x7f, v13
	s_cbranch_execz .LBB348_1105
; %bb.1102:                             ;   in Loop: Header=BB348_934 Depth=1
	v_lshrrev_b32_e32 v113, 3, v13
	v_cmp_gt_u32_e64 s0, 8, v13
	v_dual_mov_b32 v14, v1 :: v_dual_mov_b32 v13, v0
	s_delay_alu instid0(VALU_DEP_2)
	s_and_saveexec_b32 s16, s0
; %bb.1103:                             ;   in Loop: Header=BB348_934 Depth=1
	v_and_b32_e32 v13, 7, v12
	s_delay_alu instid0(VALU_DEP_1) | instskip(NEXT) | instid1(VALU_DEP_1)
	v_clz_i32_u32_e32 v13, v13
	v_min_u32_e32 v113, 32, v13
	s_delay_alu instid0(VALU_DEP_1) | instskip(SKIP_1) | instid1(VALU_DEP_2)
	v_subrev_nc_u32_e32 v13, 28, v113
	v_sub_nc_u32_e32 v113, 29, v113
	v_lshlrev_b64 v[13:14], v13, v[0:1]
; %bb.1104:                             ;   in Loop: Header=BB348_934 Depth=1
	s_or_b32 exec_lo, exec_lo, s16
	v_lshlrev_b32_e32 v14, 8, v12
	s_delay_alu instid0(VALU_DEP_3) | instskip(NEXT) | instid1(VALU_DEP_3)
	v_lshl_add_u32 v113, v113, 10, 0x2000
	v_lshlrev_b32_e32 v13, 7, v13
	s_delay_alu instid0(VALU_DEP_2) | instskip(NEXT) | instid1(VALU_DEP_1)
	v_and_or_b32 v14, 0x8000, v14, v113
	v_and_or_b32 v13, 0x380, v13, v14
	s_delay_alu instid0(VALU_DEP_1)
	v_cvt_f32_f16_e32 v113, v13
.LBB348_1105:                           ;   in Loop: Header=BB348_934 Depth=1
	s_or_b32 exec_lo, exec_lo, s15
.LBB348_1106:                           ;   in Loop: Header=BB348_934 Depth=1
	s_delay_alu instid0(SALU_CYCLE_1)
	s_or_b32 exec_lo, exec_lo, s13
.LBB348_1107:                           ;   in Loop: Header=BB348_934 Depth=1
	s_delay_alu instid0(SALU_CYCLE_1) | instskip(SKIP_2) | instid1(VALU_DEP_1)
	s_or_b32 exec_lo, exec_lo, s12
	v_lshrrev_b16 v0, 8, v0
	s_mov_b32 s12, exec_lo
	v_cmpx_ne_u16_e32 0, v0
	s_cbranch_execz .LBB348_1115
; %bb.1108:                             ;   in Loop: Header=BB348_934 Depth=1
	v_bfrev_b32_e32 v114, 1
	s_mov_b32 s13, exec_lo
	v_cmpx_ne_u16_e32 0x80, v0
	s_cbranch_execz .LBB348_1114
; %bb.1109:                             ;   in Loop: Header=BB348_934 Depth=1
	v_and_b32_e32 v115, 0xffff, v0
	v_mov_b32_e32 v114, 0x7fc02000
	s_mov_b32 s15, exec_lo
	s_delay_alu instid0(VALU_DEP_2) | instskip(NEXT) | instid1(VALU_DEP_1)
	v_and_b32_e32 v13, 0x7f, v115
	v_cmpx_ne_u32_e32 0x7f, v13
	s_cbranch_execz .LBB348_1113
; %bb.1110:                             ;   in Loop: Header=BB348_934 Depth=1
	v_and_b32_e32 v0, 7, v115
	v_lshrrev_b32_e32 v114, 3, v13
	v_cmp_gt_u32_e64 s0, 8, v13
	s_delay_alu instid0(VALU_DEP_3) | instskip(NEXT) | instid1(VALU_DEP_2)
	v_dual_mov_b32 v14, v1 :: v_dual_mov_b32 v13, v0
	s_and_saveexec_b32 s16, s0
; %bb.1111:                             ;   in Loop: Header=BB348_934 Depth=1
	v_clz_i32_u32_e32 v13, v0
	s_delay_alu instid0(VALU_DEP_1) | instskip(NEXT) | instid1(VALU_DEP_1)
	v_min_u32_e32 v114, 32, v13
	v_subrev_nc_u32_e32 v13, 28, v114
	v_sub_nc_u32_e32 v114, 29, v114
	s_delay_alu instid0(VALU_DEP_2) | instskip(NEXT) | instid1(VALU_DEP_1)
	v_lshlrev_b64 v[13:14], v13, v[0:1]
	v_and_b32_e32 v13, 7, v13
; %bb.1112:                             ;   in Loop: Header=BB348_934 Depth=1
	s_or_b32 exec_lo, exec_lo, s16
	v_lshlrev_b32_e32 v0, 8, v115
	v_lshl_add_u32 v14, v114, 10, 0x2000
	s_delay_alu instid0(VALU_DEP_1) | instskip(NEXT) | instid1(VALU_DEP_1)
	v_and_or_b32 v0, 0x8000, v0, v14
	v_lshl_or_b32 v0, v13, 7, v0
	s_delay_alu instid0(VALU_DEP_1)
	v_cvt_f32_f16_e32 v114, v0
.LBB348_1113:                           ;   in Loop: Header=BB348_934 Depth=1
	s_or_b32 exec_lo, exec_lo, s15
.LBB348_1114:                           ;   in Loop: Header=BB348_934 Depth=1
	s_delay_alu instid0(SALU_CYCLE_1)
	s_or_b32 exec_lo, exec_lo, s13
.LBB348_1115:                           ;   in Loop: Header=BB348_934 Depth=1
	s_delay_alu instid0(SALU_CYCLE_1) | instskip(SKIP_3) | instid1(VALU_DEP_2)
	s_or_b32 exec_lo, exec_lo, s12
	v_lshrrev_b32_e32 v116, 16, v12
	v_mov_b32_e32 v13, 0
	s_mov_b32 s12, exec_lo
	v_dual_mov_b32 v115, 0 :: v_dual_and_b32 v0, 0xff, v116
	s_delay_alu instid0(VALU_DEP_1)
	v_cmpx_ne_u16_e32 0, v0
	s_cbranch_execz .LBB348_1123
; %bb.1116:                             ;   in Loop: Header=BB348_934 Depth=1
	v_bfrev_b32_e32 v13, 1
	s_mov_b32 s13, exec_lo
	v_cmpx_ne_u16_e32 0x80, v0
	s_cbranch_execz .LBB348_1122
; %bb.1117:                             ;   in Loop: Header=BB348_934 Depth=1
	v_bfe_u32 v14, v12, 16, 7
	v_mov_b32_e32 v13, 0x7fc02000
	s_mov_b32 s15, exec_lo
	s_delay_alu instid0(VALU_DEP_2)
	v_cmpx_ne_u32_e32 0x7f, v14
	s_cbranch_execz .LBB348_1121
; %bb.1118:                             ;   in Loop: Header=BB348_934 Depth=1
	v_and_b32_e32 v0, 7, v116
	v_lshrrev_b32_e32 v117, 3, v14
	v_cmp_gt_u32_e64 s0, 8, v14
	s_delay_alu instid0(VALU_DEP_3) | instskip(NEXT) | instid1(VALU_DEP_2)
	v_dual_mov_b32 v14, v1 :: v_dual_mov_b32 v13, v0
	s_and_saveexec_b32 s16, s0
; %bb.1119:                             ;   in Loop: Header=BB348_934 Depth=1
	v_clz_i32_u32_e32 v13, v0
	s_delay_alu instid0(VALU_DEP_1) | instskip(NEXT) | instid1(VALU_DEP_1)
	v_min_u32_e32 v117, 32, v13
	v_subrev_nc_u32_e32 v13, 28, v117
	v_sub_nc_u32_e32 v117, 29, v117
	s_delay_alu instid0(VALU_DEP_2) | instskip(NEXT) | instid1(VALU_DEP_1)
	v_lshlrev_b64 v[13:14], v13, v[0:1]
	v_and_b32_e32 v13, 7, v13
; %bb.1120:                             ;   in Loop: Header=BB348_934 Depth=1
	s_or_b32 exec_lo, exec_lo, s16
	v_lshlrev_b32_e32 v0, 8, v116
	v_lshl_add_u32 v14, v117, 10, 0x2000
	s_delay_alu instid0(VALU_DEP_1) | instskip(NEXT) | instid1(VALU_DEP_1)
	v_and_or_b32 v0, 0x8000, v0, v14
	v_lshl_or_b32 v0, v13, 7, v0
	s_delay_alu instid0(VALU_DEP_1)
	v_cvt_f32_f16_e32 v13, v0
.LBB348_1121:                           ;   in Loop: Header=BB348_934 Depth=1
	s_or_b32 exec_lo, exec_lo, s15
.LBB348_1122:                           ;   in Loop: Header=BB348_934 Depth=1
	s_delay_alu instid0(SALU_CYCLE_1)
	s_or_b32 exec_lo, exec_lo, s13
.LBB348_1123:                           ;   in Loop: Header=BB348_934 Depth=1
	s_delay_alu instid0(SALU_CYCLE_1) | instskip(NEXT) | instid1(SALU_CYCLE_1)
	s_or_b32 exec_lo, exec_lo, s12
	s_mov_b32 s12, exec_lo
	v_cmpx_lt_u64_e64 s[8:9], v[11:12]
	s_cbranch_execz .LBB348_1131
; %bb.1124:                             ;   in Loop: Header=BB348_934 Depth=1
	v_lshrrev_b32_e32 v14, 24, v12
	v_bfrev_b32_e32 v115, 1
	s_mov_b32 s13, exec_lo
	s_delay_alu instid0(VALU_DEP_2)
	v_cmpx_ne_u32_e32 0x80, v14
	s_cbranch_execz .LBB348_1130
; %bb.1125:                             ;   in Loop: Header=BB348_934 Depth=1
	v_and_b32_e32 v11, 0x7f, v14
	v_mov_b32_e32 v115, 0x7fc02000
	s_mov_b32 s15, exec_lo
	s_delay_alu instid0(VALU_DEP_2)
	v_cmpx_ne_u32_e32 0x7f, v11
	s_cbranch_execz .LBB348_1129
; %bb.1126:                             ;   in Loop: Header=BB348_934 Depth=1
	v_and_b32_e32 v0, 7, v14
	v_lshrrev_b32_e32 v115, 3, v11
	v_cmp_gt_u32_e64 s0, 8, v11
	s_delay_alu instid0(VALU_DEP_3) | instskip(NEXT) | instid1(VALU_DEP_2)
	v_dual_mov_b32 v12, v1 :: v_dual_mov_b32 v11, v0
	s_and_saveexec_b32 s16, s0
; %bb.1127:                             ;   in Loop: Header=BB348_934 Depth=1
	v_clz_i32_u32_e32 v11, v0
	s_delay_alu instid0(VALU_DEP_1) | instskip(NEXT) | instid1(VALU_DEP_1)
	v_min_u32_e32 v115, 32, v11
	v_subrev_nc_u32_e32 v11, 28, v115
	v_sub_nc_u32_e32 v115, 29, v115
	s_delay_alu instid0(VALU_DEP_2) | instskip(NEXT) | instid1(VALU_DEP_1)
	v_lshlrev_b64 v[11:12], v11, v[0:1]
	v_and_b32_e32 v11, 7, v11
; %bb.1128:                             ;   in Loop: Header=BB348_934 Depth=1
	s_or_b32 exec_lo, exec_lo, s16
	v_lshlrev_b32_e32 v0, 8, v14
	v_lshl_add_u32 v12, v115, 10, 0x2000
	s_delay_alu instid0(VALU_DEP_1) | instskip(NEXT) | instid1(VALU_DEP_1)
	v_and_or_b32 v0, 0x8000, v0, v12
	v_lshl_or_b32 v0, v11, 7, v0
	s_delay_alu instid0(VALU_DEP_1)
	v_cvt_f32_f16_e32 v115, v0
.LBB348_1129:                           ;   in Loop: Header=BB348_934 Depth=1
	s_or_b32 exec_lo, exec_lo, s15
.LBB348_1130:                           ;   in Loop: Header=BB348_934 Depth=1
	s_delay_alu instid0(SALU_CYCLE_1)
	s_or_b32 exec_lo, exec_lo, s13
.LBB348_1131:                           ;   in Loop: Header=BB348_934 Depth=1
	s_delay_alu instid0(SALU_CYCLE_1)
	s_or_b32 exec_lo, exec_lo, s12
	s_waitcnt vmcnt(0) lgkmcnt(0)
	v_fma_mixlo_f16 v12, v100, v102, 0
	v_fma_mixlo_f16 v0, v100, v112, 0
	;; [unrolled: 1-line block ×5, first 2 shown]
	v_lshlrev_b32_e32 v14, 16, v12
	v_fma_mixlo_f16 v103, v100, v113, 0
	v_fma_mixlo_f16 v112, v100, v115, 0
	;; [unrolled: 1-line block ×3, first 2 shown]
	v_lshlrev_b32_e32 v0, 16, v0
	v_and_b32_e32 v11, 0xffff, v11
	v_and_b32_e32 v100, 0xffff, v101
	v_lshlrev_b32_e32 v101, 16, v102
	v_and_b32_e32 v102, 0xffff, v103
	v_lshlrev_b32_e32 v103, 16, v112
	v_and_b32_e32 v112, 0xffff, v12
	v_or_b32_e32 v13, v0, v11
	v_or_b32_e32 v14, v14, v100
	;; [unrolled: 1-line block ×3, first 2 shown]
	s_delay_alu instid0(VALU_DEP_4)
	v_or_b32_e32 v11, v103, v112
	s_and_saveexec_b32 s12, vcc_lo
	s_cbranch_execz .LBB348_1133
; %bb.1132:                             ;   in Loop: Header=BB348_934 Depth=1
	v_cmp_lt_i32_e64 s0, v19, v38
	v_lshrrev_b32_e32 v100, 16, v14
	v_lshrrev_b32_e32 v101, 16, v13
	;; [unrolled: 1-line block ×4, first 2 shown]
	v_cndmask_b32_e64 v14, 0, v14, s0
	v_cmp_lt_i32_e64 s0, v97, v55
	s_delay_alu instid0(VALU_DEP_1) | instskip(SKIP_1) | instid1(VALU_DEP_2)
	v_cndmask_b32_e64 v100, 0, v100, s0
	v_cmp_lt_i32_e64 s0, v87, v55
	v_perm_b32 v14, v100, v14, 0x5040100
	s_delay_alu instid0(VALU_DEP_2) | instskip(SKIP_1) | instid1(VALU_DEP_1)
	v_cndmask_b32_e64 v101, 0, v101, s0
	v_cmp_lt_i32_e64 s0, v83, v38
	v_cndmask_b32_e64 v13, 0, v13, s0
	v_cmp_lt_i32_e64 s0, v80, v55
	s_delay_alu instid0(VALU_DEP_2) | instskip(NEXT) | instid1(VALU_DEP_2)
	v_perm_b32 v13, v101, v13, 0x5040100
	v_cndmask_b32_e64 v102, 0, v102, s0
	v_cmp_lt_i32_e64 s0, v71, v38
	s_delay_alu instid0(VALU_DEP_1) | instskip(SKIP_1) | instid1(VALU_DEP_2)
	v_cndmask_b32_e64 v0, 0, v0, s0
	v_cmp_lt_i32_e64 s0, v70, v55
	v_perm_b32 v0, v102, v0, 0x5040100
	s_delay_alu instid0(VALU_DEP_2) | instskip(SKIP_1) | instid1(VALU_DEP_1)
	v_cndmask_b32_e64 v11, 0, v11, s0
	v_cmp_lt_i32_e64 s0, v64, v38
	v_cndmask_b32_e64 v12, 0, v12, s0
	s_delay_alu instid0(VALU_DEP_1)
	v_perm_b32 v11, v11, v12, 0x5040100
.LBB348_1133:                           ;   in Loop: Header=BB348_934 Depth=1
	s_or_b32 exec_lo, exec_lo, s12
	;;#ASMSTART
	v_pk_mul_f16 v12, v96, v14;

	;;#ASMEND
	;;#ASMSTART
	v_pk_mul_f16 v13, v86, v13;

	;;#ASMEND
	;; [unrolled: 4-line block ×4, first 2 shown]
	;;#ASMSTART
	v_pk_add_f16 v12, v12, v13;

	;;#ASMEND
	;;#ASMSTART
	v_pk_add_f16 v0, v12, v0;

	;;#ASMEND
	;; [unrolled: 4-line block ×3, first 2 shown]
	v_dual_mov_b32 v112, 0 :: v_dual_and_b32 v11, 0xffff, v0
	v_lshrrev_b32_e32 v0, 16, v0
	;;#ASMSTART
	v_cvt_f32_f16 v100, v11;
	;;#ASMEND
	;;#ASMSTART
	v_cvt_f32_f16 v101, v0;
	;;#ASMEND
	flat_load_b64 v[11:12], v[9:10] offset:768
	flat_load_b32 v102, v[26:27]
	s_mov_b32 s12, exec_lo
	s_waitcnt vmcnt(1) lgkmcnt(1)
	v_dual_mov_b32 v103, 0 :: v_dual_and_b32 v0, 0xff, v11
	s_delay_alu instid0(VALU_DEP_1)
	v_cmpx_ne_u16_e32 0, v0
	s_cbranch_execz .LBB348_1141
; %bb.1134:                             ;   in Loop: Header=BB348_934 Depth=1
	v_bfrev_b32_e32 v103, 1
	s_mov_b32 s13, exec_lo
	v_cmpx_ne_u16_e32 0x80, v0
	s_cbranch_execz .LBB348_1140
; %bb.1135:                             ;   in Loop: Header=BB348_934 Depth=1
	v_and_b32_e32 v13, 0x7f, v11
	v_mov_b32_e32 v103, 0x7fc02000
	s_mov_b32 s15, exec_lo
	s_delay_alu instid0(VALU_DEP_2)
	v_cmpx_ne_u32_e32 0x7f, v13
	s_cbranch_execz .LBB348_1139
; %bb.1136:                             ;   in Loop: Header=BB348_934 Depth=1
	v_lshrrev_b32_e32 v0, 3, v13
	v_cmp_gt_u32_e64 s0, 8, v13
	v_dual_mov_b32 v14, v12 :: v_dual_mov_b32 v13, v11
	s_delay_alu instid0(VALU_DEP_2)
	s_and_saveexec_b32 s16, s0
; %bb.1137:                             ;   in Loop: Header=BB348_934 Depth=1
	v_and_b32_e32 v0, 7, v11
	s_delay_alu instid0(VALU_DEP_1) | instskip(NEXT) | instid1(VALU_DEP_1)
	v_clz_i32_u32_e32 v0, v0
	v_min_u32_e32 v0, 32, v0
	s_delay_alu instid0(VALU_DEP_1) | instskip(SKIP_1) | instid1(VALU_DEP_2)
	v_subrev_nc_u32_e32 v13, 28, v0
	v_sub_nc_u32_e32 v0, 29, v0
	v_lshlrev_b64 v[13:14], v13, v[11:12]
; %bb.1138:                             ;   in Loop: Header=BB348_934 Depth=1
	s_or_b32 exec_lo, exec_lo, s16
	v_lshlrev_b32_e32 v14, 8, v11
	s_delay_alu instid0(VALU_DEP_3) | instskip(NEXT) | instid1(VALU_DEP_3)
	v_lshl_add_u32 v0, v0, 10, 0x2000
	v_lshlrev_b32_e32 v13, 7, v13
	s_delay_alu instid0(VALU_DEP_2) | instskip(NEXT) | instid1(VALU_DEP_1)
	v_and_or_b32 v0, 0x8000, v14, v0
	v_and_or_b32 v0, 0x380, v13, v0
	s_delay_alu instid0(VALU_DEP_1)
	v_cvt_f32_f16_e32 v103, v0
.LBB348_1139:                           ;   in Loop: Header=BB348_934 Depth=1
	s_or_b32 exec_lo, exec_lo, s15
.LBB348_1140:                           ;   in Loop: Header=BB348_934 Depth=1
	s_delay_alu instid0(SALU_CYCLE_1)
	s_or_b32 exec_lo, exec_lo, s13
.LBB348_1141:                           ;   in Loop: Header=BB348_934 Depth=1
	s_delay_alu instid0(SALU_CYCLE_1) | instskip(SKIP_2) | instid1(VALU_DEP_1)
	s_or_b32 exec_lo, exec_lo, s12
	v_lshrrev_b16 v0, 8, v11
	s_mov_b32 s12, exec_lo
	v_cmpx_ne_u16_e32 0, v0
	s_cbranch_execz .LBB348_1149
; %bb.1142:                             ;   in Loop: Header=BB348_934 Depth=1
	v_bfrev_b32_e32 v112, 1
	s_mov_b32 s13, exec_lo
	v_cmpx_ne_u16_e32 0x80, v0
	s_cbranch_execz .LBB348_1148
; %bb.1143:                             ;   in Loop: Header=BB348_934 Depth=1
	v_and_b32_e32 v113, 0xffff, v0
	v_mov_b32_e32 v112, 0x7fc02000
	s_mov_b32 s15, exec_lo
	s_delay_alu instid0(VALU_DEP_2) | instskip(NEXT) | instid1(VALU_DEP_1)
	v_and_b32_e32 v13, 0x7f, v113
	v_cmpx_ne_u32_e32 0x7f, v13
	s_cbranch_execz .LBB348_1147
; %bb.1144:                             ;   in Loop: Header=BB348_934 Depth=1
	v_and_b32_e32 v0, 7, v113
	v_lshrrev_b32_e32 v112, 3, v13
	v_cmp_gt_u32_e64 s0, 8, v13
	s_delay_alu instid0(VALU_DEP_3) | instskip(NEXT) | instid1(VALU_DEP_2)
	v_dual_mov_b32 v14, v1 :: v_dual_mov_b32 v13, v0
	s_and_saveexec_b32 s16, s0
; %bb.1145:                             ;   in Loop: Header=BB348_934 Depth=1
	v_clz_i32_u32_e32 v13, v0
	s_delay_alu instid0(VALU_DEP_1) | instskip(NEXT) | instid1(VALU_DEP_1)
	v_min_u32_e32 v112, 32, v13
	v_subrev_nc_u32_e32 v13, 28, v112
	v_sub_nc_u32_e32 v112, 29, v112
	s_delay_alu instid0(VALU_DEP_2) | instskip(NEXT) | instid1(VALU_DEP_1)
	v_lshlrev_b64 v[13:14], v13, v[0:1]
	v_and_b32_e32 v13, 7, v13
; %bb.1146:                             ;   in Loop: Header=BB348_934 Depth=1
	s_or_b32 exec_lo, exec_lo, s16
	v_lshlrev_b32_e32 v0, 8, v113
	v_lshl_add_u32 v14, v112, 10, 0x2000
	s_delay_alu instid0(VALU_DEP_1) | instskip(NEXT) | instid1(VALU_DEP_1)
	v_and_or_b32 v0, 0x8000, v0, v14
	v_lshl_or_b32 v0, v13, 7, v0
	s_delay_alu instid0(VALU_DEP_1)
	v_cvt_f32_f16_e32 v112, v0
.LBB348_1147:                           ;   in Loop: Header=BB348_934 Depth=1
	s_or_b32 exec_lo, exec_lo, s15
.LBB348_1148:                           ;   in Loop: Header=BB348_934 Depth=1
	s_delay_alu instid0(SALU_CYCLE_1)
	s_or_b32 exec_lo, exec_lo, s13
.LBB348_1149:                           ;   in Loop: Header=BB348_934 Depth=1
	s_delay_alu instid0(SALU_CYCLE_1) | instskip(SKIP_3) | instid1(VALU_DEP_2)
	s_or_b32 exec_lo, exec_lo, s12
	v_lshrrev_b32_e32 v115, 16, v11
	v_mov_b32_e32 v114, 0
	s_mov_b32 s12, exec_lo
	v_dual_mov_b32 v113, 0 :: v_dual_and_b32 v0, 0xff, v115
	s_delay_alu instid0(VALU_DEP_1)
	v_cmpx_ne_u16_e32 0, v0
	s_cbranch_execz .LBB348_1157
; %bb.1150:                             ;   in Loop: Header=BB348_934 Depth=1
	v_bfrev_b32_e32 v113, 1
	s_mov_b32 s13, exec_lo
	v_cmpx_ne_u16_e32 0x80, v0
	s_cbranch_execz .LBB348_1156
; %bb.1151:                             ;   in Loop: Header=BB348_934 Depth=1
	v_bfe_u32 v13, v11, 16, 7
	v_mov_b32_e32 v113, 0x7fc02000
	s_mov_b32 s15, exec_lo
	s_delay_alu instid0(VALU_DEP_2)
	v_cmpx_ne_u32_e32 0x7f, v13
	s_cbranch_execz .LBB348_1155
; %bb.1152:                             ;   in Loop: Header=BB348_934 Depth=1
	v_and_b32_e32 v0, 7, v115
	v_lshrrev_b32_e32 v113, 3, v13
	v_cmp_gt_u32_e64 s0, 8, v13
	s_delay_alu instid0(VALU_DEP_3) | instskip(NEXT) | instid1(VALU_DEP_2)
	v_dual_mov_b32 v14, v1 :: v_dual_mov_b32 v13, v0
	s_and_saveexec_b32 s16, s0
; %bb.1153:                             ;   in Loop: Header=BB348_934 Depth=1
	v_clz_i32_u32_e32 v13, v0
	s_delay_alu instid0(VALU_DEP_1) | instskip(NEXT) | instid1(VALU_DEP_1)
	v_min_u32_e32 v113, 32, v13
	v_subrev_nc_u32_e32 v13, 28, v113
	v_sub_nc_u32_e32 v113, 29, v113
	s_delay_alu instid0(VALU_DEP_2) | instskip(NEXT) | instid1(VALU_DEP_1)
	v_lshlrev_b64 v[13:14], v13, v[0:1]
	v_and_b32_e32 v13, 7, v13
; %bb.1154:                             ;   in Loop: Header=BB348_934 Depth=1
	s_or_b32 exec_lo, exec_lo, s16
	v_lshlrev_b32_e32 v0, 8, v115
	v_lshl_add_u32 v14, v113, 10, 0x2000
	s_delay_alu instid0(VALU_DEP_1) | instskip(NEXT) | instid1(VALU_DEP_1)
	v_and_or_b32 v0, 0x8000, v0, v14
	v_lshl_or_b32 v0, v13, 7, v0
	s_delay_alu instid0(VALU_DEP_1)
	v_cvt_f32_f16_e32 v113, v0
.LBB348_1155:                           ;   in Loop: Header=BB348_934 Depth=1
	s_or_b32 exec_lo, exec_lo, s15
.LBB348_1156:                           ;   in Loop: Header=BB348_934 Depth=1
	s_delay_alu instid0(SALU_CYCLE_1)
	s_or_b32 exec_lo, exec_lo, s13
.LBB348_1157:                           ;   in Loop: Header=BB348_934 Depth=1
	s_delay_alu instid0(SALU_CYCLE_1) | instskip(NEXT) | instid1(SALU_CYCLE_1)
	s_or_b32 exec_lo, exec_lo, s12
	s_mov_b32 s12, exec_lo
	v_cmpx_lt_u32_e32 0xffffff, v11
	s_cbranch_execz .LBB348_1165
; %bb.1158:                             ;   in Loop: Header=BB348_934 Depth=1
	v_lshrrev_b32_e32 v115, 24, v11
	v_bfrev_b32_e32 v114, 1
	s_mov_b32 s13, exec_lo
	s_delay_alu instid0(VALU_DEP_2)
	v_cmpx_ne_u32_e32 0x80, v115
	s_cbranch_execz .LBB348_1164
; %bb.1159:                             ;   in Loop: Header=BB348_934 Depth=1
	v_and_b32_e32 v13, 0x7f, v115
	v_mov_b32_e32 v114, 0x7fc02000
	s_mov_b32 s15, exec_lo
	s_delay_alu instid0(VALU_DEP_2)
	v_cmpx_ne_u32_e32 0x7f, v13
	s_cbranch_execz .LBB348_1163
; %bb.1160:                             ;   in Loop: Header=BB348_934 Depth=1
	v_and_b32_e32 v0, 7, v115
	v_lshrrev_b32_e32 v114, 3, v13
	v_cmp_gt_u32_e64 s0, 8, v13
	s_delay_alu instid0(VALU_DEP_3) | instskip(NEXT) | instid1(VALU_DEP_2)
	v_dual_mov_b32 v14, v1 :: v_dual_mov_b32 v13, v0
	s_and_saveexec_b32 s16, s0
; %bb.1161:                             ;   in Loop: Header=BB348_934 Depth=1
	v_clz_i32_u32_e32 v13, v0
	s_delay_alu instid0(VALU_DEP_1) | instskip(NEXT) | instid1(VALU_DEP_1)
	v_min_u32_e32 v114, 32, v13
	v_subrev_nc_u32_e32 v13, 28, v114
	v_sub_nc_u32_e32 v114, 29, v114
	s_delay_alu instid0(VALU_DEP_2) | instskip(NEXT) | instid1(VALU_DEP_1)
	v_lshlrev_b64 v[13:14], v13, v[0:1]
	v_and_b32_e32 v13, 7, v13
; %bb.1162:                             ;   in Loop: Header=BB348_934 Depth=1
	s_or_b32 exec_lo, exec_lo, s16
	v_lshlrev_b32_e32 v0, 8, v115
	v_lshl_add_u32 v14, v114, 10, 0x2000
	s_delay_alu instid0(VALU_DEP_1) | instskip(NEXT) | instid1(VALU_DEP_1)
	v_and_or_b32 v0, 0x8000, v0, v14
	v_lshl_or_b32 v0, v13, 7, v0
	s_delay_alu instid0(VALU_DEP_1)
	v_cvt_f32_f16_e32 v114, v0
.LBB348_1163:                           ;   in Loop: Header=BB348_934 Depth=1
	s_or_b32 exec_lo, exec_lo, s15
.LBB348_1164:                           ;   in Loop: Header=BB348_934 Depth=1
	s_delay_alu instid0(SALU_CYCLE_1)
	s_or_b32 exec_lo, exec_lo, s13
.LBB348_1165:                           ;   in Loop: Header=BB348_934 Depth=1
	s_delay_alu instid0(SALU_CYCLE_1) | instskip(SKIP_3) | instid1(VALU_DEP_2)
	s_or_b32 exec_lo, exec_lo, s12
	v_dual_mov_b32 v0, v12 :: v_dual_and_b32 v13, 0xff, v12
	v_dual_mov_b32 v116, 0 :: v_dual_mov_b32 v115, 0
	s_mov_b32 s12, exec_lo
	v_cmpx_ne_u16_e32 0, v13
	s_cbranch_execz .LBB348_1173
; %bb.1166:                             ;   in Loop: Header=BB348_934 Depth=1
	v_bfrev_b32_e32 v115, 1
	s_mov_b32 s13, exec_lo
	v_cmpx_ne_u16_e32 0x80, v13
	s_cbranch_execz .LBB348_1172
; %bb.1167:                             ;   in Loop: Header=BB348_934 Depth=1
	v_and_b32_e32 v13, 0x7f, v12
	v_mov_b32_e32 v115, 0x7fc02000
	s_mov_b32 s15, exec_lo
	s_delay_alu instid0(VALU_DEP_2)
	v_cmpx_ne_u32_e32 0x7f, v13
	s_cbranch_execz .LBB348_1171
; %bb.1168:                             ;   in Loop: Header=BB348_934 Depth=1
	v_lshrrev_b32_e32 v115, 3, v13
	v_cmp_gt_u32_e64 s0, 8, v13
	v_dual_mov_b32 v14, v1 :: v_dual_mov_b32 v13, v0
	s_delay_alu instid0(VALU_DEP_2)
	s_and_saveexec_b32 s16, s0
; %bb.1169:                             ;   in Loop: Header=BB348_934 Depth=1
	v_and_b32_e32 v13, 7, v12
	s_delay_alu instid0(VALU_DEP_1) | instskip(NEXT) | instid1(VALU_DEP_1)
	v_clz_i32_u32_e32 v13, v13
	v_min_u32_e32 v115, 32, v13
	s_delay_alu instid0(VALU_DEP_1) | instskip(SKIP_1) | instid1(VALU_DEP_2)
	v_subrev_nc_u32_e32 v13, 28, v115
	v_sub_nc_u32_e32 v115, 29, v115
	v_lshlrev_b64 v[13:14], v13, v[0:1]
; %bb.1170:                             ;   in Loop: Header=BB348_934 Depth=1
	s_or_b32 exec_lo, exec_lo, s16
	v_lshlrev_b32_e32 v14, 8, v12
	s_delay_alu instid0(VALU_DEP_3) | instskip(NEXT) | instid1(VALU_DEP_3)
	v_lshl_add_u32 v115, v115, 10, 0x2000
	v_lshlrev_b32_e32 v13, 7, v13
	s_delay_alu instid0(VALU_DEP_2) | instskip(NEXT) | instid1(VALU_DEP_1)
	v_and_or_b32 v14, 0x8000, v14, v115
	v_and_or_b32 v13, 0x380, v13, v14
	s_delay_alu instid0(VALU_DEP_1)
	v_cvt_f32_f16_e32 v115, v13
.LBB348_1171:                           ;   in Loop: Header=BB348_934 Depth=1
	s_or_b32 exec_lo, exec_lo, s15
.LBB348_1172:                           ;   in Loop: Header=BB348_934 Depth=1
	s_delay_alu instid0(SALU_CYCLE_1)
	s_or_b32 exec_lo, exec_lo, s13
.LBB348_1173:                           ;   in Loop: Header=BB348_934 Depth=1
	s_delay_alu instid0(SALU_CYCLE_1) | instskip(SKIP_2) | instid1(VALU_DEP_1)
	s_or_b32 exec_lo, exec_lo, s12
	v_lshrrev_b16 v0, 8, v0
	s_mov_b32 s12, exec_lo
	v_cmpx_ne_u16_e32 0, v0
	s_cbranch_execz .LBB348_1181
; %bb.1174:                             ;   in Loop: Header=BB348_934 Depth=1
	v_bfrev_b32_e32 v116, 1
	s_mov_b32 s13, exec_lo
	v_cmpx_ne_u16_e32 0x80, v0
	s_cbranch_execz .LBB348_1180
; %bb.1175:                             ;   in Loop: Header=BB348_934 Depth=1
	v_and_b32_e32 v117, 0xffff, v0
	v_mov_b32_e32 v116, 0x7fc02000
	s_mov_b32 s15, exec_lo
	s_delay_alu instid0(VALU_DEP_2) | instskip(NEXT) | instid1(VALU_DEP_1)
	v_and_b32_e32 v13, 0x7f, v117
	v_cmpx_ne_u32_e32 0x7f, v13
	s_cbranch_execz .LBB348_1179
; %bb.1176:                             ;   in Loop: Header=BB348_934 Depth=1
	v_and_b32_e32 v0, 7, v117
	v_lshrrev_b32_e32 v116, 3, v13
	v_cmp_gt_u32_e64 s0, 8, v13
	s_delay_alu instid0(VALU_DEP_3) | instskip(NEXT) | instid1(VALU_DEP_2)
	v_dual_mov_b32 v14, v1 :: v_dual_mov_b32 v13, v0
	s_and_saveexec_b32 s16, s0
; %bb.1177:                             ;   in Loop: Header=BB348_934 Depth=1
	v_clz_i32_u32_e32 v13, v0
	s_delay_alu instid0(VALU_DEP_1) | instskip(NEXT) | instid1(VALU_DEP_1)
	v_min_u32_e32 v116, 32, v13
	v_subrev_nc_u32_e32 v13, 28, v116
	v_sub_nc_u32_e32 v116, 29, v116
	s_delay_alu instid0(VALU_DEP_2) | instskip(NEXT) | instid1(VALU_DEP_1)
	v_lshlrev_b64 v[13:14], v13, v[0:1]
	v_and_b32_e32 v13, 7, v13
; %bb.1178:                             ;   in Loop: Header=BB348_934 Depth=1
	s_or_b32 exec_lo, exec_lo, s16
	v_lshlrev_b32_e32 v0, 8, v117
	v_lshl_add_u32 v14, v116, 10, 0x2000
	s_delay_alu instid0(VALU_DEP_1) | instskip(NEXT) | instid1(VALU_DEP_1)
	v_and_or_b32 v0, 0x8000, v0, v14
	v_lshl_or_b32 v0, v13, 7, v0
	s_delay_alu instid0(VALU_DEP_1)
	v_cvt_f32_f16_e32 v116, v0
.LBB348_1179:                           ;   in Loop: Header=BB348_934 Depth=1
	s_or_b32 exec_lo, exec_lo, s15
.LBB348_1180:                           ;   in Loop: Header=BB348_934 Depth=1
	s_delay_alu instid0(SALU_CYCLE_1)
	s_or_b32 exec_lo, exec_lo, s13
.LBB348_1181:                           ;   in Loop: Header=BB348_934 Depth=1
	s_delay_alu instid0(SALU_CYCLE_1) | instskip(SKIP_3) | instid1(VALU_DEP_2)
	s_or_b32 exec_lo, exec_lo, s12
	v_lshrrev_b32_e32 v118, 16, v12
	v_mov_b32_e32 v13, 0
	s_mov_b32 s12, exec_lo
	v_dual_mov_b32 v117, 0 :: v_dual_and_b32 v0, 0xff, v118
	s_delay_alu instid0(VALU_DEP_1)
	v_cmpx_ne_u16_e32 0, v0
	s_cbranch_execz .LBB348_1189
; %bb.1182:                             ;   in Loop: Header=BB348_934 Depth=1
	v_bfrev_b32_e32 v13, 1
	s_mov_b32 s13, exec_lo
	v_cmpx_ne_u16_e32 0x80, v0
	s_cbranch_execz .LBB348_1188
; %bb.1183:                             ;   in Loop: Header=BB348_934 Depth=1
	v_bfe_u32 v14, v12, 16, 7
	v_mov_b32_e32 v13, 0x7fc02000
	s_mov_b32 s15, exec_lo
	s_delay_alu instid0(VALU_DEP_2)
	v_cmpx_ne_u32_e32 0x7f, v14
	s_cbranch_execz .LBB348_1187
; %bb.1184:                             ;   in Loop: Header=BB348_934 Depth=1
	v_and_b32_e32 v0, 7, v118
	v_lshrrev_b32_e32 v119, 3, v14
	v_cmp_gt_u32_e64 s0, 8, v14
	s_delay_alu instid0(VALU_DEP_3) | instskip(NEXT) | instid1(VALU_DEP_2)
	v_dual_mov_b32 v14, v1 :: v_dual_mov_b32 v13, v0
	s_and_saveexec_b32 s16, s0
; %bb.1185:                             ;   in Loop: Header=BB348_934 Depth=1
	v_clz_i32_u32_e32 v13, v0
	s_delay_alu instid0(VALU_DEP_1) | instskip(NEXT) | instid1(VALU_DEP_1)
	v_min_u32_e32 v119, 32, v13
	v_subrev_nc_u32_e32 v13, 28, v119
	v_sub_nc_u32_e32 v119, 29, v119
	s_delay_alu instid0(VALU_DEP_2) | instskip(NEXT) | instid1(VALU_DEP_1)
	v_lshlrev_b64 v[13:14], v13, v[0:1]
	v_and_b32_e32 v13, 7, v13
; %bb.1186:                             ;   in Loop: Header=BB348_934 Depth=1
	s_or_b32 exec_lo, exec_lo, s16
	v_lshlrev_b32_e32 v0, 8, v118
	v_lshl_add_u32 v14, v119, 10, 0x2000
	s_delay_alu instid0(VALU_DEP_1) | instskip(NEXT) | instid1(VALU_DEP_1)
	v_and_or_b32 v0, 0x8000, v0, v14
	v_lshl_or_b32 v0, v13, 7, v0
	s_delay_alu instid0(VALU_DEP_1)
	v_cvt_f32_f16_e32 v13, v0
.LBB348_1187:                           ;   in Loop: Header=BB348_934 Depth=1
	s_or_b32 exec_lo, exec_lo, s15
.LBB348_1188:                           ;   in Loop: Header=BB348_934 Depth=1
	s_delay_alu instid0(SALU_CYCLE_1)
	s_or_b32 exec_lo, exec_lo, s13
.LBB348_1189:                           ;   in Loop: Header=BB348_934 Depth=1
	s_delay_alu instid0(SALU_CYCLE_1) | instskip(NEXT) | instid1(SALU_CYCLE_1)
	s_or_b32 exec_lo, exec_lo, s12
	s_mov_b32 s12, exec_lo
	v_cmpx_lt_u64_e64 s[8:9], v[11:12]
	s_cbranch_execz .LBB348_1197
; %bb.1190:                             ;   in Loop: Header=BB348_934 Depth=1
	v_lshrrev_b32_e32 v14, 24, v12
	v_bfrev_b32_e32 v117, 1
	s_mov_b32 s13, exec_lo
	s_delay_alu instid0(VALU_DEP_2)
	v_cmpx_ne_u32_e32 0x80, v14
	s_cbranch_execz .LBB348_1196
; %bb.1191:                             ;   in Loop: Header=BB348_934 Depth=1
	v_and_b32_e32 v11, 0x7f, v14
	v_mov_b32_e32 v117, 0x7fc02000
	s_mov_b32 s15, exec_lo
	s_delay_alu instid0(VALU_DEP_2)
	v_cmpx_ne_u32_e32 0x7f, v11
	s_cbranch_execz .LBB348_1195
; %bb.1192:                             ;   in Loop: Header=BB348_934 Depth=1
	v_and_b32_e32 v0, 7, v14
	v_lshrrev_b32_e32 v117, 3, v11
	v_cmp_gt_u32_e64 s0, 8, v11
	s_delay_alu instid0(VALU_DEP_3) | instskip(NEXT) | instid1(VALU_DEP_2)
	v_dual_mov_b32 v12, v1 :: v_dual_mov_b32 v11, v0
	s_and_saveexec_b32 s16, s0
; %bb.1193:                             ;   in Loop: Header=BB348_934 Depth=1
	v_clz_i32_u32_e32 v11, v0
	s_delay_alu instid0(VALU_DEP_1) | instskip(NEXT) | instid1(VALU_DEP_1)
	v_min_u32_e32 v117, 32, v11
	v_subrev_nc_u32_e32 v11, 28, v117
	v_sub_nc_u32_e32 v117, 29, v117
	s_delay_alu instid0(VALU_DEP_2) | instskip(NEXT) | instid1(VALU_DEP_1)
	v_lshlrev_b64 v[11:12], v11, v[0:1]
	v_and_b32_e32 v11, 7, v11
; %bb.1194:                             ;   in Loop: Header=BB348_934 Depth=1
	s_or_b32 exec_lo, exec_lo, s16
	v_lshlrev_b32_e32 v0, 8, v14
	v_lshl_add_u32 v12, v117, 10, 0x2000
	s_delay_alu instid0(VALU_DEP_1) | instskip(NEXT) | instid1(VALU_DEP_1)
	v_and_or_b32 v0, 0x8000, v0, v12
	v_lshl_or_b32 v0, v11, 7, v0
	s_delay_alu instid0(VALU_DEP_1)
	v_cvt_f32_f16_e32 v117, v0
.LBB348_1195:                           ;   in Loop: Header=BB348_934 Depth=1
	s_or_b32 exec_lo, exec_lo, s15
.LBB348_1196:                           ;   in Loop: Header=BB348_934 Depth=1
	s_delay_alu instid0(SALU_CYCLE_1)
	s_or_b32 exec_lo, exec_lo, s13
.LBB348_1197:                           ;   in Loop: Header=BB348_934 Depth=1
	s_delay_alu instid0(SALU_CYCLE_1)
	s_or_b32 exec_lo, exec_lo, s12
	s_waitcnt vmcnt(0) lgkmcnt(0)
	v_fma_mixlo_f16 v12, v102, v112, 0
	v_fma_mixlo_f16 v0, v102, v114, 0
	;; [unrolled: 1-line block ×5, first 2 shown]
	v_lshlrev_b32_e32 v14, 16, v12
	v_fma_mixlo_f16 v113, v102, v115, 0
	v_fma_mixlo_f16 v114, v102, v117, 0
	;; [unrolled: 1-line block ×3, first 2 shown]
	v_lshlrev_b32_e32 v0, 16, v0
	v_and_b32_e32 v11, 0xffff, v11
	v_and_b32_e32 v102, 0xffff, v103
	v_lshlrev_b32_e32 v103, 16, v112
	v_and_b32_e32 v112, 0xffff, v113
	v_lshlrev_b32_e32 v113, 16, v114
	v_and_b32_e32 v114, 0xffff, v12
	v_or_b32_e32 v13, v0, v11
	v_or_b32_e32 v14, v14, v102
	;; [unrolled: 1-line block ×3, first 2 shown]
	s_delay_alu instid0(VALU_DEP_4)
	v_or_b32_e32 v11, v113, v114
	s_and_saveexec_b32 s12, vcc_lo
	s_cbranch_execz .LBB348_1199
; %bb.1198:                             ;   in Loop: Header=BB348_934 Depth=1
	v_cmp_lt_i32_e64 s0, v19, v38
	v_lshrrev_b32_e32 v102, 16, v14
	v_lshrrev_b32_e32 v103, 16, v13
	;; [unrolled: 1-line block ×4, first 2 shown]
	v_cndmask_b32_e64 v14, 0, v14, s0
	v_cmp_lt_i32_e64 s0, v97, v55
	s_delay_alu instid0(VALU_DEP_1) | instskip(SKIP_1) | instid1(VALU_DEP_2)
	v_cndmask_b32_e64 v102, 0, v102, s0
	v_cmp_lt_i32_e64 s0, v87, v55
	v_perm_b32 v14, v102, v14, 0x5040100
	s_delay_alu instid0(VALU_DEP_2) | instskip(SKIP_1) | instid1(VALU_DEP_1)
	v_cndmask_b32_e64 v103, 0, v103, s0
	v_cmp_lt_i32_e64 s0, v83, v38
	v_cndmask_b32_e64 v13, 0, v13, s0
	v_cmp_lt_i32_e64 s0, v80, v55
	s_delay_alu instid0(VALU_DEP_2) | instskip(NEXT) | instid1(VALU_DEP_2)
	v_perm_b32 v13, v103, v13, 0x5040100
	v_cndmask_b32_e64 v112, 0, v112, s0
	v_cmp_lt_i32_e64 s0, v71, v38
	s_delay_alu instid0(VALU_DEP_1) | instskip(SKIP_1) | instid1(VALU_DEP_2)
	v_cndmask_b32_e64 v0, 0, v0, s0
	v_cmp_lt_i32_e64 s0, v70, v55
	v_perm_b32 v0, v112, v0, 0x5040100
	s_delay_alu instid0(VALU_DEP_2) | instskip(SKIP_1) | instid1(VALU_DEP_1)
	v_cndmask_b32_e64 v11, 0, v11, s0
	v_cmp_lt_i32_e64 s0, v64, v38
	v_cndmask_b32_e64 v12, 0, v12, s0
	s_delay_alu instid0(VALU_DEP_1)
	v_perm_b32 v11, v11, v12, 0x5040100
.LBB348_1199:                           ;   in Loop: Header=BB348_934 Depth=1
	s_or_b32 exec_lo, exec_lo, s12
	;;#ASMSTART
	v_pk_mul_f16 v12, v96, v14;

	;;#ASMEND
	;;#ASMSTART
	v_pk_mul_f16 v13, v86, v13;

	;;#ASMEND
	;; [unrolled: 4-line block ×4, first 2 shown]
	;;#ASMSTART
	v_pk_add_f16 v12, v12, v13;

	;;#ASMEND
	;;#ASMSTART
	v_pk_add_f16 v0, v12, v0;

	;;#ASMEND
	;; [unrolled: 4-line block ×3, first 2 shown]
	v_dual_mov_b32 v114, 0 :: v_dual_and_b32 v11, 0xffff, v0
	v_lshrrev_b32_e32 v0, 16, v0
	;;#ASMSTART
	v_cvt_f32_f16 v102, v11;
	;;#ASMEND
	;;#ASMSTART
	v_cvt_f32_f16 v103, v0;
	;;#ASMEND
	flat_load_b64 v[11:12], v[9:10] offset:1024
	flat_load_b32 v112, v[26:27]
	s_mov_b32 s12, exec_lo
	s_waitcnt vmcnt(1) lgkmcnt(1)
	v_dual_mov_b32 v113, 0 :: v_dual_and_b32 v0, 0xff, v11
	s_delay_alu instid0(VALU_DEP_1)
	v_cmpx_ne_u16_e32 0, v0
	s_cbranch_execz .LBB348_1207
; %bb.1200:                             ;   in Loop: Header=BB348_934 Depth=1
	v_bfrev_b32_e32 v113, 1
	s_mov_b32 s13, exec_lo
	v_cmpx_ne_u16_e32 0x80, v0
	s_cbranch_execz .LBB348_1206
; %bb.1201:                             ;   in Loop: Header=BB348_934 Depth=1
	v_and_b32_e32 v13, 0x7f, v11
	v_mov_b32_e32 v113, 0x7fc02000
	s_mov_b32 s15, exec_lo
	s_delay_alu instid0(VALU_DEP_2)
	v_cmpx_ne_u32_e32 0x7f, v13
	s_cbranch_execz .LBB348_1205
; %bb.1202:                             ;   in Loop: Header=BB348_934 Depth=1
	v_lshrrev_b32_e32 v0, 3, v13
	v_cmp_gt_u32_e64 s0, 8, v13
	v_dual_mov_b32 v14, v12 :: v_dual_mov_b32 v13, v11
	s_delay_alu instid0(VALU_DEP_2)
	s_and_saveexec_b32 s16, s0
; %bb.1203:                             ;   in Loop: Header=BB348_934 Depth=1
	v_and_b32_e32 v0, 7, v11
	s_delay_alu instid0(VALU_DEP_1) | instskip(NEXT) | instid1(VALU_DEP_1)
	v_clz_i32_u32_e32 v0, v0
	v_min_u32_e32 v0, 32, v0
	s_delay_alu instid0(VALU_DEP_1) | instskip(SKIP_1) | instid1(VALU_DEP_2)
	v_subrev_nc_u32_e32 v13, 28, v0
	v_sub_nc_u32_e32 v0, 29, v0
	v_lshlrev_b64 v[13:14], v13, v[11:12]
; %bb.1204:                             ;   in Loop: Header=BB348_934 Depth=1
	s_or_b32 exec_lo, exec_lo, s16
	v_lshlrev_b32_e32 v14, 8, v11
	s_delay_alu instid0(VALU_DEP_3) | instskip(NEXT) | instid1(VALU_DEP_3)
	v_lshl_add_u32 v0, v0, 10, 0x2000
	v_lshlrev_b32_e32 v13, 7, v13
	s_delay_alu instid0(VALU_DEP_2) | instskip(NEXT) | instid1(VALU_DEP_1)
	v_and_or_b32 v0, 0x8000, v14, v0
	v_and_or_b32 v0, 0x380, v13, v0
	s_delay_alu instid0(VALU_DEP_1)
	v_cvt_f32_f16_e32 v113, v0
.LBB348_1205:                           ;   in Loop: Header=BB348_934 Depth=1
	s_or_b32 exec_lo, exec_lo, s15
.LBB348_1206:                           ;   in Loop: Header=BB348_934 Depth=1
	s_delay_alu instid0(SALU_CYCLE_1)
	s_or_b32 exec_lo, exec_lo, s13
.LBB348_1207:                           ;   in Loop: Header=BB348_934 Depth=1
	s_delay_alu instid0(SALU_CYCLE_1) | instskip(SKIP_2) | instid1(VALU_DEP_1)
	s_or_b32 exec_lo, exec_lo, s12
	v_lshrrev_b16 v0, 8, v11
	s_mov_b32 s12, exec_lo
	v_cmpx_ne_u16_e32 0, v0
	s_cbranch_execz .LBB348_1215
; %bb.1208:                             ;   in Loop: Header=BB348_934 Depth=1
	v_bfrev_b32_e32 v114, 1
	s_mov_b32 s13, exec_lo
	v_cmpx_ne_u16_e32 0x80, v0
	s_cbranch_execz .LBB348_1214
; %bb.1209:                             ;   in Loop: Header=BB348_934 Depth=1
	v_and_b32_e32 v115, 0xffff, v0
	v_mov_b32_e32 v114, 0x7fc02000
	s_mov_b32 s15, exec_lo
	s_delay_alu instid0(VALU_DEP_2) | instskip(NEXT) | instid1(VALU_DEP_1)
	v_and_b32_e32 v13, 0x7f, v115
	v_cmpx_ne_u32_e32 0x7f, v13
	s_cbranch_execz .LBB348_1213
; %bb.1210:                             ;   in Loop: Header=BB348_934 Depth=1
	v_and_b32_e32 v0, 7, v115
	v_lshrrev_b32_e32 v114, 3, v13
	v_cmp_gt_u32_e64 s0, 8, v13
	s_delay_alu instid0(VALU_DEP_3) | instskip(NEXT) | instid1(VALU_DEP_2)
	v_dual_mov_b32 v14, v1 :: v_dual_mov_b32 v13, v0
	s_and_saveexec_b32 s16, s0
; %bb.1211:                             ;   in Loop: Header=BB348_934 Depth=1
	v_clz_i32_u32_e32 v13, v0
	s_delay_alu instid0(VALU_DEP_1) | instskip(NEXT) | instid1(VALU_DEP_1)
	v_min_u32_e32 v114, 32, v13
	v_subrev_nc_u32_e32 v13, 28, v114
	v_sub_nc_u32_e32 v114, 29, v114
	s_delay_alu instid0(VALU_DEP_2) | instskip(NEXT) | instid1(VALU_DEP_1)
	v_lshlrev_b64 v[13:14], v13, v[0:1]
	v_and_b32_e32 v13, 7, v13
; %bb.1212:                             ;   in Loop: Header=BB348_934 Depth=1
	s_or_b32 exec_lo, exec_lo, s16
	v_lshlrev_b32_e32 v0, 8, v115
	v_lshl_add_u32 v14, v114, 10, 0x2000
	s_delay_alu instid0(VALU_DEP_1) | instskip(NEXT) | instid1(VALU_DEP_1)
	v_and_or_b32 v0, 0x8000, v0, v14
	v_lshl_or_b32 v0, v13, 7, v0
	s_delay_alu instid0(VALU_DEP_1)
	v_cvt_f32_f16_e32 v114, v0
.LBB348_1213:                           ;   in Loop: Header=BB348_934 Depth=1
	s_or_b32 exec_lo, exec_lo, s15
.LBB348_1214:                           ;   in Loop: Header=BB348_934 Depth=1
	s_delay_alu instid0(SALU_CYCLE_1)
	s_or_b32 exec_lo, exec_lo, s13
.LBB348_1215:                           ;   in Loop: Header=BB348_934 Depth=1
	s_delay_alu instid0(SALU_CYCLE_1) | instskip(SKIP_3) | instid1(VALU_DEP_2)
	s_or_b32 exec_lo, exec_lo, s12
	v_lshrrev_b32_e32 v117, 16, v11
	v_mov_b32_e32 v116, 0
	s_mov_b32 s12, exec_lo
	v_dual_mov_b32 v115, 0 :: v_dual_and_b32 v0, 0xff, v117
	s_delay_alu instid0(VALU_DEP_1)
	v_cmpx_ne_u16_e32 0, v0
	s_cbranch_execz .LBB348_1223
; %bb.1216:                             ;   in Loop: Header=BB348_934 Depth=1
	v_bfrev_b32_e32 v115, 1
	s_mov_b32 s13, exec_lo
	v_cmpx_ne_u16_e32 0x80, v0
	s_cbranch_execz .LBB348_1222
; %bb.1217:                             ;   in Loop: Header=BB348_934 Depth=1
	v_bfe_u32 v13, v11, 16, 7
	v_mov_b32_e32 v115, 0x7fc02000
	s_mov_b32 s15, exec_lo
	s_delay_alu instid0(VALU_DEP_2)
	v_cmpx_ne_u32_e32 0x7f, v13
	s_cbranch_execz .LBB348_1221
; %bb.1218:                             ;   in Loop: Header=BB348_934 Depth=1
	v_and_b32_e32 v0, 7, v117
	v_lshrrev_b32_e32 v115, 3, v13
	v_cmp_gt_u32_e64 s0, 8, v13
	s_delay_alu instid0(VALU_DEP_3) | instskip(NEXT) | instid1(VALU_DEP_2)
	v_dual_mov_b32 v14, v1 :: v_dual_mov_b32 v13, v0
	s_and_saveexec_b32 s16, s0
; %bb.1219:                             ;   in Loop: Header=BB348_934 Depth=1
	v_clz_i32_u32_e32 v13, v0
	s_delay_alu instid0(VALU_DEP_1) | instskip(NEXT) | instid1(VALU_DEP_1)
	v_min_u32_e32 v115, 32, v13
	v_subrev_nc_u32_e32 v13, 28, v115
	v_sub_nc_u32_e32 v115, 29, v115
	s_delay_alu instid0(VALU_DEP_2) | instskip(NEXT) | instid1(VALU_DEP_1)
	v_lshlrev_b64 v[13:14], v13, v[0:1]
	v_and_b32_e32 v13, 7, v13
; %bb.1220:                             ;   in Loop: Header=BB348_934 Depth=1
	s_or_b32 exec_lo, exec_lo, s16
	v_lshlrev_b32_e32 v0, 8, v117
	v_lshl_add_u32 v14, v115, 10, 0x2000
	s_delay_alu instid0(VALU_DEP_1) | instskip(NEXT) | instid1(VALU_DEP_1)
	v_and_or_b32 v0, 0x8000, v0, v14
	v_lshl_or_b32 v0, v13, 7, v0
	s_delay_alu instid0(VALU_DEP_1)
	v_cvt_f32_f16_e32 v115, v0
.LBB348_1221:                           ;   in Loop: Header=BB348_934 Depth=1
	s_or_b32 exec_lo, exec_lo, s15
.LBB348_1222:                           ;   in Loop: Header=BB348_934 Depth=1
	s_delay_alu instid0(SALU_CYCLE_1)
	s_or_b32 exec_lo, exec_lo, s13
.LBB348_1223:                           ;   in Loop: Header=BB348_934 Depth=1
	s_delay_alu instid0(SALU_CYCLE_1) | instskip(NEXT) | instid1(SALU_CYCLE_1)
	s_or_b32 exec_lo, exec_lo, s12
	s_mov_b32 s12, exec_lo
	v_cmpx_lt_u32_e32 0xffffff, v11
	s_cbranch_execz .LBB348_1231
; %bb.1224:                             ;   in Loop: Header=BB348_934 Depth=1
	v_lshrrev_b32_e32 v117, 24, v11
	v_bfrev_b32_e32 v116, 1
	s_mov_b32 s13, exec_lo
	s_delay_alu instid0(VALU_DEP_2)
	v_cmpx_ne_u32_e32 0x80, v117
	s_cbranch_execz .LBB348_1230
; %bb.1225:                             ;   in Loop: Header=BB348_934 Depth=1
	v_and_b32_e32 v13, 0x7f, v117
	v_mov_b32_e32 v116, 0x7fc02000
	s_mov_b32 s15, exec_lo
	s_delay_alu instid0(VALU_DEP_2)
	v_cmpx_ne_u32_e32 0x7f, v13
	s_cbranch_execz .LBB348_1229
; %bb.1226:                             ;   in Loop: Header=BB348_934 Depth=1
	v_and_b32_e32 v0, 7, v117
	v_lshrrev_b32_e32 v116, 3, v13
	v_cmp_gt_u32_e64 s0, 8, v13
	s_delay_alu instid0(VALU_DEP_3) | instskip(NEXT) | instid1(VALU_DEP_2)
	v_dual_mov_b32 v14, v1 :: v_dual_mov_b32 v13, v0
	s_and_saveexec_b32 s16, s0
; %bb.1227:                             ;   in Loop: Header=BB348_934 Depth=1
	v_clz_i32_u32_e32 v13, v0
	s_delay_alu instid0(VALU_DEP_1) | instskip(NEXT) | instid1(VALU_DEP_1)
	v_min_u32_e32 v116, 32, v13
	v_subrev_nc_u32_e32 v13, 28, v116
	v_sub_nc_u32_e32 v116, 29, v116
	s_delay_alu instid0(VALU_DEP_2) | instskip(NEXT) | instid1(VALU_DEP_1)
	v_lshlrev_b64 v[13:14], v13, v[0:1]
	v_and_b32_e32 v13, 7, v13
; %bb.1228:                             ;   in Loop: Header=BB348_934 Depth=1
	s_or_b32 exec_lo, exec_lo, s16
	v_lshlrev_b32_e32 v0, 8, v117
	v_lshl_add_u32 v14, v116, 10, 0x2000
	s_delay_alu instid0(VALU_DEP_1) | instskip(NEXT) | instid1(VALU_DEP_1)
	v_and_or_b32 v0, 0x8000, v0, v14
	v_lshl_or_b32 v0, v13, 7, v0
	s_delay_alu instid0(VALU_DEP_1)
	v_cvt_f32_f16_e32 v116, v0
.LBB348_1229:                           ;   in Loop: Header=BB348_934 Depth=1
	s_or_b32 exec_lo, exec_lo, s15
.LBB348_1230:                           ;   in Loop: Header=BB348_934 Depth=1
	s_delay_alu instid0(SALU_CYCLE_1)
	s_or_b32 exec_lo, exec_lo, s13
.LBB348_1231:                           ;   in Loop: Header=BB348_934 Depth=1
	s_delay_alu instid0(SALU_CYCLE_1) | instskip(SKIP_3) | instid1(VALU_DEP_2)
	s_or_b32 exec_lo, exec_lo, s12
	v_dual_mov_b32 v0, v12 :: v_dual_and_b32 v13, 0xff, v12
	v_dual_mov_b32 v118, 0 :: v_dual_mov_b32 v117, 0
	s_mov_b32 s12, exec_lo
	v_cmpx_ne_u16_e32 0, v13
	s_cbranch_execz .LBB348_1239
; %bb.1232:                             ;   in Loop: Header=BB348_934 Depth=1
	v_bfrev_b32_e32 v117, 1
	s_mov_b32 s13, exec_lo
	v_cmpx_ne_u16_e32 0x80, v13
	s_cbranch_execz .LBB348_1238
; %bb.1233:                             ;   in Loop: Header=BB348_934 Depth=1
	v_and_b32_e32 v13, 0x7f, v12
	v_mov_b32_e32 v117, 0x7fc02000
	s_mov_b32 s15, exec_lo
	s_delay_alu instid0(VALU_DEP_2)
	v_cmpx_ne_u32_e32 0x7f, v13
	s_cbranch_execz .LBB348_1237
; %bb.1234:                             ;   in Loop: Header=BB348_934 Depth=1
	v_lshrrev_b32_e32 v117, 3, v13
	v_cmp_gt_u32_e64 s0, 8, v13
	v_dual_mov_b32 v14, v1 :: v_dual_mov_b32 v13, v0
	s_delay_alu instid0(VALU_DEP_2)
	s_and_saveexec_b32 s16, s0
; %bb.1235:                             ;   in Loop: Header=BB348_934 Depth=1
	v_and_b32_e32 v13, 7, v12
	s_delay_alu instid0(VALU_DEP_1) | instskip(NEXT) | instid1(VALU_DEP_1)
	v_clz_i32_u32_e32 v13, v13
	v_min_u32_e32 v117, 32, v13
	s_delay_alu instid0(VALU_DEP_1) | instskip(SKIP_1) | instid1(VALU_DEP_2)
	v_subrev_nc_u32_e32 v13, 28, v117
	v_sub_nc_u32_e32 v117, 29, v117
	v_lshlrev_b64 v[13:14], v13, v[0:1]
; %bb.1236:                             ;   in Loop: Header=BB348_934 Depth=1
	s_or_b32 exec_lo, exec_lo, s16
	v_lshlrev_b32_e32 v14, 8, v12
	s_delay_alu instid0(VALU_DEP_3) | instskip(NEXT) | instid1(VALU_DEP_3)
	v_lshl_add_u32 v117, v117, 10, 0x2000
	v_lshlrev_b32_e32 v13, 7, v13
	s_delay_alu instid0(VALU_DEP_2) | instskip(NEXT) | instid1(VALU_DEP_1)
	v_and_or_b32 v14, 0x8000, v14, v117
	v_and_or_b32 v13, 0x380, v13, v14
	s_delay_alu instid0(VALU_DEP_1)
	v_cvt_f32_f16_e32 v117, v13
.LBB348_1237:                           ;   in Loop: Header=BB348_934 Depth=1
	s_or_b32 exec_lo, exec_lo, s15
.LBB348_1238:                           ;   in Loop: Header=BB348_934 Depth=1
	s_delay_alu instid0(SALU_CYCLE_1)
	s_or_b32 exec_lo, exec_lo, s13
.LBB348_1239:                           ;   in Loop: Header=BB348_934 Depth=1
	s_delay_alu instid0(SALU_CYCLE_1) | instskip(SKIP_2) | instid1(VALU_DEP_1)
	s_or_b32 exec_lo, exec_lo, s12
	v_lshrrev_b16 v0, 8, v0
	s_mov_b32 s12, exec_lo
	v_cmpx_ne_u16_e32 0, v0
	s_cbranch_execz .LBB348_1247
; %bb.1240:                             ;   in Loop: Header=BB348_934 Depth=1
	v_bfrev_b32_e32 v118, 1
	s_mov_b32 s13, exec_lo
	v_cmpx_ne_u16_e32 0x80, v0
	s_cbranch_execz .LBB348_1246
; %bb.1241:                             ;   in Loop: Header=BB348_934 Depth=1
	v_and_b32_e32 v119, 0xffff, v0
	v_mov_b32_e32 v118, 0x7fc02000
	s_mov_b32 s15, exec_lo
	s_delay_alu instid0(VALU_DEP_2) | instskip(NEXT) | instid1(VALU_DEP_1)
	v_and_b32_e32 v13, 0x7f, v119
	v_cmpx_ne_u32_e32 0x7f, v13
	s_cbranch_execz .LBB348_1245
; %bb.1242:                             ;   in Loop: Header=BB348_934 Depth=1
	v_and_b32_e32 v0, 7, v119
	v_lshrrev_b32_e32 v118, 3, v13
	v_cmp_gt_u32_e64 s0, 8, v13
	s_delay_alu instid0(VALU_DEP_3) | instskip(NEXT) | instid1(VALU_DEP_2)
	v_dual_mov_b32 v14, v1 :: v_dual_mov_b32 v13, v0
	s_and_saveexec_b32 s16, s0
; %bb.1243:                             ;   in Loop: Header=BB348_934 Depth=1
	v_clz_i32_u32_e32 v13, v0
	s_delay_alu instid0(VALU_DEP_1) | instskip(NEXT) | instid1(VALU_DEP_1)
	v_min_u32_e32 v118, 32, v13
	v_subrev_nc_u32_e32 v13, 28, v118
	v_sub_nc_u32_e32 v118, 29, v118
	s_delay_alu instid0(VALU_DEP_2) | instskip(NEXT) | instid1(VALU_DEP_1)
	v_lshlrev_b64 v[13:14], v13, v[0:1]
	v_and_b32_e32 v13, 7, v13
; %bb.1244:                             ;   in Loop: Header=BB348_934 Depth=1
	s_or_b32 exec_lo, exec_lo, s16
	v_lshlrev_b32_e32 v0, 8, v119
	v_lshl_add_u32 v14, v118, 10, 0x2000
	s_delay_alu instid0(VALU_DEP_1) | instskip(NEXT) | instid1(VALU_DEP_1)
	v_and_or_b32 v0, 0x8000, v0, v14
	v_lshl_or_b32 v0, v13, 7, v0
	s_delay_alu instid0(VALU_DEP_1)
	v_cvt_f32_f16_e32 v118, v0
.LBB348_1245:                           ;   in Loop: Header=BB348_934 Depth=1
	s_or_b32 exec_lo, exec_lo, s15
.LBB348_1246:                           ;   in Loop: Header=BB348_934 Depth=1
	s_delay_alu instid0(SALU_CYCLE_1)
	s_or_b32 exec_lo, exec_lo, s13
.LBB348_1247:                           ;   in Loop: Header=BB348_934 Depth=1
	s_delay_alu instid0(SALU_CYCLE_1) | instskip(SKIP_3) | instid1(VALU_DEP_2)
	s_or_b32 exec_lo, exec_lo, s12
	v_lshrrev_b32_e32 v128, 16, v12
	v_mov_b32_e32 v13, 0
	s_mov_b32 s12, exec_lo
	v_dual_mov_b32 v119, 0 :: v_dual_and_b32 v0, 0xff, v128
	s_delay_alu instid0(VALU_DEP_1)
	v_cmpx_ne_u16_e32 0, v0
	s_cbranch_execz .LBB348_1255
; %bb.1248:                             ;   in Loop: Header=BB348_934 Depth=1
	v_bfrev_b32_e32 v13, 1
	s_mov_b32 s13, exec_lo
	v_cmpx_ne_u16_e32 0x80, v0
	s_cbranch_execz .LBB348_1254
; %bb.1249:                             ;   in Loop: Header=BB348_934 Depth=1
	v_bfe_u32 v14, v12, 16, 7
	v_mov_b32_e32 v13, 0x7fc02000
	s_mov_b32 s15, exec_lo
	s_delay_alu instid0(VALU_DEP_2)
	v_cmpx_ne_u32_e32 0x7f, v14
	s_cbranch_execz .LBB348_1253
; %bb.1250:                             ;   in Loop: Header=BB348_934 Depth=1
	v_and_b32_e32 v0, 7, v128
	v_lshrrev_b32_e32 v129, 3, v14
	v_cmp_gt_u32_e64 s0, 8, v14
	s_delay_alu instid0(VALU_DEP_3) | instskip(NEXT) | instid1(VALU_DEP_2)
	v_dual_mov_b32 v14, v1 :: v_dual_mov_b32 v13, v0
	s_and_saveexec_b32 s16, s0
; %bb.1251:                             ;   in Loop: Header=BB348_934 Depth=1
	v_clz_i32_u32_e32 v13, v0
	s_delay_alu instid0(VALU_DEP_1) | instskip(NEXT) | instid1(VALU_DEP_1)
	v_min_u32_e32 v129, 32, v13
	v_subrev_nc_u32_e32 v13, 28, v129
	v_sub_nc_u32_e32 v129, 29, v129
	s_delay_alu instid0(VALU_DEP_2) | instskip(NEXT) | instid1(VALU_DEP_1)
	v_lshlrev_b64 v[13:14], v13, v[0:1]
	v_and_b32_e32 v13, 7, v13
; %bb.1252:                             ;   in Loop: Header=BB348_934 Depth=1
	s_or_b32 exec_lo, exec_lo, s16
	v_lshlrev_b32_e32 v0, 8, v128
	v_lshl_add_u32 v14, v129, 10, 0x2000
	s_delay_alu instid0(VALU_DEP_1) | instskip(NEXT) | instid1(VALU_DEP_1)
	v_and_or_b32 v0, 0x8000, v0, v14
	v_lshl_or_b32 v0, v13, 7, v0
	s_delay_alu instid0(VALU_DEP_1)
	v_cvt_f32_f16_e32 v13, v0
.LBB348_1253:                           ;   in Loop: Header=BB348_934 Depth=1
	s_or_b32 exec_lo, exec_lo, s15
.LBB348_1254:                           ;   in Loop: Header=BB348_934 Depth=1
	s_delay_alu instid0(SALU_CYCLE_1)
	s_or_b32 exec_lo, exec_lo, s13
.LBB348_1255:                           ;   in Loop: Header=BB348_934 Depth=1
	s_delay_alu instid0(SALU_CYCLE_1) | instskip(NEXT) | instid1(SALU_CYCLE_1)
	s_or_b32 exec_lo, exec_lo, s12
	s_mov_b32 s12, exec_lo
	v_cmpx_lt_u64_e64 s[8:9], v[11:12]
	s_cbranch_execz .LBB348_1263
; %bb.1256:                             ;   in Loop: Header=BB348_934 Depth=1
	v_lshrrev_b32_e32 v14, 24, v12
	v_bfrev_b32_e32 v119, 1
	s_mov_b32 s13, exec_lo
	s_delay_alu instid0(VALU_DEP_2)
	v_cmpx_ne_u32_e32 0x80, v14
	s_cbranch_execz .LBB348_1262
; %bb.1257:                             ;   in Loop: Header=BB348_934 Depth=1
	v_and_b32_e32 v11, 0x7f, v14
	v_mov_b32_e32 v119, 0x7fc02000
	s_mov_b32 s15, exec_lo
	s_delay_alu instid0(VALU_DEP_2)
	v_cmpx_ne_u32_e32 0x7f, v11
	s_cbranch_execz .LBB348_1261
; %bb.1258:                             ;   in Loop: Header=BB348_934 Depth=1
	v_and_b32_e32 v0, 7, v14
	v_lshrrev_b32_e32 v119, 3, v11
	v_cmp_gt_u32_e64 s0, 8, v11
	s_delay_alu instid0(VALU_DEP_3) | instskip(NEXT) | instid1(VALU_DEP_2)
	v_dual_mov_b32 v12, v1 :: v_dual_mov_b32 v11, v0
	s_and_saveexec_b32 s16, s0
; %bb.1259:                             ;   in Loop: Header=BB348_934 Depth=1
	v_clz_i32_u32_e32 v11, v0
	s_delay_alu instid0(VALU_DEP_1) | instskip(NEXT) | instid1(VALU_DEP_1)
	v_min_u32_e32 v119, 32, v11
	v_subrev_nc_u32_e32 v11, 28, v119
	v_sub_nc_u32_e32 v119, 29, v119
	s_delay_alu instid0(VALU_DEP_2) | instskip(NEXT) | instid1(VALU_DEP_1)
	v_lshlrev_b64 v[11:12], v11, v[0:1]
	v_and_b32_e32 v11, 7, v11
; %bb.1260:                             ;   in Loop: Header=BB348_934 Depth=1
	s_or_b32 exec_lo, exec_lo, s16
	v_lshlrev_b32_e32 v0, 8, v14
	v_lshl_add_u32 v12, v119, 10, 0x2000
	s_delay_alu instid0(VALU_DEP_1) | instskip(NEXT) | instid1(VALU_DEP_1)
	v_and_or_b32 v0, 0x8000, v0, v12
	v_lshl_or_b32 v0, v11, 7, v0
	s_delay_alu instid0(VALU_DEP_1)
	v_cvt_f32_f16_e32 v119, v0
.LBB348_1261:                           ;   in Loop: Header=BB348_934 Depth=1
	s_or_b32 exec_lo, exec_lo, s15
.LBB348_1262:                           ;   in Loop: Header=BB348_934 Depth=1
	s_delay_alu instid0(SALU_CYCLE_1)
	s_or_b32 exec_lo, exec_lo, s13
.LBB348_1263:                           ;   in Loop: Header=BB348_934 Depth=1
	s_delay_alu instid0(SALU_CYCLE_1)
	s_or_b32 exec_lo, exec_lo, s12
	s_waitcnt vmcnt(0) lgkmcnt(0)
	v_fma_mixlo_f16 v12, v112, v114, 0
	v_fma_mixlo_f16 v0, v112, v116, 0
	;; [unrolled: 1-line block ×5, first 2 shown]
	v_lshlrev_b32_e32 v14, 16, v12
	v_fma_mixlo_f16 v115, v112, v117, 0
	v_fma_mixlo_f16 v116, v112, v119, 0
	;; [unrolled: 1-line block ×3, first 2 shown]
	v_lshlrev_b32_e32 v0, 16, v0
	v_and_b32_e32 v11, 0xffff, v11
	v_and_b32_e32 v112, 0xffff, v113
	v_lshlrev_b32_e32 v113, 16, v114
	v_and_b32_e32 v114, 0xffff, v115
	v_lshlrev_b32_e32 v115, 16, v116
	v_and_b32_e32 v116, 0xffff, v12
	v_or_b32_e32 v13, v0, v11
	v_or_b32_e32 v14, v14, v112
	;; [unrolled: 1-line block ×3, first 2 shown]
	s_delay_alu instid0(VALU_DEP_4)
	v_or_b32_e32 v11, v115, v116
	s_and_saveexec_b32 s12, vcc_lo
	s_cbranch_execz .LBB348_1265
; %bb.1264:                             ;   in Loop: Header=BB348_934 Depth=1
	v_cmp_lt_i32_e64 s0, v19, v38
	v_lshrrev_b32_e32 v112, 16, v14
	v_lshrrev_b32_e32 v113, 16, v13
	;; [unrolled: 1-line block ×4, first 2 shown]
	v_cndmask_b32_e64 v14, 0, v14, s0
	v_cmp_lt_i32_e64 s0, v97, v55
	s_delay_alu instid0(VALU_DEP_1) | instskip(SKIP_1) | instid1(VALU_DEP_2)
	v_cndmask_b32_e64 v112, 0, v112, s0
	v_cmp_lt_i32_e64 s0, v87, v55
	v_perm_b32 v14, v112, v14, 0x5040100
	s_delay_alu instid0(VALU_DEP_2) | instskip(SKIP_1) | instid1(VALU_DEP_1)
	v_cndmask_b32_e64 v113, 0, v113, s0
	v_cmp_lt_i32_e64 s0, v83, v38
	v_cndmask_b32_e64 v13, 0, v13, s0
	v_cmp_lt_i32_e64 s0, v80, v55
	s_delay_alu instid0(VALU_DEP_2) | instskip(NEXT) | instid1(VALU_DEP_2)
	v_perm_b32 v13, v113, v13, 0x5040100
	v_cndmask_b32_e64 v114, 0, v114, s0
	v_cmp_lt_i32_e64 s0, v71, v38
	s_delay_alu instid0(VALU_DEP_1) | instskip(SKIP_1) | instid1(VALU_DEP_2)
	v_cndmask_b32_e64 v0, 0, v0, s0
	v_cmp_lt_i32_e64 s0, v70, v55
	v_perm_b32 v0, v114, v0, 0x5040100
	s_delay_alu instid0(VALU_DEP_2) | instskip(SKIP_1) | instid1(VALU_DEP_1)
	v_cndmask_b32_e64 v11, 0, v11, s0
	v_cmp_lt_i32_e64 s0, v64, v38
	v_cndmask_b32_e64 v12, 0, v12, s0
	s_delay_alu instid0(VALU_DEP_1)
	v_perm_b32 v11, v11, v12, 0x5040100
.LBB348_1265:                           ;   in Loop: Header=BB348_934 Depth=1
	s_or_b32 exec_lo, exec_lo, s12
	;;#ASMSTART
	v_pk_mul_f16 v12, v96, v14;

	;;#ASMEND
	;;#ASMSTART
	v_pk_mul_f16 v13, v86, v13;

	;;#ASMEND
	;; [unrolled: 4-line block ×4, first 2 shown]
	;;#ASMSTART
	v_pk_add_f16 v12, v12, v13;

	;;#ASMEND
	;;#ASMSTART
	v_pk_add_f16 v0, v12, v0;

	;;#ASMEND
	;; [unrolled: 4-line block ×3, first 2 shown]
	v_dual_mov_b32 v116, 0 :: v_dual_and_b32 v11, 0xffff, v0
	v_lshrrev_b32_e32 v0, 16, v0
	;;#ASMSTART
	v_cvt_f32_f16 v112, v11;
	;;#ASMEND
	;;#ASMSTART
	v_cvt_f32_f16 v113, v0;
	;;#ASMEND
	flat_load_b64 v[11:12], v[9:10] offset:1280
	flat_load_b32 v114, v[26:27]
	s_mov_b32 s12, exec_lo
	s_waitcnt vmcnt(1) lgkmcnt(1)
	v_dual_mov_b32 v115, 0 :: v_dual_and_b32 v0, 0xff, v11
	s_delay_alu instid0(VALU_DEP_1)
	v_cmpx_ne_u16_e32 0, v0
	s_cbranch_execz .LBB348_1273
; %bb.1266:                             ;   in Loop: Header=BB348_934 Depth=1
	v_bfrev_b32_e32 v115, 1
	s_mov_b32 s13, exec_lo
	v_cmpx_ne_u16_e32 0x80, v0
	s_cbranch_execz .LBB348_1272
; %bb.1267:                             ;   in Loop: Header=BB348_934 Depth=1
	v_and_b32_e32 v13, 0x7f, v11
	v_mov_b32_e32 v115, 0x7fc02000
	s_mov_b32 s15, exec_lo
	s_delay_alu instid0(VALU_DEP_2)
	v_cmpx_ne_u32_e32 0x7f, v13
	s_cbranch_execz .LBB348_1271
; %bb.1268:                             ;   in Loop: Header=BB348_934 Depth=1
	v_lshrrev_b32_e32 v0, 3, v13
	v_cmp_gt_u32_e64 s0, 8, v13
	v_dual_mov_b32 v14, v12 :: v_dual_mov_b32 v13, v11
	s_delay_alu instid0(VALU_DEP_2)
	s_and_saveexec_b32 s16, s0
; %bb.1269:                             ;   in Loop: Header=BB348_934 Depth=1
	v_and_b32_e32 v0, 7, v11
	s_delay_alu instid0(VALU_DEP_1) | instskip(NEXT) | instid1(VALU_DEP_1)
	v_clz_i32_u32_e32 v0, v0
	v_min_u32_e32 v0, 32, v0
	s_delay_alu instid0(VALU_DEP_1) | instskip(SKIP_1) | instid1(VALU_DEP_2)
	v_subrev_nc_u32_e32 v13, 28, v0
	v_sub_nc_u32_e32 v0, 29, v0
	v_lshlrev_b64 v[13:14], v13, v[11:12]
; %bb.1270:                             ;   in Loop: Header=BB348_934 Depth=1
	s_or_b32 exec_lo, exec_lo, s16
	v_lshlrev_b32_e32 v14, 8, v11
	s_delay_alu instid0(VALU_DEP_3) | instskip(NEXT) | instid1(VALU_DEP_3)
	v_lshl_add_u32 v0, v0, 10, 0x2000
	v_lshlrev_b32_e32 v13, 7, v13
	s_delay_alu instid0(VALU_DEP_2) | instskip(NEXT) | instid1(VALU_DEP_1)
	v_and_or_b32 v0, 0x8000, v14, v0
	v_and_or_b32 v0, 0x380, v13, v0
	s_delay_alu instid0(VALU_DEP_1)
	v_cvt_f32_f16_e32 v115, v0
.LBB348_1271:                           ;   in Loop: Header=BB348_934 Depth=1
	s_or_b32 exec_lo, exec_lo, s15
.LBB348_1272:                           ;   in Loop: Header=BB348_934 Depth=1
	s_delay_alu instid0(SALU_CYCLE_1)
	s_or_b32 exec_lo, exec_lo, s13
.LBB348_1273:                           ;   in Loop: Header=BB348_934 Depth=1
	s_delay_alu instid0(SALU_CYCLE_1) | instskip(SKIP_2) | instid1(VALU_DEP_1)
	s_or_b32 exec_lo, exec_lo, s12
	v_lshrrev_b16 v0, 8, v11
	s_mov_b32 s12, exec_lo
	v_cmpx_ne_u16_e32 0, v0
	s_cbranch_execz .LBB348_1281
; %bb.1274:                             ;   in Loop: Header=BB348_934 Depth=1
	v_bfrev_b32_e32 v116, 1
	s_mov_b32 s13, exec_lo
	v_cmpx_ne_u16_e32 0x80, v0
	s_cbranch_execz .LBB348_1280
; %bb.1275:                             ;   in Loop: Header=BB348_934 Depth=1
	v_and_b32_e32 v117, 0xffff, v0
	v_mov_b32_e32 v116, 0x7fc02000
	s_mov_b32 s15, exec_lo
	s_delay_alu instid0(VALU_DEP_2) | instskip(NEXT) | instid1(VALU_DEP_1)
	v_and_b32_e32 v13, 0x7f, v117
	v_cmpx_ne_u32_e32 0x7f, v13
	s_cbranch_execz .LBB348_1279
; %bb.1276:                             ;   in Loop: Header=BB348_934 Depth=1
	v_and_b32_e32 v0, 7, v117
	v_lshrrev_b32_e32 v116, 3, v13
	v_cmp_gt_u32_e64 s0, 8, v13
	s_delay_alu instid0(VALU_DEP_3) | instskip(NEXT) | instid1(VALU_DEP_2)
	v_dual_mov_b32 v14, v1 :: v_dual_mov_b32 v13, v0
	s_and_saveexec_b32 s16, s0
; %bb.1277:                             ;   in Loop: Header=BB348_934 Depth=1
	v_clz_i32_u32_e32 v13, v0
	s_delay_alu instid0(VALU_DEP_1) | instskip(NEXT) | instid1(VALU_DEP_1)
	v_min_u32_e32 v116, 32, v13
	v_subrev_nc_u32_e32 v13, 28, v116
	v_sub_nc_u32_e32 v116, 29, v116
	s_delay_alu instid0(VALU_DEP_2) | instskip(NEXT) | instid1(VALU_DEP_1)
	v_lshlrev_b64 v[13:14], v13, v[0:1]
	v_and_b32_e32 v13, 7, v13
; %bb.1278:                             ;   in Loop: Header=BB348_934 Depth=1
	s_or_b32 exec_lo, exec_lo, s16
	v_lshlrev_b32_e32 v0, 8, v117
	v_lshl_add_u32 v14, v116, 10, 0x2000
	s_delay_alu instid0(VALU_DEP_1) | instskip(NEXT) | instid1(VALU_DEP_1)
	v_and_or_b32 v0, 0x8000, v0, v14
	v_lshl_or_b32 v0, v13, 7, v0
	s_delay_alu instid0(VALU_DEP_1)
	v_cvt_f32_f16_e32 v116, v0
.LBB348_1279:                           ;   in Loop: Header=BB348_934 Depth=1
	s_or_b32 exec_lo, exec_lo, s15
.LBB348_1280:                           ;   in Loop: Header=BB348_934 Depth=1
	s_delay_alu instid0(SALU_CYCLE_1)
	s_or_b32 exec_lo, exec_lo, s13
.LBB348_1281:                           ;   in Loop: Header=BB348_934 Depth=1
	s_delay_alu instid0(SALU_CYCLE_1) | instskip(SKIP_3) | instid1(VALU_DEP_2)
	s_or_b32 exec_lo, exec_lo, s12
	v_lshrrev_b32_e32 v119, 16, v11
	v_mov_b32_e32 v118, 0
	s_mov_b32 s12, exec_lo
	v_dual_mov_b32 v117, 0 :: v_dual_and_b32 v0, 0xff, v119
	s_delay_alu instid0(VALU_DEP_1)
	v_cmpx_ne_u16_e32 0, v0
	s_cbranch_execz .LBB348_1289
; %bb.1282:                             ;   in Loop: Header=BB348_934 Depth=1
	v_bfrev_b32_e32 v117, 1
	s_mov_b32 s13, exec_lo
	v_cmpx_ne_u16_e32 0x80, v0
	s_cbranch_execz .LBB348_1288
; %bb.1283:                             ;   in Loop: Header=BB348_934 Depth=1
	v_bfe_u32 v13, v11, 16, 7
	v_mov_b32_e32 v117, 0x7fc02000
	s_mov_b32 s15, exec_lo
	s_delay_alu instid0(VALU_DEP_2)
	v_cmpx_ne_u32_e32 0x7f, v13
	s_cbranch_execz .LBB348_1287
; %bb.1284:                             ;   in Loop: Header=BB348_934 Depth=1
	v_and_b32_e32 v0, 7, v119
	v_lshrrev_b32_e32 v117, 3, v13
	v_cmp_gt_u32_e64 s0, 8, v13
	s_delay_alu instid0(VALU_DEP_3) | instskip(NEXT) | instid1(VALU_DEP_2)
	v_dual_mov_b32 v14, v1 :: v_dual_mov_b32 v13, v0
	s_and_saveexec_b32 s16, s0
; %bb.1285:                             ;   in Loop: Header=BB348_934 Depth=1
	v_clz_i32_u32_e32 v13, v0
	s_delay_alu instid0(VALU_DEP_1) | instskip(NEXT) | instid1(VALU_DEP_1)
	v_min_u32_e32 v117, 32, v13
	v_subrev_nc_u32_e32 v13, 28, v117
	v_sub_nc_u32_e32 v117, 29, v117
	s_delay_alu instid0(VALU_DEP_2) | instskip(NEXT) | instid1(VALU_DEP_1)
	v_lshlrev_b64 v[13:14], v13, v[0:1]
	v_and_b32_e32 v13, 7, v13
; %bb.1286:                             ;   in Loop: Header=BB348_934 Depth=1
	s_or_b32 exec_lo, exec_lo, s16
	v_lshlrev_b32_e32 v0, 8, v119
	v_lshl_add_u32 v14, v117, 10, 0x2000
	s_delay_alu instid0(VALU_DEP_1) | instskip(NEXT) | instid1(VALU_DEP_1)
	v_and_or_b32 v0, 0x8000, v0, v14
	v_lshl_or_b32 v0, v13, 7, v0
	s_delay_alu instid0(VALU_DEP_1)
	v_cvt_f32_f16_e32 v117, v0
.LBB348_1287:                           ;   in Loop: Header=BB348_934 Depth=1
	s_or_b32 exec_lo, exec_lo, s15
.LBB348_1288:                           ;   in Loop: Header=BB348_934 Depth=1
	s_delay_alu instid0(SALU_CYCLE_1)
	s_or_b32 exec_lo, exec_lo, s13
.LBB348_1289:                           ;   in Loop: Header=BB348_934 Depth=1
	s_delay_alu instid0(SALU_CYCLE_1) | instskip(NEXT) | instid1(SALU_CYCLE_1)
	s_or_b32 exec_lo, exec_lo, s12
	s_mov_b32 s12, exec_lo
	v_cmpx_lt_u32_e32 0xffffff, v11
	s_cbranch_execz .LBB348_1297
; %bb.1290:                             ;   in Loop: Header=BB348_934 Depth=1
	v_lshrrev_b32_e32 v119, 24, v11
	v_bfrev_b32_e32 v118, 1
	s_mov_b32 s13, exec_lo
	s_delay_alu instid0(VALU_DEP_2)
	v_cmpx_ne_u32_e32 0x80, v119
	s_cbranch_execz .LBB348_1296
; %bb.1291:                             ;   in Loop: Header=BB348_934 Depth=1
	v_and_b32_e32 v13, 0x7f, v119
	v_mov_b32_e32 v118, 0x7fc02000
	s_mov_b32 s15, exec_lo
	s_delay_alu instid0(VALU_DEP_2)
	v_cmpx_ne_u32_e32 0x7f, v13
	s_cbranch_execz .LBB348_1295
; %bb.1292:                             ;   in Loop: Header=BB348_934 Depth=1
	v_and_b32_e32 v0, 7, v119
	v_lshrrev_b32_e32 v118, 3, v13
	v_cmp_gt_u32_e64 s0, 8, v13
	s_delay_alu instid0(VALU_DEP_3) | instskip(NEXT) | instid1(VALU_DEP_2)
	v_dual_mov_b32 v14, v1 :: v_dual_mov_b32 v13, v0
	s_and_saveexec_b32 s16, s0
; %bb.1293:                             ;   in Loop: Header=BB348_934 Depth=1
	v_clz_i32_u32_e32 v13, v0
	s_delay_alu instid0(VALU_DEP_1) | instskip(NEXT) | instid1(VALU_DEP_1)
	v_min_u32_e32 v118, 32, v13
	v_subrev_nc_u32_e32 v13, 28, v118
	v_sub_nc_u32_e32 v118, 29, v118
	s_delay_alu instid0(VALU_DEP_2) | instskip(NEXT) | instid1(VALU_DEP_1)
	v_lshlrev_b64 v[13:14], v13, v[0:1]
	v_and_b32_e32 v13, 7, v13
; %bb.1294:                             ;   in Loop: Header=BB348_934 Depth=1
	s_or_b32 exec_lo, exec_lo, s16
	v_lshlrev_b32_e32 v0, 8, v119
	v_lshl_add_u32 v14, v118, 10, 0x2000
	s_delay_alu instid0(VALU_DEP_1) | instskip(NEXT) | instid1(VALU_DEP_1)
	v_and_or_b32 v0, 0x8000, v0, v14
	v_lshl_or_b32 v0, v13, 7, v0
	s_delay_alu instid0(VALU_DEP_1)
	v_cvt_f32_f16_e32 v118, v0
.LBB348_1295:                           ;   in Loop: Header=BB348_934 Depth=1
	s_or_b32 exec_lo, exec_lo, s15
.LBB348_1296:                           ;   in Loop: Header=BB348_934 Depth=1
	s_delay_alu instid0(SALU_CYCLE_1)
	s_or_b32 exec_lo, exec_lo, s13
.LBB348_1297:                           ;   in Loop: Header=BB348_934 Depth=1
	s_delay_alu instid0(SALU_CYCLE_1) | instskip(SKIP_3) | instid1(VALU_DEP_2)
	s_or_b32 exec_lo, exec_lo, s12
	v_dual_mov_b32 v0, v12 :: v_dual_and_b32 v13, 0xff, v12
	v_dual_mov_b32 v128, 0 :: v_dual_mov_b32 v119, 0
	s_mov_b32 s12, exec_lo
	v_cmpx_ne_u16_e32 0, v13
	s_cbranch_execz .LBB348_1305
; %bb.1298:                             ;   in Loop: Header=BB348_934 Depth=1
	v_bfrev_b32_e32 v119, 1
	s_mov_b32 s13, exec_lo
	v_cmpx_ne_u16_e32 0x80, v13
	s_cbranch_execz .LBB348_1304
; %bb.1299:                             ;   in Loop: Header=BB348_934 Depth=1
	v_and_b32_e32 v13, 0x7f, v12
	v_mov_b32_e32 v119, 0x7fc02000
	s_mov_b32 s15, exec_lo
	s_delay_alu instid0(VALU_DEP_2)
	v_cmpx_ne_u32_e32 0x7f, v13
	s_cbranch_execz .LBB348_1303
; %bb.1300:                             ;   in Loop: Header=BB348_934 Depth=1
	v_lshrrev_b32_e32 v119, 3, v13
	v_cmp_gt_u32_e64 s0, 8, v13
	v_dual_mov_b32 v14, v1 :: v_dual_mov_b32 v13, v0
	s_delay_alu instid0(VALU_DEP_2)
	s_and_saveexec_b32 s16, s0
; %bb.1301:                             ;   in Loop: Header=BB348_934 Depth=1
	v_and_b32_e32 v13, 7, v12
	s_delay_alu instid0(VALU_DEP_1) | instskip(NEXT) | instid1(VALU_DEP_1)
	v_clz_i32_u32_e32 v13, v13
	v_min_u32_e32 v119, 32, v13
	s_delay_alu instid0(VALU_DEP_1) | instskip(SKIP_1) | instid1(VALU_DEP_2)
	v_subrev_nc_u32_e32 v13, 28, v119
	v_sub_nc_u32_e32 v119, 29, v119
	v_lshlrev_b64 v[13:14], v13, v[0:1]
; %bb.1302:                             ;   in Loop: Header=BB348_934 Depth=1
	s_or_b32 exec_lo, exec_lo, s16
	v_lshlrev_b32_e32 v14, 8, v12
	s_delay_alu instid0(VALU_DEP_3) | instskip(NEXT) | instid1(VALU_DEP_3)
	v_lshl_add_u32 v119, v119, 10, 0x2000
	v_lshlrev_b32_e32 v13, 7, v13
	s_delay_alu instid0(VALU_DEP_2) | instskip(NEXT) | instid1(VALU_DEP_1)
	v_and_or_b32 v14, 0x8000, v14, v119
	v_and_or_b32 v13, 0x380, v13, v14
	s_delay_alu instid0(VALU_DEP_1)
	v_cvt_f32_f16_e32 v119, v13
.LBB348_1303:                           ;   in Loop: Header=BB348_934 Depth=1
	s_or_b32 exec_lo, exec_lo, s15
.LBB348_1304:                           ;   in Loop: Header=BB348_934 Depth=1
	s_delay_alu instid0(SALU_CYCLE_1)
	s_or_b32 exec_lo, exec_lo, s13
.LBB348_1305:                           ;   in Loop: Header=BB348_934 Depth=1
	s_delay_alu instid0(SALU_CYCLE_1) | instskip(SKIP_2) | instid1(VALU_DEP_1)
	s_or_b32 exec_lo, exec_lo, s12
	v_lshrrev_b16 v0, 8, v0
	s_mov_b32 s12, exec_lo
	v_cmpx_ne_u16_e32 0, v0
	s_cbranch_execz .LBB348_1313
; %bb.1306:                             ;   in Loop: Header=BB348_934 Depth=1
	v_bfrev_b32_e32 v128, 1
	s_mov_b32 s13, exec_lo
	v_cmpx_ne_u16_e32 0x80, v0
	s_cbranch_execz .LBB348_1312
; %bb.1307:                             ;   in Loop: Header=BB348_934 Depth=1
	v_and_b32_e32 v129, 0xffff, v0
	v_mov_b32_e32 v128, 0x7fc02000
	s_mov_b32 s15, exec_lo
	s_delay_alu instid0(VALU_DEP_2) | instskip(NEXT) | instid1(VALU_DEP_1)
	v_and_b32_e32 v13, 0x7f, v129
	v_cmpx_ne_u32_e32 0x7f, v13
	s_cbranch_execz .LBB348_1311
; %bb.1308:                             ;   in Loop: Header=BB348_934 Depth=1
	v_and_b32_e32 v0, 7, v129
	v_lshrrev_b32_e32 v128, 3, v13
	v_cmp_gt_u32_e64 s0, 8, v13
	s_delay_alu instid0(VALU_DEP_3) | instskip(NEXT) | instid1(VALU_DEP_2)
	v_dual_mov_b32 v14, v1 :: v_dual_mov_b32 v13, v0
	s_and_saveexec_b32 s16, s0
; %bb.1309:                             ;   in Loop: Header=BB348_934 Depth=1
	v_clz_i32_u32_e32 v13, v0
	s_delay_alu instid0(VALU_DEP_1) | instskip(NEXT) | instid1(VALU_DEP_1)
	v_min_u32_e32 v128, 32, v13
	v_subrev_nc_u32_e32 v13, 28, v128
	v_sub_nc_u32_e32 v128, 29, v128
	s_delay_alu instid0(VALU_DEP_2) | instskip(NEXT) | instid1(VALU_DEP_1)
	v_lshlrev_b64 v[13:14], v13, v[0:1]
	v_and_b32_e32 v13, 7, v13
; %bb.1310:                             ;   in Loop: Header=BB348_934 Depth=1
	s_or_b32 exec_lo, exec_lo, s16
	v_lshlrev_b32_e32 v0, 8, v129
	v_lshl_add_u32 v14, v128, 10, 0x2000
	s_delay_alu instid0(VALU_DEP_1) | instskip(NEXT) | instid1(VALU_DEP_1)
	v_and_or_b32 v0, 0x8000, v0, v14
	v_lshl_or_b32 v0, v13, 7, v0
	s_delay_alu instid0(VALU_DEP_1)
	v_cvt_f32_f16_e64 v128, v0
.LBB348_1311:                           ;   in Loop: Header=BB348_934 Depth=1
	s_or_b32 exec_lo, exec_lo, s15
.LBB348_1312:                           ;   in Loop: Header=BB348_934 Depth=1
	s_delay_alu instid0(SALU_CYCLE_1)
	s_or_b32 exec_lo, exec_lo, s13
.LBB348_1313:                           ;   in Loop: Header=BB348_934 Depth=1
	s_delay_alu instid0(SALU_CYCLE_1) | instskip(SKIP_3) | instid1(VALU_DEP_2)
	s_or_b32 exec_lo, exec_lo, s12
	v_lshrrev_b32_e32 v130, 16, v12
	v_mov_b32_e32 v13, 0
	s_mov_b32 s12, exec_lo
	v_dual_mov_b32 v129, 0 :: v_dual_and_b32 v0, 0xff, v130
	s_delay_alu instid0(VALU_DEP_1)
	v_cmpx_ne_u16_e32 0, v0
	s_cbranch_execz .LBB348_1321
; %bb.1314:                             ;   in Loop: Header=BB348_934 Depth=1
	v_bfrev_b32_e32 v13, 1
	s_mov_b32 s13, exec_lo
	v_cmpx_ne_u16_e32 0x80, v0
	s_cbranch_execz .LBB348_1320
; %bb.1315:                             ;   in Loop: Header=BB348_934 Depth=1
	v_bfe_u32 v14, v12, 16, 7
	v_mov_b32_e32 v13, 0x7fc02000
	s_mov_b32 s15, exec_lo
	s_delay_alu instid0(VALU_DEP_2)
	v_cmpx_ne_u32_e32 0x7f, v14
	s_cbranch_execz .LBB348_1319
; %bb.1316:                             ;   in Loop: Header=BB348_934 Depth=1
	v_and_b32_e32 v0, 7, v130
	v_lshrrev_b32_e32 v131, 3, v14
	v_cmp_gt_u32_e64 s0, 8, v14
	s_delay_alu instid0(VALU_DEP_3) | instskip(NEXT) | instid1(VALU_DEP_2)
	v_dual_mov_b32 v14, v1 :: v_dual_mov_b32 v13, v0
	s_and_saveexec_b32 s16, s0
; %bb.1317:                             ;   in Loop: Header=BB348_934 Depth=1
	v_clz_i32_u32_e32 v13, v0
	s_delay_alu instid0(VALU_DEP_1) | instskip(NEXT) | instid1(VALU_DEP_1)
	v_min_u32_e32 v131, 32, v13
	v_subrev_nc_u32_e32 v13, 28, v131
	v_sub_nc_u32_e32 v131, 29, v131
	s_delay_alu instid0(VALU_DEP_2) | instskip(NEXT) | instid1(VALU_DEP_1)
	v_lshlrev_b64 v[13:14], v13, v[0:1]
	v_and_b32_e32 v13, 7, v13
; %bb.1318:                             ;   in Loop: Header=BB348_934 Depth=1
	s_or_b32 exec_lo, exec_lo, s16
	v_lshlrev_b32_e32 v0, 8, v130
	v_lshl_add_u32 v14, v131, 10, 0x2000
	s_delay_alu instid0(VALU_DEP_1) | instskip(NEXT) | instid1(VALU_DEP_1)
	v_and_or_b32 v0, 0x8000, v0, v14
	v_lshl_or_b32 v0, v13, 7, v0
	s_delay_alu instid0(VALU_DEP_1)
	v_cvt_f32_f16_e32 v13, v0
.LBB348_1319:                           ;   in Loop: Header=BB348_934 Depth=1
	s_or_b32 exec_lo, exec_lo, s15
.LBB348_1320:                           ;   in Loop: Header=BB348_934 Depth=1
	s_delay_alu instid0(SALU_CYCLE_1)
	s_or_b32 exec_lo, exec_lo, s13
.LBB348_1321:                           ;   in Loop: Header=BB348_934 Depth=1
	s_delay_alu instid0(SALU_CYCLE_1) | instskip(NEXT) | instid1(SALU_CYCLE_1)
	s_or_b32 exec_lo, exec_lo, s12
	s_mov_b32 s12, exec_lo
	v_cmpx_lt_u64_e64 s[8:9], v[11:12]
	s_cbranch_execz .LBB348_1329
; %bb.1322:                             ;   in Loop: Header=BB348_934 Depth=1
	v_lshrrev_b32_e32 v14, 24, v12
	v_bfrev_b32_e32 v129, 1
	s_mov_b32 s13, exec_lo
	s_delay_alu instid0(VALU_DEP_2)
	v_cmpx_ne_u32_e32 0x80, v14
	s_cbranch_execz .LBB348_1328
; %bb.1323:                             ;   in Loop: Header=BB348_934 Depth=1
	v_and_b32_e32 v11, 0x7f, v14
	v_mov_b32_e32 v129, 0x7fc02000
	s_mov_b32 s15, exec_lo
	s_delay_alu instid0(VALU_DEP_2)
	v_cmpx_ne_u32_e32 0x7f, v11
	s_cbranch_execz .LBB348_1327
; %bb.1324:                             ;   in Loop: Header=BB348_934 Depth=1
	v_and_b32_e32 v0, 7, v14
	v_lshrrev_b32_e32 v129, 3, v11
	v_cmp_gt_u32_e64 s0, 8, v11
	s_delay_alu instid0(VALU_DEP_3) | instskip(NEXT) | instid1(VALU_DEP_2)
	v_dual_mov_b32 v12, v1 :: v_dual_mov_b32 v11, v0
	s_and_saveexec_b32 s16, s0
; %bb.1325:                             ;   in Loop: Header=BB348_934 Depth=1
	v_clz_i32_u32_e32 v11, v0
	s_delay_alu instid0(VALU_DEP_1) | instskip(NEXT) | instid1(VALU_DEP_1)
	v_min_u32_e32 v129, 32, v11
	v_subrev_nc_u32_e32 v11, 28, v129
	v_sub_nc_u32_e32 v129, 29, v129
	s_delay_alu instid0(VALU_DEP_2) | instskip(NEXT) | instid1(VALU_DEP_1)
	v_lshlrev_b64 v[11:12], v11, v[0:1]
	v_and_b32_e32 v11, 7, v11
; %bb.1326:                             ;   in Loop: Header=BB348_934 Depth=1
	s_or_b32 exec_lo, exec_lo, s16
	v_lshlrev_b32_e32 v0, 8, v14
	v_lshl_add_u32 v12, v129, 10, 0x2000
	s_delay_alu instid0(VALU_DEP_1) | instskip(NEXT) | instid1(VALU_DEP_1)
	v_and_or_b32 v0, 0x8000, v0, v12
	v_lshl_or_b32 v0, v11, 7, v0
	s_delay_alu instid0(VALU_DEP_1)
	v_cvt_f32_f16_e64 v129, v0
.LBB348_1327:                           ;   in Loop: Header=BB348_934 Depth=1
	s_or_b32 exec_lo, exec_lo, s15
.LBB348_1328:                           ;   in Loop: Header=BB348_934 Depth=1
	s_delay_alu instid0(SALU_CYCLE_1)
	s_or_b32 exec_lo, exec_lo, s13
.LBB348_1329:                           ;   in Loop: Header=BB348_934 Depth=1
	s_delay_alu instid0(SALU_CYCLE_1)
	s_or_b32 exec_lo, exec_lo, s12
	s_waitcnt vmcnt(0) lgkmcnt(0)
	v_fma_mixlo_f16 v12, v114, v116, 0
	v_fma_mixlo_f16 v0, v114, v118, 0
	v_fma_mixlo_f16 v11, v114, v117, 0
	v_fma_mixlo_f16 v115, v114, v115, 0
	v_fma_mixlo_f16 v116, v114, v128, 0
	v_lshlrev_b32_e32 v14, 16, v12
	v_fma_mixlo_f16 v117, v114, v119, 0
	v_fma_mixlo_f16 v118, v114, v129, 0
	;; [unrolled: 1-line block ×3, first 2 shown]
	v_lshlrev_b32_e32 v0, 16, v0
	v_and_b32_e32 v11, 0xffff, v11
	v_and_b32_e32 v114, 0xffff, v115
	v_lshlrev_b32_e32 v115, 16, v116
	v_and_b32_e32 v116, 0xffff, v117
	v_lshlrev_b32_e32 v117, 16, v118
	v_and_b32_e32 v118, 0xffff, v12
	v_or_b32_e32 v13, v0, v11
	v_or_b32_e32 v14, v14, v114
	;; [unrolled: 1-line block ×3, first 2 shown]
	s_delay_alu instid0(VALU_DEP_4)
	v_or_b32_e32 v11, v117, v118
	s_and_saveexec_b32 s12, vcc_lo
	s_cbranch_execz .LBB348_1331
; %bb.1330:                             ;   in Loop: Header=BB348_934 Depth=1
	v_cmp_lt_i32_e64 s0, v19, v38
	v_lshrrev_b32_e32 v114, 16, v14
	v_lshrrev_b32_e32 v115, 16, v13
	;; [unrolled: 1-line block ×4, first 2 shown]
	v_cndmask_b32_e64 v14, 0, v14, s0
	v_cmp_lt_i32_e64 s0, v97, v55
	s_delay_alu instid0(VALU_DEP_1) | instskip(SKIP_1) | instid1(VALU_DEP_2)
	v_cndmask_b32_e64 v114, 0, v114, s0
	v_cmp_lt_i32_e64 s0, v87, v55
	v_perm_b32 v14, v114, v14, 0x5040100
	s_delay_alu instid0(VALU_DEP_2) | instskip(SKIP_1) | instid1(VALU_DEP_1)
	v_cndmask_b32_e64 v115, 0, v115, s0
	v_cmp_lt_i32_e64 s0, v83, v38
	v_cndmask_b32_e64 v13, 0, v13, s0
	v_cmp_lt_i32_e64 s0, v80, v55
	s_delay_alu instid0(VALU_DEP_2) | instskip(NEXT) | instid1(VALU_DEP_2)
	v_perm_b32 v13, v115, v13, 0x5040100
	v_cndmask_b32_e64 v116, 0, v116, s0
	v_cmp_lt_i32_e64 s0, v71, v38
	s_delay_alu instid0(VALU_DEP_1) | instskip(SKIP_1) | instid1(VALU_DEP_2)
	v_cndmask_b32_e64 v0, 0, v0, s0
	v_cmp_lt_i32_e64 s0, v70, v55
	v_perm_b32 v0, v116, v0, 0x5040100
	s_delay_alu instid0(VALU_DEP_2) | instskip(SKIP_1) | instid1(VALU_DEP_1)
	v_cndmask_b32_e64 v11, 0, v11, s0
	v_cmp_lt_i32_e64 s0, v64, v38
	v_cndmask_b32_e64 v12, 0, v12, s0
	s_delay_alu instid0(VALU_DEP_1)
	v_perm_b32 v11, v11, v12, 0x5040100
.LBB348_1331:                           ;   in Loop: Header=BB348_934 Depth=1
	s_or_b32 exec_lo, exec_lo, s12
	;;#ASMSTART
	v_pk_mul_f16 v12, v96, v14;

	;;#ASMEND
	;;#ASMSTART
	v_pk_mul_f16 v13, v86, v13;

	;;#ASMEND
	;; [unrolled: 4-line block ×4, first 2 shown]
	;;#ASMSTART
	v_pk_add_f16 v12, v12, v13;

	;;#ASMEND
	;;#ASMSTART
	v_pk_add_f16 v0, v12, v0;

	;;#ASMEND
	;; [unrolled: 4-line block ×3, first 2 shown]
	v_dual_mov_b32 v118, 0 :: v_dual_and_b32 v11, 0xffff, v0
	v_lshrrev_b32_e32 v0, 16, v0
	;;#ASMSTART
	v_cvt_f32_f16 v114, v11;
	;;#ASMEND
	;;#ASMSTART
	v_cvt_f32_f16 v115, v0;
	;;#ASMEND
	flat_load_b64 v[11:12], v[9:10] offset:1536
	flat_load_b32 v116, v[26:27]
	s_mov_b32 s12, exec_lo
	s_waitcnt vmcnt(1) lgkmcnt(1)
	v_dual_mov_b32 v117, 0 :: v_dual_and_b32 v0, 0xff, v11
	s_delay_alu instid0(VALU_DEP_1)
	v_cmpx_ne_u16_e32 0, v0
	s_cbranch_execz .LBB348_1339
; %bb.1332:                             ;   in Loop: Header=BB348_934 Depth=1
	v_bfrev_b32_e32 v117, 1
	s_mov_b32 s13, exec_lo
	v_cmpx_ne_u16_e32 0x80, v0
	s_cbranch_execz .LBB348_1338
; %bb.1333:                             ;   in Loop: Header=BB348_934 Depth=1
	v_and_b32_e32 v13, 0x7f, v11
	v_mov_b32_e32 v117, 0x7fc02000
	s_mov_b32 s15, exec_lo
	s_delay_alu instid0(VALU_DEP_2)
	v_cmpx_ne_u32_e32 0x7f, v13
	s_cbranch_execz .LBB348_1337
; %bb.1334:                             ;   in Loop: Header=BB348_934 Depth=1
	v_lshrrev_b32_e32 v0, 3, v13
	v_cmp_gt_u32_e64 s0, 8, v13
	v_dual_mov_b32 v14, v12 :: v_dual_mov_b32 v13, v11
	s_delay_alu instid0(VALU_DEP_2)
	s_and_saveexec_b32 s16, s0
; %bb.1335:                             ;   in Loop: Header=BB348_934 Depth=1
	v_and_b32_e32 v0, 7, v11
	s_delay_alu instid0(VALU_DEP_1) | instskip(NEXT) | instid1(VALU_DEP_1)
	v_clz_i32_u32_e32 v0, v0
	v_min_u32_e32 v0, 32, v0
	s_delay_alu instid0(VALU_DEP_1) | instskip(SKIP_1) | instid1(VALU_DEP_2)
	v_subrev_nc_u32_e32 v13, 28, v0
	v_sub_nc_u32_e32 v0, 29, v0
	v_lshlrev_b64 v[13:14], v13, v[11:12]
; %bb.1336:                             ;   in Loop: Header=BB348_934 Depth=1
	s_or_b32 exec_lo, exec_lo, s16
	v_lshlrev_b32_e32 v14, 8, v11
	s_delay_alu instid0(VALU_DEP_3) | instskip(NEXT) | instid1(VALU_DEP_3)
	v_lshl_add_u32 v0, v0, 10, 0x2000
	v_lshlrev_b32_e32 v13, 7, v13
	s_delay_alu instid0(VALU_DEP_2) | instskip(NEXT) | instid1(VALU_DEP_1)
	v_and_or_b32 v0, 0x8000, v14, v0
	v_and_or_b32 v0, 0x380, v13, v0
	s_delay_alu instid0(VALU_DEP_1)
	v_cvt_f32_f16_e32 v117, v0
.LBB348_1337:                           ;   in Loop: Header=BB348_934 Depth=1
	s_or_b32 exec_lo, exec_lo, s15
.LBB348_1338:                           ;   in Loop: Header=BB348_934 Depth=1
	s_delay_alu instid0(SALU_CYCLE_1)
	s_or_b32 exec_lo, exec_lo, s13
.LBB348_1339:                           ;   in Loop: Header=BB348_934 Depth=1
	s_delay_alu instid0(SALU_CYCLE_1) | instskip(SKIP_2) | instid1(VALU_DEP_1)
	s_or_b32 exec_lo, exec_lo, s12
	v_lshrrev_b16 v0, 8, v11
	s_mov_b32 s12, exec_lo
	v_cmpx_ne_u16_e32 0, v0
	s_cbranch_execz .LBB348_1347
; %bb.1340:                             ;   in Loop: Header=BB348_934 Depth=1
	v_bfrev_b32_e32 v118, 1
	s_mov_b32 s13, exec_lo
	v_cmpx_ne_u16_e32 0x80, v0
	s_cbranch_execz .LBB348_1346
; %bb.1341:                             ;   in Loop: Header=BB348_934 Depth=1
	v_and_b32_e32 v119, 0xffff, v0
	v_mov_b32_e32 v118, 0x7fc02000
	s_mov_b32 s15, exec_lo
	s_delay_alu instid0(VALU_DEP_2) | instskip(NEXT) | instid1(VALU_DEP_1)
	v_and_b32_e32 v13, 0x7f, v119
	v_cmpx_ne_u32_e32 0x7f, v13
	s_cbranch_execz .LBB348_1345
; %bb.1342:                             ;   in Loop: Header=BB348_934 Depth=1
	v_and_b32_e32 v0, 7, v119
	v_lshrrev_b32_e32 v118, 3, v13
	v_cmp_gt_u32_e64 s0, 8, v13
	s_delay_alu instid0(VALU_DEP_3) | instskip(NEXT) | instid1(VALU_DEP_2)
	v_dual_mov_b32 v14, v1 :: v_dual_mov_b32 v13, v0
	s_and_saveexec_b32 s16, s0
; %bb.1343:                             ;   in Loop: Header=BB348_934 Depth=1
	v_clz_i32_u32_e32 v13, v0
	s_delay_alu instid0(VALU_DEP_1) | instskip(NEXT) | instid1(VALU_DEP_1)
	v_min_u32_e32 v118, 32, v13
	v_subrev_nc_u32_e32 v13, 28, v118
	v_sub_nc_u32_e32 v118, 29, v118
	s_delay_alu instid0(VALU_DEP_2) | instskip(NEXT) | instid1(VALU_DEP_1)
	v_lshlrev_b64 v[13:14], v13, v[0:1]
	v_and_b32_e32 v13, 7, v13
; %bb.1344:                             ;   in Loop: Header=BB348_934 Depth=1
	s_or_b32 exec_lo, exec_lo, s16
	v_lshlrev_b32_e32 v0, 8, v119
	v_lshl_add_u32 v14, v118, 10, 0x2000
	s_delay_alu instid0(VALU_DEP_1) | instskip(NEXT) | instid1(VALU_DEP_1)
	v_and_or_b32 v0, 0x8000, v0, v14
	v_lshl_or_b32 v0, v13, 7, v0
	s_delay_alu instid0(VALU_DEP_1)
	v_cvt_f32_f16_e32 v118, v0
.LBB348_1345:                           ;   in Loop: Header=BB348_934 Depth=1
	s_or_b32 exec_lo, exec_lo, s15
.LBB348_1346:                           ;   in Loop: Header=BB348_934 Depth=1
	s_delay_alu instid0(SALU_CYCLE_1)
	s_or_b32 exec_lo, exec_lo, s13
.LBB348_1347:                           ;   in Loop: Header=BB348_934 Depth=1
	s_delay_alu instid0(SALU_CYCLE_1) | instskip(SKIP_3) | instid1(VALU_DEP_2)
	s_or_b32 exec_lo, exec_lo, s12
	v_lshrrev_b32_e32 v129, 16, v11
	v_mov_b32_e32 v128, 0
	s_mov_b32 s12, exec_lo
	v_dual_mov_b32 v119, 0 :: v_dual_and_b32 v0, 0xff, v129
	s_delay_alu instid0(VALU_DEP_1)
	v_cmpx_ne_u16_e32 0, v0
	s_cbranch_execz .LBB348_1355
; %bb.1348:                             ;   in Loop: Header=BB348_934 Depth=1
	v_bfrev_b32_e32 v119, 1
	s_mov_b32 s13, exec_lo
	v_cmpx_ne_u16_e32 0x80, v0
	s_cbranch_execz .LBB348_1354
; %bb.1349:                             ;   in Loop: Header=BB348_934 Depth=1
	v_bfe_u32 v13, v11, 16, 7
	v_mov_b32_e32 v119, 0x7fc02000
	s_mov_b32 s15, exec_lo
	s_delay_alu instid0(VALU_DEP_2)
	v_cmpx_ne_u32_e32 0x7f, v13
	s_cbranch_execz .LBB348_1353
; %bb.1350:                             ;   in Loop: Header=BB348_934 Depth=1
	v_and_b32_e32 v0, 7, v129
	v_lshrrev_b32_e32 v119, 3, v13
	v_cmp_gt_u32_e64 s0, 8, v13
	s_delay_alu instid0(VALU_DEP_3) | instskip(NEXT) | instid1(VALU_DEP_2)
	v_dual_mov_b32 v14, v1 :: v_dual_mov_b32 v13, v0
	s_and_saveexec_b32 s16, s0
; %bb.1351:                             ;   in Loop: Header=BB348_934 Depth=1
	v_clz_i32_u32_e32 v13, v0
	s_delay_alu instid0(VALU_DEP_1) | instskip(NEXT) | instid1(VALU_DEP_1)
	v_min_u32_e32 v119, 32, v13
	v_subrev_nc_u32_e32 v13, 28, v119
	v_sub_nc_u32_e32 v119, 29, v119
	s_delay_alu instid0(VALU_DEP_2) | instskip(NEXT) | instid1(VALU_DEP_1)
	v_lshlrev_b64 v[13:14], v13, v[0:1]
	v_and_b32_e32 v13, 7, v13
; %bb.1352:                             ;   in Loop: Header=BB348_934 Depth=1
	s_or_b32 exec_lo, exec_lo, s16
	v_lshlrev_b32_e32 v0, 8, v129
	v_lshl_add_u32 v14, v119, 10, 0x2000
	s_delay_alu instid0(VALU_DEP_1) | instskip(NEXT) | instid1(VALU_DEP_1)
	v_and_or_b32 v0, 0x8000, v0, v14
	v_lshl_or_b32 v0, v13, 7, v0
	s_delay_alu instid0(VALU_DEP_1)
	v_cvt_f32_f16_e32 v119, v0
.LBB348_1353:                           ;   in Loop: Header=BB348_934 Depth=1
	s_or_b32 exec_lo, exec_lo, s15
.LBB348_1354:                           ;   in Loop: Header=BB348_934 Depth=1
	s_delay_alu instid0(SALU_CYCLE_1)
	s_or_b32 exec_lo, exec_lo, s13
.LBB348_1355:                           ;   in Loop: Header=BB348_934 Depth=1
	s_delay_alu instid0(SALU_CYCLE_1) | instskip(NEXT) | instid1(SALU_CYCLE_1)
	s_or_b32 exec_lo, exec_lo, s12
	s_mov_b32 s12, exec_lo
	v_cmpx_lt_u32_e32 0xffffff, v11
	s_cbranch_execz .LBB348_1363
; %bb.1356:                             ;   in Loop: Header=BB348_934 Depth=1
	v_lshrrev_b32_e32 v129, 24, v11
	v_bfrev_b32_e32 v128, 1
	s_mov_b32 s13, exec_lo
	s_delay_alu instid0(VALU_DEP_2)
	v_cmpx_ne_u32_e32 0x80, v129
	s_cbranch_execz .LBB348_1362
; %bb.1357:                             ;   in Loop: Header=BB348_934 Depth=1
	v_and_b32_e32 v13, 0x7f, v129
	v_mov_b32_e32 v128, 0x7fc02000
	s_mov_b32 s15, exec_lo
	s_delay_alu instid0(VALU_DEP_2)
	v_cmpx_ne_u32_e32 0x7f, v13
	s_cbranch_execz .LBB348_1361
; %bb.1358:                             ;   in Loop: Header=BB348_934 Depth=1
	v_and_b32_e32 v0, 7, v129
	v_lshrrev_b32_e32 v128, 3, v13
	v_cmp_gt_u32_e64 s0, 8, v13
	s_delay_alu instid0(VALU_DEP_3) | instskip(NEXT) | instid1(VALU_DEP_2)
	v_dual_mov_b32 v14, v1 :: v_dual_mov_b32 v13, v0
	s_and_saveexec_b32 s16, s0
; %bb.1359:                             ;   in Loop: Header=BB348_934 Depth=1
	v_clz_i32_u32_e32 v13, v0
	s_delay_alu instid0(VALU_DEP_1) | instskip(NEXT) | instid1(VALU_DEP_1)
	v_min_u32_e32 v128, 32, v13
	v_subrev_nc_u32_e32 v13, 28, v128
	v_sub_nc_u32_e32 v128, 29, v128
	s_delay_alu instid0(VALU_DEP_2) | instskip(NEXT) | instid1(VALU_DEP_1)
	v_lshlrev_b64 v[13:14], v13, v[0:1]
	v_and_b32_e32 v13, 7, v13
; %bb.1360:                             ;   in Loop: Header=BB348_934 Depth=1
	s_or_b32 exec_lo, exec_lo, s16
	v_lshlrev_b32_e32 v0, 8, v129
	v_lshl_add_u32 v14, v128, 10, 0x2000
	s_delay_alu instid0(VALU_DEP_1) | instskip(NEXT) | instid1(VALU_DEP_1)
	v_and_or_b32 v0, 0x8000, v0, v14
	v_lshl_or_b32 v0, v13, 7, v0
	s_delay_alu instid0(VALU_DEP_1)
	v_cvt_f32_f16_e64 v128, v0
.LBB348_1361:                           ;   in Loop: Header=BB348_934 Depth=1
	s_or_b32 exec_lo, exec_lo, s15
.LBB348_1362:                           ;   in Loop: Header=BB348_934 Depth=1
	s_delay_alu instid0(SALU_CYCLE_1)
	s_or_b32 exec_lo, exec_lo, s13
.LBB348_1363:                           ;   in Loop: Header=BB348_934 Depth=1
	s_delay_alu instid0(SALU_CYCLE_1) | instskip(SKIP_3) | instid1(VALU_DEP_2)
	s_or_b32 exec_lo, exec_lo, s12
	v_dual_mov_b32 v0, v12 :: v_dual_and_b32 v13, 0xff, v12
	v_dual_mov_b32 v130, 0 :: v_dual_mov_b32 v129, 0
	s_mov_b32 s12, exec_lo
	v_cmpx_ne_u16_e32 0, v13
	s_cbranch_execz .LBB348_1371
; %bb.1364:                             ;   in Loop: Header=BB348_934 Depth=1
	v_bfrev_b32_e32 v129, 1
	s_mov_b32 s13, exec_lo
	v_cmpx_ne_u16_e32 0x80, v13
	s_cbranch_execz .LBB348_1370
; %bb.1365:                             ;   in Loop: Header=BB348_934 Depth=1
	v_and_b32_e32 v13, 0x7f, v12
	v_mov_b32_e32 v129, 0x7fc02000
	s_mov_b32 s15, exec_lo
	s_delay_alu instid0(VALU_DEP_2)
	v_cmpx_ne_u32_e32 0x7f, v13
	s_cbranch_execz .LBB348_1369
; %bb.1366:                             ;   in Loop: Header=BB348_934 Depth=1
	v_lshrrev_b32_e32 v129, 3, v13
	v_cmp_gt_u32_e64 s0, 8, v13
	v_dual_mov_b32 v14, v1 :: v_dual_mov_b32 v13, v0
	s_delay_alu instid0(VALU_DEP_2)
	s_and_saveexec_b32 s16, s0
; %bb.1367:                             ;   in Loop: Header=BB348_934 Depth=1
	v_and_b32_e32 v13, 7, v12
	s_delay_alu instid0(VALU_DEP_1) | instskip(NEXT) | instid1(VALU_DEP_1)
	v_clz_i32_u32_e32 v13, v13
	v_min_u32_e32 v129, 32, v13
	s_delay_alu instid0(VALU_DEP_1) | instskip(SKIP_1) | instid1(VALU_DEP_2)
	v_subrev_nc_u32_e32 v13, 28, v129
	v_sub_nc_u32_e32 v129, 29, v129
	v_lshlrev_b64 v[13:14], v13, v[0:1]
; %bb.1368:                             ;   in Loop: Header=BB348_934 Depth=1
	s_or_b32 exec_lo, exec_lo, s16
	v_lshlrev_b32_e32 v14, 8, v12
	s_delay_alu instid0(VALU_DEP_3) | instskip(NEXT) | instid1(VALU_DEP_3)
	v_lshl_add_u32 v129, v129, 10, 0x2000
	v_lshlrev_b32_e32 v13, 7, v13
	s_delay_alu instid0(VALU_DEP_2) | instskip(NEXT) | instid1(VALU_DEP_1)
	v_and_or_b32 v14, 0x8000, v14, v129
	v_and_or_b32 v13, 0x380, v13, v14
	s_delay_alu instid0(VALU_DEP_1)
	v_cvt_f32_f16_e64 v129, v13
.LBB348_1369:                           ;   in Loop: Header=BB348_934 Depth=1
	s_or_b32 exec_lo, exec_lo, s15
.LBB348_1370:                           ;   in Loop: Header=BB348_934 Depth=1
	s_delay_alu instid0(SALU_CYCLE_1)
	s_or_b32 exec_lo, exec_lo, s13
.LBB348_1371:                           ;   in Loop: Header=BB348_934 Depth=1
	s_delay_alu instid0(SALU_CYCLE_1) | instskip(SKIP_2) | instid1(VALU_DEP_1)
	s_or_b32 exec_lo, exec_lo, s12
	v_lshrrev_b16 v0, 8, v0
	s_mov_b32 s12, exec_lo
	v_cmpx_ne_u16_e32 0, v0
	s_cbranch_execz .LBB348_1379
; %bb.1372:                             ;   in Loop: Header=BB348_934 Depth=1
	v_bfrev_b32_e32 v130, 1
	s_mov_b32 s13, exec_lo
	v_cmpx_ne_u16_e32 0x80, v0
	s_cbranch_execz .LBB348_1378
; %bb.1373:                             ;   in Loop: Header=BB348_934 Depth=1
	v_and_b32_e32 v131, 0xffff, v0
	v_mov_b32_e32 v130, 0x7fc02000
	s_mov_b32 s15, exec_lo
	s_delay_alu instid0(VALU_DEP_2) | instskip(NEXT) | instid1(VALU_DEP_1)
	v_and_b32_e32 v13, 0x7f, v131
	v_cmpx_ne_u32_e32 0x7f, v13
	s_cbranch_execz .LBB348_1377
; %bb.1374:                             ;   in Loop: Header=BB348_934 Depth=1
	v_and_b32_e32 v0, 7, v131
	v_lshrrev_b32_e32 v130, 3, v13
	v_cmp_gt_u32_e64 s0, 8, v13
	s_delay_alu instid0(VALU_DEP_3) | instskip(NEXT) | instid1(VALU_DEP_2)
	v_dual_mov_b32 v14, v1 :: v_dual_mov_b32 v13, v0
	s_and_saveexec_b32 s16, s0
; %bb.1375:                             ;   in Loop: Header=BB348_934 Depth=1
	v_clz_i32_u32_e32 v13, v0
	s_delay_alu instid0(VALU_DEP_1) | instskip(NEXT) | instid1(VALU_DEP_1)
	v_min_u32_e32 v130, 32, v13
	v_subrev_nc_u32_e32 v13, 28, v130
	v_sub_nc_u32_e32 v130, 29, v130
	s_delay_alu instid0(VALU_DEP_2) | instskip(NEXT) | instid1(VALU_DEP_1)
	v_lshlrev_b64 v[13:14], v13, v[0:1]
	v_and_b32_e32 v13, 7, v13
; %bb.1376:                             ;   in Loop: Header=BB348_934 Depth=1
	s_or_b32 exec_lo, exec_lo, s16
	v_lshlrev_b32_e32 v0, 8, v131
	v_lshl_add_u32 v14, v130, 10, 0x2000
	s_delay_alu instid0(VALU_DEP_1) | instskip(NEXT) | instid1(VALU_DEP_1)
	v_and_or_b32 v0, 0x8000, v0, v14
	v_lshl_or_b32 v0, v13, 7, v0
	s_delay_alu instid0(VALU_DEP_1)
	v_cvt_f32_f16_e64 v130, v0
.LBB348_1377:                           ;   in Loop: Header=BB348_934 Depth=1
	s_or_b32 exec_lo, exec_lo, s15
.LBB348_1378:                           ;   in Loop: Header=BB348_934 Depth=1
	s_delay_alu instid0(SALU_CYCLE_1)
	s_or_b32 exec_lo, exec_lo, s13
.LBB348_1379:                           ;   in Loop: Header=BB348_934 Depth=1
	s_delay_alu instid0(SALU_CYCLE_1) | instskip(SKIP_3) | instid1(VALU_DEP_2)
	s_or_b32 exec_lo, exec_lo, s12
	v_lshrrev_b32_e32 v132, 16, v12
	v_mov_b32_e32 v13, 0
	s_mov_b32 s12, exec_lo
	v_dual_mov_b32 v131, 0 :: v_dual_and_b32 v0, 0xff, v132
	s_delay_alu instid0(VALU_DEP_1)
	v_cmpx_ne_u16_e32 0, v0
	s_cbranch_execz .LBB348_1387
; %bb.1380:                             ;   in Loop: Header=BB348_934 Depth=1
	v_bfrev_b32_e32 v13, 1
	s_mov_b32 s13, exec_lo
	v_cmpx_ne_u16_e32 0x80, v0
	s_cbranch_execz .LBB348_1386
; %bb.1381:                             ;   in Loop: Header=BB348_934 Depth=1
	v_bfe_u32 v14, v12, 16, 7
	v_mov_b32_e32 v13, 0x7fc02000
	s_mov_b32 s15, exec_lo
	s_delay_alu instid0(VALU_DEP_2)
	v_cmpx_ne_u32_e32 0x7f, v14
	s_cbranch_execz .LBB348_1385
; %bb.1382:                             ;   in Loop: Header=BB348_934 Depth=1
	v_and_b32_e32 v0, 7, v132
	v_lshrrev_b32_e32 v133, 3, v14
	v_cmp_gt_u32_e64 s0, 8, v14
	s_delay_alu instid0(VALU_DEP_3) | instskip(NEXT) | instid1(VALU_DEP_2)
	v_dual_mov_b32 v14, v1 :: v_dual_mov_b32 v13, v0
	s_and_saveexec_b32 s16, s0
; %bb.1383:                             ;   in Loop: Header=BB348_934 Depth=1
	v_clz_i32_u32_e32 v13, v0
	s_delay_alu instid0(VALU_DEP_1) | instskip(NEXT) | instid1(VALU_DEP_1)
	v_min_u32_e32 v133, 32, v13
	v_subrev_nc_u32_e32 v13, 28, v133
	v_sub_nc_u32_e32 v133, 29, v133
	s_delay_alu instid0(VALU_DEP_2) | instskip(NEXT) | instid1(VALU_DEP_1)
	v_lshlrev_b64 v[13:14], v13, v[0:1]
	v_and_b32_e32 v13, 7, v13
; %bb.1384:                             ;   in Loop: Header=BB348_934 Depth=1
	s_or_b32 exec_lo, exec_lo, s16
	v_lshlrev_b32_e32 v0, 8, v132
	v_lshl_add_u32 v14, v133, 10, 0x2000
	s_delay_alu instid0(VALU_DEP_1) | instskip(NEXT) | instid1(VALU_DEP_1)
	v_and_or_b32 v0, 0x8000, v0, v14
	v_lshl_or_b32 v0, v13, 7, v0
	s_delay_alu instid0(VALU_DEP_1)
	v_cvt_f32_f16_e32 v13, v0
.LBB348_1385:                           ;   in Loop: Header=BB348_934 Depth=1
	s_or_b32 exec_lo, exec_lo, s15
.LBB348_1386:                           ;   in Loop: Header=BB348_934 Depth=1
	s_delay_alu instid0(SALU_CYCLE_1)
	s_or_b32 exec_lo, exec_lo, s13
.LBB348_1387:                           ;   in Loop: Header=BB348_934 Depth=1
	s_delay_alu instid0(SALU_CYCLE_1) | instskip(NEXT) | instid1(SALU_CYCLE_1)
	s_or_b32 exec_lo, exec_lo, s12
	s_mov_b32 s12, exec_lo
	v_cmpx_lt_u64_e64 s[8:9], v[11:12]
	s_cbranch_execz .LBB348_1395
; %bb.1388:                             ;   in Loop: Header=BB348_934 Depth=1
	v_lshrrev_b32_e32 v14, 24, v12
	v_bfrev_b32_e32 v131, 1
	s_mov_b32 s13, exec_lo
	s_delay_alu instid0(VALU_DEP_2)
	v_cmpx_ne_u32_e32 0x80, v14
	s_cbranch_execz .LBB348_1394
; %bb.1389:                             ;   in Loop: Header=BB348_934 Depth=1
	v_and_b32_e32 v11, 0x7f, v14
	v_mov_b32_e32 v131, 0x7fc02000
	s_mov_b32 s15, exec_lo
	s_delay_alu instid0(VALU_DEP_2)
	v_cmpx_ne_u32_e32 0x7f, v11
	s_cbranch_execz .LBB348_1393
; %bb.1390:                             ;   in Loop: Header=BB348_934 Depth=1
	v_and_b32_e32 v0, 7, v14
	v_lshrrev_b32_e32 v131, 3, v11
	v_cmp_gt_u32_e64 s0, 8, v11
	s_delay_alu instid0(VALU_DEP_3) | instskip(NEXT) | instid1(VALU_DEP_2)
	v_dual_mov_b32 v12, v1 :: v_dual_mov_b32 v11, v0
	s_and_saveexec_b32 s16, s0
; %bb.1391:                             ;   in Loop: Header=BB348_934 Depth=1
	v_clz_i32_u32_e32 v11, v0
	s_delay_alu instid0(VALU_DEP_1) | instskip(NEXT) | instid1(VALU_DEP_1)
	v_min_u32_e32 v131, 32, v11
	v_subrev_nc_u32_e32 v11, 28, v131
	v_sub_nc_u32_e32 v131, 29, v131
	s_delay_alu instid0(VALU_DEP_2) | instskip(NEXT) | instid1(VALU_DEP_1)
	v_lshlrev_b64 v[11:12], v11, v[0:1]
	v_and_b32_e32 v11, 7, v11
; %bb.1392:                             ;   in Loop: Header=BB348_934 Depth=1
	s_or_b32 exec_lo, exec_lo, s16
	v_lshlrev_b32_e32 v0, 8, v14
	v_lshl_add_u32 v12, v131, 10, 0x2000
	s_delay_alu instid0(VALU_DEP_1) | instskip(NEXT) | instid1(VALU_DEP_1)
	v_and_or_b32 v0, 0x8000, v0, v12
	v_lshl_or_b32 v0, v11, 7, v0
	s_delay_alu instid0(VALU_DEP_1)
	v_cvt_f32_f16_e64 v131, v0
.LBB348_1393:                           ;   in Loop: Header=BB348_934 Depth=1
	s_or_b32 exec_lo, exec_lo, s15
.LBB348_1394:                           ;   in Loop: Header=BB348_934 Depth=1
	s_delay_alu instid0(SALU_CYCLE_1)
	s_or_b32 exec_lo, exec_lo, s13
.LBB348_1395:                           ;   in Loop: Header=BB348_934 Depth=1
	s_delay_alu instid0(SALU_CYCLE_1)
	s_or_b32 exec_lo, exec_lo, s12
	s_waitcnt vmcnt(0) lgkmcnt(0)
	v_fma_mixlo_f16 v12, v116, v118, 0
	v_fma_mixlo_f16 v0, v116, v128, 0
	v_fma_mixlo_f16 v11, v116, v119, 0
	v_fma_mixlo_f16 v117, v116, v117, 0
	v_fma_mixlo_f16 v118, v116, v130, 0
	v_lshlrev_b32_e32 v14, 16, v12
	v_fma_mixlo_f16 v119, v116, v129, 0
	v_fma_mixlo_f16 v128, v116, v131, 0
	;; [unrolled: 1-line block ×3, first 2 shown]
	v_lshlrev_b32_e32 v0, 16, v0
	v_and_b32_e32 v11, 0xffff, v11
	v_and_b32_e32 v116, 0xffff, v117
	v_lshlrev_b32_e32 v117, 16, v118
	v_and_b32_e32 v118, 0xffff, v119
	v_lshlrev_b32_e32 v119, 16, v128
	v_and_b32_e32 v128, 0xffff, v12
	v_or_b32_e32 v13, v0, v11
	v_or_b32_e32 v14, v14, v116
	;; [unrolled: 1-line block ×3, first 2 shown]
	s_delay_alu instid0(VALU_DEP_4)
	v_or_b32_e32 v11, v119, v128
	s_and_saveexec_b32 s12, vcc_lo
	s_cbranch_execz .LBB348_1397
; %bb.1396:                             ;   in Loop: Header=BB348_934 Depth=1
	v_cmp_lt_i32_e64 s0, v19, v38
	v_lshrrev_b32_e32 v116, 16, v14
	v_lshrrev_b32_e32 v117, 16, v13
	;; [unrolled: 1-line block ×4, first 2 shown]
	v_cndmask_b32_e64 v14, 0, v14, s0
	v_cmp_lt_i32_e64 s0, v97, v55
	s_delay_alu instid0(VALU_DEP_1) | instskip(SKIP_1) | instid1(VALU_DEP_2)
	v_cndmask_b32_e64 v116, 0, v116, s0
	v_cmp_lt_i32_e64 s0, v87, v55
	v_perm_b32 v14, v116, v14, 0x5040100
	s_delay_alu instid0(VALU_DEP_2) | instskip(SKIP_1) | instid1(VALU_DEP_1)
	v_cndmask_b32_e64 v117, 0, v117, s0
	v_cmp_lt_i32_e64 s0, v83, v38
	v_cndmask_b32_e64 v13, 0, v13, s0
	v_cmp_lt_i32_e64 s0, v80, v55
	s_delay_alu instid0(VALU_DEP_2) | instskip(NEXT) | instid1(VALU_DEP_2)
	v_perm_b32 v13, v117, v13, 0x5040100
	v_cndmask_b32_e64 v118, 0, v118, s0
	v_cmp_lt_i32_e64 s0, v71, v38
	s_delay_alu instid0(VALU_DEP_1) | instskip(SKIP_1) | instid1(VALU_DEP_2)
	v_cndmask_b32_e64 v0, 0, v0, s0
	v_cmp_lt_i32_e64 s0, v70, v55
	v_perm_b32 v0, v118, v0, 0x5040100
	s_delay_alu instid0(VALU_DEP_2) | instskip(SKIP_1) | instid1(VALU_DEP_1)
	v_cndmask_b32_e64 v11, 0, v11, s0
	v_cmp_lt_i32_e64 s0, v64, v38
	v_cndmask_b32_e64 v12, 0, v12, s0
	s_delay_alu instid0(VALU_DEP_1)
	v_perm_b32 v11, v11, v12, 0x5040100
.LBB348_1397:                           ;   in Loop: Header=BB348_934 Depth=1
	s_or_b32 exec_lo, exec_lo, s12
	;;#ASMSTART
	v_pk_mul_f16 v12, v96, v14;

	;;#ASMEND
	;;#ASMSTART
	v_pk_mul_f16 v13, v86, v13;

	;;#ASMEND
	;; [unrolled: 4-line block ×4, first 2 shown]
	;;#ASMSTART
	v_pk_add_f16 v12, v12, v13;

	;;#ASMEND
	;;#ASMSTART
	v_pk_add_f16 v0, v12, v0;

	;;#ASMEND
	;; [unrolled: 4-line block ×3, first 2 shown]
	v_dual_mov_b32 v128, 0 :: v_dual_and_b32 v11, 0xffff, v0
	v_lshrrev_b32_e32 v0, 16, v0
	;;#ASMSTART
	v_cvt_f32_f16 v116, v11;
	;;#ASMEND
	;;#ASMSTART
	v_cvt_f32_f16 v117, v0;
	;;#ASMEND
	flat_load_b64 v[11:12], v[9:10] offset:1792
	flat_load_b32 v118, v[26:27]
	s_mov_b32 s12, exec_lo
	s_waitcnt vmcnt(1) lgkmcnt(1)
	v_dual_mov_b32 v119, 0 :: v_dual_and_b32 v0, 0xff, v11
	s_delay_alu instid0(VALU_DEP_1)
	v_cmpx_ne_u16_e32 0, v0
	s_cbranch_execz .LBB348_1405
; %bb.1398:                             ;   in Loop: Header=BB348_934 Depth=1
	v_bfrev_b32_e32 v119, 1
	s_mov_b32 s13, exec_lo
	v_cmpx_ne_u16_e32 0x80, v0
	s_cbranch_execz .LBB348_1404
; %bb.1399:                             ;   in Loop: Header=BB348_934 Depth=1
	v_and_b32_e32 v13, 0x7f, v11
	v_mov_b32_e32 v119, 0x7fc02000
	s_mov_b32 s15, exec_lo
	s_delay_alu instid0(VALU_DEP_2)
	v_cmpx_ne_u32_e32 0x7f, v13
	s_cbranch_execz .LBB348_1403
; %bb.1400:                             ;   in Loop: Header=BB348_934 Depth=1
	v_lshrrev_b32_e32 v0, 3, v13
	v_cmp_gt_u32_e64 s0, 8, v13
	v_dual_mov_b32 v14, v12 :: v_dual_mov_b32 v13, v11
	s_delay_alu instid0(VALU_DEP_2)
	s_and_saveexec_b32 s16, s0
; %bb.1401:                             ;   in Loop: Header=BB348_934 Depth=1
	v_and_b32_e32 v0, 7, v11
	s_delay_alu instid0(VALU_DEP_1) | instskip(NEXT) | instid1(VALU_DEP_1)
	v_clz_i32_u32_e32 v0, v0
	v_min_u32_e32 v0, 32, v0
	s_delay_alu instid0(VALU_DEP_1) | instskip(SKIP_1) | instid1(VALU_DEP_2)
	v_subrev_nc_u32_e32 v13, 28, v0
	v_sub_nc_u32_e32 v0, 29, v0
	v_lshlrev_b64 v[13:14], v13, v[11:12]
; %bb.1402:                             ;   in Loop: Header=BB348_934 Depth=1
	s_or_b32 exec_lo, exec_lo, s16
	v_lshlrev_b32_e32 v14, 8, v11
	s_delay_alu instid0(VALU_DEP_3) | instskip(NEXT) | instid1(VALU_DEP_3)
	v_lshl_add_u32 v0, v0, 10, 0x2000
	v_lshlrev_b32_e32 v13, 7, v13
	s_delay_alu instid0(VALU_DEP_2) | instskip(NEXT) | instid1(VALU_DEP_1)
	v_and_or_b32 v0, 0x8000, v14, v0
	v_and_or_b32 v0, 0x380, v13, v0
	s_delay_alu instid0(VALU_DEP_1)
	v_cvt_f32_f16_e32 v119, v0
.LBB348_1403:                           ;   in Loop: Header=BB348_934 Depth=1
	s_or_b32 exec_lo, exec_lo, s15
.LBB348_1404:                           ;   in Loop: Header=BB348_934 Depth=1
	s_delay_alu instid0(SALU_CYCLE_1)
	s_or_b32 exec_lo, exec_lo, s13
.LBB348_1405:                           ;   in Loop: Header=BB348_934 Depth=1
	s_delay_alu instid0(SALU_CYCLE_1) | instskip(SKIP_2) | instid1(VALU_DEP_1)
	s_or_b32 exec_lo, exec_lo, s12
	v_lshrrev_b16 v0, 8, v11
	s_mov_b32 s12, exec_lo
	v_cmpx_ne_u16_e32 0, v0
	s_cbranch_execz .LBB348_1413
; %bb.1406:                             ;   in Loop: Header=BB348_934 Depth=1
	v_bfrev_b32_e32 v128, 1
	s_mov_b32 s13, exec_lo
	v_cmpx_ne_u16_e32 0x80, v0
	s_cbranch_execz .LBB348_1412
; %bb.1407:                             ;   in Loop: Header=BB348_934 Depth=1
	v_and_b32_e32 v129, 0xffff, v0
	v_mov_b32_e32 v128, 0x7fc02000
	s_mov_b32 s15, exec_lo
	s_delay_alu instid0(VALU_DEP_2) | instskip(NEXT) | instid1(VALU_DEP_1)
	v_and_b32_e32 v13, 0x7f, v129
	v_cmpx_ne_u32_e32 0x7f, v13
	s_cbranch_execz .LBB348_1411
; %bb.1408:                             ;   in Loop: Header=BB348_934 Depth=1
	v_and_b32_e32 v0, 7, v129
	v_lshrrev_b32_e32 v128, 3, v13
	v_cmp_gt_u32_e64 s0, 8, v13
	s_delay_alu instid0(VALU_DEP_3) | instskip(NEXT) | instid1(VALU_DEP_2)
	v_dual_mov_b32 v14, v1 :: v_dual_mov_b32 v13, v0
	s_and_saveexec_b32 s16, s0
; %bb.1409:                             ;   in Loop: Header=BB348_934 Depth=1
	v_clz_i32_u32_e32 v13, v0
	s_delay_alu instid0(VALU_DEP_1) | instskip(NEXT) | instid1(VALU_DEP_1)
	v_min_u32_e32 v128, 32, v13
	v_subrev_nc_u32_e32 v13, 28, v128
	v_sub_nc_u32_e32 v128, 29, v128
	s_delay_alu instid0(VALU_DEP_2) | instskip(NEXT) | instid1(VALU_DEP_1)
	v_lshlrev_b64 v[13:14], v13, v[0:1]
	v_and_b32_e32 v13, 7, v13
; %bb.1410:                             ;   in Loop: Header=BB348_934 Depth=1
	s_or_b32 exec_lo, exec_lo, s16
	v_lshlrev_b32_e32 v0, 8, v129
	v_lshl_add_u32 v14, v128, 10, 0x2000
	s_delay_alu instid0(VALU_DEP_1) | instskip(NEXT) | instid1(VALU_DEP_1)
	v_and_or_b32 v0, 0x8000, v0, v14
	v_lshl_or_b32 v0, v13, 7, v0
	s_delay_alu instid0(VALU_DEP_1)
	v_cvt_f32_f16_e64 v128, v0
.LBB348_1411:                           ;   in Loop: Header=BB348_934 Depth=1
	s_or_b32 exec_lo, exec_lo, s15
.LBB348_1412:                           ;   in Loop: Header=BB348_934 Depth=1
	s_delay_alu instid0(SALU_CYCLE_1)
	s_or_b32 exec_lo, exec_lo, s13
.LBB348_1413:                           ;   in Loop: Header=BB348_934 Depth=1
	s_delay_alu instid0(SALU_CYCLE_1) | instskip(SKIP_3) | instid1(VALU_DEP_2)
	s_or_b32 exec_lo, exec_lo, s12
	v_lshrrev_b32_e32 v131, 16, v11
	v_mov_b32_e32 v130, 0
	s_mov_b32 s12, exec_lo
	v_dual_mov_b32 v129, 0 :: v_dual_and_b32 v0, 0xff, v131
	s_delay_alu instid0(VALU_DEP_1)
	v_cmpx_ne_u16_e32 0, v0
	s_cbranch_execz .LBB348_1421
; %bb.1414:                             ;   in Loop: Header=BB348_934 Depth=1
	v_bfrev_b32_e32 v129, 1
	s_mov_b32 s13, exec_lo
	v_cmpx_ne_u16_e32 0x80, v0
	s_cbranch_execz .LBB348_1420
; %bb.1415:                             ;   in Loop: Header=BB348_934 Depth=1
	v_bfe_u32 v13, v11, 16, 7
	v_mov_b32_e32 v129, 0x7fc02000
	s_mov_b32 s15, exec_lo
	s_delay_alu instid0(VALU_DEP_2)
	v_cmpx_ne_u32_e32 0x7f, v13
	s_cbranch_execz .LBB348_1419
; %bb.1416:                             ;   in Loop: Header=BB348_934 Depth=1
	v_and_b32_e32 v0, 7, v131
	v_lshrrev_b32_e32 v129, 3, v13
	v_cmp_gt_u32_e64 s0, 8, v13
	s_delay_alu instid0(VALU_DEP_3) | instskip(NEXT) | instid1(VALU_DEP_2)
	v_dual_mov_b32 v14, v1 :: v_dual_mov_b32 v13, v0
	s_and_saveexec_b32 s16, s0
; %bb.1417:                             ;   in Loop: Header=BB348_934 Depth=1
	v_clz_i32_u32_e32 v13, v0
	s_delay_alu instid0(VALU_DEP_1) | instskip(NEXT) | instid1(VALU_DEP_1)
	v_min_u32_e32 v129, 32, v13
	v_subrev_nc_u32_e32 v13, 28, v129
	v_sub_nc_u32_e32 v129, 29, v129
	s_delay_alu instid0(VALU_DEP_2) | instskip(NEXT) | instid1(VALU_DEP_1)
	v_lshlrev_b64 v[13:14], v13, v[0:1]
	v_and_b32_e32 v13, 7, v13
; %bb.1418:                             ;   in Loop: Header=BB348_934 Depth=1
	s_or_b32 exec_lo, exec_lo, s16
	v_lshlrev_b32_e32 v0, 8, v131
	v_lshl_add_u32 v14, v129, 10, 0x2000
	s_delay_alu instid0(VALU_DEP_1) | instskip(NEXT) | instid1(VALU_DEP_1)
	v_and_or_b32 v0, 0x8000, v0, v14
	v_lshl_or_b32 v0, v13, 7, v0
	s_delay_alu instid0(VALU_DEP_1)
	v_cvt_f32_f16_e64 v129, v0
.LBB348_1419:                           ;   in Loop: Header=BB348_934 Depth=1
	s_or_b32 exec_lo, exec_lo, s15
.LBB348_1420:                           ;   in Loop: Header=BB348_934 Depth=1
	s_delay_alu instid0(SALU_CYCLE_1)
	s_or_b32 exec_lo, exec_lo, s13
.LBB348_1421:                           ;   in Loop: Header=BB348_934 Depth=1
	s_delay_alu instid0(SALU_CYCLE_1) | instskip(NEXT) | instid1(SALU_CYCLE_1)
	s_or_b32 exec_lo, exec_lo, s12
	s_mov_b32 s12, exec_lo
	v_cmpx_lt_u32_e32 0xffffff, v11
	s_cbranch_execz .LBB348_1429
; %bb.1422:                             ;   in Loop: Header=BB348_934 Depth=1
	v_lshrrev_b32_e32 v131, 24, v11
	v_bfrev_b32_e32 v130, 1
	s_mov_b32 s13, exec_lo
	s_delay_alu instid0(VALU_DEP_2)
	v_cmpx_ne_u32_e32 0x80, v131
	s_cbranch_execz .LBB348_1428
; %bb.1423:                             ;   in Loop: Header=BB348_934 Depth=1
	v_and_b32_e32 v13, 0x7f, v131
	v_mov_b32_e32 v130, 0x7fc02000
	s_mov_b32 s15, exec_lo
	s_delay_alu instid0(VALU_DEP_2)
	v_cmpx_ne_u32_e32 0x7f, v13
	s_cbranch_execz .LBB348_1427
; %bb.1424:                             ;   in Loop: Header=BB348_934 Depth=1
	v_and_b32_e32 v0, 7, v131
	v_lshrrev_b32_e32 v130, 3, v13
	v_cmp_gt_u32_e64 s0, 8, v13
	s_delay_alu instid0(VALU_DEP_3) | instskip(NEXT) | instid1(VALU_DEP_2)
	v_dual_mov_b32 v14, v1 :: v_dual_mov_b32 v13, v0
	s_and_saveexec_b32 s16, s0
; %bb.1425:                             ;   in Loop: Header=BB348_934 Depth=1
	v_clz_i32_u32_e32 v13, v0
	s_delay_alu instid0(VALU_DEP_1) | instskip(NEXT) | instid1(VALU_DEP_1)
	v_min_u32_e32 v130, 32, v13
	v_subrev_nc_u32_e32 v13, 28, v130
	v_sub_nc_u32_e32 v130, 29, v130
	s_delay_alu instid0(VALU_DEP_2) | instskip(NEXT) | instid1(VALU_DEP_1)
	v_lshlrev_b64 v[13:14], v13, v[0:1]
	v_and_b32_e32 v13, 7, v13
; %bb.1426:                             ;   in Loop: Header=BB348_934 Depth=1
	s_or_b32 exec_lo, exec_lo, s16
	v_lshlrev_b32_e32 v0, 8, v131
	v_lshl_add_u32 v14, v130, 10, 0x2000
	s_delay_alu instid0(VALU_DEP_1) | instskip(NEXT) | instid1(VALU_DEP_1)
	v_and_or_b32 v0, 0x8000, v0, v14
	v_lshl_or_b32 v0, v13, 7, v0
	s_delay_alu instid0(VALU_DEP_1)
	v_cvt_f32_f16_e64 v130, v0
.LBB348_1427:                           ;   in Loop: Header=BB348_934 Depth=1
	s_or_b32 exec_lo, exec_lo, s15
.LBB348_1428:                           ;   in Loop: Header=BB348_934 Depth=1
	s_delay_alu instid0(SALU_CYCLE_1)
	s_or_b32 exec_lo, exec_lo, s13
.LBB348_1429:                           ;   in Loop: Header=BB348_934 Depth=1
	s_delay_alu instid0(SALU_CYCLE_1) | instskip(SKIP_3) | instid1(VALU_DEP_2)
	s_or_b32 exec_lo, exec_lo, s12
	v_dual_mov_b32 v0, v12 :: v_dual_and_b32 v13, 0xff, v12
	v_dual_mov_b32 v132, 0 :: v_dual_mov_b32 v131, 0
	s_mov_b32 s12, exec_lo
	v_cmpx_ne_u16_e32 0, v13
	s_cbranch_execz .LBB348_1437
; %bb.1430:                             ;   in Loop: Header=BB348_934 Depth=1
	v_bfrev_b32_e32 v131, 1
	s_mov_b32 s13, exec_lo
	v_cmpx_ne_u16_e32 0x80, v13
	s_cbranch_execz .LBB348_1436
; %bb.1431:                             ;   in Loop: Header=BB348_934 Depth=1
	v_and_b32_e32 v13, 0x7f, v12
	v_mov_b32_e32 v131, 0x7fc02000
	s_mov_b32 s15, exec_lo
	s_delay_alu instid0(VALU_DEP_2)
	v_cmpx_ne_u32_e32 0x7f, v13
	s_cbranch_execz .LBB348_1435
; %bb.1432:                             ;   in Loop: Header=BB348_934 Depth=1
	v_lshrrev_b32_e32 v131, 3, v13
	v_cmp_gt_u32_e64 s0, 8, v13
	v_dual_mov_b32 v14, v1 :: v_dual_mov_b32 v13, v0
	s_delay_alu instid0(VALU_DEP_2)
	s_and_saveexec_b32 s16, s0
; %bb.1433:                             ;   in Loop: Header=BB348_934 Depth=1
	v_and_b32_e32 v13, 7, v12
	s_delay_alu instid0(VALU_DEP_1) | instskip(NEXT) | instid1(VALU_DEP_1)
	v_clz_i32_u32_e32 v13, v13
	v_min_u32_e32 v131, 32, v13
	s_delay_alu instid0(VALU_DEP_1) | instskip(SKIP_1) | instid1(VALU_DEP_2)
	v_subrev_nc_u32_e32 v13, 28, v131
	v_sub_nc_u32_e32 v131, 29, v131
	v_lshlrev_b64 v[13:14], v13, v[0:1]
; %bb.1434:                             ;   in Loop: Header=BB348_934 Depth=1
	s_or_b32 exec_lo, exec_lo, s16
	v_lshlrev_b32_e32 v14, 8, v12
	s_delay_alu instid0(VALU_DEP_3) | instskip(NEXT) | instid1(VALU_DEP_3)
	v_lshl_add_u32 v131, v131, 10, 0x2000
	v_lshlrev_b32_e32 v13, 7, v13
	s_delay_alu instid0(VALU_DEP_2) | instskip(NEXT) | instid1(VALU_DEP_1)
	v_and_or_b32 v14, 0x8000, v14, v131
	v_and_or_b32 v13, 0x380, v13, v14
	s_delay_alu instid0(VALU_DEP_1)
	v_cvt_f32_f16_e64 v131, v13
.LBB348_1435:                           ;   in Loop: Header=BB348_934 Depth=1
	s_or_b32 exec_lo, exec_lo, s15
.LBB348_1436:                           ;   in Loop: Header=BB348_934 Depth=1
	s_delay_alu instid0(SALU_CYCLE_1)
	s_or_b32 exec_lo, exec_lo, s13
.LBB348_1437:                           ;   in Loop: Header=BB348_934 Depth=1
	s_delay_alu instid0(SALU_CYCLE_1) | instskip(SKIP_2) | instid1(VALU_DEP_1)
	s_or_b32 exec_lo, exec_lo, s12
	v_lshrrev_b16 v0, 8, v0
	s_mov_b32 s12, exec_lo
	v_cmpx_ne_u16_e32 0, v0
	s_cbranch_execz .LBB348_1445
; %bb.1438:                             ;   in Loop: Header=BB348_934 Depth=1
	v_bfrev_b32_e32 v132, 1
	s_mov_b32 s13, exec_lo
	v_cmpx_ne_u16_e32 0x80, v0
	s_cbranch_execz .LBB348_1444
; %bb.1439:                             ;   in Loop: Header=BB348_934 Depth=1
	v_and_b32_e32 v133, 0xffff, v0
	v_mov_b32_e32 v132, 0x7fc02000
	s_mov_b32 s15, exec_lo
	s_delay_alu instid0(VALU_DEP_2) | instskip(NEXT) | instid1(VALU_DEP_1)
	v_and_b32_e32 v13, 0x7f, v133
	v_cmpx_ne_u32_e32 0x7f, v13
	s_cbranch_execz .LBB348_1443
; %bb.1440:                             ;   in Loop: Header=BB348_934 Depth=1
	v_and_b32_e32 v0, 7, v133
	v_lshrrev_b32_e32 v132, 3, v13
	v_cmp_gt_u32_e64 s0, 8, v13
	s_delay_alu instid0(VALU_DEP_3) | instskip(NEXT) | instid1(VALU_DEP_2)
	v_dual_mov_b32 v14, v1 :: v_dual_mov_b32 v13, v0
	s_and_saveexec_b32 s16, s0
; %bb.1441:                             ;   in Loop: Header=BB348_934 Depth=1
	v_clz_i32_u32_e32 v13, v0
	s_delay_alu instid0(VALU_DEP_1) | instskip(NEXT) | instid1(VALU_DEP_1)
	v_min_u32_e32 v132, 32, v13
	v_subrev_nc_u32_e32 v13, 28, v132
	v_sub_nc_u32_e32 v132, 29, v132
	s_delay_alu instid0(VALU_DEP_2) | instskip(NEXT) | instid1(VALU_DEP_1)
	v_lshlrev_b64 v[13:14], v13, v[0:1]
	v_and_b32_e32 v13, 7, v13
; %bb.1442:                             ;   in Loop: Header=BB348_934 Depth=1
	s_or_b32 exec_lo, exec_lo, s16
	v_lshlrev_b32_e32 v0, 8, v133
	v_lshl_add_u32 v14, v132, 10, 0x2000
	s_delay_alu instid0(VALU_DEP_1) | instskip(NEXT) | instid1(VALU_DEP_1)
	v_and_or_b32 v0, 0x8000, v0, v14
	v_lshl_or_b32 v0, v13, 7, v0
	s_delay_alu instid0(VALU_DEP_1)
	v_cvt_f32_f16_e64 v132, v0
.LBB348_1443:                           ;   in Loop: Header=BB348_934 Depth=1
	s_or_b32 exec_lo, exec_lo, s15
.LBB348_1444:                           ;   in Loop: Header=BB348_934 Depth=1
	s_delay_alu instid0(SALU_CYCLE_1)
	s_or_b32 exec_lo, exec_lo, s13
.LBB348_1445:                           ;   in Loop: Header=BB348_934 Depth=1
	s_delay_alu instid0(SALU_CYCLE_1) | instskip(SKIP_3) | instid1(VALU_DEP_2)
	s_or_b32 exec_lo, exec_lo, s12
	v_lshrrev_b32_e32 v134, 16, v12
	v_mov_b32_e32 v13, 0
	s_mov_b32 s12, exec_lo
	v_dual_mov_b32 v133, 0 :: v_dual_and_b32 v0, 0xff, v134
	s_delay_alu instid0(VALU_DEP_1)
	v_cmpx_ne_u16_e32 0, v0
	s_cbranch_execz .LBB348_1453
; %bb.1446:                             ;   in Loop: Header=BB348_934 Depth=1
	v_bfrev_b32_e32 v13, 1
	s_mov_b32 s13, exec_lo
	v_cmpx_ne_u16_e32 0x80, v0
	s_cbranch_execz .LBB348_1452
; %bb.1447:                             ;   in Loop: Header=BB348_934 Depth=1
	v_bfe_u32 v14, v12, 16, 7
	v_mov_b32_e32 v13, 0x7fc02000
	s_mov_b32 s15, exec_lo
	s_delay_alu instid0(VALU_DEP_2)
	v_cmpx_ne_u32_e32 0x7f, v14
	s_cbranch_execz .LBB348_1451
; %bb.1448:                             ;   in Loop: Header=BB348_934 Depth=1
	v_and_b32_e32 v0, 7, v134
	v_lshrrev_b32_e32 v135, 3, v14
	v_cmp_gt_u32_e64 s0, 8, v14
	s_delay_alu instid0(VALU_DEP_3) | instskip(NEXT) | instid1(VALU_DEP_2)
	v_dual_mov_b32 v14, v1 :: v_dual_mov_b32 v13, v0
	s_and_saveexec_b32 s16, s0
; %bb.1449:                             ;   in Loop: Header=BB348_934 Depth=1
	v_clz_i32_u32_e32 v13, v0
	s_delay_alu instid0(VALU_DEP_1) | instskip(NEXT) | instid1(VALU_DEP_1)
	v_min_u32_e32 v135, 32, v13
	v_subrev_nc_u32_e32 v13, 28, v135
	v_sub_nc_u32_e32 v135, 29, v135
	s_delay_alu instid0(VALU_DEP_2) | instskip(NEXT) | instid1(VALU_DEP_1)
	v_lshlrev_b64 v[13:14], v13, v[0:1]
	v_and_b32_e32 v13, 7, v13
; %bb.1450:                             ;   in Loop: Header=BB348_934 Depth=1
	s_or_b32 exec_lo, exec_lo, s16
	v_lshlrev_b32_e32 v0, 8, v134
	v_lshl_add_u32 v14, v135, 10, 0x2000
	s_delay_alu instid0(VALU_DEP_1) | instskip(NEXT) | instid1(VALU_DEP_1)
	v_and_or_b32 v0, 0x8000, v0, v14
	v_lshl_or_b32 v0, v13, 7, v0
	s_delay_alu instid0(VALU_DEP_1)
	v_cvt_f32_f16_e32 v13, v0
.LBB348_1451:                           ;   in Loop: Header=BB348_934 Depth=1
	s_or_b32 exec_lo, exec_lo, s15
.LBB348_1452:                           ;   in Loop: Header=BB348_934 Depth=1
	s_delay_alu instid0(SALU_CYCLE_1)
	s_or_b32 exec_lo, exec_lo, s13
.LBB348_1453:                           ;   in Loop: Header=BB348_934 Depth=1
	s_delay_alu instid0(SALU_CYCLE_1) | instskip(NEXT) | instid1(SALU_CYCLE_1)
	s_or_b32 exec_lo, exec_lo, s12
	s_mov_b32 s12, exec_lo
	v_cmpx_lt_u64_e64 s[8:9], v[11:12]
	s_cbranch_execz .LBB348_1461
; %bb.1454:                             ;   in Loop: Header=BB348_934 Depth=1
	v_lshrrev_b32_e32 v14, 24, v12
	v_bfrev_b32_e32 v133, 1
	s_mov_b32 s13, exec_lo
	s_delay_alu instid0(VALU_DEP_2)
	v_cmpx_ne_u32_e32 0x80, v14
	s_cbranch_execz .LBB348_1460
; %bb.1455:                             ;   in Loop: Header=BB348_934 Depth=1
	v_and_b32_e32 v11, 0x7f, v14
	v_mov_b32_e32 v133, 0x7fc02000
	s_mov_b32 s15, exec_lo
	s_delay_alu instid0(VALU_DEP_2)
	v_cmpx_ne_u32_e32 0x7f, v11
	s_cbranch_execz .LBB348_1459
; %bb.1456:                             ;   in Loop: Header=BB348_934 Depth=1
	v_and_b32_e32 v0, 7, v14
	v_lshrrev_b32_e32 v133, 3, v11
	v_cmp_gt_u32_e64 s0, 8, v11
	s_delay_alu instid0(VALU_DEP_3) | instskip(NEXT) | instid1(VALU_DEP_2)
	v_dual_mov_b32 v12, v1 :: v_dual_mov_b32 v11, v0
	s_and_saveexec_b32 s16, s0
; %bb.1457:                             ;   in Loop: Header=BB348_934 Depth=1
	v_clz_i32_u32_e32 v11, v0
	s_delay_alu instid0(VALU_DEP_1) | instskip(NEXT) | instid1(VALU_DEP_1)
	v_min_u32_e32 v133, 32, v11
	v_subrev_nc_u32_e32 v11, 28, v133
	v_sub_nc_u32_e32 v133, 29, v133
	s_delay_alu instid0(VALU_DEP_2) | instskip(NEXT) | instid1(VALU_DEP_1)
	v_lshlrev_b64 v[11:12], v11, v[0:1]
	v_and_b32_e32 v11, 7, v11
; %bb.1458:                             ;   in Loop: Header=BB348_934 Depth=1
	s_or_b32 exec_lo, exec_lo, s16
	v_lshlrev_b32_e32 v0, 8, v14
	v_lshl_add_u32 v12, v133, 10, 0x2000
	s_delay_alu instid0(VALU_DEP_1) | instskip(NEXT) | instid1(VALU_DEP_1)
	v_and_or_b32 v0, 0x8000, v0, v12
	v_lshl_or_b32 v0, v11, 7, v0
	s_delay_alu instid0(VALU_DEP_1)
	v_cvt_f32_f16_e64 v133, v0
.LBB348_1459:                           ;   in Loop: Header=BB348_934 Depth=1
	s_or_b32 exec_lo, exec_lo, s15
.LBB348_1460:                           ;   in Loop: Header=BB348_934 Depth=1
	s_delay_alu instid0(SALU_CYCLE_1)
	s_or_b32 exec_lo, exec_lo, s13
.LBB348_1461:                           ;   in Loop: Header=BB348_934 Depth=1
	s_delay_alu instid0(SALU_CYCLE_1)
	s_or_b32 exec_lo, exec_lo, s12
	s_waitcnt vmcnt(0) lgkmcnt(0)
	v_fma_mixlo_f16 v12, v118, v128, 0
	v_fma_mixlo_f16 v0, v118, v130, 0
	;; [unrolled: 1-line block ×5, first 2 shown]
	v_lshlrev_b32_e32 v14, 16, v12
	v_fma_mixlo_f16 v129, v118, v131, 0
	v_fma_mixlo_f16 v130, v118, v133, 0
	;; [unrolled: 1-line block ×3, first 2 shown]
	v_lshlrev_b32_e32 v0, 16, v0
	v_and_b32_e32 v11, 0xffff, v11
	v_and_b32_e32 v118, 0xffff, v119
	v_lshlrev_b32_e32 v119, 16, v128
	v_and_b32_e32 v128, 0xffff, v129
	v_lshlrev_b32_e32 v129, 16, v130
	v_and_b32_e32 v130, 0xffff, v12
	v_or_b32_e32 v13, v0, v11
	v_or_b32_e32 v14, v14, v118
	;; [unrolled: 1-line block ×3, first 2 shown]
	s_delay_alu instid0(VALU_DEP_4)
	v_or_b32_e32 v11, v129, v130
	s_and_saveexec_b32 s12, vcc_lo
	s_cbranch_execz .LBB348_1463
; %bb.1462:                             ;   in Loop: Header=BB348_934 Depth=1
	v_cmp_lt_i32_e64 s0, v19, v38
	v_lshrrev_b32_e32 v118, 16, v14
	v_lshrrev_b32_e32 v119, 16, v13
	;; [unrolled: 1-line block ×4, first 2 shown]
	v_cndmask_b32_e64 v14, 0, v14, s0
	v_cmp_lt_i32_e64 s0, v97, v55
	s_delay_alu instid0(VALU_DEP_1) | instskip(SKIP_1) | instid1(VALU_DEP_2)
	v_cndmask_b32_e64 v118, 0, v118, s0
	v_cmp_lt_i32_e64 s0, v87, v55
	v_perm_b32 v14, v118, v14, 0x5040100
	s_delay_alu instid0(VALU_DEP_2) | instskip(SKIP_1) | instid1(VALU_DEP_1)
	v_cndmask_b32_e64 v119, 0, v119, s0
	v_cmp_lt_i32_e64 s0, v83, v38
	v_cndmask_b32_e64 v13, 0, v13, s0
	v_cmp_lt_i32_e64 s0, v80, v55
	s_delay_alu instid0(VALU_DEP_2) | instskip(NEXT) | instid1(VALU_DEP_2)
	v_perm_b32 v13, v119, v13, 0x5040100
	v_cndmask_b32_e64 v128, 0, v128, s0
	v_cmp_lt_i32_e64 s0, v71, v38
	s_delay_alu instid0(VALU_DEP_1) | instskip(SKIP_1) | instid1(VALU_DEP_2)
	v_cndmask_b32_e64 v0, 0, v0, s0
	v_cmp_lt_i32_e64 s0, v70, v55
	v_perm_b32 v0, v128, v0, 0x5040100
	s_delay_alu instid0(VALU_DEP_2) | instskip(SKIP_1) | instid1(VALU_DEP_1)
	v_cndmask_b32_e64 v11, 0, v11, s0
	v_cmp_lt_i32_e64 s0, v64, v38
	v_cndmask_b32_e64 v12, 0, v12, s0
	s_delay_alu instid0(VALU_DEP_1)
	v_perm_b32 v11, v11, v12, 0x5040100
.LBB348_1463:                           ;   in Loop: Header=BB348_934 Depth=1
	s_or_b32 exec_lo, exec_lo, s12
	;;#ASMSTART
	v_pk_mul_f16 v12, v96, v14;

	;;#ASMEND
	;;#ASMSTART
	v_pk_mul_f16 v13, v86, v13;

	;;#ASMEND
	;; [unrolled: 4-line block ×4, first 2 shown]
	;;#ASMSTART
	v_pk_add_f16 v12, v12, v13;

	;;#ASMEND
	;;#ASMSTART
	v_pk_add_f16 v0, v12, v0;

	;;#ASMEND
	;;#ASMSTART
	v_pk_add_f16 v0, v0, v11;

	;;#ASMEND
	v_dual_mov_b32 v130, 0 :: v_dual_and_b32 v11, 0xffff, v0
	v_lshrrev_b32_e32 v0, 16, v0
	;;#ASMSTART
	v_cvt_f32_f16 v118, v11;
	;;#ASMEND
	;;#ASMSTART
	v_cvt_f32_f16 v119, v0;
	;;#ASMEND
	flat_load_b64 v[11:12], v[9:10] offset:2048
	flat_load_b32 v128, v[26:27]
	s_mov_b32 s12, exec_lo
	s_waitcnt vmcnt(1) lgkmcnt(1)
	v_dual_mov_b32 v129, 0 :: v_dual_and_b32 v0, 0xff, v11
	s_delay_alu instid0(VALU_DEP_1)
	v_cmpx_ne_u16_e32 0, v0
	s_cbranch_execz .LBB348_1471
; %bb.1464:                             ;   in Loop: Header=BB348_934 Depth=1
	v_bfrev_b32_e32 v129, 1
	s_mov_b32 s13, exec_lo
	v_cmpx_ne_u16_e32 0x80, v0
	s_cbranch_execz .LBB348_1470
; %bb.1465:                             ;   in Loop: Header=BB348_934 Depth=1
	v_and_b32_e32 v13, 0x7f, v11
	v_mov_b32_e32 v129, 0x7fc02000
	s_mov_b32 s15, exec_lo
	s_delay_alu instid0(VALU_DEP_2)
	v_cmpx_ne_u32_e32 0x7f, v13
	s_cbranch_execz .LBB348_1469
; %bb.1466:                             ;   in Loop: Header=BB348_934 Depth=1
	v_lshrrev_b32_e32 v0, 3, v13
	v_cmp_gt_u32_e64 s0, 8, v13
	v_dual_mov_b32 v14, v12 :: v_dual_mov_b32 v13, v11
	s_delay_alu instid0(VALU_DEP_2)
	s_and_saveexec_b32 s16, s0
; %bb.1467:                             ;   in Loop: Header=BB348_934 Depth=1
	v_and_b32_e32 v0, 7, v11
	s_delay_alu instid0(VALU_DEP_1) | instskip(NEXT) | instid1(VALU_DEP_1)
	v_clz_i32_u32_e32 v0, v0
	v_min_u32_e32 v0, 32, v0
	s_delay_alu instid0(VALU_DEP_1) | instskip(SKIP_1) | instid1(VALU_DEP_2)
	v_subrev_nc_u32_e32 v13, 28, v0
	v_sub_nc_u32_e32 v0, 29, v0
	v_lshlrev_b64 v[13:14], v13, v[11:12]
; %bb.1468:                             ;   in Loop: Header=BB348_934 Depth=1
	s_or_b32 exec_lo, exec_lo, s16
	v_lshlrev_b32_e32 v14, 8, v11
	s_delay_alu instid0(VALU_DEP_3) | instskip(NEXT) | instid1(VALU_DEP_3)
	v_lshl_add_u32 v0, v0, 10, 0x2000
	v_lshlrev_b32_e32 v13, 7, v13
	s_delay_alu instid0(VALU_DEP_2) | instskip(NEXT) | instid1(VALU_DEP_1)
	v_and_or_b32 v0, 0x8000, v14, v0
	v_and_or_b32 v0, 0x380, v13, v0
	s_delay_alu instid0(VALU_DEP_1)
	v_cvt_f32_f16_e64 v129, v0
.LBB348_1469:                           ;   in Loop: Header=BB348_934 Depth=1
	s_or_b32 exec_lo, exec_lo, s15
.LBB348_1470:                           ;   in Loop: Header=BB348_934 Depth=1
	s_delay_alu instid0(SALU_CYCLE_1)
	s_or_b32 exec_lo, exec_lo, s13
.LBB348_1471:                           ;   in Loop: Header=BB348_934 Depth=1
	s_delay_alu instid0(SALU_CYCLE_1) | instskip(SKIP_2) | instid1(VALU_DEP_1)
	s_or_b32 exec_lo, exec_lo, s12
	v_lshrrev_b16 v0, 8, v11
	s_mov_b32 s12, exec_lo
	v_cmpx_ne_u16_e32 0, v0
	s_cbranch_execz .LBB348_1479
; %bb.1472:                             ;   in Loop: Header=BB348_934 Depth=1
	v_bfrev_b32_e32 v130, 1
	s_mov_b32 s13, exec_lo
	v_cmpx_ne_u16_e32 0x80, v0
	s_cbranch_execz .LBB348_1478
; %bb.1473:                             ;   in Loop: Header=BB348_934 Depth=1
	v_and_b32_e32 v131, 0xffff, v0
	v_mov_b32_e32 v130, 0x7fc02000
	s_mov_b32 s15, exec_lo
	s_delay_alu instid0(VALU_DEP_2) | instskip(NEXT) | instid1(VALU_DEP_1)
	v_and_b32_e32 v13, 0x7f, v131
	v_cmpx_ne_u32_e32 0x7f, v13
	s_cbranch_execz .LBB348_1477
; %bb.1474:                             ;   in Loop: Header=BB348_934 Depth=1
	v_and_b32_e32 v0, 7, v131
	v_lshrrev_b32_e32 v130, 3, v13
	v_cmp_gt_u32_e64 s0, 8, v13
	s_delay_alu instid0(VALU_DEP_3) | instskip(NEXT) | instid1(VALU_DEP_2)
	v_dual_mov_b32 v14, v1 :: v_dual_mov_b32 v13, v0
	s_and_saveexec_b32 s16, s0
; %bb.1475:                             ;   in Loop: Header=BB348_934 Depth=1
	v_clz_i32_u32_e32 v13, v0
	s_delay_alu instid0(VALU_DEP_1) | instskip(NEXT) | instid1(VALU_DEP_1)
	v_min_u32_e32 v130, 32, v13
	v_subrev_nc_u32_e32 v13, 28, v130
	v_sub_nc_u32_e32 v130, 29, v130
	s_delay_alu instid0(VALU_DEP_2) | instskip(NEXT) | instid1(VALU_DEP_1)
	v_lshlrev_b64 v[13:14], v13, v[0:1]
	v_and_b32_e32 v13, 7, v13
; %bb.1476:                             ;   in Loop: Header=BB348_934 Depth=1
	s_or_b32 exec_lo, exec_lo, s16
	v_lshlrev_b32_e32 v0, 8, v131
	v_lshl_add_u32 v14, v130, 10, 0x2000
	s_delay_alu instid0(VALU_DEP_1) | instskip(NEXT) | instid1(VALU_DEP_1)
	v_and_or_b32 v0, 0x8000, v0, v14
	v_lshl_or_b32 v0, v13, 7, v0
	s_delay_alu instid0(VALU_DEP_1)
	v_cvt_f32_f16_e64 v130, v0
.LBB348_1477:                           ;   in Loop: Header=BB348_934 Depth=1
	s_or_b32 exec_lo, exec_lo, s15
.LBB348_1478:                           ;   in Loop: Header=BB348_934 Depth=1
	s_delay_alu instid0(SALU_CYCLE_1)
	s_or_b32 exec_lo, exec_lo, s13
.LBB348_1479:                           ;   in Loop: Header=BB348_934 Depth=1
	s_delay_alu instid0(SALU_CYCLE_1) | instskip(SKIP_3) | instid1(VALU_DEP_2)
	s_or_b32 exec_lo, exec_lo, s12
	v_lshrrev_b32_e32 v133, 16, v11
	v_mov_b32_e32 v132, 0
	s_mov_b32 s12, exec_lo
	v_dual_mov_b32 v131, 0 :: v_dual_and_b32 v0, 0xff, v133
	s_delay_alu instid0(VALU_DEP_1)
	v_cmpx_ne_u16_e32 0, v0
	s_cbranch_execz .LBB348_1487
; %bb.1480:                             ;   in Loop: Header=BB348_934 Depth=1
	v_bfrev_b32_e32 v131, 1
	s_mov_b32 s13, exec_lo
	v_cmpx_ne_u16_e32 0x80, v0
	s_cbranch_execz .LBB348_1486
; %bb.1481:                             ;   in Loop: Header=BB348_934 Depth=1
	v_bfe_u32 v13, v11, 16, 7
	v_mov_b32_e32 v131, 0x7fc02000
	s_mov_b32 s15, exec_lo
	s_delay_alu instid0(VALU_DEP_2)
	v_cmpx_ne_u32_e32 0x7f, v13
	s_cbranch_execz .LBB348_1485
; %bb.1482:                             ;   in Loop: Header=BB348_934 Depth=1
	v_and_b32_e32 v0, 7, v133
	v_lshrrev_b32_e32 v131, 3, v13
	v_cmp_gt_u32_e64 s0, 8, v13
	s_delay_alu instid0(VALU_DEP_3) | instskip(NEXT) | instid1(VALU_DEP_2)
	v_dual_mov_b32 v14, v1 :: v_dual_mov_b32 v13, v0
	s_and_saveexec_b32 s16, s0
; %bb.1483:                             ;   in Loop: Header=BB348_934 Depth=1
	v_clz_i32_u32_e32 v13, v0
	s_delay_alu instid0(VALU_DEP_1) | instskip(NEXT) | instid1(VALU_DEP_1)
	v_min_u32_e32 v131, 32, v13
	v_subrev_nc_u32_e32 v13, 28, v131
	v_sub_nc_u32_e32 v131, 29, v131
	s_delay_alu instid0(VALU_DEP_2) | instskip(NEXT) | instid1(VALU_DEP_1)
	v_lshlrev_b64 v[13:14], v13, v[0:1]
	v_and_b32_e32 v13, 7, v13
; %bb.1484:                             ;   in Loop: Header=BB348_934 Depth=1
	s_or_b32 exec_lo, exec_lo, s16
	v_lshlrev_b32_e32 v0, 8, v133
	v_lshl_add_u32 v14, v131, 10, 0x2000
	s_delay_alu instid0(VALU_DEP_1) | instskip(NEXT) | instid1(VALU_DEP_1)
	v_and_or_b32 v0, 0x8000, v0, v14
	v_lshl_or_b32 v0, v13, 7, v0
	s_delay_alu instid0(VALU_DEP_1)
	v_cvt_f32_f16_e64 v131, v0
.LBB348_1485:                           ;   in Loop: Header=BB348_934 Depth=1
	s_or_b32 exec_lo, exec_lo, s15
.LBB348_1486:                           ;   in Loop: Header=BB348_934 Depth=1
	s_delay_alu instid0(SALU_CYCLE_1)
	s_or_b32 exec_lo, exec_lo, s13
.LBB348_1487:                           ;   in Loop: Header=BB348_934 Depth=1
	s_delay_alu instid0(SALU_CYCLE_1) | instskip(NEXT) | instid1(SALU_CYCLE_1)
	s_or_b32 exec_lo, exec_lo, s12
	s_mov_b32 s12, exec_lo
	v_cmpx_lt_u32_e32 0xffffff, v11
	s_cbranch_execz .LBB348_1495
; %bb.1488:                             ;   in Loop: Header=BB348_934 Depth=1
	v_lshrrev_b32_e32 v133, 24, v11
	v_bfrev_b32_e32 v132, 1
	s_mov_b32 s13, exec_lo
	s_delay_alu instid0(VALU_DEP_2)
	v_cmpx_ne_u32_e32 0x80, v133
	s_cbranch_execz .LBB348_1494
; %bb.1489:                             ;   in Loop: Header=BB348_934 Depth=1
	v_and_b32_e32 v13, 0x7f, v133
	v_mov_b32_e32 v132, 0x7fc02000
	s_mov_b32 s15, exec_lo
	s_delay_alu instid0(VALU_DEP_2)
	v_cmpx_ne_u32_e32 0x7f, v13
	s_cbranch_execz .LBB348_1493
; %bb.1490:                             ;   in Loop: Header=BB348_934 Depth=1
	v_and_b32_e32 v0, 7, v133
	v_lshrrev_b32_e32 v132, 3, v13
	v_cmp_gt_u32_e64 s0, 8, v13
	s_delay_alu instid0(VALU_DEP_3) | instskip(NEXT) | instid1(VALU_DEP_2)
	v_dual_mov_b32 v14, v1 :: v_dual_mov_b32 v13, v0
	s_and_saveexec_b32 s16, s0
; %bb.1491:                             ;   in Loop: Header=BB348_934 Depth=1
	v_clz_i32_u32_e32 v13, v0
	s_delay_alu instid0(VALU_DEP_1) | instskip(NEXT) | instid1(VALU_DEP_1)
	v_min_u32_e32 v132, 32, v13
	v_subrev_nc_u32_e32 v13, 28, v132
	v_sub_nc_u32_e32 v132, 29, v132
	s_delay_alu instid0(VALU_DEP_2) | instskip(NEXT) | instid1(VALU_DEP_1)
	v_lshlrev_b64 v[13:14], v13, v[0:1]
	v_and_b32_e32 v13, 7, v13
; %bb.1492:                             ;   in Loop: Header=BB348_934 Depth=1
	s_or_b32 exec_lo, exec_lo, s16
	v_lshlrev_b32_e32 v0, 8, v133
	v_lshl_add_u32 v14, v132, 10, 0x2000
	s_delay_alu instid0(VALU_DEP_1) | instskip(NEXT) | instid1(VALU_DEP_1)
	v_and_or_b32 v0, 0x8000, v0, v14
	v_lshl_or_b32 v0, v13, 7, v0
	s_delay_alu instid0(VALU_DEP_1)
	v_cvt_f32_f16_e64 v132, v0
.LBB348_1493:                           ;   in Loop: Header=BB348_934 Depth=1
	s_or_b32 exec_lo, exec_lo, s15
.LBB348_1494:                           ;   in Loop: Header=BB348_934 Depth=1
	s_delay_alu instid0(SALU_CYCLE_1)
	s_or_b32 exec_lo, exec_lo, s13
.LBB348_1495:                           ;   in Loop: Header=BB348_934 Depth=1
	s_delay_alu instid0(SALU_CYCLE_1) | instskip(SKIP_3) | instid1(VALU_DEP_2)
	s_or_b32 exec_lo, exec_lo, s12
	v_dual_mov_b32 v0, v12 :: v_dual_and_b32 v13, 0xff, v12
	v_dual_mov_b32 v134, 0 :: v_dual_mov_b32 v133, 0
	s_mov_b32 s12, exec_lo
	v_cmpx_ne_u16_e32 0, v13
	s_cbranch_execz .LBB348_1503
; %bb.1496:                             ;   in Loop: Header=BB348_934 Depth=1
	v_bfrev_b32_e32 v133, 1
	s_mov_b32 s13, exec_lo
	v_cmpx_ne_u16_e32 0x80, v13
	s_cbranch_execz .LBB348_1502
; %bb.1497:                             ;   in Loop: Header=BB348_934 Depth=1
	v_and_b32_e32 v13, 0x7f, v12
	v_mov_b32_e32 v133, 0x7fc02000
	s_mov_b32 s15, exec_lo
	s_delay_alu instid0(VALU_DEP_2)
	v_cmpx_ne_u32_e32 0x7f, v13
	s_cbranch_execz .LBB348_1501
; %bb.1498:                             ;   in Loop: Header=BB348_934 Depth=1
	v_lshrrev_b32_e32 v133, 3, v13
	v_cmp_gt_u32_e64 s0, 8, v13
	v_dual_mov_b32 v14, v1 :: v_dual_mov_b32 v13, v0
	s_delay_alu instid0(VALU_DEP_2)
	s_and_saveexec_b32 s16, s0
; %bb.1499:                             ;   in Loop: Header=BB348_934 Depth=1
	v_and_b32_e32 v13, 7, v12
	s_delay_alu instid0(VALU_DEP_1) | instskip(NEXT) | instid1(VALU_DEP_1)
	v_clz_i32_u32_e32 v13, v13
	v_min_u32_e32 v133, 32, v13
	s_delay_alu instid0(VALU_DEP_1) | instskip(SKIP_1) | instid1(VALU_DEP_2)
	v_subrev_nc_u32_e32 v13, 28, v133
	v_sub_nc_u32_e32 v133, 29, v133
	v_lshlrev_b64 v[13:14], v13, v[0:1]
; %bb.1500:                             ;   in Loop: Header=BB348_934 Depth=1
	s_or_b32 exec_lo, exec_lo, s16
	v_lshlrev_b32_e32 v14, 8, v12
	s_delay_alu instid0(VALU_DEP_3) | instskip(NEXT) | instid1(VALU_DEP_3)
	v_lshl_add_u32 v133, v133, 10, 0x2000
	v_lshlrev_b32_e32 v13, 7, v13
	s_delay_alu instid0(VALU_DEP_2) | instskip(NEXT) | instid1(VALU_DEP_1)
	v_and_or_b32 v14, 0x8000, v14, v133
	v_and_or_b32 v13, 0x380, v13, v14
	s_delay_alu instid0(VALU_DEP_1)
	v_cvt_f32_f16_e64 v133, v13
.LBB348_1501:                           ;   in Loop: Header=BB348_934 Depth=1
	s_or_b32 exec_lo, exec_lo, s15
.LBB348_1502:                           ;   in Loop: Header=BB348_934 Depth=1
	s_delay_alu instid0(SALU_CYCLE_1)
	s_or_b32 exec_lo, exec_lo, s13
.LBB348_1503:                           ;   in Loop: Header=BB348_934 Depth=1
	s_delay_alu instid0(SALU_CYCLE_1) | instskip(SKIP_2) | instid1(VALU_DEP_1)
	s_or_b32 exec_lo, exec_lo, s12
	v_lshrrev_b16 v0, 8, v0
	s_mov_b32 s12, exec_lo
	v_cmpx_ne_u16_e32 0, v0
	s_cbranch_execz .LBB348_1511
; %bb.1504:                             ;   in Loop: Header=BB348_934 Depth=1
	v_bfrev_b32_e32 v134, 1
	s_mov_b32 s13, exec_lo
	v_cmpx_ne_u16_e32 0x80, v0
	s_cbranch_execz .LBB348_1510
; %bb.1505:                             ;   in Loop: Header=BB348_934 Depth=1
	v_and_b32_e32 v135, 0xffff, v0
	v_mov_b32_e32 v134, 0x7fc02000
	s_mov_b32 s15, exec_lo
	s_delay_alu instid0(VALU_DEP_2) | instskip(NEXT) | instid1(VALU_DEP_1)
	v_and_b32_e32 v13, 0x7f, v135
	v_cmpx_ne_u32_e32 0x7f, v13
	s_cbranch_execz .LBB348_1509
; %bb.1506:                             ;   in Loop: Header=BB348_934 Depth=1
	v_and_b32_e32 v0, 7, v135
	v_lshrrev_b32_e32 v134, 3, v13
	v_cmp_gt_u32_e64 s0, 8, v13
	s_delay_alu instid0(VALU_DEP_3) | instskip(NEXT) | instid1(VALU_DEP_2)
	v_dual_mov_b32 v14, v1 :: v_dual_mov_b32 v13, v0
	s_and_saveexec_b32 s16, s0
; %bb.1507:                             ;   in Loop: Header=BB348_934 Depth=1
	v_clz_i32_u32_e32 v13, v0
	s_delay_alu instid0(VALU_DEP_1) | instskip(NEXT) | instid1(VALU_DEP_1)
	v_min_u32_e32 v134, 32, v13
	v_subrev_nc_u32_e32 v13, 28, v134
	v_sub_nc_u32_e32 v134, 29, v134
	s_delay_alu instid0(VALU_DEP_2) | instskip(NEXT) | instid1(VALU_DEP_1)
	v_lshlrev_b64 v[13:14], v13, v[0:1]
	v_and_b32_e32 v13, 7, v13
; %bb.1508:                             ;   in Loop: Header=BB348_934 Depth=1
	s_or_b32 exec_lo, exec_lo, s16
	v_lshlrev_b32_e32 v0, 8, v135
	v_lshl_add_u32 v14, v134, 10, 0x2000
	s_delay_alu instid0(VALU_DEP_1) | instskip(NEXT) | instid1(VALU_DEP_1)
	v_and_or_b32 v0, 0x8000, v0, v14
	v_lshl_or_b32 v0, v13, 7, v0
	s_delay_alu instid0(VALU_DEP_1)
	v_cvt_f32_f16_e64 v134, v0
.LBB348_1509:                           ;   in Loop: Header=BB348_934 Depth=1
	s_or_b32 exec_lo, exec_lo, s15
.LBB348_1510:                           ;   in Loop: Header=BB348_934 Depth=1
	s_delay_alu instid0(SALU_CYCLE_1)
	s_or_b32 exec_lo, exec_lo, s13
.LBB348_1511:                           ;   in Loop: Header=BB348_934 Depth=1
	s_delay_alu instid0(SALU_CYCLE_1) | instskip(SKIP_3) | instid1(VALU_DEP_2)
	s_or_b32 exec_lo, exec_lo, s12
	v_lshrrev_b32_e32 v144, 16, v12
	v_mov_b32_e32 v13, 0
	s_mov_b32 s12, exec_lo
	v_dual_mov_b32 v135, 0 :: v_dual_and_b32 v0, 0xff, v144
	s_delay_alu instid0(VALU_DEP_1)
	v_cmpx_ne_u16_e32 0, v0
	s_cbranch_execz .LBB348_1519
; %bb.1512:                             ;   in Loop: Header=BB348_934 Depth=1
	v_bfrev_b32_e32 v13, 1
	s_mov_b32 s13, exec_lo
	v_cmpx_ne_u16_e32 0x80, v0
	s_cbranch_execz .LBB348_1518
; %bb.1513:                             ;   in Loop: Header=BB348_934 Depth=1
	v_bfe_u32 v14, v12, 16, 7
	v_mov_b32_e32 v13, 0x7fc02000
	s_mov_b32 s15, exec_lo
	s_delay_alu instid0(VALU_DEP_2)
	v_cmpx_ne_u32_e32 0x7f, v14
	s_cbranch_execz .LBB348_1517
; %bb.1514:                             ;   in Loop: Header=BB348_934 Depth=1
	v_and_b32_e32 v0, 7, v144
	v_lshrrev_b32_e32 v145, 3, v14
	v_cmp_gt_u32_e64 s0, 8, v14
	s_delay_alu instid0(VALU_DEP_3) | instskip(NEXT) | instid1(VALU_DEP_2)
	v_dual_mov_b32 v14, v1 :: v_dual_mov_b32 v13, v0
	s_and_saveexec_b32 s16, s0
; %bb.1515:                             ;   in Loop: Header=BB348_934 Depth=1
	v_clz_i32_u32_e32 v13, v0
	s_delay_alu instid0(VALU_DEP_1) | instskip(NEXT) | instid1(VALU_DEP_1)
	v_min_u32_e32 v145, 32, v13
	v_subrev_nc_u32_e32 v13, 28, v145
	v_sub_nc_u32_e32 v145, 29, v145
	s_delay_alu instid0(VALU_DEP_2) | instskip(NEXT) | instid1(VALU_DEP_1)
	v_lshlrev_b64 v[13:14], v13, v[0:1]
	v_and_b32_e32 v13, 7, v13
; %bb.1516:                             ;   in Loop: Header=BB348_934 Depth=1
	s_or_b32 exec_lo, exec_lo, s16
	v_lshlrev_b32_e32 v0, 8, v144
	v_lshl_add_u32 v14, v145, 10, 0x2000
	s_delay_alu instid0(VALU_DEP_1) | instskip(NEXT) | instid1(VALU_DEP_1)
	v_and_or_b32 v0, 0x8000, v0, v14
	v_lshl_or_b32 v0, v13, 7, v0
	s_delay_alu instid0(VALU_DEP_1)
	v_cvt_f32_f16_e32 v13, v0
.LBB348_1517:                           ;   in Loop: Header=BB348_934 Depth=1
	s_or_b32 exec_lo, exec_lo, s15
.LBB348_1518:                           ;   in Loop: Header=BB348_934 Depth=1
	s_delay_alu instid0(SALU_CYCLE_1)
	s_or_b32 exec_lo, exec_lo, s13
.LBB348_1519:                           ;   in Loop: Header=BB348_934 Depth=1
	s_delay_alu instid0(SALU_CYCLE_1) | instskip(NEXT) | instid1(SALU_CYCLE_1)
	s_or_b32 exec_lo, exec_lo, s12
	s_mov_b32 s12, exec_lo
	v_cmpx_lt_u64_e64 s[8:9], v[11:12]
	s_cbranch_execz .LBB348_1527
; %bb.1520:                             ;   in Loop: Header=BB348_934 Depth=1
	v_lshrrev_b32_e32 v14, 24, v12
	v_bfrev_b32_e32 v135, 1
	s_mov_b32 s13, exec_lo
	s_delay_alu instid0(VALU_DEP_2)
	v_cmpx_ne_u32_e32 0x80, v14
	s_cbranch_execz .LBB348_1526
; %bb.1521:                             ;   in Loop: Header=BB348_934 Depth=1
	v_and_b32_e32 v11, 0x7f, v14
	v_mov_b32_e32 v135, 0x7fc02000
	s_mov_b32 s15, exec_lo
	s_delay_alu instid0(VALU_DEP_2)
	v_cmpx_ne_u32_e32 0x7f, v11
	s_cbranch_execz .LBB348_1525
; %bb.1522:                             ;   in Loop: Header=BB348_934 Depth=1
	v_and_b32_e32 v0, 7, v14
	v_lshrrev_b32_e32 v135, 3, v11
	v_cmp_gt_u32_e64 s0, 8, v11
	s_delay_alu instid0(VALU_DEP_3) | instskip(NEXT) | instid1(VALU_DEP_2)
	v_dual_mov_b32 v12, v1 :: v_dual_mov_b32 v11, v0
	s_and_saveexec_b32 s16, s0
; %bb.1523:                             ;   in Loop: Header=BB348_934 Depth=1
	v_clz_i32_u32_e32 v11, v0
	s_delay_alu instid0(VALU_DEP_1) | instskip(NEXT) | instid1(VALU_DEP_1)
	v_min_u32_e32 v135, 32, v11
	v_subrev_nc_u32_e32 v11, 28, v135
	v_sub_nc_u32_e32 v135, 29, v135
	s_delay_alu instid0(VALU_DEP_2) | instskip(NEXT) | instid1(VALU_DEP_1)
	v_lshlrev_b64 v[11:12], v11, v[0:1]
	v_and_b32_e32 v11, 7, v11
; %bb.1524:                             ;   in Loop: Header=BB348_934 Depth=1
	s_or_b32 exec_lo, exec_lo, s16
	v_lshlrev_b32_e32 v0, 8, v14
	v_lshl_add_u32 v12, v135, 10, 0x2000
	s_delay_alu instid0(VALU_DEP_1) | instskip(NEXT) | instid1(VALU_DEP_1)
	v_and_or_b32 v0, 0x8000, v0, v12
	v_lshl_or_b32 v0, v11, 7, v0
	s_delay_alu instid0(VALU_DEP_1)
	v_cvt_f32_f16_e64 v135, v0
.LBB348_1525:                           ;   in Loop: Header=BB348_934 Depth=1
	s_or_b32 exec_lo, exec_lo, s15
.LBB348_1526:                           ;   in Loop: Header=BB348_934 Depth=1
	s_delay_alu instid0(SALU_CYCLE_1)
	s_or_b32 exec_lo, exec_lo, s13
.LBB348_1527:                           ;   in Loop: Header=BB348_934 Depth=1
	s_delay_alu instid0(SALU_CYCLE_1)
	s_or_b32 exec_lo, exec_lo, s12
	s_waitcnt vmcnt(0) lgkmcnt(0)
	v_fma_mixlo_f16 v12, v128, v130, 0
	v_fma_mixlo_f16 v0, v128, v132, 0
	;; [unrolled: 1-line block ×5, first 2 shown]
	v_lshlrev_b32_e32 v14, 16, v12
	v_fma_mixlo_f16 v131, v128, v133, 0
	v_fma_mixlo_f16 v132, v128, v135, 0
	;; [unrolled: 1-line block ×3, first 2 shown]
	v_lshlrev_b32_e32 v0, 16, v0
	v_and_b32_e32 v11, 0xffff, v11
	v_and_b32_e32 v128, 0xffff, v129
	v_lshlrev_b32_e32 v129, 16, v130
	v_and_b32_e32 v130, 0xffff, v131
	v_lshlrev_b32_e32 v131, 16, v132
	v_and_b32_e32 v132, 0xffff, v12
	v_or_b32_e32 v13, v0, v11
	v_or_b32_e32 v14, v14, v128
	;; [unrolled: 1-line block ×3, first 2 shown]
	s_delay_alu instid0(VALU_DEP_4)
	v_or_b32_e32 v11, v131, v132
	s_and_saveexec_b32 s12, vcc_lo
	s_cbranch_execz .LBB348_1529
; %bb.1528:                             ;   in Loop: Header=BB348_934 Depth=1
	v_cmp_lt_i32_e64 s0, v19, v38
	v_lshrrev_b32_e32 v128, 16, v14
	v_lshrrev_b32_e32 v129, 16, v13
	;; [unrolled: 1-line block ×4, first 2 shown]
	v_cndmask_b32_e64 v14, 0, v14, s0
	v_cmp_lt_i32_e64 s0, v97, v55
	s_delay_alu instid0(VALU_DEP_1) | instskip(SKIP_1) | instid1(VALU_DEP_2)
	v_cndmask_b32_e64 v128, 0, v128, s0
	v_cmp_lt_i32_e64 s0, v87, v55
	v_perm_b32 v14, v128, v14, 0x5040100
	s_delay_alu instid0(VALU_DEP_2) | instskip(SKIP_1) | instid1(VALU_DEP_1)
	v_cndmask_b32_e64 v129, 0, v129, s0
	v_cmp_lt_i32_e64 s0, v83, v38
	v_cndmask_b32_e64 v13, 0, v13, s0
	v_cmp_lt_i32_e64 s0, v80, v55
	s_delay_alu instid0(VALU_DEP_2) | instskip(NEXT) | instid1(VALU_DEP_2)
	v_perm_b32 v13, v129, v13, 0x5040100
	v_cndmask_b32_e64 v130, 0, v130, s0
	v_cmp_lt_i32_e64 s0, v71, v38
	s_delay_alu instid0(VALU_DEP_1) | instskip(SKIP_1) | instid1(VALU_DEP_2)
	v_cndmask_b32_e64 v0, 0, v0, s0
	v_cmp_lt_i32_e64 s0, v70, v55
	v_perm_b32 v0, v130, v0, 0x5040100
	s_delay_alu instid0(VALU_DEP_2) | instskip(SKIP_1) | instid1(VALU_DEP_1)
	v_cndmask_b32_e64 v11, 0, v11, s0
	v_cmp_lt_i32_e64 s0, v64, v38
	v_cndmask_b32_e64 v12, 0, v12, s0
	s_delay_alu instid0(VALU_DEP_1)
	v_perm_b32 v11, v11, v12, 0x5040100
.LBB348_1529:                           ;   in Loop: Header=BB348_934 Depth=1
	s_or_b32 exec_lo, exec_lo, s12
	;;#ASMSTART
	v_pk_mul_f16 v12, v96, v14;

	;;#ASMEND
	;;#ASMSTART
	v_pk_mul_f16 v13, v86, v13;

	;;#ASMEND
	;; [unrolled: 4-line block ×4, first 2 shown]
	;;#ASMSTART
	v_pk_add_f16 v12, v12, v13;

	;;#ASMEND
	;;#ASMSTART
	v_pk_add_f16 v0, v12, v0;

	;;#ASMEND
	;; [unrolled: 4-line block ×3, first 2 shown]
	v_dual_mov_b32 v132, 0 :: v_dual_and_b32 v11, 0xffff, v0
	v_lshrrev_b32_e32 v0, 16, v0
	;;#ASMSTART
	v_cvt_f32_f16 v128, v11;
	;;#ASMEND
	;;#ASMSTART
	v_cvt_f32_f16 v129, v0;
	;;#ASMEND
	flat_load_b64 v[11:12], v[9:10] offset:2304
	flat_load_b32 v130, v[26:27]
	s_mov_b32 s12, exec_lo
	s_waitcnt vmcnt(1) lgkmcnt(1)
	v_dual_mov_b32 v131, 0 :: v_dual_and_b32 v0, 0xff, v11
	s_delay_alu instid0(VALU_DEP_1)
	v_cmpx_ne_u16_e32 0, v0
	s_cbranch_execz .LBB348_1537
; %bb.1530:                             ;   in Loop: Header=BB348_934 Depth=1
	v_bfrev_b32_e32 v131, 1
	s_mov_b32 s13, exec_lo
	v_cmpx_ne_u16_e32 0x80, v0
	s_cbranch_execz .LBB348_1536
; %bb.1531:                             ;   in Loop: Header=BB348_934 Depth=1
	v_and_b32_e32 v13, 0x7f, v11
	v_mov_b32_e32 v131, 0x7fc02000
	s_mov_b32 s15, exec_lo
	s_delay_alu instid0(VALU_DEP_2)
	v_cmpx_ne_u32_e32 0x7f, v13
	s_cbranch_execz .LBB348_1535
; %bb.1532:                             ;   in Loop: Header=BB348_934 Depth=1
	v_lshrrev_b32_e32 v0, 3, v13
	v_cmp_gt_u32_e64 s0, 8, v13
	v_dual_mov_b32 v14, v12 :: v_dual_mov_b32 v13, v11
	s_delay_alu instid0(VALU_DEP_2)
	s_and_saveexec_b32 s16, s0
; %bb.1533:                             ;   in Loop: Header=BB348_934 Depth=1
	v_and_b32_e32 v0, 7, v11
	s_delay_alu instid0(VALU_DEP_1) | instskip(NEXT) | instid1(VALU_DEP_1)
	v_clz_i32_u32_e32 v0, v0
	v_min_u32_e32 v0, 32, v0
	s_delay_alu instid0(VALU_DEP_1) | instskip(SKIP_1) | instid1(VALU_DEP_2)
	v_subrev_nc_u32_e32 v13, 28, v0
	v_sub_nc_u32_e32 v0, 29, v0
	v_lshlrev_b64 v[13:14], v13, v[11:12]
; %bb.1534:                             ;   in Loop: Header=BB348_934 Depth=1
	s_or_b32 exec_lo, exec_lo, s16
	v_lshlrev_b32_e32 v14, 8, v11
	s_delay_alu instid0(VALU_DEP_3) | instskip(NEXT) | instid1(VALU_DEP_3)
	v_lshl_add_u32 v0, v0, 10, 0x2000
	v_lshlrev_b32_e32 v13, 7, v13
	s_delay_alu instid0(VALU_DEP_2) | instskip(NEXT) | instid1(VALU_DEP_1)
	v_and_or_b32 v0, 0x8000, v14, v0
	v_and_or_b32 v0, 0x380, v13, v0
	s_delay_alu instid0(VALU_DEP_1)
	v_cvt_f32_f16_e64 v131, v0
.LBB348_1535:                           ;   in Loop: Header=BB348_934 Depth=1
	s_or_b32 exec_lo, exec_lo, s15
.LBB348_1536:                           ;   in Loop: Header=BB348_934 Depth=1
	s_delay_alu instid0(SALU_CYCLE_1)
	s_or_b32 exec_lo, exec_lo, s13
.LBB348_1537:                           ;   in Loop: Header=BB348_934 Depth=1
	s_delay_alu instid0(SALU_CYCLE_1) | instskip(SKIP_2) | instid1(VALU_DEP_1)
	s_or_b32 exec_lo, exec_lo, s12
	v_lshrrev_b16 v0, 8, v11
	s_mov_b32 s12, exec_lo
	v_cmpx_ne_u16_e32 0, v0
	s_cbranch_execz .LBB348_1545
; %bb.1538:                             ;   in Loop: Header=BB348_934 Depth=1
	v_bfrev_b32_e32 v132, 1
	s_mov_b32 s13, exec_lo
	v_cmpx_ne_u16_e32 0x80, v0
	s_cbranch_execz .LBB348_1544
; %bb.1539:                             ;   in Loop: Header=BB348_934 Depth=1
	v_and_b32_e32 v133, 0xffff, v0
	v_mov_b32_e32 v132, 0x7fc02000
	s_mov_b32 s15, exec_lo
	s_delay_alu instid0(VALU_DEP_2) | instskip(NEXT) | instid1(VALU_DEP_1)
	v_and_b32_e32 v13, 0x7f, v133
	v_cmpx_ne_u32_e32 0x7f, v13
	s_cbranch_execz .LBB348_1543
; %bb.1540:                             ;   in Loop: Header=BB348_934 Depth=1
	v_and_b32_e32 v0, 7, v133
	v_lshrrev_b32_e32 v132, 3, v13
	v_cmp_gt_u32_e64 s0, 8, v13
	s_delay_alu instid0(VALU_DEP_3) | instskip(NEXT) | instid1(VALU_DEP_2)
	v_dual_mov_b32 v14, v1 :: v_dual_mov_b32 v13, v0
	s_and_saveexec_b32 s16, s0
; %bb.1541:                             ;   in Loop: Header=BB348_934 Depth=1
	v_clz_i32_u32_e32 v13, v0
	s_delay_alu instid0(VALU_DEP_1) | instskip(NEXT) | instid1(VALU_DEP_1)
	v_min_u32_e32 v132, 32, v13
	v_subrev_nc_u32_e32 v13, 28, v132
	v_sub_nc_u32_e32 v132, 29, v132
	s_delay_alu instid0(VALU_DEP_2) | instskip(NEXT) | instid1(VALU_DEP_1)
	v_lshlrev_b64 v[13:14], v13, v[0:1]
	v_and_b32_e32 v13, 7, v13
; %bb.1542:                             ;   in Loop: Header=BB348_934 Depth=1
	s_or_b32 exec_lo, exec_lo, s16
	v_lshlrev_b32_e32 v0, 8, v133
	v_lshl_add_u32 v14, v132, 10, 0x2000
	s_delay_alu instid0(VALU_DEP_1) | instskip(NEXT) | instid1(VALU_DEP_1)
	v_and_or_b32 v0, 0x8000, v0, v14
	v_lshl_or_b32 v0, v13, 7, v0
	s_delay_alu instid0(VALU_DEP_1)
	v_cvt_f32_f16_e64 v132, v0
.LBB348_1543:                           ;   in Loop: Header=BB348_934 Depth=1
	s_or_b32 exec_lo, exec_lo, s15
.LBB348_1544:                           ;   in Loop: Header=BB348_934 Depth=1
	s_delay_alu instid0(SALU_CYCLE_1)
	s_or_b32 exec_lo, exec_lo, s13
.LBB348_1545:                           ;   in Loop: Header=BB348_934 Depth=1
	s_delay_alu instid0(SALU_CYCLE_1) | instskip(SKIP_3) | instid1(VALU_DEP_2)
	s_or_b32 exec_lo, exec_lo, s12
	v_lshrrev_b32_e32 v135, 16, v11
	v_mov_b32_e32 v134, 0
	s_mov_b32 s12, exec_lo
	v_dual_mov_b32 v133, 0 :: v_dual_and_b32 v0, 0xff, v135
	s_delay_alu instid0(VALU_DEP_1)
	v_cmpx_ne_u16_e32 0, v0
	s_cbranch_execz .LBB348_1553
; %bb.1546:                             ;   in Loop: Header=BB348_934 Depth=1
	v_bfrev_b32_e32 v133, 1
	s_mov_b32 s13, exec_lo
	v_cmpx_ne_u16_e32 0x80, v0
	s_cbranch_execz .LBB348_1552
; %bb.1547:                             ;   in Loop: Header=BB348_934 Depth=1
	v_bfe_u32 v13, v11, 16, 7
	v_mov_b32_e32 v133, 0x7fc02000
	s_mov_b32 s15, exec_lo
	s_delay_alu instid0(VALU_DEP_2)
	v_cmpx_ne_u32_e32 0x7f, v13
	s_cbranch_execz .LBB348_1551
; %bb.1548:                             ;   in Loop: Header=BB348_934 Depth=1
	v_and_b32_e32 v0, 7, v135
	v_lshrrev_b32_e32 v133, 3, v13
	v_cmp_gt_u32_e64 s0, 8, v13
	s_delay_alu instid0(VALU_DEP_3) | instskip(NEXT) | instid1(VALU_DEP_2)
	v_dual_mov_b32 v14, v1 :: v_dual_mov_b32 v13, v0
	s_and_saveexec_b32 s16, s0
; %bb.1549:                             ;   in Loop: Header=BB348_934 Depth=1
	v_clz_i32_u32_e32 v13, v0
	s_delay_alu instid0(VALU_DEP_1) | instskip(NEXT) | instid1(VALU_DEP_1)
	v_min_u32_e32 v133, 32, v13
	v_subrev_nc_u32_e32 v13, 28, v133
	v_sub_nc_u32_e32 v133, 29, v133
	s_delay_alu instid0(VALU_DEP_2) | instskip(NEXT) | instid1(VALU_DEP_1)
	v_lshlrev_b64 v[13:14], v13, v[0:1]
	v_and_b32_e32 v13, 7, v13
; %bb.1550:                             ;   in Loop: Header=BB348_934 Depth=1
	s_or_b32 exec_lo, exec_lo, s16
	v_lshlrev_b32_e32 v0, 8, v135
	v_lshl_add_u32 v14, v133, 10, 0x2000
	s_delay_alu instid0(VALU_DEP_1) | instskip(NEXT) | instid1(VALU_DEP_1)
	v_and_or_b32 v0, 0x8000, v0, v14
	v_lshl_or_b32 v0, v13, 7, v0
	s_delay_alu instid0(VALU_DEP_1)
	v_cvt_f32_f16_e64 v133, v0
.LBB348_1551:                           ;   in Loop: Header=BB348_934 Depth=1
	s_or_b32 exec_lo, exec_lo, s15
.LBB348_1552:                           ;   in Loop: Header=BB348_934 Depth=1
	s_delay_alu instid0(SALU_CYCLE_1)
	s_or_b32 exec_lo, exec_lo, s13
.LBB348_1553:                           ;   in Loop: Header=BB348_934 Depth=1
	s_delay_alu instid0(SALU_CYCLE_1) | instskip(NEXT) | instid1(SALU_CYCLE_1)
	s_or_b32 exec_lo, exec_lo, s12
	s_mov_b32 s12, exec_lo
	v_cmpx_lt_u32_e32 0xffffff, v11
	s_cbranch_execz .LBB348_1561
; %bb.1554:                             ;   in Loop: Header=BB348_934 Depth=1
	v_lshrrev_b32_e32 v135, 24, v11
	v_bfrev_b32_e32 v134, 1
	s_mov_b32 s13, exec_lo
	s_delay_alu instid0(VALU_DEP_2)
	v_cmpx_ne_u32_e32 0x80, v135
	s_cbranch_execz .LBB348_1560
; %bb.1555:                             ;   in Loop: Header=BB348_934 Depth=1
	v_and_b32_e32 v13, 0x7f, v135
	v_mov_b32_e32 v134, 0x7fc02000
	s_mov_b32 s15, exec_lo
	s_delay_alu instid0(VALU_DEP_2)
	v_cmpx_ne_u32_e32 0x7f, v13
	s_cbranch_execz .LBB348_1559
; %bb.1556:                             ;   in Loop: Header=BB348_934 Depth=1
	v_and_b32_e32 v0, 7, v135
	v_lshrrev_b32_e32 v134, 3, v13
	v_cmp_gt_u32_e64 s0, 8, v13
	s_delay_alu instid0(VALU_DEP_3) | instskip(NEXT) | instid1(VALU_DEP_2)
	v_dual_mov_b32 v14, v1 :: v_dual_mov_b32 v13, v0
	s_and_saveexec_b32 s16, s0
; %bb.1557:                             ;   in Loop: Header=BB348_934 Depth=1
	v_clz_i32_u32_e32 v13, v0
	s_delay_alu instid0(VALU_DEP_1) | instskip(NEXT) | instid1(VALU_DEP_1)
	v_min_u32_e32 v134, 32, v13
	v_subrev_nc_u32_e32 v13, 28, v134
	v_sub_nc_u32_e32 v134, 29, v134
	s_delay_alu instid0(VALU_DEP_2) | instskip(NEXT) | instid1(VALU_DEP_1)
	v_lshlrev_b64 v[13:14], v13, v[0:1]
	v_and_b32_e32 v13, 7, v13
; %bb.1558:                             ;   in Loop: Header=BB348_934 Depth=1
	s_or_b32 exec_lo, exec_lo, s16
	v_lshlrev_b32_e32 v0, 8, v135
	v_lshl_add_u32 v14, v134, 10, 0x2000
	s_delay_alu instid0(VALU_DEP_1) | instskip(NEXT) | instid1(VALU_DEP_1)
	v_and_or_b32 v0, 0x8000, v0, v14
	v_lshl_or_b32 v0, v13, 7, v0
	s_delay_alu instid0(VALU_DEP_1)
	v_cvt_f32_f16_e64 v134, v0
.LBB348_1559:                           ;   in Loop: Header=BB348_934 Depth=1
	s_or_b32 exec_lo, exec_lo, s15
.LBB348_1560:                           ;   in Loop: Header=BB348_934 Depth=1
	s_delay_alu instid0(SALU_CYCLE_1)
	s_or_b32 exec_lo, exec_lo, s13
.LBB348_1561:                           ;   in Loop: Header=BB348_934 Depth=1
	s_delay_alu instid0(SALU_CYCLE_1) | instskip(SKIP_3) | instid1(VALU_DEP_2)
	s_or_b32 exec_lo, exec_lo, s12
	v_dual_mov_b32 v0, v12 :: v_dual_and_b32 v13, 0xff, v12
	v_dual_mov_b32 v144, 0 :: v_dual_mov_b32 v135, 0
	s_mov_b32 s12, exec_lo
	v_cmpx_ne_u16_e32 0, v13
	s_cbranch_execz .LBB348_1569
; %bb.1562:                             ;   in Loop: Header=BB348_934 Depth=1
	v_bfrev_b32_e32 v135, 1
	s_mov_b32 s13, exec_lo
	v_cmpx_ne_u16_e32 0x80, v13
	s_cbranch_execz .LBB348_1568
; %bb.1563:                             ;   in Loop: Header=BB348_934 Depth=1
	v_and_b32_e32 v13, 0x7f, v12
	v_mov_b32_e32 v135, 0x7fc02000
	s_mov_b32 s15, exec_lo
	s_delay_alu instid0(VALU_DEP_2)
	v_cmpx_ne_u32_e32 0x7f, v13
	s_cbranch_execz .LBB348_1567
; %bb.1564:                             ;   in Loop: Header=BB348_934 Depth=1
	v_lshrrev_b32_e32 v135, 3, v13
	v_cmp_gt_u32_e64 s0, 8, v13
	v_dual_mov_b32 v14, v1 :: v_dual_mov_b32 v13, v0
	s_delay_alu instid0(VALU_DEP_2)
	s_and_saveexec_b32 s16, s0
; %bb.1565:                             ;   in Loop: Header=BB348_934 Depth=1
	v_and_b32_e32 v13, 7, v12
	s_delay_alu instid0(VALU_DEP_1) | instskip(NEXT) | instid1(VALU_DEP_1)
	v_clz_i32_u32_e32 v13, v13
	v_min_u32_e32 v135, 32, v13
	s_delay_alu instid0(VALU_DEP_1) | instskip(SKIP_1) | instid1(VALU_DEP_2)
	v_subrev_nc_u32_e32 v13, 28, v135
	v_sub_nc_u32_e32 v135, 29, v135
	v_lshlrev_b64 v[13:14], v13, v[0:1]
; %bb.1566:                             ;   in Loop: Header=BB348_934 Depth=1
	s_or_b32 exec_lo, exec_lo, s16
	v_lshlrev_b32_e32 v14, 8, v12
	s_delay_alu instid0(VALU_DEP_3) | instskip(NEXT) | instid1(VALU_DEP_3)
	v_lshl_add_u32 v135, v135, 10, 0x2000
	v_lshlrev_b32_e32 v13, 7, v13
	s_delay_alu instid0(VALU_DEP_2) | instskip(NEXT) | instid1(VALU_DEP_1)
	v_and_or_b32 v14, 0x8000, v14, v135
	v_and_or_b32 v13, 0x380, v13, v14
	s_delay_alu instid0(VALU_DEP_1)
	v_cvt_f32_f16_e64 v135, v13
.LBB348_1567:                           ;   in Loop: Header=BB348_934 Depth=1
	s_or_b32 exec_lo, exec_lo, s15
.LBB348_1568:                           ;   in Loop: Header=BB348_934 Depth=1
	s_delay_alu instid0(SALU_CYCLE_1)
	s_or_b32 exec_lo, exec_lo, s13
.LBB348_1569:                           ;   in Loop: Header=BB348_934 Depth=1
	s_delay_alu instid0(SALU_CYCLE_1) | instskip(SKIP_2) | instid1(VALU_DEP_1)
	s_or_b32 exec_lo, exec_lo, s12
	v_lshrrev_b16 v0, 8, v0
	s_mov_b32 s12, exec_lo
	v_cmpx_ne_u16_e32 0, v0
	s_cbranch_execz .LBB348_1577
; %bb.1570:                             ;   in Loop: Header=BB348_934 Depth=1
	v_bfrev_b32_e32 v144, 1
	s_mov_b32 s13, exec_lo
	v_cmpx_ne_u16_e32 0x80, v0
	s_cbranch_execz .LBB348_1576
; %bb.1571:                             ;   in Loop: Header=BB348_934 Depth=1
	v_and_b32_e32 v145, 0xffff, v0
	v_mov_b32_e32 v144, 0x7fc02000
	s_mov_b32 s15, exec_lo
	s_delay_alu instid0(VALU_DEP_2) | instskip(NEXT) | instid1(VALU_DEP_1)
	v_and_b32_e32 v13, 0x7f, v145
	v_cmpx_ne_u32_e32 0x7f, v13
	s_cbranch_execz .LBB348_1575
; %bb.1572:                             ;   in Loop: Header=BB348_934 Depth=1
	v_and_b32_e32 v0, 7, v145
	v_lshrrev_b32_e32 v144, 3, v13
	v_cmp_gt_u32_e64 s0, 8, v13
	s_delay_alu instid0(VALU_DEP_3) | instskip(NEXT) | instid1(VALU_DEP_2)
	v_dual_mov_b32 v14, v1 :: v_dual_mov_b32 v13, v0
	s_and_saveexec_b32 s16, s0
; %bb.1573:                             ;   in Loop: Header=BB348_934 Depth=1
	v_clz_i32_u32_e32 v13, v0
	s_delay_alu instid0(VALU_DEP_1) | instskip(NEXT) | instid1(VALU_DEP_1)
	v_min_u32_e32 v144, 32, v13
	v_subrev_nc_u32_e32 v13, 28, v144
	v_sub_nc_u32_e32 v144, 29, v144
	s_delay_alu instid0(VALU_DEP_2) | instskip(NEXT) | instid1(VALU_DEP_1)
	v_lshlrev_b64 v[13:14], v13, v[0:1]
	v_and_b32_e32 v13, 7, v13
; %bb.1574:                             ;   in Loop: Header=BB348_934 Depth=1
	s_or_b32 exec_lo, exec_lo, s16
	v_lshlrev_b32_e32 v0, 8, v145
	v_lshl_add_u32 v14, v144, 10, 0x2000
	s_delay_alu instid0(VALU_DEP_1) | instskip(NEXT) | instid1(VALU_DEP_1)
	v_and_or_b32 v0, 0x8000, v0, v14
	v_lshl_or_b32 v0, v13, 7, v0
	s_delay_alu instid0(VALU_DEP_1)
	v_cvt_f32_f16_e64 v144, v0
.LBB348_1575:                           ;   in Loop: Header=BB348_934 Depth=1
	s_or_b32 exec_lo, exec_lo, s15
.LBB348_1576:                           ;   in Loop: Header=BB348_934 Depth=1
	s_delay_alu instid0(SALU_CYCLE_1)
	s_or_b32 exec_lo, exec_lo, s13
.LBB348_1577:                           ;   in Loop: Header=BB348_934 Depth=1
	s_delay_alu instid0(SALU_CYCLE_1) | instskip(SKIP_3) | instid1(VALU_DEP_2)
	s_or_b32 exec_lo, exec_lo, s12
	v_lshrrev_b32_e32 v146, 16, v12
	v_mov_b32_e32 v13, 0
	s_mov_b32 s12, exec_lo
	v_dual_mov_b32 v145, 0 :: v_dual_and_b32 v0, 0xff, v146
	s_delay_alu instid0(VALU_DEP_1)
	v_cmpx_ne_u16_e32 0, v0
	s_cbranch_execz .LBB348_1585
; %bb.1578:                             ;   in Loop: Header=BB348_934 Depth=1
	v_bfrev_b32_e32 v13, 1
	s_mov_b32 s13, exec_lo
	v_cmpx_ne_u16_e32 0x80, v0
	s_cbranch_execz .LBB348_1584
; %bb.1579:                             ;   in Loop: Header=BB348_934 Depth=1
	v_bfe_u32 v14, v12, 16, 7
	v_mov_b32_e32 v13, 0x7fc02000
	s_mov_b32 s15, exec_lo
	s_delay_alu instid0(VALU_DEP_2)
	v_cmpx_ne_u32_e32 0x7f, v14
	s_cbranch_execz .LBB348_1583
; %bb.1580:                             ;   in Loop: Header=BB348_934 Depth=1
	v_and_b32_e32 v0, 7, v146
	v_lshrrev_b32_e32 v147, 3, v14
	v_cmp_gt_u32_e64 s0, 8, v14
	s_delay_alu instid0(VALU_DEP_3) | instskip(NEXT) | instid1(VALU_DEP_2)
	v_dual_mov_b32 v14, v1 :: v_dual_mov_b32 v13, v0
	s_and_saveexec_b32 s16, s0
; %bb.1581:                             ;   in Loop: Header=BB348_934 Depth=1
	v_clz_i32_u32_e32 v13, v0
	s_delay_alu instid0(VALU_DEP_1) | instskip(NEXT) | instid1(VALU_DEP_1)
	v_min_u32_e32 v147, 32, v13
	v_subrev_nc_u32_e32 v13, 28, v147
	v_sub_nc_u32_e32 v147, 29, v147
	s_delay_alu instid0(VALU_DEP_2) | instskip(NEXT) | instid1(VALU_DEP_1)
	v_lshlrev_b64 v[13:14], v13, v[0:1]
	v_and_b32_e32 v13, 7, v13
; %bb.1582:                             ;   in Loop: Header=BB348_934 Depth=1
	s_or_b32 exec_lo, exec_lo, s16
	v_lshlrev_b32_e32 v0, 8, v146
	v_lshl_add_u32 v14, v147, 10, 0x2000
	s_delay_alu instid0(VALU_DEP_1) | instskip(NEXT) | instid1(VALU_DEP_1)
	v_and_or_b32 v0, 0x8000, v0, v14
	v_lshl_or_b32 v0, v13, 7, v0
	s_delay_alu instid0(VALU_DEP_1)
	v_cvt_f32_f16_e32 v13, v0
.LBB348_1583:                           ;   in Loop: Header=BB348_934 Depth=1
	s_or_b32 exec_lo, exec_lo, s15
.LBB348_1584:                           ;   in Loop: Header=BB348_934 Depth=1
	s_delay_alu instid0(SALU_CYCLE_1)
	s_or_b32 exec_lo, exec_lo, s13
.LBB348_1585:                           ;   in Loop: Header=BB348_934 Depth=1
	s_delay_alu instid0(SALU_CYCLE_1) | instskip(NEXT) | instid1(SALU_CYCLE_1)
	s_or_b32 exec_lo, exec_lo, s12
	s_mov_b32 s12, exec_lo
	v_cmpx_lt_u64_e64 s[8:9], v[11:12]
	s_cbranch_execz .LBB348_1593
; %bb.1586:                             ;   in Loop: Header=BB348_934 Depth=1
	v_lshrrev_b32_e32 v14, 24, v12
	v_bfrev_b32_e32 v145, 1
	s_mov_b32 s13, exec_lo
	s_delay_alu instid0(VALU_DEP_2)
	v_cmpx_ne_u32_e32 0x80, v14
	s_cbranch_execz .LBB348_1592
; %bb.1587:                             ;   in Loop: Header=BB348_934 Depth=1
	v_and_b32_e32 v11, 0x7f, v14
	v_mov_b32_e32 v145, 0x7fc02000
	s_mov_b32 s15, exec_lo
	s_delay_alu instid0(VALU_DEP_2)
	v_cmpx_ne_u32_e32 0x7f, v11
	s_cbranch_execz .LBB348_1591
; %bb.1588:                             ;   in Loop: Header=BB348_934 Depth=1
	v_and_b32_e32 v0, 7, v14
	v_lshrrev_b32_e32 v145, 3, v11
	v_cmp_gt_u32_e64 s0, 8, v11
	s_delay_alu instid0(VALU_DEP_3) | instskip(NEXT) | instid1(VALU_DEP_2)
	v_dual_mov_b32 v12, v1 :: v_dual_mov_b32 v11, v0
	s_and_saveexec_b32 s16, s0
; %bb.1589:                             ;   in Loop: Header=BB348_934 Depth=1
	v_clz_i32_u32_e32 v11, v0
	s_delay_alu instid0(VALU_DEP_1) | instskip(NEXT) | instid1(VALU_DEP_1)
	v_min_u32_e32 v145, 32, v11
	v_subrev_nc_u32_e32 v11, 28, v145
	v_sub_nc_u32_e32 v145, 29, v145
	s_delay_alu instid0(VALU_DEP_2) | instskip(NEXT) | instid1(VALU_DEP_1)
	v_lshlrev_b64 v[11:12], v11, v[0:1]
	v_and_b32_e32 v11, 7, v11
; %bb.1590:                             ;   in Loop: Header=BB348_934 Depth=1
	s_or_b32 exec_lo, exec_lo, s16
	v_lshlrev_b32_e32 v0, 8, v14
	v_lshl_add_u32 v12, v145, 10, 0x2000
	s_delay_alu instid0(VALU_DEP_1) | instskip(NEXT) | instid1(VALU_DEP_1)
	v_and_or_b32 v0, 0x8000, v0, v12
	v_lshl_or_b32 v0, v11, 7, v0
	s_delay_alu instid0(VALU_DEP_1)
	v_cvt_f32_f16_e64 v145, v0
.LBB348_1591:                           ;   in Loop: Header=BB348_934 Depth=1
	s_or_b32 exec_lo, exec_lo, s15
.LBB348_1592:                           ;   in Loop: Header=BB348_934 Depth=1
	s_delay_alu instid0(SALU_CYCLE_1)
	s_or_b32 exec_lo, exec_lo, s13
.LBB348_1593:                           ;   in Loop: Header=BB348_934 Depth=1
	s_delay_alu instid0(SALU_CYCLE_1)
	s_or_b32 exec_lo, exec_lo, s12
	s_waitcnt vmcnt(0) lgkmcnt(0)
	v_fma_mixlo_f16 v12, v130, v132, 0
	v_fma_mixlo_f16 v0, v130, v134, 0
	v_fma_mixlo_f16 v11, v130, v133, 0
	v_fma_mixlo_f16 v131, v130, v131, 0
	v_fma_mixlo_f16 v132, v130, v144, 0
	v_lshlrev_b32_e32 v14, 16, v12
	v_fma_mixlo_f16 v133, v130, v135, 0
	v_fma_mixlo_f16 v134, v130, v145, 0
	;; [unrolled: 1-line block ×3, first 2 shown]
	v_lshlrev_b32_e32 v0, 16, v0
	v_and_b32_e32 v11, 0xffff, v11
	v_and_b32_e32 v130, 0xffff, v131
	v_lshlrev_b32_e32 v131, 16, v132
	v_and_b32_e32 v132, 0xffff, v133
	v_lshlrev_b32_e32 v133, 16, v134
	v_and_b32_e32 v134, 0xffff, v12
	v_or_b32_e32 v13, v0, v11
	v_or_b32_e32 v14, v14, v130
	;; [unrolled: 1-line block ×3, first 2 shown]
	s_delay_alu instid0(VALU_DEP_4)
	v_or_b32_e32 v11, v133, v134
	s_and_saveexec_b32 s12, vcc_lo
	s_cbranch_execz .LBB348_1595
; %bb.1594:                             ;   in Loop: Header=BB348_934 Depth=1
	v_cmp_lt_i32_e64 s0, v19, v38
	v_lshrrev_b32_e32 v130, 16, v14
	v_lshrrev_b32_e32 v131, 16, v13
	;; [unrolled: 1-line block ×4, first 2 shown]
	v_cndmask_b32_e64 v14, 0, v14, s0
	v_cmp_lt_i32_e64 s0, v97, v55
	s_delay_alu instid0(VALU_DEP_1) | instskip(SKIP_1) | instid1(VALU_DEP_2)
	v_cndmask_b32_e64 v130, 0, v130, s0
	v_cmp_lt_i32_e64 s0, v87, v55
	v_perm_b32 v14, v130, v14, 0x5040100
	s_delay_alu instid0(VALU_DEP_2) | instskip(SKIP_1) | instid1(VALU_DEP_1)
	v_cndmask_b32_e64 v131, 0, v131, s0
	v_cmp_lt_i32_e64 s0, v83, v38
	v_cndmask_b32_e64 v13, 0, v13, s0
	v_cmp_lt_i32_e64 s0, v80, v55
	s_delay_alu instid0(VALU_DEP_2) | instskip(NEXT) | instid1(VALU_DEP_2)
	v_perm_b32 v13, v131, v13, 0x5040100
	v_cndmask_b32_e64 v132, 0, v132, s0
	v_cmp_lt_i32_e64 s0, v71, v38
	s_delay_alu instid0(VALU_DEP_1) | instskip(SKIP_1) | instid1(VALU_DEP_2)
	v_cndmask_b32_e64 v0, 0, v0, s0
	v_cmp_lt_i32_e64 s0, v70, v55
	v_perm_b32 v0, v132, v0, 0x5040100
	s_delay_alu instid0(VALU_DEP_2) | instskip(SKIP_1) | instid1(VALU_DEP_1)
	v_cndmask_b32_e64 v11, 0, v11, s0
	v_cmp_lt_i32_e64 s0, v64, v38
	v_cndmask_b32_e64 v12, 0, v12, s0
	s_delay_alu instid0(VALU_DEP_1)
	v_perm_b32 v11, v11, v12, 0x5040100
.LBB348_1595:                           ;   in Loop: Header=BB348_934 Depth=1
	s_or_b32 exec_lo, exec_lo, s12
	;;#ASMSTART
	v_pk_mul_f16 v12, v96, v14;

	;;#ASMEND
	;;#ASMSTART
	v_pk_mul_f16 v13, v86, v13;

	;;#ASMEND
	;; [unrolled: 4-line block ×4, first 2 shown]
	;;#ASMSTART
	v_pk_add_f16 v12, v12, v13;

	;;#ASMEND
	;;#ASMSTART
	v_pk_add_f16 v0, v12, v0;

	;;#ASMEND
	;; [unrolled: 4-line block ×3, first 2 shown]
	v_dual_mov_b32 v134, 0 :: v_dual_and_b32 v11, 0xffff, v0
	v_lshrrev_b32_e32 v0, 16, v0
	;;#ASMSTART
	v_cvt_f32_f16 v130, v11;
	;;#ASMEND
	;;#ASMSTART
	v_cvt_f32_f16 v131, v0;
	;;#ASMEND
	flat_load_b64 v[11:12], v[9:10] offset:2560
	flat_load_b32 v132, v[26:27]
	s_mov_b32 s12, exec_lo
	s_waitcnt vmcnt(1) lgkmcnt(1)
	v_dual_mov_b32 v133, 0 :: v_dual_and_b32 v0, 0xff, v11
	s_delay_alu instid0(VALU_DEP_1)
	v_cmpx_ne_u16_e32 0, v0
	s_cbranch_execz .LBB348_1603
; %bb.1596:                             ;   in Loop: Header=BB348_934 Depth=1
	v_bfrev_b32_e32 v133, 1
	s_mov_b32 s13, exec_lo
	v_cmpx_ne_u16_e32 0x80, v0
	s_cbranch_execz .LBB348_1602
; %bb.1597:                             ;   in Loop: Header=BB348_934 Depth=1
	v_and_b32_e32 v13, 0x7f, v11
	v_mov_b32_e32 v133, 0x7fc02000
	s_mov_b32 s15, exec_lo
	s_delay_alu instid0(VALU_DEP_2)
	v_cmpx_ne_u32_e32 0x7f, v13
	s_cbranch_execz .LBB348_1601
; %bb.1598:                             ;   in Loop: Header=BB348_934 Depth=1
	v_lshrrev_b32_e32 v0, 3, v13
	v_cmp_gt_u32_e64 s0, 8, v13
	v_dual_mov_b32 v14, v12 :: v_dual_mov_b32 v13, v11
	s_delay_alu instid0(VALU_DEP_2)
	s_and_saveexec_b32 s16, s0
; %bb.1599:                             ;   in Loop: Header=BB348_934 Depth=1
	v_and_b32_e32 v0, 7, v11
	s_delay_alu instid0(VALU_DEP_1) | instskip(NEXT) | instid1(VALU_DEP_1)
	v_clz_i32_u32_e32 v0, v0
	v_min_u32_e32 v0, 32, v0
	s_delay_alu instid0(VALU_DEP_1) | instskip(SKIP_1) | instid1(VALU_DEP_2)
	v_subrev_nc_u32_e32 v13, 28, v0
	v_sub_nc_u32_e32 v0, 29, v0
	v_lshlrev_b64 v[13:14], v13, v[11:12]
; %bb.1600:                             ;   in Loop: Header=BB348_934 Depth=1
	s_or_b32 exec_lo, exec_lo, s16
	v_lshlrev_b32_e32 v14, 8, v11
	s_delay_alu instid0(VALU_DEP_3) | instskip(NEXT) | instid1(VALU_DEP_3)
	v_lshl_add_u32 v0, v0, 10, 0x2000
	v_lshlrev_b32_e32 v13, 7, v13
	s_delay_alu instid0(VALU_DEP_2) | instskip(NEXT) | instid1(VALU_DEP_1)
	v_and_or_b32 v0, 0x8000, v14, v0
	v_and_or_b32 v0, 0x380, v13, v0
	s_delay_alu instid0(VALU_DEP_1)
	v_cvt_f32_f16_e64 v133, v0
.LBB348_1601:                           ;   in Loop: Header=BB348_934 Depth=1
	s_or_b32 exec_lo, exec_lo, s15
.LBB348_1602:                           ;   in Loop: Header=BB348_934 Depth=1
	s_delay_alu instid0(SALU_CYCLE_1)
	s_or_b32 exec_lo, exec_lo, s13
.LBB348_1603:                           ;   in Loop: Header=BB348_934 Depth=1
	s_delay_alu instid0(SALU_CYCLE_1) | instskip(SKIP_2) | instid1(VALU_DEP_1)
	s_or_b32 exec_lo, exec_lo, s12
	v_lshrrev_b16 v0, 8, v11
	s_mov_b32 s12, exec_lo
	v_cmpx_ne_u16_e32 0, v0
	s_cbranch_execz .LBB348_1611
; %bb.1604:                             ;   in Loop: Header=BB348_934 Depth=1
	v_bfrev_b32_e32 v134, 1
	s_mov_b32 s13, exec_lo
	v_cmpx_ne_u16_e32 0x80, v0
	s_cbranch_execz .LBB348_1610
; %bb.1605:                             ;   in Loop: Header=BB348_934 Depth=1
	v_and_b32_e32 v135, 0xffff, v0
	v_mov_b32_e32 v134, 0x7fc02000
	s_mov_b32 s15, exec_lo
	s_delay_alu instid0(VALU_DEP_2) | instskip(NEXT) | instid1(VALU_DEP_1)
	v_and_b32_e32 v13, 0x7f, v135
	v_cmpx_ne_u32_e32 0x7f, v13
	s_cbranch_execz .LBB348_1609
; %bb.1606:                             ;   in Loop: Header=BB348_934 Depth=1
	v_and_b32_e32 v0, 7, v135
	v_lshrrev_b32_e32 v134, 3, v13
	v_cmp_gt_u32_e64 s0, 8, v13
	s_delay_alu instid0(VALU_DEP_3) | instskip(NEXT) | instid1(VALU_DEP_2)
	v_dual_mov_b32 v14, v1 :: v_dual_mov_b32 v13, v0
	s_and_saveexec_b32 s16, s0
; %bb.1607:                             ;   in Loop: Header=BB348_934 Depth=1
	v_clz_i32_u32_e32 v13, v0
	s_delay_alu instid0(VALU_DEP_1) | instskip(NEXT) | instid1(VALU_DEP_1)
	v_min_u32_e32 v134, 32, v13
	v_subrev_nc_u32_e32 v13, 28, v134
	v_sub_nc_u32_e32 v134, 29, v134
	s_delay_alu instid0(VALU_DEP_2) | instskip(NEXT) | instid1(VALU_DEP_1)
	v_lshlrev_b64 v[13:14], v13, v[0:1]
	v_and_b32_e32 v13, 7, v13
; %bb.1608:                             ;   in Loop: Header=BB348_934 Depth=1
	s_or_b32 exec_lo, exec_lo, s16
	v_lshlrev_b32_e32 v0, 8, v135
	v_lshl_add_u32 v14, v134, 10, 0x2000
	s_delay_alu instid0(VALU_DEP_1) | instskip(NEXT) | instid1(VALU_DEP_1)
	v_and_or_b32 v0, 0x8000, v0, v14
	v_lshl_or_b32 v0, v13, 7, v0
	s_delay_alu instid0(VALU_DEP_1)
	v_cvt_f32_f16_e64 v134, v0
.LBB348_1609:                           ;   in Loop: Header=BB348_934 Depth=1
	s_or_b32 exec_lo, exec_lo, s15
.LBB348_1610:                           ;   in Loop: Header=BB348_934 Depth=1
	s_delay_alu instid0(SALU_CYCLE_1)
	s_or_b32 exec_lo, exec_lo, s13
.LBB348_1611:                           ;   in Loop: Header=BB348_934 Depth=1
	s_delay_alu instid0(SALU_CYCLE_1) | instskip(SKIP_3) | instid1(VALU_DEP_2)
	s_or_b32 exec_lo, exec_lo, s12
	v_lshrrev_b32_e32 v145, 16, v11
	v_mov_b32_e32 v144, 0
	s_mov_b32 s12, exec_lo
	v_dual_mov_b32 v135, 0 :: v_dual_and_b32 v0, 0xff, v145
	s_delay_alu instid0(VALU_DEP_1)
	v_cmpx_ne_u16_e32 0, v0
	s_cbranch_execz .LBB348_1619
; %bb.1612:                             ;   in Loop: Header=BB348_934 Depth=1
	v_bfrev_b32_e32 v135, 1
	s_mov_b32 s13, exec_lo
	v_cmpx_ne_u16_e32 0x80, v0
	s_cbranch_execz .LBB348_1618
; %bb.1613:                             ;   in Loop: Header=BB348_934 Depth=1
	v_bfe_u32 v13, v11, 16, 7
	v_mov_b32_e32 v135, 0x7fc02000
	s_mov_b32 s15, exec_lo
	s_delay_alu instid0(VALU_DEP_2)
	v_cmpx_ne_u32_e32 0x7f, v13
	s_cbranch_execz .LBB348_1617
; %bb.1614:                             ;   in Loop: Header=BB348_934 Depth=1
	v_and_b32_e32 v0, 7, v145
	v_lshrrev_b32_e32 v135, 3, v13
	v_cmp_gt_u32_e64 s0, 8, v13
	s_delay_alu instid0(VALU_DEP_3) | instskip(NEXT) | instid1(VALU_DEP_2)
	v_dual_mov_b32 v14, v1 :: v_dual_mov_b32 v13, v0
	s_and_saveexec_b32 s16, s0
; %bb.1615:                             ;   in Loop: Header=BB348_934 Depth=1
	v_clz_i32_u32_e32 v13, v0
	s_delay_alu instid0(VALU_DEP_1) | instskip(NEXT) | instid1(VALU_DEP_1)
	v_min_u32_e32 v135, 32, v13
	v_subrev_nc_u32_e32 v13, 28, v135
	v_sub_nc_u32_e32 v135, 29, v135
	s_delay_alu instid0(VALU_DEP_2) | instskip(NEXT) | instid1(VALU_DEP_1)
	v_lshlrev_b64 v[13:14], v13, v[0:1]
	v_and_b32_e32 v13, 7, v13
; %bb.1616:                             ;   in Loop: Header=BB348_934 Depth=1
	s_or_b32 exec_lo, exec_lo, s16
	v_lshlrev_b32_e32 v0, 8, v145
	v_lshl_add_u32 v14, v135, 10, 0x2000
	s_delay_alu instid0(VALU_DEP_1) | instskip(NEXT) | instid1(VALU_DEP_1)
	v_and_or_b32 v0, 0x8000, v0, v14
	v_lshl_or_b32 v0, v13, 7, v0
	s_delay_alu instid0(VALU_DEP_1)
	v_cvt_f32_f16_e64 v135, v0
.LBB348_1617:                           ;   in Loop: Header=BB348_934 Depth=1
	s_or_b32 exec_lo, exec_lo, s15
.LBB348_1618:                           ;   in Loop: Header=BB348_934 Depth=1
	s_delay_alu instid0(SALU_CYCLE_1)
	s_or_b32 exec_lo, exec_lo, s13
.LBB348_1619:                           ;   in Loop: Header=BB348_934 Depth=1
	s_delay_alu instid0(SALU_CYCLE_1) | instskip(NEXT) | instid1(SALU_CYCLE_1)
	s_or_b32 exec_lo, exec_lo, s12
	s_mov_b32 s12, exec_lo
	v_cmpx_lt_u32_e32 0xffffff, v11
	s_cbranch_execz .LBB348_1627
; %bb.1620:                             ;   in Loop: Header=BB348_934 Depth=1
	v_lshrrev_b32_e32 v145, 24, v11
	v_bfrev_b32_e32 v144, 1
	s_mov_b32 s13, exec_lo
	s_delay_alu instid0(VALU_DEP_2)
	v_cmpx_ne_u32_e32 0x80, v145
	s_cbranch_execz .LBB348_1626
; %bb.1621:                             ;   in Loop: Header=BB348_934 Depth=1
	v_and_b32_e32 v13, 0x7f, v145
	v_mov_b32_e32 v144, 0x7fc02000
	s_mov_b32 s15, exec_lo
	s_delay_alu instid0(VALU_DEP_2)
	v_cmpx_ne_u32_e32 0x7f, v13
	s_cbranch_execz .LBB348_1625
; %bb.1622:                             ;   in Loop: Header=BB348_934 Depth=1
	v_and_b32_e32 v0, 7, v145
	v_lshrrev_b32_e32 v144, 3, v13
	v_cmp_gt_u32_e64 s0, 8, v13
	s_delay_alu instid0(VALU_DEP_3) | instskip(NEXT) | instid1(VALU_DEP_2)
	v_dual_mov_b32 v14, v1 :: v_dual_mov_b32 v13, v0
	s_and_saveexec_b32 s16, s0
; %bb.1623:                             ;   in Loop: Header=BB348_934 Depth=1
	v_clz_i32_u32_e32 v13, v0
	s_delay_alu instid0(VALU_DEP_1) | instskip(NEXT) | instid1(VALU_DEP_1)
	v_min_u32_e32 v144, 32, v13
	v_subrev_nc_u32_e32 v13, 28, v144
	v_sub_nc_u32_e32 v144, 29, v144
	s_delay_alu instid0(VALU_DEP_2) | instskip(NEXT) | instid1(VALU_DEP_1)
	v_lshlrev_b64 v[13:14], v13, v[0:1]
	v_and_b32_e32 v13, 7, v13
; %bb.1624:                             ;   in Loop: Header=BB348_934 Depth=1
	s_or_b32 exec_lo, exec_lo, s16
	v_lshlrev_b32_e32 v0, 8, v145
	v_lshl_add_u32 v14, v144, 10, 0x2000
	s_delay_alu instid0(VALU_DEP_1) | instskip(NEXT) | instid1(VALU_DEP_1)
	v_and_or_b32 v0, 0x8000, v0, v14
	v_lshl_or_b32 v0, v13, 7, v0
	s_delay_alu instid0(VALU_DEP_1)
	v_cvt_f32_f16_e64 v144, v0
.LBB348_1625:                           ;   in Loop: Header=BB348_934 Depth=1
	s_or_b32 exec_lo, exec_lo, s15
.LBB348_1626:                           ;   in Loop: Header=BB348_934 Depth=1
	s_delay_alu instid0(SALU_CYCLE_1)
	s_or_b32 exec_lo, exec_lo, s13
.LBB348_1627:                           ;   in Loop: Header=BB348_934 Depth=1
	s_delay_alu instid0(SALU_CYCLE_1) | instskip(SKIP_3) | instid1(VALU_DEP_2)
	s_or_b32 exec_lo, exec_lo, s12
	v_dual_mov_b32 v0, v12 :: v_dual_and_b32 v13, 0xff, v12
	v_dual_mov_b32 v146, 0 :: v_dual_mov_b32 v145, 0
	s_mov_b32 s12, exec_lo
	v_cmpx_ne_u16_e32 0, v13
	s_cbranch_execz .LBB348_1635
; %bb.1628:                             ;   in Loop: Header=BB348_934 Depth=1
	v_bfrev_b32_e32 v145, 1
	s_mov_b32 s13, exec_lo
	v_cmpx_ne_u16_e32 0x80, v13
	s_cbranch_execz .LBB348_1634
; %bb.1629:                             ;   in Loop: Header=BB348_934 Depth=1
	v_and_b32_e32 v13, 0x7f, v12
	v_mov_b32_e32 v145, 0x7fc02000
	s_mov_b32 s15, exec_lo
	s_delay_alu instid0(VALU_DEP_2)
	v_cmpx_ne_u32_e32 0x7f, v13
	s_cbranch_execz .LBB348_1633
; %bb.1630:                             ;   in Loop: Header=BB348_934 Depth=1
	v_lshrrev_b32_e32 v145, 3, v13
	v_cmp_gt_u32_e64 s0, 8, v13
	v_dual_mov_b32 v14, v1 :: v_dual_mov_b32 v13, v0
	s_delay_alu instid0(VALU_DEP_2)
	s_and_saveexec_b32 s16, s0
; %bb.1631:                             ;   in Loop: Header=BB348_934 Depth=1
	v_and_b32_e32 v13, 7, v12
	s_delay_alu instid0(VALU_DEP_1) | instskip(NEXT) | instid1(VALU_DEP_1)
	v_clz_i32_u32_e32 v13, v13
	v_min_u32_e32 v145, 32, v13
	s_delay_alu instid0(VALU_DEP_1) | instskip(SKIP_1) | instid1(VALU_DEP_2)
	v_subrev_nc_u32_e32 v13, 28, v145
	v_sub_nc_u32_e32 v145, 29, v145
	v_lshlrev_b64 v[13:14], v13, v[0:1]
; %bb.1632:                             ;   in Loop: Header=BB348_934 Depth=1
	s_or_b32 exec_lo, exec_lo, s16
	v_lshlrev_b32_e32 v14, 8, v12
	s_delay_alu instid0(VALU_DEP_3) | instskip(NEXT) | instid1(VALU_DEP_3)
	v_lshl_add_u32 v145, v145, 10, 0x2000
	v_lshlrev_b32_e32 v13, 7, v13
	s_delay_alu instid0(VALU_DEP_2) | instskip(NEXT) | instid1(VALU_DEP_1)
	v_and_or_b32 v14, 0x8000, v14, v145
	v_and_or_b32 v13, 0x380, v13, v14
	s_delay_alu instid0(VALU_DEP_1)
	v_cvt_f32_f16_e64 v145, v13
.LBB348_1633:                           ;   in Loop: Header=BB348_934 Depth=1
	s_or_b32 exec_lo, exec_lo, s15
.LBB348_1634:                           ;   in Loop: Header=BB348_934 Depth=1
	s_delay_alu instid0(SALU_CYCLE_1)
	s_or_b32 exec_lo, exec_lo, s13
.LBB348_1635:                           ;   in Loop: Header=BB348_934 Depth=1
	s_delay_alu instid0(SALU_CYCLE_1) | instskip(SKIP_2) | instid1(VALU_DEP_1)
	s_or_b32 exec_lo, exec_lo, s12
	v_lshrrev_b16 v0, 8, v0
	s_mov_b32 s12, exec_lo
	v_cmpx_ne_u16_e32 0, v0
	s_cbranch_execz .LBB348_1643
; %bb.1636:                             ;   in Loop: Header=BB348_934 Depth=1
	v_bfrev_b32_e32 v146, 1
	s_mov_b32 s13, exec_lo
	v_cmpx_ne_u16_e32 0x80, v0
	s_cbranch_execz .LBB348_1642
; %bb.1637:                             ;   in Loop: Header=BB348_934 Depth=1
	v_and_b32_e32 v147, 0xffff, v0
	v_mov_b32_e32 v146, 0x7fc02000
	s_mov_b32 s15, exec_lo
	s_delay_alu instid0(VALU_DEP_2) | instskip(NEXT) | instid1(VALU_DEP_1)
	v_and_b32_e32 v13, 0x7f, v147
	v_cmpx_ne_u32_e32 0x7f, v13
	s_cbranch_execz .LBB348_1641
; %bb.1638:                             ;   in Loop: Header=BB348_934 Depth=1
	v_and_b32_e32 v0, 7, v147
	v_lshrrev_b32_e32 v146, 3, v13
	v_cmp_gt_u32_e64 s0, 8, v13
	s_delay_alu instid0(VALU_DEP_3) | instskip(NEXT) | instid1(VALU_DEP_2)
	v_dual_mov_b32 v14, v1 :: v_dual_mov_b32 v13, v0
	s_and_saveexec_b32 s16, s0
; %bb.1639:                             ;   in Loop: Header=BB348_934 Depth=1
	v_clz_i32_u32_e32 v13, v0
	s_delay_alu instid0(VALU_DEP_1) | instskip(NEXT) | instid1(VALU_DEP_1)
	v_min_u32_e32 v146, 32, v13
	v_subrev_nc_u32_e32 v13, 28, v146
	v_sub_nc_u32_e32 v146, 29, v146
	s_delay_alu instid0(VALU_DEP_2) | instskip(NEXT) | instid1(VALU_DEP_1)
	v_lshlrev_b64 v[13:14], v13, v[0:1]
	v_and_b32_e32 v13, 7, v13
; %bb.1640:                             ;   in Loop: Header=BB348_934 Depth=1
	s_or_b32 exec_lo, exec_lo, s16
	v_lshlrev_b32_e32 v0, 8, v147
	v_lshl_add_u32 v14, v146, 10, 0x2000
	s_delay_alu instid0(VALU_DEP_1) | instskip(NEXT) | instid1(VALU_DEP_1)
	v_and_or_b32 v0, 0x8000, v0, v14
	v_lshl_or_b32 v0, v13, 7, v0
	s_delay_alu instid0(VALU_DEP_1)
	v_cvt_f32_f16_e64 v146, v0
.LBB348_1641:                           ;   in Loop: Header=BB348_934 Depth=1
	s_or_b32 exec_lo, exec_lo, s15
.LBB348_1642:                           ;   in Loop: Header=BB348_934 Depth=1
	s_delay_alu instid0(SALU_CYCLE_1)
	s_or_b32 exec_lo, exec_lo, s13
.LBB348_1643:                           ;   in Loop: Header=BB348_934 Depth=1
	s_delay_alu instid0(SALU_CYCLE_1) | instskip(SKIP_3) | instid1(VALU_DEP_2)
	s_or_b32 exec_lo, exec_lo, s12
	v_lshrrev_b32_e32 v148, 16, v12
	v_mov_b32_e32 v13, 0
	s_mov_b32 s12, exec_lo
	v_dual_mov_b32 v147, 0 :: v_dual_and_b32 v0, 0xff, v148
	s_delay_alu instid0(VALU_DEP_1)
	v_cmpx_ne_u16_e32 0, v0
	s_cbranch_execz .LBB348_1651
; %bb.1644:                             ;   in Loop: Header=BB348_934 Depth=1
	v_bfrev_b32_e32 v13, 1
	s_mov_b32 s13, exec_lo
	v_cmpx_ne_u16_e32 0x80, v0
	s_cbranch_execz .LBB348_1650
; %bb.1645:                             ;   in Loop: Header=BB348_934 Depth=1
	v_bfe_u32 v14, v12, 16, 7
	v_mov_b32_e32 v13, 0x7fc02000
	s_mov_b32 s15, exec_lo
	s_delay_alu instid0(VALU_DEP_2)
	v_cmpx_ne_u32_e32 0x7f, v14
	s_cbranch_execz .LBB348_1649
; %bb.1646:                             ;   in Loop: Header=BB348_934 Depth=1
	v_and_b32_e32 v0, 7, v148
	v_lshrrev_b32_e32 v149, 3, v14
	v_cmp_gt_u32_e64 s0, 8, v14
	s_delay_alu instid0(VALU_DEP_3) | instskip(NEXT) | instid1(VALU_DEP_2)
	v_dual_mov_b32 v14, v1 :: v_dual_mov_b32 v13, v0
	s_and_saveexec_b32 s16, s0
; %bb.1647:                             ;   in Loop: Header=BB348_934 Depth=1
	v_clz_i32_u32_e32 v13, v0
	s_delay_alu instid0(VALU_DEP_1) | instskip(NEXT) | instid1(VALU_DEP_1)
	v_min_u32_e32 v149, 32, v13
	v_subrev_nc_u32_e32 v13, 28, v149
	v_sub_nc_u32_e32 v149, 29, v149
	s_delay_alu instid0(VALU_DEP_2) | instskip(NEXT) | instid1(VALU_DEP_1)
	v_lshlrev_b64 v[13:14], v13, v[0:1]
	v_and_b32_e32 v13, 7, v13
; %bb.1648:                             ;   in Loop: Header=BB348_934 Depth=1
	s_or_b32 exec_lo, exec_lo, s16
	v_lshlrev_b32_e32 v0, 8, v148
	v_lshl_add_u32 v14, v149, 10, 0x2000
	s_delay_alu instid0(VALU_DEP_1) | instskip(NEXT) | instid1(VALU_DEP_1)
	v_and_or_b32 v0, 0x8000, v0, v14
	v_lshl_or_b32 v0, v13, 7, v0
	s_delay_alu instid0(VALU_DEP_1)
	v_cvt_f32_f16_e32 v13, v0
.LBB348_1649:                           ;   in Loop: Header=BB348_934 Depth=1
	s_or_b32 exec_lo, exec_lo, s15
.LBB348_1650:                           ;   in Loop: Header=BB348_934 Depth=1
	s_delay_alu instid0(SALU_CYCLE_1)
	s_or_b32 exec_lo, exec_lo, s13
.LBB348_1651:                           ;   in Loop: Header=BB348_934 Depth=1
	s_delay_alu instid0(SALU_CYCLE_1) | instskip(NEXT) | instid1(SALU_CYCLE_1)
	s_or_b32 exec_lo, exec_lo, s12
	s_mov_b32 s12, exec_lo
	v_cmpx_lt_u64_e64 s[8:9], v[11:12]
	s_cbranch_execz .LBB348_1659
; %bb.1652:                             ;   in Loop: Header=BB348_934 Depth=1
	v_lshrrev_b32_e32 v14, 24, v12
	v_bfrev_b32_e32 v147, 1
	s_mov_b32 s13, exec_lo
	s_delay_alu instid0(VALU_DEP_2)
	v_cmpx_ne_u32_e32 0x80, v14
	s_cbranch_execz .LBB348_1658
; %bb.1653:                             ;   in Loop: Header=BB348_934 Depth=1
	v_and_b32_e32 v11, 0x7f, v14
	v_mov_b32_e32 v147, 0x7fc02000
	s_mov_b32 s15, exec_lo
	s_delay_alu instid0(VALU_DEP_2)
	v_cmpx_ne_u32_e32 0x7f, v11
	s_cbranch_execz .LBB348_1657
; %bb.1654:                             ;   in Loop: Header=BB348_934 Depth=1
	v_and_b32_e32 v0, 7, v14
	v_lshrrev_b32_e32 v147, 3, v11
	v_cmp_gt_u32_e64 s0, 8, v11
	s_delay_alu instid0(VALU_DEP_3) | instskip(NEXT) | instid1(VALU_DEP_2)
	v_dual_mov_b32 v12, v1 :: v_dual_mov_b32 v11, v0
	s_and_saveexec_b32 s16, s0
; %bb.1655:                             ;   in Loop: Header=BB348_934 Depth=1
	v_clz_i32_u32_e32 v11, v0
	s_delay_alu instid0(VALU_DEP_1) | instskip(NEXT) | instid1(VALU_DEP_1)
	v_min_u32_e32 v147, 32, v11
	v_subrev_nc_u32_e32 v11, 28, v147
	v_sub_nc_u32_e32 v147, 29, v147
	s_delay_alu instid0(VALU_DEP_2) | instskip(NEXT) | instid1(VALU_DEP_1)
	v_lshlrev_b64 v[11:12], v11, v[0:1]
	v_and_b32_e32 v11, 7, v11
; %bb.1656:                             ;   in Loop: Header=BB348_934 Depth=1
	s_or_b32 exec_lo, exec_lo, s16
	v_lshlrev_b32_e32 v0, 8, v14
	v_lshl_add_u32 v12, v147, 10, 0x2000
	s_delay_alu instid0(VALU_DEP_1) | instskip(NEXT) | instid1(VALU_DEP_1)
	v_and_or_b32 v0, 0x8000, v0, v12
	v_lshl_or_b32 v0, v11, 7, v0
	s_delay_alu instid0(VALU_DEP_1)
	v_cvt_f32_f16_e64 v147, v0
.LBB348_1657:                           ;   in Loop: Header=BB348_934 Depth=1
	s_or_b32 exec_lo, exec_lo, s15
.LBB348_1658:                           ;   in Loop: Header=BB348_934 Depth=1
	s_delay_alu instid0(SALU_CYCLE_1)
	s_or_b32 exec_lo, exec_lo, s13
.LBB348_1659:                           ;   in Loop: Header=BB348_934 Depth=1
	s_delay_alu instid0(SALU_CYCLE_1)
	s_or_b32 exec_lo, exec_lo, s12
	s_waitcnt vmcnt(0) lgkmcnt(0)
	v_fma_mixlo_f16 v12, v132, v134, 0
	v_fma_mixlo_f16 v0, v132, v144, 0
	;; [unrolled: 1-line block ×5, first 2 shown]
	v_lshlrev_b32_e32 v14, 16, v12
	v_fma_mixlo_f16 v135, v132, v145, 0
	v_fma_mixlo_f16 v144, v132, v147, 0
	;; [unrolled: 1-line block ×3, first 2 shown]
	v_lshlrev_b32_e32 v0, 16, v0
	v_and_b32_e32 v11, 0xffff, v11
	v_and_b32_e32 v132, 0xffff, v133
	v_lshlrev_b32_e32 v133, 16, v134
	v_and_b32_e32 v134, 0xffff, v135
	v_lshlrev_b32_e32 v135, 16, v144
	v_and_b32_e32 v144, 0xffff, v12
	v_or_b32_e32 v13, v0, v11
	v_or_b32_e32 v14, v14, v132
	;; [unrolled: 1-line block ×3, first 2 shown]
	s_delay_alu instid0(VALU_DEP_4)
	v_or_b32_e32 v11, v135, v144
	s_and_saveexec_b32 s12, vcc_lo
	s_cbranch_execz .LBB348_1661
; %bb.1660:                             ;   in Loop: Header=BB348_934 Depth=1
	v_cmp_lt_i32_e64 s0, v19, v38
	v_lshrrev_b32_e32 v132, 16, v14
	v_lshrrev_b32_e32 v133, 16, v13
	;; [unrolled: 1-line block ×4, first 2 shown]
	v_cndmask_b32_e64 v14, 0, v14, s0
	v_cmp_lt_i32_e64 s0, v97, v55
	s_delay_alu instid0(VALU_DEP_1) | instskip(SKIP_1) | instid1(VALU_DEP_2)
	v_cndmask_b32_e64 v132, 0, v132, s0
	v_cmp_lt_i32_e64 s0, v87, v55
	v_perm_b32 v14, v132, v14, 0x5040100
	s_delay_alu instid0(VALU_DEP_2) | instskip(SKIP_1) | instid1(VALU_DEP_1)
	v_cndmask_b32_e64 v133, 0, v133, s0
	v_cmp_lt_i32_e64 s0, v83, v38
	v_cndmask_b32_e64 v13, 0, v13, s0
	v_cmp_lt_i32_e64 s0, v80, v55
	s_delay_alu instid0(VALU_DEP_2) | instskip(NEXT) | instid1(VALU_DEP_2)
	v_perm_b32 v13, v133, v13, 0x5040100
	v_cndmask_b32_e64 v134, 0, v134, s0
	v_cmp_lt_i32_e64 s0, v71, v38
	s_delay_alu instid0(VALU_DEP_1) | instskip(SKIP_1) | instid1(VALU_DEP_2)
	v_cndmask_b32_e64 v0, 0, v0, s0
	v_cmp_lt_i32_e64 s0, v70, v55
	v_perm_b32 v0, v134, v0, 0x5040100
	s_delay_alu instid0(VALU_DEP_2) | instskip(SKIP_1) | instid1(VALU_DEP_1)
	v_cndmask_b32_e64 v11, 0, v11, s0
	v_cmp_lt_i32_e64 s0, v64, v38
	v_cndmask_b32_e64 v12, 0, v12, s0
	s_delay_alu instid0(VALU_DEP_1)
	v_perm_b32 v11, v11, v12, 0x5040100
.LBB348_1661:                           ;   in Loop: Header=BB348_934 Depth=1
	s_or_b32 exec_lo, exec_lo, s12
	;;#ASMSTART
	v_pk_mul_f16 v12, v96, v14;

	;;#ASMEND
	;;#ASMSTART
	v_pk_mul_f16 v13, v86, v13;

	;;#ASMEND
	;;#ASMSTART
	v_pk_mul_f16 v0, v85, v0;

	;;#ASMEND
	;;#ASMSTART
	v_pk_mul_f16 v11, v84, v11;

	;;#ASMEND
	;;#ASMSTART
	v_pk_add_f16 v12, v12, v13;

	;;#ASMEND
	;;#ASMSTART
	v_pk_add_f16 v0, v12, v0;

	;;#ASMEND
	;; [unrolled: 4-line block ×3, first 2 shown]
	v_dual_mov_b32 v144, 0 :: v_dual_and_b32 v11, 0xffff, v0
	v_lshrrev_b32_e32 v0, 16, v0
	;;#ASMSTART
	v_cvt_f32_f16 v132, v11;
	;;#ASMEND
	;;#ASMSTART
	v_cvt_f32_f16 v133, v0;
	;;#ASMEND
	flat_load_b64 v[11:12], v[9:10] offset:2816
	flat_load_b32 v134, v[26:27]
	s_mov_b32 s12, exec_lo
	s_waitcnt vmcnt(1) lgkmcnt(1)
	v_dual_mov_b32 v135, 0 :: v_dual_and_b32 v0, 0xff, v11
	s_delay_alu instid0(VALU_DEP_1)
	v_cmpx_ne_u16_e32 0, v0
	s_cbranch_execz .LBB348_1669
; %bb.1662:                             ;   in Loop: Header=BB348_934 Depth=1
	v_bfrev_b32_e32 v135, 1
	s_mov_b32 s13, exec_lo
	v_cmpx_ne_u16_e32 0x80, v0
	s_cbranch_execz .LBB348_1668
; %bb.1663:                             ;   in Loop: Header=BB348_934 Depth=1
	v_and_b32_e32 v13, 0x7f, v11
	v_mov_b32_e32 v135, 0x7fc02000
	s_mov_b32 s15, exec_lo
	s_delay_alu instid0(VALU_DEP_2)
	v_cmpx_ne_u32_e32 0x7f, v13
	s_cbranch_execz .LBB348_1667
; %bb.1664:                             ;   in Loop: Header=BB348_934 Depth=1
	v_lshrrev_b32_e32 v0, 3, v13
	v_cmp_gt_u32_e64 s0, 8, v13
	v_dual_mov_b32 v14, v12 :: v_dual_mov_b32 v13, v11
	s_delay_alu instid0(VALU_DEP_2)
	s_and_saveexec_b32 s16, s0
; %bb.1665:                             ;   in Loop: Header=BB348_934 Depth=1
	v_and_b32_e32 v0, 7, v11
	s_delay_alu instid0(VALU_DEP_1) | instskip(NEXT) | instid1(VALU_DEP_1)
	v_clz_i32_u32_e32 v0, v0
	v_min_u32_e32 v0, 32, v0
	s_delay_alu instid0(VALU_DEP_1) | instskip(SKIP_1) | instid1(VALU_DEP_2)
	v_subrev_nc_u32_e32 v13, 28, v0
	v_sub_nc_u32_e32 v0, 29, v0
	v_lshlrev_b64 v[13:14], v13, v[11:12]
; %bb.1666:                             ;   in Loop: Header=BB348_934 Depth=1
	s_or_b32 exec_lo, exec_lo, s16
	v_lshlrev_b32_e32 v14, 8, v11
	s_delay_alu instid0(VALU_DEP_3) | instskip(NEXT) | instid1(VALU_DEP_3)
	v_lshl_add_u32 v0, v0, 10, 0x2000
	v_lshlrev_b32_e32 v13, 7, v13
	s_delay_alu instid0(VALU_DEP_2) | instskip(NEXT) | instid1(VALU_DEP_1)
	v_and_or_b32 v0, 0x8000, v14, v0
	v_and_or_b32 v0, 0x380, v13, v0
	s_delay_alu instid0(VALU_DEP_1)
	v_cvt_f32_f16_e64 v135, v0
.LBB348_1667:                           ;   in Loop: Header=BB348_934 Depth=1
	s_or_b32 exec_lo, exec_lo, s15
.LBB348_1668:                           ;   in Loop: Header=BB348_934 Depth=1
	s_delay_alu instid0(SALU_CYCLE_1)
	s_or_b32 exec_lo, exec_lo, s13
.LBB348_1669:                           ;   in Loop: Header=BB348_934 Depth=1
	s_delay_alu instid0(SALU_CYCLE_1) | instskip(SKIP_2) | instid1(VALU_DEP_1)
	s_or_b32 exec_lo, exec_lo, s12
	v_lshrrev_b16 v0, 8, v11
	s_mov_b32 s12, exec_lo
	v_cmpx_ne_u16_e32 0, v0
	s_cbranch_execz .LBB348_1677
; %bb.1670:                             ;   in Loop: Header=BB348_934 Depth=1
	v_bfrev_b32_e32 v144, 1
	s_mov_b32 s13, exec_lo
	v_cmpx_ne_u16_e32 0x80, v0
	s_cbranch_execz .LBB348_1676
; %bb.1671:                             ;   in Loop: Header=BB348_934 Depth=1
	v_and_b32_e32 v145, 0xffff, v0
	v_mov_b32_e32 v144, 0x7fc02000
	s_mov_b32 s15, exec_lo
	s_delay_alu instid0(VALU_DEP_2) | instskip(NEXT) | instid1(VALU_DEP_1)
	v_and_b32_e32 v13, 0x7f, v145
	v_cmpx_ne_u32_e32 0x7f, v13
	s_cbranch_execz .LBB348_1675
; %bb.1672:                             ;   in Loop: Header=BB348_934 Depth=1
	v_and_b32_e32 v0, 7, v145
	v_lshrrev_b32_e32 v144, 3, v13
	v_cmp_gt_u32_e64 s0, 8, v13
	s_delay_alu instid0(VALU_DEP_3) | instskip(NEXT) | instid1(VALU_DEP_2)
	v_dual_mov_b32 v14, v1 :: v_dual_mov_b32 v13, v0
	s_and_saveexec_b32 s16, s0
; %bb.1673:                             ;   in Loop: Header=BB348_934 Depth=1
	v_clz_i32_u32_e32 v13, v0
	s_delay_alu instid0(VALU_DEP_1) | instskip(NEXT) | instid1(VALU_DEP_1)
	v_min_u32_e32 v144, 32, v13
	v_subrev_nc_u32_e32 v13, 28, v144
	v_sub_nc_u32_e32 v144, 29, v144
	s_delay_alu instid0(VALU_DEP_2) | instskip(NEXT) | instid1(VALU_DEP_1)
	v_lshlrev_b64 v[13:14], v13, v[0:1]
	v_and_b32_e32 v13, 7, v13
; %bb.1674:                             ;   in Loop: Header=BB348_934 Depth=1
	s_or_b32 exec_lo, exec_lo, s16
	v_lshlrev_b32_e32 v0, 8, v145
	v_lshl_add_u32 v14, v144, 10, 0x2000
	s_delay_alu instid0(VALU_DEP_1) | instskip(NEXT) | instid1(VALU_DEP_1)
	v_and_or_b32 v0, 0x8000, v0, v14
	v_lshl_or_b32 v0, v13, 7, v0
	s_delay_alu instid0(VALU_DEP_1)
	v_cvt_f32_f16_e64 v144, v0
.LBB348_1675:                           ;   in Loop: Header=BB348_934 Depth=1
	s_or_b32 exec_lo, exec_lo, s15
.LBB348_1676:                           ;   in Loop: Header=BB348_934 Depth=1
	s_delay_alu instid0(SALU_CYCLE_1)
	s_or_b32 exec_lo, exec_lo, s13
.LBB348_1677:                           ;   in Loop: Header=BB348_934 Depth=1
	s_delay_alu instid0(SALU_CYCLE_1) | instskip(SKIP_3) | instid1(VALU_DEP_2)
	s_or_b32 exec_lo, exec_lo, s12
	v_lshrrev_b32_e32 v147, 16, v11
	v_mov_b32_e32 v146, 0
	s_mov_b32 s12, exec_lo
	v_dual_mov_b32 v145, 0 :: v_dual_and_b32 v0, 0xff, v147
	s_delay_alu instid0(VALU_DEP_1)
	v_cmpx_ne_u16_e32 0, v0
	s_cbranch_execz .LBB348_1685
; %bb.1678:                             ;   in Loop: Header=BB348_934 Depth=1
	v_bfrev_b32_e32 v145, 1
	s_mov_b32 s13, exec_lo
	v_cmpx_ne_u16_e32 0x80, v0
	s_cbranch_execz .LBB348_1684
; %bb.1679:                             ;   in Loop: Header=BB348_934 Depth=1
	v_bfe_u32 v13, v11, 16, 7
	v_mov_b32_e32 v145, 0x7fc02000
	s_mov_b32 s15, exec_lo
	s_delay_alu instid0(VALU_DEP_2)
	v_cmpx_ne_u32_e32 0x7f, v13
	s_cbranch_execz .LBB348_1683
; %bb.1680:                             ;   in Loop: Header=BB348_934 Depth=1
	v_and_b32_e32 v0, 7, v147
	v_lshrrev_b32_e32 v145, 3, v13
	v_cmp_gt_u32_e64 s0, 8, v13
	s_delay_alu instid0(VALU_DEP_3) | instskip(NEXT) | instid1(VALU_DEP_2)
	v_dual_mov_b32 v14, v1 :: v_dual_mov_b32 v13, v0
	s_and_saveexec_b32 s16, s0
; %bb.1681:                             ;   in Loop: Header=BB348_934 Depth=1
	v_clz_i32_u32_e32 v13, v0
	s_delay_alu instid0(VALU_DEP_1) | instskip(NEXT) | instid1(VALU_DEP_1)
	v_min_u32_e32 v145, 32, v13
	v_subrev_nc_u32_e32 v13, 28, v145
	v_sub_nc_u32_e32 v145, 29, v145
	s_delay_alu instid0(VALU_DEP_2) | instskip(NEXT) | instid1(VALU_DEP_1)
	v_lshlrev_b64 v[13:14], v13, v[0:1]
	v_and_b32_e32 v13, 7, v13
; %bb.1682:                             ;   in Loop: Header=BB348_934 Depth=1
	s_or_b32 exec_lo, exec_lo, s16
	v_lshlrev_b32_e32 v0, 8, v147
	v_lshl_add_u32 v14, v145, 10, 0x2000
	s_delay_alu instid0(VALU_DEP_1) | instskip(NEXT) | instid1(VALU_DEP_1)
	v_and_or_b32 v0, 0x8000, v0, v14
	v_lshl_or_b32 v0, v13, 7, v0
	s_delay_alu instid0(VALU_DEP_1)
	v_cvt_f32_f16_e64 v145, v0
.LBB348_1683:                           ;   in Loop: Header=BB348_934 Depth=1
	s_or_b32 exec_lo, exec_lo, s15
.LBB348_1684:                           ;   in Loop: Header=BB348_934 Depth=1
	s_delay_alu instid0(SALU_CYCLE_1)
	s_or_b32 exec_lo, exec_lo, s13
.LBB348_1685:                           ;   in Loop: Header=BB348_934 Depth=1
	s_delay_alu instid0(SALU_CYCLE_1) | instskip(NEXT) | instid1(SALU_CYCLE_1)
	s_or_b32 exec_lo, exec_lo, s12
	s_mov_b32 s12, exec_lo
	v_cmpx_lt_u32_e32 0xffffff, v11
	s_cbranch_execz .LBB348_1693
; %bb.1686:                             ;   in Loop: Header=BB348_934 Depth=1
	v_lshrrev_b32_e32 v147, 24, v11
	v_bfrev_b32_e32 v146, 1
	s_mov_b32 s13, exec_lo
	s_delay_alu instid0(VALU_DEP_2)
	v_cmpx_ne_u32_e32 0x80, v147
	s_cbranch_execz .LBB348_1692
; %bb.1687:                             ;   in Loop: Header=BB348_934 Depth=1
	v_and_b32_e32 v13, 0x7f, v147
	v_mov_b32_e32 v146, 0x7fc02000
	s_mov_b32 s15, exec_lo
	s_delay_alu instid0(VALU_DEP_2)
	v_cmpx_ne_u32_e32 0x7f, v13
	s_cbranch_execz .LBB348_1691
; %bb.1688:                             ;   in Loop: Header=BB348_934 Depth=1
	v_and_b32_e32 v0, 7, v147
	v_lshrrev_b32_e32 v146, 3, v13
	v_cmp_gt_u32_e64 s0, 8, v13
	s_delay_alu instid0(VALU_DEP_3) | instskip(NEXT) | instid1(VALU_DEP_2)
	v_dual_mov_b32 v14, v1 :: v_dual_mov_b32 v13, v0
	s_and_saveexec_b32 s16, s0
; %bb.1689:                             ;   in Loop: Header=BB348_934 Depth=1
	v_clz_i32_u32_e32 v13, v0
	s_delay_alu instid0(VALU_DEP_1) | instskip(NEXT) | instid1(VALU_DEP_1)
	v_min_u32_e32 v146, 32, v13
	v_subrev_nc_u32_e32 v13, 28, v146
	v_sub_nc_u32_e32 v146, 29, v146
	s_delay_alu instid0(VALU_DEP_2) | instskip(NEXT) | instid1(VALU_DEP_1)
	v_lshlrev_b64 v[13:14], v13, v[0:1]
	v_and_b32_e32 v13, 7, v13
; %bb.1690:                             ;   in Loop: Header=BB348_934 Depth=1
	s_or_b32 exec_lo, exec_lo, s16
	v_lshlrev_b32_e32 v0, 8, v147
	v_lshl_add_u32 v14, v146, 10, 0x2000
	s_delay_alu instid0(VALU_DEP_1) | instskip(NEXT) | instid1(VALU_DEP_1)
	v_and_or_b32 v0, 0x8000, v0, v14
	v_lshl_or_b32 v0, v13, 7, v0
	s_delay_alu instid0(VALU_DEP_1)
	v_cvt_f32_f16_e64 v146, v0
.LBB348_1691:                           ;   in Loop: Header=BB348_934 Depth=1
	s_or_b32 exec_lo, exec_lo, s15
.LBB348_1692:                           ;   in Loop: Header=BB348_934 Depth=1
	s_delay_alu instid0(SALU_CYCLE_1)
	s_or_b32 exec_lo, exec_lo, s13
.LBB348_1693:                           ;   in Loop: Header=BB348_934 Depth=1
	s_delay_alu instid0(SALU_CYCLE_1) | instskip(SKIP_3) | instid1(VALU_DEP_2)
	s_or_b32 exec_lo, exec_lo, s12
	v_dual_mov_b32 v0, v12 :: v_dual_and_b32 v13, 0xff, v12
	v_dual_mov_b32 v148, 0 :: v_dual_mov_b32 v147, 0
	s_mov_b32 s12, exec_lo
	v_cmpx_ne_u16_e32 0, v13
	s_cbranch_execz .LBB348_1701
; %bb.1694:                             ;   in Loop: Header=BB348_934 Depth=1
	v_bfrev_b32_e32 v147, 1
	s_mov_b32 s13, exec_lo
	v_cmpx_ne_u16_e32 0x80, v13
	s_cbranch_execz .LBB348_1700
; %bb.1695:                             ;   in Loop: Header=BB348_934 Depth=1
	v_and_b32_e32 v13, 0x7f, v12
	v_mov_b32_e32 v147, 0x7fc02000
	s_mov_b32 s15, exec_lo
	s_delay_alu instid0(VALU_DEP_2)
	v_cmpx_ne_u32_e32 0x7f, v13
	s_cbranch_execz .LBB348_1699
; %bb.1696:                             ;   in Loop: Header=BB348_934 Depth=1
	v_lshrrev_b32_e32 v147, 3, v13
	v_cmp_gt_u32_e64 s0, 8, v13
	v_dual_mov_b32 v14, v1 :: v_dual_mov_b32 v13, v0
	s_delay_alu instid0(VALU_DEP_2)
	s_and_saveexec_b32 s16, s0
; %bb.1697:                             ;   in Loop: Header=BB348_934 Depth=1
	v_and_b32_e32 v13, 7, v12
	s_delay_alu instid0(VALU_DEP_1) | instskip(NEXT) | instid1(VALU_DEP_1)
	v_clz_i32_u32_e32 v13, v13
	v_min_u32_e32 v147, 32, v13
	s_delay_alu instid0(VALU_DEP_1) | instskip(SKIP_1) | instid1(VALU_DEP_2)
	v_subrev_nc_u32_e32 v13, 28, v147
	v_sub_nc_u32_e32 v147, 29, v147
	v_lshlrev_b64 v[13:14], v13, v[0:1]
; %bb.1698:                             ;   in Loop: Header=BB348_934 Depth=1
	s_or_b32 exec_lo, exec_lo, s16
	v_lshlrev_b32_e32 v14, 8, v12
	s_delay_alu instid0(VALU_DEP_3) | instskip(NEXT) | instid1(VALU_DEP_3)
	v_lshl_add_u32 v147, v147, 10, 0x2000
	v_lshlrev_b32_e32 v13, 7, v13
	s_delay_alu instid0(VALU_DEP_2) | instskip(NEXT) | instid1(VALU_DEP_1)
	v_and_or_b32 v14, 0x8000, v14, v147
	v_and_or_b32 v13, 0x380, v13, v14
	s_delay_alu instid0(VALU_DEP_1)
	v_cvt_f32_f16_e64 v147, v13
.LBB348_1699:                           ;   in Loop: Header=BB348_934 Depth=1
	s_or_b32 exec_lo, exec_lo, s15
.LBB348_1700:                           ;   in Loop: Header=BB348_934 Depth=1
	s_delay_alu instid0(SALU_CYCLE_1)
	s_or_b32 exec_lo, exec_lo, s13
.LBB348_1701:                           ;   in Loop: Header=BB348_934 Depth=1
	s_delay_alu instid0(SALU_CYCLE_1) | instskip(SKIP_2) | instid1(VALU_DEP_1)
	s_or_b32 exec_lo, exec_lo, s12
	v_lshrrev_b16 v0, 8, v0
	s_mov_b32 s12, exec_lo
	v_cmpx_ne_u16_e32 0, v0
	s_cbranch_execz .LBB348_1709
; %bb.1702:                             ;   in Loop: Header=BB348_934 Depth=1
	v_bfrev_b32_e32 v148, 1
	s_mov_b32 s13, exec_lo
	v_cmpx_ne_u16_e32 0x80, v0
	s_cbranch_execz .LBB348_1708
; %bb.1703:                             ;   in Loop: Header=BB348_934 Depth=1
	v_and_b32_e32 v149, 0xffff, v0
	v_mov_b32_e32 v148, 0x7fc02000
	s_mov_b32 s15, exec_lo
	s_delay_alu instid0(VALU_DEP_2) | instskip(NEXT) | instid1(VALU_DEP_1)
	v_and_b32_e32 v13, 0x7f, v149
	v_cmpx_ne_u32_e32 0x7f, v13
	s_cbranch_execz .LBB348_1707
; %bb.1704:                             ;   in Loop: Header=BB348_934 Depth=1
	v_and_b32_e32 v0, 7, v149
	v_lshrrev_b32_e32 v148, 3, v13
	v_cmp_gt_u32_e64 s0, 8, v13
	s_delay_alu instid0(VALU_DEP_3) | instskip(NEXT) | instid1(VALU_DEP_2)
	v_dual_mov_b32 v14, v1 :: v_dual_mov_b32 v13, v0
	s_and_saveexec_b32 s16, s0
; %bb.1705:                             ;   in Loop: Header=BB348_934 Depth=1
	v_clz_i32_u32_e32 v13, v0
	s_delay_alu instid0(VALU_DEP_1) | instskip(NEXT) | instid1(VALU_DEP_1)
	v_min_u32_e32 v148, 32, v13
	v_subrev_nc_u32_e32 v13, 28, v148
	v_sub_nc_u32_e32 v148, 29, v148
	s_delay_alu instid0(VALU_DEP_2) | instskip(NEXT) | instid1(VALU_DEP_1)
	v_lshlrev_b64 v[13:14], v13, v[0:1]
	v_and_b32_e32 v13, 7, v13
; %bb.1706:                             ;   in Loop: Header=BB348_934 Depth=1
	s_or_b32 exec_lo, exec_lo, s16
	v_lshlrev_b32_e32 v0, 8, v149
	v_lshl_add_u32 v14, v148, 10, 0x2000
	s_delay_alu instid0(VALU_DEP_1) | instskip(NEXT) | instid1(VALU_DEP_1)
	v_and_or_b32 v0, 0x8000, v0, v14
	v_lshl_or_b32 v0, v13, 7, v0
	s_delay_alu instid0(VALU_DEP_1)
	v_cvt_f32_f16_e64 v148, v0
.LBB348_1707:                           ;   in Loop: Header=BB348_934 Depth=1
	s_or_b32 exec_lo, exec_lo, s15
.LBB348_1708:                           ;   in Loop: Header=BB348_934 Depth=1
	s_delay_alu instid0(SALU_CYCLE_1)
	s_or_b32 exec_lo, exec_lo, s13
.LBB348_1709:                           ;   in Loop: Header=BB348_934 Depth=1
	s_delay_alu instid0(SALU_CYCLE_1) | instskip(SKIP_3) | instid1(VALU_DEP_2)
	s_or_b32 exec_lo, exec_lo, s12
	v_lshrrev_b32_e32 v150, 16, v12
	v_mov_b32_e32 v13, 0
	s_mov_b32 s12, exec_lo
	v_dual_mov_b32 v149, 0 :: v_dual_and_b32 v0, 0xff, v150
	s_delay_alu instid0(VALU_DEP_1)
	v_cmpx_ne_u16_e32 0, v0
	s_cbranch_execz .LBB348_1717
; %bb.1710:                             ;   in Loop: Header=BB348_934 Depth=1
	v_bfrev_b32_e32 v13, 1
	s_mov_b32 s13, exec_lo
	v_cmpx_ne_u16_e32 0x80, v0
	s_cbranch_execz .LBB348_1716
; %bb.1711:                             ;   in Loop: Header=BB348_934 Depth=1
	v_bfe_u32 v14, v12, 16, 7
	v_mov_b32_e32 v13, 0x7fc02000
	s_mov_b32 s15, exec_lo
	s_delay_alu instid0(VALU_DEP_2)
	v_cmpx_ne_u32_e32 0x7f, v14
	s_cbranch_execz .LBB348_1715
; %bb.1712:                             ;   in Loop: Header=BB348_934 Depth=1
	v_and_b32_e32 v0, 7, v150
	v_lshrrev_b32_e32 v151, 3, v14
	v_cmp_gt_u32_e64 s0, 8, v14
	s_delay_alu instid0(VALU_DEP_3) | instskip(NEXT) | instid1(VALU_DEP_2)
	v_dual_mov_b32 v14, v1 :: v_dual_mov_b32 v13, v0
	s_and_saveexec_b32 s16, s0
; %bb.1713:                             ;   in Loop: Header=BB348_934 Depth=1
	v_clz_i32_u32_e32 v13, v0
	s_delay_alu instid0(VALU_DEP_1) | instskip(NEXT) | instid1(VALU_DEP_1)
	v_min_u32_e32 v151, 32, v13
	v_subrev_nc_u32_e32 v13, 28, v151
	v_sub_nc_u32_e32 v151, 29, v151
	s_delay_alu instid0(VALU_DEP_2) | instskip(NEXT) | instid1(VALU_DEP_1)
	v_lshlrev_b64 v[13:14], v13, v[0:1]
	v_and_b32_e32 v13, 7, v13
; %bb.1714:                             ;   in Loop: Header=BB348_934 Depth=1
	s_or_b32 exec_lo, exec_lo, s16
	v_lshlrev_b32_e32 v0, 8, v150
	v_lshl_add_u32 v14, v151, 10, 0x2000
	s_delay_alu instid0(VALU_DEP_1) | instskip(NEXT) | instid1(VALU_DEP_1)
	v_and_or_b32 v0, 0x8000, v0, v14
	v_lshl_or_b32 v0, v13, 7, v0
	s_delay_alu instid0(VALU_DEP_1)
	v_cvt_f32_f16_e32 v13, v0
.LBB348_1715:                           ;   in Loop: Header=BB348_934 Depth=1
	s_or_b32 exec_lo, exec_lo, s15
.LBB348_1716:                           ;   in Loop: Header=BB348_934 Depth=1
	s_delay_alu instid0(SALU_CYCLE_1)
	s_or_b32 exec_lo, exec_lo, s13
.LBB348_1717:                           ;   in Loop: Header=BB348_934 Depth=1
	s_delay_alu instid0(SALU_CYCLE_1) | instskip(NEXT) | instid1(SALU_CYCLE_1)
	s_or_b32 exec_lo, exec_lo, s12
	s_mov_b32 s12, exec_lo
	v_cmpx_lt_u64_e64 s[8:9], v[11:12]
	s_cbranch_execz .LBB348_1725
; %bb.1718:                             ;   in Loop: Header=BB348_934 Depth=1
	v_lshrrev_b32_e32 v14, 24, v12
	v_bfrev_b32_e32 v149, 1
	s_mov_b32 s13, exec_lo
	s_delay_alu instid0(VALU_DEP_2)
	v_cmpx_ne_u32_e32 0x80, v14
	s_cbranch_execz .LBB348_1724
; %bb.1719:                             ;   in Loop: Header=BB348_934 Depth=1
	v_and_b32_e32 v11, 0x7f, v14
	v_mov_b32_e32 v149, 0x7fc02000
	s_mov_b32 s15, exec_lo
	s_delay_alu instid0(VALU_DEP_2)
	v_cmpx_ne_u32_e32 0x7f, v11
	s_cbranch_execz .LBB348_1723
; %bb.1720:                             ;   in Loop: Header=BB348_934 Depth=1
	v_and_b32_e32 v0, 7, v14
	v_lshrrev_b32_e32 v149, 3, v11
	v_cmp_gt_u32_e64 s0, 8, v11
	s_delay_alu instid0(VALU_DEP_3) | instskip(NEXT) | instid1(VALU_DEP_2)
	v_dual_mov_b32 v12, v1 :: v_dual_mov_b32 v11, v0
	s_and_saveexec_b32 s16, s0
; %bb.1721:                             ;   in Loop: Header=BB348_934 Depth=1
	v_clz_i32_u32_e32 v11, v0
	s_delay_alu instid0(VALU_DEP_1) | instskip(NEXT) | instid1(VALU_DEP_1)
	v_min_u32_e32 v149, 32, v11
	v_subrev_nc_u32_e32 v11, 28, v149
	v_sub_nc_u32_e32 v149, 29, v149
	s_delay_alu instid0(VALU_DEP_2) | instskip(NEXT) | instid1(VALU_DEP_1)
	v_lshlrev_b64 v[11:12], v11, v[0:1]
	v_and_b32_e32 v11, 7, v11
; %bb.1722:                             ;   in Loop: Header=BB348_934 Depth=1
	s_or_b32 exec_lo, exec_lo, s16
	v_lshlrev_b32_e32 v0, 8, v14
	v_lshl_add_u32 v12, v149, 10, 0x2000
	s_delay_alu instid0(VALU_DEP_1) | instskip(NEXT) | instid1(VALU_DEP_1)
	v_and_or_b32 v0, 0x8000, v0, v12
	v_lshl_or_b32 v0, v11, 7, v0
	s_delay_alu instid0(VALU_DEP_1)
	v_cvt_f32_f16_e64 v149, v0
.LBB348_1723:                           ;   in Loop: Header=BB348_934 Depth=1
	s_or_b32 exec_lo, exec_lo, s15
.LBB348_1724:                           ;   in Loop: Header=BB348_934 Depth=1
	s_delay_alu instid0(SALU_CYCLE_1)
	s_or_b32 exec_lo, exec_lo, s13
.LBB348_1725:                           ;   in Loop: Header=BB348_934 Depth=1
	s_delay_alu instid0(SALU_CYCLE_1)
	s_or_b32 exec_lo, exec_lo, s12
	s_waitcnt vmcnt(0) lgkmcnt(0)
	v_fma_mixlo_f16 v12, v134, v144, 0
	v_fma_mixlo_f16 v0, v134, v146, 0
	;; [unrolled: 1-line block ×5, first 2 shown]
	v_lshlrev_b32_e32 v14, 16, v12
	v_fma_mixlo_f16 v145, v134, v147, 0
	v_fma_mixlo_f16 v146, v134, v149, 0
	;; [unrolled: 1-line block ×3, first 2 shown]
	v_lshlrev_b32_e32 v0, 16, v0
	v_and_b32_e32 v11, 0xffff, v11
	v_and_b32_e32 v134, 0xffff, v135
	v_lshlrev_b32_e32 v135, 16, v144
	v_and_b32_e32 v144, 0xffff, v145
	v_lshlrev_b32_e32 v145, 16, v146
	v_and_b32_e32 v146, 0xffff, v12
	v_or_b32_e32 v13, v0, v11
	v_or_b32_e32 v14, v14, v134
	;; [unrolled: 1-line block ×3, first 2 shown]
	s_delay_alu instid0(VALU_DEP_4)
	v_or_b32_e32 v11, v145, v146
	s_and_saveexec_b32 s12, vcc_lo
	s_cbranch_execz .LBB348_1727
; %bb.1726:                             ;   in Loop: Header=BB348_934 Depth=1
	v_cmp_lt_i32_e64 s0, v19, v38
	v_lshrrev_b32_e32 v134, 16, v14
	v_lshrrev_b32_e32 v135, 16, v13
	;; [unrolled: 1-line block ×4, first 2 shown]
	v_cndmask_b32_e64 v14, 0, v14, s0
	v_cmp_lt_i32_e64 s0, v97, v55
	s_delay_alu instid0(VALU_DEP_1) | instskip(SKIP_1) | instid1(VALU_DEP_2)
	v_cndmask_b32_e64 v134, 0, v134, s0
	v_cmp_lt_i32_e64 s0, v87, v55
	v_perm_b32 v14, v134, v14, 0x5040100
	s_delay_alu instid0(VALU_DEP_2) | instskip(SKIP_1) | instid1(VALU_DEP_1)
	v_cndmask_b32_e64 v135, 0, v135, s0
	v_cmp_lt_i32_e64 s0, v83, v38
	v_cndmask_b32_e64 v13, 0, v13, s0
	v_cmp_lt_i32_e64 s0, v80, v55
	s_delay_alu instid0(VALU_DEP_2) | instskip(NEXT) | instid1(VALU_DEP_2)
	v_perm_b32 v13, v135, v13, 0x5040100
	v_cndmask_b32_e64 v144, 0, v144, s0
	v_cmp_lt_i32_e64 s0, v71, v38
	s_delay_alu instid0(VALU_DEP_1) | instskip(SKIP_1) | instid1(VALU_DEP_2)
	v_cndmask_b32_e64 v0, 0, v0, s0
	v_cmp_lt_i32_e64 s0, v70, v55
	v_perm_b32 v0, v144, v0, 0x5040100
	s_delay_alu instid0(VALU_DEP_2) | instskip(SKIP_1) | instid1(VALU_DEP_1)
	v_cndmask_b32_e64 v11, 0, v11, s0
	v_cmp_lt_i32_e64 s0, v64, v38
	v_cndmask_b32_e64 v12, 0, v12, s0
	s_delay_alu instid0(VALU_DEP_1)
	v_perm_b32 v11, v11, v12, 0x5040100
.LBB348_1727:                           ;   in Loop: Header=BB348_934 Depth=1
	s_or_b32 exec_lo, exec_lo, s12
	;;#ASMSTART
	v_pk_mul_f16 v12, v96, v14;

	;;#ASMEND
	;;#ASMSTART
	v_pk_mul_f16 v13, v86, v13;

	;;#ASMEND
	;; [unrolled: 4-line block ×4, first 2 shown]
	;;#ASMSTART
	v_pk_add_f16 v12, v12, v13;

	;;#ASMEND
	;;#ASMSTART
	v_pk_add_f16 v0, v12, v0;

	;;#ASMEND
	;; [unrolled: 4-line block ×3, first 2 shown]
	v_dual_mov_b32 v146, 0 :: v_dual_and_b32 v11, 0xffff, v0
	v_lshrrev_b32_e32 v0, 16, v0
	;;#ASMSTART
	v_cvt_f32_f16 v134, v11;
	;;#ASMEND
	;;#ASMSTART
	v_cvt_f32_f16 v135, v0;
	;;#ASMEND
	flat_load_b64 v[11:12], v[9:10] offset:3072
	flat_load_b32 v144, v[26:27]
	s_mov_b32 s12, exec_lo
	s_waitcnt vmcnt(1) lgkmcnt(1)
	v_dual_mov_b32 v145, 0 :: v_dual_and_b32 v0, 0xff, v11
	s_delay_alu instid0(VALU_DEP_1)
	v_cmpx_ne_u16_e32 0, v0
	s_cbranch_execz .LBB348_1735
; %bb.1728:                             ;   in Loop: Header=BB348_934 Depth=1
	v_bfrev_b32_e32 v145, 1
	s_mov_b32 s13, exec_lo
	v_cmpx_ne_u16_e32 0x80, v0
	s_cbranch_execz .LBB348_1734
; %bb.1729:                             ;   in Loop: Header=BB348_934 Depth=1
	v_and_b32_e32 v13, 0x7f, v11
	v_mov_b32_e32 v145, 0x7fc02000
	s_mov_b32 s15, exec_lo
	s_delay_alu instid0(VALU_DEP_2)
	v_cmpx_ne_u32_e32 0x7f, v13
	s_cbranch_execz .LBB348_1733
; %bb.1730:                             ;   in Loop: Header=BB348_934 Depth=1
	v_lshrrev_b32_e32 v0, 3, v13
	v_cmp_gt_u32_e64 s0, 8, v13
	v_dual_mov_b32 v14, v12 :: v_dual_mov_b32 v13, v11
	s_delay_alu instid0(VALU_DEP_2)
	s_and_saveexec_b32 s16, s0
; %bb.1731:                             ;   in Loop: Header=BB348_934 Depth=1
	v_and_b32_e32 v0, 7, v11
	s_delay_alu instid0(VALU_DEP_1) | instskip(NEXT) | instid1(VALU_DEP_1)
	v_clz_i32_u32_e32 v0, v0
	v_min_u32_e32 v0, 32, v0
	s_delay_alu instid0(VALU_DEP_1) | instskip(SKIP_1) | instid1(VALU_DEP_2)
	v_subrev_nc_u32_e32 v13, 28, v0
	v_sub_nc_u32_e32 v0, 29, v0
	v_lshlrev_b64 v[13:14], v13, v[11:12]
; %bb.1732:                             ;   in Loop: Header=BB348_934 Depth=1
	s_or_b32 exec_lo, exec_lo, s16
	v_lshlrev_b32_e32 v14, 8, v11
	s_delay_alu instid0(VALU_DEP_3) | instskip(NEXT) | instid1(VALU_DEP_3)
	v_lshl_add_u32 v0, v0, 10, 0x2000
	v_lshlrev_b32_e32 v13, 7, v13
	s_delay_alu instid0(VALU_DEP_2) | instskip(NEXT) | instid1(VALU_DEP_1)
	v_and_or_b32 v0, 0x8000, v14, v0
	v_and_or_b32 v0, 0x380, v13, v0
	s_delay_alu instid0(VALU_DEP_1)
	v_cvt_f32_f16_e64 v145, v0
.LBB348_1733:                           ;   in Loop: Header=BB348_934 Depth=1
	s_or_b32 exec_lo, exec_lo, s15
.LBB348_1734:                           ;   in Loop: Header=BB348_934 Depth=1
	s_delay_alu instid0(SALU_CYCLE_1)
	s_or_b32 exec_lo, exec_lo, s13
.LBB348_1735:                           ;   in Loop: Header=BB348_934 Depth=1
	s_delay_alu instid0(SALU_CYCLE_1) | instskip(SKIP_2) | instid1(VALU_DEP_1)
	s_or_b32 exec_lo, exec_lo, s12
	v_lshrrev_b16 v0, 8, v11
	s_mov_b32 s12, exec_lo
	v_cmpx_ne_u16_e32 0, v0
	s_cbranch_execz .LBB348_1743
; %bb.1736:                             ;   in Loop: Header=BB348_934 Depth=1
	v_bfrev_b32_e32 v146, 1
	s_mov_b32 s13, exec_lo
	v_cmpx_ne_u16_e32 0x80, v0
	s_cbranch_execz .LBB348_1742
; %bb.1737:                             ;   in Loop: Header=BB348_934 Depth=1
	v_and_b32_e32 v147, 0xffff, v0
	v_mov_b32_e32 v146, 0x7fc02000
	s_mov_b32 s15, exec_lo
	s_delay_alu instid0(VALU_DEP_2) | instskip(NEXT) | instid1(VALU_DEP_1)
	v_and_b32_e32 v13, 0x7f, v147
	v_cmpx_ne_u32_e32 0x7f, v13
	s_cbranch_execz .LBB348_1741
; %bb.1738:                             ;   in Loop: Header=BB348_934 Depth=1
	v_and_b32_e32 v0, 7, v147
	v_lshrrev_b32_e32 v146, 3, v13
	v_cmp_gt_u32_e64 s0, 8, v13
	s_delay_alu instid0(VALU_DEP_3) | instskip(NEXT) | instid1(VALU_DEP_2)
	v_dual_mov_b32 v14, v1 :: v_dual_mov_b32 v13, v0
	s_and_saveexec_b32 s16, s0
; %bb.1739:                             ;   in Loop: Header=BB348_934 Depth=1
	v_clz_i32_u32_e32 v13, v0
	s_delay_alu instid0(VALU_DEP_1) | instskip(NEXT) | instid1(VALU_DEP_1)
	v_min_u32_e32 v146, 32, v13
	v_subrev_nc_u32_e32 v13, 28, v146
	v_sub_nc_u32_e32 v146, 29, v146
	s_delay_alu instid0(VALU_DEP_2) | instskip(NEXT) | instid1(VALU_DEP_1)
	v_lshlrev_b64 v[13:14], v13, v[0:1]
	v_and_b32_e32 v13, 7, v13
; %bb.1740:                             ;   in Loop: Header=BB348_934 Depth=1
	s_or_b32 exec_lo, exec_lo, s16
	v_lshlrev_b32_e32 v0, 8, v147
	v_lshl_add_u32 v14, v146, 10, 0x2000
	s_delay_alu instid0(VALU_DEP_1) | instskip(NEXT) | instid1(VALU_DEP_1)
	v_and_or_b32 v0, 0x8000, v0, v14
	v_lshl_or_b32 v0, v13, 7, v0
	s_delay_alu instid0(VALU_DEP_1)
	v_cvt_f32_f16_e64 v146, v0
.LBB348_1741:                           ;   in Loop: Header=BB348_934 Depth=1
	s_or_b32 exec_lo, exec_lo, s15
.LBB348_1742:                           ;   in Loop: Header=BB348_934 Depth=1
	s_delay_alu instid0(SALU_CYCLE_1)
	s_or_b32 exec_lo, exec_lo, s13
.LBB348_1743:                           ;   in Loop: Header=BB348_934 Depth=1
	s_delay_alu instid0(SALU_CYCLE_1) | instskip(SKIP_3) | instid1(VALU_DEP_2)
	s_or_b32 exec_lo, exec_lo, s12
	v_lshrrev_b32_e32 v149, 16, v11
	v_mov_b32_e32 v148, 0
	s_mov_b32 s12, exec_lo
	v_dual_mov_b32 v147, 0 :: v_dual_and_b32 v0, 0xff, v149
	s_delay_alu instid0(VALU_DEP_1)
	v_cmpx_ne_u16_e32 0, v0
	s_cbranch_execz .LBB348_1751
; %bb.1744:                             ;   in Loop: Header=BB348_934 Depth=1
	v_bfrev_b32_e32 v147, 1
	s_mov_b32 s13, exec_lo
	v_cmpx_ne_u16_e32 0x80, v0
	s_cbranch_execz .LBB348_1750
; %bb.1745:                             ;   in Loop: Header=BB348_934 Depth=1
	v_bfe_u32 v13, v11, 16, 7
	v_mov_b32_e32 v147, 0x7fc02000
	s_mov_b32 s15, exec_lo
	s_delay_alu instid0(VALU_DEP_2)
	v_cmpx_ne_u32_e32 0x7f, v13
	s_cbranch_execz .LBB348_1749
; %bb.1746:                             ;   in Loop: Header=BB348_934 Depth=1
	v_and_b32_e32 v0, 7, v149
	v_lshrrev_b32_e32 v147, 3, v13
	v_cmp_gt_u32_e64 s0, 8, v13
	s_delay_alu instid0(VALU_DEP_3) | instskip(NEXT) | instid1(VALU_DEP_2)
	v_dual_mov_b32 v14, v1 :: v_dual_mov_b32 v13, v0
	s_and_saveexec_b32 s16, s0
; %bb.1747:                             ;   in Loop: Header=BB348_934 Depth=1
	v_clz_i32_u32_e32 v13, v0
	s_delay_alu instid0(VALU_DEP_1) | instskip(NEXT) | instid1(VALU_DEP_1)
	v_min_u32_e32 v147, 32, v13
	v_subrev_nc_u32_e32 v13, 28, v147
	v_sub_nc_u32_e32 v147, 29, v147
	s_delay_alu instid0(VALU_DEP_2) | instskip(NEXT) | instid1(VALU_DEP_1)
	v_lshlrev_b64 v[13:14], v13, v[0:1]
	v_and_b32_e32 v13, 7, v13
; %bb.1748:                             ;   in Loop: Header=BB348_934 Depth=1
	s_or_b32 exec_lo, exec_lo, s16
	v_lshlrev_b32_e32 v0, 8, v149
	v_lshl_add_u32 v14, v147, 10, 0x2000
	s_delay_alu instid0(VALU_DEP_1) | instskip(NEXT) | instid1(VALU_DEP_1)
	v_and_or_b32 v0, 0x8000, v0, v14
	v_lshl_or_b32 v0, v13, 7, v0
	s_delay_alu instid0(VALU_DEP_1)
	v_cvt_f32_f16_e64 v147, v0
.LBB348_1749:                           ;   in Loop: Header=BB348_934 Depth=1
	s_or_b32 exec_lo, exec_lo, s15
.LBB348_1750:                           ;   in Loop: Header=BB348_934 Depth=1
	s_delay_alu instid0(SALU_CYCLE_1)
	s_or_b32 exec_lo, exec_lo, s13
.LBB348_1751:                           ;   in Loop: Header=BB348_934 Depth=1
	s_delay_alu instid0(SALU_CYCLE_1) | instskip(NEXT) | instid1(SALU_CYCLE_1)
	s_or_b32 exec_lo, exec_lo, s12
	s_mov_b32 s12, exec_lo
	v_cmpx_lt_u32_e32 0xffffff, v11
	s_cbranch_execz .LBB348_1759
; %bb.1752:                             ;   in Loop: Header=BB348_934 Depth=1
	v_lshrrev_b32_e32 v149, 24, v11
	v_bfrev_b32_e32 v148, 1
	s_mov_b32 s13, exec_lo
	s_delay_alu instid0(VALU_DEP_2)
	v_cmpx_ne_u32_e32 0x80, v149
	s_cbranch_execz .LBB348_1758
; %bb.1753:                             ;   in Loop: Header=BB348_934 Depth=1
	v_and_b32_e32 v13, 0x7f, v149
	v_mov_b32_e32 v148, 0x7fc02000
	s_mov_b32 s15, exec_lo
	s_delay_alu instid0(VALU_DEP_2)
	v_cmpx_ne_u32_e32 0x7f, v13
	s_cbranch_execz .LBB348_1757
; %bb.1754:                             ;   in Loop: Header=BB348_934 Depth=1
	v_and_b32_e32 v0, 7, v149
	v_lshrrev_b32_e32 v148, 3, v13
	v_cmp_gt_u32_e64 s0, 8, v13
	s_delay_alu instid0(VALU_DEP_3) | instskip(NEXT) | instid1(VALU_DEP_2)
	v_dual_mov_b32 v14, v1 :: v_dual_mov_b32 v13, v0
	s_and_saveexec_b32 s16, s0
; %bb.1755:                             ;   in Loop: Header=BB348_934 Depth=1
	v_clz_i32_u32_e32 v13, v0
	s_delay_alu instid0(VALU_DEP_1) | instskip(NEXT) | instid1(VALU_DEP_1)
	v_min_u32_e32 v148, 32, v13
	v_subrev_nc_u32_e32 v13, 28, v148
	v_sub_nc_u32_e32 v148, 29, v148
	s_delay_alu instid0(VALU_DEP_2) | instskip(NEXT) | instid1(VALU_DEP_1)
	v_lshlrev_b64 v[13:14], v13, v[0:1]
	v_and_b32_e32 v13, 7, v13
; %bb.1756:                             ;   in Loop: Header=BB348_934 Depth=1
	s_or_b32 exec_lo, exec_lo, s16
	v_lshlrev_b32_e32 v0, 8, v149
	v_lshl_add_u32 v14, v148, 10, 0x2000
	s_delay_alu instid0(VALU_DEP_1) | instskip(NEXT) | instid1(VALU_DEP_1)
	v_and_or_b32 v0, 0x8000, v0, v14
	v_lshl_or_b32 v0, v13, 7, v0
	s_delay_alu instid0(VALU_DEP_1)
	v_cvt_f32_f16_e64 v148, v0
.LBB348_1757:                           ;   in Loop: Header=BB348_934 Depth=1
	s_or_b32 exec_lo, exec_lo, s15
.LBB348_1758:                           ;   in Loop: Header=BB348_934 Depth=1
	s_delay_alu instid0(SALU_CYCLE_1)
	s_or_b32 exec_lo, exec_lo, s13
.LBB348_1759:                           ;   in Loop: Header=BB348_934 Depth=1
	s_delay_alu instid0(SALU_CYCLE_1) | instskip(SKIP_3) | instid1(VALU_DEP_2)
	s_or_b32 exec_lo, exec_lo, s12
	v_dual_mov_b32 v0, v12 :: v_dual_and_b32 v13, 0xff, v12
	v_dual_mov_b32 v150, 0 :: v_dual_mov_b32 v149, 0
	s_mov_b32 s12, exec_lo
	v_cmpx_ne_u16_e32 0, v13
	s_cbranch_execz .LBB348_1767
; %bb.1760:                             ;   in Loop: Header=BB348_934 Depth=1
	v_bfrev_b32_e32 v149, 1
	s_mov_b32 s13, exec_lo
	v_cmpx_ne_u16_e32 0x80, v13
	s_cbranch_execz .LBB348_1766
; %bb.1761:                             ;   in Loop: Header=BB348_934 Depth=1
	v_and_b32_e32 v13, 0x7f, v12
	v_mov_b32_e32 v149, 0x7fc02000
	s_mov_b32 s15, exec_lo
	s_delay_alu instid0(VALU_DEP_2)
	v_cmpx_ne_u32_e32 0x7f, v13
	s_cbranch_execz .LBB348_1765
; %bb.1762:                             ;   in Loop: Header=BB348_934 Depth=1
	v_lshrrev_b32_e32 v149, 3, v13
	v_cmp_gt_u32_e64 s0, 8, v13
	v_dual_mov_b32 v14, v1 :: v_dual_mov_b32 v13, v0
	s_delay_alu instid0(VALU_DEP_2)
	s_and_saveexec_b32 s16, s0
; %bb.1763:                             ;   in Loop: Header=BB348_934 Depth=1
	v_and_b32_e32 v13, 7, v12
	s_delay_alu instid0(VALU_DEP_1) | instskip(NEXT) | instid1(VALU_DEP_1)
	v_clz_i32_u32_e32 v13, v13
	v_min_u32_e32 v149, 32, v13
	s_delay_alu instid0(VALU_DEP_1) | instskip(SKIP_1) | instid1(VALU_DEP_2)
	v_subrev_nc_u32_e32 v13, 28, v149
	v_sub_nc_u32_e32 v149, 29, v149
	v_lshlrev_b64 v[13:14], v13, v[0:1]
; %bb.1764:                             ;   in Loop: Header=BB348_934 Depth=1
	s_or_b32 exec_lo, exec_lo, s16
	v_lshlrev_b32_e32 v14, 8, v12
	s_delay_alu instid0(VALU_DEP_3) | instskip(NEXT) | instid1(VALU_DEP_3)
	v_lshl_add_u32 v149, v149, 10, 0x2000
	v_lshlrev_b32_e32 v13, 7, v13
	s_delay_alu instid0(VALU_DEP_2) | instskip(NEXT) | instid1(VALU_DEP_1)
	v_and_or_b32 v14, 0x8000, v14, v149
	v_and_or_b32 v13, 0x380, v13, v14
	s_delay_alu instid0(VALU_DEP_1)
	v_cvt_f32_f16_e64 v149, v13
.LBB348_1765:                           ;   in Loop: Header=BB348_934 Depth=1
	s_or_b32 exec_lo, exec_lo, s15
.LBB348_1766:                           ;   in Loop: Header=BB348_934 Depth=1
	s_delay_alu instid0(SALU_CYCLE_1)
	s_or_b32 exec_lo, exec_lo, s13
.LBB348_1767:                           ;   in Loop: Header=BB348_934 Depth=1
	s_delay_alu instid0(SALU_CYCLE_1) | instskip(SKIP_2) | instid1(VALU_DEP_1)
	s_or_b32 exec_lo, exec_lo, s12
	v_lshrrev_b16 v0, 8, v0
	s_mov_b32 s12, exec_lo
	v_cmpx_ne_u16_e32 0, v0
	s_cbranch_execz .LBB348_1775
; %bb.1768:                             ;   in Loop: Header=BB348_934 Depth=1
	v_bfrev_b32_e32 v150, 1
	s_mov_b32 s13, exec_lo
	v_cmpx_ne_u16_e32 0x80, v0
	s_cbranch_execz .LBB348_1774
; %bb.1769:                             ;   in Loop: Header=BB348_934 Depth=1
	v_and_b32_e32 v151, 0xffff, v0
	v_mov_b32_e32 v150, 0x7fc02000
	s_mov_b32 s15, exec_lo
	s_delay_alu instid0(VALU_DEP_2) | instskip(NEXT) | instid1(VALU_DEP_1)
	v_and_b32_e32 v13, 0x7f, v151
	v_cmpx_ne_u32_e32 0x7f, v13
	s_cbranch_execz .LBB348_1773
; %bb.1770:                             ;   in Loop: Header=BB348_934 Depth=1
	v_and_b32_e32 v0, 7, v151
	v_lshrrev_b32_e32 v150, 3, v13
	v_cmp_gt_u32_e64 s0, 8, v13
	s_delay_alu instid0(VALU_DEP_3) | instskip(NEXT) | instid1(VALU_DEP_2)
	v_dual_mov_b32 v14, v1 :: v_dual_mov_b32 v13, v0
	s_and_saveexec_b32 s16, s0
; %bb.1771:                             ;   in Loop: Header=BB348_934 Depth=1
	v_clz_i32_u32_e32 v13, v0
	s_delay_alu instid0(VALU_DEP_1) | instskip(NEXT) | instid1(VALU_DEP_1)
	v_min_u32_e32 v150, 32, v13
	v_subrev_nc_u32_e32 v13, 28, v150
	v_sub_nc_u32_e32 v150, 29, v150
	s_delay_alu instid0(VALU_DEP_2) | instskip(NEXT) | instid1(VALU_DEP_1)
	v_lshlrev_b64 v[13:14], v13, v[0:1]
	v_and_b32_e32 v13, 7, v13
; %bb.1772:                             ;   in Loop: Header=BB348_934 Depth=1
	s_or_b32 exec_lo, exec_lo, s16
	v_lshlrev_b32_e32 v0, 8, v151
	v_lshl_add_u32 v14, v150, 10, 0x2000
	s_delay_alu instid0(VALU_DEP_1) | instskip(NEXT) | instid1(VALU_DEP_1)
	v_and_or_b32 v0, 0x8000, v0, v14
	v_lshl_or_b32 v0, v13, 7, v0
	s_delay_alu instid0(VALU_DEP_1)
	v_cvt_f32_f16_e64 v150, v0
.LBB348_1773:                           ;   in Loop: Header=BB348_934 Depth=1
	s_or_b32 exec_lo, exec_lo, s15
.LBB348_1774:                           ;   in Loop: Header=BB348_934 Depth=1
	s_delay_alu instid0(SALU_CYCLE_1)
	s_or_b32 exec_lo, exec_lo, s13
.LBB348_1775:                           ;   in Loop: Header=BB348_934 Depth=1
	s_delay_alu instid0(SALU_CYCLE_1) | instskip(SKIP_3) | instid1(VALU_DEP_2)
	s_or_b32 exec_lo, exec_lo, s12
	v_lshrrev_b32_e32 v160, 16, v12
	v_mov_b32_e32 v13, 0
	s_mov_b32 s12, exec_lo
	v_dual_mov_b32 v151, 0 :: v_dual_and_b32 v0, 0xff, v160
	s_delay_alu instid0(VALU_DEP_1)
	v_cmpx_ne_u16_e32 0, v0
	s_cbranch_execz .LBB348_1783
; %bb.1776:                             ;   in Loop: Header=BB348_934 Depth=1
	v_bfrev_b32_e32 v13, 1
	s_mov_b32 s13, exec_lo
	v_cmpx_ne_u16_e32 0x80, v0
	s_cbranch_execz .LBB348_1782
; %bb.1777:                             ;   in Loop: Header=BB348_934 Depth=1
	v_bfe_u32 v14, v12, 16, 7
	v_mov_b32_e32 v13, 0x7fc02000
	s_mov_b32 s15, exec_lo
	s_delay_alu instid0(VALU_DEP_2)
	v_cmpx_ne_u32_e32 0x7f, v14
	s_cbranch_execz .LBB348_1781
; %bb.1778:                             ;   in Loop: Header=BB348_934 Depth=1
	v_and_b32_e32 v0, 7, v160
	v_lshrrev_b32_e32 v161, 3, v14
	v_cmp_gt_u32_e64 s0, 8, v14
	s_delay_alu instid0(VALU_DEP_3) | instskip(NEXT) | instid1(VALU_DEP_2)
	v_dual_mov_b32 v14, v1 :: v_dual_mov_b32 v13, v0
	s_and_saveexec_b32 s16, s0
; %bb.1779:                             ;   in Loop: Header=BB348_934 Depth=1
	v_clz_i32_u32_e32 v13, v0
	s_delay_alu instid0(VALU_DEP_1) | instskip(NEXT) | instid1(VALU_DEP_1)
	v_min_u32_e32 v161, 32, v13
	v_subrev_nc_u32_e32 v13, 28, v161
	v_sub_nc_u32_e32 v161, 29, v161
	s_delay_alu instid0(VALU_DEP_2) | instskip(NEXT) | instid1(VALU_DEP_1)
	v_lshlrev_b64 v[13:14], v13, v[0:1]
	v_and_b32_e32 v13, 7, v13
; %bb.1780:                             ;   in Loop: Header=BB348_934 Depth=1
	s_or_b32 exec_lo, exec_lo, s16
	v_lshlrev_b32_e32 v0, 8, v160
	v_lshl_add_u32 v14, v161, 10, 0x2000
	s_delay_alu instid0(VALU_DEP_1) | instskip(NEXT) | instid1(VALU_DEP_1)
	v_and_or_b32 v0, 0x8000, v0, v14
	v_lshl_or_b32 v0, v13, 7, v0
	s_delay_alu instid0(VALU_DEP_1)
	v_cvt_f32_f16_e32 v13, v0
.LBB348_1781:                           ;   in Loop: Header=BB348_934 Depth=1
	s_or_b32 exec_lo, exec_lo, s15
.LBB348_1782:                           ;   in Loop: Header=BB348_934 Depth=1
	s_delay_alu instid0(SALU_CYCLE_1)
	s_or_b32 exec_lo, exec_lo, s13
.LBB348_1783:                           ;   in Loop: Header=BB348_934 Depth=1
	s_delay_alu instid0(SALU_CYCLE_1) | instskip(NEXT) | instid1(SALU_CYCLE_1)
	s_or_b32 exec_lo, exec_lo, s12
	s_mov_b32 s12, exec_lo
	v_cmpx_lt_u64_e64 s[8:9], v[11:12]
	s_cbranch_execz .LBB348_1791
; %bb.1784:                             ;   in Loop: Header=BB348_934 Depth=1
	v_lshrrev_b32_e32 v14, 24, v12
	v_bfrev_b32_e32 v151, 1
	s_mov_b32 s13, exec_lo
	s_delay_alu instid0(VALU_DEP_2)
	v_cmpx_ne_u32_e32 0x80, v14
	s_cbranch_execz .LBB348_1790
; %bb.1785:                             ;   in Loop: Header=BB348_934 Depth=1
	v_and_b32_e32 v160, 0x7f, v14
	v_mov_b32_e32 v151, 0x7fc02000
	s_mov_b32 s15, exec_lo
	s_delay_alu instid0(VALU_DEP_2)
	v_cmpx_ne_u32_e32 0x7f, v160
	s_cbranch_execz .LBB348_1789
; %bb.1786:                             ;   in Loop: Header=BB348_934 Depth=1
	v_and_b32_e32 v0, 7, v14
	v_lshrrev_b32_e32 v151, 3, v160
	v_mov_b32_e32 v12, v1
	s_mov_b32 s16, exec_lo
	s_delay_alu instid0(VALU_DEP_3)
	v_mov_b32_e32 v11, v0
	v_cmpx_gt_u32_e32 8, v160
; %bb.1787:                             ;   in Loop: Header=BB348_934 Depth=1
	v_clz_i32_u32_e32 v11, v0
	s_delay_alu instid0(VALU_DEP_1) | instskip(NEXT) | instid1(VALU_DEP_1)
	v_min_u32_e32 v151, 32, v11
	v_subrev_nc_u32_e32 v11, 28, v151
	v_sub_nc_u32_e32 v151, 29, v151
	s_delay_alu instid0(VALU_DEP_2) | instskip(NEXT) | instid1(VALU_DEP_1)
	v_lshlrev_b64 v[11:12], v11, v[0:1]
	v_and_b32_e32 v11, 7, v11
; %bb.1788:                             ;   in Loop: Header=BB348_934 Depth=1
	s_or_b32 exec_lo, exec_lo, s16
	v_lshlrev_b32_e32 v0, 8, v14
	v_lshl_add_u32 v12, v151, 10, 0x2000
	s_delay_alu instid0(VALU_DEP_1) | instskip(NEXT) | instid1(VALU_DEP_1)
	v_and_or_b32 v0, 0x8000, v0, v12
	v_lshl_or_b32 v0, v11, 7, v0
	s_delay_alu instid0(VALU_DEP_1)
	v_cvt_f32_f16_e64 v151, v0
.LBB348_1789:                           ;   in Loop: Header=BB348_934 Depth=1
	s_or_b32 exec_lo, exec_lo, s15
.LBB348_1790:                           ;   in Loop: Header=BB348_934 Depth=1
	s_delay_alu instid0(SALU_CYCLE_1)
	s_or_b32 exec_lo, exec_lo, s13
.LBB348_1791:                           ;   in Loop: Header=BB348_934 Depth=1
	s_delay_alu instid0(SALU_CYCLE_1)
	s_or_b32 exec_lo, exec_lo, s12
	s_waitcnt vmcnt(0) lgkmcnt(0)
	v_fma_mixlo_f16 v12, v144, v146, 0
	v_fma_mixlo_f16 v0, v144, v148, 0
	;; [unrolled: 1-line block ×5, first 2 shown]
	v_lshlrev_b32_e32 v14, 16, v12
	v_fma_mixlo_f16 v147, v144, v149, 0
	v_fma_mixlo_f16 v148, v144, v151, 0
	;; [unrolled: 1-line block ×3, first 2 shown]
	v_lshlrev_b32_e32 v0, 16, v0
	v_and_b32_e32 v11, 0xffff, v11
	v_and_b32_e32 v144, 0xffff, v145
	v_lshlrev_b32_e32 v145, 16, v146
	v_and_b32_e32 v146, 0xffff, v147
	v_lshlrev_b32_e32 v147, 16, v148
	v_and_b32_e32 v148, 0xffff, v12
	v_or_b32_e32 v13, v0, v11
	v_or_b32_e32 v14, v14, v144
	;; [unrolled: 1-line block ×3, first 2 shown]
	s_delay_alu instid0(VALU_DEP_4)
	v_or_b32_e32 v11, v147, v148
	s_and_saveexec_b32 s12, vcc_lo
	s_cbranch_execz .LBB348_1793
; %bb.1792:                             ;   in Loop: Header=BB348_934 Depth=1
	v_cmp_lt_i32_e64 s0, v19, v38
	v_lshrrev_b32_e32 v144, 16, v14
	v_lshrrev_b32_e32 v145, 16, v13
	v_lshrrev_b32_e32 v146, 16, v0
	v_lshrrev_b32_e32 v11, 16, v11
	v_cndmask_b32_e64 v14, 0, v14, s0
	v_cmp_lt_i32_e64 s0, v97, v55
	s_delay_alu instid0(VALU_DEP_1) | instskip(SKIP_1) | instid1(VALU_DEP_2)
	v_cndmask_b32_e64 v144, 0, v144, s0
	v_cmp_lt_i32_e64 s0, v87, v55
	v_perm_b32 v14, v144, v14, 0x5040100
	s_delay_alu instid0(VALU_DEP_2) | instskip(SKIP_1) | instid1(VALU_DEP_1)
	v_cndmask_b32_e64 v145, 0, v145, s0
	v_cmp_lt_i32_e64 s0, v83, v38
	v_cndmask_b32_e64 v13, 0, v13, s0
	v_cmp_lt_i32_e64 s0, v80, v55
	s_delay_alu instid0(VALU_DEP_2) | instskip(NEXT) | instid1(VALU_DEP_2)
	v_perm_b32 v13, v145, v13, 0x5040100
	v_cndmask_b32_e64 v146, 0, v146, s0
	v_cmp_lt_i32_e64 s0, v71, v38
	s_delay_alu instid0(VALU_DEP_1) | instskip(SKIP_1) | instid1(VALU_DEP_2)
	v_cndmask_b32_e64 v0, 0, v0, s0
	v_cmp_lt_i32_e64 s0, v70, v55
	v_perm_b32 v0, v146, v0, 0x5040100
	s_delay_alu instid0(VALU_DEP_2) | instskip(SKIP_1) | instid1(VALU_DEP_1)
	v_cndmask_b32_e64 v11, 0, v11, s0
	v_cmp_lt_i32_e64 s0, v64, v38
	v_cndmask_b32_e64 v12, 0, v12, s0
	s_delay_alu instid0(VALU_DEP_1)
	v_perm_b32 v11, v11, v12, 0x5040100
.LBB348_1793:                           ;   in Loop: Header=BB348_934 Depth=1
	s_or_b32 exec_lo, exec_lo, s12
	;;#ASMSTART
	v_pk_mul_f16 v12, v96, v14;

	;;#ASMEND
	;;#ASMSTART
	v_pk_mul_f16 v13, v86, v13;

	;;#ASMEND
	;; [unrolled: 4-line block ×4, first 2 shown]
	;;#ASMSTART
	v_pk_add_f16 v12, v12, v13;

	;;#ASMEND
	;;#ASMSTART
	v_pk_add_f16 v0, v12, v0;

	;;#ASMEND
	;;#ASMSTART
	v_pk_add_f16 v0, v0, v11;

	;;#ASMEND
	v_dual_mov_b32 v146, 0 :: v_dual_and_b32 v11, 0xffff, v0
	v_lshrrev_b32_e32 v0, 16, v0
	;;#ASMSTART
	v_cvt_f32_f16 v13, v11;
	;;#ASMEND
	;;#ASMSTART
	v_cvt_f32_f16 v14, v0;
	;;#ASMEND
	flat_load_b64 v[9:10], v[9:10] offset:3328
	flat_load_b32 v144, v[26:27]
	s_mov_b32 s12, exec_lo
	s_waitcnt vmcnt(1) lgkmcnt(1)
	v_dual_mov_b32 v145, 0 :: v_dual_and_b32 v0, 0xff, v9
	s_delay_alu instid0(VALU_DEP_1)
	v_cmpx_ne_u16_e32 0, v0
	s_cbranch_execz .LBB348_1801
; %bb.1794:                             ;   in Loop: Header=BB348_934 Depth=1
	v_bfrev_b32_e32 v145, 1
	s_mov_b32 s13, exec_lo
	v_cmpx_ne_u16_e32 0x80, v0
	s_cbranch_execz .LBB348_1800
; %bb.1795:                             ;   in Loop: Header=BB348_934 Depth=1
	v_and_b32_e32 v11, 0x7f, v9
	v_mov_b32_e32 v145, 0x7fc02000
	s_mov_b32 s15, exec_lo
	s_delay_alu instid0(VALU_DEP_2)
	v_cmpx_ne_u32_e32 0x7f, v11
	s_cbranch_execz .LBB348_1799
; %bb.1796:                             ;   in Loop: Header=BB348_934 Depth=1
	v_lshrrev_b32_e32 v0, 3, v11
	v_cmp_gt_u32_e64 s0, 8, v11
	v_dual_mov_b32 v12, v10 :: v_dual_mov_b32 v11, v9
	s_delay_alu instid0(VALU_DEP_2)
	s_and_saveexec_b32 s16, s0
; %bb.1797:                             ;   in Loop: Header=BB348_934 Depth=1
	v_and_b32_e32 v0, 7, v9
	s_delay_alu instid0(VALU_DEP_1) | instskip(NEXT) | instid1(VALU_DEP_1)
	v_clz_i32_u32_e32 v0, v0
	v_min_u32_e32 v0, 32, v0
	s_delay_alu instid0(VALU_DEP_1) | instskip(SKIP_1) | instid1(VALU_DEP_2)
	v_subrev_nc_u32_e32 v11, 28, v0
	v_sub_nc_u32_e32 v0, 29, v0
	v_lshlrev_b64 v[11:12], v11, v[9:10]
; %bb.1798:                             ;   in Loop: Header=BB348_934 Depth=1
	s_or_b32 exec_lo, exec_lo, s16
	v_lshlrev_b32_e32 v12, 8, v9
	s_delay_alu instid0(VALU_DEP_3) | instskip(NEXT) | instid1(VALU_DEP_3)
	v_lshl_add_u32 v0, v0, 10, 0x2000
	v_lshlrev_b32_e32 v11, 7, v11
	s_delay_alu instid0(VALU_DEP_2) | instskip(NEXT) | instid1(VALU_DEP_1)
	v_and_or_b32 v0, 0x8000, v12, v0
	v_and_or_b32 v0, 0x380, v11, v0
	s_delay_alu instid0(VALU_DEP_1)
	v_cvt_f32_f16_e64 v145, v0
.LBB348_1799:                           ;   in Loop: Header=BB348_934 Depth=1
	s_or_b32 exec_lo, exec_lo, s15
.LBB348_1800:                           ;   in Loop: Header=BB348_934 Depth=1
	s_delay_alu instid0(SALU_CYCLE_1)
	s_or_b32 exec_lo, exec_lo, s13
.LBB348_1801:                           ;   in Loop: Header=BB348_934 Depth=1
	s_delay_alu instid0(SALU_CYCLE_1) | instskip(SKIP_2) | instid1(VALU_DEP_1)
	s_or_b32 exec_lo, exec_lo, s12
	v_lshrrev_b16 v0, 8, v9
	s_mov_b32 s12, exec_lo
	v_cmpx_ne_u16_e32 0, v0
	s_cbranch_execz .LBB348_1809
; %bb.1802:                             ;   in Loop: Header=BB348_934 Depth=1
	v_bfrev_b32_e32 v146, 1
	s_mov_b32 s13, exec_lo
	v_cmpx_ne_u16_e32 0x80, v0
	s_cbranch_execz .LBB348_1808
; %bb.1803:                             ;   in Loop: Header=BB348_934 Depth=1
	v_and_b32_e32 v147, 0xffff, v0
	v_mov_b32_e32 v146, 0x7fc02000
	s_mov_b32 s15, exec_lo
	s_delay_alu instid0(VALU_DEP_2) | instskip(NEXT) | instid1(VALU_DEP_1)
	v_and_b32_e32 v148, 0x7f, v147
	v_cmpx_ne_u32_e32 0x7f, v148
	s_cbranch_execz .LBB348_1807
; %bb.1804:                             ;   in Loop: Header=BB348_934 Depth=1
	v_and_b32_e32 v0, 7, v147
	v_lshrrev_b32_e32 v146, 3, v148
	v_mov_b32_e32 v12, v1
	s_mov_b32 s16, exec_lo
	s_delay_alu instid0(VALU_DEP_3)
	v_mov_b32_e32 v11, v0
	v_cmpx_gt_u32_e32 8, v148
; %bb.1805:                             ;   in Loop: Header=BB348_934 Depth=1
	v_clz_i32_u32_e32 v11, v0
	s_delay_alu instid0(VALU_DEP_1) | instskip(NEXT) | instid1(VALU_DEP_1)
	v_min_u32_e32 v146, 32, v11
	v_subrev_nc_u32_e32 v11, 28, v146
	v_sub_nc_u32_e32 v146, 29, v146
	s_delay_alu instid0(VALU_DEP_2) | instskip(NEXT) | instid1(VALU_DEP_1)
	v_lshlrev_b64 v[11:12], v11, v[0:1]
	v_and_b32_e32 v11, 7, v11
; %bb.1806:                             ;   in Loop: Header=BB348_934 Depth=1
	s_or_b32 exec_lo, exec_lo, s16
	v_lshlrev_b32_e32 v0, 8, v147
	v_lshl_add_u32 v12, v146, 10, 0x2000
	s_delay_alu instid0(VALU_DEP_1) | instskip(NEXT) | instid1(VALU_DEP_1)
	v_and_or_b32 v0, 0x8000, v0, v12
	v_lshl_or_b32 v0, v11, 7, v0
	s_delay_alu instid0(VALU_DEP_1)
	v_cvt_f32_f16_e64 v146, v0
.LBB348_1807:                           ;   in Loop: Header=BB348_934 Depth=1
	s_or_b32 exec_lo, exec_lo, s15
.LBB348_1808:                           ;   in Loop: Header=BB348_934 Depth=1
	s_delay_alu instid0(SALU_CYCLE_1)
	s_or_b32 exec_lo, exec_lo, s13
.LBB348_1809:                           ;   in Loop: Header=BB348_934 Depth=1
	s_delay_alu instid0(SALU_CYCLE_1) | instskip(SKIP_3) | instid1(VALU_DEP_2)
	s_or_b32 exec_lo, exec_lo, s12
	v_lshrrev_b32_e32 v149, 16, v9
	v_mov_b32_e32 v148, 0
	s_mov_b32 s12, exec_lo
	v_dual_mov_b32 v147, 0 :: v_dual_and_b32 v0, 0xff, v149
	s_delay_alu instid0(VALU_DEP_1)
	v_cmpx_ne_u16_e32 0, v0
	s_cbranch_execz .LBB348_1817
; %bb.1810:                             ;   in Loop: Header=BB348_934 Depth=1
	v_bfrev_b32_e32 v147, 1
	s_mov_b32 s13, exec_lo
	v_cmpx_ne_u16_e32 0x80, v0
	s_cbranch_execz .LBB348_1816
; %bb.1811:                             ;   in Loop: Header=BB348_934 Depth=1
	v_bfe_u32 v150, v9, 16, 7
	v_mov_b32_e32 v147, 0x7fc02000
	s_mov_b32 s15, exec_lo
	s_delay_alu instid0(VALU_DEP_2)
	v_cmpx_ne_u32_e32 0x7f, v150
	s_cbranch_execz .LBB348_1815
; %bb.1812:                             ;   in Loop: Header=BB348_934 Depth=1
	v_and_b32_e32 v0, 7, v149
	v_lshrrev_b32_e32 v147, 3, v150
	v_mov_b32_e32 v12, v1
	s_mov_b32 s16, exec_lo
	s_delay_alu instid0(VALU_DEP_3)
	v_mov_b32_e32 v11, v0
	v_cmpx_gt_u32_e32 8, v150
; %bb.1813:                             ;   in Loop: Header=BB348_934 Depth=1
	v_clz_i32_u32_e32 v11, v0
	s_delay_alu instid0(VALU_DEP_1) | instskip(NEXT) | instid1(VALU_DEP_1)
	v_min_u32_e32 v147, 32, v11
	v_subrev_nc_u32_e32 v11, 28, v147
	v_sub_nc_u32_e32 v147, 29, v147
	s_delay_alu instid0(VALU_DEP_2) | instskip(NEXT) | instid1(VALU_DEP_1)
	v_lshlrev_b64 v[11:12], v11, v[0:1]
	v_and_b32_e32 v11, 7, v11
; %bb.1814:                             ;   in Loop: Header=BB348_934 Depth=1
	s_or_b32 exec_lo, exec_lo, s16
	v_lshlrev_b32_e32 v0, 8, v149
	v_lshl_add_u32 v12, v147, 10, 0x2000
	s_delay_alu instid0(VALU_DEP_1) | instskip(NEXT) | instid1(VALU_DEP_1)
	v_and_or_b32 v0, 0x8000, v0, v12
	v_lshl_or_b32 v0, v11, 7, v0
	s_delay_alu instid0(VALU_DEP_1)
	v_cvt_f32_f16_e64 v147, v0
.LBB348_1815:                           ;   in Loop: Header=BB348_934 Depth=1
	s_or_b32 exec_lo, exec_lo, s15
.LBB348_1816:                           ;   in Loop: Header=BB348_934 Depth=1
	s_delay_alu instid0(SALU_CYCLE_1)
	s_or_b32 exec_lo, exec_lo, s13
.LBB348_1817:                           ;   in Loop: Header=BB348_934 Depth=1
	s_delay_alu instid0(SALU_CYCLE_1) | instskip(NEXT) | instid1(SALU_CYCLE_1)
	s_or_b32 exec_lo, exec_lo, s12
	s_mov_b32 s12, exec_lo
	v_cmpx_lt_u32_e32 0xffffff, v9
	s_cbranch_execz .LBB348_1825
; %bb.1818:                             ;   in Loop: Header=BB348_934 Depth=1
	v_lshrrev_b32_e32 v149, 24, v9
	v_bfrev_b32_e32 v148, 1
	s_mov_b32 s13, exec_lo
	s_delay_alu instid0(VALU_DEP_2)
	v_cmpx_ne_u32_e32 0x80, v149
	s_cbranch_execz .LBB348_1824
; %bb.1819:                             ;   in Loop: Header=BB348_934 Depth=1
	v_and_b32_e32 v150, 0x7f, v149
	v_mov_b32_e32 v148, 0x7fc02000
	s_mov_b32 s15, exec_lo
	s_delay_alu instid0(VALU_DEP_2)
	v_cmpx_ne_u32_e32 0x7f, v150
	s_cbranch_execz .LBB348_1823
; %bb.1820:                             ;   in Loop: Header=BB348_934 Depth=1
	v_and_b32_e32 v0, 7, v149
	v_lshrrev_b32_e32 v148, 3, v150
	v_mov_b32_e32 v12, v1
	s_mov_b32 s16, exec_lo
	s_delay_alu instid0(VALU_DEP_3)
	v_mov_b32_e32 v11, v0
	v_cmpx_gt_u32_e32 8, v150
; %bb.1821:                             ;   in Loop: Header=BB348_934 Depth=1
	v_clz_i32_u32_e32 v11, v0
	s_delay_alu instid0(VALU_DEP_1) | instskip(NEXT) | instid1(VALU_DEP_1)
	v_min_u32_e32 v148, 32, v11
	v_subrev_nc_u32_e32 v11, 28, v148
	v_sub_nc_u32_e32 v148, 29, v148
	s_delay_alu instid0(VALU_DEP_2) | instskip(NEXT) | instid1(VALU_DEP_1)
	v_lshlrev_b64 v[11:12], v11, v[0:1]
	v_and_b32_e32 v11, 7, v11
; %bb.1822:                             ;   in Loop: Header=BB348_934 Depth=1
	s_or_b32 exec_lo, exec_lo, s16
	v_lshlrev_b32_e32 v0, 8, v149
	v_lshl_add_u32 v12, v148, 10, 0x2000
	s_delay_alu instid0(VALU_DEP_1) | instskip(NEXT) | instid1(VALU_DEP_1)
	v_and_or_b32 v0, 0x8000, v0, v12
	v_lshl_or_b32 v0, v11, 7, v0
	s_delay_alu instid0(VALU_DEP_1)
	v_cvt_f32_f16_e64 v148, v0
.LBB348_1823:                           ;   in Loop: Header=BB348_934 Depth=1
	s_or_b32 exec_lo, exec_lo, s15
.LBB348_1824:                           ;   in Loop: Header=BB348_934 Depth=1
	s_delay_alu instid0(SALU_CYCLE_1)
	s_or_b32 exec_lo, exec_lo, s13
.LBB348_1825:                           ;   in Loop: Header=BB348_934 Depth=1
	s_delay_alu instid0(SALU_CYCLE_1) | instskip(SKIP_3) | instid1(VALU_DEP_2)
	s_or_b32 exec_lo, exec_lo, s12
	v_dual_mov_b32 v0, v10 :: v_dual_and_b32 v11, 0xff, v10
	v_dual_mov_b32 v150, 0 :: v_dual_mov_b32 v149, 0
	s_mov_b32 s12, exec_lo
	v_cmpx_ne_u16_e32 0, v11
	s_cbranch_execz .LBB348_1833
; %bb.1826:                             ;   in Loop: Header=BB348_934 Depth=1
	v_bfrev_b32_e32 v149, 1
	s_mov_b32 s13, exec_lo
	v_cmpx_ne_u16_e32 0x80, v11
	s_cbranch_execz .LBB348_1832
; %bb.1827:                             ;   in Loop: Header=BB348_934 Depth=1
	v_and_b32_e32 v151, 0x7f, v10
	v_mov_b32_e32 v149, 0x7fc02000
	s_mov_b32 s15, exec_lo
	s_delay_alu instid0(VALU_DEP_2)
	v_cmpx_ne_u32_e32 0x7f, v151
	s_cbranch_execz .LBB348_1831
; %bb.1828:                             ;   in Loop: Header=BB348_934 Depth=1
	v_dual_mov_b32 v12, v1 :: v_dual_mov_b32 v11, v0
	v_lshrrev_b32_e32 v12, 3, v151
	s_mov_b32 s16, exec_lo
	v_cmpx_gt_u32_e32 8, v151
; %bb.1829:                             ;   in Loop: Header=BB348_934 Depth=1
	v_and_b32_e32 v11, 7, v10
	s_delay_alu instid0(VALU_DEP_1) | instskip(NEXT) | instid1(VALU_DEP_1)
	v_clz_i32_u32_e32 v11, v11
	v_min_u32_e32 v149, 32, v11
	s_delay_alu instid0(VALU_DEP_1) | instskip(NEXT) | instid1(VALU_DEP_1)
	v_subrev_nc_u32_e32 v11, 28, v149
	v_lshlrev_b64 v[11:12], v11, v[0:1]
	v_sub_nc_u32_e32 v12, 29, v149
; %bb.1830:                             ;   in Loop: Header=BB348_934 Depth=1
	s_or_b32 exec_lo, exec_lo, s16
	v_lshlrev_b32_e32 v149, 8, v10
	s_delay_alu instid0(VALU_DEP_2) | instskip(NEXT) | instid1(VALU_DEP_4)
	v_lshl_add_u32 v12, v12, 10, 0x2000
	v_lshlrev_b32_e32 v11, 7, v11
	s_delay_alu instid0(VALU_DEP_2) | instskip(NEXT) | instid1(VALU_DEP_1)
	v_and_or_b32 v12, 0x8000, v149, v12
	v_and_or_b32 v11, 0x380, v11, v12
	s_delay_alu instid0(VALU_DEP_1)
	v_cvt_f32_f16_e64 v149, v11
.LBB348_1831:                           ;   in Loop: Header=BB348_934 Depth=1
	s_or_b32 exec_lo, exec_lo, s15
.LBB348_1832:                           ;   in Loop: Header=BB348_934 Depth=1
	s_delay_alu instid0(SALU_CYCLE_1)
	s_or_b32 exec_lo, exec_lo, s13
.LBB348_1833:                           ;   in Loop: Header=BB348_934 Depth=1
	s_delay_alu instid0(SALU_CYCLE_1) | instskip(SKIP_2) | instid1(VALU_DEP_1)
	s_or_b32 exec_lo, exec_lo, s12
	v_lshrrev_b16 v0, 8, v0
	s_mov_b32 s12, exec_lo
	v_cmpx_ne_u16_e32 0, v0
	s_cbranch_execz .LBB348_1841
; %bb.1834:                             ;   in Loop: Header=BB348_934 Depth=1
	v_bfrev_b32_e32 v150, 1
	s_mov_b32 s13, exec_lo
	v_cmpx_ne_u16_e32 0x80, v0
	s_cbranch_execz .LBB348_1840
; %bb.1835:                             ;   in Loop: Header=BB348_934 Depth=1
	v_and_b32_e32 v151, 0xffff, v0
	v_mov_b32_e32 v150, 0x7fc02000
	s_mov_b32 s15, exec_lo
	s_delay_alu instid0(VALU_DEP_2) | instskip(NEXT) | instid1(VALU_DEP_1)
	v_and_b32_e32 v160, 0x7f, v151
	v_cmpx_ne_u32_e32 0x7f, v160
	s_cbranch_execz .LBB348_1839
; %bb.1836:                             ;   in Loop: Header=BB348_934 Depth=1
	v_and_b32_e32 v0, 7, v151
	v_lshrrev_b32_e32 v150, 3, v160
	v_mov_b32_e32 v12, v1
	s_mov_b32 s16, exec_lo
	s_delay_alu instid0(VALU_DEP_3)
	v_mov_b32_e32 v11, v0
	v_cmpx_gt_u32_e32 8, v160
; %bb.1837:                             ;   in Loop: Header=BB348_934 Depth=1
	v_clz_i32_u32_e32 v11, v0
	s_delay_alu instid0(VALU_DEP_1) | instskip(NEXT) | instid1(VALU_DEP_1)
	v_min_u32_e32 v150, 32, v11
	v_subrev_nc_u32_e32 v11, 28, v150
	v_sub_nc_u32_e32 v150, 29, v150
	s_delay_alu instid0(VALU_DEP_2) | instskip(NEXT) | instid1(VALU_DEP_1)
	v_lshlrev_b64 v[11:12], v11, v[0:1]
	v_and_b32_e32 v11, 7, v11
; %bb.1838:                             ;   in Loop: Header=BB348_934 Depth=1
	s_or_b32 exec_lo, exec_lo, s16
	v_lshlrev_b32_e32 v0, 8, v151
	v_lshl_add_u32 v12, v150, 10, 0x2000
	s_delay_alu instid0(VALU_DEP_1) | instskip(NEXT) | instid1(VALU_DEP_1)
	v_and_or_b32 v0, 0x8000, v0, v12
	v_lshl_or_b32 v0, v11, 7, v0
	s_delay_alu instid0(VALU_DEP_1)
	v_cvt_f32_f16_e64 v150, v0
.LBB348_1839:                           ;   in Loop: Header=BB348_934 Depth=1
	s_or_b32 exec_lo, exec_lo, s15
.LBB348_1840:                           ;   in Loop: Header=BB348_934 Depth=1
	s_delay_alu instid0(SALU_CYCLE_1)
	s_or_b32 exec_lo, exec_lo, s13
.LBB348_1841:                           ;   in Loop: Header=BB348_934 Depth=1
	s_delay_alu instid0(SALU_CYCLE_1) | instskip(SKIP_3) | instid1(VALU_DEP_2)
	s_or_b32 exec_lo, exec_lo, s12
	v_lshrrev_b32_e32 v160, 16, v10
	v_mov_b32_e32 v11, 0
	s_mov_b32 s12, exec_lo
	v_dual_mov_b32 v151, 0 :: v_dual_and_b32 v0, 0xff, v160
	s_delay_alu instid0(VALU_DEP_1)
	v_cmpx_ne_u16_e32 0, v0
	s_cbranch_execz .LBB348_1849
; %bb.1842:                             ;   in Loop: Header=BB348_934 Depth=1
	v_bfrev_b32_e32 v11, 1
	s_mov_b32 s13, exec_lo
	v_cmpx_ne_u16_e32 0x80, v0
	s_cbranch_execz .LBB348_1848
; %bb.1843:                             ;   in Loop: Header=BB348_934 Depth=1
	v_bfe_u32 v162, v10, 16, 7
	v_mov_b32_e32 v11, 0x7fc02000
	s_mov_b32 s15, exec_lo
	s_delay_alu instid0(VALU_DEP_2)
	v_cmpx_ne_u32_e32 0x7f, v162
	s_cbranch_execz .LBB348_1847
; %bb.1844:                             ;   in Loop: Header=BB348_934 Depth=1
	v_and_b32_e32 v0, 7, v160
	v_lshrrev_b32_e32 v161, 3, v162
	v_mov_b32_e32 v12, v1
	s_mov_b32 s16, exec_lo
	s_delay_alu instid0(VALU_DEP_3)
	v_mov_b32_e32 v11, v0
	v_cmpx_gt_u32_e32 8, v162
; %bb.1845:                             ;   in Loop: Header=BB348_934 Depth=1
	v_clz_i32_u32_e32 v11, v0
	s_delay_alu instid0(VALU_DEP_1) | instskip(NEXT) | instid1(VALU_DEP_1)
	v_min_u32_e32 v161, 32, v11
	v_subrev_nc_u32_e32 v11, 28, v161
	v_sub_nc_u32_e32 v161, 29, v161
	s_delay_alu instid0(VALU_DEP_2) | instskip(NEXT) | instid1(VALU_DEP_1)
	v_lshlrev_b64 v[11:12], v11, v[0:1]
	v_and_b32_e32 v11, 7, v11
; %bb.1846:                             ;   in Loop: Header=BB348_934 Depth=1
	s_or_b32 exec_lo, exec_lo, s16
	v_lshlrev_b32_e32 v0, 8, v160
	v_lshl_add_u32 v12, v161, 10, 0x2000
	s_delay_alu instid0(VALU_DEP_1) | instskip(NEXT) | instid1(VALU_DEP_1)
	v_and_or_b32 v0, 0x8000, v0, v12
	v_lshl_or_b32 v0, v11, 7, v0
	s_delay_alu instid0(VALU_DEP_1)
	v_cvt_f32_f16_e32 v11, v0
.LBB348_1847:                           ;   in Loop: Header=BB348_934 Depth=1
	s_or_b32 exec_lo, exec_lo, s15
.LBB348_1848:                           ;   in Loop: Header=BB348_934 Depth=1
	s_delay_alu instid0(SALU_CYCLE_1)
	s_or_b32 exec_lo, exec_lo, s13
.LBB348_1849:                           ;   in Loop: Header=BB348_934 Depth=1
	s_delay_alu instid0(SALU_CYCLE_1) | instskip(NEXT) | instid1(SALU_CYCLE_1)
	s_or_b32 exec_lo, exec_lo, s12
	s_mov_b32 s12, exec_lo
	v_cmpx_lt_u64_e64 s[8:9], v[9:10]
	s_cbranch_execz .LBB348_1857
; %bb.1850:                             ;   in Loop: Header=BB348_934 Depth=1
	v_lshrrev_b32_e32 v12, 24, v10
	v_bfrev_b32_e32 v151, 1
	s_mov_b32 s13, exec_lo
	s_delay_alu instid0(VALU_DEP_2)
	v_cmpx_ne_u32_e32 0x80, v12
	s_cbranch_execz .LBB348_1856
; %bb.1851:                             ;   in Loop: Header=BB348_934 Depth=1
	v_and_b32_e32 v160, 0x7f, v12
	v_mov_b32_e32 v151, 0x7fc02000
	s_mov_b32 s15, exec_lo
	s_delay_alu instid0(VALU_DEP_2)
	v_cmpx_ne_u32_e32 0x7f, v160
	s_cbranch_execz .LBB348_1855
; %bb.1852:                             ;   in Loop: Header=BB348_934 Depth=1
	v_and_b32_e32 v0, 7, v12
	v_lshrrev_b32_e32 v151, 3, v160
	v_mov_b32_e32 v10, v1
	s_mov_b32 s16, exec_lo
	s_delay_alu instid0(VALU_DEP_3)
	v_mov_b32_e32 v9, v0
	v_cmpx_gt_u32_e32 8, v160
; %bb.1853:                             ;   in Loop: Header=BB348_934 Depth=1
	v_clz_i32_u32_e32 v9, v0
	s_delay_alu instid0(VALU_DEP_1) | instskip(NEXT) | instid1(VALU_DEP_1)
	v_min_u32_e32 v151, 32, v9
	v_subrev_nc_u32_e32 v9, 28, v151
	v_sub_nc_u32_e32 v151, 29, v151
	s_delay_alu instid0(VALU_DEP_2) | instskip(NEXT) | instid1(VALU_DEP_1)
	v_lshlrev_b64 v[9:10], v9, v[0:1]
	v_and_b32_e32 v9, 7, v9
; %bb.1854:                             ;   in Loop: Header=BB348_934 Depth=1
	s_or_b32 exec_lo, exec_lo, s16
	v_lshlrev_b32_e32 v0, 8, v12
	v_lshl_add_u32 v10, v151, 10, 0x2000
	s_delay_alu instid0(VALU_DEP_1) | instskip(NEXT) | instid1(VALU_DEP_1)
	v_and_or_b32 v0, 0x8000, v0, v10
	v_lshl_or_b32 v0, v9, 7, v0
	s_delay_alu instid0(VALU_DEP_1)
	v_cvt_f32_f16_e64 v151, v0
.LBB348_1855:                           ;   in Loop: Header=BB348_934 Depth=1
	s_or_b32 exec_lo, exec_lo, s15
.LBB348_1856:                           ;   in Loop: Header=BB348_934 Depth=1
	s_delay_alu instid0(SALU_CYCLE_1)
	s_or_b32 exec_lo, exec_lo, s13
.LBB348_1857:                           ;   in Loop: Header=BB348_934 Depth=1
	s_delay_alu instid0(SALU_CYCLE_1)
	s_or_b32 exec_lo, exec_lo, s12
	s_waitcnt vmcnt(0) lgkmcnt(0)
	v_fma_mixlo_f16 v10, v144, v146, 0
	v_fma_mixlo_f16 v0, v144, v148, 0
	;; [unrolled: 1-line block ×5, first 2 shown]
	v_lshlrev_b32_e32 v146, 16, v10
	v_fma_mixlo_f16 v10, v144, v145, 0
	v_fma_mixlo_f16 v145, v144, v150, 0
	;; [unrolled: 1-line block ×3, first 2 shown]
	v_lshlrev_b32_e32 v0, 16, v0
	v_and_b32_e32 v9, 0xffff, v9
	v_and_b32_e32 v11, 0xffff, v10
	v_lshlrev_b32_e32 v144, 16, v145
	v_and_b32_e32 v145, 0xffff, v147
	v_lshlrev_b32_e32 v147, 16, v148
	v_and_b32_e32 v148, 0xffff, v12
	v_or_b32_e32 v10, v0, v9
	v_or_b32_e32 v11, v146, v11
	;; [unrolled: 1-line block ×3, first 2 shown]
	s_delay_alu instid0(VALU_DEP_4)
	v_or_b32_e32 v9, v147, v148
	s_and_saveexec_b32 s0, vcc_lo
	s_cbranch_execz .LBB348_932
; %bb.1858:                             ;   in Loop: Header=BB348_934 Depth=1
	v_cmp_lt_i32_e32 vcc_lo, v19, v38
	v_lshrrev_b32_e32 v144, 16, v11
	v_lshrrev_b32_e32 v145, 16, v10
	;; [unrolled: 1-line block ×3, first 2 shown]
	v_cndmask_b32_e32 v11, 0, v11, vcc_lo
	v_cmp_lt_i32_e32 vcc_lo, v97, v55
	v_lshrrev_b32_e32 v97, 16, v0
	v_cndmask_b32_e32 v19, 0, v144, vcc_lo
	v_cmp_lt_i32_e32 vcc_lo, v87, v55
	v_cndmask_b32_e32 v87, 0, v145, vcc_lo
	v_cmp_lt_i32_e32 vcc_lo, v83, v38
	;; [unrolled: 2-line block ×4, first 2 shown]
	v_perm_b32 v11, v19, v11, 0x5040100
	v_cndmask_b32_e32 v0, 0, v0, vcc_lo
	v_cmp_lt_i32_e32 vcc_lo, v70, v55
	v_perm_b32 v10, v87, v10, 0x5040100
	s_delay_alu instid0(VALU_DEP_3) | instskip(SKIP_3) | instid1(VALU_DEP_1)
	v_perm_b32 v0, v80, v0, 0x5040100
	v_cndmask_b32_e32 v9, 0, v9, vcc_lo
	v_cmp_lt_i32_e32 vcc_lo, v64, v38
	v_cndmask_b32_e32 v12, 0, v12, vcc_lo
	v_perm_b32 v9, v9, v12, 0x5040100
	s_branch .LBB348_932
.LBB348_1859:
	s_or_b32 exec_lo, exec_lo, s5
.LBB348_1860:
	s_delay_alu instid0(SALU_CYCLE_1)
	s_or_b32 exec_lo, exec_lo, s3
	ds_bpermute_b32 v0, v21, v68
	ds_bpermute_b32 v1, v21, v69
	;; [unrolled: 1-line block ×14, first 2 shown]
	s_waitcnt lgkmcnt(0)
	s_waitcnt_vscnt null, 0x0
	s_barrier
	buffer_gl0_inv
	s_load_b32 s0, s[6:7], 0x0
	v_dual_add_f32 v0, v68, v0 :: v_dual_add_f32 v1, v69, v1
	v_add_f32_e32 v2, v67, v2
	v_dual_add_f32 v6, v65, v6 :: v_dual_add_f32 v7, v36, v7
	v_add_f32_e32 v8, v35, v8
	v_add_f32_e32 v16, v34, v9
	;; [unrolled: 1-line block ×3, first 2 shown]
	ds_bpermute_b32 v9, v20, v0
	ds_bpermute_b32 v17, v20, v1
	v_add_f32_e32 v31, v31, v12
	ds_bpermute_b32 v18, v20, v2
	v_add_f32_e32 v21, v33, v10
	ds_bpermute_b32 v10, v20, v6
	ds_bpermute_b32 v22, v20, v7
	;; [unrolled: 1-line block ×4, first 2 shown]
	v_dual_add_f32 v30, v32, v11 :: v_dual_add_f32 v29, v29, v13
	v_dual_add_f32 v28, v28, v14 :: v_dual_add_f32 v25, v25, v15
	ds_bpermute_b32 v19, v20, v3
	ds_bpermute_b32 v27, v20, v21
	;; [unrolled: 1-line block ×7, first 2 shown]
	s_waitcnt lgkmcnt(0)
	v_add_f32_e32 v15, v0, v9
	v_add_f32_e32 v14, v1, v17
	v_mad_u32_u24 v17, 0x1c0, v39, s0
	v_dual_add_f32 v13, v2, v18 :: v_dual_and_b32 v18, 0x3c3, v37
	v_add_f32_e32 v11, v6, v10
	v_dual_add_f32 v10, v7, v22 :: v_dual_add_f32 v9, v8, v23
	v_add_f32_e32 v8, v16, v26
	v_lshrrev_b32_e32 v16, 2, v48
	v_cmp_eq_u32_e32 vcc_lo, 64, v18
	v_add_f32_e32 v12, v3, v19
	v_dual_add_f32 v7, v21, v27 :: v_dual_add_f32 v6, v30, v32
	v_add_f32_e32 v3, v31, v33
	v_dual_add_f32 v1, v29, v34 :: v_dual_add_f32 v2, v28, v35
	v_add_f32_e32 v0, v25, v20
	v_lshlrev_b32_e32 v18, 2, v16
	s_and_saveexec_b32 s0, vcc_lo
	s_cbranch_execz .LBB348_1862
; %bb.1861:
	s_delay_alu instid0(VALU_DEP_1)
	v_add3_u32 v19, v17, v18, 0xfffffc80
	ds_store_2addr_b32 v19, v15, v14 offset1:8
	ds_store_2addr_b32 v19, v13, v12 offset0:16 offset1:24
	ds_store_2addr_b32 v19, v11, v10 offset0:32 offset1:40
	;; [unrolled: 1-line block ×6, first 2 shown]
.LBB348_1862:
	s_or_b32 exec_lo, exec_lo, s0
	v_cmp_eq_u32_e32 vcc_lo, 0, v24
	s_mov_b32 s3, exec_lo
	s_waitcnt lgkmcnt(0)
	s_barrier
	buffer_gl0_inv
	v_cmpx_gt_u32_e32 64, v37
	s_cbranch_execz .LBB348_1879
; %bb.1863:
	s_and_saveexec_b32 s0, vcc_lo
	s_cbranch_execnz .LBB348_1901
; %bb.1864:
	s_or_b32 exec_lo, exec_lo, s0
	s_and_saveexec_b32 s0, vcc_lo
	s_cbranch_execnz .LBB348_1902
.LBB348_1865:
	s_or_b32 exec_lo, exec_lo, s0
	s_and_saveexec_b32 s0, vcc_lo
	s_cbranch_execnz .LBB348_1903
.LBB348_1866:
	s_or_b32 exec_lo, exec_lo, s0
	s_and_saveexec_b32 s0, vcc_lo
	s_cbranch_execnz .LBB348_1904
.LBB348_1867:
	s_or_b32 exec_lo, exec_lo, s0
	s_and_saveexec_b32 s0, vcc_lo
	s_cbranch_execnz .LBB348_1905
.LBB348_1868:
	s_or_b32 exec_lo, exec_lo, s0
	s_and_saveexec_b32 s0, vcc_lo
	s_cbranch_execnz .LBB348_1906
.LBB348_1869:
	s_or_b32 exec_lo, exec_lo, s0
	s_and_saveexec_b32 s0, vcc_lo
	s_cbranch_execnz .LBB348_1907
.LBB348_1870:
	s_or_b32 exec_lo, exec_lo, s0
	s_and_saveexec_b32 s0, vcc_lo
	s_cbranch_execnz .LBB348_1908
.LBB348_1871:
	s_or_b32 exec_lo, exec_lo, s0
	s_and_saveexec_b32 s0, vcc_lo
	s_cbranch_execnz .LBB348_1909
.LBB348_1872:
	s_or_b32 exec_lo, exec_lo, s0
	s_and_saveexec_b32 s0, vcc_lo
	s_cbranch_execnz .LBB348_1910
.LBB348_1873:
	s_or_b32 exec_lo, exec_lo, s0
	s_and_saveexec_b32 s0, vcc_lo
	s_cbranch_execnz .LBB348_1911
.LBB348_1874:
	s_or_b32 exec_lo, exec_lo, s0
	s_and_saveexec_b32 s0, vcc_lo
	s_cbranch_execnz .LBB348_1912
.LBB348_1875:
	s_or_b32 exec_lo, exec_lo, s0
	s_and_saveexec_b32 s0, vcc_lo
	s_cbranch_execnz .LBB348_1913
.LBB348_1876:
	s_or_b32 exec_lo, exec_lo, s0
	s_and_saveexec_b32 s0, vcc_lo
	s_cbranch_execz .LBB348_1878
.LBB348_1877:
	v_lshl_add_u32 v19, v16, 2, v17
	ds_load_b32 v19, v19 offset:416
	s_waitcnt lgkmcnt(0)
	v_add_f32_e32 v0, v19, v0
.LBB348_1878:
	s_or_b32 exec_lo, exec_lo, s0
.LBB348_1879:
	s_delay_alu instid0(SALU_CYCLE_1)
	s_or_b32 exec_lo, exec_lo, s3
	v_and_b32_e32 v19, 0x3e3, v37
	s_mov_b32 s3, exec_lo
	s_barrier
	buffer_gl0_inv
	v_cmpx_eq_u32_e32 32, v19
	s_cbranch_execz .LBB348_1881
; %bb.1880:
	v_add3_u32 v18, v17, v18, 0xfffffe40
	ds_store_2addr_b32 v18, v15, v14 offset1:8
	ds_store_2addr_b32 v18, v13, v12 offset0:16 offset1:24
	ds_store_2addr_b32 v18, v11, v10 offset0:32 offset1:40
	;; [unrolled: 1-line block ×6, first 2 shown]
.LBB348_1881:
	s_or_b32 exec_lo, exec_lo, s3
	s_delay_alu instid0(SALU_CYCLE_1)
	s_mov_b32 s3, exec_lo
	s_waitcnt lgkmcnt(0)
	s_barrier
	buffer_gl0_inv
	v_cmpx_gt_u32_e32 32, v37
	s_cbranch_execz .LBB348_1898
; %bb.1882:
	v_lshl_add_u32 v16, v16, 2, v17
	s_and_saveexec_b32 s0, vcc_lo
	s_cbranch_execnz .LBB348_1914
; %bb.1883:
	s_or_b32 exec_lo, exec_lo, s0
	s_and_saveexec_b32 s0, vcc_lo
	s_cbranch_execnz .LBB348_1915
.LBB348_1884:
	s_or_b32 exec_lo, exec_lo, s0
	s_and_saveexec_b32 s0, vcc_lo
	s_cbranch_execnz .LBB348_1916
.LBB348_1885:
	s_or_b32 exec_lo, exec_lo, s0
	s_and_saveexec_b32 s0, vcc_lo
	s_cbranch_execnz .LBB348_1917
.LBB348_1886:
	s_or_b32 exec_lo, exec_lo, s0
	s_and_saveexec_b32 s0, vcc_lo
	s_cbranch_execnz .LBB348_1918
.LBB348_1887:
	s_or_b32 exec_lo, exec_lo, s0
	s_and_saveexec_b32 s0, vcc_lo
	s_cbranch_execnz .LBB348_1919
.LBB348_1888:
	s_or_b32 exec_lo, exec_lo, s0
	s_and_saveexec_b32 s0, vcc_lo
	s_cbranch_execnz .LBB348_1920
.LBB348_1889:
	s_or_b32 exec_lo, exec_lo, s0
	s_and_saveexec_b32 s0, vcc_lo
	s_cbranch_execnz .LBB348_1921
.LBB348_1890:
	s_or_b32 exec_lo, exec_lo, s0
	s_and_saveexec_b32 s0, vcc_lo
	s_cbranch_execnz .LBB348_1922
.LBB348_1891:
	s_or_b32 exec_lo, exec_lo, s0
	s_and_saveexec_b32 s0, vcc_lo
	s_cbranch_execnz .LBB348_1923
.LBB348_1892:
	s_or_b32 exec_lo, exec_lo, s0
	s_and_saveexec_b32 s0, vcc_lo
	s_cbranch_execnz .LBB348_1924
.LBB348_1893:
	s_or_b32 exec_lo, exec_lo, s0
	s_and_saveexec_b32 s0, vcc_lo
	s_cbranch_execnz .LBB348_1925
.LBB348_1894:
	s_or_b32 exec_lo, exec_lo, s0
	s_and_saveexec_b32 s0, vcc_lo
	s_cbranch_execnz .LBB348_1926
.LBB348_1895:
	s_or_b32 exec_lo, exec_lo, s0
	s_and_saveexec_b32 s0, vcc_lo
	s_cbranch_execz .LBB348_1897
.LBB348_1896:
	ds_load_b32 v16, v16 offset:416
	s_waitcnt lgkmcnt(0)
	v_add_f32_e32 v0, v16, v0
.LBB348_1897:
	s_or_b32 exec_lo, exec_lo, s0
.LBB348_1898:
	s_delay_alu instid0(SALU_CYCLE_1)
	s_or_b32 exec_lo, exec_lo, s3
	v_cmp_eq_u32_e32 vcc_lo, 0, v19
	s_barrier
	buffer_gl0_inv
	s_and_b32 exec_lo, exec_lo, vcc_lo
	s_cbranch_execz .LBB348_1900
; %bb.1899:
	s_mul_i32 s0, s2, 0x70
	s_mul_i32 s2, s4, s1
	;; [unrolled: 1-line block ×3, first 2 shown]
	s_ashr_i32 s3, s2, 31
	s_ashr_i32 s5, s4, 31
	s_ashr_i32 s1, s0, 31
	s_lshl_b64 s[2:3], s[2:3], 1
	s_lshl_b64 s[4:5], s[4:5], 1
	;; [unrolled: 1-line block ×3, first 2 shown]
	s_add_u32 s2, s4, s2
	s_addc_u32 s3, s5, s3
	s_add_u32 s0, s2, s0
	s_addc_u32 s1, s3, s1
	v_lshrrev_b32_e32 v16, 1, v37
	v_add_co_u32 v4, vcc_lo, s0, v4
	v_add_co_ci_u32_e32 v5, vcc_lo, s1, v5, vcc_lo
	;;#ASMSTART
	v_cvt_f16_f32 v15, v15;

	;;#ASMEND
	s_delay_alu instid0(VALU_DEP_2) | instskip(NEXT) | instid1(VALU_DEP_2)
	v_add_co_u32 v4, vcc_lo, v4, v16
	v_add_co_ci_u32_e32 v5, vcc_lo, 0, v5, vcc_lo
	flat_store_b16 v[4:5], v15
	;;#ASMSTART
	v_cvt_f16_f32 v14, v14;

	;;#ASMEND
	flat_store_b16 v[4:5], v14 offset:16
	;;#ASMSTART
	v_cvt_f16_f32 v13, v13;

	;;#ASMEND
	flat_store_b16 v[4:5], v13 offset:32
	;; [unrolled: 5-line block ×13, first 2 shown]
.LBB348_1900:
	s_or_b32 exec_lo, exec_lo, s11
	s_clause 0x1f
	scratch_load_b32 v171, off, s32 offset:8
	scratch_load_b32 v170, off, s32 offset:12
	;; [unrolled: 1-line block ×32, first 2 shown]
	s_clause 0x1f
	scratch_load_b32 v107, off, s32 offset:136
	scratch_load_b32 v106, off, s32 offset:140
	;; [unrolled: 1-line block ×32, first 2 shown]
	s_clause 0x3
	scratch_load_b32 v43, off, s32 offset:264
	scratch_load_b32 v42, off, s32 offset:268
	;; [unrolled: 1-line block ×4, first 2 shown]
	s_waitcnt vmcnt(0) lgkmcnt(0)
	s_setpc_b64 s[30:31]
.LBB348_1901:
	v_lshl_add_u32 v19, v16, 2, v17
	ds_load_b32 v19, v19
	s_waitcnt lgkmcnt(0)
	v_add_f32_e32 v15, v19, v15
	s_or_b32 exec_lo, exec_lo, s0
	s_and_saveexec_b32 s0, vcc_lo
	s_cbranch_execz .LBB348_1865
.LBB348_1902:
	v_lshl_add_u32 v19, v16, 2, v17
	ds_load_b32 v19, v19 offset:32
	s_waitcnt lgkmcnt(0)
	v_add_f32_e32 v14, v19, v14
	s_or_b32 exec_lo, exec_lo, s0
	s_and_saveexec_b32 s0, vcc_lo
	s_cbranch_execz .LBB348_1866
.LBB348_1903:
	v_lshl_add_u32 v19, v16, 2, v17
	ds_load_b32 v19, v19 offset:64
	s_waitcnt lgkmcnt(0)
	v_add_f32_e32 v13, v19, v13
	s_or_b32 exec_lo, exec_lo, s0
	s_and_saveexec_b32 s0, vcc_lo
	s_cbranch_execz .LBB348_1867
.LBB348_1904:
	v_lshl_add_u32 v19, v16, 2, v17
	ds_load_b32 v19, v19 offset:96
	s_waitcnt lgkmcnt(0)
	v_add_f32_e32 v12, v19, v12
	s_or_b32 exec_lo, exec_lo, s0
	s_and_saveexec_b32 s0, vcc_lo
	s_cbranch_execz .LBB348_1868
.LBB348_1905:
	v_lshl_add_u32 v19, v16, 2, v17
	ds_load_b32 v19, v19 offset:128
	s_waitcnt lgkmcnt(0)
	v_add_f32_e32 v11, v19, v11
	s_or_b32 exec_lo, exec_lo, s0
	s_and_saveexec_b32 s0, vcc_lo
	s_cbranch_execz .LBB348_1869
.LBB348_1906:
	v_lshl_add_u32 v19, v16, 2, v17
	ds_load_b32 v19, v19 offset:160
	s_waitcnt lgkmcnt(0)
	v_add_f32_e32 v10, v19, v10
	s_or_b32 exec_lo, exec_lo, s0
	s_and_saveexec_b32 s0, vcc_lo
	s_cbranch_execz .LBB348_1870
.LBB348_1907:
	v_lshl_add_u32 v19, v16, 2, v17
	ds_load_b32 v19, v19 offset:192
	s_waitcnt lgkmcnt(0)
	v_add_f32_e32 v9, v19, v9
	s_or_b32 exec_lo, exec_lo, s0
	s_and_saveexec_b32 s0, vcc_lo
	s_cbranch_execz .LBB348_1871
.LBB348_1908:
	v_lshl_add_u32 v19, v16, 2, v17
	ds_load_b32 v19, v19 offset:224
	s_waitcnt lgkmcnt(0)
	v_add_f32_e32 v8, v19, v8
	s_or_b32 exec_lo, exec_lo, s0
	s_and_saveexec_b32 s0, vcc_lo
	s_cbranch_execz .LBB348_1872
.LBB348_1909:
	v_lshl_add_u32 v19, v16, 2, v17
	ds_load_b32 v19, v19 offset:256
	s_waitcnt lgkmcnt(0)
	v_add_f32_e32 v7, v19, v7
	s_or_b32 exec_lo, exec_lo, s0
	s_and_saveexec_b32 s0, vcc_lo
	s_cbranch_execz .LBB348_1873
.LBB348_1910:
	v_lshl_add_u32 v19, v16, 2, v17
	ds_load_b32 v19, v19 offset:288
	s_waitcnt lgkmcnt(0)
	v_add_f32_e32 v6, v19, v6
	s_or_b32 exec_lo, exec_lo, s0
	s_and_saveexec_b32 s0, vcc_lo
	s_cbranch_execz .LBB348_1874
.LBB348_1911:
	v_lshl_add_u32 v19, v16, 2, v17
	ds_load_b32 v19, v19 offset:320
	s_waitcnt lgkmcnt(0)
	v_add_f32_e32 v3, v19, v3
	s_or_b32 exec_lo, exec_lo, s0
	s_and_saveexec_b32 s0, vcc_lo
	s_cbranch_execz .LBB348_1875
.LBB348_1912:
	v_lshl_add_u32 v19, v16, 2, v17
	ds_load_b32 v19, v19 offset:352
	s_waitcnt lgkmcnt(0)
	v_add_f32_e32 v1, v19, v1
	s_or_b32 exec_lo, exec_lo, s0
	s_and_saveexec_b32 s0, vcc_lo
	s_cbranch_execz .LBB348_1876
.LBB348_1913:
	v_lshl_add_u32 v19, v16, 2, v17
	ds_load_b32 v19, v19 offset:384
	s_waitcnt lgkmcnt(0)
	v_add_f32_e32 v2, v19, v2
	s_or_b32 exec_lo, exec_lo, s0
	s_and_saveexec_b32 s0, vcc_lo
	s_cbranch_execnz .LBB348_1877
	s_branch .LBB348_1878
.LBB348_1914:
	ds_load_b32 v17, v16
	s_waitcnt lgkmcnt(0)
	v_add_f32_e32 v15, v17, v15
	s_or_b32 exec_lo, exec_lo, s0
	s_and_saveexec_b32 s0, vcc_lo
	s_cbranch_execz .LBB348_1884
.LBB348_1915:
	ds_load_b32 v17, v16 offset:32
	s_waitcnt lgkmcnt(0)
	v_add_f32_e32 v14, v17, v14
	s_or_b32 exec_lo, exec_lo, s0
	s_and_saveexec_b32 s0, vcc_lo
	s_cbranch_execz .LBB348_1885
.LBB348_1916:
	ds_load_b32 v17, v16 offset:64
	s_waitcnt lgkmcnt(0)
	v_add_f32_e32 v13, v17, v13
	s_or_b32 exec_lo, exec_lo, s0
	s_and_saveexec_b32 s0, vcc_lo
	s_cbranch_execz .LBB348_1886
.LBB348_1917:
	ds_load_b32 v17, v16 offset:96
	s_waitcnt lgkmcnt(0)
	v_add_f32_e32 v12, v17, v12
	s_or_b32 exec_lo, exec_lo, s0
	s_and_saveexec_b32 s0, vcc_lo
	s_cbranch_execz .LBB348_1887
.LBB348_1918:
	ds_load_b32 v17, v16 offset:128
	s_waitcnt lgkmcnt(0)
	v_add_f32_e32 v11, v17, v11
	s_or_b32 exec_lo, exec_lo, s0
	s_and_saveexec_b32 s0, vcc_lo
	s_cbranch_execz .LBB348_1888
.LBB348_1919:
	ds_load_b32 v17, v16 offset:160
	s_waitcnt lgkmcnt(0)
	v_add_f32_e32 v10, v17, v10
	s_or_b32 exec_lo, exec_lo, s0
	s_and_saveexec_b32 s0, vcc_lo
	s_cbranch_execz .LBB348_1889
.LBB348_1920:
	ds_load_b32 v17, v16 offset:192
	s_waitcnt lgkmcnt(0)
	v_add_f32_e32 v9, v17, v9
	s_or_b32 exec_lo, exec_lo, s0
	s_and_saveexec_b32 s0, vcc_lo
	s_cbranch_execz .LBB348_1890
.LBB348_1921:
	ds_load_b32 v17, v16 offset:224
	s_waitcnt lgkmcnt(0)
	v_add_f32_e32 v8, v17, v8
	s_or_b32 exec_lo, exec_lo, s0
	s_and_saveexec_b32 s0, vcc_lo
	s_cbranch_execz .LBB348_1891
.LBB348_1922:
	ds_load_b32 v17, v16 offset:256
	s_waitcnt lgkmcnt(0)
	v_add_f32_e32 v7, v17, v7
	s_or_b32 exec_lo, exec_lo, s0
	s_and_saveexec_b32 s0, vcc_lo
	s_cbranch_execz .LBB348_1892
.LBB348_1923:
	ds_load_b32 v17, v16 offset:288
	s_waitcnt lgkmcnt(0)
	v_add_f32_e32 v6, v17, v6
	s_or_b32 exec_lo, exec_lo, s0
	s_and_saveexec_b32 s0, vcc_lo
	s_cbranch_execz .LBB348_1893
.LBB348_1924:
	ds_load_b32 v17, v16 offset:320
	s_waitcnt lgkmcnt(0)
	v_add_f32_e32 v3, v17, v3
	s_or_b32 exec_lo, exec_lo, s0
	s_and_saveexec_b32 s0, vcc_lo
	s_cbranch_execz .LBB348_1894
.LBB348_1925:
	ds_load_b32 v17, v16 offset:352
	s_waitcnt lgkmcnt(0)
	v_add_f32_e32 v1, v17, v1
	s_or_b32 exec_lo, exec_lo, s0
	s_and_saveexec_b32 s0, vcc_lo
	s_cbranch_execz .LBB348_1895
.LBB348_1926:
	ds_load_b32 v17, v16 offset:384
	s_waitcnt lgkmcnt(0)
	v_add_f32_e32 v2, v17, v2
	s_or_b32 exec_lo, exec_lo, s0
	s_and_saveexec_b32 s0, vcc_lo
	s_cbranch_execnz .LBB348_1896
	s_branch .LBB348_1897
.Lfunc_end348:
	.size	_ZN4vllm22paged_attention_kernelIthLi112ELi32ELi128ELNS_18Fp8KVCacheDataTypeE1ELb1ELi512EEEvPfS2_PT_PKS3_PKT0_S9_ifPKiSB_iPKfiiiSD_SD_iiiii, .Lfunc_end348-_ZN4vllm22paged_attention_kernelIthLi112ELi32ELi128ELNS_18Fp8KVCacheDataTypeE1ELb1ELi512EEEvPfS2_PT_PKS3_PKT0_S9_ifPKiSB_iPKfiiiSD_SD_iiiii
                                        ; -- End function
	.section	.AMDGPU.csdata,"",@progbits
; Function info:
; codeLenInByte = 74692
; NumSgprs: 35
; NumVgprs: 184
; ScratchSize: 284
; MemoryBound: 0
	.section	.text._ZN4vllm25paged_attention_v2_kernelIthLi112ELi32ELi128ELNS_18Fp8KVCacheDataTypeE1ELb1ELi512EEEvPfS2_PT_PKS3_PKT0_S9_ifPKiSB_iPKfiiiSD_SD_iiiii,"axG",@progbits,_ZN4vllm25paged_attention_v2_kernelIthLi112ELi32ELi128ELNS_18Fp8KVCacheDataTypeE1ELb1ELi512EEEvPfS2_PT_PKS3_PKT0_S9_ifPKiSB_iPKfiiiSD_SD_iiiii,comdat
	.protected	_ZN4vllm25paged_attention_v2_kernelIthLi112ELi32ELi128ELNS_18Fp8KVCacheDataTypeE1ELb1ELi512EEEvPfS2_PT_PKS3_PKT0_S9_ifPKiSB_iPKfiiiSD_SD_iiiii ; -- Begin function _ZN4vllm25paged_attention_v2_kernelIthLi112ELi32ELi128ELNS_18Fp8KVCacheDataTypeE1ELb1ELi512EEEvPfS2_PT_PKS3_PKT0_S9_ifPKiSB_iPKfiiiSD_SD_iiiii
	.globl	_ZN4vllm25paged_attention_v2_kernelIthLi112ELi32ELi128ELNS_18Fp8KVCacheDataTypeE1ELb1ELi512EEEvPfS2_PT_PKS3_PKT0_S9_ifPKiSB_iPKfiiiSD_SD_iiiii
	.p2align	8
	.type	_ZN4vllm25paged_attention_v2_kernelIthLi112ELi32ELi128ELNS_18Fp8KVCacheDataTypeE1ELb1ELi512EEEvPfS2_PT_PKS3_PKT0_S9_ifPKiSB_iPKfiiiSD_SD_iiiii,@function
_ZN4vllm25paged_attention_v2_kernelIthLi112ELi32ELi128ELNS_18Fp8KVCacheDataTypeE1ELb1ELi512EEEvPfS2_PT_PKS3_PKT0_S9_ifPKiSB_iPKfiiiSD_SD_iiiii: ; @_ZN4vllm25paged_attention_v2_kernelIthLi112ELi32ELi128ELNS_18Fp8KVCacheDataTypeE1ELb1ELi512EEEvPfS2_PT_PKS3_PKT0_S9_ifPKiSB_iPKfiiiSD_SD_iiiii
; %bb.0:
	s_mov_b32 s12, s13
	s_clause 0x7
	s_load_b128 s[4:7], s[0:1], 0x78
	s_load_b32 s8, s[0:1], 0x88
	s_load_b256 s[24:31], s[0:1], 0x0
	s_load_b256 s[36:43], s[0:1], 0x20
	s_load_b64 s[2:3], s[0:1], 0x40
	s_load_b64 s[10:11], s[0:1], 0x50
	s_load_b32 s13, s[0:1], 0x48
	s_load_b256 s[16:23], s[0:1], 0x58
	s_mov_b32 s32, 0
	v_mov_b32_e32 v31, v0
	s_waitcnt lgkmcnt(0)
	v_dual_mov_b32 v1, s7 :: v_dual_mov_b32 v2, s8
	v_dual_mov_b32 v0, s24 :: v_dual_mov_b32 v3, s27
	v_dual_mov_b32 v4, s28 :: v_dual_mov_b32 v5, s29
	v_mov_b32_e32 v6, s30
	scratch_store_b64 off, v[1:2], s32
	v_dual_mov_b32 v1, s25 :: v_dual_mov_b32 v2, s26
	v_dual_mov_b32 v7, s31 :: v_dual_mov_b32 v8, s36
	;; [unrolled: 1-line block ×13, first 2 shown]
	s_add_u32 s8, s0, 0x90
	s_addc_u32 s9, s1, 0
	s_mov_b32 s13, s14
	s_mov_b32 s14, s15
	s_movk_i32 s15, 0x56
	s_getpc_b64 s[0:1]
	s_add_u32 s0, s0, _ZN4vllm22paged_attention_kernelIthLi112ELi32ELi128ELNS_18Fp8KVCacheDataTypeE1ELb1ELi512EEEvPfS2_PT_PKS3_PKT0_S9_ifPKiSB_iPKfiiiSD_SD_iiiii@rel32@lo+4
	s_addc_u32 s1, s1, _ZN4vllm22paged_attention_kernelIthLi112ELi32ELi128ELNS_18Fp8KVCacheDataTypeE1ELb1ELi512EEEvPfS2_PT_PKS3_PKT0_S9_ifPKiSB_iPKfiiiSD_SD_iiiii@rel32@hi+12
	s_delay_alu instid0(SALU_CYCLE_1)
	s_swappc_b64 s[30:31], s[0:1]
	s_endpgm
	.section	.rodata,"a",@progbits
	.p2align	6, 0x0
	.amdhsa_kernel _ZN4vllm25paged_attention_v2_kernelIthLi112ELi32ELi128ELNS_18Fp8KVCacheDataTypeE1ELb1ELi512EEEvPfS2_PT_PKS3_PKT0_S9_ifPKiSB_iPKfiiiSD_SD_iiiii
		.amdhsa_group_segment_fixed_size 256
		.amdhsa_private_segment_fixed_size 284
		.amdhsa_kernarg_size 400
		.amdhsa_user_sgpr_count 13
		.amdhsa_user_sgpr_dispatch_ptr 0
		.amdhsa_user_sgpr_queue_ptr 0
		.amdhsa_user_sgpr_kernarg_segment_ptr 1
		.amdhsa_user_sgpr_dispatch_id 0
		.amdhsa_user_sgpr_private_segment_size 0
		.amdhsa_wavefront_size32 1
		.amdhsa_uses_dynamic_stack 0
		.amdhsa_enable_private_segment 1
		.amdhsa_system_sgpr_workgroup_id_x 1
		.amdhsa_system_sgpr_workgroup_id_y 1
		.amdhsa_system_sgpr_workgroup_id_z 1
		.amdhsa_system_sgpr_workgroup_info 0
		.amdhsa_system_vgpr_workitem_id 0
		.amdhsa_next_free_vgpr 184
		.amdhsa_next_free_sgpr 44
		.amdhsa_reserve_vcc 1
		.amdhsa_float_round_mode_32 0
		.amdhsa_float_round_mode_16_64 0
		.amdhsa_float_denorm_mode_32 3
		.amdhsa_float_denorm_mode_16_64 3
		.amdhsa_dx10_clamp 1
		.amdhsa_ieee_mode 1
		.amdhsa_fp16_overflow 0
		.amdhsa_workgroup_processor_mode 1
		.amdhsa_memory_ordered 1
		.amdhsa_forward_progress 0
		.amdhsa_shared_vgpr_count 0
		.amdhsa_exception_fp_ieee_invalid_op 0
		.amdhsa_exception_fp_denorm_src 0
		.amdhsa_exception_fp_ieee_div_zero 0
		.amdhsa_exception_fp_ieee_overflow 0
		.amdhsa_exception_fp_ieee_underflow 0
		.amdhsa_exception_fp_ieee_inexact 0
		.amdhsa_exception_int_div_zero 0
	.end_amdhsa_kernel
	.section	.text._ZN4vllm25paged_attention_v2_kernelIthLi112ELi32ELi128ELNS_18Fp8KVCacheDataTypeE1ELb1ELi512EEEvPfS2_PT_PKS3_PKT0_S9_ifPKiSB_iPKfiiiSD_SD_iiiii,"axG",@progbits,_ZN4vllm25paged_attention_v2_kernelIthLi112ELi32ELi128ELNS_18Fp8KVCacheDataTypeE1ELb1ELi512EEEvPfS2_PT_PKS3_PKT0_S9_ifPKiSB_iPKfiiiSD_SD_iiiii,comdat
.Lfunc_end349:
	.size	_ZN4vllm25paged_attention_v2_kernelIthLi112ELi32ELi128ELNS_18Fp8KVCacheDataTypeE1ELb1ELi512EEEvPfS2_PT_PKS3_PKT0_S9_ifPKiSB_iPKfiiiSD_SD_iiiii, .Lfunc_end349-_ZN4vllm25paged_attention_v2_kernelIthLi112ELi32ELi128ELNS_18Fp8KVCacheDataTypeE1ELb1ELi512EEEvPfS2_PT_PKS3_PKT0_S9_ifPKiSB_iPKfiiiSD_SD_iiiii
                                        ; -- End function
	.section	.AMDGPU.csdata,"",@progbits
; Kernel info:
; codeLenInByte = 280
; NumSgprs: 46
; NumVgprs: 184
; ScratchSize: 284
; MemoryBound: 0
; FloatMode: 240
; IeeeMode: 1
; LDSByteSize: 256 bytes/workgroup (compile time only)
; SGPRBlocks: 5
; VGPRBlocks: 22
; NumSGPRsForWavesPerEU: 46
; NumVGPRsForWavesPerEU: 184
; Occupancy: 8
; WaveLimiterHint : 1
; COMPUTE_PGM_RSRC2:SCRATCH_EN: 1
; COMPUTE_PGM_RSRC2:USER_SGPR: 13
; COMPUTE_PGM_RSRC2:TRAP_HANDLER: 0
; COMPUTE_PGM_RSRC2:TGID_X_EN: 1
; COMPUTE_PGM_RSRC2:TGID_Y_EN: 1
; COMPUTE_PGM_RSRC2:TGID_Z_EN: 1
; COMPUTE_PGM_RSRC2:TIDIG_COMP_CNT: 0
	.text
	.p2align	2                               ; -- Begin function _ZN4vllm22paged_attention_kernelIthLi120ELi32ELi128ELNS_18Fp8KVCacheDataTypeE1ELb1ELi512EEEvPfS2_PT_PKS3_PKT0_S9_ifPKiSB_iPKfiiiSD_SD_iiiii
	.type	_ZN4vllm22paged_attention_kernelIthLi120ELi32ELi128ELNS_18Fp8KVCacheDataTypeE1ELb1ELi512EEEvPfS2_PT_PKS3_PKT0_S9_ifPKiSB_iPKfiiiSD_SD_iiiii,@function
_ZN4vllm22paged_attention_kernelIthLi120ELi32ELi128ELNS_18Fp8KVCacheDataTypeE1ELb1ELi512EEEvPfS2_PT_PKS3_PKT0_S9_ifPKiSB_iPKfiiiSD_SD_iiiii: ; @_ZN4vllm22paged_attention_kernelIthLi120ELi32ELi128ELNS_18Fp8KVCacheDataTypeE1ELb1ELi512EEEvPfS2_PT_PKS3_PKT0_S9_ifPKiSB_iPKfiiiSD_SD_iiiii
; %bb.0:
	s_waitcnt vmcnt(0) expcnt(0) lgkmcnt(0)
	s_clause 0x1f
	scratch_store_b32 off, v40, s32 offset:308
	; meta instruction
	scratch_store_b32 off, v41, s32 offset:304
	; meta instruction
	;; [unrolled: 2-line block ×31, first 2 shown]
	scratch_store_b32 off, v95, s32 offset:184
	s_clause 0x1f
	scratch_store_b32 off, v104, s32 offset:180
	; meta instruction
	scratch_store_b32 off, v105, s32 offset:176
	; meta instruction
	;; [unrolled: 2-line block ×31, first 2 shown]
	scratch_store_b32 off, v159, s32 offset:56
	s_clause 0xb
	scratch_store_b32 off, v168, s32 offset:52
	; meta instruction
	scratch_store_b32 off, v169, s32 offset:48
	; meta instruction
	;; [unrolled: 2-line block ×11, first 2 shown]
	scratch_store_b32 off, v187, s32 offset:8
	s_mov_b32 s10, s13
	s_ashr_i32 s11, s13, 31
	s_lshl_b32 s3, s14, 9
	s_lshl_b64 s[0:1], s[10:11], 2
	s_mov_b32 s11, exec_lo
	v_add_co_u32 v16, vcc_lo, v16, s0
	v_add_co_ci_u32_e32 v17, vcc_lo, s1, v17, vcc_lo
	flat_load_b32 v38, v[16:17]
	s_clause 0x1
	scratch_load_b32 v32, off, s32 offset:4
	scratch_load_b32 v33, off, s32
	s_waitcnt vmcnt(2) lgkmcnt(0)
	v_cmpx_lt_i32_e64 s3, v38
	s_cbranch_execz .LBB350_2032
; %bb.1:
	v_sub_nc_u32_e32 v16, 0, v12
	s_clause 0x1
	s_load_b32 s0, s[8:9], 0x10
	s_load_b32 s1, s[8:9], 0x0
	s_mov_b32 s6, s15
	v_mov_b32_e32 v65, 0
	v_max_i32_e32 v16, v12, v16
	s_delay_alu instid0(VALU_DEP_1) | instskip(SKIP_1) | instid1(VALU_DEP_2)
	v_cvt_f32_u32_e32 v17, v16
	v_sub_nc_u32_e32 v34, 0, v16
	v_rcp_iflag_f32_e32 v17, v17
	s_waitcnt lgkmcnt(0)
	s_lshr_b32 s0, s0, 16
	s_delay_alu instid0(SALU_CYCLE_1) | instskip(SKIP_3) | instid1(SALU_CYCLE_1)
	s_cmp_lg_u32 s0, 0
	s_waitcnt_depctr 0xfff
	v_mul_f32_e32 v17, 0x4f7ffffe, v17
	s_cselect_b32 s0, -1, 0
	s_cmp_lg_u32 s0, 0
	s_delay_alu instid0(VALU_DEP_1) | instskip(SKIP_3) | instid1(VALU_DEP_1)
	v_cvt_u32_f32_e32 v17, v17
	s_addc_u32 s15, s1, 0
	s_mov_b32 s1, exec_lo
	s_abs_i32 s0, s15
	v_mul_lo_u32 v34, v34, v17
	s_delay_alu instid0(VALU_DEP_1) | instskip(NEXT) | instid1(VALU_DEP_1)
	v_mul_hi_u32 v34, v17, v34
	v_add_nc_u32_e32 v17, v17, v34
	s_delay_alu instid0(VALU_DEP_1) | instskip(NEXT) | instid1(VALU_DEP_1)
	v_mul_hi_u32 v17, s0, v17
	v_mul_lo_u32 v34, v17, v16
	v_add_nc_u32_e32 v35, 1, v17
	s_delay_alu instid0(VALU_DEP_2) | instskip(SKIP_1) | instid1(VALU_DEP_1)
	v_sub_nc_u32_e32 v34, s0, v34
	s_abs_i32 s0, s12
	v_sub_nc_u32_e32 v36, v34, v16
	v_cmp_ge_u32_e32 vcc_lo, v34, v16
	s_delay_alu instid0(VALU_DEP_2) | instskip(SKIP_1) | instid1(VALU_DEP_2)
	v_dual_cndmask_b32 v17, v17, v35 :: v_dual_cndmask_b32 v34, v34, v36
	v_xor_b32_e32 v35, s15, v12
	v_add_nc_u32_e32 v36, 1, v17
	s_delay_alu instid0(VALU_DEP_3) | instskip(NEXT) | instid1(VALU_DEP_3)
	v_cmp_ge_u32_e32 vcc_lo, v34, v16
	v_ashrrev_i32_e32 v35, 31, v35
	s_delay_alu instid0(VALU_DEP_3) | instskip(NEXT) | instid1(VALU_DEP_1)
	v_cndmask_b32_e32 v16, v17, v36, vcc_lo
	v_xor_b32_e32 v16, v16, v35
	s_delay_alu instid0(VALU_DEP_1) | instskip(NEXT) | instid1(VALU_DEP_1)
	v_sub_nc_u32_e32 v35, v16, v35
	v_sub_nc_u32_e32 v16, 0, v35
	s_delay_alu instid0(VALU_DEP_1) | instskip(NEXT) | instid1(VALU_DEP_1)
	v_max_i32_e32 v34, v35, v16
	v_cvt_f32_u32_e32 v16, v34
	v_sub_nc_u32_e32 v17, 0, v34
	s_delay_alu instid0(VALU_DEP_2) | instskip(SKIP_2) | instid1(VALU_DEP_1)
	v_rcp_iflag_f32_e32 v16, v16
	s_waitcnt_depctr 0xfff
	v_mul_f32_e32 v16, 0x4f7ffffe, v16
	v_cvt_u32_f32_e32 v16, v16
	s_delay_alu instid0(VALU_DEP_1) | instskip(NEXT) | instid1(VALU_DEP_1)
	v_mul_lo_u32 v17, v17, v16
	v_mul_hi_u32 v17, v16, v17
	s_delay_alu instid0(VALU_DEP_1) | instskip(NEXT) | instid1(VALU_DEP_1)
	v_add_nc_u32_e32 v36, v16, v17
	v_mad_u64_u32 v[16:17], null, s0, v36, 0
	v_cmpx_ne_u64_e32 0, v[19:20]
	s_cbranch_execz .LBB350_3
; %bb.2:
	s_ashr_i32 s13, s12, 31
	s_delay_alu instid0(SALU_CYCLE_1) | instskip(NEXT) | instid1(SALU_CYCLE_1)
	s_lshl_b64 s[4:5], s[12:13], 2
	v_add_co_u32 v19, vcc_lo, v19, s4
	v_add_co_ci_u32_e32 v20, vcc_lo, s5, v20, vcc_lo
	flat_load_b32 v65, v[19:20]
.LBB350_3:
	s_or_b32 exec_lo, exec_lo, s1
	v_and_b32_e32 v37, 0x3ff, v31
	v_ashrrev_i32_e32 v16, 31, v35
	s_ashr_i32 s1, s12, 31
	s_mul_i32 s4, s12, 0x78
	s_mov_b32 s2, exec_lo
	v_cmpx_gt_u32_e32 15, v37
	s_cbranch_execz .LBB350_5
; %bb.4:
	v_mul_lo_u32 v19, s10, v21
	s_ashr_i32 s5, s4, 31
	v_lshlrev_b32_e32 v21, 4, v37
	s_lshl_b64 s[16:17], s[4:5], 1
	s_delay_alu instid0(VALU_DEP_2) | instskip(NEXT) | instid1(VALU_DEP_1)
	v_ashrrev_i32_e32 v20, 31, v19
	v_lshlrev_b64 v[19:20], 1, v[19:20]
	s_delay_alu instid0(VALU_DEP_1) | instskip(NEXT) | instid1(VALU_DEP_2)
	v_add_co_u32 v6, vcc_lo, v6, v19
	v_add_co_ci_u32_e32 v7, vcc_lo, v7, v20, vcc_lo
	s_delay_alu instid0(VALU_DEP_2) | instskip(NEXT) | instid1(VALU_DEP_2)
	v_add_co_u32 v6, vcc_lo, v6, s16
	v_add_co_ci_u32_e32 v7, vcc_lo, s17, v7, vcc_lo
	s_delay_alu instid0(VALU_DEP_2) | instskip(NEXT) | instid1(VALU_DEP_2)
	v_add_co_u32 v6, vcc_lo, v6, v21
	v_add_co_ci_u32_e32 v7, vcc_lo, 0, v7, vcc_lo
	flat_load_b128 v[48:51], v[6:7]
	s_waitcnt vmcnt(0) lgkmcnt(0)
	ds_store_b128 v21, v[48:51]
.LBB350_5:
	s_or_b32 exec_lo, exec_lo, s2
	s_waitcnt vmcnt(0)
	v_sub_nc_u32_e32 v6, 0, v33
	v_mul_lo_u32 v7, v17, v34
	v_add_nc_u32_e32 v20, 1, v17
	v_xor_b32_e32 v35, s1, v16
	s_waitcnt lgkmcnt(0)
	s_waitcnt_vscnt null, 0x0
	v_max_i32_e32 v49, v33, v6
	s_barrier
	buffer_gl0_inv
	v_sub_nc_u32_e32 v19, s0, v7
	v_cvt_f32_u32_e32 v6, v49
	v_sub_nc_u32_e32 v7, 0, v49
	s_mov_b32 s0, exec_lo
	s_delay_alu instid0(VALU_DEP_3) | instskip(NEXT) | instid1(VALU_DEP_3)
	v_cmp_ge_u32_e32 vcc_lo, v19, v34
	v_rcp_iflag_f32_e32 v6, v6
	v_sub_nc_u32_e32 v21, v19, v34
	v_cndmask_b32_e32 v17, v17, v20, vcc_lo
	s_delay_alu instid0(VALU_DEP_2) | instskip(NEXT) | instid1(VALU_DEP_2)
	v_cndmask_b32_e32 v19, v19, v21, vcc_lo
	v_add_nc_u32_e32 v20, 1, v17
	s_waitcnt_depctr 0xfff
	v_mul_f32_e32 v6, 0x4f7ffffe, v6
	v_cmp_ge_u32_e32 vcc_lo, v19, v34
	s_delay_alu instid0(VALU_DEP_2) | instskip(SKIP_1) | instid1(VALU_DEP_2)
	v_cvt_u32_f32_e32 v6, v6
	v_cndmask_b32_e32 v16, v17, v20, vcc_lo
	v_mul_lo_u32 v31, v7, v6
	v_add_nc_u32_e32 v7, -1, v38
	s_delay_alu instid0(VALU_DEP_2) | instskip(NEXT) | instid1(VALU_DEP_2)
	v_mul_hi_u32 v21, v6, v31
	v_sub_nc_u32_e32 v31, 0, v7
	s_delay_alu instid0(VALU_DEP_1) | instskip(NEXT) | instid1(VALU_DEP_3)
	v_max_i32_e32 v19, v7, v31
	v_add_nc_u32_e32 v50, v6, v21
	v_xor_b32_e32 v6, v16, v35
	s_delay_alu instid0(VALU_DEP_2) | instskip(NEXT) | instid1(VALU_DEP_2)
	v_mad_u64_u32 v[16:17], null, v19, v50, 0
	v_sub_nc_u32_e32 v16, v6, v35
                                        ; implicit-def: $vgpr6
	v_cmpx_gt_i32_e32 0, v32
	s_xor_b32 s0, exec_lo, s0
; %bb.6:
	s_delay_alu instid0(VALU_DEP_2) | instskip(NEXT) | instid1(VALU_DEP_1)
	v_mad_u64_u32 v[20:21], null, v28, v12, v[16:17]
                                        ; implicit-def: $vgpr28
	v_mul_lo_u32 v6, v20, v32
                                        ; implicit-def: $vgpr32
	s_delay_alu instid0(VALU_DEP_1)
	v_sub_nc_u32_e32 v6, 1, v6
; %bb.7:
	s_or_saveexec_b32 s0, s0
	v_ashrrev_i32_e32 v12, 31, v7
	v_ashrrev_i32_e32 v51, 31, v33
	s_xor_b32 exec_lo, exec_lo, s0
; %bb.8:
	v_mad_u64_u32 v[20:21], null, s15, v28, s[12:13]
	s_delay_alu instid0(VALU_DEP_1)
	v_mad_u64_u32 v[6:7], null, v20, v32, 1
; %bb.9:
	s_or_b32 exec_lo, exec_lo, s0
	v_mul_lo_u32 v7, v17, v49
	v_xor_b32_e32 v21, v12, v51
	s_clause 0x1
	s_load_b32 s18, s[8:9], 0x14
	s_load_b32 s5, s[8:9], 0x8
	v_mul_lo_u32 v18, s10, v18
	v_lshrrev_b32_e32 v39, 5, v37
	s_lshl_b32 s13, s14, 4
	v_sub_nc_u32_e32 v55, 0, v30
	s_add_i32 s0, s13, 16
	v_sub_nc_u32_e32 v7, v19, v7
	v_add_nc_u32_e32 v19, 1, v17
	v_and_b32_e32 v48, 31, v37
	s_delay_alu instid0(VALU_DEP_3) | instskip(SKIP_2) | instid1(VALU_DEP_4)
	v_sub_nc_u32_e32 v28, v7, v49
	v_cmp_ge_u32_e32 vcc_lo, v7, v49
	v_add_nc_u32_e32 v20, 31, v38
	v_dual_cndmask_b32 v17, v17, v19 :: v_dual_lshlrev_b32 v66, 2, v48
	s_delay_alu instid0(VALU_DEP_2) | instskip(SKIP_1) | instid1(VALU_DEP_3)
	v_ashrrev_i32_e32 v12, 31, v20
	v_cndmask_b32_e32 v7, v7, v28, vcc_lo
	v_add_nc_u32_e32 v19, 1, v17
	s_delay_alu instid0(VALU_DEP_3) | instskip(NEXT) | instid1(VALU_DEP_3)
	v_lshrrev_b32_e32 v12, 27, v12
	v_cmp_ge_u32_e32 vcc_lo, v7, v49
	s_delay_alu instid0(VALU_DEP_2) | instskip(NEXT) | instid1(VALU_DEP_4)
	v_dual_mov_b32 v67, 0xff7fffff :: v_dual_add_nc_u32 v20, v20, v12
	v_cndmask_b32_e32 v7, v17, v19, vcc_lo
	v_mul_lo_u32 v12, v16, v23
	v_ashrrev_i32_e32 v19, 31, v18
	v_add_nc_u32_e32 v16, s13, v39
	v_ashrrev_i32_e32 v54, 5, v20
	v_xor_b32_e32 v7, v7, v21
	v_lshl_add_u32 v23, v39, 5, s3
	v_lshlrev_b64 v[18:19], 2, v[18:19]
	v_ashrrev_i32_e32 v17, 31, v16
	v_min_i32_e32 v52, s0, v54
	v_sub_nc_u32_e32 v7, v7, v21
	v_ashrrev_i32_e32 v64, 31, v12
	s_delay_alu instid0(VALU_DEP_3) | instskip(NEXT) | instid1(VALU_DEP_3)
	v_cmp_lt_i32_e64 s0, v16, v52
	v_sub_nc_u32_e32 v53, v7, v29
	s_delay_alu instid0(VALU_DEP_2)
	s_and_saveexec_b32 s19, s0
	s_cbranch_execz .LBB350_977
; %bb.10:
	v_max_i32_e32 v68, v30, v55
	s_ashr_i32 s7, s6, 31
	s_getpc_b64 s[16:17]
	s_add_u32 s16, s16, llvm.amdgcn.dynlds.offset.table@rel32@lo+4
	s_addc_u32 s17, s17, llvm.amdgcn.dynlds.offset.table@rel32@hi+12
	s_lshl_b64 s[20:21], s[6:7], 2
	v_add_co_u32 v20, vcc_lo, v8, v12
	v_cvt_f32_u32_e32 v7, v68
	v_sub_nc_u32_e32 v33, 0, v68
	s_add_u32 s16, s20, s16
	s_addc_u32 s17, s21, s17
	v_dual_mov_b32 v8, 0 :: v_dual_lshlrev_b32 v31, 4, v48
	v_rcp_iflag_f32_e32 v7, v7
	s_load_b32 s7, s[16:17], 0x0
	v_add_co_ci_u32_e32 v21, vcc_lo, v9, v64, vcc_lo
	v_lshlrev_b64 v[28:29], 2, v[16:17]
	v_add_co_u32 v20, s1, v20, v31
	s_delay_alu instid0(VALU_DEP_1) | instskip(SKIP_4) | instid1(VALU_DEP_1)
	v_add_co_ci_u32_e64 v21, s1, 0, v21, s1
	v_sub_nc_u32_e32 v32, v48, v38
	s_waitcnt_depctr 0xfff
	v_mul_f32_e32 v7, 0x4f7ffffe, v7
	v_add_co_u32 v28, s1, v18, v28
	v_add_co_ci_u32_e64 v29, s1, v19, v29, s1
	s_delay_alu instid0(VALU_DEP_3) | instskip(NEXT) | instid1(VALU_DEP_3)
	v_cvt_u32_f32_e32 v7, v7
	v_add_co_u32 v28, s1, v14, v28
	v_cmp_neq_f32_e32 vcc_lo, 0, v65
	v_lshl_add_u32 v9, v39, 5, s3
	s_delay_alu instid0(VALU_DEP_4)
	v_mul_lo_u32 v33, v33, v7
	v_lshl_or_b32 v69, v39, 7, v66
	v_dual_mov_b32 v70, 0xff7fffff :: v_dual_mov_b32 v67, 0xff7fffff
	v_add_nc_u32_e32 v71, 1, v32
	v_add_co_ci_u32_e64 v29, s1, v15, v29, s1
	s_mov_b32 s8, -1
	v_mul_hi_u32 v31, v7, v33
	s_mov_b32 s9, 0xffffff
	s_mov_b32 s20, 0
	s_delay_alu instid0(VALU_DEP_1)
	v_dual_mov_b32 v81, v16 :: v_dual_add_nc_u32 v80, v7, v31
	s_branch .LBB350_16
.LBB350_11:                             ;   in Loop: Header=BB350_16 Depth=1
	s_or_b32 exec_lo, exec_lo, s24
	v_lshlrev_b32_e32 v7, 8, v34
	v_lshl_add_u32 v32, v36, 10, 0x2000
	s_delay_alu instid0(VALU_DEP_1) | instskip(NEXT) | instid1(VALU_DEP_1)
	v_and_or_b32 v7, 0x8000, v7, v32
	v_lshl_or_b32 v7, v31, 7, v7
	s_delay_alu instid0(VALU_DEP_1)
	v_cvt_f32_f16_e64 v174, v7
.LBB350_12:                             ;   in Loop: Header=BB350_16 Depth=1
	s_or_b32 exec_lo, exec_lo, s23
.LBB350_13:                             ;   in Loop: Header=BB350_16 Depth=1
	s_delay_alu instid0(SALU_CYCLE_1)
	s_or_b32 exec_lo, exec_lo, s22
.LBB350_14:                             ;   in Loop: Header=BB350_16 Depth=1
	s_delay_alu instid0(SALU_CYCLE_1)
	s_or_b32 exec_lo, exec_lo, s21
	v_fma_mixlo_f16 v93, v82, v77, 0
	v_fma_mixlo_f16 v77, v82, v35, 0
	;; [unrolled: 1-line block ×5, first 2 shown]
	ds_load_b128 v[172:175], v8
	v_fma_mixlo_f16 v171, v82, v83, 0
	v_fma_mixlo_f16 v170, v82, v84, 0
	v_fma_mixlo_f16 v92, v82, v88, 0
	v_fma_mixlo_f16 v88, v82, v109, 0
	v_fma_mixlo_f16 v109, v82, v106, 0
	v_fma_mixlo_f16 v106, v82, v137, 0
	v_fma_mixlo_f16 v137, v82, v126, 0
	v_fma_mixlo_f16 v126, v82, v143, 0
	v_fma_mixlo_f16 v143, v82, v140, 0
	v_fma_mixlo_f16 v140, v82, v153, 0
	v_fma_mixlo_f16 v153, v82, v78, 0
	v_fma_mixlo_f16 v78, v82, v104, 0
	v_fma_mixlo_f16 v104, v82, v61, 0
	v_fma_mixlo_f16 v61, v82, v72, 0
	v_fma_mixlo_f16 v72, v82, v45, 0
	v_fma_mixlo_f16 v45, v82, v56, 0
	v_fma_mixlo_f16 v56, v82, v181, 0
	v_fma_mixlo_f16 v181, v82, v40, 0
	v_fma_mixlo_f16 v40, v82, v165, 0
	v_fma_mixlo_f16 v165, v82, v176, 0
	v_fma_mixlo_f16 v176, v82, v149, 0
	v_fma_mixlo_f16 v149, v82, v160, 0
	v_fma_mixlo_f16 v160, v82, v133, 0
	v_fma_mixlo_f16 v133, v82, v144, 0
	v_fma_mixlo_f16 v144, v82, v117, 0
	v_fma_mixlo_f16 v117, v82, v128, 0
	v_fma_mixlo_f16 v128, v82, v101, 0
	v_fma_mixlo_f16 v101, v82, v114, 0
	v_fma_mixlo_f16 v114, v82, v85, 0
	v_fma_mixlo_f16 v90, v82, v89, 0
	v_fma_mixlo_f16 v91, v82, v91, 0
	v_fma_mixlo_f16 v89, v82, v108, 0
	v_fma_mixlo_f16 v36, v82, v120, 0
	v_fma_mixlo_f16 v108, v82, v107, 0
	v_fma_mixlo_f16 v120, v82, v105, 0
	v_fma_mixlo_f16 v121, v82, v95, 0
	v_fma_mixlo_f16 v107, v82, v136, 0
	v_fma_mixlo_f16 v105, v82, v139, 0
	v_fma_mixlo_f16 v95, v82, v138, 0
	v_fma_mixlo_f16 v136, v82, v127, 0
	v_fma_mixlo_f16 v138, v82, v123, 0
	v_fma_mixlo_f16 v139, v82, v122, 0
	v_fma_mixlo_f16 v127, v82, v142, 0
	v_fma_mixlo_f16 v123, v82, v155, 0
	v_fma_mixlo_f16 v122, v82, v154, 0
	v_fma_mixlo_f16 v142, v82, v141, 0
	v_fma_mixlo_f16 v154, v82, v125, 0
	v_fma_mixlo_f16 v155, v82, v124, 0
	v_fma_mixlo_f16 v141, v82, v152, 0
	v_fma_mixlo_f16 v125, v82, v157, 0
	v_fma_mixlo_f16 v124, v82, v156, 0
	v_fma_mixlo_f16 v152, v82, v79, 0
	v_fma_mixlo_f16 v156, v82, v76, 0
	v_fma_mixlo_f16 v157, v82, v75, 0
	v_fma_mixlo_f16 v79, v82, v94, 0
	v_fma_mixlo_f16 v76, v82, v111, 0
	v_fma_mixlo_f16 v75, v82, v110, 0
	v_fma_mixlo_f16 v94, v82, v62, 0
	v_fma_mixlo_f16 v110, v82, v60, 0
	v_fma_mixlo_f16 v111, v82, v59, 0
	v_fma_mixlo_f16 v62, v82, v63, 0
	v_fma_mixlo_f16 v60, v82, v74, 0
	v_fma_mixlo_f16 v59, v82, v73, 0
	v_fma_mixlo_f16 v63, v82, v46, 0
	v_fma_mixlo_f16 v73, v82, v44, 0
	v_fma_mixlo_f16 v74, v82, v43, 0
	v_fma_mixlo_f16 v46, v82, v47, 0
	v_fma_mixlo_f16 v44, v82, v58, 0
	v_fma_mixlo_f16 v43, v82, v57, 0
	v_fma_mixlo_f16 v47, v82, v182, 0
	v_fma_mixlo_f16 v57, v82, v180, 0
	v_fma_mixlo_f16 v58, v82, v179, 0
	v_fma_mixlo_f16 v182, v82, v183, 0
	v_fma_mixlo_f16 v180, v82, v42, 0
	v_fma_mixlo_f16 v179, v82, v41, 0
	v_fma_mixlo_f16 v183, v82, v166, 0
	v_fma_mixlo_f16 v41, v82, v164, 0
	v_fma_mixlo_f16 v42, v82, v163, 0
	v_fma_mixlo_f16 v166, v82, v167, 0
	v_fma_mixlo_f16 v164, v82, v178, 0
	v_fma_mixlo_f16 v163, v82, v177, 0
	v_fma_mixlo_f16 v167, v82, v150, 0
	v_fma_mixlo_f16 v177, v82, v148, 0
	v_fma_mixlo_f16 v178, v82, v147, 0
	v_fma_mixlo_f16 v150, v82, v151, 0
	v_fma_mixlo_f16 v148, v82, v162, 0
	v_fma_mixlo_f16 v147, v82, v161, 0
	v_fma_mixlo_f16 v151, v82, v134, 0
	v_fma_mixlo_f16 v161, v82, v132, 0
	v_fma_mixlo_f16 v162, v82, v131, 0
	v_fma_mixlo_f16 v134, v82, v135, 0
	v_fma_mixlo_f16 v132, v82, v146, 0
	v_fma_mixlo_f16 v131, v82, v145, 0
	v_fma_mixlo_f16 v135, v82, v118, 0
	v_fma_mixlo_f16 v145, v82, v116, 0
	v_fma_mixlo_f16 v146, v82, v115, 0
	v_fma_mixlo_f16 v118, v82, v119, 0
	v_fma_mixlo_f16 v116, v82, v130, 0
	v_fma_mixlo_f16 v115, v82, v129, 0
	v_fma_mixlo_f16 v119, v82, v102, 0
	v_fma_mixlo_f16 v129, v82, v100, 0
	v_fma_mixlo_f16 v130, v82, v99, 0
	v_fma_mixlo_f16 v99, v82, v112, 0
	v_fma_mixlo_f16 v102, v82, v103, 0
	v_fma_mixlo_f16 v100, v82, v113, 0
	v_fma_mixlo_f16 v113, v82, v86, 0
	v_fma_mixlo_f16 v103, v82, v96, 0
	v_fma_mixlo_f16 v112, v82, v87, 0
	v_fma_mixlo_f16 v96, v82, v98, 0
	v_fma_mixlo_f16 v87, v82, v97, 0
	v_fma_mixlo_f16 v83, v82, v169, 0
	v_fma_mixlo_f16 v84, v82, v168, 0
	v_fma_mixlo_f16 v85, v82, v159, 0
	v_fma_mixlo_f16 v86, v82, v158, 0
	v_fma_mixlo_f16 v33, v82, v33, 0
	s_waitcnt lgkmcnt(0)
	v_lshrrev_b32_e32 v82, 16, v172
	v_and_b32_e32 v97, 0xffff, v172
	s_load_b32 s21, s[16:17], 0x0
	;;#ASMSTART
	v_cvt_f32_f16 v97, v97;
	;;#ASMEND
	;;#ASMSTART
	v_cvt_f32_f16 v98, v82;
	;;#ASMEND
	v_and_b32_e32 v82, 0xffff, v171
	;;#ASMSTART
	v_cvt_f32_f16 v158, v82;
	;;#ASMEND
	v_and_b32_e32 v82, 0xffff, v170
	;;#ASMSTART
	v_cvt_f32_f16 v159, v82;
	;;#ASMEND
	v_lshrrev_b32_e32 v82, 16, v173
	v_and_b32_e32 v168, 0xffff, v173
	;;#ASMSTART
	v_cvt_f32_f16 v172, v168;
	;;#ASMEND
	;;#ASMSTART
	v_cvt_f32_f16 v173, v82;
	;;#ASMEND
	v_and_b32_e32 v82, 0xffff, v114
	;;#ASMSTART
	v_cvt_f32_f16 v114, v82;
	;;#ASMEND
	v_and_b32_e32 v82, 0xffff, v113
	;;#ASMSTART
	v_cvt_f32_f16 v113, v82;
	;;#ASMEND
	v_lshrrev_b32_e32 v82, 16, v174
	v_and_b32_e32 v168, 0xffff, v174
	;; [unrolled: 16-line block ×3, first 2 shown]
	;;#ASMSTART
	v_cvt_f32_f16 v175, v168;
	;;#ASMEND
	;;#ASMSTART
	v_cvt_f32_f16 v185, v82;
	;;#ASMEND
	v_and_b32_e32 v82, 0xffff, v96
	;;#ASMSTART
	v_cvt_f32_f16 v186, v82;
	;;#ASMEND
	v_and_b32_e32 v82, 0xffff, v87
	;;#ASMSTART
	v_cvt_f32_f16 v187, v82;
	;;#ASMEND
	ds_load_b128 v[168:171], v8 offset:16
	v_and_b32_e32 v129, 0xffff, v129
	v_and_b32_e32 v102, 0xffff, v102
	v_and_b32_e32 v101, 0xffff, v101
	v_and_b32_e32 v100, 0xffff, v100
	v_and_b32_e32 v36, 0xffff, v36
	v_and_b32_e32 v85, 0xffff, v85
	v_and_b32_e32 v84, 0xffff, v84
	v_and_b32_e32 v83, 0xffff, v83
	v_and_b32_e32 v35, 0xffff, v35
	v_and_b32_e32 v33, 0xffff, v33
	v_and_b32_e32 v32, 0xffff, v32
	v_and_b32_e32 v86, 0xffff, v86
	v_and_b32_e32 v34, 0xffff, v34
	s_waitcnt lgkmcnt(0)
	v_lshrrev_b32_e32 v82, 16, v168
	v_and_b32_e32 v87, 0xffff, v168
	;;#ASMSTART
	v_cvt_f32_f16 v87, v87;
	;;#ASMEND
	;;#ASMSTART
	v_cvt_f32_f16 v96, v82;
	;;#ASMEND
	v_and_b32_e32 v82, 0xffff, v130
	;;#ASMSTART
	v_cvt_f32_f16 v82, v82;
	;;#ASMEND
	s_delay_alu instid0(VALU_DEP_1)
	v_dual_mul_f32 v82, v87, v82 :: v_dual_add_nc_u32 v31, v48, v9
	v_add_nc_u32_e32 v7, v71, v9
	;;#ASMSTART
	v_cvt_f32_f16 v129, v129;
	;;#ASMEND
	v_mul_f32_e32 v87, v96, v129
	v_lshrrev_b32_e32 v96, 16, v169
	v_fmac_f32_e32 v82, v97, v158
	v_cvt_f32_i32_e32 v7, v7
	v_and_b32_e32 v97, 0xffff, v169
	v_fmac_f32_e32 v87, v98, v159
	;;#ASMSTART
	v_cvt_f32_f16 v97, v97;
	;;#ASMEND
	;;#ASMSTART
	v_cvt_f32_f16 v96, v96;
	;;#ASMEND
	v_dual_mul_f32 v7, v65, v7 :: v_dual_and_b32 v98, 0xffff, v128
	v_and_b32_e32 v119, 0xffff, v119
	v_cmp_lt_i32_e64 s1, v31, v38
	;;#ASMSTART
	v_cvt_f32_f16 v98, v98;
	;;#ASMEND
	;;#ASMSTART
	v_cvt_f32_f16 v119, v119;
	;;#ASMEND
	s_delay_alu instid0(VALU_DEP_2) | instskip(SKIP_3) | instid1(VALU_DEP_4)
	v_dual_mul_f32 v96, v96, v119 :: v_dual_add_nc_u32 v31, s21, v69
	v_mul_f32_e32 v97, v97, v98
	v_cndmask_b32_e32 v7, 0, v7, vcc_lo
	v_lshrrev_b32_e32 v98, 16, v170
	v_dual_fmac_f32 v96, v173, v113 :: v_dual_and_b32 v113, 0xffff, v170
	;;#ASMSTART
	v_cvt_f32_f16 v113, v113;
	;;#ASMEND
	;;#ASMSTART
	v_cvt_f32_f16 v98, v98;
	;;#ASMEND
	v_fmac_f32_e32 v97, v172, v114
	;;#ASMSTART
	v_cvt_f32_f16 v102, v102;
	;;#ASMEND
	v_and_b32_e32 v99, 0xffff, v99
	;;#ASMSTART
	v_cvt_f32_f16 v114, v99;
	;;#ASMEND
	v_mul_f32_e32 v98, v98, v114
	v_mul_f32_e32 v99, v113, v102
	v_lshrrev_b32_e32 v102, 16, v171
	s_delay_alu instid0(VALU_DEP_3)
	v_dual_fmac_f32 v98, v184, v103 :: v_dual_and_b32 v113, 0xffff, v145
	v_and_b32_e32 v103, 0xffff, v171
	;;#ASMSTART
	v_cvt_f32_f16 v103, v103;
	;;#ASMEND
	;;#ASMSTART
	v_cvt_f32_f16 v102, v102;
	;;#ASMEND
	;; [unrolled: 3-line block ×4, first 2 shown]
	ds_load_b128 v[168:171], v8 offset:32
	v_dual_mul_f32 v100, v102, v100 :: v_dual_mul_f32 v101, v103, v101
	v_dual_fmac_f32 v99, v174, v112 :: v_dual_and_b32 v112, 0xffff, v146
	s_delay_alu instid0(VALU_DEP_2)
	v_dual_fmac_f32 v100, v185, v187 :: v_dual_fmac_f32 v101, v175, v186
	s_waitcnt lgkmcnt(0)
	v_lshrrev_b32_e32 v102, 16, v168
	v_and_b32_e32 v103, 0xffff, v168
	;;#ASMSTART
	v_cvt_f32_f16 v103, v103;
	;;#ASMEND
	;;#ASMSTART
	v_cvt_f32_f16 v102, v102;
	;;#ASMEND
	;;#ASMSTART
	v_cvt_f32_f16 v112, v112;
	;;#ASMEND
	;;#ASMSTART
	v_cvt_f32_f16 v113, v113;
	;;#ASMEND
	v_dual_fmac_f32 v82, v103, v112 :: v_dual_fmac_f32 v87, v102, v113
	v_lshrrev_b32_e32 v102, 16, v169
	v_and_b32_e32 v103, 0xffff, v169
	v_and_b32_e32 v112, 0xffff, v144
	v_and_b32_e32 v113, 0xffff, v135
	;;#ASMSTART
	v_cvt_f32_f16 v103, v103;
	;;#ASMEND
	;;#ASMSTART
	v_cvt_f32_f16 v102, v102;
	;;#ASMEND
	;;#ASMSTART
	v_cvt_f32_f16 v112, v112;
	;;#ASMEND
	;;#ASMSTART
	v_cvt_f32_f16 v113, v113;
	;;#ASMEND
	v_dual_fmac_f32 v97, v103, v112 :: v_dual_fmac_f32 v96, v102, v113
	v_lshrrev_b32_e32 v102, 16, v170
	v_and_b32_e32 v103, 0xffff, v170
	v_and_b32_e32 v112, 0xffff, v118
	;; [unrolled: 17-line block ×3, first 2 shown]
	v_and_b32_e32 v113, 0xffff, v115
	;;#ASMSTART
	v_cvt_f32_f16 v103, v103;
	;;#ASMEND
	;;#ASMSTART
	v_cvt_f32_f16 v102, v102;
	;;#ASMEND
	;; [unrolled: 3-line block ×4, first 2 shown]
	v_dual_fmac_f32 v101, v103, v112 :: v_dual_fmac_f32 v100, v102, v113
	ds_load_b128 v[112:115], v8 offset:48
	v_and_b32_e32 v116, 0xffff, v161
	s_waitcnt lgkmcnt(0)
	v_lshrrev_b32_e32 v102, 16, v112
	v_and_b32_e32 v103, 0xffff, v112
	v_and_b32_e32 v112, 0xffff, v162
	;;#ASMSTART
	v_cvt_f32_f16 v103, v103;
	;;#ASMEND
	;;#ASMSTART
	v_cvt_f32_f16 v102, v102;
	;;#ASMEND
	;;#ASMSTART
	v_cvt_f32_f16 v112, v112;
	;;#ASMEND
	;;#ASMSTART
	v_cvt_f32_f16 v116, v116;
	;;#ASMEND
	v_fmac_f32_e32 v82, v103, v112
	v_fmac_f32_e32 v87, v102, v116
	v_lshrrev_b32_e32 v102, 16, v113
	v_and_b32_e32 v103, 0xffff, v113
	v_and_b32_e32 v112, 0xffff, v160
	;; [unrolled: 1-line block ×3, first 2 shown]
	;;#ASMSTART
	v_cvt_f32_f16 v103, v103;
	;;#ASMEND
	;;#ASMSTART
	v_cvt_f32_f16 v102, v102;
	;;#ASMEND
	;; [unrolled: 3-line block ×4, first 2 shown]
	v_dual_fmac_f32 v97, v103, v112 :: v_dual_fmac_f32 v96, v102, v113
	v_lshrrev_b32_e32 v102, 16, v114
	v_and_b32_e32 v103, 0xffff, v114
	v_and_b32_e32 v112, 0xffff, v134
	;; [unrolled: 1-line block ×3, first 2 shown]
	;;#ASMSTART
	v_cvt_f32_f16 v103, v103;
	;;#ASMEND
	;;#ASMSTART
	v_cvt_f32_f16 v102, v102;
	;;#ASMEND
	;; [unrolled: 3-line block ×4, first 2 shown]
	v_dual_fmac_f32 v99, v103, v112 :: v_dual_fmac_f32 v98, v102, v113
	v_lshrrev_b32_e32 v102, 16, v115
	v_and_b32_e32 v103, 0xffff, v115
	v_and_b32_e32 v112, 0xffff, v132
	;; [unrolled: 1-line block ×3, first 2 shown]
	;;#ASMSTART
	v_cvt_f32_f16 v103, v103;
	;;#ASMEND
	;;#ASMSTART
	v_cvt_f32_f16 v102, v102;
	;;#ASMEND
	;; [unrolled: 3-line block ×4, first 2 shown]
	v_dual_fmac_f32 v101, v103, v112 :: v_dual_and_b32 v116, 0xffff, v177
	v_fmac_f32_e32 v100, v102, v113
	ds_load_b128 v[112:115], v8 offset:64
	s_waitcnt lgkmcnt(0)
	v_lshrrev_b32_e32 v102, 16, v112
	v_and_b32_e32 v103, 0xffff, v112
	v_and_b32_e32 v112, 0xffff, v178
	;;#ASMSTART
	v_cvt_f32_f16 v103, v103;
	;;#ASMEND
	;;#ASMSTART
	v_cvt_f32_f16 v102, v102;
	;;#ASMEND
	;; [unrolled: 3-line block ×4, first 2 shown]
	v_fmac_f32_e32 v82, v103, v112
	v_fmac_f32_e32 v87, v102, v116
	v_lshrrev_b32_e32 v102, 16, v113
	v_and_b32_e32 v103, 0xffff, v113
	v_and_b32_e32 v112, 0xffff, v176
	;; [unrolled: 1-line block ×3, first 2 shown]
	;;#ASMSTART
	v_cvt_f32_f16 v103, v103;
	;;#ASMEND
	;;#ASMSTART
	v_cvt_f32_f16 v102, v102;
	;;#ASMEND
	;; [unrolled: 3-line block ×4, first 2 shown]
	v_dual_fmac_f32 v97, v103, v112 :: v_dual_and_b32 v112, 0xffff, v150
	v_fmac_f32_e32 v96, v102, v113
	v_lshrrev_b32_e32 v102, 16, v114
	v_and_b32_e32 v103, 0xffff, v114
	v_and_b32_e32 v113, 0xffff, v149
	;;#ASMSTART
	v_cvt_f32_f16 v103, v103;
	;;#ASMEND
	;;#ASMSTART
	v_cvt_f32_f16 v102, v102;
	;;#ASMEND
	;; [unrolled: 3-line block ×4, first 2 shown]
	v_dual_fmac_f32 v99, v103, v112 :: v_dual_fmac_f32 v98, v102, v113
	v_lshrrev_b32_e32 v102, 16, v115
	v_and_b32_e32 v103, 0xffff, v115
	v_and_b32_e32 v112, 0xffff, v148
	;; [unrolled: 1-line block ×3, first 2 shown]
	;;#ASMSTART
	v_cvt_f32_f16 v103, v103;
	;;#ASMEND
	;;#ASMSTART
	v_cvt_f32_f16 v102, v102;
	;;#ASMEND
	;; [unrolled: 3-line block ×4, first 2 shown]
	v_dual_fmac_f32 v101, v103, v112 :: v_dual_and_b32 v116, 0xffff, v41
	v_fmac_f32_e32 v100, v102, v113
	ds_load_b128 v[112:115], v8 offset:80
	s_waitcnt lgkmcnt(0)
	v_lshrrev_b32_e32 v102, 16, v112
	v_and_b32_e32 v103, 0xffff, v112
	v_and_b32_e32 v112, 0xffff, v42
	;;#ASMSTART
	v_cvt_f32_f16 v103, v103;
	;;#ASMEND
	;;#ASMSTART
	v_cvt_f32_f16 v102, v102;
	;;#ASMEND
	;; [unrolled: 3-line block ×4, first 2 shown]
	v_fmac_f32_e32 v82, v103, v112
	v_fmac_f32_e32 v87, v102, v116
	v_lshrrev_b32_e32 v102, 16, v113
	v_and_b32_e32 v103, 0xffff, v113
	v_and_b32_e32 v112, 0xffff, v40
	;; [unrolled: 1-line block ×3, first 2 shown]
	;;#ASMSTART
	v_cvt_f32_f16 v103, v103;
	;;#ASMEND
	;;#ASMSTART
	v_cvt_f32_f16 v102, v102;
	;;#ASMEND
	;; [unrolled: 3-line block ×4, first 2 shown]
	v_dual_fmac_f32 v97, v103, v112 :: v_dual_and_b32 v112, 0xffff, v166
	v_fmac_f32_e32 v96, v102, v113
	v_lshrrev_b32_e32 v102, 16, v114
	v_and_b32_e32 v103, 0xffff, v114
	v_and_b32_e32 v113, 0xffff, v165
	;;#ASMSTART
	v_cvt_f32_f16 v103, v103;
	;;#ASMEND
	;;#ASMSTART
	v_cvt_f32_f16 v102, v102;
	;;#ASMEND
	;; [unrolled: 3-line block ×4, first 2 shown]
	v_dual_fmac_f32 v99, v103, v112 :: v_dual_fmac_f32 v98, v102, v113
	v_lshrrev_b32_e32 v102, 16, v115
	v_and_b32_e32 v103, 0xffff, v115
	v_and_b32_e32 v112, 0xffff, v164
	;; [unrolled: 1-line block ×3, first 2 shown]
	;;#ASMSTART
	v_cvt_f32_f16 v103, v103;
	;;#ASMEND
	;;#ASMSTART
	v_cvt_f32_f16 v102, v102;
	;;#ASMEND
	;;#ASMSTART
	v_cvt_f32_f16 v112, v112;
	;;#ASMEND
	;;#ASMSTART
	v_cvt_f32_f16 v113, v113;
	;;#ASMEND
	v_dual_fmac_f32 v101, v103, v112 :: v_dual_and_b32 v116, 0xffff, v57
	v_fmac_f32_e32 v100, v102, v113
	ds_load_b128 v[112:115], v8 offset:96
	s_waitcnt lgkmcnt(0)
	v_lshrrev_b32_e32 v102, 16, v112
	v_and_b32_e32 v103, 0xffff, v112
	v_and_b32_e32 v112, 0xffff, v58
	;;#ASMSTART
	v_cvt_f32_f16 v103, v103;
	;;#ASMEND
	;;#ASMSTART
	v_cvt_f32_f16 v102, v102;
	;;#ASMEND
	;; [unrolled: 3-line block ×4, first 2 shown]
	v_fmac_f32_e32 v82, v103, v112
	v_fmac_f32_e32 v87, v102, v116
	v_lshrrev_b32_e32 v102, 16, v113
	v_and_b32_e32 v103, 0xffff, v113
	v_and_b32_e32 v112, 0xffff, v56
	;; [unrolled: 1-line block ×3, first 2 shown]
	;;#ASMSTART
	v_cvt_f32_f16 v103, v103;
	;;#ASMEND
	;;#ASMSTART
	v_cvt_f32_f16 v102, v102;
	;;#ASMEND
	;; [unrolled: 3-line block ×4, first 2 shown]
	v_dual_fmac_f32 v97, v103, v112 :: v_dual_and_b32 v112, 0xffff, v182
	v_fmac_f32_e32 v96, v102, v113
	v_lshrrev_b32_e32 v102, 16, v114
	v_and_b32_e32 v103, 0xffff, v114
	v_and_b32_e32 v113, 0xffff, v181
	;;#ASMSTART
	v_cvt_f32_f16 v103, v103;
	;;#ASMEND
	;;#ASMSTART
	v_cvt_f32_f16 v102, v102;
	;;#ASMEND
	;; [unrolled: 3-line block ×4, first 2 shown]
	v_dual_fmac_f32 v99, v103, v112 :: v_dual_fmac_f32 v98, v102, v113
	v_lshrrev_b32_e32 v102, 16, v115
	v_and_b32_e32 v103, 0xffff, v115
	v_and_b32_e32 v112, 0xffff, v180
	;; [unrolled: 1-line block ×3, first 2 shown]
	;;#ASMSTART
	v_cvt_f32_f16 v103, v103;
	;;#ASMEND
	;;#ASMSTART
	v_cvt_f32_f16 v102, v102;
	;;#ASMEND
	;; [unrolled: 3-line block ×4, first 2 shown]
	v_dual_fmac_f32 v101, v103, v112 :: v_dual_and_b32 v116, 0xffff, v73
	v_fmac_f32_e32 v100, v102, v113
	ds_load_b128 v[112:115], v8 offset:112
	s_waitcnt lgkmcnt(0)
	v_lshrrev_b32_e32 v102, 16, v112
	v_and_b32_e32 v103, 0xffff, v112
	v_and_b32_e32 v112, 0xffff, v74
	;;#ASMSTART
	v_cvt_f32_f16 v103, v103;
	;;#ASMEND
	;;#ASMSTART
	v_cvt_f32_f16 v102, v102;
	;;#ASMEND
	;; [unrolled: 3-line block ×4, first 2 shown]
	v_fmac_f32_e32 v82, v103, v112
	v_fmac_f32_e32 v87, v102, v116
	v_lshrrev_b32_e32 v102, 16, v113
	v_and_b32_e32 v103, 0xffff, v113
	v_and_b32_e32 v112, 0xffff, v72
	;; [unrolled: 1-line block ×3, first 2 shown]
	;;#ASMSTART
	v_cvt_f32_f16 v103, v103;
	;;#ASMEND
	;;#ASMSTART
	v_cvt_f32_f16 v102, v102;
	;;#ASMEND
	;; [unrolled: 3-line block ×4, first 2 shown]
	v_dual_fmac_f32 v97, v103, v112 :: v_dual_fmac_f32 v96, v102, v113
	v_lshrrev_b32_e32 v102, 16, v114
	v_and_b32_e32 v103, 0xffff, v114
	v_and_b32_e32 v112, 0xffff, v46
	v_and_b32_e32 v113, 0xffff, v45
	;;#ASMSTART
	v_cvt_f32_f16 v103, v103;
	;;#ASMEND
	;;#ASMSTART
	v_cvt_f32_f16 v102, v102;
	;;#ASMEND
	;; [unrolled: 3-line block ×4, first 2 shown]
	v_dual_fmac_f32 v99, v103, v112 :: v_dual_and_b32 v116, 0xffff, v110
	v_fmac_f32_e32 v98, v102, v113
	v_lshrrev_b32_e32 v102, 16, v115
	v_and_b32_e32 v103, 0xffff, v115
	v_and_b32_e32 v112, 0xffff, v44
	;; [unrolled: 1-line block ×3, first 2 shown]
	;;#ASMSTART
	v_cvt_f32_f16 v103, v103;
	;;#ASMEND
	;;#ASMSTART
	v_cvt_f32_f16 v102, v102;
	;;#ASMEND
	;; [unrolled: 3-line block ×4, first 2 shown]
	v_dual_fmac_f32 v101, v103, v112 :: v_dual_fmac_f32 v100, v102, v113
	ds_load_b128 v[112:115], v8 offset:128
	s_waitcnt lgkmcnt(0)
	v_lshrrev_b32_e32 v102, 16, v112
	v_and_b32_e32 v103, 0xffff, v112
	v_and_b32_e32 v112, 0xffff, v111
	;;#ASMSTART
	v_cvt_f32_f16 v103, v103;
	;;#ASMEND
	;;#ASMSTART
	v_cvt_f32_f16 v102, v102;
	;;#ASMEND
	;; [unrolled: 3-line block ×4, first 2 shown]
	v_fmac_f32_e32 v82, v103, v112
	v_fmac_f32_e32 v87, v102, v116
	v_lshrrev_b32_e32 v102, 16, v113
	v_and_b32_e32 v103, 0xffff, v113
	v_and_b32_e32 v112, 0xffff, v104
	v_and_b32_e32 v113, 0xffff, v94
	;;#ASMSTART
	v_cvt_f32_f16 v103, v103;
	;;#ASMEND
	;;#ASMSTART
	v_cvt_f32_f16 v102, v102;
	;;#ASMEND
	;;#ASMSTART
	v_cvt_f32_f16 v112, v112;
	;;#ASMEND
	;;#ASMSTART
	v_cvt_f32_f16 v113, v113;
	;;#ASMEND
	v_dual_fmac_f32 v97, v103, v112 :: v_dual_fmac_f32 v96, v102, v113
	v_lshrrev_b32_e32 v102, 16, v114
	v_and_b32_e32 v103, 0xffff, v114
	v_and_b32_e32 v112, 0xffff, v62
	v_and_b32_e32 v113, 0xffff, v61
	;;#ASMSTART
	v_cvt_f32_f16 v103, v103;
	;;#ASMEND
	;;#ASMSTART
	v_cvt_f32_f16 v102, v102;
	;;#ASMEND
	;;#ASMSTART
	v_cvt_f32_f16 v112, v112;
	;;#ASMEND
	;;#ASMSTART
	v_cvt_f32_f16 v113, v113;
	;;#ASMEND
	v_dual_fmac_f32 v99, v103, v112 :: v_dual_fmac_f32 v98, v102, v113
	;; [unrolled: 17-line block ×3, first 2 shown]
	ds_load_b128 v[112:115], v8 offset:144
	v_and_b32_e32 v116, 0xffff, v156
	s_waitcnt lgkmcnt(0)
	v_lshrrev_b32_e32 v102, 16, v112
	v_and_b32_e32 v103, 0xffff, v112
	v_and_b32_e32 v112, 0xffff, v157
	;;#ASMSTART
	v_cvt_f32_f16 v103, v103;
	;;#ASMEND
	;;#ASMSTART
	v_cvt_f32_f16 v102, v102;
	;;#ASMEND
	;; [unrolled: 3-line block ×4, first 2 shown]
	v_fmac_f32_e32 v82, v103, v112
	v_fmac_f32_e32 v87, v102, v116
	v_lshrrev_b32_e32 v102, 16, v113
	v_and_b32_e32 v103, 0xffff, v113
	v_and_b32_e32 v112, 0xffff, v153
	;; [unrolled: 1-line block ×3, first 2 shown]
	;;#ASMSTART
	v_cvt_f32_f16 v103, v103;
	;;#ASMEND
	;;#ASMSTART
	v_cvt_f32_f16 v102, v102;
	;;#ASMEND
	;;#ASMSTART
	v_cvt_f32_f16 v112, v112;
	;;#ASMEND
	;;#ASMSTART
	v_cvt_f32_f16 v113, v113;
	;;#ASMEND
	v_dual_fmac_f32 v97, v103, v112 :: v_dual_and_b32 v116, 0xffff, v154
	v_fmac_f32_e32 v96, v102, v113
	v_lshrrev_b32_e32 v102, 16, v114
	v_and_b32_e32 v103, 0xffff, v114
	v_and_b32_e32 v112, 0xffff, v79
	;; [unrolled: 1-line block ×3, first 2 shown]
	;;#ASMSTART
	v_cvt_f32_f16 v103, v103;
	;;#ASMEND
	;;#ASMSTART
	v_cvt_f32_f16 v102, v102;
	;;#ASMEND
	;;#ASMSTART
	v_cvt_f32_f16 v112, v112;
	;;#ASMEND
	;;#ASMSTART
	v_cvt_f32_f16 v113, v113;
	;;#ASMEND
	v_dual_fmac_f32 v99, v103, v112 :: v_dual_fmac_f32 v98, v102, v113
	v_lshrrev_b32_e32 v102, 16, v115
	v_and_b32_e32 v103, 0xffff, v115
	v_and_b32_e32 v112, 0xffff, v76
	;; [unrolled: 1-line block ×3, first 2 shown]
	;;#ASMSTART
	v_cvt_f32_f16 v103, v103;
	;;#ASMEND
	;;#ASMSTART
	v_cvt_f32_f16 v102, v102;
	;;#ASMEND
	;; [unrolled: 3-line block ×4, first 2 shown]
	v_dual_fmac_f32 v100, v102, v113 :: v_dual_fmac_f32 v101, v103, v112
	ds_load_b128 v[112:115], v8 offset:160
	s_waitcnt lgkmcnt(0)
	v_lshrrev_b32_e32 v102, 16, v112
	v_and_b32_e32 v103, 0xffff, v112
	v_and_b32_e32 v112, 0xffff, v155
	;;#ASMSTART
	v_cvt_f32_f16 v103, v103;
	;;#ASMEND
	;;#ASMSTART
	v_cvt_f32_f16 v102, v102;
	;;#ASMEND
	;; [unrolled: 3-line block ×4, first 2 shown]
	v_fmac_f32_e32 v82, v103, v112
	v_fmac_f32_e32 v87, v102, v116
	v_lshrrev_b32_e32 v102, 16, v113
	v_and_b32_e32 v103, 0xffff, v113
	v_and_b32_e32 v112, 0xffff, v143
	;; [unrolled: 1-line block ×3, first 2 shown]
	;;#ASMSTART
	v_cvt_f32_f16 v103, v103;
	;;#ASMEND
	;;#ASMSTART
	v_cvt_f32_f16 v102, v102;
	;;#ASMEND
	;;#ASMSTART
	v_cvt_f32_f16 v112, v112;
	;;#ASMEND
	;;#ASMSTART
	v_cvt_f32_f16 v113, v113;
	;;#ASMEND
	v_dual_fmac_f32 v97, v103, v112 :: v_dual_fmac_f32 v96, v102, v113
	v_lshrrev_b32_e32 v102, 16, v114
	v_and_b32_e32 v103, 0xffff, v114
	v_and_b32_e32 v112, 0xffff, v141
	;; [unrolled: 1-line block ×3, first 2 shown]
	;;#ASMSTART
	v_cvt_f32_f16 v103, v103;
	;;#ASMEND
	;;#ASMSTART
	v_cvt_f32_f16 v102, v102;
	;;#ASMEND
	;; [unrolled: 3-line block ×4, first 2 shown]
	v_dual_fmac_f32 v99, v103, v112 :: v_dual_and_b32 v116, 0xffff, v138
	v_fmac_f32_e32 v98, v102, v113
	v_lshrrev_b32_e32 v102, 16, v115
	v_and_b32_e32 v103, 0xffff, v115
	v_and_b32_e32 v112, 0xffff, v125
	v_and_b32_e32 v113, 0xffff, v124
	;;#ASMSTART
	v_cvt_f32_f16 v103, v103;
	;;#ASMEND
	;;#ASMSTART
	v_cvt_f32_f16 v102, v102;
	;;#ASMEND
	;; [unrolled: 3-line block ×4, first 2 shown]
	v_dual_fmac_f32 v101, v103, v112 :: v_dual_fmac_f32 v100, v102, v113
	ds_load_b128 v[112:115], v8 offset:176
	s_waitcnt lgkmcnt(0)
	v_lshrrev_b32_e32 v102, 16, v112
	v_and_b32_e32 v103, 0xffff, v112
	v_and_b32_e32 v112, 0xffff, v139
	;;#ASMSTART
	v_cvt_f32_f16 v103, v103;
	;;#ASMEND
	;;#ASMSTART
	v_cvt_f32_f16 v102, v102;
	;;#ASMEND
	;; [unrolled: 3-line block ×4, first 2 shown]
	v_fmac_f32_e32 v82, v103, v112
	v_fmac_f32_e32 v87, v102, v116
	v_lshrrev_b32_e32 v102, 16, v113
	v_and_b32_e32 v103, 0xffff, v113
	v_and_b32_e32 v112, 0xffff, v137
	v_and_b32_e32 v113, 0xffff, v136
	;;#ASMSTART
	v_cvt_f32_f16 v103, v103;
	;;#ASMEND
	;;#ASMSTART
	v_cvt_f32_f16 v102, v102;
	;;#ASMEND
	;;#ASMSTART
	v_cvt_f32_f16 v112, v112;
	;;#ASMEND
	;;#ASMSTART
	v_cvt_f32_f16 v113, v113;
	;;#ASMEND
	v_dual_fmac_f32 v97, v103, v112 :: v_dual_fmac_f32 v96, v102, v113
	v_lshrrev_b32_e32 v102, 16, v114
	v_and_b32_e32 v103, 0xffff, v114
	v_and_b32_e32 v112, 0xffff, v127
	v_and_b32_e32 v113, 0xffff, v126
	;;#ASMSTART
	v_cvt_f32_f16 v103, v103;
	;;#ASMEND
	;;#ASMSTART
	v_cvt_f32_f16 v102, v102;
	;;#ASMEND
	;;#ASMSTART
	v_cvt_f32_f16 v112, v112;
	;;#ASMEND
	;;#ASMSTART
	v_cvt_f32_f16 v113, v113;
	;;#ASMEND
	v_dual_fmac_f32 v99, v103, v112 :: v_dual_fmac_f32 v98, v102, v113
	;; [unrolled: 17-line block ×3, first 2 shown]
	ds_load_b128 v[112:115], v8 offset:192
	v_and_b32_e32 v116, 0xffff, v120
	s_waitcnt lgkmcnt(0)
	v_lshrrev_b32_e32 v102, 16, v112
	v_and_b32_e32 v103, 0xffff, v112
	v_and_b32_e32 v112, 0xffff, v121
	;;#ASMSTART
	v_cvt_f32_f16 v103, v103;
	;;#ASMEND
	;;#ASMSTART
	v_cvt_f32_f16 v102, v102;
	;;#ASMEND
	;; [unrolled: 3-line block ×4, first 2 shown]
	v_fmac_f32_e32 v82, v103, v112
	v_fmac_f32_e32 v87, v102, v116
	v_lshrrev_b32_e32 v102, 16, v113
	v_and_b32_e32 v103, 0xffff, v113
	v_and_b32_e32 v112, 0xffff, v109
	v_and_b32_e32 v113, 0xffff, v108
	;;#ASMSTART
	v_cvt_f32_f16 v103, v103;
	;;#ASMEND
	;;#ASMSTART
	v_cvt_f32_f16 v102, v102;
	;;#ASMEND
	;;#ASMSTART
	v_cvt_f32_f16 v112, v112;
	;;#ASMEND
	;;#ASMSTART
	v_cvt_f32_f16 v113, v113;
	;;#ASMEND
	v_dual_fmac_f32 v97, v103, v112 :: v_dual_fmac_f32 v96, v102, v113
	v_lshrrev_b32_e32 v102, 16, v114
	v_and_b32_e32 v103, 0xffff, v114
	v_and_b32_e32 v112, 0xffff, v107
	v_and_b32_e32 v113, 0xffff, v106
	;;#ASMSTART
	v_cvt_f32_f16 v103, v103;
	;;#ASMEND
	;;#ASMSTART
	v_cvt_f32_f16 v102, v102;
	;;#ASMEND
	;;#ASMSTART
	v_cvt_f32_f16 v112, v112;
	;;#ASMEND
	;;#ASMSTART
	v_cvt_f32_f16 v113, v113;
	;;#ASMEND
	v_dual_fmac_f32 v99, v103, v112 :: v_dual_fmac_f32 v98, v102, v113
	;; [unrolled: 17-line block ×3, first 2 shown]
	ds_load_b128 v[112:115], v8 offset:208
	v_and_b32_e32 v116, 0xffff, v92
	s_waitcnt lgkmcnt(0)
	v_lshrrev_b32_e32 v102, 16, v112
	v_and_b32_e32 v103, 0xffff, v112
	v_and_b32_e32 v112, 0xffff, v93
	;;#ASMSTART
	v_cvt_f32_f16 v103, v103;
	;;#ASMEND
	;;#ASMSTART
	v_cvt_f32_f16 v102, v102;
	;;#ASMEND
	;; [unrolled: 3-line block ×4, first 2 shown]
	v_fmac_f32_e32 v82, v103, v112
	v_dual_fmac_f32 v87, v102, v116 :: v_dual_and_b32 v112, 0xffff, v91
	v_lshrrev_b32_e32 v102, 16, v113
	v_and_b32_e32 v103, 0xffff, v113
	;;#ASMSTART
	v_cvt_f32_f16 v103, v103;
	;;#ASMEND
	;;#ASMSTART
	v_cvt_f32_f16 v102, v102;
	;;#ASMEND
	;;#ASMSTART
	v_cvt_f32_f16 v112, v112;
	;;#ASMEND
	v_and_b32_e32 v113, 0xffff, v90
	;;#ASMSTART
	v_cvt_f32_f16 v113, v113;
	;;#ASMEND
	s_delay_alu instid0(VALU_DEP_1)
	v_dual_fmac_f32 v97, v103, v112 :: v_dual_fmac_f32 v96, v102, v113
	v_lshrrev_b32_e32 v102, 16, v114
	v_and_b32_e32 v103, 0xffff, v114
	v_and_b32_e32 v112, 0xffff, v89
	;;#ASMSTART
	v_cvt_f32_f16 v103, v103;
	;;#ASMEND
	;;#ASMSTART
	v_cvt_f32_f16 v102, v102;
	;;#ASMEND
	;; [unrolled: 3-line block ×3, first 2 shown]
	v_and_b32_e32 v113, 0xffff, v88
	;;#ASMSTART
	v_cvt_f32_f16 v113, v113;
	;;#ASMEND
	s_delay_alu instid0(VALU_DEP_1)
	v_dual_fmac_f32 v99, v103, v112 :: v_dual_fmac_f32 v98, v102, v113
	v_lshrrev_b32_e32 v102, 16, v115
	v_and_b32_e32 v103, 0xffff, v115
	v_and_b32_e32 v112, 0xffff, v77
	;;#ASMSTART
	v_cvt_f32_f16 v103, v103;
	;;#ASMEND
	;;#ASMSTART
	v_cvt_f32_f16 v102, v102;
	;;#ASMEND
	;; [unrolled: 3-line block ×4, first 2 shown]
	v_fmac_f32_e32 v101, v103, v112
	ds_load_b128 v[112:115], v8 offset:224
	v_fmac_f32_e32 v100, v102, v36
	s_waitcnt lgkmcnt(0)
	v_lshrrev_b32_e32 v36, 16, v112
	v_and_b32_e32 v102, 0xffff, v112
	;;#ASMSTART
	v_cvt_f32_f16 v102, v102;
	;;#ASMEND
	;;#ASMSTART
	v_cvt_f32_f16 v36, v36;
	;;#ASMEND
	;; [unrolled: 3-line block ×4, first 2 shown]
	v_fmac_f32_e32 v87, v36, v85
	v_lshrrev_b32_e32 v36, 16, v113
	v_dual_fmac_f32 v82, v102, v86 :: v_dual_and_b32 v85, 0xffff, v113
	;;#ASMSTART
	v_cvt_f32_f16 v85, v85;
	;;#ASMEND
	;;#ASMSTART
	v_cvt_f32_f16 v36, v36;
	;;#ASMEND
	;; [unrolled: 3-line block ×4, first 2 shown]
	v_fmac_f32_e32 v96, v36, v83
	v_lshrrev_b32_e32 v36, 16, v114
	v_and_b32_e32 v83, 0xffff, v114
	;;#ASMSTART
	v_cvt_f32_f16 v83, v83;
	;;#ASMEND
	;;#ASMSTART
	v_cvt_f32_f16 v36, v36;
	;;#ASMEND
	;; [unrolled: 3-line block ×4, first 2 shown]
	v_dual_fmac_f32 v99, v83, v35 :: v_dual_fmac_f32 v98, v36, v34
	v_lshrrev_b32_e32 v34, 16, v115
	v_and_b32_e32 v35, 0xffff, v115
	;;#ASMSTART
	v_cvt_f32_f16 v35, v35;
	;;#ASMEND
	;;#ASMSTART
	v_cvt_f32_f16 v34, v34;
	;;#ASMEND
	;; [unrolled: 3-line block ×4, first 2 shown]
	v_fmac_f32_e32 v97, v85, v84
	v_fmac_f32_e32 v100, v34, v32
	v_dual_add_f32 v32, v82, v87 :: v_dual_fmac_f32 v101, v35, v33
	s_delay_alu instid0(VALU_DEP_1) | instskip(NEXT) | instid1(VALU_DEP_1)
	v_add_f32_e32 v32, v32, v97
	v_add_f32_e32 v32, v96, v32
	s_delay_alu instid0(VALU_DEP_1) | instskip(NEXT) | instid1(VALU_DEP_1)
	v_add_f32_e32 v32, v32, v99
	v_add_f32_e32 v32, v98, v32
	;; [unrolled: 3-line block ×3, first 2 shown]
	s_delay_alu instid0(VALU_DEP_1) | instskip(NEXT) | instid1(VALU_DEP_1)
	v_fmac_f32_e32 v7, v32, v13
	v_cndmask_b32_e64 v32, 0, v7, s1
	ds_store_b32 v31, v32
	v_max_f32_e32 v31, v67, v67
	s_delay_alu instid0(VALU_DEP_1) | instskip(NEXT) | instid1(VALU_DEP_1)
	v_max_f32_e32 v7, v31, v7
	v_cndmask_b32_e64 v67, v67, v7, s1
.LBB350_15:                             ;   in Loop: Header=BB350_16 Depth=1
	s_or_b32 exec_lo, exec_lo, s2
	v_add_nc_u32_e32 v81, 4, v81
	v_add_co_u32 v28, s2, v28, 16
	s_delay_alu instid0(VALU_DEP_1) | instskip(NEXT) | instid1(VALU_DEP_3)
	v_add_co_ci_u32_e64 v29, s2, 0, v29, s2
	v_cmp_ge_i32_e64 s1, v81, v52
	v_add_nc_u32_e32 v9, 0x80, v9
	v_add_nc_u32_e32 v69, 0x200, v69
	s_delay_alu instid0(VALU_DEP_3) | instskip(NEXT) | instid1(SALU_CYCLE_1)
	s_or_b32 s20, s1, s20
	s_and_not1_b32 exec_lo, exec_lo, s20
	s_cbranch_execz .LBB350_976
.LBB350_16:                             ; =>This Inner Loop Header: Depth=1
	v_sub_nc_u32_e32 v7, 0, v9
	s_delay_alu instid0(VALU_DEP_1) | instskip(NEXT) | instid1(VALU_DEP_1)
	v_max_i32_e32 v7, v9, v7
	v_mul_hi_u32 v31, v7, v50
	s_delay_alu instid0(VALU_DEP_1) | instskip(NEXT) | instid1(VALU_DEP_1)
	v_mul_lo_u32 v32, v31, v49
	v_sub_nc_u32_e32 v7, v7, v32
	v_add_nc_u32_e32 v32, 1, v31
	s_delay_alu instid0(VALU_DEP_2) | instskip(SKIP_1) | instid1(VALU_DEP_1)
	v_sub_nc_u32_e32 v33, v7, v49
	v_cmp_ge_u32_e64 s1, v7, v49
	v_cndmask_b32_e64 v31, v31, v32, s1
	s_delay_alu instid0(VALU_DEP_3) | instskip(SKIP_1) | instid1(VALU_DEP_3)
	v_cndmask_b32_e64 v7, v7, v33, s1
	v_ashrrev_i32_e32 v32, 31, v9
	v_add_nc_u32_e32 v33, 1, v31
	s_delay_alu instid0(VALU_DEP_3) | instskip(NEXT) | instid1(VALU_DEP_3)
	v_cmp_ge_u32_e64 s1, v7, v49
	v_xor_b32_e32 v32, v32, v51
	s_delay_alu instid0(VALU_DEP_2) | instskip(NEXT) | instid1(VALU_DEP_1)
	v_cndmask_b32_e64 v7, v31, v33, s1
	v_xor_b32_e32 v7, v7, v32
	s_delay_alu instid0(VALU_DEP_1) | instskip(NEXT) | instid1(VALU_DEP_1)
	v_sub_nc_u32_e32 v7, v7, v32
	v_add_nc_u32_e32 v31, v7, v6
	v_cmp_le_i32_e64 s2, v7, v53
	s_delay_alu instid0(VALU_DEP_2) | instskip(NEXT) | instid1(VALU_DEP_1)
	v_sub_nc_u32_e32 v32, 0, v31
	v_max_i32_e32 v32, v31, v32
	v_ashrrev_i32_e32 v31, 31, v31
	s_delay_alu instid0(VALU_DEP_2) | instskip(NEXT) | instid1(VALU_DEP_1)
	v_mul_hi_u32 v33, v32, v80
	v_mul_lo_u32 v33, v33, v68
	s_delay_alu instid0(VALU_DEP_1) | instskip(NEXT) | instid1(VALU_DEP_1)
	v_sub_nc_u32_e32 v32, v32, v33
	v_sub_nc_u32_e32 v33, v32, v68
	v_cmp_ge_u32_e64 s1, v32, v68
	s_delay_alu instid0(VALU_DEP_1) | instskip(NEXT) | instid1(VALU_DEP_1)
	v_cndmask_b32_e64 v32, v32, v33, s1
	v_sub_nc_u32_e32 v33, v32, v68
	v_cmp_ge_u32_e64 s1, v32, v68
	s_delay_alu instid0(VALU_DEP_1) | instskip(NEXT) | instid1(VALU_DEP_1)
	v_cndmask_b32_e64 v32, v32, v33, s1
	v_xor_b32_e32 v32, v32, v31
	s_delay_alu instid0(VALU_DEP_1) | instskip(NEXT) | instid1(VALU_DEP_1)
	v_sub_nc_u32_e32 v31, v32, v31
	v_cmp_ne_u32_e64 s1, 0, v31
	s_delay_alu instid0(VALU_DEP_1) | instskip(NEXT) | instid1(SALU_CYCLE_1)
	s_and_b32 s1, s1, s2
	s_and_saveexec_b32 s2, s1
	s_delay_alu instid0(SALU_CYCLE_1)
	s_xor_b32 s1, exec_lo, s2
	s_cbranch_execz .LBB350_18
; %bb.17:                               ;   in Loop: Header=BB350_16 Depth=1
	s_waitcnt lgkmcnt(0)
	v_add_nc_u32_e32 v7, s7, v69
	ds_store_b32 v7, v70
.LBB350_18:                             ;   in Loop: Header=BB350_16 Depth=1
	s_and_not1_saveexec_b32 s2, s1
	s_cbranch_execz .LBB350_15
; %bb.19:                               ;   in Loop: Header=BB350_16 Depth=1
	flat_load_b32 v7, v[28:29]
	v_mov_b32_e32 v83, 0
	s_mov_b32 s21, exec_lo
	v_mov_b32_e32 v84, 0
	s_waitcnt vmcnt(0) lgkmcnt(0)
	v_mad_i64_i32 v[31:32], null, v7, v22, v[20:21]
	flat_load_b64 v[33:34], v[31:32]
	flat_load_b32 v82, v[24:25]
	s_waitcnt vmcnt(1) lgkmcnt(1)
	v_and_b32_e32 v7, 0xff, v33
	s_delay_alu instid0(VALU_DEP_1)
	v_cmpx_ne_u16_e32 0, v7
	s_cbranch_execz .LBB350_27
; %bb.20:                               ;   in Loop: Header=BB350_16 Depth=1
	v_bfrev_b32_e32 v83, 1
	s_mov_b32 s22, exec_lo
	v_cmpx_ne_u16_e32 0x80, v7
	s_cbranch_execz .LBB350_26
; %bb.21:                               ;   in Loop: Header=BB350_16 Depth=1
	v_and_b32_e32 v35, 0x7f, v33
	v_mov_b32_e32 v83, 0x7fc02000
	s_mov_b32 s23, exec_lo
	s_delay_alu instid0(VALU_DEP_2)
	v_cmpx_ne_u32_e32 0x7f, v35
	s_cbranch_execz .LBB350_25
; %bb.22:                               ;   in Loop: Header=BB350_16 Depth=1
	v_lshrrev_b32_e32 v7, 3, v35
	v_cmp_gt_u32_e64 s1, 8, v35
	v_dual_mov_b32 v36, v34 :: v_dual_mov_b32 v35, v33
	s_delay_alu instid0(VALU_DEP_2)
	s_and_saveexec_b32 s24, s1
; %bb.23:                               ;   in Loop: Header=BB350_16 Depth=1
	v_and_b32_e32 v7, 7, v33
	s_delay_alu instid0(VALU_DEP_1) | instskip(NEXT) | instid1(VALU_DEP_1)
	v_clz_i32_u32_e32 v7, v7
	v_min_u32_e32 v7, 32, v7
	s_delay_alu instid0(VALU_DEP_1) | instskip(SKIP_1) | instid1(VALU_DEP_2)
	v_subrev_nc_u32_e32 v35, 28, v7
	v_sub_nc_u32_e32 v7, 29, v7
	v_lshlrev_b64 v[35:36], v35, v[33:34]
; %bb.24:                               ;   in Loop: Header=BB350_16 Depth=1
	s_or_b32 exec_lo, exec_lo, s24
	v_lshlrev_b32_e32 v36, 8, v33
	s_delay_alu instid0(VALU_DEP_3) | instskip(NEXT) | instid1(VALU_DEP_3)
	v_lshl_add_u32 v7, v7, 10, 0x2000
	v_lshlrev_b32_e32 v35, 7, v35
	s_delay_alu instid0(VALU_DEP_2) | instskip(NEXT) | instid1(VALU_DEP_1)
	v_and_or_b32 v7, 0x8000, v36, v7
	v_and_or_b32 v7, 0x380, v35, v7
	s_delay_alu instid0(VALU_DEP_1)
	v_cvt_f32_f16_e32 v83, v7
.LBB350_25:                             ;   in Loop: Header=BB350_16 Depth=1
	s_or_b32 exec_lo, exec_lo, s23
.LBB350_26:                             ;   in Loop: Header=BB350_16 Depth=1
	s_delay_alu instid0(SALU_CYCLE_1)
	s_or_b32 exec_lo, exec_lo, s22
.LBB350_27:                             ;   in Loop: Header=BB350_16 Depth=1
	s_delay_alu instid0(SALU_CYCLE_1) | instskip(SKIP_2) | instid1(VALU_DEP_1)
	s_or_b32 exec_lo, exec_lo, s21
	v_lshrrev_b16 v7, 8, v33
	s_mov_b32 s21, exec_lo
	v_cmpx_ne_u16_e32 0, v7
	s_cbranch_execz .LBB350_35
; %bb.28:                               ;   in Loop: Header=BB350_16 Depth=1
	v_bfrev_b32_e32 v84, 1
	s_mov_b32 s22, exec_lo
	v_cmpx_ne_u16_e32 0x80, v7
	s_cbranch_execz .LBB350_34
; %bb.29:                               ;   in Loop: Header=BB350_16 Depth=1
	v_and_b32_e32 v85, 0xffff, v7
	v_mov_b32_e32 v84, 0x7fc02000
	s_mov_b32 s23, exec_lo
	s_delay_alu instid0(VALU_DEP_2) | instskip(NEXT) | instid1(VALU_DEP_1)
	v_and_b32_e32 v35, 0x7f, v85
	v_cmpx_ne_u32_e32 0x7f, v35
	s_cbranch_execz .LBB350_33
; %bb.30:                               ;   in Loop: Header=BB350_16 Depth=1
	v_and_b32_e32 v7, 7, v85
	v_lshrrev_b32_e32 v84, 3, v35
	v_cmp_gt_u32_e64 s1, 8, v35
	s_delay_alu instid0(VALU_DEP_3) | instskip(NEXT) | instid1(VALU_DEP_2)
	v_dual_mov_b32 v36, v8 :: v_dual_mov_b32 v35, v7
	s_and_saveexec_b32 s24, s1
; %bb.31:                               ;   in Loop: Header=BB350_16 Depth=1
	v_clz_i32_u32_e32 v35, v7
	s_delay_alu instid0(VALU_DEP_1) | instskip(NEXT) | instid1(VALU_DEP_1)
	v_min_u32_e32 v84, 32, v35
	v_subrev_nc_u32_e32 v35, 28, v84
	v_sub_nc_u32_e32 v84, 29, v84
	s_delay_alu instid0(VALU_DEP_2) | instskip(NEXT) | instid1(VALU_DEP_1)
	v_lshlrev_b64 v[35:36], v35, v[7:8]
	v_and_b32_e32 v35, 7, v35
; %bb.32:                               ;   in Loop: Header=BB350_16 Depth=1
	s_or_b32 exec_lo, exec_lo, s24
	v_lshlrev_b32_e32 v7, 8, v85
	v_lshl_add_u32 v36, v84, 10, 0x2000
	s_delay_alu instid0(VALU_DEP_1) | instskip(NEXT) | instid1(VALU_DEP_1)
	v_and_or_b32 v7, 0x8000, v7, v36
	v_lshl_or_b32 v7, v35, 7, v7
	s_delay_alu instid0(VALU_DEP_1)
	v_cvt_f32_f16_e32 v84, v7
.LBB350_33:                             ;   in Loop: Header=BB350_16 Depth=1
	s_or_b32 exec_lo, exec_lo, s23
.LBB350_34:                             ;   in Loop: Header=BB350_16 Depth=1
	s_delay_alu instid0(SALU_CYCLE_1)
	s_or_b32 exec_lo, exec_lo, s22
.LBB350_35:                             ;   in Loop: Header=BB350_16 Depth=1
	s_delay_alu instid0(SALU_CYCLE_1) | instskip(SKIP_3) | instid1(VALU_DEP_2)
	s_or_b32 exec_lo, exec_lo, s21
	v_lshrrev_b32_e32 v87, 16, v33
	v_mov_b32_e32 v85, 0
	s_mov_b32 s21, exec_lo
	v_dual_mov_b32 v86, 0 :: v_dual_and_b32 v7, 0xff, v87
	s_delay_alu instid0(VALU_DEP_1)
	v_cmpx_ne_u16_e32 0, v7
	s_cbranch_execz .LBB350_43
; %bb.36:                               ;   in Loop: Header=BB350_16 Depth=1
	v_bfrev_b32_e32 v85, 1
	s_mov_b32 s22, exec_lo
	v_cmpx_ne_u16_e32 0x80, v7
	s_cbranch_execz .LBB350_42
; %bb.37:                               ;   in Loop: Header=BB350_16 Depth=1
	v_bfe_u32 v35, v33, 16, 7
	v_mov_b32_e32 v85, 0x7fc02000
	s_mov_b32 s23, exec_lo
	s_delay_alu instid0(VALU_DEP_2)
	v_cmpx_ne_u32_e32 0x7f, v35
	s_cbranch_execz .LBB350_41
; %bb.38:                               ;   in Loop: Header=BB350_16 Depth=1
	v_and_b32_e32 v7, 7, v87
	v_lshrrev_b32_e32 v85, 3, v35
	v_cmp_gt_u32_e64 s1, 8, v35
	s_delay_alu instid0(VALU_DEP_3) | instskip(NEXT) | instid1(VALU_DEP_2)
	v_dual_mov_b32 v36, v8 :: v_dual_mov_b32 v35, v7
	s_and_saveexec_b32 s24, s1
; %bb.39:                               ;   in Loop: Header=BB350_16 Depth=1
	v_clz_i32_u32_e32 v35, v7
	s_delay_alu instid0(VALU_DEP_1) | instskip(NEXT) | instid1(VALU_DEP_1)
	v_min_u32_e32 v85, 32, v35
	v_subrev_nc_u32_e32 v35, 28, v85
	v_sub_nc_u32_e32 v85, 29, v85
	s_delay_alu instid0(VALU_DEP_2) | instskip(NEXT) | instid1(VALU_DEP_1)
	v_lshlrev_b64 v[35:36], v35, v[7:8]
	v_and_b32_e32 v35, 7, v35
; %bb.40:                               ;   in Loop: Header=BB350_16 Depth=1
	s_or_b32 exec_lo, exec_lo, s24
	v_lshlrev_b32_e32 v7, 8, v87
	v_lshl_add_u32 v36, v85, 10, 0x2000
	s_delay_alu instid0(VALU_DEP_1) | instskip(NEXT) | instid1(VALU_DEP_1)
	v_and_or_b32 v7, 0x8000, v7, v36
	v_lshl_or_b32 v7, v35, 7, v7
	s_delay_alu instid0(VALU_DEP_1)
	v_cvt_f32_f16_e32 v85, v7
.LBB350_41:                             ;   in Loop: Header=BB350_16 Depth=1
	s_or_b32 exec_lo, exec_lo, s23
.LBB350_42:                             ;   in Loop: Header=BB350_16 Depth=1
	s_delay_alu instid0(SALU_CYCLE_1)
	s_or_b32 exec_lo, exec_lo, s22
.LBB350_43:                             ;   in Loop: Header=BB350_16 Depth=1
	s_delay_alu instid0(SALU_CYCLE_1) | instskip(NEXT) | instid1(SALU_CYCLE_1)
	s_or_b32 exec_lo, exec_lo, s21
	s_mov_b32 s21, exec_lo
	v_cmpx_lt_u32_e32 0xffffff, v33
	s_cbranch_execz .LBB350_51
; %bb.44:                               ;   in Loop: Header=BB350_16 Depth=1
	v_lshrrev_b32_e32 v87, 24, v33
	v_bfrev_b32_e32 v86, 1
	s_mov_b32 s22, exec_lo
	s_delay_alu instid0(VALU_DEP_2)
	v_cmpx_ne_u32_e32 0x80, v87
	s_cbranch_execz .LBB350_50
; %bb.45:                               ;   in Loop: Header=BB350_16 Depth=1
	v_and_b32_e32 v35, 0x7f, v87
	v_mov_b32_e32 v86, 0x7fc02000
	s_mov_b32 s23, exec_lo
	s_delay_alu instid0(VALU_DEP_2)
	v_cmpx_ne_u32_e32 0x7f, v35
	s_cbranch_execz .LBB350_49
; %bb.46:                               ;   in Loop: Header=BB350_16 Depth=1
	v_and_b32_e32 v7, 7, v87
	v_lshrrev_b32_e32 v86, 3, v35
	v_cmp_gt_u32_e64 s1, 8, v35
	s_delay_alu instid0(VALU_DEP_3) | instskip(NEXT) | instid1(VALU_DEP_2)
	v_dual_mov_b32 v36, v8 :: v_dual_mov_b32 v35, v7
	s_and_saveexec_b32 s24, s1
; %bb.47:                               ;   in Loop: Header=BB350_16 Depth=1
	v_clz_i32_u32_e32 v35, v7
	s_delay_alu instid0(VALU_DEP_1) | instskip(NEXT) | instid1(VALU_DEP_1)
	v_min_u32_e32 v86, 32, v35
	v_subrev_nc_u32_e32 v35, 28, v86
	v_sub_nc_u32_e32 v86, 29, v86
	s_delay_alu instid0(VALU_DEP_2) | instskip(NEXT) | instid1(VALU_DEP_1)
	v_lshlrev_b64 v[35:36], v35, v[7:8]
	v_and_b32_e32 v35, 7, v35
; %bb.48:                               ;   in Loop: Header=BB350_16 Depth=1
	s_or_b32 exec_lo, exec_lo, s24
	v_lshlrev_b32_e32 v7, 8, v87
	v_lshl_add_u32 v36, v86, 10, 0x2000
	s_delay_alu instid0(VALU_DEP_1) | instskip(NEXT) | instid1(VALU_DEP_1)
	v_and_or_b32 v7, 0x8000, v7, v36
	v_lshl_or_b32 v7, v35, 7, v7
	s_delay_alu instid0(VALU_DEP_1)
	v_cvt_f32_f16_e32 v86, v7
.LBB350_49:                             ;   in Loop: Header=BB350_16 Depth=1
	s_or_b32 exec_lo, exec_lo, s23
.LBB350_50:                             ;   in Loop: Header=BB350_16 Depth=1
	s_delay_alu instid0(SALU_CYCLE_1)
	s_or_b32 exec_lo, exec_lo, s22
.LBB350_51:                             ;   in Loop: Header=BB350_16 Depth=1
	s_delay_alu instid0(SALU_CYCLE_1) | instskip(SKIP_4) | instid1(VALU_DEP_3)
	s_or_b32 exec_lo, exec_lo, s21
	v_dual_mov_b32 v96, 0 :: v_dual_and_b32 v35, 0xff, v34
	v_mov_b32_e32 v7, v34
	v_mov_b32_e32 v87, 0
	s_mov_b32 s21, exec_lo
	v_cmpx_ne_u16_e32 0, v35
	s_cbranch_execz .LBB350_59
; %bb.52:                               ;   in Loop: Header=BB350_16 Depth=1
	v_bfrev_b32_e32 v87, 1
	s_mov_b32 s22, exec_lo
	v_cmpx_ne_u16_e32 0x80, v35
	s_cbranch_execz .LBB350_58
; %bb.53:                               ;   in Loop: Header=BB350_16 Depth=1
	v_and_b32_e32 v35, 0x7f, v34
	v_mov_b32_e32 v87, 0x7fc02000
	s_mov_b32 s23, exec_lo
	s_delay_alu instid0(VALU_DEP_2)
	v_cmpx_ne_u32_e32 0x7f, v35
	s_cbranch_execz .LBB350_57
; %bb.54:                               ;   in Loop: Header=BB350_16 Depth=1
	v_lshrrev_b32_e32 v87, 3, v35
	v_cmp_gt_u32_e64 s1, 8, v35
	v_dual_mov_b32 v36, v8 :: v_dual_mov_b32 v35, v7
	s_delay_alu instid0(VALU_DEP_2)
	s_and_saveexec_b32 s24, s1
; %bb.55:                               ;   in Loop: Header=BB350_16 Depth=1
	v_and_b32_e32 v35, 7, v34
	s_delay_alu instid0(VALU_DEP_1) | instskip(NEXT) | instid1(VALU_DEP_1)
	v_clz_i32_u32_e32 v35, v35
	v_min_u32_e32 v87, 32, v35
	s_delay_alu instid0(VALU_DEP_1) | instskip(SKIP_1) | instid1(VALU_DEP_2)
	v_subrev_nc_u32_e32 v35, 28, v87
	v_sub_nc_u32_e32 v87, 29, v87
	v_lshlrev_b64 v[35:36], v35, v[7:8]
; %bb.56:                               ;   in Loop: Header=BB350_16 Depth=1
	s_or_b32 exec_lo, exec_lo, s24
	v_lshlrev_b32_e32 v36, 8, v34
	s_delay_alu instid0(VALU_DEP_3) | instskip(NEXT) | instid1(VALU_DEP_3)
	v_lshl_add_u32 v87, v87, 10, 0x2000
	v_lshlrev_b32_e32 v35, 7, v35
	s_delay_alu instid0(VALU_DEP_2) | instskip(NEXT) | instid1(VALU_DEP_1)
	v_and_or_b32 v36, 0x8000, v36, v87
	v_and_or_b32 v35, 0x380, v35, v36
	s_delay_alu instid0(VALU_DEP_1)
	v_cvt_f32_f16_e32 v87, v35
.LBB350_57:                             ;   in Loop: Header=BB350_16 Depth=1
	s_or_b32 exec_lo, exec_lo, s23
.LBB350_58:                             ;   in Loop: Header=BB350_16 Depth=1
	s_delay_alu instid0(SALU_CYCLE_1)
	s_or_b32 exec_lo, exec_lo, s22
.LBB350_59:                             ;   in Loop: Header=BB350_16 Depth=1
	s_delay_alu instid0(SALU_CYCLE_1) | instskip(SKIP_2) | instid1(VALU_DEP_1)
	s_or_b32 exec_lo, exec_lo, s21
	v_lshrrev_b16 v7, 8, v7
	s_mov_b32 s21, exec_lo
	v_cmpx_ne_u16_e32 0, v7
	s_cbranch_execz .LBB350_67
; %bb.60:                               ;   in Loop: Header=BB350_16 Depth=1
	v_bfrev_b32_e32 v96, 1
	s_mov_b32 s22, exec_lo
	v_cmpx_ne_u16_e32 0x80, v7
	s_cbranch_execz .LBB350_66
; %bb.61:                               ;   in Loop: Header=BB350_16 Depth=1
	v_and_b32_e32 v97, 0xffff, v7
	v_mov_b32_e32 v96, 0x7fc02000
	s_mov_b32 s23, exec_lo
	s_delay_alu instid0(VALU_DEP_2) | instskip(NEXT) | instid1(VALU_DEP_1)
	v_and_b32_e32 v35, 0x7f, v97
	v_cmpx_ne_u32_e32 0x7f, v35
	s_cbranch_execz .LBB350_65
; %bb.62:                               ;   in Loop: Header=BB350_16 Depth=1
	v_and_b32_e32 v7, 7, v97
	v_lshrrev_b32_e32 v96, 3, v35
	v_cmp_gt_u32_e64 s1, 8, v35
	s_delay_alu instid0(VALU_DEP_3) | instskip(NEXT) | instid1(VALU_DEP_2)
	v_dual_mov_b32 v36, v8 :: v_dual_mov_b32 v35, v7
	s_and_saveexec_b32 s24, s1
; %bb.63:                               ;   in Loop: Header=BB350_16 Depth=1
	v_clz_i32_u32_e32 v35, v7
	s_delay_alu instid0(VALU_DEP_1) | instskip(NEXT) | instid1(VALU_DEP_1)
	v_min_u32_e32 v96, 32, v35
	v_subrev_nc_u32_e32 v35, 28, v96
	v_sub_nc_u32_e32 v96, 29, v96
	s_delay_alu instid0(VALU_DEP_2) | instskip(NEXT) | instid1(VALU_DEP_1)
	v_lshlrev_b64 v[35:36], v35, v[7:8]
	v_and_b32_e32 v35, 7, v35
; %bb.64:                               ;   in Loop: Header=BB350_16 Depth=1
	s_or_b32 exec_lo, exec_lo, s24
	v_lshlrev_b32_e32 v7, 8, v97
	v_lshl_add_u32 v36, v96, 10, 0x2000
	s_delay_alu instid0(VALU_DEP_1) | instskip(NEXT) | instid1(VALU_DEP_1)
	v_and_or_b32 v7, 0x8000, v7, v36
	v_lshl_or_b32 v7, v35, 7, v7
	s_delay_alu instid0(VALU_DEP_1)
	v_cvt_f32_f16_e32 v96, v7
.LBB350_65:                             ;   in Loop: Header=BB350_16 Depth=1
	s_or_b32 exec_lo, exec_lo, s23
.LBB350_66:                             ;   in Loop: Header=BB350_16 Depth=1
	s_delay_alu instid0(SALU_CYCLE_1)
	s_or_b32 exec_lo, exec_lo, s22
.LBB350_67:                             ;   in Loop: Header=BB350_16 Depth=1
	s_delay_alu instid0(SALU_CYCLE_1) | instskip(SKIP_3) | instid1(VALU_DEP_2)
	s_or_b32 exec_lo, exec_lo, s21
	v_lshrrev_b32_e32 v99, 16, v34
	v_mov_b32_e32 v97, 0
	s_mov_b32 s21, exec_lo
	v_dual_mov_b32 v98, 0 :: v_dual_and_b32 v7, 0xff, v99
	s_delay_alu instid0(VALU_DEP_1)
	v_cmpx_ne_u16_e32 0, v7
	s_cbranch_execz .LBB350_75
; %bb.68:                               ;   in Loop: Header=BB350_16 Depth=1
	v_bfrev_b32_e32 v98, 1
	s_mov_b32 s22, exec_lo
	v_cmpx_ne_u16_e32 0x80, v7
	s_cbranch_execz .LBB350_74
; %bb.69:                               ;   in Loop: Header=BB350_16 Depth=1
	v_bfe_u32 v35, v34, 16, 7
	v_mov_b32_e32 v98, 0x7fc02000
	s_mov_b32 s23, exec_lo
	s_delay_alu instid0(VALU_DEP_2)
	v_cmpx_ne_u32_e32 0x7f, v35
	s_cbranch_execz .LBB350_73
; %bb.70:                               ;   in Loop: Header=BB350_16 Depth=1
	v_and_b32_e32 v7, 7, v99
	v_lshrrev_b32_e32 v98, 3, v35
	v_cmp_gt_u32_e64 s1, 8, v35
	s_delay_alu instid0(VALU_DEP_3) | instskip(NEXT) | instid1(VALU_DEP_2)
	v_dual_mov_b32 v36, v8 :: v_dual_mov_b32 v35, v7
	s_and_saveexec_b32 s24, s1
; %bb.71:                               ;   in Loop: Header=BB350_16 Depth=1
	v_clz_i32_u32_e32 v35, v7
	s_delay_alu instid0(VALU_DEP_1) | instskip(NEXT) | instid1(VALU_DEP_1)
	v_min_u32_e32 v98, 32, v35
	v_subrev_nc_u32_e32 v35, 28, v98
	v_sub_nc_u32_e32 v98, 29, v98
	s_delay_alu instid0(VALU_DEP_2) | instskip(NEXT) | instid1(VALU_DEP_1)
	v_lshlrev_b64 v[35:36], v35, v[7:8]
	v_and_b32_e32 v35, 7, v35
; %bb.72:                               ;   in Loop: Header=BB350_16 Depth=1
	s_or_b32 exec_lo, exec_lo, s24
	v_lshlrev_b32_e32 v7, 8, v99
	v_lshl_add_u32 v36, v98, 10, 0x2000
	s_delay_alu instid0(VALU_DEP_1) | instskip(NEXT) | instid1(VALU_DEP_1)
	v_and_or_b32 v7, 0x8000, v7, v36
	v_lshl_or_b32 v7, v35, 7, v7
	s_delay_alu instid0(VALU_DEP_1)
	v_cvt_f32_f16_e32 v98, v7
.LBB350_73:                             ;   in Loop: Header=BB350_16 Depth=1
	s_or_b32 exec_lo, exec_lo, s23
.LBB350_74:                             ;   in Loop: Header=BB350_16 Depth=1
	s_delay_alu instid0(SALU_CYCLE_1)
	s_or_b32 exec_lo, exec_lo, s22
.LBB350_75:                             ;   in Loop: Header=BB350_16 Depth=1
	s_delay_alu instid0(SALU_CYCLE_1) | instskip(NEXT) | instid1(SALU_CYCLE_1)
	s_or_b32 exec_lo, exec_lo, s21
	s_mov_b32 s21, exec_lo
	v_cmpx_lt_u64_e64 s[8:9], v[33:34]
	s_cbranch_execz .LBB350_83
; %bb.76:                               ;   in Loop: Header=BB350_16 Depth=1
	v_lshrrev_b32_e32 v35, 24, v34
	v_bfrev_b32_e32 v97, 1
	s_mov_b32 s22, exec_lo
	s_delay_alu instid0(VALU_DEP_2)
	v_cmpx_ne_u32_e32 0x80, v35
	s_cbranch_execz .LBB350_82
; %bb.77:                               ;   in Loop: Header=BB350_16 Depth=1
	v_and_b32_e32 v33, 0x7f, v35
	v_mov_b32_e32 v97, 0x7fc02000
	s_mov_b32 s23, exec_lo
	s_delay_alu instid0(VALU_DEP_2)
	v_cmpx_ne_u32_e32 0x7f, v33
	s_cbranch_execz .LBB350_81
; %bb.78:                               ;   in Loop: Header=BB350_16 Depth=1
	v_and_b32_e32 v7, 7, v35
	v_lshrrev_b32_e32 v36, 3, v33
	v_cmp_gt_u32_e64 s1, 8, v33
	s_delay_alu instid0(VALU_DEP_3) | instskip(NEXT) | instid1(VALU_DEP_2)
	v_dual_mov_b32 v34, v8 :: v_dual_mov_b32 v33, v7
	s_and_saveexec_b32 s24, s1
; %bb.79:                               ;   in Loop: Header=BB350_16 Depth=1
	v_clz_i32_u32_e32 v33, v7
	s_delay_alu instid0(VALU_DEP_1) | instskip(NEXT) | instid1(VALU_DEP_1)
	v_min_u32_e32 v36, 32, v33
	v_subrev_nc_u32_e32 v33, 28, v36
	v_sub_nc_u32_e32 v36, 29, v36
	s_delay_alu instid0(VALU_DEP_2) | instskip(NEXT) | instid1(VALU_DEP_1)
	v_lshlrev_b64 v[33:34], v33, v[7:8]
	v_and_b32_e32 v33, 7, v33
; %bb.80:                               ;   in Loop: Header=BB350_16 Depth=1
	s_or_b32 exec_lo, exec_lo, s24
	v_lshlrev_b32_e32 v7, 8, v35
	v_lshl_add_u32 v34, v36, 10, 0x2000
	s_delay_alu instid0(VALU_DEP_1) | instskip(NEXT) | instid1(VALU_DEP_1)
	v_and_or_b32 v7, 0x8000, v7, v34
	v_lshl_or_b32 v7, v33, 7, v7
	s_delay_alu instid0(VALU_DEP_1)
	v_cvt_f32_f16_e32 v97, v7
.LBB350_81:                             ;   in Loop: Header=BB350_16 Depth=1
	s_or_b32 exec_lo, exec_lo, s23
.LBB350_82:                             ;   in Loop: Header=BB350_16 Depth=1
	s_delay_alu instid0(SALU_CYCLE_1)
	s_or_b32 exec_lo, exec_lo, s22
.LBB350_83:                             ;   in Loop: Header=BB350_16 Depth=1
	s_delay_alu instid0(SALU_CYCLE_1)
	s_or_b32 exec_lo, exec_lo, s21
	flat_load_b64 v[33:34], v[31:32] offset:8
	v_mov_b32_e32 v99, 0
	s_mov_b32 s21, exec_lo
	s_waitcnt vmcnt(0) lgkmcnt(0)
	v_dual_mov_b32 v100, 0 :: v_dual_and_b32 v7, 0xff, v33
	s_delay_alu instid0(VALU_DEP_1)
	v_cmpx_ne_u16_e32 0, v7
	s_cbranch_execz .LBB350_91
; %bb.84:                               ;   in Loop: Header=BB350_16 Depth=1
	v_bfrev_b32_e32 v99, 1
	s_mov_b32 s22, exec_lo
	v_cmpx_ne_u16_e32 0x80, v7
	s_cbranch_execz .LBB350_90
; %bb.85:                               ;   in Loop: Header=BB350_16 Depth=1
	v_and_b32_e32 v35, 0x7f, v33
	v_mov_b32_e32 v99, 0x7fc02000
	s_mov_b32 s23, exec_lo
	s_delay_alu instid0(VALU_DEP_2)
	v_cmpx_ne_u32_e32 0x7f, v35
	s_cbranch_execz .LBB350_89
; %bb.86:                               ;   in Loop: Header=BB350_16 Depth=1
	v_lshrrev_b32_e32 v7, 3, v35
	v_cmp_gt_u32_e64 s1, 8, v35
	v_dual_mov_b32 v36, v34 :: v_dual_mov_b32 v35, v33
	s_delay_alu instid0(VALU_DEP_2)
	s_and_saveexec_b32 s24, s1
; %bb.87:                               ;   in Loop: Header=BB350_16 Depth=1
	v_and_b32_e32 v7, 7, v33
	s_delay_alu instid0(VALU_DEP_1) | instskip(NEXT) | instid1(VALU_DEP_1)
	v_clz_i32_u32_e32 v7, v7
	v_min_u32_e32 v7, 32, v7
	s_delay_alu instid0(VALU_DEP_1) | instskip(SKIP_1) | instid1(VALU_DEP_2)
	v_subrev_nc_u32_e32 v35, 28, v7
	v_sub_nc_u32_e32 v7, 29, v7
	v_lshlrev_b64 v[35:36], v35, v[33:34]
; %bb.88:                               ;   in Loop: Header=BB350_16 Depth=1
	s_or_b32 exec_lo, exec_lo, s24
	v_lshlrev_b32_e32 v36, 8, v33
	s_delay_alu instid0(VALU_DEP_3) | instskip(NEXT) | instid1(VALU_DEP_3)
	v_lshl_add_u32 v7, v7, 10, 0x2000
	v_lshlrev_b32_e32 v35, 7, v35
	s_delay_alu instid0(VALU_DEP_2) | instskip(NEXT) | instid1(VALU_DEP_1)
	v_and_or_b32 v7, 0x8000, v36, v7
	v_and_or_b32 v7, 0x380, v35, v7
	s_delay_alu instid0(VALU_DEP_1)
	v_cvt_f32_f16_e32 v99, v7
.LBB350_89:                             ;   in Loop: Header=BB350_16 Depth=1
	s_or_b32 exec_lo, exec_lo, s23
.LBB350_90:                             ;   in Loop: Header=BB350_16 Depth=1
	s_delay_alu instid0(SALU_CYCLE_1)
	s_or_b32 exec_lo, exec_lo, s22
.LBB350_91:                             ;   in Loop: Header=BB350_16 Depth=1
	s_delay_alu instid0(SALU_CYCLE_1) | instskip(SKIP_2) | instid1(VALU_DEP_1)
	s_or_b32 exec_lo, exec_lo, s21
	v_lshrrev_b16 v7, 8, v33
	s_mov_b32 s21, exec_lo
	v_cmpx_ne_u16_e32 0, v7
	s_cbranch_execz .LBB350_99
; %bb.92:                               ;   in Loop: Header=BB350_16 Depth=1
	v_bfrev_b32_e32 v100, 1
	s_mov_b32 s22, exec_lo
	v_cmpx_ne_u16_e32 0x80, v7
	s_cbranch_execz .LBB350_98
; %bb.93:                               ;   in Loop: Header=BB350_16 Depth=1
	v_and_b32_e32 v101, 0xffff, v7
	v_mov_b32_e32 v100, 0x7fc02000
	s_mov_b32 s23, exec_lo
	s_delay_alu instid0(VALU_DEP_2) | instskip(NEXT) | instid1(VALU_DEP_1)
	v_and_b32_e32 v35, 0x7f, v101
	v_cmpx_ne_u32_e32 0x7f, v35
	s_cbranch_execz .LBB350_97
; %bb.94:                               ;   in Loop: Header=BB350_16 Depth=1
	v_and_b32_e32 v7, 7, v101
	v_lshrrev_b32_e32 v100, 3, v35
	v_cmp_gt_u32_e64 s1, 8, v35
	s_delay_alu instid0(VALU_DEP_3) | instskip(NEXT) | instid1(VALU_DEP_2)
	v_dual_mov_b32 v36, v8 :: v_dual_mov_b32 v35, v7
	s_and_saveexec_b32 s24, s1
; %bb.95:                               ;   in Loop: Header=BB350_16 Depth=1
	v_clz_i32_u32_e32 v35, v7
	s_delay_alu instid0(VALU_DEP_1) | instskip(NEXT) | instid1(VALU_DEP_1)
	v_min_u32_e32 v100, 32, v35
	v_subrev_nc_u32_e32 v35, 28, v100
	v_sub_nc_u32_e32 v100, 29, v100
	s_delay_alu instid0(VALU_DEP_2) | instskip(NEXT) | instid1(VALU_DEP_1)
	v_lshlrev_b64 v[35:36], v35, v[7:8]
	v_and_b32_e32 v35, 7, v35
; %bb.96:                               ;   in Loop: Header=BB350_16 Depth=1
	s_or_b32 exec_lo, exec_lo, s24
	v_lshlrev_b32_e32 v7, 8, v101
	v_lshl_add_u32 v36, v100, 10, 0x2000
	s_delay_alu instid0(VALU_DEP_1) | instskip(NEXT) | instid1(VALU_DEP_1)
	v_and_or_b32 v7, 0x8000, v7, v36
	v_lshl_or_b32 v7, v35, 7, v7
	s_delay_alu instid0(VALU_DEP_1)
	v_cvt_f32_f16_e32 v100, v7
.LBB350_97:                             ;   in Loop: Header=BB350_16 Depth=1
	s_or_b32 exec_lo, exec_lo, s23
.LBB350_98:                             ;   in Loop: Header=BB350_16 Depth=1
	s_delay_alu instid0(SALU_CYCLE_1)
	s_or_b32 exec_lo, exec_lo, s22
.LBB350_99:                             ;   in Loop: Header=BB350_16 Depth=1
	s_delay_alu instid0(SALU_CYCLE_1) | instskip(SKIP_3) | instid1(VALU_DEP_2)
	s_or_b32 exec_lo, exec_lo, s21
	v_lshrrev_b32_e32 v103, 16, v33
	v_mov_b32_e32 v101, 0
	s_mov_b32 s21, exec_lo
	v_dual_mov_b32 v102, 0 :: v_dual_and_b32 v7, 0xff, v103
	s_delay_alu instid0(VALU_DEP_1)
	v_cmpx_ne_u16_e32 0, v7
	s_cbranch_execz .LBB350_107
; %bb.100:                              ;   in Loop: Header=BB350_16 Depth=1
	v_bfrev_b32_e32 v101, 1
	s_mov_b32 s22, exec_lo
	v_cmpx_ne_u16_e32 0x80, v7
	s_cbranch_execz .LBB350_106
; %bb.101:                              ;   in Loop: Header=BB350_16 Depth=1
	v_bfe_u32 v35, v33, 16, 7
	v_mov_b32_e32 v101, 0x7fc02000
	s_mov_b32 s23, exec_lo
	s_delay_alu instid0(VALU_DEP_2)
	v_cmpx_ne_u32_e32 0x7f, v35
	s_cbranch_execz .LBB350_105
; %bb.102:                              ;   in Loop: Header=BB350_16 Depth=1
	v_and_b32_e32 v7, 7, v103
	v_lshrrev_b32_e32 v101, 3, v35
	v_cmp_gt_u32_e64 s1, 8, v35
	s_delay_alu instid0(VALU_DEP_3) | instskip(NEXT) | instid1(VALU_DEP_2)
	v_dual_mov_b32 v36, v8 :: v_dual_mov_b32 v35, v7
	s_and_saveexec_b32 s24, s1
; %bb.103:                              ;   in Loop: Header=BB350_16 Depth=1
	v_clz_i32_u32_e32 v35, v7
	s_delay_alu instid0(VALU_DEP_1) | instskip(NEXT) | instid1(VALU_DEP_1)
	v_min_u32_e32 v101, 32, v35
	v_subrev_nc_u32_e32 v35, 28, v101
	v_sub_nc_u32_e32 v101, 29, v101
	s_delay_alu instid0(VALU_DEP_2) | instskip(NEXT) | instid1(VALU_DEP_1)
	v_lshlrev_b64 v[35:36], v35, v[7:8]
	v_and_b32_e32 v35, 7, v35
; %bb.104:                              ;   in Loop: Header=BB350_16 Depth=1
	s_or_b32 exec_lo, exec_lo, s24
	v_lshlrev_b32_e32 v7, 8, v103
	v_lshl_add_u32 v36, v101, 10, 0x2000
	s_delay_alu instid0(VALU_DEP_1) | instskip(NEXT) | instid1(VALU_DEP_1)
	v_and_or_b32 v7, 0x8000, v7, v36
	v_lshl_or_b32 v7, v35, 7, v7
	s_delay_alu instid0(VALU_DEP_1)
	v_cvt_f32_f16_e32 v101, v7
.LBB350_105:                            ;   in Loop: Header=BB350_16 Depth=1
	s_or_b32 exec_lo, exec_lo, s23
.LBB350_106:                            ;   in Loop: Header=BB350_16 Depth=1
	s_delay_alu instid0(SALU_CYCLE_1)
	s_or_b32 exec_lo, exec_lo, s22
.LBB350_107:                            ;   in Loop: Header=BB350_16 Depth=1
	s_delay_alu instid0(SALU_CYCLE_1) | instskip(NEXT) | instid1(SALU_CYCLE_1)
	s_or_b32 exec_lo, exec_lo, s21
	s_mov_b32 s21, exec_lo
	v_cmpx_lt_u32_e32 0xffffff, v33
	s_cbranch_execz .LBB350_115
; %bb.108:                              ;   in Loop: Header=BB350_16 Depth=1
	v_lshrrev_b32_e32 v103, 24, v33
	v_bfrev_b32_e32 v102, 1
	s_mov_b32 s22, exec_lo
	s_delay_alu instid0(VALU_DEP_2)
	v_cmpx_ne_u32_e32 0x80, v103
	s_cbranch_execz .LBB350_114
; %bb.109:                              ;   in Loop: Header=BB350_16 Depth=1
	v_and_b32_e32 v35, 0x7f, v103
	v_mov_b32_e32 v102, 0x7fc02000
	s_mov_b32 s23, exec_lo
	s_delay_alu instid0(VALU_DEP_2)
	v_cmpx_ne_u32_e32 0x7f, v35
	s_cbranch_execz .LBB350_113
; %bb.110:                              ;   in Loop: Header=BB350_16 Depth=1
	v_and_b32_e32 v7, 7, v103
	v_lshrrev_b32_e32 v102, 3, v35
	v_cmp_gt_u32_e64 s1, 8, v35
	s_delay_alu instid0(VALU_DEP_3) | instskip(NEXT) | instid1(VALU_DEP_2)
	v_dual_mov_b32 v36, v8 :: v_dual_mov_b32 v35, v7
	s_and_saveexec_b32 s24, s1
; %bb.111:                              ;   in Loop: Header=BB350_16 Depth=1
	v_clz_i32_u32_e32 v35, v7
	s_delay_alu instid0(VALU_DEP_1) | instskip(NEXT) | instid1(VALU_DEP_1)
	v_min_u32_e32 v102, 32, v35
	v_subrev_nc_u32_e32 v35, 28, v102
	v_sub_nc_u32_e32 v102, 29, v102
	s_delay_alu instid0(VALU_DEP_2) | instskip(NEXT) | instid1(VALU_DEP_1)
	v_lshlrev_b64 v[35:36], v35, v[7:8]
	v_and_b32_e32 v35, 7, v35
; %bb.112:                              ;   in Loop: Header=BB350_16 Depth=1
	s_or_b32 exec_lo, exec_lo, s24
	v_lshlrev_b32_e32 v7, 8, v103
	v_lshl_add_u32 v36, v102, 10, 0x2000
	s_delay_alu instid0(VALU_DEP_1) | instskip(NEXT) | instid1(VALU_DEP_1)
	v_and_or_b32 v7, 0x8000, v7, v36
	v_lshl_or_b32 v7, v35, 7, v7
	s_delay_alu instid0(VALU_DEP_1)
	v_cvt_f32_f16_e32 v102, v7
.LBB350_113:                            ;   in Loop: Header=BB350_16 Depth=1
	s_or_b32 exec_lo, exec_lo, s23
.LBB350_114:                            ;   in Loop: Header=BB350_16 Depth=1
	s_delay_alu instid0(SALU_CYCLE_1)
	s_or_b32 exec_lo, exec_lo, s22
.LBB350_115:                            ;   in Loop: Header=BB350_16 Depth=1
	s_delay_alu instid0(SALU_CYCLE_1) | instskip(SKIP_4) | instid1(VALU_DEP_3)
	s_or_b32 exec_lo, exec_lo, s21
	v_dual_mov_b32 v112, 0 :: v_dual_and_b32 v35, 0xff, v34
	v_mov_b32_e32 v7, v34
	v_mov_b32_e32 v103, 0
	s_mov_b32 s21, exec_lo
	v_cmpx_ne_u16_e32 0, v35
	s_cbranch_execz .LBB350_123
; %bb.116:                              ;   in Loop: Header=BB350_16 Depth=1
	v_bfrev_b32_e32 v103, 1
	s_mov_b32 s22, exec_lo
	v_cmpx_ne_u16_e32 0x80, v35
	s_cbranch_execz .LBB350_122
; %bb.117:                              ;   in Loop: Header=BB350_16 Depth=1
	v_and_b32_e32 v35, 0x7f, v34
	v_mov_b32_e32 v103, 0x7fc02000
	s_mov_b32 s23, exec_lo
	s_delay_alu instid0(VALU_DEP_2)
	v_cmpx_ne_u32_e32 0x7f, v35
	s_cbranch_execz .LBB350_121
; %bb.118:                              ;   in Loop: Header=BB350_16 Depth=1
	v_lshrrev_b32_e32 v103, 3, v35
	v_cmp_gt_u32_e64 s1, 8, v35
	v_dual_mov_b32 v36, v8 :: v_dual_mov_b32 v35, v7
	s_delay_alu instid0(VALU_DEP_2)
	s_and_saveexec_b32 s24, s1
; %bb.119:                              ;   in Loop: Header=BB350_16 Depth=1
	v_and_b32_e32 v35, 7, v34
	s_delay_alu instid0(VALU_DEP_1) | instskip(NEXT) | instid1(VALU_DEP_1)
	v_clz_i32_u32_e32 v35, v35
	v_min_u32_e32 v103, 32, v35
	s_delay_alu instid0(VALU_DEP_1) | instskip(SKIP_1) | instid1(VALU_DEP_2)
	v_subrev_nc_u32_e32 v35, 28, v103
	v_sub_nc_u32_e32 v103, 29, v103
	v_lshlrev_b64 v[35:36], v35, v[7:8]
; %bb.120:                              ;   in Loop: Header=BB350_16 Depth=1
	s_or_b32 exec_lo, exec_lo, s24
	v_lshlrev_b32_e32 v36, 8, v34
	s_delay_alu instid0(VALU_DEP_3) | instskip(NEXT) | instid1(VALU_DEP_3)
	v_lshl_add_u32 v103, v103, 10, 0x2000
	v_lshlrev_b32_e32 v35, 7, v35
	s_delay_alu instid0(VALU_DEP_2) | instskip(NEXT) | instid1(VALU_DEP_1)
	v_and_or_b32 v36, 0x8000, v36, v103
	v_and_or_b32 v35, 0x380, v35, v36
	s_delay_alu instid0(VALU_DEP_1)
	v_cvt_f32_f16_e32 v103, v35
.LBB350_121:                            ;   in Loop: Header=BB350_16 Depth=1
	s_or_b32 exec_lo, exec_lo, s23
.LBB350_122:                            ;   in Loop: Header=BB350_16 Depth=1
	s_delay_alu instid0(SALU_CYCLE_1)
	s_or_b32 exec_lo, exec_lo, s22
.LBB350_123:                            ;   in Loop: Header=BB350_16 Depth=1
	s_delay_alu instid0(SALU_CYCLE_1) | instskip(SKIP_2) | instid1(VALU_DEP_1)
	s_or_b32 exec_lo, exec_lo, s21
	v_lshrrev_b16 v7, 8, v7
	s_mov_b32 s21, exec_lo
	v_cmpx_ne_u16_e32 0, v7
	s_cbranch_execz .LBB350_131
; %bb.124:                              ;   in Loop: Header=BB350_16 Depth=1
	v_bfrev_b32_e32 v112, 1
	s_mov_b32 s22, exec_lo
	v_cmpx_ne_u16_e32 0x80, v7
	s_cbranch_execz .LBB350_130
; %bb.125:                              ;   in Loop: Header=BB350_16 Depth=1
	v_and_b32_e32 v113, 0xffff, v7
	v_mov_b32_e32 v112, 0x7fc02000
	s_mov_b32 s23, exec_lo
	s_delay_alu instid0(VALU_DEP_2) | instskip(NEXT) | instid1(VALU_DEP_1)
	v_and_b32_e32 v35, 0x7f, v113
	v_cmpx_ne_u32_e32 0x7f, v35
	s_cbranch_execz .LBB350_129
; %bb.126:                              ;   in Loop: Header=BB350_16 Depth=1
	v_and_b32_e32 v7, 7, v113
	v_lshrrev_b32_e32 v112, 3, v35
	v_cmp_gt_u32_e64 s1, 8, v35
	s_delay_alu instid0(VALU_DEP_3) | instskip(NEXT) | instid1(VALU_DEP_2)
	v_dual_mov_b32 v36, v8 :: v_dual_mov_b32 v35, v7
	s_and_saveexec_b32 s24, s1
; %bb.127:                              ;   in Loop: Header=BB350_16 Depth=1
	v_clz_i32_u32_e32 v35, v7
	s_delay_alu instid0(VALU_DEP_1) | instskip(NEXT) | instid1(VALU_DEP_1)
	v_min_u32_e32 v112, 32, v35
	v_subrev_nc_u32_e32 v35, 28, v112
	v_sub_nc_u32_e32 v112, 29, v112
	s_delay_alu instid0(VALU_DEP_2) | instskip(NEXT) | instid1(VALU_DEP_1)
	v_lshlrev_b64 v[35:36], v35, v[7:8]
	v_and_b32_e32 v35, 7, v35
; %bb.128:                              ;   in Loop: Header=BB350_16 Depth=1
	s_or_b32 exec_lo, exec_lo, s24
	v_lshlrev_b32_e32 v7, 8, v113
	v_lshl_add_u32 v36, v112, 10, 0x2000
	s_delay_alu instid0(VALU_DEP_1) | instskip(NEXT) | instid1(VALU_DEP_1)
	v_and_or_b32 v7, 0x8000, v7, v36
	v_lshl_or_b32 v7, v35, 7, v7
	s_delay_alu instid0(VALU_DEP_1)
	v_cvt_f32_f16_e32 v112, v7
.LBB350_129:                            ;   in Loop: Header=BB350_16 Depth=1
	s_or_b32 exec_lo, exec_lo, s23
.LBB350_130:                            ;   in Loop: Header=BB350_16 Depth=1
	s_delay_alu instid0(SALU_CYCLE_1)
	s_or_b32 exec_lo, exec_lo, s22
.LBB350_131:                            ;   in Loop: Header=BB350_16 Depth=1
	s_delay_alu instid0(SALU_CYCLE_1) | instskip(SKIP_3) | instid1(VALU_DEP_2)
	s_or_b32 exec_lo, exec_lo, s21
	v_lshrrev_b32_e32 v115, 16, v34
	v_mov_b32_e32 v113, 0
	s_mov_b32 s21, exec_lo
	v_dual_mov_b32 v114, 0 :: v_dual_and_b32 v7, 0xff, v115
	s_delay_alu instid0(VALU_DEP_1)
	v_cmpx_ne_u16_e32 0, v7
	s_cbranch_execz .LBB350_139
; %bb.132:                              ;   in Loop: Header=BB350_16 Depth=1
	v_bfrev_b32_e32 v114, 1
	s_mov_b32 s22, exec_lo
	v_cmpx_ne_u16_e32 0x80, v7
	s_cbranch_execz .LBB350_138
; %bb.133:                              ;   in Loop: Header=BB350_16 Depth=1
	v_bfe_u32 v35, v34, 16, 7
	v_mov_b32_e32 v114, 0x7fc02000
	s_mov_b32 s23, exec_lo
	s_delay_alu instid0(VALU_DEP_2)
	v_cmpx_ne_u32_e32 0x7f, v35
	s_cbranch_execz .LBB350_137
; %bb.134:                              ;   in Loop: Header=BB350_16 Depth=1
	v_and_b32_e32 v7, 7, v115
	v_lshrrev_b32_e32 v114, 3, v35
	v_cmp_gt_u32_e64 s1, 8, v35
	s_delay_alu instid0(VALU_DEP_3) | instskip(NEXT) | instid1(VALU_DEP_2)
	v_dual_mov_b32 v36, v8 :: v_dual_mov_b32 v35, v7
	s_and_saveexec_b32 s24, s1
; %bb.135:                              ;   in Loop: Header=BB350_16 Depth=1
	v_clz_i32_u32_e32 v35, v7
	s_delay_alu instid0(VALU_DEP_1) | instskip(NEXT) | instid1(VALU_DEP_1)
	v_min_u32_e32 v114, 32, v35
	v_subrev_nc_u32_e32 v35, 28, v114
	v_sub_nc_u32_e32 v114, 29, v114
	s_delay_alu instid0(VALU_DEP_2) | instskip(NEXT) | instid1(VALU_DEP_1)
	v_lshlrev_b64 v[35:36], v35, v[7:8]
	v_and_b32_e32 v35, 7, v35
; %bb.136:                              ;   in Loop: Header=BB350_16 Depth=1
	s_or_b32 exec_lo, exec_lo, s24
	v_lshlrev_b32_e32 v7, 8, v115
	v_lshl_add_u32 v36, v114, 10, 0x2000
	s_delay_alu instid0(VALU_DEP_1) | instskip(NEXT) | instid1(VALU_DEP_1)
	v_and_or_b32 v7, 0x8000, v7, v36
	v_lshl_or_b32 v7, v35, 7, v7
	s_delay_alu instid0(VALU_DEP_1)
	v_cvt_f32_f16_e32 v114, v7
.LBB350_137:                            ;   in Loop: Header=BB350_16 Depth=1
	s_or_b32 exec_lo, exec_lo, s23
.LBB350_138:                            ;   in Loop: Header=BB350_16 Depth=1
	s_delay_alu instid0(SALU_CYCLE_1)
	s_or_b32 exec_lo, exec_lo, s22
.LBB350_139:                            ;   in Loop: Header=BB350_16 Depth=1
	s_delay_alu instid0(SALU_CYCLE_1) | instskip(NEXT) | instid1(SALU_CYCLE_1)
	s_or_b32 exec_lo, exec_lo, s21
	s_mov_b32 s21, exec_lo
	v_cmpx_lt_u64_e64 s[8:9], v[33:34]
	s_cbranch_execz .LBB350_147
; %bb.140:                              ;   in Loop: Header=BB350_16 Depth=1
	v_lshrrev_b32_e32 v35, 24, v34
	v_bfrev_b32_e32 v113, 1
	s_mov_b32 s22, exec_lo
	s_delay_alu instid0(VALU_DEP_2)
	v_cmpx_ne_u32_e32 0x80, v35
	s_cbranch_execz .LBB350_146
; %bb.141:                              ;   in Loop: Header=BB350_16 Depth=1
	v_and_b32_e32 v33, 0x7f, v35
	v_mov_b32_e32 v113, 0x7fc02000
	s_mov_b32 s23, exec_lo
	s_delay_alu instid0(VALU_DEP_2)
	v_cmpx_ne_u32_e32 0x7f, v33
	s_cbranch_execz .LBB350_145
; %bb.142:                              ;   in Loop: Header=BB350_16 Depth=1
	v_and_b32_e32 v7, 7, v35
	v_lshrrev_b32_e32 v36, 3, v33
	v_cmp_gt_u32_e64 s1, 8, v33
	s_delay_alu instid0(VALU_DEP_3) | instskip(NEXT) | instid1(VALU_DEP_2)
	v_dual_mov_b32 v34, v8 :: v_dual_mov_b32 v33, v7
	s_and_saveexec_b32 s24, s1
; %bb.143:                              ;   in Loop: Header=BB350_16 Depth=1
	v_clz_i32_u32_e32 v33, v7
	s_delay_alu instid0(VALU_DEP_1) | instskip(NEXT) | instid1(VALU_DEP_1)
	v_min_u32_e32 v36, 32, v33
	v_subrev_nc_u32_e32 v33, 28, v36
	v_sub_nc_u32_e32 v36, 29, v36
	s_delay_alu instid0(VALU_DEP_2) | instskip(NEXT) | instid1(VALU_DEP_1)
	v_lshlrev_b64 v[33:34], v33, v[7:8]
	v_and_b32_e32 v33, 7, v33
; %bb.144:                              ;   in Loop: Header=BB350_16 Depth=1
	s_or_b32 exec_lo, exec_lo, s24
	v_lshlrev_b32_e32 v7, 8, v35
	v_lshl_add_u32 v34, v36, 10, 0x2000
	s_delay_alu instid0(VALU_DEP_1) | instskip(NEXT) | instid1(VALU_DEP_1)
	v_and_or_b32 v7, 0x8000, v7, v34
	v_lshl_or_b32 v7, v33, 7, v7
	s_delay_alu instid0(VALU_DEP_1)
	v_cvt_f32_f16_e32 v113, v7
.LBB350_145:                            ;   in Loop: Header=BB350_16 Depth=1
	s_or_b32 exec_lo, exec_lo, s23
.LBB350_146:                            ;   in Loop: Header=BB350_16 Depth=1
	s_delay_alu instid0(SALU_CYCLE_1)
	s_or_b32 exec_lo, exec_lo, s22
.LBB350_147:                            ;   in Loop: Header=BB350_16 Depth=1
	s_delay_alu instid0(SALU_CYCLE_1)
	s_or_b32 exec_lo, exec_lo, s21
	flat_load_b64 v[33:34], v[31:32] offset:512
	v_mov_b32_e32 v115, 0
	s_mov_b32 s21, exec_lo
	s_waitcnt vmcnt(0) lgkmcnt(0)
	v_dual_mov_b32 v116, 0 :: v_dual_and_b32 v7, 0xff, v33
	s_delay_alu instid0(VALU_DEP_1)
	v_cmpx_ne_u16_e32 0, v7
	s_cbranch_execz .LBB350_155
; %bb.148:                              ;   in Loop: Header=BB350_16 Depth=1
	v_bfrev_b32_e32 v115, 1
	s_mov_b32 s22, exec_lo
	v_cmpx_ne_u16_e32 0x80, v7
	s_cbranch_execz .LBB350_154
; %bb.149:                              ;   in Loop: Header=BB350_16 Depth=1
	v_and_b32_e32 v35, 0x7f, v33
	v_mov_b32_e32 v115, 0x7fc02000
	s_mov_b32 s23, exec_lo
	s_delay_alu instid0(VALU_DEP_2)
	v_cmpx_ne_u32_e32 0x7f, v35
	s_cbranch_execz .LBB350_153
; %bb.150:                              ;   in Loop: Header=BB350_16 Depth=1
	v_lshrrev_b32_e32 v7, 3, v35
	v_cmp_gt_u32_e64 s1, 8, v35
	v_dual_mov_b32 v36, v34 :: v_dual_mov_b32 v35, v33
	s_delay_alu instid0(VALU_DEP_2)
	s_and_saveexec_b32 s24, s1
; %bb.151:                              ;   in Loop: Header=BB350_16 Depth=1
	v_and_b32_e32 v7, 7, v33
	s_delay_alu instid0(VALU_DEP_1) | instskip(NEXT) | instid1(VALU_DEP_1)
	v_clz_i32_u32_e32 v7, v7
	v_min_u32_e32 v7, 32, v7
	s_delay_alu instid0(VALU_DEP_1) | instskip(SKIP_1) | instid1(VALU_DEP_2)
	v_subrev_nc_u32_e32 v35, 28, v7
	v_sub_nc_u32_e32 v7, 29, v7
	v_lshlrev_b64 v[35:36], v35, v[33:34]
; %bb.152:                              ;   in Loop: Header=BB350_16 Depth=1
	s_or_b32 exec_lo, exec_lo, s24
	v_lshlrev_b32_e32 v36, 8, v33
	s_delay_alu instid0(VALU_DEP_3) | instskip(NEXT) | instid1(VALU_DEP_3)
	v_lshl_add_u32 v7, v7, 10, 0x2000
	v_lshlrev_b32_e32 v35, 7, v35
	s_delay_alu instid0(VALU_DEP_2) | instskip(NEXT) | instid1(VALU_DEP_1)
	v_and_or_b32 v7, 0x8000, v36, v7
	v_and_or_b32 v7, 0x380, v35, v7
	s_delay_alu instid0(VALU_DEP_1)
	v_cvt_f32_f16_e32 v115, v7
.LBB350_153:                            ;   in Loop: Header=BB350_16 Depth=1
	s_or_b32 exec_lo, exec_lo, s23
.LBB350_154:                            ;   in Loop: Header=BB350_16 Depth=1
	s_delay_alu instid0(SALU_CYCLE_1)
	s_or_b32 exec_lo, exec_lo, s22
.LBB350_155:                            ;   in Loop: Header=BB350_16 Depth=1
	s_delay_alu instid0(SALU_CYCLE_1) | instskip(SKIP_2) | instid1(VALU_DEP_1)
	s_or_b32 exec_lo, exec_lo, s21
	v_lshrrev_b16 v7, 8, v33
	s_mov_b32 s21, exec_lo
	v_cmpx_ne_u16_e32 0, v7
	s_cbranch_execz .LBB350_163
; %bb.156:                              ;   in Loop: Header=BB350_16 Depth=1
	v_bfrev_b32_e32 v116, 1
	s_mov_b32 s22, exec_lo
	v_cmpx_ne_u16_e32 0x80, v7
	s_cbranch_execz .LBB350_162
; %bb.157:                              ;   in Loop: Header=BB350_16 Depth=1
	v_and_b32_e32 v117, 0xffff, v7
	v_mov_b32_e32 v116, 0x7fc02000
	s_mov_b32 s23, exec_lo
	s_delay_alu instid0(VALU_DEP_2) | instskip(NEXT) | instid1(VALU_DEP_1)
	v_and_b32_e32 v35, 0x7f, v117
	v_cmpx_ne_u32_e32 0x7f, v35
	s_cbranch_execz .LBB350_161
; %bb.158:                              ;   in Loop: Header=BB350_16 Depth=1
	v_and_b32_e32 v7, 7, v117
	v_lshrrev_b32_e32 v116, 3, v35
	v_cmp_gt_u32_e64 s1, 8, v35
	s_delay_alu instid0(VALU_DEP_3) | instskip(NEXT) | instid1(VALU_DEP_2)
	v_dual_mov_b32 v36, v8 :: v_dual_mov_b32 v35, v7
	s_and_saveexec_b32 s24, s1
; %bb.159:                              ;   in Loop: Header=BB350_16 Depth=1
	v_clz_i32_u32_e32 v35, v7
	s_delay_alu instid0(VALU_DEP_1) | instskip(NEXT) | instid1(VALU_DEP_1)
	v_min_u32_e32 v116, 32, v35
	v_subrev_nc_u32_e32 v35, 28, v116
	v_sub_nc_u32_e32 v116, 29, v116
	s_delay_alu instid0(VALU_DEP_2) | instskip(NEXT) | instid1(VALU_DEP_1)
	v_lshlrev_b64 v[35:36], v35, v[7:8]
	v_and_b32_e32 v35, 7, v35
; %bb.160:                              ;   in Loop: Header=BB350_16 Depth=1
	s_or_b32 exec_lo, exec_lo, s24
	v_lshlrev_b32_e32 v7, 8, v117
	v_lshl_add_u32 v36, v116, 10, 0x2000
	s_delay_alu instid0(VALU_DEP_1) | instskip(NEXT) | instid1(VALU_DEP_1)
	v_and_or_b32 v7, 0x8000, v7, v36
	v_lshl_or_b32 v7, v35, 7, v7
	s_delay_alu instid0(VALU_DEP_1)
	v_cvt_f32_f16_e32 v116, v7
.LBB350_161:                            ;   in Loop: Header=BB350_16 Depth=1
	s_or_b32 exec_lo, exec_lo, s23
.LBB350_162:                            ;   in Loop: Header=BB350_16 Depth=1
	s_delay_alu instid0(SALU_CYCLE_1)
	s_or_b32 exec_lo, exec_lo, s22
.LBB350_163:                            ;   in Loop: Header=BB350_16 Depth=1
	s_delay_alu instid0(SALU_CYCLE_1) | instskip(SKIP_3) | instid1(VALU_DEP_2)
	s_or_b32 exec_lo, exec_lo, s21
	v_lshrrev_b32_e32 v119, 16, v33
	v_mov_b32_e32 v117, 0
	s_mov_b32 s21, exec_lo
	v_dual_mov_b32 v118, 0 :: v_dual_and_b32 v7, 0xff, v119
	s_delay_alu instid0(VALU_DEP_1)
	v_cmpx_ne_u16_e32 0, v7
	s_cbranch_execz .LBB350_171
; %bb.164:                              ;   in Loop: Header=BB350_16 Depth=1
	v_bfrev_b32_e32 v117, 1
	s_mov_b32 s22, exec_lo
	v_cmpx_ne_u16_e32 0x80, v7
	s_cbranch_execz .LBB350_170
; %bb.165:                              ;   in Loop: Header=BB350_16 Depth=1
	v_bfe_u32 v35, v33, 16, 7
	v_mov_b32_e32 v117, 0x7fc02000
	s_mov_b32 s23, exec_lo
	s_delay_alu instid0(VALU_DEP_2)
	v_cmpx_ne_u32_e32 0x7f, v35
	s_cbranch_execz .LBB350_169
; %bb.166:                              ;   in Loop: Header=BB350_16 Depth=1
	v_and_b32_e32 v7, 7, v119
	v_lshrrev_b32_e32 v117, 3, v35
	v_cmp_gt_u32_e64 s1, 8, v35
	s_delay_alu instid0(VALU_DEP_3) | instskip(NEXT) | instid1(VALU_DEP_2)
	v_dual_mov_b32 v36, v8 :: v_dual_mov_b32 v35, v7
	s_and_saveexec_b32 s24, s1
; %bb.167:                              ;   in Loop: Header=BB350_16 Depth=1
	v_clz_i32_u32_e32 v35, v7
	s_delay_alu instid0(VALU_DEP_1) | instskip(NEXT) | instid1(VALU_DEP_1)
	v_min_u32_e32 v117, 32, v35
	v_subrev_nc_u32_e32 v35, 28, v117
	v_sub_nc_u32_e32 v117, 29, v117
	s_delay_alu instid0(VALU_DEP_2) | instskip(NEXT) | instid1(VALU_DEP_1)
	v_lshlrev_b64 v[35:36], v35, v[7:8]
	v_and_b32_e32 v35, 7, v35
; %bb.168:                              ;   in Loop: Header=BB350_16 Depth=1
	s_or_b32 exec_lo, exec_lo, s24
	v_lshlrev_b32_e32 v7, 8, v119
	v_lshl_add_u32 v36, v117, 10, 0x2000
	s_delay_alu instid0(VALU_DEP_1) | instskip(NEXT) | instid1(VALU_DEP_1)
	v_and_or_b32 v7, 0x8000, v7, v36
	v_lshl_or_b32 v7, v35, 7, v7
	s_delay_alu instid0(VALU_DEP_1)
	v_cvt_f32_f16_e32 v117, v7
.LBB350_169:                            ;   in Loop: Header=BB350_16 Depth=1
	s_or_b32 exec_lo, exec_lo, s23
.LBB350_170:                            ;   in Loop: Header=BB350_16 Depth=1
	s_delay_alu instid0(SALU_CYCLE_1)
	s_or_b32 exec_lo, exec_lo, s22
.LBB350_171:                            ;   in Loop: Header=BB350_16 Depth=1
	s_delay_alu instid0(SALU_CYCLE_1) | instskip(NEXT) | instid1(SALU_CYCLE_1)
	s_or_b32 exec_lo, exec_lo, s21
	s_mov_b32 s21, exec_lo
	v_cmpx_lt_u32_e32 0xffffff, v33
	s_cbranch_execz .LBB350_179
; %bb.172:                              ;   in Loop: Header=BB350_16 Depth=1
	v_lshrrev_b32_e32 v119, 24, v33
	v_bfrev_b32_e32 v118, 1
	s_mov_b32 s22, exec_lo
	s_delay_alu instid0(VALU_DEP_2)
	v_cmpx_ne_u32_e32 0x80, v119
	s_cbranch_execz .LBB350_178
; %bb.173:                              ;   in Loop: Header=BB350_16 Depth=1
	v_and_b32_e32 v35, 0x7f, v119
	v_mov_b32_e32 v118, 0x7fc02000
	s_mov_b32 s23, exec_lo
	s_delay_alu instid0(VALU_DEP_2)
	v_cmpx_ne_u32_e32 0x7f, v35
	s_cbranch_execz .LBB350_177
; %bb.174:                              ;   in Loop: Header=BB350_16 Depth=1
	v_and_b32_e32 v7, 7, v119
	v_lshrrev_b32_e32 v118, 3, v35
	v_cmp_gt_u32_e64 s1, 8, v35
	s_delay_alu instid0(VALU_DEP_3) | instskip(NEXT) | instid1(VALU_DEP_2)
	v_dual_mov_b32 v36, v8 :: v_dual_mov_b32 v35, v7
	s_and_saveexec_b32 s24, s1
; %bb.175:                              ;   in Loop: Header=BB350_16 Depth=1
	v_clz_i32_u32_e32 v35, v7
	s_delay_alu instid0(VALU_DEP_1) | instskip(NEXT) | instid1(VALU_DEP_1)
	v_min_u32_e32 v118, 32, v35
	v_subrev_nc_u32_e32 v35, 28, v118
	v_sub_nc_u32_e32 v118, 29, v118
	s_delay_alu instid0(VALU_DEP_2) | instskip(NEXT) | instid1(VALU_DEP_1)
	v_lshlrev_b64 v[35:36], v35, v[7:8]
	v_and_b32_e32 v35, 7, v35
; %bb.176:                              ;   in Loop: Header=BB350_16 Depth=1
	s_or_b32 exec_lo, exec_lo, s24
	v_lshlrev_b32_e32 v7, 8, v119
	v_lshl_add_u32 v36, v118, 10, 0x2000
	s_delay_alu instid0(VALU_DEP_1) | instskip(NEXT) | instid1(VALU_DEP_1)
	v_and_or_b32 v7, 0x8000, v7, v36
	v_lshl_or_b32 v7, v35, 7, v7
	s_delay_alu instid0(VALU_DEP_1)
	v_cvt_f32_f16_e32 v118, v7
.LBB350_177:                            ;   in Loop: Header=BB350_16 Depth=1
	s_or_b32 exec_lo, exec_lo, s23
.LBB350_178:                            ;   in Loop: Header=BB350_16 Depth=1
	s_delay_alu instid0(SALU_CYCLE_1)
	s_or_b32 exec_lo, exec_lo, s22
.LBB350_179:                            ;   in Loop: Header=BB350_16 Depth=1
	s_delay_alu instid0(SALU_CYCLE_1) | instskip(SKIP_4) | instid1(VALU_DEP_3)
	s_or_b32 exec_lo, exec_lo, s21
	v_dual_mov_b32 v128, 0 :: v_dual_and_b32 v35, 0xff, v34
	v_mov_b32_e32 v7, v34
	v_mov_b32_e32 v119, 0
	s_mov_b32 s21, exec_lo
	v_cmpx_ne_u16_e32 0, v35
	s_cbranch_execz .LBB350_187
; %bb.180:                              ;   in Loop: Header=BB350_16 Depth=1
	v_bfrev_b32_e32 v119, 1
	s_mov_b32 s22, exec_lo
	v_cmpx_ne_u16_e32 0x80, v35
	s_cbranch_execz .LBB350_186
; %bb.181:                              ;   in Loop: Header=BB350_16 Depth=1
	v_and_b32_e32 v35, 0x7f, v34
	v_mov_b32_e32 v119, 0x7fc02000
	s_mov_b32 s23, exec_lo
	s_delay_alu instid0(VALU_DEP_2)
	v_cmpx_ne_u32_e32 0x7f, v35
	s_cbranch_execz .LBB350_185
; %bb.182:                              ;   in Loop: Header=BB350_16 Depth=1
	v_lshrrev_b32_e32 v119, 3, v35
	v_cmp_gt_u32_e64 s1, 8, v35
	v_dual_mov_b32 v36, v8 :: v_dual_mov_b32 v35, v7
	s_delay_alu instid0(VALU_DEP_2)
	s_and_saveexec_b32 s24, s1
; %bb.183:                              ;   in Loop: Header=BB350_16 Depth=1
	v_and_b32_e32 v35, 7, v34
	s_delay_alu instid0(VALU_DEP_1) | instskip(NEXT) | instid1(VALU_DEP_1)
	v_clz_i32_u32_e32 v35, v35
	v_min_u32_e32 v119, 32, v35
	s_delay_alu instid0(VALU_DEP_1) | instskip(SKIP_1) | instid1(VALU_DEP_2)
	v_subrev_nc_u32_e32 v35, 28, v119
	v_sub_nc_u32_e32 v119, 29, v119
	v_lshlrev_b64 v[35:36], v35, v[7:8]
; %bb.184:                              ;   in Loop: Header=BB350_16 Depth=1
	s_or_b32 exec_lo, exec_lo, s24
	v_lshlrev_b32_e32 v36, 8, v34
	s_delay_alu instid0(VALU_DEP_3) | instskip(NEXT) | instid1(VALU_DEP_3)
	v_lshl_add_u32 v119, v119, 10, 0x2000
	v_lshlrev_b32_e32 v35, 7, v35
	s_delay_alu instid0(VALU_DEP_2) | instskip(NEXT) | instid1(VALU_DEP_1)
	v_and_or_b32 v36, 0x8000, v36, v119
	v_and_or_b32 v35, 0x380, v35, v36
	s_delay_alu instid0(VALU_DEP_1)
	v_cvt_f32_f16_e32 v119, v35
.LBB350_185:                            ;   in Loop: Header=BB350_16 Depth=1
	s_or_b32 exec_lo, exec_lo, s23
.LBB350_186:                            ;   in Loop: Header=BB350_16 Depth=1
	s_delay_alu instid0(SALU_CYCLE_1)
	s_or_b32 exec_lo, exec_lo, s22
.LBB350_187:                            ;   in Loop: Header=BB350_16 Depth=1
	s_delay_alu instid0(SALU_CYCLE_1) | instskip(SKIP_2) | instid1(VALU_DEP_1)
	s_or_b32 exec_lo, exec_lo, s21
	v_lshrrev_b16 v7, 8, v7
	s_mov_b32 s21, exec_lo
	v_cmpx_ne_u16_e32 0, v7
	s_cbranch_execz .LBB350_195
; %bb.188:                              ;   in Loop: Header=BB350_16 Depth=1
	v_bfrev_b32_e32 v128, 1
	s_mov_b32 s22, exec_lo
	v_cmpx_ne_u16_e32 0x80, v7
	s_cbranch_execz .LBB350_194
; %bb.189:                              ;   in Loop: Header=BB350_16 Depth=1
	v_and_b32_e32 v129, 0xffff, v7
	v_mov_b32_e32 v128, 0x7fc02000
	s_mov_b32 s23, exec_lo
	s_delay_alu instid0(VALU_DEP_2) | instskip(NEXT) | instid1(VALU_DEP_1)
	v_and_b32_e32 v35, 0x7f, v129
	v_cmpx_ne_u32_e32 0x7f, v35
	s_cbranch_execz .LBB350_193
; %bb.190:                              ;   in Loop: Header=BB350_16 Depth=1
	v_and_b32_e32 v7, 7, v129
	v_lshrrev_b32_e32 v128, 3, v35
	v_cmp_gt_u32_e64 s1, 8, v35
	s_delay_alu instid0(VALU_DEP_3) | instskip(NEXT) | instid1(VALU_DEP_2)
	v_dual_mov_b32 v36, v8 :: v_dual_mov_b32 v35, v7
	s_and_saveexec_b32 s24, s1
; %bb.191:                              ;   in Loop: Header=BB350_16 Depth=1
	v_clz_i32_u32_e32 v35, v7
	s_delay_alu instid0(VALU_DEP_1) | instskip(NEXT) | instid1(VALU_DEP_1)
	v_min_u32_e32 v128, 32, v35
	v_subrev_nc_u32_e32 v35, 28, v128
	v_sub_nc_u32_e32 v128, 29, v128
	s_delay_alu instid0(VALU_DEP_2) | instskip(NEXT) | instid1(VALU_DEP_1)
	v_lshlrev_b64 v[35:36], v35, v[7:8]
	v_and_b32_e32 v35, 7, v35
; %bb.192:                              ;   in Loop: Header=BB350_16 Depth=1
	s_or_b32 exec_lo, exec_lo, s24
	v_lshlrev_b32_e32 v7, 8, v129
	v_lshl_add_u32 v36, v128, 10, 0x2000
	s_delay_alu instid0(VALU_DEP_1) | instskip(NEXT) | instid1(VALU_DEP_1)
	v_and_or_b32 v7, 0x8000, v7, v36
	v_lshl_or_b32 v7, v35, 7, v7
	s_delay_alu instid0(VALU_DEP_1)
	v_cvt_f32_f16_e64 v128, v7
.LBB350_193:                            ;   in Loop: Header=BB350_16 Depth=1
	s_or_b32 exec_lo, exec_lo, s23
.LBB350_194:                            ;   in Loop: Header=BB350_16 Depth=1
	s_delay_alu instid0(SALU_CYCLE_1)
	s_or_b32 exec_lo, exec_lo, s22
.LBB350_195:                            ;   in Loop: Header=BB350_16 Depth=1
	s_delay_alu instid0(SALU_CYCLE_1) | instskip(SKIP_3) | instid1(VALU_DEP_2)
	s_or_b32 exec_lo, exec_lo, s21
	v_lshrrev_b32_e32 v131, 16, v34
	v_mov_b32_e32 v129, 0
	s_mov_b32 s21, exec_lo
	v_dual_mov_b32 v130, 0 :: v_dual_and_b32 v7, 0xff, v131
	s_delay_alu instid0(VALU_DEP_1)
	v_cmpx_ne_u16_e32 0, v7
	s_cbranch_execz .LBB350_203
; %bb.196:                              ;   in Loop: Header=BB350_16 Depth=1
	v_bfrev_b32_e32 v130, 1
	s_mov_b32 s22, exec_lo
	v_cmpx_ne_u16_e32 0x80, v7
	s_cbranch_execz .LBB350_202
; %bb.197:                              ;   in Loop: Header=BB350_16 Depth=1
	v_bfe_u32 v35, v34, 16, 7
	v_mov_b32_e32 v130, 0x7fc02000
	s_mov_b32 s23, exec_lo
	s_delay_alu instid0(VALU_DEP_2)
	v_cmpx_ne_u32_e32 0x7f, v35
	s_cbranch_execz .LBB350_201
; %bb.198:                              ;   in Loop: Header=BB350_16 Depth=1
	v_and_b32_e32 v7, 7, v131
	v_lshrrev_b32_e32 v130, 3, v35
	v_cmp_gt_u32_e64 s1, 8, v35
	s_delay_alu instid0(VALU_DEP_3) | instskip(NEXT) | instid1(VALU_DEP_2)
	v_dual_mov_b32 v36, v8 :: v_dual_mov_b32 v35, v7
	s_and_saveexec_b32 s24, s1
; %bb.199:                              ;   in Loop: Header=BB350_16 Depth=1
	v_clz_i32_u32_e32 v35, v7
	s_delay_alu instid0(VALU_DEP_1) | instskip(NEXT) | instid1(VALU_DEP_1)
	v_min_u32_e32 v130, 32, v35
	v_subrev_nc_u32_e32 v35, 28, v130
	v_sub_nc_u32_e32 v130, 29, v130
	s_delay_alu instid0(VALU_DEP_2) | instskip(NEXT) | instid1(VALU_DEP_1)
	v_lshlrev_b64 v[35:36], v35, v[7:8]
	v_and_b32_e32 v35, 7, v35
; %bb.200:                              ;   in Loop: Header=BB350_16 Depth=1
	s_or_b32 exec_lo, exec_lo, s24
	v_lshlrev_b32_e32 v7, 8, v131
	v_lshl_add_u32 v36, v130, 10, 0x2000
	s_delay_alu instid0(VALU_DEP_1) | instskip(NEXT) | instid1(VALU_DEP_1)
	v_and_or_b32 v7, 0x8000, v7, v36
	v_lshl_or_b32 v7, v35, 7, v7
	s_delay_alu instid0(VALU_DEP_1)
	v_cvt_f32_f16_e64 v130, v7
.LBB350_201:                            ;   in Loop: Header=BB350_16 Depth=1
	s_or_b32 exec_lo, exec_lo, s23
.LBB350_202:                            ;   in Loop: Header=BB350_16 Depth=1
	s_delay_alu instid0(SALU_CYCLE_1)
	s_or_b32 exec_lo, exec_lo, s22
.LBB350_203:                            ;   in Loop: Header=BB350_16 Depth=1
	s_delay_alu instid0(SALU_CYCLE_1) | instskip(NEXT) | instid1(SALU_CYCLE_1)
	s_or_b32 exec_lo, exec_lo, s21
	s_mov_b32 s21, exec_lo
	v_cmpx_lt_u64_e64 s[8:9], v[33:34]
	s_cbranch_execz .LBB350_211
; %bb.204:                              ;   in Loop: Header=BB350_16 Depth=1
	v_lshrrev_b32_e32 v35, 24, v34
	v_bfrev_b32_e32 v129, 1
	s_mov_b32 s22, exec_lo
	s_delay_alu instid0(VALU_DEP_2)
	v_cmpx_ne_u32_e32 0x80, v35
	s_cbranch_execz .LBB350_210
; %bb.205:                              ;   in Loop: Header=BB350_16 Depth=1
	v_and_b32_e32 v33, 0x7f, v35
	v_mov_b32_e32 v129, 0x7fc02000
	s_mov_b32 s23, exec_lo
	s_delay_alu instid0(VALU_DEP_2)
	v_cmpx_ne_u32_e32 0x7f, v33
	s_cbranch_execz .LBB350_209
; %bb.206:                              ;   in Loop: Header=BB350_16 Depth=1
	v_and_b32_e32 v7, 7, v35
	v_lshrrev_b32_e32 v36, 3, v33
	v_cmp_gt_u32_e64 s1, 8, v33
	s_delay_alu instid0(VALU_DEP_3) | instskip(NEXT) | instid1(VALU_DEP_2)
	v_dual_mov_b32 v34, v8 :: v_dual_mov_b32 v33, v7
	s_and_saveexec_b32 s24, s1
; %bb.207:                              ;   in Loop: Header=BB350_16 Depth=1
	v_clz_i32_u32_e32 v33, v7
	s_delay_alu instid0(VALU_DEP_1) | instskip(NEXT) | instid1(VALU_DEP_1)
	v_min_u32_e32 v36, 32, v33
	v_subrev_nc_u32_e32 v33, 28, v36
	v_sub_nc_u32_e32 v36, 29, v36
	s_delay_alu instid0(VALU_DEP_2) | instskip(NEXT) | instid1(VALU_DEP_1)
	v_lshlrev_b64 v[33:34], v33, v[7:8]
	v_and_b32_e32 v33, 7, v33
; %bb.208:                              ;   in Loop: Header=BB350_16 Depth=1
	s_or_b32 exec_lo, exec_lo, s24
	v_lshlrev_b32_e32 v7, 8, v35
	v_lshl_add_u32 v34, v36, 10, 0x2000
	s_delay_alu instid0(VALU_DEP_1) | instskip(NEXT) | instid1(VALU_DEP_1)
	v_and_or_b32 v7, 0x8000, v7, v34
	v_lshl_or_b32 v7, v33, 7, v7
	s_delay_alu instid0(VALU_DEP_1)
	v_cvt_f32_f16_e64 v129, v7
.LBB350_209:                            ;   in Loop: Header=BB350_16 Depth=1
	s_or_b32 exec_lo, exec_lo, s23
.LBB350_210:                            ;   in Loop: Header=BB350_16 Depth=1
	s_delay_alu instid0(SALU_CYCLE_1)
	s_or_b32 exec_lo, exec_lo, s22
.LBB350_211:                            ;   in Loop: Header=BB350_16 Depth=1
	s_delay_alu instid0(SALU_CYCLE_1)
	s_or_b32 exec_lo, exec_lo, s21
	flat_load_b64 v[33:34], v[31:32] offset:520
	v_mov_b32_e32 v131, 0
	s_mov_b32 s21, exec_lo
	s_waitcnt vmcnt(0) lgkmcnt(0)
	v_dual_mov_b32 v132, 0 :: v_dual_and_b32 v7, 0xff, v33
	s_delay_alu instid0(VALU_DEP_1)
	v_cmpx_ne_u16_e32 0, v7
	s_cbranch_execz .LBB350_219
; %bb.212:                              ;   in Loop: Header=BB350_16 Depth=1
	v_bfrev_b32_e32 v131, 1
	s_mov_b32 s22, exec_lo
	v_cmpx_ne_u16_e32 0x80, v7
	s_cbranch_execz .LBB350_218
; %bb.213:                              ;   in Loop: Header=BB350_16 Depth=1
	v_and_b32_e32 v35, 0x7f, v33
	v_mov_b32_e32 v131, 0x7fc02000
	s_mov_b32 s23, exec_lo
	s_delay_alu instid0(VALU_DEP_2)
	v_cmpx_ne_u32_e32 0x7f, v35
	s_cbranch_execz .LBB350_217
; %bb.214:                              ;   in Loop: Header=BB350_16 Depth=1
	v_lshrrev_b32_e32 v7, 3, v35
	v_cmp_gt_u32_e64 s1, 8, v35
	v_dual_mov_b32 v36, v34 :: v_dual_mov_b32 v35, v33
	s_delay_alu instid0(VALU_DEP_2)
	s_and_saveexec_b32 s24, s1
; %bb.215:                              ;   in Loop: Header=BB350_16 Depth=1
	v_and_b32_e32 v7, 7, v33
	s_delay_alu instid0(VALU_DEP_1) | instskip(NEXT) | instid1(VALU_DEP_1)
	v_clz_i32_u32_e32 v7, v7
	v_min_u32_e32 v7, 32, v7
	s_delay_alu instid0(VALU_DEP_1) | instskip(SKIP_1) | instid1(VALU_DEP_2)
	v_subrev_nc_u32_e32 v35, 28, v7
	v_sub_nc_u32_e32 v7, 29, v7
	v_lshlrev_b64 v[35:36], v35, v[33:34]
; %bb.216:                              ;   in Loop: Header=BB350_16 Depth=1
	s_or_b32 exec_lo, exec_lo, s24
	v_lshlrev_b32_e32 v36, 8, v33
	s_delay_alu instid0(VALU_DEP_3) | instskip(NEXT) | instid1(VALU_DEP_3)
	v_lshl_add_u32 v7, v7, 10, 0x2000
	v_lshlrev_b32_e32 v35, 7, v35
	s_delay_alu instid0(VALU_DEP_2) | instskip(NEXT) | instid1(VALU_DEP_1)
	v_and_or_b32 v7, 0x8000, v36, v7
	v_and_or_b32 v7, 0x380, v35, v7
	s_delay_alu instid0(VALU_DEP_1)
	v_cvt_f32_f16_e64 v131, v7
.LBB350_217:                            ;   in Loop: Header=BB350_16 Depth=1
	s_or_b32 exec_lo, exec_lo, s23
.LBB350_218:                            ;   in Loop: Header=BB350_16 Depth=1
	s_delay_alu instid0(SALU_CYCLE_1)
	s_or_b32 exec_lo, exec_lo, s22
.LBB350_219:                            ;   in Loop: Header=BB350_16 Depth=1
	s_delay_alu instid0(SALU_CYCLE_1) | instskip(SKIP_2) | instid1(VALU_DEP_1)
	s_or_b32 exec_lo, exec_lo, s21
	v_lshrrev_b16 v7, 8, v33
	s_mov_b32 s21, exec_lo
	v_cmpx_ne_u16_e32 0, v7
	s_cbranch_execz .LBB350_227
; %bb.220:                              ;   in Loop: Header=BB350_16 Depth=1
	v_bfrev_b32_e32 v132, 1
	s_mov_b32 s22, exec_lo
	v_cmpx_ne_u16_e32 0x80, v7
	s_cbranch_execz .LBB350_226
; %bb.221:                              ;   in Loop: Header=BB350_16 Depth=1
	v_and_b32_e32 v133, 0xffff, v7
	v_mov_b32_e32 v132, 0x7fc02000
	s_mov_b32 s23, exec_lo
	s_delay_alu instid0(VALU_DEP_2) | instskip(NEXT) | instid1(VALU_DEP_1)
	v_and_b32_e32 v35, 0x7f, v133
	v_cmpx_ne_u32_e32 0x7f, v35
	s_cbranch_execz .LBB350_225
; %bb.222:                              ;   in Loop: Header=BB350_16 Depth=1
	v_and_b32_e32 v7, 7, v133
	v_lshrrev_b32_e32 v132, 3, v35
	v_cmp_gt_u32_e64 s1, 8, v35
	s_delay_alu instid0(VALU_DEP_3) | instskip(NEXT) | instid1(VALU_DEP_2)
	v_dual_mov_b32 v36, v8 :: v_dual_mov_b32 v35, v7
	s_and_saveexec_b32 s24, s1
; %bb.223:                              ;   in Loop: Header=BB350_16 Depth=1
	v_clz_i32_u32_e32 v35, v7
	s_delay_alu instid0(VALU_DEP_1) | instskip(NEXT) | instid1(VALU_DEP_1)
	v_min_u32_e32 v132, 32, v35
	v_subrev_nc_u32_e32 v35, 28, v132
	v_sub_nc_u32_e32 v132, 29, v132
	s_delay_alu instid0(VALU_DEP_2) | instskip(NEXT) | instid1(VALU_DEP_1)
	v_lshlrev_b64 v[35:36], v35, v[7:8]
	v_and_b32_e32 v35, 7, v35
; %bb.224:                              ;   in Loop: Header=BB350_16 Depth=1
	s_or_b32 exec_lo, exec_lo, s24
	v_lshlrev_b32_e32 v7, 8, v133
	v_lshl_add_u32 v36, v132, 10, 0x2000
	s_delay_alu instid0(VALU_DEP_1) | instskip(NEXT) | instid1(VALU_DEP_1)
	v_and_or_b32 v7, 0x8000, v7, v36
	v_lshl_or_b32 v7, v35, 7, v7
	s_delay_alu instid0(VALU_DEP_1)
	v_cvt_f32_f16_e64 v132, v7
.LBB350_225:                            ;   in Loop: Header=BB350_16 Depth=1
	s_or_b32 exec_lo, exec_lo, s23
.LBB350_226:                            ;   in Loop: Header=BB350_16 Depth=1
	s_delay_alu instid0(SALU_CYCLE_1)
	s_or_b32 exec_lo, exec_lo, s22
.LBB350_227:                            ;   in Loop: Header=BB350_16 Depth=1
	s_delay_alu instid0(SALU_CYCLE_1) | instskip(SKIP_3) | instid1(VALU_DEP_2)
	s_or_b32 exec_lo, exec_lo, s21
	v_lshrrev_b32_e32 v135, 16, v33
	v_mov_b32_e32 v133, 0
	s_mov_b32 s21, exec_lo
	v_dual_mov_b32 v134, 0 :: v_dual_and_b32 v7, 0xff, v135
	s_delay_alu instid0(VALU_DEP_1)
	v_cmpx_ne_u16_e32 0, v7
	s_cbranch_execz .LBB350_235
; %bb.228:                              ;   in Loop: Header=BB350_16 Depth=1
	v_bfrev_b32_e32 v133, 1
	s_mov_b32 s22, exec_lo
	v_cmpx_ne_u16_e32 0x80, v7
	s_cbranch_execz .LBB350_234
; %bb.229:                              ;   in Loop: Header=BB350_16 Depth=1
	v_bfe_u32 v35, v33, 16, 7
	v_mov_b32_e32 v133, 0x7fc02000
	s_mov_b32 s23, exec_lo
	s_delay_alu instid0(VALU_DEP_2)
	v_cmpx_ne_u32_e32 0x7f, v35
	s_cbranch_execz .LBB350_233
; %bb.230:                              ;   in Loop: Header=BB350_16 Depth=1
	v_and_b32_e32 v7, 7, v135
	v_lshrrev_b32_e32 v133, 3, v35
	v_cmp_gt_u32_e64 s1, 8, v35
	s_delay_alu instid0(VALU_DEP_3) | instskip(NEXT) | instid1(VALU_DEP_2)
	v_dual_mov_b32 v36, v8 :: v_dual_mov_b32 v35, v7
	s_and_saveexec_b32 s24, s1
; %bb.231:                              ;   in Loop: Header=BB350_16 Depth=1
	v_clz_i32_u32_e32 v35, v7
	s_delay_alu instid0(VALU_DEP_1) | instskip(NEXT) | instid1(VALU_DEP_1)
	v_min_u32_e32 v133, 32, v35
	v_subrev_nc_u32_e32 v35, 28, v133
	v_sub_nc_u32_e32 v133, 29, v133
	s_delay_alu instid0(VALU_DEP_2) | instskip(NEXT) | instid1(VALU_DEP_1)
	v_lshlrev_b64 v[35:36], v35, v[7:8]
	v_and_b32_e32 v35, 7, v35
; %bb.232:                              ;   in Loop: Header=BB350_16 Depth=1
	s_or_b32 exec_lo, exec_lo, s24
	v_lshlrev_b32_e32 v7, 8, v135
	v_lshl_add_u32 v36, v133, 10, 0x2000
	s_delay_alu instid0(VALU_DEP_1) | instskip(NEXT) | instid1(VALU_DEP_1)
	v_and_or_b32 v7, 0x8000, v7, v36
	v_lshl_or_b32 v7, v35, 7, v7
	s_delay_alu instid0(VALU_DEP_1)
	v_cvt_f32_f16_e64 v133, v7
.LBB350_233:                            ;   in Loop: Header=BB350_16 Depth=1
	s_or_b32 exec_lo, exec_lo, s23
.LBB350_234:                            ;   in Loop: Header=BB350_16 Depth=1
	s_delay_alu instid0(SALU_CYCLE_1)
	s_or_b32 exec_lo, exec_lo, s22
.LBB350_235:                            ;   in Loop: Header=BB350_16 Depth=1
	s_delay_alu instid0(SALU_CYCLE_1) | instskip(NEXT) | instid1(SALU_CYCLE_1)
	s_or_b32 exec_lo, exec_lo, s21
	s_mov_b32 s21, exec_lo
	v_cmpx_lt_u32_e32 0xffffff, v33
	s_cbranch_execz .LBB350_243
; %bb.236:                              ;   in Loop: Header=BB350_16 Depth=1
	v_lshrrev_b32_e32 v135, 24, v33
	v_bfrev_b32_e32 v134, 1
	s_mov_b32 s22, exec_lo
	s_delay_alu instid0(VALU_DEP_2)
	v_cmpx_ne_u32_e32 0x80, v135
	s_cbranch_execz .LBB350_242
; %bb.237:                              ;   in Loop: Header=BB350_16 Depth=1
	v_and_b32_e32 v35, 0x7f, v135
	v_mov_b32_e32 v134, 0x7fc02000
	s_mov_b32 s23, exec_lo
	s_delay_alu instid0(VALU_DEP_2)
	v_cmpx_ne_u32_e32 0x7f, v35
	s_cbranch_execz .LBB350_241
; %bb.238:                              ;   in Loop: Header=BB350_16 Depth=1
	v_and_b32_e32 v7, 7, v135
	v_lshrrev_b32_e32 v134, 3, v35
	v_cmp_gt_u32_e64 s1, 8, v35
	s_delay_alu instid0(VALU_DEP_3) | instskip(NEXT) | instid1(VALU_DEP_2)
	v_dual_mov_b32 v36, v8 :: v_dual_mov_b32 v35, v7
	s_and_saveexec_b32 s24, s1
; %bb.239:                              ;   in Loop: Header=BB350_16 Depth=1
	v_clz_i32_u32_e32 v35, v7
	s_delay_alu instid0(VALU_DEP_1) | instskip(NEXT) | instid1(VALU_DEP_1)
	v_min_u32_e32 v134, 32, v35
	v_subrev_nc_u32_e32 v35, 28, v134
	v_sub_nc_u32_e32 v134, 29, v134
	s_delay_alu instid0(VALU_DEP_2) | instskip(NEXT) | instid1(VALU_DEP_1)
	v_lshlrev_b64 v[35:36], v35, v[7:8]
	v_and_b32_e32 v35, 7, v35
; %bb.240:                              ;   in Loop: Header=BB350_16 Depth=1
	s_or_b32 exec_lo, exec_lo, s24
	v_lshlrev_b32_e32 v7, 8, v135
	v_lshl_add_u32 v36, v134, 10, 0x2000
	s_delay_alu instid0(VALU_DEP_1) | instskip(NEXT) | instid1(VALU_DEP_1)
	v_and_or_b32 v7, 0x8000, v7, v36
	v_lshl_or_b32 v7, v35, 7, v7
	s_delay_alu instid0(VALU_DEP_1)
	v_cvt_f32_f16_e64 v134, v7
.LBB350_241:                            ;   in Loop: Header=BB350_16 Depth=1
	s_or_b32 exec_lo, exec_lo, s23
.LBB350_242:                            ;   in Loop: Header=BB350_16 Depth=1
	s_delay_alu instid0(SALU_CYCLE_1)
	s_or_b32 exec_lo, exec_lo, s22
.LBB350_243:                            ;   in Loop: Header=BB350_16 Depth=1
	s_delay_alu instid0(SALU_CYCLE_1) | instskip(SKIP_4) | instid1(VALU_DEP_3)
	s_or_b32 exec_lo, exec_lo, s21
	v_dual_mov_b32 v144, 0 :: v_dual_and_b32 v35, 0xff, v34
	v_mov_b32_e32 v7, v34
	v_mov_b32_e32 v135, 0
	s_mov_b32 s21, exec_lo
	v_cmpx_ne_u16_e32 0, v35
	s_cbranch_execz .LBB350_251
; %bb.244:                              ;   in Loop: Header=BB350_16 Depth=1
	v_bfrev_b32_e32 v135, 1
	s_mov_b32 s22, exec_lo
	v_cmpx_ne_u16_e32 0x80, v35
	s_cbranch_execz .LBB350_250
; %bb.245:                              ;   in Loop: Header=BB350_16 Depth=1
	v_and_b32_e32 v35, 0x7f, v34
	v_mov_b32_e32 v135, 0x7fc02000
	s_mov_b32 s23, exec_lo
	s_delay_alu instid0(VALU_DEP_2)
	v_cmpx_ne_u32_e32 0x7f, v35
	s_cbranch_execz .LBB350_249
; %bb.246:                              ;   in Loop: Header=BB350_16 Depth=1
	v_lshrrev_b32_e32 v135, 3, v35
	v_cmp_gt_u32_e64 s1, 8, v35
	v_dual_mov_b32 v36, v8 :: v_dual_mov_b32 v35, v7
	s_delay_alu instid0(VALU_DEP_2)
	s_and_saveexec_b32 s24, s1
; %bb.247:                              ;   in Loop: Header=BB350_16 Depth=1
	v_and_b32_e32 v35, 7, v34
	s_delay_alu instid0(VALU_DEP_1) | instskip(NEXT) | instid1(VALU_DEP_1)
	v_clz_i32_u32_e32 v35, v35
	v_min_u32_e32 v135, 32, v35
	s_delay_alu instid0(VALU_DEP_1) | instskip(SKIP_1) | instid1(VALU_DEP_2)
	v_subrev_nc_u32_e32 v35, 28, v135
	v_sub_nc_u32_e32 v135, 29, v135
	v_lshlrev_b64 v[35:36], v35, v[7:8]
; %bb.248:                              ;   in Loop: Header=BB350_16 Depth=1
	s_or_b32 exec_lo, exec_lo, s24
	v_lshlrev_b32_e32 v36, 8, v34
	s_delay_alu instid0(VALU_DEP_3) | instskip(NEXT) | instid1(VALU_DEP_3)
	v_lshl_add_u32 v135, v135, 10, 0x2000
	v_lshlrev_b32_e32 v35, 7, v35
	s_delay_alu instid0(VALU_DEP_2) | instskip(NEXT) | instid1(VALU_DEP_1)
	v_and_or_b32 v36, 0x8000, v36, v135
	v_and_or_b32 v35, 0x380, v35, v36
	s_delay_alu instid0(VALU_DEP_1)
	v_cvt_f32_f16_e64 v135, v35
.LBB350_249:                            ;   in Loop: Header=BB350_16 Depth=1
	s_or_b32 exec_lo, exec_lo, s23
.LBB350_250:                            ;   in Loop: Header=BB350_16 Depth=1
	s_delay_alu instid0(SALU_CYCLE_1)
	s_or_b32 exec_lo, exec_lo, s22
.LBB350_251:                            ;   in Loop: Header=BB350_16 Depth=1
	s_delay_alu instid0(SALU_CYCLE_1) | instskip(SKIP_2) | instid1(VALU_DEP_1)
	s_or_b32 exec_lo, exec_lo, s21
	v_lshrrev_b16 v7, 8, v7
	s_mov_b32 s21, exec_lo
	v_cmpx_ne_u16_e32 0, v7
	s_cbranch_execz .LBB350_259
; %bb.252:                              ;   in Loop: Header=BB350_16 Depth=1
	v_bfrev_b32_e32 v144, 1
	s_mov_b32 s22, exec_lo
	v_cmpx_ne_u16_e32 0x80, v7
	s_cbranch_execz .LBB350_258
; %bb.253:                              ;   in Loop: Header=BB350_16 Depth=1
	v_and_b32_e32 v145, 0xffff, v7
	v_mov_b32_e32 v144, 0x7fc02000
	s_mov_b32 s23, exec_lo
	s_delay_alu instid0(VALU_DEP_2) | instskip(NEXT) | instid1(VALU_DEP_1)
	v_and_b32_e32 v35, 0x7f, v145
	v_cmpx_ne_u32_e32 0x7f, v35
	s_cbranch_execz .LBB350_257
; %bb.254:                              ;   in Loop: Header=BB350_16 Depth=1
	v_and_b32_e32 v7, 7, v145
	v_lshrrev_b32_e32 v144, 3, v35
	v_cmp_gt_u32_e64 s1, 8, v35
	s_delay_alu instid0(VALU_DEP_3) | instskip(NEXT) | instid1(VALU_DEP_2)
	v_dual_mov_b32 v36, v8 :: v_dual_mov_b32 v35, v7
	s_and_saveexec_b32 s24, s1
; %bb.255:                              ;   in Loop: Header=BB350_16 Depth=1
	v_clz_i32_u32_e32 v35, v7
	s_delay_alu instid0(VALU_DEP_1) | instskip(NEXT) | instid1(VALU_DEP_1)
	v_min_u32_e32 v144, 32, v35
	v_subrev_nc_u32_e32 v35, 28, v144
	v_sub_nc_u32_e32 v144, 29, v144
	s_delay_alu instid0(VALU_DEP_2) | instskip(NEXT) | instid1(VALU_DEP_1)
	v_lshlrev_b64 v[35:36], v35, v[7:8]
	v_and_b32_e32 v35, 7, v35
; %bb.256:                              ;   in Loop: Header=BB350_16 Depth=1
	s_or_b32 exec_lo, exec_lo, s24
	v_lshlrev_b32_e32 v7, 8, v145
	v_lshl_add_u32 v36, v144, 10, 0x2000
	s_delay_alu instid0(VALU_DEP_1) | instskip(NEXT) | instid1(VALU_DEP_1)
	v_and_or_b32 v7, 0x8000, v7, v36
	v_lshl_or_b32 v7, v35, 7, v7
	s_delay_alu instid0(VALU_DEP_1)
	v_cvt_f32_f16_e64 v144, v7
.LBB350_257:                            ;   in Loop: Header=BB350_16 Depth=1
	s_or_b32 exec_lo, exec_lo, s23
.LBB350_258:                            ;   in Loop: Header=BB350_16 Depth=1
	s_delay_alu instid0(SALU_CYCLE_1)
	s_or_b32 exec_lo, exec_lo, s22
.LBB350_259:                            ;   in Loop: Header=BB350_16 Depth=1
	s_delay_alu instid0(SALU_CYCLE_1) | instskip(SKIP_3) | instid1(VALU_DEP_2)
	s_or_b32 exec_lo, exec_lo, s21
	v_lshrrev_b32_e32 v147, 16, v34
	v_mov_b32_e32 v145, 0
	s_mov_b32 s21, exec_lo
	v_dual_mov_b32 v146, 0 :: v_dual_and_b32 v7, 0xff, v147
	s_delay_alu instid0(VALU_DEP_1)
	v_cmpx_ne_u16_e32 0, v7
	s_cbranch_execz .LBB350_267
; %bb.260:                              ;   in Loop: Header=BB350_16 Depth=1
	v_bfrev_b32_e32 v146, 1
	s_mov_b32 s22, exec_lo
	v_cmpx_ne_u16_e32 0x80, v7
	s_cbranch_execz .LBB350_266
; %bb.261:                              ;   in Loop: Header=BB350_16 Depth=1
	v_bfe_u32 v35, v34, 16, 7
	v_mov_b32_e32 v146, 0x7fc02000
	s_mov_b32 s23, exec_lo
	s_delay_alu instid0(VALU_DEP_2)
	v_cmpx_ne_u32_e32 0x7f, v35
	s_cbranch_execz .LBB350_265
; %bb.262:                              ;   in Loop: Header=BB350_16 Depth=1
	v_and_b32_e32 v7, 7, v147
	v_lshrrev_b32_e32 v146, 3, v35
	v_cmp_gt_u32_e64 s1, 8, v35
	s_delay_alu instid0(VALU_DEP_3) | instskip(NEXT) | instid1(VALU_DEP_2)
	v_dual_mov_b32 v36, v8 :: v_dual_mov_b32 v35, v7
	s_and_saveexec_b32 s24, s1
; %bb.263:                              ;   in Loop: Header=BB350_16 Depth=1
	v_clz_i32_u32_e32 v35, v7
	s_delay_alu instid0(VALU_DEP_1) | instskip(NEXT) | instid1(VALU_DEP_1)
	v_min_u32_e32 v146, 32, v35
	v_subrev_nc_u32_e32 v35, 28, v146
	v_sub_nc_u32_e32 v146, 29, v146
	s_delay_alu instid0(VALU_DEP_2) | instskip(NEXT) | instid1(VALU_DEP_1)
	v_lshlrev_b64 v[35:36], v35, v[7:8]
	v_and_b32_e32 v35, 7, v35
; %bb.264:                              ;   in Loop: Header=BB350_16 Depth=1
	s_or_b32 exec_lo, exec_lo, s24
	v_lshlrev_b32_e32 v7, 8, v147
	v_lshl_add_u32 v36, v146, 10, 0x2000
	s_delay_alu instid0(VALU_DEP_1) | instskip(NEXT) | instid1(VALU_DEP_1)
	v_and_or_b32 v7, 0x8000, v7, v36
	v_lshl_or_b32 v7, v35, 7, v7
	s_delay_alu instid0(VALU_DEP_1)
	v_cvt_f32_f16_e64 v146, v7
.LBB350_265:                            ;   in Loop: Header=BB350_16 Depth=1
	s_or_b32 exec_lo, exec_lo, s23
.LBB350_266:                            ;   in Loop: Header=BB350_16 Depth=1
	s_delay_alu instid0(SALU_CYCLE_1)
	s_or_b32 exec_lo, exec_lo, s22
.LBB350_267:                            ;   in Loop: Header=BB350_16 Depth=1
	s_delay_alu instid0(SALU_CYCLE_1) | instskip(NEXT) | instid1(SALU_CYCLE_1)
	s_or_b32 exec_lo, exec_lo, s21
	s_mov_b32 s21, exec_lo
	v_cmpx_lt_u64_e64 s[8:9], v[33:34]
	s_cbranch_execz .LBB350_275
; %bb.268:                              ;   in Loop: Header=BB350_16 Depth=1
	v_lshrrev_b32_e32 v35, 24, v34
	v_bfrev_b32_e32 v145, 1
	s_mov_b32 s22, exec_lo
	s_delay_alu instid0(VALU_DEP_2)
	v_cmpx_ne_u32_e32 0x80, v35
	s_cbranch_execz .LBB350_274
; %bb.269:                              ;   in Loop: Header=BB350_16 Depth=1
	v_and_b32_e32 v33, 0x7f, v35
	v_mov_b32_e32 v145, 0x7fc02000
	s_mov_b32 s23, exec_lo
	s_delay_alu instid0(VALU_DEP_2)
	v_cmpx_ne_u32_e32 0x7f, v33
	s_cbranch_execz .LBB350_273
; %bb.270:                              ;   in Loop: Header=BB350_16 Depth=1
	v_and_b32_e32 v7, 7, v35
	v_lshrrev_b32_e32 v36, 3, v33
	v_cmp_gt_u32_e64 s1, 8, v33
	s_delay_alu instid0(VALU_DEP_3) | instskip(NEXT) | instid1(VALU_DEP_2)
	v_dual_mov_b32 v34, v8 :: v_dual_mov_b32 v33, v7
	s_and_saveexec_b32 s24, s1
; %bb.271:                              ;   in Loop: Header=BB350_16 Depth=1
	v_clz_i32_u32_e32 v33, v7
	s_delay_alu instid0(VALU_DEP_1) | instskip(NEXT) | instid1(VALU_DEP_1)
	v_min_u32_e32 v36, 32, v33
	v_subrev_nc_u32_e32 v33, 28, v36
	v_sub_nc_u32_e32 v36, 29, v36
	s_delay_alu instid0(VALU_DEP_2) | instskip(NEXT) | instid1(VALU_DEP_1)
	v_lshlrev_b64 v[33:34], v33, v[7:8]
	v_and_b32_e32 v33, 7, v33
; %bb.272:                              ;   in Loop: Header=BB350_16 Depth=1
	s_or_b32 exec_lo, exec_lo, s24
	v_lshlrev_b32_e32 v7, 8, v35
	v_lshl_add_u32 v34, v36, 10, 0x2000
	s_delay_alu instid0(VALU_DEP_1) | instskip(NEXT) | instid1(VALU_DEP_1)
	v_and_or_b32 v7, 0x8000, v7, v34
	v_lshl_or_b32 v7, v33, 7, v7
	s_delay_alu instid0(VALU_DEP_1)
	v_cvt_f32_f16_e64 v145, v7
.LBB350_273:                            ;   in Loop: Header=BB350_16 Depth=1
	s_or_b32 exec_lo, exec_lo, s23
.LBB350_274:                            ;   in Loop: Header=BB350_16 Depth=1
	s_delay_alu instid0(SALU_CYCLE_1)
	s_or_b32 exec_lo, exec_lo, s22
.LBB350_275:                            ;   in Loop: Header=BB350_16 Depth=1
	s_delay_alu instid0(SALU_CYCLE_1)
	s_or_b32 exec_lo, exec_lo, s21
	flat_load_b64 v[33:34], v[31:32] offset:1024
	v_mov_b32_e32 v147, 0
	s_mov_b32 s21, exec_lo
	s_waitcnt vmcnt(0) lgkmcnt(0)
	v_dual_mov_b32 v148, 0 :: v_dual_and_b32 v7, 0xff, v33
	s_delay_alu instid0(VALU_DEP_1)
	v_cmpx_ne_u16_e32 0, v7
	s_cbranch_execz .LBB350_283
; %bb.276:                              ;   in Loop: Header=BB350_16 Depth=1
	v_bfrev_b32_e32 v147, 1
	s_mov_b32 s22, exec_lo
	v_cmpx_ne_u16_e32 0x80, v7
	s_cbranch_execz .LBB350_282
; %bb.277:                              ;   in Loop: Header=BB350_16 Depth=1
	v_and_b32_e32 v35, 0x7f, v33
	v_mov_b32_e32 v147, 0x7fc02000
	s_mov_b32 s23, exec_lo
	s_delay_alu instid0(VALU_DEP_2)
	v_cmpx_ne_u32_e32 0x7f, v35
	s_cbranch_execz .LBB350_281
; %bb.278:                              ;   in Loop: Header=BB350_16 Depth=1
	v_lshrrev_b32_e32 v7, 3, v35
	v_cmp_gt_u32_e64 s1, 8, v35
	v_dual_mov_b32 v36, v34 :: v_dual_mov_b32 v35, v33
	s_delay_alu instid0(VALU_DEP_2)
	s_and_saveexec_b32 s24, s1
; %bb.279:                              ;   in Loop: Header=BB350_16 Depth=1
	v_and_b32_e32 v7, 7, v33
	s_delay_alu instid0(VALU_DEP_1) | instskip(NEXT) | instid1(VALU_DEP_1)
	v_clz_i32_u32_e32 v7, v7
	v_min_u32_e32 v7, 32, v7
	s_delay_alu instid0(VALU_DEP_1) | instskip(SKIP_1) | instid1(VALU_DEP_2)
	v_subrev_nc_u32_e32 v35, 28, v7
	v_sub_nc_u32_e32 v7, 29, v7
	v_lshlrev_b64 v[35:36], v35, v[33:34]
; %bb.280:                              ;   in Loop: Header=BB350_16 Depth=1
	s_or_b32 exec_lo, exec_lo, s24
	v_lshlrev_b32_e32 v36, 8, v33
	s_delay_alu instid0(VALU_DEP_3) | instskip(NEXT) | instid1(VALU_DEP_3)
	v_lshl_add_u32 v7, v7, 10, 0x2000
	v_lshlrev_b32_e32 v35, 7, v35
	s_delay_alu instid0(VALU_DEP_2) | instskip(NEXT) | instid1(VALU_DEP_1)
	v_and_or_b32 v7, 0x8000, v36, v7
	v_and_or_b32 v7, 0x380, v35, v7
	s_delay_alu instid0(VALU_DEP_1)
	v_cvt_f32_f16_e64 v147, v7
.LBB350_281:                            ;   in Loop: Header=BB350_16 Depth=1
	s_or_b32 exec_lo, exec_lo, s23
.LBB350_282:                            ;   in Loop: Header=BB350_16 Depth=1
	s_delay_alu instid0(SALU_CYCLE_1)
	s_or_b32 exec_lo, exec_lo, s22
.LBB350_283:                            ;   in Loop: Header=BB350_16 Depth=1
	s_delay_alu instid0(SALU_CYCLE_1) | instskip(SKIP_2) | instid1(VALU_DEP_1)
	s_or_b32 exec_lo, exec_lo, s21
	v_lshrrev_b16 v7, 8, v33
	s_mov_b32 s21, exec_lo
	v_cmpx_ne_u16_e32 0, v7
	s_cbranch_execz .LBB350_291
; %bb.284:                              ;   in Loop: Header=BB350_16 Depth=1
	v_bfrev_b32_e32 v148, 1
	s_mov_b32 s22, exec_lo
	v_cmpx_ne_u16_e32 0x80, v7
	s_cbranch_execz .LBB350_290
; %bb.285:                              ;   in Loop: Header=BB350_16 Depth=1
	v_and_b32_e32 v149, 0xffff, v7
	v_mov_b32_e32 v148, 0x7fc02000
	s_mov_b32 s23, exec_lo
	s_delay_alu instid0(VALU_DEP_2) | instskip(NEXT) | instid1(VALU_DEP_1)
	v_and_b32_e32 v35, 0x7f, v149
	v_cmpx_ne_u32_e32 0x7f, v35
	s_cbranch_execz .LBB350_289
; %bb.286:                              ;   in Loop: Header=BB350_16 Depth=1
	v_and_b32_e32 v7, 7, v149
	v_lshrrev_b32_e32 v148, 3, v35
	v_cmp_gt_u32_e64 s1, 8, v35
	s_delay_alu instid0(VALU_DEP_3) | instskip(NEXT) | instid1(VALU_DEP_2)
	v_dual_mov_b32 v36, v8 :: v_dual_mov_b32 v35, v7
	s_and_saveexec_b32 s24, s1
; %bb.287:                              ;   in Loop: Header=BB350_16 Depth=1
	v_clz_i32_u32_e32 v35, v7
	s_delay_alu instid0(VALU_DEP_1) | instskip(NEXT) | instid1(VALU_DEP_1)
	v_min_u32_e32 v148, 32, v35
	v_subrev_nc_u32_e32 v35, 28, v148
	v_sub_nc_u32_e32 v148, 29, v148
	s_delay_alu instid0(VALU_DEP_2) | instskip(NEXT) | instid1(VALU_DEP_1)
	v_lshlrev_b64 v[35:36], v35, v[7:8]
	v_and_b32_e32 v35, 7, v35
; %bb.288:                              ;   in Loop: Header=BB350_16 Depth=1
	s_or_b32 exec_lo, exec_lo, s24
	v_lshlrev_b32_e32 v7, 8, v149
	v_lshl_add_u32 v36, v148, 10, 0x2000
	s_delay_alu instid0(VALU_DEP_1) | instskip(NEXT) | instid1(VALU_DEP_1)
	v_and_or_b32 v7, 0x8000, v7, v36
	v_lshl_or_b32 v7, v35, 7, v7
	s_delay_alu instid0(VALU_DEP_1)
	v_cvt_f32_f16_e64 v148, v7
.LBB350_289:                            ;   in Loop: Header=BB350_16 Depth=1
	s_or_b32 exec_lo, exec_lo, s23
.LBB350_290:                            ;   in Loop: Header=BB350_16 Depth=1
	s_delay_alu instid0(SALU_CYCLE_1)
	s_or_b32 exec_lo, exec_lo, s22
.LBB350_291:                            ;   in Loop: Header=BB350_16 Depth=1
	s_delay_alu instid0(SALU_CYCLE_1) | instskip(SKIP_3) | instid1(VALU_DEP_2)
	s_or_b32 exec_lo, exec_lo, s21
	v_lshrrev_b32_e32 v151, 16, v33
	v_mov_b32_e32 v149, 0
	s_mov_b32 s21, exec_lo
	v_dual_mov_b32 v150, 0 :: v_dual_and_b32 v7, 0xff, v151
	s_delay_alu instid0(VALU_DEP_1)
	v_cmpx_ne_u16_e32 0, v7
	s_cbranch_execz .LBB350_299
; %bb.292:                              ;   in Loop: Header=BB350_16 Depth=1
	v_bfrev_b32_e32 v149, 1
	s_mov_b32 s22, exec_lo
	v_cmpx_ne_u16_e32 0x80, v7
	s_cbranch_execz .LBB350_298
; %bb.293:                              ;   in Loop: Header=BB350_16 Depth=1
	v_bfe_u32 v35, v33, 16, 7
	v_mov_b32_e32 v149, 0x7fc02000
	s_mov_b32 s23, exec_lo
	s_delay_alu instid0(VALU_DEP_2)
	v_cmpx_ne_u32_e32 0x7f, v35
	s_cbranch_execz .LBB350_297
; %bb.294:                              ;   in Loop: Header=BB350_16 Depth=1
	v_and_b32_e32 v7, 7, v151
	v_lshrrev_b32_e32 v149, 3, v35
	v_cmp_gt_u32_e64 s1, 8, v35
	s_delay_alu instid0(VALU_DEP_3) | instskip(NEXT) | instid1(VALU_DEP_2)
	v_dual_mov_b32 v36, v8 :: v_dual_mov_b32 v35, v7
	s_and_saveexec_b32 s24, s1
; %bb.295:                              ;   in Loop: Header=BB350_16 Depth=1
	v_clz_i32_u32_e32 v35, v7
	s_delay_alu instid0(VALU_DEP_1) | instskip(NEXT) | instid1(VALU_DEP_1)
	v_min_u32_e32 v149, 32, v35
	v_subrev_nc_u32_e32 v35, 28, v149
	v_sub_nc_u32_e32 v149, 29, v149
	s_delay_alu instid0(VALU_DEP_2) | instskip(NEXT) | instid1(VALU_DEP_1)
	v_lshlrev_b64 v[35:36], v35, v[7:8]
	v_and_b32_e32 v35, 7, v35
; %bb.296:                              ;   in Loop: Header=BB350_16 Depth=1
	s_or_b32 exec_lo, exec_lo, s24
	v_lshlrev_b32_e32 v7, 8, v151
	v_lshl_add_u32 v36, v149, 10, 0x2000
	s_delay_alu instid0(VALU_DEP_1) | instskip(NEXT) | instid1(VALU_DEP_1)
	v_and_or_b32 v7, 0x8000, v7, v36
	v_lshl_or_b32 v7, v35, 7, v7
	s_delay_alu instid0(VALU_DEP_1)
	v_cvt_f32_f16_e64 v149, v7
.LBB350_297:                            ;   in Loop: Header=BB350_16 Depth=1
	s_or_b32 exec_lo, exec_lo, s23
.LBB350_298:                            ;   in Loop: Header=BB350_16 Depth=1
	s_delay_alu instid0(SALU_CYCLE_1)
	s_or_b32 exec_lo, exec_lo, s22
.LBB350_299:                            ;   in Loop: Header=BB350_16 Depth=1
	s_delay_alu instid0(SALU_CYCLE_1) | instskip(NEXT) | instid1(SALU_CYCLE_1)
	s_or_b32 exec_lo, exec_lo, s21
	s_mov_b32 s21, exec_lo
	v_cmpx_lt_u32_e32 0xffffff, v33
	s_cbranch_execz .LBB350_307
; %bb.300:                              ;   in Loop: Header=BB350_16 Depth=1
	v_lshrrev_b32_e32 v151, 24, v33
	v_bfrev_b32_e32 v150, 1
	s_mov_b32 s22, exec_lo
	s_delay_alu instid0(VALU_DEP_2)
	v_cmpx_ne_u32_e32 0x80, v151
	s_cbranch_execz .LBB350_306
; %bb.301:                              ;   in Loop: Header=BB350_16 Depth=1
	v_and_b32_e32 v35, 0x7f, v151
	v_mov_b32_e32 v150, 0x7fc02000
	s_mov_b32 s23, exec_lo
	s_delay_alu instid0(VALU_DEP_2)
	v_cmpx_ne_u32_e32 0x7f, v35
	s_cbranch_execz .LBB350_305
; %bb.302:                              ;   in Loop: Header=BB350_16 Depth=1
	v_and_b32_e32 v7, 7, v151
	v_lshrrev_b32_e32 v150, 3, v35
	v_cmp_gt_u32_e64 s1, 8, v35
	s_delay_alu instid0(VALU_DEP_3) | instskip(NEXT) | instid1(VALU_DEP_2)
	v_dual_mov_b32 v36, v8 :: v_dual_mov_b32 v35, v7
	s_and_saveexec_b32 s24, s1
; %bb.303:                              ;   in Loop: Header=BB350_16 Depth=1
	v_clz_i32_u32_e32 v35, v7
	s_delay_alu instid0(VALU_DEP_1) | instskip(NEXT) | instid1(VALU_DEP_1)
	v_min_u32_e32 v150, 32, v35
	v_subrev_nc_u32_e32 v35, 28, v150
	v_sub_nc_u32_e32 v150, 29, v150
	s_delay_alu instid0(VALU_DEP_2) | instskip(NEXT) | instid1(VALU_DEP_1)
	v_lshlrev_b64 v[35:36], v35, v[7:8]
	v_and_b32_e32 v35, 7, v35
; %bb.304:                              ;   in Loop: Header=BB350_16 Depth=1
	s_or_b32 exec_lo, exec_lo, s24
	v_lshlrev_b32_e32 v7, 8, v151
	v_lshl_add_u32 v36, v150, 10, 0x2000
	s_delay_alu instid0(VALU_DEP_1) | instskip(NEXT) | instid1(VALU_DEP_1)
	v_and_or_b32 v7, 0x8000, v7, v36
	v_lshl_or_b32 v7, v35, 7, v7
	s_delay_alu instid0(VALU_DEP_1)
	v_cvt_f32_f16_e64 v150, v7
.LBB350_305:                            ;   in Loop: Header=BB350_16 Depth=1
	s_or_b32 exec_lo, exec_lo, s23
.LBB350_306:                            ;   in Loop: Header=BB350_16 Depth=1
	s_delay_alu instid0(SALU_CYCLE_1)
	s_or_b32 exec_lo, exec_lo, s22
.LBB350_307:                            ;   in Loop: Header=BB350_16 Depth=1
	s_delay_alu instid0(SALU_CYCLE_1) | instskip(SKIP_4) | instid1(VALU_DEP_3)
	s_or_b32 exec_lo, exec_lo, s21
	v_dual_mov_b32 v160, 0 :: v_dual_and_b32 v35, 0xff, v34
	v_mov_b32_e32 v7, v34
	v_mov_b32_e32 v151, 0
	s_mov_b32 s21, exec_lo
	v_cmpx_ne_u16_e32 0, v35
	s_cbranch_execz .LBB350_315
; %bb.308:                              ;   in Loop: Header=BB350_16 Depth=1
	v_bfrev_b32_e32 v151, 1
	s_mov_b32 s22, exec_lo
	v_cmpx_ne_u16_e32 0x80, v35
	s_cbranch_execz .LBB350_314
; %bb.309:                              ;   in Loop: Header=BB350_16 Depth=1
	v_and_b32_e32 v35, 0x7f, v34
	v_mov_b32_e32 v151, 0x7fc02000
	s_mov_b32 s23, exec_lo
	s_delay_alu instid0(VALU_DEP_2)
	v_cmpx_ne_u32_e32 0x7f, v35
	s_cbranch_execz .LBB350_313
; %bb.310:                              ;   in Loop: Header=BB350_16 Depth=1
	v_lshrrev_b32_e32 v151, 3, v35
	v_cmp_gt_u32_e64 s1, 8, v35
	v_dual_mov_b32 v36, v8 :: v_dual_mov_b32 v35, v7
	s_delay_alu instid0(VALU_DEP_2)
	s_and_saveexec_b32 s24, s1
; %bb.311:                              ;   in Loop: Header=BB350_16 Depth=1
	v_and_b32_e32 v35, 7, v34
	s_delay_alu instid0(VALU_DEP_1) | instskip(NEXT) | instid1(VALU_DEP_1)
	v_clz_i32_u32_e32 v35, v35
	v_min_u32_e32 v151, 32, v35
	s_delay_alu instid0(VALU_DEP_1) | instskip(SKIP_1) | instid1(VALU_DEP_2)
	v_subrev_nc_u32_e32 v35, 28, v151
	v_sub_nc_u32_e32 v151, 29, v151
	v_lshlrev_b64 v[35:36], v35, v[7:8]
; %bb.312:                              ;   in Loop: Header=BB350_16 Depth=1
	s_or_b32 exec_lo, exec_lo, s24
	v_lshlrev_b32_e32 v36, 8, v34
	s_delay_alu instid0(VALU_DEP_3) | instskip(NEXT) | instid1(VALU_DEP_3)
	v_lshl_add_u32 v151, v151, 10, 0x2000
	v_lshlrev_b32_e32 v35, 7, v35
	s_delay_alu instid0(VALU_DEP_2) | instskip(NEXT) | instid1(VALU_DEP_1)
	v_and_or_b32 v36, 0x8000, v36, v151
	v_and_or_b32 v35, 0x380, v35, v36
	s_delay_alu instid0(VALU_DEP_1)
	v_cvt_f32_f16_e64 v151, v35
.LBB350_313:                            ;   in Loop: Header=BB350_16 Depth=1
	s_or_b32 exec_lo, exec_lo, s23
.LBB350_314:                            ;   in Loop: Header=BB350_16 Depth=1
	s_delay_alu instid0(SALU_CYCLE_1)
	s_or_b32 exec_lo, exec_lo, s22
.LBB350_315:                            ;   in Loop: Header=BB350_16 Depth=1
	s_delay_alu instid0(SALU_CYCLE_1) | instskip(SKIP_2) | instid1(VALU_DEP_1)
	s_or_b32 exec_lo, exec_lo, s21
	v_lshrrev_b16 v7, 8, v7
	s_mov_b32 s21, exec_lo
	v_cmpx_ne_u16_e32 0, v7
	s_cbranch_execz .LBB350_323
; %bb.316:                              ;   in Loop: Header=BB350_16 Depth=1
	v_bfrev_b32_e32 v160, 1
	s_mov_b32 s22, exec_lo
	v_cmpx_ne_u16_e32 0x80, v7
	s_cbranch_execz .LBB350_322
; %bb.317:                              ;   in Loop: Header=BB350_16 Depth=1
	v_and_b32_e32 v161, 0xffff, v7
	v_mov_b32_e32 v160, 0x7fc02000
	s_mov_b32 s23, exec_lo
	s_delay_alu instid0(VALU_DEP_2) | instskip(NEXT) | instid1(VALU_DEP_1)
	v_and_b32_e32 v35, 0x7f, v161
	v_cmpx_ne_u32_e32 0x7f, v35
	s_cbranch_execz .LBB350_321
; %bb.318:                              ;   in Loop: Header=BB350_16 Depth=1
	v_and_b32_e32 v7, 7, v161
	v_lshrrev_b32_e32 v160, 3, v35
	v_cmp_gt_u32_e64 s1, 8, v35
	s_delay_alu instid0(VALU_DEP_3) | instskip(NEXT) | instid1(VALU_DEP_2)
	v_dual_mov_b32 v36, v8 :: v_dual_mov_b32 v35, v7
	s_and_saveexec_b32 s24, s1
; %bb.319:                              ;   in Loop: Header=BB350_16 Depth=1
	v_clz_i32_u32_e32 v35, v7
	s_delay_alu instid0(VALU_DEP_1) | instskip(NEXT) | instid1(VALU_DEP_1)
	v_min_u32_e32 v160, 32, v35
	v_subrev_nc_u32_e32 v35, 28, v160
	v_sub_nc_u32_e32 v160, 29, v160
	s_delay_alu instid0(VALU_DEP_2) | instskip(NEXT) | instid1(VALU_DEP_1)
	v_lshlrev_b64 v[35:36], v35, v[7:8]
	v_and_b32_e32 v35, 7, v35
; %bb.320:                              ;   in Loop: Header=BB350_16 Depth=1
	s_or_b32 exec_lo, exec_lo, s24
	v_lshlrev_b32_e32 v7, 8, v161
	v_lshl_add_u32 v36, v160, 10, 0x2000
	s_delay_alu instid0(VALU_DEP_1) | instskip(NEXT) | instid1(VALU_DEP_1)
	v_and_or_b32 v7, 0x8000, v7, v36
	v_lshl_or_b32 v7, v35, 7, v7
	s_delay_alu instid0(VALU_DEP_1)
	v_cvt_f32_f16_e64 v160, v7
.LBB350_321:                            ;   in Loop: Header=BB350_16 Depth=1
	s_or_b32 exec_lo, exec_lo, s23
.LBB350_322:                            ;   in Loop: Header=BB350_16 Depth=1
	s_delay_alu instid0(SALU_CYCLE_1)
	s_or_b32 exec_lo, exec_lo, s22
.LBB350_323:                            ;   in Loop: Header=BB350_16 Depth=1
	s_delay_alu instid0(SALU_CYCLE_1) | instskip(SKIP_3) | instid1(VALU_DEP_2)
	s_or_b32 exec_lo, exec_lo, s21
	v_lshrrev_b32_e32 v163, 16, v34
	v_mov_b32_e32 v161, 0
	s_mov_b32 s21, exec_lo
	v_dual_mov_b32 v162, 0 :: v_dual_and_b32 v7, 0xff, v163
	s_delay_alu instid0(VALU_DEP_1)
	v_cmpx_ne_u16_e32 0, v7
	s_cbranch_execz .LBB350_331
; %bb.324:                              ;   in Loop: Header=BB350_16 Depth=1
	v_bfrev_b32_e32 v162, 1
	s_mov_b32 s22, exec_lo
	v_cmpx_ne_u16_e32 0x80, v7
	s_cbranch_execz .LBB350_330
; %bb.325:                              ;   in Loop: Header=BB350_16 Depth=1
	v_bfe_u32 v35, v34, 16, 7
	v_mov_b32_e32 v162, 0x7fc02000
	s_mov_b32 s23, exec_lo
	s_delay_alu instid0(VALU_DEP_2)
	v_cmpx_ne_u32_e32 0x7f, v35
	s_cbranch_execz .LBB350_329
; %bb.326:                              ;   in Loop: Header=BB350_16 Depth=1
	v_and_b32_e32 v7, 7, v163
	v_lshrrev_b32_e32 v162, 3, v35
	v_cmp_gt_u32_e64 s1, 8, v35
	s_delay_alu instid0(VALU_DEP_3) | instskip(NEXT) | instid1(VALU_DEP_2)
	v_dual_mov_b32 v36, v8 :: v_dual_mov_b32 v35, v7
	s_and_saveexec_b32 s24, s1
; %bb.327:                              ;   in Loop: Header=BB350_16 Depth=1
	v_clz_i32_u32_e32 v35, v7
	s_delay_alu instid0(VALU_DEP_1) | instskip(NEXT) | instid1(VALU_DEP_1)
	v_min_u32_e32 v162, 32, v35
	v_subrev_nc_u32_e32 v35, 28, v162
	v_sub_nc_u32_e32 v162, 29, v162
	s_delay_alu instid0(VALU_DEP_2) | instskip(NEXT) | instid1(VALU_DEP_1)
	v_lshlrev_b64 v[35:36], v35, v[7:8]
	v_and_b32_e32 v35, 7, v35
; %bb.328:                              ;   in Loop: Header=BB350_16 Depth=1
	s_or_b32 exec_lo, exec_lo, s24
	v_lshlrev_b32_e32 v7, 8, v163
	v_lshl_add_u32 v36, v162, 10, 0x2000
	s_delay_alu instid0(VALU_DEP_1) | instskip(NEXT) | instid1(VALU_DEP_1)
	v_and_or_b32 v7, 0x8000, v7, v36
	v_lshl_or_b32 v7, v35, 7, v7
	s_delay_alu instid0(VALU_DEP_1)
	v_cvt_f32_f16_e64 v162, v7
.LBB350_329:                            ;   in Loop: Header=BB350_16 Depth=1
	s_or_b32 exec_lo, exec_lo, s23
.LBB350_330:                            ;   in Loop: Header=BB350_16 Depth=1
	s_delay_alu instid0(SALU_CYCLE_1)
	s_or_b32 exec_lo, exec_lo, s22
.LBB350_331:                            ;   in Loop: Header=BB350_16 Depth=1
	s_delay_alu instid0(SALU_CYCLE_1) | instskip(NEXT) | instid1(SALU_CYCLE_1)
	s_or_b32 exec_lo, exec_lo, s21
	s_mov_b32 s21, exec_lo
	v_cmpx_lt_u64_e64 s[8:9], v[33:34]
	s_cbranch_execz .LBB350_339
; %bb.332:                              ;   in Loop: Header=BB350_16 Depth=1
	v_lshrrev_b32_e32 v35, 24, v34
	v_bfrev_b32_e32 v161, 1
	s_mov_b32 s22, exec_lo
	s_delay_alu instid0(VALU_DEP_2)
	v_cmpx_ne_u32_e32 0x80, v35
	s_cbranch_execz .LBB350_338
; %bb.333:                              ;   in Loop: Header=BB350_16 Depth=1
	v_and_b32_e32 v33, 0x7f, v35
	v_mov_b32_e32 v161, 0x7fc02000
	s_mov_b32 s23, exec_lo
	s_delay_alu instid0(VALU_DEP_2)
	v_cmpx_ne_u32_e32 0x7f, v33
	s_cbranch_execz .LBB350_337
; %bb.334:                              ;   in Loop: Header=BB350_16 Depth=1
	v_and_b32_e32 v7, 7, v35
	v_lshrrev_b32_e32 v36, 3, v33
	v_cmp_gt_u32_e64 s1, 8, v33
	s_delay_alu instid0(VALU_DEP_3) | instskip(NEXT) | instid1(VALU_DEP_2)
	v_dual_mov_b32 v34, v8 :: v_dual_mov_b32 v33, v7
	s_and_saveexec_b32 s24, s1
; %bb.335:                              ;   in Loop: Header=BB350_16 Depth=1
	v_clz_i32_u32_e32 v33, v7
	s_delay_alu instid0(VALU_DEP_1) | instskip(NEXT) | instid1(VALU_DEP_1)
	v_min_u32_e32 v36, 32, v33
	v_subrev_nc_u32_e32 v33, 28, v36
	v_sub_nc_u32_e32 v36, 29, v36
	s_delay_alu instid0(VALU_DEP_2) | instskip(NEXT) | instid1(VALU_DEP_1)
	v_lshlrev_b64 v[33:34], v33, v[7:8]
	v_and_b32_e32 v33, 7, v33
; %bb.336:                              ;   in Loop: Header=BB350_16 Depth=1
	s_or_b32 exec_lo, exec_lo, s24
	v_lshlrev_b32_e32 v7, 8, v35
	v_lshl_add_u32 v34, v36, 10, 0x2000
	s_delay_alu instid0(VALU_DEP_1) | instskip(NEXT) | instid1(VALU_DEP_1)
	v_and_or_b32 v7, 0x8000, v7, v34
	v_lshl_or_b32 v7, v33, 7, v7
	s_delay_alu instid0(VALU_DEP_1)
	v_cvt_f32_f16_e64 v161, v7
.LBB350_337:                            ;   in Loop: Header=BB350_16 Depth=1
	s_or_b32 exec_lo, exec_lo, s23
.LBB350_338:                            ;   in Loop: Header=BB350_16 Depth=1
	s_delay_alu instid0(SALU_CYCLE_1)
	s_or_b32 exec_lo, exec_lo, s22
.LBB350_339:                            ;   in Loop: Header=BB350_16 Depth=1
	s_delay_alu instid0(SALU_CYCLE_1)
	s_or_b32 exec_lo, exec_lo, s21
	flat_load_b64 v[33:34], v[31:32] offset:1032
	v_mov_b32_e32 v163, 0
	s_mov_b32 s21, exec_lo
	s_waitcnt vmcnt(0) lgkmcnt(0)
	v_dual_mov_b32 v164, 0 :: v_dual_and_b32 v7, 0xff, v33
	s_delay_alu instid0(VALU_DEP_1)
	v_cmpx_ne_u16_e32 0, v7
	s_cbranch_execz .LBB350_347
; %bb.340:                              ;   in Loop: Header=BB350_16 Depth=1
	v_bfrev_b32_e32 v163, 1
	s_mov_b32 s22, exec_lo
	v_cmpx_ne_u16_e32 0x80, v7
	s_cbranch_execz .LBB350_346
; %bb.341:                              ;   in Loop: Header=BB350_16 Depth=1
	v_and_b32_e32 v35, 0x7f, v33
	v_mov_b32_e32 v163, 0x7fc02000
	s_mov_b32 s23, exec_lo
	s_delay_alu instid0(VALU_DEP_2)
	v_cmpx_ne_u32_e32 0x7f, v35
	s_cbranch_execz .LBB350_345
; %bb.342:                              ;   in Loop: Header=BB350_16 Depth=1
	v_lshrrev_b32_e32 v7, 3, v35
	v_cmp_gt_u32_e64 s1, 8, v35
	v_dual_mov_b32 v36, v34 :: v_dual_mov_b32 v35, v33
	s_delay_alu instid0(VALU_DEP_2)
	s_and_saveexec_b32 s24, s1
; %bb.343:                              ;   in Loop: Header=BB350_16 Depth=1
	v_and_b32_e32 v7, 7, v33
	s_delay_alu instid0(VALU_DEP_1) | instskip(NEXT) | instid1(VALU_DEP_1)
	v_clz_i32_u32_e32 v7, v7
	v_min_u32_e32 v7, 32, v7
	s_delay_alu instid0(VALU_DEP_1) | instskip(SKIP_1) | instid1(VALU_DEP_2)
	v_subrev_nc_u32_e32 v35, 28, v7
	v_sub_nc_u32_e32 v7, 29, v7
	v_lshlrev_b64 v[35:36], v35, v[33:34]
; %bb.344:                              ;   in Loop: Header=BB350_16 Depth=1
	s_or_b32 exec_lo, exec_lo, s24
	v_lshlrev_b32_e32 v36, 8, v33
	s_delay_alu instid0(VALU_DEP_3) | instskip(NEXT) | instid1(VALU_DEP_3)
	v_lshl_add_u32 v7, v7, 10, 0x2000
	v_lshlrev_b32_e32 v35, 7, v35
	s_delay_alu instid0(VALU_DEP_2) | instskip(NEXT) | instid1(VALU_DEP_1)
	v_and_or_b32 v7, 0x8000, v36, v7
	v_and_or_b32 v7, 0x380, v35, v7
	s_delay_alu instid0(VALU_DEP_1)
	v_cvt_f32_f16_e64 v163, v7
.LBB350_345:                            ;   in Loop: Header=BB350_16 Depth=1
	s_or_b32 exec_lo, exec_lo, s23
.LBB350_346:                            ;   in Loop: Header=BB350_16 Depth=1
	s_delay_alu instid0(SALU_CYCLE_1)
	s_or_b32 exec_lo, exec_lo, s22
.LBB350_347:                            ;   in Loop: Header=BB350_16 Depth=1
	s_delay_alu instid0(SALU_CYCLE_1) | instskip(SKIP_2) | instid1(VALU_DEP_1)
	s_or_b32 exec_lo, exec_lo, s21
	v_lshrrev_b16 v7, 8, v33
	s_mov_b32 s21, exec_lo
	v_cmpx_ne_u16_e32 0, v7
	s_cbranch_execz .LBB350_355
; %bb.348:                              ;   in Loop: Header=BB350_16 Depth=1
	v_bfrev_b32_e32 v164, 1
	s_mov_b32 s22, exec_lo
	v_cmpx_ne_u16_e32 0x80, v7
	s_cbranch_execz .LBB350_354
; %bb.349:                              ;   in Loop: Header=BB350_16 Depth=1
	v_and_b32_e32 v165, 0xffff, v7
	v_mov_b32_e32 v164, 0x7fc02000
	s_mov_b32 s23, exec_lo
	s_delay_alu instid0(VALU_DEP_2) | instskip(NEXT) | instid1(VALU_DEP_1)
	v_and_b32_e32 v35, 0x7f, v165
	v_cmpx_ne_u32_e32 0x7f, v35
	s_cbranch_execz .LBB350_353
; %bb.350:                              ;   in Loop: Header=BB350_16 Depth=1
	v_and_b32_e32 v7, 7, v165
	v_lshrrev_b32_e32 v164, 3, v35
	v_cmp_gt_u32_e64 s1, 8, v35
	s_delay_alu instid0(VALU_DEP_3) | instskip(NEXT) | instid1(VALU_DEP_2)
	v_dual_mov_b32 v36, v8 :: v_dual_mov_b32 v35, v7
	s_and_saveexec_b32 s24, s1
; %bb.351:                              ;   in Loop: Header=BB350_16 Depth=1
	v_clz_i32_u32_e32 v35, v7
	s_delay_alu instid0(VALU_DEP_1) | instskip(NEXT) | instid1(VALU_DEP_1)
	v_min_u32_e32 v164, 32, v35
	v_subrev_nc_u32_e32 v35, 28, v164
	v_sub_nc_u32_e32 v164, 29, v164
	s_delay_alu instid0(VALU_DEP_2) | instskip(NEXT) | instid1(VALU_DEP_1)
	v_lshlrev_b64 v[35:36], v35, v[7:8]
	v_and_b32_e32 v35, 7, v35
; %bb.352:                              ;   in Loop: Header=BB350_16 Depth=1
	s_or_b32 exec_lo, exec_lo, s24
	v_lshlrev_b32_e32 v7, 8, v165
	v_lshl_add_u32 v36, v164, 10, 0x2000
	s_delay_alu instid0(VALU_DEP_1) | instskip(NEXT) | instid1(VALU_DEP_1)
	v_and_or_b32 v7, 0x8000, v7, v36
	v_lshl_or_b32 v7, v35, 7, v7
	s_delay_alu instid0(VALU_DEP_1)
	v_cvt_f32_f16_e64 v164, v7
.LBB350_353:                            ;   in Loop: Header=BB350_16 Depth=1
	s_or_b32 exec_lo, exec_lo, s23
.LBB350_354:                            ;   in Loop: Header=BB350_16 Depth=1
	s_delay_alu instid0(SALU_CYCLE_1)
	s_or_b32 exec_lo, exec_lo, s22
.LBB350_355:                            ;   in Loop: Header=BB350_16 Depth=1
	s_delay_alu instid0(SALU_CYCLE_1) | instskip(SKIP_3) | instid1(VALU_DEP_2)
	s_or_b32 exec_lo, exec_lo, s21
	v_lshrrev_b32_e32 v167, 16, v33
	v_mov_b32_e32 v165, 0
	s_mov_b32 s21, exec_lo
	v_dual_mov_b32 v166, 0 :: v_dual_and_b32 v7, 0xff, v167
	s_delay_alu instid0(VALU_DEP_1)
	v_cmpx_ne_u16_e32 0, v7
	s_cbranch_execz .LBB350_363
; %bb.356:                              ;   in Loop: Header=BB350_16 Depth=1
	v_bfrev_b32_e32 v165, 1
	s_mov_b32 s22, exec_lo
	v_cmpx_ne_u16_e32 0x80, v7
	s_cbranch_execz .LBB350_362
; %bb.357:                              ;   in Loop: Header=BB350_16 Depth=1
	v_bfe_u32 v35, v33, 16, 7
	v_mov_b32_e32 v165, 0x7fc02000
	s_mov_b32 s23, exec_lo
	s_delay_alu instid0(VALU_DEP_2)
	v_cmpx_ne_u32_e32 0x7f, v35
	s_cbranch_execz .LBB350_361
; %bb.358:                              ;   in Loop: Header=BB350_16 Depth=1
	v_and_b32_e32 v7, 7, v167
	v_lshrrev_b32_e32 v165, 3, v35
	v_cmp_gt_u32_e64 s1, 8, v35
	s_delay_alu instid0(VALU_DEP_3) | instskip(NEXT) | instid1(VALU_DEP_2)
	v_dual_mov_b32 v36, v8 :: v_dual_mov_b32 v35, v7
	s_and_saveexec_b32 s24, s1
; %bb.359:                              ;   in Loop: Header=BB350_16 Depth=1
	v_clz_i32_u32_e32 v35, v7
	s_delay_alu instid0(VALU_DEP_1) | instskip(NEXT) | instid1(VALU_DEP_1)
	v_min_u32_e32 v165, 32, v35
	v_subrev_nc_u32_e32 v35, 28, v165
	v_sub_nc_u32_e32 v165, 29, v165
	s_delay_alu instid0(VALU_DEP_2) | instskip(NEXT) | instid1(VALU_DEP_1)
	v_lshlrev_b64 v[35:36], v35, v[7:8]
	v_and_b32_e32 v35, 7, v35
; %bb.360:                              ;   in Loop: Header=BB350_16 Depth=1
	s_or_b32 exec_lo, exec_lo, s24
	v_lshlrev_b32_e32 v7, 8, v167
	v_lshl_add_u32 v36, v165, 10, 0x2000
	s_delay_alu instid0(VALU_DEP_1) | instskip(NEXT) | instid1(VALU_DEP_1)
	v_and_or_b32 v7, 0x8000, v7, v36
	v_lshl_or_b32 v7, v35, 7, v7
	s_delay_alu instid0(VALU_DEP_1)
	v_cvt_f32_f16_e64 v165, v7
.LBB350_361:                            ;   in Loop: Header=BB350_16 Depth=1
	s_or_b32 exec_lo, exec_lo, s23
.LBB350_362:                            ;   in Loop: Header=BB350_16 Depth=1
	s_delay_alu instid0(SALU_CYCLE_1)
	s_or_b32 exec_lo, exec_lo, s22
.LBB350_363:                            ;   in Loop: Header=BB350_16 Depth=1
	s_delay_alu instid0(SALU_CYCLE_1) | instskip(NEXT) | instid1(SALU_CYCLE_1)
	s_or_b32 exec_lo, exec_lo, s21
	s_mov_b32 s21, exec_lo
	v_cmpx_lt_u32_e32 0xffffff, v33
	s_cbranch_execz .LBB350_371
; %bb.364:                              ;   in Loop: Header=BB350_16 Depth=1
	v_lshrrev_b32_e32 v167, 24, v33
	v_bfrev_b32_e32 v166, 1
	s_mov_b32 s22, exec_lo
	s_delay_alu instid0(VALU_DEP_2)
	v_cmpx_ne_u32_e32 0x80, v167
	s_cbranch_execz .LBB350_370
; %bb.365:                              ;   in Loop: Header=BB350_16 Depth=1
	v_and_b32_e32 v35, 0x7f, v167
	v_mov_b32_e32 v166, 0x7fc02000
	s_mov_b32 s23, exec_lo
	s_delay_alu instid0(VALU_DEP_2)
	v_cmpx_ne_u32_e32 0x7f, v35
	s_cbranch_execz .LBB350_369
; %bb.366:                              ;   in Loop: Header=BB350_16 Depth=1
	v_and_b32_e32 v7, 7, v167
	v_lshrrev_b32_e32 v166, 3, v35
	v_cmp_gt_u32_e64 s1, 8, v35
	s_delay_alu instid0(VALU_DEP_3) | instskip(NEXT) | instid1(VALU_DEP_2)
	v_dual_mov_b32 v36, v8 :: v_dual_mov_b32 v35, v7
	s_and_saveexec_b32 s24, s1
; %bb.367:                              ;   in Loop: Header=BB350_16 Depth=1
	v_clz_i32_u32_e32 v35, v7
	s_delay_alu instid0(VALU_DEP_1) | instskip(NEXT) | instid1(VALU_DEP_1)
	v_min_u32_e32 v166, 32, v35
	v_subrev_nc_u32_e32 v35, 28, v166
	v_sub_nc_u32_e32 v166, 29, v166
	s_delay_alu instid0(VALU_DEP_2) | instskip(NEXT) | instid1(VALU_DEP_1)
	v_lshlrev_b64 v[35:36], v35, v[7:8]
	v_and_b32_e32 v35, 7, v35
; %bb.368:                              ;   in Loop: Header=BB350_16 Depth=1
	s_or_b32 exec_lo, exec_lo, s24
	v_lshlrev_b32_e32 v7, 8, v167
	v_lshl_add_u32 v36, v166, 10, 0x2000
	s_delay_alu instid0(VALU_DEP_1) | instskip(NEXT) | instid1(VALU_DEP_1)
	v_and_or_b32 v7, 0x8000, v7, v36
	v_lshl_or_b32 v7, v35, 7, v7
	s_delay_alu instid0(VALU_DEP_1)
	v_cvt_f32_f16_e64 v166, v7
.LBB350_369:                            ;   in Loop: Header=BB350_16 Depth=1
	s_or_b32 exec_lo, exec_lo, s23
.LBB350_370:                            ;   in Loop: Header=BB350_16 Depth=1
	s_delay_alu instid0(SALU_CYCLE_1)
	s_or_b32 exec_lo, exec_lo, s22
.LBB350_371:                            ;   in Loop: Header=BB350_16 Depth=1
	s_delay_alu instid0(SALU_CYCLE_1) | instskip(SKIP_4) | instid1(VALU_DEP_3)
	s_or_b32 exec_lo, exec_lo, s21
	v_dual_mov_b32 v176, 0 :: v_dual_and_b32 v35, 0xff, v34
	v_mov_b32_e32 v7, v34
	v_mov_b32_e32 v167, 0
	s_mov_b32 s21, exec_lo
	v_cmpx_ne_u16_e32 0, v35
	s_cbranch_execz .LBB350_379
; %bb.372:                              ;   in Loop: Header=BB350_16 Depth=1
	v_bfrev_b32_e32 v167, 1
	s_mov_b32 s22, exec_lo
	v_cmpx_ne_u16_e32 0x80, v35
	s_cbranch_execz .LBB350_378
; %bb.373:                              ;   in Loop: Header=BB350_16 Depth=1
	v_and_b32_e32 v35, 0x7f, v34
	v_mov_b32_e32 v167, 0x7fc02000
	s_mov_b32 s23, exec_lo
	s_delay_alu instid0(VALU_DEP_2)
	v_cmpx_ne_u32_e32 0x7f, v35
	s_cbranch_execz .LBB350_377
; %bb.374:                              ;   in Loop: Header=BB350_16 Depth=1
	v_lshrrev_b32_e32 v167, 3, v35
	v_cmp_gt_u32_e64 s1, 8, v35
	v_dual_mov_b32 v36, v8 :: v_dual_mov_b32 v35, v7
	s_delay_alu instid0(VALU_DEP_2)
	s_and_saveexec_b32 s24, s1
; %bb.375:                              ;   in Loop: Header=BB350_16 Depth=1
	v_and_b32_e32 v35, 7, v34
	s_delay_alu instid0(VALU_DEP_1) | instskip(NEXT) | instid1(VALU_DEP_1)
	v_clz_i32_u32_e32 v35, v35
	v_min_u32_e32 v167, 32, v35
	s_delay_alu instid0(VALU_DEP_1) | instskip(SKIP_1) | instid1(VALU_DEP_2)
	v_subrev_nc_u32_e32 v35, 28, v167
	v_sub_nc_u32_e32 v167, 29, v167
	v_lshlrev_b64 v[35:36], v35, v[7:8]
; %bb.376:                              ;   in Loop: Header=BB350_16 Depth=1
	s_or_b32 exec_lo, exec_lo, s24
	v_lshlrev_b32_e32 v36, 8, v34
	s_delay_alu instid0(VALU_DEP_3) | instskip(NEXT) | instid1(VALU_DEP_3)
	v_lshl_add_u32 v167, v167, 10, 0x2000
	v_lshlrev_b32_e32 v35, 7, v35
	s_delay_alu instid0(VALU_DEP_2) | instskip(NEXT) | instid1(VALU_DEP_1)
	v_and_or_b32 v36, 0x8000, v36, v167
	v_and_or_b32 v35, 0x380, v35, v36
	s_delay_alu instid0(VALU_DEP_1)
	v_cvt_f32_f16_e64 v167, v35
.LBB350_377:                            ;   in Loop: Header=BB350_16 Depth=1
	s_or_b32 exec_lo, exec_lo, s23
.LBB350_378:                            ;   in Loop: Header=BB350_16 Depth=1
	s_delay_alu instid0(SALU_CYCLE_1)
	s_or_b32 exec_lo, exec_lo, s22
.LBB350_379:                            ;   in Loop: Header=BB350_16 Depth=1
	s_delay_alu instid0(SALU_CYCLE_1) | instskip(SKIP_2) | instid1(VALU_DEP_1)
	s_or_b32 exec_lo, exec_lo, s21
	v_lshrrev_b16 v7, 8, v7
	s_mov_b32 s21, exec_lo
	v_cmpx_ne_u16_e32 0, v7
	s_cbranch_execz .LBB350_387
; %bb.380:                              ;   in Loop: Header=BB350_16 Depth=1
	v_bfrev_b32_e32 v176, 1
	s_mov_b32 s22, exec_lo
	v_cmpx_ne_u16_e32 0x80, v7
	s_cbranch_execz .LBB350_386
; %bb.381:                              ;   in Loop: Header=BB350_16 Depth=1
	v_and_b32_e32 v177, 0xffff, v7
	v_mov_b32_e32 v176, 0x7fc02000
	s_mov_b32 s23, exec_lo
	s_delay_alu instid0(VALU_DEP_2) | instskip(NEXT) | instid1(VALU_DEP_1)
	v_and_b32_e32 v35, 0x7f, v177
	v_cmpx_ne_u32_e32 0x7f, v35
	s_cbranch_execz .LBB350_385
; %bb.382:                              ;   in Loop: Header=BB350_16 Depth=1
	v_and_b32_e32 v7, 7, v177
	v_lshrrev_b32_e32 v176, 3, v35
	v_cmp_gt_u32_e64 s1, 8, v35
	s_delay_alu instid0(VALU_DEP_3) | instskip(NEXT) | instid1(VALU_DEP_2)
	v_dual_mov_b32 v36, v8 :: v_dual_mov_b32 v35, v7
	s_and_saveexec_b32 s24, s1
; %bb.383:                              ;   in Loop: Header=BB350_16 Depth=1
	v_clz_i32_u32_e32 v35, v7
	s_delay_alu instid0(VALU_DEP_1) | instskip(NEXT) | instid1(VALU_DEP_1)
	v_min_u32_e32 v176, 32, v35
	v_subrev_nc_u32_e32 v35, 28, v176
	v_sub_nc_u32_e32 v176, 29, v176
	s_delay_alu instid0(VALU_DEP_2) | instskip(NEXT) | instid1(VALU_DEP_1)
	v_lshlrev_b64 v[35:36], v35, v[7:8]
	v_and_b32_e32 v35, 7, v35
; %bb.384:                              ;   in Loop: Header=BB350_16 Depth=1
	s_or_b32 exec_lo, exec_lo, s24
	v_lshlrev_b32_e32 v7, 8, v177
	v_lshl_add_u32 v36, v176, 10, 0x2000
	s_delay_alu instid0(VALU_DEP_1) | instskip(NEXT) | instid1(VALU_DEP_1)
	v_and_or_b32 v7, 0x8000, v7, v36
	v_lshl_or_b32 v7, v35, 7, v7
	s_delay_alu instid0(VALU_DEP_1)
	v_cvt_f32_f16_e64 v176, v7
.LBB350_385:                            ;   in Loop: Header=BB350_16 Depth=1
	s_or_b32 exec_lo, exec_lo, s23
.LBB350_386:                            ;   in Loop: Header=BB350_16 Depth=1
	s_delay_alu instid0(SALU_CYCLE_1)
	s_or_b32 exec_lo, exec_lo, s22
.LBB350_387:                            ;   in Loop: Header=BB350_16 Depth=1
	s_delay_alu instid0(SALU_CYCLE_1) | instskip(SKIP_3) | instid1(VALU_DEP_2)
	s_or_b32 exec_lo, exec_lo, s21
	v_lshrrev_b32_e32 v179, 16, v34
	v_mov_b32_e32 v177, 0
	s_mov_b32 s21, exec_lo
	v_dual_mov_b32 v178, 0 :: v_dual_and_b32 v7, 0xff, v179
	s_delay_alu instid0(VALU_DEP_1)
	v_cmpx_ne_u16_e32 0, v7
	s_cbranch_execz .LBB350_395
; %bb.388:                              ;   in Loop: Header=BB350_16 Depth=1
	v_bfrev_b32_e32 v178, 1
	s_mov_b32 s22, exec_lo
	v_cmpx_ne_u16_e32 0x80, v7
	s_cbranch_execz .LBB350_394
; %bb.389:                              ;   in Loop: Header=BB350_16 Depth=1
	v_bfe_u32 v35, v34, 16, 7
	v_mov_b32_e32 v178, 0x7fc02000
	s_mov_b32 s23, exec_lo
	s_delay_alu instid0(VALU_DEP_2)
	v_cmpx_ne_u32_e32 0x7f, v35
	s_cbranch_execz .LBB350_393
; %bb.390:                              ;   in Loop: Header=BB350_16 Depth=1
	v_and_b32_e32 v7, 7, v179
	v_lshrrev_b32_e32 v178, 3, v35
	v_cmp_gt_u32_e64 s1, 8, v35
	s_delay_alu instid0(VALU_DEP_3) | instskip(NEXT) | instid1(VALU_DEP_2)
	v_dual_mov_b32 v36, v8 :: v_dual_mov_b32 v35, v7
	s_and_saveexec_b32 s24, s1
; %bb.391:                              ;   in Loop: Header=BB350_16 Depth=1
	v_clz_i32_u32_e32 v35, v7
	s_delay_alu instid0(VALU_DEP_1) | instskip(NEXT) | instid1(VALU_DEP_1)
	v_min_u32_e32 v178, 32, v35
	v_subrev_nc_u32_e32 v35, 28, v178
	v_sub_nc_u32_e32 v178, 29, v178
	s_delay_alu instid0(VALU_DEP_2) | instskip(NEXT) | instid1(VALU_DEP_1)
	v_lshlrev_b64 v[35:36], v35, v[7:8]
	v_and_b32_e32 v35, 7, v35
; %bb.392:                              ;   in Loop: Header=BB350_16 Depth=1
	s_or_b32 exec_lo, exec_lo, s24
	v_lshlrev_b32_e32 v7, 8, v179
	v_lshl_add_u32 v36, v178, 10, 0x2000
	s_delay_alu instid0(VALU_DEP_1) | instskip(NEXT) | instid1(VALU_DEP_1)
	v_and_or_b32 v7, 0x8000, v7, v36
	v_lshl_or_b32 v7, v35, 7, v7
	s_delay_alu instid0(VALU_DEP_1)
	v_cvt_f32_f16_e64 v178, v7
.LBB350_393:                            ;   in Loop: Header=BB350_16 Depth=1
	s_or_b32 exec_lo, exec_lo, s23
.LBB350_394:                            ;   in Loop: Header=BB350_16 Depth=1
	s_delay_alu instid0(SALU_CYCLE_1)
	s_or_b32 exec_lo, exec_lo, s22
.LBB350_395:                            ;   in Loop: Header=BB350_16 Depth=1
	s_delay_alu instid0(SALU_CYCLE_1) | instskip(NEXT) | instid1(SALU_CYCLE_1)
	s_or_b32 exec_lo, exec_lo, s21
	s_mov_b32 s21, exec_lo
	v_cmpx_lt_u64_e64 s[8:9], v[33:34]
	s_cbranch_execz .LBB350_403
; %bb.396:                              ;   in Loop: Header=BB350_16 Depth=1
	v_lshrrev_b32_e32 v35, 24, v34
	v_bfrev_b32_e32 v177, 1
	s_mov_b32 s22, exec_lo
	s_delay_alu instid0(VALU_DEP_2)
	v_cmpx_ne_u32_e32 0x80, v35
	s_cbranch_execz .LBB350_402
; %bb.397:                              ;   in Loop: Header=BB350_16 Depth=1
	v_and_b32_e32 v33, 0x7f, v35
	v_mov_b32_e32 v177, 0x7fc02000
	s_mov_b32 s23, exec_lo
	s_delay_alu instid0(VALU_DEP_2)
	v_cmpx_ne_u32_e32 0x7f, v33
	s_cbranch_execz .LBB350_401
; %bb.398:                              ;   in Loop: Header=BB350_16 Depth=1
	v_and_b32_e32 v7, 7, v35
	v_lshrrev_b32_e32 v36, 3, v33
	v_cmp_gt_u32_e64 s1, 8, v33
	s_delay_alu instid0(VALU_DEP_3) | instskip(NEXT) | instid1(VALU_DEP_2)
	v_dual_mov_b32 v34, v8 :: v_dual_mov_b32 v33, v7
	s_and_saveexec_b32 s24, s1
; %bb.399:                              ;   in Loop: Header=BB350_16 Depth=1
	v_clz_i32_u32_e32 v33, v7
	s_delay_alu instid0(VALU_DEP_1) | instskip(NEXT) | instid1(VALU_DEP_1)
	v_min_u32_e32 v36, 32, v33
	v_subrev_nc_u32_e32 v33, 28, v36
	v_sub_nc_u32_e32 v36, 29, v36
	s_delay_alu instid0(VALU_DEP_2) | instskip(NEXT) | instid1(VALU_DEP_1)
	v_lshlrev_b64 v[33:34], v33, v[7:8]
	v_and_b32_e32 v33, 7, v33
; %bb.400:                              ;   in Loop: Header=BB350_16 Depth=1
	s_or_b32 exec_lo, exec_lo, s24
	v_lshlrev_b32_e32 v7, 8, v35
	v_lshl_add_u32 v34, v36, 10, 0x2000
	s_delay_alu instid0(VALU_DEP_1) | instskip(NEXT) | instid1(VALU_DEP_1)
	v_and_or_b32 v7, 0x8000, v7, v34
	v_lshl_or_b32 v7, v33, 7, v7
	s_delay_alu instid0(VALU_DEP_1)
	v_cvt_f32_f16_e64 v177, v7
.LBB350_401:                            ;   in Loop: Header=BB350_16 Depth=1
	s_or_b32 exec_lo, exec_lo, s23
.LBB350_402:                            ;   in Loop: Header=BB350_16 Depth=1
	s_delay_alu instid0(SALU_CYCLE_1)
	s_or_b32 exec_lo, exec_lo, s22
.LBB350_403:                            ;   in Loop: Header=BB350_16 Depth=1
	s_delay_alu instid0(SALU_CYCLE_1)
	s_or_b32 exec_lo, exec_lo, s21
	flat_load_b64 v[33:34], v[31:32] offset:1536
	v_mov_b32_e32 v179, 0
	s_mov_b32 s21, exec_lo
	s_waitcnt vmcnt(0) lgkmcnt(0)
	v_dual_mov_b32 v180, 0 :: v_dual_and_b32 v7, 0xff, v33
	s_delay_alu instid0(VALU_DEP_1)
	v_cmpx_ne_u16_e32 0, v7
	s_cbranch_execz .LBB350_411
; %bb.404:                              ;   in Loop: Header=BB350_16 Depth=1
	v_bfrev_b32_e32 v179, 1
	s_mov_b32 s22, exec_lo
	v_cmpx_ne_u16_e32 0x80, v7
	s_cbranch_execz .LBB350_410
; %bb.405:                              ;   in Loop: Header=BB350_16 Depth=1
	v_and_b32_e32 v35, 0x7f, v33
	v_mov_b32_e32 v179, 0x7fc02000
	s_mov_b32 s23, exec_lo
	s_delay_alu instid0(VALU_DEP_2)
	v_cmpx_ne_u32_e32 0x7f, v35
	s_cbranch_execz .LBB350_409
; %bb.406:                              ;   in Loop: Header=BB350_16 Depth=1
	v_lshrrev_b32_e32 v7, 3, v35
	v_cmp_gt_u32_e64 s1, 8, v35
	v_dual_mov_b32 v36, v34 :: v_dual_mov_b32 v35, v33
	s_delay_alu instid0(VALU_DEP_2)
	s_and_saveexec_b32 s24, s1
; %bb.407:                              ;   in Loop: Header=BB350_16 Depth=1
	v_and_b32_e32 v7, 7, v33
	s_delay_alu instid0(VALU_DEP_1) | instskip(NEXT) | instid1(VALU_DEP_1)
	v_clz_i32_u32_e32 v7, v7
	v_min_u32_e32 v7, 32, v7
	s_delay_alu instid0(VALU_DEP_1) | instskip(SKIP_1) | instid1(VALU_DEP_2)
	v_subrev_nc_u32_e32 v35, 28, v7
	v_sub_nc_u32_e32 v7, 29, v7
	v_lshlrev_b64 v[35:36], v35, v[33:34]
; %bb.408:                              ;   in Loop: Header=BB350_16 Depth=1
	s_or_b32 exec_lo, exec_lo, s24
	v_lshlrev_b32_e32 v36, 8, v33
	s_delay_alu instid0(VALU_DEP_3) | instskip(NEXT) | instid1(VALU_DEP_3)
	v_lshl_add_u32 v7, v7, 10, 0x2000
	v_lshlrev_b32_e32 v35, 7, v35
	s_delay_alu instid0(VALU_DEP_2) | instskip(NEXT) | instid1(VALU_DEP_1)
	v_and_or_b32 v7, 0x8000, v36, v7
	v_and_or_b32 v7, 0x380, v35, v7
	s_delay_alu instid0(VALU_DEP_1)
	v_cvt_f32_f16_e64 v179, v7
.LBB350_409:                            ;   in Loop: Header=BB350_16 Depth=1
	s_or_b32 exec_lo, exec_lo, s23
.LBB350_410:                            ;   in Loop: Header=BB350_16 Depth=1
	s_delay_alu instid0(SALU_CYCLE_1)
	s_or_b32 exec_lo, exec_lo, s22
.LBB350_411:                            ;   in Loop: Header=BB350_16 Depth=1
	s_delay_alu instid0(SALU_CYCLE_1) | instskip(SKIP_2) | instid1(VALU_DEP_1)
	s_or_b32 exec_lo, exec_lo, s21
	v_lshrrev_b16 v7, 8, v33
	s_mov_b32 s21, exec_lo
	v_cmpx_ne_u16_e32 0, v7
	s_cbranch_execz .LBB350_419
; %bb.412:                              ;   in Loop: Header=BB350_16 Depth=1
	v_bfrev_b32_e32 v180, 1
	s_mov_b32 s22, exec_lo
	v_cmpx_ne_u16_e32 0x80, v7
	s_cbranch_execz .LBB350_418
; %bb.413:                              ;   in Loop: Header=BB350_16 Depth=1
	v_and_b32_e32 v181, 0xffff, v7
	v_mov_b32_e32 v180, 0x7fc02000
	s_mov_b32 s23, exec_lo
	s_delay_alu instid0(VALU_DEP_2) | instskip(NEXT) | instid1(VALU_DEP_1)
	v_and_b32_e32 v35, 0x7f, v181
	v_cmpx_ne_u32_e32 0x7f, v35
	s_cbranch_execz .LBB350_417
; %bb.414:                              ;   in Loop: Header=BB350_16 Depth=1
	v_and_b32_e32 v7, 7, v181
	v_lshrrev_b32_e32 v180, 3, v35
	v_cmp_gt_u32_e64 s1, 8, v35
	s_delay_alu instid0(VALU_DEP_3) | instskip(NEXT) | instid1(VALU_DEP_2)
	v_dual_mov_b32 v36, v8 :: v_dual_mov_b32 v35, v7
	s_and_saveexec_b32 s24, s1
; %bb.415:                              ;   in Loop: Header=BB350_16 Depth=1
	v_clz_i32_u32_e32 v35, v7
	s_delay_alu instid0(VALU_DEP_1) | instskip(NEXT) | instid1(VALU_DEP_1)
	v_min_u32_e32 v180, 32, v35
	v_subrev_nc_u32_e32 v35, 28, v180
	v_sub_nc_u32_e32 v180, 29, v180
	s_delay_alu instid0(VALU_DEP_2) | instskip(NEXT) | instid1(VALU_DEP_1)
	v_lshlrev_b64 v[35:36], v35, v[7:8]
	v_and_b32_e32 v35, 7, v35
; %bb.416:                              ;   in Loop: Header=BB350_16 Depth=1
	s_or_b32 exec_lo, exec_lo, s24
	v_lshlrev_b32_e32 v7, 8, v181
	v_lshl_add_u32 v36, v180, 10, 0x2000
	s_delay_alu instid0(VALU_DEP_1) | instskip(NEXT) | instid1(VALU_DEP_1)
	v_and_or_b32 v7, 0x8000, v7, v36
	v_lshl_or_b32 v7, v35, 7, v7
	s_delay_alu instid0(VALU_DEP_1)
	v_cvt_f32_f16_e64 v180, v7
.LBB350_417:                            ;   in Loop: Header=BB350_16 Depth=1
	s_or_b32 exec_lo, exec_lo, s23
.LBB350_418:                            ;   in Loop: Header=BB350_16 Depth=1
	s_delay_alu instid0(SALU_CYCLE_1)
	s_or_b32 exec_lo, exec_lo, s22
.LBB350_419:                            ;   in Loop: Header=BB350_16 Depth=1
	s_delay_alu instid0(SALU_CYCLE_1) | instskip(SKIP_3) | instid1(VALU_DEP_2)
	s_or_b32 exec_lo, exec_lo, s21
	v_lshrrev_b32_e32 v183, 16, v33
	v_mov_b32_e32 v181, 0
	s_mov_b32 s21, exec_lo
	v_dual_mov_b32 v182, 0 :: v_dual_and_b32 v7, 0xff, v183
	s_delay_alu instid0(VALU_DEP_1)
	v_cmpx_ne_u16_e32 0, v7
	s_cbranch_execz .LBB350_427
; %bb.420:                              ;   in Loop: Header=BB350_16 Depth=1
	v_bfrev_b32_e32 v181, 1
	s_mov_b32 s22, exec_lo
	v_cmpx_ne_u16_e32 0x80, v7
	s_cbranch_execz .LBB350_426
; %bb.421:                              ;   in Loop: Header=BB350_16 Depth=1
	v_bfe_u32 v35, v33, 16, 7
	v_mov_b32_e32 v181, 0x7fc02000
	s_mov_b32 s23, exec_lo
	s_delay_alu instid0(VALU_DEP_2)
	v_cmpx_ne_u32_e32 0x7f, v35
	s_cbranch_execz .LBB350_425
; %bb.422:                              ;   in Loop: Header=BB350_16 Depth=1
	v_and_b32_e32 v7, 7, v183
	v_lshrrev_b32_e32 v181, 3, v35
	v_cmp_gt_u32_e64 s1, 8, v35
	s_delay_alu instid0(VALU_DEP_3) | instskip(NEXT) | instid1(VALU_DEP_2)
	v_dual_mov_b32 v36, v8 :: v_dual_mov_b32 v35, v7
	s_and_saveexec_b32 s24, s1
; %bb.423:                              ;   in Loop: Header=BB350_16 Depth=1
	v_clz_i32_u32_e32 v35, v7
	s_delay_alu instid0(VALU_DEP_1) | instskip(NEXT) | instid1(VALU_DEP_1)
	v_min_u32_e32 v181, 32, v35
	v_subrev_nc_u32_e32 v35, 28, v181
	v_sub_nc_u32_e32 v181, 29, v181
	s_delay_alu instid0(VALU_DEP_2) | instskip(NEXT) | instid1(VALU_DEP_1)
	v_lshlrev_b64 v[35:36], v35, v[7:8]
	v_and_b32_e32 v35, 7, v35
; %bb.424:                              ;   in Loop: Header=BB350_16 Depth=1
	s_or_b32 exec_lo, exec_lo, s24
	v_lshlrev_b32_e32 v7, 8, v183
	v_lshl_add_u32 v36, v181, 10, 0x2000
	s_delay_alu instid0(VALU_DEP_1) | instskip(NEXT) | instid1(VALU_DEP_1)
	v_and_or_b32 v7, 0x8000, v7, v36
	v_lshl_or_b32 v7, v35, 7, v7
	s_delay_alu instid0(VALU_DEP_1)
	v_cvt_f32_f16_e64 v181, v7
.LBB350_425:                            ;   in Loop: Header=BB350_16 Depth=1
	s_or_b32 exec_lo, exec_lo, s23
.LBB350_426:                            ;   in Loop: Header=BB350_16 Depth=1
	s_delay_alu instid0(SALU_CYCLE_1)
	s_or_b32 exec_lo, exec_lo, s22
.LBB350_427:                            ;   in Loop: Header=BB350_16 Depth=1
	s_delay_alu instid0(SALU_CYCLE_1) | instskip(NEXT) | instid1(SALU_CYCLE_1)
	s_or_b32 exec_lo, exec_lo, s21
	s_mov_b32 s21, exec_lo
	v_cmpx_lt_u32_e32 0xffffff, v33
	s_cbranch_execz .LBB350_435
; %bb.428:                              ;   in Loop: Header=BB350_16 Depth=1
	v_lshrrev_b32_e32 v183, 24, v33
	v_bfrev_b32_e32 v182, 1
	s_mov_b32 s22, exec_lo
	s_delay_alu instid0(VALU_DEP_2)
	v_cmpx_ne_u32_e32 0x80, v183
	s_cbranch_execz .LBB350_434
; %bb.429:                              ;   in Loop: Header=BB350_16 Depth=1
	v_and_b32_e32 v35, 0x7f, v183
	v_mov_b32_e32 v182, 0x7fc02000
	s_mov_b32 s23, exec_lo
	s_delay_alu instid0(VALU_DEP_2)
	v_cmpx_ne_u32_e32 0x7f, v35
	s_cbranch_execz .LBB350_433
; %bb.430:                              ;   in Loop: Header=BB350_16 Depth=1
	v_and_b32_e32 v7, 7, v183
	v_lshrrev_b32_e32 v182, 3, v35
	v_cmp_gt_u32_e64 s1, 8, v35
	s_delay_alu instid0(VALU_DEP_3) | instskip(NEXT) | instid1(VALU_DEP_2)
	v_dual_mov_b32 v36, v8 :: v_dual_mov_b32 v35, v7
	s_and_saveexec_b32 s24, s1
; %bb.431:                              ;   in Loop: Header=BB350_16 Depth=1
	v_clz_i32_u32_e32 v35, v7
	s_delay_alu instid0(VALU_DEP_1) | instskip(NEXT) | instid1(VALU_DEP_1)
	v_min_u32_e32 v182, 32, v35
	v_subrev_nc_u32_e32 v35, 28, v182
	v_sub_nc_u32_e32 v182, 29, v182
	s_delay_alu instid0(VALU_DEP_2) | instskip(NEXT) | instid1(VALU_DEP_1)
	v_lshlrev_b64 v[35:36], v35, v[7:8]
	v_and_b32_e32 v35, 7, v35
; %bb.432:                              ;   in Loop: Header=BB350_16 Depth=1
	s_or_b32 exec_lo, exec_lo, s24
	v_lshlrev_b32_e32 v7, 8, v183
	v_lshl_add_u32 v36, v182, 10, 0x2000
	s_delay_alu instid0(VALU_DEP_1) | instskip(NEXT) | instid1(VALU_DEP_1)
	v_and_or_b32 v7, 0x8000, v7, v36
	v_lshl_or_b32 v7, v35, 7, v7
	s_delay_alu instid0(VALU_DEP_1)
	v_cvt_f32_f16_e64 v182, v7
.LBB350_433:                            ;   in Loop: Header=BB350_16 Depth=1
	s_or_b32 exec_lo, exec_lo, s23
.LBB350_434:                            ;   in Loop: Header=BB350_16 Depth=1
	s_delay_alu instid0(SALU_CYCLE_1)
	s_or_b32 exec_lo, exec_lo, s22
.LBB350_435:                            ;   in Loop: Header=BB350_16 Depth=1
	s_delay_alu instid0(SALU_CYCLE_1) | instskip(SKIP_4) | instid1(VALU_DEP_3)
	s_or_b32 exec_lo, exec_lo, s21
	v_dual_mov_b32 v40, 0 :: v_dual_and_b32 v35, 0xff, v34
	v_mov_b32_e32 v7, v34
	v_mov_b32_e32 v183, 0
	s_mov_b32 s21, exec_lo
	v_cmpx_ne_u16_e32 0, v35
	s_cbranch_execz .LBB350_443
; %bb.436:                              ;   in Loop: Header=BB350_16 Depth=1
	v_bfrev_b32_e32 v183, 1
	s_mov_b32 s22, exec_lo
	v_cmpx_ne_u16_e32 0x80, v35
	s_cbranch_execz .LBB350_442
; %bb.437:                              ;   in Loop: Header=BB350_16 Depth=1
	v_and_b32_e32 v35, 0x7f, v34
	v_mov_b32_e32 v183, 0x7fc02000
	s_mov_b32 s23, exec_lo
	s_delay_alu instid0(VALU_DEP_2)
	v_cmpx_ne_u32_e32 0x7f, v35
	s_cbranch_execz .LBB350_441
; %bb.438:                              ;   in Loop: Header=BB350_16 Depth=1
	v_lshrrev_b32_e32 v183, 3, v35
	v_cmp_gt_u32_e64 s1, 8, v35
	v_dual_mov_b32 v36, v8 :: v_dual_mov_b32 v35, v7
	s_delay_alu instid0(VALU_DEP_2)
	s_and_saveexec_b32 s24, s1
; %bb.439:                              ;   in Loop: Header=BB350_16 Depth=1
	v_and_b32_e32 v35, 7, v34
	s_delay_alu instid0(VALU_DEP_1) | instskip(NEXT) | instid1(VALU_DEP_1)
	v_clz_i32_u32_e32 v35, v35
	v_min_u32_e32 v183, 32, v35
	s_delay_alu instid0(VALU_DEP_1) | instskip(SKIP_1) | instid1(VALU_DEP_2)
	v_subrev_nc_u32_e32 v35, 28, v183
	v_sub_nc_u32_e32 v183, 29, v183
	v_lshlrev_b64 v[35:36], v35, v[7:8]
; %bb.440:                              ;   in Loop: Header=BB350_16 Depth=1
	s_or_b32 exec_lo, exec_lo, s24
	v_lshlrev_b32_e32 v36, 8, v34
	s_delay_alu instid0(VALU_DEP_3) | instskip(NEXT) | instid1(VALU_DEP_3)
	v_lshl_add_u32 v183, v183, 10, 0x2000
	v_lshlrev_b32_e32 v35, 7, v35
	s_delay_alu instid0(VALU_DEP_2) | instskip(NEXT) | instid1(VALU_DEP_1)
	v_and_or_b32 v36, 0x8000, v36, v183
	v_and_or_b32 v35, 0x380, v35, v36
	s_delay_alu instid0(VALU_DEP_1)
	v_cvt_f32_f16_e64 v183, v35
.LBB350_441:                            ;   in Loop: Header=BB350_16 Depth=1
	s_or_b32 exec_lo, exec_lo, s23
.LBB350_442:                            ;   in Loop: Header=BB350_16 Depth=1
	s_delay_alu instid0(SALU_CYCLE_1)
	s_or_b32 exec_lo, exec_lo, s22
.LBB350_443:                            ;   in Loop: Header=BB350_16 Depth=1
	s_delay_alu instid0(SALU_CYCLE_1) | instskip(SKIP_2) | instid1(VALU_DEP_1)
	s_or_b32 exec_lo, exec_lo, s21
	v_lshrrev_b16 v7, 8, v7
	s_mov_b32 s21, exec_lo
	v_cmpx_ne_u16_e32 0, v7
	s_cbranch_execz .LBB350_451
; %bb.444:                              ;   in Loop: Header=BB350_16 Depth=1
	v_bfrev_b32_e32 v40, 1
	s_mov_b32 s22, exec_lo
	v_cmpx_ne_u16_e32 0x80, v7
	s_cbranch_execz .LBB350_450
; %bb.445:                              ;   in Loop: Header=BB350_16 Depth=1
	v_and_b32_e32 v41, 0xffff, v7
	v_mov_b32_e32 v40, 0x7fc02000
	s_mov_b32 s23, exec_lo
	s_delay_alu instid0(VALU_DEP_2) | instskip(NEXT) | instid1(VALU_DEP_1)
	v_and_b32_e32 v35, 0x7f, v41
	v_cmpx_ne_u32_e32 0x7f, v35
	s_cbranch_execz .LBB350_449
; %bb.446:                              ;   in Loop: Header=BB350_16 Depth=1
	v_and_b32_e32 v7, 7, v41
	v_lshrrev_b32_e32 v40, 3, v35
	v_cmp_gt_u32_e64 s1, 8, v35
	s_delay_alu instid0(VALU_DEP_3) | instskip(NEXT) | instid1(VALU_DEP_2)
	v_dual_mov_b32 v36, v8 :: v_dual_mov_b32 v35, v7
	s_and_saveexec_b32 s24, s1
; %bb.447:                              ;   in Loop: Header=BB350_16 Depth=1
	v_clz_i32_u32_e32 v35, v7
	s_delay_alu instid0(VALU_DEP_1) | instskip(NEXT) | instid1(VALU_DEP_1)
	v_min_u32_e32 v40, 32, v35
	v_subrev_nc_u32_e32 v35, 28, v40
	v_sub_nc_u32_e32 v40, 29, v40
	s_delay_alu instid0(VALU_DEP_2) | instskip(NEXT) | instid1(VALU_DEP_1)
	v_lshlrev_b64 v[35:36], v35, v[7:8]
	v_and_b32_e32 v35, 7, v35
; %bb.448:                              ;   in Loop: Header=BB350_16 Depth=1
	s_or_b32 exec_lo, exec_lo, s24
	v_lshlrev_b32_e32 v7, 8, v41
	v_lshl_add_u32 v36, v40, 10, 0x2000
	s_delay_alu instid0(VALU_DEP_1) | instskip(NEXT) | instid1(VALU_DEP_1)
	v_and_or_b32 v7, 0x8000, v7, v36
	v_lshl_or_b32 v7, v35, 7, v7
	s_delay_alu instid0(VALU_DEP_1)
	v_cvt_f32_f16_e32 v40, v7
.LBB350_449:                            ;   in Loop: Header=BB350_16 Depth=1
	s_or_b32 exec_lo, exec_lo, s23
.LBB350_450:                            ;   in Loop: Header=BB350_16 Depth=1
	s_delay_alu instid0(SALU_CYCLE_1)
	s_or_b32 exec_lo, exec_lo, s22
.LBB350_451:                            ;   in Loop: Header=BB350_16 Depth=1
	s_delay_alu instid0(SALU_CYCLE_1) | instskip(SKIP_3) | instid1(VALU_DEP_2)
	s_or_b32 exec_lo, exec_lo, s21
	v_lshrrev_b32_e32 v43, 16, v34
	v_mov_b32_e32 v41, 0
	s_mov_b32 s21, exec_lo
	v_dual_mov_b32 v42, 0 :: v_dual_and_b32 v7, 0xff, v43
	s_delay_alu instid0(VALU_DEP_1)
	v_cmpx_ne_u16_e32 0, v7
	s_cbranch_execz .LBB350_459
; %bb.452:                              ;   in Loop: Header=BB350_16 Depth=1
	v_bfrev_b32_e32 v42, 1
	s_mov_b32 s22, exec_lo
	v_cmpx_ne_u16_e32 0x80, v7
	s_cbranch_execz .LBB350_458
; %bb.453:                              ;   in Loop: Header=BB350_16 Depth=1
	v_bfe_u32 v35, v34, 16, 7
	v_mov_b32_e32 v42, 0x7fc02000
	s_mov_b32 s23, exec_lo
	s_delay_alu instid0(VALU_DEP_2)
	v_cmpx_ne_u32_e32 0x7f, v35
	s_cbranch_execz .LBB350_457
; %bb.454:                              ;   in Loop: Header=BB350_16 Depth=1
	v_and_b32_e32 v7, 7, v43
	v_lshrrev_b32_e32 v42, 3, v35
	v_cmp_gt_u32_e64 s1, 8, v35
	s_delay_alu instid0(VALU_DEP_3) | instskip(NEXT) | instid1(VALU_DEP_2)
	v_dual_mov_b32 v36, v8 :: v_dual_mov_b32 v35, v7
	s_and_saveexec_b32 s24, s1
; %bb.455:                              ;   in Loop: Header=BB350_16 Depth=1
	v_clz_i32_u32_e32 v35, v7
	s_delay_alu instid0(VALU_DEP_1) | instskip(NEXT) | instid1(VALU_DEP_1)
	v_min_u32_e32 v42, 32, v35
	v_subrev_nc_u32_e32 v35, 28, v42
	v_sub_nc_u32_e32 v42, 29, v42
	s_delay_alu instid0(VALU_DEP_2) | instskip(NEXT) | instid1(VALU_DEP_1)
	v_lshlrev_b64 v[35:36], v35, v[7:8]
	v_and_b32_e32 v35, 7, v35
; %bb.456:                              ;   in Loop: Header=BB350_16 Depth=1
	s_or_b32 exec_lo, exec_lo, s24
	v_lshlrev_b32_e32 v7, 8, v43
	v_lshl_add_u32 v36, v42, 10, 0x2000
	s_delay_alu instid0(VALU_DEP_1) | instskip(NEXT) | instid1(VALU_DEP_1)
	v_and_or_b32 v7, 0x8000, v7, v36
	v_lshl_or_b32 v7, v35, 7, v7
	s_delay_alu instid0(VALU_DEP_1)
	v_cvt_f32_f16_e32 v42, v7
.LBB350_457:                            ;   in Loop: Header=BB350_16 Depth=1
	s_or_b32 exec_lo, exec_lo, s23
.LBB350_458:                            ;   in Loop: Header=BB350_16 Depth=1
	s_delay_alu instid0(SALU_CYCLE_1)
	s_or_b32 exec_lo, exec_lo, s22
.LBB350_459:                            ;   in Loop: Header=BB350_16 Depth=1
	s_delay_alu instid0(SALU_CYCLE_1) | instskip(NEXT) | instid1(SALU_CYCLE_1)
	s_or_b32 exec_lo, exec_lo, s21
	s_mov_b32 s21, exec_lo
	v_cmpx_lt_u64_e64 s[8:9], v[33:34]
	s_cbranch_execz .LBB350_467
; %bb.460:                              ;   in Loop: Header=BB350_16 Depth=1
	v_lshrrev_b32_e32 v35, 24, v34
	v_bfrev_b32_e32 v41, 1
	s_mov_b32 s22, exec_lo
	s_delay_alu instid0(VALU_DEP_2)
	v_cmpx_ne_u32_e32 0x80, v35
	s_cbranch_execz .LBB350_466
; %bb.461:                              ;   in Loop: Header=BB350_16 Depth=1
	v_and_b32_e32 v33, 0x7f, v35
	v_mov_b32_e32 v41, 0x7fc02000
	s_mov_b32 s23, exec_lo
	s_delay_alu instid0(VALU_DEP_2)
	v_cmpx_ne_u32_e32 0x7f, v33
	s_cbranch_execz .LBB350_465
; %bb.462:                              ;   in Loop: Header=BB350_16 Depth=1
	v_and_b32_e32 v7, 7, v35
	v_lshrrev_b32_e32 v36, 3, v33
	v_cmp_gt_u32_e64 s1, 8, v33
	s_delay_alu instid0(VALU_DEP_3) | instskip(NEXT) | instid1(VALU_DEP_2)
	v_dual_mov_b32 v34, v8 :: v_dual_mov_b32 v33, v7
	s_and_saveexec_b32 s24, s1
; %bb.463:                              ;   in Loop: Header=BB350_16 Depth=1
	v_clz_i32_u32_e32 v33, v7
	s_delay_alu instid0(VALU_DEP_1) | instskip(NEXT) | instid1(VALU_DEP_1)
	v_min_u32_e32 v36, 32, v33
	v_subrev_nc_u32_e32 v33, 28, v36
	v_sub_nc_u32_e32 v36, 29, v36
	s_delay_alu instid0(VALU_DEP_2) | instskip(NEXT) | instid1(VALU_DEP_1)
	v_lshlrev_b64 v[33:34], v33, v[7:8]
	v_and_b32_e32 v33, 7, v33
; %bb.464:                              ;   in Loop: Header=BB350_16 Depth=1
	s_or_b32 exec_lo, exec_lo, s24
	v_lshlrev_b32_e32 v7, 8, v35
	v_lshl_add_u32 v34, v36, 10, 0x2000
	s_delay_alu instid0(VALU_DEP_1) | instskip(NEXT) | instid1(VALU_DEP_1)
	v_and_or_b32 v7, 0x8000, v7, v34
	v_lshl_or_b32 v7, v33, 7, v7
	s_delay_alu instid0(VALU_DEP_1)
	v_cvt_f32_f16_e32 v41, v7
.LBB350_465:                            ;   in Loop: Header=BB350_16 Depth=1
	s_or_b32 exec_lo, exec_lo, s23
.LBB350_466:                            ;   in Loop: Header=BB350_16 Depth=1
	s_delay_alu instid0(SALU_CYCLE_1)
	s_or_b32 exec_lo, exec_lo, s22
.LBB350_467:                            ;   in Loop: Header=BB350_16 Depth=1
	s_delay_alu instid0(SALU_CYCLE_1)
	s_or_b32 exec_lo, exec_lo, s21
	flat_load_b64 v[33:34], v[31:32] offset:1544
	v_mov_b32_e32 v43, 0
	s_mov_b32 s21, exec_lo
	s_waitcnt vmcnt(0) lgkmcnt(0)
	v_dual_mov_b32 v44, 0 :: v_dual_and_b32 v7, 0xff, v33
	s_delay_alu instid0(VALU_DEP_1)
	v_cmpx_ne_u16_e32 0, v7
	s_cbranch_execz .LBB350_475
; %bb.468:                              ;   in Loop: Header=BB350_16 Depth=1
	v_bfrev_b32_e32 v43, 1
	s_mov_b32 s22, exec_lo
	v_cmpx_ne_u16_e32 0x80, v7
	s_cbranch_execz .LBB350_474
; %bb.469:                              ;   in Loop: Header=BB350_16 Depth=1
	v_and_b32_e32 v35, 0x7f, v33
	v_mov_b32_e32 v43, 0x7fc02000
	s_mov_b32 s23, exec_lo
	s_delay_alu instid0(VALU_DEP_2)
	v_cmpx_ne_u32_e32 0x7f, v35
	s_cbranch_execz .LBB350_473
; %bb.470:                              ;   in Loop: Header=BB350_16 Depth=1
	v_lshrrev_b32_e32 v7, 3, v35
	v_cmp_gt_u32_e64 s1, 8, v35
	v_dual_mov_b32 v36, v34 :: v_dual_mov_b32 v35, v33
	s_delay_alu instid0(VALU_DEP_2)
	s_and_saveexec_b32 s24, s1
; %bb.471:                              ;   in Loop: Header=BB350_16 Depth=1
	v_and_b32_e32 v7, 7, v33
	s_delay_alu instid0(VALU_DEP_1) | instskip(NEXT) | instid1(VALU_DEP_1)
	v_clz_i32_u32_e32 v7, v7
	v_min_u32_e32 v7, 32, v7
	s_delay_alu instid0(VALU_DEP_1) | instskip(SKIP_1) | instid1(VALU_DEP_2)
	v_subrev_nc_u32_e32 v35, 28, v7
	v_sub_nc_u32_e32 v7, 29, v7
	v_lshlrev_b64 v[35:36], v35, v[33:34]
; %bb.472:                              ;   in Loop: Header=BB350_16 Depth=1
	s_or_b32 exec_lo, exec_lo, s24
	v_lshlrev_b32_e32 v36, 8, v33
	s_delay_alu instid0(VALU_DEP_3) | instskip(NEXT) | instid1(VALU_DEP_3)
	v_lshl_add_u32 v7, v7, 10, 0x2000
	v_lshlrev_b32_e32 v35, 7, v35
	s_delay_alu instid0(VALU_DEP_2) | instskip(NEXT) | instid1(VALU_DEP_1)
	v_and_or_b32 v7, 0x8000, v36, v7
	v_and_or_b32 v7, 0x380, v35, v7
	s_delay_alu instid0(VALU_DEP_1)
	v_cvt_f32_f16_e32 v43, v7
.LBB350_473:                            ;   in Loop: Header=BB350_16 Depth=1
	s_or_b32 exec_lo, exec_lo, s23
.LBB350_474:                            ;   in Loop: Header=BB350_16 Depth=1
	s_delay_alu instid0(SALU_CYCLE_1)
	s_or_b32 exec_lo, exec_lo, s22
.LBB350_475:                            ;   in Loop: Header=BB350_16 Depth=1
	s_delay_alu instid0(SALU_CYCLE_1) | instskip(SKIP_2) | instid1(VALU_DEP_1)
	s_or_b32 exec_lo, exec_lo, s21
	v_lshrrev_b16 v7, 8, v33
	s_mov_b32 s21, exec_lo
	v_cmpx_ne_u16_e32 0, v7
	s_cbranch_execz .LBB350_483
; %bb.476:                              ;   in Loop: Header=BB350_16 Depth=1
	v_bfrev_b32_e32 v44, 1
	s_mov_b32 s22, exec_lo
	v_cmpx_ne_u16_e32 0x80, v7
	s_cbranch_execz .LBB350_482
; %bb.477:                              ;   in Loop: Header=BB350_16 Depth=1
	v_and_b32_e32 v45, 0xffff, v7
	v_mov_b32_e32 v44, 0x7fc02000
	s_mov_b32 s23, exec_lo
	s_delay_alu instid0(VALU_DEP_2) | instskip(NEXT) | instid1(VALU_DEP_1)
	v_and_b32_e32 v35, 0x7f, v45
	v_cmpx_ne_u32_e32 0x7f, v35
	s_cbranch_execz .LBB350_481
; %bb.478:                              ;   in Loop: Header=BB350_16 Depth=1
	v_and_b32_e32 v7, 7, v45
	v_lshrrev_b32_e32 v44, 3, v35
	v_cmp_gt_u32_e64 s1, 8, v35
	s_delay_alu instid0(VALU_DEP_3) | instskip(NEXT) | instid1(VALU_DEP_2)
	v_dual_mov_b32 v36, v8 :: v_dual_mov_b32 v35, v7
	s_and_saveexec_b32 s24, s1
; %bb.479:                              ;   in Loop: Header=BB350_16 Depth=1
	v_clz_i32_u32_e32 v35, v7
	s_delay_alu instid0(VALU_DEP_1) | instskip(NEXT) | instid1(VALU_DEP_1)
	v_min_u32_e32 v44, 32, v35
	v_subrev_nc_u32_e32 v35, 28, v44
	v_sub_nc_u32_e32 v44, 29, v44
	s_delay_alu instid0(VALU_DEP_2) | instskip(NEXT) | instid1(VALU_DEP_1)
	v_lshlrev_b64 v[35:36], v35, v[7:8]
	v_and_b32_e32 v35, 7, v35
; %bb.480:                              ;   in Loop: Header=BB350_16 Depth=1
	s_or_b32 exec_lo, exec_lo, s24
	v_lshlrev_b32_e32 v7, 8, v45
	v_lshl_add_u32 v36, v44, 10, 0x2000
	s_delay_alu instid0(VALU_DEP_1) | instskip(NEXT) | instid1(VALU_DEP_1)
	v_and_or_b32 v7, 0x8000, v7, v36
	v_lshl_or_b32 v7, v35, 7, v7
	s_delay_alu instid0(VALU_DEP_1)
	v_cvt_f32_f16_e32 v44, v7
.LBB350_481:                            ;   in Loop: Header=BB350_16 Depth=1
	s_or_b32 exec_lo, exec_lo, s23
.LBB350_482:                            ;   in Loop: Header=BB350_16 Depth=1
	s_delay_alu instid0(SALU_CYCLE_1)
	s_or_b32 exec_lo, exec_lo, s22
.LBB350_483:                            ;   in Loop: Header=BB350_16 Depth=1
	s_delay_alu instid0(SALU_CYCLE_1) | instskip(SKIP_3) | instid1(VALU_DEP_2)
	s_or_b32 exec_lo, exec_lo, s21
	v_lshrrev_b32_e32 v47, 16, v33
	v_mov_b32_e32 v45, 0
	s_mov_b32 s21, exec_lo
	v_dual_mov_b32 v46, 0 :: v_dual_and_b32 v7, 0xff, v47
	s_delay_alu instid0(VALU_DEP_1)
	v_cmpx_ne_u16_e32 0, v7
	s_cbranch_execz .LBB350_491
; %bb.484:                              ;   in Loop: Header=BB350_16 Depth=1
	v_bfrev_b32_e32 v45, 1
	s_mov_b32 s22, exec_lo
	v_cmpx_ne_u16_e32 0x80, v7
	s_cbranch_execz .LBB350_490
; %bb.485:                              ;   in Loop: Header=BB350_16 Depth=1
	v_bfe_u32 v35, v33, 16, 7
	v_mov_b32_e32 v45, 0x7fc02000
	s_mov_b32 s23, exec_lo
	s_delay_alu instid0(VALU_DEP_2)
	v_cmpx_ne_u32_e32 0x7f, v35
	s_cbranch_execz .LBB350_489
; %bb.486:                              ;   in Loop: Header=BB350_16 Depth=1
	v_and_b32_e32 v7, 7, v47
	v_lshrrev_b32_e32 v45, 3, v35
	v_cmp_gt_u32_e64 s1, 8, v35
	s_delay_alu instid0(VALU_DEP_3) | instskip(NEXT) | instid1(VALU_DEP_2)
	v_dual_mov_b32 v36, v8 :: v_dual_mov_b32 v35, v7
	s_and_saveexec_b32 s24, s1
; %bb.487:                              ;   in Loop: Header=BB350_16 Depth=1
	v_clz_i32_u32_e32 v35, v7
	s_delay_alu instid0(VALU_DEP_1) | instskip(NEXT) | instid1(VALU_DEP_1)
	v_min_u32_e32 v45, 32, v35
	v_subrev_nc_u32_e32 v35, 28, v45
	v_sub_nc_u32_e32 v45, 29, v45
	s_delay_alu instid0(VALU_DEP_2) | instskip(NEXT) | instid1(VALU_DEP_1)
	v_lshlrev_b64 v[35:36], v35, v[7:8]
	v_and_b32_e32 v35, 7, v35
; %bb.488:                              ;   in Loop: Header=BB350_16 Depth=1
	s_or_b32 exec_lo, exec_lo, s24
	v_lshlrev_b32_e32 v7, 8, v47
	v_lshl_add_u32 v36, v45, 10, 0x2000
	s_delay_alu instid0(VALU_DEP_1) | instskip(NEXT) | instid1(VALU_DEP_1)
	v_and_or_b32 v7, 0x8000, v7, v36
	v_lshl_or_b32 v7, v35, 7, v7
	s_delay_alu instid0(VALU_DEP_1)
	v_cvt_f32_f16_e32 v45, v7
.LBB350_489:                            ;   in Loop: Header=BB350_16 Depth=1
	s_or_b32 exec_lo, exec_lo, s23
.LBB350_490:                            ;   in Loop: Header=BB350_16 Depth=1
	s_delay_alu instid0(SALU_CYCLE_1)
	s_or_b32 exec_lo, exec_lo, s22
.LBB350_491:                            ;   in Loop: Header=BB350_16 Depth=1
	s_delay_alu instid0(SALU_CYCLE_1) | instskip(NEXT) | instid1(SALU_CYCLE_1)
	s_or_b32 exec_lo, exec_lo, s21
	s_mov_b32 s21, exec_lo
	v_cmpx_lt_u32_e32 0xffffff, v33
	s_cbranch_execz .LBB350_499
; %bb.492:                              ;   in Loop: Header=BB350_16 Depth=1
	v_lshrrev_b32_e32 v47, 24, v33
	v_bfrev_b32_e32 v46, 1
	s_mov_b32 s22, exec_lo
	s_delay_alu instid0(VALU_DEP_2)
	v_cmpx_ne_u32_e32 0x80, v47
	s_cbranch_execz .LBB350_498
; %bb.493:                              ;   in Loop: Header=BB350_16 Depth=1
	v_and_b32_e32 v35, 0x7f, v47
	v_mov_b32_e32 v46, 0x7fc02000
	s_mov_b32 s23, exec_lo
	s_delay_alu instid0(VALU_DEP_2)
	v_cmpx_ne_u32_e32 0x7f, v35
	s_cbranch_execz .LBB350_497
; %bb.494:                              ;   in Loop: Header=BB350_16 Depth=1
	v_and_b32_e32 v7, 7, v47
	v_lshrrev_b32_e32 v46, 3, v35
	v_cmp_gt_u32_e64 s1, 8, v35
	s_delay_alu instid0(VALU_DEP_3) | instskip(NEXT) | instid1(VALU_DEP_2)
	v_dual_mov_b32 v36, v8 :: v_dual_mov_b32 v35, v7
	s_and_saveexec_b32 s24, s1
; %bb.495:                              ;   in Loop: Header=BB350_16 Depth=1
	v_clz_i32_u32_e32 v35, v7
	s_delay_alu instid0(VALU_DEP_1) | instskip(NEXT) | instid1(VALU_DEP_1)
	v_min_u32_e32 v46, 32, v35
	v_subrev_nc_u32_e32 v35, 28, v46
	v_sub_nc_u32_e32 v46, 29, v46
	s_delay_alu instid0(VALU_DEP_2) | instskip(NEXT) | instid1(VALU_DEP_1)
	v_lshlrev_b64 v[35:36], v35, v[7:8]
	v_and_b32_e32 v35, 7, v35
; %bb.496:                              ;   in Loop: Header=BB350_16 Depth=1
	s_or_b32 exec_lo, exec_lo, s24
	v_lshlrev_b32_e32 v7, 8, v47
	v_lshl_add_u32 v36, v46, 10, 0x2000
	s_delay_alu instid0(VALU_DEP_1) | instskip(NEXT) | instid1(VALU_DEP_1)
	v_and_or_b32 v7, 0x8000, v7, v36
	v_lshl_or_b32 v7, v35, 7, v7
	s_delay_alu instid0(VALU_DEP_1)
	v_cvt_f32_f16_e32 v46, v7
.LBB350_497:                            ;   in Loop: Header=BB350_16 Depth=1
	s_or_b32 exec_lo, exec_lo, s23
.LBB350_498:                            ;   in Loop: Header=BB350_16 Depth=1
	s_delay_alu instid0(SALU_CYCLE_1)
	s_or_b32 exec_lo, exec_lo, s22
.LBB350_499:                            ;   in Loop: Header=BB350_16 Depth=1
	s_delay_alu instid0(SALU_CYCLE_1) | instskip(SKIP_4) | instid1(VALU_DEP_3)
	s_or_b32 exec_lo, exec_lo, s21
	v_dual_mov_b32 v56, 0 :: v_dual_and_b32 v35, 0xff, v34
	v_mov_b32_e32 v7, v34
	v_mov_b32_e32 v47, 0
	s_mov_b32 s21, exec_lo
	v_cmpx_ne_u16_e32 0, v35
	s_cbranch_execz .LBB350_507
; %bb.500:                              ;   in Loop: Header=BB350_16 Depth=1
	v_bfrev_b32_e32 v47, 1
	s_mov_b32 s22, exec_lo
	v_cmpx_ne_u16_e32 0x80, v35
	s_cbranch_execz .LBB350_506
; %bb.501:                              ;   in Loop: Header=BB350_16 Depth=1
	v_and_b32_e32 v35, 0x7f, v34
	v_mov_b32_e32 v47, 0x7fc02000
	s_mov_b32 s23, exec_lo
	s_delay_alu instid0(VALU_DEP_2)
	v_cmpx_ne_u32_e32 0x7f, v35
	s_cbranch_execz .LBB350_505
; %bb.502:                              ;   in Loop: Header=BB350_16 Depth=1
	v_lshrrev_b32_e32 v47, 3, v35
	v_cmp_gt_u32_e64 s1, 8, v35
	v_dual_mov_b32 v36, v8 :: v_dual_mov_b32 v35, v7
	s_delay_alu instid0(VALU_DEP_2)
	s_and_saveexec_b32 s24, s1
; %bb.503:                              ;   in Loop: Header=BB350_16 Depth=1
	v_and_b32_e32 v35, 7, v34
	s_delay_alu instid0(VALU_DEP_1) | instskip(NEXT) | instid1(VALU_DEP_1)
	v_clz_i32_u32_e32 v35, v35
	v_min_u32_e32 v47, 32, v35
	s_delay_alu instid0(VALU_DEP_1) | instskip(SKIP_1) | instid1(VALU_DEP_2)
	v_subrev_nc_u32_e32 v35, 28, v47
	v_sub_nc_u32_e32 v47, 29, v47
	v_lshlrev_b64 v[35:36], v35, v[7:8]
; %bb.504:                              ;   in Loop: Header=BB350_16 Depth=1
	s_or_b32 exec_lo, exec_lo, s24
	v_lshlrev_b32_e32 v36, 8, v34
	s_delay_alu instid0(VALU_DEP_3) | instskip(NEXT) | instid1(VALU_DEP_3)
	v_lshl_add_u32 v47, v47, 10, 0x2000
	v_lshlrev_b32_e32 v35, 7, v35
	s_delay_alu instid0(VALU_DEP_2) | instskip(NEXT) | instid1(VALU_DEP_1)
	v_and_or_b32 v36, 0x8000, v36, v47
	v_and_or_b32 v35, 0x380, v35, v36
	s_delay_alu instid0(VALU_DEP_1)
	v_cvt_f32_f16_e32 v47, v35
.LBB350_505:                            ;   in Loop: Header=BB350_16 Depth=1
	s_or_b32 exec_lo, exec_lo, s23
.LBB350_506:                            ;   in Loop: Header=BB350_16 Depth=1
	s_delay_alu instid0(SALU_CYCLE_1)
	s_or_b32 exec_lo, exec_lo, s22
.LBB350_507:                            ;   in Loop: Header=BB350_16 Depth=1
	s_delay_alu instid0(SALU_CYCLE_1) | instskip(SKIP_2) | instid1(VALU_DEP_1)
	s_or_b32 exec_lo, exec_lo, s21
	v_lshrrev_b16 v7, 8, v7
	s_mov_b32 s21, exec_lo
	v_cmpx_ne_u16_e32 0, v7
	s_cbranch_execz .LBB350_515
; %bb.508:                              ;   in Loop: Header=BB350_16 Depth=1
	v_bfrev_b32_e32 v56, 1
	s_mov_b32 s22, exec_lo
	v_cmpx_ne_u16_e32 0x80, v7
	s_cbranch_execz .LBB350_514
; %bb.509:                              ;   in Loop: Header=BB350_16 Depth=1
	v_and_b32_e32 v57, 0xffff, v7
	v_mov_b32_e32 v56, 0x7fc02000
	s_mov_b32 s23, exec_lo
	s_delay_alu instid0(VALU_DEP_2) | instskip(NEXT) | instid1(VALU_DEP_1)
	v_and_b32_e32 v35, 0x7f, v57
	v_cmpx_ne_u32_e32 0x7f, v35
	s_cbranch_execz .LBB350_513
; %bb.510:                              ;   in Loop: Header=BB350_16 Depth=1
	v_and_b32_e32 v7, 7, v57
	v_lshrrev_b32_e32 v56, 3, v35
	v_cmp_gt_u32_e64 s1, 8, v35
	s_delay_alu instid0(VALU_DEP_3) | instskip(NEXT) | instid1(VALU_DEP_2)
	v_dual_mov_b32 v36, v8 :: v_dual_mov_b32 v35, v7
	s_and_saveexec_b32 s24, s1
; %bb.511:                              ;   in Loop: Header=BB350_16 Depth=1
	v_clz_i32_u32_e32 v35, v7
	s_delay_alu instid0(VALU_DEP_1) | instskip(NEXT) | instid1(VALU_DEP_1)
	v_min_u32_e32 v56, 32, v35
	v_subrev_nc_u32_e32 v35, 28, v56
	v_sub_nc_u32_e32 v56, 29, v56
	s_delay_alu instid0(VALU_DEP_2) | instskip(NEXT) | instid1(VALU_DEP_1)
	v_lshlrev_b64 v[35:36], v35, v[7:8]
	v_and_b32_e32 v35, 7, v35
; %bb.512:                              ;   in Loop: Header=BB350_16 Depth=1
	s_or_b32 exec_lo, exec_lo, s24
	v_lshlrev_b32_e32 v7, 8, v57
	v_lshl_add_u32 v36, v56, 10, 0x2000
	s_delay_alu instid0(VALU_DEP_1) | instskip(NEXT) | instid1(VALU_DEP_1)
	v_and_or_b32 v7, 0x8000, v7, v36
	v_lshl_or_b32 v7, v35, 7, v7
	s_delay_alu instid0(VALU_DEP_1)
	v_cvt_f32_f16_e32 v56, v7
.LBB350_513:                            ;   in Loop: Header=BB350_16 Depth=1
	s_or_b32 exec_lo, exec_lo, s23
.LBB350_514:                            ;   in Loop: Header=BB350_16 Depth=1
	s_delay_alu instid0(SALU_CYCLE_1)
	s_or_b32 exec_lo, exec_lo, s22
.LBB350_515:                            ;   in Loop: Header=BB350_16 Depth=1
	s_delay_alu instid0(SALU_CYCLE_1) | instskip(SKIP_3) | instid1(VALU_DEP_2)
	s_or_b32 exec_lo, exec_lo, s21
	v_lshrrev_b32_e32 v59, 16, v34
	v_mov_b32_e32 v57, 0
	s_mov_b32 s21, exec_lo
	v_dual_mov_b32 v58, 0 :: v_dual_and_b32 v7, 0xff, v59
	s_delay_alu instid0(VALU_DEP_1)
	v_cmpx_ne_u16_e32 0, v7
	s_cbranch_execz .LBB350_523
; %bb.516:                              ;   in Loop: Header=BB350_16 Depth=1
	v_bfrev_b32_e32 v58, 1
	s_mov_b32 s22, exec_lo
	v_cmpx_ne_u16_e32 0x80, v7
	s_cbranch_execz .LBB350_522
; %bb.517:                              ;   in Loop: Header=BB350_16 Depth=1
	v_bfe_u32 v35, v34, 16, 7
	v_mov_b32_e32 v58, 0x7fc02000
	s_mov_b32 s23, exec_lo
	s_delay_alu instid0(VALU_DEP_2)
	v_cmpx_ne_u32_e32 0x7f, v35
	s_cbranch_execz .LBB350_521
; %bb.518:                              ;   in Loop: Header=BB350_16 Depth=1
	v_and_b32_e32 v7, 7, v59
	v_lshrrev_b32_e32 v58, 3, v35
	v_cmp_gt_u32_e64 s1, 8, v35
	s_delay_alu instid0(VALU_DEP_3) | instskip(NEXT) | instid1(VALU_DEP_2)
	v_dual_mov_b32 v36, v8 :: v_dual_mov_b32 v35, v7
	s_and_saveexec_b32 s24, s1
; %bb.519:                              ;   in Loop: Header=BB350_16 Depth=1
	v_clz_i32_u32_e32 v35, v7
	s_delay_alu instid0(VALU_DEP_1) | instskip(NEXT) | instid1(VALU_DEP_1)
	v_min_u32_e32 v58, 32, v35
	v_subrev_nc_u32_e32 v35, 28, v58
	v_sub_nc_u32_e32 v58, 29, v58
	s_delay_alu instid0(VALU_DEP_2) | instskip(NEXT) | instid1(VALU_DEP_1)
	v_lshlrev_b64 v[35:36], v35, v[7:8]
	v_and_b32_e32 v35, 7, v35
; %bb.520:                              ;   in Loop: Header=BB350_16 Depth=1
	s_or_b32 exec_lo, exec_lo, s24
	v_lshlrev_b32_e32 v7, 8, v59
	v_lshl_add_u32 v36, v58, 10, 0x2000
	s_delay_alu instid0(VALU_DEP_1) | instskip(NEXT) | instid1(VALU_DEP_1)
	v_and_or_b32 v7, 0x8000, v7, v36
	v_lshl_or_b32 v7, v35, 7, v7
	s_delay_alu instid0(VALU_DEP_1)
	v_cvt_f32_f16_e32 v58, v7
.LBB350_521:                            ;   in Loop: Header=BB350_16 Depth=1
	s_or_b32 exec_lo, exec_lo, s23
.LBB350_522:                            ;   in Loop: Header=BB350_16 Depth=1
	s_delay_alu instid0(SALU_CYCLE_1)
	s_or_b32 exec_lo, exec_lo, s22
.LBB350_523:                            ;   in Loop: Header=BB350_16 Depth=1
	s_delay_alu instid0(SALU_CYCLE_1) | instskip(NEXT) | instid1(SALU_CYCLE_1)
	s_or_b32 exec_lo, exec_lo, s21
	s_mov_b32 s21, exec_lo
	v_cmpx_lt_u64_e64 s[8:9], v[33:34]
	s_cbranch_execz .LBB350_531
; %bb.524:                              ;   in Loop: Header=BB350_16 Depth=1
	v_lshrrev_b32_e32 v35, 24, v34
	v_bfrev_b32_e32 v57, 1
	s_mov_b32 s22, exec_lo
	s_delay_alu instid0(VALU_DEP_2)
	v_cmpx_ne_u32_e32 0x80, v35
	s_cbranch_execz .LBB350_530
; %bb.525:                              ;   in Loop: Header=BB350_16 Depth=1
	v_and_b32_e32 v33, 0x7f, v35
	v_mov_b32_e32 v57, 0x7fc02000
	s_mov_b32 s23, exec_lo
	s_delay_alu instid0(VALU_DEP_2)
	v_cmpx_ne_u32_e32 0x7f, v33
	s_cbranch_execz .LBB350_529
; %bb.526:                              ;   in Loop: Header=BB350_16 Depth=1
	v_and_b32_e32 v7, 7, v35
	v_lshrrev_b32_e32 v36, 3, v33
	v_cmp_gt_u32_e64 s1, 8, v33
	s_delay_alu instid0(VALU_DEP_3) | instskip(NEXT) | instid1(VALU_DEP_2)
	v_dual_mov_b32 v34, v8 :: v_dual_mov_b32 v33, v7
	s_and_saveexec_b32 s24, s1
; %bb.527:                              ;   in Loop: Header=BB350_16 Depth=1
	v_clz_i32_u32_e32 v33, v7
	s_delay_alu instid0(VALU_DEP_1) | instskip(NEXT) | instid1(VALU_DEP_1)
	v_min_u32_e32 v36, 32, v33
	v_subrev_nc_u32_e32 v33, 28, v36
	v_sub_nc_u32_e32 v36, 29, v36
	s_delay_alu instid0(VALU_DEP_2) | instskip(NEXT) | instid1(VALU_DEP_1)
	v_lshlrev_b64 v[33:34], v33, v[7:8]
	v_and_b32_e32 v33, 7, v33
; %bb.528:                              ;   in Loop: Header=BB350_16 Depth=1
	s_or_b32 exec_lo, exec_lo, s24
	v_lshlrev_b32_e32 v7, 8, v35
	v_lshl_add_u32 v34, v36, 10, 0x2000
	s_delay_alu instid0(VALU_DEP_1) | instskip(NEXT) | instid1(VALU_DEP_1)
	v_and_or_b32 v7, 0x8000, v7, v34
	v_lshl_or_b32 v7, v33, 7, v7
	s_delay_alu instid0(VALU_DEP_1)
	v_cvt_f32_f16_e32 v57, v7
.LBB350_529:                            ;   in Loop: Header=BB350_16 Depth=1
	s_or_b32 exec_lo, exec_lo, s23
.LBB350_530:                            ;   in Loop: Header=BB350_16 Depth=1
	s_delay_alu instid0(SALU_CYCLE_1)
	s_or_b32 exec_lo, exec_lo, s22
.LBB350_531:                            ;   in Loop: Header=BB350_16 Depth=1
	s_delay_alu instid0(SALU_CYCLE_1)
	s_or_b32 exec_lo, exec_lo, s21
	flat_load_b64 v[33:34], v[31:32] offset:2048
	v_mov_b32_e32 v59, 0
	s_mov_b32 s21, exec_lo
	s_waitcnt vmcnt(0) lgkmcnt(0)
	v_dual_mov_b32 v60, 0 :: v_dual_and_b32 v7, 0xff, v33
	s_delay_alu instid0(VALU_DEP_1)
	v_cmpx_ne_u16_e32 0, v7
	s_cbranch_execz .LBB350_539
; %bb.532:                              ;   in Loop: Header=BB350_16 Depth=1
	v_bfrev_b32_e32 v59, 1
	s_mov_b32 s22, exec_lo
	v_cmpx_ne_u16_e32 0x80, v7
	s_cbranch_execz .LBB350_538
; %bb.533:                              ;   in Loop: Header=BB350_16 Depth=1
	v_and_b32_e32 v35, 0x7f, v33
	v_mov_b32_e32 v59, 0x7fc02000
	s_mov_b32 s23, exec_lo
	s_delay_alu instid0(VALU_DEP_2)
	v_cmpx_ne_u32_e32 0x7f, v35
	s_cbranch_execz .LBB350_537
; %bb.534:                              ;   in Loop: Header=BB350_16 Depth=1
	v_lshrrev_b32_e32 v7, 3, v35
	v_cmp_gt_u32_e64 s1, 8, v35
	v_dual_mov_b32 v36, v34 :: v_dual_mov_b32 v35, v33
	s_delay_alu instid0(VALU_DEP_2)
	s_and_saveexec_b32 s24, s1
; %bb.535:                              ;   in Loop: Header=BB350_16 Depth=1
	v_and_b32_e32 v7, 7, v33
	s_delay_alu instid0(VALU_DEP_1) | instskip(NEXT) | instid1(VALU_DEP_1)
	v_clz_i32_u32_e32 v7, v7
	v_min_u32_e32 v7, 32, v7
	s_delay_alu instid0(VALU_DEP_1) | instskip(SKIP_1) | instid1(VALU_DEP_2)
	v_subrev_nc_u32_e32 v35, 28, v7
	v_sub_nc_u32_e32 v7, 29, v7
	v_lshlrev_b64 v[35:36], v35, v[33:34]
; %bb.536:                              ;   in Loop: Header=BB350_16 Depth=1
	s_or_b32 exec_lo, exec_lo, s24
	v_lshlrev_b32_e32 v36, 8, v33
	s_delay_alu instid0(VALU_DEP_3) | instskip(NEXT) | instid1(VALU_DEP_3)
	v_lshl_add_u32 v7, v7, 10, 0x2000
	v_lshlrev_b32_e32 v35, 7, v35
	s_delay_alu instid0(VALU_DEP_2) | instskip(NEXT) | instid1(VALU_DEP_1)
	v_and_or_b32 v7, 0x8000, v36, v7
	v_and_or_b32 v7, 0x380, v35, v7
	s_delay_alu instid0(VALU_DEP_1)
	v_cvt_f32_f16_e32 v59, v7
.LBB350_537:                            ;   in Loop: Header=BB350_16 Depth=1
	s_or_b32 exec_lo, exec_lo, s23
.LBB350_538:                            ;   in Loop: Header=BB350_16 Depth=1
	s_delay_alu instid0(SALU_CYCLE_1)
	s_or_b32 exec_lo, exec_lo, s22
.LBB350_539:                            ;   in Loop: Header=BB350_16 Depth=1
	s_delay_alu instid0(SALU_CYCLE_1) | instskip(SKIP_2) | instid1(VALU_DEP_1)
	s_or_b32 exec_lo, exec_lo, s21
	v_lshrrev_b16 v7, 8, v33
	s_mov_b32 s21, exec_lo
	v_cmpx_ne_u16_e32 0, v7
	s_cbranch_execz .LBB350_547
; %bb.540:                              ;   in Loop: Header=BB350_16 Depth=1
	v_bfrev_b32_e32 v60, 1
	s_mov_b32 s22, exec_lo
	v_cmpx_ne_u16_e32 0x80, v7
	s_cbranch_execz .LBB350_546
; %bb.541:                              ;   in Loop: Header=BB350_16 Depth=1
	v_and_b32_e32 v61, 0xffff, v7
	v_mov_b32_e32 v60, 0x7fc02000
	s_mov_b32 s23, exec_lo
	s_delay_alu instid0(VALU_DEP_2) | instskip(NEXT) | instid1(VALU_DEP_1)
	v_and_b32_e32 v35, 0x7f, v61
	v_cmpx_ne_u32_e32 0x7f, v35
	s_cbranch_execz .LBB350_545
; %bb.542:                              ;   in Loop: Header=BB350_16 Depth=1
	v_and_b32_e32 v7, 7, v61
	v_lshrrev_b32_e32 v60, 3, v35
	v_cmp_gt_u32_e64 s1, 8, v35
	s_delay_alu instid0(VALU_DEP_3) | instskip(NEXT) | instid1(VALU_DEP_2)
	v_dual_mov_b32 v36, v8 :: v_dual_mov_b32 v35, v7
	s_and_saveexec_b32 s24, s1
; %bb.543:                              ;   in Loop: Header=BB350_16 Depth=1
	v_clz_i32_u32_e32 v35, v7
	s_delay_alu instid0(VALU_DEP_1) | instskip(NEXT) | instid1(VALU_DEP_1)
	v_min_u32_e32 v60, 32, v35
	v_subrev_nc_u32_e32 v35, 28, v60
	v_sub_nc_u32_e32 v60, 29, v60
	s_delay_alu instid0(VALU_DEP_2) | instskip(NEXT) | instid1(VALU_DEP_1)
	v_lshlrev_b64 v[35:36], v35, v[7:8]
	v_and_b32_e32 v35, 7, v35
; %bb.544:                              ;   in Loop: Header=BB350_16 Depth=1
	s_or_b32 exec_lo, exec_lo, s24
	v_lshlrev_b32_e32 v7, 8, v61
	v_lshl_add_u32 v36, v60, 10, 0x2000
	s_delay_alu instid0(VALU_DEP_1) | instskip(NEXT) | instid1(VALU_DEP_1)
	v_and_or_b32 v7, 0x8000, v7, v36
	v_lshl_or_b32 v7, v35, 7, v7
	s_delay_alu instid0(VALU_DEP_1)
	v_cvt_f32_f16_e32 v60, v7
.LBB350_545:                            ;   in Loop: Header=BB350_16 Depth=1
	s_or_b32 exec_lo, exec_lo, s23
.LBB350_546:                            ;   in Loop: Header=BB350_16 Depth=1
	s_delay_alu instid0(SALU_CYCLE_1)
	s_or_b32 exec_lo, exec_lo, s22
.LBB350_547:                            ;   in Loop: Header=BB350_16 Depth=1
	s_delay_alu instid0(SALU_CYCLE_1) | instskip(SKIP_3) | instid1(VALU_DEP_2)
	s_or_b32 exec_lo, exec_lo, s21
	v_lshrrev_b32_e32 v63, 16, v33
	v_mov_b32_e32 v61, 0
	s_mov_b32 s21, exec_lo
	v_dual_mov_b32 v62, 0 :: v_dual_and_b32 v7, 0xff, v63
	s_delay_alu instid0(VALU_DEP_1)
	v_cmpx_ne_u16_e32 0, v7
	s_cbranch_execz .LBB350_555
; %bb.548:                              ;   in Loop: Header=BB350_16 Depth=1
	v_bfrev_b32_e32 v61, 1
	s_mov_b32 s22, exec_lo
	v_cmpx_ne_u16_e32 0x80, v7
	s_cbranch_execz .LBB350_554
; %bb.549:                              ;   in Loop: Header=BB350_16 Depth=1
	v_bfe_u32 v35, v33, 16, 7
	v_mov_b32_e32 v61, 0x7fc02000
	s_mov_b32 s23, exec_lo
	s_delay_alu instid0(VALU_DEP_2)
	v_cmpx_ne_u32_e32 0x7f, v35
	s_cbranch_execz .LBB350_553
; %bb.550:                              ;   in Loop: Header=BB350_16 Depth=1
	v_and_b32_e32 v7, 7, v63
	v_lshrrev_b32_e32 v61, 3, v35
	v_cmp_gt_u32_e64 s1, 8, v35
	s_delay_alu instid0(VALU_DEP_3) | instskip(NEXT) | instid1(VALU_DEP_2)
	v_dual_mov_b32 v36, v8 :: v_dual_mov_b32 v35, v7
	s_and_saveexec_b32 s24, s1
; %bb.551:                              ;   in Loop: Header=BB350_16 Depth=1
	v_clz_i32_u32_e32 v35, v7
	s_delay_alu instid0(VALU_DEP_1) | instskip(NEXT) | instid1(VALU_DEP_1)
	v_min_u32_e32 v61, 32, v35
	v_subrev_nc_u32_e32 v35, 28, v61
	v_sub_nc_u32_e32 v61, 29, v61
	s_delay_alu instid0(VALU_DEP_2) | instskip(NEXT) | instid1(VALU_DEP_1)
	v_lshlrev_b64 v[35:36], v35, v[7:8]
	v_and_b32_e32 v35, 7, v35
; %bb.552:                              ;   in Loop: Header=BB350_16 Depth=1
	s_or_b32 exec_lo, exec_lo, s24
	v_lshlrev_b32_e32 v7, 8, v63
	v_lshl_add_u32 v36, v61, 10, 0x2000
	s_delay_alu instid0(VALU_DEP_1) | instskip(NEXT) | instid1(VALU_DEP_1)
	v_and_or_b32 v7, 0x8000, v7, v36
	v_lshl_or_b32 v7, v35, 7, v7
	s_delay_alu instid0(VALU_DEP_1)
	v_cvt_f32_f16_e32 v61, v7
.LBB350_553:                            ;   in Loop: Header=BB350_16 Depth=1
	s_or_b32 exec_lo, exec_lo, s23
.LBB350_554:                            ;   in Loop: Header=BB350_16 Depth=1
	s_delay_alu instid0(SALU_CYCLE_1)
	s_or_b32 exec_lo, exec_lo, s22
.LBB350_555:                            ;   in Loop: Header=BB350_16 Depth=1
	s_delay_alu instid0(SALU_CYCLE_1) | instskip(NEXT) | instid1(SALU_CYCLE_1)
	s_or_b32 exec_lo, exec_lo, s21
	s_mov_b32 s21, exec_lo
	v_cmpx_lt_u32_e32 0xffffff, v33
	s_cbranch_execz .LBB350_563
; %bb.556:                              ;   in Loop: Header=BB350_16 Depth=1
	v_lshrrev_b32_e32 v63, 24, v33
	v_bfrev_b32_e32 v62, 1
	s_mov_b32 s22, exec_lo
	s_delay_alu instid0(VALU_DEP_2)
	v_cmpx_ne_u32_e32 0x80, v63
	s_cbranch_execz .LBB350_562
; %bb.557:                              ;   in Loop: Header=BB350_16 Depth=1
	v_and_b32_e32 v35, 0x7f, v63
	v_mov_b32_e32 v62, 0x7fc02000
	s_mov_b32 s23, exec_lo
	s_delay_alu instid0(VALU_DEP_2)
	v_cmpx_ne_u32_e32 0x7f, v35
	s_cbranch_execz .LBB350_561
; %bb.558:                              ;   in Loop: Header=BB350_16 Depth=1
	v_and_b32_e32 v7, 7, v63
	v_lshrrev_b32_e32 v62, 3, v35
	v_cmp_gt_u32_e64 s1, 8, v35
	s_delay_alu instid0(VALU_DEP_3) | instskip(NEXT) | instid1(VALU_DEP_2)
	v_dual_mov_b32 v36, v8 :: v_dual_mov_b32 v35, v7
	s_and_saveexec_b32 s24, s1
; %bb.559:                              ;   in Loop: Header=BB350_16 Depth=1
	v_clz_i32_u32_e32 v35, v7
	s_delay_alu instid0(VALU_DEP_1) | instskip(NEXT) | instid1(VALU_DEP_1)
	v_min_u32_e32 v62, 32, v35
	v_subrev_nc_u32_e32 v35, 28, v62
	v_sub_nc_u32_e32 v62, 29, v62
	s_delay_alu instid0(VALU_DEP_2) | instskip(NEXT) | instid1(VALU_DEP_1)
	v_lshlrev_b64 v[35:36], v35, v[7:8]
	v_and_b32_e32 v35, 7, v35
; %bb.560:                              ;   in Loop: Header=BB350_16 Depth=1
	s_or_b32 exec_lo, exec_lo, s24
	v_lshlrev_b32_e32 v7, 8, v63
	v_lshl_add_u32 v36, v62, 10, 0x2000
	s_delay_alu instid0(VALU_DEP_1) | instskip(NEXT) | instid1(VALU_DEP_1)
	v_and_or_b32 v7, 0x8000, v7, v36
	v_lshl_or_b32 v7, v35, 7, v7
	s_delay_alu instid0(VALU_DEP_1)
	v_cvt_f32_f16_e32 v62, v7
.LBB350_561:                            ;   in Loop: Header=BB350_16 Depth=1
	s_or_b32 exec_lo, exec_lo, s23
.LBB350_562:                            ;   in Loop: Header=BB350_16 Depth=1
	s_delay_alu instid0(SALU_CYCLE_1)
	s_or_b32 exec_lo, exec_lo, s22
.LBB350_563:                            ;   in Loop: Header=BB350_16 Depth=1
	s_delay_alu instid0(SALU_CYCLE_1) | instskip(SKIP_4) | instid1(VALU_DEP_3)
	s_or_b32 exec_lo, exec_lo, s21
	v_dual_mov_b32 v72, 0 :: v_dual_and_b32 v35, 0xff, v34
	v_mov_b32_e32 v7, v34
	v_mov_b32_e32 v63, 0
	s_mov_b32 s21, exec_lo
	v_cmpx_ne_u16_e32 0, v35
	s_cbranch_execz .LBB350_571
; %bb.564:                              ;   in Loop: Header=BB350_16 Depth=1
	v_bfrev_b32_e32 v63, 1
	s_mov_b32 s22, exec_lo
	v_cmpx_ne_u16_e32 0x80, v35
	s_cbranch_execz .LBB350_570
; %bb.565:                              ;   in Loop: Header=BB350_16 Depth=1
	v_and_b32_e32 v35, 0x7f, v34
	v_mov_b32_e32 v63, 0x7fc02000
	s_mov_b32 s23, exec_lo
	s_delay_alu instid0(VALU_DEP_2)
	v_cmpx_ne_u32_e32 0x7f, v35
	s_cbranch_execz .LBB350_569
; %bb.566:                              ;   in Loop: Header=BB350_16 Depth=1
	v_lshrrev_b32_e32 v63, 3, v35
	v_cmp_gt_u32_e64 s1, 8, v35
	v_dual_mov_b32 v36, v8 :: v_dual_mov_b32 v35, v7
	s_delay_alu instid0(VALU_DEP_2)
	s_and_saveexec_b32 s24, s1
; %bb.567:                              ;   in Loop: Header=BB350_16 Depth=1
	v_and_b32_e32 v35, 7, v34
	s_delay_alu instid0(VALU_DEP_1) | instskip(NEXT) | instid1(VALU_DEP_1)
	v_clz_i32_u32_e32 v35, v35
	v_min_u32_e32 v63, 32, v35
	s_delay_alu instid0(VALU_DEP_1) | instskip(SKIP_1) | instid1(VALU_DEP_2)
	v_subrev_nc_u32_e32 v35, 28, v63
	v_sub_nc_u32_e32 v63, 29, v63
	v_lshlrev_b64 v[35:36], v35, v[7:8]
; %bb.568:                              ;   in Loop: Header=BB350_16 Depth=1
	s_or_b32 exec_lo, exec_lo, s24
	v_lshlrev_b32_e32 v36, 8, v34
	s_delay_alu instid0(VALU_DEP_3) | instskip(NEXT) | instid1(VALU_DEP_3)
	v_lshl_add_u32 v63, v63, 10, 0x2000
	v_lshlrev_b32_e32 v35, 7, v35
	s_delay_alu instid0(VALU_DEP_2) | instskip(NEXT) | instid1(VALU_DEP_1)
	v_and_or_b32 v36, 0x8000, v36, v63
	v_and_or_b32 v35, 0x380, v35, v36
	s_delay_alu instid0(VALU_DEP_1)
	v_cvt_f32_f16_e32 v63, v35
.LBB350_569:                            ;   in Loop: Header=BB350_16 Depth=1
	s_or_b32 exec_lo, exec_lo, s23
.LBB350_570:                            ;   in Loop: Header=BB350_16 Depth=1
	s_delay_alu instid0(SALU_CYCLE_1)
	s_or_b32 exec_lo, exec_lo, s22
.LBB350_571:                            ;   in Loop: Header=BB350_16 Depth=1
	s_delay_alu instid0(SALU_CYCLE_1) | instskip(SKIP_2) | instid1(VALU_DEP_1)
	s_or_b32 exec_lo, exec_lo, s21
	v_lshrrev_b16 v7, 8, v7
	s_mov_b32 s21, exec_lo
	v_cmpx_ne_u16_e32 0, v7
	s_cbranch_execz .LBB350_579
; %bb.572:                              ;   in Loop: Header=BB350_16 Depth=1
	v_bfrev_b32_e32 v72, 1
	s_mov_b32 s22, exec_lo
	v_cmpx_ne_u16_e32 0x80, v7
	s_cbranch_execz .LBB350_578
; %bb.573:                              ;   in Loop: Header=BB350_16 Depth=1
	v_and_b32_e32 v73, 0xffff, v7
	v_mov_b32_e32 v72, 0x7fc02000
	s_mov_b32 s23, exec_lo
	s_delay_alu instid0(VALU_DEP_2) | instskip(NEXT) | instid1(VALU_DEP_1)
	v_and_b32_e32 v35, 0x7f, v73
	v_cmpx_ne_u32_e32 0x7f, v35
	s_cbranch_execz .LBB350_577
; %bb.574:                              ;   in Loop: Header=BB350_16 Depth=1
	v_and_b32_e32 v7, 7, v73
	v_lshrrev_b32_e32 v72, 3, v35
	v_cmp_gt_u32_e64 s1, 8, v35
	s_delay_alu instid0(VALU_DEP_3) | instskip(NEXT) | instid1(VALU_DEP_2)
	v_dual_mov_b32 v36, v8 :: v_dual_mov_b32 v35, v7
	s_and_saveexec_b32 s24, s1
; %bb.575:                              ;   in Loop: Header=BB350_16 Depth=1
	v_clz_i32_u32_e32 v35, v7
	s_delay_alu instid0(VALU_DEP_1) | instskip(NEXT) | instid1(VALU_DEP_1)
	v_min_u32_e32 v72, 32, v35
	v_subrev_nc_u32_e32 v35, 28, v72
	v_sub_nc_u32_e32 v72, 29, v72
	s_delay_alu instid0(VALU_DEP_2) | instskip(NEXT) | instid1(VALU_DEP_1)
	v_lshlrev_b64 v[35:36], v35, v[7:8]
	v_and_b32_e32 v35, 7, v35
; %bb.576:                              ;   in Loop: Header=BB350_16 Depth=1
	s_or_b32 exec_lo, exec_lo, s24
	v_lshlrev_b32_e32 v7, 8, v73
	v_lshl_add_u32 v36, v72, 10, 0x2000
	s_delay_alu instid0(VALU_DEP_1) | instskip(NEXT) | instid1(VALU_DEP_1)
	v_and_or_b32 v7, 0x8000, v7, v36
	v_lshl_or_b32 v7, v35, 7, v7
	s_delay_alu instid0(VALU_DEP_1)
	v_cvt_f32_f16_e32 v72, v7
.LBB350_577:                            ;   in Loop: Header=BB350_16 Depth=1
	s_or_b32 exec_lo, exec_lo, s23
.LBB350_578:                            ;   in Loop: Header=BB350_16 Depth=1
	s_delay_alu instid0(SALU_CYCLE_1)
	s_or_b32 exec_lo, exec_lo, s22
.LBB350_579:                            ;   in Loop: Header=BB350_16 Depth=1
	s_delay_alu instid0(SALU_CYCLE_1) | instskip(SKIP_3) | instid1(VALU_DEP_2)
	s_or_b32 exec_lo, exec_lo, s21
	v_lshrrev_b32_e32 v75, 16, v34
	v_mov_b32_e32 v73, 0
	s_mov_b32 s21, exec_lo
	v_dual_mov_b32 v74, 0 :: v_dual_and_b32 v7, 0xff, v75
	s_delay_alu instid0(VALU_DEP_1)
	v_cmpx_ne_u16_e32 0, v7
	s_cbranch_execz .LBB350_587
; %bb.580:                              ;   in Loop: Header=BB350_16 Depth=1
	v_bfrev_b32_e32 v74, 1
	s_mov_b32 s22, exec_lo
	v_cmpx_ne_u16_e32 0x80, v7
	s_cbranch_execz .LBB350_586
; %bb.581:                              ;   in Loop: Header=BB350_16 Depth=1
	v_bfe_u32 v35, v34, 16, 7
	v_mov_b32_e32 v74, 0x7fc02000
	s_mov_b32 s23, exec_lo
	s_delay_alu instid0(VALU_DEP_2)
	v_cmpx_ne_u32_e32 0x7f, v35
	s_cbranch_execz .LBB350_585
; %bb.582:                              ;   in Loop: Header=BB350_16 Depth=1
	v_and_b32_e32 v7, 7, v75
	v_lshrrev_b32_e32 v74, 3, v35
	v_cmp_gt_u32_e64 s1, 8, v35
	s_delay_alu instid0(VALU_DEP_3) | instskip(NEXT) | instid1(VALU_DEP_2)
	v_dual_mov_b32 v36, v8 :: v_dual_mov_b32 v35, v7
	s_and_saveexec_b32 s24, s1
; %bb.583:                              ;   in Loop: Header=BB350_16 Depth=1
	v_clz_i32_u32_e32 v35, v7
	s_delay_alu instid0(VALU_DEP_1) | instskip(NEXT) | instid1(VALU_DEP_1)
	v_min_u32_e32 v74, 32, v35
	v_subrev_nc_u32_e32 v35, 28, v74
	v_sub_nc_u32_e32 v74, 29, v74
	s_delay_alu instid0(VALU_DEP_2) | instskip(NEXT) | instid1(VALU_DEP_1)
	v_lshlrev_b64 v[35:36], v35, v[7:8]
	v_and_b32_e32 v35, 7, v35
; %bb.584:                              ;   in Loop: Header=BB350_16 Depth=1
	s_or_b32 exec_lo, exec_lo, s24
	v_lshlrev_b32_e32 v7, 8, v75
	v_lshl_add_u32 v36, v74, 10, 0x2000
	s_delay_alu instid0(VALU_DEP_1) | instskip(NEXT) | instid1(VALU_DEP_1)
	v_and_or_b32 v7, 0x8000, v7, v36
	v_lshl_or_b32 v7, v35, 7, v7
	s_delay_alu instid0(VALU_DEP_1)
	v_cvt_f32_f16_e32 v74, v7
.LBB350_585:                            ;   in Loop: Header=BB350_16 Depth=1
	s_or_b32 exec_lo, exec_lo, s23
.LBB350_586:                            ;   in Loop: Header=BB350_16 Depth=1
	s_delay_alu instid0(SALU_CYCLE_1)
	s_or_b32 exec_lo, exec_lo, s22
.LBB350_587:                            ;   in Loop: Header=BB350_16 Depth=1
	s_delay_alu instid0(SALU_CYCLE_1) | instskip(NEXT) | instid1(SALU_CYCLE_1)
	s_or_b32 exec_lo, exec_lo, s21
	s_mov_b32 s21, exec_lo
	v_cmpx_lt_u64_e64 s[8:9], v[33:34]
	s_cbranch_execz .LBB350_595
; %bb.588:                              ;   in Loop: Header=BB350_16 Depth=1
	v_lshrrev_b32_e32 v35, 24, v34
	v_bfrev_b32_e32 v73, 1
	s_mov_b32 s22, exec_lo
	s_delay_alu instid0(VALU_DEP_2)
	v_cmpx_ne_u32_e32 0x80, v35
	s_cbranch_execz .LBB350_594
; %bb.589:                              ;   in Loop: Header=BB350_16 Depth=1
	v_and_b32_e32 v33, 0x7f, v35
	v_mov_b32_e32 v73, 0x7fc02000
	s_mov_b32 s23, exec_lo
	s_delay_alu instid0(VALU_DEP_2)
	v_cmpx_ne_u32_e32 0x7f, v33
	s_cbranch_execz .LBB350_593
; %bb.590:                              ;   in Loop: Header=BB350_16 Depth=1
	v_and_b32_e32 v7, 7, v35
	v_lshrrev_b32_e32 v36, 3, v33
	v_cmp_gt_u32_e64 s1, 8, v33
	s_delay_alu instid0(VALU_DEP_3) | instskip(NEXT) | instid1(VALU_DEP_2)
	v_dual_mov_b32 v34, v8 :: v_dual_mov_b32 v33, v7
	s_and_saveexec_b32 s24, s1
; %bb.591:                              ;   in Loop: Header=BB350_16 Depth=1
	v_clz_i32_u32_e32 v33, v7
	s_delay_alu instid0(VALU_DEP_1) | instskip(NEXT) | instid1(VALU_DEP_1)
	v_min_u32_e32 v36, 32, v33
	v_subrev_nc_u32_e32 v33, 28, v36
	v_sub_nc_u32_e32 v36, 29, v36
	s_delay_alu instid0(VALU_DEP_2) | instskip(NEXT) | instid1(VALU_DEP_1)
	v_lshlrev_b64 v[33:34], v33, v[7:8]
	v_and_b32_e32 v33, 7, v33
; %bb.592:                              ;   in Loop: Header=BB350_16 Depth=1
	s_or_b32 exec_lo, exec_lo, s24
	v_lshlrev_b32_e32 v7, 8, v35
	v_lshl_add_u32 v34, v36, 10, 0x2000
	s_delay_alu instid0(VALU_DEP_1) | instskip(NEXT) | instid1(VALU_DEP_1)
	v_and_or_b32 v7, 0x8000, v7, v34
	v_lshl_or_b32 v7, v33, 7, v7
	s_delay_alu instid0(VALU_DEP_1)
	v_cvt_f32_f16_e32 v73, v7
.LBB350_593:                            ;   in Loop: Header=BB350_16 Depth=1
	s_or_b32 exec_lo, exec_lo, s23
.LBB350_594:                            ;   in Loop: Header=BB350_16 Depth=1
	s_delay_alu instid0(SALU_CYCLE_1)
	s_or_b32 exec_lo, exec_lo, s22
.LBB350_595:                            ;   in Loop: Header=BB350_16 Depth=1
	s_delay_alu instid0(SALU_CYCLE_1)
	s_or_b32 exec_lo, exec_lo, s21
	flat_load_b64 v[33:34], v[31:32] offset:2056
	v_mov_b32_e32 v75, 0
	s_mov_b32 s21, exec_lo
	s_waitcnt vmcnt(0) lgkmcnt(0)
	v_dual_mov_b32 v76, 0 :: v_dual_and_b32 v7, 0xff, v33
	s_delay_alu instid0(VALU_DEP_1)
	v_cmpx_ne_u16_e32 0, v7
	s_cbranch_execz .LBB350_603
; %bb.596:                              ;   in Loop: Header=BB350_16 Depth=1
	v_bfrev_b32_e32 v75, 1
	s_mov_b32 s22, exec_lo
	v_cmpx_ne_u16_e32 0x80, v7
	s_cbranch_execz .LBB350_602
; %bb.597:                              ;   in Loop: Header=BB350_16 Depth=1
	v_and_b32_e32 v35, 0x7f, v33
	v_mov_b32_e32 v75, 0x7fc02000
	s_mov_b32 s23, exec_lo
	s_delay_alu instid0(VALU_DEP_2)
	v_cmpx_ne_u32_e32 0x7f, v35
	s_cbranch_execz .LBB350_601
; %bb.598:                              ;   in Loop: Header=BB350_16 Depth=1
	v_lshrrev_b32_e32 v7, 3, v35
	v_cmp_gt_u32_e64 s1, 8, v35
	v_dual_mov_b32 v36, v34 :: v_dual_mov_b32 v35, v33
	s_delay_alu instid0(VALU_DEP_2)
	s_and_saveexec_b32 s24, s1
; %bb.599:                              ;   in Loop: Header=BB350_16 Depth=1
	v_and_b32_e32 v7, 7, v33
	s_delay_alu instid0(VALU_DEP_1) | instskip(NEXT) | instid1(VALU_DEP_1)
	v_clz_i32_u32_e32 v7, v7
	v_min_u32_e32 v7, 32, v7
	s_delay_alu instid0(VALU_DEP_1) | instskip(SKIP_1) | instid1(VALU_DEP_2)
	v_subrev_nc_u32_e32 v35, 28, v7
	v_sub_nc_u32_e32 v7, 29, v7
	v_lshlrev_b64 v[35:36], v35, v[33:34]
; %bb.600:                              ;   in Loop: Header=BB350_16 Depth=1
	s_or_b32 exec_lo, exec_lo, s24
	v_lshlrev_b32_e32 v36, 8, v33
	s_delay_alu instid0(VALU_DEP_3) | instskip(NEXT) | instid1(VALU_DEP_3)
	v_lshl_add_u32 v7, v7, 10, 0x2000
	v_lshlrev_b32_e32 v35, 7, v35
	s_delay_alu instid0(VALU_DEP_2) | instskip(NEXT) | instid1(VALU_DEP_1)
	v_and_or_b32 v7, 0x8000, v36, v7
	v_and_or_b32 v7, 0x380, v35, v7
	s_delay_alu instid0(VALU_DEP_1)
	v_cvt_f32_f16_e32 v75, v7
.LBB350_601:                            ;   in Loop: Header=BB350_16 Depth=1
	s_or_b32 exec_lo, exec_lo, s23
.LBB350_602:                            ;   in Loop: Header=BB350_16 Depth=1
	s_delay_alu instid0(SALU_CYCLE_1)
	s_or_b32 exec_lo, exec_lo, s22
.LBB350_603:                            ;   in Loop: Header=BB350_16 Depth=1
	s_delay_alu instid0(SALU_CYCLE_1) | instskip(SKIP_2) | instid1(VALU_DEP_1)
	s_or_b32 exec_lo, exec_lo, s21
	v_lshrrev_b16 v7, 8, v33
	s_mov_b32 s21, exec_lo
	v_cmpx_ne_u16_e32 0, v7
	s_cbranch_execz .LBB350_611
; %bb.604:                              ;   in Loop: Header=BB350_16 Depth=1
	v_bfrev_b32_e32 v76, 1
	s_mov_b32 s22, exec_lo
	v_cmpx_ne_u16_e32 0x80, v7
	s_cbranch_execz .LBB350_610
; %bb.605:                              ;   in Loop: Header=BB350_16 Depth=1
	v_and_b32_e32 v77, 0xffff, v7
	v_mov_b32_e32 v76, 0x7fc02000
	s_mov_b32 s23, exec_lo
	s_delay_alu instid0(VALU_DEP_2) | instskip(NEXT) | instid1(VALU_DEP_1)
	v_and_b32_e32 v35, 0x7f, v77
	v_cmpx_ne_u32_e32 0x7f, v35
	s_cbranch_execz .LBB350_609
; %bb.606:                              ;   in Loop: Header=BB350_16 Depth=1
	v_and_b32_e32 v7, 7, v77
	v_lshrrev_b32_e32 v76, 3, v35
	v_cmp_gt_u32_e64 s1, 8, v35
	s_delay_alu instid0(VALU_DEP_3) | instskip(NEXT) | instid1(VALU_DEP_2)
	v_dual_mov_b32 v36, v8 :: v_dual_mov_b32 v35, v7
	s_and_saveexec_b32 s24, s1
; %bb.607:                              ;   in Loop: Header=BB350_16 Depth=1
	v_clz_i32_u32_e32 v35, v7
	s_delay_alu instid0(VALU_DEP_1) | instskip(NEXT) | instid1(VALU_DEP_1)
	v_min_u32_e32 v76, 32, v35
	v_subrev_nc_u32_e32 v35, 28, v76
	v_sub_nc_u32_e32 v76, 29, v76
	s_delay_alu instid0(VALU_DEP_2) | instskip(NEXT) | instid1(VALU_DEP_1)
	v_lshlrev_b64 v[35:36], v35, v[7:8]
	v_and_b32_e32 v35, 7, v35
; %bb.608:                              ;   in Loop: Header=BB350_16 Depth=1
	s_or_b32 exec_lo, exec_lo, s24
	v_lshlrev_b32_e32 v7, 8, v77
	v_lshl_add_u32 v36, v76, 10, 0x2000
	s_delay_alu instid0(VALU_DEP_1) | instskip(NEXT) | instid1(VALU_DEP_1)
	v_and_or_b32 v7, 0x8000, v7, v36
	v_lshl_or_b32 v7, v35, 7, v7
	s_delay_alu instid0(VALU_DEP_1)
	v_cvt_f32_f16_e32 v76, v7
.LBB350_609:                            ;   in Loop: Header=BB350_16 Depth=1
	s_or_b32 exec_lo, exec_lo, s23
.LBB350_610:                            ;   in Loop: Header=BB350_16 Depth=1
	s_delay_alu instid0(SALU_CYCLE_1)
	s_or_b32 exec_lo, exec_lo, s22
.LBB350_611:                            ;   in Loop: Header=BB350_16 Depth=1
	s_delay_alu instid0(SALU_CYCLE_1) | instskip(SKIP_3) | instid1(VALU_DEP_2)
	s_or_b32 exec_lo, exec_lo, s21
	v_lshrrev_b32_e32 v77, 16, v33
	v_mov_b32_e32 v79, 0
	s_mov_b32 s21, exec_lo
	v_dual_mov_b32 v78, 0 :: v_dual_and_b32 v7, 0xff, v77
	s_delay_alu instid0(VALU_DEP_1)
	v_cmpx_ne_u16_e32 0, v7
	s_cbranch_execz .LBB350_619
; %bb.612:                              ;   in Loop: Header=BB350_16 Depth=1
	v_bfrev_b32_e32 v78, 1
	s_mov_b32 s22, exec_lo
	v_cmpx_ne_u16_e32 0x80, v7
	s_cbranch_execz .LBB350_618
; %bb.613:                              ;   in Loop: Header=BB350_16 Depth=1
	v_bfe_u32 v35, v33, 16, 7
	v_mov_b32_e32 v78, 0x7fc02000
	s_mov_b32 s23, exec_lo
	s_delay_alu instid0(VALU_DEP_2)
	v_cmpx_ne_u32_e32 0x7f, v35
	s_cbranch_execz .LBB350_617
; %bb.614:                              ;   in Loop: Header=BB350_16 Depth=1
	v_and_b32_e32 v7, 7, v77
	v_lshrrev_b32_e32 v78, 3, v35
	v_cmp_gt_u32_e64 s1, 8, v35
	s_delay_alu instid0(VALU_DEP_3) | instskip(NEXT) | instid1(VALU_DEP_2)
	v_dual_mov_b32 v36, v8 :: v_dual_mov_b32 v35, v7
	s_and_saveexec_b32 s24, s1
; %bb.615:                              ;   in Loop: Header=BB350_16 Depth=1
	v_clz_i32_u32_e32 v35, v7
	s_delay_alu instid0(VALU_DEP_1) | instskip(NEXT) | instid1(VALU_DEP_1)
	v_min_u32_e32 v78, 32, v35
	v_subrev_nc_u32_e32 v35, 28, v78
	v_sub_nc_u32_e32 v78, 29, v78
	s_delay_alu instid0(VALU_DEP_2) | instskip(NEXT) | instid1(VALU_DEP_1)
	v_lshlrev_b64 v[35:36], v35, v[7:8]
	v_and_b32_e32 v35, 7, v35
; %bb.616:                              ;   in Loop: Header=BB350_16 Depth=1
	s_or_b32 exec_lo, exec_lo, s24
	v_lshlrev_b32_e32 v7, 8, v77
	v_lshl_add_u32 v36, v78, 10, 0x2000
	s_delay_alu instid0(VALU_DEP_1) | instskip(NEXT) | instid1(VALU_DEP_1)
	v_and_or_b32 v7, 0x8000, v7, v36
	v_lshl_or_b32 v7, v35, 7, v7
	s_delay_alu instid0(VALU_DEP_1)
	v_cvt_f32_f16_e32 v78, v7
.LBB350_617:                            ;   in Loop: Header=BB350_16 Depth=1
	s_or_b32 exec_lo, exec_lo, s23
.LBB350_618:                            ;   in Loop: Header=BB350_16 Depth=1
	s_delay_alu instid0(SALU_CYCLE_1)
	s_or_b32 exec_lo, exec_lo, s22
.LBB350_619:                            ;   in Loop: Header=BB350_16 Depth=1
	s_delay_alu instid0(SALU_CYCLE_1) | instskip(NEXT) | instid1(SALU_CYCLE_1)
	s_or_b32 exec_lo, exec_lo, s21
	s_mov_b32 s21, exec_lo
	v_cmpx_lt_u32_e32 0xffffff, v33
	s_cbranch_execz .LBB350_627
; %bb.620:                              ;   in Loop: Header=BB350_16 Depth=1
	v_lshrrev_b32_e32 v77, 24, v33
	v_bfrev_b32_e32 v79, 1
	s_mov_b32 s22, exec_lo
	s_delay_alu instid0(VALU_DEP_2)
	v_cmpx_ne_u32_e32 0x80, v77
	s_cbranch_execz .LBB350_626
; %bb.621:                              ;   in Loop: Header=BB350_16 Depth=1
	v_and_b32_e32 v35, 0x7f, v77
	v_mov_b32_e32 v79, 0x7fc02000
	s_mov_b32 s23, exec_lo
	s_delay_alu instid0(VALU_DEP_2)
	v_cmpx_ne_u32_e32 0x7f, v35
	s_cbranch_execz .LBB350_625
; %bb.622:                              ;   in Loop: Header=BB350_16 Depth=1
	v_and_b32_e32 v7, 7, v77
	v_lshrrev_b32_e32 v79, 3, v35
	v_cmp_gt_u32_e64 s1, 8, v35
	s_delay_alu instid0(VALU_DEP_3) | instskip(NEXT) | instid1(VALU_DEP_2)
	v_dual_mov_b32 v36, v8 :: v_dual_mov_b32 v35, v7
	s_and_saveexec_b32 s24, s1
; %bb.623:                              ;   in Loop: Header=BB350_16 Depth=1
	v_clz_i32_u32_e32 v35, v7
	s_delay_alu instid0(VALU_DEP_1) | instskip(NEXT) | instid1(VALU_DEP_1)
	v_min_u32_e32 v79, 32, v35
	v_subrev_nc_u32_e32 v35, 28, v79
	v_sub_nc_u32_e32 v79, 29, v79
	s_delay_alu instid0(VALU_DEP_2) | instskip(NEXT) | instid1(VALU_DEP_1)
	v_lshlrev_b64 v[35:36], v35, v[7:8]
	v_and_b32_e32 v35, 7, v35
; %bb.624:                              ;   in Loop: Header=BB350_16 Depth=1
	s_or_b32 exec_lo, exec_lo, s24
	v_lshlrev_b32_e32 v7, 8, v77
	v_lshl_add_u32 v36, v79, 10, 0x2000
	s_delay_alu instid0(VALU_DEP_1) | instskip(NEXT) | instid1(VALU_DEP_1)
	v_and_or_b32 v7, 0x8000, v7, v36
	v_lshl_or_b32 v7, v35, 7, v7
	s_delay_alu instid0(VALU_DEP_1)
	v_cvt_f32_f16_e32 v79, v7
.LBB350_625:                            ;   in Loop: Header=BB350_16 Depth=1
	s_or_b32 exec_lo, exec_lo, s23
.LBB350_626:                            ;   in Loop: Header=BB350_16 Depth=1
	s_delay_alu instid0(SALU_CYCLE_1)
	s_or_b32 exec_lo, exec_lo, s22
.LBB350_627:                            ;   in Loop: Header=BB350_16 Depth=1
	s_delay_alu instid0(SALU_CYCLE_1) | instskip(SKIP_3) | instid1(VALU_DEP_2)
	s_or_b32 exec_lo, exec_lo, s21
	v_dual_mov_b32 v104, 0 :: v_dual_and_b32 v35, 0xff, v34
	v_dual_mov_b32 v7, v34 :: v_dual_mov_b32 v94, 0
	s_mov_b32 s21, exec_lo
	v_cmpx_ne_u16_e32 0, v35
	s_cbranch_execz .LBB350_635
; %bb.628:                              ;   in Loop: Header=BB350_16 Depth=1
	v_bfrev_b32_e32 v94, 1
	s_mov_b32 s22, exec_lo
	v_cmpx_ne_u16_e32 0x80, v35
	s_cbranch_execz .LBB350_634
; %bb.629:                              ;   in Loop: Header=BB350_16 Depth=1
	v_and_b32_e32 v35, 0x7f, v34
	v_mov_b32_e32 v94, 0x7fc02000
	s_mov_b32 s23, exec_lo
	s_delay_alu instid0(VALU_DEP_2)
	v_cmpx_ne_u32_e32 0x7f, v35
	s_cbranch_execz .LBB350_633
; %bb.630:                              ;   in Loop: Header=BB350_16 Depth=1
	v_lshrrev_b32_e32 v77, 3, v35
	v_cmp_gt_u32_e64 s1, 8, v35
	v_dual_mov_b32 v36, v8 :: v_dual_mov_b32 v35, v7
	s_delay_alu instid0(VALU_DEP_2)
	s_and_saveexec_b32 s24, s1
; %bb.631:                              ;   in Loop: Header=BB350_16 Depth=1
	v_and_b32_e32 v35, 7, v34
	s_delay_alu instid0(VALU_DEP_1) | instskip(NEXT) | instid1(VALU_DEP_1)
	v_clz_i32_u32_e32 v35, v35
	v_min_u32_e32 v77, 32, v35
	s_delay_alu instid0(VALU_DEP_1) | instskip(SKIP_1) | instid1(VALU_DEP_2)
	v_subrev_nc_u32_e32 v35, 28, v77
	v_sub_nc_u32_e32 v77, 29, v77
	v_lshlrev_b64 v[35:36], v35, v[7:8]
; %bb.632:                              ;   in Loop: Header=BB350_16 Depth=1
	s_or_b32 exec_lo, exec_lo, s24
	v_lshlrev_b32_e32 v36, 8, v34
	s_delay_alu instid0(VALU_DEP_3) | instskip(NEXT) | instid1(VALU_DEP_3)
	v_lshl_add_u32 v77, v77, 10, 0x2000
	v_lshlrev_b32_e32 v35, 7, v35
	s_delay_alu instid0(VALU_DEP_2) | instskip(NEXT) | instid1(VALU_DEP_1)
	v_and_or_b32 v36, 0x8000, v36, v77
	v_and_or_b32 v35, 0x380, v35, v36
	s_delay_alu instid0(VALU_DEP_1)
	v_cvt_f32_f16_e32 v94, v35
.LBB350_633:                            ;   in Loop: Header=BB350_16 Depth=1
	s_or_b32 exec_lo, exec_lo, s23
.LBB350_634:                            ;   in Loop: Header=BB350_16 Depth=1
	s_delay_alu instid0(SALU_CYCLE_1)
	s_or_b32 exec_lo, exec_lo, s22
.LBB350_635:                            ;   in Loop: Header=BB350_16 Depth=1
	s_delay_alu instid0(SALU_CYCLE_1) | instskip(SKIP_2) | instid1(VALU_DEP_1)
	s_or_b32 exec_lo, exec_lo, s21
	v_lshrrev_b16 v7, 8, v7
	s_mov_b32 s21, exec_lo
	v_cmpx_ne_u16_e32 0, v7
	s_cbranch_execz .LBB350_643
; %bb.636:                              ;   in Loop: Header=BB350_16 Depth=1
	v_bfrev_b32_e32 v104, 1
	s_mov_b32 s22, exec_lo
	v_cmpx_ne_u16_e32 0x80, v7
	s_cbranch_execz .LBB350_642
; %bb.637:                              ;   in Loop: Header=BB350_16 Depth=1
	v_and_b32_e32 v77, 0xffff, v7
	v_mov_b32_e32 v104, 0x7fc02000
	s_mov_b32 s23, exec_lo
	s_delay_alu instid0(VALU_DEP_2) | instskip(NEXT) | instid1(VALU_DEP_1)
	v_and_b32_e32 v35, 0x7f, v77
	v_cmpx_ne_u32_e32 0x7f, v35
	s_cbranch_execz .LBB350_641
; %bb.638:                              ;   in Loop: Header=BB350_16 Depth=1
	v_and_b32_e32 v7, 7, v77
	v_lshrrev_b32_e32 v88, 3, v35
	v_cmp_gt_u32_e64 s1, 8, v35
	s_delay_alu instid0(VALU_DEP_3) | instskip(NEXT) | instid1(VALU_DEP_2)
	v_dual_mov_b32 v36, v8 :: v_dual_mov_b32 v35, v7
	s_and_saveexec_b32 s24, s1
; %bb.639:                              ;   in Loop: Header=BB350_16 Depth=1
	v_clz_i32_u32_e32 v35, v7
	s_delay_alu instid0(VALU_DEP_1) | instskip(NEXT) | instid1(VALU_DEP_1)
	v_min_u32_e32 v88, 32, v35
	v_subrev_nc_u32_e32 v35, 28, v88
	v_sub_nc_u32_e32 v88, 29, v88
	s_delay_alu instid0(VALU_DEP_2) | instskip(NEXT) | instid1(VALU_DEP_1)
	v_lshlrev_b64 v[35:36], v35, v[7:8]
	v_and_b32_e32 v35, 7, v35
; %bb.640:                              ;   in Loop: Header=BB350_16 Depth=1
	s_or_b32 exec_lo, exec_lo, s24
	v_lshlrev_b32_e32 v7, 8, v77
	v_lshl_add_u32 v36, v88, 10, 0x2000
	s_delay_alu instid0(VALU_DEP_1) | instskip(NEXT) | instid1(VALU_DEP_1)
	v_and_or_b32 v7, 0x8000, v7, v36
	v_lshl_or_b32 v7, v35, 7, v7
	s_delay_alu instid0(VALU_DEP_1)
	v_cvt_f32_f16_e32 v104, v7
.LBB350_641:                            ;   in Loop: Header=BB350_16 Depth=1
	s_or_b32 exec_lo, exec_lo, s23
.LBB350_642:                            ;   in Loop: Header=BB350_16 Depth=1
	s_delay_alu instid0(SALU_CYCLE_1)
	s_or_b32 exec_lo, exec_lo, s22
.LBB350_643:                            ;   in Loop: Header=BB350_16 Depth=1
	s_delay_alu instid0(SALU_CYCLE_1) | instskip(SKIP_3) | instid1(VALU_DEP_2)
	s_or_b32 exec_lo, exec_lo, s21
	v_lshrrev_b32_e32 v77, 16, v34
	v_mov_b32_e32 v111, 0
	s_mov_b32 s21, exec_lo
	v_dual_mov_b32 v110, 0 :: v_dual_and_b32 v7, 0xff, v77
	s_delay_alu instid0(VALU_DEP_1)
	v_cmpx_ne_u16_e32 0, v7
	s_cbranch_execz .LBB350_651
; %bb.644:                              ;   in Loop: Header=BB350_16 Depth=1
	v_bfrev_b32_e32 v111, 1
	s_mov_b32 s22, exec_lo
	v_cmpx_ne_u16_e32 0x80, v7
	s_cbranch_execz .LBB350_650
; %bb.645:                              ;   in Loop: Header=BB350_16 Depth=1
	v_bfe_u32 v35, v34, 16, 7
	v_mov_b32_e32 v111, 0x7fc02000
	s_mov_b32 s23, exec_lo
	s_delay_alu instid0(VALU_DEP_2)
	v_cmpx_ne_u32_e32 0x7f, v35
	s_cbranch_execz .LBB350_649
; %bb.646:                              ;   in Loop: Header=BB350_16 Depth=1
	v_and_b32_e32 v7, 7, v77
	v_lshrrev_b32_e32 v88, 3, v35
	v_cmp_gt_u32_e64 s1, 8, v35
	s_delay_alu instid0(VALU_DEP_3) | instskip(NEXT) | instid1(VALU_DEP_2)
	v_dual_mov_b32 v36, v8 :: v_dual_mov_b32 v35, v7
	s_and_saveexec_b32 s24, s1
; %bb.647:                              ;   in Loop: Header=BB350_16 Depth=1
	v_clz_i32_u32_e32 v35, v7
	s_delay_alu instid0(VALU_DEP_1) | instskip(NEXT) | instid1(VALU_DEP_1)
	v_min_u32_e32 v88, 32, v35
	v_subrev_nc_u32_e32 v35, 28, v88
	v_sub_nc_u32_e32 v88, 29, v88
	s_delay_alu instid0(VALU_DEP_2) | instskip(NEXT) | instid1(VALU_DEP_1)
	v_lshlrev_b64 v[35:36], v35, v[7:8]
	v_and_b32_e32 v35, 7, v35
; %bb.648:                              ;   in Loop: Header=BB350_16 Depth=1
	s_or_b32 exec_lo, exec_lo, s24
	v_lshlrev_b32_e32 v7, 8, v77
	v_lshl_add_u32 v36, v88, 10, 0x2000
	s_delay_alu instid0(VALU_DEP_1) | instskip(NEXT) | instid1(VALU_DEP_1)
	v_and_or_b32 v7, 0x8000, v7, v36
	v_lshl_or_b32 v7, v35, 7, v7
	s_delay_alu instid0(VALU_DEP_1)
	v_cvt_f32_f16_e32 v111, v7
.LBB350_649:                            ;   in Loop: Header=BB350_16 Depth=1
	s_or_b32 exec_lo, exec_lo, s23
.LBB350_650:                            ;   in Loop: Header=BB350_16 Depth=1
	s_delay_alu instid0(SALU_CYCLE_1)
	s_or_b32 exec_lo, exec_lo, s22
.LBB350_651:                            ;   in Loop: Header=BB350_16 Depth=1
	s_delay_alu instid0(SALU_CYCLE_1) | instskip(NEXT) | instid1(SALU_CYCLE_1)
	s_or_b32 exec_lo, exec_lo, s21
	s_mov_b32 s21, exec_lo
	v_cmpx_lt_u64_e64 s[8:9], v[33:34]
	s_cbranch_execz .LBB350_659
; %bb.652:                              ;   in Loop: Header=BB350_16 Depth=1
	v_lshrrev_b32_e32 v35, 24, v34
	v_bfrev_b32_e32 v110, 1
	s_mov_b32 s22, exec_lo
	s_delay_alu instid0(VALU_DEP_2)
	v_cmpx_ne_u32_e32 0x80, v35
	s_cbranch_execz .LBB350_658
; %bb.653:                              ;   in Loop: Header=BB350_16 Depth=1
	v_and_b32_e32 v33, 0x7f, v35
	v_mov_b32_e32 v110, 0x7fc02000
	s_mov_b32 s23, exec_lo
	s_delay_alu instid0(VALU_DEP_2)
	v_cmpx_ne_u32_e32 0x7f, v33
	s_cbranch_execz .LBB350_657
; %bb.654:                              ;   in Loop: Header=BB350_16 Depth=1
	v_and_b32_e32 v7, 7, v35
	v_lshrrev_b32_e32 v36, 3, v33
	v_cmp_gt_u32_e64 s1, 8, v33
	s_delay_alu instid0(VALU_DEP_3) | instskip(NEXT) | instid1(VALU_DEP_2)
	v_dual_mov_b32 v34, v8 :: v_dual_mov_b32 v33, v7
	s_and_saveexec_b32 s24, s1
; %bb.655:                              ;   in Loop: Header=BB350_16 Depth=1
	v_clz_i32_u32_e32 v33, v7
	s_delay_alu instid0(VALU_DEP_1) | instskip(NEXT) | instid1(VALU_DEP_1)
	v_min_u32_e32 v36, 32, v33
	v_subrev_nc_u32_e32 v33, 28, v36
	v_sub_nc_u32_e32 v36, 29, v36
	s_delay_alu instid0(VALU_DEP_2) | instskip(NEXT) | instid1(VALU_DEP_1)
	v_lshlrev_b64 v[33:34], v33, v[7:8]
	v_and_b32_e32 v33, 7, v33
; %bb.656:                              ;   in Loop: Header=BB350_16 Depth=1
	s_or_b32 exec_lo, exec_lo, s24
	v_lshlrev_b32_e32 v7, 8, v35
	v_lshl_add_u32 v34, v36, 10, 0x2000
	s_delay_alu instid0(VALU_DEP_1) | instskip(NEXT) | instid1(VALU_DEP_1)
	v_and_or_b32 v7, 0x8000, v7, v34
	v_lshl_or_b32 v7, v33, 7, v7
	s_delay_alu instid0(VALU_DEP_1)
	v_cvt_f32_f16_e32 v110, v7
.LBB350_657:                            ;   in Loop: Header=BB350_16 Depth=1
	s_or_b32 exec_lo, exec_lo, s23
.LBB350_658:                            ;   in Loop: Header=BB350_16 Depth=1
	s_delay_alu instid0(SALU_CYCLE_1)
	s_or_b32 exec_lo, exec_lo, s22
.LBB350_659:                            ;   in Loop: Header=BB350_16 Depth=1
	s_delay_alu instid0(SALU_CYCLE_1)
	s_or_b32 exec_lo, exec_lo, s21
	flat_load_b64 v[33:34], v[31:32] offset:2560
	v_mov_b32_e32 v125, 0
	s_mov_b32 s21, exec_lo
	s_waitcnt vmcnt(0) lgkmcnt(0)
	v_dual_mov_b32 v124, 0 :: v_dual_and_b32 v7, 0xff, v33
	s_delay_alu instid0(VALU_DEP_1)
	v_cmpx_ne_u16_e32 0, v7
	s_cbranch_execz .LBB350_667
; %bb.660:                              ;   in Loop: Header=BB350_16 Depth=1
	v_bfrev_b32_e32 v124, 1
	s_mov_b32 s22, exec_lo
	v_cmpx_ne_u16_e32 0x80, v7
	s_cbranch_execz .LBB350_666
; %bb.661:                              ;   in Loop: Header=BB350_16 Depth=1
	v_and_b32_e32 v35, 0x7f, v33
	v_mov_b32_e32 v124, 0x7fc02000
	s_mov_b32 s23, exec_lo
	s_delay_alu instid0(VALU_DEP_2)
	v_cmpx_ne_u32_e32 0x7f, v35
	s_cbranch_execz .LBB350_665
; %bb.662:                              ;   in Loop: Header=BB350_16 Depth=1
	v_lshrrev_b32_e32 v7, 3, v35
	v_cmp_gt_u32_e64 s1, 8, v35
	v_dual_mov_b32 v36, v34 :: v_dual_mov_b32 v35, v33
	s_delay_alu instid0(VALU_DEP_2)
	s_and_saveexec_b32 s24, s1
; %bb.663:                              ;   in Loop: Header=BB350_16 Depth=1
	v_and_b32_e32 v7, 7, v33
	s_delay_alu instid0(VALU_DEP_1) | instskip(NEXT) | instid1(VALU_DEP_1)
	v_clz_i32_u32_e32 v7, v7
	v_min_u32_e32 v7, 32, v7
	s_delay_alu instid0(VALU_DEP_1) | instskip(SKIP_1) | instid1(VALU_DEP_2)
	v_subrev_nc_u32_e32 v35, 28, v7
	v_sub_nc_u32_e32 v7, 29, v7
	v_lshlrev_b64 v[35:36], v35, v[33:34]
; %bb.664:                              ;   in Loop: Header=BB350_16 Depth=1
	s_or_b32 exec_lo, exec_lo, s24
	v_lshlrev_b32_e32 v36, 8, v33
	s_delay_alu instid0(VALU_DEP_3) | instskip(NEXT) | instid1(VALU_DEP_3)
	v_lshl_add_u32 v7, v7, 10, 0x2000
	v_lshlrev_b32_e32 v35, 7, v35
	s_delay_alu instid0(VALU_DEP_2) | instskip(NEXT) | instid1(VALU_DEP_1)
	v_and_or_b32 v7, 0x8000, v36, v7
	v_and_or_b32 v7, 0x380, v35, v7
	s_delay_alu instid0(VALU_DEP_1)
	v_cvt_f32_f16_e32 v124, v7
.LBB350_665:                            ;   in Loop: Header=BB350_16 Depth=1
	s_or_b32 exec_lo, exec_lo, s23
.LBB350_666:                            ;   in Loop: Header=BB350_16 Depth=1
	s_delay_alu instid0(SALU_CYCLE_1)
	s_or_b32 exec_lo, exec_lo, s22
.LBB350_667:                            ;   in Loop: Header=BB350_16 Depth=1
	s_delay_alu instid0(SALU_CYCLE_1) | instskip(SKIP_2) | instid1(VALU_DEP_1)
	s_or_b32 exec_lo, exec_lo, s21
	v_lshrrev_b16 v7, 8, v33
	s_mov_b32 s21, exec_lo
	v_cmpx_ne_u16_e32 0, v7
	s_cbranch_execz .LBB350_675
; %bb.668:                              ;   in Loop: Header=BB350_16 Depth=1
	v_bfrev_b32_e32 v125, 1
	s_mov_b32 s22, exec_lo
	v_cmpx_ne_u16_e32 0x80, v7
	s_cbranch_execz .LBB350_674
; %bb.669:                              ;   in Loop: Header=BB350_16 Depth=1
	v_and_b32_e32 v77, 0xffff, v7
	v_mov_b32_e32 v125, 0x7fc02000
	s_mov_b32 s23, exec_lo
	s_delay_alu instid0(VALU_DEP_2) | instskip(NEXT) | instid1(VALU_DEP_1)
	v_and_b32_e32 v35, 0x7f, v77
	v_cmpx_ne_u32_e32 0x7f, v35
	s_cbranch_execz .LBB350_673
; %bb.670:                              ;   in Loop: Header=BB350_16 Depth=1
	v_and_b32_e32 v7, 7, v77
	v_lshrrev_b32_e32 v88, 3, v35
	v_cmp_gt_u32_e64 s1, 8, v35
	s_delay_alu instid0(VALU_DEP_3) | instskip(NEXT) | instid1(VALU_DEP_2)
	v_dual_mov_b32 v36, v8 :: v_dual_mov_b32 v35, v7
	s_and_saveexec_b32 s24, s1
; %bb.671:                              ;   in Loop: Header=BB350_16 Depth=1
	v_clz_i32_u32_e32 v35, v7
	s_delay_alu instid0(VALU_DEP_1) | instskip(NEXT) | instid1(VALU_DEP_1)
	v_min_u32_e32 v88, 32, v35
	v_subrev_nc_u32_e32 v35, 28, v88
	v_sub_nc_u32_e32 v88, 29, v88
	s_delay_alu instid0(VALU_DEP_2) | instskip(NEXT) | instid1(VALU_DEP_1)
	v_lshlrev_b64 v[35:36], v35, v[7:8]
	v_and_b32_e32 v35, 7, v35
; %bb.672:                              ;   in Loop: Header=BB350_16 Depth=1
	s_or_b32 exec_lo, exec_lo, s24
	v_lshlrev_b32_e32 v7, 8, v77
	v_lshl_add_u32 v36, v88, 10, 0x2000
	s_delay_alu instid0(VALU_DEP_1) | instskip(NEXT) | instid1(VALU_DEP_1)
	v_and_or_b32 v7, 0x8000, v7, v36
	v_lshl_or_b32 v7, v35, 7, v7
	s_delay_alu instid0(VALU_DEP_1)
	v_cvt_f32_f16_e32 v125, v7
.LBB350_673:                            ;   in Loop: Header=BB350_16 Depth=1
	s_or_b32 exec_lo, exec_lo, s23
.LBB350_674:                            ;   in Loop: Header=BB350_16 Depth=1
	s_delay_alu instid0(SALU_CYCLE_1)
	s_or_b32 exec_lo, exec_lo, s22
.LBB350_675:                            ;   in Loop: Header=BB350_16 Depth=1
	s_delay_alu instid0(SALU_CYCLE_1) | instskip(SKIP_3) | instid1(VALU_DEP_2)
	s_or_b32 exec_lo, exec_lo, s21
	v_lshrrev_b32_e32 v77, 16, v33
	v_mov_b32_e32 v141, 0
	s_mov_b32 s21, exec_lo
	v_dual_mov_b32 v140, 0 :: v_dual_and_b32 v7, 0xff, v77
	s_delay_alu instid0(VALU_DEP_1)
	v_cmpx_ne_u16_e32 0, v7
	s_cbranch_execz .LBB350_683
; %bb.676:                              ;   in Loop: Header=BB350_16 Depth=1
	v_bfrev_b32_e32 v140, 1
	s_mov_b32 s22, exec_lo
	v_cmpx_ne_u16_e32 0x80, v7
	s_cbranch_execz .LBB350_682
; %bb.677:                              ;   in Loop: Header=BB350_16 Depth=1
	v_bfe_u32 v35, v33, 16, 7
	v_mov_b32_e32 v140, 0x7fc02000
	s_mov_b32 s23, exec_lo
	s_delay_alu instid0(VALU_DEP_2)
	v_cmpx_ne_u32_e32 0x7f, v35
	s_cbranch_execz .LBB350_681
; %bb.678:                              ;   in Loop: Header=BB350_16 Depth=1
	v_and_b32_e32 v7, 7, v77
	v_lshrrev_b32_e32 v88, 3, v35
	v_cmp_gt_u32_e64 s1, 8, v35
	s_delay_alu instid0(VALU_DEP_3) | instskip(NEXT) | instid1(VALU_DEP_2)
	v_dual_mov_b32 v36, v8 :: v_dual_mov_b32 v35, v7
	s_and_saveexec_b32 s24, s1
; %bb.679:                              ;   in Loop: Header=BB350_16 Depth=1
	v_clz_i32_u32_e32 v35, v7
	s_delay_alu instid0(VALU_DEP_1) | instskip(NEXT) | instid1(VALU_DEP_1)
	v_min_u32_e32 v88, 32, v35
	v_subrev_nc_u32_e32 v35, 28, v88
	v_sub_nc_u32_e32 v88, 29, v88
	s_delay_alu instid0(VALU_DEP_2) | instskip(NEXT) | instid1(VALU_DEP_1)
	v_lshlrev_b64 v[35:36], v35, v[7:8]
	v_and_b32_e32 v35, 7, v35
; %bb.680:                              ;   in Loop: Header=BB350_16 Depth=1
	s_or_b32 exec_lo, exec_lo, s24
	v_lshlrev_b32_e32 v7, 8, v77
	v_lshl_add_u32 v36, v88, 10, 0x2000
	s_delay_alu instid0(VALU_DEP_1) | instskip(NEXT) | instid1(VALU_DEP_1)
	v_and_or_b32 v7, 0x8000, v7, v36
	v_lshl_or_b32 v7, v35, 7, v7
	s_delay_alu instid0(VALU_DEP_1)
	v_cvt_f32_f16_e64 v140, v7
.LBB350_681:                            ;   in Loop: Header=BB350_16 Depth=1
	s_or_b32 exec_lo, exec_lo, s23
.LBB350_682:                            ;   in Loop: Header=BB350_16 Depth=1
	s_delay_alu instid0(SALU_CYCLE_1)
	s_or_b32 exec_lo, exec_lo, s22
.LBB350_683:                            ;   in Loop: Header=BB350_16 Depth=1
	s_delay_alu instid0(SALU_CYCLE_1) | instskip(NEXT) | instid1(SALU_CYCLE_1)
	s_or_b32 exec_lo, exec_lo, s21
	s_mov_b32 s21, exec_lo
	v_cmpx_lt_u32_e32 0xffffff, v33
	s_cbranch_execz .LBB350_691
; %bb.684:                              ;   in Loop: Header=BB350_16 Depth=1
	v_lshrrev_b32_e32 v77, 24, v33
	v_bfrev_b32_e32 v141, 1
	s_mov_b32 s22, exec_lo
	s_delay_alu instid0(VALU_DEP_2)
	v_cmpx_ne_u32_e32 0x80, v77
	s_cbranch_execz .LBB350_690
; %bb.685:                              ;   in Loop: Header=BB350_16 Depth=1
	v_and_b32_e32 v35, 0x7f, v77
	v_mov_b32_e32 v141, 0x7fc02000
	s_mov_b32 s23, exec_lo
	s_delay_alu instid0(VALU_DEP_2)
	v_cmpx_ne_u32_e32 0x7f, v35
	s_cbranch_execz .LBB350_689
; %bb.686:                              ;   in Loop: Header=BB350_16 Depth=1
	v_and_b32_e32 v7, 7, v77
	v_lshrrev_b32_e32 v88, 3, v35
	v_cmp_gt_u32_e64 s1, 8, v35
	s_delay_alu instid0(VALU_DEP_3) | instskip(NEXT) | instid1(VALU_DEP_2)
	v_dual_mov_b32 v36, v8 :: v_dual_mov_b32 v35, v7
	s_and_saveexec_b32 s24, s1
; %bb.687:                              ;   in Loop: Header=BB350_16 Depth=1
	v_clz_i32_u32_e32 v35, v7
	s_delay_alu instid0(VALU_DEP_1) | instskip(NEXT) | instid1(VALU_DEP_1)
	v_min_u32_e32 v88, 32, v35
	v_subrev_nc_u32_e32 v35, 28, v88
	v_sub_nc_u32_e32 v88, 29, v88
	s_delay_alu instid0(VALU_DEP_2) | instskip(NEXT) | instid1(VALU_DEP_1)
	v_lshlrev_b64 v[35:36], v35, v[7:8]
	v_and_b32_e32 v35, 7, v35
; %bb.688:                              ;   in Loop: Header=BB350_16 Depth=1
	s_or_b32 exec_lo, exec_lo, s24
	v_lshlrev_b32_e32 v7, 8, v77
	v_lshl_add_u32 v36, v88, 10, 0x2000
	s_delay_alu instid0(VALU_DEP_1) | instskip(NEXT) | instid1(VALU_DEP_1)
	v_and_or_b32 v7, 0x8000, v7, v36
	v_lshl_or_b32 v7, v35, 7, v7
	s_delay_alu instid0(VALU_DEP_1)
	v_cvt_f32_f16_e64 v141, v7
.LBB350_689:                            ;   in Loop: Header=BB350_16 Depth=1
	s_or_b32 exec_lo, exec_lo, s23
.LBB350_690:                            ;   in Loop: Header=BB350_16 Depth=1
	s_delay_alu instid0(SALU_CYCLE_1)
	s_or_b32 exec_lo, exec_lo, s22
.LBB350_691:                            ;   in Loop: Header=BB350_16 Depth=1
	s_delay_alu instid0(SALU_CYCLE_1) | instskip(SKIP_4) | instid1(VALU_DEP_3)
	s_or_b32 exec_lo, exec_lo, s21
	v_dual_mov_b32 v152, 0 :: v_dual_and_b32 v35, 0xff, v34
	v_mov_b32_e32 v7, v34
	v_mov_b32_e32 v153, 0
	s_mov_b32 s21, exec_lo
	v_cmpx_ne_u16_e32 0, v35
	s_cbranch_execz .LBB350_699
; %bb.692:                              ;   in Loop: Header=BB350_16 Depth=1
	v_bfrev_b32_e32 v152, 1
	s_mov_b32 s22, exec_lo
	v_cmpx_ne_u16_e32 0x80, v35
	s_cbranch_execz .LBB350_698
; %bb.693:                              ;   in Loop: Header=BB350_16 Depth=1
	v_and_b32_e32 v35, 0x7f, v34
	v_mov_b32_e32 v152, 0x7fc02000
	s_mov_b32 s23, exec_lo
	s_delay_alu instid0(VALU_DEP_2)
	v_cmpx_ne_u32_e32 0x7f, v35
	s_cbranch_execz .LBB350_697
; %bb.694:                              ;   in Loop: Header=BB350_16 Depth=1
	v_lshrrev_b32_e32 v77, 3, v35
	v_cmp_gt_u32_e64 s1, 8, v35
	v_dual_mov_b32 v36, v8 :: v_dual_mov_b32 v35, v7
	s_delay_alu instid0(VALU_DEP_2)
	s_and_saveexec_b32 s24, s1
; %bb.695:                              ;   in Loop: Header=BB350_16 Depth=1
	v_and_b32_e32 v35, 7, v34
	s_delay_alu instid0(VALU_DEP_1) | instskip(NEXT) | instid1(VALU_DEP_1)
	v_clz_i32_u32_e32 v35, v35
	v_min_u32_e32 v77, 32, v35
	s_delay_alu instid0(VALU_DEP_1) | instskip(SKIP_1) | instid1(VALU_DEP_2)
	v_subrev_nc_u32_e32 v35, 28, v77
	v_sub_nc_u32_e32 v77, 29, v77
	v_lshlrev_b64 v[35:36], v35, v[7:8]
; %bb.696:                              ;   in Loop: Header=BB350_16 Depth=1
	s_or_b32 exec_lo, exec_lo, s24
	v_lshlrev_b32_e32 v36, 8, v34
	s_delay_alu instid0(VALU_DEP_3) | instskip(NEXT) | instid1(VALU_DEP_3)
	v_lshl_add_u32 v77, v77, 10, 0x2000
	v_lshlrev_b32_e32 v35, 7, v35
	s_delay_alu instid0(VALU_DEP_2) | instskip(NEXT) | instid1(VALU_DEP_1)
	v_and_or_b32 v36, 0x8000, v36, v77
	v_and_or_b32 v35, 0x380, v35, v36
	s_delay_alu instid0(VALU_DEP_1)
	v_cvt_f32_f16_e64 v152, v35
.LBB350_697:                            ;   in Loop: Header=BB350_16 Depth=1
	s_or_b32 exec_lo, exec_lo, s23
.LBB350_698:                            ;   in Loop: Header=BB350_16 Depth=1
	s_delay_alu instid0(SALU_CYCLE_1)
	s_or_b32 exec_lo, exec_lo, s22
.LBB350_699:                            ;   in Loop: Header=BB350_16 Depth=1
	s_delay_alu instid0(SALU_CYCLE_1) | instskip(SKIP_2) | instid1(VALU_DEP_1)
	s_or_b32 exec_lo, exec_lo, s21
	v_lshrrev_b16 v7, 8, v7
	s_mov_b32 s21, exec_lo
	v_cmpx_ne_u16_e32 0, v7
	s_cbranch_execz .LBB350_707
; %bb.700:                              ;   in Loop: Header=BB350_16 Depth=1
	v_bfrev_b32_e32 v153, 1
	s_mov_b32 s22, exec_lo
	v_cmpx_ne_u16_e32 0x80, v7
	s_cbranch_execz .LBB350_706
; %bb.701:                              ;   in Loop: Header=BB350_16 Depth=1
	v_and_b32_e32 v77, 0xffff, v7
	v_mov_b32_e32 v153, 0x7fc02000
	s_mov_b32 s23, exec_lo
	s_delay_alu instid0(VALU_DEP_2) | instskip(NEXT) | instid1(VALU_DEP_1)
	v_and_b32_e32 v35, 0x7f, v77
	v_cmpx_ne_u32_e32 0x7f, v35
	s_cbranch_execz .LBB350_705
; %bb.702:                              ;   in Loop: Header=BB350_16 Depth=1
	v_and_b32_e32 v7, 7, v77
	v_lshrrev_b32_e32 v88, 3, v35
	v_cmp_gt_u32_e64 s1, 8, v35
	s_delay_alu instid0(VALU_DEP_3) | instskip(NEXT) | instid1(VALU_DEP_2)
	v_dual_mov_b32 v36, v8 :: v_dual_mov_b32 v35, v7
	s_and_saveexec_b32 s24, s1
; %bb.703:                              ;   in Loop: Header=BB350_16 Depth=1
	v_clz_i32_u32_e32 v35, v7
	s_delay_alu instid0(VALU_DEP_1) | instskip(NEXT) | instid1(VALU_DEP_1)
	v_min_u32_e32 v88, 32, v35
	v_subrev_nc_u32_e32 v35, 28, v88
	v_sub_nc_u32_e32 v88, 29, v88
	s_delay_alu instid0(VALU_DEP_2) | instskip(NEXT) | instid1(VALU_DEP_1)
	v_lshlrev_b64 v[35:36], v35, v[7:8]
	v_and_b32_e32 v35, 7, v35
; %bb.704:                              ;   in Loop: Header=BB350_16 Depth=1
	s_or_b32 exec_lo, exec_lo, s24
	v_lshlrev_b32_e32 v7, 8, v77
	v_lshl_add_u32 v36, v88, 10, 0x2000
	s_delay_alu instid0(VALU_DEP_1) | instskip(NEXT) | instid1(VALU_DEP_1)
	v_and_or_b32 v7, 0x8000, v7, v36
	v_lshl_or_b32 v7, v35, 7, v7
	s_delay_alu instid0(VALU_DEP_1)
	v_cvt_f32_f16_e64 v153, v7
.LBB350_705:                            ;   in Loop: Header=BB350_16 Depth=1
	s_or_b32 exec_lo, exec_lo, s23
.LBB350_706:                            ;   in Loop: Header=BB350_16 Depth=1
	s_delay_alu instid0(SALU_CYCLE_1)
	s_or_b32 exec_lo, exec_lo, s22
.LBB350_707:                            ;   in Loop: Header=BB350_16 Depth=1
	s_delay_alu instid0(SALU_CYCLE_1) | instskip(SKIP_3) | instid1(VALU_DEP_2)
	s_or_b32 exec_lo, exec_lo, s21
	v_lshrrev_b32_e32 v77, 16, v34
	v_mov_b32_e32 v157, 0
	s_mov_b32 s21, exec_lo
	v_dual_mov_b32 v156, 0 :: v_dual_and_b32 v7, 0xff, v77
	s_delay_alu instid0(VALU_DEP_1)
	v_cmpx_ne_u16_e32 0, v7
	s_cbranch_execz .LBB350_715
; %bb.708:                              ;   in Loop: Header=BB350_16 Depth=1
	v_bfrev_b32_e32 v157, 1
	s_mov_b32 s22, exec_lo
	v_cmpx_ne_u16_e32 0x80, v7
	s_cbranch_execz .LBB350_714
; %bb.709:                              ;   in Loop: Header=BB350_16 Depth=1
	v_bfe_u32 v35, v34, 16, 7
	v_mov_b32_e32 v157, 0x7fc02000
	s_mov_b32 s23, exec_lo
	s_delay_alu instid0(VALU_DEP_2)
	v_cmpx_ne_u32_e32 0x7f, v35
	s_cbranch_execz .LBB350_713
; %bb.710:                              ;   in Loop: Header=BB350_16 Depth=1
	v_and_b32_e32 v7, 7, v77
	v_lshrrev_b32_e32 v88, 3, v35
	v_cmp_gt_u32_e64 s1, 8, v35
	s_delay_alu instid0(VALU_DEP_3) | instskip(NEXT) | instid1(VALU_DEP_2)
	v_dual_mov_b32 v36, v8 :: v_dual_mov_b32 v35, v7
	s_and_saveexec_b32 s24, s1
; %bb.711:                              ;   in Loop: Header=BB350_16 Depth=1
	v_clz_i32_u32_e32 v35, v7
	s_delay_alu instid0(VALU_DEP_1) | instskip(NEXT) | instid1(VALU_DEP_1)
	v_min_u32_e32 v88, 32, v35
	v_subrev_nc_u32_e32 v35, 28, v88
	v_sub_nc_u32_e32 v88, 29, v88
	s_delay_alu instid0(VALU_DEP_2) | instskip(NEXT) | instid1(VALU_DEP_1)
	v_lshlrev_b64 v[35:36], v35, v[7:8]
	v_and_b32_e32 v35, 7, v35
; %bb.712:                              ;   in Loop: Header=BB350_16 Depth=1
	s_or_b32 exec_lo, exec_lo, s24
	v_lshlrev_b32_e32 v7, 8, v77
	v_lshl_add_u32 v36, v88, 10, 0x2000
	s_delay_alu instid0(VALU_DEP_1) | instskip(NEXT) | instid1(VALU_DEP_1)
	v_and_or_b32 v7, 0x8000, v7, v36
	v_lshl_or_b32 v7, v35, 7, v7
	s_delay_alu instid0(VALU_DEP_1)
	v_cvt_f32_f16_e64 v157, v7
.LBB350_713:                            ;   in Loop: Header=BB350_16 Depth=1
	s_or_b32 exec_lo, exec_lo, s23
.LBB350_714:                            ;   in Loop: Header=BB350_16 Depth=1
	s_delay_alu instid0(SALU_CYCLE_1)
	s_or_b32 exec_lo, exec_lo, s22
.LBB350_715:                            ;   in Loop: Header=BB350_16 Depth=1
	s_delay_alu instid0(SALU_CYCLE_1) | instskip(NEXT) | instid1(SALU_CYCLE_1)
	s_or_b32 exec_lo, exec_lo, s21
	s_mov_b32 s21, exec_lo
	v_cmpx_lt_u64_e64 s[8:9], v[33:34]
	s_cbranch_execz .LBB350_723
; %bb.716:                              ;   in Loop: Header=BB350_16 Depth=1
	v_lshrrev_b32_e32 v35, 24, v34
	v_bfrev_b32_e32 v156, 1
	s_mov_b32 s22, exec_lo
	s_delay_alu instid0(VALU_DEP_2)
	v_cmpx_ne_u32_e32 0x80, v35
	s_cbranch_execz .LBB350_722
; %bb.717:                              ;   in Loop: Header=BB350_16 Depth=1
	v_and_b32_e32 v33, 0x7f, v35
	v_mov_b32_e32 v156, 0x7fc02000
	s_mov_b32 s23, exec_lo
	s_delay_alu instid0(VALU_DEP_2)
	v_cmpx_ne_u32_e32 0x7f, v33
	s_cbranch_execz .LBB350_721
; %bb.718:                              ;   in Loop: Header=BB350_16 Depth=1
	v_and_b32_e32 v7, 7, v35
	v_lshrrev_b32_e32 v36, 3, v33
	v_cmp_gt_u32_e64 s1, 8, v33
	s_delay_alu instid0(VALU_DEP_3) | instskip(NEXT) | instid1(VALU_DEP_2)
	v_dual_mov_b32 v34, v8 :: v_dual_mov_b32 v33, v7
	s_and_saveexec_b32 s24, s1
; %bb.719:                              ;   in Loop: Header=BB350_16 Depth=1
	v_clz_i32_u32_e32 v33, v7
	s_delay_alu instid0(VALU_DEP_1) | instskip(NEXT) | instid1(VALU_DEP_1)
	v_min_u32_e32 v36, 32, v33
	v_subrev_nc_u32_e32 v33, 28, v36
	v_sub_nc_u32_e32 v36, 29, v36
	s_delay_alu instid0(VALU_DEP_2) | instskip(NEXT) | instid1(VALU_DEP_1)
	v_lshlrev_b64 v[33:34], v33, v[7:8]
	v_and_b32_e32 v33, 7, v33
; %bb.720:                              ;   in Loop: Header=BB350_16 Depth=1
	s_or_b32 exec_lo, exec_lo, s24
	v_lshlrev_b32_e32 v7, 8, v35
	v_lshl_add_u32 v34, v36, 10, 0x2000
	s_delay_alu instid0(VALU_DEP_1) | instskip(NEXT) | instid1(VALU_DEP_1)
	v_and_or_b32 v7, 0x8000, v7, v34
	v_lshl_or_b32 v7, v33, 7, v7
	s_delay_alu instid0(VALU_DEP_1)
	v_cvt_f32_f16_e64 v156, v7
.LBB350_721:                            ;   in Loop: Header=BB350_16 Depth=1
	s_or_b32 exec_lo, exec_lo, s23
.LBB350_722:                            ;   in Loop: Header=BB350_16 Depth=1
	s_delay_alu instid0(SALU_CYCLE_1)
	s_or_b32 exec_lo, exec_lo, s22
.LBB350_723:                            ;   in Loop: Header=BB350_16 Depth=1
	s_delay_alu instid0(SALU_CYCLE_1)
	s_or_b32 exec_lo, exec_lo, s21
	flat_load_b64 v[33:34], v[31:32] offset:2568
	v_mov_b32_e32 v123, 0
	s_mov_b32 s21, exec_lo
	s_waitcnt vmcnt(0) lgkmcnt(0)
	v_dual_mov_b32 v122, 0 :: v_dual_and_b32 v7, 0xff, v33
	s_delay_alu instid0(VALU_DEP_1)
	v_cmpx_ne_u16_e32 0, v7
	s_cbranch_execz .LBB350_731
; %bb.724:                              ;   in Loop: Header=BB350_16 Depth=1
	v_bfrev_b32_e32 v122, 1
	s_mov_b32 s22, exec_lo
	v_cmpx_ne_u16_e32 0x80, v7
	s_cbranch_execz .LBB350_730
; %bb.725:                              ;   in Loop: Header=BB350_16 Depth=1
	v_and_b32_e32 v35, 0x7f, v33
	v_mov_b32_e32 v122, 0x7fc02000
	s_mov_b32 s23, exec_lo
	s_delay_alu instid0(VALU_DEP_2)
	v_cmpx_ne_u32_e32 0x7f, v35
	s_cbranch_execz .LBB350_729
; %bb.726:                              ;   in Loop: Header=BB350_16 Depth=1
	v_lshrrev_b32_e32 v7, 3, v35
	v_cmp_gt_u32_e64 s1, 8, v35
	v_dual_mov_b32 v36, v34 :: v_dual_mov_b32 v35, v33
	s_delay_alu instid0(VALU_DEP_2)
	s_and_saveexec_b32 s24, s1
; %bb.727:                              ;   in Loop: Header=BB350_16 Depth=1
	v_and_b32_e32 v7, 7, v33
	s_delay_alu instid0(VALU_DEP_1) | instskip(NEXT) | instid1(VALU_DEP_1)
	v_clz_i32_u32_e32 v7, v7
	v_min_u32_e32 v7, 32, v7
	s_delay_alu instid0(VALU_DEP_1) | instskip(SKIP_1) | instid1(VALU_DEP_2)
	v_subrev_nc_u32_e32 v35, 28, v7
	v_sub_nc_u32_e32 v7, 29, v7
	v_lshlrev_b64 v[35:36], v35, v[33:34]
; %bb.728:                              ;   in Loop: Header=BB350_16 Depth=1
	s_or_b32 exec_lo, exec_lo, s24
	v_lshlrev_b32_e32 v36, 8, v33
	s_delay_alu instid0(VALU_DEP_3) | instskip(NEXT) | instid1(VALU_DEP_3)
	v_lshl_add_u32 v7, v7, 10, 0x2000
	v_lshlrev_b32_e32 v35, 7, v35
	s_delay_alu instid0(VALU_DEP_2) | instskip(NEXT) | instid1(VALU_DEP_1)
	v_and_or_b32 v7, 0x8000, v36, v7
	v_and_or_b32 v7, 0x380, v35, v7
	s_delay_alu instid0(VALU_DEP_1)
	v_cvt_f32_f16_e32 v122, v7
.LBB350_729:                            ;   in Loop: Header=BB350_16 Depth=1
	s_or_b32 exec_lo, exec_lo, s23
.LBB350_730:                            ;   in Loop: Header=BB350_16 Depth=1
	s_delay_alu instid0(SALU_CYCLE_1)
	s_or_b32 exec_lo, exec_lo, s22
.LBB350_731:                            ;   in Loop: Header=BB350_16 Depth=1
	s_delay_alu instid0(SALU_CYCLE_1) | instskip(SKIP_2) | instid1(VALU_DEP_1)
	s_or_b32 exec_lo, exec_lo, s21
	v_lshrrev_b16 v7, 8, v33
	s_mov_b32 s21, exec_lo
	v_cmpx_ne_u16_e32 0, v7
	s_cbranch_execz .LBB350_739
; %bb.732:                              ;   in Loop: Header=BB350_16 Depth=1
	v_bfrev_b32_e32 v123, 1
	s_mov_b32 s22, exec_lo
	v_cmpx_ne_u16_e32 0x80, v7
	s_cbranch_execz .LBB350_738
; %bb.733:                              ;   in Loop: Header=BB350_16 Depth=1
	v_and_b32_e32 v77, 0xffff, v7
	v_mov_b32_e32 v123, 0x7fc02000
	s_mov_b32 s23, exec_lo
	s_delay_alu instid0(VALU_DEP_2) | instskip(NEXT) | instid1(VALU_DEP_1)
	v_and_b32_e32 v35, 0x7f, v77
	v_cmpx_ne_u32_e32 0x7f, v35
	s_cbranch_execz .LBB350_737
; %bb.734:                              ;   in Loop: Header=BB350_16 Depth=1
	v_and_b32_e32 v7, 7, v77
	v_lshrrev_b32_e32 v88, 3, v35
	v_cmp_gt_u32_e64 s1, 8, v35
	s_delay_alu instid0(VALU_DEP_3) | instskip(NEXT) | instid1(VALU_DEP_2)
	v_dual_mov_b32 v36, v8 :: v_dual_mov_b32 v35, v7
	s_and_saveexec_b32 s24, s1
; %bb.735:                              ;   in Loop: Header=BB350_16 Depth=1
	v_clz_i32_u32_e32 v35, v7
	s_delay_alu instid0(VALU_DEP_1) | instskip(NEXT) | instid1(VALU_DEP_1)
	v_min_u32_e32 v88, 32, v35
	v_subrev_nc_u32_e32 v35, 28, v88
	v_sub_nc_u32_e32 v88, 29, v88
	s_delay_alu instid0(VALU_DEP_2) | instskip(NEXT) | instid1(VALU_DEP_1)
	v_lshlrev_b64 v[35:36], v35, v[7:8]
	v_and_b32_e32 v35, 7, v35
; %bb.736:                              ;   in Loop: Header=BB350_16 Depth=1
	s_or_b32 exec_lo, exec_lo, s24
	v_lshlrev_b32_e32 v7, 8, v77
	v_lshl_add_u32 v36, v88, 10, 0x2000
	s_delay_alu instid0(VALU_DEP_1) | instskip(NEXT) | instid1(VALU_DEP_1)
	v_and_or_b32 v7, 0x8000, v7, v36
	v_lshl_or_b32 v7, v35, 7, v7
	s_delay_alu instid0(VALU_DEP_1)
	v_cvt_f32_f16_e32 v123, v7
.LBB350_737:                            ;   in Loop: Header=BB350_16 Depth=1
	s_or_b32 exec_lo, exec_lo, s23
.LBB350_738:                            ;   in Loop: Header=BB350_16 Depth=1
	s_delay_alu instid0(SALU_CYCLE_1)
	s_or_b32 exec_lo, exec_lo, s22
.LBB350_739:                            ;   in Loop: Header=BB350_16 Depth=1
	s_delay_alu instid0(SALU_CYCLE_1) | instskip(SKIP_3) | instid1(VALU_DEP_2)
	s_or_b32 exec_lo, exec_lo, s21
	v_lshrrev_b32_e32 v77, 16, v33
	v_mov_b32_e32 v127, 0
	s_mov_b32 s21, exec_lo
	v_dual_mov_b32 v126, 0 :: v_dual_and_b32 v7, 0xff, v77
	s_delay_alu instid0(VALU_DEP_1)
	v_cmpx_ne_u16_e32 0, v7
	s_cbranch_execz .LBB350_747
; %bb.740:                              ;   in Loop: Header=BB350_16 Depth=1
	v_bfrev_b32_e32 v126, 1
	s_mov_b32 s22, exec_lo
	v_cmpx_ne_u16_e32 0x80, v7
	s_cbranch_execz .LBB350_746
; %bb.741:                              ;   in Loop: Header=BB350_16 Depth=1
	v_bfe_u32 v35, v33, 16, 7
	v_mov_b32_e32 v126, 0x7fc02000
	s_mov_b32 s23, exec_lo
	s_delay_alu instid0(VALU_DEP_2)
	v_cmpx_ne_u32_e32 0x7f, v35
	s_cbranch_execz .LBB350_745
; %bb.742:                              ;   in Loop: Header=BB350_16 Depth=1
	v_and_b32_e32 v7, 7, v77
	v_lshrrev_b32_e32 v88, 3, v35
	v_cmp_gt_u32_e64 s1, 8, v35
	s_delay_alu instid0(VALU_DEP_3) | instskip(NEXT) | instid1(VALU_DEP_2)
	v_dual_mov_b32 v36, v8 :: v_dual_mov_b32 v35, v7
	s_and_saveexec_b32 s24, s1
; %bb.743:                              ;   in Loop: Header=BB350_16 Depth=1
	v_clz_i32_u32_e32 v35, v7
	s_delay_alu instid0(VALU_DEP_1) | instskip(NEXT) | instid1(VALU_DEP_1)
	v_min_u32_e32 v88, 32, v35
	v_subrev_nc_u32_e32 v35, 28, v88
	v_sub_nc_u32_e32 v88, 29, v88
	s_delay_alu instid0(VALU_DEP_2) | instskip(NEXT) | instid1(VALU_DEP_1)
	v_lshlrev_b64 v[35:36], v35, v[7:8]
	v_and_b32_e32 v35, 7, v35
; %bb.744:                              ;   in Loop: Header=BB350_16 Depth=1
	s_or_b32 exec_lo, exec_lo, s24
	v_lshlrev_b32_e32 v7, 8, v77
	v_lshl_add_u32 v36, v88, 10, 0x2000
	s_delay_alu instid0(VALU_DEP_1) | instskip(NEXT) | instid1(VALU_DEP_1)
	v_and_or_b32 v7, 0x8000, v7, v36
	v_lshl_or_b32 v7, v35, 7, v7
	s_delay_alu instid0(VALU_DEP_1)
	v_cvt_f32_f16_e32 v126, v7
.LBB350_745:                            ;   in Loop: Header=BB350_16 Depth=1
	s_or_b32 exec_lo, exec_lo, s23
.LBB350_746:                            ;   in Loop: Header=BB350_16 Depth=1
	s_delay_alu instid0(SALU_CYCLE_1)
	s_or_b32 exec_lo, exec_lo, s22
.LBB350_747:                            ;   in Loop: Header=BB350_16 Depth=1
	s_delay_alu instid0(SALU_CYCLE_1) | instskip(NEXT) | instid1(SALU_CYCLE_1)
	s_or_b32 exec_lo, exec_lo, s21
	s_mov_b32 s21, exec_lo
	v_cmpx_lt_u32_e32 0xffffff, v33
	s_cbranch_execz .LBB350_755
; %bb.748:                              ;   in Loop: Header=BB350_16 Depth=1
	v_lshrrev_b32_e32 v77, 24, v33
	v_bfrev_b32_e32 v127, 1
	s_mov_b32 s22, exec_lo
	s_delay_alu instid0(VALU_DEP_2)
	v_cmpx_ne_u32_e32 0x80, v77
	s_cbranch_execz .LBB350_754
; %bb.749:                              ;   in Loop: Header=BB350_16 Depth=1
	v_and_b32_e32 v35, 0x7f, v77
	v_mov_b32_e32 v127, 0x7fc02000
	s_mov_b32 s23, exec_lo
	s_delay_alu instid0(VALU_DEP_2)
	v_cmpx_ne_u32_e32 0x7f, v35
	s_cbranch_execz .LBB350_753
; %bb.750:                              ;   in Loop: Header=BB350_16 Depth=1
	v_and_b32_e32 v7, 7, v77
	v_lshrrev_b32_e32 v88, 3, v35
	v_cmp_gt_u32_e64 s1, 8, v35
	s_delay_alu instid0(VALU_DEP_3) | instskip(NEXT) | instid1(VALU_DEP_2)
	v_dual_mov_b32 v36, v8 :: v_dual_mov_b32 v35, v7
	s_and_saveexec_b32 s24, s1
; %bb.751:                              ;   in Loop: Header=BB350_16 Depth=1
	v_clz_i32_u32_e32 v35, v7
	s_delay_alu instid0(VALU_DEP_1) | instskip(NEXT) | instid1(VALU_DEP_1)
	v_min_u32_e32 v88, 32, v35
	v_subrev_nc_u32_e32 v35, 28, v88
	v_sub_nc_u32_e32 v88, 29, v88
	s_delay_alu instid0(VALU_DEP_2) | instskip(NEXT) | instid1(VALU_DEP_1)
	v_lshlrev_b64 v[35:36], v35, v[7:8]
	v_and_b32_e32 v35, 7, v35
; %bb.752:                              ;   in Loop: Header=BB350_16 Depth=1
	s_or_b32 exec_lo, exec_lo, s24
	v_lshlrev_b32_e32 v7, 8, v77
	v_lshl_add_u32 v36, v88, 10, 0x2000
	s_delay_alu instid0(VALU_DEP_1) | instskip(NEXT) | instid1(VALU_DEP_1)
	v_and_or_b32 v7, 0x8000, v7, v36
	v_lshl_or_b32 v7, v35, 7, v7
	s_delay_alu instid0(VALU_DEP_1)
	v_cvt_f32_f16_e32 v127, v7
.LBB350_753:                            ;   in Loop: Header=BB350_16 Depth=1
	s_or_b32 exec_lo, exec_lo, s23
.LBB350_754:                            ;   in Loop: Header=BB350_16 Depth=1
	s_delay_alu instid0(SALU_CYCLE_1)
	s_or_b32 exec_lo, exec_lo, s22
.LBB350_755:                            ;   in Loop: Header=BB350_16 Depth=1
	s_delay_alu instid0(SALU_CYCLE_1) | instskip(SKIP_4) | instid1(VALU_DEP_3)
	s_or_b32 exec_lo, exec_lo, s21
	v_dual_mov_b32 v142, 0 :: v_dual_and_b32 v35, 0xff, v34
	v_mov_b32_e32 v7, v34
	v_mov_b32_e32 v143, 0
	s_mov_b32 s21, exec_lo
	v_cmpx_ne_u16_e32 0, v35
	s_cbranch_execz .LBB350_763
; %bb.756:                              ;   in Loop: Header=BB350_16 Depth=1
	v_bfrev_b32_e32 v142, 1
	s_mov_b32 s22, exec_lo
	v_cmpx_ne_u16_e32 0x80, v35
	s_cbranch_execz .LBB350_762
; %bb.757:                              ;   in Loop: Header=BB350_16 Depth=1
	v_and_b32_e32 v35, 0x7f, v34
	v_mov_b32_e32 v142, 0x7fc02000
	s_mov_b32 s23, exec_lo
	s_delay_alu instid0(VALU_DEP_2)
	v_cmpx_ne_u32_e32 0x7f, v35
	s_cbranch_execz .LBB350_761
; %bb.758:                              ;   in Loop: Header=BB350_16 Depth=1
	v_lshrrev_b32_e32 v77, 3, v35
	v_cmp_gt_u32_e64 s1, 8, v35
	v_dual_mov_b32 v36, v8 :: v_dual_mov_b32 v35, v7
	s_delay_alu instid0(VALU_DEP_2)
	s_and_saveexec_b32 s24, s1
; %bb.759:                              ;   in Loop: Header=BB350_16 Depth=1
	v_and_b32_e32 v35, 7, v34
	s_delay_alu instid0(VALU_DEP_1) | instskip(NEXT) | instid1(VALU_DEP_1)
	v_clz_i32_u32_e32 v35, v35
	v_min_u32_e32 v77, 32, v35
	s_delay_alu instid0(VALU_DEP_1) | instskip(SKIP_1) | instid1(VALU_DEP_2)
	v_subrev_nc_u32_e32 v35, 28, v77
	v_sub_nc_u32_e32 v77, 29, v77
	v_lshlrev_b64 v[35:36], v35, v[7:8]
; %bb.760:                              ;   in Loop: Header=BB350_16 Depth=1
	s_or_b32 exec_lo, exec_lo, s24
	v_lshlrev_b32_e32 v36, 8, v34
	s_delay_alu instid0(VALU_DEP_3) | instskip(NEXT) | instid1(VALU_DEP_3)
	v_lshl_add_u32 v77, v77, 10, 0x2000
	v_lshlrev_b32_e32 v35, 7, v35
	s_delay_alu instid0(VALU_DEP_2) | instskip(NEXT) | instid1(VALU_DEP_1)
	v_and_or_b32 v36, 0x8000, v36, v77
	v_and_or_b32 v35, 0x380, v35, v36
	s_delay_alu instid0(VALU_DEP_1)
	v_cvt_f32_f16_e64 v142, v35
.LBB350_761:                            ;   in Loop: Header=BB350_16 Depth=1
	s_or_b32 exec_lo, exec_lo, s23
.LBB350_762:                            ;   in Loop: Header=BB350_16 Depth=1
	s_delay_alu instid0(SALU_CYCLE_1)
	s_or_b32 exec_lo, exec_lo, s22
.LBB350_763:                            ;   in Loop: Header=BB350_16 Depth=1
	s_delay_alu instid0(SALU_CYCLE_1) | instskip(SKIP_2) | instid1(VALU_DEP_1)
	s_or_b32 exec_lo, exec_lo, s21
	v_lshrrev_b16 v7, 8, v7
	s_mov_b32 s21, exec_lo
	v_cmpx_ne_u16_e32 0, v7
	s_cbranch_execz .LBB350_771
; %bb.764:                              ;   in Loop: Header=BB350_16 Depth=1
	v_bfrev_b32_e32 v143, 1
	s_mov_b32 s22, exec_lo
	v_cmpx_ne_u16_e32 0x80, v7
	s_cbranch_execz .LBB350_770
; %bb.765:                              ;   in Loop: Header=BB350_16 Depth=1
	v_and_b32_e32 v77, 0xffff, v7
	v_mov_b32_e32 v143, 0x7fc02000
	s_mov_b32 s23, exec_lo
	s_delay_alu instid0(VALU_DEP_2) | instskip(NEXT) | instid1(VALU_DEP_1)
	v_and_b32_e32 v35, 0x7f, v77
	v_cmpx_ne_u32_e32 0x7f, v35
	s_cbranch_execz .LBB350_769
; %bb.766:                              ;   in Loop: Header=BB350_16 Depth=1
	v_and_b32_e32 v7, 7, v77
	v_lshrrev_b32_e32 v88, 3, v35
	v_cmp_gt_u32_e64 s1, 8, v35
	s_delay_alu instid0(VALU_DEP_3) | instskip(NEXT) | instid1(VALU_DEP_2)
	v_dual_mov_b32 v36, v8 :: v_dual_mov_b32 v35, v7
	s_and_saveexec_b32 s24, s1
; %bb.767:                              ;   in Loop: Header=BB350_16 Depth=1
	v_clz_i32_u32_e32 v35, v7
	s_delay_alu instid0(VALU_DEP_1) | instskip(NEXT) | instid1(VALU_DEP_1)
	v_min_u32_e32 v88, 32, v35
	v_subrev_nc_u32_e32 v35, 28, v88
	v_sub_nc_u32_e32 v88, 29, v88
	s_delay_alu instid0(VALU_DEP_2) | instskip(NEXT) | instid1(VALU_DEP_1)
	v_lshlrev_b64 v[35:36], v35, v[7:8]
	v_and_b32_e32 v35, 7, v35
; %bb.768:                              ;   in Loop: Header=BB350_16 Depth=1
	s_or_b32 exec_lo, exec_lo, s24
	v_lshlrev_b32_e32 v7, 8, v77
	v_lshl_add_u32 v36, v88, 10, 0x2000
	s_delay_alu instid0(VALU_DEP_1) | instskip(NEXT) | instid1(VALU_DEP_1)
	v_and_or_b32 v7, 0x8000, v7, v36
	v_lshl_or_b32 v7, v35, 7, v7
	s_delay_alu instid0(VALU_DEP_1)
	v_cvt_f32_f16_e64 v143, v7
.LBB350_769:                            ;   in Loop: Header=BB350_16 Depth=1
	s_or_b32 exec_lo, exec_lo, s23
.LBB350_770:                            ;   in Loop: Header=BB350_16 Depth=1
	s_delay_alu instid0(SALU_CYCLE_1)
	s_or_b32 exec_lo, exec_lo, s22
.LBB350_771:                            ;   in Loop: Header=BB350_16 Depth=1
	s_delay_alu instid0(SALU_CYCLE_1) | instskip(SKIP_3) | instid1(VALU_DEP_2)
	s_or_b32 exec_lo, exec_lo, s21
	v_lshrrev_b32_e32 v77, 16, v34
	v_mov_b32_e32 v155, 0
	s_mov_b32 s21, exec_lo
	v_dual_mov_b32 v154, 0 :: v_dual_and_b32 v7, 0xff, v77
	s_delay_alu instid0(VALU_DEP_1)
	v_cmpx_ne_u16_e32 0, v7
	s_cbranch_execz .LBB350_779
; %bb.772:                              ;   in Loop: Header=BB350_16 Depth=1
	v_bfrev_b32_e32 v155, 1
	s_mov_b32 s22, exec_lo
	v_cmpx_ne_u16_e32 0x80, v7
	s_cbranch_execz .LBB350_778
; %bb.773:                              ;   in Loop: Header=BB350_16 Depth=1
	v_bfe_u32 v35, v34, 16, 7
	v_mov_b32_e32 v155, 0x7fc02000
	s_mov_b32 s23, exec_lo
	s_delay_alu instid0(VALU_DEP_2)
	v_cmpx_ne_u32_e32 0x7f, v35
	s_cbranch_execz .LBB350_777
; %bb.774:                              ;   in Loop: Header=BB350_16 Depth=1
	v_and_b32_e32 v7, 7, v77
	v_lshrrev_b32_e32 v88, 3, v35
	v_cmp_gt_u32_e64 s1, 8, v35
	s_delay_alu instid0(VALU_DEP_3) | instskip(NEXT) | instid1(VALU_DEP_2)
	v_dual_mov_b32 v36, v8 :: v_dual_mov_b32 v35, v7
	s_and_saveexec_b32 s24, s1
; %bb.775:                              ;   in Loop: Header=BB350_16 Depth=1
	v_clz_i32_u32_e32 v35, v7
	s_delay_alu instid0(VALU_DEP_1) | instskip(NEXT) | instid1(VALU_DEP_1)
	v_min_u32_e32 v88, 32, v35
	v_subrev_nc_u32_e32 v35, 28, v88
	v_sub_nc_u32_e32 v88, 29, v88
	s_delay_alu instid0(VALU_DEP_2) | instskip(NEXT) | instid1(VALU_DEP_1)
	v_lshlrev_b64 v[35:36], v35, v[7:8]
	v_and_b32_e32 v35, 7, v35
; %bb.776:                              ;   in Loop: Header=BB350_16 Depth=1
	s_or_b32 exec_lo, exec_lo, s24
	v_lshlrev_b32_e32 v7, 8, v77
	v_lshl_add_u32 v36, v88, 10, 0x2000
	s_delay_alu instid0(VALU_DEP_1) | instskip(NEXT) | instid1(VALU_DEP_1)
	v_and_or_b32 v7, 0x8000, v7, v36
	v_lshl_or_b32 v7, v35, 7, v7
	s_delay_alu instid0(VALU_DEP_1)
	v_cvt_f32_f16_e64 v155, v7
.LBB350_777:                            ;   in Loop: Header=BB350_16 Depth=1
	s_or_b32 exec_lo, exec_lo, s23
.LBB350_778:                            ;   in Loop: Header=BB350_16 Depth=1
	s_delay_alu instid0(SALU_CYCLE_1)
	s_or_b32 exec_lo, exec_lo, s22
.LBB350_779:                            ;   in Loop: Header=BB350_16 Depth=1
	s_delay_alu instid0(SALU_CYCLE_1) | instskip(NEXT) | instid1(SALU_CYCLE_1)
	s_or_b32 exec_lo, exec_lo, s21
	s_mov_b32 s21, exec_lo
	v_cmpx_lt_u64_e64 s[8:9], v[33:34]
	s_cbranch_execz .LBB350_787
; %bb.780:                              ;   in Loop: Header=BB350_16 Depth=1
	v_lshrrev_b32_e32 v35, 24, v34
	v_bfrev_b32_e32 v154, 1
	s_mov_b32 s22, exec_lo
	s_delay_alu instid0(VALU_DEP_2)
	v_cmpx_ne_u32_e32 0x80, v35
	s_cbranch_execz .LBB350_786
; %bb.781:                              ;   in Loop: Header=BB350_16 Depth=1
	v_and_b32_e32 v33, 0x7f, v35
	v_mov_b32_e32 v154, 0x7fc02000
	s_mov_b32 s23, exec_lo
	s_delay_alu instid0(VALU_DEP_2)
	v_cmpx_ne_u32_e32 0x7f, v33
	s_cbranch_execz .LBB350_785
; %bb.782:                              ;   in Loop: Header=BB350_16 Depth=1
	v_and_b32_e32 v7, 7, v35
	v_lshrrev_b32_e32 v36, 3, v33
	v_cmp_gt_u32_e64 s1, 8, v33
	s_delay_alu instid0(VALU_DEP_3) | instskip(NEXT) | instid1(VALU_DEP_2)
	v_dual_mov_b32 v34, v8 :: v_dual_mov_b32 v33, v7
	s_and_saveexec_b32 s24, s1
; %bb.783:                              ;   in Loop: Header=BB350_16 Depth=1
	v_clz_i32_u32_e32 v33, v7
	s_delay_alu instid0(VALU_DEP_1) | instskip(NEXT) | instid1(VALU_DEP_1)
	v_min_u32_e32 v36, 32, v33
	v_subrev_nc_u32_e32 v33, 28, v36
	v_sub_nc_u32_e32 v36, 29, v36
	s_delay_alu instid0(VALU_DEP_2) | instskip(NEXT) | instid1(VALU_DEP_1)
	v_lshlrev_b64 v[33:34], v33, v[7:8]
	v_and_b32_e32 v33, 7, v33
; %bb.784:                              ;   in Loop: Header=BB350_16 Depth=1
	s_or_b32 exec_lo, exec_lo, s24
	v_lshlrev_b32_e32 v7, 8, v35
	v_lshl_add_u32 v34, v36, 10, 0x2000
	s_delay_alu instid0(VALU_DEP_1) | instskip(NEXT) | instid1(VALU_DEP_1)
	v_and_or_b32 v7, 0x8000, v7, v34
	v_lshl_or_b32 v7, v33, 7, v7
	s_delay_alu instid0(VALU_DEP_1)
	v_cvt_f32_f16_e64 v154, v7
.LBB350_785:                            ;   in Loop: Header=BB350_16 Depth=1
	s_or_b32 exec_lo, exec_lo, s23
.LBB350_786:                            ;   in Loop: Header=BB350_16 Depth=1
	s_delay_alu instid0(SALU_CYCLE_1)
	s_or_b32 exec_lo, exec_lo, s22
.LBB350_787:                            ;   in Loop: Header=BB350_16 Depth=1
	s_delay_alu instid0(SALU_CYCLE_1)
	s_or_b32 exec_lo, exec_lo, s21
	flat_load_b64 v[33:34], v[31:32] offset:3072
	v_mov_b32_e32 v105, 0
	v_mov_b32_e32 v95, 0
	s_mov_b32 s21, exec_lo
	s_waitcnt vmcnt(0) lgkmcnt(0)
	v_and_b32_e32 v7, 0xff, v33
	s_delay_alu instid0(VALU_DEP_1)
	v_cmpx_ne_u16_e32 0, v7
	s_cbranch_execz .LBB350_795
; %bb.788:                              ;   in Loop: Header=BB350_16 Depth=1
	v_bfrev_b32_e32 v95, 1
	s_mov_b32 s22, exec_lo
	v_cmpx_ne_u16_e32 0x80, v7
	s_cbranch_execz .LBB350_794
; %bb.789:                              ;   in Loop: Header=BB350_16 Depth=1
	v_and_b32_e32 v35, 0x7f, v33
	v_mov_b32_e32 v95, 0x7fc02000
	s_mov_b32 s23, exec_lo
	s_delay_alu instid0(VALU_DEP_2)
	v_cmpx_ne_u32_e32 0x7f, v35
	s_cbranch_execz .LBB350_793
; %bb.790:                              ;   in Loop: Header=BB350_16 Depth=1
	v_lshrrev_b32_e32 v7, 3, v35
	v_cmp_gt_u32_e64 s1, 8, v35
	v_dual_mov_b32 v36, v34 :: v_dual_mov_b32 v35, v33
	s_delay_alu instid0(VALU_DEP_2)
	s_and_saveexec_b32 s24, s1
; %bb.791:                              ;   in Loop: Header=BB350_16 Depth=1
	v_and_b32_e32 v7, 7, v33
	s_delay_alu instid0(VALU_DEP_1) | instskip(NEXT) | instid1(VALU_DEP_1)
	v_clz_i32_u32_e32 v7, v7
	v_min_u32_e32 v7, 32, v7
	s_delay_alu instid0(VALU_DEP_1) | instskip(SKIP_1) | instid1(VALU_DEP_2)
	v_subrev_nc_u32_e32 v35, 28, v7
	v_sub_nc_u32_e32 v7, 29, v7
	v_lshlrev_b64 v[35:36], v35, v[33:34]
; %bb.792:                              ;   in Loop: Header=BB350_16 Depth=1
	s_or_b32 exec_lo, exec_lo, s24
	v_lshlrev_b32_e32 v36, 8, v33
	s_delay_alu instid0(VALU_DEP_3) | instskip(NEXT) | instid1(VALU_DEP_3)
	v_lshl_add_u32 v7, v7, 10, 0x2000
	v_lshlrev_b32_e32 v35, 7, v35
	s_delay_alu instid0(VALU_DEP_2) | instskip(NEXT) | instid1(VALU_DEP_1)
	v_and_or_b32 v7, 0x8000, v36, v7
	v_and_or_b32 v7, 0x380, v35, v7
	s_delay_alu instid0(VALU_DEP_1)
	v_cvt_f32_f16_e32 v95, v7
.LBB350_793:                            ;   in Loop: Header=BB350_16 Depth=1
	s_or_b32 exec_lo, exec_lo, s23
.LBB350_794:                            ;   in Loop: Header=BB350_16 Depth=1
	s_delay_alu instid0(SALU_CYCLE_1)
	s_or_b32 exec_lo, exec_lo, s22
.LBB350_795:                            ;   in Loop: Header=BB350_16 Depth=1
	s_delay_alu instid0(SALU_CYCLE_1) | instskip(SKIP_2) | instid1(VALU_DEP_1)
	s_or_b32 exec_lo, exec_lo, s21
	v_lshrrev_b16 v7, 8, v33
	s_mov_b32 s21, exec_lo
	v_cmpx_ne_u16_e32 0, v7
	s_cbranch_execz .LBB350_803
; %bb.796:                              ;   in Loop: Header=BB350_16 Depth=1
	v_bfrev_b32_e32 v105, 1
	s_mov_b32 s22, exec_lo
	v_cmpx_ne_u16_e32 0x80, v7
	s_cbranch_execz .LBB350_802
; %bb.797:                              ;   in Loop: Header=BB350_16 Depth=1
	v_and_b32_e32 v77, 0xffff, v7
	v_mov_b32_e32 v105, 0x7fc02000
	s_mov_b32 s23, exec_lo
	s_delay_alu instid0(VALU_DEP_2) | instskip(NEXT) | instid1(VALU_DEP_1)
	v_and_b32_e32 v35, 0x7f, v77
	v_cmpx_ne_u32_e32 0x7f, v35
	s_cbranch_execz .LBB350_801
; %bb.798:                              ;   in Loop: Header=BB350_16 Depth=1
	v_and_b32_e32 v7, 7, v77
	v_lshrrev_b32_e32 v88, 3, v35
	v_cmp_gt_u32_e64 s1, 8, v35
	s_delay_alu instid0(VALU_DEP_3) | instskip(NEXT) | instid1(VALU_DEP_2)
	v_dual_mov_b32 v36, v8 :: v_dual_mov_b32 v35, v7
	s_and_saveexec_b32 s24, s1
; %bb.799:                              ;   in Loop: Header=BB350_16 Depth=1
	v_clz_i32_u32_e32 v35, v7
	s_delay_alu instid0(VALU_DEP_1) | instskip(NEXT) | instid1(VALU_DEP_1)
	v_min_u32_e32 v88, 32, v35
	v_subrev_nc_u32_e32 v35, 28, v88
	v_sub_nc_u32_e32 v88, 29, v88
	s_delay_alu instid0(VALU_DEP_2) | instskip(NEXT) | instid1(VALU_DEP_1)
	v_lshlrev_b64 v[35:36], v35, v[7:8]
	v_and_b32_e32 v35, 7, v35
; %bb.800:                              ;   in Loop: Header=BB350_16 Depth=1
	s_or_b32 exec_lo, exec_lo, s24
	v_lshlrev_b32_e32 v7, 8, v77
	v_lshl_add_u32 v36, v88, 10, 0x2000
	s_delay_alu instid0(VALU_DEP_1) | instskip(NEXT) | instid1(VALU_DEP_1)
	v_and_or_b32 v7, 0x8000, v7, v36
	v_lshl_or_b32 v7, v35, 7, v7
	s_delay_alu instid0(VALU_DEP_1)
	v_cvt_f32_f16_e32 v105, v7
.LBB350_801:                            ;   in Loop: Header=BB350_16 Depth=1
	s_or_b32 exec_lo, exec_lo, s23
.LBB350_802:                            ;   in Loop: Header=BB350_16 Depth=1
	s_delay_alu instid0(SALU_CYCLE_1)
	s_or_b32 exec_lo, exec_lo, s22
.LBB350_803:                            ;   in Loop: Header=BB350_16 Depth=1
	s_delay_alu instid0(SALU_CYCLE_1) | instskip(SKIP_3) | instid1(VALU_DEP_2)
	s_or_b32 exec_lo, exec_lo, s21
	v_lshrrev_b32_e32 v77, 16, v33
	v_mov_b32_e32 v107, 0
	s_mov_b32 s21, exec_lo
	v_dual_mov_b32 v106, 0 :: v_dual_and_b32 v7, 0xff, v77
	s_delay_alu instid0(VALU_DEP_1)
	v_cmpx_ne_u16_e32 0, v7
	s_cbranch_execz .LBB350_811
; %bb.804:                              ;   in Loop: Header=BB350_16 Depth=1
	v_bfrev_b32_e32 v106, 1
	s_mov_b32 s22, exec_lo
	v_cmpx_ne_u16_e32 0x80, v7
	s_cbranch_execz .LBB350_810
; %bb.805:                              ;   in Loop: Header=BB350_16 Depth=1
	v_bfe_u32 v35, v33, 16, 7
	v_mov_b32_e32 v106, 0x7fc02000
	s_mov_b32 s23, exec_lo
	s_delay_alu instid0(VALU_DEP_2)
	v_cmpx_ne_u32_e32 0x7f, v35
	s_cbranch_execz .LBB350_809
; %bb.806:                              ;   in Loop: Header=BB350_16 Depth=1
	v_and_b32_e32 v7, 7, v77
	v_lshrrev_b32_e32 v88, 3, v35
	v_cmp_gt_u32_e64 s1, 8, v35
	s_delay_alu instid0(VALU_DEP_3) | instskip(NEXT) | instid1(VALU_DEP_2)
	v_dual_mov_b32 v36, v8 :: v_dual_mov_b32 v35, v7
	s_and_saveexec_b32 s24, s1
; %bb.807:                              ;   in Loop: Header=BB350_16 Depth=1
	v_clz_i32_u32_e32 v35, v7
	s_delay_alu instid0(VALU_DEP_1) | instskip(NEXT) | instid1(VALU_DEP_1)
	v_min_u32_e32 v88, 32, v35
	v_subrev_nc_u32_e32 v35, 28, v88
	v_sub_nc_u32_e32 v88, 29, v88
	s_delay_alu instid0(VALU_DEP_2) | instskip(NEXT) | instid1(VALU_DEP_1)
	v_lshlrev_b64 v[35:36], v35, v[7:8]
	v_and_b32_e32 v35, 7, v35
; %bb.808:                              ;   in Loop: Header=BB350_16 Depth=1
	s_or_b32 exec_lo, exec_lo, s24
	v_lshlrev_b32_e32 v7, 8, v77
	v_lshl_add_u32 v36, v88, 10, 0x2000
	s_delay_alu instid0(VALU_DEP_1) | instskip(NEXT) | instid1(VALU_DEP_1)
	v_and_or_b32 v7, 0x8000, v7, v36
	v_lshl_or_b32 v7, v35, 7, v7
	s_delay_alu instid0(VALU_DEP_1)
	v_cvt_f32_f16_e32 v106, v7
.LBB350_809:                            ;   in Loop: Header=BB350_16 Depth=1
	s_or_b32 exec_lo, exec_lo, s23
.LBB350_810:                            ;   in Loop: Header=BB350_16 Depth=1
	s_delay_alu instid0(SALU_CYCLE_1)
	s_or_b32 exec_lo, exec_lo, s22
.LBB350_811:                            ;   in Loop: Header=BB350_16 Depth=1
	s_delay_alu instid0(SALU_CYCLE_1) | instskip(NEXT) | instid1(SALU_CYCLE_1)
	s_or_b32 exec_lo, exec_lo, s21
	s_mov_b32 s21, exec_lo
	v_cmpx_lt_u32_e32 0xffffff, v33
	s_cbranch_execz .LBB350_819
; %bb.812:                              ;   in Loop: Header=BB350_16 Depth=1
	v_lshrrev_b32_e32 v77, 24, v33
	v_bfrev_b32_e32 v107, 1
	s_mov_b32 s22, exec_lo
	s_delay_alu instid0(VALU_DEP_2)
	v_cmpx_ne_u32_e32 0x80, v77
	s_cbranch_execz .LBB350_818
; %bb.813:                              ;   in Loop: Header=BB350_16 Depth=1
	v_and_b32_e32 v35, 0x7f, v77
	v_mov_b32_e32 v107, 0x7fc02000
	s_mov_b32 s23, exec_lo
	s_delay_alu instid0(VALU_DEP_2)
	v_cmpx_ne_u32_e32 0x7f, v35
	s_cbranch_execz .LBB350_817
; %bb.814:                              ;   in Loop: Header=BB350_16 Depth=1
	v_and_b32_e32 v7, 7, v77
	v_lshrrev_b32_e32 v88, 3, v35
	v_cmp_gt_u32_e64 s1, 8, v35
	s_delay_alu instid0(VALU_DEP_3) | instskip(NEXT) | instid1(VALU_DEP_2)
	v_dual_mov_b32 v36, v8 :: v_dual_mov_b32 v35, v7
	s_and_saveexec_b32 s24, s1
; %bb.815:                              ;   in Loop: Header=BB350_16 Depth=1
	v_clz_i32_u32_e32 v35, v7
	s_delay_alu instid0(VALU_DEP_1) | instskip(NEXT) | instid1(VALU_DEP_1)
	v_min_u32_e32 v88, 32, v35
	v_subrev_nc_u32_e32 v35, 28, v88
	v_sub_nc_u32_e32 v88, 29, v88
	s_delay_alu instid0(VALU_DEP_2) | instskip(NEXT) | instid1(VALU_DEP_1)
	v_lshlrev_b64 v[35:36], v35, v[7:8]
	v_and_b32_e32 v35, 7, v35
; %bb.816:                              ;   in Loop: Header=BB350_16 Depth=1
	s_or_b32 exec_lo, exec_lo, s24
	v_lshlrev_b32_e32 v7, 8, v77
	v_lshl_add_u32 v36, v88, 10, 0x2000
	s_delay_alu instid0(VALU_DEP_1) | instskip(NEXT) | instid1(VALU_DEP_1)
	v_and_or_b32 v7, 0x8000, v7, v36
	v_lshl_or_b32 v7, v35, 7, v7
	s_delay_alu instid0(VALU_DEP_1)
	v_cvt_f32_f16_e32 v107, v7
.LBB350_817:                            ;   in Loop: Header=BB350_16 Depth=1
	s_or_b32 exec_lo, exec_lo, s23
.LBB350_818:                            ;   in Loop: Header=BB350_16 Depth=1
	s_delay_alu instid0(SALU_CYCLE_1)
	s_or_b32 exec_lo, exec_lo, s22
.LBB350_819:                            ;   in Loop: Header=BB350_16 Depth=1
	s_delay_alu instid0(SALU_CYCLE_1) | instskip(SKIP_4) | instid1(VALU_DEP_3)
	s_or_b32 exec_lo, exec_lo, s21
	v_dual_mov_b32 v136, 0 :: v_dual_and_b32 v35, 0xff, v34
	v_mov_b32_e32 v7, v34
	v_mov_b32_e32 v137, 0
	s_mov_b32 s21, exec_lo
	v_cmpx_ne_u16_e32 0, v35
	s_cbranch_execz .LBB350_827
; %bb.820:                              ;   in Loop: Header=BB350_16 Depth=1
	v_bfrev_b32_e32 v136, 1
	s_mov_b32 s22, exec_lo
	v_cmpx_ne_u16_e32 0x80, v35
	s_cbranch_execz .LBB350_826
; %bb.821:                              ;   in Loop: Header=BB350_16 Depth=1
	v_and_b32_e32 v35, 0x7f, v34
	v_mov_b32_e32 v136, 0x7fc02000
	s_mov_b32 s23, exec_lo
	s_delay_alu instid0(VALU_DEP_2)
	v_cmpx_ne_u32_e32 0x7f, v35
	s_cbranch_execz .LBB350_825
; %bb.822:                              ;   in Loop: Header=BB350_16 Depth=1
	v_lshrrev_b32_e32 v77, 3, v35
	v_cmp_gt_u32_e64 s1, 8, v35
	v_dual_mov_b32 v36, v8 :: v_dual_mov_b32 v35, v7
	s_delay_alu instid0(VALU_DEP_2)
	s_and_saveexec_b32 s24, s1
; %bb.823:                              ;   in Loop: Header=BB350_16 Depth=1
	v_and_b32_e32 v35, 7, v34
	s_delay_alu instid0(VALU_DEP_1) | instskip(NEXT) | instid1(VALU_DEP_1)
	v_clz_i32_u32_e32 v35, v35
	v_min_u32_e32 v77, 32, v35
	s_delay_alu instid0(VALU_DEP_1) | instskip(SKIP_1) | instid1(VALU_DEP_2)
	v_subrev_nc_u32_e32 v35, 28, v77
	v_sub_nc_u32_e32 v77, 29, v77
	v_lshlrev_b64 v[35:36], v35, v[7:8]
; %bb.824:                              ;   in Loop: Header=BB350_16 Depth=1
	s_or_b32 exec_lo, exec_lo, s24
	v_lshlrev_b32_e32 v36, 8, v34
	s_delay_alu instid0(VALU_DEP_3) | instskip(NEXT) | instid1(VALU_DEP_3)
	v_lshl_add_u32 v77, v77, 10, 0x2000
	v_lshlrev_b32_e32 v35, 7, v35
	s_delay_alu instid0(VALU_DEP_2) | instskip(NEXT) | instid1(VALU_DEP_1)
	v_and_or_b32 v36, 0x8000, v36, v77
	v_and_or_b32 v35, 0x380, v35, v36
	s_delay_alu instid0(VALU_DEP_1)
	v_cvt_f32_f16_e64 v136, v35
.LBB350_825:                            ;   in Loop: Header=BB350_16 Depth=1
	s_or_b32 exec_lo, exec_lo, s23
.LBB350_826:                            ;   in Loop: Header=BB350_16 Depth=1
	s_delay_alu instid0(SALU_CYCLE_1)
	s_or_b32 exec_lo, exec_lo, s22
.LBB350_827:                            ;   in Loop: Header=BB350_16 Depth=1
	s_delay_alu instid0(SALU_CYCLE_1) | instskip(SKIP_2) | instid1(VALU_DEP_1)
	s_or_b32 exec_lo, exec_lo, s21
	v_lshrrev_b16 v7, 8, v7
	s_mov_b32 s21, exec_lo
	v_cmpx_ne_u16_e32 0, v7
	s_cbranch_execz .LBB350_835
; %bb.828:                              ;   in Loop: Header=BB350_16 Depth=1
	v_bfrev_b32_e32 v137, 1
	s_mov_b32 s22, exec_lo
	v_cmpx_ne_u16_e32 0x80, v7
	s_cbranch_execz .LBB350_834
; %bb.829:                              ;   in Loop: Header=BB350_16 Depth=1
	v_and_b32_e32 v77, 0xffff, v7
	v_mov_b32_e32 v137, 0x7fc02000
	s_mov_b32 s23, exec_lo
	s_delay_alu instid0(VALU_DEP_2) | instskip(NEXT) | instid1(VALU_DEP_1)
	v_and_b32_e32 v35, 0x7f, v77
	v_cmpx_ne_u32_e32 0x7f, v35
	s_cbranch_execz .LBB350_833
; %bb.830:                              ;   in Loop: Header=BB350_16 Depth=1
	v_and_b32_e32 v7, 7, v77
	v_lshrrev_b32_e32 v88, 3, v35
	v_cmp_gt_u32_e64 s1, 8, v35
	s_delay_alu instid0(VALU_DEP_3) | instskip(NEXT) | instid1(VALU_DEP_2)
	v_dual_mov_b32 v36, v8 :: v_dual_mov_b32 v35, v7
	s_and_saveexec_b32 s24, s1
; %bb.831:                              ;   in Loop: Header=BB350_16 Depth=1
	v_clz_i32_u32_e32 v35, v7
	s_delay_alu instid0(VALU_DEP_1) | instskip(NEXT) | instid1(VALU_DEP_1)
	v_min_u32_e32 v88, 32, v35
	v_subrev_nc_u32_e32 v35, 28, v88
	v_sub_nc_u32_e32 v88, 29, v88
	s_delay_alu instid0(VALU_DEP_2) | instskip(NEXT) | instid1(VALU_DEP_1)
	v_lshlrev_b64 v[35:36], v35, v[7:8]
	v_and_b32_e32 v35, 7, v35
; %bb.832:                              ;   in Loop: Header=BB350_16 Depth=1
	s_or_b32 exec_lo, exec_lo, s24
	v_lshlrev_b32_e32 v7, 8, v77
	v_lshl_add_u32 v36, v88, 10, 0x2000
	s_delay_alu instid0(VALU_DEP_1) | instskip(NEXT) | instid1(VALU_DEP_1)
	v_and_or_b32 v7, 0x8000, v7, v36
	v_lshl_or_b32 v7, v35, 7, v7
	s_delay_alu instid0(VALU_DEP_1)
	v_cvt_f32_f16_e64 v137, v7
.LBB350_833:                            ;   in Loop: Header=BB350_16 Depth=1
	s_or_b32 exec_lo, exec_lo, s23
.LBB350_834:                            ;   in Loop: Header=BB350_16 Depth=1
	s_delay_alu instid0(SALU_CYCLE_1)
	s_or_b32 exec_lo, exec_lo, s22
.LBB350_835:                            ;   in Loop: Header=BB350_16 Depth=1
	s_delay_alu instid0(SALU_CYCLE_1) | instskip(SKIP_3) | instid1(VALU_DEP_2)
	s_or_b32 exec_lo, exec_lo, s21
	v_lshrrev_b32_e32 v77, 16, v34
	v_mov_b32_e32 v139, 0
	s_mov_b32 s21, exec_lo
	v_dual_mov_b32 v138, 0 :: v_dual_and_b32 v7, 0xff, v77
	s_delay_alu instid0(VALU_DEP_1)
	v_cmpx_ne_u16_e32 0, v7
	s_cbranch_execz .LBB350_843
; %bb.836:                              ;   in Loop: Header=BB350_16 Depth=1
	v_bfrev_b32_e32 v139, 1
	s_mov_b32 s22, exec_lo
	v_cmpx_ne_u16_e32 0x80, v7
	s_cbranch_execz .LBB350_842
; %bb.837:                              ;   in Loop: Header=BB350_16 Depth=1
	v_bfe_u32 v35, v34, 16, 7
	v_mov_b32_e32 v139, 0x7fc02000
	s_mov_b32 s23, exec_lo
	s_delay_alu instid0(VALU_DEP_2)
	v_cmpx_ne_u32_e32 0x7f, v35
	s_cbranch_execz .LBB350_841
; %bb.838:                              ;   in Loop: Header=BB350_16 Depth=1
	v_and_b32_e32 v7, 7, v77
	v_lshrrev_b32_e32 v88, 3, v35
	v_cmp_gt_u32_e64 s1, 8, v35
	s_delay_alu instid0(VALU_DEP_3) | instskip(NEXT) | instid1(VALU_DEP_2)
	v_dual_mov_b32 v36, v8 :: v_dual_mov_b32 v35, v7
	s_and_saveexec_b32 s24, s1
; %bb.839:                              ;   in Loop: Header=BB350_16 Depth=1
	v_clz_i32_u32_e32 v35, v7
	s_delay_alu instid0(VALU_DEP_1) | instskip(NEXT) | instid1(VALU_DEP_1)
	v_min_u32_e32 v88, 32, v35
	v_subrev_nc_u32_e32 v35, 28, v88
	v_sub_nc_u32_e32 v88, 29, v88
	s_delay_alu instid0(VALU_DEP_2) | instskip(NEXT) | instid1(VALU_DEP_1)
	v_lshlrev_b64 v[35:36], v35, v[7:8]
	v_and_b32_e32 v35, 7, v35
; %bb.840:                              ;   in Loop: Header=BB350_16 Depth=1
	s_or_b32 exec_lo, exec_lo, s24
	v_lshlrev_b32_e32 v7, 8, v77
	v_lshl_add_u32 v36, v88, 10, 0x2000
	s_delay_alu instid0(VALU_DEP_1) | instskip(NEXT) | instid1(VALU_DEP_1)
	v_and_or_b32 v7, 0x8000, v7, v36
	v_lshl_or_b32 v7, v35, 7, v7
	s_delay_alu instid0(VALU_DEP_1)
	v_cvt_f32_f16_e64 v139, v7
.LBB350_841:                            ;   in Loop: Header=BB350_16 Depth=1
	s_or_b32 exec_lo, exec_lo, s23
.LBB350_842:                            ;   in Loop: Header=BB350_16 Depth=1
	s_delay_alu instid0(SALU_CYCLE_1)
	s_or_b32 exec_lo, exec_lo, s22
.LBB350_843:                            ;   in Loop: Header=BB350_16 Depth=1
	s_delay_alu instid0(SALU_CYCLE_1) | instskip(NEXT) | instid1(SALU_CYCLE_1)
	s_or_b32 exec_lo, exec_lo, s21
	s_mov_b32 s21, exec_lo
	v_cmpx_lt_u64_e64 s[8:9], v[33:34]
	s_cbranch_execz .LBB350_851
; %bb.844:                              ;   in Loop: Header=BB350_16 Depth=1
	v_lshrrev_b32_e32 v35, 24, v34
	v_bfrev_b32_e32 v138, 1
	s_mov_b32 s22, exec_lo
	s_delay_alu instid0(VALU_DEP_2)
	v_cmpx_ne_u32_e32 0x80, v35
	s_cbranch_execz .LBB350_850
; %bb.845:                              ;   in Loop: Header=BB350_16 Depth=1
	v_and_b32_e32 v77, 0x7f, v35
	v_mov_b32_e32 v138, 0x7fc02000
	s_mov_b32 s23, exec_lo
	s_delay_alu instid0(VALU_DEP_2)
	v_cmpx_ne_u32_e32 0x7f, v77
	s_cbranch_execz .LBB350_849
; %bb.846:                              ;   in Loop: Header=BB350_16 Depth=1
	v_and_b32_e32 v7, 7, v35
	v_lshrrev_b32_e32 v36, 3, v77
	v_mov_b32_e32 v34, v8
	s_mov_b32 s24, exec_lo
	s_delay_alu instid0(VALU_DEP_3)
	v_mov_b32_e32 v33, v7
	v_cmpx_gt_u32_e32 8, v77
; %bb.847:                              ;   in Loop: Header=BB350_16 Depth=1
	v_clz_i32_u32_e32 v33, v7
	s_delay_alu instid0(VALU_DEP_1) | instskip(NEXT) | instid1(VALU_DEP_1)
	v_min_u32_e32 v36, 32, v33
	v_subrev_nc_u32_e32 v33, 28, v36
	v_sub_nc_u32_e32 v36, 29, v36
	s_delay_alu instid0(VALU_DEP_2) | instskip(NEXT) | instid1(VALU_DEP_1)
	v_lshlrev_b64 v[33:34], v33, v[7:8]
	v_and_b32_e32 v33, 7, v33
; %bb.848:                              ;   in Loop: Header=BB350_16 Depth=1
	s_or_b32 exec_lo, exec_lo, s24
	v_lshlrev_b32_e32 v7, 8, v35
	v_lshl_add_u32 v34, v36, 10, 0x2000
	s_delay_alu instid0(VALU_DEP_1) | instskip(NEXT) | instid1(VALU_DEP_1)
	v_and_or_b32 v7, 0x8000, v7, v34
	v_lshl_or_b32 v7, v33, 7, v7
	s_delay_alu instid0(VALU_DEP_1)
	v_cvt_f32_f16_e64 v138, v7
.LBB350_849:                            ;   in Loop: Header=BB350_16 Depth=1
	s_or_b32 exec_lo, exec_lo, s23
.LBB350_850:                            ;   in Loop: Header=BB350_16 Depth=1
	s_delay_alu instid0(SALU_CYCLE_1)
	s_or_b32 exec_lo, exec_lo, s22
.LBB350_851:                            ;   in Loop: Header=BB350_16 Depth=1
	s_delay_alu instid0(SALU_CYCLE_1)
	s_or_b32 exec_lo, exec_lo, s21
	flat_load_b64 v[33:34], v[31:32] offset:3080
	v_mov_b32_e32 v77, 0
	s_mov_b32 s21, exec_lo
	s_waitcnt vmcnt(0) lgkmcnt(0)
	v_dual_mov_b32 v88, 0 :: v_dual_and_b32 v7, 0xff, v33
	s_delay_alu instid0(VALU_DEP_1)
	v_cmpx_ne_u16_e32 0, v7
	s_cbranch_execz .LBB350_859
; %bb.852:                              ;   in Loop: Header=BB350_16 Depth=1
	v_bfrev_b32_e32 v77, 1
	s_mov_b32 s22, exec_lo
	v_cmpx_ne_u16_e32 0x80, v7
	s_cbranch_execz .LBB350_858
; %bb.853:                              ;   in Loop: Header=BB350_16 Depth=1
	v_and_b32_e32 v35, 0x7f, v33
	v_mov_b32_e32 v77, 0x7fc02000
	s_mov_b32 s23, exec_lo
	s_delay_alu instid0(VALU_DEP_2)
	v_cmpx_ne_u32_e32 0x7f, v35
	s_cbranch_execz .LBB350_857
; %bb.854:                              ;   in Loop: Header=BB350_16 Depth=1
	v_lshrrev_b32_e32 v7, 3, v35
	v_cmp_gt_u32_e64 s1, 8, v35
	v_dual_mov_b32 v36, v34 :: v_dual_mov_b32 v35, v33
	s_delay_alu instid0(VALU_DEP_2)
	s_and_saveexec_b32 s24, s1
; %bb.855:                              ;   in Loop: Header=BB350_16 Depth=1
	v_and_b32_e32 v7, 7, v33
	s_delay_alu instid0(VALU_DEP_1) | instskip(NEXT) | instid1(VALU_DEP_1)
	v_clz_i32_u32_e32 v7, v7
	v_min_u32_e32 v7, 32, v7
	s_delay_alu instid0(VALU_DEP_1) | instskip(SKIP_1) | instid1(VALU_DEP_2)
	v_subrev_nc_u32_e32 v35, 28, v7
	v_sub_nc_u32_e32 v7, 29, v7
	v_lshlrev_b64 v[35:36], v35, v[33:34]
; %bb.856:                              ;   in Loop: Header=BB350_16 Depth=1
	s_or_b32 exec_lo, exec_lo, s24
	v_lshlrev_b32_e32 v36, 8, v33
	s_delay_alu instid0(VALU_DEP_3) | instskip(NEXT) | instid1(VALU_DEP_3)
	v_lshl_add_u32 v7, v7, 10, 0x2000
	v_lshlrev_b32_e32 v35, 7, v35
	s_delay_alu instid0(VALU_DEP_2) | instskip(NEXT) | instid1(VALU_DEP_1)
	v_and_or_b32 v7, 0x8000, v36, v7
	v_and_or_b32 v7, 0x380, v35, v7
	s_delay_alu instid0(VALU_DEP_1)
	v_cvt_f32_f16_e32 v77, v7
.LBB350_857:                            ;   in Loop: Header=BB350_16 Depth=1
	s_or_b32 exec_lo, exec_lo, s23
.LBB350_858:                            ;   in Loop: Header=BB350_16 Depth=1
	s_delay_alu instid0(SALU_CYCLE_1)
	s_or_b32 exec_lo, exec_lo, s22
.LBB350_859:                            ;   in Loop: Header=BB350_16 Depth=1
	s_delay_alu instid0(SALU_CYCLE_1) | instskip(SKIP_2) | instid1(VALU_DEP_1)
	s_or_b32 exec_lo, exec_lo, s21
	v_lshrrev_b16 v7, 8, v33
	s_mov_b32 s21, exec_lo
	v_cmpx_ne_u16_e32 0, v7
	s_cbranch_execz .LBB350_867
; %bb.860:                              ;   in Loop: Header=BB350_16 Depth=1
	v_bfrev_b32_e32 v88, 1
	s_mov_b32 s22, exec_lo
	v_cmpx_ne_u16_e32 0x80, v7
	s_cbranch_execz .LBB350_866
; %bb.861:                              ;   in Loop: Header=BB350_16 Depth=1
	v_and_b32_e32 v89, 0xffff, v7
	v_mov_b32_e32 v88, 0x7fc02000
	s_mov_b32 s23, exec_lo
	s_delay_alu instid0(VALU_DEP_2) | instskip(NEXT) | instid1(VALU_DEP_1)
	v_and_b32_e32 v90, 0x7f, v89
	v_cmpx_ne_u32_e32 0x7f, v90
	s_cbranch_execz .LBB350_865
; %bb.862:                              ;   in Loop: Header=BB350_16 Depth=1
	v_and_b32_e32 v7, 7, v89
	v_lshrrev_b32_e32 v88, 3, v90
	v_mov_b32_e32 v36, v8
	s_mov_b32 s24, exec_lo
	s_delay_alu instid0(VALU_DEP_3)
	v_mov_b32_e32 v35, v7
	v_cmpx_gt_u32_e32 8, v90
; %bb.863:                              ;   in Loop: Header=BB350_16 Depth=1
	v_clz_i32_u32_e32 v35, v7
	s_delay_alu instid0(VALU_DEP_1) | instskip(NEXT) | instid1(VALU_DEP_1)
	v_min_u32_e32 v88, 32, v35
	v_subrev_nc_u32_e32 v35, 28, v88
	v_sub_nc_u32_e32 v88, 29, v88
	s_delay_alu instid0(VALU_DEP_2) | instskip(NEXT) | instid1(VALU_DEP_1)
	v_lshlrev_b64 v[35:36], v35, v[7:8]
	v_and_b32_e32 v35, 7, v35
; %bb.864:                              ;   in Loop: Header=BB350_16 Depth=1
	s_or_b32 exec_lo, exec_lo, s24
	v_lshlrev_b32_e32 v7, 8, v89
	v_lshl_add_u32 v36, v88, 10, 0x2000
	s_delay_alu instid0(VALU_DEP_1) | instskip(NEXT) | instid1(VALU_DEP_1)
	v_and_or_b32 v7, 0x8000, v7, v36
	v_lshl_or_b32 v7, v35, 7, v7
	s_delay_alu instid0(VALU_DEP_1)
	v_cvt_f32_f16_e32 v88, v7
.LBB350_865:                            ;   in Loop: Header=BB350_16 Depth=1
	s_or_b32 exec_lo, exec_lo, s23
.LBB350_866:                            ;   in Loop: Header=BB350_16 Depth=1
	s_delay_alu instid0(SALU_CYCLE_1)
	s_or_b32 exec_lo, exec_lo, s22
.LBB350_867:                            ;   in Loop: Header=BB350_16 Depth=1
	s_delay_alu instid0(SALU_CYCLE_1) | instskip(SKIP_4) | instid1(VALU_DEP_3)
	s_or_b32 exec_lo, exec_lo, s21
	v_lshrrev_b32_e32 v90, 16, v33
	v_mov_b32_e32 v89, 0
	v_mov_b32_e32 v91, 0
	s_mov_b32 s21, exec_lo
	v_and_b32_e32 v7, 0xff, v90
	s_delay_alu instid0(VALU_DEP_1)
	v_cmpx_ne_u16_e32 0, v7
	s_cbranch_execz .LBB350_875
; %bb.868:                              ;   in Loop: Header=BB350_16 Depth=1
	v_bfrev_b32_e32 v91, 1
	s_mov_b32 s22, exec_lo
	v_cmpx_ne_u16_e32 0x80, v7
	s_cbranch_execz .LBB350_874
; %bb.869:                              ;   in Loop: Header=BB350_16 Depth=1
	v_bfe_u32 v92, v33, 16, 7
	v_mov_b32_e32 v91, 0x7fc02000
	s_mov_b32 s23, exec_lo
	s_delay_alu instid0(VALU_DEP_2)
	v_cmpx_ne_u32_e32 0x7f, v92
	s_cbranch_execz .LBB350_873
; %bb.870:                              ;   in Loop: Header=BB350_16 Depth=1
	v_and_b32_e32 v7, 7, v90
	v_mov_b32_e32 v36, v8
	v_lshrrev_b32_e32 v36, 3, v92
	s_mov_b32 s24, exec_lo
	s_delay_alu instid0(VALU_DEP_3)
	v_mov_b32_e32 v35, v7
	v_cmpx_gt_u32_e32 8, v92
; %bb.871:                              ;   in Loop: Header=BB350_16 Depth=1
	v_clz_i32_u32_e32 v35, v7
	s_delay_alu instid0(VALU_DEP_1) | instskip(NEXT) | instid1(VALU_DEP_1)
	v_min_u32_e32 v91, 32, v35
	v_subrev_nc_u32_e32 v35, 28, v91
	s_delay_alu instid0(VALU_DEP_1) | instskip(SKIP_1) | instid1(VALU_DEP_2)
	v_lshlrev_b64 v[35:36], v35, v[7:8]
	v_sub_nc_u32_e32 v36, 29, v91
	v_and_b32_e32 v35, 7, v35
; %bb.872:                              ;   in Loop: Header=BB350_16 Depth=1
	s_or_b32 exec_lo, exec_lo, s24
	v_lshlrev_b32_e32 v7, 8, v90
	s_delay_alu instid0(VALU_DEP_3) | instskip(NEXT) | instid1(VALU_DEP_1)
	v_lshl_add_u32 v36, v36, 10, 0x2000
	v_and_or_b32 v7, 0x8000, v7, v36
	s_delay_alu instid0(VALU_DEP_1) | instskip(NEXT) | instid1(VALU_DEP_1)
	v_lshl_or_b32 v7, v35, 7, v7
	v_cvt_f32_f16_e32 v91, v7
.LBB350_873:                            ;   in Loop: Header=BB350_16 Depth=1
	s_or_b32 exec_lo, exec_lo, s23
.LBB350_874:                            ;   in Loop: Header=BB350_16 Depth=1
	s_delay_alu instid0(SALU_CYCLE_1)
	s_or_b32 exec_lo, exec_lo, s22
.LBB350_875:                            ;   in Loop: Header=BB350_16 Depth=1
	s_delay_alu instid0(SALU_CYCLE_1) | instskip(NEXT) | instid1(SALU_CYCLE_1)
	s_or_b32 exec_lo, exec_lo, s21
	s_mov_b32 s21, exec_lo
	v_cmpx_lt_u32_e32 0xffffff, v33
	s_cbranch_execz .LBB350_883
; %bb.876:                              ;   in Loop: Header=BB350_16 Depth=1
	v_lshrrev_b32_e32 v90, 24, v33
	v_bfrev_b32_e32 v89, 1
	s_mov_b32 s22, exec_lo
	s_delay_alu instid0(VALU_DEP_2)
	v_cmpx_ne_u32_e32 0x80, v90
	s_cbranch_execz .LBB350_882
; %bb.877:                              ;   in Loop: Header=BB350_16 Depth=1
	v_and_b32_e32 v92, 0x7f, v90
	v_mov_b32_e32 v89, 0x7fc02000
	s_mov_b32 s23, exec_lo
	s_delay_alu instid0(VALU_DEP_2)
	v_cmpx_ne_u32_e32 0x7f, v92
	s_cbranch_execz .LBB350_881
; %bb.878:                              ;   in Loop: Header=BB350_16 Depth=1
	v_and_b32_e32 v7, 7, v90
	v_lshrrev_b32_e32 v89, 3, v92
	v_mov_b32_e32 v36, v8
	s_mov_b32 s24, exec_lo
	s_delay_alu instid0(VALU_DEP_3)
	v_mov_b32_e32 v35, v7
	v_cmpx_gt_u32_e32 8, v92
; %bb.879:                              ;   in Loop: Header=BB350_16 Depth=1
	v_clz_i32_u32_e32 v35, v7
	s_delay_alu instid0(VALU_DEP_1) | instskip(NEXT) | instid1(VALU_DEP_1)
	v_min_u32_e32 v89, 32, v35
	v_subrev_nc_u32_e32 v35, 28, v89
	v_sub_nc_u32_e32 v89, 29, v89
	s_delay_alu instid0(VALU_DEP_2) | instskip(NEXT) | instid1(VALU_DEP_1)
	v_lshlrev_b64 v[35:36], v35, v[7:8]
	v_and_b32_e32 v35, 7, v35
; %bb.880:                              ;   in Loop: Header=BB350_16 Depth=1
	s_or_b32 exec_lo, exec_lo, s24
	v_lshlrev_b32_e32 v7, 8, v90
	v_lshl_add_u32 v36, v89, 10, 0x2000
	s_delay_alu instid0(VALU_DEP_1) | instskip(NEXT) | instid1(VALU_DEP_1)
	v_and_or_b32 v7, 0x8000, v7, v36
	v_lshl_or_b32 v7, v35, 7, v7
	s_delay_alu instid0(VALU_DEP_1)
	v_cvt_f32_f16_e32 v89, v7
.LBB350_881:                            ;   in Loop: Header=BB350_16 Depth=1
	s_or_b32 exec_lo, exec_lo, s23
.LBB350_882:                            ;   in Loop: Header=BB350_16 Depth=1
	s_delay_alu instid0(SALU_CYCLE_1)
	s_or_b32 exec_lo, exec_lo, s22
.LBB350_883:                            ;   in Loop: Header=BB350_16 Depth=1
	s_delay_alu instid0(SALU_CYCLE_1) | instskip(SKIP_4) | instid1(VALU_DEP_3)
	s_or_b32 exec_lo, exec_lo, s21
	v_dual_mov_b32 v108, 0 :: v_dual_and_b32 v35, 0xff, v34
	v_mov_b32_e32 v7, v34
	v_mov_b32_e32 v109, 0
	s_mov_b32 s21, exec_lo
	v_cmpx_ne_u16_e32 0, v35
	s_cbranch_execz .LBB350_891
; %bb.884:                              ;   in Loop: Header=BB350_16 Depth=1
	v_bfrev_b32_e32 v108, 1
	s_mov_b32 s22, exec_lo
	v_cmpx_ne_u16_e32 0x80, v35
	s_cbranch_execz .LBB350_890
; %bb.885:                              ;   in Loop: Header=BB350_16 Depth=1
	v_and_b32_e32 v90, 0x7f, v34
	v_mov_b32_e32 v108, 0x7fc02000
	s_mov_b32 s23, exec_lo
	s_delay_alu instid0(VALU_DEP_2)
	v_cmpx_ne_u32_e32 0x7f, v90
	s_cbranch_execz .LBB350_889
; %bb.886:                              ;   in Loop: Header=BB350_16 Depth=1
	v_dual_mov_b32 v36, v8 :: v_dual_mov_b32 v35, v7
	v_lshrrev_b32_e32 v36, 3, v90
	s_mov_b32 s24, exec_lo
	v_cmpx_gt_u32_e32 8, v90
; %bb.887:                              ;   in Loop: Header=BB350_16 Depth=1
	v_and_b32_e32 v35, 7, v34
	s_delay_alu instid0(VALU_DEP_1) | instskip(NEXT) | instid1(VALU_DEP_1)
	v_clz_i32_u32_e32 v35, v35
	v_min_u32_e32 v90, 32, v35
	s_delay_alu instid0(VALU_DEP_1) | instskip(NEXT) | instid1(VALU_DEP_1)
	v_subrev_nc_u32_e32 v35, 28, v90
	v_lshlrev_b64 v[35:36], v35, v[7:8]
	v_sub_nc_u32_e32 v36, 29, v90
; %bb.888:                              ;   in Loop: Header=BB350_16 Depth=1
	s_or_b32 exec_lo, exec_lo, s24
	v_lshlrev_b32_e32 v90, 8, v34
	s_delay_alu instid0(VALU_DEP_2) | instskip(NEXT) | instid1(VALU_DEP_4)
	v_lshl_add_u32 v36, v36, 10, 0x2000
	v_lshlrev_b32_e32 v35, 7, v35
	s_delay_alu instid0(VALU_DEP_2) | instskip(NEXT) | instid1(VALU_DEP_1)
	v_and_or_b32 v36, 0x8000, v90, v36
	v_and_or_b32 v35, 0x380, v35, v36
	s_delay_alu instid0(VALU_DEP_1)
	v_cvt_f32_f16_e32 v108, v35
.LBB350_889:                            ;   in Loop: Header=BB350_16 Depth=1
	s_or_b32 exec_lo, exec_lo, s23
.LBB350_890:                            ;   in Loop: Header=BB350_16 Depth=1
	s_delay_alu instid0(SALU_CYCLE_1)
	s_or_b32 exec_lo, exec_lo, s22
.LBB350_891:                            ;   in Loop: Header=BB350_16 Depth=1
	s_delay_alu instid0(SALU_CYCLE_1) | instskip(SKIP_2) | instid1(VALU_DEP_1)
	s_or_b32 exec_lo, exec_lo, s21
	v_lshrrev_b16 v7, 8, v7
	s_mov_b32 s21, exec_lo
	v_cmpx_ne_u16_e32 0, v7
	s_cbranch_execz .LBB350_899
; %bb.892:                              ;   in Loop: Header=BB350_16 Depth=1
	v_bfrev_b32_e32 v109, 1
	s_mov_b32 s22, exec_lo
	v_cmpx_ne_u16_e32 0x80, v7
	s_cbranch_execz .LBB350_898
; %bb.893:                              ;   in Loop: Header=BB350_16 Depth=1
	v_and_b32_e32 v90, 0xffff, v7
	v_mov_b32_e32 v109, 0x7fc02000
	s_mov_b32 s23, exec_lo
	s_delay_alu instid0(VALU_DEP_2) | instskip(NEXT) | instid1(VALU_DEP_1)
	v_and_b32_e32 v93, 0x7f, v90
	v_cmpx_ne_u32_e32 0x7f, v93
	s_cbranch_execz .LBB350_897
; %bb.894:                              ;   in Loop: Header=BB350_16 Depth=1
	v_and_b32_e32 v7, 7, v90
	v_lshrrev_b32_e32 v92, 3, v93
	v_mov_b32_e32 v36, v8
	s_mov_b32 s24, exec_lo
	s_delay_alu instid0(VALU_DEP_3)
	v_mov_b32_e32 v35, v7
	v_cmpx_gt_u32_e32 8, v93
; %bb.895:                              ;   in Loop: Header=BB350_16 Depth=1
	v_clz_i32_u32_e32 v35, v7
	s_delay_alu instid0(VALU_DEP_1) | instskip(NEXT) | instid1(VALU_DEP_1)
	v_min_u32_e32 v92, 32, v35
	v_subrev_nc_u32_e32 v35, 28, v92
	v_sub_nc_u32_e32 v92, 29, v92
	s_delay_alu instid0(VALU_DEP_2) | instskip(NEXT) | instid1(VALU_DEP_1)
	v_lshlrev_b64 v[35:36], v35, v[7:8]
	v_and_b32_e32 v35, 7, v35
; %bb.896:                              ;   in Loop: Header=BB350_16 Depth=1
	s_or_b32 exec_lo, exec_lo, s24
	v_lshlrev_b32_e32 v7, 8, v90
	v_lshl_add_u32 v36, v92, 10, 0x2000
	s_delay_alu instid0(VALU_DEP_1) | instskip(NEXT) | instid1(VALU_DEP_1)
	v_and_or_b32 v7, 0x8000, v7, v36
	v_lshl_or_b32 v7, v35, 7, v7
	s_delay_alu instid0(VALU_DEP_1)
	v_cvt_f32_f16_e32 v109, v7
.LBB350_897:                            ;   in Loop: Header=BB350_16 Depth=1
	s_or_b32 exec_lo, exec_lo, s23
.LBB350_898:                            ;   in Loop: Header=BB350_16 Depth=1
	s_delay_alu instid0(SALU_CYCLE_1)
	s_or_b32 exec_lo, exec_lo, s22
.LBB350_899:                            ;   in Loop: Header=BB350_16 Depth=1
	s_delay_alu instid0(SALU_CYCLE_1) | instskip(SKIP_3) | instid1(VALU_DEP_2)
	s_or_b32 exec_lo, exec_lo, s21
	v_lshrrev_b32_e32 v90, 16, v34
	v_mov_b32_e32 v35, 0
	s_mov_b32 s21, exec_lo
	v_dual_mov_b32 v120, 0 :: v_dual_and_b32 v7, 0xff, v90
	s_delay_alu instid0(VALU_DEP_1)
	v_cmpx_ne_u16_e32 0, v7
	s_cbranch_execz .LBB350_907
; %bb.900:                              ;   in Loop: Header=BB350_16 Depth=1
	v_bfrev_b32_e32 v35, 1
	s_mov_b32 s22, exec_lo
	v_cmpx_ne_u16_e32 0x80, v7
	s_cbranch_execz .LBB350_906
; %bb.901:                              ;   in Loop: Header=BB350_16 Depth=1
	v_bfe_u32 v93, v34, 16, 7
	v_mov_b32_e32 v35, 0x7fc02000
	s_mov_b32 s23, exec_lo
	s_delay_alu instid0(VALU_DEP_2)
	v_cmpx_ne_u32_e32 0x7f, v93
	s_cbranch_execz .LBB350_905
; %bb.902:                              ;   in Loop: Header=BB350_16 Depth=1
	v_and_b32_e32 v7, 7, v90
	v_lshrrev_b32_e32 v92, 3, v93
	v_mov_b32_e32 v36, v8
	s_mov_b32 s24, exec_lo
	s_delay_alu instid0(VALU_DEP_3)
	v_mov_b32_e32 v35, v7
	v_cmpx_gt_u32_e32 8, v93
; %bb.903:                              ;   in Loop: Header=BB350_16 Depth=1
	v_clz_i32_u32_e32 v35, v7
	s_delay_alu instid0(VALU_DEP_1) | instskip(NEXT) | instid1(VALU_DEP_1)
	v_min_u32_e32 v92, 32, v35
	v_subrev_nc_u32_e32 v35, 28, v92
	v_sub_nc_u32_e32 v92, 29, v92
	s_delay_alu instid0(VALU_DEP_2) | instskip(NEXT) | instid1(VALU_DEP_1)
	v_lshlrev_b64 v[35:36], v35, v[7:8]
	v_and_b32_e32 v35, 7, v35
; %bb.904:                              ;   in Loop: Header=BB350_16 Depth=1
	s_or_b32 exec_lo, exec_lo, s24
	v_lshlrev_b32_e32 v7, 8, v90
	v_lshl_add_u32 v36, v92, 10, 0x2000
	s_delay_alu instid0(VALU_DEP_1) | instskip(NEXT) | instid1(VALU_DEP_1)
	v_and_or_b32 v7, 0x8000, v7, v36
	v_lshl_or_b32 v7, v35, 7, v7
	s_delay_alu instid0(VALU_DEP_1)
	v_cvt_f32_f16_e32 v35, v7
.LBB350_905:                            ;   in Loop: Header=BB350_16 Depth=1
	s_or_b32 exec_lo, exec_lo, s23
.LBB350_906:                            ;   in Loop: Header=BB350_16 Depth=1
	s_delay_alu instid0(SALU_CYCLE_1)
	s_or_b32 exec_lo, exec_lo, s22
.LBB350_907:                            ;   in Loop: Header=BB350_16 Depth=1
	s_delay_alu instid0(SALU_CYCLE_1) | instskip(NEXT) | instid1(SALU_CYCLE_1)
	s_or_b32 exec_lo, exec_lo, s21
	s_mov_b32 s21, exec_lo
	v_cmpx_lt_u64_e64 s[8:9], v[33:34]
	s_cbranch_execz .LBB350_915
; %bb.908:                              ;   in Loop: Header=BB350_16 Depth=1
	v_lshrrev_b32_e32 v36, 24, v34
	v_bfrev_b32_e32 v120, 1
	s_mov_b32 s22, exec_lo
	s_delay_alu instid0(VALU_DEP_2)
	v_cmpx_ne_u32_e32 0x80, v36
	s_cbranch_execz .LBB350_914
; %bb.909:                              ;   in Loop: Header=BB350_16 Depth=1
	v_and_b32_e32 v92, 0x7f, v36
	v_mov_b32_e32 v120, 0x7fc02000
	s_mov_b32 s23, exec_lo
	s_delay_alu instid0(VALU_DEP_2)
	v_cmpx_ne_u32_e32 0x7f, v92
	s_cbranch_execz .LBB350_913
; %bb.910:                              ;   in Loop: Header=BB350_16 Depth=1
	v_and_b32_e32 v7, 7, v36
	v_lshrrev_b32_e32 v90, 3, v92
	v_mov_b32_e32 v34, v8
	s_mov_b32 s24, exec_lo
	s_delay_alu instid0(VALU_DEP_3)
	v_mov_b32_e32 v33, v7
	v_cmpx_gt_u32_e32 8, v92
; %bb.911:                              ;   in Loop: Header=BB350_16 Depth=1
	v_clz_i32_u32_e32 v33, v7
	s_delay_alu instid0(VALU_DEP_1) | instskip(NEXT) | instid1(VALU_DEP_1)
	v_min_u32_e32 v90, 32, v33
	v_subrev_nc_u32_e32 v33, 28, v90
	v_sub_nc_u32_e32 v90, 29, v90
	s_delay_alu instid0(VALU_DEP_2) | instskip(NEXT) | instid1(VALU_DEP_1)
	v_lshlrev_b64 v[33:34], v33, v[7:8]
	v_and_b32_e32 v33, 7, v33
; %bb.912:                              ;   in Loop: Header=BB350_16 Depth=1
	s_or_b32 exec_lo, exec_lo, s24
	v_lshlrev_b32_e32 v7, 8, v36
	v_lshl_add_u32 v34, v90, 10, 0x2000
	s_delay_alu instid0(VALU_DEP_1) | instskip(NEXT) | instid1(VALU_DEP_1)
	v_and_or_b32 v7, 0x8000, v7, v34
	v_lshl_or_b32 v7, v33, 7, v7
	s_delay_alu instid0(VALU_DEP_1)
	v_cvt_f32_f16_e32 v120, v7
.LBB350_913:                            ;   in Loop: Header=BB350_16 Depth=1
	s_or_b32 exec_lo, exec_lo, s23
.LBB350_914:                            ;   in Loop: Header=BB350_16 Depth=1
	s_delay_alu instid0(SALU_CYCLE_1)
	s_or_b32 exec_lo, exec_lo, s22
.LBB350_915:                            ;   in Loop: Header=BB350_16 Depth=1
	s_delay_alu instid0(SALU_CYCLE_1)
	s_or_b32 exec_lo, exec_lo, s21
	flat_load_b64 v[31:32], v[31:32] offset:3584
	v_mov_b32_e32 v159, 0
	s_mov_b32 s21, exec_lo
	s_waitcnt vmcnt(0) lgkmcnt(0)
	v_dual_mov_b32 v158, 0 :: v_dual_and_b32 v7, 0xff, v31
	s_delay_alu instid0(VALU_DEP_1)
	v_cmpx_ne_u16_e32 0, v7
	s_cbranch_execz .LBB350_923
; %bb.916:                              ;   in Loop: Header=BB350_16 Depth=1
	v_bfrev_b32_e32 v158, 1
	s_mov_b32 s22, exec_lo
	v_cmpx_ne_u16_e32 0x80, v7
	s_cbranch_execz .LBB350_922
; %bb.917:                              ;   in Loop: Header=BB350_16 Depth=1
	v_and_b32_e32 v33, 0x7f, v31
	v_mov_b32_e32 v158, 0x7fc02000
	s_mov_b32 s23, exec_lo
	s_delay_alu instid0(VALU_DEP_2)
	v_cmpx_ne_u32_e32 0x7f, v33
	s_cbranch_execz .LBB350_921
; %bb.918:                              ;   in Loop: Header=BB350_16 Depth=1
	v_lshrrev_b32_e32 v7, 3, v33
	v_cmp_gt_u32_e64 s1, 8, v33
	v_dual_mov_b32 v34, v32 :: v_dual_mov_b32 v33, v31
	s_delay_alu instid0(VALU_DEP_2)
	s_and_saveexec_b32 s24, s1
; %bb.919:                              ;   in Loop: Header=BB350_16 Depth=1
	v_and_b32_e32 v7, 7, v31
	s_delay_alu instid0(VALU_DEP_1) | instskip(NEXT) | instid1(VALU_DEP_1)
	v_clz_i32_u32_e32 v7, v7
	v_min_u32_e32 v7, 32, v7
	s_delay_alu instid0(VALU_DEP_1) | instskip(SKIP_1) | instid1(VALU_DEP_2)
	v_subrev_nc_u32_e32 v33, 28, v7
	v_sub_nc_u32_e32 v7, 29, v7
	v_lshlrev_b64 v[33:34], v33, v[31:32]
; %bb.920:                              ;   in Loop: Header=BB350_16 Depth=1
	s_or_b32 exec_lo, exec_lo, s24
	v_lshlrev_b32_e32 v34, 8, v31
	s_delay_alu instid0(VALU_DEP_3) | instskip(NEXT) | instid1(VALU_DEP_3)
	v_lshl_add_u32 v7, v7, 10, 0x2000
	v_lshlrev_b32_e32 v33, 7, v33
	s_delay_alu instid0(VALU_DEP_2) | instskip(NEXT) | instid1(VALU_DEP_1)
	v_and_or_b32 v7, 0x8000, v34, v7
	v_and_or_b32 v7, 0x380, v33, v7
	s_delay_alu instid0(VALU_DEP_1)
	v_cvt_f32_f16_e64 v158, v7
.LBB350_921:                            ;   in Loop: Header=BB350_16 Depth=1
	s_or_b32 exec_lo, exec_lo, s23
.LBB350_922:                            ;   in Loop: Header=BB350_16 Depth=1
	s_delay_alu instid0(SALU_CYCLE_1)
	s_or_b32 exec_lo, exec_lo, s22
.LBB350_923:                            ;   in Loop: Header=BB350_16 Depth=1
	s_delay_alu instid0(SALU_CYCLE_1) | instskip(SKIP_2) | instid1(VALU_DEP_1)
	s_or_b32 exec_lo, exec_lo, s21
	v_lshrrev_b16 v7, 8, v31
	s_mov_b32 s21, exec_lo
	v_cmpx_ne_u16_e32 0, v7
	s_cbranch_execz .LBB350_931
; %bb.924:                              ;   in Loop: Header=BB350_16 Depth=1
	v_bfrev_b32_e32 v159, 1
	s_mov_b32 s22, exec_lo
	v_cmpx_ne_u16_e32 0x80, v7
	s_cbranch_execz .LBB350_930
; %bb.925:                              ;   in Loop: Header=BB350_16 Depth=1
	v_and_b32_e32 v36, 0xffff, v7
	v_mov_b32_e32 v159, 0x7fc02000
	s_mov_b32 s23, exec_lo
	s_delay_alu instid0(VALU_DEP_2) | instskip(NEXT) | instid1(VALU_DEP_1)
	v_and_b32_e32 v92, 0x7f, v36
	v_cmpx_ne_u32_e32 0x7f, v92
	s_cbranch_execz .LBB350_929
; %bb.926:                              ;   in Loop: Header=BB350_16 Depth=1
	v_and_b32_e32 v7, 7, v36
	v_lshrrev_b32_e32 v90, 3, v92
	v_mov_b32_e32 v34, v8
	s_mov_b32 s24, exec_lo
	s_delay_alu instid0(VALU_DEP_3)
	v_mov_b32_e32 v33, v7
	v_cmpx_gt_u32_e32 8, v92
; %bb.927:                              ;   in Loop: Header=BB350_16 Depth=1
	v_clz_i32_u32_e32 v33, v7
	s_delay_alu instid0(VALU_DEP_1) | instskip(NEXT) | instid1(VALU_DEP_1)
	v_min_u32_e32 v90, 32, v33
	v_subrev_nc_u32_e32 v33, 28, v90
	v_sub_nc_u32_e32 v90, 29, v90
	s_delay_alu instid0(VALU_DEP_2) | instskip(NEXT) | instid1(VALU_DEP_1)
	v_lshlrev_b64 v[33:34], v33, v[7:8]
	v_and_b32_e32 v33, 7, v33
; %bb.928:                              ;   in Loop: Header=BB350_16 Depth=1
	s_or_b32 exec_lo, exec_lo, s24
	v_lshlrev_b32_e32 v7, 8, v36
	v_lshl_add_u32 v34, v90, 10, 0x2000
	s_delay_alu instid0(VALU_DEP_1) | instskip(NEXT) | instid1(VALU_DEP_1)
	v_and_or_b32 v7, 0x8000, v7, v34
	v_lshl_or_b32 v7, v33, 7, v7
	s_delay_alu instid0(VALU_DEP_1)
	v_cvt_f32_f16_e64 v159, v7
.LBB350_929:                            ;   in Loop: Header=BB350_16 Depth=1
	s_or_b32 exec_lo, exec_lo, s23
.LBB350_930:                            ;   in Loop: Header=BB350_16 Depth=1
	s_delay_alu instid0(SALU_CYCLE_1)
	s_or_b32 exec_lo, exec_lo, s22
.LBB350_931:                            ;   in Loop: Header=BB350_16 Depth=1
	s_delay_alu instid0(SALU_CYCLE_1) | instskip(SKIP_3) | instid1(VALU_DEP_2)
	s_or_b32 exec_lo, exec_lo, s21
	v_lshrrev_b32_e32 v36, 16, v31
	v_mov_b32_e32 v169, 0
	s_mov_b32 s21, exec_lo
	v_dual_mov_b32 v168, 0 :: v_dual_and_b32 v7, 0xff, v36
	s_delay_alu instid0(VALU_DEP_1)
	v_cmpx_ne_u16_e32 0, v7
	s_cbranch_execz .LBB350_939
; %bb.932:                              ;   in Loop: Header=BB350_16 Depth=1
	v_bfrev_b32_e32 v168, 1
	s_mov_b32 s22, exec_lo
	v_cmpx_ne_u16_e32 0x80, v7
	s_cbranch_execz .LBB350_938
; %bb.933:                              ;   in Loop: Header=BB350_16 Depth=1
	v_bfe_u32 v92, v31, 16, 7
	v_mov_b32_e32 v168, 0x7fc02000
	s_mov_b32 s23, exec_lo
	s_delay_alu instid0(VALU_DEP_2)
	v_cmpx_ne_u32_e32 0x7f, v92
	s_cbranch_execz .LBB350_937
; %bb.934:                              ;   in Loop: Header=BB350_16 Depth=1
	v_and_b32_e32 v7, 7, v36
	v_lshrrev_b32_e32 v90, 3, v92
	v_mov_b32_e32 v34, v8
	s_mov_b32 s24, exec_lo
	s_delay_alu instid0(VALU_DEP_3)
	v_mov_b32_e32 v33, v7
	v_cmpx_gt_u32_e32 8, v92
; %bb.935:                              ;   in Loop: Header=BB350_16 Depth=1
	v_clz_i32_u32_e32 v33, v7
	s_delay_alu instid0(VALU_DEP_1) | instskip(NEXT) | instid1(VALU_DEP_1)
	v_min_u32_e32 v90, 32, v33
	v_subrev_nc_u32_e32 v33, 28, v90
	v_sub_nc_u32_e32 v90, 29, v90
	s_delay_alu instid0(VALU_DEP_2) | instskip(NEXT) | instid1(VALU_DEP_1)
	v_lshlrev_b64 v[33:34], v33, v[7:8]
	v_and_b32_e32 v33, 7, v33
; %bb.936:                              ;   in Loop: Header=BB350_16 Depth=1
	s_or_b32 exec_lo, exec_lo, s24
	v_lshlrev_b32_e32 v7, 8, v36
	v_lshl_add_u32 v34, v90, 10, 0x2000
	s_delay_alu instid0(VALU_DEP_1) | instskip(NEXT) | instid1(VALU_DEP_1)
	v_and_or_b32 v7, 0x8000, v7, v34
	v_lshl_or_b32 v7, v33, 7, v7
	s_delay_alu instid0(VALU_DEP_1)
	v_cvt_f32_f16_e64 v168, v7
.LBB350_937:                            ;   in Loop: Header=BB350_16 Depth=1
	s_or_b32 exec_lo, exec_lo, s23
.LBB350_938:                            ;   in Loop: Header=BB350_16 Depth=1
	s_delay_alu instid0(SALU_CYCLE_1)
	s_or_b32 exec_lo, exec_lo, s22
.LBB350_939:                            ;   in Loop: Header=BB350_16 Depth=1
	s_delay_alu instid0(SALU_CYCLE_1) | instskip(NEXT) | instid1(SALU_CYCLE_1)
	s_or_b32 exec_lo, exec_lo, s21
	s_mov_b32 s21, exec_lo
	v_cmpx_lt_u32_e32 0xffffff, v31
	s_cbranch_execz .LBB350_947
; %bb.940:                              ;   in Loop: Header=BB350_16 Depth=1
	v_lshrrev_b32_e32 v36, 24, v31
	v_bfrev_b32_e32 v169, 1
	s_mov_b32 s22, exec_lo
	s_delay_alu instid0(VALU_DEP_2)
	v_cmpx_ne_u32_e32 0x80, v36
	s_cbranch_execz .LBB350_946
; %bb.941:                              ;   in Loop: Header=BB350_16 Depth=1
	v_and_b32_e32 v92, 0x7f, v36
	v_mov_b32_e32 v169, 0x7fc02000
	s_mov_b32 s23, exec_lo
	s_delay_alu instid0(VALU_DEP_2)
	v_cmpx_ne_u32_e32 0x7f, v92
	s_cbranch_execz .LBB350_945
; %bb.942:                              ;   in Loop: Header=BB350_16 Depth=1
	v_and_b32_e32 v7, 7, v36
	v_lshrrev_b32_e32 v90, 3, v92
	v_mov_b32_e32 v34, v8
	s_mov_b32 s24, exec_lo
	s_delay_alu instid0(VALU_DEP_3)
	v_mov_b32_e32 v33, v7
	v_cmpx_gt_u32_e32 8, v92
; %bb.943:                              ;   in Loop: Header=BB350_16 Depth=1
	v_clz_i32_u32_e32 v33, v7
	s_delay_alu instid0(VALU_DEP_1) | instskip(NEXT) | instid1(VALU_DEP_1)
	v_min_u32_e32 v90, 32, v33
	v_subrev_nc_u32_e32 v33, 28, v90
	v_sub_nc_u32_e32 v90, 29, v90
	s_delay_alu instid0(VALU_DEP_2) | instskip(NEXT) | instid1(VALU_DEP_1)
	v_lshlrev_b64 v[33:34], v33, v[7:8]
	v_and_b32_e32 v33, 7, v33
; %bb.944:                              ;   in Loop: Header=BB350_16 Depth=1
	s_or_b32 exec_lo, exec_lo, s24
	v_lshlrev_b32_e32 v7, 8, v36
	v_lshl_add_u32 v34, v90, 10, 0x2000
	s_delay_alu instid0(VALU_DEP_1) | instskip(NEXT) | instid1(VALU_DEP_1)
	v_and_or_b32 v7, 0x8000, v7, v34
	v_lshl_or_b32 v7, v33, 7, v7
	s_delay_alu instid0(VALU_DEP_1)
	v_cvt_f32_f16_e64 v169, v7
.LBB350_945:                            ;   in Loop: Header=BB350_16 Depth=1
	s_or_b32 exec_lo, exec_lo, s23
.LBB350_946:                            ;   in Loop: Header=BB350_16 Depth=1
	s_delay_alu instid0(SALU_CYCLE_1)
	s_or_b32 exec_lo, exec_lo, s22
.LBB350_947:                            ;   in Loop: Header=BB350_16 Depth=1
	s_delay_alu instid0(SALU_CYCLE_1) | instskip(SKIP_4) | instid1(VALU_DEP_3)
	s_or_b32 exec_lo, exec_lo, s21
	v_dual_mov_b32 v172, 0 :: v_dual_and_b32 v33, 0xff, v32
	v_mov_b32_e32 v7, v32
	v_mov_b32_e32 v173, 0
	s_mov_b32 s21, exec_lo
	v_cmpx_ne_u16_e32 0, v33
	s_cbranch_execz .LBB350_955
; %bb.948:                              ;   in Loop: Header=BB350_16 Depth=1
	v_bfrev_b32_e32 v172, 1
	s_mov_b32 s22, exec_lo
	v_cmpx_ne_u16_e32 0x80, v33
	s_cbranch_execz .LBB350_954
; %bb.949:                              ;   in Loop: Header=BB350_16 Depth=1
	v_and_b32_e32 v36, 0x7f, v32
	v_mov_b32_e32 v172, 0x7fc02000
	s_mov_b32 s23, exec_lo
	s_delay_alu instid0(VALU_DEP_2)
	v_cmpx_ne_u32_e32 0x7f, v36
	s_cbranch_execz .LBB350_953
; %bb.950:                              ;   in Loop: Header=BB350_16 Depth=1
	v_dual_mov_b32 v34, v8 :: v_dual_mov_b32 v33, v7
	v_lshrrev_b32_e32 v34, 3, v36
	s_mov_b32 s24, exec_lo
	v_cmpx_gt_u32_e32 8, v36
; %bb.951:                              ;   in Loop: Header=BB350_16 Depth=1
	v_and_b32_e32 v33, 7, v32
	s_delay_alu instid0(VALU_DEP_1) | instskip(NEXT) | instid1(VALU_DEP_1)
	v_clz_i32_u32_e32 v33, v33
	v_min_u32_e32 v36, 32, v33
	s_delay_alu instid0(VALU_DEP_1) | instskip(NEXT) | instid1(VALU_DEP_1)
	v_subrev_nc_u32_e32 v33, 28, v36
	v_lshlrev_b64 v[33:34], v33, v[7:8]
	v_sub_nc_u32_e32 v34, 29, v36
; %bb.952:                              ;   in Loop: Header=BB350_16 Depth=1
	s_or_b32 exec_lo, exec_lo, s24
	v_lshlrev_b32_e32 v36, 8, v32
	s_delay_alu instid0(VALU_DEP_2) | instskip(NEXT) | instid1(VALU_DEP_4)
	v_lshl_add_u32 v34, v34, 10, 0x2000
	v_lshlrev_b32_e32 v33, 7, v33
	s_delay_alu instid0(VALU_DEP_2) | instskip(NEXT) | instid1(VALU_DEP_1)
	v_and_or_b32 v34, 0x8000, v36, v34
	v_and_or_b32 v33, 0x380, v33, v34
	s_delay_alu instid0(VALU_DEP_1)
	v_cvt_f32_f16_e64 v172, v33
.LBB350_953:                            ;   in Loop: Header=BB350_16 Depth=1
	s_or_b32 exec_lo, exec_lo, s23
.LBB350_954:                            ;   in Loop: Header=BB350_16 Depth=1
	s_delay_alu instid0(SALU_CYCLE_1)
	s_or_b32 exec_lo, exec_lo, s22
.LBB350_955:                            ;   in Loop: Header=BB350_16 Depth=1
	s_delay_alu instid0(SALU_CYCLE_1) | instskip(SKIP_2) | instid1(VALU_DEP_1)
	s_or_b32 exec_lo, exec_lo, s21
	v_lshrrev_b16 v7, 8, v7
	s_mov_b32 s21, exec_lo
	v_cmpx_ne_u16_e32 0, v7
	s_cbranch_execz .LBB350_963
; %bb.956:                              ;   in Loop: Header=BB350_16 Depth=1
	v_bfrev_b32_e32 v173, 1
	s_mov_b32 s22, exec_lo
	v_cmpx_ne_u16_e32 0x80, v7
	s_cbranch_execz .LBB350_962
; %bb.957:                              ;   in Loop: Header=BB350_16 Depth=1
	v_and_b32_e32 v36, 0xffff, v7
	v_mov_b32_e32 v173, 0x7fc02000
	s_mov_b32 s23, exec_lo
	s_delay_alu instid0(VALU_DEP_2) | instskip(NEXT) | instid1(VALU_DEP_1)
	v_and_b32_e32 v92, 0x7f, v36
	v_cmpx_ne_u32_e32 0x7f, v92
	s_cbranch_execz .LBB350_961
; %bb.958:                              ;   in Loop: Header=BB350_16 Depth=1
	v_and_b32_e32 v7, 7, v36
	v_lshrrev_b32_e32 v90, 3, v92
	v_mov_b32_e32 v34, v8
	s_mov_b32 s24, exec_lo
	s_delay_alu instid0(VALU_DEP_3)
	v_mov_b32_e32 v33, v7
	v_cmpx_gt_u32_e32 8, v92
; %bb.959:                              ;   in Loop: Header=BB350_16 Depth=1
	v_clz_i32_u32_e32 v33, v7
	s_delay_alu instid0(VALU_DEP_1) | instskip(NEXT) | instid1(VALU_DEP_1)
	v_min_u32_e32 v90, 32, v33
	v_subrev_nc_u32_e32 v33, 28, v90
	v_sub_nc_u32_e32 v90, 29, v90
	s_delay_alu instid0(VALU_DEP_2) | instskip(NEXT) | instid1(VALU_DEP_1)
	v_lshlrev_b64 v[33:34], v33, v[7:8]
	v_and_b32_e32 v33, 7, v33
; %bb.960:                              ;   in Loop: Header=BB350_16 Depth=1
	s_or_b32 exec_lo, exec_lo, s24
	v_lshlrev_b32_e32 v7, 8, v36
	v_lshl_add_u32 v34, v90, 10, 0x2000
	s_delay_alu instid0(VALU_DEP_1) | instskip(NEXT) | instid1(VALU_DEP_1)
	v_and_or_b32 v7, 0x8000, v7, v34
	v_lshl_or_b32 v7, v33, 7, v7
	s_delay_alu instid0(VALU_DEP_1)
	v_cvt_f32_f16_e64 v173, v7
.LBB350_961:                            ;   in Loop: Header=BB350_16 Depth=1
	s_or_b32 exec_lo, exec_lo, s23
.LBB350_962:                            ;   in Loop: Header=BB350_16 Depth=1
	s_delay_alu instid0(SALU_CYCLE_1)
	s_or_b32 exec_lo, exec_lo, s22
.LBB350_963:                            ;   in Loop: Header=BB350_16 Depth=1
	s_delay_alu instid0(SALU_CYCLE_1) | instskip(SKIP_3) | instid1(VALU_DEP_2)
	s_or_b32 exec_lo, exec_lo, s21
	v_lshrrev_b32_e32 v36, 16, v32
	v_mov_b32_e32 v33, 0
	s_mov_b32 s21, exec_lo
	v_dual_mov_b32 v174, 0 :: v_dual_and_b32 v7, 0xff, v36
	s_delay_alu instid0(VALU_DEP_1)
	v_cmpx_ne_u16_e32 0, v7
	s_cbranch_execz .LBB350_971
; %bb.964:                              ;   in Loop: Header=BB350_16 Depth=1
	v_bfrev_b32_e32 v33, 1
	s_mov_b32 s22, exec_lo
	v_cmpx_ne_u16_e32 0x80, v7
	s_cbranch_execz .LBB350_970
; %bb.965:                              ;   in Loop: Header=BB350_16 Depth=1
	v_bfe_u32 v92, v32, 16, 7
	v_mov_b32_e32 v33, 0x7fc02000
	s_mov_b32 s23, exec_lo
	s_delay_alu instid0(VALU_DEP_2)
	v_cmpx_ne_u32_e32 0x7f, v92
	s_cbranch_execz .LBB350_969
; %bb.966:                              ;   in Loop: Header=BB350_16 Depth=1
	v_and_b32_e32 v7, 7, v36
	v_lshrrev_b32_e32 v90, 3, v92
	v_mov_b32_e32 v34, v8
	s_mov_b32 s24, exec_lo
	s_delay_alu instid0(VALU_DEP_3)
	v_mov_b32_e32 v33, v7
	v_cmpx_gt_u32_e32 8, v92
; %bb.967:                              ;   in Loop: Header=BB350_16 Depth=1
	v_clz_i32_u32_e32 v33, v7
	s_delay_alu instid0(VALU_DEP_1) | instskip(NEXT) | instid1(VALU_DEP_1)
	v_min_u32_e32 v90, 32, v33
	v_subrev_nc_u32_e32 v33, 28, v90
	v_sub_nc_u32_e32 v90, 29, v90
	s_delay_alu instid0(VALU_DEP_2) | instskip(NEXT) | instid1(VALU_DEP_1)
	v_lshlrev_b64 v[33:34], v33, v[7:8]
	v_and_b32_e32 v33, 7, v33
; %bb.968:                              ;   in Loop: Header=BB350_16 Depth=1
	s_or_b32 exec_lo, exec_lo, s24
	v_lshlrev_b32_e32 v7, 8, v36
	v_lshl_add_u32 v34, v90, 10, 0x2000
	s_delay_alu instid0(VALU_DEP_1) | instskip(NEXT) | instid1(VALU_DEP_1)
	v_and_or_b32 v7, 0x8000, v7, v34
	v_lshl_or_b32 v7, v33, 7, v7
	s_delay_alu instid0(VALU_DEP_1)
	v_cvt_f32_f16_e32 v33, v7
.LBB350_969:                            ;   in Loop: Header=BB350_16 Depth=1
	s_or_b32 exec_lo, exec_lo, s23
.LBB350_970:                            ;   in Loop: Header=BB350_16 Depth=1
	s_delay_alu instid0(SALU_CYCLE_1)
	s_or_b32 exec_lo, exec_lo, s22
.LBB350_971:                            ;   in Loop: Header=BB350_16 Depth=1
	s_delay_alu instid0(SALU_CYCLE_1) | instskip(NEXT) | instid1(SALU_CYCLE_1)
	s_or_b32 exec_lo, exec_lo, s21
	s_mov_b32 s21, exec_lo
	v_cmpx_lt_u64_e64 s[8:9], v[31:32]
	s_cbranch_execz .LBB350_14
; %bb.972:                              ;   in Loop: Header=BB350_16 Depth=1
	v_lshrrev_b32_e32 v34, 24, v32
	v_bfrev_b32_e32 v174, 1
	s_mov_b32 s22, exec_lo
	s_delay_alu instid0(VALU_DEP_2)
	v_cmpx_ne_u32_e32 0x80, v34
	s_cbranch_execz .LBB350_13
; %bb.973:                              ;   in Loop: Header=BB350_16 Depth=1
	v_and_b32_e32 v90, 0x7f, v34
	v_mov_b32_e32 v174, 0x7fc02000
	s_mov_b32 s23, exec_lo
	s_delay_alu instid0(VALU_DEP_2)
	v_cmpx_ne_u32_e32 0x7f, v90
	s_cbranch_execz .LBB350_12
; %bb.974:                              ;   in Loop: Header=BB350_16 Depth=1
	v_and_b32_e32 v7, 7, v34
	v_lshrrev_b32_e32 v36, 3, v90
	v_mov_b32_e32 v32, v8
	s_mov_b32 s24, exec_lo
	s_delay_alu instid0(VALU_DEP_3)
	v_mov_b32_e32 v31, v7
	v_cmpx_gt_u32_e32 8, v90
	s_cbranch_execz .LBB350_11
; %bb.975:                              ;   in Loop: Header=BB350_16 Depth=1
	v_clz_i32_u32_e32 v31, v7
	s_delay_alu instid0(VALU_DEP_1) | instskip(NEXT) | instid1(VALU_DEP_1)
	v_min_u32_e32 v36, 32, v31
	v_subrev_nc_u32_e32 v31, 28, v36
	v_sub_nc_u32_e32 v36, 29, v36
	s_delay_alu instid0(VALU_DEP_2) | instskip(NEXT) | instid1(VALU_DEP_1)
	v_lshlrev_b64 v[31:32], v31, v[7:8]
	v_and_b32_e32 v31, 7, v31
	s_branch .LBB350_11
.LBB350_976:
	s_or_b32 exec_lo, exec_lo, s20
.LBB350_977:
	s_delay_alu instid0(SALU_CYCLE_1) | instskip(SKIP_4) | instid1(VALU_DEP_2)
	s_or_b32 exec_lo, exec_lo, s19
	v_mbcnt_lo_u32_b32 v7, -1, 0
	s_waitcnt lgkmcnt(0)
	s_lshr_b32 s8, s18, 16
	v_max_f32_e32 v20, v67, v67
	v_xor_b32_e32 v8, 16, v7
	v_xor_b32_e32 v13, 8, v7
	v_xor_b32_e32 v21, 4, v7
	v_xor_b32_e32 v25, 1, v7
	s_delay_alu instid0(VALU_DEP_4) | instskip(SKIP_4) | instid1(VALU_DEP_2)
	v_cmp_gt_i32_e32 vcc_lo, 32, v8
	v_cndmask_b32_e32 v8, v7, v8, vcc_lo
	v_cmp_gt_i32_e32 vcc_lo, 32, v13
	v_cndmask_b32_e32 v13, v7, v13, vcc_lo
	v_cmp_gt_i32_e32 vcc_lo, 32, v21
	v_lshlrev_b32_e32 v13, 2, v13
	v_lshlrev_b32_e32 v9, 2, v8
	v_cndmask_b32_e32 v21, v7, v21, vcc_lo
	ds_bpermute_b32 v8, v9, v67
	v_lshlrev_b32_e32 v24, 2, v21
	v_xor_b32_e32 v21, 2, v7
	s_delay_alu instid0(VALU_DEP_1) | instskip(SKIP_2) | instid1(VALU_DEP_2)
	v_cmp_gt_i32_e32 vcc_lo, 32, v21
	v_cndmask_b32_e32 v21, v7, v21, vcc_lo
	v_cmp_gt_i32_e32 vcc_lo, 32, v25
	v_lshlrev_b32_e32 v21, 2, v21
	v_cndmask_b32_e32 v25, v7, v25, vcc_lo
	v_cmp_eq_u32_e32 vcc_lo, 0, v48
	s_waitcnt lgkmcnt(0)
	v_max_f32_e32 v8, v8, v8
	s_delay_alu instid0(VALU_DEP_1) | instskip(SKIP_3) | instid1(VALU_DEP_1)
	v_max_f32_e32 v8, v20, v8
	ds_bpermute_b32 v20, v13, v8
	s_waitcnt lgkmcnt(0)
	v_max_f32_e32 v20, v20, v20
	v_max_f32_e32 v8, v8, v20
	ds_bpermute_b32 v20, v24, v8
	s_waitcnt lgkmcnt(0)
	v_max_f32_e32 v20, v20, v20
	s_delay_alu instid0(VALU_DEP_1) | instskip(SKIP_3) | instid1(VALU_DEP_1)
	v_max_f32_e32 v8, v8, v20
	ds_bpermute_b32 v20, v21, v8
	s_waitcnt lgkmcnt(0)
	v_max_f32_e32 v20, v20, v20
	v_dual_max_f32 v7, v8, v20 :: v_dual_lshlrev_b32 v20, 2, v25
	v_lshlrev_b32_e32 v25, 2, v39
	ds_bpermute_b32 v8, v20, v7
	s_and_saveexec_b32 s1, vcc_lo
	s_cbranch_execz .LBB350_979
; %bb.978:
	s_waitcnt lgkmcnt(0)
	v_dual_max_f32 v8, v8, v8 :: v_dual_max_f32 v7, v7, v7
	s_delay_alu instid0(VALU_DEP_1)
	v_max_f32_e32 v7, v7, v8
	ds_store_b32 v25, v7 offset:240
.LBB350_979:
	s_or_b32 exec_lo, exec_lo, s1
	v_cmp_gt_u32_e64 s1, 4, v48
	v_mov_b32_e32 v7, 0xff7fffff
	s_waitcnt lgkmcnt(0)
	s_barrier
	buffer_gl0_inv
	s_and_saveexec_b32 s2, s1
	s_cbranch_execz .LBB350_981
; %bb.980:
	ds_load_b32 v7, v66 offset:240
.LBB350_981:
	s_or_b32 exec_lo, exec_lo, s2
	s_waitcnt lgkmcnt(0)
	ds_bpermute_b32 v8, v21, v7
	v_max_f32_e32 v7, v7, v7
	v_subrev_nc_u32_e32 v29, s13, v52
	v_mov_b32_e32 v28, 0
	s_waitcnt lgkmcnt(0)
	v_max_f32_e32 v8, v8, v8
	s_delay_alu instid0(VALU_DEP_1) | instskip(SKIP_3) | instid1(VALU_DEP_1)
	v_max_f32_e32 v7, v7, v8
	ds_bpermute_b32 v8, v20, v7
	s_waitcnt lgkmcnt(0)
	v_max_f32_e32 v8, v8, v8
	v_max_f32_e32 v7, v7, v8
	v_lshl_add_u32 v8, v29, 5, s3
	ds_bpermute_b32 v7, v28, v7
	v_min_i32_e32 v8, v8, v38
	s_delay_alu instid0(VALU_DEP_1) | instskip(NEXT) | instid1(VALU_DEP_1)
	v_subrev_nc_u32_e32 v8, s3, v8
	v_cmp_lt_i32_e64 s2, v37, v8
	s_delay_alu instid0(VALU_DEP_1)
	s_and_saveexec_b32 s9, s2
	s_cbranch_execz .LBB350_985
; %bb.982:
	s_getpc_b64 s[16:17]
	s_add_u32 s16, s16, llvm.amdgcn.dynlds.offset.table@rel32@lo+4
	s_addc_u32 s17, s17, llvm.amdgcn.dynlds.offset.table@rel32@hi+12
	s_ashr_i32 s7, s6, 31
	v_dual_mov_b32 v28, 0 :: v_dual_mov_b32 v31, v37
	s_lshl_b64 s[18:19], s[6:7], 2
	s_mov_b32 s7, 0
	s_add_u32 s16, s18, s16
	s_addc_u32 s17, s19, s17
	s_load_b32 s3, s[16:17], 0x0
	s_waitcnt lgkmcnt(0)
	v_lshl_add_u32 v29, v37, 2, s3
	.p2align	6
.LBB350_983:                            ; =>This Inner Loop Header: Depth=1
	ds_load_b32 v32, v29
	s_waitcnt lgkmcnt(0)
	v_sub_f32_e32 v32, v32, v7
	s_delay_alu instid0(VALU_DEP_1) | instskip(NEXT) | instid1(VALU_DEP_1)
	v_mul_f32_e32 v32, 0x3fb8aa3b, v32
	v_exp_f32_e32 v32, v32
	s_waitcnt_depctr 0xfff
	v_dual_add_f32 v28, v28, v32 :: v_dual_add_nc_u32 v31, 0x80, v31
	s_delay_alu instid0(VALU_DEP_1) | instskip(SKIP_3) | instid1(SALU_CYCLE_1)
	v_cmp_ge_i32_e64 s3, v31, v8
	ds_store_b32 v29, v32
	v_add_nc_u32_e32 v29, 0x200, v29
	s_or_b32 s7, s3, s7
	s_and_not1_b32 exec_lo, exec_lo, s7
	s_cbranch_execnz .LBB350_983
; %bb.984:
	s_or_b32 exec_lo, exec_lo, s7
.LBB350_985:
	s_delay_alu instid0(SALU_CYCLE_1)
	s_or_b32 exec_lo, exec_lo, s9
	ds_bpermute_b32 v9, v9, v28
	s_waitcnt lgkmcnt(0)
	v_add_f32_e32 v9, v28, v9
	ds_bpermute_b32 v13, v13, v9
	s_waitcnt lgkmcnt(0)
	v_add_f32_e32 v9, v9, v13
	;; [unrolled: 3-line block ×5, first 2 shown]
	s_and_saveexec_b32 s3, vcc_lo
	s_cbranch_execz .LBB350_987
; %bb.986:
	ds_store_b32 v25, v9 offset:256
.LBB350_987:
	s_or_b32 exec_lo, exec_lo, s3
	s_waitcnt lgkmcnt(0)
	s_barrier
	buffer_gl0_inv
	s_and_saveexec_b32 s3, s1
	s_cbranch_execz .LBB350_989
; %bb.988:
	ds_load_b32 v9, v66 offset:256
.LBB350_989:
	s_or_b32 exec_lo, exec_lo, s3
	s_waitcnt lgkmcnt(0)
	ds_bpermute_b32 v13, v21, v9
	s_waitcnt lgkmcnt(0)
	v_add_f32_e32 v9, v9, v13
	ds_bpermute_b32 v13, v20, v9
	s_waitcnt lgkmcnt(0)
	v_add_f32_e32 v9, v9, v13
	v_mov_b32_e32 v13, 0
	ds_bpermute_b32 v9, v13, v9
	s_and_saveexec_b32 s1, s2
	s_cbranch_execz .LBB350_992
; %bb.990:
	s_waitcnt lgkmcnt(0)
	v_add_f32_e32 v24, 0x358637bd, v9
	s_getpc_b64 s[2:3]
	s_add_u32 s2, s2, llvm.amdgcn.dynlds.offset.table@rel32@lo+4
	s_addc_u32 s3, s3, llvm.amdgcn.dynlds.offset.table@rel32@hi+12
	s_ashr_i32 s7, s6, 31
	s_delay_alu instid0(SALU_CYCLE_1) | instskip(SKIP_3) | instid1(VALU_DEP_2)
	s_lshl_b64 s[16:17], s[6:7], 2
	v_div_scale_f32 v13, null, v24, v24, 1.0
	v_div_scale_f32 v29, vcc_lo, 1.0, v24, 1.0
	s_add_u32 s2, s16, s2
	v_rcp_f32_e32 v25, v13
	s_addc_u32 s3, s17, s3
	s_load_b32 s2, s[2:3], 0x0
	s_waitcnt_depctr 0xfff
	v_fma_f32 v28, -v13, v25, 1.0
	s_delay_alu instid0(VALU_DEP_1) | instskip(NEXT) | instid1(VALU_DEP_1)
	v_fmac_f32_e32 v25, v28, v25
	v_mul_f32_e32 v28, v29, v25
	s_delay_alu instid0(VALU_DEP_1) | instskip(NEXT) | instid1(VALU_DEP_1)
	v_fma_f32 v31, -v13, v28, v29
	v_fmac_f32_e32 v28, v31, v25
	s_delay_alu instid0(VALU_DEP_1) | instskip(NEXT) | instid1(VALU_DEP_1)
	v_fma_f32 v13, -v13, v28, v29
	v_div_fmas_f32 v25, v13, v25, v28
	s_waitcnt lgkmcnt(0)
	v_lshl_add_u32 v13, v37, 2, s2
	s_mov_b32 s2, 0
	s_delay_alu instid0(VALU_DEP_2)
	v_div_fixup_f32 v24, v25, v24, 1.0
	v_mov_b32_e32 v25, v37
.LBB350_991:                            ; =>This Inner Loop Header: Depth=1
	ds_load_b32 v28, v13
	s_waitcnt lgkmcnt(0)
	v_dual_mul_f32 v28, v24, v28 :: v_dual_add_nc_u32 v25, 0x80, v25
	s_delay_alu instid0(VALU_DEP_1) | instskip(SKIP_3) | instid1(SALU_CYCLE_1)
	v_cmp_ge_i32_e32 vcc_lo, v25, v8
	ds_store_b32 v13, v28
	v_add_nc_u32_e32 v13, 0x200, v13
	s_or_b32 s2, vcc_lo, s2
	s_and_not1_b32 exec_lo, exec_lo, s2
	s_cbranch_execnz .LBB350_991
.LBB350_992:
	s_or_b32 exec_lo, exec_lo, s1
	v_cmp_ne_u16_e64 s1, s8, 0
	s_waitcnt lgkmcnt(0)
	s_barrier
	buffer_gl0_inv
	s_cmp_lg_u32 s1, 0
	s_addc_u32 s1, s5, 0
	s_mov_b32 s5, exec_lo
	s_mul_i32 s2, s1, s10
	s_delay_alu instid0(SALU_CYCLE_1)
	s_mul_i32 s2, s2, s15
	v_cmpx_eq_u32_e32 0, v37
	s_cbranch_execz .LBB350_994
; %bb.993:
	s_mul_i32 s8, s1, s12
	s_ashr_i32 s15, s14, 31
	s_ashr_i32 s9, s8, 31
	;; [unrolled: 1-line block ×3, first 2 shown]
	s_lshl_b64 s[8:9], s[8:9], 2
	s_lshl_b64 s[12:13], s[14:15], 2
	s_lshl_b64 s[16:17], s[2:3], 2
	s_add_u32 s3, s12, s8
	s_addc_u32 s7, s13, s9
	s_add_u32 s3, s3, s16
	s_addc_u32 s7, s7, s17
	v_add_co_u32 v2, vcc_lo, s3, v2
	v_add_co_ci_u32_e32 v3, vcc_lo, s7, v3, vcc_lo
	v_add_co_u32 v0, vcc_lo, s3, v0
	v_add_co_ci_u32_e32 v1, vcc_lo, s7, v1, vcc_lo
	flat_store_b32 v[2:3], v7
	flat_store_b32 v[0:1], v9
.LBB350_994:
	s_or_b32 exec_lo, exec_lo, s5
	s_ashr_i32 s7, s6, 31
	s_getpc_b64 s[8:9]
	s_add_u32 s8, s8, llvm.amdgcn.dynlds.offset.table@rel32@lo+4
	s_addc_u32 s9, s9, llvm.amdgcn.dynlds.offset.table@rel32@hi+12
	s_lshl_b64 s[6:7], s[6:7], 2
	v_dual_mov_b32 v69, 0 :: v_dual_and_b32 v24, 3, v37
	v_dual_mov_b32 v70, 0 :: v_dual_mov_b32 v67, 0
	v_dual_mov_b32 v68, 0 :: v_dual_mov_b32 v65, 0
	v_dual_mov_b32 v66, 0 :: v_dual_mov_b32 v35, 0
	v_dual_mov_b32 v36, 0 :: v_dual_mov_b32 v33, 0
	v_dual_mov_b32 v34, 0 :: v_dual_mov_b32 v31, 0
	v_dual_mov_b32 v32, 0 :: v_dual_mov_b32 v29, 0
	v_dual_mov_b32 v28, 0 :: v_dual_mov_b32 v25, 0
	s_add_u32 s6, s6, s8
	s_addc_u32 s7, s7, s9
	s_mov_b32 s5, 0
	s_and_saveexec_b32 s3, s0
	s_cbranch_execz .LBB350_1990
; %bb.995:
	v_max_i32_e32 v30, v30, v55
	v_add_co_u32 v7, vcc_lo, v10, v12
	v_add_co_ci_u32_e32 v8, vcc_lo, v11, v64, vcc_lo
	s_delay_alu instid0(VALU_DEP_3)
	v_cvt_f32_u32_e32 v1, v30
	v_sub_nc_u32_e32 v11, 0, v30
	s_load_b32 s0, s[6:7], 0x0
	v_lshlrev_b32_e32 v0, 3, v37
	v_lshlrev_b64 v[2:3], 2, v[16:17]
	v_rcp_iflag_f32_e32 v9, v1
	v_dual_mov_b32 v1, 0 :: v_dual_mov_b32 v28, 0
	v_dual_mov_b32 v25, 0 :: v_dual_lshlrev_b32 v10, 5, v24
	v_mov_b32_e32 v35, 0
	v_dual_mov_b32 v66, 0 :: v_dual_and_b32 v17, 24, v0
	v_and_b32_e32 v0, 0xf8, v0
	v_add_co_u32 v12, vcc_lo, v18, v2
	s_delay_alu instid0(TRANS32_DEP_1) | instskip(SKIP_3) | instid1(VALU_DEP_4)
	v_mul_f32_e32 v9, 0x4f7ffffe, v9
	v_add_co_ci_u32_e32 v13, vcc_lo, v19, v3, vcc_lo
	v_lshl_or_b32 v10, v39, 7, v10
	v_add_co_u32 v2, vcc_lo, v7, v0
	v_cvt_u32_f32_e32 v9, v9
	v_add_co_ci_u32_e32 v3, vcc_lo, 0, v8, vcc_lo
	v_add_co_u32 v7, vcc_lo, v14, v12
	s_delay_alu instid0(VALU_DEP_3)
	v_mul_lo_u32 v11, v11, v9
	v_dual_mov_b32 v55, v38 :: v_dual_add_nc_u32 v54, -1, v54
	v_dual_mov_b32 v29, 0 :: v_dual_mov_b32 v32, 0
	v_dual_mov_b32 v31, 0 :: v_dual_mov_b32 v34, 0
	v_dual_mov_b32 v33, 0 :: v_dual_mov_b32 v36, 0
	v_mul_hi_u32 v11, v9, v11
	v_add_co_ci_u32_e32 v8, vcc_lo, v15, v13, vcc_lo
	s_waitcnt lgkmcnt(0)
	v_dual_mov_b32 v68, 0 :: v_dual_add_nc_u32 v15, s0, v10
	v_mov_b32_e32 v65, 0
	v_dual_mov_b32 v67, 0 :: v_dual_mov_b32 v70, 0
	v_dual_mov_b32 v69, 0 :: v_dual_add_nc_u32 v18, v9, v11
	s_mov_b32 s8, -1
	s_mov_b32 s9, 0xffffff
	s_branch .LBB350_998
.LBB350_996:                            ;   in Loop: Header=BB350_998 Depth=1
	s_or_b32 exec_lo, exec_lo, s0
	v_add_f32_e32 v12, v13, v14
	v_dual_add_f32 v13, v145, v146 :: v_dual_add_f32 v14, v135, v144
	v_dual_add_f32 v19, v133, v134 :: v_dual_add_f32 v64, v131, v132
	;;#ASMSTART
	v_pk_mul_f16 v11, v96, v11;

	;;#ASMEND
	s_delay_alu instid0(VALU_DEP_2) | instskip(NEXT) | instid1(VALU_DEP_2)
	v_add_f32_e32 v29, v29, v13
	v_dual_add_f32 v13, v119, v128 :: v_dual_add_f32 v32, v32, v19
	v_dual_add_f32 v28, v28, v12 :: v_dual_add_f32 v31, v31, v14
	;; [unrolled: 1-line block ×3, first 2 shown]
	;;#ASMSTART
	v_pk_mul_f16 v10, v87, v10;

	;;#ASMEND
	;;#ASMSTART
	v_pk_mul_f16 v0, v85, v0;

	;;#ASMEND
	;; [unrolled: 4-line block ×3, first 2 shown]
	;;#ASMSTART
	v_pk_add_f16 v10, v11, v10;

	;;#ASMEND
	;;#ASMSTART
	v_pk_add_f16 v0, v10, v0;

	;;#ASMEND
	;; [unrolled: 4-line block ×3, first 2 shown]
	v_dual_add_f32 v14, v117, v118 :: v_dual_add_f32 v35, v35, v13
	v_add_f32_e32 v33, v33, v64
	v_dual_add_f32 v64, v113, v114 :: v_dual_and_b32 v9, 0xffff, v0
	v_lshrrev_b32_e32 v0, 16, v0
	;;#ASMSTART
	v_cvt_f32_f16 v9, v9;
	;;#ASMEND
	;;#ASMSTART
	v_cvt_f32_f16 v0, v0;
	;;#ASMEND
	v_dual_add_f32 v34, v34, v12 :: v_dual_add_f32 v65, v65, v19
	v_dual_add_f32 v12, v103, v112 :: v_dual_add_f32 v13, v82, v83
	;; [unrolled: 1-line block ×3, first 2 shown]
	v_add_f32_e32 v0, v9, v0
	v_add_f32_e32 v36, v36, v14
	s_delay_alu instid0(VALU_DEP_4) | instskip(NEXT) | instid1(VALU_DEP_4)
	v_dual_add_f32 v66, v66, v64 :: v_dual_add_f32 v69, v69, v13
	v_dual_add_f32 v67, v67, v12 :: v_dual_add_f32 v68, v68, v10
	s_delay_alu instid0(VALU_DEP_4)
	v_dual_add_f32 v70, v70, v11 :: v_dual_add_f32 v25, v25, v0
.LBB350_997:                            ;   in Loop: Header=BB350_998 Depth=1
	s_or_b32 exec_lo, exec_lo, s10
	v_add_nc_u32_e32 v16, 4, v16
	v_add_co_u32 v7, s0, v7, 16
	s_delay_alu instid0(VALU_DEP_1) | instskip(NEXT) | instid1(VALU_DEP_3)
	v_add_co_ci_u32_e64 v8, s0, 0, v8, s0
	v_cmp_ge_i32_e32 vcc_lo, v16, v52
	v_add_nc_u32_e32 v23, 0x80, v23
	v_add_nc_u32_e32 v15, 0x200, v15
	s_or_b32 s5, vcc_lo, s5
	s_delay_alu instid0(SALU_CYCLE_1)
	s_and_not1_b32 exec_lo, exec_lo, s5
	s_cbranch_execz .LBB350_1989
.LBB350_998:                            ; =>This Inner Loop Header: Depth=1
	v_sub_nc_u32_e32 v0, 0, v23
	s_delay_alu instid0(VALU_DEP_1) | instskip(NEXT) | instid1(VALU_DEP_1)
	v_max_i32_e32 v0, v23, v0
	v_mul_hi_u32 v9, v0, v50
	s_delay_alu instid0(VALU_DEP_1) | instskip(NEXT) | instid1(VALU_DEP_1)
	v_mul_lo_u32 v10, v9, v49
	v_sub_nc_u32_e32 v0, v0, v10
	v_add_nc_u32_e32 v10, 1, v9
	s_delay_alu instid0(VALU_DEP_2) | instskip(SKIP_1) | instid1(VALU_DEP_2)
	v_sub_nc_u32_e32 v11, v0, v49
	v_cmp_ge_u32_e32 vcc_lo, v0, v49
	v_dual_cndmask_b32 v9, v9, v10 :: v_dual_cndmask_b32 v0, v0, v11
	v_ashrrev_i32_e32 v10, 31, v23
	s_delay_alu instid0(VALU_DEP_2) | instskip(NEXT) | instid1(VALU_DEP_3)
	v_add_nc_u32_e32 v11, 1, v9
	v_cmp_ge_u32_e32 vcc_lo, v0, v49
	s_delay_alu instid0(VALU_DEP_3) | instskip(NEXT) | instid1(VALU_DEP_3)
	v_xor_b32_e32 v10, v10, v51
	v_cndmask_b32_e32 v0, v9, v11, vcc_lo
	s_delay_alu instid0(VALU_DEP_1) | instskip(NEXT) | instid1(VALU_DEP_1)
	v_xor_b32_e32 v0, v0, v10
	v_sub_nc_u32_e32 v0, v0, v10
	s_delay_alu instid0(VALU_DEP_1) | instskip(SKIP_1) | instid1(VALU_DEP_2)
	v_add_nc_u32_e32 v9, v0, v6
	v_cmp_gt_i32_e64 s0, v0, v53
	v_sub_nc_u32_e32 v10, 0, v9
	s_delay_alu instid0(VALU_DEP_1) | instskip(NEXT) | instid1(VALU_DEP_1)
	v_max_i32_e32 v10, v9, v10
	v_mul_hi_u32 v11, v10, v18
	s_delay_alu instid0(VALU_DEP_1) | instskip(NEXT) | instid1(VALU_DEP_1)
	v_mul_lo_u32 v11, v11, v30
	v_sub_nc_u32_e32 v10, v10, v11
	s_delay_alu instid0(VALU_DEP_1) | instskip(SKIP_1) | instid1(VALU_DEP_2)
	v_sub_nc_u32_e32 v11, v10, v30
	v_cmp_ge_u32_e32 vcc_lo, v10, v30
	v_cndmask_b32_e32 v10, v10, v11, vcc_lo
	v_ashrrev_i32_e32 v9, 31, v9
	s_delay_alu instid0(VALU_DEP_2) | instskip(SKIP_1) | instid1(VALU_DEP_2)
	v_sub_nc_u32_e32 v11, v10, v30
	v_cmp_ge_u32_e32 vcc_lo, v10, v30
	v_cndmask_b32_e32 v10, v10, v11, vcc_lo
	s_delay_alu instid0(VALU_DEP_1) | instskip(NEXT) | instid1(VALU_DEP_1)
	v_xor_b32_e32 v10, v10, v9
	v_sub_nc_u32_e32 v9, v10, v9
	s_delay_alu instid0(VALU_DEP_1) | instskip(SKIP_1) | instid1(SALU_CYCLE_1)
	v_cmp_eq_u32_e32 vcc_lo, 0, v9
	s_or_b32 s0, vcc_lo, s0
	s_and_saveexec_b32 s10, s0
	s_cbranch_execz .LBB350_997
; %bb.999:                              ;   in Loop: Header=BB350_998 Depth=1
	flat_load_b32 v0, v[7:8]
	ds_load_2addr_b64 v[10:13], v15 offset1:1
	ds_load_2addr_b64 v[96:99], v15 offset0:2 offset1:3
	v_mov_b32_e32 v71, 0
	s_mov_b32 s0, exec_lo
	s_waitcnt lgkmcnt(1)
	;;#ASMSTART
	v_cvt_f16_f32 v82, v10;

	;;#ASMEND
	;;#ASMSTART
	v_cvt_f16_f32 v83, v11;

	;;#ASMEND
	;;#ASMSTART
	v_cvt_f16_f32 v87, v12;

	;;#ASMEND
	;;#ASMSTART
	v_cvt_f16_f32 v84, v13;

	;;#ASMEND
	s_waitcnt lgkmcnt(0)
	;;#ASMSTART
	v_cvt_f16_f32 v96, v96;

	;;#ASMEND
	;;#ASMSTART
	v_cvt_f16_f32 v85, v97;

	;;#ASMEND
	;; [unrolled: 4-line block ×4, first 2 shown]
	v_mov_b32_e32 v19, 0
	s_waitcnt vmcnt(0)
	v_mad_i64_i32 v[9:10], null, v0, v22, v[2:3]
	flat_load_b64 v[11:12], v[9:10]
	flat_load_b32 v64, v[26:27]
	s_waitcnt vmcnt(1) lgkmcnt(1)
	v_and_b32_e32 v0, 0xff, v11
	s_delay_alu instid0(VALU_DEP_1)
	v_cmpx_ne_u16_e32 0, v0
	s_cbranch_execz .LBB350_1007
; %bb.1000:                             ;   in Loop: Header=BB350_998 Depth=1
	v_bfrev_b32_e32 v71, 1
	s_mov_b32 s12, exec_lo
	v_cmpx_ne_u16_e32 0x80, v0
	s_cbranch_execz .LBB350_1006
; %bb.1001:                             ;   in Loop: Header=BB350_998 Depth=1
	v_and_b32_e32 v13, 0x7f, v11
	v_mov_b32_e32 v71, 0x7fc02000
	s_mov_b32 s13, exec_lo
	s_delay_alu instid0(VALU_DEP_2)
	v_cmpx_ne_u32_e32 0x7f, v13
	s_cbranch_execz .LBB350_1005
; %bb.1002:                             ;   in Loop: Header=BB350_998 Depth=1
	v_lshrrev_b32_e32 v0, 3, v13
	v_cmp_gt_u32_e32 vcc_lo, 8, v13
	v_dual_mov_b32 v14, v12 :: v_dual_mov_b32 v13, v11
	s_and_saveexec_b32 s15, vcc_lo
; %bb.1003:                             ;   in Loop: Header=BB350_998 Depth=1
	v_and_b32_e32 v0, 7, v11
	s_delay_alu instid0(VALU_DEP_1) | instskip(NEXT) | instid1(VALU_DEP_1)
	v_clz_i32_u32_e32 v0, v0
	v_min_u32_e32 v0, 32, v0
	s_delay_alu instid0(VALU_DEP_1) | instskip(SKIP_1) | instid1(VALU_DEP_2)
	v_subrev_nc_u32_e32 v13, 28, v0
	v_sub_nc_u32_e32 v0, 29, v0
	v_lshlrev_b64 v[13:14], v13, v[11:12]
; %bb.1004:                             ;   in Loop: Header=BB350_998 Depth=1
	s_or_b32 exec_lo, exec_lo, s15
	v_lshlrev_b32_e32 v14, 8, v11
	s_delay_alu instid0(VALU_DEP_3) | instskip(NEXT) | instid1(VALU_DEP_3)
	v_lshl_add_u32 v0, v0, 10, 0x2000
	v_lshlrev_b32_e32 v13, 7, v13
	s_delay_alu instid0(VALU_DEP_2) | instskip(NEXT) | instid1(VALU_DEP_1)
	v_and_or_b32 v0, 0x8000, v14, v0
	v_and_or_b32 v0, 0x380, v13, v0
	s_delay_alu instid0(VALU_DEP_1)
	v_cvt_f32_f16_e32 v71, v0
.LBB350_1005:                           ;   in Loop: Header=BB350_998 Depth=1
	s_or_b32 exec_lo, exec_lo, s13
.LBB350_1006:                           ;   in Loop: Header=BB350_998 Depth=1
	s_delay_alu instid0(SALU_CYCLE_1)
	s_or_b32 exec_lo, exec_lo, s12
.LBB350_1007:                           ;   in Loop: Header=BB350_998 Depth=1
	s_delay_alu instid0(SALU_CYCLE_1) | instskip(SKIP_2) | instid1(VALU_DEP_1)
	s_or_b32 exec_lo, exec_lo, s0
	v_lshrrev_b16 v0, 8, v11
	s_mov_b32 s0, exec_lo
	v_cmpx_ne_u16_e32 0, v0
	s_cbranch_execz .LBB350_1015
; %bb.1008:                             ;   in Loop: Header=BB350_998 Depth=1
	v_bfrev_b32_e32 v19, 1
	s_mov_b32 s12, exec_lo
	v_cmpx_ne_u16_e32 0x80, v0
	s_cbranch_execz .LBB350_1014
; %bb.1009:                             ;   in Loop: Header=BB350_998 Depth=1
	v_and_b32_e32 v80, 0xffff, v0
	v_mov_b32_e32 v19, 0x7fc02000
	s_mov_b32 s13, exec_lo
	s_delay_alu instid0(VALU_DEP_2) | instskip(NEXT) | instid1(VALU_DEP_1)
	v_and_b32_e32 v13, 0x7f, v80
	v_cmpx_ne_u32_e32 0x7f, v13
	s_cbranch_execz .LBB350_1013
; %bb.1010:                             ;   in Loop: Header=BB350_998 Depth=1
	v_and_b32_e32 v0, 7, v80
	v_lshrrev_b32_e32 v19, 3, v13
	v_cmp_gt_u32_e32 vcc_lo, 8, v13
	s_delay_alu instid0(VALU_DEP_3)
	v_dual_mov_b32 v14, v1 :: v_dual_mov_b32 v13, v0
	s_and_saveexec_b32 s15, vcc_lo
; %bb.1011:                             ;   in Loop: Header=BB350_998 Depth=1
	v_clz_i32_u32_e32 v13, v0
	s_delay_alu instid0(VALU_DEP_1) | instskip(NEXT) | instid1(VALU_DEP_1)
	v_min_u32_e32 v19, 32, v13
	v_subrev_nc_u32_e32 v13, 28, v19
	v_sub_nc_u32_e32 v19, 29, v19
	s_delay_alu instid0(VALU_DEP_2) | instskip(NEXT) | instid1(VALU_DEP_1)
	v_lshlrev_b64 v[13:14], v13, v[0:1]
	v_and_b32_e32 v13, 7, v13
; %bb.1012:                             ;   in Loop: Header=BB350_998 Depth=1
	s_or_b32 exec_lo, exec_lo, s15
	v_lshlrev_b32_e32 v0, 8, v80
	v_lshl_add_u32 v14, v19, 10, 0x2000
	s_delay_alu instid0(VALU_DEP_1) | instskip(NEXT) | instid1(VALU_DEP_1)
	v_and_or_b32 v0, 0x8000, v0, v14
	v_lshl_or_b32 v0, v13, 7, v0
	s_delay_alu instid0(VALU_DEP_1)
	v_cvt_f32_f16_e32 v19, v0
.LBB350_1013:                           ;   in Loop: Header=BB350_998 Depth=1
	s_or_b32 exec_lo, exec_lo, s13
.LBB350_1014:                           ;   in Loop: Header=BB350_998 Depth=1
	s_delay_alu instid0(SALU_CYCLE_1)
	s_or_b32 exec_lo, exec_lo, s12
.LBB350_1015:                           ;   in Loop: Header=BB350_998 Depth=1
	s_delay_alu instid0(SALU_CYCLE_1) | instskip(SKIP_3) | instid1(VALU_DEP_2)
	s_or_b32 exec_lo, exec_lo, s0
	v_lshrrev_b32_e32 v86, 16, v11
	v_mov_b32_e32 v80, 0
	s_mov_b32 s0, exec_lo
	v_dual_mov_b32 v81, 0 :: v_dual_and_b32 v0, 0xff, v86
	s_delay_alu instid0(VALU_DEP_1)
	v_cmpx_ne_u16_e32 0, v0
	s_cbranch_execz .LBB350_1023
; %bb.1016:                             ;   in Loop: Header=BB350_998 Depth=1
	v_bfrev_b32_e32 v80, 1
	s_mov_b32 s12, exec_lo
	v_cmpx_ne_u16_e32 0x80, v0
	s_cbranch_execz .LBB350_1022
; %bb.1017:                             ;   in Loop: Header=BB350_998 Depth=1
	v_bfe_u32 v13, v11, 16, 7
	v_mov_b32_e32 v80, 0x7fc02000
	s_mov_b32 s13, exec_lo
	s_delay_alu instid0(VALU_DEP_2)
	v_cmpx_ne_u32_e32 0x7f, v13
	s_cbranch_execz .LBB350_1021
; %bb.1018:                             ;   in Loop: Header=BB350_998 Depth=1
	v_and_b32_e32 v0, 7, v86
	v_lshrrev_b32_e32 v80, 3, v13
	v_cmp_gt_u32_e32 vcc_lo, 8, v13
	s_delay_alu instid0(VALU_DEP_3)
	v_dual_mov_b32 v14, v1 :: v_dual_mov_b32 v13, v0
	s_and_saveexec_b32 s15, vcc_lo
; %bb.1019:                             ;   in Loop: Header=BB350_998 Depth=1
	v_clz_i32_u32_e32 v13, v0
	s_delay_alu instid0(VALU_DEP_1) | instskip(NEXT) | instid1(VALU_DEP_1)
	v_min_u32_e32 v80, 32, v13
	v_subrev_nc_u32_e32 v13, 28, v80
	v_sub_nc_u32_e32 v80, 29, v80
	s_delay_alu instid0(VALU_DEP_2) | instskip(NEXT) | instid1(VALU_DEP_1)
	v_lshlrev_b64 v[13:14], v13, v[0:1]
	v_and_b32_e32 v13, 7, v13
; %bb.1020:                             ;   in Loop: Header=BB350_998 Depth=1
	s_or_b32 exec_lo, exec_lo, s15
	v_lshlrev_b32_e32 v0, 8, v86
	v_lshl_add_u32 v14, v80, 10, 0x2000
	s_delay_alu instid0(VALU_DEP_1) | instskip(NEXT) | instid1(VALU_DEP_1)
	v_and_or_b32 v0, 0x8000, v0, v14
	v_lshl_or_b32 v0, v13, 7, v0
	s_delay_alu instid0(VALU_DEP_1)
	v_cvt_f32_f16_e32 v80, v0
.LBB350_1021:                           ;   in Loop: Header=BB350_998 Depth=1
	s_or_b32 exec_lo, exec_lo, s13
.LBB350_1022:                           ;   in Loop: Header=BB350_998 Depth=1
	s_delay_alu instid0(SALU_CYCLE_1)
	s_or_b32 exec_lo, exec_lo, s12
.LBB350_1023:                           ;   in Loop: Header=BB350_998 Depth=1
	s_delay_alu instid0(SALU_CYCLE_1) | instskip(NEXT) | instid1(SALU_CYCLE_1)
	s_or_b32 exec_lo, exec_lo, s0
	s_mov_b32 s0, exec_lo
	v_cmpx_lt_u32_e32 0xffffff, v11
	s_cbranch_execz .LBB350_1031
; %bb.1024:                             ;   in Loop: Header=BB350_998 Depth=1
	v_lshrrev_b32_e32 v86, 24, v11
	v_bfrev_b32_e32 v81, 1
	s_mov_b32 s12, exec_lo
	s_delay_alu instid0(VALU_DEP_2)
	v_cmpx_ne_u32_e32 0x80, v86
	s_cbranch_execz .LBB350_1030
; %bb.1025:                             ;   in Loop: Header=BB350_998 Depth=1
	v_and_b32_e32 v13, 0x7f, v86
	v_mov_b32_e32 v81, 0x7fc02000
	s_mov_b32 s13, exec_lo
	s_delay_alu instid0(VALU_DEP_2)
	v_cmpx_ne_u32_e32 0x7f, v13
	s_cbranch_execz .LBB350_1029
; %bb.1026:                             ;   in Loop: Header=BB350_998 Depth=1
	v_and_b32_e32 v0, 7, v86
	v_lshrrev_b32_e32 v81, 3, v13
	v_cmp_gt_u32_e32 vcc_lo, 8, v13
	s_delay_alu instid0(VALU_DEP_3)
	v_dual_mov_b32 v14, v1 :: v_dual_mov_b32 v13, v0
	s_and_saveexec_b32 s15, vcc_lo
; %bb.1027:                             ;   in Loop: Header=BB350_998 Depth=1
	v_clz_i32_u32_e32 v13, v0
	s_delay_alu instid0(VALU_DEP_1) | instskip(NEXT) | instid1(VALU_DEP_1)
	v_min_u32_e32 v81, 32, v13
	v_subrev_nc_u32_e32 v13, 28, v81
	v_sub_nc_u32_e32 v81, 29, v81
	s_delay_alu instid0(VALU_DEP_2) | instskip(NEXT) | instid1(VALU_DEP_1)
	v_lshlrev_b64 v[13:14], v13, v[0:1]
	v_and_b32_e32 v13, 7, v13
; %bb.1028:                             ;   in Loop: Header=BB350_998 Depth=1
	s_or_b32 exec_lo, exec_lo, s15
	v_lshlrev_b32_e32 v0, 8, v86
	v_lshl_add_u32 v14, v81, 10, 0x2000
	s_delay_alu instid0(VALU_DEP_1) | instskip(NEXT) | instid1(VALU_DEP_1)
	v_and_or_b32 v0, 0x8000, v0, v14
	v_lshl_or_b32 v0, v13, 7, v0
	s_delay_alu instid0(VALU_DEP_1)
	v_cvt_f32_f16_e32 v81, v0
.LBB350_1029:                           ;   in Loop: Header=BB350_998 Depth=1
	s_or_b32 exec_lo, exec_lo, s13
.LBB350_1030:                           ;   in Loop: Header=BB350_998 Depth=1
	s_delay_alu instid0(SALU_CYCLE_1)
	s_or_b32 exec_lo, exec_lo, s12
.LBB350_1031:                           ;   in Loop: Header=BB350_998 Depth=1
	s_delay_alu instid0(SALU_CYCLE_1) | instskip(SKIP_3) | instid1(VALU_DEP_2)
	s_or_b32 exec_lo, exec_lo, s0
	v_dual_mov_b32 v0, v12 :: v_dual_and_b32 v13, 0xff, v12
	v_dual_mov_b32 v97, 0 :: v_dual_mov_b32 v86, 0
	s_mov_b32 s0, exec_lo
	v_cmpx_ne_u16_e32 0, v13
	s_cbranch_execz .LBB350_1039
; %bb.1032:                             ;   in Loop: Header=BB350_998 Depth=1
	v_bfrev_b32_e32 v86, 1
	s_mov_b32 s12, exec_lo
	v_cmpx_ne_u16_e32 0x80, v13
	s_cbranch_execz .LBB350_1038
; %bb.1033:                             ;   in Loop: Header=BB350_998 Depth=1
	v_and_b32_e32 v13, 0x7f, v12
	v_mov_b32_e32 v86, 0x7fc02000
	s_mov_b32 s13, exec_lo
	s_delay_alu instid0(VALU_DEP_2)
	v_cmpx_ne_u32_e32 0x7f, v13
	s_cbranch_execz .LBB350_1037
; %bb.1034:                             ;   in Loop: Header=BB350_998 Depth=1
	v_lshrrev_b32_e32 v86, 3, v13
	v_cmp_gt_u32_e32 vcc_lo, 8, v13
	v_dual_mov_b32 v14, v1 :: v_dual_mov_b32 v13, v0
	s_and_saveexec_b32 s15, vcc_lo
; %bb.1035:                             ;   in Loop: Header=BB350_998 Depth=1
	v_and_b32_e32 v13, 7, v12
	s_delay_alu instid0(VALU_DEP_1) | instskip(NEXT) | instid1(VALU_DEP_1)
	v_clz_i32_u32_e32 v13, v13
	v_min_u32_e32 v86, 32, v13
	s_delay_alu instid0(VALU_DEP_1) | instskip(SKIP_1) | instid1(VALU_DEP_2)
	v_subrev_nc_u32_e32 v13, 28, v86
	v_sub_nc_u32_e32 v86, 29, v86
	v_lshlrev_b64 v[13:14], v13, v[0:1]
; %bb.1036:                             ;   in Loop: Header=BB350_998 Depth=1
	s_or_b32 exec_lo, exec_lo, s15
	v_lshlrev_b32_e32 v14, 8, v12
	s_delay_alu instid0(VALU_DEP_3) | instskip(NEXT) | instid1(VALU_DEP_3)
	v_lshl_add_u32 v86, v86, 10, 0x2000
	v_lshlrev_b32_e32 v13, 7, v13
	s_delay_alu instid0(VALU_DEP_2) | instskip(NEXT) | instid1(VALU_DEP_1)
	v_and_or_b32 v14, 0x8000, v14, v86
	v_and_or_b32 v13, 0x380, v13, v14
	s_delay_alu instid0(VALU_DEP_1)
	v_cvt_f32_f16_e32 v86, v13
.LBB350_1037:                           ;   in Loop: Header=BB350_998 Depth=1
	s_or_b32 exec_lo, exec_lo, s13
.LBB350_1038:                           ;   in Loop: Header=BB350_998 Depth=1
	s_delay_alu instid0(SALU_CYCLE_1)
	s_or_b32 exec_lo, exec_lo, s12
.LBB350_1039:                           ;   in Loop: Header=BB350_998 Depth=1
	s_delay_alu instid0(SALU_CYCLE_1) | instskip(SKIP_2) | instid1(VALU_DEP_1)
	s_or_b32 exec_lo, exec_lo, s0
	v_lshrrev_b16 v0, 8, v0
	s_mov_b32 s0, exec_lo
	v_cmpx_ne_u16_e32 0, v0
	s_cbranch_execz .LBB350_1047
; %bb.1040:                             ;   in Loop: Header=BB350_998 Depth=1
	v_bfrev_b32_e32 v97, 1
	s_mov_b32 s12, exec_lo
	v_cmpx_ne_u16_e32 0x80, v0
	s_cbranch_execz .LBB350_1046
; %bb.1041:                             ;   in Loop: Header=BB350_998 Depth=1
	v_and_b32_e32 v98, 0xffff, v0
	v_mov_b32_e32 v97, 0x7fc02000
	s_mov_b32 s13, exec_lo
	s_delay_alu instid0(VALU_DEP_2) | instskip(NEXT) | instid1(VALU_DEP_1)
	v_and_b32_e32 v13, 0x7f, v98
	v_cmpx_ne_u32_e32 0x7f, v13
	s_cbranch_execz .LBB350_1045
; %bb.1042:                             ;   in Loop: Header=BB350_998 Depth=1
	v_and_b32_e32 v0, 7, v98
	v_lshrrev_b32_e32 v97, 3, v13
	v_cmp_gt_u32_e32 vcc_lo, 8, v13
	s_delay_alu instid0(VALU_DEP_3)
	v_dual_mov_b32 v14, v1 :: v_dual_mov_b32 v13, v0
	s_and_saveexec_b32 s15, vcc_lo
; %bb.1043:                             ;   in Loop: Header=BB350_998 Depth=1
	v_clz_i32_u32_e32 v13, v0
	s_delay_alu instid0(VALU_DEP_1) | instskip(NEXT) | instid1(VALU_DEP_1)
	v_min_u32_e32 v97, 32, v13
	v_subrev_nc_u32_e32 v13, 28, v97
	v_sub_nc_u32_e32 v97, 29, v97
	s_delay_alu instid0(VALU_DEP_2) | instskip(NEXT) | instid1(VALU_DEP_1)
	v_lshlrev_b64 v[13:14], v13, v[0:1]
	v_and_b32_e32 v13, 7, v13
; %bb.1044:                             ;   in Loop: Header=BB350_998 Depth=1
	s_or_b32 exec_lo, exec_lo, s15
	v_lshlrev_b32_e32 v0, 8, v98
	v_lshl_add_u32 v14, v97, 10, 0x2000
	s_delay_alu instid0(VALU_DEP_1) | instskip(NEXT) | instid1(VALU_DEP_1)
	v_and_or_b32 v0, 0x8000, v0, v14
	v_lshl_or_b32 v0, v13, 7, v0
	s_delay_alu instid0(VALU_DEP_1)
	v_cvt_f32_f16_e32 v97, v0
.LBB350_1045:                           ;   in Loop: Header=BB350_998 Depth=1
	s_or_b32 exec_lo, exec_lo, s13
.LBB350_1046:                           ;   in Loop: Header=BB350_998 Depth=1
	s_delay_alu instid0(SALU_CYCLE_1)
	s_or_b32 exec_lo, exec_lo, s12
.LBB350_1047:                           ;   in Loop: Header=BB350_998 Depth=1
	s_delay_alu instid0(SALU_CYCLE_1) | instskip(SKIP_3) | instid1(VALU_DEP_2)
	s_or_b32 exec_lo, exec_lo, s0
	v_lshrrev_b32_e32 v101, 16, v12
	v_mov_b32_e32 v98, 0
	s_mov_b32 s0, exec_lo
	v_dual_mov_b32 v13, 0 :: v_dual_and_b32 v0, 0xff, v101
	s_delay_alu instid0(VALU_DEP_1)
	v_cmpx_ne_u16_e32 0, v0
	s_cbranch_execz .LBB350_1055
; %bb.1048:                             ;   in Loop: Header=BB350_998 Depth=1
	v_bfrev_b32_e32 v13, 1
	s_mov_b32 s12, exec_lo
	v_cmpx_ne_u16_e32 0x80, v0
	s_cbranch_execz .LBB350_1054
; %bb.1049:                             ;   in Loop: Header=BB350_998 Depth=1
	v_bfe_u32 v14, v12, 16, 7
	v_mov_b32_e32 v13, 0x7fc02000
	s_mov_b32 s13, exec_lo
	s_delay_alu instid0(VALU_DEP_2)
	v_cmpx_ne_u32_e32 0x7f, v14
	s_cbranch_execz .LBB350_1053
; %bb.1050:                             ;   in Loop: Header=BB350_998 Depth=1
	v_and_b32_e32 v0, 7, v101
	v_lshrrev_b32_e32 v102, 3, v14
	v_cmp_gt_u32_e32 vcc_lo, 8, v14
	s_delay_alu instid0(VALU_DEP_3)
	v_dual_mov_b32 v14, v1 :: v_dual_mov_b32 v13, v0
	s_and_saveexec_b32 s15, vcc_lo
; %bb.1051:                             ;   in Loop: Header=BB350_998 Depth=1
	v_clz_i32_u32_e32 v13, v0
	s_delay_alu instid0(VALU_DEP_1) | instskip(NEXT) | instid1(VALU_DEP_1)
	v_min_u32_e32 v102, 32, v13
	v_subrev_nc_u32_e32 v13, 28, v102
	v_sub_nc_u32_e32 v102, 29, v102
	s_delay_alu instid0(VALU_DEP_2) | instskip(NEXT) | instid1(VALU_DEP_1)
	v_lshlrev_b64 v[13:14], v13, v[0:1]
	v_and_b32_e32 v13, 7, v13
; %bb.1052:                             ;   in Loop: Header=BB350_998 Depth=1
	s_or_b32 exec_lo, exec_lo, s15
	v_lshlrev_b32_e32 v0, 8, v101
	v_lshl_add_u32 v14, v102, 10, 0x2000
	s_delay_alu instid0(VALU_DEP_1) | instskip(NEXT) | instid1(VALU_DEP_1)
	v_and_or_b32 v0, 0x8000, v0, v14
	v_lshl_or_b32 v0, v13, 7, v0
	s_delay_alu instid0(VALU_DEP_1)
	v_cvt_f32_f16_e32 v13, v0
.LBB350_1053:                           ;   in Loop: Header=BB350_998 Depth=1
	s_or_b32 exec_lo, exec_lo, s13
.LBB350_1054:                           ;   in Loop: Header=BB350_998 Depth=1
	s_delay_alu instid0(SALU_CYCLE_1)
	s_or_b32 exec_lo, exec_lo, s12
.LBB350_1055:                           ;   in Loop: Header=BB350_998 Depth=1
	s_delay_alu instid0(SALU_CYCLE_1) | instskip(NEXT) | instid1(SALU_CYCLE_1)
	s_or_b32 exec_lo, exec_lo, s0
	s_mov_b32 s0, exec_lo
	v_cmpx_lt_u64_e64 s[8:9], v[11:12]
	s_cbranch_execz .LBB350_1063
; %bb.1056:                             ;   in Loop: Header=BB350_998 Depth=1
	v_lshrrev_b32_e32 v14, 24, v12
	v_bfrev_b32_e32 v98, 1
	s_mov_b32 s12, exec_lo
	s_delay_alu instid0(VALU_DEP_2)
	v_cmpx_ne_u32_e32 0x80, v14
	s_cbranch_execz .LBB350_1062
; %bb.1057:                             ;   in Loop: Header=BB350_998 Depth=1
	v_and_b32_e32 v11, 0x7f, v14
	v_mov_b32_e32 v98, 0x7fc02000
	s_mov_b32 s13, exec_lo
	s_delay_alu instid0(VALU_DEP_2)
	v_cmpx_ne_u32_e32 0x7f, v11
	s_cbranch_execz .LBB350_1061
; %bb.1058:                             ;   in Loop: Header=BB350_998 Depth=1
	v_and_b32_e32 v0, 7, v14
	v_lshrrev_b32_e32 v98, 3, v11
	v_cmp_gt_u32_e32 vcc_lo, 8, v11
	s_delay_alu instid0(VALU_DEP_3)
	v_dual_mov_b32 v12, v1 :: v_dual_mov_b32 v11, v0
	s_and_saveexec_b32 s15, vcc_lo
; %bb.1059:                             ;   in Loop: Header=BB350_998 Depth=1
	v_clz_i32_u32_e32 v11, v0
	s_delay_alu instid0(VALU_DEP_1) | instskip(NEXT) | instid1(VALU_DEP_1)
	v_min_u32_e32 v98, 32, v11
	v_subrev_nc_u32_e32 v11, 28, v98
	v_sub_nc_u32_e32 v98, 29, v98
	s_delay_alu instid0(VALU_DEP_2) | instskip(NEXT) | instid1(VALU_DEP_1)
	v_lshlrev_b64 v[11:12], v11, v[0:1]
	v_and_b32_e32 v11, 7, v11
; %bb.1060:                             ;   in Loop: Header=BB350_998 Depth=1
	s_or_b32 exec_lo, exec_lo, s15
	v_lshlrev_b32_e32 v0, 8, v14
	v_lshl_add_u32 v12, v98, 10, 0x2000
	s_delay_alu instid0(VALU_DEP_1) | instskip(NEXT) | instid1(VALU_DEP_1)
	v_and_or_b32 v0, 0x8000, v0, v12
	v_lshl_or_b32 v0, v11, 7, v0
	s_delay_alu instid0(VALU_DEP_1)
	v_cvt_f32_f16_e32 v98, v0
.LBB350_1061:                           ;   in Loop: Header=BB350_998 Depth=1
	s_or_b32 exec_lo, exec_lo, s13
.LBB350_1062:                           ;   in Loop: Header=BB350_998 Depth=1
	s_delay_alu instid0(SALU_CYCLE_1)
	s_or_b32 exec_lo, exec_lo, s12
.LBB350_1063:                           ;   in Loop: Header=BB350_998 Depth=1
	s_delay_alu instid0(SALU_CYCLE_1)
	s_or_b32 exec_lo, exec_lo, s0
	s_waitcnt vmcnt(0) lgkmcnt(0)
	v_fma_mixlo_f16 v12, v64, v19, 0
	v_fma_mixlo_f16 v0, v64, v81, 0
	;; [unrolled: 1-line block ×5, first 2 shown]
	v_lshlrev_b32_e32 v14, 16, v12
	v_fma_mixlo_f16 v12, v64, v71, 0
	v_fma_mixlo_f16 v71, v64, v97, 0
	;; [unrolled: 1-line block ×3, first 2 shown]
	v_add_nc_u32_e32 v19, v17, v23
	v_lshlrev_b32_e32 v0, 16, v0
	v_and_b32_e32 v11, 0xffff, v11
	v_and_b32_e32 v64, 0xffff, v12
	v_lshlrev_b32_e32 v71, 16, v71
	v_and_b32_e32 v80, 0xffff, v80
	v_lshlrev_b32_e32 v81, 16, v81
	v_and_b32_e32 v86, 0xffff, v13
	v_cmp_eq_u32_e32 vcc_lo, v54, v16
	v_or_b32_e32 v12, v0, v11
	v_or_b32_e32 v14, v14, v64
	;; [unrolled: 1-line block ×4, first 2 shown]
	v_add_nc_u32_e32 v98, 1, v19
	v_or_b32_e32 v97, 3, v19
	v_or_b32_e32 v86, 2, v19
	;; [unrolled: 1-line block ×6, first 2 shown]
	s_and_saveexec_b32 s12, vcc_lo
	s_cbranch_execz .LBB350_1065
; %bb.1064:                             ;   in Loop: Header=BB350_998 Depth=1
	v_cmp_lt_i32_e64 s0, v19, v38
	v_lshrrev_b32_e32 v101, 16, v14
	v_lshrrev_b32_e32 v102, 16, v12
	;; [unrolled: 1-line block ×4, first 2 shown]
	v_cndmask_b32_e64 v14, 0, v14, s0
	v_cmp_lt_i32_e64 s0, v98, v55
	s_delay_alu instid0(VALU_DEP_1) | instskip(SKIP_1) | instid1(VALU_DEP_2)
	v_cndmask_b32_e64 v101, 0, v101, s0
	v_cmp_lt_i32_e64 s0, v97, v55
	v_perm_b32 v14, v101, v14, 0x5040100
	s_delay_alu instid0(VALU_DEP_2) | instskip(SKIP_1) | instid1(VALU_DEP_1)
	v_cndmask_b32_e64 v102, 0, v102, s0
	v_cmp_lt_i32_e64 s0, v86, v38
	v_cndmask_b32_e64 v12, 0, v12, s0
	v_cmp_lt_i32_e64 s0, v81, v55
	s_delay_alu instid0(VALU_DEP_2) | instskip(NEXT) | instid1(VALU_DEP_2)
	v_perm_b32 v12, v102, v12, 0x5040100
	v_cndmask_b32_e64 v103, 0, v103, s0
	v_cmp_lt_i32_e64 s0, v80, v38
	s_delay_alu instid0(VALU_DEP_1) | instskip(SKIP_1) | instid1(VALU_DEP_2)
	v_cndmask_b32_e64 v0, 0, v0, s0
	v_cmp_lt_i32_e64 s0, v71, v55
	v_perm_b32 v0, v103, v0, 0x5040100
	s_delay_alu instid0(VALU_DEP_2) | instskip(SKIP_1) | instid1(VALU_DEP_1)
	v_cndmask_b32_e64 v11, 0, v11, s0
	v_cmp_lt_i32_e64 s0, v64, v38
	v_cndmask_b32_e64 v13, 0, v13, s0
	s_delay_alu instid0(VALU_DEP_1)
	v_perm_b32 v11, v11, v13, 0x5040100
.LBB350_1065:                           ;   in Loop: Header=BB350_998 Depth=1
	s_or_b32 exec_lo, exec_lo, s12
	v_and_b32_e32 v13, 0xffff, v82
	v_and_b32_e32 v82, 0xffff, v87
	;; [unrolled: 1-line block ×4, first 2 shown]
	s_mov_b32 s12, exec_lo
	s_delay_alu instid0(VALU_DEP_2)
	v_lshl_or_b32 v85, v85, 16, v101
	v_mov_b32_e32 v101, 0
	v_lshl_or_b32 v87, v84, 16, v82
	v_lshl_or_b32 v84, v99, 16, v100
	v_mov_b32_e32 v100, 0
	v_lshl_or_b32 v96, v83, 16, v13
	;;#ASMSTART
	v_pk_mul_f16 v13, v96, v14;

	;;#ASMEND
	;;#ASMSTART
	v_pk_mul_f16 v12, v87, v12;

	;;#ASMEND
	;; [unrolled: 4-line block ×4, first 2 shown]
	;;#ASMSTART
	v_pk_add_f16 v12, v13, v12;

	;;#ASMEND
	;;#ASMSTART
	v_pk_add_f16 v0, v12, v0;

	;;#ASMEND
	;; [unrolled: 4-line block ×3, first 2 shown]
	v_and_b32_e32 v11, 0xffff, v0
	v_lshrrev_b32_e32 v0, 16, v0
	;;#ASMSTART
	v_cvt_f32_f16 v82, v11;
	;;#ASMEND
	;;#ASMSTART
	v_cvt_f32_f16 v83, v0;
	;;#ASMEND
	flat_load_b64 v[11:12], v[9:10] offset:256
	flat_load_b32 v99, v[26:27]
	s_waitcnt vmcnt(1) lgkmcnt(1)
	v_and_b32_e32 v0, 0xff, v11
	s_delay_alu instid0(VALU_DEP_1)
	v_cmpx_ne_u16_e32 0, v0
	s_cbranch_execz .LBB350_1073
; %bb.1066:                             ;   in Loop: Header=BB350_998 Depth=1
	v_bfrev_b32_e32 v100, 1
	s_mov_b32 s13, exec_lo
	v_cmpx_ne_u16_e32 0x80, v0
	s_cbranch_execz .LBB350_1072
; %bb.1067:                             ;   in Loop: Header=BB350_998 Depth=1
	v_and_b32_e32 v13, 0x7f, v11
	v_mov_b32_e32 v100, 0x7fc02000
	s_mov_b32 s15, exec_lo
	s_delay_alu instid0(VALU_DEP_2)
	v_cmpx_ne_u32_e32 0x7f, v13
	s_cbranch_execz .LBB350_1071
; %bb.1068:                             ;   in Loop: Header=BB350_998 Depth=1
	v_lshrrev_b32_e32 v0, 3, v13
	v_cmp_gt_u32_e64 s0, 8, v13
	v_dual_mov_b32 v14, v12 :: v_dual_mov_b32 v13, v11
	s_delay_alu instid0(VALU_DEP_2)
	s_and_saveexec_b32 s16, s0
; %bb.1069:                             ;   in Loop: Header=BB350_998 Depth=1
	v_and_b32_e32 v0, 7, v11
	s_delay_alu instid0(VALU_DEP_1) | instskip(NEXT) | instid1(VALU_DEP_1)
	v_clz_i32_u32_e32 v0, v0
	v_min_u32_e32 v0, 32, v0
	s_delay_alu instid0(VALU_DEP_1) | instskip(SKIP_1) | instid1(VALU_DEP_2)
	v_subrev_nc_u32_e32 v13, 28, v0
	v_sub_nc_u32_e32 v0, 29, v0
	v_lshlrev_b64 v[13:14], v13, v[11:12]
; %bb.1070:                             ;   in Loop: Header=BB350_998 Depth=1
	s_or_b32 exec_lo, exec_lo, s16
	v_lshlrev_b32_e32 v14, 8, v11
	s_delay_alu instid0(VALU_DEP_3) | instskip(NEXT) | instid1(VALU_DEP_3)
	v_lshl_add_u32 v0, v0, 10, 0x2000
	v_lshlrev_b32_e32 v13, 7, v13
	s_delay_alu instid0(VALU_DEP_2) | instskip(NEXT) | instid1(VALU_DEP_1)
	v_and_or_b32 v0, 0x8000, v14, v0
	v_and_or_b32 v0, 0x380, v13, v0
	s_delay_alu instid0(VALU_DEP_1)
	v_cvt_f32_f16_e32 v100, v0
.LBB350_1071:                           ;   in Loop: Header=BB350_998 Depth=1
	s_or_b32 exec_lo, exec_lo, s15
.LBB350_1072:                           ;   in Loop: Header=BB350_998 Depth=1
	s_delay_alu instid0(SALU_CYCLE_1)
	s_or_b32 exec_lo, exec_lo, s13
.LBB350_1073:                           ;   in Loop: Header=BB350_998 Depth=1
	s_delay_alu instid0(SALU_CYCLE_1) | instskip(SKIP_2) | instid1(VALU_DEP_1)
	s_or_b32 exec_lo, exec_lo, s12
	v_lshrrev_b16 v0, 8, v11
	s_mov_b32 s12, exec_lo
	v_cmpx_ne_u16_e32 0, v0
	s_cbranch_execz .LBB350_1081
; %bb.1074:                             ;   in Loop: Header=BB350_998 Depth=1
	v_bfrev_b32_e32 v101, 1
	s_mov_b32 s13, exec_lo
	v_cmpx_ne_u16_e32 0x80, v0
	s_cbranch_execz .LBB350_1080
; %bb.1075:                             ;   in Loop: Header=BB350_998 Depth=1
	v_and_b32_e32 v102, 0xffff, v0
	v_mov_b32_e32 v101, 0x7fc02000
	s_mov_b32 s15, exec_lo
	s_delay_alu instid0(VALU_DEP_2) | instskip(NEXT) | instid1(VALU_DEP_1)
	v_and_b32_e32 v13, 0x7f, v102
	v_cmpx_ne_u32_e32 0x7f, v13
	s_cbranch_execz .LBB350_1079
; %bb.1076:                             ;   in Loop: Header=BB350_998 Depth=1
	v_and_b32_e32 v0, 7, v102
	v_lshrrev_b32_e32 v101, 3, v13
	v_cmp_gt_u32_e64 s0, 8, v13
	s_delay_alu instid0(VALU_DEP_3) | instskip(NEXT) | instid1(VALU_DEP_2)
	v_dual_mov_b32 v14, v1 :: v_dual_mov_b32 v13, v0
	s_and_saveexec_b32 s16, s0
; %bb.1077:                             ;   in Loop: Header=BB350_998 Depth=1
	v_clz_i32_u32_e32 v13, v0
	s_delay_alu instid0(VALU_DEP_1) | instskip(NEXT) | instid1(VALU_DEP_1)
	v_min_u32_e32 v101, 32, v13
	v_subrev_nc_u32_e32 v13, 28, v101
	v_sub_nc_u32_e32 v101, 29, v101
	s_delay_alu instid0(VALU_DEP_2) | instskip(NEXT) | instid1(VALU_DEP_1)
	v_lshlrev_b64 v[13:14], v13, v[0:1]
	v_and_b32_e32 v13, 7, v13
; %bb.1078:                             ;   in Loop: Header=BB350_998 Depth=1
	s_or_b32 exec_lo, exec_lo, s16
	v_lshlrev_b32_e32 v0, 8, v102
	v_lshl_add_u32 v14, v101, 10, 0x2000
	s_delay_alu instid0(VALU_DEP_1) | instskip(NEXT) | instid1(VALU_DEP_1)
	v_and_or_b32 v0, 0x8000, v0, v14
	v_lshl_or_b32 v0, v13, 7, v0
	s_delay_alu instid0(VALU_DEP_1)
	v_cvt_f32_f16_e32 v101, v0
.LBB350_1079:                           ;   in Loop: Header=BB350_998 Depth=1
	s_or_b32 exec_lo, exec_lo, s15
.LBB350_1080:                           ;   in Loop: Header=BB350_998 Depth=1
	s_delay_alu instid0(SALU_CYCLE_1)
	s_or_b32 exec_lo, exec_lo, s13
.LBB350_1081:                           ;   in Loop: Header=BB350_998 Depth=1
	s_delay_alu instid0(SALU_CYCLE_1) | instskip(SKIP_3) | instid1(VALU_DEP_2)
	s_or_b32 exec_lo, exec_lo, s12
	v_lshrrev_b32_e32 v112, 16, v11
	v_mov_b32_e32 v102, 0
	s_mov_b32 s12, exec_lo
	v_dual_mov_b32 v103, 0 :: v_dual_and_b32 v0, 0xff, v112
	s_delay_alu instid0(VALU_DEP_1)
	v_cmpx_ne_u16_e32 0, v0
	s_cbranch_execz .LBB350_1089
; %bb.1082:                             ;   in Loop: Header=BB350_998 Depth=1
	v_bfrev_b32_e32 v102, 1
	s_mov_b32 s13, exec_lo
	v_cmpx_ne_u16_e32 0x80, v0
	s_cbranch_execz .LBB350_1088
; %bb.1083:                             ;   in Loop: Header=BB350_998 Depth=1
	v_bfe_u32 v13, v11, 16, 7
	v_mov_b32_e32 v102, 0x7fc02000
	s_mov_b32 s15, exec_lo
	s_delay_alu instid0(VALU_DEP_2)
	v_cmpx_ne_u32_e32 0x7f, v13
	s_cbranch_execz .LBB350_1087
; %bb.1084:                             ;   in Loop: Header=BB350_998 Depth=1
	v_and_b32_e32 v0, 7, v112
	v_lshrrev_b32_e32 v102, 3, v13
	v_cmp_gt_u32_e64 s0, 8, v13
	s_delay_alu instid0(VALU_DEP_3) | instskip(NEXT) | instid1(VALU_DEP_2)
	v_dual_mov_b32 v14, v1 :: v_dual_mov_b32 v13, v0
	s_and_saveexec_b32 s16, s0
; %bb.1085:                             ;   in Loop: Header=BB350_998 Depth=1
	v_clz_i32_u32_e32 v13, v0
	s_delay_alu instid0(VALU_DEP_1) | instskip(NEXT) | instid1(VALU_DEP_1)
	v_min_u32_e32 v102, 32, v13
	v_subrev_nc_u32_e32 v13, 28, v102
	v_sub_nc_u32_e32 v102, 29, v102
	s_delay_alu instid0(VALU_DEP_2) | instskip(NEXT) | instid1(VALU_DEP_1)
	v_lshlrev_b64 v[13:14], v13, v[0:1]
	v_and_b32_e32 v13, 7, v13
; %bb.1086:                             ;   in Loop: Header=BB350_998 Depth=1
	s_or_b32 exec_lo, exec_lo, s16
	v_lshlrev_b32_e32 v0, 8, v112
	v_lshl_add_u32 v14, v102, 10, 0x2000
	s_delay_alu instid0(VALU_DEP_1) | instskip(NEXT) | instid1(VALU_DEP_1)
	v_and_or_b32 v0, 0x8000, v0, v14
	v_lshl_or_b32 v0, v13, 7, v0
	s_delay_alu instid0(VALU_DEP_1)
	v_cvt_f32_f16_e32 v102, v0
.LBB350_1087:                           ;   in Loop: Header=BB350_998 Depth=1
	s_or_b32 exec_lo, exec_lo, s15
.LBB350_1088:                           ;   in Loop: Header=BB350_998 Depth=1
	s_delay_alu instid0(SALU_CYCLE_1)
	s_or_b32 exec_lo, exec_lo, s13
.LBB350_1089:                           ;   in Loop: Header=BB350_998 Depth=1
	s_delay_alu instid0(SALU_CYCLE_1) | instskip(NEXT) | instid1(SALU_CYCLE_1)
	s_or_b32 exec_lo, exec_lo, s12
	s_mov_b32 s12, exec_lo
	v_cmpx_lt_u32_e32 0xffffff, v11
	s_cbranch_execz .LBB350_1097
; %bb.1090:                             ;   in Loop: Header=BB350_998 Depth=1
	v_lshrrev_b32_e32 v112, 24, v11
	v_bfrev_b32_e32 v103, 1
	s_mov_b32 s13, exec_lo
	s_delay_alu instid0(VALU_DEP_2)
	v_cmpx_ne_u32_e32 0x80, v112
	s_cbranch_execz .LBB350_1096
; %bb.1091:                             ;   in Loop: Header=BB350_998 Depth=1
	v_and_b32_e32 v13, 0x7f, v112
	v_mov_b32_e32 v103, 0x7fc02000
	s_mov_b32 s15, exec_lo
	s_delay_alu instid0(VALU_DEP_2)
	v_cmpx_ne_u32_e32 0x7f, v13
	s_cbranch_execz .LBB350_1095
; %bb.1092:                             ;   in Loop: Header=BB350_998 Depth=1
	v_and_b32_e32 v0, 7, v112
	v_lshrrev_b32_e32 v103, 3, v13
	v_cmp_gt_u32_e64 s0, 8, v13
	s_delay_alu instid0(VALU_DEP_3) | instskip(NEXT) | instid1(VALU_DEP_2)
	v_dual_mov_b32 v14, v1 :: v_dual_mov_b32 v13, v0
	s_and_saveexec_b32 s16, s0
; %bb.1093:                             ;   in Loop: Header=BB350_998 Depth=1
	v_clz_i32_u32_e32 v13, v0
	s_delay_alu instid0(VALU_DEP_1) | instskip(NEXT) | instid1(VALU_DEP_1)
	v_min_u32_e32 v103, 32, v13
	v_subrev_nc_u32_e32 v13, 28, v103
	v_sub_nc_u32_e32 v103, 29, v103
	s_delay_alu instid0(VALU_DEP_2) | instskip(NEXT) | instid1(VALU_DEP_1)
	v_lshlrev_b64 v[13:14], v13, v[0:1]
	v_and_b32_e32 v13, 7, v13
; %bb.1094:                             ;   in Loop: Header=BB350_998 Depth=1
	s_or_b32 exec_lo, exec_lo, s16
	v_lshlrev_b32_e32 v0, 8, v112
	v_lshl_add_u32 v14, v103, 10, 0x2000
	s_delay_alu instid0(VALU_DEP_1) | instskip(NEXT) | instid1(VALU_DEP_1)
	v_and_or_b32 v0, 0x8000, v0, v14
	v_lshl_or_b32 v0, v13, 7, v0
	s_delay_alu instid0(VALU_DEP_1)
	v_cvt_f32_f16_e32 v103, v0
.LBB350_1095:                           ;   in Loop: Header=BB350_998 Depth=1
	s_or_b32 exec_lo, exec_lo, s15
.LBB350_1096:                           ;   in Loop: Header=BB350_998 Depth=1
	s_delay_alu instid0(SALU_CYCLE_1)
	s_or_b32 exec_lo, exec_lo, s13
.LBB350_1097:                           ;   in Loop: Header=BB350_998 Depth=1
	s_delay_alu instid0(SALU_CYCLE_1) | instskip(SKIP_3) | instid1(VALU_DEP_2)
	s_or_b32 exec_lo, exec_lo, s12
	v_dual_mov_b32 v0, v12 :: v_dual_and_b32 v13, 0xff, v12
	v_dual_mov_b32 v113, 0 :: v_dual_mov_b32 v112, 0
	s_mov_b32 s12, exec_lo
	v_cmpx_ne_u16_e32 0, v13
	s_cbranch_execz .LBB350_1105
; %bb.1098:                             ;   in Loop: Header=BB350_998 Depth=1
	v_bfrev_b32_e32 v112, 1
	s_mov_b32 s13, exec_lo
	v_cmpx_ne_u16_e32 0x80, v13
	s_cbranch_execz .LBB350_1104
; %bb.1099:                             ;   in Loop: Header=BB350_998 Depth=1
	v_and_b32_e32 v13, 0x7f, v12
	v_mov_b32_e32 v112, 0x7fc02000
	s_mov_b32 s15, exec_lo
	s_delay_alu instid0(VALU_DEP_2)
	v_cmpx_ne_u32_e32 0x7f, v13
	s_cbranch_execz .LBB350_1103
; %bb.1100:                             ;   in Loop: Header=BB350_998 Depth=1
	v_lshrrev_b32_e32 v112, 3, v13
	v_cmp_gt_u32_e64 s0, 8, v13
	v_dual_mov_b32 v14, v1 :: v_dual_mov_b32 v13, v0
	s_delay_alu instid0(VALU_DEP_2)
	s_and_saveexec_b32 s16, s0
; %bb.1101:                             ;   in Loop: Header=BB350_998 Depth=1
	v_and_b32_e32 v13, 7, v12
	s_delay_alu instid0(VALU_DEP_1) | instskip(NEXT) | instid1(VALU_DEP_1)
	v_clz_i32_u32_e32 v13, v13
	v_min_u32_e32 v112, 32, v13
	s_delay_alu instid0(VALU_DEP_1) | instskip(SKIP_1) | instid1(VALU_DEP_2)
	v_subrev_nc_u32_e32 v13, 28, v112
	v_sub_nc_u32_e32 v112, 29, v112
	v_lshlrev_b64 v[13:14], v13, v[0:1]
; %bb.1102:                             ;   in Loop: Header=BB350_998 Depth=1
	s_or_b32 exec_lo, exec_lo, s16
	v_lshlrev_b32_e32 v14, 8, v12
	s_delay_alu instid0(VALU_DEP_3) | instskip(NEXT) | instid1(VALU_DEP_3)
	v_lshl_add_u32 v112, v112, 10, 0x2000
	v_lshlrev_b32_e32 v13, 7, v13
	s_delay_alu instid0(VALU_DEP_2) | instskip(NEXT) | instid1(VALU_DEP_1)
	v_and_or_b32 v14, 0x8000, v14, v112
	v_and_or_b32 v13, 0x380, v13, v14
	s_delay_alu instid0(VALU_DEP_1)
	v_cvt_f32_f16_e32 v112, v13
.LBB350_1103:                           ;   in Loop: Header=BB350_998 Depth=1
	s_or_b32 exec_lo, exec_lo, s15
.LBB350_1104:                           ;   in Loop: Header=BB350_998 Depth=1
	s_delay_alu instid0(SALU_CYCLE_1)
	s_or_b32 exec_lo, exec_lo, s13
.LBB350_1105:                           ;   in Loop: Header=BB350_998 Depth=1
	s_delay_alu instid0(SALU_CYCLE_1) | instskip(SKIP_2) | instid1(VALU_DEP_1)
	s_or_b32 exec_lo, exec_lo, s12
	v_lshrrev_b16 v0, 8, v0
	s_mov_b32 s12, exec_lo
	v_cmpx_ne_u16_e32 0, v0
	s_cbranch_execz .LBB350_1113
; %bb.1106:                             ;   in Loop: Header=BB350_998 Depth=1
	v_bfrev_b32_e32 v113, 1
	s_mov_b32 s13, exec_lo
	v_cmpx_ne_u16_e32 0x80, v0
	s_cbranch_execz .LBB350_1112
; %bb.1107:                             ;   in Loop: Header=BB350_998 Depth=1
	v_and_b32_e32 v114, 0xffff, v0
	v_mov_b32_e32 v113, 0x7fc02000
	s_mov_b32 s15, exec_lo
	s_delay_alu instid0(VALU_DEP_2) | instskip(NEXT) | instid1(VALU_DEP_1)
	v_and_b32_e32 v13, 0x7f, v114
	v_cmpx_ne_u32_e32 0x7f, v13
	s_cbranch_execz .LBB350_1111
; %bb.1108:                             ;   in Loop: Header=BB350_998 Depth=1
	v_and_b32_e32 v0, 7, v114
	v_lshrrev_b32_e32 v113, 3, v13
	v_cmp_gt_u32_e64 s0, 8, v13
	s_delay_alu instid0(VALU_DEP_3) | instskip(NEXT) | instid1(VALU_DEP_2)
	v_dual_mov_b32 v14, v1 :: v_dual_mov_b32 v13, v0
	s_and_saveexec_b32 s16, s0
; %bb.1109:                             ;   in Loop: Header=BB350_998 Depth=1
	v_clz_i32_u32_e32 v13, v0
	s_delay_alu instid0(VALU_DEP_1) | instskip(NEXT) | instid1(VALU_DEP_1)
	v_min_u32_e32 v113, 32, v13
	v_subrev_nc_u32_e32 v13, 28, v113
	v_sub_nc_u32_e32 v113, 29, v113
	s_delay_alu instid0(VALU_DEP_2) | instskip(NEXT) | instid1(VALU_DEP_1)
	v_lshlrev_b64 v[13:14], v13, v[0:1]
	v_and_b32_e32 v13, 7, v13
; %bb.1110:                             ;   in Loop: Header=BB350_998 Depth=1
	s_or_b32 exec_lo, exec_lo, s16
	v_lshlrev_b32_e32 v0, 8, v114
	v_lshl_add_u32 v14, v113, 10, 0x2000
	s_delay_alu instid0(VALU_DEP_1) | instskip(NEXT) | instid1(VALU_DEP_1)
	v_and_or_b32 v0, 0x8000, v0, v14
	v_lshl_or_b32 v0, v13, 7, v0
	s_delay_alu instid0(VALU_DEP_1)
	v_cvt_f32_f16_e32 v113, v0
.LBB350_1111:                           ;   in Loop: Header=BB350_998 Depth=1
	s_or_b32 exec_lo, exec_lo, s15
.LBB350_1112:                           ;   in Loop: Header=BB350_998 Depth=1
	s_delay_alu instid0(SALU_CYCLE_1)
	s_or_b32 exec_lo, exec_lo, s13
.LBB350_1113:                           ;   in Loop: Header=BB350_998 Depth=1
	s_delay_alu instid0(SALU_CYCLE_1) | instskip(SKIP_3) | instid1(VALU_DEP_2)
	s_or_b32 exec_lo, exec_lo, s12
	v_lshrrev_b32_e32 v115, 16, v12
	v_mov_b32_e32 v114, 0
	s_mov_b32 s12, exec_lo
	v_dual_mov_b32 v13, 0 :: v_dual_and_b32 v0, 0xff, v115
	s_delay_alu instid0(VALU_DEP_1)
	v_cmpx_ne_u16_e32 0, v0
	s_cbranch_execz .LBB350_1121
; %bb.1114:                             ;   in Loop: Header=BB350_998 Depth=1
	v_bfrev_b32_e32 v13, 1
	s_mov_b32 s13, exec_lo
	v_cmpx_ne_u16_e32 0x80, v0
	s_cbranch_execz .LBB350_1120
; %bb.1115:                             ;   in Loop: Header=BB350_998 Depth=1
	v_bfe_u32 v14, v12, 16, 7
	v_mov_b32_e32 v13, 0x7fc02000
	s_mov_b32 s15, exec_lo
	s_delay_alu instid0(VALU_DEP_2)
	v_cmpx_ne_u32_e32 0x7f, v14
	s_cbranch_execz .LBB350_1119
; %bb.1116:                             ;   in Loop: Header=BB350_998 Depth=1
	v_and_b32_e32 v0, 7, v115
	v_lshrrev_b32_e32 v116, 3, v14
	v_cmp_gt_u32_e64 s0, 8, v14
	s_delay_alu instid0(VALU_DEP_3) | instskip(NEXT) | instid1(VALU_DEP_2)
	v_dual_mov_b32 v14, v1 :: v_dual_mov_b32 v13, v0
	s_and_saveexec_b32 s16, s0
; %bb.1117:                             ;   in Loop: Header=BB350_998 Depth=1
	v_clz_i32_u32_e32 v13, v0
	s_delay_alu instid0(VALU_DEP_1) | instskip(NEXT) | instid1(VALU_DEP_1)
	v_min_u32_e32 v116, 32, v13
	v_subrev_nc_u32_e32 v13, 28, v116
	v_sub_nc_u32_e32 v116, 29, v116
	s_delay_alu instid0(VALU_DEP_2) | instskip(NEXT) | instid1(VALU_DEP_1)
	v_lshlrev_b64 v[13:14], v13, v[0:1]
	v_and_b32_e32 v13, 7, v13
; %bb.1118:                             ;   in Loop: Header=BB350_998 Depth=1
	s_or_b32 exec_lo, exec_lo, s16
	v_lshlrev_b32_e32 v0, 8, v115
	v_lshl_add_u32 v14, v116, 10, 0x2000
	s_delay_alu instid0(VALU_DEP_1) | instskip(NEXT) | instid1(VALU_DEP_1)
	v_and_or_b32 v0, 0x8000, v0, v14
	v_lshl_or_b32 v0, v13, 7, v0
	s_delay_alu instid0(VALU_DEP_1)
	v_cvt_f32_f16_e32 v13, v0
.LBB350_1119:                           ;   in Loop: Header=BB350_998 Depth=1
	s_or_b32 exec_lo, exec_lo, s15
.LBB350_1120:                           ;   in Loop: Header=BB350_998 Depth=1
	s_delay_alu instid0(SALU_CYCLE_1)
	s_or_b32 exec_lo, exec_lo, s13
.LBB350_1121:                           ;   in Loop: Header=BB350_998 Depth=1
	s_delay_alu instid0(SALU_CYCLE_1) | instskip(NEXT) | instid1(SALU_CYCLE_1)
	s_or_b32 exec_lo, exec_lo, s12
	s_mov_b32 s12, exec_lo
	v_cmpx_lt_u64_e64 s[8:9], v[11:12]
	s_cbranch_execz .LBB350_1129
; %bb.1122:                             ;   in Loop: Header=BB350_998 Depth=1
	v_lshrrev_b32_e32 v14, 24, v12
	v_bfrev_b32_e32 v114, 1
	s_mov_b32 s13, exec_lo
	s_delay_alu instid0(VALU_DEP_2)
	v_cmpx_ne_u32_e32 0x80, v14
	s_cbranch_execz .LBB350_1128
; %bb.1123:                             ;   in Loop: Header=BB350_998 Depth=1
	v_and_b32_e32 v11, 0x7f, v14
	v_mov_b32_e32 v114, 0x7fc02000
	s_mov_b32 s15, exec_lo
	s_delay_alu instid0(VALU_DEP_2)
	v_cmpx_ne_u32_e32 0x7f, v11
	s_cbranch_execz .LBB350_1127
; %bb.1124:                             ;   in Loop: Header=BB350_998 Depth=1
	v_and_b32_e32 v0, 7, v14
	v_lshrrev_b32_e32 v114, 3, v11
	v_cmp_gt_u32_e64 s0, 8, v11
	s_delay_alu instid0(VALU_DEP_3) | instskip(NEXT) | instid1(VALU_DEP_2)
	v_dual_mov_b32 v12, v1 :: v_dual_mov_b32 v11, v0
	s_and_saveexec_b32 s16, s0
; %bb.1125:                             ;   in Loop: Header=BB350_998 Depth=1
	v_clz_i32_u32_e32 v11, v0
	s_delay_alu instid0(VALU_DEP_1) | instskip(NEXT) | instid1(VALU_DEP_1)
	v_min_u32_e32 v114, 32, v11
	v_subrev_nc_u32_e32 v11, 28, v114
	v_sub_nc_u32_e32 v114, 29, v114
	s_delay_alu instid0(VALU_DEP_2) | instskip(NEXT) | instid1(VALU_DEP_1)
	v_lshlrev_b64 v[11:12], v11, v[0:1]
	v_and_b32_e32 v11, 7, v11
; %bb.1126:                             ;   in Loop: Header=BB350_998 Depth=1
	s_or_b32 exec_lo, exec_lo, s16
	v_lshlrev_b32_e32 v0, 8, v14
	v_lshl_add_u32 v12, v114, 10, 0x2000
	s_delay_alu instid0(VALU_DEP_1) | instskip(NEXT) | instid1(VALU_DEP_1)
	v_and_or_b32 v0, 0x8000, v0, v12
	v_lshl_or_b32 v0, v11, 7, v0
	s_delay_alu instid0(VALU_DEP_1)
	v_cvt_f32_f16_e32 v114, v0
.LBB350_1127:                           ;   in Loop: Header=BB350_998 Depth=1
	s_or_b32 exec_lo, exec_lo, s15
.LBB350_1128:                           ;   in Loop: Header=BB350_998 Depth=1
	s_delay_alu instid0(SALU_CYCLE_1)
	s_or_b32 exec_lo, exec_lo, s13
.LBB350_1129:                           ;   in Loop: Header=BB350_998 Depth=1
	s_delay_alu instid0(SALU_CYCLE_1)
	s_or_b32 exec_lo, exec_lo, s12
	s_waitcnt vmcnt(0) lgkmcnt(0)
	v_fma_mixlo_f16 v12, v99, v101, 0
	v_fma_mixlo_f16 v0, v99, v103, 0
	v_fma_mixlo_f16 v11, v99, v102, 0
	v_fma_mixlo_f16 v100, v99, v100, 0
	v_fma_mixlo_f16 v101, v99, v113, 0
	v_lshlrev_b32_e32 v14, 16, v12
	v_fma_mixlo_f16 v102, v99, v112, 0
	v_fma_mixlo_f16 v103, v99, v114, 0
	;; [unrolled: 1-line block ×3, first 2 shown]
	v_lshlrev_b32_e32 v0, 16, v0
	v_and_b32_e32 v11, 0xffff, v11
	v_and_b32_e32 v99, 0xffff, v100
	v_lshlrev_b32_e32 v100, 16, v101
	v_and_b32_e32 v101, 0xffff, v102
	v_lshlrev_b32_e32 v102, 16, v103
	v_and_b32_e32 v103, 0xffff, v12
	v_or_b32_e32 v13, v0, v11
	v_or_b32_e32 v14, v14, v99
	;; [unrolled: 1-line block ×3, first 2 shown]
	s_delay_alu instid0(VALU_DEP_4)
	v_or_b32_e32 v11, v102, v103
	s_and_saveexec_b32 s12, vcc_lo
	s_cbranch_execz .LBB350_1131
; %bb.1130:                             ;   in Loop: Header=BB350_998 Depth=1
	v_cmp_lt_i32_e64 s0, v19, v38
	v_lshrrev_b32_e32 v99, 16, v14
	v_lshrrev_b32_e32 v100, 16, v13
	;; [unrolled: 1-line block ×4, first 2 shown]
	v_cndmask_b32_e64 v14, 0, v14, s0
	v_cmp_lt_i32_e64 s0, v98, v55
	s_delay_alu instid0(VALU_DEP_1) | instskip(SKIP_1) | instid1(VALU_DEP_2)
	v_cndmask_b32_e64 v99, 0, v99, s0
	v_cmp_lt_i32_e64 s0, v97, v55
	v_perm_b32 v14, v99, v14, 0x5040100
	s_delay_alu instid0(VALU_DEP_2) | instskip(SKIP_1) | instid1(VALU_DEP_1)
	v_cndmask_b32_e64 v100, 0, v100, s0
	v_cmp_lt_i32_e64 s0, v86, v38
	v_cndmask_b32_e64 v13, 0, v13, s0
	v_cmp_lt_i32_e64 s0, v81, v55
	s_delay_alu instid0(VALU_DEP_2) | instskip(NEXT) | instid1(VALU_DEP_2)
	v_perm_b32 v13, v100, v13, 0x5040100
	v_cndmask_b32_e64 v101, 0, v101, s0
	v_cmp_lt_i32_e64 s0, v80, v38
	s_delay_alu instid0(VALU_DEP_1) | instskip(SKIP_1) | instid1(VALU_DEP_2)
	v_cndmask_b32_e64 v0, 0, v0, s0
	v_cmp_lt_i32_e64 s0, v71, v55
	v_perm_b32 v0, v101, v0, 0x5040100
	s_delay_alu instid0(VALU_DEP_2) | instskip(SKIP_1) | instid1(VALU_DEP_1)
	v_cndmask_b32_e64 v11, 0, v11, s0
	v_cmp_lt_i32_e64 s0, v64, v38
	v_cndmask_b32_e64 v12, 0, v12, s0
	s_delay_alu instid0(VALU_DEP_1)
	v_perm_b32 v11, v11, v12, 0x5040100
.LBB350_1131:                           ;   in Loop: Header=BB350_998 Depth=1
	s_or_b32 exec_lo, exec_lo, s12
	;;#ASMSTART
	v_pk_mul_f16 v12, v96, v14;

	;;#ASMEND
	;;#ASMSTART
	v_pk_mul_f16 v13, v87, v13;

	;;#ASMEND
	;; [unrolled: 4-line block ×4, first 2 shown]
	;;#ASMSTART
	v_pk_add_f16 v12, v12, v13;

	;;#ASMEND
	;;#ASMSTART
	v_pk_add_f16 v0, v12, v0;

	;;#ASMEND
	;; [unrolled: 4-line block ×3, first 2 shown]
	v_dual_mov_b32 v102, 0 :: v_dual_and_b32 v11, 0xffff, v0
	v_lshrrev_b32_e32 v0, 16, v0
	;;#ASMSTART
	v_cvt_f32_f16 v99, v11;
	;;#ASMEND
	;;#ASMSTART
	v_cvt_f32_f16 v100, v0;
	;;#ASMEND
	flat_load_b64 v[11:12], v[9:10] offset:512
	flat_load_b32 v101, v[26:27]
	s_mov_b32 s12, exec_lo
	s_waitcnt vmcnt(1) lgkmcnt(1)
	v_dual_mov_b32 v103, 0 :: v_dual_and_b32 v0, 0xff, v11
	s_delay_alu instid0(VALU_DEP_1)
	v_cmpx_ne_u16_e32 0, v0
	s_cbranch_execz .LBB350_1139
; %bb.1132:                             ;   in Loop: Header=BB350_998 Depth=1
	v_bfrev_b32_e32 v102, 1
	s_mov_b32 s13, exec_lo
	v_cmpx_ne_u16_e32 0x80, v0
	s_cbranch_execz .LBB350_1138
; %bb.1133:                             ;   in Loop: Header=BB350_998 Depth=1
	v_and_b32_e32 v13, 0x7f, v11
	v_mov_b32_e32 v102, 0x7fc02000
	s_mov_b32 s15, exec_lo
	s_delay_alu instid0(VALU_DEP_2)
	v_cmpx_ne_u32_e32 0x7f, v13
	s_cbranch_execz .LBB350_1137
; %bb.1134:                             ;   in Loop: Header=BB350_998 Depth=1
	v_lshrrev_b32_e32 v0, 3, v13
	v_cmp_gt_u32_e64 s0, 8, v13
	v_dual_mov_b32 v14, v12 :: v_dual_mov_b32 v13, v11
	s_delay_alu instid0(VALU_DEP_2)
	s_and_saveexec_b32 s16, s0
; %bb.1135:                             ;   in Loop: Header=BB350_998 Depth=1
	v_and_b32_e32 v0, 7, v11
	s_delay_alu instid0(VALU_DEP_1) | instskip(NEXT) | instid1(VALU_DEP_1)
	v_clz_i32_u32_e32 v0, v0
	v_min_u32_e32 v0, 32, v0
	s_delay_alu instid0(VALU_DEP_1) | instskip(SKIP_1) | instid1(VALU_DEP_2)
	v_subrev_nc_u32_e32 v13, 28, v0
	v_sub_nc_u32_e32 v0, 29, v0
	v_lshlrev_b64 v[13:14], v13, v[11:12]
; %bb.1136:                             ;   in Loop: Header=BB350_998 Depth=1
	s_or_b32 exec_lo, exec_lo, s16
	v_lshlrev_b32_e32 v14, 8, v11
	s_delay_alu instid0(VALU_DEP_3) | instskip(NEXT) | instid1(VALU_DEP_3)
	v_lshl_add_u32 v0, v0, 10, 0x2000
	v_lshlrev_b32_e32 v13, 7, v13
	s_delay_alu instid0(VALU_DEP_2) | instskip(NEXT) | instid1(VALU_DEP_1)
	v_and_or_b32 v0, 0x8000, v14, v0
	v_and_or_b32 v0, 0x380, v13, v0
	s_delay_alu instid0(VALU_DEP_1)
	v_cvt_f32_f16_e32 v102, v0
.LBB350_1137:                           ;   in Loop: Header=BB350_998 Depth=1
	s_or_b32 exec_lo, exec_lo, s15
.LBB350_1138:                           ;   in Loop: Header=BB350_998 Depth=1
	s_delay_alu instid0(SALU_CYCLE_1)
	s_or_b32 exec_lo, exec_lo, s13
.LBB350_1139:                           ;   in Loop: Header=BB350_998 Depth=1
	s_delay_alu instid0(SALU_CYCLE_1) | instskip(SKIP_2) | instid1(VALU_DEP_1)
	s_or_b32 exec_lo, exec_lo, s12
	v_lshrrev_b16 v0, 8, v11
	s_mov_b32 s12, exec_lo
	v_cmpx_ne_u16_e32 0, v0
	s_cbranch_execz .LBB350_1147
; %bb.1140:                             ;   in Loop: Header=BB350_998 Depth=1
	v_bfrev_b32_e32 v103, 1
	s_mov_b32 s13, exec_lo
	v_cmpx_ne_u16_e32 0x80, v0
	s_cbranch_execz .LBB350_1146
; %bb.1141:                             ;   in Loop: Header=BB350_998 Depth=1
	v_and_b32_e32 v112, 0xffff, v0
	v_mov_b32_e32 v103, 0x7fc02000
	s_mov_b32 s15, exec_lo
	s_delay_alu instid0(VALU_DEP_2) | instskip(NEXT) | instid1(VALU_DEP_1)
	v_and_b32_e32 v13, 0x7f, v112
	v_cmpx_ne_u32_e32 0x7f, v13
	s_cbranch_execz .LBB350_1145
; %bb.1142:                             ;   in Loop: Header=BB350_998 Depth=1
	v_and_b32_e32 v0, 7, v112
	v_lshrrev_b32_e32 v103, 3, v13
	v_cmp_gt_u32_e64 s0, 8, v13
	s_delay_alu instid0(VALU_DEP_3) | instskip(NEXT) | instid1(VALU_DEP_2)
	v_dual_mov_b32 v14, v1 :: v_dual_mov_b32 v13, v0
	s_and_saveexec_b32 s16, s0
; %bb.1143:                             ;   in Loop: Header=BB350_998 Depth=1
	v_clz_i32_u32_e32 v13, v0
	s_delay_alu instid0(VALU_DEP_1) | instskip(NEXT) | instid1(VALU_DEP_1)
	v_min_u32_e32 v103, 32, v13
	v_subrev_nc_u32_e32 v13, 28, v103
	v_sub_nc_u32_e32 v103, 29, v103
	s_delay_alu instid0(VALU_DEP_2) | instskip(NEXT) | instid1(VALU_DEP_1)
	v_lshlrev_b64 v[13:14], v13, v[0:1]
	v_and_b32_e32 v13, 7, v13
; %bb.1144:                             ;   in Loop: Header=BB350_998 Depth=1
	s_or_b32 exec_lo, exec_lo, s16
	v_lshlrev_b32_e32 v0, 8, v112
	v_lshl_add_u32 v14, v103, 10, 0x2000
	s_delay_alu instid0(VALU_DEP_1) | instskip(NEXT) | instid1(VALU_DEP_1)
	v_and_or_b32 v0, 0x8000, v0, v14
	v_lshl_or_b32 v0, v13, 7, v0
	s_delay_alu instid0(VALU_DEP_1)
	v_cvt_f32_f16_e32 v103, v0
.LBB350_1145:                           ;   in Loop: Header=BB350_998 Depth=1
	s_or_b32 exec_lo, exec_lo, s15
.LBB350_1146:                           ;   in Loop: Header=BB350_998 Depth=1
	s_delay_alu instid0(SALU_CYCLE_1)
	s_or_b32 exec_lo, exec_lo, s13
.LBB350_1147:                           ;   in Loop: Header=BB350_998 Depth=1
	s_delay_alu instid0(SALU_CYCLE_1) | instskip(SKIP_3) | instid1(VALU_DEP_2)
	s_or_b32 exec_lo, exec_lo, s12
	v_lshrrev_b32_e32 v114, 16, v11
	v_mov_b32_e32 v112, 0
	s_mov_b32 s12, exec_lo
	v_dual_mov_b32 v113, 0 :: v_dual_and_b32 v0, 0xff, v114
	s_delay_alu instid0(VALU_DEP_1)
	v_cmpx_ne_u16_e32 0, v0
	s_cbranch_execz .LBB350_1155
; %bb.1148:                             ;   in Loop: Header=BB350_998 Depth=1
	v_bfrev_b32_e32 v112, 1
	s_mov_b32 s13, exec_lo
	v_cmpx_ne_u16_e32 0x80, v0
	s_cbranch_execz .LBB350_1154
; %bb.1149:                             ;   in Loop: Header=BB350_998 Depth=1
	v_bfe_u32 v13, v11, 16, 7
	v_mov_b32_e32 v112, 0x7fc02000
	s_mov_b32 s15, exec_lo
	s_delay_alu instid0(VALU_DEP_2)
	v_cmpx_ne_u32_e32 0x7f, v13
	s_cbranch_execz .LBB350_1153
; %bb.1150:                             ;   in Loop: Header=BB350_998 Depth=1
	v_and_b32_e32 v0, 7, v114
	v_lshrrev_b32_e32 v112, 3, v13
	v_cmp_gt_u32_e64 s0, 8, v13
	s_delay_alu instid0(VALU_DEP_3) | instskip(NEXT) | instid1(VALU_DEP_2)
	v_dual_mov_b32 v14, v1 :: v_dual_mov_b32 v13, v0
	s_and_saveexec_b32 s16, s0
; %bb.1151:                             ;   in Loop: Header=BB350_998 Depth=1
	v_clz_i32_u32_e32 v13, v0
	s_delay_alu instid0(VALU_DEP_1) | instskip(NEXT) | instid1(VALU_DEP_1)
	v_min_u32_e32 v112, 32, v13
	v_subrev_nc_u32_e32 v13, 28, v112
	v_sub_nc_u32_e32 v112, 29, v112
	s_delay_alu instid0(VALU_DEP_2) | instskip(NEXT) | instid1(VALU_DEP_1)
	v_lshlrev_b64 v[13:14], v13, v[0:1]
	v_and_b32_e32 v13, 7, v13
; %bb.1152:                             ;   in Loop: Header=BB350_998 Depth=1
	s_or_b32 exec_lo, exec_lo, s16
	v_lshlrev_b32_e32 v0, 8, v114
	v_lshl_add_u32 v14, v112, 10, 0x2000
	s_delay_alu instid0(VALU_DEP_1) | instskip(NEXT) | instid1(VALU_DEP_1)
	v_and_or_b32 v0, 0x8000, v0, v14
	v_lshl_or_b32 v0, v13, 7, v0
	s_delay_alu instid0(VALU_DEP_1)
	v_cvt_f32_f16_e32 v112, v0
.LBB350_1153:                           ;   in Loop: Header=BB350_998 Depth=1
	s_or_b32 exec_lo, exec_lo, s15
.LBB350_1154:                           ;   in Loop: Header=BB350_998 Depth=1
	s_delay_alu instid0(SALU_CYCLE_1)
	s_or_b32 exec_lo, exec_lo, s13
.LBB350_1155:                           ;   in Loop: Header=BB350_998 Depth=1
	s_delay_alu instid0(SALU_CYCLE_1) | instskip(NEXT) | instid1(SALU_CYCLE_1)
	s_or_b32 exec_lo, exec_lo, s12
	s_mov_b32 s12, exec_lo
	v_cmpx_lt_u32_e32 0xffffff, v11
	s_cbranch_execz .LBB350_1163
; %bb.1156:                             ;   in Loop: Header=BB350_998 Depth=1
	v_lshrrev_b32_e32 v114, 24, v11
	v_bfrev_b32_e32 v113, 1
	s_mov_b32 s13, exec_lo
	s_delay_alu instid0(VALU_DEP_2)
	v_cmpx_ne_u32_e32 0x80, v114
	s_cbranch_execz .LBB350_1162
; %bb.1157:                             ;   in Loop: Header=BB350_998 Depth=1
	v_and_b32_e32 v13, 0x7f, v114
	v_mov_b32_e32 v113, 0x7fc02000
	s_mov_b32 s15, exec_lo
	s_delay_alu instid0(VALU_DEP_2)
	v_cmpx_ne_u32_e32 0x7f, v13
	s_cbranch_execz .LBB350_1161
; %bb.1158:                             ;   in Loop: Header=BB350_998 Depth=1
	v_and_b32_e32 v0, 7, v114
	v_lshrrev_b32_e32 v113, 3, v13
	v_cmp_gt_u32_e64 s0, 8, v13
	s_delay_alu instid0(VALU_DEP_3) | instskip(NEXT) | instid1(VALU_DEP_2)
	v_dual_mov_b32 v14, v1 :: v_dual_mov_b32 v13, v0
	s_and_saveexec_b32 s16, s0
; %bb.1159:                             ;   in Loop: Header=BB350_998 Depth=1
	v_clz_i32_u32_e32 v13, v0
	s_delay_alu instid0(VALU_DEP_1) | instskip(NEXT) | instid1(VALU_DEP_1)
	v_min_u32_e32 v113, 32, v13
	v_subrev_nc_u32_e32 v13, 28, v113
	v_sub_nc_u32_e32 v113, 29, v113
	s_delay_alu instid0(VALU_DEP_2) | instskip(NEXT) | instid1(VALU_DEP_1)
	v_lshlrev_b64 v[13:14], v13, v[0:1]
	v_and_b32_e32 v13, 7, v13
; %bb.1160:                             ;   in Loop: Header=BB350_998 Depth=1
	s_or_b32 exec_lo, exec_lo, s16
	v_lshlrev_b32_e32 v0, 8, v114
	v_lshl_add_u32 v14, v113, 10, 0x2000
	s_delay_alu instid0(VALU_DEP_1) | instskip(NEXT) | instid1(VALU_DEP_1)
	v_and_or_b32 v0, 0x8000, v0, v14
	v_lshl_or_b32 v0, v13, 7, v0
	s_delay_alu instid0(VALU_DEP_1)
	v_cvt_f32_f16_e32 v113, v0
.LBB350_1161:                           ;   in Loop: Header=BB350_998 Depth=1
	s_or_b32 exec_lo, exec_lo, s15
.LBB350_1162:                           ;   in Loop: Header=BB350_998 Depth=1
	s_delay_alu instid0(SALU_CYCLE_1)
	s_or_b32 exec_lo, exec_lo, s13
.LBB350_1163:                           ;   in Loop: Header=BB350_998 Depth=1
	s_delay_alu instid0(SALU_CYCLE_1) | instskip(SKIP_3) | instid1(VALU_DEP_2)
	s_or_b32 exec_lo, exec_lo, s12
	v_dual_mov_b32 v0, v12 :: v_dual_and_b32 v13, 0xff, v12
	v_dual_mov_b32 v115, 0 :: v_dual_mov_b32 v114, 0
	s_mov_b32 s12, exec_lo
	v_cmpx_ne_u16_e32 0, v13
	s_cbranch_execz .LBB350_1171
; %bb.1164:                             ;   in Loop: Header=BB350_998 Depth=1
	v_bfrev_b32_e32 v114, 1
	s_mov_b32 s13, exec_lo
	v_cmpx_ne_u16_e32 0x80, v13
	s_cbranch_execz .LBB350_1170
; %bb.1165:                             ;   in Loop: Header=BB350_998 Depth=1
	v_and_b32_e32 v13, 0x7f, v12
	v_mov_b32_e32 v114, 0x7fc02000
	s_mov_b32 s15, exec_lo
	s_delay_alu instid0(VALU_DEP_2)
	v_cmpx_ne_u32_e32 0x7f, v13
	s_cbranch_execz .LBB350_1169
; %bb.1166:                             ;   in Loop: Header=BB350_998 Depth=1
	v_lshrrev_b32_e32 v114, 3, v13
	v_cmp_gt_u32_e64 s0, 8, v13
	v_dual_mov_b32 v14, v1 :: v_dual_mov_b32 v13, v0
	s_delay_alu instid0(VALU_DEP_2)
	s_and_saveexec_b32 s16, s0
; %bb.1167:                             ;   in Loop: Header=BB350_998 Depth=1
	v_and_b32_e32 v13, 7, v12
	s_delay_alu instid0(VALU_DEP_1) | instskip(NEXT) | instid1(VALU_DEP_1)
	v_clz_i32_u32_e32 v13, v13
	v_min_u32_e32 v114, 32, v13
	s_delay_alu instid0(VALU_DEP_1) | instskip(SKIP_1) | instid1(VALU_DEP_2)
	v_subrev_nc_u32_e32 v13, 28, v114
	v_sub_nc_u32_e32 v114, 29, v114
	v_lshlrev_b64 v[13:14], v13, v[0:1]
; %bb.1168:                             ;   in Loop: Header=BB350_998 Depth=1
	s_or_b32 exec_lo, exec_lo, s16
	v_lshlrev_b32_e32 v14, 8, v12
	s_delay_alu instid0(VALU_DEP_3) | instskip(NEXT) | instid1(VALU_DEP_3)
	v_lshl_add_u32 v114, v114, 10, 0x2000
	v_lshlrev_b32_e32 v13, 7, v13
	s_delay_alu instid0(VALU_DEP_2) | instskip(NEXT) | instid1(VALU_DEP_1)
	v_and_or_b32 v14, 0x8000, v14, v114
	v_and_or_b32 v13, 0x380, v13, v14
	s_delay_alu instid0(VALU_DEP_1)
	v_cvt_f32_f16_e32 v114, v13
.LBB350_1169:                           ;   in Loop: Header=BB350_998 Depth=1
	s_or_b32 exec_lo, exec_lo, s15
.LBB350_1170:                           ;   in Loop: Header=BB350_998 Depth=1
	s_delay_alu instid0(SALU_CYCLE_1)
	s_or_b32 exec_lo, exec_lo, s13
.LBB350_1171:                           ;   in Loop: Header=BB350_998 Depth=1
	s_delay_alu instid0(SALU_CYCLE_1) | instskip(SKIP_2) | instid1(VALU_DEP_1)
	s_or_b32 exec_lo, exec_lo, s12
	v_lshrrev_b16 v0, 8, v0
	s_mov_b32 s12, exec_lo
	v_cmpx_ne_u16_e32 0, v0
	s_cbranch_execz .LBB350_1179
; %bb.1172:                             ;   in Loop: Header=BB350_998 Depth=1
	v_bfrev_b32_e32 v115, 1
	s_mov_b32 s13, exec_lo
	v_cmpx_ne_u16_e32 0x80, v0
	s_cbranch_execz .LBB350_1178
; %bb.1173:                             ;   in Loop: Header=BB350_998 Depth=1
	v_and_b32_e32 v116, 0xffff, v0
	v_mov_b32_e32 v115, 0x7fc02000
	s_mov_b32 s15, exec_lo
	s_delay_alu instid0(VALU_DEP_2) | instskip(NEXT) | instid1(VALU_DEP_1)
	v_and_b32_e32 v13, 0x7f, v116
	v_cmpx_ne_u32_e32 0x7f, v13
	s_cbranch_execz .LBB350_1177
; %bb.1174:                             ;   in Loop: Header=BB350_998 Depth=1
	v_and_b32_e32 v0, 7, v116
	v_lshrrev_b32_e32 v115, 3, v13
	v_cmp_gt_u32_e64 s0, 8, v13
	s_delay_alu instid0(VALU_DEP_3) | instskip(NEXT) | instid1(VALU_DEP_2)
	v_dual_mov_b32 v14, v1 :: v_dual_mov_b32 v13, v0
	s_and_saveexec_b32 s16, s0
; %bb.1175:                             ;   in Loop: Header=BB350_998 Depth=1
	v_clz_i32_u32_e32 v13, v0
	s_delay_alu instid0(VALU_DEP_1) | instskip(NEXT) | instid1(VALU_DEP_1)
	v_min_u32_e32 v115, 32, v13
	v_subrev_nc_u32_e32 v13, 28, v115
	v_sub_nc_u32_e32 v115, 29, v115
	s_delay_alu instid0(VALU_DEP_2) | instskip(NEXT) | instid1(VALU_DEP_1)
	v_lshlrev_b64 v[13:14], v13, v[0:1]
	v_and_b32_e32 v13, 7, v13
; %bb.1176:                             ;   in Loop: Header=BB350_998 Depth=1
	s_or_b32 exec_lo, exec_lo, s16
	v_lshlrev_b32_e32 v0, 8, v116
	v_lshl_add_u32 v14, v115, 10, 0x2000
	s_delay_alu instid0(VALU_DEP_1) | instskip(NEXT) | instid1(VALU_DEP_1)
	v_and_or_b32 v0, 0x8000, v0, v14
	v_lshl_or_b32 v0, v13, 7, v0
	s_delay_alu instid0(VALU_DEP_1)
	v_cvt_f32_f16_e32 v115, v0
.LBB350_1177:                           ;   in Loop: Header=BB350_998 Depth=1
	s_or_b32 exec_lo, exec_lo, s15
.LBB350_1178:                           ;   in Loop: Header=BB350_998 Depth=1
	s_delay_alu instid0(SALU_CYCLE_1)
	s_or_b32 exec_lo, exec_lo, s13
.LBB350_1179:                           ;   in Loop: Header=BB350_998 Depth=1
	s_delay_alu instid0(SALU_CYCLE_1) | instskip(SKIP_3) | instid1(VALU_DEP_2)
	s_or_b32 exec_lo, exec_lo, s12
	v_lshrrev_b32_e32 v117, 16, v12
	v_mov_b32_e32 v116, 0
	s_mov_b32 s12, exec_lo
	v_dual_mov_b32 v13, 0 :: v_dual_and_b32 v0, 0xff, v117
	s_delay_alu instid0(VALU_DEP_1)
	v_cmpx_ne_u16_e32 0, v0
	s_cbranch_execz .LBB350_1187
; %bb.1180:                             ;   in Loop: Header=BB350_998 Depth=1
	v_bfrev_b32_e32 v13, 1
	s_mov_b32 s13, exec_lo
	v_cmpx_ne_u16_e32 0x80, v0
	s_cbranch_execz .LBB350_1186
; %bb.1181:                             ;   in Loop: Header=BB350_998 Depth=1
	v_bfe_u32 v14, v12, 16, 7
	v_mov_b32_e32 v13, 0x7fc02000
	s_mov_b32 s15, exec_lo
	s_delay_alu instid0(VALU_DEP_2)
	v_cmpx_ne_u32_e32 0x7f, v14
	s_cbranch_execz .LBB350_1185
; %bb.1182:                             ;   in Loop: Header=BB350_998 Depth=1
	v_and_b32_e32 v0, 7, v117
	v_lshrrev_b32_e32 v118, 3, v14
	v_cmp_gt_u32_e64 s0, 8, v14
	s_delay_alu instid0(VALU_DEP_3) | instskip(NEXT) | instid1(VALU_DEP_2)
	v_dual_mov_b32 v14, v1 :: v_dual_mov_b32 v13, v0
	s_and_saveexec_b32 s16, s0
; %bb.1183:                             ;   in Loop: Header=BB350_998 Depth=1
	v_clz_i32_u32_e32 v13, v0
	s_delay_alu instid0(VALU_DEP_1) | instskip(NEXT) | instid1(VALU_DEP_1)
	v_min_u32_e32 v118, 32, v13
	v_subrev_nc_u32_e32 v13, 28, v118
	v_sub_nc_u32_e32 v118, 29, v118
	s_delay_alu instid0(VALU_DEP_2) | instskip(NEXT) | instid1(VALU_DEP_1)
	v_lshlrev_b64 v[13:14], v13, v[0:1]
	v_and_b32_e32 v13, 7, v13
; %bb.1184:                             ;   in Loop: Header=BB350_998 Depth=1
	s_or_b32 exec_lo, exec_lo, s16
	v_lshlrev_b32_e32 v0, 8, v117
	v_lshl_add_u32 v14, v118, 10, 0x2000
	s_delay_alu instid0(VALU_DEP_1) | instskip(NEXT) | instid1(VALU_DEP_1)
	v_and_or_b32 v0, 0x8000, v0, v14
	v_lshl_or_b32 v0, v13, 7, v0
	s_delay_alu instid0(VALU_DEP_1)
	v_cvt_f32_f16_e32 v13, v0
.LBB350_1185:                           ;   in Loop: Header=BB350_998 Depth=1
	s_or_b32 exec_lo, exec_lo, s15
.LBB350_1186:                           ;   in Loop: Header=BB350_998 Depth=1
	s_delay_alu instid0(SALU_CYCLE_1)
	s_or_b32 exec_lo, exec_lo, s13
.LBB350_1187:                           ;   in Loop: Header=BB350_998 Depth=1
	s_delay_alu instid0(SALU_CYCLE_1) | instskip(NEXT) | instid1(SALU_CYCLE_1)
	s_or_b32 exec_lo, exec_lo, s12
	s_mov_b32 s12, exec_lo
	v_cmpx_lt_u64_e64 s[8:9], v[11:12]
	s_cbranch_execz .LBB350_1195
; %bb.1188:                             ;   in Loop: Header=BB350_998 Depth=1
	v_lshrrev_b32_e32 v14, 24, v12
	v_bfrev_b32_e32 v116, 1
	s_mov_b32 s13, exec_lo
	s_delay_alu instid0(VALU_DEP_2)
	v_cmpx_ne_u32_e32 0x80, v14
	s_cbranch_execz .LBB350_1194
; %bb.1189:                             ;   in Loop: Header=BB350_998 Depth=1
	v_and_b32_e32 v11, 0x7f, v14
	v_mov_b32_e32 v116, 0x7fc02000
	s_mov_b32 s15, exec_lo
	s_delay_alu instid0(VALU_DEP_2)
	v_cmpx_ne_u32_e32 0x7f, v11
	s_cbranch_execz .LBB350_1193
; %bb.1190:                             ;   in Loop: Header=BB350_998 Depth=1
	v_and_b32_e32 v0, 7, v14
	v_lshrrev_b32_e32 v116, 3, v11
	v_cmp_gt_u32_e64 s0, 8, v11
	s_delay_alu instid0(VALU_DEP_3) | instskip(NEXT) | instid1(VALU_DEP_2)
	v_dual_mov_b32 v12, v1 :: v_dual_mov_b32 v11, v0
	s_and_saveexec_b32 s16, s0
; %bb.1191:                             ;   in Loop: Header=BB350_998 Depth=1
	v_clz_i32_u32_e32 v11, v0
	s_delay_alu instid0(VALU_DEP_1) | instskip(NEXT) | instid1(VALU_DEP_1)
	v_min_u32_e32 v116, 32, v11
	v_subrev_nc_u32_e32 v11, 28, v116
	v_sub_nc_u32_e32 v116, 29, v116
	s_delay_alu instid0(VALU_DEP_2) | instskip(NEXT) | instid1(VALU_DEP_1)
	v_lshlrev_b64 v[11:12], v11, v[0:1]
	v_and_b32_e32 v11, 7, v11
; %bb.1192:                             ;   in Loop: Header=BB350_998 Depth=1
	s_or_b32 exec_lo, exec_lo, s16
	v_lshlrev_b32_e32 v0, 8, v14
	v_lshl_add_u32 v12, v116, 10, 0x2000
	s_delay_alu instid0(VALU_DEP_1) | instskip(NEXT) | instid1(VALU_DEP_1)
	v_and_or_b32 v0, 0x8000, v0, v12
	v_lshl_or_b32 v0, v11, 7, v0
	s_delay_alu instid0(VALU_DEP_1)
	v_cvt_f32_f16_e32 v116, v0
.LBB350_1193:                           ;   in Loop: Header=BB350_998 Depth=1
	s_or_b32 exec_lo, exec_lo, s15
.LBB350_1194:                           ;   in Loop: Header=BB350_998 Depth=1
	s_delay_alu instid0(SALU_CYCLE_1)
	s_or_b32 exec_lo, exec_lo, s13
.LBB350_1195:                           ;   in Loop: Header=BB350_998 Depth=1
	s_delay_alu instid0(SALU_CYCLE_1)
	s_or_b32 exec_lo, exec_lo, s12
	s_waitcnt vmcnt(0) lgkmcnt(0)
	v_fma_mixlo_f16 v12, v101, v103, 0
	v_fma_mixlo_f16 v0, v101, v113, 0
	;; [unrolled: 1-line block ×5, first 2 shown]
	v_lshlrev_b32_e32 v14, 16, v12
	v_fma_mixlo_f16 v112, v101, v114, 0
	v_fma_mixlo_f16 v113, v101, v116, 0
	;; [unrolled: 1-line block ×3, first 2 shown]
	v_lshlrev_b32_e32 v0, 16, v0
	v_and_b32_e32 v11, 0xffff, v11
	v_and_b32_e32 v101, 0xffff, v102
	v_lshlrev_b32_e32 v102, 16, v103
	v_and_b32_e32 v103, 0xffff, v112
	v_lshlrev_b32_e32 v112, 16, v113
	v_and_b32_e32 v113, 0xffff, v12
	v_or_b32_e32 v13, v0, v11
	v_or_b32_e32 v14, v14, v101
	;; [unrolled: 1-line block ×3, first 2 shown]
	s_delay_alu instid0(VALU_DEP_4)
	v_or_b32_e32 v11, v112, v113
	s_and_saveexec_b32 s12, vcc_lo
	s_cbranch_execz .LBB350_1197
; %bb.1196:                             ;   in Loop: Header=BB350_998 Depth=1
	v_cmp_lt_i32_e64 s0, v19, v38
	v_lshrrev_b32_e32 v101, 16, v14
	v_lshrrev_b32_e32 v102, 16, v13
	;; [unrolled: 1-line block ×4, first 2 shown]
	v_cndmask_b32_e64 v14, 0, v14, s0
	v_cmp_lt_i32_e64 s0, v98, v55
	s_delay_alu instid0(VALU_DEP_1) | instskip(SKIP_1) | instid1(VALU_DEP_2)
	v_cndmask_b32_e64 v101, 0, v101, s0
	v_cmp_lt_i32_e64 s0, v97, v55
	v_perm_b32 v14, v101, v14, 0x5040100
	s_delay_alu instid0(VALU_DEP_2) | instskip(SKIP_1) | instid1(VALU_DEP_1)
	v_cndmask_b32_e64 v102, 0, v102, s0
	v_cmp_lt_i32_e64 s0, v86, v38
	v_cndmask_b32_e64 v13, 0, v13, s0
	v_cmp_lt_i32_e64 s0, v81, v55
	s_delay_alu instid0(VALU_DEP_2) | instskip(NEXT) | instid1(VALU_DEP_2)
	v_perm_b32 v13, v102, v13, 0x5040100
	v_cndmask_b32_e64 v103, 0, v103, s0
	v_cmp_lt_i32_e64 s0, v80, v38
	s_delay_alu instid0(VALU_DEP_1) | instskip(SKIP_1) | instid1(VALU_DEP_2)
	v_cndmask_b32_e64 v0, 0, v0, s0
	v_cmp_lt_i32_e64 s0, v71, v55
	v_perm_b32 v0, v103, v0, 0x5040100
	s_delay_alu instid0(VALU_DEP_2) | instskip(SKIP_1) | instid1(VALU_DEP_1)
	v_cndmask_b32_e64 v11, 0, v11, s0
	v_cmp_lt_i32_e64 s0, v64, v38
	v_cndmask_b32_e64 v12, 0, v12, s0
	s_delay_alu instid0(VALU_DEP_1)
	v_perm_b32 v11, v11, v12, 0x5040100
.LBB350_1197:                           ;   in Loop: Header=BB350_998 Depth=1
	s_or_b32 exec_lo, exec_lo, s12
	;;#ASMSTART
	v_pk_mul_f16 v12, v96, v14;

	;;#ASMEND
	;;#ASMSTART
	v_pk_mul_f16 v13, v87, v13;

	;;#ASMEND
	;; [unrolled: 4-line block ×4, first 2 shown]
	;;#ASMSTART
	v_pk_add_f16 v12, v12, v13;

	;;#ASMEND
	;;#ASMSTART
	v_pk_add_f16 v0, v12, v0;

	;;#ASMEND
	;; [unrolled: 4-line block ×3, first 2 shown]
	v_dual_mov_b32 v112, 0 :: v_dual_and_b32 v11, 0xffff, v0
	v_lshrrev_b32_e32 v0, 16, v0
	;;#ASMSTART
	v_cvt_f32_f16 v101, v11;
	;;#ASMEND
	;;#ASMSTART
	v_cvt_f32_f16 v102, v0;
	;;#ASMEND
	flat_load_b64 v[11:12], v[9:10] offset:768
	flat_load_b32 v103, v[26:27]
	s_mov_b32 s12, exec_lo
	s_waitcnt vmcnt(1) lgkmcnt(1)
	v_dual_mov_b32 v113, 0 :: v_dual_and_b32 v0, 0xff, v11
	s_delay_alu instid0(VALU_DEP_1)
	v_cmpx_ne_u16_e32 0, v0
	s_cbranch_execz .LBB350_1205
; %bb.1198:                             ;   in Loop: Header=BB350_998 Depth=1
	v_bfrev_b32_e32 v112, 1
	s_mov_b32 s13, exec_lo
	v_cmpx_ne_u16_e32 0x80, v0
	s_cbranch_execz .LBB350_1204
; %bb.1199:                             ;   in Loop: Header=BB350_998 Depth=1
	v_and_b32_e32 v13, 0x7f, v11
	v_mov_b32_e32 v112, 0x7fc02000
	s_mov_b32 s15, exec_lo
	s_delay_alu instid0(VALU_DEP_2)
	v_cmpx_ne_u32_e32 0x7f, v13
	s_cbranch_execz .LBB350_1203
; %bb.1200:                             ;   in Loop: Header=BB350_998 Depth=1
	v_lshrrev_b32_e32 v0, 3, v13
	v_cmp_gt_u32_e64 s0, 8, v13
	v_dual_mov_b32 v14, v12 :: v_dual_mov_b32 v13, v11
	s_delay_alu instid0(VALU_DEP_2)
	s_and_saveexec_b32 s16, s0
; %bb.1201:                             ;   in Loop: Header=BB350_998 Depth=1
	v_and_b32_e32 v0, 7, v11
	s_delay_alu instid0(VALU_DEP_1) | instskip(NEXT) | instid1(VALU_DEP_1)
	v_clz_i32_u32_e32 v0, v0
	v_min_u32_e32 v0, 32, v0
	s_delay_alu instid0(VALU_DEP_1) | instskip(SKIP_1) | instid1(VALU_DEP_2)
	v_subrev_nc_u32_e32 v13, 28, v0
	v_sub_nc_u32_e32 v0, 29, v0
	v_lshlrev_b64 v[13:14], v13, v[11:12]
; %bb.1202:                             ;   in Loop: Header=BB350_998 Depth=1
	s_or_b32 exec_lo, exec_lo, s16
	v_lshlrev_b32_e32 v14, 8, v11
	s_delay_alu instid0(VALU_DEP_3) | instskip(NEXT) | instid1(VALU_DEP_3)
	v_lshl_add_u32 v0, v0, 10, 0x2000
	v_lshlrev_b32_e32 v13, 7, v13
	s_delay_alu instid0(VALU_DEP_2) | instskip(NEXT) | instid1(VALU_DEP_1)
	v_and_or_b32 v0, 0x8000, v14, v0
	v_and_or_b32 v0, 0x380, v13, v0
	s_delay_alu instid0(VALU_DEP_1)
	v_cvt_f32_f16_e32 v112, v0
.LBB350_1203:                           ;   in Loop: Header=BB350_998 Depth=1
	s_or_b32 exec_lo, exec_lo, s15
.LBB350_1204:                           ;   in Loop: Header=BB350_998 Depth=1
	s_delay_alu instid0(SALU_CYCLE_1)
	s_or_b32 exec_lo, exec_lo, s13
.LBB350_1205:                           ;   in Loop: Header=BB350_998 Depth=1
	s_delay_alu instid0(SALU_CYCLE_1) | instskip(SKIP_2) | instid1(VALU_DEP_1)
	s_or_b32 exec_lo, exec_lo, s12
	v_lshrrev_b16 v0, 8, v11
	s_mov_b32 s12, exec_lo
	v_cmpx_ne_u16_e32 0, v0
	s_cbranch_execz .LBB350_1213
; %bb.1206:                             ;   in Loop: Header=BB350_998 Depth=1
	v_bfrev_b32_e32 v113, 1
	s_mov_b32 s13, exec_lo
	v_cmpx_ne_u16_e32 0x80, v0
	s_cbranch_execz .LBB350_1212
; %bb.1207:                             ;   in Loop: Header=BB350_998 Depth=1
	v_and_b32_e32 v114, 0xffff, v0
	v_mov_b32_e32 v113, 0x7fc02000
	s_mov_b32 s15, exec_lo
	s_delay_alu instid0(VALU_DEP_2) | instskip(NEXT) | instid1(VALU_DEP_1)
	v_and_b32_e32 v13, 0x7f, v114
	v_cmpx_ne_u32_e32 0x7f, v13
	s_cbranch_execz .LBB350_1211
; %bb.1208:                             ;   in Loop: Header=BB350_998 Depth=1
	v_and_b32_e32 v0, 7, v114
	v_lshrrev_b32_e32 v113, 3, v13
	v_cmp_gt_u32_e64 s0, 8, v13
	s_delay_alu instid0(VALU_DEP_3) | instskip(NEXT) | instid1(VALU_DEP_2)
	v_dual_mov_b32 v14, v1 :: v_dual_mov_b32 v13, v0
	s_and_saveexec_b32 s16, s0
; %bb.1209:                             ;   in Loop: Header=BB350_998 Depth=1
	v_clz_i32_u32_e32 v13, v0
	s_delay_alu instid0(VALU_DEP_1) | instskip(NEXT) | instid1(VALU_DEP_1)
	v_min_u32_e32 v113, 32, v13
	v_subrev_nc_u32_e32 v13, 28, v113
	v_sub_nc_u32_e32 v113, 29, v113
	s_delay_alu instid0(VALU_DEP_2) | instskip(NEXT) | instid1(VALU_DEP_1)
	v_lshlrev_b64 v[13:14], v13, v[0:1]
	v_and_b32_e32 v13, 7, v13
; %bb.1210:                             ;   in Loop: Header=BB350_998 Depth=1
	s_or_b32 exec_lo, exec_lo, s16
	v_lshlrev_b32_e32 v0, 8, v114
	v_lshl_add_u32 v14, v113, 10, 0x2000
	s_delay_alu instid0(VALU_DEP_1) | instskip(NEXT) | instid1(VALU_DEP_1)
	v_and_or_b32 v0, 0x8000, v0, v14
	v_lshl_or_b32 v0, v13, 7, v0
	s_delay_alu instid0(VALU_DEP_1)
	v_cvt_f32_f16_e32 v113, v0
.LBB350_1211:                           ;   in Loop: Header=BB350_998 Depth=1
	s_or_b32 exec_lo, exec_lo, s15
.LBB350_1212:                           ;   in Loop: Header=BB350_998 Depth=1
	s_delay_alu instid0(SALU_CYCLE_1)
	s_or_b32 exec_lo, exec_lo, s13
.LBB350_1213:                           ;   in Loop: Header=BB350_998 Depth=1
	s_delay_alu instid0(SALU_CYCLE_1) | instskip(SKIP_3) | instid1(VALU_DEP_2)
	s_or_b32 exec_lo, exec_lo, s12
	v_lshrrev_b32_e32 v116, 16, v11
	v_mov_b32_e32 v114, 0
	s_mov_b32 s12, exec_lo
	v_dual_mov_b32 v115, 0 :: v_dual_and_b32 v0, 0xff, v116
	s_delay_alu instid0(VALU_DEP_1)
	v_cmpx_ne_u16_e32 0, v0
	s_cbranch_execz .LBB350_1221
; %bb.1214:                             ;   in Loop: Header=BB350_998 Depth=1
	v_bfrev_b32_e32 v114, 1
	s_mov_b32 s13, exec_lo
	v_cmpx_ne_u16_e32 0x80, v0
	s_cbranch_execz .LBB350_1220
; %bb.1215:                             ;   in Loop: Header=BB350_998 Depth=1
	v_bfe_u32 v13, v11, 16, 7
	v_mov_b32_e32 v114, 0x7fc02000
	s_mov_b32 s15, exec_lo
	s_delay_alu instid0(VALU_DEP_2)
	v_cmpx_ne_u32_e32 0x7f, v13
	s_cbranch_execz .LBB350_1219
; %bb.1216:                             ;   in Loop: Header=BB350_998 Depth=1
	v_and_b32_e32 v0, 7, v116
	v_lshrrev_b32_e32 v114, 3, v13
	v_cmp_gt_u32_e64 s0, 8, v13
	s_delay_alu instid0(VALU_DEP_3) | instskip(NEXT) | instid1(VALU_DEP_2)
	v_dual_mov_b32 v14, v1 :: v_dual_mov_b32 v13, v0
	s_and_saveexec_b32 s16, s0
; %bb.1217:                             ;   in Loop: Header=BB350_998 Depth=1
	v_clz_i32_u32_e32 v13, v0
	s_delay_alu instid0(VALU_DEP_1) | instskip(NEXT) | instid1(VALU_DEP_1)
	v_min_u32_e32 v114, 32, v13
	v_subrev_nc_u32_e32 v13, 28, v114
	v_sub_nc_u32_e32 v114, 29, v114
	s_delay_alu instid0(VALU_DEP_2) | instskip(NEXT) | instid1(VALU_DEP_1)
	v_lshlrev_b64 v[13:14], v13, v[0:1]
	v_and_b32_e32 v13, 7, v13
; %bb.1218:                             ;   in Loop: Header=BB350_998 Depth=1
	s_or_b32 exec_lo, exec_lo, s16
	v_lshlrev_b32_e32 v0, 8, v116
	v_lshl_add_u32 v14, v114, 10, 0x2000
	s_delay_alu instid0(VALU_DEP_1) | instskip(NEXT) | instid1(VALU_DEP_1)
	v_and_or_b32 v0, 0x8000, v0, v14
	v_lshl_or_b32 v0, v13, 7, v0
	s_delay_alu instid0(VALU_DEP_1)
	v_cvt_f32_f16_e32 v114, v0
.LBB350_1219:                           ;   in Loop: Header=BB350_998 Depth=1
	s_or_b32 exec_lo, exec_lo, s15
.LBB350_1220:                           ;   in Loop: Header=BB350_998 Depth=1
	s_delay_alu instid0(SALU_CYCLE_1)
	s_or_b32 exec_lo, exec_lo, s13
.LBB350_1221:                           ;   in Loop: Header=BB350_998 Depth=1
	s_delay_alu instid0(SALU_CYCLE_1) | instskip(NEXT) | instid1(SALU_CYCLE_1)
	s_or_b32 exec_lo, exec_lo, s12
	s_mov_b32 s12, exec_lo
	v_cmpx_lt_u32_e32 0xffffff, v11
	s_cbranch_execz .LBB350_1229
; %bb.1222:                             ;   in Loop: Header=BB350_998 Depth=1
	v_lshrrev_b32_e32 v116, 24, v11
	v_bfrev_b32_e32 v115, 1
	s_mov_b32 s13, exec_lo
	s_delay_alu instid0(VALU_DEP_2)
	v_cmpx_ne_u32_e32 0x80, v116
	s_cbranch_execz .LBB350_1228
; %bb.1223:                             ;   in Loop: Header=BB350_998 Depth=1
	v_and_b32_e32 v13, 0x7f, v116
	v_mov_b32_e32 v115, 0x7fc02000
	s_mov_b32 s15, exec_lo
	s_delay_alu instid0(VALU_DEP_2)
	v_cmpx_ne_u32_e32 0x7f, v13
	s_cbranch_execz .LBB350_1227
; %bb.1224:                             ;   in Loop: Header=BB350_998 Depth=1
	v_and_b32_e32 v0, 7, v116
	v_lshrrev_b32_e32 v115, 3, v13
	v_cmp_gt_u32_e64 s0, 8, v13
	s_delay_alu instid0(VALU_DEP_3) | instskip(NEXT) | instid1(VALU_DEP_2)
	v_dual_mov_b32 v14, v1 :: v_dual_mov_b32 v13, v0
	s_and_saveexec_b32 s16, s0
; %bb.1225:                             ;   in Loop: Header=BB350_998 Depth=1
	v_clz_i32_u32_e32 v13, v0
	s_delay_alu instid0(VALU_DEP_1) | instskip(NEXT) | instid1(VALU_DEP_1)
	v_min_u32_e32 v115, 32, v13
	v_subrev_nc_u32_e32 v13, 28, v115
	v_sub_nc_u32_e32 v115, 29, v115
	s_delay_alu instid0(VALU_DEP_2) | instskip(NEXT) | instid1(VALU_DEP_1)
	v_lshlrev_b64 v[13:14], v13, v[0:1]
	v_and_b32_e32 v13, 7, v13
; %bb.1226:                             ;   in Loop: Header=BB350_998 Depth=1
	s_or_b32 exec_lo, exec_lo, s16
	v_lshlrev_b32_e32 v0, 8, v116
	v_lshl_add_u32 v14, v115, 10, 0x2000
	s_delay_alu instid0(VALU_DEP_1) | instskip(NEXT) | instid1(VALU_DEP_1)
	v_and_or_b32 v0, 0x8000, v0, v14
	v_lshl_or_b32 v0, v13, 7, v0
	s_delay_alu instid0(VALU_DEP_1)
	v_cvt_f32_f16_e32 v115, v0
.LBB350_1227:                           ;   in Loop: Header=BB350_998 Depth=1
	s_or_b32 exec_lo, exec_lo, s15
.LBB350_1228:                           ;   in Loop: Header=BB350_998 Depth=1
	s_delay_alu instid0(SALU_CYCLE_1)
	s_or_b32 exec_lo, exec_lo, s13
.LBB350_1229:                           ;   in Loop: Header=BB350_998 Depth=1
	s_delay_alu instid0(SALU_CYCLE_1) | instskip(SKIP_3) | instid1(VALU_DEP_2)
	s_or_b32 exec_lo, exec_lo, s12
	v_dual_mov_b32 v0, v12 :: v_dual_and_b32 v13, 0xff, v12
	v_dual_mov_b32 v117, 0 :: v_dual_mov_b32 v116, 0
	s_mov_b32 s12, exec_lo
	v_cmpx_ne_u16_e32 0, v13
	s_cbranch_execz .LBB350_1237
; %bb.1230:                             ;   in Loop: Header=BB350_998 Depth=1
	v_bfrev_b32_e32 v116, 1
	s_mov_b32 s13, exec_lo
	v_cmpx_ne_u16_e32 0x80, v13
	s_cbranch_execz .LBB350_1236
; %bb.1231:                             ;   in Loop: Header=BB350_998 Depth=1
	v_and_b32_e32 v13, 0x7f, v12
	v_mov_b32_e32 v116, 0x7fc02000
	s_mov_b32 s15, exec_lo
	s_delay_alu instid0(VALU_DEP_2)
	v_cmpx_ne_u32_e32 0x7f, v13
	s_cbranch_execz .LBB350_1235
; %bb.1232:                             ;   in Loop: Header=BB350_998 Depth=1
	v_lshrrev_b32_e32 v116, 3, v13
	v_cmp_gt_u32_e64 s0, 8, v13
	v_dual_mov_b32 v14, v1 :: v_dual_mov_b32 v13, v0
	s_delay_alu instid0(VALU_DEP_2)
	s_and_saveexec_b32 s16, s0
; %bb.1233:                             ;   in Loop: Header=BB350_998 Depth=1
	v_and_b32_e32 v13, 7, v12
	s_delay_alu instid0(VALU_DEP_1) | instskip(NEXT) | instid1(VALU_DEP_1)
	v_clz_i32_u32_e32 v13, v13
	v_min_u32_e32 v116, 32, v13
	s_delay_alu instid0(VALU_DEP_1) | instskip(SKIP_1) | instid1(VALU_DEP_2)
	v_subrev_nc_u32_e32 v13, 28, v116
	v_sub_nc_u32_e32 v116, 29, v116
	v_lshlrev_b64 v[13:14], v13, v[0:1]
; %bb.1234:                             ;   in Loop: Header=BB350_998 Depth=1
	s_or_b32 exec_lo, exec_lo, s16
	v_lshlrev_b32_e32 v14, 8, v12
	s_delay_alu instid0(VALU_DEP_3) | instskip(NEXT) | instid1(VALU_DEP_3)
	v_lshl_add_u32 v116, v116, 10, 0x2000
	v_lshlrev_b32_e32 v13, 7, v13
	s_delay_alu instid0(VALU_DEP_2) | instskip(NEXT) | instid1(VALU_DEP_1)
	v_and_or_b32 v14, 0x8000, v14, v116
	v_and_or_b32 v13, 0x380, v13, v14
	s_delay_alu instid0(VALU_DEP_1)
	v_cvt_f32_f16_e32 v116, v13
.LBB350_1235:                           ;   in Loop: Header=BB350_998 Depth=1
	s_or_b32 exec_lo, exec_lo, s15
.LBB350_1236:                           ;   in Loop: Header=BB350_998 Depth=1
	s_delay_alu instid0(SALU_CYCLE_1)
	s_or_b32 exec_lo, exec_lo, s13
.LBB350_1237:                           ;   in Loop: Header=BB350_998 Depth=1
	s_delay_alu instid0(SALU_CYCLE_1) | instskip(SKIP_2) | instid1(VALU_DEP_1)
	s_or_b32 exec_lo, exec_lo, s12
	v_lshrrev_b16 v0, 8, v0
	s_mov_b32 s12, exec_lo
	v_cmpx_ne_u16_e32 0, v0
	s_cbranch_execz .LBB350_1245
; %bb.1238:                             ;   in Loop: Header=BB350_998 Depth=1
	v_bfrev_b32_e32 v117, 1
	s_mov_b32 s13, exec_lo
	v_cmpx_ne_u16_e32 0x80, v0
	s_cbranch_execz .LBB350_1244
; %bb.1239:                             ;   in Loop: Header=BB350_998 Depth=1
	v_and_b32_e32 v118, 0xffff, v0
	v_mov_b32_e32 v117, 0x7fc02000
	s_mov_b32 s15, exec_lo
	s_delay_alu instid0(VALU_DEP_2) | instskip(NEXT) | instid1(VALU_DEP_1)
	v_and_b32_e32 v13, 0x7f, v118
	v_cmpx_ne_u32_e32 0x7f, v13
	s_cbranch_execz .LBB350_1243
; %bb.1240:                             ;   in Loop: Header=BB350_998 Depth=1
	v_and_b32_e32 v0, 7, v118
	v_lshrrev_b32_e32 v117, 3, v13
	v_cmp_gt_u32_e64 s0, 8, v13
	s_delay_alu instid0(VALU_DEP_3) | instskip(NEXT) | instid1(VALU_DEP_2)
	v_dual_mov_b32 v14, v1 :: v_dual_mov_b32 v13, v0
	s_and_saveexec_b32 s16, s0
; %bb.1241:                             ;   in Loop: Header=BB350_998 Depth=1
	v_clz_i32_u32_e32 v13, v0
	s_delay_alu instid0(VALU_DEP_1) | instskip(NEXT) | instid1(VALU_DEP_1)
	v_min_u32_e32 v117, 32, v13
	v_subrev_nc_u32_e32 v13, 28, v117
	v_sub_nc_u32_e32 v117, 29, v117
	s_delay_alu instid0(VALU_DEP_2) | instskip(NEXT) | instid1(VALU_DEP_1)
	v_lshlrev_b64 v[13:14], v13, v[0:1]
	v_and_b32_e32 v13, 7, v13
; %bb.1242:                             ;   in Loop: Header=BB350_998 Depth=1
	s_or_b32 exec_lo, exec_lo, s16
	v_lshlrev_b32_e32 v0, 8, v118
	v_lshl_add_u32 v14, v117, 10, 0x2000
	s_delay_alu instid0(VALU_DEP_1) | instskip(NEXT) | instid1(VALU_DEP_1)
	v_and_or_b32 v0, 0x8000, v0, v14
	v_lshl_or_b32 v0, v13, 7, v0
	s_delay_alu instid0(VALU_DEP_1)
	v_cvt_f32_f16_e32 v117, v0
.LBB350_1243:                           ;   in Loop: Header=BB350_998 Depth=1
	s_or_b32 exec_lo, exec_lo, s15
.LBB350_1244:                           ;   in Loop: Header=BB350_998 Depth=1
	s_delay_alu instid0(SALU_CYCLE_1)
	s_or_b32 exec_lo, exec_lo, s13
.LBB350_1245:                           ;   in Loop: Header=BB350_998 Depth=1
	s_delay_alu instid0(SALU_CYCLE_1) | instskip(SKIP_3) | instid1(VALU_DEP_2)
	s_or_b32 exec_lo, exec_lo, s12
	v_lshrrev_b32_e32 v119, 16, v12
	v_mov_b32_e32 v118, 0
	s_mov_b32 s12, exec_lo
	v_dual_mov_b32 v13, 0 :: v_dual_and_b32 v0, 0xff, v119
	s_delay_alu instid0(VALU_DEP_1)
	v_cmpx_ne_u16_e32 0, v0
	s_cbranch_execz .LBB350_1253
; %bb.1246:                             ;   in Loop: Header=BB350_998 Depth=1
	v_bfrev_b32_e32 v13, 1
	s_mov_b32 s13, exec_lo
	v_cmpx_ne_u16_e32 0x80, v0
	s_cbranch_execz .LBB350_1252
; %bb.1247:                             ;   in Loop: Header=BB350_998 Depth=1
	v_bfe_u32 v14, v12, 16, 7
	v_mov_b32_e32 v13, 0x7fc02000
	s_mov_b32 s15, exec_lo
	s_delay_alu instid0(VALU_DEP_2)
	v_cmpx_ne_u32_e32 0x7f, v14
	s_cbranch_execz .LBB350_1251
; %bb.1248:                             ;   in Loop: Header=BB350_998 Depth=1
	v_and_b32_e32 v0, 7, v119
	v_lshrrev_b32_e32 v128, 3, v14
	v_cmp_gt_u32_e64 s0, 8, v14
	s_delay_alu instid0(VALU_DEP_3) | instskip(NEXT) | instid1(VALU_DEP_2)
	v_dual_mov_b32 v14, v1 :: v_dual_mov_b32 v13, v0
	s_and_saveexec_b32 s16, s0
; %bb.1249:                             ;   in Loop: Header=BB350_998 Depth=1
	v_clz_i32_u32_e32 v13, v0
	s_delay_alu instid0(VALU_DEP_1) | instskip(NEXT) | instid1(VALU_DEP_1)
	v_min_u32_e32 v128, 32, v13
	v_subrev_nc_u32_e32 v13, 28, v128
	v_sub_nc_u32_e32 v128, 29, v128
	s_delay_alu instid0(VALU_DEP_2) | instskip(NEXT) | instid1(VALU_DEP_1)
	v_lshlrev_b64 v[13:14], v13, v[0:1]
	v_and_b32_e32 v13, 7, v13
; %bb.1250:                             ;   in Loop: Header=BB350_998 Depth=1
	s_or_b32 exec_lo, exec_lo, s16
	v_lshlrev_b32_e32 v0, 8, v119
	v_lshl_add_u32 v14, v128, 10, 0x2000
	s_delay_alu instid0(VALU_DEP_1) | instskip(NEXT) | instid1(VALU_DEP_1)
	v_and_or_b32 v0, 0x8000, v0, v14
	v_lshl_or_b32 v0, v13, 7, v0
	s_delay_alu instid0(VALU_DEP_1)
	v_cvt_f32_f16_e32 v13, v0
.LBB350_1251:                           ;   in Loop: Header=BB350_998 Depth=1
	s_or_b32 exec_lo, exec_lo, s15
.LBB350_1252:                           ;   in Loop: Header=BB350_998 Depth=1
	s_delay_alu instid0(SALU_CYCLE_1)
	s_or_b32 exec_lo, exec_lo, s13
.LBB350_1253:                           ;   in Loop: Header=BB350_998 Depth=1
	s_delay_alu instid0(SALU_CYCLE_1) | instskip(NEXT) | instid1(SALU_CYCLE_1)
	s_or_b32 exec_lo, exec_lo, s12
	s_mov_b32 s12, exec_lo
	v_cmpx_lt_u64_e64 s[8:9], v[11:12]
	s_cbranch_execz .LBB350_1261
; %bb.1254:                             ;   in Loop: Header=BB350_998 Depth=1
	v_lshrrev_b32_e32 v14, 24, v12
	v_bfrev_b32_e32 v118, 1
	s_mov_b32 s13, exec_lo
	s_delay_alu instid0(VALU_DEP_2)
	v_cmpx_ne_u32_e32 0x80, v14
	s_cbranch_execz .LBB350_1260
; %bb.1255:                             ;   in Loop: Header=BB350_998 Depth=1
	v_and_b32_e32 v11, 0x7f, v14
	v_mov_b32_e32 v118, 0x7fc02000
	s_mov_b32 s15, exec_lo
	s_delay_alu instid0(VALU_DEP_2)
	v_cmpx_ne_u32_e32 0x7f, v11
	s_cbranch_execz .LBB350_1259
; %bb.1256:                             ;   in Loop: Header=BB350_998 Depth=1
	v_and_b32_e32 v0, 7, v14
	v_lshrrev_b32_e32 v118, 3, v11
	v_cmp_gt_u32_e64 s0, 8, v11
	s_delay_alu instid0(VALU_DEP_3) | instskip(NEXT) | instid1(VALU_DEP_2)
	v_dual_mov_b32 v12, v1 :: v_dual_mov_b32 v11, v0
	s_and_saveexec_b32 s16, s0
; %bb.1257:                             ;   in Loop: Header=BB350_998 Depth=1
	v_clz_i32_u32_e32 v11, v0
	s_delay_alu instid0(VALU_DEP_1) | instskip(NEXT) | instid1(VALU_DEP_1)
	v_min_u32_e32 v118, 32, v11
	v_subrev_nc_u32_e32 v11, 28, v118
	v_sub_nc_u32_e32 v118, 29, v118
	s_delay_alu instid0(VALU_DEP_2) | instskip(NEXT) | instid1(VALU_DEP_1)
	v_lshlrev_b64 v[11:12], v11, v[0:1]
	v_and_b32_e32 v11, 7, v11
; %bb.1258:                             ;   in Loop: Header=BB350_998 Depth=1
	s_or_b32 exec_lo, exec_lo, s16
	v_lshlrev_b32_e32 v0, 8, v14
	v_lshl_add_u32 v12, v118, 10, 0x2000
	s_delay_alu instid0(VALU_DEP_1) | instskip(NEXT) | instid1(VALU_DEP_1)
	v_and_or_b32 v0, 0x8000, v0, v12
	v_lshl_or_b32 v0, v11, 7, v0
	s_delay_alu instid0(VALU_DEP_1)
	v_cvt_f32_f16_e32 v118, v0
.LBB350_1259:                           ;   in Loop: Header=BB350_998 Depth=1
	s_or_b32 exec_lo, exec_lo, s15
.LBB350_1260:                           ;   in Loop: Header=BB350_998 Depth=1
	s_delay_alu instid0(SALU_CYCLE_1)
	s_or_b32 exec_lo, exec_lo, s13
.LBB350_1261:                           ;   in Loop: Header=BB350_998 Depth=1
	s_delay_alu instid0(SALU_CYCLE_1)
	s_or_b32 exec_lo, exec_lo, s12
	s_waitcnt vmcnt(0) lgkmcnt(0)
	v_fma_mixlo_f16 v12, v103, v113, 0
	v_fma_mixlo_f16 v0, v103, v115, 0
	;; [unrolled: 1-line block ×5, first 2 shown]
	v_lshlrev_b32_e32 v14, 16, v12
	v_fma_mixlo_f16 v114, v103, v116, 0
	v_fma_mixlo_f16 v115, v103, v118, 0
	;; [unrolled: 1-line block ×3, first 2 shown]
	v_lshlrev_b32_e32 v0, 16, v0
	v_and_b32_e32 v11, 0xffff, v11
	v_and_b32_e32 v103, 0xffff, v112
	v_lshlrev_b32_e32 v112, 16, v113
	v_and_b32_e32 v113, 0xffff, v114
	v_lshlrev_b32_e32 v114, 16, v115
	v_and_b32_e32 v115, 0xffff, v12
	v_or_b32_e32 v13, v0, v11
	v_or_b32_e32 v14, v14, v103
	;; [unrolled: 1-line block ×3, first 2 shown]
	s_delay_alu instid0(VALU_DEP_4)
	v_or_b32_e32 v11, v114, v115
	s_and_saveexec_b32 s12, vcc_lo
	s_cbranch_execz .LBB350_1263
; %bb.1262:                             ;   in Loop: Header=BB350_998 Depth=1
	v_cmp_lt_i32_e64 s0, v19, v38
	v_lshrrev_b32_e32 v103, 16, v14
	v_lshrrev_b32_e32 v112, 16, v13
	v_lshrrev_b32_e32 v113, 16, v0
	v_lshrrev_b32_e32 v11, 16, v11
	v_cndmask_b32_e64 v14, 0, v14, s0
	v_cmp_lt_i32_e64 s0, v98, v55
	s_delay_alu instid0(VALU_DEP_1) | instskip(SKIP_1) | instid1(VALU_DEP_2)
	v_cndmask_b32_e64 v103, 0, v103, s0
	v_cmp_lt_i32_e64 s0, v97, v55
	v_perm_b32 v14, v103, v14, 0x5040100
	s_delay_alu instid0(VALU_DEP_2) | instskip(SKIP_1) | instid1(VALU_DEP_1)
	v_cndmask_b32_e64 v112, 0, v112, s0
	v_cmp_lt_i32_e64 s0, v86, v38
	v_cndmask_b32_e64 v13, 0, v13, s0
	v_cmp_lt_i32_e64 s0, v81, v55
	s_delay_alu instid0(VALU_DEP_2) | instskip(NEXT) | instid1(VALU_DEP_2)
	v_perm_b32 v13, v112, v13, 0x5040100
	v_cndmask_b32_e64 v113, 0, v113, s0
	v_cmp_lt_i32_e64 s0, v80, v38
	s_delay_alu instid0(VALU_DEP_1) | instskip(SKIP_1) | instid1(VALU_DEP_2)
	v_cndmask_b32_e64 v0, 0, v0, s0
	v_cmp_lt_i32_e64 s0, v71, v55
	v_perm_b32 v0, v113, v0, 0x5040100
	s_delay_alu instid0(VALU_DEP_2) | instskip(SKIP_1) | instid1(VALU_DEP_1)
	v_cndmask_b32_e64 v11, 0, v11, s0
	v_cmp_lt_i32_e64 s0, v64, v38
	v_cndmask_b32_e64 v12, 0, v12, s0
	s_delay_alu instid0(VALU_DEP_1)
	v_perm_b32 v11, v11, v12, 0x5040100
.LBB350_1263:                           ;   in Loop: Header=BB350_998 Depth=1
	s_or_b32 exec_lo, exec_lo, s12
	;;#ASMSTART
	v_pk_mul_f16 v12, v96, v14;

	;;#ASMEND
	;;#ASMSTART
	v_pk_mul_f16 v13, v87, v13;

	;;#ASMEND
	;; [unrolled: 4-line block ×4, first 2 shown]
	;;#ASMSTART
	v_pk_add_f16 v12, v12, v13;

	;;#ASMEND
	;;#ASMSTART
	v_pk_add_f16 v0, v12, v0;

	;;#ASMEND
	;; [unrolled: 4-line block ×3, first 2 shown]
	v_dual_mov_b32 v114, 0 :: v_dual_and_b32 v11, 0xffff, v0
	v_lshrrev_b32_e32 v0, 16, v0
	;;#ASMSTART
	v_cvt_f32_f16 v103, v11;
	;;#ASMEND
	;;#ASMSTART
	v_cvt_f32_f16 v112, v0;
	;;#ASMEND
	flat_load_b64 v[11:12], v[9:10] offset:1024
	flat_load_b32 v113, v[26:27]
	s_mov_b32 s12, exec_lo
	s_waitcnt vmcnt(1) lgkmcnt(1)
	v_dual_mov_b32 v115, 0 :: v_dual_and_b32 v0, 0xff, v11
	s_delay_alu instid0(VALU_DEP_1)
	v_cmpx_ne_u16_e32 0, v0
	s_cbranch_execz .LBB350_1271
; %bb.1264:                             ;   in Loop: Header=BB350_998 Depth=1
	v_bfrev_b32_e32 v114, 1
	s_mov_b32 s13, exec_lo
	v_cmpx_ne_u16_e32 0x80, v0
	s_cbranch_execz .LBB350_1270
; %bb.1265:                             ;   in Loop: Header=BB350_998 Depth=1
	v_and_b32_e32 v13, 0x7f, v11
	v_mov_b32_e32 v114, 0x7fc02000
	s_mov_b32 s15, exec_lo
	s_delay_alu instid0(VALU_DEP_2)
	v_cmpx_ne_u32_e32 0x7f, v13
	s_cbranch_execz .LBB350_1269
; %bb.1266:                             ;   in Loop: Header=BB350_998 Depth=1
	v_lshrrev_b32_e32 v0, 3, v13
	v_cmp_gt_u32_e64 s0, 8, v13
	v_dual_mov_b32 v14, v12 :: v_dual_mov_b32 v13, v11
	s_delay_alu instid0(VALU_DEP_2)
	s_and_saveexec_b32 s16, s0
; %bb.1267:                             ;   in Loop: Header=BB350_998 Depth=1
	v_and_b32_e32 v0, 7, v11
	s_delay_alu instid0(VALU_DEP_1) | instskip(NEXT) | instid1(VALU_DEP_1)
	v_clz_i32_u32_e32 v0, v0
	v_min_u32_e32 v0, 32, v0
	s_delay_alu instid0(VALU_DEP_1) | instskip(SKIP_1) | instid1(VALU_DEP_2)
	v_subrev_nc_u32_e32 v13, 28, v0
	v_sub_nc_u32_e32 v0, 29, v0
	v_lshlrev_b64 v[13:14], v13, v[11:12]
; %bb.1268:                             ;   in Loop: Header=BB350_998 Depth=1
	s_or_b32 exec_lo, exec_lo, s16
	v_lshlrev_b32_e32 v14, 8, v11
	s_delay_alu instid0(VALU_DEP_3) | instskip(NEXT) | instid1(VALU_DEP_3)
	v_lshl_add_u32 v0, v0, 10, 0x2000
	v_lshlrev_b32_e32 v13, 7, v13
	s_delay_alu instid0(VALU_DEP_2) | instskip(NEXT) | instid1(VALU_DEP_1)
	v_and_or_b32 v0, 0x8000, v14, v0
	v_and_or_b32 v0, 0x380, v13, v0
	s_delay_alu instid0(VALU_DEP_1)
	v_cvt_f32_f16_e32 v114, v0
.LBB350_1269:                           ;   in Loop: Header=BB350_998 Depth=1
	s_or_b32 exec_lo, exec_lo, s15
.LBB350_1270:                           ;   in Loop: Header=BB350_998 Depth=1
	s_delay_alu instid0(SALU_CYCLE_1)
	s_or_b32 exec_lo, exec_lo, s13
.LBB350_1271:                           ;   in Loop: Header=BB350_998 Depth=1
	s_delay_alu instid0(SALU_CYCLE_1) | instskip(SKIP_2) | instid1(VALU_DEP_1)
	s_or_b32 exec_lo, exec_lo, s12
	v_lshrrev_b16 v0, 8, v11
	s_mov_b32 s12, exec_lo
	v_cmpx_ne_u16_e32 0, v0
	s_cbranch_execz .LBB350_1279
; %bb.1272:                             ;   in Loop: Header=BB350_998 Depth=1
	v_bfrev_b32_e32 v115, 1
	s_mov_b32 s13, exec_lo
	v_cmpx_ne_u16_e32 0x80, v0
	s_cbranch_execz .LBB350_1278
; %bb.1273:                             ;   in Loop: Header=BB350_998 Depth=1
	v_and_b32_e32 v116, 0xffff, v0
	v_mov_b32_e32 v115, 0x7fc02000
	s_mov_b32 s15, exec_lo
	s_delay_alu instid0(VALU_DEP_2) | instskip(NEXT) | instid1(VALU_DEP_1)
	v_and_b32_e32 v13, 0x7f, v116
	v_cmpx_ne_u32_e32 0x7f, v13
	s_cbranch_execz .LBB350_1277
; %bb.1274:                             ;   in Loop: Header=BB350_998 Depth=1
	v_and_b32_e32 v0, 7, v116
	v_lshrrev_b32_e32 v115, 3, v13
	v_cmp_gt_u32_e64 s0, 8, v13
	s_delay_alu instid0(VALU_DEP_3) | instskip(NEXT) | instid1(VALU_DEP_2)
	v_dual_mov_b32 v14, v1 :: v_dual_mov_b32 v13, v0
	s_and_saveexec_b32 s16, s0
; %bb.1275:                             ;   in Loop: Header=BB350_998 Depth=1
	v_clz_i32_u32_e32 v13, v0
	s_delay_alu instid0(VALU_DEP_1) | instskip(NEXT) | instid1(VALU_DEP_1)
	v_min_u32_e32 v115, 32, v13
	v_subrev_nc_u32_e32 v13, 28, v115
	v_sub_nc_u32_e32 v115, 29, v115
	s_delay_alu instid0(VALU_DEP_2) | instskip(NEXT) | instid1(VALU_DEP_1)
	v_lshlrev_b64 v[13:14], v13, v[0:1]
	v_and_b32_e32 v13, 7, v13
; %bb.1276:                             ;   in Loop: Header=BB350_998 Depth=1
	s_or_b32 exec_lo, exec_lo, s16
	v_lshlrev_b32_e32 v0, 8, v116
	v_lshl_add_u32 v14, v115, 10, 0x2000
	s_delay_alu instid0(VALU_DEP_1) | instskip(NEXT) | instid1(VALU_DEP_1)
	v_and_or_b32 v0, 0x8000, v0, v14
	v_lshl_or_b32 v0, v13, 7, v0
	s_delay_alu instid0(VALU_DEP_1)
	v_cvt_f32_f16_e32 v115, v0
.LBB350_1277:                           ;   in Loop: Header=BB350_998 Depth=1
	s_or_b32 exec_lo, exec_lo, s15
.LBB350_1278:                           ;   in Loop: Header=BB350_998 Depth=1
	s_delay_alu instid0(SALU_CYCLE_1)
	s_or_b32 exec_lo, exec_lo, s13
.LBB350_1279:                           ;   in Loop: Header=BB350_998 Depth=1
	s_delay_alu instid0(SALU_CYCLE_1) | instskip(SKIP_3) | instid1(VALU_DEP_2)
	s_or_b32 exec_lo, exec_lo, s12
	v_lshrrev_b32_e32 v118, 16, v11
	v_mov_b32_e32 v116, 0
	s_mov_b32 s12, exec_lo
	v_dual_mov_b32 v117, 0 :: v_dual_and_b32 v0, 0xff, v118
	s_delay_alu instid0(VALU_DEP_1)
	v_cmpx_ne_u16_e32 0, v0
	s_cbranch_execz .LBB350_1287
; %bb.1280:                             ;   in Loop: Header=BB350_998 Depth=1
	v_bfrev_b32_e32 v116, 1
	s_mov_b32 s13, exec_lo
	v_cmpx_ne_u16_e32 0x80, v0
	s_cbranch_execz .LBB350_1286
; %bb.1281:                             ;   in Loop: Header=BB350_998 Depth=1
	v_bfe_u32 v13, v11, 16, 7
	v_mov_b32_e32 v116, 0x7fc02000
	s_mov_b32 s15, exec_lo
	s_delay_alu instid0(VALU_DEP_2)
	v_cmpx_ne_u32_e32 0x7f, v13
	s_cbranch_execz .LBB350_1285
; %bb.1282:                             ;   in Loop: Header=BB350_998 Depth=1
	v_and_b32_e32 v0, 7, v118
	v_lshrrev_b32_e32 v116, 3, v13
	v_cmp_gt_u32_e64 s0, 8, v13
	s_delay_alu instid0(VALU_DEP_3) | instskip(NEXT) | instid1(VALU_DEP_2)
	v_dual_mov_b32 v14, v1 :: v_dual_mov_b32 v13, v0
	s_and_saveexec_b32 s16, s0
; %bb.1283:                             ;   in Loop: Header=BB350_998 Depth=1
	v_clz_i32_u32_e32 v13, v0
	s_delay_alu instid0(VALU_DEP_1) | instskip(NEXT) | instid1(VALU_DEP_1)
	v_min_u32_e32 v116, 32, v13
	v_subrev_nc_u32_e32 v13, 28, v116
	v_sub_nc_u32_e32 v116, 29, v116
	s_delay_alu instid0(VALU_DEP_2) | instskip(NEXT) | instid1(VALU_DEP_1)
	v_lshlrev_b64 v[13:14], v13, v[0:1]
	v_and_b32_e32 v13, 7, v13
; %bb.1284:                             ;   in Loop: Header=BB350_998 Depth=1
	s_or_b32 exec_lo, exec_lo, s16
	v_lshlrev_b32_e32 v0, 8, v118
	v_lshl_add_u32 v14, v116, 10, 0x2000
	s_delay_alu instid0(VALU_DEP_1) | instskip(NEXT) | instid1(VALU_DEP_1)
	v_and_or_b32 v0, 0x8000, v0, v14
	v_lshl_or_b32 v0, v13, 7, v0
	s_delay_alu instid0(VALU_DEP_1)
	v_cvt_f32_f16_e32 v116, v0
.LBB350_1285:                           ;   in Loop: Header=BB350_998 Depth=1
	s_or_b32 exec_lo, exec_lo, s15
.LBB350_1286:                           ;   in Loop: Header=BB350_998 Depth=1
	s_delay_alu instid0(SALU_CYCLE_1)
	s_or_b32 exec_lo, exec_lo, s13
.LBB350_1287:                           ;   in Loop: Header=BB350_998 Depth=1
	s_delay_alu instid0(SALU_CYCLE_1) | instskip(NEXT) | instid1(SALU_CYCLE_1)
	s_or_b32 exec_lo, exec_lo, s12
	s_mov_b32 s12, exec_lo
	v_cmpx_lt_u32_e32 0xffffff, v11
	s_cbranch_execz .LBB350_1295
; %bb.1288:                             ;   in Loop: Header=BB350_998 Depth=1
	v_lshrrev_b32_e32 v118, 24, v11
	v_bfrev_b32_e32 v117, 1
	s_mov_b32 s13, exec_lo
	s_delay_alu instid0(VALU_DEP_2)
	v_cmpx_ne_u32_e32 0x80, v118
	s_cbranch_execz .LBB350_1294
; %bb.1289:                             ;   in Loop: Header=BB350_998 Depth=1
	v_and_b32_e32 v13, 0x7f, v118
	v_mov_b32_e32 v117, 0x7fc02000
	s_mov_b32 s15, exec_lo
	s_delay_alu instid0(VALU_DEP_2)
	v_cmpx_ne_u32_e32 0x7f, v13
	s_cbranch_execz .LBB350_1293
; %bb.1290:                             ;   in Loop: Header=BB350_998 Depth=1
	v_and_b32_e32 v0, 7, v118
	v_lshrrev_b32_e32 v117, 3, v13
	v_cmp_gt_u32_e64 s0, 8, v13
	s_delay_alu instid0(VALU_DEP_3) | instskip(NEXT) | instid1(VALU_DEP_2)
	v_dual_mov_b32 v14, v1 :: v_dual_mov_b32 v13, v0
	s_and_saveexec_b32 s16, s0
; %bb.1291:                             ;   in Loop: Header=BB350_998 Depth=1
	v_clz_i32_u32_e32 v13, v0
	s_delay_alu instid0(VALU_DEP_1) | instskip(NEXT) | instid1(VALU_DEP_1)
	v_min_u32_e32 v117, 32, v13
	v_subrev_nc_u32_e32 v13, 28, v117
	v_sub_nc_u32_e32 v117, 29, v117
	s_delay_alu instid0(VALU_DEP_2) | instskip(NEXT) | instid1(VALU_DEP_1)
	v_lshlrev_b64 v[13:14], v13, v[0:1]
	v_and_b32_e32 v13, 7, v13
; %bb.1292:                             ;   in Loop: Header=BB350_998 Depth=1
	s_or_b32 exec_lo, exec_lo, s16
	v_lshlrev_b32_e32 v0, 8, v118
	v_lshl_add_u32 v14, v117, 10, 0x2000
	s_delay_alu instid0(VALU_DEP_1) | instskip(NEXT) | instid1(VALU_DEP_1)
	v_and_or_b32 v0, 0x8000, v0, v14
	v_lshl_or_b32 v0, v13, 7, v0
	s_delay_alu instid0(VALU_DEP_1)
	v_cvt_f32_f16_e32 v117, v0
.LBB350_1293:                           ;   in Loop: Header=BB350_998 Depth=1
	s_or_b32 exec_lo, exec_lo, s15
.LBB350_1294:                           ;   in Loop: Header=BB350_998 Depth=1
	s_delay_alu instid0(SALU_CYCLE_1)
	s_or_b32 exec_lo, exec_lo, s13
.LBB350_1295:                           ;   in Loop: Header=BB350_998 Depth=1
	s_delay_alu instid0(SALU_CYCLE_1) | instskip(SKIP_3) | instid1(VALU_DEP_2)
	s_or_b32 exec_lo, exec_lo, s12
	v_dual_mov_b32 v0, v12 :: v_dual_and_b32 v13, 0xff, v12
	v_dual_mov_b32 v119, 0 :: v_dual_mov_b32 v118, 0
	s_mov_b32 s12, exec_lo
	v_cmpx_ne_u16_e32 0, v13
	s_cbranch_execz .LBB350_1303
; %bb.1296:                             ;   in Loop: Header=BB350_998 Depth=1
	v_bfrev_b32_e32 v118, 1
	s_mov_b32 s13, exec_lo
	v_cmpx_ne_u16_e32 0x80, v13
	s_cbranch_execz .LBB350_1302
; %bb.1297:                             ;   in Loop: Header=BB350_998 Depth=1
	v_and_b32_e32 v13, 0x7f, v12
	v_mov_b32_e32 v118, 0x7fc02000
	s_mov_b32 s15, exec_lo
	s_delay_alu instid0(VALU_DEP_2)
	v_cmpx_ne_u32_e32 0x7f, v13
	s_cbranch_execz .LBB350_1301
; %bb.1298:                             ;   in Loop: Header=BB350_998 Depth=1
	v_lshrrev_b32_e32 v118, 3, v13
	v_cmp_gt_u32_e64 s0, 8, v13
	v_dual_mov_b32 v14, v1 :: v_dual_mov_b32 v13, v0
	s_delay_alu instid0(VALU_DEP_2)
	s_and_saveexec_b32 s16, s0
; %bb.1299:                             ;   in Loop: Header=BB350_998 Depth=1
	v_and_b32_e32 v13, 7, v12
	s_delay_alu instid0(VALU_DEP_1) | instskip(NEXT) | instid1(VALU_DEP_1)
	v_clz_i32_u32_e32 v13, v13
	v_min_u32_e32 v118, 32, v13
	s_delay_alu instid0(VALU_DEP_1) | instskip(SKIP_1) | instid1(VALU_DEP_2)
	v_subrev_nc_u32_e32 v13, 28, v118
	v_sub_nc_u32_e32 v118, 29, v118
	v_lshlrev_b64 v[13:14], v13, v[0:1]
; %bb.1300:                             ;   in Loop: Header=BB350_998 Depth=1
	s_or_b32 exec_lo, exec_lo, s16
	v_lshlrev_b32_e32 v14, 8, v12
	s_delay_alu instid0(VALU_DEP_3) | instskip(NEXT) | instid1(VALU_DEP_3)
	v_lshl_add_u32 v118, v118, 10, 0x2000
	v_lshlrev_b32_e32 v13, 7, v13
	s_delay_alu instid0(VALU_DEP_2) | instskip(NEXT) | instid1(VALU_DEP_1)
	v_and_or_b32 v14, 0x8000, v14, v118
	v_and_or_b32 v13, 0x380, v13, v14
	s_delay_alu instid0(VALU_DEP_1)
	v_cvt_f32_f16_e32 v118, v13
.LBB350_1301:                           ;   in Loop: Header=BB350_998 Depth=1
	s_or_b32 exec_lo, exec_lo, s15
.LBB350_1302:                           ;   in Loop: Header=BB350_998 Depth=1
	s_delay_alu instid0(SALU_CYCLE_1)
	s_or_b32 exec_lo, exec_lo, s13
.LBB350_1303:                           ;   in Loop: Header=BB350_998 Depth=1
	s_delay_alu instid0(SALU_CYCLE_1) | instskip(SKIP_2) | instid1(VALU_DEP_1)
	s_or_b32 exec_lo, exec_lo, s12
	v_lshrrev_b16 v0, 8, v0
	s_mov_b32 s12, exec_lo
	v_cmpx_ne_u16_e32 0, v0
	s_cbranch_execz .LBB350_1311
; %bb.1304:                             ;   in Loop: Header=BB350_998 Depth=1
	v_bfrev_b32_e32 v119, 1
	s_mov_b32 s13, exec_lo
	v_cmpx_ne_u16_e32 0x80, v0
	s_cbranch_execz .LBB350_1310
; %bb.1305:                             ;   in Loop: Header=BB350_998 Depth=1
	v_and_b32_e32 v128, 0xffff, v0
	v_mov_b32_e32 v119, 0x7fc02000
	s_mov_b32 s15, exec_lo
	s_delay_alu instid0(VALU_DEP_2) | instskip(NEXT) | instid1(VALU_DEP_1)
	v_and_b32_e32 v13, 0x7f, v128
	v_cmpx_ne_u32_e32 0x7f, v13
	s_cbranch_execz .LBB350_1309
; %bb.1306:                             ;   in Loop: Header=BB350_998 Depth=1
	v_and_b32_e32 v0, 7, v128
	v_lshrrev_b32_e32 v119, 3, v13
	v_cmp_gt_u32_e64 s0, 8, v13
	s_delay_alu instid0(VALU_DEP_3) | instskip(NEXT) | instid1(VALU_DEP_2)
	v_dual_mov_b32 v14, v1 :: v_dual_mov_b32 v13, v0
	s_and_saveexec_b32 s16, s0
; %bb.1307:                             ;   in Loop: Header=BB350_998 Depth=1
	v_clz_i32_u32_e32 v13, v0
	s_delay_alu instid0(VALU_DEP_1) | instskip(NEXT) | instid1(VALU_DEP_1)
	v_min_u32_e32 v119, 32, v13
	v_subrev_nc_u32_e32 v13, 28, v119
	v_sub_nc_u32_e32 v119, 29, v119
	s_delay_alu instid0(VALU_DEP_2) | instskip(NEXT) | instid1(VALU_DEP_1)
	v_lshlrev_b64 v[13:14], v13, v[0:1]
	v_and_b32_e32 v13, 7, v13
; %bb.1308:                             ;   in Loop: Header=BB350_998 Depth=1
	s_or_b32 exec_lo, exec_lo, s16
	v_lshlrev_b32_e32 v0, 8, v128
	v_lshl_add_u32 v14, v119, 10, 0x2000
	s_delay_alu instid0(VALU_DEP_1) | instskip(NEXT) | instid1(VALU_DEP_1)
	v_and_or_b32 v0, 0x8000, v0, v14
	v_lshl_or_b32 v0, v13, 7, v0
	s_delay_alu instid0(VALU_DEP_1)
	v_cvt_f32_f16_e32 v119, v0
.LBB350_1309:                           ;   in Loop: Header=BB350_998 Depth=1
	s_or_b32 exec_lo, exec_lo, s15
.LBB350_1310:                           ;   in Loop: Header=BB350_998 Depth=1
	s_delay_alu instid0(SALU_CYCLE_1)
	s_or_b32 exec_lo, exec_lo, s13
.LBB350_1311:                           ;   in Loop: Header=BB350_998 Depth=1
	s_delay_alu instid0(SALU_CYCLE_1) | instskip(SKIP_3) | instid1(VALU_DEP_2)
	s_or_b32 exec_lo, exec_lo, s12
	v_lshrrev_b32_e32 v129, 16, v12
	v_mov_b32_e32 v128, 0
	s_mov_b32 s12, exec_lo
	v_dual_mov_b32 v13, 0 :: v_dual_and_b32 v0, 0xff, v129
	s_delay_alu instid0(VALU_DEP_1)
	v_cmpx_ne_u16_e32 0, v0
	s_cbranch_execz .LBB350_1319
; %bb.1312:                             ;   in Loop: Header=BB350_998 Depth=1
	v_bfrev_b32_e32 v13, 1
	s_mov_b32 s13, exec_lo
	v_cmpx_ne_u16_e32 0x80, v0
	s_cbranch_execz .LBB350_1318
; %bb.1313:                             ;   in Loop: Header=BB350_998 Depth=1
	v_bfe_u32 v14, v12, 16, 7
	v_mov_b32_e32 v13, 0x7fc02000
	s_mov_b32 s15, exec_lo
	s_delay_alu instid0(VALU_DEP_2)
	v_cmpx_ne_u32_e32 0x7f, v14
	s_cbranch_execz .LBB350_1317
; %bb.1314:                             ;   in Loop: Header=BB350_998 Depth=1
	v_and_b32_e32 v0, 7, v129
	v_lshrrev_b32_e32 v130, 3, v14
	v_cmp_gt_u32_e64 s0, 8, v14
	s_delay_alu instid0(VALU_DEP_3) | instskip(NEXT) | instid1(VALU_DEP_2)
	v_dual_mov_b32 v14, v1 :: v_dual_mov_b32 v13, v0
	s_and_saveexec_b32 s16, s0
; %bb.1315:                             ;   in Loop: Header=BB350_998 Depth=1
	v_clz_i32_u32_e32 v13, v0
	s_delay_alu instid0(VALU_DEP_1) | instskip(NEXT) | instid1(VALU_DEP_1)
	v_min_u32_e32 v130, 32, v13
	v_subrev_nc_u32_e32 v13, 28, v130
	v_sub_nc_u32_e32 v130, 29, v130
	s_delay_alu instid0(VALU_DEP_2) | instskip(NEXT) | instid1(VALU_DEP_1)
	v_lshlrev_b64 v[13:14], v13, v[0:1]
	v_and_b32_e32 v13, 7, v13
; %bb.1316:                             ;   in Loop: Header=BB350_998 Depth=1
	s_or_b32 exec_lo, exec_lo, s16
	v_lshlrev_b32_e32 v0, 8, v129
	v_lshl_add_u32 v14, v130, 10, 0x2000
	s_delay_alu instid0(VALU_DEP_1) | instskip(NEXT) | instid1(VALU_DEP_1)
	v_and_or_b32 v0, 0x8000, v0, v14
	v_lshl_or_b32 v0, v13, 7, v0
	s_delay_alu instid0(VALU_DEP_1)
	v_cvt_f32_f16_e32 v13, v0
.LBB350_1317:                           ;   in Loop: Header=BB350_998 Depth=1
	s_or_b32 exec_lo, exec_lo, s15
.LBB350_1318:                           ;   in Loop: Header=BB350_998 Depth=1
	s_delay_alu instid0(SALU_CYCLE_1)
	s_or_b32 exec_lo, exec_lo, s13
.LBB350_1319:                           ;   in Loop: Header=BB350_998 Depth=1
	s_delay_alu instid0(SALU_CYCLE_1) | instskip(NEXT) | instid1(SALU_CYCLE_1)
	s_or_b32 exec_lo, exec_lo, s12
	s_mov_b32 s12, exec_lo
	v_cmpx_lt_u64_e64 s[8:9], v[11:12]
	s_cbranch_execz .LBB350_1327
; %bb.1320:                             ;   in Loop: Header=BB350_998 Depth=1
	v_lshrrev_b32_e32 v14, 24, v12
	v_bfrev_b32_e32 v128, 1
	s_mov_b32 s13, exec_lo
	s_delay_alu instid0(VALU_DEP_2)
	v_cmpx_ne_u32_e32 0x80, v14
	s_cbranch_execz .LBB350_1326
; %bb.1321:                             ;   in Loop: Header=BB350_998 Depth=1
	v_and_b32_e32 v11, 0x7f, v14
	v_mov_b32_e32 v128, 0x7fc02000
	s_mov_b32 s15, exec_lo
	s_delay_alu instid0(VALU_DEP_2)
	v_cmpx_ne_u32_e32 0x7f, v11
	s_cbranch_execz .LBB350_1325
; %bb.1322:                             ;   in Loop: Header=BB350_998 Depth=1
	v_and_b32_e32 v0, 7, v14
	v_lshrrev_b32_e32 v128, 3, v11
	v_cmp_gt_u32_e64 s0, 8, v11
	s_delay_alu instid0(VALU_DEP_3) | instskip(NEXT) | instid1(VALU_DEP_2)
	v_dual_mov_b32 v12, v1 :: v_dual_mov_b32 v11, v0
	s_and_saveexec_b32 s16, s0
; %bb.1323:                             ;   in Loop: Header=BB350_998 Depth=1
	v_clz_i32_u32_e32 v11, v0
	s_delay_alu instid0(VALU_DEP_1) | instskip(NEXT) | instid1(VALU_DEP_1)
	v_min_u32_e32 v128, 32, v11
	v_subrev_nc_u32_e32 v11, 28, v128
	v_sub_nc_u32_e32 v128, 29, v128
	s_delay_alu instid0(VALU_DEP_2) | instskip(NEXT) | instid1(VALU_DEP_1)
	v_lshlrev_b64 v[11:12], v11, v[0:1]
	v_and_b32_e32 v11, 7, v11
; %bb.1324:                             ;   in Loop: Header=BB350_998 Depth=1
	s_or_b32 exec_lo, exec_lo, s16
	v_lshlrev_b32_e32 v0, 8, v14
	v_lshl_add_u32 v12, v128, 10, 0x2000
	s_delay_alu instid0(VALU_DEP_1) | instskip(NEXT) | instid1(VALU_DEP_1)
	v_and_or_b32 v0, 0x8000, v0, v12
	v_lshl_or_b32 v0, v11, 7, v0
	s_delay_alu instid0(VALU_DEP_1)
	v_cvt_f32_f16_e64 v128, v0
.LBB350_1325:                           ;   in Loop: Header=BB350_998 Depth=1
	s_or_b32 exec_lo, exec_lo, s15
.LBB350_1326:                           ;   in Loop: Header=BB350_998 Depth=1
	s_delay_alu instid0(SALU_CYCLE_1)
	s_or_b32 exec_lo, exec_lo, s13
.LBB350_1327:                           ;   in Loop: Header=BB350_998 Depth=1
	s_delay_alu instid0(SALU_CYCLE_1)
	s_or_b32 exec_lo, exec_lo, s12
	s_waitcnt vmcnt(0) lgkmcnt(0)
	v_fma_mixlo_f16 v12, v113, v115, 0
	v_fma_mixlo_f16 v0, v113, v117, 0
	;; [unrolled: 1-line block ×5, first 2 shown]
	v_lshlrev_b32_e32 v14, 16, v12
	v_fma_mixlo_f16 v116, v113, v118, 0
	v_fma_mixlo_f16 v117, v113, v128, 0
	;; [unrolled: 1-line block ×3, first 2 shown]
	v_lshlrev_b32_e32 v0, 16, v0
	v_and_b32_e32 v11, 0xffff, v11
	v_and_b32_e32 v113, 0xffff, v114
	v_lshlrev_b32_e32 v114, 16, v115
	v_and_b32_e32 v115, 0xffff, v116
	v_lshlrev_b32_e32 v116, 16, v117
	v_and_b32_e32 v117, 0xffff, v12
	v_or_b32_e32 v13, v0, v11
	v_or_b32_e32 v14, v14, v113
	;; [unrolled: 1-line block ×3, first 2 shown]
	s_delay_alu instid0(VALU_DEP_4)
	v_or_b32_e32 v11, v116, v117
	s_and_saveexec_b32 s12, vcc_lo
	s_cbranch_execz .LBB350_1329
; %bb.1328:                             ;   in Loop: Header=BB350_998 Depth=1
	v_cmp_lt_i32_e64 s0, v19, v38
	v_lshrrev_b32_e32 v113, 16, v14
	v_lshrrev_b32_e32 v114, 16, v13
	;; [unrolled: 1-line block ×4, first 2 shown]
	v_cndmask_b32_e64 v14, 0, v14, s0
	v_cmp_lt_i32_e64 s0, v98, v55
	s_delay_alu instid0(VALU_DEP_1) | instskip(SKIP_1) | instid1(VALU_DEP_2)
	v_cndmask_b32_e64 v113, 0, v113, s0
	v_cmp_lt_i32_e64 s0, v97, v55
	v_perm_b32 v14, v113, v14, 0x5040100
	s_delay_alu instid0(VALU_DEP_2) | instskip(SKIP_1) | instid1(VALU_DEP_1)
	v_cndmask_b32_e64 v114, 0, v114, s0
	v_cmp_lt_i32_e64 s0, v86, v38
	v_cndmask_b32_e64 v13, 0, v13, s0
	v_cmp_lt_i32_e64 s0, v81, v55
	s_delay_alu instid0(VALU_DEP_2) | instskip(NEXT) | instid1(VALU_DEP_2)
	v_perm_b32 v13, v114, v13, 0x5040100
	v_cndmask_b32_e64 v115, 0, v115, s0
	v_cmp_lt_i32_e64 s0, v80, v38
	s_delay_alu instid0(VALU_DEP_1) | instskip(SKIP_1) | instid1(VALU_DEP_2)
	v_cndmask_b32_e64 v0, 0, v0, s0
	v_cmp_lt_i32_e64 s0, v71, v55
	v_perm_b32 v0, v115, v0, 0x5040100
	s_delay_alu instid0(VALU_DEP_2) | instskip(SKIP_1) | instid1(VALU_DEP_1)
	v_cndmask_b32_e64 v11, 0, v11, s0
	v_cmp_lt_i32_e64 s0, v64, v38
	v_cndmask_b32_e64 v12, 0, v12, s0
	s_delay_alu instid0(VALU_DEP_1)
	v_perm_b32 v11, v11, v12, 0x5040100
.LBB350_1329:                           ;   in Loop: Header=BB350_998 Depth=1
	s_or_b32 exec_lo, exec_lo, s12
	;;#ASMSTART
	v_pk_mul_f16 v12, v96, v14;

	;;#ASMEND
	;;#ASMSTART
	v_pk_mul_f16 v13, v87, v13;

	;;#ASMEND
	;; [unrolled: 4-line block ×4, first 2 shown]
	;;#ASMSTART
	v_pk_add_f16 v12, v12, v13;

	;;#ASMEND
	;;#ASMSTART
	v_pk_add_f16 v0, v12, v0;

	;;#ASMEND
	;; [unrolled: 4-line block ×3, first 2 shown]
	v_dual_mov_b32 v116, 0 :: v_dual_and_b32 v11, 0xffff, v0
	v_lshrrev_b32_e32 v0, 16, v0
	;;#ASMSTART
	v_cvt_f32_f16 v113, v11;
	;;#ASMEND
	;;#ASMSTART
	v_cvt_f32_f16 v114, v0;
	;;#ASMEND
	flat_load_b64 v[11:12], v[9:10] offset:1280
	flat_load_b32 v115, v[26:27]
	s_mov_b32 s12, exec_lo
	s_waitcnt vmcnt(1) lgkmcnt(1)
	v_dual_mov_b32 v117, 0 :: v_dual_and_b32 v0, 0xff, v11
	s_delay_alu instid0(VALU_DEP_1)
	v_cmpx_ne_u16_e32 0, v0
	s_cbranch_execz .LBB350_1337
; %bb.1330:                             ;   in Loop: Header=BB350_998 Depth=1
	v_bfrev_b32_e32 v116, 1
	s_mov_b32 s13, exec_lo
	v_cmpx_ne_u16_e32 0x80, v0
	s_cbranch_execz .LBB350_1336
; %bb.1331:                             ;   in Loop: Header=BB350_998 Depth=1
	v_and_b32_e32 v13, 0x7f, v11
	v_mov_b32_e32 v116, 0x7fc02000
	s_mov_b32 s15, exec_lo
	s_delay_alu instid0(VALU_DEP_2)
	v_cmpx_ne_u32_e32 0x7f, v13
	s_cbranch_execz .LBB350_1335
; %bb.1332:                             ;   in Loop: Header=BB350_998 Depth=1
	v_lshrrev_b32_e32 v0, 3, v13
	v_cmp_gt_u32_e64 s0, 8, v13
	v_dual_mov_b32 v14, v12 :: v_dual_mov_b32 v13, v11
	s_delay_alu instid0(VALU_DEP_2)
	s_and_saveexec_b32 s16, s0
; %bb.1333:                             ;   in Loop: Header=BB350_998 Depth=1
	v_and_b32_e32 v0, 7, v11
	s_delay_alu instid0(VALU_DEP_1) | instskip(NEXT) | instid1(VALU_DEP_1)
	v_clz_i32_u32_e32 v0, v0
	v_min_u32_e32 v0, 32, v0
	s_delay_alu instid0(VALU_DEP_1) | instskip(SKIP_1) | instid1(VALU_DEP_2)
	v_subrev_nc_u32_e32 v13, 28, v0
	v_sub_nc_u32_e32 v0, 29, v0
	v_lshlrev_b64 v[13:14], v13, v[11:12]
; %bb.1334:                             ;   in Loop: Header=BB350_998 Depth=1
	s_or_b32 exec_lo, exec_lo, s16
	v_lshlrev_b32_e32 v14, 8, v11
	s_delay_alu instid0(VALU_DEP_3) | instskip(NEXT) | instid1(VALU_DEP_3)
	v_lshl_add_u32 v0, v0, 10, 0x2000
	v_lshlrev_b32_e32 v13, 7, v13
	s_delay_alu instid0(VALU_DEP_2) | instskip(NEXT) | instid1(VALU_DEP_1)
	v_and_or_b32 v0, 0x8000, v14, v0
	v_and_or_b32 v0, 0x380, v13, v0
	s_delay_alu instid0(VALU_DEP_1)
	v_cvt_f32_f16_e32 v116, v0
.LBB350_1335:                           ;   in Loop: Header=BB350_998 Depth=1
	s_or_b32 exec_lo, exec_lo, s15
.LBB350_1336:                           ;   in Loop: Header=BB350_998 Depth=1
	s_delay_alu instid0(SALU_CYCLE_1)
	s_or_b32 exec_lo, exec_lo, s13
.LBB350_1337:                           ;   in Loop: Header=BB350_998 Depth=1
	s_delay_alu instid0(SALU_CYCLE_1) | instskip(SKIP_2) | instid1(VALU_DEP_1)
	s_or_b32 exec_lo, exec_lo, s12
	v_lshrrev_b16 v0, 8, v11
	s_mov_b32 s12, exec_lo
	v_cmpx_ne_u16_e32 0, v0
	s_cbranch_execz .LBB350_1345
; %bb.1338:                             ;   in Loop: Header=BB350_998 Depth=1
	v_bfrev_b32_e32 v117, 1
	s_mov_b32 s13, exec_lo
	v_cmpx_ne_u16_e32 0x80, v0
	s_cbranch_execz .LBB350_1344
; %bb.1339:                             ;   in Loop: Header=BB350_998 Depth=1
	v_and_b32_e32 v118, 0xffff, v0
	v_mov_b32_e32 v117, 0x7fc02000
	s_mov_b32 s15, exec_lo
	s_delay_alu instid0(VALU_DEP_2) | instskip(NEXT) | instid1(VALU_DEP_1)
	v_and_b32_e32 v13, 0x7f, v118
	v_cmpx_ne_u32_e32 0x7f, v13
	s_cbranch_execz .LBB350_1343
; %bb.1340:                             ;   in Loop: Header=BB350_998 Depth=1
	v_and_b32_e32 v0, 7, v118
	v_lshrrev_b32_e32 v117, 3, v13
	v_cmp_gt_u32_e64 s0, 8, v13
	s_delay_alu instid0(VALU_DEP_3) | instskip(NEXT) | instid1(VALU_DEP_2)
	v_dual_mov_b32 v14, v1 :: v_dual_mov_b32 v13, v0
	s_and_saveexec_b32 s16, s0
; %bb.1341:                             ;   in Loop: Header=BB350_998 Depth=1
	v_clz_i32_u32_e32 v13, v0
	s_delay_alu instid0(VALU_DEP_1) | instskip(NEXT) | instid1(VALU_DEP_1)
	v_min_u32_e32 v117, 32, v13
	v_subrev_nc_u32_e32 v13, 28, v117
	v_sub_nc_u32_e32 v117, 29, v117
	s_delay_alu instid0(VALU_DEP_2) | instskip(NEXT) | instid1(VALU_DEP_1)
	v_lshlrev_b64 v[13:14], v13, v[0:1]
	v_and_b32_e32 v13, 7, v13
; %bb.1342:                             ;   in Loop: Header=BB350_998 Depth=1
	s_or_b32 exec_lo, exec_lo, s16
	v_lshlrev_b32_e32 v0, 8, v118
	v_lshl_add_u32 v14, v117, 10, 0x2000
	s_delay_alu instid0(VALU_DEP_1) | instskip(NEXT) | instid1(VALU_DEP_1)
	v_and_or_b32 v0, 0x8000, v0, v14
	v_lshl_or_b32 v0, v13, 7, v0
	s_delay_alu instid0(VALU_DEP_1)
	v_cvt_f32_f16_e32 v117, v0
.LBB350_1343:                           ;   in Loop: Header=BB350_998 Depth=1
	s_or_b32 exec_lo, exec_lo, s15
.LBB350_1344:                           ;   in Loop: Header=BB350_998 Depth=1
	s_delay_alu instid0(SALU_CYCLE_1)
	s_or_b32 exec_lo, exec_lo, s13
.LBB350_1345:                           ;   in Loop: Header=BB350_998 Depth=1
	s_delay_alu instid0(SALU_CYCLE_1) | instskip(SKIP_3) | instid1(VALU_DEP_2)
	s_or_b32 exec_lo, exec_lo, s12
	v_lshrrev_b32_e32 v128, 16, v11
	v_mov_b32_e32 v118, 0
	s_mov_b32 s12, exec_lo
	v_dual_mov_b32 v119, 0 :: v_dual_and_b32 v0, 0xff, v128
	s_delay_alu instid0(VALU_DEP_1)
	v_cmpx_ne_u16_e32 0, v0
	s_cbranch_execz .LBB350_1353
; %bb.1346:                             ;   in Loop: Header=BB350_998 Depth=1
	v_bfrev_b32_e32 v118, 1
	s_mov_b32 s13, exec_lo
	v_cmpx_ne_u16_e32 0x80, v0
	s_cbranch_execz .LBB350_1352
; %bb.1347:                             ;   in Loop: Header=BB350_998 Depth=1
	v_bfe_u32 v13, v11, 16, 7
	v_mov_b32_e32 v118, 0x7fc02000
	s_mov_b32 s15, exec_lo
	s_delay_alu instid0(VALU_DEP_2)
	v_cmpx_ne_u32_e32 0x7f, v13
	s_cbranch_execz .LBB350_1351
; %bb.1348:                             ;   in Loop: Header=BB350_998 Depth=1
	v_and_b32_e32 v0, 7, v128
	v_lshrrev_b32_e32 v118, 3, v13
	v_cmp_gt_u32_e64 s0, 8, v13
	s_delay_alu instid0(VALU_DEP_3) | instskip(NEXT) | instid1(VALU_DEP_2)
	v_dual_mov_b32 v14, v1 :: v_dual_mov_b32 v13, v0
	s_and_saveexec_b32 s16, s0
; %bb.1349:                             ;   in Loop: Header=BB350_998 Depth=1
	v_clz_i32_u32_e32 v13, v0
	s_delay_alu instid0(VALU_DEP_1) | instskip(NEXT) | instid1(VALU_DEP_1)
	v_min_u32_e32 v118, 32, v13
	v_subrev_nc_u32_e32 v13, 28, v118
	v_sub_nc_u32_e32 v118, 29, v118
	s_delay_alu instid0(VALU_DEP_2) | instskip(NEXT) | instid1(VALU_DEP_1)
	v_lshlrev_b64 v[13:14], v13, v[0:1]
	v_and_b32_e32 v13, 7, v13
; %bb.1350:                             ;   in Loop: Header=BB350_998 Depth=1
	s_or_b32 exec_lo, exec_lo, s16
	v_lshlrev_b32_e32 v0, 8, v128
	v_lshl_add_u32 v14, v118, 10, 0x2000
	s_delay_alu instid0(VALU_DEP_1) | instskip(NEXT) | instid1(VALU_DEP_1)
	v_and_or_b32 v0, 0x8000, v0, v14
	v_lshl_or_b32 v0, v13, 7, v0
	s_delay_alu instid0(VALU_DEP_1)
	v_cvt_f32_f16_e32 v118, v0
.LBB350_1351:                           ;   in Loop: Header=BB350_998 Depth=1
	s_or_b32 exec_lo, exec_lo, s15
.LBB350_1352:                           ;   in Loop: Header=BB350_998 Depth=1
	s_delay_alu instid0(SALU_CYCLE_1)
	s_or_b32 exec_lo, exec_lo, s13
.LBB350_1353:                           ;   in Loop: Header=BB350_998 Depth=1
	s_delay_alu instid0(SALU_CYCLE_1) | instskip(NEXT) | instid1(SALU_CYCLE_1)
	s_or_b32 exec_lo, exec_lo, s12
	s_mov_b32 s12, exec_lo
	v_cmpx_lt_u32_e32 0xffffff, v11
	s_cbranch_execz .LBB350_1361
; %bb.1354:                             ;   in Loop: Header=BB350_998 Depth=1
	v_lshrrev_b32_e32 v128, 24, v11
	v_bfrev_b32_e32 v119, 1
	s_mov_b32 s13, exec_lo
	s_delay_alu instid0(VALU_DEP_2)
	v_cmpx_ne_u32_e32 0x80, v128
	s_cbranch_execz .LBB350_1360
; %bb.1355:                             ;   in Loop: Header=BB350_998 Depth=1
	v_and_b32_e32 v13, 0x7f, v128
	v_mov_b32_e32 v119, 0x7fc02000
	s_mov_b32 s15, exec_lo
	s_delay_alu instid0(VALU_DEP_2)
	v_cmpx_ne_u32_e32 0x7f, v13
	s_cbranch_execz .LBB350_1359
; %bb.1356:                             ;   in Loop: Header=BB350_998 Depth=1
	v_and_b32_e32 v0, 7, v128
	v_lshrrev_b32_e32 v119, 3, v13
	v_cmp_gt_u32_e64 s0, 8, v13
	s_delay_alu instid0(VALU_DEP_3) | instskip(NEXT) | instid1(VALU_DEP_2)
	v_dual_mov_b32 v14, v1 :: v_dual_mov_b32 v13, v0
	s_and_saveexec_b32 s16, s0
; %bb.1357:                             ;   in Loop: Header=BB350_998 Depth=1
	v_clz_i32_u32_e32 v13, v0
	s_delay_alu instid0(VALU_DEP_1) | instskip(NEXT) | instid1(VALU_DEP_1)
	v_min_u32_e32 v119, 32, v13
	v_subrev_nc_u32_e32 v13, 28, v119
	v_sub_nc_u32_e32 v119, 29, v119
	s_delay_alu instid0(VALU_DEP_2) | instskip(NEXT) | instid1(VALU_DEP_1)
	v_lshlrev_b64 v[13:14], v13, v[0:1]
	v_and_b32_e32 v13, 7, v13
; %bb.1358:                             ;   in Loop: Header=BB350_998 Depth=1
	s_or_b32 exec_lo, exec_lo, s16
	v_lshlrev_b32_e32 v0, 8, v128
	v_lshl_add_u32 v14, v119, 10, 0x2000
	s_delay_alu instid0(VALU_DEP_1) | instskip(NEXT) | instid1(VALU_DEP_1)
	v_and_or_b32 v0, 0x8000, v0, v14
	v_lshl_or_b32 v0, v13, 7, v0
	s_delay_alu instid0(VALU_DEP_1)
	v_cvt_f32_f16_e32 v119, v0
.LBB350_1359:                           ;   in Loop: Header=BB350_998 Depth=1
	s_or_b32 exec_lo, exec_lo, s15
.LBB350_1360:                           ;   in Loop: Header=BB350_998 Depth=1
	s_delay_alu instid0(SALU_CYCLE_1)
	s_or_b32 exec_lo, exec_lo, s13
.LBB350_1361:                           ;   in Loop: Header=BB350_998 Depth=1
	s_delay_alu instid0(SALU_CYCLE_1) | instskip(SKIP_3) | instid1(VALU_DEP_2)
	s_or_b32 exec_lo, exec_lo, s12
	v_dual_mov_b32 v0, v12 :: v_dual_and_b32 v13, 0xff, v12
	v_dual_mov_b32 v129, 0 :: v_dual_mov_b32 v128, 0
	s_mov_b32 s12, exec_lo
	v_cmpx_ne_u16_e32 0, v13
	s_cbranch_execz .LBB350_1369
; %bb.1362:                             ;   in Loop: Header=BB350_998 Depth=1
	v_bfrev_b32_e32 v128, 1
	s_mov_b32 s13, exec_lo
	v_cmpx_ne_u16_e32 0x80, v13
	s_cbranch_execz .LBB350_1368
; %bb.1363:                             ;   in Loop: Header=BB350_998 Depth=1
	v_and_b32_e32 v13, 0x7f, v12
	v_mov_b32_e32 v128, 0x7fc02000
	s_mov_b32 s15, exec_lo
	s_delay_alu instid0(VALU_DEP_2)
	v_cmpx_ne_u32_e32 0x7f, v13
	s_cbranch_execz .LBB350_1367
; %bb.1364:                             ;   in Loop: Header=BB350_998 Depth=1
	v_lshrrev_b32_e32 v128, 3, v13
	v_cmp_gt_u32_e64 s0, 8, v13
	v_dual_mov_b32 v14, v1 :: v_dual_mov_b32 v13, v0
	s_delay_alu instid0(VALU_DEP_2)
	s_and_saveexec_b32 s16, s0
; %bb.1365:                             ;   in Loop: Header=BB350_998 Depth=1
	v_and_b32_e32 v13, 7, v12
	s_delay_alu instid0(VALU_DEP_1) | instskip(NEXT) | instid1(VALU_DEP_1)
	v_clz_i32_u32_e32 v13, v13
	v_min_u32_e32 v128, 32, v13
	s_delay_alu instid0(VALU_DEP_1) | instskip(SKIP_1) | instid1(VALU_DEP_2)
	v_subrev_nc_u32_e32 v13, 28, v128
	v_sub_nc_u32_e32 v128, 29, v128
	v_lshlrev_b64 v[13:14], v13, v[0:1]
; %bb.1366:                             ;   in Loop: Header=BB350_998 Depth=1
	s_or_b32 exec_lo, exec_lo, s16
	v_lshlrev_b32_e32 v14, 8, v12
	s_delay_alu instid0(VALU_DEP_3) | instskip(NEXT) | instid1(VALU_DEP_3)
	v_lshl_add_u32 v128, v128, 10, 0x2000
	v_lshlrev_b32_e32 v13, 7, v13
	s_delay_alu instid0(VALU_DEP_2) | instskip(NEXT) | instid1(VALU_DEP_1)
	v_and_or_b32 v14, 0x8000, v14, v128
	v_and_or_b32 v13, 0x380, v13, v14
	s_delay_alu instid0(VALU_DEP_1)
	v_cvt_f32_f16_e64 v128, v13
.LBB350_1367:                           ;   in Loop: Header=BB350_998 Depth=1
	s_or_b32 exec_lo, exec_lo, s15
.LBB350_1368:                           ;   in Loop: Header=BB350_998 Depth=1
	s_delay_alu instid0(SALU_CYCLE_1)
	s_or_b32 exec_lo, exec_lo, s13
.LBB350_1369:                           ;   in Loop: Header=BB350_998 Depth=1
	s_delay_alu instid0(SALU_CYCLE_1) | instskip(SKIP_2) | instid1(VALU_DEP_1)
	s_or_b32 exec_lo, exec_lo, s12
	v_lshrrev_b16 v0, 8, v0
	s_mov_b32 s12, exec_lo
	v_cmpx_ne_u16_e32 0, v0
	s_cbranch_execz .LBB350_1377
; %bb.1370:                             ;   in Loop: Header=BB350_998 Depth=1
	v_bfrev_b32_e32 v129, 1
	s_mov_b32 s13, exec_lo
	v_cmpx_ne_u16_e32 0x80, v0
	s_cbranch_execz .LBB350_1376
; %bb.1371:                             ;   in Loop: Header=BB350_998 Depth=1
	v_and_b32_e32 v130, 0xffff, v0
	v_mov_b32_e32 v129, 0x7fc02000
	s_mov_b32 s15, exec_lo
	s_delay_alu instid0(VALU_DEP_2) | instskip(NEXT) | instid1(VALU_DEP_1)
	v_and_b32_e32 v13, 0x7f, v130
	v_cmpx_ne_u32_e32 0x7f, v13
	s_cbranch_execz .LBB350_1375
; %bb.1372:                             ;   in Loop: Header=BB350_998 Depth=1
	v_and_b32_e32 v0, 7, v130
	v_lshrrev_b32_e32 v129, 3, v13
	v_cmp_gt_u32_e64 s0, 8, v13
	s_delay_alu instid0(VALU_DEP_3) | instskip(NEXT) | instid1(VALU_DEP_2)
	v_dual_mov_b32 v14, v1 :: v_dual_mov_b32 v13, v0
	s_and_saveexec_b32 s16, s0
; %bb.1373:                             ;   in Loop: Header=BB350_998 Depth=1
	v_clz_i32_u32_e32 v13, v0
	s_delay_alu instid0(VALU_DEP_1) | instskip(NEXT) | instid1(VALU_DEP_1)
	v_min_u32_e32 v129, 32, v13
	v_subrev_nc_u32_e32 v13, 28, v129
	v_sub_nc_u32_e32 v129, 29, v129
	s_delay_alu instid0(VALU_DEP_2) | instskip(NEXT) | instid1(VALU_DEP_1)
	v_lshlrev_b64 v[13:14], v13, v[0:1]
	v_and_b32_e32 v13, 7, v13
; %bb.1374:                             ;   in Loop: Header=BB350_998 Depth=1
	s_or_b32 exec_lo, exec_lo, s16
	v_lshlrev_b32_e32 v0, 8, v130
	v_lshl_add_u32 v14, v129, 10, 0x2000
	s_delay_alu instid0(VALU_DEP_1) | instskip(NEXT) | instid1(VALU_DEP_1)
	v_and_or_b32 v0, 0x8000, v0, v14
	v_lshl_or_b32 v0, v13, 7, v0
	s_delay_alu instid0(VALU_DEP_1)
	v_cvt_f32_f16_e64 v129, v0
.LBB350_1375:                           ;   in Loop: Header=BB350_998 Depth=1
	s_or_b32 exec_lo, exec_lo, s15
.LBB350_1376:                           ;   in Loop: Header=BB350_998 Depth=1
	s_delay_alu instid0(SALU_CYCLE_1)
	s_or_b32 exec_lo, exec_lo, s13
.LBB350_1377:                           ;   in Loop: Header=BB350_998 Depth=1
	s_delay_alu instid0(SALU_CYCLE_1) | instskip(SKIP_3) | instid1(VALU_DEP_2)
	s_or_b32 exec_lo, exec_lo, s12
	v_lshrrev_b32_e32 v131, 16, v12
	v_mov_b32_e32 v130, 0
	s_mov_b32 s12, exec_lo
	v_dual_mov_b32 v13, 0 :: v_dual_and_b32 v0, 0xff, v131
	s_delay_alu instid0(VALU_DEP_1)
	v_cmpx_ne_u16_e32 0, v0
	s_cbranch_execz .LBB350_1385
; %bb.1378:                             ;   in Loop: Header=BB350_998 Depth=1
	v_bfrev_b32_e32 v13, 1
	s_mov_b32 s13, exec_lo
	v_cmpx_ne_u16_e32 0x80, v0
	s_cbranch_execz .LBB350_1384
; %bb.1379:                             ;   in Loop: Header=BB350_998 Depth=1
	v_bfe_u32 v14, v12, 16, 7
	v_mov_b32_e32 v13, 0x7fc02000
	s_mov_b32 s15, exec_lo
	s_delay_alu instid0(VALU_DEP_2)
	v_cmpx_ne_u32_e32 0x7f, v14
	s_cbranch_execz .LBB350_1383
; %bb.1380:                             ;   in Loop: Header=BB350_998 Depth=1
	v_and_b32_e32 v0, 7, v131
	v_lshrrev_b32_e32 v132, 3, v14
	v_cmp_gt_u32_e64 s0, 8, v14
	s_delay_alu instid0(VALU_DEP_3) | instskip(NEXT) | instid1(VALU_DEP_2)
	v_dual_mov_b32 v14, v1 :: v_dual_mov_b32 v13, v0
	s_and_saveexec_b32 s16, s0
; %bb.1381:                             ;   in Loop: Header=BB350_998 Depth=1
	v_clz_i32_u32_e32 v13, v0
	s_delay_alu instid0(VALU_DEP_1) | instskip(NEXT) | instid1(VALU_DEP_1)
	v_min_u32_e32 v132, 32, v13
	v_subrev_nc_u32_e32 v13, 28, v132
	v_sub_nc_u32_e32 v132, 29, v132
	s_delay_alu instid0(VALU_DEP_2) | instskip(NEXT) | instid1(VALU_DEP_1)
	v_lshlrev_b64 v[13:14], v13, v[0:1]
	v_and_b32_e32 v13, 7, v13
; %bb.1382:                             ;   in Loop: Header=BB350_998 Depth=1
	s_or_b32 exec_lo, exec_lo, s16
	v_lshlrev_b32_e32 v0, 8, v131
	v_lshl_add_u32 v14, v132, 10, 0x2000
	s_delay_alu instid0(VALU_DEP_1) | instskip(NEXT) | instid1(VALU_DEP_1)
	v_and_or_b32 v0, 0x8000, v0, v14
	v_lshl_or_b32 v0, v13, 7, v0
	s_delay_alu instid0(VALU_DEP_1)
	v_cvt_f32_f16_e32 v13, v0
.LBB350_1383:                           ;   in Loop: Header=BB350_998 Depth=1
	s_or_b32 exec_lo, exec_lo, s15
.LBB350_1384:                           ;   in Loop: Header=BB350_998 Depth=1
	s_delay_alu instid0(SALU_CYCLE_1)
	s_or_b32 exec_lo, exec_lo, s13
.LBB350_1385:                           ;   in Loop: Header=BB350_998 Depth=1
	s_delay_alu instid0(SALU_CYCLE_1) | instskip(NEXT) | instid1(SALU_CYCLE_1)
	s_or_b32 exec_lo, exec_lo, s12
	s_mov_b32 s12, exec_lo
	v_cmpx_lt_u64_e64 s[8:9], v[11:12]
	s_cbranch_execz .LBB350_1393
; %bb.1386:                             ;   in Loop: Header=BB350_998 Depth=1
	v_lshrrev_b32_e32 v14, 24, v12
	v_bfrev_b32_e32 v130, 1
	s_mov_b32 s13, exec_lo
	s_delay_alu instid0(VALU_DEP_2)
	v_cmpx_ne_u32_e32 0x80, v14
	s_cbranch_execz .LBB350_1392
; %bb.1387:                             ;   in Loop: Header=BB350_998 Depth=1
	v_and_b32_e32 v11, 0x7f, v14
	v_mov_b32_e32 v130, 0x7fc02000
	s_mov_b32 s15, exec_lo
	s_delay_alu instid0(VALU_DEP_2)
	v_cmpx_ne_u32_e32 0x7f, v11
	s_cbranch_execz .LBB350_1391
; %bb.1388:                             ;   in Loop: Header=BB350_998 Depth=1
	v_and_b32_e32 v0, 7, v14
	v_lshrrev_b32_e32 v130, 3, v11
	v_cmp_gt_u32_e64 s0, 8, v11
	s_delay_alu instid0(VALU_DEP_3) | instskip(NEXT) | instid1(VALU_DEP_2)
	v_dual_mov_b32 v12, v1 :: v_dual_mov_b32 v11, v0
	s_and_saveexec_b32 s16, s0
; %bb.1389:                             ;   in Loop: Header=BB350_998 Depth=1
	v_clz_i32_u32_e32 v11, v0
	s_delay_alu instid0(VALU_DEP_1) | instskip(NEXT) | instid1(VALU_DEP_1)
	v_min_u32_e32 v130, 32, v11
	v_subrev_nc_u32_e32 v11, 28, v130
	v_sub_nc_u32_e32 v130, 29, v130
	s_delay_alu instid0(VALU_DEP_2) | instskip(NEXT) | instid1(VALU_DEP_1)
	v_lshlrev_b64 v[11:12], v11, v[0:1]
	v_and_b32_e32 v11, 7, v11
; %bb.1390:                             ;   in Loop: Header=BB350_998 Depth=1
	s_or_b32 exec_lo, exec_lo, s16
	v_lshlrev_b32_e32 v0, 8, v14
	v_lshl_add_u32 v12, v130, 10, 0x2000
	s_delay_alu instid0(VALU_DEP_1) | instskip(NEXT) | instid1(VALU_DEP_1)
	v_and_or_b32 v0, 0x8000, v0, v12
	v_lshl_or_b32 v0, v11, 7, v0
	s_delay_alu instid0(VALU_DEP_1)
	v_cvt_f32_f16_e64 v130, v0
.LBB350_1391:                           ;   in Loop: Header=BB350_998 Depth=1
	s_or_b32 exec_lo, exec_lo, s15
.LBB350_1392:                           ;   in Loop: Header=BB350_998 Depth=1
	s_delay_alu instid0(SALU_CYCLE_1)
	s_or_b32 exec_lo, exec_lo, s13
.LBB350_1393:                           ;   in Loop: Header=BB350_998 Depth=1
	s_delay_alu instid0(SALU_CYCLE_1)
	s_or_b32 exec_lo, exec_lo, s12
	s_waitcnt vmcnt(0) lgkmcnt(0)
	v_fma_mixlo_f16 v12, v115, v117, 0
	v_fma_mixlo_f16 v0, v115, v119, 0
	;; [unrolled: 1-line block ×5, first 2 shown]
	v_lshlrev_b32_e32 v14, 16, v12
	v_fma_mixlo_f16 v118, v115, v128, 0
	v_fma_mixlo_f16 v119, v115, v130, 0
	;; [unrolled: 1-line block ×3, first 2 shown]
	v_lshlrev_b32_e32 v0, 16, v0
	v_and_b32_e32 v11, 0xffff, v11
	v_and_b32_e32 v115, 0xffff, v116
	v_lshlrev_b32_e32 v116, 16, v117
	v_and_b32_e32 v117, 0xffff, v118
	v_lshlrev_b32_e32 v118, 16, v119
	v_and_b32_e32 v119, 0xffff, v12
	v_or_b32_e32 v13, v0, v11
	v_or_b32_e32 v14, v14, v115
	;; [unrolled: 1-line block ×3, first 2 shown]
	s_delay_alu instid0(VALU_DEP_4)
	v_or_b32_e32 v11, v118, v119
	s_and_saveexec_b32 s12, vcc_lo
	s_cbranch_execz .LBB350_1395
; %bb.1394:                             ;   in Loop: Header=BB350_998 Depth=1
	v_cmp_lt_i32_e64 s0, v19, v38
	v_lshrrev_b32_e32 v115, 16, v14
	v_lshrrev_b32_e32 v116, 16, v13
	;; [unrolled: 1-line block ×4, first 2 shown]
	v_cndmask_b32_e64 v14, 0, v14, s0
	v_cmp_lt_i32_e64 s0, v98, v55
	s_delay_alu instid0(VALU_DEP_1) | instskip(SKIP_1) | instid1(VALU_DEP_2)
	v_cndmask_b32_e64 v115, 0, v115, s0
	v_cmp_lt_i32_e64 s0, v97, v55
	v_perm_b32 v14, v115, v14, 0x5040100
	s_delay_alu instid0(VALU_DEP_2) | instskip(SKIP_1) | instid1(VALU_DEP_1)
	v_cndmask_b32_e64 v116, 0, v116, s0
	v_cmp_lt_i32_e64 s0, v86, v38
	v_cndmask_b32_e64 v13, 0, v13, s0
	v_cmp_lt_i32_e64 s0, v81, v55
	s_delay_alu instid0(VALU_DEP_2) | instskip(NEXT) | instid1(VALU_DEP_2)
	v_perm_b32 v13, v116, v13, 0x5040100
	v_cndmask_b32_e64 v117, 0, v117, s0
	v_cmp_lt_i32_e64 s0, v80, v38
	s_delay_alu instid0(VALU_DEP_1) | instskip(SKIP_1) | instid1(VALU_DEP_2)
	v_cndmask_b32_e64 v0, 0, v0, s0
	v_cmp_lt_i32_e64 s0, v71, v55
	v_perm_b32 v0, v117, v0, 0x5040100
	s_delay_alu instid0(VALU_DEP_2) | instskip(SKIP_1) | instid1(VALU_DEP_1)
	v_cndmask_b32_e64 v11, 0, v11, s0
	v_cmp_lt_i32_e64 s0, v64, v38
	v_cndmask_b32_e64 v12, 0, v12, s0
	s_delay_alu instid0(VALU_DEP_1)
	v_perm_b32 v11, v11, v12, 0x5040100
.LBB350_1395:                           ;   in Loop: Header=BB350_998 Depth=1
	s_or_b32 exec_lo, exec_lo, s12
	;;#ASMSTART
	v_pk_mul_f16 v12, v96, v14;

	;;#ASMEND
	;;#ASMSTART
	v_pk_mul_f16 v13, v87, v13;

	;;#ASMEND
	;; [unrolled: 4-line block ×4, first 2 shown]
	;;#ASMSTART
	v_pk_add_f16 v12, v12, v13;

	;;#ASMEND
	;;#ASMSTART
	v_pk_add_f16 v0, v12, v0;

	;;#ASMEND
	;; [unrolled: 4-line block ×3, first 2 shown]
	v_dual_mov_b32 v118, 0 :: v_dual_and_b32 v11, 0xffff, v0
	v_lshrrev_b32_e32 v0, 16, v0
	;;#ASMSTART
	v_cvt_f32_f16 v115, v11;
	;;#ASMEND
	;;#ASMSTART
	v_cvt_f32_f16 v116, v0;
	;;#ASMEND
	flat_load_b64 v[11:12], v[9:10] offset:1536
	flat_load_b32 v117, v[26:27]
	s_mov_b32 s12, exec_lo
	s_waitcnt vmcnt(1) lgkmcnt(1)
	v_dual_mov_b32 v119, 0 :: v_dual_and_b32 v0, 0xff, v11
	s_delay_alu instid0(VALU_DEP_1)
	v_cmpx_ne_u16_e32 0, v0
	s_cbranch_execz .LBB350_1403
; %bb.1396:                             ;   in Loop: Header=BB350_998 Depth=1
	v_bfrev_b32_e32 v118, 1
	s_mov_b32 s13, exec_lo
	v_cmpx_ne_u16_e32 0x80, v0
	s_cbranch_execz .LBB350_1402
; %bb.1397:                             ;   in Loop: Header=BB350_998 Depth=1
	v_and_b32_e32 v13, 0x7f, v11
	v_mov_b32_e32 v118, 0x7fc02000
	s_mov_b32 s15, exec_lo
	s_delay_alu instid0(VALU_DEP_2)
	v_cmpx_ne_u32_e32 0x7f, v13
	s_cbranch_execz .LBB350_1401
; %bb.1398:                             ;   in Loop: Header=BB350_998 Depth=1
	v_lshrrev_b32_e32 v0, 3, v13
	v_cmp_gt_u32_e64 s0, 8, v13
	v_dual_mov_b32 v14, v12 :: v_dual_mov_b32 v13, v11
	s_delay_alu instid0(VALU_DEP_2)
	s_and_saveexec_b32 s16, s0
; %bb.1399:                             ;   in Loop: Header=BB350_998 Depth=1
	v_and_b32_e32 v0, 7, v11
	s_delay_alu instid0(VALU_DEP_1) | instskip(NEXT) | instid1(VALU_DEP_1)
	v_clz_i32_u32_e32 v0, v0
	v_min_u32_e32 v0, 32, v0
	s_delay_alu instid0(VALU_DEP_1) | instskip(SKIP_1) | instid1(VALU_DEP_2)
	v_subrev_nc_u32_e32 v13, 28, v0
	v_sub_nc_u32_e32 v0, 29, v0
	v_lshlrev_b64 v[13:14], v13, v[11:12]
; %bb.1400:                             ;   in Loop: Header=BB350_998 Depth=1
	s_or_b32 exec_lo, exec_lo, s16
	v_lshlrev_b32_e32 v14, 8, v11
	s_delay_alu instid0(VALU_DEP_3) | instskip(NEXT) | instid1(VALU_DEP_3)
	v_lshl_add_u32 v0, v0, 10, 0x2000
	v_lshlrev_b32_e32 v13, 7, v13
	s_delay_alu instid0(VALU_DEP_2) | instskip(NEXT) | instid1(VALU_DEP_1)
	v_and_or_b32 v0, 0x8000, v14, v0
	v_and_or_b32 v0, 0x380, v13, v0
	s_delay_alu instid0(VALU_DEP_1)
	v_cvt_f32_f16_e32 v118, v0
.LBB350_1401:                           ;   in Loop: Header=BB350_998 Depth=1
	s_or_b32 exec_lo, exec_lo, s15
.LBB350_1402:                           ;   in Loop: Header=BB350_998 Depth=1
	s_delay_alu instid0(SALU_CYCLE_1)
	s_or_b32 exec_lo, exec_lo, s13
.LBB350_1403:                           ;   in Loop: Header=BB350_998 Depth=1
	s_delay_alu instid0(SALU_CYCLE_1) | instskip(SKIP_2) | instid1(VALU_DEP_1)
	s_or_b32 exec_lo, exec_lo, s12
	v_lshrrev_b16 v0, 8, v11
	s_mov_b32 s12, exec_lo
	v_cmpx_ne_u16_e32 0, v0
	s_cbranch_execz .LBB350_1411
; %bb.1404:                             ;   in Loop: Header=BB350_998 Depth=1
	v_bfrev_b32_e32 v119, 1
	s_mov_b32 s13, exec_lo
	v_cmpx_ne_u16_e32 0x80, v0
	s_cbranch_execz .LBB350_1410
; %bb.1405:                             ;   in Loop: Header=BB350_998 Depth=1
	v_and_b32_e32 v128, 0xffff, v0
	v_mov_b32_e32 v119, 0x7fc02000
	s_mov_b32 s15, exec_lo
	s_delay_alu instid0(VALU_DEP_2) | instskip(NEXT) | instid1(VALU_DEP_1)
	v_and_b32_e32 v13, 0x7f, v128
	v_cmpx_ne_u32_e32 0x7f, v13
	s_cbranch_execz .LBB350_1409
; %bb.1406:                             ;   in Loop: Header=BB350_998 Depth=1
	v_and_b32_e32 v0, 7, v128
	v_lshrrev_b32_e32 v119, 3, v13
	v_cmp_gt_u32_e64 s0, 8, v13
	s_delay_alu instid0(VALU_DEP_3) | instskip(NEXT) | instid1(VALU_DEP_2)
	v_dual_mov_b32 v14, v1 :: v_dual_mov_b32 v13, v0
	s_and_saveexec_b32 s16, s0
; %bb.1407:                             ;   in Loop: Header=BB350_998 Depth=1
	v_clz_i32_u32_e32 v13, v0
	s_delay_alu instid0(VALU_DEP_1) | instskip(NEXT) | instid1(VALU_DEP_1)
	v_min_u32_e32 v119, 32, v13
	v_subrev_nc_u32_e32 v13, 28, v119
	v_sub_nc_u32_e32 v119, 29, v119
	s_delay_alu instid0(VALU_DEP_2) | instskip(NEXT) | instid1(VALU_DEP_1)
	v_lshlrev_b64 v[13:14], v13, v[0:1]
	v_and_b32_e32 v13, 7, v13
; %bb.1408:                             ;   in Loop: Header=BB350_998 Depth=1
	s_or_b32 exec_lo, exec_lo, s16
	v_lshlrev_b32_e32 v0, 8, v128
	v_lshl_add_u32 v14, v119, 10, 0x2000
	s_delay_alu instid0(VALU_DEP_1) | instskip(NEXT) | instid1(VALU_DEP_1)
	v_and_or_b32 v0, 0x8000, v0, v14
	v_lshl_or_b32 v0, v13, 7, v0
	s_delay_alu instid0(VALU_DEP_1)
	v_cvt_f32_f16_e32 v119, v0
.LBB350_1409:                           ;   in Loop: Header=BB350_998 Depth=1
	s_or_b32 exec_lo, exec_lo, s15
.LBB350_1410:                           ;   in Loop: Header=BB350_998 Depth=1
	s_delay_alu instid0(SALU_CYCLE_1)
	s_or_b32 exec_lo, exec_lo, s13
.LBB350_1411:                           ;   in Loop: Header=BB350_998 Depth=1
	s_delay_alu instid0(SALU_CYCLE_1) | instskip(SKIP_3) | instid1(VALU_DEP_2)
	s_or_b32 exec_lo, exec_lo, s12
	v_lshrrev_b32_e32 v130, 16, v11
	v_mov_b32_e32 v128, 0
	s_mov_b32 s12, exec_lo
	v_dual_mov_b32 v129, 0 :: v_dual_and_b32 v0, 0xff, v130
	s_delay_alu instid0(VALU_DEP_1)
	v_cmpx_ne_u16_e32 0, v0
	s_cbranch_execz .LBB350_1419
; %bb.1412:                             ;   in Loop: Header=BB350_998 Depth=1
	v_bfrev_b32_e32 v128, 1
	s_mov_b32 s13, exec_lo
	v_cmpx_ne_u16_e32 0x80, v0
	s_cbranch_execz .LBB350_1418
; %bb.1413:                             ;   in Loop: Header=BB350_998 Depth=1
	v_bfe_u32 v13, v11, 16, 7
	v_mov_b32_e32 v128, 0x7fc02000
	s_mov_b32 s15, exec_lo
	s_delay_alu instid0(VALU_DEP_2)
	v_cmpx_ne_u32_e32 0x7f, v13
	s_cbranch_execz .LBB350_1417
; %bb.1414:                             ;   in Loop: Header=BB350_998 Depth=1
	v_and_b32_e32 v0, 7, v130
	v_lshrrev_b32_e32 v128, 3, v13
	v_cmp_gt_u32_e64 s0, 8, v13
	s_delay_alu instid0(VALU_DEP_3) | instskip(NEXT) | instid1(VALU_DEP_2)
	v_dual_mov_b32 v14, v1 :: v_dual_mov_b32 v13, v0
	s_and_saveexec_b32 s16, s0
; %bb.1415:                             ;   in Loop: Header=BB350_998 Depth=1
	v_clz_i32_u32_e32 v13, v0
	s_delay_alu instid0(VALU_DEP_1) | instskip(NEXT) | instid1(VALU_DEP_1)
	v_min_u32_e32 v128, 32, v13
	v_subrev_nc_u32_e32 v13, 28, v128
	v_sub_nc_u32_e32 v128, 29, v128
	s_delay_alu instid0(VALU_DEP_2) | instskip(NEXT) | instid1(VALU_DEP_1)
	v_lshlrev_b64 v[13:14], v13, v[0:1]
	v_and_b32_e32 v13, 7, v13
; %bb.1416:                             ;   in Loop: Header=BB350_998 Depth=1
	s_or_b32 exec_lo, exec_lo, s16
	v_lshlrev_b32_e32 v0, 8, v130
	v_lshl_add_u32 v14, v128, 10, 0x2000
	s_delay_alu instid0(VALU_DEP_1) | instskip(NEXT) | instid1(VALU_DEP_1)
	v_and_or_b32 v0, 0x8000, v0, v14
	v_lshl_or_b32 v0, v13, 7, v0
	s_delay_alu instid0(VALU_DEP_1)
	v_cvt_f32_f16_e64 v128, v0
.LBB350_1417:                           ;   in Loop: Header=BB350_998 Depth=1
	s_or_b32 exec_lo, exec_lo, s15
.LBB350_1418:                           ;   in Loop: Header=BB350_998 Depth=1
	s_delay_alu instid0(SALU_CYCLE_1)
	s_or_b32 exec_lo, exec_lo, s13
.LBB350_1419:                           ;   in Loop: Header=BB350_998 Depth=1
	s_delay_alu instid0(SALU_CYCLE_1) | instskip(NEXT) | instid1(SALU_CYCLE_1)
	s_or_b32 exec_lo, exec_lo, s12
	s_mov_b32 s12, exec_lo
	v_cmpx_lt_u32_e32 0xffffff, v11
	s_cbranch_execz .LBB350_1427
; %bb.1420:                             ;   in Loop: Header=BB350_998 Depth=1
	v_lshrrev_b32_e32 v130, 24, v11
	v_bfrev_b32_e32 v129, 1
	s_mov_b32 s13, exec_lo
	s_delay_alu instid0(VALU_DEP_2)
	v_cmpx_ne_u32_e32 0x80, v130
	s_cbranch_execz .LBB350_1426
; %bb.1421:                             ;   in Loop: Header=BB350_998 Depth=1
	v_and_b32_e32 v13, 0x7f, v130
	v_mov_b32_e32 v129, 0x7fc02000
	s_mov_b32 s15, exec_lo
	s_delay_alu instid0(VALU_DEP_2)
	v_cmpx_ne_u32_e32 0x7f, v13
	s_cbranch_execz .LBB350_1425
; %bb.1422:                             ;   in Loop: Header=BB350_998 Depth=1
	v_and_b32_e32 v0, 7, v130
	v_lshrrev_b32_e32 v129, 3, v13
	v_cmp_gt_u32_e64 s0, 8, v13
	s_delay_alu instid0(VALU_DEP_3) | instskip(NEXT) | instid1(VALU_DEP_2)
	v_dual_mov_b32 v14, v1 :: v_dual_mov_b32 v13, v0
	s_and_saveexec_b32 s16, s0
; %bb.1423:                             ;   in Loop: Header=BB350_998 Depth=1
	v_clz_i32_u32_e32 v13, v0
	s_delay_alu instid0(VALU_DEP_1) | instskip(NEXT) | instid1(VALU_DEP_1)
	v_min_u32_e32 v129, 32, v13
	v_subrev_nc_u32_e32 v13, 28, v129
	v_sub_nc_u32_e32 v129, 29, v129
	s_delay_alu instid0(VALU_DEP_2) | instskip(NEXT) | instid1(VALU_DEP_1)
	v_lshlrev_b64 v[13:14], v13, v[0:1]
	v_and_b32_e32 v13, 7, v13
; %bb.1424:                             ;   in Loop: Header=BB350_998 Depth=1
	s_or_b32 exec_lo, exec_lo, s16
	v_lshlrev_b32_e32 v0, 8, v130
	v_lshl_add_u32 v14, v129, 10, 0x2000
	s_delay_alu instid0(VALU_DEP_1) | instskip(NEXT) | instid1(VALU_DEP_1)
	v_and_or_b32 v0, 0x8000, v0, v14
	v_lshl_or_b32 v0, v13, 7, v0
	s_delay_alu instid0(VALU_DEP_1)
	v_cvt_f32_f16_e64 v129, v0
.LBB350_1425:                           ;   in Loop: Header=BB350_998 Depth=1
	s_or_b32 exec_lo, exec_lo, s15
.LBB350_1426:                           ;   in Loop: Header=BB350_998 Depth=1
	s_delay_alu instid0(SALU_CYCLE_1)
	s_or_b32 exec_lo, exec_lo, s13
.LBB350_1427:                           ;   in Loop: Header=BB350_998 Depth=1
	s_delay_alu instid0(SALU_CYCLE_1) | instskip(SKIP_3) | instid1(VALU_DEP_2)
	s_or_b32 exec_lo, exec_lo, s12
	v_dual_mov_b32 v0, v12 :: v_dual_and_b32 v13, 0xff, v12
	v_dual_mov_b32 v131, 0 :: v_dual_mov_b32 v130, 0
	s_mov_b32 s12, exec_lo
	v_cmpx_ne_u16_e32 0, v13
	s_cbranch_execz .LBB350_1435
; %bb.1428:                             ;   in Loop: Header=BB350_998 Depth=1
	v_bfrev_b32_e32 v130, 1
	s_mov_b32 s13, exec_lo
	v_cmpx_ne_u16_e32 0x80, v13
	s_cbranch_execz .LBB350_1434
; %bb.1429:                             ;   in Loop: Header=BB350_998 Depth=1
	v_and_b32_e32 v13, 0x7f, v12
	v_mov_b32_e32 v130, 0x7fc02000
	s_mov_b32 s15, exec_lo
	s_delay_alu instid0(VALU_DEP_2)
	v_cmpx_ne_u32_e32 0x7f, v13
	s_cbranch_execz .LBB350_1433
; %bb.1430:                             ;   in Loop: Header=BB350_998 Depth=1
	v_lshrrev_b32_e32 v130, 3, v13
	v_cmp_gt_u32_e64 s0, 8, v13
	v_dual_mov_b32 v14, v1 :: v_dual_mov_b32 v13, v0
	s_delay_alu instid0(VALU_DEP_2)
	s_and_saveexec_b32 s16, s0
; %bb.1431:                             ;   in Loop: Header=BB350_998 Depth=1
	v_and_b32_e32 v13, 7, v12
	s_delay_alu instid0(VALU_DEP_1) | instskip(NEXT) | instid1(VALU_DEP_1)
	v_clz_i32_u32_e32 v13, v13
	v_min_u32_e32 v130, 32, v13
	s_delay_alu instid0(VALU_DEP_1) | instskip(SKIP_1) | instid1(VALU_DEP_2)
	v_subrev_nc_u32_e32 v13, 28, v130
	v_sub_nc_u32_e32 v130, 29, v130
	v_lshlrev_b64 v[13:14], v13, v[0:1]
; %bb.1432:                             ;   in Loop: Header=BB350_998 Depth=1
	s_or_b32 exec_lo, exec_lo, s16
	v_lshlrev_b32_e32 v14, 8, v12
	s_delay_alu instid0(VALU_DEP_3) | instskip(NEXT) | instid1(VALU_DEP_3)
	v_lshl_add_u32 v130, v130, 10, 0x2000
	v_lshlrev_b32_e32 v13, 7, v13
	s_delay_alu instid0(VALU_DEP_2) | instskip(NEXT) | instid1(VALU_DEP_1)
	v_and_or_b32 v14, 0x8000, v14, v130
	v_and_or_b32 v13, 0x380, v13, v14
	s_delay_alu instid0(VALU_DEP_1)
	v_cvt_f32_f16_e64 v130, v13
.LBB350_1433:                           ;   in Loop: Header=BB350_998 Depth=1
	s_or_b32 exec_lo, exec_lo, s15
.LBB350_1434:                           ;   in Loop: Header=BB350_998 Depth=1
	s_delay_alu instid0(SALU_CYCLE_1)
	s_or_b32 exec_lo, exec_lo, s13
.LBB350_1435:                           ;   in Loop: Header=BB350_998 Depth=1
	s_delay_alu instid0(SALU_CYCLE_1) | instskip(SKIP_2) | instid1(VALU_DEP_1)
	s_or_b32 exec_lo, exec_lo, s12
	v_lshrrev_b16 v0, 8, v0
	s_mov_b32 s12, exec_lo
	v_cmpx_ne_u16_e32 0, v0
	s_cbranch_execz .LBB350_1443
; %bb.1436:                             ;   in Loop: Header=BB350_998 Depth=1
	v_bfrev_b32_e32 v131, 1
	s_mov_b32 s13, exec_lo
	v_cmpx_ne_u16_e32 0x80, v0
	s_cbranch_execz .LBB350_1442
; %bb.1437:                             ;   in Loop: Header=BB350_998 Depth=1
	v_and_b32_e32 v132, 0xffff, v0
	v_mov_b32_e32 v131, 0x7fc02000
	s_mov_b32 s15, exec_lo
	s_delay_alu instid0(VALU_DEP_2) | instskip(NEXT) | instid1(VALU_DEP_1)
	v_and_b32_e32 v13, 0x7f, v132
	v_cmpx_ne_u32_e32 0x7f, v13
	s_cbranch_execz .LBB350_1441
; %bb.1438:                             ;   in Loop: Header=BB350_998 Depth=1
	v_and_b32_e32 v0, 7, v132
	v_lshrrev_b32_e32 v131, 3, v13
	v_cmp_gt_u32_e64 s0, 8, v13
	s_delay_alu instid0(VALU_DEP_3) | instskip(NEXT) | instid1(VALU_DEP_2)
	v_dual_mov_b32 v14, v1 :: v_dual_mov_b32 v13, v0
	s_and_saveexec_b32 s16, s0
; %bb.1439:                             ;   in Loop: Header=BB350_998 Depth=1
	v_clz_i32_u32_e32 v13, v0
	s_delay_alu instid0(VALU_DEP_1) | instskip(NEXT) | instid1(VALU_DEP_1)
	v_min_u32_e32 v131, 32, v13
	v_subrev_nc_u32_e32 v13, 28, v131
	v_sub_nc_u32_e32 v131, 29, v131
	s_delay_alu instid0(VALU_DEP_2) | instskip(NEXT) | instid1(VALU_DEP_1)
	v_lshlrev_b64 v[13:14], v13, v[0:1]
	v_and_b32_e32 v13, 7, v13
; %bb.1440:                             ;   in Loop: Header=BB350_998 Depth=1
	s_or_b32 exec_lo, exec_lo, s16
	v_lshlrev_b32_e32 v0, 8, v132
	v_lshl_add_u32 v14, v131, 10, 0x2000
	s_delay_alu instid0(VALU_DEP_1) | instskip(NEXT) | instid1(VALU_DEP_1)
	v_and_or_b32 v0, 0x8000, v0, v14
	v_lshl_or_b32 v0, v13, 7, v0
	s_delay_alu instid0(VALU_DEP_1)
	v_cvt_f32_f16_e64 v131, v0
.LBB350_1441:                           ;   in Loop: Header=BB350_998 Depth=1
	s_or_b32 exec_lo, exec_lo, s15
.LBB350_1442:                           ;   in Loop: Header=BB350_998 Depth=1
	s_delay_alu instid0(SALU_CYCLE_1)
	s_or_b32 exec_lo, exec_lo, s13
.LBB350_1443:                           ;   in Loop: Header=BB350_998 Depth=1
	s_delay_alu instid0(SALU_CYCLE_1) | instskip(SKIP_3) | instid1(VALU_DEP_2)
	s_or_b32 exec_lo, exec_lo, s12
	v_lshrrev_b32_e32 v133, 16, v12
	v_mov_b32_e32 v132, 0
	s_mov_b32 s12, exec_lo
	v_dual_mov_b32 v13, 0 :: v_dual_and_b32 v0, 0xff, v133
	s_delay_alu instid0(VALU_DEP_1)
	v_cmpx_ne_u16_e32 0, v0
	s_cbranch_execz .LBB350_1451
; %bb.1444:                             ;   in Loop: Header=BB350_998 Depth=1
	v_bfrev_b32_e32 v13, 1
	s_mov_b32 s13, exec_lo
	v_cmpx_ne_u16_e32 0x80, v0
	s_cbranch_execz .LBB350_1450
; %bb.1445:                             ;   in Loop: Header=BB350_998 Depth=1
	v_bfe_u32 v14, v12, 16, 7
	v_mov_b32_e32 v13, 0x7fc02000
	s_mov_b32 s15, exec_lo
	s_delay_alu instid0(VALU_DEP_2)
	v_cmpx_ne_u32_e32 0x7f, v14
	s_cbranch_execz .LBB350_1449
; %bb.1446:                             ;   in Loop: Header=BB350_998 Depth=1
	v_and_b32_e32 v0, 7, v133
	v_lshrrev_b32_e32 v134, 3, v14
	v_cmp_gt_u32_e64 s0, 8, v14
	s_delay_alu instid0(VALU_DEP_3) | instskip(NEXT) | instid1(VALU_DEP_2)
	v_dual_mov_b32 v14, v1 :: v_dual_mov_b32 v13, v0
	s_and_saveexec_b32 s16, s0
; %bb.1447:                             ;   in Loop: Header=BB350_998 Depth=1
	v_clz_i32_u32_e32 v13, v0
	s_delay_alu instid0(VALU_DEP_1) | instskip(NEXT) | instid1(VALU_DEP_1)
	v_min_u32_e32 v134, 32, v13
	v_subrev_nc_u32_e32 v13, 28, v134
	v_sub_nc_u32_e32 v134, 29, v134
	s_delay_alu instid0(VALU_DEP_2) | instskip(NEXT) | instid1(VALU_DEP_1)
	v_lshlrev_b64 v[13:14], v13, v[0:1]
	v_and_b32_e32 v13, 7, v13
; %bb.1448:                             ;   in Loop: Header=BB350_998 Depth=1
	s_or_b32 exec_lo, exec_lo, s16
	v_lshlrev_b32_e32 v0, 8, v133
	v_lshl_add_u32 v14, v134, 10, 0x2000
	s_delay_alu instid0(VALU_DEP_1) | instskip(NEXT) | instid1(VALU_DEP_1)
	v_and_or_b32 v0, 0x8000, v0, v14
	v_lshl_or_b32 v0, v13, 7, v0
	s_delay_alu instid0(VALU_DEP_1)
	v_cvt_f32_f16_e32 v13, v0
.LBB350_1449:                           ;   in Loop: Header=BB350_998 Depth=1
	s_or_b32 exec_lo, exec_lo, s15
.LBB350_1450:                           ;   in Loop: Header=BB350_998 Depth=1
	s_delay_alu instid0(SALU_CYCLE_1)
	s_or_b32 exec_lo, exec_lo, s13
.LBB350_1451:                           ;   in Loop: Header=BB350_998 Depth=1
	s_delay_alu instid0(SALU_CYCLE_1) | instskip(NEXT) | instid1(SALU_CYCLE_1)
	s_or_b32 exec_lo, exec_lo, s12
	s_mov_b32 s12, exec_lo
	v_cmpx_lt_u64_e64 s[8:9], v[11:12]
	s_cbranch_execz .LBB350_1459
; %bb.1452:                             ;   in Loop: Header=BB350_998 Depth=1
	v_lshrrev_b32_e32 v14, 24, v12
	v_bfrev_b32_e32 v132, 1
	s_mov_b32 s13, exec_lo
	s_delay_alu instid0(VALU_DEP_2)
	v_cmpx_ne_u32_e32 0x80, v14
	s_cbranch_execz .LBB350_1458
; %bb.1453:                             ;   in Loop: Header=BB350_998 Depth=1
	v_and_b32_e32 v11, 0x7f, v14
	v_mov_b32_e32 v132, 0x7fc02000
	s_mov_b32 s15, exec_lo
	s_delay_alu instid0(VALU_DEP_2)
	v_cmpx_ne_u32_e32 0x7f, v11
	s_cbranch_execz .LBB350_1457
; %bb.1454:                             ;   in Loop: Header=BB350_998 Depth=1
	v_and_b32_e32 v0, 7, v14
	v_lshrrev_b32_e32 v132, 3, v11
	v_cmp_gt_u32_e64 s0, 8, v11
	s_delay_alu instid0(VALU_DEP_3) | instskip(NEXT) | instid1(VALU_DEP_2)
	v_dual_mov_b32 v12, v1 :: v_dual_mov_b32 v11, v0
	s_and_saveexec_b32 s16, s0
; %bb.1455:                             ;   in Loop: Header=BB350_998 Depth=1
	v_clz_i32_u32_e32 v11, v0
	s_delay_alu instid0(VALU_DEP_1) | instskip(NEXT) | instid1(VALU_DEP_1)
	v_min_u32_e32 v132, 32, v11
	v_subrev_nc_u32_e32 v11, 28, v132
	v_sub_nc_u32_e32 v132, 29, v132
	s_delay_alu instid0(VALU_DEP_2) | instskip(NEXT) | instid1(VALU_DEP_1)
	v_lshlrev_b64 v[11:12], v11, v[0:1]
	v_and_b32_e32 v11, 7, v11
; %bb.1456:                             ;   in Loop: Header=BB350_998 Depth=1
	s_or_b32 exec_lo, exec_lo, s16
	v_lshlrev_b32_e32 v0, 8, v14
	v_lshl_add_u32 v12, v132, 10, 0x2000
	s_delay_alu instid0(VALU_DEP_1) | instskip(NEXT) | instid1(VALU_DEP_1)
	v_and_or_b32 v0, 0x8000, v0, v12
	v_lshl_or_b32 v0, v11, 7, v0
	s_delay_alu instid0(VALU_DEP_1)
	v_cvt_f32_f16_e64 v132, v0
.LBB350_1457:                           ;   in Loop: Header=BB350_998 Depth=1
	s_or_b32 exec_lo, exec_lo, s15
.LBB350_1458:                           ;   in Loop: Header=BB350_998 Depth=1
	s_delay_alu instid0(SALU_CYCLE_1)
	s_or_b32 exec_lo, exec_lo, s13
.LBB350_1459:                           ;   in Loop: Header=BB350_998 Depth=1
	s_delay_alu instid0(SALU_CYCLE_1)
	s_or_b32 exec_lo, exec_lo, s12
	s_waitcnt vmcnt(0) lgkmcnt(0)
	v_fma_mixlo_f16 v12, v117, v119, 0
	v_fma_mixlo_f16 v0, v117, v129, 0
	;; [unrolled: 1-line block ×5, first 2 shown]
	v_lshlrev_b32_e32 v14, 16, v12
	v_fma_mixlo_f16 v128, v117, v130, 0
	v_fma_mixlo_f16 v129, v117, v132, 0
	;; [unrolled: 1-line block ×3, first 2 shown]
	v_lshlrev_b32_e32 v0, 16, v0
	v_and_b32_e32 v11, 0xffff, v11
	v_and_b32_e32 v117, 0xffff, v118
	v_lshlrev_b32_e32 v118, 16, v119
	v_and_b32_e32 v119, 0xffff, v128
	v_lshlrev_b32_e32 v128, 16, v129
	v_and_b32_e32 v129, 0xffff, v12
	v_or_b32_e32 v13, v0, v11
	v_or_b32_e32 v14, v14, v117
	v_or_b32_e32 v0, v118, v119
	s_delay_alu instid0(VALU_DEP_4)
	v_or_b32_e32 v11, v128, v129
	s_and_saveexec_b32 s12, vcc_lo
	s_cbranch_execz .LBB350_1461
; %bb.1460:                             ;   in Loop: Header=BB350_998 Depth=1
	v_cmp_lt_i32_e64 s0, v19, v38
	v_lshrrev_b32_e32 v117, 16, v14
	v_lshrrev_b32_e32 v118, 16, v13
	;; [unrolled: 1-line block ×4, first 2 shown]
	v_cndmask_b32_e64 v14, 0, v14, s0
	v_cmp_lt_i32_e64 s0, v98, v55
	s_delay_alu instid0(VALU_DEP_1) | instskip(SKIP_1) | instid1(VALU_DEP_2)
	v_cndmask_b32_e64 v117, 0, v117, s0
	v_cmp_lt_i32_e64 s0, v97, v55
	v_perm_b32 v14, v117, v14, 0x5040100
	s_delay_alu instid0(VALU_DEP_2) | instskip(SKIP_1) | instid1(VALU_DEP_1)
	v_cndmask_b32_e64 v118, 0, v118, s0
	v_cmp_lt_i32_e64 s0, v86, v38
	v_cndmask_b32_e64 v13, 0, v13, s0
	v_cmp_lt_i32_e64 s0, v81, v55
	s_delay_alu instid0(VALU_DEP_2) | instskip(NEXT) | instid1(VALU_DEP_2)
	v_perm_b32 v13, v118, v13, 0x5040100
	v_cndmask_b32_e64 v119, 0, v119, s0
	v_cmp_lt_i32_e64 s0, v80, v38
	s_delay_alu instid0(VALU_DEP_1) | instskip(SKIP_1) | instid1(VALU_DEP_2)
	v_cndmask_b32_e64 v0, 0, v0, s0
	v_cmp_lt_i32_e64 s0, v71, v55
	v_perm_b32 v0, v119, v0, 0x5040100
	s_delay_alu instid0(VALU_DEP_2) | instskip(SKIP_1) | instid1(VALU_DEP_1)
	v_cndmask_b32_e64 v11, 0, v11, s0
	v_cmp_lt_i32_e64 s0, v64, v38
	v_cndmask_b32_e64 v12, 0, v12, s0
	s_delay_alu instid0(VALU_DEP_1)
	v_perm_b32 v11, v11, v12, 0x5040100
.LBB350_1461:                           ;   in Loop: Header=BB350_998 Depth=1
	s_or_b32 exec_lo, exec_lo, s12
	;;#ASMSTART
	v_pk_mul_f16 v12, v96, v14;

	;;#ASMEND
	;;#ASMSTART
	v_pk_mul_f16 v13, v87, v13;

	;;#ASMEND
	;; [unrolled: 4-line block ×4, first 2 shown]
	;;#ASMSTART
	v_pk_add_f16 v12, v12, v13;

	;;#ASMEND
	;;#ASMSTART
	v_pk_add_f16 v0, v12, v0;

	;;#ASMEND
	;; [unrolled: 4-line block ×3, first 2 shown]
	v_dual_mov_b32 v128, 0 :: v_dual_and_b32 v11, 0xffff, v0
	v_lshrrev_b32_e32 v0, 16, v0
	;;#ASMSTART
	v_cvt_f32_f16 v117, v11;
	;;#ASMEND
	;;#ASMSTART
	v_cvt_f32_f16 v118, v0;
	;;#ASMEND
	flat_load_b64 v[11:12], v[9:10] offset:1792
	flat_load_b32 v119, v[26:27]
	s_mov_b32 s12, exec_lo
	s_waitcnt vmcnt(1) lgkmcnt(1)
	v_dual_mov_b32 v129, 0 :: v_dual_and_b32 v0, 0xff, v11
	s_delay_alu instid0(VALU_DEP_1)
	v_cmpx_ne_u16_e32 0, v0
	s_cbranch_execz .LBB350_1469
; %bb.1462:                             ;   in Loop: Header=BB350_998 Depth=1
	v_bfrev_b32_e32 v128, 1
	s_mov_b32 s13, exec_lo
	v_cmpx_ne_u16_e32 0x80, v0
	s_cbranch_execz .LBB350_1468
; %bb.1463:                             ;   in Loop: Header=BB350_998 Depth=1
	v_and_b32_e32 v13, 0x7f, v11
	v_mov_b32_e32 v128, 0x7fc02000
	s_mov_b32 s15, exec_lo
	s_delay_alu instid0(VALU_DEP_2)
	v_cmpx_ne_u32_e32 0x7f, v13
	s_cbranch_execz .LBB350_1467
; %bb.1464:                             ;   in Loop: Header=BB350_998 Depth=1
	v_lshrrev_b32_e32 v0, 3, v13
	v_cmp_gt_u32_e64 s0, 8, v13
	v_dual_mov_b32 v14, v12 :: v_dual_mov_b32 v13, v11
	s_delay_alu instid0(VALU_DEP_2)
	s_and_saveexec_b32 s16, s0
; %bb.1465:                             ;   in Loop: Header=BB350_998 Depth=1
	v_and_b32_e32 v0, 7, v11
	s_delay_alu instid0(VALU_DEP_1) | instskip(NEXT) | instid1(VALU_DEP_1)
	v_clz_i32_u32_e32 v0, v0
	v_min_u32_e32 v0, 32, v0
	s_delay_alu instid0(VALU_DEP_1) | instskip(SKIP_1) | instid1(VALU_DEP_2)
	v_subrev_nc_u32_e32 v13, 28, v0
	v_sub_nc_u32_e32 v0, 29, v0
	v_lshlrev_b64 v[13:14], v13, v[11:12]
; %bb.1466:                             ;   in Loop: Header=BB350_998 Depth=1
	s_or_b32 exec_lo, exec_lo, s16
	v_lshlrev_b32_e32 v14, 8, v11
	s_delay_alu instid0(VALU_DEP_3) | instskip(NEXT) | instid1(VALU_DEP_3)
	v_lshl_add_u32 v0, v0, 10, 0x2000
	v_lshlrev_b32_e32 v13, 7, v13
	s_delay_alu instid0(VALU_DEP_2) | instskip(NEXT) | instid1(VALU_DEP_1)
	v_and_or_b32 v0, 0x8000, v14, v0
	v_and_or_b32 v0, 0x380, v13, v0
	s_delay_alu instid0(VALU_DEP_1)
	v_cvt_f32_f16_e64 v128, v0
.LBB350_1467:                           ;   in Loop: Header=BB350_998 Depth=1
	s_or_b32 exec_lo, exec_lo, s15
.LBB350_1468:                           ;   in Loop: Header=BB350_998 Depth=1
	s_delay_alu instid0(SALU_CYCLE_1)
	s_or_b32 exec_lo, exec_lo, s13
.LBB350_1469:                           ;   in Loop: Header=BB350_998 Depth=1
	s_delay_alu instid0(SALU_CYCLE_1) | instskip(SKIP_2) | instid1(VALU_DEP_1)
	s_or_b32 exec_lo, exec_lo, s12
	v_lshrrev_b16 v0, 8, v11
	s_mov_b32 s12, exec_lo
	v_cmpx_ne_u16_e32 0, v0
	s_cbranch_execz .LBB350_1477
; %bb.1470:                             ;   in Loop: Header=BB350_998 Depth=1
	v_bfrev_b32_e32 v129, 1
	s_mov_b32 s13, exec_lo
	v_cmpx_ne_u16_e32 0x80, v0
	s_cbranch_execz .LBB350_1476
; %bb.1471:                             ;   in Loop: Header=BB350_998 Depth=1
	v_and_b32_e32 v130, 0xffff, v0
	v_mov_b32_e32 v129, 0x7fc02000
	s_mov_b32 s15, exec_lo
	s_delay_alu instid0(VALU_DEP_2) | instskip(NEXT) | instid1(VALU_DEP_1)
	v_and_b32_e32 v13, 0x7f, v130
	v_cmpx_ne_u32_e32 0x7f, v13
	s_cbranch_execz .LBB350_1475
; %bb.1472:                             ;   in Loop: Header=BB350_998 Depth=1
	v_and_b32_e32 v0, 7, v130
	v_lshrrev_b32_e32 v129, 3, v13
	v_cmp_gt_u32_e64 s0, 8, v13
	s_delay_alu instid0(VALU_DEP_3) | instskip(NEXT) | instid1(VALU_DEP_2)
	v_dual_mov_b32 v14, v1 :: v_dual_mov_b32 v13, v0
	s_and_saveexec_b32 s16, s0
; %bb.1473:                             ;   in Loop: Header=BB350_998 Depth=1
	v_clz_i32_u32_e32 v13, v0
	s_delay_alu instid0(VALU_DEP_1) | instskip(NEXT) | instid1(VALU_DEP_1)
	v_min_u32_e32 v129, 32, v13
	v_subrev_nc_u32_e32 v13, 28, v129
	v_sub_nc_u32_e32 v129, 29, v129
	s_delay_alu instid0(VALU_DEP_2) | instskip(NEXT) | instid1(VALU_DEP_1)
	v_lshlrev_b64 v[13:14], v13, v[0:1]
	v_and_b32_e32 v13, 7, v13
; %bb.1474:                             ;   in Loop: Header=BB350_998 Depth=1
	s_or_b32 exec_lo, exec_lo, s16
	v_lshlrev_b32_e32 v0, 8, v130
	v_lshl_add_u32 v14, v129, 10, 0x2000
	s_delay_alu instid0(VALU_DEP_1) | instskip(NEXT) | instid1(VALU_DEP_1)
	v_and_or_b32 v0, 0x8000, v0, v14
	v_lshl_or_b32 v0, v13, 7, v0
	s_delay_alu instid0(VALU_DEP_1)
	v_cvt_f32_f16_e64 v129, v0
.LBB350_1475:                           ;   in Loop: Header=BB350_998 Depth=1
	s_or_b32 exec_lo, exec_lo, s15
.LBB350_1476:                           ;   in Loop: Header=BB350_998 Depth=1
	s_delay_alu instid0(SALU_CYCLE_1)
	s_or_b32 exec_lo, exec_lo, s13
.LBB350_1477:                           ;   in Loop: Header=BB350_998 Depth=1
	s_delay_alu instid0(SALU_CYCLE_1) | instskip(SKIP_3) | instid1(VALU_DEP_2)
	s_or_b32 exec_lo, exec_lo, s12
	v_lshrrev_b32_e32 v132, 16, v11
	v_mov_b32_e32 v130, 0
	s_mov_b32 s12, exec_lo
	v_dual_mov_b32 v131, 0 :: v_dual_and_b32 v0, 0xff, v132
	s_delay_alu instid0(VALU_DEP_1)
	v_cmpx_ne_u16_e32 0, v0
	s_cbranch_execz .LBB350_1485
; %bb.1478:                             ;   in Loop: Header=BB350_998 Depth=1
	v_bfrev_b32_e32 v130, 1
	s_mov_b32 s13, exec_lo
	v_cmpx_ne_u16_e32 0x80, v0
	s_cbranch_execz .LBB350_1484
; %bb.1479:                             ;   in Loop: Header=BB350_998 Depth=1
	v_bfe_u32 v13, v11, 16, 7
	v_mov_b32_e32 v130, 0x7fc02000
	s_mov_b32 s15, exec_lo
	s_delay_alu instid0(VALU_DEP_2)
	v_cmpx_ne_u32_e32 0x7f, v13
	s_cbranch_execz .LBB350_1483
; %bb.1480:                             ;   in Loop: Header=BB350_998 Depth=1
	v_and_b32_e32 v0, 7, v132
	v_lshrrev_b32_e32 v130, 3, v13
	v_cmp_gt_u32_e64 s0, 8, v13
	s_delay_alu instid0(VALU_DEP_3) | instskip(NEXT) | instid1(VALU_DEP_2)
	v_dual_mov_b32 v14, v1 :: v_dual_mov_b32 v13, v0
	s_and_saveexec_b32 s16, s0
; %bb.1481:                             ;   in Loop: Header=BB350_998 Depth=1
	v_clz_i32_u32_e32 v13, v0
	s_delay_alu instid0(VALU_DEP_1) | instskip(NEXT) | instid1(VALU_DEP_1)
	v_min_u32_e32 v130, 32, v13
	v_subrev_nc_u32_e32 v13, 28, v130
	v_sub_nc_u32_e32 v130, 29, v130
	s_delay_alu instid0(VALU_DEP_2) | instskip(NEXT) | instid1(VALU_DEP_1)
	v_lshlrev_b64 v[13:14], v13, v[0:1]
	v_and_b32_e32 v13, 7, v13
; %bb.1482:                             ;   in Loop: Header=BB350_998 Depth=1
	s_or_b32 exec_lo, exec_lo, s16
	v_lshlrev_b32_e32 v0, 8, v132
	v_lshl_add_u32 v14, v130, 10, 0x2000
	s_delay_alu instid0(VALU_DEP_1) | instskip(NEXT) | instid1(VALU_DEP_1)
	v_and_or_b32 v0, 0x8000, v0, v14
	v_lshl_or_b32 v0, v13, 7, v0
	s_delay_alu instid0(VALU_DEP_1)
	v_cvt_f32_f16_e64 v130, v0
.LBB350_1483:                           ;   in Loop: Header=BB350_998 Depth=1
	s_or_b32 exec_lo, exec_lo, s15
.LBB350_1484:                           ;   in Loop: Header=BB350_998 Depth=1
	s_delay_alu instid0(SALU_CYCLE_1)
	s_or_b32 exec_lo, exec_lo, s13
.LBB350_1485:                           ;   in Loop: Header=BB350_998 Depth=1
	s_delay_alu instid0(SALU_CYCLE_1) | instskip(NEXT) | instid1(SALU_CYCLE_1)
	s_or_b32 exec_lo, exec_lo, s12
	s_mov_b32 s12, exec_lo
	v_cmpx_lt_u32_e32 0xffffff, v11
	s_cbranch_execz .LBB350_1493
; %bb.1486:                             ;   in Loop: Header=BB350_998 Depth=1
	v_lshrrev_b32_e32 v132, 24, v11
	v_bfrev_b32_e32 v131, 1
	s_mov_b32 s13, exec_lo
	s_delay_alu instid0(VALU_DEP_2)
	v_cmpx_ne_u32_e32 0x80, v132
	s_cbranch_execz .LBB350_1492
; %bb.1487:                             ;   in Loop: Header=BB350_998 Depth=1
	v_and_b32_e32 v13, 0x7f, v132
	v_mov_b32_e32 v131, 0x7fc02000
	s_mov_b32 s15, exec_lo
	s_delay_alu instid0(VALU_DEP_2)
	v_cmpx_ne_u32_e32 0x7f, v13
	s_cbranch_execz .LBB350_1491
; %bb.1488:                             ;   in Loop: Header=BB350_998 Depth=1
	v_and_b32_e32 v0, 7, v132
	v_lshrrev_b32_e32 v131, 3, v13
	v_cmp_gt_u32_e64 s0, 8, v13
	s_delay_alu instid0(VALU_DEP_3) | instskip(NEXT) | instid1(VALU_DEP_2)
	v_dual_mov_b32 v14, v1 :: v_dual_mov_b32 v13, v0
	s_and_saveexec_b32 s16, s0
; %bb.1489:                             ;   in Loop: Header=BB350_998 Depth=1
	v_clz_i32_u32_e32 v13, v0
	s_delay_alu instid0(VALU_DEP_1) | instskip(NEXT) | instid1(VALU_DEP_1)
	v_min_u32_e32 v131, 32, v13
	v_subrev_nc_u32_e32 v13, 28, v131
	v_sub_nc_u32_e32 v131, 29, v131
	s_delay_alu instid0(VALU_DEP_2) | instskip(NEXT) | instid1(VALU_DEP_1)
	v_lshlrev_b64 v[13:14], v13, v[0:1]
	v_and_b32_e32 v13, 7, v13
; %bb.1490:                             ;   in Loop: Header=BB350_998 Depth=1
	s_or_b32 exec_lo, exec_lo, s16
	v_lshlrev_b32_e32 v0, 8, v132
	v_lshl_add_u32 v14, v131, 10, 0x2000
	s_delay_alu instid0(VALU_DEP_1) | instskip(NEXT) | instid1(VALU_DEP_1)
	v_and_or_b32 v0, 0x8000, v0, v14
	v_lshl_or_b32 v0, v13, 7, v0
	s_delay_alu instid0(VALU_DEP_1)
	v_cvt_f32_f16_e64 v131, v0
.LBB350_1491:                           ;   in Loop: Header=BB350_998 Depth=1
	s_or_b32 exec_lo, exec_lo, s15
.LBB350_1492:                           ;   in Loop: Header=BB350_998 Depth=1
	s_delay_alu instid0(SALU_CYCLE_1)
	s_or_b32 exec_lo, exec_lo, s13
.LBB350_1493:                           ;   in Loop: Header=BB350_998 Depth=1
	s_delay_alu instid0(SALU_CYCLE_1) | instskip(SKIP_3) | instid1(VALU_DEP_2)
	s_or_b32 exec_lo, exec_lo, s12
	v_dual_mov_b32 v0, v12 :: v_dual_and_b32 v13, 0xff, v12
	v_dual_mov_b32 v133, 0 :: v_dual_mov_b32 v132, 0
	s_mov_b32 s12, exec_lo
	v_cmpx_ne_u16_e32 0, v13
	s_cbranch_execz .LBB350_1501
; %bb.1494:                             ;   in Loop: Header=BB350_998 Depth=1
	v_bfrev_b32_e32 v132, 1
	s_mov_b32 s13, exec_lo
	v_cmpx_ne_u16_e32 0x80, v13
	s_cbranch_execz .LBB350_1500
; %bb.1495:                             ;   in Loop: Header=BB350_998 Depth=1
	v_and_b32_e32 v13, 0x7f, v12
	v_mov_b32_e32 v132, 0x7fc02000
	s_mov_b32 s15, exec_lo
	s_delay_alu instid0(VALU_DEP_2)
	v_cmpx_ne_u32_e32 0x7f, v13
	s_cbranch_execz .LBB350_1499
; %bb.1496:                             ;   in Loop: Header=BB350_998 Depth=1
	v_lshrrev_b32_e32 v132, 3, v13
	v_cmp_gt_u32_e64 s0, 8, v13
	v_dual_mov_b32 v14, v1 :: v_dual_mov_b32 v13, v0
	s_delay_alu instid0(VALU_DEP_2)
	s_and_saveexec_b32 s16, s0
; %bb.1497:                             ;   in Loop: Header=BB350_998 Depth=1
	v_and_b32_e32 v13, 7, v12
	s_delay_alu instid0(VALU_DEP_1) | instskip(NEXT) | instid1(VALU_DEP_1)
	v_clz_i32_u32_e32 v13, v13
	v_min_u32_e32 v132, 32, v13
	s_delay_alu instid0(VALU_DEP_1) | instskip(SKIP_1) | instid1(VALU_DEP_2)
	v_subrev_nc_u32_e32 v13, 28, v132
	v_sub_nc_u32_e32 v132, 29, v132
	v_lshlrev_b64 v[13:14], v13, v[0:1]
; %bb.1498:                             ;   in Loop: Header=BB350_998 Depth=1
	s_or_b32 exec_lo, exec_lo, s16
	v_lshlrev_b32_e32 v14, 8, v12
	s_delay_alu instid0(VALU_DEP_3) | instskip(NEXT) | instid1(VALU_DEP_3)
	v_lshl_add_u32 v132, v132, 10, 0x2000
	v_lshlrev_b32_e32 v13, 7, v13
	s_delay_alu instid0(VALU_DEP_2) | instskip(NEXT) | instid1(VALU_DEP_1)
	v_and_or_b32 v14, 0x8000, v14, v132
	v_and_or_b32 v13, 0x380, v13, v14
	s_delay_alu instid0(VALU_DEP_1)
	v_cvt_f32_f16_e64 v132, v13
.LBB350_1499:                           ;   in Loop: Header=BB350_998 Depth=1
	s_or_b32 exec_lo, exec_lo, s15
.LBB350_1500:                           ;   in Loop: Header=BB350_998 Depth=1
	s_delay_alu instid0(SALU_CYCLE_1)
	s_or_b32 exec_lo, exec_lo, s13
.LBB350_1501:                           ;   in Loop: Header=BB350_998 Depth=1
	s_delay_alu instid0(SALU_CYCLE_1) | instskip(SKIP_2) | instid1(VALU_DEP_1)
	s_or_b32 exec_lo, exec_lo, s12
	v_lshrrev_b16 v0, 8, v0
	s_mov_b32 s12, exec_lo
	v_cmpx_ne_u16_e32 0, v0
	s_cbranch_execz .LBB350_1509
; %bb.1502:                             ;   in Loop: Header=BB350_998 Depth=1
	v_bfrev_b32_e32 v133, 1
	s_mov_b32 s13, exec_lo
	v_cmpx_ne_u16_e32 0x80, v0
	s_cbranch_execz .LBB350_1508
; %bb.1503:                             ;   in Loop: Header=BB350_998 Depth=1
	v_and_b32_e32 v134, 0xffff, v0
	v_mov_b32_e32 v133, 0x7fc02000
	s_mov_b32 s15, exec_lo
	s_delay_alu instid0(VALU_DEP_2) | instskip(NEXT) | instid1(VALU_DEP_1)
	v_and_b32_e32 v13, 0x7f, v134
	v_cmpx_ne_u32_e32 0x7f, v13
	s_cbranch_execz .LBB350_1507
; %bb.1504:                             ;   in Loop: Header=BB350_998 Depth=1
	v_and_b32_e32 v0, 7, v134
	v_lshrrev_b32_e32 v133, 3, v13
	v_cmp_gt_u32_e64 s0, 8, v13
	s_delay_alu instid0(VALU_DEP_3) | instskip(NEXT) | instid1(VALU_DEP_2)
	v_dual_mov_b32 v14, v1 :: v_dual_mov_b32 v13, v0
	s_and_saveexec_b32 s16, s0
; %bb.1505:                             ;   in Loop: Header=BB350_998 Depth=1
	v_clz_i32_u32_e32 v13, v0
	s_delay_alu instid0(VALU_DEP_1) | instskip(NEXT) | instid1(VALU_DEP_1)
	v_min_u32_e32 v133, 32, v13
	v_subrev_nc_u32_e32 v13, 28, v133
	v_sub_nc_u32_e32 v133, 29, v133
	s_delay_alu instid0(VALU_DEP_2) | instskip(NEXT) | instid1(VALU_DEP_1)
	v_lshlrev_b64 v[13:14], v13, v[0:1]
	v_and_b32_e32 v13, 7, v13
; %bb.1506:                             ;   in Loop: Header=BB350_998 Depth=1
	s_or_b32 exec_lo, exec_lo, s16
	v_lshlrev_b32_e32 v0, 8, v134
	v_lshl_add_u32 v14, v133, 10, 0x2000
	s_delay_alu instid0(VALU_DEP_1) | instskip(NEXT) | instid1(VALU_DEP_1)
	v_and_or_b32 v0, 0x8000, v0, v14
	v_lshl_or_b32 v0, v13, 7, v0
	s_delay_alu instid0(VALU_DEP_1)
	v_cvt_f32_f16_e64 v133, v0
.LBB350_1507:                           ;   in Loop: Header=BB350_998 Depth=1
	s_or_b32 exec_lo, exec_lo, s15
.LBB350_1508:                           ;   in Loop: Header=BB350_998 Depth=1
	s_delay_alu instid0(SALU_CYCLE_1)
	s_or_b32 exec_lo, exec_lo, s13
.LBB350_1509:                           ;   in Loop: Header=BB350_998 Depth=1
	s_delay_alu instid0(SALU_CYCLE_1) | instskip(SKIP_3) | instid1(VALU_DEP_2)
	s_or_b32 exec_lo, exec_lo, s12
	v_lshrrev_b32_e32 v135, 16, v12
	v_mov_b32_e32 v134, 0
	s_mov_b32 s12, exec_lo
	v_dual_mov_b32 v13, 0 :: v_dual_and_b32 v0, 0xff, v135
	s_delay_alu instid0(VALU_DEP_1)
	v_cmpx_ne_u16_e32 0, v0
	s_cbranch_execz .LBB350_1517
; %bb.1510:                             ;   in Loop: Header=BB350_998 Depth=1
	v_bfrev_b32_e32 v13, 1
	s_mov_b32 s13, exec_lo
	v_cmpx_ne_u16_e32 0x80, v0
	s_cbranch_execz .LBB350_1516
; %bb.1511:                             ;   in Loop: Header=BB350_998 Depth=1
	v_bfe_u32 v14, v12, 16, 7
	v_mov_b32_e32 v13, 0x7fc02000
	s_mov_b32 s15, exec_lo
	s_delay_alu instid0(VALU_DEP_2)
	v_cmpx_ne_u32_e32 0x7f, v14
	s_cbranch_execz .LBB350_1515
; %bb.1512:                             ;   in Loop: Header=BB350_998 Depth=1
	v_and_b32_e32 v0, 7, v135
	v_lshrrev_b32_e32 v144, 3, v14
	v_cmp_gt_u32_e64 s0, 8, v14
	s_delay_alu instid0(VALU_DEP_3) | instskip(NEXT) | instid1(VALU_DEP_2)
	v_dual_mov_b32 v14, v1 :: v_dual_mov_b32 v13, v0
	s_and_saveexec_b32 s16, s0
; %bb.1513:                             ;   in Loop: Header=BB350_998 Depth=1
	v_clz_i32_u32_e32 v13, v0
	s_delay_alu instid0(VALU_DEP_1) | instskip(NEXT) | instid1(VALU_DEP_1)
	v_min_u32_e32 v144, 32, v13
	v_subrev_nc_u32_e32 v13, 28, v144
	v_sub_nc_u32_e32 v144, 29, v144
	s_delay_alu instid0(VALU_DEP_2) | instskip(NEXT) | instid1(VALU_DEP_1)
	v_lshlrev_b64 v[13:14], v13, v[0:1]
	v_and_b32_e32 v13, 7, v13
; %bb.1514:                             ;   in Loop: Header=BB350_998 Depth=1
	s_or_b32 exec_lo, exec_lo, s16
	v_lshlrev_b32_e32 v0, 8, v135
	v_lshl_add_u32 v14, v144, 10, 0x2000
	s_delay_alu instid0(VALU_DEP_1) | instskip(NEXT) | instid1(VALU_DEP_1)
	v_and_or_b32 v0, 0x8000, v0, v14
	v_lshl_or_b32 v0, v13, 7, v0
	s_delay_alu instid0(VALU_DEP_1)
	v_cvt_f32_f16_e32 v13, v0
.LBB350_1515:                           ;   in Loop: Header=BB350_998 Depth=1
	s_or_b32 exec_lo, exec_lo, s15
.LBB350_1516:                           ;   in Loop: Header=BB350_998 Depth=1
	s_delay_alu instid0(SALU_CYCLE_1)
	s_or_b32 exec_lo, exec_lo, s13
.LBB350_1517:                           ;   in Loop: Header=BB350_998 Depth=1
	s_delay_alu instid0(SALU_CYCLE_1) | instskip(NEXT) | instid1(SALU_CYCLE_1)
	s_or_b32 exec_lo, exec_lo, s12
	s_mov_b32 s12, exec_lo
	v_cmpx_lt_u64_e64 s[8:9], v[11:12]
	s_cbranch_execz .LBB350_1525
; %bb.1518:                             ;   in Loop: Header=BB350_998 Depth=1
	v_lshrrev_b32_e32 v14, 24, v12
	v_bfrev_b32_e32 v134, 1
	s_mov_b32 s13, exec_lo
	s_delay_alu instid0(VALU_DEP_2)
	v_cmpx_ne_u32_e32 0x80, v14
	s_cbranch_execz .LBB350_1524
; %bb.1519:                             ;   in Loop: Header=BB350_998 Depth=1
	v_and_b32_e32 v11, 0x7f, v14
	v_mov_b32_e32 v134, 0x7fc02000
	s_mov_b32 s15, exec_lo
	s_delay_alu instid0(VALU_DEP_2)
	v_cmpx_ne_u32_e32 0x7f, v11
	s_cbranch_execz .LBB350_1523
; %bb.1520:                             ;   in Loop: Header=BB350_998 Depth=1
	v_and_b32_e32 v0, 7, v14
	v_lshrrev_b32_e32 v134, 3, v11
	v_cmp_gt_u32_e64 s0, 8, v11
	s_delay_alu instid0(VALU_DEP_3) | instskip(NEXT) | instid1(VALU_DEP_2)
	v_dual_mov_b32 v12, v1 :: v_dual_mov_b32 v11, v0
	s_and_saveexec_b32 s16, s0
; %bb.1521:                             ;   in Loop: Header=BB350_998 Depth=1
	v_clz_i32_u32_e32 v11, v0
	s_delay_alu instid0(VALU_DEP_1) | instskip(NEXT) | instid1(VALU_DEP_1)
	v_min_u32_e32 v134, 32, v11
	v_subrev_nc_u32_e32 v11, 28, v134
	v_sub_nc_u32_e32 v134, 29, v134
	s_delay_alu instid0(VALU_DEP_2) | instskip(NEXT) | instid1(VALU_DEP_1)
	v_lshlrev_b64 v[11:12], v11, v[0:1]
	v_and_b32_e32 v11, 7, v11
; %bb.1522:                             ;   in Loop: Header=BB350_998 Depth=1
	s_or_b32 exec_lo, exec_lo, s16
	v_lshlrev_b32_e32 v0, 8, v14
	v_lshl_add_u32 v12, v134, 10, 0x2000
	s_delay_alu instid0(VALU_DEP_1) | instskip(NEXT) | instid1(VALU_DEP_1)
	v_and_or_b32 v0, 0x8000, v0, v12
	v_lshl_or_b32 v0, v11, 7, v0
	s_delay_alu instid0(VALU_DEP_1)
	v_cvt_f32_f16_e64 v134, v0
.LBB350_1523:                           ;   in Loop: Header=BB350_998 Depth=1
	s_or_b32 exec_lo, exec_lo, s15
.LBB350_1524:                           ;   in Loop: Header=BB350_998 Depth=1
	s_delay_alu instid0(SALU_CYCLE_1)
	s_or_b32 exec_lo, exec_lo, s13
.LBB350_1525:                           ;   in Loop: Header=BB350_998 Depth=1
	s_delay_alu instid0(SALU_CYCLE_1)
	s_or_b32 exec_lo, exec_lo, s12
	s_waitcnt vmcnt(0) lgkmcnt(0)
	v_fma_mixlo_f16 v12, v119, v129, 0
	v_fma_mixlo_f16 v0, v119, v131, 0
	;; [unrolled: 1-line block ×5, first 2 shown]
	v_lshlrev_b32_e32 v14, 16, v12
	v_fma_mixlo_f16 v130, v119, v132, 0
	v_fma_mixlo_f16 v131, v119, v134, 0
	;; [unrolled: 1-line block ×3, first 2 shown]
	v_lshlrev_b32_e32 v0, 16, v0
	v_and_b32_e32 v11, 0xffff, v11
	v_and_b32_e32 v119, 0xffff, v128
	v_lshlrev_b32_e32 v128, 16, v129
	v_and_b32_e32 v129, 0xffff, v130
	v_lshlrev_b32_e32 v130, 16, v131
	v_and_b32_e32 v131, 0xffff, v12
	v_or_b32_e32 v13, v0, v11
	v_or_b32_e32 v14, v14, v119
	;; [unrolled: 1-line block ×3, first 2 shown]
	s_delay_alu instid0(VALU_DEP_4)
	v_or_b32_e32 v11, v130, v131
	s_and_saveexec_b32 s12, vcc_lo
	s_cbranch_execz .LBB350_1527
; %bb.1526:                             ;   in Loop: Header=BB350_998 Depth=1
	v_cmp_lt_i32_e64 s0, v19, v38
	v_lshrrev_b32_e32 v119, 16, v14
	v_lshrrev_b32_e32 v128, 16, v13
	;; [unrolled: 1-line block ×4, first 2 shown]
	v_cndmask_b32_e64 v14, 0, v14, s0
	v_cmp_lt_i32_e64 s0, v98, v55
	s_delay_alu instid0(VALU_DEP_1) | instskip(SKIP_1) | instid1(VALU_DEP_2)
	v_cndmask_b32_e64 v119, 0, v119, s0
	v_cmp_lt_i32_e64 s0, v97, v55
	v_perm_b32 v14, v119, v14, 0x5040100
	s_delay_alu instid0(VALU_DEP_2) | instskip(SKIP_1) | instid1(VALU_DEP_1)
	v_cndmask_b32_e64 v128, 0, v128, s0
	v_cmp_lt_i32_e64 s0, v86, v38
	v_cndmask_b32_e64 v13, 0, v13, s0
	v_cmp_lt_i32_e64 s0, v81, v55
	s_delay_alu instid0(VALU_DEP_2) | instskip(NEXT) | instid1(VALU_DEP_2)
	v_perm_b32 v13, v128, v13, 0x5040100
	v_cndmask_b32_e64 v129, 0, v129, s0
	v_cmp_lt_i32_e64 s0, v80, v38
	s_delay_alu instid0(VALU_DEP_1) | instskip(SKIP_1) | instid1(VALU_DEP_2)
	v_cndmask_b32_e64 v0, 0, v0, s0
	v_cmp_lt_i32_e64 s0, v71, v55
	v_perm_b32 v0, v129, v0, 0x5040100
	s_delay_alu instid0(VALU_DEP_2) | instskip(SKIP_1) | instid1(VALU_DEP_1)
	v_cndmask_b32_e64 v11, 0, v11, s0
	v_cmp_lt_i32_e64 s0, v64, v38
	v_cndmask_b32_e64 v12, 0, v12, s0
	s_delay_alu instid0(VALU_DEP_1)
	v_perm_b32 v11, v11, v12, 0x5040100
.LBB350_1527:                           ;   in Loop: Header=BB350_998 Depth=1
	s_or_b32 exec_lo, exec_lo, s12
	;;#ASMSTART
	v_pk_mul_f16 v12, v96, v14;

	;;#ASMEND
	;;#ASMSTART
	v_pk_mul_f16 v13, v87, v13;

	;;#ASMEND
	;; [unrolled: 4-line block ×4, first 2 shown]
	;;#ASMSTART
	v_pk_add_f16 v12, v12, v13;

	;;#ASMEND
	;;#ASMSTART
	v_pk_add_f16 v0, v12, v0;

	;;#ASMEND
	;; [unrolled: 4-line block ×3, first 2 shown]
	v_dual_mov_b32 v130, 0 :: v_dual_and_b32 v11, 0xffff, v0
	v_lshrrev_b32_e32 v0, 16, v0
	;;#ASMSTART
	v_cvt_f32_f16 v119, v11;
	;;#ASMEND
	;;#ASMSTART
	v_cvt_f32_f16 v128, v0;
	;;#ASMEND
	flat_load_b64 v[11:12], v[9:10] offset:2048
	flat_load_b32 v129, v[26:27]
	s_mov_b32 s12, exec_lo
	s_waitcnt vmcnt(1) lgkmcnt(1)
	v_dual_mov_b32 v131, 0 :: v_dual_and_b32 v0, 0xff, v11
	s_delay_alu instid0(VALU_DEP_1)
	v_cmpx_ne_u16_e32 0, v0
	s_cbranch_execz .LBB350_1535
; %bb.1528:                             ;   in Loop: Header=BB350_998 Depth=1
	v_bfrev_b32_e32 v130, 1
	s_mov_b32 s13, exec_lo
	v_cmpx_ne_u16_e32 0x80, v0
	s_cbranch_execz .LBB350_1534
; %bb.1529:                             ;   in Loop: Header=BB350_998 Depth=1
	v_and_b32_e32 v13, 0x7f, v11
	v_mov_b32_e32 v130, 0x7fc02000
	s_mov_b32 s15, exec_lo
	s_delay_alu instid0(VALU_DEP_2)
	v_cmpx_ne_u32_e32 0x7f, v13
	s_cbranch_execz .LBB350_1533
; %bb.1530:                             ;   in Loop: Header=BB350_998 Depth=1
	v_lshrrev_b32_e32 v0, 3, v13
	v_cmp_gt_u32_e64 s0, 8, v13
	v_dual_mov_b32 v14, v12 :: v_dual_mov_b32 v13, v11
	s_delay_alu instid0(VALU_DEP_2)
	s_and_saveexec_b32 s16, s0
; %bb.1531:                             ;   in Loop: Header=BB350_998 Depth=1
	v_and_b32_e32 v0, 7, v11
	s_delay_alu instid0(VALU_DEP_1) | instskip(NEXT) | instid1(VALU_DEP_1)
	v_clz_i32_u32_e32 v0, v0
	v_min_u32_e32 v0, 32, v0
	s_delay_alu instid0(VALU_DEP_1) | instskip(SKIP_1) | instid1(VALU_DEP_2)
	v_subrev_nc_u32_e32 v13, 28, v0
	v_sub_nc_u32_e32 v0, 29, v0
	v_lshlrev_b64 v[13:14], v13, v[11:12]
; %bb.1532:                             ;   in Loop: Header=BB350_998 Depth=1
	s_or_b32 exec_lo, exec_lo, s16
	v_lshlrev_b32_e32 v14, 8, v11
	s_delay_alu instid0(VALU_DEP_3) | instskip(NEXT) | instid1(VALU_DEP_3)
	v_lshl_add_u32 v0, v0, 10, 0x2000
	v_lshlrev_b32_e32 v13, 7, v13
	s_delay_alu instid0(VALU_DEP_2) | instskip(NEXT) | instid1(VALU_DEP_1)
	v_and_or_b32 v0, 0x8000, v14, v0
	v_and_or_b32 v0, 0x380, v13, v0
	s_delay_alu instid0(VALU_DEP_1)
	v_cvt_f32_f16_e64 v130, v0
.LBB350_1533:                           ;   in Loop: Header=BB350_998 Depth=1
	s_or_b32 exec_lo, exec_lo, s15
.LBB350_1534:                           ;   in Loop: Header=BB350_998 Depth=1
	s_delay_alu instid0(SALU_CYCLE_1)
	s_or_b32 exec_lo, exec_lo, s13
.LBB350_1535:                           ;   in Loop: Header=BB350_998 Depth=1
	s_delay_alu instid0(SALU_CYCLE_1) | instskip(SKIP_2) | instid1(VALU_DEP_1)
	s_or_b32 exec_lo, exec_lo, s12
	v_lshrrev_b16 v0, 8, v11
	s_mov_b32 s12, exec_lo
	v_cmpx_ne_u16_e32 0, v0
	s_cbranch_execz .LBB350_1543
; %bb.1536:                             ;   in Loop: Header=BB350_998 Depth=1
	v_bfrev_b32_e32 v131, 1
	s_mov_b32 s13, exec_lo
	v_cmpx_ne_u16_e32 0x80, v0
	s_cbranch_execz .LBB350_1542
; %bb.1537:                             ;   in Loop: Header=BB350_998 Depth=1
	v_and_b32_e32 v132, 0xffff, v0
	v_mov_b32_e32 v131, 0x7fc02000
	s_mov_b32 s15, exec_lo
	s_delay_alu instid0(VALU_DEP_2) | instskip(NEXT) | instid1(VALU_DEP_1)
	v_and_b32_e32 v13, 0x7f, v132
	v_cmpx_ne_u32_e32 0x7f, v13
	s_cbranch_execz .LBB350_1541
; %bb.1538:                             ;   in Loop: Header=BB350_998 Depth=1
	v_and_b32_e32 v0, 7, v132
	v_lshrrev_b32_e32 v131, 3, v13
	v_cmp_gt_u32_e64 s0, 8, v13
	s_delay_alu instid0(VALU_DEP_3) | instskip(NEXT) | instid1(VALU_DEP_2)
	v_dual_mov_b32 v14, v1 :: v_dual_mov_b32 v13, v0
	s_and_saveexec_b32 s16, s0
; %bb.1539:                             ;   in Loop: Header=BB350_998 Depth=1
	v_clz_i32_u32_e32 v13, v0
	s_delay_alu instid0(VALU_DEP_1) | instskip(NEXT) | instid1(VALU_DEP_1)
	v_min_u32_e32 v131, 32, v13
	v_subrev_nc_u32_e32 v13, 28, v131
	v_sub_nc_u32_e32 v131, 29, v131
	s_delay_alu instid0(VALU_DEP_2) | instskip(NEXT) | instid1(VALU_DEP_1)
	v_lshlrev_b64 v[13:14], v13, v[0:1]
	v_and_b32_e32 v13, 7, v13
; %bb.1540:                             ;   in Loop: Header=BB350_998 Depth=1
	s_or_b32 exec_lo, exec_lo, s16
	v_lshlrev_b32_e32 v0, 8, v132
	v_lshl_add_u32 v14, v131, 10, 0x2000
	s_delay_alu instid0(VALU_DEP_1) | instskip(NEXT) | instid1(VALU_DEP_1)
	v_and_or_b32 v0, 0x8000, v0, v14
	v_lshl_or_b32 v0, v13, 7, v0
	s_delay_alu instid0(VALU_DEP_1)
	v_cvt_f32_f16_e64 v131, v0
.LBB350_1541:                           ;   in Loop: Header=BB350_998 Depth=1
	s_or_b32 exec_lo, exec_lo, s15
.LBB350_1542:                           ;   in Loop: Header=BB350_998 Depth=1
	s_delay_alu instid0(SALU_CYCLE_1)
	s_or_b32 exec_lo, exec_lo, s13
.LBB350_1543:                           ;   in Loop: Header=BB350_998 Depth=1
	s_delay_alu instid0(SALU_CYCLE_1) | instskip(SKIP_3) | instid1(VALU_DEP_2)
	s_or_b32 exec_lo, exec_lo, s12
	v_lshrrev_b32_e32 v134, 16, v11
	v_mov_b32_e32 v132, 0
	s_mov_b32 s12, exec_lo
	v_dual_mov_b32 v133, 0 :: v_dual_and_b32 v0, 0xff, v134
	s_delay_alu instid0(VALU_DEP_1)
	v_cmpx_ne_u16_e32 0, v0
	s_cbranch_execz .LBB350_1551
; %bb.1544:                             ;   in Loop: Header=BB350_998 Depth=1
	v_bfrev_b32_e32 v132, 1
	s_mov_b32 s13, exec_lo
	v_cmpx_ne_u16_e32 0x80, v0
	s_cbranch_execz .LBB350_1550
; %bb.1545:                             ;   in Loop: Header=BB350_998 Depth=1
	v_bfe_u32 v13, v11, 16, 7
	v_mov_b32_e32 v132, 0x7fc02000
	s_mov_b32 s15, exec_lo
	s_delay_alu instid0(VALU_DEP_2)
	v_cmpx_ne_u32_e32 0x7f, v13
	s_cbranch_execz .LBB350_1549
; %bb.1546:                             ;   in Loop: Header=BB350_998 Depth=1
	v_and_b32_e32 v0, 7, v134
	v_lshrrev_b32_e32 v132, 3, v13
	v_cmp_gt_u32_e64 s0, 8, v13
	s_delay_alu instid0(VALU_DEP_3) | instskip(NEXT) | instid1(VALU_DEP_2)
	v_dual_mov_b32 v14, v1 :: v_dual_mov_b32 v13, v0
	s_and_saveexec_b32 s16, s0
; %bb.1547:                             ;   in Loop: Header=BB350_998 Depth=1
	v_clz_i32_u32_e32 v13, v0
	s_delay_alu instid0(VALU_DEP_1) | instskip(NEXT) | instid1(VALU_DEP_1)
	v_min_u32_e32 v132, 32, v13
	v_subrev_nc_u32_e32 v13, 28, v132
	v_sub_nc_u32_e32 v132, 29, v132
	s_delay_alu instid0(VALU_DEP_2) | instskip(NEXT) | instid1(VALU_DEP_1)
	v_lshlrev_b64 v[13:14], v13, v[0:1]
	v_and_b32_e32 v13, 7, v13
; %bb.1548:                             ;   in Loop: Header=BB350_998 Depth=1
	s_or_b32 exec_lo, exec_lo, s16
	v_lshlrev_b32_e32 v0, 8, v134
	v_lshl_add_u32 v14, v132, 10, 0x2000
	s_delay_alu instid0(VALU_DEP_1) | instskip(NEXT) | instid1(VALU_DEP_1)
	v_and_or_b32 v0, 0x8000, v0, v14
	v_lshl_or_b32 v0, v13, 7, v0
	s_delay_alu instid0(VALU_DEP_1)
	v_cvt_f32_f16_e64 v132, v0
.LBB350_1549:                           ;   in Loop: Header=BB350_998 Depth=1
	s_or_b32 exec_lo, exec_lo, s15
.LBB350_1550:                           ;   in Loop: Header=BB350_998 Depth=1
	s_delay_alu instid0(SALU_CYCLE_1)
	s_or_b32 exec_lo, exec_lo, s13
.LBB350_1551:                           ;   in Loop: Header=BB350_998 Depth=1
	s_delay_alu instid0(SALU_CYCLE_1) | instskip(NEXT) | instid1(SALU_CYCLE_1)
	s_or_b32 exec_lo, exec_lo, s12
	s_mov_b32 s12, exec_lo
	v_cmpx_lt_u32_e32 0xffffff, v11
	s_cbranch_execz .LBB350_1559
; %bb.1552:                             ;   in Loop: Header=BB350_998 Depth=1
	v_lshrrev_b32_e32 v134, 24, v11
	v_bfrev_b32_e32 v133, 1
	s_mov_b32 s13, exec_lo
	s_delay_alu instid0(VALU_DEP_2)
	v_cmpx_ne_u32_e32 0x80, v134
	s_cbranch_execz .LBB350_1558
; %bb.1553:                             ;   in Loop: Header=BB350_998 Depth=1
	v_and_b32_e32 v13, 0x7f, v134
	v_mov_b32_e32 v133, 0x7fc02000
	s_mov_b32 s15, exec_lo
	s_delay_alu instid0(VALU_DEP_2)
	v_cmpx_ne_u32_e32 0x7f, v13
	s_cbranch_execz .LBB350_1557
; %bb.1554:                             ;   in Loop: Header=BB350_998 Depth=1
	v_and_b32_e32 v0, 7, v134
	v_lshrrev_b32_e32 v133, 3, v13
	v_cmp_gt_u32_e64 s0, 8, v13
	s_delay_alu instid0(VALU_DEP_3) | instskip(NEXT) | instid1(VALU_DEP_2)
	v_dual_mov_b32 v14, v1 :: v_dual_mov_b32 v13, v0
	s_and_saveexec_b32 s16, s0
; %bb.1555:                             ;   in Loop: Header=BB350_998 Depth=1
	v_clz_i32_u32_e32 v13, v0
	s_delay_alu instid0(VALU_DEP_1) | instskip(NEXT) | instid1(VALU_DEP_1)
	v_min_u32_e32 v133, 32, v13
	v_subrev_nc_u32_e32 v13, 28, v133
	v_sub_nc_u32_e32 v133, 29, v133
	s_delay_alu instid0(VALU_DEP_2) | instskip(NEXT) | instid1(VALU_DEP_1)
	v_lshlrev_b64 v[13:14], v13, v[0:1]
	v_and_b32_e32 v13, 7, v13
; %bb.1556:                             ;   in Loop: Header=BB350_998 Depth=1
	s_or_b32 exec_lo, exec_lo, s16
	v_lshlrev_b32_e32 v0, 8, v134
	v_lshl_add_u32 v14, v133, 10, 0x2000
	s_delay_alu instid0(VALU_DEP_1) | instskip(NEXT) | instid1(VALU_DEP_1)
	v_and_or_b32 v0, 0x8000, v0, v14
	v_lshl_or_b32 v0, v13, 7, v0
	s_delay_alu instid0(VALU_DEP_1)
	v_cvt_f32_f16_e64 v133, v0
.LBB350_1557:                           ;   in Loop: Header=BB350_998 Depth=1
	s_or_b32 exec_lo, exec_lo, s15
.LBB350_1558:                           ;   in Loop: Header=BB350_998 Depth=1
	s_delay_alu instid0(SALU_CYCLE_1)
	s_or_b32 exec_lo, exec_lo, s13
.LBB350_1559:                           ;   in Loop: Header=BB350_998 Depth=1
	s_delay_alu instid0(SALU_CYCLE_1) | instskip(SKIP_3) | instid1(VALU_DEP_2)
	s_or_b32 exec_lo, exec_lo, s12
	v_dual_mov_b32 v0, v12 :: v_dual_and_b32 v13, 0xff, v12
	v_dual_mov_b32 v135, 0 :: v_dual_mov_b32 v134, 0
	s_mov_b32 s12, exec_lo
	v_cmpx_ne_u16_e32 0, v13
	s_cbranch_execz .LBB350_1567
; %bb.1560:                             ;   in Loop: Header=BB350_998 Depth=1
	v_bfrev_b32_e32 v134, 1
	s_mov_b32 s13, exec_lo
	v_cmpx_ne_u16_e32 0x80, v13
	s_cbranch_execz .LBB350_1566
; %bb.1561:                             ;   in Loop: Header=BB350_998 Depth=1
	v_and_b32_e32 v13, 0x7f, v12
	v_mov_b32_e32 v134, 0x7fc02000
	s_mov_b32 s15, exec_lo
	s_delay_alu instid0(VALU_DEP_2)
	v_cmpx_ne_u32_e32 0x7f, v13
	s_cbranch_execz .LBB350_1565
; %bb.1562:                             ;   in Loop: Header=BB350_998 Depth=1
	v_lshrrev_b32_e32 v134, 3, v13
	v_cmp_gt_u32_e64 s0, 8, v13
	v_dual_mov_b32 v14, v1 :: v_dual_mov_b32 v13, v0
	s_delay_alu instid0(VALU_DEP_2)
	s_and_saveexec_b32 s16, s0
; %bb.1563:                             ;   in Loop: Header=BB350_998 Depth=1
	v_and_b32_e32 v13, 7, v12
	s_delay_alu instid0(VALU_DEP_1) | instskip(NEXT) | instid1(VALU_DEP_1)
	v_clz_i32_u32_e32 v13, v13
	v_min_u32_e32 v134, 32, v13
	s_delay_alu instid0(VALU_DEP_1) | instskip(SKIP_1) | instid1(VALU_DEP_2)
	v_subrev_nc_u32_e32 v13, 28, v134
	v_sub_nc_u32_e32 v134, 29, v134
	v_lshlrev_b64 v[13:14], v13, v[0:1]
; %bb.1564:                             ;   in Loop: Header=BB350_998 Depth=1
	s_or_b32 exec_lo, exec_lo, s16
	v_lshlrev_b32_e32 v14, 8, v12
	s_delay_alu instid0(VALU_DEP_3) | instskip(NEXT) | instid1(VALU_DEP_3)
	v_lshl_add_u32 v134, v134, 10, 0x2000
	v_lshlrev_b32_e32 v13, 7, v13
	s_delay_alu instid0(VALU_DEP_2) | instskip(NEXT) | instid1(VALU_DEP_1)
	v_and_or_b32 v14, 0x8000, v14, v134
	v_and_or_b32 v13, 0x380, v13, v14
	s_delay_alu instid0(VALU_DEP_1)
	v_cvt_f32_f16_e64 v134, v13
.LBB350_1565:                           ;   in Loop: Header=BB350_998 Depth=1
	s_or_b32 exec_lo, exec_lo, s15
.LBB350_1566:                           ;   in Loop: Header=BB350_998 Depth=1
	s_delay_alu instid0(SALU_CYCLE_1)
	s_or_b32 exec_lo, exec_lo, s13
.LBB350_1567:                           ;   in Loop: Header=BB350_998 Depth=1
	s_delay_alu instid0(SALU_CYCLE_1) | instskip(SKIP_2) | instid1(VALU_DEP_1)
	s_or_b32 exec_lo, exec_lo, s12
	v_lshrrev_b16 v0, 8, v0
	s_mov_b32 s12, exec_lo
	v_cmpx_ne_u16_e32 0, v0
	s_cbranch_execz .LBB350_1575
; %bb.1568:                             ;   in Loop: Header=BB350_998 Depth=1
	v_bfrev_b32_e32 v135, 1
	s_mov_b32 s13, exec_lo
	v_cmpx_ne_u16_e32 0x80, v0
	s_cbranch_execz .LBB350_1574
; %bb.1569:                             ;   in Loop: Header=BB350_998 Depth=1
	v_and_b32_e32 v144, 0xffff, v0
	v_mov_b32_e32 v135, 0x7fc02000
	s_mov_b32 s15, exec_lo
	s_delay_alu instid0(VALU_DEP_2) | instskip(NEXT) | instid1(VALU_DEP_1)
	v_and_b32_e32 v13, 0x7f, v144
	v_cmpx_ne_u32_e32 0x7f, v13
	s_cbranch_execz .LBB350_1573
; %bb.1570:                             ;   in Loop: Header=BB350_998 Depth=1
	v_and_b32_e32 v0, 7, v144
	v_lshrrev_b32_e32 v135, 3, v13
	v_cmp_gt_u32_e64 s0, 8, v13
	s_delay_alu instid0(VALU_DEP_3) | instskip(NEXT) | instid1(VALU_DEP_2)
	v_dual_mov_b32 v14, v1 :: v_dual_mov_b32 v13, v0
	s_and_saveexec_b32 s16, s0
; %bb.1571:                             ;   in Loop: Header=BB350_998 Depth=1
	v_clz_i32_u32_e32 v13, v0
	s_delay_alu instid0(VALU_DEP_1) | instskip(NEXT) | instid1(VALU_DEP_1)
	v_min_u32_e32 v135, 32, v13
	v_subrev_nc_u32_e32 v13, 28, v135
	v_sub_nc_u32_e32 v135, 29, v135
	s_delay_alu instid0(VALU_DEP_2) | instskip(NEXT) | instid1(VALU_DEP_1)
	v_lshlrev_b64 v[13:14], v13, v[0:1]
	v_and_b32_e32 v13, 7, v13
; %bb.1572:                             ;   in Loop: Header=BB350_998 Depth=1
	s_or_b32 exec_lo, exec_lo, s16
	v_lshlrev_b32_e32 v0, 8, v144
	v_lshl_add_u32 v14, v135, 10, 0x2000
	s_delay_alu instid0(VALU_DEP_1) | instskip(NEXT) | instid1(VALU_DEP_1)
	v_and_or_b32 v0, 0x8000, v0, v14
	v_lshl_or_b32 v0, v13, 7, v0
	s_delay_alu instid0(VALU_DEP_1)
	v_cvt_f32_f16_e64 v135, v0
.LBB350_1573:                           ;   in Loop: Header=BB350_998 Depth=1
	s_or_b32 exec_lo, exec_lo, s15
.LBB350_1574:                           ;   in Loop: Header=BB350_998 Depth=1
	s_delay_alu instid0(SALU_CYCLE_1)
	s_or_b32 exec_lo, exec_lo, s13
.LBB350_1575:                           ;   in Loop: Header=BB350_998 Depth=1
	s_delay_alu instid0(SALU_CYCLE_1) | instskip(SKIP_3) | instid1(VALU_DEP_2)
	s_or_b32 exec_lo, exec_lo, s12
	v_lshrrev_b32_e32 v145, 16, v12
	v_mov_b32_e32 v144, 0
	s_mov_b32 s12, exec_lo
	v_dual_mov_b32 v13, 0 :: v_dual_and_b32 v0, 0xff, v145
	s_delay_alu instid0(VALU_DEP_1)
	v_cmpx_ne_u16_e32 0, v0
	s_cbranch_execz .LBB350_1583
; %bb.1576:                             ;   in Loop: Header=BB350_998 Depth=1
	v_bfrev_b32_e32 v13, 1
	s_mov_b32 s13, exec_lo
	v_cmpx_ne_u16_e32 0x80, v0
	s_cbranch_execz .LBB350_1582
; %bb.1577:                             ;   in Loop: Header=BB350_998 Depth=1
	v_bfe_u32 v14, v12, 16, 7
	v_mov_b32_e32 v13, 0x7fc02000
	s_mov_b32 s15, exec_lo
	s_delay_alu instid0(VALU_DEP_2)
	v_cmpx_ne_u32_e32 0x7f, v14
	s_cbranch_execz .LBB350_1581
; %bb.1578:                             ;   in Loop: Header=BB350_998 Depth=1
	v_and_b32_e32 v0, 7, v145
	v_lshrrev_b32_e32 v146, 3, v14
	v_cmp_gt_u32_e64 s0, 8, v14
	s_delay_alu instid0(VALU_DEP_3) | instskip(NEXT) | instid1(VALU_DEP_2)
	v_dual_mov_b32 v14, v1 :: v_dual_mov_b32 v13, v0
	s_and_saveexec_b32 s16, s0
; %bb.1579:                             ;   in Loop: Header=BB350_998 Depth=1
	v_clz_i32_u32_e32 v13, v0
	s_delay_alu instid0(VALU_DEP_1) | instskip(NEXT) | instid1(VALU_DEP_1)
	v_min_u32_e32 v146, 32, v13
	v_subrev_nc_u32_e32 v13, 28, v146
	v_sub_nc_u32_e32 v146, 29, v146
	s_delay_alu instid0(VALU_DEP_2) | instskip(NEXT) | instid1(VALU_DEP_1)
	v_lshlrev_b64 v[13:14], v13, v[0:1]
	v_and_b32_e32 v13, 7, v13
; %bb.1580:                             ;   in Loop: Header=BB350_998 Depth=1
	s_or_b32 exec_lo, exec_lo, s16
	v_lshlrev_b32_e32 v0, 8, v145
	v_lshl_add_u32 v14, v146, 10, 0x2000
	s_delay_alu instid0(VALU_DEP_1) | instskip(NEXT) | instid1(VALU_DEP_1)
	v_and_or_b32 v0, 0x8000, v0, v14
	v_lshl_or_b32 v0, v13, 7, v0
	s_delay_alu instid0(VALU_DEP_1)
	v_cvt_f32_f16_e32 v13, v0
.LBB350_1581:                           ;   in Loop: Header=BB350_998 Depth=1
	s_or_b32 exec_lo, exec_lo, s15
.LBB350_1582:                           ;   in Loop: Header=BB350_998 Depth=1
	s_delay_alu instid0(SALU_CYCLE_1)
	s_or_b32 exec_lo, exec_lo, s13
.LBB350_1583:                           ;   in Loop: Header=BB350_998 Depth=1
	s_delay_alu instid0(SALU_CYCLE_1) | instskip(NEXT) | instid1(SALU_CYCLE_1)
	s_or_b32 exec_lo, exec_lo, s12
	s_mov_b32 s12, exec_lo
	v_cmpx_lt_u64_e64 s[8:9], v[11:12]
	s_cbranch_execz .LBB350_1591
; %bb.1584:                             ;   in Loop: Header=BB350_998 Depth=1
	v_lshrrev_b32_e32 v14, 24, v12
	v_bfrev_b32_e32 v144, 1
	s_mov_b32 s13, exec_lo
	s_delay_alu instid0(VALU_DEP_2)
	v_cmpx_ne_u32_e32 0x80, v14
	s_cbranch_execz .LBB350_1590
; %bb.1585:                             ;   in Loop: Header=BB350_998 Depth=1
	v_and_b32_e32 v11, 0x7f, v14
	v_mov_b32_e32 v144, 0x7fc02000
	s_mov_b32 s15, exec_lo
	s_delay_alu instid0(VALU_DEP_2)
	v_cmpx_ne_u32_e32 0x7f, v11
	s_cbranch_execz .LBB350_1589
; %bb.1586:                             ;   in Loop: Header=BB350_998 Depth=1
	v_and_b32_e32 v0, 7, v14
	v_lshrrev_b32_e32 v144, 3, v11
	v_cmp_gt_u32_e64 s0, 8, v11
	s_delay_alu instid0(VALU_DEP_3) | instskip(NEXT) | instid1(VALU_DEP_2)
	v_dual_mov_b32 v12, v1 :: v_dual_mov_b32 v11, v0
	s_and_saveexec_b32 s16, s0
; %bb.1587:                             ;   in Loop: Header=BB350_998 Depth=1
	v_clz_i32_u32_e32 v11, v0
	s_delay_alu instid0(VALU_DEP_1) | instskip(NEXT) | instid1(VALU_DEP_1)
	v_min_u32_e32 v144, 32, v11
	v_subrev_nc_u32_e32 v11, 28, v144
	v_sub_nc_u32_e32 v144, 29, v144
	s_delay_alu instid0(VALU_DEP_2) | instskip(NEXT) | instid1(VALU_DEP_1)
	v_lshlrev_b64 v[11:12], v11, v[0:1]
	v_and_b32_e32 v11, 7, v11
; %bb.1588:                             ;   in Loop: Header=BB350_998 Depth=1
	s_or_b32 exec_lo, exec_lo, s16
	v_lshlrev_b32_e32 v0, 8, v14
	v_lshl_add_u32 v12, v144, 10, 0x2000
	s_delay_alu instid0(VALU_DEP_1) | instskip(NEXT) | instid1(VALU_DEP_1)
	v_and_or_b32 v0, 0x8000, v0, v12
	v_lshl_or_b32 v0, v11, 7, v0
	s_delay_alu instid0(VALU_DEP_1)
	v_cvt_f32_f16_e64 v144, v0
.LBB350_1589:                           ;   in Loop: Header=BB350_998 Depth=1
	s_or_b32 exec_lo, exec_lo, s15
.LBB350_1590:                           ;   in Loop: Header=BB350_998 Depth=1
	s_delay_alu instid0(SALU_CYCLE_1)
	s_or_b32 exec_lo, exec_lo, s13
.LBB350_1591:                           ;   in Loop: Header=BB350_998 Depth=1
	s_delay_alu instid0(SALU_CYCLE_1)
	s_or_b32 exec_lo, exec_lo, s12
	s_waitcnt vmcnt(0) lgkmcnt(0)
	v_fma_mixlo_f16 v12, v129, v131, 0
	v_fma_mixlo_f16 v0, v129, v133, 0
	;; [unrolled: 1-line block ×5, first 2 shown]
	v_lshlrev_b32_e32 v14, 16, v12
	v_fma_mixlo_f16 v132, v129, v134, 0
	v_fma_mixlo_f16 v133, v129, v144, 0
	;; [unrolled: 1-line block ×3, first 2 shown]
	v_lshlrev_b32_e32 v0, 16, v0
	v_and_b32_e32 v11, 0xffff, v11
	v_and_b32_e32 v129, 0xffff, v130
	v_lshlrev_b32_e32 v130, 16, v131
	v_and_b32_e32 v131, 0xffff, v132
	v_lshlrev_b32_e32 v132, 16, v133
	v_and_b32_e32 v133, 0xffff, v12
	v_or_b32_e32 v13, v0, v11
	v_or_b32_e32 v14, v14, v129
	;; [unrolled: 1-line block ×3, first 2 shown]
	s_delay_alu instid0(VALU_DEP_4)
	v_or_b32_e32 v11, v132, v133
	s_and_saveexec_b32 s12, vcc_lo
	s_cbranch_execz .LBB350_1593
; %bb.1592:                             ;   in Loop: Header=BB350_998 Depth=1
	v_cmp_lt_i32_e64 s0, v19, v38
	v_lshrrev_b32_e32 v129, 16, v14
	v_lshrrev_b32_e32 v130, 16, v13
	;; [unrolled: 1-line block ×4, first 2 shown]
	v_cndmask_b32_e64 v14, 0, v14, s0
	v_cmp_lt_i32_e64 s0, v98, v55
	s_delay_alu instid0(VALU_DEP_1) | instskip(SKIP_1) | instid1(VALU_DEP_2)
	v_cndmask_b32_e64 v129, 0, v129, s0
	v_cmp_lt_i32_e64 s0, v97, v55
	v_perm_b32 v14, v129, v14, 0x5040100
	s_delay_alu instid0(VALU_DEP_2) | instskip(SKIP_1) | instid1(VALU_DEP_1)
	v_cndmask_b32_e64 v130, 0, v130, s0
	v_cmp_lt_i32_e64 s0, v86, v38
	v_cndmask_b32_e64 v13, 0, v13, s0
	v_cmp_lt_i32_e64 s0, v81, v55
	s_delay_alu instid0(VALU_DEP_2) | instskip(NEXT) | instid1(VALU_DEP_2)
	v_perm_b32 v13, v130, v13, 0x5040100
	v_cndmask_b32_e64 v131, 0, v131, s0
	v_cmp_lt_i32_e64 s0, v80, v38
	s_delay_alu instid0(VALU_DEP_1) | instskip(SKIP_1) | instid1(VALU_DEP_2)
	v_cndmask_b32_e64 v0, 0, v0, s0
	v_cmp_lt_i32_e64 s0, v71, v55
	v_perm_b32 v0, v131, v0, 0x5040100
	s_delay_alu instid0(VALU_DEP_2) | instskip(SKIP_1) | instid1(VALU_DEP_1)
	v_cndmask_b32_e64 v11, 0, v11, s0
	v_cmp_lt_i32_e64 s0, v64, v38
	v_cndmask_b32_e64 v12, 0, v12, s0
	s_delay_alu instid0(VALU_DEP_1)
	v_perm_b32 v11, v11, v12, 0x5040100
.LBB350_1593:                           ;   in Loop: Header=BB350_998 Depth=1
	s_or_b32 exec_lo, exec_lo, s12
	;;#ASMSTART
	v_pk_mul_f16 v12, v96, v14;

	;;#ASMEND
	;;#ASMSTART
	v_pk_mul_f16 v13, v87, v13;

	;;#ASMEND
	;; [unrolled: 4-line block ×4, first 2 shown]
	;;#ASMSTART
	v_pk_add_f16 v12, v12, v13;

	;;#ASMEND
	;;#ASMSTART
	v_pk_add_f16 v0, v12, v0;

	;;#ASMEND
	;; [unrolled: 4-line block ×3, first 2 shown]
	v_dual_mov_b32 v132, 0 :: v_dual_and_b32 v11, 0xffff, v0
	v_lshrrev_b32_e32 v0, 16, v0
	;;#ASMSTART
	v_cvt_f32_f16 v129, v11;
	;;#ASMEND
	;;#ASMSTART
	v_cvt_f32_f16 v130, v0;
	;;#ASMEND
	flat_load_b64 v[11:12], v[9:10] offset:2304
	flat_load_b32 v131, v[26:27]
	s_mov_b32 s12, exec_lo
	s_waitcnt vmcnt(1) lgkmcnt(1)
	v_dual_mov_b32 v133, 0 :: v_dual_and_b32 v0, 0xff, v11
	s_delay_alu instid0(VALU_DEP_1)
	v_cmpx_ne_u16_e32 0, v0
	s_cbranch_execz .LBB350_1601
; %bb.1594:                             ;   in Loop: Header=BB350_998 Depth=1
	v_bfrev_b32_e32 v132, 1
	s_mov_b32 s13, exec_lo
	v_cmpx_ne_u16_e32 0x80, v0
	s_cbranch_execz .LBB350_1600
; %bb.1595:                             ;   in Loop: Header=BB350_998 Depth=1
	v_and_b32_e32 v13, 0x7f, v11
	v_mov_b32_e32 v132, 0x7fc02000
	s_mov_b32 s15, exec_lo
	s_delay_alu instid0(VALU_DEP_2)
	v_cmpx_ne_u32_e32 0x7f, v13
	s_cbranch_execz .LBB350_1599
; %bb.1596:                             ;   in Loop: Header=BB350_998 Depth=1
	v_lshrrev_b32_e32 v0, 3, v13
	v_cmp_gt_u32_e64 s0, 8, v13
	v_dual_mov_b32 v14, v12 :: v_dual_mov_b32 v13, v11
	s_delay_alu instid0(VALU_DEP_2)
	s_and_saveexec_b32 s16, s0
; %bb.1597:                             ;   in Loop: Header=BB350_998 Depth=1
	v_and_b32_e32 v0, 7, v11
	s_delay_alu instid0(VALU_DEP_1) | instskip(NEXT) | instid1(VALU_DEP_1)
	v_clz_i32_u32_e32 v0, v0
	v_min_u32_e32 v0, 32, v0
	s_delay_alu instid0(VALU_DEP_1) | instskip(SKIP_1) | instid1(VALU_DEP_2)
	v_subrev_nc_u32_e32 v13, 28, v0
	v_sub_nc_u32_e32 v0, 29, v0
	v_lshlrev_b64 v[13:14], v13, v[11:12]
; %bb.1598:                             ;   in Loop: Header=BB350_998 Depth=1
	s_or_b32 exec_lo, exec_lo, s16
	v_lshlrev_b32_e32 v14, 8, v11
	s_delay_alu instid0(VALU_DEP_3) | instskip(NEXT) | instid1(VALU_DEP_3)
	v_lshl_add_u32 v0, v0, 10, 0x2000
	v_lshlrev_b32_e32 v13, 7, v13
	s_delay_alu instid0(VALU_DEP_2) | instskip(NEXT) | instid1(VALU_DEP_1)
	v_and_or_b32 v0, 0x8000, v14, v0
	v_and_or_b32 v0, 0x380, v13, v0
	s_delay_alu instid0(VALU_DEP_1)
	v_cvt_f32_f16_e64 v132, v0
.LBB350_1599:                           ;   in Loop: Header=BB350_998 Depth=1
	s_or_b32 exec_lo, exec_lo, s15
.LBB350_1600:                           ;   in Loop: Header=BB350_998 Depth=1
	s_delay_alu instid0(SALU_CYCLE_1)
	s_or_b32 exec_lo, exec_lo, s13
.LBB350_1601:                           ;   in Loop: Header=BB350_998 Depth=1
	s_delay_alu instid0(SALU_CYCLE_1) | instskip(SKIP_2) | instid1(VALU_DEP_1)
	s_or_b32 exec_lo, exec_lo, s12
	v_lshrrev_b16 v0, 8, v11
	s_mov_b32 s12, exec_lo
	v_cmpx_ne_u16_e32 0, v0
	s_cbranch_execz .LBB350_1609
; %bb.1602:                             ;   in Loop: Header=BB350_998 Depth=1
	v_bfrev_b32_e32 v133, 1
	s_mov_b32 s13, exec_lo
	v_cmpx_ne_u16_e32 0x80, v0
	s_cbranch_execz .LBB350_1608
; %bb.1603:                             ;   in Loop: Header=BB350_998 Depth=1
	v_and_b32_e32 v134, 0xffff, v0
	v_mov_b32_e32 v133, 0x7fc02000
	s_mov_b32 s15, exec_lo
	s_delay_alu instid0(VALU_DEP_2) | instskip(NEXT) | instid1(VALU_DEP_1)
	v_and_b32_e32 v13, 0x7f, v134
	v_cmpx_ne_u32_e32 0x7f, v13
	s_cbranch_execz .LBB350_1607
; %bb.1604:                             ;   in Loop: Header=BB350_998 Depth=1
	v_and_b32_e32 v0, 7, v134
	v_lshrrev_b32_e32 v133, 3, v13
	v_cmp_gt_u32_e64 s0, 8, v13
	s_delay_alu instid0(VALU_DEP_3) | instskip(NEXT) | instid1(VALU_DEP_2)
	v_dual_mov_b32 v14, v1 :: v_dual_mov_b32 v13, v0
	s_and_saveexec_b32 s16, s0
; %bb.1605:                             ;   in Loop: Header=BB350_998 Depth=1
	v_clz_i32_u32_e32 v13, v0
	s_delay_alu instid0(VALU_DEP_1) | instskip(NEXT) | instid1(VALU_DEP_1)
	v_min_u32_e32 v133, 32, v13
	v_subrev_nc_u32_e32 v13, 28, v133
	v_sub_nc_u32_e32 v133, 29, v133
	s_delay_alu instid0(VALU_DEP_2) | instskip(NEXT) | instid1(VALU_DEP_1)
	v_lshlrev_b64 v[13:14], v13, v[0:1]
	v_and_b32_e32 v13, 7, v13
; %bb.1606:                             ;   in Loop: Header=BB350_998 Depth=1
	s_or_b32 exec_lo, exec_lo, s16
	v_lshlrev_b32_e32 v0, 8, v134
	v_lshl_add_u32 v14, v133, 10, 0x2000
	s_delay_alu instid0(VALU_DEP_1) | instskip(NEXT) | instid1(VALU_DEP_1)
	v_and_or_b32 v0, 0x8000, v0, v14
	v_lshl_or_b32 v0, v13, 7, v0
	s_delay_alu instid0(VALU_DEP_1)
	v_cvt_f32_f16_e64 v133, v0
.LBB350_1607:                           ;   in Loop: Header=BB350_998 Depth=1
	s_or_b32 exec_lo, exec_lo, s15
.LBB350_1608:                           ;   in Loop: Header=BB350_998 Depth=1
	s_delay_alu instid0(SALU_CYCLE_1)
	s_or_b32 exec_lo, exec_lo, s13
.LBB350_1609:                           ;   in Loop: Header=BB350_998 Depth=1
	s_delay_alu instid0(SALU_CYCLE_1) | instskip(SKIP_3) | instid1(VALU_DEP_2)
	s_or_b32 exec_lo, exec_lo, s12
	v_lshrrev_b32_e32 v144, 16, v11
	v_mov_b32_e32 v134, 0
	s_mov_b32 s12, exec_lo
	v_dual_mov_b32 v135, 0 :: v_dual_and_b32 v0, 0xff, v144
	s_delay_alu instid0(VALU_DEP_1)
	v_cmpx_ne_u16_e32 0, v0
	s_cbranch_execz .LBB350_1617
; %bb.1610:                             ;   in Loop: Header=BB350_998 Depth=1
	v_bfrev_b32_e32 v134, 1
	s_mov_b32 s13, exec_lo
	v_cmpx_ne_u16_e32 0x80, v0
	s_cbranch_execz .LBB350_1616
; %bb.1611:                             ;   in Loop: Header=BB350_998 Depth=1
	v_bfe_u32 v13, v11, 16, 7
	v_mov_b32_e32 v134, 0x7fc02000
	s_mov_b32 s15, exec_lo
	s_delay_alu instid0(VALU_DEP_2)
	v_cmpx_ne_u32_e32 0x7f, v13
	s_cbranch_execz .LBB350_1615
; %bb.1612:                             ;   in Loop: Header=BB350_998 Depth=1
	v_and_b32_e32 v0, 7, v144
	v_lshrrev_b32_e32 v134, 3, v13
	v_cmp_gt_u32_e64 s0, 8, v13
	s_delay_alu instid0(VALU_DEP_3) | instskip(NEXT) | instid1(VALU_DEP_2)
	v_dual_mov_b32 v14, v1 :: v_dual_mov_b32 v13, v0
	s_and_saveexec_b32 s16, s0
; %bb.1613:                             ;   in Loop: Header=BB350_998 Depth=1
	v_clz_i32_u32_e32 v13, v0
	s_delay_alu instid0(VALU_DEP_1) | instskip(NEXT) | instid1(VALU_DEP_1)
	v_min_u32_e32 v134, 32, v13
	v_subrev_nc_u32_e32 v13, 28, v134
	v_sub_nc_u32_e32 v134, 29, v134
	s_delay_alu instid0(VALU_DEP_2) | instskip(NEXT) | instid1(VALU_DEP_1)
	v_lshlrev_b64 v[13:14], v13, v[0:1]
	v_and_b32_e32 v13, 7, v13
; %bb.1614:                             ;   in Loop: Header=BB350_998 Depth=1
	s_or_b32 exec_lo, exec_lo, s16
	v_lshlrev_b32_e32 v0, 8, v144
	v_lshl_add_u32 v14, v134, 10, 0x2000
	s_delay_alu instid0(VALU_DEP_1) | instskip(NEXT) | instid1(VALU_DEP_1)
	v_and_or_b32 v0, 0x8000, v0, v14
	v_lshl_or_b32 v0, v13, 7, v0
	s_delay_alu instid0(VALU_DEP_1)
	v_cvt_f32_f16_e64 v134, v0
.LBB350_1615:                           ;   in Loop: Header=BB350_998 Depth=1
	s_or_b32 exec_lo, exec_lo, s15
.LBB350_1616:                           ;   in Loop: Header=BB350_998 Depth=1
	s_delay_alu instid0(SALU_CYCLE_1)
	s_or_b32 exec_lo, exec_lo, s13
.LBB350_1617:                           ;   in Loop: Header=BB350_998 Depth=1
	s_delay_alu instid0(SALU_CYCLE_1) | instskip(NEXT) | instid1(SALU_CYCLE_1)
	s_or_b32 exec_lo, exec_lo, s12
	s_mov_b32 s12, exec_lo
	v_cmpx_lt_u32_e32 0xffffff, v11
	s_cbranch_execz .LBB350_1625
; %bb.1618:                             ;   in Loop: Header=BB350_998 Depth=1
	v_lshrrev_b32_e32 v144, 24, v11
	v_bfrev_b32_e32 v135, 1
	s_mov_b32 s13, exec_lo
	s_delay_alu instid0(VALU_DEP_2)
	v_cmpx_ne_u32_e32 0x80, v144
	s_cbranch_execz .LBB350_1624
; %bb.1619:                             ;   in Loop: Header=BB350_998 Depth=1
	v_and_b32_e32 v13, 0x7f, v144
	v_mov_b32_e32 v135, 0x7fc02000
	s_mov_b32 s15, exec_lo
	s_delay_alu instid0(VALU_DEP_2)
	v_cmpx_ne_u32_e32 0x7f, v13
	s_cbranch_execz .LBB350_1623
; %bb.1620:                             ;   in Loop: Header=BB350_998 Depth=1
	v_and_b32_e32 v0, 7, v144
	v_lshrrev_b32_e32 v135, 3, v13
	v_cmp_gt_u32_e64 s0, 8, v13
	s_delay_alu instid0(VALU_DEP_3) | instskip(NEXT) | instid1(VALU_DEP_2)
	v_dual_mov_b32 v14, v1 :: v_dual_mov_b32 v13, v0
	s_and_saveexec_b32 s16, s0
; %bb.1621:                             ;   in Loop: Header=BB350_998 Depth=1
	v_clz_i32_u32_e32 v13, v0
	s_delay_alu instid0(VALU_DEP_1) | instskip(NEXT) | instid1(VALU_DEP_1)
	v_min_u32_e32 v135, 32, v13
	v_subrev_nc_u32_e32 v13, 28, v135
	v_sub_nc_u32_e32 v135, 29, v135
	s_delay_alu instid0(VALU_DEP_2) | instskip(NEXT) | instid1(VALU_DEP_1)
	v_lshlrev_b64 v[13:14], v13, v[0:1]
	v_and_b32_e32 v13, 7, v13
; %bb.1622:                             ;   in Loop: Header=BB350_998 Depth=1
	s_or_b32 exec_lo, exec_lo, s16
	v_lshlrev_b32_e32 v0, 8, v144
	v_lshl_add_u32 v14, v135, 10, 0x2000
	s_delay_alu instid0(VALU_DEP_1) | instskip(NEXT) | instid1(VALU_DEP_1)
	v_and_or_b32 v0, 0x8000, v0, v14
	v_lshl_or_b32 v0, v13, 7, v0
	s_delay_alu instid0(VALU_DEP_1)
	v_cvt_f32_f16_e64 v135, v0
.LBB350_1623:                           ;   in Loop: Header=BB350_998 Depth=1
	s_or_b32 exec_lo, exec_lo, s15
.LBB350_1624:                           ;   in Loop: Header=BB350_998 Depth=1
	s_delay_alu instid0(SALU_CYCLE_1)
	s_or_b32 exec_lo, exec_lo, s13
.LBB350_1625:                           ;   in Loop: Header=BB350_998 Depth=1
	s_delay_alu instid0(SALU_CYCLE_1) | instskip(SKIP_3) | instid1(VALU_DEP_2)
	s_or_b32 exec_lo, exec_lo, s12
	v_dual_mov_b32 v0, v12 :: v_dual_and_b32 v13, 0xff, v12
	v_dual_mov_b32 v145, 0 :: v_dual_mov_b32 v144, 0
	s_mov_b32 s12, exec_lo
	v_cmpx_ne_u16_e32 0, v13
	s_cbranch_execz .LBB350_1633
; %bb.1626:                             ;   in Loop: Header=BB350_998 Depth=1
	v_bfrev_b32_e32 v144, 1
	s_mov_b32 s13, exec_lo
	v_cmpx_ne_u16_e32 0x80, v13
	s_cbranch_execz .LBB350_1632
; %bb.1627:                             ;   in Loop: Header=BB350_998 Depth=1
	v_and_b32_e32 v13, 0x7f, v12
	v_mov_b32_e32 v144, 0x7fc02000
	s_mov_b32 s15, exec_lo
	s_delay_alu instid0(VALU_DEP_2)
	v_cmpx_ne_u32_e32 0x7f, v13
	s_cbranch_execz .LBB350_1631
; %bb.1628:                             ;   in Loop: Header=BB350_998 Depth=1
	v_lshrrev_b32_e32 v144, 3, v13
	v_cmp_gt_u32_e64 s0, 8, v13
	v_dual_mov_b32 v14, v1 :: v_dual_mov_b32 v13, v0
	s_delay_alu instid0(VALU_DEP_2)
	s_and_saveexec_b32 s16, s0
; %bb.1629:                             ;   in Loop: Header=BB350_998 Depth=1
	v_and_b32_e32 v13, 7, v12
	s_delay_alu instid0(VALU_DEP_1) | instskip(NEXT) | instid1(VALU_DEP_1)
	v_clz_i32_u32_e32 v13, v13
	v_min_u32_e32 v144, 32, v13
	s_delay_alu instid0(VALU_DEP_1) | instskip(SKIP_1) | instid1(VALU_DEP_2)
	v_subrev_nc_u32_e32 v13, 28, v144
	v_sub_nc_u32_e32 v144, 29, v144
	v_lshlrev_b64 v[13:14], v13, v[0:1]
; %bb.1630:                             ;   in Loop: Header=BB350_998 Depth=1
	s_or_b32 exec_lo, exec_lo, s16
	v_lshlrev_b32_e32 v14, 8, v12
	s_delay_alu instid0(VALU_DEP_3) | instskip(NEXT) | instid1(VALU_DEP_3)
	v_lshl_add_u32 v144, v144, 10, 0x2000
	v_lshlrev_b32_e32 v13, 7, v13
	s_delay_alu instid0(VALU_DEP_2) | instskip(NEXT) | instid1(VALU_DEP_1)
	v_and_or_b32 v14, 0x8000, v14, v144
	v_and_or_b32 v13, 0x380, v13, v14
	s_delay_alu instid0(VALU_DEP_1)
	v_cvt_f32_f16_e64 v144, v13
.LBB350_1631:                           ;   in Loop: Header=BB350_998 Depth=1
	s_or_b32 exec_lo, exec_lo, s15
.LBB350_1632:                           ;   in Loop: Header=BB350_998 Depth=1
	s_delay_alu instid0(SALU_CYCLE_1)
	s_or_b32 exec_lo, exec_lo, s13
.LBB350_1633:                           ;   in Loop: Header=BB350_998 Depth=1
	s_delay_alu instid0(SALU_CYCLE_1) | instskip(SKIP_2) | instid1(VALU_DEP_1)
	s_or_b32 exec_lo, exec_lo, s12
	v_lshrrev_b16 v0, 8, v0
	s_mov_b32 s12, exec_lo
	v_cmpx_ne_u16_e32 0, v0
	s_cbranch_execz .LBB350_1641
; %bb.1634:                             ;   in Loop: Header=BB350_998 Depth=1
	v_bfrev_b32_e32 v145, 1
	s_mov_b32 s13, exec_lo
	v_cmpx_ne_u16_e32 0x80, v0
	s_cbranch_execz .LBB350_1640
; %bb.1635:                             ;   in Loop: Header=BB350_998 Depth=1
	v_and_b32_e32 v146, 0xffff, v0
	v_mov_b32_e32 v145, 0x7fc02000
	s_mov_b32 s15, exec_lo
	s_delay_alu instid0(VALU_DEP_2) | instskip(NEXT) | instid1(VALU_DEP_1)
	v_and_b32_e32 v13, 0x7f, v146
	v_cmpx_ne_u32_e32 0x7f, v13
	s_cbranch_execz .LBB350_1639
; %bb.1636:                             ;   in Loop: Header=BB350_998 Depth=1
	v_and_b32_e32 v0, 7, v146
	v_lshrrev_b32_e32 v145, 3, v13
	v_cmp_gt_u32_e64 s0, 8, v13
	s_delay_alu instid0(VALU_DEP_3) | instskip(NEXT) | instid1(VALU_DEP_2)
	v_dual_mov_b32 v14, v1 :: v_dual_mov_b32 v13, v0
	s_and_saveexec_b32 s16, s0
; %bb.1637:                             ;   in Loop: Header=BB350_998 Depth=1
	v_clz_i32_u32_e32 v13, v0
	s_delay_alu instid0(VALU_DEP_1) | instskip(NEXT) | instid1(VALU_DEP_1)
	v_min_u32_e32 v145, 32, v13
	v_subrev_nc_u32_e32 v13, 28, v145
	v_sub_nc_u32_e32 v145, 29, v145
	s_delay_alu instid0(VALU_DEP_2) | instskip(NEXT) | instid1(VALU_DEP_1)
	v_lshlrev_b64 v[13:14], v13, v[0:1]
	v_and_b32_e32 v13, 7, v13
; %bb.1638:                             ;   in Loop: Header=BB350_998 Depth=1
	s_or_b32 exec_lo, exec_lo, s16
	v_lshlrev_b32_e32 v0, 8, v146
	v_lshl_add_u32 v14, v145, 10, 0x2000
	s_delay_alu instid0(VALU_DEP_1) | instskip(NEXT) | instid1(VALU_DEP_1)
	v_and_or_b32 v0, 0x8000, v0, v14
	v_lshl_or_b32 v0, v13, 7, v0
	s_delay_alu instid0(VALU_DEP_1)
	v_cvt_f32_f16_e64 v145, v0
.LBB350_1639:                           ;   in Loop: Header=BB350_998 Depth=1
	s_or_b32 exec_lo, exec_lo, s15
.LBB350_1640:                           ;   in Loop: Header=BB350_998 Depth=1
	s_delay_alu instid0(SALU_CYCLE_1)
	s_or_b32 exec_lo, exec_lo, s13
.LBB350_1641:                           ;   in Loop: Header=BB350_998 Depth=1
	s_delay_alu instid0(SALU_CYCLE_1) | instskip(SKIP_3) | instid1(VALU_DEP_2)
	s_or_b32 exec_lo, exec_lo, s12
	v_lshrrev_b32_e32 v147, 16, v12
	v_mov_b32_e32 v146, 0
	s_mov_b32 s12, exec_lo
	v_dual_mov_b32 v13, 0 :: v_dual_and_b32 v0, 0xff, v147
	s_delay_alu instid0(VALU_DEP_1)
	v_cmpx_ne_u16_e32 0, v0
	s_cbranch_execz .LBB350_1649
; %bb.1642:                             ;   in Loop: Header=BB350_998 Depth=1
	v_bfrev_b32_e32 v13, 1
	s_mov_b32 s13, exec_lo
	v_cmpx_ne_u16_e32 0x80, v0
	s_cbranch_execz .LBB350_1648
; %bb.1643:                             ;   in Loop: Header=BB350_998 Depth=1
	v_bfe_u32 v14, v12, 16, 7
	v_mov_b32_e32 v13, 0x7fc02000
	s_mov_b32 s15, exec_lo
	s_delay_alu instid0(VALU_DEP_2)
	v_cmpx_ne_u32_e32 0x7f, v14
	s_cbranch_execz .LBB350_1647
; %bb.1644:                             ;   in Loop: Header=BB350_998 Depth=1
	v_and_b32_e32 v0, 7, v147
	v_lshrrev_b32_e32 v148, 3, v14
	v_cmp_gt_u32_e64 s0, 8, v14
	s_delay_alu instid0(VALU_DEP_3) | instskip(NEXT) | instid1(VALU_DEP_2)
	v_dual_mov_b32 v14, v1 :: v_dual_mov_b32 v13, v0
	s_and_saveexec_b32 s16, s0
; %bb.1645:                             ;   in Loop: Header=BB350_998 Depth=1
	v_clz_i32_u32_e32 v13, v0
	s_delay_alu instid0(VALU_DEP_1) | instskip(NEXT) | instid1(VALU_DEP_1)
	v_min_u32_e32 v148, 32, v13
	v_subrev_nc_u32_e32 v13, 28, v148
	v_sub_nc_u32_e32 v148, 29, v148
	s_delay_alu instid0(VALU_DEP_2) | instskip(NEXT) | instid1(VALU_DEP_1)
	v_lshlrev_b64 v[13:14], v13, v[0:1]
	v_and_b32_e32 v13, 7, v13
; %bb.1646:                             ;   in Loop: Header=BB350_998 Depth=1
	s_or_b32 exec_lo, exec_lo, s16
	v_lshlrev_b32_e32 v0, 8, v147
	v_lshl_add_u32 v14, v148, 10, 0x2000
	s_delay_alu instid0(VALU_DEP_1) | instskip(NEXT) | instid1(VALU_DEP_1)
	v_and_or_b32 v0, 0x8000, v0, v14
	v_lshl_or_b32 v0, v13, 7, v0
	s_delay_alu instid0(VALU_DEP_1)
	v_cvt_f32_f16_e32 v13, v0
.LBB350_1647:                           ;   in Loop: Header=BB350_998 Depth=1
	s_or_b32 exec_lo, exec_lo, s15
.LBB350_1648:                           ;   in Loop: Header=BB350_998 Depth=1
	s_delay_alu instid0(SALU_CYCLE_1)
	s_or_b32 exec_lo, exec_lo, s13
.LBB350_1649:                           ;   in Loop: Header=BB350_998 Depth=1
	s_delay_alu instid0(SALU_CYCLE_1) | instskip(NEXT) | instid1(SALU_CYCLE_1)
	s_or_b32 exec_lo, exec_lo, s12
	s_mov_b32 s12, exec_lo
	v_cmpx_lt_u64_e64 s[8:9], v[11:12]
	s_cbranch_execz .LBB350_1657
; %bb.1650:                             ;   in Loop: Header=BB350_998 Depth=1
	v_lshrrev_b32_e32 v14, 24, v12
	v_bfrev_b32_e32 v146, 1
	s_mov_b32 s13, exec_lo
	s_delay_alu instid0(VALU_DEP_2)
	v_cmpx_ne_u32_e32 0x80, v14
	s_cbranch_execz .LBB350_1656
; %bb.1651:                             ;   in Loop: Header=BB350_998 Depth=1
	v_and_b32_e32 v11, 0x7f, v14
	v_mov_b32_e32 v146, 0x7fc02000
	s_mov_b32 s15, exec_lo
	s_delay_alu instid0(VALU_DEP_2)
	v_cmpx_ne_u32_e32 0x7f, v11
	s_cbranch_execz .LBB350_1655
; %bb.1652:                             ;   in Loop: Header=BB350_998 Depth=1
	v_and_b32_e32 v0, 7, v14
	v_lshrrev_b32_e32 v146, 3, v11
	v_cmp_gt_u32_e64 s0, 8, v11
	s_delay_alu instid0(VALU_DEP_3) | instskip(NEXT) | instid1(VALU_DEP_2)
	v_dual_mov_b32 v12, v1 :: v_dual_mov_b32 v11, v0
	s_and_saveexec_b32 s16, s0
; %bb.1653:                             ;   in Loop: Header=BB350_998 Depth=1
	v_clz_i32_u32_e32 v11, v0
	s_delay_alu instid0(VALU_DEP_1) | instskip(NEXT) | instid1(VALU_DEP_1)
	v_min_u32_e32 v146, 32, v11
	v_subrev_nc_u32_e32 v11, 28, v146
	v_sub_nc_u32_e32 v146, 29, v146
	s_delay_alu instid0(VALU_DEP_2) | instskip(NEXT) | instid1(VALU_DEP_1)
	v_lshlrev_b64 v[11:12], v11, v[0:1]
	v_and_b32_e32 v11, 7, v11
; %bb.1654:                             ;   in Loop: Header=BB350_998 Depth=1
	s_or_b32 exec_lo, exec_lo, s16
	v_lshlrev_b32_e32 v0, 8, v14
	v_lshl_add_u32 v12, v146, 10, 0x2000
	s_delay_alu instid0(VALU_DEP_1) | instskip(NEXT) | instid1(VALU_DEP_1)
	v_and_or_b32 v0, 0x8000, v0, v12
	v_lshl_or_b32 v0, v11, 7, v0
	s_delay_alu instid0(VALU_DEP_1)
	v_cvt_f32_f16_e64 v146, v0
.LBB350_1655:                           ;   in Loop: Header=BB350_998 Depth=1
	s_or_b32 exec_lo, exec_lo, s15
.LBB350_1656:                           ;   in Loop: Header=BB350_998 Depth=1
	s_delay_alu instid0(SALU_CYCLE_1)
	s_or_b32 exec_lo, exec_lo, s13
.LBB350_1657:                           ;   in Loop: Header=BB350_998 Depth=1
	s_delay_alu instid0(SALU_CYCLE_1)
	s_or_b32 exec_lo, exec_lo, s12
	s_waitcnt vmcnt(0) lgkmcnt(0)
	v_fma_mixlo_f16 v12, v131, v133, 0
	v_fma_mixlo_f16 v0, v131, v135, 0
	;; [unrolled: 1-line block ×5, first 2 shown]
	v_lshlrev_b32_e32 v14, 16, v12
	v_fma_mixlo_f16 v134, v131, v144, 0
	v_fma_mixlo_f16 v135, v131, v146, 0
	;; [unrolled: 1-line block ×3, first 2 shown]
	v_lshlrev_b32_e32 v0, 16, v0
	v_and_b32_e32 v11, 0xffff, v11
	v_and_b32_e32 v131, 0xffff, v132
	v_lshlrev_b32_e32 v132, 16, v133
	v_and_b32_e32 v133, 0xffff, v134
	v_lshlrev_b32_e32 v134, 16, v135
	v_and_b32_e32 v135, 0xffff, v12
	v_or_b32_e32 v13, v0, v11
	v_or_b32_e32 v14, v14, v131
	;; [unrolled: 1-line block ×3, first 2 shown]
	s_delay_alu instid0(VALU_DEP_4)
	v_or_b32_e32 v11, v134, v135
	s_and_saveexec_b32 s12, vcc_lo
	s_cbranch_execz .LBB350_1659
; %bb.1658:                             ;   in Loop: Header=BB350_998 Depth=1
	v_cmp_lt_i32_e64 s0, v19, v38
	v_lshrrev_b32_e32 v131, 16, v14
	v_lshrrev_b32_e32 v132, 16, v13
	;; [unrolled: 1-line block ×4, first 2 shown]
	v_cndmask_b32_e64 v14, 0, v14, s0
	v_cmp_lt_i32_e64 s0, v98, v55
	s_delay_alu instid0(VALU_DEP_1) | instskip(SKIP_1) | instid1(VALU_DEP_2)
	v_cndmask_b32_e64 v131, 0, v131, s0
	v_cmp_lt_i32_e64 s0, v97, v55
	v_perm_b32 v14, v131, v14, 0x5040100
	s_delay_alu instid0(VALU_DEP_2) | instskip(SKIP_1) | instid1(VALU_DEP_1)
	v_cndmask_b32_e64 v132, 0, v132, s0
	v_cmp_lt_i32_e64 s0, v86, v38
	v_cndmask_b32_e64 v13, 0, v13, s0
	v_cmp_lt_i32_e64 s0, v81, v55
	s_delay_alu instid0(VALU_DEP_2) | instskip(NEXT) | instid1(VALU_DEP_2)
	v_perm_b32 v13, v132, v13, 0x5040100
	v_cndmask_b32_e64 v133, 0, v133, s0
	v_cmp_lt_i32_e64 s0, v80, v38
	s_delay_alu instid0(VALU_DEP_1) | instskip(SKIP_1) | instid1(VALU_DEP_2)
	v_cndmask_b32_e64 v0, 0, v0, s0
	v_cmp_lt_i32_e64 s0, v71, v55
	v_perm_b32 v0, v133, v0, 0x5040100
	s_delay_alu instid0(VALU_DEP_2) | instskip(SKIP_1) | instid1(VALU_DEP_1)
	v_cndmask_b32_e64 v11, 0, v11, s0
	v_cmp_lt_i32_e64 s0, v64, v38
	v_cndmask_b32_e64 v12, 0, v12, s0
	s_delay_alu instid0(VALU_DEP_1)
	v_perm_b32 v11, v11, v12, 0x5040100
.LBB350_1659:                           ;   in Loop: Header=BB350_998 Depth=1
	s_or_b32 exec_lo, exec_lo, s12
	;;#ASMSTART
	v_pk_mul_f16 v12, v96, v14;

	;;#ASMEND
	;;#ASMSTART
	v_pk_mul_f16 v13, v87, v13;

	;;#ASMEND
	;; [unrolled: 4-line block ×4, first 2 shown]
	;;#ASMSTART
	v_pk_add_f16 v12, v12, v13;

	;;#ASMEND
	;;#ASMSTART
	v_pk_add_f16 v0, v12, v0;

	;;#ASMEND
	;; [unrolled: 4-line block ×3, first 2 shown]
	v_dual_mov_b32 v134, 0 :: v_dual_and_b32 v11, 0xffff, v0
	v_lshrrev_b32_e32 v0, 16, v0
	;;#ASMSTART
	v_cvt_f32_f16 v131, v11;
	;;#ASMEND
	;;#ASMSTART
	v_cvt_f32_f16 v132, v0;
	;;#ASMEND
	flat_load_b64 v[11:12], v[9:10] offset:2560
	flat_load_b32 v133, v[26:27]
	s_mov_b32 s12, exec_lo
	s_waitcnt vmcnt(1) lgkmcnt(1)
	v_dual_mov_b32 v135, 0 :: v_dual_and_b32 v0, 0xff, v11
	s_delay_alu instid0(VALU_DEP_1)
	v_cmpx_ne_u16_e32 0, v0
	s_cbranch_execz .LBB350_1667
; %bb.1660:                             ;   in Loop: Header=BB350_998 Depth=1
	v_bfrev_b32_e32 v134, 1
	s_mov_b32 s13, exec_lo
	v_cmpx_ne_u16_e32 0x80, v0
	s_cbranch_execz .LBB350_1666
; %bb.1661:                             ;   in Loop: Header=BB350_998 Depth=1
	v_and_b32_e32 v13, 0x7f, v11
	v_mov_b32_e32 v134, 0x7fc02000
	s_mov_b32 s15, exec_lo
	s_delay_alu instid0(VALU_DEP_2)
	v_cmpx_ne_u32_e32 0x7f, v13
	s_cbranch_execz .LBB350_1665
; %bb.1662:                             ;   in Loop: Header=BB350_998 Depth=1
	v_lshrrev_b32_e32 v0, 3, v13
	v_cmp_gt_u32_e64 s0, 8, v13
	v_dual_mov_b32 v14, v12 :: v_dual_mov_b32 v13, v11
	s_delay_alu instid0(VALU_DEP_2)
	s_and_saveexec_b32 s16, s0
; %bb.1663:                             ;   in Loop: Header=BB350_998 Depth=1
	v_and_b32_e32 v0, 7, v11
	s_delay_alu instid0(VALU_DEP_1) | instskip(NEXT) | instid1(VALU_DEP_1)
	v_clz_i32_u32_e32 v0, v0
	v_min_u32_e32 v0, 32, v0
	s_delay_alu instid0(VALU_DEP_1) | instskip(SKIP_1) | instid1(VALU_DEP_2)
	v_subrev_nc_u32_e32 v13, 28, v0
	v_sub_nc_u32_e32 v0, 29, v0
	v_lshlrev_b64 v[13:14], v13, v[11:12]
; %bb.1664:                             ;   in Loop: Header=BB350_998 Depth=1
	s_or_b32 exec_lo, exec_lo, s16
	v_lshlrev_b32_e32 v14, 8, v11
	s_delay_alu instid0(VALU_DEP_3) | instskip(NEXT) | instid1(VALU_DEP_3)
	v_lshl_add_u32 v0, v0, 10, 0x2000
	v_lshlrev_b32_e32 v13, 7, v13
	s_delay_alu instid0(VALU_DEP_2) | instskip(NEXT) | instid1(VALU_DEP_1)
	v_and_or_b32 v0, 0x8000, v14, v0
	v_and_or_b32 v0, 0x380, v13, v0
	s_delay_alu instid0(VALU_DEP_1)
	v_cvt_f32_f16_e64 v134, v0
.LBB350_1665:                           ;   in Loop: Header=BB350_998 Depth=1
	s_or_b32 exec_lo, exec_lo, s15
.LBB350_1666:                           ;   in Loop: Header=BB350_998 Depth=1
	s_delay_alu instid0(SALU_CYCLE_1)
	s_or_b32 exec_lo, exec_lo, s13
.LBB350_1667:                           ;   in Loop: Header=BB350_998 Depth=1
	s_delay_alu instid0(SALU_CYCLE_1) | instskip(SKIP_2) | instid1(VALU_DEP_1)
	s_or_b32 exec_lo, exec_lo, s12
	v_lshrrev_b16 v0, 8, v11
	s_mov_b32 s12, exec_lo
	v_cmpx_ne_u16_e32 0, v0
	s_cbranch_execz .LBB350_1675
; %bb.1668:                             ;   in Loop: Header=BB350_998 Depth=1
	v_bfrev_b32_e32 v135, 1
	s_mov_b32 s13, exec_lo
	v_cmpx_ne_u16_e32 0x80, v0
	s_cbranch_execz .LBB350_1674
; %bb.1669:                             ;   in Loop: Header=BB350_998 Depth=1
	v_and_b32_e32 v144, 0xffff, v0
	v_mov_b32_e32 v135, 0x7fc02000
	s_mov_b32 s15, exec_lo
	s_delay_alu instid0(VALU_DEP_2) | instskip(NEXT) | instid1(VALU_DEP_1)
	v_and_b32_e32 v13, 0x7f, v144
	v_cmpx_ne_u32_e32 0x7f, v13
	s_cbranch_execz .LBB350_1673
; %bb.1670:                             ;   in Loop: Header=BB350_998 Depth=1
	v_and_b32_e32 v0, 7, v144
	v_lshrrev_b32_e32 v135, 3, v13
	v_cmp_gt_u32_e64 s0, 8, v13
	s_delay_alu instid0(VALU_DEP_3) | instskip(NEXT) | instid1(VALU_DEP_2)
	v_dual_mov_b32 v14, v1 :: v_dual_mov_b32 v13, v0
	s_and_saveexec_b32 s16, s0
; %bb.1671:                             ;   in Loop: Header=BB350_998 Depth=1
	v_clz_i32_u32_e32 v13, v0
	s_delay_alu instid0(VALU_DEP_1) | instskip(NEXT) | instid1(VALU_DEP_1)
	v_min_u32_e32 v135, 32, v13
	v_subrev_nc_u32_e32 v13, 28, v135
	v_sub_nc_u32_e32 v135, 29, v135
	s_delay_alu instid0(VALU_DEP_2) | instskip(NEXT) | instid1(VALU_DEP_1)
	v_lshlrev_b64 v[13:14], v13, v[0:1]
	v_and_b32_e32 v13, 7, v13
; %bb.1672:                             ;   in Loop: Header=BB350_998 Depth=1
	s_or_b32 exec_lo, exec_lo, s16
	v_lshlrev_b32_e32 v0, 8, v144
	v_lshl_add_u32 v14, v135, 10, 0x2000
	s_delay_alu instid0(VALU_DEP_1) | instskip(NEXT) | instid1(VALU_DEP_1)
	v_and_or_b32 v0, 0x8000, v0, v14
	v_lshl_or_b32 v0, v13, 7, v0
	s_delay_alu instid0(VALU_DEP_1)
	v_cvt_f32_f16_e64 v135, v0
.LBB350_1673:                           ;   in Loop: Header=BB350_998 Depth=1
	s_or_b32 exec_lo, exec_lo, s15
.LBB350_1674:                           ;   in Loop: Header=BB350_998 Depth=1
	s_delay_alu instid0(SALU_CYCLE_1)
	s_or_b32 exec_lo, exec_lo, s13
.LBB350_1675:                           ;   in Loop: Header=BB350_998 Depth=1
	s_delay_alu instid0(SALU_CYCLE_1) | instskip(SKIP_3) | instid1(VALU_DEP_2)
	s_or_b32 exec_lo, exec_lo, s12
	v_lshrrev_b32_e32 v146, 16, v11
	v_mov_b32_e32 v144, 0
	s_mov_b32 s12, exec_lo
	v_dual_mov_b32 v145, 0 :: v_dual_and_b32 v0, 0xff, v146
	s_delay_alu instid0(VALU_DEP_1)
	v_cmpx_ne_u16_e32 0, v0
	s_cbranch_execz .LBB350_1683
; %bb.1676:                             ;   in Loop: Header=BB350_998 Depth=1
	v_bfrev_b32_e32 v144, 1
	s_mov_b32 s13, exec_lo
	v_cmpx_ne_u16_e32 0x80, v0
	s_cbranch_execz .LBB350_1682
; %bb.1677:                             ;   in Loop: Header=BB350_998 Depth=1
	v_bfe_u32 v13, v11, 16, 7
	v_mov_b32_e32 v144, 0x7fc02000
	s_mov_b32 s15, exec_lo
	s_delay_alu instid0(VALU_DEP_2)
	v_cmpx_ne_u32_e32 0x7f, v13
	s_cbranch_execz .LBB350_1681
; %bb.1678:                             ;   in Loop: Header=BB350_998 Depth=1
	v_and_b32_e32 v0, 7, v146
	v_lshrrev_b32_e32 v144, 3, v13
	v_cmp_gt_u32_e64 s0, 8, v13
	s_delay_alu instid0(VALU_DEP_3) | instskip(NEXT) | instid1(VALU_DEP_2)
	v_dual_mov_b32 v14, v1 :: v_dual_mov_b32 v13, v0
	s_and_saveexec_b32 s16, s0
; %bb.1679:                             ;   in Loop: Header=BB350_998 Depth=1
	v_clz_i32_u32_e32 v13, v0
	s_delay_alu instid0(VALU_DEP_1) | instskip(NEXT) | instid1(VALU_DEP_1)
	v_min_u32_e32 v144, 32, v13
	v_subrev_nc_u32_e32 v13, 28, v144
	v_sub_nc_u32_e32 v144, 29, v144
	s_delay_alu instid0(VALU_DEP_2) | instskip(NEXT) | instid1(VALU_DEP_1)
	v_lshlrev_b64 v[13:14], v13, v[0:1]
	v_and_b32_e32 v13, 7, v13
; %bb.1680:                             ;   in Loop: Header=BB350_998 Depth=1
	s_or_b32 exec_lo, exec_lo, s16
	v_lshlrev_b32_e32 v0, 8, v146
	v_lshl_add_u32 v14, v144, 10, 0x2000
	s_delay_alu instid0(VALU_DEP_1) | instskip(NEXT) | instid1(VALU_DEP_1)
	v_and_or_b32 v0, 0x8000, v0, v14
	v_lshl_or_b32 v0, v13, 7, v0
	s_delay_alu instid0(VALU_DEP_1)
	v_cvt_f32_f16_e64 v144, v0
.LBB350_1681:                           ;   in Loop: Header=BB350_998 Depth=1
	s_or_b32 exec_lo, exec_lo, s15
.LBB350_1682:                           ;   in Loop: Header=BB350_998 Depth=1
	s_delay_alu instid0(SALU_CYCLE_1)
	s_or_b32 exec_lo, exec_lo, s13
.LBB350_1683:                           ;   in Loop: Header=BB350_998 Depth=1
	s_delay_alu instid0(SALU_CYCLE_1) | instskip(NEXT) | instid1(SALU_CYCLE_1)
	s_or_b32 exec_lo, exec_lo, s12
	s_mov_b32 s12, exec_lo
	v_cmpx_lt_u32_e32 0xffffff, v11
	s_cbranch_execz .LBB350_1691
; %bb.1684:                             ;   in Loop: Header=BB350_998 Depth=1
	v_lshrrev_b32_e32 v146, 24, v11
	v_bfrev_b32_e32 v145, 1
	s_mov_b32 s13, exec_lo
	s_delay_alu instid0(VALU_DEP_2)
	v_cmpx_ne_u32_e32 0x80, v146
	s_cbranch_execz .LBB350_1690
; %bb.1685:                             ;   in Loop: Header=BB350_998 Depth=1
	v_and_b32_e32 v13, 0x7f, v146
	v_mov_b32_e32 v145, 0x7fc02000
	s_mov_b32 s15, exec_lo
	s_delay_alu instid0(VALU_DEP_2)
	v_cmpx_ne_u32_e32 0x7f, v13
	s_cbranch_execz .LBB350_1689
; %bb.1686:                             ;   in Loop: Header=BB350_998 Depth=1
	v_and_b32_e32 v0, 7, v146
	v_lshrrev_b32_e32 v145, 3, v13
	v_cmp_gt_u32_e64 s0, 8, v13
	s_delay_alu instid0(VALU_DEP_3) | instskip(NEXT) | instid1(VALU_DEP_2)
	v_dual_mov_b32 v14, v1 :: v_dual_mov_b32 v13, v0
	s_and_saveexec_b32 s16, s0
; %bb.1687:                             ;   in Loop: Header=BB350_998 Depth=1
	v_clz_i32_u32_e32 v13, v0
	s_delay_alu instid0(VALU_DEP_1) | instskip(NEXT) | instid1(VALU_DEP_1)
	v_min_u32_e32 v145, 32, v13
	v_subrev_nc_u32_e32 v13, 28, v145
	v_sub_nc_u32_e32 v145, 29, v145
	s_delay_alu instid0(VALU_DEP_2) | instskip(NEXT) | instid1(VALU_DEP_1)
	v_lshlrev_b64 v[13:14], v13, v[0:1]
	v_and_b32_e32 v13, 7, v13
; %bb.1688:                             ;   in Loop: Header=BB350_998 Depth=1
	s_or_b32 exec_lo, exec_lo, s16
	v_lshlrev_b32_e32 v0, 8, v146
	v_lshl_add_u32 v14, v145, 10, 0x2000
	s_delay_alu instid0(VALU_DEP_1) | instskip(NEXT) | instid1(VALU_DEP_1)
	v_and_or_b32 v0, 0x8000, v0, v14
	v_lshl_or_b32 v0, v13, 7, v0
	s_delay_alu instid0(VALU_DEP_1)
	v_cvt_f32_f16_e64 v145, v0
.LBB350_1689:                           ;   in Loop: Header=BB350_998 Depth=1
	s_or_b32 exec_lo, exec_lo, s15
.LBB350_1690:                           ;   in Loop: Header=BB350_998 Depth=1
	s_delay_alu instid0(SALU_CYCLE_1)
	s_or_b32 exec_lo, exec_lo, s13
.LBB350_1691:                           ;   in Loop: Header=BB350_998 Depth=1
	s_delay_alu instid0(SALU_CYCLE_1) | instskip(SKIP_3) | instid1(VALU_DEP_2)
	s_or_b32 exec_lo, exec_lo, s12
	v_dual_mov_b32 v0, v12 :: v_dual_and_b32 v13, 0xff, v12
	v_dual_mov_b32 v147, 0 :: v_dual_mov_b32 v146, 0
	s_mov_b32 s12, exec_lo
	v_cmpx_ne_u16_e32 0, v13
	s_cbranch_execz .LBB350_1699
; %bb.1692:                             ;   in Loop: Header=BB350_998 Depth=1
	v_bfrev_b32_e32 v146, 1
	s_mov_b32 s13, exec_lo
	v_cmpx_ne_u16_e32 0x80, v13
	s_cbranch_execz .LBB350_1698
; %bb.1693:                             ;   in Loop: Header=BB350_998 Depth=1
	v_and_b32_e32 v13, 0x7f, v12
	v_mov_b32_e32 v146, 0x7fc02000
	s_mov_b32 s15, exec_lo
	s_delay_alu instid0(VALU_DEP_2)
	v_cmpx_ne_u32_e32 0x7f, v13
	s_cbranch_execz .LBB350_1697
; %bb.1694:                             ;   in Loop: Header=BB350_998 Depth=1
	v_lshrrev_b32_e32 v146, 3, v13
	v_cmp_gt_u32_e64 s0, 8, v13
	v_dual_mov_b32 v14, v1 :: v_dual_mov_b32 v13, v0
	s_delay_alu instid0(VALU_DEP_2)
	s_and_saveexec_b32 s16, s0
; %bb.1695:                             ;   in Loop: Header=BB350_998 Depth=1
	v_and_b32_e32 v13, 7, v12
	s_delay_alu instid0(VALU_DEP_1) | instskip(NEXT) | instid1(VALU_DEP_1)
	v_clz_i32_u32_e32 v13, v13
	v_min_u32_e32 v146, 32, v13
	s_delay_alu instid0(VALU_DEP_1) | instskip(SKIP_1) | instid1(VALU_DEP_2)
	v_subrev_nc_u32_e32 v13, 28, v146
	v_sub_nc_u32_e32 v146, 29, v146
	v_lshlrev_b64 v[13:14], v13, v[0:1]
; %bb.1696:                             ;   in Loop: Header=BB350_998 Depth=1
	s_or_b32 exec_lo, exec_lo, s16
	v_lshlrev_b32_e32 v14, 8, v12
	s_delay_alu instid0(VALU_DEP_3) | instskip(NEXT) | instid1(VALU_DEP_3)
	v_lshl_add_u32 v146, v146, 10, 0x2000
	v_lshlrev_b32_e32 v13, 7, v13
	s_delay_alu instid0(VALU_DEP_2) | instskip(NEXT) | instid1(VALU_DEP_1)
	v_and_or_b32 v14, 0x8000, v14, v146
	v_and_or_b32 v13, 0x380, v13, v14
	s_delay_alu instid0(VALU_DEP_1)
	v_cvt_f32_f16_e64 v146, v13
.LBB350_1697:                           ;   in Loop: Header=BB350_998 Depth=1
	s_or_b32 exec_lo, exec_lo, s15
.LBB350_1698:                           ;   in Loop: Header=BB350_998 Depth=1
	s_delay_alu instid0(SALU_CYCLE_1)
	s_or_b32 exec_lo, exec_lo, s13
.LBB350_1699:                           ;   in Loop: Header=BB350_998 Depth=1
	s_delay_alu instid0(SALU_CYCLE_1) | instskip(SKIP_2) | instid1(VALU_DEP_1)
	s_or_b32 exec_lo, exec_lo, s12
	v_lshrrev_b16 v0, 8, v0
	s_mov_b32 s12, exec_lo
	v_cmpx_ne_u16_e32 0, v0
	s_cbranch_execz .LBB350_1707
; %bb.1700:                             ;   in Loop: Header=BB350_998 Depth=1
	v_bfrev_b32_e32 v147, 1
	s_mov_b32 s13, exec_lo
	v_cmpx_ne_u16_e32 0x80, v0
	s_cbranch_execz .LBB350_1706
; %bb.1701:                             ;   in Loop: Header=BB350_998 Depth=1
	v_and_b32_e32 v148, 0xffff, v0
	v_mov_b32_e32 v147, 0x7fc02000
	s_mov_b32 s15, exec_lo
	s_delay_alu instid0(VALU_DEP_2) | instskip(NEXT) | instid1(VALU_DEP_1)
	v_and_b32_e32 v13, 0x7f, v148
	v_cmpx_ne_u32_e32 0x7f, v13
	s_cbranch_execz .LBB350_1705
; %bb.1702:                             ;   in Loop: Header=BB350_998 Depth=1
	v_and_b32_e32 v0, 7, v148
	v_lshrrev_b32_e32 v147, 3, v13
	v_cmp_gt_u32_e64 s0, 8, v13
	s_delay_alu instid0(VALU_DEP_3) | instskip(NEXT) | instid1(VALU_DEP_2)
	v_dual_mov_b32 v14, v1 :: v_dual_mov_b32 v13, v0
	s_and_saveexec_b32 s16, s0
; %bb.1703:                             ;   in Loop: Header=BB350_998 Depth=1
	v_clz_i32_u32_e32 v13, v0
	s_delay_alu instid0(VALU_DEP_1) | instskip(NEXT) | instid1(VALU_DEP_1)
	v_min_u32_e32 v147, 32, v13
	v_subrev_nc_u32_e32 v13, 28, v147
	v_sub_nc_u32_e32 v147, 29, v147
	s_delay_alu instid0(VALU_DEP_2) | instskip(NEXT) | instid1(VALU_DEP_1)
	v_lshlrev_b64 v[13:14], v13, v[0:1]
	v_and_b32_e32 v13, 7, v13
; %bb.1704:                             ;   in Loop: Header=BB350_998 Depth=1
	s_or_b32 exec_lo, exec_lo, s16
	v_lshlrev_b32_e32 v0, 8, v148
	v_lshl_add_u32 v14, v147, 10, 0x2000
	s_delay_alu instid0(VALU_DEP_1) | instskip(NEXT) | instid1(VALU_DEP_1)
	v_and_or_b32 v0, 0x8000, v0, v14
	v_lshl_or_b32 v0, v13, 7, v0
	s_delay_alu instid0(VALU_DEP_1)
	v_cvt_f32_f16_e64 v147, v0
.LBB350_1705:                           ;   in Loop: Header=BB350_998 Depth=1
	s_or_b32 exec_lo, exec_lo, s15
.LBB350_1706:                           ;   in Loop: Header=BB350_998 Depth=1
	s_delay_alu instid0(SALU_CYCLE_1)
	s_or_b32 exec_lo, exec_lo, s13
.LBB350_1707:                           ;   in Loop: Header=BB350_998 Depth=1
	s_delay_alu instid0(SALU_CYCLE_1) | instskip(SKIP_3) | instid1(VALU_DEP_2)
	s_or_b32 exec_lo, exec_lo, s12
	v_lshrrev_b32_e32 v149, 16, v12
	v_mov_b32_e32 v148, 0
	s_mov_b32 s12, exec_lo
	v_dual_mov_b32 v13, 0 :: v_dual_and_b32 v0, 0xff, v149
	s_delay_alu instid0(VALU_DEP_1)
	v_cmpx_ne_u16_e32 0, v0
	s_cbranch_execz .LBB350_1715
; %bb.1708:                             ;   in Loop: Header=BB350_998 Depth=1
	v_bfrev_b32_e32 v13, 1
	s_mov_b32 s13, exec_lo
	v_cmpx_ne_u16_e32 0x80, v0
	s_cbranch_execz .LBB350_1714
; %bb.1709:                             ;   in Loop: Header=BB350_998 Depth=1
	v_bfe_u32 v14, v12, 16, 7
	v_mov_b32_e32 v13, 0x7fc02000
	s_mov_b32 s15, exec_lo
	s_delay_alu instid0(VALU_DEP_2)
	v_cmpx_ne_u32_e32 0x7f, v14
	s_cbranch_execz .LBB350_1713
; %bb.1710:                             ;   in Loop: Header=BB350_998 Depth=1
	v_and_b32_e32 v0, 7, v149
	v_lshrrev_b32_e32 v150, 3, v14
	v_cmp_gt_u32_e64 s0, 8, v14
	s_delay_alu instid0(VALU_DEP_3) | instskip(NEXT) | instid1(VALU_DEP_2)
	v_dual_mov_b32 v14, v1 :: v_dual_mov_b32 v13, v0
	s_and_saveexec_b32 s16, s0
; %bb.1711:                             ;   in Loop: Header=BB350_998 Depth=1
	v_clz_i32_u32_e32 v13, v0
	s_delay_alu instid0(VALU_DEP_1) | instskip(NEXT) | instid1(VALU_DEP_1)
	v_min_u32_e32 v150, 32, v13
	v_subrev_nc_u32_e32 v13, 28, v150
	v_sub_nc_u32_e32 v150, 29, v150
	s_delay_alu instid0(VALU_DEP_2) | instskip(NEXT) | instid1(VALU_DEP_1)
	v_lshlrev_b64 v[13:14], v13, v[0:1]
	v_and_b32_e32 v13, 7, v13
; %bb.1712:                             ;   in Loop: Header=BB350_998 Depth=1
	s_or_b32 exec_lo, exec_lo, s16
	v_lshlrev_b32_e32 v0, 8, v149
	v_lshl_add_u32 v14, v150, 10, 0x2000
	s_delay_alu instid0(VALU_DEP_1) | instskip(NEXT) | instid1(VALU_DEP_1)
	v_and_or_b32 v0, 0x8000, v0, v14
	v_lshl_or_b32 v0, v13, 7, v0
	s_delay_alu instid0(VALU_DEP_1)
	v_cvt_f32_f16_e32 v13, v0
.LBB350_1713:                           ;   in Loop: Header=BB350_998 Depth=1
	s_or_b32 exec_lo, exec_lo, s15
.LBB350_1714:                           ;   in Loop: Header=BB350_998 Depth=1
	s_delay_alu instid0(SALU_CYCLE_1)
	s_or_b32 exec_lo, exec_lo, s13
.LBB350_1715:                           ;   in Loop: Header=BB350_998 Depth=1
	s_delay_alu instid0(SALU_CYCLE_1) | instskip(NEXT) | instid1(SALU_CYCLE_1)
	s_or_b32 exec_lo, exec_lo, s12
	s_mov_b32 s12, exec_lo
	v_cmpx_lt_u64_e64 s[8:9], v[11:12]
	s_cbranch_execz .LBB350_1723
; %bb.1716:                             ;   in Loop: Header=BB350_998 Depth=1
	v_lshrrev_b32_e32 v14, 24, v12
	v_bfrev_b32_e32 v148, 1
	s_mov_b32 s13, exec_lo
	s_delay_alu instid0(VALU_DEP_2)
	v_cmpx_ne_u32_e32 0x80, v14
	s_cbranch_execz .LBB350_1722
; %bb.1717:                             ;   in Loop: Header=BB350_998 Depth=1
	v_and_b32_e32 v11, 0x7f, v14
	v_mov_b32_e32 v148, 0x7fc02000
	s_mov_b32 s15, exec_lo
	s_delay_alu instid0(VALU_DEP_2)
	v_cmpx_ne_u32_e32 0x7f, v11
	s_cbranch_execz .LBB350_1721
; %bb.1718:                             ;   in Loop: Header=BB350_998 Depth=1
	v_and_b32_e32 v0, 7, v14
	v_lshrrev_b32_e32 v148, 3, v11
	v_cmp_gt_u32_e64 s0, 8, v11
	s_delay_alu instid0(VALU_DEP_3) | instskip(NEXT) | instid1(VALU_DEP_2)
	v_dual_mov_b32 v12, v1 :: v_dual_mov_b32 v11, v0
	s_and_saveexec_b32 s16, s0
; %bb.1719:                             ;   in Loop: Header=BB350_998 Depth=1
	v_clz_i32_u32_e32 v11, v0
	s_delay_alu instid0(VALU_DEP_1) | instskip(NEXT) | instid1(VALU_DEP_1)
	v_min_u32_e32 v148, 32, v11
	v_subrev_nc_u32_e32 v11, 28, v148
	v_sub_nc_u32_e32 v148, 29, v148
	s_delay_alu instid0(VALU_DEP_2) | instskip(NEXT) | instid1(VALU_DEP_1)
	v_lshlrev_b64 v[11:12], v11, v[0:1]
	v_and_b32_e32 v11, 7, v11
; %bb.1720:                             ;   in Loop: Header=BB350_998 Depth=1
	s_or_b32 exec_lo, exec_lo, s16
	v_lshlrev_b32_e32 v0, 8, v14
	v_lshl_add_u32 v12, v148, 10, 0x2000
	s_delay_alu instid0(VALU_DEP_1) | instskip(NEXT) | instid1(VALU_DEP_1)
	v_and_or_b32 v0, 0x8000, v0, v12
	v_lshl_or_b32 v0, v11, 7, v0
	s_delay_alu instid0(VALU_DEP_1)
	v_cvt_f32_f16_e64 v148, v0
.LBB350_1721:                           ;   in Loop: Header=BB350_998 Depth=1
	s_or_b32 exec_lo, exec_lo, s15
.LBB350_1722:                           ;   in Loop: Header=BB350_998 Depth=1
	s_delay_alu instid0(SALU_CYCLE_1)
	s_or_b32 exec_lo, exec_lo, s13
.LBB350_1723:                           ;   in Loop: Header=BB350_998 Depth=1
	s_delay_alu instid0(SALU_CYCLE_1)
	s_or_b32 exec_lo, exec_lo, s12
	s_waitcnt vmcnt(0) lgkmcnt(0)
	v_fma_mixlo_f16 v12, v133, v135, 0
	v_fma_mixlo_f16 v0, v133, v145, 0
	;; [unrolled: 1-line block ×5, first 2 shown]
	v_lshlrev_b32_e32 v14, 16, v12
	v_fma_mixlo_f16 v144, v133, v146, 0
	v_fma_mixlo_f16 v145, v133, v148, 0
	;; [unrolled: 1-line block ×3, first 2 shown]
	v_lshlrev_b32_e32 v0, 16, v0
	v_and_b32_e32 v11, 0xffff, v11
	v_and_b32_e32 v133, 0xffff, v134
	v_lshlrev_b32_e32 v134, 16, v135
	v_and_b32_e32 v135, 0xffff, v144
	v_lshlrev_b32_e32 v144, 16, v145
	v_and_b32_e32 v145, 0xffff, v12
	v_or_b32_e32 v13, v0, v11
	v_or_b32_e32 v14, v14, v133
	;; [unrolled: 1-line block ×3, first 2 shown]
	s_delay_alu instid0(VALU_DEP_4)
	v_or_b32_e32 v11, v144, v145
	s_and_saveexec_b32 s12, vcc_lo
	s_cbranch_execz .LBB350_1725
; %bb.1724:                             ;   in Loop: Header=BB350_998 Depth=1
	v_cmp_lt_i32_e64 s0, v19, v38
	v_lshrrev_b32_e32 v133, 16, v14
	v_lshrrev_b32_e32 v134, 16, v13
	v_lshrrev_b32_e32 v135, 16, v0
	v_lshrrev_b32_e32 v11, 16, v11
	v_cndmask_b32_e64 v14, 0, v14, s0
	v_cmp_lt_i32_e64 s0, v98, v55
	s_delay_alu instid0(VALU_DEP_1) | instskip(SKIP_1) | instid1(VALU_DEP_2)
	v_cndmask_b32_e64 v133, 0, v133, s0
	v_cmp_lt_i32_e64 s0, v97, v55
	v_perm_b32 v14, v133, v14, 0x5040100
	s_delay_alu instid0(VALU_DEP_2) | instskip(SKIP_1) | instid1(VALU_DEP_1)
	v_cndmask_b32_e64 v134, 0, v134, s0
	v_cmp_lt_i32_e64 s0, v86, v38
	v_cndmask_b32_e64 v13, 0, v13, s0
	v_cmp_lt_i32_e64 s0, v81, v55
	s_delay_alu instid0(VALU_DEP_2) | instskip(NEXT) | instid1(VALU_DEP_2)
	v_perm_b32 v13, v134, v13, 0x5040100
	v_cndmask_b32_e64 v135, 0, v135, s0
	v_cmp_lt_i32_e64 s0, v80, v38
	s_delay_alu instid0(VALU_DEP_1) | instskip(SKIP_1) | instid1(VALU_DEP_2)
	v_cndmask_b32_e64 v0, 0, v0, s0
	v_cmp_lt_i32_e64 s0, v71, v55
	v_perm_b32 v0, v135, v0, 0x5040100
	s_delay_alu instid0(VALU_DEP_2) | instskip(SKIP_1) | instid1(VALU_DEP_1)
	v_cndmask_b32_e64 v11, 0, v11, s0
	v_cmp_lt_i32_e64 s0, v64, v38
	v_cndmask_b32_e64 v12, 0, v12, s0
	s_delay_alu instid0(VALU_DEP_1)
	v_perm_b32 v11, v11, v12, 0x5040100
.LBB350_1725:                           ;   in Loop: Header=BB350_998 Depth=1
	s_or_b32 exec_lo, exec_lo, s12
	;;#ASMSTART
	v_pk_mul_f16 v12, v96, v14;

	;;#ASMEND
	;;#ASMSTART
	v_pk_mul_f16 v13, v87, v13;

	;;#ASMEND
	;; [unrolled: 4-line block ×4, first 2 shown]
	;;#ASMSTART
	v_pk_add_f16 v12, v12, v13;

	;;#ASMEND
	;;#ASMSTART
	v_pk_add_f16 v0, v12, v0;

	;;#ASMEND
	;; [unrolled: 4-line block ×3, first 2 shown]
	v_dual_mov_b32 v144, 0 :: v_dual_and_b32 v11, 0xffff, v0
	v_lshrrev_b32_e32 v0, 16, v0
	;;#ASMSTART
	v_cvt_f32_f16 v133, v11;
	;;#ASMEND
	;;#ASMSTART
	v_cvt_f32_f16 v134, v0;
	;;#ASMEND
	flat_load_b64 v[11:12], v[9:10] offset:2816
	flat_load_b32 v135, v[26:27]
	s_mov_b32 s12, exec_lo
	s_waitcnt vmcnt(1) lgkmcnt(1)
	v_dual_mov_b32 v145, 0 :: v_dual_and_b32 v0, 0xff, v11
	s_delay_alu instid0(VALU_DEP_1)
	v_cmpx_ne_u16_e32 0, v0
	s_cbranch_execz .LBB350_1733
; %bb.1726:                             ;   in Loop: Header=BB350_998 Depth=1
	v_bfrev_b32_e32 v144, 1
	s_mov_b32 s13, exec_lo
	v_cmpx_ne_u16_e32 0x80, v0
	s_cbranch_execz .LBB350_1732
; %bb.1727:                             ;   in Loop: Header=BB350_998 Depth=1
	v_and_b32_e32 v13, 0x7f, v11
	v_mov_b32_e32 v144, 0x7fc02000
	s_mov_b32 s15, exec_lo
	s_delay_alu instid0(VALU_DEP_2)
	v_cmpx_ne_u32_e32 0x7f, v13
	s_cbranch_execz .LBB350_1731
; %bb.1728:                             ;   in Loop: Header=BB350_998 Depth=1
	v_lshrrev_b32_e32 v0, 3, v13
	v_cmp_gt_u32_e64 s0, 8, v13
	v_dual_mov_b32 v14, v12 :: v_dual_mov_b32 v13, v11
	s_delay_alu instid0(VALU_DEP_2)
	s_and_saveexec_b32 s16, s0
; %bb.1729:                             ;   in Loop: Header=BB350_998 Depth=1
	v_and_b32_e32 v0, 7, v11
	s_delay_alu instid0(VALU_DEP_1) | instskip(NEXT) | instid1(VALU_DEP_1)
	v_clz_i32_u32_e32 v0, v0
	v_min_u32_e32 v0, 32, v0
	s_delay_alu instid0(VALU_DEP_1) | instskip(SKIP_1) | instid1(VALU_DEP_2)
	v_subrev_nc_u32_e32 v13, 28, v0
	v_sub_nc_u32_e32 v0, 29, v0
	v_lshlrev_b64 v[13:14], v13, v[11:12]
; %bb.1730:                             ;   in Loop: Header=BB350_998 Depth=1
	s_or_b32 exec_lo, exec_lo, s16
	v_lshlrev_b32_e32 v14, 8, v11
	s_delay_alu instid0(VALU_DEP_3) | instskip(NEXT) | instid1(VALU_DEP_3)
	v_lshl_add_u32 v0, v0, 10, 0x2000
	v_lshlrev_b32_e32 v13, 7, v13
	s_delay_alu instid0(VALU_DEP_2) | instskip(NEXT) | instid1(VALU_DEP_1)
	v_and_or_b32 v0, 0x8000, v14, v0
	v_and_or_b32 v0, 0x380, v13, v0
	s_delay_alu instid0(VALU_DEP_1)
	v_cvt_f32_f16_e64 v144, v0
.LBB350_1731:                           ;   in Loop: Header=BB350_998 Depth=1
	s_or_b32 exec_lo, exec_lo, s15
.LBB350_1732:                           ;   in Loop: Header=BB350_998 Depth=1
	s_delay_alu instid0(SALU_CYCLE_1)
	s_or_b32 exec_lo, exec_lo, s13
.LBB350_1733:                           ;   in Loop: Header=BB350_998 Depth=1
	s_delay_alu instid0(SALU_CYCLE_1) | instskip(SKIP_2) | instid1(VALU_DEP_1)
	s_or_b32 exec_lo, exec_lo, s12
	v_lshrrev_b16 v0, 8, v11
	s_mov_b32 s12, exec_lo
	v_cmpx_ne_u16_e32 0, v0
	s_cbranch_execz .LBB350_1741
; %bb.1734:                             ;   in Loop: Header=BB350_998 Depth=1
	v_bfrev_b32_e32 v145, 1
	s_mov_b32 s13, exec_lo
	v_cmpx_ne_u16_e32 0x80, v0
	s_cbranch_execz .LBB350_1740
; %bb.1735:                             ;   in Loop: Header=BB350_998 Depth=1
	v_and_b32_e32 v146, 0xffff, v0
	v_mov_b32_e32 v145, 0x7fc02000
	s_mov_b32 s15, exec_lo
	s_delay_alu instid0(VALU_DEP_2) | instskip(NEXT) | instid1(VALU_DEP_1)
	v_and_b32_e32 v13, 0x7f, v146
	v_cmpx_ne_u32_e32 0x7f, v13
	s_cbranch_execz .LBB350_1739
; %bb.1736:                             ;   in Loop: Header=BB350_998 Depth=1
	v_and_b32_e32 v0, 7, v146
	v_lshrrev_b32_e32 v145, 3, v13
	v_cmp_gt_u32_e64 s0, 8, v13
	s_delay_alu instid0(VALU_DEP_3) | instskip(NEXT) | instid1(VALU_DEP_2)
	v_dual_mov_b32 v14, v1 :: v_dual_mov_b32 v13, v0
	s_and_saveexec_b32 s16, s0
; %bb.1737:                             ;   in Loop: Header=BB350_998 Depth=1
	v_clz_i32_u32_e32 v13, v0
	s_delay_alu instid0(VALU_DEP_1) | instskip(NEXT) | instid1(VALU_DEP_1)
	v_min_u32_e32 v145, 32, v13
	v_subrev_nc_u32_e32 v13, 28, v145
	v_sub_nc_u32_e32 v145, 29, v145
	s_delay_alu instid0(VALU_DEP_2) | instskip(NEXT) | instid1(VALU_DEP_1)
	v_lshlrev_b64 v[13:14], v13, v[0:1]
	v_and_b32_e32 v13, 7, v13
; %bb.1738:                             ;   in Loop: Header=BB350_998 Depth=1
	s_or_b32 exec_lo, exec_lo, s16
	v_lshlrev_b32_e32 v0, 8, v146
	v_lshl_add_u32 v14, v145, 10, 0x2000
	s_delay_alu instid0(VALU_DEP_1) | instskip(NEXT) | instid1(VALU_DEP_1)
	v_and_or_b32 v0, 0x8000, v0, v14
	v_lshl_or_b32 v0, v13, 7, v0
	s_delay_alu instid0(VALU_DEP_1)
	v_cvt_f32_f16_e64 v145, v0
.LBB350_1739:                           ;   in Loop: Header=BB350_998 Depth=1
	s_or_b32 exec_lo, exec_lo, s15
.LBB350_1740:                           ;   in Loop: Header=BB350_998 Depth=1
	s_delay_alu instid0(SALU_CYCLE_1)
	s_or_b32 exec_lo, exec_lo, s13
.LBB350_1741:                           ;   in Loop: Header=BB350_998 Depth=1
	s_delay_alu instid0(SALU_CYCLE_1) | instskip(SKIP_3) | instid1(VALU_DEP_2)
	s_or_b32 exec_lo, exec_lo, s12
	v_lshrrev_b32_e32 v148, 16, v11
	v_mov_b32_e32 v146, 0
	s_mov_b32 s12, exec_lo
	v_dual_mov_b32 v147, 0 :: v_dual_and_b32 v0, 0xff, v148
	s_delay_alu instid0(VALU_DEP_1)
	v_cmpx_ne_u16_e32 0, v0
	s_cbranch_execz .LBB350_1749
; %bb.1742:                             ;   in Loop: Header=BB350_998 Depth=1
	v_bfrev_b32_e32 v146, 1
	s_mov_b32 s13, exec_lo
	v_cmpx_ne_u16_e32 0x80, v0
	s_cbranch_execz .LBB350_1748
; %bb.1743:                             ;   in Loop: Header=BB350_998 Depth=1
	v_bfe_u32 v13, v11, 16, 7
	v_mov_b32_e32 v146, 0x7fc02000
	s_mov_b32 s15, exec_lo
	s_delay_alu instid0(VALU_DEP_2)
	v_cmpx_ne_u32_e32 0x7f, v13
	s_cbranch_execz .LBB350_1747
; %bb.1744:                             ;   in Loop: Header=BB350_998 Depth=1
	v_and_b32_e32 v0, 7, v148
	v_lshrrev_b32_e32 v146, 3, v13
	v_cmp_gt_u32_e64 s0, 8, v13
	s_delay_alu instid0(VALU_DEP_3) | instskip(NEXT) | instid1(VALU_DEP_2)
	v_dual_mov_b32 v14, v1 :: v_dual_mov_b32 v13, v0
	s_and_saveexec_b32 s16, s0
; %bb.1745:                             ;   in Loop: Header=BB350_998 Depth=1
	v_clz_i32_u32_e32 v13, v0
	s_delay_alu instid0(VALU_DEP_1) | instskip(NEXT) | instid1(VALU_DEP_1)
	v_min_u32_e32 v146, 32, v13
	v_subrev_nc_u32_e32 v13, 28, v146
	v_sub_nc_u32_e32 v146, 29, v146
	s_delay_alu instid0(VALU_DEP_2) | instskip(NEXT) | instid1(VALU_DEP_1)
	v_lshlrev_b64 v[13:14], v13, v[0:1]
	v_and_b32_e32 v13, 7, v13
; %bb.1746:                             ;   in Loop: Header=BB350_998 Depth=1
	s_or_b32 exec_lo, exec_lo, s16
	v_lshlrev_b32_e32 v0, 8, v148
	v_lshl_add_u32 v14, v146, 10, 0x2000
	s_delay_alu instid0(VALU_DEP_1) | instskip(NEXT) | instid1(VALU_DEP_1)
	v_and_or_b32 v0, 0x8000, v0, v14
	v_lshl_or_b32 v0, v13, 7, v0
	s_delay_alu instid0(VALU_DEP_1)
	v_cvt_f32_f16_e64 v146, v0
.LBB350_1747:                           ;   in Loop: Header=BB350_998 Depth=1
	s_or_b32 exec_lo, exec_lo, s15
.LBB350_1748:                           ;   in Loop: Header=BB350_998 Depth=1
	s_delay_alu instid0(SALU_CYCLE_1)
	s_or_b32 exec_lo, exec_lo, s13
.LBB350_1749:                           ;   in Loop: Header=BB350_998 Depth=1
	s_delay_alu instid0(SALU_CYCLE_1) | instskip(NEXT) | instid1(SALU_CYCLE_1)
	s_or_b32 exec_lo, exec_lo, s12
	s_mov_b32 s12, exec_lo
	v_cmpx_lt_u32_e32 0xffffff, v11
	s_cbranch_execz .LBB350_1757
; %bb.1750:                             ;   in Loop: Header=BB350_998 Depth=1
	v_lshrrev_b32_e32 v148, 24, v11
	v_bfrev_b32_e32 v147, 1
	s_mov_b32 s13, exec_lo
	s_delay_alu instid0(VALU_DEP_2)
	v_cmpx_ne_u32_e32 0x80, v148
	s_cbranch_execz .LBB350_1756
; %bb.1751:                             ;   in Loop: Header=BB350_998 Depth=1
	v_and_b32_e32 v13, 0x7f, v148
	v_mov_b32_e32 v147, 0x7fc02000
	s_mov_b32 s15, exec_lo
	s_delay_alu instid0(VALU_DEP_2)
	v_cmpx_ne_u32_e32 0x7f, v13
	s_cbranch_execz .LBB350_1755
; %bb.1752:                             ;   in Loop: Header=BB350_998 Depth=1
	v_and_b32_e32 v0, 7, v148
	v_lshrrev_b32_e32 v147, 3, v13
	v_cmp_gt_u32_e64 s0, 8, v13
	s_delay_alu instid0(VALU_DEP_3) | instskip(NEXT) | instid1(VALU_DEP_2)
	v_dual_mov_b32 v14, v1 :: v_dual_mov_b32 v13, v0
	s_and_saveexec_b32 s16, s0
; %bb.1753:                             ;   in Loop: Header=BB350_998 Depth=1
	v_clz_i32_u32_e32 v13, v0
	s_delay_alu instid0(VALU_DEP_1) | instskip(NEXT) | instid1(VALU_DEP_1)
	v_min_u32_e32 v147, 32, v13
	v_subrev_nc_u32_e32 v13, 28, v147
	v_sub_nc_u32_e32 v147, 29, v147
	s_delay_alu instid0(VALU_DEP_2) | instskip(NEXT) | instid1(VALU_DEP_1)
	v_lshlrev_b64 v[13:14], v13, v[0:1]
	v_and_b32_e32 v13, 7, v13
; %bb.1754:                             ;   in Loop: Header=BB350_998 Depth=1
	s_or_b32 exec_lo, exec_lo, s16
	v_lshlrev_b32_e32 v0, 8, v148
	v_lshl_add_u32 v14, v147, 10, 0x2000
	s_delay_alu instid0(VALU_DEP_1) | instskip(NEXT) | instid1(VALU_DEP_1)
	v_and_or_b32 v0, 0x8000, v0, v14
	v_lshl_or_b32 v0, v13, 7, v0
	s_delay_alu instid0(VALU_DEP_1)
	v_cvt_f32_f16_e64 v147, v0
.LBB350_1755:                           ;   in Loop: Header=BB350_998 Depth=1
	s_or_b32 exec_lo, exec_lo, s15
.LBB350_1756:                           ;   in Loop: Header=BB350_998 Depth=1
	s_delay_alu instid0(SALU_CYCLE_1)
	s_or_b32 exec_lo, exec_lo, s13
.LBB350_1757:                           ;   in Loop: Header=BB350_998 Depth=1
	s_delay_alu instid0(SALU_CYCLE_1) | instskip(SKIP_3) | instid1(VALU_DEP_2)
	s_or_b32 exec_lo, exec_lo, s12
	v_dual_mov_b32 v0, v12 :: v_dual_and_b32 v13, 0xff, v12
	v_dual_mov_b32 v149, 0 :: v_dual_mov_b32 v148, 0
	s_mov_b32 s12, exec_lo
	v_cmpx_ne_u16_e32 0, v13
	s_cbranch_execz .LBB350_1765
; %bb.1758:                             ;   in Loop: Header=BB350_998 Depth=1
	v_bfrev_b32_e32 v148, 1
	s_mov_b32 s13, exec_lo
	v_cmpx_ne_u16_e32 0x80, v13
	s_cbranch_execz .LBB350_1764
; %bb.1759:                             ;   in Loop: Header=BB350_998 Depth=1
	v_and_b32_e32 v13, 0x7f, v12
	v_mov_b32_e32 v148, 0x7fc02000
	s_mov_b32 s15, exec_lo
	s_delay_alu instid0(VALU_DEP_2)
	v_cmpx_ne_u32_e32 0x7f, v13
	s_cbranch_execz .LBB350_1763
; %bb.1760:                             ;   in Loop: Header=BB350_998 Depth=1
	v_lshrrev_b32_e32 v148, 3, v13
	v_cmp_gt_u32_e64 s0, 8, v13
	v_dual_mov_b32 v14, v1 :: v_dual_mov_b32 v13, v0
	s_delay_alu instid0(VALU_DEP_2)
	s_and_saveexec_b32 s16, s0
; %bb.1761:                             ;   in Loop: Header=BB350_998 Depth=1
	v_and_b32_e32 v13, 7, v12
	s_delay_alu instid0(VALU_DEP_1) | instskip(NEXT) | instid1(VALU_DEP_1)
	v_clz_i32_u32_e32 v13, v13
	v_min_u32_e32 v148, 32, v13
	s_delay_alu instid0(VALU_DEP_1) | instskip(SKIP_1) | instid1(VALU_DEP_2)
	v_subrev_nc_u32_e32 v13, 28, v148
	v_sub_nc_u32_e32 v148, 29, v148
	v_lshlrev_b64 v[13:14], v13, v[0:1]
; %bb.1762:                             ;   in Loop: Header=BB350_998 Depth=1
	s_or_b32 exec_lo, exec_lo, s16
	v_lshlrev_b32_e32 v14, 8, v12
	s_delay_alu instid0(VALU_DEP_3) | instskip(NEXT) | instid1(VALU_DEP_3)
	v_lshl_add_u32 v148, v148, 10, 0x2000
	v_lshlrev_b32_e32 v13, 7, v13
	s_delay_alu instid0(VALU_DEP_2) | instskip(NEXT) | instid1(VALU_DEP_1)
	v_and_or_b32 v14, 0x8000, v14, v148
	v_and_or_b32 v13, 0x380, v13, v14
	s_delay_alu instid0(VALU_DEP_1)
	v_cvt_f32_f16_e64 v148, v13
.LBB350_1763:                           ;   in Loop: Header=BB350_998 Depth=1
	s_or_b32 exec_lo, exec_lo, s15
.LBB350_1764:                           ;   in Loop: Header=BB350_998 Depth=1
	s_delay_alu instid0(SALU_CYCLE_1)
	s_or_b32 exec_lo, exec_lo, s13
.LBB350_1765:                           ;   in Loop: Header=BB350_998 Depth=1
	s_delay_alu instid0(SALU_CYCLE_1) | instskip(SKIP_2) | instid1(VALU_DEP_1)
	s_or_b32 exec_lo, exec_lo, s12
	v_lshrrev_b16 v0, 8, v0
	s_mov_b32 s12, exec_lo
	v_cmpx_ne_u16_e32 0, v0
	s_cbranch_execz .LBB350_1773
; %bb.1766:                             ;   in Loop: Header=BB350_998 Depth=1
	v_bfrev_b32_e32 v149, 1
	s_mov_b32 s13, exec_lo
	v_cmpx_ne_u16_e32 0x80, v0
	s_cbranch_execz .LBB350_1772
; %bb.1767:                             ;   in Loop: Header=BB350_998 Depth=1
	v_and_b32_e32 v150, 0xffff, v0
	v_mov_b32_e32 v149, 0x7fc02000
	s_mov_b32 s15, exec_lo
	s_delay_alu instid0(VALU_DEP_2) | instskip(NEXT) | instid1(VALU_DEP_1)
	v_and_b32_e32 v13, 0x7f, v150
	v_cmpx_ne_u32_e32 0x7f, v13
	s_cbranch_execz .LBB350_1771
; %bb.1768:                             ;   in Loop: Header=BB350_998 Depth=1
	v_and_b32_e32 v0, 7, v150
	v_lshrrev_b32_e32 v149, 3, v13
	v_cmp_gt_u32_e64 s0, 8, v13
	s_delay_alu instid0(VALU_DEP_3) | instskip(NEXT) | instid1(VALU_DEP_2)
	v_dual_mov_b32 v14, v1 :: v_dual_mov_b32 v13, v0
	s_and_saveexec_b32 s16, s0
; %bb.1769:                             ;   in Loop: Header=BB350_998 Depth=1
	v_clz_i32_u32_e32 v13, v0
	s_delay_alu instid0(VALU_DEP_1) | instskip(NEXT) | instid1(VALU_DEP_1)
	v_min_u32_e32 v149, 32, v13
	v_subrev_nc_u32_e32 v13, 28, v149
	v_sub_nc_u32_e32 v149, 29, v149
	s_delay_alu instid0(VALU_DEP_2) | instskip(NEXT) | instid1(VALU_DEP_1)
	v_lshlrev_b64 v[13:14], v13, v[0:1]
	v_and_b32_e32 v13, 7, v13
; %bb.1770:                             ;   in Loop: Header=BB350_998 Depth=1
	s_or_b32 exec_lo, exec_lo, s16
	v_lshlrev_b32_e32 v0, 8, v150
	v_lshl_add_u32 v14, v149, 10, 0x2000
	s_delay_alu instid0(VALU_DEP_1) | instskip(NEXT) | instid1(VALU_DEP_1)
	v_and_or_b32 v0, 0x8000, v0, v14
	v_lshl_or_b32 v0, v13, 7, v0
	s_delay_alu instid0(VALU_DEP_1)
	v_cvt_f32_f16_e64 v149, v0
.LBB350_1771:                           ;   in Loop: Header=BB350_998 Depth=1
	s_or_b32 exec_lo, exec_lo, s15
.LBB350_1772:                           ;   in Loop: Header=BB350_998 Depth=1
	s_delay_alu instid0(SALU_CYCLE_1)
	s_or_b32 exec_lo, exec_lo, s13
.LBB350_1773:                           ;   in Loop: Header=BB350_998 Depth=1
	s_delay_alu instid0(SALU_CYCLE_1) | instskip(SKIP_3) | instid1(VALU_DEP_2)
	s_or_b32 exec_lo, exec_lo, s12
	v_lshrrev_b32_e32 v151, 16, v12
	v_mov_b32_e32 v150, 0
	s_mov_b32 s12, exec_lo
	v_dual_mov_b32 v13, 0 :: v_dual_and_b32 v0, 0xff, v151
	s_delay_alu instid0(VALU_DEP_1)
	v_cmpx_ne_u16_e32 0, v0
	s_cbranch_execz .LBB350_1781
; %bb.1774:                             ;   in Loop: Header=BB350_998 Depth=1
	v_bfrev_b32_e32 v13, 1
	s_mov_b32 s13, exec_lo
	v_cmpx_ne_u16_e32 0x80, v0
	s_cbranch_execz .LBB350_1780
; %bb.1775:                             ;   in Loop: Header=BB350_998 Depth=1
	v_bfe_u32 v14, v12, 16, 7
	v_mov_b32_e32 v13, 0x7fc02000
	s_mov_b32 s15, exec_lo
	s_delay_alu instid0(VALU_DEP_2)
	v_cmpx_ne_u32_e32 0x7f, v14
	s_cbranch_execz .LBB350_1779
; %bb.1776:                             ;   in Loop: Header=BB350_998 Depth=1
	v_and_b32_e32 v0, 7, v151
	v_lshrrev_b32_e32 v160, 3, v14
	v_cmp_gt_u32_e64 s0, 8, v14
	s_delay_alu instid0(VALU_DEP_3) | instskip(NEXT) | instid1(VALU_DEP_2)
	v_dual_mov_b32 v14, v1 :: v_dual_mov_b32 v13, v0
	s_and_saveexec_b32 s16, s0
; %bb.1777:                             ;   in Loop: Header=BB350_998 Depth=1
	v_clz_i32_u32_e32 v13, v0
	s_delay_alu instid0(VALU_DEP_1) | instskip(NEXT) | instid1(VALU_DEP_1)
	v_min_u32_e32 v160, 32, v13
	v_subrev_nc_u32_e32 v13, 28, v160
	v_sub_nc_u32_e32 v160, 29, v160
	s_delay_alu instid0(VALU_DEP_2) | instskip(NEXT) | instid1(VALU_DEP_1)
	v_lshlrev_b64 v[13:14], v13, v[0:1]
	v_and_b32_e32 v13, 7, v13
; %bb.1778:                             ;   in Loop: Header=BB350_998 Depth=1
	s_or_b32 exec_lo, exec_lo, s16
	v_lshlrev_b32_e32 v0, 8, v151
	v_lshl_add_u32 v14, v160, 10, 0x2000
	s_delay_alu instid0(VALU_DEP_1) | instskip(NEXT) | instid1(VALU_DEP_1)
	v_and_or_b32 v0, 0x8000, v0, v14
	v_lshl_or_b32 v0, v13, 7, v0
	s_delay_alu instid0(VALU_DEP_1)
	v_cvt_f32_f16_e32 v13, v0
.LBB350_1779:                           ;   in Loop: Header=BB350_998 Depth=1
	s_or_b32 exec_lo, exec_lo, s15
.LBB350_1780:                           ;   in Loop: Header=BB350_998 Depth=1
	s_delay_alu instid0(SALU_CYCLE_1)
	s_or_b32 exec_lo, exec_lo, s13
.LBB350_1781:                           ;   in Loop: Header=BB350_998 Depth=1
	s_delay_alu instid0(SALU_CYCLE_1) | instskip(NEXT) | instid1(SALU_CYCLE_1)
	s_or_b32 exec_lo, exec_lo, s12
	s_mov_b32 s12, exec_lo
	v_cmpx_lt_u64_e64 s[8:9], v[11:12]
	s_cbranch_execz .LBB350_1789
; %bb.1782:                             ;   in Loop: Header=BB350_998 Depth=1
	v_lshrrev_b32_e32 v14, 24, v12
	v_bfrev_b32_e32 v150, 1
	s_mov_b32 s13, exec_lo
	s_delay_alu instid0(VALU_DEP_2)
	v_cmpx_ne_u32_e32 0x80, v14
	s_cbranch_execz .LBB350_1788
; %bb.1783:                             ;   in Loop: Header=BB350_998 Depth=1
	v_and_b32_e32 v11, 0x7f, v14
	v_mov_b32_e32 v150, 0x7fc02000
	s_mov_b32 s15, exec_lo
	s_delay_alu instid0(VALU_DEP_2)
	v_cmpx_ne_u32_e32 0x7f, v11
	s_cbranch_execz .LBB350_1787
; %bb.1784:                             ;   in Loop: Header=BB350_998 Depth=1
	v_and_b32_e32 v0, 7, v14
	v_lshrrev_b32_e32 v150, 3, v11
	v_cmp_gt_u32_e64 s0, 8, v11
	s_delay_alu instid0(VALU_DEP_3) | instskip(NEXT) | instid1(VALU_DEP_2)
	v_dual_mov_b32 v12, v1 :: v_dual_mov_b32 v11, v0
	s_and_saveexec_b32 s16, s0
; %bb.1785:                             ;   in Loop: Header=BB350_998 Depth=1
	v_clz_i32_u32_e32 v11, v0
	s_delay_alu instid0(VALU_DEP_1) | instskip(NEXT) | instid1(VALU_DEP_1)
	v_min_u32_e32 v150, 32, v11
	v_subrev_nc_u32_e32 v11, 28, v150
	v_sub_nc_u32_e32 v150, 29, v150
	s_delay_alu instid0(VALU_DEP_2) | instskip(NEXT) | instid1(VALU_DEP_1)
	v_lshlrev_b64 v[11:12], v11, v[0:1]
	v_and_b32_e32 v11, 7, v11
; %bb.1786:                             ;   in Loop: Header=BB350_998 Depth=1
	s_or_b32 exec_lo, exec_lo, s16
	v_lshlrev_b32_e32 v0, 8, v14
	v_lshl_add_u32 v12, v150, 10, 0x2000
	s_delay_alu instid0(VALU_DEP_1) | instskip(NEXT) | instid1(VALU_DEP_1)
	v_and_or_b32 v0, 0x8000, v0, v12
	v_lshl_or_b32 v0, v11, 7, v0
	s_delay_alu instid0(VALU_DEP_1)
	v_cvt_f32_f16_e64 v150, v0
.LBB350_1787:                           ;   in Loop: Header=BB350_998 Depth=1
	s_or_b32 exec_lo, exec_lo, s15
.LBB350_1788:                           ;   in Loop: Header=BB350_998 Depth=1
	s_delay_alu instid0(SALU_CYCLE_1)
	s_or_b32 exec_lo, exec_lo, s13
.LBB350_1789:                           ;   in Loop: Header=BB350_998 Depth=1
	s_delay_alu instid0(SALU_CYCLE_1)
	s_or_b32 exec_lo, exec_lo, s12
	s_waitcnt vmcnt(0) lgkmcnt(0)
	v_fma_mixlo_f16 v12, v135, v145, 0
	v_fma_mixlo_f16 v0, v135, v147, 0
	;; [unrolled: 1-line block ×5, first 2 shown]
	v_lshlrev_b32_e32 v14, 16, v12
	v_fma_mixlo_f16 v146, v135, v148, 0
	v_fma_mixlo_f16 v147, v135, v150, 0
	;; [unrolled: 1-line block ×3, first 2 shown]
	v_lshlrev_b32_e32 v0, 16, v0
	v_and_b32_e32 v11, 0xffff, v11
	v_and_b32_e32 v135, 0xffff, v144
	v_lshlrev_b32_e32 v144, 16, v145
	v_and_b32_e32 v145, 0xffff, v146
	v_lshlrev_b32_e32 v146, 16, v147
	v_and_b32_e32 v147, 0xffff, v12
	v_or_b32_e32 v13, v0, v11
	v_or_b32_e32 v14, v14, v135
	;; [unrolled: 1-line block ×3, first 2 shown]
	s_delay_alu instid0(VALU_DEP_4)
	v_or_b32_e32 v11, v146, v147
	s_and_saveexec_b32 s12, vcc_lo
	s_cbranch_execz .LBB350_1791
; %bb.1790:                             ;   in Loop: Header=BB350_998 Depth=1
	v_cmp_lt_i32_e64 s0, v19, v38
	v_lshrrev_b32_e32 v135, 16, v14
	v_lshrrev_b32_e32 v144, 16, v13
	v_lshrrev_b32_e32 v145, 16, v0
	v_lshrrev_b32_e32 v11, 16, v11
	v_cndmask_b32_e64 v14, 0, v14, s0
	v_cmp_lt_i32_e64 s0, v98, v55
	s_delay_alu instid0(VALU_DEP_1) | instskip(SKIP_1) | instid1(VALU_DEP_2)
	v_cndmask_b32_e64 v135, 0, v135, s0
	v_cmp_lt_i32_e64 s0, v97, v55
	v_perm_b32 v14, v135, v14, 0x5040100
	s_delay_alu instid0(VALU_DEP_2) | instskip(SKIP_1) | instid1(VALU_DEP_1)
	v_cndmask_b32_e64 v144, 0, v144, s0
	v_cmp_lt_i32_e64 s0, v86, v38
	v_cndmask_b32_e64 v13, 0, v13, s0
	v_cmp_lt_i32_e64 s0, v81, v55
	s_delay_alu instid0(VALU_DEP_2) | instskip(NEXT) | instid1(VALU_DEP_2)
	v_perm_b32 v13, v144, v13, 0x5040100
	v_cndmask_b32_e64 v145, 0, v145, s0
	v_cmp_lt_i32_e64 s0, v80, v38
	s_delay_alu instid0(VALU_DEP_1) | instskip(SKIP_1) | instid1(VALU_DEP_2)
	v_cndmask_b32_e64 v0, 0, v0, s0
	v_cmp_lt_i32_e64 s0, v71, v55
	v_perm_b32 v0, v145, v0, 0x5040100
	s_delay_alu instid0(VALU_DEP_2) | instskip(SKIP_1) | instid1(VALU_DEP_1)
	v_cndmask_b32_e64 v11, 0, v11, s0
	v_cmp_lt_i32_e64 s0, v64, v38
	v_cndmask_b32_e64 v12, 0, v12, s0
	s_delay_alu instid0(VALU_DEP_1)
	v_perm_b32 v11, v11, v12, 0x5040100
.LBB350_1791:                           ;   in Loop: Header=BB350_998 Depth=1
	s_or_b32 exec_lo, exec_lo, s12
	;;#ASMSTART
	v_pk_mul_f16 v12, v96, v14;

	;;#ASMEND
	;;#ASMSTART
	v_pk_mul_f16 v13, v87, v13;

	;;#ASMEND
	;; [unrolled: 4-line block ×4, first 2 shown]
	;;#ASMSTART
	v_pk_add_f16 v12, v12, v13;

	;;#ASMEND
	;;#ASMSTART
	v_pk_add_f16 v0, v12, v0;

	;;#ASMEND
	;; [unrolled: 4-line block ×3, first 2 shown]
	v_dual_mov_b32 v146, 0 :: v_dual_and_b32 v11, 0xffff, v0
	v_lshrrev_b32_e32 v0, 16, v0
	;;#ASMSTART
	v_cvt_f32_f16 v135, v11;
	;;#ASMEND
	;;#ASMSTART
	v_cvt_f32_f16 v144, v0;
	;;#ASMEND
	flat_load_b64 v[11:12], v[9:10] offset:3072
	flat_load_b32 v145, v[26:27]
	s_mov_b32 s12, exec_lo
	s_waitcnt vmcnt(1) lgkmcnt(1)
	v_dual_mov_b32 v147, 0 :: v_dual_and_b32 v0, 0xff, v11
	s_delay_alu instid0(VALU_DEP_1)
	v_cmpx_ne_u16_e32 0, v0
	s_cbranch_execz .LBB350_1799
; %bb.1792:                             ;   in Loop: Header=BB350_998 Depth=1
	v_bfrev_b32_e32 v146, 1
	s_mov_b32 s13, exec_lo
	v_cmpx_ne_u16_e32 0x80, v0
	s_cbranch_execz .LBB350_1798
; %bb.1793:                             ;   in Loop: Header=BB350_998 Depth=1
	v_and_b32_e32 v13, 0x7f, v11
	v_mov_b32_e32 v146, 0x7fc02000
	s_mov_b32 s15, exec_lo
	s_delay_alu instid0(VALU_DEP_2)
	v_cmpx_ne_u32_e32 0x7f, v13
	s_cbranch_execz .LBB350_1797
; %bb.1794:                             ;   in Loop: Header=BB350_998 Depth=1
	v_lshrrev_b32_e32 v0, 3, v13
	v_cmp_gt_u32_e64 s0, 8, v13
	v_dual_mov_b32 v14, v12 :: v_dual_mov_b32 v13, v11
	s_delay_alu instid0(VALU_DEP_2)
	s_and_saveexec_b32 s16, s0
; %bb.1795:                             ;   in Loop: Header=BB350_998 Depth=1
	v_and_b32_e32 v0, 7, v11
	s_delay_alu instid0(VALU_DEP_1) | instskip(NEXT) | instid1(VALU_DEP_1)
	v_clz_i32_u32_e32 v0, v0
	v_min_u32_e32 v0, 32, v0
	s_delay_alu instid0(VALU_DEP_1) | instskip(SKIP_1) | instid1(VALU_DEP_2)
	v_subrev_nc_u32_e32 v13, 28, v0
	v_sub_nc_u32_e32 v0, 29, v0
	v_lshlrev_b64 v[13:14], v13, v[11:12]
; %bb.1796:                             ;   in Loop: Header=BB350_998 Depth=1
	s_or_b32 exec_lo, exec_lo, s16
	v_lshlrev_b32_e32 v14, 8, v11
	s_delay_alu instid0(VALU_DEP_3) | instskip(NEXT) | instid1(VALU_DEP_3)
	v_lshl_add_u32 v0, v0, 10, 0x2000
	v_lshlrev_b32_e32 v13, 7, v13
	s_delay_alu instid0(VALU_DEP_2) | instskip(NEXT) | instid1(VALU_DEP_1)
	v_and_or_b32 v0, 0x8000, v14, v0
	v_and_or_b32 v0, 0x380, v13, v0
	s_delay_alu instid0(VALU_DEP_1)
	v_cvt_f32_f16_e64 v146, v0
.LBB350_1797:                           ;   in Loop: Header=BB350_998 Depth=1
	s_or_b32 exec_lo, exec_lo, s15
.LBB350_1798:                           ;   in Loop: Header=BB350_998 Depth=1
	s_delay_alu instid0(SALU_CYCLE_1)
	s_or_b32 exec_lo, exec_lo, s13
.LBB350_1799:                           ;   in Loop: Header=BB350_998 Depth=1
	s_delay_alu instid0(SALU_CYCLE_1) | instskip(SKIP_2) | instid1(VALU_DEP_1)
	s_or_b32 exec_lo, exec_lo, s12
	v_lshrrev_b16 v0, 8, v11
	s_mov_b32 s12, exec_lo
	v_cmpx_ne_u16_e32 0, v0
	s_cbranch_execz .LBB350_1807
; %bb.1800:                             ;   in Loop: Header=BB350_998 Depth=1
	v_bfrev_b32_e32 v147, 1
	s_mov_b32 s13, exec_lo
	v_cmpx_ne_u16_e32 0x80, v0
	s_cbranch_execz .LBB350_1806
; %bb.1801:                             ;   in Loop: Header=BB350_998 Depth=1
	v_and_b32_e32 v148, 0xffff, v0
	v_mov_b32_e32 v147, 0x7fc02000
	s_mov_b32 s15, exec_lo
	s_delay_alu instid0(VALU_DEP_2) | instskip(NEXT) | instid1(VALU_DEP_1)
	v_and_b32_e32 v13, 0x7f, v148
	v_cmpx_ne_u32_e32 0x7f, v13
	s_cbranch_execz .LBB350_1805
; %bb.1802:                             ;   in Loop: Header=BB350_998 Depth=1
	v_and_b32_e32 v0, 7, v148
	v_lshrrev_b32_e32 v147, 3, v13
	v_cmp_gt_u32_e64 s0, 8, v13
	s_delay_alu instid0(VALU_DEP_3) | instskip(NEXT) | instid1(VALU_DEP_2)
	v_dual_mov_b32 v14, v1 :: v_dual_mov_b32 v13, v0
	s_and_saveexec_b32 s16, s0
; %bb.1803:                             ;   in Loop: Header=BB350_998 Depth=1
	v_clz_i32_u32_e32 v13, v0
	s_delay_alu instid0(VALU_DEP_1) | instskip(NEXT) | instid1(VALU_DEP_1)
	v_min_u32_e32 v147, 32, v13
	v_subrev_nc_u32_e32 v13, 28, v147
	v_sub_nc_u32_e32 v147, 29, v147
	s_delay_alu instid0(VALU_DEP_2) | instskip(NEXT) | instid1(VALU_DEP_1)
	v_lshlrev_b64 v[13:14], v13, v[0:1]
	v_and_b32_e32 v13, 7, v13
; %bb.1804:                             ;   in Loop: Header=BB350_998 Depth=1
	s_or_b32 exec_lo, exec_lo, s16
	v_lshlrev_b32_e32 v0, 8, v148
	v_lshl_add_u32 v14, v147, 10, 0x2000
	s_delay_alu instid0(VALU_DEP_1) | instskip(NEXT) | instid1(VALU_DEP_1)
	v_and_or_b32 v0, 0x8000, v0, v14
	v_lshl_or_b32 v0, v13, 7, v0
	s_delay_alu instid0(VALU_DEP_1)
	v_cvt_f32_f16_e64 v147, v0
.LBB350_1805:                           ;   in Loop: Header=BB350_998 Depth=1
	s_or_b32 exec_lo, exec_lo, s15
.LBB350_1806:                           ;   in Loop: Header=BB350_998 Depth=1
	s_delay_alu instid0(SALU_CYCLE_1)
	s_or_b32 exec_lo, exec_lo, s13
.LBB350_1807:                           ;   in Loop: Header=BB350_998 Depth=1
	s_delay_alu instid0(SALU_CYCLE_1) | instskip(SKIP_3) | instid1(VALU_DEP_2)
	s_or_b32 exec_lo, exec_lo, s12
	v_lshrrev_b32_e32 v150, 16, v11
	v_mov_b32_e32 v148, 0
	s_mov_b32 s12, exec_lo
	v_dual_mov_b32 v149, 0 :: v_dual_and_b32 v0, 0xff, v150
	s_delay_alu instid0(VALU_DEP_1)
	v_cmpx_ne_u16_e32 0, v0
	s_cbranch_execz .LBB350_1815
; %bb.1808:                             ;   in Loop: Header=BB350_998 Depth=1
	v_bfrev_b32_e32 v148, 1
	s_mov_b32 s13, exec_lo
	v_cmpx_ne_u16_e32 0x80, v0
	s_cbranch_execz .LBB350_1814
; %bb.1809:                             ;   in Loop: Header=BB350_998 Depth=1
	v_bfe_u32 v13, v11, 16, 7
	v_mov_b32_e32 v148, 0x7fc02000
	s_mov_b32 s15, exec_lo
	s_delay_alu instid0(VALU_DEP_2)
	v_cmpx_ne_u32_e32 0x7f, v13
	s_cbranch_execz .LBB350_1813
; %bb.1810:                             ;   in Loop: Header=BB350_998 Depth=1
	v_and_b32_e32 v0, 7, v150
	v_lshrrev_b32_e32 v148, 3, v13
	v_cmp_gt_u32_e64 s0, 8, v13
	s_delay_alu instid0(VALU_DEP_3) | instskip(NEXT) | instid1(VALU_DEP_2)
	v_dual_mov_b32 v14, v1 :: v_dual_mov_b32 v13, v0
	s_and_saveexec_b32 s16, s0
; %bb.1811:                             ;   in Loop: Header=BB350_998 Depth=1
	v_clz_i32_u32_e32 v13, v0
	s_delay_alu instid0(VALU_DEP_1) | instskip(NEXT) | instid1(VALU_DEP_1)
	v_min_u32_e32 v148, 32, v13
	v_subrev_nc_u32_e32 v13, 28, v148
	v_sub_nc_u32_e32 v148, 29, v148
	s_delay_alu instid0(VALU_DEP_2) | instskip(NEXT) | instid1(VALU_DEP_1)
	v_lshlrev_b64 v[13:14], v13, v[0:1]
	v_and_b32_e32 v13, 7, v13
; %bb.1812:                             ;   in Loop: Header=BB350_998 Depth=1
	s_or_b32 exec_lo, exec_lo, s16
	v_lshlrev_b32_e32 v0, 8, v150
	v_lshl_add_u32 v14, v148, 10, 0x2000
	s_delay_alu instid0(VALU_DEP_1) | instskip(NEXT) | instid1(VALU_DEP_1)
	v_and_or_b32 v0, 0x8000, v0, v14
	v_lshl_or_b32 v0, v13, 7, v0
	s_delay_alu instid0(VALU_DEP_1)
	v_cvt_f32_f16_e64 v148, v0
.LBB350_1813:                           ;   in Loop: Header=BB350_998 Depth=1
	s_or_b32 exec_lo, exec_lo, s15
.LBB350_1814:                           ;   in Loop: Header=BB350_998 Depth=1
	s_delay_alu instid0(SALU_CYCLE_1)
	s_or_b32 exec_lo, exec_lo, s13
.LBB350_1815:                           ;   in Loop: Header=BB350_998 Depth=1
	s_delay_alu instid0(SALU_CYCLE_1) | instskip(NEXT) | instid1(SALU_CYCLE_1)
	s_or_b32 exec_lo, exec_lo, s12
	s_mov_b32 s12, exec_lo
	v_cmpx_lt_u32_e32 0xffffff, v11
	s_cbranch_execz .LBB350_1823
; %bb.1816:                             ;   in Loop: Header=BB350_998 Depth=1
	v_lshrrev_b32_e32 v150, 24, v11
	v_bfrev_b32_e32 v149, 1
	s_mov_b32 s13, exec_lo
	s_delay_alu instid0(VALU_DEP_2)
	v_cmpx_ne_u32_e32 0x80, v150
	s_cbranch_execz .LBB350_1822
; %bb.1817:                             ;   in Loop: Header=BB350_998 Depth=1
	v_and_b32_e32 v13, 0x7f, v150
	v_mov_b32_e32 v149, 0x7fc02000
	s_mov_b32 s15, exec_lo
	s_delay_alu instid0(VALU_DEP_2)
	v_cmpx_ne_u32_e32 0x7f, v13
	s_cbranch_execz .LBB350_1821
; %bb.1818:                             ;   in Loop: Header=BB350_998 Depth=1
	v_and_b32_e32 v0, 7, v150
	v_lshrrev_b32_e32 v149, 3, v13
	v_cmp_gt_u32_e64 s0, 8, v13
	s_delay_alu instid0(VALU_DEP_3) | instskip(NEXT) | instid1(VALU_DEP_2)
	v_dual_mov_b32 v14, v1 :: v_dual_mov_b32 v13, v0
	s_and_saveexec_b32 s16, s0
; %bb.1819:                             ;   in Loop: Header=BB350_998 Depth=1
	v_clz_i32_u32_e32 v13, v0
	s_delay_alu instid0(VALU_DEP_1) | instskip(NEXT) | instid1(VALU_DEP_1)
	v_min_u32_e32 v149, 32, v13
	v_subrev_nc_u32_e32 v13, 28, v149
	v_sub_nc_u32_e32 v149, 29, v149
	s_delay_alu instid0(VALU_DEP_2) | instskip(NEXT) | instid1(VALU_DEP_1)
	v_lshlrev_b64 v[13:14], v13, v[0:1]
	v_and_b32_e32 v13, 7, v13
; %bb.1820:                             ;   in Loop: Header=BB350_998 Depth=1
	s_or_b32 exec_lo, exec_lo, s16
	v_lshlrev_b32_e32 v0, 8, v150
	v_lshl_add_u32 v14, v149, 10, 0x2000
	s_delay_alu instid0(VALU_DEP_1) | instskip(NEXT) | instid1(VALU_DEP_1)
	v_and_or_b32 v0, 0x8000, v0, v14
	v_lshl_or_b32 v0, v13, 7, v0
	s_delay_alu instid0(VALU_DEP_1)
	v_cvt_f32_f16_e64 v149, v0
.LBB350_1821:                           ;   in Loop: Header=BB350_998 Depth=1
	s_or_b32 exec_lo, exec_lo, s15
.LBB350_1822:                           ;   in Loop: Header=BB350_998 Depth=1
	s_delay_alu instid0(SALU_CYCLE_1)
	s_or_b32 exec_lo, exec_lo, s13
.LBB350_1823:                           ;   in Loop: Header=BB350_998 Depth=1
	s_delay_alu instid0(SALU_CYCLE_1) | instskip(SKIP_3) | instid1(VALU_DEP_2)
	s_or_b32 exec_lo, exec_lo, s12
	v_dual_mov_b32 v0, v12 :: v_dual_and_b32 v13, 0xff, v12
	v_dual_mov_b32 v151, 0 :: v_dual_mov_b32 v150, 0
	s_mov_b32 s12, exec_lo
	v_cmpx_ne_u16_e32 0, v13
	s_cbranch_execz .LBB350_1831
; %bb.1824:                             ;   in Loop: Header=BB350_998 Depth=1
	v_bfrev_b32_e32 v150, 1
	s_mov_b32 s13, exec_lo
	v_cmpx_ne_u16_e32 0x80, v13
	s_cbranch_execz .LBB350_1830
; %bb.1825:                             ;   in Loop: Header=BB350_998 Depth=1
	v_and_b32_e32 v13, 0x7f, v12
	v_mov_b32_e32 v150, 0x7fc02000
	s_mov_b32 s15, exec_lo
	s_delay_alu instid0(VALU_DEP_2)
	v_cmpx_ne_u32_e32 0x7f, v13
	s_cbranch_execz .LBB350_1829
; %bb.1826:                             ;   in Loop: Header=BB350_998 Depth=1
	v_lshrrev_b32_e32 v150, 3, v13
	v_cmp_gt_u32_e64 s0, 8, v13
	v_dual_mov_b32 v14, v1 :: v_dual_mov_b32 v13, v0
	s_delay_alu instid0(VALU_DEP_2)
	s_and_saveexec_b32 s16, s0
; %bb.1827:                             ;   in Loop: Header=BB350_998 Depth=1
	v_and_b32_e32 v13, 7, v12
	s_delay_alu instid0(VALU_DEP_1) | instskip(NEXT) | instid1(VALU_DEP_1)
	v_clz_i32_u32_e32 v13, v13
	v_min_u32_e32 v150, 32, v13
	s_delay_alu instid0(VALU_DEP_1) | instskip(SKIP_1) | instid1(VALU_DEP_2)
	v_subrev_nc_u32_e32 v13, 28, v150
	v_sub_nc_u32_e32 v150, 29, v150
	v_lshlrev_b64 v[13:14], v13, v[0:1]
; %bb.1828:                             ;   in Loop: Header=BB350_998 Depth=1
	s_or_b32 exec_lo, exec_lo, s16
	v_lshlrev_b32_e32 v14, 8, v12
	s_delay_alu instid0(VALU_DEP_3) | instskip(NEXT) | instid1(VALU_DEP_3)
	v_lshl_add_u32 v150, v150, 10, 0x2000
	v_lshlrev_b32_e32 v13, 7, v13
	s_delay_alu instid0(VALU_DEP_2) | instskip(NEXT) | instid1(VALU_DEP_1)
	v_and_or_b32 v14, 0x8000, v14, v150
	v_and_or_b32 v13, 0x380, v13, v14
	s_delay_alu instid0(VALU_DEP_1)
	v_cvt_f32_f16_e64 v150, v13
.LBB350_1829:                           ;   in Loop: Header=BB350_998 Depth=1
	s_or_b32 exec_lo, exec_lo, s15
.LBB350_1830:                           ;   in Loop: Header=BB350_998 Depth=1
	s_delay_alu instid0(SALU_CYCLE_1)
	s_or_b32 exec_lo, exec_lo, s13
.LBB350_1831:                           ;   in Loop: Header=BB350_998 Depth=1
	s_delay_alu instid0(SALU_CYCLE_1) | instskip(SKIP_2) | instid1(VALU_DEP_1)
	s_or_b32 exec_lo, exec_lo, s12
	v_lshrrev_b16 v0, 8, v0
	s_mov_b32 s12, exec_lo
	v_cmpx_ne_u16_e32 0, v0
	s_cbranch_execz .LBB350_1839
; %bb.1832:                             ;   in Loop: Header=BB350_998 Depth=1
	v_bfrev_b32_e32 v151, 1
	s_mov_b32 s13, exec_lo
	v_cmpx_ne_u16_e32 0x80, v0
	s_cbranch_execz .LBB350_1838
; %bb.1833:                             ;   in Loop: Header=BB350_998 Depth=1
	v_and_b32_e32 v160, 0xffff, v0
	v_mov_b32_e32 v151, 0x7fc02000
	s_mov_b32 s15, exec_lo
	s_delay_alu instid0(VALU_DEP_2) | instskip(NEXT) | instid1(VALU_DEP_1)
	v_and_b32_e32 v13, 0x7f, v160
	v_cmpx_ne_u32_e32 0x7f, v13
	s_cbranch_execz .LBB350_1837
; %bb.1834:                             ;   in Loop: Header=BB350_998 Depth=1
	v_and_b32_e32 v0, 7, v160
	v_lshrrev_b32_e32 v151, 3, v13
	v_cmp_gt_u32_e64 s0, 8, v13
	s_delay_alu instid0(VALU_DEP_3) | instskip(NEXT) | instid1(VALU_DEP_2)
	v_dual_mov_b32 v14, v1 :: v_dual_mov_b32 v13, v0
	s_and_saveexec_b32 s16, s0
; %bb.1835:                             ;   in Loop: Header=BB350_998 Depth=1
	v_clz_i32_u32_e32 v13, v0
	s_delay_alu instid0(VALU_DEP_1) | instskip(NEXT) | instid1(VALU_DEP_1)
	v_min_u32_e32 v151, 32, v13
	v_subrev_nc_u32_e32 v13, 28, v151
	v_sub_nc_u32_e32 v151, 29, v151
	s_delay_alu instid0(VALU_DEP_2) | instskip(NEXT) | instid1(VALU_DEP_1)
	v_lshlrev_b64 v[13:14], v13, v[0:1]
	v_and_b32_e32 v13, 7, v13
; %bb.1836:                             ;   in Loop: Header=BB350_998 Depth=1
	s_or_b32 exec_lo, exec_lo, s16
	v_lshlrev_b32_e32 v0, 8, v160
	v_lshl_add_u32 v14, v151, 10, 0x2000
	s_delay_alu instid0(VALU_DEP_1) | instskip(NEXT) | instid1(VALU_DEP_1)
	v_and_or_b32 v0, 0x8000, v0, v14
	v_lshl_or_b32 v0, v13, 7, v0
	s_delay_alu instid0(VALU_DEP_1)
	v_cvt_f32_f16_e64 v151, v0
.LBB350_1837:                           ;   in Loop: Header=BB350_998 Depth=1
	s_or_b32 exec_lo, exec_lo, s15
.LBB350_1838:                           ;   in Loop: Header=BB350_998 Depth=1
	s_delay_alu instid0(SALU_CYCLE_1)
	s_or_b32 exec_lo, exec_lo, s13
.LBB350_1839:                           ;   in Loop: Header=BB350_998 Depth=1
	s_delay_alu instid0(SALU_CYCLE_1) | instskip(SKIP_3) | instid1(VALU_DEP_2)
	s_or_b32 exec_lo, exec_lo, s12
	v_lshrrev_b32_e32 v161, 16, v12
	v_mov_b32_e32 v160, 0
	s_mov_b32 s12, exec_lo
	v_dual_mov_b32 v13, 0 :: v_dual_and_b32 v0, 0xff, v161
	s_delay_alu instid0(VALU_DEP_1)
	v_cmpx_ne_u16_e32 0, v0
	s_cbranch_execz .LBB350_1847
; %bb.1840:                             ;   in Loop: Header=BB350_998 Depth=1
	v_bfrev_b32_e32 v13, 1
	s_mov_b32 s13, exec_lo
	v_cmpx_ne_u16_e32 0x80, v0
	s_cbranch_execz .LBB350_1846
; %bb.1841:                             ;   in Loop: Header=BB350_998 Depth=1
	v_bfe_u32 v14, v12, 16, 7
	v_mov_b32_e32 v13, 0x7fc02000
	s_mov_b32 s15, exec_lo
	s_delay_alu instid0(VALU_DEP_2)
	v_cmpx_ne_u32_e32 0x7f, v14
	s_cbranch_execz .LBB350_1845
; %bb.1842:                             ;   in Loop: Header=BB350_998 Depth=1
	v_and_b32_e32 v0, 7, v161
	v_lshrrev_b32_e32 v162, 3, v14
	v_cmp_gt_u32_e64 s0, 8, v14
	s_delay_alu instid0(VALU_DEP_3) | instskip(NEXT) | instid1(VALU_DEP_2)
	v_dual_mov_b32 v14, v1 :: v_dual_mov_b32 v13, v0
	s_and_saveexec_b32 s16, s0
; %bb.1843:                             ;   in Loop: Header=BB350_998 Depth=1
	v_clz_i32_u32_e32 v13, v0
	s_delay_alu instid0(VALU_DEP_1) | instskip(NEXT) | instid1(VALU_DEP_1)
	v_min_u32_e32 v162, 32, v13
	v_subrev_nc_u32_e32 v13, 28, v162
	v_sub_nc_u32_e32 v162, 29, v162
	s_delay_alu instid0(VALU_DEP_2) | instskip(NEXT) | instid1(VALU_DEP_1)
	v_lshlrev_b64 v[13:14], v13, v[0:1]
	v_and_b32_e32 v13, 7, v13
; %bb.1844:                             ;   in Loop: Header=BB350_998 Depth=1
	s_or_b32 exec_lo, exec_lo, s16
	v_lshlrev_b32_e32 v0, 8, v161
	v_lshl_add_u32 v14, v162, 10, 0x2000
	s_delay_alu instid0(VALU_DEP_1) | instskip(NEXT) | instid1(VALU_DEP_1)
	v_and_or_b32 v0, 0x8000, v0, v14
	v_lshl_or_b32 v0, v13, 7, v0
	s_delay_alu instid0(VALU_DEP_1)
	v_cvt_f32_f16_e32 v13, v0
.LBB350_1845:                           ;   in Loop: Header=BB350_998 Depth=1
	s_or_b32 exec_lo, exec_lo, s15
.LBB350_1846:                           ;   in Loop: Header=BB350_998 Depth=1
	s_delay_alu instid0(SALU_CYCLE_1)
	s_or_b32 exec_lo, exec_lo, s13
.LBB350_1847:                           ;   in Loop: Header=BB350_998 Depth=1
	s_delay_alu instid0(SALU_CYCLE_1) | instskip(NEXT) | instid1(SALU_CYCLE_1)
	s_or_b32 exec_lo, exec_lo, s12
	s_mov_b32 s12, exec_lo
	v_cmpx_lt_u64_e64 s[8:9], v[11:12]
	s_cbranch_execz .LBB350_1855
; %bb.1848:                             ;   in Loop: Header=BB350_998 Depth=1
	v_lshrrev_b32_e32 v14, 24, v12
	v_bfrev_b32_e32 v160, 1
	s_mov_b32 s13, exec_lo
	s_delay_alu instid0(VALU_DEP_2)
	v_cmpx_ne_u32_e32 0x80, v14
	s_cbranch_execz .LBB350_1854
; %bb.1849:                             ;   in Loop: Header=BB350_998 Depth=1
	v_and_b32_e32 v161, 0x7f, v14
	v_mov_b32_e32 v160, 0x7fc02000
	s_mov_b32 s15, exec_lo
	s_delay_alu instid0(VALU_DEP_2)
	v_cmpx_ne_u32_e32 0x7f, v161
	s_cbranch_execz .LBB350_1853
; %bb.1850:                             ;   in Loop: Header=BB350_998 Depth=1
	v_and_b32_e32 v0, 7, v14
	v_lshrrev_b32_e32 v160, 3, v161
	v_mov_b32_e32 v12, v1
	s_mov_b32 s16, exec_lo
	s_delay_alu instid0(VALU_DEP_3)
	v_mov_b32_e32 v11, v0
	v_cmpx_gt_u32_e32 8, v161
; %bb.1851:                             ;   in Loop: Header=BB350_998 Depth=1
	v_clz_i32_u32_e32 v11, v0
	s_delay_alu instid0(VALU_DEP_1) | instskip(NEXT) | instid1(VALU_DEP_1)
	v_min_u32_e32 v160, 32, v11
	v_subrev_nc_u32_e32 v11, 28, v160
	v_sub_nc_u32_e32 v160, 29, v160
	s_delay_alu instid0(VALU_DEP_2) | instskip(NEXT) | instid1(VALU_DEP_1)
	v_lshlrev_b64 v[11:12], v11, v[0:1]
	v_and_b32_e32 v11, 7, v11
; %bb.1852:                             ;   in Loop: Header=BB350_998 Depth=1
	s_or_b32 exec_lo, exec_lo, s16
	v_lshlrev_b32_e32 v0, 8, v14
	v_lshl_add_u32 v12, v160, 10, 0x2000
	s_delay_alu instid0(VALU_DEP_1) | instskip(NEXT) | instid1(VALU_DEP_1)
	v_and_or_b32 v0, 0x8000, v0, v12
	v_lshl_or_b32 v0, v11, 7, v0
	s_delay_alu instid0(VALU_DEP_1)
	v_cvt_f32_f16_e64 v160, v0
.LBB350_1853:                           ;   in Loop: Header=BB350_998 Depth=1
	s_or_b32 exec_lo, exec_lo, s15
.LBB350_1854:                           ;   in Loop: Header=BB350_998 Depth=1
	s_delay_alu instid0(SALU_CYCLE_1)
	s_or_b32 exec_lo, exec_lo, s13
.LBB350_1855:                           ;   in Loop: Header=BB350_998 Depth=1
	s_delay_alu instid0(SALU_CYCLE_1)
	s_or_b32 exec_lo, exec_lo, s12
	s_waitcnt vmcnt(0) lgkmcnt(0)
	v_fma_mixlo_f16 v12, v145, v147, 0
	v_fma_mixlo_f16 v0, v145, v149, 0
	;; [unrolled: 1-line block ×5, first 2 shown]
	v_lshlrev_b32_e32 v14, 16, v12
	v_fma_mixlo_f16 v148, v145, v150, 0
	v_fma_mixlo_f16 v149, v145, v160, 0
	;; [unrolled: 1-line block ×3, first 2 shown]
	v_lshlrev_b32_e32 v0, 16, v0
	v_and_b32_e32 v11, 0xffff, v11
	v_and_b32_e32 v145, 0xffff, v146
	v_lshlrev_b32_e32 v146, 16, v147
	v_and_b32_e32 v147, 0xffff, v148
	v_lshlrev_b32_e32 v148, 16, v149
	v_and_b32_e32 v149, 0xffff, v12
	v_or_b32_e32 v13, v0, v11
	v_or_b32_e32 v14, v14, v145
	;; [unrolled: 1-line block ×3, first 2 shown]
	s_delay_alu instid0(VALU_DEP_4)
	v_or_b32_e32 v11, v148, v149
	s_and_saveexec_b32 s12, vcc_lo
	s_cbranch_execz .LBB350_1857
; %bb.1856:                             ;   in Loop: Header=BB350_998 Depth=1
	v_cmp_lt_i32_e64 s0, v19, v38
	v_lshrrev_b32_e32 v145, 16, v14
	v_lshrrev_b32_e32 v146, 16, v13
	;; [unrolled: 1-line block ×4, first 2 shown]
	v_cndmask_b32_e64 v14, 0, v14, s0
	v_cmp_lt_i32_e64 s0, v98, v55
	s_delay_alu instid0(VALU_DEP_1) | instskip(SKIP_1) | instid1(VALU_DEP_2)
	v_cndmask_b32_e64 v145, 0, v145, s0
	v_cmp_lt_i32_e64 s0, v97, v55
	v_perm_b32 v14, v145, v14, 0x5040100
	s_delay_alu instid0(VALU_DEP_2) | instskip(SKIP_1) | instid1(VALU_DEP_1)
	v_cndmask_b32_e64 v146, 0, v146, s0
	v_cmp_lt_i32_e64 s0, v86, v38
	v_cndmask_b32_e64 v13, 0, v13, s0
	v_cmp_lt_i32_e64 s0, v81, v55
	s_delay_alu instid0(VALU_DEP_2) | instskip(NEXT) | instid1(VALU_DEP_2)
	v_perm_b32 v13, v146, v13, 0x5040100
	v_cndmask_b32_e64 v147, 0, v147, s0
	v_cmp_lt_i32_e64 s0, v80, v38
	s_delay_alu instid0(VALU_DEP_1) | instskip(SKIP_1) | instid1(VALU_DEP_2)
	v_cndmask_b32_e64 v0, 0, v0, s0
	v_cmp_lt_i32_e64 s0, v71, v55
	v_perm_b32 v0, v147, v0, 0x5040100
	s_delay_alu instid0(VALU_DEP_2) | instskip(SKIP_1) | instid1(VALU_DEP_1)
	v_cndmask_b32_e64 v11, 0, v11, s0
	v_cmp_lt_i32_e64 s0, v64, v38
	v_cndmask_b32_e64 v12, 0, v12, s0
	s_delay_alu instid0(VALU_DEP_1)
	v_perm_b32 v11, v11, v12, 0x5040100
.LBB350_1857:                           ;   in Loop: Header=BB350_998 Depth=1
	s_or_b32 exec_lo, exec_lo, s12
	;;#ASMSTART
	v_pk_mul_f16 v12, v96, v14;

	;;#ASMEND
	;;#ASMSTART
	v_pk_mul_f16 v13, v87, v13;

	;;#ASMEND
	;; [unrolled: 4-line block ×4, first 2 shown]
	;;#ASMSTART
	v_pk_add_f16 v12, v12, v13;

	;;#ASMEND
	;;#ASMSTART
	v_pk_add_f16 v0, v12, v0;

	;;#ASMEND
	;; [unrolled: 4-line block ×3, first 2 shown]
	v_dual_mov_b32 v148, 0 :: v_dual_and_b32 v11, 0xffff, v0
	v_lshrrev_b32_e32 v0, 16, v0
	;;#ASMSTART
	v_cvt_f32_f16 v145, v11;
	;;#ASMEND
	;;#ASMSTART
	v_cvt_f32_f16 v146, v0;
	;;#ASMEND
	flat_load_b64 v[11:12], v[9:10] offset:3328
	flat_load_b32 v147, v[26:27]
	s_mov_b32 s12, exec_lo
	s_waitcnt vmcnt(1) lgkmcnt(1)
	v_dual_mov_b32 v149, 0 :: v_dual_and_b32 v0, 0xff, v11
	s_delay_alu instid0(VALU_DEP_1)
	v_cmpx_ne_u16_e32 0, v0
	s_cbranch_execz .LBB350_1865
; %bb.1858:                             ;   in Loop: Header=BB350_998 Depth=1
	v_bfrev_b32_e32 v148, 1
	s_mov_b32 s13, exec_lo
	v_cmpx_ne_u16_e32 0x80, v0
	s_cbranch_execz .LBB350_1864
; %bb.1859:                             ;   in Loop: Header=BB350_998 Depth=1
	v_and_b32_e32 v13, 0x7f, v11
	v_mov_b32_e32 v148, 0x7fc02000
	s_mov_b32 s15, exec_lo
	s_delay_alu instid0(VALU_DEP_2)
	v_cmpx_ne_u32_e32 0x7f, v13
	s_cbranch_execz .LBB350_1863
; %bb.1860:                             ;   in Loop: Header=BB350_998 Depth=1
	v_lshrrev_b32_e32 v0, 3, v13
	v_cmp_gt_u32_e64 s0, 8, v13
	v_dual_mov_b32 v14, v12 :: v_dual_mov_b32 v13, v11
	s_delay_alu instid0(VALU_DEP_2)
	s_and_saveexec_b32 s16, s0
; %bb.1861:                             ;   in Loop: Header=BB350_998 Depth=1
	v_and_b32_e32 v0, 7, v11
	s_delay_alu instid0(VALU_DEP_1) | instskip(NEXT) | instid1(VALU_DEP_1)
	v_clz_i32_u32_e32 v0, v0
	v_min_u32_e32 v0, 32, v0
	s_delay_alu instid0(VALU_DEP_1) | instskip(SKIP_1) | instid1(VALU_DEP_2)
	v_subrev_nc_u32_e32 v13, 28, v0
	v_sub_nc_u32_e32 v0, 29, v0
	v_lshlrev_b64 v[13:14], v13, v[11:12]
; %bb.1862:                             ;   in Loop: Header=BB350_998 Depth=1
	s_or_b32 exec_lo, exec_lo, s16
	v_lshlrev_b32_e32 v14, 8, v11
	s_delay_alu instid0(VALU_DEP_3) | instskip(NEXT) | instid1(VALU_DEP_3)
	v_lshl_add_u32 v0, v0, 10, 0x2000
	v_lshlrev_b32_e32 v13, 7, v13
	s_delay_alu instid0(VALU_DEP_2) | instskip(NEXT) | instid1(VALU_DEP_1)
	v_and_or_b32 v0, 0x8000, v14, v0
	v_and_or_b32 v0, 0x380, v13, v0
	s_delay_alu instid0(VALU_DEP_1)
	v_cvt_f32_f16_e64 v148, v0
.LBB350_1863:                           ;   in Loop: Header=BB350_998 Depth=1
	s_or_b32 exec_lo, exec_lo, s15
.LBB350_1864:                           ;   in Loop: Header=BB350_998 Depth=1
	s_delay_alu instid0(SALU_CYCLE_1)
	s_or_b32 exec_lo, exec_lo, s13
.LBB350_1865:                           ;   in Loop: Header=BB350_998 Depth=1
	s_delay_alu instid0(SALU_CYCLE_1) | instskip(SKIP_2) | instid1(VALU_DEP_1)
	s_or_b32 exec_lo, exec_lo, s12
	v_lshrrev_b16 v0, 8, v11
	s_mov_b32 s12, exec_lo
	v_cmpx_ne_u16_e32 0, v0
	s_cbranch_execz .LBB350_1873
; %bb.1866:                             ;   in Loop: Header=BB350_998 Depth=1
	v_bfrev_b32_e32 v149, 1
	s_mov_b32 s13, exec_lo
	v_cmpx_ne_u16_e32 0x80, v0
	s_cbranch_execz .LBB350_1872
; %bb.1867:                             ;   in Loop: Header=BB350_998 Depth=1
	v_and_b32_e32 v150, 0xffff, v0
	v_mov_b32_e32 v149, 0x7fc02000
	s_mov_b32 s15, exec_lo
	s_delay_alu instid0(VALU_DEP_2) | instskip(NEXT) | instid1(VALU_DEP_1)
	v_and_b32_e32 v151, 0x7f, v150
	v_cmpx_ne_u32_e32 0x7f, v151
	s_cbranch_execz .LBB350_1871
; %bb.1868:                             ;   in Loop: Header=BB350_998 Depth=1
	v_and_b32_e32 v0, 7, v150
	v_lshrrev_b32_e32 v149, 3, v151
	v_mov_b32_e32 v14, v1
	s_mov_b32 s16, exec_lo
	s_delay_alu instid0(VALU_DEP_3)
	v_mov_b32_e32 v13, v0
	v_cmpx_gt_u32_e32 8, v151
; %bb.1869:                             ;   in Loop: Header=BB350_998 Depth=1
	v_clz_i32_u32_e32 v13, v0
	s_delay_alu instid0(VALU_DEP_1) | instskip(NEXT) | instid1(VALU_DEP_1)
	v_min_u32_e32 v149, 32, v13
	v_subrev_nc_u32_e32 v13, 28, v149
	v_sub_nc_u32_e32 v149, 29, v149
	s_delay_alu instid0(VALU_DEP_2) | instskip(NEXT) | instid1(VALU_DEP_1)
	v_lshlrev_b64 v[13:14], v13, v[0:1]
	v_and_b32_e32 v13, 7, v13
; %bb.1870:                             ;   in Loop: Header=BB350_998 Depth=1
	s_or_b32 exec_lo, exec_lo, s16
	v_lshlrev_b32_e32 v0, 8, v150
	v_lshl_add_u32 v14, v149, 10, 0x2000
	s_delay_alu instid0(VALU_DEP_1) | instskip(NEXT) | instid1(VALU_DEP_1)
	v_and_or_b32 v0, 0x8000, v0, v14
	v_lshl_or_b32 v0, v13, 7, v0
	s_delay_alu instid0(VALU_DEP_1)
	v_cvt_f32_f16_e64 v149, v0
.LBB350_1871:                           ;   in Loop: Header=BB350_998 Depth=1
	s_or_b32 exec_lo, exec_lo, s15
.LBB350_1872:                           ;   in Loop: Header=BB350_998 Depth=1
	s_delay_alu instid0(SALU_CYCLE_1)
	s_or_b32 exec_lo, exec_lo, s13
.LBB350_1873:                           ;   in Loop: Header=BB350_998 Depth=1
	s_delay_alu instid0(SALU_CYCLE_1) | instskip(SKIP_3) | instid1(VALU_DEP_2)
	s_or_b32 exec_lo, exec_lo, s12
	v_lshrrev_b32_e32 v160, 16, v11
	v_mov_b32_e32 v150, 0
	s_mov_b32 s12, exec_lo
	v_dual_mov_b32 v151, 0 :: v_dual_and_b32 v0, 0xff, v160
	s_delay_alu instid0(VALU_DEP_1)
	v_cmpx_ne_u16_e32 0, v0
	s_cbranch_execz .LBB350_1881
; %bb.1874:                             ;   in Loop: Header=BB350_998 Depth=1
	v_bfrev_b32_e32 v150, 1
	s_mov_b32 s13, exec_lo
	v_cmpx_ne_u16_e32 0x80, v0
	s_cbranch_execz .LBB350_1880
; %bb.1875:                             ;   in Loop: Header=BB350_998 Depth=1
	v_bfe_u32 v161, v11, 16, 7
	v_mov_b32_e32 v150, 0x7fc02000
	s_mov_b32 s15, exec_lo
	s_delay_alu instid0(VALU_DEP_2)
	v_cmpx_ne_u32_e32 0x7f, v161
	s_cbranch_execz .LBB350_1879
; %bb.1876:                             ;   in Loop: Header=BB350_998 Depth=1
	v_and_b32_e32 v0, 7, v160
	v_lshrrev_b32_e32 v150, 3, v161
	v_mov_b32_e32 v14, v1
	s_mov_b32 s16, exec_lo
	s_delay_alu instid0(VALU_DEP_3)
	v_mov_b32_e32 v13, v0
	v_cmpx_gt_u32_e32 8, v161
; %bb.1877:                             ;   in Loop: Header=BB350_998 Depth=1
	v_clz_i32_u32_e32 v13, v0
	s_delay_alu instid0(VALU_DEP_1) | instskip(NEXT) | instid1(VALU_DEP_1)
	v_min_u32_e32 v150, 32, v13
	v_subrev_nc_u32_e32 v13, 28, v150
	v_sub_nc_u32_e32 v150, 29, v150
	s_delay_alu instid0(VALU_DEP_2) | instskip(NEXT) | instid1(VALU_DEP_1)
	v_lshlrev_b64 v[13:14], v13, v[0:1]
	v_and_b32_e32 v13, 7, v13
; %bb.1878:                             ;   in Loop: Header=BB350_998 Depth=1
	s_or_b32 exec_lo, exec_lo, s16
	v_lshlrev_b32_e32 v0, 8, v160
	v_lshl_add_u32 v14, v150, 10, 0x2000
	s_delay_alu instid0(VALU_DEP_1) | instskip(NEXT) | instid1(VALU_DEP_1)
	v_and_or_b32 v0, 0x8000, v0, v14
	v_lshl_or_b32 v0, v13, 7, v0
	s_delay_alu instid0(VALU_DEP_1)
	v_cvt_f32_f16_e64 v150, v0
.LBB350_1879:                           ;   in Loop: Header=BB350_998 Depth=1
	s_or_b32 exec_lo, exec_lo, s15
.LBB350_1880:                           ;   in Loop: Header=BB350_998 Depth=1
	s_delay_alu instid0(SALU_CYCLE_1)
	s_or_b32 exec_lo, exec_lo, s13
.LBB350_1881:                           ;   in Loop: Header=BB350_998 Depth=1
	s_delay_alu instid0(SALU_CYCLE_1) | instskip(NEXT) | instid1(SALU_CYCLE_1)
	s_or_b32 exec_lo, exec_lo, s12
	s_mov_b32 s12, exec_lo
	v_cmpx_lt_u32_e32 0xffffff, v11
	s_cbranch_execz .LBB350_1889
; %bb.1882:                             ;   in Loop: Header=BB350_998 Depth=1
	v_lshrrev_b32_e32 v160, 24, v11
	v_bfrev_b32_e32 v151, 1
	s_mov_b32 s13, exec_lo
	s_delay_alu instid0(VALU_DEP_2)
	v_cmpx_ne_u32_e32 0x80, v160
	s_cbranch_execz .LBB350_1888
; %bb.1883:                             ;   in Loop: Header=BB350_998 Depth=1
	v_and_b32_e32 v161, 0x7f, v160
	v_mov_b32_e32 v151, 0x7fc02000
	s_mov_b32 s15, exec_lo
	s_delay_alu instid0(VALU_DEP_2)
	v_cmpx_ne_u32_e32 0x7f, v161
	s_cbranch_execz .LBB350_1887
; %bb.1884:                             ;   in Loop: Header=BB350_998 Depth=1
	v_and_b32_e32 v0, 7, v160
	v_lshrrev_b32_e32 v151, 3, v161
	v_mov_b32_e32 v14, v1
	s_mov_b32 s16, exec_lo
	s_delay_alu instid0(VALU_DEP_3)
	v_mov_b32_e32 v13, v0
	v_cmpx_gt_u32_e32 8, v161
; %bb.1885:                             ;   in Loop: Header=BB350_998 Depth=1
	v_clz_i32_u32_e32 v13, v0
	s_delay_alu instid0(VALU_DEP_1) | instskip(NEXT) | instid1(VALU_DEP_1)
	v_min_u32_e32 v151, 32, v13
	v_subrev_nc_u32_e32 v13, 28, v151
	v_sub_nc_u32_e32 v151, 29, v151
	s_delay_alu instid0(VALU_DEP_2) | instskip(NEXT) | instid1(VALU_DEP_1)
	v_lshlrev_b64 v[13:14], v13, v[0:1]
	v_and_b32_e32 v13, 7, v13
; %bb.1886:                             ;   in Loop: Header=BB350_998 Depth=1
	s_or_b32 exec_lo, exec_lo, s16
	v_lshlrev_b32_e32 v0, 8, v160
	v_lshl_add_u32 v14, v151, 10, 0x2000
	s_delay_alu instid0(VALU_DEP_1) | instskip(NEXT) | instid1(VALU_DEP_1)
	v_and_or_b32 v0, 0x8000, v0, v14
	v_lshl_or_b32 v0, v13, 7, v0
	s_delay_alu instid0(VALU_DEP_1)
	v_cvt_f32_f16_e64 v151, v0
.LBB350_1887:                           ;   in Loop: Header=BB350_998 Depth=1
	s_or_b32 exec_lo, exec_lo, s15
.LBB350_1888:                           ;   in Loop: Header=BB350_998 Depth=1
	s_delay_alu instid0(SALU_CYCLE_1)
	s_or_b32 exec_lo, exec_lo, s13
.LBB350_1889:                           ;   in Loop: Header=BB350_998 Depth=1
	s_delay_alu instid0(SALU_CYCLE_1) | instskip(SKIP_3) | instid1(VALU_DEP_2)
	s_or_b32 exec_lo, exec_lo, s12
	v_dual_mov_b32 v0, v12 :: v_dual_and_b32 v13, 0xff, v12
	v_dual_mov_b32 v161, 0 :: v_dual_mov_b32 v160, 0
	s_mov_b32 s12, exec_lo
	v_cmpx_ne_u16_e32 0, v13
	s_cbranch_execz .LBB350_1897
; %bb.1890:                             ;   in Loop: Header=BB350_998 Depth=1
	v_bfrev_b32_e32 v160, 1
	s_mov_b32 s13, exec_lo
	v_cmpx_ne_u16_e32 0x80, v13
	s_cbranch_execz .LBB350_1896
; %bb.1891:                             ;   in Loop: Header=BB350_998 Depth=1
	v_and_b32_e32 v162, 0x7f, v12
	v_mov_b32_e32 v160, 0x7fc02000
	s_mov_b32 s15, exec_lo
	s_delay_alu instid0(VALU_DEP_2)
	v_cmpx_ne_u32_e32 0x7f, v162
	s_cbranch_execz .LBB350_1895
; %bb.1892:                             ;   in Loop: Header=BB350_998 Depth=1
	v_dual_mov_b32 v14, v1 :: v_dual_mov_b32 v13, v0
	v_lshrrev_b32_e32 v14, 3, v162
	s_mov_b32 s16, exec_lo
	v_cmpx_gt_u32_e32 8, v162
; %bb.1893:                             ;   in Loop: Header=BB350_998 Depth=1
	v_and_b32_e32 v13, 7, v12
	s_delay_alu instid0(VALU_DEP_1) | instskip(NEXT) | instid1(VALU_DEP_1)
	v_clz_i32_u32_e32 v13, v13
	v_min_u32_e32 v160, 32, v13
	s_delay_alu instid0(VALU_DEP_1) | instskip(NEXT) | instid1(VALU_DEP_1)
	v_subrev_nc_u32_e32 v13, 28, v160
	v_lshlrev_b64 v[13:14], v13, v[0:1]
	v_sub_nc_u32_e32 v14, 29, v160
; %bb.1894:                             ;   in Loop: Header=BB350_998 Depth=1
	s_or_b32 exec_lo, exec_lo, s16
	v_lshlrev_b32_e32 v160, 8, v12
	s_delay_alu instid0(VALU_DEP_2) | instskip(NEXT) | instid1(VALU_DEP_4)
	v_lshl_add_u32 v14, v14, 10, 0x2000
	v_lshlrev_b32_e32 v13, 7, v13
	s_delay_alu instid0(VALU_DEP_2) | instskip(NEXT) | instid1(VALU_DEP_1)
	v_and_or_b32 v14, 0x8000, v160, v14
	v_and_or_b32 v13, 0x380, v13, v14
	s_delay_alu instid0(VALU_DEP_1)
	v_cvt_f32_f16_e64 v160, v13
.LBB350_1895:                           ;   in Loop: Header=BB350_998 Depth=1
	s_or_b32 exec_lo, exec_lo, s15
.LBB350_1896:                           ;   in Loop: Header=BB350_998 Depth=1
	s_delay_alu instid0(SALU_CYCLE_1)
	s_or_b32 exec_lo, exec_lo, s13
.LBB350_1897:                           ;   in Loop: Header=BB350_998 Depth=1
	s_delay_alu instid0(SALU_CYCLE_1) | instskip(SKIP_2) | instid1(VALU_DEP_1)
	s_or_b32 exec_lo, exec_lo, s12
	v_lshrrev_b16 v0, 8, v0
	s_mov_b32 s12, exec_lo
	v_cmpx_ne_u16_e32 0, v0
	s_cbranch_execz .LBB350_1905
; %bb.1898:                             ;   in Loop: Header=BB350_998 Depth=1
	v_bfrev_b32_e32 v161, 1
	s_mov_b32 s13, exec_lo
	v_cmpx_ne_u16_e32 0x80, v0
	s_cbranch_execz .LBB350_1904
; %bb.1899:                             ;   in Loop: Header=BB350_998 Depth=1
	v_and_b32_e32 v162, 0xffff, v0
	v_mov_b32_e32 v161, 0x7fc02000
	s_mov_b32 s15, exec_lo
	s_delay_alu instid0(VALU_DEP_2) | instskip(NEXT) | instid1(VALU_DEP_1)
	v_and_b32_e32 v163, 0x7f, v162
	v_cmpx_ne_u32_e32 0x7f, v163
	s_cbranch_execz .LBB350_1903
; %bb.1900:                             ;   in Loop: Header=BB350_998 Depth=1
	v_and_b32_e32 v0, 7, v162
	v_lshrrev_b32_e32 v161, 3, v163
	v_mov_b32_e32 v14, v1
	s_mov_b32 s16, exec_lo
	s_delay_alu instid0(VALU_DEP_3)
	v_mov_b32_e32 v13, v0
	v_cmpx_gt_u32_e32 8, v163
; %bb.1901:                             ;   in Loop: Header=BB350_998 Depth=1
	v_clz_i32_u32_e32 v13, v0
	s_delay_alu instid0(VALU_DEP_1) | instskip(NEXT) | instid1(VALU_DEP_1)
	v_min_u32_e32 v161, 32, v13
	v_subrev_nc_u32_e32 v13, 28, v161
	v_sub_nc_u32_e32 v161, 29, v161
	s_delay_alu instid0(VALU_DEP_2) | instskip(NEXT) | instid1(VALU_DEP_1)
	v_lshlrev_b64 v[13:14], v13, v[0:1]
	v_and_b32_e32 v13, 7, v13
; %bb.1902:                             ;   in Loop: Header=BB350_998 Depth=1
	s_or_b32 exec_lo, exec_lo, s16
	v_lshlrev_b32_e32 v0, 8, v162
	v_lshl_add_u32 v14, v161, 10, 0x2000
	s_delay_alu instid0(VALU_DEP_1) | instskip(NEXT) | instid1(VALU_DEP_1)
	v_and_or_b32 v0, 0x8000, v0, v14
	v_lshl_or_b32 v0, v13, 7, v0
	s_delay_alu instid0(VALU_DEP_1)
	v_cvt_f32_f16_e64 v161, v0
.LBB350_1903:                           ;   in Loop: Header=BB350_998 Depth=1
	s_or_b32 exec_lo, exec_lo, s15
.LBB350_1904:                           ;   in Loop: Header=BB350_998 Depth=1
	s_delay_alu instid0(SALU_CYCLE_1)
	s_or_b32 exec_lo, exec_lo, s13
.LBB350_1905:                           ;   in Loop: Header=BB350_998 Depth=1
	s_delay_alu instid0(SALU_CYCLE_1) | instskip(SKIP_3) | instid1(VALU_DEP_2)
	s_or_b32 exec_lo, exec_lo, s12
	v_lshrrev_b32_e32 v163, 16, v12
	v_mov_b32_e32 v162, 0
	s_mov_b32 s12, exec_lo
	v_dual_mov_b32 v13, 0 :: v_dual_and_b32 v0, 0xff, v163
	s_delay_alu instid0(VALU_DEP_1)
	v_cmpx_ne_u16_e32 0, v0
	s_cbranch_execz .LBB350_1913
; %bb.1906:                             ;   in Loop: Header=BB350_998 Depth=1
	v_bfrev_b32_e32 v13, 1
	s_mov_b32 s13, exec_lo
	v_cmpx_ne_u16_e32 0x80, v0
	s_cbranch_execz .LBB350_1912
; %bb.1907:                             ;   in Loop: Header=BB350_998 Depth=1
	v_bfe_u32 v165, v12, 16, 7
	v_mov_b32_e32 v13, 0x7fc02000
	s_mov_b32 s15, exec_lo
	s_delay_alu instid0(VALU_DEP_2)
	v_cmpx_ne_u32_e32 0x7f, v165
	s_cbranch_execz .LBB350_1911
; %bb.1908:                             ;   in Loop: Header=BB350_998 Depth=1
	v_and_b32_e32 v0, 7, v163
	v_lshrrev_b32_e32 v164, 3, v165
	v_mov_b32_e32 v14, v1
	s_mov_b32 s16, exec_lo
	s_delay_alu instid0(VALU_DEP_3)
	v_mov_b32_e32 v13, v0
	v_cmpx_gt_u32_e32 8, v165
; %bb.1909:                             ;   in Loop: Header=BB350_998 Depth=1
	v_clz_i32_u32_e32 v13, v0
	s_delay_alu instid0(VALU_DEP_1) | instskip(NEXT) | instid1(VALU_DEP_1)
	v_min_u32_e32 v164, 32, v13
	v_subrev_nc_u32_e32 v13, 28, v164
	v_sub_nc_u32_e32 v164, 29, v164
	s_delay_alu instid0(VALU_DEP_2) | instskip(NEXT) | instid1(VALU_DEP_1)
	v_lshlrev_b64 v[13:14], v13, v[0:1]
	v_and_b32_e32 v13, 7, v13
; %bb.1910:                             ;   in Loop: Header=BB350_998 Depth=1
	s_or_b32 exec_lo, exec_lo, s16
	v_lshlrev_b32_e32 v0, 8, v163
	v_lshl_add_u32 v14, v164, 10, 0x2000
	s_delay_alu instid0(VALU_DEP_1) | instskip(NEXT) | instid1(VALU_DEP_1)
	v_and_or_b32 v0, 0x8000, v0, v14
	v_lshl_or_b32 v0, v13, 7, v0
	s_delay_alu instid0(VALU_DEP_1)
	v_cvt_f32_f16_e32 v13, v0
.LBB350_1911:                           ;   in Loop: Header=BB350_998 Depth=1
	s_or_b32 exec_lo, exec_lo, s15
.LBB350_1912:                           ;   in Loop: Header=BB350_998 Depth=1
	s_delay_alu instid0(SALU_CYCLE_1)
	s_or_b32 exec_lo, exec_lo, s13
.LBB350_1913:                           ;   in Loop: Header=BB350_998 Depth=1
	s_delay_alu instid0(SALU_CYCLE_1) | instskip(NEXT) | instid1(SALU_CYCLE_1)
	s_or_b32 exec_lo, exec_lo, s12
	s_mov_b32 s12, exec_lo
	v_cmpx_lt_u64_e64 s[8:9], v[11:12]
	s_cbranch_execz .LBB350_1921
; %bb.1914:                             ;   in Loop: Header=BB350_998 Depth=1
	v_lshrrev_b32_e32 v14, 24, v12
	v_bfrev_b32_e32 v162, 1
	s_mov_b32 s13, exec_lo
	s_delay_alu instid0(VALU_DEP_2)
	v_cmpx_ne_u32_e32 0x80, v14
	s_cbranch_execz .LBB350_1920
; %bb.1915:                             ;   in Loop: Header=BB350_998 Depth=1
	v_and_b32_e32 v163, 0x7f, v14
	v_mov_b32_e32 v162, 0x7fc02000
	s_mov_b32 s15, exec_lo
	s_delay_alu instid0(VALU_DEP_2)
	v_cmpx_ne_u32_e32 0x7f, v163
	s_cbranch_execz .LBB350_1919
; %bb.1916:                             ;   in Loop: Header=BB350_998 Depth=1
	v_and_b32_e32 v0, 7, v14
	v_lshrrev_b32_e32 v162, 3, v163
	v_mov_b32_e32 v12, v1
	s_mov_b32 s16, exec_lo
	s_delay_alu instid0(VALU_DEP_3)
	v_mov_b32_e32 v11, v0
	v_cmpx_gt_u32_e32 8, v163
; %bb.1917:                             ;   in Loop: Header=BB350_998 Depth=1
	v_clz_i32_u32_e32 v11, v0
	s_delay_alu instid0(VALU_DEP_1) | instskip(NEXT) | instid1(VALU_DEP_1)
	v_min_u32_e32 v162, 32, v11
	v_subrev_nc_u32_e32 v11, 28, v162
	v_sub_nc_u32_e32 v162, 29, v162
	s_delay_alu instid0(VALU_DEP_2) | instskip(NEXT) | instid1(VALU_DEP_1)
	v_lshlrev_b64 v[11:12], v11, v[0:1]
	v_and_b32_e32 v11, 7, v11
; %bb.1918:                             ;   in Loop: Header=BB350_998 Depth=1
	s_or_b32 exec_lo, exec_lo, s16
	v_lshlrev_b32_e32 v0, 8, v14
	v_lshl_add_u32 v12, v162, 10, 0x2000
	s_delay_alu instid0(VALU_DEP_1) | instskip(NEXT) | instid1(VALU_DEP_1)
	v_and_or_b32 v0, 0x8000, v0, v12
	v_lshl_or_b32 v0, v11, 7, v0
	s_delay_alu instid0(VALU_DEP_1)
	v_cvt_f32_f16_e64 v162, v0
.LBB350_1919:                           ;   in Loop: Header=BB350_998 Depth=1
	s_or_b32 exec_lo, exec_lo, s15
.LBB350_1920:                           ;   in Loop: Header=BB350_998 Depth=1
	s_delay_alu instid0(SALU_CYCLE_1)
	s_or_b32 exec_lo, exec_lo, s13
.LBB350_1921:                           ;   in Loop: Header=BB350_998 Depth=1
	s_delay_alu instid0(SALU_CYCLE_1)
	s_or_b32 exec_lo, exec_lo, s12
	s_waitcnt vmcnt(0) lgkmcnt(0)
	v_fma_mixlo_f16 v12, v147, v149, 0
	v_fma_mixlo_f16 v0, v147, v151, 0
	;; [unrolled: 1-line block ×5, first 2 shown]
	v_lshlrev_b32_e32 v14, 16, v12
	v_fma_mixlo_f16 v150, v147, v160, 0
	v_fma_mixlo_f16 v151, v147, v162, 0
	;; [unrolled: 1-line block ×3, first 2 shown]
	v_lshlrev_b32_e32 v0, 16, v0
	v_and_b32_e32 v11, 0xffff, v11
	v_and_b32_e32 v147, 0xffff, v148
	v_lshlrev_b32_e32 v148, 16, v149
	v_and_b32_e32 v149, 0xffff, v150
	v_lshlrev_b32_e32 v150, 16, v151
	v_and_b32_e32 v151, 0xffff, v12
	v_or_b32_e32 v13, v0, v11
	v_or_b32_e32 v14, v14, v147
	;; [unrolled: 1-line block ×3, first 2 shown]
	s_delay_alu instid0(VALU_DEP_4)
	v_or_b32_e32 v11, v150, v151
	s_and_saveexec_b32 s12, vcc_lo
	s_cbranch_execz .LBB350_1923
; %bb.1922:                             ;   in Loop: Header=BB350_998 Depth=1
	v_cmp_lt_i32_e64 s0, v19, v38
	v_lshrrev_b32_e32 v147, 16, v14
	v_lshrrev_b32_e32 v148, 16, v13
	v_lshrrev_b32_e32 v149, 16, v0
	v_lshrrev_b32_e32 v11, 16, v11
	v_cndmask_b32_e64 v14, 0, v14, s0
	v_cmp_lt_i32_e64 s0, v98, v55
	s_delay_alu instid0(VALU_DEP_1) | instskip(SKIP_1) | instid1(VALU_DEP_2)
	v_cndmask_b32_e64 v147, 0, v147, s0
	v_cmp_lt_i32_e64 s0, v97, v55
	v_perm_b32 v14, v147, v14, 0x5040100
	s_delay_alu instid0(VALU_DEP_2) | instskip(SKIP_1) | instid1(VALU_DEP_1)
	v_cndmask_b32_e64 v148, 0, v148, s0
	v_cmp_lt_i32_e64 s0, v86, v38
	v_cndmask_b32_e64 v13, 0, v13, s0
	v_cmp_lt_i32_e64 s0, v81, v55
	s_delay_alu instid0(VALU_DEP_2) | instskip(NEXT) | instid1(VALU_DEP_2)
	v_perm_b32 v13, v148, v13, 0x5040100
	v_cndmask_b32_e64 v149, 0, v149, s0
	v_cmp_lt_i32_e64 s0, v80, v38
	s_delay_alu instid0(VALU_DEP_1) | instskip(SKIP_1) | instid1(VALU_DEP_2)
	v_cndmask_b32_e64 v0, 0, v0, s0
	v_cmp_lt_i32_e64 s0, v71, v55
	v_perm_b32 v0, v149, v0, 0x5040100
	s_delay_alu instid0(VALU_DEP_2) | instskip(SKIP_1) | instid1(VALU_DEP_1)
	v_cndmask_b32_e64 v11, 0, v11, s0
	v_cmp_lt_i32_e64 s0, v64, v38
	v_cndmask_b32_e64 v12, 0, v12, s0
	s_delay_alu instid0(VALU_DEP_1)
	v_perm_b32 v11, v11, v12, 0x5040100
.LBB350_1923:                           ;   in Loop: Header=BB350_998 Depth=1
	s_or_b32 exec_lo, exec_lo, s12
	;;#ASMSTART
	v_pk_mul_f16 v12, v96, v14;

	;;#ASMEND
	;;#ASMSTART
	v_pk_mul_f16 v13, v87, v13;

	;;#ASMEND
	;; [unrolled: 4-line block ×4, first 2 shown]
	;;#ASMSTART
	v_pk_add_f16 v12, v12, v13;

	;;#ASMEND
	;;#ASMSTART
	v_pk_add_f16 v0, v12, v0;

	;;#ASMEND
	;; [unrolled: 4-line block ×3, first 2 shown]
	v_dual_mov_b32 v148, 0 :: v_dual_and_b32 v11, 0xffff, v0
	v_lshrrev_b32_e32 v0, 16, v0
	;;#ASMSTART
	v_cvt_f32_f16 v13, v11;
	;;#ASMEND
	;;#ASMSTART
	v_cvt_f32_f16 v14, v0;
	;;#ASMEND
	flat_load_b64 v[9:10], v[9:10] offset:3584
	flat_load_b32 v147, v[26:27]
	s_mov_b32 s12, exec_lo
	s_waitcnt vmcnt(1) lgkmcnt(1)
	v_dual_mov_b32 v149, 0 :: v_dual_and_b32 v0, 0xff, v9
	s_delay_alu instid0(VALU_DEP_1)
	v_cmpx_ne_u16_e32 0, v0
	s_cbranch_execz .LBB350_1931
; %bb.1924:                             ;   in Loop: Header=BB350_998 Depth=1
	v_bfrev_b32_e32 v148, 1
	s_mov_b32 s13, exec_lo
	v_cmpx_ne_u16_e32 0x80, v0
	s_cbranch_execz .LBB350_1930
; %bb.1925:                             ;   in Loop: Header=BB350_998 Depth=1
	v_and_b32_e32 v11, 0x7f, v9
	v_mov_b32_e32 v148, 0x7fc02000
	s_mov_b32 s15, exec_lo
	s_delay_alu instid0(VALU_DEP_2)
	v_cmpx_ne_u32_e32 0x7f, v11
	s_cbranch_execz .LBB350_1929
; %bb.1926:                             ;   in Loop: Header=BB350_998 Depth=1
	v_lshrrev_b32_e32 v0, 3, v11
	v_cmp_gt_u32_e64 s0, 8, v11
	v_dual_mov_b32 v12, v10 :: v_dual_mov_b32 v11, v9
	s_delay_alu instid0(VALU_DEP_2)
	s_and_saveexec_b32 s16, s0
; %bb.1927:                             ;   in Loop: Header=BB350_998 Depth=1
	v_and_b32_e32 v0, 7, v9
	s_delay_alu instid0(VALU_DEP_1) | instskip(NEXT) | instid1(VALU_DEP_1)
	v_clz_i32_u32_e32 v0, v0
	v_min_u32_e32 v0, 32, v0
	s_delay_alu instid0(VALU_DEP_1) | instskip(SKIP_1) | instid1(VALU_DEP_2)
	v_subrev_nc_u32_e32 v11, 28, v0
	v_sub_nc_u32_e32 v0, 29, v0
	v_lshlrev_b64 v[11:12], v11, v[9:10]
; %bb.1928:                             ;   in Loop: Header=BB350_998 Depth=1
	s_or_b32 exec_lo, exec_lo, s16
	v_lshlrev_b32_e32 v12, 8, v9
	s_delay_alu instid0(VALU_DEP_3) | instskip(NEXT) | instid1(VALU_DEP_3)
	v_lshl_add_u32 v0, v0, 10, 0x2000
	v_lshlrev_b32_e32 v11, 7, v11
	s_delay_alu instid0(VALU_DEP_2) | instskip(NEXT) | instid1(VALU_DEP_1)
	v_and_or_b32 v0, 0x8000, v12, v0
	v_and_or_b32 v0, 0x380, v11, v0
	s_delay_alu instid0(VALU_DEP_1)
	v_cvt_f32_f16_e64 v148, v0
.LBB350_1929:                           ;   in Loop: Header=BB350_998 Depth=1
	s_or_b32 exec_lo, exec_lo, s15
.LBB350_1930:                           ;   in Loop: Header=BB350_998 Depth=1
	s_delay_alu instid0(SALU_CYCLE_1)
	s_or_b32 exec_lo, exec_lo, s13
.LBB350_1931:                           ;   in Loop: Header=BB350_998 Depth=1
	s_delay_alu instid0(SALU_CYCLE_1) | instskip(SKIP_2) | instid1(VALU_DEP_1)
	s_or_b32 exec_lo, exec_lo, s12
	v_lshrrev_b16 v0, 8, v9
	s_mov_b32 s12, exec_lo
	v_cmpx_ne_u16_e32 0, v0
	s_cbranch_execz .LBB350_1939
; %bb.1932:                             ;   in Loop: Header=BB350_998 Depth=1
	v_bfrev_b32_e32 v149, 1
	s_mov_b32 s13, exec_lo
	v_cmpx_ne_u16_e32 0x80, v0
	s_cbranch_execz .LBB350_1938
; %bb.1933:                             ;   in Loop: Header=BB350_998 Depth=1
	v_and_b32_e32 v150, 0xffff, v0
	v_mov_b32_e32 v149, 0x7fc02000
	s_mov_b32 s15, exec_lo
	s_delay_alu instid0(VALU_DEP_2) | instskip(NEXT) | instid1(VALU_DEP_1)
	v_and_b32_e32 v151, 0x7f, v150
	v_cmpx_ne_u32_e32 0x7f, v151
	s_cbranch_execz .LBB350_1937
; %bb.1934:                             ;   in Loop: Header=BB350_998 Depth=1
	v_and_b32_e32 v0, 7, v150
	v_lshrrev_b32_e32 v149, 3, v151
	v_mov_b32_e32 v12, v1
	s_mov_b32 s16, exec_lo
	s_delay_alu instid0(VALU_DEP_3)
	v_mov_b32_e32 v11, v0
	v_cmpx_gt_u32_e32 8, v151
; %bb.1935:                             ;   in Loop: Header=BB350_998 Depth=1
	v_clz_i32_u32_e32 v11, v0
	s_delay_alu instid0(VALU_DEP_1) | instskip(NEXT) | instid1(VALU_DEP_1)
	v_min_u32_e32 v149, 32, v11
	v_subrev_nc_u32_e32 v11, 28, v149
	v_sub_nc_u32_e32 v149, 29, v149
	s_delay_alu instid0(VALU_DEP_2) | instskip(NEXT) | instid1(VALU_DEP_1)
	v_lshlrev_b64 v[11:12], v11, v[0:1]
	v_and_b32_e32 v11, 7, v11
; %bb.1936:                             ;   in Loop: Header=BB350_998 Depth=1
	s_or_b32 exec_lo, exec_lo, s16
	v_lshlrev_b32_e32 v0, 8, v150
	v_lshl_add_u32 v12, v149, 10, 0x2000
	s_delay_alu instid0(VALU_DEP_1) | instskip(NEXT) | instid1(VALU_DEP_1)
	v_and_or_b32 v0, 0x8000, v0, v12
	v_lshl_or_b32 v0, v11, 7, v0
	s_delay_alu instid0(VALU_DEP_1)
	v_cvt_f32_f16_e64 v149, v0
.LBB350_1937:                           ;   in Loop: Header=BB350_998 Depth=1
	s_or_b32 exec_lo, exec_lo, s15
.LBB350_1938:                           ;   in Loop: Header=BB350_998 Depth=1
	s_delay_alu instid0(SALU_CYCLE_1)
	s_or_b32 exec_lo, exec_lo, s13
.LBB350_1939:                           ;   in Loop: Header=BB350_998 Depth=1
	s_delay_alu instid0(SALU_CYCLE_1) | instskip(SKIP_3) | instid1(VALU_DEP_2)
	s_or_b32 exec_lo, exec_lo, s12
	v_lshrrev_b32_e32 v160, 16, v9
	v_mov_b32_e32 v150, 0
	s_mov_b32 s12, exec_lo
	v_dual_mov_b32 v151, 0 :: v_dual_and_b32 v0, 0xff, v160
	s_delay_alu instid0(VALU_DEP_1)
	v_cmpx_ne_u16_e32 0, v0
	s_cbranch_execz .LBB350_1947
; %bb.1940:                             ;   in Loop: Header=BB350_998 Depth=1
	v_bfrev_b32_e32 v150, 1
	s_mov_b32 s13, exec_lo
	v_cmpx_ne_u16_e32 0x80, v0
	s_cbranch_execz .LBB350_1946
; %bb.1941:                             ;   in Loop: Header=BB350_998 Depth=1
	v_bfe_u32 v161, v9, 16, 7
	v_mov_b32_e32 v150, 0x7fc02000
	s_mov_b32 s15, exec_lo
	s_delay_alu instid0(VALU_DEP_2)
	v_cmpx_ne_u32_e32 0x7f, v161
	s_cbranch_execz .LBB350_1945
; %bb.1942:                             ;   in Loop: Header=BB350_998 Depth=1
	v_and_b32_e32 v0, 7, v160
	v_lshrrev_b32_e32 v150, 3, v161
	v_mov_b32_e32 v12, v1
	s_mov_b32 s16, exec_lo
	s_delay_alu instid0(VALU_DEP_3)
	v_mov_b32_e32 v11, v0
	v_cmpx_gt_u32_e32 8, v161
; %bb.1943:                             ;   in Loop: Header=BB350_998 Depth=1
	v_clz_i32_u32_e32 v11, v0
	s_delay_alu instid0(VALU_DEP_1) | instskip(NEXT) | instid1(VALU_DEP_1)
	v_min_u32_e32 v150, 32, v11
	v_subrev_nc_u32_e32 v11, 28, v150
	v_sub_nc_u32_e32 v150, 29, v150
	s_delay_alu instid0(VALU_DEP_2) | instskip(NEXT) | instid1(VALU_DEP_1)
	v_lshlrev_b64 v[11:12], v11, v[0:1]
	v_and_b32_e32 v11, 7, v11
; %bb.1944:                             ;   in Loop: Header=BB350_998 Depth=1
	s_or_b32 exec_lo, exec_lo, s16
	v_lshlrev_b32_e32 v0, 8, v160
	v_lshl_add_u32 v12, v150, 10, 0x2000
	s_delay_alu instid0(VALU_DEP_1) | instskip(NEXT) | instid1(VALU_DEP_1)
	v_and_or_b32 v0, 0x8000, v0, v12
	v_lshl_or_b32 v0, v11, 7, v0
	s_delay_alu instid0(VALU_DEP_1)
	v_cvt_f32_f16_e64 v150, v0
.LBB350_1945:                           ;   in Loop: Header=BB350_998 Depth=1
	s_or_b32 exec_lo, exec_lo, s15
.LBB350_1946:                           ;   in Loop: Header=BB350_998 Depth=1
	s_delay_alu instid0(SALU_CYCLE_1)
	s_or_b32 exec_lo, exec_lo, s13
.LBB350_1947:                           ;   in Loop: Header=BB350_998 Depth=1
	s_delay_alu instid0(SALU_CYCLE_1) | instskip(NEXT) | instid1(SALU_CYCLE_1)
	s_or_b32 exec_lo, exec_lo, s12
	s_mov_b32 s12, exec_lo
	v_cmpx_lt_u32_e32 0xffffff, v9
	s_cbranch_execz .LBB350_1955
; %bb.1948:                             ;   in Loop: Header=BB350_998 Depth=1
	v_lshrrev_b32_e32 v160, 24, v9
	v_bfrev_b32_e32 v151, 1
	s_mov_b32 s13, exec_lo
	s_delay_alu instid0(VALU_DEP_2)
	v_cmpx_ne_u32_e32 0x80, v160
	s_cbranch_execz .LBB350_1954
; %bb.1949:                             ;   in Loop: Header=BB350_998 Depth=1
	v_and_b32_e32 v161, 0x7f, v160
	v_mov_b32_e32 v151, 0x7fc02000
	s_mov_b32 s15, exec_lo
	s_delay_alu instid0(VALU_DEP_2)
	v_cmpx_ne_u32_e32 0x7f, v161
	s_cbranch_execz .LBB350_1953
; %bb.1950:                             ;   in Loop: Header=BB350_998 Depth=1
	v_and_b32_e32 v0, 7, v160
	v_lshrrev_b32_e32 v151, 3, v161
	v_mov_b32_e32 v12, v1
	s_mov_b32 s16, exec_lo
	s_delay_alu instid0(VALU_DEP_3)
	v_mov_b32_e32 v11, v0
	v_cmpx_gt_u32_e32 8, v161
; %bb.1951:                             ;   in Loop: Header=BB350_998 Depth=1
	v_clz_i32_u32_e32 v11, v0
	s_delay_alu instid0(VALU_DEP_1) | instskip(NEXT) | instid1(VALU_DEP_1)
	v_min_u32_e32 v151, 32, v11
	v_subrev_nc_u32_e32 v11, 28, v151
	v_sub_nc_u32_e32 v151, 29, v151
	s_delay_alu instid0(VALU_DEP_2) | instskip(NEXT) | instid1(VALU_DEP_1)
	v_lshlrev_b64 v[11:12], v11, v[0:1]
	v_and_b32_e32 v11, 7, v11
; %bb.1952:                             ;   in Loop: Header=BB350_998 Depth=1
	s_or_b32 exec_lo, exec_lo, s16
	v_lshlrev_b32_e32 v0, 8, v160
	v_lshl_add_u32 v12, v151, 10, 0x2000
	s_delay_alu instid0(VALU_DEP_1) | instskip(NEXT) | instid1(VALU_DEP_1)
	v_and_or_b32 v0, 0x8000, v0, v12
	v_lshl_or_b32 v0, v11, 7, v0
	s_delay_alu instid0(VALU_DEP_1)
	v_cvt_f32_f16_e64 v151, v0
.LBB350_1953:                           ;   in Loop: Header=BB350_998 Depth=1
	s_or_b32 exec_lo, exec_lo, s15
.LBB350_1954:                           ;   in Loop: Header=BB350_998 Depth=1
	s_delay_alu instid0(SALU_CYCLE_1)
	s_or_b32 exec_lo, exec_lo, s13
.LBB350_1955:                           ;   in Loop: Header=BB350_998 Depth=1
	s_delay_alu instid0(SALU_CYCLE_1) | instskip(SKIP_3) | instid1(VALU_DEP_2)
	s_or_b32 exec_lo, exec_lo, s12
	v_dual_mov_b32 v0, v10 :: v_dual_and_b32 v11, 0xff, v10
	v_dual_mov_b32 v161, 0 :: v_dual_mov_b32 v160, 0
	s_mov_b32 s12, exec_lo
	v_cmpx_ne_u16_e32 0, v11
	s_cbranch_execz .LBB350_1963
; %bb.1956:                             ;   in Loop: Header=BB350_998 Depth=1
	v_bfrev_b32_e32 v160, 1
	s_mov_b32 s13, exec_lo
	v_cmpx_ne_u16_e32 0x80, v11
	s_cbranch_execz .LBB350_1962
; %bb.1957:                             ;   in Loop: Header=BB350_998 Depth=1
	v_and_b32_e32 v162, 0x7f, v10
	v_mov_b32_e32 v160, 0x7fc02000
	s_mov_b32 s15, exec_lo
	s_delay_alu instid0(VALU_DEP_2)
	v_cmpx_ne_u32_e32 0x7f, v162
	s_cbranch_execz .LBB350_1961
; %bb.1958:                             ;   in Loop: Header=BB350_998 Depth=1
	v_dual_mov_b32 v12, v1 :: v_dual_mov_b32 v11, v0
	v_lshrrev_b32_e32 v12, 3, v162
	s_mov_b32 s16, exec_lo
	v_cmpx_gt_u32_e32 8, v162
; %bb.1959:                             ;   in Loop: Header=BB350_998 Depth=1
	v_and_b32_e32 v11, 7, v10
	s_delay_alu instid0(VALU_DEP_1) | instskip(NEXT) | instid1(VALU_DEP_1)
	v_clz_i32_u32_e32 v11, v11
	v_min_u32_e32 v160, 32, v11
	s_delay_alu instid0(VALU_DEP_1) | instskip(NEXT) | instid1(VALU_DEP_1)
	v_subrev_nc_u32_e32 v11, 28, v160
	v_lshlrev_b64 v[11:12], v11, v[0:1]
	v_sub_nc_u32_e32 v12, 29, v160
; %bb.1960:                             ;   in Loop: Header=BB350_998 Depth=1
	s_or_b32 exec_lo, exec_lo, s16
	v_lshlrev_b32_e32 v160, 8, v10
	s_delay_alu instid0(VALU_DEP_2) | instskip(NEXT) | instid1(VALU_DEP_4)
	v_lshl_add_u32 v12, v12, 10, 0x2000
	v_lshlrev_b32_e32 v11, 7, v11
	s_delay_alu instid0(VALU_DEP_2) | instskip(NEXT) | instid1(VALU_DEP_1)
	v_and_or_b32 v12, 0x8000, v160, v12
	v_and_or_b32 v11, 0x380, v11, v12
	s_delay_alu instid0(VALU_DEP_1)
	v_cvt_f32_f16_e64 v160, v11
.LBB350_1961:                           ;   in Loop: Header=BB350_998 Depth=1
	s_or_b32 exec_lo, exec_lo, s15
.LBB350_1962:                           ;   in Loop: Header=BB350_998 Depth=1
	s_delay_alu instid0(SALU_CYCLE_1)
	s_or_b32 exec_lo, exec_lo, s13
.LBB350_1963:                           ;   in Loop: Header=BB350_998 Depth=1
	s_delay_alu instid0(SALU_CYCLE_1) | instskip(SKIP_2) | instid1(VALU_DEP_1)
	s_or_b32 exec_lo, exec_lo, s12
	v_lshrrev_b16 v0, 8, v0
	s_mov_b32 s12, exec_lo
	v_cmpx_ne_u16_e32 0, v0
	s_cbranch_execz .LBB350_1971
; %bb.1964:                             ;   in Loop: Header=BB350_998 Depth=1
	v_bfrev_b32_e32 v161, 1
	s_mov_b32 s13, exec_lo
	v_cmpx_ne_u16_e32 0x80, v0
	s_cbranch_execz .LBB350_1970
; %bb.1965:                             ;   in Loop: Header=BB350_998 Depth=1
	v_and_b32_e32 v162, 0xffff, v0
	v_mov_b32_e32 v161, 0x7fc02000
	s_mov_b32 s15, exec_lo
	s_delay_alu instid0(VALU_DEP_2) | instskip(NEXT) | instid1(VALU_DEP_1)
	v_and_b32_e32 v163, 0x7f, v162
	v_cmpx_ne_u32_e32 0x7f, v163
	s_cbranch_execz .LBB350_1969
; %bb.1966:                             ;   in Loop: Header=BB350_998 Depth=1
	v_and_b32_e32 v0, 7, v162
	v_lshrrev_b32_e32 v161, 3, v163
	v_mov_b32_e32 v12, v1
	s_mov_b32 s16, exec_lo
	s_delay_alu instid0(VALU_DEP_3)
	v_mov_b32_e32 v11, v0
	v_cmpx_gt_u32_e32 8, v163
; %bb.1967:                             ;   in Loop: Header=BB350_998 Depth=1
	v_clz_i32_u32_e32 v11, v0
	s_delay_alu instid0(VALU_DEP_1) | instskip(NEXT) | instid1(VALU_DEP_1)
	v_min_u32_e32 v161, 32, v11
	v_subrev_nc_u32_e32 v11, 28, v161
	v_sub_nc_u32_e32 v161, 29, v161
	s_delay_alu instid0(VALU_DEP_2) | instskip(NEXT) | instid1(VALU_DEP_1)
	v_lshlrev_b64 v[11:12], v11, v[0:1]
	v_and_b32_e32 v11, 7, v11
; %bb.1968:                             ;   in Loop: Header=BB350_998 Depth=1
	s_or_b32 exec_lo, exec_lo, s16
	v_lshlrev_b32_e32 v0, 8, v162
	v_lshl_add_u32 v12, v161, 10, 0x2000
	s_delay_alu instid0(VALU_DEP_1) | instskip(NEXT) | instid1(VALU_DEP_1)
	v_and_or_b32 v0, 0x8000, v0, v12
	v_lshl_or_b32 v0, v11, 7, v0
	s_delay_alu instid0(VALU_DEP_1)
	v_cvt_f32_f16_e64 v161, v0
.LBB350_1969:                           ;   in Loop: Header=BB350_998 Depth=1
	s_or_b32 exec_lo, exec_lo, s15
.LBB350_1970:                           ;   in Loop: Header=BB350_998 Depth=1
	s_delay_alu instid0(SALU_CYCLE_1)
	s_or_b32 exec_lo, exec_lo, s13
.LBB350_1971:                           ;   in Loop: Header=BB350_998 Depth=1
	s_delay_alu instid0(SALU_CYCLE_1) | instskip(SKIP_3) | instid1(VALU_DEP_2)
	s_or_b32 exec_lo, exec_lo, s12
	v_lshrrev_b32_e32 v163, 16, v10
	v_mov_b32_e32 v162, 0
	s_mov_b32 s12, exec_lo
	v_dual_mov_b32 v11, 0 :: v_dual_and_b32 v0, 0xff, v163
	s_delay_alu instid0(VALU_DEP_1)
	v_cmpx_ne_u16_e32 0, v0
	s_cbranch_execz .LBB350_1979
; %bb.1972:                             ;   in Loop: Header=BB350_998 Depth=1
	v_bfrev_b32_e32 v11, 1
	s_mov_b32 s13, exec_lo
	v_cmpx_ne_u16_e32 0x80, v0
	s_cbranch_execz .LBB350_1978
; %bb.1973:                             ;   in Loop: Header=BB350_998 Depth=1
	v_bfe_u32 v165, v10, 16, 7
	v_mov_b32_e32 v11, 0x7fc02000
	s_mov_b32 s15, exec_lo
	s_delay_alu instid0(VALU_DEP_2)
	v_cmpx_ne_u32_e32 0x7f, v165
	s_cbranch_execz .LBB350_1977
; %bb.1974:                             ;   in Loop: Header=BB350_998 Depth=1
	v_and_b32_e32 v0, 7, v163
	v_lshrrev_b32_e32 v164, 3, v165
	v_mov_b32_e32 v12, v1
	s_mov_b32 s16, exec_lo
	s_delay_alu instid0(VALU_DEP_3)
	v_mov_b32_e32 v11, v0
	v_cmpx_gt_u32_e32 8, v165
; %bb.1975:                             ;   in Loop: Header=BB350_998 Depth=1
	v_clz_i32_u32_e32 v11, v0
	s_delay_alu instid0(VALU_DEP_1) | instskip(NEXT) | instid1(VALU_DEP_1)
	v_min_u32_e32 v164, 32, v11
	v_subrev_nc_u32_e32 v11, 28, v164
	v_sub_nc_u32_e32 v164, 29, v164
	s_delay_alu instid0(VALU_DEP_2) | instskip(NEXT) | instid1(VALU_DEP_1)
	v_lshlrev_b64 v[11:12], v11, v[0:1]
	v_and_b32_e32 v11, 7, v11
; %bb.1976:                             ;   in Loop: Header=BB350_998 Depth=1
	s_or_b32 exec_lo, exec_lo, s16
	v_lshlrev_b32_e32 v0, 8, v163
	v_lshl_add_u32 v12, v164, 10, 0x2000
	s_delay_alu instid0(VALU_DEP_1) | instskip(NEXT) | instid1(VALU_DEP_1)
	v_and_or_b32 v0, 0x8000, v0, v12
	v_lshl_or_b32 v0, v11, 7, v0
	s_delay_alu instid0(VALU_DEP_1)
	v_cvt_f32_f16_e32 v11, v0
.LBB350_1977:                           ;   in Loop: Header=BB350_998 Depth=1
	s_or_b32 exec_lo, exec_lo, s15
.LBB350_1978:                           ;   in Loop: Header=BB350_998 Depth=1
	s_delay_alu instid0(SALU_CYCLE_1)
	s_or_b32 exec_lo, exec_lo, s13
.LBB350_1979:                           ;   in Loop: Header=BB350_998 Depth=1
	s_delay_alu instid0(SALU_CYCLE_1) | instskip(NEXT) | instid1(SALU_CYCLE_1)
	s_or_b32 exec_lo, exec_lo, s12
	s_mov_b32 s12, exec_lo
	v_cmpx_lt_u64_e64 s[8:9], v[9:10]
	s_cbranch_execz .LBB350_1987
; %bb.1980:                             ;   in Loop: Header=BB350_998 Depth=1
	v_lshrrev_b32_e32 v12, 24, v10
	v_bfrev_b32_e32 v162, 1
	s_mov_b32 s13, exec_lo
	s_delay_alu instid0(VALU_DEP_2)
	v_cmpx_ne_u32_e32 0x80, v12
	s_cbranch_execz .LBB350_1986
; %bb.1981:                             ;   in Loop: Header=BB350_998 Depth=1
	v_and_b32_e32 v163, 0x7f, v12
	v_mov_b32_e32 v162, 0x7fc02000
	s_mov_b32 s15, exec_lo
	s_delay_alu instid0(VALU_DEP_2)
	v_cmpx_ne_u32_e32 0x7f, v163
	s_cbranch_execz .LBB350_1985
; %bb.1982:                             ;   in Loop: Header=BB350_998 Depth=1
	v_and_b32_e32 v0, 7, v12
	v_lshrrev_b32_e32 v162, 3, v163
	v_mov_b32_e32 v10, v1
	s_mov_b32 s16, exec_lo
	s_delay_alu instid0(VALU_DEP_3)
	v_mov_b32_e32 v9, v0
	v_cmpx_gt_u32_e32 8, v163
; %bb.1983:                             ;   in Loop: Header=BB350_998 Depth=1
	v_clz_i32_u32_e32 v9, v0
	s_delay_alu instid0(VALU_DEP_1) | instskip(NEXT) | instid1(VALU_DEP_1)
	v_min_u32_e32 v162, 32, v9
	v_subrev_nc_u32_e32 v9, 28, v162
	v_sub_nc_u32_e32 v162, 29, v162
	s_delay_alu instid0(VALU_DEP_2) | instskip(NEXT) | instid1(VALU_DEP_1)
	v_lshlrev_b64 v[9:10], v9, v[0:1]
	v_and_b32_e32 v9, 7, v9
; %bb.1984:                             ;   in Loop: Header=BB350_998 Depth=1
	s_or_b32 exec_lo, exec_lo, s16
	v_lshlrev_b32_e32 v0, 8, v12
	v_lshl_add_u32 v10, v162, 10, 0x2000
	s_delay_alu instid0(VALU_DEP_1) | instskip(NEXT) | instid1(VALU_DEP_1)
	v_and_or_b32 v0, 0x8000, v0, v10
	v_lshl_or_b32 v0, v9, 7, v0
	s_delay_alu instid0(VALU_DEP_1)
	v_cvt_f32_f16_e64 v162, v0
.LBB350_1985:                           ;   in Loop: Header=BB350_998 Depth=1
	s_or_b32 exec_lo, exec_lo, s15
.LBB350_1986:                           ;   in Loop: Header=BB350_998 Depth=1
	s_delay_alu instid0(SALU_CYCLE_1)
	s_or_b32 exec_lo, exec_lo, s13
.LBB350_1987:                           ;   in Loop: Header=BB350_998 Depth=1
	s_delay_alu instid0(SALU_CYCLE_1)
	s_or_b32 exec_lo, exec_lo, s12
	s_waitcnt vmcnt(0) lgkmcnt(0)
	v_fma_mixlo_f16 v10, v147, v149, 0
	v_fma_mixlo_f16 v0, v147, v151, 0
	v_fma_mixlo_f16 v9, v147, v150, 0
	v_fma_mixlo_f16 v150, v147, v160, 0
	v_fma_mixlo_f16 v151, v147, v162, 0
	v_lshlrev_b32_e32 v149, 16, v10
	v_fma_mixlo_f16 v10, v147, v148, 0
	v_fma_mixlo_f16 v148, v147, v161, 0
	;; [unrolled: 1-line block ×3, first 2 shown]
	v_lshlrev_b32_e32 v0, 16, v0
	v_and_b32_e32 v9, 0xffff, v9
	v_and_b32_e32 v11, 0xffff, v10
	v_lshlrev_b32_e32 v147, 16, v148
	v_and_b32_e32 v148, 0xffff, v150
	v_lshlrev_b32_e32 v150, 16, v151
	v_and_b32_e32 v151, 0xffff, v12
	v_or_b32_e32 v10, v0, v9
	v_or_b32_e32 v11, v149, v11
	;; [unrolled: 1-line block ×3, first 2 shown]
	s_delay_alu instid0(VALU_DEP_4)
	v_or_b32_e32 v9, v150, v151
	s_and_saveexec_b32 s0, vcc_lo
	s_cbranch_execz .LBB350_996
; %bb.1988:                             ;   in Loop: Header=BB350_998 Depth=1
	v_cmp_lt_i32_e32 vcc_lo, v19, v38
	v_lshrrev_b32_e32 v147, 16, v11
	v_lshrrev_b32_e32 v148, 16, v10
	;; [unrolled: 1-line block ×3, first 2 shown]
	v_cndmask_b32_e32 v11, 0, v11, vcc_lo
	v_cmp_lt_i32_e32 vcc_lo, v98, v55
	v_lshrrev_b32_e32 v98, 16, v0
	v_cndmask_b32_e32 v19, 0, v147, vcc_lo
	v_cmp_lt_i32_e32 vcc_lo, v97, v55
	v_cndmask_b32_e32 v97, 0, v148, vcc_lo
	v_cmp_lt_i32_e32 vcc_lo, v86, v38
	;; [unrolled: 2-line block ×3, first 2 shown]
	s_delay_alu instid0(VALU_DEP_2)
	v_perm_b32 v10, v97, v10, 0x5040100
	v_cndmask_b32_e32 v81, 0, v98, vcc_lo
	v_cmp_lt_i32_e32 vcc_lo, v80, v38
	v_cndmask_b32_e32 v0, 0, v0, vcc_lo
	v_cmp_lt_i32_e32 vcc_lo, v71, v55
	v_perm_b32 v11, v19, v11, 0x5040100
	v_cndmask_b32_e32 v9, 0, v9, vcc_lo
	v_cmp_lt_i32_e32 vcc_lo, v64, v38
	v_cndmask_b32_e32 v12, 0, v12, vcc_lo
	v_perm_b32 v0, v81, v0, 0x5040100
	s_delay_alu instid0(VALU_DEP_2)
	v_perm_b32 v9, v9, v12, 0x5040100
	s_branch .LBB350_996
.LBB350_1989:
	s_or_b32 exec_lo, exec_lo, s5
.LBB350_1990:
	s_delay_alu instid0(SALU_CYCLE_1)
	s_or_b32 exec_lo, exec_lo, s3
	ds_bpermute_b32 v0, v21, v69
	ds_bpermute_b32 v1, v21, v70
	;; [unrolled: 1-line block ×15, first 2 shown]
	s_waitcnt lgkmcnt(0)
	s_waitcnt_vscnt null, 0x0
	s_barrier
	buffer_gl0_inv
	s_load_b32 s0, s[6:7], 0x0
	v_dual_add_f32 v0, v69, v0 :: v_dual_add_f32 v1, v70, v1
	v_dual_add_f32 v2, v68, v2 :: v_dual_add_f32 v3, v67, v3
	;; [unrolled: 1-line block ×3, first 2 shown]
	ds_bpermute_b32 v17, v20, v0
	ds_bpermute_b32 v18, v20, v1
	;; [unrolled: 1-line block ×3, first 2 shown]
	v_dual_add_f32 v8, v36, v8 :: v_dual_add_f32 v9, v35, v9
	v_dual_add_f32 v23, v34, v10 :: v_dual_add_f32 v26, v33, v11
	;; [unrolled: 1-line block ×4, first 2 shown]
	v_add_f32_e32 v25, v25, v16
	ds_bpermute_b32 v21, v20, v3
	ds_bpermute_b32 v22, v20, v6
	;; [unrolled: 1-line block ×8, first 2 shown]
	s_waitcnt lgkmcnt(0)
	v_add_f32_e32 v16, v0, v17
	ds_bpermute_b32 v36, v20, v31
	ds_bpermute_b32 v38, v20, v29
	;; [unrolled: 1-line block ×4, first 2 shown]
	v_dual_add_f32 v15, v1, v18 :: v_dual_add_f32 v14, v2, v19
	v_and_b32_e32 v19, 0x3c3, v37
	v_lshrrev_b32_e32 v17, 2, v48
	v_mad_u32_u24 v18, 0x1e0, v39, s0
	v_dual_add_f32 v13, v3, v21 :: v_dual_add_f32 v12, v6, v22
	v_dual_add_f32 v11, v7, v10 :: v_dual_add_f32 v10, v8, v27
	v_dual_add_f32 v9, v9, v30 :: v_dual_add_f32 v8, v23, v33
	v_dual_add_f32 v7, v26, v34 :: v_dual_add_f32 v6, v32, v35
	s_waitcnt lgkmcnt(3)
	v_add_f32_e32 v3, v31, v36
	s_waitcnt lgkmcnt(1)
	v_dual_add_f32 v1, v29, v38 :: v_dual_add_f32 v2, v28, v49
	s_waitcnt lgkmcnt(0)
	v_add_f32_e32 v0, v25, v20
	v_cmp_eq_u32_e32 vcc_lo, 64, v19
	v_lshlrev_b32_e32 v19, 2, v17
	s_and_saveexec_b32 s0, vcc_lo
	s_cbranch_execz .LBB350_1992
; %bb.1991:
	s_delay_alu instid0(VALU_DEP_1)
	v_add3_u32 v20, v18, v19, 0xfffffc40
	ds_store_2addr_b32 v20, v16, v15 offset1:8
	ds_store_2addr_b32 v20, v14, v13 offset0:16 offset1:24
	ds_store_2addr_b32 v20, v12, v11 offset0:32 offset1:40
	;; [unrolled: 1-line block ×6, first 2 shown]
	ds_store_b32 v20, v0 offset:448
.LBB350_1992:
	s_or_b32 exec_lo, exec_lo, s0
	v_cmp_eq_u32_e32 vcc_lo, 0, v24
	s_mov_b32 s3, exec_lo
	s_waitcnt lgkmcnt(0)
	s_barrier
	buffer_gl0_inv
	v_cmpx_gt_u32_e32 64, v37
	s_cbranch_execz .LBB350_2010
; %bb.1993:
	s_and_saveexec_b32 s0, vcc_lo
	s_cbranch_execnz .LBB350_2033
; %bb.1994:
	s_or_b32 exec_lo, exec_lo, s0
	s_and_saveexec_b32 s0, vcc_lo
	s_cbranch_execnz .LBB350_2034
.LBB350_1995:
	s_or_b32 exec_lo, exec_lo, s0
	s_and_saveexec_b32 s0, vcc_lo
	s_cbranch_execnz .LBB350_2035
.LBB350_1996:
	s_or_b32 exec_lo, exec_lo, s0
	s_and_saveexec_b32 s0, vcc_lo
	s_cbranch_execnz .LBB350_2036
.LBB350_1997:
	s_or_b32 exec_lo, exec_lo, s0
	s_and_saveexec_b32 s0, vcc_lo
	s_cbranch_execnz .LBB350_2037
.LBB350_1998:
	s_or_b32 exec_lo, exec_lo, s0
	s_and_saveexec_b32 s0, vcc_lo
	s_cbranch_execnz .LBB350_2038
.LBB350_1999:
	s_or_b32 exec_lo, exec_lo, s0
	s_and_saveexec_b32 s0, vcc_lo
	s_cbranch_execnz .LBB350_2039
.LBB350_2000:
	s_or_b32 exec_lo, exec_lo, s0
	s_and_saveexec_b32 s0, vcc_lo
	s_cbranch_execnz .LBB350_2040
.LBB350_2001:
	s_or_b32 exec_lo, exec_lo, s0
	s_and_saveexec_b32 s0, vcc_lo
	s_cbranch_execnz .LBB350_2041
.LBB350_2002:
	s_or_b32 exec_lo, exec_lo, s0
	s_and_saveexec_b32 s0, vcc_lo
	s_cbranch_execnz .LBB350_2042
.LBB350_2003:
	s_or_b32 exec_lo, exec_lo, s0
	s_and_saveexec_b32 s0, vcc_lo
	s_cbranch_execnz .LBB350_2043
.LBB350_2004:
	s_or_b32 exec_lo, exec_lo, s0
	s_and_saveexec_b32 s0, vcc_lo
	s_cbranch_execnz .LBB350_2044
.LBB350_2005:
	s_or_b32 exec_lo, exec_lo, s0
	s_and_saveexec_b32 s0, vcc_lo
	s_cbranch_execnz .LBB350_2045
.LBB350_2006:
	s_or_b32 exec_lo, exec_lo, s0
	s_and_saveexec_b32 s0, vcc_lo
	s_cbranch_execnz .LBB350_2046
.LBB350_2007:
	s_or_b32 exec_lo, exec_lo, s0
	s_and_saveexec_b32 s0, vcc_lo
	s_cbranch_execz .LBB350_2009
.LBB350_2008:
	v_lshl_add_u32 v20, v17, 2, v18
	ds_load_b32 v20, v20 offset:448
	s_waitcnt lgkmcnt(0)
	v_add_f32_e32 v0, v20, v0
.LBB350_2009:
	s_or_b32 exec_lo, exec_lo, s0
.LBB350_2010:
	s_delay_alu instid0(SALU_CYCLE_1)
	s_or_b32 exec_lo, exec_lo, s3
	v_and_b32_e32 v20, 0x3e3, v37
	s_mov_b32 s3, exec_lo
	s_barrier
	buffer_gl0_inv
	v_cmpx_eq_u32_e32 32, v20
	s_cbranch_execz .LBB350_2012
; %bb.2011:
	v_add3_u32 v19, v18, v19, 0xfffffe20
	ds_store_2addr_b32 v19, v16, v15 offset1:8
	ds_store_2addr_b32 v19, v14, v13 offset0:16 offset1:24
	ds_store_2addr_b32 v19, v12, v11 offset0:32 offset1:40
	;; [unrolled: 1-line block ×6, first 2 shown]
	ds_store_b32 v19, v0 offset:448
.LBB350_2012:
	s_or_b32 exec_lo, exec_lo, s3
	s_delay_alu instid0(SALU_CYCLE_1)
	s_mov_b32 s3, exec_lo
	s_waitcnt lgkmcnt(0)
	s_barrier
	buffer_gl0_inv
	v_cmpx_gt_u32_e32 32, v37
	s_cbranch_execz .LBB350_2030
; %bb.2013:
	v_lshl_add_u32 v17, v17, 2, v18
	s_and_saveexec_b32 s0, vcc_lo
	s_cbranch_execnz .LBB350_2047
; %bb.2014:
	s_or_b32 exec_lo, exec_lo, s0
	s_and_saveexec_b32 s0, vcc_lo
	s_cbranch_execnz .LBB350_2048
.LBB350_2015:
	s_or_b32 exec_lo, exec_lo, s0
	s_and_saveexec_b32 s0, vcc_lo
	s_cbranch_execnz .LBB350_2049
.LBB350_2016:
	s_or_b32 exec_lo, exec_lo, s0
	s_and_saveexec_b32 s0, vcc_lo
	s_cbranch_execnz .LBB350_2050
.LBB350_2017:
	s_or_b32 exec_lo, exec_lo, s0
	s_and_saveexec_b32 s0, vcc_lo
	s_cbranch_execnz .LBB350_2051
.LBB350_2018:
	s_or_b32 exec_lo, exec_lo, s0
	s_and_saveexec_b32 s0, vcc_lo
	s_cbranch_execnz .LBB350_2052
.LBB350_2019:
	s_or_b32 exec_lo, exec_lo, s0
	s_and_saveexec_b32 s0, vcc_lo
	s_cbranch_execnz .LBB350_2053
.LBB350_2020:
	s_or_b32 exec_lo, exec_lo, s0
	s_and_saveexec_b32 s0, vcc_lo
	s_cbranch_execnz .LBB350_2054
.LBB350_2021:
	s_or_b32 exec_lo, exec_lo, s0
	s_and_saveexec_b32 s0, vcc_lo
	s_cbranch_execnz .LBB350_2055
.LBB350_2022:
	s_or_b32 exec_lo, exec_lo, s0
	s_and_saveexec_b32 s0, vcc_lo
	s_cbranch_execnz .LBB350_2056
.LBB350_2023:
	s_or_b32 exec_lo, exec_lo, s0
	s_and_saveexec_b32 s0, vcc_lo
	s_cbranch_execnz .LBB350_2057
.LBB350_2024:
	s_or_b32 exec_lo, exec_lo, s0
	s_and_saveexec_b32 s0, vcc_lo
	s_cbranch_execnz .LBB350_2058
.LBB350_2025:
	s_or_b32 exec_lo, exec_lo, s0
	s_and_saveexec_b32 s0, vcc_lo
	s_cbranch_execnz .LBB350_2059
.LBB350_2026:
	s_or_b32 exec_lo, exec_lo, s0
	s_and_saveexec_b32 s0, vcc_lo
	s_cbranch_execnz .LBB350_2060
.LBB350_2027:
	s_or_b32 exec_lo, exec_lo, s0
	s_and_saveexec_b32 s0, vcc_lo
	s_cbranch_execz .LBB350_2029
.LBB350_2028:
	ds_load_b32 v17, v17 offset:448
	s_waitcnt lgkmcnt(0)
	v_add_f32_e32 v0, v17, v0
.LBB350_2029:
	s_or_b32 exec_lo, exec_lo, s0
.LBB350_2030:
	s_delay_alu instid0(SALU_CYCLE_1)
	s_or_b32 exec_lo, exec_lo, s3
	v_cmp_eq_u32_e32 vcc_lo, 0, v20
	s_barrier
	buffer_gl0_inv
	s_and_b32 exec_lo, exec_lo, vcc_lo
	s_cbranch_execz .LBB350_2032
; %bb.2031:
	s_mul_i32 s0, s2, 0x78
	s_mul_i32 s2, s4, s1
	;; [unrolled: 1-line block ×3, first 2 shown]
	s_ashr_i32 s3, s2, 31
	s_ashr_i32 s5, s4, 31
	;; [unrolled: 1-line block ×3, first 2 shown]
	s_lshl_b64 s[2:3], s[2:3], 1
	s_lshl_b64 s[4:5], s[4:5], 1
	;; [unrolled: 1-line block ×3, first 2 shown]
	s_add_u32 s2, s4, s2
	s_addc_u32 s3, s5, s3
	s_add_u32 s0, s2, s0
	s_addc_u32 s1, s3, s1
	v_lshrrev_b32_e32 v17, 1, v37
	v_add_co_u32 v4, vcc_lo, s0, v4
	v_add_co_ci_u32_e32 v5, vcc_lo, s1, v5, vcc_lo
	;;#ASMSTART
	v_cvt_f16_f32 v16, v16;

	;;#ASMEND
	s_delay_alu instid0(VALU_DEP_2) | instskip(NEXT) | instid1(VALU_DEP_2)
	v_add_co_u32 v4, vcc_lo, v4, v17
	v_add_co_ci_u32_e32 v5, vcc_lo, 0, v5, vcc_lo
	flat_store_b16 v[4:5], v16
	;;#ASMSTART
	v_cvt_f16_f32 v15, v15;

	;;#ASMEND
	flat_store_b16 v[4:5], v15 offset:16
	;;#ASMSTART
	v_cvt_f16_f32 v14, v14;

	;;#ASMEND
	flat_store_b16 v[4:5], v14 offset:32
	;; [unrolled: 5-line block ×14, first 2 shown]
.LBB350_2032:
	s_or_b32 exec_lo, exec_lo, s11
	s_clause 0x1f
	scratch_load_b32 v187, off, s32 offset:8
	scratch_load_b32 v186, off, s32 offset:12
	;; [unrolled: 1-line block ×32, first 2 shown]
	s_clause 0x1f
	scratch_load_b32 v123, off, s32 offset:136
	scratch_load_b32 v122, off, s32 offset:140
	;; [unrolled: 1-line block ×32, first 2 shown]
	s_clause 0xb
	scratch_load_b32 v59, off, s32 offset:264
	scratch_load_b32 v58, off, s32 offset:268
	;; [unrolled: 1-line block ×12, first 2 shown]
	s_waitcnt vmcnt(0) lgkmcnt(0)
	s_setpc_b64 s[30:31]
.LBB350_2033:
	v_lshl_add_u32 v20, v17, 2, v18
	ds_load_b32 v20, v20
	s_waitcnt lgkmcnt(0)
	v_add_f32_e32 v16, v20, v16
	s_or_b32 exec_lo, exec_lo, s0
	s_and_saveexec_b32 s0, vcc_lo
	s_cbranch_execz .LBB350_1995
.LBB350_2034:
	v_lshl_add_u32 v20, v17, 2, v18
	ds_load_b32 v20, v20 offset:32
	s_waitcnt lgkmcnt(0)
	v_add_f32_e32 v15, v20, v15
	s_or_b32 exec_lo, exec_lo, s0
	s_and_saveexec_b32 s0, vcc_lo
	s_cbranch_execz .LBB350_1996
.LBB350_2035:
	v_lshl_add_u32 v20, v17, 2, v18
	ds_load_b32 v20, v20 offset:64
	s_waitcnt lgkmcnt(0)
	v_add_f32_e32 v14, v20, v14
	s_or_b32 exec_lo, exec_lo, s0
	s_and_saveexec_b32 s0, vcc_lo
	s_cbranch_execz .LBB350_1997
.LBB350_2036:
	v_lshl_add_u32 v20, v17, 2, v18
	ds_load_b32 v20, v20 offset:96
	s_waitcnt lgkmcnt(0)
	v_add_f32_e32 v13, v20, v13
	s_or_b32 exec_lo, exec_lo, s0
	s_and_saveexec_b32 s0, vcc_lo
	s_cbranch_execz .LBB350_1998
.LBB350_2037:
	v_lshl_add_u32 v20, v17, 2, v18
	ds_load_b32 v20, v20 offset:128
	s_waitcnt lgkmcnt(0)
	v_add_f32_e32 v12, v20, v12
	s_or_b32 exec_lo, exec_lo, s0
	s_and_saveexec_b32 s0, vcc_lo
	s_cbranch_execz .LBB350_1999
.LBB350_2038:
	v_lshl_add_u32 v20, v17, 2, v18
	ds_load_b32 v20, v20 offset:160
	s_waitcnt lgkmcnt(0)
	v_add_f32_e32 v11, v20, v11
	s_or_b32 exec_lo, exec_lo, s0
	s_and_saveexec_b32 s0, vcc_lo
	s_cbranch_execz .LBB350_2000
.LBB350_2039:
	v_lshl_add_u32 v20, v17, 2, v18
	ds_load_b32 v20, v20 offset:192
	s_waitcnt lgkmcnt(0)
	v_add_f32_e32 v10, v20, v10
	s_or_b32 exec_lo, exec_lo, s0
	s_and_saveexec_b32 s0, vcc_lo
	s_cbranch_execz .LBB350_2001
.LBB350_2040:
	v_lshl_add_u32 v20, v17, 2, v18
	ds_load_b32 v20, v20 offset:224
	s_waitcnt lgkmcnt(0)
	v_add_f32_e32 v9, v20, v9
	s_or_b32 exec_lo, exec_lo, s0
	s_and_saveexec_b32 s0, vcc_lo
	s_cbranch_execz .LBB350_2002
.LBB350_2041:
	v_lshl_add_u32 v20, v17, 2, v18
	ds_load_b32 v20, v20 offset:256
	s_waitcnt lgkmcnt(0)
	v_add_f32_e32 v8, v20, v8
	s_or_b32 exec_lo, exec_lo, s0
	s_and_saveexec_b32 s0, vcc_lo
	s_cbranch_execz .LBB350_2003
.LBB350_2042:
	v_lshl_add_u32 v20, v17, 2, v18
	ds_load_b32 v20, v20 offset:288
	s_waitcnt lgkmcnt(0)
	v_add_f32_e32 v7, v20, v7
	s_or_b32 exec_lo, exec_lo, s0
	s_and_saveexec_b32 s0, vcc_lo
	s_cbranch_execz .LBB350_2004
.LBB350_2043:
	v_lshl_add_u32 v20, v17, 2, v18
	ds_load_b32 v20, v20 offset:320
	s_waitcnt lgkmcnt(0)
	v_add_f32_e32 v6, v20, v6
	s_or_b32 exec_lo, exec_lo, s0
	s_and_saveexec_b32 s0, vcc_lo
	s_cbranch_execz .LBB350_2005
.LBB350_2044:
	v_lshl_add_u32 v20, v17, 2, v18
	ds_load_b32 v20, v20 offset:352
	s_waitcnt lgkmcnt(0)
	v_add_f32_e32 v3, v20, v3
	s_or_b32 exec_lo, exec_lo, s0
	s_and_saveexec_b32 s0, vcc_lo
	s_cbranch_execz .LBB350_2006
.LBB350_2045:
	v_lshl_add_u32 v20, v17, 2, v18
	ds_load_b32 v20, v20 offset:384
	s_waitcnt lgkmcnt(0)
	v_add_f32_e32 v1, v20, v1
	s_or_b32 exec_lo, exec_lo, s0
	s_and_saveexec_b32 s0, vcc_lo
	s_cbranch_execz .LBB350_2007
.LBB350_2046:
	v_lshl_add_u32 v20, v17, 2, v18
	ds_load_b32 v20, v20 offset:416
	s_waitcnt lgkmcnt(0)
	v_add_f32_e32 v2, v20, v2
	s_or_b32 exec_lo, exec_lo, s0
	s_and_saveexec_b32 s0, vcc_lo
	s_cbranch_execnz .LBB350_2008
	s_branch .LBB350_2009
.LBB350_2047:
	ds_load_b32 v18, v17
	s_waitcnt lgkmcnt(0)
	v_add_f32_e32 v16, v18, v16
	s_or_b32 exec_lo, exec_lo, s0
	s_and_saveexec_b32 s0, vcc_lo
	s_cbranch_execz .LBB350_2015
.LBB350_2048:
	ds_load_b32 v18, v17 offset:32
	s_waitcnt lgkmcnt(0)
	v_add_f32_e32 v15, v18, v15
	s_or_b32 exec_lo, exec_lo, s0
	s_and_saveexec_b32 s0, vcc_lo
	s_cbranch_execz .LBB350_2016
.LBB350_2049:
	ds_load_b32 v18, v17 offset:64
	s_waitcnt lgkmcnt(0)
	v_add_f32_e32 v14, v18, v14
	s_or_b32 exec_lo, exec_lo, s0
	s_and_saveexec_b32 s0, vcc_lo
	s_cbranch_execz .LBB350_2017
.LBB350_2050:
	ds_load_b32 v18, v17 offset:96
	s_waitcnt lgkmcnt(0)
	v_add_f32_e32 v13, v18, v13
	s_or_b32 exec_lo, exec_lo, s0
	s_and_saveexec_b32 s0, vcc_lo
	s_cbranch_execz .LBB350_2018
.LBB350_2051:
	ds_load_b32 v18, v17 offset:128
	s_waitcnt lgkmcnt(0)
	v_add_f32_e32 v12, v18, v12
	s_or_b32 exec_lo, exec_lo, s0
	s_and_saveexec_b32 s0, vcc_lo
	s_cbranch_execz .LBB350_2019
.LBB350_2052:
	ds_load_b32 v18, v17 offset:160
	s_waitcnt lgkmcnt(0)
	v_add_f32_e32 v11, v18, v11
	s_or_b32 exec_lo, exec_lo, s0
	s_and_saveexec_b32 s0, vcc_lo
	s_cbranch_execz .LBB350_2020
.LBB350_2053:
	ds_load_b32 v18, v17 offset:192
	s_waitcnt lgkmcnt(0)
	v_add_f32_e32 v10, v18, v10
	s_or_b32 exec_lo, exec_lo, s0
	s_and_saveexec_b32 s0, vcc_lo
	s_cbranch_execz .LBB350_2021
.LBB350_2054:
	ds_load_b32 v18, v17 offset:224
	s_waitcnt lgkmcnt(0)
	v_add_f32_e32 v9, v18, v9
	s_or_b32 exec_lo, exec_lo, s0
	s_and_saveexec_b32 s0, vcc_lo
	s_cbranch_execz .LBB350_2022
.LBB350_2055:
	ds_load_b32 v18, v17 offset:256
	s_waitcnt lgkmcnt(0)
	v_add_f32_e32 v8, v18, v8
	s_or_b32 exec_lo, exec_lo, s0
	s_and_saveexec_b32 s0, vcc_lo
	s_cbranch_execz .LBB350_2023
.LBB350_2056:
	ds_load_b32 v18, v17 offset:288
	s_waitcnt lgkmcnt(0)
	v_add_f32_e32 v7, v18, v7
	s_or_b32 exec_lo, exec_lo, s0
	s_and_saveexec_b32 s0, vcc_lo
	s_cbranch_execz .LBB350_2024
.LBB350_2057:
	ds_load_b32 v18, v17 offset:320
	s_waitcnt lgkmcnt(0)
	v_add_f32_e32 v6, v18, v6
	s_or_b32 exec_lo, exec_lo, s0
	s_and_saveexec_b32 s0, vcc_lo
	s_cbranch_execz .LBB350_2025
.LBB350_2058:
	ds_load_b32 v18, v17 offset:352
	s_waitcnt lgkmcnt(0)
	v_add_f32_e32 v3, v18, v3
	s_or_b32 exec_lo, exec_lo, s0
	s_and_saveexec_b32 s0, vcc_lo
	s_cbranch_execz .LBB350_2026
.LBB350_2059:
	ds_load_b32 v18, v17 offset:384
	s_waitcnt lgkmcnt(0)
	v_add_f32_e32 v1, v18, v1
	s_or_b32 exec_lo, exec_lo, s0
	s_and_saveexec_b32 s0, vcc_lo
	s_cbranch_execz .LBB350_2027
.LBB350_2060:
	ds_load_b32 v18, v17 offset:416
	s_waitcnt lgkmcnt(0)
	v_add_f32_e32 v2, v18, v2
	s_or_b32 exec_lo, exec_lo, s0
	s_and_saveexec_b32 s0, vcc_lo
	s_cbranch_execnz .LBB350_2028
	s_branch .LBB350_2029
.Lfunc_end350:
	.size	_ZN4vllm22paged_attention_kernelIthLi120ELi32ELi128ELNS_18Fp8KVCacheDataTypeE1ELb1ELi512EEEvPfS2_PT_PKS3_PKT0_S9_ifPKiSB_iPKfiiiSD_SD_iiiii, .Lfunc_end350-_ZN4vllm22paged_attention_kernelIthLi120ELi32ELi128ELNS_18Fp8KVCacheDataTypeE1ELb1ELi512EEEvPfS2_PT_PKS3_PKT0_S9_ifPKiSB_iPKfiiiSD_SD_iiiii
                                        ; -- End function
	.section	.AMDGPU.csdata,"",@progbits
; Function info:
; codeLenInByte = 79796
; NumSgprs: 35
; NumVgprs: 188
; ScratchSize: 316
; MemoryBound: 0
	.section	.text._ZN4vllm25paged_attention_v2_kernelIthLi120ELi32ELi128ELNS_18Fp8KVCacheDataTypeE1ELb1ELi512EEEvPfS2_PT_PKS3_PKT0_S9_ifPKiSB_iPKfiiiSD_SD_iiiii,"axG",@progbits,_ZN4vllm25paged_attention_v2_kernelIthLi120ELi32ELi128ELNS_18Fp8KVCacheDataTypeE1ELb1ELi512EEEvPfS2_PT_PKS3_PKT0_S9_ifPKiSB_iPKfiiiSD_SD_iiiii,comdat
	.protected	_ZN4vllm25paged_attention_v2_kernelIthLi120ELi32ELi128ELNS_18Fp8KVCacheDataTypeE1ELb1ELi512EEEvPfS2_PT_PKS3_PKT0_S9_ifPKiSB_iPKfiiiSD_SD_iiiii ; -- Begin function _ZN4vllm25paged_attention_v2_kernelIthLi120ELi32ELi128ELNS_18Fp8KVCacheDataTypeE1ELb1ELi512EEEvPfS2_PT_PKS3_PKT0_S9_ifPKiSB_iPKfiiiSD_SD_iiiii
	.globl	_ZN4vllm25paged_attention_v2_kernelIthLi120ELi32ELi128ELNS_18Fp8KVCacheDataTypeE1ELb1ELi512EEEvPfS2_PT_PKS3_PKT0_S9_ifPKiSB_iPKfiiiSD_SD_iiiii
	.p2align	8
	.type	_ZN4vllm25paged_attention_v2_kernelIthLi120ELi32ELi128ELNS_18Fp8KVCacheDataTypeE1ELb1ELi512EEEvPfS2_PT_PKS3_PKT0_S9_ifPKiSB_iPKfiiiSD_SD_iiiii,@function
_ZN4vllm25paged_attention_v2_kernelIthLi120ELi32ELi128ELNS_18Fp8KVCacheDataTypeE1ELb1ELi512EEEvPfS2_PT_PKS3_PKT0_S9_ifPKiSB_iPKfiiiSD_SD_iiiii: ; @_ZN4vllm25paged_attention_v2_kernelIthLi120ELi32ELi128ELNS_18Fp8KVCacheDataTypeE1ELb1ELi512EEEvPfS2_PT_PKS3_PKT0_S9_ifPKiSB_iPKfiiiSD_SD_iiiii
; %bb.0:
	s_mov_b32 s12, s13
	s_clause 0x7
	s_load_b128 s[4:7], s[0:1], 0x78
	s_load_b32 s8, s[0:1], 0x88
	s_load_b256 s[24:31], s[0:1], 0x0
	s_load_b256 s[36:43], s[0:1], 0x20
	s_load_b64 s[2:3], s[0:1], 0x40
	s_load_b64 s[10:11], s[0:1], 0x50
	s_load_b32 s13, s[0:1], 0x48
	s_load_b256 s[16:23], s[0:1], 0x58
	s_mov_b32 s32, 0
	v_mov_b32_e32 v31, v0
	s_waitcnt lgkmcnt(0)
	v_dual_mov_b32 v1, s7 :: v_dual_mov_b32 v2, s8
	v_dual_mov_b32 v0, s24 :: v_dual_mov_b32 v3, s27
	;; [unrolled: 1-line block ×3, first 2 shown]
	v_mov_b32_e32 v6, s30
	scratch_store_b64 off, v[1:2], s32
	v_dual_mov_b32 v1, s25 :: v_dual_mov_b32 v2, s26
	v_dual_mov_b32 v7, s31 :: v_dual_mov_b32 v8, s36
	;; [unrolled: 1-line block ×13, first 2 shown]
	s_add_u32 s8, s0, 0x90
	s_addc_u32 s9, s1, 0
	s_mov_b32 s13, s14
	s_mov_b32 s14, s15
	s_movk_i32 s15, 0x5a
	s_getpc_b64 s[0:1]
	s_add_u32 s0, s0, _ZN4vllm22paged_attention_kernelIthLi120ELi32ELi128ELNS_18Fp8KVCacheDataTypeE1ELb1ELi512EEEvPfS2_PT_PKS3_PKT0_S9_ifPKiSB_iPKfiiiSD_SD_iiiii@rel32@lo+4
	s_addc_u32 s1, s1, _ZN4vllm22paged_attention_kernelIthLi120ELi32ELi128ELNS_18Fp8KVCacheDataTypeE1ELb1ELi512EEEvPfS2_PT_PKS3_PKT0_S9_ifPKiSB_iPKfiiiSD_SD_iiiii@rel32@hi+12
	s_delay_alu instid0(SALU_CYCLE_1)
	s_swappc_b64 s[30:31], s[0:1]
	s_endpgm
	.section	.rodata,"a",@progbits
	.p2align	6, 0x0
	.amdhsa_kernel _ZN4vllm25paged_attention_v2_kernelIthLi120ELi32ELi128ELNS_18Fp8KVCacheDataTypeE1ELb1ELi512EEEvPfS2_PT_PKS3_PKT0_S9_ifPKiSB_iPKfiiiSD_SD_iiiii
		.amdhsa_group_segment_fixed_size 272
		.amdhsa_private_segment_fixed_size 316
		.amdhsa_kernarg_size 400
		.amdhsa_user_sgpr_count 13
		.amdhsa_user_sgpr_dispatch_ptr 0
		.amdhsa_user_sgpr_queue_ptr 0
		.amdhsa_user_sgpr_kernarg_segment_ptr 1
		.amdhsa_user_sgpr_dispatch_id 0
		.amdhsa_user_sgpr_private_segment_size 0
		.amdhsa_wavefront_size32 1
		.amdhsa_uses_dynamic_stack 0
		.amdhsa_enable_private_segment 1
		.amdhsa_system_sgpr_workgroup_id_x 1
		.amdhsa_system_sgpr_workgroup_id_y 1
		.amdhsa_system_sgpr_workgroup_id_z 1
		.amdhsa_system_sgpr_workgroup_info 0
		.amdhsa_system_vgpr_workitem_id 0
		.amdhsa_next_free_vgpr 188
		.amdhsa_next_free_sgpr 44
		.amdhsa_reserve_vcc 1
		.amdhsa_float_round_mode_32 0
		.amdhsa_float_round_mode_16_64 0
		.amdhsa_float_denorm_mode_32 3
		.amdhsa_float_denorm_mode_16_64 3
		.amdhsa_dx10_clamp 1
		.amdhsa_ieee_mode 1
		.amdhsa_fp16_overflow 0
		.amdhsa_workgroup_processor_mode 1
		.amdhsa_memory_ordered 1
		.amdhsa_forward_progress 0
		.amdhsa_shared_vgpr_count 0
		.amdhsa_exception_fp_ieee_invalid_op 0
		.amdhsa_exception_fp_denorm_src 0
		.amdhsa_exception_fp_ieee_div_zero 0
		.amdhsa_exception_fp_ieee_overflow 0
		.amdhsa_exception_fp_ieee_underflow 0
		.amdhsa_exception_fp_ieee_inexact 0
		.amdhsa_exception_int_div_zero 0
	.end_amdhsa_kernel
	.section	.text._ZN4vllm25paged_attention_v2_kernelIthLi120ELi32ELi128ELNS_18Fp8KVCacheDataTypeE1ELb1ELi512EEEvPfS2_PT_PKS3_PKT0_S9_ifPKiSB_iPKfiiiSD_SD_iiiii,"axG",@progbits,_ZN4vllm25paged_attention_v2_kernelIthLi120ELi32ELi128ELNS_18Fp8KVCacheDataTypeE1ELb1ELi512EEEvPfS2_PT_PKS3_PKT0_S9_ifPKiSB_iPKfiiiSD_SD_iiiii,comdat
.Lfunc_end351:
	.size	_ZN4vllm25paged_attention_v2_kernelIthLi120ELi32ELi128ELNS_18Fp8KVCacheDataTypeE1ELb1ELi512EEEvPfS2_PT_PKS3_PKT0_S9_ifPKiSB_iPKfiiiSD_SD_iiiii, .Lfunc_end351-_ZN4vllm25paged_attention_v2_kernelIthLi120ELi32ELi128ELNS_18Fp8KVCacheDataTypeE1ELb1ELi512EEEvPfS2_PT_PKS3_PKT0_S9_ifPKiSB_iPKfiiiSD_SD_iiiii
                                        ; -- End function
	.section	.AMDGPU.csdata,"",@progbits
; Kernel info:
; codeLenInByte = 280
; NumSgprs: 46
; NumVgprs: 188
; ScratchSize: 316
; MemoryBound: 0
; FloatMode: 240
; IeeeMode: 1
; LDSByteSize: 272 bytes/workgroup (compile time only)
; SGPRBlocks: 5
; VGPRBlocks: 23
; NumSGPRsForWavesPerEU: 46
; NumVGPRsForWavesPerEU: 188
; Occupancy: 8
; WaveLimiterHint : 1
; COMPUTE_PGM_RSRC2:SCRATCH_EN: 1
; COMPUTE_PGM_RSRC2:USER_SGPR: 13
; COMPUTE_PGM_RSRC2:TRAP_HANDLER: 0
; COMPUTE_PGM_RSRC2:TGID_X_EN: 1
; COMPUTE_PGM_RSRC2:TGID_Y_EN: 1
; COMPUTE_PGM_RSRC2:TGID_Z_EN: 1
; COMPUTE_PGM_RSRC2:TIDIG_COMP_CNT: 0
	.text
	.p2align	2                               ; -- Begin function _ZN4vllm22paged_attention_kernelIthLi128ELi32ELi128ELNS_18Fp8KVCacheDataTypeE1ELb1ELi512EEEvPfS2_PT_PKS3_PKT0_S9_ifPKiSB_iPKfiiiSD_SD_iiiii
	.type	_ZN4vllm22paged_attention_kernelIthLi128ELi32ELi128ELNS_18Fp8KVCacheDataTypeE1ELb1ELi512EEEvPfS2_PT_PKS3_PKT0_S9_ifPKiSB_iPKfiiiSD_SD_iiiii,@function
_ZN4vllm22paged_attention_kernelIthLi128ELi32ELi128ELNS_18Fp8KVCacheDataTypeE1ELb1ELi512EEEvPfS2_PT_PKS3_PKT0_S9_ifPKiSB_iPKfiiiSD_SD_iiiii: ; @_ZN4vllm22paged_attention_kernelIthLi128ELi32ELi128ELNS_18Fp8KVCacheDataTypeE1ELb1ELi512EEEvPfS2_PT_PKS3_PKT0_S9_ifPKiSB_iPKfiiiSD_SD_iiiii
; %bb.0:
	s_waitcnt vmcnt(0) expcnt(0) lgkmcnt(0)
	s_clause 0x1f
	scratch_store_b32 off, v40, s32 offset:324
	; meta instruction
	scratch_store_b32 off, v41, s32 offset:320
	; meta instruction
	;; [unrolled: 2-line block ×31, first 2 shown]
	scratch_store_b32 off, v95, s32 offset:200
	s_clause 0x1f
	scratch_store_b32 off, v104, s32 offset:196
	; meta instruction
	scratch_store_b32 off, v105, s32 offset:192
	; meta instruction
	scratch_store_b32 off, v106, s32 offset:188
	; meta instruction
	scratch_store_b32 off, v107, s32 offset:184
	; meta instruction
	scratch_store_b32 off, v108, s32 offset:180
	; meta instruction
	scratch_store_b32 off, v109, s32 offset:176
	; meta instruction
	scratch_store_b32 off, v110, s32 offset:172
	; meta instruction
	scratch_store_b32 off, v111, s32 offset:168
	; meta instruction
	scratch_store_b32 off, v120, s32 offset:164
	; meta instruction
	scratch_store_b32 off, v121, s32 offset:160
	; meta instruction
	scratch_store_b32 off, v122, s32 offset:156
	; meta instruction
	scratch_store_b32 off, v123, s32 offset:152
	; meta instruction
	scratch_store_b32 off, v124, s32 offset:148
	; meta instruction
	scratch_store_b32 off, v125, s32 offset:144
	; meta instruction
	scratch_store_b32 off, v126, s32 offset:140
	; meta instruction
	scratch_store_b32 off, v127, s32 offset:136
	; meta instruction
	scratch_store_b32 off, v136, s32 offset:132
	; meta instruction
	scratch_store_b32 off, v137, s32 offset:128
	; meta instruction
	scratch_store_b32 off, v138, s32 offset:124
	; meta instruction
	scratch_store_b32 off, v139, s32 offset:120
	; meta instruction
	scratch_store_b32 off, v140, s32 offset:116
	; meta instruction
	scratch_store_b32 off, v141, s32 offset:112
	; meta instruction
	scratch_store_b32 off, v142, s32 offset:108
	; meta instruction
	scratch_store_b32 off, v143, s32 offset:104
	; meta instruction
	scratch_store_b32 off, v152, s32 offset:100
	; meta instruction
	scratch_store_b32 off, v153, s32 offset:96
	; meta instruction
	scratch_store_b32 off, v154, s32 offset:92
	; meta instruction
	scratch_store_b32 off, v155, s32 offset:88
	; meta instruction
	scratch_store_b32 off, v156, s32 offset:84
	; meta instruction
	scratch_store_b32 off, v157, s32 offset:80
	; meta instruction
	scratch_store_b32 off, v158, s32 offset:76
	; meta instruction
	scratch_store_b32 off, v159, s32 offset:72
	s_clause 0xf
	scratch_store_b32 off, v168, s32 offset:68
	; meta instruction
	scratch_store_b32 off, v169, s32 offset:64
	; meta instruction
	;; [unrolled: 2-line block ×15, first 2 shown]
	scratch_store_b32 off, v191, s32 offset:8
	s_mov_b32 s10, s13
	s_ashr_i32 s11, s13, 31
	s_lshl_b32 s3, s14, 9
	s_lshl_b64 s[0:1], s[10:11], 2
	s_mov_b32 s11, exec_lo
	v_add_co_u32 v16, vcc_lo, v16, s0
	v_add_co_ci_u32_e32 v17, vcc_lo, s1, v17, vcc_lo
	flat_load_b32 v38, v[16:17]
	s_clause 0x1
	scratch_load_b32 v32, off, s32 offset:4
	scratch_load_b32 v33, off, s32
	s_waitcnt vmcnt(2) lgkmcnt(0)
	v_cmpx_lt_i32_e64 s3, v38
	s_cbranch_execz .LBB352_2164
; %bb.1:
	v_sub_nc_u32_e32 v16, 0, v12
	s_clause 0x1
	s_load_b32 s0, s[8:9], 0x10
	s_load_b32 s1, s[8:9], 0x0
	s_mov_b32 s6, s15
	v_mov_b32_e32 v65, 0
	v_max_i32_e32 v16, v12, v16
	s_delay_alu instid0(VALU_DEP_1) | instskip(SKIP_1) | instid1(VALU_DEP_2)
	v_cvt_f32_u32_e32 v17, v16
	v_sub_nc_u32_e32 v34, 0, v16
	v_rcp_iflag_f32_e32 v17, v17
	s_waitcnt lgkmcnt(0)
	s_lshr_b32 s0, s0, 16
	s_delay_alu instid0(SALU_CYCLE_1) | instskip(SKIP_3) | instid1(SALU_CYCLE_1)
	s_cmp_lg_u32 s0, 0
	s_waitcnt_depctr 0xfff
	v_mul_f32_e32 v17, 0x4f7ffffe, v17
	s_cselect_b32 s0, -1, 0
	s_cmp_lg_u32 s0, 0
	s_delay_alu instid0(VALU_DEP_1) | instskip(SKIP_3) | instid1(VALU_DEP_1)
	v_cvt_u32_f32_e32 v17, v17
	s_addc_u32 s15, s1, 0
	s_mov_b32 s1, exec_lo
	s_abs_i32 s0, s15
	v_mul_lo_u32 v34, v34, v17
	s_delay_alu instid0(VALU_DEP_1) | instskip(NEXT) | instid1(VALU_DEP_1)
	v_mul_hi_u32 v34, v17, v34
	v_add_nc_u32_e32 v17, v17, v34
	s_delay_alu instid0(VALU_DEP_1) | instskip(NEXT) | instid1(VALU_DEP_1)
	v_mul_hi_u32 v17, s0, v17
	v_mul_lo_u32 v34, v17, v16
	v_add_nc_u32_e32 v35, 1, v17
	s_delay_alu instid0(VALU_DEP_2) | instskip(SKIP_1) | instid1(VALU_DEP_1)
	v_sub_nc_u32_e32 v34, s0, v34
	s_abs_i32 s0, s12
	v_sub_nc_u32_e32 v36, v34, v16
	v_cmp_ge_u32_e32 vcc_lo, v34, v16
	s_delay_alu instid0(VALU_DEP_2) | instskip(SKIP_1) | instid1(VALU_DEP_2)
	v_dual_cndmask_b32 v17, v17, v35 :: v_dual_cndmask_b32 v34, v34, v36
	v_xor_b32_e32 v35, s15, v12
	v_add_nc_u32_e32 v36, 1, v17
	s_delay_alu instid0(VALU_DEP_3) | instskip(NEXT) | instid1(VALU_DEP_3)
	v_cmp_ge_u32_e32 vcc_lo, v34, v16
	v_ashrrev_i32_e32 v35, 31, v35
	s_delay_alu instid0(VALU_DEP_3) | instskip(NEXT) | instid1(VALU_DEP_1)
	v_cndmask_b32_e32 v16, v17, v36, vcc_lo
	v_xor_b32_e32 v16, v16, v35
	s_delay_alu instid0(VALU_DEP_1) | instskip(NEXT) | instid1(VALU_DEP_1)
	v_sub_nc_u32_e32 v35, v16, v35
	v_sub_nc_u32_e32 v16, 0, v35
	s_delay_alu instid0(VALU_DEP_1) | instskip(NEXT) | instid1(VALU_DEP_1)
	v_max_i32_e32 v34, v35, v16
	v_cvt_f32_u32_e32 v16, v34
	v_sub_nc_u32_e32 v17, 0, v34
	s_delay_alu instid0(VALU_DEP_2) | instskip(SKIP_2) | instid1(VALU_DEP_1)
	v_rcp_iflag_f32_e32 v16, v16
	s_waitcnt_depctr 0xfff
	v_mul_f32_e32 v16, 0x4f7ffffe, v16
	v_cvt_u32_f32_e32 v16, v16
	s_delay_alu instid0(VALU_DEP_1) | instskip(NEXT) | instid1(VALU_DEP_1)
	v_mul_lo_u32 v17, v17, v16
	v_mul_hi_u32 v17, v16, v17
	s_delay_alu instid0(VALU_DEP_1) | instskip(NEXT) | instid1(VALU_DEP_1)
	v_add_nc_u32_e32 v36, v16, v17
	v_mad_u64_u32 v[16:17], null, s0, v36, 0
	v_cmpx_ne_u64_e32 0, v[19:20]
	s_cbranch_execz .LBB352_3
; %bb.2:
	s_ashr_i32 s13, s12, 31
	s_delay_alu instid0(SALU_CYCLE_1) | instskip(NEXT) | instid1(SALU_CYCLE_1)
	s_lshl_b64 s[4:5], s[12:13], 2
	v_add_co_u32 v19, vcc_lo, v19, s4
	v_add_co_ci_u32_e32 v20, vcc_lo, s5, v20, vcc_lo
	flat_load_b32 v65, v[19:20]
.LBB352_3:
	s_or_b32 exec_lo, exec_lo, s1
	v_and_b32_e32 v37, 0x3ff, v31
	v_ashrrev_i32_e32 v16, 31, v35
	s_ashr_i32 s1, s12, 31
	s_lshl_b32 s4, s12, 7
	s_mov_b32 s2, exec_lo
	v_cmpx_gt_u32_e32 16, v37
	s_cbranch_execz .LBB352_5
; %bb.4:
	v_mul_lo_u32 v19, s10, v21
	s_ashr_i32 s5, s4, 31
	v_lshlrev_b32_e32 v21, 4, v37
	s_lshl_b64 s[16:17], s[4:5], 1
	s_delay_alu instid0(VALU_DEP_2) | instskip(NEXT) | instid1(VALU_DEP_1)
	v_ashrrev_i32_e32 v20, 31, v19
	v_lshlrev_b64 v[19:20], 1, v[19:20]
	s_delay_alu instid0(VALU_DEP_1) | instskip(NEXT) | instid1(VALU_DEP_2)
	v_add_co_u32 v6, vcc_lo, v6, v19
	v_add_co_ci_u32_e32 v7, vcc_lo, v7, v20, vcc_lo
	s_delay_alu instid0(VALU_DEP_2) | instskip(NEXT) | instid1(VALU_DEP_2)
	v_add_co_u32 v6, vcc_lo, v6, s16
	v_add_co_ci_u32_e32 v7, vcc_lo, s17, v7, vcc_lo
	s_delay_alu instid0(VALU_DEP_2) | instskip(NEXT) | instid1(VALU_DEP_2)
	v_add_co_u32 v6, vcc_lo, v6, v21
	v_add_co_ci_u32_e32 v7, vcc_lo, 0, v7, vcc_lo
	flat_load_b128 v[48:51], v[6:7]
	s_waitcnt vmcnt(0) lgkmcnt(0)
	ds_store_b128 v21, v[48:51]
.LBB352_5:
	s_or_b32 exec_lo, exec_lo, s2
	s_waitcnt vmcnt(0)
	v_sub_nc_u32_e32 v6, 0, v33
	v_mul_lo_u32 v7, v17, v34
	v_add_nc_u32_e32 v20, 1, v17
	v_xor_b32_e32 v35, s1, v16
	s_waitcnt lgkmcnt(0)
	s_waitcnt_vscnt null, 0x0
	v_max_i32_e32 v49, v33, v6
	s_barrier
	buffer_gl0_inv
	v_sub_nc_u32_e32 v19, s0, v7
	v_cvt_f32_u32_e32 v6, v49
	v_sub_nc_u32_e32 v7, 0, v49
	s_mov_b32 s0, exec_lo
	s_delay_alu instid0(VALU_DEP_3) | instskip(NEXT) | instid1(VALU_DEP_3)
	v_cmp_ge_u32_e32 vcc_lo, v19, v34
	v_rcp_iflag_f32_e32 v6, v6
	v_sub_nc_u32_e32 v21, v19, v34
	v_cndmask_b32_e32 v17, v17, v20, vcc_lo
	s_delay_alu instid0(VALU_DEP_2) | instskip(NEXT) | instid1(VALU_DEP_2)
	v_cndmask_b32_e32 v19, v19, v21, vcc_lo
	v_add_nc_u32_e32 v20, 1, v17
	s_waitcnt_depctr 0xfff
	v_mul_f32_e32 v6, 0x4f7ffffe, v6
	v_cmp_ge_u32_e32 vcc_lo, v19, v34
	s_delay_alu instid0(VALU_DEP_2) | instskip(SKIP_1) | instid1(VALU_DEP_2)
	v_cvt_u32_f32_e32 v6, v6
	v_cndmask_b32_e32 v16, v17, v20, vcc_lo
	v_mul_lo_u32 v31, v7, v6
	v_add_nc_u32_e32 v7, -1, v38
	s_delay_alu instid0(VALU_DEP_2) | instskip(NEXT) | instid1(VALU_DEP_2)
	v_mul_hi_u32 v21, v6, v31
	v_sub_nc_u32_e32 v31, 0, v7
	s_delay_alu instid0(VALU_DEP_1) | instskip(NEXT) | instid1(VALU_DEP_3)
	v_max_i32_e32 v19, v7, v31
	v_add_nc_u32_e32 v50, v6, v21
	v_xor_b32_e32 v6, v16, v35
	s_delay_alu instid0(VALU_DEP_2) | instskip(NEXT) | instid1(VALU_DEP_2)
	v_mad_u64_u32 v[16:17], null, v19, v50, 0
	v_sub_nc_u32_e32 v16, v6, v35
                                        ; implicit-def: $vgpr6
	v_cmpx_gt_i32_e32 0, v32
	s_xor_b32 s0, exec_lo, s0
; %bb.6:
	s_delay_alu instid0(VALU_DEP_2) | instskip(NEXT) | instid1(VALU_DEP_1)
	v_mad_u64_u32 v[20:21], null, v28, v12, v[16:17]
                                        ; implicit-def: $vgpr28
	v_mul_lo_u32 v6, v20, v32
                                        ; implicit-def: $vgpr32
	s_delay_alu instid0(VALU_DEP_1)
	v_sub_nc_u32_e32 v6, 1, v6
; %bb.7:
	s_or_saveexec_b32 s0, s0
	v_ashrrev_i32_e32 v12, 31, v7
	v_ashrrev_i32_e32 v51, 31, v33
	s_xor_b32 exec_lo, exec_lo, s0
; %bb.8:
	v_mad_u64_u32 v[20:21], null, s15, v28, s[12:13]
	s_delay_alu instid0(VALU_DEP_1)
	v_mad_u64_u32 v[6:7], null, v20, v32, 1
; %bb.9:
	s_or_b32 exec_lo, exec_lo, s0
	v_mul_lo_u32 v7, v17, v49
	v_xor_b32_e32 v21, v12, v51
	s_clause 0x1
	s_load_b32 s18, s[8:9], 0x14
	s_load_b32 s5, s[8:9], 0x8
	v_mul_lo_u32 v18, s10, v18
	v_lshrrev_b32_e32 v39, 5, v37
	s_lshl_b32 s13, s14, 4
	v_sub_nc_u32_e32 v55, 0, v30
	s_add_i32 s0, s13, 16
	v_sub_nc_u32_e32 v7, v19, v7
	v_add_nc_u32_e32 v19, 1, v17
	v_and_b32_e32 v48, 31, v37
	s_delay_alu instid0(VALU_DEP_3) | instskip(SKIP_2) | instid1(VALU_DEP_4)
	v_sub_nc_u32_e32 v28, v7, v49
	v_cmp_ge_u32_e32 vcc_lo, v7, v49
	v_add_nc_u32_e32 v20, 31, v38
	v_lshlrev_b32_e32 v33, 2, v48
	v_cndmask_b32_e32 v17, v17, v19, vcc_lo
	s_delay_alu instid0(VALU_DEP_3) | instskip(SKIP_1) | instid1(VALU_DEP_3)
	v_ashrrev_i32_e32 v12, 31, v20
	v_cndmask_b32_e32 v7, v7, v28, vcc_lo
	v_add_nc_u32_e32 v19, 1, v17
	s_delay_alu instid0(VALU_DEP_3) | instskip(NEXT) | instid1(VALU_DEP_3)
	v_lshrrev_b32_e32 v12, 27, v12
	v_cmp_ge_u32_e32 vcc_lo, v7, v49
	s_delay_alu instid0(VALU_DEP_2) | instskip(NEXT) | instid1(VALU_DEP_4)
	v_dual_mov_b32 v67, 0xff7fffff :: v_dual_add_nc_u32 v20, v20, v12
	v_cndmask_b32_e32 v7, v17, v19, vcc_lo
	v_mul_lo_u32 v12, v16, v23
	v_ashrrev_i32_e32 v19, 31, v18
	v_add_nc_u32_e32 v16, s13, v39
	v_ashrrev_i32_e32 v54, 5, v20
	v_xor_b32_e32 v7, v7, v21
	v_lshl_add_u32 v23, v39, 5, s3
	v_lshlrev_b64 v[18:19], 2, v[18:19]
	v_ashrrev_i32_e32 v17, 31, v16
	v_min_i32_e32 v52, s0, v54
	v_sub_nc_u32_e32 v7, v7, v21
	v_ashrrev_i32_e32 v64, 31, v12
	s_delay_alu instid0(VALU_DEP_3) | instskip(NEXT) | instid1(VALU_DEP_3)
	v_cmp_lt_i32_e64 s0, v16, v52
	v_sub_nc_u32_e32 v53, v7, v29
	s_delay_alu instid0(VALU_DEP_2)
	s_and_saveexec_b32 s19, s0
	s_cbranch_execz .LBB352_1041
; %bb.10:
	v_max_i32_e32 v68, v30, v55
	s_ashr_i32 s7, s6, 31
	s_getpc_b64 s[16:17]
	s_add_u32 s16, s16, llvm.amdgcn.dynlds.offset.table@rel32@lo+4
	s_addc_u32 s17, s17, llvm.amdgcn.dynlds.offset.table@rel32@hi+12
	v_lshl_or_b32 v69, v39, 7, v33
	s_lshl_b64 s[20:21], s[6:7], 2
	v_cvt_f32_u32_e32 v7, v68
	v_sub_nc_u32_e32 v33, 0, v68
	s_add_u32 s16, s20, s16
	s_addc_u32 s17, s21, s17
	v_add_co_u32 v20, vcc_lo, v8, v12
	v_rcp_iflag_f32_e32 v7, v7
	v_dual_mov_b32 v8, 0 :: v_dual_lshlrev_b32 v31, 4, v48
	s_load_b32 s7, s[16:17], 0x0
	v_add_co_ci_u32_e32 v21, vcc_lo, v9, v64, vcc_lo
	v_lshlrev_b64 v[28:29], 2, v[16:17]
	s_delay_alu instid0(VALU_DEP_3) | instskip(NEXT) | instid1(VALU_DEP_1)
	v_add_co_u32 v20, s1, v20, v31
	v_add_co_ci_u32_e64 v21, s1, 0, v21, s1
	s_waitcnt_depctr 0xfff
	v_mul_f32_e32 v7, 0x4f7ffffe, v7
	v_add_co_u32 v28, s1, v18, v28
	v_sub_nc_u32_e32 v32, v48, v38
	v_add_co_ci_u32_e64 v29, s1, v19, v29, s1
	s_delay_alu instid0(VALU_DEP_4) | instskip(NEXT) | instid1(VALU_DEP_4)
	v_cvt_u32_f32_e32 v7, v7
	v_add_co_u32 v28, s1, v14, v28
	v_cmp_neq_f32_e32 vcc_lo, 0, v65
	v_lshl_add_u32 v9, v39, 5, s3
	s_delay_alu instid0(VALU_DEP_4)
	v_mul_lo_u32 v33, v33, v7
	v_dual_mov_b32 v70, 0xff7fffff :: v_dual_mov_b32 v67, 0xff7fffff
	v_add_nc_u32_e32 v71, 1, v32
	v_add_co_ci_u32_e64 v29, s1, v15, v29, s1
	s_mov_b32 s8, -1
	s_mov_b32 s9, 0xffffff
	s_delay_alu instid0(VALU_DEP_4)
	v_mul_hi_u32 v31, v7, v33
	s_mov_b32 s20, 0
	scratch_store_b32 off, v54, s32 offset:328 ; 4-byte Folded Spill
	v_dual_mov_b32 v81, v16 :: v_dual_add_nc_u32 v80, v7, v31
	s_branch .LBB352_16
.LBB352_11:                             ;   in Loop: Header=BB352_16 Depth=1
	s_or_b32 exec_lo, exec_lo, s24
	v_lshlrev_b32_e32 v7, 8, v34
	v_lshl_add_u32 v32, v36, 10, 0x2000
	s_delay_alu instid0(VALU_DEP_1) | instskip(NEXT) | instid1(VALU_DEP_1)
	v_and_or_b32 v7, 0x8000, v7, v32
	v_lshl_or_b32 v7, v31, 7, v7
	s_delay_alu instid0(VALU_DEP_1)
	v_cvt_f32_f16_e64 v190, v7
.LBB352_12:                             ;   in Loop: Header=BB352_16 Depth=1
	s_or_b32 exec_lo, exec_lo, s23
.LBB352_13:                             ;   in Loop: Header=BB352_16 Depth=1
	s_delay_alu instid0(SALU_CYCLE_1)
	s_or_b32 exec_lo, exec_lo, s22
.LBB352_14:                             ;   in Loop: Header=BB352_16 Depth=1
	s_delay_alu instid0(SALU_CYCLE_1)
	s_or_b32 exec_lo, exec_lo, s21
	v_fma_mixlo_f16 v105, v82, v89, 0
	v_fma_mixlo_f16 v89, v82, v35, 0
	;; [unrolled: 1-line block ×5, first 2 shown]
	ds_load_b128 v[188:191], v8
	v_fma_mixlo_f16 v187, v82, v83, 0
	v_fma_mixlo_f16 v186, v82, v84, 0
	;; [unrolled: 1-line block ×123, first 2 shown]
	s_waitcnt lgkmcnt(0)
	v_lshrrev_b32_e32 v82, 16, v188
	v_and_b32_e32 v97, 0xffff, v188
	s_load_b32 s21, s[16:17], 0x0
	;;#ASMSTART
	v_cvt_f32_f16 v97, v97;
	;;#ASMEND
	;;#ASMSTART
	v_cvt_f32_f16 v98, v82;
	;;#ASMEND
	v_and_b32_e32 v82, 0xffff, v187
	;;#ASMSTART
	v_cvt_f32_f16 v174, v82;
	;;#ASMEND
	v_and_b32_e32 v82, 0xffff, v186
	;;#ASMSTART
	v_cvt_f32_f16 v175, v82;
	;;#ASMEND
	v_lshrrev_b32_e32 v82, 16, v189
	v_and_b32_e32 v184, 0xffff, v189
	;;#ASMSTART
	v_cvt_f32_f16 v188, v184;
	;;#ASMEND
	;;#ASMSTART
	v_cvt_f32_f16 v189, v82;
	;;#ASMEND
	v_and_b32_e32 v82, 0xffff, v114
	;;#ASMSTART
	v_cvt_f32_f16 v114, v82;
	;;#ASMEND
	v_and_b32_e32 v82, 0xffff, v113
	;;#ASMSTART
	v_cvt_f32_f16 v113, v82;
	;;#ASMEND
	v_lshrrev_b32_e32 v82, 16, v190
	v_and_b32_e32 v184, 0xffff, v190
	;; [unrolled: 16-line block ×3, first 2 shown]
	;;#ASMSTART
	v_cvt_f32_f16 v191, v184;
	;;#ASMEND
	;;#ASMSTART
	v_cvt_f32_f16 v64, v82;
	;;#ASMEND
	v_and_b32_e32 v82, 0xffff, v96
	;;#ASMSTART
	v_cvt_f32_f16 v54, v82;
	;;#ASMEND
	v_and_b32_e32 v82, 0xffff, v87
	;;#ASMSTART
	v_cvt_f32_f16 v66, v82;
	;;#ASMEND
	ds_load_b128 v[184:187], v8 offset:16
	v_and_b32_e32 v129, 0xffff, v129
	v_and_b32_e32 v102, 0xffff, v102
	;; [unrolled: 1-line block ×7, first 2 shown]
	s_waitcnt lgkmcnt(0)
	v_lshrrev_b32_e32 v82, 16, v184
	v_and_b32_e32 v87, 0xffff, v184
	;;#ASMSTART
	v_cvt_f32_f16 v87, v87;
	;;#ASMEND
	;;#ASMSTART
	v_cvt_f32_f16 v96, v82;
	;;#ASMEND
	v_and_b32_e32 v82, 0xffff, v130
	;;#ASMSTART
	v_cvt_f32_f16 v82, v82;
	;;#ASMEND
	s_delay_alu instid0(VALU_DEP_1)
	v_dual_mul_f32 v82, v87, v82 :: v_dual_add_nc_u32 v31, v48, v9
	v_add_nc_u32_e32 v7, v71, v9
	;;#ASMSTART
	v_cvt_f32_f16 v129, v129;
	;;#ASMEND
	v_mul_f32_e32 v87, v96, v129
	v_lshrrev_b32_e32 v96, 16, v185
	v_fmac_f32_e32 v82, v97, v174
	v_cvt_f32_i32_e32 v7, v7
	v_and_b32_e32 v97, 0xffff, v185
	v_fmac_f32_e32 v87, v98, v175
	;;#ASMSTART
	v_cvt_f32_f16 v97, v97;
	;;#ASMEND
	;;#ASMSTART
	v_cvt_f32_f16 v96, v96;
	;;#ASMEND
	v_dual_mul_f32 v7, v65, v7 :: v_dual_and_b32 v98, 0xffff, v128
	v_and_b32_e32 v119, 0xffff, v119
	v_cmp_lt_i32_e64 s1, v31, v38
	;;#ASMSTART
	v_cvt_f32_f16 v98, v98;
	;;#ASMEND
	;;#ASMSTART
	v_cvt_f32_f16 v119, v119;
	;;#ASMEND
	s_delay_alu instid0(VALU_DEP_2) | instskip(SKIP_3) | instid1(VALU_DEP_4)
	v_dual_mul_f32 v96, v96, v119 :: v_dual_add_nc_u32 v31, s21, v69
	v_mul_f32_e32 v97, v97, v98
	v_cndmask_b32_e32 v7, 0, v7, vcc_lo
	v_lshrrev_b32_e32 v98, 16, v186
	v_dual_fmac_f32 v96, v189, v113 :: v_dual_and_b32 v113, 0xffff, v186
	;;#ASMSTART
	v_cvt_f32_f16 v113, v113;
	;;#ASMEND
	;;#ASMSTART
	v_cvt_f32_f16 v98, v98;
	;;#ASMEND
	v_fmac_f32_e32 v97, v188, v114
	;;#ASMSTART
	v_cvt_f32_f16 v102, v102;
	;;#ASMEND
	v_and_b32_e32 v99, 0xffff, v99
	;;#ASMSTART
	v_cvt_f32_f16 v114, v99;
	;;#ASMEND
	v_mul_f32_e32 v98, v98, v114
	v_dual_mul_f32 v99, v113, v102 :: v_dual_and_b32 v102, 0xffff, v187
	;;#ASMSTART
	v_cvt_f32_f16 v102, v102;
	;;#ASMEND
	s_delay_alu instid0(VALU_DEP_2)
	v_fmac_f32_e32 v98, v55, v103
	v_lshrrev_b32_e32 v55, 16, v187
	v_and_b32_e32 v101, 0xffff, v101
	;;#ASMSTART
	v_cvt_f32_f16 v55, v55;
	;;#ASMEND
	;;#ASMSTART
	v_cvt_f32_f16 v101, v101;
	;;#ASMEND
	;; [unrolled: 3-line block ×3, first 2 shown]
	ds_load_b128 v[184:187], v8 offset:32
	v_dual_mul_f32 v101, v102, v101 :: v_dual_mul_f32 v100, v55, v100
	v_fmac_f32_e32 v99, v190, v112
	s_delay_alu instid0(VALU_DEP_2) | instskip(NEXT) | instid1(VALU_DEP_3)
	v_fmac_f32_e32 v101, v191, v54
	v_fmac_f32_e32 v100, v64, v66
	v_and_b32_e32 v64, 0xffff, v146
	v_and_b32_e32 v66, 0xffff, v145
	s_waitcnt lgkmcnt(0)
	v_lshrrev_b32_e32 v54, 16, v184
	v_and_b32_e32 v55, 0xffff, v184
	;;#ASMSTART
	v_cvt_f32_f16 v55, v55;
	;;#ASMEND
	;;#ASMSTART
	v_cvt_f32_f16 v54, v54;
	;;#ASMEND
	;;#ASMSTART
	v_cvt_f32_f16 v64, v64;
	;;#ASMEND
	;;#ASMSTART
	v_cvt_f32_f16 v66, v66;
	;;#ASMEND
	v_dual_fmac_f32 v82, v55, v64 :: v_dual_fmac_f32 v87, v54, v66
	v_lshrrev_b32_e32 v54, 16, v185
	v_and_b32_e32 v55, 0xffff, v185
	v_and_b32_e32 v64, 0xffff, v144
	v_and_b32_e32 v66, 0xffff, v135
	;;#ASMSTART
	v_cvt_f32_f16 v55, v55;
	;;#ASMEND
	;;#ASMSTART
	v_cvt_f32_f16 v54, v54;
	;;#ASMEND
	;;#ASMSTART
	v_cvt_f32_f16 v64, v64;
	;;#ASMEND
	;;#ASMSTART
	v_cvt_f32_f16 v66, v66;
	;;#ASMEND
	v_dual_fmac_f32 v97, v55, v64 :: v_dual_fmac_f32 v96, v54, v66
	v_lshrrev_b32_e32 v54, 16, v186
	v_and_b32_e32 v55, 0xffff, v186
	v_and_b32_e32 v64, 0xffff, v118
	;; [unrolled: 17-line block ×3, first 2 shown]
	v_and_b32_e32 v66, 0xffff, v115
	;;#ASMSTART
	v_cvt_f32_f16 v55, v55;
	;;#ASMEND
	;;#ASMSTART
	v_cvt_f32_f16 v54, v54;
	;;#ASMEND
	;;#ASMSTART
	v_cvt_f32_f16 v64, v64;
	;;#ASMEND
	;;#ASMSTART
	v_cvt_f32_f16 v66, v66;
	;;#ASMEND
	ds_load_b128 v[112:115], v8 offset:48
	v_dual_fmac_f32 v101, v55, v64 :: v_dual_fmac_f32 v100, v54, v66
	v_and_b32_e32 v64, 0xffff, v162
	v_and_b32_e32 v66, 0xffff, v161
	s_waitcnt lgkmcnt(0)
	v_lshrrev_b32_e32 v54, 16, v112
	v_and_b32_e32 v55, 0xffff, v112
	;;#ASMSTART
	v_cvt_f32_f16 v55, v55;
	;;#ASMEND
	;;#ASMSTART
	v_cvt_f32_f16 v54, v54;
	;;#ASMEND
	;;#ASMSTART
	v_cvt_f32_f16 v64, v64;
	;;#ASMEND
	;;#ASMSTART
	v_cvt_f32_f16 v66, v66;
	;;#ASMEND
	v_dual_fmac_f32 v82, v55, v64 :: v_dual_fmac_f32 v87, v54, v66
	v_lshrrev_b32_e32 v54, 16, v113
	v_and_b32_e32 v55, 0xffff, v113
	v_and_b32_e32 v64, 0xffff, v160
	v_and_b32_e32 v66, 0xffff, v151
	;;#ASMSTART
	v_cvt_f32_f16 v55, v55;
	;;#ASMEND
	;;#ASMSTART
	v_cvt_f32_f16 v54, v54;
	;;#ASMEND
	;;#ASMSTART
	v_cvt_f32_f16 v64, v64;
	;;#ASMEND
	;;#ASMSTART
	v_cvt_f32_f16 v66, v66;
	;;#ASMEND
	v_dual_fmac_f32 v97, v55, v64 :: v_dual_fmac_f32 v96, v54, v66
	v_lshrrev_b32_e32 v54, 16, v114
	v_and_b32_e32 v55, 0xffff, v114
	v_and_b32_e32 v64, 0xffff, v134
	;; [unrolled: 17-line block ×3, first 2 shown]
	v_and_b32_e32 v66, 0xffff, v131
	;;#ASMSTART
	v_cvt_f32_f16 v55, v55;
	;;#ASMEND
	;;#ASMSTART
	v_cvt_f32_f16 v54, v54;
	;;#ASMEND
	;; [unrolled: 3-line block ×4, first 2 shown]
	ds_load_b128 v[112:115], v8 offset:64
	v_dual_fmac_f32 v101, v55, v64 :: v_dual_fmac_f32 v100, v54, v66
	v_and_b32_e32 v64, 0xffff, v178
	v_and_b32_e32 v66, 0xffff, v177
	s_waitcnt lgkmcnt(0)
	v_lshrrev_b32_e32 v54, 16, v112
	v_and_b32_e32 v55, 0xffff, v112
	;;#ASMSTART
	v_cvt_f32_f16 v55, v55;
	;;#ASMEND
	;;#ASMSTART
	v_cvt_f32_f16 v54, v54;
	;;#ASMEND
	;; [unrolled: 3-line block ×4, first 2 shown]
	v_dual_fmac_f32 v82, v55, v64 :: v_dual_and_b32 v55, 0xffff, v113
	v_fmac_f32_e32 v87, v54, v66
	v_lshrrev_b32_e32 v54, 16, v113
	v_and_b32_e32 v64, 0xffff, v176
	v_and_b32_e32 v66, 0xffff, v167
	;;#ASMSTART
	v_cvt_f32_f16 v55, v55;
	;;#ASMEND
	;;#ASMSTART
	v_cvt_f32_f16 v54, v54;
	;;#ASMEND
	;; [unrolled: 3-line block ×4, first 2 shown]
	v_dual_fmac_f32 v97, v55, v64 :: v_dual_fmac_f32 v96, v54, v66
	v_lshrrev_b32_e32 v54, 16, v114
	v_and_b32_e32 v55, 0xffff, v114
	v_and_b32_e32 v64, 0xffff, v150
	v_and_b32_e32 v66, 0xffff, v149
	;;#ASMSTART
	v_cvt_f32_f16 v55, v55;
	;;#ASMEND
	;;#ASMSTART
	v_cvt_f32_f16 v54, v54;
	;;#ASMEND
	;;#ASMSTART
	v_cvt_f32_f16 v64, v64;
	;;#ASMEND
	;;#ASMSTART
	v_cvt_f32_f16 v66, v66;
	;;#ASMEND
	v_dual_fmac_f32 v99, v55, v64 :: v_dual_fmac_f32 v98, v54, v66
	v_lshrrev_b32_e32 v54, 16, v115
	v_and_b32_e32 v55, 0xffff, v115
	v_and_b32_e32 v64, 0xffff, v148
	;; [unrolled: 1-line block ×3, first 2 shown]
	;;#ASMSTART
	v_cvt_f32_f16 v55, v55;
	;;#ASMEND
	;;#ASMSTART
	v_cvt_f32_f16 v54, v54;
	;;#ASMEND
	;; [unrolled: 3-line block ×4, first 2 shown]
	ds_load_b128 v[112:115], v8 offset:80
	v_dual_fmac_f32 v101, v55, v64 :: v_dual_fmac_f32 v100, v54, v66
	v_and_b32_e32 v64, 0xffff, v42
	v_and_b32_e32 v66, 0xffff, v41
	s_waitcnt lgkmcnt(0)
	v_lshrrev_b32_e32 v54, 16, v112
	v_and_b32_e32 v55, 0xffff, v112
	;;#ASMSTART
	v_cvt_f32_f16 v55, v55;
	;;#ASMEND
	;;#ASMSTART
	v_cvt_f32_f16 v54, v54;
	;;#ASMEND
	;; [unrolled: 3-line block ×4, first 2 shown]
	v_dual_fmac_f32 v82, v55, v64 :: v_dual_and_b32 v55, 0xffff, v113
	v_fmac_f32_e32 v87, v54, v66
	v_lshrrev_b32_e32 v54, 16, v113
	v_and_b32_e32 v64, 0xffff, v40
	v_and_b32_e32 v66, 0xffff, v183
	;;#ASMSTART
	v_cvt_f32_f16 v55, v55;
	;;#ASMEND
	;;#ASMSTART
	v_cvt_f32_f16 v54, v54;
	;;#ASMEND
	;; [unrolled: 3-line block ×4, first 2 shown]
	v_dual_fmac_f32 v97, v55, v64 :: v_dual_fmac_f32 v96, v54, v66
	v_lshrrev_b32_e32 v54, 16, v114
	v_and_b32_e32 v55, 0xffff, v114
	v_and_b32_e32 v64, 0xffff, v166
	;; [unrolled: 1-line block ×3, first 2 shown]
	;;#ASMSTART
	v_cvt_f32_f16 v55, v55;
	;;#ASMEND
	;;#ASMSTART
	v_cvt_f32_f16 v54, v54;
	;;#ASMEND
	;; [unrolled: 3-line block ×4, first 2 shown]
	v_dual_fmac_f32 v99, v55, v64 :: v_dual_fmac_f32 v98, v54, v66
	v_lshrrev_b32_e32 v54, 16, v115
	v_and_b32_e32 v55, 0xffff, v115
	v_and_b32_e32 v64, 0xffff, v164
	;; [unrolled: 1-line block ×3, first 2 shown]
	;;#ASMSTART
	v_cvt_f32_f16 v55, v55;
	;;#ASMEND
	;;#ASMSTART
	v_cvt_f32_f16 v54, v54;
	;;#ASMEND
	;; [unrolled: 3-line block ×4, first 2 shown]
	ds_load_b128 v[112:115], v8 offset:96
	v_dual_fmac_f32 v101, v55, v64 :: v_dual_fmac_f32 v100, v54, v66
	v_and_b32_e32 v64, 0xffff, v58
	v_and_b32_e32 v66, 0xffff, v57
	s_waitcnt lgkmcnt(0)
	v_lshrrev_b32_e32 v54, 16, v112
	v_and_b32_e32 v55, 0xffff, v112
	;;#ASMSTART
	v_cvt_f32_f16 v55, v55;
	;;#ASMEND
	;;#ASMSTART
	v_cvt_f32_f16 v54, v54;
	;;#ASMEND
	;; [unrolled: 3-line block ×4, first 2 shown]
	v_dual_fmac_f32 v82, v55, v64 :: v_dual_and_b32 v55, 0xffff, v113
	v_fmac_f32_e32 v87, v54, v66
	v_lshrrev_b32_e32 v54, 16, v113
	v_and_b32_e32 v64, 0xffff, v56
	v_and_b32_e32 v66, 0xffff, v47
	;;#ASMSTART
	v_cvt_f32_f16 v55, v55;
	;;#ASMEND
	;;#ASMSTART
	v_cvt_f32_f16 v54, v54;
	;;#ASMEND
	;; [unrolled: 3-line block ×4, first 2 shown]
	v_dual_fmac_f32 v97, v55, v64 :: v_dual_fmac_f32 v96, v54, v66
	v_lshrrev_b32_e32 v54, 16, v114
	v_and_b32_e32 v55, 0xffff, v114
	v_and_b32_e32 v64, 0xffff, v182
	v_and_b32_e32 v66, 0xffff, v181
	;;#ASMSTART
	v_cvt_f32_f16 v55, v55;
	;;#ASMEND
	;;#ASMSTART
	v_cvt_f32_f16 v54, v54;
	;;#ASMEND
	;; [unrolled: 3-line block ×4, first 2 shown]
	v_dual_fmac_f32 v99, v55, v64 :: v_dual_fmac_f32 v98, v54, v66
	v_and_b32_e32 v55, 0xffff, v115
	v_lshrrev_b32_e32 v54, 16, v115
	v_and_b32_e32 v64, 0xffff, v180
	v_and_b32_e32 v66, 0xffff, v179
	;;#ASMSTART
	v_cvt_f32_f16 v55, v55;
	;;#ASMEND
	;;#ASMSTART
	v_cvt_f32_f16 v54, v54;
	;;#ASMEND
	;; [unrolled: 3-line block ×4, first 2 shown]
	ds_load_b128 v[112:115], v8 offset:112
	v_dual_fmac_f32 v101, v55, v64 :: v_dual_fmac_f32 v100, v54, v66
	v_and_b32_e32 v64, 0xffff, v74
	v_and_b32_e32 v66, 0xffff, v73
	s_waitcnt lgkmcnt(0)
	v_lshrrev_b32_e32 v54, 16, v112
	v_and_b32_e32 v55, 0xffff, v112
	;;#ASMSTART
	v_cvt_f32_f16 v55, v55;
	;;#ASMEND
	;;#ASMSTART
	v_cvt_f32_f16 v54, v54;
	;;#ASMEND
	;; [unrolled: 3-line block ×4, first 2 shown]
	v_dual_fmac_f32 v82, v55, v64 :: v_dual_and_b32 v55, 0xffff, v113
	v_fmac_f32_e32 v87, v54, v66
	v_lshrrev_b32_e32 v54, 16, v113
	v_and_b32_e32 v64, 0xffff, v72
	v_and_b32_e32 v66, 0xffff, v63
	;;#ASMSTART
	v_cvt_f32_f16 v55, v55;
	;;#ASMEND
	;;#ASMSTART
	v_cvt_f32_f16 v54, v54;
	;;#ASMEND
	;; [unrolled: 3-line block ×4, first 2 shown]
	v_dual_fmac_f32 v97, v55, v64 :: v_dual_fmac_f32 v96, v54, v66
	v_lshrrev_b32_e32 v54, 16, v114
	v_and_b32_e32 v55, 0xffff, v114
	v_and_b32_e32 v64, 0xffff, v46
	;; [unrolled: 1-line block ×3, first 2 shown]
	;;#ASMSTART
	v_cvt_f32_f16 v55, v55;
	;;#ASMEND
	;;#ASMSTART
	v_cvt_f32_f16 v54, v54;
	;;#ASMEND
	;; [unrolled: 3-line block ×4, first 2 shown]
	v_dual_fmac_f32 v99, v55, v64 :: v_dual_fmac_f32 v98, v54, v66
	v_lshrrev_b32_e32 v54, 16, v115
	v_and_b32_e32 v55, 0xffff, v115
	v_and_b32_e32 v64, 0xffff, v44
	;; [unrolled: 1-line block ×3, first 2 shown]
	;;#ASMSTART
	v_cvt_f32_f16 v55, v55;
	;;#ASMEND
	;;#ASMSTART
	v_cvt_f32_f16 v54, v54;
	;;#ASMEND
	;; [unrolled: 3-line block ×4, first 2 shown]
	ds_load_b128 v[112:115], v8 offset:128
	v_dual_fmac_f32 v101, v55, v64 :: v_dual_fmac_f32 v100, v54, v66
	v_and_b32_e32 v64, 0xffff, v91
	v_and_b32_e32 v66, 0xffff, v90
	s_waitcnt lgkmcnt(0)
	v_lshrrev_b32_e32 v54, 16, v112
	v_and_b32_e32 v55, 0xffff, v112
	;;#ASMSTART
	v_cvt_f32_f16 v55, v55;
	;;#ASMEND
	;;#ASMSTART
	v_cvt_f32_f16 v54, v54;
	;;#ASMEND
	;;#ASMSTART
	v_cvt_f32_f16 v64, v64;
	;;#ASMEND
	;;#ASMSTART
	v_cvt_f32_f16 v66, v66;
	;;#ASMEND
	v_dual_fmac_f32 v82, v55, v64 :: v_dual_fmac_f32 v87, v54, v66
	v_lshrrev_b32_e32 v54, 16, v113
	v_and_b32_e32 v55, 0xffff, v113
	v_and_b32_e32 v64, 0xffff, v88
	v_and_b32_e32 v66, 0xffff, v79
	;;#ASMSTART
	v_cvt_f32_f16 v55, v55;
	;;#ASMEND
	;;#ASMSTART
	v_cvt_f32_f16 v54, v54;
	;;#ASMEND
	;;#ASMSTART
	v_cvt_f32_f16 v64, v64;
	;;#ASMEND
	;;#ASMSTART
	v_cvt_f32_f16 v66, v66;
	;;#ASMEND
	v_dual_fmac_f32 v97, v55, v64 :: v_dual_fmac_f32 v96, v54, v66
	v_lshrrev_b32_e32 v54, 16, v114
	v_and_b32_e32 v55, 0xffff, v114
	v_and_b32_e32 v64, 0xffff, v62
	;; [unrolled: 17-line block ×3, first 2 shown]
	v_and_b32_e32 v66, 0xffff, v59
	;;#ASMSTART
	v_cvt_f32_f16 v55, v55;
	;;#ASMEND
	;;#ASMSTART
	v_cvt_f32_f16 v54, v54;
	;;#ASMEND
	;; [unrolled: 3-line block ×4, first 2 shown]
	ds_load_b128 v[112:115], v8 offset:144
	v_dual_fmac_f32 v101, v55, v64 :: v_dual_fmac_f32 v100, v54, v66
	v_and_b32_e32 v64, 0xffff, v143
	v_and_b32_e32 v66, 0xffff, v142
	s_waitcnt lgkmcnt(0)
	v_lshrrev_b32_e32 v54, 16, v112
	v_and_b32_e32 v55, 0xffff, v112
	;;#ASMSTART
	v_cvt_f32_f16 v55, v55;
	;;#ASMEND
	;;#ASMSTART
	v_cvt_f32_f16 v54, v54;
	;;#ASMEND
	;; [unrolled: 3-line block ×4, first 2 shown]
	v_dual_fmac_f32 v82, v55, v64 :: v_dual_fmac_f32 v87, v54, v66
	v_lshrrev_b32_e32 v54, 16, v113
	v_and_b32_e32 v55, 0xffff, v113
	v_and_b32_e32 v64, 0xffff, v137
	;; [unrolled: 1-line block ×3, first 2 shown]
	;;#ASMSTART
	v_cvt_f32_f16 v55, v55;
	;;#ASMEND
	;;#ASMSTART
	v_cvt_f32_f16 v54, v54;
	;;#ASMEND
	;; [unrolled: 3-line block ×4, first 2 shown]
	v_fmac_f32_e32 v97, v55, v64
	v_and_b32_e32 v55, 0xffff, v114
	v_fmac_f32_e32 v96, v54, v66
	v_lshrrev_b32_e32 v54, 16, v114
	v_and_b32_e32 v64, 0xffff, v78
	v_and_b32_e32 v66, 0xffff, v77
	;;#ASMSTART
	v_cvt_f32_f16 v55, v55;
	;;#ASMEND
	;;#ASMSTART
	v_cvt_f32_f16 v54, v54;
	;;#ASMEND
	;; [unrolled: 3-line block ×4, first 2 shown]
	v_dual_fmac_f32 v99, v55, v64 :: v_dual_fmac_f32 v98, v54, v66
	v_lshrrev_b32_e32 v54, 16, v115
	v_and_b32_e32 v55, 0xffff, v115
	v_and_b32_e32 v64, 0xffff, v76
	;; [unrolled: 1-line block ×3, first 2 shown]
	;;#ASMSTART
	v_cvt_f32_f16 v55, v55;
	;;#ASMEND
	;;#ASMSTART
	v_cvt_f32_f16 v54, v54;
	;;#ASMEND
	;; [unrolled: 3-line block ×4, first 2 shown]
	ds_load_b128 v[112:115], v8 offset:160
	v_dual_fmac_f32 v101, v55, v64 :: v_dual_fmac_f32 v100, v54, v66
	v_and_b32_e32 v64, 0xffff, v173
	v_and_b32_e32 v66, 0xffff, v172
	s_waitcnt lgkmcnt(0)
	v_lshrrev_b32_e32 v54, 16, v112
	v_and_b32_e32 v55, 0xffff, v112
	;;#ASMSTART
	v_cvt_f32_f16 v55, v55;
	;;#ASMEND
	;;#ASMSTART
	v_cvt_f32_f16 v54, v54;
	;;#ASMEND
	;;#ASMSTART
	v_cvt_f32_f16 v64, v64;
	;;#ASMEND
	;;#ASMSTART
	v_cvt_f32_f16 v66, v66;
	;;#ASMEND
	v_dual_fmac_f32 v82, v55, v64 :: v_dual_fmac_f32 v87, v54, v66
	v_lshrrev_b32_e32 v54, 16, v113
	v_and_b32_e32 v55, 0xffff, v113
	v_and_b32_e32 v64, 0xffff, v171
	v_and_b32_e32 v66, 0xffff, v170
	;;#ASMSTART
	v_cvt_f32_f16 v55, v55;
	;;#ASMEND
	;;#ASMSTART
	v_cvt_f32_f16 v54, v54;
	;;#ASMEND
	;;#ASMSTART
	v_cvt_f32_f16 v64, v64;
	;;#ASMEND
	;;#ASMSTART
	v_cvt_f32_f16 v66, v66;
	;;#ASMEND
	v_dual_fmac_f32 v97, v55, v64 :: v_dual_fmac_f32 v96, v54, v66
	v_lshrrev_b32_e32 v54, 16, v114
	v_and_b32_e32 v55, 0xffff, v114
	v_and_b32_e32 v64, 0xffff, v120
	;; [unrolled: 17-line block ×3, first 2 shown]
	v_and_b32_e32 v66, 0xffff, v106
	;;#ASMSTART
	v_cvt_f32_f16 v55, v55;
	;;#ASMEND
	;;#ASMSTART
	v_cvt_f32_f16 v54, v54;
	;;#ASMEND
	;; [unrolled: 3-line block ×4, first 2 shown]
	ds_load_b128 v[112:115], v8 offset:176
	v_dual_fmac_f32 v101, v55, v64 :: v_dual_fmac_f32 v100, v54, v66
	v_and_b32_e32 v64, 0xffff, v169
	v_and_b32_e32 v66, 0xffff, v168
	s_waitcnt lgkmcnt(0)
	v_lshrrev_b32_e32 v54, 16, v112
	v_and_b32_e32 v55, 0xffff, v112
	;;#ASMSTART
	v_cvt_f32_f16 v55, v55;
	;;#ASMEND
	;;#ASMSTART
	v_cvt_f32_f16 v54, v54;
	;;#ASMEND
	;; [unrolled: 3-line block ×4, first 2 shown]
	v_dual_fmac_f32 v82, v55, v64 :: v_dual_fmac_f32 v87, v54, v66
	v_lshrrev_b32_e32 v54, 16, v113
	v_and_b32_e32 v55, 0xffff, v113
	v_and_b32_e32 v64, 0xffff, v159
	;; [unrolled: 1-line block ×3, first 2 shown]
	;;#ASMSTART
	v_cvt_f32_f16 v55, v55;
	;;#ASMEND
	;;#ASMSTART
	v_cvt_f32_f16 v54, v54;
	;;#ASMEND
	;; [unrolled: 3-line block ×4, first 2 shown]
	v_dual_fmac_f32 v97, v55, v64 :: v_dual_fmac_f32 v96, v54, v66
	v_lshrrev_b32_e32 v54, 16, v114
	v_and_b32_e32 v55, 0xffff, v114
	v_and_b32_e32 v64, 0xffff, v157
	;; [unrolled: 1-line block ×3, first 2 shown]
	;;#ASMSTART
	v_cvt_f32_f16 v55, v55;
	;;#ASMEND
	;;#ASMSTART
	v_cvt_f32_f16 v54, v54;
	;;#ASMEND
	;; [unrolled: 3-line block ×4, first 2 shown]
	v_fmac_f32_e32 v99, v55, v64
	v_dual_fmac_f32 v98, v54, v66 :: v_dual_and_b32 v55, 0xffff, v115
	v_lshrrev_b32_e32 v54, 16, v115
	v_and_b32_e32 v64, 0xffff, v155
	v_and_b32_e32 v66, 0xffff, v154
	;;#ASMSTART
	v_cvt_f32_f16 v55, v55;
	;;#ASMEND
	;;#ASMSTART
	v_cvt_f32_f16 v54, v54;
	;;#ASMEND
	;; [unrolled: 3-line block ×4, first 2 shown]
	ds_load_b128 v[112:115], v8 offset:192
	v_dual_fmac_f32 v101, v55, v64 :: v_dual_fmac_f32 v100, v54, v66
	v_and_b32_e32 v64, 0xffff, v153
	v_and_b32_e32 v66, 0xffff, v152
	s_waitcnt lgkmcnt(0)
	v_lshrrev_b32_e32 v54, 16, v112
	v_and_b32_e32 v55, 0xffff, v112
	;;#ASMSTART
	v_cvt_f32_f16 v55, v55;
	;;#ASMEND
	;;#ASMSTART
	v_cvt_f32_f16 v54, v54;
	;;#ASMEND
	;; [unrolled: 3-line block ×4, first 2 shown]
	v_dual_fmac_f32 v82, v55, v64 :: v_dual_fmac_f32 v87, v54, v66
	v_lshrrev_b32_e32 v54, 16, v113
	v_and_b32_e32 v55, 0xffff, v113
	v_and_b32_e32 v64, 0xffff, v141
	;; [unrolled: 1-line block ×3, first 2 shown]
	;;#ASMSTART
	v_cvt_f32_f16 v55, v55;
	;;#ASMEND
	;;#ASMSTART
	v_cvt_f32_f16 v54, v54;
	;;#ASMEND
	;; [unrolled: 3-line block ×4, first 2 shown]
	v_fmac_f32_e32 v97, v55, v64
	v_and_b32_e32 v55, 0xffff, v114
	v_fmac_f32_e32 v96, v54, v66
	v_lshrrev_b32_e32 v54, 16, v114
	v_and_b32_e32 v64, 0xffff, v139
	v_and_b32_e32 v66, 0xffff, v138
	;;#ASMSTART
	v_cvt_f32_f16 v55, v55;
	;;#ASMEND
	;;#ASMSTART
	v_cvt_f32_f16 v54, v54;
	;;#ASMEND
	;; [unrolled: 3-line block ×4, first 2 shown]
	v_fmac_f32_e32 v99, v55, v64
	v_dual_fmac_f32 v98, v54, v66 :: v_dual_and_b32 v55, 0xffff, v115
	v_lshrrev_b32_e32 v54, 16, v115
	v_and_b32_e32 v64, 0xffff, v127
	v_and_b32_e32 v66, 0xffff, v126
	;;#ASMSTART
	v_cvt_f32_f16 v55, v55;
	;;#ASMEND
	;;#ASMSTART
	v_cvt_f32_f16 v54, v54;
	;;#ASMEND
	;; [unrolled: 3-line block ×4, first 2 shown]
	ds_load_b128 v[112:115], v8 offset:208
	v_dual_fmac_f32 v101, v55, v64 :: v_dual_fmac_f32 v100, v54, v66
	v_and_b32_e32 v64, 0xffff, v125
	v_and_b32_e32 v66, 0xffff, v124
	s_waitcnt lgkmcnt(0)
	v_lshrrev_b32_e32 v54, 16, v112
	v_and_b32_e32 v55, 0xffff, v112
	;;#ASMSTART
	v_cvt_f32_f16 v55, v55;
	;;#ASMEND
	;;#ASMSTART
	v_cvt_f32_f16 v54, v54;
	;;#ASMEND
	;; [unrolled: 3-line block ×4, first 2 shown]
	v_dual_fmac_f32 v82, v55, v64 :: v_dual_fmac_f32 v87, v54, v66
	v_lshrrev_b32_e32 v54, 16, v113
	v_and_b32_e32 v55, 0xffff, v113
	v_and_b32_e32 v64, 0xffff, v123
	;; [unrolled: 1-line block ×3, first 2 shown]
	;;#ASMSTART
	v_cvt_f32_f16 v55, v55;
	;;#ASMEND
	;;#ASMSTART
	v_cvt_f32_f16 v54, v54;
	;;#ASMEND
	;; [unrolled: 3-line block ×4, first 2 shown]
	v_fmac_f32_e32 v97, v55, v64
	v_and_b32_e32 v55, 0xffff, v114
	v_fmac_f32_e32 v96, v54, v66
	v_lshrrev_b32_e32 v54, 16, v114
	v_and_b32_e32 v64, 0xffff, v121
	v_and_b32_e32 v66, 0xffff, v110
	;;#ASMSTART
	v_cvt_f32_f16 v55, v55;
	;;#ASMEND
	;;#ASMSTART
	v_cvt_f32_f16 v54, v54;
	;;#ASMEND
	;; [unrolled: 3-line block ×4, first 2 shown]
	v_fmac_f32_e32 v99, v55, v64
	v_dual_fmac_f32 v98, v54, v66 :: v_dual_and_b32 v55, 0xffff, v115
	v_lshrrev_b32_e32 v54, 16, v115
	v_and_b32_e32 v64, 0xffff, v109
	v_and_b32_e32 v66, 0xffff, v108
	;;#ASMSTART
	v_cvt_f32_f16 v55, v55;
	;;#ASMEND
	;;#ASMSTART
	v_cvt_f32_f16 v54, v54;
	;;#ASMEND
	;; [unrolled: 3-line block ×4, first 2 shown]
	ds_load_b128 v[112:115], v8 offset:224
	v_dual_fmac_f32 v101, v55, v64 :: v_dual_fmac_f32 v100, v54, v66
	v_and_b32_e32 v64, 0xffff, v105
	v_and_b32_e32 v66, 0xffff, v104
	s_waitcnt lgkmcnt(0)
	v_lshrrev_b32_e32 v54, 16, v112
	v_and_b32_e32 v55, 0xffff, v112
	;;#ASMSTART
	v_cvt_f32_f16 v55, v55;
	;;#ASMEND
	;;#ASMSTART
	v_cvt_f32_f16 v54, v54;
	;;#ASMEND
	;; [unrolled: 3-line block ×4, first 2 shown]
	v_dual_fmac_f32 v82, v55, v64 :: v_dual_fmac_f32 v87, v54, v66
	v_lshrrev_b32_e32 v54, 16, v113
	v_and_b32_e32 v55, 0xffff, v113
	v_and_b32_e32 v64, 0xffff, v95
	;;#ASMSTART
	v_cvt_f32_f16 v55, v55;
	;;#ASMEND
	;;#ASMSTART
	v_cvt_f32_f16 v54, v54;
	;;#ASMEND
	;; [unrolled: 3-line block ×3, first 2 shown]
	v_and_b32_e32 v66, 0xffff, v94
	;;#ASMSTART
	v_cvt_f32_f16 v66, v66;
	;;#ASMEND
	v_fmac_f32_e32 v97, v55, v64
	v_and_b32_e32 v55, 0xffff, v114
	s_delay_alu instid0(VALU_DEP_3)
	v_fmac_f32_e32 v96, v54, v66
	v_lshrrev_b32_e32 v54, 16, v114
	v_and_b32_e32 v64, 0xffff, v93
	;;#ASMSTART
	v_cvt_f32_f16 v55, v55;
	;;#ASMEND
	;;#ASMSTART
	v_cvt_f32_f16 v54, v54;
	;;#ASMEND
	;; [unrolled: 3-line block ×3, first 2 shown]
	v_and_b32_e32 v66, 0xffff, v92
	;;#ASMSTART
	v_cvt_f32_f16 v66, v66;
	;;#ASMEND
	v_fmac_f32_e32 v99, v55, v64
	s_delay_alu instid0(VALU_DEP_2)
	v_dual_fmac_f32 v98, v54, v66 :: v_dual_and_b32 v55, 0xffff, v115
	v_lshrrev_b32_e32 v54, 16, v115
	v_and_b32_e32 v64, 0xffff, v89
	;;#ASMSTART
	v_cvt_f32_f16 v55, v55;
	;;#ASMEND
	;;#ASMSTART
	v_cvt_f32_f16 v54, v54;
	;;#ASMEND
	;; [unrolled: 3-line block ×4, first 2 shown]
	ds_load_b128 v[112:115], v8 offset:240
	v_fmac_f32_e32 v100, v54, v36
	v_fmac_f32_e32 v101, v55, v64
	v_and_b32_e32 v55, 0xffff, v86
	v_and_b32_e32 v64, 0xffff, v85
	s_waitcnt lgkmcnt(0)
	v_lshrrev_b32_e32 v36, 16, v112
	v_and_b32_e32 v54, 0xffff, v112
	;;#ASMSTART
	v_cvt_f32_f16 v54, v54;
	;;#ASMEND
	;;#ASMSTART
	v_cvt_f32_f16 v36, v36;
	;;#ASMEND
	;; [unrolled: 3-line block ×4, first 2 shown]
	v_dual_fmac_f32 v82, v54, v55 :: v_dual_fmac_f32 v87, v36, v64
	v_lshrrev_b32_e32 v36, 16, v113
	v_and_b32_e32 v54, 0xffff, v113
	;;#ASMSTART
	v_cvt_f32_f16 v54, v54;
	;;#ASMEND
	;;#ASMSTART
	v_cvt_f32_f16 v36, v36;
	;;#ASMEND
	v_and_b32_e32 v55, 0xffff, v84
	v_and_b32_e32 v64, 0xffff, v83
	;;#ASMSTART
	v_cvt_f32_f16 v55, v55;
	;;#ASMEND
	;;#ASMSTART
	v_cvt_f32_f16 v64, v64;
	;;#ASMEND
	s_delay_alu instid0(VALU_DEP_1)
	v_dual_fmac_f32 v97, v54, v55 :: v_dual_fmac_f32 v96, v36, v64
	v_lshrrev_b32_e32 v36, 16, v114
	v_and_b32_e32 v54, 0xffff, v114
	;;#ASMSTART
	v_cvt_f32_f16 v54, v54;
	;;#ASMEND
	;;#ASMSTART
	v_cvt_f32_f16 v36, v36;
	;;#ASMEND
	v_and_b32_e32 v35, 0xffff, v35
	;;#ASMSTART
	v_cvt_f32_f16 v35, v35;
	;;#ASMEND
	;;#ASMSTART
	v_cvt_f32_f16 v34, v34;
	;;#ASMEND
	s_delay_alu instid0(VALU_DEP_1)
	v_dual_fmac_f32 v98, v36, v34 :: v_dual_fmac_f32 v99, v54, v35
	v_lshrrev_b32_e32 v34, 16, v115
	v_and_b32_e32 v35, 0xffff, v115
	;;#ASMSTART
	v_cvt_f32_f16 v35, v35;
	;;#ASMEND
	;;#ASMSTART
	v_cvt_f32_f16 v34, v34;
	;;#ASMEND
	;; [unrolled: 3-line block ×4, first 2 shown]
	v_fmac_f32_e32 v100, v34, v32
	v_dual_add_f32 v32, v82, v87 :: v_dual_fmac_f32 v101, v35, v33
	s_delay_alu instid0(VALU_DEP_1) | instskip(NEXT) | instid1(VALU_DEP_1)
	v_add_f32_e32 v32, v32, v97
	v_add_f32_e32 v32, v96, v32
	s_delay_alu instid0(VALU_DEP_1) | instskip(NEXT) | instid1(VALU_DEP_1)
	v_add_f32_e32 v32, v32, v99
	v_add_f32_e32 v32, v98, v32
	;; [unrolled: 3-line block ×3, first 2 shown]
	s_delay_alu instid0(VALU_DEP_1) | instskip(NEXT) | instid1(VALU_DEP_1)
	v_fmac_f32_e32 v7, v32, v13
	v_cndmask_b32_e64 v32, 0, v7, s1
	ds_store_b32 v31, v32
	v_max_f32_e32 v31, v67, v67
	s_delay_alu instid0(VALU_DEP_1) | instskip(NEXT) | instid1(VALU_DEP_1)
	v_max_f32_e32 v7, v31, v7
	v_cndmask_b32_e64 v67, v67, v7, s1
.LBB352_15:                             ;   in Loop: Header=BB352_16 Depth=1
	s_or_b32 exec_lo, exec_lo, s2
	v_add_nc_u32_e32 v81, 4, v81
	v_add_co_u32 v28, s2, v28, 16
	s_delay_alu instid0(VALU_DEP_1) | instskip(NEXT) | instid1(VALU_DEP_3)
	v_add_co_ci_u32_e64 v29, s2, 0, v29, s2
	v_cmp_ge_i32_e64 s1, v81, v52
	v_add_nc_u32_e32 v9, 0x80, v9
	v_add_nc_u32_e32 v69, 0x200, v69
	s_delay_alu instid0(VALU_DEP_3) | instskip(NEXT) | instid1(SALU_CYCLE_1)
	s_or_b32 s20, s1, s20
	s_and_not1_b32 exec_lo, exec_lo, s20
	s_cbranch_execz .LBB352_1040
.LBB352_16:                             ; =>This Inner Loop Header: Depth=1
	v_sub_nc_u32_e32 v7, 0, v9
	s_delay_alu instid0(VALU_DEP_1) | instskip(NEXT) | instid1(VALU_DEP_1)
	v_max_i32_e32 v7, v9, v7
	v_mul_hi_u32 v31, v7, v50
	s_delay_alu instid0(VALU_DEP_1) | instskip(NEXT) | instid1(VALU_DEP_1)
	v_mul_lo_u32 v32, v31, v49
	v_sub_nc_u32_e32 v7, v7, v32
	v_add_nc_u32_e32 v32, 1, v31
	s_delay_alu instid0(VALU_DEP_2) | instskip(SKIP_1) | instid1(VALU_DEP_1)
	v_sub_nc_u32_e32 v33, v7, v49
	v_cmp_ge_u32_e64 s1, v7, v49
	v_cndmask_b32_e64 v31, v31, v32, s1
	s_delay_alu instid0(VALU_DEP_3) | instskip(SKIP_1) | instid1(VALU_DEP_3)
	v_cndmask_b32_e64 v7, v7, v33, s1
	v_ashrrev_i32_e32 v32, 31, v9
	v_add_nc_u32_e32 v33, 1, v31
	s_delay_alu instid0(VALU_DEP_3) | instskip(NEXT) | instid1(VALU_DEP_3)
	v_cmp_ge_u32_e64 s1, v7, v49
	v_xor_b32_e32 v32, v32, v51
	s_delay_alu instid0(VALU_DEP_2) | instskip(NEXT) | instid1(VALU_DEP_1)
	v_cndmask_b32_e64 v7, v31, v33, s1
	v_xor_b32_e32 v7, v7, v32
	s_delay_alu instid0(VALU_DEP_1) | instskip(NEXT) | instid1(VALU_DEP_1)
	v_sub_nc_u32_e32 v7, v7, v32
	v_add_nc_u32_e32 v31, v7, v6
	v_cmp_le_i32_e64 s2, v7, v53
	s_delay_alu instid0(VALU_DEP_2) | instskip(NEXT) | instid1(VALU_DEP_1)
	v_sub_nc_u32_e32 v32, 0, v31
	v_max_i32_e32 v32, v31, v32
	v_ashrrev_i32_e32 v31, 31, v31
	s_delay_alu instid0(VALU_DEP_2) | instskip(NEXT) | instid1(VALU_DEP_1)
	v_mul_hi_u32 v33, v32, v80
	v_mul_lo_u32 v33, v33, v68
	s_delay_alu instid0(VALU_DEP_1) | instskip(NEXT) | instid1(VALU_DEP_1)
	v_sub_nc_u32_e32 v32, v32, v33
	v_sub_nc_u32_e32 v33, v32, v68
	v_cmp_ge_u32_e64 s1, v32, v68
	s_delay_alu instid0(VALU_DEP_1) | instskip(NEXT) | instid1(VALU_DEP_1)
	v_cndmask_b32_e64 v32, v32, v33, s1
	v_sub_nc_u32_e32 v33, v32, v68
	v_cmp_ge_u32_e64 s1, v32, v68
	s_delay_alu instid0(VALU_DEP_1) | instskip(NEXT) | instid1(VALU_DEP_1)
	v_cndmask_b32_e64 v32, v32, v33, s1
	v_xor_b32_e32 v32, v32, v31
	s_delay_alu instid0(VALU_DEP_1) | instskip(NEXT) | instid1(VALU_DEP_1)
	v_sub_nc_u32_e32 v31, v32, v31
	v_cmp_ne_u32_e64 s1, 0, v31
	s_delay_alu instid0(VALU_DEP_1) | instskip(NEXT) | instid1(SALU_CYCLE_1)
	s_and_b32 s1, s1, s2
	s_and_saveexec_b32 s2, s1
	s_delay_alu instid0(SALU_CYCLE_1)
	s_xor_b32 s1, exec_lo, s2
	s_cbranch_execz .LBB352_18
; %bb.17:                               ;   in Loop: Header=BB352_16 Depth=1
	s_waitcnt lgkmcnt(0)
	v_add_nc_u32_e32 v7, s7, v69
	ds_store_b32 v7, v70
.LBB352_18:                             ;   in Loop: Header=BB352_16 Depth=1
	s_and_not1_saveexec_b32 s2, s1
	s_cbranch_execz .LBB352_15
; %bb.19:                               ;   in Loop: Header=BB352_16 Depth=1
	flat_load_b32 v7, v[28:29]
	v_mov_b32_e32 v83, 0
	s_mov_b32 s21, exec_lo
	v_mov_b32_e32 v84, 0
	s_waitcnt vmcnt(0) lgkmcnt(0)
	v_mad_i64_i32 v[31:32], null, v7, v22, v[20:21]
	flat_load_b64 v[33:34], v[31:32]
	flat_load_b32 v82, v[24:25]
	s_waitcnt vmcnt(1) lgkmcnt(1)
	v_and_b32_e32 v7, 0xff, v33
	s_delay_alu instid0(VALU_DEP_1)
	v_cmpx_ne_u16_e32 0, v7
	s_cbranch_execz .LBB352_27
; %bb.20:                               ;   in Loop: Header=BB352_16 Depth=1
	v_bfrev_b32_e32 v83, 1
	s_mov_b32 s22, exec_lo
	v_cmpx_ne_u16_e32 0x80, v7
	s_cbranch_execz .LBB352_26
; %bb.21:                               ;   in Loop: Header=BB352_16 Depth=1
	v_and_b32_e32 v35, 0x7f, v33
	v_mov_b32_e32 v83, 0x7fc02000
	s_mov_b32 s23, exec_lo
	s_delay_alu instid0(VALU_DEP_2)
	v_cmpx_ne_u32_e32 0x7f, v35
	s_cbranch_execz .LBB352_25
; %bb.22:                               ;   in Loop: Header=BB352_16 Depth=1
	v_lshrrev_b32_e32 v7, 3, v35
	v_cmp_gt_u32_e64 s1, 8, v35
	v_dual_mov_b32 v36, v34 :: v_dual_mov_b32 v35, v33
	s_delay_alu instid0(VALU_DEP_2)
	s_and_saveexec_b32 s24, s1
; %bb.23:                               ;   in Loop: Header=BB352_16 Depth=1
	v_and_b32_e32 v7, 7, v33
	s_delay_alu instid0(VALU_DEP_1) | instskip(NEXT) | instid1(VALU_DEP_1)
	v_clz_i32_u32_e32 v7, v7
	v_min_u32_e32 v7, 32, v7
	s_delay_alu instid0(VALU_DEP_1) | instskip(SKIP_1) | instid1(VALU_DEP_2)
	v_subrev_nc_u32_e32 v35, 28, v7
	v_sub_nc_u32_e32 v7, 29, v7
	v_lshlrev_b64 v[35:36], v35, v[33:34]
; %bb.24:                               ;   in Loop: Header=BB352_16 Depth=1
	s_or_b32 exec_lo, exec_lo, s24
	v_lshlrev_b32_e32 v36, 8, v33
	s_delay_alu instid0(VALU_DEP_3) | instskip(NEXT) | instid1(VALU_DEP_3)
	v_lshl_add_u32 v7, v7, 10, 0x2000
	v_lshlrev_b32_e32 v35, 7, v35
	s_delay_alu instid0(VALU_DEP_2) | instskip(NEXT) | instid1(VALU_DEP_1)
	v_and_or_b32 v7, 0x8000, v36, v7
	v_and_or_b32 v7, 0x380, v35, v7
	s_delay_alu instid0(VALU_DEP_1)
	v_cvt_f32_f16_e32 v83, v7
.LBB352_25:                             ;   in Loop: Header=BB352_16 Depth=1
	s_or_b32 exec_lo, exec_lo, s23
.LBB352_26:                             ;   in Loop: Header=BB352_16 Depth=1
	s_delay_alu instid0(SALU_CYCLE_1)
	s_or_b32 exec_lo, exec_lo, s22
.LBB352_27:                             ;   in Loop: Header=BB352_16 Depth=1
	s_delay_alu instid0(SALU_CYCLE_1) | instskip(SKIP_2) | instid1(VALU_DEP_1)
	s_or_b32 exec_lo, exec_lo, s21
	v_lshrrev_b16 v7, 8, v33
	s_mov_b32 s21, exec_lo
	v_cmpx_ne_u16_e32 0, v7
	s_cbranch_execz .LBB352_35
; %bb.28:                               ;   in Loop: Header=BB352_16 Depth=1
	v_bfrev_b32_e32 v84, 1
	s_mov_b32 s22, exec_lo
	v_cmpx_ne_u16_e32 0x80, v7
	s_cbranch_execz .LBB352_34
; %bb.29:                               ;   in Loop: Header=BB352_16 Depth=1
	v_and_b32_e32 v85, 0xffff, v7
	v_mov_b32_e32 v84, 0x7fc02000
	s_mov_b32 s23, exec_lo
	s_delay_alu instid0(VALU_DEP_2) | instskip(NEXT) | instid1(VALU_DEP_1)
	v_and_b32_e32 v35, 0x7f, v85
	v_cmpx_ne_u32_e32 0x7f, v35
	s_cbranch_execz .LBB352_33
; %bb.30:                               ;   in Loop: Header=BB352_16 Depth=1
	v_and_b32_e32 v7, 7, v85
	v_lshrrev_b32_e32 v84, 3, v35
	v_cmp_gt_u32_e64 s1, 8, v35
	s_delay_alu instid0(VALU_DEP_3) | instskip(NEXT) | instid1(VALU_DEP_2)
	v_dual_mov_b32 v36, v8 :: v_dual_mov_b32 v35, v7
	s_and_saveexec_b32 s24, s1
; %bb.31:                               ;   in Loop: Header=BB352_16 Depth=1
	v_clz_i32_u32_e32 v35, v7
	s_delay_alu instid0(VALU_DEP_1) | instskip(NEXT) | instid1(VALU_DEP_1)
	v_min_u32_e32 v84, 32, v35
	v_subrev_nc_u32_e32 v35, 28, v84
	v_sub_nc_u32_e32 v84, 29, v84
	s_delay_alu instid0(VALU_DEP_2) | instskip(NEXT) | instid1(VALU_DEP_1)
	v_lshlrev_b64 v[35:36], v35, v[7:8]
	v_and_b32_e32 v35, 7, v35
; %bb.32:                               ;   in Loop: Header=BB352_16 Depth=1
	s_or_b32 exec_lo, exec_lo, s24
	v_lshlrev_b32_e32 v7, 8, v85
	v_lshl_add_u32 v36, v84, 10, 0x2000
	s_delay_alu instid0(VALU_DEP_1) | instskip(NEXT) | instid1(VALU_DEP_1)
	v_and_or_b32 v7, 0x8000, v7, v36
	v_lshl_or_b32 v7, v35, 7, v7
	s_delay_alu instid0(VALU_DEP_1)
	v_cvt_f32_f16_e32 v84, v7
.LBB352_33:                             ;   in Loop: Header=BB352_16 Depth=1
	s_or_b32 exec_lo, exec_lo, s23
.LBB352_34:                             ;   in Loop: Header=BB352_16 Depth=1
	s_delay_alu instid0(SALU_CYCLE_1)
	s_or_b32 exec_lo, exec_lo, s22
.LBB352_35:                             ;   in Loop: Header=BB352_16 Depth=1
	s_delay_alu instid0(SALU_CYCLE_1) | instskip(SKIP_3) | instid1(VALU_DEP_2)
	s_or_b32 exec_lo, exec_lo, s21
	v_lshrrev_b32_e32 v87, 16, v33
	v_mov_b32_e32 v85, 0
	s_mov_b32 s21, exec_lo
	v_dual_mov_b32 v86, 0 :: v_dual_and_b32 v7, 0xff, v87
	s_delay_alu instid0(VALU_DEP_1)
	v_cmpx_ne_u16_e32 0, v7
	s_cbranch_execz .LBB352_43
; %bb.36:                               ;   in Loop: Header=BB352_16 Depth=1
	v_bfrev_b32_e32 v85, 1
	s_mov_b32 s22, exec_lo
	v_cmpx_ne_u16_e32 0x80, v7
	s_cbranch_execz .LBB352_42
; %bb.37:                               ;   in Loop: Header=BB352_16 Depth=1
	v_bfe_u32 v35, v33, 16, 7
	v_mov_b32_e32 v85, 0x7fc02000
	s_mov_b32 s23, exec_lo
	s_delay_alu instid0(VALU_DEP_2)
	v_cmpx_ne_u32_e32 0x7f, v35
	s_cbranch_execz .LBB352_41
; %bb.38:                               ;   in Loop: Header=BB352_16 Depth=1
	v_and_b32_e32 v7, 7, v87
	v_lshrrev_b32_e32 v85, 3, v35
	v_cmp_gt_u32_e64 s1, 8, v35
	s_delay_alu instid0(VALU_DEP_3) | instskip(NEXT) | instid1(VALU_DEP_2)
	v_dual_mov_b32 v36, v8 :: v_dual_mov_b32 v35, v7
	s_and_saveexec_b32 s24, s1
; %bb.39:                               ;   in Loop: Header=BB352_16 Depth=1
	v_clz_i32_u32_e32 v35, v7
	s_delay_alu instid0(VALU_DEP_1) | instskip(NEXT) | instid1(VALU_DEP_1)
	v_min_u32_e32 v85, 32, v35
	v_subrev_nc_u32_e32 v35, 28, v85
	v_sub_nc_u32_e32 v85, 29, v85
	s_delay_alu instid0(VALU_DEP_2) | instskip(NEXT) | instid1(VALU_DEP_1)
	v_lshlrev_b64 v[35:36], v35, v[7:8]
	v_and_b32_e32 v35, 7, v35
; %bb.40:                               ;   in Loop: Header=BB352_16 Depth=1
	s_or_b32 exec_lo, exec_lo, s24
	v_lshlrev_b32_e32 v7, 8, v87
	v_lshl_add_u32 v36, v85, 10, 0x2000
	s_delay_alu instid0(VALU_DEP_1) | instskip(NEXT) | instid1(VALU_DEP_1)
	v_and_or_b32 v7, 0x8000, v7, v36
	v_lshl_or_b32 v7, v35, 7, v7
	s_delay_alu instid0(VALU_DEP_1)
	v_cvt_f32_f16_e32 v85, v7
.LBB352_41:                             ;   in Loop: Header=BB352_16 Depth=1
	s_or_b32 exec_lo, exec_lo, s23
.LBB352_42:                             ;   in Loop: Header=BB352_16 Depth=1
	s_delay_alu instid0(SALU_CYCLE_1)
	s_or_b32 exec_lo, exec_lo, s22
.LBB352_43:                             ;   in Loop: Header=BB352_16 Depth=1
	s_delay_alu instid0(SALU_CYCLE_1) | instskip(NEXT) | instid1(SALU_CYCLE_1)
	s_or_b32 exec_lo, exec_lo, s21
	s_mov_b32 s21, exec_lo
	v_cmpx_lt_u32_e32 0xffffff, v33
	s_cbranch_execz .LBB352_51
; %bb.44:                               ;   in Loop: Header=BB352_16 Depth=1
	v_lshrrev_b32_e32 v87, 24, v33
	v_bfrev_b32_e32 v86, 1
	s_mov_b32 s22, exec_lo
	s_delay_alu instid0(VALU_DEP_2)
	v_cmpx_ne_u32_e32 0x80, v87
	s_cbranch_execz .LBB352_50
; %bb.45:                               ;   in Loop: Header=BB352_16 Depth=1
	v_and_b32_e32 v35, 0x7f, v87
	v_mov_b32_e32 v86, 0x7fc02000
	s_mov_b32 s23, exec_lo
	s_delay_alu instid0(VALU_DEP_2)
	v_cmpx_ne_u32_e32 0x7f, v35
	s_cbranch_execz .LBB352_49
; %bb.46:                               ;   in Loop: Header=BB352_16 Depth=1
	v_and_b32_e32 v7, 7, v87
	v_lshrrev_b32_e32 v86, 3, v35
	v_cmp_gt_u32_e64 s1, 8, v35
	s_delay_alu instid0(VALU_DEP_3) | instskip(NEXT) | instid1(VALU_DEP_2)
	v_dual_mov_b32 v36, v8 :: v_dual_mov_b32 v35, v7
	s_and_saveexec_b32 s24, s1
; %bb.47:                               ;   in Loop: Header=BB352_16 Depth=1
	v_clz_i32_u32_e32 v35, v7
	s_delay_alu instid0(VALU_DEP_1) | instskip(NEXT) | instid1(VALU_DEP_1)
	v_min_u32_e32 v86, 32, v35
	v_subrev_nc_u32_e32 v35, 28, v86
	v_sub_nc_u32_e32 v86, 29, v86
	s_delay_alu instid0(VALU_DEP_2) | instskip(NEXT) | instid1(VALU_DEP_1)
	v_lshlrev_b64 v[35:36], v35, v[7:8]
	v_and_b32_e32 v35, 7, v35
; %bb.48:                               ;   in Loop: Header=BB352_16 Depth=1
	s_or_b32 exec_lo, exec_lo, s24
	v_lshlrev_b32_e32 v7, 8, v87
	v_lshl_add_u32 v36, v86, 10, 0x2000
	s_delay_alu instid0(VALU_DEP_1) | instskip(NEXT) | instid1(VALU_DEP_1)
	v_and_or_b32 v7, 0x8000, v7, v36
	v_lshl_or_b32 v7, v35, 7, v7
	s_delay_alu instid0(VALU_DEP_1)
	v_cvt_f32_f16_e32 v86, v7
.LBB352_49:                             ;   in Loop: Header=BB352_16 Depth=1
	s_or_b32 exec_lo, exec_lo, s23
.LBB352_50:                             ;   in Loop: Header=BB352_16 Depth=1
	s_delay_alu instid0(SALU_CYCLE_1)
	s_or_b32 exec_lo, exec_lo, s22
.LBB352_51:                             ;   in Loop: Header=BB352_16 Depth=1
	s_delay_alu instid0(SALU_CYCLE_1) | instskip(SKIP_4) | instid1(VALU_DEP_3)
	s_or_b32 exec_lo, exec_lo, s21
	v_dual_mov_b32 v96, 0 :: v_dual_and_b32 v35, 0xff, v34
	v_mov_b32_e32 v7, v34
	v_mov_b32_e32 v87, 0
	s_mov_b32 s21, exec_lo
	v_cmpx_ne_u16_e32 0, v35
	s_cbranch_execz .LBB352_59
; %bb.52:                               ;   in Loop: Header=BB352_16 Depth=1
	v_bfrev_b32_e32 v87, 1
	s_mov_b32 s22, exec_lo
	v_cmpx_ne_u16_e32 0x80, v35
	s_cbranch_execz .LBB352_58
; %bb.53:                               ;   in Loop: Header=BB352_16 Depth=1
	v_and_b32_e32 v35, 0x7f, v34
	v_mov_b32_e32 v87, 0x7fc02000
	s_mov_b32 s23, exec_lo
	s_delay_alu instid0(VALU_DEP_2)
	v_cmpx_ne_u32_e32 0x7f, v35
	s_cbranch_execz .LBB352_57
; %bb.54:                               ;   in Loop: Header=BB352_16 Depth=1
	v_lshrrev_b32_e32 v87, 3, v35
	v_cmp_gt_u32_e64 s1, 8, v35
	v_dual_mov_b32 v36, v8 :: v_dual_mov_b32 v35, v7
	s_delay_alu instid0(VALU_DEP_2)
	s_and_saveexec_b32 s24, s1
; %bb.55:                               ;   in Loop: Header=BB352_16 Depth=1
	v_and_b32_e32 v35, 7, v34
	s_delay_alu instid0(VALU_DEP_1) | instskip(NEXT) | instid1(VALU_DEP_1)
	v_clz_i32_u32_e32 v35, v35
	v_min_u32_e32 v87, 32, v35
	s_delay_alu instid0(VALU_DEP_1) | instskip(SKIP_1) | instid1(VALU_DEP_2)
	v_subrev_nc_u32_e32 v35, 28, v87
	v_sub_nc_u32_e32 v87, 29, v87
	v_lshlrev_b64 v[35:36], v35, v[7:8]
; %bb.56:                               ;   in Loop: Header=BB352_16 Depth=1
	s_or_b32 exec_lo, exec_lo, s24
	v_lshlrev_b32_e32 v36, 8, v34
	s_delay_alu instid0(VALU_DEP_3) | instskip(NEXT) | instid1(VALU_DEP_3)
	v_lshl_add_u32 v87, v87, 10, 0x2000
	v_lshlrev_b32_e32 v35, 7, v35
	s_delay_alu instid0(VALU_DEP_2) | instskip(NEXT) | instid1(VALU_DEP_1)
	v_and_or_b32 v36, 0x8000, v36, v87
	v_and_or_b32 v35, 0x380, v35, v36
	s_delay_alu instid0(VALU_DEP_1)
	v_cvt_f32_f16_e32 v87, v35
.LBB352_57:                             ;   in Loop: Header=BB352_16 Depth=1
	s_or_b32 exec_lo, exec_lo, s23
.LBB352_58:                             ;   in Loop: Header=BB352_16 Depth=1
	s_delay_alu instid0(SALU_CYCLE_1)
	s_or_b32 exec_lo, exec_lo, s22
.LBB352_59:                             ;   in Loop: Header=BB352_16 Depth=1
	s_delay_alu instid0(SALU_CYCLE_1) | instskip(SKIP_2) | instid1(VALU_DEP_1)
	s_or_b32 exec_lo, exec_lo, s21
	v_lshrrev_b16 v7, 8, v7
	s_mov_b32 s21, exec_lo
	v_cmpx_ne_u16_e32 0, v7
	s_cbranch_execz .LBB352_67
; %bb.60:                               ;   in Loop: Header=BB352_16 Depth=1
	v_bfrev_b32_e32 v96, 1
	s_mov_b32 s22, exec_lo
	v_cmpx_ne_u16_e32 0x80, v7
	s_cbranch_execz .LBB352_66
; %bb.61:                               ;   in Loop: Header=BB352_16 Depth=1
	v_and_b32_e32 v97, 0xffff, v7
	v_mov_b32_e32 v96, 0x7fc02000
	s_mov_b32 s23, exec_lo
	s_delay_alu instid0(VALU_DEP_2) | instskip(NEXT) | instid1(VALU_DEP_1)
	v_and_b32_e32 v35, 0x7f, v97
	v_cmpx_ne_u32_e32 0x7f, v35
	s_cbranch_execz .LBB352_65
; %bb.62:                               ;   in Loop: Header=BB352_16 Depth=1
	v_and_b32_e32 v7, 7, v97
	v_lshrrev_b32_e32 v96, 3, v35
	v_cmp_gt_u32_e64 s1, 8, v35
	s_delay_alu instid0(VALU_DEP_3) | instskip(NEXT) | instid1(VALU_DEP_2)
	v_dual_mov_b32 v36, v8 :: v_dual_mov_b32 v35, v7
	s_and_saveexec_b32 s24, s1
; %bb.63:                               ;   in Loop: Header=BB352_16 Depth=1
	v_clz_i32_u32_e32 v35, v7
	s_delay_alu instid0(VALU_DEP_1) | instskip(NEXT) | instid1(VALU_DEP_1)
	v_min_u32_e32 v96, 32, v35
	v_subrev_nc_u32_e32 v35, 28, v96
	v_sub_nc_u32_e32 v96, 29, v96
	s_delay_alu instid0(VALU_DEP_2) | instskip(NEXT) | instid1(VALU_DEP_1)
	v_lshlrev_b64 v[35:36], v35, v[7:8]
	v_and_b32_e32 v35, 7, v35
; %bb.64:                               ;   in Loop: Header=BB352_16 Depth=1
	s_or_b32 exec_lo, exec_lo, s24
	v_lshlrev_b32_e32 v7, 8, v97
	v_lshl_add_u32 v36, v96, 10, 0x2000
	s_delay_alu instid0(VALU_DEP_1) | instskip(NEXT) | instid1(VALU_DEP_1)
	v_and_or_b32 v7, 0x8000, v7, v36
	v_lshl_or_b32 v7, v35, 7, v7
	s_delay_alu instid0(VALU_DEP_1)
	v_cvt_f32_f16_e32 v96, v7
.LBB352_65:                             ;   in Loop: Header=BB352_16 Depth=1
	s_or_b32 exec_lo, exec_lo, s23
.LBB352_66:                             ;   in Loop: Header=BB352_16 Depth=1
	s_delay_alu instid0(SALU_CYCLE_1)
	s_or_b32 exec_lo, exec_lo, s22
.LBB352_67:                             ;   in Loop: Header=BB352_16 Depth=1
	s_delay_alu instid0(SALU_CYCLE_1) | instskip(SKIP_3) | instid1(VALU_DEP_2)
	s_or_b32 exec_lo, exec_lo, s21
	v_lshrrev_b32_e32 v99, 16, v34
	v_mov_b32_e32 v97, 0
	s_mov_b32 s21, exec_lo
	v_dual_mov_b32 v98, 0 :: v_dual_and_b32 v7, 0xff, v99
	s_delay_alu instid0(VALU_DEP_1)
	v_cmpx_ne_u16_e32 0, v7
	s_cbranch_execz .LBB352_75
; %bb.68:                               ;   in Loop: Header=BB352_16 Depth=1
	v_bfrev_b32_e32 v98, 1
	s_mov_b32 s22, exec_lo
	v_cmpx_ne_u16_e32 0x80, v7
	s_cbranch_execz .LBB352_74
; %bb.69:                               ;   in Loop: Header=BB352_16 Depth=1
	v_bfe_u32 v35, v34, 16, 7
	v_mov_b32_e32 v98, 0x7fc02000
	s_mov_b32 s23, exec_lo
	s_delay_alu instid0(VALU_DEP_2)
	v_cmpx_ne_u32_e32 0x7f, v35
	s_cbranch_execz .LBB352_73
; %bb.70:                               ;   in Loop: Header=BB352_16 Depth=1
	v_and_b32_e32 v7, 7, v99
	v_lshrrev_b32_e32 v98, 3, v35
	v_cmp_gt_u32_e64 s1, 8, v35
	s_delay_alu instid0(VALU_DEP_3) | instskip(NEXT) | instid1(VALU_DEP_2)
	v_dual_mov_b32 v36, v8 :: v_dual_mov_b32 v35, v7
	s_and_saveexec_b32 s24, s1
; %bb.71:                               ;   in Loop: Header=BB352_16 Depth=1
	v_clz_i32_u32_e32 v35, v7
	s_delay_alu instid0(VALU_DEP_1) | instskip(NEXT) | instid1(VALU_DEP_1)
	v_min_u32_e32 v98, 32, v35
	v_subrev_nc_u32_e32 v35, 28, v98
	v_sub_nc_u32_e32 v98, 29, v98
	s_delay_alu instid0(VALU_DEP_2) | instskip(NEXT) | instid1(VALU_DEP_1)
	v_lshlrev_b64 v[35:36], v35, v[7:8]
	v_and_b32_e32 v35, 7, v35
; %bb.72:                               ;   in Loop: Header=BB352_16 Depth=1
	s_or_b32 exec_lo, exec_lo, s24
	v_lshlrev_b32_e32 v7, 8, v99
	v_lshl_add_u32 v36, v98, 10, 0x2000
	s_delay_alu instid0(VALU_DEP_1) | instskip(NEXT) | instid1(VALU_DEP_1)
	v_and_or_b32 v7, 0x8000, v7, v36
	v_lshl_or_b32 v7, v35, 7, v7
	s_delay_alu instid0(VALU_DEP_1)
	v_cvt_f32_f16_e32 v98, v7
.LBB352_73:                             ;   in Loop: Header=BB352_16 Depth=1
	s_or_b32 exec_lo, exec_lo, s23
.LBB352_74:                             ;   in Loop: Header=BB352_16 Depth=1
	s_delay_alu instid0(SALU_CYCLE_1)
	s_or_b32 exec_lo, exec_lo, s22
.LBB352_75:                             ;   in Loop: Header=BB352_16 Depth=1
	s_delay_alu instid0(SALU_CYCLE_1) | instskip(NEXT) | instid1(SALU_CYCLE_1)
	s_or_b32 exec_lo, exec_lo, s21
	s_mov_b32 s21, exec_lo
	v_cmpx_lt_u64_e64 s[8:9], v[33:34]
	s_cbranch_execz .LBB352_83
; %bb.76:                               ;   in Loop: Header=BB352_16 Depth=1
	v_lshrrev_b32_e32 v35, 24, v34
	v_bfrev_b32_e32 v97, 1
	s_mov_b32 s22, exec_lo
	s_delay_alu instid0(VALU_DEP_2)
	v_cmpx_ne_u32_e32 0x80, v35
	s_cbranch_execz .LBB352_82
; %bb.77:                               ;   in Loop: Header=BB352_16 Depth=1
	v_and_b32_e32 v33, 0x7f, v35
	v_mov_b32_e32 v97, 0x7fc02000
	s_mov_b32 s23, exec_lo
	s_delay_alu instid0(VALU_DEP_2)
	v_cmpx_ne_u32_e32 0x7f, v33
	s_cbranch_execz .LBB352_81
; %bb.78:                               ;   in Loop: Header=BB352_16 Depth=1
	v_and_b32_e32 v7, 7, v35
	v_lshrrev_b32_e32 v36, 3, v33
	v_cmp_gt_u32_e64 s1, 8, v33
	s_delay_alu instid0(VALU_DEP_3) | instskip(NEXT) | instid1(VALU_DEP_2)
	v_dual_mov_b32 v34, v8 :: v_dual_mov_b32 v33, v7
	s_and_saveexec_b32 s24, s1
; %bb.79:                               ;   in Loop: Header=BB352_16 Depth=1
	v_clz_i32_u32_e32 v33, v7
	s_delay_alu instid0(VALU_DEP_1) | instskip(NEXT) | instid1(VALU_DEP_1)
	v_min_u32_e32 v36, 32, v33
	v_subrev_nc_u32_e32 v33, 28, v36
	v_sub_nc_u32_e32 v36, 29, v36
	s_delay_alu instid0(VALU_DEP_2) | instskip(NEXT) | instid1(VALU_DEP_1)
	v_lshlrev_b64 v[33:34], v33, v[7:8]
	v_and_b32_e32 v33, 7, v33
; %bb.80:                               ;   in Loop: Header=BB352_16 Depth=1
	s_or_b32 exec_lo, exec_lo, s24
	v_lshlrev_b32_e32 v7, 8, v35
	v_lshl_add_u32 v34, v36, 10, 0x2000
	s_delay_alu instid0(VALU_DEP_1) | instskip(NEXT) | instid1(VALU_DEP_1)
	v_and_or_b32 v7, 0x8000, v7, v34
	v_lshl_or_b32 v7, v33, 7, v7
	s_delay_alu instid0(VALU_DEP_1)
	v_cvt_f32_f16_e32 v97, v7
.LBB352_81:                             ;   in Loop: Header=BB352_16 Depth=1
	s_or_b32 exec_lo, exec_lo, s23
.LBB352_82:                             ;   in Loop: Header=BB352_16 Depth=1
	s_delay_alu instid0(SALU_CYCLE_1)
	s_or_b32 exec_lo, exec_lo, s22
.LBB352_83:                             ;   in Loop: Header=BB352_16 Depth=1
	s_delay_alu instid0(SALU_CYCLE_1)
	s_or_b32 exec_lo, exec_lo, s21
	flat_load_b64 v[33:34], v[31:32] offset:8
	v_mov_b32_e32 v99, 0
	s_mov_b32 s21, exec_lo
	s_waitcnt vmcnt(0) lgkmcnt(0)
	v_dual_mov_b32 v100, 0 :: v_dual_and_b32 v7, 0xff, v33
	s_delay_alu instid0(VALU_DEP_1)
	v_cmpx_ne_u16_e32 0, v7
	s_cbranch_execz .LBB352_91
; %bb.84:                               ;   in Loop: Header=BB352_16 Depth=1
	v_bfrev_b32_e32 v99, 1
	s_mov_b32 s22, exec_lo
	v_cmpx_ne_u16_e32 0x80, v7
	s_cbranch_execz .LBB352_90
; %bb.85:                               ;   in Loop: Header=BB352_16 Depth=1
	v_and_b32_e32 v35, 0x7f, v33
	v_mov_b32_e32 v99, 0x7fc02000
	s_mov_b32 s23, exec_lo
	s_delay_alu instid0(VALU_DEP_2)
	v_cmpx_ne_u32_e32 0x7f, v35
	s_cbranch_execz .LBB352_89
; %bb.86:                               ;   in Loop: Header=BB352_16 Depth=1
	v_lshrrev_b32_e32 v7, 3, v35
	v_cmp_gt_u32_e64 s1, 8, v35
	v_dual_mov_b32 v36, v34 :: v_dual_mov_b32 v35, v33
	s_delay_alu instid0(VALU_DEP_2)
	s_and_saveexec_b32 s24, s1
; %bb.87:                               ;   in Loop: Header=BB352_16 Depth=1
	v_and_b32_e32 v7, 7, v33
	s_delay_alu instid0(VALU_DEP_1) | instskip(NEXT) | instid1(VALU_DEP_1)
	v_clz_i32_u32_e32 v7, v7
	v_min_u32_e32 v7, 32, v7
	s_delay_alu instid0(VALU_DEP_1) | instskip(SKIP_1) | instid1(VALU_DEP_2)
	v_subrev_nc_u32_e32 v35, 28, v7
	v_sub_nc_u32_e32 v7, 29, v7
	v_lshlrev_b64 v[35:36], v35, v[33:34]
; %bb.88:                               ;   in Loop: Header=BB352_16 Depth=1
	s_or_b32 exec_lo, exec_lo, s24
	v_lshlrev_b32_e32 v36, 8, v33
	s_delay_alu instid0(VALU_DEP_3) | instskip(NEXT) | instid1(VALU_DEP_3)
	v_lshl_add_u32 v7, v7, 10, 0x2000
	v_lshlrev_b32_e32 v35, 7, v35
	s_delay_alu instid0(VALU_DEP_2) | instskip(NEXT) | instid1(VALU_DEP_1)
	v_and_or_b32 v7, 0x8000, v36, v7
	v_and_or_b32 v7, 0x380, v35, v7
	s_delay_alu instid0(VALU_DEP_1)
	v_cvt_f32_f16_e32 v99, v7
.LBB352_89:                             ;   in Loop: Header=BB352_16 Depth=1
	s_or_b32 exec_lo, exec_lo, s23
.LBB352_90:                             ;   in Loop: Header=BB352_16 Depth=1
	s_delay_alu instid0(SALU_CYCLE_1)
	s_or_b32 exec_lo, exec_lo, s22
.LBB352_91:                             ;   in Loop: Header=BB352_16 Depth=1
	s_delay_alu instid0(SALU_CYCLE_1) | instskip(SKIP_2) | instid1(VALU_DEP_1)
	s_or_b32 exec_lo, exec_lo, s21
	v_lshrrev_b16 v7, 8, v33
	s_mov_b32 s21, exec_lo
	v_cmpx_ne_u16_e32 0, v7
	s_cbranch_execz .LBB352_99
; %bb.92:                               ;   in Loop: Header=BB352_16 Depth=1
	v_bfrev_b32_e32 v100, 1
	s_mov_b32 s22, exec_lo
	v_cmpx_ne_u16_e32 0x80, v7
	s_cbranch_execz .LBB352_98
; %bb.93:                               ;   in Loop: Header=BB352_16 Depth=1
	v_and_b32_e32 v101, 0xffff, v7
	v_mov_b32_e32 v100, 0x7fc02000
	s_mov_b32 s23, exec_lo
	s_delay_alu instid0(VALU_DEP_2) | instskip(NEXT) | instid1(VALU_DEP_1)
	v_and_b32_e32 v35, 0x7f, v101
	v_cmpx_ne_u32_e32 0x7f, v35
	s_cbranch_execz .LBB352_97
; %bb.94:                               ;   in Loop: Header=BB352_16 Depth=1
	v_and_b32_e32 v7, 7, v101
	v_lshrrev_b32_e32 v100, 3, v35
	v_cmp_gt_u32_e64 s1, 8, v35
	s_delay_alu instid0(VALU_DEP_3) | instskip(NEXT) | instid1(VALU_DEP_2)
	v_dual_mov_b32 v36, v8 :: v_dual_mov_b32 v35, v7
	s_and_saveexec_b32 s24, s1
; %bb.95:                               ;   in Loop: Header=BB352_16 Depth=1
	v_clz_i32_u32_e32 v35, v7
	s_delay_alu instid0(VALU_DEP_1) | instskip(NEXT) | instid1(VALU_DEP_1)
	v_min_u32_e32 v100, 32, v35
	v_subrev_nc_u32_e32 v35, 28, v100
	v_sub_nc_u32_e32 v100, 29, v100
	s_delay_alu instid0(VALU_DEP_2) | instskip(NEXT) | instid1(VALU_DEP_1)
	v_lshlrev_b64 v[35:36], v35, v[7:8]
	v_and_b32_e32 v35, 7, v35
; %bb.96:                               ;   in Loop: Header=BB352_16 Depth=1
	s_or_b32 exec_lo, exec_lo, s24
	v_lshlrev_b32_e32 v7, 8, v101
	v_lshl_add_u32 v36, v100, 10, 0x2000
	s_delay_alu instid0(VALU_DEP_1) | instskip(NEXT) | instid1(VALU_DEP_1)
	v_and_or_b32 v7, 0x8000, v7, v36
	v_lshl_or_b32 v7, v35, 7, v7
	s_delay_alu instid0(VALU_DEP_1)
	v_cvt_f32_f16_e32 v100, v7
.LBB352_97:                             ;   in Loop: Header=BB352_16 Depth=1
	s_or_b32 exec_lo, exec_lo, s23
.LBB352_98:                             ;   in Loop: Header=BB352_16 Depth=1
	s_delay_alu instid0(SALU_CYCLE_1)
	s_or_b32 exec_lo, exec_lo, s22
.LBB352_99:                             ;   in Loop: Header=BB352_16 Depth=1
	s_delay_alu instid0(SALU_CYCLE_1) | instskip(SKIP_3) | instid1(VALU_DEP_2)
	s_or_b32 exec_lo, exec_lo, s21
	v_lshrrev_b32_e32 v103, 16, v33
	v_mov_b32_e32 v101, 0
	s_mov_b32 s21, exec_lo
	v_dual_mov_b32 v102, 0 :: v_dual_and_b32 v7, 0xff, v103
	s_delay_alu instid0(VALU_DEP_1)
	v_cmpx_ne_u16_e32 0, v7
	s_cbranch_execz .LBB352_107
; %bb.100:                              ;   in Loop: Header=BB352_16 Depth=1
	v_bfrev_b32_e32 v101, 1
	s_mov_b32 s22, exec_lo
	v_cmpx_ne_u16_e32 0x80, v7
	s_cbranch_execz .LBB352_106
; %bb.101:                              ;   in Loop: Header=BB352_16 Depth=1
	v_bfe_u32 v35, v33, 16, 7
	v_mov_b32_e32 v101, 0x7fc02000
	s_mov_b32 s23, exec_lo
	s_delay_alu instid0(VALU_DEP_2)
	v_cmpx_ne_u32_e32 0x7f, v35
	s_cbranch_execz .LBB352_105
; %bb.102:                              ;   in Loop: Header=BB352_16 Depth=1
	v_and_b32_e32 v7, 7, v103
	v_lshrrev_b32_e32 v101, 3, v35
	v_cmp_gt_u32_e64 s1, 8, v35
	s_delay_alu instid0(VALU_DEP_3) | instskip(NEXT) | instid1(VALU_DEP_2)
	v_dual_mov_b32 v36, v8 :: v_dual_mov_b32 v35, v7
	s_and_saveexec_b32 s24, s1
; %bb.103:                              ;   in Loop: Header=BB352_16 Depth=1
	v_clz_i32_u32_e32 v35, v7
	s_delay_alu instid0(VALU_DEP_1) | instskip(NEXT) | instid1(VALU_DEP_1)
	v_min_u32_e32 v101, 32, v35
	v_subrev_nc_u32_e32 v35, 28, v101
	v_sub_nc_u32_e32 v101, 29, v101
	s_delay_alu instid0(VALU_DEP_2) | instskip(NEXT) | instid1(VALU_DEP_1)
	v_lshlrev_b64 v[35:36], v35, v[7:8]
	v_and_b32_e32 v35, 7, v35
; %bb.104:                              ;   in Loop: Header=BB352_16 Depth=1
	s_or_b32 exec_lo, exec_lo, s24
	v_lshlrev_b32_e32 v7, 8, v103
	v_lshl_add_u32 v36, v101, 10, 0x2000
	s_delay_alu instid0(VALU_DEP_1) | instskip(NEXT) | instid1(VALU_DEP_1)
	v_and_or_b32 v7, 0x8000, v7, v36
	v_lshl_or_b32 v7, v35, 7, v7
	s_delay_alu instid0(VALU_DEP_1)
	v_cvt_f32_f16_e32 v101, v7
.LBB352_105:                            ;   in Loop: Header=BB352_16 Depth=1
	s_or_b32 exec_lo, exec_lo, s23
.LBB352_106:                            ;   in Loop: Header=BB352_16 Depth=1
	s_delay_alu instid0(SALU_CYCLE_1)
	s_or_b32 exec_lo, exec_lo, s22
.LBB352_107:                            ;   in Loop: Header=BB352_16 Depth=1
	s_delay_alu instid0(SALU_CYCLE_1) | instskip(NEXT) | instid1(SALU_CYCLE_1)
	s_or_b32 exec_lo, exec_lo, s21
	s_mov_b32 s21, exec_lo
	v_cmpx_lt_u32_e32 0xffffff, v33
	s_cbranch_execz .LBB352_115
; %bb.108:                              ;   in Loop: Header=BB352_16 Depth=1
	v_lshrrev_b32_e32 v103, 24, v33
	v_bfrev_b32_e32 v102, 1
	s_mov_b32 s22, exec_lo
	s_delay_alu instid0(VALU_DEP_2)
	v_cmpx_ne_u32_e32 0x80, v103
	s_cbranch_execz .LBB352_114
; %bb.109:                              ;   in Loop: Header=BB352_16 Depth=1
	v_and_b32_e32 v35, 0x7f, v103
	v_mov_b32_e32 v102, 0x7fc02000
	s_mov_b32 s23, exec_lo
	s_delay_alu instid0(VALU_DEP_2)
	v_cmpx_ne_u32_e32 0x7f, v35
	s_cbranch_execz .LBB352_113
; %bb.110:                              ;   in Loop: Header=BB352_16 Depth=1
	v_and_b32_e32 v7, 7, v103
	v_lshrrev_b32_e32 v102, 3, v35
	v_cmp_gt_u32_e64 s1, 8, v35
	s_delay_alu instid0(VALU_DEP_3) | instskip(NEXT) | instid1(VALU_DEP_2)
	v_dual_mov_b32 v36, v8 :: v_dual_mov_b32 v35, v7
	s_and_saveexec_b32 s24, s1
; %bb.111:                              ;   in Loop: Header=BB352_16 Depth=1
	v_clz_i32_u32_e32 v35, v7
	s_delay_alu instid0(VALU_DEP_1) | instskip(NEXT) | instid1(VALU_DEP_1)
	v_min_u32_e32 v102, 32, v35
	v_subrev_nc_u32_e32 v35, 28, v102
	v_sub_nc_u32_e32 v102, 29, v102
	s_delay_alu instid0(VALU_DEP_2) | instskip(NEXT) | instid1(VALU_DEP_1)
	v_lshlrev_b64 v[35:36], v35, v[7:8]
	v_and_b32_e32 v35, 7, v35
; %bb.112:                              ;   in Loop: Header=BB352_16 Depth=1
	s_or_b32 exec_lo, exec_lo, s24
	v_lshlrev_b32_e32 v7, 8, v103
	v_lshl_add_u32 v36, v102, 10, 0x2000
	s_delay_alu instid0(VALU_DEP_1) | instskip(NEXT) | instid1(VALU_DEP_1)
	v_and_or_b32 v7, 0x8000, v7, v36
	v_lshl_or_b32 v7, v35, 7, v7
	s_delay_alu instid0(VALU_DEP_1)
	v_cvt_f32_f16_e32 v102, v7
.LBB352_113:                            ;   in Loop: Header=BB352_16 Depth=1
	s_or_b32 exec_lo, exec_lo, s23
.LBB352_114:                            ;   in Loop: Header=BB352_16 Depth=1
	s_delay_alu instid0(SALU_CYCLE_1)
	s_or_b32 exec_lo, exec_lo, s22
.LBB352_115:                            ;   in Loop: Header=BB352_16 Depth=1
	s_delay_alu instid0(SALU_CYCLE_1) | instskip(SKIP_4) | instid1(VALU_DEP_3)
	s_or_b32 exec_lo, exec_lo, s21
	v_dual_mov_b32 v112, 0 :: v_dual_and_b32 v35, 0xff, v34
	v_mov_b32_e32 v7, v34
	v_mov_b32_e32 v103, 0
	s_mov_b32 s21, exec_lo
	v_cmpx_ne_u16_e32 0, v35
	s_cbranch_execz .LBB352_123
; %bb.116:                              ;   in Loop: Header=BB352_16 Depth=1
	v_bfrev_b32_e32 v103, 1
	s_mov_b32 s22, exec_lo
	v_cmpx_ne_u16_e32 0x80, v35
	s_cbranch_execz .LBB352_122
; %bb.117:                              ;   in Loop: Header=BB352_16 Depth=1
	v_and_b32_e32 v35, 0x7f, v34
	v_mov_b32_e32 v103, 0x7fc02000
	s_mov_b32 s23, exec_lo
	s_delay_alu instid0(VALU_DEP_2)
	v_cmpx_ne_u32_e32 0x7f, v35
	s_cbranch_execz .LBB352_121
; %bb.118:                              ;   in Loop: Header=BB352_16 Depth=1
	v_lshrrev_b32_e32 v103, 3, v35
	v_cmp_gt_u32_e64 s1, 8, v35
	v_dual_mov_b32 v36, v8 :: v_dual_mov_b32 v35, v7
	s_delay_alu instid0(VALU_DEP_2)
	s_and_saveexec_b32 s24, s1
; %bb.119:                              ;   in Loop: Header=BB352_16 Depth=1
	v_and_b32_e32 v35, 7, v34
	s_delay_alu instid0(VALU_DEP_1) | instskip(NEXT) | instid1(VALU_DEP_1)
	v_clz_i32_u32_e32 v35, v35
	v_min_u32_e32 v103, 32, v35
	s_delay_alu instid0(VALU_DEP_1) | instskip(SKIP_1) | instid1(VALU_DEP_2)
	v_subrev_nc_u32_e32 v35, 28, v103
	v_sub_nc_u32_e32 v103, 29, v103
	v_lshlrev_b64 v[35:36], v35, v[7:8]
; %bb.120:                              ;   in Loop: Header=BB352_16 Depth=1
	s_or_b32 exec_lo, exec_lo, s24
	v_lshlrev_b32_e32 v36, 8, v34
	s_delay_alu instid0(VALU_DEP_3) | instskip(NEXT) | instid1(VALU_DEP_3)
	v_lshl_add_u32 v103, v103, 10, 0x2000
	v_lshlrev_b32_e32 v35, 7, v35
	s_delay_alu instid0(VALU_DEP_2) | instskip(NEXT) | instid1(VALU_DEP_1)
	v_and_or_b32 v36, 0x8000, v36, v103
	v_and_or_b32 v35, 0x380, v35, v36
	s_delay_alu instid0(VALU_DEP_1)
	v_cvt_f32_f16_e32 v103, v35
.LBB352_121:                            ;   in Loop: Header=BB352_16 Depth=1
	s_or_b32 exec_lo, exec_lo, s23
.LBB352_122:                            ;   in Loop: Header=BB352_16 Depth=1
	s_delay_alu instid0(SALU_CYCLE_1)
	s_or_b32 exec_lo, exec_lo, s22
.LBB352_123:                            ;   in Loop: Header=BB352_16 Depth=1
	s_delay_alu instid0(SALU_CYCLE_1) | instskip(SKIP_2) | instid1(VALU_DEP_1)
	s_or_b32 exec_lo, exec_lo, s21
	v_lshrrev_b16 v7, 8, v7
	s_mov_b32 s21, exec_lo
	v_cmpx_ne_u16_e32 0, v7
	s_cbranch_execz .LBB352_131
; %bb.124:                              ;   in Loop: Header=BB352_16 Depth=1
	v_bfrev_b32_e32 v112, 1
	s_mov_b32 s22, exec_lo
	v_cmpx_ne_u16_e32 0x80, v7
	s_cbranch_execz .LBB352_130
; %bb.125:                              ;   in Loop: Header=BB352_16 Depth=1
	v_and_b32_e32 v113, 0xffff, v7
	v_mov_b32_e32 v112, 0x7fc02000
	s_mov_b32 s23, exec_lo
	s_delay_alu instid0(VALU_DEP_2) | instskip(NEXT) | instid1(VALU_DEP_1)
	v_and_b32_e32 v35, 0x7f, v113
	v_cmpx_ne_u32_e32 0x7f, v35
	s_cbranch_execz .LBB352_129
; %bb.126:                              ;   in Loop: Header=BB352_16 Depth=1
	v_and_b32_e32 v7, 7, v113
	v_lshrrev_b32_e32 v112, 3, v35
	v_cmp_gt_u32_e64 s1, 8, v35
	s_delay_alu instid0(VALU_DEP_3) | instskip(NEXT) | instid1(VALU_DEP_2)
	v_dual_mov_b32 v36, v8 :: v_dual_mov_b32 v35, v7
	s_and_saveexec_b32 s24, s1
; %bb.127:                              ;   in Loop: Header=BB352_16 Depth=1
	v_clz_i32_u32_e32 v35, v7
	s_delay_alu instid0(VALU_DEP_1) | instskip(NEXT) | instid1(VALU_DEP_1)
	v_min_u32_e32 v112, 32, v35
	v_subrev_nc_u32_e32 v35, 28, v112
	v_sub_nc_u32_e32 v112, 29, v112
	s_delay_alu instid0(VALU_DEP_2) | instskip(NEXT) | instid1(VALU_DEP_1)
	v_lshlrev_b64 v[35:36], v35, v[7:8]
	v_and_b32_e32 v35, 7, v35
; %bb.128:                              ;   in Loop: Header=BB352_16 Depth=1
	s_or_b32 exec_lo, exec_lo, s24
	v_lshlrev_b32_e32 v7, 8, v113
	v_lshl_add_u32 v36, v112, 10, 0x2000
	s_delay_alu instid0(VALU_DEP_1) | instskip(NEXT) | instid1(VALU_DEP_1)
	v_and_or_b32 v7, 0x8000, v7, v36
	v_lshl_or_b32 v7, v35, 7, v7
	s_delay_alu instid0(VALU_DEP_1)
	v_cvt_f32_f16_e32 v112, v7
.LBB352_129:                            ;   in Loop: Header=BB352_16 Depth=1
	s_or_b32 exec_lo, exec_lo, s23
.LBB352_130:                            ;   in Loop: Header=BB352_16 Depth=1
	s_delay_alu instid0(SALU_CYCLE_1)
	s_or_b32 exec_lo, exec_lo, s22
.LBB352_131:                            ;   in Loop: Header=BB352_16 Depth=1
	s_delay_alu instid0(SALU_CYCLE_1) | instskip(SKIP_3) | instid1(VALU_DEP_2)
	s_or_b32 exec_lo, exec_lo, s21
	v_lshrrev_b32_e32 v115, 16, v34
	v_mov_b32_e32 v113, 0
	s_mov_b32 s21, exec_lo
	v_dual_mov_b32 v114, 0 :: v_dual_and_b32 v7, 0xff, v115
	s_delay_alu instid0(VALU_DEP_1)
	v_cmpx_ne_u16_e32 0, v7
	s_cbranch_execz .LBB352_139
; %bb.132:                              ;   in Loop: Header=BB352_16 Depth=1
	v_bfrev_b32_e32 v114, 1
	s_mov_b32 s22, exec_lo
	v_cmpx_ne_u16_e32 0x80, v7
	s_cbranch_execz .LBB352_138
; %bb.133:                              ;   in Loop: Header=BB352_16 Depth=1
	v_bfe_u32 v35, v34, 16, 7
	v_mov_b32_e32 v114, 0x7fc02000
	s_mov_b32 s23, exec_lo
	s_delay_alu instid0(VALU_DEP_2)
	v_cmpx_ne_u32_e32 0x7f, v35
	s_cbranch_execz .LBB352_137
; %bb.134:                              ;   in Loop: Header=BB352_16 Depth=1
	v_and_b32_e32 v7, 7, v115
	v_lshrrev_b32_e32 v114, 3, v35
	v_cmp_gt_u32_e64 s1, 8, v35
	s_delay_alu instid0(VALU_DEP_3) | instskip(NEXT) | instid1(VALU_DEP_2)
	v_dual_mov_b32 v36, v8 :: v_dual_mov_b32 v35, v7
	s_and_saveexec_b32 s24, s1
; %bb.135:                              ;   in Loop: Header=BB352_16 Depth=1
	v_clz_i32_u32_e32 v35, v7
	s_delay_alu instid0(VALU_DEP_1) | instskip(NEXT) | instid1(VALU_DEP_1)
	v_min_u32_e32 v114, 32, v35
	v_subrev_nc_u32_e32 v35, 28, v114
	v_sub_nc_u32_e32 v114, 29, v114
	s_delay_alu instid0(VALU_DEP_2) | instskip(NEXT) | instid1(VALU_DEP_1)
	v_lshlrev_b64 v[35:36], v35, v[7:8]
	v_and_b32_e32 v35, 7, v35
; %bb.136:                              ;   in Loop: Header=BB352_16 Depth=1
	s_or_b32 exec_lo, exec_lo, s24
	v_lshlrev_b32_e32 v7, 8, v115
	v_lshl_add_u32 v36, v114, 10, 0x2000
	s_delay_alu instid0(VALU_DEP_1) | instskip(NEXT) | instid1(VALU_DEP_1)
	v_and_or_b32 v7, 0x8000, v7, v36
	v_lshl_or_b32 v7, v35, 7, v7
	s_delay_alu instid0(VALU_DEP_1)
	v_cvt_f32_f16_e32 v114, v7
.LBB352_137:                            ;   in Loop: Header=BB352_16 Depth=1
	s_or_b32 exec_lo, exec_lo, s23
.LBB352_138:                            ;   in Loop: Header=BB352_16 Depth=1
	s_delay_alu instid0(SALU_CYCLE_1)
	s_or_b32 exec_lo, exec_lo, s22
.LBB352_139:                            ;   in Loop: Header=BB352_16 Depth=1
	s_delay_alu instid0(SALU_CYCLE_1) | instskip(NEXT) | instid1(SALU_CYCLE_1)
	s_or_b32 exec_lo, exec_lo, s21
	s_mov_b32 s21, exec_lo
	v_cmpx_lt_u64_e64 s[8:9], v[33:34]
	s_cbranch_execz .LBB352_147
; %bb.140:                              ;   in Loop: Header=BB352_16 Depth=1
	v_lshrrev_b32_e32 v35, 24, v34
	v_bfrev_b32_e32 v113, 1
	s_mov_b32 s22, exec_lo
	s_delay_alu instid0(VALU_DEP_2)
	v_cmpx_ne_u32_e32 0x80, v35
	s_cbranch_execz .LBB352_146
; %bb.141:                              ;   in Loop: Header=BB352_16 Depth=1
	v_and_b32_e32 v33, 0x7f, v35
	v_mov_b32_e32 v113, 0x7fc02000
	s_mov_b32 s23, exec_lo
	s_delay_alu instid0(VALU_DEP_2)
	v_cmpx_ne_u32_e32 0x7f, v33
	s_cbranch_execz .LBB352_145
; %bb.142:                              ;   in Loop: Header=BB352_16 Depth=1
	v_and_b32_e32 v7, 7, v35
	v_lshrrev_b32_e32 v36, 3, v33
	v_cmp_gt_u32_e64 s1, 8, v33
	s_delay_alu instid0(VALU_DEP_3) | instskip(NEXT) | instid1(VALU_DEP_2)
	v_dual_mov_b32 v34, v8 :: v_dual_mov_b32 v33, v7
	s_and_saveexec_b32 s24, s1
; %bb.143:                              ;   in Loop: Header=BB352_16 Depth=1
	v_clz_i32_u32_e32 v33, v7
	s_delay_alu instid0(VALU_DEP_1) | instskip(NEXT) | instid1(VALU_DEP_1)
	v_min_u32_e32 v36, 32, v33
	v_subrev_nc_u32_e32 v33, 28, v36
	v_sub_nc_u32_e32 v36, 29, v36
	s_delay_alu instid0(VALU_DEP_2) | instskip(NEXT) | instid1(VALU_DEP_1)
	v_lshlrev_b64 v[33:34], v33, v[7:8]
	v_and_b32_e32 v33, 7, v33
; %bb.144:                              ;   in Loop: Header=BB352_16 Depth=1
	s_or_b32 exec_lo, exec_lo, s24
	v_lshlrev_b32_e32 v7, 8, v35
	v_lshl_add_u32 v34, v36, 10, 0x2000
	s_delay_alu instid0(VALU_DEP_1) | instskip(NEXT) | instid1(VALU_DEP_1)
	v_and_or_b32 v7, 0x8000, v7, v34
	v_lshl_or_b32 v7, v33, 7, v7
	s_delay_alu instid0(VALU_DEP_1)
	v_cvt_f32_f16_e32 v113, v7
.LBB352_145:                            ;   in Loop: Header=BB352_16 Depth=1
	s_or_b32 exec_lo, exec_lo, s23
.LBB352_146:                            ;   in Loop: Header=BB352_16 Depth=1
	s_delay_alu instid0(SALU_CYCLE_1)
	s_or_b32 exec_lo, exec_lo, s22
.LBB352_147:                            ;   in Loop: Header=BB352_16 Depth=1
	s_delay_alu instid0(SALU_CYCLE_1)
	s_or_b32 exec_lo, exec_lo, s21
	flat_load_b64 v[33:34], v[31:32] offset:512
	v_mov_b32_e32 v115, 0
	s_mov_b32 s21, exec_lo
	s_waitcnt vmcnt(0) lgkmcnt(0)
	v_dual_mov_b32 v116, 0 :: v_dual_and_b32 v7, 0xff, v33
	s_delay_alu instid0(VALU_DEP_1)
	v_cmpx_ne_u16_e32 0, v7
	s_cbranch_execz .LBB352_155
; %bb.148:                              ;   in Loop: Header=BB352_16 Depth=1
	v_bfrev_b32_e32 v115, 1
	s_mov_b32 s22, exec_lo
	v_cmpx_ne_u16_e32 0x80, v7
	s_cbranch_execz .LBB352_154
; %bb.149:                              ;   in Loop: Header=BB352_16 Depth=1
	v_and_b32_e32 v35, 0x7f, v33
	v_mov_b32_e32 v115, 0x7fc02000
	s_mov_b32 s23, exec_lo
	s_delay_alu instid0(VALU_DEP_2)
	v_cmpx_ne_u32_e32 0x7f, v35
	s_cbranch_execz .LBB352_153
; %bb.150:                              ;   in Loop: Header=BB352_16 Depth=1
	v_lshrrev_b32_e32 v7, 3, v35
	v_cmp_gt_u32_e64 s1, 8, v35
	v_dual_mov_b32 v36, v34 :: v_dual_mov_b32 v35, v33
	s_delay_alu instid0(VALU_DEP_2)
	s_and_saveexec_b32 s24, s1
; %bb.151:                              ;   in Loop: Header=BB352_16 Depth=1
	v_and_b32_e32 v7, 7, v33
	s_delay_alu instid0(VALU_DEP_1) | instskip(NEXT) | instid1(VALU_DEP_1)
	v_clz_i32_u32_e32 v7, v7
	v_min_u32_e32 v7, 32, v7
	s_delay_alu instid0(VALU_DEP_1) | instskip(SKIP_1) | instid1(VALU_DEP_2)
	v_subrev_nc_u32_e32 v35, 28, v7
	v_sub_nc_u32_e32 v7, 29, v7
	v_lshlrev_b64 v[35:36], v35, v[33:34]
; %bb.152:                              ;   in Loop: Header=BB352_16 Depth=1
	s_or_b32 exec_lo, exec_lo, s24
	v_lshlrev_b32_e32 v36, 8, v33
	s_delay_alu instid0(VALU_DEP_3) | instskip(NEXT) | instid1(VALU_DEP_3)
	v_lshl_add_u32 v7, v7, 10, 0x2000
	v_lshlrev_b32_e32 v35, 7, v35
	s_delay_alu instid0(VALU_DEP_2) | instskip(NEXT) | instid1(VALU_DEP_1)
	v_and_or_b32 v7, 0x8000, v36, v7
	v_and_or_b32 v7, 0x380, v35, v7
	s_delay_alu instid0(VALU_DEP_1)
	v_cvt_f32_f16_e32 v115, v7
.LBB352_153:                            ;   in Loop: Header=BB352_16 Depth=1
	s_or_b32 exec_lo, exec_lo, s23
.LBB352_154:                            ;   in Loop: Header=BB352_16 Depth=1
	s_delay_alu instid0(SALU_CYCLE_1)
	s_or_b32 exec_lo, exec_lo, s22
.LBB352_155:                            ;   in Loop: Header=BB352_16 Depth=1
	s_delay_alu instid0(SALU_CYCLE_1) | instskip(SKIP_2) | instid1(VALU_DEP_1)
	s_or_b32 exec_lo, exec_lo, s21
	v_lshrrev_b16 v7, 8, v33
	s_mov_b32 s21, exec_lo
	v_cmpx_ne_u16_e32 0, v7
	s_cbranch_execz .LBB352_163
; %bb.156:                              ;   in Loop: Header=BB352_16 Depth=1
	v_bfrev_b32_e32 v116, 1
	s_mov_b32 s22, exec_lo
	v_cmpx_ne_u16_e32 0x80, v7
	s_cbranch_execz .LBB352_162
; %bb.157:                              ;   in Loop: Header=BB352_16 Depth=1
	v_and_b32_e32 v117, 0xffff, v7
	v_mov_b32_e32 v116, 0x7fc02000
	s_mov_b32 s23, exec_lo
	s_delay_alu instid0(VALU_DEP_2) | instskip(NEXT) | instid1(VALU_DEP_1)
	v_and_b32_e32 v35, 0x7f, v117
	v_cmpx_ne_u32_e32 0x7f, v35
	s_cbranch_execz .LBB352_161
; %bb.158:                              ;   in Loop: Header=BB352_16 Depth=1
	v_and_b32_e32 v7, 7, v117
	v_lshrrev_b32_e32 v116, 3, v35
	v_cmp_gt_u32_e64 s1, 8, v35
	s_delay_alu instid0(VALU_DEP_3) | instskip(NEXT) | instid1(VALU_DEP_2)
	v_dual_mov_b32 v36, v8 :: v_dual_mov_b32 v35, v7
	s_and_saveexec_b32 s24, s1
; %bb.159:                              ;   in Loop: Header=BB352_16 Depth=1
	v_clz_i32_u32_e32 v35, v7
	s_delay_alu instid0(VALU_DEP_1) | instskip(NEXT) | instid1(VALU_DEP_1)
	v_min_u32_e32 v116, 32, v35
	v_subrev_nc_u32_e32 v35, 28, v116
	v_sub_nc_u32_e32 v116, 29, v116
	s_delay_alu instid0(VALU_DEP_2) | instskip(NEXT) | instid1(VALU_DEP_1)
	v_lshlrev_b64 v[35:36], v35, v[7:8]
	v_and_b32_e32 v35, 7, v35
; %bb.160:                              ;   in Loop: Header=BB352_16 Depth=1
	s_or_b32 exec_lo, exec_lo, s24
	v_lshlrev_b32_e32 v7, 8, v117
	v_lshl_add_u32 v36, v116, 10, 0x2000
	s_delay_alu instid0(VALU_DEP_1) | instskip(NEXT) | instid1(VALU_DEP_1)
	v_and_or_b32 v7, 0x8000, v7, v36
	v_lshl_or_b32 v7, v35, 7, v7
	s_delay_alu instid0(VALU_DEP_1)
	v_cvt_f32_f16_e32 v116, v7
.LBB352_161:                            ;   in Loop: Header=BB352_16 Depth=1
	s_or_b32 exec_lo, exec_lo, s23
.LBB352_162:                            ;   in Loop: Header=BB352_16 Depth=1
	s_delay_alu instid0(SALU_CYCLE_1)
	s_or_b32 exec_lo, exec_lo, s22
.LBB352_163:                            ;   in Loop: Header=BB352_16 Depth=1
	s_delay_alu instid0(SALU_CYCLE_1) | instskip(SKIP_3) | instid1(VALU_DEP_2)
	s_or_b32 exec_lo, exec_lo, s21
	v_lshrrev_b32_e32 v119, 16, v33
	v_mov_b32_e32 v117, 0
	s_mov_b32 s21, exec_lo
	v_dual_mov_b32 v118, 0 :: v_dual_and_b32 v7, 0xff, v119
	s_delay_alu instid0(VALU_DEP_1)
	v_cmpx_ne_u16_e32 0, v7
	s_cbranch_execz .LBB352_171
; %bb.164:                              ;   in Loop: Header=BB352_16 Depth=1
	v_bfrev_b32_e32 v117, 1
	s_mov_b32 s22, exec_lo
	v_cmpx_ne_u16_e32 0x80, v7
	s_cbranch_execz .LBB352_170
; %bb.165:                              ;   in Loop: Header=BB352_16 Depth=1
	v_bfe_u32 v35, v33, 16, 7
	v_mov_b32_e32 v117, 0x7fc02000
	s_mov_b32 s23, exec_lo
	s_delay_alu instid0(VALU_DEP_2)
	v_cmpx_ne_u32_e32 0x7f, v35
	s_cbranch_execz .LBB352_169
; %bb.166:                              ;   in Loop: Header=BB352_16 Depth=1
	v_and_b32_e32 v7, 7, v119
	v_lshrrev_b32_e32 v117, 3, v35
	v_cmp_gt_u32_e64 s1, 8, v35
	s_delay_alu instid0(VALU_DEP_3) | instskip(NEXT) | instid1(VALU_DEP_2)
	v_dual_mov_b32 v36, v8 :: v_dual_mov_b32 v35, v7
	s_and_saveexec_b32 s24, s1
; %bb.167:                              ;   in Loop: Header=BB352_16 Depth=1
	v_clz_i32_u32_e32 v35, v7
	s_delay_alu instid0(VALU_DEP_1) | instskip(NEXT) | instid1(VALU_DEP_1)
	v_min_u32_e32 v117, 32, v35
	v_subrev_nc_u32_e32 v35, 28, v117
	v_sub_nc_u32_e32 v117, 29, v117
	s_delay_alu instid0(VALU_DEP_2) | instskip(NEXT) | instid1(VALU_DEP_1)
	v_lshlrev_b64 v[35:36], v35, v[7:8]
	v_and_b32_e32 v35, 7, v35
; %bb.168:                              ;   in Loop: Header=BB352_16 Depth=1
	s_or_b32 exec_lo, exec_lo, s24
	v_lshlrev_b32_e32 v7, 8, v119
	v_lshl_add_u32 v36, v117, 10, 0x2000
	s_delay_alu instid0(VALU_DEP_1) | instskip(NEXT) | instid1(VALU_DEP_1)
	v_and_or_b32 v7, 0x8000, v7, v36
	v_lshl_or_b32 v7, v35, 7, v7
	s_delay_alu instid0(VALU_DEP_1)
	v_cvt_f32_f16_e32 v117, v7
.LBB352_169:                            ;   in Loop: Header=BB352_16 Depth=1
	s_or_b32 exec_lo, exec_lo, s23
.LBB352_170:                            ;   in Loop: Header=BB352_16 Depth=1
	s_delay_alu instid0(SALU_CYCLE_1)
	s_or_b32 exec_lo, exec_lo, s22
.LBB352_171:                            ;   in Loop: Header=BB352_16 Depth=1
	s_delay_alu instid0(SALU_CYCLE_1) | instskip(NEXT) | instid1(SALU_CYCLE_1)
	s_or_b32 exec_lo, exec_lo, s21
	s_mov_b32 s21, exec_lo
	v_cmpx_lt_u32_e32 0xffffff, v33
	s_cbranch_execz .LBB352_179
; %bb.172:                              ;   in Loop: Header=BB352_16 Depth=1
	v_lshrrev_b32_e32 v119, 24, v33
	v_bfrev_b32_e32 v118, 1
	s_mov_b32 s22, exec_lo
	s_delay_alu instid0(VALU_DEP_2)
	v_cmpx_ne_u32_e32 0x80, v119
	s_cbranch_execz .LBB352_178
; %bb.173:                              ;   in Loop: Header=BB352_16 Depth=1
	v_and_b32_e32 v35, 0x7f, v119
	v_mov_b32_e32 v118, 0x7fc02000
	s_mov_b32 s23, exec_lo
	s_delay_alu instid0(VALU_DEP_2)
	v_cmpx_ne_u32_e32 0x7f, v35
	s_cbranch_execz .LBB352_177
; %bb.174:                              ;   in Loop: Header=BB352_16 Depth=1
	v_and_b32_e32 v7, 7, v119
	v_lshrrev_b32_e32 v118, 3, v35
	v_cmp_gt_u32_e64 s1, 8, v35
	s_delay_alu instid0(VALU_DEP_3) | instskip(NEXT) | instid1(VALU_DEP_2)
	v_dual_mov_b32 v36, v8 :: v_dual_mov_b32 v35, v7
	s_and_saveexec_b32 s24, s1
; %bb.175:                              ;   in Loop: Header=BB352_16 Depth=1
	v_clz_i32_u32_e32 v35, v7
	s_delay_alu instid0(VALU_DEP_1) | instskip(NEXT) | instid1(VALU_DEP_1)
	v_min_u32_e32 v118, 32, v35
	v_subrev_nc_u32_e32 v35, 28, v118
	v_sub_nc_u32_e32 v118, 29, v118
	s_delay_alu instid0(VALU_DEP_2) | instskip(NEXT) | instid1(VALU_DEP_1)
	v_lshlrev_b64 v[35:36], v35, v[7:8]
	v_and_b32_e32 v35, 7, v35
; %bb.176:                              ;   in Loop: Header=BB352_16 Depth=1
	s_or_b32 exec_lo, exec_lo, s24
	v_lshlrev_b32_e32 v7, 8, v119
	v_lshl_add_u32 v36, v118, 10, 0x2000
	s_delay_alu instid0(VALU_DEP_1) | instskip(NEXT) | instid1(VALU_DEP_1)
	v_and_or_b32 v7, 0x8000, v7, v36
	v_lshl_or_b32 v7, v35, 7, v7
	s_delay_alu instid0(VALU_DEP_1)
	v_cvt_f32_f16_e32 v118, v7
.LBB352_177:                            ;   in Loop: Header=BB352_16 Depth=1
	s_or_b32 exec_lo, exec_lo, s23
.LBB352_178:                            ;   in Loop: Header=BB352_16 Depth=1
	s_delay_alu instid0(SALU_CYCLE_1)
	s_or_b32 exec_lo, exec_lo, s22
.LBB352_179:                            ;   in Loop: Header=BB352_16 Depth=1
	s_delay_alu instid0(SALU_CYCLE_1) | instskip(SKIP_4) | instid1(VALU_DEP_3)
	s_or_b32 exec_lo, exec_lo, s21
	v_dual_mov_b32 v128, 0 :: v_dual_and_b32 v35, 0xff, v34
	v_mov_b32_e32 v7, v34
	v_mov_b32_e32 v119, 0
	s_mov_b32 s21, exec_lo
	v_cmpx_ne_u16_e32 0, v35
	s_cbranch_execz .LBB352_187
; %bb.180:                              ;   in Loop: Header=BB352_16 Depth=1
	v_bfrev_b32_e32 v119, 1
	s_mov_b32 s22, exec_lo
	v_cmpx_ne_u16_e32 0x80, v35
	s_cbranch_execz .LBB352_186
; %bb.181:                              ;   in Loop: Header=BB352_16 Depth=1
	v_and_b32_e32 v35, 0x7f, v34
	v_mov_b32_e32 v119, 0x7fc02000
	s_mov_b32 s23, exec_lo
	s_delay_alu instid0(VALU_DEP_2)
	v_cmpx_ne_u32_e32 0x7f, v35
	s_cbranch_execz .LBB352_185
; %bb.182:                              ;   in Loop: Header=BB352_16 Depth=1
	v_lshrrev_b32_e32 v119, 3, v35
	v_cmp_gt_u32_e64 s1, 8, v35
	v_dual_mov_b32 v36, v8 :: v_dual_mov_b32 v35, v7
	s_delay_alu instid0(VALU_DEP_2)
	s_and_saveexec_b32 s24, s1
; %bb.183:                              ;   in Loop: Header=BB352_16 Depth=1
	v_and_b32_e32 v35, 7, v34
	s_delay_alu instid0(VALU_DEP_1) | instskip(NEXT) | instid1(VALU_DEP_1)
	v_clz_i32_u32_e32 v35, v35
	v_min_u32_e32 v119, 32, v35
	s_delay_alu instid0(VALU_DEP_1) | instskip(SKIP_1) | instid1(VALU_DEP_2)
	v_subrev_nc_u32_e32 v35, 28, v119
	v_sub_nc_u32_e32 v119, 29, v119
	v_lshlrev_b64 v[35:36], v35, v[7:8]
; %bb.184:                              ;   in Loop: Header=BB352_16 Depth=1
	s_or_b32 exec_lo, exec_lo, s24
	v_lshlrev_b32_e32 v36, 8, v34
	s_delay_alu instid0(VALU_DEP_3) | instskip(NEXT) | instid1(VALU_DEP_3)
	v_lshl_add_u32 v119, v119, 10, 0x2000
	v_lshlrev_b32_e32 v35, 7, v35
	s_delay_alu instid0(VALU_DEP_2) | instskip(NEXT) | instid1(VALU_DEP_1)
	v_and_or_b32 v36, 0x8000, v36, v119
	v_and_or_b32 v35, 0x380, v35, v36
	s_delay_alu instid0(VALU_DEP_1)
	v_cvt_f32_f16_e32 v119, v35
.LBB352_185:                            ;   in Loop: Header=BB352_16 Depth=1
	s_or_b32 exec_lo, exec_lo, s23
.LBB352_186:                            ;   in Loop: Header=BB352_16 Depth=1
	s_delay_alu instid0(SALU_CYCLE_1)
	s_or_b32 exec_lo, exec_lo, s22
.LBB352_187:                            ;   in Loop: Header=BB352_16 Depth=1
	s_delay_alu instid0(SALU_CYCLE_1) | instskip(SKIP_2) | instid1(VALU_DEP_1)
	s_or_b32 exec_lo, exec_lo, s21
	v_lshrrev_b16 v7, 8, v7
	s_mov_b32 s21, exec_lo
	v_cmpx_ne_u16_e32 0, v7
	s_cbranch_execz .LBB352_195
; %bb.188:                              ;   in Loop: Header=BB352_16 Depth=1
	v_bfrev_b32_e32 v128, 1
	s_mov_b32 s22, exec_lo
	v_cmpx_ne_u16_e32 0x80, v7
	s_cbranch_execz .LBB352_194
; %bb.189:                              ;   in Loop: Header=BB352_16 Depth=1
	v_and_b32_e32 v129, 0xffff, v7
	v_mov_b32_e32 v128, 0x7fc02000
	s_mov_b32 s23, exec_lo
	s_delay_alu instid0(VALU_DEP_2) | instskip(NEXT) | instid1(VALU_DEP_1)
	v_and_b32_e32 v35, 0x7f, v129
	v_cmpx_ne_u32_e32 0x7f, v35
	s_cbranch_execz .LBB352_193
; %bb.190:                              ;   in Loop: Header=BB352_16 Depth=1
	v_and_b32_e32 v7, 7, v129
	v_lshrrev_b32_e32 v128, 3, v35
	v_cmp_gt_u32_e64 s1, 8, v35
	s_delay_alu instid0(VALU_DEP_3) | instskip(NEXT) | instid1(VALU_DEP_2)
	v_dual_mov_b32 v36, v8 :: v_dual_mov_b32 v35, v7
	s_and_saveexec_b32 s24, s1
; %bb.191:                              ;   in Loop: Header=BB352_16 Depth=1
	v_clz_i32_u32_e32 v35, v7
	s_delay_alu instid0(VALU_DEP_1) | instskip(NEXT) | instid1(VALU_DEP_1)
	v_min_u32_e32 v128, 32, v35
	v_subrev_nc_u32_e32 v35, 28, v128
	v_sub_nc_u32_e32 v128, 29, v128
	s_delay_alu instid0(VALU_DEP_2) | instskip(NEXT) | instid1(VALU_DEP_1)
	v_lshlrev_b64 v[35:36], v35, v[7:8]
	v_and_b32_e32 v35, 7, v35
; %bb.192:                              ;   in Loop: Header=BB352_16 Depth=1
	s_or_b32 exec_lo, exec_lo, s24
	v_lshlrev_b32_e32 v7, 8, v129
	v_lshl_add_u32 v36, v128, 10, 0x2000
	s_delay_alu instid0(VALU_DEP_1) | instskip(NEXT) | instid1(VALU_DEP_1)
	v_and_or_b32 v7, 0x8000, v7, v36
	v_lshl_or_b32 v7, v35, 7, v7
	s_delay_alu instid0(VALU_DEP_1)
	v_cvt_f32_f16_e64 v128, v7
.LBB352_193:                            ;   in Loop: Header=BB352_16 Depth=1
	s_or_b32 exec_lo, exec_lo, s23
.LBB352_194:                            ;   in Loop: Header=BB352_16 Depth=1
	s_delay_alu instid0(SALU_CYCLE_1)
	s_or_b32 exec_lo, exec_lo, s22
.LBB352_195:                            ;   in Loop: Header=BB352_16 Depth=1
	s_delay_alu instid0(SALU_CYCLE_1) | instskip(SKIP_3) | instid1(VALU_DEP_2)
	s_or_b32 exec_lo, exec_lo, s21
	v_lshrrev_b32_e32 v131, 16, v34
	v_mov_b32_e32 v129, 0
	s_mov_b32 s21, exec_lo
	v_dual_mov_b32 v130, 0 :: v_dual_and_b32 v7, 0xff, v131
	s_delay_alu instid0(VALU_DEP_1)
	v_cmpx_ne_u16_e32 0, v7
	s_cbranch_execz .LBB352_203
; %bb.196:                              ;   in Loop: Header=BB352_16 Depth=1
	v_bfrev_b32_e32 v130, 1
	s_mov_b32 s22, exec_lo
	v_cmpx_ne_u16_e32 0x80, v7
	s_cbranch_execz .LBB352_202
; %bb.197:                              ;   in Loop: Header=BB352_16 Depth=1
	v_bfe_u32 v35, v34, 16, 7
	v_mov_b32_e32 v130, 0x7fc02000
	s_mov_b32 s23, exec_lo
	s_delay_alu instid0(VALU_DEP_2)
	v_cmpx_ne_u32_e32 0x7f, v35
	s_cbranch_execz .LBB352_201
; %bb.198:                              ;   in Loop: Header=BB352_16 Depth=1
	v_and_b32_e32 v7, 7, v131
	v_lshrrev_b32_e32 v130, 3, v35
	v_cmp_gt_u32_e64 s1, 8, v35
	s_delay_alu instid0(VALU_DEP_3) | instskip(NEXT) | instid1(VALU_DEP_2)
	v_dual_mov_b32 v36, v8 :: v_dual_mov_b32 v35, v7
	s_and_saveexec_b32 s24, s1
; %bb.199:                              ;   in Loop: Header=BB352_16 Depth=1
	v_clz_i32_u32_e32 v35, v7
	s_delay_alu instid0(VALU_DEP_1) | instskip(NEXT) | instid1(VALU_DEP_1)
	v_min_u32_e32 v130, 32, v35
	v_subrev_nc_u32_e32 v35, 28, v130
	v_sub_nc_u32_e32 v130, 29, v130
	s_delay_alu instid0(VALU_DEP_2) | instskip(NEXT) | instid1(VALU_DEP_1)
	v_lshlrev_b64 v[35:36], v35, v[7:8]
	v_and_b32_e32 v35, 7, v35
; %bb.200:                              ;   in Loop: Header=BB352_16 Depth=1
	s_or_b32 exec_lo, exec_lo, s24
	v_lshlrev_b32_e32 v7, 8, v131
	v_lshl_add_u32 v36, v130, 10, 0x2000
	s_delay_alu instid0(VALU_DEP_1) | instskip(NEXT) | instid1(VALU_DEP_1)
	v_and_or_b32 v7, 0x8000, v7, v36
	v_lshl_or_b32 v7, v35, 7, v7
	s_delay_alu instid0(VALU_DEP_1)
	v_cvt_f32_f16_e64 v130, v7
.LBB352_201:                            ;   in Loop: Header=BB352_16 Depth=1
	s_or_b32 exec_lo, exec_lo, s23
.LBB352_202:                            ;   in Loop: Header=BB352_16 Depth=1
	s_delay_alu instid0(SALU_CYCLE_1)
	s_or_b32 exec_lo, exec_lo, s22
.LBB352_203:                            ;   in Loop: Header=BB352_16 Depth=1
	s_delay_alu instid0(SALU_CYCLE_1) | instskip(NEXT) | instid1(SALU_CYCLE_1)
	s_or_b32 exec_lo, exec_lo, s21
	s_mov_b32 s21, exec_lo
	v_cmpx_lt_u64_e64 s[8:9], v[33:34]
	s_cbranch_execz .LBB352_211
; %bb.204:                              ;   in Loop: Header=BB352_16 Depth=1
	v_lshrrev_b32_e32 v35, 24, v34
	v_bfrev_b32_e32 v129, 1
	s_mov_b32 s22, exec_lo
	s_delay_alu instid0(VALU_DEP_2)
	v_cmpx_ne_u32_e32 0x80, v35
	s_cbranch_execz .LBB352_210
; %bb.205:                              ;   in Loop: Header=BB352_16 Depth=1
	v_and_b32_e32 v33, 0x7f, v35
	v_mov_b32_e32 v129, 0x7fc02000
	s_mov_b32 s23, exec_lo
	s_delay_alu instid0(VALU_DEP_2)
	v_cmpx_ne_u32_e32 0x7f, v33
	s_cbranch_execz .LBB352_209
; %bb.206:                              ;   in Loop: Header=BB352_16 Depth=1
	v_and_b32_e32 v7, 7, v35
	v_lshrrev_b32_e32 v36, 3, v33
	v_cmp_gt_u32_e64 s1, 8, v33
	s_delay_alu instid0(VALU_DEP_3) | instskip(NEXT) | instid1(VALU_DEP_2)
	v_dual_mov_b32 v34, v8 :: v_dual_mov_b32 v33, v7
	s_and_saveexec_b32 s24, s1
; %bb.207:                              ;   in Loop: Header=BB352_16 Depth=1
	v_clz_i32_u32_e32 v33, v7
	s_delay_alu instid0(VALU_DEP_1) | instskip(NEXT) | instid1(VALU_DEP_1)
	v_min_u32_e32 v36, 32, v33
	v_subrev_nc_u32_e32 v33, 28, v36
	v_sub_nc_u32_e32 v36, 29, v36
	s_delay_alu instid0(VALU_DEP_2) | instskip(NEXT) | instid1(VALU_DEP_1)
	v_lshlrev_b64 v[33:34], v33, v[7:8]
	v_and_b32_e32 v33, 7, v33
; %bb.208:                              ;   in Loop: Header=BB352_16 Depth=1
	s_or_b32 exec_lo, exec_lo, s24
	v_lshlrev_b32_e32 v7, 8, v35
	v_lshl_add_u32 v34, v36, 10, 0x2000
	s_delay_alu instid0(VALU_DEP_1) | instskip(NEXT) | instid1(VALU_DEP_1)
	v_and_or_b32 v7, 0x8000, v7, v34
	v_lshl_or_b32 v7, v33, 7, v7
	s_delay_alu instid0(VALU_DEP_1)
	v_cvt_f32_f16_e64 v129, v7
.LBB352_209:                            ;   in Loop: Header=BB352_16 Depth=1
	s_or_b32 exec_lo, exec_lo, s23
.LBB352_210:                            ;   in Loop: Header=BB352_16 Depth=1
	s_delay_alu instid0(SALU_CYCLE_1)
	s_or_b32 exec_lo, exec_lo, s22
.LBB352_211:                            ;   in Loop: Header=BB352_16 Depth=1
	s_delay_alu instid0(SALU_CYCLE_1)
	s_or_b32 exec_lo, exec_lo, s21
	flat_load_b64 v[33:34], v[31:32] offset:520
	v_mov_b32_e32 v131, 0
	s_mov_b32 s21, exec_lo
	s_waitcnt vmcnt(0) lgkmcnt(0)
	v_dual_mov_b32 v132, 0 :: v_dual_and_b32 v7, 0xff, v33
	s_delay_alu instid0(VALU_DEP_1)
	v_cmpx_ne_u16_e32 0, v7
	s_cbranch_execz .LBB352_219
; %bb.212:                              ;   in Loop: Header=BB352_16 Depth=1
	v_bfrev_b32_e32 v131, 1
	s_mov_b32 s22, exec_lo
	v_cmpx_ne_u16_e32 0x80, v7
	s_cbranch_execz .LBB352_218
; %bb.213:                              ;   in Loop: Header=BB352_16 Depth=1
	v_and_b32_e32 v35, 0x7f, v33
	v_mov_b32_e32 v131, 0x7fc02000
	s_mov_b32 s23, exec_lo
	s_delay_alu instid0(VALU_DEP_2)
	v_cmpx_ne_u32_e32 0x7f, v35
	s_cbranch_execz .LBB352_217
; %bb.214:                              ;   in Loop: Header=BB352_16 Depth=1
	v_lshrrev_b32_e32 v7, 3, v35
	v_cmp_gt_u32_e64 s1, 8, v35
	v_dual_mov_b32 v36, v34 :: v_dual_mov_b32 v35, v33
	s_delay_alu instid0(VALU_DEP_2)
	s_and_saveexec_b32 s24, s1
; %bb.215:                              ;   in Loop: Header=BB352_16 Depth=1
	v_and_b32_e32 v7, 7, v33
	s_delay_alu instid0(VALU_DEP_1) | instskip(NEXT) | instid1(VALU_DEP_1)
	v_clz_i32_u32_e32 v7, v7
	v_min_u32_e32 v7, 32, v7
	s_delay_alu instid0(VALU_DEP_1) | instskip(SKIP_1) | instid1(VALU_DEP_2)
	v_subrev_nc_u32_e32 v35, 28, v7
	v_sub_nc_u32_e32 v7, 29, v7
	v_lshlrev_b64 v[35:36], v35, v[33:34]
; %bb.216:                              ;   in Loop: Header=BB352_16 Depth=1
	s_or_b32 exec_lo, exec_lo, s24
	v_lshlrev_b32_e32 v36, 8, v33
	s_delay_alu instid0(VALU_DEP_3) | instskip(NEXT) | instid1(VALU_DEP_3)
	v_lshl_add_u32 v7, v7, 10, 0x2000
	v_lshlrev_b32_e32 v35, 7, v35
	s_delay_alu instid0(VALU_DEP_2) | instskip(NEXT) | instid1(VALU_DEP_1)
	v_and_or_b32 v7, 0x8000, v36, v7
	v_and_or_b32 v7, 0x380, v35, v7
	s_delay_alu instid0(VALU_DEP_1)
	v_cvt_f32_f16_e64 v131, v7
.LBB352_217:                            ;   in Loop: Header=BB352_16 Depth=1
	s_or_b32 exec_lo, exec_lo, s23
.LBB352_218:                            ;   in Loop: Header=BB352_16 Depth=1
	s_delay_alu instid0(SALU_CYCLE_1)
	s_or_b32 exec_lo, exec_lo, s22
.LBB352_219:                            ;   in Loop: Header=BB352_16 Depth=1
	s_delay_alu instid0(SALU_CYCLE_1) | instskip(SKIP_2) | instid1(VALU_DEP_1)
	s_or_b32 exec_lo, exec_lo, s21
	v_lshrrev_b16 v7, 8, v33
	s_mov_b32 s21, exec_lo
	v_cmpx_ne_u16_e32 0, v7
	s_cbranch_execz .LBB352_227
; %bb.220:                              ;   in Loop: Header=BB352_16 Depth=1
	v_bfrev_b32_e32 v132, 1
	s_mov_b32 s22, exec_lo
	v_cmpx_ne_u16_e32 0x80, v7
	s_cbranch_execz .LBB352_226
; %bb.221:                              ;   in Loop: Header=BB352_16 Depth=1
	v_and_b32_e32 v133, 0xffff, v7
	v_mov_b32_e32 v132, 0x7fc02000
	s_mov_b32 s23, exec_lo
	s_delay_alu instid0(VALU_DEP_2) | instskip(NEXT) | instid1(VALU_DEP_1)
	v_and_b32_e32 v35, 0x7f, v133
	v_cmpx_ne_u32_e32 0x7f, v35
	s_cbranch_execz .LBB352_225
; %bb.222:                              ;   in Loop: Header=BB352_16 Depth=1
	v_and_b32_e32 v7, 7, v133
	v_lshrrev_b32_e32 v132, 3, v35
	v_cmp_gt_u32_e64 s1, 8, v35
	s_delay_alu instid0(VALU_DEP_3) | instskip(NEXT) | instid1(VALU_DEP_2)
	v_dual_mov_b32 v36, v8 :: v_dual_mov_b32 v35, v7
	s_and_saveexec_b32 s24, s1
; %bb.223:                              ;   in Loop: Header=BB352_16 Depth=1
	v_clz_i32_u32_e32 v35, v7
	s_delay_alu instid0(VALU_DEP_1) | instskip(NEXT) | instid1(VALU_DEP_1)
	v_min_u32_e32 v132, 32, v35
	v_subrev_nc_u32_e32 v35, 28, v132
	v_sub_nc_u32_e32 v132, 29, v132
	s_delay_alu instid0(VALU_DEP_2) | instskip(NEXT) | instid1(VALU_DEP_1)
	v_lshlrev_b64 v[35:36], v35, v[7:8]
	v_and_b32_e32 v35, 7, v35
; %bb.224:                              ;   in Loop: Header=BB352_16 Depth=1
	s_or_b32 exec_lo, exec_lo, s24
	v_lshlrev_b32_e32 v7, 8, v133
	v_lshl_add_u32 v36, v132, 10, 0x2000
	s_delay_alu instid0(VALU_DEP_1) | instskip(NEXT) | instid1(VALU_DEP_1)
	v_and_or_b32 v7, 0x8000, v7, v36
	v_lshl_or_b32 v7, v35, 7, v7
	s_delay_alu instid0(VALU_DEP_1)
	v_cvt_f32_f16_e64 v132, v7
.LBB352_225:                            ;   in Loop: Header=BB352_16 Depth=1
	s_or_b32 exec_lo, exec_lo, s23
.LBB352_226:                            ;   in Loop: Header=BB352_16 Depth=1
	s_delay_alu instid0(SALU_CYCLE_1)
	s_or_b32 exec_lo, exec_lo, s22
.LBB352_227:                            ;   in Loop: Header=BB352_16 Depth=1
	s_delay_alu instid0(SALU_CYCLE_1) | instskip(SKIP_3) | instid1(VALU_DEP_2)
	s_or_b32 exec_lo, exec_lo, s21
	v_lshrrev_b32_e32 v135, 16, v33
	v_mov_b32_e32 v133, 0
	s_mov_b32 s21, exec_lo
	v_dual_mov_b32 v134, 0 :: v_dual_and_b32 v7, 0xff, v135
	s_delay_alu instid0(VALU_DEP_1)
	v_cmpx_ne_u16_e32 0, v7
	s_cbranch_execz .LBB352_235
; %bb.228:                              ;   in Loop: Header=BB352_16 Depth=1
	v_bfrev_b32_e32 v133, 1
	s_mov_b32 s22, exec_lo
	v_cmpx_ne_u16_e32 0x80, v7
	s_cbranch_execz .LBB352_234
; %bb.229:                              ;   in Loop: Header=BB352_16 Depth=1
	v_bfe_u32 v35, v33, 16, 7
	v_mov_b32_e32 v133, 0x7fc02000
	s_mov_b32 s23, exec_lo
	s_delay_alu instid0(VALU_DEP_2)
	v_cmpx_ne_u32_e32 0x7f, v35
	s_cbranch_execz .LBB352_233
; %bb.230:                              ;   in Loop: Header=BB352_16 Depth=1
	v_and_b32_e32 v7, 7, v135
	v_lshrrev_b32_e32 v133, 3, v35
	v_cmp_gt_u32_e64 s1, 8, v35
	s_delay_alu instid0(VALU_DEP_3) | instskip(NEXT) | instid1(VALU_DEP_2)
	v_dual_mov_b32 v36, v8 :: v_dual_mov_b32 v35, v7
	s_and_saveexec_b32 s24, s1
; %bb.231:                              ;   in Loop: Header=BB352_16 Depth=1
	v_clz_i32_u32_e32 v35, v7
	s_delay_alu instid0(VALU_DEP_1) | instskip(NEXT) | instid1(VALU_DEP_1)
	v_min_u32_e32 v133, 32, v35
	v_subrev_nc_u32_e32 v35, 28, v133
	v_sub_nc_u32_e32 v133, 29, v133
	s_delay_alu instid0(VALU_DEP_2) | instskip(NEXT) | instid1(VALU_DEP_1)
	v_lshlrev_b64 v[35:36], v35, v[7:8]
	v_and_b32_e32 v35, 7, v35
; %bb.232:                              ;   in Loop: Header=BB352_16 Depth=1
	s_or_b32 exec_lo, exec_lo, s24
	v_lshlrev_b32_e32 v7, 8, v135
	v_lshl_add_u32 v36, v133, 10, 0x2000
	s_delay_alu instid0(VALU_DEP_1) | instskip(NEXT) | instid1(VALU_DEP_1)
	v_and_or_b32 v7, 0x8000, v7, v36
	v_lshl_or_b32 v7, v35, 7, v7
	s_delay_alu instid0(VALU_DEP_1)
	v_cvt_f32_f16_e64 v133, v7
.LBB352_233:                            ;   in Loop: Header=BB352_16 Depth=1
	s_or_b32 exec_lo, exec_lo, s23
.LBB352_234:                            ;   in Loop: Header=BB352_16 Depth=1
	s_delay_alu instid0(SALU_CYCLE_1)
	s_or_b32 exec_lo, exec_lo, s22
.LBB352_235:                            ;   in Loop: Header=BB352_16 Depth=1
	s_delay_alu instid0(SALU_CYCLE_1) | instskip(NEXT) | instid1(SALU_CYCLE_1)
	s_or_b32 exec_lo, exec_lo, s21
	s_mov_b32 s21, exec_lo
	v_cmpx_lt_u32_e32 0xffffff, v33
	s_cbranch_execz .LBB352_243
; %bb.236:                              ;   in Loop: Header=BB352_16 Depth=1
	v_lshrrev_b32_e32 v135, 24, v33
	v_bfrev_b32_e32 v134, 1
	s_mov_b32 s22, exec_lo
	s_delay_alu instid0(VALU_DEP_2)
	v_cmpx_ne_u32_e32 0x80, v135
	s_cbranch_execz .LBB352_242
; %bb.237:                              ;   in Loop: Header=BB352_16 Depth=1
	v_and_b32_e32 v35, 0x7f, v135
	v_mov_b32_e32 v134, 0x7fc02000
	s_mov_b32 s23, exec_lo
	s_delay_alu instid0(VALU_DEP_2)
	v_cmpx_ne_u32_e32 0x7f, v35
	s_cbranch_execz .LBB352_241
; %bb.238:                              ;   in Loop: Header=BB352_16 Depth=1
	v_and_b32_e32 v7, 7, v135
	v_lshrrev_b32_e32 v134, 3, v35
	v_cmp_gt_u32_e64 s1, 8, v35
	s_delay_alu instid0(VALU_DEP_3) | instskip(NEXT) | instid1(VALU_DEP_2)
	v_dual_mov_b32 v36, v8 :: v_dual_mov_b32 v35, v7
	s_and_saveexec_b32 s24, s1
; %bb.239:                              ;   in Loop: Header=BB352_16 Depth=1
	v_clz_i32_u32_e32 v35, v7
	s_delay_alu instid0(VALU_DEP_1) | instskip(NEXT) | instid1(VALU_DEP_1)
	v_min_u32_e32 v134, 32, v35
	v_subrev_nc_u32_e32 v35, 28, v134
	v_sub_nc_u32_e32 v134, 29, v134
	s_delay_alu instid0(VALU_DEP_2) | instskip(NEXT) | instid1(VALU_DEP_1)
	v_lshlrev_b64 v[35:36], v35, v[7:8]
	v_and_b32_e32 v35, 7, v35
; %bb.240:                              ;   in Loop: Header=BB352_16 Depth=1
	s_or_b32 exec_lo, exec_lo, s24
	v_lshlrev_b32_e32 v7, 8, v135
	v_lshl_add_u32 v36, v134, 10, 0x2000
	s_delay_alu instid0(VALU_DEP_1) | instskip(NEXT) | instid1(VALU_DEP_1)
	v_and_or_b32 v7, 0x8000, v7, v36
	v_lshl_or_b32 v7, v35, 7, v7
	s_delay_alu instid0(VALU_DEP_1)
	v_cvt_f32_f16_e64 v134, v7
.LBB352_241:                            ;   in Loop: Header=BB352_16 Depth=1
	s_or_b32 exec_lo, exec_lo, s23
.LBB352_242:                            ;   in Loop: Header=BB352_16 Depth=1
	s_delay_alu instid0(SALU_CYCLE_1)
	s_or_b32 exec_lo, exec_lo, s22
.LBB352_243:                            ;   in Loop: Header=BB352_16 Depth=1
	s_delay_alu instid0(SALU_CYCLE_1) | instskip(SKIP_4) | instid1(VALU_DEP_3)
	s_or_b32 exec_lo, exec_lo, s21
	v_dual_mov_b32 v144, 0 :: v_dual_and_b32 v35, 0xff, v34
	v_mov_b32_e32 v7, v34
	v_mov_b32_e32 v135, 0
	s_mov_b32 s21, exec_lo
	v_cmpx_ne_u16_e32 0, v35
	s_cbranch_execz .LBB352_251
; %bb.244:                              ;   in Loop: Header=BB352_16 Depth=1
	v_bfrev_b32_e32 v135, 1
	s_mov_b32 s22, exec_lo
	v_cmpx_ne_u16_e32 0x80, v35
	s_cbranch_execz .LBB352_250
; %bb.245:                              ;   in Loop: Header=BB352_16 Depth=1
	v_and_b32_e32 v35, 0x7f, v34
	v_mov_b32_e32 v135, 0x7fc02000
	s_mov_b32 s23, exec_lo
	s_delay_alu instid0(VALU_DEP_2)
	v_cmpx_ne_u32_e32 0x7f, v35
	s_cbranch_execz .LBB352_249
; %bb.246:                              ;   in Loop: Header=BB352_16 Depth=1
	v_lshrrev_b32_e32 v135, 3, v35
	v_cmp_gt_u32_e64 s1, 8, v35
	v_dual_mov_b32 v36, v8 :: v_dual_mov_b32 v35, v7
	s_delay_alu instid0(VALU_DEP_2)
	s_and_saveexec_b32 s24, s1
; %bb.247:                              ;   in Loop: Header=BB352_16 Depth=1
	v_and_b32_e32 v35, 7, v34
	s_delay_alu instid0(VALU_DEP_1) | instskip(NEXT) | instid1(VALU_DEP_1)
	v_clz_i32_u32_e32 v35, v35
	v_min_u32_e32 v135, 32, v35
	s_delay_alu instid0(VALU_DEP_1) | instskip(SKIP_1) | instid1(VALU_DEP_2)
	v_subrev_nc_u32_e32 v35, 28, v135
	v_sub_nc_u32_e32 v135, 29, v135
	v_lshlrev_b64 v[35:36], v35, v[7:8]
; %bb.248:                              ;   in Loop: Header=BB352_16 Depth=1
	s_or_b32 exec_lo, exec_lo, s24
	v_lshlrev_b32_e32 v36, 8, v34
	s_delay_alu instid0(VALU_DEP_3) | instskip(NEXT) | instid1(VALU_DEP_3)
	v_lshl_add_u32 v135, v135, 10, 0x2000
	v_lshlrev_b32_e32 v35, 7, v35
	s_delay_alu instid0(VALU_DEP_2) | instskip(NEXT) | instid1(VALU_DEP_1)
	v_and_or_b32 v36, 0x8000, v36, v135
	v_and_or_b32 v35, 0x380, v35, v36
	s_delay_alu instid0(VALU_DEP_1)
	v_cvt_f32_f16_e64 v135, v35
.LBB352_249:                            ;   in Loop: Header=BB352_16 Depth=1
	s_or_b32 exec_lo, exec_lo, s23
.LBB352_250:                            ;   in Loop: Header=BB352_16 Depth=1
	s_delay_alu instid0(SALU_CYCLE_1)
	s_or_b32 exec_lo, exec_lo, s22
.LBB352_251:                            ;   in Loop: Header=BB352_16 Depth=1
	s_delay_alu instid0(SALU_CYCLE_1) | instskip(SKIP_2) | instid1(VALU_DEP_1)
	s_or_b32 exec_lo, exec_lo, s21
	v_lshrrev_b16 v7, 8, v7
	s_mov_b32 s21, exec_lo
	v_cmpx_ne_u16_e32 0, v7
	s_cbranch_execz .LBB352_259
; %bb.252:                              ;   in Loop: Header=BB352_16 Depth=1
	v_bfrev_b32_e32 v144, 1
	s_mov_b32 s22, exec_lo
	v_cmpx_ne_u16_e32 0x80, v7
	s_cbranch_execz .LBB352_258
; %bb.253:                              ;   in Loop: Header=BB352_16 Depth=1
	v_and_b32_e32 v145, 0xffff, v7
	v_mov_b32_e32 v144, 0x7fc02000
	s_mov_b32 s23, exec_lo
	s_delay_alu instid0(VALU_DEP_2) | instskip(NEXT) | instid1(VALU_DEP_1)
	v_and_b32_e32 v35, 0x7f, v145
	v_cmpx_ne_u32_e32 0x7f, v35
	s_cbranch_execz .LBB352_257
; %bb.254:                              ;   in Loop: Header=BB352_16 Depth=1
	v_and_b32_e32 v7, 7, v145
	v_lshrrev_b32_e32 v144, 3, v35
	v_cmp_gt_u32_e64 s1, 8, v35
	s_delay_alu instid0(VALU_DEP_3) | instskip(NEXT) | instid1(VALU_DEP_2)
	v_dual_mov_b32 v36, v8 :: v_dual_mov_b32 v35, v7
	s_and_saveexec_b32 s24, s1
; %bb.255:                              ;   in Loop: Header=BB352_16 Depth=1
	v_clz_i32_u32_e32 v35, v7
	s_delay_alu instid0(VALU_DEP_1) | instskip(NEXT) | instid1(VALU_DEP_1)
	v_min_u32_e32 v144, 32, v35
	v_subrev_nc_u32_e32 v35, 28, v144
	v_sub_nc_u32_e32 v144, 29, v144
	s_delay_alu instid0(VALU_DEP_2) | instskip(NEXT) | instid1(VALU_DEP_1)
	v_lshlrev_b64 v[35:36], v35, v[7:8]
	v_and_b32_e32 v35, 7, v35
; %bb.256:                              ;   in Loop: Header=BB352_16 Depth=1
	s_or_b32 exec_lo, exec_lo, s24
	v_lshlrev_b32_e32 v7, 8, v145
	v_lshl_add_u32 v36, v144, 10, 0x2000
	s_delay_alu instid0(VALU_DEP_1) | instskip(NEXT) | instid1(VALU_DEP_1)
	v_and_or_b32 v7, 0x8000, v7, v36
	v_lshl_or_b32 v7, v35, 7, v7
	s_delay_alu instid0(VALU_DEP_1)
	v_cvt_f32_f16_e64 v144, v7
.LBB352_257:                            ;   in Loop: Header=BB352_16 Depth=1
	s_or_b32 exec_lo, exec_lo, s23
.LBB352_258:                            ;   in Loop: Header=BB352_16 Depth=1
	s_delay_alu instid0(SALU_CYCLE_1)
	s_or_b32 exec_lo, exec_lo, s22
.LBB352_259:                            ;   in Loop: Header=BB352_16 Depth=1
	s_delay_alu instid0(SALU_CYCLE_1) | instskip(SKIP_3) | instid1(VALU_DEP_2)
	s_or_b32 exec_lo, exec_lo, s21
	v_lshrrev_b32_e32 v147, 16, v34
	v_mov_b32_e32 v145, 0
	s_mov_b32 s21, exec_lo
	v_dual_mov_b32 v146, 0 :: v_dual_and_b32 v7, 0xff, v147
	s_delay_alu instid0(VALU_DEP_1)
	v_cmpx_ne_u16_e32 0, v7
	s_cbranch_execz .LBB352_267
; %bb.260:                              ;   in Loop: Header=BB352_16 Depth=1
	v_bfrev_b32_e32 v146, 1
	s_mov_b32 s22, exec_lo
	v_cmpx_ne_u16_e32 0x80, v7
	s_cbranch_execz .LBB352_266
; %bb.261:                              ;   in Loop: Header=BB352_16 Depth=1
	v_bfe_u32 v35, v34, 16, 7
	v_mov_b32_e32 v146, 0x7fc02000
	s_mov_b32 s23, exec_lo
	s_delay_alu instid0(VALU_DEP_2)
	v_cmpx_ne_u32_e32 0x7f, v35
	s_cbranch_execz .LBB352_265
; %bb.262:                              ;   in Loop: Header=BB352_16 Depth=1
	v_and_b32_e32 v7, 7, v147
	v_lshrrev_b32_e32 v146, 3, v35
	v_cmp_gt_u32_e64 s1, 8, v35
	s_delay_alu instid0(VALU_DEP_3) | instskip(NEXT) | instid1(VALU_DEP_2)
	v_dual_mov_b32 v36, v8 :: v_dual_mov_b32 v35, v7
	s_and_saveexec_b32 s24, s1
; %bb.263:                              ;   in Loop: Header=BB352_16 Depth=1
	v_clz_i32_u32_e32 v35, v7
	s_delay_alu instid0(VALU_DEP_1) | instskip(NEXT) | instid1(VALU_DEP_1)
	v_min_u32_e32 v146, 32, v35
	v_subrev_nc_u32_e32 v35, 28, v146
	v_sub_nc_u32_e32 v146, 29, v146
	s_delay_alu instid0(VALU_DEP_2) | instskip(NEXT) | instid1(VALU_DEP_1)
	v_lshlrev_b64 v[35:36], v35, v[7:8]
	v_and_b32_e32 v35, 7, v35
; %bb.264:                              ;   in Loop: Header=BB352_16 Depth=1
	s_or_b32 exec_lo, exec_lo, s24
	v_lshlrev_b32_e32 v7, 8, v147
	v_lshl_add_u32 v36, v146, 10, 0x2000
	s_delay_alu instid0(VALU_DEP_1) | instskip(NEXT) | instid1(VALU_DEP_1)
	v_and_or_b32 v7, 0x8000, v7, v36
	v_lshl_or_b32 v7, v35, 7, v7
	s_delay_alu instid0(VALU_DEP_1)
	v_cvt_f32_f16_e64 v146, v7
.LBB352_265:                            ;   in Loop: Header=BB352_16 Depth=1
	s_or_b32 exec_lo, exec_lo, s23
.LBB352_266:                            ;   in Loop: Header=BB352_16 Depth=1
	s_delay_alu instid0(SALU_CYCLE_1)
	s_or_b32 exec_lo, exec_lo, s22
.LBB352_267:                            ;   in Loop: Header=BB352_16 Depth=1
	s_delay_alu instid0(SALU_CYCLE_1) | instskip(NEXT) | instid1(SALU_CYCLE_1)
	s_or_b32 exec_lo, exec_lo, s21
	s_mov_b32 s21, exec_lo
	v_cmpx_lt_u64_e64 s[8:9], v[33:34]
	s_cbranch_execz .LBB352_275
; %bb.268:                              ;   in Loop: Header=BB352_16 Depth=1
	v_lshrrev_b32_e32 v35, 24, v34
	v_bfrev_b32_e32 v145, 1
	s_mov_b32 s22, exec_lo
	s_delay_alu instid0(VALU_DEP_2)
	v_cmpx_ne_u32_e32 0x80, v35
	s_cbranch_execz .LBB352_274
; %bb.269:                              ;   in Loop: Header=BB352_16 Depth=1
	v_and_b32_e32 v33, 0x7f, v35
	v_mov_b32_e32 v145, 0x7fc02000
	s_mov_b32 s23, exec_lo
	s_delay_alu instid0(VALU_DEP_2)
	v_cmpx_ne_u32_e32 0x7f, v33
	s_cbranch_execz .LBB352_273
; %bb.270:                              ;   in Loop: Header=BB352_16 Depth=1
	v_and_b32_e32 v7, 7, v35
	v_lshrrev_b32_e32 v36, 3, v33
	v_cmp_gt_u32_e64 s1, 8, v33
	s_delay_alu instid0(VALU_DEP_3) | instskip(NEXT) | instid1(VALU_DEP_2)
	v_dual_mov_b32 v34, v8 :: v_dual_mov_b32 v33, v7
	s_and_saveexec_b32 s24, s1
; %bb.271:                              ;   in Loop: Header=BB352_16 Depth=1
	v_clz_i32_u32_e32 v33, v7
	s_delay_alu instid0(VALU_DEP_1) | instskip(NEXT) | instid1(VALU_DEP_1)
	v_min_u32_e32 v36, 32, v33
	v_subrev_nc_u32_e32 v33, 28, v36
	v_sub_nc_u32_e32 v36, 29, v36
	s_delay_alu instid0(VALU_DEP_2) | instskip(NEXT) | instid1(VALU_DEP_1)
	v_lshlrev_b64 v[33:34], v33, v[7:8]
	v_and_b32_e32 v33, 7, v33
; %bb.272:                              ;   in Loop: Header=BB352_16 Depth=1
	s_or_b32 exec_lo, exec_lo, s24
	v_lshlrev_b32_e32 v7, 8, v35
	v_lshl_add_u32 v34, v36, 10, 0x2000
	s_delay_alu instid0(VALU_DEP_1) | instskip(NEXT) | instid1(VALU_DEP_1)
	v_and_or_b32 v7, 0x8000, v7, v34
	v_lshl_or_b32 v7, v33, 7, v7
	s_delay_alu instid0(VALU_DEP_1)
	v_cvt_f32_f16_e64 v145, v7
.LBB352_273:                            ;   in Loop: Header=BB352_16 Depth=1
	s_or_b32 exec_lo, exec_lo, s23
.LBB352_274:                            ;   in Loop: Header=BB352_16 Depth=1
	s_delay_alu instid0(SALU_CYCLE_1)
	s_or_b32 exec_lo, exec_lo, s22
.LBB352_275:                            ;   in Loop: Header=BB352_16 Depth=1
	s_delay_alu instid0(SALU_CYCLE_1)
	s_or_b32 exec_lo, exec_lo, s21
	flat_load_b64 v[33:34], v[31:32] offset:1024
	v_mov_b32_e32 v147, 0
	s_mov_b32 s21, exec_lo
	s_waitcnt vmcnt(0) lgkmcnt(0)
	v_dual_mov_b32 v148, 0 :: v_dual_and_b32 v7, 0xff, v33
	s_delay_alu instid0(VALU_DEP_1)
	v_cmpx_ne_u16_e32 0, v7
	s_cbranch_execz .LBB352_283
; %bb.276:                              ;   in Loop: Header=BB352_16 Depth=1
	v_bfrev_b32_e32 v147, 1
	s_mov_b32 s22, exec_lo
	v_cmpx_ne_u16_e32 0x80, v7
	s_cbranch_execz .LBB352_282
; %bb.277:                              ;   in Loop: Header=BB352_16 Depth=1
	v_and_b32_e32 v35, 0x7f, v33
	v_mov_b32_e32 v147, 0x7fc02000
	s_mov_b32 s23, exec_lo
	s_delay_alu instid0(VALU_DEP_2)
	v_cmpx_ne_u32_e32 0x7f, v35
	s_cbranch_execz .LBB352_281
; %bb.278:                              ;   in Loop: Header=BB352_16 Depth=1
	v_lshrrev_b32_e32 v7, 3, v35
	v_cmp_gt_u32_e64 s1, 8, v35
	v_dual_mov_b32 v36, v34 :: v_dual_mov_b32 v35, v33
	s_delay_alu instid0(VALU_DEP_2)
	s_and_saveexec_b32 s24, s1
; %bb.279:                              ;   in Loop: Header=BB352_16 Depth=1
	v_and_b32_e32 v7, 7, v33
	s_delay_alu instid0(VALU_DEP_1) | instskip(NEXT) | instid1(VALU_DEP_1)
	v_clz_i32_u32_e32 v7, v7
	v_min_u32_e32 v7, 32, v7
	s_delay_alu instid0(VALU_DEP_1) | instskip(SKIP_1) | instid1(VALU_DEP_2)
	v_subrev_nc_u32_e32 v35, 28, v7
	v_sub_nc_u32_e32 v7, 29, v7
	v_lshlrev_b64 v[35:36], v35, v[33:34]
; %bb.280:                              ;   in Loop: Header=BB352_16 Depth=1
	s_or_b32 exec_lo, exec_lo, s24
	v_lshlrev_b32_e32 v36, 8, v33
	s_delay_alu instid0(VALU_DEP_3) | instskip(NEXT) | instid1(VALU_DEP_3)
	v_lshl_add_u32 v7, v7, 10, 0x2000
	v_lshlrev_b32_e32 v35, 7, v35
	s_delay_alu instid0(VALU_DEP_2) | instskip(NEXT) | instid1(VALU_DEP_1)
	v_and_or_b32 v7, 0x8000, v36, v7
	v_and_or_b32 v7, 0x380, v35, v7
	s_delay_alu instid0(VALU_DEP_1)
	v_cvt_f32_f16_e64 v147, v7
.LBB352_281:                            ;   in Loop: Header=BB352_16 Depth=1
	s_or_b32 exec_lo, exec_lo, s23
.LBB352_282:                            ;   in Loop: Header=BB352_16 Depth=1
	s_delay_alu instid0(SALU_CYCLE_1)
	s_or_b32 exec_lo, exec_lo, s22
.LBB352_283:                            ;   in Loop: Header=BB352_16 Depth=1
	s_delay_alu instid0(SALU_CYCLE_1) | instskip(SKIP_2) | instid1(VALU_DEP_1)
	s_or_b32 exec_lo, exec_lo, s21
	v_lshrrev_b16 v7, 8, v33
	s_mov_b32 s21, exec_lo
	v_cmpx_ne_u16_e32 0, v7
	s_cbranch_execz .LBB352_291
; %bb.284:                              ;   in Loop: Header=BB352_16 Depth=1
	v_bfrev_b32_e32 v148, 1
	s_mov_b32 s22, exec_lo
	v_cmpx_ne_u16_e32 0x80, v7
	s_cbranch_execz .LBB352_290
; %bb.285:                              ;   in Loop: Header=BB352_16 Depth=1
	v_and_b32_e32 v149, 0xffff, v7
	v_mov_b32_e32 v148, 0x7fc02000
	s_mov_b32 s23, exec_lo
	s_delay_alu instid0(VALU_DEP_2) | instskip(NEXT) | instid1(VALU_DEP_1)
	v_and_b32_e32 v35, 0x7f, v149
	v_cmpx_ne_u32_e32 0x7f, v35
	s_cbranch_execz .LBB352_289
; %bb.286:                              ;   in Loop: Header=BB352_16 Depth=1
	v_and_b32_e32 v7, 7, v149
	v_lshrrev_b32_e32 v148, 3, v35
	v_cmp_gt_u32_e64 s1, 8, v35
	s_delay_alu instid0(VALU_DEP_3) | instskip(NEXT) | instid1(VALU_DEP_2)
	v_dual_mov_b32 v36, v8 :: v_dual_mov_b32 v35, v7
	s_and_saveexec_b32 s24, s1
; %bb.287:                              ;   in Loop: Header=BB352_16 Depth=1
	v_clz_i32_u32_e32 v35, v7
	s_delay_alu instid0(VALU_DEP_1) | instskip(NEXT) | instid1(VALU_DEP_1)
	v_min_u32_e32 v148, 32, v35
	v_subrev_nc_u32_e32 v35, 28, v148
	v_sub_nc_u32_e32 v148, 29, v148
	s_delay_alu instid0(VALU_DEP_2) | instskip(NEXT) | instid1(VALU_DEP_1)
	v_lshlrev_b64 v[35:36], v35, v[7:8]
	v_and_b32_e32 v35, 7, v35
; %bb.288:                              ;   in Loop: Header=BB352_16 Depth=1
	s_or_b32 exec_lo, exec_lo, s24
	v_lshlrev_b32_e32 v7, 8, v149
	v_lshl_add_u32 v36, v148, 10, 0x2000
	s_delay_alu instid0(VALU_DEP_1) | instskip(NEXT) | instid1(VALU_DEP_1)
	v_and_or_b32 v7, 0x8000, v7, v36
	v_lshl_or_b32 v7, v35, 7, v7
	s_delay_alu instid0(VALU_DEP_1)
	v_cvt_f32_f16_e64 v148, v7
.LBB352_289:                            ;   in Loop: Header=BB352_16 Depth=1
	s_or_b32 exec_lo, exec_lo, s23
.LBB352_290:                            ;   in Loop: Header=BB352_16 Depth=1
	s_delay_alu instid0(SALU_CYCLE_1)
	s_or_b32 exec_lo, exec_lo, s22
.LBB352_291:                            ;   in Loop: Header=BB352_16 Depth=1
	s_delay_alu instid0(SALU_CYCLE_1) | instskip(SKIP_3) | instid1(VALU_DEP_2)
	s_or_b32 exec_lo, exec_lo, s21
	v_lshrrev_b32_e32 v151, 16, v33
	v_mov_b32_e32 v149, 0
	s_mov_b32 s21, exec_lo
	v_dual_mov_b32 v150, 0 :: v_dual_and_b32 v7, 0xff, v151
	s_delay_alu instid0(VALU_DEP_1)
	v_cmpx_ne_u16_e32 0, v7
	s_cbranch_execz .LBB352_299
; %bb.292:                              ;   in Loop: Header=BB352_16 Depth=1
	v_bfrev_b32_e32 v149, 1
	s_mov_b32 s22, exec_lo
	v_cmpx_ne_u16_e32 0x80, v7
	s_cbranch_execz .LBB352_298
; %bb.293:                              ;   in Loop: Header=BB352_16 Depth=1
	v_bfe_u32 v35, v33, 16, 7
	v_mov_b32_e32 v149, 0x7fc02000
	s_mov_b32 s23, exec_lo
	s_delay_alu instid0(VALU_DEP_2)
	v_cmpx_ne_u32_e32 0x7f, v35
	s_cbranch_execz .LBB352_297
; %bb.294:                              ;   in Loop: Header=BB352_16 Depth=1
	v_and_b32_e32 v7, 7, v151
	v_lshrrev_b32_e32 v149, 3, v35
	v_cmp_gt_u32_e64 s1, 8, v35
	s_delay_alu instid0(VALU_DEP_3) | instskip(NEXT) | instid1(VALU_DEP_2)
	v_dual_mov_b32 v36, v8 :: v_dual_mov_b32 v35, v7
	s_and_saveexec_b32 s24, s1
; %bb.295:                              ;   in Loop: Header=BB352_16 Depth=1
	v_clz_i32_u32_e32 v35, v7
	s_delay_alu instid0(VALU_DEP_1) | instskip(NEXT) | instid1(VALU_DEP_1)
	v_min_u32_e32 v149, 32, v35
	v_subrev_nc_u32_e32 v35, 28, v149
	v_sub_nc_u32_e32 v149, 29, v149
	s_delay_alu instid0(VALU_DEP_2) | instskip(NEXT) | instid1(VALU_DEP_1)
	v_lshlrev_b64 v[35:36], v35, v[7:8]
	v_and_b32_e32 v35, 7, v35
; %bb.296:                              ;   in Loop: Header=BB352_16 Depth=1
	s_or_b32 exec_lo, exec_lo, s24
	v_lshlrev_b32_e32 v7, 8, v151
	v_lshl_add_u32 v36, v149, 10, 0x2000
	s_delay_alu instid0(VALU_DEP_1) | instskip(NEXT) | instid1(VALU_DEP_1)
	v_and_or_b32 v7, 0x8000, v7, v36
	v_lshl_or_b32 v7, v35, 7, v7
	s_delay_alu instid0(VALU_DEP_1)
	v_cvt_f32_f16_e64 v149, v7
.LBB352_297:                            ;   in Loop: Header=BB352_16 Depth=1
	s_or_b32 exec_lo, exec_lo, s23
.LBB352_298:                            ;   in Loop: Header=BB352_16 Depth=1
	s_delay_alu instid0(SALU_CYCLE_1)
	s_or_b32 exec_lo, exec_lo, s22
.LBB352_299:                            ;   in Loop: Header=BB352_16 Depth=1
	s_delay_alu instid0(SALU_CYCLE_1) | instskip(NEXT) | instid1(SALU_CYCLE_1)
	s_or_b32 exec_lo, exec_lo, s21
	s_mov_b32 s21, exec_lo
	v_cmpx_lt_u32_e32 0xffffff, v33
	s_cbranch_execz .LBB352_307
; %bb.300:                              ;   in Loop: Header=BB352_16 Depth=1
	v_lshrrev_b32_e32 v151, 24, v33
	v_bfrev_b32_e32 v150, 1
	s_mov_b32 s22, exec_lo
	s_delay_alu instid0(VALU_DEP_2)
	v_cmpx_ne_u32_e32 0x80, v151
	s_cbranch_execz .LBB352_306
; %bb.301:                              ;   in Loop: Header=BB352_16 Depth=1
	v_and_b32_e32 v35, 0x7f, v151
	v_mov_b32_e32 v150, 0x7fc02000
	s_mov_b32 s23, exec_lo
	s_delay_alu instid0(VALU_DEP_2)
	v_cmpx_ne_u32_e32 0x7f, v35
	s_cbranch_execz .LBB352_305
; %bb.302:                              ;   in Loop: Header=BB352_16 Depth=1
	v_and_b32_e32 v7, 7, v151
	v_lshrrev_b32_e32 v150, 3, v35
	v_cmp_gt_u32_e64 s1, 8, v35
	s_delay_alu instid0(VALU_DEP_3) | instskip(NEXT) | instid1(VALU_DEP_2)
	v_dual_mov_b32 v36, v8 :: v_dual_mov_b32 v35, v7
	s_and_saveexec_b32 s24, s1
; %bb.303:                              ;   in Loop: Header=BB352_16 Depth=1
	v_clz_i32_u32_e32 v35, v7
	s_delay_alu instid0(VALU_DEP_1) | instskip(NEXT) | instid1(VALU_DEP_1)
	v_min_u32_e32 v150, 32, v35
	v_subrev_nc_u32_e32 v35, 28, v150
	v_sub_nc_u32_e32 v150, 29, v150
	s_delay_alu instid0(VALU_DEP_2) | instskip(NEXT) | instid1(VALU_DEP_1)
	v_lshlrev_b64 v[35:36], v35, v[7:8]
	v_and_b32_e32 v35, 7, v35
; %bb.304:                              ;   in Loop: Header=BB352_16 Depth=1
	s_or_b32 exec_lo, exec_lo, s24
	v_lshlrev_b32_e32 v7, 8, v151
	v_lshl_add_u32 v36, v150, 10, 0x2000
	s_delay_alu instid0(VALU_DEP_1) | instskip(NEXT) | instid1(VALU_DEP_1)
	v_and_or_b32 v7, 0x8000, v7, v36
	v_lshl_or_b32 v7, v35, 7, v7
	s_delay_alu instid0(VALU_DEP_1)
	v_cvt_f32_f16_e64 v150, v7
.LBB352_305:                            ;   in Loop: Header=BB352_16 Depth=1
	s_or_b32 exec_lo, exec_lo, s23
.LBB352_306:                            ;   in Loop: Header=BB352_16 Depth=1
	s_delay_alu instid0(SALU_CYCLE_1)
	s_or_b32 exec_lo, exec_lo, s22
.LBB352_307:                            ;   in Loop: Header=BB352_16 Depth=1
	s_delay_alu instid0(SALU_CYCLE_1) | instskip(SKIP_4) | instid1(VALU_DEP_3)
	s_or_b32 exec_lo, exec_lo, s21
	v_dual_mov_b32 v160, 0 :: v_dual_and_b32 v35, 0xff, v34
	v_mov_b32_e32 v7, v34
	v_mov_b32_e32 v151, 0
	s_mov_b32 s21, exec_lo
	v_cmpx_ne_u16_e32 0, v35
	s_cbranch_execz .LBB352_315
; %bb.308:                              ;   in Loop: Header=BB352_16 Depth=1
	v_bfrev_b32_e32 v151, 1
	s_mov_b32 s22, exec_lo
	v_cmpx_ne_u16_e32 0x80, v35
	s_cbranch_execz .LBB352_314
; %bb.309:                              ;   in Loop: Header=BB352_16 Depth=1
	v_and_b32_e32 v35, 0x7f, v34
	v_mov_b32_e32 v151, 0x7fc02000
	s_mov_b32 s23, exec_lo
	s_delay_alu instid0(VALU_DEP_2)
	v_cmpx_ne_u32_e32 0x7f, v35
	s_cbranch_execz .LBB352_313
; %bb.310:                              ;   in Loop: Header=BB352_16 Depth=1
	v_lshrrev_b32_e32 v151, 3, v35
	v_cmp_gt_u32_e64 s1, 8, v35
	v_dual_mov_b32 v36, v8 :: v_dual_mov_b32 v35, v7
	s_delay_alu instid0(VALU_DEP_2)
	s_and_saveexec_b32 s24, s1
; %bb.311:                              ;   in Loop: Header=BB352_16 Depth=1
	v_and_b32_e32 v35, 7, v34
	s_delay_alu instid0(VALU_DEP_1) | instskip(NEXT) | instid1(VALU_DEP_1)
	v_clz_i32_u32_e32 v35, v35
	v_min_u32_e32 v151, 32, v35
	s_delay_alu instid0(VALU_DEP_1) | instskip(SKIP_1) | instid1(VALU_DEP_2)
	v_subrev_nc_u32_e32 v35, 28, v151
	v_sub_nc_u32_e32 v151, 29, v151
	v_lshlrev_b64 v[35:36], v35, v[7:8]
; %bb.312:                              ;   in Loop: Header=BB352_16 Depth=1
	s_or_b32 exec_lo, exec_lo, s24
	v_lshlrev_b32_e32 v36, 8, v34
	s_delay_alu instid0(VALU_DEP_3) | instskip(NEXT) | instid1(VALU_DEP_3)
	v_lshl_add_u32 v151, v151, 10, 0x2000
	v_lshlrev_b32_e32 v35, 7, v35
	s_delay_alu instid0(VALU_DEP_2) | instskip(NEXT) | instid1(VALU_DEP_1)
	v_and_or_b32 v36, 0x8000, v36, v151
	v_and_or_b32 v35, 0x380, v35, v36
	s_delay_alu instid0(VALU_DEP_1)
	v_cvt_f32_f16_e64 v151, v35
.LBB352_313:                            ;   in Loop: Header=BB352_16 Depth=1
	s_or_b32 exec_lo, exec_lo, s23
.LBB352_314:                            ;   in Loop: Header=BB352_16 Depth=1
	s_delay_alu instid0(SALU_CYCLE_1)
	s_or_b32 exec_lo, exec_lo, s22
.LBB352_315:                            ;   in Loop: Header=BB352_16 Depth=1
	s_delay_alu instid0(SALU_CYCLE_1) | instskip(SKIP_2) | instid1(VALU_DEP_1)
	s_or_b32 exec_lo, exec_lo, s21
	v_lshrrev_b16 v7, 8, v7
	s_mov_b32 s21, exec_lo
	v_cmpx_ne_u16_e32 0, v7
	s_cbranch_execz .LBB352_323
; %bb.316:                              ;   in Loop: Header=BB352_16 Depth=1
	v_bfrev_b32_e32 v160, 1
	s_mov_b32 s22, exec_lo
	v_cmpx_ne_u16_e32 0x80, v7
	s_cbranch_execz .LBB352_322
; %bb.317:                              ;   in Loop: Header=BB352_16 Depth=1
	v_and_b32_e32 v161, 0xffff, v7
	v_mov_b32_e32 v160, 0x7fc02000
	s_mov_b32 s23, exec_lo
	s_delay_alu instid0(VALU_DEP_2) | instskip(NEXT) | instid1(VALU_DEP_1)
	v_and_b32_e32 v35, 0x7f, v161
	v_cmpx_ne_u32_e32 0x7f, v35
	s_cbranch_execz .LBB352_321
; %bb.318:                              ;   in Loop: Header=BB352_16 Depth=1
	v_and_b32_e32 v7, 7, v161
	v_lshrrev_b32_e32 v160, 3, v35
	v_cmp_gt_u32_e64 s1, 8, v35
	s_delay_alu instid0(VALU_DEP_3) | instskip(NEXT) | instid1(VALU_DEP_2)
	v_dual_mov_b32 v36, v8 :: v_dual_mov_b32 v35, v7
	s_and_saveexec_b32 s24, s1
; %bb.319:                              ;   in Loop: Header=BB352_16 Depth=1
	v_clz_i32_u32_e32 v35, v7
	s_delay_alu instid0(VALU_DEP_1) | instskip(NEXT) | instid1(VALU_DEP_1)
	v_min_u32_e32 v160, 32, v35
	v_subrev_nc_u32_e32 v35, 28, v160
	v_sub_nc_u32_e32 v160, 29, v160
	s_delay_alu instid0(VALU_DEP_2) | instskip(NEXT) | instid1(VALU_DEP_1)
	v_lshlrev_b64 v[35:36], v35, v[7:8]
	v_and_b32_e32 v35, 7, v35
; %bb.320:                              ;   in Loop: Header=BB352_16 Depth=1
	s_or_b32 exec_lo, exec_lo, s24
	v_lshlrev_b32_e32 v7, 8, v161
	v_lshl_add_u32 v36, v160, 10, 0x2000
	s_delay_alu instid0(VALU_DEP_1) | instskip(NEXT) | instid1(VALU_DEP_1)
	v_and_or_b32 v7, 0x8000, v7, v36
	v_lshl_or_b32 v7, v35, 7, v7
	s_delay_alu instid0(VALU_DEP_1)
	v_cvt_f32_f16_e64 v160, v7
.LBB352_321:                            ;   in Loop: Header=BB352_16 Depth=1
	s_or_b32 exec_lo, exec_lo, s23
.LBB352_322:                            ;   in Loop: Header=BB352_16 Depth=1
	s_delay_alu instid0(SALU_CYCLE_1)
	s_or_b32 exec_lo, exec_lo, s22
.LBB352_323:                            ;   in Loop: Header=BB352_16 Depth=1
	s_delay_alu instid0(SALU_CYCLE_1) | instskip(SKIP_3) | instid1(VALU_DEP_2)
	s_or_b32 exec_lo, exec_lo, s21
	v_lshrrev_b32_e32 v163, 16, v34
	v_mov_b32_e32 v161, 0
	s_mov_b32 s21, exec_lo
	v_dual_mov_b32 v162, 0 :: v_dual_and_b32 v7, 0xff, v163
	s_delay_alu instid0(VALU_DEP_1)
	v_cmpx_ne_u16_e32 0, v7
	s_cbranch_execz .LBB352_331
; %bb.324:                              ;   in Loop: Header=BB352_16 Depth=1
	v_bfrev_b32_e32 v162, 1
	s_mov_b32 s22, exec_lo
	v_cmpx_ne_u16_e32 0x80, v7
	s_cbranch_execz .LBB352_330
; %bb.325:                              ;   in Loop: Header=BB352_16 Depth=1
	v_bfe_u32 v35, v34, 16, 7
	v_mov_b32_e32 v162, 0x7fc02000
	s_mov_b32 s23, exec_lo
	s_delay_alu instid0(VALU_DEP_2)
	v_cmpx_ne_u32_e32 0x7f, v35
	s_cbranch_execz .LBB352_329
; %bb.326:                              ;   in Loop: Header=BB352_16 Depth=1
	v_and_b32_e32 v7, 7, v163
	v_lshrrev_b32_e32 v162, 3, v35
	v_cmp_gt_u32_e64 s1, 8, v35
	s_delay_alu instid0(VALU_DEP_3) | instskip(NEXT) | instid1(VALU_DEP_2)
	v_dual_mov_b32 v36, v8 :: v_dual_mov_b32 v35, v7
	s_and_saveexec_b32 s24, s1
; %bb.327:                              ;   in Loop: Header=BB352_16 Depth=1
	v_clz_i32_u32_e32 v35, v7
	s_delay_alu instid0(VALU_DEP_1) | instskip(NEXT) | instid1(VALU_DEP_1)
	v_min_u32_e32 v162, 32, v35
	v_subrev_nc_u32_e32 v35, 28, v162
	v_sub_nc_u32_e32 v162, 29, v162
	s_delay_alu instid0(VALU_DEP_2) | instskip(NEXT) | instid1(VALU_DEP_1)
	v_lshlrev_b64 v[35:36], v35, v[7:8]
	v_and_b32_e32 v35, 7, v35
; %bb.328:                              ;   in Loop: Header=BB352_16 Depth=1
	s_or_b32 exec_lo, exec_lo, s24
	v_lshlrev_b32_e32 v7, 8, v163
	v_lshl_add_u32 v36, v162, 10, 0x2000
	s_delay_alu instid0(VALU_DEP_1) | instskip(NEXT) | instid1(VALU_DEP_1)
	v_and_or_b32 v7, 0x8000, v7, v36
	v_lshl_or_b32 v7, v35, 7, v7
	s_delay_alu instid0(VALU_DEP_1)
	v_cvt_f32_f16_e64 v162, v7
.LBB352_329:                            ;   in Loop: Header=BB352_16 Depth=1
	s_or_b32 exec_lo, exec_lo, s23
.LBB352_330:                            ;   in Loop: Header=BB352_16 Depth=1
	s_delay_alu instid0(SALU_CYCLE_1)
	s_or_b32 exec_lo, exec_lo, s22
.LBB352_331:                            ;   in Loop: Header=BB352_16 Depth=1
	s_delay_alu instid0(SALU_CYCLE_1) | instskip(NEXT) | instid1(SALU_CYCLE_1)
	s_or_b32 exec_lo, exec_lo, s21
	s_mov_b32 s21, exec_lo
	v_cmpx_lt_u64_e64 s[8:9], v[33:34]
	s_cbranch_execz .LBB352_339
; %bb.332:                              ;   in Loop: Header=BB352_16 Depth=1
	v_lshrrev_b32_e32 v35, 24, v34
	v_bfrev_b32_e32 v161, 1
	s_mov_b32 s22, exec_lo
	s_delay_alu instid0(VALU_DEP_2)
	v_cmpx_ne_u32_e32 0x80, v35
	s_cbranch_execz .LBB352_338
; %bb.333:                              ;   in Loop: Header=BB352_16 Depth=1
	v_and_b32_e32 v33, 0x7f, v35
	v_mov_b32_e32 v161, 0x7fc02000
	s_mov_b32 s23, exec_lo
	s_delay_alu instid0(VALU_DEP_2)
	v_cmpx_ne_u32_e32 0x7f, v33
	s_cbranch_execz .LBB352_337
; %bb.334:                              ;   in Loop: Header=BB352_16 Depth=1
	v_and_b32_e32 v7, 7, v35
	v_lshrrev_b32_e32 v36, 3, v33
	v_cmp_gt_u32_e64 s1, 8, v33
	s_delay_alu instid0(VALU_DEP_3) | instskip(NEXT) | instid1(VALU_DEP_2)
	v_dual_mov_b32 v34, v8 :: v_dual_mov_b32 v33, v7
	s_and_saveexec_b32 s24, s1
; %bb.335:                              ;   in Loop: Header=BB352_16 Depth=1
	v_clz_i32_u32_e32 v33, v7
	s_delay_alu instid0(VALU_DEP_1) | instskip(NEXT) | instid1(VALU_DEP_1)
	v_min_u32_e32 v36, 32, v33
	v_subrev_nc_u32_e32 v33, 28, v36
	v_sub_nc_u32_e32 v36, 29, v36
	s_delay_alu instid0(VALU_DEP_2) | instskip(NEXT) | instid1(VALU_DEP_1)
	v_lshlrev_b64 v[33:34], v33, v[7:8]
	v_and_b32_e32 v33, 7, v33
; %bb.336:                              ;   in Loop: Header=BB352_16 Depth=1
	s_or_b32 exec_lo, exec_lo, s24
	v_lshlrev_b32_e32 v7, 8, v35
	v_lshl_add_u32 v34, v36, 10, 0x2000
	s_delay_alu instid0(VALU_DEP_1) | instskip(NEXT) | instid1(VALU_DEP_1)
	v_and_or_b32 v7, 0x8000, v7, v34
	v_lshl_or_b32 v7, v33, 7, v7
	s_delay_alu instid0(VALU_DEP_1)
	v_cvt_f32_f16_e64 v161, v7
.LBB352_337:                            ;   in Loop: Header=BB352_16 Depth=1
	s_or_b32 exec_lo, exec_lo, s23
.LBB352_338:                            ;   in Loop: Header=BB352_16 Depth=1
	s_delay_alu instid0(SALU_CYCLE_1)
	s_or_b32 exec_lo, exec_lo, s22
.LBB352_339:                            ;   in Loop: Header=BB352_16 Depth=1
	s_delay_alu instid0(SALU_CYCLE_1)
	s_or_b32 exec_lo, exec_lo, s21
	flat_load_b64 v[33:34], v[31:32] offset:1032
	v_mov_b32_e32 v163, 0
	s_mov_b32 s21, exec_lo
	s_waitcnt vmcnt(0) lgkmcnt(0)
	v_dual_mov_b32 v164, 0 :: v_dual_and_b32 v7, 0xff, v33
	s_delay_alu instid0(VALU_DEP_1)
	v_cmpx_ne_u16_e32 0, v7
	s_cbranch_execz .LBB352_347
; %bb.340:                              ;   in Loop: Header=BB352_16 Depth=1
	v_bfrev_b32_e32 v163, 1
	s_mov_b32 s22, exec_lo
	v_cmpx_ne_u16_e32 0x80, v7
	s_cbranch_execz .LBB352_346
; %bb.341:                              ;   in Loop: Header=BB352_16 Depth=1
	v_and_b32_e32 v35, 0x7f, v33
	v_mov_b32_e32 v163, 0x7fc02000
	s_mov_b32 s23, exec_lo
	s_delay_alu instid0(VALU_DEP_2)
	v_cmpx_ne_u32_e32 0x7f, v35
	s_cbranch_execz .LBB352_345
; %bb.342:                              ;   in Loop: Header=BB352_16 Depth=1
	v_lshrrev_b32_e32 v7, 3, v35
	v_cmp_gt_u32_e64 s1, 8, v35
	v_dual_mov_b32 v36, v34 :: v_dual_mov_b32 v35, v33
	s_delay_alu instid0(VALU_DEP_2)
	s_and_saveexec_b32 s24, s1
; %bb.343:                              ;   in Loop: Header=BB352_16 Depth=1
	v_and_b32_e32 v7, 7, v33
	s_delay_alu instid0(VALU_DEP_1) | instskip(NEXT) | instid1(VALU_DEP_1)
	v_clz_i32_u32_e32 v7, v7
	v_min_u32_e32 v7, 32, v7
	s_delay_alu instid0(VALU_DEP_1) | instskip(SKIP_1) | instid1(VALU_DEP_2)
	v_subrev_nc_u32_e32 v35, 28, v7
	v_sub_nc_u32_e32 v7, 29, v7
	v_lshlrev_b64 v[35:36], v35, v[33:34]
; %bb.344:                              ;   in Loop: Header=BB352_16 Depth=1
	s_or_b32 exec_lo, exec_lo, s24
	v_lshlrev_b32_e32 v36, 8, v33
	s_delay_alu instid0(VALU_DEP_3) | instskip(NEXT) | instid1(VALU_DEP_3)
	v_lshl_add_u32 v7, v7, 10, 0x2000
	v_lshlrev_b32_e32 v35, 7, v35
	s_delay_alu instid0(VALU_DEP_2) | instskip(NEXT) | instid1(VALU_DEP_1)
	v_and_or_b32 v7, 0x8000, v36, v7
	v_and_or_b32 v7, 0x380, v35, v7
	s_delay_alu instid0(VALU_DEP_1)
	v_cvt_f32_f16_e64 v163, v7
.LBB352_345:                            ;   in Loop: Header=BB352_16 Depth=1
	s_or_b32 exec_lo, exec_lo, s23
.LBB352_346:                            ;   in Loop: Header=BB352_16 Depth=1
	s_delay_alu instid0(SALU_CYCLE_1)
	s_or_b32 exec_lo, exec_lo, s22
.LBB352_347:                            ;   in Loop: Header=BB352_16 Depth=1
	s_delay_alu instid0(SALU_CYCLE_1) | instskip(SKIP_2) | instid1(VALU_DEP_1)
	s_or_b32 exec_lo, exec_lo, s21
	v_lshrrev_b16 v7, 8, v33
	s_mov_b32 s21, exec_lo
	v_cmpx_ne_u16_e32 0, v7
	s_cbranch_execz .LBB352_355
; %bb.348:                              ;   in Loop: Header=BB352_16 Depth=1
	v_bfrev_b32_e32 v164, 1
	s_mov_b32 s22, exec_lo
	v_cmpx_ne_u16_e32 0x80, v7
	s_cbranch_execz .LBB352_354
; %bb.349:                              ;   in Loop: Header=BB352_16 Depth=1
	v_and_b32_e32 v165, 0xffff, v7
	v_mov_b32_e32 v164, 0x7fc02000
	s_mov_b32 s23, exec_lo
	s_delay_alu instid0(VALU_DEP_2) | instskip(NEXT) | instid1(VALU_DEP_1)
	v_and_b32_e32 v35, 0x7f, v165
	v_cmpx_ne_u32_e32 0x7f, v35
	s_cbranch_execz .LBB352_353
; %bb.350:                              ;   in Loop: Header=BB352_16 Depth=1
	v_and_b32_e32 v7, 7, v165
	v_lshrrev_b32_e32 v164, 3, v35
	v_cmp_gt_u32_e64 s1, 8, v35
	s_delay_alu instid0(VALU_DEP_3) | instskip(NEXT) | instid1(VALU_DEP_2)
	v_dual_mov_b32 v36, v8 :: v_dual_mov_b32 v35, v7
	s_and_saveexec_b32 s24, s1
; %bb.351:                              ;   in Loop: Header=BB352_16 Depth=1
	v_clz_i32_u32_e32 v35, v7
	s_delay_alu instid0(VALU_DEP_1) | instskip(NEXT) | instid1(VALU_DEP_1)
	v_min_u32_e32 v164, 32, v35
	v_subrev_nc_u32_e32 v35, 28, v164
	v_sub_nc_u32_e32 v164, 29, v164
	s_delay_alu instid0(VALU_DEP_2) | instskip(NEXT) | instid1(VALU_DEP_1)
	v_lshlrev_b64 v[35:36], v35, v[7:8]
	v_and_b32_e32 v35, 7, v35
; %bb.352:                              ;   in Loop: Header=BB352_16 Depth=1
	s_or_b32 exec_lo, exec_lo, s24
	v_lshlrev_b32_e32 v7, 8, v165
	v_lshl_add_u32 v36, v164, 10, 0x2000
	s_delay_alu instid0(VALU_DEP_1) | instskip(NEXT) | instid1(VALU_DEP_1)
	v_and_or_b32 v7, 0x8000, v7, v36
	v_lshl_or_b32 v7, v35, 7, v7
	s_delay_alu instid0(VALU_DEP_1)
	v_cvt_f32_f16_e64 v164, v7
.LBB352_353:                            ;   in Loop: Header=BB352_16 Depth=1
	s_or_b32 exec_lo, exec_lo, s23
.LBB352_354:                            ;   in Loop: Header=BB352_16 Depth=1
	s_delay_alu instid0(SALU_CYCLE_1)
	s_or_b32 exec_lo, exec_lo, s22
.LBB352_355:                            ;   in Loop: Header=BB352_16 Depth=1
	s_delay_alu instid0(SALU_CYCLE_1) | instskip(SKIP_3) | instid1(VALU_DEP_2)
	s_or_b32 exec_lo, exec_lo, s21
	v_lshrrev_b32_e32 v167, 16, v33
	v_mov_b32_e32 v165, 0
	s_mov_b32 s21, exec_lo
	v_dual_mov_b32 v166, 0 :: v_dual_and_b32 v7, 0xff, v167
	s_delay_alu instid0(VALU_DEP_1)
	v_cmpx_ne_u16_e32 0, v7
	s_cbranch_execz .LBB352_363
; %bb.356:                              ;   in Loop: Header=BB352_16 Depth=1
	v_bfrev_b32_e32 v165, 1
	s_mov_b32 s22, exec_lo
	v_cmpx_ne_u16_e32 0x80, v7
	s_cbranch_execz .LBB352_362
; %bb.357:                              ;   in Loop: Header=BB352_16 Depth=1
	v_bfe_u32 v35, v33, 16, 7
	v_mov_b32_e32 v165, 0x7fc02000
	s_mov_b32 s23, exec_lo
	s_delay_alu instid0(VALU_DEP_2)
	v_cmpx_ne_u32_e32 0x7f, v35
	s_cbranch_execz .LBB352_361
; %bb.358:                              ;   in Loop: Header=BB352_16 Depth=1
	v_and_b32_e32 v7, 7, v167
	v_lshrrev_b32_e32 v165, 3, v35
	v_cmp_gt_u32_e64 s1, 8, v35
	s_delay_alu instid0(VALU_DEP_3) | instskip(NEXT) | instid1(VALU_DEP_2)
	v_dual_mov_b32 v36, v8 :: v_dual_mov_b32 v35, v7
	s_and_saveexec_b32 s24, s1
; %bb.359:                              ;   in Loop: Header=BB352_16 Depth=1
	v_clz_i32_u32_e32 v35, v7
	s_delay_alu instid0(VALU_DEP_1) | instskip(NEXT) | instid1(VALU_DEP_1)
	v_min_u32_e32 v165, 32, v35
	v_subrev_nc_u32_e32 v35, 28, v165
	v_sub_nc_u32_e32 v165, 29, v165
	s_delay_alu instid0(VALU_DEP_2) | instskip(NEXT) | instid1(VALU_DEP_1)
	v_lshlrev_b64 v[35:36], v35, v[7:8]
	v_and_b32_e32 v35, 7, v35
; %bb.360:                              ;   in Loop: Header=BB352_16 Depth=1
	s_or_b32 exec_lo, exec_lo, s24
	v_lshlrev_b32_e32 v7, 8, v167
	v_lshl_add_u32 v36, v165, 10, 0x2000
	s_delay_alu instid0(VALU_DEP_1) | instskip(NEXT) | instid1(VALU_DEP_1)
	v_and_or_b32 v7, 0x8000, v7, v36
	v_lshl_or_b32 v7, v35, 7, v7
	s_delay_alu instid0(VALU_DEP_1)
	v_cvt_f32_f16_e64 v165, v7
.LBB352_361:                            ;   in Loop: Header=BB352_16 Depth=1
	s_or_b32 exec_lo, exec_lo, s23
.LBB352_362:                            ;   in Loop: Header=BB352_16 Depth=1
	s_delay_alu instid0(SALU_CYCLE_1)
	s_or_b32 exec_lo, exec_lo, s22
.LBB352_363:                            ;   in Loop: Header=BB352_16 Depth=1
	s_delay_alu instid0(SALU_CYCLE_1) | instskip(NEXT) | instid1(SALU_CYCLE_1)
	s_or_b32 exec_lo, exec_lo, s21
	s_mov_b32 s21, exec_lo
	v_cmpx_lt_u32_e32 0xffffff, v33
	s_cbranch_execz .LBB352_371
; %bb.364:                              ;   in Loop: Header=BB352_16 Depth=1
	v_lshrrev_b32_e32 v167, 24, v33
	v_bfrev_b32_e32 v166, 1
	s_mov_b32 s22, exec_lo
	s_delay_alu instid0(VALU_DEP_2)
	v_cmpx_ne_u32_e32 0x80, v167
	s_cbranch_execz .LBB352_370
; %bb.365:                              ;   in Loop: Header=BB352_16 Depth=1
	v_and_b32_e32 v35, 0x7f, v167
	v_mov_b32_e32 v166, 0x7fc02000
	s_mov_b32 s23, exec_lo
	s_delay_alu instid0(VALU_DEP_2)
	v_cmpx_ne_u32_e32 0x7f, v35
	s_cbranch_execz .LBB352_369
; %bb.366:                              ;   in Loop: Header=BB352_16 Depth=1
	v_and_b32_e32 v7, 7, v167
	v_lshrrev_b32_e32 v166, 3, v35
	v_cmp_gt_u32_e64 s1, 8, v35
	s_delay_alu instid0(VALU_DEP_3) | instskip(NEXT) | instid1(VALU_DEP_2)
	v_dual_mov_b32 v36, v8 :: v_dual_mov_b32 v35, v7
	s_and_saveexec_b32 s24, s1
; %bb.367:                              ;   in Loop: Header=BB352_16 Depth=1
	v_clz_i32_u32_e32 v35, v7
	s_delay_alu instid0(VALU_DEP_1) | instskip(NEXT) | instid1(VALU_DEP_1)
	v_min_u32_e32 v166, 32, v35
	v_subrev_nc_u32_e32 v35, 28, v166
	v_sub_nc_u32_e32 v166, 29, v166
	s_delay_alu instid0(VALU_DEP_2) | instskip(NEXT) | instid1(VALU_DEP_1)
	v_lshlrev_b64 v[35:36], v35, v[7:8]
	v_and_b32_e32 v35, 7, v35
; %bb.368:                              ;   in Loop: Header=BB352_16 Depth=1
	s_or_b32 exec_lo, exec_lo, s24
	v_lshlrev_b32_e32 v7, 8, v167
	v_lshl_add_u32 v36, v166, 10, 0x2000
	s_delay_alu instid0(VALU_DEP_1) | instskip(NEXT) | instid1(VALU_DEP_1)
	v_and_or_b32 v7, 0x8000, v7, v36
	v_lshl_or_b32 v7, v35, 7, v7
	s_delay_alu instid0(VALU_DEP_1)
	v_cvt_f32_f16_e64 v166, v7
.LBB352_369:                            ;   in Loop: Header=BB352_16 Depth=1
	s_or_b32 exec_lo, exec_lo, s23
.LBB352_370:                            ;   in Loop: Header=BB352_16 Depth=1
	s_delay_alu instid0(SALU_CYCLE_1)
	s_or_b32 exec_lo, exec_lo, s22
.LBB352_371:                            ;   in Loop: Header=BB352_16 Depth=1
	s_delay_alu instid0(SALU_CYCLE_1) | instskip(SKIP_4) | instid1(VALU_DEP_3)
	s_or_b32 exec_lo, exec_lo, s21
	v_dual_mov_b32 v176, 0 :: v_dual_and_b32 v35, 0xff, v34
	v_mov_b32_e32 v7, v34
	v_mov_b32_e32 v167, 0
	s_mov_b32 s21, exec_lo
	v_cmpx_ne_u16_e32 0, v35
	s_cbranch_execz .LBB352_379
; %bb.372:                              ;   in Loop: Header=BB352_16 Depth=1
	v_bfrev_b32_e32 v167, 1
	s_mov_b32 s22, exec_lo
	v_cmpx_ne_u16_e32 0x80, v35
	s_cbranch_execz .LBB352_378
; %bb.373:                              ;   in Loop: Header=BB352_16 Depth=1
	v_and_b32_e32 v35, 0x7f, v34
	v_mov_b32_e32 v167, 0x7fc02000
	s_mov_b32 s23, exec_lo
	s_delay_alu instid0(VALU_DEP_2)
	v_cmpx_ne_u32_e32 0x7f, v35
	s_cbranch_execz .LBB352_377
; %bb.374:                              ;   in Loop: Header=BB352_16 Depth=1
	v_lshrrev_b32_e32 v167, 3, v35
	v_cmp_gt_u32_e64 s1, 8, v35
	v_dual_mov_b32 v36, v8 :: v_dual_mov_b32 v35, v7
	s_delay_alu instid0(VALU_DEP_2)
	s_and_saveexec_b32 s24, s1
; %bb.375:                              ;   in Loop: Header=BB352_16 Depth=1
	v_and_b32_e32 v35, 7, v34
	s_delay_alu instid0(VALU_DEP_1) | instskip(NEXT) | instid1(VALU_DEP_1)
	v_clz_i32_u32_e32 v35, v35
	v_min_u32_e32 v167, 32, v35
	s_delay_alu instid0(VALU_DEP_1) | instskip(SKIP_1) | instid1(VALU_DEP_2)
	v_subrev_nc_u32_e32 v35, 28, v167
	v_sub_nc_u32_e32 v167, 29, v167
	v_lshlrev_b64 v[35:36], v35, v[7:8]
; %bb.376:                              ;   in Loop: Header=BB352_16 Depth=1
	s_or_b32 exec_lo, exec_lo, s24
	v_lshlrev_b32_e32 v36, 8, v34
	s_delay_alu instid0(VALU_DEP_3) | instskip(NEXT) | instid1(VALU_DEP_3)
	v_lshl_add_u32 v167, v167, 10, 0x2000
	v_lshlrev_b32_e32 v35, 7, v35
	s_delay_alu instid0(VALU_DEP_2) | instskip(NEXT) | instid1(VALU_DEP_1)
	v_and_or_b32 v36, 0x8000, v36, v167
	v_and_or_b32 v35, 0x380, v35, v36
	s_delay_alu instid0(VALU_DEP_1)
	v_cvt_f32_f16_e64 v167, v35
.LBB352_377:                            ;   in Loop: Header=BB352_16 Depth=1
	s_or_b32 exec_lo, exec_lo, s23
.LBB352_378:                            ;   in Loop: Header=BB352_16 Depth=1
	s_delay_alu instid0(SALU_CYCLE_1)
	s_or_b32 exec_lo, exec_lo, s22
.LBB352_379:                            ;   in Loop: Header=BB352_16 Depth=1
	s_delay_alu instid0(SALU_CYCLE_1) | instskip(SKIP_2) | instid1(VALU_DEP_1)
	s_or_b32 exec_lo, exec_lo, s21
	v_lshrrev_b16 v7, 8, v7
	s_mov_b32 s21, exec_lo
	v_cmpx_ne_u16_e32 0, v7
	s_cbranch_execz .LBB352_387
; %bb.380:                              ;   in Loop: Header=BB352_16 Depth=1
	v_bfrev_b32_e32 v176, 1
	s_mov_b32 s22, exec_lo
	v_cmpx_ne_u16_e32 0x80, v7
	s_cbranch_execz .LBB352_386
; %bb.381:                              ;   in Loop: Header=BB352_16 Depth=1
	v_and_b32_e32 v177, 0xffff, v7
	v_mov_b32_e32 v176, 0x7fc02000
	s_mov_b32 s23, exec_lo
	s_delay_alu instid0(VALU_DEP_2) | instskip(NEXT) | instid1(VALU_DEP_1)
	v_and_b32_e32 v35, 0x7f, v177
	v_cmpx_ne_u32_e32 0x7f, v35
	s_cbranch_execz .LBB352_385
; %bb.382:                              ;   in Loop: Header=BB352_16 Depth=1
	v_and_b32_e32 v7, 7, v177
	v_lshrrev_b32_e32 v176, 3, v35
	v_cmp_gt_u32_e64 s1, 8, v35
	s_delay_alu instid0(VALU_DEP_3) | instskip(NEXT) | instid1(VALU_DEP_2)
	v_dual_mov_b32 v36, v8 :: v_dual_mov_b32 v35, v7
	s_and_saveexec_b32 s24, s1
; %bb.383:                              ;   in Loop: Header=BB352_16 Depth=1
	v_clz_i32_u32_e32 v35, v7
	s_delay_alu instid0(VALU_DEP_1) | instskip(NEXT) | instid1(VALU_DEP_1)
	v_min_u32_e32 v176, 32, v35
	v_subrev_nc_u32_e32 v35, 28, v176
	v_sub_nc_u32_e32 v176, 29, v176
	s_delay_alu instid0(VALU_DEP_2) | instskip(NEXT) | instid1(VALU_DEP_1)
	v_lshlrev_b64 v[35:36], v35, v[7:8]
	v_and_b32_e32 v35, 7, v35
; %bb.384:                              ;   in Loop: Header=BB352_16 Depth=1
	s_or_b32 exec_lo, exec_lo, s24
	v_lshlrev_b32_e32 v7, 8, v177
	v_lshl_add_u32 v36, v176, 10, 0x2000
	s_delay_alu instid0(VALU_DEP_1) | instskip(NEXT) | instid1(VALU_DEP_1)
	v_and_or_b32 v7, 0x8000, v7, v36
	v_lshl_or_b32 v7, v35, 7, v7
	s_delay_alu instid0(VALU_DEP_1)
	v_cvt_f32_f16_e64 v176, v7
.LBB352_385:                            ;   in Loop: Header=BB352_16 Depth=1
	s_or_b32 exec_lo, exec_lo, s23
.LBB352_386:                            ;   in Loop: Header=BB352_16 Depth=1
	s_delay_alu instid0(SALU_CYCLE_1)
	s_or_b32 exec_lo, exec_lo, s22
.LBB352_387:                            ;   in Loop: Header=BB352_16 Depth=1
	s_delay_alu instid0(SALU_CYCLE_1) | instskip(SKIP_3) | instid1(VALU_DEP_2)
	s_or_b32 exec_lo, exec_lo, s21
	v_lshrrev_b32_e32 v179, 16, v34
	v_mov_b32_e32 v177, 0
	s_mov_b32 s21, exec_lo
	v_dual_mov_b32 v178, 0 :: v_dual_and_b32 v7, 0xff, v179
	s_delay_alu instid0(VALU_DEP_1)
	v_cmpx_ne_u16_e32 0, v7
	s_cbranch_execz .LBB352_395
; %bb.388:                              ;   in Loop: Header=BB352_16 Depth=1
	v_bfrev_b32_e32 v178, 1
	s_mov_b32 s22, exec_lo
	v_cmpx_ne_u16_e32 0x80, v7
	s_cbranch_execz .LBB352_394
; %bb.389:                              ;   in Loop: Header=BB352_16 Depth=1
	v_bfe_u32 v35, v34, 16, 7
	v_mov_b32_e32 v178, 0x7fc02000
	s_mov_b32 s23, exec_lo
	s_delay_alu instid0(VALU_DEP_2)
	v_cmpx_ne_u32_e32 0x7f, v35
	s_cbranch_execz .LBB352_393
; %bb.390:                              ;   in Loop: Header=BB352_16 Depth=1
	v_and_b32_e32 v7, 7, v179
	v_lshrrev_b32_e32 v178, 3, v35
	v_cmp_gt_u32_e64 s1, 8, v35
	s_delay_alu instid0(VALU_DEP_3) | instskip(NEXT) | instid1(VALU_DEP_2)
	v_dual_mov_b32 v36, v8 :: v_dual_mov_b32 v35, v7
	s_and_saveexec_b32 s24, s1
; %bb.391:                              ;   in Loop: Header=BB352_16 Depth=1
	v_clz_i32_u32_e32 v35, v7
	s_delay_alu instid0(VALU_DEP_1) | instskip(NEXT) | instid1(VALU_DEP_1)
	v_min_u32_e32 v178, 32, v35
	v_subrev_nc_u32_e32 v35, 28, v178
	v_sub_nc_u32_e32 v178, 29, v178
	s_delay_alu instid0(VALU_DEP_2) | instskip(NEXT) | instid1(VALU_DEP_1)
	v_lshlrev_b64 v[35:36], v35, v[7:8]
	v_and_b32_e32 v35, 7, v35
; %bb.392:                              ;   in Loop: Header=BB352_16 Depth=1
	s_or_b32 exec_lo, exec_lo, s24
	v_lshlrev_b32_e32 v7, 8, v179
	v_lshl_add_u32 v36, v178, 10, 0x2000
	s_delay_alu instid0(VALU_DEP_1) | instskip(NEXT) | instid1(VALU_DEP_1)
	v_and_or_b32 v7, 0x8000, v7, v36
	v_lshl_or_b32 v7, v35, 7, v7
	s_delay_alu instid0(VALU_DEP_1)
	v_cvt_f32_f16_e64 v178, v7
.LBB352_393:                            ;   in Loop: Header=BB352_16 Depth=1
	s_or_b32 exec_lo, exec_lo, s23
.LBB352_394:                            ;   in Loop: Header=BB352_16 Depth=1
	s_delay_alu instid0(SALU_CYCLE_1)
	s_or_b32 exec_lo, exec_lo, s22
.LBB352_395:                            ;   in Loop: Header=BB352_16 Depth=1
	s_delay_alu instid0(SALU_CYCLE_1) | instskip(NEXT) | instid1(SALU_CYCLE_1)
	s_or_b32 exec_lo, exec_lo, s21
	s_mov_b32 s21, exec_lo
	v_cmpx_lt_u64_e64 s[8:9], v[33:34]
	s_cbranch_execz .LBB352_403
; %bb.396:                              ;   in Loop: Header=BB352_16 Depth=1
	v_lshrrev_b32_e32 v35, 24, v34
	v_bfrev_b32_e32 v177, 1
	s_mov_b32 s22, exec_lo
	s_delay_alu instid0(VALU_DEP_2)
	v_cmpx_ne_u32_e32 0x80, v35
	s_cbranch_execz .LBB352_402
; %bb.397:                              ;   in Loop: Header=BB352_16 Depth=1
	v_and_b32_e32 v33, 0x7f, v35
	v_mov_b32_e32 v177, 0x7fc02000
	s_mov_b32 s23, exec_lo
	s_delay_alu instid0(VALU_DEP_2)
	v_cmpx_ne_u32_e32 0x7f, v33
	s_cbranch_execz .LBB352_401
; %bb.398:                              ;   in Loop: Header=BB352_16 Depth=1
	v_and_b32_e32 v7, 7, v35
	v_lshrrev_b32_e32 v36, 3, v33
	v_cmp_gt_u32_e64 s1, 8, v33
	s_delay_alu instid0(VALU_DEP_3) | instskip(NEXT) | instid1(VALU_DEP_2)
	v_dual_mov_b32 v34, v8 :: v_dual_mov_b32 v33, v7
	s_and_saveexec_b32 s24, s1
; %bb.399:                              ;   in Loop: Header=BB352_16 Depth=1
	v_clz_i32_u32_e32 v33, v7
	s_delay_alu instid0(VALU_DEP_1) | instskip(NEXT) | instid1(VALU_DEP_1)
	v_min_u32_e32 v36, 32, v33
	v_subrev_nc_u32_e32 v33, 28, v36
	v_sub_nc_u32_e32 v36, 29, v36
	s_delay_alu instid0(VALU_DEP_2) | instskip(NEXT) | instid1(VALU_DEP_1)
	v_lshlrev_b64 v[33:34], v33, v[7:8]
	v_and_b32_e32 v33, 7, v33
; %bb.400:                              ;   in Loop: Header=BB352_16 Depth=1
	s_or_b32 exec_lo, exec_lo, s24
	v_lshlrev_b32_e32 v7, 8, v35
	v_lshl_add_u32 v34, v36, 10, 0x2000
	s_delay_alu instid0(VALU_DEP_1) | instskip(NEXT) | instid1(VALU_DEP_1)
	v_and_or_b32 v7, 0x8000, v7, v34
	v_lshl_or_b32 v7, v33, 7, v7
	s_delay_alu instid0(VALU_DEP_1)
	v_cvt_f32_f16_e64 v177, v7
.LBB352_401:                            ;   in Loop: Header=BB352_16 Depth=1
	s_or_b32 exec_lo, exec_lo, s23
.LBB352_402:                            ;   in Loop: Header=BB352_16 Depth=1
	s_delay_alu instid0(SALU_CYCLE_1)
	s_or_b32 exec_lo, exec_lo, s22
.LBB352_403:                            ;   in Loop: Header=BB352_16 Depth=1
	s_delay_alu instid0(SALU_CYCLE_1)
	s_or_b32 exec_lo, exec_lo, s21
	flat_load_b64 v[33:34], v[31:32] offset:1536
	v_mov_b32_e32 v179, 0
	s_mov_b32 s21, exec_lo
	s_waitcnt vmcnt(0) lgkmcnt(0)
	v_dual_mov_b32 v180, 0 :: v_dual_and_b32 v7, 0xff, v33
	s_delay_alu instid0(VALU_DEP_1)
	v_cmpx_ne_u16_e32 0, v7
	s_cbranch_execz .LBB352_411
; %bb.404:                              ;   in Loop: Header=BB352_16 Depth=1
	v_bfrev_b32_e32 v179, 1
	s_mov_b32 s22, exec_lo
	v_cmpx_ne_u16_e32 0x80, v7
	s_cbranch_execz .LBB352_410
; %bb.405:                              ;   in Loop: Header=BB352_16 Depth=1
	v_and_b32_e32 v35, 0x7f, v33
	v_mov_b32_e32 v179, 0x7fc02000
	s_mov_b32 s23, exec_lo
	s_delay_alu instid0(VALU_DEP_2)
	v_cmpx_ne_u32_e32 0x7f, v35
	s_cbranch_execz .LBB352_409
; %bb.406:                              ;   in Loop: Header=BB352_16 Depth=1
	v_lshrrev_b32_e32 v7, 3, v35
	v_cmp_gt_u32_e64 s1, 8, v35
	v_dual_mov_b32 v36, v34 :: v_dual_mov_b32 v35, v33
	s_delay_alu instid0(VALU_DEP_2)
	s_and_saveexec_b32 s24, s1
; %bb.407:                              ;   in Loop: Header=BB352_16 Depth=1
	v_and_b32_e32 v7, 7, v33
	s_delay_alu instid0(VALU_DEP_1) | instskip(NEXT) | instid1(VALU_DEP_1)
	v_clz_i32_u32_e32 v7, v7
	v_min_u32_e32 v7, 32, v7
	s_delay_alu instid0(VALU_DEP_1) | instskip(SKIP_1) | instid1(VALU_DEP_2)
	v_subrev_nc_u32_e32 v35, 28, v7
	v_sub_nc_u32_e32 v7, 29, v7
	v_lshlrev_b64 v[35:36], v35, v[33:34]
; %bb.408:                              ;   in Loop: Header=BB352_16 Depth=1
	s_or_b32 exec_lo, exec_lo, s24
	v_lshlrev_b32_e32 v36, 8, v33
	s_delay_alu instid0(VALU_DEP_3) | instskip(NEXT) | instid1(VALU_DEP_3)
	v_lshl_add_u32 v7, v7, 10, 0x2000
	v_lshlrev_b32_e32 v35, 7, v35
	s_delay_alu instid0(VALU_DEP_2) | instskip(NEXT) | instid1(VALU_DEP_1)
	v_and_or_b32 v7, 0x8000, v36, v7
	v_and_or_b32 v7, 0x380, v35, v7
	s_delay_alu instid0(VALU_DEP_1)
	v_cvt_f32_f16_e64 v179, v7
.LBB352_409:                            ;   in Loop: Header=BB352_16 Depth=1
	s_or_b32 exec_lo, exec_lo, s23
.LBB352_410:                            ;   in Loop: Header=BB352_16 Depth=1
	s_delay_alu instid0(SALU_CYCLE_1)
	s_or_b32 exec_lo, exec_lo, s22
.LBB352_411:                            ;   in Loop: Header=BB352_16 Depth=1
	s_delay_alu instid0(SALU_CYCLE_1) | instskip(SKIP_2) | instid1(VALU_DEP_1)
	s_or_b32 exec_lo, exec_lo, s21
	v_lshrrev_b16 v7, 8, v33
	s_mov_b32 s21, exec_lo
	v_cmpx_ne_u16_e32 0, v7
	s_cbranch_execz .LBB352_419
; %bb.412:                              ;   in Loop: Header=BB352_16 Depth=1
	v_bfrev_b32_e32 v180, 1
	s_mov_b32 s22, exec_lo
	v_cmpx_ne_u16_e32 0x80, v7
	s_cbranch_execz .LBB352_418
; %bb.413:                              ;   in Loop: Header=BB352_16 Depth=1
	v_and_b32_e32 v181, 0xffff, v7
	v_mov_b32_e32 v180, 0x7fc02000
	s_mov_b32 s23, exec_lo
	s_delay_alu instid0(VALU_DEP_2) | instskip(NEXT) | instid1(VALU_DEP_1)
	v_and_b32_e32 v35, 0x7f, v181
	v_cmpx_ne_u32_e32 0x7f, v35
	s_cbranch_execz .LBB352_417
; %bb.414:                              ;   in Loop: Header=BB352_16 Depth=1
	v_and_b32_e32 v7, 7, v181
	v_lshrrev_b32_e32 v180, 3, v35
	v_cmp_gt_u32_e64 s1, 8, v35
	s_delay_alu instid0(VALU_DEP_3) | instskip(NEXT) | instid1(VALU_DEP_2)
	v_dual_mov_b32 v36, v8 :: v_dual_mov_b32 v35, v7
	s_and_saveexec_b32 s24, s1
; %bb.415:                              ;   in Loop: Header=BB352_16 Depth=1
	v_clz_i32_u32_e32 v35, v7
	s_delay_alu instid0(VALU_DEP_1) | instskip(NEXT) | instid1(VALU_DEP_1)
	v_min_u32_e32 v180, 32, v35
	v_subrev_nc_u32_e32 v35, 28, v180
	v_sub_nc_u32_e32 v180, 29, v180
	s_delay_alu instid0(VALU_DEP_2) | instskip(NEXT) | instid1(VALU_DEP_1)
	v_lshlrev_b64 v[35:36], v35, v[7:8]
	v_and_b32_e32 v35, 7, v35
; %bb.416:                              ;   in Loop: Header=BB352_16 Depth=1
	s_or_b32 exec_lo, exec_lo, s24
	v_lshlrev_b32_e32 v7, 8, v181
	v_lshl_add_u32 v36, v180, 10, 0x2000
	s_delay_alu instid0(VALU_DEP_1) | instskip(NEXT) | instid1(VALU_DEP_1)
	v_and_or_b32 v7, 0x8000, v7, v36
	v_lshl_or_b32 v7, v35, 7, v7
	s_delay_alu instid0(VALU_DEP_1)
	v_cvt_f32_f16_e64 v180, v7
.LBB352_417:                            ;   in Loop: Header=BB352_16 Depth=1
	s_or_b32 exec_lo, exec_lo, s23
.LBB352_418:                            ;   in Loop: Header=BB352_16 Depth=1
	s_delay_alu instid0(SALU_CYCLE_1)
	s_or_b32 exec_lo, exec_lo, s22
.LBB352_419:                            ;   in Loop: Header=BB352_16 Depth=1
	s_delay_alu instid0(SALU_CYCLE_1) | instskip(SKIP_3) | instid1(VALU_DEP_2)
	s_or_b32 exec_lo, exec_lo, s21
	v_lshrrev_b32_e32 v183, 16, v33
	v_mov_b32_e32 v181, 0
	s_mov_b32 s21, exec_lo
	v_dual_mov_b32 v182, 0 :: v_dual_and_b32 v7, 0xff, v183
	s_delay_alu instid0(VALU_DEP_1)
	v_cmpx_ne_u16_e32 0, v7
	s_cbranch_execz .LBB352_427
; %bb.420:                              ;   in Loop: Header=BB352_16 Depth=1
	v_bfrev_b32_e32 v181, 1
	s_mov_b32 s22, exec_lo
	v_cmpx_ne_u16_e32 0x80, v7
	s_cbranch_execz .LBB352_426
; %bb.421:                              ;   in Loop: Header=BB352_16 Depth=1
	v_bfe_u32 v35, v33, 16, 7
	v_mov_b32_e32 v181, 0x7fc02000
	s_mov_b32 s23, exec_lo
	s_delay_alu instid0(VALU_DEP_2)
	v_cmpx_ne_u32_e32 0x7f, v35
	s_cbranch_execz .LBB352_425
; %bb.422:                              ;   in Loop: Header=BB352_16 Depth=1
	v_and_b32_e32 v7, 7, v183
	v_lshrrev_b32_e32 v181, 3, v35
	v_cmp_gt_u32_e64 s1, 8, v35
	s_delay_alu instid0(VALU_DEP_3) | instskip(NEXT) | instid1(VALU_DEP_2)
	v_dual_mov_b32 v36, v8 :: v_dual_mov_b32 v35, v7
	s_and_saveexec_b32 s24, s1
; %bb.423:                              ;   in Loop: Header=BB352_16 Depth=1
	v_clz_i32_u32_e32 v35, v7
	s_delay_alu instid0(VALU_DEP_1) | instskip(NEXT) | instid1(VALU_DEP_1)
	v_min_u32_e32 v181, 32, v35
	v_subrev_nc_u32_e32 v35, 28, v181
	v_sub_nc_u32_e32 v181, 29, v181
	s_delay_alu instid0(VALU_DEP_2) | instskip(NEXT) | instid1(VALU_DEP_1)
	v_lshlrev_b64 v[35:36], v35, v[7:8]
	v_and_b32_e32 v35, 7, v35
; %bb.424:                              ;   in Loop: Header=BB352_16 Depth=1
	s_or_b32 exec_lo, exec_lo, s24
	v_lshlrev_b32_e32 v7, 8, v183
	v_lshl_add_u32 v36, v181, 10, 0x2000
	s_delay_alu instid0(VALU_DEP_1) | instskip(NEXT) | instid1(VALU_DEP_1)
	v_and_or_b32 v7, 0x8000, v7, v36
	v_lshl_or_b32 v7, v35, 7, v7
	s_delay_alu instid0(VALU_DEP_1)
	v_cvt_f32_f16_e64 v181, v7
.LBB352_425:                            ;   in Loop: Header=BB352_16 Depth=1
	s_or_b32 exec_lo, exec_lo, s23
.LBB352_426:                            ;   in Loop: Header=BB352_16 Depth=1
	s_delay_alu instid0(SALU_CYCLE_1)
	s_or_b32 exec_lo, exec_lo, s22
.LBB352_427:                            ;   in Loop: Header=BB352_16 Depth=1
	s_delay_alu instid0(SALU_CYCLE_1) | instskip(NEXT) | instid1(SALU_CYCLE_1)
	s_or_b32 exec_lo, exec_lo, s21
	s_mov_b32 s21, exec_lo
	v_cmpx_lt_u32_e32 0xffffff, v33
	s_cbranch_execz .LBB352_435
; %bb.428:                              ;   in Loop: Header=BB352_16 Depth=1
	v_lshrrev_b32_e32 v183, 24, v33
	v_bfrev_b32_e32 v182, 1
	s_mov_b32 s22, exec_lo
	s_delay_alu instid0(VALU_DEP_2)
	v_cmpx_ne_u32_e32 0x80, v183
	s_cbranch_execz .LBB352_434
; %bb.429:                              ;   in Loop: Header=BB352_16 Depth=1
	v_and_b32_e32 v35, 0x7f, v183
	v_mov_b32_e32 v182, 0x7fc02000
	s_mov_b32 s23, exec_lo
	s_delay_alu instid0(VALU_DEP_2)
	v_cmpx_ne_u32_e32 0x7f, v35
	s_cbranch_execz .LBB352_433
; %bb.430:                              ;   in Loop: Header=BB352_16 Depth=1
	v_and_b32_e32 v7, 7, v183
	v_lshrrev_b32_e32 v182, 3, v35
	v_cmp_gt_u32_e64 s1, 8, v35
	s_delay_alu instid0(VALU_DEP_3) | instskip(NEXT) | instid1(VALU_DEP_2)
	v_dual_mov_b32 v36, v8 :: v_dual_mov_b32 v35, v7
	s_and_saveexec_b32 s24, s1
; %bb.431:                              ;   in Loop: Header=BB352_16 Depth=1
	v_clz_i32_u32_e32 v35, v7
	s_delay_alu instid0(VALU_DEP_1) | instskip(NEXT) | instid1(VALU_DEP_1)
	v_min_u32_e32 v182, 32, v35
	v_subrev_nc_u32_e32 v35, 28, v182
	v_sub_nc_u32_e32 v182, 29, v182
	s_delay_alu instid0(VALU_DEP_2) | instskip(NEXT) | instid1(VALU_DEP_1)
	v_lshlrev_b64 v[35:36], v35, v[7:8]
	v_and_b32_e32 v35, 7, v35
; %bb.432:                              ;   in Loop: Header=BB352_16 Depth=1
	s_or_b32 exec_lo, exec_lo, s24
	v_lshlrev_b32_e32 v7, 8, v183
	v_lshl_add_u32 v36, v182, 10, 0x2000
	s_delay_alu instid0(VALU_DEP_1) | instskip(NEXT) | instid1(VALU_DEP_1)
	v_and_or_b32 v7, 0x8000, v7, v36
	v_lshl_or_b32 v7, v35, 7, v7
	s_delay_alu instid0(VALU_DEP_1)
	v_cvt_f32_f16_e64 v182, v7
.LBB352_433:                            ;   in Loop: Header=BB352_16 Depth=1
	s_or_b32 exec_lo, exec_lo, s23
.LBB352_434:                            ;   in Loop: Header=BB352_16 Depth=1
	s_delay_alu instid0(SALU_CYCLE_1)
	s_or_b32 exec_lo, exec_lo, s22
.LBB352_435:                            ;   in Loop: Header=BB352_16 Depth=1
	s_delay_alu instid0(SALU_CYCLE_1) | instskip(SKIP_4) | instid1(VALU_DEP_3)
	s_or_b32 exec_lo, exec_lo, s21
	v_dual_mov_b32 v40, 0 :: v_dual_and_b32 v35, 0xff, v34
	v_mov_b32_e32 v7, v34
	v_mov_b32_e32 v183, 0
	s_mov_b32 s21, exec_lo
	v_cmpx_ne_u16_e32 0, v35
	s_cbranch_execz .LBB352_443
; %bb.436:                              ;   in Loop: Header=BB352_16 Depth=1
	v_bfrev_b32_e32 v183, 1
	s_mov_b32 s22, exec_lo
	v_cmpx_ne_u16_e32 0x80, v35
	s_cbranch_execz .LBB352_442
; %bb.437:                              ;   in Loop: Header=BB352_16 Depth=1
	v_and_b32_e32 v35, 0x7f, v34
	v_mov_b32_e32 v183, 0x7fc02000
	s_mov_b32 s23, exec_lo
	s_delay_alu instid0(VALU_DEP_2)
	v_cmpx_ne_u32_e32 0x7f, v35
	s_cbranch_execz .LBB352_441
; %bb.438:                              ;   in Loop: Header=BB352_16 Depth=1
	v_lshrrev_b32_e32 v183, 3, v35
	v_cmp_gt_u32_e64 s1, 8, v35
	v_dual_mov_b32 v36, v8 :: v_dual_mov_b32 v35, v7
	s_delay_alu instid0(VALU_DEP_2)
	s_and_saveexec_b32 s24, s1
; %bb.439:                              ;   in Loop: Header=BB352_16 Depth=1
	v_and_b32_e32 v35, 7, v34
	s_delay_alu instid0(VALU_DEP_1) | instskip(NEXT) | instid1(VALU_DEP_1)
	v_clz_i32_u32_e32 v35, v35
	v_min_u32_e32 v183, 32, v35
	s_delay_alu instid0(VALU_DEP_1) | instskip(SKIP_1) | instid1(VALU_DEP_2)
	v_subrev_nc_u32_e32 v35, 28, v183
	v_sub_nc_u32_e32 v183, 29, v183
	v_lshlrev_b64 v[35:36], v35, v[7:8]
; %bb.440:                              ;   in Loop: Header=BB352_16 Depth=1
	s_or_b32 exec_lo, exec_lo, s24
	v_lshlrev_b32_e32 v36, 8, v34
	s_delay_alu instid0(VALU_DEP_3) | instskip(NEXT) | instid1(VALU_DEP_3)
	v_lshl_add_u32 v183, v183, 10, 0x2000
	v_lshlrev_b32_e32 v35, 7, v35
	s_delay_alu instid0(VALU_DEP_2) | instskip(NEXT) | instid1(VALU_DEP_1)
	v_and_or_b32 v36, 0x8000, v36, v183
	v_and_or_b32 v35, 0x380, v35, v36
	s_delay_alu instid0(VALU_DEP_1)
	v_cvt_f32_f16_e64 v183, v35
.LBB352_441:                            ;   in Loop: Header=BB352_16 Depth=1
	s_or_b32 exec_lo, exec_lo, s23
.LBB352_442:                            ;   in Loop: Header=BB352_16 Depth=1
	s_delay_alu instid0(SALU_CYCLE_1)
	s_or_b32 exec_lo, exec_lo, s22
.LBB352_443:                            ;   in Loop: Header=BB352_16 Depth=1
	s_delay_alu instid0(SALU_CYCLE_1) | instskip(SKIP_2) | instid1(VALU_DEP_1)
	s_or_b32 exec_lo, exec_lo, s21
	v_lshrrev_b16 v7, 8, v7
	s_mov_b32 s21, exec_lo
	v_cmpx_ne_u16_e32 0, v7
	s_cbranch_execz .LBB352_451
; %bb.444:                              ;   in Loop: Header=BB352_16 Depth=1
	v_bfrev_b32_e32 v40, 1
	s_mov_b32 s22, exec_lo
	v_cmpx_ne_u16_e32 0x80, v7
	s_cbranch_execz .LBB352_450
; %bb.445:                              ;   in Loop: Header=BB352_16 Depth=1
	v_and_b32_e32 v41, 0xffff, v7
	v_mov_b32_e32 v40, 0x7fc02000
	s_mov_b32 s23, exec_lo
	s_delay_alu instid0(VALU_DEP_2) | instskip(NEXT) | instid1(VALU_DEP_1)
	v_and_b32_e32 v35, 0x7f, v41
	v_cmpx_ne_u32_e32 0x7f, v35
	s_cbranch_execz .LBB352_449
; %bb.446:                              ;   in Loop: Header=BB352_16 Depth=1
	v_and_b32_e32 v7, 7, v41
	v_lshrrev_b32_e32 v40, 3, v35
	v_cmp_gt_u32_e64 s1, 8, v35
	s_delay_alu instid0(VALU_DEP_3) | instskip(NEXT) | instid1(VALU_DEP_2)
	v_dual_mov_b32 v36, v8 :: v_dual_mov_b32 v35, v7
	s_and_saveexec_b32 s24, s1
; %bb.447:                              ;   in Loop: Header=BB352_16 Depth=1
	v_clz_i32_u32_e32 v35, v7
	s_delay_alu instid0(VALU_DEP_1) | instskip(NEXT) | instid1(VALU_DEP_1)
	v_min_u32_e32 v40, 32, v35
	v_subrev_nc_u32_e32 v35, 28, v40
	v_sub_nc_u32_e32 v40, 29, v40
	s_delay_alu instid0(VALU_DEP_2) | instskip(NEXT) | instid1(VALU_DEP_1)
	v_lshlrev_b64 v[35:36], v35, v[7:8]
	v_and_b32_e32 v35, 7, v35
; %bb.448:                              ;   in Loop: Header=BB352_16 Depth=1
	s_or_b32 exec_lo, exec_lo, s24
	v_lshlrev_b32_e32 v7, 8, v41
	v_lshl_add_u32 v36, v40, 10, 0x2000
	s_delay_alu instid0(VALU_DEP_1) | instskip(NEXT) | instid1(VALU_DEP_1)
	v_and_or_b32 v7, 0x8000, v7, v36
	v_lshl_or_b32 v7, v35, 7, v7
	s_delay_alu instid0(VALU_DEP_1)
	v_cvt_f32_f16_e32 v40, v7
.LBB352_449:                            ;   in Loop: Header=BB352_16 Depth=1
	s_or_b32 exec_lo, exec_lo, s23
.LBB352_450:                            ;   in Loop: Header=BB352_16 Depth=1
	s_delay_alu instid0(SALU_CYCLE_1)
	s_or_b32 exec_lo, exec_lo, s22
.LBB352_451:                            ;   in Loop: Header=BB352_16 Depth=1
	s_delay_alu instid0(SALU_CYCLE_1) | instskip(SKIP_3) | instid1(VALU_DEP_2)
	s_or_b32 exec_lo, exec_lo, s21
	v_lshrrev_b32_e32 v43, 16, v34
	v_mov_b32_e32 v41, 0
	s_mov_b32 s21, exec_lo
	v_dual_mov_b32 v42, 0 :: v_dual_and_b32 v7, 0xff, v43
	s_delay_alu instid0(VALU_DEP_1)
	v_cmpx_ne_u16_e32 0, v7
	s_cbranch_execz .LBB352_459
; %bb.452:                              ;   in Loop: Header=BB352_16 Depth=1
	v_bfrev_b32_e32 v42, 1
	s_mov_b32 s22, exec_lo
	v_cmpx_ne_u16_e32 0x80, v7
	s_cbranch_execz .LBB352_458
; %bb.453:                              ;   in Loop: Header=BB352_16 Depth=1
	v_bfe_u32 v35, v34, 16, 7
	v_mov_b32_e32 v42, 0x7fc02000
	s_mov_b32 s23, exec_lo
	s_delay_alu instid0(VALU_DEP_2)
	v_cmpx_ne_u32_e32 0x7f, v35
	s_cbranch_execz .LBB352_457
; %bb.454:                              ;   in Loop: Header=BB352_16 Depth=1
	v_and_b32_e32 v7, 7, v43
	v_lshrrev_b32_e32 v42, 3, v35
	v_cmp_gt_u32_e64 s1, 8, v35
	s_delay_alu instid0(VALU_DEP_3) | instskip(NEXT) | instid1(VALU_DEP_2)
	v_dual_mov_b32 v36, v8 :: v_dual_mov_b32 v35, v7
	s_and_saveexec_b32 s24, s1
; %bb.455:                              ;   in Loop: Header=BB352_16 Depth=1
	v_clz_i32_u32_e32 v35, v7
	s_delay_alu instid0(VALU_DEP_1) | instskip(NEXT) | instid1(VALU_DEP_1)
	v_min_u32_e32 v42, 32, v35
	v_subrev_nc_u32_e32 v35, 28, v42
	v_sub_nc_u32_e32 v42, 29, v42
	s_delay_alu instid0(VALU_DEP_2) | instskip(NEXT) | instid1(VALU_DEP_1)
	v_lshlrev_b64 v[35:36], v35, v[7:8]
	v_and_b32_e32 v35, 7, v35
; %bb.456:                              ;   in Loop: Header=BB352_16 Depth=1
	s_or_b32 exec_lo, exec_lo, s24
	v_lshlrev_b32_e32 v7, 8, v43
	v_lshl_add_u32 v36, v42, 10, 0x2000
	s_delay_alu instid0(VALU_DEP_1) | instskip(NEXT) | instid1(VALU_DEP_1)
	v_and_or_b32 v7, 0x8000, v7, v36
	v_lshl_or_b32 v7, v35, 7, v7
	s_delay_alu instid0(VALU_DEP_1)
	v_cvt_f32_f16_e32 v42, v7
.LBB352_457:                            ;   in Loop: Header=BB352_16 Depth=1
	s_or_b32 exec_lo, exec_lo, s23
.LBB352_458:                            ;   in Loop: Header=BB352_16 Depth=1
	s_delay_alu instid0(SALU_CYCLE_1)
	s_or_b32 exec_lo, exec_lo, s22
.LBB352_459:                            ;   in Loop: Header=BB352_16 Depth=1
	s_delay_alu instid0(SALU_CYCLE_1) | instskip(NEXT) | instid1(SALU_CYCLE_1)
	s_or_b32 exec_lo, exec_lo, s21
	s_mov_b32 s21, exec_lo
	v_cmpx_lt_u64_e64 s[8:9], v[33:34]
	s_cbranch_execz .LBB352_467
; %bb.460:                              ;   in Loop: Header=BB352_16 Depth=1
	v_lshrrev_b32_e32 v35, 24, v34
	v_bfrev_b32_e32 v41, 1
	s_mov_b32 s22, exec_lo
	s_delay_alu instid0(VALU_DEP_2)
	v_cmpx_ne_u32_e32 0x80, v35
	s_cbranch_execz .LBB352_466
; %bb.461:                              ;   in Loop: Header=BB352_16 Depth=1
	v_and_b32_e32 v33, 0x7f, v35
	v_mov_b32_e32 v41, 0x7fc02000
	s_mov_b32 s23, exec_lo
	s_delay_alu instid0(VALU_DEP_2)
	v_cmpx_ne_u32_e32 0x7f, v33
	s_cbranch_execz .LBB352_465
; %bb.462:                              ;   in Loop: Header=BB352_16 Depth=1
	v_and_b32_e32 v7, 7, v35
	v_lshrrev_b32_e32 v36, 3, v33
	v_cmp_gt_u32_e64 s1, 8, v33
	s_delay_alu instid0(VALU_DEP_3) | instskip(NEXT) | instid1(VALU_DEP_2)
	v_dual_mov_b32 v34, v8 :: v_dual_mov_b32 v33, v7
	s_and_saveexec_b32 s24, s1
; %bb.463:                              ;   in Loop: Header=BB352_16 Depth=1
	v_clz_i32_u32_e32 v33, v7
	s_delay_alu instid0(VALU_DEP_1) | instskip(NEXT) | instid1(VALU_DEP_1)
	v_min_u32_e32 v36, 32, v33
	v_subrev_nc_u32_e32 v33, 28, v36
	v_sub_nc_u32_e32 v36, 29, v36
	s_delay_alu instid0(VALU_DEP_2) | instskip(NEXT) | instid1(VALU_DEP_1)
	v_lshlrev_b64 v[33:34], v33, v[7:8]
	v_and_b32_e32 v33, 7, v33
; %bb.464:                              ;   in Loop: Header=BB352_16 Depth=1
	s_or_b32 exec_lo, exec_lo, s24
	v_lshlrev_b32_e32 v7, 8, v35
	v_lshl_add_u32 v34, v36, 10, 0x2000
	s_delay_alu instid0(VALU_DEP_1) | instskip(NEXT) | instid1(VALU_DEP_1)
	v_and_or_b32 v7, 0x8000, v7, v34
	v_lshl_or_b32 v7, v33, 7, v7
	s_delay_alu instid0(VALU_DEP_1)
	v_cvt_f32_f16_e32 v41, v7
.LBB352_465:                            ;   in Loop: Header=BB352_16 Depth=1
	s_or_b32 exec_lo, exec_lo, s23
.LBB352_466:                            ;   in Loop: Header=BB352_16 Depth=1
	s_delay_alu instid0(SALU_CYCLE_1)
	s_or_b32 exec_lo, exec_lo, s22
.LBB352_467:                            ;   in Loop: Header=BB352_16 Depth=1
	s_delay_alu instid0(SALU_CYCLE_1)
	s_or_b32 exec_lo, exec_lo, s21
	flat_load_b64 v[33:34], v[31:32] offset:1544
	v_mov_b32_e32 v43, 0
	s_mov_b32 s21, exec_lo
	s_waitcnt vmcnt(0) lgkmcnt(0)
	v_dual_mov_b32 v44, 0 :: v_dual_and_b32 v7, 0xff, v33
	s_delay_alu instid0(VALU_DEP_1)
	v_cmpx_ne_u16_e32 0, v7
	s_cbranch_execz .LBB352_475
; %bb.468:                              ;   in Loop: Header=BB352_16 Depth=1
	v_bfrev_b32_e32 v43, 1
	s_mov_b32 s22, exec_lo
	v_cmpx_ne_u16_e32 0x80, v7
	s_cbranch_execz .LBB352_474
; %bb.469:                              ;   in Loop: Header=BB352_16 Depth=1
	v_and_b32_e32 v35, 0x7f, v33
	v_mov_b32_e32 v43, 0x7fc02000
	s_mov_b32 s23, exec_lo
	s_delay_alu instid0(VALU_DEP_2)
	v_cmpx_ne_u32_e32 0x7f, v35
	s_cbranch_execz .LBB352_473
; %bb.470:                              ;   in Loop: Header=BB352_16 Depth=1
	v_lshrrev_b32_e32 v7, 3, v35
	v_cmp_gt_u32_e64 s1, 8, v35
	v_dual_mov_b32 v36, v34 :: v_dual_mov_b32 v35, v33
	s_delay_alu instid0(VALU_DEP_2)
	s_and_saveexec_b32 s24, s1
; %bb.471:                              ;   in Loop: Header=BB352_16 Depth=1
	v_and_b32_e32 v7, 7, v33
	s_delay_alu instid0(VALU_DEP_1) | instskip(NEXT) | instid1(VALU_DEP_1)
	v_clz_i32_u32_e32 v7, v7
	v_min_u32_e32 v7, 32, v7
	s_delay_alu instid0(VALU_DEP_1) | instskip(SKIP_1) | instid1(VALU_DEP_2)
	v_subrev_nc_u32_e32 v35, 28, v7
	v_sub_nc_u32_e32 v7, 29, v7
	v_lshlrev_b64 v[35:36], v35, v[33:34]
; %bb.472:                              ;   in Loop: Header=BB352_16 Depth=1
	s_or_b32 exec_lo, exec_lo, s24
	v_lshlrev_b32_e32 v36, 8, v33
	s_delay_alu instid0(VALU_DEP_3) | instskip(NEXT) | instid1(VALU_DEP_3)
	v_lshl_add_u32 v7, v7, 10, 0x2000
	v_lshlrev_b32_e32 v35, 7, v35
	s_delay_alu instid0(VALU_DEP_2) | instskip(NEXT) | instid1(VALU_DEP_1)
	v_and_or_b32 v7, 0x8000, v36, v7
	v_and_or_b32 v7, 0x380, v35, v7
	s_delay_alu instid0(VALU_DEP_1)
	v_cvt_f32_f16_e32 v43, v7
.LBB352_473:                            ;   in Loop: Header=BB352_16 Depth=1
	s_or_b32 exec_lo, exec_lo, s23
.LBB352_474:                            ;   in Loop: Header=BB352_16 Depth=1
	s_delay_alu instid0(SALU_CYCLE_1)
	s_or_b32 exec_lo, exec_lo, s22
.LBB352_475:                            ;   in Loop: Header=BB352_16 Depth=1
	s_delay_alu instid0(SALU_CYCLE_1) | instskip(SKIP_2) | instid1(VALU_DEP_1)
	s_or_b32 exec_lo, exec_lo, s21
	v_lshrrev_b16 v7, 8, v33
	s_mov_b32 s21, exec_lo
	v_cmpx_ne_u16_e32 0, v7
	s_cbranch_execz .LBB352_483
; %bb.476:                              ;   in Loop: Header=BB352_16 Depth=1
	v_bfrev_b32_e32 v44, 1
	s_mov_b32 s22, exec_lo
	v_cmpx_ne_u16_e32 0x80, v7
	s_cbranch_execz .LBB352_482
; %bb.477:                              ;   in Loop: Header=BB352_16 Depth=1
	v_and_b32_e32 v45, 0xffff, v7
	v_mov_b32_e32 v44, 0x7fc02000
	s_mov_b32 s23, exec_lo
	s_delay_alu instid0(VALU_DEP_2) | instskip(NEXT) | instid1(VALU_DEP_1)
	v_and_b32_e32 v35, 0x7f, v45
	v_cmpx_ne_u32_e32 0x7f, v35
	s_cbranch_execz .LBB352_481
; %bb.478:                              ;   in Loop: Header=BB352_16 Depth=1
	v_and_b32_e32 v7, 7, v45
	v_lshrrev_b32_e32 v44, 3, v35
	v_cmp_gt_u32_e64 s1, 8, v35
	s_delay_alu instid0(VALU_DEP_3) | instskip(NEXT) | instid1(VALU_DEP_2)
	v_dual_mov_b32 v36, v8 :: v_dual_mov_b32 v35, v7
	s_and_saveexec_b32 s24, s1
; %bb.479:                              ;   in Loop: Header=BB352_16 Depth=1
	v_clz_i32_u32_e32 v35, v7
	s_delay_alu instid0(VALU_DEP_1) | instskip(NEXT) | instid1(VALU_DEP_1)
	v_min_u32_e32 v44, 32, v35
	v_subrev_nc_u32_e32 v35, 28, v44
	v_sub_nc_u32_e32 v44, 29, v44
	s_delay_alu instid0(VALU_DEP_2) | instskip(NEXT) | instid1(VALU_DEP_1)
	v_lshlrev_b64 v[35:36], v35, v[7:8]
	v_and_b32_e32 v35, 7, v35
; %bb.480:                              ;   in Loop: Header=BB352_16 Depth=1
	s_or_b32 exec_lo, exec_lo, s24
	v_lshlrev_b32_e32 v7, 8, v45
	v_lshl_add_u32 v36, v44, 10, 0x2000
	s_delay_alu instid0(VALU_DEP_1) | instskip(NEXT) | instid1(VALU_DEP_1)
	v_and_or_b32 v7, 0x8000, v7, v36
	v_lshl_or_b32 v7, v35, 7, v7
	s_delay_alu instid0(VALU_DEP_1)
	v_cvt_f32_f16_e32 v44, v7
.LBB352_481:                            ;   in Loop: Header=BB352_16 Depth=1
	s_or_b32 exec_lo, exec_lo, s23
.LBB352_482:                            ;   in Loop: Header=BB352_16 Depth=1
	s_delay_alu instid0(SALU_CYCLE_1)
	s_or_b32 exec_lo, exec_lo, s22
.LBB352_483:                            ;   in Loop: Header=BB352_16 Depth=1
	s_delay_alu instid0(SALU_CYCLE_1) | instskip(SKIP_3) | instid1(VALU_DEP_2)
	s_or_b32 exec_lo, exec_lo, s21
	v_lshrrev_b32_e32 v47, 16, v33
	v_mov_b32_e32 v45, 0
	s_mov_b32 s21, exec_lo
	v_dual_mov_b32 v46, 0 :: v_dual_and_b32 v7, 0xff, v47
	s_delay_alu instid0(VALU_DEP_1)
	v_cmpx_ne_u16_e32 0, v7
	s_cbranch_execz .LBB352_491
; %bb.484:                              ;   in Loop: Header=BB352_16 Depth=1
	v_bfrev_b32_e32 v45, 1
	s_mov_b32 s22, exec_lo
	v_cmpx_ne_u16_e32 0x80, v7
	s_cbranch_execz .LBB352_490
; %bb.485:                              ;   in Loop: Header=BB352_16 Depth=1
	v_bfe_u32 v35, v33, 16, 7
	v_mov_b32_e32 v45, 0x7fc02000
	s_mov_b32 s23, exec_lo
	s_delay_alu instid0(VALU_DEP_2)
	v_cmpx_ne_u32_e32 0x7f, v35
	s_cbranch_execz .LBB352_489
; %bb.486:                              ;   in Loop: Header=BB352_16 Depth=1
	v_and_b32_e32 v7, 7, v47
	v_lshrrev_b32_e32 v45, 3, v35
	v_cmp_gt_u32_e64 s1, 8, v35
	s_delay_alu instid0(VALU_DEP_3) | instskip(NEXT) | instid1(VALU_DEP_2)
	v_dual_mov_b32 v36, v8 :: v_dual_mov_b32 v35, v7
	s_and_saveexec_b32 s24, s1
; %bb.487:                              ;   in Loop: Header=BB352_16 Depth=1
	v_clz_i32_u32_e32 v35, v7
	s_delay_alu instid0(VALU_DEP_1) | instskip(NEXT) | instid1(VALU_DEP_1)
	v_min_u32_e32 v45, 32, v35
	v_subrev_nc_u32_e32 v35, 28, v45
	v_sub_nc_u32_e32 v45, 29, v45
	s_delay_alu instid0(VALU_DEP_2) | instskip(NEXT) | instid1(VALU_DEP_1)
	v_lshlrev_b64 v[35:36], v35, v[7:8]
	v_and_b32_e32 v35, 7, v35
; %bb.488:                              ;   in Loop: Header=BB352_16 Depth=1
	s_or_b32 exec_lo, exec_lo, s24
	v_lshlrev_b32_e32 v7, 8, v47
	v_lshl_add_u32 v36, v45, 10, 0x2000
	s_delay_alu instid0(VALU_DEP_1) | instskip(NEXT) | instid1(VALU_DEP_1)
	v_and_or_b32 v7, 0x8000, v7, v36
	v_lshl_or_b32 v7, v35, 7, v7
	s_delay_alu instid0(VALU_DEP_1)
	v_cvt_f32_f16_e32 v45, v7
.LBB352_489:                            ;   in Loop: Header=BB352_16 Depth=1
	s_or_b32 exec_lo, exec_lo, s23
.LBB352_490:                            ;   in Loop: Header=BB352_16 Depth=1
	s_delay_alu instid0(SALU_CYCLE_1)
	s_or_b32 exec_lo, exec_lo, s22
.LBB352_491:                            ;   in Loop: Header=BB352_16 Depth=1
	s_delay_alu instid0(SALU_CYCLE_1) | instskip(NEXT) | instid1(SALU_CYCLE_1)
	s_or_b32 exec_lo, exec_lo, s21
	s_mov_b32 s21, exec_lo
	v_cmpx_lt_u32_e32 0xffffff, v33
	s_cbranch_execz .LBB352_499
; %bb.492:                              ;   in Loop: Header=BB352_16 Depth=1
	v_lshrrev_b32_e32 v47, 24, v33
	v_bfrev_b32_e32 v46, 1
	s_mov_b32 s22, exec_lo
	s_delay_alu instid0(VALU_DEP_2)
	v_cmpx_ne_u32_e32 0x80, v47
	s_cbranch_execz .LBB352_498
; %bb.493:                              ;   in Loop: Header=BB352_16 Depth=1
	v_and_b32_e32 v35, 0x7f, v47
	v_mov_b32_e32 v46, 0x7fc02000
	s_mov_b32 s23, exec_lo
	s_delay_alu instid0(VALU_DEP_2)
	v_cmpx_ne_u32_e32 0x7f, v35
	s_cbranch_execz .LBB352_497
; %bb.494:                              ;   in Loop: Header=BB352_16 Depth=1
	v_and_b32_e32 v7, 7, v47
	v_lshrrev_b32_e32 v46, 3, v35
	v_cmp_gt_u32_e64 s1, 8, v35
	s_delay_alu instid0(VALU_DEP_3) | instskip(NEXT) | instid1(VALU_DEP_2)
	v_dual_mov_b32 v36, v8 :: v_dual_mov_b32 v35, v7
	s_and_saveexec_b32 s24, s1
; %bb.495:                              ;   in Loop: Header=BB352_16 Depth=1
	v_clz_i32_u32_e32 v35, v7
	s_delay_alu instid0(VALU_DEP_1) | instskip(NEXT) | instid1(VALU_DEP_1)
	v_min_u32_e32 v46, 32, v35
	v_subrev_nc_u32_e32 v35, 28, v46
	v_sub_nc_u32_e32 v46, 29, v46
	s_delay_alu instid0(VALU_DEP_2) | instskip(NEXT) | instid1(VALU_DEP_1)
	v_lshlrev_b64 v[35:36], v35, v[7:8]
	v_and_b32_e32 v35, 7, v35
; %bb.496:                              ;   in Loop: Header=BB352_16 Depth=1
	s_or_b32 exec_lo, exec_lo, s24
	v_lshlrev_b32_e32 v7, 8, v47
	v_lshl_add_u32 v36, v46, 10, 0x2000
	s_delay_alu instid0(VALU_DEP_1) | instskip(NEXT) | instid1(VALU_DEP_1)
	v_and_or_b32 v7, 0x8000, v7, v36
	v_lshl_or_b32 v7, v35, 7, v7
	s_delay_alu instid0(VALU_DEP_1)
	v_cvt_f32_f16_e32 v46, v7
.LBB352_497:                            ;   in Loop: Header=BB352_16 Depth=1
	s_or_b32 exec_lo, exec_lo, s23
.LBB352_498:                            ;   in Loop: Header=BB352_16 Depth=1
	s_delay_alu instid0(SALU_CYCLE_1)
	s_or_b32 exec_lo, exec_lo, s22
.LBB352_499:                            ;   in Loop: Header=BB352_16 Depth=1
	s_delay_alu instid0(SALU_CYCLE_1) | instskip(SKIP_4) | instid1(VALU_DEP_3)
	s_or_b32 exec_lo, exec_lo, s21
	v_dual_mov_b32 v56, 0 :: v_dual_and_b32 v35, 0xff, v34
	v_mov_b32_e32 v7, v34
	v_mov_b32_e32 v47, 0
	s_mov_b32 s21, exec_lo
	v_cmpx_ne_u16_e32 0, v35
	s_cbranch_execz .LBB352_507
; %bb.500:                              ;   in Loop: Header=BB352_16 Depth=1
	v_bfrev_b32_e32 v47, 1
	s_mov_b32 s22, exec_lo
	v_cmpx_ne_u16_e32 0x80, v35
	s_cbranch_execz .LBB352_506
; %bb.501:                              ;   in Loop: Header=BB352_16 Depth=1
	v_and_b32_e32 v35, 0x7f, v34
	v_mov_b32_e32 v47, 0x7fc02000
	s_mov_b32 s23, exec_lo
	s_delay_alu instid0(VALU_DEP_2)
	v_cmpx_ne_u32_e32 0x7f, v35
	s_cbranch_execz .LBB352_505
; %bb.502:                              ;   in Loop: Header=BB352_16 Depth=1
	v_lshrrev_b32_e32 v47, 3, v35
	v_cmp_gt_u32_e64 s1, 8, v35
	v_dual_mov_b32 v36, v8 :: v_dual_mov_b32 v35, v7
	s_delay_alu instid0(VALU_DEP_2)
	s_and_saveexec_b32 s24, s1
; %bb.503:                              ;   in Loop: Header=BB352_16 Depth=1
	v_and_b32_e32 v35, 7, v34
	s_delay_alu instid0(VALU_DEP_1) | instskip(NEXT) | instid1(VALU_DEP_1)
	v_clz_i32_u32_e32 v35, v35
	v_min_u32_e32 v47, 32, v35
	s_delay_alu instid0(VALU_DEP_1) | instskip(SKIP_1) | instid1(VALU_DEP_2)
	v_subrev_nc_u32_e32 v35, 28, v47
	v_sub_nc_u32_e32 v47, 29, v47
	v_lshlrev_b64 v[35:36], v35, v[7:8]
; %bb.504:                              ;   in Loop: Header=BB352_16 Depth=1
	s_or_b32 exec_lo, exec_lo, s24
	v_lshlrev_b32_e32 v36, 8, v34
	s_delay_alu instid0(VALU_DEP_3) | instskip(NEXT) | instid1(VALU_DEP_3)
	v_lshl_add_u32 v47, v47, 10, 0x2000
	v_lshlrev_b32_e32 v35, 7, v35
	s_delay_alu instid0(VALU_DEP_2) | instskip(NEXT) | instid1(VALU_DEP_1)
	v_and_or_b32 v36, 0x8000, v36, v47
	v_and_or_b32 v35, 0x380, v35, v36
	s_delay_alu instid0(VALU_DEP_1)
	v_cvt_f32_f16_e32 v47, v35
.LBB352_505:                            ;   in Loop: Header=BB352_16 Depth=1
	s_or_b32 exec_lo, exec_lo, s23
.LBB352_506:                            ;   in Loop: Header=BB352_16 Depth=1
	s_delay_alu instid0(SALU_CYCLE_1)
	s_or_b32 exec_lo, exec_lo, s22
.LBB352_507:                            ;   in Loop: Header=BB352_16 Depth=1
	s_delay_alu instid0(SALU_CYCLE_1) | instskip(SKIP_2) | instid1(VALU_DEP_1)
	s_or_b32 exec_lo, exec_lo, s21
	v_lshrrev_b16 v7, 8, v7
	s_mov_b32 s21, exec_lo
	v_cmpx_ne_u16_e32 0, v7
	s_cbranch_execz .LBB352_515
; %bb.508:                              ;   in Loop: Header=BB352_16 Depth=1
	v_bfrev_b32_e32 v56, 1
	s_mov_b32 s22, exec_lo
	v_cmpx_ne_u16_e32 0x80, v7
	s_cbranch_execz .LBB352_514
; %bb.509:                              ;   in Loop: Header=BB352_16 Depth=1
	v_and_b32_e32 v57, 0xffff, v7
	v_mov_b32_e32 v56, 0x7fc02000
	s_mov_b32 s23, exec_lo
	s_delay_alu instid0(VALU_DEP_2) | instskip(NEXT) | instid1(VALU_DEP_1)
	v_and_b32_e32 v35, 0x7f, v57
	v_cmpx_ne_u32_e32 0x7f, v35
	s_cbranch_execz .LBB352_513
; %bb.510:                              ;   in Loop: Header=BB352_16 Depth=1
	v_and_b32_e32 v7, 7, v57
	v_lshrrev_b32_e32 v56, 3, v35
	v_cmp_gt_u32_e64 s1, 8, v35
	s_delay_alu instid0(VALU_DEP_3) | instskip(NEXT) | instid1(VALU_DEP_2)
	v_dual_mov_b32 v36, v8 :: v_dual_mov_b32 v35, v7
	s_and_saveexec_b32 s24, s1
; %bb.511:                              ;   in Loop: Header=BB352_16 Depth=1
	v_clz_i32_u32_e32 v35, v7
	s_delay_alu instid0(VALU_DEP_1) | instskip(NEXT) | instid1(VALU_DEP_1)
	v_min_u32_e32 v56, 32, v35
	v_subrev_nc_u32_e32 v35, 28, v56
	v_sub_nc_u32_e32 v56, 29, v56
	s_delay_alu instid0(VALU_DEP_2) | instskip(NEXT) | instid1(VALU_DEP_1)
	v_lshlrev_b64 v[35:36], v35, v[7:8]
	v_and_b32_e32 v35, 7, v35
; %bb.512:                              ;   in Loop: Header=BB352_16 Depth=1
	s_or_b32 exec_lo, exec_lo, s24
	v_lshlrev_b32_e32 v7, 8, v57
	v_lshl_add_u32 v36, v56, 10, 0x2000
	s_delay_alu instid0(VALU_DEP_1) | instskip(NEXT) | instid1(VALU_DEP_1)
	v_and_or_b32 v7, 0x8000, v7, v36
	v_lshl_or_b32 v7, v35, 7, v7
	s_delay_alu instid0(VALU_DEP_1)
	v_cvt_f32_f16_e32 v56, v7
.LBB352_513:                            ;   in Loop: Header=BB352_16 Depth=1
	s_or_b32 exec_lo, exec_lo, s23
.LBB352_514:                            ;   in Loop: Header=BB352_16 Depth=1
	s_delay_alu instid0(SALU_CYCLE_1)
	s_or_b32 exec_lo, exec_lo, s22
.LBB352_515:                            ;   in Loop: Header=BB352_16 Depth=1
	s_delay_alu instid0(SALU_CYCLE_1) | instskip(SKIP_3) | instid1(VALU_DEP_2)
	s_or_b32 exec_lo, exec_lo, s21
	v_lshrrev_b32_e32 v59, 16, v34
	v_mov_b32_e32 v57, 0
	s_mov_b32 s21, exec_lo
	v_dual_mov_b32 v58, 0 :: v_dual_and_b32 v7, 0xff, v59
	s_delay_alu instid0(VALU_DEP_1)
	v_cmpx_ne_u16_e32 0, v7
	s_cbranch_execz .LBB352_523
; %bb.516:                              ;   in Loop: Header=BB352_16 Depth=1
	v_bfrev_b32_e32 v58, 1
	s_mov_b32 s22, exec_lo
	v_cmpx_ne_u16_e32 0x80, v7
	s_cbranch_execz .LBB352_522
; %bb.517:                              ;   in Loop: Header=BB352_16 Depth=1
	v_bfe_u32 v35, v34, 16, 7
	v_mov_b32_e32 v58, 0x7fc02000
	s_mov_b32 s23, exec_lo
	s_delay_alu instid0(VALU_DEP_2)
	v_cmpx_ne_u32_e32 0x7f, v35
	s_cbranch_execz .LBB352_521
; %bb.518:                              ;   in Loop: Header=BB352_16 Depth=1
	v_and_b32_e32 v7, 7, v59
	v_lshrrev_b32_e32 v58, 3, v35
	v_cmp_gt_u32_e64 s1, 8, v35
	s_delay_alu instid0(VALU_DEP_3) | instskip(NEXT) | instid1(VALU_DEP_2)
	v_dual_mov_b32 v36, v8 :: v_dual_mov_b32 v35, v7
	s_and_saveexec_b32 s24, s1
; %bb.519:                              ;   in Loop: Header=BB352_16 Depth=1
	v_clz_i32_u32_e32 v35, v7
	s_delay_alu instid0(VALU_DEP_1) | instskip(NEXT) | instid1(VALU_DEP_1)
	v_min_u32_e32 v58, 32, v35
	v_subrev_nc_u32_e32 v35, 28, v58
	v_sub_nc_u32_e32 v58, 29, v58
	s_delay_alu instid0(VALU_DEP_2) | instskip(NEXT) | instid1(VALU_DEP_1)
	v_lshlrev_b64 v[35:36], v35, v[7:8]
	v_and_b32_e32 v35, 7, v35
; %bb.520:                              ;   in Loop: Header=BB352_16 Depth=1
	s_or_b32 exec_lo, exec_lo, s24
	v_lshlrev_b32_e32 v7, 8, v59
	v_lshl_add_u32 v36, v58, 10, 0x2000
	s_delay_alu instid0(VALU_DEP_1) | instskip(NEXT) | instid1(VALU_DEP_1)
	v_and_or_b32 v7, 0x8000, v7, v36
	v_lshl_or_b32 v7, v35, 7, v7
	s_delay_alu instid0(VALU_DEP_1)
	v_cvt_f32_f16_e32 v58, v7
.LBB352_521:                            ;   in Loop: Header=BB352_16 Depth=1
	s_or_b32 exec_lo, exec_lo, s23
.LBB352_522:                            ;   in Loop: Header=BB352_16 Depth=1
	s_delay_alu instid0(SALU_CYCLE_1)
	s_or_b32 exec_lo, exec_lo, s22
.LBB352_523:                            ;   in Loop: Header=BB352_16 Depth=1
	s_delay_alu instid0(SALU_CYCLE_1) | instskip(NEXT) | instid1(SALU_CYCLE_1)
	s_or_b32 exec_lo, exec_lo, s21
	s_mov_b32 s21, exec_lo
	v_cmpx_lt_u64_e64 s[8:9], v[33:34]
	s_cbranch_execz .LBB352_531
; %bb.524:                              ;   in Loop: Header=BB352_16 Depth=1
	v_lshrrev_b32_e32 v35, 24, v34
	v_bfrev_b32_e32 v57, 1
	s_mov_b32 s22, exec_lo
	s_delay_alu instid0(VALU_DEP_2)
	v_cmpx_ne_u32_e32 0x80, v35
	s_cbranch_execz .LBB352_530
; %bb.525:                              ;   in Loop: Header=BB352_16 Depth=1
	v_and_b32_e32 v33, 0x7f, v35
	v_mov_b32_e32 v57, 0x7fc02000
	s_mov_b32 s23, exec_lo
	s_delay_alu instid0(VALU_DEP_2)
	v_cmpx_ne_u32_e32 0x7f, v33
	s_cbranch_execz .LBB352_529
; %bb.526:                              ;   in Loop: Header=BB352_16 Depth=1
	v_and_b32_e32 v7, 7, v35
	v_lshrrev_b32_e32 v36, 3, v33
	v_cmp_gt_u32_e64 s1, 8, v33
	s_delay_alu instid0(VALU_DEP_3) | instskip(NEXT) | instid1(VALU_DEP_2)
	v_dual_mov_b32 v34, v8 :: v_dual_mov_b32 v33, v7
	s_and_saveexec_b32 s24, s1
; %bb.527:                              ;   in Loop: Header=BB352_16 Depth=1
	v_clz_i32_u32_e32 v33, v7
	s_delay_alu instid0(VALU_DEP_1) | instskip(NEXT) | instid1(VALU_DEP_1)
	v_min_u32_e32 v36, 32, v33
	v_subrev_nc_u32_e32 v33, 28, v36
	v_sub_nc_u32_e32 v36, 29, v36
	s_delay_alu instid0(VALU_DEP_2) | instskip(NEXT) | instid1(VALU_DEP_1)
	v_lshlrev_b64 v[33:34], v33, v[7:8]
	v_and_b32_e32 v33, 7, v33
; %bb.528:                              ;   in Loop: Header=BB352_16 Depth=1
	s_or_b32 exec_lo, exec_lo, s24
	v_lshlrev_b32_e32 v7, 8, v35
	v_lshl_add_u32 v34, v36, 10, 0x2000
	s_delay_alu instid0(VALU_DEP_1) | instskip(NEXT) | instid1(VALU_DEP_1)
	v_and_or_b32 v7, 0x8000, v7, v34
	v_lshl_or_b32 v7, v33, 7, v7
	s_delay_alu instid0(VALU_DEP_1)
	v_cvt_f32_f16_e32 v57, v7
.LBB352_529:                            ;   in Loop: Header=BB352_16 Depth=1
	s_or_b32 exec_lo, exec_lo, s23
.LBB352_530:                            ;   in Loop: Header=BB352_16 Depth=1
	s_delay_alu instid0(SALU_CYCLE_1)
	s_or_b32 exec_lo, exec_lo, s22
.LBB352_531:                            ;   in Loop: Header=BB352_16 Depth=1
	s_delay_alu instid0(SALU_CYCLE_1)
	s_or_b32 exec_lo, exec_lo, s21
	flat_load_b64 v[33:34], v[31:32] offset:2048
	v_mov_b32_e32 v59, 0
	s_mov_b32 s21, exec_lo
	s_waitcnt vmcnt(0) lgkmcnt(0)
	v_dual_mov_b32 v60, 0 :: v_dual_and_b32 v7, 0xff, v33
	s_delay_alu instid0(VALU_DEP_1)
	v_cmpx_ne_u16_e32 0, v7
	s_cbranch_execz .LBB352_539
; %bb.532:                              ;   in Loop: Header=BB352_16 Depth=1
	v_bfrev_b32_e32 v59, 1
	s_mov_b32 s22, exec_lo
	v_cmpx_ne_u16_e32 0x80, v7
	s_cbranch_execz .LBB352_538
; %bb.533:                              ;   in Loop: Header=BB352_16 Depth=1
	v_and_b32_e32 v35, 0x7f, v33
	v_mov_b32_e32 v59, 0x7fc02000
	s_mov_b32 s23, exec_lo
	s_delay_alu instid0(VALU_DEP_2)
	v_cmpx_ne_u32_e32 0x7f, v35
	s_cbranch_execz .LBB352_537
; %bb.534:                              ;   in Loop: Header=BB352_16 Depth=1
	v_lshrrev_b32_e32 v7, 3, v35
	v_cmp_gt_u32_e64 s1, 8, v35
	v_dual_mov_b32 v36, v34 :: v_dual_mov_b32 v35, v33
	s_delay_alu instid0(VALU_DEP_2)
	s_and_saveexec_b32 s24, s1
; %bb.535:                              ;   in Loop: Header=BB352_16 Depth=1
	v_and_b32_e32 v7, 7, v33
	s_delay_alu instid0(VALU_DEP_1) | instskip(NEXT) | instid1(VALU_DEP_1)
	v_clz_i32_u32_e32 v7, v7
	v_min_u32_e32 v7, 32, v7
	s_delay_alu instid0(VALU_DEP_1) | instskip(SKIP_1) | instid1(VALU_DEP_2)
	v_subrev_nc_u32_e32 v35, 28, v7
	v_sub_nc_u32_e32 v7, 29, v7
	v_lshlrev_b64 v[35:36], v35, v[33:34]
; %bb.536:                              ;   in Loop: Header=BB352_16 Depth=1
	s_or_b32 exec_lo, exec_lo, s24
	v_lshlrev_b32_e32 v36, 8, v33
	s_delay_alu instid0(VALU_DEP_3) | instskip(NEXT) | instid1(VALU_DEP_3)
	v_lshl_add_u32 v7, v7, 10, 0x2000
	v_lshlrev_b32_e32 v35, 7, v35
	s_delay_alu instid0(VALU_DEP_2) | instskip(NEXT) | instid1(VALU_DEP_1)
	v_and_or_b32 v7, 0x8000, v36, v7
	v_and_or_b32 v7, 0x380, v35, v7
	s_delay_alu instid0(VALU_DEP_1)
	v_cvt_f32_f16_e32 v59, v7
.LBB352_537:                            ;   in Loop: Header=BB352_16 Depth=1
	s_or_b32 exec_lo, exec_lo, s23
.LBB352_538:                            ;   in Loop: Header=BB352_16 Depth=1
	s_delay_alu instid0(SALU_CYCLE_1)
	s_or_b32 exec_lo, exec_lo, s22
.LBB352_539:                            ;   in Loop: Header=BB352_16 Depth=1
	s_delay_alu instid0(SALU_CYCLE_1) | instskip(SKIP_2) | instid1(VALU_DEP_1)
	s_or_b32 exec_lo, exec_lo, s21
	v_lshrrev_b16 v7, 8, v33
	s_mov_b32 s21, exec_lo
	v_cmpx_ne_u16_e32 0, v7
	s_cbranch_execz .LBB352_547
; %bb.540:                              ;   in Loop: Header=BB352_16 Depth=1
	v_bfrev_b32_e32 v60, 1
	s_mov_b32 s22, exec_lo
	v_cmpx_ne_u16_e32 0x80, v7
	s_cbranch_execz .LBB352_546
; %bb.541:                              ;   in Loop: Header=BB352_16 Depth=1
	v_and_b32_e32 v61, 0xffff, v7
	v_mov_b32_e32 v60, 0x7fc02000
	s_mov_b32 s23, exec_lo
	s_delay_alu instid0(VALU_DEP_2) | instskip(NEXT) | instid1(VALU_DEP_1)
	v_and_b32_e32 v35, 0x7f, v61
	v_cmpx_ne_u32_e32 0x7f, v35
	s_cbranch_execz .LBB352_545
; %bb.542:                              ;   in Loop: Header=BB352_16 Depth=1
	v_and_b32_e32 v7, 7, v61
	v_lshrrev_b32_e32 v60, 3, v35
	v_cmp_gt_u32_e64 s1, 8, v35
	s_delay_alu instid0(VALU_DEP_3) | instskip(NEXT) | instid1(VALU_DEP_2)
	v_dual_mov_b32 v36, v8 :: v_dual_mov_b32 v35, v7
	s_and_saveexec_b32 s24, s1
; %bb.543:                              ;   in Loop: Header=BB352_16 Depth=1
	v_clz_i32_u32_e32 v35, v7
	s_delay_alu instid0(VALU_DEP_1) | instskip(NEXT) | instid1(VALU_DEP_1)
	v_min_u32_e32 v60, 32, v35
	v_subrev_nc_u32_e32 v35, 28, v60
	v_sub_nc_u32_e32 v60, 29, v60
	s_delay_alu instid0(VALU_DEP_2) | instskip(NEXT) | instid1(VALU_DEP_1)
	v_lshlrev_b64 v[35:36], v35, v[7:8]
	v_and_b32_e32 v35, 7, v35
; %bb.544:                              ;   in Loop: Header=BB352_16 Depth=1
	s_or_b32 exec_lo, exec_lo, s24
	v_lshlrev_b32_e32 v7, 8, v61
	v_lshl_add_u32 v36, v60, 10, 0x2000
	s_delay_alu instid0(VALU_DEP_1) | instskip(NEXT) | instid1(VALU_DEP_1)
	v_and_or_b32 v7, 0x8000, v7, v36
	v_lshl_or_b32 v7, v35, 7, v7
	s_delay_alu instid0(VALU_DEP_1)
	v_cvt_f32_f16_e32 v60, v7
.LBB352_545:                            ;   in Loop: Header=BB352_16 Depth=1
	s_or_b32 exec_lo, exec_lo, s23
.LBB352_546:                            ;   in Loop: Header=BB352_16 Depth=1
	s_delay_alu instid0(SALU_CYCLE_1)
	s_or_b32 exec_lo, exec_lo, s22
.LBB352_547:                            ;   in Loop: Header=BB352_16 Depth=1
	s_delay_alu instid0(SALU_CYCLE_1) | instskip(SKIP_3) | instid1(VALU_DEP_2)
	s_or_b32 exec_lo, exec_lo, s21
	v_lshrrev_b32_e32 v63, 16, v33
	v_mov_b32_e32 v61, 0
	s_mov_b32 s21, exec_lo
	v_dual_mov_b32 v62, 0 :: v_dual_and_b32 v7, 0xff, v63
	s_delay_alu instid0(VALU_DEP_1)
	v_cmpx_ne_u16_e32 0, v7
	s_cbranch_execz .LBB352_555
; %bb.548:                              ;   in Loop: Header=BB352_16 Depth=1
	v_bfrev_b32_e32 v61, 1
	s_mov_b32 s22, exec_lo
	v_cmpx_ne_u16_e32 0x80, v7
	s_cbranch_execz .LBB352_554
; %bb.549:                              ;   in Loop: Header=BB352_16 Depth=1
	v_bfe_u32 v35, v33, 16, 7
	v_mov_b32_e32 v61, 0x7fc02000
	s_mov_b32 s23, exec_lo
	s_delay_alu instid0(VALU_DEP_2)
	v_cmpx_ne_u32_e32 0x7f, v35
	s_cbranch_execz .LBB352_553
; %bb.550:                              ;   in Loop: Header=BB352_16 Depth=1
	v_and_b32_e32 v7, 7, v63
	v_lshrrev_b32_e32 v61, 3, v35
	v_cmp_gt_u32_e64 s1, 8, v35
	s_delay_alu instid0(VALU_DEP_3) | instskip(NEXT) | instid1(VALU_DEP_2)
	v_dual_mov_b32 v36, v8 :: v_dual_mov_b32 v35, v7
	s_and_saveexec_b32 s24, s1
; %bb.551:                              ;   in Loop: Header=BB352_16 Depth=1
	v_clz_i32_u32_e32 v35, v7
	s_delay_alu instid0(VALU_DEP_1) | instskip(NEXT) | instid1(VALU_DEP_1)
	v_min_u32_e32 v61, 32, v35
	v_subrev_nc_u32_e32 v35, 28, v61
	v_sub_nc_u32_e32 v61, 29, v61
	s_delay_alu instid0(VALU_DEP_2) | instskip(NEXT) | instid1(VALU_DEP_1)
	v_lshlrev_b64 v[35:36], v35, v[7:8]
	v_and_b32_e32 v35, 7, v35
; %bb.552:                              ;   in Loop: Header=BB352_16 Depth=1
	s_or_b32 exec_lo, exec_lo, s24
	v_lshlrev_b32_e32 v7, 8, v63
	v_lshl_add_u32 v36, v61, 10, 0x2000
	s_delay_alu instid0(VALU_DEP_1) | instskip(NEXT) | instid1(VALU_DEP_1)
	v_and_or_b32 v7, 0x8000, v7, v36
	v_lshl_or_b32 v7, v35, 7, v7
	s_delay_alu instid0(VALU_DEP_1)
	v_cvt_f32_f16_e32 v61, v7
.LBB352_553:                            ;   in Loop: Header=BB352_16 Depth=1
	s_or_b32 exec_lo, exec_lo, s23
.LBB352_554:                            ;   in Loop: Header=BB352_16 Depth=1
	s_delay_alu instid0(SALU_CYCLE_1)
	s_or_b32 exec_lo, exec_lo, s22
.LBB352_555:                            ;   in Loop: Header=BB352_16 Depth=1
	s_delay_alu instid0(SALU_CYCLE_1) | instskip(NEXT) | instid1(SALU_CYCLE_1)
	s_or_b32 exec_lo, exec_lo, s21
	s_mov_b32 s21, exec_lo
	v_cmpx_lt_u32_e32 0xffffff, v33
	s_cbranch_execz .LBB352_563
; %bb.556:                              ;   in Loop: Header=BB352_16 Depth=1
	v_lshrrev_b32_e32 v63, 24, v33
	v_bfrev_b32_e32 v62, 1
	s_mov_b32 s22, exec_lo
	s_delay_alu instid0(VALU_DEP_2)
	v_cmpx_ne_u32_e32 0x80, v63
	s_cbranch_execz .LBB352_562
; %bb.557:                              ;   in Loop: Header=BB352_16 Depth=1
	v_and_b32_e32 v35, 0x7f, v63
	v_mov_b32_e32 v62, 0x7fc02000
	s_mov_b32 s23, exec_lo
	s_delay_alu instid0(VALU_DEP_2)
	v_cmpx_ne_u32_e32 0x7f, v35
	s_cbranch_execz .LBB352_561
; %bb.558:                              ;   in Loop: Header=BB352_16 Depth=1
	v_and_b32_e32 v7, 7, v63
	v_lshrrev_b32_e32 v62, 3, v35
	v_cmp_gt_u32_e64 s1, 8, v35
	s_delay_alu instid0(VALU_DEP_3) | instskip(NEXT) | instid1(VALU_DEP_2)
	v_dual_mov_b32 v36, v8 :: v_dual_mov_b32 v35, v7
	s_and_saveexec_b32 s24, s1
; %bb.559:                              ;   in Loop: Header=BB352_16 Depth=1
	v_clz_i32_u32_e32 v35, v7
	s_delay_alu instid0(VALU_DEP_1) | instskip(NEXT) | instid1(VALU_DEP_1)
	v_min_u32_e32 v62, 32, v35
	v_subrev_nc_u32_e32 v35, 28, v62
	v_sub_nc_u32_e32 v62, 29, v62
	s_delay_alu instid0(VALU_DEP_2) | instskip(NEXT) | instid1(VALU_DEP_1)
	v_lshlrev_b64 v[35:36], v35, v[7:8]
	v_and_b32_e32 v35, 7, v35
; %bb.560:                              ;   in Loop: Header=BB352_16 Depth=1
	s_or_b32 exec_lo, exec_lo, s24
	v_lshlrev_b32_e32 v7, 8, v63
	v_lshl_add_u32 v36, v62, 10, 0x2000
	s_delay_alu instid0(VALU_DEP_1) | instskip(NEXT) | instid1(VALU_DEP_1)
	v_and_or_b32 v7, 0x8000, v7, v36
	v_lshl_or_b32 v7, v35, 7, v7
	s_delay_alu instid0(VALU_DEP_1)
	v_cvt_f32_f16_e32 v62, v7
.LBB352_561:                            ;   in Loop: Header=BB352_16 Depth=1
	s_or_b32 exec_lo, exec_lo, s23
.LBB352_562:                            ;   in Loop: Header=BB352_16 Depth=1
	s_delay_alu instid0(SALU_CYCLE_1)
	s_or_b32 exec_lo, exec_lo, s22
.LBB352_563:                            ;   in Loop: Header=BB352_16 Depth=1
	s_delay_alu instid0(SALU_CYCLE_1) | instskip(SKIP_4) | instid1(VALU_DEP_3)
	s_or_b32 exec_lo, exec_lo, s21
	v_dual_mov_b32 v72, 0 :: v_dual_and_b32 v35, 0xff, v34
	v_mov_b32_e32 v7, v34
	v_mov_b32_e32 v63, 0
	s_mov_b32 s21, exec_lo
	v_cmpx_ne_u16_e32 0, v35
	s_cbranch_execz .LBB352_571
; %bb.564:                              ;   in Loop: Header=BB352_16 Depth=1
	v_bfrev_b32_e32 v63, 1
	s_mov_b32 s22, exec_lo
	v_cmpx_ne_u16_e32 0x80, v35
	s_cbranch_execz .LBB352_570
; %bb.565:                              ;   in Loop: Header=BB352_16 Depth=1
	v_and_b32_e32 v35, 0x7f, v34
	v_mov_b32_e32 v63, 0x7fc02000
	s_mov_b32 s23, exec_lo
	s_delay_alu instid0(VALU_DEP_2)
	v_cmpx_ne_u32_e32 0x7f, v35
	s_cbranch_execz .LBB352_569
; %bb.566:                              ;   in Loop: Header=BB352_16 Depth=1
	v_lshrrev_b32_e32 v63, 3, v35
	v_cmp_gt_u32_e64 s1, 8, v35
	v_dual_mov_b32 v36, v8 :: v_dual_mov_b32 v35, v7
	s_delay_alu instid0(VALU_DEP_2)
	s_and_saveexec_b32 s24, s1
; %bb.567:                              ;   in Loop: Header=BB352_16 Depth=1
	v_and_b32_e32 v35, 7, v34
	s_delay_alu instid0(VALU_DEP_1) | instskip(NEXT) | instid1(VALU_DEP_1)
	v_clz_i32_u32_e32 v35, v35
	v_min_u32_e32 v63, 32, v35
	s_delay_alu instid0(VALU_DEP_1) | instskip(SKIP_1) | instid1(VALU_DEP_2)
	v_subrev_nc_u32_e32 v35, 28, v63
	v_sub_nc_u32_e32 v63, 29, v63
	v_lshlrev_b64 v[35:36], v35, v[7:8]
; %bb.568:                              ;   in Loop: Header=BB352_16 Depth=1
	s_or_b32 exec_lo, exec_lo, s24
	v_lshlrev_b32_e32 v36, 8, v34
	s_delay_alu instid0(VALU_DEP_3) | instskip(NEXT) | instid1(VALU_DEP_3)
	v_lshl_add_u32 v63, v63, 10, 0x2000
	v_lshlrev_b32_e32 v35, 7, v35
	s_delay_alu instid0(VALU_DEP_2) | instskip(NEXT) | instid1(VALU_DEP_1)
	v_and_or_b32 v36, 0x8000, v36, v63
	v_and_or_b32 v35, 0x380, v35, v36
	s_delay_alu instid0(VALU_DEP_1)
	v_cvt_f32_f16_e32 v63, v35
.LBB352_569:                            ;   in Loop: Header=BB352_16 Depth=1
	s_or_b32 exec_lo, exec_lo, s23
.LBB352_570:                            ;   in Loop: Header=BB352_16 Depth=1
	s_delay_alu instid0(SALU_CYCLE_1)
	s_or_b32 exec_lo, exec_lo, s22
.LBB352_571:                            ;   in Loop: Header=BB352_16 Depth=1
	s_delay_alu instid0(SALU_CYCLE_1) | instskip(SKIP_2) | instid1(VALU_DEP_1)
	s_or_b32 exec_lo, exec_lo, s21
	v_lshrrev_b16 v7, 8, v7
	s_mov_b32 s21, exec_lo
	v_cmpx_ne_u16_e32 0, v7
	s_cbranch_execz .LBB352_579
; %bb.572:                              ;   in Loop: Header=BB352_16 Depth=1
	v_bfrev_b32_e32 v72, 1
	s_mov_b32 s22, exec_lo
	v_cmpx_ne_u16_e32 0x80, v7
	s_cbranch_execz .LBB352_578
; %bb.573:                              ;   in Loop: Header=BB352_16 Depth=1
	v_and_b32_e32 v73, 0xffff, v7
	v_mov_b32_e32 v72, 0x7fc02000
	s_mov_b32 s23, exec_lo
	s_delay_alu instid0(VALU_DEP_2) | instskip(NEXT) | instid1(VALU_DEP_1)
	v_and_b32_e32 v35, 0x7f, v73
	v_cmpx_ne_u32_e32 0x7f, v35
	s_cbranch_execz .LBB352_577
; %bb.574:                              ;   in Loop: Header=BB352_16 Depth=1
	v_and_b32_e32 v7, 7, v73
	v_lshrrev_b32_e32 v72, 3, v35
	v_cmp_gt_u32_e64 s1, 8, v35
	s_delay_alu instid0(VALU_DEP_3) | instskip(NEXT) | instid1(VALU_DEP_2)
	v_dual_mov_b32 v36, v8 :: v_dual_mov_b32 v35, v7
	s_and_saveexec_b32 s24, s1
; %bb.575:                              ;   in Loop: Header=BB352_16 Depth=1
	v_clz_i32_u32_e32 v35, v7
	s_delay_alu instid0(VALU_DEP_1) | instskip(NEXT) | instid1(VALU_DEP_1)
	v_min_u32_e32 v72, 32, v35
	v_subrev_nc_u32_e32 v35, 28, v72
	v_sub_nc_u32_e32 v72, 29, v72
	s_delay_alu instid0(VALU_DEP_2) | instskip(NEXT) | instid1(VALU_DEP_1)
	v_lshlrev_b64 v[35:36], v35, v[7:8]
	v_and_b32_e32 v35, 7, v35
; %bb.576:                              ;   in Loop: Header=BB352_16 Depth=1
	s_or_b32 exec_lo, exec_lo, s24
	v_lshlrev_b32_e32 v7, 8, v73
	v_lshl_add_u32 v36, v72, 10, 0x2000
	s_delay_alu instid0(VALU_DEP_1) | instskip(NEXT) | instid1(VALU_DEP_1)
	v_and_or_b32 v7, 0x8000, v7, v36
	v_lshl_or_b32 v7, v35, 7, v7
	s_delay_alu instid0(VALU_DEP_1)
	v_cvt_f32_f16_e32 v72, v7
.LBB352_577:                            ;   in Loop: Header=BB352_16 Depth=1
	s_or_b32 exec_lo, exec_lo, s23
.LBB352_578:                            ;   in Loop: Header=BB352_16 Depth=1
	s_delay_alu instid0(SALU_CYCLE_1)
	s_or_b32 exec_lo, exec_lo, s22
.LBB352_579:                            ;   in Loop: Header=BB352_16 Depth=1
	s_delay_alu instid0(SALU_CYCLE_1) | instskip(SKIP_3) | instid1(VALU_DEP_2)
	s_or_b32 exec_lo, exec_lo, s21
	v_lshrrev_b32_e32 v75, 16, v34
	v_mov_b32_e32 v73, 0
	s_mov_b32 s21, exec_lo
	v_dual_mov_b32 v74, 0 :: v_dual_and_b32 v7, 0xff, v75
	s_delay_alu instid0(VALU_DEP_1)
	v_cmpx_ne_u16_e32 0, v7
	s_cbranch_execz .LBB352_587
; %bb.580:                              ;   in Loop: Header=BB352_16 Depth=1
	v_bfrev_b32_e32 v74, 1
	s_mov_b32 s22, exec_lo
	v_cmpx_ne_u16_e32 0x80, v7
	s_cbranch_execz .LBB352_586
; %bb.581:                              ;   in Loop: Header=BB352_16 Depth=1
	v_bfe_u32 v35, v34, 16, 7
	v_mov_b32_e32 v74, 0x7fc02000
	s_mov_b32 s23, exec_lo
	s_delay_alu instid0(VALU_DEP_2)
	v_cmpx_ne_u32_e32 0x7f, v35
	s_cbranch_execz .LBB352_585
; %bb.582:                              ;   in Loop: Header=BB352_16 Depth=1
	v_and_b32_e32 v7, 7, v75
	v_lshrrev_b32_e32 v74, 3, v35
	v_cmp_gt_u32_e64 s1, 8, v35
	s_delay_alu instid0(VALU_DEP_3) | instskip(NEXT) | instid1(VALU_DEP_2)
	v_dual_mov_b32 v36, v8 :: v_dual_mov_b32 v35, v7
	s_and_saveexec_b32 s24, s1
; %bb.583:                              ;   in Loop: Header=BB352_16 Depth=1
	v_clz_i32_u32_e32 v35, v7
	s_delay_alu instid0(VALU_DEP_1) | instskip(NEXT) | instid1(VALU_DEP_1)
	v_min_u32_e32 v74, 32, v35
	v_subrev_nc_u32_e32 v35, 28, v74
	v_sub_nc_u32_e32 v74, 29, v74
	s_delay_alu instid0(VALU_DEP_2) | instskip(NEXT) | instid1(VALU_DEP_1)
	v_lshlrev_b64 v[35:36], v35, v[7:8]
	v_and_b32_e32 v35, 7, v35
; %bb.584:                              ;   in Loop: Header=BB352_16 Depth=1
	s_or_b32 exec_lo, exec_lo, s24
	v_lshlrev_b32_e32 v7, 8, v75
	v_lshl_add_u32 v36, v74, 10, 0x2000
	s_delay_alu instid0(VALU_DEP_1) | instskip(NEXT) | instid1(VALU_DEP_1)
	v_and_or_b32 v7, 0x8000, v7, v36
	v_lshl_or_b32 v7, v35, 7, v7
	s_delay_alu instid0(VALU_DEP_1)
	v_cvt_f32_f16_e32 v74, v7
.LBB352_585:                            ;   in Loop: Header=BB352_16 Depth=1
	s_or_b32 exec_lo, exec_lo, s23
.LBB352_586:                            ;   in Loop: Header=BB352_16 Depth=1
	s_delay_alu instid0(SALU_CYCLE_1)
	s_or_b32 exec_lo, exec_lo, s22
.LBB352_587:                            ;   in Loop: Header=BB352_16 Depth=1
	s_delay_alu instid0(SALU_CYCLE_1) | instskip(NEXT) | instid1(SALU_CYCLE_1)
	s_or_b32 exec_lo, exec_lo, s21
	s_mov_b32 s21, exec_lo
	v_cmpx_lt_u64_e64 s[8:9], v[33:34]
	s_cbranch_execz .LBB352_595
; %bb.588:                              ;   in Loop: Header=BB352_16 Depth=1
	v_lshrrev_b32_e32 v35, 24, v34
	v_bfrev_b32_e32 v73, 1
	s_mov_b32 s22, exec_lo
	s_delay_alu instid0(VALU_DEP_2)
	v_cmpx_ne_u32_e32 0x80, v35
	s_cbranch_execz .LBB352_594
; %bb.589:                              ;   in Loop: Header=BB352_16 Depth=1
	v_and_b32_e32 v33, 0x7f, v35
	v_mov_b32_e32 v73, 0x7fc02000
	s_mov_b32 s23, exec_lo
	s_delay_alu instid0(VALU_DEP_2)
	v_cmpx_ne_u32_e32 0x7f, v33
	s_cbranch_execz .LBB352_593
; %bb.590:                              ;   in Loop: Header=BB352_16 Depth=1
	v_and_b32_e32 v7, 7, v35
	v_lshrrev_b32_e32 v36, 3, v33
	v_cmp_gt_u32_e64 s1, 8, v33
	s_delay_alu instid0(VALU_DEP_3) | instskip(NEXT) | instid1(VALU_DEP_2)
	v_dual_mov_b32 v34, v8 :: v_dual_mov_b32 v33, v7
	s_and_saveexec_b32 s24, s1
; %bb.591:                              ;   in Loop: Header=BB352_16 Depth=1
	v_clz_i32_u32_e32 v33, v7
	s_delay_alu instid0(VALU_DEP_1) | instskip(NEXT) | instid1(VALU_DEP_1)
	v_min_u32_e32 v36, 32, v33
	v_subrev_nc_u32_e32 v33, 28, v36
	v_sub_nc_u32_e32 v36, 29, v36
	s_delay_alu instid0(VALU_DEP_2) | instskip(NEXT) | instid1(VALU_DEP_1)
	v_lshlrev_b64 v[33:34], v33, v[7:8]
	v_and_b32_e32 v33, 7, v33
; %bb.592:                              ;   in Loop: Header=BB352_16 Depth=1
	s_or_b32 exec_lo, exec_lo, s24
	v_lshlrev_b32_e32 v7, 8, v35
	v_lshl_add_u32 v34, v36, 10, 0x2000
	s_delay_alu instid0(VALU_DEP_1) | instskip(NEXT) | instid1(VALU_DEP_1)
	v_and_or_b32 v7, 0x8000, v7, v34
	v_lshl_or_b32 v7, v33, 7, v7
	s_delay_alu instid0(VALU_DEP_1)
	v_cvt_f32_f16_e32 v73, v7
.LBB352_593:                            ;   in Loop: Header=BB352_16 Depth=1
	s_or_b32 exec_lo, exec_lo, s23
.LBB352_594:                            ;   in Loop: Header=BB352_16 Depth=1
	s_delay_alu instid0(SALU_CYCLE_1)
	s_or_b32 exec_lo, exec_lo, s22
.LBB352_595:                            ;   in Loop: Header=BB352_16 Depth=1
	s_delay_alu instid0(SALU_CYCLE_1)
	s_or_b32 exec_lo, exec_lo, s21
	flat_load_b64 v[33:34], v[31:32] offset:2056
	v_mov_b32_e32 v75, 0
	s_mov_b32 s21, exec_lo
	s_waitcnt vmcnt(0) lgkmcnt(0)
	v_dual_mov_b32 v76, 0 :: v_dual_and_b32 v7, 0xff, v33
	s_delay_alu instid0(VALU_DEP_1)
	v_cmpx_ne_u16_e32 0, v7
	s_cbranch_execz .LBB352_603
; %bb.596:                              ;   in Loop: Header=BB352_16 Depth=1
	v_bfrev_b32_e32 v75, 1
	s_mov_b32 s22, exec_lo
	v_cmpx_ne_u16_e32 0x80, v7
	s_cbranch_execz .LBB352_602
; %bb.597:                              ;   in Loop: Header=BB352_16 Depth=1
	v_and_b32_e32 v35, 0x7f, v33
	v_mov_b32_e32 v75, 0x7fc02000
	s_mov_b32 s23, exec_lo
	s_delay_alu instid0(VALU_DEP_2)
	v_cmpx_ne_u32_e32 0x7f, v35
	s_cbranch_execz .LBB352_601
; %bb.598:                              ;   in Loop: Header=BB352_16 Depth=1
	v_lshrrev_b32_e32 v7, 3, v35
	v_cmp_gt_u32_e64 s1, 8, v35
	v_dual_mov_b32 v36, v34 :: v_dual_mov_b32 v35, v33
	s_delay_alu instid0(VALU_DEP_2)
	s_and_saveexec_b32 s24, s1
; %bb.599:                              ;   in Loop: Header=BB352_16 Depth=1
	v_and_b32_e32 v7, 7, v33
	s_delay_alu instid0(VALU_DEP_1) | instskip(NEXT) | instid1(VALU_DEP_1)
	v_clz_i32_u32_e32 v7, v7
	v_min_u32_e32 v7, 32, v7
	s_delay_alu instid0(VALU_DEP_1) | instskip(SKIP_1) | instid1(VALU_DEP_2)
	v_subrev_nc_u32_e32 v35, 28, v7
	v_sub_nc_u32_e32 v7, 29, v7
	v_lshlrev_b64 v[35:36], v35, v[33:34]
; %bb.600:                              ;   in Loop: Header=BB352_16 Depth=1
	s_or_b32 exec_lo, exec_lo, s24
	v_lshlrev_b32_e32 v36, 8, v33
	s_delay_alu instid0(VALU_DEP_3) | instskip(NEXT) | instid1(VALU_DEP_3)
	v_lshl_add_u32 v7, v7, 10, 0x2000
	v_lshlrev_b32_e32 v35, 7, v35
	s_delay_alu instid0(VALU_DEP_2) | instskip(NEXT) | instid1(VALU_DEP_1)
	v_and_or_b32 v7, 0x8000, v36, v7
	v_and_or_b32 v7, 0x380, v35, v7
	s_delay_alu instid0(VALU_DEP_1)
	v_cvt_f32_f16_e32 v75, v7
.LBB352_601:                            ;   in Loop: Header=BB352_16 Depth=1
	s_or_b32 exec_lo, exec_lo, s23
.LBB352_602:                            ;   in Loop: Header=BB352_16 Depth=1
	s_delay_alu instid0(SALU_CYCLE_1)
	s_or_b32 exec_lo, exec_lo, s22
.LBB352_603:                            ;   in Loop: Header=BB352_16 Depth=1
	s_delay_alu instid0(SALU_CYCLE_1) | instskip(SKIP_2) | instid1(VALU_DEP_1)
	s_or_b32 exec_lo, exec_lo, s21
	v_lshrrev_b16 v7, 8, v33
	s_mov_b32 s21, exec_lo
	v_cmpx_ne_u16_e32 0, v7
	s_cbranch_execz .LBB352_611
; %bb.604:                              ;   in Loop: Header=BB352_16 Depth=1
	v_bfrev_b32_e32 v76, 1
	s_mov_b32 s22, exec_lo
	v_cmpx_ne_u16_e32 0x80, v7
	s_cbranch_execz .LBB352_610
; %bb.605:                              ;   in Loop: Header=BB352_16 Depth=1
	v_and_b32_e32 v77, 0xffff, v7
	v_mov_b32_e32 v76, 0x7fc02000
	s_mov_b32 s23, exec_lo
	s_delay_alu instid0(VALU_DEP_2) | instskip(NEXT) | instid1(VALU_DEP_1)
	v_and_b32_e32 v35, 0x7f, v77
	v_cmpx_ne_u32_e32 0x7f, v35
	s_cbranch_execz .LBB352_609
; %bb.606:                              ;   in Loop: Header=BB352_16 Depth=1
	v_and_b32_e32 v7, 7, v77
	v_lshrrev_b32_e32 v76, 3, v35
	v_cmp_gt_u32_e64 s1, 8, v35
	s_delay_alu instid0(VALU_DEP_3) | instskip(NEXT) | instid1(VALU_DEP_2)
	v_dual_mov_b32 v36, v8 :: v_dual_mov_b32 v35, v7
	s_and_saveexec_b32 s24, s1
; %bb.607:                              ;   in Loop: Header=BB352_16 Depth=1
	v_clz_i32_u32_e32 v35, v7
	s_delay_alu instid0(VALU_DEP_1) | instskip(NEXT) | instid1(VALU_DEP_1)
	v_min_u32_e32 v76, 32, v35
	v_subrev_nc_u32_e32 v35, 28, v76
	v_sub_nc_u32_e32 v76, 29, v76
	s_delay_alu instid0(VALU_DEP_2) | instskip(NEXT) | instid1(VALU_DEP_1)
	v_lshlrev_b64 v[35:36], v35, v[7:8]
	v_and_b32_e32 v35, 7, v35
; %bb.608:                              ;   in Loop: Header=BB352_16 Depth=1
	s_or_b32 exec_lo, exec_lo, s24
	v_lshlrev_b32_e32 v7, 8, v77
	v_lshl_add_u32 v36, v76, 10, 0x2000
	s_delay_alu instid0(VALU_DEP_1) | instskip(NEXT) | instid1(VALU_DEP_1)
	v_and_or_b32 v7, 0x8000, v7, v36
	v_lshl_or_b32 v7, v35, 7, v7
	s_delay_alu instid0(VALU_DEP_1)
	v_cvt_f32_f16_e32 v76, v7
.LBB352_609:                            ;   in Loop: Header=BB352_16 Depth=1
	s_or_b32 exec_lo, exec_lo, s23
.LBB352_610:                            ;   in Loop: Header=BB352_16 Depth=1
	s_delay_alu instid0(SALU_CYCLE_1)
	s_or_b32 exec_lo, exec_lo, s22
.LBB352_611:                            ;   in Loop: Header=BB352_16 Depth=1
	s_delay_alu instid0(SALU_CYCLE_1) | instskip(SKIP_3) | instid1(VALU_DEP_2)
	s_or_b32 exec_lo, exec_lo, s21
	v_lshrrev_b32_e32 v79, 16, v33
	v_mov_b32_e32 v77, 0
	s_mov_b32 s21, exec_lo
	v_dual_mov_b32 v78, 0 :: v_dual_and_b32 v7, 0xff, v79
	s_delay_alu instid0(VALU_DEP_1)
	v_cmpx_ne_u16_e32 0, v7
	s_cbranch_execz .LBB352_619
; %bb.612:                              ;   in Loop: Header=BB352_16 Depth=1
	v_bfrev_b32_e32 v77, 1
	s_mov_b32 s22, exec_lo
	v_cmpx_ne_u16_e32 0x80, v7
	s_cbranch_execz .LBB352_618
; %bb.613:                              ;   in Loop: Header=BB352_16 Depth=1
	v_bfe_u32 v35, v33, 16, 7
	v_mov_b32_e32 v77, 0x7fc02000
	s_mov_b32 s23, exec_lo
	s_delay_alu instid0(VALU_DEP_2)
	v_cmpx_ne_u32_e32 0x7f, v35
	s_cbranch_execz .LBB352_617
; %bb.614:                              ;   in Loop: Header=BB352_16 Depth=1
	v_and_b32_e32 v7, 7, v79
	v_lshrrev_b32_e32 v77, 3, v35
	v_cmp_gt_u32_e64 s1, 8, v35
	s_delay_alu instid0(VALU_DEP_3) | instskip(NEXT) | instid1(VALU_DEP_2)
	v_dual_mov_b32 v36, v8 :: v_dual_mov_b32 v35, v7
	s_and_saveexec_b32 s24, s1
; %bb.615:                              ;   in Loop: Header=BB352_16 Depth=1
	v_clz_i32_u32_e32 v35, v7
	s_delay_alu instid0(VALU_DEP_1) | instskip(NEXT) | instid1(VALU_DEP_1)
	v_min_u32_e32 v77, 32, v35
	v_subrev_nc_u32_e32 v35, 28, v77
	v_sub_nc_u32_e32 v77, 29, v77
	s_delay_alu instid0(VALU_DEP_2) | instskip(NEXT) | instid1(VALU_DEP_1)
	v_lshlrev_b64 v[35:36], v35, v[7:8]
	v_and_b32_e32 v35, 7, v35
; %bb.616:                              ;   in Loop: Header=BB352_16 Depth=1
	s_or_b32 exec_lo, exec_lo, s24
	v_lshlrev_b32_e32 v7, 8, v79
	v_lshl_add_u32 v36, v77, 10, 0x2000
	s_delay_alu instid0(VALU_DEP_1) | instskip(NEXT) | instid1(VALU_DEP_1)
	v_and_or_b32 v7, 0x8000, v7, v36
	v_lshl_or_b32 v7, v35, 7, v7
	s_delay_alu instid0(VALU_DEP_1)
	v_cvt_f32_f16_e32 v77, v7
.LBB352_617:                            ;   in Loop: Header=BB352_16 Depth=1
	s_or_b32 exec_lo, exec_lo, s23
.LBB352_618:                            ;   in Loop: Header=BB352_16 Depth=1
	s_delay_alu instid0(SALU_CYCLE_1)
	s_or_b32 exec_lo, exec_lo, s22
.LBB352_619:                            ;   in Loop: Header=BB352_16 Depth=1
	s_delay_alu instid0(SALU_CYCLE_1) | instskip(NEXT) | instid1(SALU_CYCLE_1)
	s_or_b32 exec_lo, exec_lo, s21
	s_mov_b32 s21, exec_lo
	v_cmpx_lt_u32_e32 0xffffff, v33
	s_cbranch_execz .LBB352_627
; %bb.620:                              ;   in Loop: Header=BB352_16 Depth=1
	v_lshrrev_b32_e32 v79, 24, v33
	v_bfrev_b32_e32 v78, 1
	s_mov_b32 s22, exec_lo
	s_delay_alu instid0(VALU_DEP_2)
	v_cmpx_ne_u32_e32 0x80, v79
	s_cbranch_execz .LBB352_626
; %bb.621:                              ;   in Loop: Header=BB352_16 Depth=1
	v_and_b32_e32 v35, 0x7f, v79
	v_mov_b32_e32 v78, 0x7fc02000
	s_mov_b32 s23, exec_lo
	s_delay_alu instid0(VALU_DEP_2)
	v_cmpx_ne_u32_e32 0x7f, v35
	s_cbranch_execz .LBB352_625
; %bb.622:                              ;   in Loop: Header=BB352_16 Depth=1
	v_and_b32_e32 v7, 7, v79
	v_lshrrev_b32_e32 v78, 3, v35
	v_cmp_gt_u32_e64 s1, 8, v35
	s_delay_alu instid0(VALU_DEP_3) | instskip(NEXT) | instid1(VALU_DEP_2)
	v_dual_mov_b32 v36, v8 :: v_dual_mov_b32 v35, v7
	s_and_saveexec_b32 s24, s1
; %bb.623:                              ;   in Loop: Header=BB352_16 Depth=1
	v_clz_i32_u32_e32 v35, v7
	s_delay_alu instid0(VALU_DEP_1) | instskip(NEXT) | instid1(VALU_DEP_1)
	v_min_u32_e32 v78, 32, v35
	v_subrev_nc_u32_e32 v35, 28, v78
	v_sub_nc_u32_e32 v78, 29, v78
	s_delay_alu instid0(VALU_DEP_2) | instskip(NEXT) | instid1(VALU_DEP_1)
	v_lshlrev_b64 v[35:36], v35, v[7:8]
	v_and_b32_e32 v35, 7, v35
; %bb.624:                              ;   in Loop: Header=BB352_16 Depth=1
	s_or_b32 exec_lo, exec_lo, s24
	v_lshlrev_b32_e32 v7, 8, v79
	v_lshl_add_u32 v36, v78, 10, 0x2000
	s_delay_alu instid0(VALU_DEP_1) | instskip(NEXT) | instid1(VALU_DEP_1)
	v_and_or_b32 v7, 0x8000, v7, v36
	v_lshl_or_b32 v7, v35, 7, v7
	s_delay_alu instid0(VALU_DEP_1)
	v_cvt_f32_f16_e32 v78, v7
.LBB352_625:                            ;   in Loop: Header=BB352_16 Depth=1
	s_or_b32 exec_lo, exec_lo, s23
.LBB352_626:                            ;   in Loop: Header=BB352_16 Depth=1
	s_delay_alu instid0(SALU_CYCLE_1)
	s_or_b32 exec_lo, exec_lo, s22
.LBB352_627:                            ;   in Loop: Header=BB352_16 Depth=1
	s_delay_alu instid0(SALU_CYCLE_1) | instskip(SKIP_4) | instid1(VALU_DEP_3)
	s_or_b32 exec_lo, exec_lo, s21
	v_dual_mov_b32 v88, 0 :: v_dual_and_b32 v35, 0xff, v34
	v_mov_b32_e32 v7, v34
	v_mov_b32_e32 v79, 0
	s_mov_b32 s21, exec_lo
	v_cmpx_ne_u16_e32 0, v35
	s_cbranch_execz .LBB352_635
; %bb.628:                              ;   in Loop: Header=BB352_16 Depth=1
	v_bfrev_b32_e32 v79, 1
	s_mov_b32 s22, exec_lo
	v_cmpx_ne_u16_e32 0x80, v35
	s_cbranch_execz .LBB352_634
; %bb.629:                              ;   in Loop: Header=BB352_16 Depth=1
	v_and_b32_e32 v35, 0x7f, v34
	v_mov_b32_e32 v79, 0x7fc02000
	s_mov_b32 s23, exec_lo
	s_delay_alu instid0(VALU_DEP_2)
	v_cmpx_ne_u32_e32 0x7f, v35
	s_cbranch_execz .LBB352_633
; %bb.630:                              ;   in Loop: Header=BB352_16 Depth=1
	v_lshrrev_b32_e32 v79, 3, v35
	v_cmp_gt_u32_e64 s1, 8, v35
	v_dual_mov_b32 v36, v8 :: v_dual_mov_b32 v35, v7
	s_delay_alu instid0(VALU_DEP_2)
	s_and_saveexec_b32 s24, s1
; %bb.631:                              ;   in Loop: Header=BB352_16 Depth=1
	v_and_b32_e32 v35, 7, v34
	s_delay_alu instid0(VALU_DEP_1) | instskip(NEXT) | instid1(VALU_DEP_1)
	v_clz_i32_u32_e32 v35, v35
	v_min_u32_e32 v79, 32, v35
	s_delay_alu instid0(VALU_DEP_1) | instskip(SKIP_1) | instid1(VALU_DEP_2)
	v_subrev_nc_u32_e32 v35, 28, v79
	v_sub_nc_u32_e32 v79, 29, v79
	v_lshlrev_b64 v[35:36], v35, v[7:8]
; %bb.632:                              ;   in Loop: Header=BB352_16 Depth=1
	s_or_b32 exec_lo, exec_lo, s24
	v_lshlrev_b32_e32 v36, 8, v34
	s_delay_alu instid0(VALU_DEP_3) | instskip(NEXT) | instid1(VALU_DEP_3)
	v_lshl_add_u32 v79, v79, 10, 0x2000
	v_lshlrev_b32_e32 v35, 7, v35
	s_delay_alu instid0(VALU_DEP_2) | instskip(NEXT) | instid1(VALU_DEP_1)
	v_and_or_b32 v36, 0x8000, v36, v79
	v_and_or_b32 v35, 0x380, v35, v36
	s_delay_alu instid0(VALU_DEP_1)
	v_cvt_f32_f16_e32 v79, v35
.LBB352_633:                            ;   in Loop: Header=BB352_16 Depth=1
	s_or_b32 exec_lo, exec_lo, s23
.LBB352_634:                            ;   in Loop: Header=BB352_16 Depth=1
	s_delay_alu instid0(SALU_CYCLE_1)
	s_or_b32 exec_lo, exec_lo, s22
.LBB352_635:                            ;   in Loop: Header=BB352_16 Depth=1
	s_delay_alu instid0(SALU_CYCLE_1) | instskip(SKIP_2) | instid1(VALU_DEP_1)
	s_or_b32 exec_lo, exec_lo, s21
	v_lshrrev_b16 v7, 8, v7
	s_mov_b32 s21, exec_lo
	v_cmpx_ne_u16_e32 0, v7
	s_cbranch_execz .LBB352_643
; %bb.636:                              ;   in Loop: Header=BB352_16 Depth=1
	v_bfrev_b32_e32 v88, 1
	s_mov_b32 s22, exec_lo
	v_cmpx_ne_u16_e32 0x80, v7
	s_cbranch_execz .LBB352_642
; %bb.637:                              ;   in Loop: Header=BB352_16 Depth=1
	v_and_b32_e32 v89, 0xffff, v7
	v_mov_b32_e32 v88, 0x7fc02000
	s_mov_b32 s23, exec_lo
	s_delay_alu instid0(VALU_DEP_2) | instskip(NEXT) | instid1(VALU_DEP_1)
	v_and_b32_e32 v35, 0x7f, v89
	v_cmpx_ne_u32_e32 0x7f, v35
	s_cbranch_execz .LBB352_641
; %bb.638:                              ;   in Loop: Header=BB352_16 Depth=1
	v_and_b32_e32 v7, 7, v89
	v_lshrrev_b32_e32 v88, 3, v35
	v_cmp_gt_u32_e64 s1, 8, v35
	s_delay_alu instid0(VALU_DEP_3) | instskip(NEXT) | instid1(VALU_DEP_2)
	v_dual_mov_b32 v36, v8 :: v_dual_mov_b32 v35, v7
	s_and_saveexec_b32 s24, s1
; %bb.639:                              ;   in Loop: Header=BB352_16 Depth=1
	v_clz_i32_u32_e32 v35, v7
	s_delay_alu instid0(VALU_DEP_1) | instskip(NEXT) | instid1(VALU_DEP_1)
	v_min_u32_e32 v88, 32, v35
	v_subrev_nc_u32_e32 v35, 28, v88
	v_sub_nc_u32_e32 v88, 29, v88
	s_delay_alu instid0(VALU_DEP_2) | instskip(NEXT) | instid1(VALU_DEP_1)
	v_lshlrev_b64 v[35:36], v35, v[7:8]
	v_and_b32_e32 v35, 7, v35
; %bb.640:                              ;   in Loop: Header=BB352_16 Depth=1
	s_or_b32 exec_lo, exec_lo, s24
	v_lshlrev_b32_e32 v7, 8, v89
	v_lshl_add_u32 v36, v88, 10, 0x2000
	s_delay_alu instid0(VALU_DEP_1) | instskip(NEXT) | instid1(VALU_DEP_1)
	v_and_or_b32 v7, 0x8000, v7, v36
	v_lshl_or_b32 v7, v35, 7, v7
	s_delay_alu instid0(VALU_DEP_1)
	v_cvt_f32_f16_e32 v88, v7
.LBB352_641:                            ;   in Loop: Header=BB352_16 Depth=1
	s_or_b32 exec_lo, exec_lo, s23
.LBB352_642:                            ;   in Loop: Header=BB352_16 Depth=1
	s_delay_alu instid0(SALU_CYCLE_1)
	s_or_b32 exec_lo, exec_lo, s22
.LBB352_643:                            ;   in Loop: Header=BB352_16 Depth=1
	s_delay_alu instid0(SALU_CYCLE_1) | instskip(SKIP_3) | instid1(VALU_DEP_2)
	s_or_b32 exec_lo, exec_lo, s21
	v_lshrrev_b32_e32 v89, 16, v34
	v_mov_b32_e32 v91, 0
	s_mov_b32 s21, exec_lo
	v_dual_mov_b32 v90, 0 :: v_dual_and_b32 v7, 0xff, v89
	s_delay_alu instid0(VALU_DEP_1)
	v_cmpx_ne_u16_e32 0, v7
	s_cbranch_execz .LBB352_651
; %bb.644:                              ;   in Loop: Header=BB352_16 Depth=1
	v_bfrev_b32_e32 v91, 1
	s_mov_b32 s22, exec_lo
	v_cmpx_ne_u16_e32 0x80, v7
	s_cbranch_execz .LBB352_650
; %bb.645:                              ;   in Loop: Header=BB352_16 Depth=1
	v_bfe_u32 v35, v34, 16, 7
	v_mov_b32_e32 v91, 0x7fc02000
	s_mov_b32 s23, exec_lo
	s_delay_alu instid0(VALU_DEP_2)
	v_cmpx_ne_u32_e32 0x7f, v35
	s_cbranch_execz .LBB352_649
; %bb.646:                              ;   in Loop: Header=BB352_16 Depth=1
	v_and_b32_e32 v7, 7, v89
	v_lshrrev_b32_e32 v91, 3, v35
	v_cmp_gt_u32_e64 s1, 8, v35
	s_delay_alu instid0(VALU_DEP_3) | instskip(NEXT) | instid1(VALU_DEP_2)
	v_dual_mov_b32 v36, v8 :: v_dual_mov_b32 v35, v7
	s_and_saveexec_b32 s24, s1
; %bb.647:                              ;   in Loop: Header=BB352_16 Depth=1
	v_clz_i32_u32_e32 v35, v7
	s_delay_alu instid0(VALU_DEP_1) | instskip(NEXT) | instid1(VALU_DEP_1)
	v_min_u32_e32 v91, 32, v35
	v_subrev_nc_u32_e32 v35, 28, v91
	v_sub_nc_u32_e32 v91, 29, v91
	s_delay_alu instid0(VALU_DEP_2) | instskip(NEXT) | instid1(VALU_DEP_1)
	v_lshlrev_b64 v[35:36], v35, v[7:8]
	v_and_b32_e32 v35, 7, v35
; %bb.648:                              ;   in Loop: Header=BB352_16 Depth=1
	s_or_b32 exec_lo, exec_lo, s24
	v_lshlrev_b32_e32 v7, 8, v89
	v_lshl_add_u32 v36, v91, 10, 0x2000
	s_delay_alu instid0(VALU_DEP_1) | instskip(NEXT) | instid1(VALU_DEP_1)
	v_and_or_b32 v7, 0x8000, v7, v36
	v_lshl_or_b32 v7, v35, 7, v7
	s_delay_alu instid0(VALU_DEP_1)
	v_cvt_f32_f16_e32 v91, v7
.LBB352_649:                            ;   in Loop: Header=BB352_16 Depth=1
	s_or_b32 exec_lo, exec_lo, s23
.LBB352_650:                            ;   in Loop: Header=BB352_16 Depth=1
	s_delay_alu instid0(SALU_CYCLE_1)
	s_or_b32 exec_lo, exec_lo, s22
.LBB352_651:                            ;   in Loop: Header=BB352_16 Depth=1
	s_delay_alu instid0(SALU_CYCLE_1) | instskip(NEXT) | instid1(SALU_CYCLE_1)
	s_or_b32 exec_lo, exec_lo, s21
	s_mov_b32 s21, exec_lo
	v_cmpx_lt_u64_e64 s[8:9], v[33:34]
	s_cbranch_execz .LBB352_659
; %bb.652:                              ;   in Loop: Header=BB352_16 Depth=1
	v_lshrrev_b32_e32 v35, 24, v34
	v_bfrev_b32_e32 v90, 1
	s_mov_b32 s22, exec_lo
	s_delay_alu instid0(VALU_DEP_2)
	v_cmpx_ne_u32_e32 0x80, v35
	s_cbranch_execz .LBB352_658
; %bb.653:                              ;   in Loop: Header=BB352_16 Depth=1
	v_and_b32_e32 v33, 0x7f, v35
	v_mov_b32_e32 v90, 0x7fc02000
	s_mov_b32 s23, exec_lo
	s_delay_alu instid0(VALU_DEP_2)
	v_cmpx_ne_u32_e32 0x7f, v33
	s_cbranch_execz .LBB352_657
; %bb.654:                              ;   in Loop: Header=BB352_16 Depth=1
	v_and_b32_e32 v7, 7, v35
	v_lshrrev_b32_e32 v36, 3, v33
	v_cmp_gt_u32_e64 s1, 8, v33
	s_delay_alu instid0(VALU_DEP_3) | instskip(NEXT) | instid1(VALU_DEP_2)
	v_dual_mov_b32 v34, v8 :: v_dual_mov_b32 v33, v7
	s_and_saveexec_b32 s24, s1
; %bb.655:                              ;   in Loop: Header=BB352_16 Depth=1
	v_clz_i32_u32_e32 v33, v7
	s_delay_alu instid0(VALU_DEP_1) | instskip(NEXT) | instid1(VALU_DEP_1)
	v_min_u32_e32 v36, 32, v33
	v_subrev_nc_u32_e32 v33, 28, v36
	v_sub_nc_u32_e32 v36, 29, v36
	s_delay_alu instid0(VALU_DEP_2) | instskip(NEXT) | instid1(VALU_DEP_1)
	v_lshlrev_b64 v[33:34], v33, v[7:8]
	v_and_b32_e32 v33, 7, v33
; %bb.656:                              ;   in Loop: Header=BB352_16 Depth=1
	s_or_b32 exec_lo, exec_lo, s24
	v_lshlrev_b32_e32 v7, 8, v35
	v_lshl_add_u32 v34, v36, 10, 0x2000
	s_delay_alu instid0(VALU_DEP_1) | instskip(NEXT) | instid1(VALU_DEP_1)
	v_and_or_b32 v7, 0x8000, v7, v34
	v_lshl_or_b32 v7, v33, 7, v7
	s_delay_alu instid0(VALU_DEP_1)
	v_cvt_f32_f16_e32 v90, v7
.LBB352_657:                            ;   in Loop: Header=BB352_16 Depth=1
	s_or_b32 exec_lo, exec_lo, s23
.LBB352_658:                            ;   in Loop: Header=BB352_16 Depth=1
	s_delay_alu instid0(SALU_CYCLE_1)
	s_or_b32 exec_lo, exec_lo, s22
.LBB352_659:                            ;   in Loop: Header=BB352_16 Depth=1
	s_delay_alu instid0(SALU_CYCLE_1)
	s_or_b32 exec_lo, exec_lo, s21
	flat_load_b64 v[33:34], v[31:32] offset:2560
	v_mov_b32_e32 v107, 0
	s_mov_b32 s21, exec_lo
	s_waitcnt vmcnt(0) lgkmcnt(0)
	v_dual_mov_b32 v106, 0 :: v_dual_and_b32 v7, 0xff, v33
	s_delay_alu instid0(VALU_DEP_1)
	v_cmpx_ne_u16_e32 0, v7
	s_cbranch_execz .LBB352_667
; %bb.660:                              ;   in Loop: Header=BB352_16 Depth=1
	v_bfrev_b32_e32 v106, 1
	s_mov_b32 s22, exec_lo
	v_cmpx_ne_u16_e32 0x80, v7
	s_cbranch_execz .LBB352_666
; %bb.661:                              ;   in Loop: Header=BB352_16 Depth=1
	v_and_b32_e32 v35, 0x7f, v33
	v_mov_b32_e32 v106, 0x7fc02000
	s_mov_b32 s23, exec_lo
	s_delay_alu instid0(VALU_DEP_2)
	v_cmpx_ne_u32_e32 0x7f, v35
	s_cbranch_execz .LBB352_665
; %bb.662:                              ;   in Loop: Header=BB352_16 Depth=1
	v_lshrrev_b32_e32 v7, 3, v35
	v_cmp_gt_u32_e64 s1, 8, v35
	v_dual_mov_b32 v36, v34 :: v_dual_mov_b32 v35, v33
	s_delay_alu instid0(VALU_DEP_2)
	s_and_saveexec_b32 s24, s1
; %bb.663:                              ;   in Loop: Header=BB352_16 Depth=1
	v_and_b32_e32 v7, 7, v33
	s_delay_alu instid0(VALU_DEP_1) | instskip(NEXT) | instid1(VALU_DEP_1)
	v_clz_i32_u32_e32 v7, v7
	v_min_u32_e32 v7, 32, v7
	s_delay_alu instid0(VALU_DEP_1) | instskip(SKIP_1) | instid1(VALU_DEP_2)
	v_subrev_nc_u32_e32 v35, 28, v7
	v_sub_nc_u32_e32 v7, 29, v7
	v_lshlrev_b64 v[35:36], v35, v[33:34]
; %bb.664:                              ;   in Loop: Header=BB352_16 Depth=1
	s_or_b32 exec_lo, exec_lo, s24
	v_lshlrev_b32_e32 v36, 8, v33
	s_delay_alu instid0(VALU_DEP_3) | instskip(NEXT) | instid1(VALU_DEP_3)
	v_lshl_add_u32 v7, v7, 10, 0x2000
	v_lshlrev_b32_e32 v35, 7, v35
	s_delay_alu instid0(VALU_DEP_2) | instskip(NEXT) | instid1(VALU_DEP_1)
	v_and_or_b32 v7, 0x8000, v36, v7
	v_and_or_b32 v7, 0x380, v35, v7
	s_delay_alu instid0(VALU_DEP_1)
	v_cvt_f32_f16_e32 v106, v7
.LBB352_665:                            ;   in Loop: Header=BB352_16 Depth=1
	s_or_b32 exec_lo, exec_lo, s23
.LBB352_666:                            ;   in Loop: Header=BB352_16 Depth=1
	s_delay_alu instid0(SALU_CYCLE_1)
	s_or_b32 exec_lo, exec_lo, s22
.LBB352_667:                            ;   in Loop: Header=BB352_16 Depth=1
	s_delay_alu instid0(SALU_CYCLE_1) | instskip(SKIP_2) | instid1(VALU_DEP_1)
	s_or_b32 exec_lo, exec_lo, s21
	v_lshrrev_b16 v7, 8, v33
	s_mov_b32 s21, exec_lo
	v_cmpx_ne_u16_e32 0, v7
	s_cbranch_execz .LBB352_675
; %bb.668:                              ;   in Loop: Header=BB352_16 Depth=1
	v_bfrev_b32_e32 v107, 1
	s_mov_b32 s22, exec_lo
	v_cmpx_ne_u16_e32 0x80, v7
	s_cbranch_execz .LBB352_674
; %bb.669:                              ;   in Loop: Header=BB352_16 Depth=1
	v_and_b32_e32 v89, 0xffff, v7
	v_mov_b32_e32 v107, 0x7fc02000
	s_mov_b32 s23, exec_lo
	s_delay_alu instid0(VALU_DEP_2) | instskip(NEXT) | instid1(VALU_DEP_1)
	v_and_b32_e32 v35, 0x7f, v89
	v_cmpx_ne_u32_e32 0x7f, v35
	s_cbranch_execz .LBB352_673
; %bb.670:                              ;   in Loop: Header=BB352_16 Depth=1
	v_and_b32_e32 v7, 7, v89
	v_lshrrev_b32_e32 v92, 3, v35
	v_cmp_gt_u32_e64 s1, 8, v35
	s_delay_alu instid0(VALU_DEP_3) | instskip(NEXT) | instid1(VALU_DEP_2)
	v_dual_mov_b32 v36, v8 :: v_dual_mov_b32 v35, v7
	s_and_saveexec_b32 s24, s1
; %bb.671:                              ;   in Loop: Header=BB352_16 Depth=1
	v_clz_i32_u32_e32 v35, v7
	s_delay_alu instid0(VALU_DEP_1) | instskip(NEXT) | instid1(VALU_DEP_1)
	v_min_u32_e32 v92, 32, v35
	v_subrev_nc_u32_e32 v35, 28, v92
	v_sub_nc_u32_e32 v92, 29, v92
	s_delay_alu instid0(VALU_DEP_2) | instskip(NEXT) | instid1(VALU_DEP_1)
	v_lshlrev_b64 v[35:36], v35, v[7:8]
	v_and_b32_e32 v35, 7, v35
; %bb.672:                              ;   in Loop: Header=BB352_16 Depth=1
	s_or_b32 exec_lo, exec_lo, s24
	v_lshlrev_b32_e32 v7, 8, v89
	v_lshl_add_u32 v36, v92, 10, 0x2000
	s_delay_alu instid0(VALU_DEP_1) | instskip(NEXT) | instid1(VALU_DEP_1)
	v_and_or_b32 v7, 0x8000, v7, v36
	v_lshl_or_b32 v7, v35, 7, v7
	s_delay_alu instid0(VALU_DEP_1)
	v_cvt_f32_f16_e32 v107, v7
.LBB352_673:                            ;   in Loop: Header=BB352_16 Depth=1
	s_or_b32 exec_lo, exec_lo, s23
.LBB352_674:                            ;   in Loop: Header=BB352_16 Depth=1
	s_delay_alu instid0(SALU_CYCLE_1)
	s_or_b32 exec_lo, exec_lo, s22
.LBB352_675:                            ;   in Loop: Header=BB352_16 Depth=1
	s_delay_alu instid0(SALU_CYCLE_1) | instskip(SKIP_3) | instid1(VALU_DEP_2)
	s_or_b32 exec_lo, exec_lo, s21
	v_lshrrev_b32_e32 v89, 16, v33
	v_mov_b32_e32 v111, 0
	s_mov_b32 s21, exec_lo
	v_dual_mov_b32 v120, 0 :: v_dual_and_b32 v7, 0xff, v89
	s_delay_alu instid0(VALU_DEP_1)
	v_cmpx_ne_u16_e32 0, v7
	s_cbranch_execz .LBB352_683
; %bb.676:                              ;   in Loop: Header=BB352_16 Depth=1
	v_bfrev_b32_e32 v111, 1
	s_mov_b32 s22, exec_lo
	v_cmpx_ne_u16_e32 0x80, v7
	s_cbranch_execz .LBB352_682
; %bb.677:                              ;   in Loop: Header=BB352_16 Depth=1
	v_bfe_u32 v35, v33, 16, 7
	v_mov_b32_e32 v111, 0x7fc02000
	s_mov_b32 s23, exec_lo
	s_delay_alu instid0(VALU_DEP_2)
	v_cmpx_ne_u32_e32 0x7f, v35
	s_cbranch_execz .LBB352_681
; %bb.678:                              ;   in Loop: Header=BB352_16 Depth=1
	v_and_b32_e32 v7, 7, v89
	v_lshrrev_b32_e32 v92, 3, v35
	v_cmp_gt_u32_e64 s1, 8, v35
	s_delay_alu instid0(VALU_DEP_3) | instskip(NEXT) | instid1(VALU_DEP_2)
	v_dual_mov_b32 v36, v8 :: v_dual_mov_b32 v35, v7
	s_and_saveexec_b32 s24, s1
; %bb.679:                              ;   in Loop: Header=BB352_16 Depth=1
	v_clz_i32_u32_e32 v35, v7
	s_delay_alu instid0(VALU_DEP_1) | instskip(NEXT) | instid1(VALU_DEP_1)
	v_min_u32_e32 v92, 32, v35
	v_subrev_nc_u32_e32 v35, 28, v92
	v_sub_nc_u32_e32 v92, 29, v92
	s_delay_alu instid0(VALU_DEP_2) | instskip(NEXT) | instid1(VALU_DEP_1)
	v_lshlrev_b64 v[35:36], v35, v[7:8]
	v_and_b32_e32 v35, 7, v35
; %bb.680:                              ;   in Loop: Header=BB352_16 Depth=1
	s_or_b32 exec_lo, exec_lo, s24
	v_lshlrev_b32_e32 v7, 8, v89
	v_lshl_add_u32 v36, v92, 10, 0x2000
	s_delay_alu instid0(VALU_DEP_1) | instskip(NEXT) | instid1(VALU_DEP_1)
	v_and_or_b32 v7, 0x8000, v7, v36
	v_lshl_or_b32 v7, v35, 7, v7
	s_delay_alu instid0(VALU_DEP_1)
	v_cvt_f32_f16_e32 v111, v7
.LBB352_681:                            ;   in Loop: Header=BB352_16 Depth=1
	s_or_b32 exec_lo, exec_lo, s23
.LBB352_682:                            ;   in Loop: Header=BB352_16 Depth=1
	s_delay_alu instid0(SALU_CYCLE_1)
	s_or_b32 exec_lo, exec_lo, s22
.LBB352_683:                            ;   in Loop: Header=BB352_16 Depth=1
	s_delay_alu instid0(SALU_CYCLE_1) | instskip(NEXT) | instid1(SALU_CYCLE_1)
	s_or_b32 exec_lo, exec_lo, s21
	s_mov_b32 s21, exec_lo
	v_cmpx_lt_u32_e32 0xffffff, v33
	s_cbranch_execz .LBB352_691
; %bb.684:                              ;   in Loop: Header=BB352_16 Depth=1
	v_lshrrev_b32_e32 v89, 24, v33
	v_bfrev_b32_e32 v120, 1
	s_mov_b32 s22, exec_lo
	s_delay_alu instid0(VALU_DEP_2)
	v_cmpx_ne_u32_e32 0x80, v89
	s_cbranch_execz .LBB352_690
; %bb.685:                              ;   in Loop: Header=BB352_16 Depth=1
	v_and_b32_e32 v35, 0x7f, v89
	v_mov_b32_e32 v120, 0x7fc02000
	s_mov_b32 s23, exec_lo
	s_delay_alu instid0(VALU_DEP_2)
	v_cmpx_ne_u32_e32 0x7f, v35
	s_cbranch_execz .LBB352_689
; %bb.686:                              ;   in Loop: Header=BB352_16 Depth=1
	v_and_b32_e32 v7, 7, v89
	v_lshrrev_b32_e32 v92, 3, v35
	v_cmp_gt_u32_e64 s1, 8, v35
	s_delay_alu instid0(VALU_DEP_3) | instskip(NEXT) | instid1(VALU_DEP_2)
	v_dual_mov_b32 v36, v8 :: v_dual_mov_b32 v35, v7
	s_and_saveexec_b32 s24, s1
; %bb.687:                              ;   in Loop: Header=BB352_16 Depth=1
	v_clz_i32_u32_e32 v35, v7
	s_delay_alu instid0(VALU_DEP_1) | instskip(NEXT) | instid1(VALU_DEP_1)
	v_min_u32_e32 v92, 32, v35
	v_subrev_nc_u32_e32 v35, 28, v92
	v_sub_nc_u32_e32 v92, 29, v92
	s_delay_alu instid0(VALU_DEP_2) | instskip(NEXT) | instid1(VALU_DEP_1)
	v_lshlrev_b64 v[35:36], v35, v[7:8]
	v_and_b32_e32 v35, 7, v35
; %bb.688:                              ;   in Loop: Header=BB352_16 Depth=1
	s_or_b32 exec_lo, exec_lo, s24
	v_lshlrev_b32_e32 v7, 8, v89
	v_lshl_add_u32 v36, v92, 10, 0x2000
	s_delay_alu instid0(VALU_DEP_1) | instskip(NEXT) | instid1(VALU_DEP_1)
	v_and_or_b32 v7, 0x8000, v7, v36
	v_lshl_or_b32 v7, v35, 7, v7
	s_delay_alu instid0(VALU_DEP_1)
	v_cvt_f32_f16_e32 v120, v7
.LBB352_689:                            ;   in Loop: Header=BB352_16 Depth=1
	s_or_b32 exec_lo, exec_lo, s23
.LBB352_690:                            ;   in Loop: Header=BB352_16 Depth=1
	s_delay_alu instid0(SALU_CYCLE_1)
	s_or_b32 exec_lo, exec_lo, s22
.LBB352_691:                            ;   in Loop: Header=BB352_16 Depth=1
	s_delay_alu instid0(SALU_CYCLE_1) | instskip(SKIP_4) | instid1(VALU_DEP_3)
	s_or_b32 exec_lo, exec_lo, s21
	v_dual_mov_b32 v136, 0 :: v_dual_and_b32 v35, 0xff, v34
	v_mov_b32_e32 v7, v34
	v_mov_b32_e32 v137, 0
	s_mov_b32 s21, exec_lo
	v_cmpx_ne_u16_e32 0, v35
	s_cbranch_execz .LBB352_699
; %bb.692:                              ;   in Loop: Header=BB352_16 Depth=1
	v_bfrev_b32_e32 v136, 1
	s_mov_b32 s22, exec_lo
	v_cmpx_ne_u16_e32 0x80, v35
	s_cbranch_execz .LBB352_698
; %bb.693:                              ;   in Loop: Header=BB352_16 Depth=1
	v_and_b32_e32 v35, 0x7f, v34
	v_mov_b32_e32 v136, 0x7fc02000
	s_mov_b32 s23, exec_lo
	s_delay_alu instid0(VALU_DEP_2)
	v_cmpx_ne_u32_e32 0x7f, v35
	s_cbranch_execz .LBB352_697
; %bb.694:                              ;   in Loop: Header=BB352_16 Depth=1
	v_lshrrev_b32_e32 v89, 3, v35
	v_cmp_gt_u32_e64 s1, 8, v35
	v_dual_mov_b32 v36, v8 :: v_dual_mov_b32 v35, v7
	s_delay_alu instid0(VALU_DEP_2)
	s_and_saveexec_b32 s24, s1
; %bb.695:                              ;   in Loop: Header=BB352_16 Depth=1
	v_and_b32_e32 v35, 7, v34
	s_delay_alu instid0(VALU_DEP_1) | instskip(NEXT) | instid1(VALU_DEP_1)
	v_clz_i32_u32_e32 v35, v35
	v_min_u32_e32 v89, 32, v35
	s_delay_alu instid0(VALU_DEP_1) | instskip(SKIP_1) | instid1(VALU_DEP_2)
	v_subrev_nc_u32_e32 v35, 28, v89
	v_sub_nc_u32_e32 v89, 29, v89
	v_lshlrev_b64 v[35:36], v35, v[7:8]
; %bb.696:                              ;   in Loop: Header=BB352_16 Depth=1
	s_or_b32 exec_lo, exec_lo, s24
	v_lshlrev_b32_e32 v36, 8, v34
	s_delay_alu instid0(VALU_DEP_3) | instskip(NEXT) | instid1(VALU_DEP_3)
	v_lshl_add_u32 v89, v89, 10, 0x2000
	v_lshlrev_b32_e32 v35, 7, v35
	s_delay_alu instid0(VALU_DEP_2) | instskip(NEXT) | instid1(VALU_DEP_1)
	v_and_or_b32 v36, 0x8000, v36, v89
	v_and_or_b32 v35, 0x380, v35, v36
	s_delay_alu instid0(VALU_DEP_1)
	v_cvt_f32_f16_e64 v136, v35
.LBB352_697:                            ;   in Loop: Header=BB352_16 Depth=1
	s_or_b32 exec_lo, exec_lo, s23
.LBB352_698:                            ;   in Loop: Header=BB352_16 Depth=1
	s_delay_alu instid0(SALU_CYCLE_1)
	s_or_b32 exec_lo, exec_lo, s22
.LBB352_699:                            ;   in Loop: Header=BB352_16 Depth=1
	s_delay_alu instid0(SALU_CYCLE_1) | instskip(SKIP_2) | instid1(VALU_DEP_1)
	s_or_b32 exec_lo, exec_lo, s21
	v_lshrrev_b16 v7, 8, v7
	s_mov_b32 s21, exec_lo
	v_cmpx_ne_u16_e32 0, v7
	s_cbranch_execz .LBB352_707
; %bb.700:                              ;   in Loop: Header=BB352_16 Depth=1
	v_bfrev_b32_e32 v137, 1
	s_mov_b32 s22, exec_lo
	v_cmpx_ne_u16_e32 0x80, v7
	s_cbranch_execz .LBB352_706
; %bb.701:                              ;   in Loop: Header=BB352_16 Depth=1
	v_and_b32_e32 v89, 0xffff, v7
	v_mov_b32_e32 v137, 0x7fc02000
	s_mov_b32 s23, exec_lo
	s_delay_alu instid0(VALU_DEP_2) | instskip(NEXT) | instid1(VALU_DEP_1)
	v_and_b32_e32 v35, 0x7f, v89
	v_cmpx_ne_u32_e32 0x7f, v35
	s_cbranch_execz .LBB352_705
; %bb.702:                              ;   in Loop: Header=BB352_16 Depth=1
	v_and_b32_e32 v7, 7, v89
	v_lshrrev_b32_e32 v92, 3, v35
	v_cmp_gt_u32_e64 s1, 8, v35
	s_delay_alu instid0(VALU_DEP_3) | instskip(NEXT) | instid1(VALU_DEP_2)
	v_dual_mov_b32 v36, v8 :: v_dual_mov_b32 v35, v7
	s_and_saveexec_b32 s24, s1
; %bb.703:                              ;   in Loop: Header=BB352_16 Depth=1
	v_clz_i32_u32_e32 v35, v7
	s_delay_alu instid0(VALU_DEP_1) | instskip(NEXT) | instid1(VALU_DEP_1)
	v_min_u32_e32 v92, 32, v35
	v_subrev_nc_u32_e32 v35, 28, v92
	v_sub_nc_u32_e32 v92, 29, v92
	s_delay_alu instid0(VALU_DEP_2) | instskip(NEXT) | instid1(VALU_DEP_1)
	v_lshlrev_b64 v[35:36], v35, v[7:8]
	v_and_b32_e32 v35, 7, v35
; %bb.704:                              ;   in Loop: Header=BB352_16 Depth=1
	s_or_b32 exec_lo, exec_lo, s24
	v_lshlrev_b32_e32 v7, 8, v89
	v_lshl_add_u32 v36, v92, 10, 0x2000
	s_delay_alu instid0(VALU_DEP_1) | instskip(NEXT) | instid1(VALU_DEP_1)
	v_and_or_b32 v7, 0x8000, v7, v36
	v_lshl_or_b32 v7, v35, 7, v7
	s_delay_alu instid0(VALU_DEP_1)
	v_cvt_f32_f16_e64 v137, v7
.LBB352_705:                            ;   in Loop: Header=BB352_16 Depth=1
	s_or_b32 exec_lo, exec_lo, s23
.LBB352_706:                            ;   in Loop: Header=BB352_16 Depth=1
	s_delay_alu instid0(SALU_CYCLE_1)
	s_or_b32 exec_lo, exec_lo, s22
.LBB352_707:                            ;   in Loop: Header=BB352_16 Depth=1
	s_delay_alu instid0(SALU_CYCLE_1) | instskip(SKIP_3) | instid1(VALU_DEP_2)
	s_or_b32 exec_lo, exec_lo, s21
	v_lshrrev_b32_e32 v89, 16, v34
	v_mov_b32_e32 v143, 0
	s_mov_b32 s21, exec_lo
	v_dual_mov_b32 v142, 0 :: v_dual_and_b32 v7, 0xff, v89
	s_delay_alu instid0(VALU_DEP_1)
	v_cmpx_ne_u16_e32 0, v7
	s_cbranch_execz .LBB352_715
; %bb.708:                              ;   in Loop: Header=BB352_16 Depth=1
	v_bfrev_b32_e32 v143, 1
	s_mov_b32 s22, exec_lo
	v_cmpx_ne_u16_e32 0x80, v7
	s_cbranch_execz .LBB352_714
; %bb.709:                              ;   in Loop: Header=BB352_16 Depth=1
	v_bfe_u32 v35, v34, 16, 7
	v_mov_b32_e32 v143, 0x7fc02000
	s_mov_b32 s23, exec_lo
	s_delay_alu instid0(VALU_DEP_2)
	v_cmpx_ne_u32_e32 0x7f, v35
	s_cbranch_execz .LBB352_713
; %bb.710:                              ;   in Loop: Header=BB352_16 Depth=1
	v_and_b32_e32 v7, 7, v89
	v_lshrrev_b32_e32 v92, 3, v35
	v_cmp_gt_u32_e64 s1, 8, v35
	s_delay_alu instid0(VALU_DEP_3) | instskip(NEXT) | instid1(VALU_DEP_2)
	v_dual_mov_b32 v36, v8 :: v_dual_mov_b32 v35, v7
	s_and_saveexec_b32 s24, s1
; %bb.711:                              ;   in Loop: Header=BB352_16 Depth=1
	v_clz_i32_u32_e32 v35, v7
	s_delay_alu instid0(VALU_DEP_1) | instskip(NEXT) | instid1(VALU_DEP_1)
	v_min_u32_e32 v92, 32, v35
	v_subrev_nc_u32_e32 v35, 28, v92
	v_sub_nc_u32_e32 v92, 29, v92
	s_delay_alu instid0(VALU_DEP_2) | instskip(NEXT) | instid1(VALU_DEP_1)
	v_lshlrev_b64 v[35:36], v35, v[7:8]
	v_and_b32_e32 v35, 7, v35
; %bb.712:                              ;   in Loop: Header=BB352_16 Depth=1
	s_or_b32 exec_lo, exec_lo, s24
	v_lshlrev_b32_e32 v7, 8, v89
	v_lshl_add_u32 v36, v92, 10, 0x2000
	s_delay_alu instid0(VALU_DEP_1) | instskip(NEXT) | instid1(VALU_DEP_1)
	v_and_or_b32 v7, 0x8000, v7, v36
	v_lshl_or_b32 v7, v35, 7, v7
	s_delay_alu instid0(VALU_DEP_1)
	v_cvt_f32_f16_e64 v143, v7
.LBB352_713:                            ;   in Loop: Header=BB352_16 Depth=1
	s_or_b32 exec_lo, exec_lo, s23
.LBB352_714:                            ;   in Loop: Header=BB352_16 Depth=1
	s_delay_alu instid0(SALU_CYCLE_1)
	s_or_b32 exec_lo, exec_lo, s22
.LBB352_715:                            ;   in Loop: Header=BB352_16 Depth=1
	s_delay_alu instid0(SALU_CYCLE_1) | instskip(NEXT) | instid1(SALU_CYCLE_1)
	s_or_b32 exec_lo, exec_lo, s21
	s_mov_b32 s21, exec_lo
	v_cmpx_lt_u64_e64 s[8:9], v[33:34]
	s_cbranch_execz .LBB352_723
; %bb.716:                              ;   in Loop: Header=BB352_16 Depth=1
	v_lshrrev_b32_e32 v35, 24, v34
	v_bfrev_b32_e32 v142, 1
	s_mov_b32 s22, exec_lo
	s_delay_alu instid0(VALU_DEP_2)
	v_cmpx_ne_u32_e32 0x80, v35
	s_cbranch_execz .LBB352_722
; %bb.717:                              ;   in Loop: Header=BB352_16 Depth=1
	v_and_b32_e32 v33, 0x7f, v35
	v_mov_b32_e32 v142, 0x7fc02000
	s_mov_b32 s23, exec_lo
	s_delay_alu instid0(VALU_DEP_2)
	v_cmpx_ne_u32_e32 0x7f, v33
	s_cbranch_execz .LBB352_721
; %bb.718:                              ;   in Loop: Header=BB352_16 Depth=1
	v_and_b32_e32 v7, 7, v35
	v_lshrrev_b32_e32 v36, 3, v33
	v_cmp_gt_u32_e64 s1, 8, v33
	s_delay_alu instid0(VALU_DEP_3) | instskip(NEXT) | instid1(VALU_DEP_2)
	v_dual_mov_b32 v34, v8 :: v_dual_mov_b32 v33, v7
	s_and_saveexec_b32 s24, s1
; %bb.719:                              ;   in Loop: Header=BB352_16 Depth=1
	v_clz_i32_u32_e32 v33, v7
	s_delay_alu instid0(VALU_DEP_1) | instskip(NEXT) | instid1(VALU_DEP_1)
	v_min_u32_e32 v36, 32, v33
	v_subrev_nc_u32_e32 v33, 28, v36
	v_sub_nc_u32_e32 v36, 29, v36
	s_delay_alu instid0(VALU_DEP_2) | instskip(NEXT) | instid1(VALU_DEP_1)
	v_lshlrev_b64 v[33:34], v33, v[7:8]
	v_and_b32_e32 v33, 7, v33
; %bb.720:                              ;   in Loop: Header=BB352_16 Depth=1
	s_or_b32 exec_lo, exec_lo, s24
	v_lshlrev_b32_e32 v7, 8, v35
	v_lshl_add_u32 v34, v36, 10, 0x2000
	s_delay_alu instid0(VALU_DEP_1) | instskip(NEXT) | instid1(VALU_DEP_1)
	v_and_or_b32 v7, 0x8000, v7, v34
	v_lshl_or_b32 v7, v33, 7, v7
	s_delay_alu instid0(VALU_DEP_1)
	v_cvt_f32_f16_e64 v142, v7
.LBB352_721:                            ;   in Loop: Header=BB352_16 Depth=1
	s_or_b32 exec_lo, exec_lo, s23
.LBB352_722:                            ;   in Loop: Header=BB352_16 Depth=1
	s_delay_alu instid0(SALU_CYCLE_1)
	s_or_b32 exec_lo, exec_lo, s22
.LBB352_723:                            ;   in Loop: Header=BB352_16 Depth=1
	s_delay_alu instid0(SALU_CYCLE_1)
	s_or_b32 exec_lo, exec_lo, s21
	flat_load_b64 v[33:34], v[31:32] offset:2568
	v_mov_b32_e32 v155, 0
	s_mov_b32 s21, exec_lo
	s_waitcnt vmcnt(0) lgkmcnt(0)
	v_dual_mov_b32 v154, 0 :: v_dual_and_b32 v7, 0xff, v33
	s_delay_alu instid0(VALU_DEP_1)
	v_cmpx_ne_u16_e32 0, v7
	s_cbranch_execz .LBB352_731
; %bb.724:                              ;   in Loop: Header=BB352_16 Depth=1
	v_bfrev_b32_e32 v154, 1
	s_mov_b32 s22, exec_lo
	v_cmpx_ne_u16_e32 0x80, v7
	s_cbranch_execz .LBB352_730
; %bb.725:                              ;   in Loop: Header=BB352_16 Depth=1
	v_and_b32_e32 v35, 0x7f, v33
	v_mov_b32_e32 v154, 0x7fc02000
	s_mov_b32 s23, exec_lo
	s_delay_alu instid0(VALU_DEP_2)
	v_cmpx_ne_u32_e32 0x7f, v35
	s_cbranch_execz .LBB352_729
; %bb.726:                              ;   in Loop: Header=BB352_16 Depth=1
	v_lshrrev_b32_e32 v7, 3, v35
	v_cmp_gt_u32_e64 s1, 8, v35
	v_dual_mov_b32 v36, v34 :: v_dual_mov_b32 v35, v33
	s_delay_alu instid0(VALU_DEP_2)
	s_and_saveexec_b32 s24, s1
; %bb.727:                              ;   in Loop: Header=BB352_16 Depth=1
	v_and_b32_e32 v7, 7, v33
	s_delay_alu instid0(VALU_DEP_1) | instskip(NEXT) | instid1(VALU_DEP_1)
	v_clz_i32_u32_e32 v7, v7
	v_min_u32_e32 v7, 32, v7
	s_delay_alu instid0(VALU_DEP_1) | instskip(SKIP_1) | instid1(VALU_DEP_2)
	v_subrev_nc_u32_e32 v35, 28, v7
	v_sub_nc_u32_e32 v7, 29, v7
	v_lshlrev_b64 v[35:36], v35, v[33:34]
; %bb.728:                              ;   in Loop: Header=BB352_16 Depth=1
	s_or_b32 exec_lo, exec_lo, s24
	v_lshlrev_b32_e32 v36, 8, v33
	s_delay_alu instid0(VALU_DEP_3) | instskip(NEXT) | instid1(VALU_DEP_3)
	v_lshl_add_u32 v7, v7, 10, 0x2000
	v_lshlrev_b32_e32 v35, 7, v35
	s_delay_alu instid0(VALU_DEP_2) | instskip(NEXT) | instid1(VALU_DEP_1)
	v_and_or_b32 v7, 0x8000, v36, v7
	v_and_or_b32 v7, 0x380, v35, v7
	s_delay_alu instid0(VALU_DEP_1)
	v_cvt_f32_f16_e64 v154, v7
.LBB352_729:                            ;   in Loop: Header=BB352_16 Depth=1
	s_or_b32 exec_lo, exec_lo, s23
.LBB352_730:                            ;   in Loop: Header=BB352_16 Depth=1
	s_delay_alu instid0(SALU_CYCLE_1)
	s_or_b32 exec_lo, exec_lo, s22
.LBB352_731:                            ;   in Loop: Header=BB352_16 Depth=1
	s_delay_alu instid0(SALU_CYCLE_1) | instskip(SKIP_2) | instid1(VALU_DEP_1)
	s_or_b32 exec_lo, exec_lo, s21
	v_lshrrev_b16 v7, 8, v33
	s_mov_b32 s21, exec_lo
	v_cmpx_ne_u16_e32 0, v7
	s_cbranch_execz .LBB352_739
; %bb.732:                              ;   in Loop: Header=BB352_16 Depth=1
	v_bfrev_b32_e32 v155, 1
	s_mov_b32 s22, exec_lo
	v_cmpx_ne_u16_e32 0x80, v7
	s_cbranch_execz .LBB352_738
; %bb.733:                              ;   in Loop: Header=BB352_16 Depth=1
	v_and_b32_e32 v89, 0xffff, v7
	v_mov_b32_e32 v155, 0x7fc02000
	s_mov_b32 s23, exec_lo
	s_delay_alu instid0(VALU_DEP_2) | instskip(NEXT) | instid1(VALU_DEP_1)
	v_and_b32_e32 v35, 0x7f, v89
	v_cmpx_ne_u32_e32 0x7f, v35
	s_cbranch_execz .LBB352_737
; %bb.734:                              ;   in Loop: Header=BB352_16 Depth=1
	v_and_b32_e32 v7, 7, v89
	v_lshrrev_b32_e32 v92, 3, v35
	v_cmp_gt_u32_e64 s1, 8, v35
	s_delay_alu instid0(VALU_DEP_3) | instskip(NEXT) | instid1(VALU_DEP_2)
	v_dual_mov_b32 v36, v8 :: v_dual_mov_b32 v35, v7
	s_and_saveexec_b32 s24, s1
; %bb.735:                              ;   in Loop: Header=BB352_16 Depth=1
	v_clz_i32_u32_e32 v35, v7
	s_delay_alu instid0(VALU_DEP_1) | instskip(NEXT) | instid1(VALU_DEP_1)
	v_min_u32_e32 v92, 32, v35
	v_subrev_nc_u32_e32 v35, 28, v92
	v_sub_nc_u32_e32 v92, 29, v92
	s_delay_alu instid0(VALU_DEP_2) | instskip(NEXT) | instid1(VALU_DEP_1)
	v_lshlrev_b64 v[35:36], v35, v[7:8]
	v_and_b32_e32 v35, 7, v35
; %bb.736:                              ;   in Loop: Header=BB352_16 Depth=1
	s_or_b32 exec_lo, exec_lo, s24
	v_lshlrev_b32_e32 v7, 8, v89
	v_lshl_add_u32 v36, v92, 10, 0x2000
	s_delay_alu instid0(VALU_DEP_1) | instskip(NEXT) | instid1(VALU_DEP_1)
	v_and_or_b32 v7, 0x8000, v7, v36
	v_lshl_or_b32 v7, v35, 7, v7
	s_delay_alu instid0(VALU_DEP_1)
	v_cvt_f32_f16_e64 v155, v7
.LBB352_737:                            ;   in Loop: Header=BB352_16 Depth=1
	s_or_b32 exec_lo, exec_lo, s23
.LBB352_738:                            ;   in Loop: Header=BB352_16 Depth=1
	s_delay_alu instid0(SALU_CYCLE_1)
	s_or_b32 exec_lo, exec_lo, s22
.LBB352_739:                            ;   in Loop: Header=BB352_16 Depth=1
	s_delay_alu instid0(SALU_CYCLE_1) | instskip(SKIP_3) | instid1(VALU_DEP_2)
	s_or_b32 exec_lo, exec_lo, s21
	v_lshrrev_b32_e32 v89, 16, v33
	v_mov_b32_e32 v157, 0
	s_mov_b32 s21, exec_lo
	v_dual_mov_b32 v156, 0 :: v_dual_and_b32 v7, 0xff, v89
	s_delay_alu instid0(VALU_DEP_1)
	v_cmpx_ne_u16_e32 0, v7
	s_cbranch_execz .LBB352_747
; %bb.740:                              ;   in Loop: Header=BB352_16 Depth=1
	v_bfrev_b32_e32 v156, 1
	s_mov_b32 s22, exec_lo
	v_cmpx_ne_u16_e32 0x80, v7
	s_cbranch_execz .LBB352_746
; %bb.741:                              ;   in Loop: Header=BB352_16 Depth=1
	v_bfe_u32 v35, v33, 16, 7
	v_mov_b32_e32 v156, 0x7fc02000
	s_mov_b32 s23, exec_lo
	s_delay_alu instid0(VALU_DEP_2)
	v_cmpx_ne_u32_e32 0x7f, v35
	s_cbranch_execz .LBB352_745
; %bb.742:                              ;   in Loop: Header=BB352_16 Depth=1
	v_and_b32_e32 v7, 7, v89
	v_lshrrev_b32_e32 v92, 3, v35
	v_cmp_gt_u32_e64 s1, 8, v35
	s_delay_alu instid0(VALU_DEP_3) | instskip(NEXT) | instid1(VALU_DEP_2)
	v_dual_mov_b32 v36, v8 :: v_dual_mov_b32 v35, v7
	s_and_saveexec_b32 s24, s1
; %bb.743:                              ;   in Loop: Header=BB352_16 Depth=1
	v_clz_i32_u32_e32 v35, v7
	s_delay_alu instid0(VALU_DEP_1) | instskip(NEXT) | instid1(VALU_DEP_1)
	v_min_u32_e32 v92, 32, v35
	v_subrev_nc_u32_e32 v35, 28, v92
	v_sub_nc_u32_e32 v92, 29, v92
	s_delay_alu instid0(VALU_DEP_2) | instskip(NEXT) | instid1(VALU_DEP_1)
	v_lshlrev_b64 v[35:36], v35, v[7:8]
	v_and_b32_e32 v35, 7, v35
; %bb.744:                              ;   in Loop: Header=BB352_16 Depth=1
	s_or_b32 exec_lo, exec_lo, s24
	v_lshlrev_b32_e32 v7, 8, v89
	v_lshl_add_u32 v36, v92, 10, 0x2000
	s_delay_alu instid0(VALU_DEP_1) | instskip(NEXT) | instid1(VALU_DEP_1)
	v_and_or_b32 v7, 0x8000, v7, v36
	v_lshl_or_b32 v7, v35, 7, v7
	s_delay_alu instid0(VALU_DEP_1)
	v_cvt_f32_f16_e64 v156, v7
.LBB352_745:                            ;   in Loop: Header=BB352_16 Depth=1
	s_or_b32 exec_lo, exec_lo, s23
.LBB352_746:                            ;   in Loop: Header=BB352_16 Depth=1
	s_delay_alu instid0(SALU_CYCLE_1)
	s_or_b32 exec_lo, exec_lo, s22
.LBB352_747:                            ;   in Loop: Header=BB352_16 Depth=1
	s_delay_alu instid0(SALU_CYCLE_1) | instskip(NEXT) | instid1(SALU_CYCLE_1)
	s_or_b32 exec_lo, exec_lo, s21
	s_mov_b32 s21, exec_lo
	v_cmpx_lt_u32_e32 0xffffff, v33
	s_cbranch_execz .LBB352_755
; %bb.748:                              ;   in Loop: Header=BB352_16 Depth=1
	v_lshrrev_b32_e32 v89, 24, v33
	v_bfrev_b32_e32 v157, 1
	s_mov_b32 s22, exec_lo
	s_delay_alu instid0(VALU_DEP_2)
	v_cmpx_ne_u32_e32 0x80, v89
	s_cbranch_execz .LBB352_754
; %bb.749:                              ;   in Loop: Header=BB352_16 Depth=1
	v_and_b32_e32 v35, 0x7f, v89
	v_mov_b32_e32 v157, 0x7fc02000
	s_mov_b32 s23, exec_lo
	s_delay_alu instid0(VALU_DEP_2)
	v_cmpx_ne_u32_e32 0x7f, v35
	s_cbranch_execz .LBB352_753
; %bb.750:                              ;   in Loop: Header=BB352_16 Depth=1
	v_and_b32_e32 v7, 7, v89
	v_lshrrev_b32_e32 v92, 3, v35
	v_cmp_gt_u32_e64 s1, 8, v35
	s_delay_alu instid0(VALU_DEP_3) | instskip(NEXT) | instid1(VALU_DEP_2)
	v_dual_mov_b32 v36, v8 :: v_dual_mov_b32 v35, v7
	s_and_saveexec_b32 s24, s1
; %bb.751:                              ;   in Loop: Header=BB352_16 Depth=1
	v_clz_i32_u32_e32 v35, v7
	s_delay_alu instid0(VALU_DEP_1) | instskip(NEXT) | instid1(VALU_DEP_1)
	v_min_u32_e32 v92, 32, v35
	v_subrev_nc_u32_e32 v35, 28, v92
	v_sub_nc_u32_e32 v92, 29, v92
	s_delay_alu instid0(VALU_DEP_2) | instskip(NEXT) | instid1(VALU_DEP_1)
	v_lshlrev_b64 v[35:36], v35, v[7:8]
	v_and_b32_e32 v35, 7, v35
; %bb.752:                              ;   in Loop: Header=BB352_16 Depth=1
	s_or_b32 exec_lo, exec_lo, s24
	v_lshlrev_b32_e32 v7, 8, v89
	v_lshl_add_u32 v36, v92, 10, 0x2000
	s_delay_alu instid0(VALU_DEP_1) | instskip(NEXT) | instid1(VALU_DEP_1)
	v_and_or_b32 v7, 0x8000, v7, v36
	v_lshl_or_b32 v7, v35, 7, v7
	s_delay_alu instid0(VALU_DEP_1)
	v_cvt_f32_f16_e64 v157, v7
.LBB352_753:                            ;   in Loop: Header=BB352_16 Depth=1
	s_or_b32 exec_lo, exec_lo, s23
.LBB352_754:                            ;   in Loop: Header=BB352_16 Depth=1
	s_delay_alu instid0(SALU_CYCLE_1)
	s_or_b32 exec_lo, exec_lo, s22
.LBB352_755:                            ;   in Loop: Header=BB352_16 Depth=1
	s_delay_alu instid0(SALU_CYCLE_1) | instskip(SKIP_4) | instid1(VALU_DEP_3)
	s_or_b32 exec_lo, exec_lo, s21
	v_dual_mov_b32 v170, 0 :: v_dual_and_b32 v35, 0xff, v34
	v_mov_b32_e32 v7, v34
	v_mov_b32_e32 v171, 0
	s_mov_b32 s21, exec_lo
	v_cmpx_ne_u16_e32 0, v35
	s_cbranch_execz .LBB352_763
; %bb.756:                              ;   in Loop: Header=BB352_16 Depth=1
	v_bfrev_b32_e32 v170, 1
	s_mov_b32 s22, exec_lo
	v_cmpx_ne_u16_e32 0x80, v35
	s_cbranch_execz .LBB352_762
; %bb.757:                              ;   in Loop: Header=BB352_16 Depth=1
	v_and_b32_e32 v35, 0x7f, v34
	v_mov_b32_e32 v170, 0x7fc02000
	s_mov_b32 s23, exec_lo
	s_delay_alu instid0(VALU_DEP_2)
	v_cmpx_ne_u32_e32 0x7f, v35
	s_cbranch_execz .LBB352_761
; %bb.758:                              ;   in Loop: Header=BB352_16 Depth=1
	v_lshrrev_b32_e32 v89, 3, v35
	v_cmp_gt_u32_e64 s1, 8, v35
	v_dual_mov_b32 v36, v8 :: v_dual_mov_b32 v35, v7
	s_delay_alu instid0(VALU_DEP_2)
	s_and_saveexec_b32 s24, s1
; %bb.759:                              ;   in Loop: Header=BB352_16 Depth=1
	v_and_b32_e32 v35, 7, v34
	s_delay_alu instid0(VALU_DEP_1) | instskip(NEXT) | instid1(VALU_DEP_1)
	v_clz_i32_u32_e32 v35, v35
	v_min_u32_e32 v89, 32, v35
	s_delay_alu instid0(VALU_DEP_1) | instskip(SKIP_1) | instid1(VALU_DEP_2)
	v_subrev_nc_u32_e32 v35, 28, v89
	v_sub_nc_u32_e32 v89, 29, v89
	v_lshlrev_b64 v[35:36], v35, v[7:8]
; %bb.760:                              ;   in Loop: Header=BB352_16 Depth=1
	s_or_b32 exec_lo, exec_lo, s24
	v_lshlrev_b32_e32 v36, 8, v34
	s_delay_alu instid0(VALU_DEP_3) | instskip(NEXT) | instid1(VALU_DEP_3)
	v_lshl_add_u32 v89, v89, 10, 0x2000
	v_lshlrev_b32_e32 v35, 7, v35
	s_delay_alu instid0(VALU_DEP_2) | instskip(NEXT) | instid1(VALU_DEP_1)
	v_and_or_b32 v36, 0x8000, v36, v89
	v_and_or_b32 v35, 0x380, v35, v36
	s_delay_alu instid0(VALU_DEP_1)
	v_cvt_f32_f16_e64 v170, v35
.LBB352_761:                            ;   in Loop: Header=BB352_16 Depth=1
	s_or_b32 exec_lo, exec_lo, s23
.LBB352_762:                            ;   in Loop: Header=BB352_16 Depth=1
	s_delay_alu instid0(SALU_CYCLE_1)
	s_or_b32 exec_lo, exec_lo, s22
.LBB352_763:                            ;   in Loop: Header=BB352_16 Depth=1
	s_delay_alu instid0(SALU_CYCLE_1) | instskip(SKIP_2) | instid1(VALU_DEP_1)
	s_or_b32 exec_lo, exec_lo, s21
	v_lshrrev_b16 v7, 8, v7
	s_mov_b32 s21, exec_lo
	v_cmpx_ne_u16_e32 0, v7
	s_cbranch_execz .LBB352_771
; %bb.764:                              ;   in Loop: Header=BB352_16 Depth=1
	v_bfrev_b32_e32 v171, 1
	s_mov_b32 s22, exec_lo
	v_cmpx_ne_u16_e32 0x80, v7
	s_cbranch_execz .LBB352_770
; %bb.765:                              ;   in Loop: Header=BB352_16 Depth=1
	v_and_b32_e32 v89, 0xffff, v7
	v_mov_b32_e32 v171, 0x7fc02000
	s_mov_b32 s23, exec_lo
	s_delay_alu instid0(VALU_DEP_2) | instskip(NEXT) | instid1(VALU_DEP_1)
	v_and_b32_e32 v35, 0x7f, v89
	v_cmpx_ne_u32_e32 0x7f, v35
	s_cbranch_execz .LBB352_769
; %bb.766:                              ;   in Loop: Header=BB352_16 Depth=1
	v_and_b32_e32 v7, 7, v89
	v_lshrrev_b32_e32 v92, 3, v35
	v_cmp_gt_u32_e64 s1, 8, v35
	s_delay_alu instid0(VALU_DEP_3) | instskip(NEXT) | instid1(VALU_DEP_2)
	v_dual_mov_b32 v36, v8 :: v_dual_mov_b32 v35, v7
	s_and_saveexec_b32 s24, s1
; %bb.767:                              ;   in Loop: Header=BB352_16 Depth=1
	v_clz_i32_u32_e32 v35, v7
	s_delay_alu instid0(VALU_DEP_1) | instskip(NEXT) | instid1(VALU_DEP_1)
	v_min_u32_e32 v92, 32, v35
	v_subrev_nc_u32_e32 v35, 28, v92
	v_sub_nc_u32_e32 v92, 29, v92
	s_delay_alu instid0(VALU_DEP_2) | instskip(NEXT) | instid1(VALU_DEP_1)
	v_lshlrev_b64 v[35:36], v35, v[7:8]
	v_and_b32_e32 v35, 7, v35
; %bb.768:                              ;   in Loop: Header=BB352_16 Depth=1
	s_or_b32 exec_lo, exec_lo, s24
	v_lshlrev_b32_e32 v7, 8, v89
	v_lshl_add_u32 v36, v92, 10, 0x2000
	s_delay_alu instid0(VALU_DEP_1) | instskip(NEXT) | instid1(VALU_DEP_1)
	v_and_or_b32 v7, 0x8000, v7, v36
	v_lshl_or_b32 v7, v35, 7, v7
	s_delay_alu instid0(VALU_DEP_1)
	v_cvt_f32_f16_e64 v171, v7
.LBB352_769:                            ;   in Loop: Header=BB352_16 Depth=1
	s_or_b32 exec_lo, exec_lo, s23
.LBB352_770:                            ;   in Loop: Header=BB352_16 Depth=1
	s_delay_alu instid0(SALU_CYCLE_1)
	s_or_b32 exec_lo, exec_lo, s22
.LBB352_771:                            ;   in Loop: Header=BB352_16 Depth=1
	s_delay_alu instid0(SALU_CYCLE_1) | instskip(SKIP_3) | instid1(VALU_DEP_2)
	s_or_b32 exec_lo, exec_lo, s21
	v_lshrrev_b32_e32 v89, 16, v34
	v_mov_b32_e32 v173, 0
	s_mov_b32 s21, exec_lo
	v_dual_mov_b32 v172, 0 :: v_dual_and_b32 v7, 0xff, v89
	s_delay_alu instid0(VALU_DEP_1)
	v_cmpx_ne_u16_e32 0, v7
	s_cbranch_execz .LBB352_779
; %bb.772:                              ;   in Loop: Header=BB352_16 Depth=1
	v_bfrev_b32_e32 v173, 1
	s_mov_b32 s22, exec_lo
	v_cmpx_ne_u16_e32 0x80, v7
	s_cbranch_execz .LBB352_778
; %bb.773:                              ;   in Loop: Header=BB352_16 Depth=1
	v_bfe_u32 v35, v34, 16, 7
	v_mov_b32_e32 v173, 0x7fc02000
	s_mov_b32 s23, exec_lo
	s_delay_alu instid0(VALU_DEP_2)
	v_cmpx_ne_u32_e32 0x7f, v35
	s_cbranch_execz .LBB352_777
; %bb.774:                              ;   in Loop: Header=BB352_16 Depth=1
	v_and_b32_e32 v7, 7, v89
	v_lshrrev_b32_e32 v92, 3, v35
	v_cmp_gt_u32_e64 s1, 8, v35
	s_delay_alu instid0(VALU_DEP_3) | instskip(NEXT) | instid1(VALU_DEP_2)
	v_dual_mov_b32 v36, v8 :: v_dual_mov_b32 v35, v7
	s_and_saveexec_b32 s24, s1
; %bb.775:                              ;   in Loop: Header=BB352_16 Depth=1
	v_clz_i32_u32_e32 v35, v7
	s_delay_alu instid0(VALU_DEP_1) | instskip(NEXT) | instid1(VALU_DEP_1)
	v_min_u32_e32 v92, 32, v35
	v_subrev_nc_u32_e32 v35, 28, v92
	v_sub_nc_u32_e32 v92, 29, v92
	s_delay_alu instid0(VALU_DEP_2) | instskip(NEXT) | instid1(VALU_DEP_1)
	v_lshlrev_b64 v[35:36], v35, v[7:8]
	v_and_b32_e32 v35, 7, v35
; %bb.776:                              ;   in Loop: Header=BB352_16 Depth=1
	s_or_b32 exec_lo, exec_lo, s24
	v_lshlrev_b32_e32 v7, 8, v89
	v_lshl_add_u32 v36, v92, 10, 0x2000
	s_delay_alu instid0(VALU_DEP_1) | instskip(NEXT) | instid1(VALU_DEP_1)
	v_and_or_b32 v7, 0x8000, v7, v36
	v_lshl_or_b32 v7, v35, 7, v7
	s_delay_alu instid0(VALU_DEP_1)
	v_cvt_f32_f16_e64 v173, v7
.LBB352_777:                            ;   in Loop: Header=BB352_16 Depth=1
	s_or_b32 exec_lo, exec_lo, s23
.LBB352_778:                            ;   in Loop: Header=BB352_16 Depth=1
	s_delay_alu instid0(SALU_CYCLE_1)
	s_or_b32 exec_lo, exec_lo, s22
.LBB352_779:                            ;   in Loop: Header=BB352_16 Depth=1
	s_delay_alu instid0(SALU_CYCLE_1) | instskip(NEXT) | instid1(SALU_CYCLE_1)
	s_or_b32 exec_lo, exec_lo, s21
	s_mov_b32 s21, exec_lo
	v_cmpx_lt_u64_e64 s[8:9], v[33:34]
	s_cbranch_execz .LBB352_787
; %bb.780:                              ;   in Loop: Header=BB352_16 Depth=1
	v_lshrrev_b32_e32 v35, 24, v34
	v_bfrev_b32_e32 v172, 1
	s_mov_b32 s22, exec_lo
	s_delay_alu instid0(VALU_DEP_2)
	v_cmpx_ne_u32_e32 0x80, v35
	s_cbranch_execz .LBB352_786
; %bb.781:                              ;   in Loop: Header=BB352_16 Depth=1
	v_and_b32_e32 v33, 0x7f, v35
	v_mov_b32_e32 v172, 0x7fc02000
	s_mov_b32 s23, exec_lo
	s_delay_alu instid0(VALU_DEP_2)
	v_cmpx_ne_u32_e32 0x7f, v33
	s_cbranch_execz .LBB352_785
; %bb.782:                              ;   in Loop: Header=BB352_16 Depth=1
	v_and_b32_e32 v7, 7, v35
	v_lshrrev_b32_e32 v36, 3, v33
	v_cmp_gt_u32_e64 s1, 8, v33
	s_delay_alu instid0(VALU_DEP_3) | instskip(NEXT) | instid1(VALU_DEP_2)
	v_dual_mov_b32 v34, v8 :: v_dual_mov_b32 v33, v7
	s_and_saveexec_b32 s24, s1
; %bb.783:                              ;   in Loop: Header=BB352_16 Depth=1
	v_clz_i32_u32_e32 v33, v7
	s_delay_alu instid0(VALU_DEP_1) | instskip(NEXT) | instid1(VALU_DEP_1)
	v_min_u32_e32 v36, 32, v33
	v_subrev_nc_u32_e32 v33, 28, v36
	v_sub_nc_u32_e32 v36, 29, v36
	s_delay_alu instid0(VALU_DEP_2) | instskip(NEXT) | instid1(VALU_DEP_1)
	v_lshlrev_b64 v[33:34], v33, v[7:8]
	v_and_b32_e32 v33, 7, v33
; %bb.784:                              ;   in Loop: Header=BB352_16 Depth=1
	s_or_b32 exec_lo, exec_lo, s24
	v_lshlrev_b32_e32 v7, 8, v35
	v_lshl_add_u32 v34, v36, 10, 0x2000
	s_delay_alu instid0(VALU_DEP_1) | instskip(NEXT) | instid1(VALU_DEP_1)
	v_and_or_b32 v7, 0x8000, v7, v34
	v_lshl_or_b32 v7, v33, 7, v7
	s_delay_alu instid0(VALU_DEP_1)
	v_cvt_f32_f16_e64 v172, v7
.LBB352_785:                            ;   in Loop: Header=BB352_16 Depth=1
	s_or_b32 exec_lo, exec_lo, s23
.LBB352_786:                            ;   in Loop: Header=BB352_16 Depth=1
	s_delay_alu instid0(SALU_CYCLE_1)
	s_or_b32 exec_lo, exec_lo, s22
.LBB352_787:                            ;   in Loop: Header=BB352_16 Depth=1
	s_delay_alu instid0(SALU_CYCLE_1)
	s_or_b32 exec_lo, exec_lo, s21
	flat_load_b64 v[33:34], v[31:32] offset:3072
	v_mov_b32_e32 v127, 0
	s_mov_b32 s21, exec_lo
	s_waitcnt vmcnt(0) lgkmcnt(0)
	v_dual_mov_b32 v126, 0 :: v_dual_and_b32 v7, 0xff, v33
	s_delay_alu instid0(VALU_DEP_1)
	v_cmpx_ne_u16_e32 0, v7
	s_cbranch_execz .LBB352_795
; %bb.788:                              ;   in Loop: Header=BB352_16 Depth=1
	v_bfrev_b32_e32 v126, 1
	s_mov_b32 s22, exec_lo
	v_cmpx_ne_u16_e32 0x80, v7
	s_cbranch_execz .LBB352_794
; %bb.789:                              ;   in Loop: Header=BB352_16 Depth=1
	v_and_b32_e32 v35, 0x7f, v33
	v_mov_b32_e32 v126, 0x7fc02000
	s_mov_b32 s23, exec_lo
	s_delay_alu instid0(VALU_DEP_2)
	v_cmpx_ne_u32_e32 0x7f, v35
	s_cbranch_execz .LBB352_793
; %bb.790:                              ;   in Loop: Header=BB352_16 Depth=1
	v_lshrrev_b32_e32 v7, 3, v35
	v_cmp_gt_u32_e64 s1, 8, v35
	v_dual_mov_b32 v36, v34 :: v_dual_mov_b32 v35, v33
	s_delay_alu instid0(VALU_DEP_2)
	s_and_saveexec_b32 s24, s1
; %bb.791:                              ;   in Loop: Header=BB352_16 Depth=1
	v_and_b32_e32 v7, 7, v33
	s_delay_alu instid0(VALU_DEP_1) | instskip(NEXT) | instid1(VALU_DEP_1)
	v_clz_i32_u32_e32 v7, v7
	v_min_u32_e32 v7, 32, v7
	s_delay_alu instid0(VALU_DEP_1) | instskip(SKIP_1) | instid1(VALU_DEP_2)
	v_subrev_nc_u32_e32 v35, 28, v7
	v_sub_nc_u32_e32 v7, 29, v7
	v_lshlrev_b64 v[35:36], v35, v[33:34]
; %bb.792:                              ;   in Loop: Header=BB352_16 Depth=1
	s_or_b32 exec_lo, exec_lo, s24
	v_lshlrev_b32_e32 v36, 8, v33
	s_delay_alu instid0(VALU_DEP_3) | instskip(NEXT) | instid1(VALU_DEP_3)
	v_lshl_add_u32 v7, v7, 10, 0x2000
	v_lshlrev_b32_e32 v35, 7, v35
	s_delay_alu instid0(VALU_DEP_2) | instskip(NEXT) | instid1(VALU_DEP_1)
	v_and_or_b32 v7, 0x8000, v36, v7
	v_and_or_b32 v7, 0x380, v35, v7
	s_delay_alu instid0(VALU_DEP_1)
	v_cvt_f32_f16_e32 v126, v7
.LBB352_793:                            ;   in Loop: Header=BB352_16 Depth=1
	s_or_b32 exec_lo, exec_lo, s23
.LBB352_794:                            ;   in Loop: Header=BB352_16 Depth=1
	s_delay_alu instid0(SALU_CYCLE_1)
	s_or_b32 exec_lo, exec_lo, s22
.LBB352_795:                            ;   in Loop: Header=BB352_16 Depth=1
	s_delay_alu instid0(SALU_CYCLE_1) | instskip(SKIP_2) | instid1(VALU_DEP_1)
	s_or_b32 exec_lo, exec_lo, s21
	v_lshrrev_b16 v7, 8, v33
	s_mov_b32 s21, exec_lo
	v_cmpx_ne_u16_e32 0, v7
	s_cbranch_execz .LBB352_803
; %bb.796:                              ;   in Loop: Header=BB352_16 Depth=1
	v_bfrev_b32_e32 v127, 1
	s_mov_b32 s22, exec_lo
	v_cmpx_ne_u16_e32 0x80, v7
	s_cbranch_execz .LBB352_802
; %bb.797:                              ;   in Loop: Header=BB352_16 Depth=1
	v_and_b32_e32 v89, 0xffff, v7
	v_mov_b32_e32 v127, 0x7fc02000
	s_mov_b32 s23, exec_lo
	s_delay_alu instid0(VALU_DEP_2) | instskip(NEXT) | instid1(VALU_DEP_1)
	v_and_b32_e32 v35, 0x7f, v89
	v_cmpx_ne_u32_e32 0x7f, v35
	s_cbranch_execz .LBB352_801
; %bb.798:                              ;   in Loop: Header=BB352_16 Depth=1
	v_and_b32_e32 v7, 7, v89
	v_lshrrev_b32_e32 v92, 3, v35
	v_cmp_gt_u32_e64 s1, 8, v35
	s_delay_alu instid0(VALU_DEP_3) | instskip(NEXT) | instid1(VALU_DEP_2)
	v_dual_mov_b32 v36, v8 :: v_dual_mov_b32 v35, v7
	s_and_saveexec_b32 s24, s1
; %bb.799:                              ;   in Loop: Header=BB352_16 Depth=1
	v_clz_i32_u32_e32 v35, v7
	s_delay_alu instid0(VALU_DEP_1) | instskip(NEXT) | instid1(VALU_DEP_1)
	v_min_u32_e32 v92, 32, v35
	v_subrev_nc_u32_e32 v35, 28, v92
	v_sub_nc_u32_e32 v92, 29, v92
	s_delay_alu instid0(VALU_DEP_2) | instskip(NEXT) | instid1(VALU_DEP_1)
	v_lshlrev_b64 v[35:36], v35, v[7:8]
	v_and_b32_e32 v35, 7, v35
; %bb.800:                              ;   in Loop: Header=BB352_16 Depth=1
	s_or_b32 exec_lo, exec_lo, s24
	v_lshlrev_b32_e32 v7, 8, v89
	v_lshl_add_u32 v36, v92, 10, 0x2000
	s_delay_alu instid0(VALU_DEP_1) | instskip(NEXT) | instid1(VALU_DEP_1)
	v_and_or_b32 v7, 0x8000, v7, v36
	v_lshl_or_b32 v7, v35, 7, v7
	s_delay_alu instid0(VALU_DEP_1)
	v_cvt_f32_f16_e32 v127, v7
.LBB352_801:                            ;   in Loop: Header=BB352_16 Depth=1
	s_or_b32 exec_lo, exec_lo, s23
.LBB352_802:                            ;   in Loop: Header=BB352_16 Depth=1
	s_delay_alu instid0(SALU_CYCLE_1)
	s_or_b32 exec_lo, exec_lo, s22
.LBB352_803:                            ;   in Loop: Header=BB352_16 Depth=1
	s_delay_alu instid0(SALU_CYCLE_1) | instskip(SKIP_3) | instid1(VALU_DEP_2)
	s_or_b32 exec_lo, exec_lo, s21
	v_lshrrev_b32_e32 v89, 16, v33
	v_mov_b32_e32 v139, 0
	s_mov_b32 s21, exec_lo
	v_dual_mov_b32 v138, 0 :: v_dual_and_b32 v7, 0xff, v89
	s_delay_alu instid0(VALU_DEP_1)
	v_cmpx_ne_u16_e32 0, v7
	s_cbranch_execz .LBB352_811
; %bb.804:                              ;   in Loop: Header=BB352_16 Depth=1
	v_bfrev_b32_e32 v138, 1
	s_mov_b32 s22, exec_lo
	v_cmpx_ne_u16_e32 0x80, v7
	s_cbranch_execz .LBB352_810
; %bb.805:                              ;   in Loop: Header=BB352_16 Depth=1
	v_bfe_u32 v35, v33, 16, 7
	v_mov_b32_e32 v138, 0x7fc02000
	s_mov_b32 s23, exec_lo
	s_delay_alu instid0(VALU_DEP_2)
	v_cmpx_ne_u32_e32 0x7f, v35
	s_cbranch_execz .LBB352_809
; %bb.806:                              ;   in Loop: Header=BB352_16 Depth=1
	v_and_b32_e32 v7, 7, v89
	v_lshrrev_b32_e32 v92, 3, v35
	v_cmp_gt_u32_e64 s1, 8, v35
	s_delay_alu instid0(VALU_DEP_3) | instskip(NEXT) | instid1(VALU_DEP_2)
	v_dual_mov_b32 v36, v8 :: v_dual_mov_b32 v35, v7
	s_and_saveexec_b32 s24, s1
; %bb.807:                              ;   in Loop: Header=BB352_16 Depth=1
	v_clz_i32_u32_e32 v35, v7
	s_delay_alu instid0(VALU_DEP_1) | instskip(NEXT) | instid1(VALU_DEP_1)
	v_min_u32_e32 v92, 32, v35
	v_subrev_nc_u32_e32 v35, 28, v92
	v_sub_nc_u32_e32 v92, 29, v92
	s_delay_alu instid0(VALU_DEP_2) | instskip(NEXT) | instid1(VALU_DEP_1)
	v_lshlrev_b64 v[35:36], v35, v[7:8]
	v_and_b32_e32 v35, 7, v35
; %bb.808:                              ;   in Loop: Header=BB352_16 Depth=1
	s_or_b32 exec_lo, exec_lo, s24
	v_lshlrev_b32_e32 v7, 8, v89
	v_lshl_add_u32 v36, v92, 10, 0x2000
	s_delay_alu instid0(VALU_DEP_1) | instskip(NEXT) | instid1(VALU_DEP_1)
	v_and_or_b32 v7, 0x8000, v7, v36
	v_lshl_or_b32 v7, v35, 7, v7
	s_delay_alu instid0(VALU_DEP_1)
	v_cvt_f32_f16_e64 v138, v7
.LBB352_809:                            ;   in Loop: Header=BB352_16 Depth=1
	s_or_b32 exec_lo, exec_lo, s23
.LBB352_810:                            ;   in Loop: Header=BB352_16 Depth=1
	s_delay_alu instid0(SALU_CYCLE_1)
	s_or_b32 exec_lo, exec_lo, s22
.LBB352_811:                            ;   in Loop: Header=BB352_16 Depth=1
	s_delay_alu instid0(SALU_CYCLE_1) | instskip(NEXT) | instid1(SALU_CYCLE_1)
	s_or_b32 exec_lo, exec_lo, s21
	s_mov_b32 s21, exec_lo
	v_cmpx_lt_u32_e32 0xffffff, v33
	s_cbranch_execz .LBB352_819
; %bb.812:                              ;   in Loop: Header=BB352_16 Depth=1
	v_lshrrev_b32_e32 v89, 24, v33
	v_bfrev_b32_e32 v139, 1
	s_mov_b32 s22, exec_lo
	s_delay_alu instid0(VALU_DEP_2)
	v_cmpx_ne_u32_e32 0x80, v89
	s_cbranch_execz .LBB352_818
; %bb.813:                              ;   in Loop: Header=BB352_16 Depth=1
	v_and_b32_e32 v35, 0x7f, v89
	v_mov_b32_e32 v139, 0x7fc02000
	s_mov_b32 s23, exec_lo
	s_delay_alu instid0(VALU_DEP_2)
	v_cmpx_ne_u32_e32 0x7f, v35
	s_cbranch_execz .LBB352_817
; %bb.814:                              ;   in Loop: Header=BB352_16 Depth=1
	v_and_b32_e32 v7, 7, v89
	v_lshrrev_b32_e32 v92, 3, v35
	v_cmp_gt_u32_e64 s1, 8, v35
	s_delay_alu instid0(VALU_DEP_3) | instskip(NEXT) | instid1(VALU_DEP_2)
	v_dual_mov_b32 v36, v8 :: v_dual_mov_b32 v35, v7
	s_and_saveexec_b32 s24, s1
; %bb.815:                              ;   in Loop: Header=BB352_16 Depth=1
	v_clz_i32_u32_e32 v35, v7
	s_delay_alu instid0(VALU_DEP_1) | instskip(NEXT) | instid1(VALU_DEP_1)
	v_min_u32_e32 v92, 32, v35
	v_subrev_nc_u32_e32 v35, 28, v92
	v_sub_nc_u32_e32 v92, 29, v92
	s_delay_alu instid0(VALU_DEP_2) | instskip(NEXT) | instid1(VALU_DEP_1)
	v_lshlrev_b64 v[35:36], v35, v[7:8]
	v_and_b32_e32 v35, 7, v35
; %bb.816:                              ;   in Loop: Header=BB352_16 Depth=1
	s_or_b32 exec_lo, exec_lo, s24
	v_lshlrev_b32_e32 v7, 8, v89
	v_lshl_add_u32 v36, v92, 10, 0x2000
	s_delay_alu instid0(VALU_DEP_1) | instskip(NEXT) | instid1(VALU_DEP_1)
	v_and_or_b32 v7, 0x8000, v7, v36
	v_lshl_or_b32 v7, v35, 7, v7
	s_delay_alu instid0(VALU_DEP_1)
	v_cvt_f32_f16_e64 v139, v7
.LBB352_817:                            ;   in Loop: Header=BB352_16 Depth=1
	s_or_b32 exec_lo, exec_lo, s23
.LBB352_818:                            ;   in Loop: Header=BB352_16 Depth=1
	s_delay_alu instid0(SALU_CYCLE_1)
	s_or_b32 exec_lo, exec_lo, s22
.LBB352_819:                            ;   in Loop: Header=BB352_16 Depth=1
	s_delay_alu instid0(SALU_CYCLE_1) | instskip(SKIP_4) | instid1(VALU_DEP_3)
	s_or_b32 exec_lo, exec_lo, s21
	v_dual_mov_b32 v158, 0 :: v_dual_and_b32 v35, 0xff, v34
	v_mov_b32_e32 v7, v34
	v_mov_b32_e32 v159, 0
	s_mov_b32 s21, exec_lo
	v_cmpx_ne_u16_e32 0, v35
	s_cbranch_execz .LBB352_827
; %bb.820:                              ;   in Loop: Header=BB352_16 Depth=1
	v_bfrev_b32_e32 v158, 1
	s_mov_b32 s22, exec_lo
	v_cmpx_ne_u16_e32 0x80, v35
	s_cbranch_execz .LBB352_826
; %bb.821:                              ;   in Loop: Header=BB352_16 Depth=1
	v_and_b32_e32 v35, 0x7f, v34
	v_mov_b32_e32 v158, 0x7fc02000
	s_mov_b32 s23, exec_lo
	s_delay_alu instid0(VALU_DEP_2)
	v_cmpx_ne_u32_e32 0x7f, v35
	s_cbranch_execz .LBB352_825
; %bb.822:                              ;   in Loop: Header=BB352_16 Depth=1
	v_lshrrev_b32_e32 v89, 3, v35
	v_cmp_gt_u32_e64 s1, 8, v35
	v_dual_mov_b32 v36, v8 :: v_dual_mov_b32 v35, v7
	s_delay_alu instid0(VALU_DEP_2)
	s_and_saveexec_b32 s24, s1
; %bb.823:                              ;   in Loop: Header=BB352_16 Depth=1
	v_and_b32_e32 v35, 7, v34
	s_delay_alu instid0(VALU_DEP_1) | instskip(NEXT) | instid1(VALU_DEP_1)
	v_clz_i32_u32_e32 v35, v35
	v_min_u32_e32 v89, 32, v35
	s_delay_alu instid0(VALU_DEP_1) | instskip(SKIP_1) | instid1(VALU_DEP_2)
	v_subrev_nc_u32_e32 v35, 28, v89
	v_sub_nc_u32_e32 v89, 29, v89
	v_lshlrev_b64 v[35:36], v35, v[7:8]
; %bb.824:                              ;   in Loop: Header=BB352_16 Depth=1
	s_or_b32 exec_lo, exec_lo, s24
	v_lshlrev_b32_e32 v36, 8, v34
	s_delay_alu instid0(VALU_DEP_3) | instskip(NEXT) | instid1(VALU_DEP_3)
	v_lshl_add_u32 v89, v89, 10, 0x2000
	v_lshlrev_b32_e32 v35, 7, v35
	s_delay_alu instid0(VALU_DEP_2) | instskip(NEXT) | instid1(VALU_DEP_1)
	v_and_or_b32 v36, 0x8000, v36, v89
	v_and_or_b32 v35, 0x380, v35, v36
	s_delay_alu instid0(VALU_DEP_1)
	v_cvt_f32_f16_e64 v158, v35
.LBB352_825:                            ;   in Loop: Header=BB352_16 Depth=1
	s_or_b32 exec_lo, exec_lo, s23
.LBB352_826:                            ;   in Loop: Header=BB352_16 Depth=1
	s_delay_alu instid0(SALU_CYCLE_1)
	s_or_b32 exec_lo, exec_lo, s22
.LBB352_827:                            ;   in Loop: Header=BB352_16 Depth=1
	s_delay_alu instid0(SALU_CYCLE_1) | instskip(SKIP_2) | instid1(VALU_DEP_1)
	s_or_b32 exec_lo, exec_lo, s21
	v_lshrrev_b16 v7, 8, v7
	s_mov_b32 s21, exec_lo
	v_cmpx_ne_u16_e32 0, v7
	s_cbranch_execz .LBB352_835
; %bb.828:                              ;   in Loop: Header=BB352_16 Depth=1
	v_bfrev_b32_e32 v159, 1
	s_mov_b32 s22, exec_lo
	v_cmpx_ne_u16_e32 0x80, v7
	s_cbranch_execz .LBB352_834
; %bb.829:                              ;   in Loop: Header=BB352_16 Depth=1
	v_and_b32_e32 v89, 0xffff, v7
	v_mov_b32_e32 v159, 0x7fc02000
	s_mov_b32 s23, exec_lo
	s_delay_alu instid0(VALU_DEP_2) | instskip(NEXT) | instid1(VALU_DEP_1)
	v_and_b32_e32 v35, 0x7f, v89
	v_cmpx_ne_u32_e32 0x7f, v35
	s_cbranch_execz .LBB352_833
; %bb.830:                              ;   in Loop: Header=BB352_16 Depth=1
	v_and_b32_e32 v7, 7, v89
	v_lshrrev_b32_e32 v92, 3, v35
	v_cmp_gt_u32_e64 s1, 8, v35
	s_delay_alu instid0(VALU_DEP_3) | instskip(NEXT) | instid1(VALU_DEP_2)
	v_dual_mov_b32 v36, v8 :: v_dual_mov_b32 v35, v7
	s_and_saveexec_b32 s24, s1
; %bb.831:                              ;   in Loop: Header=BB352_16 Depth=1
	v_clz_i32_u32_e32 v35, v7
	s_delay_alu instid0(VALU_DEP_1) | instskip(NEXT) | instid1(VALU_DEP_1)
	v_min_u32_e32 v92, 32, v35
	v_subrev_nc_u32_e32 v35, 28, v92
	v_sub_nc_u32_e32 v92, 29, v92
	s_delay_alu instid0(VALU_DEP_2) | instskip(NEXT) | instid1(VALU_DEP_1)
	v_lshlrev_b64 v[35:36], v35, v[7:8]
	v_and_b32_e32 v35, 7, v35
; %bb.832:                              ;   in Loop: Header=BB352_16 Depth=1
	s_or_b32 exec_lo, exec_lo, s24
	v_lshlrev_b32_e32 v7, 8, v89
	v_lshl_add_u32 v36, v92, 10, 0x2000
	s_delay_alu instid0(VALU_DEP_1) | instskip(NEXT) | instid1(VALU_DEP_1)
	v_and_or_b32 v7, 0x8000, v7, v36
	v_lshl_or_b32 v7, v35, 7, v7
	s_delay_alu instid0(VALU_DEP_1)
	v_cvt_f32_f16_e64 v159, v7
.LBB352_833:                            ;   in Loop: Header=BB352_16 Depth=1
	s_or_b32 exec_lo, exec_lo, s23
.LBB352_834:                            ;   in Loop: Header=BB352_16 Depth=1
	s_delay_alu instid0(SALU_CYCLE_1)
	s_or_b32 exec_lo, exec_lo, s22
.LBB352_835:                            ;   in Loop: Header=BB352_16 Depth=1
	s_delay_alu instid0(SALU_CYCLE_1) | instskip(SKIP_3) | instid1(VALU_DEP_2)
	s_or_b32 exec_lo, exec_lo, s21
	v_lshrrev_b32_e32 v89, 16, v34
	v_mov_b32_e32 v169, 0
	s_mov_b32 s21, exec_lo
	v_dual_mov_b32 v168, 0 :: v_dual_and_b32 v7, 0xff, v89
	s_delay_alu instid0(VALU_DEP_1)
	v_cmpx_ne_u16_e32 0, v7
	s_cbranch_execz .LBB352_843
; %bb.836:                              ;   in Loop: Header=BB352_16 Depth=1
	v_bfrev_b32_e32 v169, 1
	s_mov_b32 s22, exec_lo
	v_cmpx_ne_u16_e32 0x80, v7
	s_cbranch_execz .LBB352_842
; %bb.837:                              ;   in Loop: Header=BB352_16 Depth=1
	v_bfe_u32 v35, v34, 16, 7
	v_mov_b32_e32 v169, 0x7fc02000
	s_mov_b32 s23, exec_lo
	s_delay_alu instid0(VALU_DEP_2)
	v_cmpx_ne_u32_e32 0x7f, v35
	s_cbranch_execz .LBB352_841
; %bb.838:                              ;   in Loop: Header=BB352_16 Depth=1
	v_and_b32_e32 v7, 7, v89
	v_lshrrev_b32_e32 v92, 3, v35
	v_cmp_gt_u32_e64 s1, 8, v35
	s_delay_alu instid0(VALU_DEP_3) | instskip(NEXT) | instid1(VALU_DEP_2)
	v_dual_mov_b32 v36, v8 :: v_dual_mov_b32 v35, v7
	s_and_saveexec_b32 s24, s1
; %bb.839:                              ;   in Loop: Header=BB352_16 Depth=1
	v_clz_i32_u32_e32 v35, v7
	s_delay_alu instid0(VALU_DEP_1) | instskip(NEXT) | instid1(VALU_DEP_1)
	v_min_u32_e32 v92, 32, v35
	v_subrev_nc_u32_e32 v35, 28, v92
	v_sub_nc_u32_e32 v92, 29, v92
	s_delay_alu instid0(VALU_DEP_2) | instskip(NEXT) | instid1(VALU_DEP_1)
	v_lshlrev_b64 v[35:36], v35, v[7:8]
	v_and_b32_e32 v35, 7, v35
; %bb.840:                              ;   in Loop: Header=BB352_16 Depth=1
	s_or_b32 exec_lo, exec_lo, s24
	v_lshlrev_b32_e32 v7, 8, v89
	v_lshl_add_u32 v36, v92, 10, 0x2000
	s_delay_alu instid0(VALU_DEP_1) | instskip(NEXT) | instid1(VALU_DEP_1)
	v_and_or_b32 v7, 0x8000, v7, v36
	v_lshl_or_b32 v7, v35, 7, v7
	s_delay_alu instid0(VALU_DEP_1)
	v_cvt_f32_f16_e64 v169, v7
.LBB352_841:                            ;   in Loop: Header=BB352_16 Depth=1
	s_or_b32 exec_lo, exec_lo, s23
.LBB352_842:                            ;   in Loop: Header=BB352_16 Depth=1
	s_delay_alu instid0(SALU_CYCLE_1)
	s_or_b32 exec_lo, exec_lo, s22
.LBB352_843:                            ;   in Loop: Header=BB352_16 Depth=1
	s_delay_alu instid0(SALU_CYCLE_1) | instskip(NEXT) | instid1(SALU_CYCLE_1)
	s_or_b32 exec_lo, exec_lo, s21
	s_mov_b32 s21, exec_lo
	v_cmpx_lt_u64_e64 s[8:9], v[33:34]
	s_cbranch_execz .LBB352_851
; %bb.844:                              ;   in Loop: Header=BB352_16 Depth=1
	v_lshrrev_b32_e32 v35, 24, v34
	v_bfrev_b32_e32 v168, 1
	s_mov_b32 s22, exec_lo
	s_delay_alu instid0(VALU_DEP_2)
	v_cmpx_ne_u32_e32 0x80, v35
	s_cbranch_execz .LBB352_850
; %bb.845:                              ;   in Loop: Header=BB352_16 Depth=1
	v_and_b32_e32 v89, 0x7f, v35
	v_mov_b32_e32 v168, 0x7fc02000
	s_mov_b32 s23, exec_lo
	s_delay_alu instid0(VALU_DEP_2)
	v_cmpx_ne_u32_e32 0x7f, v89
	s_cbranch_execz .LBB352_849
; %bb.846:                              ;   in Loop: Header=BB352_16 Depth=1
	v_and_b32_e32 v7, 7, v35
	v_lshrrev_b32_e32 v36, 3, v89
	v_mov_b32_e32 v34, v8
	s_mov_b32 s24, exec_lo
	s_delay_alu instid0(VALU_DEP_3)
	v_mov_b32_e32 v33, v7
	v_cmpx_gt_u32_e32 8, v89
; %bb.847:                              ;   in Loop: Header=BB352_16 Depth=1
	v_clz_i32_u32_e32 v33, v7
	s_delay_alu instid0(VALU_DEP_1) | instskip(NEXT) | instid1(VALU_DEP_1)
	v_min_u32_e32 v36, 32, v33
	v_subrev_nc_u32_e32 v33, 28, v36
	v_sub_nc_u32_e32 v36, 29, v36
	s_delay_alu instid0(VALU_DEP_2) | instskip(NEXT) | instid1(VALU_DEP_1)
	v_lshlrev_b64 v[33:34], v33, v[7:8]
	v_and_b32_e32 v33, 7, v33
; %bb.848:                              ;   in Loop: Header=BB352_16 Depth=1
	s_or_b32 exec_lo, exec_lo, s24
	v_lshlrev_b32_e32 v7, 8, v35
	v_lshl_add_u32 v34, v36, 10, 0x2000
	s_delay_alu instid0(VALU_DEP_1) | instskip(NEXT) | instid1(VALU_DEP_1)
	v_and_or_b32 v7, 0x8000, v7, v34
	v_lshl_or_b32 v7, v33, 7, v7
	s_delay_alu instid0(VALU_DEP_1)
	v_cvt_f32_f16_e64 v168, v7
.LBB352_849:                            ;   in Loop: Header=BB352_16 Depth=1
	s_or_b32 exec_lo, exec_lo, s23
.LBB352_850:                            ;   in Loop: Header=BB352_16 Depth=1
	s_delay_alu instid0(SALU_CYCLE_1)
	s_or_b32 exec_lo, exec_lo, s22
.LBB352_851:                            ;   in Loop: Header=BB352_16 Depth=1
	s_delay_alu instid0(SALU_CYCLE_1)
	s_or_b32 exec_lo, exec_lo, s21
	flat_load_b64 v[33:34], v[31:32] offset:3080
	v_mov_b32_e32 v109, 0
	s_mov_b32 s21, exec_lo
	s_waitcnt vmcnt(0) lgkmcnt(0)
	v_dual_mov_b32 v108, 0 :: v_dual_and_b32 v7, 0xff, v33
	s_delay_alu instid0(VALU_DEP_1)
	v_cmpx_ne_u16_e32 0, v7
	s_cbranch_execz .LBB352_859
; %bb.852:                              ;   in Loop: Header=BB352_16 Depth=1
	v_bfrev_b32_e32 v108, 1
	s_mov_b32 s22, exec_lo
	v_cmpx_ne_u16_e32 0x80, v7
	s_cbranch_execz .LBB352_858
; %bb.853:                              ;   in Loop: Header=BB352_16 Depth=1
	v_and_b32_e32 v35, 0x7f, v33
	v_mov_b32_e32 v108, 0x7fc02000
	s_mov_b32 s23, exec_lo
	s_delay_alu instid0(VALU_DEP_2)
	v_cmpx_ne_u32_e32 0x7f, v35
	s_cbranch_execz .LBB352_857
; %bb.854:                              ;   in Loop: Header=BB352_16 Depth=1
	v_lshrrev_b32_e32 v7, 3, v35
	v_cmp_gt_u32_e64 s1, 8, v35
	v_dual_mov_b32 v36, v34 :: v_dual_mov_b32 v35, v33
	s_delay_alu instid0(VALU_DEP_2)
	s_and_saveexec_b32 s24, s1
; %bb.855:                              ;   in Loop: Header=BB352_16 Depth=1
	v_and_b32_e32 v7, 7, v33
	s_delay_alu instid0(VALU_DEP_1) | instskip(NEXT) | instid1(VALU_DEP_1)
	v_clz_i32_u32_e32 v7, v7
	v_min_u32_e32 v7, 32, v7
	s_delay_alu instid0(VALU_DEP_1) | instskip(SKIP_1) | instid1(VALU_DEP_2)
	v_subrev_nc_u32_e32 v35, 28, v7
	v_sub_nc_u32_e32 v7, 29, v7
	v_lshlrev_b64 v[35:36], v35, v[33:34]
; %bb.856:                              ;   in Loop: Header=BB352_16 Depth=1
	s_or_b32 exec_lo, exec_lo, s24
	v_lshlrev_b32_e32 v36, 8, v33
	s_delay_alu instid0(VALU_DEP_3) | instskip(NEXT) | instid1(VALU_DEP_3)
	v_lshl_add_u32 v7, v7, 10, 0x2000
	v_lshlrev_b32_e32 v35, 7, v35
	s_delay_alu instid0(VALU_DEP_2) | instskip(NEXT) | instid1(VALU_DEP_1)
	v_and_or_b32 v7, 0x8000, v36, v7
	v_and_or_b32 v7, 0x380, v35, v7
	s_delay_alu instid0(VALU_DEP_1)
	v_cvt_f32_f16_e32 v108, v7
.LBB352_857:                            ;   in Loop: Header=BB352_16 Depth=1
	s_or_b32 exec_lo, exec_lo, s23
.LBB352_858:                            ;   in Loop: Header=BB352_16 Depth=1
	s_delay_alu instid0(SALU_CYCLE_1)
	s_or_b32 exec_lo, exec_lo, s22
.LBB352_859:                            ;   in Loop: Header=BB352_16 Depth=1
	s_delay_alu instid0(SALU_CYCLE_1) | instskip(SKIP_2) | instid1(VALU_DEP_1)
	s_or_b32 exec_lo, exec_lo, s21
	v_lshrrev_b16 v7, 8, v33
	s_mov_b32 s21, exec_lo
	v_cmpx_ne_u16_e32 0, v7
	s_cbranch_execz .LBB352_867
; %bb.860:                              ;   in Loop: Header=BB352_16 Depth=1
	v_bfrev_b32_e32 v109, 1
	s_mov_b32 s22, exec_lo
	v_cmpx_ne_u16_e32 0x80, v7
	s_cbranch_execz .LBB352_866
; %bb.861:                              ;   in Loop: Header=BB352_16 Depth=1
	v_and_b32_e32 v89, 0xffff, v7
	v_mov_b32_e32 v109, 0x7fc02000
	s_mov_b32 s23, exec_lo
	s_delay_alu instid0(VALU_DEP_2) | instskip(NEXT) | instid1(VALU_DEP_1)
	v_and_b32_e32 v93, 0x7f, v89
	v_cmpx_ne_u32_e32 0x7f, v93
	s_cbranch_execz .LBB352_865
; %bb.862:                              ;   in Loop: Header=BB352_16 Depth=1
	v_and_b32_e32 v7, 7, v89
	v_lshrrev_b32_e32 v92, 3, v93
	v_mov_b32_e32 v36, v8
	s_mov_b32 s24, exec_lo
	s_delay_alu instid0(VALU_DEP_3)
	v_mov_b32_e32 v35, v7
	v_cmpx_gt_u32_e32 8, v93
; %bb.863:                              ;   in Loop: Header=BB352_16 Depth=1
	v_clz_i32_u32_e32 v35, v7
	s_delay_alu instid0(VALU_DEP_1) | instskip(NEXT) | instid1(VALU_DEP_1)
	v_min_u32_e32 v92, 32, v35
	v_subrev_nc_u32_e32 v35, 28, v92
	v_sub_nc_u32_e32 v92, 29, v92
	s_delay_alu instid0(VALU_DEP_2) | instskip(NEXT) | instid1(VALU_DEP_1)
	v_lshlrev_b64 v[35:36], v35, v[7:8]
	v_and_b32_e32 v35, 7, v35
; %bb.864:                              ;   in Loop: Header=BB352_16 Depth=1
	s_or_b32 exec_lo, exec_lo, s24
	v_lshlrev_b32_e32 v7, 8, v89
	v_lshl_add_u32 v36, v92, 10, 0x2000
	s_delay_alu instid0(VALU_DEP_1) | instskip(NEXT) | instid1(VALU_DEP_1)
	v_and_or_b32 v7, 0x8000, v7, v36
	v_lshl_or_b32 v7, v35, 7, v7
	s_delay_alu instid0(VALU_DEP_1)
	v_cvt_f32_f16_e32 v109, v7
.LBB352_865:                            ;   in Loop: Header=BB352_16 Depth=1
	s_or_b32 exec_lo, exec_lo, s23
.LBB352_866:                            ;   in Loop: Header=BB352_16 Depth=1
	s_delay_alu instid0(SALU_CYCLE_1)
	s_or_b32 exec_lo, exec_lo, s22
.LBB352_867:                            ;   in Loop: Header=BB352_16 Depth=1
	s_delay_alu instid0(SALU_CYCLE_1) | instskip(SKIP_3) | instid1(VALU_DEP_2)
	s_or_b32 exec_lo, exec_lo, s21
	v_lshrrev_b32_e32 v89, 16, v33
	v_mov_b32_e32 v121, 0
	s_mov_b32 s21, exec_lo
	v_dual_mov_b32 v110, 0 :: v_dual_and_b32 v7, 0xff, v89
	s_delay_alu instid0(VALU_DEP_1)
	v_cmpx_ne_u16_e32 0, v7
	s_cbranch_execz .LBB352_875
; %bb.868:                              ;   in Loop: Header=BB352_16 Depth=1
	v_bfrev_b32_e32 v121, 1
	s_mov_b32 s22, exec_lo
	v_cmpx_ne_u16_e32 0x80, v7
	s_cbranch_execz .LBB352_874
; %bb.869:                              ;   in Loop: Header=BB352_16 Depth=1
	v_bfe_u32 v92, v33, 16, 7
	v_mov_b32_e32 v121, 0x7fc02000
	s_mov_b32 s23, exec_lo
	s_delay_alu instid0(VALU_DEP_2)
	v_cmpx_ne_u32_e32 0x7f, v92
	s_cbranch_execz .LBB352_873
; %bb.870:                              ;   in Loop: Header=BB352_16 Depth=1
	v_and_b32_e32 v7, 7, v89
	v_mov_b32_e32 v36, v8
	v_lshrrev_b32_e32 v36, 3, v92
	s_mov_b32 s24, exec_lo
	s_delay_alu instid0(VALU_DEP_3)
	v_mov_b32_e32 v35, v7
	v_cmpx_gt_u32_e32 8, v92
; %bb.871:                              ;   in Loop: Header=BB352_16 Depth=1
	v_clz_i32_u32_e32 v35, v7
	s_delay_alu instid0(VALU_DEP_1) | instskip(NEXT) | instid1(VALU_DEP_1)
	v_min_u32_e32 v92, 32, v35
	v_subrev_nc_u32_e32 v35, 28, v92
	s_delay_alu instid0(VALU_DEP_1) | instskip(SKIP_1) | instid1(VALU_DEP_2)
	v_lshlrev_b64 v[35:36], v35, v[7:8]
	v_sub_nc_u32_e32 v36, 29, v92
	v_and_b32_e32 v35, 7, v35
; %bb.872:                              ;   in Loop: Header=BB352_16 Depth=1
	s_or_b32 exec_lo, exec_lo, s24
	v_lshlrev_b32_e32 v7, 8, v89
	s_delay_alu instid0(VALU_DEP_3) | instskip(NEXT) | instid1(VALU_DEP_1)
	v_lshl_add_u32 v36, v36, 10, 0x2000
	v_and_or_b32 v7, 0x8000, v7, v36
	s_delay_alu instid0(VALU_DEP_1) | instskip(NEXT) | instid1(VALU_DEP_1)
	v_lshl_or_b32 v7, v35, 7, v7
	v_cvt_f32_f16_e32 v121, v7
.LBB352_873:                            ;   in Loop: Header=BB352_16 Depth=1
	s_or_b32 exec_lo, exec_lo, s23
.LBB352_874:                            ;   in Loop: Header=BB352_16 Depth=1
	s_delay_alu instid0(SALU_CYCLE_1)
	s_or_b32 exec_lo, exec_lo, s22
.LBB352_875:                            ;   in Loop: Header=BB352_16 Depth=1
	s_delay_alu instid0(SALU_CYCLE_1) | instskip(NEXT) | instid1(SALU_CYCLE_1)
	s_or_b32 exec_lo, exec_lo, s21
	s_mov_b32 s21, exec_lo
	v_cmpx_lt_u32_e32 0xffffff, v33
	s_cbranch_execz .LBB352_883
; %bb.876:                              ;   in Loop: Header=BB352_16 Depth=1
	v_lshrrev_b32_e32 v89, 24, v33
	v_bfrev_b32_e32 v110, 1
	s_mov_b32 s22, exec_lo
	s_delay_alu instid0(VALU_DEP_2)
	v_cmpx_ne_u32_e32 0x80, v89
	s_cbranch_execz .LBB352_882
; %bb.877:                              ;   in Loop: Header=BB352_16 Depth=1
	v_and_b32_e32 v93, 0x7f, v89
	v_mov_b32_e32 v110, 0x7fc02000
	s_mov_b32 s23, exec_lo
	s_delay_alu instid0(VALU_DEP_2)
	v_cmpx_ne_u32_e32 0x7f, v93
	s_cbranch_execz .LBB352_881
; %bb.878:                              ;   in Loop: Header=BB352_16 Depth=1
	v_and_b32_e32 v7, 7, v89
	v_lshrrev_b32_e32 v92, 3, v93
	v_mov_b32_e32 v36, v8
	s_mov_b32 s24, exec_lo
	s_delay_alu instid0(VALU_DEP_3)
	v_mov_b32_e32 v35, v7
	v_cmpx_gt_u32_e32 8, v93
; %bb.879:                              ;   in Loop: Header=BB352_16 Depth=1
	v_clz_i32_u32_e32 v35, v7
	s_delay_alu instid0(VALU_DEP_1) | instskip(NEXT) | instid1(VALU_DEP_1)
	v_min_u32_e32 v92, 32, v35
	v_subrev_nc_u32_e32 v35, 28, v92
	v_sub_nc_u32_e32 v92, 29, v92
	s_delay_alu instid0(VALU_DEP_2) | instskip(NEXT) | instid1(VALU_DEP_1)
	v_lshlrev_b64 v[35:36], v35, v[7:8]
	v_and_b32_e32 v35, 7, v35
; %bb.880:                              ;   in Loop: Header=BB352_16 Depth=1
	s_or_b32 exec_lo, exec_lo, s24
	v_lshlrev_b32_e32 v7, 8, v89
	v_lshl_add_u32 v36, v92, 10, 0x2000
	s_delay_alu instid0(VALU_DEP_1) | instskip(NEXT) | instid1(VALU_DEP_1)
	v_and_or_b32 v7, 0x8000, v7, v36
	v_lshl_or_b32 v7, v35, 7, v7
	s_delay_alu instid0(VALU_DEP_1)
	v_cvt_f32_f16_e32 v110, v7
.LBB352_881:                            ;   in Loop: Header=BB352_16 Depth=1
	s_or_b32 exec_lo, exec_lo, s23
.LBB352_882:                            ;   in Loop: Header=BB352_16 Depth=1
	s_delay_alu instid0(SALU_CYCLE_1)
	s_or_b32 exec_lo, exec_lo, s22
.LBB352_883:                            ;   in Loop: Header=BB352_16 Depth=1
	s_delay_alu instid0(SALU_CYCLE_1) | instskip(SKIP_4) | instid1(VALU_DEP_3)
	s_or_b32 exec_lo, exec_lo, s21
	v_dual_mov_b32 v140, 0 :: v_dual_and_b32 v35, 0xff, v34
	v_mov_b32_e32 v7, v34
	v_mov_b32_e32 v141, 0
	s_mov_b32 s21, exec_lo
	v_cmpx_ne_u16_e32 0, v35
	s_cbranch_execz .LBB352_891
; %bb.884:                              ;   in Loop: Header=BB352_16 Depth=1
	v_bfrev_b32_e32 v140, 1
	s_mov_b32 s22, exec_lo
	v_cmpx_ne_u16_e32 0x80, v35
	s_cbranch_execz .LBB352_890
; %bb.885:                              ;   in Loop: Header=BB352_16 Depth=1
	v_and_b32_e32 v89, 0x7f, v34
	v_mov_b32_e32 v140, 0x7fc02000
	s_mov_b32 s23, exec_lo
	s_delay_alu instid0(VALU_DEP_2)
	v_cmpx_ne_u32_e32 0x7f, v89
	s_cbranch_execz .LBB352_889
; %bb.886:                              ;   in Loop: Header=BB352_16 Depth=1
	v_dual_mov_b32 v36, v8 :: v_dual_mov_b32 v35, v7
	v_lshrrev_b32_e32 v36, 3, v89
	s_mov_b32 s24, exec_lo
	v_cmpx_gt_u32_e32 8, v89
; %bb.887:                              ;   in Loop: Header=BB352_16 Depth=1
	v_and_b32_e32 v35, 7, v34
	s_delay_alu instid0(VALU_DEP_1) | instskip(NEXT) | instid1(VALU_DEP_1)
	v_clz_i32_u32_e32 v35, v35
	v_min_u32_e32 v89, 32, v35
	s_delay_alu instid0(VALU_DEP_1) | instskip(NEXT) | instid1(VALU_DEP_1)
	v_subrev_nc_u32_e32 v35, 28, v89
	v_lshlrev_b64 v[35:36], v35, v[7:8]
	v_sub_nc_u32_e32 v36, 29, v89
; %bb.888:                              ;   in Loop: Header=BB352_16 Depth=1
	s_or_b32 exec_lo, exec_lo, s24
	v_lshlrev_b32_e32 v89, 8, v34
	s_delay_alu instid0(VALU_DEP_2) | instskip(NEXT) | instid1(VALU_DEP_4)
	v_lshl_add_u32 v36, v36, 10, 0x2000
	v_lshlrev_b32_e32 v35, 7, v35
	s_delay_alu instid0(VALU_DEP_2) | instskip(NEXT) | instid1(VALU_DEP_1)
	v_and_or_b32 v36, 0x8000, v89, v36
	v_and_or_b32 v35, 0x380, v35, v36
	s_delay_alu instid0(VALU_DEP_1)
	v_cvt_f32_f16_e64 v140, v35
.LBB352_889:                            ;   in Loop: Header=BB352_16 Depth=1
	s_or_b32 exec_lo, exec_lo, s23
.LBB352_890:                            ;   in Loop: Header=BB352_16 Depth=1
	s_delay_alu instid0(SALU_CYCLE_1)
	s_or_b32 exec_lo, exec_lo, s22
.LBB352_891:                            ;   in Loop: Header=BB352_16 Depth=1
	s_delay_alu instid0(SALU_CYCLE_1) | instskip(SKIP_2) | instid1(VALU_DEP_1)
	s_or_b32 exec_lo, exec_lo, s21
	v_lshrrev_b16 v7, 8, v7
	s_mov_b32 s21, exec_lo
	v_cmpx_ne_u16_e32 0, v7
	s_cbranch_execz .LBB352_899
; %bb.892:                              ;   in Loop: Header=BB352_16 Depth=1
	v_bfrev_b32_e32 v141, 1
	s_mov_b32 s22, exec_lo
	v_cmpx_ne_u16_e32 0x80, v7
	s_cbranch_execz .LBB352_898
; %bb.893:                              ;   in Loop: Header=BB352_16 Depth=1
	v_and_b32_e32 v89, 0xffff, v7
	v_mov_b32_e32 v141, 0x7fc02000
	s_mov_b32 s23, exec_lo
	s_delay_alu instid0(VALU_DEP_2) | instskip(NEXT) | instid1(VALU_DEP_1)
	v_and_b32_e32 v93, 0x7f, v89
	v_cmpx_ne_u32_e32 0x7f, v93
	s_cbranch_execz .LBB352_897
; %bb.894:                              ;   in Loop: Header=BB352_16 Depth=1
	v_and_b32_e32 v7, 7, v89
	v_lshrrev_b32_e32 v92, 3, v93
	v_mov_b32_e32 v36, v8
	s_mov_b32 s24, exec_lo
	s_delay_alu instid0(VALU_DEP_3)
	v_mov_b32_e32 v35, v7
	v_cmpx_gt_u32_e32 8, v93
; %bb.895:                              ;   in Loop: Header=BB352_16 Depth=1
	v_clz_i32_u32_e32 v35, v7
	s_delay_alu instid0(VALU_DEP_1) | instskip(NEXT) | instid1(VALU_DEP_1)
	v_min_u32_e32 v92, 32, v35
	v_subrev_nc_u32_e32 v35, 28, v92
	v_sub_nc_u32_e32 v92, 29, v92
	s_delay_alu instid0(VALU_DEP_2) | instskip(NEXT) | instid1(VALU_DEP_1)
	v_lshlrev_b64 v[35:36], v35, v[7:8]
	v_and_b32_e32 v35, 7, v35
; %bb.896:                              ;   in Loop: Header=BB352_16 Depth=1
	s_or_b32 exec_lo, exec_lo, s24
	v_lshlrev_b32_e32 v7, 8, v89
	v_lshl_add_u32 v36, v92, 10, 0x2000
	s_delay_alu instid0(VALU_DEP_1) | instskip(NEXT) | instid1(VALU_DEP_1)
	v_and_or_b32 v7, 0x8000, v7, v36
	v_lshl_or_b32 v7, v35, 7, v7
	s_delay_alu instid0(VALU_DEP_1)
	v_cvt_f32_f16_e64 v141, v7
.LBB352_897:                            ;   in Loop: Header=BB352_16 Depth=1
	s_or_b32 exec_lo, exec_lo, s23
.LBB352_898:                            ;   in Loop: Header=BB352_16 Depth=1
	s_delay_alu instid0(SALU_CYCLE_1)
	s_or_b32 exec_lo, exec_lo, s22
.LBB352_899:                            ;   in Loop: Header=BB352_16 Depth=1
	s_delay_alu instid0(SALU_CYCLE_1) | instskip(SKIP_3) | instid1(VALU_DEP_2)
	s_or_b32 exec_lo, exec_lo, s21
	v_lshrrev_b32_e32 v89, 16, v34
	v_mov_b32_e32 v153, 0
	s_mov_b32 s21, exec_lo
	v_dual_mov_b32 v152, 0 :: v_dual_and_b32 v7, 0xff, v89
	s_delay_alu instid0(VALU_DEP_1)
	v_cmpx_ne_u16_e32 0, v7
	s_cbranch_execz .LBB352_907
; %bb.900:                              ;   in Loop: Header=BB352_16 Depth=1
	v_bfrev_b32_e32 v153, 1
	s_mov_b32 s22, exec_lo
	v_cmpx_ne_u16_e32 0x80, v7
	s_cbranch_execz .LBB352_906
; %bb.901:                              ;   in Loop: Header=BB352_16 Depth=1
	v_bfe_u32 v93, v34, 16, 7
	v_mov_b32_e32 v153, 0x7fc02000
	s_mov_b32 s23, exec_lo
	s_delay_alu instid0(VALU_DEP_2)
	v_cmpx_ne_u32_e32 0x7f, v93
	s_cbranch_execz .LBB352_905
; %bb.902:                              ;   in Loop: Header=BB352_16 Depth=1
	v_and_b32_e32 v7, 7, v89
	v_lshrrev_b32_e32 v92, 3, v93
	v_mov_b32_e32 v36, v8
	s_mov_b32 s24, exec_lo
	s_delay_alu instid0(VALU_DEP_3)
	v_mov_b32_e32 v35, v7
	v_cmpx_gt_u32_e32 8, v93
; %bb.903:                              ;   in Loop: Header=BB352_16 Depth=1
	v_clz_i32_u32_e32 v35, v7
	s_delay_alu instid0(VALU_DEP_1) | instskip(NEXT) | instid1(VALU_DEP_1)
	v_min_u32_e32 v92, 32, v35
	v_subrev_nc_u32_e32 v35, 28, v92
	v_sub_nc_u32_e32 v92, 29, v92
	s_delay_alu instid0(VALU_DEP_2) | instskip(NEXT) | instid1(VALU_DEP_1)
	v_lshlrev_b64 v[35:36], v35, v[7:8]
	v_and_b32_e32 v35, 7, v35
; %bb.904:                              ;   in Loop: Header=BB352_16 Depth=1
	s_or_b32 exec_lo, exec_lo, s24
	v_lshlrev_b32_e32 v7, 8, v89
	v_lshl_add_u32 v36, v92, 10, 0x2000
	s_delay_alu instid0(VALU_DEP_1) | instskip(NEXT) | instid1(VALU_DEP_1)
	v_and_or_b32 v7, 0x8000, v7, v36
	v_lshl_or_b32 v7, v35, 7, v7
	s_delay_alu instid0(VALU_DEP_1)
	v_cvt_f32_f16_e64 v153, v7
.LBB352_905:                            ;   in Loop: Header=BB352_16 Depth=1
	s_or_b32 exec_lo, exec_lo, s23
.LBB352_906:                            ;   in Loop: Header=BB352_16 Depth=1
	s_delay_alu instid0(SALU_CYCLE_1)
	s_or_b32 exec_lo, exec_lo, s22
.LBB352_907:                            ;   in Loop: Header=BB352_16 Depth=1
	s_delay_alu instid0(SALU_CYCLE_1) | instskip(NEXT) | instid1(SALU_CYCLE_1)
	s_or_b32 exec_lo, exec_lo, s21
	s_mov_b32 s21, exec_lo
	v_cmpx_lt_u64_e64 s[8:9], v[33:34]
	s_cbranch_execz .LBB352_915
; %bb.908:                              ;   in Loop: Header=BB352_16 Depth=1
	v_lshrrev_b32_e32 v35, 24, v34
	v_bfrev_b32_e32 v152, 1
	s_mov_b32 s22, exec_lo
	s_delay_alu instid0(VALU_DEP_2)
	v_cmpx_ne_u32_e32 0x80, v35
	s_cbranch_execz .LBB352_914
; %bb.909:                              ;   in Loop: Header=BB352_16 Depth=1
	v_and_b32_e32 v89, 0x7f, v35
	v_mov_b32_e32 v152, 0x7fc02000
	s_mov_b32 s23, exec_lo
	s_delay_alu instid0(VALU_DEP_2)
	v_cmpx_ne_u32_e32 0x7f, v89
	s_cbranch_execz .LBB352_913
; %bb.910:                              ;   in Loop: Header=BB352_16 Depth=1
	v_and_b32_e32 v7, 7, v35
	v_lshrrev_b32_e32 v36, 3, v89
	v_mov_b32_e32 v34, v8
	s_mov_b32 s24, exec_lo
	s_delay_alu instid0(VALU_DEP_3)
	v_mov_b32_e32 v33, v7
	v_cmpx_gt_u32_e32 8, v89
; %bb.911:                              ;   in Loop: Header=BB352_16 Depth=1
	v_clz_i32_u32_e32 v33, v7
	s_delay_alu instid0(VALU_DEP_1) | instskip(NEXT) | instid1(VALU_DEP_1)
	v_min_u32_e32 v36, 32, v33
	v_subrev_nc_u32_e32 v33, 28, v36
	v_sub_nc_u32_e32 v36, 29, v36
	s_delay_alu instid0(VALU_DEP_2) | instskip(NEXT) | instid1(VALU_DEP_1)
	v_lshlrev_b64 v[33:34], v33, v[7:8]
	v_and_b32_e32 v33, 7, v33
; %bb.912:                              ;   in Loop: Header=BB352_16 Depth=1
	s_or_b32 exec_lo, exec_lo, s24
	v_lshlrev_b32_e32 v7, 8, v35
	v_lshl_add_u32 v34, v36, 10, 0x2000
	s_delay_alu instid0(VALU_DEP_1) | instskip(NEXT) | instid1(VALU_DEP_1)
	v_and_or_b32 v7, 0x8000, v7, v34
	v_lshl_or_b32 v7, v33, 7, v7
	s_delay_alu instid0(VALU_DEP_1)
	v_cvt_f32_f16_e64 v152, v7
.LBB352_913:                            ;   in Loop: Header=BB352_16 Depth=1
	s_or_b32 exec_lo, exec_lo, s23
.LBB352_914:                            ;   in Loop: Header=BB352_16 Depth=1
	s_delay_alu instid0(SALU_CYCLE_1)
	s_or_b32 exec_lo, exec_lo, s22
.LBB352_915:                            ;   in Loop: Header=BB352_16 Depth=1
	s_delay_alu instid0(SALU_CYCLE_1)
	s_or_b32 exec_lo, exec_lo, s21
	flat_load_b64 v[33:34], v[31:32] offset:3584
	v_mov_b32_e32 v89, 0
	s_mov_b32 s21, exec_lo
	s_waitcnt vmcnt(0) lgkmcnt(0)
	v_dual_mov_b32 v92, 0 :: v_dual_and_b32 v7, 0xff, v33
	s_delay_alu instid0(VALU_DEP_1)
	v_cmpx_ne_u16_e32 0, v7
	s_cbranch_execz .LBB352_923
; %bb.916:                              ;   in Loop: Header=BB352_16 Depth=1
	v_bfrev_b32_e32 v89, 1
	s_mov_b32 s22, exec_lo
	v_cmpx_ne_u16_e32 0x80, v7
	s_cbranch_execz .LBB352_922
; %bb.917:                              ;   in Loop: Header=BB352_16 Depth=1
	v_and_b32_e32 v35, 0x7f, v33
	v_mov_b32_e32 v89, 0x7fc02000
	s_mov_b32 s23, exec_lo
	s_delay_alu instid0(VALU_DEP_2)
	v_cmpx_ne_u32_e32 0x7f, v35
	s_cbranch_execz .LBB352_921
; %bb.918:                              ;   in Loop: Header=BB352_16 Depth=1
	v_lshrrev_b32_e32 v7, 3, v35
	v_cmp_gt_u32_e64 s1, 8, v35
	v_dual_mov_b32 v36, v34 :: v_dual_mov_b32 v35, v33
	s_delay_alu instid0(VALU_DEP_2)
	s_and_saveexec_b32 s24, s1
; %bb.919:                              ;   in Loop: Header=BB352_16 Depth=1
	v_and_b32_e32 v7, 7, v33
	s_delay_alu instid0(VALU_DEP_1) | instskip(NEXT) | instid1(VALU_DEP_1)
	v_clz_i32_u32_e32 v7, v7
	v_min_u32_e32 v7, 32, v7
	s_delay_alu instid0(VALU_DEP_1) | instskip(SKIP_1) | instid1(VALU_DEP_2)
	v_subrev_nc_u32_e32 v35, 28, v7
	v_sub_nc_u32_e32 v7, 29, v7
	v_lshlrev_b64 v[35:36], v35, v[33:34]
; %bb.920:                              ;   in Loop: Header=BB352_16 Depth=1
	s_or_b32 exec_lo, exec_lo, s24
	v_lshlrev_b32_e32 v36, 8, v33
	s_delay_alu instid0(VALU_DEP_3) | instskip(NEXT) | instid1(VALU_DEP_3)
	v_lshl_add_u32 v7, v7, 10, 0x2000
	v_lshlrev_b32_e32 v35, 7, v35
	s_delay_alu instid0(VALU_DEP_2) | instskip(NEXT) | instid1(VALU_DEP_1)
	v_and_or_b32 v7, 0x8000, v36, v7
	v_and_or_b32 v7, 0x380, v35, v7
	s_delay_alu instid0(VALU_DEP_1)
	v_cvt_f32_f16_e32 v89, v7
.LBB352_921:                            ;   in Loop: Header=BB352_16 Depth=1
	s_or_b32 exec_lo, exec_lo, s23
.LBB352_922:                            ;   in Loop: Header=BB352_16 Depth=1
	s_delay_alu instid0(SALU_CYCLE_1)
	s_or_b32 exec_lo, exec_lo, s22
.LBB352_923:                            ;   in Loop: Header=BB352_16 Depth=1
	s_delay_alu instid0(SALU_CYCLE_1) | instskip(SKIP_2) | instid1(VALU_DEP_1)
	s_or_b32 exec_lo, exec_lo, s21
	v_lshrrev_b16 v7, 8, v33
	s_mov_b32 s21, exec_lo
	v_cmpx_ne_u16_e32 0, v7
	s_cbranch_execz .LBB352_931
; %bb.924:                              ;   in Loop: Header=BB352_16 Depth=1
	v_bfrev_b32_e32 v92, 1
	s_mov_b32 s22, exec_lo
	v_cmpx_ne_u16_e32 0x80, v7
	s_cbranch_execz .LBB352_930
; %bb.925:                              ;   in Loop: Header=BB352_16 Depth=1
	v_and_b32_e32 v93, 0xffff, v7
	v_mov_b32_e32 v92, 0x7fc02000
	s_mov_b32 s23, exec_lo
	s_delay_alu instid0(VALU_DEP_2) | instskip(NEXT) | instid1(VALU_DEP_1)
	v_and_b32_e32 v94, 0x7f, v93
	v_cmpx_ne_u32_e32 0x7f, v94
	s_cbranch_execz .LBB352_929
; %bb.926:                              ;   in Loop: Header=BB352_16 Depth=1
	v_and_b32_e32 v7, 7, v93
	v_lshrrev_b32_e32 v92, 3, v94
	v_mov_b32_e32 v36, v8
	s_mov_b32 s24, exec_lo
	s_delay_alu instid0(VALU_DEP_3)
	v_mov_b32_e32 v35, v7
	v_cmpx_gt_u32_e32 8, v94
; %bb.927:                              ;   in Loop: Header=BB352_16 Depth=1
	v_clz_i32_u32_e32 v35, v7
	s_delay_alu instid0(VALU_DEP_1) | instskip(NEXT) | instid1(VALU_DEP_1)
	v_min_u32_e32 v92, 32, v35
	v_subrev_nc_u32_e32 v35, 28, v92
	v_sub_nc_u32_e32 v92, 29, v92
	s_delay_alu instid0(VALU_DEP_2) | instskip(NEXT) | instid1(VALU_DEP_1)
	v_lshlrev_b64 v[35:36], v35, v[7:8]
	v_and_b32_e32 v35, 7, v35
; %bb.928:                              ;   in Loop: Header=BB352_16 Depth=1
	s_or_b32 exec_lo, exec_lo, s24
	v_lshlrev_b32_e32 v7, 8, v93
	v_lshl_add_u32 v36, v92, 10, 0x2000
	s_delay_alu instid0(VALU_DEP_1) | instskip(NEXT) | instid1(VALU_DEP_1)
	v_and_or_b32 v7, 0x8000, v7, v36
	v_lshl_or_b32 v7, v35, 7, v7
	s_delay_alu instid0(VALU_DEP_1)
	v_cvt_f32_f16_e32 v92, v7
.LBB352_929:                            ;   in Loop: Header=BB352_16 Depth=1
	s_or_b32 exec_lo, exec_lo, s23
.LBB352_930:                            ;   in Loop: Header=BB352_16 Depth=1
	s_delay_alu instid0(SALU_CYCLE_1)
	s_or_b32 exec_lo, exec_lo, s22
.LBB352_931:                            ;   in Loop: Header=BB352_16 Depth=1
	s_delay_alu instid0(SALU_CYCLE_1) | instskip(SKIP_3) | instid1(VALU_DEP_2)
	s_or_b32 exec_lo, exec_lo, s21
	v_lshrrev_b32_e32 v95, 16, v33
	v_mov_b32_e32 v93, 0
	s_mov_b32 s21, exec_lo
	v_dual_mov_b32 v94, 0 :: v_dual_and_b32 v7, 0xff, v95
	s_delay_alu instid0(VALU_DEP_1)
	v_cmpx_ne_u16_e32 0, v7
	s_cbranch_execz .LBB352_939
; %bb.932:                              ;   in Loop: Header=BB352_16 Depth=1
	v_bfrev_b32_e32 v93, 1
	s_mov_b32 s22, exec_lo
	v_cmpx_ne_u16_e32 0x80, v7
	s_cbranch_execz .LBB352_938
; %bb.933:                              ;   in Loop: Header=BB352_16 Depth=1
	v_bfe_u32 v104, v33, 16, 7
	v_mov_b32_e32 v93, 0x7fc02000
	s_mov_b32 s23, exec_lo
	s_delay_alu instid0(VALU_DEP_2)
	v_cmpx_ne_u32_e32 0x7f, v104
	s_cbranch_execz .LBB352_937
; %bb.934:                              ;   in Loop: Header=BB352_16 Depth=1
	v_and_b32_e32 v7, 7, v95
	v_lshrrev_b32_e32 v93, 3, v104
	v_mov_b32_e32 v36, v8
	s_mov_b32 s24, exec_lo
	s_delay_alu instid0(VALU_DEP_3)
	v_mov_b32_e32 v35, v7
	v_cmpx_gt_u32_e32 8, v104
; %bb.935:                              ;   in Loop: Header=BB352_16 Depth=1
	v_clz_i32_u32_e32 v35, v7
	s_delay_alu instid0(VALU_DEP_1) | instskip(NEXT) | instid1(VALU_DEP_1)
	v_min_u32_e32 v93, 32, v35
	v_subrev_nc_u32_e32 v35, 28, v93
	v_sub_nc_u32_e32 v93, 29, v93
	s_delay_alu instid0(VALU_DEP_2) | instskip(NEXT) | instid1(VALU_DEP_1)
	v_lshlrev_b64 v[35:36], v35, v[7:8]
	v_and_b32_e32 v35, 7, v35
; %bb.936:                              ;   in Loop: Header=BB352_16 Depth=1
	s_or_b32 exec_lo, exec_lo, s24
	v_lshlrev_b32_e32 v7, 8, v95
	v_lshl_add_u32 v36, v93, 10, 0x2000
	s_delay_alu instid0(VALU_DEP_1) | instskip(NEXT) | instid1(VALU_DEP_1)
	v_and_or_b32 v7, 0x8000, v7, v36
	v_lshl_or_b32 v7, v35, 7, v7
	s_delay_alu instid0(VALU_DEP_1)
	v_cvt_f32_f16_e32 v93, v7
.LBB352_937:                            ;   in Loop: Header=BB352_16 Depth=1
	s_or_b32 exec_lo, exec_lo, s23
.LBB352_938:                            ;   in Loop: Header=BB352_16 Depth=1
	s_delay_alu instid0(SALU_CYCLE_1)
	s_or_b32 exec_lo, exec_lo, s22
.LBB352_939:                            ;   in Loop: Header=BB352_16 Depth=1
	s_delay_alu instid0(SALU_CYCLE_1) | instskip(NEXT) | instid1(SALU_CYCLE_1)
	s_or_b32 exec_lo, exec_lo, s21
	s_mov_b32 s21, exec_lo
	v_cmpx_lt_u32_e32 0xffffff, v33
	s_cbranch_execz .LBB352_947
; %bb.940:                              ;   in Loop: Header=BB352_16 Depth=1
	v_lshrrev_b32_e32 v95, 24, v33
	v_bfrev_b32_e32 v94, 1
	s_mov_b32 s22, exec_lo
	s_delay_alu instid0(VALU_DEP_2)
	v_cmpx_ne_u32_e32 0x80, v95
	s_cbranch_execz .LBB352_946
; %bb.941:                              ;   in Loop: Header=BB352_16 Depth=1
	v_and_b32_e32 v104, 0x7f, v95
	v_mov_b32_e32 v94, 0x7fc02000
	s_mov_b32 s23, exec_lo
	s_delay_alu instid0(VALU_DEP_2)
	v_cmpx_ne_u32_e32 0x7f, v104
	s_cbranch_execz .LBB352_945
; %bb.942:                              ;   in Loop: Header=BB352_16 Depth=1
	v_and_b32_e32 v7, 7, v95
	v_lshrrev_b32_e32 v94, 3, v104
	v_mov_b32_e32 v36, v8
	s_mov_b32 s24, exec_lo
	s_delay_alu instid0(VALU_DEP_3)
	v_mov_b32_e32 v35, v7
	v_cmpx_gt_u32_e32 8, v104
; %bb.943:                              ;   in Loop: Header=BB352_16 Depth=1
	v_clz_i32_u32_e32 v35, v7
	s_delay_alu instid0(VALU_DEP_1) | instskip(NEXT) | instid1(VALU_DEP_1)
	v_min_u32_e32 v94, 32, v35
	v_subrev_nc_u32_e32 v35, 28, v94
	v_sub_nc_u32_e32 v94, 29, v94
	s_delay_alu instid0(VALU_DEP_2) | instskip(NEXT) | instid1(VALU_DEP_1)
	v_lshlrev_b64 v[35:36], v35, v[7:8]
	v_and_b32_e32 v35, 7, v35
; %bb.944:                              ;   in Loop: Header=BB352_16 Depth=1
	s_or_b32 exec_lo, exec_lo, s24
	v_lshlrev_b32_e32 v7, 8, v95
	v_lshl_add_u32 v36, v94, 10, 0x2000
	s_delay_alu instid0(VALU_DEP_1) | instskip(NEXT) | instid1(VALU_DEP_1)
	v_and_or_b32 v7, 0x8000, v7, v36
	v_lshl_or_b32 v7, v35, 7, v7
	s_delay_alu instid0(VALU_DEP_1)
	v_cvt_f32_f16_e32 v94, v7
.LBB352_945:                            ;   in Loop: Header=BB352_16 Depth=1
	s_or_b32 exec_lo, exec_lo, s23
.LBB352_946:                            ;   in Loop: Header=BB352_16 Depth=1
	s_delay_alu instid0(SALU_CYCLE_1)
	s_or_b32 exec_lo, exec_lo, s22
.LBB352_947:                            ;   in Loop: Header=BB352_16 Depth=1
	s_delay_alu instid0(SALU_CYCLE_1) | instskip(SKIP_4) | instid1(VALU_DEP_3)
	s_or_b32 exec_lo, exec_lo, s21
	v_dual_mov_b32 v122, 0 :: v_dual_and_b32 v35, 0xff, v34
	v_mov_b32_e32 v7, v34
	v_mov_b32_e32 v123, 0
	s_mov_b32 s21, exec_lo
	v_cmpx_ne_u16_e32 0, v35
	s_cbranch_execz .LBB352_955
; %bb.948:                              ;   in Loop: Header=BB352_16 Depth=1
	v_bfrev_b32_e32 v122, 1
	s_mov_b32 s22, exec_lo
	v_cmpx_ne_u16_e32 0x80, v35
	s_cbranch_execz .LBB352_954
; %bb.949:                              ;   in Loop: Header=BB352_16 Depth=1
	v_and_b32_e32 v95, 0x7f, v34
	v_mov_b32_e32 v122, 0x7fc02000
	s_mov_b32 s23, exec_lo
	s_delay_alu instid0(VALU_DEP_2)
	v_cmpx_ne_u32_e32 0x7f, v95
	s_cbranch_execz .LBB352_953
; %bb.950:                              ;   in Loop: Header=BB352_16 Depth=1
	v_dual_mov_b32 v36, v8 :: v_dual_mov_b32 v35, v7
	v_lshrrev_b32_e32 v36, 3, v95
	s_mov_b32 s24, exec_lo
	v_cmpx_gt_u32_e32 8, v95
; %bb.951:                              ;   in Loop: Header=BB352_16 Depth=1
	v_and_b32_e32 v35, 7, v34
	s_delay_alu instid0(VALU_DEP_1) | instskip(NEXT) | instid1(VALU_DEP_1)
	v_clz_i32_u32_e32 v35, v35
	v_min_u32_e32 v95, 32, v35
	s_delay_alu instid0(VALU_DEP_1) | instskip(NEXT) | instid1(VALU_DEP_1)
	v_subrev_nc_u32_e32 v35, 28, v95
	v_lshlrev_b64 v[35:36], v35, v[7:8]
	v_sub_nc_u32_e32 v36, 29, v95
; %bb.952:                              ;   in Loop: Header=BB352_16 Depth=1
	s_or_b32 exec_lo, exec_lo, s24
	v_lshlrev_b32_e32 v95, 8, v34
	s_delay_alu instid0(VALU_DEP_2) | instskip(NEXT) | instid1(VALU_DEP_4)
	v_lshl_add_u32 v36, v36, 10, 0x2000
	v_lshlrev_b32_e32 v35, 7, v35
	s_delay_alu instid0(VALU_DEP_2) | instskip(NEXT) | instid1(VALU_DEP_1)
	v_and_or_b32 v36, 0x8000, v95, v36
	v_and_or_b32 v35, 0x380, v35, v36
	s_delay_alu instid0(VALU_DEP_1)
	v_cvt_f32_f16_e32 v122, v35
.LBB352_953:                            ;   in Loop: Header=BB352_16 Depth=1
	s_or_b32 exec_lo, exec_lo, s23
.LBB352_954:                            ;   in Loop: Header=BB352_16 Depth=1
	s_delay_alu instid0(SALU_CYCLE_1)
	s_or_b32 exec_lo, exec_lo, s22
.LBB352_955:                            ;   in Loop: Header=BB352_16 Depth=1
	s_delay_alu instid0(SALU_CYCLE_1) | instskip(SKIP_2) | instid1(VALU_DEP_1)
	s_or_b32 exec_lo, exec_lo, s21
	v_lshrrev_b16 v7, 8, v7
	s_mov_b32 s21, exec_lo
	v_cmpx_ne_u16_e32 0, v7
	s_cbranch_execz .LBB352_963
; %bb.956:                              ;   in Loop: Header=BB352_16 Depth=1
	v_bfrev_b32_e32 v123, 1
	s_mov_b32 s22, exec_lo
	v_cmpx_ne_u16_e32 0x80, v7
	s_cbranch_execz .LBB352_962
; %bb.957:                              ;   in Loop: Header=BB352_16 Depth=1
	v_and_b32_e32 v95, 0xffff, v7
	v_mov_b32_e32 v123, 0x7fc02000
	s_mov_b32 s23, exec_lo
	s_delay_alu instid0(VALU_DEP_2) | instskip(NEXT) | instid1(VALU_DEP_1)
	v_and_b32_e32 v105, 0x7f, v95
	v_cmpx_ne_u32_e32 0x7f, v105
	s_cbranch_execz .LBB352_961
; %bb.958:                              ;   in Loop: Header=BB352_16 Depth=1
	v_and_b32_e32 v7, 7, v95
	v_lshrrev_b32_e32 v104, 3, v105
	v_mov_b32_e32 v36, v8
	s_mov_b32 s24, exec_lo
	s_delay_alu instid0(VALU_DEP_3)
	v_mov_b32_e32 v35, v7
	v_cmpx_gt_u32_e32 8, v105
; %bb.959:                              ;   in Loop: Header=BB352_16 Depth=1
	v_clz_i32_u32_e32 v35, v7
	s_delay_alu instid0(VALU_DEP_1) | instskip(NEXT) | instid1(VALU_DEP_1)
	v_min_u32_e32 v104, 32, v35
	v_subrev_nc_u32_e32 v35, 28, v104
	v_sub_nc_u32_e32 v104, 29, v104
	s_delay_alu instid0(VALU_DEP_2) | instskip(NEXT) | instid1(VALU_DEP_1)
	v_lshlrev_b64 v[35:36], v35, v[7:8]
	v_and_b32_e32 v35, 7, v35
; %bb.960:                              ;   in Loop: Header=BB352_16 Depth=1
	s_or_b32 exec_lo, exec_lo, s24
	v_lshlrev_b32_e32 v7, 8, v95
	v_lshl_add_u32 v36, v104, 10, 0x2000
	s_delay_alu instid0(VALU_DEP_1) | instskip(NEXT) | instid1(VALU_DEP_1)
	v_and_or_b32 v7, 0x8000, v7, v36
	v_lshl_or_b32 v7, v35, 7, v7
	s_delay_alu instid0(VALU_DEP_1)
	v_cvt_f32_f16_e32 v123, v7
.LBB352_961:                            ;   in Loop: Header=BB352_16 Depth=1
	s_or_b32 exec_lo, exec_lo, s23
.LBB352_962:                            ;   in Loop: Header=BB352_16 Depth=1
	s_delay_alu instid0(SALU_CYCLE_1)
	s_or_b32 exec_lo, exec_lo, s22
.LBB352_963:                            ;   in Loop: Header=BB352_16 Depth=1
	s_delay_alu instid0(SALU_CYCLE_1) | instskip(SKIP_3) | instid1(VALU_DEP_2)
	s_or_b32 exec_lo, exec_lo, s21
	v_lshrrev_b32_e32 v95, 16, v34
	v_mov_b32_e32 v35, 0
	s_mov_b32 s21, exec_lo
	v_dual_mov_b32 v124, 0 :: v_dual_and_b32 v7, 0xff, v95
	s_delay_alu instid0(VALU_DEP_1)
	v_cmpx_ne_u16_e32 0, v7
	s_cbranch_execz .LBB352_971
; %bb.964:                              ;   in Loop: Header=BB352_16 Depth=1
	v_bfrev_b32_e32 v35, 1
	s_mov_b32 s22, exec_lo
	v_cmpx_ne_u16_e32 0x80, v7
	s_cbranch_execz .LBB352_970
; %bb.965:                              ;   in Loop: Header=BB352_16 Depth=1
	v_bfe_u32 v105, v34, 16, 7
	v_mov_b32_e32 v35, 0x7fc02000
	s_mov_b32 s23, exec_lo
	s_delay_alu instid0(VALU_DEP_2)
	v_cmpx_ne_u32_e32 0x7f, v105
	s_cbranch_execz .LBB352_969
; %bb.966:                              ;   in Loop: Header=BB352_16 Depth=1
	v_and_b32_e32 v7, 7, v95
	v_lshrrev_b32_e32 v104, 3, v105
	v_mov_b32_e32 v36, v8
	s_mov_b32 s24, exec_lo
	s_delay_alu instid0(VALU_DEP_3)
	v_mov_b32_e32 v35, v7
	v_cmpx_gt_u32_e32 8, v105
; %bb.967:                              ;   in Loop: Header=BB352_16 Depth=1
	v_clz_i32_u32_e32 v35, v7
	s_delay_alu instid0(VALU_DEP_1) | instskip(NEXT) | instid1(VALU_DEP_1)
	v_min_u32_e32 v104, 32, v35
	v_subrev_nc_u32_e32 v35, 28, v104
	v_sub_nc_u32_e32 v104, 29, v104
	s_delay_alu instid0(VALU_DEP_2) | instskip(NEXT) | instid1(VALU_DEP_1)
	v_lshlrev_b64 v[35:36], v35, v[7:8]
	v_and_b32_e32 v35, 7, v35
; %bb.968:                              ;   in Loop: Header=BB352_16 Depth=1
	s_or_b32 exec_lo, exec_lo, s24
	v_lshlrev_b32_e32 v7, 8, v95
	v_lshl_add_u32 v36, v104, 10, 0x2000
	s_delay_alu instid0(VALU_DEP_1) | instskip(NEXT) | instid1(VALU_DEP_1)
	v_and_or_b32 v7, 0x8000, v7, v36
	v_lshl_or_b32 v7, v35, 7, v7
	s_delay_alu instid0(VALU_DEP_1)
	v_cvt_f32_f16_e32 v35, v7
.LBB352_969:                            ;   in Loop: Header=BB352_16 Depth=1
	s_or_b32 exec_lo, exec_lo, s23
.LBB352_970:                            ;   in Loop: Header=BB352_16 Depth=1
	s_delay_alu instid0(SALU_CYCLE_1)
	s_or_b32 exec_lo, exec_lo, s22
.LBB352_971:                            ;   in Loop: Header=BB352_16 Depth=1
	s_delay_alu instid0(SALU_CYCLE_1) | instskip(NEXT) | instid1(SALU_CYCLE_1)
	s_or_b32 exec_lo, exec_lo, s21
	s_mov_b32 s21, exec_lo
	v_cmpx_lt_u64_e64 s[8:9], v[33:34]
	s_cbranch_execz .LBB352_979
; %bb.972:                              ;   in Loop: Header=BB352_16 Depth=1
	v_lshrrev_b32_e32 v36, 24, v34
	v_bfrev_b32_e32 v124, 1
	s_mov_b32 s22, exec_lo
	s_delay_alu instid0(VALU_DEP_2)
	v_cmpx_ne_u32_e32 0x80, v36
	s_cbranch_execz .LBB352_978
; %bb.973:                              ;   in Loop: Header=BB352_16 Depth=1
	v_and_b32_e32 v104, 0x7f, v36
	v_mov_b32_e32 v124, 0x7fc02000
	s_mov_b32 s23, exec_lo
	s_delay_alu instid0(VALU_DEP_2)
	v_cmpx_ne_u32_e32 0x7f, v104
	s_cbranch_execz .LBB352_977
; %bb.974:                              ;   in Loop: Header=BB352_16 Depth=1
	v_and_b32_e32 v7, 7, v36
	v_lshrrev_b32_e32 v95, 3, v104
	v_mov_b32_e32 v34, v8
	s_mov_b32 s24, exec_lo
	s_delay_alu instid0(VALU_DEP_3)
	v_mov_b32_e32 v33, v7
	v_cmpx_gt_u32_e32 8, v104
; %bb.975:                              ;   in Loop: Header=BB352_16 Depth=1
	v_clz_i32_u32_e32 v33, v7
	s_delay_alu instid0(VALU_DEP_1) | instskip(NEXT) | instid1(VALU_DEP_1)
	v_min_u32_e32 v95, 32, v33
	v_subrev_nc_u32_e32 v33, 28, v95
	v_sub_nc_u32_e32 v95, 29, v95
	s_delay_alu instid0(VALU_DEP_2) | instskip(NEXT) | instid1(VALU_DEP_1)
	v_lshlrev_b64 v[33:34], v33, v[7:8]
	v_and_b32_e32 v33, 7, v33
; %bb.976:                              ;   in Loop: Header=BB352_16 Depth=1
	s_or_b32 exec_lo, exec_lo, s24
	v_lshlrev_b32_e32 v7, 8, v36
	v_lshl_add_u32 v34, v95, 10, 0x2000
	s_delay_alu instid0(VALU_DEP_1) | instskip(NEXT) | instid1(VALU_DEP_1)
	v_and_or_b32 v7, 0x8000, v7, v34
	v_lshl_or_b32 v7, v33, 7, v7
	s_delay_alu instid0(VALU_DEP_1)
	v_cvt_f32_f16_e32 v124, v7
.LBB352_977:                            ;   in Loop: Header=BB352_16 Depth=1
	s_or_b32 exec_lo, exec_lo, s23
.LBB352_978:                            ;   in Loop: Header=BB352_16 Depth=1
	s_delay_alu instid0(SALU_CYCLE_1)
	s_or_b32 exec_lo, exec_lo, s22
.LBB352_979:                            ;   in Loop: Header=BB352_16 Depth=1
	s_delay_alu instid0(SALU_CYCLE_1)
	s_or_b32 exec_lo, exec_lo, s21
	flat_load_b64 v[31:32], v[31:32] offset:3592
	v_mov_b32_e32 v175, 0
	s_mov_b32 s21, exec_lo
	s_waitcnt vmcnt(0) lgkmcnt(0)
	v_dual_mov_b32 v174, 0 :: v_dual_and_b32 v7, 0xff, v31
	s_delay_alu instid0(VALU_DEP_1)
	v_cmpx_ne_u16_e32 0, v7
	s_cbranch_execz .LBB352_987
; %bb.980:                              ;   in Loop: Header=BB352_16 Depth=1
	v_bfrev_b32_e32 v174, 1
	s_mov_b32 s22, exec_lo
	v_cmpx_ne_u16_e32 0x80, v7
	s_cbranch_execz .LBB352_986
; %bb.981:                              ;   in Loop: Header=BB352_16 Depth=1
	v_and_b32_e32 v33, 0x7f, v31
	v_mov_b32_e32 v174, 0x7fc02000
	s_mov_b32 s23, exec_lo
	s_delay_alu instid0(VALU_DEP_2)
	v_cmpx_ne_u32_e32 0x7f, v33
	s_cbranch_execz .LBB352_985
; %bb.982:                              ;   in Loop: Header=BB352_16 Depth=1
	v_lshrrev_b32_e32 v7, 3, v33
	v_cmp_gt_u32_e64 s1, 8, v33
	v_dual_mov_b32 v34, v32 :: v_dual_mov_b32 v33, v31
	s_delay_alu instid0(VALU_DEP_2)
	s_and_saveexec_b32 s24, s1
; %bb.983:                              ;   in Loop: Header=BB352_16 Depth=1
	v_and_b32_e32 v7, 7, v31
	s_delay_alu instid0(VALU_DEP_1) | instskip(NEXT) | instid1(VALU_DEP_1)
	v_clz_i32_u32_e32 v7, v7
	v_min_u32_e32 v7, 32, v7
	s_delay_alu instid0(VALU_DEP_1) | instskip(SKIP_1) | instid1(VALU_DEP_2)
	v_subrev_nc_u32_e32 v33, 28, v7
	v_sub_nc_u32_e32 v7, 29, v7
	v_lshlrev_b64 v[33:34], v33, v[31:32]
; %bb.984:                              ;   in Loop: Header=BB352_16 Depth=1
	s_or_b32 exec_lo, exec_lo, s24
	v_lshlrev_b32_e32 v34, 8, v31
	s_delay_alu instid0(VALU_DEP_3) | instskip(NEXT) | instid1(VALU_DEP_3)
	v_lshl_add_u32 v7, v7, 10, 0x2000
	v_lshlrev_b32_e32 v33, 7, v33
	s_delay_alu instid0(VALU_DEP_2) | instskip(NEXT) | instid1(VALU_DEP_1)
	v_and_or_b32 v7, 0x8000, v34, v7
	v_and_or_b32 v7, 0x380, v33, v7
	s_delay_alu instid0(VALU_DEP_1)
	v_cvt_f32_f16_e64 v174, v7
.LBB352_985:                            ;   in Loop: Header=BB352_16 Depth=1
	s_or_b32 exec_lo, exec_lo, s23
.LBB352_986:                            ;   in Loop: Header=BB352_16 Depth=1
	s_delay_alu instid0(SALU_CYCLE_1)
	s_or_b32 exec_lo, exec_lo, s22
.LBB352_987:                            ;   in Loop: Header=BB352_16 Depth=1
	s_delay_alu instid0(SALU_CYCLE_1) | instskip(SKIP_2) | instid1(VALU_DEP_1)
	s_or_b32 exec_lo, exec_lo, s21
	v_lshrrev_b16 v7, 8, v31
	s_mov_b32 s21, exec_lo
	v_cmpx_ne_u16_e32 0, v7
	s_cbranch_execz .LBB352_995
; %bb.988:                              ;   in Loop: Header=BB352_16 Depth=1
	v_bfrev_b32_e32 v175, 1
	s_mov_b32 s22, exec_lo
	v_cmpx_ne_u16_e32 0x80, v7
	s_cbranch_execz .LBB352_994
; %bb.989:                              ;   in Loop: Header=BB352_16 Depth=1
	v_and_b32_e32 v36, 0xffff, v7
	v_mov_b32_e32 v175, 0x7fc02000
	s_mov_b32 s23, exec_lo
	s_delay_alu instid0(VALU_DEP_2) | instskip(NEXT) | instid1(VALU_DEP_1)
	v_and_b32_e32 v104, 0x7f, v36
	v_cmpx_ne_u32_e32 0x7f, v104
	s_cbranch_execz .LBB352_993
; %bb.990:                              ;   in Loop: Header=BB352_16 Depth=1
	v_and_b32_e32 v7, 7, v36
	v_lshrrev_b32_e32 v95, 3, v104
	v_mov_b32_e32 v34, v8
	s_mov_b32 s24, exec_lo
	s_delay_alu instid0(VALU_DEP_3)
	v_mov_b32_e32 v33, v7
	v_cmpx_gt_u32_e32 8, v104
; %bb.991:                              ;   in Loop: Header=BB352_16 Depth=1
	v_clz_i32_u32_e32 v33, v7
	s_delay_alu instid0(VALU_DEP_1) | instskip(NEXT) | instid1(VALU_DEP_1)
	v_min_u32_e32 v95, 32, v33
	v_subrev_nc_u32_e32 v33, 28, v95
	v_sub_nc_u32_e32 v95, 29, v95
	s_delay_alu instid0(VALU_DEP_2) | instskip(NEXT) | instid1(VALU_DEP_1)
	v_lshlrev_b64 v[33:34], v33, v[7:8]
	v_and_b32_e32 v33, 7, v33
; %bb.992:                              ;   in Loop: Header=BB352_16 Depth=1
	s_or_b32 exec_lo, exec_lo, s24
	v_lshlrev_b32_e32 v7, 8, v36
	v_lshl_add_u32 v34, v95, 10, 0x2000
	s_delay_alu instid0(VALU_DEP_1) | instskip(NEXT) | instid1(VALU_DEP_1)
	v_and_or_b32 v7, 0x8000, v7, v34
	v_lshl_or_b32 v7, v33, 7, v7
	s_delay_alu instid0(VALU_DEP_1)
	v_cvt_f32_f16_e64 v175, v7
.LBB352_993:                            ;   in Loop: Header=BB352_16 Depth=1
	s_or_b32 exec_lo, exec_lo, s23
.LBB352_994:                            ;   in Loop: Header=BB352_16 Depth=1
	s_delay_alu instid0(SALU_CYCLE_1)
	s_or_b32 exec_lo, exec_lo, s22
.LBB352_995:                            ;   in Loop: Header=BB352_16 Depth=1
	s_delay_alu instid0(SALU_CYCLE_1) | instskip(SKIP_3) | instid1(VALU_DEP_2)
	s_or_b32 exec_lo, exec_lo, s21
	v_lshrrev_b32_e32 v36, 16, v31
	v_mov_b32_e32 v185, 0
	s_mov_b32 s21, exec_lo
	v_dual_mov_b32 v184, 0 :: v_dual_and_b32 v7, 0xff, v36
	s_delay_alu instid0(VALU_DEP_1)
	v_cmpx_ne_u16_e32 0, v7
	s_cbranch_execz .LBB352_1003
; %bb.996:                              ;   in Loop: Header=BB352_16 Depth=1
	v_bfrev_b32_e32 v184, 1
	s_mov_b32 s22, exec_lo
	v_cmpx_ne_u16_e32 0x80, v7
	s_cbranch_execz .LBB352_1002
; %bb.997:                              ;   in Loop: Header=BB352_16 Depth=1
	v_bfe_u32 v104, v31, 16, 7
	v_mov_b32_e32 v184, 0x7fc02000
	s_mov_b32 s23, exec_lo
	s_delay_alu instid0(VALU_DEP_2)
	v_cmpx_ne_u32_e32 0x7f, v104
	s_cbranch_execz .LBB352_1001
; %bb.998:                              ;   in Loop: Header=BB352_16 Depth=1
	v_and_b32_e32 v7, 7, v36
	v_lshrrev_b32_e32 v95, 3, v104
	v_mov_b32_e32 v34, v8
	s_mov_b32 s24, exec_lo
	s_delay_alu instid0(VALU_DEP_3)
	v_mov_b32_e32 v33, v7
	v_cmpx_gt_u32_e32 8, v104
; %bb.999:                              ;   in Loop: Header=BB352_16 Depth=1
	v_clz_i32_u32_e32 v33, v7
	s_delay_alu instid0(VALU_DEP_1) | instskip(NEXT) | instid1(VALU_DEP_1)
	v_min_u32_e32 v95, 32, v33
	v_subrev_nc_u32_e32 v33, 28, v95
	v_sub_nc_u32_e32 v95, 29, v95
	s_delay_alu instid0(VALU_DEP_2) | instskip(NEXT) | instid1(VALU_DEP_1)
	v_lshlrev_b64 v[33:34], v33, v[7:8]
	v_and_b32_e32 v33, 7, v33
; %bb.1000:                             ;   in Loop: Header=BB352_16 Depth=1
	s_or_b32 exec_lo, exec_lo, s24
	v_lshlrev_b32_e32 v7, 8, v36
	v_lshl_add_u32 v34, v95, 10, 0x2000
	s_delay_alu instid0(VALU_DEP_1) | instskip(NEXT) | instid1(VALU_DEP_1)
	v_and_or_b32 v7, 0x8000, v7, v34
	v_lshl_or_b32 v7, v33, 7, v7
	s_delay_alu instid0(VALU_DEP_1)
	v_cvt_f32_f16_e64 v184, v7
.LBB352_1001:                           ;   in Loop: Header=BB352_16 Depth=1
	s_or_b32 exec_lo, exec_lo, s23
.LBB352_1002:                           ;   in Loop: Header=BB352_16 Depth=1
	s_delay_alu instid0(SALU_CYCLE_1)
	s_or_b32 exec_lo, exec_lo, s22
.LBB352_1003:                           ;   in Loop: Header=BB352_16 Depth=1
	s_delay_alu instid0(SALU_CYCLE_1) | instskip(NEXT) | instid1(SALU_CYCLE_1)
	s_or_b32 exec_lo, exec_lo, s21
	s_mov_b32 s21, exec_lo
	v_cmpx_lt_u32_e32 0xffffff, v31
	s_cbranch_execz .LBB352_1011
; %bb.1004:                             ;   in Loop: Header=BB352_16 Depth=1
	v_lshrrev_b32_e32 v36, 24, v31
	v_bfrev_b32_e32 v185, 1
	s_mov_b32 s22, exec_lo
	s_delay_alu instid0(VALU_DEP_2)
	v_cmpx_ne_u32_e32 0x80, v36
	s_cbranch_execz .LBB352_1010
; %bb.1005:                             ;   in Loop: Header=BB352_16 Depth=1
	v_and_b32_e32 v104, 0x7f, v36
	v_mov_b32_e32 v185, 0x7fc02000
	s_mov_b32 s23, exec_lo
	s_delay_alu instid0(VALU_DEP_2)
	v_cmpx_ne_u32_e32 0x7f, v104
	s_cbranch_execz .LBB352_1009
; %bb.1006:                             ;   in Loop: Header=BB352_16 Depth=1
	v_and_b32_e32 v7, 7, v36
	v_lshrrev_b32_e32 v95, 3, v104
	v_mov_b32_e32 v34, v8
	s_mov_b32 s24, exec_lo
	s_delay_alu instid0(VALU_DEP_3)
	v_mov_b32_e32 v33, v7
	v_cmpx_gt_u32_e32 8, v104
; %bb.1007:                             ;   in Loop: Header=BB352_16 Depth=1
	v_clz_i32_u32_e32 v33, v7
	s_delay_alu instid0(VALU_DEP_1) | instskip(NEXT) | instid1(VALU_DEP_1)
	v_min_u32_e32 v95, 32, v33
	v_subrev_nc_u32_e32 v33, 28, v95
	v_sub_nc_u32_e32 v95, 29, v95
	s_delay_alu instid0(VALU_DEP_2) | instskip(NEXT) | instid1(VALU_DEP_1)
	v_lshlrev_b64 v[33:34], v33, v[7:8]
	v_and_b32_e32 v33, 7, v33
; %bb.1008:                             ;   in Loop: Header=BB352_16 Depth=1
	s_or_b32 exec_lo, exec_lo, s24
	v_lshlrev_b32_e32 v7, 8, v36
	v_lshl_add_u32 v34, v95, 10, 0x2000
	s_delay_alu instid0(VALU_DEP_1) | instskip(NEXT) | instid1(VALU_DEP_1)
	v_and_or_b32 v7, 0x8000, v7, v34
	v_lshl_or_b32 v7, v33, 7, v7
	s_delay_alu instid0(VALU_DEP_1)
	v_cvt_f32_f16_e64 v185, v7
.LBB352_1009:                           ;   in Loop: Header=BB352_16 Depth=1
	s_or_b32 exec_lo, exec_lo, s23
.LBB352_1010:                           ;   in Loop: Header=BB352_16 Depth=1
	s_delay_alu instid0(SALU_CYCLE_1)
	s_or_b32 exec_lo, exec_lo, s22
.LBB352_1011:                           ;   in Loop: Header=BB352_16 Depth=1
	s_delay_alu instid0(SALU_CYCLE_1) | instskip(SKIP_4) | instid1(VALU_DEP_3)
	s_or_b32 exec_lo, exec_lo, s21
	v_dual_mov_b32 v188, 0 :: v_dual_and_b32 v33, 0xff, v32
	v_mov_b32_e32 v7, v32
	v_mov_b32_e32 v189, 0
	s_mov_b32 s21, exec_lo
	v_cmpx_ne_u16_e32 0, v33
	s_cbranch_execz .LBB352_1019
; %bb.1012:                             ;   in Loop: Header=BB352_16 Depth=1
	v_bfrev_b32_e32 v188, 1
	s_mov_b32 s22, exec_lo
	v_cmpx_ne_u16_e32 0x80, v33
	s_cbranch_execz .LBB352_1018
; %bb.1013:                             ;   in Loop: Header=BB352_16 Depth=1
	v_and_b32_e32 v36, 0x7f, v32
	v_mov_b32_e32 v188, 0x7fc02000
	s_mov_b32 s23, exec_lo
	s_delay_alu instid0(VALU_DEP_2)
	v_cmpx_ne_u32_e32 0x7f, v36
	s_cbranch_execz .LBB352_1017
; %bb.1014:                             ;   in Loop: Header=BB352_16 Depth=1
	v_dual_mov_b32 v34, v8 :: v_dual_mov_b32 v33, v7
	v_lshrrev_b32_e32 v34, 3, v36
	s_mov_b32 s24, exec_lo
	v_cmpx_gt_u32_e32 8, v36
; %bb.1015:                             ;   in Loop: Header=BB352_16 Depth=1
	v_and_b32_e32 v33, 7, v32
	s_delay_alu instid0(VALU_DEP_1) | instskip(NEXT) | instid1(VALU_DEP_1)
	v_clz_i32_u32_e32 v33, v33
	v_min_u32_e32 v36, 32, v33
	s_delay_alu instid0(VALU_DEP_1) | instskip(NEXT) | instid1(VALU_DEP_1)
	v_subrev_nc_u32_e32 v33, 28, v36
	v_lshlrev_b64 v[33:34], v33, v[7:8]
	v_sub_nc_u32_e32 v34, 29, v36
; %bb.1016:                             ;   in Loop: Header=BB352_16 Depth=1
	s_or_b32 exec_lo, exec_lo, s24
	v_lshlrev_b32_e32 v36, 8, v32
	s_delay_alu instid0(VALU_DEP_2) | instskip(NEXT) | instid1(VALU_DEP_4)
	v_lshl_add_u32 v34, v34, 10, 0x2000
	v_lshlrev_b32_e32 v33, 7, v33
	s_delay_alu instid0(VALU_DEP_2) | instskip(NEXT) | instid1(VALU_DEP_1)
	v_and_or_b32 v34, 0x8000, v36, v34
	v_and_or_b32 v33, 0x380, v33, v34
	s_delay_alu instid0(VALU_DEP_1)
	v_cvt_f32_f16_e64 v188, v33
.LBB352_1017:                           ;   in Loop: Header=BB352_16 Depth=1
	s_or_b32 exec_lo, exec_lo, s23
.LBB352_1018:                           ;   in Loop: Header=BB352_16 Depth=1
	s_delay_alu instid0(SALU_CYCLE_1)
	s_or_b32 exec_lo, exec_lo, s22
.LBB352_1019:                           ;   in Loop: Header=BB352_16 Depth=1
	s_delay_alu instid0(SALU_CYCLE_1) | instskip(SKIP_2) | instid1(VALU_DEP_1)
	s_or_b32 exec_lo, exec_lo, s21
	v_lshrrev_b16 v7, 8, v7
	s_mov_b32 s21, exec_lo
	v_cmpx_ne_u16_e32 0, v7
	s_cbranch_execz .LBB352_1027
; %bb.1020:                             ;   in Loop: Header=BB352_16 Depth=1
	v_bfrev_b32_e32 v189, 1
	s_mov_b32 s22, exec_lo
	v_cmpx_ne_u16_e32 0x80, v7
	s_cbranch_execz .LBB352_1026
; %bb.1021:                             ;   in Loop: Header=BB352_16 Depth=1
	v_and_b32_e32 v36, 0xffff, v7
	v_mov_b32_e32 v189, 0x7fc02000
	s_mov_b32 s23, exec_lo
	s_delay_alu instid0(VALU_DEP_2) | instskip(NEXT) | instid1(VALU_DEP_1)
	v_and_b32_e32 v104, 0x7f, v36
	v_cmpx_ne_u32_e32 0x7f, v104
	s_cbranch_execz .LBB352_1025
; %bb.1022:                             ;   in Loop: Header=BB352_16 Depth=1
	v_and_b32_e32 v7, 7, v36
	v_lshrrev_b32_e32 v95, 3, v104
	v_mov_b32_e32 v34, v8
	s_mov_b32 s24, exec_lo
	s_delay_alu instid0(VALU_DEP_3)
	v_mov_b32_e32 v33, v7
	v_cmpx_gt_u32_e32 8, v104
; %bb.1023:                             ;   in Loop: Header=BB352_16 Depth=1
	v_clz_i32_u32_e32 v33, v7
	s_delay_alu instid0(VALU_DEP_1) | instskip(NEXT) | instid1(VALU_DEP_1)
	v_min_u32_e32 v95, 32, v33
	v_subrev_nc_u32_e32 v33, 28, v95
	v_sub_nc_u32_e32 v95, 29, v95
	s_delay_alu instid0(VALU_DEP_2) | instskip(NEXT) | instid1(VALU_DEP_1)
	v_lshlrev_b64 v[33:34], v33, v[7:8]
	v_and_b32_e32 v33, 7, v33
; %bb.1024:                             ;   in Loop: Header=BB352_16 Depth=1
	s_or_b32 exec_lo, exec_lo, s24
	v_lshlrev_b32_e32 v7, 8, v36
	v_lshl_add_u32 v34, v95, 10, 0x2000
	s_delay_alu instid0(VALU_DEP_1) | instskip(NEXT) | instid1(VALU_DEP_1)
	v_and_or_b32 v7, 0x8000, v7, v34
	v_lshl_or_b32 v7, v33, 7, v7
	s_delay_alu instid0(VALU_DEP_1)
	v_cvt_f32_f16_e64 v189, v7
.LBB352_1025:                           ;   in Loop: Header=BB352_16 Depth=1
	s_or_b32 exec_lo, exec_lo, s23
.LBB352_1026:                           ;   in Loop: Header=BB352_16 Depth=1
	s_delay_alu instid0(SALU_CYCLE_1)
	s_or_b32 exec_lo, exec_lo, s22
.LBB352_1027:                           ;   in Loop: Header=BB352_16 Depth=1
	s_delay_alu instid0(SALU_CYCLE_1) | instskip(SKIP_3) | instid1(VALU_DEP_2)
	s_or_b32 exec_lo, exec_lo, s21
	v_lshrrev_b32_e32 v36, 16, v32
	v_mov_b32_e32 v33, 0
	s_mov_b32 s21, exec_lo
	v_dual_mov_b32 v190, 0 :: v_dual_and_b32 v7, 0xff, v36
	s_delay_alu instid0(VALU_DEP_1)
	v_cmpx_ne_u16_e32 0, v7
	s_cbranch_execz .LBB352_1035
; %bb.1028:                             ;   in Loop: Header=BB352_16 Depth=1
	v_bfrev_b32_e32 v33, 1
	s_mov_b32 s22, exec_lo
	v_cmpx_ne_u16_e32 0x80, v7
	s_cbranch_execz .LBB352_1034
; %bb.1029:                             ;   in Loop: Header=BB352_16 Depth=1
	v_bfe_u32 v104, v32, 16, 7
	v_mov_b32_e32 v33, 0x7fc02000
	s_mov_b32 s23, exec_lo
	s_delay_alu instid0(VALU_DEP_2)
	v_cmpx_ne_u32_e32 0x7f, v104
	s_cbranch_execz .LBB352_1033
; %bb.1030:                             ;   in Loop: Header=BB352_16 Depth=1
	v_and_b32_e32 v7, 7, v36
	v_lshrrev_b32_e32 v95, 3, v104
	v_mov_b32_e32 v34, v8
	s_mov_b32 s24, exec_lo
	s_delay_alu instid0(VALU_DEP_3)
	v_mov_b32_e32 v33, v7
	v_cmpx_gt_u32_e32 8, v104
; %bb.1031:                             ;   in Loop: Header=BB352_16 Depth=1
	v_clz_i32_u32_e32 v33, v7
	s_delay_alu instid0(VALU_DEP_1) | instskip(NEXT) | instid1(VALU_DEP_1)
	v_min_u32_e32 v95, 32, v33
	v_subrev_nc_u32_e32 v33, 28, v95
	v_sub_nc_u32_e32 v95, 29, v95
	s_delay_alu instid0(VALU_DEP_2) | instskip(NEXT) | instid1(VALU_DEP_1)
	v_lshlrev_b64 v[33:34], v33, v[7:8]
	v_and_b32_e32 v33, 7, v33
; %bb.1032:                             ;   in Loop: Header=BB352_16 Depth=1
	s_or_b32 exec_lo, exec_lo, s24
	v_lshlrev_b32_e32 v7, 8, v36
	v_lshl_add_u32 v34, v95, 10, 0x2000
	s_delay_alu instid0(VALU_DEP_1) | instskip(NEXT) | instid1(VALU_DEP_1)
	v_and_or_b32 v7, 0x8000, v7, v34
	v_lshl_or_b32 v7, v33, 7, v7
	s_delay_alu instid0(VALU_DEP_1)
	v_cvt_f32_f16_e32 v33, v7
.LBB352_1033:                           ;   in Loop: Header=BB352_16 Depth=1
	s_or_b32 exec_lo, exec_lo, s23
.LBB352_1034:                           ;   in Loop: Header=BB352_16 Depth=1
	s_delay_alu instid0(SALU_CYCLE_1)
	s_or_b32 exec_lo, exec_lo, s22
.LBB352_1035:                           ;   in Loop: Header=BB352_16 Depth=1
	s_delay_alu instid0(SALU_CYCLE_1) | instskip(NEXT) | instid1(SALU_CYCLE_1)
	s_or_b32 exec_lo, exec_lo, s21
	s_mov_b32 s21, exec_lo
	v_cmpx_lt_u64_e64 s[8:9], v[31:32]
	s_cbranch_execz .LBB352_14
; %bb.1036:                             ;   in Loop: Header=BB352_16 Depth=1
	v_lshrrev_b32_e32 v34, 24, v32
	v_bfrev_b32_e32 v190, 1
	s_mov_b32 s22, exec_lo
	s_delay_alu instid0(VALU_DEP_2)
	v_cmpx_ne_u32_e32 0x80, v34
	s_cbranch_execz .LBB352_13
; %bb.1037:                             ;   in Loop: Header=BB352_16 Depth=1
	v_and_b32_e32 v95, 0x7f, v34
	v_mov_b32_e32 v190, 0x7fc02000
	s_mov_b32 s23, exec_lo
	s_delay_alu instid0(VALU_DEP_2)
	v_cmpx_ne_u32_e32 0x7f, v95
	s_cbranch_execz .LBB352_12
; %bb.1038:                             ;   in Loop: Header=BB352_16 Depth=1
	v_and_b32_e32 v7, 7, v34
	v_lshrrev_b32_e32 v36, 3, v95
	v_mov_b32_e32 v32, v8
	s_mov_b32 s24, exec_lo
	s_delay_alu instid0(VALU_DEP_3)
	v_mov_b32_e32 v31, v7
	v_cmpx_gt_u32_e32 8, v95
	s_cbranch_execz .LBB352_11
; %bb.1039:                             ;   in Loop: Header=BB352_16 Depth=1
	v_clz_i32_u32_e32 v31, v7
	s_delay_alu instid0(VALU_DEP_1) | instskip(NEXT) | instid1(VALU_DEP_1)
	v_min_u32_e32 v36, 32, v31
	v_subrev_nc_u32_e32 v31, 28, v36
	v_sub_nc_u32_e32 v36, 29, v36
	s_delay_alu instid0(VALU_DEP_2) | instskip(NEXT) | instid1(VALU_DEP_1)
	v_lshlrev_b64 v[31:32], v31, v[7:8]
	v_and_b32_e32 v31, 7, v31
	s_branch .LBB352_11
.LBB352_1040:
	s_or_b32 exec_lo, exec_lo, s20
	scratch_load_b32 v54, off, s32 offset:328 ; 4-byte Folded Reload
	v_sub_nc_u32_e32 v55, 0, v30
	v_ashrrev_i32_e32 v64, 31, v12
	v_lshlrev_b32_e32 v33, 2, v48
.LBB352_1041:
	s_or_b32 exec_lo, exec_lo, s19
	v_mbcnt_lo_u32_b32 v7, -1, 0
	s_waitcnt lgkmcnt(0)
	s_lshr_b32 s8, s18, 16
	v_max_f32_e32 v20, v67, v67
	s_delay_alu instid0(VALU_DEP_2) | instskip(SKIP_3) | instid1(VALU_DEP_4)
	v_xor_b32_e32 v8, 16, v7
	v_xor_b32_e32 v13, 8, v7
	;; [unrolled: 1-line block ×4, first 2 shown]
	v_cmp_gt_i32_e32 vcc_lo, 32, v8
	v_cndmask_b32_e32 v8, v7, v8, vcc_lo
	v_cmp_gt_i32_e32 vcc_lo, 32, v13
	v_cndmask_b32_e32 v13, v7, v13, vcc_lo
	v_cmp_gt_i32_e32 vcc_lo, 32, v21
	s_delay_alu instid0(VALU_DEP_2)
	v_lshlrev_b32_e32 v13, 2, v13
	v_lshlrev_b32_e32 v9, 2, v8
	v_cndmask_b32_e32 v21, v7, v21, vcc_lo
	ds_bpermute_b32 v8, v9, v67
	v_lshlrev_b32_e32 v24, 2, v21
	v_xor_b32_e32 v21, 2, v7
	s_delay_alu instid0(VALU_DEP_1) | instskip(SKIP_2) | instid1(VALU_DEP_2)
	v_cmp_gt_i32_e32 vcc_lo, 32, v21
	v_cndmask_b32_e32 v21, v7, v21, vcc_lo
	v_cmp_gt_i32_e32 vcc_lo, 32, v25
	v_lshlrev_b32_e32 v21, 2, v21
	v_cndmask_b32_e32 v25, v7, v25, vcc_lo
	v_cmp_eq_u32_e32 vcc_lo, 0, v48
	s_waitcnt lgkmcnt(0)
	v_max_f32_e32 v8, v8, v8
	s_delay_alu instid0(VALU_DEP_1) | instskip(SKIP_3) | instid1(VALU_DEP_1)
	v_max_f32_e32 v8, v20, v8
	ds_bpermute_b32 v20, v13, v8
	s_waitcnt lgkmcnt(0)
	v_max_f32_e32 v20, v20, v20
	v_max_f32_e32 v8, v8, v20
	ds_bpermute_b32 v20, v24, v8
	s_waitcnt lgkmcnt(0)
	v_max_f32_e32 v20, v20, v20
	s_delay_alu instid0(VALU_DEP_1) | instskip(SKIP_3) | instid1(VALU_DEP_1)
	v_max_f32_e32 v8, v8, v20
	ds_bpermute_b32 v20, v21, v8
	s_waitcnt lgkmcnt(0)
	v_max_f32_e32 v20, v20, v20
	v_dual_max_f32 v7, v8, v20 :: v_dual_lshlrev_b32 v20, 2, v25
	v_lshlrev_b32_e32 v25, 2, v39
	ds_bpermute_b32 v8, v20, v7
	s_and_saveexec_b32 s1, vcc_lo
	s_cbranch_execz .LBB352_1043
; %bb.1042:
	s_waitcnt lgkmcnt(0)
	v_dual_max_f32 v8, v8, v8 :: v_dual_max_f32 v7, v7, v7
	s_delay_alu instid0(VALU_DEP_1)
	v_max_f32_e32 v7, v7, v8
	ds_store_b32 v25, v7 offset:256
.LBB352_1043:
	s_or_b32 exec_lo, exec_lo, s1
	v_cmp_gt_u32_e64 s1, 4, v48
	v_mov_b32_e32 v7, 0xff7fffff
	s_waitcnt vmcnt(0) lgkmcnt(0)
	s_waitcnt_vscnt null, 0x0
	s_barrier
	buffer_gl0_inv
	s_and_saveexec_b32 s2, s1
	s_cbranch_execz .LBB352_1045
; %bb.1044:
	ds_load_b32 v7, v33 offset:256
.LBB352_1045:
	s_or_b32 exec_lo, exec_lo, s2
	s_waitcnt lgkmcnt(0)
	ds_bpermute_b32 v8, v21, v7
	v_max_f32_e32 v7, v7, v7
	v_subrev_nc_u32_e32 v29, s13, v52
	v_mov_b32_e32 v28, 0
	s_waitcnt lgkmcnt(0)
	v_max_f32_e32 v8, v8, v8
	s_delay_alu instid0(VALU_DEP_1) | instskip(SKIP_3) | instid1(VALU_DEP_1)
	v_max_f32_e32 v7, v7, v8
	ds_bpermute_b32 v8, v20, v7
	s_waitcnt lgkmcnt(0)
	v_max_f32_e32 v8, v8, v8
	v_max_f32_e32 v7, v7, v8
	v_lshl_add_u32 v8, v29, 5, s3
	ds_bpermute_b32 v7, v28, v7
	v_min_i32_e32 v8, v8, v38
	s_delay_alu instid0(VALU_DEP_1) | instskip(NEXT) | instid1(VALU_DEP_1)
	v_subrev_nc_u32_e32 v8, s3, v8
	v_cmp_lt_i32_e64 s2, v37, v8
	s_delay_alu instid0(VALU_DEP_1)
	s_and_saveexec_b32 s9, s2
	s_cbranch_execz .LBB352_1049
; %bb.1046:
	s_getpc_b64 s[16:17]
	s_add_u32 s16, s16, llvm.amdgcn.dynlds.offset.table@rel32@lo+4
	s_addc_u32 s17, s17, llvm.amdgcn.dynlds.offset.table@rel32@hi+12
	s_ashr_i32 s7, s6, 31
	v_dual_mov_b32 v28, 0 :: v_dual_mov_b32 v31, v37
	s_lshl_b64 s[18:19], s[6:7], 2
	s_mov_b32 s7, 0
	s_add_u32 s16, s18, s16
	s_addc_u32 s17, s19, s17
	s_load_b32 s3, s[16:17], 0x0
	s_waitcnt lgkmcnt(0)
	v_lshl_add_u32 v29, v37, 2, s3
	.p2align	6
.LBB352_1047:                           ; =>This Inner Loop Header: Depth=1
	ds_load_b32 v32, v29
	s_waitcnt lgkmcnt(0)
	v_sub_f32_e32 v32, v32, v7
	s_delay_alu instid0(VALU_DEP_1) | instskip(NEXT) | instid1(VALU_DEP_1)
	v_mul_f32_e32 v32, 0x3fb8aa3b, v32
	v_exp_f32_e32 v32, v32
	s_waitcnt_depctr 0xfff
	v_dual_add_f32 v28, v28, v32 :: v_dual_add_nc_u32 v31, 0x80, v31
	s_delay_alu instid0(VALU_DEP_1) | instskip(SKIP_3) | instid1(SALU_CYCLE_1)
	v_cmp_ge_i32_e64 s3, v31, v8
	ds_store_b32 v29, v32
	v_add_nc_u32_e32 v29, 0x200, v29
	s_or_b32 s7, s3, s7
	s_and_not1_b32 exec_lo, exec_lo, s7
	s_cbranch_execnz .LBB352_1047
; %bb.1048:
	s_or_b32 exec_lo, exec_lo, s7
.LBB352_1049:
	s_delay_alu instid0(SALU_CYCLE_1)
	s_or_b32 exec_lo, exec_lo, s9
	ds_bpermute_b32 v9, v9, v28
	s_waitcnt lgkmcnt(0)
	v_add_f32_e32 v9, v28, v9
	ds_bpermute_b32 v13, v13, v9
	s_waitcnt lgkmcnt(0)
	v_add_f32_e32 v9, v9, v13
	;; [unrolled: 3-line block ×5, first 2 shown]
	s_and_saveexec_b32 s3, vcc_lo
	s_cbranch_execz .LBB352_1051
; %bb.1050:
	ds_store_b32 v25, v9 offset:272
.LBB352_1051:
	s_or_b32 exec_lo, exec_lo, s3
	s_waitcnt lgkmcnt(0)
	s_barrier
	buffer_gl0_inv
	s_and_saveexec_b32 s3, s1
	s_cbranch_execz .LBB352_1053
; %bb.1052:
	ds_load_b32 v9, v33 offset:272
.LBB352_1053:
	s_or_b32 exec_lo, exec_lo, s3
	s_waitcnt lgkmcnt(0)
	ds_bpermute_b32 v13, v21, v9
	s_waitcnt lgkmcnt(0)
	v_add_f32_e32 v9, v9, v13
	ds_bpermute_b32 v13, v20, v9
	s_waitcnt lgkmcnt(0)
	v_add_f32_e32 v9, v9, v13
	v_mov_b32_e32 v13, 0
	ds_bpermute_b32 v9, v13, v9
	s_and_saveexec_b32 s1, s2
	s_cbranch_execz .LBB352_1056
; %bb.1054:
	s_waitcnt lgkmcnt(0)
	v_add_f32_e32 v24, 0x358637bd, v9
	s_getpc_b64 s[2:3]
	s_add_u32 s2, s2, llvm.amdgcn.dynlds.offset.table@rel32@lo+4
	s_addc_u32 s3, s3, llvm.amdgcn.dynlds.offset.table@rel32@hi+12
	s_ashr_i32 s7, s6, 31
	s_delay_alu instid0(SALU_CYCLE_1) | instskip(SKIP_3) | instid1(VALU_DEP_2)
	s_lshl_b64 s[16:17], s[6:7], 2
	v_div_scale_f32 v13, null, v24, v24, 1.0
	v_div_scale_f32 v29, vcc_lo, 1.0, v24, 1.0
	s_add_u32 s2, s16, s2
	v_rcp_f32_e32 v25, v13
	s_addc_u32 s3, s17, s3
	s_load_b32 s2, s[2:3], 0x0
	s_waitcnt_depctr 0xfff
	v_fma_f32 v28, -v13, v25, 1.0
	s_delay_alu instid0(VALU_DEP_1) | instskip(NEXT) | instid1(VALU_DEP_1)
	v_fmac_f32_e32 v25, v28, v25
	v_mul_f32_e32 v28, v29, v25
	s_delay_alu instid0(VALU_DEP_1) | instskip(NEXT) | instid1(VALU_DEP_1)
	v_fma_f32 v31, -v13, v28, v29
	v_fmac_f32_e32 v28, v31, v25
	s_delay_alu instid0(VALU_DEP_1) | instskip(NEXT) | instid1(VALU_DEP_1)
	v_fma_f32 v13, -v13, v28, v29
	v_div_fmas_f32 v25, v13, v25, v28
	s_waitcnt lgkmcnt(0)
	v_lshl_add_u32 v13, v37, 2, s2
	s_mov_b32 s2, 0
	s_delay_alu instid0(VALU_DEP_2)
	v_div_fixup_f32 v24, v25, v24, 1.0
	v_mov_b32_e32 v25, v37
.LBB352_1055:                           ; =>This Inner Loop Header: Depth=1
	ds_load_b32 v28, v13
	s_waitcnt lgkmcnt(0)
	v_dual_mul_f32 v28, v24, v28 :: v_dual_add_nc_u32 v25, 0x80, v25
	s_delay_alu instid0(VALU_DEP_1) | instskip(SKIP_3) | instid1(SALU_CYCLE_1)
	v_cmp_ge_i32_e32 vcc_lo, v25, v8
	ds_store_b32 v13, v28
	v_add_nc_u32_e32 v13, 0x200, v13
	s_or_b32 s2, vcc_lo, s2
	s_and_not1_b32 exec_lo, exec_lo, s2
	s_cbranch_execnz .LBB352_1055
.LBB352_1056:
	s_or_b32 exec_lo, exec_lo, s1
	v_cmp_ne_u16_e64 s1, s8, 0
	s_waitcnt lgkmcnt(0)
	s_barrier
	buffer_gl0_inv
	s_cmp_lg_u32 s1, 0
	s_addc_u32 s1, s5, 0
	s_mov_b32 s5, exec_lo
	s_mul_i32 s2, s1, s10
	s_delay_alu instid0(SALU_CYCLE_1)
	s_mul_i32 s2, s2, s15
	v_cmpx_eq_u32_e32 0, v37
	s_cbranch_execz .LBB352_1058
; %bb.1057:
	s_mul_i32 s8, s1, s12
	s_ashr_i32 s15, s14, 31
	s_ashr_i32 s9, s8, 31
	s_ashr_i32 s3, s2, 31
	s_lshl_b64 s[8:9], s[8:9], 2
	s_lshl_b64 s[12:13], s[14:15], 2
	;; [unrolled: 1-line block ×3, first 2 shown]
	s_add_u32 s3, s12, s8
	s_addc_u32 s7, s13, s9
	s_add_u32 s3, s3, s16
	s_addc_u32 s7, s7, s17
	v_add_co_u32 v2, vcc_lo, s3, v2
	v_add_co_ci_u32_e32 v3, vcc_lo, s7, v3, vcc_lo
	v_add_co_u32 v0, vcc_lo, s3, v0
	v_add_co_ci_u32_e32 v1, vcc_lo, s7, v1, vcc_lo
	flat_store_b32 v[2:3], v7
	flat_store_b32 v[0:1], v9
.LBB352_1058:
	s_or_b32 exec_lo, exec_lo, s5
	s_ashr_i32 s7, s6, 31
	s_getpc_b64 s[8:9]
	s_add_u32 s8, s8, llvm.amdgcn.dynlds.offset.table@rel32@lo+4
	s_addc_u32 s9, s9, llvm.amdgcn.dynlds.offset.table@rel32@hi+12
	s_lshl_b64 s[6:7], s[6:7], 2
	v_dual_mov_b32 v70, 0 :: v_dual_mov_b32 v71, 0
	v_dual_mov_b32 v69, 0 :: v_dual_and_b32 v24, 3, v37
	v_dual_mov_b32 v68, 0 :: v_dual_mov_b32 v67, 0
	v_dual_mov_b32 v66, 0 :: v_dual_mov_b32 v65, 0
	;; [unrolled: 1-line block ×6, first 2 shown]
	v_mov_b32_e32 v25, 0
	s_add_u32 s6, s6, s8
	s_addc_u32 s7, s7, s9
	s_mov_b32 s5, 0
	s_and_saveexec_b32 s3, s0
	s_cbranch_execz .LBB352_2120
; %bb.1059:
	v_max_i32_e32 v30, v30, v55
	v_add_co_u32 v7, vcc_lo, v10, v12
	v_add_co_ci_u32_e32 v8, vcc_lo, v11, v64, vcc_lo
	s_delay_alu instid0(VALU_DEP_3)
	v_cvt_f32_u32_e32 v1, v30
	v_sub_nc_u32_e32 v11, 0, v30
	s_load_b32 s0, s[6:7], 0x0
	v_lshlrev_b32_e32 v0, 3, v37
	v_lshlrev_b64 v[2:3], 2, v[16:17]
	v_rcp_iflag_f32_e32 v9, v1
	v_dual_mov_b32 v1, 0 :: v_dual_mov_b32 v28, 0
	v_dual_mov_b32 v25, 0 :: v_dual_lshlrev_b32 v10, 5, v24
	v_mov_b32_e32 v35, 0
	v_dual_mov_b32 v66, 0 :: v_dual_and_b32 v17, 24, v0
	v_and_b32_e32 v0, 0xf8, v0
	v_add_co_u32 v12, vcc_lo, v18, v2
	s_delay_alu instid0(TRANS32_DEP_1) | instskip(SKIP_3) | instid1(VALU_DEP_4)
	v_mul_f32_e32 v9, 0x4f7ffffe, v9
	v_add_co_ci_u32_e32 v13, vcc_lo, v19, v3, vcc_lo
	v_lshl_or_b32 v10, v39, 7, v10
	v_add_co_u32 v2, vcc_lo, v7, v0
	v_cvt_u32_f32_e32 v9, v9
	v_add_co_ci_u32_e32 v3, vcc_lo, 0, v8, vcc_lo
	v_add_co_u32 v7, vcc_lo, v14, v12
	s_delay_alu instid0(VALU_DEP_3)
	v_mul_lo_u32 v11, v11, v9
	v_dual_mov_b32 v55, v38 :: v_dual_add_nc_u32 v54, -1, v54
	v_dual_mov_b32 v29, 0 :: v_dual_mov_b32 v32, 0
	v_dual_mov_b32 v31, 0 :: v_dual_mov_b32 v34, 0
	;; [unrolled: 1-line block ×3, first 2 shown]
	v_mul_hi_u32 v11, v9, v11
	v_add_co_ci_u32_e32 v8, vcc_lo, v15, v13, vcc_lo
	s_waitcnt lgkmcnt(0)
	v_dual_mov_b32 v68, 0 :: v_dual_add_nc_u32 v15, s0, v10
	v_mov_b32_e32 v65, 0
	v_dual_mov_b32 v67, 0 :: v_dual_mov_b32 v70, 0
	v_dual_mov_b32 v69, 0 :: v_dual_add_nc_u32 v18, v9, v11
	v_mov_b32_e32 v71, 0
	s_mov_b32 s8, -1
	s_mov_b32 s9, 0xffffff
	s_branch .LBB352_1062
.LBB352_1060:                           ;   in Loop: Header=BB352_1062 Depth=1
	s_or_b32 exec_lo, exec_lo, s0
	v_dual_add_f32 v12, v13, v14 :: v_dual_add_f32 v13, v148, v149
	v_dual_add_f32 v14, v146, v147 :: v_dual_add_f32 v19, v144, v145
	v_add_f32_e32 v64, v134, v135
	s_delay_alu instid0(VALU_DEP_3) | instskip(NEXT) | instid1(VALU_DEP_3)
	v_dual_add_f32 v28, v28, v12 :: v_dual_add_f32 v29, v29, v13
	v_dual_add_f32 v31, v31, v14 :: v_dual_add_f32 v12, v132, v133
	s_delay_alu instid0(VALU_DEP_3)
	v_add_f32_e32 v33, v33, v64
	v_add_f32_e32 v13, v128, v129
	;;#ASMSTART
	v_pk_mul_f16 v11, v97, v11;

	;;#ASMEND
	;;#ASMSTART
	v_pk_mul_f16 v10, v87, v10;

	;;#ASMEND
	v_add_f32_e32 v34, v34, v12
	v_add_f32_e32 v12, v130, v131
	;; [unrolled: 1-line block ×4, first 2 shown]
	;;#ASMSTART
	v_pk_mul_f16 v0, v86, v0;

	;;#ASMEND
	;;#ASMSTART
	v_pk_mul_f16 v9, v85, v9;

	;;#ASMEND
	v_add_f32_e32 v35, v35, v12
	;;#ASMSTART
	v_pk_add_f16 v10, v11, v10;

	;;#ASMEND
	;;#ASMSTART
	v_pk_add_f16 v0, v10, v0;

	;;#ASMEND
	;; [unrolled: 4-line block ×3, first 2 shown]
	v_dual_add_f32 v36, v36, v13 :: v_dual_and_b32 v9, 0xffff, v0
	v_lshrrev_b32_e32 v0, 16, v0
	;;#ASMSTART
	v_cvt_f32_f16 v9, v9;
	;;#ASMEND
	;;#ASMSTART
	v_cvt_f32_f16 v0, v0;
	;;#ASMEND
	v_add_f32_e32 v64, v114, v115
	v_add_f32_e32 v14, v118, v119
	v_dual_add_f32 v66, v66, v19 :: v_dual_add_f32 v11, v100, v101
	v_dual_add_f32 v10, v102, v103 :: v_dual_add_f32 v13, v80, v82
	v_add_f32_e32 v12, v112, v113
	s_delay_alu instid0(VALU_DEP_3) | instskip(SKIP_2) | instid1(VALU_DEP_4)
	v_dual_add_f32 v0, v9, v0 :: v_dual_add_f32 v71, v71, v11
	v_add_f32_e32 v67, v67, v64
	v_add_f32_e32 v65, v65, v14
	v_dual_add_f32 v69, v69, v10 :: v_dual_add_f32 v68, v68, v12
	s_delay_alu instid0(VALU_DEP_4)
	v_dual_add_f32 v70, v70, v13 :: v_dual_add_f32 v25, v25, v0
.LBB352_1061:                           ;   in Loop: Header=BB352_1062 Depth=1
	s_or_b32 exec_lo, exec_lo, s10
	v_add_nc_u32_e32 v16, 4, v16
	v_add_co_u32 v7, s0, v7, 16
	s_delay_alu instid0(VALU_DEP_1) | instskip(NEXT) | instid1(VALU_DEP_3)
	v_add_co_ci_u32_e64 v8, s0, 0, v8, s0
	v_cmp_ge_i32_e32 vcc_lo, v16, v52
	v_add_nc_u32_e32 v23, 0x80, v23
	v_add_nc_u32_e32 v15, 0x200, v15
	s_or_b32 s5, vcc_lo, s5
	s_delay_alu instid0(SALU_CYCLE_1)
	s_and_not1_b32 exec_lo, exec_lo, s5
	s_cbranch_execz .LBB352_2119
.LBB352_1062:                           ; =>This Inner Loop Header: Depth=1
	v_sub_nc_u32_e32 v0, 0, v23
	s_delay_alu instid0(VALU_DEP_1) | instskip(NEXT) | instid1(VALU_DEP_1)
	v_max_i32_e32 v0, v23, v0
	v_mul_hi_u32 v9, v0, v50
	s_delay_alu instid0(VALU_DEP_1) | instskip(NEXT) | instid1(VALU_DEP_1)
	v_mul_lo_u32 v10, v9, v49
	v_sub_nc_u32_e32 v0, v0, v10
	v_add_nc_u32_e32 v10, 1, v9
	s_delay_alu instid0(VALU_DEP_2) | instskip(SKIP_1) | instid1(VALU_DEP_2)
	v_sub_nc_u32_e32 v11, v0, v49
	v_cmp_ge_u32_e32 vcc_lo, v0, v49
	v_dual_cndmask_b32 v9, v9, v10 :: v_dual_cndmask_b32 v0, v0, v11
	v_ashrrev_i32_e32 v10, 31, v23
	s_delay_alu instid0(VALU_DEP_2) | instskip(NEXT) | instid1(VALU_DEP_3)
	v_add_nc_u32_e32 v11, 1, v9
	v_cmp_ge_u32_e32 vcc_lo, v0, v49
	s_delay_alu instid0(VALU_DEP_3) | instskip(NEXT) | instid1(VALU_DEP_3)
	v_xor_b32_e32 v10, v10, v51
	v_cndmask_b32_e32 v0, v9, v11, vcc_lo
	s_delay_alu instid0(VALU_DEP_1) | instskip(NEXT) | instid1(VALU_DEP_1)
	v_xor_b32_e32 v0, v0, v10
	v_sub_nc_u32_e32 v0, v0, v10
	s_delay_alu instid0(VALU_DEP_1) | instskip(SKIP_1) | instid1(VALU_DEP_2)
	v_add_nc_u32_e32 v9, v0, v6
	v_cmp_gt_i32_e64 s0, v0, v53
	v_sub_nc_u32_e32 v10, 0, v9
	s_delay_alu instid0(VALU_DEP_1) | instskip(NEXT) | instid1(VALU_DEP_1)
	v_max_i32_e32 v10, v9, v10
	v_mul_hi_u32 v11, v10, v18
	s_delay_alu instid0(VALU_DEP_1) | instskip(NEXT) | instid1(VALU_DEP_1)
	v_mul_lo_u32 v11, v11, v30
	v_sub_nc_u32_e32 v10, v10, v11
	s_delay_alu instid0(VALU_DEP_1) | instskip(SKIP_1) | instid1(VALU_DEP_2)
	v_sub_nc_u32_e32 v11, v10, v30
	v_cmp_ge_u32_e32 vcc_lo, v10, v30
	v_cndmask_b32_e32 v10, v10, v11, vcc_lo
	v_ashrrev_i32_e32 v9, 31, v9
	s_delay_alu instid0(VALU_DEP_2) | instskip(SKIP_1) | instid1(VALU_DEP_2)
	v_sub_nc_u32_e32 v11, v10, v30
	v_cmp_ge_u32_e32 vcc_lo, v10, v30
	v_cndmask_b32_e32 v10, v10, v11, vcc_lo
	s_delay_alu instid0(VALU_DEP_1) | instskip(NEXT) | instid1(VALU_DEP_1)
	v_xor_b32_e32 v10, v10, v9
	v_sub_nc_u32_e32 v9, v10, v9
	s_delay_alu instid0(VALU_DEP_1) | instskip(SKIP_1) | instid1(SALU_CYCLE_1)
	v_cmp_eq_u32_e32 vcc_lo, 0, v9
	s_or_b32 s0, vcc_lo, s0
	s_and_saveexec_b32 s10, s0
	s_cbranch_execz .LBB352_1061
; %bb.1063:                             ;   in Loop: Header=BB352_1062 Depth=1
	flat_load_b32 v0, v[7:8]
	ds_load_2addr_b64 v[10:13], v15 offset1:1
	ds_load_2addr_b64 v[97:100], v15 offset0:2 offset1:3
	v_mov_b32_e32 v81, 0
	s_mov_b32 s0, exec_lo
	s_waitcnt lgkmcnt(1)
	;;#ASMSTART
	v_cvt_f16_f32 v80, v10;

	;;#ASMEND
	;;#ASMSTART
	v_cvt_f16_f32 v82, v11;

	;;#ASMEND
	;; [unrolled: 4-line block ×4, first 2 shown]
	s_waitcnt lgkmcnt(0)
	;;#ASMSTART
	v_cvt_f16_f32 v97, v97;

	;;#ASMEND
	;;#ASMSTART
	v_cvt_f16_f32 v86, v98;

	;;#ASMEND
	;; [unrolled: 4-line block ×4, first 2 shown]
	v_mov_b32_e32 v19, 0
	s_waitcnt vmcnt(0)
	v_mad_i64_i32 v[9:10], null, v0, v22, v[2:3]
	flat_load_b64 v[11:12], v[9:10]
	flat_load_b32 v64, v[26:27]
	s_waitcnt vmcnt(1) lgkmcnt(1)
	v_and_b32_e32 v0, 0xff, v11
	s_delay_alu instid0(VALU_DEP_1)
	v_cmpx_ne_u16_e32 0, v0
	s_cbranch_execz .LBB352_1071
; %bb.1064:                             ;   in Loop: Header=BB352_1062 Depth=1
	v_bfrev_b32_e32 v81, 1
	s_mov_b32 s12, exec_lo
	v_cmpx_ne_u16_e32 0x80, v0
	s_cbranch_execz .LBB352_1070
; %bb.1065:                             ;   in Loop: Header=BB352_1062 Depth=1
	v_and_b32_e32 v13, 0x7f, v11
	v_mov_b32_e32 v81, 0x7fc02000
	s_mov_b32 s13, exec_lo
	s_delay_alu instid0(VALU_DEP_2)
	v_cmpx_ne_u32_e32 0x7f, v13
	s_cbranch_execz .LBB352_1069
; %bb.1066:                             ;   in Loop: Header=BB352_1062 Depth=1
	v_lshrrev_b32_e32 v0, 3, v13
	v_cmp_gt_u32_e32 vcc_lo, 8, v13
	v_dual_mov_b32 v14, v12 :: v_dual_mov_b32 v13, v11
	s_and_saveexec_b32 s15, vcc_lo
; %bb.1067:                             ;   in Loop: Header=BB352_1062 Depth=1
	v_and_b32_e32 v0, 7, v11
	s_delay_alu instid0(VALU_DEP_1) | instskip(NEXT) | instid1(VALU_DEP_1)
	v_clz_i32_u32_e32 v0, v0
	v_min_u32_e32 v0, 32, v0
	s_delay_alu instid0(VALU_DEP_1) | instskip(SKIP_1) | instid1(VALU_DEP_2)
	v_subrev_nc_u32_e32 v13, 28, v0
	v_sub_nc_u32_e32 v0, 29, v0
	v_lshlrev_b64 v[13:14], v13, v[11:12]
; %bb.1068:                             ;   in Loop: Header=BB352_1062 Depth=1
	s_or_b32 exec_lo, exec_lo, s15
	v_lshlrev_b32_e32 v14, 8, v11
	s_delay_alu instid0(VALU_DEP_3) | instskip(NEXT) | instid1(VALU_DEP_3)
	v_lshl_add_u32 v0, v0, 10, 0x2000
	v_lshlrev_b32_e32 v13, 7, v13
	s_delay_alu instid0(VALU_DEP_2) | instskip(NEXT) | instid1(VALU_DEP_1)
	v_and_or_b32 v0, 0x8000, v14, v0
	v_and_or_b32 v0, 0x380, v13, v0
	s_delay_alu instid0(VALU_DEP_1)
	v_cvt_f32_f16_e32 v81, v0
.LBB352_1069:                           ;   in Loop: Header=BB352_1062 Depth=1
	s_or_b32 exec_lo, exec_lo, s13
.LBB352_1070:                           ;   in Loop: Header=BB352_1062 Depth=1
	s_delay_alu instid0(SALU_CYCLE_1)
	s_or_b32 exec_lo, exec_lo, s12
.LBB352_1071:                           ;   in Loop: Header=BB352_1062 Depth=1
	s_delay_alu instid0(SALU_CYCLE_1) | instskip(SKIP_2) | instid1(VALU_DEP_1)
	s_or_b32 exec_lo, exec_lo, s0
	v_lshrrev_b16 v0, 8, v11
	s_mov_b32 s0, exec_lo
	v_cmpx_ne_u16_e32 0, v0
	s_cbranch_execz .LBB352_1079
; %bb.1072:                             ;   in Loop: Header=BB352_1062 Depth=1
	v_bfrev_b32_e32 v19, 1
	s_mov_b32 s12, exec_lo
	v_cmpx_ne_u16_e32 0x80, v0
	s_cbranch_execz .LBB352_1078
; %bb.1073:                             ;   in Loop: Header=BB352_1062 Depth=1
	v_and_b32_e32 v83, 0xffff, v0
	v_mov_b32_e32 v19, 0x7fc02000
	s_mov_b32 s13, exec_lo
	s_delay_alu instid0(VALU_DEP_2) | instskip(NEXT) | instid1(VALU_DEP_1)
	v_and_b32_e32 v13, 0x7f, v83
	v_cmpx_ne_u32_e32 0x7f, v13
	s_cbranch_execz .LBB352_1077
; %bb.1074:                             ;   in Loop: Header=BB352_1062 Depth=1
	v_and_b32_e32 v0, 7, v83
	v_lshrrev_b32_e32 v19, 3, v13
	v_cmp_gt_u32_e32 vcc_lo, 8, v13
	s_delay_alu instid0(VALU_DEP_3)
	v_dual_mov_b32 v14, v1 :: v_dual_mov_b32 v13, v0
	s_and_saveexec_b32 s15, vcc_lo
; %bb.1075:                             ;   in Loop: Header=BB352_1062 Depth=1
	v_clz_i32_u32_e32 v13, v0
	s_delay_alu instid0(VALU_DEP_1) | instskip(NEXT) | instid1(VALU_DEP_1)
	v_min_u32_e32 v19, 32, v13
	v_subrev_nc_u32_e32 v13, 28, v19
	v_sub_nc_u32_e32 v19, 29, v19
	s_delay_alu instid0(VALU_DEP_2) | instskip(NEXT) | instid1(VALU_DEP_1)
	v_lshlrev_b64 v[13:14], v13, v[0:1]
	v_and_b32_e32 v13, 7, v13
; %bb.1076:                             ;   in Loop: Header=BB352_1062 Depth=1
	s_or_b32 exec_lo, exec_lo, s15
	v_lshlrev_b32_e32 v0, 8, v83
	v_lshl_add_u32 v14, v19, 10, 0x2000
	s_delay_alu instid0(VALU_DEP_1) | instskip(NEXT) | instid1(VALU_DEP_1)
	v_and_or_b32 v0, 0x8000, v0, v14
	v_lshl_or_b32 v0, v13, 7, v0
	s_delay_alu instid0(VALU_DEP_1)
	v_cvt_f32_f16_e32 v19, v0
.LBB352_1077:                           ;   in Loop: Header=BB352_1062 Depth=1
	s_or_b32 exec_lo, exec_lo, s13
.LBB352_1078:                           ;   in Loop: Header=BB352_1062 Depth=1
	s_delay_alu instid0(SALU_CYCLE_1)
	s_or_b32 exec_lo, exec_lo, s12
.LBB352_1079:                           ;   in Loop: Header=BB352_1062 Depth=1
	s_delay_alu instid0(SALU_CYCLE_1) | instskip(SKIP_3) | instid1(VALU_DEP_2)
	s_or_b32 exec_lo, exec_lo, s0
	v_lshrrev_b32_e32 v96, 16, v11
	v_mov_b32_e32 v84, 0
	s_mov_b32 s0, exec_lo
	v_dual_mov_b32 v83, 0 :: v_dual_and_b32 v0, 0xff, v96
	s_delay_alu instid0(VALU_DEP_1)
	v_cmpx_ne_u16_e32 0, v0
	s_cbranch_execz .LBB352_1087
; %bb.1080:                             ;   in Loop: Header=BB352_1062 Depth=1
	v_bfrev_b32_e32 v83, 1
	s_mov_b32 s12, exec_lo
	v_cmpx_ne_u16_e32 0x80, v0
	s_cbranch_execz .LBB352_1086
; %bb.1081:                             ;   in Loop: Header=BB352_1062 Depth=1
	v_bfe_u32 v13, v11, 16, 7
	v_mov_b32_e32 v83, 0x7fc02000
	s_mov_b32 s13, exec_lo
	s_delay_alu instid0(VALU_DEP_2)
	v_cmpx_ne_u32_e32 0x7f, v13
	s_cbranch_execz .LBB352_1085
; %bb.1082:                             ;   in Loop: Header=BB352_1062 Depth=1
	v_and_b32_e32 v0, 7, v96
	v_lshrrev_b32_e32 v83, 3, v13
	v_cmp_gt_u32_e32 vcc_lo, 8, v13
	s_delay_alu instid0(VALU_DEP_3)
	v_dual_mov_b32 v14, v1 :: v_dual_mov_b32 v13, v0
	s_and_saveexec_b32 s15, vcc_lo
; %bb.1083:                             ;   in Loop: Header=BB352_1062 Depth=1
	v_clz_i32_u32_e32 v13, v0
	s_delay_alu instid0(VALU_DEP_1) | instskip(NEXT) | instid1(VALU_DEP_1)
	v_min_u32_e32 v83, 32, v13
	v_subrev_nc_u32_e32 v13, 28, v83
	v_sub_nc_u32_e32 v83, 29, v83
	s_delay_alu instid0(VALU_DEP_2) | instskip(NEXT) | instid1(VALU_DEP_1)
	v_lshlrev_b64 v[13:14], v13, v[0:1]
	v_and_b32_e32 v13, 7, v13
; %bb.1084:                             ;   in Loop: Header=BB352_1062 Depth=1
	s_or_b32 exec_lo, exec_lo, s15
	v_lshlrev_b32_e32 v0, 8, v96
	v_lshl_add_u32 v14, v83, 10, 0x2000
	s_delay_alu instid0(VALU_DEP_1) | instskip(NEXT) | instid1(VALU_DEP_1)
	v_and_or_b32 v0, 0x8000, v0, v14
	v_lshl_or_b32 v0, v13, 7, v0
	s_delay_alu instid0(VALU_DEP_1)
	v_cvt_f32_f16_e32 v83, v0
.LBB352_1085:                           ;   in Loop: Header=BB352_1062 Depth=1
	s_or_b32 exec_lo, exec_lo, s13
.LBB352_1086:                           ;   in Loop: Header=BB352_1062 Depth=1
	s_delay_alu instid0(SALU_CYCLE_1)
	s_or_b32 exec_lo, exec_lo, s12
.LBB352_1087:                           ;   in Loop: Header=BB352_1062 Depth=1
	s_delay_alu instid0(SALU_CYCLE_1) | instskip(NEXT) | instid1(SALU_CYCLE_1)
	s_or_b32 exec_lo, exec_lo, s0
	s_mov_b32 s0, exec_lo
	v_cmpx_lt_u32_e32 0xffffff, v11
	s_cbranch_execz .LBB352_1095
; %bb.1088:                             ;   in Loop: Header=BB352_1062 Depth=1
	v_lshrrev_b32_e32 v96, 24, v11
	v_bfrev_b32_e32 v84, 1
	s_mov_b32 s12, exec_lo
	s_delay_alu instid0(VALU_DEP_2)
	v_cmpx_ne_u32_e32 0x80, v96
	s_cbranch_execz .LBB352_1094
; %bb.1089:                             ;   in Loop: Header=BB352_1062 Depth=1
	v_and_b32_e32 v13, 0x7f, v96
	v_mov_b32_e32 v84, 0x7fc02000
	s_mov_b32 s13, exec_lo
	s_delay_alu instid0(VALU_DEP_2)
	v_cmpx_ne_u32_e32 0x7f, v13
	s_cbranch_execz .LBB352_1093
; %bb.1090:                             ;   in Loop: Header=BB352_1062 Depth=1
	v_and_b32_e32 v0, 7, v96
	v_lshrrev_b32_e32 v84, 3, v13
	v_cmp_gt_u32_e32 vcc_lo, 8, v13
	s_delay_alu instid0(VALU_DEP_3)
	v_dual_mov_b32 v14, v1 :: v_dual_mov_b32 v13, v0
	s_and_saveexec_b32 s15, vcc_lo
; %bb.1091:                             ;   in Loop: Header=BB352_1062 Depth=1
	v_clz_i32_u32_e32 v13, v0
	s_delay_alu instid0(VALU_DEP_1) | instskip(NEXT) | instid1(VALU_DEP_1)
	v_min_u32_e32 v84, 32, v13
	v_subrev_nc_u32_e32 v13, 28, v84
	v_sub_nc_u32_e32 v84, 29, v84
	s_delay_alu instid0(VALU_DEP_2) | instskip(NEXT) | instid1(VALU_DEP_1)
	v_lshlrev_b64 v[13:14], v13, v[0:1]
	v_and_b32_e32 v13, 7, v13
; %bb.1092:                             ;   in Loop: Header=BB352_1062 Depth=1
	s_or_b32 exec_lo, exec_lo, s15
	v_lshlrev_b32_e32 v0, 8, v96
	v_lshl_add_u32 v14, v84, 10, 0x2000
	s_delay_alu instid0(VALU_DEP_1) | instskip(NEXT) | instid1(VALU_DEP_1)
	v_and_or_b32 v0, 0x8000, v0, v14
	v_lshl_or_b32 v0, v13, 7, v0
	s_delay_alu instid0(VALU_DEP_1)
	v_cvt_f32_f16_e32 v84, v0
.LBB352_1093:                           ;   in Loop: Header=BB352_1062 Depth=1
	s_or_b32 exec_lo, exec_lo, s13
.LBB352_1094:                           ;   in Loop: Header=BB352_1062 Depth=1
	s_delay_alu instid0(SALU_CYCLE_1)
	s_or_b32 exec_lo, exec_lo, s12
.LBB352_1095:                           ;   in Loop: Header=BB352_1062 Depth=1
	s_delay_alu instid0(SALU_CYCLE_1) | instskip(SKIP_4) | instid1(VALU_DEP_3)
	s_or_b32 exec_lo, exec_lo, s0
	v_dual_mov_b32 v0, v12 :: v_dual_and_b32 v13, 0xff, v12
	v_mov_b32_e32 v98, 0
	v_mov_b32_e32 v96, 0
	s_mov_b32 s0, exec_lo
	v_cmpx_ne_u16_e32 0, v13
	s_cbranch_execz .LBB352_1103
; %bb.1096:                             ;   in Loop: Header=BB352_1062 Depth=1
	v_bfrev_b32_e32 v96, 1
	s_mov_b32 s12, exec_lo
	v_cmpx_ne_u16_e32 0x80, v13
	s_cbranch_execz .LBB352_1102
; %bb.1097:                             ;   in Loop: Header=BB352_1062 Depth=1
	v_and_b32_e32 v13, 0x7f, v12
	v_mov_b32_e32 v96, 0x7fc02000
	s_mov_b32 s13, exec_lo
	s_delay_alu instid0(VALU_DEP_2)
	v_cmpx_ne_u32_e32 0x7f, v13
	s_cbranch_execz .LBB352_1101
; %bb.1098:                             ;   in Loop: Header=BB352_1062 Depth=1
	v_lshrrev_b32_e32 v96, 3, v13
	v_cmp_gt_u32_e32 vcc_lo, 8, v13
	v_dual_mov_b32 v14, v1 :: v_dual_mov_b32 v13, v0
	s_and_saveexec_b32 s15, vcc_lo
; %bb.1099:                             ;   in Loop: Header=BB352_1062 Depth=1
	v_and_b32_e32 v13, 7, v12
	s_delay_alu instid0(VALU_DEP_1) | instskip(NEXT) | instid1(VALU_DEP_1)
	v_clz_i32_u32_e32 v13, v13
	v_min_u32_e32 v96, 32, v13
	s_delay_alu instid0(VALU_DEP_1) | instskip(SKIP_1) | instid1(VALU_DEP_2)
	v_subrev_nc_u32_e32 v13, 28, v96
	v_sub_nc_u32_e32 v96, 29, v96
	v_lshlrev_b64 v[13:14], v13, v[0:1]
; %bb.1100:                             ;   in Loop: Header=BB352_1062 Depth=1
	s_or_b32 exec_lo, exec_lo, s15
	v_lshlrev_b32_e32 v14, 8, v12
	s_delay_alu instid0(VALU_DEP_3) | instskip(NEXT) | instid1(VALU_DEP_3)
	v_lshl_add_u32 v96, v96, 10, 0x2000
	v_lshlrev_b32_e32 v13, 7, v13
	s_delay_alu instid0(VALU_DEP_2) | instskip(NEXT) | instid1(VALU_DEP_1)
	v_and_or_b32 v14, 0x8000, v14, v96
	v_and_or_b32 v13, 0x380, v13, v14
	s_delay_alu instid0(VALU_DEP_1)
	v_cvt_f32_f16_e32 v96, v13
.LBB352_1101:                           ;   in Loop: Header=BB352_1062 Depth=1
	s_or_b32 exec_lo, exec_lo, s13
.LBB352_1102:                           ;   in Loop: Header=BB352_1062 Depth=1
	s_delay_alu instid0(SALU_CYCLE_1)
	s_or_b32 exec_lo, exec_lo, s12
.LBB352_1103:                           ;   in Loop: Header=BB352_1062 Depth=1
	s_delay_alu instid0(SALU_CYCLE_1) | instskip(SKIP_2) | instid1(VALU_DEP_1)
	s_or_b32 exec_lo, exec_lo, s0
	v_lshrrev_b16 v0, 8, v0
	s_mov_b32 s0, exec_lo
	v_cmpx_ne_u16_e32 0, v0
	s_cbranch_execz .LBB352_1111
; %bb.1104:                             ;   in Loop: Header=BB352_1062 Depth=1
	v_bfrev_b32_e32 v98, 1
	s_mov_b32 s12, exec_lo
	v_cmpx_ne_u16_e32 0x80, v0
	s_cbranch_execz .LBB352_1110
; %bb.1105:                             ;   in Loop: Header=BB352_1062 Depth=1
	v_and_b32_e32 v99, 0xffff, v0
	v_mov_b32_e32 v98, 0x7fc02000
	s_mov_b32 s13, exec_lo
	s_delay_alu instid0(VALU_DEP_2) | instskip(NEXT) | instid1(VALU_DEP_1)
	v_and_b32_e32 v13, 0x7f, v99
	v_cmpx_ne_u32_e32 0x7f, v13
	s_cbranch_execz .LBB352_1109
; %bb.1106:                             ;   in Loop: Header=BB352_1062 Depth=1
	v_and_b32_e32 v0, 7, v99
	v_lshrrev_b32_e32 v98, 3, v13
	v_cmp_gt_u32_e32 vcc_lo, 8, v13
	s_delay_alu instid0(VALU_DEP_3)
	v_dual_mov_b32 v14, v1 :: v_dual_mov_b32 v13, v0
	s_and_saveexec_b32 s15, vcc_lo
; %bb.1107:                             ;   in Loop: Header=BB352_1062 Depth=1
	v_clz_i32_u32_e32 v13, v0
	s_delay_alu instid0(VALU_DEP_1) | instskip(NEXT) | instid1(VALU_DEP_1)
	v_min_u32_e32 v98, 32, v13
	v_subrev_nc_u32_e32 v13, 28, v98
	v_sub_nc_u32_e32 v98, 29, v98
	s_delay_alu instid0(VALU_DEP_2) | instskip(NEXT) | instid1(VALU_DEP_1)
	v_lshlrev_b64 v[13:14], v13, v[0:1]
	v_and_b32_e32 v13, 7, v13
; %bb.1108:                             ;   in Loop: Header=BB352_1062 Depth=1
	s_or_b32 exec_lo, exec_lo, s15
	v_lshlrev_b32_e32 v0, 8, v99
	v_lshl_add_u32 v14, v98, 10, 0x2000
	s_delay_alu instid0(VALU_DEP_1) | instskip(NEXT) | instid1(VALU_DEP_1)
	v_and_or_b32 v0, 0x8000, v0, v14
	v_lshl_or_b32 v0, v13, 7, v0
	s_delay_alu instid0(VALU_DEP_1)
	v_cvt_f32_f16_e32 v98, v0
.LBB352_1109:                           ;   in Loop: Header=BB352_1062 Depth=1
	s_or_b32 exec_lo, exec_lo, s13
.LBB352_1110:                           ;   in Loop: Header=BB352_1062 Depth=1
	s_delay_alu instid0(SALU_CYCLE_1)
	s_or_b32 exec_lo, exec_lo, s12
.LBB352_1111:                           ;   in Loop: Header=BB352_1062 Depth=1
	s_delay_alu instid0(SALU_CYCLE_1) | instskip(SKIP_3) | instid1(VALU_DEP_2)
	s_or_b32 exec_lo, exec_lo, s0
	v_lshrrev_b32_e32 v102, 16, v12
	v_mov_b32_e32 v13, 0
	s_mov_b32 s0, exec_lo
	v_dual_mov_b32 v99, 0 :: v_dual_and_b32 v0, 0xff, v102
	s_delay_alu instid0(VALU_DEP_1)
	v_cmpx_ne_u16_e32 0, v0
	s_cbranch_execz .LBB352_1119
; %bb.1112:                             ;   in Loop: Header=BB352_1062 Depth=1
	v_bfrev_b32_e32 v13, 1
	s_mov_b32 s12, exec_lo
	v_cmpx_ne_u16_e32 0x80, v0
	s_cbranch_execz .LBB352_1118
; %bb.1113:                             ;   in Loop: Header=BB352_1062 Depth=1
	v_bfe_u32 v14, v12, 16, 7
	v_mov_b32_e32 v13, 0x7fc02000
	s_mov_b32 s13, exec_lo
	s_delay_alu instid0(VALU_DEP_2)
	v_cmpx_ne_u32_e32 0x7f, v14
	s_cbranch_execz .LBB352_1117
; %bb.1114:                             ;   in Loop: Header=BB352_1062 Depth=1
	v_and_b32_e32 v0, 7, v102
	v_lshrrev_b32_e32 v103, 3, v14
	v_cmp_gt_u32_e32 vcc_lo, 8, v14
	s_delay_alu instid0(VALU_DEP_3)
	v_dual_mov_b32 v14, v1 :: v_dual_mov_b32 v13, v0
	s_and_saveexec_b32 s15, vcc_lo
; %bb.1115:                             ;   in Loop: Header=BB352_1062 Depth=1
	v_clz_i32_u32_e32 v13, v0
	s_delay_alu instid0(VALU_DEP_1) | instskip(NEXT) | instid1(VALU_DEP_1)
	v_min_u32_e32 v103, 32, v13
	v_subrev_nc_u32_e32 v13, 28, v103
	v_sub_nc_u32_e32 v103, 29, v103
	s_delay_alu instid0(VALU_DEP_2) | instskip(NEXT) | instid1(VALU_DEP_1)
	v_lshlrev_b64 v[13:14], v13, v[0:1]
	v_and_b32_e32 v13, 7, v13
; %bb.1116:                             ;   in Loop: Header=BB352_1062 Depth=1
	s_or_b32 exec_lo, exec_lo, s15
	v_lshlrev_b32_e32 v0, 8, v102
	v_lshl_add_u32 v14, v103, 10, 0x2000
	s_delay_alu instid0(VALU_DEP_1) | instskip(NEXT) | instid1(VALU_DEP_1)
	v_and_or_b32 v0, 0x8000, v0, v14
	v_lshl_or_b32 v0, v13, 7, v0
	s_delay_alu instid0(VALU_DEP_1)
	v_cvt_f32_f16_e32 v13, v0
.LBB352_1117:                           ;   in Loop: Header=BB352_1062 Depth=1
	s_or_b32 exec_lo, exec_lo, s13
.LBB352_1118:                           ;   in Loop: Header=BB352_1062 Depth=1
	s_delay_alu instid0(SALU_CYCLE_1)
	s_or_b32 exec_lo, exec_lo, s12
.LBB352_1119:                           ;   in Loop: Header=BB352_1062 Depth=1
	s_delay_alu instid0(SALU_CYCLE_1) | instskip(NEXT) | instid1(SALU_CYCLE_1)
	s_or_b32 exec_lo, exec_lo, s0
	s_mov_b32 s0, exec_lo
	v_cmpx_lt_u64_e64 s[8:9], v[11:12]
	s_cbranch_execz .LBB352_1127
; %bb.1120:                             ;   in Loop: Header=BB352_1062 Depth=1
	v_lshrrev_b32_e32 v14, 24, v12
	v_bfrev_b32_e32 v99, 1
	s_mov_b32 s12, exec_lo
	s_delay_alu instid0(VALU_DEP_2)
	v_cmpx_ne_u32_e32 0x80, v14
	s_cbranch_execz .LBB352_1126
; %bb.1121:                             ;   in Loop: Header=BB352_1062 Depth=1
	v_and_b32_e32 v11, 0x7f, v14
	v_mov_b32_e32 v99, 0x7fc02000
	s_mov_b32 s13, exec_lo
	s_delay_alu instid0(VALU_DEP_2)
	v_cmpx_ne_u32_e32 0x7f, v11
	s_cbranch_execz .LBB352_1125
; %bb.1122:                             ;   in Loop: Header=BB352_1062 Depth=1
	v_and_b32_e32 v0, 7, v14
	v_lshrrev_b32_e32 v99, 3, v11
	v_cmp_gt_u32_e32 vcc_lo, 8, v11
	s_delay_alu instid0(VALU_DEP_3)
	v_dual_mov_b32 v12, v1 :: v_dual_mov_b32 v11, v0
	s_and_saveexec_b32 s15, vcc_lo
; %bb.1123:                             ;   in Loop: Header=BB352_1062 Depth=1
	v_clz_i32_u32_e32 v11, v0
	s_delay_alu instid0(VALU_DEP_1) | instskip(NEXT) | instid1(VALU_DEP_1)
	v_min_u32_e32 v99, 32, v11
	v_subrev_nc_u32_e32 v11, 28, v99
	v_sub_nc_u32_e32 v99, 29, v99
	s_delay_alu instid0(VALU_DEP_2) | instskip(NEXT) | instid1(VALU_DEP_1)
	v_lshlrev_b64 v[11:12], v11, v[0:1]
	v_and_b32_e32 v11, 7, v11
; %bb.1124:                             ;   in Loop: Header=BB352_1062 Depth=1
	s_or_b32 exec_lo, exec_lo, s15
	v_lshlrev_b32_e32 v0, 8, v14
	v_lshl_add_u32 v12, v99, 10, 0x2000
	s_delay_alu instid0(VALU_DEP_1) | instskip(NEXT) | instid1(VALU_DEP_1)
	v_and_or_b32 v0, 0x8000, v0, v12
	v_lshl_or_b32 v0, v11, 7, v0
	s_delay_alu instid0(VALU_DEP_1)
	v_cvt_f32_f16_e32 v99, v0
.LBB352_1125:                           ;   in Loop: Header=BB352_1062 Depth=1
	s_or_b32 exec_lo, exec_lo, s13
.LBB352_1126:                           ;   in Loop: Header=BB352_1062 Depth=1
	s_delay_alu instid0(SALU_CYCLE_1)
	s_or_b32 exec_lo, exec_lo, s12
.LBB352_1127:                           ;   in Loop: Header=BB352_1062 Depth=1
	s_delay_alu instid0(SALU_CYCLE_1)
	s_or_b32 exec_lo, exec_lo, s0
	s_waitcnt vmcnt(0) lgkmcnt(0)
	v_fma_mixlo_f16 v12, v64, v19, 0
	v_fma_mixlo_f16 v0, v64, v84, 0
	;; [unrolled: 1-line block ×5, first 2 shown]
	v_lshlrev_b32_e32 v14, 16, v12
	v_fma_mixlo_f16 v12, v64, v81, 0
	v_fma_mixlo_f16 v81, v64, v98, 0
	;; [unrolled: 1-line block ×3, first 2 shown]
	v_add_nc_u32_e32 v19, v17, v23
	v_lshlrev_b32_e32 v0, 16, v0
	v_and_b32_e32 v11, 0xffff, v11
	v_and_b32_e32 v64, 0xffff, v12
	v_lshlrev_b32_e32 v81, 16, v81
	v_and_b32_e32 v83, 0xffff, v83
	v_lshlrev_b32_e32 v84, 16, v84
	v_and_b32_e32 v96, 0xffff, v13
	v_cmp_eq_u32_e32 vcc_lo, v54, v16
	v_or_b32_e32 v12, v0, v11
	v_or_b32_e32 v14, v14, v64
	;; [unrolled: 1-line block ×4, first 2 shown]
	v_add_nc_u32_e32 v99, 1, v19
	v_or_b32_e32 v98, 3, v19
	v_or_b32_e32 v96, 2, v19
	;; [unrolled: 1-line block ×6, first 2 shown]
	s_and_saveexec_b32 s12, vcc_lo
	s_cbranch_execz .LBB352_1129
; %bb.1128:                             ;   in Loop: Header=BB352_1062 Depth=1
	v_cmp_lt_i32_e64 s0, v19, v38
	v_lshrrev_b32_e32 v102, 16, v14
	v_lshrrev_b32_e32 v103, 16, v12
	;; [unrolled: 1-line block ×4, first 2 shown]
	v_cndmask_b32_e64 v14, 0, v14, s0
	v_cmp_lt_i32_e64 s0, v99, v55
	s_delay_alu instid0(VALU_DEP_1) | instskip(SKIP_1) | instid1(VALU_DEP_2)
	v_cndmask_b32_e64 v102, 0, v102, s0
	v_cmp_lt_i32_e64 s0, v98, v55
	v_perm_b32 v14, v102, v14, 0x5040100
	s_delay_alu instid0(VALU_DEP_2) | instskip(SKIP_1) | instid1(VALU_DEP_1)
	v_cndmask_b32_e64 v103, 0, v103, s0
	v_cmp_lt_i32_e64 s0, v96, v38
	v_cndmask_b32_e64 v12, 0, v12, s0
	v_cmp_lt_i32_e64 s0, v84, v55
	s_delay_alu instid0(VALU_DEP_2) | instskip(NEXT) | instid1(VALU_DEP_2)
	v_perm_b32 v12, v103, v12, 0x5040100
	v_cndmask_b32_e64 v112, 0, v112, s0
	v_cmp_lt_i32_e64 s0, v83, v38
	s_delay_alu instid0(VALU_DEP_1) | instskip(SKIP_1) | instid1(VALU_DEP_2)
	v_cndmask_b32_e64 v0, 0, v0, s0
	v_cmp_lt_i32_e64 s0, v81, v55
	v_perm_b32 v0, v112, v0, 0x5040100
	s_delay_alu instid0(VALU_DEP_2) | instskip(SKIP_1) | instid1(VALU_DEP_1)
	v_cndmask_b32_e64 v11, 0, v11, s0
	v_cmp_lt_i32_e64 s0, v64, v38
	v_cndmask_b32_e64 v13, 0, v13, s0
	s_delay_alu instid0(VALU_DEP_1)
	v_perm_b32 v11, v11, v13, 0x5040100
.LBB352_1129:                           ;   in Loop: Header=BB352_1062 Depth=1
	s_or_b32 exec_lo, exec_lo, s12
	v_and_b32_e32 v13, 0xffff, v80
	v_and_b32_e32 v80, 0xffff, v87
	;; [unrolled: 1-line block ×4, first 2 shown]
	s_mov_b32 s12, exec_lo
	s_delay_alu instid0(VALU_DEP_3) | instskip(NEXT) | instid1(VALU_DEP_3)
	v_lshl_or_b32 v87, v85, 16, v80
	v_lshl_or_b32 v86, v86, 16, v102
	v_mov_b32_e32 v102, 0
	v_lshl_or_b32 v97, v82, 16, v13
	;;#ASMSTART
	v_pk_mul_f16 v13, v97, v14;

	;;#ASMEND
	;;#ASMSTART
	v_pk_mul_f16 v12, v87, v12;

	;;#ASMEND
	;; [unrolled: 4-line block ×3, first 2 shown]
	v_lshl_or_b32 v85, v100, 16, v101
	v_mov_b32_e32 v101, 0
	;;#ASMSTART
	v_pk_mul_f16 v11, v85, v11;

	;;#ASMEND
	;;#ASMSTART
	v_pk_add_f16 v12, v13, v12;

	;;#ASMEND
	;;#ASMSTART
	v_pk_add_f16 v0, v12, v0;
	;; [unrolled: 4-line block ×3, first 2 shown]

	;;#ASMEND
	v_and_b32_e32 v11, 0xffff, v0
	v_lshrrev_b32_e32 v0, 16, v0
	;;#ASMSTART
	v_cvt_f32_f16 v80, v11;
	;;#ASMEND
	;;#ASMSTART
	v_cvt_f32_f16 v82, v0;
	;;#ASMEND
	flat_load_b64 v[11:12], v[9:10] offset:256
	flat_load_b32 v100, v[26:27]
	s_waitcnt vmcnt(1) lgkmcnt(1)
	v_and_b32_e32 v0, 0xff, v11
	s_delay_alu instid0(VALU_DEP_1)
	v_cmpx_ne_u16_e32 0, v0
	s_cbranch_execz .LBB352_1137
; %bb.1130:                             ;   in Loop: Header=BB352_1062 Depth=1
	v_bfrev_b32_e32 v101, 1
	s_mov_b32 s13, exec_lo
	v_cmpx_ne_u16_e32 0x80, v0
	s_cbranch_execz .LBB352_1136
; %bb.1131:                             ;   in Loop: Header=BB352_1062 Depth=1
	v_and_b32_e32 v13, 0x7f, v11
	v_mov_b32_e32 v101, 0x7fc02000
	s_mov_b32 s15, exec_lo
	s_delay_alu instid0(VALU_DEP_2)
	v_cmpx_ne_u32_e32 0x7f, v13
	s_cbranch_execz .LBB352_1135
; %bb.1132:                             ;   in Loop: Header=BB352_1062 Depth=1
	v_lshrrev_b32_e32 v0, 3, v13
	v_cmp_gt_u32_e64 s0, 8, v13
	v_dual_mov_b32 v14, v12 :: v_dual_mov_b32 v13, v11
	s_delay_alu instid0(VALU_DEP_2)
	s_and_saveexec_b32 s16, s0
; %bb.1133:                             ;   in Loop: Header=BB352_1062 Depth=1
	v_and_b32_e32 v0, 7, v11
	s_delay_alu instid0(VALU_DEP_1) | instskip(NEXT) | instid1(VALU_DEP_1)
	v_clz_i32_u32_e32 v0, v0
	v_min_u32_e32 v0, 32, v0
	s_delay_alu instid0(VALU_DEP_1) | instskip(SKIP_1) | instid1(VALU_DEP_2)
	v_subrev_nc_u32_e32 v13, 28, v0
	v_sub_nc_u32_e32 v0, 29, v0
	v_lshlrev_b64 v[13:14], v13, v[11:12]
; %bb.1134:                             ;   in Loop: Header=BB352_1062 Depth=1
	s_or_b32 exec_lo, exec_lo, s16
	v_lshlrev_b32_e32 v14, 8, v11
	s_delay_alu instid0(VALU_DEP_3) | instskip(NEXT) | instid1(VALU_DEP_3)
	v_lshl_add_u32 v0, v0, 10, 0x2000
	v_lshlrev_b32_e32 v13, 7, v13
	s_delay_alu instid0(VALU_DEP_2) | instskip(NEXT) | instid1(VALU_DEP_1)
	v_and_or_b32 v0, 0x8000, v14, v0
	v_and_or_b32 v0, 0x380, v13, v0
	s_delay_alu instid0(VALU_DEP_1)
	v_cvt_f32_f16_e32 v101, v0
.LBB352_1135:                           ;   in Loop: Header=BB352_1062 Depth=1
	s_or_b32 exec_lo, exec_lo, s15
.LBB352_1136:                           ;   in Loop: Header=BB352_1062 Depth=1
	s_delay_alu instid0(SALU_CYCLE_1)
	s_or_b32 exec_lo, exec_lo, s13
.LBB352_1137:                           ;   in Loop: Header=BB352_1062 Depth=1
	s_delay_alu instid0(SALU_CYCLE_1) | instskip(SKIP_2) | instid1(VALU_DEP_1)
	s_or_b32 exec_lo, exec_lo, s12
	v_lshrrev_b16 v0, 8, v11
	s_mov_b32 s12, exec_lo
	v_cmpx_ne_u16_e32 0, v0
	s_cbranch_execz .LBB352_1145
; %bb.1138:                             ;   in Loop: Header=BB352_1062 Depth=1
	v_bfrev_b32_e32 v102, 1
	s_mov_b32 s13, exec_lo
	v_cmpx_ne_u16_e32 0x80, v0
	s_cbranch_execz .LBB352_1144
; %bb.1139:                             ;   in Loop: Header=BB352_1062 Depth=1
	v_and_b32_e32 v103, 0xffff, v0
	v_mov_b32_e32 v102, 0x7fc02000
	s_mov_b32 s15, exec_lo
	s_delay_alu instid0(VALU_DEP_2) | instskip(NEXT) | instid1(VALU_DEP_1)
	v_and_b32_e32 v13, 0x7f, v103
	v_cmpx_ne_u32_e32 0x7f, v13
	s_cbranch_execz .LBB352_1143
; %bb.1140:                             ;   in Loop: Header=BB352_1062 Depth=1
	v_and_b32_e32 v0, 7, v103
	v_lshrrev_b32_e32 v102, 3, v13
	v_cmp_gt_u32_e64 s0, 8, v13
	s_delay_alu instid0(VALU_DEP_3) | instskip(NEXT) | instid1(VALU_DEP_2)
	v_dual_mov_b32 v14, v1 :: v_dual_mov_b32 v13, v0
	s_and_saveexec_b32 s16, s0
; %bb.1141:                             ;   in Loop: Header=BB352_1062 Depth=1
	v_clz_i32_u32_e32 v13, v0
	s_delay_alu instid0(VALU_DEP_1) | instskip(NEXT) | instid1(VALU_DEP_1)
	v_min_u32_e32 v102, 32, v13
	v_subrev_nc_u32_e32 v13, 28, v102
	v_sub_nc_u32_e32 v102, 29, v102
	s_delay_alu instid0(VALU_DEP_2) | instskip(NEXT) | instid1(VALU_DEP_1)
	v_lshlrev_b64 v[13:14], v13, v[0:1]
	v_and_b32_e32 v13, 7, v13
; %bb.1142:                             ;   in Loop: Header=BB352_1062 Depth=1
	s_or_b32 exec_lo, exec_lo, s16
	v_lshlrev_b32_e32 v0, 8, v103
	v_lshl_add_u32 v14, v102, 10, 0x2000
	s_delay_alu instid0(VALU_DEP_1) | instskip(NEXT) | instid1(VALU_DEP_1)
	v_and_or_b32 v0, 0x8000, v0, v14
	v_lshl_or_b32 v0, v13, 7, v0
	s_delay_alu instid0(VALU_DEP_1)
	v_cvt_f32_f16_e32 v102, v0
.LBB352_1143:                           ;   in Loop: Header=BB352_1062 Depth=1
	s_or_b32 exec_lo, exec_lo, s15
.LBB352_1144:                           ;   in Loop: Header=BB352_1062 Depth=1
	s_delay_alu instid0(SALU_CYCLE_1)
	s_or_b32 exec_lo, exec_lo, s13
.LBB352_1145:                           ;   in Loop: Header=BB352_1062 Depth=1
	s_delay_alu instid0(SALU_CYCLE_1) | instskip(SKIP_3) | instid1(VALU_DEP_2)
	s_or_b32 exec_lo, exec_lo, s12
	v_lshrrev_b32_e32 v113, 16, v11
	v_mov_b32_e32 v112, 0
	s_mov_b32 s12, exec_lo
	v_dual_mov_b32 v103, 0 :: v_dual_and_b32 v0, 0xff, v113
	s_delay_alu instid0(VALU_DEP_1)
	v_cmpx_ne_u16_e32 0, v0
	s_cbranch_execz .LBB352_1153
; %bb.1146:                             ;   in Loop: Header=BB352_1062 Depth=1
	v_bfrev_b32_e32 v103, 1
	s_mov_b32 s13, exec_lo
	v_cmpx_ne_u16_e32 0x80, v0
	s_cbranch_execz .LBB352_1152
; %bb.1147:                             ;   in Loop: Header=BB352_1062 Depth=1
	v_bfe_u32 v13, v11, 16, 7
	v_mov_b32_e32 v103, 0x7fc02000
	s_mov_b32 s15, exec_lo
	s_delay_alu instid0(VALU_DEP_2)
	v_cmpx_ne_u32_e32 0x7f, v13
	s_cbranch_execz .LBB352_1151
; %bb.1148:                             ;   in Loop: Header=BB352_1062 Depth=1
	v_and_b32_e32 v0, 7, v113
	v_lshrrev_b32_e32 v103, 3, v13
	v_cmp_gt_u32_e64 s0, 8, v13
	s_delay_alu instid0(VALU_DEP_3) | instskip(NEXT) | instid1(VALU_DEP_2)
	v_dual_mov_b32 v14, v1 :: v_dual_mov_b32 v13, v0
	s_and_saveexec_b32 s16, s0
; %bb.1149:                             ;   in Loop: Header=BB352_1062 Depth=1
	v_clz_i32_u32_e32 v13, v0
	s_delay_alu instid0(VALU_DEP_1) | instskip(NEXT) | instid1(VALU_DEP_1)
	v_min_u32_e32 v103, 32, v13
	v_subrev_nc_u32_e32 v13, 28, v103
	v_sub_nc_u32_e32 v103, 29, v103
	s_delay_alu instid0(VALU_DEP_2) | instskip(NEXT) | instid1(VALU_DEP_1)
	v_lshlrev_b64 v[13:14], v13, v[0:1]
	v_and_b32_e32 v13, 7, v13
; %bb.1150:                             ;   in Loop: Header=BB352_1062 Depth=1
	s_or_b32 exec_lo, exec_lo, s16
	v_lshlrev_b32_e32 v0, 8, v113
	v_lshl_add_u32 v14, v103, 10, 0x2000
	s_delay_alu instid0(VALU_DEP_1) | instskip(NEXT) | instid1(VALU_DEP_1)
	v_and_or_b32 v0, 0x8000, v0, v14
	v_lshl_or_b32 v0, v13, 7, v0
	s_delay_alu instid0(VALU_DEP_1)
	v_cvt_f32_f16_e32 v103, v0
.LBB352_1151:                           ;   in Loop: Header=BB352_1062 Depth=1
	s_or_b32 exec_lo, exec_lo, s15
.LBB352_1152:                           ;   in Loop: Header=BB352_1062 Depth=1
	s_delay_alu instid0(SALU_CYCLE_1)
	s_or_b32 exec_lo, exec_lo, s13
.LBB352_1153:                           ;   in Loop: Header=BB352_1062 Depth=1
	s_delay_alu instid0(SALU_CYCLE_1) | instskip(NEXT) | instid1(SALU_CYCLE_1)
	s_or_b32 exec_lo, exec_lo, s12
	s_mov_b32 s12, exec_lo
	v_cmpx_lt_u32_e32 0xffffff, v11
	s_cbranch_execz .LBB352_1161
; %bb.1154:                             ;   in Loop: Header=BB352_1062 Depth=1
	v_lshrrev_b32_e32 v113, 24, v11
	v_bfrev_b32_e32 v112, 1
	s_mov_b32 s13, exec_lo
	s_delay_alu instid0(VALU_DEP_2)
	v_cmpx_ne_u32_e32 0x80, v113
	s_cbranch_execz .LBB352_1160
; %bb.1155:                             ;   in Loop: Header=BB352_1062 Depth=1
	v_and_b32_e32 v13, 0x7f, v113
	v_mov_b32_e32 v112, 0x7fc02000
	s_mov_b32 s15, exec_lo
	s_delay_alu instid0(VALU_DEP_2)
	v_cmpx_ne_u32_e32 0x7f, v13
	s_cbranch_execz .LBB352_1159
; %bb.1156:                             ;   in Loop: Header=BB352_1062 Depth=1
	v_and_b32_e32 v0, 7, v113
	v_lshrrev_b32_e32 v112, 3, v13
	v_cmp_gt_u32_e64 s0, 8, v13
	s_delay_alu instid0(VALU_DEP_3) | instskip(NEXT) | instid1(VALU_DEP_2)
	v_dual_mov_b32 v14, v1 :: v_dual_mov_b32 v13, v0
	s_and_saveexec_b32 s16, s0
; %bb.1157:                             ;   in Loop: Header=BB352_1062 Depth=1
	v_clz_i32_u32_e32 v13, v0
	s_delay_alu instid0(VALU_DEP_1) | instskip(NEXT) | instid1(VALU_DEP_1)
	v_min_u32_e32 v112, 32, v13
	v_subrev_nc_u32_e32 v13, 28, v112
	v_sub_nc_u32_e32 v112, 29, v112
	s_delay_alu instid0(VALU_DEP_2) | instskip(NEXT) | instid1(VALU_DEP_1)
	v_lshlrev_b64 v[13:14], v13, v[0:1]
	v_and_b32_e32 v13, 7, v13
; %bb.1158:                             ;   in Loop: Header=BB352_1062 Depth=1
	s_or_b32 exec_lo, exec_lo, s16
	v_lshlrev_b32_e32 v0, 8, v113
	v_lshl_add_u32 v14, v112, 10, 0x2000
	s_delay_alu instid0(VALU_DEP_1) | instskip(NEXT) | instid1(VALU_DEP_1)
	v_and_or_b32 v0, 0x8000, v0, v14
	v_lshl_or_b32 v0, v13, 7, v0
	s_delay_alu instid0(VALU_DEP_1)
	v_cvt_f32_f16_e32 v112, v0
.LBB352_1159:                           ;   in Loop: Header=BB352_1062 Depth=1
	s_or_b32 exec_lo, exec_lo, s15
.LBB352_1160:                           ;   in Loop: Header=BB352_1062 Depth=1
	s_delay_alu instid0(SALU_CYCLE_1)
	s_or_b32 exec_lo, exec_lo, s13
.LBB352_1161:                           ;   in Loop: Header=BB352_1062 Depth=1
	s_delay_alu instid0(SALU_CYCLE_1) | instskip(SKIP_3) | instid1(VALU_DEP_2)
	s_or_b32 exec_lo, exec_lo, s12
	v_dual_mov_b32 v0, v12 :: v_dual_and_b32 v13, 0xff, v12
	v_dual_mov_b32 v114, 0 :: v_dual_mov_b32 v113, 0
	s_mov_b32 s12, exec_lo
	v_cmpx_ne_u16_e32 0, v13
	s_cbranch_execz .LBB352_1169
; %bb.1162:                             ;   in Loop: Header=BB352_1062 Depth=1
	v_bfrev_b32_e32 v113, 1
	s_mov_b32 s13, exec_lo
	v_cmpx_ne_u16_e32 0x80, v13
	s_cbranch_execz .LBB352_1168
; %bb.1163:                             ;   in Loop: Header=BB352_1062 Depth=1
	v_and_b32_e32 v13, 0x7f, v12
	v_mov_b32_e32 v113, 0x7fc02000
	s_mov_b32 s15, exec_lo
	s_delay_alu instid0(VALU_DEP_2)
	v_cmpx_ne_u32_e32 0x7f, v13
	s_cbranch_execz .LBB352_1167
; %bb.1164:                             ;   in Loop: Header=BB352_1062 Depth=1
	v_lshrrev_b32_e32 v113, 3, v13
	v_cmp_gt_u32_e64 s0, 8, v13
	v_dual_mov_b32 v14, v1 :: v_dual_mov_b32 v13, v0
	s_delay_alu instid0(VALU_DEP_2)
	s_and_saveexec_b32 s16, s0
; %bb.1165:                             ;   in Loop: Header=BB352_1062 Depth=1
	v_and_b32_e32 v13, 7, v12
	s_delay_alu instid0(VALU_DEP_1) | instskip(NEXT) | instid1(VALU_DEP_1)
	v_clz_i32_u32_e32 v13, v13
	v_min_u32_e32 v113, 32, v13
	s_delay_alu instid0(VALU_DEP_1) | instskip(SKIP_1) | instid1(VALU_DEP_2)
	v_subrev_nc_u32_e32 v13, 28, v113
	v_sub_nc_u32_e32 v113, 29, v113
	v_lshlrev_b64 v[13:14], v13, v[0:1]
; %bb.1166:                             ;   in Loop: Header=BB352_1062 Depth=1
	s_or_b32 exec_lo, exec_lo, s16
	v_lshlrev_b32_e32 v14, 8, v12
	s_delay_alu instid0(VALU_DEP_3) | instskip(NEXT) | instid1(VALU_DEP_3)
	v_lshl_add_u32 v113, v113, 10, 0x2000
	v_lshlrev_b32_e32 v13, 7, v13
	s_delay_alu instid0(VALU_DEP_2) | instskip(NEXT) | instid1(VALU_DEP_1)
	v_and_or_b32 v14, 0x8000, v14, v113
	v_and_or_b32 v13, 0x380, v13, v14
	s_delay_alu instid0(VALU_DEP_1)
	v_cvt_f32_f16_e32 v113, v13
.LBB352_1167:                           ;   in Loop: Header=BB352_1062 Depth=1
	s_or_b32 exec_lo, exec_lo, s15
.LBB352_1168:                           ;   in Loop: Header=BB352_1062 Depth=1
	s_delay_alu instid0(SALU_CYCLE_1)
	s_or_b32 exec_lo, exec_lo, s13
.LBB352_1169:                           ;   in Loop: Header=BB352_1062 Depth=1
	s_delay_alu instid0(SALU_CYCLE_1) | instskip(SKIP_2) | instid1(VALU_DEP_1)
	s_or_b32 exec_lo, exec_lo, s12
	v_lshrrev_b16 v0, 8, v0
	s_mov_b32 s12, exec_lo
	v_cmpx_ne_u16_e32 0, v0
	s_cbranch_execz .LBB352_1177
; %bb.1170:                             ;   in Loop: Header=BB352_1062 Depth=1
	v_bfrev_b32_e32 v114, 1
	s_mov_b32 s13, exec_lo
	v_cmpx_ne_u16_e32 0x80, v0
	s_cbranch_execz .LBB352_1176
; %bb.1171:                             ;   in Loop: Header=BB352_1062 Depth=1
	v_and_b32_e32 v115, 0xffff, v0
	v_mov_b32_e32 v114, 0x7fc02000
	s_mov_b32 s15, exec_lo
	s_delay_alu instid0(VALU_DEP_2) | instskip(NEXT) | instid1(VALU_DEP_1)
	v_and_b32_e32 v13, 0x7f, v115
	v_cmpx_ne_u32_e32 0x7f, v13
	s_cbranch_execz .LBB352_1175
; %bb.1172:                             ;   in Loop: Header=BB352_1062 Depth=1
	v_and_b32_e32 v0, 7, v115
	v_lshrrev_b32_e32 v114, 3, v13
	v_cmp_gt_u32_e64 s0, 8, v13
	s_delay_alu instid0(VALU_DEP_3) | instskip(NEXT) | instid1(VALU_DEP_2)
	v_dual_mov_b32 v14, v1 :: v_dual_mov_b32 v13, v0
	s_and_saveexec_b32 s16, s0
; %bb.1173:                             ;   in Loop: Header=BB352_1062 Depth=1
	v_clz_i32_u32_e32 v13, v0
	s_delay_alu instid0(VALU_DEP_1) | instskip(NEXT) | instid1(VALU_DEP_1)
	v_min_u32_e32 v114, 32, v13
	v_subrev_nc_u32_e32 v13, 28, v114
	v_sub_nc_u32_e32 v114, 29, v114
	s_delay_alu instid0(VALU_DEP_2) | instskip(NEXT) | instid1(VALU_DEP_1)
	v_lshlrev_b64 v[13:14], v13, v[0:1]
	v_and_b32_e32 v13, 7, v13
; %bb.1174:                             ;   in Loop: Header=BB352_1062 Depth=1
	s_or_b32 exec_lo, exec_lo, s16
	v_lshlrev_b32_e32 v0, 8, v115
	v_lshl_add_u32 v14, v114, 10, 0x2000
	s_delay_alu instid0(VALU_DEP_1) | instskip(NEXT) | instid1(VALU_DEP_1)
	v_and_or_b32 v0, 0x8000, v0, v14
	v_lshl_or_b32 v0, v13, 7, v0
	s_delay_alu instid0(VALU_DEP_1)
	v_cvt_f32_f16_e32 v114, v0
.LBB352_1175:                           ;   in Loop: Header=BB352_1062 Depth=1
	s_or_b32 exec_lo, exec_lo, s15
.LBB352_1176:                           ;   in Loop: Header=BB352_1062 Depth=1
	s_delay_alu instid0(SALU_CYCLE_1)
	s_or_b32 exec_lo, exec_lo, s13
.LBB352_1177:                           ;   in Loop: Header=BB352_1062 Depth=1
	s_delay_alu instid0(SALU_CYCLE_1) | instskip(SKIP_3) | instid1(VALU_DEP_2)
	s_or_b32 exec_lo, exec_lo, s12
	v_lshrrev_b32_e32 v116, 16, v12
	v_mov_b32_e32 v13, 0
	s_mov_b32 s12, exec_lo
	v_dual_mov_b32 v115, 0 :: v_dual_and_b32 v0, 0xff, v116
	s_delay_alu instid0(VALU_DEP_1)
	v_cmpx_ne_u16_e32 0, v0
	s_cbranch_execz .LBB352_1185
; %bb.1178:                             ;   in Loop: Header=BB352_1062 Depth=1
	v_bfrev_b32_e32 v13, 1
	s_mov_b32 s13, exec_lo
	v_cmpx_ne_u16_e32 0x80, v0
	s_cbranch_execz .LBB352_1184
; %bb.1179:                             ;   in Loop: Header=BB352_1062 Depth=1
	v_bfe_u32 v14, v12, 16, 7
	v_mov_b32_e32 v13, 0x7fc02000
	s_mov_b32 s15, exec_lo
	s_delay_alu instid0(VALU_DEP_2)
	v_cmpx_ne_u32_e32 0x7f, v14
	s_cbranch_execz .LBB352_1183
; %bb.1180:                             ;   in Loop: Header=BB352_1062 Depth=1
	v_and_b32_e32 v0, 7, v116
	v_lshrrev_b32_e32 v117, 3, v14
	v_cmp_gt_u32_e64 s0, 8, v14
	s_delay_alu instid0(VALU_DEP_3) | instskip(NEXT) | instid1(VALU_DEP_2)
	v_dual_mov_b32 v14, v1 :: v_dual_mov_b32 v13, v0
	s_and_saveexec_b32 s16, s0
; %bb.1181:                             ;   in Loop: Header=BB352_1062 Depth=1
	v_clz_i32_u32_e32 v13, v0
	s_delay_alu instid0(VALU_DEP_1) | instskip(NEXT) | instid1(VALU_DEP_1)
	v_min_u32_e32 v117, 32, v13
	v_subrev_nc_u32_e32 v13, 28, v117
	v_sub_nc_u32_e32 v117, 29, v117
	s_delay_alu instid0(VALU_DEP_2) | instskip(NEXT) | instid1(VALU_DEP_1)
	v_lshlrev_b64 v[13:14], v13, v[0:1]
	v_and_b32_e32 v13, 7, v13
; %bb.1182:                             ;   in Loop: Header=BB352_1062 Depth=1
	s_or_b32 exec_lo, exec_lo, s16
	v_lshlrev_b32_e32 v0, 8, v116
	v_lshl_add_u32 v14, v117, 10, 0x2000
	s_delay_alu instid0(VALU_DEP_1) | instskip(NEXT) | instid1(VALU_DEP_1)
	v_and_or_b32 v0, 0x8000, v0, v14
	v_lshl_or_b32 v0, v13, 7, v0
	s_delay_alu instid0(VALU_DEP_1)
	v_cvt_f32_f16_e32 v13, v0
.LBB352_1183:                           ;   in Loop: Header=BB352_1062 Depth=1
	s_or_b32 exec_lo, exec_lo, s15
.LBB352_1184:                           ;   in Loop: Header=BB352_1062 Depth=1
	s_delay_alu instid0(SALU_CYCLE_1)
	s_or_b32 exec_lo, exec_lo, s13
.LBB352_1185:                           ;   in Loop: Header=BB352_1062 Depth=1
	s_delay_alu instid0(SALU_CYCLE_1) | instskip(NEXT) | instid1(SALU_CYCLE_1)
	s_or_b32 exec_lo, exec_lo, s12
	s_mov_b32 s12, exec_lo
	v_cmpx_lt_u64_e64 s[8:9], v[11:12]
	s_cbranch_execz .LBB352_1193
; %bb.1186:                             ;   in Loop: Header=BB352_1062 Depth=1
	v_lshrrev_b32_e32 v14, 24, v12
	v_bfrev_b32_e32 v115, 1
	s_mov_b32 s13, exec_lo
	s_delay_alu instid0(VALU_DEP_2)
	v_cmpx_ne_u32_e32 0x80, v14
	s_cbranch_execz .LBB352_1192
; %bb.1187:                             ;   in Loop: Header=BB352_1062 Depth=1
	v_and_b32_e32 v11, 0x7f, v14
	v_mov_b32_e32 v115, 0x7fc02000
	s_mov_b32 s15, exec_lo
	s_delay_alu instid0(VALU_DEP_2)
	v_cmpx_ne_u32_e32 0x7f, v11
	s_cbranch_execz .LBB352_1191
; %bb.1188:                             ;   in Loop: Header=BB352_1062 Depth=1
	v_and_b32_e32 v0, 7, v14
	v_lshrrev_b32_e32 v115, 3, v11
	v_cmp_gt_u32_e64 s0, 8, v11
	s_delay_alu instid0(VALU_DEP_3) | instskip(NEXT) | instid1(VALU_DEP_2)
	v_dual_mov_b32 v12, v1 :: v_dual_mov_b32 v11, v0
	s_and_saveexec_b32 s16, s0
; %bb.1189:                             ;   in Loop: Header=BB352_1062 Depth=1
	v_clz_i32_u32_e32 v11, v0
	s_delay_alu instid0(VALU_DEP_1) | instskip(NEXT) | instid1(VALU_DEP_1)
	v_min_u32_e32 v115, 32, v11
	v_subrev_nc_u32_e32 v11, 28, v115
	v_sub_nc_u32_e32 v115, 29, v115
	s_delay_alu instid0(VALU_DEP_2) | instskip(NEXT) | instid1(VALU_DEP_1)
	v_lshlrev_b64 v[11:12], v11, v[0:1]
	v_and_b32_e32 v11, 7, v11
; %bb.1190:                             ;   in Loop: Header=BB352_1062 Depth=1
	s_or_b32 exec_lo, exec_lo, s16
	v_lshlrev_b32_e32 v0, 8, v14
	v_lshl_add_u32 v12, v115, 10, 0x2000
	s_delay_alu instid0(VALU_DEP_1) | instskip(NEXT) | instid1(VALU_DEP_1)
	v_and_or_b32 v0, 0x8000, v0, v12
	v_lshl_or_b32 v0, v11, 7, v0
	s_delay_alu instid0(VALU_DEP_1)
	v_cvt_f32_f16_e32 v115, v0
.LBB352_1191:                           ;   in Loop: Header=BB352_1062 Depth=1
	s_or_b32 exec_lo, exec_lo, s15
.LBB352_1192:                           ;   in Loop: Header=BB352_1062 Depth=1
	s_delay_alu instid0(SALU_CYCLE_1)
	s_or_b32 exec_lo, exec_lo, s13
.LBB352_1193:                           ;   in Loop: Header=BB352_1062 Depth=1
	s_delay_alu instid0(SALU_CYCLE_1)
	s_or_b32 exec_lo, exec_lo, s12
	s_waitcnt vmcnt(0) lgkmcnt(0)
	v_fma_mixlo_f16 v12, v100, v102, 0
	v_fma_mixlo_f16 v0, v100, v112, 0
	;; [unrolled: 1-line block ×5, first 2 shown]
	v_lshlrev_b32_e32 v14, 16, v12
	v_fma_mixlo_f16 v103, v100, v113, 0
	v_fma_mixlo_f16 v112, v100, v115, 0
	;; [unrolled: 1-line block ×3, first 2 shown]
	v_lshlrev_b32_e32 v0, 16, v0
	v_and_b32_e32 v11, 0xffff, v11
	v_and_b32_e32 v100, 0xffff, v101
	v_lshlrev_b32_e32 v101, 16, v102
	v_and_b32_e32 v102, 0xffff, v103
	v_lshlrev_b32_e32 v103, 16, v112
	v_and_b32_e32 v112, 0xffff, v12
	v_or_b32_e32 v13, v0, v11
	v_or_b32_e32 v14, v14, v100
	;; [unrolled: 1-line block ×3, first 2 shown]
	s_delay_alu instid0(VALU_DEP_4)
	v_or_b32_e32 v11, v103, v112
	s_and_saveexec_b32 s12, vcc_lo
	s_cbranch_execz .LBB352_1195
; %bb.1194:                             ;   in Loop: Header=BB352_1062 Depth=1
	v_cmp_lt_i32_e64 s0, v19, v38
	v_lshrrev_b32_e32 v100, 16, v14
	v_lshrrev_b32_e32 v101, 16, v13
	;; [unrolled: 1-line block ×4, first 2 shown]
	v_cndmask_b32_e64 v14, 0, v14, s0
	v_cmp_lt_i32_e64 s0, v99, v55
	s_delay_alu instid0(VALU_DEP_1) | instskip(SKIP_1) | instid1(VALU_DEP_2)
	v_cndmask_b32_e64 v100, 0, v100, s0
	v_cmp_lt_i32_e64 s0, v98, v55
	v_perm_b32 v14, v100, v14, 0x5040100
	s_delay_alu instid0(VALU_DEP_2) | instskip(SKIP_1) | instid1(VALU_DEP_1)
	v_cndmask_b32_e64 v101, 0, v101, s0
	v_cmp_lt_i32_e64 s0, v96, v38
	v_cndmask_b32_e64 v13, 0, v13, s0
	v_cmp_lt_i32_e64 s0, v84, v55
	s_delay_alu instid0(VALU_DEP_2) | instskip(NEXT) | instid1(VALU_DEP_2)
	v_perm_b32 v13, v101, v13, 0x5040100
	v_cndmask_b32_e64 v102, 0, v102, s0
	v_cmp_lt_i32_e64 s0, v83, v38
	s_delay_alu instid0(VALU_DEP_1) | instskip(SKIP_1) | instid1(VALU_DEP_2)
	v_cndmask_b32_e64 v0, 0, v0, s0
	v_cmp_lt_i32_e64 s0, v81, v55
	v_perm_b32 v0, v102, v0, 0x5040100
	s_delay_alu instid0(VALU_DEP_2) | instskip(SKIP_1) | instid1(VALU_DEP_1)
	v_cndmask_b32_e64 v11, 0, v11, s0
	v_cmp_lt_i32_e64 s0, v64, v38
	v_cndmask_b32_e64 v12, 0, v12, s0
	s_delay_alu instid0(VALU_DEP_1)
	v_perm_b32 v11, v11, v12, 0x5040100
.LBB352_1195:                           ;   in Loop: Header=BB352_1062 Depth=1
	s_or_b32 exec_lo, exec_lo, s12
	;;#ASMSTART
	v_pk_mul_f16 v12, v97, v14;

	;;#ASMEND
	;;#ASMSTART
	v_pk_mul_f16 v13, v87, v13;

	;;#ASMEND
	;; [unrolled: 4-line block ×4, first 2 shown]
	;;#ASMSTART
	v_pk_add_f16 v12, v12, v13;

	;;#ASMEND
	;;#ASMSTART
	v_pk_add_f16 v0, v12, v0;

	;;#ASMEND
	;; [unrolled: 4-line block ×3, first 2 shown]
	v_dual_mov_b32 v112, 0 :: v_dual_and_b32 v11, 0xffff, v0
	v_lshrrev_b32_e32 v0, 16, v0
	;;#ASMSTART
	v_cvt_f32_f16 v100, v11;
	;;#ASMEND
	;;#ASMSTART
	v_cvt_f32_f16 v101, v0;
	;;#ASMEND
	flat_load_b64 v[11:12], v[9:10] offset:512
	flat_load_b32 v102, v[26:27]
	s_mov_b32 s12, exec_lo
	s_waitcnt vmcnt(1) lgkmcnt(1)
	v_dual_mov_b32 v103, 0 :: v_dual_and_b32 v0, 0xff, v11
	s_delay_alu instid0(VALU_DEP_1)
	v_cmpx_ne_u16_e32 0, v0
	s_cbranch_execz .LBB352_1203
; %bb.1196:                             ;   in Loop: Header=BB352_1062 Depth=1
	v_bfrev_b32_e32 v103, 1
	s_mov_b32 s13, exec_lo
	v_cmpx_ne_u16_e32 0x80, v0
	s_cbranch_execz .LBB352_1202
; %bb.1197:                             ;   in Loop: Header=BB352_1062 Depth=1
	v_and_b32_e32 v13, 0x7f, v11
	v_mov_b32_e32 v103, 0x7fc02000
	s_mov_b32 s15, exec_lo
	s_delay_alu instid0(VALU_DEP_2)
	v_cmpx_ne_u32_e32 0x7f, v13
	s_cbranch_execz .LBB352_1201
; %bb.1198:                             ;   in Loop: Header=BB352_1062 Depth=1
	v_lshrrev_b32_e32 v0, 3, v13
	v_cmp_gt_u32_e64 s0, 8, v13
	v_dual_mov_b32 v14, v12 :: v_dual_mov_b32 v13, v11
	s_delay_alu instid0(VALU_DEP_2)
	s_and_saveexec_b32 s16, s0
; %bb.1199:                             ;   in Loop: Header=BB352_1062 Depth=1
	v_and_b32_e32 v0, 7, v11
	s_delay_alu instid0(VALU_DEP_1) | instskip(NEXT) | instid1(VALU_DEP_1)
	v_clz_i32_u32_e32 v0, v0
	v_min_u32_e32 v0, 32, v0
	s_delay_alu instid0(VALU_DEP_1) | instskip(SKIP_1) | instid1(VALU_DEP_2)
	v_subrev_nc_u32_e32 v13, 28, v0
	v_sub_nc_u32_e32 v0, 29, v0
	v_lshlrev_b64 v[13:14], v13, v[11:12]
; %bb.1200:                             ;   in Loop: Header=BB352_1062 Depth=1
	s_or_b32 exec_lo, exec_lo, s16
	v_lshlrev_b32_e32 v14, 8, v11
	s_delay_alu instid0(VALU_DEP_3) | instskip(NEXT) | instid1(VALU_DEP_3)
	v_lshl_add_u32 v0, v0, 10, 0x2000
	v_lshlrev_b32_e32 v13, 7, v13
	s_delay_alu instid0(VALU_DEP_2) | instskip(NEXT) | instid1(VALU_DEP_1)
	v_and_or_b32 v0, 0x8000, v14, v0
	v_and_or_b32 v0, 0x380, v13, v0
	s_delay_alu instid0(VALU_DEP_1)
	v_cvt_f32_f16_e32 v103, v0
.LBB352_1201:                           ;   in Loop: Header=BB352_1062 Depth=1
	s_or_b32 exec_lo, exec_lo, s15
.LBB352_1202:                           ;   in Loop: Header=BB352_1062 Depth=1
	s_delay_alu instid0(SALU_CYCLE_1)
	s_or_b32 exec_lo, exec_lo, s13
.LBB352_1203:                           ;   in Loop: Header=BB352_1062 Depth=1
	s_delay_alu instid0(SALU_CYCLE_1) | instskip(SKIP_2) | instid1(VALU_DEP_1)
	s_or_b32 exec_lo, exec_lo, s12
	v_lshrrev_b16 v0, 8, v11
	s_mov_b32 s12, exec_lo
	v_cmpx_ne_u16_e32 0, v0
	s_cbranch_execz .LBB352_1211
; %bb.1204:                             ;   in Loop: Header=BB352_1062 Depth=1
	v_bfrev_b32_e32 v112, 1
	s_mov_b32 s13, exec_lo
	v_cmpx_ne_u16_e32 0x80, v0
	s_cbranch_execz .LBB352_1210
; %bb.1205:                             ;   in Loop: Header=BB352_1062 Depth=1
	v_and_b32_e32 v113, 0xffff, v0
	v_mov_b32_e32 v112, 0x7fc02000
	s_mov_b32 s15, exec_lo
	s_delay_alu instid0(VALU_DEP_2) | instskip(NEXT) | instid1(VALU_DEP_1)
	v_and_b32_e32 v13, 0x7f, v113
	v_cmpx_ne_u32_e32 0x7f, v13
	s_cbranch_execz .LBB352_1209
; %bb.1206:                             ;   in Loop: Header=BB352_1062 Depth=1
	v_and_b32_e32 v0, 7, v113
	v_lshrrev_b32_e32 v112, 3, v13
	v_cmp_gt_u32_e64 s0, 8, v13
	s_delay_alu instid0(VALU_DEP_3) | instskip(NEXT) | instid1(VALU_DEP_2)
	v_dual_mov_b32 v14, v1 :: v_dual_mov_b32 v13, v0
	s_and_saveexec_b32 s16, s0
; %bb.1207:                             ;   in Loop: Header=BB352_1062 Depth=1
	v_clz_i32_u32_e32 v13, v0
	s_delay_alu instid0(VALU_DEP_1) | instskip(NEXT) | instid1(VALU_DEP_1)
	v_min_u32_e32 v112, 32, v13
	v_subrev_nc_u32_e32 v13, 28, v112
	v_sub_nc_u32_e32 v112, 29, v112
	s_delay_alu instid0(VALU_DEP_2) | instskip(NEXT) | instid1(VALU_DEP_1)
	v_lshlrev_b64 v[13:14], v13, v[0:1]
	v_and_b32_e32 v13, 7, v13
; %bb.1208:                             ;   in Loop: Header=BB352_1062 Depth=1
	s_or_b32 exec_lo, exec_lo, s16
	v_lshlrev_b32_e32 v0, 8, v113
	v_lshl_add_u32 v14, v112, 10, 0x2000
	s_delay_alu instid0(VALU_DEP_1) | instskip(NEXT) | instid1(VALU_DEP_1)
	v_and_or_b32 v0, 0x8000, v0, v14
	v_lshl_or_b32 v0, v13, 7, v0
	s_delay_alu instid0(VALU_DEP_1)
	v_cvt_f32_f16_e32 v112, v0
.LBB352_1209:                           ;   in Loop: Header=BB352_1062 Depth=1
	s_or_b32 exec_lo, exec_lo, s15
.LBB352_1210:                           ;   in Loop: Header=BB352_1062 Depth=1
	s_delay_alu instid0(SALU_CYCLE_1)
	s_or_b32 exec_lo, exec_lo, s13
.LBB352_1211:                           ;   in Loop: Header=BB352_1062 Depth=1
	s_delay_alu instid0(SALU_CYCLE_1) | instskip(SKIP_3) | instid1(VALU_DEP_2)
	s_or_b32 exec_lo, exec_lo, s12
	v_lshrrev_b32_e32 v115, 16, v11
	v_mov_b32_e32 v114, 0
	s_mov_b32 s12, exec_lo
	v_dual_mov_b32 v113, 0 :: v_dual_and_b32 v0, 0xff, v115
	s_delay_alu instid0(VALU_DEP_1)
	v_cmpx_ne_u16_e32 0, v0
	s_cbranch_execz .LBB352_1219
; %bb.1212:                             ;   in Loop: Header=BB352_1062 Depth=1
	v_bfrev_b32_e32 v113, 1
	s_mov_b32 s13, exec_lo
	v_cmpx_ne_u16_e32 0x80, v0
	s_cbranch_execz .LBB352_1218
; %bb.1213:                             ;   in Loop: Header=BB352_1062 Depth=1
	v_bfe_u32 v13, v11, 16, 7
	v_mov_b32_e32 v113, 0x7fc02000
	s_mov_b32 s15, exec_lo
	s_delay_alu instid0(VALU_DEP_2)
	v_cmpx_ne_u32_e32 0x7f, v13
	s_cbranch_execz .LBB352_1217
; %bb.1214:                             ;   in Loop: Header=BB352_1062 Depth=1
	v_and_b32_e32 v0, 7, v115
	v_lshrrev_b32_e32 v113, 3, v13
	v_cmp_gt_u32_e64 s0, 8, v13
	s_delay_alu instid0(VALU_DEP_3) | instskip(NEXT) | instid1(VALU_DEP_2)
	v_dual_mov_b32 v14, v1 :: v_dual_mov_b32 v13, v0
	s_and_saveexec_b32 s16, s0
; %bb.1215:                             ;   in Loop: Header=BB352_1062 Depth=1
	v_clz_i32_u32_e32 v13, v0
	s_delay_alu instid0(VALU_DEP_1) | instskip(NEXT) | instid1(VALU_DEP_1)
	v_min_u32_e32 v113, 32, v13
	v_subrev_nc_u32_e32 v13, 28, v113
	v_sub_nc_u32_e32 v113, 29, v113
	s_delay_alu instid0(VALU_DEP_2) | instskip(NEXT) | instid1(VALU_DEP_1)
	v_lshlrev_b64 v[13:14], v13, v[0:1]
	v_and_b32_e32 v13, 7, v13
; %bb.1216:                             ;   in Loop: Header=BB352_1062 Depth=1
	s_or_b32 exec_lo, exec_lo, s16
	v_lshlrev_b32_e32 v0, 8, v115
	v_lshl_add_u32 v14, v113, 10, 0x2000
	s_delay_alu instid0(VALU_DEP_1) | instskip(NEXT) | instid1(VALU_DEP_1)
	v_and_or_b32 v0, 0x8000, v0, v14
	v_lshl_or_b32 v0, v13, 7, v0
	s_delay_alu instid0(VALU_DEP_1)
	v_cvt_f32_f16_e32 v113, v0
.LBB352_1217:                           ;   in Loop: Header=BB352_1062 Depth=1
	s_or_b32 exec_lo, exec_lo, s15
.LBB352_1218:                           ;   in Loop: Header=BB352_1062 Depth=1
	s_delay_alu instid0(SALU_CYCLE_1)
	s_or_b32 exec_lo, exec_lo, s13
.LBB352_1219:                           ;   in Loop: Header=BB352_1062 Depth=1
	s_delay_alu instid0(SALU_CYCLE_1) | instskip(NEXT) | instid1(SALU_CYCLE_1)
	s_or_b32 exec_lo, exec_lo, s12
	s_mov_b32 s12, exec_lo
	v_cmpx_lt_u32_e32 0xffffff, v11
	s_cbranch_execz .LBB352_1227
; %bb.1220:                             ;   in Loop: Header=BB352_1062 Depth=1
	v_lshrrev_b32_e32 v115, 24, v11
	v_bfrev_b32_e32 v114, 1
	s_mov_b32 s13, exec_lo
	s_delay_alu instid0(VALU_DEP_2)
	v_cmpx_ne_u32_e32 0x80, v115
	s_cbranch_execz .LBB352_1226
; %bb.1221:                             ;   in Loop: Header=BB352_1062 Depth=1
	v_and_b32_e32 v13, 0x7f, v115
	v_mov_b32_e32 v114, 0x7fc02000
	s_mov_b32 s15, exec_lo
	s_delay_alu instid0(VALU_DEP_2)
	v_cmpx_ne_u32_e32 0x7f, v13
	s_cbranch_execz .LBB352_1225
; %bb.1222:                             ;   in Loop: Header=BB352_1062 Depth=1
	v_and_b32_e32 v0, 7, v115
	v_lshrrev_b32_e32 v114, 3, v13
	v_cmp_gt_u32_e64 s0, 8, v13
	s_delay_alu instid0(VALU_DEP_3) | instskip(NEXT) | instid1(VALU_DEP_2)
	v_dual_mov_b32 v14, v1 :: v_dual_mov_b32 v13, v0
	s_and_saveexec_b32 s16, s0
; %bb.1223:                             ;   in Loop: Header=BB352_1062 Depth=1
	v_clz_i32_u32_e32 v13, v0
	s_delay_alu instid0(VALU_DEP_1) | instskip(NEXT) | instid1(VALU_DEP_1)
	v_min_u32_e32 v114, 32, v13
	v_subrev_nc_u32_e32 v13, 28, v114
	v_sub_nc_u32_e32 v114, 29, v114
	s_delay_alu instid0(VALU_DEP_2) | instskip(NEXT) | instid1(VALU_DEP_1)
	v_lshlrev_b64 v[13:14], v13, v[0:1]
	v_and_b32_e32 v13, 7, v13
; %bb.1224:                             ;   in Loop: Header=BB352_1062 Depth=1
	s_or_b32 exec_lo, exec_lo, s16
	v_lshlrev_b32_e32 v0, 8, v115
	v_lshl_add_u32 v14, v114, 10, 0x2000
	s_delay_alu instid0(VALU_DEP_1) | instskip(NEXT) | instid1(VALU_DEP_1)
	v_and_or_b32 v0, 0x8000, v0, v14
	v_lshl_or_b32 v0, v13, 7, v0
	s_delay_alu instid0(VALU_DEP_1)
	v_cvt_f32_f16_e32 v114, v0
.LBB352_1225:                           ;   in Loop: Header=BB352_1062 Depth=1
	s_or_b32 exec_lo, exec_lo, s15
.LBB352_1226:                           ;   in Loop: Header=BB352_1062 Depth=1
	s_delay_alu instid0(SALU_CYCLE_1)
	s_or_b32 exec_lo, exec_lo, s13
.LBB352_1227:                           ;   in Loop: Header=BB352_1062 Depth=1
	s_delay_alu instid0(SALU_CYCLE_1) | instskip(SKIP_3) | instid1(VALU_DEP_2)
	s_or_b32 exec_lo, exec_lo, s12
	v_dual_mov_b32 v0, v12 :: v_dual_and_b32 v13, 0xff, v12
	v_dual_mov_b32 v116, 0 :: v_dual_mov_b32 v115, 0
	s_mov_b32 s12, exec_lo
	v_cmpx_ne_u16_e32 0, v13
	s_cbranch_execz .LBB352_1235
; %bb.1228:                             ;   in Loop: Header=BB352_1062 Depth=1
	v_bfrev_b32_e32 v115, 1
	s_mov_b32 s13, exec_lo
	v_cmpx_ne_u16_e32 0x80, v13
	s_cbranch_execz .LBB352_1234
; %bb.1229:                             ;   in Loop: Header=BB352_1062 Depth=1
	v_and_b32_e32 v13, 0x7f, v12
	v_mov_b32_e32 v115, 0x7fc02000
	s_mov_b32 s15, exec_lo
	s_delay_alu instid0(VALU_DEP_2)
	v_cmpx_ne_u32_e32 0x7f, v13
	s_cbranch_execz .LBB352_1233
; %bb.1230:                             ;   in Loop: Header=BB352_1062 Depth=1
	v_lshrrev_b32_e32 v115, 3, v13
	v_cmp_gt_u32_e64 s0, 8, v13
	v_dual_mov_b32 v14, v1 :: v_dual_mov_b32 v13, v0
	s_delay_alu instid0(VALU_DEP_2)
	s_and_saveexec_b32 s16, s0
; %bb.1231:                             ;   in Loop: Header=BB352_1062 Depth=1
	v_and_b32_e32 v13, 7, v12
	s_delay_alu instid0(VALU_DEP_1) | instskip(NEXT) | instid1(VALU_DEP_1)
	v_clz_i32_u32_e32 v13, v13
	v_min_u32_e32 v115, 32, v13
	s_delay_alu instid0(VALU_DEP_1) | instskip(SKIP_1) | instid1(VALU_DEP_2)
	v_subrev_nc_u32_e32 v13, 28, v115
	v_sub_nc_u32_e32 v115, 29, v115
	v_lshlrev_b64 v[13:14], v13, v[0:1]
; %bb.1232:                             ;   in Loop: Header=BB352_1062 Depth=1
	s_or_b32 exec_lo, exec_lo, s16
	v_lshlrev_b32_e32 v14, 8, v12
	s_delay_alu instid0(VALU_DEP_3) | instskip(NEXT) | instid1(VALU_DEP_3)
	v_lshl_add_u32 v115, v115, 10, 0x2000
	v_lshlrev_b32_e32 v13, 7, v13
	s_delay_alu instid0(VALU_DEP_2) | instskip(NEXT) | instid1(VALU_DEP_1)
	v_and_or_b32 v14, 0x8000, v14, v115
	v_and_or_b32 v13, 0x380, v13, v14
	s_delay_alu instid0(VALU_DEP_1)
	v_cvt_f32_f16_e32 v115, v13
.LBB352_1233:                           ;   in Loop: Header=BB352_1062 Depth=1
	s_or_b32 exec_lo, exec_lo, s15
.LBB352_1234:                           ;   in Loop: Header=BB352_1062 Depth=1
	s_delay_alu instid0(SALU_CYCLE_1)
	s_or_b32 exec_lo, exec_lo, s13
.LBB352_1235:                           ;   in Loop: Header=BB352_1062 Depth=1
	s_delay_alu instid0(SALU_CYCLE_1) | instskip(SKIP_2) | instid1(VALU_DEP_1)
	s_or_b32 exec_lo, exec_lo, s12
	v_lshrrev_b16 v0, 8, v0
	s_mov_b32 s12, exec_lo
	v_cmpx_ne_u16_e32 0, v0
	s_cbranch_execz .LBB352_1243
; %bb.1236:                             ;   in Loop: Header=BB352_1062 Depth=1
	v_bfrev_b32_e32 v116, 1
	s_mov_b32 s13, exec_lo
	v_cmpx_ne_u16_e32 0x80, v0
	s_cbranch_execz .LBB352_1242
; %bb.1237:                             ;   in Loop: Header=BB352_1062 Depth=1
	v_and_b32_e32 v117, 0xffff, v0
	v_mov_b32_e32 v116, 0x7fc02000
	s_mov_b32 s15, exec_lo
	s_delay_alu instid0(VALU_DEP_2) | instskip(NEXT) | instid1(VALU_DEP_1)
	v_and_b32_e32 v13, 0x7f, v117
	v_cmpx_ne_u32_e32 0x7f, v13
	s_cbranch_execz .LBB352_1241
; %bb.1238:                             ;   in Loop: Header=BB352_1062 Depth=1
	v_and_b32_e32 v0, 7, v117
	v_lshrrev_b32_e32 v116, 3, v13
	v_cmp_gt_u32_e64 s0, 8, v13
	s_delay_alu instid0(VALU_DEP_3) | instskip(NEXT) | instid1(VALU_DEP_2)
	v_dual_mov_b32 v14, v1 :: v_dual_mov_b32 v13, v0
	s_and_saveexec_b32 s16, s0
; %bb.1239:                             ;   in Loop: Header=BB352_1062 Depth=1
	v_clz_i32_u32_e32 v13, v0
	s_delay_alu instid0(VALU_DEP_1) | instskip(NEXT) | instid1(VALU_DEP_1)
	v_min_u32_e32 v116, 32, v13
	v_subrev_nc_u32_e32 v13, 28, v116
	v_sub_nc_u32_e32 v116, 29, v116
	s_delay_alu instid0(VALU_DEP_2) | instskip(NEXT) | instid1(VALU_DEP_1)
	v_lshlrev_b64 v[13:14], v13, v[0:1]
	v_and_b32_e32 v13, 7, v13
; %bb.1240:                             ;   in Loop: Header=BB352_1062 Depth=1
	s_or_b32 exec_lo, exec_lo, s16
	v_lshlrev_b32_e32 v0, 8, v117
	v_lshl_add_u32 v14, v116, 10, 0x2000
	s_delay_alu instid0(VALU_DEP_1) | instskip(NEXT) | instid1(VALU_DEP_1)
	v_and_or_b32 v0, 0x8000, v0, v14
	v_lshl_or_b32 v0, v13, 7, v0
	s_delay_alu instid0(VALU_DEP_1)
	v_cvt_f32_f16_e32 v116, v0
.LBB352_1241:                           ;   in Loop: Header=BB352_1062 Depth=1
	s_or_b32 exec_lo, exec_lo, s15
.LBB352_1242:                           ;   in Loop: Header=BB352_1062 Depth=1
	s_delay_alu instid0(SALU_CYCLE_1)
	s_or_b32 exec_lo, exec_lo, s13
.LBB352_1243:                           ;   in Loop: Header=BB352_1062 Depth=1
	s_delay_alu instid0(SALU_CYCLE_1) | instskip(SKIP_3) | instid1(VALU_DEP_2)
	s_or_b32 exec_lo, exec_lo, s12
	v_lshrrev_b32_e32 v118, 16, v12
	v_mov_b32_e32 v13, 0
	s_mov_b32 s12, exec_lo
	v_dual_mov_b32 v117, 0 :: v_dual_and_b32 v0, 0xff, v118
	s_delay_alu instid0(VALU_DEP_1)
	v_cmpx_ne_u16_e32 0, v0
	s_cbranch_execz .LBB352_1251
; %bb.1244:                             ;   in Loop: Header=BB352_1062 Depth=1
	v_bfrev_b32_e32 v13, 1
	s_mov_b32 s13, exec_lo
	v_cmpx_ne_u16_e32 0x80, v0
	s_cbranch_execz .LBB352_1250
; %bb.1245:                             ;   in Loop: Header=BB352_1062 Depth=1
	v_bfe_u32 v14, v12, 16, 7
	v_mov_b32_e32 v13, 0x7fc02000
	s_mov_b32 s15, exec_lo
	s_delay_alu instid0(VALU_DEP_2)
	v_cmpx_ne_u32_e32 0x7f, v14
	s_cbranch_execz .LBB352_1249
; %bb.1246:                             ;   in Loop: Header=BB352_1062 Depth=1
	v_and_b32_e32 v0, 7, v118
	v_lshrrev_b32_e32 v119, 3, v14
	v_cmp_gt_u32_e64 s0, 8, v14
	s_delay_alu instid0(VALU_DEP_3) | instskip(NEXT) | instid1(VALU_DEP_2)
	v_dual_mov_b32 v14, v1 :: v_dual_mov_b32 v13, v0
	s_and_saveexec_b32 s16, s0
; %bb.1247:                             ;   in Loop: Header=BB352_1062 Depth=1
	v_clz_i32_u32_e32 v13, v0
	s_delay_alu instid0(VALU_DEP_1) | instskip(NEXT) | instid1(VALU_DEP_1)
	v_min_u32_e32 v119, 32, v13
	v_subrev_nc_u32_e32 v13, 28, v119
	v_sub_nc_u32_e32 v119, 29, v119
	s_delay_alu instid0(VALU_DEP_2) | instskip(NEXT) | instid1(VALU_DEP_1)
	v_lshlrev_b64 v[13:14], v13, v[0:1]
	v_and_b32_e32 v13, 7, v13
; %bb.1248:                             ;   in Loop: Header=BB352_1062 Depth=1
	s_or_b32 exec_lo, exec_lo, s16
	v_lshlrev_b32_e32 v0, 8, v118
	v_lshl_add_u32 v14, v119, 10, 0x2000
	s_delay_alu instid0(VALU_DEP_1) | instskip(NEXT) | instid1(VALU_DEP_1)
	v_and_or_b32 v0, 0x8000, v0, v14
	v_lshl_or_b32 v0, v13, 7, v0
	s_delay_alu instid0(VALU_DEP_1)
	v_cvt_f32_f16_e32 v13, v0
.LBB352_1249:                           ;   in Loop: Header=BB352_1062 Depth=1
	s_or_b32 exec_lo, exec_lo, s15
.LBB352_1250:                           ;   in Loop: Header=BB352_1062 Depth=1
	s_delay_alu instid0(SALU_CYCLE_1)
	s_or_b32 exec_lo, exec_lo, s13
.LBB352_1251:                           ;   in Loop: Header=BB352_1062 Depth=1
	s_delay_alu instid0(SALU_CYCLE_1) | instskip(NEXT) | instid1(SALU_CYCLE_1)
	s_or_b32 exec_lo, exec_lo, s12
	s_mov_b32 s12, exec_lo
	v_cmpx_lt_u64_e64 s[8:9], v[11:12]
	s_cbranch_execz .LBB352_1259
; %bb.1252:                             ;   in Loop: Header=BB352_1062 Depth=1
	v_lshrrev_b32_e32 v14, 24, v12
	v_bfrev_b32_e32 v117, 1
	s_mov_b32 s13, exec_lo
	s_delay_alu instid0(VALU_DEP_2)
	v_cmpx_ne_u32_e32 0x80, v14
	s_cbranch_execz .LBB352_1258
; %bb.1253:                             ;   in Loop: Header=BB352_1062 Depth=1
	v_and_b32_e32 v11, 0x7f, v14
	v_mov_b32_e32 v117, 0x7fc02000
	s_mov_b32 s15, exec_lo
	s_delay_alu instid0(VALU_DEP_2)
	v_cmpx_ne_u32_e32 0x7f, v11
	s_cbranch_execz .LBB352_1257
; %bb.1254:                             ;   in Loop: Header=BB352_1062 Depth=1
	v_and_b32_e32 v0, 7, v14
	v_lshrrev_b32_e32 v117, 3, v11
	v_cmp_gt_u32_e64 s0, 8, v11
	s_delay_alu instid0(VALU_DEP_3) | instskip(NEXT) | instid1(VALU_DEP_2)
	v_dual_mov_b32 v12, v1 :: v_dual_mov_b32 v11, v0
	s_and_saveexec_b32 s16, s0
; %bb.1255:                             ;   in Loop: Header=BB352_1062 Depth=1
	v_clz_i32_u32_e32 v11, v0
	s_delay_alu instid0(VALU_DEP_1) | instskip(NEXT) | instid1(VALU_DEP_1)
	v_min_u32_e32 v117, 32, v11
	v_subrev_nc_u32_e32 v11, 28, v117
	v_sub_nc_u32_e32 v117, 29, v117
	s_delay_alu instid0(VALU_DEP_2) | instskip(NEXT) | instid1(VALU_DEP_1)
	v_lshlrev_b64 v[11:12], v11, v[0:1]
	v_and_b32_e32 v11, 7, v11
; %bb.1256:                             ;   in Loop: Header=BB352_1062 Depth=1
	s_or_b32 exec_lo, exec_lo, s16
	v_lshlrev_b32_e32 v0, 8, v14
	v_lshl_add_u32 v12, v117, 10, 0x2000
	s_delay_alu instid0(VALU_DEP_1) | instskip(NEXT) | instid1(VALU_DEP_1)
	v_and_or_b32 v0, 0x8000, v0, v12
	v_lshl_or_b32 v0, v11, 7, v0
	s_delay_alu instid0(VALU_DEP_1)
	v_cvt_f32_f16_e32 v117, v0
.LBB352_1257:                           ;   in Loop: Header=BB352_1062 Depth=1
	s_or_b32 exec_lo, exec_lo, s15
.LBB352_1258:                           ;   in Loop: Header=BB352_1062 Depth=1
	s_delay_alu instid0(SALU_CYCLE_1)
	s_or_b32 exec_lo, exec_lo, s13
.LBB352_1259:                           ;   in Loop: Header=BB352_1062 Depth=1
	s_delay_alu instid0(SALU_CYCLE_1)
	s_or_b32 exec_lo, exec_lo, s12
	s_waitcnt vmcnt(0) lgkmcnt(0)
	v_fma_mixlo_f16 v12, v102, v112, 0
	v_fma_mixlo_f16 v0, v102, v114, 0
	;; [unrolled: 1-line block ×5, first 2 shown]
	v_lshlrev_b32_e32 v14, 16, v12
	v_fma_mixlo_f16 v113, v102, v115, 0
	v_fma_mixlo_f16 v114, v102, v117, 0
	;; [unrolled: 1-line block ×3, first 2 shown]
	v_lshlrev_b32_e32 v0, 16, v0
	v_and_b32_e32 v11, 0xffff, v11
	v_and_b32_e32 v102, 0xffff, v103
	v_lshlrev_b32_e32 v103, 16, v112
	v_and_b32_e32 v112, 0xffff, v113
	v_lshlrev_b32_e32 v113, 16, v114
	v_and_b32_e32 v114, 0xffff, v12
	v_or_b32_e32 v13, v0, v11
	v_or_b32_e32 v14, v14, v102
	;; [unrolled: 1-line block ×3, first 2 shown]
	s_delay_alu instid0(VALU_DEP_4)
	v_or_b32_e32 v11, v113, v114
	s_and_saveexec_b32 s12, vcc_lo
	s_cbranch_execz .LBB352_1261
; %bb.1260:                             ;   in Loop: Header=BB352_1062 Depth=1
	v_cmp_lt_i32_e64 s0, v19, v38
	v_lshrrev_b32_e32 v102, 16, v14
	v_lshrrev_b32_e32 v103, 16, v13
	;; [unrolled: 1-line block ×4, first 2 shown]
	v_cndmask_b32_e64 v14, 0, v14, s0
	v_cmp_lt_i32_e64 s0, v99, v55
	s_delay_alu instid0(VALU_DEP_1) | instskip(SKIP_1) | instid1(VALU_DEP_2)
	v_cndmask_b32_e64 v102, 0, v102, s0
	v_cmp_lt_i32_e64 s0, v98, v55
	v_perm_b32 v14, v102, v14, 0x5040100
	s_delay_alu instid0(VALU_DEP_2) | instskip(SKIP_1) | instid1(VALU_DEP_1)
	v_cndmask_b32_e64 v103, 0, v103, s0
	v_cmp_lt_i32_e64 s0, v96, v38
	v_cndmask_b32_e64 v13, 0, v13, s0
	v_cmp_lt_i32_e64 s0, v84, v55
	s_delay_alu instid0(VALU_DEP_2) | instskip(NEXT) | instid1(VALU_DEP_2)
	v_perm_b32 v13, v103, v13, 0x5040100
	v_cndmask_b32_e64 v112, 0, v112, s0
	v_cmp_lt_i32_e64 s0, v83, v38
	s_delay_alu instid0(VALU_DEP_1) | instskip(SKIP_1) | instid1(VALU_DEP_2)
	v_cndmask_b32_e64 v0, 0, v0, s0
	v_cmp_lt_i32_e64 s0, v81, v55
	v_perm_b32 v0, v112, v0, 0x5040100
	s_delay_alu instid0(VALU_DEP_2) | instskip(SKIP_1) | instid1(VALU_DEP_1)
	v_cndmask_b32_e64 v11, 0, v11, s0
	v_cmp_lt_i32_e64 s0, v64, v38
	v_cndmask_b32_e64 v12, 0, v12, s0
	s_delay_alu instid0(VALU_DEP_1)
	v_perm_b32 v11, v11, v12, 0x5040100
.LBB352_1261:                           ;   in Loop: Header=BB352_1062 Depth=1
	s_or_b32 exec_lo, exec_lo, s12
	;;#ASMSTART
	v_pk_mul_f16 v12, v97, v14;

	;;#ASMEND
	;;#ASMSTART
	v_pk_mul_f16 v13, v87, v13;

	;;#ASMEND
	;; [unrolled: 4-line block ×4, first 2 shown]
	;;#ASMSTART
	v_pk_add_f16 v12, v12, v13;

	;;#ASMEND
	;;#ASMSTART
	v_pk_add_f16 v0, v12, v0;

	;;#ASMEND
	;;#ASMSTART
	v_pk_add_f16 v0, v0, v11;

	;;#ASMEND
	v_dual_mov_b32 v114, 0 :: v_dual_and_b32 v11, 0xffff, v0
	v_lshrrev_b32_e32 v0, 16, v0
	;;#ASMSTART
	v_cvt_f32_f16 v102, v11;
	;;#ASMEND
	;;#ASMSTART
	v_cvt_f32_f16 v103, v0;
	;;#ASMEND
	flat_load_b64 v[11:12], v[9:10] offset:768
	flat_load_b32 v112, v[26:27]
	s_mov_b32 s12, exec_lo
	s_waitcnt vmcnt(1) lgkmcnt(1)
	v_dual_mov_b32 v113, 0 :: v_dual_and_b32 v0, 0xff, v11
	s_delay_alu instid0(VALU_DEP_1)
	v_cmpx_ne_u16_e32 0, v0
	s_cbranch_execz .LBB352_1269
; %bb.1262:                             ;   in Loop: Header=BB352_1062 Depth=1
	v_bfrev_b32_e32 v113, 1
	s_mov_b32 s13, exec_lo
	v_cmpx_ne_u16_e32 0x80, v0
	s_cbranch_execz .LBB352_1268
; %bb.1263:                             ;   in Loop: Header=BB352_1062 Depth=1
	v_and_b32_e32 v13, 0x7f, v11
	v_mov_b32_e32 v113, 0x7fc02000
	s_mov_b32 s15, exec_lo
	s_delay_alu instid0(VALU_DEP_2)
	v_cmpx_ne_u32_e32 0x7f, v13
	s_cbranch_execz .LBB352_1267
; %bb.1264:                             ;   in Loop: Header=BB352_1062 Depth=1
	v_lshrrev_b32_e32 v0, 3, v13
	v_cmp_gt_u32_e64 s0, 8, v13
	v_dual_mov_b32 v14, v12 :: v_dual_mov_b32 v13, v11
	s_delay_alu instid0(VALU_DEP_2)
	s_and_saveexec_b32 s16, s0
; %bb.1265:                             ;   in Loop: Header=BB352_1062 Depth=1
	v_and_b32_e32 v0, 7, v11
	s_delay_alu instid0(VALU_DEP_1) | instskip(NEXT) | instid1(VALU_DEP_1)
	v_clz_i32_u32_e32 v0, v0
	v_min_u32_e32 v0, 32, v0
	s_delay_alu instid0(VALU_DEP_1) | instskip(SKIP_1) | instid1(VALU_DEP_2)
	v_subrev_nc_u32_e32 v13, 28, v0
	v_sub_nc_u32_e32 v0, 29, v0
	v_lshlrev_b64 v[13:14], v13, v[11:12]
; %bb.1266:                             ;   in Loop: Header=BB352_1062 Depth=1
	s_or_b32 exec_lo, exec_lo, s16
	v_lshlrev_b32_e32 v14, 8, v11
	s_delay_alu instid0(VALU_DEP_3) | instskip(NEXT) | instid1(VALU_DEP_3)
	v_lshl_add_u32 v0, v0, 10, 0x2000
	v_lshlrev_b32_e32 v13, 7, v13
	s_delay_alu instid0(VALU_DEP_2) | instskip(NEXT) | instid1(VALU_DEP_1)
	v_and_or_b32 v0, 0x8000, v14, v0
	v_and_or_b32 v0, 0x380, v13, v0
	s_delay_alu instid0(VALU_DEP_1)
	v_cvt_f32_f16_e32 v113, v0
.LBB352_1267:                           ;   in Loop: Header=BB352_1062 Depth=1
	s_or_b32 exec_lo, exec_lo, s15
.LBB352_1268:                           ;   in Loop: Header=BB352_1062 Depth=1
	s_delay_alu instid0(SALU_CYCLE_1)
	s_or_b32 exec_lo, exec_lo, s13
.LBB352_1269:                           ;   in Loop: Header=BB352_1062 Depth=1
	s_delay_alu instid0(SALU_CYCLE_1) | instskip(SKIP_2) | instid1(VALU_DEP_1)
	s_or_b32 exec_lo, exec_lo, s12
	v_lshrrev_b16 v0, 8, v11
	s_mov_b32 s12, exec_lo
	v_cmpx_ne_u16_e32 0, v0
	s_cbranch_execz .LBB352_1277
; %bb.1270:                             ;   in Loop: Header=BB352_1062 Depth=1
	v_bfrev_b32_e32 v114, 1
	s_mov_b32 s13, exec_lo
	v_cmpx_ne_u16_e32 0x80, v0
	s_cbranch_execz .LBB352_1276
; %bb.1271:                             ;   in Loop: Header=BB352_1062 Depth=1
	v_and_b32_e32 v115, 0xffff, v0
	v_mov_b32_e32 v114, 0x7fc02000
	s_mov_b32 s15, exec_lo
	s_delay_alu instid0(VALU_DEP_2) | instskip(NEXT) | instid1(VALU_DEP_1)
	v_and_b32_e32 v13, 0x7f, v115
	v_cmpx_ne_u32_e32 0x7f, v13
	s_cbranch_execz .LBB352_1275
; %bb.1272:                             ;   in Loop: Header=BB352_1062 Depth=1
	v_and_b32_e32 v0, 7, v115
	v_lshrrev_b32_e32 v114, 3, v13
	v_cmp_gt_u32_e64 s0, 8, v13
	s_delay_alu instid0(VALU_DEP_3) | instskip(NEXT) | instid1(VALU_DEP_2)
	v_dual_mov_b32 v14, v1 :: v_dual_mov_b32 v13, v0
	s_and_saveexec_b32 s16, s0
; %bb.1273:                             ;   in Loop: Header=BB352_1062 Depth=1
	v_clz_i32_u32_e32 v13, v0
	s_delay_alu instid0(VALU_DEP_1) | instskip(NEXT) | instid1(VALU_DEP_1)
	v_min_u32_e32 v114, 32, v13
	v_subrev_nc_u32_e32 v13, 28, v114
	v_sub_nc_u32_e32 v114, 29, v114
	s_delay_alu instid0(VALU_DEP_2) | instskip(NEXT) | instid1(VALU_DEP_1)
	v_lshlrev_b64 v[13:14], v13, v[0:1]
	v_and_b32_e32 v13, 7, v13
; %bb.1274:                             ;   in Loop: Header=BB352_1062 Depth=1
	s_or_b32 exec_lo, exec_lo, s16
	v_lshlrev_b32_e32 v0, 8, v115
	v_lshl_add_u32 v14, v114, 10, 0x2000
	s_delay_alu instid0(VALU_DEP_1) | instskip(NEXT) | instid1(VALU_DEP_1)
	v_and_or_b32 v0, 0x8000, v0, v14
	v_lshl_or_b32 v0, v13, 7, v0
	s_delay_alu instid0(VALU_DEP_1)
	v_cvt_f32_f16_e32 v114, v0
.LBB352_1275:                           ;   in Loop: Header=BB352_1062 Depth=1
	s_or_b32 exec_lo, exec_lo, s15
.LBB352_1276:                           ;   in Loop: Header=BB352_1062 Depth=1
	s_delay_alu instid0(SALU_CYCLE_1)
	s_or_b32 exec_lo, exec_lo, s13
.LBB352_1277:                           ;   in Loop: Header=BB352_1062 Depth=1
	s_delay_alu instid0(SALU_CYCLE_1) | instskip(SKIP_3) | instid1(VALU_DEP_2)
	s_or_b32 exec_lo, exec_lo, s12
	v_lshrrev_b32_e32 v117, 16, v11
	v_mov_b32_e32 v116, 0
	s_mov_b32 s12, exec_lo
	v_dual_mov_b32 v115, 0 :: v_dual_and_b32 v0, 0xff, v117
	s_delay_alu instid0(VALU_DEP_1)
	v_cmpx_ne_u16_e32 0, v0
	s_cbranch_execz .LBB352_1285
; %bb.1278:                             ;   in Loop: Header=BB352_1062 Depth=1
	v_bfrev_b32_e32 v115, 1
	s_mov_b32 s13, exec_lo
	v_cmpx_ne_u16_e32 0x80, v0
	s_cbranch_execz .LBB352_1284
; %bb.1279:                             ;   in Loop: Header=BB352_1062 Depth=1
	v_bfe_u32 v13, v11, 16, 7
	v_mov_b32_e32 v115, 0x7fc02000
	s_mov_b32 s15, exec_lo
	s_delay_alu instid0(VALU_DEP_2)
	v_cmpx_ne_u32_e32 0x7f, v13
	s_cbranch_execz .LBB352_1283
; %bb.1280:                             ;   in Loop: Header=BB352_1062 Depth=1
	v_and_b32_e32 v0, 7, v117
	v_lshrrev_b32_e32 v115, 3, v13
	v_cmp_gt_u32_e64 s0, 8, v13
	s_delay_alu instid0(VALU_DEP_3) | instskip(NEXT) | instid1(VALU_DEP_2)
	v_dual_mov_b32 v14, v1 :: v_dual_mov_b32 v13, v0
	s_and_saveexec_b32 s16, s0
; %bb.1281:                             ;   in Loop: Header=BB352_1062 Depth=1
	v_clz_i32_u32_e32 v13, v0
	s_delay_alu instid0(VALU_DEP_1) | instskip(NEXT) | instid1(VALU_DEP_1)
	v_min_u32_e32 v115, 32, v13
	v_subrev_nc_u32_e32 v13, 28, v115
	v_sub_nc_u32_e32 v115, 29, v115
	s_delay_alu instid0(VALU_DEP_2) | instskip(NEXT) | instid1(VALU_DEP_1)
	v_lshlrev_b64 v[13:14], v13, v[0:1]
	v_and_b32_e32 v13, 7, v13
; %bb.1282:                             ;   in Loop: Header=BB352_1062 Depth=1
	s_or_b32 exec_lo, exec_lo, s16
	v_lshlrev_b32_e32 v0, 8, v117
	v_lshl_add_u32 v14, v115, 10, 0x2000
	s_delay_alu instid0(VALU_DEP_1) | instskip(NEXT) | instid1(VALU_DEP_1)
	v_and_or_b32 v0, 0x8000, v0, v14
	v_lshl_or_b32 v0, v13, 7, v0
	s_delay_alu instid0(VALU_DEP_1)
	v_cvt_f32_f16_e32 v115, v0
.LBB352_1283:                           ;   in Loop: Header=BB352_1062 Depth=1
	s_or_b32 exec_lo, exec_lo, s15
.LBB352_1284:                           ;   in Loop: Header=BB352_1062 Depth=1
	s_delay_alu instid0(SALU_CYCLE_1)
	s_or_b32 exec_lo, exec_lo, s13
.LBB352_1285:                           ;   in Loop: Header=BB352_1062 Depth=1
	s_delay_alu instid0(SALU_CYCLE_1) | instskip(NEXT) | instid1(SALU_CYCLE_1)
	s_or_b32 exec_lo, exec_lo, s12
	s_mov_b32 s12, exec_lo
	v_cmpx_lt_u32_e32 0xffffff, v11
	s_cbranch_execz .LBB352_1293
; %bb.1286:                             ;   in Loop: Header=BB352_1062 Depth=1
	v_lshrrev_b32_e32 v117, 24, v11
	v_bfrev_b32_e32 v116, 1
	s_mov_b32 s13, exec_lo
	s_delay_alu instid0(VALU_DEP_2)
	v_cmpx_ne_u32_e32 0x80, v117
	s_cbranch_execz .LBB352_1292
; %bb.1287:                             ;   in Loop: Header=BB352_1062 Depth=1
	v_and_b32_e32 v13, 0x7f, v117
	v_mov_b32_e32 v116, 0x7fc02000
	s_mov_b32 s15, exec_lo
	s_delay_alu instid0(VALU_DEP_2)
	v_cmpx_ne_u32_e32 0x7f, v13
	s_cbranch_execz .LBB352_1291
; %bb.1288:                             ;   in Loop: Header=BB352_1062 Depth=1
	v_and_b32_e32 v0, 7, v117
	v_lshrrev_b32_e32 v116, 3, v13
	v_cmp_gt_u32_e64 s0, 8, v13
	s_delay_alu instid0(VALU_DEP_3) | instskip(NEXT) | instid1(VALU_DEP_2)
	v_dual_mov_b32 v14, v1 :: v_dual_mov_b32 v13, v0
	s_and_saveexec_b32 s16, s0
; %bb.1289:                             ;   in Loop: Header=BB352_1062 Depth=1
	v_clz_i32_u32_e32 v13, v0
	s_delay_alu instid0(VALU_DEP_1) | instskip(NEXT) | instid1(VALU_DEP_1)
	v_min_u32_e32 v116, 32, v13
	v_subrev_nc_u32_e32 v13, 28, v116
	v_sub_nc_u32_e32 v116, 29, v116
	s_delay_alu instid0(VALU_DEP_2) | instskip(NEXT) | instid1(VALU_DEP_1)
	v_lshlrev_b64 v[13:14], v13, v[0:1]
	v_and_b32_e32 v13, 7, v13
; %bb.1290:                             ;   in Loop: Header=BB352_1062 Depth=1
	s_or_b32 exec_lo, exec_lo, s16
	v_lshlrev_b32_e32 v0, 8, v117
	v_lshl_add_u32 v14, v116, 10, 0x2000
	s_delay_alu instid0(VALU_DEP_1) | instskip(NEXT) | instid1(VALU_DEP_1)
	v_and_or_b32 v0, 0x8000, v0, v14
	v_lshl_or_b32 v0, v13, 7, v0
	s_delay_alu instid0(VALU_DEP_1)
	v_cvt_f32_f16_e32 v116, v0
.LBB352_1291:                           ;   in Loop: Header=BB352_1062 Depth=1
	s_or_b32 exec_lo, exec_lo, s15
.LBB352_1292:                           ;   in Loop: Header=BB352_1062 Depth=1
	s_delay_alu instid0(SALU_CYCLE_1)
	s_or_b32 exec_lo, exec_lo, s13
.LBB352_1293:                           ;   in Loop: Header=BB352_1062 Depth=1
	s_delay_alu instid0(SALU_CYCLE_1) | instskip(SKIP_3) | instid1(VALU_DEP_2)
	s_or_b32 exec_lo, exec_lo, s12
	v_dual_mov_b32 v0, v12 :: v_dual_and_b32 v13, 0xff, v12
	v_dual_mov_b32 v118, 0 :: v_dual_mov_b32 v117, 0
	s_mov_b32 s12, exec_lo
	v_cmpx_ne_u16_e32 0, v13
	s_cbranch_execz .LBB352_1301
; %bb.1294:                             ;   in Loop: Header=BB352_1062 Depth=1
	v_bfrev_b32_e32 v117, 1
	s_mov_b32 s13, exec_lo
	v_cmpx_ne_u16_e32 0x80, v13
	s_cbranch_execz .LBB352_1300
; %bb.1295:                             ;   in Loop: Header=BB352_1062 Depth=1
	v_and_b32_e32 v13, 0x7f, v12
	v_mov_b32_e32 v117, 0x7fc02000
	s_mov_b32 s15, exec_lo
	s_delay_alu instid0(VALU_DEP_2)
	v_cmpx_ne_u32_e32 0x7f, v13
	s_cbranch_execz .LBB352_1299
; %bb.1296:                             ;   in Loop: Header=BB352_1062 Depth=1
	v_lshrrev_b32_e32 v117, 3, v13
	v_cmp_gt_u32_e64 s0, 8, v13
	v_dual_mov_b32 v14, v1 :: v_dual_mov_b32 v13, v0
	s_delay_alu instid0(VALU_DEP_2)
	s_and_saveexec_b32 s16, s0
; %bb.1297:                             ;   in Loop: Header=BB352_1062 Depth=1
	v_and_b32_e32 v13, 7, v12
	s_delay_alu instid0(VALU_DEP_1) | instskip(NEXT) | instid1(VALU_DEP_1)
	v_clz_i32_u32_e32 v13, v13
	v_min_u32_e32 v117, 32, v13
	s_delay_alu instid0(VALU_DEP_1) | instskip(SKIP_1) | instid1(VALU_DEP_2)
	v_subrev_nc_u32_e32 v13, 28, v117
	v_sub_nc_u32_e32 v117, 29, v117
	v_lshlrev_b64 v[13:14], v13, v[0:1]
; %bb.1298:                             ;   in Loop: Header=BB352_1062 Depth=1
	s_or_b32 exec_lo, exec_lo, s16
	v_lshlrev_b32_e32 v14, 8, v12
	s_delay_alu instid0(VALU_DEP_3) | instskip(NEXT) | instid1(VALU_DEP_3)
	v_lshl_add_u32 v117, v117, 10, 0x2000
	v_lshlrev_b32_e32 v13, 7, v13
	s_delay_alu instid0(VALU_DEP_2) | instskip(NEXT) | instid1(VALU_DEP_1)
	v_and_or_b32 v14, 0x8000, v14, v117
	v_and_or_b32 v13, 0x380, v13, v14
	s_delay_alu instid0(VALU_DEP_1)
	v_cvt_f32_f16_e32 v117, v13
.LBB352_1299:                           ;   in Loop: Header=BB352_1062 Depth=1
	s_or_b32 exec_lo, exec_lo, s15
.LBB352_1300:                           ;   in Loop: Header=BB352_1062 Depth=1
	s_delay_alu instid0(SALU_CYCLE_1)
	s_or_b32 exec_lo, exec_lo, s13
.LBB352_1301:                           ;   in Loop: Header=BB352_1062 Depth=1
	s_delay_alu instid0(SALU_CYCLE_1) | instskip(SKIP_2) | instid1(VALU_DEP_1)
	s_or_b32 exec_lo, exec_lo, s12
	v_lshrrev_b16 v0, 8, v0
	s_mov_b32 s12, exec_lo
	v_cmpx_ne_u16_e32 0, v0
	s_cbranch_execz .LBB352_1309
; %bb.1302:                             ;   in Loop: Header=BB352_1062 Depth=1
	v_bfrev_b32_e32 v118, 1
	s_mov_b32 s13, exec_lo
	v_cmpx_ne_u16_e32 0x80, v0
	s_cbranch_execz .LBB352_1308
; %bb.1303:                             ;   in Loop: Header=BB352_1062 Depth=1
	v_and_b32_e32 v119, 0xffff, v0
	v_mov_b32_e32 v118, 0x7fc02000
	s_mov_b32 s15, exec_lo
	s_delay_alu instid0(VALU_DEP_2) | instskip(NEXT) | instid1(VALU_DEP_1)
	v_and_b32_e32 v13, 0x7f, v119
	v_cmpx_ne_u32_e32 0x7f, v13
	s_cbranch_execz .LBB352_1307
; %bb.1304:                             ;   in Loop: Header=BB352_1062 Depth=1
	v_and_b32_e32 v0, 7, v119
	v_lshrrev_b32_e32 v118, 3, v13
	v_cmp_gt_u32_e64 s0, 8, v13
	s_delay_alu instid0(VALU_DEP_3) | instskip(NEXT) | instid1(VALU_DEP_2)
	v_dual_mov_b32 v14, v1 :: v_dual_mov_b32 v13, v0
	s_and_saveexec_b32 s16, s0
; %bb.1305:                             ;   in Loop: Header=BB352_1062 Depth=1
	v_clz_i32_u32_e32 v13, v0
	s_delay_alu instid0(VALU_DEP_1) | instskip(NEXT) | instid1(VALU_DEP_1)
	v_min_u32_e32 v118, 32, v13
	v_subrev_nc_u32_e32 v13, 28, v118
	v_sub_nc_u32_e32 v118, 29, v118
	s_delay_alu instid0(VALU_DEP_2) | instskip(NEXT) | instid1(VALU_DEP_1)
	v_lshlrev_b64 v[13:14], v13, v[0:1]
	v_and_b32_e32 v13, 7, v13
; %bb.1306:                             ;   in Loop: Header=BB352_1062 Depth=1
	s_or_b32 exec_lo, exec_lo, s16
	v_lshlrev_b32_e32 v0, 8, v119
	v_lshl_add_u32 v14, v118, 10, 0x2000
	s_delay_alu instid0(VALU_DEP_1) | instskip(NEXT) | instid1(VALU_DEP_1)
	v_and_or_b32 v0, 0x8000, v0, v14
	v_lshl_or_b32 v0, v13, 7, v0
	s_delay_alu instid0(VALU_DEP_1)
	v_cvt_f32_f16_e32 v118, v0
.LBB352_1307:                           ;   in Loop: Header=BB352_1062 Depth=1
	s_or_b32 exec_lo, exec_lo, s15
.LBB352_1308:                           ;   in Loop: Header=BB352_1062 Depth=1
	s_delay_alu instid0(SALU_CYCLE_1)
	s_or_b32 exec_lo, exec_lo, s13
.LBB352_1309:                           ;   in Loop: Header=BB352_1062 Depth=1
	s_delay_alu instid0(SALU_CYCLE_1) | instskip(SKIP_3) | instid1(VALU_DEP_2)
	s_or_b32 exec_lo, exec_lo, s12
	v_lshrrev_b32_e32 v128, 16, v12
	v_mov_b32_e32 v13, 0
	s_mov_b32 s12, exec_lo
	v_dual_mov_b32 v119, 0 :: v_dual_and_b32 v0, 0xff, v128
	s_delay_alu instid0(VALU_DEP_1)
	v_cmpx_ne_u16_e32 0, v0
	s_cbranch_execz .LBB352_1317
; %bb.1310:                             ;   in Loop: Header=BB352_1062 Depth=1
	v_bfrev_b32_e32 v13, 1
	s_mov_b32 s13, exec_lo
	v_cmpx_ne_u16_e32 0x80, v0
	s_cbranch_execz .LBB352_1316
; %bb.1311:                             ;   in Loop: Header=BB352_1062 Depth=1
	v_bfe_u32 v14, v12, 16, 7
	v_mov_b32_e32 v13, 0x7fc02000
	s_mov_b32 s15, exec_lo
	s_delay_alu instid0(VALU_DEP_2)
	v_cmpx_ne_u32_e32 0x7f, v14
	s_cbranch_execz .LBB352_1315
; %bb.1312:                             ;   in Loop: Header=BB352_1062 Depth=1
	v_and_b32_e32 v0, 7, v128
	v_lshrrev_b32_e32 v129, 3, v14
	v_cmp_gt_u32_e64 s0, 8, v14
	s_delay_alu instid0(VALU_DEP_3) | instskip(NEXT) | instid1(VALU_DEP_2)
	v_dual_mov_b32 v14, v1 :: v_dual_mov_b32 v13, v0
	s_and_saveexec_b32 s16, s0
; %bb.1313:                             ;   in Loop: Header=BB352_1062 Depth=1
	v_clz_i32_u32_e32 v13, v0
	s_delay_alu instid0(VALU_DEP_1) | instskip(NEXT) | instid1(VALU_DEP_1)
	v_min_u32_e32 v129, 32, v13
	v_subrev_nc_u32_e32 v13, 28, v129
	v_sub_nc_u32_e32 v129, 29, v129
	s_delay_alu instid0(VALU_DEP_2) | instskip(NEXT) | instid1(VALU_DEP_1)
	v_lshlrev_b64 v[13:14], v13, v[0:1]
	v_and_b32_e32 v13, 7, v13
; %bb.1314:                             ;   in Loop: Header=BB352_1062 Depth=1
	s_or_b32 exec_lo, exec_lo, s16
	v_lshlrev_b32_e32 v0, 8, v128
	v_lshl_add_u32 v14, v129, 10, 0x2000
	s_delay_alu instid0(VALU_DEP_1) | instskip(NEXT) | instid1(VALU_DEP_1)
	v_and_or_b32 v0, 0x8000, v0, v14
	v_lshl_or_b32 v0, v13, 7, v0
	s_delay_alu instid0(VALU_DEP_1)
	v_cvt_f32_f16_e32 v13, v0
.LBB352_1315:                           ;   in Loop: Header=BB352_1062 Depth=1
	s_or_b32 exec_lo, exec_lo, s15
.LBB352_1316:                           ;   in Loop: Header=BB352_1062 Depth=1
	s_delay_alu instid0(SALU_CYCLE_1)
	s_or_b32 exec_lo, exec_lo, s13
.LBB352_1317:                           ;   in Loop: Header=BB352_1062 Depth=1
	s_delay_alu instid0(SALU_CYCLE_1) | instskip(NEXT) | instid1(SALU_CYCLE_1)
	s_or_b32 exec_lo, exec_lo, s12
	s_mov_b32 s12, exec_lo
	v_cmpx_lt_u64_e64 s[8:9], v[11:12]
	s_cbranch_execz .LBB352_1325
; %bb.1318:                             ;   in Loop: Header=BB352_1062 Depth=1
	v_lshrrev_b32_e32 v14, 24, v12
	v_bfrev_b32_e32 v119, 1
	s_mov_b32 s13, exec_lo
	s_delay_alu instid0(VALU_DEP_2)
	v_cmpx_ne_u32_e32 0x80, v14
	s_cbranch_execz .LBB352_1324
; %bb.1319:                             ;   in Loop: Header=BB352_1062 Depth=1
	v_and_b32_e32 v11, 0x7f, v14
	v_mov_b32_e32 v119, 0x7fc02000
	s_mov_b32 s15, exec_lo
	s_delay_alu instid0(VALU_DEP_2)
	v_cmpx_ne_u32_e32 0x7f, v11
	s_cbranch_execz .LBB352_1323
; %bb.1320:                             ;   in Loop: Header=BB352_1062 Depth=1
	v_and_b32_e32 v0, 7, v14
	v_lshrrev_b32_e32 v119, 3, v11
	v_cmp_gt_u32_e64 s0, 8, v11
	s_delay_alu instid0(VALU_DEP_3) | instskip(NEXT) | instid1(VALU_DEP_2)
	v_dual_mov_b32 v12, v1 :: v_dual_mov_b32 v11, v0
	s_and_saveexec_b32 s16, s0
; %bb.1321:                             ;   in Loop: Header=BB352_1062 Depth=1
	v_clz_i32_u32_e32 v11, v0
	s_delay_alu instid0(VALU_DEP_1) | instskip(NEXT) | instid1(VALU_DEP_1)
	v_min_u32_e32 v119, 32, v11
	v_subrev_nc_u32_e32 v11, 28, v119
	v_sub_nc_u32_e32 v119, 29, v119
	s_delay_alu instid0(VALU_DEP_2) | instskip(NEXT) | instid1(VALU_DEP_1)
	v_lshlrev_b64 v[11:12], v11, v[0:1]
	v_and_b32_e32 v11, 7, v11
; %bb.1322:                             ;   in Loop: Header=BB352_1062 Depth=1
	s_or_b32 exec_lo, exec_lo, s16
	v_lshlrev_b32_e32 v0, 8, v14
	v_lshl_add_u32 v12, v119, 10, 0x2000
	s_delay_alu instid0(VALU_DEP_1) | instskip(NEXT) | instid1(VALU_DEP_1)
	v_and_or_b32 v0, 0x8000, v0, v12
	v_lshl_or_b32 v0, v11, 7, v0
	s_delay_alu instid0(VALU_DEP_1)
	v_cvt_f32_f16_e32 v119, v0
.LBB352_1323:                           ;   in Loop: Header=BB352_1062 Depth=1
	s_or_b32 exec_lo, exec_lo, s15
.LBB352_1324:                           ;   in Loop: Header=BB352_1062 Depth=1
	s_delay_alu instid0(SALU_CYCLE_1)
	s_or_b32 exec_lo, exec_lo, s13
.LBB352_1325:                           ;   in Loop: Header=BB352_1062 Depth=1
	s_delay_alu instid0(SALU_CYCLE_1)
	s_or_b32 exec_lo, exec_lo, s12
	s_waitcnt vmcnt(0) lgkmcnt(0)
	v_fma_mixlo_f16 v12, v112, v114, 0
	v_fma_mixlo_f16 v0, v112, v116, 0
	;; [unrolled: 1-line block ×5, first 2 shown]
	v_lshlrev_b32_e32 v14, 16, v12
	v_fma_mixlo_f16 v115, v112, v117, 0
	v_fma_mixlo_f16 v116, v112, v119, 0
	;; [unrolled: 1-line block ×3, first 2 shown]
	v_lshlrev_b32_e32 v0, 16, v0
	v_and_b32_e32 v11, 0xffff, v11
	v_and_b32_e32 v112, 0xffff, v113
	v_lshlrev_b32_e32 v113, 16, v114
	v_and_b32_e32 v114, 0xffff, v115
	v_lshlrev_b32_e32 v115, 16, v116
	v_and_b32_e32 v116, 0xffff, v12
	v_or_b32_e32 v13, v0, v11
	v_or_b32_e32 v14, v14, v112
	;; [unrolled: 1-line block ×3, first 2 shown]
	s_delay_alu instid0(VALU_DEP_4)
	v_or_b32_e32 v11, v115, v116
	s_and_saveexec_b32 s12, vcc_lo
	s_cbranch_execz .LBB352_1327
; %bb.1326:                             ;   in Loop: Header=BB352_1062 Depth=1
	v_cmp_lt_i32_e64 s0, v19, v38
	v_lshrrev_b32_e32 v112, 16, v14
	v_lshrrev_b32_e32 v113, 16, v13
	;; [unrolled: 1-line block ×4, first 2 shown]
	v_cndmask_b32_e64 v14, 0, v14, s0
	v_cmp_lt_i32_e64 s0, v99, v55
	s_delay_alu instid0(VALU_DEP_1) | instskip(SKIP_1) | instid1(VALU_DEP_2)
	v_cndmask_b32_e64 v112, 0, v112, s0
	v_cmp_lt_i32_e64 s0, v98, v55
	v_perm_b32 v14, v112, v14, 0x5040100
	s_delay_alu instid0(VALU_DEP_2) | instskip(SKIP_1) | instid1(VALU_DEP_1)
	v_cndmask_b32_e64 v113, 0, v113, s0
	v_cmp_lt_i32_e64 s0, v96, v38
	v_cndmask_b32_e64 v13, 0, v13, s0
	v_cmp_lt_i32_e64 s0, v84, v55
	s_delay_alu instid0(VALU_DEP_2) | instskip(NEXT) | instid1(VALU_DEP_2)
	v_perm_b32 v13, v113, v13, 0x5040100
	v_cndmask_b32_e64 v114, 0, v114, s0
	v_cmp_lt_i32_e64 s0, v83, v38
	s_delay_alu instid0(VALU_DEP_1) | instskip(SKIP_1) | instid1(VALU_DEP_2)
	v_cndmask_b32_e64 v0, 0, v0, s0
	v_cmp_lt_i32_e64 s0, v81, v55
	v_perm_b32 v0, v114, v0, 0x5040100
	s_delay_alu instid0(VALU_DEP_2) | instskip(SKIP_1) | instid1(VALU_DEP_1)
	v_cndmask_b32_e64 v11, 0, v11, s0
	v_cmp_lt_i32_e64 s0, v64, v38
	v_cndmask_b32_e64 v12, 0, v12, s0
	s_delay_alu instid0(VALU_DEP_1)
	v_perm_b32 v11, v11, v12, 0x5040100
.LBB352_1327:                           ;   in Loop: Header=BB352_1062 Depth=1
	s_or_b32 exec_lo, exec_lo, s12
	;;#ASMSTART
	v_pk_mul_f16 v12, v97, v14;

	;;#ASMEND
	;;#ASMSTART
	v_pk_mul_f16 v13, v87, v13;

	;;#ASMEND
	;; [unrolled: 4-line block ×4, first 2 shown]
	;;#ASMSTART
	v_pk_add_f16 v12, v12, v13;

	;;#ASMEND
	;;#ASMSTART
	v_pk_add_f16 v0, v12, v0;

	;;#ASMEND
	;; [unrolled: 4-line block ×3, first 2 shown]
	v_dual_mov_b32 v116, 0 :: v_dual_and_b32 v11, 0xffff, v0
	v_lshrrev_b32_e32 v0, 16, v0
	;;#ASMSTART
	v_cvt_f32_f16 v112, v11;
	;;#ASMEND
	;;#ASMSTART
	v_cvt_f32_f16 v113, v0;
	;;#ASMEND
	flat_load_b64 v[11:12], v[9:10] offset:1024
	flat_load_b32 v114, v[26:27]
	s_mov_b32 s12, exec_lo
	s_waitcnt vmcnt(1) lgkmcnt(1)
	v_dual_mov_b32 v115, 0 :: v_dual_and_b32 v0, 0xff, v11
	s_delay_alu instid0(VALU_DEP_1)
	v_cmpx_ne_u16_e32 0, v0
	s_cbranch_execz .LBB352_1335
; %bb.1328:                             ;   in Loop: Header=BB352_1062 Depth=1
	v_bfrev_b32_e32 v115, 1
	s_mov_b32 s13, exec_lo
	v_cmpx_ne_u16_e32 0x80, v0
	s_cbranch_execz .LBB352_1334
; %bb.1329:                             ;   in Loop: Header=BB352_1062 Depth=1
	v_and_b32_e32 v13, 0x7f, v11
	v_mov_b32_e32 v115, 0x7fc02000
	s_mov_b32 s15, exec_lo
	s_delay_alu instid0(VALU_DEP_2)
	v_cmpx_ne_u32_e32 0x7f, v13
	s_cbranch_execz .LBB352_1333
; %bb.1330:                             ;   in Loop: Header=BB352_1062 Depth=1
	v_lshrrev_b32_e32 v0, 3, v13
	v_cmp_gt_u32_e64 s0, 8, v13
	v_dual_mov_b32 v14, v12 :: v_dual_mov_b32 v13, v11
	s_delay_alu instid0(VALU_DEP_2)
	s_and_saveexec_b32 s16, s0
; %bb.1331:                             ;   in Loop: Header=BB352_1062 Depth=1
	v_and_b32_e32 v0, 7, v11
	s_delay_alu instid0(VALU_DEP_1) | instskip(NEXT) | instid1(VALU_DEP_1)
	v_clz_i32_u32_e32 v0, v0
	v_min_u32_e32 v0, 32, v0
	s_delay_alu instid0(VALU_DEP_1) | instskip(SKIP_1) | instid1(VALU_DEP_2)
	v_subrev_nc_u32_e32 v13, 28, v0
	v_sub_nc_u32_e32 v0, 29, v0
	v_lshlrev_b64 v[13:14], v13, v[11:12]
; %bb.1332:                             ;   in Loop: Header=BB352_1062 Depth=1
	s_or_b32 exec_lo, exec_lo, s16
	v_lshlrev_b32_e32 v14, 8, v11
	s_delay_alu instid0(VALU_DEP_3) | instskip(NEXT) | instid1(VALU_DEP_3)
	v_lshl_add_u32 v0, v0, 10, 0x2000
	v_lshlrev_b32_e32 v13, 7, v13
	s_delay_alu instid0(VALU_DEP_2) | instskip(NEXT) | instid1(VALU_DEP_1)
	v_and_or_b32 v0, 0x8000, v14, v0
	v_and_or_b32 v0, 0x380, v13, v0
	s_delay_alu instid0(VALU_DEP_1)
	v_cvt_f32_f16_e32 v115, v0
.LBB352_1333:                           ;   in Loop: Header=BB352_1062 Depth=1
	s_or_b32 exec_lo, exec_lo, s15
.LBB352_1334:                           ;   in Loop: Header=BB352_1062 Depth=1
	s_delay_alu instid0(SALU_CYCLE_1)
	s_or_b32 exec_lo, exec_lo, s13
.LBB352_1335:                           ;   in Loop: Header=BB352_1062 Depth=1
	s_delay_alu instid0(SALU_CYCLE_1) | instskip(SKIP_2) | instid1(VALU_DEP_1)
	s_or_b32 exec_lo, exec_lo, s12
	v_lshrrev_b16 v0, 8, v11
	s_mov_b32 s12, exec_lo
	v_cmpx_ne_u16_e32 0, v0
	s_cbranch_execz .LBB352_1343
; %bb.1336:                             ;   in Loop: Header=BB352_1062 Depth=1
	v_bfrev_b32_e32 v116, 1
	s_mov_b32 s13, exec_lo
	v_cmpx_ne_u16_e32 0x80, v0
	s_cbranch_execz .LBB352_1342
; %bb.1337:                             ;   in Loop: Header=BB352_1062 Depth=1
	v_and_b32_e32 v117, 0xffff, v0
	v_mov_b32_e32 v116, 0x7fc02000
	s_mov_b32 s15, exec_lo
	s_delay_alu instid0(VALU_DEP_2) | instskip(NEXT) | instid1(VALU_DEP_1)
	v_and_b32_e32 v13, 0x7f, v117
	v_cmpx_ne_u32_e32 0x7f, v13
	s_cbranch_execz .LBB352_1341
; %bb.1338:                             ;   in Loop: Header=BB352_1062 Depth=1
	v_and_b32_e32 v0, 7, v117
	v_lshrrev_b32_e32 v116, 3, v13
	v_cmp_gt_u32_e64 s0, 8, v13
	s_delay_alu instid0(VALU_DEP_3) | instskip(NEXT) | instid1(VALU_DEP_2)
	v_dual_mov_b32 v14, v1 :: v_dual_mov_b32 v13, v0
	s_and_saveexec_b32 s16, s0
; %bb.1339:                             ;   in Loop: Header=BB352_1062 Depth=1
	v_clz_i32_u32_e32 v13, v0
	s_delay_alu instid0(VALU_DEP_1) | instskip(NEXT) | instid1(VALU_DEP_1)
	v_min_u32_e32 v116, 32, v13
	v_subrev_nc_u32_e32 v13, 28, v116
	v_sub_nc_u32_e32 v116, 29, v116
	s_delay_alu instid0(VALU_DEP_2) | instskip(NEXT) | instid1(VALU_DEP_1)
	v_lshlrev_b64 v[13:14], v13, v[0:1]
	v_and_b32_e32 v13, 7, v13
; %bb.1340:                             ;   in Loop: Header=BB352_1062 Depth=1
	s_or_b32 exec_lo, exec_lo, s16
	v_lshlrev_b32_e32 v0, 8, v117
	v_lshl_add_u32 v14, v116, 10, 0x2000
	s_delay_alu instid0(VALU_DEP_1) | instskip(NEXT) | instid1(VALU_DEP_1)
	v_and_or_b32 v0, 0x8000, v0, v14
	v_lshl_or_b32 v0, v13, 7, v0
	s_delay_alu instid0(VALU_DEP_1)
	v_cvt_f32_f16_e32 v116, v0
.LBB352_1341:                           ;   in Loop: Header=BB352_1062 Depth=1
	s_or_b32 exec_lo, exec_lo, s15
.LBB352_1342:                           ;   in Loop: Header=BB352_1062 Depth=1
	s_delay_alu instid0(SALU_CYCLE_1)
	s_or_b32 exec_lo, exec_lo, s13
.LBB352_1343:                           ;   in Loop: Header=BB352_1062 Depth=1
	s_delay_alu instid0(SALU_CYCLE_1) | instskip(SKIP_3) | instid1(VALU_DEP_2)
	s_or_b32 exec_lo, exec_lo, s12
	v_lshrrev_b32_e32 v119, 16, v11
	v_mov_b32_e32 v118, 0
	s_mov_b32 s12, exec_lo
	v_dual_mov_b32 v117, 0 :: v_dual_and_b32 v0, 0xff, v119
	s_delay_alu instid0(VALU_DEP_1)
	v_cmpx_ne_u16_e32 0, v0
	s_cbranch_execz .LBB352_1351
; %bb.1344:                             ;   in Loop: Header=BB352_1062 Depth=1
	v_bfrev_b32_e32 v117, 1
	s_mov_b32 s13, exec_lo
	v_cmpx_ne_u16_e32 0x80, v0
	s_cbranch_execz .LBB352_1350
; %bb.1345:                             ;   in Loop: Header=BB352_1062 Depth=1
	v_bfe_u32 v13, v11, 16, 7
	v_mov_b32_e32 v117, 0x7fc02000
	s_mov_b32 s15, exec_lo
	s_delay_alu instid0(VALU_DEP_2)
	v_cmpx_ne_u32_e32 0x7f, v13
	s_cbranch_execz .LBB352_1349
; %bb.1346:                             ;   in Loop: Header=BB352_1062 Depth=1
	v_and_b32_e32 v0, 7, v119
	v_lshrrev_b32_e32 v117, 3, v13
	v_cmp_gt_u32_e64 s0, 8, v13
	s_delay_alu instid0(VALU_DEP_3) | instskip(NEXT) | instid1(VALU_DEP_2)
	v_dual_mov_b32 v14, v1 :: v_dual_mov_b32 v13, v0
	s_and_saveexec_b32 s16, s0
; %bb.1347:                             ;   in Loop: Header=BB352_1062 Depth=1
	v_clz_i32_u32_e32 v13, v0
	s_delay_alu instid0(VALU_DEP_1) | instskip(NEXT) | instid1(VALU_DEP_1)
	v_min_u32_e32 v117, 32, v13
	v_subrev_nc_u32_e32 v13, 28, v117
	v_sub_nc_u32_e32 v117, 29, v117
	s_delay_alu instid0(VALU_DEP_2) | instskip(NEXT) | instid1(VALU_DEP_1)
	v_lshlrev_b64 v[13:14], v13, v[0:1]
	v_and_b32_e32 v13, 7, v13
; %bb.1348:                             ;   in Loop: Header=BB352_1062 Depth=1
	s_or_b32 exec_lo, exec_lo, s16
	v_lshlrev_b32_e32 v0, 8, v119
	v_lshl_add_u32 v14, v117, 10, 0x2000
	s_delay_alu instid0(VALU_DEP_1) | instskip(NEXT) | instid1(VALU_DEP_1)
	v_and_or_b32 v0, 0x8000, v0, v14
	v_lshl_or_b32 v0, v13, 7, v0
	s_delay_alu instid0(VALU_DEP_1)
	v_cvt_f32_f16_e32 v117, v0
.LBB352_1349:                           ;   in Loop: Header=BB352_1062 Depth=1
	s_or_b32 exec_lo, exec_lo, s15
.LBB352_1350:                           ;   in Loop: Header=BB352_1062 Depth=1
	s_delay_alu instid0(SALU_CYCLE_1)
	s_or_b32 exec_lo, exec_lo, s13
.LBB352_1351:                           ;   in Loop: Header=BB352_1062 Depth=1
	s_delay_alu instid0(SALU_CYCLE_1) | instskip(NEXT) | instid1(SALU_CYCLE_1)
	s_or_b32 exec_lo, exec_lo, s12
	s_mov_b32 s12, exec_lo
	v_cmpx_lt_u32_e32 0xffffff, v11
	s_cbranch_execz .LBB352_1359
; %bb.1352:                             ;   in Loop: Header=BB352_1062 Depth=1
	v_lshrrev_b32_e32 v119, 24, v11
	v_bfrev_b32_e32 v118, 1
	s_mov_b32 s13, exec_lo
	s_delay_alu instid0(VALU_DEP_2)
	v_cmpx_ne_u32_e32 0x80, v119
	s_cbranch_execz .LBB352_1358
; %bb.1353:                             ;   in Loop: Header=BB352_1062 Depth=1
	v_and_b32_e32 v13, 0x7f, v119
	v_mov_b32_e32 v118, 0x7fc02000
	s_mov_b32 s15, exec_lo
	s_delay_alu instid0(VALU_DEP_2)
	v_cmpx_ne_u32_e32 0x7f, v13
	s_cbranch_execz .LBB352_1357
; %bb.1354:                             ;   in Loop: Header=BB352_1062 Depth=1
	v_and_b32_e32 v0, 7, v119
	v_lshrrev_b32_e32 v118, 3, v13
	v_cmp_gt_u32_e64 s0, 8, v13
	s_delay_alu instid0(VALU_DEP_3) | instskip(NEXT) | instid1(VALU_DEP_2)
	v_dual_mov_b32 v14, v1 :: v_dual_mov_b32 v13, v0
	s_and_saveexec_b32 s16, s0
; %bb.1355:                             ;   in Loop: Header=BB352_1062 Depth=1
	v_clz_i32_u32_e32 v13, v0
	s_delay_alu instid0(VALU_DEP_1) | instskip(NEXT) | instid1(VALU_DEP_1)
	v_min_u32_e32 v118, 32, v13
	v_subrev_nc_u32_e32 v13, 28, v118
	v_sub_nc_u32_e32 v118, 29, v118
	s_delay_alu instid0(VALU_DEP_2) | instskip(NEXT) | instid1(VALU_DEP_1)
	v_lshlrev_b64 v[13:14], v13, v[0:1]
	v_and_b32_e32 v13, 7, v13
; %bb.1356:                             ;   in Loop: Header=BB352_1062 Depth=1
	s_or_b32 exec_lo, exec_lo, s16
	v_lshlrev_b32_e32 v0, 8, v119
	v_lshl_add_u32 v14, v118, 10, 0x2000
	s_delay_alu instid0(VALU_DEP_1) | instskip(NEXT) | instid1(VALU_DEP_1)
	v_and_or_b32 v0, 0x8000, v0, v14
	v_lshl_or_b32 v0, v13, 7, v0
	s_delay_alu instid0(VALU_DEP_1)
	v_cvt_f32_f16_e32 v118, v0
.LBB352_1357:                           ;   in Loop: Header=BB352_1062 Depth=1
	s_or_b32 exec_lo, exec_lo, s15
.LBB352_1358:                           ;   in Loop: Header=BB352_1062 Depth=1
	s_delay_alu instid0(SALU_CYCLE_1)
	s_or_b32 exec_lo, exec_lo, s13
.LBB352_1359:                           ;   in Loop: Header=BB352_1062 Depth=1
	s_delay_alu instid0(SALU_CYCLE_1) | instskip(SKIP_3) | instid1(VALU_DEP_2)
	s_or_b32 exec_lo, exec_lo, s12
	v_dual_mov_b32 v0, v12 :: v_dual_and_b32 v13, 0xff, v12
	v_dual_mov_b32 v128, 0 :: v_dual_mov_b32 v119, 0
	s_mov_b32 s12, exec_lo
	v_cmpx_ne_u16_e32 0, v13
	s_cbranch_execz .LBB352_1367
; %bb.1360:                             ;   in Loop: Header=BB352_1062 Depth=1
	v_bfrev_b32_e32 v119, 1
	s_mov_b32 s13, exec_lo
	v_cmpx_ne_u16_e32 0x80, v13
	s_cbranch_execz .LBB352_1366
; %bb.1361:                             ;   in Loop: Header=BB352_1062 Depth=1
	v_and_b32_e32 v13, 0x7f, v12
	v_mov_b32_e32 v119, 0x7fc02000
	s_mov_b32 s15, exec_lo
	s_delay_alu instid0(VALU_DEP_2)
	v_cmpx_ne_u32_e32 0x7f, v13
	s_cbranch_execz .LBB352_1365
; %bb.1362:                             ;   in Loop: Header=BB352_1062 Depth=1
	v_lshrrev_b32_e32 v119, 3, v13
	v_cmp_gt_u32_e64 s0, 8, v13
	v_dual_mov_b32 v14, v1 :: v_dual_mov_b32 v13, v0
	s_delay_alu instid0(VALU_DEP_2)
	s_and_saveexec_b32 s16, s0
; %bb.1363:                             ;   in Loop: Header=BB352_1062 Depth=1
	v_and_b32_e32 v13, 7, v12
	s_delay_alu instid0(VALU_DEP_1) | instskip(NEXT) | instid1(VALU_DEP_1)
	v_clz_i32_u32_e32 v13, v13
	v_min_u32_e32 v119, 32, v13
	s_delay_alu instid0(VALU_DEP_1) | instskip(SKIP_1) | instid1(VALU_DEP_2)
	v_subrev_nc_u32_e32 v13, 28, v119
	v_sub_nc_u32_e32 v119, 29, v119
	v_lshlrev_b64 v[13:14], v13, v[0:1]
; %bb.1364:                             ;   in Loop: Header=BB352_1062 Depth=1
	s_or_b32 exec_lo, exec_lo, s16
	v_lshlrev_b32_e32 v14, 8, v12
	s_delay_alu instid0(VALU_DEP_3) | instskip(NEXT) | instid1(VALU_DEP_3)
	v_lshl_add_u32 v119, v119, 10, 0x2000
	v_lshlrev_b32_e32 v13, 7, v13
	s_delay_alu instid0(VALU_DEP_2) | instskip(NEXT) | instid1(VALU_DEP_1)
	v_and_or_b32 v14, 0x8000, v14, v119
	v_and_or_b32 v13, 0x380, v13, v14
	s_delay_alu instid0(VALU_DEP_1)
	v_cvt_f32_f16_e32 v119, v13
.LBB352_1365:                           ;   in Loop: Header=BB352_1062 Depth=1
	s_or_b32 exec_lo, exec_lo, s15
.LBB352_1366:                           ;   in Loop: Header=BB352_1062 Depth=1
	s_delay_alu instid0(SALU_CYCLE_1)
	s_or_b32 exec_lo, exec_lo, s13
.LBB352_1367:                           ;   in Loop: Header=BB352_1062 Depth=1
	s_delay_alu instid0(SALU_CYCLE_1) | instskip(SKIP_2) | instid1(VALU_DEP_1)
	s_or_b32 exec_lo, exec_lo, s12
	v_lshrrev_b16 v0, 8, v0
	s_mov_b32 s12, exec_lo
	v_cmpx_ne_u16_e32 0, v0
	s_cbranch_execz .LBB352_1375
; %bb.1368:                             ;   in Loop: Header=BB352_1062 Depth=1
	v_bfrev_b32_e32 v128, 1
	s_mov_b32 s13, exec_lo
	v_cmpx_ne_u16_e32 0x80, v0
	s_cbranch_execz .LBB352_1374
; %bb.1369:                             ;   in Loop: Header=BB352_1062 Depth=1
	v_and_b32_e32 v129, 0xffff, v0
	v_mov_b32_e32 v128, 0x7fc02000
	s_mov_b32 s15, exec_lo
	s_delay_alu instid0(VALU_DEP_2) | instskip(NEXT) | instid1(VALU_DEP_1)
	v_and_b32_e32 v13, 0x7f, v129
	v_cmpx_ne_u32_e32 0x7f, v13
	s_cbranch_execz .LBB352_1373
; %bb.1370:                             ;   in Loop: Header=BB352_1062 Depth=1
	v_and_b32_e32 v0, 7, v129
	v_lshrrev_b32_e32 v128, 3, v13
	v_cmp_gt_u32_e64 s0, 8, v13
	s_delay_alu instid0(VALU_DEP_3) | instskip(NEXT) | instid1(VALU_DEP_2)
	v_dual_mov_b32 v14, v1 :: v_dual_mov_b32 v13, v0
	s_and_saveexec_b32 s16, s0
; %bb.1371:                             ;   in Loop: Header=BB352_1062 Depth=1
	v_clz_i32_u32_e32 v13, v0
	s_delay_alu instid0(VALU_DEP_1) | instskip(NEXT) | instid1(VALU_DEP_1)
	v_min_u32_e32 v128, 32, v13
	v_subrev_nc_u32_e32 v13, 28, v128
	v_sub_nc_u32_e32 v128, 29, v128
	s_delay_alu instid0(VALU_DEP_2) | instskip(NEXT) | instid1(VALU_DEP_1)
	v_lshlrev_b64 v[13:14], v13, v[0:1]
	v_and_b32_e32 v13, 7, v13
; %bb.1372:                             ;   in Loop: Header=BB352_1062 Depth=1
	s_or_b32 exec_lo, exec_lo, s16
	v_lshlrev_b32_e32 v0, 8, v129
	v_lshl_add_u32 v14, v128, 10, 0x2000
	s_delay_alu instid0(VALU_DEP_1) | instskip(NEXT) | instid1(VALU_DEP_1)
	v_and_or_b32 v0, 0x8000, v0, v14
	v_lshl_or_b32 v0, v13, 7, v0
	s_delay_alu instid0(VALU_DEP_1)
	v_cvt_f32_f16_e64 v128, v0
.LBB352_1373:                           ;   in Loop: Header=BB352_1062 Depth=1
	s_or_b32 exec_lo, exec_lo, s15
.LBB352_1374:                           ;   in Loop: Header=BB352_1062 Depth=1
	s_delay_alu instid0(SALU_CYCLE_1)
	s_or_b32 exec_lo, exec_lo, s13
.LBB352_1375:                           ;   in Loop: Header=BB352_1062 Depth=1
	s_delay_alu instid0(SALU_CYCLE_1) | instskip(SKIP_3) | instid1(VALU_DEP_2)
	s_or_b32 exec_lo, exec_lo, s12
	v_lshrrev_b32_e32 v130, 16, v12
	v_mov_b32_e32 v13, 0
	s_mov_b32 s12, exec_lo
	v_dual_mov_b32 v129, 0 :: v_dual_and_b32 v0, 0xff, v130
	s_delay_alu instid0(VALU_DEP_1)
	v_cmpx_ne_u16_e32 0, v0
	s_cbranch_execz .LBB352_1383
; %bb.1376:                             ;   in Loop: Header=BB352_1062 Depth=1
	v_bfrev_b32_e32 v13, 1
	s_mov_b32 s13, exec_lo
	v_cmpx_ne_u16_e32 0x80, v0
	s_cbranch_execz .LBB352_1382
; %bb.1377:                             ;   in Loop: Header=BB352_1062 Depth=1
	v_bfe_u32 v14, v12, 16, 7
	v_mov_b32_e32 v13, 0x7fc02000
	s_mov_b32 s15, exec_lo
	s_delay_alu instid0(VALU_DEP_2)
	v_cmpx_ne_u32_e32 0x7f, v14
	s_cbranch_execz .LBB352_1381
; %bb.1378:                             ;   in Loop: Header=BB352_1062 Depth=1
	v_and_b32_e32 v0, 7, v130
	v_lshrrev_b32_e32 v131, 3, v14
	v_cmp_gt_u32_e64 s0, 8, v14
	s_delay_alu instid0(VALU_DEP_3) | instskip(NEXT) | instid1(VALU_DEP_2)
	v_dual_mov_b32 v14, v1 :: v_dual_mov_b32 v13, v0
	s_and_saveexec_b32 s16, s0
; %bb.1379:                             ;   in Loop: Header=BB352_1062 Depth=1
	v_clz_i32_u32_e32 v13, v0
	s_delay_alu instid0(VALU_DEP_1) | instskip(NEXT) | instid1(VALU_DEP_1)
	v_min_u32_e32 v131, 32, v13
	v_subrev_nc_u32_e32 v13, 28, v131
	v_sub_nc_u32_e32 v131, 29, v131
	s_delay_alu instid0(VALU_DEP_2) | instskip(NEXT) | instid1(VALU_DEP_1)
	v_lshlrev_b64 v[13:14], v13, v[0:1]
	v_and_b32_e32 v13, 7, v13
; %bb.1380:                             ;   in Loop: Header=BB352_1062 Depth=1
	s_or_b32 exec_lo, exec_lo, s16
	v_lshlrev_b32_e32 v0, 8, v130
	v_lshl_add_u32 v14, v131, 10, 0x2000
	s_delay_alu instid0(VALU_DEP_1) | instskip(NEXT) | instid1(VALU_DEP_1)
	v_and_or_b32 v0, 0x8000, v0, v14
	v_lshl_or_b32 v0, v13, 7, v0
	s_delay_alu instid0(VALU_DEP_1)
	v_cvt_f32_f16_e32 v13, v0
.LBB352_1381:                           ;   in Loop: Header=BB352_1062 Depth=1
	s_or_b32 exec_lo, exec_lo, s15
.LBB352_1382:                           ;   in Loop: Header=BB352_1062 Depth=1
	s_delay_alu instid0(SALU_CYCLE_1)
	s_or_b32 exec_lo, exec_lo, s13
.LBB352_1383:                           ;   in Loop: Header=BB352_1062 Depth=1
	s_delay_alu instid0(SALU_CYCLE_1) | instskip(NEXT) | instid1(SALU_CYCLE_1)
	s_or_b32 exec_lo, exec_lo, s12
	s_mov_b32 s12, exec_lo
	v_cmpx_lt_u64_e64 s[8:9], v[11:12]
	s_cbranch_execz .LBB352_1391
; %bb.1384:                             ;   in Loop: Header=BB352_1062 Depth=1
	v_lshrrev_b32_e32 v14, 24, v12
	v_bfrev_b32_e32 v129, 1
	s_mov_b32 s13, exec_lo
	s_delay_alu instid0(VALU_DEP_2)
	v_cmpx_ne_u32_e32 0x80, v14
	s_cbranch_execz .LBB352_1390
; %bb.1385:                             ;   in Loop: Header=BB352_1062 Depth=1
	v_and_b32_e32 v11, 0x7f, v14
	v_mov_b32_e32 v129, 0x7fc02000
	s_mov_b32 s15, exec_lo
	s_delay_alu instid0(VALU_DEP_2)
	v_cmpx_ne_u32_e32 0x7f, v11
	s_cbranch_execz .LBB352_1389
; %bb.1386:                             ;   in Loop: Header=BB352_1062 Depth=1
	v_and_b32_e32 v0, 7, v14
	v_lshrrev_b32_e32 v129, 3, v11
	v_cmp_gt_u32_e64 s0, 8, v11
	s_delay_alu instid0(VALU_DEP_3) | instskip(NEXT) | instid1(VALU_DEP_2)
	v_dual_mov_b32 v12, v1 :: v_dual_mov_b32 v11, v0
	s_and_saveexec_b32 s16, s0
; %bb.1387:                             ;   in Loop: Header=BB352_1062 Depth=1
	v_clz_i32_u32_e32 v11, v0
	s_delay_alu instid0(VALU_DEP_1) | instskip(NEXT) | instid1(VALU_DEP_1)
	v_min_u32_e32 v129, 32, v11
	v_subrev_nc_u32_e32 v11, 28, v129
	v_sub_nc_u32_e32 v129, 29, v129
	s_delay_alu instid0(VALU_DEP_2) | instskip(NEXT) | instid1(VALU_DEP_1)
	v_lshlrev_b64 v[11:12], v11, v[0:1]
	v_and_b32_e32 v11, 7, v11
; %bb.1388:                             ;   in Loop: Header=BB352_1062 Depth=1
	s_or_b32 exec_lo, exec_lo, s16
	v_lshlrev_b32_e32 v0, 8, v14
	v_lshl_add_u32 v12, v129, 10, 0x2000
	s_delay_alu instid0(VALU_DEP_1) | instskip(NEXT) | instid1(VALU_DEP_1)
	v_and_or_b32 v0, 0x8000, v0, v12
	v_lshl_or_b32 v0, v11, 7, v0
	s_delay_alu instid0(VALU_DEP_1)
	v_cvt_f32_f16_e64 v129, v0
.LBB352_1389:                           ;   in Loop: Header=BB352_1062 Depth=1
	s_or_b32 exec_lo, exec_lo, s15
.LBB352_1390:                           ;   in Loop: Header=BB352_1062 Depth=1
	s_delay_alu instid0(SALU_CYCLE_1)
	s_or_b32 exec_lo, exec_lo, s13
.LBB352_1391:                           ;   in Loop: Header=BB352_1062 Depth=1
	s_delay_alu instid0(SALU_CYCLE_1)
	s_or_b32 exec_lo, exec_lo, s12
	s_waitcnt vmcnt(0) lgkmcnt(0)
	v_fma_mixlo_f16 v12, v114, v116, 0
	v_fma_mixlo_f16 v0, v114, v118, 0
	;; [unrolled: 1-line block ×5, first 2 shown]
	v_lshlrev_b32_e32 v14, 16, v12
	v_fma_mixlo_f16 v117, v114, v119, 0
	v_fma_mixlo_f16 v118, v114, v129, 0
	;; [unrolled: 1-line block ×3, first 2 shown]
	v_lshlrev_b32_e32 v0, 16, v0
	v_and_b32_e32 v11, 0xffff, v11
	v_and_b32_e32 v114, 0xffff, v115
	v_lshlrev_b32_e32 v115, 16, v116
	v_and_b32_e32 v116, 0xffff, v117
	v_lshlrev_b32_e32 v117, 16, v118
	v_and_b32_e32 v118, 0xffff, v12
	v_or_b32_e32 v13, v0, v11
	v_or_b32_e32 v14, v14, v114
	;; [unrolled: 1-line block ×3, first 2 shown]
	s_delay_alu instid0(VALU_DEP_4)
	v_or_b32_e32 v11, v117, v118
	s_and_saveexec_b32 s12, vcc_lo
	s_cbranch_execz .LBB352_1393
; %bb.1392:                             ;   in Loop: Header=BB352_1062 Depth=1
	v_cmp_lt_i32_e64 s0, v19, v38
	v_lshrrev_b32_e32 v114, 16, v14
	v_lshrrev_b32_e32 v115, 16, v13
	v_lshrrev_b32_e32 v116, 16, v0
	v_lshrrev_b32_e32 v11, 16, v11
	v_cndmask_b32_e64 v14, 0, v14, s0
	v_cmp_lt_i32_e64 s0, v99, v55
	s_delay_alu instid0(VALU_DEP_1) | instskip(SKIP_1) | instid1(VALU_DEP_2)
	v_cndmask_b32_e64 v114, 0, v114, s0
	v_cmp_lt_i32_e64 s0, v98, v55
	v_perm_b32 v14, v114, v14, 0x5040100
	s_delay_alu instid0(VALU_DEP_2) | instskip(SKIP_1) | instid1(VALU_DEP_1)
	v_cndmask_b32_e64 v115, 0, v115, s0
	v_cmp_lt_i32_e64 s0, v96, v38
	v_cndmask_b32_e64 v13, 0, v13, s0
	v_cmp_lt_i32_e64 s0, v84, v55
	s_delay_alu instid0(VALU_DEP_2) | instskip(NEXT) | instid1(VALU_DEP_2)
	v_perm_b32 v13, v115, v13, 0x5040100
	v_cndmask_b32_e64 v116, 0, v116, s0
	v_cmp_lt_i32_e64 s0, v83, v38
	s_delay_alu instid0(VALU_DEP_1) | instskip(SKIP_1) | instid1(VALU_DEP_2)
	v_cndmask_b32_e64 v0, 0, v0, s0
	v_cmp_lt_i32_e64 s0, v81, v55
	v_perm_b32 v0, v116, v0, 0x5040100
	s_delay_alu instid0(VALU_DEP_2) | instskip(SKIP_1) | instid1(VALU_DEP_1)
	v_cndmask_b32_e64 v11, 0, v11, s0
	v_cmp_lt_i32_e64 s0, v64, v38
	v_cndmask_b32_e64 v12, 0, v12, s0
	s_delay_alu instid0(VALU_DEP_1)
	v_perm_b32 v11, v11, v12, 0x5040100
.LBB352_1393:                           ;   in Loop: Header=BB352_1062 Depth=1
	s_or_b32 exec_lo, exec_lo, s12
	;;#ASMSTART
	v_pk_mul_f16 v12, v97, v14;

	;;#ASMEND
	;;#ASMSTART
	v_pk_mul_f16 v13, v87, v13;

	;;#ASMEND
	;; [unrolled: 4-line block ×4, first 2 shown]
	;;#ASMSTART
	v_pk_add_f16 v12, v12, v13;

	;;#ASMEND
	;;#ASMSTART
	v_pk_add_f16 v0, v12, v0;

	;;#ASMEND
	;; [unrolled: 4-line block ×3, first 2 shown]
	v_dual_mov_b32 v118, 0 :: v_dual_and_b32 v11, 0xffff, v0
	v_lshrrev_b32_e32 v0, 16, v0
	;;#ASMSTART
	v_cvt_f32_f16 v114, v11;
	;;#ASMEND
	;;#ASMSTART
	v_cvt_f32_f16 v115, v0;
	;;#ASMEND
	flat_load_b64 v[11:12], v[9:10] offset:1280
	flat_load_b32 v116, v[26:27]
	s_mov_b32 s12, exec_lo
	s_waitcnt vmcnt(1) lgkmcnt(1)
	v_dual_mov_b32 v117, 0 :: v_dual_and_b32 v0, 0xff, v11
	s_delay_alu instid0(VALU_DEP_1)
	v_cmpx_ne_u16_e32 0, v0
	s_cbranch_execz .LBB352_1401
; %bb.1394:                             ;   in Loop: Header=BB352_1062 Depth=1
	v_bfrev_b32_e32 v117, 1
	s_mov_b32 s13, exec_lo
	v_cmpx_ne_u16_e32 0x80, v0
	s_cbranch_execz .LBB352_1400
; %bb.1395:                             ;   in Loop: Header=BB352_1062 Depth=1
	v_and_b32_e32 v13, 0x7f, v11
	v_mov_b32_e32 v117, 0x7fc02000
	s_mov_b32 s15, exec_lo
	s_delay_alu instid0(VALU_DEP_2)
	v_cmpx_ne_u32_e32 0x7f, v13
	s_cbranch_execz .LBB352_1399
; %bb.1396:                             ;   in Loop: Header=BB352_1062 Depth=1
	v_lshrrev_b32_e32 v0, 3, v13
	v_cmp_gt_u32_e64 s0, 8, v13
	v_dual_mov_b32 v14, v12 :: v_dual_mov_b32 v13, v11
	s_delay_alu instid0(VALU_DEP_2)
	s_and_saveexec_b32 s16, s0
; %bb.1397:                             ;   in Loop: Header=BB352_1062 Depth=1
	v_and_b32_e32 v0, 7, v11
	s_delay_alu instid0(VALU_DEP_1) | instskip(NEXT) | instid1(VALU_DEP_1)
	v_clz_i32_u32_e32 v0, v0
	v_min_u32_e32 v0, 32, v0
	s_delay_alu instid0(VALU_DEP_1) | instskip(SKIP_1) | instid1(VALU_DEP_2)
	v_subrev_nc_u32_e32 v13, 28, v0
	v_sub_nc_u32_e32 v0, 29, v0
	v_lshlrev_b64 v[13:14], v13, v[11:12]
; %bb.1398:                             ;   in Loop: Header=BB352_1062 Depth=1
	s_or_b32 exec_lo, exec_lo, s16
	v_lshlrev_b32_e32 v14, 8, v11
	s_delay_alu instid0(VALU_DEP_3) | instskip(NEXT) | instid1(VALU_DEP_3)
	v_lshl_add_u32 v0, v0, 10, 0x2000
	v_lshlrev_b32_e32 v13, 7, v13
	s_delay_alu instid0(VALU_DEP_2) | instskip(NEXT) | instid1(VALU_DEP_1)
	v_and_or_b32 v0, 0x8000, v14, v0
	v_and_or_b32 v0, 0x380, v13, v0
	s_delay_alu instid0(VALU_DEP_1)
	v_cvt_f32_f16_e32 v117, v0
.LBB352_1399:                           ;   in Loop: Header=BB352_1062 Depth=1
	s_or_b32 exec_lo, exec_lo, s15
.LBB352_1400:                           ;   in Loop: Header=BB352_1062 Depth=1
	s_delay_alu instid0(SALU_CYCLE_1)
	s_or_b32 exec_lo, exec_lo, s13
.LBB352_1401:                           ;   in Loop: Header=BB352_1062 Depth=1
	s_delay_alu instid0(SALU_CYCLE_1) | instskip(SKIP_2) | instid1(VALU_DEP_1)
	s_or_b32 exec_lo, exec_lo, s12
	v_lshrrev_b16 v0, 8, v11
	s_mov_b32 s12, exec_lo
	v_cmpx_ne_u16_e32 0, v0
	s_cbranch_execz .LBB352_1409
; %bb.1402:                             ;   in Loop: Header=BB352_1062 Depth=1
	v_bfrev_b32_e32 v118, 1
	s_mov_b32 s13, exec_lo
	v_cmpx_ne_u16_e32 0x80, v0
	s_cbranch_execz .LBB352_1408
; %bb.1403:                             ;   in Loop: Header=BB352_1062 Depth=1
	v_and_b32_e32 v119, 0xffff, v0
	v_mov_b32_e32 v118, 0x7fc02000
	s_mov_b32 s15, exec_lo
	s_delay_alu instid0(VALU_DEP_2) | instskip(NEXT) | instid1(VALU_DEP_1)
	v_and_b32_e32 v13, 0x7f, v119
	v_cmpx_ne_u32_e32 0x7f, v13
	s_cbranch_execz .LBB352_1407
; %bb.1404:                             ;   in Loop: Header=BB352_1062 Depth=1
	v_and_b32_e32 v0, 7, v119
	v_lshrrev_b32_e32 v118, 3, v13
	v_cmp_gt_u32_e64 s0, 8, v13
	s_delay_alu instid0(VALU_DEP_3) | instskip(NEXT) | instid1(VALU_DEP_2)
	v_dual_mov_b32 v14, v1 :: v_dual_mov_b32 v13, v0
	s_and_saveexec_b32 s16, s0
; %bb.1405:                             ;   in Loop: Header=BB352_1062 Depth=1
	v_clz_i32_u32_e32 v13, v0
	s_delay_alu instid0(VALU_DEP_1) | instskip(NEXT) | instid1(VALU_DEP_1)
	v_min_u32_e32 v118, 32, v13
	v_subrev_nc_u32_e32 v13, 28, v118
	v_sub_nc_u32_e32 v118, 29, v118
	s_delay_alu instid0(VALU_DEP_2) | instskip(NEXT) | instid1(VALU_DEP_1)
	v_lshlrev_b64 v[13:14], v13, v[0:1]
	v_and_b32_e32 v13, 7, v13
; %bb.1406:                             ;   in Loop: Header=BB352_1062 Depth=1
	s_or_b32 exec_lo, exec_lo, s16
	v_lshlrev_b32_e32 v0, 8, v119
	v_lshl_add_u32 v14, v118, 10, 0x2000
	s_delay_alu instid0(VALU_DEP_1) | instskip(NEXT) | instid1(VALU_DEP_1)
	v_and_or_b32 v0, 0x8000, v0, v14
	v_lshl_or_b32 v0, v13, 7, v0
	s_delay_alu instid0(VALU_DEP_1)
	v_cvt_f32_f16_e32 v118, v0
.LBB352_1407:                           ;   in Loop: Header=BB352_1062 Depth=1
	s_or_b32 exec_lo, exec_lo, s15
.LBB352_1408:                           ;   in Loop: Header=BB352_1062 Depth=1
	s_delay_alu instid0(SALU_CYCLE_1)
	s_or_b32 exec_lo, exec_lo, s13
.LBB352_1409:                           ;   in Loop: Header=BB352_1062 Depth=1
	s_delay_alu instid0(SALU_CYCLE_1) | instskip(SKIP_3) | instid1(VALU_DEP_2)
	s_or_b32 exec_lo, exec_lo, s12
	v_lshrrev_b32_e32 v129, 16, v11
	v_mov_b32_e32 v128, 0
	s_mov_b32 s12, exec_lo
	v_dual_mov_b32 v119, 0 :: v_dual_and_b32 v0, 0xff, v129
	s_delay_alu instid0(VALU_DEP_1)
	v_cmpx_ne_u16_e32 0, v0
	s_cbranch_execz .LBB352_1417
; %bb.1410:                             ;   in Loop: Header=BB352_1062 Depth=1
	v_bfrev_b32_e32 v119, 1
	s_mov_b32 s13, exec_lo
	v_cmpx_ne_u16_e32 0x80, v0
	s_cbranch_execz .LBB352_1416
; %bb.1411:                             ;   in Loop: Header=BB352_1062 Depth=1
	v_bfe_u32 v13, v11, 16, 7
	v_mov_b32_e32 v119, 0x7fc02000
	s_mov_b32 s15, exec_lo
	s_delay_alu instid0(VALU_DEP_2)
	v_cmpx_ne_u32_e32 0x7f, v13
	s_cbranch_execz .LBB352_1415
; %bb.1412:                             ;   in Loop: Header=BB352_1062 Depth=1
	v_and_b32_e32 v0, 7, v129
	v_lshrrev_b32_e32 v119, 3, v13
	v_cmp_gt_u32_e64 s0, 8, v13
	s_delay_alu instid0(VALU_DEP_3) | instskip(NEXT) | instid1(VALU_DEP_2)
	v_dual_mov_b32 v14, v1 :: v_dual_mov_b32 v13, v0
	s_and_saveexec_b32 s16, s0
; %bb.1413:                             ;   in Loop: Header=BB352_1062 Depth=1
	v_clz_i32_u32_e32 v13, v0
	s_delay_alu instid0(VALU_DEP_1) | instskip(NEXT) | instid1(VALU_DEP_1)
	v_min_u32_e32 v119, 32, v13
	v_subrev_nc_u32_e32 v13, 28, v119
	v_sub_nc_u32_e32 v119, 29, v119
	s_delay_alu instid0(VALU_DEP_2) | instskip(NEXT) | instid1(VALU_DEP_1)
	v_lshlrev_b64 v[13:14], v13, v[0:1]
	v_and_b32_e32 v13, 7, v13
; %bb.1414:                             ;   in Loop: Header=BB352_1062 Depth=1
	s_or_b32 exec_lo, exec_lo, s16
	v_lshlrev_b32_e32 v0, 8, v129
	v_lshl_add_u32 v14, v119, 10, 0x2000
	s_delay_alu instid0(VALU_DEP_1) | instskip(NEXT) | instid1(VALU_DEP_1)
	v_and_or_b32 v0, 0x8000, v0, v14
	v_lshl_or_b32 v0, v13, 7, v0
	s_delay_alu instid0(VALU_DEP_1)
	v_cvt_f32_f16_e32 v119, v0
.LBB352_1415:                           ;   in Loop: Header=BB352_1062 Depth=1
	s_or_b32 exec_lo, exec_lo, s15
.LBB352_1416:                           ;   in Loop: Header=BB352_1062 Depth=1
	s_delay_alu instid0(SALU_CYCLE_1)
	s_or_b32 exec_lo, exec_lo, s13
.LBB352_1417:                           ;   in Loop: Header=BB352_1062 Depth=1
	s_delay_alu instid0(SALU_CYCLE_1) | instskip(NEXT) | instid1(SALU_CYCLE_1)
	s_or_b32 exec_lo, exec_lo, s12
	s_mov_b32 s12, exec_lo
	v_cmpx_lt_u32_e32 0xffffff, v11
	s_cbranch_execz .LBB352_1425
; %bb.1418:                             ;   in Loop: Header=BB352_1062 Depth=1
	v_lshrrev_b32_e32 v129, 24, v11
	v_bfrev_b32_e32 v128, 1
	s_mov_b32 s13, exec_lo
	s_delay_alu instid0(VALU_DEP_2)
	v_cmpx_ne_u32_e32 0x80, v129
	s_cbranch_execz .LBB352_1424
; %bb.1419:                             ;   in Loop: Header=BB352_1062 Depth=1
	v_and_b32_e32 v13, 0x7f, v129
	v_mov_b32_e32 v128, 0x7fc02000
	s_mov_b32 s15, exec_lo
	s_delay_alu instid0(VALU_DEP_2)
	v_cmpx_ne_u32_e32 0x7f, v13
	s_cbranch_execz .LBB352_1423
; %bb.1420:                             ;   in Loop: Header=BB352_1062 Depth=1
	v_and_b32_e32 v0, 7, v129
	v_lshrrev_b32_e32 v128, 3, v13
	v_cmp_gt_u32_e64 s0, 8, v13
	s_delay_alu instid0(VALU_DEP_3) | instskip(NEXT) | instid1(VALU_DEP_2)
	v_dual_mov_b32 v14, v1 :: v_dual_mov_b32 v13, v0
	s_and_saveexec_b32 s16, s0
; %bb.1421:                             ;   in Loop: Header=BB352_1062 Depth=1
	v_clz_i32_u32_e32 v13, v0
	s_delay_alu instid0(VALU_DEP_1) | instskip(NEXT) | instid1(VALU_DEP_1)
	v_min_u32_e32 v128, 32, v13
	v_subrev_nc_u32_e32 v13, 28, v128
	v_sub_nc_u32_e32 v128, 29, v128
	s_delay_alu instid0(VALU_DEP_2) | instskip(NEXT) | instid1(VALU_DEP_1)
	v_lshlrev_b64 v[13:14], v13, v[0:1]
	v_and_b32_e32 v13, 7, v13
; %bb.1422:                             ;   in Loop: Header=BB352_1062 Depth=1
	s_or_b32 exec_lo, exec_lo, s16
	v_lshlrev_b32_e32 v0, 8, v129
	v_lshl_add_u32 v14, v128, 10, 0x2000
	s_delay_alu instid0(VALU_DEP_1) | instskip(NEXT) | instid1(VALU_DEP_1)
	v_and_or_b32 v0, 0x8000, v0, v14
	v_lshl_or_b32 v0, v13, 7, v0
	s_delay_alu instid0(VALU_DEP_1)
	v_cvt_f32_f16_e64 v128, v0
.LBB352_1423:                           ;   in Loop: Header=BB352_1062 Depth=1
	s_or_b32 exec_lo, exec_lo, s15
.LBB352_1424:                           ;   in Loop: Header=BB352_1062 Depth=1
	s_delay_alu instid0(SALU_CYCLE_1)
	s_or_b32 exec_lo, exec_lo, s13
.LBB352_1425:                           ;   in Loop: Header=BB352_1062 Depth=1
	s_delay_alu instid0(SALU_CYCLE_1) | instskip(SKIP_3) | instid1(VALU_DEP_2)
	s_or_b32 exec_lo, exec_lo, s12
	v_dual_mov_b32 v0, v12 :: v_dual_and_b32 v13, 0xff, v12
	v_dual_mov_b32 v130, 0 :: v_dual_mov_b32 v129, 0
	s_mov_b32 s12, exec_lo
	v_cmpx_ne_u16_e32 0, v13
	s_cbranch_execz .LBB352_1433
; %bb.1426:                             ;   in Loop: Header=BB352_1062 Depth=1
	v_bfrev_b32_e32 v129, 1
	s_mov_b32 s13, exec_lo
	v_cmpx_ne_u16_e32 0x80, v13
	s_cbranch_execz .LBB352_1432
; %bb.1427:                             ;   in Loop: Header=BB352_1062 Depth=1
	v_and_b32_e32 v13, 0x7f, v12
	v_mov_b32_e32 v129, 0x7fc02000
	s_mov_b32 s15, exec_lo
	s_delay_alu instid0(VALU_DEP_2)
	v_cmpx_ne_u32_e32 0x7f, v13
	s_cbranch_execz .LBB352_1431
; %bb.1428:                             ;   in Loop: Header=BB352_1062 Depth=1
	v_lshrrev_b32_e32 v129, 3, v13
	v_cmp_gt_u32_e64 s0, 8, v13
	v_dual_mov_b32 v14, v1 :: v_dual_mov_b32 v13, v0
	s_delay_alu instid0(VALU_DEP_2)
	s_and_saveexec_b32 s16, s0
; %bb.1429:                             ;   in Loop: Header=BB352_1062 Depth=1
	v_and_b32_e32 v13, 7, v12
	s_delay_alu instid0(VALU_DEP_1) | instskip(NEXT) | instid1(VALU_DEP_1)
	v_clz_i32_u32_e32 v13, v13
	v_min_u32_e32 v129, 32, v13
	s_delay_alu instid0(VALU_DEP_1) | instskip(SKIP_1) | instid1(VALU_DEP_2)
	v_subrev_nc_u32_e32 v13, 28, v129
	v_sub_nc_u32_e32 v129, 29, v129
	v_lshlrev_b64 v[13:14], v13, v[0:1]
; %bb.1430:                             ;   in Loop: Header=BB352_1062 Depth=1
	s_or_b32 exec_lo, exec_lo, s16
	v_lshlrev_b32_e32 v14, 8, v12
	s_delay_alu instid0(VALU_DEP_3) | instskip(NEXT) | instid1(VALU_DEP_3)
	v_lshl_add_u32 v129, v129, 10, 0x2000
	v_lshlrev_b32_e32 v13, 7, v13
	s_delay_alu instid0(VALU_DEP_2) | instskip(NEXT) | instid1(VALU_DEP_1)
	v_and_or_b32 v14, 0x8000, v14, v129
	v_and_or_b32 v13, 0x380, v13, v14
	s_delay_alu instid0(VALU_DEP_1)
	v_cvt_f32_f16_e64 v129, v13
.LBB352_1431:                           ;   in Loop: Header=BB352_1062 Depth=1
	s_or_b32 exec_lo, exec_lo, s15
.LBB352_1432:                           ;   in Loop: Header=BB352_1062 Depth=1
	s_delay_alu instid0(SALU_CYCLE_1)
	s_or_b32 exec_lo, exec_lo, s13
.LBB352_1433:                           ;   in Loop: Header=BB352_1062 Depth=1
	s_delay_alu instid0(SALU_CYCLE_1) | instskip(SKIP_2) | instid1(VALU_DEP_1)
	s_or_b32 exec_lo, exec_lo, s12
	v_lshrrev_b16 v0, 8, v0
	s_mov_b32 s12, exec_lo
	v_cmpx_ne_u16_e32 0, v0
	s_cbranch_execz .LBB352_1441
; %bb.1434:                             ;   in Loop: Header=BB352_1062 Depth=1
	v_bfrev_b32_e32 v130, 1
	s_mov_b32 s13, exec_lo
	v_cmpx_ne_u16_e32 0x80, v0
	s_cbranch_execz .LBB352_1440
; %bb.1435:                             ;   in Loop: Header=BB352_1062 Depth=1
	v_and_b32_e32 v131, 0xffff, v0
	v_mov_b32_e32 v130, 0x7fc02000
	s_mov_b32 s15, exec_lo
	s_delay_alu instid0(VALU_DEP_2) | instskip(NEXT) | instid1(VALU_DEP_1)
	v_and_b32_e32 v13, 0x7f, v131
	v_cmpx_ne_u32_e32 0x7f, v13
	s_cbranch_execz .LBB352_1439
; %bb.1436:                             ;   in Loop: Header=BB352_1062 Depth=1
	v_and_b32_e32 v0, 7, v131
	v_lshrrev_b32_e32 v130, 3, v13
	v_cmp_gt_u32_e64 s0, 8, v13
	s_delay_alu instid0(VALU_DEP_3) | instskip(NEXT) | instid1(VALU_DEP_2)
	v_dual_mov_b32 v14, v1 :: v_dual_mov_b32 v13, v0
	s_and_saveexec_b32 s16, s0
; %bb.1437:                             ;   in Loop: Header=BB352_1062 Depth=1
	v_clz_i32_u32_e32 v13, v0
	s_delay_alu instid0(VALU_DEP_1) | instskip(NEXT) | instid1(VALU_DEP_1)
	v_min_u32_e32 v130, 32, v13
	v_subrev_nc_u32_e32 v13, 28, v130
	v_sub_nc_u32_e32 v130, 29, v130
	s_delay_alu instid0(VALU_DEP_2) | instskip(NEXT) | instid1(VALU_DEP_1)
	v_lshlrev_b64 v[13:14], v13, v[0:1]
	v_and_b32_e32 v13, 7, v13
; %bb.1438:                             ;   in Loop: Header=BB352_1062 Depth=1
	s_or_b32 exec_lo, exec_lo, s16
	v_lshlrev_b32_e32 v0, 8, v131
	v_lshl_add_u32 v14, v130, 10, 0x2000
	s_delay_alu instid0(VALU_DEP_1) | instskip(NEXT) | instid1(VALU_DEP_1)
	v_and_or_b32 v0, 0x8000, v0, v14
	v_lshl_or_b32 v0, v13, 7, v0
	s_delay_alu instid0(VALU_DEP_1)
	v_cvt_f32_f16_e64 v130, v0
.LBB352_1439:                           ;   in Loop: Header=BB352_1062 Depth=1
	s_or_b32 exec_lo, exec_lo, s15
.LBB352_1440:                           ;   in Loop: Header=BB352_1062 Depth=1
	s_delay_alu instid0(SALU_CYCLE_1)
	s_or_b32 exec_lo, exec_lo, s13
.LBB352_1441:                           ;   in Loop: Header=BB352_1062 Depth=1
	s_delay_alu instid0(SALU_CYCLE_1) | instskip(SKIP_3) | instid1(VALU_DEP_2)
	s_or_b32 exec_lo, exec_lo, s12
	v_lshrrev_b32_e32 v132, 16, v12
	v_mov_b32_e32 v13, 0
	s_mov_b32 s12, exec_lo
	v_dual_mov_b32 v131, 0 :: v_dual_and_b32 v0, 0xff, v132
	s_delay_alu instid0(VALU_DEP_1)
	v_cmpx_ne_u16_e32 0, v0
	s_cbranch_execz .LBB352_1449
; %bb.1442:                             ;   in Loop: Header=BB352_1062 Depth=1
	v_bfrev_b32_e32 v13, 1
	s_mov_b32 s13, exec_lo
	v_cmpx_ne_u16_e32 0x80, v0
	s_cbranch_execz .LBB352_1448
; %bb.1443:                             ;   in Loop: Header=BB352_1062 Depth=1
	v_bfe_u32 v14, v12, 16, 7
	v_mov_b32_e32 v13, 0x7fc02000
	s_mov_b32 s15, exec_lo
	s_delay_alu instid0(VALU_DEP_2)
	v_cmpx_ne_u32_e32 0x7f, v14
	s_cbranch_execz .LBB352_1447
; %bb.1444:                             ;   in Loop: Header=BB352_1062 Depth=1
	v_and_b32_e32 v0, 7, v132
	v_lshrrev_b32_e32 v133, 3, v14
	v_cmp_gt_u32_e64 s0, 8, v14
	s_delay_alu instid0(VALU_DEP_3) | instskip(NEXT) | instid1(VALU_DEP_2)
	v_dual_mov_b32 v14, v1 :: v_dual_mov_b32 v13, v0
	s_and_saveexec_b32 s16, s0
; %bb.1445:                             ;   in Loop: Header=BB352_1062 Depth=1
	v_clz_i32_u32_e32 v13, v0
	s_delay_alu instid0(VALU_DEP_1) | instskip(NEXT) | instid1(VALU_DEP_1)
	v_min_u32_e32 v133, 32, v13
	v_subrev_nc_u32_e32 v13, 28, v133
	v_sub_nc_u32_e32 v133, 29, v133
	s_delay_alu instid0(VALU_DEP_2) | instskip(NEXT) | instid1(VALU_DEP_1)
	v_lshlrev_b64 v[13:14], v13, v[0:1]
	v_and_b32_e32 v13, 7, v13
; %bb.1446:                             ;   in Loop: Header=BB352_1062 Depth=1
	s_or_b32 exec_lo, exec_lo, s16
	v_lshlrev_b32_e32 v0, 8, v132
	v_lshl_add_u32 v14, v133, 10, 0x2000
	s_delay_alu instid0(VALU_DEP_1) | instskip(NEXT) | instid1(VALU_DEP_1)
	v_and_or_b32 v0, 0x8000, v0, v14
	v_lshl_or_b32 v0, v13, 7, v0
	s_delay_alu instid0(VALU_DEP_1)
	v_cvt_f32_f16_e32 v13, v0
.LBB352_1447:                           ;   in Loop: Header=BB352_1062 Depth=1
	s_or_b32 exec_lo, exec_lo, s15
.LBB352_1448:                           ;   in Loop: Header=BB352_1062 Depth=1
	s_delay_alu instid0(SALU_CYCLE_1)
	s_or_b32 exec_lo, exec_lo, s13
.LBB352_1449:                           ;   in Loop: Header=BB352_1062 Depth=1
	s_delay_alu instid0(SALU_CYCLE_1) | instskip(NEXT) | instid1(SALU_CYCLE_1)
	s_or_b32 exec_lo, exec_lo, s12
	s_mov_b32 s12, exec_lo
	v_cmpx_lt_u64_e64 s[8:9], v[11:12]
	s_cbranch_execz .LBB352_1457
; %bb.1450:                             ;   in Loop: Header=BB352_1062 Depth=1
	v_lshrrev_b32_e32 v14, 24, v12
	v_bfrev_b32_e32 v131, 1
	s_mov_b32 s13, exec_lo
	s_delay_alu instid0(VALU_DEP_2)
	v_cmpx_ne_u32_e32 0x80, v14
	s_cbranch_execz .LBB352_1456
; %bb.1451:                             ;   in Loop: Header=BB352_1062 Depth=1
	v_and_b32_e32 v11, 0x7f, v14
	v_mov_b32_e32 v131, 0x7fc02000
	s_mov_b32 s15, exec_lo
	s_delay_alu instid0(VALU_DEP_2)
	v_cmpx_ne_u32_e32 0x7f, v11
	s_cbranch_execz .LBB352_1455
; %bb.1452:                             ;   in Loop: Header=BB352_1062 Depth=1
	v_and_b32_e32 v0, 7, v14
	v_lshrrev_b32_e32 v131, 3, v11
	v_cmp_gt_u32_e64 s0, 8, v11
	s_delay_alu instid0(VALU_DEP_3) | instskip(NEXT) | instid1(VALU_DEP_2)
	v_dual_mov_b32 v12, v1 :: v_dual_mov_b32 v11, v0
	s_and_saveexec_b32 s16, s0
; %bb.1453:                             ;   in Loop: Header=BB352_1062 Depth=1
	v_clz_i32_u32_e32 v11, v0
	s_delay_alu instid0(VALU_DEP_1) | instskip(NEXT) | instid1(VALU_DEP_1)
	v_min_u32_e32 v131, 32, v11
	v_subrev_nc_u32_e32 v11, 28, v131
	v_sub_nc_u32_e32 v131, 29, v131
	s_delay_alu instid0(VALU_DEP_2) | instskip(NEXT) | instid1(VALU_DEP_1)
	v_lshlrev_b64 v[11:12], v11, v[0:1]
	v_and_b32_e32 v11, 7, v11
; %bb.1454:                             ;   in Loop: Header=BB352_1062 Depth=1
	s_or_b32 exec_lo, exec_lo, s16
	v_lshlrev_b32_e32 v0, 8, v14
	v_lshl_add_u32 v12, v131, 10, 0x2000
	s_delay_alu instid0(VALU_DEP_1) | instskip(NEXT) | instid1(VALU_DEP_1)
	v_and_or_b32 v0, 0x8000, v0, v12
	v_lshl_or_b32 v0, v11, 7, v0
	s_delay_alu instid0(VALU_DEP_1)
	v_cvt_f32_f16_e64 v131, v0
.LBB352_1455:                           ;   in Loop: Header=BB352_1062 Depth=1
	s_or_b32 exec_lo, exec_lo, s15
.LBB352_1456:                           ;   in Loop: Header=BB352_1062 Depth=1
	s_delay_alu instid0(SALU_CYCLE_1)
	s_or_b32 exec_lo, exec_lo, s13
.LBB352_1457:                           ;   in Loop: Header=BB352_1062 Depth=1
	s_delay_alu instid0(SALU_CYCLE_1)
	s_or_b32 exec_lo, exec_lo, s12
	s_waitcnt vmcnt(0) lgkmcnt(0)
	v_fma_mixlo_f16 v12, v116, v118, 0
	v_fma_mixlo_f16 v0, v116, v128, 0
	;; [unrolled: 1-line block ×5, first 2 shown]
	v_lshlrev_b32_e32 v14, 16, v12
	v_fma_mixlo_f16 v119, v116, v129, 0
	v_fma_mixlo_f16 v128, v116, v131, 0
	v_fma_mixlo_f16 v12, v116, v13, 0
	v_lshlrev_b32_e32 v0, 16, v0
	v_and_b32_e32 v11, 0xffff, v11
	v_and_b32_e32 v116, 0xffff, v117
	v_lshlrev_b32_e32 v117, 16, v118
	v_and_b32_e32 v118, 0xffff, v119
	v_lshlrev_b32_e32 v119, 16, v128
	v_and_b32_e32 v128, 0xffff, v12
	v_or_b32_e32 v13, v0, v11
	v_or_b32_e32 v14, v14, v116
	v_or_b32_e32 v0, v117, v118
	s_delay_alu instid0(VALU_DEP_4)
	v_or_b32_e32 v11, v119, v128
	s_and_saveexec_b32 s12, vcc_lo
	s_cbranch_execz .LBB352_1459
; %bb.1458:                             ;   in Loop: Header=BB352_1062 Depth=1
	v_cmp_lt_i32_e64 s0, v19, v38
	v_lshrrev_b32_e32 v116, 16, v14
	v_lshrrev_b32_e32 v117, 16, v13
	;; [unrolled: 1-line block ×4, first 2 shown]
	v_cndmask_b32_e64 v14, 0, v14, s0
	v_cmp_lt_i32_e64 s0, v99, v55
	s_delay_alu instid0(VALU_DEP_1) | instskip(SKIP_1) | instid1(VALU_DEP_2)
	v_cndmask_b32_e64 v116, 0, v116, s0
	v_cmp_lt_i32_e64 s0, v98, v55
	v_perm_b32 v14, v116, v14, 0x5040100
	s_delay_alu instid0(VALU_DEP_2) | instskip(SKIP_1) | instid1(VALU_DEP_1)
	v_cndmask_b32_e64 v117, 0, v117, s0
	v_cmp_lt_i32_e64 s0, v96, v38
	v_cndmask_b32_e64 v13, 0, v13, s0
	v_cmp_lt_i32_e64 s0, v84, v55
	s_delay_alu instid0(VALU_DEP_2) | instskip(NEXT) | instid1(VALU_DEP_2)
	v_perm_b32 v13, v117, v13, 0x5040100
	v_cndmask_b32_e64 v118, 0, v118, s0
	v_cmp_lt_i32_e64 s0, v83, v38
	s_delay_alu instid0(VALU_DEP_1) | instskip(SKIP_1) | instid1(VALU_DEP_2)
	v_cndmask_b32_e64 v0, 0, v0, s0
	v_cmp_lt_i32_e64 s0, v81, v55
	v_perm_b32 v0, v118, v0, 0x5040100
	s_delay_alu instid0(VALU_DEP_2) | instskip(SKIP_1) | instid1(VALU_DEP_1)
	v_cndmask_b32_e64 v11, 0, v11, s0
	v_cmp_lt_i32_e64 s0, v64, v38
	v_cndmask_b32_e64 v12, 0, v12, s0
	s_delay_alu instid0(VALU_DEP_1)
	v_perm_b32 v11, v11, v12, 0x5040100
.LBB352_1459:                           ;   in Loop: Header=BB352_1062 Depth=1
	s_or_b32 exec_lo, exec_lo, s12
	;;#ASMSTART
	v_pk_mul_f16 v12, v97, v14;

	;;#ASMEND
	;;#ASMSTART
	v_pk_mul_f16 v13, v87, v13;

	;;#ASMEND
	;; [unrolled: 4-line block ×4, first 2 shown]
	;;#ASMSTART
	v_pk_add_f16 v12, v12, v13;

	;;#ASMEND
	;;#ASMSTART
	v_pk_add_f16 v0, v12, v0;

	;;#ASMEND
	;; [unrolled: 4-line block ×3, first 2 shown]
	v_dual_mov_b32 v128, 0 :: v_dual_and_b32 v11, 0xffff, v0
	v_lshrrev_b32_e32 v0, 16, v0
	;;#ASMSTART
	v_cvt_f32_f16 v116, v11;
	;;#ASMEND
	;;#ASMSTART
	v_cvt_f32_f16 v117, v0;
	;;#ASMEND
	flat_load_b64 v[11:12], v[9:10] offset:1536
	flat_load_b32 v118, v[26:27]
	s_mov_b32 s12, exec_lo
	s_waitcnt vmcnt(1) lgkmcnt(1)
	v_dual_mov_b32 v119, 0 :: v_dual_and_b32 v0, 0xff, v11
	s_delay_alu instid0(VALU_DEP_1)
	v_cmpx_ne_u16_e32 0, v0
	s_cbranch_execz .LBB352_1467
; %bb.1460:                             ;   in Loop: Header=BB352_1062 Depth=1
	v_bfrev_b32_e32 v119, 1
	s_mov_b32 s13, exec_lo
	v_cmpx_ne_u16_e32 0x80, v0
	s_cbranch_execz .LBB352_1466
; %bb.1461:                             ;   in Loop: Header=BB352_1062 Depth=1
	v_and_b32_e32 v13, 0x7f, v11
	v_mov_b32_e32 v119, 0x7fc02000
	s_mov_b32 s15, exec_lo
	s_delay_alu instid0(VALU_DEP_2)
	v_cmpx_ne_u32_e32 0x7f, v13
	s_cbranch_execz .LBB352_1465
; %bb.1462:                             ;   in Loop: Header=BB352_1062 Depth=1
	v_lshrrev_b32_e32 v0, 3, v13
	v_cmp_gt_u32_e64 s0, 8, v13
	v_dual_mov_b32 v14, v12 :: v_dual_mov_b32 v13, v11
	s_delay_alu instid0(VALU_DEP_2)
	s_and_saveexec_b32 s16, s0
; %bb.1463:                             ;   in Loop: Header=BB352_1062 Depth=1
	v_and_b32_e32 v0, 7, v11
	s_delay_alu instid0(VALU_DEP_1) | instskip(NEXT) | instid1(VALU_DEP_1)
	v_clz_i32_u32_e32 v0, v0
	v_min_u32_e32 v0, 32, v0
	s_delay_alu instid0(VALU_DEP_1) | instskip(SKIP_1) | instid1(VALU_DEP_2)
	v_subrev_nc_u32_e32 v13, 28, v0
	v_sub_nc_u32_e32 v0, 29, v0
	v_lshlrev_b64 v[13:14], v13, v[11:12]
; %bb.1464:                             ;   in Loop: Header=BB352_1062 Depth=1
	s_or_b32 exec_lo, exec_lo, s16
	v_lshlrev_b32_e32 v14, 8, v11
	s_delay_alu instid0(VALU_DEP_3) | instskip(NEXT) | instid1(VALU_DEP_3)
	v_lshl_add_u32 v0, v0, 10, 0x2000
	v_lshlrev_b32_e32 v13, 7, v13
	s_delay_alu instid0(VALU_DEP_2) | instskip(NEXT) | instid1(VALU_DEP_1)
	v_and_or_b32 v0, 0x8000, v14, v0
	v_and_or_b32 v0, 0x380, v13, v0
	s_delay_alu instid0(VALU_DEP_1)
	v_cvt_f32_f16_e32 v119, v0
.LBB352_1465:                           ;   in Loop: Header=BB352_1062 Depth=1
	s_or_b32 exec_lo, exec_lo, s15
.LBB352_1466:                           ;   in Loop: Header=BB352_1062 Depth=1
	s_delay_alu instid0(SALU_CYCLE_1)
	s_or_b32 exec_lo, exec_lo, s13
.LBB352_1467:                           ;   in Loop: Header=BB352_1062 Depth=1
	s_delay_alu instid0(SALU_CYCLE_1) | instskip(SKIP_2) | instid1(VALU_DEP_1)
	s_or_b32 exec_lo, exec_lo, s12
	v_lshrrev_b16 v0, 8, v11
	s_mov_b32 s12, exec_lo
	v_cmpx_ne_u16_e32 0, v0
	s_cbranch_execz .LBB352_1475
; %bb.1468:                             ;   in Loop: Header=BB352_1062 Depth=1
	v_bfrev_b32_e32 v128, 1
	s_mov_b32 s13, exec_lo
	v_cmpx_ne_u16_e32 0x80, v0
	s_cbranch_execz .LBB352_1474
; %bb.1469:                             ;   in Loop: Header=BB352_1062 Depth=1
	v_and_b32_e32 v129, 0xffff, v0
	v_mov_b32_e32 v128, 0x7fc02000
	s_mov_b32 s15, exec_lo
	s_delay_alu instid0(VALU_DEP_2) | instskip(NEXT) | instid1(VALU_DEP_1)
	v_and_b32_e32 v13, 0x7f, v129
	v_cmpx_ne_u32_e32 0x7f, v13
	s_cbranch_execz .LBB352_1473
; %bb.1470:                             ;   in Loop: Header=BB352_1062 Depth=1
	v_and_b32_e32 v0, 7, v129
	v_lshrrev_b32_e32 v128, 3, v13
	v_cmp_gt_u32_e64 s0, 8, v13
	s_delay_alu instid0(VALU_DEP_3) | instskip(NEXT) | instid1(VALU_DEP_2)
	v_dual_mov_b32 v14, v1 :: v_dual_mov_b32 v13, v0
	s_and_saveexec_b32 s16, s0
; %bb.1471:                             ;   in Loop: Header=BB352_1062 Depth=1
	v_clz_i32_u32_e32 v13, v0
	s_delay_alu instid0(VALU_DEP_1) | instskip(NEXT) | instid1(VALU_DEP_1)
	v_min_u32_e32 v128, 32, v13
	v_subrev_nc_u32_e32 v13, 28, v128
	v_sub_nc_u32_e32 v128, 29, v128
	s_delay_alu instid0(VALU_DEP_2) | instskip(NEXT) | instid1(VALU_DEP_1)
	v_lshlrev_b64 v[13:14], v13, v[0:1]
	v_and_b32_e32 v13, 7, v13
; %bb.1472:                             ;   in Loop: Header=BB352_1062 Depth=1
	s_or_b32 exec_lo, exec_lo, s16
	v_lshlrev_b32_e32 v0, 8, v129
	v_lshl_add_u32 v14, v128, 10, 0x2000
	s_delay_alu instid0(VALU_DEP_1) | instskip(NEXT) | instid1(VALU_DEP_1)
	v_and_or_b32 v0, 0x8000, v0, v14
	v_lshl_or_b32 v0, v13, 7, v0
	s_delay_alu instid0(VALU_DEP_1)
	v_cvt_f32_f16_e64 v128, v0
.LBB352_1473:                           ;   in Loop: Header=BB352_1062 Depth=1
	s_or_b32 exec_lo, exec_lo, s15
.LBB352_1474:                           ;   in Loop: Header=BB352_1062 Depth=1
	s_delay_alu instid0(SALU_CYCLE_1)
	s_or_b32 exec_lo, exec_lo, s13
.LBB352_1475:                           ;   in Loop: Header=BB352_1062 Depth=1
	s_delay_alu instid0(SALU_CYCLE_1) | instskip(SKIP_3) | instid1(VALU_DEP_2)
	s_or_b32 exec_lo, exec_lo, s12
	v_lshrrev_b32_e32 v131, 16, v11
	v_mov_b32_e32 v130, 0
	s_mov_b32 s12, exec_lo
	v_dual_mov_b32 v129, 0 :: v_dual_and_b32 v0, 0xff, v131
	s_delay_alu instid0(VALU_DEP_1)
	v_cmpx_ne_u16_e32 0, v0
	s_cbranch_execz .LBB352_1483
; %bb.1476:                             ;   in Loop: Header=BB352_1062 Depth=1
	v_bfrev_b32_e32 v129, 1
	s_mov_b32 s13, exec_lo
	v_cmpx_ne_u16_e32 0x80, v0
	s_cbranch_execz .LBB352_1482
; %bb.1477:                             ;   in Loop: Header=BB352_1062 Depth=1
	v_bfe_u32 v13, v11, 16, 7
	v_mov_b32_e32 v129, 0x7fc02000
	s_mov_b32 s15, exec_lo
	s_delay_alu instid0(VALU_DEP_2)
	v_cmpx_ne_u32_e32 0x7f, v13
	s_cbranch_execz .LBB352_1481
; %bb.1478:                             ;   in Loop: Header=BB352_1062 Depth=1
	v_and_b32_e32 v0, 7, v131
	v_lshrrev_b32_e32 v129, 3, v13
	v_cmp_gt_u32_e64 s0, 8, v13
	s_delay_alu instid0(VALU_DEP_3) | instskip(NEXT) | instid1(VALU_DEP_2)
	v_dual_mov_b32 v14, v1 :: v_dual_mov_b32 v13, v0
	s_and_saveexec_b32 s16, s0
; %bb.1479:                             ;   in Loop: Header=BB352_1062 Depth=1
	v_clz_i32_u32_e32 v13, v0
	s_delay_alu instid0(VALU_DEP_1) | instskip(NEXT) | instid1(VALU_DEP_1)
	v_min_u32_e32 v129, 32, v13
	v_subrev_nc_u32_e32 v13, 28, v129
	v_sub_nc_u32_e32 v129, 29, v129
	s_delay_alu instid0(VALU_DEP_2) | instskip(NEXT) | instid1(VALU_DEP_1)
	v_lshlrev_b64 v[13:14], v13, v[0:1]
	v_and_b32_e32 v13, 7, v13
; %bb.1480:                             ;   in Loop: Header=BB352_1062 Depth=1
	s_or_b32 exec_lo, exec_lo, s16
	v_lshlrev_b32_e32 v0, 8, v131
	v_lshl_add_u32 v14, v129, 10, 0x2000
	s_delay_alu instid0(VALU_DEP_1) | instskip(NEXT) | instid1(VALU_DEP_1)
	v_and_or_b32 v0, 0x8000, v0, v14
	v_lshl_or_b32 v0, v13, 7, v0
	s_delay_alu instid0(VALU_DEP_1)
	v_cvt_f32_f16_e64 v129, v0
.LBB352_1481:                           ;   in Loop: Header=BB352_1062 Depth=1
	s_or_b32 exec_lo, exec_lo, s15
.LBB352_1482:                           ;   in Loop: Header=BB352_1062 Depth=1
	s_delay_alu instid0(SALU_CYCLE_1)
	s_or_b32 exec_lo, exec_lo, s13
.LBB352_1483:                           ;   in Loop: Header=BB352_1062 Depth=1
	s_delay_alu instid0(SALU_CYCLE_1) | instskip(NEXT) | instid1(SALU_CYCLE_1)
	s_or_b32 exec_lo, exec_lo, s12
	s_mov_b32 s12, exec_lo
	v_cmpx_lt_u32_e32 0xffffff, v11
	s_cbranch_execz .LBB352_1491
; %bb.1484:                             ;   in Loop: Header=BB352_1062 Depth=1
	v_lshrrev_b32_e32 v131, 24, v11
	v_bfrev_b32_e32 v130, 1
	s_mov_b32 s13, exec_lo
	s_delay_alu instid0(VALU_DEP_2)
	v_cmpx_ne_u32_e32 0x80, v131
	s_cbranch_execz .LBB352_1490
; %bb.1485:                             ;   in Loop: Header=BB352_1062 Depth=1
	v_and_b32_e32 v13, 0x7f, v131
	v_mov_b32_e32 v130, 0x7fc02000
	s_mov_b32 s15, exec_lo
	s_delay_alu instid0(VALU_DEP_2)
	v_cmpx_ne_u32_e32 0x7f, v13
	s_cbranch_execz .LBB352_1489
; %bb.1486:                             ;   in Loop: Header=BB352_1062 Depth=1
	v_and_b32_e32 v0, 7, v131
	v_lshrrev_b32_e32 v130, 3, v13
	v_cmp_gt_u32_e64 s0, 8, v13
	s_delay_alu instid0(VALU_DEP_3) | instskip(NEXT) | instid1(VALU_DEP_2)
	v_dual_mov_b32 v14, v1 :: v_dual_mov_b32 v13, v0
	s_and_saveexec_b32 s16, s0
; %bb.1487:                             ;   in Loop: Header=BB352_1062 Depth=1
	v_clz_i32_u32_e32 v13, v0
	s_delay_alu instid0(VALU_DEP_1) | instskip(NEXT) | instid1(VALU_DEP_1)
	v_min_u32_e32 v130, 32, v13
	v_subrev_nc_u32_e32 v13, 28, v130
	v_sub_nc_u32_e32 v130, 29, v130
	s_delay_alu instid0(VALU_DEP_2) | instskip(NEXT) | instid1(VALU_DEP_1)
	v_lshlrev_b64 v[13:14], v13, v[0:1]
	v_and_b32_e32 v13, 7, v13
; %bb.1488:                             ;   in Loop: Header=BB352_1062 Depth=1
	s_or_b32 exec_lo, exec_lo, s16
	v_lshlrev_b32_e32 v0, 8, v131
	v_lshl_add_u32 v14, v130, 10, 0x2000
	s_delay_alu instid0(VALU_DEP_1) | instskip(NEXT) | instid1(VALU_DEP_1)
	v_and_or_b32 v0, 0x8000, v0, v14
	v_lshl_or_b32 v0, v13, 7, v0
	s_delay_alu instid0(VALU_DEP_1)
	v_cvt_f32_f16_e64 v130, v0
.LBB352_1489:                           ;   in Loop: Header=BB352_1062 Depth=1
	s_or_b32 exec_lo, exec_lo, s15
.LBB352_1490:                           ;   in Loop: Header=BB352_1062 Depth=1
	s_delay_alu instid0(SALU_CYCLE_1)
	s_or_b32 exec_lo, exec_lo, s13
.LBB352_1491:                           ;   in Loop: Header=BB352_1062 Depth=1
	s_delay_alu instid0(SALU_CYCLE_1) | instskip(SKIP_3) | instid1(VALU_DEP_2)
	s_or_b32 exec_lo, exec_lo, s12
	v_dual_mov_b32 v0, v12 :: v_dual_and_b32 v13, 0xff, v12
	v_dual_mov_b32 v132, 0 :: v_dual_mov_b32 v131, 0
	s_mov_b32 s12, exec_lo
	v_cmpx_ne_u16_e32 0, v13
	s_cbranch_execz .LBB352_1499
; %bb.1492:                             ;   in Loop: Header=BB352_1062 Depth=1
	v_bfrev_b32_e32 v131, 1
	s_mov_b32 s13, exec_lo
	v_cmpx_ne_u16_e32 0x80, v13
	s_cbranch_execz .LBB352_1498
; %bb.1493:                             ;   in Loop: Header=BB352_1062 Depth=1
	v_and_b32_e32 v13, 0x7f, v12
	v_mov_b32_e32 v131, 0x7fc02000
	s_mov_b32 s15, exec_lo
	s_delay_alu instid0(VALU_DEP_2)
	v_cmpx_ne_u32_e32 0x7f, v13
	s_cbranch_execz .LBB352_1497
; %bb.1494:                             ;   in Loop: Header=BB352_1062 Depth=1
	v_lshrrev_b32_e32 v131, 3, v13
	v_cmp_gt_u32_e64 s0, 8, v13
	v_dual_mov_b32 v14, v1 :: v_dual_mov_b32 v13, v0
	s_delay_alu instid0(VALU_DEP_2)
	s_and_saveexec_b32 s16, s0
; %bb.1495:                             ;   in Loop: Header=BB352_1062 Depth=1
	v_and_b32_e32 v13, 7, v12
	s_delay_alu instid0(VALU_DEP_1) | instskip(NEXT) | instid1(VALU_DEP_1)
	v_clz_i32_u32_e32 v13, v13
	v_min_u32_e32 v131, 32, v13
	s_delay_alu instid0(VALU_DEP_1) | instskip(SKIP_1) | instid1(VALU_DEP_2)
	v_subrev_nc_u32_e32 v13, 28, v131
	v_sub_nc_u32_e32 v131, 29, v131
	v_lshlrev_b64 v[13:14], v13, v[0:1]
; %bb.1496:                             ;   in Loop: Header=BB352_1062 Depth=1
	s_or_b32 exec_lo, exec_lo, s16
	v_lshlrev_b32_e32 v14, 8, v12
	s_delay_alu instid0(VALU_DEP_3) | instskip(NEXT) | instid1(VALU_DEP_3)
	v_lshl_add_u32 v131, v131, 10, 0x2000
	v_lshlrev_b32_e32 v13, 7, v13
	s_delay_alu instid0(VALU_DEP_2) | instskip(NEXT) | instid1(VALU_DEP_1)
	v_and_or_b32 v14, 0x8000, v14, v131
	v_and_or_b32 v13, 0x380, v13, v14
	s_delay_alu instid0(VALU_DEP_1)
	v_cvt_f32_f16_e64 v131, v13
.LBB352_1497:                           ;   in Loop: Header=BB352_1062 Depth=1
	s_or_b32 exec_lo, exec_lo, s15
.LBB352_1498:                           ;   in Loop: Header=BB352_1062 Depth=1
	s_delay_alu instid0(SALU_CYCLE_1)
	s_or_b32 exec_lo, exec_lo, s13
.LBB352_1499:                           ;   in Loop: Header=BB352_1062 Depth=1
	s_delay_alu instid0(SALU_CYCLE_1) | instskip(SKIP_2) | instid1(VALU_DEP_1)
	s_or_b32 exec_lo, exec_lo, s12
	v_lshrrev_b16 v0, 8, v0
	s_mov_b32 s12, exec_lo
	v_cmpx_ne_u16_e32 0, v0
	s_cbranch_execz .LBB352_1507
; %bb.1500:                             ;   in Loop: Header=BB352_1062 Depth=1
	v_bfrev_b32_e32 v132, 1
	s_mov_b32 s13, exec_lo
	v_cmpx_ne_u16_e32 0x80, v0
	s_cbranch_execz .LBB352_1506
; %bb.1501:                             ;   in Loop: Header=BB352_1062 Depth=1
	v_and_b32_e32 v133, 0xffff, v0
	v_mov_b32_e32 v132, 0x7fc02000
	s_mov_b32 s15, exec_lo
	s_delay_alu instid0(VALU_DEP_2) | instskip(NEXT) | instid1(VALU_DEP_1)
	v_and_b32_e32 v13, 0x7f, v133
	v_cmpx_ne_u32_e32 0x7f, v13
	s_cbranch_execz .LBB352_1505
; %bb.1502:                             ;   in Loop: Header=BB352_1062 Depth=1
	v_and_b32_e32 v0, 7, v133
	v_lshrrev_b32_e32 v132, 3, v13
	v_cmp_gt_u32_e64 s0, 8, v13
	s_delay_alu instid0(VALU_DEP_3) | instskip(NEXT) | instid1(VALU_DEP_2)
	v_dual_mov_b32 v14, v1 :: v_dual_mov_b32 v13, v0
	s_and_saveexec_b32 s16, s0
; %bb.1503:                             ;   in Loop: Header=BB352_1062 Depth=1
	v_clz_i32_u32_e32 v13, v0
	s_delay_alu instid0(VALU_DEP_1) | instskip(NEXT) | instid1(VALU_DEP_1)
	v_min_u32_e32 v132, 32, v13
	v_subrev_nc_u32_e32 v13, 28, v132
	v_sub_nc_u32_e32 v132, 29, v132
	s_delay_alu instid0(VALU_DEP_2) | instskip(NEXT) | instid1(VALU_DEP_1)
	v_lshlrev_b64 v[13:14], v13, v[0:1]
	v_and_b32_e32 v13, 7, v13
; %bb.1504:                             ;   in Loop: Header=BB352_1062 Depth=1
	s_or_b32 exec_lo, exec_lo, s16
	v_lshlrev_b32_e32 v0, 8, v133
	v_lshl_add_u32 v14, v132, 10, 0x2000
	s_delay_alu instid0(VALU_DEP_1) | instskip(NEXT) | instid1(VALU_DEP_1)
	v_and_or_b32 v0, 0x8000, v0, v14
	v_lshl_or_b32 v0, v13, 7, v0
	s_delay_alu instid0(VALU_DEP_1)
	v_cvt_f32_f16_e64 v132, v0
.LBB352_1505:                           ;   in Loop: Header=BB352_1062 Depth=1
	s_or_b32 exec_lo, exec_lo, s15
.LBB352_1506:                           ;   in Loop: Header=BB352_1062 Depth=1
	s_delay_alu instid0(SALU_CYCLE_1)
	s_or_b32 exec_lo, exec_lo, s13
.LBB352_1507:                           ;   in Loop: Header=BB352_1062 Depth=1
	s_delay_alu instid0(SALU_CYCLE_1) | instskip(SKIP_3) | instid1(VALU_DEP_2)
	s_or_b32 exec_lo, exec_lo, s12
	v_lshrrev_b32_e32 v134, 16, v12
	v_mov_b32_e32 v13, 0
	s_mov_b32 s12, exec_lo
	v_dual_mov_b32 v133, 0 :: v_dual_and_b32 v0, 0xff, v134
	s_delay_alu instid0(VALU_DEP_1)
	v_cmpx_ne_u16_e32 0, v0
	s_cbranch_execz .LBB352_1515
; %bb.1508:                             ;   in Loop: Header=BB352_1062 Depth=1
	v_bfrev_b32_e32 v13, 1
	s_mov_b32 s13, exec_lo
	v_cmpx_ne_u16_e32 0x80, v0
	s_cbranch_execz .LBB352_1514
; %bb.1509:                             ;   in Loop: Header=BB352_1062 Depth=1
	v_bfe_u32 v14, v12, 16, 7
	v_mov_b32_e32 v13, 0x7fc02000
	s_mov_b32 s15, exec_lo
	s_delay_alu instid0(VALU_DEP_2)
	v_cmpx_ne_u32_e32 0x7f, v14
	s_cbranch_execz .LBB352_1513
; %bb.1510:                             ;   in Loop: Header=BB352_1062 Depth=1
	v_and_b32_e32 v0, 7, v134
	v_lshrrev_b32_e32 v135, 3, v14
	v_cmp_gt_u32_e64 s0, 8, v14
	s_delay_alu instid0(VALU_DEP_3) | instskip(NEXT) | instid1(VALU_DEP_2)
	v_dual_mov_b32 v14, v1 :: v_dual_mov_b32 v13, v0
	s_and_saveexec_b32 s16, s0
; %bb.1511:                             ;   in Loop: Header=BB352_1062 Depth=1
	v_clz_i32_u32_e32 v13, v0
	s_delay_alu instid0(VALU_DEP_1) | instskip(NEXT) | instid1(VALU_DEP_1)
	v_min_u32_e32 v135, 32, v13
	v_subrev_nc_u32_e32 v13, 28, v135
	v_sub_nc_u32_e32 v135, 29, v135
	s_delay_alu instid0(VALU_DEP_2) | instskip(NEXT) | instid1(VALU_DEP_1)
	v_lshlrev_b64 v[13:14], v13, v[0:1]
	v_and_b32_e32 v13, 7, v13
; %bb.1512:                             ;   in Loop: Header=BB352_1062 Depth=1
	s_or_b32 exec_lo, exec_lo, s16
	v_lshlrev_b32_e32 v0, 8, v134
	v_lshl_add_u32 v14, v135, 10, 0x2000
	s_delay_alu instid0(VALU_DEP_1) | instskip(NEXT) | instid1(VALU_DEP_1)
	v_and_or_b32 v0, 0x8000, v0, v14
	v_lshl_or_b32 v0, v13, 7, v0
	s_delay_alu instid0(VALU_DEP_1)
	v_cvt_f32_f16_e32 v13, v0
.LBB352_1513:                           ;   in Loop: Header=BB352_1062 Depth=1
	s_or_b32 exec_lo, exec_lo, s15
.LBB352_1514:                           ;   in Loop: Header=BB352_1062 Depth=1
	s_delay_alu instid0(SALU_CYCLE_1)
	s_or_b32 exec_lo, exec_lo, s13
.LBB352_1515:                           ;   in Loop: Header=BB352_1062 Depth=1
	s_delay_alu instid0(SALU_CYCLE_1) | instskip(NEXT) | instid1(SALU_CYCLE_1)
	s_or_b32 exec_lo, exec_lo, s12
	s_mov_b32 s12, exec_lo
	v_cmpx_lt_u64_e64 s[8:9], v[11:12]
	s_cbranch_execz .LBB352_1523
; %bb.1516:                             ;   in Loop: Header=BB352_1062 Depth=1
	v_lshrrev_b32_e32 v14, 24, v12
	v_bfrev_b32_e32 v133, 1
	s_mov_b32 s13, exec_lo
	s_delay_alu instid0(VALU_DEP_2)
	v_cmpx_ne_u32_e32 0x80, v14
	s_cbranch_execz .LBB352_1522
; %bb.1517:                             ;   in Loop: Header=BB352_1062 Depth=1
	v_and_b32_e32 v11, 0x7f, v14
	v_mov_b32_e32 v133, 0x7fc02000
	s_mov_b32 s15, exec_lo
	s_delay_alu instid0(VALU_DEP_2)
	v_cmpx_ne_u32_e32 0x7f, v11
	s_cbranch_execz .LBB352_1521
; %bb.1518:                             ;   in Loop: Header=BB352_1062 Depth=1
	v_and_b32_e32 v0, 7, v14
	v_lshrrev_b32_e32 v133, 3, v11
	v_cmp_gt_u32_e64 s0, 8, v11
	s_delay_alu instid0(VALU_DEP_3) | instskip(NEXT) | instid1(VALU_DEP_2)
	v_dual_mov_b32 v12, v1 :: v_dual_mov_b32 v11, v0
	s_and_saveexec_b32 s16, s0
; %bb.1519:                             ;   in Loop: Header=BB352_1062 Depth=1
	v_clz_i32_u32_e32 v11, v0
	s_delay_alu instid0(VALU_DEP_1) | instskip(NEXT) | instid1(VALU_DEP_1)
	v_min_u32_e32 v133, 32, v11
	v_subrev_nc_u32_e32 v11, 28, v133
	v_sub_nc_u32_e32 v133, 29, v133
	s_delay_alu instid0(VALU_DEP_2) | instskip(NEXT) | instid1(VALU_DEP_1)
	v_lshlrev_b64 v[11:12], v11, v[0:1]
	v_and_b32_e32 v11, 7, v11
; %bb.1520:                             ;   in Loop: Header=BB352_1062 Depth=1
	s_or_b32 exec_lo, exec_lo, s16
	v_lshlrev_b32_e32 v0, 8, v14
	v_lshl_add_u32 v12, v133, 10, 0x2000
	s_delay_alu instid0(VALU_DEP_1) | instskip(NEXT) | instid1(VALU_DEP_1)
	v_and_or_b32 v0, 0x8000, v0, v12
	v_lshl_or_b32 v0, v11, 7, v0
	s_delay_alu instid0(VALU_DEP_1)
	v_cvt_f32_f16_e64 v133, v0
.LBB352_1521:                           ;   in Loop: Header=BB352_1062 Depth=1
	s_or_b32 exec_lo, exec_lo, s15
.LBB352_1522:                           ;   in Loop: Header=BB352_1062 Depth=1
	s_delay_alu instid0(SALU_CYCLE_1)
	s_or_b32 exec_lo, exec_lo, s13
.LBB352_1523:                           ;   in Loop: Header=BB352_1062 Depth=1
	s_delay_alu instid0(SALU_CYCLE_1)
	s_or_b32 exec_lo, exec_lo, s12
	s_waitcnt vmcnt(0) lgkmcnt(0)
	v_fma_mixlo_f16 v12, v118, v128, 0
	v_fma_mixlo_f16 v0, v118, v130, 0
	;; [unrolled: 1-line block ×5, first 2 shown]
	v_lshlrev_b32_e32 v14, 16, v12
	v_fma_mixlo_f16 v129, v118, v131, 0
	v_fma_mixlo_f16 v130, v118, v133, 0
	;; [unrolled: 1-line block ×3, first 2 shown]
	v_lshlrev_b32_e32 v0, 16, v0
	v_and_b32_e32 v11, 0xffff, v11
	v_and_b32_e32 v118, 0xffff, v119
	v_lshlrev_b32_e32 v119, 16, v128
	v_and_b32_e32 v128, 0xffff, v129
	v_lshlrev_b32_e32 v129, 16, v130
	v_and_b32_e32 v130, 0xffff, v12
	v_or_b32_e32 v13, v0, v11
	v_or_b32_e32 v14, v14, v118
	;; [unrolled: 1-line block ×3, first 2 shown]
	s_delay_alu instid0(VALU_DEP_4)
	v_or_b32_e32 v11, v129, v130
	s_and_saveexec_b32 s12, vcc_lo
	s_cbranch_execz .LBB352_1525
; %bb.1524:                             ;   in Loop: Header=BB352_1062 Depth=1
	v_cmp_lt_i32_e64 s0, v19, v38
	v_lshrrev_b32_e32 v118, 16, v14
	v_lshrrev_b32_e32 v119, 16, v13
	;; [unrolled: 1-line block ×4, first 2 shown]
	v_cndmask_b32_e64 v14, 0, v14, s0
	v_cmp_lt_i32_e64 s0, v99, v55
	s_delay_alu instid0(VALU_DEP_1) | instskip(SKIP_1) | instid1(VALU_DEP_2)
	v_cndmask_b32_e64 v118, 0, v118, s0
	v_cmp_lt_i32_e64 s0, v98, v55
	v_perm_b32 v14, v118, v14, 0x5040100
	s_delay_alu instid0(VALU_DEP_2) | instskip(SKIP_1) | instid1(VALU_DEP_1)
	v_cndmask_b32_e64 v119, 0, v119, s0
	v_cmp_lt_i32_e64 s0, v96, v38
	v_cndmask_b32_e64 v13, 0, v13, s0
	v_cmp_lt_i32_e64 s0, v84, v55
	s_delay_alu instid0(VALU_DEP_2) | instskip(NEXT) | instid1(VALU_DEP_2)
	v_perm_b32 v13, v119, v13, 0x5040100
	v_cndmask_b32_e64 v128, 0, v128, s0
	v_cmp_lt_i32_e64 s0, v83, v38
	s_delay_alu instid0(VALU_DEP_1) | instskip(SKIP_1) | instid1(VALU_DEP_2)
	v_cndmask_b32_e64 v0, 0, v0, s0
	v_cmp_lt_i32_e64 s0, v81, v55
	v_perm_b32 v0, v128, v0, 0x5040100
	s_delay_alu instid0(VALU_DEP_2) | instskip(SKIP_1) | instid1(VALU_DEP_1)
	v_cndmask_b32_e64 v11, 0, v11, s0
	v_cmp_lt_i32_e64 s0, v64, v38
	v_cndmask_b32_e64 v12, 0, v12, s0
	s_delay_alu instid0(VALU_DEP_1)
	v_perm_b32 v11, v11, v12, 0x5040100
.LBB352_1525:                           ;   in Loop: Header=BB352_1062 Depth=1
	s_or_b32 exec_lo, exec_lo, s12
	;;#ASMSTART
	v_pk_mul_f16 v12, v97, v14;

	;;#ASMEND
	;;#ASMSTART
	v_pk_mul_f16 v13, v87, v13;

	;;#ASMEND
	;; [unrolled: 4-line block ×4, first 2 shown]
	;;#ASMSTART
	v_pk_add_f16 v12, v12, v13;

	;;#ASMEND
	;;#ASMSTART
	v_pk_add_f16 v0, v12, v0;

	;;#ASMEND
	;; [unrolled: 4-line block ×3, first 2 shown]
	v_dual_mov_b32 v130, 0 :: v_dual_and_b32 v11, 0xffff, v0
	v_lshrrev_b32_e32 v0, 16, v0
	;;#ASMSTART
	v_cvt_f32_f16 v118, v11;
	;;#ASMEND
	;;#ASMSTART
	v_cvt_f32_f16 v119, v0;
	;;#ASMEND
	flat_load_b64 v[11:12], v[9:10] offset:1792
	flat_load_b32 v128, v[26:27]
	s_mov_b32 s12, exec_lo
	s_waitcnt vmcnt(1) lgkmcnt(1)
	v_dual_mov_b32 v129, 0 :: v_dual_and_b32 v0, 0xff, v11
	s_delay_alu instid0(VALU_DEP_1)
	v_cmpx_ne_u16_e32 0, v0
	s_cbranch_execz .LBB352_1533
; %bb.1526:                             ;   in Loop: Header=BB352_1062 Depth=1
	v_bfrev_b32_e32 v129, 1
	s_mov_b32 s13, exec_lo
	v_cmpx_ne_u16_e32 0x80, v0
	s_cbranch_execz .LBB352_1532
; %bb.1527:                             ;   in Loop: Header=BB352_1062 Depth=1
	v_and_b32_e32 v13, 0x7f, v11
	v_mov_b32_e32 v129, 0x7fc02000
	s_mov_b32 s15, exec_lo
	s_delay_alu instid0(VALU_DEP_2)
	v_cmpx_ne_u32_e32 0x7f, v13
	s_cbranch_execz .LBB352_1531
; %bb.1528:                             ;   in Loop: Header=BB352_1062 Depth=1
	v_lshrrev_b32_e32 v0, 3, v13
	v_cmp_gt_u32_e64 s0, 8, v13
	v_dual_mov_b32 v14, v12 :: v_dual_mov_b32 v13, v11
	s_delay_alu instid0(VALU_DEP_2)
	s_and_saveexec_b32 s16, s0
; %bb.1529:                             ;   in Loop: Header=BB352_1062 Depth=1
	v_and_b32_e32 v0, 7, v11
	s_delay_alu instid0(VALU_DEP_1) | instskip(NEXT) | instid1(VALU_DEP_1)
	v_clz_i32_u32_e32 v0, v0
	v_min_u32_e32 v0, 32, v0
	s_delay_alu instid0(VALU_DEP_1) | instskip(SKIP_1) | instid1(VALU_DEP_2)
	v_subrev_nc_u32_e32 v13, 28, v0
	v_sub_nc_u32_e32 v0, 29, v0
	v_lshlrev_b64 v[13:14], v13, v[11:12]
; %bb.1530:                             ;   in Loop: Header=BB352_1062 Depth=1
	s_or_b32 exec_lo, exec_lo, s16
	v_lshlrev_b32_e32 v14, 8, v11
	s_delay_alu instid0(VALU_DEP_3) | instskip(NEXT) | instid1(VALU_DEP_3)
	v_lshl_add_u32 v0, v0, 10, 0x2000
	v_lshlrev_b32_e32 v13, 7, v13
	s_delay_alu instid0(VALU_DEP_2) | instskip(NEXT) | instid1(VALU_DEP_1)
	v_and_or_b32 v0, 0x8000, v14, v0
	v_and_or_b32 v0, 0x380, v13, v0
	s_delay_alu instid0(VALU_DEP_1)
	v_cvt_f32_f16_e64 v129, v0
.LBB352_1531:                           ;   in Loop: Header=BB352_1062 Depth=1
	s_or_b32 exec_lo, exec_lo, s15
.LBB352_1532:                           ;   in Loop: Header=BB352_1062 Depth=1
	s_delay_alu instid0(SALU_CYCLE_1)
	s_or_b32 exec_lo, exec_lo, s13
.LBB352_1533:                           ;   in Loop: Header=BB352_1062 Depth=1
	s_delay_alu instid0(SALU_CYCLE_1) | instskip(SKIP_2) | instid1(VALU_DEP_1)
	s_or_b32 exec_lo, exec_lo, s12
	v_lshrrev_b16 v0, 8, v11
	s_mov_b32 s12, exec_lo
	v_cmpx_ne_u16_e32 0, v0
	s_cbranch_execz .LBB352_1541
; %bb.1534:                             ;   in Loop: Header=BB352_1062 Depth=1
	v_bfrev_b32_e32 v130, 1
	s_mov_b32 s13, exec_lo
	v_cmpx_ne_u16_e32 0x80, v0
	s_cbranch_execz .LBB352_1540
; %bb.1535:                             ;   in Loop: Header=BB352_1062 Depth=1
	v_and_b32_e32 v131, 0xffff, v0
	v_mov_b32_e32 v130, 0x7fc02000
	s_mov_b32 s15, exec_lo
	s_delay_alu instid0(VALU_DEP_2) | instskip(NEXT) | instid1(VALU_DEP_1)
	v_and_b32_e32 v13, 0x7f, v131
	v_cmpx_ne_u32_e32 0x7f, v13
	s_cbranch_execz .LBB352_1539
; %bb.1536:                             ;   in Loop: Header=BB352_1062 Depth=1
	v_and_b32_e32 v0, 7, v131
	v_lshrrev_b32_e32 v130, 3, v13
	v_cmp_gt_u32_e64 s0, 8, v13
	s_delay_alu instid0(VALU_DEP_3) | instskip(NEXT) | instid1(VALU_DEP_2)
	v_dual_mov_b32 v14, v1 :: v_dual_mov_b32 v13, v0
	s_and_saveexec_b32 s16, s0
; %bb.1537:                             ;   in Loop: Header=BB352_1062 Depth=1
	v_clz_i32_u32_e32 v13, v0
	s_delay_alu instid0(VALU_DEP_1) | instskip(NEXT) | instid1(VALU_DEP_1)
	v_min_u32_e32 v130, 32, v13
	v_subrev_nc_u32_e32 v13, 28, v130
	v_sub_nc_u32_e32 v130, 29, v130
	s_delay_alu instid0(VALU_DEP_2) | instskip(NEXT) | instid1(VALU_DEP_1)
	v_lshlrev_b64 v[13:14], v13, v[0:1]
	v_and_b32_e32 v13, 7, v13
; %bb.1538:                             ;   in Loop: Header=BB352_1062 Depth=1
	s_or_b32 exec_lo, exec_lo, s16
	v_lshlrev_b32_e32 v0, 8, v131
	v_lshl_add_u32 v14, v130, 10, 0x2000
	s_delay_alu instid0(VALU_DEP_1) | instskip(NEXT) | instid1(VALU_DEP_1)
	v_and_or_b32 v0, 0x8000, v0, v14
	v_lshl_or_b32 v0, v13, 7, v0
	s_delay_alu instid0(VALU_DEP_1)
	v_cvt_f32_f16_e64 v130, v0
.LBB352_1539:                           ;   in Loop: Header=BB352_1062 Depth=1
	s_or_b32 exec_lo, exec_lo, s15
.LBB352_1540:                           ;   in Loop: Header=BB352_1062 Depth=1
	s_delay_alu instid0(SALU_CYCLE_1)
	s_or_b32 exec_lo, exec_lo, s13
.LBB352_1541:                           ;   in Loop: Header=BB352_1062 Depth=1
	s_delay_alu instid0(SALU_CYCLE_1) | instskip(SKIP_3) | instid1(VALU_DEP_2)
	s_or_b32 exec_lo, exec_lo, s12
	v_lshrrev_b32_e32 v133, 16, v11
	v_mov_b32_e32 v132, 0
	s_mov_b32 s12, exec_lo
	v_dual_mov_b32 v131, 0 :: v_dual_and_b32 v0, 0xff, v133
	s_delay_alu instid0(VALU_DEP_1)
	v_cmpx_ne_u16_e32 0, v0
	s_cbranch_execz .LBB352_1549
; %bb.1542:                             ;   in Loop: Header=BB352_1062 Depth=1
	v_bfrev_b32_e32 v131, 1
	s_mov_b32 s13, exec_lo
	v_cmpx_ne_u16_e32 0x80, v0
	s_cbranch_execz .LBB352_1548
; %bb.1543:                             ;   in Loop: Header=BB352_1062 Depth=1
	v_bfe_u32 v13, v11, 16, 7
	v_mov_b32_e32 v131, 0x7fc02000
	s_mov_b32 s15, exec_lo
	s_delay_alu instid0(VALU_DEP_2)
	v_cmpx_ne_u32_e32 0x7f, v13
	s_cbranch_execz .LBB352_1547
; %bb.1544:                             ;   in Loop: Header=BB352_1062 Depth=1
	v_and_b32_e32 v0, 7, v133
	v_lshrrev_b32_e32 v131, 3, v13
	v_cmp_gt_u32_e64 s0, 8, v13
	s_delay_alu instid0(VALU_DEP_3) | instskip(NEXT) | instid1(VALU_DEP_2)
	v_dual_mov_b32 v14, v1 :: v_dual_mov_b32 v13, v0
	s_and_saveexec_b32 s16, s0
; %bb.1545:                             ;   in Loop: Header=BB352_1062 Depth=1
	v_clz_i32_u32_e32 v13, v0
	s_delay_alu instid0(VALU_DEP_1) | instskip(NEXT) | instid1(VALU_DEP_1)
	v_min_u32_e32 v131, 32, v13
	v_subrev_nc_u32_e32 v13, 28, v131
	v_sub_nc_u32_e32 v131, 29, v131
	s_delay_alu instid0(VALU_DEP_2) | instskip(NEXT) | instid1(VALU_DEP_1)
	v_lshlrev_b64 v[13:14], v13, v[0:1]
	v_and_b32_e32 v13, 7, v13
; %bb.1546:                             ;   in Loop: Header=BB352_1062 Depth=1
	s_or_b32 exec_lo, exec_lo, s16
	v_lshlrev_b32_e32 v0, 8, v133
	v_lshl_add_u32 v14, v131, 10, 0x2000
	s_delay_alu instid0(VALU_DEP_1) | instskip(NEXT) | instid1(VALU_DEP_1)
	v_and_or_b32 v0, 0x8000, v0, v14
	v_lshl_or_b32 v0, v13, 7, v0
	s_delay_alu instid0(VALU_DEP_1)
	v_cvt_f32_f16_e64 v131, v0
.LBB352_1547:                           ;   in Loop: Header=BB352_1062 Depth=1
	s_or_b32 exec_lo, exec_lo, s15
.LBB352_1548:                           ;   in Loop: Header=BB352_1062 Depth=1
	s_delay_alu instid0(SALU_CYCLE_1)
	s_or_b32 exec_lo, exec_lo, s13
.LBB352_1549:                           ;   in Loop: Header=BB352_1062 Depth=1
	s_delay_alu instid0(SALU_CYCLE_1) | instskip(NEXT) | instid1(SALU_CYCLE_1)
	s_or_b32 exec_lo, exec_lo, s12
	s_mov_b32 s12, exec_lo
	v_cmpx_lt_u32_e32 0xffffff, v11
	s_cbranch_execz .LBB352_1557
; %bb.1550:                             ;   in Loop: Header=BB352_1062 Depth=1
	v_lshrrev_b32_e32 v133, 24, v11
	v_bfrev_b32_e32 v132, 1
	s_mov_b32 s13, exec_lo
	s_delay_alu instid0(VALU_DEP_2)
	v_cmpx_ne_u32_e32 0x80, v133
	s_cbranch_execz .LBB352_1556
; %bb.1551:                             ;   in Loop: Header=BB352_1062 Depth=1
	v_and_b32_e32 v13, 0x7f, v133
	v_mov_b32_e32 v132, 0x7fc02000
	s_mov_b32 s15, exec_lo
	s_delay_alu instid0(VALU_DEP_2)
	v_cmpx_ne_u32_e32 0x7f, v13
	s_cbranch_execz .LBB352_1555
; %bb.1552:                             ;   in Loop: Header=BB352_1062 Depth=1
	v_and_b32_e32 v0, 7, v133
	v_lshrrev_b32_e32 v132, 3, v13
	v_cmp_gt_u32_e64 s0, 8, v13
	s_delay_alu instid0(VALU_DEP_3) | instskip(NEXT) | instid1(VALU_DEP_2)
	v_dual_mov_b32 v14, v1 :: v_dual_mov_b32 v13, v0
	s_and_saveexec_b32 s16, s0
; %bb.1553:                             ;   in Loop: Header=BB352_1062 Depth=1
	v_clz_i32_u32_e32 v13, v0
	s_delay_alu instid0(VALU_DEP_1) | instskip(NEXT) | instid1(VALU_DEP_1)
	v_min_u32_e32 v132, 32, v13
	v_subrev_nc_u32_e32 v13, 28, v132
	v_sub_nc_u32_e32 v132, 29, v132
	s_delay_alu instid0(VALU_DEP_2) | instskip(NEXT) | instid1(VALU_DEP_1)
	v_lshlrev_b64 v[13:14], v13, v[0:1]
	v_and_b32_e32 v13, 7, v13
; %bb.1554:                             ;   in Loop: Header=BB352_1062 Depth=1
	s_or_b32 exec_lo, exec_lo, s16
	v_lshlrev_b32_e32 v0, 8, v133
	v_lshl_add_u32 v14, v132, 10, 0x2000
	s_delay_alu instid0(VALU_DEP_1) | instskip(NEXT) | instid1(VALU_DEP_1)
	v_and_or_b32 v0, 0x8000, v0, v14
	v_lshl_or_b32 v0, v13, 7, v0
	s_delay_alu instid0(VALU_DEP_1)
	v_cvt_f32_f16_e64 v132, v0
.LBB352_1555:                           ;   in Loop: Header=BB352_1062 Depth=1
	s_or_b32 exec_lo, exec_lo, s15
.LBB352_1556:                           ;   in Loop: Header=BB352_1062 Depth=1
	s_delay_alu instid0(SALU_CYCLE_1)
	s_or_b32 exec_lo, exec_lo, s13
.LBB352_1557:                           ;   in Loop: Header=BB352_1062 Depth=1
	s_delay_alu instid0(SALU_CYCLE_1) | instskip(SKIP_3) | instid1(VALU_DEP_2)
	s_or_b32 exec_lo, exec_lo, s12
	v_dual_mov_b32 v0, v12 :: v_dual_and_b32 v13, 0xff, v12
	v_dual_mov_b32 v134, 0 :: v_dual_mov_b32 v133, 0
	s_mov_b32 s12, exec_lo
	v_cmpx_ne_u16_e32 0, v13
	s_cbranch_execz .LBB352_1565
; %bb.1558:                             ;   in Loop: Header=BB352_1062 Depth=1
	v_bfrev_b32_e32 v133, 1
	s_mov_b32 s13, exec_lo
	v_cmpx_ne_u16_e32 0x80, v13
	s_cbranch_execz .LBB352_1564
; %bb.1559:                             ;   in Loop: Header=BB352_1062 Depth=1
	v_and_b32_e32 v13, 0x7f, v12
	v_mov_b32_e32 v133, 0x7fc02000
	s_mov_b32 s15, exec_lo
	s_delay_alu instid0(VALU_DEP_2)
	v_cmpx_ne_u32_e32 0x7f, v13
	s_cbranch_execz .LBB352_1563
; %bb.1560:                             ;   in Loop: Header=BB352_1062 Depth=1
	v_lshrrev_b32_e32 v133, 3, v13
	v_cmp_gt_u32_e64 s0, 8, v13
	v_dual_mov_b32 v14, v1 :: v_dual_mov_b32 v13, v0
	s_delay_alu instid0(VALU_DEP_2)
	s_and_saveexec_b32 s16, s0
; %bb.1561:                             ;   in Loop: Header=BB352_1062 Depth=1
	v_and_b32_e32 v13, 7, v12
	s_delay_alu instid0(VALU_DEP_1) | instskip(NEXT) | instid1(VALU_DEP_1)
	v_clz_i32_u32_e32 v13, v13
	v_min_u32_e32 v133, 32, v13
	s_delay_alu instid0(VALU_DEP_1) | instskip(SKIP_1) | instid1(VALU_DEP_2)
	v_subrev_nc_u32_e32 v13, 28, v133
	v_sub_nc_u32_e32 v133, 29, v133
	v_lshlrev_b64 v[13:14], v13, v[0:1]
; %bb.1562:                             ;   in Loop: Header=BB352_1062 Depth=1
	s_or_b32 exec_lo, exec_lo, s16
	v_lshlrev_b32_e32 v14, 8, v12
	s_delay_alu instid0(VALU_DEP_3) | instskip(NEXT) | instid1(VALU_DEP_3)
	v_lshl_add_u32 v133, v133, 10, 0x2000
	v_lshlrev_b32_e32 v13, 7, v13
	s_delay_alu instid0(VALU_DEP_2) | instskip(NEXT) | instid1(VALU_DEP_1)
	v_and_or_b32 v14, 0x8000, v14, v133
	v_and_or_b32 v13, 0x380, v13, v14
	s_delay_alu instid0(VALU_DEP_1)
	v_cvt_f32_f16_e64 v133, v13
.LBB352_1563:                           ;   in Loop: Header=BB352_1062 Depth=1
	s_or_b32 exec_lo, exec_lo, s15
.LBB352_1564:                           ;   in Loop: Header=BB352_1062 Depth=1
	s_delay_alu instid0(SALU_CYCLE_1)
	s_or_b32 exec_lo, exec_lo, s13
.LBB352_1565:                           ;   in Loop: Header=BB352_1062 Depth=1
	s_delay_alu instid0(SALU_CYCLE_1) | instskip(SKIP_2) | instid1(VALU_DEP_1)
	s_or_b32 exec_lo, exec_lo, s12
	v_lshrrev_b16 v0, 8, v0
	s_mov_b32 s12, exec_lo
	v_cmpx_ne_u16_e32 0, v0
	s_cbranch_execz .LBB352_1573
; %bb.1566:                             ;   in Loop: Header=BB352_1062 Depth=1
	v_bfrev_b32_e32 v134, 1
	s_mov_b32 s13, exec_lo
	v_cmpx_ne_u16_e32 0x80, v0
	s_cbranch_execz .LBB352_1572
; %bb.1567:                             ;   in Loop: Header=BB352_1062 Depth=1
	v_and_b32_e32 v135, 0xffff, v0
	v_mov_b32_e32 v134, 0x7fc02000
	s_mov_b32 s15, exec_lo
	s_delay_alu instid0(VALU_DEP_2) | instskip(NEXT) | instid1(VALU_DEP_1)
	v_and_b32_e32 v13, 0x7f, v135
	v_cmpx_ne_u32_e32 0x7f, v13
	s_cbranch_execz .LBB352_1571
; %bb.1568:                             ;   in Loop: Header=BB352_1062 Depth=1
	v_and_b32_e32 v0, 7, v135
	v_lshrrev_b32_e32 v134, 3, v13
	v_cmp_gt_u32_e64 s0, 8, v13
	s_delay_alu instid0(VALU_DEP_3) | instskip(NEXT) | instid1(VALU_DEP_2)
	v_dual_mov_b32 v14, v1 :: v_dual_mov_b32 v13, v0
	s_and_saveexec_b32 s16, s0
; %bb.1569:                             ;   in Loop: Header=BB352_1062 Depth=1
	v_clz_i32_u32_e32 v13, v0
	s_delay_alu instid0(VALU_DEP_1) | instskip(NEXT) | instid1(VALU_DEP_1)
	v_min_u32_e32 v134, 32, v13
	v_subrev_nc_u32_e32 v13, 28, v134
	v_sub_nc_u32_e32 v134, 29, v134
	s_delay_alu instid0(VALU_DEP_2) | instskip(NEXT) | instid1(VALU_DEP_1)
	v_lshlrev_b64 v[13:14], v13, v[0:1]
	v_and_b32_e32 v13, 7, v13
; %bb.1570:                             ;   in Loop: Header=BB352_1062 Depth=1
	s_or_b32 exec_lo, exec_lo, s16
	v_lshlrev_b32_e32 v0, 8, v135
	v_lshl_add_u32 v14, v134, 10, 0x2000
	s_delay_alu instid0(VALU_DEP_1) | instskip(NEXT) | instid1(VALU_DEP_1)
	v_and_or_b32 v0, 0x8000, v0, v14
	v_lshl_or_b32 v0, v13, 7, v0
	s_delay_alu instid0(VALU_DEP_1)
	v_cvt_f32_f16_e64 v134, v0
.LBB352_1571:                           ;   in Loop: Header=BB352_1062 Depth=1
	s_or_b32 exec_lo, exec_lo, s15
.LBB352_1572:                           ;   in Loop: Header=BB352_1062 Depth=1
	s_delay_alu instid0(SALU_CYCLE_1)
	s_or_b32 exec_lo, exec_lo, s13
.LBB352_1573:                           ;   in Loop: Header=BB352_1062 Depth=1
	s_delay_alu instid0(SALU_CYCLE_1) | instskip(SKIP_3) | instid1(VALU_DEP_2)
	s_or_b32 exec_lo, exec_lo, s12
	v_lshrrev_b32_e32 v144, 16, v12
	v_mov_b32_e32 v13, 0
	s_mov_b32 s12, exec_lo
	v_dual_mov_b32 v135, 0 :: v_dual_and_b32 v0, 0xff, v144
	s_delay_alu instid0(VALU_DEP_1)
	v_cmpx_ne_u16_e32 0, v0
	s_cbranch_execz .LBB352_1581
; %bb.1574:                             ;   in Loop: Header=BB352_1062 Depth=1
	v_bfrev_b32_e32 v13, 1
	s_mov_b32 s13, exec_lo
	v_cmpx_ne_u16_e32 0x80, v0
	s_cbranch_execz .LBB352_1580
; %bb.1575:                             ;   in Loop: Header=BB352_1062 Depth=1
	v_bfe_u32 v14, v12, 16, 7
	v_mov_b32_e32 v13, 0x7fc02000
	s_mov_b32 s15, exec_lo
	s_delay_alu instid0(VALU_DEP_2)
	v_cmpx_ne_u32_e32 0x7f, v14
	s_cbranch_execz .LBB352_1579
; %bb.1576:                             ;   in Loop: Header=BB352_1062 Depth=1
	v_and_b32_e32 v0, 7, v144
	v_lshrrev_b32_e32 v145, 3, v14
	v_cmp_gt_u32_e64 s0, 8, v14
	s_delay_alu instid0(VALU_DEP_3) | instskip(NEXT) | instid1(VALU_DEP_2)
	v_dual_mov_b32 v14, v1 :: v_dual_mov_b32 v13, v0
	s_and_saveexec_b32 s16, s0
; %bb.1577:                             ;   in Loop: Header=BB352_1062 Depth=1
	v_clz_i32_u32_e32 v13, v0
	s_delay_alu instid0(VALU_DEP_1) | instskip(NEXT) | instid1(VALU_DEP_1)
	v_min_u32_e32 v145, 32, v13
	v_subrev_nc_u32_e32 v13, 28, v145
	v_sub_nc_u32_e32 v145, 29, v145
	s_delay_alu instid0(VALU_DEP_2) | instskip(NEXT) | instid1(VALU_DEP_1)
	v_lshlrev_b64 v[13:14], v13, v[0:1]
	v_and_b32_e32 v13, 7, v13
; %bb.1578:                             ;   in Loop: Header=BB352_1062 Depth=1
	s_or_b32 exec_lo, exec_lo, s16
	v_lshlrev_b32_e32 v0, 8, v144
	v_lshl_add_u32 v14, v145, 10, 0x2000
	s_delay_alu instid0(VALU_DEP_1) | instskip(NEXT) | instid1(VALU_DEP_1)
	v_and_or_b32 v0, 0x8000, v0, v14
	v_lshl_or_b32 v0, v13, 7, v0
	s_delay_alu instid0(VALU_DEP_1)
	v_cvt_f32_f16_e32 v13, v0
.LBB352_1579:                           ;   in Loop: Header=BB352_1062 Depth=1
	s_or_b32 exec_lo, exec_lo, s15
.LBB352_1580:                           ;   in Loop: Header=BB352_1062 Depth=1
	s_delay_alu instid0(SALU_CYCLE_1)
	s_or_b32 exec_lo, exec_lo, s13
.LBB352_1581:                           ;   in Loop: Header=BB352_1062 Depth=1
	s_delay_alu instid0(SALU_CYCLE_1) | instskip(NEXT) | instid1(SALU_CYCLE_1)
	s_or_b32 exec_lo, exec_lo, s12
	s_mov_b32 s12, exec_lo
	v_cmpx_lt_u64_e64 s[8:9], v[11:12]
	s_cbranch_execz .LBB352_1589
; %bb.1582:                             ;   in Loop: Header=BB352_1062 Depth=1
	v_lshrrev_b32_e32 v14, 24, v12
	v_bfrev_b32_e32 v135, 1
	s_mov_b32 s13, exec_lo
	s_delay_alu instid0(VALU_DEP_2)
	v_cmpx_ne_u32_e32 0x80, v14
	s_cbranch_execz .LBB352_1588
; %bb.1583:                             ;   in Loop: Header=BB352_1062 Depth=1
	v_and_b32_e32 v11, 0x7f, v14
	v_mov_b32_e32 v135, 0x7fc02000
	s_mov_b32 s15, exec_lo
	s_delay_alu instid0(VALU_DEP_2)
	v_cmpx_ne_u32_e32 0x7f, v11
	s_cbranch_execz .LBB352_1587
; %bb.1584:                             ;   in Loop: Header=BB352_1062 Depth=1
	v_and_b32_e32 v0, 7, v14
	v_lshrrev_b32_e32 v135, 3, v11
	v_cmp_gt_u32_e64 s0, 8, v11
	s_delay_alu instid0(VALU_DEP_3) | instskip(NEXT) | instid1(VALU_DEP_2)
	v_dual_mov_b32 v12, v1 :: v_dual_mov_b32 v11, v0
	s_and_saveexec_b32 s16, s0
; %bb.1585:                             ;   in Loop: Header=BB352_1062 Depth=1
	v_clz_i32_u32_e32 v11, v0
	s_delay_alu instid0(VALU_DEP_1) | instskip(NEXT) | instid1(VALU_DEP_1)
	v_min_u32_e32 v135, 32, v11
	v_subrev_nc_u32_e32 v11, 28, v135
	v_sub_nc_u32_e32 v135, 29, v135
	s_delay_alu instid0(VALU_DEP_2) | instskip(NEXT) | instid1(VALU_DEP_1)
	v_lshlrev_b64 v[11:12], v11, v[0:1]
	v_and_b32_e32 v11, 7, v11
; %bb.1586:                             ;   in Loop: Header=BB352_1062 Depth=1
	s_or_b32 exec_lo, exec_lo, s16
	v_lshlrev_b32_e32 v0, 8, v14
	v_lshl_add_u32 v12, v135, 10, 0x2000
	s_delay_alu instid0(VALU_DEP_1) | instskip(NEXT) | instid1(VALU_DEP_1)
	v_and_or_b32 v0, 0x8000, v0, v12
	v_lshl_or_b32 v0, v11, 7, v0
	s_delay_alu instid0(VALU_DEP_1)
	v_cvt_f32_f16_e64 v135, v0
.LBB352_1587:                           ;   in Loop: Header=BB352_1062 Depth=1
	s_or_b32 exec_lo, exec_lo, s15
.LBB352_1588:                           ;   in Loop: Header=BB352_1062 Depth=1
	s_delay_alu instid0(SALU_CYCLE_1)
	s_or_b32 exec_lo, exec_lo, s13
.LBB352_1589:                           ;   in Loop: Header=BB352_1062 Depth=1
	s_delay_alu instid0(SALU_CYCLE_1)
	s_or_b32 exec_lo, exec_lo, s12
	s_waitcnt vmcnt(0) lgkmcnt(0)
	v_fma_mixlo_f16 v12, v128, v130, 0
	v_fma_mixlo_f16 v0, v128, v132, 0
	;; [unrolled: 1-line block ×5, first 2 shown]
	v_lshlrev_b32_e32 v14, 16, v12
	v_fma_mixlo_f16 v131, v128, v133, 0
	v_fma_mixlo_f16 v132, v128, v135, 0
	;; [unrolled: 1-line block ×3, first 2 shown]
	v_lshlrev_b32_e32 v0, 16, v0
	v_and_b32_e32 v11, 0xffff, v11
	v_and_b32_e32 v128, 0xffff, v129
	v_lshlrev_b32_e32 v129, 16, v130
	v_and_b32_e32 v130, 0xffff, v131
	v_lshlrev_b32_e32 v131, 16, v132
	v_and_b32_e32 v132, 0xffff, v12
	v_or_b32_e32 v13, v0, v11
	v_or_b32_e32 v14, v14, v128
	;; [unrolled: 1-line block ×3, first 2 shown]
	s_delay_alu instid0(VALU_DEP_4)
	v_or_b32_e32 v11, v131, v132
	s_and_saveexec_b32 s12, vcc_lo
	s_cbranch_execz .LBB352_1591
; %bb.1590:                             ;   in Loop: Header=BB352_1062 Depth=1
	v_cmp_lt_i32_e64 s0, v19, v38
	v_lshrrev_b32_e32 v128, 16, v14
	v_lshrrev_b32_e32 v129, 16, v13
	v_lshrrev_b32_e32 v130, 16, v0
	v_lshrrev_b32_e32 v11, 16, v11
	v_cndmask_b32_e64 v14, 0, v14, s0
	v_cmp_lt_i32_e64 s0, v99, v55
	s_delay_alu instid0(VALU_DEP_1) | instskip(SKIP_1) | instid1(VALU_DEP_2)
	v_cndmask_b32_e64 v128, 0, v128, s0
	v_cmp_lt_i32_e64 s0, v98, v55
	v_perm_b32 v14, v128, v14, 0x5040100
	s_delay_alu instid0(VALU_DEP_2) | instskip(SKIP_1) | instid1(VALU_DEP_1)
	v_cndmask_b32_e64 v129, 0, v129, s0
	v_cmp_lt_i32_e64 s0, v96, v38
	v_cndmask_b32_e64 v13, 0, v13, s0
	v_cmp_lt_i32_e64 s0, v84, v55
	s_delay_alu instid0(VALU_DEP_2) | instskip(NEXT) | instid1(VALU_DEP_2)
	v_perm_b32 v13, v129, v13, 0x5040100
	v_cndmask_b32_e64 v130, 0, v130, s0
	v_cmp_lt_i32_e64 s0, v83, v38
	s_delay_alu instid0(VALU_DEP_1) | instskip(SKIP_1) | instid1(VALU_DEP_2)
	v_cndmask_b32_e64 v0, 0, v0, s0
	v_cmp_lt_i32_e64 s0, v81, v55
	v_perm_b32 v0, v130, v0, 0x5040100
	s_delay_alu instid0(VALU_DEP_2) | instskip(SKIP_1) | instid1(VALU_DEP_1)
	v_cndmask_b32_e64 v11, 0, v11, s0
	v_cmp_lt_i32_e64 s0, v64, v38
	v_cndmask_b32_e64 v12, 0, v12, s0
	s_delay_alu instid0(VALU_DEP_1)
	v_perm_b32 v11, v11, v12, 0x5040100
.LBB352_1591:                           ;   in Loop: Header=BB352_1062 Depth=1
	s_or_b32 exec_lo, exec_lo, s12
	;;#ASMSTART
	v_pk_mul_f16 v12, v97, v14;

	;;#ASMEND
	;;#ASMSTART
	v_pk_mul_f16 v13, v87, v13;

	;;#ASMEND
	;; [unrolled: 4-line block ×4, first 2 shown]
	;;#ASMSTART
	v_pk_add_f16 v12, v12, v13;

	;;#ASMEND
	;;#ASMSTART
	v_pk_add_f16 v0, v12, v0;

	;;#ASMEND
	;; [unrolled: 4-line block ×3, first 2 shown]
	v_dual_mov_b32 v132, 0 :: v_dual_and_b32 v11, 0xffff, v0
	v_lshrrev_b32_e32 v0, 16, v0
	;;#ASMSTART
	v_cvt_f32_f16 v128, v11;
	;;#ASMEND
	;;#ASMSTART
	v_cvt_f32_f16 v129, v0;
	;;#ASMEND
	flat_load_b64 v[11:12], v[9:10] offset:2048
	flat_load_b32 v130, v[26:27]
	s_mov_b32 s12, exec_lo
	s_waitcnt vmcnt(1) lgkmcnt(1)
	v_dual_mov_b32 v131, 0 :: v_dual_and_b32 v0, 0xff, v11
	s_delay_alu instid0(VALU_DEP_1)
	v_cmpx_ne_u16_e32 0, v0
	s_cbranch_execz .LBB352_1599
; %bb.1592:                             ;   in Loop: Header=BB352_1062 Depth=1
	v_bfrev_b32_e32 v131, 1
	s_mov_b32 s13, exec_lo
	v_cmpx_ne_u16_e32 0x80, v0
	s_cbranch_execz .LBB352_1598
; %bb.1593:                             ;   in Loop: Header=BB352_1062 Depth=1
	v_and_b32_e32 v13, 0x7f, v11
	v_mov_b32_e32 v131, 0x7fc02000
	s_mov_b32 s15, exec_lo
	s_delay_alu instid0(VALU_DEP_2)
	v_cmpx_ne_u32_e32 0x7f, v13
	s_cbranch_execz .LBB352_1597
; %bb.1594:                             ;   in Loop: Header=BB352_1062 Depth=1
	v_lshrrev_b32_e32 v0, 3, v13
	v_cmp_gt_u32_e64 s0, 8, v13
	v_dual_mov_b32 v14, v12 :: v_dual_mov_b32 v13, v11
	s_delay_alu instid0(VALU_DEP_2)
	s_and_saveexec_b32 s16, s0
; %bb.1595:                             ;   in Loop: Header=BB352_1062 Depth=1
	v_and_b32_e32 v0, 7, v11
	s_delay_alu instid0(VALU_DEP_1) | instskip(NEXT) | instid1(VALU_DEP_1)
	v_clz_i32_u32_e32 v0, v0
	v_min_u32_e32 v0, 32, v0
	s_delay_alu instid0(VALU_DEP_1) | instskip(SKIP_1) | instid1(VALU_DEP_2)
	v_subrev_nc_u32_e32 v13, 28, v0
	v_sub_nc_u32_e32 v0, 29, v0
	v_lshlrev_b64 v[13:14], v13, v[11:12]
; %bb.1596:                             ;   in Loop: Header=BB352_1062 Depth=1
	s_or_b32 exec_lo, exec_lo, s16
	v_lshlrev_b32_e32 v14, 8, v11
	s_delay_alu instid0(VALU_DEP_3) | instskip(NEXT) | instid1(VALU_DEP_3)
	v_lshl_add_u32 v0, v0, 10, 0x2000
	v_lshlrev_b32_e32 v13, 7, v13
	s_delay_alu instid0(VALU_DEP_2) | instskip(NEXT) | instid1(VALU_DEP_1)
	v_and_or_b32 v0, 0x8000, v14, v0
	v_and_or_b32 v0, 0x380, v13, v0
	s_delay_alu instid0(VALU_DEP_1)
	v_cvt_f32_f16_e64 v131, v0
.LBB352_1597:                           ;   in Loop: Header=BB352_1062 Depth=1
	s_or_b32 exec_lo, exec_lo, s15
.LBB352_1598:                           ;   in Loop: Header=BB352_1062 Depth=1
	s_delay_alu instid0(SALU_CYCLE_1)
	s_or_b32 exec_lo, exec_lo, s13
.LBB352_1599:                           ;   in Loop: Header=BB352_1062 Depth=1
	s_delay_alu instid0(SALU_CYCLE_1) | instskip(SKIP_2) | instid1(VALU_DEP_1)
	s_or_b32 exec_lo, exec_lo, s12
	v_lshrrev_b16 v0, 8, v11
	s_mov_b32 s12, exec_lo
	v_cmpx_ne_u16_e32 0, v0
	s_cbranch_execz .LBB352_1607
; %bb.1600:                             ;   in Loop: Header=BB352_1062 Depth=1
	v_bfrev_b32_e32 v132, 1
	s_mov_b32 s13, exec_lo
	v_cmpx_ne_u16_e32 0x80, v0
	s_cbranch_execz .LBB352_1606
; %bb.1601:                             ;   in Loop: Header=BB352_1062 Depth=1
	v_and_b32_e32 v133, 0xffff, v0
	v_mov_b32_e32 v132, 0x7fc02000
	s_mov_b32 s15, exec_lo
	s_delay_alu instid0(VALU_DEP_2) | instskip(NEXT) | instid1(VALU_DEP_1)
	v_and_b32_e32 v13, 0x7f, v133
	v_cmpx_ne_u32_e32 0x7f, v13
	s_cbranch_execz .LBB352_1605
; %bb.1602:                             ;   in Loop: Header=BB352_1062 Depth=1
	v_and_b32_e32 v0, 7, v133
	v_lshrrev_b32_e32 v132, 3, v13
	v_cmp_gt_u32_e64 s0, 8, v13
	s_delay_alu instid0(VALU_DEP_3) | instskip(NEXT) | instid1(VALU_DEP_2)
	v_dual_mov_b32 v14, v1 :: v_dual_mov_b32 v13, v0
	s_and_saveexec_b32 s16, s0
; %bb.1603:                             ;   in Loop: Header=BB352_1062 Depth=1
	v_clz_i32_u32_e32 v13, v0
	s_delay_alu instid0(VALU_DEP_1) | instskip(NEXT) | instid1(VALU_DEP_1)
	v_min_u32_e32 v132, 32, v13
	v_subrev_nc_u32_e32 v13, 28, v132
	v_sub_nc_u32_e32 v132, 29, v132
	s_delay_alu instid0(VALU_DEP_2) | instskip(NEXT) | instid1(VALU_DEP_1)
	v_lshlrev_b64 v[13:14], v13, v[0:1]
	v_and_b32_e32 v13, 7, v13
; %bb.1604:                             ;   in Loop: Header=BB352_1062 Depth=1
	s_or_b32 exec_lo, exec_lo, s16
	v_lshlrev_b32_e32 v0, 8, v133
	v_lshl_add_u32 v14, v132, 10, 0x2000
	s_delay_alu instid0(VALU_DEP_1) | instskip(NEXT) | instid1(VALU_DEP_1)
	v_and_or_b32 v0, 0x8000, v0, v14
	v_lshl_or_b32 v0, v13, 7, v0
	s_delay_alu instid0(VALU_DEP_1)
	v_cvt_f32_f16_e64 v132, v0
.LBB352_1605:                           ;   in Loop: Header=BB352_1062 Depth=1
	s_or_b32 exec_lo, exec_lo, s15
.LBB352_1606:                           ;   in Loop: Header=BB352_1062 Depth=1
	s_delay_alu instid0(SALU_CYCLE_1)
	s_or_b32 exec_lo, exec_lo, s13
.LBB352_1607:                           ;   in Loop: Header=BB352_1062 Depth=1
	s_delay_alu instid0(SALU_CYCLE_1) | instskip(SKIP_3) | instid1(VALU_DEP_2)
	s_or_b32 exec_lo, exec_lo, s12
	v_lshrrev_b32_e32 v135, 16, v11
	v_mov_b32_e32 v134, 0
	s_mov_b32 s12, exec_lo
	v_dual_mov_b32 v133, 0 :: v_dual_and_b32 v0, 0xff, v135
	s_delay_alu instid0(VALU_DEP_1)
	v_cmpx_ne_u16_e32 0, v0
	s_cbranch_execz .LBB352_1615
; %bb.1608:                             ;   in Loop: Header=BB352_1062 Depth=1
	v_bfrev_b32_e32 v133, 1
	s_mov_b32 s13, exec_lo
	v_cmpx_ne_u16_e32 0x80, v0
	s_cbranch_execz .LBB352_1614
; %bb.1609:                             ;   in Loop: Header=BB352_1062 Depth=1
	v_bfe_u32 v13, v11, 16, 7
	v_mov_b32_e32 v133, 0x7fc02000
	s_mov_b32 s15, exec_lo
	s_delay_alu instid0(VALU_DEP_2)
	v_cmpx_ne_u32_e32 0x7f, v13
	s_cbranch_execz .LBB352_1613
; %bb.1610:                             ;   in Loop: Header=BB352_1062 Depth=1
	v_and_b32_e32 v0, 7, v135
	v_lshrrev_b32_e32 v133, 3, v13
	v_cmp_gt_u32_e64 s0, 8, v13
	s_delay_alu instid0(VALU_DEP_3) | instskip(NEXT) | instid1(VALU_DEP_2)
	v_dual_mov_b32 v14, v1 :: v_dual_mov_b32 v13, v0
	s_and_saveexec_b32 s16, s0
; %bb.1611:                             ;   in Loop: Header=BB352_1062 Depth=1
	v_clz_i32_u32_e32 v13, v0
	s_delay_alu instid0(VALU_DEP_1) | instskip(NEXT) | instid1(VALU_DEP_1)
	v_min_u32_e32 v133, 32, v13
	v_subrev_nc_u32_e32 v13, 28, v133
	v_sub_nc_u32_e32 v133, 29, v133
	s_delay_alu instid0(VALU_DEP_2) | instskip(NEXT) | instid1(VALU_DEP_1)
	v_lshlrev_b64 v[13:14], v13, v[0:1]
	v_and_b32_e32 v13, 7, v13
; %bb.1612:                             ;   in Loop: Header=BB352_1062 Depth=1
	s_or_b32 exec_lo, exec_lo, s16
	v_lshlrev_b32_e32 v0, 8, v135
	v_lshl_add_u32 v14, v133, 10, 0x2000
	s_delay_alu instid0(VALU_DEP_1) | instskip(NEXT) | instid1(VALU_DEP_1)
	v_and_or_b32 v0, 0x8000, v0, v14
	v_lshl_or_b32 v0, v13, 7, v0
	s_delay_alu instid0(VALU_DEP_1)
	v_cvt_f32_f16_e64 v133, v0
.LBB352_1613:                           ;   in Loop: Header=BB352_1062 Depth=1
	s_or_b32 exec_lo, exec_lo, s15
.LBB352_1614:                           ;   in Loop: Header=BB352_1062 Depth=1
	s_delay_alu instid0(SALU_CYCLE_1)
	s_or_b32 exec_lo, exec_lo, s13
.LBB352_1615:                           ;   in Loop: Header=BB352_1062 Depth=1
	s_delay_alu instid0(SALU_CYCLE_1) | instskip(NEXT) | instid1(SALU_CYCLE_1)
	s_or_b32 exec_lo, exec_lo, s12
	s_mov_b32 s12, exec_lo
	v_cmpx_lt_u32_e32 0xffffff, v11
	s_cbranch_execz .LBB352_1623
; %bb.1616:                             ;   in Loop: Header=BB352_1062 Depth=1
	v_lshrrev_b32_e32 v135, 24, v11
	v_bfrev_b32_e32 v134, 1
	s_mov_b32 s13, exec_lo
	s_delay_alu instid0(VALU_DEP_2)
	v_cmpx_ne_u32_e32 0x80, v135
	s_cbranch_execz .LBB352_1622
; %bb.1617:                             ;   in Loop: Header=BB352_1062 Depth=1
	v_and_b32_e32 v13, 0x7f, v135
	v_mov_b32_e32 v134, 0x7fc02000
	s_mov_b32 s15, exec_lo
	s_delay_alu instid0(VALU_DEP_2)
	v_cmpx_ne_u32_e32 0x7f, v13
	s_cbranch_execz .LBB352_1621
; %bb.1618:                             ;   in Loop: Header=BB352_1062 Depth=1
	v_and_b32_e32 v0, 7, v135
	v_lshrrev_b32_e32 v134, 3, v13
	v_cmp_gt_u32_e64 s0, 8, v13
	s_delay_alu instid0(VALU_DEP_3) | instskip(NEXT) | instid1(VALU_DEP_2)
	v_dual_mov_b32 v14, v1 :: v_dual_mov_b32 v13, v0
	s_and_saveexec_b32 s16, s0
; %bb.1619:                             ;   in Loop: Header=BB352_1062 Depth=1
	v_clz_i32_u32_e32 v13, v0
	s_delay_alu instid0(VALU_DEP_1) | instskip(NEXT) | instid1(VALU_DEP_1)
	v_min_u32_e32 v134, 32, v13
	v_subrev_nc_u32_e32 v13, 28, v134
	v_sub_nc_u32_e32 v134, 29, v134
	s_delay_alu instid0(VALU_DEP_2) | instskip(NEXT) | instid1(VALU_DEP_1)
	v_lshlrev_b64 v[13:14], v13, v[0:1]
	v_and_b32_e32 v13, 7, v13
; %bb.1620:                             ;   in Loop: Header=BB352_1062 Depth=1
	s_or_b32 exec_lo, exec_lo, s16
	v_lshlrev_b32_e32 v0, 8, v135
	v_lshl_add_u32 v14, v134, 10, 0x2000
	s_delay_alu instid0(VALU_DEP_1) | instskip(NEXT) | instid1(VALU_DEP_1)
	v_and_or_b32 v0, 0x8000, v0, v14
	v_lshl_or_b32 v0, v13, 7, v0
	s_delay_alu instid0(VALU_DEP_1)
	v_cvt_f32_f16_e64 v134, v0
.LBB352_1621:                           ;   in Loop: Header=BB352_1062 Depth=1
	s_or_b32 exec_lo, exec_lo, s15
.LBB352_1622:                           ;   in Loop: Header=BB352_1062 Depth=1
	s_delay_alu instid0(SALU_CYCLE_1)
	s_or_b32 exec_lo, exec_lo, s13
.LBB352_1623:                           ;   in Loop: Header=BB352_1062 Depth=1
	s_delay_alu instid0(SALU_CYCLE_1) | instskip(SKIP_3) | instid1(VALU_DEP_2)
	s_or_b32 exec_lo, exec_lo, s12
	v_dual_mov_b32 v0, v12 :: v_dual_and_b32 v13, 0xff, v12
	v_dual_mov_b32 v144, 0 :: v_dual_mov_b32 v135, 0
	s_mov_b32 s12, exec_lo
	v_cmpx_ne_u16_e32 0, v13
	s_cbranch_execz .LBB352_1631
; %bb.1624:                             ;   in Loop: Header=BB352_1062 Depth=1
	v_bfrev_b32_e32 v135, 1
	s_mov_b32 s13, exec_lo
	v_cmpx_ne_u16_e32 0x80, v13
	s_cbranch_execz .LBB352_1630
; %bb.1625:                             ;   in Loop: Header=BB352_1062 Depth=1
	v_and_b32_e32 v13, 0x7f, v12
	v_mov_b32_e32 v135, 0x7fc02000
	s_mov_b32 s15, exec_lo
	s_delay_alu instid0(VALU_DEP_2)
	v_cmpx_ne_u32_e32 0x7f, v13
	s_cbranch_execz .LBB352_1629
; %bb.1626:                             ;   in Loop: Header=BB352_1062 Depth=1
	v_lshrrev_b32_e32 v135, 3, v13
	v_cmp_gt_u32_e64 s0, 8, v13
	v_dual_mov_b32 v14, v1 :: v_dual_mov_b32 v13, v0
	s_delay_alu instid0(VALU_DEP_2)
	s_and_saveexec_b32 s16, s0
; %bb.1627:                             ;   in Loop: Header=BB352_1062 Depth=1
	v_and_b32_e32 v13, 7, v12
	s_delay_alu instid0(VALU_DEP_1) | instskip(NEXT) | instid1(VALU_DEP_1)
	v_clz_i32_u32_e32 v13, v13
	v_min_u32_e32 v135, 32, v13
	s_delay_alu instid0(VALU_DEP_1) | instskip(SKIP_1) | instid1(VALU_DEP_2)
	v_subrev_nc_u32_e32 v13, 28, v135
	v_sub_nc_u32_e32 v135, 29, v135
	v_lshlrev_b64 v[13:14], v13, v[0:1]
; %bb.1628:                             ;   in Loop: Header=BB352_1062 Depth=1
	s_or_b32 exec_lo, exec_lo, s16
	v_lshlrev_b32_e32 v14, 8, v12
	s_delay_alu instid0(VALU_DEP_3) | instskip(NEXT) | instid1(VALU_DEP_3)
	v_lshl_add_u32 v135, v135, 10, 0x2000
	v_lshlrev_b32_e32 v13, 7, v13
	s_delay_alu instid0(VALU_DEP_2) | instskip(NEXT) | instid1(VALU_DEP_1)
	v_and_or_b32 v14, 0x8000, v14, v135
	v_and_or_b32 v13, 0x380, v13, v14
	s_delay_alu instid0(VALU_DEP_1)
	v_cvt_f32_f16_e64 v135, v13
.LBB352_1629:                           ;   in Loop: Header=BB352_1062 Depth=1
	s_or_b32 exec_lo, exec_lo, s15
.LBB352_1630:                           ;   in Loop: Header=BB352_1062 Depth=1
	s_delay_alu instid0(SALU_CYCLE_1)
	s_or_b32 exec_lo, exec_lo, s13
.LBB352_1631:                           ;   in Loop: Header=BB352_1062 Depth=1
	s_delay_alu instid0(SALU_CYCLE_1) | instskip(SKIP_2) | instid1(VALU_DEP_1)
	s_or_b32 exec_lo, exec_lo, s12
	v_lshrrev_b16 v0, 8, v0
	s_mov_b32 s12, exec_lo
	v_cmpx_ne_u16_e32 0, v0
	s_cbranch_execz .LBB352_1639
; %bb.1632:                             ;   in Loop: Header=BB352_1062 Depth=1
	v_bfrev_b32_e32 v144, 1
	s_mov_b32 s13, exec_lo
	v_cmpx_ne_u16_e32 0x80, v0
	s_cbranch_execz .LBB352_1638
; %bb.1633:                             ;   in Loop: Header=BB352_1062 Depth=1
	v_and_b32_e32 v145, 0xffff, v0
	v_mov_b32_e32 v144, 0x7fc02000
	s_mov_b32 s15, exec_lo
	s_delay_alu instid0(VALU_DEP_2) | instskip(NEXT) | instid1(VALU_DEP_1)
	v_and_b32_e32 v13, 0x7f, v145
	v_cmpx_ne_u32_e32 0x7f, v13
	s_cbranch_execz .LBB352_1637
; %bb.1634:                             ;   in Loop: Header=BB352_1062 Depth=1
	v_and_b32_e32 v0, 7, v145
	v_lshrrev_b32_e32 v144, 3, v13
	v_cmp_gt_u32_e64 s0, 8, v13
	s_delay_alu instid0(VALU_DEP_3) | instskip(NEXT) | instid1(VALU_DEP_2)
	v_dual_mov_b32 v14, v1 :: v_dual_mov_b32 v13, v0
	s_and_saveexec_b32 s16, s0
; %bb.1635:                             ;   in Loop: Header=BB352_1062 Depth=1
	v_clz_i32_u32_e32 v13, v0
	s_delay_alu instid0(VALU_DEP_1) | instskip(NEXT) | instid1(VALU_DEP_1)
	v_min_u32_e32 v144, 32, v13
	v_subrev_nc_u32_e32 v13, 28, v144
	v_sub_nc_u32_e32 v144, 29, v144
	s_delay_alu instid0(VALU_DEP_2) | instskip(NEXT) | instid1(VALU_DEP_1)
	v_lshlrev_b64 v[13:14], v13, v[0:1]
	v_and_b32_e32 v13, 7, v13
; %bb.1636:                             ;   in Loop: Header=BB352_1062 Depth=1
	s_or_b32 exec_lo, exec_lo, s16
	v_lshlrev_b32_e32 v0, 8, v145
	v_lshl_add_u32 v14, v144, 10, 0x2000
	s_delay_alu instid0(VALU_DEP_1) | instskip(NEXT) | instid1(VALU_DEP_1)
	v_and_or_b32 v0, 0x8000, v0, v14
	v_lshl_or_b32 v0, v13, 7, v0
	s_delay_alu instid0(VALU_DEP_1)
	v_cvt_f32_f16_e64 v144, v0
.LBB352_1637:                           ;   in Loop: Header=BB352_1062 Depth=1
	s_or_b32 exec_lo, exec_lo, s15
.LBB352_1638:                           ;   in Loop: Header=BB352_1062 Depth=1
	s_delay_alu instid0(SALU_CYCLE_1)
	s_or_b32 exec_lo, exec_lo, s13
.LBB352_1639:                           ;   in Loop: Header=BB352_1062 Depth=1
	s_delay_alu instid0(SALU_CYCLE_1) | instskip(SKIP_3) | instid1(VALU_DEP_2)
	s_or_b32 exec_lo, exec_lo, s12
	v_lshrrev_b32_e32 v146, 16, v12
	v_mov_b32_e32 v13, 0
	s_mov_b32 s12, exec_lo
	v_dual_mov_b32 v145, 0 :: v_dual_and_b32 v0, 0xff, v146
	s_delay_alu instid0(VALU_DEP_1)
	v_cmpx_ne_u16_e32 0, v0
	s_cbranch_execz .LBB352_1647
; %bb.1640:                             ;   in Loop: Header=BB352_1062 Depth=1
	v_bfrev_b32_e32 v13, 1
	s_mov_b32 s13, exec_lo
	v_cmpx_ne_u16_e32 0x80, v0
	s_cbranch_execz .LBB352_1646
; %bb.1641:                             ;   in Loop: Header=BB352_1062 Depth=1
	v_bfe_u32 v14, v12, 16, 7
	v_mov_b32_e32 v13, 0x7fc02000
	s_mov_b32 s15, exec_lo
	s_delay_alu instid0(VALU_DEP_2)
	v_cmpx_ne_u32_e32 0x7f, v14
	s_cbranch_execz .LBB352_1645
; %bb.1642:                             ;   in Loop: Header=BB352_1062 Depth=1
	v_and_b32_e32 v0, 7, v146
	v_lshrrev_b32_e32 v147, 3, v14
	v_cmp_gt_u32_e64 s0, 8, v14
	s_delay_alu instid0(VALU_DEP_3) | instskip(NEXT) | instid1(VALU_DEP_2)
	v_dual_mov_b32 v14, v1 :: v_dual_mov_b32 v13, v0
	s_and_saveexec_b32 s16, s0
; %bb.1643:                             ;   in Loop: Header=BB352_1062 Depth=1
	v_clz_i32_u32_e32 v13, v0
	s_delay_alu instid0(VALU_DEP_1) | instskip(NEXT) | instid1(VALU_DEP_1)
	v_min_u32_e32 v147, 32, v13
	v_subrev_nc_u32_e32 v13, 28, v147
	v_sub_nc_u32_e32 v147, 29, v147
	s_delay_alu instid0(VALU_DEP_2) | instskip(NEXT) | instid1(VALU_DEP_1)
	v_lshlrev_b64 v[13:14], v13, v[0:1]
	v_and_b32_e32 v13, 7, v13
; %bb.1644:                             ;   in Loop: Header=BB352_1062 Depth=1
	s_or_b32 exec_lo, exec_lo, s16
	v_lshlrev_b32_e32 v0, 8, v146
	v_lshl_add_u32 v14, v147, 10, 0x2000
	s_delay_alu instid0(VALU_DEP_1) | instskip(NEXT) | instid1(VALU_DEP_1)
	v_and_or_b32 v0, 0x8000, v0, v14
	v_lshl_or_b32 v0, v13, 7, v0
	s_delay_alu instid0(VALU_DEP_1)
	v_cvt_f32_f16_e32 v13, v0
.LBB352_1645:                           ;   in Loop: Header=BB352_1062 Depth=1
	s_or_b32 exec_lo, exec_lo, s15
.LBB352_1646:                           ;   in Loop: Header=BB352_1062 Depth=1
	s_delay_alu instid0(SALU_CYCLE_1)
	s_or_b32 exec_lo, exec_lo, s13
.LBB352_1647:                           ;   in Loop: Header=BB352_1062 Depth=1
	s_delay_alu instid0(SALU_CYCLE_1) | instskip(NEXT) | instid1(SALU_CYCLE_1)
	s_or_b32 exec_lo, exec_lo, s12
	s_mov_b32 s12, exec_lo
	v_cmpx_lt_u64_e64 s[8:9], v[11:12]
	s_cbranch_execz .LBB352_1655
; %bb.1648:                             ;   in Loop: Header=BB352_1062 Depth=1
	v_lshrrev_b32_e32 v14, 24, v12
	v_bfrev_b32_e32 v145, 1
	s_mov_b32 s13, exec_lo
	s_delay_alu instid0(VALU_DEP_2)
	v_cmpx_ne_u32_e32 0x80, v14
	s_cbranch_execz .LBB352_1654
; %bb.1649:                             ;   in Loop: Header=BB352_1062 Depth=1
	v_and_b32_e32 v11, 0x7f, v14
	v_mov_b32_e32 v145, 0x7fc02000
	s_mov_b32 s15, exec_lo
	s_delay_alu instid0(VALU_DEP_2)
	v_cmpx_ne_u32_e32 0x7f, v11
	s_cbranch_execz .LBB352_1653
; %bb.1650:                             ;   in Loop: Header=BB352_1062 Depth=1
	v_and_b32_e32 v0, 7, v14
	v_lshrrev_b32_e32 v145, 3, v11
	v_cmp_gt_u32_e64 s0, 8, v11
	s_delay_alu instid0(VALU_DEP_3) | instskip(NEXT) | instid1(VALU_DEP_2)
	v_dual_mov_b32 v12, v1 :: v_dual_mov_b32 v11, v0
	s_and_saveexec_b32 s16, s0
; %bb.1651:                             ;   in Loop: Header=BB352_1062 Depth=1
	v_clz_i32_u32_e32 v11, v0
	s_delay_alu instid0(VALU_DEP_1) | instskip(NEXT) | instid1(VALU_DEP_1)
	v_min_u32_e32 v145, 32, v11
	v_subrev_nc_u32_e32 v11, 28, v145
	v_sub_nc_u32_e32 v145, 29, v145
	s_delay_alu instid0(VALU_DEP_2) | instskip(NEXT) | instid1(VALU_DEP_1)
	v_lshlrev_b64 v[11:12], v11, v[0:1]
	v_and_b32_e32 v11, 7, v11
; %bb.1652:                             ;   in Loop: Header=BB352_1062 Depth=1
	s_or_b32 exec_lo, exec_lo, s16
	v_lshlrev_b32_e32 v0, 8, v14
	v_lshl_add_u32 v12, v145, 10, 0x2000
	s_delay_alu instid0(VALU_DEP_1) | instskip(NEXT) | instid1(VALU_DEP_1)
	v_and_or_b32 v0, 0x8000, v0, v12
	v_lshl_or_b32 v0, v11, 7, v0
	s_delay_alu instid0(VALU_DEP_1)
	v_cvt_f32_f16_e64 v145, v0
.LBB352_1653:                           ;   in Loop: Header=BB352_1062 Depth=1
	s_or_b32 exec_lo, exec_lo, s15
.LBB352_1654:                           ;   in Loop: Header=BB352_1062 Depth=1
	s_delay_alu instid0(SALU_CYCLE_1)
	s_or_b32 exec_lo, exec_lo, s13
.LBB352_1655:                           ;   in Loop: Header=BB352_1062 Depth=1
	s_delay_alu instid0(SALU_CYCLE_1)
	s_or_b32 exec_lo, exec_lo, s12
	s_waitcnt vmcnt(0) lgkmcnt(0)
	v_fma_mixlo_f16 v12, v130, v132, 0
	v_fma_mixlo_f16 v0, v130, v134, 0
	;; [unrolled: 1-line block ×5, first 2 shown]
	v_lshlrev_b32_e32 v14, 16, v12
	v_fma_mixlo_f16 v133, v130, v135, 0
	v_fma_mixlo_f16 v134, v130, v145, 0
	;; [unrolled: 1-line block ×3, first 2 shown]
	v_lshlrev_b32_e32 v0, 16, v0
	v_and_b32_e32 v11, 0xffff, v11
	v_and_b32_e32 v130, 0xffff, v131
	v_lshlrev_b32_e32 v131, 16, v132
	v_and_b32_e32 v132, 0xffff, v133
	v_lshlrev_b32_e32 v133, 16, v134
	v_and_b32_e32 v134, 0xffff, v12
	v_or_b32_e32 v13, v0, v11
	v_or_b32_e32 v14, v14, v130
	;; [unrolled: 1-line block ×3, first 2 shown]
	s_delay_alu instid0(VALU_DEP_4)
	v_or_b32_e32 v11, v133, v134
	s_and_saveexec_b32 s12, vcc_lo
	s_cbranch_execz .LBB352_1657
; %bb.1656:                             ;   in Loop: Header=BB352_1062 Depth=1
	v_cmp_lt_i32_e64 s0, v19, v38
	v_lshrrev_b32_e32 v130, 16, v14
	v_lshrrev_b32_e32 v131, 16, v13
	v_lshrrev_b32_e32 v132, 16, v0
	v_lshrrev_b32_e32 v11, 16, v11
	v_cndmask_b32_e64 v14, 0, v14, s0
	v_cmp_lt_i32_e64 s0, v99, v55
	s_delay_alu instid0(VALU_DEP_1) | instskip(SKIP_1) | instid1(VALU_DEP_2)
	v_cndmask_b32_e64 v130, 0, v130, s0
	v_cmp_lt_i32_e64 s0, v98, v55
	v_perm_b32 v14, v130, v14, 0x5040100
	s_delay_alu instid0(VALU_DEP_2) | instskip(SKIP_1) | instid1(VALU_DEP_1)
	v_cndmask_b32_e64 v131, 0, v131, s0
	v_cmp_lt_i32_e64 s0, v96, v38
	v_cndmask_b32_e64 v13, 0, v13, s0
	v_cmp_lt_i32_e64 s0, v84, v55
	s_delay_alu instid0(VALU_DEP_2) | instskip(NEXT) | instid1(VALU_DEP_2)
	v_perm_b32 v13, v131, v13, 0x5040100
	v_cndmask_b32_e64 v132, 0, v132, s0
	v_cmp_lt_i32_e64 s0, v83, v38
	s_delay_alu instid0(VALU_DEP_1) | instskip(SKIP_1) | instid1(VALU_DEP_2)
	v_cndmask_b32_e64 v0, 0, v0, s0
	v_cmp_lt_i32_e64 s0, v81, v55
	v_perm_b32 v0, v132, v0, 0x5040100
	s_delay_alu instid0(VALU_DEP_2) | instskip(SKIP_1) | instid1(VALU_DEP_1)
	v_cndmask_b32_e64 v11, 0, v11, s0
	v_cmp_lt_i32_e64 s0, v64, v38
	v_cndmask_b32_e64 v12, 0, v12, s0
	s_delay_alu instid0(VALU_DEP_1)
	v_perm_b32 v11, v11, v12, 0x5040100
.LBB352_1657:                           ;   in Loop: Header=BB352_1062 Depth=1
	s_or_b32 exec_lo, exec_lo, s12
	;;#ASMSTART
	v_pk_mul_f16 v12, v97, v14;

	;;#ASMEND
	;;#ASMSTART
	v_pk_mul_f16 v13, v87, v13;

	;;#ASMEND
	;;#ASMSTART
	v_pk_mul_f16 v0, v86, v0;

	;;#ASMEND
	;;#ASMSTART
	v_pk_mul_f16 v11, v85, v11;

	;;#ASMEND
	;;#ASMSTART
	v_pk_add_f16 v12, v12, v13;

	;;#ASMEND
	;;#ASMSTART
	v_pk_add_f16 v0, v12, v0;

	;;#ASMEND
	;; [unrolled: 4-line block ×3, first 2 shown]
	v_dual_mov_b32 v134, 0 :: v_dual_and_b32 v11, 0xffff, v0
	v_lshrrev_b32_e32 v0, 16, v0
	;;#ASMSTART
	v_cvt_f32_f16 v130, v11;
	;;#ASMEND
	;;#ASMSTART
	v_cvt_f32_f16 v131, v0;
	;;#ASMEND
	flat_load_b64 v[11:12], v[9:10] offset:2304
	flat_load_b32 v132, v[26:27]
	s_mov_b32 s12, exec_lo
	s_waitcnt vmcnt(1) lgkmcnt(1)
	v_dual_mov_b32 v133, 0 :: v_dual_and_b32 v0, 0xff, v11
	s_delay_alu instid0(VALU_DEP_1)
	v_cmpx_ne_u16_e32 0, v0
	s_cbranch_execz .LBB352_1665
; %bb.1658:                             ;   in Loop: Header=BB352_1062 Depth=1
	v_bfrev_b32_e32 v133, 1
	s_mov_b32 s13, exec_lo
	v_cmpx_ne_u16_e32 0x80, v0
	s_cbranch_execz .LBB352_1664
; %bb.1659:                             ;   in Loop: Header=BB352_1062 Depth=1
	v_and_b32_e32 v13, 0x7f, v11
	v_mov_b32_e32 v133, 0x7fc02000
	s_mov_b32 s15, exec_lo
	s_delay_alu instid0(VALU_DEP_2)
	v_cmpx_ne_u32_e32 0x7f, v13
	s_cbranch_execz .LBB352_1663
; %bb.1660:                             ;   in Loop: Header=BB352_1062 Depth=1
	v_lshrrev_b32_e32 v0, 3, v13
	v_cmp_gt_u32_e64 s0, 8, v13
	v_dual_mov_b32 v14, v12 :: v_dual_mov_b32 v13, v11
	s_delay_alu instid0(VALU_DEP_2)
	s_and_saveexec_b32 s16, s0
; %bb.1661:                             ;   in Loop: Header=BB352_1062 Depth=1
	v_and_b32_e32 v0, 7, v11
	s_delay_alu instid0(VALU_DEP_1) | instskip(NEXT) | instid1(VALU_DEP_1)
	v_clz_i32_u32_e32 v0, v0
	v_min_u32_e32 v0, 32, v0
	s_delay_alu instid0(VALU_DEP_1) | instskip(SKIP_1) | instid1(VALU_DEP_2)
	v_subrev_nc_u32_e32 v13, 28, v0
	v_sub_nc_u32_e32 v0, 29, v0
	v_lshlrev_b64 v[13:14], v13, v[11:12]
; %bb.1662:                             ;   in Loop: Header=BB352_1062 Depth=1
	s_or_b32 exec_lo, exec_lo, s16
	v_lshlrev_b32_e32 v14, 8, v11
	s_delay_alu instid0(VALU_DEP_3) | instskip(NEXT) | instid1(VALU_DEP_3)
	v_lshl_add_u32 v0, v0, 10, 0x2000
	v_lshlrev_b32_e32 v13, 7, v13
	s_delay_alu instid0(VALU_DEP_2) | instskip(NEXT) | instid1(VALU_DEP_1)
	v_and_or_b32 v0, 0x8000, v14, v0
	v_and_or_b32 v0, 0x380, v13, v0
	s_delay_alu instid0(VALU_DEP_1)
	v_cvt_f32_f16_e64 v133, v0
.LBB352_1663:                           ;   in Loop: Header=BB352_1062 Depth=1
	s_or_b32 exec_lo, exec_lo, s15
.LBB352_1664:                           ;   in Loop: Header=BB352_1062 Depth=1
	s_delay_alu instid0(SALU_CYCLE_1)
	s_or_b32 exec_lo, exec_lo, s13
.LBB352_1665:                           ;   in Loop: Header=BB352_1062 Depth=1
	s_delay_alu instid0(SALU_CYCLE_1) | instskip(SKIP_2) | instid1(VALU_DEP_1)
	s_or_b32 exec_lo, exec_lo, s12
	v_lshrrev_b16 v0, 8, v11
	s_mov_b32 s12, exec_lo
	v_cmpx_ne_u16_e32 0, v0
	s_cbranch_execz .LBB352_1673
; %bb.1666:                             ;   in Loop: Header=BB352_1062 Depth=1
	v_bfrev_b32_e32 v134, 1
	s_mov_b32 s13, exec_lo
	v_cmpx_ne_u16_e32 0x80, v0
	s_cbranch_execz .LBB352_1672
; %bb.1667:                             ;   in Loop: Header=BB352_1062 Depth=1
	v_and_b32_e32 v135, 0xffff, v0
	v_mov_b32_e32 v134, 0x7fc02000
	s_mov_b32 s15, exec_lo
	s_delay_alu instid0(VALU_DEP_2) | instskip(NEXT) | instid1(VALU_DEP_1)
	v_and_b32_e32 v13, 0x7f, v135
	v_cmpx_ne_u32_e32 0x7f, v13
	s_cbranch_execz .LBB352_1671
; %bb.1668:                             ;   in Loop: Header=BB352_1062 Depth=1
	v_and_b32_e32 v0, 7, v135
	v_lshrrev_b32_e32 v134, 3, v13
	v_cmp_gt_u32_e64 s0, 8, v13
	s_delay_alu instid0(VALU_DEP_3) | instskip(NEXT) | instid1(VALU_DEP_2)
	v_dual_mov_b32 v14, v1 :: v_dual_mov_b32 v13, v0
	s_and_saveexec_b32 s16, s0
; %bb.1669:                             ;   in Loop: Header=BB352_1062 Depth=1
	v_clz_i32_u32_e32 v13, v0
	s_delay_alu instid0(VALU_DEP_1) | instskip(NEXT) | instid1(VALU_DEP_1)
	v_min_u32_e32 v134, 32, v13
	v_subrev_nc_u32_e32 v13, 28, v134
	v_sub_nc_u32_e32 v134, 29, v134
	s_delay_alu instid0(VALU_DEP_2) | instskip(NEXT) | instid1(VALU_DEP_1)
	v_lshlrev_b64 v[13:14], v13, v[0:1]
	v_and_b32_e32 v13, 7, v13
; %bb.1670:                             ;   in Loop: Header=BB352_1062 Depth=1
	s_or_b32 exec_lo, exec_lo, s16
	v_lshlrev_b32_e32 v0, 8, v135
	v_lshl_add_u32 v14, v134, 10, 0x2000
	s_delay_alu instid0(VALU_DEP_1) | instskip(NEXT) | instid1(VALU_DEP_1)
	v_and_or_b32 v0, 0x8000, v0, v14
	v_lshl_or_b32 v0, v13, 7, v0
	s_delay_alu instid0(VALU_DEP_1)
	v_cvt_f32_f16_e64 v134, v0
.LBB352_1671:                           ;   in Loop: Header=BB352_1062 Depth=1
	s_or_b32 exec_lo, exec_lo, s15
.LBB352_1672:                           ;   in Loop: Header=BB352_1062 Depth=1
	s_delay_alu instid0(SALU_CYCLE_1)
	s_or_b32 exec_lo, exec_lo, s13
.LBB352_1673:                           ;   in Loop: Header=BB352_1062 Depth=1
	s_delay_alu instid0(SALU_CYCLE_1) | instskip(SKIP_3) | instid1(VALU_DEP_2)
	s_or_b32 exec_lo, exec_lo, s12
	v_lshrrev_b32_e32 v145, 16, v11
	v_mov_b32_e32 v144, 0
	s_mov_b32 s12, exec_lo
	v_dual_mov_b32 v135, 0 :: v_dual_and_b32 v0, 0xff, v145
	s_delay_alu instid0(VALU_DEP_1)
	v_cmpx_ne_u16_e32 0, v0
	s_cbranch_execz .LBB352_1681
; %bb.1674:                             ;   in Loop: Header=BB352_1062 Depth=1
	v_bfrev_b32_e32 v135, 1
	s_mov_b32 s13, exec_lo
	v_cmpx_ne_u16_e32 0x80, v0
	s_cbranch_execz .LBB352_1680
; %bb.1675:                             ;   in Loop: Header=BB352_1062 Depth=1
	v_bfe_u32 v13, v11, 16, 7
	v_mov_b32_e32 v135, 0x7fc02000
	s_mov_b32 s15, exec_lo
	s_delay_alu instid0(VALU_DEP_2)
	v_cmpx_ne_u32_e32 0x7f, v13
	s_cbranch_execz .LBB352_1679
; %bb.1676:                             ;   in Loop: Header=BB352_1062 Depth=1
	v_and_b32_e32 v0, 7, v145
	v_lshrrev_b32_e32 v135, 3, v13
	v_cmp_gt_u32_e64 s0, 8, v13
	s_delay_alu instid0(VALU_DEP_3) | instskip(NEXT) | instid1(VALU_DEP_2)
	v_dual_mov_b32 v14, v1 :: v_dual_mov_b32 v13, v0
	s_and_saveexec_b32 s16, s0
; %bb.1677:                             ;   in Loop: Header=BB352_1062 Depth=1
	v_clz_i32_u32_e32 v13, v0
	s_delay_alu instid0(VALU_DEP_1) | instskip(NEXT) | instid1(VALU_DEP_1)
	v_min_u32_e32 v135, 32, v13
	v_subrev_nc_u32_e32 v13, 28, v135
	v_sub_nc_u32_e32 v135, 29, v135
	s_delay_alu instid0(VALU_DEP_2) | instskip(NEXT) | instid1(VALU_DEP_1)
	v_lshlrev_b64 v[13:14], v13, v[0:1]
	v_and_b32_e32 v13, 7, v13
; %bb.1678:                             ;   in Loop: Header=BB352_1062 Depth=1
	s_or_b32 exec_lo, exec_lo, s16
	v_lshlrev_b32_e32 v0, 8, v145
	v_lshl_add_u32 v14, v135, 10, 0x2000
	s_delay_alu instid0(VALU_DEP_1) | instskip(NEXT) | instid1(VALU_DEP_1)
	v_and_or_b32 v0, 0x8000, v0, v14
	v_lshl_or_b32 v0, v13, 7, v0
	s_delay_alu instid0(VALU_DEP_1)
	v_cvt_f32_f16_e64 v135, v0
.LBB352_1679:                           ;   in Loop: Header=BB352_1062 Depth=1
	s_or_b32 exec_lo, exec_lo, s15
.LBB352_1680:                           ;   in Loop: Header=BB352_1062 Depth=1
	s_delay_alu instid0(SALU_CYCLE_1)
	s_or_b32 exec_lo, exec_lo, s13
.LBB352_1681:                           ;   in Loop: Header=BB352_1062 Depth=1
	s_delay_alu instid0(SALU_CYCLE_1) | instskip(NEXT) | instid1(SALU_CYCLE_1)
	s_or_b32 exec_lo, exec_lo, s12
	s_mov_b32 s12, exec_lo
	v_cmpx_lt_u32_e32 0xffffff, v11
	s_cbranch_execz .LBB352_1689
; %bb.1682:                             ;   in Loop: Header=BB352_1062 Depth=1
	v_lshrrev_b32_e32 v145, 24, v11
	v_bfrev_b32_e32 v144, 1
	s_mov_b32 s13, exec_lo
	s_delay_alu instid0(VALU_DEP_2)
	v_cmpx_ne_u32_e32 0x80, v145
	s_cbranch_execz .LBB352_1688
; %bb.1683:                             ;   in Loop: Header=BB352_1062 Depth=1
	v_and_b32_e32 v13, 0x7f, v145
	v_mov_b32_e32 v144, 0x7fc02000
	s_mov_b32 s15, exec_lo
	s_delay_alu instid0(VALU_DEP_2)
	v_cmpx_ne_u32_e32 0x7f, v13
	s_cbranch_execz .LBB352_1687
; %bb.1684:                             ;   in Loop: Header=BB352_1062 Depth=1
	v_and_b32_e32 v0, 7, v145
	v_lshrrev_b32_e32 v144, 3, v13
	v_cmp_gt_u32_e64 s0, 8, v13
	s_delay_alu instid0(VALU_DEP_3) | instskip(NEXT) | instid1(VALU_DEP_2)
	v_dual_mov_b32 v14, v1 :: v_dual_mov_b32 v13, v0
	s_and_saveexec_b32 s16, s0
; %bb.1685:                             ;   in Loop: Header=BB352_1062 Depth=1
	v_clz_i32_u32_e32 v13, v0
	s_delay_alu instid0(VALU_DEP_1) | instskip(NEXT) | instid1(VALU_DEP_1)
	v_min_u32_e32 v144, 32, v13
	v_subrev_nc_u32_e32 v13, 28, v144
	v_sub_nc_u32_e32 v144, 29, v144
	s_delay_alu instid0(VALU_DEP_2) | instskip(NEXT) | instid1(VALU_DEP_1)
	v_lshlrev_b64 v[13:14], v13, v[0:1]
	v_and_b32_e32 v13, 7, v13
; %bb.1686:                             ;   in Loop: Header=BB352_1062 Depth=1
	s_or_b32 exec_lo, exec_lo, s16
	v_lshlrev_b32_e32 v0, 8, v145
	v_lshl_add_u32 v14, v144, 10, 0x2000
	s_delay_alu instid0(VALU_DEP_1) | instskip(NEXT) | instid1(VALU_DEP_1)
	v_and_or_b32 v0, 0x8000, v0, v14
	v_lshl_or_b32 v0, v13, 7, v0
	s_delay_alu instid0(VALU_DEP_1)
	v_cvt_f32_f16_e64 v144, v0
.LBB352_1687:                           ;   in Loop: Header=BB352_1062 Depth=1
	s_or_b32 exec_lo, exec_lo, s15
.LBB352_1688:                           ;   in Loop: Header=BB352_1062 Depth=1
	s_delay_alu instid0(SALU_CYCLE_1)
	s_or_b32 exec_lo, exec_lo, s13
.LBB352_1689:                           ;   in Loop: Header=BB352_1062 Depth=1
	s_delay_alu instid0(SALU_CYCLE_1) | instskip(SKIP_3) | instid1(VALU_DEP_2)
	s_or_b32 exec_lo, exec_lo, s12
	v_dual_mov_b32 v0, v12 :: v_dual_and_b32 v13, 0xff, v12
	v_dual_mov_b32 v146, 0 :: v_dual_mov_b32 v145, 0
	s_mov_b32 s12, exec_lo
	v_cmpx_ne_u16_e32 0, v13
	s_cbranch_execz .LBB352_1697
; %bb.1690:                             ;   in Loop: Header=BB352_1062 Depth=1
	v_bfrev_b32_e32 v145, 1
	s_mov_b32 s13, exec_lo
	v_cmpx_ne_u16_e32 0x80, v13
	s_cbranch_execz .LBB352_1696
; %bb.1691:                             ;   in Loop: Header=BB352_1062 Depth=1
	v_and_b32_e32 v13, 0x7f, v12
	v_mov_b32_e32 v145, 0x7fc02000
	s_mov_b32 s15, exec_lo
	s_delay_alu instid0(VALU_DEP_2)
	v_cmpx_ne_u32_e32 0x7f, v13
	s_cbranch_execz .LBB352_1695
; %bb.1692:                             ;   in Loop: Header=BB352_1062 Depth=1
	v_lshrrev_b32_e32 v145, 3, v13
	v_cmp_gt_u32_e64 s0, 8, v13
	v_dual_mov_b32 v14, v1 :: v_dual_mov_b32 v13, v0
	s_delay_alu instid0(VALU_DEP_2)
	s_and_saveexec_b32 s16, s0
; %bb.1693:                             ;   in Loop: Header=BB352_1062 Depth=1
	v_and_b32_e32 v13, 7, v12
	s_delay_alu instid0(VALU_DEP_1) | instskip(NEXT) | instid1(VALU_DEP_1)
	v_clz_i32_u32_e32 v13, v13
	v_min_u32_e32 v145, 32, v13
	s_delay_alu instid0(VALU_DEP_1) | instskip(SKIP_1) | instid1(VALU_DEP_2)
	v_subrev_nc_u32_e32 v13, 28, v145
	v_sub_nc_u32_e32 v145, 29, v145
	v_lshlrev_b64 v[13:14], v13, v[0:1]
; %bb.1694:                             ;   in Loop: Header=BB352_1062 Depth=1
	s_or_b32 exec_lo, exec_lo, s16
	v_lshlrev_b32_e32 v14, 8, v12
	s_delay_alu instid0(VALU_DEP_3) | instskip(NEXT) | instid1(VALU_DEP_3)
	v_lshl_add_u32 v145, v145, 10, 0x2000
	v_lshlrev_b32_e32 v13, 7, v13
	s_delay_alu instid0(VALU_DEP_2) | instskip(NEXT) | instid1(VALU_DEP_1)
	v_and_or_b32 v14, 0x8000, v14, v145
	v_and_or_b32 v13, 0x380, v13, v14
	s_delay_alu instid0(VALU_DEP_1)
	v_cvt_f32_f16_e64 v145, v13
.LBB352_1695:                           ;   in Loop: Header=BB352_1062 Depth=1
	s_or_b32 exec_lo, exec_lo, s15
.LBB352_1696:                           ;   in Loop: Header=BB352_1062 Depth=1
	s_delay_alu instid0(SALU_CYCLE_1)
	s_or_b32 exec_lo, exec_lo, s13
.LBB352_1697:                           ;   in Loop: Header=BB352_1062 Depth=1
	s_delay_alu instid0(SALU_CYCLE_1) | instskip(SKIP_2) | instid1(VALU_DEP_1)
	s_or_b32 exec_lo, exec_lo, s12
	v_lshrrev_b16 v0, 8, v0
	s_mov_b32 s12, exec_lo
	v_cmpx_ne_u16_e32 0, v0
	s_cbranch_execz .LBB352_1705
; %bb.1698:                             ;   in Loop: Header=BB352_1062 Depth=1
	v_bfrev_b32_e32 v146, 1
	s_mov_b32 s13, exec_lo
	v_cmpx_ne_u16_e32 0x80, v0
	s_cbranch_execz .LBB352_1704
; %bb.1699:                             ;   in Loop: Header=BB352_1062 Depth=1
	v_and_b32_e32 v147, 0xffff, v0
	v_mov_b32_e32 v146, 0x7fc02000
	s_mov_b32 s15, exec_lo
	s_delay_alu instid0(VALU_DEP_2) | instskip(NEXT) | instid1(VALU_DEP_1)
	v_and_b32_e32 v13, 0x7f, v147
	v_cmpx_ne_u32_e32 0x7f, v13
	s_cbranch_execz .LBB352_1703
; %bb.1700:                             ;   in Loop: Header=BB352_1062 Depth=1
	v_and_b32_e32 v0, 7, v147
	v_lshrrev_b32_e32 v146, 3, v13
	v_cmp_gt_u32_e64 s0, 8, v13
	s_delay_alu instid0(VALU_DEP_3) | instskip(NEXT) | instid1(VALU_DEP_2)
	v_dual_mov_b32 v14, v1 :: v_dual_mov_b32 v13, v0
	s_and_saveexec_b32 s16, s0
; %bb.1701:                             ;   in Loop: Header=BB352_1062 Depth=1
	v_clz_i32_u32_e32 v13, v0
	s_delay_alu instid0(VALU_DEP_1) | instskip(NEXT) | instid1(VALU_DEP_1)
	v_min_u32_e32 v146, 32, v13
	v_subrev_nc_u32_e32 v13, 28, v146
	v_sub_nc_u32_e32 v146, 29, v146
	s_delay_alu instid0(VALU_DEP_2) | instskip(NEXT) | instid1(VALU_DEP_1)
	v_lshlrev_b64 v[13:14], v13, v[0:1]
	v_and_b32_e32 v13, 7, v13
; %bb.1702:                             ;   in Loop: Header=BB352_1062 Depth=1
	s_or_b32 exec_lo, exec_lo, s16
	v_lshlrev_b32_e32 v0, 8, v147
	v_lshl_add_u32 v14, v146, 10, 0x2000
	s_delay_alu instid0(VALU_DEP_1) | instskip(NEXT) | instid1(VALU_DEP_1)
	v_and_or_b32 v0, 0x8000, v0, v14
	v_lshl_or_b32 v0, v13, 7, v0
	s_delay_alu instid0(VALU_DEP_1)
	v_cvt_f32_f16_e64 v146, v0
.LBB352_1703:                           ;   in Loop: Header=BB352_1062 Depth=1
	s_or_b32 exec_lo, exec_lo, s15
.LBB352_1704:                           ;   in Loop: Header=BB352_1062 Depth=1
	s_delay_alu instid0(SALU_CYCLE_1)
	s_or_b32 exec_lo, exec_lo, s13
.LBB352_1705:                           ;   in Loop: Header=BB352_1062 Depth=1
	s_delay_alu instid0(SALU_CYCLE_1) | instskip(SKIP_3) | instid1(VALU_DEP_2)
	s_or_b32 exec_lo, exec_lo, s12
	v_lshrrev_b32_e32 v148, 16, v12
	v_mov_b32_e32 v13, 0
	s_mov_b32 s12, exec_lo
	v_dual_mov_b32 v147, 0 :: v_dual_and_b32 v0, 0xff, v148
	s_delay_alu instid0(VALU_DEP_1)
	v_cmpx_ne_u16_e32 0, v0
	s_cbranch_execz .LBB352_1713
; %bb.1706:                             ;   in Loop: Header=BB352_1062 Depth=1
	v_bfrev_b32_e32 v13, 1
	s_mov_b32 s13, exec_lo
	v_cmpx_ne_u16_e32 0x80, v0
	s_cbranch_execz .LBB352_1712
; %bb.1707:                             ;   in Loop: Header=BB352_1062 Depth=1
	v_bfe_u32 v14, v12, 16, 7
	v_mov_b32_e32 v13, 0x7fc02000
	s_mov_b32 s15, exec_lo
	s_delay_alu instid0(VALU_DEP_2)
	v_cmpx_ne_u32_e32 0x7f, v14
	s_cbranch_execz .LBB352_1711
; %bb.1708:                             ;   in Loop: Header=BB352_1062 Depth=1
	v_and_b32_e32 v0, 7, v148
	v_lshrrev_b32_e32 v149, 3, v14
	v_cmp_gt_u32_e64 s0, 8, v14
	s_delay_alu instid0(VALU_DEP_3) | instskip(NEXT) | instid1(VALU_DEP_2)
	v_dual_mov_b32 v14, v1 :: v_dual_mov_b32 v13, v0
	s_and_saveexec_b32 s16, s0
; %bb.1709:                             ;   in Loop: Header=BB352_1062 Depth=1
	v_clz_i32_u32_e32 v13, v0
	s_delay_alu instid0(VALU_DEP_1) | instskip(NEXT) | instid1(VALU_DEP_1)
	v_min_u32_e32 v149, 32, v13
	v_subrev_nc_u32_e32 v13, 28, v149
	v_sub_nc_u32_e32 v149, 29, v149
	s_delay_alu instid0(VALU_DEP_2) | instskip(NEXT) | instid1(VALU_DEP_1)
	v_lshlrev_b64 v[13:14], v13, v[0:1]
	v_and_b32_e32 v13, 7, v13
; %bb.1710:                             ;   in Loop: Header=BB352_1062 Depth=1
	s_or_b32 exec_lo, exec_lo, s16
	v_lshlrev_b32_e32 v0, 8, v148
	v_lshl_add_u32 v14, v149, 10, 0x2000
	s_delay_alu instid0(VALU_DEP_1) | instskip(NEXT) | instid1(VALU_DEP_1)
	v_and_or_b32 v0, 0x8000, v0, v14
	v_lshl_or_b32 v0, v13, 7, v0
	s_delay_alu instid0(VALU_DEP_1)
	v_cvt_f32_f16_e32 v13, v0
.LBB352_1711:                           ;   in Loop: Header=BB352_1062 Depth=1
	s_or_b32 exec_lo, exec_lo, s15
.LBB352_1712:                           ;   in Loop: Header=BB352_1062 Depth=1
	s_delay_alu instid0(SALU_CYCLE_1)
	s_or_b32 exec_lo, exec_lo, s13
.LBB352_1713:                           ;   in Loop: Header=BB352_1062 Depth=1
	s_delay_alu instid0(SALU_CYCLE_1) | instskip(NEXT) | instid1(SALU_CYCLE_1)
	s_or_b32 exec_lo, exec_lo, s12
	s_mov_b32 s12, exec_lo
	v_cmpx_lt_u64_e64 s[8:9], v[11:12]
	s_cbranch_execz .LBB352_1721
; %bb.1714:                             ;   in Loop: Header=BB352_1062 Depth=1
	v_lshrrev_b32_e32 v14, 24, v12
	v_bfrev_b32_e32 v147, 1
	s_mov_b32 s13, exec_lo
	s_delay_alu instid0(VALU_DEP_2)
	v_cmpx_ne_u32_e32 0x80, v14
	s_cbranch_execz .LBB352_1720
; %bb.1715:                             ;   in Loop: Header=BB352_1062 Depth=1
	v_and_b32_e32 v11, 0x7f, v14
	v_mov_b32_e32 v147, 0x7fc02000
	s_mov_b32 s15, exec_lo
	s_delay_alu instid0(VALU_DEP_2)
	v_cmpx_ne_u32_e32 0x7f, v11
	s_cbranch_execz .LBB352_1719
; %bb.1716:                             ;   in Loop: Header=BB352_1062 Depth=1
	v_and_b32_e32 v0, 7, v14
	v_lshrrev_b32_e32 v147, 3, v11
	v_cmp_gt_u32_e64 s0, 8, v11
	s_delay_alu instid0(VALU_DEP_3) | instskip(NEXT) | instid1(VALU_DEP_2)
	v_dual_mov_b32 v12, v1 :: v_dual_mov_b32 v11, v0
	s_and_saveexec_b32 s16, s0
; %bb.1717:                             ;   in Loop: Header=BB352_1062 Depth=1
	v_clz_i32_u32_e32 v11, v0
	s_delay_alu instid0(VALU_DEP_1) | instskip(NEXT) | instid1(VALU_DEP_1)
	v_min_u32_e32 v147, 32, v11
	v_subrev_nc_u32_e32 v11, 28, v147
	v_sub_nc_u32_e32 v147, 29, v147
	s_delay_alu instid0(VALU_DEP_2) | instskip(NEXT) | instid1(VALU_DEP_1)
	v_lshlrev_b64 v[11:12], v11, v[0:1]
	v_and_b32_e32 v11, 7, v11
; %bb.1718:                             ;   in Loop: Header=BB352_1062 Depth=1
	s_or_b32 exec_lo, exec_lo, s16
	v_lshlrev_b32_e32 v0, 8, v14
	v_lshl_add_u32 v12, v147, 10, 0x2000
	s_delay_alu instid0(VALU_DEP_1) | instskip(NEXT) | instid1(VALU_DEP_1)
	v_and_or_b32 v0, 0x8000, v0, v12
	v_lshl_or_b32 v0, v11, 7, v0
	s_delay_alu instid0(VALU_DEP_1)
	v_cvt_f32_f16_e64 v147, v0
.LBB352_1719:                           ;   in Loop: Header=BB352_1062 Depth=1
	s_or_b32 exec_lo, exec_lo, s15
.LBB352_1720:                           ;   in Loop: Header=BB352_1062 Depth=1
	s_delay_alu instid0(SALU_CYCLE_1)
	s_or_b32 exec_lo, exec_lo, s13
.LBB352_1721:                           ;   in Loop: Header=BB352_1062 Depth=1
	s_delay_alu instid0(SALU_CYCLE_1)
	s_or_b32 exec_lo, exec_lo, s12
	s_waitcnt vmcnt(0) lgkmcnt(0)
	v_fma_mixlo_f16 v12, v132, v134, 0
	v_fma_mixlo_f16 v0, v132, v144, 0
	;; [unrolled: 1-line block ×5, first 2 shown]
	v_lshlrev_b32_e32 v14, 16, v12
	v_fma_mixlo_f16 v135, v132, v145, 0
	v_fma_mixlo_f16 v144, v132, v147, 0
	;; [unrolled: 1-line block ×3, first 2 shown]
	v_lshlrev_b32_e32 v0, 16, v0
	v_and_b32_e32 v11, 0xffff, v11
	v_and_b32_e32 v132, 0xffff, v133
	v_lshlrev_b32_e32 v133, 16, v134
	v_and_b32_e32 v134, 0xffff, v135
	v_lshlrev_b32_e32 v135, 16, v144
	v_and_b32_e32 v144, 0xffff, v12
	v_or_b32_e32 v13, v0, v11
	v_or_b32_e32 v14, v14, v132
	;; [unrolled: 1-line block ×3, first 2 shown]
	s_delay_alu instid0(VALU_DEP_4)
	v_or_b32_e32 v11, v135, v144
	s_and_saveexec_b32 s12, vcc_lo
	s_cbranch_execz .LBB352_1723
; %bb.1722:                             ;   in Loop: Header=BB352_1062 Depth=1
	v_cmp_lt_i32_e64 s0, v19, v38
	v_lshrrev_b32_e32 v132, 16, v14
	v_lshrrev_b32_e32 v133, 16, v13
	;; [unrolled: 1-line block ×4, first 2 shown]
	v_cndmask_b32_e64 v14, 0, v14, s0
	v_cmp_lt_i32_e64 s0, v99, v55
	s_delay_alu instid0(VALU_DEP_1) | instskip(SKIP_1) | instid1(VALU_DEP_2)
	v_cndmask_b32_e64 v132, 0, v132, s0
	v_cmp_lt_i32_e64 s0, v98, v55
	v_perm_b32 v14, v132, v14, 0x5040100
	s_delay_alu instid0(VALU_DEP_2) | instskip(SKIP_1) | instid1(VALU_DEP_1)
	v_cndmask_b32_e64 v133, 0, v133, s0
	v_cmp_lt_i32_e64 s0, v96, v38
	v_cndmask_b32_e64 v13, 0, v13, s0
	v_cmp_lt_i32_e64 s0, v84, v55
	s_delay_alu instid0(VALU_DEP_2) | instskip(NEXT) | instid1(VALU_DEP_2)
	v_perm_b32 v13, v133, v13, 0x5040100
	v_cndmask_b32_e64 v134, 0, v134, s0
	v_cmp_lt_i32_e64 s0, v83, v38
	s_delay_alu instid0(VALU_DEP_1) | instskip(SKIP_1) | instid1(VALU_DEP_2)
	v_cndmask_b32_e64 v0, 0, v0, s0
	v_cmp_lt_i32_e64 s0, v81, v55
	v_perm_b32 v0, v134, v0, 0x5040100
	s_delay_alu instid0(VALU_DEP_2) | instskip(SKIP_1) | instid1(VALU_DEP_1)
	v_cndmask_b32_e64 v11, 0, v11, s0
	v_cmp_lt_i32_e64 s0, v64, v38
	v_cndmask_b32_e64 v12, 0, v12, s0
	s_delay_alu instid0(VALU_DEP_1)
	v_perm_b32 v11, v11, v12, 0x5040100
.LBB352_1723:                           ;   in Loop: Header=BB352_1062 Depth=1
	s_or_b32 exec_lo, exec_lo, s12
	;;#ASMSTART
	v_pk_mul_f16 v12, v97, v14;

	;;#ASMEND
	;;#ASMSTART
	v_pk_mul_f16 v13, v87, v13;

	;;#ASMEND
	;; [unrolled: 4-line block ×4, first 2 shown]
	;;#ASMSTART
	v_pk_add_f16 v12, v12, v13;

	;;#ASMEND
	;;#ASMSTART
	v_pk_add_f16 v0, v12, v0;

	;;#ASMEND
	;; [unrolled: 4-line block ×3, first 2 shown]
	v_dual_mov_b32 v144, 0 :: v_dual_and_b32 v11, 0xffff, v0
	v_lshrrev_b32_e32 v0, 16, v0
	;;#ASMSTART
	v_cvt_f32_f16 v132, v11;
	;;#ASMEND
	;;#ASMSTART
	v_cvt_f32_f16 v133, v0;
	;;#ASMEND
	flat_load_b64 v[11:12], v[9:10] offset:2560
	flat_load_b32 v134, v[26:27]
	s_mov_b32 s12, exec_lo
	s_waitcnt vmcnt(1) lgkmcnt(1)
	v_dual_mov_b32 v135, 0 :: v_dual_and_b32 v0, 0xff, v11
	s_delay_alu instid0(VALU_DEP_1)
	v_cmpx_ne_u16_e32 0, v0
	s_cbranch_execz .LBB352_1731
; %bb.1724:                             ;   in Loop: Header=BB352_1062 Depth=1
	v_bfrev_b32_e32 v135, 1
	s_mov_b32 s13, exec_lo
	v_cmpx_ne_u16_e32 0x80, v0
	s_cbranch_execz .LBB352_1730
; %bb.1725:                             ;   in Loop: Header=BB352_1062 Depth=1
	v_and_b32_e32 v13, 0x7f, v11
	v_mov_b32_e32 v135, 0x7fc02000
	s_mov_b32 s15, exec_lo
	s_delay_alu instid0(VALU_DEP_2)
	v_cmpx_ne_u32_e32 0x7f, v13
	s_cbranch_execz .LBB352_1729
; %bb.1726:                             ;   in Loop: Header=BB352_1062 Depth=1
	v_lshrrev_b32_e32 v0, 3, v13
	v_cmp_gt_u32_e64 s0, 8, v13
	v_dual_mov_b32 v14, v12 :: v_dual_mov_b32 v13, v11
	s_delay_alu instid0(VALU_DEP_2)
	s_and_saveexec_b32 s16, s0
; %bb.1727:                             ;   in Loop: Header=BB352_1062 Depth=1
	v_and_b32_e32 v0, 7, v11
	s_delay_alu instid0(VALU_DEP_1) | instskip(NEXT) | instid1(VALU_DEP_1)
	v_clz_i32_u32_e32 v0, v0
	v_min_u32_e32 v0, 32, v0
	s_delay_alu instid0(VALU_DEP_1) | instskip(SKIP_1) | instid1(VALU_DEP_2)
	v_subrev_nc_u32_e32 v13, 28, v0
	v_sub_nc_u32_e32 v0, 29, v0
	v_lshlrev_b64 v[13:14], v13, v[11:12]
; %bb.1728:                             ;   in Loop: Header=BB352_1062 Depth=1
	s_or_b32 exec_lo, exec_lo, s16
	v_lshlrev_b32_e32 v14, 8, v11
	s_delay_alu instid0(VALU_DEP_3) | instskip(NEXT) | instid1(VALU_DEP_3)
	v_lshl_add_u32 v0, v0, 10, 0x2000
	v_lshlrev_b32_e32 v13, 7, v13
	s_delay_alu instid0(VALU_DEP_2) | instskip(NEXT) | instid1(VALU_DEP_1)
	v_and_or_b32 v0, 0x8000, v14, v0
	v_and_or_b32 v0, 0x380, v13, v0
	s_delay_alu instid0(VALU_DEP_1)
	v_cvt_f32_f16_e64 v135, v0
.LBB352_1729:                           ;   in Loop: Header=BB352_1062 Depth=1
	s_or_b32 exec_lo, exec_lo, s15
.LBB352_1730:                           ;   in Loop: Header=BB352_1062 Depth=1
	s_delay_alu instid0(SALU_CYCLE_1)
	s_or_b32 exec_lo, exec_lo, s13
.LBB352_1731:                           ;   in Loop: Header=BB352_1062 Depth=1
	s_delay_alu instid0(SALU_CYCLE_1) | instskip(SKIP_2) | instid1(VALU_DEP_1)
	s_or_b32 exec_lo, exec_lo, s12
	v_lshrrev_b16 v0, 8, v11
	s_mov_b32 s12, exec_lo
	v_cmpx_ne_u16_e32 0, v0
	s_cbranch_execz .LBB352_1739
; %bb.1732:                             ;   in Loop: Header=BB352_1062 Depth=1
	v_bfrev_b32_e32 v144, 1
	s_mov_b32 s13, exec_lo
	v_cmpx_ne_u16_e32 0x80, v0
	s_cbranch_execz .LBB352_1738
; %bb.1733:                             ;   in Loop: Header=BB352_1062 Depth=1
	v_and_b32_e32 v145, 0xffff, v0
	v_mov_b32_e32 v144, 0x7fc02000
	s_mov_b32 s15, exec_lo
	s_delay_alu instid0(VALU_DEP_2) | instskip(NEXT) | instid1(VALU_DEP_1)
	v_and_b32_e32 v13, 0x7f, v145
	v_cmpx_ne_u32_e32 0x7f, v13
	s_cbranch_execz .LBB352_1737
; %bb.1734:                             ;   in Loop: Header=BB352_1062 Depth=1
	v_and_b32_e32 v0, 7, v145
	v_lshrrev_b32_e32 v144, 3, v13
	v_cmp_gt_u32_e64 s0, 8, v13
	s_delay_alu instid0(VALU_DEP_3) | instskip(NEXT) | instid1(VALU_DEP_2)
	v_dual_mov_b32 v14, v1 :: v_dual_mov_b32 v13, v0
	s_and_saveexec_b32 s16, s0
; %bb.1735:                             ;   in Loop: Header=BB352_1062 Depth=1
	v_clz_i32_u32_e32 v13, v0
	s_delay_alu instid0(VALU_DEP_1) | instskip(NEXT) | instid1(VALU_DEP_1)
	v_min_u32_e32 v144, 32, v13
	v_subrev_nc_u32_e32 v13, 28, v144
	v_sub_nc_u32_e32 v144, 29, v144
	s_delay_alu instid0(VALU_DEP_2) | instskip(NEXT) | instid1(VALU_DEP_1)
	v_lshlrev_b64 v[13:14], v13, v[0:1]
	v_and_b32_e32 v13, 7, v13
; %bb.1736:                             ;   in Loop: Header=BB352_1062 Depth=1
	s_or_b32 exec_lo, exec_lo, s16
	v_lshlrev_b32_e32 v0, 8, v145
	v_lshl_add_u32 v14, v144, 10, 0x2000
	s_delay_alu instid0(VALU_DEP_1) | instskip(NEXT) | instid1(VALU_DEP_1)
	v_and_or_b32 v0, 0x8000, v0, v14
	v_lshl_or_b32 v0, v13, 7, v0
	s_delay_alu instid0(VALU_DEP_1)
	v_cvt_f32_f16_e64 v144, v0
.LBB352_1737:                           ;   in Loop: Header=BB352_1062 Depth=1
	s_or_b32 exec_lo, exec_lo, s15
.LBB352_1738:                           ;   in Loop: Header=BB352_1062 Depth=1
	s_delay_alu instid0(SALU_CYCLE_1)
	s_or_b32 exec_lo, exec_lo, s13
.LBB352_1739:                           ;   in Loop: Header=BB352_1062 Depth=1
	s_delay_alu instid0(SALU_CYCLE_1) | instskip(SKIP_3) | instid1(VALU_DEP_2)
	s_or_b32 exec_lo, exec_lo, s12
	v_lshrrev_b32_e32 v147, 16, v11
	v_mov_b32_e32 v146, 0
	s_mov_b32 s12, exec_lo
	v_dual_mov_b32 v145, 0 :: v_dual_and_b32 v0, 0xff, v147
	s_delay_alu instid0(VALU_DEP_1)
	v_cmpx_ne_u16_e32 0, v0
	s_cbranch_execz .LBB352_1747
; %bb.1740:                             ;   in Loop: Header=BB352_1062 Depth=1
	v_bfrev_b32_e32 v145, 1
	s_mov_b32 s13, exec_lo
	v_cmpx_ne_u16_e32 0x80, v0
	s_cbranch_execz .LBB352_1746
; %bb.1741:                             ;   in Loop: Header=BB352_1062 Depth=1
	v_bfe_u32 v13, v11, 16, 7
	v_mov_b32_e32 v145, 0x7fc02000
	s_mov_b32 s15, exec_lo
	s_delay_alu instid0(VALU_DEP_2)
	v_cmpx_ne_u32_e32 0x7f, v13
	s_cbranch_execz .LBB352_1745
; %bb.1742:                             ;   in Loop: Header=BB352_1062 Depth=1
	v_and_b32_e32 v0, 7, v147
	v_lshrrev_b32_e32 v145, 3, v13
	v_cmp_gt_u32_e64 s0, 8, v13
	s_delay_alu instid0(VALU_DEP_3) | instskip(NEXT) | instid1(VALU_DEP_2)
	v_dual_mov_b32 v14, v1 :: v_dual_mov_b32 v13, v0
	s_and_saveexec_b32 s16, s0
; %bb.1743:                             ;   in Loop: Header=BB352_1062 Depth=1
	v_clz_i32_u32_e32 v13, v0
	s_delay_alu instid0(VALU_DEP_1) | instskip(NEXT) | instid1(VALU_DEP_1)
	v_min_u32_e32 v145, 32, v13
	v_subrev_nc_u32_e32 v13, 28, v145
	v_sub_nc_u32_e32 v145, 29, v145
	s_delay_alu instid0(VALU_DEP_2) | instskip(NEXT) | instid1(VALU_DEP_1)
	v_lshlrev_b64 v[13:14], v13, v[0:1]
	v_and_b32_e32 v13, 7, v13
; %bb.1744:                             ;   in Loop: Header=BB352_1062 Depth=1
	s_or_b32 exec_lo, exec_lo, s16
	v_lshlrev_b32_e32 v0, 8, v147
	v_lshl_add_u32 v14, v145, 10, 0x2000
	s_delay_alu instid0(VALU_DEP_1) | instskip(NEXT) | instid1(VALU_DEP_1)
	v_and_or_b32 v0, 0x8000, v0, v14
	v_lshl_or_b32 v0, v13, 7, v0
	s_delay_alu instid0(VALU_DEP_1)
	v_cvt_f32_f16_e64 v145, v0
.LBB352_1745:                           ;   in Loop: Header=BB352_1062 Depth=1
	s_or_b32 exec_lo, exec_lo, s15
.LBB352_1746:                           ;   in Loop: Header=BB352_1062 Depth=1
	s_delay_alu instid0(SALU_CYCLE_1)
	s_or_b32 exec_lo, exec_lo, s13
.LBB352_1747:                           ;   in Loop: Header=BB352_1062 Depth=1
	s_delay_alu instid0(SALU_CYCLE_1) | instskip(NEXT) | instid1(SALU_CYCLE_1)
	s_or_b32 exec_lo, exec_lo, s12
	s_mov_b32 s12, exec_lo
	v_cmpx_lt_u32_e32 0xffffff, v11
	s_cbranch_execz .LBB352_1755
; %bb.1748:                             ;   in Loop: Header=BB352_1062 Depth=1
	v_lshrrev_b32_e32 v147, 24, v11
	v_bfrev_b32_e32 v146, 1
	s_mov_b32 s13, exec_lo
	s_delay_alu instid0(VALU_DEP_2)
	v_cmpx_ne_u32_e32 0x80, v147
	s_cbranch_execz .LBB352_1754
; %bb.1749:                             ;   in Loop: Header=BB352_1062 Depth=1
	v_and_b32_e32 v13, 0x7f, v147
	v_mov_b32_e32 v146, 0x7fc02000
	s_mov_b32 s15, exec_lo
	s_delay_alu instid0(VALU_DEP_2)
	v_cmpx_ne_u32_e32 0x7f, v13
	s_cbranch_execz .LBB352_1753
; %bb.1750:                             ;   in Loop: Header=BB352_1062 Depth=1
	v_and_b32_e32 v0, 7, v147
	v_lshrrev_b32_e32 v146, 3, v13
	v_cmp_gt_u32_e64 s0, 8, v13
	s_delay_alu instid0(VALU_DEP_3) | instskip(NEXT) | instid1(VALU_DEP_2)
	v_dual_mov_b32 v14, v1 :: v_dual_mov_b32 v13, v0
	s_and_saveexec_b32 s16, s0
; %bb.1751:                             ;   in Loop: Header=BB352_1062 Depth=1
	v_clz_i32_u32_e32 v13, v0
	s_delay_alu instid0(VALU_DEP_1) | instskip(NEXT) | instid1(VALU_DEP_1)
	v_min_u32_e32 v146, 32, v13
	v_subrev_nc_u32_e32 v13, 28, v146
	v_sub_nc_u32_e32 v146, 29, v146
	s_delay_alu instid0(VALU_DEP_2) | instskip(NEXT) | instid1(VALU_DEP_1)
	v_lshlrev_b64 v[13:14], v13, v[0:1]
	v_and_b32_e32 v13, 7, v13
; %bb.1752:                             ;   in Loop: Header=BB352_1062 Depth=1
	s_or_b32 exec_lo, exec_lo, s16
	v_lshlrev_b32_e32 v0, 8, v147
	v_lshl_add_u32 v14, v146, 10, 0x2000
	s_delay_alu instid0(VALU_DEP_1) | instskip(NEXT) | instid1(VALU_DEP_1)
	v_and_or_b32 v0, 0x8000, v0, v14
	v_lshl_or_b32 v0, v13, 7, v0
	s_delay_alu instid0(VALU_DEP_1)
	v_cvt_f32_f16_e64 v146, v0
.LBB352_1753:                           ;   in Loop: Header=BB352_1062 Depth=1
	s_or_b32 exec_lo, exec_lo, s15
.LBB352_1754:                           ;   in Loop: Header=BB352_1062 Depth=1
	s_delay_alu instid0(SALU_CYCLE_1)
	s_or_b32 exec_lo, exec_lo, s13
.LBB352_1755:                           ;   in Loop: Header=BB352_1062 Depth=1
	s_delay_alu instid0(SALU_CYCLE_1) | instskip(SKIP_3) | instid1(VALU_DEP_2)
	s_or_b32 exec_lo, exec_lo, s12
	v_dual_mov_b32 v0, v12 :: v_dual_and_b32 v13, 0xff, v12
	v_dual_mov_b32 v148, 0 :: v_dual_mov_b32 v147, 0
	s_mov_b32 s12, exec_lo
	v_cmpx_ne_u16_e32 0, v13
	s_cbranch_execz .LBB352_1763
; %bb.1756:                             ;   in Loop: Header=BB352_1062 Depth=1
	v_bfrev_b32_e32 v147, 1
	s_mov_b32 s13, exec_lo
	v_cmpx_ne_u16_e32 0x80, v13
	s_cbranch_execz .LBB352_1762
; %bb.1757:                             ;   in Loop: Header=BB352_1062 Depth=1
	v_and_b32_e32 v13, 0x7f, v12
	v_mov_b32_e32 v147, 0x7fc02000
	s_mov_b32 s15, exec_lo
	s_delay_alu instid0(VALU_DEP_2)
	v_cmpx_ne_u32_e32 0x7f, v13
	s_cbranch_execz .LBB352_1761
; %bb.1758:                             ;   in Loop: Header=BB352_1062 Depth=1
	v_lshrrev_b32_e32 v147, 3, v13
	v_cmp_gt_u32_e64 s0, 8, v13
	v_dual_mov_b32 v14, v1 :: v_dual_mov_b32 v13, v0
	s_delay_alu instid0(VALU_DEP_2)
	s_and_saveexec_b32 s16, s0
; %bb.1759:                             ;   in Loop: Header=BB352_1062 Depth=1
	v_and_b32_e32 v13, 7, v12
	s_delay_alu instid0(VALU_DEP_1) | instskip(NEXT) | instid1(VALU_DEP_1)
	v_clz_i32_u32_e32 v13, v13
	v_min_u32_e32 v147, 32, v13
	s_delay_alu instid0(VALU_DEP_1) | instskip(SKIP_1) | instid1(VALU_DEP_2)
	v_subrev_nc_u32_e32 v13, 28, v147
	v_sub_nc_u32_e32 v147, 29, v147
	v_lshlrev_b64 v[13:14], v13, v[0:1]
; %bb.1760:                             ;   in Loop: Header=BB352_1062 Depth=1
	s_or_b32 exec_lo, exec_lo, s16
	v_lshlrev_b32_e32 v14, 8, v12
	s_delay_alu instid0(VALU_DEP_3) | instskip(NEXT) | instid1(VALU_DEP_3)
	v_lshl_add_u32 v147, v147, 10, 0x2000
	v_lshlrev_b32_e32 v13, 7, v13
	s_delay_alu instid0(VALU_DEP_2) | instskip(NEXT) | instid1(VALU_DEP_1)
	v_and_or_b32 v14, 0x8000, v14, v147
	v_and_or_b32 v13, 0x380, v13, v14
	s_delay_alu instid0(VALU_DEP_1)
	v_cvt_f32_f16_e64 v147, v13
.LBB352_1761:                           ;   in Loop: Header=BB352_1062 Depth=1
	s_or_b32 exec_lo, exec_lo, s15
.LBB352_1762:                           ;   in Loop: Header=BB352_1062 Depth=1
	s_delay_alu instid0(SALU_CYCLE_1)
	s_or_b32 exec_lo, exec_lo, s13
.LBB352_1763:                           ;   in Loop: Header=BB352_1062 Depth=1
	s_delay_alu instid0(SALU_CYCLE_1) | instskip(SKIP_2) | instid1(VALU_DEP_1)
	s_or_b32 exec_lo, exec_lo, s12
	v_lshrrev_b16 v0, 8, v0
	s_mov_b32 s12, exec_lo
	v_cmpx_ne_u16_e32 0, v0
	s_cbranch_execz .LBB352_1771
; %bb.1764:                             ;   in Loop: Header=BB352_1062 Depth=1
	v_bfrev_b32_e32 v148, 1
	s_mov_b32 s13, exec_lo
	v_cmpx_ne_u16_e32 0x80, v0
	s_cbranch_execz .LBB352_1770
; %bb.1765:                             ;   in Loop: Header=BB352_1062 Depth=1
	v_and_b32_e32 v149, 0xffff, v0
	v_mov_b32_e32 v148, 0x7fc02000
	s_mov_b32 s15, exec_lo
	s_delay_alu instid0(VALU_DEP_2) | instskip(NEXT) | instid1(VALU_DEP_1)
	v_and_b32_e32 v13, 0x7f, v149
	v_cmpx_ne_u32_e32 0x7f, v13
	s_cbranch_execz .LBB352_1769
; %bb.1766:                             ;   in Loop: Header=BB352_1062 Depth=1
	v_and_b32_e32 v0, 7, v149
	v_lshrrev_b32_e32 v148, 3, v13
	v_cmp_gt_u32_e64 s0, 8, v13
	s_delay_alu instid0(VALU_DEP_3) | instskip(NEXT) | instid1(VALU_DEP_2)
	v_dual_mov_b32 v14, v1 :: v_dual_mov_b32 v13, v0
	s_and_saveexec_b32 s16, s0
; %bb.1767:                             ;   in Loop: Header=BB352_1062 Depth=1
	v_clz_i32_u32_e32 v13, v0
	s_delay_alu instid0(VALU_DEP_1) | instskip(NEXT) | instid1(VALU_DEP_1)
	v_min_u32_e32 v148, 32, v13
	v_subrev_nc_u32_e32 v13, 28, v148
	v_sub_nc_u32_e32 v148, 29, v148
	s_delay_alu instid0(VALU_DEP_2) | instskip(NEXT) | instid1(VALU_DEP_1)
	v_lshlrev_b64 v[13:14], v13, v[0:1]
	v_and_b32_e32 v13, 7, v13
; %bb.1768:                             ;   in Loop: Header=BB352_1062 Depth=1
	s_or_b32 exec_lo, exec_lo, s16
	v_lshlrev_b32_e32 v0, 8, v149
	v_lshl_add_u32 v14, v148, 10, 0x2000
	s_delay_alu instid0(VALU_DEP_1) | instskip(NEXT) | instid1(VALU_DEP_1)
	v_and_or_b32 v0, 0x8000, v0, v14
	v_lshl_or_b32 v0, v13, 7, v0
	s_delay_alu instid0(VALU_DEP_1)
	v_cvt_f32_f16_e64 v148, v0
.LBB352_1769:                           ;   in Loop: Header=BB352_1062 Depth=1
	s_or_b32 exec_lo, exec_lo, s15
.LBB352_1770:                           ;   in Loop: Header=BB352_1062 Depth=1
	s_delay_alu instid0(SALU_CYCLE_1)
	s_or_b32 exec_lo, exec_lo, s13
.LBB352_1771:                           ;   in Loop: Header=BB352_1062 Depth=1
	s_delay_alu instid0(SALU_CYCLE_1) | instskip(SKIP_3) | instid1(VALU_DEP_2)
	s_or_b32 exec_lo, exec_lo, s12
	v_lshrrev_b32_e32 v150, 16, v12
	v_mov_b32_e32 v13, 0
	s_mov_b32 s12, exec_lo
	v_dual_mov_b32 v149, 0 :: v_dual_and_b32 v0, 0xff, v150
	s_delay_alu instid0(VALU_DEP_1)
	v_cmpx_ne_u16_e32 0, v0
	s_cbranch_execz .LBB352_1779
; %bb.1772:                             ;   in Loop: Header=BB352_1062 Depth=1
	v_bfrev_b32_e32 v13, 1
	s_mov_b32 s13, exec_lo
	v_cmpx_ne_u16_e32 0x80, v0
	s_cbranch_execz .LBB352_1778
; %bb.1773:                             ;   in Loop: Header=BB352_1062 Depth=1
	v_bfe_u32 v14, v12, 16, 7
	v_mov_b32_e32 v13, 0x7fc02000
	s_mov_b32 s15, exec_lo
	s_delay_alu instid0(VALU_DEP_2)
	v_cmpx_ne_u32_e32 0x7f, v14
	s_cbranch_execz .LBB352_1777
; %bb.1774:                             ;   in Loop: Header=BB352_1062 Depth=1
	v_and_b32_e32 v0, 7, v150
	v_lshrrev_b32_e32 v151, 3, v14
	v_cmp_gt_u32_e64 s0, 8, v14
	s_delay_alu instid0(VALU_DEP_3) | instskip(NEXT) | instid1(VALU_DEP_2)
	v_dual_mov_b32 v14, v1 :: v_dual_mov_b32 v13, v0
	s_and_saveexec_b32 s16, s0
; %bb.1775:                             ;   in Loop: Header=BB352_1062 Depth=1
	v_clz_i32_u32_e32 v13, v0
	s_delay_alu instid0(VALU_DEP_1) | instskip(NEXT) | instid1(VALU_DEP_1)
	v_min_u32_e32 v151, 32, v13
	v_subrev_nc_u32_e32 v13, 28, v151
	v_sub_nc_u32_e32 v151, 29, v151
	s_delay_alu instid0(VALU_DEP_2) | instskip(NEXT) | instid1(VALU_DEP_1)
	v_lshlrev_b64 v[13:14], v13, v[0:1]
	v_and_b32_e32 v13, 7, v13
; %bb.1776:                             ;   in Loop: Header=BB352_1062 Depth=1
	s_or_b32 exec_lo, exec_lo, s16
	v_lshlrev_b32_e32 v0, 8, v150
	v_lshl_add_u32 v14, v151, 10, 0x2000
	s_delay_alu instid0(VALU_DEP_1) | instskip(NEXT) | instid1(VALU_DEP_1)
	v_and_or_b32 v0, 0x8000, v0, v14
	v_lshl_or_b32 v0, v13, 7, v0
	s_delay_alu instid0(VALU_DEP_1)
	v_cvt_f32_f16_e32 v13, v0
.LBB352_1777:                           ;   in Loop: Header=BB352_1062 Depth=1
	s_or_b32 exec_lo, exec_lo, s15
.LBB352_1778:                           ;   in Loop: Header=BB352_1062 Depth=1
	s_delay_alu instid0(SALU_CYCLE_1)
	s_or_b32 exec_lo, exec_lo, s13
.LBB352_1779:                           ;   in Loop: Header=BB352_1062 Depth=1
	s_delay_alu instid0(SALU_CYCLE_1) | instskip(NEXT) | instid1(SALU_CYCLE_1)
	s_or_b32 exec_lo, exec_lo, s12
	s_mov_b32 s12, exec_lo
	v_cmpx_lt_u64_e64 s[8:9], v[11:12]
	s_cbranch_execz .LBB352_1787
; %bb.1780:                             ;   in Loop: Header=BB352_1062 Depth=1
	v_lshrrev_b32_e32 v14, 24, v12
	v_bfrev_b32_e32 v149, 1
	s_mov_b32 s13, exec_lo
	s_delay_alu instid0(VALU_DEP_2)
	v_cmpx_ne_u32_e32 0x80, v14
	s_cbranch_execz .LBB352_1786
; %bb.1781:                             ;   in Loop: Header=BB352_1062 Depth=1
	v_and_b32_e32 v11, 0x7f, v14
	v_mov_b32_e32 v149, 0x7fc02000
	s_mov_b32 s15, exec_lo
	s_delay_alu instid0(VALU_DEP_2)
	v_cmpx_ne_u32_e32 0x7f, v11
	s_cbranch_execz .LBB352_1785
; %bb.1782:                             ;   in Loop: Header=BB352_1062 Depth=1
	v_and_b32_e32 v0, 7, v14
	v_lshrrev_b32_e32 v149, 3, v11
	v_cmp_gt_u32_e64 s0, 8, v11
	s_delay_alu instid0(VALU_DEP_3) | instskip(NEXT) | instid1(VALU_DEP_2)
	v_dual_mov_b32 v12, v1 :: v_dual_mov_b32 v11, v0
	s_and_saveexec_b32 s16, s0
; %bb.1783:                             ;   in Loop: Header=BB352_1062 Depth=1
	v_clz_i32_u32_e32 v11, v0
	s_delay_alu instid0(VALU_DEP_1) | instskip(NEXT) | instid1(VALU_DEP_1)
	v_min_u32_e32 v149, 32, v11
	v_subrev_nc_u32_e32 v11, 28, v149
	v_sub_nc_u32_e32 v149, 29, v149
	s_delay_alu instid0(VALU_DEP_2) | instskip(NEXT) | instid1(VALU_DEP_1)
	v_lshlrev_b64 v[11:12], v11, v[0:1]
	v_and_b32_e32 v11, 7, v11
; %bb.1784:                             ;   in Loop: Header=BB352_1062 Depth=1
	s_or_b32 exec_lo, exec_lo, s16
	v_lshlrev_b32_e32 v0, 8, v14
	v_lshl_add_u32 v12, v149, 10, 0x2000
	s_delay_alu instid0(VALU_DEP_1) | instskip(NEXT) | instid1(VALU_DEP_1)
	v_and_or_b32 v0, 0x8000, v0, v12
	v_lshl_or_b32 v0, v11, 7, v0
	s_delay_alu instid0(VALU_DEP_1)
	v_cvt_f32_f16_e64 v149, v0
.LBB352_1785:                           ;   in Loop: Header=BB352_1062 Depth=1
	s_or_b32 exec_lo, exec_lo, s15
.LBB352_1786:                           ;   in Loop: Header=BB352_1062 Depth=1
	s_delay_alu instid0(SALU_CYCLE_1)
	s_or_b32 exec_lo, exec_lo, s13
.LBB352_1787:                           ;   in Loop: Header=BB352_1062 Depth=1
	s_delay_alu instid0(SALU_CYCLE_1)
	s_or_b32 exec_lo, exec_lo, s12
	s_waitcnt vmcnt(0) lgkmcnt(0)
	v_fma_mixlo_f16 v12, v134, v144, 0
	v_fma_mixlo_f16 v0, v134, v146, 0
	;; [unrolled: 1-line block ×5, first 2 shown]
	v_lshlrev_b32_e32 v14, 16, v12
	v_fma_mixlo_f16 v145, v134, v147, 0
	v_fma_mixlo_f16 v146, v134, v149, 0
	;; [unrolled: 1-line block ×3, first 2 shown]
	v_lshlrev_b32_e32 v0, 16, v0
	v_and_b32_e32 v11, 0xffff, v11
	v_and_b32_e32 v134, 0xffff, v135
	v_lshlrev_b32_e32 v135, 16, v144
	v_and_b32_e32 v144, 0xffff, v145
	v_lshlrev_b32_e32 v145, 16, v146
	v_and_b32_e32 v146, 0xffff, v12
	v_or_b32_e32 v13, v0, v11
	v_or_b32_e32 v14, v14, v134
	v_or_b32_e32 v0, v135, v144
	s_delay_alu instid0(VALU_DEP_4)
	v_or_b32_e32 v11, v145, v146
	s_and_saveexec_b32 s12, vcc_lo
	s_cbranch_execz .LBB352_1789
; %bb.1788:                             ;   in Loop: Header=BB352_1062 Depth=1
	v_cmp_lt_i32_e64 s0, v19, v38
	v_lshrrev_b32_e32 v134, 16, v14
	v_lshrrev_b32_e32 v135, 16, v13
	;; [unrolled: 1-line block ×4, first 2 shown]
	v_cndmask_b32_e64 v14, 0, v14, s0
	v_cmp_lt_i32_e64 s0, v99, v55
	s_delay_alu instid0(VALU_DEP_1) | instskip(SKIP_1) | instid1(VALU_DEP_2)
	v_cndmask_b32_e64 v134, 0, v134, s0
	v_cmp_lt_i32_e64 s0, v98, v55
	v_perm_b32 v14, v134, v14, 0x5040100
	s_delay_alu instid0(VALU_DEP_2) | instskip(SKIP_1) | instid1(VALU_DEP_1)
	v_cndmask_b32_e64 v135, 0, v135, s0
	v_cmp_lt_i32_e64 s0, v96, v38
	v_cndmask_b32_e64 v13, 0, v13, s0
	v_cmp_lt_i32_e64 s0, v84, v55
	s_delay_alu instid0(VALU_DEP_2) | instskip(NEXT) | instid1(VALU_DEP_2)
	v_perm_b32 v13, v135, v13, 0x5040100
	v_cndmask_b32_e64 v144, 0, v144, s0
	v_cmp_lt_i32_e64 s0, v83, v38
	s_delay_alu instid0(VALU_DEP_1) | instskip(SKIP_1) | instid1(VALU_DEP_2)
	v_cndmask_b32_e64 v0, 0, v0, s0
	v_cmp_lt_i32_e64 s0, v81, v55
	v_perm_b32 v0, v144, v0, 0x5040100
	s_delay_alu instid0(VALU_DEP_2) | instskip(SKIP_1) | instid1(VALU_DEP_1)
	v_cndmask_b32_e64 v11, 0, v11, s0
	v_cmp_lt_i32_e64 s0, v64, v38
	v_cndmask_b32_e64 v12, 0, v12, s0
	s_delay_alu instid0(VALU_DEP_1)
	v_perm_b32 v11, v11, v12, 0x5040100
.LBB352_1789:                           ;   in Loop: Header=BB352_1062 Depth=1
	s_or_b32 exec_lo, exec_lo, s12
	;;#ASMSTART
	v_pk_mul_f16 v12, v97, v14;

	;;#ASMEND
	;;#ASMSTART
	v_pk_mul_f16 v13, v87, v13;

	;;#ASMEND
	;; [unrolled: 4-line block ×4, first 2 shown]
	;;#ASMSTART
	v_pk_add_f16 v12, v12, v13;

	;;#ASMEND
	;;#ASMSTART
	v_pk_add_f16 v0, v12, v0;

	;;#ASMEND
	;; [unrolled: 4-line block ×3, first 2 shown]
	v_dual_mov_b32 v146, 0 :: v_dual_and_b32 v11, 0xffff, v0
	v_lshrrev_b32_e32 v0, 16, v0
	;;#ASMSTART
	v_cvt_f32_f16 v134, v11;
	;;#ASMEND
	;;#ASMSTART
	v_cvt_f32_f16 v135, v0;
	;;#ASMEND
	flat_load_b64 v[11:12], v[9:10] offset:2816
	flat_load_b32 v144, v[26:27]
	s_mov_b32 s12, exec_lo
	s_waitcnt vmcnt(1) lgkmcnt(1)
	v_dual_mov_b32 v145, 0 :: v_dual_and_b32 v0, 0xff, v11
	s_delay_alu instid0(VALU_DEP_1)
	v_cmpx_ne_u16_e32 0, v0
	s_cbranch_execz .LBB352_1797
; %bb.1790:                             ;   in Loop: Header=BB352_1062 Depth=1
	v_bfrev_b32_e32 v145, 1
	s_mov_b32 s13, exec_lo
	v_cmpx_ne_u16_e32 0x80, v0
	s_cbranch_execz .LBB352_1796
; %bb.1791:                             ;   in Loop: Header=BB352_1062 Depth=1
	v_and_b32_e32 v13, 0x7f, v11
	v_mov_b32_e32 v145, 0x7fc02000
	s_mov_b32 s15, exec_lo
	s_delay_alu instid0(VALU_DEP_2)
	v_cmpx_ne_u32_e32 0x7f, v13
	s_cbranch_execz .LBB352_1795
; %bb.1792:                             ;   in Loop: Header=BB352_1062 Depth=1
	v_lshrrev_b32_e32 v0, 3, v13
	v_cmp_gt_u32_e64 s0, 8, v13
	v_dual_mov_b32 v14, v12 :: v_dual_mov_b32 v13, v11
	s_delay_alu instid0(VALU_DEP_2)
	s_and_saveexec_b32 s16, s0
; %bb.1793:                             ;   in Loop: Header=BB352_1062 Depth=1
	v_and_b32_e32 v0, 7, v11
	s_delay_alu instid0(VALU_DEP_1) | instskip(NEXT) | instid1(VALU_DEP_1)
	v_clz_i32_u32_e32 v0, v0
	v_min_u32_e32 v0, 32, v0
	s_delay_alu instid0(VALU_DEP_1) | instskip(SKIP_1) | instid1(VALU_DEP_2)
	v_subrev_nc_u32_e32 v13, 28, v0
	v_sub_nc_u32_e32 v0, 29, v0
	v_lshlrev_b64 v[13:14], v13, v[11:12]
; %bb.1794:                             ;   in Loop: Header=BB352_1062 Depth=1
	s_or_b32 exec_lo, exec_lo, s16
	v_lshlrev_b32_e32 v14, 8, v11
	s_delay_alu instid0(VALU_DEP_3) | instskip(NEXT) | instid1(VALU_DEP_3)
	v_lshl_add_u32 v0, v0, 10, 0x2000
	v_lshlrev_b32_e32 v13, 7, v13
	s_delay_alu instid0(VALU_DEP_2) | instskip(NEXT) | instid1(VALU_DEP_1)
	v_and_or_b32 v0, 0x8000, v14, v0
	v_and_or_b32 v0, 0x380, v13, v0
	s_delay_alu instid0(VALU_DEP_1)
	v_cvt_f32_f16_e64 v145, v0
.LBB352_1795:                           ;   in Loop: Header=BB352_1062 Depth=1
	s_or_b32 exec_lo, exec_lo, s15
.LBB352_1796:                           ;   in Loop: Header=BB352_1062 Depth=1
	s_delay_alu instid0(SALU_CYCLE_1)
	s_or_b32 exec_lo, exec_lo, s13
.LBB352_1797:                           ;   in Loop: Header=BB352_1062 Depth=1
	s_delay_alu instid0(SALU_CYCLE_1) | instskip(SKIP_2) | instid1(VALU_DEP_1)
	s_or_b32 exec_lo, exec_lo, s12
	v_lshrrev_b16 v0, 8, v11
	s_mov_b32 s12, exec_lo
	v_cmpx_ne_u16_e32 0, v0
	s_cbranch_execz .LBB352_1805
; %bb.1798:                             ;   in Loop: Header=BB352_1062 Depth=1
	v_bfrev_b32_e32 v146, 1
	s_mov_b32 s13, exec_lo
	v_cmpx_ne_u16_e32 0x80, v0
	s_cbranch_execz .LBB352_1804
; %bb.1799:                             ;   in Loop: Header=BB352_1062 Depth=1
	v_and_b32_e32 v147, 0xffff, v0
	v_mov_b32_e32 v146, 0x7fc02000
	s_mov_b32 s15, exec_lo
	s_delay_alu instid0(VALU_DEP_2) | instskip(NEXT) | instid1(VALU_DEP_1)
	v_and_b32_e32 v13, 0x7f, v147
	v_cmpx_ne_u32_e32 0x7f, v13
	s_cbranch_execz .LBB352_1803
; %bb.1800:                             ;   in Loop: Header=BB352_1062 Depth=1
	v_and_b32_e32 v0, 7, v147
	v_lshrrev_b32_e32 v146, 3, v13
	v_cmp_gt_u32_e64 s0, 8, v13
	s_delay_alu instid0(VALU_DEP_3) | instskip(NEXT) | instid1(VALU_DEP_2)
	v_dual_mov_b32 v14, v1 :: v_dual_mov_b32 v13, v0
	s_and_saveexec_b32 s16, s0
; %bb.1801:                             ;   in Loop: Header=BB352_1062 Depth=1
	v_clz_i32_u32_e32 v13, v0
	s_delay_alu instid0(VALU_DEP_1) | instskip(NEXT) | instid1(VALU_DEP_1)
	v_min_u32_e32 v146, 32, v13
	v_subrev_nc_u32_e32 v13, 28, v146
	v_sub_nc_u32_e32 v146, 29, v146
	s_delay_alu instid0(VALU_DEP_2) | instskip(NEXT) | instid1(VALU_DEP_1)
	v_lshlrev_b64 v[13:14], v13, v[0:1]
	v_and_b32_e32 v13, 7, v13
; %bb.1802:                             ;   in Loop: Header=BB352_1062 Depth=1
	s_or_b32 exec_lo, exec_lo, s16
	v_lshlrev_b32_e32 v0, 8, v147
	v_lshl_add_u32 v14, v146, 10, 0x2000
	s_delay_alu instid0(VALU_DEP_1) | instskip(NEXT) | instid1(VALU_DEP_1)
	v_and_or_b32 v0, 0x8000, v0, v14
	v_lshl_or_b32 v0, v13, 7, v0
	s_delay_alu instid0(VALU_DEP_1)
	v_cvt_f32_f16_e64 v146, v0
.LBB352_1803:                           ;   in Loop: Header=BB352_1062 Depth=1
	s_or_b32 exec_lo, exec_lo, s15
.LBB352_1804:                           ;   in Loop: Header=BB352_1062 Depth=1
	s_delay_alu instid0(SALU_CYCLE_1)
	s_or_b32 exec_lo, exec_lo, s13
.LBB352_1805:                           ;   in Loop: Header=BB352_1062 Depth=1
	s_delay_alu instid0(SALU_CYCLE_1) | instskip(SKIP_3) | instid1(VALU_DEP_2)
	s_or_b32 exec_lo, exec_lo, s12
	v_lshrrev_b32_e32 v149, 16, v11
	v_mov_b32_e32 v148, 0
	s_mov_b32 s12, exec_lo
	v_dual_mov_b32 v147, 0 :: v_dual_and_b32 v0, 0xff, v149
	s_delay_alu instid0(VALU_DEP_1)
	v_cmpx_ne_u16_e32 0, v0
	s_cbranch_execz .LBB352_1813
; %bb.1806:                             ;   in Loop: Header=BB352_1062 Depth=1
	v_bfrev_b32_e32 v147, 1
	s_mov_b32 s13, exec_lo
	v_cmpx_ne_u16_e32 0x80, v0
	s_cbranch_execz .LBB352_1812
; %bb.1807:                             ;   in Loop: Header=BB352_1062 Depth=1
	v_bfe_u32 v13, v11, 16, 7
	v_mov_b32_e32 v147, 0x7fc02000
	s_mov_b32 s15, exec_lo
	s_delay_alu instid0(VALU_DEP_2)
	v_cmpx_ne_u32_e32 0x7f, v13
	s_cbranch_execz .LBB352_1811
; %bb.1808:                             ;   in Loop: Header=BB352_1062 Depth=1
	v_and_b32_e32 v0, 7, v149
	v_lshrrev_b32_e32 v147, 3, v13
	v_cmp_gt_u32_e64 s0, 8, v13
	s_delay_alu instid0(VALU_DEP_3) | instskip(NEXT) | instid1(VALU_DEP_2)
	v_dual_mov_b32 v14, v1 :: v_dual_mov_b32 v13, v0
	s_and_saveexec_b32 s16, s0
; %bb.1809:                             ;   in Loop: Header=BB352_1062 Depth=1
	v_clz_i32_u32_e32 v13, v0
	s_delay_alu instid0(VALU_DEP_1) | instskip(NEXT) | instid1(VALU_DEP_1)
	v_min_u32_e32 v147, 32, v13
	v_subrev_nc_u32_e32 v13, 28, v147
	v_sub_nc_u32_e32 v147, 29, v147
	s_delay_alu instid0(VALU_DEP_2) | instskip(NEXT) | instid1(VALU_DEP_1)
	v_lshlrev_b64 v[13:14], v13, v[0:1]
	v_and_b32_e32 v13, 7, v13
; %bb.1810:                             ;   in Loop: Header=BB352_1062 Depth=1
	s_or_b32 exec_lo, exec_lo, s16
	v_lshlrev_b32_e32 v0, 8, v149
	v_lshl_add_u32 v14, v147, 10, 0x2000
	s_delay_alu instid0(VALU_DEP_1) | instskip(NEXT) | instid1(VALU_DEP_1)
	v_and_or_b32 v0, 0x8000, v0, v14
	v_lshl_or_b32 v0, v13, 7, v0
	s_delay_alu instid0(VALU_DEP_1)
	v_cvt_f32_f16_e64 v147, v0
.LBB352_1811:                           ;   in Loop: Header=BB352_1062 Depth=1
	s_or_b32 exec_lo, exec_lo, s15
.LBB352_1812:                           ;   in Loop: Header=BB352_1062 Depth=1
	s_delay_alu instid0(SALU_CYCLE_1)
	s_or_b32 exec_lo, exec_lo, s13
.LBB352_1813:                           ;   in Loop: Header=BB352_1062 Depth=1
	s_delay_alu instid0(SALU_CYCLE_1) | instskip(NEXT) | instid1(SALU_CYCLE_1)
	s_or_b32 exec_lo, exec_lo, s12
	s_mov_b32 s12, exec_lo
	v_cmpx_lt_u32_e32 0xffffff, v11
	s_cbranch_execz .LBB352_1821
; %bb.1814:                             ;   in Loop: Header=BB352_1062 Depth=1
	v_lshrrev_b32_e32 v149, 24, v11
	v_bfrev_b32_e32 v148, 1
	s_mov_b32 s13, exec_lo
	s_delay_alu instid0(VALU_DEP_2)
	v_cmpx_ne_u32_e32 0x80, v149
	s_cbranch_execz .LBB352_1820
; %bb.1815:                             ;   in Loop: Header=BB352_1062 Depth=1
	v_and_b32_e32 v13, 0x7f, v149
	v_mov_b32_e32 v148, 0x7fc02000
	s_mov_b32 s15, exec_lo
	s_delay_alu instid0(VALU_DEP_2)
	v_cmpx_ne_u32_e32 0x7f, v13
	s_cbranch_execz .LBB352_1819
; %bb.1816:                             ;   in Loop: Header=BB352_1062 Depth=1
	v_and_b32_e32 v0, 7, v149
	v_lshrrev_b32_e32 v148, 3, v13
	v_cmp_gt_u32_e64 s0, 8, v13
	s_delay_alu instid0(VALU_DEP_3) | instskip(NEXT) | instid1(VALU_DEP_2)
	v_dual_mov_b32 v14, v1 :: v_dual_mov_b32 v13, v0
	s_and_saveexec_b32 s16, s0
; %bb.1817:                             ;   in Loop: Header=BB352_1062 Depth=1
	v_clz_i32_u32_e32 v13, v0
	s_delay_alu instid0(VALU_DEP_1) | instskip(NEXT) | instid1(VALU_DEP_1)
	v_min_u32_e32 v148, 32, v13
	v_subrev_nc_u32_e32 v13, 28, v148
	v_sub_nc_u32_e32 v148, 29, v148
	s_delay_alu instid0(VALU_DEP_2) | instskip(NEXT) | instid1(VALU_DEP_1)
	v_lshlrev_b64 v[13:14], v13, v[0:1]
	v_and_b32_e32 v13, 7, v13
; %bb.1818:                             ;   in Loop: Header=BB352_1062 Depth=1
	s_or_b32 exec_lo, exec_lo, s16
	v_lshlrev_b32_e32 v0, 8, v149
	v_lshl_add_u32 v14, v148, 10, 0x2000
	s_delay_alu instid0(VALU_DEP_1) | instskip(NEXT) | instid1(VALU_DEP_1)
	v_and_or_b32 v0, 0x8000, v0, v14
	v_lshl_or_b32 v0, v13, 7, v0
	s_delay_alu instid0(VALU_DEP_1)
	v_cvt_f32_f16_e64 v148, v0
.LBB352_1819:                           ;   in Loop: Header=BB352_1062 Depth=1
	s_or_b32 exec_lo, exec_lo, s15
.LBB352_1820:                           ;   in Loop: Header=BB352_1062 Depth=1
	s_delay_alu instid0(SALU_CYCLE_1)
	s_or_b32 exec_lo, exec_lo, s13
.LBB352_1821:                           ;   in Loop: Header=BB352_1062 Depth=1
	s_delay_alu instid0(SALU_CYCLE_1) | instskip(SKIP_3) | instid1(VALU_DEP_2)
	s_or_b32 exec_lo, exec_lo, s12
	v_dual_mov_b32 v0, v12 :: v_dual_and_b32 v13, 0xff, v12
	v_dual_mov_b32 v150, 0 :: v_dual_mov_b32 v149, 0
	s_mov_b32 s12, exec_lo
	v_cmpx_ne_u16_e32 0, v13
	s_cbranch_execz .LBB352_1829
; %bb.1822:                             ;   in Loop: Header=BB352_1062 Depth=1
	v_bfrev_b32_e32 v149, 1
	s_mov_b32 s13, exec_lo
	v_cmpx_ne_u16_e32 0x80, v13
	s_cbranch_execz .LBB352_1828
; %bb.1823:                             ;   in Loop: Header=BB352_1062 Depth=1
	v_and_b32_e32 v13, 0x7f, v12
	v_mov_b32_e32 v149, 0x7fc02000
	s_mov_b32 s15, exec_lo
	s_delay_alu instid0(VALU_DEP_2)
	v_cmpx_ne_u32_e32 0x7f, v13
	s_cbranch_execz .LBB352_1827
; %bb.1824:                             ;   in Loop: Header=BB352_1062 Depth=1
	v_lshrrev_b32_e32 v149, 3, v13
	v_cmp_gt_u32_e64 s0, 8, v13
	v_dual_mov_b32 v14, v1 :: v_dual_mov_b32 v13, v0
	s_delay_alu instid0(VALU_DEP_2)
	s_and_saveexec_b32 s16, s0
; %bb.1825:                             ;   in Loop: Header=BB352_1062 Depth=1
	v_and_b32_e32 v13, 7, v12
	s_delay_alu instid0(VALU_DEP_1) | instskip(NEXT) | instid1(VALU_DEP_1)
	v_clz_i32_u32_e32 v13, v13
	v_min_u32_e32 v149, 32, v13
	s_delay_alu instid0(VALU_DEP_1) | instskip(SKIP_1) | instid1(VALU_DEP_2)
	v_subrev_nc_u32_e32 v13, 28, v149
	v_sub_nc_u32_e32 v149, 29, v149
	v_lshlrev_b64 v[13:14], v13, v[0:1]
; %bb.1826:                             ;   in Loop: Header=BB352_1062 Depth=1
	s_or_b32 exec_lo, exec_lo, s16
	v_lshlrev_b32_e32 v14, 8, v12
	s_delay_alu instid0(VALU_DEP_3) | instskip(NEXT) | instid1(VALU_DEP_3)
	v_lshl_add_u32 v149, v149, 10, 0x2000
	v_lshlrev_b32_e32 v13, 7, v13
	s_delay_alu instid0(VALU_DEP_2) | instskip(NEXT) | instid1(VALU_DEP_1)
	v_and_or_b32 v14, 0x8000, v14, v149
	v_and_or_b32 v13, 0x380, v13, v14
	s_delay_alu instid0(VALU_DEP_1)
	v_cvt_f32_f16_e64 v149, v13
.LBB352_1827:                           ;   in Loop: Header=BB352_1062 Depth=1
	s_or_b32 exec_lo, exec_lo, s15
.LBB352_1828:                           ;   in Loop: Header=BB352_1062 Depth=1
	s_delay_alu instid0(SALU_CYCLE_1)
	s_or_b32 exec_lo, exec_lo, s13
.LBB352_1829:                           ;   in Loop: Header=BB352_1062 Depth=1
	s_delay_alu instid0(SALU_CYCLE_1) | instskip(SKIP_2) | instid1(VALU_DEP_1)
	s_or_b32 exec_lo, exec_lo, s12
	v_lshrrev_b16 v0, 8, v0
	s_mov_b32 s12, exec_lo
	v_cmpx_ne_u16_e32 0, v0
	s_cbranch_execz .LBB352_1837
; %bb.1830:                             ;   in Loop: Header=BB352_1062 Depth=1
	v_bfrev_b32_e32 v150, 1
	s_mov_b32 s13, exec_lo
	v_cmpx_ne_u16_e32 0x80, v0
	s_cbranch_execz .LBB352_1836
; %bb.1831:                             ;   in Loop: Header=BB352_1062 Depth=1
	v_and_b32_e32 v151, 0xffff, v0
	v_mov_b32_e32 v150, 0x7fc02000
	s_mov_b32 s15, exec_lo
	s_delay_alu instid0(VALU_DEP_2) | instskip(NEXT) | instid1(VALU_DEP_1)
	v_and_b32_e32 v13, 0x7f, v151
	v_cmpx_ne_u32_e32 0x7f, v13
	s_cbranch_execz .LBB352_1835
; %bb.1832:                             ;   in Loop: Header=BB352_1062 Depth=1
	v_and_b32_e32 v0, 7, v151
	v_lshrrev_b32_e32 v150, 3, v13
	v_cmp_gt_u32_e64 s0, 8, v13
	s_delay_alu instid0(VALU_DEP_3) | instskip(NEXT) | instid1(VALU_DEP_2)
	v_dual_mov_b32 v14, v1 :: v_dual_mov_b32 v13, v0
	s_and_saveexec_b32 s16, s0
; %bb.1833:                             ;   in Loop: Header=BB352_1062 Depth=1
	v_clz_i32_u32_e32 v13, v0
	s_delay_alu instid0(VALU_DEP_1) | instskip(NEXT) | instid1(VALU_DEP_1)
	v_min_u32_e32 v150, 32, v13
	v_subrev_nc_u32_e32 v13, 28, v150
	v_sub_nc_u32_e32 v150, 29, v150
	s_delay_alu instid0(VALU_DEP_2) | instskip(NEXT) | instid1(VALU_DEP_1)
	v_lshlrev_b64 v[13:14], v13, v[0:1]
	v_and_b32_e32 v13, 7, v13
; %bb.1834:                             ;   in Loop: Header=BB352_1062 Depth=1
	s_or_b32 exec_lo, exec_lo, s16
	v_lshlrev_b32_e32 v0, 8, v151
	v_lshl_add_u32 v14, v150, 10, 0x2000
	s_delay_alu instid0(VALU_DEP_1) | instskip(NEXT) | instid1(VALU_DEP_1)
	v_and_or_b32 v0, 0x8000, v0, v14
	v_lshl_or_b32 v0, v13, 7, v0
	s_delay_alu instid0(VALU_DEP_1)
	v_cvt_f32_f16_e64 v150, v0
.LBB352_1835:                           ;   in Loop: Header=BB352_1062 Depth=1
	s_or_b32 exec_lo, exec_lo, s15
.LBB352_1836:                           ;   in Loop: Header=BB352_1062 Depth=1
	s_delay_alu instid0(SALU_CYCLE_1)
	s_or_b32 exec_lo, exec_lo, s13
.LBB352_1837:                           ;   in Loop: Header=BB352_1062 Depth=1
	s_delay_alu instid0(SALU_CYCLE_1) | instskip(SKIP_3) | instid1(VALU_DEP_2)
	s_or_b32 exec_lo, exec_lo, s12
	v_lshrrev_b32_e32 v160, 16, v12
	v_mov_b32_e32 v13, 0
	s_mov_b32 s12, exec_lo
	v_dual_mov_b32 v151, 0 :: v_dual_and_b32 v0, 0xff, v160
	s_delay_alu instid0(VALU_DEP_1)
	v_cmpx_ne_u16_e32 0, v0
	s_cbranch_execz .LBB352_1845
; %bb.1838:                             ;   in Loop: Header=BB352_1062 Depth=1
	v_bfrev_b32_e32 v13, 1
	s_mov_b32 s13, exec_lo
	v_cmpx_ne_u16_e32 0x80, v0
	s_cbranch_execz .LBB352_1844
; %bb.1839:                             ;   in Loop: Header=BB352_1062 Depth=1
	v_bfe_u32 v14, v12, 16, 7
	v_mov_b32_e32 v13, 0x7fc02000
	s_mov_b32 s15, exec_lo
	s_delay_alu instid0(VALU_DEP_2)
	v_cmpx_ne_u32_e32 0x7f, v14
	s_cbranch_execz .LBB352_1843
; %bb.1840:                             ;   in Loop: Header=BB352_1062 Depth=1
	v_and_b32_e32 v0, 7, v160
	v_lshrrev_b32_e32 v161, 3, v14
	v_cmp_gt_u32_e64 s0, 8, v14
	s_delay_alu instid0(VALU_DEP_3) | instskip(NEXT) | instid1(VALU_DEP_2)
	v_dual_mov_b32 v14, v1 :: v_dual_mov_b32 v13, v0
	s_and_saveexec_b32 s16, s0
; %bb.1841:                             ;   in Loop: Header=BB352_1062 Depth=1
	v_clz_i32_u32_e32 v13, v0
	s_delay_alu instid0(VALU_DEP_1) | instskip(NEXT) | instid1(VALU_DEP_1)
	v_min_u32_e32 v161, 32, v13
	v_subrev_nc_u32_e32 v13, 28, v161
	v_sub_nc_u32_e32 v161, 29, v161
	s_delay_alu instid0(VALU_DEP_2) | instskip(NEXT) | instid1(VALU_DEP_1)
	v_lshlrev_b64 v[13:14], v13, v[0:1]
	v_and_b32_e32 v13, 7, v13
; %bb.1842:                             ;   in Loop: Header=BB352_1062 Depth=1
	s_or_b32 exec_lo, exec_lo, s16
	v_lshlrev_b32_e32 v0, 8, v160
	v_lshl_add_u32 v14, v161, 10, 0x2000
	s_delay_alu instid0(VALU_DEP_1) | instskip(NEXT) | instid1(VALU_DEP_1)
	v_and_or_b32 v0, 0x8000, v0, v14
	v_lshl_or_b32 v0, v13, 7, v0
	s_delay_alu instid0(VALU_DEP_1)
	v_cvt_f32_f16_e32 v13, v0
.LBB352_1843:                           ;   in Loop: Header=BB352_1062 Depth=1
	s_or_b32 exec_lo, exec_lo, s15
.LBB352_1844:                           ;   in Loop: Header=BB352_1062 Depth=1
	s_delay_alu instid0(SALU_CYCLE_1)
	s_or_b32 exec_lo, exec_lo, s13
.LBB352_1845:                           ;   in Loop: Header=BB352_1062 Depth=1
	s_delay_alu instid0(SALU_CYCLE_1) | instskip(NEXT) | instid1(SALU_CYCLE_1)
	s_or_b32 exec_lo, exec_lo, s12
	s_mov_b32 s12, exec_lo
	v_cmpx_lt_u64_e64 s[8:9], v[11:12]
	s_cbranch_execz .LBB352_1853
; %bb.1846:                             ;   in Loop: Header=BB352_1062 Depth=1
	v_lshrrev_b32_e32 v14, 24, v12
	v_bfrev_b32_e32 v151, 1
	s_mov_b32 s13, exec_lo
	s_delay_alu instid0(VALU_DEP_2)
	v_cmpx_ne_u32_e32 0x80, v14
	s_cbranch_execz .LBB352_1852
; %bb.1847:                             ;   in Loop: Header=BB352_1062 Depth=1
	v_and_b32_e32 v11, 0x7f, v14
	v_mov_b32_e32 v151, 0x7fc02000
	s_mov_b32 s15, exec_lo
	s_delay_alu instid0(VALU_DEP_2)
	v_cmpx_ne_u32_e32 0x7f, v11
	s_cbranch_execz .LBB352_1851
; %bb.1848:                             ;   in Loop: Header=BB352_1062 Depth=1
	v_and_b32_e32 v0, 7, v14
	v_lshrrev_b32_e32 v151, 3, v11
	v_cmp_gt_u32_e64 s0, 8, v11
	s_delay_alu instid0(VALU_DEP_3) | instskip(NEXT) | instid1(VALU_DEP_2)
	v_dual_mov_b32 v12, v1 :: v_dual_mov_b32 v11, v0
	s_and_saveexec_b32 s16, s0
; %bb.1849:                             ;   in Loop: Header=BB352_1062 Depth=1
	v_clz_i32_u32_e32 v11, v0
	s_delay_alu instid0(VALU_DEP_1) | instskip(NEXT) | instid1(VALU_DEP_1)
	v_min_u32_e32 v151, 32, v11
	v_subrev_nc_u32_e32 v11, 28, v151
	v_sub_nc_u32_e32 v151, 29, v151
	s_delay_alu instid0(VALU_DEP_2) | instskip(NEXT) | instid1(VALU_DEP_1)
	v_lshlrev_b64 v[11:12], v11, v[0:1]
	v_and_b32_e32 v11, 7, v11
; %bb.1850:                             ;   in Loop: Header=BB352_1062 Depth=1
	s_or_b32 exec_lo, exec_lo, s16
	v_lshlrev_b32_e32 v0, 8, v14
	v_lshl_add_u32 v12, v151, 10, 0x2000
	s_delay_alu instid0(VALU_DEP_1) | instskip(NEXT) | instid1(VALU_DEP_1)
	v_and_or_b32 v0, 0x8000, v0, v12
	v_lshl_or_b32 v0, v11, 7, v0
	s_delay_alu instid0(VALU_DEP_1)
	v_cvt_f32_f16_e64 v151, v0
.LBB352_1851:                           ;   in Loop: Header=BB352_1062 Depth=1
	s_or_b32 exec_lo, exec_lo, s15
.LBB352_1852:                           ;   in Loop: Header=BB352_1062 Depth=1
	s_delay_alu instid0(SALU_CYCLE_1)
	s_or_b32 exec_lo, exec_lo, s13
.LBB352_1853:                           ;   in Loop: Header=BB352_1062 Depth=1
	s_delay_alu instid0(SALU_CYCLE_1)
	s_or_b32 exec_lo, exec_lo, s12
	s_waitcnt vmcnt(0) lgkmcnt(0)
	v_fma_mixlo_f16 v12, v144, v146, 0
	v_fma_mixlo_f16 v0, v144, v148, 0
	;; [unrolled: 1-line block ×5, first 2 shown]
	v_lshlrev_b32_e32 v14, 16, v12
	v_fma_mixlo_f16 v147, v144, v149, 0
	v_fma_mixlo_f16 v148, v144, v151, 0
	;; [unrolled: 1-line block ×3, first 2 shown]
	v_lshlrev_b32_e32 v0, 16, v0
	v_and_b32_e32 v11, 0xffff, v11
	v_and_b32_e32 v144, 0xffff, v145
	v_lshlrev_b32_e32 v145, 16, v146
	v_and_b32_e32 v146, 0xffff, v147
	v_lshlrev_b32_e32 v147, 16, v148
	v_and_b32_e32 v148, 0xffff, v12
	v_or_b32_e32 v13, v0, v11
	v_or_b32_e32 v14, v14, v144
	;; [unrolled: 1-line block ×3, first 2 shown]
	s_delay_alu instid0(VALU_DEP_4)
	v_or_b32_e32 v11, v147, v148
	s_and_saveexec_b32 s12, vcc_lo
	s_cbranch_execz .LBB352_1855
; %bb.1854:                             ;   in Loop: Header=BB352_1062 Depth=1
	v_cmp_lt_i32_e64 s0, v19, v38
	v_lshrrev_b32_e32 v144, 16, v14
	v_lshrrev_b32_e32 v145, 16, v13
	;; [unrolled: 1-line block ×4, first 2 shown]
	v_cndmask_b32_e64 v14, 0, v14, s0
	v_cmp_lt_i32_e64 s0, v99, v55
	s_delay_alu instid0(VALU_DEP_1) | instskip(SKIP_1) | instid1(VALU_DEP_2)
	v_cndmask_b32_e64 v144, 0, v144, s0
	v_cmp_lt_i32_e64 s0, v98, v55
	v_perm_b32 v14, v144, v14, 0x5040100
	s_delay_alu instid0(VALU_DEP_2) | instskip(SKIP_1) | instid1(VALU_DEP_1)
	v_cndmask_b32_e64 v145, 0, v145, s0
	v_cmp_lt_i32_e64 s0, v96, v38
	v_cndmask_b32_e64 v13, 0, v13, s0
	v_cmp_lt_i32_e64 s0, v84, v55
	s_delay_alu instid0(VALU_DEP_2) | instskip(NEXT) | instid1(VALU_DEP_2)
	v_perm_b32 v13, v145, v13, 0x5040100
	v_cndmask_b32_e64 v146, 0, v146, s0
	v_cmp_lt_i32_e64 s0, v83, v38
	s_delay_alu instid0(VALU_DEP_1) | instskip(SKIP_1) | instid1(VALU_DEP_2)
	v_cndmask_b32_e64 v0, 0, v0, s0
	v_cmp_lt_i32_e64 s0, v81, v55
	v_perm_b32 v0, v146, v0, 0x5040100
	s_delay_alu instid0(VALU_DEP_2) | instskip(SKIP_1) | instid1(VALU_DEP_1)
	v_cndmask_b32_e64 v11, 0, v11, s0
	v_cmp_lt_i32_e64 s0, v64, v38
	v_cndmask_b32_e64 v12, 0, v12, s0
	s_delay_alu instid0(VALU_DEP_1)
	v_perm_b32 v11, v11, v12, 0x5040100
.LBB352_1855:                           ;   in Loop: Header=BB352_1062 Depth=1
	s_or_b32 exec_lo, exec_lo, s12
	;;#ASMSTART
	v_pk_mul_f16 v12, v97, v14;

	;;#ASMEND
	;;#ASMSTART
	v_pk_mul_f16 v13, v87, v13;

	;;#ASMEND
	;; [unrolled: 4-line block ×4, first 2 shown]
	;;#ASMSTART
	v_pk_add_f16 v12, v12, v13;

	;;#ASMEND
	;;#ASMSTART
	v_pk_add_f16 v0, v12, v0;

	;;#ASMEND
	;; [unrolled: 4-line block ×3, first 2 shown]
	v_dual_mov_b32 v148, 0 :: v_dual_and_b32 v11, 0xffff, v0
	v_lshrrev_b32_e32 v0, 16, v0
	;;#ASMSTART
	v_cvt_f32_f16 v144, v11;
	;;#ASMEND
	;;#ASMSTART
	v_cvt_f32_f16 v145, v0;
	;;#ASMEND
	flat_load_b64 v[11:12], v[9:10] offset:3072
	flat_load_b32 v146, v[26:27]
	s_mov_b32 s12, exec_lo
	s_waitcnt vmcnt(1) lgkmcnt(1)
	v_dual_mov_b32 v147, 0 :: v_dual_and_b32 v0, 0xff, v11
	s_delay_alu instid0(VALU_DEP_1)
	v_cmpx_ne_u16_e32 0, v0
	s_cbranch_execz .LBB352_1863
; %bb.1856:                             ;   in Loop: Header=BB352_1062 Depth=1
	v_bfrev_b32_e32 v147, 1
	s_mov_b32 s13, exec_lo
	v_cmpx_ne_u16_e32 0x80, v0
	s_cbranch_execz .LBB352_1862
; %bb.1857:                             ;   in Loop: Header=BB352_1062 Depth=1
	v_and_b32_e32 v13, 0x7f, v11
	v_mov_b32_e32 v147, 0x7fc02000
	s_mov_b32 s15, exec_lo
	s_delay_alu instid0(VALU_DEP_2)
	v_cmpx_ne_u32_e32 0x7f, v13
	s_cbranch_execz .LBB352_1861
; %bb.1858:                             ;   in Loop: Header=BB352_1062 Depth=1
	v_lshrrev_b32_e32 v0, 3, v13
	v_cmp_gt_u32_e64 s0, 8, v13
	v_dual_mov_b32 v14, v12 :: v_dual_mov_b32 v13, v11
	s_delay_alu instid0(VALU_DEP_2)
	s_and_saveexec_b32 s16, s0
; %bb.1859:                             ;   in Loop: Header=BB352_1062 Depth=1
	v_and_b32_e32 v0, 7, v11
	s_delay_alu instid0(VALU_DEP_1) | instskip(NEXT) | instid1(VALU_DEP_1)
	v_clz_i32_u32_e32 v0, v0
	v_min_u32_e32 v0, 32, v0
	s_delay_alu instid0(VALU_DEP_1) | instskip(SKIP_1) | instid1(VALU_DEP_2)
	v_subrev_nc_u32_e32 v13, 28, v0
	v_sub_nc_u32_e32 v0, 29, v0
	v_lshlrev_b64 v[13:14], v13, v[11:12]
; %bb.1860:                             ;   in Loop: Header=BB352_1062 Depth=1
	s_or_b32 exec_lo, exec_lo, s16
	v_lshlrev_b32_e32 v14, 8, v11
	s_delay_alu instid0(VALU_DEP_3) | instskip(NEXT) | instid1(VALU_DEP_3)
	v_lshl_add_u32 v0, v0, 10, 0x2000
	v_lshlrev_b32_e32 v13, 7, v13
	s_delay_alu instid0(VALU_DEP_2) | instskip(NEXT) | instid1(VALU_DEP_1)
	v_and_or_b32 v0, 0x8000, v14, v0
	v_and_or_b32 v0, 0x380, v13, v0
	s_delay_alu instid0(VALU_DEP_1)
	v_cvt_f32_f16_e64 v147, v0
.LBB352_1861:                           ;   in Loop: Header=BB352_1062 Depth=1
	s_or_b32 exec_lo, exec_lo, s15
.LBB352_1862:                           ;   in Loop: Header=BB352_1062 Depth=1
	s_delay_alu instid0(SALU_CYCLE_1)
	s_or_b32 exec_lo, exec_lo, s13
.LBB352_1863:                           ;   in Loop: Header=BB352_1062 Depth=1
	s_delay_alu instid0(SALU_CYCLE_1) | instskip(SKIP_2) | instid1(VALU_DEP_1)
	s_or_b32 exec_lo, exec_lo, s12
	v_lshrrev_b16 v0, 8, v11
	s_mov_b32 s12, exec_lo
	v_cmpx_ne_u16_e32 0, v0
	s_cbranch_execz .LBB352_1871
; %bb.1864:                             ;   in Loop: Header=BB352_1062 Depth=1
	v_bfrev_b32_e32 v148, 1
	s_mov_b32 s13, exec_lo
	v_cmpx_ne_u16_e32 0x80, v0
	s_cbranch_execz .LBB352_1870
; %bb.1865:                             ;   in Loop: Header=BB352_1062 Depth=1
	v_and_b32_e32 v149, 0xffff, v0
	v_mov_b32_e32 v148, 0x7fc02000
	s_mov_b32 s15, exec_lo
	s_delay_alu instid0(VALU_DEP_2) | instskip(NEXT) | instid1(VALU_DEP_1)
	v_and_b32_e32 v13, 0x7f, v149
	v_cmpx_ne_u32_e32 0x7f, v13
	s_cbranch_execz .LBB352_1869
; %bb.1866:                             ;   in Loop: Header=BB352_1062 Depth=1
	v_and_b32_e32 v0, 7, v149
	v_lshrrev_b32_e32 v148, 3, v13
	v_cmp_gt_u32_e64 s0, 8, v13
	s_delay_alu instid0(VALU_DEP_3) | instskip(NEXT) | instid1(VALU_DEP_2)
	v_dual_mov_b32 v14, v1 :: v_dual_mov_b32 v13, v0
	s_and_saveexec_b32 s16, s0
; %bb.1867:                             ;   in Loop: Header=BB352_1062 Depth=1
	v_clz_i32_u32_e32 v13, v0
	s_delay_alu instid0(VALU_DEP_1) | instskip(NEXT) | instid1(VALU_DEP_1)
	v_min_u32_e32 v148, 32, v13
	v_subrev_nc_u32_e32 v13, 28, v148
	v_sub_nc_u32_e32 v148, 29, v148
	s_delay_alu instid0(VALU_DEP_2) | instskip(NEXT) | instid1(VALU_DEP_1)
	v_lshlrev_b64 v[13:14], v13, v[0:1]
	v_and_b32_e32 v13, 7, v13
; %bb.1868:                             ;   in Loop: Header=BB352_1062 Depth=1
	s_or_b32 exec_lo, exec_lo, s16
	v_lshlrev_b32_e32 v0, 8, v149
	v_lshl_add_u32 v14, v148, 10, 0x2000
	s_delay_alu instid0(VALU_DEP_1) | instskip(NEXT) | instid1(VALU_DEP_1)
	v_and_or_b32 v0, 0x8000, v0, v14
	v_lshl_or_b32 v0, v13, 7, v0
	s_delay_alu instid0(VALU_DEP_1)
	v_cvt_f32_f16_e64 v148, v0
.LBB352_1869:                           ;   in Loop: Header=BB352_1062 Depth=1
	s_or_b32 exec_lo, exec_lo, s15
.LBB352_1870:                           ;   in Loop: Header=BB352_1062 Depth=1
	s_delay_alu instid0(SALU_CYCLE_1)
	s_or_b32 exec_lo, exec_lo, s13
.LBB352_1871:                           ;   in Loop: Header=BB352_1062 Depth=1
	s_delay_alu instid0(SALU_CYCLE_1) | instskip(SKIP_3) | instid1(VALU_DEP_2)
	s_or_b32 exec_lo, exec_lo, s12
	v_lshrrev_b32_e32 v151, 16, v11
	v_mov_b32_e32 v150, 0
	s_mov_b32 s12, exec_lo
	v_dual_mov_b32 v149, 0 :: v_dual_and_b32 v0, 0xff, v151
	s_delay_alu instid0(VALU_DEP_1)
	v_cmpx_ne_u16_e32 0, v0
	s_cbranch_execz .LBB352_1879
; %bb.1872:                             ;   in Loop: Header=BB352_1062 Depth=1
	v_bfrev_b32_e32 v149, 1
	s_mov_b32 s13, exec_lo
	v_cmpx_ne_u16_e32 0x80, v0
	s_cbranch_execz .LBB352_1878
; %bb.1873:                             ;   in Loop: Header=BB352_1062 Depth=1
	v_bfe_u32 v13, v11, 16, 7
	v_mov_b32_e32 v149, 0x7fc02000
	s_mov_b32 s15, exec_lo
	s_delay_alu instid0(VALU_DEP_2)
	v_cmpx_ne_u32_e32 0x7f, v13
	s_cbranch_execz .LBB352_1877
; %bb.1874:                             ;   in Loop: Header=BB352_1062 Depth=1
	v_and_b32_e32 v0, 7, v151
	v_lshrrev_b32_e32 v149, 3, v13
	v_cmp_gt_u32_e64 s0, 8, v13
	s_delay_alu instid0(VALU_DEP_3) | instskip(NEXT) | instid1(VALU_DEP_2)
	v_dual_mov_b32 v14, v1 :: v_dual_mov_b32 v13, v0
	s_and_saveexec_b32 s16, s0
; %bb.1875:                             ;   in Loop: Header=BB352_1062 Depth=1
	v_clz_i32_u32_e32 v13, v0
	s_delay_alu instid0(VALU_DEP_1) | instskip(NEXT) | instid1(VALU_DEP_1)
	v_min_u32_e32 v149, 32, v13
	v_subrev_nc_u32_e32 v13, 28, v149
	v_sub_nc_u32_e32 v149, 29, v149
	s_delay_alu instid0(VALU_DEP_2) | instskip(NEXT) | instid1(VALU_DEP_1)
	v_lshlrev_b64 v[13:14], v13, v[0:1]
	v_and_b32_e32 v13, 7, v13
; %bb.1876:                             ;   in Loop: Header=BB352_1062 Depth=1
	s_or_b32 exec_lo, exec_lo, s16
	v_lshlrev_b32_e32 v0, 8, v151
	v_lshl_add_u32 v14, v149, 10, 0x2000
	s_delay_alu instid0(VALU_DEP_1) | instskip(NEXT) | instid1(VALU_DEP_1)
	v_and_or_b32 v0, 0x8000, v0, v14
	v_lshl_or_b32 v0, v13, 7, v0
	s_delay_alu instid0(VALU_DEP_1)
	v_cvt_f32_f16_e64 v149, v0
.LBB352_1877:                           ;   in Loop: Header=BB352_1062 Depth=1
	s_or_b32 exec_lo, exec_lo, s15
.LBB352_1878:                           ;   in Loop: Header=BB352_1062 Depth=1
	s_delay_alu instid0(SALU_CYCLE_1)
	s_or_b32 exec_lo, exec_lo, s13
.LBB352_1879:                           ;   in Loop: Header=BB352_1062 Depth=1
	s_delay_alu instid0(SALU_CYCLE_1) | instskip(NEXT) | instid1(SALU_CYCLE_1)
	s_or_b32 exec_lo, exec_lo, s12
	s_mov_b32 s12, exec_lo
	v_cmpx_lt_u32_e32 0xffffff, v11
	s_cbranch_execz .LBB352_1887
; %bb.1880:                             ;   in Loop: Header=BB352_1062 Depth=1
	v_lshrrev_b32_e32 v151, 24, v11
	v_bfrev_b32_e32 v150, 1
	s_mov_b32 s13, exec_lo
	s_delay_alu instid0(VALU_DEP_2)
	v_cmpx_ne_u32_e32 0x80, v151
	s_cbranch_execz .LBB352_1886
; %bb.1881:                             ;   in Loop: Header=BB352_1062 Depth=1
	v_and_b32_e32 v13, 0x7f, v151
	v_mov_b32_e32 v150, 0x7fc02000
	s_mov_b32 s15, exec_lo
	s_delay_alu instid0(VALU_DEP_2)
	v_cmpx_ne_u32_e32 0x7f, v13
	s_cbranch_execz .LBB352_1885
; %bb.1882:                             ;   in Loop: Header=BB352_1062 Depth=1
	v_and_b32_e32 v0, 7, v151
	v_lshrrev_b32_e32 v150, 3, v13
	v_cmp_gt_u32_e64 s0, 8, v13
	s_delay_alu instid0(VALU_DEP_3) | instskip(NEXT) | instid1(VALU_DEP_2)
	v_dual_mov_b32 v14, v1 :: v_dual_mov_b32 v13, v0
	s_and_saveexec_b32 s16, s0
; %bb.1883:                             ;   in Loop: Header=BB352_1062 Depth=1
	v_clz_i32_u32_e32 v13, v0
	s_delay_alu instid0(VALU_DEP_1) | instskip(NEXT) | instid1(VALU_DEP_1)
	v_min_u32_e32 v150, 32, v13
	v_subrev_nc_u32_e32 v13, 28, v150
	v_sub_nc_u32_e32 v150, 29, v150
	s_delay_alu instid0(VALU_DEP_2) | instskip(NEXT) | instid1(VALU_DEP_1)
	v_lshlrev_b64 v[13:14], v13, v[0:1]
	v_and_b32_e32 v13, 7, v13
; %bb.1884:                             ;   in Loop: Header=BB352_1062 Depth=1
	s_or_b32 exec_lo, exec_lo, s16
	v_lshlrev_b32_e32 v0, 8, v151
	v_lshl_add_u32 v14, v150, 10, 0x2000
	s_delay_alu instid0(VALU_DEP_1) | instskip(NEXT) | instid1(VALU_DEP_1)
	v_and_or_b32 v0, 0x8000, v0, v14
	v_lshl_or_b32 v0, v13, 7, v0
	s_delay_alu instid0(VALU_DEP_1)
	v_cvt_f32_f16_e64 v150, v0
.LBB352_1885:                           ;   in Loop: Header=BB352_1062 Depth=1
	s_or_b32 exec_lo, exec_lo, s15
.LBB352_1886:                           ;   in Loop: Header=BB352_1062 Depth=1
	s_delay_alu instid0(SALU_CYCLE_1)
	s_or_b32 exec_lo, exec_lo, s13
.LBB352_1887:                           ;   in Loop: Header=BB352_1062 Depth=1
	s_delay_alu instid0(SALU_CYCLE_1) | instskip(SKIP_3) | instid1(VALU_DEP_2)
	s_or_b32 exec_lo, exec_lo, s12
	v_dual_mov_b32 v0, v12 :: v_dual_and_b32 v13, 0xff, v12
	v_dual_mov_b32 v160, 0 :: v_dual_mov_b32 v151, 0
	s_mov_b32 s12, exec_lo
	v_cmpx_ne_u16_e32 0, v13
	s_cbranch_execz .LBB352_1895
; %bb.1888:                             ;   in Loop: Header=BB352_1062 Depth=1
	v_bfrev_b32_e32 v151, 1
	s_mov_b32 s13, exec_lo
	v_cmpx_ne_u16_e32 0x80, v13
	s_cbranch_execz .LBB352_1894
; %bb.1889:                             ;   in Loop: Header=BB352_1062 Depth=1
	v_and_b32_e32 v13, 0x7f, v12
	v_mov_b32_e32 v151, 0x7fc02000
	s_mov_b32 s15, exec_lo
	s_delay_alu instid0(VALU_DEP_2)
	v_cmpx_ne_u32_e32 0x7f, v13
	s_cbranch_execz .LBB352_1893
; %bb.1890:                             ;   in Loop: Header=BB352_1062 Depth=1
	v_lshrrev_b32_e32 v151, 3, v13
	v_cmp_gt_u32_e64 s0, 8, v13
	v_dual_mov_b32 v14, v1 :: v_dual_mov_b32 v13, v0
	s_delay_alu instid0(VALU_DEP_2)
	s_and_saveexec_b32 s16, s0
; %bb.1891:                             ;   in Loop: Header=BB352_1062 Depth=1
	v_and_b32_e32 v13, 7, v12
	s_delay_alu instid0(VALU_DEP_1) | instskip(NEXT) | instid1(VALU_DEP_1)
	v_clz_i32_u32_e32 v13, v13
	v_min_u32_e32 v151, 32, v13
	s_delay_alu instid0(VALU_DEP_1) | instskip(SKIP_1) | instid1(VALU_DEP_2)
	v_subrev_nc_u32_e32 v13, 28, v151
	v_sub_nc_u32_e32 v151, 29, v151
	v_lshlrev_b64 v[13:14], v13, v[0:1]
; %bb.1892:                             ;   in Loop: Header=BB352_1062 Depth=1
	s_or_b32 exec_lo, exec_lo, s16
	v_lshlrev_b32_e32 v14, 8, v12
	s_delay_alu instid0(VALU_DEP_3) | instskip(NEXT) | instid1(VALU_DEP_3)
	v_lshl_add_u32 v151, v151, 10, 0x2000
	v_lshlrev_b32_e32 v13, 7, v13
	s_delay_alu instid0(VALU_DEP_2) | instskip(NEXT) | instid1(VALU_DEP_1)
	v_and_or_b32 v14, 0x8000, v14, v151
	v_and_or_b32 v13, 0x380, v13, v14
	s_delay_alu instid0(VALU_DEP_1)
	v_cvt_f32_f16_e64 v151, v13
.LBB352_1893:                           ;   in Loop: Header=BB352_1062 Depth=1
	s_or_b32 exec_lo, exec_lo, s15
.LBB352_1894:                           ;   in Loop: Header=BB352_1062 Depth=1
	s_delay_alu instid0(SALU_CYCLE_1)
	s_or_b32 exec_lo, exec_lo, s13
.LBB352_1895:                           ;   in Loop: Header=BB352_1062 Depth=1
	s_delay_alu instid0(SALU_CYCLE_1) | instskip(SKIP_2) | instid1(VALU_DEP_1)
	s_or_b32 exec_lo, exec_lo, s12
	v_lshrrev_b16 v0, 8, v0
	s_mov_b32 s12, exec_lo
	v_cmpx_ne_u16_e32 0, v0
	s_cbranch_execz .LBB352_1903
; %bb.1896:                             ;   in Loop: Header=BB352_1062 Depth=1
	v_bfrev_b32_e32 v160, 1
	s_mov_b32 s13, exec_lo
	v_cmpx_ne_u16_e32 0x80, v0
	s_cbranch_execz .LBB352_1902
; %bb.1897:                             ;   in Loop: Header=BB352_1062 Depth=1
	v_and_b32_e32 v161, 0xffff, v0
	v_mov_b32_e32 v160, 0x7fc02000
	s_mov_b32 s15, exec_lo
	s_delay_alu instid0(VALU_DEP_2) | instskip(NEXT) | instid1(VALU_DEP_1)
	v_and_b32_e32 v13, 0x7f, v161
	v_cmpx_ne_u32_e32 0x7f, v13
	s_cbranch_execz .LBB352_1901
; %bb.1898:                             ;   in Loop: Header=BB352_1062 Depth=1
	v_and_b32_e32 v0, 7, v161
	v_lshrrev_b32_e32 v160, 3, v13
	v_cmp_gt_u32_e64 s0, 8, v13
	s_delay_alu instid0(VALU_DEP_3) | instskip(NEXT) | instid1(VALU_DEP_2)
	v_dual_mov_b32 v14, v1 :: v_dual_mov_b32 v13, v0
	s_and_saveexec_b32 s16, s0
; %bb.1899:                             ;   in Loop: Header=BB352_1062 Depth=1
	v_clz_i32_u32_e32 v13, v0
	s_delay_alu instid0(VALU_DEP_1) | instskip(NEXT) | instid1(VALU_DEP_1)
	v_min_u32_e32 v160, 32, v13
	v_subrev_nc_u32_e32 v13, 28, v160
	v_sub_nc_u32_e32 v160, 29, v160
	s_delay_alu instid0(VALU_DEP_2) | instskip(NEXT) | instid1(VALU_DEP_1)
	v_lshlrev_b64 v[13:14], v13, v[0:1]
	v_and_b32_e32 v13, 7, v13
; %bb.1900:                             ;   in Loop: Header=BB352_1062 Depth=1
	s_or_b32 exec_lo, exec_lo, s16
	v_lshlrev_b32_e32 v0, 8, v161
	v_lshl_add_u32 v14, v160, 10, 0x2000
	s_delay_alu instid0(VALU_DEP_1) | instskip(NEXT) | instid1(VALU_DEP_1)
	v_and_or_b32 v0, 0x8000, v0, v14
	v_lshl_or_b32 v0, v13, 7, v0
	s_delay_alu instid0(VALU_DEP_1)
	v_cvt_f32_f16_e64 v160, v0
.LBB352_1901:                           ;   in Loop: Header=BB352_1062 Depth=1
	s_or_b32 exec_lo, exec_lo, s15
.LBB352_1902:                           ;   in Loop: Header=BB352_1062 Depth=1
	s_delay_alu instid0(SALU_CYCLE_1)
	s_or_b32 exec_lo, exec_lo, s13
.LBB352_1903:                           ;   in Loop: Header=BB352_1062 Depth=1
	s_delay_alu instid0(SALU_CYCLE_1) | instskip(SKIP_3) | instid1(VALU_DEP_2)
	s_or_b32 exec_lo, exec_lo, s12
	v_lshrrev_b32_e32 v162, 16, v12
	v_mov_b32_e32 v13, 0
	s_mov_b32 s12, exec_lo
	v_dual_mov_b32 v161, 0 :: v_dual_and_b32 v0, 0xff, v162
	s_delay_alu instid0(VALU_DEP_1)
	v_cmpx_ne_u16_e32 0, v0
	s_cbranch_execz .LBB352_1911
; %bb.1904:                             ;   in Loop: Header=BB352_1062 Depth=1
	v_bfrev_b32_e32 v13, 1
	s_mov_b32 s13, exec_lo
	v_cmpx_ne_u16_e32 0x80, v0
	s_cbranch_execz .LBB352_1910
; %bb.1905:                             ;   in Loop: Header=BB352_1062 Depth=1
	v_bfe_u32 v14, v12, 16, 7
	v_mov_b32_e32 v13, 0x7fc02000
	s_mov_b32 s15, exec_lo
	s_delay_alu instid0(VALU_DEP_2)
	v_cmpx_ne_u32_e32 0x7f, v14
	s_cbranch_execz .LBB352_1909
; %bb.1906:                             ;   in Loop: Header=BB352_1062 Depth=1
	v_and_b32_e32 v0, 7, v162
	v_lshrrev_b32_e32 v163, 3, v14
	v_cmp_gt_u32_e64 s0, 8, v14
	s_delay_alu instid0(VALU_DEP_3) | instskip(NEXT) | instid1(VALU_DEP_2)
	v_dual_mov_b32 v14, v1 :: v_dual_mov_b32 v13, v0
	s_and_saveexec_b32 s16, s0
; %bb.1907:                             ;   in Loop: Header=BB352_1062 Depth=1
	v_clz_i32_u32_e32 v13, v0
	s_delay_alu instid0(VALU_DEP_1) | instskip(NEXT) | instid1(VALU_DEP_1)
	v_min_u32_e32 v163, 32, v13
	v_subrev_nc_u32_e32 v13, 28, v163
	v_sub_nc_u32_e32 v163, 29, v163
	s_delay_alu instid0(VALU_DEP_2) | instskip(NEXT) | instid1(VALU_DEP_1)
	v_lshlrev_b64 v[13:14], v13, v[0:1]
	v_and_b32_e32 v13, 7, v13
; %bb.1908:                             ;   in Loop: Header=BB352_1062 Depth=1
	s_or_b32 exec_lo, exec_lo, s16
	v_lshlrev_b32_e32 v0, 8, v162
	v_lshl_add_u32 v14, v163, 10, 0x2000
	s_delay_alu instid0(VALU_DEP_1) | instskip(NEXT) | instid1(VALU_DEP_1)
	v_and_or_b32 v0, 0x8000, v0, v14
	v_lshl_or_b32 v0, v13, 7, v0
	s_delay_alu instid0(VALU_DEP_1)
	v_cvt_f32_f16_e32 v13, v0
.LBB352_1909:                           ;   in Loop: Header=BB352_1062 Depth=1
	s_or_b32 exec_lo, exec_lo, s15
.LBB352_1910:                           ;   in Loop: Header=BB352_1062 Depth=1
	s_delay_alu instid0(SALU_CYCLE_1)
	s_or_b32 exec_lo, exec_lo, s13
.LBB352_1911:                           ;   in Loop: Header=BB352_1062 Depth=1
	s_delay_alu instid0(SALU_CYCLE_1) | instskip(NEXT) | instid1(SALU_CYCLE_1)
	s_or_b32 exec_lo, exec_lo, s12
	s_mov_b32 s12, exec_lo
	v_cmpx_lt_u64_e64 s[8:9], v[11:12]
	s_cbranch_execz .LBB352_1919
; %bb.1912:                             ;   in Loop: Header=BB352_1062 Depth=1
	v_lshrrev_b32_e32 v14, 24, v12
	v_bfrev_b32_e32 v161, 1
	s_mov_b32 s13, exec_lo
	s_delay_alu instid0(VALU_DEP_2)
	v_cmpx_ne_u32_e32 0x80, v14
	s_cbranch_execz .LBB352_1918
; %bb.1913:                             ;   in Loop: Header=BB352_1062 Depth=1
	v_and_b32_e32 v162, 0x7f, v14
	v_mov_b32_e32 v161, 0x7fc02000
	s_mov_b32 s15, exec_lo
	s_delay_alu instid0(VALU_DEP_2)
	v_cmpx_ne_u32_e32 0x7f, v162
	s_cbranch_execz .LBB352_1917
; %bb.1914:                             ;   in Loop: Header=BB352_1062 Depth=1
	v_and_b32_e32 v0, 7, v14
	v_lshrrev_b32_e32 v161, 3, v162
	v_mov_b32_e32 v12, v1
	s_mov_b32 s16, exec_lo
	s_delay_alu instid0(VALU_DEP_3)
	v_mov_b32_e32 v11, v0
	v_cmpx_gt_u32_e32 8, v162
; %bb.1915:                             ;   in Loop: Header=BB352_1062 Depth=1
	v_clz_i32_u32_e32 v11, v0
	s_delay_alu instid0(VALU_DEP_1) | instskip(NEXT) | instid1(VALU_DEP_1)
	v_min_u32_e32 v161, 32, v11
	v_subrev_nc_u32_e32 v11, 28, v161
	v_sub_nc_u32_e32 v161, 29, v161
	s_delay_alu instid0(VALU_DEP_2) | instskip(NEXT) | instid1(VALU_DEP_1)
	v_lshlrev_b64 v[11:12], v11, v[0:1]
	v_and_b32_e32 v11, 7, v11
; %bb.1916:                             ;   in Loop: Header=BB352_1062 Depth=1
	s_or_b32 exec_lo, exec_lo, s16
	v_lshlrev_b32_e32 v0, 8, v14
	v_lshl_add_u32 v12, v161, 10, 0x2000
	s_delay_alu instid0(VALU_DEP_1) | instskip(NEXT) | instid1(VALU_DEP_1)
	v_and_or_b32 v0, 0x8000, v0, v12
	v_lshl_or_b32 v0, v11, 7, v0
	s_delay_alu instid0(VALU_DEP_1)
	v_cvt_f32_f16_e64 v161, v0
.LBB352_1917:                           ;   in Loop: Header=BB352_1062 Depth=1
	s_or_b32 exec_lo, exec_lo, s15
.LBB352_1918:                           ;   in Loop: Header=BB352_1062 Depth=1
	s_delay_alu instid0(SALU_CYCLE_1)
	s_or_b32 exec_lo, exec_lo, s13
.LBB352_1919:                           ;   in Loop: Header=BB352_1062 Depth=1
	s_delay_alu instid0(SALU_CYCLE_1)
	s_or_b32 exec_lo, exec_lo, s12
	s_waitcnt vmcnt(0) lgkmcnt(0)
	v_fma_mixlo_f16 v12, v146, v148, 0
	v_fma_mixlo_f16 v0, v146, v150, 0
	;; [unrolled: 1-line block ×5, first 2 shown]
	v_lshlrev_b32_e32 v14, 16, v12
	v_fma_mixlo_f16 v149, v146, v151, 0
	v_fma_mixlo_f16 v150, v146, v161, 0
	;; [unrolled: 1-line block ×3, first 2 shown]
	v_lshlrev_b32_e32 v0, 16, v0
	v_and_b32_e32 v11, 0xffff, v11
	v_and_b32_e32 v146, 0xffff, v147
	v_lshlrev_b32_e32 v147, 16, v148
	v_and_b32_e32 v148, 0xffff, v149
	v_lshlrev_b32_e32 v149, 16, v150
	v_and_b32_e32 v150, 0xffff, v12
	v_or_b32_e32 v13, v0, v11
	v_or_b32_e32 v14, v14, v146
	;; [unrolled: 1-line block ×3, first 2 shown]
	s_delay_alu instid0(VALU_DEP_4)
	v_or_b32_e32 v11, v149, v150
	s_and_saveexec_b32 s12, vcc_lo
	s_cbranch_execz .LBB352_1921
; %bb.1920:                             ;   in Loop: Header=BB352_1062 Depth=1
	v_cmp_lt_i32_e64 s0, v19, v38
	v_lshrrev_b32_e32 v146, 16, v14
	v_lshrrev_b32_e32 v147, 16, v13
	;; [unrolled: 1-line block ×4, first 2 shown]
	v_cndmask_b32_e64 v14, 0, v14, s0
	v_cmp_lt_i32_e64 s0, v99, v55
	s_delay_alu instid0(VALU_DEP_1) | instskip(SKIP_1) | instid1(VALU_DEP_2)
	v_cndmask_b32_e64 v146, 0, v146, s0
	v_cmp_lt_i32_e64 s0, v98, v55
	v_perm_b32 v14, v146, v14, 0x5040100
	s_delay_alu instid0(VALU_DEP_2) | instskip(SKIP_1) | instid1(VALU_DEP_1)
	v_cndmask_b32_e64 v147, 0, v147, s0
	v_cmp_lt_i32_e64 s0, v96, v38
	v_cndmask_b32_e64 v13, 0, v13, s0
	v_cmp_lt_i32_e64 s0, v84, v55
	s_delay_alu instid0(VALU_DEP_2) | instskip(NEXT) | instid1(VALU_DEP_2)
	v_perm_b32 v13, v147, v13, 0x5040100
	v_cndmask_b32_e64 v148, 0, v148, s0
	v_cmp_lt_i32_e64 s0, v83, v38
	s_delay_alu instid0(VALU_DEP_1) | instskip(SKIP_1) | instid1(VALU_DEP_2)
	v_cndmask_b32_e64 v0, 0, v0, s0
	v_cmp_lt_i32_e64 s0, v81, v55
	v_perm_b32 v0, v148, v0, 0x5040100
	s_delay_alu instid0(VALU_DEP_2) | instskip(SKIP_1) | instid1(VALU_DEP_1)
	v_cndmask_b32_e64 v11, 0, v11, s0
	v_cmp_lt_i32_e64 s0, v64, v38
	v_cndmask_b32_e64 v12, 0, v12, s0
	s_delay_alu instid0(VALU_DEP_1)
	v_perm_b32 v11, v11, v12, 0x5040100
.LBB352_1921:                           ;   in Loop: Header=BB352_1062 Depth=1
	s_or_b32 exec_lo, exec_lo, s12
	;;#ASMSTART
	v_pk_mul_f16 v12, v97, v14;

	;;#ASMEND
	;;#ASMSTART
	v_pk_mul_f16 v13, v87, v13;

	;;#ASMEND
	;; [unrolled: 4-line block ×4, first 2 shown]
	;;#ASMSTART
	v_pk_add_f16 v12, v12, v13;

	;;#ASMEND
	;;#ASMSTART
	v_pk_add_f16 v0, v12, v0;

	;;#ASMEND
	;;#ASMSTART
	v_pk_add_f16 v0, v0, v11;

	;;#ASMEND
	v_dual_mov_b32 v150, 0 :: v_dual_and_b32 v11, 0xffff, v0
	v_lshrrev_b32_e32 v0, 16, v0
	;;#ASMSTART
	v_cvt_f32_f16 v146, v11;
	;;#ASMEND
	;;#ASMSTART
	v_cvt_f32_f16 v147, v0;
	;;#ASMEND
	flat_load_b64 v[11:12], v[9:10] offset:3328
	flat_load_b32 v148, v[26:27]
	s_mov_b32 s12, exec_lo
	s_waitcnt vmcnt(1) lgkmcnt(1)
	v_dual_mov_b32 v149, 0 :: v_dual_and_b32 v0, 0xff, v11
	s_delay_alu instid0(VALU_DEP_1)
	v_cmpx_ne_u16_e32 0, v0
	s_cbranch_execz .LBB352_1929
; %bb.1922:                             ;   in Loop: Header=BB352_1062 Depth=1
	v_bfrev_b32_e32 v149, 1
	s_mov_b32 s13, exec_lo
	v_cmpx_ne_u16_e32 0x80, v0
	s_cbranch_execz .LBB352_1928
; %bb.1923:                             ;   in Loop: Header=BB352_1062 Depth=1
	v_and_b32_e32 v13, 0x7f, v11
	v_mov_b32_e32 v149, 0x7fc02000
	s_mov_b32 s15, exec_lo
	s_delay_alu instid0(VALU_DEP_2)
	v_cmpx_ne_u32_e32 0x7f, v13
	s_cbranch_execz .LBB352_1927
; %bb.1924:                             ;   in Loop: Header=BB352_1062 Depth=1
	v_lshrrev_b32_e32 v0, 3, v13
	v_cmp_gt_u32_e64 s0, 8, v13
	v_dual_mov_b32 v14, v12 :: v_dual_mov_b32 v13, v11
	s_delay_alu instid0(VALU_DEP_2)
	s_and_saveexec_b32 s16, s0
; %bb.1925:                             ;   in Loop: Header=BB352_1062 Depth=1
	v_and_b32_e32 v0, 7, v11
	s_delay_alu instid0(VALU_DEP_1) | instskip(NEXT) | instid1(VALU_DEP_1)
	v_clz_i32_u32_e32 v0, v0
	v_min_u32_e32 v0, 32, v0
	s_delay_alu instid0(VALU_DEP_1) | instskip(SKIP_1) | instid1(VALU_DEP_2)
	v_subrev_nc_u32_e32 v13, 28, v0
	v_sub_nc_u32_e32 v0, 29, v0
	v_lshlrev_b64 v[13:14], v13, v[11:12]
; %bb.1926:                             ;   in Loop: Header=BB352_1062 Depth=1
	s_or_b32 exec_lo, exec_lo, s16
	v_lshlrev_b32_e32 v14, 8, v11
	s_delay_alu instid0(VALU_DEP_3) | instskip(NEXT) | instid1(VALU_DEP_3)
	v_lshl_add_u32 v0, v0, 10, 0x2000
	v_lshlrev_b32_e32 v13, 7, v13
	s_delay_alu instid0(VALU_DEP_2) | instskip(NEXT) | instid1(VALU_DEP_1)
	v_and_or_b32 v0, 0x8000, v14, v0
	v_and_or_b32 v0, 0x380, v13, v0
	s_delay_alu instid0(VALU_DEP_1)
	v_cvt_f32_f16_e64 v149, v0
.LBB352_1927:                           ;   in Loop: Header=BB352_1062 Depth=1
	s_or_b32 exec_lo, exec_lo, s15
.LBB352_1928:                           ;   in Loop: Header=BB352_1062 Depth=1
	s_delay_alu instid0(SALU_CYCLE_1)
	s_or_b32 exec_lo, exec_lo, s13
.LBB352_1929:                           ;   in Loop: Header=BB352_1062 Depth=1
	s_delay_alu instid0(SALU_CYCLE_1) | instskip(SKIP_2) | instid1(VALU_DEP_1)
	s_or_b32 exec_lo, exec_lo, s12
	v_lshrrev_b16 v0, 8, v11
	s_mov_b32 s12, exec_lo
	v_cmpx_ne_u16_e32 0, v0
	s_cbranch_execz .LBB352_1937
; %bb.1930:                             ;   in Loop: Header=BB352_1062 Depth=1
	v_bfrev_b32_e32 v150, 1
	s_mov_b32 s13, exec_lo
	v_cmpx_ne_u16_e32 0x80, v0
	s_cbranch_execz .LBB352_1936
; %bb.1931:                             ;   in Loop: Header=BB352_1062 Depth=1
	v_and_b32_e32 v151, 0xffff, v0
	v_mov_b32_e32 v150, 0x7fc02000
	s_mov_b32 s15, exec_lo
	s_delay_alu instid0(VALU_DEP_2) | instskip(NEXT) | instid1(VALU_DEP_1)
	v_and_b32_e32 v160, 0x7f, v151
	v_cmpx_ne_u32_e32 0x7f, v160
	s_cbranch_execz .LBB352_1935
; %bb.1932:                             ;   in Loop: Header=BB352_1062 Depth=1
	v_and_b32_e32 v0, 7, v151
	v_lshrrev_b32_e32 v150, 3, v160
	v_mov_b32_e32 v14, v1
	s_mov_b32 s16, exec_lo
	s_delay_alu instid0(VALU_DEP_3)
	v_mov_b32_e32 v13, v0
	v_cmpx_gt_u32_e32 8, v160
; %bb.1933:                             ;   in Loop: Header=BB352_1062 Depth=1
	v_clz_i32_u32_e32 v13, v0
	s_delay_alu instid0(VALU_DEP_1) | instskip(NEXT) | instid1(VALU_DEP_1)
	v_min_u32_e32 v150, 32, v13
	v_subrev_nc_u32_e32 v13, 28, v150
	v_sub_nc_u32_e32 v150, 29, v150
	s_delay_alu instid0(VALU_DEP_2) | instskip(NEXT) | instid1(VALU_DEP_1)
	v_lshlrev_b64 v[13:14], v13, v[0:1]
	v_and_b32_e32 v13, 7, v13
; %bb.1934:                             ;   in Loop: Header=BB352_1062 Depth=1
	s_or_b32 exec_lo, exec_lo, s16
	v_lshlrev_b32_e32 v0, 8, v151
	v_lshl_add_u32 v14, v150, 10, 0x2000
	s_delay_alu instid0(VALU_DEP_1) | instskip(NEXT) | instid1(VALU_DEP_1)
	v_and_or_b32 v0, 0x8000, v0, v14
	v_lshl_or_b32 v0, v13, 7, v0
	s_delay_alu instid0(VALU_DEP_1)
	v_cvt_f32_f16_e64 v150, v0
.LBB352_1935:                           ;   in Loop: Header=BB352_1062 Depth=1
	s_or_b32 exec_lo, exec_lo, s15
.LBB352_1936:                           ;   in Loop: Header=BB352_1062 Depth=1
	s_delay_alu instid0(SALU_CYCLE_1)
	s_or_b32 exec_lo, exec_lo, s13
.LBB352_1937:                           ;   in Loop: Header=BB352_1062 Depth=1
	s_delay_alu instid0(SALU_CYCLE_1) | instskip(SKIP_3) | instid1(VALU_DEP_2)
	s_or_b32 exec_lo, exec_lo, s12
	v_lshrrev_b32_e32 v161, 16, v11
	v_mov_b32_e32 v160, 0
	s_mov_b32 s12, exec_lo
	v_dual_mov_b32 v151, 0 :: v_dual_and_b32 v0, 0xff, v161
	s_delay_alu instid0(VALU_DEP_1)
	v_cmpx_ne_u16_e32 0, v0
	s_cbranch_execz .LBB352_1945
; %bb.1938:                             ;   in Loop: Header=BB352_1062 Depth=1
	v_bfrev_b32_e32 v151, 1
	s_mov_b32 s13, exec_lo
	v_cmpx_ne_u16_e32 0x80, v0
	s_cbranch_execz .LBB352_1944
; %bb.1939:                             ;   in Loop: Header=BB352_1062 Depth=1
	v_bfe_u32 v162, v11, 16, 7
	v_mov_b32_e32 v151, 0x7fc02000
	s_mov_b32 s15, exec_lo
	s_delay_alu instid0(VALU_DEP_2)
	v_cmpx_ne_u32_e32 0x7f, v162
	s_cbranch_execz .LBB352_1943
; %bb.1940:                             ;   in Loop: Header=BB352_1062 Depth=1
	v_and_b32_e32 v0, 7, v161
	v_lshrrev_b32_e32 v151, 3, v162
	v_mov_b32_e32 v14, v1
	s_mov_b32 s16, exec_lo
	s_delay_alu instid0(VALU_DEP_3)
	v_mov_b32_e32 v13, v0
	v_cmpx_gt_u32_e32 8, v162
; %bb.1941:                             ;   in Loop: Header=BB352_1062 Depth=1
	v_clz_i32_u32_e32 v13, v0
	s_delay_alu instid0(VALU_DEP_1) | instskip(NEXT) | instid1(VALU_DEP_1)
	v_min_u32_e32 v151, 32, v13
	v_subrev_nc_u32_e32 v13, 28, v151
	v_sub_nc_u32_e32 v151, 29, v151
	s_delay_alu instid0(VALU_DEP_2) | instskip(NEXT) | instid1(VALU_DEP_1)
	v_lshlrev_b64 v[13:14], v13, v[0:1]
	v_and_b32_e32 v13, 7, v13
; %bb.1942:                             ;   in Loop: Header=BB352_1062 Depth=1
	s_or_b32 exec_lo, exec_lo, s16
	v_lshlrev_b32_e32 v0, 8, v161
	v_lshl_add_u32 v14, v151, 10, 0x2000
	s_delay_alu instid0(VALU_DEP_1) | instskip(NEXT) | instid1(VALU_DEP_1)
	v_and_or_b32 v0, 0x8000, v0, v14
	v_lshl_or_b32 v0, v13, 7, v0
	s_delay_alu instid0(VALU_DEP_1)
	v_cvt_f32_f16_e64 v151, v0
.LBB352_1943:                           ;   in Loop: Header=BB352_1062 Depth=1
	s_or_b32 exec_lo, exec_lo, s15
.LBB352_1944:                           ;   in Loop: Header=BB352_1062 Depth=1
	s_delay_alu instid0(SALU_CYCLE_1)
	s_or_b32 exec_lo, exec_lo, s13
.LBB352_1945:                           ;   in Loop: Header=BB352_1062 Depth=1
	s_delay_alu instid0(SALU_CYCLE_1) | instskip(NEXT) | instid1(SALU_CYCLE_1)
	s_or_b32 exec_lo, exec_lo, s12
	s_mov_b32 s12, exec_lo
	v_cmpx_lt_u32_e32 0xffffff, v11
	s_cbranch_execz .LBB352_1953
; %bb.1946:                             ;   in Loop: Header=BB352_1062 Depth=1
	v_lshrrev_b32_e32 v161, 24, v11
	v_bfrev_b32_e32 v160, 1
	s_mov_b32 s13, exec_lo
	s_delay_alu instid0(VALU_DEP_2)
	v_cmpx_ne_u32_e32 0x80, v161
	s_cbranch_execz .LBB352_1952
; %bb.1947:                             ;   in Loop: Header=BB352_1062 Depth=1
	v_and_b32_e32 v162, 0x7f, v161
	v_mov_b32_e32 v160, 0x7fc02000
	s_mov_b32 s15, exec_lo
	s_delay_alu instid0(VALU_DEP_2)
	v_cmpx_ne_u32_e32 0x7f, v162
	s_cbranch_execz .LBB352_1951
; %bb.1948:                             ;   in Loop: Header=BB352_1062 Depth=1
	v_and_b32_e32 v0, 7, v161
	v_lshrrev_b32_e32 v160, 3, v162
	v_mov_b32_e32 v14, v1
	s_mov_b32 s16, exec_lo
	s_delay_alu instid0(VALU_DEP_3)
	v_mov_b32_e32 v13, v0
	v_cmpx_gt_u32_e32 8, v162
; %bb.1949:                             ;   in Loop: Header=BB352_1062 Depth=1
	v_clz_i32_u32_e32 v13, v0
	s_delay_alu instid0(VALU_DEP_1) | instskip(NEXT) | instid1(VALU_DEP_1)
	v_min_u32_e32 v160, 32, v13
	v_subrev_nc_u32_e32 v13, 28, v160
	v_sub_nc_u32_e32 v160, 29, v160
	s_delay_alu instid0(VALU_DEP_2) | instskip(NEXT) | instid1(VALU_DEP_1)
	v_lshlrev_b64 v[13:14], v13, v[0:1]
	v_and_b32_e32 v13, 7, v13
; %bb.1950:                             ;   in Loop: Header=BB352_1062 Depth=1
	s_or_b32 exec_lo, exec_lo, s16
	v_lshlrev_b32_e32 v0, 8, v161
	v_lshl_add_u32 v14, v160, 10, 0x2000
	s_delay_alu instid0(VALU_DEP_1) | instskip(NEXT) | instid1(VALU_DEP_1)
	v_and_or_b32 v0, 0x8000, v0, v14
	v_lshl_or_b32 v0, v13, 7, v0
	s_delay_alu instid0(VALU_DEP_1)
	v_cvt_f32_f16_e64 v160, v0
.LBB352_1951:                           ;   in Loop: Header=BB352_1062 Depth=1
	s_or_b32 exec_lo, exec_lo, s15
.LBB352_1952:                           ;   in Loop: Header=BB352_1062 Depth=1
	s_delay_alu instid0(SALU_CYCLE_1)
	s_or_b32 exec_lo, exec_lo, s13
.LBB352_1953:                           ;   in Loop: Header=BB352_1062 Depth=1
	s_delay_alu instid0(SALU_CYCLE_1) | instskip(SKIP_3) | instid1(VALU_DEP_2)
	s_or_b32 exec_lo, exec_lo, s12
	v_dual_mov_b32 v0, v12 :: v_dual_and_b32 v13, 0xff, v12
	v_dual_mov_b32 v162, 0 :: v_dual_mov_b32 v161, 0
	s_mov_b32 s12, exec_lo
	v_cmpx_ne_u16_e32 0, v13
	s_cbranch_execz .LBB352_1961
; %bb.1954:                             ;   in Loop: Header=BB352_1062 Depth=1
	v_bfrev_b32_e32 v161, 1
	s_mov_b32 s13, exec_lo
	v_cmpx_ne_u16_e32 0x80, v13
	s_cbranch_execz .LBB352_1960
; %bb.1955:                             ;   in Loop: Header=BB352_1062 Depth=1
	v_and_b32_e32 v163, 0x7f, v12
	v_mov_b32_e32 v161, 0x7fc02000
	s_mov_b32 s15, exec_lo
	s_delay_alu instid0(VALU_DEP_2)
	v_cmpx_ne_u32_e32 0x7f, v163
	s_cbranch_execz .LBB352_1959
; %bb.1956:                             ;   in Loop: Header=BB352_1062 Depth=1
	v_dual_mov_b32 v14, v1 :: v_dual_mov_b32 v13, v0
	v_lshrrev_b32_e32 v14, 3, v163
	s_mov_b32 s16, exec_lo
	v_cmpx_gt_u32_e32 8, v163
; %bb.1957:                             ;   in Loop: Header=BB352_1062 Depth=1
	v_and_b32_e32 v13, 7, v12
	s_delay_alu instid0(VALU_DEP_1) | instskip(NEXT) | instid1(VALU_DEP_1)
	v_clz_i32_u32_e32 v13, v13
	v_min_u32_e32 v161, 32, v13
	s_delay_alu instid0(VALU_DEP_1) | instskip(NEXT) | instid1(VALU_DEP_1)
	v_subrev_nc_u32_e32 v13, 28, v161
	v_lshlrev_b64 v[13:14], v13, v[0:1]
	v_sub_nc_u32_e32 v14, 29, v161
; %bb.1958:                             ;   in Loop: Header=BB352_1062 Depth=1
	s_or_b32 exec_lo, exec_lo, s16
	v_lshlrev_b32_e32 v161, 8, v12
	s_delay_alu instid0(VALU_DEP_2) | instskip(NEXT) | instid1(VALU_DEP_4)
	v_lshl_add_u32 v14, v14, 10, 0x2000
	v_lshlrev_b32_e32 v13, 7, v13
	s_delay_alu instid0(VALU_DEP_2) | instskip(NEXT) | instid1(VALU_DEP_1)
	v_and_or_b32 v14, 0x8000, v161, v14
	v_and_or_b32 v13, 0x380, v13, v14
	s_delay_alu instid0(VALU_DEP_1)
	v_cvt_f32_f16_e64 v161, v13
.LBB352_1959:                           ;   in Loop: Header=BB352_1062 Depth=1
	s_or_b32 exec_lo, exec_lo, s15
.LBB352_1960:                           ;   in Loop: Header=BB352_1062 Depth=1
	s_delay_alu instid0(SALU_CYCLE_1)
	s_or_b32 exec_lo, exec_lo, s13
.LBB352_1961:                           ;   in Loop: Header=BB352_1062 Depth=1
	s_delay_alu instid0(SALU_CYCLE_1) | instskip(SKIP_2) | instid1(VALU_DEP_1)
	s_or_b32 exec_lo, exec_lo, s12
	v_lshrrev_b16 v0, 8, v0
	s_mov_b32 s12, exec_lo
	v_cmpx_ne_u16_e32 0, v0
	s_cbranch_execz .LBB352_1969
; %bb.1962:                             ;   in Loop: Header=BB352_1062 Depth=1
	v_bfrev_b32_e32 v162, 1
	s_mov_b32 s13, exec_lo
	v_cmpx_ne_u16_e32 0x80, v0
	s_cbranch_execz .LBB352_1968
; %bb.1963:                             ;   in Loop: Header=BB352_1062 Depth=1
	v_and_b32_e32 v163, 0xffff, v0
	v_mov_b32_e32 v162, 0x7fc02000
	s_mov_b32 s15, exec_lo
	s_delay_alu instid0(VALU_DEP_2) | instskip(NEXT) | instid1(VALU_DEP_1)
	v_and_b32_e32 v164, 0x7f, v163
	v_cmpx_ne_u32_e32 0x7f, v164
	s_cbranch_execz .LBB352_1967
; %bb.1964:                             ;   in Loop: Header=BB352_1062 Depth=1
	v_and_b32_e32 v0, 7, v163
	v_lshrrev_b32_e32 v162, 3, v164
	v_mov_b32_e32 v14, v1
	s_mov_b32 s16, exec_lo
	s_delay_alu instid0(VALU_DEP_3)
	v_mov_b32_e32 v13, v0
	v_cmpx_gt_u32_e32 8, v164
; %bb.1965:                             ;   in Loop: Header=BB352_1062 Depth=1
	v_clz_i32_u32_e32 v13, v0
	s_delay_alu instid0(VALU_DEP_1) | instskip(NEXT) | instid1(VALU_DEP_1)
	v_min_u32_e32 v162, 32, v13
	v_subrev_nc_u32_e32 v13, 28, v162
	v_sub_nc_u32_e32 v162, 29, v162
	s_delay_alu instid0(VALU_DEP_2) | instskip(NEXT) | instid1(VALU_DEP_1)
	v_lshlrev_b64 v[13:14], v13, v[0:1]
	v_and_b32_e32 v13, 7, v13
; %bb.1966:                             ;   in Loop: Header=BB352_1062 Depth=1
	s_or_b32 exec_lo, exec_lo, s16
	v_lshlrev_b32_e32 v0, 8, v163
	v_lshl_add_u32 v14, v162, 10, 0x2000
	s_delay_alu instid0(VALU_DEP_1) | instskip(NEXT) | instid1(VALU_DEP_1)
	v_and_or_b32 v0, 0x8000, v0, v14
	v_lshl_or_b32 v0, v13, 7, v0
	s_delay_alu instid0(VALU_DEP_1)
	v_cvt_f32_f16_e64 v162, v0
.LBB352_1967:                           ;   in Loop: Header=BB352_1062 Depth=1
	s_or_b32 exec_lo, exec_lo, s15
.LBB352_1968:                           ;   in Loop: Header=BB352_1062 Depth=1
	s_delay_alu instid0(SALU_CYCLE_1)
	s_or_b32 exec_lo, exec_lo, s13
.LBB352_1969:                           ;   in Loop: Header=BB352_1062 Depth=1
	s_delay_alu instid0(SALU_CYCLE_1) | instskip(SKIP_3) | instid1(VALU_DEP_2)
	s_or_b32 exec_lo, exec_lo, s12
	v_lshrrev_b32_e32 v164, 16, v12
	v_mov_b32_e32 v13, 0
	s_mov_b32 s12, exec_lo
	v_dual_mov_b32 v163, 0 :: v_dual_and_b32 v0, 0xff, v164
	s_delay_alu instid0(VALU_DEP_1)
	v_cmpx_ne_u16_e32 0, v0
	s_cbranch_execz .LBB352_1977
; %bb.1970:                             ;   in Loop: Header=BB352_1062 Depth=1
	v_bfrev_b32_e32 v13, 1
	s_mov_b32 s13, exec_lo
	v_cmpx_ne_u16_e32 0x80, v0
	s_cbranch_execz .LBB352_1976
; %bb.1971:                             ;   in Loop: Header=BB352_1062 Depth=1
	v_bfe_u32 v166, v12, 16, 7
	v_mov_b32_e32 v13, 0x7fc02000
	s_mov_b32 s15, exec_lo
	s_delay_alu instid0(VALU_DEP_2)
	v_cmpx_ne_u32_e32 0x7f, v166
	s_cbranch_execz .LBB352_1975
; %bb.1972:                             ;   in Loop: Header=BB352_1062 Depth=1
	v_and_b32_e32 v0, 7, v164
	v_lshrrev_b32_e32 v165, 3, v166
	v_mov_b32_e32 v14, v1
	s_mov_b32 s16, exec_lo
	s_delay_alu instid0(VALU_DEP_3)
	v_mov_b32_e32 v13, v0
	v_cmpx_gt_u32_e32 8, v166
; %bb.1973:                             ;   in Loop: Header=BB352_1062 Depth=1
	v_clz_i32_u32_e32 v13, v0
	s_delay_alu instid0(VALU_DEP_1) | instskip(NEXT) | instid1(VALU_DEP_1)
	v_min_u32_e32 v165, 32, v13
	v_subrev_nc_u32_e32 v13, 28, v165
	v_sub_nc_u32_e32 v165, 29, v165
	s_delay_alu instid0(VALU_DEP_2) | instskip(NEXT) | instid1(VALU_DEP_1)
	v_lshlrev_b64 v[13:14], v13, v[0:1]
	v_and_b32_e32 v13, 7, v13
; %bb.1974:                             ;   in Loop: Header=BB352_1062 Depth=1
	s_or_b32 exec_lo, exec_lo, s16
	v_lshlrev_b32_e32 v0, 8, v164
	v_lshl_add_u32 v14, v165, 10, 0x2000
	s_delay_alu instid0(VALU_DEP_1) | instskip(NEXT) | instid1(VALU_DEP_1)
	v_and_or_b32 v0, 0x8000, v0, v14
	v_lshl_or_b32 v0, v13, 7, v0
	s_delay_alu instid0(VALU_DEP_1)
	v_cvt_f32_f16_e32 v13, v0
.LBB352_1975:                           ;   in Loop: Header=BB352_1062 Depth=1
	s_or_b32 exec_lo, exec_lo, s15
.LBB352_1976:                           ;   in Loop: Header=BB352_1062 Depth=1
	s_delay_alu instid0(SALU_CYCLE_1)
	s_or_b32 exec_lo, exec_lo, s13
.LBB352_1977:                           ;   in Loop: Header=BB352_1062 Depth=1
	s_delay_alu instid0(SALU_CYCLE_1) | instskip(NEXT) | instid1(SALU_CYCLE_1)
	s_or_b32 exec_lo, exec_lo, s12
	s_mov_b32 s12, exec_lo
	v_cmpx_lt_u64_e64 s[8:9], v[11:12]
	s_cbranch_execz .LBB352_1985
; %bb.1978:                             ;   in Loop: Header=BB352_1062 Depth=1
	v_lshrrev_b32_e32 v14, 24, v12
	v_bfrev_b32_e32 v163, 1
	s_mov_b32 s13, exec_lo
	s_delay_alu instid0(VALU_DEP_2)
	v_cmpx_ne_u32_e32 0x80, v14
	s_cbranch_execz .LBB352_1984
; %bb.1979:                             ;   in Loop: Header=BB352_1062 Depth=1
	v_and_b32_e32 v164, 0x7f, v14
	v_mov_b32_e32 v163, 0x7fc02000
	s_mov_b32 s15, exec_lo
	s_delay_alu instid0(VALU_DEP_2)
	v_cmpx_ne_u32_e32 0x7f, v164
	s_cbranch_execz .LBB352_1983
; %bb.1980:                             ;   in Loop: Header=BB352_1062 Depth=1
	v_and_b32_e32 v0, 7, v14
	v_lshrrev_b32_e32 v163, 3, v164
	v_mov_b32_e32 v12, v1
	s_mov_b32 s16, exec_lo
	s_delay_alu instid0(VALU_DEP_3)
	v_mov_b32_e32 v11, v0
	v_cmpx_gt_u32_e32 8, v164
; %bb.1981:                             ;   in Loop: Header=BB352_1062 Depth=1
	v_clz_i32_u32_e32 v11, v0
	s_delay_alu instid0(VALU_DEP_1) | instskip(NEXT) | instid1(VALU_DEP_1)
	v_min_u32_e32 v163, 32, v11
	v_subrev_nc_u32_e32 v11, 28, v163
	v_sub_nc_u32_e32 v163, 29, v163
	s_delay_alu instid0(VALU_DEP_2) | instskip(NEXT) | instid1(VALU_DEP_1)
	v_lshlrev_b64 v[11:12], v11, v[0:1]
	v_and_b32_e32 v11, 7, v11
; %bb.1982:                             ;   in Loop: Header=BB352_1062 Depth=1
	s_or_b32 exec_lo, exec_lo, s16
	v_lshlrev_b32_e32 v0, 8, v14
	v_lshl_add_u32 v12, v163, 10, 0x2000
	s_delay_alu instid0(VALU_DEP_1) | instskip(NEXT) | instid1(VALU_DEP_1)
	v_and_or_b32 v0, 0x8000, v0, v12
	v_lshl_or_b32 v0, v11, 7, v0
	s_delay_alu instid0(VALU_DEP_1)
	v_cvt_f32_f16_e64 v163, v0
.LBB352_1983:                           ;   in Loop: Header=BB352_1062 Depth=1
	s_or_b32 exec_lo, exec_lo, s15
.LBB352_1984:                           ;   in Loop: Header=BB352_1062 Depth=1
	s_delay_alu instid0(SALU_CYCLE_1)
	s_or_b32 exec_lo, exec_lo, s13
.LBB352_1985:                           ;   in Loop: Header=BB352_1062 Depth=1
	s_delay_alu instid0(SALU_CYCLE_1)
	s_or_b32 exec_lo, exec_lo, s12
	s_waitcnt vmcnt(0) lgkmcnt(0)
	v_fma_mixlo_f16 v12, v148, v150, 0
	v_fma_mixlo_f16 v0, v148, v160, 0
	;; [unrolled: 1-line block ×5, first 2 shown]
	v_lshlrev_b32_e32 v14, 16, v12
	v_fma_mixlo_f16 v151, v148, v161, 0
	v_fma_mixlo_f16 v160, v148, v163, 0
	v_fma_mixlo_f16 v12, v148, v13, 0
	v_lshlrev_b32_e32 v0, 16, v0
	v_and_b32_e32 v11, 0xffff, v11
	v_and_b32_e32 v148, 0xffff, v149
	v_lshlrev_b32_e32 v149, 16, v150
	v_and_b32_e32 v150, 0xffff, v151
	v_lshlrev_b32_e32 v151, 16, v160
	v_and_b32_e32 v160, 0xffff, v12
	v_or_b32_e32 v13, v0, v11
	v_or_b32_e32 v14, v14, v148
	;; [unrolled: 1-line block ×3, first 2 shown]
	s_delay_alu instid0(VALU_DEP_4)
	v_or_b32_e32 v11, v151, v160
	s_and_saveexec_b32 s12, vcc_lo
	s_cbranch_execz .LBB352_1987
; %bb.1986:                             ;   in Loop: Header=BB352_1062 Depth=1
	v_cmp_lt_i32_e64 s0, v19, v38
	v_lshrrev_b32_e32 v148, 16, v14
	v_lshrrev_b32_e32 v149, 16, v13
	;; [unrolled: 1-line block ×4, first 2 shown]
	v_cndmask_b32_e64 v14, 0, v14, s0
	v_cmp_lt_i32_e64 s0, v99, v55
	s_delay_alu instid0(VALU_DEP_1) | instskip(SKIP_1) | instid1(VALU_DEP_2)
	v_cndmask_b32_e64 v148, 0, v148, s0
	v_cmp_lt_i32_e64 s0, v98, v55
	v_perm_b32 v14, v148, v14, 0x5040100
	s_delay_alu instid0(VALU_DEP_2) | instskip(SKIP_1) | instid1(VALU_DEP_1)
	v_cndmask_b32_e64 v149, 0, v149, s0
	v_cmp_lt_i32_e64 s0, v96, v38
	v_cndmask_b32_e64 v13, 0, v13, s0
	v_cmp_lt_i32_e64 s0, v84, v55
	s_delay_alu instid0(VALU_DEP_2) | instskip(NEXT) | instid1(VALU_DEP_2)
	v_perm_b32 v13, v149, v13, 0x5040100
	v_cndmask_b32_e64 v150, 0, v150, s0
	v_cmp_lt_i32_e64 s0, v83, v38
	s_delay_alu instid0(VALU_DEP_1) | instskip(SKIP_1) | instid1(VALU_DEP_2)
	v_cndmask_b32_e64 v0, 0, v0, s0
	v_cmp_lt_i32_e64 s0, v81, v55
	v_perm_b32 v0, v150, v0, 0x5040100
	s_delay_alu instid0(VALU_DEP_2) | instskip(SKIP_1) | instid1(VALU_DEP_1)
	v_cndmask_b32_e64 v11, 0, v11, s0
	v_cmp_lt_i32_e64 s0, v64, v38
	v_cndmask_b32_e64 v12, 0, v12, s0
	s_delay_alu instid0(VALU_DEP_1)
	v_perm_b32 v11, v11, v12, 0x5040100
.LBB352_1987:                           ;   in Loop: Header=BB352_1062 Depth=1
	s_or_b32 exec_lo, exec_lo, s12
	;;#ASMSTART
	v_pk_mul_f16 v12, v97, v14;

	;;#ASMEND
	;;#ASMSTART
	v_pk_mul_f16 v13, v87, v13;

	;;#ASMEND
	;; [unrolled: 4-line block ×4, first 2 shown]
	;;#ASMSTART
	v_pk_add_f16 v12, v12, v13;

	;;#ASMEND
	;;#ASMSTART
	v_pk_add_f16 v0, v12, v0;

	;;#ASMEND
	;; [unrolled: 4-line block ×3, first 2 shown]
	v_dual_mov_b32 v160, 0 :: v_dual_and_b32 v11, 0xffff, v0
	v_lshrrev_b32_e32 v0, 16, v0
	;;#ASMSTART
	v_cvt_f32_f16 v148, v11;
	;;#ASMEND
	;;#ASMSTART
	v_cvt_f32_f16 v149, v0;
	;;#ASMEND
	flat_load_b64 v[11:12], v[9:10] offset:3584
	flat_load_b32 v150, v[26:27]
	s_mov_b32 s12, exec_lo
	s_waitcnt vmcnt(1) lgkmcnt(1)
	v_dual_mov_b32 v151, 0 :: v_dual_and_b32 v0, 0xff, v11
	s_delay_alu instid0(VALU_DEP_1)
	v_cmpx_ne_u16_e32 0, v0
	s_cbranch_execz .LBB352_1995
; %bb.1988:                             ;   in Loop: Header=BB352_1062 Depth=1
	v_bfrev_b32_e32 v151, 1
	s_mov_b32 s13, exec_lo
	v_cmpx_ne_u16_e32 0x80, v0
	s_cbranch_execz .LBB352_1994
; %bb.1989:                             ;   in Loop: Header=BB352_1062 Depth=1
	v_and_b32_e32 v13, 0x7f, v11
	v_mov_b32_e32 v151, 0x7fc02000
	s_mov_b32 s15, exec_lo
	s_delay_alu instid0(VALU_DEP_2)
	v_cmpx_ne_u32_e32 0x7f, v13
	s_cbranch_execz .LBB352_1993
; %bb.1990:                             ;   in Loop: Header=BB352_1062 Depth=1
	v_lshrrev_b32_e32 v0, 3, v13
	v_cmp_gt_u32_e64 s0, 8, v13
	v_dual_mov_b32 v14, v12 :: v_dual_mov_b32 v13, v11
	s_delay_alu instid0(VALU_DEP_2)
	s_and_saveexec_b32 s16, s0
; %bb.1991:                             ;   in Loop: Header=BB352_1062 Depth=1
	v_and_b32_e32 v0, 7, v11
	s_delay_alu instid0(VALU_DEP_1) | instskip(NEXT) | instid1(VALU_DEP_1)
	v_clz_i32_u32_e32 v0, v0
	v_min_u32_e32 v0, 32, v0
	s_delay_alu instid0(VALU_DEP_1) | instskip(SKIP_1) | instid1(VALU_DEP_2)
	v_subrev_nc_u32_e32 v13, 28, v0
	v_sub_nc_u32_e32 v0, 29, v0
	v_lshlrev_b64 v[13:14], v13, v[11:12]
; %bb.1992:                             ;   in Loop: Header=BB352_1062 Depth=1
	s_or_b32 exec_lo, exec_lo, s16
	v_lshlrev_b32_e32 v14, 8, v11
	s_delay_alu instid0(VALU_DEP_3) | instskip(NEXT) | instid1(VALU_DEP_3)
	v_lshl_add_u32 v0, v0, 10, 0x2000
	v_lshlrev_b32_e32 v13, 7, v13
	s_delay_alu instid0(VALU_DEP_2) | instskip(NEXT) | instid1(VALU_DEP_1)
	v_and_or_b32 v0, 0x8000, v14, v0
	v_and_or_b32 v0, 0x380, v13, v0
	s_delay_alu instid0(VALU_DEP_1)
	v_cvt_f32_f16_e64 v151, v0
.LBB352_1993:                           ;   in Loop: Header=BB352_1062 Depth=1
	s_or_b32 exec_lo, exec_lo, s15
.LBB352_1994:                           ;   in Loop: Header=BB352_1062 Depth=1
	s_delay_alu instid0(SALU_CYCLE_1)
	s_or_b32 exec_lo, exec_lo, s13
.LBB352_1995:                           ;   in Loop: Header=BB352_1062 Depth=1
	s_delay_alu instid0(SALU_CYCLE_1) | instskip(SKIP_2) | instid1(VALU_DEP_1)
	s_or_b32 exec_lo, exec_lo, s12
	v_lshrrev_b16 v0, 8, v11
	s_mov_b32 s12, exec_lo
	v_cmpx_ne_u16_e32 0, v0
	s_cbranch_execz .LBB352_2003
; %bb.1996:                             ;   in Loop: Header=BB352_1062 Depth=1
	v_bfrev_b32_e32 v160, 1
	s_mov_b32 s13, exec_lo
	v_cmpx_ne_u16_e32 0x80, v0
	s_cbranch_execz .LBB352_2002
; %bb.1997:                             ;   in Loop: Header=BB352_1062 Depth=1
	v_and_b32_e32 v161, 0xffff, v0
	v_mov_b32_e32 v160, 0x7fc02000
	s_mov_b32 s15, exec_lo
	s_delay_alu instid0(VALU_DEP_2) | instskip(NEXT) | instid1(VALU_DEP_1)
	v_and_b32_e32 v162, 0x7f, v161
	v_cmpx_ne_u32_e32 0x7f, v162
	s_cbranch_execz .LBB352_2001
; %bb.1998:                             ;   in Loop: Header=BB352_1062 Depth=1
	v_and_b32_e32 v0, 7, v161
	v_lshrrev_b32_e32 v160, 3, v162
	v_mov_b32_e32 v14, v1
	s_mov_b32 s16, exec_lo
	s_delay_alu instid0(VALU_DEP_3)
	v_mov_b32_e32 v13, v0
	v_cmpx_gt_u32_e32 8, v162
; %bb.1999:                             ;   in Loop: Header=BB352_1062 Depth=1
	v_clz_i32_u32_e32 v13, v0
	s_delay_alu instid0(VALU_DEP_1) | instskip(NEXT) | instid1(VALU_DEP_1)
	v_min_u32_e32 v160, 32, v13
	v_subrev_nc_u32_e32 v13, 28, v160
	v_sub_nc_u32_e32 v160, 29, v160
	s_delay_alu instid0(VALU_DEP_2) | instskip(NEXT) | instid1(VALU_DEP_1)
	v_lshlrev_b64 v[13:14], v13, v[0:1]
	v_and_b32_e32 v13, 7, v13
; %bb.2000:                             ;   in Loop: Header=BB352_1062 Depth=1
	s_or_b32 exec_lo, exec_lo, s16
	v_lshlrev_b32_e32 v0, 8, v161
	v_lshl_add_u32 v14, v160, 10, 0x2000
	s_delay_alu instid0(VALU_DEP_1) | instskip(NEXT) | instid1(VALU_DEP_1)
	v_and_or_b32 v0, 0x8000, v0, v14
	v_lshl_or_b32 v0, v13, 7, v0
	s_delay_alu instid0(VALU_DEP_1)
	v_cvt_f32_f16_e64 v160, v0
.LBB352_2001:                           ;   in Loop: Header=BB352_1062 Depth=1
	s_or_b32 exec_lo, exec_lo, s15
.LBB352_2002:                           ;   in Loop: Header=BB352_1062 Depth=1
	s_delay_alu instid0(SALU_CYCLE_1)
	s_or_b32 exec_lo, exec_lo, s13
.LBB352_2003:                           ;   in Loop: Header=BB352_1062 Depth=1
	s_delay_alu instid0(SALU_CYCLE_1) | instskip(SKIP_3) | instid1(VALU_DEP_2)
	s_or_b32 exec_lo, exec_lo, s12
	v_lshrrev_b32_e32 v163, 16, v11
	v_mov_b32_e32 v162, 0
	s_mov_b32 s12, exec_lo
	v_dual_mov_b32 v161, 0 :: v_dual_and_b32 v0, 0xff, v163
	s_delay_alu instid0(VALU_DEP_1)
	v_cmpx_ne_u16_e32 0, v0
	s_cbranch_execz .LBB352_2011
; %bb.2004:                             ;   in Loop: Header=BB352_1062 Depth=1
	v_bfrev_b32_e32 v161, 1
	s_mov_b32 s13, exec_lo
	v_cmpx_ne_u16_e32 0x80, v0
	s_cbranch_execz .LBB352_2010
; %bb.2005:                             ;   in Loop: Header=BB352_1062 Depth=1
	v_bfe_u32 v164, v11, 16, 7
	v_mov_b32_e32 v161, 0x7fc02000
	s_mov_b32 s15, exec_lo
	s_delay_alu instid0(VALU_DEP_2)
	v_cmpx_ne_u32_e32 0x7f, v164
	s_cbranch_execz .LBB352_2009
; %bb.2006:                             ;   in Loop: Header=BB352_1062 Depth=1
	v_and_b32_e32 v0, 7, v163
	v_lshrrev_b32_e32 v161, 3, v164
	v_mov_b32_e32 v14, v1
	s_mov_b32 s16, exec_lo
	s_delay_alu instid0(VALU_DEP_3)
	v_mov_b32_e32 v13, v0
	v_cmpx_gt_u32_e32 8, v164
; %bb.2007:                             ;   in Loop: Header=BB352_1062 Depth=1
	v_clz_i32_u32_e32 v13, v0
	s_delay_alu instid0(VALU_DEP_1) | instskip(NEXT) | instid1(VALU_DEP_1)
	v_min_u32_e32 v161, 32, v13
	v_subrev_nc_u32_e32 v13, 28, v161
	v_sub_nc_u32_e32 v161, 29, v161
	s_delay_alu instid0(VALU_DEP_2) | instskip(NEXT) | instid1(VALU_DEP_1)
	v_lshlrev_b64 v[13:14], v13, v[0:1]
	v_and_b32_e32 v13, 7, v13
; %bb.2008:                             ;   in Loop: Header=BB352_1062 Depth=1
	s_or_b32 exec_lo, exec_lo, s16
	v_lshlrev_b32_e32 v0, 8, v163
	v_lshl_add_u32 v14, v161, 10, 0x2000
	s_delay_alu instid0(VALU_DEP_1) | instskip(NEXT) | instid1(VALU_DEP_1)
	v_and_or_b32 v0, 0x8000, v0, v14
	v_lshl_or_b32 v0, v13, 7, v0
	s_delay_alu instid0(VALU_DEP_1)
	v_cvt_f32_f16_e64 v161, v0
.LBB352_2009:                           ;   in Loop: Header=BB352_1062 Depth=1
	s_or_b32 exec_lo, exec_lo, s15
.LBB352_2010:                           ;   in Loop: Header=BB352_1062 Depth=1
	s_delay_alu instid0(SALU_CYCLE_1)
	s_or_b32 exec_lo, exec_lo, s13
.LBB352_2011:                           ;   in Loop: Header=BB352_1062 Depth=1
	s_delay_alu instid0(SALU_CYCLE_1) | instskip(NEXT) | instid1(SALU_CYCLE_1)
	s_or_b32 exec_lo, exec_lo, s12
	s_mov_b32 s12, exec_lo
	v_cmpx_lt_u32_e32 0xffffff, v11
	s_cbranch_execz .LBB352_2019
; %bb.2012:                             ;   in Loop: Header=BB352_1062 Depth=1
	v_lshrrev_b32_e32 v163, 24, v11
	v_bfrev_b32_e32 v162, 1
	s_mov_b32 s13, exec_lo
	s_delay_alu instid0(VALU_DEP_2)
	v_cmpx_ne_u32_e32 0x80, v163
	s_cbranch_execz .LBB352_2018
; %bb.2013:                             ;   in Loop: Header=BB352_1062 Depth=1
	v_and_b32_e32 v164, 0x7f, v163
	v_mov_b32_e32 v162, 0x7fc02000
	s_mov_b32 s15, exec_lo
	s_delay_alu instid0(VALU_DEP_2)
	v_cmpx_ne_u32_e32 0x7f, v164
	s_cbranch_execz .LBB352_2017
; %bb.2014:                             ;   in Loop: Header=BB352_1062 Depth=1
	v_and_b32_e32 v0, 7, v163
	v_lshrrev_b32_e32 v162, 3, v164
	v_mov_b32_e32 v14, v1
	s_mov_b32 s16, exec_lo
	s_delay_alu instid0(VALU_DEP_3)
	v_mov_b32_e32 v13, v0
	v_cmpx_gt_u32_e32 8, v164
; %bb.2015:                             ;   in Loop: Header=BB352_1062 Depth=1
	v_clz_i32_u32_e32 v13, v0
	s_delay_alu instid0(VALU_DEP_1) | instskip(NEXT) | instid1(VALU_DEP_1)
	v_min_u32_e32 v162, 32, v13
	v_subrev_nc_u32_e32 v13, 28, v162
	v_sub_nc_u32_e32 v162, 29, v162
	s_delay_alu instid0(VALU_DEP_2) | instskip(NEXT) | instid1(VALU_DEP_1)
	v_lshlrev_b64 v[13:14], v13, v[0:1]
	v_and_b32_e32 v13, 7, v13
; %bb.2016:                             ;   in Loop: Header=BB352_1062 Depth=1
	s_or_b32 exec_lo, exec_lo, s16
	v_lshlrev_b32_e32 v0, 8, v163
	v_lshl_add_u32 v14, v162, 10, 0x2000
	s_delay_alu instid0(VALU_DEP_1) | instskip(NEXT) | instid1(VALU_DEP_1)
	v_and_or_b32 v0, 0x8000, v0, v14
	v_lshl_or_b32 v0, v13, 7, v0
	s_delay_alu instid0(VALU_DEP_1)
	v_cvt_f32_f16_e64 v162, v0
.LBB352_2017:                           ;   in Loop: Header=BB352_1062 Depth=1
	s_or_b32 exec_lo, exec_lo, s15
.LBB352_2018:                           ;   in Loop: Header=BB352_1062 Depth=1
	s_delay_alu instid0(SALU_CYCLE_1)
	s_or_b32 exec_lo, exec_lo, s13
.LBB352_2019:                           ;   in Loop: Header=BB352_1062 Depth=1
	s_delay_alu instid0(SALU_CYCLE_1) | instskip(SKIP_3) | instid1(VALU_DEP_2)
	s_or_b32 exec_lo, exec_lo, s12
	v_dual_mov_b32 v0, v12 :: v_dual_and_b32 v13, 0xff, v12
	v_dual_mov_b32 v164, 0 :: v_dual_mov_b32 v163, 0
	s_mov_b32 s12, exec_lo
	v_cmpx_ne_u16_e32 0, v13
	s_cbranch_execz .LBB352_2027
; %bb.2020:                             ;   in Loop: Header=BB352_1062 Depth=1
	v_bfrev_b32_e32 v163, 1
	s_mov_b32 s13, exec_lo
	v_cmpx_ne_u16_e32 0x80, v13
	s_cbranch_execz .LBB352_2026
; %bb.2021:                             ;   in Loop: Header=BB352_1062 Depth=1
	v_and_b32_e32 v165, 0x7f, v12
	v_mov_b32_e32 v163, 0x7fc02000
	s_mov_b32 s15, exec_lo
	s_delay_alu instid0(VALU_DEP_2)
	v_cmpx_ne_u32_e32 0x7f, v165
	s_cbranch_execz .LBB352_2025
; %bb.2022:                             ;   in Loop: Header=BB352_1062 Depth=1
	v_dual_mov_b32 v14, v1 :: v_dual_mov_b32 v13, v0
	v_lshrrev_b32_e32 v14, 3, v165
	s_mov_b32 s16, exec_lo
	v_cmpx_gt_u32_e32 8, v165
; %bb.2023:                             ;   in Loop: Header=BB352_1062 Depth=1
	v_and_b32_e32 v13, 7, v12
	s_delay_alu instid0(VALU_DEP_1) | instskip(NEXT) | instid1(VALU_DEP_1)
	v_clz_i32_u32_e32 v13, v13
	v_min_u32_e32 v163, 32, v13
	s_delay_alu instid0(VALU_DEP_1) | instskip(NEXT) | instid1(VALU_DEP_1)
	v_subrev_nc_u32_e32 v13, 28, v163
	v_lshlrev_b64 v[13:14], v13, v[0:1]
	v_sub_nc_u32_e32 v14, 29, v163
; %bb.2024:                             ;   in Loop: Header=BB352_1062 Depth=1
	s_or_b32 exec_lo, exec_lo, s16
	v_lshlrev_b32_e32 v163, 8, v12
	s_delay_alu instid0(VALU_DEP_2) | instskip(NEXT) | instid1(VALU_DEP_4)
	v_lshl_add_u32 v14, v14, 10, 0x2000
	v_lshlrev_b32_e32 v13, 7, v13
	s_delay_alu instid0(VALU_DEP_2) | instskip(NEXT) | instid1(VALU_DEP_1)
	v_and_or_b32 v14, 0x8000, v163, v14
	v_and_or_b32 v13, 0x380, v13, v14
	s_delay_alu instid0(VALU_DEP_1)
	v_cvt_f32_f16_e64 v163, v13
.LBB352_2025:                           ;   in Loop: Header=BB352_1062 Depth=1
	s_or_b32 exec_lo, exec_lo, s15
.LBB352_2026:                           ;   in Loop: Header=BB352_1062 Depth=1
	s_delay_alu instid0(SALU_CYCLE_1)
	s_or_b32 exec_lo, exec_lo, s13
.LBB352_2027:                           ;   in Loop: Header=BB352_1062 Depth=1
	s_delay_alu instid0(SALU_CYCLE_1) | instskip(SKIP_2) | instid1(VALU_DEP_1)
	s_or_b32 exec_lo, exec_lo, s12
	v_lshrrev_b16 v0, 8, v0
	s_mov_b32 s12, exec_lo
	v_cmpx_ne_u16_e32 0, v0
	s_cbranch_execz .LBB352_2035
; %bb.2028:                             ;   in Loop: Header=BB352_1062 Depth=1
	v_bfrev_b32_e32 v164, 1
	s_mov_b32 s13, exec_lo
	v_cmpx_ne_u16_e32 0x80, v0
	s_cbranch_execz .LBB352_2034
; %bb.2029:                             ;   in Loop: Header=BB352_1062 Depth=1
	v_and_b32_e32 v165, 0xffff, v0
	v_mov_b32_e32 v164, 0x7fc02000
	s_mov_b32 s15, exec_lo
	s_delay_alu instid0(VALU_DEP_2) | instskip(NEXT) | instid1(VALU_DEP_1)
	v_and_b32_e32 v166, 0x7f, v165
	v_cmpx_ne_u32_e32 0x7f, v166
	s_cbranch_execz .LBB352_2033
; %bb.2030:                             ;   in Loop: Header=BB352_1062 Depth=1
	v_and_b32_e32 v0, 7, v165
	v_lshrrev_b32_e32 v164, 3, v166
	v_mov_b32_e32 v14, v1
	s_mov_b32 s16, exec_lo
	s_delay_alu instid0(VALU_DEP_3)
	v_mov_b32_e32 v13, v0
	v_cmpx_gt_u32_e32 8, v166
; %bb.2031:                             ;   in Loop: Header=BB352_1062 Depth=1
	v_clz_i32_u32_e32 v13, v0
	s_delay_alu instid0(VALU_DEP_1) | instskip(NEXT) | instid1(VALU_DEP_1)
	v_min_u32_e32 v164, 32, v13
	v_subrev_nc_u32_e32 v13, 28, v164
	v_sub_nc_u32_e32 v164, 29, v164
	s_delay_alu instid0(VALU_DEP_2) | instskip(NEXT) | instid1(VALU_DEP_1)
	v_lshlrev_b64 v[13:14], v13, v[0:1]
	v_and_b32_e32 v13, 7, v13
; %bb.2032:                             ;   in Loop: Header=BB352_1062 Depth=1
	s_or_b32 exec_lo, exec_lo, s16
	v_lshlrev_b32_e32 v0, 8, v165
	v_lshl_add_u32 v14, v164, 10, 0x2000
	s_delay_alu instid0(VALU_DEP_1) | instskip(NEXT) | instid1(VALU_DEP_1)
	v_and_or_b32 v0, 0x8000, v0, v14
	v_lshl_or_b32 v0, v13, 7, v0
	s_delay_alu instid0(VALU_DEP_1)
	v_cvt_f32_f16_e64 v164, v0
.LBB352_2033:                           ;   in Loop: Header=BB352_1062 Depth=1
	s_or_b32 exec_lo, exec_lo, s15
.LBB352_2034:                           ;   in Loop: Header=BB352_1062 Depth=1
	s_delay_alu instid0(SALU_CYCLE_1)
	s_or_b32 exec_lo, exec_lo, s13
.LBB352_2035:                           ;   in Loop: Header=BB352_1062 Depth=1
	s_delay_alu instid0(SALU_CYCLE_1) | instskip(SKIP_3) | instid1(VALU_DEP_2)
	s_or_b32 exec_lo, exec_lo, s12
	v_lshrrev_b32_e32 v166, 16, v12
	v_mov_b32_e32 v13, 0
	s_mov_b32 s12, exec_lo
	v_dual_mov_b32 v165, 0 :: v_dual_and_b32 v0, 0xff, v166
	s_delay_alu instid0(VALU_DEP_1)
	v_cmpx_ne_u16_e32 0, v0
	s_cbranch_execz .LBB352_2043
; %bb.2036:                             ;   in Loop: Header=BB352_1062 Depth=1
	v_bfrev_b32_e32 v13, 1
	s_mov_b32 s13, exec_lo
	v_cmpx_ne_u16_e32 0x80, v0
	s_cbranch_execz .LBB352_2042
; %bb.2037:                             ;   in Loop: Header=BB352_1062 Depth=1
	v_bfe_u32 v176, v12, 16, 7
	v_mov_b32_e32 v13, 0x7fc02000
	s_mov_b32 s15, exec_lo
	s_delay_alu instid0(VALU_DEP_2)
	v_cmpx_ne_u32_e32 0x7f, v176
	s_cbranch_execz .LBB352_2041
; %bb.2038:                             ;   in Loop: Header=BB352_1062 Depth=1
	v_and_b32_e32 v0, 7, v166
	v_lshrrev_b32_e32 v167, 3, v176
	v_mov_b32_e32 v14, v1
	s_mov_b32 s16, exec_lo
	s_delay_alu instid0(VALU_DEP_3)
	v_mov_b32_e32 v13, v0
	v_cmpx_gt_u32_e32 8, v176
; %bb.2039:                             ;   in Loop: Header=BB352_1062 Depth=1
	v_clz_i32_u32_e32 v13, v0
	s_delay_alu instid0(VALU_DEP_1) | instskip(NEXT) | instid1(VALU_DEP_1)
	v_min_u32_e32 v167, 32, v13
	v_subrev_nc_u32_e32 v13, 28, v167
	v_sub_nc_u32_e32 v167, 29, v167
	s_delay_alu instid0(VALU_DEP_2) | instskip(NEXT) | instid1(VALU_DEP_1)
	v_lshlrev_b64 v[13:14], v13, v[0:1]
	v_and_b32_e32 v13, 7, v13
; %bb.2040:                             ;   in Loop: Header=BB352_1062 Depth=1
	s_or_b32 exec_lo, exec_lo, s16
	v_lshlrev_b32_e32 v0, 8, v166
	v_lshl_add_u32 v14, v167, 10, 0x2000
	s_delay_alu instid0(VALU_DEP_1) | instskip(NEXT) | instid1(VALU_DEP_1)
	v_and_or_b32 v0, 0x8000, v0, v14
	v_lshl_or_b32 v0, v13, 7, v0
	s_delay_alu instid0(VALU_DEP_1)
	v_cvt_f32_f16_e32 v13, v0
.LBB352_2041:                           ;   in Loop: Header=BB352_1062 Depth=1
	s_or_b32 exec_lo, exec_lo, s15
.LBB352_2042:                           ;   in Loop: Header=BB352_1062 Depth=1
	s_delay_alu instid0(SALU_CYCLE_1)
	s_or_b32 exec_lo, exec_lo, s13
.LBB352_2043:                           ;   in Loop: Header=BB352_1062 Depth=1
	s_delay_alu instid0(SALU_CYCLE_1) | instskip(NEXT) | instid1(SALU_CYCLE_1)
	s_or_b32 exec_lo, exec_lo, s12
	s_mov_b32 s12, exec_lo
	v_cmpx_lt_u64_e64 s[8:9], v[11:12]
	s_cbranch_execz .LBB352_2051
; %bb.2044:                             ;   in Loop: Header=BB352_1062 Depth=1
	v_lshrrev_b32_e32 v14, 24, v12
	v_bfrev_b32_e32 v165, 1
	s_mov_b32 s13, exec_lo
	s_delay_alu instid0(VALU_DEP_2)
	v_cmpx_ne_u32_e32 0x80, v14
	s_cbranch_execz .LBB352_2050
; %bb.2045:                             ;   in Loop: Header=BB352_1062 Depth=1
	v_and_b32_e32 v166, 0x7f, v14
	v_mov_b32_e32 v165, 0x7fc02000
	s_mov_b32 s15, exec_lo
	s_delay_alu instid0(VALU_DEP_2)
	v_cmpx_ne_u32_e32 0x7f, v166
	s_cbranch_execz .LBB352_2049
; %bb.2046:                             ;   in Loop: Header=BB352_1062 Depth=1
	v_and_b32_e32 v0, 7, v14
	v_lshrrev_b32_e32 v165, 3, v166
	v_mov_b32_e32 v12, v1
	s_mov_b32 s16, exec_lo
	s_delay_alu instid0(VALU_DEP_3)
	v_mov_b32_e32 v11, v0
	v_cmpx_gt_u32_e32 8, v166
; %bb.2047:                             ;   in Loop: Header=BB352_1062 Depth=1
	v_clz_i32_u32_e32 v11, v0
	s_delay_alu instid0(VALU_DEP_1) | instskip(NEXT) | instid1(VALU_DEP_1)
	v_min_u32_e32 v165, 32, v11
	v_subrev_nc_u32_e32 v11, 28, v165
	v_sub_nc_u32_e32 v165, 29, v165
	s_delay_alu instid0(VALU_DEP_2) | instskip(NEXT) | instid1(VALU_DEP_1)
	v_lshlrev_b64 v[11:12], v11, v[0:1]
	v_and_b32_e32 v11, 7, v11
; %bb.2048:                             ;   in Loop: Header=BB352_1062 Depth=1
	s_or_b32 exec_lo, exec_lo, s16
	v_lshlrev_b32_e32 v0, 8, v14
	v_lshl_add_u32 v12, v165, 10, 0x2000
	s_delay_alu instid0(VALU_DEP_1) | instskip(NEXT) | instid1(VALU_DEP_1)
	v_and_or_b32 v0, 0x8000, v0, v12
	v_lshl_or_b32 v0, v11, 7, v0
	s_delay_alu instid0(VALU_DEP_1)
	v_cvt_f32_f16_e64 v165, v0
.LBB352_2049:                           ;   in Loop: Header=BB352_1062 Depth=1
	s_or_b32 exec_lo, exec_lo, s15
.LBB352_2050:                           ;   in Loop: Header=BB352_1062 Depth=1
	s_delay_alu instid0(SALU_CYCLE_1)
	s_or_b32 exec_lo, exec_lo, s13
.LBB352_2051:                           ;   in Loop: Header=BB352_1062 Depth=1
	s_delay_alu instid0(SALU_CYCLE_1)
	s_or_b32 exec_lo, exec_lo, s12
	s_waitcnt vmcnt(0) lgkmcnt(0)
	v_fma_mixlo_f16 v12, v150, v160, 0
	v_fma_mixlo_f16 v0, v150, v162, 0
	v_fma_mixlo_f16 v11, v150, v161, 0
	v_fma_mixlo_f16 v151, v150, v151, 0
	v_fma_mixlo_f16 v160, v150, v164, 0
	v_lshlrev_b32_e32 v14, 16, v12
	v_fma_mixlo_f16 v161, v150, v163, 0
	v_fma_mixlo_f16 v162, v150, v165, 0
	;; [unrolled: 1-line block ×3, first 2 shown]
	v_lshlrev_b32_e32 v0, 16, v0
	v_and_b32_e32 v11, 0xffff, v11
	v_and_b32_e32 v150, 0xffff, v151
	v_lshlrev_b32_e32 v151, 16, v160
	v_and_b32_e32 v160, 0xffff, v161
	v_lshlrev_b32_e32 v161, 16, v162
	v_and_b32_e32 v162, 0xffff, v12
	v_or_b32_e32 v13, v0, v11
	v_or_b32_e32 v14, v14, v150
	v_or_b32_e32 v0, v151, v160
	s_delay_alu instid0(VALU_DEP_4)
	v_or_b32_e32 v11, v161, v162
	s_and_saveexec_b32 s12, vcc_lo
	s_cbranch_execz .LBB352_2053
; %bb.2052:                             ;   in Loop: Header=BB352_1062 Depth=1
	v_cmp_lt_i32_e64 s0, v19, v38
	v_lshrrev_b32_e32 v150, 16, v14
	v_lshrrev_b32_e32 v151, 16, v13
	;; [unrolled: 1-line block ×4, first 2 shown]
	v_cndmask_b32_e64 v14, 0, v14, s0
	v_cmp_lt_i32_e64 s0, v99, v55
	s_delay_alu instid0(VALU_DEP_1) | instskip(SKIP_1) | instid1(VALU_DEP_2)
	v_cndmask_b32_e64 v150, 0, v150, s0
	v_cmp_lt_i32_e64 s0, v98, v55
	v_perm_b32 v14, v150, v14, 0x5040100
	s_delay_alu instid0(VALU_DEP_2) | instskip(SKIP_1) | instid1(VALU_DEP_1)
	v_cndmask_b32_e64 v151, 0, v151, s0
	v_cmp_lt_i32_e64 s0, v96, v38
	v_cndmask_b32_e64 v13, 0, v13, s0
	v_cmp_lt_i32_e64 s0, v84, v55
	s_delay_alu instid0(VALU_DEP_2) | instskip(NEXT) | instid1(VALU_DEP_2)
	v_perm_b32 v13, v151, v13, 0x5040100
	v_cndmask_b32_e64 v160, 0, v160, s0
	v_cmp_lt_i32_e64 s0, v83, v38
	s_delay_alu instid0(VALU_DEP_1) | instskip(SKIP_1) | instid1(VALU_DEP_2)
	v_cndmask_b32_e64 v0, 0, v0, s0
	v_cmp_lt_i32_e64 s0, v81, v55
	v_perm_b32 v0, v160, v0, 0x5040100
	s_delay_alu instid0(VALU_DEP_2) | instskip(SKIP_1) | instid1(VALU_DEP_1)
	v_cndmask_b32_e64 v11, 0, v11, s0
	v_cmp_lt_i32_e64 s0, v64, v38
	v_cndmask_b32_e64 v12, 0, v12, s0
	s_delay_alu instid0(VALU_DEP_1)
	v_perm_b32 v11, v11, v12, 0x5040100
.LBB352_2053:                           ;   in Loop: Header=BB352_1062 Depth=1
	s_or_b32 exec_lo, exec_lo, s12
	;;#ASMSTART
	v_pk_mul_f16 v12, v97, v14;

	;;#ASMEND
	;;#ASMSTART
	v_pk_mul_f16 v13, v87, v13;

	;;#ASMEND
	;;#ASMSTART
	v_pk_mul_f16 v0, v86, v0;

	;;#ASMEND
	;;#ASMSTART
	v_pk_mul_f16 v11, v85, v11;

	;;#ASMEND
	;;#ASMSTART
	v_pk_add_f16 v12, v12, v13;

	;;#ASMEND
	;;#ASMSTART
	v_pk_add_f16 v0, v12, v0;

	;;#ASMEND
	;; [unrolled: 4-line block ×3, first 2 shown]
	v_dual_mov_b32 v160, 0 :: v_dual_and_b32 v11, 0xffff, v0
	v_lshrrev_b32_e32 v0, 16, v0
	;;#ASMSTART
	v_cvt_f32_f16 v13, v11;
	;;#ASMEND
	;;#ASMSTART
	v_cvt_f32_f16 v14, v0;
	;;#ASMEND
	flat_load_b64 v[9:10], v[9:10] offset:3840
	flat_load_b32 v150, v[26:27]
	s_mov_b32 s12, exec_lo
	s_waitcnt vmcnt(1) lgkmcnt(1)
	v_dual_mov_b32 v151, 0 :: v_dual_and_b32 v0, 0xff, v9
	s_delay_alu instid0(VALU_DEP_1)
	v_cmpx_ne_u16_e32 0, v0
	s_cbranch_execz .LBB352_2061
; %bb.2054:                             ;   in Loop: Header=BB352_1062 Depth=1
	v_bfrev_b32_e32 v151, 1
	s_mov_b32 s13, exec_lo
	v_cmpx_ne_u16_e32 0x80, v0
	s_cbranch_execz .LBB352_2060
; %bb.2055:                             ;   in Loop: Header=BB352_1062 Depth=1
	v_and_b32_e32 v11, 0x7f, v9
	v_mov_b32_e32 v151, 0x7fc02000
	s_mov_b32 s15, exec_lo
	s_delay_alu instid0(VALU_DEP_2)
	v_cmpx_ne_u32_e32 0x7f, v11
	s_cbranch_execz .LBB352_2059
; %bb.2056:                             ;   in Loop: Header=BB352_1062 Depth=1
	v_lshrrev_b32_e32 v0, 3, v11
	v_cmp_gt_u32_e64 s0, 8, v11
	v_dual_mov_b32 v12, v10 :: v_dual_mov_b32 v11, v9
	s_delay_alu instid0(VALU_DEP_2)
	s_and_saveexec_b32 s16, s0
; %bb.2057:                             ;   in Loop: Header=BB352_1062 Depth=1
	v_and_b32_e32 v0, 7, v9
	s_delay_alu instid0(VALU_DEP_1) | instskip(NEXT) | instid1(VALU_DEP_1)
	v_clz_i32_u32_e32 v0, v0
	v_min_u32_e32 v0, 32, v0
	s_delay_alu instid0(VALU_DEP_1) | instskip(SKIP_1) | instid1(VALU_DEP_2)
	v_subrev_nc_u32_e32 v11, 28, v0
	v_sub_nc_u32_e32 v0, 29, v0
	v_lshlrev_b64 v[11:12], v11, v[9:10]
; %bb.2058:                             ;   in Loop: Header=BB352_1062 Depth=1
	s_or_b32 exec_lo, exec_lo, s16
	v_lshlrev_b32_e32 v12, 8, v9
	s_delay_alu instid0(VALU_DEP_3) | instskip(NEXT) | instid1(VALU_DEP_3)
	v_lshl_add_u32 v0, v0, 10, 0x2000
	v_lshlrev_b32_e32 v11, 7, v11
	s_delay_alu instid0(VALU_DEP_2) | instskip(NEXT) | instid1(VALU_DEP_1)
	v_and_or_b32 v0, 0x8000, v12, v0
	v_and_or_b32 v0, 0x380, v11, v0
	s_delay_alu instid0(VALU_DEP_1)
	v_cvt_f32_f16_e64 v151, v0
.LBB352_2059:                           ;   in Loop: Header=BB352_1062 Depth=1
	s_or_b32 exec_lo, exec_lo, s15
.LBB352_2060:                           ;   in Loop: Header=BB352_1062 Depth=1
	s_delay_alu instid0(SALU_CYCLE_1)
	s_or_b32 exec_lo, exec_lo, s13
.LBB352_2061:                           ;   in Loop: Header=BB352_1062 Depth=1
	s_delay_alu instid0(SALU_CYCLE_1) | instskip(SKIP_2) | instid1(VALU_DEP_1)
	s_or_b32 exec_lo, exec_lo, s12
	v_lshrrev_b16 v0, 8, v9
	s_mov_b32 s12, exec_lo
	v_cmpx_ne_u16_e32 0, v0
	s_cbranch_execz .LBB352_2069
; %bb.2062:                             ;   in Loop: Header=BB352_1062 Depth=1
	v_bfrev_b32_e32 v160, 1
	s_mov_b32 s13, exec_lo
	v_cmpx_ne_u16_e32 0x80, v0
	s_cbranch_execz .LBB352_2068
; %bb.2063:                             ;   in Loop: Header=BB352_1062 Depth=1
	v_and_b32_e32 v161, 0xffff, v0
	v_mov_b32_e32 v160, 0x7fc02000
	s_mov_b32 s15, exec_lo
	s_delay_alu instid0(VALU_DEP_2) | instskip(NEXT) | instid1(VALU_DEP_1)
	v_and_b32_e32 v162, 0x7f, v161
	v_cmpx_ne_u32_e32 0x7f, v162
	s_cbranch_execz .LBB352_2067
; %bb.2064:                             ;   in Loop: Header=BB352_1062 Depth=1
	v_and_b32_e32 v0, 7, v161
	v_lshrrev_b32_e32 v160, 3, v162
	v_mov_b32_e32 v12, v1
	s_mov_b32 s16, exec_lo
	s_delay_alu instid0(VALU_DEP_3)
	v_mov_b32_e32 v11, v0
	v_cmpx_gt_u32_e32 8, v162
; %bb.2065:                             ;   in Loop: Header=BB352_1062 Depth=1
	v_clz_i32_u32_e32 v11, v0
	s_delay_alu instid0(VALU_DEP_1) | instskip(NEXT) | instid1(VALU_DEP_1)
	v_min_u32_e32 v160, 32, v11
	v_subrev_nc_u32_e32 v11, 28, v160
	v_sub_nc_u32_e32 v160, 29, v160
	s_delay_alu instid0(VALU_DEP_2) | instskip(NEXT) | instid1(VALU_DEP_1)
	v_lshlrev_b64 v[11:12], v11, v[0:1]
	v_and_b32_e32 v11, 7, v11
; %bb.2066:                             ;   in Loop: Header=BB352_1062 Depth=1
	s_or_b32 exec_lo, exec_lo, s16
	v_lshlrev_b32_e32 v0, 8, v161
	v_lshl_add_u32 v12, v160, 10, 0x2000
	s_delay_alu instid0(VALU_DEP_1) | instskip(NEXT) | instid1(VALU_DEP_1)
	v_and_or_b32 v0, 0x8000, v0, v12
	v_lshl_or_b32 v0, v11, 7, v0
	s_delay_alu instid0(VALU_DEP_1)
	v_cvt_f32_f16_e64 v160, v0
.LBB352_2067:                           ;   in Loop: Header=BB352_1062 Depth=1
	s_or_b32 exec_lo, exec_lo, s15
.LBB352_2068:                           ;   in Loop: Header=BB352_1062 Depth=1
	s_delay_alu instid0(SALU_CYCLE_1)
	s_or_b32 exec_lo, exec_lo, s13
.LBB352_2069:                           ;   in Loop: Header=BB352_1062 Depth=1
	s_delay_alu instid0(SALU_CYCLE_1) | instskip(SKIP_3) | instid1(VALU_DEP_2)
	s_or_b32 exec_lo, exec_lo, s12
	v_lshrrev_b32_e32 v163, 16, v9
	v_mov_b32_e32 v162, 0
	s_mov_b32 s12, exec_lo
	v_dual_mov_b32 v161, 0 :: v_dual_and_b32 v0, 0xff, v163
	s_delay_alu instid0(VALU_DEP_1)
	v_cmpx_ne_u16_e32 0, v0
	s_cbranch_execz .LBB352_2077
; %bb.2070:                             ;   in Loop: Header=BB352_1062 Depth=1
	v_bfrev_b32_e32 v161, 1
	s_mov_b32 s13, exec_lo
	v_cmpx_ne_u16_e32 0x80, v0
	s_cbranch_execz .LBB352_2076
; %bb.2071:                             ;   in Loop: Header=BB352_1062 Depth=1
	v_bfe_u32 v164, v9, 16, 7
	v_mov_b32_e32 v161, 0x7fc02000
	s_mov_b32 s15, exec_lo
	s_delay_alu instid0(VALU_DEP_2)
	v_cmpx_ne_u32_e32 0x7f, v164
	s_cbranch_execz .LBB352_2075
; %bb.2072:                             ;   in Loop: Header=BB352_1062 Depth=1
	v_and_b32_e32 v0, 7, v163
	v_lshrrev_b32_e32 v161, 3, v164
	v_mov_b32_e32 v12, v1
	s_mov_b32 s16, exec_lo
	s_delay_alu instid0(VALU_DEP_3)
	v_mov_b32_e32 v11, v0
	v_cmpx_gt_u32_e32 8, v164
; %bb.2073:                             ;   in Loop: Header=BB352_1062 Depth=1
	v_clz_i32_u32_e32 v11, v0
	s_delay_alu instid0(VALU_DEP_1) | instskip(NEXT) | instid1(VALU_DEP_1)
	v_min_u32_e32 v161, 32, v11
	v_subrev_nc_u32_e32 v11, 28, v161
	v_sub_nc_u32_e32 v161, 29, v161
	s_delay_alu instid0(VALU_DEP_2) | instskip(NEXT) | instid1(VALU_DEP_1)
	v_lshlrev_b64 v[11:12], v11, v[0:1]
	v_and_b32_e32 v11, 7, v11
; %bb.2074:                             ;   in Loop: Header=BB352_1062 Depth=1
	s_or_b32 exec_lo, exec_lo, s16
	v_lshlrev_b32_e32 v0, 8, v163
	v_lshl_add_u32 v12, v161, 10, 0x2000
	s_delay_alu instid0(VALU_DEP_1) | instskip(NEXT) | instid1(VALU_DEP_1)
	v_and_or_b32 v0, 0x8000, v0, v12
	v_lshl_or_b32 v0, v11, 7, v0
	s_delay_alu instid0(VALU_DEP_1)
	v_cvt_f32_f16_e64 v161, v0
.LBB352_2075:                           ;   in Loop: Header=BB352_1062 Depth=1
	s_or_b32 exec_lo, exec_lo, s15
.LBB352_2076:                           ;   in Loop: Header=BB352_1062 Depth=1
	s_delay_alu instid0(SALU_CYCLE_1)
	s_or_b32 exec_lo, exec_lo, s13
.LBB352_2077:                           ;   in Loop: Header=BB352_1062 Depth=1
	s_delay_alu instid0(SALU_CYCLE_1) | instskip(NEXT) | instid1(SALU_CYCLE_1)
	s_or_b32 exec_lo, exec_lo, s12
	s_mov_b32 s12, exec_lo
	v_cmpx_lt_u32_e32 0xffffff, v9
	s_cbranch_execz .LBB352_2085
; %bb.2078:                             ;   in Loop: Header=BB352_1062 Depth=1
	v_lshrrev_b32_e32 v163, 24, v9
	v_bfrev_b32_e32 v162, 1
	s_mov_b32 s13, exec_lo
	s_delay_alu instid0(VALU_DEP_2)
	v_cmpx_ne_u32_e32 0x80, v163
	s_cbranch_execz .LBB352_2084
; %bb.2079:                             ;   in Loop: Header=BB352_1062 Depth=1
	v_and_b32_e32 v164, 0x7f, v163
	v_mov_b32_e32 v162, 0x7fc02000
	s_mov_b32 s15, exec_lo
	s_delay_alu instid0(VALU_DEP_2)
	v_cmpx_ne_u32_e32 0x7f, v164
	s_cbranch_execz .LBB352_2083
; %bb.2080:                             ;   in Loop: Header=BB352_1062 Depth=1
	v_and_b32_e32 v0, 7, v163
	v_lshrrev_b32_e32 v162, 3, v164
	v_mov_b32_e32 v12, v1
	s_mov_b32 s16, exec_lo
	s_delay_alu instid0(VALU_DEP_3)
	v_mov_b32_e32 v11, v0
	v_cmpx_gt_u32_e32 8, v164
; %bb.2081:                             ;   in Loop: Header=BB352_1062 Depth=1
	v_clz_i32_u32_e32 v11, v0
	s_delay_alu instid0(VALU_DEP_1) | instskip(NEXT) | instid1(VALU_DEP_1)
	v_min_u32_e32 v162, 32, v11
	v_subrev_nc_u32_e32 v11, 28, v162
	v_sub_nc_u32_e32 v162, 29, v162
	s_delay_alu instid0(VALU_DEP_2) | instskip(NEXT) | instid1(VALU_DEP_1)
	v_lshlrev_b64 v[11:12], v11, v[0:1]
	v_and_b32_e32 v11, 7, v11
; %bb.2082:                             ;   in Loop: Header=BB352_1062 Depth=1
	s_or_b32 exec_lo, exec_lo, s16
	v_lshlrev_b32_e32 v0, 8, v163
	v_lshl_add_u32 v12, v162, 10, 0x2000
	s_delay_alu instid0(VALU_DEP_1) | instskip(NEXT) | instid1(VALU_DEP_1)
	v_and_or_b32 v0, 0x8000, v0, v12
	v_lshl_or_b32 v0, v11, 7, v0
	s_delay_alu instid0(VALU_DEP_1)
	v_cvt_f32_f16_e64 v162, v0
.LBB352_2083:                           ;   in Loop: Header=BB352_1062 Depth=1
	s_or_b32 exec_lo, exec_lo, s15
.LBB352_2084:                           ;   in Loop: Header=BB352_1062 Depth=1
	s_delay_alu instid0(SALU_CYCLE_1)
	s_or_b32 exec_lo, exec_lo, s13
.LBB352_2085:                           ;   in Loop: Header=BB352_1062 Depth=1
	s_delay_alu instid0(SALU_CYCLE_1) | instskip(SKIP_3) | instid1(VALU_DEP_2)
	s_or_b32 exec_lo, exec_lo, s12
	v_dual_mov_b32 v0, v10 :: v_dual_and_b32 v11, 0xff, v10
	v_dual_mov_b32 v164, 0 :: v_dual_mov_b32 v163, 0
	s_mov_b32 s12, exec_lo
	v_cmpx_ne_u16_e32 0, v11
	s_cbranch_execz .LBB352_2093
; %bb.2086:                             ;   in Loop: Header=BB352_1062 Depth=1
	v_bfrev_b32_e32 v163, 1
	s_mov_b32 s13, exec_lo
	v_cmpx_ne_u16_e32 0x80, v11
	s_cbranch_execz .LBB352_2092
; %bb.2087:                             ;   in Loop: Header=BB352_1062 Depth=1
	v_and_b32_e32 v165, 0x7f, v10
	v_mov_b32_e32 v163, 0x7fc02000
	s_mov_b32 s15, exec_lo
	s_delay_alu instid0(VALU_DEP_2)
	v_cmpx_ne_u32_e32 0x7f, v165
	s_cbranch_execz .LBB352_2091
; %bb.2088:                             ;   in Loop: Header=BB352_1062 Depth=1
	v_dual_mov_b32 v12, v1 :: v_dual_mov_b32 v11, v0
	v_lshrrev_b32_e32 v12, 3, v165
	s_mov_b32 s16, exec_lo
	v_cmpx_gt_u32_e32 8, v165
; %bb.2089:                             ;   in Loop: Header=BB352_1062 Depth=1
	v_and_b32_e32 v11, 7, v10
	s_delay_alu instid0(VALU_DEP_1) | instskip(NEXT) | instid1(VALU_DEP_1)
	v_clz_i32_u32_e32 v11, v11
	v_min_u32_e32 v163, 32, v11
	s_delay_alu instid0(VALU_DEP_1) | instskip(NEXT) | instid1(VALU_DEP_1)
	v_subrev_nc_u32_e32 v11, 28, v163
	v_lshlrev_b64 v[11:12], v11, v[0:1]
	v_sub_nc_u32_e32 v12, 29, v163
; %bb.2090:                             ;   in Loop: Header=BB352_1062 Depth=1
	s_or_b32 exec_lo, exec_lo, s16
	v_lshlrev_b32_e32 v163, 8, v10
	s_delay_alu instid0(VALU_DEP_2) | instskip(NEXT) | instid1(VALU_DEP_4)
	v_lshl_add_u32 v12, v12, 10, 0x2000
	v_lshlrev_b32_e32 v11, 7, v11
	s_delay_alu instid0(VALU_DEP_2) | instskip(NEXT) | instid1(VALU_DEP_1)
	v_and_or_b32 v12, 0x8000, v163, v12
	v_and_or_b32 v11, 0x380, v11, v12
	s_delay_alu instid0(VALU_DEP_1)
	v_cvt_f32_f16_e64 v163, v11
.LBB352_2091:                           ;   in Loop: Header=BB352_1062 Depth=1
	s_or_b32 exec_lo, exec_lo, s15
.LBB352_2092:                           ;   in Loop: Header=BB352_1062 Depth=1
	s_delay_alu instid0(SALU_CYCLE_1)
	s_or_b32 exec_lo, exec_lo, s13
.LBB352_2093:                           ;   in Loop: Header=BB352_1062 Depth=1
	s_delay_alu instid0(SALU_CYCLE_1) | instskip(SKIP_2) | instid1(VALU_DEP_1)
	s_or_b32 exec_lo, exec_lo, s12
	v_lshrrev_b16 v0, 8, v0
	s_mov_b32 s12, exec_lo
	v_cmpx_ne_u16_e32 0, v0
	s_cbranch_execz .LBB352_2101
; %bb.2094:                             ;   in Loop: Header=BB352_1062 Depth=1
	v_bfrev_b32_e32 v164, 1
	s_mov_b32 s13, exec_lo
	v_cmpx_ne_u16_e32 0x80, v0
	s_cbranch_execz .LBB352_2100
; %bb.2095:                             ;   in Loop: Header=BB352_1062 Depth=1
	v_and_b32_e32 v165, 0xffff, v0
	v_mov_b32_e32 v164, 0x7fc02000
	s_mov_b32 s15, exec_lo
	s_delay_alu instid0(VALU_DEP_2) | instskip(NEXT) | instid1(VALU_DEP_1)
	v_and_b32_e32 v166, 0x7f, v165
	v_cmpx_ne_u32_e32 0x7f, v166
	s_cbranch_execz .LBB352_2099
; %bb.2096:                             ;   in Loop: Header=BB352_1062 Depth=1
	v_and_b32_e32 v0, 7, v165
	v_lshrrev_b32_e32 v164, 3, v166
	v_mov_b32_e32 v12, v1
	s_mov_b32 s16, exec_lo
	s_delay_alu instid0(VALU_DEP_3)
	v_mov_b32_e32 v11, v0
	v_cmpx_gt_u32_e32 8, v166
; %bb.2097:                             ;   in Loop: Header=BB352_1062 Depth=1
	v_clz_i32_u32_e32 v11, v0
	s_delay_alu instid0(VALU_DEP_1) | instskip(NEXT) | instid1(VALU_DEP_1)
	v_min_u32_e32 v164, 32, v11
	v_subrev_nc_u32_e32 v11, 28, v164
	v_sub_nc_u32_e32 v164, 29, v164
	s_delay_alu instid0(VALU_DEP_2) | instskip(NEXT) | instid1(VALU_DEP_1)
	v_lshlrev_b64 v[11:12], v11, v[0:1]
	v_and_b32_e32 v11, 7, v11
; %bb.2098:                             ;   in Loop: Header=BB352_1062 Depth=1
	s_or_b32 exec_lo, exec_lo, s16
	v_lshlrev_b32_e32 v0, 8, v165
	v_lshl_add_u32 v12, v164, 10, 0x2000
	s_delay_alu instid0(VALU_DEP_1) | instskip(NEXT) | instid1(VALU_DEP_1)
	v_and_or_b32 v0, 0x8000, v0, v12
	v_lshl_or_b32 v0, v11, 7, v0
	s_delay_alu instid0(VALU_DEP_1)
	v_cvt_f32_f16_e64 v164, v0
.LBB352_2099:                           ;   in Loop: Header=BB352_1062 Depth=1
	s_or_b32 exec_lo, exec_lo, s15
.LBB352_2100:                           ;   in Loop: Header=BB352_1062 Depth=1
	s_delay_alu instid0(SALU_CYCLE_1)
	s_or_b32 exec_lo, exec_lo, s13
.LBB352_2101:                           ;   in Loop: Header=BB352_1062 Depth=1
	s_delay_alu instid0(SALU_CYCLE_1) | instskip(SKIP_3) | instid1(VALU_DEP_2)
	s_or_b32 exec_lo, exec_lo, s12
	v_lshrrev_b32_e32 v166, 16, v10
	v_mov_b32_e32 v11, 0
	s_mov_b32 s12, exec_lo
	v_dual_mov_b32 v165, 0 :: v_dual_and_b32 v0, 0xff, v166
	s_delay_alu instid0(VALU_DEP_1)
	v_cmpx_ne_u16_e32 0, v0
	s_cbranch_execz .LBB352_2109
; %bb.2102:                             ;   in Loop: Header=BB352_1062 Depth=1
	v_bfrev_b32_e32 v11, 1
	s_mov_b32 s13, exec_lo
	v_cmpx_ne_u16_e32 0x80, v0
	s_cbranch_execz .LBB352_2108
; %bb.2103:                             ;   in Loop: Header=BB352_1062 Depth=1
	v_bfe_u32 v176, v10, 16, 7
	v_mov_b32_e32 v11, 0x7fc02000
	s_mov_b32 s15, exec_lo
	s_delay_alu instid0(VALU_DEP_2)
	v_cmpx_ne_u32_e32 0x7f, v176
	s_cbranch_execz .LBB352_2107
; %bb.2104:                             ;   in Loop: Header=BB352_1062 Depth=1
	v_and_b32_e32 v0, 7, v166
	v_lshrrev_b32_e32 v167, 3, v176
	v_mov_b32_e32 v12, v1
	s_mov_b32 s16, exec_lo
	s_delay_alu instid0(VALU_DEP_3)
	v_mov_b32_e32 v11, v0
	v_cmpx_gt_u32_e32 8, v176
; %bb.2105:                             ;   in Loop: Header=BB352_1062 Depth=1
	v_clz_i32_u32_e32 v11, v0
	s_delay_alu instid0(VALU_DEP_1) | instskip(NEXT) | instid1(VALU_DEP_1)
	v_min_u32_e32 v167, 32, v11
	v_subrev_nc_u32_e32 v11, 28, v167
	v_sub_nc_u32_e32 v167, 29, v167
	s_delay_alu instid0(VALU_DEP_2) | instskip(NEXT) | instid1(VALU_DEP_1)
	v_lshlrev_b64 v[11:12], v11, v[0:1]
	v_and_b32_e32 v11, 7, v11
; %bb.2106:                             ;   in Loop: Header=BB352_1062 Depth=1
	s_or_b32 exec_lo, exec_lo, s16
	v_lshlrev_b32_e32 v0, 8, v166
	v_lshl_add_u32 v12, v167, 10, 0x2000
	s_delay_alu instid0(VALU_DEP_1) | instskip(NEXT) | instid1(VALU_DEP_1)
	v_and_or_b32 v0, 0x8000, v0, v12
	v_lshl_or_b32 v0, v11, 7, v0
	s_delay_alu instid0(VALU_DEP_1)
	v_cvt_f32_f16_e32 v11, v0
.LBB352_2107:                           ;   in Loop: Header=BB352_1062 Depth=1
	s_or_b32 exec_lo, exec_lo, s15
.LBB352_2108:                           ;   in Loop: Header=BB352_1062 Depth=1
	s_delay_alu instid0(SALU_CYCLE_1)
	s_or_b32 exec_lo, exec_lo, s13
.LBB352_2109:                           ;   in Loop: Header=BB352_1062 Depth=1
	s_delay_alu instid0(SALU_CYCLE_1) | instskip(NEXT) | instid1(SALU_CYCLE_1)
	s_or_b32 exec_lo, exec_lo, s12
	s_mov_b32 s12, exec_lo
	v_cmpx_lt_u64_e64 s[8:9], v[9:10]
	s_cbranch_execz .LBB352_2117
; %bb.2110:                             ;   in Loop: Header=BB352_1062 Depth=1
	v_lshrrev_b32_e32 v12, 24, v10
	v_bfrev_b32_e32 v165, 1
	s_mov_b32 s13, exec_lo
	s_delay_alu instid0(VALU_DEP_2)
	v_cmpx_ne_u32_e32 0x80, v12
	s_cbranch_execz .LBB352_2116
; %bb.2111:                             ;   in Loop: Header=BB352_1062 Depth=1
	v_and_b32_e32 v166, 0x7f, v12
	v_mov_b32_e32 v165, 0x7fc02000
	s_mov_b32 s15, exec_lo
	s_delay_alu instid0(VALU_DEP_2)
	v_cmpx_ne_u32_e32 0x7f, v166
	s_cbranch_execz .LBB352_2115
; %bb.2112:                             ;   in Loop: Header=BB352_1062 Depth=1
	v_and_b32_e32 v0, 7, v12
	v_lshrrev_b32_e32 v165, 3, v166
	v_mov_b32_e32 v10, v1
	s_mov_b32 s16, exec_lo
	s_delay_alu instid0(VALU_DEP_3)
	v_mov_b32_e32 v9, v0
	v_cmpx_gt_u32_e32 8, v166
; %bb.2113:                             ;   in Loop: Header=BB352_1062 Depth=1
	v_clz_i32_u32_e32 v9, v0
	s_delay_alu instid0(VALU_DEP_1) | instskip(NEXT) | instid1(VALU_DEP_1)
	v_min_u32_e32 v165, 32, v9
	v_subrev_nc_u32_e32 v9, 28, v165
	v_sub_nc_u32_e32 v165, 29, v165
	s_delay_alu instid0(VALU_DEP_2) | instskip(NEXT) | instid1(VALU_DEP_1)
	v_lshlrev_b64 v[9:10], v9, v[0:1]
	v_and_b32_e32 v9, 7, v9
; %bb.2114:                             ;   in Loop: Header=BB352_1062 Depth=1
	s_or_b32 exec_lo, exec_lo, s16
	v_lshlrev_b32_e32 v0, 8, v12
	v_lshl_add_u32 v10, v165, 10, 0x2000
	s_delay_alu instid0(VALU_DEP_1) | instskip(NEXT) | instid1(VALU_DEP_1)
	v_and_or_b32 v0, 0x8000, v0, v10
	v_lshl_or_b32 v0, v9, 7, v0
	s_delay_alu instid0(VALU_DEP_1)
	v_cvt_f32_f16_e64 v165, v0
.LBB352_2115:                           ;   in Loop: Header=BB352_1062 Depth=1
	s_or_b32 exec_lo, exec_lo, s15
.LBB352_2116:                           ;   in Loop: Header=BB352_1062 Depth=1
	s_delay_alu instid0(SALU_CYCLE_1)
	s_or_b32 exec_lo, exec_lo, s13
.LBB352_2117:                           ;   in Loop: Header=BB352_1062 Depth=1
	s_delay_alu instid0(SALU_CYCLE_1)
	s_or_b32 exec_lo, exec_lo, s12
	s_waitcnt vmcnt(0) lgkmcnt(0)
	v_fma_mixlo_f16 v10, v150, v160, 0
	v_fma_mixlo_f16 v0, v150, v162, 0
	;; [unrolled: 1-line block ×5, first 2 shown]
	v_lshlrev_b32_e32 v160, 16, v10
	v_fma_mixlo_f16 v10, v150, v151, 0
	v_fma_mixlo_f16 v151, v150, v164, 0
	;; [unrolled: 1-line block ×3, first 2 shown]
	v_lshlrev_b32_e32 v0, 16, v0
	v_and_b32_e32 v9, 0xffff, v9
	v_and_b32_e32 v11, 0xffff, v10
	v_lshlrev_b32_e32 v150, 16, v151
	v_and_b32_e32 v151, 0xffff, v161
	v_lshlrev_b32_e32 v161, 16, v162
	v_and_b32_e32 v162, 0xffff, v12
	v_or_b32_e32 v10, v0, v9
	v_or_b32_e32 v11, v160, v11
	v_or_b32_e32 v0, v150, v151
	s_delay_alu instid0(VALU_DEP_4)
	v_or_b32_e32 v9, v161, v162
	s_and_saveexec_b32 s0, vcc_lo
	s_cbranch_execz .LBB352_1060
; %bb.2118:                             ;   in Loop: Header=BB352_1062 Depth=1
	v_cmp_lt_i32_e32 vcc_lo, v19, v38
	v_lshrrev_b32_e32 v150, 16, v11
	v_lshrrev_b32_e32 v151, 16, v10
	;; [unrolled: 1-line block ×3, first 2 shown]
	v_cndmask_b32_e32 v11, 0, v11, vcc_lo
	v_cmp_lt_i32_e32 vcc_lo, v99, v55
	v_lshrrev_b32_e32 v99, 16, v0
	v_cndmask_b32_e32 v19, 0, v150, vcc_lo
	v_cmp_lt_i32_e32 vcc_lo, v98, v55
	v_cndmask_b32_e32 v98, 0, v151, vcc_lo
	v_cmp_lt_i32_e32 vcc_lo, v96, v38
	;; [unrolled: 2-line block ×3, first 2 shown]
	v_perm_b32 v11, v19, v11, 0x5040100
	s_delay_alu instid0(VALU_DEP_3)
	v_perm_b32 v10, v98, v10, 0x5040100
	v_cndmask_b32_e32 v84, 0, v99, vcc_lo
	v_cmp_lt_i32_e32 vcc_lo, v83, v38
	v_cndmask_b32_e32 v0, 0, v0, vcc_lo
	v_cmp_lt_i32_e32 vcc_lo, v81, v55
	;; [unrolled: 2-line block ×3, first 2 shown]
	s_delay_alu instid0(VALU_DEP_4) | instskip(SKIP_1) | instid1(VALU_DEP_1)
	v_perm_b32 v0, v84, v0, 0x5040100
	v_cndmask_b32_e32 v12, 0, v12, vcc_lo
	v_perm_b32 v9, v9, v12, 0x5040100
	s_branch .LBB352_1060
.LBB352_2119:
	s_or_b32 exec_lo, exec_lo, s5
.LBB352_2120:
	s_delay_alu instid0(SALU_CYCLE_1)
	s_or_b32 exec_lo, exec_lo, s3
	ds_bpermute_b32 v2, v21, v69
	ds_bpermute_b32 v3, v21, v68
	;; [unrolled: 1-line block ×16, first 2 shown]
	s_waitcnt lgkmcnt(0)
	s_waitcnt_vscnt null, 0x0
	s_barrier
	buffer_gl0_inv
	s_load_b32 s3, s[6:7], 0x0
	v_dual_add_f32 v2, v69, v2 :: v_dual_add_f32 v3, v68, v3
	v_dual_add_f32 v6, v67, v6 :: v_dual_add_f32 v7, v66, v7
	;; [unrolled: 1-line block ×3, first 2 shown]
	ds_bpermute_b32 v22, v20, v3
	v_dual_add_f32 v8, v65, v8 :: v_dual_add_f32 v9, v36, v9
	ds_bpermute_b32 v26, v20, v7
	v_dual_add_f32 v27, v35, v10 :: v_dual_add_f32 v30, v34, v11
	v_dual_add_f32 v33, v33, v12 :: v_dual_add_f32 v32, v32, v13
	v_dual_add_f32 v31, v31, v14 :: v_dual_add_f32 v28, v28, v16
	v_add_f32_e32 v29, v29, v15
	v_add_f32_e32 v25, v25, v17
	ds_bpermute_b32 v18, v20, v0
	ds_bpermute_b32 v19, v20, v1
	;; [unrolled: 1-line block ×11, first 2 shown]
	s_waitcnt lgkmcnt(0)
	v_add_f32_e32 v12, v7, v26
	ds_bpermute_b32 v52, v20, v28
	v_add_f32_e32 v14, v3, v22
	ds_bpermute_b32 v51, v20, v29
	ds_bpermute_b32 v20, v20, v25
	s_mov_b32 s0, exec_lo
	v_dual_add_f32 v17, v0, v18 :: v_dual_add_f32 v16, v1, v19
	v_add_f32_e32 v15, v2, v21
	v_add_f32_e32 v13, v6, v23
	;; [unrolled: 1-line block ×3, first 2 shown]
	v_dual_add_f32 v10, v9, v34 :: v_dual_add_f32 v9, v27, v35
	v_dual_add_f32 v8, v30, v36 :: v_dual_add_f32 v7, v33, v38
	;; [unrolled: 1-line block ×3, first 2 shown]
	s_waitcnt lgkmcnt(2)
	v_dual_add_f32 v2, v28, v52 :: v_dual_and_b32 v21, 0x3c3, v37
	v_lshrrev_b32_e32 v18, 2, v48
	s_waitcnt lgkmcnt(1)
	v_add_f32_e32 v1, v29, v51
	s_waitcnt lgkmcnt(0)
	v_add_f32_e32 v0, v25, v20
	v_lshl_add_u32 v19, v39, 9, s3
	v_cmpx_eq_u32_e32 64, v21
	s_cbranch_execz .LBB352_2122
; %bb.2121:
	v_lshlrev_b32_e32 v20, 2, v18
	s_delay_alu instid0(VALU_DEP_1)
	v_add3_u32 v20, v19, v20, 0xfffffc00
	ds_store_2addr_b32 v20, v17, v16 offset1:8
	ds_store_2addr_b32 v20, v15, v14 offset0:16 offset1:24
	ds_store_2addr_b32 v20, v13, v12 offset0:32 offset1:40
	;; [unrolled: 1-line block ×7, first 2 shown]
.LBB352_2122:
	s_or_b32 exec_lo, exec_lo, s0
	v_cmp_eq_u32_e32 vcc_lo, 0, v24
	s_mov_b32 s5, exec_lo
	s_waitcnt lgkmcnt(0)
	s_barrier
	buffer_gl0_inv
	v_cmpx_gt_u32_e32 64, v37
	s_cbranch_execz .LBB352_2141
; %bb.2123:
	s_and_saveexec_b32 s0, vcc_lo
	s_cbranch_execnz .LBB352_2165
; %bb.2124:
	s_or_b32 exec_lo, exec_lo, s0
	s_and_saveexec_b32 s0, vcc_lo
	s_cbranch_execnz .LBB352_2166
.LBB352_2125:
	s_or_b32 exec_lo, exec_lo, s0
	s_and_saveexec_b32 s0, vcc_lo
	s_cbranch_execnz .LBB352_2167
.LBB352_2126:
	s_or_b32 exec_lo, exec_lo, s0
	s_and_saveexec_b32 s0, vcc_lo
	s_cbranch_execnz .LBB352_2168
.LBB352_2127:
	s_or_b32 exec_lo, exec_lo, s0
	s_and_saveexec_b32 s0, vcc_lo
	s_cbranch_execnz .LBB352_2169
.LBB352_2128:
	s_or_b32 exec_lo, exec_lo, s0
	s_and_saveexec_b32 s0, vcc_lo
	s_cbranch_execnz .LBB352_2170
.LBB352_2129:
	s_or_b32 exec_lo, exec_lo, s0
	s_and_saveexec_b32 s0, vcc_lo
	s_cbranch_execnz .LBB352_2171
.LBB352_2130:
	s_or_b32 exec_lo, exec_lo, s0
	s_and_saveexec_b32 s0, vcc_lo
	s_cbranch_execnz .LBB352_2172
.LBB352_2131:
	s_or_b32 exec_lo, exec_lo, s0
	s_and_saveexec_b32 s0, vcc_lo
	s_cbranch_execnz .LBB352_2173
.LBB352_2132:
	s_or_b32 exec_lo, exec_lo, s0
	s_and_saveexec_b32 s0, vcc_lo
	s_cbranch_execnz .LBB352_2174
.LBB352_2133:
	s_or_b32 exec_lo, exec_lo, s0
	s_and_saveexec_b32 s0, vcc_lo
	s_cbranch_execnz .LBB352_2175
.LBB352_2134:
	s_or_b32 exec_lo, exec_lo, s0
	s_and_saveexec_b32 s0, vcc_lo
	s_cbranch_execnz .LBB352_2176
.LBB352_2135:
	s_or_b32 exec_lo, exec_lo, s0
	s_and_saveexec_b32 s0, vcc_lo
	s_cbranch_execnz .LBB352_2177
.LBB352_2136:
	s_or_b32 exec_lo, exec_lo, s0
	s_and_saveexec_b32 s0, vcc_lo
	s_cbranch_execnz .LBB352_2178
.LBB352_2137:
	s_or_b32 exec_lo, exec_lo, s0
	s_and_saveexec_b32 s0, vcc_lo
	s_cbranch_execnz .LBB352_2179
.LBB352_2138:
	s_or_b32 exec_lo, exec_lo, s0
	s_and_saveexec_b32 s0, vcc_lo
	s_cbranch_execz .LBB352_2140
.LBB352_2139:
	v_lshl_add_u32 v20, v18, 2, v19
	ds_load_b32 v20, v20 offset:480
	s_waitcnt lgkmcnt(0)
	v_add_f32_e32 v0, v20, v0
.LBB352_2140:
	s_or_b32 exec_lo, exec_lo, s0
.LBB352_2141:
	s_delay_alu instid0(SALU_CYCLE_1)
	s_or_b32 exec_lo, exec_lo, s5
	v_and_b32_e32 v20, 0x3e3, v37
	s_mov_b32 s5, exec_lo
	s_barrier
	buffer_gl0_inv
	v_cmpx_eq_u32_e32 32, v20
	s_cbranch_execz .LBB352_2143
; %bb.2142:
	v_lshl_add_u32 v21, v18, 2, s3
	ds_store_2addr_b32 v21, v17, v16 offset1:8
	ds_store_2addr_b32 v21, v15, v14 offset0:16 offset1:24
	ds_store_2addr_b32 v21, v13, v12 offset0:32 offset1:40
	;; [unrolled: 1-line block ×7, first 2 shown]
.LBB352_2143:
	s_or_b32 exec_lo, exec_lo, s5
	s_delay_alu instid0(SALU_CYCLE_1)
	s_mov_b32 s3, exec_lo
	s_waitcnt lgkmcnt(0)
	s_barrier
	buffer_gl0_inv
	v_cmpx_gt_u32_e32 32, v37
	s_cbranch_execz .LBB352_2162
; %bb.2144:
	v_lshl_add_u32 v18, v18, 2, v19
	s_and_saveexec_b32 s0, vcc_lo
	s_cbranch_execnz .LBB352_2180
; %bb.2145:
	s_or_b32 exec_lo, exec_lo, s0
	s_and_saveexec_b32 s0, vcc_lo
	s_cbranch_execnz .LBB352_2181
.LBB352_2146:
	s_or_b32 exec_lo, exec_lo, s0
	s_and_saveexec_b32 s0, vcc_lo
	s_cbranch_execnz .LBB352_2182
.LBB352_2147:
	s_or_b32 exec_lo, exec_lo, s0
	s_and_saveexec_b32 s0, vcc_lo
	s_cbranch_execnz .LBB352_2183
.LBB352_2148:
	s_or_b32 exec_lo, exec_lo, s0
	s_and_saveexec_b32 s0, vcc_lo
	s_cbranch_execnz .LBB352_2184
.LBB352_2149:
	s_or_b32 exec_lo, exec_lo, s0
	s_and_saveexec_b32 s0, vcc_lo
	s_cbranch_execnz .LBB352_2185
.LBB352_2150:
	s_or_b32 exec_lo, exec_lo, s0
	s_and_saveexec_b32 s0, vcc_lo
	s_cbranch_execnz .LBB352_2186
.LBB352_2151:
	s_or_b32 exec_lo, exec_lo, s0
	s_and_saveexec_b32 s0, vcc_lo
	s_cbranch_execnz .LBB352_2187
.LBB352_2152:
	s_or_b32 exec_lo, exec_lo, s0
	s_and_saveexec_b32 s0, vcc_lo
	s_cbranch_execnz .LBB352_2188
.LBB352_2153:
	s_or_b32 exec_lo, exec_lo, s0
	s_and_saveexec_b32 s0, vcc_lo
	s_cbranch_execnz .LBB352_2189
.LBB352_2154:
	s_or_b32 exec_lo, exec_lo, s0
	s_and_saveexec_b32 s0, vcc_lo
	s_cbranch_execnz .LBB352_2190
.LBB352_2155:
	s_or_b32 exec_lo, exec_lo, s0
	s_and_saveexec_b32 s0, vcc_lo
	s_cbranch_execnz .LBB352_2191
.LBB352_2156:
	s_or_b32 exec_lo, exec_lo, s0
	s_and_saveexec_b32 s0, vcc_lo
	s_cbranch_execnz .LBB352_2192
.LBB352_2157:
	s_or_b32 exec_lo, exec_lo, s0
	s_and_saveexec_b32 s0, vcc_lo
	s_cbranch_execnz .LBB352_2193
.LBB352_2158:
	s_or_b32 exec_lo, exec_lo, s0
	s_and_saveexec_b32 s0, vcc_lo
	s_cbranch_execnz .LBB352_2194
.LBB352_2159:
	s_or_b32 exec_lo, exec_lo, s0
	s_and_saveexec_b32 s0, vcc_lo
	s_cbranch_execz .LBB352_2161
.LBB352_2160:
	ds_load_b32 v18, v18 offset:480
	s_waitcnt lgkmcnt(0)
	v_add_f32_e32 v0, v18, v0
.LBB352_2161:
	s_or_b32 exec_lo, exec_lo, s0
.LBB352_2162:
	s_delay_alu instid0(SALU_CYCLE_1)
	s_or_b32 exec_lo, exec_lo, s3
	v_cmp_eq_u32_e32 vcc_lo, 0, v20
	s_barrier
	buffer_gl0_inv
	s_and_b32 exec_lo, exec_lo, vcc_lo
	s_cbranch_execz .LBB352_2164
; %bb.2163:
	s_lshl_b32 s0, s2, 7
	s_mul_i32 s2, s4, s1
	s_lshl_b32 s4, s14, 7
	s_ashr_i32 s3, s2, 31
	s_ashr_i32 s5, s4, 31
	;; [unrolled: 1-line block ×3, first 2 shown]
	s_lshl_b64 s[2:3], s[2:3], 1
	s_lshl_b64 s[4:5], s[4:5], 1
	;; [unrolled: 1-line block ×3, first 2 shown]
	s_add_u32 s2, s4, s2
	s_addc_u32 s3, s5, s3
	s_add_u32 s0, s2, s0
	s_addc_u32 s1, s3, s1
	v_lshrrev_b32_e32 v18, 1, v37
	v_add_co_u32 v4, vcc_lo, s0, v4
	v_add_co_ci_u32_e32 v5, vcc_lo, s1, v5, vcc_lo
	;;#ASMSTART
	v_cvt_f16_f32 v17, v17;

	;;#ASMEND
	s_delay_alu instid0(VALU_DEP_2) | instskip(NEXT) | instid1(VALU_DEP_2)
	v_add_co_u32 v4, vcc_lo, v4, v18
	v_add_co_ci_u32_e32 v5, vcc_lo, 0, v5, vcc_lo
	flat_store_b16 v[4:5], v17
	;;#ASMSTART
	v_cvt_f16_f32 v16, v16;

	;;#ASMEND
	flat_store_b16 v[4:5], v16 offset:16
	;;#ASMSTART
	v_cvt_f16_f32 v15, v15;

	;;#ASMEND
	flat_store_b16 v[4:5], v15 offset:32
	;; [unrolled: 5-line block ×15, first 2 shown]
.LBB352_2164:
	s_or_b32 exec_lo, exec_lo, s11
	s_clause 0x1f
	scratch_load_b32 v191, off, s32 offset:8
	scratch_load_b32 v190, off, s32 offset:12
	;; [unrolled: 1-line block ×32, first 2 shown]
	s_clause 0x1f
	scratch_load_b32 v127, off, s32 offset:136
	scratch_load_b32 v126, off, s32 offset:140
	;; [unrolled: 1-line block ×32, first 2 shown]
	s_clause 0xf
	scratch_load_b32 v63, off, s32 offset:264
	scratch_load_b32 v62, off, s32 offset:268
	;; [unrolled: 1-line block ×16, first 2 shown]
	s_waitcnt vmcnt(0) lgkmcnt(0)
	s_setpc_b64 s[30:31]
.LBB352_2165:
	v_lshl_add_u32 v20, v18, 2, v19
	ds_load_b32 v20, v20
	s_waitcnt lgkmcnt(0)
	v_add_f32_e32 v17, v20, v17
	s_or_b32 exec_lo, exec_lo, s0
	s_and_saveexec_b32 s0, vcc_lo
	s_cbranch_execz .LBB352_2125
.LBB352_2166:
	v_lshl_add_u32 v20, v18, 2, v19
	ds_load_b32 v20, v20 offset:32
	s_waitcnt lgkmcnt(0)
	v_add_f32_e32 v16, v20, v16
	s_or_b32 exec_lo, exec_lo, s0
	s_and_saveexec_b32 s0, vcc_lo
	s_cbranch_execz .LBB352_2126
.LBB352_2167:
	v_lshl_add_u32 v20, v18, 2, v19
	ds_load_b32 v20, v20 offset:64
	s_waitcnt lgkmcnt(0)
	v_add_f32_e32 v15, v20, v15
	s_or_b32 exec_lo, exec_lo, s0
	s_and_saveexec_b32 s0, vcc_lo
	s_cbranch_execz .LBB352_2127
.LBB352_2168:
	v_lshl_add_u32 v20, v18, 2, v19
	ds_load_b32 v20, v20 offset:96
	s_waitcnt lgkmcnt(0)
	v_add_f32_e32 v14, v20, v14
	s_or_b32 exec_lo, exec_lo, s0
	s_and_saveexec_b32 s0, vcc_lo
	s_cbranch_execz .LBB352_2128
.LBB352_2169:
	v_lshl_add_u32 v20, v18, 2, v19
	ds_load_b32 v20, v20 offset:128
	s_waitcnt lgkmcnt(0)
	v_add_f32_e32 v13, v20, v13
	s_or_b32 exec_lo, exec_lo, s0
	s_and_saveexec_b32 s0, vcc_lo
	s_cbranch_execz .LBB352_2129
.LBB352_2170:
	v_lshl_add_u32 v20, v18, 2, v19
	ds_load_b32 v20, v20 offset:160
	s_waitcnt lgkmcnt(0)
	v_add_f32_e32 v12, v20, v12
	s_or_b32 exec_lo, exec_lo, s0
	s_and_saveexec_b32 s0, vcc_lo
	s_cbranch_execz .LBB352_2130
.LBB352_2171:
	v_lshl_add_u32 v20, v18, 2, v19
	ds_load_b32 v20, v20 offset:192
	s_waitcnt lgkmcnt(0)
	v_add_f32_e32 v11, v20, v11
	s_or_b32 exec_lo, exec_lo, s0
	s_and_saveexec_b32 s0, vcc_lo
	s_cbranch_execz .LBB352_2131
.LBB352_2172:
	v_lshl_add_u32 v20, v18, 2, v19
	ds_load_b32 v20, v20 offset:224
	s_waitcnt lgkmcnt(0)
	v_add_f32_e32 v10, v20, v10
	s_or_b32 exec_lo, exec_lo, s0
	s_and_saveexec_b32 s0, vcc_lo
	s_cbranch_execz .LBB352_2132
.LBB352_2173:
	v_lshl_add_u32 v20, v18, 2, v19
	ds_load_b32 v20, v20 offset:256
	s_waitcnt lgkmcnt(0)
	v_add_f32_e32 v9, v20, v9
	s_or_b32 exec_lo, exec_lo, s0
	s_and_saveexec_b32 s0, vcc_lo
	s_cbranch_execz .LBB352_2133
.LBB352_2174:
	v_lshl_add_u32 v20, v18, 2, v19
	ds_load_b32 v20, v20 offset:288
	s_waitcnt lgkmcnt(0)
	v_add_f32_e32 v8, v20, v8
	s_or_b32 exec_lo, exec_lo, s0
	s_and_saveexec_b32 s0, vcc_lo
	s_cbranch_execz .LBB352_2134
.LBB352_2175:
	v_lshl_add_u32 v20, v18, 2, v19
	ds_load_b32 v20, v20 offset:320
	s_waitcnt lgkmcnt(0)
	v_add_f32_e32 v7, v20, v7
	s_or_b32 exec_lo, exec_lo, s0
	s_and_saveexec_b32 s0, vcc_lo
	s_cbranch_execz .LBB352_2135
.LBB352_2176:
	v_lshl_add_u32 v20, v18, 2, v19
	ds_load_b32 v20, v20 offset:352
	s_waitcnt lgkmcnt(0)
	v_add_f32_e32 v6, v20, v6
	s_or_b32 exec_lo, exec_lo, s0
	s_and_saveexec_b32 s0, vcc_lo
	s_cbranch_execz .LBB352_2136
.LBB352_2177:
	v_lshl_add_u32 v20, v18, 2, v19
	ds_load_b32 v20, v20 offset:384
	s_waitcnt lgkmcnt(0)
	v_add_f32_e32 v3, v20, v3
	s_or_b32 exec_lo, exec_lo, s0
	s_and_saveexec_b32 s0, vcc_lo
	s_cbranch_execz .LBB352_2137
.LBB352_2178:
	v_lshl_add_u32 v20, v18, 2, v19
	ds_load_b32 v20, v20 offset:416
	s_waitcnt lgkmcnt(0)
	v_add_f32_e32 v1, v20, v1
	s_or_b32 exec_lo, exec_lo, s0
	s_and_saveexec_b32 s0, vcc_lo
	s_cbranch_execz .LBB352_2138
.LBB352_2179:
	v_lshl_add_u32 v20, v18, 2, v19
	ds_load_b32 v20, v20 offset:448
	s_waitcnt lgkmcnt(0)
	v_add_f32_e32 v2, v20, v2
	s_or_b32 exec_lo, exec_lo, s0
	s_and_saveexec_b32 s0, vcc_lo
	s_cbranch_execnz .LBB352_2139
	s_branch .LBB352_2140
.LBB352_2180:
	ds_load_b32 v19, v18
	s_waitcnt lgkmcnt(0)
	v_add_f32_e32 v17, v19, v17
	s_or_b32 exec_lo, exec_lo, s0
	s_and_saveexec_b32 s0, vcc_lo
	s_cbranch_execz .LBB352_2146
.LBB352_2181:
	ds_load_b32 v19, v18 offset:32
	s_waitcnt lgkmcnt(0)
	v_add_f32_e32 v16, v19, v16
	s_or_b32 exec_lo, exec_lo, s0
	s_and_saveexec_b32 s0, vcc_lo
	s_cbranch_execz .LBB352_2147
.LBB352_2182:
	ds_load_b32 v19, v18 offset:64
	s_waitcnt lgkmcnt(0)
	v_add_f32_e32 v15, v19, v15
	s_or_b32 exec_lo, exec_lo, s0
	s_and_saveexec_b32 s0, vcc_lo
	s_cbranch_execz .LBB352_2148
.LBB352_2183:
	ds_load_b32 v19, v18 offset:96
	s_waitcnt lgkmcnt(0)
	v_add_f32_e32 v14, v19, v14
	s_or_b32 exec_lo, exec_lo, s0
	s_and_saveexec_b32 s0, vcc_lo
	s_cbranch_execz .LBB352_2149
.LBB352_2184:
	ds_load_b32 v19, v18 offset:128
	s_waitcnt lgkmcnt(0)
	v_add_f32_e32 v13, v19, v13
	s_or_b32 exec_lo, exec_lo, s0
	s_and_saveexec_b32 s0, vcc_lo
	s_cbranch_execz .LBB352_2150
.LBB352_2185:
	ds_load_b32 v19, v18 offset:160
	s_waitcnt lgkmcnt(0)
	v_add_f32_e32 v12, v19, v12
	s_or_b32 exec_lo, exec_lo, s0
	s_and_saveexec_b32 s0, vcc_lo
	s_cbranch_execz .LBB352_2151
.LBB352_2186:
	ds_load_b32 v19, v18 offset:192
	s_waitcnt lgkmcnt(0)
	v_add_f32_e32 v11, v19, v11
	s_or_b32 exec_lo, exec_lo, s0
	s_and_saveexec_b32 s0, vcc_lo
	s_cbranch_execz .LBB352_2152
.LBB352_2187:
	ds_load_b32 v19, v18 offset:224
	s_waitcnt lgkmcnt(0)
	v_add_f32_e32 v10, v19, v10
	s_or_b32 exec_lo, exec_lo, s0
	s_and_saveexec_b32 s0, vcc_lo
	s_cbranch_execz .LBB352_2153
.LBB352_2188:
	ds_load_b32 v19, v18 offset:256
	s_waitcnt lgkmcnt(0)
	v_add_f32_e32 v9, v19, v9
	s_or_b32 exec_lo, exec_lo, s0
	s_and_saveexec_b32 s0, vcc_lo
	s_cbranch_execz .LBB352_2154
.LBB352_2189:
	ds_load_b32 v19, v18 offset:288
	s_waitcnt lgkmcnt(0)
	v_add_f32_e32 v8, v19, v8
	s_or_b32 exec_lo, exec_lo, s0
	s_and_saveexec_b32 s0, vcc_lo
	s_cbranch_execz .LBB352_2155
.LBB352_2190:
	ds_load_b32 v19, v18 offset:320
	s_waitcnt lgkmcnt(0)
	v_add_f32_e32 v7, v19, v7
	s_or_b32 exec_lo, exec_lo, s0
	s_and_saveexec_b32 s0, vcc_lo
	s_cbranch_execz .LBB352_2156
.LBB352_2191:
	ds_load_b32 v19, v18 offset:352
	s_waitcnt lgkmcnt(0)
	v_add_f32_e32 v6, v19, v6
	s_or_b32 exec_lo, exec_lo, s0
	s_and_saveexec_b32 s0, vcc_lo
	s_cbranch_execz .LBB352_2157
.LBB352_2192:
	ds_load_b32 v19, v18 offset:384
	s_waitcnt lgkmcnt(0)
	v_add_f32_e32 v3, v19, v3
	s_or_b32 exec_lo, exec_lo, s0
	s_and_saveexec_b32 s0, vcc_lo
	s_cbranch_execz .LBB352_2158
.LBB352_2193:
	ds_load_b32 v19, v18 offset:416
	s_waitcnt lgkmcnt(0)
	v_add_f32_e32 v1, v19, v1
	s_or_b32 exec_lo, exec_lo, s0
	s_and_saveexec_b32 s0, vcc_lo
	s_cbranch_execz .LBB352_2159
.LBB352_2194:
	ds_load_b32 v19, v18 offset:448
	s_waitcnt lgkmcnt(0)
	v_add_f32_e32 v2, v19, v2
	s_or_b32 exec_lo, exec_lo, s0
	s_and_saveexec_b32 s0, vcc_lo
	s_cbranch_execnz .LBB352_2160
	s_branch .LBB352_2161
.Lfunc_end352:
	.size	_ZN4vllm22paged_attention_kernelIthLi128ELi32ELi128ELNS_18Fp8KVCacheDataTypeE1ELb1ELi512EEEvPfS2_PT_PKS3_PKT0_S9_ifPKiSB_iPKfiiiSD_SD_iiiii, .Lfunc_end352-_ZN4vllm22paged_attention_kernelIthLi128ELi32ELi128ELNS_18Fp8KVCacheDataTypeE1ELb1ELi512EEEvPfS2_PT_PKS3_PKT0_S9_ifPKiSB_iPKfiiiSD_SD_iiiii
                                        ; -- End function
	.section	.AMDGPU.csdata,"",@progbits
; Function info:
; codeLenInByte = 84824
; NumSgprs: 35
; NumVgprs: 192
; ScratchSize: 336
; MemoryBound: 0
	.section	.text._ZN4vllm25paged_attention_v2_kernelIthLi128ELi32ELi128ELNS_18Fp8KVCacheDataTypeE1ELb1ELi512EEEvPfS2_PT_PKS3_PKT0_S9_ifPKiSB_iPKfiiiSD_SD_iiiii,"axG",@progbits,_ZN4vllm25paged_attention_v2_kernelIthLi128ELi32ELi128ELNS_18Fp8KVCacheDataTypeE1ELb1ELi512EEEvPfS2_PT_PKS3_PKT0_S9_ifPKiSB_iPKfiiiSD_SD_iiiii,comdat
	.protected	_ZN4vllm25paged_attention_v2_kernelIthLi128ELi32ELi128ELNS_18Fp8KVCacheDataTypeE1ELb1ELi512EEEvPfS2_PT_PKS3_PKT0_S9_ifPKiSB_iPKfiiiSD_SD_iiiii ; -- Begin function _ZN4vllm25paged_attention_v2_kernelIthLi128ELi32ELi128ELNS_18Fp8KVCacheDataTypeE1ELb1ELi512EEEvPfS2_PT_PKS3_PKT0_S9_ifPKiSB_iPKfiiiSD_SD_iiiii
	.globl	_ZN4vllm25paged_attention_v2_kernelIthLi128ELi32ELi128ELNS_18Fp8KVCacheDataTypeE1ELb1ELi512EEEvPfS2_PT_PKS3_PKT0_S9_ifPKiSB_iPKfiiiSD_SD_iiiii
	.p2align	8
	.type	_ZN4vllm25paged_attention_v2_kernelIthLi128ELi32ELi128ELNS_18Fp8KVCacheDataTypeE1ELb1ELi512EEEvPfS2_PT_PKS3_PKT0_S9_ifPKiSB_iPKfiiiSD_SD_iiiii,@function
_ZN4vllm25paged_attention_v2_kernelIthLi128ELi32ELi128ELNS_18Fp8KVCacheDataTypeE1ELb1ELi512EEEvPfS2_PT_PKS3_PKT0_S9_ifPKiSB_iPKfiiiSD_SD_iiiii: ; @_ZN4vllm25paged_attention_v2_kernelIthLi128ELi32ELi128ELNS_18Fp8KVCacheDataTypeE1ELb1ELi512EEEvPfS2_PT_PKS3_PKT0_S9_ifPKiSB_iPKfiiiSD_SD_iiiii
; %bb.0:
	s_mov_b32 s12, s13
	s_clause 0x7
	s_load_b128 s[4:7], s[0:1], 0x78
	s_load_b32 s8, s[0:1], 0x88
	s_load_b256 s[24:31], s[0:1], 0x0
	s_load_b256 s[36:43], s[0:1], 0x20
	s_load_b64 s[2:3], s[0:1], 0x40
	s_load_b64 s[10:11], s[0:1], 0x50
	s_load_b32 s13, s[0:1], 0x48
	s_load_b256 s[16:23], s[0:1], 0x58
	s_mov_b32 s32, 0
	v_mov_b32_e32 v31, v0
	s_waitcnt lgkmcnt(0)
	v_dual_mov_b32 v1, s7 :: v_dual_mov_b32 v2, s8
	v_dual_mov_b32 v0, s24 :: v_dual_mov_b32 v3, s27
	;; [unrolled: 1-line block ×3, first 2 shown]
	v_mov_b32_e32 v6, s30
	scratch_store_b64 off, v[1:2], s32
	v_dual_mov_b32 v1, s25 :: v_dual_mov_b32 v2, s26
	v_dual_mov_b32 v7, s31 :: v_dual_mov_b32 v8, s36
	v_dual_mov_b32 v9, s37 :: v_dual_mov_b32 v10, s38
	v_dual_mov_b32 v11, s39 :: v_dual_mov_b32 v12, s40
	v_dual_mov_b32 v13, s41 :: v_dual_mov_b32 v14, s42
	v_dual_mov_b32 v15, s43 :: v_dual_mov_b32 v16, s2
	v_dual_mov_b32 v17, s3 :: v_dual_mov_b32 v18, s13
	v_dual_mov_b32 v19, s10 :: v_dual_mov_b32 v20, s11
	v_dual_mov_b32 v21, s16 :: v_dual_mov_b32 v22, s17
	v_dual_mov_b32 v23, s18 :: v_dual_mov_b32 v24, s20
	v_dual_mov_b32 v25, s21 :: v_dual_mov_b32 v26, s22
	v_dual_mov_b32 v27, s23 :: v_dual_mov_b32 v28, s4
	v_dual_mov_b32 v29, s5 :: v_dual_mov_b32 v30, s6
	s_add_u32 s8, s0, 0x90
	s_addc_u32 s9, s1, 0
	s_mov_b32 s13, s14
	s_mov_b32 s14, s15
	s_movk_i32 s15, 0x5e
	s_getpc_b64 s[0:1]
	s_add_u32 s0, s0, _ZN4vllm22paged_attention_kernelIthLi128ELi32ELi128ELNS_18Fp8KVCacheDataTypeE1ELb1ELi512EEEvPfS2_PT_PKS3_PKT0_S9_ifPKiSB_iPKfiiiSD_SD_iiiii@rel32@lo+4
	s_addc_u32 s1, s1, _ZN4vllm22paged_attention_kernelIthLi128ELi32ELi128ELNS_18Fp8KVCacheDataTypeE1ELb1ELi512EEEvPfS2_PT_PKS3_PKT0_S9_ifPKiSB_iPKfiiiSD_SD_iiiii@rel32@hi+12
	s_delay_alu instid0(SALU_CYCLE_1)
	s_swappc_b64 s[30:31], s[0:1]
	s_endpgm
	.section	.rodata,"a",@progbits
	.p2align	6, 0x0
	.amdhsa_kernel _ZN4vllm25paged_attention_v2_kernelIthLi128ELi32ELi128ELNS_18Fp8KVCacheDataTypeE1ELb1ELi512EEEvPfS2_PT_PKS3_PKT0_S9_ifPKiSB_iPKfiiiSD_SD_iiiii
		.amdhsa_group_segment_fixed_size 288
		.amdhsa_private_segment_fixed_size 336
		.amdhsa_kernarg_size 400
		.amdhsa_user_sgpr_count 13
		.amdhsa_user_sgpr_dispatch_ptr 0
		.amdhsa_user_sgpr_queue_ptr 0
		.amdhsa_user_sgpr_kernarg_segment_ptr 1
		.amdhsa_user_sgpr_dispatch_id 0
		.amdhsa_user_sgpr_private_segment_size 0
		.amdhsa_wavefront_size32 1
		.amdhsa_uses_dynamic_stack 0
		.amdhsa_enable_private_segment 1
		.amdhsa_system_sgpr_workgroup_id_x 1
		.amdhsa_system_sgpr_workgroup_id_y 1
		.amdhsa_system_sgpr_workgroup_id_z 1
		.amdhsa_system_sgpr_workgroup_info 0
		.amdhsa_system_vgpr_workitem_id 0
		.amdhsa_next_free_vgpr 192
		.amdhsa_next_free_sgpr 44
		.amdhsa_reserve_vcc 1
		.amdhsa_float_round_mode_32 0
		.amdhsa_float_round_mode_16_64 0
		.amdhsa_float_denorm_mode_32 3
		.amdhsa_float_denorm_mode_16_64 3
		.amdhsa_dx10_clamp 1
		.amdhsa_ieee_mode 1
		.amdhsa_fp16_overflow 0
		.amdhsa_workgroup_processor_mode 1
		.amdhsa_memory_ordered 1
		.amdhsa_forward_progress 0
		.amdhsa_shared_vgpr_count 0
		.amdhsa_exception_fp_ieee_invalid_op 0
		.amdhsa_exception_fp_denorm_src 0
		.amdhsa_exception_fp_ieee_div_zero 0
		.amdhsa_exception_fp_ieee_overflow 0
		.amdhsa_exception_fp_ieee_underflow 0
		.amdhsa_exception_fp_ieee_inexact 0
		.amdhsa_exception_int_div_zero 0
	.end_amdhsa_kernel
	.section	.text._ZN4vllm25paged_attention_v2_kernelIthLi128ELi32ELi128ELNS_18Fp8KVCacheDataTypeE1ELb1ELi512EEEvPfS2_PT_PKS3_PKT0_S9_ifPKiSB_iPKfiiiSD_SD_iiiii,"axG",@progbits,_ZN4vllm25paged_attention_v2_kernelIthLi128ELi32ELi128ELNS_18Fp8KVCacheDataTypeE1ELb1ELi512EEEvPfS2_PT_PKS3_PKT0_S9_ifPKiSB_iPKfiiiSD_SD_iiiii,comdat
.Lfunc_end353:
	.size	_ZN4vllm25paged_attention_v2_kernelIthLi128ELi32ELi128ELNS_18Fp8KVCacheDataTypeE1ELb1ELi512EEEvPfS2_PT_PKS3_PKT0_S9_ifPKiSB_iPKfiiiSD_SD_iiiii, .Lfunc_end353-_ZN4vllm25paged_attention_v2_kernelIthLi128ELi32ELi128ELNS_18Fp8KVCacheDataTypeE1ELb1ELi512EEEvPfS2_PT_PKS3_PKT0_S9_ifPKiSB_iPKfiiiSD_SD_iiiii
                                        ; -- End function
	.section	.AMDGPU.csdata,"",@progbits
; Kernel info:
; codeLenInByte = 280
; NumSgprs: 46
; NumVgprs: 192
; ScratchSize: 336
; MemoryBound: 0
; FloatMode: 240
; IeeeMode: 1
; LDSByteSize: 288 bytes/workgroup (compile time only)
; SGPRBlocks: 5
; VGPRBlocks: 23
; NumSGPRsForWavesPerEU: 46
; NumVGPRsForWavesPerEU: 192
; Occupancy: 8
; WaveLimiterHint : 1
; COMPUTE_PGM_RSRC2:SCRATCH_EN: 1
; COMPUTE_PGM_RSRC2:USER_SGPR: 13
; COMPUTE_PGM_RSRC2:TRAP_HANDLER: 0
; COMPUTE_PGM_RSRC2:TGID_X_EN: 1
; COMPUTE_PGM_RSRC2:TGID_Y_EN: 1
; COMPUTE_PGM_RSRC2:TGID_Z_EN: 1
; COMPUTE_PGM_RSRC2:TIDIG_COMP_CNT: 0
	.text
	.p2align	2                               ; -- Begin function _ZN4vllm22paged_attention_kernelIthLi192ELi32ELi128ELNS_18Fp8KVCacheDataTypeE1ELb1ELi512EEEvPfS2_PT_PKS3_PKT0_S9_ifPKiSB_iPKfiiiSD_SD_iiiii
	.type	_ZN4vllm22paged_attention_kernelIthLi192ELi32ELi128ELNS_18Fp8KVCacheDataTypeE1ELb1ELi512EEEvPfS2_PT_PKS3_PKT0_S9_ifPKiSB_iPKfiiiSD_SD_iiiii,@function
_ZN4vllm22paged_attention_kernelIthLi192ELi32ELi128ELNS_18Fp8KVCacheDataTypeE1ELb1ELi512EEEvPfS2_PT_PKS3_PKT0_S9_ifPKiSB_iPKfiiiSD_SD_iiiii: ; @_ZN4vllm22paged_attention_kernelIthLi192ELi32ELi128ELNS_18Fp8KVCacheDataTypeE1ELb1ELi512EEEvPfS2_PT_PKS3_PKT0_S9_ifPKiSB_iPKfiiiSD_SD_iiiii
; %bb.0:
	s_waitcnt vmcnt(0) expcnt(0) lgkmcnt(0)
	s_clause 0x1f
	scratch_store_b32 off, v40, s32 offset:324
	; meta instruction
	scratch_store_b32 off, v41, s32 offset:320
	; meta instruction
	scratch_store_b32 off, v42, s32 offset:316
	; meta instruction
	scratch_store_b32 off, v43, s32 offset:312
	; meta instruction
	scratch_store_b32 off, v44, s32 offset:308
	; meta instruction
	scratch_store_b32 off, v45, s32 offset:304
	; meta instruction
	scratch_store_b32 off, v46, s32 offset:300
	; meta instruction
	scratch_store_b32 off, v47, s32 offset:296
	; meta instruction
	scratch_store_b32 off, v56, s32 offset:292
	; meta instruction
	scratch_store_b32 off, v57, s32 offset:288
	; meta instruction
	scratch_store_b32 off, v58, s32 offset:284
	; meta instruction
	scratch_store_b32 off, v59, s32 offset:280
	; meta instruction
	scratch_store_b32 off, v60, s32 offset:276
	; meta instruction
	scratch_store_b32 off, v61, s32 offset:272
	; meta instruction
	scratch_store_b32 off, v62, s32 offset:268
	; meta instruction
	scratch_store_b32 off, v63, s32 offset:264
	; meta instruction
	scratch_store_b32 off, v72, s32 offset:260
	; meta instruction
	scratch_store_b32 off, v73, s32 offset:256
	; meta instruction
	scratch_store_b32 off, v74, s32 offset:252
	; meta instruction
	scratch_store_b32 off, v75, s32 offset:248
	; meta instruction
	scratch_store_b32 off, v76, s32 offset:244
	; meta instruction
	scratch_store_b32 off, v77, s32 offset:240
	; meta instruction
	scratch_store_b32 off, v78, s32 offset:236
	; meta instruction
	scratch_store_b32 off, v79, s32 offset:232
	; meta instruction
	scratch_store_b32 off, v88, s32 offset:228
	; meta instruction
	scratch_store_b32 off, v89, s32 offset:224
	; meta instruction
	scratch_store_b32 off, v90, s32 offset:220
	; meta instruction
	scratch_store_b32 off, v91, s32 offset:216
	; meta instruction
	scratch_store_b32 off, v92, s32 offset:212
	; meta instruction
	scratch_store_b32 off, v93, s32 offset:208
	; meta instruction
	scratch_store_b32 off, v94, s32 offset:204
	; meta instruction
	scratch_store_b32 off, v95, s32 offset:200
	s_clause 0x1f
	scratch_store_b32 off, v104, s32 offset:196
	; meta instruction
	scratch_store_b32 off, v105, s32 offset:192
	; meta instruction
	scratch_store_b32 off, v106, s32 offset:188
	; meta instruction
	scratch_store_b32 off, v107, s32 offset:184
	; meta instruction
	scratch_store_b32 off, v108, s32 offset:180
	; meta instruction
	scratch_store_b32 off, v109, s32 offset:176
	; meta instruction
	scratch_store_b32 off, v110, s32 offset:172
	; meta instruction
	scratch_store_b32 off, v111, s32 offset:168
	; meta instruction
	scratch_store_b32 off, v120, s32 offset:164
	; meta instruction
	scratch_store_b32 off, v121, s32 offset:160
	; meta instruction
	scratch_store_b32 off, v122, s32 offset:156
	; meta instruction
	scratch_store_b32 off, v123, s32 offset:152
	; meta instruction
	scratch_store_b32 off, v124, s32 offset:148
	; meta instruction
	scratch_store_b32 off, v125, s32 offset:144
	; meta instruction
	scratch_store_b32 off, v126, s32 offset:140
	; meta instruction
	scratch_store_b32 off, v127, s32 offset:136
	; meta instruction
	scratch_store_b32 off, v136, s32 offset:132
	; meta instruction
	scratch_store_b32 off, v137, s32 offset:128
	; meta instruction
	scratch_store_b32 off, v138, s32 offset:124
	; meta instruction
	scratch_store_b32 off, v139, s32 offset:120
	; meta instruction
	scratch_store_b32 off, v140, s32 offset:116
	; meta instruction
	scratch_store_b32 off, v141, s32 offset:112
	; meta instruction
	scratch_store_b32 off, v142, s32 offset:108
	; meta instruction
	scratch_store_b32 off, v143, s32 offset:104
	; meta instruction
	scratch_store_b32 off, v152, s32 offset:100
	; meta instruction
	scratch_store_b32 off, v153, s32 offset:96
	; meta instruction
	scratch_store_b32 off, v154, s32 offset:92
	; meta instruction
	scratch_store_b32 off, v155, s32 offset:88
	; meta instruction
	scratch_store_b32 off, v156, s32 offset:84
	; meta instruction
	scratch_store_b32 off, v157, s32 offset:80
	; meta instruction
	scratch_store_b32 off, v158, s32 offset:76
	; meta instruction
	scratch_store_b32 off, v159, s32 offset:72
	s_clause 0xf
	scratch_store_b32 off, v168, s32 offset:68
	; meta instruction
	scratch_store_b32 off, v169, s32 offset:64
	; meta instruction
	;; [unrolled: 2-line block ×15, first 2 shown]
	scratch_store_b32 off, v191, s32 offset:8
	s_mov_b32 s10, s13
	s_ashr_i32 s11, s13, 31
	s_clause 0x1
	scratch_store_b64 off, v[24:25], s32 offset:516
	scratch_store_b32 off, v13, s32 offset:524
	s_lshl_b64 s[0:1], s[10:11], 2
	v_mov_b32_e32 v24, v0
	v_add_co_u32 v0, vcc_lo, v16, s0
	v_dual_mov_b32 v63, v22 :: v_dual_mov_b32 v60, v5
	v_dual_mov_b32 v25, v3 :: v_dual_mov_b32 v22, v1
	v_add_co_ci_u32_e32 v1, vcc_lo, s1, v17, vcc_lo
	flat_load_b32 v38, v[0:1]
	s_clause 0x1
	scratch_load_b32 v0, off, s32 offset:4
	scratch_load_b32 v1, off, s32
	v_dual_mov_b32 v61, v4 :: v_dual_mov_b32 v32, v2
	s_lshl_b32 s3, s14, 9
	s_mov_b32 s11, exec_lo
	s_waitcnt vmcnt(2) lgkmcnt(0)
	v_cmpx_lt_i32_e64 s3, v38
	s_cbranch_execz .LBB354_3220
; %bb.1:
	v_sub_nc_u32_e32 v2, 0, v12
	s_clause 0x1
	s_load_b32 s0, s[8:9], 0x10
	s_load_b32 s1, s[8:9], 0x0
	s_mov_b32 s6, s15
	v_max_i32_e32 v2, v12, v2
	s_delay_alu instid0(VALU_DEP_1) | instskip(SKIP_1) | instid1(VALU_DEP_2)
	v_cvt_f32_u32_e32 v3, v2
	v_sub_nc_u32_e32 v4, 0, v2
	v_rcp_iflag_f32_e32 v3, v3
	s_waitcnt lgkmcnt(0)
	s_lshr_b32 s0, s0, 16
	s_delay_alu instid0(SALU_CYCLE_1)
	s_cmp_lg_u32 s0, 0
	s_cselect_b32 s0, -1, 0
	s_waitcnt_depctr 0xfff
	v_mul_f32_e32 v3, 0x4f7ffffe, v3
	s_cmp_lg_u32 s0, 0
	s_addc_u32 s15, s1, 0
	s_mov_b32 s1, exec_lo
	s_delay_alu instid0(VALU_DEP_1) | instskip(SKIP_1) | instid1(VALU_DEP_1)
	v_cvt_u32_f32_e32 v3, v3
	s_abs_i32 s0, s15
	v_mul_lo_u32 v4, v4, v3
	s_delay_alu instid0(VALU_DEP_1) | instskip(NEXT) | instid1(VALU_DEP_1)
	v_mul_hi_u32 v4, v3, v4
	v_add_nc_u32_e32 v3, v3, v4
	s_delay_alu instid0(VALU_DEP_1) | instskip(NEXT) | instid1(VALU_DEP_1)
	v_mul_hi_u32 v3, s0, v3
	v_mul_lo_u32 v4, v3, v2
	v_add_nc_u32_e32 v5, 1, v3
	s_delay_alu instid0(VALU_DEP_2) | instskip(SKIP_1) | instid1(VALU_DEP_1)
	v_sub_nc_u32_e32 v4, s0, v4
	s_abs_i32 s0, s12
	v_sub_nc_u32_e32 v13, v4, v2
	v_cmp_ge_u32_e32 vcc_lo, v4, v2
	v_cndmask_b32_e32 v3, v3, v5, vcc_lo
	s_delay_alu instid0(VALU_DEP_3) | instskip(SKIP_1) | instid1(VALU_DEP_3)
	v_cndmask_b32_e32 v4, v4, v13, vcc_lo
	v_xor_b32_e32 v5, s15, v12
	v_add_nc_u32_e32 v13, 1, v3
	s_delay_alu instid0(VALU_DEP_3) | instskip(NEXT) | instid1(VALU_DEP_3)
	v_cmp_ge_u32_e32 vcc_lo, v4, v2
	v_ashrrev_i32_e32 v5, 31, v5
	s_delay_alu instid0(VALU_DEP_3) | instskip(NEXT) | instid1(VALU_DEP_1)
	v_cndmask_b32_e32 v2, v3, v13, vcc_lo
	v_xor_b32_e32 v2, v2, v5
	s_delay_alu instid0(VALU_DEP_1) | instskip(NEXT) | instid1(VALU_DEP_1)
	v_sub_nc_u32_e32 v3, v2, v5
	v_sub_nc_u32_e32 v2, 0, v3
	s_delay_alu instid0(VALU_DEP_1) | instskip(NEXT) | instid1(VALU_DEP_1)
	v_max_i32_e32 v2, v3, v2
	v_cvt_f32_u32_e32 v4, v2
	v_sub_nc_u32_e32 v5, 0, v2
	s_delay_alu instid0(VALU_DEP_2) | instskip(SKIP_2) | instid1(VALU_DEP_1)
	v_rcp_iflag_f32_e32 v4, v4
	s_waitcnt_depctr 0xfff
	v_mul_f32_e32 v4, 0x4f7ffffe, v4
	v_cvt_u32_f32_e32 v4, v4
	s_delay_alu instid0(VALU_DEP_1) | instskip(NEXT) | instid1(VALU_DEP_1)
	v_mul_lo_u32 v5, v5, v4
	v_mul_hi_u32 v5, v4, v5
	s_delay_alu instid0(VALU_DEP_1) | instskip(NEXT) | instid1(VALU_DEP_1)
	v_add_nc_u32_e32 v4, v4, v5
	v_mad_u64_u32 v[16:17], null, s0, v4, 0
	v_mov_b32_e32 v4, 0
	scratch_store_b32 off, v4, s32 offset:528 ; 4-byte Folded Spill
	v_cmpx_ne_u64_e32 0, v[19:20]
	s_cbranch_execz .LBB354_3
; %bb.2:
	s_ashr_i32 s13, s12, 31
	s_delay_alu instid0(SALU_CYCLE_1) | instskip(NEXT) | instid1(SALU_CYCLE_1)
	s_lshl_b64 s[4:5], s[12:13], 2
	v_add_co_u32 v4, vcc_lo, v19, s4
	v_add_co_ci_u32_e32 v5, vcc_lo, s5, v20, vcc_lo
	flat_load_b32 v4, v[4:5]
	s_waitcnt vmcnt(0) lgkmcnt(0)
	scratch_store_b32 off, v4, s32 offset:528 ; 4-byte Folded Spill
.LBB354_3:
	s_or_b32 exec_lo, exec_lo, s1
	v_and_b32_e32 v62, 0x3ff, v31
	v_ashrrev_i32_e32 v3, 31, v3
	s_ashr_i32 s1, s12, 31
	s_mul_i32 s4, s12, 0xc0
	s_mov_b32 s2, exec_lo
	v_cmpx_gt_u32_e32 24, v62
	s_cbranch_execz .LBB354_5
; %bb.4:
	v_mul_lo_u32 v4, s10, v21
	s_ashr_i32 s5, s4, 31
	v_lshlrev_b32_e32 v13, 4, v62
	s_lshl_b64 s[16:17], s[4:5], 1
	s_delay_alu instid0(VALU_DEP_2) | instskip(NEXT) | instid1(VALU_DEP_1)
	v_ashrrev_i32_e32 v5, 31, v4
	v_lshlrev_b64 v[4:5], 1, v[4:5]
	s_delay_alu instid0(VALU_DEP_1) | instskip(NEXT) | instid1(VALU_DEP_2)
	v_add_co_u32 v4, vcc_lo, v6, v4
	v_add_co_ci_u32_e32 v5, vcc_lo, v7, v5, vcc_lo
	s_delay_alu instid0(VALU_DEP_2) | instskip(NEXT) | instid1(VALU_DEP_2)
	v_add_co_u32 v4, vcc_lo, v4, s16
	v_add_co_ci_u32_e32 v5, vcc_lo, s17, v5, vcc_lo
	s_delay_alu instid0(VALU_DEP_2) | instskip(NEXT) | instid1(VALU_DEP_2)
	v_add_co_u32 v4, vcc_lo, v4, v13
	v_add_co_ci_u32_e32 v5, vcc_lo, 0, v5, vcc_lo
	flat_load_b128 v[4:7], v[4:5]
	s_waitcnt vmcnt(0) lgkmcnt(0)
	ds_store_b128 v13, v[4:7]
.LBB354_5:
	s_or_b32 exec_lo, exec_lo, s2
	s_waitcnt vmcnt(0)
	v_sub_nc_u32_e32 v4, 0, v1
	v_mul_lo_u32 v5, v17, v2
	v_xor_b32_e32 v3, s1, v3
	v_add_nc_u32_e32 v7, 1, v17
	s_delay_alu instid0(VALU_DEP_4) | instskip(NEXT) | instid1(VALU_DEP_4)
	v_max_i32_e32 v73, v1, v4
	v_sub_nc_u32_e32 v5, s0, v5
	s_delay_alu instid0(VALU_DEP_2) | instskip(SKIP_1) | instid1(VALU_DEP_2)
	v_cvt_f32_u32_e32 v4, v73
	s_mov_b32 s0, exec_lo
	v_sub_nc_u32_e32 v16, v5, v2
	s_delay_alu instid0(VALU_DEP_2) | instskip(SKIP_1) | instid1(VALU_DEP_2)
	v_rcp_iflag_f32_e32 v4, v4
	v_cmp_ge_u32_e32 vcc_lo, v5, v2
	v_cndmask_b32_e32 v5, v5, v16, vcc_lo
	s_waitcnt_depctr 0xfff
	v_dual_cndmask_b32 v7, v17, v7 :: v_dual_mul_f32 v4, 0x4f7ffffe, v4
	v_cmp_ge_u32_e32 vcc_lo, v5, v2
	s_delay_alu instid0(VALU_DEP_2) | instskip(SKIP_1) | instid1(VALU_DEP_1)
	v_cvt_u32_f32_e32 v6, v4
	v_sub_nc_u32_e32 v4, 0, v73
	v_mul_lo_u32 v13, v4, v6
	v_add_nc_u32_e32 v4, -1, v38
	v_add_nc_u32_e32 v17, 1, v7
	s_delay_alu instid0(VALU_DEP_3) | instskip(NEXT) | instid1(VALU_DEP_3)
	v_mul_hi_u32 v16, v6, v13
	v_sub_nc_u32_e32 v13, 0, v4
	s_delay_alu instid0(VALU_DEP_3) | instskip(NEXT) | instid1(VALU_DEP_2)
	v_cndmask_b32_e32 v5, v7, v17, vcc_lo
	v_max_i32_e32 v2, v4, v13
	s_delay_alu instid0(VALU_DEP_4) | instskip(NEXT) | instid1(VALU_DEP_3)
	v_add_nc_u32_e32 v6, v6, v16
	v_xor_b32_e32 v5, v5, v3
	s_delay_alu instid0(VALU_DEP_2) | instskip(NEXT) | instid1(VALU_DEP_2)
	v_mad_u64_u32 v[16:17], null, v2, v6, 0
	v_sub_nc_u32_e32 v16, v5, v3
	scratch_store_b32 off, v6, s32 offset:336 ; 4-byte Folded Spill
	s_waitcnt lgkmcnt(0)
	s_waitcnt_vscnt null, 0x0
	s_barrier
	buffer_gl0_inv
                                        ; implicit-def: $vgpr3
	scratch_store_b64 off, v[3:4], s32 offset:328 ; 8-byte Folded Spill
	v_cmpx_gt_i32_e32 0, v0
	s_xor_b32 s0, exec_lo, s0
	s_cbranch_execz .LBB354_7
; %bb.6:
	v_mad_u64_u32 v[5:6], null, v28, v12, v[16:17]
                                        ; implicit-def: $vgpr28
	s_delay_alu instid0(VALU_DEP_1) | instskip(NEXT) | instid1(VALU_DEP_1)
	v_mul_lo_u32 v0, v5, v0
	v_sub_nc_u32_e32 v0, 1, v0
	scratch_store_b64 off, v[0:1], s32 offset:328 ; 8-byte Folded Spill
                                        ; implicit-def: $vgpr0
.LBB354_7:
	s_or_saveexec_b32 s0, s0
	v_ashrrev_i32_e32 v3, 31, v4
	v_ashrrev_i32_e32 v74, 31, v1
	s_xor_b32 exec_lo, exec_lo, s0
	s_cbranch_execz .LBB354_9
; %bb.8:
	v_mad_u64_u32 v[4:5], null, s15, v28, s[12:13]
	s_delay_alu instid0(VALU_DEP_1)
	v_mad_u64_u32 v[5:6], null, v4, v0, 1
	scratch_store_b64 off, v[5:6], s32 offset:328 ; 8-byte Folded Spill
.LBB354_9:
	s_or_b32 exec_lo, exec_lo, s0
	v_mul_lo_u32 v0, v17, v73
	v_dual_mov_b32 v19, 0xff7fffff :: v_dual_add_nc_u32 v4, 1, v17
	s_clause 0x1
	s_load_b32 s18, s[8:9], 0x14
	s_load_b32 s5, s[8:9], 0x8
	v_xor_b32_e32 v3, v3, v74
	s_lshl_b32 s13, s14, 4
	v_lshrrev_b32_e32 v72, 5, v62
	v_mul_lo_u32 v12, v16, v23
	v_sub_nc_u32_e32 v2, v2, v0
	v_mul_lo_u32 v0, s10, v18
	s_add_i32 s0, s13, 16
	v_and_b32_e32 v7, 31, v62
	v_lshl_add_u32 v77, v72, 5, s3
	v_cmp_ge_u32_e32 vcc_lo, v2, v73
	v_add_nc_u32_e32 v1, 31, v38
	v_sub_nc_u32_e32 v6, v2, v73
	v_ashrrev_i32_e32 v18, 31, v12
	v_lshlrev_b32_e32 v16, 2, v7
	v_cndmask_b32_e32 v4, v17, v4, vcc_lo
	v_ashrrev_i32_e32 v5, 31, v1
	v_sub_nc_u32_e32 v17, 0, v30
	v_add_nc_u32_e32 v75, s13, v72
	s_delay_alu instid0(VALU_DEP_3) | instskip(SKIP_2) | instid1(VALU_DEP_4)
	v_lshrrev_b32_e32 v5, 27, v5
	v_cndmask_b32_e32 v2, v2, v6, vcc_lo
	v_add_nc_u32_e32 v6, 1, v4
	v_ashrrev_i32_e32 v76, 31, v75
	s_delay_alu instid0(VALU_DEP_4) | instskip(NEXT) | instid1(VALU_DEP_4)
	v_add_nc_u32_e32 v1, v1, v5
	v_cmp_ge_u32_e32 vcc_lo, v2, v73
	s_delay_alu instid0(VALU_DEP_2) | instskip(SKIP_2) | instid1(VALU_DEP_3)
	v_ashrrev_i32_e32 v13, 5, v1
	v_cndmask_b32_e32 v2, v4, v6, vcc_lo
	v_ashrrev_i32_e32 v1, 31, v0
	v_min_i32_e32 v78, s0, v13
	s_delay_alu instid0(VALU_DEP_3) | instskip(NEXT) | instid1(VALU_DEP_3)
	v_xor_b32_e32 v2, v2, v3
	v_lshlrev_b64 v[0:1], 2, v[0:1]
	s_delay_alu instid0(VALU_DEP_3) | instskip(NEXT) | instid1(VALU_DEP_3)
	v_cmp_lt_i32_e64 s0, v75, v78
	v_sub_nc_u32_e32 v2, v2, v3
	scratch_store_b64 off, v[0:1], s32 offset:548 ; 8-byte Folded Spill
	v_sub_nc_u32_e32 v0, v2, v29
	s_clause 0x1
	scratch_store_b32 off, v0, s32 offset:340
	scratch_store_b32 off, v7, s32 offset:512
	s_and_saveexec_b32 s19, s0
	s_cbranch_execz .LBB354_1553
; %bb.10:
	s_clause 0x10
	scratch_store_b32 off, v13, s32 offset:624
	scratch_store_b32 off, v32, s32 offset:616
	;; [unrolled: 1-line block ×17, first 2 shown]
	scratch_load_b32 v6, off, s32 offset:512 ; 4-byte Folded Reload
	v_max_i32_e32 v7, v30, v17
	v_add_co_u32 v3, vcc_lo, v8, v12
	v_add_co_ci_u32_e32 v4, vcc_lo, v9, v18, vcc_lo
	s_delay_alu instid0(VALU_DEP_3)
	v_cvt_f32_u32_e32 v0, v7
	s_clause 0x1
	scratch_store_b32 off, v12, s32 offset:620
	scratch_store_b32 off, v18, s32 offset:632
	s_ashr_i32 s7, s6, 31
	s_getpc_b64 s[16:17]
	s_add_u32 s16, s16, llvm.amdgcn.dynlds.offset.table@rel32@lo+4
	s_addc_u32 s17, s17, llvm.amdgcn.dynlds.offset.table@rel32@hi+12
	v_rcp_iflag_f32_e32 v2, v0
	scratch_load_b32 v0, off, s32 offset:528 ; 4-byte Folded Reload
	s_clause 0x1
	scratch_store_b32 off, v72, s32 offset:568
	scratch_store_b32 off, v16, s32 offset:636
	s_lshl_b64 s[20:21], s[6:7], 2
	v_lshl_add_u32 v9, v72, 5, s3
	s_add_u32 s16, s20, s16
	s_addc_u32 s17, s21, s17
	v_lshl_or_b32 v156, v72, 7, v16
	v_mov_b32_e32 v81, v75
	s_load_b32 s7, s[16:17], 0x0
	v_mul_f32_e32 v2, 0x4f7ffffe, v2
	s_mov_b32 s8, -1
	s_mov_b32 s9, 0xffffff
	s_mov_b32 s20, 0
	v_mov_b32_e32 v8, 0
	v_cvt_u32_f32_e32 v2, v2
	s_waitcnt vmcnt(1)
	v_lshlrev_b32_e32 v5, 4, v6
	v_sub_nc_u32_e32 v6, v6, v38
	v_mov_b32_e32 v19, 0xff7fffff
	s_delay_alu instid0(VALU_DEP_3) | instskip(NEXT) | instid1(VALU_DEP_1)
	v_add_co_u32 v3, s1, v3, v5
	v_add_co_ci_u32_e64 v4, s1, 0, v4, s1
	scratch_store_b32 off, v7, s32 offset:420 ; 4-byte Folded Spill
	v_sub_nc_u32_e32 v7, 0, v7
	scratch_store_b64 off, v[3:4], s32 offset:536 ; 8-byte Folded Spill
	scratch_load_b64 v[4:5], off, s32 offset:548 ; 8-byte Folded Reload
	s_waitcnt vmcnt(1)
	v_cmp_neq_f32_e32 vcc_lo, 0, v0
	v_mul_lo_u32 v7, v7, v2
	v_lshlrev_b64 v[0:1], 2, v[75:76]
	s_delay_alu instid0(VALU_DEP_2) | instskip(SKIP_1) | instid1(VALU_DEP_2)
	v_mul_hi_u32 v3, v2, v7
	s_waitcnt vmcnt(0)
	v_add_co_u32 v0, s1, v4, v0
	s_delay_alu instid0(VALU_DEP_1) | instskip(SKIP_1) | instid1(VALU_DEP_3)
	v_add_co_ci_u32_e64 v1, s1, v5, v1, s1
	v_add_nc_u32_e32 v4, 1, v6
	v_add_co_u32 v28, s1, v14, v0
	s_delay_alu instid0(VALU_DEP_1)
	v_add_co_ci_u32_e64 v29, s1, v15, v1, s1
	v_add_nc_u32_e32 v0, v2, v3
	s_clause 0x4
	scratch_store_b32 off, v4, s32 offset:544
	scratch_store_b32 off, v14, s32 offset:588
	;; [unrolled: 1-line block ×4, first 2 shown]
	scratch_store_b64 off, v[75:76], s32 offset:572
	s_branch .LBB354_16
.LBB354_11:                             ;   in Loop: Header=BB354_16 Depth=1
	s_or_b32 exec_lo, exec_lo, s24
	v_lshlrev_b32_e32 v7, 8, v33
	v_lshl_add_u32 v23, v23, 10, 0x2000
	s_delay_alu instid0(VALU_DEP_1) | instskip(NEXT) | instid1(VALU_DEP_1)
	v_and_or_b32 v7, 0x8000, v7, v23
	v_lshl_or_b32 v7, v31, 7, v7
	s_delay_alu instid0(VALU_DEP_1)
	v_cvt_f32_f16_e32 v23, v7
.LBB354_12:                             ;   in Loop: Header=BB354_16 Depth=1
	s_or_b32 exec_lo, exec_lo, s23
.LBB354_13:                             ;   in Loop: Header=BB354_16 Depth=1
	s_delay_alu instid0(SALU_CYCLE_1)
	s_or_b32 exec_lo, exec_lo, s22
.LBB354_14:                             ;   in Loop: Header=BB354_16 Depth=1
	s_delay_alu instid0(SALU_CYCLE_1)
	s_or_b32 exec_lo, exec_lo, s21
	v_fma_mixlo_f16 v7, v82, v129, 0
	v_fma_mixlo_f16 v31, v82, v52, 0
	v_fma_mixlo_f16 v52, v82, v102, 0
	v_fma_mixlo_f16 v102, v82, v101, 0
	v_fma_mixlo_f16 v101, v82, v114, 0
	scratch_store_b32 off, v7, s32 offset:448 ; 4-byte Folded Spill
	v_fma_mixlo_f16 v7, v82, v83, 0
	v_fma_mixlo_f16 v114, v82, v21, 0
	v_fma_mixlo_f16 v21, v82, v6, 0
	v_fma_mixlo_f16 v129, v82, v158, 0
	v_fma_mixlo_f16 v158, v82, v159, 0
	scratch_store_b32 off, v7, s32 offset:452 ; 4-byte Folded Spill
	;; [unrolled: 6-line block ×11, first 2 shown]
	v_fma_mixlo_f16 v7, v82, v11, 0
	scratch_store_b32 off, v0, s32 offset:504 ; 4-byte Folded Spill
	v_fma_mixlo_f16 v0, v82, v19, 0
	v_fma_mixlo_f16 v11, v82, v171, 0
	v_fma_mixlo_f16 v171, v82, v140, 0
	scratch_store_b32 off, v7, s32 offset:492 ; 4-byte Folded Spill
	v_fma_mixlo_f16 v7, v82, v80, 0
	scratch_store_b32 off, v0, s32 offset:508 ; 4-byte Folded Spill
	v_fma_mixlo_f16 v0, v82, v53, 0
	v_fma_mixlo_f16 v140, v82, v154, 0
	v_fma_mixlo_f16 v154, v82, v123, 0
	scratch_store_b32 off, v7, s32 offset:472 ; 4-byte Folded Spill
	;; [unrolled: 6-line block ×3, first 2 shown]
	v_fma_mixlo_f16 v7, v82, v118, 0
	scratch_store_b32 off, v0, s32 offset:496 ; 4-byte Folded Spill
	scratch_load_b32 v0, off, s32 offset:360 ; 4-byte Folded Reload
	v_fma_mixlo_f16 v108, v82, v122, 0
	v_fma_mixlo_f16 v122, v82, v91, 0
	scratch_store_b32 off, v7, s32 offset:468 ; 4-byte Folded Spill
	v_fma_mixlo_f16 v7, v82, v117, 0
	v_fma_mixlo_f16 v91, v82, v105, 0
	;; [unrolled: 1-line block ×5, first 2 shown]
	scratch_store_b32 off, v7, s32 offset:464 ; 4-byte Folded Spill
	v_fma_mixlo_f16 v59, v82, v73, 0
	v_fma_mixlo_f16 v73, v82, v44, 0
	v_fma_mixlo_f16 v44, v82, v58, 0
	v_fma_mixlo_f16 v58, v82, v179, 0
	v_fma_mixlo_f16 v179, v82, v41, 0
	v_fma_mixlo_f16 v41, v82, v164, 0
	v_fma_mixlo_f16 v164, v82, v178, 0
	v_fma_mixlo_f16 v178, v82, v147, 0
	v_fma_mixlo_f16 v147, v82, v161, 0
	v_fma_mixlo_f16 v161, v82, v133, 0
	v_fma_mixlo_f16 v133, v82, v16, 0
	v_fma_mixlo_f16 v95, v82, v78, 0
	v_fma_mixlo_f16 v78, v82, v79, 0
	v_fma_mixlo_f16 v79, v82, v62, 0
	v_fma_mixlo_f16 v62, v82, v63, 0
	v_fma_mixlo_f16 v63, v82, v46, 0
	v_fma_mixlo_f16 v46, v82, v47, 0
	v_fma_mixlo_f16 v47, v82, v182, 0
	v_fma_mixlo_f16 v182, v82, v183, 0
	v_fma_mixlo_f16 v183, v82, v166, 0
	v_fma_mixlo_f16 v166, v82, v167, 0
	v_fma_mixlo_f16 v167, v82, v150, 0
	v_fma_mixlo_f16 v150, v82, v151, 0
	v_fma_mixlo_f16 v151, v82, v135, 0
	v_fma_mixlo_f16 v135, v82, v146, 0
	v_fma_mixlo_f16 v51, v82, v2, 0
	v_fma_mixlo_f16 v118, v82, v18, 0
	v_fma_mixlo_f16 v37, v82, v113, 0
	v_fma_mixlo_f16 v113, v82, v98, 0
	v_fma_mixlo_f16 v98, v82, v49, 0
	v_fma_mixlo_f16 v49, v82, v66, 0
	v_fma_mixlo_f16 v33, v82, v112, 0
	v_fma_mixlo_f16 v112, v82, v99, 0
	v_fma_mixlo_f16 v99, v82, v116, 0
	v_fma_mixlo_f16 v116, v82, v14, 0
	v_fma_mixlo_f16 v14, v82, v12, 0
	v_fma_mixlo_f16 v85, v82, v10, 0
	v_fma_mixlo_f16 v55, v82, v1, 0
	v_fma_mixlo_f16 v10, v82, v172, 0
	v_fma_mixlo_f16 v172, v82, v139, 0
	v_fma_mixlo_f16 v139, v82, v153, 0
	v_fma_mixlo_f16 v153, v82, v124, 0
	v_fma_mixlo_f16 v124, v82, v138, 0
	v_fma_mixlo_f16 v138, v82, v107, 0
	v_fma_mixlo_f16 v107, v82, v121, 0
	v_fma_mixlo_f16 v121, v82, v92, 0
	v_fma_mixlo_f16 v92, v82, v106, 0
	v_fma_mixlo_f16 v106, v82, v75, 0
	v_fma_mixlo_f16 v75, v82, v89, 0
	v_fma_mixlo_f16 v89, v82, v60, 0
	v_fma_mixlo_f16 v60, v82, v74, 0
	v_fma_mixlo_f16 v74, v82, v43, 0
	v_fma_mixlo_f16 v43, v82, v57, 0
	v_fma_mixlo_f16 v57, v82, v180, 0
	v_fma_mixlo_f16 v180, v82, v42, 0
	v_fma_mixlo_f16 v42, v82, v163, 0
	v_fma_mixlo_f16 v163, v82, v177, 0
	v_fma_mixlo_f16 v177, v82, v148, 0
	v_fma_mixlo_f16 v148, v82, v162, 0
	v_fma_mixlo_f16 v162, v82, v96, 0
	v_fma_mixlo_f16 v132, v82, v188, 0
	v_fma_mixlo_f16 v117, v82, v15, 0
	v_fma_mixlo_f16 v15, v82, v48, 0
	v_fma_mixlo_f16 v32, v82, v65, 0
	v_fma_mixlo_f16 v65, v82, v103, 0
	v_fma_mixlo_f16 v103, v82, v100, 0
	v_fma_mixlo_f16 v100, v82, v115, 0
	v_fma_mixlo_f16 v115, v82, v20, 0
	v_fma_mixlo_f16 v20, v82, v67, 0
	v_fma_mixlo_f16 v67, v82, v39, 0
	v_fma_mixlo_f16 v64, v82, v4, 0
	v_fma_mixlo_f16 v4, v82, v187, 0
	v_fma_mixlo_f16 v80, v82, v50, 0
	v_fma_mixlo_f16 v50, v82, v3, 0
	v_fma_mixlo_f16 v128, v82, v69, 0
	v_fma_mixlo_f16 v69, v82, v184, 0
	v_fma_mixlo_f16 v185, v82, v185, 0
	v_fma_mixlo_f16 v184, v82, v173, 0
	v_fma_mixlo_f16 v173, v82, v23, 0
	s_load_b32 s21, s[16:17], 0x0
	v_fma_mixlo_f16 v53, v82, v30, 0
	v_fma_mixlo_f16 v70, v82, v97, 0
	;; [unrolled: 1-line block ×17, first 2 shown]
	v_and_b32_e32 v5, 0xffff, v5
	s_clause 0x1
	scratch_load_b32 v2, off, s32 offset:528
	scratch_load_b32 v1, off, s32 offset:544
	s_waitcnt vmcnt(2)
	v_fma_mixlo_f16 v16, v82, v0, 0
	scratch_load_b32 v0, off, s32 offset:396 ; 4-byte Folded Reload
	v_and_b32_e32 v16, 0xffff, v16
	s_waitcnt vmcnt(1)
	v_add_nc_u32_e32 v1, v1, v9
	s_delay_alu instid0(VALU_DEP_1) | instskip(NEXT) | instid1(VALU_DEP_1)
	v_cvt_f32_i32_e32 v1, v1
	v_mul_f32_e32 v1, v2, v1
	s_waitcnt vmcnt(0)
	v_fma_mixlo_f16 v83, v82, v0, 0
	scratch_load_b32 v0, off, s32 offset:356 ; 4-byte Folded Reload
	s_waitcnt vmcnt(0)
	v_fma_mixlo_f16 v84, v82, v0, 0
	scratch_load_b32 v0, off, s32 offset:392 ; 4-byte Folded Reload
	;; [unrolled: 3-line block ×8, first 2 shown]
	v_and_b32_e32 v18, 0xffff, v18
	s_waitcnt vmcnt(0)
	v_fma_mixlo_f16 v66, v82, v0, 0
	scratch_load_b32 v0, off, s32 offset:372 ; 4-byte Folded Reload
	s_waitcnt vmcnt(0)
	v_fma_mixlo_f16 v12, v82, v0, 0
	scratch_load_b32 v0, off, s32 offset:348 ; 4-byte Folded Reload
	v_and_b32_e32 v12, 0xffff, v12
	s_waitcnt vmcnt(0)
	v_fma_mixlo_f16 v96, v82, v0, 0
	scratch_load_b32 v0, off, s32 offset:384 ; 4-byte Folded Reload
	s_waitcnt vmcnt(0)
	v_fma_mixlo_f16 v188, v82, v0, 0
	scratch_load_b32 v0, off, s32 offset:388 ; 4-byte Folded Reload
	;; [unrolled: 3-line block ×5, first 2 shown]
	v_cndmask_b32_e32 v7, 0, v1, vcc_lo
	v_fma_mixlo_f16 v1, v82, v175, 0
	scratch_store_b32 off, v1, s32 offset:356 ; 4-byte Folded Spill
	v_fma_mixlo_f16 v1, v82, v170, 0
	scratch_store_b32 off, v1, s32 offset:360 ; 4-byte Folded Spill
	;; [unrolled: 2-line block ×5, first 2 shown]
	s_waitcnt vmcnt(0)
	v_add_nc_u32_e32 v0, v0, v9
	s_delay_alu instid0(VALU_DEP_1)
	v_cmp_lt_i32_e64 s1, v0, v38
	ds_load_b128 v[0:3], v8
	s_waitcnt lgkmcnt(0)
	v_lshrrev_b32_e32 v17, 16, v0
	v_and_b32_e32 v0, 0xffff, v0
	;;#ASMSTART
	v_cvt_f32_f16 v23, v0;
	;;#ASMEND
	v_and_b32_e32 v0, 0xffff, v187
	;;#ASMSTART
	v_cvt_f32_f16 v17, v17;
	;;#ASMEND
	;;#ASMSTART
	v_cvt_f32_f16 v34, v0;
	;;#ASMEND
	v_and_b32_e32 v0, 0xffff, v69
	;;#ASMSTART
	v_cvt_f32_f16 v82, v0;
	;;#ASMEND
	v_lshrrev_b32_e32 v0, 16, v1
	v_and_b32_e32 v1, 0xffff, v1
	;;#ASMSTART
	v_cvt_f32_f16 v170, v1;
	;;#ASMEND
	;;#ASMSTART
	v_cvt_f32_f16 v175, v0;
	;;#ASMEND
	v_and_b32_e32 v0, 0xffff, v4
	;;#ASMSTART
	v_cvt_f32_f16 v186, v0;
	;;#ASMEND
	v_and_b32_e32 v0, 0xffff, v185
	;;#ASMSTART
	v_cvt_f32_f16 v185, v0;
	;;#ASMEND
	v_lshrrev_b32_e32 v0, 16, v2
	v_and_b32_e32 v1, 0xffff, v2
	;;#ASMSTART
	v_cvt_f32_f16 v189, v1;
	;;#ASMEND
	;;#ASMSTART
	v_cvt_f32_f16 v190, v0;
	;;#ASMEND
	v_and_b32_e32 v0, 0xffff, v184
	;; [unrolled: 16-line block ×3, first 2 shown]
	;;#ASMSTART
	v_cvt_f32_f16 v86, v0;
	;;#ASMEND
	v_and_b32_e32 v0, 0xffff, v87
	;;#ASMSTART
	v_cvt_f32_f16 v87, v0;
	;;#ASMEND
	ds_load_b128 v[0:3], v8 offset:16
	s_waitcnt lgkmcnt(0)
	v_lshrrev_b32_e32 v69, 16, v0
	v_and_b32_e32 v0, 0xffff, v0
	;;#ASMSTART
	v_cvt_f32_f16 v0, v0;
	;;#ASMEND
	;;#ASMSTART
	v_cvt_f32_f16 v69, v69;
	;;#ASMEND
	;; [unrolled: 3-line block ×4, first 2 shown]
	v_add_nc_u32_e32 v145, s21, v156
	v_dual_mul_f32 v5, v0, v12 :: v_dual_mul_f32 v12, v69, v187
	v_lshrrev_b32_e32 v0, 16, v1
	v_and_b32_e32 v1, 0xffff, v1
	;;#ASMSTART
	v_cvt_f32_f16 v1, v1;
	;;#ASMEND
	;;#ASMSTART
	v_cvt_f32_f16 v0, v0;
	;;#ASMEND
	v_fmac_f32_e32 v12, v17, v82
	v_and_b32_e32 v17, 0xffff, v66
	;;#ASMSTART
	v_cvt_f32_f16 v17, v17;
	;;#ASMEND
	;;#ASMSTART
	v_cvt_f32_f16 v18, v18;
	;;#ASMEND
	s_delay_alu instid0(VALU_DEP_1)
	v_dual_fmac_f32 v5, v23, v34 :: v_dual_mul_f32 v66, v1, v17
	v_and_b32_e32 v1, 0xffff, v2
	v_mul_f32_e32 v18, v0, v18
	v_lshrrev_b32_e32 v0, 16, v2
	v_and_b32_e32 v2, 0xffff, v188
	;;#ASMSTART
	v_cvt_f32_f16 v1, v1;
	;;#ASMEND
	;;#ASMSTART
	v_cvt_f32_f16 v0, v0;
	;;#ASMEND
	;; [unrolled: 3-line block ×3, first 2 shown]
	v_and_b32_e32 v17, 0xffff, v96
	;;#ASMSTART
	v_cvt_f32_f16 v17, v17;
	;;#ASMEND
	v_mul_f32_e32 v96, v1, v2
	s_delay_alu instid0(VALU_DEP_2)
	v_dual_mul_f32 v82, v0, v17 :: v_dual_and_b32 v1, 0xffff, v3
	v_lshrrev_b32_e32 v0, 16, v3
	v_and_b32_e32 v2, 0xffff, v48
	;;#ASMSTART
	v_cvt_f32_f16 v1, v1;
	;;#ASMEND
	;;#ASMSTART
	v_cvt_f32_f16 v0, v0;
	;;#ASMEND
	;; [unrolled: 3-line block ×3, first 2 shown]
	s_delay_alu instid0(VALU_DEP_1) | instskip(SKIP_1) | instid1(VALU_DEP_1)
	v_dual_mul_f32 v48, v1, v2 :: v_dual_and_b32 v3, 0xffff, v39
	;;#ASMSTART
	v_cvt_f32_f16 v3, v3;
	;;#ASMEND
	v_mul_f32_e32 v39, v0, v3
	ds_load_b128 v[0:3], v8 offset:32
	v_fmac_f32_e32 v66, v170, v186
	v_fmac_f32_e32 v18, v175, v185
	v_dual_fmac_f32 v96, v189, v184 :: v_dual_fmac_f32 v39, v4, v87
	v_fmac_f32_e32 v82, v190, v174
	v_dual_fmac_f32 v48, v191, v86 :: v_dual_and_b32 v17, 0xffff, v169
	v_and_b32_e32 v23, 0xffff, v84
	s_waitcnt lgkmcnt(0)
	v_lshrrev_b32_e32 v4, 16, v0
	v_and_b32_e32 v0, 0xffff, v0
	;;#ASMSTART
	v_cvt_f32_f16 v0, v0;
	;;#ASMEND
	;;#ASMSTART
	v_cvt_f32_f16 v4, v4;
	;;#ASMEND
	;; [unrolled: 3-line block ×3, first 2 shown]
	s_delay_alu instid0(VALU_DEP_1)
	v_fmac_f32_e32 v5, v0, v17
	v_lshrrev_b32_e32 v0, 16, v1
	v_and_b32_e32 v1, 0xffff, v1
	;;#ASMSTART
	v_cvt_f32_f16 v23, v23;
	;;#ASMEND
	v_fmac_f32_e32 v12, v4, v23
	;;#ASMSTART
	v_cvt_f32_f16 v1, v1;
	;;#ASMEND
	;;#ASMSTART
	v_cvt_f32_f16 v0, v0;
	;;#ASMEND
	v_and_b32_e32 v4, 0xffff, v83
	;;#ASMSTART
	v_cvt_f32_f16 v4, v4;
	;;#ASMEND
	;;#ASMSTART
	v_cvt_f32_f16 v16, v16;
	;;#ASMEND
	s_delay_alu instid0(VALU_DEP_1)
	v_dual_fmac_f32 v66, v1, v4 :: v_dual_and_b32 v1, 0xffff, v2
	v_fmac_f32_e32 v18, v0, v16
	v_lshrrev_b32_e32 v0, 16, v2
	v_and_b32_e32 v2, 0xffff, v6
	;;#ASMSTART
	v_cvt_f32_f16 v1, v1;
	;;#ASMEND
	;;#ASMSTART
	v_cvt_f32_f16 v0, v0;
	;;#ASMEND
	;; [unrolled: 3-line block ×3, first 2 shown]
	v_and_b32_e32 v4, 0xffff, v155
	;;#ASMSTART
	v_cvt_f32_f16 v4, v4;
	;;#ASMEND
	v_fmac_f32_e32 v96, v1, v2
	s_delay_alu instid0(VALU_DEP_2)
	v_dual_fmac_f32 v82, v0, v4 :: v_dual_and_b32 v1, 0xffff, v3
	v_lshrrev_b32_e32 v0, 16, v3
	v_and_b32_e32 v2, 0xffff, v68
	v_and_b32_e32 v3, 0xffff, v146
	;;#ASMSTART
	v_cvt_f32_f16 v1, v1;
	;;#ASMEND
	;;#ASMSTART
	v_cvt_f32_f16 v0, v0;
	;;#ASMEND
	;; [unrolled: 3-line block ×4, first 2 shown]
	v_dual_fmac_f32 v48, v1, v2 :: v_dual_fmac_f32 v39, v0, v3
	ds_load_b128 v[0:3], v8 offset:48
	v_and_b32_e32 v6, 0xffff, v133
	v_and_b32_e32 v16, 0xffff, v162
	s_waitcnt lgkmcnt(0)
	v_lshrrev_b32_e32 v4, 16, v0
	v_and_b32_e32 v0, 0xffff, v0
	;;#ASMSTART
	v_cvt_f32_f16 v0, v0;
	;;#ASMEND
	;;#ASMSTART
	v_cvt_f32_f16 v4, v4;
	;;#ASMEND
	;; [unrolled: 3-line block ×3, first 2 shown]
	s_delay_alu instid0(VALU_DEP_1)
	v_fmac_f32_e32 v5, v0, v6
	v_lshrrev_b32_e32 v0, 16, v1
	v_and_b32_e32 v1, 0xffff, v1
	;;#ASMSTART
	v_cvt_f32_f16 v16, v16;
	;;#ASMEND
	v_fmac_f32_e32 v12, v4, v16
	;;#ASMSTART
	v_cvt_f32_f16 v1, v1;
	;;#ASMEND
	;;#ASMSTART
	v_cvt_f32_f16 v0, v0;
	;;#ASMEND
	v_and_b32_e32 v4, 0xffff, v161
	v_and_b32_e32 v6, 0xffff, v160
	;;#ASMSTART
	v_cvt_f32_f16 v4, v4;
	;;#ASMEND
	;;#ASMSTART
	v_cvt_f32_f16 v6, v6;
	;;#ASMEND
	s_delay_alu instid0(VALU_DEP_2) | instskip(NEXT) | instid1(VALU_DEP_2)
	v_dual_fmac_f32 v66, v1, v4 :: v_dual_and_b32 v1, 0xffff, v2
	v_fmac_f32_e32 v18, v0, v6
	v_lshrrev_b32_e32 v0, 16, v2
	v_and_b32_e32 v2, 0xffff, v151
	;;#ASMSTART
	v_cvt_f32_f16 v1, v1;
	;;#ASMEND
	;;#ASMSTART
	v_cvt_f32_f16 v0, v0;
	;;#ASMEND
	;; [unrolled: 3-line block ×3, first 2 shown]
	v_and_b32_e32 v4, 0xffff, v144
	;;#ASMSTART
	v_cvt_f32_f16 v4, v4;
	;;#ASMEND
	v_fmac_f32_e32 v96, v1, v2
	s_delay_alu instid0(VALU_DEP_2)
	v_fmac_f32_e32 v82, v0, v4
	v_lshrrev_b32_e32 v0, 16, v3
	v_and_b32_e32 v1, 0xffff, v3
	v_and_b32_e32 v3, 0xffff, v134
	;; [unrolled: 1-line block ×3, first 2 shown]
	;;#ASMSTART
	v_cvt_f32_f16 v1, v1;
	;;#ASMEND
	;;#ASMSTART
	v_cvt_f32_f16 v0, v0;
	;;#ASMEND
	;; [unrolled: 3-line block ×4, first 2 shown]
	v_dual_fmac_f32 v48, v1, v2 :: v_dual_fmac_f32 v39, v0, v3
	ds_load_b128 v[0:3], v8 offset:64
	v_and_b32_e32 v6, 0xffff, v178
	v_and_b32_e32 v16, 0xffff, v177
	s_waitcnt lgkmcnt(0)
	v_lshrrev_b32_e32 v4, 16, v0
	v_and_b32_e32 v0, 0xffff, v0
	;;#ASMSTART
	v_cvt_f32_f16 v0, v0;
	;;#ASMEND
	;;#ASMSTART
	v_cvt_f32_f16 v4, v4;
	;;#ASMEND
	;; [unrolled: 3-line block ×3, first 2 shown]
	s_delay_alu instid0(VALU_DEP_1)
	v_fmac_f32_e32 v5, v0, v6
	v_lshrrev_b32_e32 v0, 16, v1
	v_and_b32_e32 v1, 0xffff, v1
	;;#ASMSTART
	v_cvt_f32_f16 v16, v16;
	;;#ASMEND
	v_fmac_f32_e32 v12, v4, v16
	;;#ASMSTART
	v_cvt_f32_f16 v1, v1;
	;;#ASMEND
	;;#ASMSTART
	v_cvt_f32_f16 v0, v0;
	;;#ASMEND
	v_and_b32_e32 v4, 0xffff, v176
	v_and_b32_e32 v6, 0xffff, v167
	;;#ASMSTART
	v_cvt_f32_f16 v4, v4;
	;;#ASMEND
	;;#ASMSTART
	v_cvt_f32_f16 v6, v6;
	;;#ASMEND
	s_delay_alu instid0(VALU_DEP_2) | instskip(NEXT) | instid1(VALU_DEP_2)
	v_fmac_f32_e32 v66, v1, v4
	v_fmac_f32_e32 v18, v0, v6
	v_lshrrev_b32_e32 v0, 16, v2
	v_and_b32_e32 v1, 0xffff, v2
	v_and_b32_e32 v2, 0xffff, v150
	;;#ASMSTART
	v_cvt_f32_f16 v1, v1;
	;;#ASMEND
	;;#ASMSTART
	v_cvt_f32_f16 v0, v0;
	;;#ASMEND
	;; [unrolled: 3-line block ×3, first 2 shown]
	v_and_b32_e32 v4, 0xffff, v149
	;;#ASMSTART
	v_cvt_f32_f16 v4, v4;
	;;#ASMEND
	v_fmac_f32_e32 v96, v1, v2
	s_delay_alu instid0(VALU_DEP_2)
	v_fmac_f32_e32 v82, v0, v4
	v_lshrrev_b32_e32 v0, 16, v3
	v_and_b32_e32 v1, 0xffff, v3
	v_and_b32_e32 v2, 0xffff, v148
	;; [unrolled: 1-line block ×3, first 2 shown]
	;;#ASMSTART
	v_cvt_f32_f16 v1, v1;
	;;#ASMEND
	;;#ASMSTART
	v_cvt_f32_f16 v0, v0;
	;;#ASMEND
	;; [unrolled: 3-line block ×4, first 2 shown]
	v_dual_fmac_f32 v48, v1, v2 :: v_dual_fmac_f32 v39, v0, v3
	ds_load_b128 v[0:3], v8 offset:80
	v_and_b32_e32 v6, 0xffff, v42
	v_and_b32_e32 v16, 0xffff, v41
	s_waitcnt lgkmcnt(0)
	v_lshrrev_b32_e32 v4, 16, v0
	v_and_b32_e32 v0, 0xffff, v0
	;;#ASMSTART
	v_cvt_f32_f16 v0, v0;
	;;#ASMEND
	;;#ASMSTART
	v_cvt_f32_f16 v4, v4;
	;;#ASMEND
	;; [unrolled: 3-line block ×3, first 2 shown]
	s_delay_alu instid0(VALU_DEP_1)
	v_fmac_f32_e32 v5, v0, v6
	v_lshrrev_b32_e32 v0, 16, v1
	v_and_b32_e32 v1, 0xffff, v1
	;;#ASMSTART
	v_cvt_f32_f16 v16, v16;
	;;#ASMEND
	v_fmac_f32_e32 v12, v4, v16
	;;#ASMSTART
	v_cvt_f32_f16 v1, v1;
	;;#ASMEND
	;;#ASMSTART
	v_cvt_f32_f16 v0, v0;
	;;#ASMEND
	v_and_b32_e32 v4, 0xffff, v40
	v_and_b32_e32 v6, 0xffff, v183
	;;#ASMSTART
	v_cvt_f32_f16 v4, v4;
	;;#ASMEND
	;;#ASMSTART
	v_cvt_f32_f16 v6, v6;
	;;#ASMEND
	s_delay_alu instid0(VALU_DEP_2) | instskip(NEXT) | instid1(VALU_DEP_2)
	v_fmac_f32_e32 v66, v1, v4
	v_fmac_f32_e32 v18, v0, v6
	v_lshrrev_b32_e32 v0, 16, v2
	v_and_b32_e32 v1, 0xffff, v2
	v_and_b32_e32 v2, 0xffff, v166
	;;#ASMSTART
	v_cvt_f32_f16 v1, v1;
	;;#ASMEND
	;;#ASMSTART
	v_cvt_f32_f16 v0, v0;
	;;#ASMEND
	;; [unrolled: 3-line block ×3, first 2 shown]
	v_and_b32_e32 v4, 0xffff, v165
	;;#ASMSTART
	v_cvt_f32_f16 v4, v4;
	;;#ASMEND
	v_fmac_f32_e32 v96, v1, v2
	s_delay_alu instid0(VALU_DEP_2)
	v_fmac_f32_e32 v82, v0, v4
	v_lshrrev_b32_e32 v0, 16, v3
	v_and_b32_e32 v1, 0xffff, v3
	v_and_b32_e32 v2, 0xffff, v164
	;; [unrolled: 1-line block ×3, first 2 shown]
	;;#ASMSTART
	v_cvt_f32_f16 v1, v1;
	;;#ASMEND
	;;#ASMSTART
	v_cvt_f32_f16 v0, v0;
	;;#ASMEND
	;; [unrolled: 3-line block ×4, first 2 shown]
	v_dual_fmac_f32 v48, v1, v2 :: v_dual_fmac_f32 v39, v0, v3
	ds_load_b128 v[0:3], v8 offset:96
	v_and_b32_e32 v6, 0xffff, v58
	v_and_b32_e32 v16, 0xffff, v57
	s_waitcnt lgkmcnt(0)
	v_lshrrev_b32_e32 v4, 16, v0
	v_and_b32_e32 v0, 0xffff, v0
	;;#ASMSTART
	v_cvt_f32_f16 v0, v0;
	;;#ASMEND
	;;#ASMSTART
	v_cvt_f32_f16 v4, v4;
	;;#ASMEND
	;; [unrolled: 3-line block ×3, first 2 shown]
	s_delay_alu instid0(VALU_DEP_1)
	v_fmac_f32_e32 v5, v0, v6
	v_lshrrev_b32_e32 v0, 16, v1
	v_and_b32_e32 v1, 0xffff, v1
	;;#ASMSTART
	v_cvt_f32_f16 v16, v16;
	;;#ASMEND
	v_fmac_f32_e32 v12, v4, v16
	;;#ASMSTART
	v_cvt_f32_f16 v1, v1;
	;;#ASMEND
	;;#ASMSTART
	v_cvt_f32_f16 v0, v0;
	;;#ASMEND
	v_and_b32_e32 v4, 0xffff, v56
	v_and_b32_e32 v6, 0xffff, v47
	;;#ASMSTART
	v_cvt_f32_f16 v4, v4;
	;;#ASMEND
	;;#ASMSTART
	v_cvt_f32_f16 v6, v6;
	;;#ASMEND
	s_delay_alu instid0(VALU_DEP_2) | instskip(NEXT) | instid1(VALU_DEP_2)
	v_fmac_f32_e32 v66, v1, v4
	v_fmac_f32_e32 v18, v0, v6
	v_lshrrev_b32_e32 v0, 16, v2
	v_and_b32_e32 v1, 0xffff, v2
	v_and_b32_e32 v2, 0xffff, v182
	;;#ASMSTART
	v_cvt_f32_f16 v1, v1;
	;;#ASMEND
	;;#ASMSTART
	v_cvt_f32_f16 v0, v0;
	;;#ASMEND
	;; [unrolled: 3-line block ×3, first 2 shown]
	v_and_b32_e32 v4, 0xffff, v181
	;;#ASMSTART
	v_cvt_f32_f16 v4, v4;
	;;#ASMEND
	v_fmac_f32_e32 v96, v1, v2
	s_delay_alu instid0(VALU_DEP_2)
	v_fmac_f32_e32 v82, v0, v4
	v_lshrrev_b32_e32 v0, 16, v3
	v_and_b32_e32 v1, 0xffff, v3
	v_and_b32_e32 v2, 0xffff, v180
	;; [unrolled: 1-line block ×3, first 2 shown]
	;;#ASMSTART
	v_cvt_f32_f16 v1, v1;
	;;#ASMEND
	;;#ASMSTART
	v_cvt_f32_f16 v0, v0;
	;;#ASMEND
	;; [unrolled: 3-line block ×4, first 2 shown]
	v_dual_fmac_f32 v48, v1, v2 :: v_dual_fmac_f32 v39, v0, v3
	ds_load_b128 v[0:3], v8 offset:112
	v_and_b32_e32 v6, 0xffff, v74
	v_and_b32_e32 v16, 0xffff, v73
	s_waitcnt lgkmcnt(0)
	v_lshrrev_b32_e32 v4, 16, v0
	v_and_b32_e32 v0, 0xffff, v0
	;;#ASMSTART
	v_cvt_f32_f16 v0, v0;
	;;#ASMEND
	;;#ASMSTART
	v_cvt_f32_f16 v4, v4;
	;;#ASMEND
	;; [unrolled: 3-line block ×3, first 2 shown]
	s_delay_alu instid0(VALU_DEP_1)
	v_fmac_f32_e32 v5, v0, v6
	v_lshrrev_b32_e32 v0, 16, v1
	v_and_b32_e32 v1, 0xffff, v1
	;;#ASMSTART
	v_cvt_f32_f16 v16, v16;
	;;#ASMEND
	v_fmac_f32_e32 v12, v4, v16
	;;#ASMSTART
	v_cvt_f32_f16 v1, v1;
	;;#ASMEND
	;;#ASMSTART
	v_cvt_f32_f16 v0, v0;
	;;#ASMEND
	v_and_b32_e32 v4, 0xffff, v72
	v_and_b32_e32 v6, 0xffff, v63
	;;#ASMSTART
	v_cvt_f32_f16 v4, v4;
	;;#ASMEND
	;;#ASMSTART
	v_cvt_f32_f16 v6, v6;
	;;#ASMEND
	s_delay_alu instid0(VALU_DEP_2) | instskip(NEXT) | instid1(VALU_DEP_2)
	v_fmac_f32_e32 v66, v1, v4
	v_fmac_f32_e32 v18, v0, v6
	v_lshrrev_b32_e32 v0, 16, v2
	v_and_b32_e32 v1, 0xffff, v2
	v_and_b32_e32 v2, 0xffff, v46
	;;#ASMSTART
	v_cvt_f32_f16 v1, v1;
	;;#ASMEND
	;;#ASMSTART
	v_cvt_f32_f16 v0, v0;
	;;#ASMEND
	;;#ASMSTART
	v_cvt_f32_f16 v2, v2;
	;;#ASMEND
	v_and_b32_e32 v4, 0xffff, v45
	;;#ASMSTART
	v_cvt_f32_f16 v4, v4;
	;;#ASMEND
	v_fmac_f32_e32 v96, v1, v2
	s_delay_alu instid0(VALU_DEP_2)
	v_fmac_f32_e32 v82, v0, v4
	v_lshrrev_b32_e32 v0, 16, v3
	v_and_b32_e32 v1, 0xffff, v3
	v_and_b32_e32 v2, 0xffff, v44
	;; [unrolled: 1-line block ×3, first 2 shown]
	;;#ASMSTART
	v_cvt_f32_f16 v1, v1;
	;;#ASMEND
	;;#ASMSTART
	v_cvt_f32_f16 v0, v0;
	;;#ASMEND
	;; [unrolled: 3-line block ×4, first 2 shown]
	v_dual_fmac_f32 v48, v1, v2 :: v_dual_fmac_f32 v39, v0, v3
	ds_load_b128 v[0:3], v8 offset:128
	v_and_b32_e32 v6, 0xffff, v90
	v_and_b32_e32 v16, 0xffff, v89
	s_waitcnt lgkmcnt(0)
	v_lshrrev_b32_e32 v4, 16, v0
	v_and_b32_e32 v0, 0xffff, v0
	;;#ASMSTART
	v_cvt_f32_f16 v0, v0;
	;;#ASMEND
	;;#ASMSTART
	v_cvt_f32_f16 v4, v4;
	;;#ASMEND
	;; [unrolled: 3-line block ×3, first 2 shown]
	s_delay_alu instid0(VALU_DEP_1)
	v_fmac_f32_e32 v5, v0, v6
	v_lshrrev_b32_e32 v0, 16, v1
	v_and_b32_e32 v1, 0xffff, v1
	;;#ASMSTART
	v_cvt_f32_f16 v16, v16;
	;;#ASMEND
	v_fmac_f32_e32 v12, v4, v16
	;;#ASMSTART
	v_cvt_f32_f16 v1, v1;
	;;#ASMEND
	;;#ASMSTART
	v_cvt_f32_f16 v0, v0;
	;;#ASMEND
	v_and_b32_e32 v4, 0xffff, v88
	v_and_b32_e32 v6, 0xffff, v79
	;;#ASMSTART
	v_cvt_f32_f16 v4, v4;
	;;#ASMEND
	;;#ASMSTART
	v_cvt_f32_f16 v6, v6;
	;;#ASMEND
	s_delay_alu instid0(VALU_DEP_2) | instskip(NEXT) | instid1(VALU_DEP_2)
	v_fmac_f32_e32 v66, v1, v4
	v_fmac_f32_e32 v18, v0, v6
	v_lshrrev_b32_e32 v0, 16, v2
	v_and_b32_e32 v1, 0xffff, v2
	v_and_b32_e32 v2, 0xffff, v62
	;;#ASMSTART
	v_cvt_f32_f16 v1, v1;
	;;#ASMEND
	;;#ASMSTART
	v_cvt_f32_f16 v0, v0;
	;;#ASMEND
	;; [unrolled: 3-line block ×3, first 2 shown]
	v_and_b32_e32 v4, 0xffff, v61
	;;#ASMSTART
	v_cvt_f32_f16 v4, v4;
	;;#ASMEND
	v_fmac_f32_e32 v96, v1, v2
	s_delay_alu instid0(VALU_DEP_2)
	v_fmac_f32_e32 v82, v0, v4
	v_lshrrev_b32_e32 v0, 16, v3
	v_and_b32_e32 v1, 0xffff, v3
	v_and_b32_e32 v2, 0xffff, v60
	;; [unrolled: 1-line block ×3, first 2 shown]
	;;#ASMSTART
	v_cvt_f32_f16 v1, v1;
	;;#ASMEND
	;;#ASMSTART
	v_cvt_f32_f16 v0, v0;
	;;#ASMEND
	;; [unrolled: 3-line block ×4, first 2 shown]
	v_dual_fmac_f32 v48, v1, v2 :: v_dual_fmac_f32 v39, v0, v3
	ds_load_b128 v[0:3], v8 offset:144
	v_and_b32_e32 v6, 0xffff, v106
	v_and_b32_e32 v16, 0xffff, v105
	s_waitcnt lgkmcnt(0)
	v_lshrrev_b32_e32 v4, 16, v0
	v_and_b32_e32 v0, 0xffff, v0
	;;#ASMSTART
	v_cvt_f32_f16 v0, v0;
	;;#ASMEND
	;;#ASMSTART
	v_cvt_f32_f16 v4, v4;
	;;#ASMEND
	;; [unrolled: 3-line block ×3, first 2 shown]
	s_delay_alu instid0(VALU_DEP_1)
	v_fmac_f32_e32 v5, v0, v6
	v_lshrrev_b32_e32 v0, 16, v1
	v_and_b32_e32 v1, 0xffff, v1
	;;#ASMSTART
	v_cvt_f32_f16 v16, v16;
	;;#ASMEND
	v_fmac_f32_e32 v12, v4, v16
	;;#ASMSTART
	v_cvt_f32_f16 v1, v1;
	;;#ASMEND
	;;#ASMSTART
	v_cvt_f32_f16 v0, v0;
	;;#ASMEND
	v_and_b32_e32 v4, 0xffff, v104
	v_and_b32_e32 v6, 0xffff, v95
	;;#ASMSTART
	v_cvt_f32_f16 v4, v4;
	;;#ASMEND
	;;#ASMSTART
	v_cvt_f32_f16 v6, v6;
	;;#ASMEND
	s_delay_alu instid0(VALU_DEP_2) | instskip(NEXT) | instid1(VALU_DEP_2)
	v_fmac_f32_e32 v66, v1, v4
	v_fmac_f32_e32 v18, v0, v6
	v_lshrrev_b32_e32 v0, 16, v2
	v_and_b32_e32 v1, 0xffff, v2
	v_and_b32_e32 v2, 0xffff, v78
	;;#ASMSTART
	v_cvt_f32_f16 v1, v1;
	;;#ASMEND
	;;#ASMSTART
	v_cvt_f32_f16 v0, v0;
	;;#ASMEND
	;; [unrolled: 3-line block ×3, first 2 shown]
	v_and_b32_e32 v4, 0xffff, v77
	;;#ASMSTART
	v_cvt_f32_f16 v4, v4;
	;;#ASMEND
	v_fmac_f32_e32 v96, v1, v2
	s_delay_alu instid0(VALU_DEP_2)
	v_fmac_f32_e32 v82, v0, v4
	v_lshrrev_b32_e32 v0, 16, v3
	v_and_b32_e32 v1, 0xffff, v3
	v_and_b32_e32 v2, 0xffff, v76
	;; [unrolled: 1-line block ×3, first 2 shown]
	;;#ASMSTART
	v_cvt_f32_f16 v1, v1;
	;;#ASMEND
	;;#ASMSTART
	v_cvt_f32_f16 v0, v0;
	;;#ASMEND
	;; [unrolled: 3-line block ×4, first 2 shown]
	v_dual_fmac_f32 v48, v1, v2 :: v_dual_fmac_f32 v39, v0, v3
	ds_load_b128 v[0:3], v8 offset:160
	v_and_b32_e32 v6, 0xffff, v122
	v_and_b32_e32 v16, 0xffff, v121
	s_waitcnt lgkmcnt(0)
	v_lshrrev_b32_e32 v4, 16, v0
	v_and_b32_e32 v0, 0xffff, v0
	;;#ASMSTART
	v_cvt_f32_f16 v0, v0;
	;;#ASMEND
	;;#ASMSTART
	v_cvt_f32_f16 v4, v4;
	;;#ASMEND
	;; [unrolled: 3-line block ×3, first 2 shown]
	s_delay_alu instid0(VALU_DEP_1)
	v_fmac_f32_e32 v5, v0, v6
	v_lshrrev_b32_e32 v0, 16, v1
	v_and_b32_e32 v1, 0xffff, v1
	;;#ASMSTART
	v_cvt_f32_f16 v16, v16;
	;;#ASMEND
	v_fmac_f32_e32 v12, v4, v16
	;;#ASMSTART
	v_cvt_f32_f16 v1, v1;
	;;#ASMEND
	;;#ASMSTART
	v_cvt_f32_f16 v0, v0;
	;;#ASMEND
	v_and_b32_e32 v4, 0xffff, v120
	v_and_b32_e32 v6, 0xffff, v111
	;;#ASMSTART
	v_cvt_f32_f16 v4, v4;
	;;#ASMEND
	;;#ASMSTART
	v_cvt_f32_f16 v6, v6;
	;;#ASMEND
	s_delay_alu instid0(VALU_DEP_2) | instskip(NEXT) | instid1(VALU_DEP_2)
	v_fmac_f32_e32 v66, v1, v4
	v_fmac_f32_e32 v18, v0, v6
	v_lshrrev_b32_e32 v0, 16, v2
	v_and_b32_e32 v1, 0xffff, v2
	v_and_b32_e32 v2, 0xffff, v94
	;;#ASMSTART
	v_cvt_f32_f16 v1, v1;
	;;#ASMEND
	;;#ASMSTART
	v_cvt_f32_f16 v0, v0;
	;;#ASMEND
	;; [unrolled: 3-line block ×3, first 2 shown]
	v_and_b32_e32 v4, 0xffff, v93
	;;#ASMSTART
	v_cvt_f32_f16 v4, v4;
	;;#ASMEND
	v_fmac_f32_e32 v96, v1, v2
	s_delay_alu instid0(VALU_DEP_2)
	v_fmac_f32_e32 v82, v0, v4
	v_lshrrev_b32_e32 v0, 16, v3
	v_and_b32_e32 v1, 0xffff, v3
	v_and_b32_e32 v2, 0xffff, v92
	;; [unrolled: 1-line block ×3, first 2 shown]
	;;#ASMSTART
	v_cvt_f32_f16 v1, v1;
	;;#ASMEND
	;;#ASMSTART
	v_cvt_f32_f16 v0, v0;
	;;#ASMEND
	;;#ASMSTART
	v_cvt_f32_f16 v2, v2;
	;;#ASMEND
	;;#ASMSTART
	v_cvt_f32_f16 v3, v3;
	;;#ASMEND
	v_dual_fmac_f32 v48, v1, v2 :: v_dual_fmac_f32 v39, v0, v3
	ds_load_b128 v[0:3], v8 offset:176
	v_and_b32_e32 v6, 0xffff, v138
	v_and_b32_e32 v16, 0xffff, v137
	s_waitcnt lgkmcnt(0)
	v_lshrrev_b32_e32 v4, 16, v0
	v_and_b32_e32 v0, 0xffff, v0
	;;#ASMSTART
	v_cvt_f32_f16 v0, v0;
	;;#ASMEND
	;;#ASMSTART
	v_cvt_f32_f16 v4, v4;
	;;#ASMEND
	;; [unrolled: 3-line block ×3, first 2 shown]
	s_delay_alu instid0(VALU_DEP_1)
	v_fmac_f32_e32 v5, v0, v6
	v_lshrrev_b32_e32 v0, 16, v1
	v_and_b32_e32 v1, 0xffff, v1
	;;#ASMSTART
	v_cvt_f32_f16 v16, v16;
	;;#ASMEND
	v_fmac_f32_e32 v12, v4, v16
	;;#ASMSTART
	v_cvt_f32_f16 v1, v1;
	;;#ASMEND
	;;#ASMSTART
	v_cvt_f32_f16 v0, v0;
	;;#ASMEND
	v_and_b32_e32 v4, 0xffff, v136
	v_and_b32_e32 v6, 0xffff, v127
	;;#ASMSTART
	v_cvt_f32_f16 v4, v4;
	;;#ASMEND
	;;#ASMSTART
	v_cvt_f32_f16 v6, v6;
	;;#ASMEND
	s_delay_alu instid0(VALU_DEP_2) | instskip(NEXT) | instid1(VALU_DEP_2)
	v_fmac_f32_e32 v66, v1, v4
	v_fmac_f32_e32 v18, v0, v6
	v_lshrrev_b32_e32 v0, 16, v2
	v_and_b32_e32 v1, 0xffff, v2
	v_and_b32_e32 v2, 0xffff, v110
	;;#ASMSTART
	v_cvt_f32_f16 v1, v1;
	;;#ASMEND
	;;#ASMSTART
	v_cvt_f32_f16 v0, v0;
	;;#ASMEND
	;; [unrolled: 3-line block ×3, first 2 shown]
	v_and_b32_e32 v4, 0xffff, v109
	;;#ASMSTART
	v_cvt_f32_f16 v4, v4;
	;;#ASMEND
	v_fmac_f32_e32 v96, v1, v2
	s_delay_alu instid0(VALU_DEP_2)
	v_fmac_f32_e32 v82, v0, v4
	v_lshrrev_b32_e32 v0, 16, v3
	v_and_b32_e32 v1, 0xffff, v3
	v_and_b32_e32 v2, 0xffff, v108
	;; [unrolled: 1-line block ×3, first 2 shown]
	;;#ASMSTART
	v_cvt_f32_f16 v1, v1;
	;;#ASMEND
	;;#ASMSTART
	v_cvt_f32_f16 v0, v0;
	;;#ASMEND
	;; [unrolled: 3-line block ×4, first 2 shown]
	v_dual_fmac_f32 v48, v1, v2 :: v_dual_fmac_f32 v39, v0, v3
	ds_load_b128 v[0:3], v8 offset:192
	v_and_b32_e32 v6, 0xffff, v154
	v_and_b32_e32 v16, 0xffff, v153
	s_waitcnt lgkmcnt(0)
	v_lshrrev_b32_e32 v4, 16, v0
	v_and_b32_e32 v0, 0xffff, v0
	;;#ASMSTART
	v_cvt_f32_f16 v0, v0;
	;;#ASMEND
	;;#ASMSTART
	v_cvt_f32_f16 v4, v4;
	;;#ASMEND
	;; [unrolled: 3-line block ×3, first 2 shown]
	s_delay_alu instid0(VALU_DEP_1)
	v_fmac_f32_e32 v5, v0, v6
	v_lshrrev_b32_e32 v0, 16, v1
	v_and_b32_e32 v1, 0xffff, v1
	;;#ASMSTART
	v_cvt_f32_f16 v16, v16;
	;;#ASMEND
	v_fmac_f32_e32 v12, v4, v16
	;;#ASMSTART
	v_cvt_f32_f16 v1, v1;
	;;#ASMEND
	;;#ASMSTART
	v_cvt_f32_f16 v0, v0;
	;;#ASMEND
	v_and_b32_e32 v4, 0xffff, v152
	v_and_b32_e32 v6, 0xffff, v143
	;;#ASMSTART
	v_cvt_f32_f16 v4, v4;
	;;#ASMEND
	;;#ASMSTART
	v_cvt_f32_f16 v6, v6;
	;;#ASMEND
	s_delay_alu instid0(VALU_DEP_2) | instskip(NEXT) | instid1(VALU_DEP_2)
	v_fmac_f32_e32 v66, v1, v4
	v_fmac_f32_e32 v18, v0, v6
	v_lshrrev_b32_e32 v0, 16, v2
	v_and_b32_e32 v1, 0xffff, v2
	v_and_b32_e32 v2, 0xffff, v126
	;;#ASMSTART
	v_cvt_f32_f16 v1, v1;
	;;#ASMEND
	;;#ASMSTART
	v_cvt_f32_f16 v0, v0;
	;;#ASMEND
	;; [unrolled: 3-line block ×3, first 2 shown]
	v_and_b32_e32 v4, 0xffff, v125
	;;#ASMSTART
	v_cvt_f32_f16 v4, v4;
	;;#ASMEND
	v_fmac_f32_e32 v96, v1, v2
	s_delay_alu instid0(VALU_DEP_2)
	v_fmac_f32_e32 v82, v0, v4
	v_lshrrev_b32_e32 v0, 16, v3
	v_and_b32_e32 v1, 0xffff, v3
	v_and_b32_e32 v2, 0xffff, v124
	;; [unrolled: 1-line block ×3, first 2 shown]
	;;#ASMSTART
	v_cvt_f32_f16 v1, v1;
	;;#ASMEND
	;;#ASMSTART
	v_cvt_f32_f16 v0, v0;
	;;#ASMEND
	;; [unrolled: 3-line block ×4, first 2 shown]
	v_dual_fmac_f32 v48, v1, v2 :: v_dual_fmac_f32 v39, v0, v3
	ds_load_b128 v[0:3], v8 offset:208
	v_and_b32_e32 v6, 0xffff, v172
	v_and_b32_e32 v16, 0xffff, v171
	s_waitcnt lgkmcnt(0)
	v_lshrrev_b32_e32 v4, 16, v0
	v_and_b32_e32 v0, 0xffff, v0
	;;#ASMSTART
	v_cvt_f32_f16 v0, v0;
	;;#ASMEND
	;;#ASMSTART
	v_cvt_f32_f16 v4, v4;
	;;#ASMEND
	;; [unrolled: 3-line block ×3, first 2 shown]
	s_delay_alu instid0(VALU_DEP_1)
	v_fmac_f32_e32 v5, v0, v6
	v_lshrrev_b32_e32 v0, 16, v1
	v_and_b32_e32 v1, 0xffff, v1
	;;#ASMSTART
	v_cvt_f32_f16 v16, v16;
	;;#ASMEND
	v_fmac_f32_e32 v12, v4, v16
	;;#ASMSTART
	v_cvt_f32_f16 v1, v1;
	;;#ASMEND
	;;#ASMSTART
	v_cvt_f32_f16 v0, v0;
	;;#ASMEND
	v_and_b32_e32 v4, 0xffff, v168
	v_and_b32_e32 v6, 0xffff, v159
	;;#ASMSTART
	v_cvt_f32_f16 v4, v4;
	;;#ASMEND
	;;#ASMSTART
	v_cvt_f32_f16 v6, v6;
	;;#ASMEND
	s_delay_alu instid0(VALU_DEP_2) | instskip(NEXT) | instid1(VALU_DEP_2)
	v_fmac_f32_e32 v66, v1, v4
	v_fmac_f32_e32 v18, v0, v6
	v_lshrrev_b32_e32 v0, 16, v2
	v_and_b32_e32 v1, 0xffff, v2
	v_and_b32_e32 v2, 0xffff, v142
	;;#ASMSTART
	v_cvt_f32_f16 v1, v1;
	;;#ASMEND
	;;#ASMSTART
	v_cvt_f32_f16 v0, v0;
	;;#ASMEND
	;; [unrolled: 3-line block ×3, first 2 shown]
	v_and_b32_e32 v4, 0xffff, v141
	;;#ASMSTART
	v_cvt_f32_f16 v4, v4;
	;;#ASMEND
	v_fmac_f32_e32 v96, v1, v2
	s_delay_alu instid0(VALU_DEP_2)
	v_fmac_f32_e32 v82, v0, v4
	v_lshrrev_b32_e32 v0, 16, v3
	v_and_b32_e32 v1, 0xffff, v3
	v_and_b32_e32 v2, 0xffff, v140
	;; [unrolled: 1-line block ×3, first 2 shown]
	;;#ASMSTART
	v_cvt_f32_f16 v1, v1;
	;;#ASMEND
	;;#ASMSTART
	v_cvt_f32_f16 v0, v0;
	;;#ASMEND
	;; [unrolled: 3-line block ×4, first 2 shown]
	v_dual_fmac_f32 v48, v1, v2 :: v_dual_fmac_f32 v39, v0, v3
	ds_load_b128 v[0:3], v8 offset:224
	v_and_b32_e32 v6, 0xffff, v132
	v_and_b32_e32 v16, 0xffff, v131
	s_waitcnt lgkmcnt(0)
	v_lshrrev_b32_e32 v4, 16, v0
	v_and_b32_e32 v0, 0xffff, v0
	;;#ASMSTART
	v_cvt_f32_f16 v0, v0;
	;;#ASMEND
	;;#ASMSTART
	v_cvt_f32_f16 v4, v4;
	;;#ASMEND
	;; [unrolled: 3-line block ×3, first 2 shown]
	s_delay_alu instid0(VALU_DEP_1)
	v_fmac_f32_e32 v5, v0, v6
	v_lshrrev_b32_e32 v0, 16, v1
	v_and_b32_e32 v1, 0xffff, v1
	;;#ASMSTART
	v_cvt_f32_f16 v16, v16;
	;;#ASMEND
	v_fmac_f32_e32 v12, v4, v16
	;;#ASMSTART
	v_cvt_f32_f16 v1, v1;
	;;#ASMEND
	;;#ASMSTART
	v_cvt_f32_f16 v0, v0;
	;;#ASMEND
	v_and_b32_e32 v4, 0xffff, v130
	v_and_b32_e32 v6, 0xffff, v129
	;;#ASMSTART
	v_cvt_f32_f16 v4, v4;
	;;#ASMEND
	;;#ASMSTART
	v_cvt_f32_f16 v6, v6;
	;;#ASMEND
	s_delay_alu instid0(VALU_DEP_2) | instskip(NEXT) | instid1(VALU_DEP_2)
	v_fmac_f32_e32 v66, v1, v4
	v_fmac_f32_e32 v18, v0, v6
	v_lshrrev_b32_e32 v0, 16, v2
	v_and_b32_e32 v1, 0xffff, v2
	v_and_b32_e32 v2, 0xffff, v158
	;;#ASMSTART
	v_cvt_f32_f16 v1, v1;
	;;#ASMEND
	;;#ASMSTART
	v_cvt_f32_f16 v0, v0;
	;;#ASMEND
	;; [unrolled: 3-line block ×3, first 2 shown]
	v_and_b32_e32 v4, 0xffff, v157
	;;#ASMSTART
	v_cvt_f32_f16 v4, v4;
	;;#ASMEND
	v_fmac_f32_e32 v96, v1, v2
	s_delay_alu instid0(VALU_DEP_2)
	v_fmac_f32_e32 v82, v0, v4
	v_lshrrev_b32_e32 v0, 16, v3
	v_and_b32_e32 v1, 0xffff, v3
	v_and_b32_e32 v2, 0xffff, v10
	;; [unrolled: 1-line block ×3, first 2 shown]
	;;#ASMSTART
	v_cvt_f32_f16 v1, v1;
	;;#ASMEND
	;;#ASMSTART
	v_cvt_f32_f16 v0, v0;
	;;#ASMEND
	;; [unrolled: 3-line block ×4, first 2 shown]
	v_dual_fmac_f32 v48, v1, v2 :: v_dual_fmac_f32 v39, v0, v3
	ds_load_b128 v[0:3], v8 offset:240
	v_and_b32_e32 v6, 0xffff, v128
	v_and_b32_e32 v16, 0xffff, v119
	;; [unrolled: 1-line block ×3, first 2 shown]
	s_waitcnt lgkmcnt(0)
	v_lshrrev_b32_e32 v4, 16, v0
	v_and_b32_e32 v0, 0xffff, v0
	;;#ASMSTART
	v_cvt_f32_f16 v0, v0;
	;;#ASMEND
	;;#ASMSTART
	v_cvt_f32_f16 v4, v4;
	;;#ASMEND
	;; [unrolled: 3-line block ×3, first 2 shown]
	s_delay_alu instid0(VALU_DEP_1)
	v_fmac_f32_e32 v5, v0, v6
	v_lshrrev_b32_e32 v0, 16, v1
	v_and_b32_e32 v1, 0xffff, v1
	;;#ASMSTART
	v_cvt_f32_f16 v16, v16;
	;;#ASMEND
	v_fmac_f32_e32 v12, v4, v16
	;;#ASMSTART
	v_cvt_f32_f16 v1, v1;
	;;#ASMEND
	;;#ASMSTART
	v_cvt_f32_f16 v0, v0;
	;;#ASMEND
	v_and_b32_e32 v4, 0xffff, v49
	v_and_b32_e32 v6, 0xffff, v118
	;;#ASMSTART
	v_cvt_f32_f16 v4, v4;
	;;#ASMEND
	;;#ASMSTART
	v_cvt_f32_f16 v6, v6;
	;;#ASMEND
	s_delay_alu instid0(VALU_DEP_2) | instskip(NEXT) | instid1(VALU_DEP_2)
	v_fmac_f32_e32 v66, v1, v4
	v_fmac_f32_e32 v18, v0, v6
	v_lshrrev_b32_e32 v0, 16, v2
	v_and_b32_e32 v1, 0xffff, v2
	v_and_b32_e32 v2, 0xffff, v13
	;;#ASMSTART
	v_cvt_f32_f16 v1, v1;
	;;#ASMEND
	;;#ASMSTART
	v_cvt_f32_f16 v0, v0;
	;;#ASMEND
	;; [unrolled: 3-line block ×3, first 2 shown]
	v_and_b32_e32 v4, 0xffff, v14
	;;#ASMSTART
	v_cvt_f32_f16 v4, v4;
	;;#ASMEND
	v_fmac_f32_e32 v96, v1, v2
	s_delay_alu instid0(VALU_DEP_2)
	v_fmac_f32_e32 v82, v0, v4
	v_lshrrev_b32_e32 v0, 16, v3
	v_and_b32_e32 v1, 0xffff, v3
	v_and_b32_e32 v2, 0xffff, v15
	;; [unrolled: 1-line block ×3, first 2 shown]
	;;#ASMSTART
	v_cvt_f32_f16 v1, v1;
	;;#ASMEND
	;;#ASMSTART
	v_cvt_f32_f16 v0, v0;
	;;#ASMEND
	;; [unrolled: 3-line block ×4, first 2 shown]
	v_dual_fmac_f32 v48, v1, v2 :: v_dual_fmac_f32 v39, v0, v3
	ds_load_b128 v[0:3], v8 offset:256
	v_and_b32_e32 v6, 0xffff, v117
	s_waitcnt lgkmcnt(0)
	v_lshrrev_b32_e32 v4, 16, v0
	v_and_b32_e32 v0, 0xffff, v0
	;;#ASMSTART
	v_cvt_f32_f16 v0, v0;
	;;#ASMEND
	;;#ASMSTART
	v_cvt_f32_f16 v4, v4;
	;;#ASMEND
	;; [unrolled: 3-line block ×3, first 2 shown]
	s_delay_alu instid0(VALU_DEP_1)
	v_fmac_f32_e32 v5, v0, v6
	v_lshrrev_b32_e32 v0, 16, v1
	v_and_b32_e32 v1, 0xffff, v1
	;;#ASMSTART
	v_cvt_f32_f16 v10, v10;
	;;#ASMEND
	v_fmac_f32_e32 v12, v4, v10
	;;#ASMSTART
	v_cvt_f32_f16 v1, v1;
	;;#ASMEND
	;;#ASMSTART
	v_cvt_f32_f16 v0, v0;
	;;#ASMEND
	v_and_b32_e32 v4, 0xffff, v115
	v_and_b32_e32 v6, 0xffff, v114
	;;#ASMSTART
	v_cvt_f32_f16 v4, v4;
	;;#ASMEND
	;;#ASMSTART
	v_cvt_f32_f16 v6, v6;
	;;#ASMEND
	s_delay_alu instid0(VALU_DEP_2) | instskip(NEXT) | instid1(VALU_DEP_2)
	v_fmac_f32_e32 v66, v1, v4
	v_fmac_f32_e32 v18, v0, v6
	v_lshrrev_b32_e32 v0, 16, v2
	v_and_b32_e32 v1, 0xffff, v2
	v_and_b32_e32 v2, 0xffff, v21
	;;#ASMSTART
	v_cvt_f32_f16 v1, v1;
	;;#ASMEND
	;;#ASMSTART
	v_cvt_f32_f16 v0, v0;
	;;#ASMEND
	;; [unrolled: 3-line block ×3, first 2 shown]
	v_and_b32_e32 v4, 0xffff, v20
	;;#ASMSTART
	v_cvt_f32_f16 v4, v4;
	;;#ASMEND
	v_fmac_f32_e32 v96, v1, v2
	s_delay_alu instid0(VALU_DEP_2)
	v_fmac_f32_e32 v82, v0, v4
	v_lshrrev_b32_e32 v0, 16, v3
	v_and_b32_e32 v1, 0xffff, v3
	v_and_b32_e32 v2, 0xffff, v19
	;; [unrolled: 1-line block ×3, first 2 shown]
	;;#ASMSTART
	v_cvt_f32_f16 v1, v1;
	;;#ASMEND
	;;#ASMSTART
	v_cvt_f32_f16 v0, v0;
	;;#ASMEND
	;; [unrolled: 3-line block ×4, first 2 shown]
	v_dual_fmac_f32 v48, v1, v2 :: v_dual_fmac_f32 v39, v0, v3
	ds_load_b128 v[0:3], v8 offset:272
	v_and_b32_e32 v6, 0xffff, v113
	v_and_b32_e32 v10, 0xffff, v112
	s_waitcnt lgkmcnt(0)
	v_lshrrev_b32_e32 v4, 16, v0
	v_and_b32_e32 v0, 0xffff, v0
	;;#ASMSTART
	v_cvt_f32_f16 v0, v0;
	;;#ASMEND
	;;#ASMSTART
	v_cvt_f32_f16 v4, v4;
	;;#ASMEND
	;; [unrolled: 3-line block ×3, first 2 shown]
	s_delay_alu instid0(VALU_DEP_1)
	v_fmac_f32_e32 v5, v0, v6
	v_lshrrev_b32_e32 v0, 16, v1
	v_and_b32_e32 v1, 0xffff, v1
	;;#ASMSTART
	v_cvt_f32_f16 v10, v10;
	;;#ASMEND
	v_fmac_f32_e32 v12, v4, v10
	;;#ASMSTART
	v_cvt_f32_f16 v1, v1;
	;;#ASMEND
	;;#ASMSTART
	v_cvt_f32_f16 v0, v0;
	;;#ASMEND
	v_and_b32_e32 v4, 0xffff, v103
	v_and_b32_e32 v6, 0xffff, v102
	;;#ASMSTART
	v_cvt_f32_f16 v4, v4;
	;;#ASMEND
	;;#ASMSTART
	v_cvt_f32_f16 v6, v6;
	;;#ASMEND
	s_delay_alu instid0(VALU_DEP_2) | instskip(NEXT) | instid1(VALU_DEP_2)
	v_fmac_f32_e32 v66, v1, v4
	v_fmac_f32_e32 v18, v0, v6
	v_lshrrev_b32_e32 v0, 16, v2
	v_and_b32_e32 v1, 0xffff, v2
	v_and_b32_e32 v2, 0xffff, v101
	;;#ASMSTART
	v_cvt_f32_f16 v1, v1;
	;;#ASMEND
	;;#ASMSTART
	v_cvt_f32_f16 v0, v0;
	;;#ASMEND
	;; [unrolled: 3-line block ×3, first 2 shown]
	v_and_b32_e32 v4, 0xffff, v100
	;;#ASMSTART
	v_cvt_f32_f16 v4, v4;
	;;#ASMEND
	v_fmac_f32_e32 v96, v1, v2
	s_delay_alu instid0(VALU_DEP_2)
	v_fmac_f32_e32 v82, v0, v4
	v_lshrrev_b32_e32 v0, 16, v3
	v_and_b32_e32 v1, 0xffff, v3
	v_and_b32_e32 v2, 0xffff, v99
	v_and_b32_e32 v3, 0xffff, v98
	;;#ASMSTART
	v_cvt_f32_f16 v1, v1;
	;;#ASMEND
	;;#ASMSTART
	v_cvt_f32_f16 v0, v0;
	;;#ASMEND
	;; [unrolled: 3-line block ×4, first 2 shown]
	v_dual_fmac_f32 v48, v1, v2 :: v_dual_fmac_f32 v39, v0, v3
	ds_load_b128 v[0:3], v8 offset:288
	v_and_b32_e32 v6, 0xffff, v97
	v_and_b32_e32 v10, 0xffff, v24
	s_waitcnt lgkmcnt(0)
	v_lshrrev_b32_e32 v4, 16, v0
	v_and_b32_e32 v0, 0xffff, v0
	;;#ASMSTART
	v_cvt_f32_f16 v0, v0;
	;;#ASMEND
	;;#ASMSTART
	v_cvt_f32_f16 v4, v4;
	;;#ASMEND
	;; [unrolled: 3-line block ×3, first 2 shown]
	s_delay_alu instid0(VALU_DEP_1)
	v_fmac_f32_e32 v5, v0, v6
	v_lshrrev_b32_e32 v0, 16, v1
	v_and_b32_e32 v1, 0xffff, v1
	;;#ASMSTART
	v_cvt_f32_f16 v10, v10;
	;;#ASMEND
	v_fmac_f32_e32 v12, v4, v10
	;;#ASMSTART
	v_cvt_f32_f16 v1, v1;
	;;#ASMEND
	;;#ASMSTART
	v_cvt_f32_f16 v0, v0;
	;;#ASMEND
	v_and_b32_e32 v4, 0xffff, v25
	v_and_b32_e32 v6, 0xffff, v30
	;;#ASMSTART
	v_cvt_f32_f16 v4, v4;
	;;#ASMEND
	;;#ASMSTART
	v_cvt_f32_f16 v6, v6;
	;;#ASMEND
	s_delay_alu instid0(VALU_DEP_2) | instskip(NEXT) | instid1(VALU_DEP_2)
	v_fmac_f32_e32 v66, v1, v4
	v_fmac_f32_e32 v18, v0, v6
	v_lshrrev_b32_e32 v0, 16, v2
	v_and_b32_e32 v1, 0xffff, v2
	v_and_b32_e32 v2, 0xffff, v31
	;;#ASMSTART
	v_cvt_f32_f16 v1, v1;
	;;#ASMEND
	;;#ASMSTART
	v_cvt_f32_f16 v0, v0;
	;;#ASMEND
	;; [unrolled: 3-line block ×3, first 2 shown]
	v_and_b32_e32 v4, 0xffff, v32
	;;#ASMSTART
	v_cvt_f32_f16 v4, v4;
	;;#ASMEND
	v_fmac_f32_e32 v96, v1, v2
	s_delay_alu instid0(VALU_DEP_2)
	v_fmac_f32_e32 v82, v0, v4
	v_lshrrev_b32_e32 v0, 16, v3
	v_and_b32_e32 v1, 0xffff, v3
	v_and_b32_e32 v2, 0xffff, v65
	v_and_b32_e32 v3, 0xffff, v52
	;;#ASMSTART
	v_cvt_f32_f16 v1, v1;
	;;#ASMEND
	;;#ASMSTART
	v_cvt_f32_f16 v0, v0;
	;;#ASMEND
	;;#ASMSTART
	v_cvt_f32_f16 v2, v2;
	;;#ASMEND
	;;#ASMSTART
	v_cvt_f32_f16 v3, v3;
	;;#ASMEND
	v_dual_fmac_f32 v48, v1, v2 :: v_dual_fmac_f32 v39, v0, v3
	ds_load_b128 v[0:3], v8 offset:304
	v_and_b32_e32 v6, 0xffff, v51
	v_and_b32_e32 v10, 0xffff, v50
	s_waitcnt lgkmcnt(0)
	v_lshrrev_b32_e32 v4, 16, v0
	v_and_b32_e32 v0, 0xffff, v0
	;;#ASMSTART
	v_cvt_f32_f16 v0, v0;
	;;#ASMEND
	;;#ASMSTART
	v_cvt_f32_f16 v4, v4;
	;;#ASMEND
	;; [unrolled: 3-line block ×3, first 2 shown]
	s_delay_alu instid0(VALU_DEP_1)
	v_fmac_f32_e32 v5, v0, v6
	v_lshrrev_b32_e32 v0, 16, v1
	v_and_b32_e32 v1, 0xffff, v1
	;;#ASMSTART
	v_cvt_f32_f16 v10, v10;
	;;#ASMEND
	v_fmac_f32_e32 v12, v4, v10
	;;#ASMSTART
	v_cvt_f32_f16 v1, v1;
	;;#ASMEND
	;;#ASMSTART
	v_cvt_f32_f16 v0, v0;
	;;#ASMEND
	v_and_b32_e32 v4, 0xffff, v53
	v_and_b32_e32 v6, 0xffff, v80
	;;#ASMSTART
	v_cvt_f32_f16 v4, v4;
	;;#ASMEND
	;;#ASMSTART
	v_cvt_f32_f16 v6, v6;
	;;#ASMEND
	s_delay_alu instid0(VALU_DEP_2) | instskip(NEXT) | instid1(VALU_DEP_2)
	v_fmac_f32_e32 v66, v1, v4
	v_fmac_f32_e32 v18, v0, v6
	v_lshrrev_b32_e32 v0, 16, v2
	v_and_b32_e32 v1, 0xffff, v2
	v_and_b32_e32 v2, 0xffff, v71
	;;#ASMSTART
	v_cvt_f32_f16 v1, v1;
	;;#ASMEND
	;;#ASMSTART
	v_cvt_f32_f16 v0, v0;
	;;#ASMEND
	;; [unrolled: 3-line block ×3, first 2 shown]
	v_and_b32_e32 v4, 0xffff, v70
	;;#ASMSTART
	v_cvt_f32_f16 v4, v4;
	;;#ASMEND
	v_fmac_f32_e32 v96, v1, v2
	s_delay_alu instid0(VALU_DEP_2)
	v_fmac_f32_e32 v82, v0, v4
	v_lshrrev_b32_e32 v0, 16, v3
	v_and_b32_e32 v1, 0xffff, v3
	v_and_b32_e32 v2, 0xffff, v37
	;; [unrolled: 1-line block ×3, first 2 shown]
	;;#ASMSTART
	v_cvt_f32_f16 v1, v1;
	;;#ASMEND
	;;#ASMSTART
	v_cvt_f32_f16 v0, v0;
	;;#ASMEND
	;; [unrolled: 3-line block ×4, first 2 shown]
	v_dual_fmac_f32 v48, v1, v2 :: v_dual_fmac_f32 v39, v0, v3
	ds_load_b128 v[0:3], v8 offset:320
	v_and_b32_e32 v6, 0xffff, v54
	v_and_b32_e32 v10, 0xffff, v55
	s_waitcnt lgkmcnt(0)
	v_lshrrev_b32_e32 v4, 16, v0
	v_and_b32_e32 v0, 0xffff, v0
	;;#ASMSTART
	v_cvt_f32_f16 v0, v0;
	;;#ASMEND
	;;#ASMSTART
	v_cvt_f32_f16 v4, v4;
	;;#ASMEND
	;; [unrolled: 3-line block ×3, first 2 shown]
	s_delay_alu instid0(VALU_DEP_1)
	v_fmac_f32_e32 v5, v0, v6
	v_lshrrev_b32_e32 v0, 16, v1
	v_and_b32_e32 v1, 0xffff, v1
	;;#ASMSTART
	v_cvt_f32_f16 v10, v10;
	;;#ASMEND
	v_fmac_f32_e32 v12, v4, v10
	;;#ASMSTART
	v_cvt_f32_f16 v1, v1;
	;;#ASMEND
	;;#ASMSTART
	v_cvt_f32_f16 v0, v0;
	;;#ASMEND
	v_and_b32_e32 v4, 0xffff, v64
	v_and_b32_e32 v6, 0xffff, v85
	;;#ASMSTART
	v_cvt_f32_f16 v4, v4;
	;;#ASMEND
	;;#ASMSTART
	v_cvt_f32_f16 v6, v6;
	;;#ASMEND
	s_delay_alu instid0(VALU_DEP_2) | instskip(NEXT) | instid1(VALU_DEP_2)
	v_fmac_f32_e32 v66, v1, v4
	v_fmac_f32_e32 v18, v0, v6
	v_lshrrev_b32_e32 v0, 16, v2
	v_and_b32_e32 v1, 0xffff, v2
	;;#ASMSTART
	v_cvt_f32_f16 v1, v1;
	;;#ASMEND
	;;#ASMSTART
	v_cvt_f32_f16 v0, v0;
	;;#ASMEND
	scratch_load_b32 v2, off, s32 offset:508 ; 4-byte Folded Reload
	s_waitcnt vmcnt(0)
	v_and_b32_e32 v2, 0xffff, v2
	;;#ASMSTART
	v_cvt_f32_f16 v2, v2;
	;;#ASMEND
	scratch_load_b32 v4, off, s32 offset:504 ; 4-byte Folded Reload
	v_dual_fmac_f32 v96, v1, v2 :: v_dual_and_b32 v1, 0xffff, v3
	s_waitcnt vmcnt(0)
	v_and_b32_e32 v4, 0xffff, v4
	;;#ASMSTART
	v_cvt_f32_f16 v4, v4;
	;;#ASMEND
	s_delay_alu instid0(VALU_DEP_1)
	v_fmac_f32_e32 v82, v0, v4
	v_lshrrev_b32_e32 v0, 16, v3
	;;#ASMSTART
	v_cvt_f32_f16 v1, v1;
	;;#ASMEND
	;;#ASMSTART
	v_cvt_f32_f16 v0, v0;
	;;#ASMEND
	scratch_load_b32 v2, off, s32 offset:500 ; 4-byte Folded Reload
	s_waitcnt vmcnt(0)
	v_and_b32_e32 v2, 0xffff, v2
	;;#ASMSTART
	v_cvt_f32_f16 v2, v2;
	;;#ASMEND
	scratch_load_b32 v3, off, s32 offset:496 ; 4-byte Folded Reload
	s_waitcnt vmcnt(0)
	v_dual_fmac_f32 v48, v1, v2 :: v_dual_and_b32 v3, 0xffff, v3
	;;#ASMSTART
	v_cvt_f32_f16 v3, v3;
	;;#ASMEND
	s_delay_alu instid0(VALU_DEP_1)
	v_fmac_f32_e32 v39, v0, v3
	ds_load_b128 v[0:3], v8 offset:336
	s_waitcnt lgkmcnt(0)
	v_lshrrev_b32_e32 v4, 16, v0
	v_and_b32_e32 v0, 0xffff, v0
	;;#ASMSTART
	v_cvt_f32_f16 v0, v0;
	;;#ASMEND
	;;#ASMSTART
	v_cvt_f32_f16 v4, v4;
	;;#ASMEND
	scratch_load_b32 v6, off, s32 offset:492 ; 4-byte Folded Reload
	s_waitcnt vmcnt(0)
	v_and_b32_e32 v6, 0xffff, v6
	;;#ASMSTART
	v_cvt_f32_f16 v6, v6;
	;;#ASMEND
	scratch_load_b32 v10, off, s32 offset:488 ; 4-byte Folded Reload
	v_fmac_f32_e32 v5, v0, v6
	v_lshrrev_b32_e32 v0, 16, v1
	v_and_b32_e32 v1, 0xffff, v1
	s_waitcnt vmcnt(0)
	v_and_b32_e32 v10, 0xffff, v10
	;;#ASMSTART
	v_cvt_f32_f16 v10, v10;
	;;#ASMEND
	s_delay_alu instid0(VALU_DEP_1)
	v_fmac_f32_e32 v12, v4, v10
	;;#ASMSTART
	v_cvt_f32_f16 v1, v1;
	;;#ASMEND
	;;#ASMSTART
	v_cvt_f32_f16 v0, v0;
	;;#ASMEND
	scratch_load_b32 v4, off, s32 offset:484 ; 4-byte Folded Reload
	s_waitcnt vmcnt(0)
	v_and_b32_e32 v4, 0xffff, v4
	;;#ASMSTART
	v_cvt_f32_f16 v4, v4;
	;;#ASMEND
	scratch_load_b32 v6, off, s32 offset:480 ; 4-byte Folded Reload
	v_dual_fmac_f32 v66, v1, v4 :: v_dual_and_b32 v1, 0xffff, v2
	s_waitcnt vmcnt(0)
	v_and_b32_e32 v6, 0xffff, v6
	;;#ASMSTART
	v_cvt_f32_f16 v6, v6;
	;;#ASMEND
	s_delay_alu instid0(VALU_DEP_1)
	v_fmac_f32_e32 v18, v0, v6
	v_lshrrev_b32_e32 v0, 16, v2
	;;#ASMSTART
	v_cvt_f32_f16 v1, v1;
	;;#ASMEND
	;;#ASMSTART
	v_cvt_f32_f16 v0, v0;
	;;#ASMEND
	scratch_load_b32 v2, off, s32 offset:476 ; 4-byte Folded Reload
	s_waitcnt vmcnt(0)
	v_and_b32_e32 v2, 0xffff, v2
	;;#ASMSTART
	v_cvt_f32_f16 v2, v2;
	;;#ASMEND
	scratch_load_b32 v4, off, s32 offset:472 ; 4-byte Folded Reload
	v_dual_fmac_f32 v96, v1, v2 :: v_dual_and_b32 v1, 0xffff, v3
	s_waitcnt vmcnt(0)
	v_and_b32_e32 v4, 0xffff, v4
	;;#ASMSTART
	v_cvt_f32_f16 v4, v4;
	;;#ASMEND
	s_delay_alu instid0(VALU_DEP_1)
	v_fmac_f32_e32 v82, v0, v4
	v_lshrrev_b32_e32 v0, 16, v3
	;;#ASMSTART
	v_cvt_f32_f16 v1, v1;
	;;#ASMEND
	;;#ASMSTART
	v_cvt_f32_f16 v0, v0;
	;;#ASMEND
	scratch_load_b32 v2, off, s32 offset:468 ; 4-byte Folded Reload
	s_waitcnt vmcnt(0)
	v_and_b32_e32 v2, 0xffff, v2
	;;#ASMSTART
	v_cvt_f32_f16 v2, v2;
	;;#ASMEND
	scratch_load_b32 v3, off, s32 offset:464 ; 4-byte Folded Reload
	s_waitcnt vmcnt(0)
	v_dual_fmac_f32 v48, v1, v2 :: v_dual_and_b32 v3, 0xffff, v3
	;;#ASMSTART
	v_cvt_f32_f16 v3, v3;
	;;#ASMEND
	s_delay_alu instid0(VALU_DEP_1)
	v_fmac_f32_e32 v39, v0, v3
	ds_load_b128 v[0:3], v8 offset:352
	s_waitcnt lgkmcnt(0)
	v_lshrrev_b32_e32 v4, 16, v0
	v_and_b32_e32 v0, 0xffff, v0
	;;#ASMSTART
	v_cvt_f32_f16 v0, v0;
	;;#ASMEND
	;;#ASMSTART
	v_cvt_f32_f16 v4, v4;
	;;#ASMEND
	scratch_load_b32 v6, off, s32 offset:460 ; 4-byte Folded Reload
	s_waitcnt vmcnt(0)
	v_and_b32_e32 v6, 0xffff, v6
	;;#ASMSTART
	v_cvt_f32_f16 v6, v6;
	;;#ASMEND
	scratch_load_b32 v10, off, s32 offset:456 ; 4-byte Folded Reload
	v_fmac_f32_e32 v5, v0, v6
	v_lshrrev_b32_e32 v0, 16, v1
	v_and_b32_e32 v1, 0xffff, v1
	s_waitcnt vmcnt(0)
	v_and_b32_e32 v10, 0xffff, v10
	;;#ASMSTART
	v_cvt_f32_f16 v10, v10;
	;;#ASMEND
	s_delay_alu instid0(VALU_DEP_1)
	v_fmac_f32_e32 v12, v4, v10
	;;#ASMSTART
	v_cvt_f32_f16 v1, v1;
	;;#ASMEND
	;;#ASMSTART
	v_cvt_f32_f16 v0, v0;
	;;#ASMEND
	scratch_load_b32 v4, off, s32 offset:452 ; 4-byte Folded Reload
	v_and_b32_e32 v10, 0xffff, v35
	s_waitcnt vmcnt(0)
	v_and_b32_e32 v4, 0xffff, v4
	;;#ASMSTART
	v_cvt_f32_f16 v4, v4;
	;;#ASMEND
	scratch_load_b32 v6, off, s32 offset:448 ; 4-byte Folded Reload
	v_dual_fmac_f32 v66, v1, v4 :: v_dual_and_b32 v1, 0xffff, v2
	s_waitcnt vmcnt(0)
	v_and_b32_e32 v6, 0xffff, v6
	;;#ASMSTART
	v_cvt_f32_f16 v6, v6;
	;;#ASMEND
	s_delay_alu instid0(VALU_DEP_1)
	v_fmac_f32_e32 v18, v0, v6
	v_lshrrev_b32_e32 v0, 16, v2
	;;#ASMSTART
	v_cvt_f32_f16 v1, v1;
	;;#ASMEND
	;;#ASMSTART
	v_cvt_f32_f16 v0, v0;
	;;#ASMEND
	scratch_load_b32 v2, off, s32 offset:444 ; 4-byte Folded Reload
	v_and_b32_e32 v6, 0xffff, v36
	s_waitcnt vmcnt(0)
	v_and_b32_e32 v2, 0xffff, v2
	;;#ASMSTART
	v_cvt_f32_f16 v2, v2;
	;;#ASMEND
	scratch_load_b32 v4, off, s32 offset:440 ; 4-byte Folded Reload
	v_dual_fmac_f32 v96, v1, v2 :: v_dual_and_b32 v1, 0xffff, v3
	s_waitcnt vmcnt(0)
	v_and_b32_e32 v4, 0xffff, v4
	;;#ASMSTART
	v_cvt_f32_f16 v4, v4;
	;;#ASMEND
	s_delay_alu instid0(VALU_DEP_1)
	v_fmac_f32_e32 v82, v0, v4
	v_lshrrev_b32_e32 v0, 16, v3
	;;#ASMSTART
	v_cvt_f32_f16 v1, v1;
	;;#ASMEND
	;;#ASMSTART
	v_cvt_f32_f16 v0, v0;
	;;#ASMEND
	scratch_load_b32 v2, off, s32 offset:436 ; 4-byte Folded Reload
	s_waitcnt vmcnt(0)
	v_and_b32_e32 v2, 0xffff, v2
	;;#ASMSTART
	v_cvt_f32_f16 v2, v2;
	;;#ASMEND
	scratch_load_b32 v3, off, s32 offset:432 ; 4-byte Folded Reload
	s_waitcnt vmcnt(0)
	v_dual_fmac_f32 v48, v1, v2 :: v_dual_and_b32 v3, 0xffff, v3
	;;#ASMSTART
	v_cvt_f32_f16 v3, v3;
	;;#ASMEND
	s_delay_alu instid0(VALU_DEP_1)
	v_fmac_f32_e32 v39, v0, v3
	ds_load_b128 v[0:3], v8 offset:368
	s_waitcnt lgkmcnt(0)
	v_lshrrev_b32_e32 v4, 16, v0
	v_and_b32_e32 v0, 0xffff, v0
	;;#ASMSTART
	v_cvt_f32_f16 v0, v0;
	;;#ASMEND
	;;#ASMSTART
	v_cvt_f32_f16 v4, v4;
	;;#ASMEND
	;; [unrolled: 3-line block ×3, first 2 shown]
	s_delay_alu instid0(VALU_DEP_1)
	v_fmac_f32_e32 v5, v0, v6
	v_lshrrev_b32_e32 v0, 16, v1
	v_and_b32_e32 v1, 0xffff, v1
	;;#ASMSTART
	v_cvt_f32_f16 v10, v10;
	;;#ASMEND
	v_fmac_f32_e32 v12, v4, v10
	;;#ASMSTART
	v_cvt_f32_f16 v1, v1;
	;;#ASMEND
	;;#ASMSTART
	v_cvt_f32_f16 v0, v0;
	;;#ASMEND
	scratch_load_b32 v4, off, s32 offset:360 ; 4-byte Folded Reload
	s_waitcnt vmcnt(0)
	v_and_b32_e32 v4, 0xffff, v4
	;;#ASMSTART
	v_cvt_f32_f16 v4, v4;
	;;#ASMEND
	scratch_load_b32 v6, off, s32 offset:356 ; 4-byte Folded Reload
	v_dual_fmac_f32 v66, v1, v4 :: v_dual_and_b32 v1, 0xffff, v2
	s_waitcnt vmcnt(0)
	v_and_b32_e32 v6, 0xffff, v6
	;;#ASMSTART
	v_cvt_f32_f16 v6, v6;
	;;#ASMEND
	s_delay_alu instid0(VALU_DEP_1)
	v_fmac_f32_e32 v18, v0, v6
	v_lshrrev_b32_e32 v0, 16, v2
	;;#ASMSTART
	v_cvt_f32_f16 v1, v1;
	;;#ASMEND
	;;#ASMSTART
	v_cvt_f32_f16 v0, v0;
	;;#ASMEND
	scratch_load_b32 v2, off, s32 offset:352 ; 4-byte Folded Reload
	s_waitcnt vmcnt(0)
	v_and_b32_e32 v2, 0xffff, v2
	;;#ASMSTART
	v_cvt_f32_f16 v2, v2;
	;;#ASMEND
	scratch_load_b32 v4, off, s32 offset:348 ; 4-byte Folded Reload
	v_dual_fmac_f32 v96, v1, v2 :: v_dual_and_b32 v1, 0xffff, v3
	s_waitcnt vmcnt(0)
	v_and_b32_e32 v4, 0xffff, v4
	;;#ASMSTART
	v_cvt_f32_f16 v4, v4;
	;;#ASMEND
	s_delay_alu instid0(VALU_DEP_1)
	v_fmac_f32_e32 v82, v0, v4
	v_lshrrev_b32_e32 v0, 16, v3
	v_and_b32_e32 v3, 0xffff, v173
	;;#ASMSTART
	v_cvt_f32_f16 v1, v1;
	;;#ASMEND
	;;#ASMSTART
	v_cvt_f32_f16 v0, v0;
	;;#ASMEND
	scratch_load_b32 v2, off, s32 offset:344 ; 4-byte Folded Reload
	s_waitcnt vmcnt(0)
	v_and_b32_e32 v2, 0xffff, v2
	;;#ASMSTART
	v_cvt_f32_f16 v2, v2;
	;;#ASMEND
	;;#ASMSTART
	v_cvt_f32_f16 v3, v3;
	;;#ASMEND
	s_delay_alu instid0(VALU_DEP_1) | instskip(SKIP_4) | instid1(VALU_DEP_1)
	v_fmac_f32_e32 v48, v1, v2
	s_clause 0x1
	scratch_load_b32 v1, off, s32 offset:524
	scratch_load_b32 v19, off, s32 offset:428
	v_dual_fmac_f32 v39, v0, v3 :: v_dual_add_f32 v0, v5, v12
	v_add_f32_e32 v0, v0, v66
	s_delay_alu instid0(VALU_DEP_1) | instskip(NEXT) | instid1(VALU_DEP_1)
	v_add_f32_e32 v0, v18, v0
	v_add_f32_e32 v0, v0, v96
	s_delay_alu instid0(VALU_DEP_1) | instskip(NEXT) | instid1(VALU_DEP_1)
	v_add_f32_e32 v0, v82, v0
	v_add_f32_e32 v0, v0, v48
	s_delay_alu instid0(VALU_DEP_1) | instskip(SKIP_1) | instid1(VALU_DEP_1)
	v_add_f32_e32 v0, v39, v0
	s_waitcnt vmcnt(1)
	v_fmac_f32_e32 v7, v0, v1
	s_delay_alu instid0(VALU_DEP_1) | instskip(SKIP_3) | instid1(VALU_DEP_1)
	v_cndmask_b32_e64 v0, 0, v7, s1
	ds_store_b32 v145, v0
	s_waitcnt vmcnt(0)
	v_max_f32_e32 v0, v19, v19
	v_max_f32_e32 v0, v0, v7
	s_delay_alu instid0(VALU_DEP_1)
	v_cndmask_b32_e64 v19, v19, v0, s1
.LBB354_15:                             ;   in Loop: Header=BB354_16 Depth=1
	s_or_b32 exec_lo, exec_lo, s2
	scratch_load_b32 v0, off, s32 offset:416 ; 4-byte Folded Reload
	v_add_nc_u32_e32 v81, 4, v81
	v_add_co_u32 v28, s2, v28, 16
	s_delay_alu instid0(VALU_DEP_1) | instskip(SKIP_4) | instid1(VALU_DEP_1)
	v_add_co_ci_u32_e64 v29, s2, 0, v29, s2
	v_add_nc_u32_e32 v9, 0x80, v9
	v_add_nc_u32_e32 v156, 0x200, v156
	s_waitcnt vmcnt(0)
	v_cmp_ge_i32_e64 s1, v81, v0
	s_or_b32 s20, s1, s20
	s_delay_alu instid0(SALU_CYCLE_1)
	s_and_not1_b32 exec_lo, exec_lo, s20
	s_cbranch_execz .LBB354_1552
.LBB354_16:                             ; =>This Inner Loop Header: Depth=1
	s_clause 0x2
	scratch_load_b32 v1, off, s32 offset:336
	scratch_load_b32 v4, off, s32 offset:408
	;; [unrolled: 1-line block ×3, first 2 shown]
	v_sub_nc_u32_e32 v0, 0, v9
	s_delay_alu instid0(VALU_DEP_1) | instskip(SKIP_1) | instid1(VALU_DEP_1)
	v_max_i32_e32 v0, v9, v0
	s_waitcnt vmcnt(2)
	v_mul_hi_u32 v1, v0, v1
	s_waitcnt vmcnt(1)
	s_delay_alu instid0(VALU_DEP_1) | instskip(NEXT) | instid1(VALU_DEP_1)
	v_mul_lo_u32 v2, v1, v4
	v_sub_nc_u32_e32 v0, v0, v2
	v_add_nc_u32_e32 v2, 1, v1
	s_delay_alu instid0(VALU_DEP_2) | instskip(SKIP_1) | instid1(VALU_DEP_1)
	v_sub_nc_u32_e32 v3, v0, v4
	v_cmp_ge_u32_e64 s1, v0, v4
	v_cndmask_b32_e64 v1, v1, v2, s1
	s_delay_alu instid0(VALU_DEP_3) | instskip(SKIP_1) | instid1(VALU_DEP_3)
	v_cndmask_b32_e64 v0, v0, v3, s1
	v_ashrrev_i32_e32 v2, 31, v9
	v_add_nc_u32_e32 v3, 1, v1
	s_delay_alu instid0(VALU_DEP_3) | instskip(SKIP_1) | instid1(VALU_DEP_3)
	v_cmp_ge_u32_e64 s1, v0, v4
	s_waitcnt vmcnt(0)
	v_xor_b32_e32 v2, v2, v5
	scratch_load_b32 v4, off, s32 offset:420 ; 4-byte Folded Reload
	v_cndmask_b32_e64 v0, v1, v3, s1
	scratch_load_b32 v3, off, s32 offset:424 ; 4-byte Folded Reload
	v_xor_b32_e32 v0, v0, v2
	s_delay_alu instid0(VALU_DEP_1) | instskip(SKIP_3) | instid1(VALU_DEP_1)
	v_sub_nc_u32_e32 v0, v0, v2
	scratch_load_b64 v[1:2], off, s32 offset:328 ; 8-byte Folded Reload
	s_waitcnt vmcnt(0)
	v_add_nc_u32_e32 v1, v0, v1
	v_sub_nc_u32_e32 v2, 0, v1
	s_delay_alu instid0(VALU_DEP_1) | instskip(SKIP_1) | instid1(VALU_DEP_2)
	v_max_i32_e32 v2, v1, v2
	v_ashrrev_i32_e32 v1, 31, v1
	v_mul_hi_u32 v3, v2, v3
	s_delay_alu instid0(VALU_DEP_1) | instskip(NEXT) | instid1(VALU_DEP_1)
	v_mul_lo_u32 v3, v3, v4
	v_sub_nc_u32_e32 v2, v2, v3
	s_delay_alu instid0(VALU_DEP_1) | instskip(SKIP_1) | instid1(VALU_DEP_1)
	v_sub_nc_u32_e32 v3, v2, v4
	v_cmp_ge_u32_e64 s1, v2, v4
	v_cndmask_b32_e64 v2, v2, v3, s1
	s_delay_alu instid0(VALU_DEP_1) | instskip(SKIP_1) | instid1(VALU_DEP_1)
	v_sub_nc_u32_e32 v3, v2, v4
	v_cmp_ge_u32_e64 s1, v2, v4
	v_cndmask_b32_e64 v2, v2, v3, s1
	s_delay_alu instid0(VALU_DEP_1) | instskip(NEXT) | instid1(VALU_DEP_1)
	v_xor_b32_e32 v2, v2, v1
	v_sub_nc_u32_e32 v1, v2, v1
	s_delay_alu instid0(VALU_DEP_1) | instskip(SKIP_3) | instid1(VALU_DEP_1)
	v_cmp_ne_u32_e64 s1, 0, v1
	scratch_load_b32 v1, off, s32 offset:340 ; 4-byte Folded Reload
	s_waitcnt vmcnt(0)
	v_cmp_le_i32_e64 s2, v0, v1
	s_and_b32 s1, s1, s2
	s_delay_alu instid0(SALU_CYCLE_1) | instskip(NEXT) | instid1(SALU_CYCLE_1)
	s_and_saveexec_b32 s2, s1
	s_xor_b32 s1, exec_lo, s2
	s_cbranch_execz .LBB354_18
; %bb.17:                               ;   in Loop: Header=BB354_16 Depth=1
	s_waitcnt lgkmcnt(0)
	v_dual_mov_b32 v1, 0xff7fffff :: v_dual_add_nc_u32 v0, s7, v156
	ds_store_b32 v0, v1
.LBB354_18:                             ;   in Loop: Header=BB354_16 Depth=1
	s_and_not1_saveexec_b32 s2, s1
	s_cbranch_execz .LBB354_15
; %bb.19:                               ;   in Loop: Header=BB354_16 Depth=1
	scratch_store_b32 off, v19, s32 offset:428 ; 4-byte Folded Spill
	flat_load_b32 v0, v[28:29]
	s_clause 0x1
	scratch_load_b32 v1, off, s32 offset:532
	scratch_load_b64 v[2:3], off, s32 offset:536
	v_mov_b32_e32 v184, 0
	s_mov_b32 s21, exec_lo
	s_waitcnt vmcnt(0) lgkmcnt(0)
	v_mad_i64_i32 v[31:32], null, v0, v1, v[2:3]
	flat_load_b64 v[33:34], v[31:32]
	scratch_load_b64 v[0:1], off, s32 offset:516 ; 8-byte Folded Reload
	s_waitcnt vmcnt(0)
	flat_load_b32 v82, v[0:1]
	s_waitcnt lgkmcnt(1)
	v_dual_mov_b32 v1, 0 :: v_dual_and_b32 v0, 0xff, v33
	scratch_store_b32 off, v1, s32 offset:376 ; 4-byte Folded Spill
	v_cmpx_ne_u16_e32 0, v0
	s_cbranch_execz .LBB354_27
; %bb.20:                               ;   in Loop: Header=BB354_16 Depth=1
	v_cmp_ne_u16_e64 s1, 0x80, v0
	v_bfrev_b32_e32 v0, 1
	s_delay_alu instid0(VALU_DEP_2)
	s_and_saveexec_b32 s22, s1
	s_cbranch_execz .LBB354_26
; %bb.21:                               ;   in Loop: Header=BB354_16 Depth=1
	v_and_b32_e32 v1, 0x7f, v33
	v_mov_b32_e32 v0, 0x7fc02000
	s_mov_b32 s23, exec_lo
	s_delay_alu instid0(VALU_DEP_2)
	v_cmpx_ne_u32_e32 0x7f, v1
	s_cbranch_execz .LBB354_25
; %bb.22:                               ;   in Loop: Header=BB354_16 Depth=1
	v_lshrrev_b32_e32 v0, 3, v1
	v_dual_mov_b32 v36, v34 :: v_dual_mov_b32 v35, v33
	s_mov_b32 s24, exec_lo
	v_cmpx_gt_u32_e32 8, v1
; %bb.23:                               ;   in Loop: Header=BB354_16 Depth=1
	v_and_b32_e32 v0, 7, v33
	s_delay_alu instid0(VALU_DEP_1) | instskip(NEXT) | instid1(VALU_DEP_1)
	v_clz_i32_u32_e32 v0, v0
	v_min_u32_e32 v0, 32, v0
	s_delay_alu instid0(VALU_DEP_1) | instskip(SKIP_1) | instid1(VALU_DEP_2)
	v_subrev_nc_u32_e32 v1, 28, v0
	v_sub_nc_u32_e32 v0, 29, v0
	v_lshlrev_b64 v[35:36], v1, v[33:34]
; %bb.24:                               ;   in Loop: Header=BB354_16 Depth=1
	s_or_b32 exec_lo, exec_lo, s24
	v_lshlrev_b32_e32 v1, 8, v33
	s_delay_alu instid0(VALU_DEP_3) | instskip(NEXT) | instid1(VALU_DEP_3)
	v_lshl_add_u32 v0, v0, 10, 0x2000
	v_lshlrev_b32_e32 v2, 7, v35
	s_delay_alu instid0(VALU_DEP_2) | instskip(NEXT) | instid1(VALU_DEP_1)
	v_and_or_b32 v0, 0x8000, v1, v0
	v_and_or_b32 v0, 0x380, v2, v0
	s_delay_alu instid0(VALU_DEP_1)
	v_cvt_f32_f16_e32 v0, v0
.LBB354_25:                             ;   in Loop: Header=BB354_16 Depth=1
	s_or_b32 exec_lo, exec_lo, s23
.LBB354_26:                             ;   in Loop: Header=BB354_16 Depth=1
	s_delay_alu instid0(SALU_CYCLE_1)
	s_or_b32 exec_lo, exec_lo, s22
	scratch_store_b32 off, v0, s32 offset:376 ; 4-byte Folded Spill
.LBB354_27:                             ;   in Loop: Header=BB354_16 Depth=1
	s_or_b32 exec_lo, exec_lo, s21
	v_lshrrev_b16 v0, 8, v33
	s_mov_b32 s21, exec_lo
	s_delay_alu instid0(VALU_DEP_1)
	v_cmpx_ne_u16_e32 0, v0
	s_cbranch_execz .LBB354_35
; %bb.28:                               ;   in Loop: Header=BB354_16 Depth=1
	v_bfrev_b32_e32 v184, 1
	s_mov_b32 s22, exec_lo
	v_cmpx_ne_u16_e32 0x80, v0
	s_cbranch_execz .LBB354_34
; %bb.29:                               ;   in Loop: Header=BB354_16 Depth=1
	v_and_b32_e32 v0, 0xffff, v0
	v_mov_b32_e32 v184, 0x7fc02000
	s_mov_b32 s23, exec_lo
	s_delay_alu instid0(VALU_DEP_2) | instskip(NEXT) | instid1(VALU_DEP_1)
	v_and_b32_e32 v2, 0x7f, v0
	v_cmpx_ne_u32_e32 0x7f, v2
	s_cbranch_execz .LBB354_33
; %bb.30:                               ;   in Loop: Header=BB354_16 Depth=1
	v_and_b32_e32 v7, 7, v0
	v_lshrrev_b32_e32 v1, 3, v2
	v_mov_b32_e32 v36, v8
	s_mov_b32 s24, exec_lo
	s_delay_alu instid0(VALU_DEP_3)
	v_mov_b32_e32 v35, v7
	v_cmpx_gt_u32_e32 8, v2
; %bb.31:                               ;   in Loop: Header=BB354_16 Depth=1
	v_clz_i32_u32_e32 v1, v7
	s_delay_alu instid0(VALU_DEP_1) | instskip(NEXT) | instid1(VALU_DEP_1)
	v_min_u32_e32 v1, 32, v1
	v_subrev_nc_u32_e32 v2, 28, v1
	v_sub_nc_u32_e32 v1, 29, v1
	s_delay_alu instid0(VALU_DEP_2) | instskip(NEXT) | instid1(VALU_DEP_1)
	v_lshlrev_b64 v[2:3], v2, v[7:8]
	v_and_b32_e32 v35, 7, v2
; %bb.32:                               ;   in Loop: Header=BB354_16 Depth=1
	s_or_b32 exec_lo, exec_lo, s24
	v_lshlrev_b32_e32 v0, 8, v0
	v_lshl_add_u32 v1, v1, 10, 0x2000
	s_delay_alu instid0(VALU_DEP_1) | instskip(NEXT) | instid1(VALU_DEP_1)
	v_and_or_b32 v0, 0x8000, v0, v1
	v_lshl_or_b32 v0, v35, 7, v0
	s_delay_alu instid0(VALU_DEP_1)
	v_cvt_f32_f16_e64 v184, v0
.LBB354_33:                             ;   in Loop: Header=BB354_16 Depth=1
	s_or_b32 exec_lo, exec_lo, s23
.LBB354_34:                             ;   in Loop: Header=BB354_16 Depth=1
	s_delay_alu instid0(SALU_CYCLE_1)
	s_or_b32 exec_lo, exec_lo, s22
.LBB354_35:                             ;   in Loop: Header=BB354_16 Depth=1
	s_delay_alu instid0(SALU_CYCLE_1) | instskip(SKIP_4) | instid1(VALU_DEP_3)
	s_or_b32 exec_lo, exec_lo, s21
	v_lshrrev_b32_e32 v0, 16, v33
	v_mov_b32_e32 v185, 0
	v_mov_b32_e32 v187, 0
	s_mov_b32 s21, exec_lo
	v_and_b32_e32 v1, 0xff, v0
	s_delay_alu instid0(VALU_DEP_1)
	v_cmpx_ne_u16_e32 0, v1
	s_cbranch_execz .LBB354_43
; %bb.36:                               ;   in Loop: Header=BB354_16 Depth=1
	v_bfrev_b32_e32 v187, 1
	s_mov_b32 s22, exec_lo
	v_cmpx_ne_u16_e32 0x80, v1
	s_cbranch_execz .LBB354_42
; %bb.37:                               ;   in Loop: Header=BB354_16 Depth=1
	v_bfe_u32 v2, v33, 16, 7
	v_mov_b32_e32 v187, 0x7fc02000
	s_mov_b32 s23, exec_lo
	s_delay_alu instid0(VALU_DEP_2)
	v_cmpx_ne_u32_e32 0x7f, v2
	s_cbranch_execz .LBB354_41
; %bb.38:                               ;   in Loop: Header=BB354_16 Depth=1
	v_and_b32_e32 v7, 7, v0
	v_lshrrev_b32_e32 v1, 3, v2
	v_mov_b32_e32 v36, v8
	s_mov_b32 s24, exec_lo
	s_delay_alu instid0(VALU_DEP_3)
	v_mov_b32_e32 v35, v7
	v_cmpx_gt_u32_e32 8, v2
; %bb.39:                               ;   in Loop: Header=BB354_16 Depth=1
	v_clz_i32_u32_e32 v1, v7
	s_delay_alu instid0(VALU_DEP_1) | instskip(NEXT) | instid1(VALU_DEP_1)
	v_min_u32_e32 v1, 32, v1
	v_subrev_nc_u32_e32 v2, 28, v1
	v_sub_nc_u32_e32 v1, 29, v1
	s_delay_alu instid0(VALU_DEP_2) | instskip(NEXT) | instid1(VALU_DEP_1)
	v_lshlrev_b64 v[2:3], v2, v[7:8]
	v_and_b32_e32 v35, 7, v2
; %bb.40:                               ;   in Loop: Header=BB354_16 Depth=1
	s_or_b32 exec_lo, exec_lo, s24
	v_lshlrev_b32_e32 v0, 8, v0
	v_lshl_add_u32 v1, v1, 10, 0x2000
	s_delay_alu instid0(VALU_DEP_1) | instskip(NEXT) | instid1(VALU_DEP_1)
	v_and_or_b32 v0, 0x8000, v0, v1
	v_lshl_or_b32 v0, v35, 7, v0
	s_delay_alu instid0(VALU_DEP_1)
	v_cvt_f32_f16_e64 v187, v0
.LBB354_41:                             ;   in Loop: Header=BB354_16 Depth=1
	s_or_b32 exec_lo, exec_lo, s23
.LBB354_42:                             ;   in Loop: Header=BB354_16 Depth=1
	s_delay_alu instid0(SALU_CYCLE_1)
	s_or_b32 exec_lo, exec_lo, s22
.LBB354_43:                             ;   in Loop: Header=BB354_16 Depth=1
	s_delay_alu instid0(SALU_CYCLE_1) | instskip(NEXT) | instid1(SALU_CYCLE_1)
	s_or_b32 exec_lo, exec_lo, s21
	s_mov_b32 s21, exec_lo
	v_cmpx_lt_u32_e32 0xffffff, v33
	s_cbranch_execz .LBB354_51
; %bb.44:                               ;   in Loop: Header=BB354_16 Depth=1
	v_lshrrev_b32_e32 v0, 24, v33
	v_bfrev_b32_e32 v185, 1
	s_mov_b32 s22, exec_lo
	s_delay_alu instid0(VALU_DEP_2)
	v_cmpx_ne_u32_e32 0x80, v0
	s_cbranch_execz .LBB354_50
; %bb.45:                               ;   in Loop: Header=BB354_16 Depth=1
	v_and_b32_e32 v2, 0x7f, v0
	v_mov_b32_e32 v185, 0x7fc02000
	s_mov_b32 s23, exec_lo
	s_delay_alu instid0(VALU_DEP_2)
	v_cmpx_ne_u32_e32 0x7f, v2
	s_cbranch_execz .LBB354_49
; %bb.46:                               ;   in Loop: Header=BB354_16 Depth=1
	v_and_b32_e32 v7, 7, v0
	v_lshrrev_b32_e32 v1, 3, v2
	v_mov_b32_e32 v36, v8
	s_mov_b32 s24, exec_lo
	s_delay_alu instid0(VALU_DEP_3)
	v_mov_b32_e32 v35, v7
	v_cmpx_gt_u32_e32 8, v2
; %bb.47:                               ;   in Loop: Header=BB354_16 Depth=1
	v_clz_i32_u32_e32 v1, v7
	s_delay_alu instid0(VALU_DEP_1) | instskip(NEXT) | instid1(VALU_DEP_1)
	v_min_u32_e32 v1, 32, v1
	v_subrev_nc_u32_e32 v2, 28, v1
	v_sub_nc_u32_e32 v1, 29, v1
	s_delay_alu instid0(VALU_DEP_2) | instskip(NEXT) | instid1(VALU_DEP_1)
	v_lshlrev_b64 v[2:3], v2, v[7:8]
	v_and_b32_e32 v35, 7, v2
; %bb.48:                               ;   in Loop: Header=BB354_16 Depth=1
	s_or_b32 exec_lo, exec_lo, s24
	v_lshlrev_b32_e32 v0, 8, v0
	v_lshl_add_u32 v1, v1, 10, 0x2000
	s_delay_alu instid0(VALU_DEP_1) | instskip(NEXT) | instid1(VALU_DEP_1)
	v_and_or_b32 v0, 0x8000, v0, v1
	v_lshl_or_b32 v0, v35, 7, v0
	s_delay_alu instid0(VALU_DEP_1)
	v_cvt_f32_f16_e64 v185, v0
.LBB354_49:                             ;   in Loop: Header=BB354_16 Depth=1
	s_or_b32 exec_lo, exec_lo, s23
.LBB354_50:                             ;   in Loop: Header=BB354_16 Depth=1
	s_delay_alu instid0(SALU_CYCLE_1)
	s_or_b32 exec_lo, exec_lo, s22
.LBB354_51:                             ;   in Loop: Header=BB354_16 Depth=1
	s_delay_alu instid0(SALU_CYCLE_1) | instskip(SKIP_4) | instid1(VALU_DEP_3)
	s_or_b32 exec_lo, exec_lo, s21
	v_dual_mov_b32 v7, v34 :: v_dual_and_b32 v0, 0xff, v34
	v_mov_b32_e32 v189, 0
	v_mov_b32_e32 v173, 0
	s_mov_b32 s21, exec_lo
	v_cmpx_ne_u16_e32 0, v0
	s_cbranch_execz .LBB354_59
; %bb.52:                               ;   in Loop: Header=BB354_16 Depth=1
	v_bfrev_b32_e32 v173, 1
	s_mov_b32 s22, exec_lo
	v_cmpx_ne_u16_e32 0x80, v0
	s_cbranch_execz .LBB354_58
; %bb.53:                               ;   in Loop: Header=BB354_16 Depth=1
	v_and_b32_e32 v1, 0x7f, v34
	v_mov_b32_e32 v173, 0x7fc02000
	s_mov_b32 s23, exec_lo
	s_delay_alu instid0(VALU_DEP_2)
	v_cmpx_ne_u32_e32 0x7f, v1
	s_cbranch_execz .LBB354_57
; %bb.54:                               ;   in Loop: Header=BB354_16 Depth=1
	v_lshrrev_b32_e32 v0, 3, v1
	v_dual_mov_b32 v36, v8 :: v_dual_mov_b32 v35, v7
	s_mov_b32 s24, exec_lo
	v_cmpx_gt_u32_e32 8, v1
; %bb.55:                               ;   in Loop: Header=BB354_16 Depth=1
	v_and_b32_e32 v0, 7, v34
	s_delay_alu instid0(VALU_DEP_1) | instskip(NEXT) | instid1(VALU_DEP_1)
	v_clz_i32_u32_e32 v0, v0
	v_min_u32_e32 v0, 32, v0
	s_delay_alu instid0(VALU_DEP_1) | instskip(SKIP_1) | instid1(VALU_DEP_2)
	v_subrev_nc_u32_e32 v1, 28, v0
	v_sub_nc_u32_e32 v0, 29, v0
	v_lshlrev_b64 v[35:36], v1, v[7:8]
; %bb.56:                               ;   in Loop: Header=BB354_16 Depth=1
	s_or_b32 exec_lo, exec_lo, s24
	v_lshlrev_b32_e32 v1, 8, v34
	s_delay_alu instid0(VALU_DEP_3) | instskip(NEXT) | instid1(VALU_DEP_3)
	v_lshl_add_u32 v0, v0, 10, 0x2000
	v_lshlrev_b32_e32 v2, 7, v35
	s_delay_alu instid0(VALU_DEP_2) | instskip(NEXT) | instid1(VALU_DEP_1)
	v_and_or_b32 v0, 0x8000, v1, v0
	v_and_or_b32 v0, 0x380, v2, v0
	s_delay_alu instid0(VALU_DEP_1)
	v_cvt_f32_f16_e64 v173, v0
.LBB354_57:                             ;   in Loop: Header=BB354_16 Depth=1
	s_or_b32 exec_lo, exec_lo, s23
.LBB354_58:                             ;   in Loop: Header=BB354_16 Depth=1
	s_delay_alu instid0(SALU_CYCLE_1)
	s_or_b32 exec_lo, exec_lo, s22
.LBB354_59:                             ;   in Loop: Header=BB354_16 Depth=1
	s_delay_alu instid0(SALU_CYCLE_1) | instskip(SKIP_2) | instid1(VALU_DEP_1)
	s_or_b32 exec_lo, exec_lo, s21
	v_lshrrev_b16 v0, 8, v7
	s_mov_b32 s21, exec_lo
	v_cmpx_ne_u16_e32 0, v0
	s_cbranch_execz .LBB354_67
; %bb.60:                               ;   in Loop: Header=BB354_16 Depth=1
	v_bfrev_b32_e32 v189, 1
	s_mov_b32 s22, exec_lo
	v_cmpx_ne_u16_e32 0x80, v0
	s_cbranch_execz .LBB354_66
; %bb.61:                               ;   in Loop: Header=BB354_16 Depth=1
	v_and_b32_e32 v0, 0xffff, v0
	v_mov_b32_e32 v189, 0x7fc02000
	s_mov_b32 s23, exec_lo
	s_delay_alu instid0(VALU_DEP_2) | instskip(NEXT) | instid1(VALU_DEP_1)
	v_and_b32_e32 v2, 0x7f, v0
	v_cmpx_ne_u32_e32 0x7f, v2
	s_cbranch_execz .LBB354_65
; %bb.62:                               ;   in Loop: Header=BB354_16 Depth=1
	v_and_b32_e32 v7, 7, v0
	v_lshrrev_b32_e32 v1, 3, v2
	v_mov_b32_e32 v36, v8
	s_mov_b32 s24, exec_lo
	s_delay_alu instid0(VALU_DEP_3)
	v_mov_b32_e32 v35, v7
	v_cmpx_gt_u32_e32 8, v2
; %bb.63:                               ;   in Loop: Header=BB354_16 Depth=1
	v_clz_i32_u32_e32 v1, v7
	s_delay_alu instid0(VALU_DEP_1) | instskip(NEXT) | instid1(VALU_DEP_1)
	v_min_u32_e32 v1, 32, v1
	v_subrev_nc_u32_e32 v2, 28, v1
	v_sub_nc_u32_e32 v1, 29, v1
	s_delay_alu instid0(VALU_DEP_2) | instskip(NEXT) | instid1(VALU_DEP_1)
	v_lshlrev_b64 v[2:3], v2, v[7:8]
	v_and_b32_e32 v35, 7, v2
; %bb.64:                               ;   in Loop: Header=BB354_16 Depth=1
	s_or_b32 exec_lo, exec_lo, s24
	v_lshlrev_b32_e32 v0, 8, v0
	v_lshl_add_u32 v1, v1, 10, 0x2000
	s_delay_alu instid0(VALU_DEP_1) | instskip(NEXT) | instid1(VALU_DEP_1)
	v_and_or_b32 v0, 0x8000, v0, v1
	v_lshl_or_b32 v0, v35, 7, v0
	s_delay_alu instid0(VALU_DEP_1)
	v_cvt_f32_f16_e64 v189, v0
.LBB354_65:                             ;   in Loop: Header=BB354_16 Depth=1
	s_or_b32 exec_lo, exec_lo, s23
.LBB354_66:                             ;   in Loop: Header=BB354_16 Depth=1
	s_delay_alu instid0(SALU_CYCLE_1)
	s_or_b32 exec_lo, exec_lo, s22
.LBB354_67:                             ;   in Loop: Header=BB354_16 Depth=1
	s_delay_alu instid0(SALU_CYCLE_1) | instskip(SKIP_3) | instid1(VALU_DEP_2)
	s_or_b32 exec_lo, exec_lo, s21
	v_lshrrev_b32_e32 v0, 16, v34
	v_mov_b32_e32 v191, 0
	s_mov_b32 s21, exec_lo
	v_dual_mov_b32 v190, 0 :: v_dual_and_b32 v1, 0xff, v0
	s_delay_alu instid0(VALU_DEP_1)
	v_cmpx_ne_u16_e32 0, v1
	s_cbranch_execz .LBB354_75
; %bb.68:                               ;   in Loop: Header=BB354_16 Depth=1
	v_bfrev_b32_e32 v191, 1
	s_mov_b32 s22, exec_lo
	v_cmpx_ne_u16_e32 0x80, v1
	s_cbranch_execz .LBB354_74
; %bb.69:                               ;   in Loop: Header=BB354_16 Depth=1
	v_bfe_u32 v2, v34, 16, 7
	v_mov_b32_e32 v191, 0x7fc02000
	s_mov_b32 s23, exec_lo
	s_delay_alu instid0(VALU_DEP_2)
	v_cmpx_ne_u32_e32 0x7f, v2
	s_cbranch_execz .LBB354_73
; %bb.70:                               ;   in Loop: Header=BB354_16 Depth=1
	v_and_b32_e32 v7, 7, v0
	v_lshrrev_b32_e32 v1, 3, v2
	v_mov_b32_e32 v36, v8
	s_mov_b32 s24, exec_lo
	s_delay_alu instid0(VALU_DEP_3)
	v_mov_b32_e32 v35, v7
	v_cmpx_gt_u32_e32 8, v2
; %bb.71:                               ;   in Loop: Header=BB354_16 Depth=1
	v_clz_i32_u32_e32 v1, v7
	s_delay_alu instid0(VALU_DEP_1) | instskip(NEXT) | instid1(VALU_DEP_1)
	v_min_u32_e32 v1, 32, v1
	v_subrev_nc_u32_e32 v2, 28, v1
	v_sub_nc_u32_e32 v1, 29, v1
	s_delay_alu instid0(VALU_DEP_2) | instskip(NEXT) | instid1(VALU_DEP_1)
	v_lshlrev_b64 v[2:3], v2, v[7:8]
	v_and_b32_e32 v35, 7, v2
; %bb.72:                               ;   in Loop: Header=BB354_16 Depth=1
	s_or_b32 exec_lo, exec_lo, s24
	v_lshlrev_b32_e32 v0, 8, v0
	v_lshl_add_u32 v1, v1, 10, 0x2000
	s_delay_alu instid0(VALU_DEP_1) | instskip(NEXT) | instid1(VALU_DEP_1)
	v_and_or_b32 v0, 0x8000, v0, v1
	v_lshl_or_b32 v0, v35, 7, v0
	s_delay_alu instid0(VALU_DEP_1)
	v_cvt_f32_f16_e64 v191, v0
.LBB354_73:                             ;   in Loop: Header=BB354_16 Depth=1
	s_or_b32 exec_lo, exec_lo, s23
.LBB354_74:                             ;   in Loop: Header=BB354_16 Depth=1
	s_delay_alu instid0(SALU_CYCLE_1)
	s_or_b32 exec_lo, exec_lo, s22
.LBB354_75:                             ;   in Loop: Header=BB354_16 Depth=1
	s_delay_alu instid0(SALU_CYCLE_1) | instskip(NEXT) | instid1(SALU_CYCLE_1)
	s_or_b32 exec_lo, exec_lo, s21
	s_mov_b32 s21, exec_lo
	v_cmpx_lt_u64_e64 s[8:9], v[33:34]
	s_cbranch_execz .LBB354_83
; %bb.76:                               ;   in Loop: Header=BB354_16 Depth=1
	v_lshrrev_b32_e32 v0, 24, v34
	v_bfrev_b32_e32 v190, 1
	s_mov_b32 s22, exec_lo
	s_delay_alu instid0(VALU_DEP_2)
	v_cmpx_ne_u32_e32 0x80, v0
	s_cbranch_execz .LBB354_82
; %bb.77:                               ;   in Loop: Header=BB354_16 Depth=1
	v_and_b32_e32 v2, 0x7f, v0
	v_mov_b32_e32 v190, 0x7fc02000
	s_mov_b32 s23, exec_lo
	s_delay_alu instid0(VALU_DEP_2)
	v_cmpx_ne_u32_e32 0x7f, v2
	s_cbranch_execz .LBB354_81
; %bb.78:                               ;   in Loop: Header=BB354_16 Depth=1
	v_and_b32_e32 v7, 7, v0
	v_lshrrev_b32_e32 v1, 3, v2
	v_mov_b32_e32 v34, v8
	s_mov_b32 s24, exec_lo
	s_delay_alu instid0(VALU_DEP_3)
	v_mov_b32_e32 v33, v7
	v_cmpx_gt_u32_e32 8, v2
; %bb.79:                               ;   in Loop: Header=BB354_16 Depth=1
	v_clz_i32_u32_e32 v1, v7
	s_delay_alu instid0(VALU_DEP_1) | instskip(NEXT) | instid1(VALU_DEP_1)
	v_min_u32_e32 v1, 32, v1
	v_subrev_nc_u32_e32 v2, 28, v1
	v_sub_nc_u32_e32 v1, 29, v1
	s_delay_alu instid0(VALU_DEP_2) | instskip(NEXT) | instid1(VALU_DEP_1)
	v_lshlrev_b64 v[2:3], v2, v[7:8]
	v_and_b32_e32 v33, 7, v2
; %bb.80:                               ;   in Loop: Header=BB354_16 Depth=1
	s_or_b32 exec_lo, exec_lo, s24
	v_lshlrev_b32_e32 v0, 8, v0
	v_lshl_add_u32 v1, v1, 10, 0x2000
	s_delay_alu instid0(VALU_DEP_1) | instskip(NEXT) | instid1(VALU_DEP_1)
	v_and_or_b32 v0, 0x8000, v0, v1
	v_lshl_or_b32 v0, v33, 7, v0
	s_delay_alu instid0(VALU_DEP_1)
	v_cvt_f32_f16_e64 v190, v0
.LBB354_81:                             ;   in Loop: Header=BB354_16 Depth=1
	s_or_b32 exec_lo, exec_lo, s23
.LBB354_82:                             ;   in Loop: Header=BB354_16 Depth=1
	s_delay_alu instid0(SALU_CYCLE_1)
	s_or_b32 exec_lo, exec_lo, s22
.LBB354_83:                             ;   in Loop: Header=BB354_16 Depth=1
	s_delay_alu instid0(SALU_CYCLE_1)
	s_or_b32 exec_lo, exec_lo, s21
	flat_load_b64 v[33:34], v[31:32] offset:8
	v_mov_b32_e32 v1, 0
	s_mov_b32 s21, exec_lo
	v_mov_b32_e32 v145, 0
	scratch_store_b32 off, v1, s32 offset:372 ; 4-byte Folded Spill
	s_waitcnt vmcnt(0) lgkmcnt(0)
	v_and_b32_e32 v0, 0xff, v33
	s_delay_alu instid0(VALU_DEP_1)
	v_cmpx_ne_u16_e32 0, v0
	s_cbranch_execz .LBB354_91
; %bb.84:                               ;   in Loop: Header=BB354_16 Depth=1
	v_cmp_ne_u16_e64 s1, 0x80, v0
	v_bfrev_b32_e32 v0, 1
	s_delay_alu instid0(VALU_DEP_2)
	s_and_saveexec_b32 s22, s1
	s_cbranch_execz .LBB354_90
; %bb.85:                               ;   in Loop: Header=BB354_16 Depth=1
	v_and_b32_e32 v1, 0x7f, v33
	v_mov_b32_e32 v0, 0x7fc02000
	s_mov_b32 s23, exec_lo
	s_delay_alu instid0(VALU_DEP_2)
	v_cmpx_ne_u32_e32 0x7f, v1
	s_cbranch_execz .LBB354_89
; %bb.86:                               ;   in Loop: Header=BB354_16 Depth=1
	v_lshrrev_b32_e32 v0, 3, v1
	v_dual_mov_b32 v36, v34 :: v_dual_mov_b32 v35, v33
	s_mov_b32 s24, exec_lo
	v_cmpx_gt_u32_e32 8, v1
; %bb.87:                               ;   in Loop: Header=BB354_16 Depth=1
	v_and_b32_e32 v0, 7, v33
	s_delay_alu instid0(VALU_DEP_1) | instskip(NEXT) | instid1(VALU_DEP_1)
	v_clz_i32_u32_e32 v0, v0
	v_min_u32_e32 v0, 32, v0
	s_delay_alu instid0(VALU_DEP_1) | instskip(SKIP_1) | instid1(VALU_DEP_2)
	v_subrev_nc_u32_e32 v1, 28, v0
	v_sub_nc_u32_e32 v0, 29, v0
	v_lshlrev_b64 v[35:36], v1, v[33:34]
; %bb.88:                               ;   in Loop: Header=BB354_16 Depth=1
	s_or_b32 exec_lo, exec_lo, s24
	v_lshlrev_b32_e32 v1, 8, v33
	s_delay_alu instid0(VALU_DEP_3) | instskip(NEXT) | instid1(VALU_DEP_3)
	v_lshl_add_u32 v0, v0, 10, 0x2000
	v_lshlrev_b32_e32 v2, 7, v35
	s_delay_alu instid0(VALU_DEP_2) | instskip(NEXT) | instid1(VALU_DEP_1)
	v_and_or_b32 v0, 0x8000, v1, v0
	v_and_or_b32 v0, 0x380, v2, v0
	s_delay_alu instid0(VALU_DEP_1)
	v_cvt_f32_f16_e32 v0, v0
.LBB354_89:                             ;   in Loop: Header=BB354_16 Depth=1
	s_or_b32 exec_lo, exec_lo, s23
.LBB354_90:                             ;   in Loop: Header=BB354_16 Depth=1
	s_delay_alu instid0(SALU_CYCLE_1)
	s_or_b32 exec_lo, exec_lo, s22
	scratch_store_b32 off, v0, s32 offset:372 ; 4-byte Folded Spill
.LBB354_91:                             ;   in Loop: Header=BB354_16 Depth=1
	s_or_b32 exec_lo, exec_lo, s21
	v_lshrrev_b16 v0, 8, v33
	s_mov_b32 s21, exec_lo
	s_delay_alu instid0(VALU_DEP_1)
	v_cmpx_ne_u16_e32 0, v0
	s_cbranch_execz .LBB354_99
; %bb.92:                               ;   in Loop: Header=BB354_16 Depth=1
	v_bfrev_b32_e32 v145, 1
	s_mov_b32 s22, exec_lo
	v_cmpx_ne_u16_e32 0x80, v0
	s_cbranch_execz .LBB354_98
; %bb.93:                               ;   in Loop: Header=BB354_16 Depth=1
	v_and_b32_e32 v0, 0xffff, v0
	v_mov_b32_e32 v145, 0x7fc02000
	s_mov_b32 s23, exec_lo
	s_delay_alu instid0(VALU_DEP_2) | instskip(NEXT) | instid1(VALU_DEP_1)
	v_and_b32_e32 v2, 0x7f, v0
	v_cmpx_ne_u32_e32 0x7f, v2
	s_cbranch_execz .LBB354_97
; %bb.94:                               ;   in Loop: Header=BB354_16 Depth=1
	v_and_b32_e32 v7, 7, v0
	v_lshrrev_b32_e32 v1, 3, v2
	v_mov_b32_e32 v36, v8
	s_mov_b32 s24, exec_lo
	s_delay_alu instid0(VALU_DEP_3)
	v_mov_b32_e32 v35, v7
	v_cmpx_gt_u32_e32 8, v2
; %bb.95:                               ;   in Loop: Header=BB354_16 Depth=1
	v_clz_i32_u32_e32 v1, v7
	s_delay_alu instid0(VALU_DEP_1) | instskip(NEXT) | instid1(VALU_DEP_1)
	v_min_u32_e32 v1, 32, v1
	v_subrev_nc_u32_e32 v2, 28, v1
	v_sub_nc_u32_e32 v1, 29, v1
	s_delay_alu instid0(VALU_DEP_2) | instskip(NEXT) | instid1(VALU_DEP_1)
	v_lshlrev_b64 v[2:3], v2, v[7:8]
	v_and_b32_e32 v35, 7, v2
; %bb.96:                               ;   in Loop: Header=BB354_16 Depth=1
	s_or_b32 exec_lo, exec_lo, s24
	v_lshlrev_b32_e32 v0, 8, v0
	v_lshl_add_u32 v1, v1, 10, 0x2000
	s_delay_alu instid0(VALU_DEP_1) | instskip(NEXT) | instid1(VALU_DEP_1)
	v_and_or_b32 v0, 0x8000, v0, v1
	v_lshl_or_b32 v0, v35, 7, v0
	s_delay_alu instid0(VALU_DEP_1)
	v_cvt_f32_f16_e64 v145, v0
.LBB354_97:                             ;   in Loop: Header=BB354_16 Depth=1
	s_or_b32 exec_lo, exec_lo, s23
.LBB354_98:                             ;   in Loop: Header=BB354_16 Depth=1
	s_delay_alu instid0(SALU_CYCLE_1)
	s_or_b32 exec_lo, exec_lo, s22
.LBB354_99:                             ;   in Loop: Header=BB354_16 Depth=1
	s_delay_alu instid0(SALU_CYCLE_1) | instskip(SKIP_2) | instid1(VALU_DEP_1)
	s_or_b32 exec_lo, exec_lo, s21
	v_lshrrev_b32_e32 v0, 16, v33
	s_mov_b32 s21, exec_lo
	v_dual_mov_b32 v2, 0 :: v_dual_and_b32 v1, 0xff, v0
	scratch_store_b32 off, v2, s32 offset:344 ; 4-byte Folded Spill
	v_mov_b32_e32 v2, 0
	scratch_store_b32 off, v2, s32 offset:380 ; 4-byte Folded Spill
	v_cmpx_ne_u16_e32 0, v1
	s_cbranch_execz .LBB354_107
; %bb.100:                              ;   in Loop: Header=BB354_16 Depth=1
	v_cmp_ne_u16_e64 s1, 0x80, v1
	v_bfrev_b32_e32 v1, 1
	s_delay_alu instid0(VALU_DEP_2)
	s_and_saveexec_b32 s22, s1
	s_cbranch_execz .LBB354_106
; %bb.101:                              ;   in Loop: Header=BB354_16 Depth=1
	v_bfe_u32 v2, v33, 16, 7
	v_mov_b32_e32 v1, 0x7fc02000
	s_mov_b32 s23, exec_lo
	s_delay_alu instid0(VALU_DEP_2)
	v_cmpx_ne_u32_e32 0x7f, v2
	s_cbranch_execz .LBB354_105
; %bb.102:                              ;   in Loop: Header=BB354_16 Depth=1
	v_and_b32_e32 v7, 7, v0
	v_lshrrev_b32_e32 v1, 3, v2
	v_mov_b32_e32 v36, v8
	s_mov_b32 s24, exec_lo
	s_delay_alu instid0(VALU_DEP_3)
	v_mov_b32_e32 v35, v7
	v_cmpx_gt_u32_e32 8, v2
; %bb.103:                              ;   in Loop: Header=BB354_16 Depth=1
	v_clz_i32_u32_e32 v1, v7
	s_delay_alu instid0(VALU_DEP_1) | instskip(NEXT) | instid1(VALU_DEP_1)
	v_min_u32_e32 v1, 32, v1
	v_subrev_nc_u32_e32 v2, 28, v1
	v_sub_nc_u32_e32 v1, 29, v1
	s_delay_alu instid0(VALU_DEP_2) | instskip(NEXT) | instid1(VALU_DEP_1)
	v_lshlrev_b64 v[2:3], v2, v[7:8]
	v_and_b32_e32 v35, 7, v2
; %bb.104:                              ;   in Loop: Header=BB354_16 Depth=1
	s_or_b32 exec_lo, exec_lo, s24
	v_lshlrev_b32_e32 v0, 8, v0
	v_lshl_add_u32 v1, v1, 10, 0x2000
	s_delay_alu instid0(VALU_DEP_1) | instskip(NEXT) | instid1(VALU_DEP_1)
	v_and_or_b32 v0, 0x8000, v0, v1
	v_lshl_or_b32 v0, v35, 7, v0
	s_delay_alu instid0(VALU_DEP_1)
	v_cvt_f32_f16_e32 v1, v0
.LBB354_105:                            ;   in Loop: Header=BB354_16 Depth=1
	s_or_b32 exec_lo, exec_lo, s23
.LBB354_106:                            ;   in Loop: Header=BB354_16 Depth=1
	s_delay_alu instid0(SALU_CYCLE_1)
	s_or_b32 exec_lo, exec_lo, s22
	scratch_store_b32 off, v1, s32 offset:380 ; 4-byte Folded Spill
.LBB354_107:                            ;   in Loop: Header=BB354_16 Depth=1
	s_or_b32 exec_lo, exec_lo, s21
	s_delay_alu instid0(SALU_CYCLE_1)
	s_mov_b32 s21, exec_lo
	v_cmpx_lt_u32_e32 0xffffff, v33
	s_cbranch_execz .LBB354_115
; %bb.108:                              ;   in Loop: Header=BB354_16 Depth=1
	v_lshrrev_b32_e32 v0, 24, v33
	v_bfrev_b32_e32 v1, 1
	s_mov_b32 s22, exec_lo
	scratch_store_b32 off, v1, s32 offset:344 ; 4-byte Folded Spill
	v_cmpx_ne_u32_e32 0x80, v0
	s_cbranch_execz .LBB354_114
; %bb.109:                              ;   in Loop: Header=BB354_16 Depth=1
	v_and_b32_e32 v2, 0x7f, v0
	v_mov_b32_e32 v1, 0x7fc02000
	s_mov_b32 s23, exec_lo
	scratch_store_b32 off, v1, s32 offset:344 ; 4-byte Folded Spill
	v_cmpx_ne_u32_e32 0x7f, v2
	s_cbranch_execz .LBB354_113
; %bb.110:                              ;   in Loop: Header=BB354_16 Depth=1
	v_and_b32_e32 v7, 7, v0
	v_lshrrev_b32_e32 v1, 3, v2
	v_mov_b32_e32 v36, v8
	s_mov_b32 s24, exec_lo
	s_delay_alu instid0(VALU_DEP_3)
	v_mov_b32_e32 v35, v7
	v_cmpx_gt_u32_e32 8, v2
; %bb.111:                              ;   in Loop: Header=BB354_16 Depth=1
	v_clz_i32_u32_e32 v1, v7
	s_delay_alu instid0(VALU_DEP_1) | instskip(NEXT) | instid1(VALU_DEP_1)
	v_min_u32_e32 v1, 32, v1
	v_subrev_nc_u32_e32 v2, 28, v1
	v_sub_nc_u32_e32 v1, 29, v1
	s_delay_alu instid0(VALU_DEP_2) | instskip(NEXT) | instid1(VALU_DEP_1)
	v_lshlrev_b64 v[2:3], v2, v[7:8]
	v_and_b32_e32 v35, 7, v2
; %bb.112:                              ;   in Loop: Header=BB354_16 Depth=1
	s_or_b32 exec_lo, exec_lo, s24
	v_lshlrev_b32_e32 v0, 8, v0
	v_lshl_add_u32 v1, v1, 10, 0x2000
	s_delay_alu instid0(VALU_DEP_1) | instskip(NEXT) | instid1(VALU_DEP_1)
	v_and_or_b32 v0, 0x8000, v0, v1
	v_lshl_or_b32 v0, v35, 7, v0
	s_delay_alu instid0(VALU_DEP_1)
	v_cvt_f32_f16_e32 v0, v0
	scratch_store_b32 off, v0, s32 offset:344 ; 4-byte Folded Spill
.LBB354_113:                            ;   in Loop: Header=BB354_16 Depth=1
	s_or_b32 exec_lo, exec_lo, s23
.LBB354_114:                            ;   in Loop: Header=BB354_16 Depth=1
	s_delay_alu instid0(SALU_CYCLE_1)
	s_or_b32 exec_lo, exec_lo, s22
.LBB354_115:                            ;   in Loop: Header=BB354_16 Depth=1
	s_delay_alu instid0(SALU_CYCLE_1)
	s_or_b32 exec_lo, exec_lo, s21
	v_dual_mov_b32 v1, 0 :: v_dual_and_b32 v0, 0xff, v34
	v_mov_b32_e32 v7, v34
	s_mov_b32 s21, exec_lo
	scratch_store_b32 off, v1, s32 offset:348 ; 4-byte Folded Spill
	v_mov_b32_e32 v1, 0
	scratch_store_b32 off, v1, s32 offset:384 ; 4-byte Folded Spill
	v_cmpx_ne_u16_e32 0, v0
	s_cbranch_execz .LBB354_123
; %bb.116:                              ;   in Loop: Header=BB354_16 Depth=1
	v_cmp_ne_u16_e64 s1, 0x80, v0
	v_bfrev_b32_e32 v0, 1
	s_delay_alu instid0(VALU_DEP_2)
	s_and_saveexec_b32 s22, s1
	s_cbranch_execz .LBB354_122
; %bb.117:                              ;   in Loop: Header=BB354_16 Depth=1
	v_and_b32_e32 v1, 0x7f, v34
	v_mov_b32_e32 v0, 0x7fc02000
	s_mov_b32 s23, exec_lo
	s_delay_alu instid0(VALU_DEP_2)
	v_cmpx_ne_u32_e32 0x7f, v1
	s_cbranch_execz .LBB354_121
; %bb.118:                              ;   in Loop: Header=BB354_16 Depth=1
	v_lshrrev_b32_e32 v0, 3, v1
	v_dual_mov_b32 v36, v8 :: v_dual_mov_b32 v35, v7
	s_mov_b32 s24, exec_lo
	v_cmpx_gt_u32_e32 8, v1
; %bb.119:                              ;   in Loop: Header=BB354_16 Depth=1
	v_and_b32_e32 v0, 7, v34
	s_delay_alu instid0(VALU_DEP_1) | instskip(NEXT) | instid1(VALU_DEP_1)
	v_clz_i32_u32_e32 v0, v0
	v_min_u32_e32 v0, 32, v0
	s_delay_alu instid0(VALU_DEP_1) | instskip(SKIP_1) | instid1(VALU_DEP_2)
	v_subrev_nc_u32_e32 v1, 28, v0
	v_sub_nc_u32_e32 v0, 29, v0
	v_lshlrev_b64 v[35:36], v1, v[7:8]
; %bb.120:                              ;   in Loop: Header=BB354_16 Depth=1
	s_or_b32 exec_lo, exec_lo, s24
	v_lshlrev_b32_e32 v1, 8, v34
	s_delay_alu instid0(VALU_DEP_3) | instskip(NEXT) | instid1(VALU_DEP_3)
	v_lshl_add_u32 v0, v0, 10, 0x2000
	v_lshlrev_b32_e32 v2, 7, v35
	s_delay_alu instid0(VALU_DEP_2) | instskip(NEXT) | instid1(VALU_DEP_1)
	v_and_or_b32 v0, 0x8000, v1, v0
	v_and_or_b32 v0, 0x380, v2, v0
	s_delay_alu instid0(VALU_DEP_1)
	v_cvt_f32_f16_e32 v0, v0
.LBB354_121:                            ;   in Loop: Header=BB354_16 Depth=1
	s_or_b32 exec_lo, exec_lo, s23
.LBB354_122:                            ;   in Loop: Header=BB354_16 Depth=1
	s_delay_alu instid0(SALU_CYCLE_1)
	s_or_b32 exec_lo, exec_lo, s22
	scratch_store_b32 off, v0, s32 offset:384 ; 4-byte Folded Spill
.LBB354_123:                            ;   in Loop: Header=BB354_16 Depth=1
	s_or_b32 exec_lo, exec_lo, s21
	v_lshrrev_b16 v0, 8, v7
	s_mov_b32 s21, exec_lo
	s_delay_alu instid0(VALU_DEP_1)
	v_cmpx_ne_u16_e32 0, v0
	s_cbranch_execz .LBB354_131
; %bb.124:                              ;   in Loop: Header=BB354_16 Depth=1
	v_bfrev_b32_e32 v1, 1
	s_mov_b32 s22, exec_lo
	scratch_store_b32 off, v1, s32 offset:348 ; 4-byte Folded Spill
	v_cmpx_ne_u16_e32 0x80, v0
	s_cbranch_execz .LBB354_130
; %bb.125:                              ;   in Loop: Header=BB354_16 Depth=1
	v_and_b32_e32 v0, 0xffff, v0
	v_mov_b32_e32 v1, 0x7fc02000
	s_mov_b32 s23, exec_lo
	s_delay_alu instid0(VALU_DEP_2)
	v_and_b32_e32 v2, 0x7f, v0
	scratch_store_b32 off, v1, s32 offset:348 ; 4-byte Folded Spill
	v_cmpx_ne_u32_e32 0x7f, v2
	s_cbranch_execz .LBB354_129
; %bb.126:                              ;   in Loop: Header=BB354_16 Depth=1
	v_and_b32_e32 v7, 7, v0
	v_lshrrev_b32_e32 v1, 3, v2
	v_mov_b32_e32 v36, v8
	s_mov_b32 s24, exec_lo
	s_delay_alu instid0(VALU_DEP_3)
	v_mov_b32_e32 v35, v7
	v_cmpx_gt_u32_e32 8, v2
; %bb.127:                              ;   in Loop: Header=BB354_16 Depth=1
	v_clz_i32_u32_e32 v1, v7
	s_delay_alu instid0(VALU_DEP_1) | instskip(NEXT) | instid1(VALU_DEP_1)
	v_min_u32_e32 v1, 32, v1
	v_subrev_nc_u32_e32 v2, 28, v1
	v_sub_nc_u32_e32 v1, 29, v1
	s_delay_alu instid0(VALU_DEP_2) | instskip(NEXT) | instid1(VALU_DEP_1)
	v_lshlrev_b64 v[2:3], v2, v[7:8]
	v_and_b32_e32 v35, 7, v2
; %bb.128:                              ;   in Loop: Header=BB354_16 Depth=1
	s_or_b32 exec_lo, exec_lo, s24
	v_lshlrev_b32_e32 v0, 8, v0
	v_lshl_add_u32 v1, v1, 10, 0x2000
	s_delay_alu instid0(VALU_DEP_1) | instskip(NEXT) | instid1(VALU_DEP_1)
	v_and_or_b32 v0, 0x8000, v0, v1
	v_lshl_or_b32 v0, v35, 7, v0
	s_delay_alu instid0(VALU_DEP_1)
	v_cvt_f32_f16_e32 v0, v0
	scratch_store_b32 off, v0, s32 offset:348 ; 4-byte Folded Spill
.LBB354_129:                            ;   in Loop: Header=BB354_16 Depth=1
	s_or_b32 exec_lo, exec_lo, s23
.LBB354_130:                            ;   in Loop: Header=BB354_16 Depth=1
	s_delay_alu instid0(SALU_CYCLE_1)
	s_or_b32 exec_lo, exec_lo, s22
.LBB354_131:                            ;   in Loop: Header=BB354_16 Depth=1
	s_delay_alu instid0(SALU_CYCLE_1) | instskip(SKIP_2) | instid1(VALU_DEP_1)
	s_or_b32 exec_lo, exec_lo, s21
	v_lshrrev_b32_e32 v0, 16, v34
	s_mov_b32 s21, exec_lo
	v_dual_mov_b32 v2, 0 :: v_dual_and_b32 v1, 0xff, v0
	scratch_store_b32 off, v2, s32 offset:352 ; 4-byte Folded Spill
	v_mov_b32_e32 v2, 0
	scratch_store_b32 off, v2, s32 offset:388 ; 4-byte Folded Spill
	v_cmpx_ne_u16_e32 0, v1
	s_cbranch_execz .LBB354_139
; %bb.132:                              ;   in Loop: Header=BB354_16 Depth=1
	v_cmp_ne_u16_e64 s1, 0x80, v1
	v_bfrev_b32_e32 v1, 1
	s_delay_alu instid0(VALU_DEP_2)
	s_and_saveexec_b32 s22, s1
	s_cbranch_execz .LBB354_138
; %bb.133:                              ;   in Loop: Header=BB354_16 Depth=1
	v_bfe_u32 v2, v34, 16, 7
	v_mov_b32_e32 v1, 0x7fc02000
	s_mov_b32 s23, exec_lo
	s_delay_alu instid0(VALU_DEP_2)
	v_cmpx_ne_u32_e32 0x7f, v2
	s_cbranch_execz .LBB354_137
; %bb.134:                              ;   in Loop: Header=BB354_16 Depth=1
	v_and_b32_e32 v7, 7, v0
	v_lshrrev_b32_e32 v1, 3, v2
	v_mov_b32_e32 v36, v8
	s_mov_b32 s24, exec_lo
	s_delay_alu instid0(VALU_DEP_3)
	v_mov_b32_e32 v35, v7
	v_cmpx_gt_u32_e32 8, v2
; %bb.135:                              ;   in Loop: Header=BB354_16 Depth=1
	v_clz_i32_u32_e32 v1, v7
	s_delay_alu instid0(VALU_DEP_1) | instskip(NEXT) | instid1(VALU_DEP_1)
	v_min_u32_e32 v1, 32, v1
	v_subrev_nc_u32_e32 v2, 28, v1
	v_sub_nc_u32_e32 v1, 29, v1
	s_delay_alu instid0(VALU_DEP_2) | instskip(NEXT) | instid1(VALU_DEP_1)
	v_lshlrev_b64 v[2:3], v2, v[7:8]
	v_and_b32_e32 v35, 7, v2
; %bb.136:                              ;   in Loop: Header=BB354_16 Depth=1
	s_or_b32 exec_lo, exec_lo, s24
	v_lshlrev_b32_e32 v0, 8, v0
	v_lshl_add_u32 v1, v1, 10, 0x2000
	s_delay_alu instid0(VALU_DEP_1) | instskip(NEXT) | instid1(VALU_DEP_1)
	v_and_or_b32 v0, 0x8000, v0, v1
	v_lshl_or_b32 v0, v35, 7, v0
	s_delay_alu instid0(VALU_DEP_1)
	v_cvt_f32_f16_e32 v1, v0
.LBB354_137:                            ;   in Loop: Header=BB354_16 Depth=1
	s_or_b32 exec_lo, exec_lo, s23
.LBB354_138:                            ;   in Loop: Header=BB354_16 Depth=1
	s_delay_alu instid0(SALU_CYCLE_1)
	s_or_b32 exec_lo, exec_lo, s22
	scratch_store_b32 off, v1, s32 offset:388 ; 4-byte Folded Spill
.LBB354_139:                            ;   in Loop: Header=BB354_16 Depth=1
	s_or_b32 exec_lo, exec_lo, s21
	s_delay_alu instid0(SALU_CYCLE_1)
	s_mov_b32 s21, exec_lo
	v_cmpx_lt_u64_e64 s[8:9], v[33:34]
	s_cbranch_execz .LBB354_147
; %bb.140:                              ;   in Loop: Header=BB354_16 Depth=1
	v_lshrrev_b32_e32 v0, 24, v34
	v_bfrev_b32_e32 v1, 1
	s_mov_b32 s22, exec_lo
	scratch_store_b32 off, v1, s32 offset:352 ; 4-byte Folded Spill
	v_cmpx_ne_u32_e32 0x80, v0
	s_cbranch_execz .LBB354_146
; %bb.141:                              ;   in Loop: Header=BB354_16 Depth=1
	v_and_b32_e32 v2, 0x7f, v0
	v_mov_b32_e32 v1, 0x7fc02000
	s_mov_b32 s23, exec_lo
	scratch_store_b32 off, v1, s32 offset:352 ; 4-byte Folded Spill
	v_cmpx_ne_u32_e32 0x7f, v2
	s_cbranch_execz .LBB354_145
; %bb.142:                              ;   in Loop: Header=BB354_16 Depth=1
	v_and_b32_e32 v7, 7, v0
	v_lshrrev_b32_e32 v1, 3, v2
	v_mov_b32_e32 v34, v8
	s_mov_b32 s24, exec_lo
	s_delay_alu instid0(VALU_DEP_3)
	v_mov_b32_e32 v33, v7
	v_cmpx_gt_u32_e32 8, v2
; %bb.143:                              ;   in Loop: Header=BB354_16 Depth=1
	v_clz_i32_u32_e32 v1, v7
	s_delay_alu instid0(VALU_DEP_1) | instskip(NEXT) | instid1(VALU_DEP_1)
	v_min_u32_e32 v1, 32, v1
	v_subrev_nc_u32_e32 v2, 28, v1
	v_sub_nc_u32_e32 v1, 29, v1
	s_delay_alu instid0(VALU_DEP_2) | instskip(NEXT) | instid1(VALU_DEP_1)
	v_lshlrev_b64 v[2:3], v2, v[7:8]
	v_and_b32_e32 v33, 7, v2
; %bb.144:                              ;   in Loop: Header=BB354_16 Depth=1
	s_or_b32 exec_lo, exec_lo, s24
	v_lshlrev_b32_e32 v0, 8, v0
	v_lshl_add_u32 v1, v1, 10, 0x2000
	s_delay_alu instid0(VALU_DEP_1) | instskip(NEXT) | instid1(VALU_DEP_1)
	v_and_or_b32 v0, 0x8000, v0, v1
	v_lshl_or_b32 v0, v33, 7, v0
	s_delay_alu instid0(VALU_DEP_1)
	v_cvt_f32_f16_e32 v0, v0
	scratch_store_b32 off, v0, s32 offset:352 ; 4-byte Folded Spill
.LBB354_145:                            ;   in Loop: Header=BB354_16 Depth=1
	s_or_b32 exec_lo, exec_lo, s23
.LBB354_146:                            ;   in Loop: Header=BB354_16 Depth=1
	s_delay_alu instid0(SALU_CYCLE_1)
	s_or_b32 exec_lo, exec_lo, s22
.LBB354_147:                            ;   in Loop: Header=BB354_16 Depth=1
	s_delay_alu instid0(SALU_CYCLE_1)
	s_or_b32 exec_lo, exec_lo, s21
	flat_load_b64 v[33:34], v[31:32] offset:512
	s_mov_b32 s21, exec_lo
	v_mov_b32_e32 v1, 0
	scratch_store_b32 off, v1, s32 offset:356 ; 4-byte Folded Spill
	v_mov_b32_e32 v1, 0
	scratch_store_b32 off, v1, s32 offset:392 ; 4-byte Folded Spill
	s_waitcnt vmcnt(0) lgkmcnt(0)
	v_and_b32_e32 v0, 0xff, v33
	s_delay_alu instid0(VALU_DEP_1)
	v_cmpx_ne_u16_e32 0, v0
	s_cbranch_execz .LBB354_155
; %bb.148:                              ;   in Loop: Header=BB354_16 Depth=1
	v_cmp_ne_u16_e64 s1, 0x80, v0
	v_bfrev_b32_e32 v0, 1
	s_delay_alu instid0(VALU_DEP_2)
	s_and_saveexec_b32 s22, s1
	s_cbranch_execz .LBB354_154
; %bb.149:                              ;   in Loop: Header=BB354_16 Depth=1
	v_and_b32_e32 v1, 0x7f, v33
	v_mov_b32_e32 v0, 0x7fc02000
	s_mov_b32 s23, exec_lo
	s_delay_alu instid0(VALU_DEP_2)
	v_cmpx_ne_u32_e32 0x7f, v1
	s_cbranch_execz .LBB354_153
; %bb.150:                              ;   in Loop: Header=BB354_16 Depth=1
	v_lshrrev_b32_e32 v0, 3, v1
	v_dual_mov_b32 v36, v34 :: v_dual_mov_b32 v35, v33
	s_mov_b32 s24, exec_lo
	v_cmpx_gt_u32_e32 8, v1
; %bb.151:                              ;   in Loop: Header=BB354_16 Depth=1
	v_and_b32_e32 v0, 7, v33
	s_delay_alu instid0(VALU_DEP_1) | instskip(NEXT) | instid1(VALU_DEP_1)
	v_clz_i32_u32_e32 v0, v0
	v_min_u32_e32 v0, 32, v0
	s_delay_alu instid0(VALU_DEP_1) | instskip(SKIP_1) | instid1(VALU_DEP_2)
	v_subrev_nc_u32_e32 v1, 28, v0
	v_sub_nc_u32_e32 v0, 29, v0
	v_lshlrev_b64 v[35:36], v1, v[33:34]
; %bb.152:                              ;   in Loop: Header=BB354_16 Depth=1
	s_or_b32 exec_lo, exec_lo, s24
	v_lshlrev_b32_e32 v1, 8, v33
	s_delay_alu instid0(VALU_DEP_3) | instskip(NEXT) | instid1(VALU_DEP_3)
	v_lshl_add_u32 v0, v0, 10, 0x2000
	v_lshlrev_b32_e32 v2, 7, v35
	s_delay_alu instid0(VALU_DEP_2) | instskip(NEXT) | instid1(VALU_DEP_1)
	v_and_or_b32 v0, 0x8000, v1, v0
	v_and_or_b32 v0, 0x380, v2, v0
	s_delay_alu instid0(VALU_DEP_1)
	v_cvt_f32_f16_e32 v0, v0
.LBB354_153:                            ;   in Loop: Header=BB354_16 Depth=1
	s_or_b32 exec_lo, exec_lo, s23
.LBB354_154:                            ;   in Loop: Header=BB354_16 Depth=1
	s_delay_alu instid0(SALU_CYCLE_1)
	s_or_b32 exec_lo, exec_lo, s22
	scratch_store_b32 off, v0, s32 offset:392 ; 4-byte Folded Spill
.LBB354_155:                            ;   in Loop: Header=BB354_16 Depth=1
	s_or_b32 exec_lo, exec_lo, s21
	v_lshrrev_b16 v0, 8, v33
	s_mov_b32 s21, exec_lo
	s_delay_alu instid0(VALU_DEP_1)
	v_cmpx_ne_u16_e32 0, v0
	s_cbranch_execz .LBB354_163
; %bb.156:                              ;   in Loop: Header=BB354_16 Depth=1
	v_bfrev_b32_e32 v1, 1
	s_mov_b32 s22, exec_lo
	scratch_store_b32 off, v1, s32 offset:356 ; 4-byte Folded Spill
	v_cmpx_ne_u16_e32 0x80, v0
	s_cbranch_execz .LBB354_162
; %bb.157:                              ;   in Loop: Header=BB354_16 Depth=1
	v_and_b32_e32 v0, 0xffff, v0
	v_mov_b32_e32 v1, 0x7fc02000
	s_mov_b32 s23, exec_lo
	s_delay_alu instid0(VALU_DEP_2)
	v_and_b32_e32 v2, 0x7f, v0
	scratch_store_b32 off, v1, s32 offset:356 ; 4-byte Folded Spill
	v_cmpx_ne_u32_e32 0x7f, v2
	s_cbranch_execz .LBB354_161
; %bb.158:                              ;   in Loop: Header=BB354_16 Depth=1
	v_and_b32_e32 v7, 7, v0
	v_lshrrev_b32_e32 v1, 3, v2
	v_mov_b32_e32 v36, v8
	s_mov_b32 s24, exec_lo
	s_delay_alu instid0(VALU_DEP_3)
	v_mov_b32_e32 v35, v7
	v_cmpx_gt_u32_e32 8, v2
; %bb.159:                              ;   in Loop: Header=BB354_16 Depth=1
	v_clz_i32_u32_e32 v1, v7
	s_delay_alu instid0(VALU_DEP_1) | instskip(NEXT) | instid1(VALU_DEP_1)
	v_min_u32_e32 v1, 32, v1
	v_subrev_nc_u32_e32 v2, 28, v1
	v_sub_nc_u32_e32 v1, 29, v1
	s_delay_alu instid0(VALU_DEP_2) | instskip(NEXT) | instid1(VALU_DEP_1)
	v_lshlrev_b64 v[2:3], v2, v[7:8]
	v_and_b32_e32 v35, 7, v2
; %bb.160:                              ;   in Loop: Header=BB354_16 Depth=1
	s_or_b32 exec_lo, exec_lo, s24
	v_lshlrev_b32_e32 v0, 8, v0
	v_lshl_add_u32 v1, v1, 10, 0x2000
	s_delay_alu instid0(VALU_DEP_1) | instskip(NEXT) | instid1(VALU_DEP_1)
	v_and_or_b32 v0, 0x8000, v0, v1
	v_lshl_or_b32 v0, v35, 7, v0
	s_delay_alu instid0(VALU_DEP_1)
	v_cvt_f32_f16_e32 v0, v0
	scratch_store_b32 off, v0, s32 offset:356 ; 4-byte Folded Spill
.LBB354_161:                            ;   in Loop: Header=BB354_16 Depth=1
	s_or_b32 exec_lo, exec_lo, s23
.LBB354_162:                            ;   in Loop: Header=BB354_16 Depth=1
	s_delay_alu instid0(SALU_CYCLE_1)
	s_or_b32 exec_lo, exec_lo, s22
.LBB354_163:                            ;   in Loop: Header=BB354_16 Depth=1
	s_delay_alu instid0(SALU_CYCLE_1) | instskip(SKIP_2) | instid1(VALU_DEP_1)
	s_or_b32 exec_lo, exec_lo, s21
	v_lshrrev_b32_e32 v0, 16, v33
	s_mov_b32 s21, exec_lo
	v_dual_mov_b32 v2, 0 :: v_dual_and_b32 v1, 0xff, v0
	scratch_store_b32 off, v2, s32 offset:360 ; 4-byte Folded Spill
	v_mov_b32_e32 v2, 0
	scratch_store_b32 off, v2, s32 offset:396 ; 4-byte Folded Spill
	v_cmpx_ne_u16_e32 0, v1
	s_cbranch_execz .LBB354_171
; %bb.164:                              ;   in Loop: Header=BB354_16 Depth=1
	v_cmp_ne_u16_e64 s1, 0x80, v1
	v_bfrev_b32_e32 v1, 1
	s_delay_alu instid0(VALU_DEP_2)
	s_and_saveexec_b32 s22, s1
	s_cbranch_execz .LBB354_170
; %bb.165:                              ;   in Loop: Header=BB354_16 Depth=1
	v_bfe_u32 v2, v33, 16, 7
	v_mov_b32_e32 v1, 0x7fc02000
	s_mov_b32 s23, exec_lo
	s_delay_alu instid0(VALU_DEP_2)
	v_cmpx_ne_u32_e32 0x7f, v2
	s_cbranch_execz .LBB354_169
; %bb.166:                              ;   in Loop: Header=BB354_16 Depth=1
	v_and_b32_e32 v7, 7, v0
	v_lshrrev_b32_e32 v1, 3, v2
	v_mov_b32_e32 v36, v8
	s_mov_b32 s24, exec_lo
	s_delay_alu instid0(VALU_DEP_3)
	v_mov_b32_e32 v35, v7
	v_cmpx_gt_u32_e32 8, v2
; %bb.167:                              ;   in Loop: Header=BB354_16 Depth=1
	v_clz_i32_u32_e32 v1, v7
	s_delay_alu instid0(VALU_DEP_1) | instskip(NEXT) | instid1(VALU_DEP_1)
	v_min_u32_e32 v1, 32, v1
	v_subrev_nc_u32_e32 v2, 28, v1
	v_sub_nc_u32_e32 v1, 29, v1
	s_delay_alu instid0(VALU_DEP_2) | instskip(NEXT) | instid1(VALU_DEP_1)
	v_lshlrev_b64 v[2:3], v2, v[7:8]
	v_and_b32_e32 v35, 7, v2
; %bb.168:                              ;   in Loop: Header=BB354_16 Depth=1
	s_or_b32 exec_lo, exec_lo, s24
	v_lshlrev_b32_e32 v0, 8, v0
	v_lshl_add_u32 v1, v1, 10, 0x2000
	s_delay_alu instid0(VALU_DEP_1) | instskip(NEXT) | instid1(VALU_DEP_1)
	v_and_or_b32 v0, 0x8000, v0, v1
	v_lshl_or_b32 v0, v35, 7, v0
	s_delay_alu instid0(VALU_DEP_1)
	v_cvt_f32_f16_e32 v1, v0
.LBB354_169:                            ;   in Loop: Header=BB354_16 Depth=1
	s_or_b32 exec_lo, exec_lo, s23
.LBB354_170:                            ;   in Loop: Header=BB354_16 Depth=1
	s_delay_alu instid0(SALU_CYCLE_1)
	s_or_b32 exec_lo, exec_lo, s22
	scratch_store_b32 off, v1, s32 offset:396 ; 4-byte Folded Spill
.LBB354_171:                            ;   in Loop: Header=BB354_16 Depth=1
	s_or_b32 exec_lo, exec_lo, s21
	s_delay_alu instid0(SALU_CYCLE_1)
	s_mov_b32 s21, exec_lo
	v_cmpx_lt_u32_e32 0xffffff, v33
	s_cbranch_execz .LBB354_179
; %bb.172:                              ;   in Loop: Header=BB354_16 Depth=1
	v_lshrrev_b32_e32 v0, 24, v33
	v_bfrev_b32_e32 v1, 1
	s_mov_b32 s22, exec_lo
	scratch_store_b32 off, v1, s32 offset:360 ; 4-byte Folded Spill
	v_cmpx_ne_u32_e32 0x80, v0
	s_cbranch_execz .LBB354_178
; %bb.173:                              ;   in Loop: Header=BB354_16 Depth=1
	v_and_b32_e32 v2, 0x7f, v0
	v_mov_b32_e32 v1, 0x7fc02000
	s_mov_b32 s23, exec_lo
	scratch_store_b32 off, v1, s32 offset:360 ; 4-byte Folded Spill
	v_cmpx_ne_u32_e32 0x7f, v2
	s_cbranch_execz .LBB354_177
; %bb.174:                              ;   in Loop: Header=BB354_16 Depth=1
	v_and_b32_e32 v7, 7, v0
	v_lshrrev_b32_e32 v1, 3, v2
	v_mov_b32_e32 v36, v8
	s_mov_b32 s24, exec_lo
	s_delay_alu instid0(VALU_DEP_3)
	v_mov_b32_e32 v35, v7
	v_cmpx_gt_u32_e32 8, v2
; %bb.175:                              ;   in Loop: Header=BB354_16 Depth=1
	v_clz_i32_u32_e32 v1, v7
	s_delay_alu instid0(VALU_DEP_1) | instskip(NEXT) | instid1(VALU_DEP_1)
	v_min_u32_e32 v1, 32, v1
	v_subrev_nc_u32_e32 v2, 28, v1
	v_sub_nc_u32_e32 v1, 29, v1
	s_delay_alu instid0(VALU_DEP_2) | instskip(NEXT) | instid1(VALU_DEP_1)
	v_lshlrev_b64 v[2:3], v2, v[7:8]
	v_and_b32_e32 v35, 7, v2
; %bb.176:                              ;   in Loop: Header=BB354_16 Depth=1
	s_or_b32 exec_lo, exec_lo, s24
	v_lshlrev_b32_e32 v0, 8, v0
	v_lshl_add_u32 v1, v1, 10, 0x2000
	s_delay_alu instid0(VALU_DEP_1) | instskip(NEXT) | instid1(VALU_DEP_1)
	v_and_or_b32 v0, 0x8000, v0, v1
	v_lshl_or_b32 v0, v35, 7, v0
	s_delay_alu instid0(VALU_DEP_1)
	v_cvt_f32_f16_e32 v0, v0
	scratch_store_b32 off, v0, s32 offset:360 ; 4-byte Folded Spill
.LBB354_177:                            ;   in Loop: Header=BB354_16 Depth=1
	s_or_b32 exec_lo, exec_lo, s23
.LBB354_178:                            ;   in Loop: Header=BB354_16 Depth=1
	s_delay_alu instid0(SALU_CYCLE_1)
	s_or_b32 exec_lo, exec_lo, s22
.LBB354_179:                            ;   in Loop: Header=BB354_16 Depth=1
	s_delay_alu instid0(SALU_CYCLE_1)
	s_or_b32 exec_lo, exec_lo, s21
	v_dual_mov_b32 v1, 0 :: v_dual_and_b32 v0, 0xff, v34
	v_mov_b32_e32 v7, v34
	s_mov_b32 s21, exec_lo
	scratch_store_b32 off, v1, s32 offset:364 ; 4-byte Folded Spill
	v_mov_b32_e32 v1, 0
	scratch_store_b32 off, v1, s32 offset:400 ; 4-byte Folded Spill
	v_cmpx_ne_u16_e32 0, v0
	s_cbranch_execz .LBB354_187
; %bb.180:                              ;   in Loop: Header=BB354_16 Depth=1
	v_cmp_ne_u16_e64 s1, 0x80, v0
	v_bfrev_b32_e32 v0, 1
	s_delay_alu instid0(VALU_DEP_2)
	s_and_saveexec_b32 s22, s1
	s_cbranch_execz .LBB354_186
; %bb.181:                              ;   in Loop: Header=BB354_16 Depth=1
	v_and_b32_e32 v1, 0x7f, v34
	v_mov_b32_e32 v0, 0x7fc02000
	s_mov_b32 s23, exec_lo
	s_delay_alu instid0(VALU_DEP_2)
	v_cmpx_ne_u32_e32 0x7f, v1
	s_cbranch_execz .LBB354_185
; %bb.182:                              ;   in Loop: Header=BB354_16 Depth=1
	v_lshrrev_b32_e32 v0, 3, v1
	v_dual_mov_b32 v36, v8 :: v_dual_mov_b32 v35, v7
	s_mov_b32 s24, exec_lo
	v_cmpx_gt_u32_e32 8, v1
; %bb.183:                              ;   in Loop: Header=BB354_16 Depth=1
	v_and_b32_e32 v0, 7, v34
	s_delay_alu instid0(VALU_DEP_1) | instskip(NEXT) | instid1(VALU_DEP_1)
	v_clz_i32_u32_e32 v0, v0
	v_min_u32_e32 v0, 32, v0
	s_delay_alu instid0(VALU_DEP_1) | instskip(SKIP_1) | instid1(VALU_DEP_2)
	v_subrev_nc_u32_e32 v1, 28, v0
	v_sub_nc_u32_e32 v0, 29, v0
	v_lshlrev_b64 v[35:36], v1, v[7:8]
; %bb.184:                              ;   in Loop: Header=BB354_16 Depth=1
	s_or_b32 exec_lo, exec_lo, s24
	v_lshlrev_b32_e32 v1, 8, v34
	s_delay_alu instid0(VALU_DEP_3) | instskip(NEXT) | instid1(VALU_DEP_3)
	v_lshl_add_u32 v0, v0, 10, 0x2000
	v_lshlrev_b32_e32 v2, 7, v35
	s_delay_alu instid0(VALU_DEP_2) | instskip(NEXT) | instid1(VALU_DEP_1)
	v_and_or_b32 v0, 0x8000, v1, v0
	v_and_or_b32 v0, 0x380, v2, v0
	s_delay_alu instid0(VALU_DEP_1)
	v_cvt_f32_f16_e32 v0, v0
.LBB354_185:                            ;   in Loop: Header=BB354_16 Depth=1
	s_or_b32 exec_lo, exec_lo, s23
.LBB354_186:                            ;   in Loop: Header=BB354_16 Depth=1
	s_delay_alu instid0(SALU_CYCLE_1)
	s_or_b32 exec_lo, exec_lo, s22
	scratch_store_b32 off, v0, s32 offset:400 ; 4-byte Folded Spill
.LBB354_187:                            ;   in Loop: Header=BB354_16 Depth=1
	s_or_b32 exec_lo, exec_lo, s21
	v_lshrrev_b16 v0, 8, v7
	s_mov_b32 s21, exec_lo
	s_delay_alu instid0(VALU_DEP_1)
	v_cmpx_ne_u16_e32 0, v0
	s_cbranch_execz .LBB354_195
; %bb.188:                              ;   in Loop: Header=BB354_16 Depth=1
	v_bfrev_b32_e32 v1, 1
	s_mov_b32 s22, exec_lo
	scratch_store_b32 off, v1, s32 offset:364 ; 4-byte Folded Spill
	v_cmpx_ne_u16_e32 0x80, v0
	s_cbranch_execz .LBB354_194
; %bb.189:                              ;   in Loop: Header=BB354_16 Depth=1
	v_and_b32_e32 v0, 0xffff, v0
	v_mov_b32_e32 v1, 0x7fc02000
	s_mov_b32 s23, exec_lo
	s_delay_alu instid0(VALU_DEP_2)
	v_and_b32_e32 v2, 0x7f, v0
	scratch_store_b32 off, v1, s32 offset:364 ; 4-byte Folded Spill
	v_cmpx_ne_u32_e32 0x7f, v2
	s_cbranch_execz .LBB354_193
; %bb.190:                              ;   in Loop: Header=BB354_16 Depth=1
	v_and_b32_e32 v7, 7, v0
	v_lshrrev_b32_e32 v1, 3, v2
	v_mov_b32_e32 v36, v8
	s_mov_b32 s24, exec_lo
	s_delay_alu instid0(VALU_DEP_3)
	v_mov_b32_e32 v35, v7
	v_cmpx_gt_u32_e32 8, v2
; %bb.191:                              ;   in Loop: Header=BB354_16 Depth=1
	v_clz_i32_u32_e32 v1, v7
	s_delay_alu instid0(VALU_DEP_1) | instskip(NEXT) | instid1(VALU_DEP_1)
	v_min_u32_e32 v1, 32, v1
	v_subrev_nc_u32_e32 v2, 28, v1
	v_sub_nc_u32_e32 v1, 29, v1
	s_delay_alu instid0(VALU_DEP_2) | instskip(NEXT) | instid1(VALU_DEP_1)
	v_lshlrev_b64 v[2:3], v2, v[7:8]
	v_and_b32_e32 v35, 7, v2
; %bb.192:                              ;   in Loop: Header=BB354_16 Depth=1
	s_or_b32 exec_lo, exec_lo, s24
	v_lshlrev_b32_e32 v0, 8, v0
	v_lshl_add_u32 v1, v1, 10, 0x2000
	s_delay_alu instid0(VALU_DEP_1) | instskip(NEXT) | instid1(VALU_DEP_1)
	v_and_or_b32 v0, 0x8000, v0, v1
	v_lshl_or_b32 v0, v35, 7, v0
	s_delay_alu instid0(VALU_DEP_1)
	v_cvt_f32_f16_e32 v0, v0
	scratch_store_b32 off, v0, s32 offset:364 ; 4-byte Folded Spill
.LBB354_193:                            ;   in Loop: Header=BB354_16 Depth=1
	s_or_b32 exec_lo, exec_lo, s23
.LBB354_194:                            ;   in Loop: Header=BB354_16 Depth=1
	s_delay_alu instid0(SALU_CYCLE_1)
	s_or_b32 exec_lo, exec_lo, s22
.LBB354_195:                            ;   in Loop: Header=BB354_16 Depth=1
	s_delay_alu instid0(SALU_CYCLE_1) | instskip(SKIP_2) | instid1(VALU_DEP_1)
	s_or_b32 exec_lo, exec_lo, s21
	v_lshrrev_b32_e32 v0, 16, v34
	s_mov_b32 s21, exec_lo
	v_dual_mov_b32 v2, 0 :: v_dual_and_b32 v1, 0xff, v0
	scratch_store_b32 off, v2, s32 offset:368 ; 4-byte Folded Spill
	v_mov_b32_e32 v2, 0
	scratch_store_b32 off, v2, s32 offset:404 ; 4-byte Folded Spill
	v_cmpx_ne_u16_e32 0, v1
	s_cbranch_execz .LBB354_203
; %bb.196:                              ;   in Loop: Header=BB354_16 Depth=1
	v_cmp_ne_u16_e64 s1, 0x80, v1
	v_bfrev_b32_e32 v1, 1
	s_delay_alu instid0(VALU_DEP_2)
	s_and_saveexec_b32 s22, s1
	s_cbranch_execz .LBB354_202
; %bb.197:                              ;   in Loop: Header=BB354_16 Depth=1
	v_bfe_u32 v2, v34, 16, 7
	v_mov_b32_e32 v1, 0x7fc02000
	s_mov_b32 s23, exec_lo
	s_delay_alu instid0(VALU_DEP_2)
	v_cmpx_ne_u32_e32 0x7f, v2
	s_cbranch_execz .LBB354_201
; %bb.198:                              ;   in Loop: Header=BB354_16 Depth=1
	v_and_b32_e32 v7, 7, v0
	v_lshrrev_b32_e32 v1, 3, v2
	v_mov_b32_e32 v36, v8
	s_mov_b32 s24, exec_lo
	s_delay_alu instid0(VALU_DEP_3)
	v_mov_b32_e32 v35, v7
	v_cmpx_gt_u32_e32 8, v2
; %bb.199:                              ;   in Loop: Header=BB354_16 Depth=1
	v_clz_i32_u32_e32 v1, v7
	s_delay_alu instid0(VALU_DEP_1) | instskip(NEXT) | instid1(VALU_DEP_1)
	v_min_u32_e32 v1, 32, v1
	v_subrev_nc_u32_e32 v2, 28, v1
	v_sub_nc_u32_e32 v1, 29, v1
	s_delay_alu instid0(VALU_DEP_2) | instskip(NEXT) | instid1(VALU_DEP_1)
	v_lshlrev_b64 v[2:3], v2, v[7:8]
	v_and_b32_e32 v35, 7, v2
; %bb.200:                              ;   in Loop: Header=BB354_16 Depth=1
	s_or_b32 exec_lo, exec_lo, s24
	v_lshlrev_b32_e32 v0, 8, v0
	v_lshl_add_u32 v1, v1, 10, 0x2000
	s_delay_alu instid0(VALU_DEP_1) | instskip(NEXT) | instid1(VALU_DEP_1)
	v_and_or_b32 v0, 0x8000, v0, v1
	v_lshl_or_b32 v0, v35, 7, v0
	s_delay_alu instid0(VALU_DEP_1)
	v_cvt_f32_f16_e32 v1, v0
.LBB354_201:                            ;   in Loop: Header=BB354_16 Depth=1
	s_or_b32 exec_lo, exec_lo, s23
.LBB354_202:                            ;   in Loop: Header=BB354_16 Depth=1
	s_delay_alu instid0(SALU_CYCLE_1)
	s_or_b32 exec_lo, exec_lo, s22
	scratch_store_b32 off, v1, s32 offset:404 ; 4-byte Folded Spill
.LBB354_203:                            ;   in Loop: Header=BB354_16 Depth=1
	s_or_b32 exec_lo, exec_lo, s21
	s_delay_alu instid0(SALU_CYCLE_1)
	s_mov_b32 s21, exec_lo
	v_cmpx_lt_u64_e64 s[8:9], v[33:34]
	s_cbranch_execz .LBB354_211
; %bb.204:                              ;   in Loop: Header=BB354_16 Depth=1
	v_lshrrev_b32_e32 v0, 24, v34
	v_bfrev_b32_e32 v1, 1
	s_mov_b32 s22, exec_lo
	scratch_store_b32 off, v1, s32 offset:368 ; 4-byte Folded Spill
	v_cmpx_ne_u32_e32 0x80, v0
	s_cbranch_execz .LBB354_210
; %bb.205:                              ;   in Loop: Header=BB354_16 Depth=1
	v_and_b32_e32 v2, 0x7f, v0
	v_mov_b32_e32 v1, 0x7fc02000
	s_mov_b32 s23, exec_lo
	scratch_store_b32 off, v1, s32 offset:368 ; 4-byte Folded Spill
	v_cmpx_ne_u32_e32 0x7f, v2
	s_cbranch_execz .LBB354_209
; %bb.206:                              ;   in Loop: Header=BB354_16 Depth=1
	v_and_b32_e32 v7, 7, v0
	v_lshrrev_b32_e32 v1, 3, v2
	v_mov_b32_e32 v34, v8
	s_mov_b32 s24, exec_lo
	s_delay_alu instid0(VALU_DEP_3)
	v_mov_b32_e32 v33, v7
	v_cmpx_gt_u32_e32 8, v2
; %bb.207:                              ;   in Loop: Header=BB354_16 Depth=1
	v_clz_i32_u32_e32 v1, v7
	s_delay_alu instid0(VALU_DEP_1) | instskip(NEXT) | instid1(VALU_DEP_1)
	v_min_u32_e32 v1, 32, v1
	v_subrev_nc_u32_e32 v2, 28, v1
	v_sub_nc_u32_e32 v1, 29, v1
	s_delay_alu instid0(VALU_DEP_2) | instskip(NEXT) | instid1(VALU_DEP_1)
	v_lshlrev_b64 v[2:3], v2, v[7:8]
	v_and_b32_e32 v33, 7, v2
; %bb.208:                              ;   in Loop: Header=BB354_16 Depth=1
	s_or_b32 exec_lo, exec_lo, s24
	v_lshlrev_b32_e32 v0, 8, v0
	v_lshl_add_u32 v1, v1, 10, 0x2000
	s_delay_alu instid0(VALU_DEP_1) | instskip(NEXT) | instid1(VALU_DEP_1)
	v_and_or_b32 v0, 0x8000, v0, v1
	v_lshl_or_b32 v0, v33, 7, v0
	s_delay_alu instid0(VALU_DEP_1)
	v_cvt_f32_f16_e32 v0, v0
	scratch_store_b32 off, v0, s32 offset:368 ; 4-byte Folded Spill
.LBB354_209:                            ;   in Loop: Header=BB354_16 Depth=1
	s_or_b32 exec_lo, exec_lo, s23
.LBB354_210:                            ;   in Loop: Header=BB354_16 Depth=1
	s_delay_alu instid0(SALU_CYCLE_1)
	s_or_b32 exec_lo, exec_lo, s22
.LBB354_211:                            ;   in Loop: Header=BB354_16 Depth=1
	s_delay_alu instid0(SALU_CYCLE_1)
	s_or_b32 exec_lo, exec_lo, s21
	flat_load_b64 v[33:34], v[31:32] offset:520
	v_mov_b32_e32 v96, 0
	v_mov_b32_e32 v16, 0
	s_mov_b32 s21, exec_lo
	s_waitcnt vmcnt(0) lgkmcnt(0)
	v_and_b32_e32 v0, 0xff, v33
	s_delay_alu instid0(VALU_DEP_1)
	v_cmpx_ne_u16_e32 0, v0
	s_cbranch_execz .LBB354_219
; %bb.212:                              ;   in Loop: Header=BB354_16 Depth=1
	v_bfrev_b32_e32 v16, 1
	s_mov_b32 s22, exec_lo
	v_cmpx_ne_u16_e32 0x80, v0
	s_cbranch_execz .LBB354_218
; %bb.213:                              ;   in Loop: Header=BB354_16 Depth=1
	v_and_b32_e32 v1, 0x7f, v33
	v_mov_b32_e32 v16, 0x7fc02000
	s_mov_b32 s23, exec_lo
	s_delay_alu instid0(VALU_DEP_2)
	v_cmpx_ne_u32_e32 0x7f, v1
	s_cbranch_execz .LBB354_217
; %bb.214:                              ;   in Loop: Header=BB354_16 Depth=1
	v_lshrrev_b32_e32 v0, 3, v1
	v_dual_mov_b32 v36, v34 :: v_dual_mov_b32 v35, v33
	s_mov_b32 s24, exec_lo
	v_cmpx_gt_u32_e32 8, v1
; %bb.215:                              ;   in Loop: Header=BB354_16 Depth=1
	v_and_b32_e32 v0, 7, v33
	s_delay_alu instid0(VALU_DEP_1) | instskip(NEXT) | instid1(VALU_DEP_1)
	v_clz_i32_u32_e32 v0, v0
	v_min_u32_e32 v0, 32, v0
	s_delay_alu instid0(VALU_DEP_1) | instskip(SKIP_1) | instid1(VALU_DEP_2)
	v_subrev_nc_u32_e32 v1, 28, v0
	v_sub_nc_u32_e32 v0, 29, v0
	v_lshlrev_b64 v[35:36], v1, v[33:34]
; %bb.216:                              ;   in Loop: Header=BB354_16 Depth=1
	s_or_b32 exec_lo, exec_lo, s24
	v_lshlrev_b32_e32 v1, 8, v33
	s_delay_alu instid0(VALU_DEP_3) | instskip(NEXT) | instid1(VALU_DEP_3)
	v_lshl_add_u32 v0, v0, 10, 0x2000
	v_lshlrev_b32_e32 v2, 7, v35
	s_delay_alu instid0(VALU_DEP_2) | instskip(NEXT) | instid1(VALU_DEP_1)
	v_and_or_b32 v0, 0x8000, v1, v0
	v_and_or_b32 v0, 0x380, v2, v0
	s_delay_alu instid0(VALU_DEP_1)
	v_cvt_f32_f16_e32 v16, v0
.LBB354_217:                            ;   in Loop: Header=BB354_16 Depth=1
	s_or_b32 exec_lo, exec_lo, s23
.LBB354_218:                            ;   in Loop: Header=BB354_16 Depth=1
	s_delay_alu instid0(SALU_CYCLE_1)
	s_or_b32 exec_lo, exec_lo, s22
.LBB354_219:                            ;   in Loop: Header=BB354_16 Depth=1
	s_delay_alu instid0(SALU_CYCLE_1) | instskip(SKIP_2) | instid1(VALU_DEP_1)
	s_or_b32 exec_lo, exec_lo, s21
	v_lshrrev_b16 v0, 8, v33
	s_mov_b32 s21, exec_lo
	v_cmpx_ne_u16_e32 0, v0
	s_cbranch_execz .LBB354_227
; %bb.220:                              ;   in Loop: Header=BB354_16 Depth=1
	v_bfrev_b32_e32 v96, 1
	s_mov_b32 s22, exec_lo
	v_cmpx_ne_u16_e32 0x80, v0
	s_cbranch_execz .LBB354_226
; %bb.221:                              ;   in Loop: Header=BB354_16 Depth=1
	v_and_b32_e32 v0, 0xffff, v0
	v_mov_b32_e32 v96, 0x7fc02000
	s_mov_b32 s23, exec_lo
	s_delay_alu instid0(VALU_DEP_2) | instskip(NEXT) | instid1(VALU_DEP_1)
	v_and_b32_e32 v2, 0x7f, v0
	v_cmpx_ne_u32_e32 0x7f, v2
	s_cbranch_execz .LBB354_225
; %bb.222:                              ;   in Loop: Header=BB354_16 Depth=1
	v_and_b32_e32 v7, 7, v0
	v_lshrrev_b32_e32 v1, 3, v2
	v_mov_b32_e32 v36, v8
	s_mov_b32 s24, exec_lo
	s_delay_alu instid0(VALU_DEP_3)
	v_mov_b32_e32 v35, v7
	v_cmpx_gt_u32_e32 8, v2
; %bb.223:                              ;   in Loop: Header=BB354_16 Depth=1
	v_clz_i32_u32_e32 v1, v7
	s_delay_alu instid0(VALU_DEP_1) | instskip(NEXT) | instid1(VALU_DEP_1)
	v_min_u32_e32 v1, 32, v1
	v_subrev_nc_u32_e32 v2, 28, v1
	v_sub_nc_u32_e32 v1, 29, v1
	s_delay_alu instid0(VALU_DEP_2) | instskip(NEXT) | instid1(VALU_DEP_1)
	v_lshlrev_b64 v[2:3], v2, v[7:8]
	v_and_b32_e32 v35, 7, v2
; %bb.224:                              ;   in Loop: Header=BB354_16 Depth=1
	s_or_b32 exec_lo, exec_lo, s24
	v_lshlrev_b32_e32 v0, 8, v0
	v_lshl_add_u32 v1, v1, 10, 0x2000
	s_delay_alu instid0(VALU_DEP_1) | instskip(NEXT) | instid1(VALU_DEP_1)
	v_and_or_b32 v0, 0x8000, v0, v1
	v_lshl_or_b32 v0, v35, 7, v0
	s_delay_alu instid0(VALU_DEP_1)
	v_cvt_f32_f16_e32 v96, v0
.LBB354_225:                            ;   in Loop: Header=BB354_16 Depth=1
	s_or_b32 exec_lo, exec_lo, s23
.LBB354_226:                            ;   in Loop: Header=BB354_16 Depth=1
	s_delay_alu instid0(SALU_CYCLE_1)
	s_or_b32 exec_lo, exec_lo, s22
.LBB354_227:                            ;   in Loop: Header=BB354_16 Depth=1
	s_delay_alu instid0(SALU_CYCLE_1) | instskip(SKIP_3) | instid1(VALU_DEP_2)
	s_or_b32 exec_lo, exec_lo, s21
	v_lshrrev_b32_e32 v0, 16, v33
	v_mov_b32_e32 v133, 0
	s_mov_b32 s21, exec_lo
	v_dual_mov_b32 v134, 0 :: v_dual_and_b32 v1, 0xff, v0
	s_delay_alu instid0(VALU_DEP_1)
	v_cmpx_ne_u16_e32 0, v1
	s_cbranch_execz .LBB354_235
; %bb.228:                              ;   in Loop: Header=BB354_16 Depth=1
	v_bfrev_b32_e32 v133, 1
	s_mov_b32 s22, exec_lo
	v_cmpx_ne_u16_e32 0x80, v1
	s_cbranch_execz .LBB354_234
; %bb.229:                              ;   in Loop: Header=BB354_16 Depth=1
	v_bfe_u32 v2, v33, 16, 7
	v_mov_b32_e32 v133, 0x7fc02000
	s_mov_b32 s23, exec_lo
	s_delay_alu instid0(VALU_DEP_2)
	v_cmpx_ne_u32_e32 0x7f, v2
	s_cbranch_execz .LBB354_233
; %bb.230:                              ;   in Loop: Header=BB354_16 Depth=1
	v_and_b32_e32 v7, 7, v0
	v_lshrrev_b32_e32 v1, 3, v2
	v_mov_b32_e32 v36, v8
	s_mov_b32 s24, exec_lo
	s_delay_alu instid0(VALU_DEP_3)
	v_mov_b32_e32 v35, v7
	v_cmpx_gt_u32_e32 8, v2
; %bb.231:                              ;   in Loop: Header=BB354_16 Depth=1
	v_clz_i32_u32_e32 v1, v7
	s_delay_alu instid0(VALU_DEP_1) | instskip(NEXT) | instid1(VALU_DEP_1)
	v_min_u32_e32 v1, 32, v1
	v_subrev_nc_u32_e32 v2, 28, v1
	v_sub_nc_u32_e32 v1, 29, v1
	s_delay_alu instid0(VALU_DEP_2) | instskip(NEXT) | instid1(VALU_DEP_1)
	v_lshlrev_b64 v[2:3], v2, v[7:8]
	v_and_b32_e32 v35, 7, v2
; %bb.232:                              ;   in Loop: Header=BB354_16 Depth=1
	s_or_b32 exec_lo, exec_lo, s24
	v_lshlrev_b32_e32 v0, 8, v0
	v_lshl_add_u32 v1, v1, 10, 0x2000
	s_delay_alu instid0(VALU_DEP_1) | instskip(NEXT) | instid1(VALU_DEP_1)
	v_and_or_b32 v0, 0x8000, v0, v1
	v_lshl_or_b32 v0, v35, 7, v0
	s_delay_alu instid0(VALU_DEP_1)
	v_cvt_f32_f16_e64 v133, v0
.LBB354_233:                            ;   in Loop: Header=BB354_16 Depth=1
	s_or_b32 exec_lo, exec_lo, s23
.LBB354_234:                            ;   in Loop: Header=BB354_16 Depth=1
	s_delay_alu instid0(SALU_CYCLE_1)
	s_or_b32 exec_lo, exec_lo, s22
.LBB354_235:                            ;   in Loop: Header=BB354_16 Depth=1
	s_delay_alu instid0(SALU_CYCLE_1) | instskip(NEXT) | instid1(SALU_CYCLE_1)
	s_or_b32 exec_lo, exec_lo, s21
	s_mov_b32 s21, exec_lo
	v_cmpx_lt_u32_e32 0xffffff, v33
	s_cbranch_execz .LBB354_243
; %bb.236:                              ;   in Loop: Header=BB354_16 Depth=1
	v_lshrrev_b32_e32 v0, 24, v33
	v_bfrev_b32_e32 v134, 1
	s_mov_b32 s22, exec_lo
	s_delay_alu instid0(VALU_DEP_2)
	v_cmpx_ne_u32_e32 0x80, v0
	s_cbranch_execz .LBB354_242
; %bb.237:                              ;   in Loop: Header=BB354_16 Depth=1
	v_and_b32_e32 v2, 0x7f, v0
	v_mov_b32_e32 v134, 0x7fc02000
	s_mov_b32 s23, exec_lo
	s_delay_alu instid0(VALU_DEP_2)
	v_cmpx_ne_u32_e32 0x7f, v2
	s_cbranch_execz .LBB354_241
; %bb.238:                              ;   in Loop: Header=BB354_16 Depth=1
	v_and_b32_e32 v7, 7, v0
	v_lshrrev_b32_e32 v1, 3, v2
	v_mov_b32_e32 v36, v8
	s_mov_b32 s24, exec_lo
	s_delay_alu instid0(VALU_DEP_3)
	v_mov_b32_e32 v35, v7
	v_cmpx_gt_u32_e32 8, v2
; %bb.239:                              ;   in Loop: Header=BB354_16 Depth=1
	v_clz_i32_u32_e32 v1, v7
	s_delay_alu instid0(VALU_DEP_1) | instskip(NEXT) | instid1(VALU_DEP_1)
	v_min_u32_e32 v1, 32, v1
	v_subrev_nc_u32_e32 v2, 28, v1
	v_sub_nc_u32_e32 v1, 29, v1
	s_delay_alu instid0(VALU_DEP_2) | instskip(NEXT) | instid1(VALU_DEP_1)
	v_lshlrev_b64 v[2:3], v2, v[7:8]
	v_and_b32_e32 v35, 7, v2
; %bb.240:                              ;   in Loop: Header=BB354_16 Depth=1
	s_or_b32 exec_lo, exec_lo, s24
	v_lshlrev_b32_e32 v0, 8, v0
	v_lshl_add_u32 v1, v1, 10, 0x2000
	s_delay_alu instid0(VALU_DEP_1) | instskip(NEXT) | instid1(VALU_DEP_1)
	v_and_or_b32 v0, 0x8000, v0, v1
	v_lshl_or_b32 v0, v35, 7, v0
	s_delay_alu instid0(VALU_DEP_1)
	v_cvt_f32_f16_e64 v134, v0
.LBB354_241:                            ;   in Loop: Header=BB354_16 Depth=1
	s_or_b32 exec_lo, exec_lo, s23
.LBB354_242:                            ;   in Loop: Header=BB354_16 Depth=1
	s_delay_alu instid0(SALU_CYCLE_1)
	s_or_b32 exec_lo, exec_lo, s22
.LBB354_243:                            ;   in Loop: Header=BB354_16 Depth=1
	s_delay_alu instid0(SALU_CYCLE_1) | instskip(SKIP_3) | instid1(VALU_DEP_2)
	s_or_b32 exec_lo, exec_lo, s21
	v_dual_mov_b32 v7, v34 :: v_dual_and_b32 v0, 0xff, v34
	v_dual_mov_b32 v144, 0 :: v_dual_mov_b32 v135, 0
	s_mov_b32 s21, exec_lo
	v_cmpx_ne_u16_e32 0, v0
	s_cbranch_execz .LBB354_251
; %bb.244:                              ;   in Loop: Header=BB354_16 Depth=1
	v_bfrev_b32_e32 v135, 1
	s_mov_b32 s22, exec_lo
	v_cmpx_ne_u16_e32 0x80, v0
	s_cbranch_execz .LBB354_250
; %bb.245:                              ;   in Loop: Header=BB354_16 Depth=1
	v_and_b32_e32 v1, 0x7f, v34
	v_mov_b32_e32 v135, 0x7fc02000
	s_mov_b32 s23, exec_lo
	s_delay_alu instid0(VALU_DEP_2)
	v_cmpx_ne_u32_e32 0x7f, v1
	s_cbranch_execz .LBB354_249
; %bb.246:                              ;   in Loop: Header=BB354_16 Depth=1
	v_lshrrev_b32_e32 v0, 3, v1
	v_dual_mov_b32 v36, v8 :: v_dual_mov_b32 v35, v7
	s_mov_b32 s24, exec_lo
	v_cmpx_gt_u32_e32 8, v1
; %bb.247:                              ;   in Loop: Header=BB354_16 Depth=1
	v_and_b32_e32 v0, 7, v34
	s_delay_alu instid0(VALU_DEP_1) | instskip(NEXT) | instid1(VALU_DEP_1)
	v_clz_i32_u32_e32 v0, v0
	v_min_u32_e32 v0, 32, v0
	s_delay_alu instid0(VALU_DEP_1) | instskip(SKIP_1) | instid1(VALU_DEP_2)
	v_subrev_nc_u32_e32 v1, 28, v0
	v_sub_nc_u32_e32 v0, 29, v0
	v_lshlrev_b64 v[35:36], v1, v[7:8]
; %bb.248:                              ;   in Loop: Header=BB354_16 Depth=1
	s_or_b32 exec_lo, exec_lo, s24
	v_lshlrev_b32_e32 v1, 8, v34
	s_delay_alu instid0(VALU_DEP_3) | instskip(NEXT) | instid1(VALU_DEP_3)
	v_lshl_add_u32 v0, v0, 10, 0x2000
	v_lshlrev_b32_e32 v2, 7, v35
	s_delay_alu instid0(VALU_DEP_2) | instskip(NEXT) | instid1(VALU_DEP_1)
	v_and_or_b32 v0, 0x8000, v1, v0
	v_and_or_b32 v0, 0x380, v2, v0
	s_delay_alu instid0(VALU_DEP_1)
	v_cvt_f32_f16_e64 v135, v0
.LBB354_249:                            ;   in Loop: Header=BB354_16 Depth=1
	s_or_b32 exec_lo, exec_lo, s23
.LBB354_250:                            ;   in Loop: Header=BB354_16 Depth=1
	s_delay_alu instid0(SALU_CYCLE_1)
	s_or_b32 exec_lo, exec_lo, s22
.LBB354_251:                            ;   in Loop: Header=BB354_16 Depth=1
	s_delay_alu instid0(SALU_CYCLE_1) | instskip(SKIP_2) | instid1(VALU_DEP_1)
	s_or_b32 exec_lo, exec_lo, s21
	v_lshrrev_b16 v0, 8, v7
	s_mov_b32 s21, exec_lo
	v_cmpx_ne_u16_e32 0, v0
	s_cbranch_execz .LBB354_259
; %bb.252:                              ;   in Loop: Header=BB354_16 Depth=1
	v_bfrev_b32_e32 v144, 1
	s_mov_b32 s22, exec_lo
	v_cmpx_ne_u16_e32 0x80, v0
	s_cbranch_execz .LBB354_258
; %bb.253:                              ;   in Loop: Header=BB354_16 Depth=1
	v_and_b32_e32 v0, 0xffff, v0
	v_mov_b32_e32 v144, 0x7fc02000
	s_mov_b32 s23, exec_lo
	s_delay_alu instid0(VALU_DEP_2) | instskip(NEXT) | instid1(VALU_DEP_1)
	v_and_b32_e32 v2, 0x7f, v0
	v_cmpx_ne_u32_e32 0x7f, v2
	s_cbranch_execz .LBB354_257
; %bb.254:                              ;   in Loop: Header=BB354_16 Depth=1
	v_and_b32_e32 v7, 7, v0
	v_lshrrev_b32_e32 v1, 3, v2
	v_mov_b32_e32 v36, v8
	s_mov_b32 s24, exec_lo
	s_delay_alu instid0(VALU_DEP_3)
	v_mov_b32_e32 v35, v7
	v_cmpx_gt_u32_e32 8, v2
; %bb.255:                              ;   in Loop: Header=BB354_16 Depth=1
	v_clz_i32_u32_e32 v1, v7
	s_delay_alu instid0(VALU_DEP_1) | instskip(NEXT) | instid1(VALU_DEP_1)
	v_min_u32_e32 v1, 32, v1
	v_subrev_nc_u32_e32 v2, 28, v1
	v_sub_nc_u32_e32 v1, 29, v1
	s_delay_alu instid0(VALU_DEP_2) | instskip(NEXT) | instid1(VALU_DEP_1)
	v_lshlrev_b64 v[2:3], v2, v[7:8]
	v_and_b32_e32 v35, 7, v2
; %bb.256:                              ;   in Loop: Header=BB354_16 Depth=1
	s_or_b32 exec_lo, exec_lo, s24
	v_lshlrev_b32_e32 v0, 8, v0
	v_lshl_add_u32 v1, v1, 10, 0x2000
	s_delay_alu instid0(VALU_DEP_1) | instskip(NEXT) | instid1(VALU_DEP_1)
	v_and_or_b32 v0, 0x8000, v0, v1
	v_lshl_or_b32 v0, v35, 7, v0
	s_delay_alu instid0(VALU_DEP_1)
	v_cvt_f32_f16_e64 v144, v0
.LBB354_257:                            ;   in Loop: Header=BB354_16 Depth=1
	s_or_b32 exec_lo, exec_lo, s23
.LBB354_258:                            ;   in Loop: Header=BB354_16 Depth=1
	s_delay_alu instid0(SALU_CYCLE_1)
	s_or_b32 exec_lo, exec_lo, s22
.LBB354_259:                            ;   in Loop: Header=BB354_16 Depth=1
	s_delay_alu instid0(SALU_CYCLE_1) | instskip(SKIP_3) | instid1(VALU_DEP_2)
	s_or_b32 exec_lo, exec_lo, s21
	v_lshrrev_b32_e32 v0, 16, v34
	v_mov_b32_e32 v146, 0
	s_mov_b32 s21, exec_lo
	v_dual_mov_b32 v68, 0 :: v_dual_and_b32 v1, 0xff, v0
	s_delay_alu instid0(VALU_DEP_1)
	v_cmpx_ne_u16_e32 0, v1
	s_cbranch_execz .LBB354_267
; %bb.260:                              ;   in Loop: Header=BB354_16 Depth=1
	v_bfrev_b32_e32 v146, 1
	s_mov_b32 s22, exec_lo
	v_cmpx_ne_u16_e32 0x80, v1
	s_cbranch_execz .LBB354_266
; %bb.261:                              ;   in Loop: Header=BB354_16 Depth=1
	v_bfe_u32 v2, v34, 16, 7
	v_mov_b32_e32 v146, 0x7fc02000
	s_mov_b32 s23, exec_lo
	s_delay_alu instid0(VALU_DEP_2)
	v_cmpx_ne_u32_e32 0x7f, v2
	s_cbranch_execz .LBB354_265
; %bb.262:                              ;   in Loop: Header=BB354_16 Depth=1
	v_and_b32_e32 v7, 7, v0
	v_lshrrev_b32_e32 v1, 3, v2
	v_mov_b32_e32 v36, v8
	s_mov_b32 s24, exec_lo
	s_delay_alu instid0(VALU_DEP_3)
	v_mov_b32_e32 v35, v7
	v_cmpx_gt_u32_e32 8, v2
; %bb.263:                              ;   in Loop: Header=BB354_16 Depth=1
	v_clz_i32_u32_e32 v1, v7
	s_delay_alu instid0(VALU_DEP_1) | instskip(NEXT) | instid1(VALU_DEP_1)
	v_min_u32_e32 v1, 32, v1
	v_subrev_nc_u32_e32 v2, 28, v1
	v_sub_nc_u32_e32 v1, 29, v1
	s_delay_alu instid0(VALU_DEP_2) | instskip(NEXT) | instid1(VALU_DEP_1)
	v_lshlrev_b64 v[2:3], v2, v[7:8]
	v_and_b32_e32 v35, 7, v2
; %bb.264:                              ;   in Loop: Header=BB354_16 Depth=1
	s_or_b32 exec_lo, exec_lo, s24
	v_lshlrev_b32_e32 v0, 8, v0
	v_lshl_add_u32 v1, v1, 10, 0x2000
	s_delay_alu instid0(VALU_DEP_1) | instskip(NEXT) | instid1(VALU_DEP_1)
	v_and_or_b32 v0, 0x8000, v0, v1
	v_lshl_or_b32 v0, v35, 7, v0
	s_delay_alu instid0(VALU_DEP_1)
	v_cvt_f32_f16_e64 v146, v0
.LBB354_265:                            ;   in Loop: Header=BB354_16 Depth=1
	s_or_b32 exec_lo, exec_lo, s23
.LBB354_266:                            ;   in Loop: Header=BB354_16 Depth=1
	s_delay_alu instid0(SALU_CYCLE_1)
	s_or_b32 exec_lo, exec_lo, s22
.LBB354_267:                            ;   in Loop: Header=BB354_16 Depth=1
	s_delay_alu instid0(SALU_CYCLE_1) | instskip(NEXT) | instid1(SALU_CYCLE_1)
	s_or_b32 exec_lo, exec_lo, s21
	s_mov_b32 s21, exec_lo
	v_cmpx_lt_u64_e64 s[8:9], v[33:34]
	s_cbranch_execz .LBB354_275
; %bb.268:                              ;   in Loop: Header=BB354_16 Depth=1
	v_lshrrev_b32_e32 v0, 24, v34
	v_bfrev_b32_e32 v68, 1
	s_mov_b32 s22, exec_lo
	s_delay_alu instid0(VALU_DEP_2)
	v_cmpx_ne_u32_e32 0x80, v0
	s_cbranch_execz .LBB354_274
; %bb.269:                              ;   in Loop: Header=BB354_16 Depth=1
	v_and_b32_e32 v2, 0x7f, v0
	v_mov_b32_e32 v68, 0x7fc02000
	s_mov_b32 s23, exec_lo
	s_delay_alu instid0(VALU_DEP_2)
	v_cmpx_ne_u32_e32 0x7f, v2
	s_cbranch_execz .LBB354_273
; %bb.270:                              ;   in Loop: Header=BB354_16 Depth=1
	v_and_b32_e32 v7, 7, v0
	v_lshrrev_b32_e32 v1, 3, v2
	v_mov_b32_e32 v34, v8
	s_mov_b32 s24, exec_lo
	s_delay_alu instid0(VALU_DEP_3)
	v_mov_b32_e32 v33, v7
	v_cmpx_gt_u32_e32 8, v2
; %bb.271:                              ;   in Loop: Header=BB354_16 Depth=1
	v_clz_i32_u32_e32 v1, v7
	s_delay_alu instid0(VALU_DEP_1) | instskip(NEXT) | instid1(VALU_DEP_1)
	v_min_u32_e32 v1, 32, v1
	v_subrev_nc_u32_e32 v2, 28, v1
	v_sub_nc_u32_e32 v1, 29, v1
	s_delay_alu instid0(VALU_DEP_2) | instskip(NEXT) | instid1(VALU_DEP_1)
	v_lshlrev_b64 v[2:3], v2, v[7:8]
	v_and_b32_e32 v33, 7, v2
; %bb.272:                              ;   in Loop: Header=BB354_16 Depth=1
	s_or_b32 exec_lo, exec_lo, s24
	v_lshlrev_b32_e32 v0, 8, v0
	v_lshl_add_u32 v1, v1, 10, 0x2000
	s_delay_alu instid0(VALU_DEP_1) | instskip(NEXT) | instid1(VALU_DEP_1)
	v_and_or_b32 v0, 0x8000, v0, v1
	v_lshl_or_b32 v0, v33, 7, v0
	s_delay_alu instid0(VALU_DEP_1)
	v_cvt_f32_f16_e32 v68, v0
.LBB354_273:                            ;   in Loop: Header=BB354_16 Depth=1
	s_or_b32 exec_lo, exec_lo, s23
.LBB354_274:                            ;   in Loop: Header=BB354_16 Depth=1
	s_delay_alu instid0(SALU_CYCLE_1)
	s_or_b32 exec_lo, exec_lo, s22
.LBB354_275:                            ;   in Loop: Header=BB354_16 Depth=1
	s_delay_alu instid0(SALU_CYCLE_1)
	s_or_b32 exec_lo, exec_lo, s21
	flat_load_b64 v[33:34], v[31:32] offset:1024
	v_mov_b32_e32 v148, 0
	s_mov_b32 s21, exec_lo
	s_waitcnt vmcnt(0) lgkmcnt(0)
	v_dual_mov_b32 v147, 0 :: v_dual_and_b32 v0, 0xff, v33
	s_delay_alu instid0(VALU_DEP_1)
	v_cmpx_ne_u16_e32 0, v0
	s_cbranch_execz .LBB354_283
; %bb.276:                              ;   in Loop: Header=BB354_16 Depth=1
	v_bfrev_b32_e32 v147, 1
	s_mov_b32 s22, exec_lo
	v_cmpx_ne_u16_e32 0x80, v0
	s_cbranch_execz .LBB354_282
; %bb.277:                              ;   in Loop: Header=BB354_16 Depth=1
	v_and_b32_e32 v1, 0x7f, v33
	v_mov_b32_e32 v147, 0x7fc02000
	s_mov_b32 s23, exec_lo
	s_delay_alu instid0(VALU_DEP_2)
	v_cmpx_ne_u32_e32 0x7f, v1
	s_cbranch_execz .LBB354_281
; %bb.278:                              ;   in Loop: Header=BB354_16 Depth=1
	v_lshrrev_b32_e32 v0, 3, v1
	v_dual_mov_b32 v36, v34 :: v_dual_mov_b32 v35, v33
	s_mov_b32 s24, exec_lo
	v_cmpx_gt_u32_e32 8, v1
; %bb.279:                              ;   in Loop: Header=BB354_16 Depth=1
	v_and_b32_e32 v0, 7, v33
	s_delay_alu instid0(VALU_DEP_1) | instskip(NEXT) | instid1(VALU_DEP_1)
	v_clz_i32_u32_e32 v0, v0
	v_min_u32_e32 v0, 32, v0
	s_delay_alu instid0(VALU_DEP_1) | instskip(SKIP_1) | instid1(VALU_DEP_2)
	v_subrev_nc_u32_e32 v1, 28, v0
	v_sub_nc_u32_e32 v0, 29, v0
	v_lshlrev_b64 v[35:36], v1, v[33:34]
; %bb.280:                              ;   in Loop: Header=BB354_16 Depth=1
	s_or_b32 exec_lo, exec_lo, s24
	v_lshlrev_b32_e32 v1, 8, v33
	s_delay_alu instid0(VALU_DEP_3) | instskip(NEXT) | instid1(VALU_DEP_3)
	v_lshl_add_u32 v0, v0, 10, 0x2000
	v_lshlrev_b32_e32 v2, 7, v35
	s_delay_alu instid0(VALU_DEP_2) | instskip(NEXT) | instid1(VALU_DEP_1)
	v_and_or_b32 v0, 0x8000, v1, v0
	v_and_or_b32 v0, 0x380, v2, v0
	s_delay_alu instid0(VALU_DEP_1)
	v_cvt_f32_f16_e64 v147, v0
.LBB354_281:                            ;   in Loop: Header=BB354_16 Depth=1
	s_or_b32 exec_lo, exec_lo, s23
.LBB354_282:                            ;   in Loop: Header=BB354_16 Depth=1
	s_delay_alu instid0(SALU_CYCLE_1)
	s_or_b32 exec_lo, exec_lo, s22
.LBB354_283:                            ;   in Loop: Header=BB354_16 Depth=1
	s_delay_alu instid0(SALU_CYCLE_1) | instskip(SKIP_2) | instid1(VALU_DEP_1)
	s_or_b32 exec_lo, exec_lo, s21
	v_lshrrev_b16 v0, 8, v33
	s_mov_b32 s21, exec_lo
	v_cmpx_ne_u16_e32 0, v0
	s_cbranch_execz .LBB354_291
; %bb.284:                              ;   in Loop: Header=BB354_16 Depth=1
	v_bfrev_b32_e32 v148, 1
	s_mov_b32 s22, exec_lo
	v_cmpx_ne_u16_e32 0x80, v0
	s_cbranch_execz .LBB354_290
; %bb.285:                              ;   in Loop: Header=BB354_16 Depth=1
	v_and_b32_e32 v0, 0xffff, v0
	v_mov_b32_e32 v148, 0x7fc02000
	s_mov_b32 s23, exec_lo
	s_delay_alu instid0(VALU_DEP_2) | instskip(NEXT) | instid1(VALU_DEP_1)
	v_and_b32_e32 v2, 0x7f, v0
	v_cmpx_ne_u32_e32 0x7f, v2
	s_cbranch_execz .LBB354_289
; %bb.286:                              ;   in Loop: Header=BB354_16 Depth=1
	v_and_b32_e32 v7, 7, v0
	v_lshrrev_b32_e32 v1, 3, v2
	v_mov_b32_e32 v36, v8
	s_mov_b32 s24, exec_lo
	s_delay_alu instid0(VALU_DEP_3)
	v_mov_b32_e32 v35, v7
	v_cmpx_gt_u32_e32 8, v2
; %bb.287:                              ;   in Loop: Header=BB354_16 Depth=1
	v_clz_i32_u32_e32 v1, v7
	s_delay_alu instid0(VALU_DEP_1) | instskip(NEXT) | instid1(VALU_DEP_1)
	v_min_u32_e32 v1, 32, v1
	v_subrev_nc_u32_e32 v2, 28, v1
	v_sub_nc_u32_e32 v1, 29, v1
	s_delay_alu instid0(VALU_DEP_2) | instskip(NEXT) | instid1(VALU_DEP_1)
	v_lshlrev_b64 v[2:3], v2, v[7:8]
	v_and_b32_e32 v35, 7, v2
; %bb.288:                              ;   in Loop: Header=BB354_16 Depth=1
	s_or_b32 exec_lo, exec_lo, s24
	v_lshlrev_b32_e32 v0, 8, v0
	v_lshl_add_u32 v1, v1, 10, 0x2000
	s_delay_alu instid0(VALU_DEP_1) | instskip(NEXT) | instid1(VALU_DEP_1)
	v_and_or_b32 v0, 0x8000, v0, v1
	v_lshl_or_b32 v0, v35, 7, v0
	s_delay_alu instid0(VALU_DEP_1)
	v_cvt_f32_f16_e64 v148, v0
.LBB354_289:                            ;   in Loop: Header=BB354_16 Depth=1
	s_or_b32 exec_lo, exec_lo, s23
.LBB354_290:                            ;   in Loop: Header=BB354_16 Depth=1
	s_delay_alu instid0(SALU_CYCLE_1)
	s_or_b32 exec_lo, exec_lo, s22
.LBB354_291:                            ;   in Loop: Header=BB354_16 Depth=1
	s_delay_alu instid0(SALU_CYCLE_1) | instskip(SKIP_3) | instid1(VALU_DEP_2)
	s_or_b32 exec_lo, exec_lo, s21
	v_lshrrev_b32_e32 v0, 16, v33
	v_mov_b32_e32 v149, 0
	s_mov_b32 s21, exec_lo
	v_dual_mov_b32 v150, 0 :: v_dual_and_b32 v1, 0xff, v0
	s_delay_alu instid0(VALU_DEP_1)
	v_cmpx_ne_u16_e32 0, v1
	s_cbranch_execz .LBB354_299
; %bb.292:                              ;   in Loop: Header=BB354_16 Depth=1
	v_bfrev_b32_e32 v149, 1
	s_mov_b32 s22, exec_lo
	v_cmpx_ne_u16_e32 0x80, v1
	s_cbranch_execz .LBB354_298
; %bb.293:                              ;   in Loop: Header=BB354_16 Depth=1
	v_bfe_u32 v2, v33, 16, 7
	v_mov_b32_e32 v149, 0x7fc02000
	s_mov_b32 s23, exec_lo
	s_delay_alu instid0(VALU_DEP_2)
	v_cmpx_ne_u32_e32 0x7f, v2
	s_cbranch_execz .LBB354_297
; %bb.294:                              ;   in Loop: Header=BB354_16 Depth=1
	v_and_b32_e32 v7, 7, v0
	v_lshrrev_b32_e32 v1, 3, v2
	v_mov_b32_e32 v36, v8
	s_mov_b32 s24, exec_lo
	s_delay_alu instid0(VALU_DEP_3)
	v_mov_b32_e32 v35, v7
	v_cmpx_gt_u32_e32 8, v2
; %bb.295:                              ;   in Loop: Header=BB354_16 Depth=1
	v_clz_i32_u32_e32 v1, v7
	s_delay_alu instid0(VALU_DEP_1) | instskip(NEXT) | instid1(VALU_DEP_1)
	v_min_u32_e32 v1, 32, v1
	v_subrev_nc_u32_e32 v2, 28, v1
	v_sub_nc_u32_e32 v1, 29, v1
	s_delay_alu instid0(VALU_DEP_2) | instskip(NEXT) | instid1(VALU_DEP_1)
	v_lshlrev_b64 v[2:3], v2, v[7:8]
	v_and_b32_e32 v35, 7, v2
; %bb.296:                              ;   in Loop: Header=BB354_16 Depth=1
	s_or_b32 exec_lo, exec_lo, s24
	v_lshlrev_b32_e32 v0, 8, v0
	v_lshl_add_u32 v1, v1, 10, 0x2000
	s_delay_alu instid0(VALU_DEP_1) | instskip(NEXT) | instid1(VALU_DEP_1)
	v_and_or_b32 v0, 0x8000, v0, v1
	v_lshl_or_b32 v0, v35, 7, v0
	s_delay_alu instid0(VALU_DEP_1)
	v_cvt_f32_f16_e64 v149, v0
.LBB354_297:                            ;   in Loop: Header=BB354_16 Depth=1
	s_or_b32 exec_lo, exec_lo, s23
.LBB354_298:                            ;   in Loop: Header=BB354_16 Depth=1
	s_delay_alu instid0(SALU_CYCLE_1)
	s_or_b32 exec_lo, exec_lo, s22
.LBB354_299:                            ;   in Loop: Header=BB354_16 Depth=1
	s_delay_alu instid0(SALU_CYCLE_1) | instskip(NEXT) | instid1(SALU_CYCLE_1)
	s_or_b32 exec_lo, exec_lo, s21
	s_mov_b32 s21, exec_lo
	v_cmpx_lt_u32_e32 0xffffff, v33
	s_cbranch_execz .LBB354_307
; %bb.300:                              ;   in Loop: Header=BB354_16 Depth=1
	v_lshrrev_b32_e32 v0, 24, v33
	v_bfrev_b32_e32 v150, 1
	s_mov_b32 s22, exec_lo
	s_delay_alu instid0(VALU_DEP_2)
	v_cmpx_ne_u32_e32 0x80, v0
	s_cbranch_execz .LBB354_306
; %bb.301:                              ;   in Loop: Header=BB354_16 Depth=1
	v_and_b32_e32 v2, 0x7f, v0
	v_mov_b32_e32 v150, 0x7fc02000
	s_mov_b32 s23, exec_lo
	s_delay_alu instid0(VALU_DEP_2)
	v_cmpx_ne_u32_e32 0x7f, v2
	s_cbranch_execz .LBB354_305
; %bb.302:                              ;   in Loop: Header=BB354_16 Depth=1
	v_and_b32_e32 v7, 7, v0
	v_lshrrev_b32_e32 v1, 3, v2
	v_mov_b32_e32 v36, v8
	s_mov_b32 s24, exec_lo
	s_delay_alu instid0(VALU_DEP_3)
	v_mov_b32_e32 v35, v7
	v_cmpx_gt_u32_e32 8, v2
; %bb.303:                              ;   in Loop: Header=BB354_16 Depth=1
	v_clz_i32_u32_e32 v1, v7
	s_delay_alu instid0(VALU_DEP_1) | instskip(NEXT) | instid1(VALU_DEP_1)
	v_min_u32_e32 v1, 32, v1
	v_subrev_nc_u32_e32 v2, 28, v1
	v_sub_nc_u32_e32 v1, 29, v1
	s_delay_alu instid0(VALU_DEP_2) | instskip(NEXT) | instid1(VALU_DEP_1)
	v_lshlrev_b64 v[2:3], v2, v[7:8]
	v_and_b32_e32 v35, 7, v2
; %bb.304:                              ;   in Loop: Header=BB354_16 Depth=1
	s_or_b32 exec_lo, exec_lo, s24
	v_lshlrev_b32_e32 v0, 8, v0
	v_lshl_add_u32 v1, v1, 10, 0x2000
	s_delay_alu instid0(VALU_DEP_1) | instskip(NEXT) | instid1(VALU_DEP_1)
	v_and_or_b32 v0, 0x8000, v0, v1
	v_lshl_or_b32 v0, v35, 7, v0
	s_delay_alu instid0(VALU_DEP_1)
	v_cvt_f32_f16_e64 v150, v0
.LBB354_305:                            ;   in Loop: Header=BB354_16 Depth=1
	s_or_b32 exec_lo, exec_lo, s23
.LBB354_306:                            ;   in Loop: Header=BB354_16 Depth=1
	s_delay_alu instid0(SALU_CYCLE_1)
	s_or_b32 exec_lo, exec_lo, s22
.LBB354_307:                            ;   in Loop: Header=BB354_16 Depth=1
	s_delay_alu instid0(SALU_CYCLE_1) | instskip(SKIP_3) | instid1(VALU_DEP_2)
	s_or_b32 exec_lo, exec_lo, s21
	v_dual_mov_b32 v7, v34 :: v_dual_and_b32 v0, 0xff, v34
	v_dual_mov_b32 v160, 0 :: v_dual_mov_b32 v151, 0
	s_mov_b32 s21, exec_lo
	v_cmpx_ne_u16_e32 0, v0
	s_cbranch_execz .LBB354_315
; %bb.308:                              ;   in Loop: Header=BB354_16 Depth=1
	v_bfrev_b32_e32 v151, 1
	s_mov_b32 s22, exec_lo
	v_cmpx_ne_u16_e32 0x80, v0
	s_cbranch_execz .LBB354_314
; %bb.309:                              ;   in Loop: Header=BB354_16 Depth=1
	v_and_b32_e32 v1, 0x7f, v34
	v_mov_b32_e32 v151, 0x7fc02000
	s_mov_b32 s23, exec_lo
	s_delay_alu instid0(VALU_DEP_2)
	v_cmpx_ne_u32_e32 0x7f, v1
	s_cbranch_execz .LBB354_313
; %bb.310:                              ;   in Loop: Header=BB354_16 Depth=1
	v_lshrrev_b32_e32 v0, 3, v1
	v_dual_mov_b32 v36, v8 :: v_dual_mov_b32 v35, v7
	s_mov_b32 s24, exec_lo
	v_cmpx_gt_u32_e32 8, v1
; %bb.311:                              ;   in Loop: Header=BB354_16 Depth=1
	v_and_b32_e32 v0, 7, v34
	s_delay_alu instid0(VALU_DEP_1) | instskip(NEXT) | instid1(VALU_DEP_1)
	v_clz_i32_u32_e32 v0, v0
	v_min_u32_e32 v0, 32, v0
	s_delay_alu instid0(VALU_DEP_1) | instskip(SKIP_1) | instid1(VALU_DEP_2)
	v_subrev_nc_u32_e32 v1, 28, v0
	v_sub_nc_u32_e32 v0, 29, v0
	v_lshlrev_b64 v[35:36], v1, v[7:8]
; %bb.312:                              ;   in Loop: Header=BB354_16 Depth=1
	s_or_b32 exec_lo, exec_lo, s24
	v_lshlrev_b32_e32 v1, 8, v34
	s_delay_alu instid0(VALU_DEP_3) | instskip(NEXT) | instid1(VALU_DEP_3)
	v_lshl_add_u32 v0, v0, 10, 0x2000
	v_lshlrev_b32_e32 v2, 7, v35
	s_delay_alu instid0(VALU_DEP_2) | instskip(NEXT) | instid1(VALU_DEP_1)
	v_and_or_b32 v0, 0x8000, v1, v0
	v_and_or_b32 v0, 0x380, v2, v0
	s_delay_alu instid0(VALU_DEP_1)
	v_cvt_f32_f16_e64 v151, v0
.LBB354_313:                            ;   in Loop: Header=BB354_16 Depth=1
	s_or_b32 exec_lo, exec_lo, s23
.LBB354_314:                            ;   in Loop: Header=BB354_16 Depth=1
	s_delay_alu instid0(SALU_CYCLE_1)
	s_or_b32 exec_lo, exec_lo, s22
.LBB354_315:                            ;   in Loop: Header=BB354_16 Depth=1
	s_delay_alu instid0(SALU_CYCLE_1) | instskip(SKIP_2) | instid1(VALU_DEP_1)
	s_or_b32 exec_lo, exec_lo, s21
	v_lshrrev_b16 v0, 8, v7
	s_mov_b32 s21, exec_lo
	v_cmpx_ne_u16_e32 0, v0
	s_cbranch_execz .LBB354_323
; %bb.316:                              ;   in Loop: Header=BB354_16 Depth=1
	v_bfrev_b32_e32 v160, 1
	s_mov_b32 s22, exec_lo
	v_cmpx_ne_u16_e32 0x80, v0
	s_cbranch_execz .LBB354_322
; %bb.317:                              ;   in Loop: Header=BB354_16 Depth=1
	v_and_b32_e32 v0, 0xffff, v0
	v_mov_b32_e32 v160, 0x7fc02000
	s_mov_b32 s23, exec_lo
	s_delay_alu instid0(VALU_DEP_2) | instskip(NEXT) | instid1(VALU_DEP_1)
	v_and_b32_e32 v2, 0x7f, v0
	v_cmpx_ne_u32_e32 0x7f, v2
	s_cbranch_execz .LBB354_321
; %bb.318:                              ;   in Loop: Header=BB354_16 Depth=1
	v_and_b32_e32 v7, 7, v0
	v_lshrrev_b32_e32 v1, 3, v2
	v_mov_b32_e32 v36, v8
	s_mov_b32 s24, exec_lo
	s_delay_alu instid0(VALU_DEP_3)
	v_mov_b32_e32 v35, v7
	v_cmpx_gt_u32_e32 8, v2
; %bb.319:                              ;   in Loop: Header=BB354_16 Depth=1
	v_clz_i32_u32_e32 v1, v7
	s_delay_alu instid0(VALU_DEP_1) | instskip(NEXT) | instid1(VALU_DEP_1)
	v_min_u32_e32 v1, 32, v1
	v_subrev_nc_u32_e32 v2, 28, v1
	v_sub_nc_u32_e32 v1, 29, v1
	s_delay_alu instid0(VALU_DEP_2) | instskip(NEXT) | instid1(VALU_DEP_1)
	v_lshlrev_b64 v[2:3], v2, v[7:8]
	v_and_b32_e32 v35, 7, v2
; %bb.320:                              ;   in Loop: Header=BB354_16 Depth=1
	s_or_b32 exec_lo, exec_lo, s24
	v_lshlrev_b32_e32 v0, 8, v0
	v_lshl_add_u32 v1, v1, 10, 0x2000
	s_delay_alu instid0(VALU_DEP_1) | instskip(NEXT) | instid1(VALU_DEP_1)
	v_and_or_b32 v0, 0x8000, v0, v1
	v_lshl_or_b32 v0, v35, 7, v0
	s_delay_alu instid0(VALU_DEP_1)
	v_cvt_f32_f16_e64 v160, v0
.LBB354_321:                            ;   in Loop: Header=BB354_16 Depth=1
	s_or_b32 exec_lo, exec_lo, s23
.LBB354_322:                            ;   in Loop: Header=BB354_16 Depth=1
	s_delay_alu instid0(SALU_CYCLE_1)
	s_or_b32 exec_lo, exec_lo, s22
.LBB354_323:                            ;   in Loop: Header=BB354_16 Depth=1
	s_delay_alu instid0(SALU_CYCLE_1) | instskip(SKIP_3) | instid1(VALU_DEP_2)
	s_or_b32 exec_lo, exec_lo, s21
	v_lshrrev_b32_e32 v0, 16, v34
	v_mov_b32_e32 v161, 0
	s_mov_b32 s21, exec_lo
	v_dual_mov_b32 v162, 0 :: v_dual_and_b32 v1, 0xff, v0
	s_delay_alu instid0(VALU_DEP_1)
	v_cmpx_ne_u16_e32 0, v1
	s_cbranch_execz .LBB354_331
; %bb.324:                              ;   in Loop: Header=BB354_16 Depth=1
	v_bfrev_b32_e32 v162, 1
	s_mov_b32 s22, exec_lo
	v_cmpx_ne_u16_e32 0x80, v1
	s_cbranch_execz .LBB354_330
; %bb.325:                              ;   in Loop: Header=BB354_16 Depth=1
	v_bfe_u32 v2, v34, 16, 7
	v_mov_b32_e32 v162, 0x7fc02000
	s_mov_b32 s23, exec_lo
	s_delay_alu instid0(VALU_DEP_2)
	v_cmpx_ne_u32_e32 0x7f, v2
	s_cbranch_execz .LBB354_329
; %bb.326:                              ;   in Loop: Header=BB354_16 Depth=1
	v_and_b32_e32 v7, 7, v0
	v_lshrrev_b32_e32 v1, 3, v2
	v_mov_b32_e32 v36, v8
	s_mov_b32 s24, exec_lo
	s_delay_alu instid0(VALU_DEP_3)
	v_mov_b32_e32 v35, v7
	v_cmpx_gt_u32_e32 8, v2
; %bb.327:                              ;   in Loop: Header=BB354_16 Depth=1
	v_clz_i32_u32_e32 v1, v7
	s_delay_alu instid0(VALU_DEP_1) | instskip(NEXT) | instid1(VALU_DEP_1)
	v_min_u32_e32 v1, 32, v1
	v_subrev_nc_u32_e32 v2, 28, v1
	v_sub_nc_u32_e32 v1, 29, v1
	s_delay_alu instid0(VALU_DEP_2) | instskip(NEXT) | instid1(VALU_DEP_1)
	v_lshlrev_b64 v[2:3], v2, v[7:8]
	v_and_b32_e32 v35, 7, v2
; %bb.328:                              ;   in Loop: Header=BB354_16 Depth=1
	s_or_b32 exec_lo, exec_lo, s24
	v_lshlrev_b32_e32 v0, 8, v0
	v_lshl_add_u32 v1, v1, 10, 0x2000
	s_delay_alu instid0(VALU_DEP_1) | instskip(NEXT) | instid1(VALU_DEP_1)
	v_and_or_b32 v0, 0x8000, v0, v1
	v_lshl_or_b32 v0, v35, 7, v0
	s_delay_alu instid0(VALU_DEP_1)
	v_cvt_f32_f16_e64 v162, v0
.LBB354_329:                            ;   in Loop: Header=BB354_16 Depth=1
	s_or_b32 exec_lo, exec_lo, s23
.LBB354_330:                            ;   in Loop: Header=BB354_16 Depth=1
	s_delay_alu instid0(SALU_CYCLE_1)
	s_or_b32 exec_lo, exec_lo, s22
.LBB354_331:                            ;   in Loop: Header=BB354_16 Depth=1
	s_delay_alu instid0(SALU_CYCLE_1) | instskip(NEXT) | instid1(SALU_CYCLE_1)
	s_or_b32 exec_lo, exec_lo, s21
	s_mov_b32 s21, exec_lo
	v_cmpx_lt_u64_e64 s[8:9], v[33:34]
	s_cbranch_execz .LBB354_339
; %bb.332:                              ;   in Loop: Header=BB354_16 Depth=1
	v_lshrrev_b32_e32 v0, 24, v34
	v_bfrev_b32_e32 v161, 1
	s_mov_b32 s22, exec_lo
	s_delay_alu instid0(VALU_DEP_2)
	v_cmpx_ne_u32_e32 0x80, v0
	s_cbranch_execz .LBB354_338
; %bb.333:                              ;   in Loop: Header=BB354_16 Depth=1
	v_and_b32_e32 v2, 0x7f, v0
	v_mov_b32_e32 v161, 0x7fc02000
	s_mov_b32 s23, exec_lo
	s_delay_alu instid0(VALU_DEP_2)
	v_cmpx_ne_u32_e32 0x7f, v2
	s_cbranch_execz .LBB354_337
; %bb.334:                              ;   in Loop: Header=BB354_16 Depth=1
	v_and_b32_e32 v7, 7, v0
	v_lshrrev_b32_e32 v1, 3, v2
	v_mov_b32_e32 v34, v8
	s_mov_b32 s24, exec_lo
	s_delay_alu instid0(VALU_DEP_3)
	v_mov_b32_e32 v33, v7
	v_cmpx_gt_u32_e32 8, v2
; %bb.335:                              ;   in Loop: Header=BB354_16 Depth=1
	v_clz_i32_u32_e32 v1, v7
	s_delay_alu instid0(VALU_DEP_1) | instskip(NEXT) | instid1(VALU_DEP_1)
	v_min_u32_e32 v1, 32, v1
	v_subrev_nc_u32_e32 v2, 28, v1
	v_sub_nc_u32_e32 v1, 29, v1
	s_delay_alu instid0(VALU_DEP_2) | instskip(NEXT) | instid1(VALU_DEP_1)
	v_lshlrev_b64 v[2:3], v2, v[7:8]
	v_and_b32_e32 v33, 7, v2
; %bb.336:                              ;   in Loop: Header=BB354_16 Depth=1
	s_or_b32 exec_lo, exec_lo, s24
	v_lshlrev_b32_e32 v0, 8, v0
	v_lshl_add_u32 v1, v1, 10, 0x2000
	s_delay_alu instid0(VALU_DEP_1) | instskip(NEXT) | instid1(VALU_DEP_1)
	v_and_or_b32 v0, 0x8000, v0, v1
	v_lshl_or_b32 v0, v33, 7, v0
	s_delay_alu instid0(VALU_DEP_1)
	v_cvt_f32_f16_e64 v161, v0
.LBB354_337:                            ;   in Loop: Header=BB354_16 Depth=1
	s_or_b32 exec_lo, exec_lo, s23
.LBB354_338:                            ;   in Loop: Header=BB354_16 Depth=1
	s_delay_alu instid0(SALU_CYCLE_1)
	s_or_b32 exec_lo, exec_lo, s22
.LBB354_339:                            ;   in Loop: Header=BB354_16 Depth=1
	s_delay_alu instid0(SALU_CYCLE_1)
	s_or_b32 exec_lo, exec_lo, s21
	flat_load_b64 v[33:34], v[31:32] offset:1032
	v_mov_b32_e32 v164, 0
	s_mov_b32 s21, exec_lo
	s_waitcnt vmcnt(0) lgkmcnt(0)
	v_dual_mov_b32 v163, 0 :: v_dual_and_b32 v0, 0xff, v33
	s_delay_alu instid0(VALU_DEP_1)
	v_cmpx_ne_u16_e32 0, v0
	s_cbranch_execz .LBB354_347
; %bb.340:                              ;   in Loop: Header=BB354_16 Depth=1
	v_bfrev_b32_e32 v163, 1
	s_mov_b32 s22, exec_lo
	v_cmpx_ne_u16_e32 0x80, v0
	s_cbranch_execz .LBB354_346
; %bb.341:                              ;   in Loop: Header=BB354_16 Depth=1
	v_and_b32_e32 v1, 0x7f, v33
	v_mov_b32_e32 v163, 0x7fc02000
	s_mov_b32 s23, exec_lo
	s_delay_alu instid0(VALU_DEP_2)
	v_cmpx_ne_u32_e32 0x7f, v1
	s_cbranch_execz .LBB354_345
; %bb.342:                              ;   in Loop: Header=BB354_16 Depth=1
	v_lshrrev_b32_e32 v0, 3, v1
	v_dual_mov_b32 v36, v34 :: v_dual_mov_b32 v35, v33
	s_mov_b32 s24, exec_lo
	v_cmpx_gt_u32_e32 8, v1
; %bb.343:                              ;   in Loop: Header=BB354_16 Depth=1
	v_and_b32_e32 v0, 7, v33
	s_delay_alu instid0(VALU_DEP_1) | instskip(NEXT) | instid1(VALU_DEP_1)
	v_clz_i32_u32_e32 v0, v0
	v_min_u32_e32 v0, 32, v0
	s_delay_alu instid0(VALU_DEP_1) | instskip(SKIP_1) | instid1(VALU_DEP_2)
	v_subrev_nc_u32_e32 v1, 28, v0
	v_sub_nc_u32_e32 v0, 29, v0
	v_lshlrev_b64 v[35:36], v1, v[33:34]
; %bb.344:                              ;   in Loop: Header=BB354_16 Depth=1
	s_or_b32 exec_lo, exec_lo, s24
	v_lshlrev_b32_e32 v1, 8, v33
	s_delay_alu instid0(VALU_DEP_3) | instskip(NEXT) | instid1(VALU_DEP_3)
	v_lshl_add_u32 v0, v0, 10, 0x2000
	v_lshlrev_b32_e32 v2, 7, v35
	s_delay_alu instid0(VALU_DEP_2) | instskip(NEXT) | instid1(VALU_DEP_1)
	v_and_or_b32 v0, 0x8000, v1, v0
	v_and_or_b32 v0, 0x380, v2, v0
	s_delay_alu instid0(VALU_DEP_1)
	v_cvt_f32_f16_e64 v163, v0
.LBB354_345:                            ;   in Loop: Header=BB354_16 Depth=1
	s_or_b32 exec_lo, exec_lo, s23
.LBB354_346:                            ;   in Loop: Header=BB354_16 Depth=1
	s_delay_alu instid0(SALU_CYCLE_1)
	s_or_b32 exec_lo, exec_lo, s22
.LBB354_347:                            ;   in Loop: Header=BB354_16 Depth=1
	s_delay_alu instid0(SALU_CYCLE_1) | instskip(SKIP_2) | instid1(VALU_DEP_1)
	s_or_b32 exec_lo, exec_lo, s21
	v_lshrrev_b16 v0, 8, v33
	s_mov_b32 s21, exec_lo
	v_cmpx_ne_u16_e32 0, v0
	s_cbranch_execz .LBB354_355
; %bb.348:                              ;   in Loop: Header=BB354_16 Depth=1
	v_bfrev_b32_e32 v164, 1
	s_mov_b32 s22, exec_lo
	v_cmpx_ne_u16_e32 0x80, v0
	s_cbranch_execz .LBB354_354
; %bb.349:                              ;   in Loop: Header=BB354_16 Depth=1
	v_and_b32_e32 v0, 0xffff, v0
	v_mov_b32_e32 v164, 0x7fc02000
	s_mov_b32 s23, exec_lo
	s_delay_alu instid0(VALU_DEP_2) | instskip(NEXT) | instid1(VALU_DEP_1)
	v_and_b32_e32 v2, 0x7f, v0
	v_cmpx_ne_u32_e32 0x7f, v2
	s_cbranch_execz .LBB354_353
; %bb.350:                              ;   in Loop: Header=BB354_16 Depth=1
	v_and_b32_e32 v7, 7, v0
	v_lshrrev_b32_e32 v1, 3, v2
	v_mov_b32_e32 v36, v8
	s_mov_b32 s24, exec_lo
	s_delay_alu instid0(VALU_DEP_3)
	v_mov_b32_e32 v35, v7
	v_cmpx_gt_u32_e32 8, v2
; %bb.351:                              ;   in Loop: Header=BB354_16 Depth=1
	v_clz_i32_u32_e32 v1, v7
	s_delay_alu instid0(VALU_DEP_1) | instskip(NEXT) | instid1(VALU_DEP_1)
	v_min_u32_e32 v1, 32, v1
	v_subrev_nc_u32_e32 v2, 28, v1
	v_sub_nc_u32_e32 v1, 29, v1
	s_delay_alu instid0(VALU_DEP_2) | instskip(NEXT) | instid1(VALU_DEP_1)
	v_lshlrev_b64 v[2:3], v2, v[7:8]
	v_and_b32_e32 v35, 7, v2
; %bb.352:                              ;   in Loop: Header=BB354_16 Depth=1
	s_or_b32 exec_lo, exec_lo, s24
	v_lshlrev_b32_e32 v0, 8, v0
	v_lshl_add_u32 v1, v1, 10, 0x2000
	s_delay_alu instid0(VALU_DEP_1) | instskip(NEXT) | instid1(VALU_DEP_1)
	v_and_or_b32 v0, 0x8000, v0, v1
	v_lshl_or_b32 v0, v35, 7, v0
	s_delay_alu instid0(VALU_DEP_1)
	v_cvt_f32_f16_e64 v164, v0
.LBB354_353:                            ;   in Loop: Header=BB354_16 Depth=1
	s_or_b32 exec_lo, exec_lo, s23
.LBB354_354:                            ;   in Loop: Header=BB354_16 Depth=1
	s_delay_alu instid0(SALU_CYCLE_1)
	s_or_b32 exec_lo, exec_lo, s22
.LBB354_355:                            ;   in Loop: Header=BB354_16 Depth=1
	s_delay_alu instid0(SALU_CYCLE_1) | instskip(SKIP_3) | instid1(VALU_DEP_2)
	s_or_b32 exec_lo, exec_lo, s21
	v_lshrrev_b32_e32 v0, 16, v33
	v_mov_b32_e32 v165, 0
	s_mov_b32 s21, exec_lo
	v_dual_mov_b32 v166, 0 :: v_dual_and_b32 v1, 0xff, v0
	s_delay_alu instid0(VALU_DEP_1)
	v_cmpx_ne_u16_e32 0, v1
	s_cbranch_execz .LBB354_363
; %bb.356:                              ;   in Loop: Header=BB354_16 Depth=1
	v_bfrev_b32_e32 v165, 1
	s_mov_b32 s22, exec_lo
	v_cmpx_ne_u16_e32 0x80, v1
	s_cbranch_execz .LBB354_362
; %bb.357:                              ;   in Loop: Header=BB354_16 Depth=1
	v_bfe_u32 v2, v33, 16, 7
	v_mov_b32_e32 v165, 0x7fc02000
	s_mov_b32 s23, exec_lo
	s_delay_alu instid0(VALU_DEP_2)
	v_cmpx_ne_u32_e32 0x7f, v2
	s_cbranch_execz .LBB354_361
; %bb.358:                              ;   in Loop: Header=BB354_16 Depth=1
	v_and_b32_e32 v7, 7, v0
	v_lshrrev_b32_e32 v1, 3, v2
	v_mov_b32_e32 v36, v8
	s_mov_b32 s24, exec_lo
	s_delay_alu instid0(VALU_DEP_3)
	v_mov_b32_e32 v35, v7
	v_cmpx_gt_u32_e32 8, v2
; %bb.359:                              ;   in Loop: Header=BB354_16 Depth=1
	v_clz_i32_u32_e32 v1, v7
	s_delay_alu instid0(VALU_DEP_1) | instskip(NEXT) | instid1(VALU_DEP_1)
	v_min_u32_e32 v1, 32, v1
	v_subrev_nc_u32_e32 v2, 28, v1
	v_sub_nc_u32_e32 v1, 29, v1
	s_delay_alu instid0(VALU_DEP_2) | instskip(NEXT) | instid1(VALU_DEP_1)
	v_lshlrev_b64 v[2:3], v2, v[7:8]
	v_and_b32_e32 v35, 7, v2
; %bb.360:                              ;   in Loop: Header=BB354_16 Depth=1
	s_or_b32 exec_lo, exec_lo, s24
	v_lshlrev_b32_e32 v0, 8, v0
	v_lshl_add_u32 v1, v1, 10, 0x2000
	s_delay_alu instid0(VALU_DEP_1) | instskip(NEXT) | instid1(VALU_DEP_1)
	v_and_or_b32 v0, 0x8000, v0, v1
	v_lshl_or_b32 v0, v35, 7, v0
	s_delay_alu instid0(VALU_DEP_1)
	v_cvt_f32_f16_e64 v165, v0
.LBB354_361:                            ;   in Loop: Header=BB354_16 Depth=1
	s_or_b32 exec_lo, exec_lo, s23
.LBB354_362:                            ;   in Loop: Header=BB354_16 Depth=1
	s_delay_alu instid0(SALU_CYCLE_1)
	s_or_b32 exec_lo, exec_lo, s22
.LBB354_363:                            ;   in Loop: Header=BB354_16 Depth=1
	s_delay_alu instid0(SALU_CYCLE_1) | instskip(NEXT) | instid1(SALU_CYCLE_1)
	s_or_b32 exec_lo, exec_lo, s21
	s_mov_b32 s21, exec_lo
	v_cmpx_lt_u32_e32 0xffffff, v33
	s_cbranch_execz .LBB354_371
; %bb.364:                              ;   in Loop: Header=BB354_16 Depth=1
	v_lshrrev_b32_e32 v0, 24, v33
	v_bfrev_b32_e32 v166, 1
	s_mov_b32 s22, exec_lo
	s_delay_alu instid0(VALU_DEP_2)
	v_cmpx_ne_u32_e32 0x80, v0
	s_cbranch_execz .LBB354_370
; %bb.365:                              ;   in Loop: Header=BB354_16 Depth=1
	v_and_b32_e32 v2, 0x7f, v0
	v_mov_b32_e32 v166, 0x7fc02000
	s_mov_b32 s23, exec_lo
	s_delay_alu instid0(VALU_DEP_2)
	v_cmpx_ne_u32_e32 0x7f, v2
	s_cbranch_execz .LBB354_369
; %bb.366:                              ;   in Loop: Header=BB354_16 Depth=1
	v_and_b32_e32 v7, 7, v0
	v_lshrrev_b32_e32 v1, 3, v2
	v_mov_b32_e32 v36, v8
	s_mov_b32 s24, exec_lo
	s_delay_alu instid0(VALU_DEP_3)
	v_mov_b32_e32 v35, v7
	v_cmpx_gt_u32_e32 8, v2
; %bb.367:                              ;   in Loop: Header=BB354_16 Depth=1
	v_clz_i32_u32_e32 v1, v7
	s_delay_alu instid0(VALU_DEP_1) | instskip(NEXT) | instid1(VALU_DEP_1)
	v_min_u32_e32 v1, 32, v1
	v_subrev_nc_u32_e32 v2, 28, v1
	v_sub_nc_u32_e32 v1, 29, v1
	s_delay_alu instid0(VALU_DEP_2) | instskip(NEXT) | instid1(VALU_DEP_1)
	v_lshlrev_b64 v[2:3], v2, v[7:8]
	v_and_b32_e32 v35, 7, v2
; %bb.368:                              ;   in Loop: Header=BB354_16 Depth=1
	s_or_b32 exec_lo, exec_lo, s24
	v_lshlrev_b32_e32 v0, 8, v0
	v_lshl_add_u32 v1, v1, 10, 0x2000
	s_delay_alu instid0(VALU_DEP_1) | instskip(NEXT) | instid1(VALU_DEP_1)
	v_and_or_b32 v0, 0x8000, v0, v1
	v_lshl_or_b32 v0, v35, 7, v0
	s_delay_alu instid0(VALU_DEP_1)
	v_cvt_f32_f16_e64 v166, v0
.LBB354_369:                            ;   in Loop: Header=BB354_16 Depth=1
	s_or_b32 exec_lo, exec_lo, s23
.LBB354_370:                            ;   in Loop: Header=BB354_16 Depth=1
	s_delay_alu instid0(SALU_CYCLE_1)
	s_or_b32 exec_lo, exec_lo, s22
.LBB354_371:                            ;   in Loop: Header=BB354_16 Depth=1
	s_delay_alu instid0(SALU_CYCLE_1) | instskip(SKIP_3) | instid1(VALU_DEP_2)
	s_or_b32 exec_lo, exec_lo, s21
	v_dual_mov_b32 v7, v34 :: v_dual_and_b32 v0, 0xff, v34
	v_dual_mov_b32 v176, 0 :: v_dual_mov_b32 v167, 0
	s_mov_b32 s21, exec_lo
	v_cmpx_ne_u16_e32 0, v0
	s_cbranch_execz .LBB354_379
; %bb.372:                              ;   in Loop: Header=BB354_16 Depth=1
	v_bfrev_b32_e32 v167, 1
	s_mov_b32 s22, exec_lo
	v_cmpx_ne_u16_e32 0x80, v0
	s_cbranch_execz .LBB354_378
; %bb.373:                              ;   in Loop: Header=BB354_16 Depth=1
	v_and_b32_e32 v1, 0x7f, v34
	v_mov_b32_e32 v167, 0x7fc02000
	s_mov_b32 s23, exec_lo
	s_delay_alu instid0(VALU_DEP_2)
	v_cmpx_ne_u32_e32 0x7f, v1
	s_cbranch_execz .LBB354_377
; %bb.374:                              ;   in Loop: Header=BB354_16 Depth=1
	v_lshrrev_b32_e32 v0, 3, v1
	v_dual_mov_b32 v36, v8 :: v_dual_mov_b32 v35, v7
	s_mov_b32 s24, exec_lo
	v_cmpx_gt_u32_e32 8, v1
; %bb.375:                              ;   in Loop: Header=BB354_16 Depth=1
	v_and_b32_e32 v0, 7, v34
	s_delay_alu instid0(VALU_DEP_1) | instskip(NEXT) | instid1(VALU_DEP_1)
	v_clz_i32_u32_e32 v0, v0
	v_min_u32_e32 v0, 32, v0
	s_delay_alu instid0(VALU_DEP_1) | instskip(SKIP_1) | instid1(VALU_DEP_2)
	v_subrev_nc_u32_e32 v1, 28, v0
	v_sub_nc_u32_e32 v0, 29, v0
	v_lshlrev_b64 v[35:36], v1, v[7:8]
; %bb.376:                              ;   in Loop: Header=BB354_16 Depth=1
	s_or_b32 exec_lo, exec_lo, s24
	v_lshlrev_b32_e32 v1, 8, v34
	s_delay_alu instid0(VALU_DEP_3) | instskip(NEXT) | instid1(VALU_DEP_3)
	v_lshl_add_u32 v0, v0, 10, 0x2000
	v_lshlrev_b32_e32 v2, 7, v35
	s_delay_alu instid0(VALU_DEP_2) | instskip(NEXT) | instid1(VALU_DEP_1)
	v_and_or_b32 v0, 0x8000, v1, v0
	v_and_or_b32 v0, 0x380, v2, v0
	s_delay_alu instid0(VALU_DEP_1)
	v_cvt_f32_f16_e64 v167, v0
.LBB354_377:                            ;   in Loop: Header=BB354_16 Depth=1
	s_or_b32 exec_lo, exec_lo, s23
.LBB354_378:                            ;   in Loop: Header=BB354_16 Depth=1
	s_delay_alu instid0(SALU_CYCLE_1)
	s_or_b32 exec_lo, exec_lo, s22
.LBB354_379:                            ;   in Loop: Header=BB354_16 Depth=1
	s_delay_alu instid0(SALU_CYCLE_1) | instskip(SKIP_2) | instid1(VALU_DEP_1)
	s_or_b32 exec_lo, exec_lo, s21
	v_lshrrev_b16 v0, 8, v7
	s_mov_b32 s21, exec_lo
	v_cmpx_ne_u16_e32 0, v0
	s_cbranch_execz .LBB354_387
; %bb.380:                              ;   in Loop: Header=BB354_16 Depth=1
	v_bfrev_b32_e32 v176, 1
	s_mov_b32 s22, exec_lo
	v_cmpx_ne_u16_e32 0x80, v0
	s_cbranch_execz .LBB354_386
; %bb.381:                              ;   in Loop: Header=BB354_16 Depth=1
	v_and_b32_e32 v0, 0xffff, v0
	v_mov_b32_e32 v176, 0x7fc02000
	s_mov_b32 s23, exec_lo
	s_delay_alu instid0(VALU_DEP_2) | instskip(NEXT) | instid1(VALU_DEP_1)
	v_and_b32_e32 v2, 0x7f, v0
	v_cmpx_ne_u32_e32 0x7f, v2
	s_cbranch_execz .LBB354_385
; %bb.382:                              ;   in Loop: Header=BB354_16 Depth=1
	v_and_b32_e32 v7, 7, v0
	v_lshrrev_b32_e32 v1, 3, v2
	v_mov_b32_e32 v36, v8
	s_mov_b32 s24, exec_lo
	s_delay_alu instid0(VALU_DEP_3)
	v_mov_b32_e32 v35, v7
	v_cmpx_gt_u32_e32 8, v2
; %bb.383:                              ;   in Loop: Header=BB354_16 Depth=1
	v_clz_i32_u32_e32 v1, v7
	s_delay_alu instid0(VALU_DEP_1) | instskip(NEXT) | instid1(VALU_DEP_1)
	v_min_u32_e32 v1, 32, v1
	v_subrev_nc_u32_e32 v2, 28, v1
	v_sub_nc_u32_e32 v1, 29, v1
	s_delay_alu instid0(VALU_DEP_2) | instskip(NEXT) | instid1(VALU_DEP_1)
	v_lshlrev_b64 v[2:3], v2, v[7:8]
	v_and_b32_e32 v35, 7, v2
; %bb.384:                              ;   in Loop: Header=BB354_16 Depth=1
	s_or_b32 exec_lo, exec_lo, s24
	v_lshlrev_b32_e32 v0, 8, v0
	v_lshl_add_u32 v1, v1, 10, 0x2000
	s_delay_alu instid0(VALU_DEP_1) | instskip(NEXT) | instid1(VALU_DEP_1)
	v_and_or_b32 v0, 0x8000, v0, v1
	v_lshl_or_b32 v0, v35, 7, v0
	s_delay_alu instid0(VALU_DEP_1)
	v_cvt_f32_f16_e64 v176, v0
.LBB354_385:                            ;   in Loop: Header=BB354_16 Depth=1
	s_or_b32 exec_lo, exec_lo, s23
.LBB354_386:                            ;   in Loop: Header=BB354_16 Depth=1
	s_delay_alu instid0(SALU_CYCLE_1)
	s_or_b32 exec_lo, exec_lo, s22
.LBB354_387:                            ;   in Loop: Header=BB354_16 Depth=1
	s_delay_alu instid0(SALU_CYCLE_1) | instskip(SKIP_3) | instid1(VALU_DEP_2)
	s_or_b32 exec_lo, exec_lo, s21
	v_lshrrev_b32_e32 v0, 16, v34
	v_mov_b32_e32 v177, 0
	s_mov_b32 s21, exec_lo
	v_dual_mov_b32 v178, 0 :: v_dual_and_b32 v1, 0xff, v0
	s_delay_alu instid0(VALU_DEP_1)
	v_cmpx_ne_u16_e32 0, v1
	s_cbranch_execz .LBB354_395
; %bb.388:                              ;   in Loop: Header=BB354_16 Depth=1
	v_bfrev_b32_e32 v178, 1
	s_mov_b32 s22, exec_lo
	v_cmpx_ne_u16_e32 0x80, v1
	s_cbranch_execz .LBB354_394
; %bb.389:                              ;   in Loop: Header=BB354_16 Depth=1
	v_bfe_u32 v2, v34, 16, 7
	v_mov_b32_e32 v178, 0x7fc02000
	s_mov_b32 s23, exec_lo
	s_delay_alu instid0(VALU_DEP_2)
	v_cmpx_ne_u32_e32 0x7f, v2
	s_cbranch_execz .LBB354_393
; %bb.390:                              ;   in Loop: Header=BB354_16 Depth=1
	v_and_b32_e32 v7, 7, v0
	v_lshrrev_b32_e32 v1, 3, v2
	v_mov_b32_e32 v36, v8
	s_mov_b32 s24, exec_lo
	s_delay_alu instid0(VALU_DEP_3)
	v_mov_b32_e32 v35, v7
	v_cmpx_gt_u32_e32 8, v2
; %bb.391:                              ;   in Loop: Header=BB354_16 Depth=1
	v_clz_i32_u32_e32 v1, v7
	s_delay_alu instid0(VALU_DEP_1) | instskip(NEXT) | instid1(VALU_DEP_1)
	v_min_u32_e32 v1, 32, v1
	v_subrev_nc_u32_e32 v2, 28, v1
	v_sub_nc_u32_e32 v1, 29, v1
	s_delay_alu instid0(VALU_DEP_2) | instskip(NEXT) | instid1(VALU_DEP_1)
	v_lshlrev_b64 v[2:3], v2, v[7:8]
	v_and_b32_e32 v35, 7, v2
; %bb.392:                              ;   in Loop: Header=BB354_16 Depth=1
	s_or_b32 exec_lo, exec_lo, s24
	v_lshlrev_b32_e32 v0, 8, v0
	v_lshl_add_u32 v1, v1, 10, 0x2000
	s_delay_alu instid0(VALU_DEP_1) | instskip(NEXT) | instid1(VALU_DEP_1)
	v_and_or_b32 v0, 0x8000, v0, v1
	v_lshl_or_b32 v0, v35, 7, v0
	s_delay_alu instid0(VALU_DEP_1)
	v_cvt_f32_f16_e64 v178, v0
.LBB354_393:                            ;   in Loop: Header=BB354_16 Depth=1
	s_or_b32 exec_lo, exec_lo, s23
.LBB354_394:                            ;   in Loop: Header=BB354_16 Depth=1
	s_delay_alu instid0(SALU_CYCLE_1)
	s_or_b32 exec_lo, exec_lo, s22
.LBB354_395:                            ;   in Loop: Header=BB354_16 Depth=1
	s_delay_alu instid0(SALU_CYCLE_1) | instskip(NEXT) | instid1(SALU_CYCLE_1)
	s_or_b32 exec_lo, exec_lo, s21
	s_mov_b32 s21, exec_lo
	v_cmpx_lt_u64_e64 s[8:9], v[33:34]
	s_cbranch_execz .LBB354_403
; %bb.396:                              ;   in Loop: Header=BB354_16 Depth=1
	v_lshrrev_b32_e32 v0, 24, v34
	v_bfrev_b32_e32 v177, 1
	s_mov_b32 s22, exec_lo
	s_delay_alu instid0(VALU_DEP_2)
	v_cmpx_ne_u32_e32 0x80, v0
	s_cbranch_execz .LBB354_402
; %bb.397:                              ;   in Loop: Header=BB354_16 Depth=1
	v_and_b32_e32 v2, 0x7f, v0
	v_mov_b32_e32 v177, 0x7fc02000
	s_mov_b32 s23, exec_lo
	s_delay_alu instid0(VALU_DEP_2)
	v_cmpx_ne_u32_e32 0x7f, v2
	s_cbranch_execz .LBB354_401
; %bb.398:                              ;   in Loop: Header=BB354_16 Depth=1
	v_and_b32_e32 v7, 7, v0
	v_lshrrev_b32_e32 v1, 3, v2
	v_mov_b32_e32 v34, v8
	s_mov_b32 s24, exec_lo
	s_delay_alu instid0(VALU_DEP_3)
	v_mov_b32_e32 v33, v7
	v_cmpx_gt_u32_e32 8, v2
; %bb.399:                              ;   in Loop: Header=BB354_16 Depth=1
	v_clz_i32_u32_e32 v1, v7
	s_delay_alu instid0(VALU_DEP_1) | instskip(NEXT) | instid1(VALU_DEP_1)
	v_min_u32_e32 v1, 32, v1
	v_subrev_nc_u32_e32 v2, 28, v1
	v_sub_nc_u32_e32 v1, 29, v1
	s_delay_alu instid0(VALU_DEP_2) | instskip(NEXT) | instid1(VALU_DEP_1)
	v_lshlrev_b64 v[2:3], v2, v[7:8]
	v_and_b32_e32 v33, 7, v2
; %bb.400:                              ;   in Loop: Header=BB354_16 Depth=1
	s_or_b32 exec_lo, exec_lo, s24
	v_lshlrev_b32_e32 v0, 8, v0
	v_lshl_add_u32 v1, v1, 10, 0x2000
	s_delay_alu instid0(VALU_DEP_1) | instskip(NEXT) | instid1(VALU_DEP_1)
	v_and_or_b32 v0, 0x8000, v0, v1
	v_lshl_or_b32 v0, v33, 7, v0
	s_delay_alu instid0(VALU_DEP_1)
	v_cvt_f32_f16_e64 v177, v0
.LBB354_401:                            ;   in Loop: Header=BB354_16 Depth=1
	s_or_b32 exec_lo, exec_lo, s23
.LBB354_402:                            ;   in Loop: Header=BB354_16 Depth=1
	s_delay_alu instid0(SALU_CYCLE_1)
	s_or_b32 exec_lo, exec_lo, s22
.LBB354_403:                            ;   in Loop: Header=BB354_16 Depth=1
	s_delay_alu instid0(SALU_CYCLE_1)
	s_or_b32 exec_lo, exec_lo, s21
	flat_load_b64 v[33:34], v[31:32] offset:1536
	v_mov_b32_e32 v180, 0
	s_mov_b32 s21, exec_lo
	s_waitcnt vmcnt(0) lgkmcnt(0)
	v_dual_mov_b32 v179, 0 :: v_dual_and_b32 v0, 0xff, v33
	s_delay_alu instid0(VALU_DEP_1)
	v_cmpx_ne_u16_e32 0, v0
	s_cbranch_execz .LBB354_411
; %bb.404:                              ;   in Loop: Header=BB354_16 Depth=1
	v_bfrev_b32_e32 v179, 1
	s_mov_b32 s22, exec_lo
	v_cmpx_ne_u16_e32 0x80, v0
	s_cbranch_execz .LBB354_410
; %bb.405:                              ;   in Loop: Header=BB354_16 Depth=1
	v_and_b32_e32 v1, 0x7f, v33
	v_mov_b32_e32 v179, 0x7fc02000
	s_mov_b32 s23, exec_lo
	s_delay_alu instid0(VALU_DEP_2)
	v_cmpx_ne_u32_e32 0x7f, v1
	s_cbranch_execz .LBB354_409
; %bb.406:                              ;   in Loop: Header=BB354_16 Depth=1
	v_lshrrev_b32_e32 v0, 3, v1
	v_dual_mov_b32 v36, v34 :: v_dual_mov_b32 v35, v33
	s_mov_b32 s24, exec_lo
	v_cmpx_gt_u32_e32 8, v1
; %bb.407:                              ;   in Loop: Header=BB354_16 Depth=1
	v_and_b32_e32 v0, 7, v33
	s_delay_alu instid0(VALU_DEP_1) | instskip(NEXT) | instid1(VALU_DEP_1)
	v_clz_i32_u32_e32 v0, v0
	v_min_u32_e32 v0, 32, v0
	s_delay_alu instid0(VALU_DEP_1) | instskip(SKIP_1) | instid1(VALU_DEP_2)
	v_subrev_nc_u32_e32 v1, 28, v0
	v_sub_nc_u32_e32 v0, 29, v0
	v_lshlrev_b64 v[35:36], v1, v[33:34]
; %bb.408:                              ;   in Loop: Header=BB354_16 Depth=1
	s_or_b32 exec_lo, exec_lo, s24
	v_lshlrev_b32_e32 v1, 8, v33
	s_delay_alu instid0(VALU_DEP_3) | instskip(NEXT) | instid1(VALU_DEP_3)
	v_lshl_add_u32 v0, v0, 10, 0x2000
	v_lshlrev_b32_e32 v2, 7, v35
	s_delay_alu instid0(VALU_DEP_2) | instskip(NEXT) | instid1(VALU_DEP_1)
	v_and_or_b32 v0, 0x8000, v1, v0
	v_and_or_b32 v0, 0x380, v2, v0
	s_delay_alu instid0(VALU_DEP_1)
	v_cvt_f32_f16_e64 v179, v0
.LBB354_409:                            ;   in Loop: Header=BB354_16 Depth=1
	s_or_b32 exec_lo, exec_lo, s23
.LBB354_410:                            ;   in Loop: Header=BB354_16 Depth=1
	s_delay_alu instid0(SALU_CYCLE_1)
	s_or_b32 exec_lo, exec_lo, s22
.LBB354_411:                            ;   in Loop: Header=BB354_16 Depth=1
	s_delay_alu instid0(SALU_CYCLE_1) | instskip(SKIP_2) | instid1(VALU_DEP_1)
	s_or_b32 exec_lo, exec_lo, s21
	v_lshrrev_b16 v0, 8, v33
	s_mov_b32 s21, exec_lo
	v_cmpx_ne_u16_e32 0, v0
	s_cbranch_execz .LBB354_419
; %bb.412:                              ;   in Loop: Header=BB354_16 Depth=1
	v_bfrev_b32_e32 v180, 1
	s_mov_b32 s22, exec_lo
	v_cmpx_ne_u16_e32 0x80, v0
	s_cbranch_execz .LBB354_418
; %bb.413:                              ;   in Loop: Header=BB354_16 Depth=1
	v_and_b32_e32 v0, 0xffff, v0
	v_mov_b32_e32 v180, 0x7fc02000
	s_mov_b32 s23, exec_lo
	s_delay_alu instid0(VALU_DEP_2) | instskip(NEXT) | instid1(VALU_DEP_1)
	v_and_b32_e32 v2, 0x7f, v0
	v_cmpx_ne_u32_e32 0x7f, v2
	s_cbranch_execz .LBB354_417
; %bb.414:                              ;   in Loop: Header=BB354_16 Depth=1
	v_and_b32_e32 v7, 7, v0
	v_lshrrev_b32_e32 v1, 3, v2
	v_mov_b32_e32 v36, v8
	s_mov_b32 s24, exec_lo
	s_delay_alu instid0(VALU_DEP_3)
	v_mov_b32_e32 v35, v7
	v_cmpx_gt_u32_e32 8, v2
; %bb.415:                              ;   in Loop: Header=BB354_16 Depth=1
	v_clz_i32_u32_e32 v1, v7
	s_delay_alu instid0(VALU_DEP_1) | instskip(NEXT) | instid1(VALU_DEP_1)
	v_min_u32_e32 v1, 32, v1
	v_subrev_nc_u32_e32 v2, 28, v1
	v_sub_nc_u32_e32 v1, 29, v1
	s_delay_alu instid0(VALU_DEP_2) | instskip(NEXT) | instid1(VALU_DEP_1)
	v_lshlrev_b64 v[2:3], v2, v[7:8]
	v_and_b32_e32 v35, 7, v2
; %bb.416:                              ;   in Loop: Header=BB354_16 Depth=1
	s_or_b32 exec_lo, exec_lo, s24
	v_lshlrev_b32_e32 v0, 8, v0
	v_lshl_add_u32 v1, v1, 10, 0x2000
	s_delay_alu instid0(VALU_DEP_1) | instskip(NEXT) | instid1(VALU_DEP_1)
	v_and_or_b32 v0, 0x8000, v0, v1
	v_lshl_or_b32 v0, v35, 7, v0
	s_delay_alu instid0(VALU_DEP_1)
	v_cvt_f32_f16_e64 v180, v0
.LBB354_417:                            ;   in Loop: Header=BB354_16 Depth=1
	s_or_b32 exec_lo, exec_lo, s23
.LBB354_418:                            ;   in Loop: Header=BB354_16 Depth=1
	s_delay_alu instid0(SALU_CYCLE_1)
	s_or_b32 exec_lo, exec_lo, s22
.LBB354_419:                            ;   in Loop: Header=BB354_16 Depth=1
	s_delay_alu instid0(SALU_CYCLE_1) | instskip(SKIP_3) | instid1(VALU_DEP_2)
	s_or_b32 exec_lo, exec_lo, s21
	v_lshrrev_b32_e32 v0, 16, v33
	v_mov_b32_e32 v181, 0
	s_mov_b32 s21, exec_lo
	v_dual_mov_b32 v182, 0 :: v_dual_and_b32 v1, 0xff, v0
	s_delay_alu instid0(VALU_DEP_1)
	v_cmpx_ne_u16_e32 0, v1
	s_cbranch_execz .LBB354_427
; %bb.420:                              ;   in Loop: Header=BB354_16 Depth=1
	v_bfrev_b32_e32 v181, 1
	s_mov_b32 s22, exec_lo
	v_cmpx_ne_u16_e32 0x80, v1
	s_cbranch_execz .LBB354_426
; %bb.421:                              ;   in Loop: Header=BB354_16 Depth=1
	v_bfe_u32 v2, v33, 16, 7
	v_mov_b32_e32 v181, 0x7fc02000
	s_mov_b32 s23, exec_lo
	s_delay_alu instid0(VALU_DEP_2)
	v_cmpx_ne_u32_e32 0x7f, v2
	s_cbranch_execz .LBB354_425
; %bb.422:                              ;   in Loop: Header=BB354_16 Depth=1
	v_and_b32_e32 v7, 7, v0
	v_lshrrev_b32_e32 v1, 3, v2
	v_mov_b32_e32 v36, v8
	s_mov_b32 s24, exec_lo
	s_delay_alu instid0(VALU_DEP_3)
	v_mov_b32_e32 v35, v7
	v_cmpx_gt_u32_e32 8, v2
; %bb.423:                              ;   in Loop: Header=BB354_16 Depth=1
	v_clz_i32_u32_e32 v1, v7
	s_delay_alu instid0(VALU_DEP_1) | instskip(NEXT) | instid1(VALU_DEP_1)
	v_min_u32_e32 v1, 32, v1
	v_subrev_nc_u32_e32 v2, 28, v1
	v_sub_nc_u32_e32 v1, 29, v1
	s_delay_alu instid0(VALU_DEP_2) | instskip(NEXT) | instid1(VALU_DEP_1)
	v_lshlrev_b64 v[2:3], v2, v[7:8]
	v_and_b32_e32 v35, 7, v2
; %bb.424:                              ;   in Loop: Header=BB354_16 Depth=1
	s_or_b32 exec_lo, exec_lo, s24
	v_lshlrev_b32_e32 v0, 8, v0
	v_lshl_add_u32 v1, v1, 10, 0x2000
	s_delay_alu instid0(VALU_DEP_1) | instskip(NEXT) | instid1(VALU_DEP_1)
	v_and_or_b32 v0, 0x8000, v0, v1
	v_lshl_or_b32 v0, v35, 7, v0
	s_delay_alu instid0(VALU_DEP_1)
	v_cvt_f32_f16_e64 v181, v0
.LBB354_425:                            ;   in Loop: Header=BB354_16 Depth=1
	s_or_b32 exec_lo, exec_lo, s23
.LBB354_426:                            ;   in Loop: Header=BB354_16 Depth=1
	s_delay_alu instid0(SALU_CYCLE_1)
	s_or_b32 exec_lo, exec_lo, s22
.LBB354_427:                            ;   in Loop: Header=BB354_16 Depth=1
	s_delay_alu instid0(SALU_CYCLE_1) | instskip(NEXT) | instid1(SALU_CYCLE_1)
	s_or_b32 exec_lo, exec_lo, s21
	s_mov_b32 s21, exec_lo
	v_cmpx_lt_u32_e32 0xffffff, v33
	s_cbranch_execz .LBB354_435
; %bb.428:                              ;   in Loop: Header=BB354_16 Depth=1
	v_lshrrev_b32_e32 v0, 24, v33
	v_bfrev_b32_e32 v182, 1
	s_mov_b32 s22, exec_lo
	s_delay_alu instid0(VALU_DEP_2)
	v_cmpx_ne_u32_e32 0x80, v0
	s_cbranch_execz .LBB354_434
; %bb.429:                              ;   in Loop: Header=BB354_16 Depth=1
	v_and_b32_e32 v2, 0x7f, v0
	v_mov_b32_e32 v182, 0x7fc02000
	s_mov_b32 s23, exec_lo
	s_delay_alu instid0(VALU_DEP_2)
	v_cmpx_ne_u32_e32 0x7f, v2
	s_cbranch_execz .LBB354_433
; %bb.430:                              ;   in Loop: Header=BB354_16 Depth=1
	v_and_b32_e32 v7, 7, v0
	v_lshrrev_b32_e32 v1, 3, v2
	v_mov_b32_e32 v36, v8
	s_mov_b32 s24, exec_lo
	s_delay_alu instid0(VALU_DEP_3)
	v_mov_b32_e32 v35, v7
	v_cmpx_gt_u32_e32 8, v2
; %bb.431:                              ;   in Loop: Header=BB354_16 Depth=1
	v_clz_i32_u32_e32 v1, v7
	s_delay_alu instid0(VALU_DEP_1) | instskip(NEXT) | instid1(VALU_DEP_1)
	v_min_u32_e32 v1, 32, v1
	v_subrev_nc_u32_e32 v2, 28, v1
	v_sub_nc_u32_e32 v1, 29, v1
	s_delay_alu instid0(VALU_DEP_2) | instskip(NEXT) | instid1(VALU_DEP_1)
	v_lshlrev_b64 v[2:3], v2, v[7:8]
	v_and_b32_e32 v35, 7, v2
; %bb.432:                              ;   in Loop: Header=BB354_16 Depth=1
	s_or_b32 exec_lo, exec_lo, s24
	v_lshlrev_b32_e32 v0, 8, v0
	v_lshl_add_u32 v1, v1, 10, 0x2000
	s_delay_alu instid0(VALU_DEP_1) | instskip(NEXT) | instid1(VALU_DEP_1)
	v_and_or_b32 v0, 0x8000, v0, v1
	v_lshl_or_b32 v0, v35, 7, v0
	s_delay_alu instid0(VALU_DEP_1)
	v_cvt_f32_f16_e64 v182, v0
.LBB354_433:                            ;   in Loop: Header=BB354_16 Depth=1
	s_or_b32 exec_lo, exec_lo, s23
.LBB354_434:                            ;   in Loop: Header=BB354_16 Depth=1
	s_delay_alu instid0(SALU_CYCLE_1)
	s_or_b32 exec_lo, exec_lo, s22
.LBB354_435:                            ;   in Loop: Header=BB354_16 Depth=1
	s_delay_alu instid0(SALU_CYCLE_1) | instskip(SKIP_3) | instid1(VALU_DEP_2)
	s_or_b32 exec_lo, exec_lo, s21
	v_dual_mov_b32 v7, v34 :: v_dual_and_b32 v0, 0xff, v34
	v_dual_mov_b32 v40, 0 :: v_dual_mov_b32 v183, 0
	s_mov_b32 s21, exec_lo
	v_cmpx_ne_u16_e32 0, v0
	s_cbranch_execz .LBB354_443
; %bb.436:                              ;   in Loop: Header=BB354_16 Depth=1
	v_bfrev_b32_e32 v183, 1
	s_mov_b32 s22, exec_lo
	v_cmpx_ne_u16_e32 0x80, v0
	s_cbranch_execz .LBB354_442
; %bb.437:                              ;   in Loop: Header=BB354_16 Depth=1
	v_and_b32_e32 v1, 0x7f, v34
	v_mov_b32_e32 v183, 0x7fc02000
	s_mov_b32 s23, exec_lo
	s_delay_alu instid0(VALU_DEP_2)
	v_cmpx_ne_u32_e32 0x7f, v1
	s_cbranch_execz .LBB354_441
; %bb.438:                              ;   in Loop: Header=BB354_16 Depth=1
	v_lshrrev_b32_e32 v0, 3, v1
	v_dual_mov_b32 v36, v8 :: v_dual_mov_b32 v35, v7
	s_mov_b32 s24, exec_lo
	v_cmpx_gt_u32_e32 8, v1
; %bb.439:                              ;   in Loop: Header=BB354_16 Depth=1
	v_and_b32_e32 v0, 7, v34
	s_delay_alu instid0(VALU_DEP_1) | instskip(NEXT) | instid1(VALU_DEP_1)
	v_clz_i32_u32_e32 v0, v0
	v_min_u32_e32 v0, 32, v0
	s_delay_alu instid0(VALU_DEP_1) | instskip(SKIP_1) | instid1(VALU_DEP_2)
	v_subrev_nc_u32_e32 v1, 28, v0
	v_sub_nc_u32_e32 v0, 29, v0
	v_lshlrev_b64 v[35:36], v1, v[7:8]
; %bb.440:                              ;   in Loop: Header=BB354_16 Depth=1
	s_or_b32 exec_lo, exec_lo, s24
	v_lshlrev_b32_e32 v1, 8, v34
	s_delay_alu instid0(VALU_DEP_3) | instskip(NEXT) | instid1(VALU_DEP_3)
	v_lshl_add_u32 v0, v0, 10, 0x2000
	v_lshlrev_b32_e32 v2, 7, v35
	s_delay_alu instid0(VALU_DEP_2) | instskip(NEXT) | instid1(VALU_DEP_1)
	v_and_or_b32 v0, 0x8000, v1, v0
	v_and_or_b32 v0, 0x380, v2, v0
	s_delay_alu instid0(VALU_DEP_1)
	v_cvt_f32_f16_e64 v183, v0
.LBB354_441:                            ;   in Loop: Header=BB354_16 Depth=1
	s_or_b32 exec_lo, exec_lo, s23
.LBB354_442:                            ;   in Loop: Header=BB354_16 Depth=1
	s_delay_alu instid0(SALU_CYCLE_1)
	s_or_b32 exec_lo, exec_lo, s22
.LBB354_443:                            ;   in Loop: Header=BB354_16 Depth=1
	s_delay_alu instid0(SALU_CYCLE_1) | instskip(SKIP_2) | instid1(VALU_DEP_1)
	s_or_b32 exec_lo, exec_lo, s21
	v_lshrrev_b16 v0, 8, v7
	s_mov_b32 s21, exec_lo
	v_cmpx_ne_u16_e32 0, v0
	s_cbranch_execz .LBB354_451
; %bb.444:                              ;   in Loop: Header=BB354_16 Depth=1
	v_bfrev_b32_e32 v40, 1
	s_mov_b32 s22, exec_lo
	v_cmpx_ne_u16_e32 0x80, v0
	s_cbranch_execz .LBB354_450
; %bb.445:                              ;   in Loop: Header=BB354_16 Depth=1
	v_and_b32_e32 v0, 0xffff, v0
	v_mov_b32_e32 v40, 0x7fc02000
	s_mov_b32 s23, exec_lo
	s_delay_alu instid0(VALU_DEP_2) | instskip(NEXT) | instid1(VALU_DEP_1)
	v_and_b32_e32 v2, 0x7f, v0
	v_cmpx_ne_u32_e32 0x7f, v2
	s_cbranch_execz .LBB354_449
; %bb.446:                              ;   in Loop: Header=BB354_16 Depth=1
	v_and_b32_e32 v7, 7, v0
	v_lshrrev_b32_e32 v1, 3, v2
	v_mov_b32_e32 v36, v8
	s_mov_b32 s24, exec_lo
	s_delay_alu instid0(VALU_DEP_3)
	v_mov_b32_e32 v35, v7
	v_cmpx_gt_u32_e32 8, v2
; %bb.447:                              ;   in Loop: Header=BB354_16 Depth=1
	v_clz_i32_u32_e32 v1, v7
	s_delay_alu instid0(VALU_DEP_1) | instskip(NEXT) | instid1(VALU_DEP_1)
	v_min_u32_e32 v1, 32, v1
	v_subrev_nc_u32_e32 v2, 28, v1
	v_sub_nc_u32_e32 v1, 29, v1
	s_delay_alu instid0(VALU_DEP_2) | instskip(NEXT) | instid1(VALU_DEP_1)
	v_lshlrev_b64 v[2:3], v2, v[7:8]
	v_and_b32_e32 v35, 7, v2
; %bb.448:                              ;   in Loop: Header=BB354_16 Depth=1
	s_or_b32 exec_lo, exec_lo, s24
	v_lshlrev_b32_e32 v0, 8, v0
	v_lshl_add_u32 v1, v1, 10, 0x2000
	s_delay_alu instid0(VALU_DEP_1) | instskip(NEXT) | instid1(VALU_DEP_1)
	v_and_or_b32 v0, 0x8000, v0, v1
	v_lshl_or_b32 v0, v35, 7, v0
	s_delay_alu instid0(VALU_DEP_1)
	v_cvt_f32_f16_e32 v40, v0
.LBB354_449:                            ;   in Loop: Header=BB354_16 Depth=1
	s_or_b32 exec_lo, exec_lo, s23
.LBB354_450:                            ;   in Loop: Header=BB354_16 Depth=1
	s_delay_alu instid0(SALU_CYCLE_1)
	s_or_b32 exec_lo, exec_lo, s22
.LBB354_451:                            ;   in Loop: Header=BB354_16 Depth=1
	s_delay_alu instid0(SALU_CYCLE_1) | instskip(SKIP_3) | instid1(VALU_DEP_2)
	s_or_b32 exec_lo, exec_lo, s21
	v_lshrrev_b32_e32 v0, 16, v34
	v_mov_b32_e32 v41, 0
	s_mov_b32 s21, exec_lo
	v_dual_mov_b32 v42, 0 :: v_dual_and_b32 v1, 0xff, v0
	s_delay_alu instid0(VALU_DEP_1)
	v_cmpx_ne_u16_e32 0, v1
	s_cbranch_execz .LBB354_459
; %bb.452:                              ;   in Loop: Header=BB354_16 Depth=1
	v_bfrev_b32_e32 v42, 1
	s_mov_b32 s22, exec_lo
	v_cmpx_ne_u16_e32 0x80, v1
	s_cbranch_execz .LBB354_458
; %bb.453:                              ;   in Loop: Header=BB354_16 Depth=1
	v_bfe_u32 v2, v34, 16, 7
	v_mov_b32_e32 v42, 0x7fc02000
	s_mov_b32 s23, exec_lo
	s_delay_alu instid0(VALU_DEP_2)
	v_cmpx_ne_u32_e32 0x7f, v2
	s_cbranch_execz .LBB354_457
; %bb.454:                              ;   in Loop: Header=BB354_16 Depth=1
	v_and_b32_e32 v7, 7, v0
	v_lshrrev_b32_e32 v1, 3, v2
	v_mov_b32_e32 v36, v8
	s_mov_b32 s24, exec_lo
	s_delay_alu instid0(VALU_DEP_3)
	v_mov_b32_e32 v35, v7
	v_cmpx_gt_u32_e32 8, v2
; %bb.455:                              ;   in Loop: Header=BB354_16 Depth=1
	v_clz_i32_u32_e32 v1, v7
	s_delay_alu instid0(VALU_DEP_1) | instskip(NEXT) | instid1(VALU_DEP_1)
	v_min_u32_e32 v1, 32, v1
	v_subrev_nc_u32_e32 v2, 28, v1
	v_sub_nc_u32_e32 v1, 29, v1
	s_delay_alu instid0(VALU_DEP_2) | instskip(NEXT) | instid1(VALU_DEP_1)
	v_lshlrev_b64 v[2:3], v2, v[7:8]
	v_and_b32_e32 v35, 7, v2
; %bb.456:                              ;   in Loop: Header=BB354_16 Depth=1
	s_or_b32 exec_lo, exec_lo, s24
	v_lshlrev_b32_e32 v0, 8, v0
	v_lshl_add_u32 v1, v1, 10, 0x2000
	s_delay_alu instid0(VALU_DEP_1) | instskip(NEXT) | instid1(VALU_DEP_1)
	v_and_or_b32 v0, 0x8000, v0, v1
	v_lshl_or_b32 v0, v35, 7, v0
	s_delay_alu instid0(VALU_DEP_1)
	v_cvt_f32_f16_e32 v42, v0
.LBB354_457:                            ;   in Loop: Header=BB354_16 Depth=1
	s_or_b32 exec_lo, exec_lo, s23
.LBB354_458:                            ;   in Loop: Header=BB354_16 Depth=1
	s_delay_alu instid0(SALU_CYCLE_1)
	s_or_b32 exec_lo, exec_lo, s22
.LBB354_459:                            ;   in Loop: Header=BB354_16 Depth=1
	s_delay_alu instid0(SALU_CYCLE_1) | instskip(NEXT) | instid1(SALU_CYCLE_1)
	s_or_b32 exec_lo, exec_lo, s21
	s_mov_b32 s21, exec_lo
	v_cmpx_lt_u64_e64 s[8:9], v[33:34]
	s_cbranch_execz .LBB354_467
; %bb.460:                              ;   in Loop: Header=BB354_16 Depth=1
	v_lshrrev_b32_e32 v0, 24, v34
	v_bfrev_b32_e32 v41, 1
	s_mov_b32 s22, exec_lo
	s_delay_alu instid0(VALU_DEP_2)
	v_cmpx_ne_u32_e32 0x80, v0
	s_cbranch_execz .LBB354_466
; %bb.461:                              ;   in Loop: Header=BB354_16 Depth=1
	v_and_b32_e32 v2, 0x7f, v0
	v_mov_b32_e32 v41, 0x7fc02000
	s_mov_b32 s23, exec_lo
	s_delay_alu instid0(VALU_DEP_2)
	v_cmpx_ne_u32_e32 0x7f, v2
	s_cbranch_execz .LBB354_465
; %bb.462:                              ;   in Loop: Header=BB354_16 Depth=1
	v_and_b32_e32 v7, 7, v0
	v_lshrrev_b32_e32 v1, 3, v2
	v_mov_b32_e32 v34, v8
	s_mov_b32 s24, exec_lo
	s_delay_alu instid0(VALU_DEP_3)
	v_mov_b32_e32 v33, v7
	v_cmpx_gt_u32_e32 8, v2
; %bb.463:                              ;   in Loop: Header=BB354_16 Depth=1
	v_clz_i32_u32_e32 v1, v7
	s_delay_alu instid0(VALU_DEP_1) | instskip(NEXT) | instid1(VALU_DEP_1)
	v_min_u32_e32 v1, 32, v1
	v_subrev_nc_u32_e32 v2, 28, v1
	v_sub_nc_u32_e32 v1, 29, v1
	s_delay_alu instid0(VALU_DEP_2) | instskip(NEXT) | instid1(VALU_DEP_1)
	v_lshlrev_b64 v[2:3], v2, v[7:8]
	v_and_b32_e32 v33, 7, v2
; %bb.464:                              ;   in Loop: Header=BB354_16 Depth=1
	s_or_b32 exec_lo, exec_lo, s24
	v_lshlrev_b32_e32 v0, 8, v0
	v_lshl_add_u32 v1, v1, 10, 0x2000
	s_delay_alu instid0(VALU_DEP_1) | instskip(NEXT) | instid1(VALU_DEP_1)
	v_and_or_b32 v0, 0x8000, v0, v1
	v_lshl_or_b32 v0, v33, 7, v0
	s_delay_alu instid0(VALU_DEP_1)
	v_cvt_f32_f16_e32 v41, v0
.LBB354_465:                            ;   in Loop: Header=BB354_16 Depth=1
	s_or_b32 exec_lo, exec_lo, s23
.LBB354_466:                            ;   in Loop: Header=BB354_16 Depth=1
	s_delay_alu instid0(SALU_CYCLE_1)
	s_or_b32 exec_lo, exec_lo, s22
.LBB354_467:                            ;   in Loop: Header=BB354_16 Depth=1
	s_delay_alu instid0(SALU_CYCLE_1)
	s_or_b32 exec_lo, exec_lo, s21
	flat_load_b64 v[33:34], v[31:32] offset:1544
	v_mov_b32_e32 v44, 0
	s_mov_b32 s21, exec_lo
	s_waitcnt vmcnt(0) lgkmcnt(0)
	v_dual_mov_b32 v43, 0 :: v_dual_and_b32 v0, 0xff, v33
	s_delay_alu instid0(VALU_DEP_1)
	v_cmpx_ne_u16_e32 0, v0
	s_cbranch_execz .LBB354_475
; %bb.468:                              ;   in Loop: Header=BB354_16 Depth=1
	v_bfrev_b32_e32 v43, 1
	s_mov_b32 s22, exec_lo
	v_cmpx_ne_u16_e32 0x80, v0
	s_cbranch_execz .LBB354_474
; %bb.469:                              ;   in Loop: Header=BB354_16 Depth=1
	v_and_b32_e32 v1, 0x7f, v33
	v_mov_b32_e32 v43, 0x7fc02000
	s_mov_b32 s23, exec_lo
	s_delay_alu instid0(VALU_DEP_2)
	v_cmpx_ne_u32_e32 0x7f, v1
	s_cbranch_execz .LBB354_473
; %bb.470:                              ;   in Loop: Header=BB354_16 Depth=1
	v_lshrrev_b32_e32 v0, 3, v1
	v_dual_mov_b32 v36, v34 :: v_dual_mov_b32 v35, v33
	s_mov_b32 s24, exec_lo
	v_cmpx_gt_u32_e32 8, v1
; %bb.471:                              ;   in Loop: Header=BB354_16 Depth=1
	v_and_b32_e32 v0, 7, v33
	s_delay_alu instid0(VALU_DEP_1) | instskip(NEXT) | instid1(VALU_DEP_1)
	v_clz_i32_u32_e32 v0, v0
	v_min_u32_e32 v0, 32, v0
	s_delay_alu instid0(VALU_DEP_1) | instskip(SKIP_1) | instid1(VALU_DEP_2)
	v_subrev_nc_u32_e32 v1, 28, v0
	v_sub_nc_u32_e32 v0, 29, v0
	v_lshlrev_b64 v[35:36], v1, v[33:34]
; %bb.472:                              ;   in Loop: Header=BB354_16 Depth=1
	s_or_b32 exec_lo, exec_lo, s24
	v_lshlrev_b32_e32 v1, 8, v33
	s_delay_alu instid0(VALU_DEP_3) | instskip(NEXT) | instid1(VALU_DEP_3)
	v_lshl_add_u32 v0, v0, 10, 0x2000
	v_lshlrev_b32_e32 v2, 7, v35
	s_delay_alu instid0(VALU_DEP_2) | instskip(NEXT) | instid1(VALU_DEP_1)
	v_and_or_b32 v0, 0x8000, v1, v0
	v_and_or_b32 v0, 0x380, v2, v0
	s_delay_alu instid0(VALU_DEP_1)
	v_cvt_f32_f16_e32 v43, v0
.LBB354_473:                            ;   in Loop: Header=BB354_16 Depth=1
	s_or_b32 exec_lo, exec_lo, s23
.LBB354_474:                            ;   in Loop: Header=BB354_16 Depth=1
	s_delay_alu instid0(SALU_CYCLE_1)
	s_or_b32 exec_lo, exec_lo, s22
.LBB354_475:                            ;   in Loop: Header=BB354_16 Depth=1
	s_delay_alu instid0(SALU_CYCLE_1) | instskip(SKIP_2) | instid1(VALU_DEP_1)
	s_or_b32 exec_lo, exec_lo, s21
	v_lshrrev_b16 v0, 8, v33
	s_mov_b32 s21, exec_lo
	v_cmpx_ne_u16_e32 0, v0
	s_cbranch_execz .LBB354_483
; %bb.476:                              ;   in Loop: Header=BB354_16 Depth=1
	v_bfrev_b32_e32 v44, 1
	s_mov_b32 s22, exec_lo
	v_cmpx_ne_u16_e32 0x80, v0
	s_cbranch_execz .LBB354_482
; %bb.477:                              ;   in Loop: Header=BB354_16 Depth=1
	v_and_b32_e32 v0, 0xffff, v0
	v_mov_b32_e32 v44, 0x7fc02000
	s_mov_b32 s23, exec_lo
	s_delay_alu instid0(VALU_DEP_2) | instskip(NEXT) | instid1(VALU_DEP_1)
	v_and_b32_e32 v2, 0x7f, v0
	v_cmpx_ne_u32_e32 0x7f, v2
	s_cbranch_execz .LBB354_481
; %bb.478:                              ;   in Loop: Header=BB354_16 Depth=1
	v_and_b32_e32 v7, 7, v0
	v_lshrrev_b32_e32 v1, 3, v2
	v_mov_b32_e32 v36, v8
	s_mov_b32 s24, exec_lo
	s_delay_alu instid0(VALU_DEP_3)
	v_mov_b32_e32 v35, v7
	v_cmpx_gt_u32_e32 8, v2
; %bb.479:                              ;   in Loop: Header=BB354_16 Depth=1
	v_clz_i32_u32_e32 v1, v7
	s_delay_alu instid0(VALU_DEP_1) | instskip(NEXT) | instid1(VALU_DEP_1)
	v_min_u32_e32 v1, 32, v1
	v_subrev_nc_u32_e32 v2, 28, v1
	v_sub_nc_u32_e32 v1, 29, v1
	s_delay_alu instid0(VALU_DEP_2) | instskip(NEXT) | instid1(VALU_DEP_1)
	v_lshlrev_b64 v[2:3], v2, v[7:8]
	v_and_b32_e32 v35, 7, v2
; %bb.480:                              ;   in Loop: Header=BB354_16 Depth=1
	s_or_b32 exec_lo, exec_lo, s24
	v_lshlrev_b32_e32 v0, 8, v0
	v_lshl_add_u32 v1, v1, 10, 0x2000
	s_delay_alu instid0(VALU_DEP_1) | instskip(NEXT) | instid1(VALU_DEP_1)
	v_and_or_b32 v0, 0x8000, v0, v1
	v_lshl_or_b32 v0, v35, 7, v0
	s_delay_alu instid0(VALU_DEP_1)
	v_cvt_f32_f16_e32 v44, v0
.LBB354_481:                            ;   in Loop: Header=BB354_16 Depth=1
	s_or_b32 exec_lo, exec_lo, s23
.LBB354_482:                            ;   in Loop: Header=BB354_16 Depth=1
	s_delay_alu instid0(SALU_CYCLE_1)
	s_or_b32 exec_lo, exec_lo, s22
.LBB354_483:                            ;   in Loop: Header=BB354_16 Depth=1
	s_delay_alu instid0(SALU_CYCLE_1) | instskip(SKIP_3) | instid1(VALU_DEP_2)
	s_or_b32 exec_lo, exec_lo, s21
	v_lshrrev_b32_e32 v0, 16, v33
	v_mov_b32_e32 v45, 0
	s_mov_b32 s21, exec_lo
	v_dual_mov_b32 v46, 0 :: v_dual_and_b32 v1, 0xff, v0
	s_delay_alu instid0(VALU_DEP_1)
	v_cmpx_ne_u16_e32 0, v1
	s_cbranch_execz .LBB354_491
; %bb.484:                              ;   in Loop: Header=BB354_16 Depth=1
	v_bfrev_b32_e32 v45, 1
	s_mov_b32 s22, exec_lo
	v_cmpx_ne_u16_e32 0x80, v1
	s_cbranch_execz .LBB354_490
; %bb.485:                              ;   in Loop: Header=BB354_16 Depth=1
	v_bfe_u32 v2, v33, 16, 7
	v_mov_b32_e32 v45, 0x7fc02000
	s_mov_b32 s23, exec_lo
	s_delay_alu instid0(VALU_DEP_2)
	v_cmpx_ne_u32_e32 0x7f, v2
	s_cbranch_execz .LBB354_489
; %bb.486:                              ;   in Loop: Header=BB354_16 Depth=1
	v_and_b32_e32 v7, 7, v0
	v_lshrrev_b32_e32 v1, 3, v2
	v_mov_b32_e32 v36, v8
	s_mov_b32 s24, exec_lo
	s_delay_alu instid0(VALU_DEP_3)
	v_mov_b32_e32 v35, v7
	v_cmpx_gt_u32_e32 8, v2
; %bb.487:                              ;   in Loop: Header=BB354_16 Depth=1
	v_clz_i32_u32_e32 v1, v7
	s_delay_alu instid0(VALU_DEP_1) | instskip(NEXT) | instid1(VALU_DEP_1)
	v_min_u32_e32 v1, 32, v1
	v_subrev_nc_u32_e32 v2, 28, v1
	v_sub_nc_u32_e32 v1, 29, v1
	s_delay_alu instid0(VALU_DEP_2) | instskip(NEXT) | instid1(VALU_DEP_1)
	v_lshlrev_b64 v[2:3], v2, v[7:8]
	v_and_b32_e32 v35, 7, v2
; %bb.488:                              ;   in Loop: Header=BB354_16 Depth=1
	s_or_b32 exec_lo, exec_lo, s24
	v_lshlrev_b32_e32 v0, 8, v0
	v_lshl_add_u32 v1, v1, 10, 0x2000
	s_delay_alu instid0(VALU_DEP_1) | instskip(NEXT) | instid1(VALU_DEP_1)
	v_and_or_b32 v0, 0x8000, v0, v1
	v_lshl_or_b32 v0, v35, 7, v0
	s_delay_alu instid0(VALU_DEP_1)
	v_cvt_f32_f16_e32 v45, v0
.LBB354_489:                            ;   in Loop: Header=BB354_16 Depth=1
	s_or_b32 exec_lo, exec_lo, s23
.LBB354_490:                            ;   in Loop: Header=BB354_16 Depth=1
	s_delay_alu instid0(SALU_CYCLE_1)
	s_or_b32 exec_lo, exec_lo, s22
.LBB354_491:                            ;   in Loop: Header=BB354_16 Depth=1
	s_delay_alu instid0(SALU_CYCLE_1) | instskip(NEXT) | instid1(SALU_CYCLE_1)
	s_or_b32 exec_lo, exec_lo, s21
	s_mov_b32 s21, exec_lo
	v_cmpx_lt_u32_e32 0xffffff, v33
	s_cbranch_execz .LBB354_499
; %bb.492:                              ;   in Loop: Header=BB354_16 Depth=1
	v_lshrrev_b32_e32 v0, 24, v33
	v_bfrev_b32_e32 v46, 1
	s_mov_b32 s22, exec_lo
	s_delay_alu instid0(VALU_DEP_2)
	v_cmpx_ne_u32_e32 0x80, v0
	s_cbranch_execz .LBB354_498
; %bb.493:                              ;   in Loop: Header=BB354_16 Depth=1
	v_and_b32_e32 v2, 0x7f, v0
	v_mov_b32_e32 v46, 0x7fc02000
	s_mov_b32 s23, exec_lo
	s_delay_alu instid0(VALU_DEP_2)
	v_cmpx_ne_u32_e32 0x7f, v2
	s_cbranch_execz .LBB354_497
; %bb.494:                              ;   in Loop: Header=BB354_16 Depth=1
	v_and_b32_e32 v7, 7, v0
	v_lshrrev_b32_e32 v1, 3, v2
	v_mov_b32_e32 v36, v8
	s_mov_b32 s24, exec_lo
	s_delay_alu instid0(VALU_DEP_3)
	v_mov_b32_e32 v35, v7
	v_cmpx_gt_u32_e32 8, v2
; %bb.495:                              ;   in Loop: Header=BB354_16 Depth=1
	v_clz_i32_u32_e32 v1, v7
	s_delay_alu instid0(VALU_DEP_1) | instskip(NEXT) | instid1(VALU_DEP_1)
	v_min_u32_e32 v1, 32, v1
	v_subrev_nc_u32_e32 v2, 28, v1
	v_sub_nc_u32_e32 v1, 29, v1
	s_delay_alu instid0(VALU_DEP_2) | instskip(NEXT) | instid1(VALU_DEP_1)
	v_lshlrev_b64 v[2:3], v2, v[7:8]
	v_and_b32_e32 v35, 7, v2
; %bb.496:                              ;   in Loop: Header=BB354_16 Depth=1
	s_or_b32 exec_lo, exec_lo, s24
	v_lshlrev_b32_e32 v0, 8, v0
	v_lshl_add_u32 v1, v1, 10, 0x2000
	s_delay_alu instid0(VALU_DEP_1) | instskip(NEXT) | instid1(VALU_DEP_1)
	v_and_or_b32 v0, 0x8000, v0, v1
	v_lshl_or_b32 v0, v35, 7, v0
	s_delay_alu instid0(VALU_DEP_1)
	v_cvt_f32_f16_e32 v46, v0
.LBB354_497:                            ;   in Loop: Header=BB354_16 Depth=1
	s_or_b32 exec_lo, exec_lo, s23
.LBB354_498:                            ;   in Loop: Header=BB354_16 Depth=1
	s_delay_alu instid0(SALU_CYCLE_1)
	s_or_b32 exec_lo, exec_lo, s22
.LBB354_499:                            ;   in Loop: Header=BB354_16 Depth=1
	s_delay_alu instid0(SALU_CYCLE_1) | instskip(SKIP_3) | instid1(VALU_DEP_2)
	s_or_b32 exec_lo, exec_lo, s21
	v_dual_mov_b32 v7, v34 :: v_dual_and_b32 v0, 0xff, v34
	v_dual_mov_b32 v56, 0 :: v_dual_mov_b32 v47, 0
	s_mov_b32 s21, exec_lo
	v_cmpx_ne_u16_e32 0, v0
	s_cbranch_execz .LBB354_507
; %bb.500:                              ;   in Loop: Header=BB354_16 Depth=1
	v_bfrev_b32_e32 v47, 1
	s_mov_b32 s22, exec_lo
	v_cmpx_ne_u16_e32 0x80, v0
	s_cbranch_execz .LBB354_506
; %bb.501:                              ;   in Loop: Header=BB354_16 Depth=1
	v_and_b32_e32 v1, 0x7f, v34
	v_mov_b32_e32 v47, 0x7fc02000
	s_mov_b32 s23, exec_lo
	s_delay_alu instid0(VALU_DEP_2)
	v_cmpx_ne_u32_e32 0x7f, v1
	s_cbranch_execz .LBB354_505
; %bb.502:                              ;   in Loop: Header=BB354_16 Depth=1
	v_lshrrev_b32_e32 v0, 3, v1
	v_dual_mov_b32 v36, v8 :: v_dual_mov_b32 v35, v7
	s_mov_b32 s24, exec_lo
	v_cmpx_gt_u32_e32 8, v1
; %bb.503:                              ;   in Loop: Header=BB354_16 Depth=1
	v_and_b32_e32 v0, 7, v34
	s_delay_alu instid0(VALU_DEP_1) | instskip(NEXT) | instid1(VALU_DEP_1)
	v_clz_i32_u32_e32 v0, v0
	v_min_u32_e32 v0, 32, v0
	s_delay_alu instid0(VALU_DEP_1) | instskip(SKIP_1) | instid1(VALU_DEP_2)
	v_subrev_nc_u32_e32 v1, 28, v0
	v_sub_nc_u32_e32 v0, 29, v0
	v_lshlrev_b64 v[35:36], v1, v[7:8]
; %bb.504:                              ;   in Loop: Header=BB354_16 Depth=1
	s_or_b32 exec_lo, exec_lo, s24
	v_lshlrev_b32_e32 v1, 8, v34
	s_delay_alu instid0(VALU_DEP_3) | instskip(NEXT) | instid1(VALU_DEP_3)
	v_lshl_add_u32 v0, v0, 10, 0x2000
	v_lshlrev_b32_e32 v2, 7, v35
	s_delay_alu instid0(VALU_DEP_2) | instskip(NEXT) | instid1(VALU_DEP_1)
	v_and_or_b32 v0, 0x8000, v1, v0
	v_and_or_b32 v0, 0x380, v2, v0
	s_delay_alu instid0(VALU_DEP_1)
	v_cvt_f32_f16_e32 v47, v0
.LBB354_505:                            ;   in Loop: Header=BB354_16 Depth=1
	s_or_b32 exec_lo, exec_lo, s23
.LBB354_506:                            ;   in Loop: Header=BB354_16 Depth=1
	s_delay_alu instid0(SALU_CYCLE_1)
	s_or_b32 exec_lo, exec_lo, s22
.LBB354_507:                            ;   in Loop: Header=BB354_16 Depth=1
	s_delay_alu instid0(SALU_CYCLE_1) | instskip(SKIP_2) | instid1(VALU_DEP_1)
	s_or_b32 exec_lo, exec_lo, s21
	v_lshrrev_b16 v0, 8, v7
	s_mov_b32 s21, exec_lo
	v_cmpx_ne_u16_e32 0, v0
	s_cbranch_execz .LBB354_515
; %bb.508:                              ;   in Loop: Header=BB354_16 Depth=1
	v_bfrev_b32_e32 v56, 1
	s_mov_b32 s22, exec_lo
	v_cmpx_ne_u16_e32 0x80, v0
	s_cbranch_execz .LBB354_514
; %bb.509:                              ;   in Loop: Header=BB354_16 Depth=1
	v_and_b32_e32 v0, 0xffff, v0
	v_mov_b32_e32 v56, 0x7fc02000
	s_mov_b32 s23, exec_lo
	s_delay_alu instid0(VALU_DEP_2) | instskip(NEXT) | instid1(VALU_DEP_1)
	v_and_b32_e32 v2, 0x7f, v0
	v_cmpx_ne_u32_e32 0x7f, v2
	s_cbranch_execz .LBB354_513
; %bb.510:                              ;   in Loop: Header=BB354_16 Depth=1
	v_and_b32_e32 v7, 7, v0
	v_lshrrev_b32_e32 v1, 3, v2
	v_mov_b32_e32 v36, v8
	s_mov_b32 s24, exec_lo
	s_delay_alu instid0(VALU_DEP_3)
	v_mov_b32_e32 v35, v7
	v_cmpx_gt_u32_e32 8, v2
; %bb.511:                              ;   in Loop: Header=BB354_16 Depth=1
	v_clz_i32_u32_e32 v1, v7
	s_delay_alu instid0(VALU_DEP_1) | instskip(NEXT) | instid1(VALU_DEP_1)
	v_min_u32_e32 v1, 32, v1
	v_subrev_nc_u32_e32 v2, 28, v1
	v_sub_nc_u32_e32 v1, 29, v1
	s_delay_alu instid0(VALU_DEP_2) | instskip(NEXT) | instid1(VALU_DEP_1)
	v_lshlrev_b64 v[2:3], v2, v[7:8]
	v_and_b32_e32 v35, 7, v2
; %bb.512:                              ;   in Loop: Header=BB354_16 Depth=1
	s_or_b32 exec_lo, exec_lo, s24
	v_lshlrev_b32_e32 v0, 8, v0
	v_lshl_add_u32 v1, v1, 10, 0x2000
	s_delay_alu instid0(VALU_DEP_1) | instskip(NEXT) | instid1(VALU_DEP_1)
	v_and_or_b32 v0, 0x8000, v0, v1
	v_lshl_or_b32 v0, v35, 7, v0
	s_delay_alu instid0(VALU_DEP_1)
	v_cvt_f32_f16_e32 v56, v0
.LBB354_513:                            ;   in Loop: Header=BB354_16 Depth=1
	s_or_b32 exec_lo, exec_lo, s23
.LBB354_514:                            ;   in Loop: Header=BB354_16 Depth=1
	s_delay_alu instid0(SALU_CYCLE_1)
	s_or_b32 exec_lo, exec_lo, s22
.LBB354_515:                            ;   in Loop: Header=BB354_16 Depth=1
	s_delay_alu instid0(SALU_CYCLE_1) | instskip(SKIP_3) | instid1(VALU_DEP_2)
	s_or_b32 exec_lo, exec_lo, s21
	v_lshrrev_b32_e32 v0, 16, v34
	v_mov_b32_e32 v57, 0
	s_mov_b32 s21, exec_lo
	v_dual_mov_b32 v58, 0 :: v_dual_and_b32 v1, 0xff, v0
	s_delay_alu instid0(VALU_DEP_1)
	v_cmpx_ne_u16_e32 0, v1
	s_cbranch_execz .LBB354_523
; %bb.516:                              ;   in Loop: Header=BB354_16 Depth=1
	v_bfrev_b32_e32 v58, 1
	s_mov_b32 s22, exec_lo
	v_cmpx_ne_u16_e32 0x80, v1
	s_cbranch_execz .LBB354_522
; %bb.517:                              ;   in Loop: Header=BB354_16 Depth=1
	v_bfe_u32 v2, v34, 16, 7
	v_mov_b32_e32 v58, 0x7fc02000
	s_mov_b32 s23, exec_lo
	s_delay_alu instid0(VALU_DEP_2)
	v_cmpx_ne_u32_e32 0x7f, v2
	s_cbranch_execz .LBB354_521
; %bb.518:                              ;   in Loop: Header=BB354_16 Depth=1
	v_and_b32_e32 v7, 7, v0
	v_lshrrev_b32_e32 v1, 3, v2
	v_mov_b32_e32 v36, v8
	s_mov_b32 s24, exec_lo
	s_delay_alu instid0(VALU_DEP_3)
	v_mov_b32_e32 v35, v7
	v_cmpx_gt_u32_e32 8, v2
; %bb.519:                              ;   in Loop: Header=BB354_16 Depth=1
	v_clz_i32_u32_e32 v1, v7
	s_delay_alu instid0(VALU_DEP_1) | instskip(NEXT) | instid1(VALU_DEP_1)
	v_min_u32_e32 v1, 32, v1
	v_subrev_nc_u32_e32 v2, 28, v1
	v_sub_nc_u32_e32 v1, 29, v1
	s_delay_alu instid0(VALU_DEP_2) | instskip(NEXT) | instid1(VALU_DEP_1)
	v_lshlrev_b64 v[2:3], v2, v[7:8]
	v_and_b32_e32 v35, 7, v2
; %bb.520:                              ;   in Loop: Header=BB354_16 Depth=1
	s_or_b32 exec_lo, exec_lo, s24
	v_lshlrev_b32_e32 v0, 8, v0
	v_lshl_add_u32 v1, v1, 10, 0x2000
	s_delay_alu instid0(VALU_DEP_1) | instskip(NEXT) | instid1(VALU_DEP_1)
	v_and_or_b32 v0, 0x8000, v0, v1
	v_lshl_or_b32 v0, v35, 7, v0
	s_delay_alu instid0(VALU_DEP_1)
	v_cvt_f32_f16_e32 v58, v0
.LBB354_521:                            ;   in Loop: Header=BB354_16 Depth=1
	s_or_b32 exec_lo, exec_lo, s23
.LBB354_522:                            ;   in Loop: Header=BB354_16 Depth=1
	s_delay_alu instid0(SALU_CYCLE_1)
	s_or_b32 exec_lo, exec_lo, s22
.LBB354_523:                            ;   in Loop: Header=BB354_16 Depth=1
	s_delay_alu instid0(SALU_CYCLE_1) | instskip(NEXT) | instid1(SALU_CYCLE_1)
	s_or_b32 exec_lo, exec_lo, s21
	s_mov_b32 s21, exec_lo
	v_cmpx_lt_u64_e64 s[8:9], v[33:34]
	s_cbranch_execz .LBB354_531
; %bb.524:                              ;   in Loop: Header=BB354_16 Depth=1
	v_lshrrev_b32_e32 v0, 24, v34
	v_bfrev_b32_e32 v57, 1
	s_mov_b32 s22, exec_lo
	s_delay_alu instid0(VALU_DEP_2)
	v_cmpx_ne_u32_e32 0x80, v0
	s_cbranch_execz .LBB354_530
; %bb.525:                              ;   in Loop: Header=BB354_16 Depth=1
	v_and_b32_e32 v2, 0x7f, v0
	v_mov_b32_e32 v57, 0x7fc02000
	s_mov_b32 s23, exec_lo
	s_delay_alu instid0(VALU_DEP_2)
	v_cmpx_ne_u32_e32 0x7f, v2
	s_cbranch_execz .LBB354_529
; %bb.526:                              ;   in Loop: Header=BB354_16 Depth=1
	v_and_b32_e32 v7, 7, v0
	v_lshrrev_b32_e32 v1, 3, v2
	v_mov_b32_e32 v34, v8
	s_mov_b32 s24, exec_lo
	s_delay_alu instid0(VALU_DEP_3)
	v_mov_b32_e32 v33, v7
	v_cmpx_gt_u32_e32 8, v2
; %bb.527:                              ;   in Loop: Header=BB354_16 Depth=1
	v_clz_i32_u32_e32 v1, v7
	s_delay_alu instid0(VALU_DEP_1) | instskip(NEXT) | instid1(VALU_DEP_1)
	v_min_u32_e32 v1, 32, v1
	v_subrev_nc_u32_e32 v2, 28, v1
	v_sub_nc_u32_e32 v1, 29, v1
	s_delay_alu instid0(VALU_DEP_2) | instskip(NEXT) | instid1(VALU_DEP_1)
	v_lshlrev_b64 v[2:3], v2, v[7:8]
	v_and_b32_e32 v33, 7, v2
; %bb.528:                              ;   in Loop: Header=BB354_16 Depth=1
	s_or_b32 exec_lo, exec_lo, s24
	v_lshlrev_b32_e32 v0, 8, v0
	v_lshl_add_u32 v1, v1, 10, 0x2000
	s_delay_alu instid0(VALU_DEP_1) | instskip(NEXT) | instid1(VALU_DEP_1)
	v_and_or_b32 v0, 0x8000, v0, v1
	v_lshl_or_b32 v0, v33, 7, v0
	s_delay_alu instid0(VALU_DEP_1)
	v_cvt_f32_f16_e32 v57, v0
.LBB354_529:                            ;   in Loop: Header=BB354_16 Depth=1
	s_or_b32 exec_lo, exec_lo, s23
.LBB354_530:                            ;   in Loop: Header=BB354_16 Depth=1
	s_delay_alu instid0(SALU_CYCLE_1)
	s_or_b32 exec_lo, exec_lo, s22
.LBB354_531:                            ;   in Loop: Header=BB354_16 Depth=1
	s_delay_alu instid0(SALU_CYCLE_1)
	s_or_b32 exec_lo, exec_lo, s21
	flat_load_b64 v[33:34], v[31:32] offset:2048
	v_mov_b32_e32 v60, 0
	s_mov_b32 s21, exec_lo
	s_waitcnt vmcnt(0) lgkmcnt(0)
	v_dual_mov_b32 v59, 0 :: v_dual_and_b32 v0, 0xff, v33
	s_delay_alu instid0(VALU_DEP_1)
	v_cmpx_ne_u16_e32 0, v0
	s_cbranch_execz .LBB354_539
; %bb.532:                              ;   in Loop: Header=BB354_16 Depth=1
	v_bfrev_b32_e32 v59, 1
	s_mov_b32 s22, exec_lo
	v_cmpx_ne_u16_e32 0x80, v0
	s_cbranch_execz .LBB354_538
; %bb.533:                              ;   in Loop: Header=BB354_16 Depth=1
	v_and_b32_e32 v1, 0x7f, v33
	v_mov_b32_e32 v59, 0x7fc02000
	s_mov_b32 s23, exec_lo
	s_delay_alu instid0(VALU_DEP_2)
	v_cmpx_ne_u32_e32 0x7f, v1
	s_cbranch_execz .LBB354_537
; %bb.534:                              ;   in Loop: Header=BB354_16 Depth=1
	v_lshrrev_b32_e32 v0, 3, v1
	v_dual_mov_b32 v36, v34 :: v_dual_mov_b32 v35, v33
	s_mov_b32 s24, exec_lo
	v_cmpx_gt_u32_e32 8, v1
; %bb.535:                              ;   in Loop: Header=BB354_16 Depth=1
	v_and_b32_e32 v0, 7, v33
	s_delay_alu instid0(VALU_DEP_1) | instskip(NEXT) | instid1(VALU_DEP_1)
	v_clz_i32_u32_e32 v0, v0
	v_min_u32_e32 v0, 32, v0
	s_delay_alu instid0(VALU_DEP_1) | instskip(SKIP_1) | instid1(VALU_DEP_2)
	v_subrev_nc_u32_e32 v1, 28, v0
	v_sub_nc_u32_e32 v0, 29, v0
	v_lshlrev_b64 v[35:36], v1, v[33:34]
; %bb.536:                              ;   in Loop: Header=BB354_16 Depth=1
	s_or_b32 exec_lo, exec_lo, s24
	v_lshlrev_b32_e32 v1, 8, v33
	s_delay_alu instid0(VALU_DEP_3) | instskip(NEXT) | instid1(VALU_DEP_3)
	v_lshl_add_u32 v0, v0, 10, 0x2000
	v_lshlrev_b32_e32 v2, 7, v35
	s_delay_alu instid0(VALU_DEP_2) | instskip(NEXT) | instid1(VALU_DEP_1)
	v_and_or_b32 v0, 0x8000, v1, v0
	v_and_or_b32 v0, 0x380, v2, v0
	s_delay_alu instid0(VALU_DEP_1)
	v_cvt_f32_f16_e32 v59, v0
.LBB354_537:                            ;   in Loop: Header=BB354_16 Depth=1
	s_or_b32 exec_lo, exec_lo, s23
.LBB354_538:                            ;   in Loop: Header=BB354_16 Depth=1
	s_delay_alu instid0(SALU_CYCLE_1)
	s_or_b32 exec_lo, exec_lo, s22
.LBB354_539:                            ;   in Loop: Header=BB354_16 Depth=1
	s_delay_alu instid0(SALU_CYCLE_1) | instskip(SKIP_2) | instid1(VALU_DEP_1)
	s_or_b32 exec_lo, exec_lo, s21
	v_lshrrev_b16 v0, 8, v33
	s_mov_b32 s21, exec_lo
	v_cmpx_ne_u16_e32 0, v0
	s_cbranch_execz .LBB354_547
; %bb.540:                              ;   in Loop: Header=BB354_16 Depth=1
	v_bfrev_b32_e32 v60, 1
	s_mov_b32 s22, exec_lo
	v_cmpx_ne_u16_e32 0x80, v0
	s_cbranch_execz .LBB354_546
; %bb.541:                              ;   in Loop: Header=BB354_16 Depth=1
	v_and_b32_e32 v0, 0xffff, v0
	v_mov_b32_e32 v60, 0x7fc02000
	s_mov_b32 s23, exec_lo
	s_delay_alu instid0(VALU_DEP_2) | instskip(NEXT) | instid1(VALU_DEP_1)
	v_and_b32_e32 v2, 0x7f, v0
	v_cmpx_ne_u32_e32 0x7f, v2
	s_cbranch_execz .LBB354_545
; %bb.542:                              ;   in Loop: Header=BB354_16 Depth=1
	v_and_b32_e32 v7, 7, v0
	v_lshrrev_b32_e32 v1, 3, v2
	v_mov_b32_e32 v36, v8
	s_mov_b32 s24, exec_lo
	s_delay_alu instid0(VALU_DEP_3)
	v_mov_b32_e32 v35, v7
	v_cmpx_gt_u32_e32 8, v2
; %bb.543:                              ;   in Loop: Header=BB354_16 Depth=1
	v_clz_i32_u32_e32 v1, v7
	s_delay_alu instid0(VALU_DEP_1) | instskip(NEXT) | instid1(VALU_DEP_1)
	v_min_u32_e32 v1, 32, v1
	v_subrev_nc_u32_e32 v2, 28, v1
	v_sub_nc_u32_e32 v1, 29, v1
	s_delay_alu instid0(VALU_DEP_2) | instskip(NEXT) | instid1(VALU_DEP_1)
	v_lshlrev_b64 v[2:3], v2, v[7:8]
	v_and_b32_e32 v35, 7, v2
; %bb.544:                              ;   in Loop: Header=BB354_16 Depth=1
	s_or_b32 exec_lo, exec_lo, s24
	v_lshlrev_b32_e32 v0, 8, v0
	v_lshl_add_u32 v1, v1, 10, 0x2000
	s_delay_alu instid0(VALU_DEP_1) | instskip(NEXT) | instid1(VALU_DEP_1)
	v_and_or_b32 v0, 0x8000, v0, v1
	v_lshl_or_b32 v0, v35, 7, v0
	s_delay_alu instid0(VALU_DEP_1)
	v_cvt_f32_f16_e32 v60, v0
.LBB354_545:                            ;   in Loop: Header=BB354_16 Depth=1
	s_or_b32 exec_lo, exec_lo, s23
.LBB354_546:                            ;   in Loop: Header=BB354_16 Depth=1
	s_delay_alu instid0(SALU_CYCLE_1)
	s_or_b32 exec_lo, exec_lo, s22
.LBB354_547:                            ;   in Loop: Header=BB354_16 Depth=1
	s_delay_alu instid0(SALU_CYCLE_1) | instskip(SKIP_3) | instid1(VALU_DEP_2)
	s_or_b32 exec_lo, exec_lo, s21
	v_lshrrev_b32_e32 v0, 16, v33
	v_mov_b32_e32 v61, 0
	s_mov_b32 s21, exec_lo
	v_dual_mov_b32 v62, 0 :: v_dual_and_b32 v1, 0xff, v0
	s_delay_alu instid0(VALU_DEP_1)
	v_cmpx_ne_u16_e32 0, v1
	s_cbranch_execz .LBB354_555
; %bb.548:                              ;   in Loop: Header=BB354_16 Depth=1
	v_bfrev_b32_e32 v61, 1
	s_mov_b32 s22, exec_lo
	v_cmpx_ne_u16_e32 0x80, v1
	s_cbranch_execz .LBB354_554
; %bb.549:                              ;   in Loop: Header=BB354_16 Depth=1
	v_bfe_u32 v2, v33, 16, 7
	v_mov_b32_e32 v61, 0x7fc02000
	s_mov_b32 s23, exec_lo
	s_delay_alu instid0(VALU_DEP_2)
	v_cmpx_ne_u32_e32 0x7f, v2
	s_cbranch_execz .LBB354_553
; %bb.550:                              ;   in Loop: Header=BB354_16 Depth=1
	v_and_b32_e32 v7, 7, v0
	v_lshrrev_b32_e32 v1, 3, v2
	v_mov_b32_e32 v36, v8
	s_mov_b32 s24, exec_lo
	s_delay_alu instid0(VALU_DEP_3)
	v_mov_b32_e32 v35, v7
	v_cmpx_gt_u32_e32 8, v2
; %bb.551:                              ;   in Loop: Header=BB354_16 Depth=1
	v_clz_i32_u32_e32 v1, v7
	s_delay_alu instid0(VALU_DEP_1) | instskip(NEXT) | instid1(VALU_DEP_1)
	v_min_u32_e32 v1, 32, v1
	v_subrev_nc_u32_e32 v2, 28, v1
	v_sub_nc_u32_e32 v1, 29, v1
	s_delay_alu instid0(VALU_DEP_2) | instskip(NEXT) | instid1(VALU_DEP_1)
	v_lshlrev_b64 v[2:3], v2, v[7:8]
	v_and_b32_e32 v35, 7, v2
; %bb.552:                              ;   in Loop: Header=BB354_16 Depth=1
	s_or_b32 exec_lo, exec_lo, s24
	v_lshlrev_b32_e32 v0, 8, v0
	v_lshl_add_u32 v1, v1, 10, 0x2000
	s_delay_alu instid0(VALU_DEP_1) | instskip(NEXT) | instid1(VALU_DEP_1)
	v_and_or_b32 v0, 0x8000, v0, v1
	v_lshl_or_b32 v0, v35, 7, v0
	s_delay_alu instid0(VALU_DEP_1)
	v_cvt_f32_f16_e32 v61, v0
.LBB354_553:                            ;   in Loop: Header=BB354_16 Depth=1
	s_or_b32 exec_lo, exec_lo, s23
.LBB354_554:                            ;   in Loop: Header=BB354_16 Depth=1
	s_delay_alu instid0(SALU_CYCLE_1)
	s_or_b32 exec_lo, exec_lo, s22
.LBB354_555:                            ;   in Loop: Header=BB354_16 Depth=1
	s_delay_alu instid0(SALU_CYCLE_1) | instskip(NEXT) | instid1(SALU_CYCLE_1)
	s_or_b32 exec_lo, exec_lo, s21
	s_mov_b32 s21, exec_lo
	v_cmpx_lt_u32_e32 0xffffff, v33
	s_cbranch_execz .LBB354_563
; %bb.556:                              ;   in Loop: Header=BB354_16 Depth=1
	v_lshrrev_b32_e32 v0, 24, v33
	v_bfrev_b32_e32 v62, 1
	s_mov_b32 s22, exec_lo
	s_delay_alu instid0(VALU_DEP_2)
	v_cmpx_ne_u32_e32 0x80, v0
	s_cbranch_execz .LBB354_562
; %bb.557:                              ;   in Loop: Header=BB354_16 Depth=1
	v_and_b32_e32 v2, 0x7f, v0
	v_mov_b32_e32 v62, 0x7fc02000
	s_mov_b32 s23, exec_lo
	s_delay_alu instid0(VALU_DEP_2)
	v_cmpx_ne_u32_e32 0x7f, v2
	s_cbranch_execz .LBB354_561
; %bb.558:                              ;   in Loop: Header=BB354_16 Depth=1
	v_and_b32_e32 v7, 7, v0
	v_lshrrev_b32_e32 v1, 3, v2
	v_mov_b32_e32 v36, v8
	s_mov_b32 s24, exec_lo
	s_delay_alu instid0(VALU_DEP_3)
	v_mov_b32_e32 v35, v7
	v_cmpx_gt_u32_e32 8, v2
; %bb.559:                              ;   in Loop: Header=BB354_16 Depth=1
	v_clz_i32_u32_e32 v1, v7
	s_delay_alu instid0(VALU_DEP_1) | instskip(NEXT) | instid1(VALU_DEP_1)
	v_min_u32_e32 v1, 32, v1
	v_subrev_nc_u32_e32 v2, 28, v1
	v_sub_nc_u32_e32 v1, 29, v1
	s_delay_alu instid0(VALU_DEP_2) | instskip(NEXT) | instid1(VALU_DEP_1)
	v_lshlrev_b64 v[2:3], v2, v[7:8]
	v_and_b32_e32 v35, 7, v2
; %bb.560:                              ;   in Loop: Header=BB354_16 Depth=1
	s_or_b32 exec_lo, exec_lo, s24
	v_lshlrev_b32_e32 v0, 8, v0
	v_lshl_add_u32 v1, v1, 10, 0x2000
	s_delay_alu instid0(VALU_DEP_1) | instskip(NEXT) | instid1(VALU_DEP_1)
	v_and_or_b32 v0, 0x8000, v0, v1
	v_lshl_or_b32 v0, v35, 7, v0
	s_delay_alu instid0(VALU_DEP_1)
	v_cvt_f32_f16_e32 v62, v0
.LBB354_561:                            ;   in Loop: Header=BB354_16 Depth=1
	s_or_b32 exec_lo, exec_lo, s23
.LBB354_562:                            ;   in Loop: Header=BB354_16 Depth=1
	s_delay_alu instid0(SALU_CYCLE_1)
	s_or_b32 exec_lo, exec_lo, s22
.LBB354_563:                            ;   in Loop: Header=BB354_16 Depth=1
	s_delay_alu instid0(SALU_CYCLE_1) | instskip(SKIP_3) | instid1(VALU_DEP_2)
	s_or_b32 exec_lo, exec_lo, s21
	v_dual_mov_b32 v7, v34 :: v_dual_and_b32 v0, 0xff, v34
	v_dual_mov_b32 v72, 0 :: v_dual_mov_b32 v63, 0
	s_mov_b32 s21, exec_lo
	v_cmpx_ne_u16_e32 0, v0
	s_cbranch_execz .LBB354_571
; %bb.564:                              ;   in Loop: Header=BB354_16 Depth=1
	v_bfrev_b32_e32 v63, 1
	s_mov_b32 s22, exec_lo
	v_cmpx_ne_u16_e32 0x80, v0
	s_cbranch_execz .LBB354_570
; %bb.565:                              ;   in Loop: Header=BB354_16 Depth=1
	v_and_b32_e32 v1, 0x7f, v34
	v_mov_b32_e32 v63, 0x7fc02000
	s_mov_b32 s23, exec_lo
	s_delay_alu instid0(VALU_DEP_2)
	v_cmpx_ne_u32_e32 0x7f, v1
	s_cbranch_execz .LBB354_569
; %bb.566:                              ;   in Loop: Header=BB354_16 Depth=1
	v_lshrrev_b32_e32 v0, 3, v1
	v_dual_mov_b32 v36, v8 :: v_dual_mov_b32 v35, v7
	s_mov_b32 s24, exec_lo
	v_cmpx_gt_u32_e32 8, v1
; %bb.567:                              ;   in Loop: Header=BB354_16 Depth=1
	v_and_b32_e32 v0, 7, v34
	s_delay_alu instid0(VALU_DEP_1) | instskip(NEXT) | instid1(VALU_DEP_1)
	v_clz_i32_u32_e32 v0, v0
	v_min_u32_e32 v0, 32, v0
	s_delay_alu instid0(VALU_DEP_1) | instskip(SKIP_1) | instid1(VALU_DEP_2)
	v_subrev_nc_u32_e32 v1, 28, v0
	v_sub_nc_u32_e32 v0, 29, v0
	v_lshlrev_b64 v[35:36], v1, v[7:8]
; %bb.568:                              ;   in Loop: Header=BB354_16 Depth=1
	s_or_b32 exec_lo, exec_lo, s24
	v_lshlrev_b32_e32 v1, 8, v34
	s_delay_alu instid0(VALU_DEP_3) | instskip(NEXT) | instid1(VALU_DEP_3)
	v_lshl_add_u32 v0, v0, 10, 0x2000
	v_lshlrev_b32_e32 v2, 7, v35
	s_delay_alu instid0(VALU_DEP_2) | instskip(NEXT) | instid1(VALU_DEP_1)
	v_and_or_b32 v0, 0x8000, v1, v0
	v_and_or_b32 v0, 0x380, v2, v0
	s_delay_alu instid0(VALU_DEP_1)
	v_cvt_f32_f16_e32 v63, v0
.LBB354_569:                            ;   in Loop: Header=BB354_16 Depth=1
	s_or_b32 exec_lo, exec_lo, s23
.LBB354_570:                            ;   in Loop: Header=BB354_16 Depth=1
	s_delay_alu instid0(SALU_CYCLE_1)
	s_or_b32 exec_lo, exec_lo, s22
.LBB354_571:                            ;   in Loop: Header=BB354_16 Depth=1
	s_delay_alu instid0(SALU_CYCLE_1) | instskip(SKIP_2) | instid1(VALU_DEP_1)
	s_or_b32 exec_lo, exec_lo, s21
	v_lshrrev_b16 v0, 8, v7
	s_mov_b32 s21, exec_lo
	v_cmpx_ne_u16_e32 0, v0
	s_cbranch_execz .LBB354_579
; %bb.572:                              ;   in Loop: Header=BB354_16 Depth=1
	v_bfrev_b32_e32 v72, 1
	s_mov_b32 s22, exec_lo
	v_cmpx_ne_u16_e32 0x80, v0
	s_cbranch_execz .LBB354_578
; %bb.573:                              ;   in Loop: Header=BB354_16 Depth=1
	v_and_b32_e32 v0, 0xffff, v0
	v_mov_b32_e32 v72, 0x7fc02000
	s_mov_b32 s23, exec_lo
	s_delay_alu instid0(VALU_DEP_2) | instskip(NEXT) | instid1(VALU_DEP_1)
	v_and_b32_e32 v2, 0x7f, v0
	v_cmpx_ne_u32_e32 0x7f, v2
	s_cbranch_execz .LBB354_577
; %bb.574:                              ;   in Loop: Header=BB354_16 Depth=1
	v_and_b32_e32 v7, 7, v0
	v_lshrrev_b32_e32 v1, 3, v2
	v_mov_b32_e32 v36, v8
	s_mov_b32 s24, exec_lo
	s_delay_alu instid0(VALU_DEP_3)
	v_mov_b32_e32 v35, v7
	v_cmpx_gt_u32_e32 8, v2
; %bb.575:                              ;   in Loop: Header=BB354_16 Depth=1
	v_clz_i32_u32_e32 v1, v7
	s_delay_alu instid0(VALU_DEP_1) | instskip(NEXT) | instid1(VALU_DEP_1)
	v_min_u32_e32 v1, 32, v1
	v_subrev_nc_u32_e32 v2, 28, v1
	v_sub_nc_u32_e32 v1, 29, v1
	s_delay_alu instid0(VALU_DEP_2) | instskip(NEXT) | instid1(VALU_DEP_1)
	v_lshlrev_b64 v[2:3], v2, v[7:8]
	v_and_b32_e32 v35, 7, v2
; %bb.576:                              ;   in Loop: Header=BB354_16 Depth=1
	s_or_b32 exec_lo, exec_lo, s24
	v_lshlrev_b32_e32 v0, 8, v0
	v_lshl_add_u32 v1, v1, 10, 0x2000
	s_delay_alu instid0(VALU_DEP_1) | instskip(NEXT) | instid1(VALU_DEP_1)
	v_and_or_b32 v0, 0x8000, v0, v1
	v_lshl_or_b32 v0, v35, 7, v0
	s_delay_alu instid0(VALU_DEP_1)
	v_cvt_f32_f16_e32 v72, v0
.LBB354_577:                            ;   in Loop: Header=BB354_16 Depth=1
	s_or_b32 exec_lo, exec_lo, s23
.LBB354_578:                            ;   in Loop: Header=BB354_16 Depth=1
	s_delay_alu instid0(SALU_CYCLE_1)
	s_or_b32 exec_lo, exec_lo, s22
.LBB354_579:                            ;   in Loop: Header=BB354_16 Depth=1
	s_delay_alu instid0(SALU_CYCLE_1) | instskip(SKIP_3) | instid1(VALU_DEP_2)
	s_or_b32 exec_lo, exec_lo, s21
	v_lshrrev_b32_e32 v0, 16, v34
	v_mov_b32_e32 v73, 0
	s_mov_b32 s21, exec_lo
	v_dual_mov_b32 v74, 0 :: v_dual_and_b32 v1, 0xff, v0
	s_delay_alu instid0(VALU_DEP_1)
	v_cmpx_ne_u16_e32 0, v1
	s_cbranch_execz .LBB354_587
; %bb.580:                              ;   in Loop: Header=BB354_16 Depth=1
	v_bfrev_b32_e32 v74, 1
	s_mov_b32 s22, exec_lo
	v_cmpx_ne_u16_e32 0x80, v1
	s_cbranch_execz .LBB354_586
; %bb.581:                              ;   in Loop: Header=BB354_16 Depth=1
	v_bfe_u32 v2, v34, 16, 7
	v_mov_b32_e32 v74, 0x7fc02000
	s_mov_b32 s23, exec_lo
	s_delay_alu instid0(VALU_DEP_2)
	v_cmpx_ne_u32_e32 0x7f, v2
	s_cbranch_execz .LBB354_585
; %bb.582:                              ;   in Loop: Header=BB354_16 Depth=1
	v_and_b32_e32 v7, 7, v0
	v_lshrrev_b32_e32 v1, 3, v2
	v_mov_b32_e32 v36, v8
	s_mov_b32 s24, exec_lo
	s_delay_alu instid0(VALU_DEP_3)
	v_mov_b32_e32 v35, v7
	v_cmpx_gt_u32_e32 8, v2
; %bb.583:                              ;   in Loop: Header=BB354_16 Depth=1
	v_clz_i32_u32_e32 v1, v7
	s_delay_alu instid0(VALU_DEP_1) | instskip(NEXT) | instid1(VALU_DEP_1)
	v_min_u32_e32 v1, 32, v1
	v_subrev_nc_u32_e32 v2, 28, v1
	v_sub_nc_u32_e32 v1, 29, v1
	s_delay_alu instid0(VALU_DEP_2) | instskip(NEXT) | instid1(VALU_DEP_1)
	v_lshlrev_b64 v[2:3], v2, v[7:8]
	v_and_b32_e32 v35, 7, v2
; %bb.584:                              ;   in Loop: Header=BB354_16 Depth=1
	s_or_b32 exec_lo, exec_lo, s24
	v_lshlrev_b32_e32 v0, 8, v0
	v_lshl_add_u32 v1, v1, 10, 0x2000
	s_delay_alu instid0(VALU_DEP_1) | instskip(NEXT) | instid1(VALU_DEP_1)
	v_and_or_b32 v0, 0x8000, v0, v1
	v_lshl_or_b32 v0, v35, 7, v0
	s_delay_alu instid0(VALU_DEP_1)
	v_cvt_f32_f16_e32 v74, v0
.LBB354_585:                            ;   in Loop: Header=BB354_16 Depth=1
	s_or_b32 exec_lo, exec_lo, s23
.LBB354_586:                            ;   in Loop: Header=BB354_16 Depth=1
	s_delay_alu instid0(SALU_CYCLE_1)
	s_or_b32 exec_lo, exec_lo, s22
.LBB354_587:                            ;   in Loop: Header=BB354_16 Depth=1
	s_delay_alu instid0(SALU_CYCLE_1) | instskip(NEXT) | instid1(SALU_CYCLE_1)
	s_or_b32 exec_lo, exec_lo, s21
	s_mov_b32 s21, exec_lo
	v_cmpx_lt_u64_e64 s[8:9], v[33:34]
	s_cbranch_execz .LBB354_595
; %bb.588:                              ;   in Loop: Header=BB354_16 Depth=1
	v_lshrrev_b32_e32 v0, 24, v34
	v_bfrev_b32_e32 v73, 1
	s_mov_b32 s22, exec_lo
	s_delay_alu instid0(VALU_DEP_2)
	v_cmpx_ne_u32_e32 0x80, v0
	s_cbranch_execz .LBB354_594
; %bb.589:                              ;   in Loop: Header=BB354_16 Depth=1
	v_and_b32_e32 v2, 0x7f, v0
	v_mov_b32_e32 v73, 0x7fc02000
	s_mov_b32 s23, exec_lo
	s_delay_alu instid0(VALU_DEP_2)
	v_cmpx_ne_u32_e32 0x7f, v2
	s_cbranch_execz .LBB354_593
; %bb.590:                              ;   in Loop: Header=BB354_16 Depth=1
	v_and_b32_e32 v7, 7, v0
	v_lshrrev_b32_e32 v1, 3, v2
	v_mov_b32_e32 v34, v8
	s_mov_b32 s24, exec_lo
	s_delay_alu instid0(VALU_DEP_3)
	v_mov_b32_e32 v33, v7
	v_cmpx_gt_u32_e32 8, v2
; %bb.591:                              ;   in Loop: Header=BB354_16 Depth=1
	v_clz_i32_u32_e32 v1, v7
	s_delay_alu instid0(VALU_DEP_1) | instskip(NEXT) | instid1(VALU_DEP_1)
	v_min_u32_e32 v1, 32, v1
	v_subrev_nc_u32_e32 v2, 28, v1
	v_sub_nc_u32_e32 v1, 29, v1
	s_delay_alu instid0(VALU_DEP_2) | instskip(NEXT) | instid1(VALU_DEP_1)
	v_lshlrev_b64 v[2:3], v2, v[7:8]
	v_and_b32_e32 v33, 7, v2
; %bb.592:                              ;   in Loop: Header=BB354_16 Depth=1
	s_or_b32 exec_lo, exec_lo, s24
	v_lshlrev_b32_e32 v0, 8, v0
	v_lshl_add_u32 v1, v1, 10, 0x2000
	s_delay_alu instid0(VALU_DEP_1) | instskip(NEXT) | instid1(VALU_DEP_1)
	v_and_or_b32 v0, 0x8000, v0, v1
	v_lshl_or_b32 v0, v33, 7, v0
	s_delay_alu instid0(VALU_DEP_1)
	v_cvt_f32_f16_e32 v73, v0
.LBB354_593:                            ;   in Loop: Header=BB354_16 Depth=1
	s_or_b32 exec_lo, exec_lo, s23
.LBB354_594:                            ;   in Loop: Header=BB354_16 Depth=1
	s_delay_alu instid0(SALU_CYCLE_1)
	s_or_b32 exec_lo, exec_lo, s22
.LBB354_595:                            ;   in Loop: Header=BB354_16 Depth=1
	s_delay_alu instid0(SALU_CYCLE_1)
	s_or_b32 exec_lo, exec_lo, s21
	flat_load_b64 v[33:34], v[31:32] offset:2056
	v_mov_b32_e32 v76, 0
	s_mov_b32 s21, exec_lo
	s_waitcnt vmcnt(0) lgkmcnt(0)
	v_dual_mov_b32 v75, 0 :: v_dual_and_b32 v0, 0xff, v33
	s_delay_alu instid0(VALU_DEP_1)
	v_cmpx_ne_u16_e32 0, v0
	s_cbranch_execz .LBB354_603
; %bb.596:                              ;   in Loop: Header=BB354_16 Depth=1
	v_bfrev_b32_e32 v75, 1
	s_mov_b32 s22, exec_lo
	v_cmpx_ne_u16_e32 0x80, v0
	s_cbranch_execz .LBB354_602
; %bb.597:                              ;   in Loop: Header=BB354_16 Depth=1
	v_and_b32_e32 v1, 0x7f, v33
	v_mov_b32_e32 v75, 0x7fc02000
	s_mov_b32 s23, exec_lo
	s_delay_alu instid0(VALU_DEP_2)
	v_cmpx_ne_u32_e32 0x7f, v1
	s_cbranch_execz .LBB354_601
; %bb.598:                              ;   in Loop: Header=BB354_16 Depth=1
	v_lshrrev_b32_e32 v0, 3, v1
	v_dual_mov_b32 v36, v34 :: v_dual_mov_b32 v35, v33
	s_mov_b32 s24, exec_lo
	v_cmpx_gt_u32_e32 8, v1
; %bb.599:                              ;   in Loop: Header=BB354_16 Depth=1
	v_and_b32_e32 v0, 7, v33
	s_delay_alu instid0(VALU_DEP_1) | instskip(NEXT) | instid1(VALU_DEP_1)
	v_clz_i32_u32_e32 v0, v0
	v_min_u32_e32 v0, 32, v0
	s_delay_alu instid0(VALU_DEP_1) | instskip(SKIP_1) | instid1(VALU_DEP_2)
	v_subrev_nc_u32_e32 v1, 28, v0
	v_sub_nc_u32_e32 v0, 29, v0
	v_lshlrev_b64 v[35:36], v1, v[33:34]
; %bb.600:                              ;   in Loop: Header=BB354_16 Depth=1
	s_or_b32 exec_lo, exec_lo, s24
	v_lshlrev_b32_e32 v1, 8, v33
	s_delay_alu instid0(VALU_DEP_3) | instskip(NEXT) | instid1(VALU_DEP_3)
	v_lshl_add_u32 v0, v0, 10, 0x2000
	v_lshlrev_b32_e32 v2, 7, v35
	s_delay_alu instid0(VALU_DEP_2) | instskip(NEXT) | instid1(VALU_DEP_1)
	v_and_or_b32 v0, 0x8000, v1, v0
	v_and_or_b32 v0, 0x380, v2, v0
	s_delay_alu instid0(VALU_DEP_1)
	v_cvt_f32_f16_e32 v75, v0
.LBB354_601:                            ;   in Loop: Header=BB354_16 Depth=1
	s_or_b32 exec_lo, exec_lo, s23
.LBB354_602:                            ;   in Loop: Header=BB354_16 Depth=1
	s_delay_alu instid0(SALU_CYCLE_1)
	s_or_b32 exec_lo, exec_lo, s22
.LBB354_603:                            ;   in Loop: Header=BB354_16 Depth=1
	s_delay_alu instid0(SALU_CYCLE_1) | instskip(SKIP_2) | instid1(VALU_DEP_1)
	s_or_b32 exec_lo, exec_lo, s21
	v_lshrrev_b16 v0, 8, v33
	s_mov_b32 s21, exec_lo
	v_cmpx_ne_u16_e32 0, v0
	s_cbranch_execz .LBB354_611
; %bb.604:                              ;   in Loop: Header=BB354_16 Depth=1
	v_bfrev_b32_e32 v76, 1
	s_mov_b32 s22, exec_lo
	v_cmpx_ne_u16_e32 0x80, v0
	s_cbranch_execz .LBB354_610
; %bb.605:                              ;   in Loop: Header=BB354_16 Depth=1
	v_and_b32_e32 v0, 0xffff, v0
	v_mov_b32_e32 v76, 0x7fc02000
	s_mov_b32 s23, exec_lo
	s_delay_alu instid0(VALU_DEP_2) | instskip(NEXT) | instid1(VALU_DEP_1)
	v_and_b32_e32 v2, 0x7f, v0
	v_cmpx_ne_u32_e32 0x7f, v2
	s_cbranch_execz .LBB354_609
; %bb.606:                              ;   in Loop: Header=BB354_16 Depth=1
	v_and_b32_e32 v7, 7, v0
	v_lshrrev_b32_e32 v1, 3, v2
	v_mov_b32_e32 v36, v8
	s_mov_b32 s24, exec_lo
	s_delay_alu instid0(VALU_DEP_3)
	v_mov_b32_e32 v35, v7
	v_cmpx_gt_u32_e32 8, v2
; %bb.607:                              ;   in Loop: Header=BB354_16 Depth=1
	v_clz_i32_u32_e32 v1, v7
	s_delay_alu instid0(VALU_DEP_1) | instskip(NEXT) | instid1(VALU_DEP_1)
	v_min_u32_e32 v1, 32, v1
	v_subrev_nc_u32_e32 v2, 28, v1
	v_sub_nc_u32_e32 v1, 29, v1
	s_delay_alu instid0(VALU_DEP_2) | instskip(NEXT) | instid1(VALU_DEP_1)
	v_lshlrev_b64 v[2:3], v2, v[7:8]
	v_and_b32_e32 v35, 7, v2
; %bb.608:                              ;   in Loop: Header=BB354_16 Depth=1
	s_or_b32 exec_lo, exec_lo, s24
	v_lshlrev_b32_e32 v0, 8, v0
	v_lshl_add_u32 v1, v1, 10, 0x2000
	s_delay_alu instid0(VALU_DEP_1) | instskip(NEXT) | instid1(VALU_DEP_1)
	v_and_or_b32 v0, 0x8000, v0, v1
	v_lshl_or_b32 v0, v35, 7, v0
	s_delay_alu instid0(VALU_DEP_1)
	v_cvt_f32_f16_e32 v76, v0
.LBB354_609:                            ;   in Loop: Header=BB354_16 Depth=1
	s_or_b32 exec_lo, exec_lo, s23
.LBB354_610:                            ;   in Loop: Header=BB354_16 Depth=1
	s_delay_alu instid0(SALU_CYCLE_1)
	s_or_b32 exec_lo, exec_lo, s22
.LBB354_611:                            ;   in Loop: Header=BB354_16 Depth=1
	s_delay_alu instid0(SALU_CYCLE_1) | instskip(SKIP_3) | instid1(VALU_DEP_2)
	s_or_b32 exec_lo, exec_lo, s21
	v_lshrrev_b32_e32 v0, 16, v33
	v_mov_b32_e32 v77, 0
	s_mov_b32 s21, exec_lo
	v_dual_mov_b32 v78, 0 :: v_dual_and_b32 v1, 0xff, v0
	s_delay_alu instid0(VALU_DEP_1)
	v_cmpx_ne_u16_e32 0, v1
	s_cbranch_execz .LBB354_619
; %bb.612:                              ;   in Loop: Header=BB354_16 Depth=1
	v_bfrev_b32_e32 v77, 1
	s_mov_b32 s22, exec_lo
	v_cmpx_ne_u16_e32 0x80, v1
	s_cbranch_execz .LBB354_618
; %bb.613:                              ;   in Loop: Header=BB354_16 Depth=1
	v_bfe_u32 v2, v33, 16, 7
	v_mov_b32_e32 v77, 0x7fc02000
	s_mov_b32 s23, exec_lo
	s_delay_alu instid0(VALU_DEP_2)
	v_cmpx_ne_u32_e32 0x7f, v2
	s_cbranch_execz .LBB354_617
; %bb.614:                              ;   in Loop: Header=BB354_16 Depth=1
	v_and_b32_e32 v7, 7, v0
	v_lshrrev_b32_e32 v1, 3, v2
	v_mov_b32_e32 v36, v8
	s_mov_b32 s24, exec_lo
	s_delay_alu instid0(VALU_DEP_3)
	v_mov_b32_e32 v35, v7
	v_cmpx_gt_u32_e32 8, v2
; %bb.615:                              ;   in Loop: Header=BB354_16 Depth=1
	v_clz_i32_u32_e32 v1, v7
	s_delay_alu instid0(VALU_DEP_1) | instskip(NEXT) | instid1(VALU_DEP_1)
	v_min_u32_e32 v1, 32, v1
	v_subrev_nc_u32_e32 v2, 28, v1
	v_sub_nc_u32_e32 v1, 29, v1
	s_delay_alu instid0(VALU_DEP_2) | instskip(NEXT) | instid1(VALU_DEP_1)
	v_lshlrev_b64 v[2:3], v2, v[7:8]
	v_and_b32_e32 v35, 7, v2
; %bb.616:                              ;   in Loop: Header=BB354_16 Depth=1
	s_or_b32 exec_lo, exec_lo, s24
	v_lshlrev_b32_e32 v0, 8, v0
	v_lshl_add_u32 v1, v1, 10, 0x2000
	s_delay_alu instid0(VALU_DEP_1) | instskip(NEXT) | instid1(VALU_DEP_1)
	v_and_or_b32 v0, 0x8000, v0, v1
	v_lshl_or_b32 v0, v35, 7, v0
	s_delay_alu instid0(VALU_DEP_1)
	v_cvt_f32_f16_e32 v77, v0
.LBB354_617:                            ;   in Loop: Header=BB354_16 Depth=1
	s_or_b32 exec_lo, exec_lo, s23
.LBB354_618:                            ;   in Loop: Header=BB354_16 Depth=1
	s_delay_alu instid0(SALU_CYCLE_1)
	s_or_b32 exec_lo, exec_lo, s22
.LBB354_619:                            ;   in Loop: Header=BB354_16 Depth=1
	s_delay_alu instid0(SALU_CYCLE_1) | instskip(NEXT) | instid1(SALU_CYCLE_1)
	s_or_b32 exec_lo, exec_lo, s21
	s_mov_b32 s21, exec_lo
	v_cmpx_lt_u32_e32 0xffffff, v33
	s_cbranch_execz .LBB354_627
; %bb.620:                              ;   in Loop: Header=BB354_16 Depth=1
	v_lshrrev_b32_e32 v0, 24, v33
	v_bfrev_b32_e32 v78, 1
	s_mov_b32 s22, exec_lo
	s_delay_alu instid0(VALU_DEP_2)
	v_cmpx_ne_u32_e32 0x80, v0
	s_cbranch_execz .LBB354_626
; %bb.621:                              ;   in Loop: Header=BB354_16 Depth=1
	v_and_b32_e32 v2, 0x7f, v0
	v_mov_b32_e32 v78, 0x7fc02000
	s_mov_b32 s23, exec_lo
	s_delay_alu instid0(VALU_DEP_2)
	v_cmpx_ne_u32_e32 0x7f, v2
	s_cbranch_execz .LBB354_625
; %bb.622:                              ;   in Loop: Header=BB354_16 Depth=1
	v_and_b32_e32 v7, 7, v0
	v_lshrrev_b32_e32 v1, 3, v2
	v_mov_b32_e32 v36, v8
	s_mov_b32 s24, exec_lo
	s_delay_alu instid0(VALU_DEP_3)
	v_mov_b32_e32 v35, v7
	v_cmpx_gt_u32_e32 8, v2
; %bb.623:                              ;   in Loop: Header=BB354_16 Depth=1
	v_clz_i32_u32_e32 v1, v7
	s_delay_alu instid0(VALU_DEP_1) | instskip(NEXT) | instid1(VALU_DEP_1)
	v_min_u32_e32 v1, 32, v1
	v_subrev_nc_u32_e32 v2, 28, v1
	v_sub_nc_u32_e32 v1, 29, v1
	s_delay_alu instid0(VALU_DEP_2) | instskip(NEXT) | instid1(VALU_DEP_1)
	v_lshlrev_b64 v[2:3], v2, v[7:8]
	v_and_b32_e32 v35, 7, v2
; %bb.624:                              ;   in Loop: Header=BB354_16 Depth=1
	s_or_b32 exec_lo, exec_lo, s24
	v_lshlrev_b32_e32 v0, 8, v0
	v_lshl_add_u32 v1, v1, 10, 0x2000
	s_delay_alu instid0(VALU_DEP_1) | instskip(NEXT) | instid1(VALU_DEP_1)
	v_and_or_b32 v0, 0x8000, v0, v1
	v_lshl_or_b32 v0, v35, 7, v0
	s_delay_alu instid0(VALU_DEP_1)
	v_cvt_f32_f16_e32 v78, v0
.LBB354_625:                            ;   in Loop: Header=BB354_16 Depth=1
	s_or_b32 exec_lo, exec_lo, s23
.LBB354_626:                            ;   in Loop: Header=BB354_16 Depth=1
	s_delay_alu instid0(SALU_CYCLE_1)
	s_or_b32 exec_lo, exec_lo, s22
.LBB354_627:                            ;   in Loop: Header=BB354_16 Depth=1
	s_delay_alu instid0(SALU_CYCLE_1) | instskip(SKIP_3) | instid1(VALU_DEP_2)
	s_or_b32 exec_lo, exec_lo, s21
	v_dual_mov_b32 v7, v34 :: v_dual_and_b32 v0, 0xff, v34
	v_dual_mov_b32 v88, 0 :: v_dual_mov_b32 v79, 0
	s_mov_b32 s21, exec_lo
	v_cmpx_ne_u16_e32 0, v0
	s_cbranch_execz .LBB354_635
; %bb.628:                              ;   in Loop: Header=BB354_16 Depth=1
	v_bfrev_b32_e32 v79, 1
	s_mov_b32 s22, exec_lo
	v_cmpx_ne_u16_e32 0x80, v0
	s_cbranch_execz .LBB354_634
; %bb.629:                              ;   in Loop: Header=BB354_16 Depth=1
	v_and_b32_e32 v1, 0x7f, v34
	v_mov_b32_e32 v79, 0x7fc02000
	s_mov_b32 s23, exec_lo
	s_delay_alu instid0(VALU_DEP_2)
	v_cmpx_ne_u32_e32 0x7f, v1
	s_cbranch_execz .LBB354_633
; %bb.630:                              ;   in Loop: Header=BB354_16 Depth=1
	v_lshrrev_b32_e32 v0, 3, v1
	v_dual_mov_b32 v36, v8 :: v_dual_mov_b32 v35, v7
	s_mov_b32 s24, exec_lo
	v_cmpx_gt_u32_e32 8, v1
; %bb.631:                              ;   in Loop: Header=BB354_16 Depth=1
	v_and_b32_e32 v0, 7, v34
	s_delay_alu instid0(VALU_DEP_1) | instskip(NEXT) | instid1(VALU_DEP_1)
	v_clz_i32_u32_e32 v0, v0
	v_min_u32_e32 v0, 32, v0
	s_delay_alu instid0(VALU_DEP_1) | instskip(SKIP_1) | instid1(VALU_DEP_2)
	v_subrev_nc_u32_e32 v1, 28, v0
	v_sub_nc_u32_e32 v0, 29, v0
	v_lshlrev_b64 v[35:36], v1, v[7:8]
; %bb.632:                              ;   in Loop: Header=BB354_16 Depth=1
	s_or_b32 exec_lo, exec_lo, s24
	v_lshlrev_b32_e32 v1, 8, v34
	s_delay_alu instid0(VALU_DEP_3) | instskip(NEXT) | instid1(VALU_DEP_3)
	v_lshl_add_u32 v0, v0, 10, 0x2000
	v_lshlrev_b32_e32 v2, 7, v35
	s_delay_alu instid0(VALU_DEP_2) | instskip(NEXT) | instid1(VALU_DEP_1)
	v_and_or_b32 v0, 0x8000, v1, v0
	v_and_or_b32 v0, 0x380, v2, v0
	s_delay_alu instid0(VALU_DEP_1)
	v_cvt_f32_f16_e32 v79, v0
.LBB354_633:                            ;   in Loop: Header=BB354_16 Depth=1
	s_or_b32 exec_lo, exec_lo, s23
.LBB354_634:                            ;   in Loop: Header=BB354_16 Depth=1
	s_delay_alu instid0(SALU_CYCLE_1)
	s_or_b32 exec_lo, exec_lo, s22
.LBB354_635:                            ;   in Loop: Header=BB354_16 Depth=1
	s_delay_alu instid0(SALU_CYCLE_1) | instskip(SKIP_2) | instid1(VALU_DEP_1)
	s_or_b32 exec_lo, exec_lo, s21
	v_lshrrev_b16 v0, 8, v7
	s_mov_b32 s21, exec_lo
	v_cmpx_ne_u16_e32 0, v0
	s_cbranch_execz .LBB354_643
; %bb.636:                              ;   in Loop: Header=BB354_16 Depth=1
	v_bfrev_b32_e32 v88, 1
	s_mov_b32 s22, exec_lo
	v_cmpx_ne_u16_e32 0x80, v0
	s_cbranch_execz .LBB354_642
; %bb.637:                              ;   in Loop: Header=BB354_16 Depth=1
	v_and_b32_e32 v0, 0xffff, v0
	v_mov_b32_e32 v88, 0x7fc02000
	s_mov_b32 s23, exec_lo
	s_delay_alu instid0(VALU_DEP_2) | instskip(NEXT) | instid1(VALU_DEP_1)
	v_and_b32_e32 v2, 0x7f, v0
	v_cmpx_ne_u32_e32 0x7f, v2
	s_cbranch_execz .LBB354_641
; %bb.638:                              ;   in Loop: Header=BB354_16 Depth=1
	v_and_b32_e32 v7, 7, v0
	v_lshrrev_b32_e32 v1, 3, v2
	v_mov_b32_e32 v36, v8
	s_mov_b32 s24, exec_lo
	s_delay_alu instid0(VALU_DEP_3)
	v_mov_b32_e32 v35, v7
	v_cmpx_gt_u32_e32 8, v2
; %bb.639:                              ;   in Loop: Header=BB354_16 Depth=1
	v_clz_i32_u32_e32 v1, v7
	s_delay_alu instid0(VALU_DEP_1) | instskip(NEXT) | instid1(VALU_DEP_1)
	v_min_u32_e32 v1, 32, v1
	v_subrev_nc_u32_e32 v2, 28, v1
	v_sub_nc_u32_e32 v1, 29, v1
	s_delay_alu instid0(VALU_DEP_2) | instskip(NEXT) | instid1(VALU_DEP_1)
	v_lshlrev_b64 v[2:3], v2, v[7:8]
	v_and_b32_e32 v35, 7, v2
; %bb.640:                              ;   in Loop: Header=BB354_16 Depth=1
	s_or_b32 exec_lo, exec_lo, s24
	v_lshlrev_b32_e32 v0, 8, v0
	v_lshl_add_u32 v1, v1, 10, 0x2000
	s_delay_alu instid0(VALU_DEP_1) | instskip(NEXT) | instid1(VALU_DEP_1)
	v_and_or_b32 v0, 0x8000, v0, v1
	v_lshl_or_b32 v0, v35, 7, v0
	s_delay_alu instid0(VALU_DEP_1)
	v_cvt_f32_f16_e32 v88, v0
.LBB354_641:                            ;   in Loop: Header=BB354_16 Depth=1
	s_or_b32 exec_lo, exec_lo, s23
.LBB354_642:                            ;   in Loop: Header=BB354_16 Depth=1
	s_delay_alu instid0(SALU_CYCLE_1)
	s_or_b32 exec_lo, exec_lo, s22
.LBB354_643:                            ;   in Loop: Header=BB354_16 Depth=1
	s_delay_alu instid0(SALU_CYCLE_1) | instskip(SKIP_3) | instid1(VALU_DEP_2)
	s_or_b32 exec_lo, exec_lo, s21
	v_lshrrev_b32_e32 v0, 16, v34
	v_mov_b32_e32 v89, 0
	s_mov_b32 s21, exec_lo
	v_dual_mov_b32 v90, 0 :: v_dual_and_b32 v1, 0xff, v0
	s_delay_alu instid0(VALU_DEP_1)
	v_cmpx_ne_u16_e32 0, v1
	s_cbranch_execz .LBB354_651
; %bb.644:                              ;   in Loop: Header=BB354_16 Depth=1
	v_bfrev_b32_e32 v90, 1
	s_mov_b32 s22, exec_lo
	v_cmpx_ne_u16_e32 0x80, v1
	s_cbranch_execz .LBB354_650
; %bb.645:                              ;   in Loop: Header=BB354_16 Depth=1
	v_bfe_u32 v2, v34, 16, 7
	v_mov_b32_e32 v90, 0x7fc02000
	s_mov_b32 s23, exec_lo
	s_delay_alu instid0(VALU_DEP_2)
	v_cmpx_ne_u32_e32 0x7f, v2
	s_cbranch_execz .LBB354_649
; %bb.646:                              ;   in Loop: Header=BB354_16 Depth=1
	v_and_b32_e32 v7, 7, v0
	v_lshrrev_b32_e32 v1, 3, v2
	v_mov_b32_e32 v36, v8
	s_mov_b32 s24, exec_lo
	s_delay_alu instid0(VALU_DEP_3)
	v_mov_b32_e32 v35, v7
	v_cmpx_gt_u32_e32 8, v2
; %bb.647:                              ;   in Loop: Header=BB354_16 Depth=1
	v_clz_i32_u32_e32 v1, v7
	s_delay_alu instid0(VALU_DEP_1) | instskip(NEXT) | instid1(VALU_DEP_1)
	v_min_u32_e32 v1, 32, v1
	v_subrev_nc_u32_e32 v2, 28, v1
	v_sub_nc_u32_e32 v1, 29, v1
	s_delay_alu instid0(VALU_DEP_2) | instskip(NEXT) | instid1(VALU_DEP_1)
	v_lshlrev_b64 v[2:3], v2, v[7:8]
	v_and_b32_e32 v35, 7, v2
; %bb.648:                              ;   in Loop: Header=BB354_16 Depth=1
	s_or_b32 exec_lo, exec_lo, s24
	v_lshlrev_b32_e32 v0, 8, v0
	v_lshl_add_u32 v1, v1, 10, 0x2000
	s_delay_alu instid0(VALU_DEP_1) | instskip(NEXT) | instid1(VALU_DEP_1)
	v_and_or_b32 v0, 0x8000, v0, v1
	v_lshl_or_b32 v0, v35, 7, v0
	s_delay_alu instid0(VALU_DEP_1)
	v_cvt_f32_f16_e32 v90, v0
.LBB354_649:                            ;   in Loop: Header=BB354_16 Depth=1
	s_or_b32 exec_lo, exec_lo, s23
.LBB354_650:                            ;   in Loop: Header=BB354_16 Depth=1
	s_delay_alu instid0(SALU_CYCLE_1)
	s_or_b32 exec_lo, exec_lo, s22
.LBB354_651:                            ;   in Loop: Header=BB354_16 Depth=1
	s_delay_alu instid0(SALU_CYCLE_1) | instskip(NEXT) | instid1(SALU_CYCLE_1)
	s_or_b32 exec_lo, exec_lo, s21
	s_mov_b32 s21, exec_lo
	v_cmpx_lt_u64_e64 s[8:9], v[33:34]
	s_cbranch_execz .LBB354_659
; %bb.652:                              ;   in Loop: Header=BB354_16 Depth=1
	v_lshrrev_b32_e32 v0, 24, v34
	v_bfrev_b32_e32 v89, 1
	s_mov_b32 s22, exec_lo
	s_delay_alu instid0(VALU_DEP_2)
	v_cmpx_ne_u32_e32 0x80, v0
	s_cbranch_execz .LBB354_658
; %bb.653:                              ;   in Loop: Header=BB354_16 Depth=1
	v_and_b32_e32 v2, 0x7f, v0
	v_mov_b32_e32 v89, 0x7fc02000
	s_mov_b32 s23, exec_lo
	s_delay_alu instid0(VALU_DEP_2)
	v_cmpx_ne_u32_e32 0x7f, v2
	s_cbranch_execz .LBB354_657
; %bb.654:                              ;   in Loop: Header=BB354_16 Depth=1
	v_and_b32_e32 v7, 7, v0
	v_lshrrev_b32_e32 v1, 3, v2
	v_mov_b32_e32 v34, v8
	s_mov_b32 s24, exec_lo
	s_delay_alu instid0(VALU_DEP_3)
	v_mov_b32_e32 v33, v7
	v_cmpx_gt_u32_e32 8, v2
; %bb.655:                              ;   in Loop: Header=BB354_16 Depth=1
	v_clz_i32_u32_e32 v1, v7
	s_delay_alu instid0(VALU_DEP_1) | instskip(NEXT) | instid1(VALU_DEP_1)
	v_min_u32_e32 v1, 32, v1
	v_subrev_nc_u32_e32 v2, 28, v1
	v_sub_nc_u32_e32 v1, 29, v1
	s_delay_alu instid0(VALU_DEP_2) | instskip(NEXT) | instid1(VALU_DEP_1)
	v_lshlrev_b64 v[2:3], v2, v[7:8]
	v_and_b32_e32 v33, 7, v2
; %bb.656:                              ;   in Loop: Header=BB354_16 Depth=1
	s_or_b32 exec_lo, exec_lo, s24
	v_lshlrev_b32_e32 v0, 8, v0
	v_lshl_add_u32 v1, v1, 10, 0x2000
	s_delay_alu instid0(VALU_DEP_1) | instskip(NEXT) | instid1(VALU_DEP_1)
	v_and_or_b32 v0, 0x8000, v0, v1
	v_lshl_or_b32 v0, v33, 7, v0
	s_delay_alu instid0(VALU_DEP_1)
	v_cvt_f32_f16_e32 v89, v0
.LBB354_657:                            ;   in Loop: Header=BB354_16 Depth=1
	s_or_b32 exec_lo, exec_lo, s23
.LBB354_658:                            ;   in Loop: Header=BB354_16 Depth=1
	s_delay_alu instid0(SALU_CYCLE_1)
	s_or_b32 exec_lo, exec_lo, s22
.LBB354_659:                            ;   in Loop: Header=BB354_16 Depth=1
	s_delay_alu instid0(SALU_CYCLE_1)
	s_or_b32 exec_lo, exec_lo, s21
	flat_load_b64 v[33:34], v[31:32] offset:2560
	v_mov_b32_e32 v92, 0
	s_mov_b32 s21, exec_lo
	s_waitcnt vmcnt(0) lgkmcnt(0)
	v_dual_mov_b32 v91, 0 :: v_dual_and_b32 v0, 0xff, v33
	s_delay_alu instid0(VALU_DEP_1)
	v_cmpx_ne_u16_e32 0, v0
	s_cbranch_execz .LBB354_667
; %bb.660:                              ;   in Loop: Header=BB354_16 Depth=1
	v_bfrev_b32_e32 v91, 1
	s_mov_b32 s22, exec_lo
	v_cmpx_ne_u16_e32 0x80, v0
	s_cbranch_execz .LBB354_666
; %bb.661:                              ;   in Loop: Header=BB354_16 Depth=1
	v_and_b32_e32 v1, 0x7f, v33
	v_mov_b32_e32 v91, 0x7fc02000
	s_mov_b32 s23, exec_lo
	s_delay_alu instid0(VALU_DEP_2)
	v_cmpx_ne_u32_e32 0x7f, v1
	s_cbranch_execz .LBB354_665
; %bb.662:                              ;   in Loop: Header=BB354_16 Depth=1
	v_lshrrev_b32_e32 v0, 3, v1
	v_dual_mov_b32 v36, v34 :: v_dual_mov_b32 v35, v33
	s_mov_b32 s24, exec_lo
	v_cmpx_gt_u32_e32 8, v1
; %bb.663:                              ;   in Loop: Header=BB354_16 Depth=1
	v_and_b32_e32 v0, 7, v33
	s_delay_alu instid0(VALU_DEP_1) | instskip(NEXT) | instid1(VALU_DEP_1)
	v_clz_i32_u32_e32 v0, v0
	v_min_u32_e32 v0, 32, v0
	s_delay_alu instid0(VALU_DEP_1) | instskip(SKIP_1) | instid1(VALU_DEP_2)
	v_subrev_nc_u32_e32 v1, 28, v0
	v_sub_nc_u32_e32 v0, 29, v0
	v_lshlrev_b64 v[35:36], v1, v[33:34]
; %bb.664:                              ;   in Loop: Header=BB354_16 Depth=1
	s_or_b32 exec_lo, exec_lo, s24
	v_lshlrev_b32_e32 v1, 8, v33
	s_delay_alu instid0(VALU_DEP_3) | instskip(NEXT) | instid1(VALU_DEP_3)
	v_lshl_add_u32 v0, v0, 10, 0x2000
	v_lshlrev_b32_e32 v2, 7, v35
	s_delay_alu instid0(VALU_DEP_2) | instskip(NEXT) | instid1(VALU_DEP_1)
	v_and_or_b32 v0, 0x8000, v1, v0
	v_and_or_b32 v0, 0x380, v2, v0
	s_delay_alu instid0(VALU_DEP_1)
	v_cvt_f32_f16_e32 v91, v0
.LBB354_665:                            ;   in Loop: Header=BB354_16 Depth=1
	s_or_b32 exec_lo, exec_lo, s23
.LBB354_666:                            ;   in Loop: Header=BB354_16 Depth=1
	s_delay_alu instid0(SALU_CYCLE_1)
	s_or_b32 exec_lo, exec_lo, s22
.LBB354_667:                            ;   in Loop: Header=BB354_16 Depth=1
	s_delay_alu instid0(SALU_CYCLE_1) | instskip(SKIP_2) | instid1(VALU_DEP_1)
	s_or_b32 exec_lo, exec_lo, s21
	v_lshrrev_b16 v0, 8, v33
	s_mov_b32 s21, exec_lo
	v_cmpx_ne_u16_e32 0, v0
	s_cbranch_execz .LBB354_675
; %bb.668:                              ;   in Loop: Header=BB354_16 Depth=1
	v_bfrev_b32_e32 v92, 1
	s_mov_b32 s22, exec_lo
	v_cmpx_ne_u16_e32 0x80, v0
	s_cbranch_execz .LBB354_674
; %bb.669:                              ;   in Loop: Header=BB354_16 Depth=1
	v_and_b32_e32 v0, 0xffff, v0
	v_mov_b32_e32 v92, 0x7fc02000
	s_mov_b32 s23, exec_lo
	s_delay_alu instid0(VALU_DEP_2) | instskip(NEXT) | instid1(VALU_DEP_1)
	v_and_b32_e32 v2, 0x7f, v0
	v_cmpx_ne_u32_e32 0x7f, v2
	s_cbranch_execz .LBB354_673
; %bb.670:                              ;   in Loop: Header=BB354_16 Depth=1
	v_and_b32_e32 v7, 7, v0
	v_lshrrev_b32_e32 v1, 3, v2
	v_mov_b32_e32 v36, v8
	s_mov_b32 s24, exec_lo
	s_delay_alu instid0(VALU_DEP_3)
	v_mov_b32_e32 v35, v7
	v_cmpx_gt_u32_e32 8, v2
; %bb.671:                              ;   in Loop: Header=BB354_16 Depth=1
	v_clz_i32_u32_e32 v1, v7
	s_delay_alu instid0(VALU_DEP_1) | instskip(NEXT) | instid1(VALU_DEP_1)
	v_min_u32_e32 v1, 32, v1
	v_subrev_nc_u32_e32 v2, 28, v1
	v_sub_nc_u32_e32 v1, 29, v1
	s_delay_alu instid0(VALU_DEP_2) | instskip(NEXT) | instid1(VALU_DEP_1)
	v_lshlrev_b64 v[2:3], v2, v[7:8]
	v_and_b32_e32 v35, 7, v2
; %bb.672:                              ;   in Loop: Header=BB354_16 Depth=1
	s_or_b32 exec_lo, exec_lo, s24
	v_lshlrev_b32_e32 v0, 8, v0
	v_lshl_add_u32 v1, v1, 10, 0x2000
	s_delay_alu instid0(VALU_DEP_1) | instskip(NEXT) | instid1(VALU_DEP_1)
	v_and_or_b32 v0, 0x8000, v0, v1
	v_lshl_or_b32 v0, v35, 7, v0
	s_delay_alu instid0(VALU_DEP_1)
	v_cvt_f32_f16_e32 v92, v0
.LBB354_673:                            ;   in Loop: Header=BB354_16 Depth=1
	s_or_b32 exec_lo, exec_lo, s23
.LBB354_674:                            ;   in Loop: Header=BB354_16 Depth=1
	s_delay_alu instid0(SALU_CYCLE_1)
	s_or_b32 exec_lo, exec_lo, s22
.LBB354_675:                            ;   in Loop: Header=BB354_16 Depth=1
	s_delay_alu instid0(SALU_CYCLE_1) | instskip(SKIP_3) | instid1(VALU_DEP_2)
	s_or_b32 exec_lo, exec_lo, s21
	v_lshrrev_b32_e32 v0, 16, v33
	v_mov_b32_e32 v93, 0
	s_mov_b32 s21, exec_lo
	v_dual_mov_b32 v94, 0 :: v_dual_and_b32 v1, 0xff, v0
	s_delay_alu instid0(VALU_DEP_1)
	v_cmpx_ne_u16_e32 0, v1
	s_cbranch_execz .LBB354_683
; %bb.676:                              ;   in Loop: Header=BB354_16 Depth=1
	v_bfrev_b32_e32 v93, 1
	s_mov_b32 s22, exec_lo
	v_cmpx_ne_u16_e32 0x80, v1
	s_cbranch_execz .LBB354_682
; %bb.677:                              ;   in Loop: Header=BB354_16 Depth=1
	v_bfe_u32 v2, v33, 16, 7
	v_mov_b32_e32 v93, 0x7fc02000
	s_mov_b32 s23, exec_lo
	s_delay_alu instid0(VALU_DEP_2)
	v_cmpx_ne_u32_e32 0x7f, v2
	s_cbranch_execz .LBB354_681
; %bb.678:                              ;   in Loop: Header=BB354_16 Depth=1
	v_and_b32_e32 v7, 7, v0
	v_lshrrev_b32_e32 v1, 3, v2
	v_mov_b32_e32 v36, v8
	s_mov_b32 s24, exec_lo
	s_delay_alu instid0(VALU_DEP_3)
	v_mov_b32_e32 v35, v7
	v_cmpx_gt_u32_e32 8, v2
; %bb.679:                              ;   in Loop: Header=BB354_16 Depth=1
	v_clz_i32_u32_e32 v1, v7
	s_delay_alu instid0(VALU_DEP_1) | instskip(NEXT) | instid1(VALU_DEP_1)
	v_min_u32_e32 v1, 32, v1
	v_subrev_nc_u32_e32 v2, 28, v1
	v_sub_nc_u32_e32 v1, 29, v1
	s_delay_alu instid0(VALU_DEP_2) | instskip(NEXT) | instid1(VALU_DEP_1)
	v_lshlrev_b64 v[2:3], v2, v[7:8]
	v_and_b32_e32 v35, 7, v2
; %bb.680:                              ;   in Loop: Header=BB354_16 Depth=1
	s_or_b32 exec_lo, exec_lo, s24
	v_lshlrev_b32_e32 v0, 8, v0
	v_lshl_add_u32 v1, v1, 10, 0x2000
	s_delay_alu instid0(VALU_DEP_1) | instskip(NEXT) | instid1(VALU_DEP_1)
	v_and_or_b32 v0, 0x8000, v0, v1
	v_lshl_or_b32 v0, v35, 7, v0
	s_delay_alu instid0(VALU_DEP_1)
	v_cvt_f32_f16_e32 v93, v0
.LBB354_681:                            ;   in Loop: Header=BB354_16 Depth=1
	s_or_b32 exec_lo, exec_lo, s23
.LBB354_682:                            ;   in Loop: Header=BB354_16 Depth=1
	s_delay_alu instid0(SALU_CYCLE_1)
	s_or_b32 exec_lo, exec_lo, s22
.LBB354_683:                            ;   in Loop: Header=BB354_16 Depth=1
	s_delay_alu instid0(SALU_CYCLE_1) | instskip(NEXT) | instid1(SALU_CYCLE_1)
	s_or_b32 exec_lo, exec_lo, s21
	s_mov_b32 s21, exec_lo
	v_cmpx_lt_u32_e32 0xffffff, v33
	s_cbranch_execz .LBB354_691
; %bb.684:                              ;   in Loop: Header=BB354_16 Depth=1
	v_lshrrev_b32_e32 v0, 24, v33
	v_bfrev_b32_e32 v94, 1
	s_mov_b32 s22, exec_lo
	s_delay_alu instid0(VALU_DEP_2)
	v_cmpx_ne_u32_e32 0x80, v0
	s_cbranch_execz .LBB354_690
; %bb.685:                              ;   in Loop: Header=BB354_16 Depth=1
	v_and_b32_e32 v2, 0x7f, v0
	v_mov_b32_e32 v94, 0x7fc02000
	s_mov_b32 s23, exec_lo
	s_delay_alu instid0(VALU_DEP_2)
	v_cmpx_ne_u32_e32 0x7f, v2
	s_cbranch_execz .LBB354_689
; %bb.686:                              ;   in Loop: Header=BB354_16 Depth=1
	v_and_b32_e32 v7, 7, v0
	v_lshrrev_b32_e32 v1, 3, v2
	v_mov_b32_e32 v36, v8
	s_mov_b32 s24, exec_lo
	s_delay_alu instid0(VALU_DEP_3)
	v_mov_b32_e32 v35, v7
	v_cmpx_gt_u32_e32 8, v2
; %bb.687:                              ;   in Loop: Header=BB354_16 Depth=1
	v_clz_i32_u32_e32 v1, v7
	s_delay_alu instid0(VALU_DEP_1) | instskip(NEXT) | instid1(VALU_DEP_1)
	v_min_u32_e32 v1, 32, v1
	v_subrev_nc_u32_e32 v2, 28, v1
	v_sub_nc_u32_e32 v1, 29, v1
	s_delay_alu instid0(VALU_DEP_2) | instskip(NEXT) | instid1(VALU_DEP_1)
	v_lshlrev_b64 v[2:3], v2, v[7:8]
	v_and_b32_e32 v35, 7, v2
; %bb.688:                              ;   in Loop: Header=BB354_16 Depth=1
	s_or_b32 exec_lo, exec_lo, s24
	v_lshlrev_b32_e32 v0, 8, v0
	v_lshl_add_u32 v1, v1, 10, 0x2000
	s_delay_alu instid0(VALU_DEP_1) | instskip(NEXT) | instid1(VALU_DEP_1)
	v_and_or_b32 v0, 0x8000, v0, v1
	v_lshl_or_b32 v0, v35, 7, v0
	s_delay_alu instid0(VALU_DEP_1)
	v_cvt_f32_f16_e32 v94, v0
.LBB354_689:                            ;   in Loop: Header=BB354_16 Depth=1
	s_or_b32 exec_lo, exec_lo, s23
.LBB354_690:                            ;   in Loop: Header=BB354_16 Depth=1
	s_delay_alu instid0(SALU_CYCLE_1)
	s_or_b32 exec_lo, exec_lo, s22
.LBB354_691:                            ;   in Loop: Header=BB354_16 Depth=1
	s_delay_alu instid0(SALU_CYCLE_1) | instskip(SKIP_3) | instid1(VALU_DEP_2)
	s_or_b32 exec_lo, exec_lo, s21
	v_dual_mov_b32 v7, v34 :: v_dual_and_b32 v0, 0xff, v34
	v_dual_mov_b32 v104, 0 :: v_dual_mov_b32 v95, 0
	s_mov_b32 s21, exec_lo
	v_cmpx_ne_u16_e32 0, v0
	s_cbranch_execz .LBB354_699
; %bb.692:                              ;   in Loop: Header=BB354_16 Depth=1
	v_bfrev_b32_e32 v95, 1
	s_mov_b32 s22, exec_lo
	v_cmpx_ne_u16_e32 0x80, v0
	s_cbranch_execz .LBB354_698
; %bb.693:                              ;   in Loop: Header=BB354_16 Depth=1
	v_and_b32_e32 v1, 0x7f, v34
	v_mov_b32_e32 v95, 0x7fc02000
	s_mov_b32 s23, exec_lo
	s_delay_alu instid0(VALU_DEP_2)
	v_cmpx_ne_u32_e32 0x7f, v1
	s_cbranch_execz .LBB354_697
; %bb.694:                              ;   in Loop: Header=BB354_16 Depth=1
	v_lshrrev_b32_e32 v0, 3, v1
	v_dual_mov_b32 v36, v8 :: v_dual_mov_b32 v35, v7
	s_mov_b32 s24, exec_lo
	v_cmpx_gt_u32_e32 8, v1
; %bb.695:                              ;   in Loop: Header=BB354_16 Depth=1
	v_and_b32_e32 v0, 7, v34
	s_delay_alu instid0(VALU_DEP_1) | instskip(NEXT) | instid1(VALU_DEP_1)
	v_clz_i32_u32_e32 v0, v0
	v_min_u32_e32 v0, 32, v0
	s_delay_alu instid0(VALU_DEP_1) | instskip(SKIP_1) | instid1(VALU_DEP_2)
	v_subrev_nc_u32_e32 v1, 28, v0
	v_sub_nc_u32_e32 v0, 29, v0
	v_lshlrev_b64 v[35:36], v1, v[7:8]
; %bb.696:                              ;   in Loop: Header=BB354_16 Depth=1
	s_or_b32 exec_lo, exec_lo, s24
	v_lshlrev_b32_e32 v1, 8, v34
	s_delay_alu instid0(VALU_DEP_3) | instskip(NEXT) | instid1(VALU_DEP_3)
	v_lshl_add_u32 v0, v0, 10, 0x2000
	v_lshlrev_b32_e32 v2, 7, v35
	s_delay_alu instid0(VALU_DEP_2) | instskip(NEXT) | instid1(VALU_DEP_1)
	v_and_or_b32 v0, 0x8000, v1, v0
	v_and_or_b32 v0, 0x380, v2, v0
	s_delay_alu instid0(VALU_DEP_1)
	v_cvt_f32_f16_e32 v95, v0
.LBB354_697:                            ;   in Loop: Header=BB354_16 Depth=1
	s_or_b32 exec_lo, exec_lo, s23
.LBB354_698:                            ;   in Loop: Header=BB354_16 Depth=1
	s_delay_alu instid0(SALU_CYCLE_1)
	s_or_b32 exec_lo, exec_lo, s22
.LBB354_699:                            ;   in Loop: Header=BB354_16 Depth=1
	s_delay_alu instid0(SALU_CYCLE_1) | instskip(SKIP_2) | instid1(VALU_DEP_1)
	s_or_b32 exec_lo, exec_lo, s21
	v_lshrrev_b16 v0, 8, v7
	s_mov_b32 s21, exec_lo
	v_cmpx_ne_u16_e32 0, v0
	s_cbranch_execz .LBB354_707
; %bb.700:                              ;   in Loop: Header=BB354_16 Depth=1
	v_bfrev_b32_e32 v104, 1
	s_mov_b32 s22, exec_lo
	v_cmpx_ne_u16_e32 0x80, v0
	s_cbranch_execz .LBB354_706
; %bb.701:                              ;   in Loop: Header=BB354_16 Depth=1
	v_and_b32_e32 v0, 0xffff, v0
	v_mov_b32_e32 v104, 0x7fc02000
	s_mov_b32 s23, exec_lo
	s_delay_alu instid0(VALU_DEP_2) | instskip(NEXT) | instid1(VALU_DEP_1)
	v_and_b32_e32 v2, 0x7f, v0
	v_cmpx_ne_u32_e32 0x7f, v2
	s_cbranch_execz .LBB354_705
; %bb.702:                              ;   in Loop: Header=BB354_16 Depth=1
	v_and_b32_e32 v7, 7, v0
	v_lshrrev_b32_e32 v1, 3, v2
	v_mov_b32_e32 v36, v8
	s_mov_b32 s24, exec_lo
	s_delay_alu instid0(VALU_DEP_3)
	v_mov_b32_e32 v35, v7
	v_cmpx_gt_u32_e32 8, v2
; %bb.703:                              ;   in Loop: Header=BB354_16 Depth=1
	v_clz_i32_u32_e32 v1, v7
	s_delay_alu instid0(VALU_DEP_1) | instskip(NEXT) | instid1(VALU_DEP_1)
	v_min_u32_e32 v1, 32, v1
	v_subrev_nc_u32_e32 v2, 28, v1
	v_sub_nc_u32_e32 v1, 29, v1
	s_delay_alu instid0(VALU_DEP_2) | instskip(NEXT) | instid1(VALU_DEP_1)
	v_lshlrev_b64 v[2:3], v2, v[7:8]
	v_and_b32_e32 v35, 7, v2
; %bb.704:                              ;   in Loop: Header=BB354_16 Depth=1
	s_or_b32 exec_lo, exec_lo, s24
	v_lshlrev_b32_e32 v0, 8, v0
	v_lshl_add_u32 v1, v1, 10, 0x2000
	s_delay_alu instid0(VALU_DEP_1) | instskip(NEXT) | instid1(VALU_DEP_1)
	v_and_or_b32 v0, 0x8000, v0, v1
	v_lshl_or_b32 v0, v35, 7, v0
	s_delay_alu instid0(VALU_DEP_1)
	v_cvt_f32_f16_e32 v104, v0
.LBB354_705:                            ;   in Loop: Header=BB354_16 Depth=1
	s_or_b32 exec_lo, exec_lo, s23
.LBB354_706:                            ;   in Loop: Header=BB354_16 Depth=1
	s_delay_alu instid0(SALU_CYCLE_1)
	s_or_b32 exec_lo, exec_lo, s22
.LBB354_707:                            ;   in Loop: Header=BB354_16 Depth=1
	s_delay_alu instid0(SALU_CYCLE_1) | instskip(SKIP_3) | instid1(VALU_DEP_2)
	s_or_b32 exec_lo, exec_lo, s21
	v_lshrrev_b32_e32 v0, 16, v34
	v_mov_b32_e32 v105, 0
	s_mov_b32 s21, exec_lo
	v_dual_mov_b32 v106, 0 :: v_dual_and_b32 v1, 0xff, v0
	s_delay_alu instid0(VALU_DEP_1)
	v_cmpx_ne_u16_e32 0, v1
	s_cbranch_execz .LBB354_715
; %bb.708:                              ;   in Loop: Header=BB354_16 Depth=1
	v_bfrev_b32_e32 v106, 1
	s_mov_b32 s22, exec_lo
	v_cmpx_ne_u16_e32 0x80, v1
	s_cbranch_execz .LBB354_714
; %bb.709:                              ;   in Loop: Header=BB354_16 Depth=1
	v_bfe_u32 v2, v34, 16, 7
	v_mov_b32_e32 v106, 0x7fc02000
	s_mov_b32 s23, exec_lo
	s_delay_alu instid0(VALU_DEP_2)
	v_cmpx_ne_u32_e32 0x7f, v2
	s_cbranch_execz .LBB354_713
; %bb.710:                              ;   in Loop: Header=BB354_16 Depth=1
	v_and_b32_e32 v7, 7, v0
	v_lshrrev_b32_e32 v1, 3, v2
	v_mov_b32_e32 v36, v8
	s_mov_b32 s24, exec_lo
	s_delay_alu instid0(VALU_DEP_3)
	v_mov_b32_e32 v35, v7
	v_cmpx_gt_u32_e32 8, v2
; %bb.711:                              ;   in Loop: Header=BB354_16 Depth=1
	v_clz_i32_u32_e32 v1, v7
	s_delay_alu instid0(VALU_DEP_1) | instskip(NEXT) | instid1(VALU_DEP_1)
	v_min_u32_e32 v1, 32, v1
	v_subrev_nc_u32_e32 v2, 28, v1
	v_sub_nc_u32_e32 v1, 29, v1
	s_delay_alu instid0(VALU_DEP_2) | instskip(NEXT) | instid1(VALU_DEP_1)
	v_lshlrev_b64 v[2:3], v2, v[7:8]
	v_and_b32_e32 v35, 7, v2
; %bb.712:                              ;   in Loop: Header=BB354_16 Depth=1
	s_or_b32 exec_lo, exec_lo, s24
	v_lshlrev_b32_e32 v0, 8, v0
	v_lshl_add_u32 v1, v1, 10, 0x2000
	s_delay_alu instid0(VALU_DEP_1) | instskip(NEXT) | instid1(VALU_DEP_1)
	v_and_or_b32 v0, 0x8000, v0, v1
	v_lshl_or_b32 v0, v35, 7, v0
	s_delay_alu instid0(VALU_DEP_1)
	v_cvt_f32_f16_e32 v106, v0
.LBB354_713:                            ;   in Loop: Header=BB354_16 Depth=1
	s_or_b32 exec_lo, exec_lo, s23
.LBB354_714:                            ;   in Loop: Header=BB354_16 Depth=1
	s_delay_alu instid0(SALU_CYCLE_1)
	s_or_b32 exec_lo, exec_lo, s22
.LBB354_715:                            ;   in Loop: Header=BB354_16 Depth=1
	s_delay_alu instid0(SALU_CYCLE_1) | instskip(NEXT) | instid1(SALU_CYCLE_1)
	s_or_b32 exec_lo, exec_lo, s21
	s_mov_b32 s21, exec_lo
	v_cmpx_lt_u64_e64 s[8:9], v[33:34]
	s_cbranch_execz .LBB354_723
; %bb.716:                              ;   in Loop: Header=BB354_16 Depth=1
	v_lshrrev_b32_e32 v0, 24, v34
	v_bfrev_b32_e32 v105, 1
	s_mov_b32 s22, exec_lo
	s_delay_alu instid0(VALU_DEP_2)
	v_cmpx_ne_u32_e32 0x80, v0
	s_cbranch_execz .LBB354_722
; %bb.717:                              ;   in Loop: Header=BB354_16 Depth=1
	v_and_b32_e32 v2, 0x7f, v0
	v_mov_b32_e32 v105, 0x7fc02000
	s_mov_b32 s23, exec_lo
	s_delay_alu instid0(VALU_DEP_2)
	v_cmpx_ne_u32_e32 0x7f, v2
	s_cbranch_execz .LBB354_721
; %bb.718:                              ;   in Loop: Header=BB354_16 Depth=1
	v_and_b32_e32 v7, 7, v0
	v_lshrrev_b32_e32 v1, 3, v2
	v_mov_b32_e32 v34, v8
	s_mov_b32 s24, exec_lo
	s_delay_alu instid0(VALU_DEP_3)
	v_mov_b32_e32 v33, v7
	v_cmpx_gt_u32_e32 8, v2
; %bb.719:                              ;   in Loop: Header=BB354_16 Depth=1
	v_clz_i32_u32_e32 v1, v7
	s_delay_alu instid0(VALU_DEP_1) | instskip(NEXT) | instid1(VALU_DEP_1)
	v_min_u32_e32 v1, 32, v1
	v_subrev_nc_u32_e32 v2, 28, v1
	v_sub_nc_u32_e32 v1, 29, v1
	s_delay_alu instid0(VALU_DEP_2) | instskip(NEXT) | instid1(VALU_DEP_1)
	v_lshlrev_b64 v[2:3], v2, v[7:8]
	v_and_b32_e32 v33, 7, v2
; %bb.720:                              ;   in Loop: Header=BB354_16 Depth=1
	s_or_b32 exec_lo, exec_lo, s24
	v_lshlrev_b32_e32 v0, 8, v0
	v_lshl_add_u32 v1, v1, 10, 0x2000
	s_delay_alu instid0(VALU_DEP_1) | instskip(NEXT) | instid1(VALU_DEP_1)
	v_and_or_b32 v0, 0x8000, v0, v1
	v_lshl_or_b32 v0, v33, 7, v0
	s_delay_alu instid0(VALU_DEP_1)
	v_cvt_f32_f16_e32 v105, v0
.LBB354_721:                            ;   in Loop: Header=BB354_16 Depth=1
	s_or_b32 exec_lo, exec_lo, s23
.LBB354_722:                            ;   in Loop: Header=BB354_16 Depth=1
	s_delay_alu instid0(SALU_CYCLE_1)
	s_or_b32 exec_lo, exec_lo, s22
.LBB354_723:                            ;   in Loop: Header=BB354_16 Depth=1
	s_delay_alu instid0(SALU_CYCLE_1)
	s_or_b32 exec_lo, exec_lo, s21
	flat_load_b64 v[33:34], v[31:32] offset:2568
	v_mov_b32_e32 v108, 0
	s_mov_b32 s21, exec_lo
	s_waitcnt vmcnt(0) lgkmcnt(0)
	v_dual_mov_b32 v107, 0 :: v_dual_and_b32 v0, 0xff, v33
	s_delay_alu instid0(VALU_DEP_1)
	v_cmpx_ne_u16_e32 0, v0
	s_cbranch_execz .LBB354_731
; %bb.724:                              ;   in Loop: Header=BB354_16 Depth=1
	v_bfrev_b32_e32 v107, 1
	s_mov_b32 s22, exec_lo
	v_cmpx_ne_u16_e32 0x80, v0
	s_cbranch_execz .LBB354_730
; %bb.725:                              ;   in Loop: Header=BB354_16 Depth=1
	v_and_b32_e32 v1, 0x7f, v33
	v_mov_b32_e32 v107, 0x7fc02000
	s_mov_b32 s23, exec_lo
	s_delay_alu instid0(VALU_DEP_2)
	v_cmpx_ne_u32_e32 0x7f, v1
	s_cbranch_execz .LBB354_729
; %bb.726:                              ;   in Loop: Header=BB354_16 Depth=1
	v_lshrrev_b32_e32 v0, 3, v1
	v_dual_mov_b32 v36, v34 :: v_dual_mov_b32 v35, v33
	s_mov_b32 s24, exec_lo
	v_cmpx_gt_u32_e32 8, v1
; %bb.727:                              ;   in Loop: Header=BB354_16 Depth=1
	v_and_b32_e32 v0, 7, v33
	s_delay_alu instid0(VALU_DEP_1) | instskip(NEXT) | instid1(VALU_DEP_1)
	v_clz_i32_u32_e32 v0, v0
	v_min_u32_e32 v0, 32, v0
	s_delay_alu instid0(VALU_DEP_1) | instskip(SKIP_1) | instid1(VALU_DEP_2)
	v_subrev_nc_u32_e32 v1, 28, v0
	v_sub_nc_u32_e32 v0, 29, v0
	v_lshlrev_b64 v[35:36], v1, v[33:34]
; %bb.728:                              ;   in Loop: Header=BB354_16 Depth=1
	s_or_b32 exec_lo, exec_lo, s24
	v_lshlrev_b32_e32 v1, 8, v33
	s_delay_alu instid0(VALU_DEP_3) | instskip(NEXT) | instid1(VALU_DEP_3)
	v_lshl_add_u32 v0, v0, 10, 0x2000
	v_lshlrev_b32_e32 v2, 7, v35
	s_delay_alu instid0(VALU_DEP_2) | instskip(NEXT) | instid1(VALU_DEP_1)
	v_and_or_b32 v0, 0x8000, v1, v0
	v_and_or_b32 v0, 0x380, v2, v0
	s_delay_alu instid0(VALU_DEP_1)
	v_cvt_f32_f16_e32 v107, v0
.LBB354_729:                            ;   in Loop: Header=BB354_16 Depth=1
	s_or_b32 exec_lo, exec_lo, s23
.LBB354_730:                            ;   in Loop: Header=BB354_16 Depth=1
	s_delay_alu instid0(SALU_CYCLE_1)
	s_or_b32 exec_lo, exec_lo, s22
.LBB354_731:                            ;   in Loop: Header=BB354_16 Depth=1
	s_delay_alu instid0(SALU_CYCLE_1) | instskip(SKIP_2) | instid1(VALU_DEP_1)
	s_or_b32 exec_lo, exec_lo, s21
	v_lshrrev_b16 v0, 8, v33
	s_mov_b32 s21, exec_lo
	v_cmpx_ne_u16_e32 0, v0
	s_cbranch_execz .LBB354_739
; %bb.732:                              ;   in Loop: Header=BB354_16 Depth=1
	v_bfrev_b32_e32 v108, 1
	s_mov_b32 s22, exec_lo
	v_cmpx_ne_u16_e32 0x80, v0
	s_cbranch_execz .LBB354_738
; %bb.733:                              ;   in Loop: Header=BB354_16 Depth=1
	v_and_b32_e32 v0, 0xffff, v0
	v_mov_b32_e32 v108, 0x7fc02000
	s_mov_b32 s23, exec_lo
	s_delay_alu instid0(VALU_DEP_2) | instskip(NEXT) | instid1(VALU_DEP_1)
	v_and_b32_e32 v2, 0x7f, v0
	v_cmpx_ne_u32_e32 0x7f, v2
	s_cbranch_execz .LBB354_737
; %bb.734:                              ;   in Loop: Header=BB354_16 Depth=1
	v_and_b32_e32 v7, 7, v0
	v_lshrrev_b32_e32 v1, 3, v2
	v_mov_b32_e32 v36, v8
	s_mov_b32 s24, exec_lo
	s_delay_alu instid0(VALU_DEP_3)
	v_mov_b32_e32 v35, v7
	v_cmpx_gt_u32_e32 8, v2
; %bb.735:                              ;   in Loop: Header=BB354_16 Depth=1
	v_clz_i32_u32_e32 v1, v7
	s_delay_alu instid0(VALU_DEP_1) | instskip(NEXT) | instid1(VALU_DEP_1)
	v_min_u32_e32 v1, 32, v1
	v_subrev_nc_u32_e32 v2, 28, v1
	v_sub_nc_u32_e32 v1, 29, v1
	s_delay_alu instid0(VALU_DEP_2) | instskip(NEXT) | instid1(VALU_DEP_1)
	v_lshlrev_b64 v[2:3], v2, v[7:8]
	v_and_b32_e32 v35, 7, v2
; %bb.736:                              ;   in Loop: Header=BB354_16 Depth=1
	s_or_b32 exec_lo, exec_lo, s24
	v_lshlrev_b32_e32 v0, 8, v0
	v_lshl_add_u32 v1, v1, 10, 0x2000
	s_delay_alu instid0(VALU_DEP_1) | instskip(NEXT) | instid1(VALU_DEP_1)
	v_and_or_b32 v0, 0x8000, v0, v1
	v_lshl_or_b32 v0, v35, 7, v0
	s_delay_alu instid0(VALU_DEP_1)
	v_cvt_f32_f16_e32 v108, v0
.LBB354_737:                            ;   in Loop: Header=BB354_16 Depth=1
	s_or_b32 exec_lo, exec_lo, s23
.LBB354_738:                            ;   in Loop: Header=BB354_16 Depth=1
	s_delay_alu instid0(SALU_CYCLE_1)
	s_or_b32 exec_lo, exec_lo, s22
.LBB354_739:                            ;   in Loop: Header=BB354_16 Depth=1
	s_delay_alu instid0(SALU_CYCLE_1) | instskip(SKIP_3) | instid1(VALU_DEP_2)
	s_or_b32 exec_lo, exec_lo, s21
	v_lshrrev_b32_e32 v0, 16, v33
	v_mov_b32_e32 v109, 0
	s_mov_b32 s21, exec_lo
	v_dual_mov_b32 v110, 0 :: v_dual_and_b32 v1, 0xff, v0
	s_delay_alu instid0(VALU_DEP_1)
	v_cmpx_ne_u16_e32 0, v1
	s_cbranch_execz .LBB354_747
; %bb.740:                              ;   in Loop: Header=BB354_16 Depth=1
	v_bfrev_b32_e32 v109, 1
	s_mov_b32 s22, exec_lo
	v_cmpx_ne_u16_e32 0x80, v1
	s_cbranch_execz .LBB354_746
; %bb.741:                              ;   in Loop: Header=BB354_16 Depth=1
	v_bfe_u32 v2, v33, 16, 7
	v_mov_b32_e32 v109, 0x7fc02000
	s_mov_b32 s23, exec_lo
	s_delay_alu instid0(VALU_DEP_2)
	v_cmpx_ne_u32_e32 0x7f, v2
	s_cbranch_execz .LBB354_745
; %bb.742:                              ;   in Loop: Header=BB354_16 Depth=1
	v_and_b32_e32 v7, 7, v0
	v_lshrrev_b32_e32 v1, 3, v2
	v_mov_b32_e32 v36, v8
	s_mov_b32 s24, exec_lo
	s_delay_alu instid0(VALU_DEP_3)
	v_mov_b32_e32 v35, v7
	v_cmpx_gt_u32_e32 8, v2
; %bb.743:                              ;   in Loop: Header=BB354_16 Depth=1
	v_clz_i32_u32_e32 v1, v7
	s_delay_alu instid0(VALU_DEP_1) | instskip(NEXT) | instid1(VALU_DEP_1)
	v_min_u32_e32 v1, 32, v1
	v_subrev_nc_u32_e32 v2, 28, v1
	v_sub_nc_u32_e32 v1, 29, v1
	s_delay_alu instid0(VALU_DEP_2) | instskip(NEXT) | instid1(VALU_DEP_1)
	v_lshlrev_b64 v[2:3], v2, v[7:8]
	v_and_b32_e32 v35, 7, v2
; %bb.744:                              ;   in Loop: Header=BB354_16 Depth=1
	s_or_b32 exec_lo, exec_lo, s24
	v_lshlrev_b32_e32 v0, 8, v0
	v_lshl_add_u32 v1, v1, 10, 0x2000
	s_delay_alu instid0(VALU_DEP_1) | instskip(NEXT) | instid1(VALU_DEP_1)
	v_and_or_b32 v0, 0x8000, v0, v1
	v_lshl_or_b32 v0, v35, 7, v0
	s_delay_alu instid0(VALU_DEP_1)
	v_cvt_f32_f16_e32 v109, v0
.LBB354_745:                            ;   in Loop: Header=BB354_16 Depth=1
	s_or_b32 exec_lo, exec_lo, s23
.LBB354_746:                            ;   in Loop: Header=BB354_16 Depth=1
	s_delay_alu instid0(SALU_CYCLE_1)
	s_or_b32 exec_lo, exec_lo, s22
.LBB354_747:                            ;   in Loop: Header=BB354_16 Depth=1
	s_delay_alu instid0(SALU_CYCLE_1) | instskip(NEXT) | instid1(SALU_CYCLE_1)
	s_or_b32 exec_lo, exec_lo, s21
	s_mov_b32 s21, exec_lo
	v_cmpx_lt_u32_e32 0xffffff, v33
	s_cbranch_execz .LBB354_755
; %bb.748:                              ;   in Loop: Header=BB354_16 Depth=1
	v_lshrrev_b32_e32 v0, 24, v33
	v_bfrev_b32_e32 v110, 1
	s_mov_b32 s22, exec_lo
	s_delay_alu instid0(VALU_DEP_2)
	v_cmpx_ne_u32_e32 0x80, v0
	s_cbranch_execz .LBB354_754
; %bb.749:                              ;   in Loop: Header=BB354_16 Depth=1
	v_and_b32_e32 v2, 0x7f, v0
	v_mov_b32_e32 v110, 0x7fc02000
	s_mov_b32 s23, exec_lo
	s_delay_alu instid0(VALU_DEP_2)
	v_cmpx_ne_u32_e32 0x7f, v2
	s_cbranch_execz .LBB354_753
; %bb.750:                              ;   in Loop: Header=BB354_16 Depth=1
	v_and_b32_e32 v7, 7, v0
	v_lshrrev_b32_e32 v1, 3, v2
	v_mov_b32_e32 v36, v8
	s_mov_b32 s24, exec_lo
	s_delay_alu instid0(VALU_DEP_3)
	v_mov_b32_e32 v35, v7
	v_cmpx_gt_u32_e32 8, v2
; %bb.751:                              ;   in Loop: Header=BB354_16 Depth=1
	v_clz_i32_u32_e32 v1, v7
	s_delay_alu instid0(VALU_DEP_1) | instskip(NEXT) | instid1(VALU_DEP_1)
	v_min_u32_e32 v1, 32, v1
	v_subrev_nc_u32_e32 v2, 28, v1
	v_sub_nc_u32_e32 v1, 29, v1
	s_delay_alu instid0(VALU_DEP_2) | instskip(NEXT) | instid1(VALU_DEP_1)
	v_lshlrev_b64 v[2:3], v2, v[7:8]
	v_and_b32_e32 v35, 7, v2
; %bb.752:                              ;   in Loop: Header=BB354_16 Depth=1
	s_or_b32 exec_lo, exec_lo, s24
	v_lshlrev_b32_e32 v0, 8, v0
	v_lshl_add_u32 v1, v1, 10, 0x2000
	s_delay_alu instid0(VALU_DEP_1) | instskip(NEXT) | instid1(VALU_DEP_1)
	v_and_or_b32 v0, 0x8000, v0, v1
	v_lshl_or_b32 v0, v35, 7, v0
	s_delay_alu instid0(VALU_DEP_1)
	v_cvt_f32_f16_e32 v110, v0
.LBB354_753:                            ;   in Loop: Header=BB354_16 Depth=1
	s_or_b32 exec_lo, exec_lo, s23
.LBB354_754:                            ;   in Loop: Header=BB354_16 Depth=1
	s_delay_alu instid0(SALU_CYCLE_1)
	s_or_b32 exec_lo, exec_lo, s22
.LBB354_755:                            ;   in Loop: Header=BB354_16 Depth=1
	s_delay_alu instid0(SALU_CYCLE_1) | instskip(SKIP_3) | instid1(VALU_DEP_2)
	s_or_b32 exec_lo, exec_lo, s21
	v_dual_mov_b32 v7, v34 :: v_dual_and_b32 v0, 0xff, v34
	v_dual_mov_b32 v120, 0 :: v_dual_mov_b32 v111, 0
	s_mov_b32 s21, exec_lo
	v_cmpx_ne_u16_e32 0, v0
	s_cbranch_execz .LBB354_763
; %bb.756:                              ;   in Loop: Header=BB354_16 Depth=1
	v_bfrev_b32_e32 v111, 1
	s_mov_b32 s22, exec_lo
	v_cmpx_ne_u16_e32 0x80, v0
	s_cbranch_execz .LBB354_762
; %bb.757:                              ;   in Loop: Header=BB354_16 Depth=1
	v_and_b32_e32 v1, 0x7f, v34
	v_mov_b32_e32 v111, 0x7fc02000
	s_mov_b32 s23, exec_lo
	s_delay_alu instid0(VALU_DEP_2)
	v_cmpx_ne_u32_e32 0x7f, v1
	s_cbranch_execz .LBB354_761
; %bb.758:                              ;   in Loop: Header=BB354_16 Depth=1
	v_lshrrev_b32_e32 v0, 3, v1
	v_dual_mov_b32 v36, v8 :: v_dual_mov_b32 v35, v7
	s_mov_b32 s24, exec_lo
	v_cmpx_gt_u32_e32 8, v1
; %bb.759:                              ;   in Loop: Header=BB354_16 Depth=1
	v_and_b32_e32 v0, 7, v34
	s_delay_alu instid0(VALU_DEP_1) | instskip(NEXT) | instid1(VALU_DEP_1)
	v_clz_i32_u32_e32 v0, v0
	v_min_u32_e32 v0, 32, v0
	s_delay_alu instid0(VALU_DEP_1) | instskip(SKIP_1) | instid1(VALU_DEP_2)
	v_subrev_nc_u32_e32 v1, 28, v0
	v_sub_nc_u32_e32 v0, 29, v0
	v_lshlrev_b64 v[35:36], v1, v[7:8]
; %bb.760:                              ;   in Loop: Header=BB354_16 Depth=1
	s_or_b32 exec_lo, exec_lo, s24
	v_lshlrev_b32_e32 v1, 8, v34
	s_delay_alu instid0(VALU_DEP_3) | instskip(NEXT) | instid1(VALU_DEP_3)
	v_lshl_add_u32 v0, v0, 10, 0x2000
	v_lshlrev_b32_e32 v2, 7, v35
	s_delay_alu instid0(VALU_DEP_2) | instskip(NEXT) | instid1(VALU_DEP_1)
	v_and_or_b32 v0, 0x8000, v1, v0
	v_and_or_b32 v0, 0x380, v2, v0
	s_delay_alu instid0(VALU_DEP_1)
	v_cvt_f32_f16_e32 v111, v0
.LBB354_761:                            ;   in Loop: Header=BB354_16 Depth=1
	s_or_b32 exec_lo, exec_lo, s23
.LBB354_762:                            ;   in Loop: Header=BB354_16 Depth=1
	s_delay_alu instid0(SALU_CYCLE_1)
	s_or_b32 exec_lo, exec_lo, s22
.LBB354_763:                            ;   in Loop: Header=BB354_16 Depth=1
	s_delay_alu instid0(SALU_CYCLE_1) | instskip(SKIP_2) | instid1(VALU_DEP_1)
	s_or_b32 exec_lo, exec_lo, s21
	v_lshrrev_b16 v0, 8, v7
	s_mov_b32 s21, exec_lo
	v_cmpx_ne_u16_e32 0, v0
	s_cbranch_execz .LBB354_771
; %bb.764:                              ;   in Loop: Header=BB354_16 Depth=1
	v_bfrev_b32_e32 v120, 1
	s_mov_b32 s22, exec_lo
	v_cmpx_ne_u16_e32 0x80, v0
	s_cbranch_execz .LBB354_770
; %bb.765:                              ;   in Loop: Header=BB354_16 Depth=1
	v_and_b32_e32 v0, 0xffff, v0
	v_mov_b32_e32 v120, 0x7fc02000
	s_mov_b32 s23, exec_lo
	s_delay_alu instid0(VALU_DEP_2) | instskip(NEXT) | instid1(VALU_DEP_1)
	v_and_b32_e32 v2, 0x7f, v0
	v_cmpx_ne_u32_e32 0x7f, v2
	s_cbranch_execz .LBB354_769
; %bb.766:                              ;   in Loop: Header=BB354_16 Depth=1
	v_and_b32_e32 v7, 7, v0
	v_lshrrev_b32_e32 v1, 3, v2
	v_mov_b32_e32 v36, v8
	s_mov_b32 s24, exec_lo
	s_delay_alu instid0(VALU_DEP_3)
	v_mov_b32_e32 v35, v7
	v_cmpx_gt_u32_e32 8, v2
; %bb.767:                              ;   in Loop: Header=BB354_16 Depth=1
	v_clz_i32_u32_e32 v1, v7
	s_delay_alu instid0(VALU_DEP_1) | instskip(NEXT) | instid1(VALU_DEP_1)
	v_min_u32_e32 v1, 32, v1
	v_subrev_nc_u32_e32 v2, 28, v1
	v_sub_nc_u32_e32 v1, 29, v1
	s_delay_alu instid0(VALU_DEP_2) | instskip(NEXT) | instid1(VALU_DEP_1)
	v_lshlrev_b64 v[2:3], v2, v[7:8]
	v_and_b32_e32 v35, 7, v2
; %bb.768:                              ;   in Loop: Header=BB354_16 Depth=1
	s_or_b32 exec_lo, exec_lo, s24
	v_lshlrev_b32_e32 v0, 8, v0
	v_lshl_add_u32 v1, v1, 10, 0x2000
	s_delay_alu instid0(VALU_DEP_1) | instskip(NEXT) | instid1(VALU_DEP_1)
	v_and_or_b32 v0, 0x8000, v0, v1
	v_lshl_or_b32 v0, v35, 7, v0
	s_delay_alu instid0(VALU_DEP_1)
	v_cvt_f32_f16_e32 v120, v0
.LBB354_769:                            ;   in Loop: Header=BB354_16 Depth=1
	s_or_b32 exec_lo, exec_lo, s23
.LBB354_770:                            ;   in Loop: Header=BB354_16 Depth=1
	s_delay_alu instid0(SALU_CYCLE_1)
	s_or_b32 exec_lo, exec_lo, s22
.LBB354_771:                            ;   in Loop: Header=BB354_16 Depth=1
	s_delay_alu instid0(SALU_CYCLE_1) | instskip(SKIP_3) | instid1(VALU_DEP_2)
	s_or_b32 exec_lo, exec_lo, s21
	v_lshrrev_b32_e32 v0, 16, v34
	v_mov_b32_e32 v121, 0
	s_mov_b32 s21, exec_lo
	v_dual_mov_b32 v122, 0 :: v_dual_and_b32 v1, 0xff, v0
	s_delay_alu instid0(VALU_DEP_1)
	v_cmpx_ne_u16_e32 0, v1
	s_cbranch_execz .LBB354_779
; %bb.772:                              ;   in Loop: Header=BB354_16 Depth=1
	v_bfrev_b32_e32 v122, 1
	s_mov_b32 s22, exec_lo
	v_cmpx_ne_u16_e32 0x80, v1
	s_cbranch_execz .LBB354_778
; %bb.773:                              ;   in Loop: Header=BB354_16 Depth=1
	v_bfe_u32 v2, v34, 16, 7
	v_mov_b32_e32 v122, 0x7fc02000
	s_mov_b32 s23, exec_lo
	s_delay_alu instid0(VALU_DEP_2)
	v_cmpx_ne_u32_e32 0x7f, v2
	s_cbranch_execz .LBB354_777
; %bb.774:                              ;   in Loop: Header=BB354_16 Depth=1
	v_and_b32_e32 v7, 7, v0
	v_lshrrev_b32_e32 v1, 3, v2
	v_mov_b32_e32 v36, v8
	s_mov_b32 s24, exec_lo
	s_delay_alu instid0(VALU_DEP_3)
	v_mov_b32_e32 v35, v7
	v_cmpx_gt_u32_e32 8, v2
; %bb.775:                              ;   in Loop: Header=BB354_16 Depth=1
	v_clz_i32_u32_e32 v1, v7
	s_delay_alu instid0(VALU_DEP_1) | instskip(NEXT) | instid1(VALU_DEP_1)
	v_min_u32_e32 v1, 32, v1
	v_subrev_nc_u32_e32 v2, 28, v1
	v_sub_nc_u32_e32 v1, 29, v1
	s_delay_alu instid0(VALU_DEP_2) | instskip(NEXT) | instid1(VALU_DEP_1)
	v_lshlrev_b64 v[2:3], v2, v[7:8]
	v_and_b32_e32 v35, 7, v2
; %bb.776:                              ;   in Loop: Header=BB354_16 Depth=1
	s_or_b32 exec_lo, exec_lo, s24
	v_lshlrev_b32_e32 v0, 8, v0
	v_lshl_add_u32 v1, v1, 10, 0x2000
	s_delay_alu instid0(VALU_DEP_1) | instskip(NEXT) | instid1(VALU_DEP_1)
	v_and_or_b32 v0, 0x8000, v0, v1
	v_lshl_or_b32 v0, v35, 7, v0
	s_delay_alu instid0(VALU_DEP_1)
	v_cvt_f32_f16_e32 v122, v0
.LBB354_777:                            ;   in Loop: Header=BB354_16 Depth=1
	s_or_b32 exec_lo, exec_lo, s23
.LBB354_778:                            ;   in Loop: Header=BB354_16 Depth=1
	s_delay_alu instid0(SALU_CYCLE_1)
	s_or_b32 exec_lo, exec_lo, s22
.LBB354_779:                            ;   in Loop: Header=BB354_16 Depth=1
	s_delay_alu instid0(SALU_CYCLE_1) | instskip(NEXT) | instid1(SALU_CYCLE_1)
	s_or_b32 exec_lo, exec_lo, s21
	s_mov_b32 s21, exec_lo
	v_cmpx_lt_u64_e64 s[8:9], v[33:34]
	s_cbranch_execz .LBB354_787
; %bb.780:                              ;   in Loop: Header=BB354_16 Depth=1
	v_lshrrev_b32_e32 v0, 24, v34
	v_bfrev_b32_e32 v121, 1
	s_mov_b32 s22, exec_lo
	s_delay_alu instid0(VALU_DEP_2)
	v_cmpx_ne_u32_e32 0x80, v0
	s_cbranch_execz .LBB354_786
; %bb.781:                              ;   in Loop: Header=BB354_16 Depth=1
	v_and_b32_e32 v2, 0x7f, v0
	v_mov_b32_e32 v121, 0x7fc02000
	s_mov_b32 s23, exec_lo
	s_delay_alu instid0(VALU_DEP_2)
	v_cmpx_ne_u32_e32 0x7f, v2
	s_cbranch_execz .LBB354_785
; %bb.782:                              ;   in Loop: Header=BB354_16 Depth=1
	v_and_b32_e32 v7, 7, v0
	v_lshrrev_b32_e32 v1, 3, v2
	v_mov_b32_e32 v34, v8
	s_mov_b32 s24, exec_lo
	s_delay_alu instid0(VALU_DEP_3)
	v_mov_b32_e32 v33, v7
	v_cmpx_gt_u32_e32 8, v2
; %bb.783:                              ;   in Loop: Header=BB354_16 Depth=1
	v_clz_i32_u32_e32 v1, v7
	s_delay_alu instid0(VALU_DEP_1) | instskip(NEXT) | instid1(VALU_DEP_1)
	v_min_u32_e32 v1, 32, v1
	v_subrev_nc_u32_e32 v2, 28, v1
	v_sub_nc_u32_e32 v1, 29, v1
	s_delay_alu instid0(VALU_DEP_2) | instskip(NEXT) | instid1(VALU_DEP_1)
	v_lshlrev_b64 v[2:3], v2, v[7:8]
	v_and_b32_e32 v33, 7, v2
; %bb.784:                              ;   in Loop: Header=BB354_16 Depth=1
	s_or_b32 exec_lo, exec_lo, s24
	v_lshlrev_b32_e32 v0, 8, v0
	v_lshl_add_u32 v1, v1, 10, 0x2000
	s_delay_alu instid0(VALU_DEP_1) | instskip(NEXT) | instid1(VALU_DEP_1)
	v_and_or_b32 v0, 0x8000, v0, v1
	v_lshl_or_b32 v0, v33, 7, v0
	s_delay_alu instid0(VALU_DEP_1)
	v_cvt_f32_f16_e32 v121, v0
.LBB354_785:                            ;   in Loop: Header=BB354_16 Depth=1
	s_or_b32 exec_lo, exec_lo, s23
.LBB354_786:                            ;   in Loop: Header=BB354_16 Depth=1
	s_delay_alu instid0(SALU_CYCLE_1)
	s_or_b32 exec_lo, exec_lo, s22
.LBB354_787:                            ;   in Loop: Header=BB354_16 Depth=1
	s_delay_alu instid0(SALU_CYCLE_1)
	s_or_b32 exec_lo, exec_lo, s21
	flat_load_b64 v[33:34], v[31:32] offset:3072
	v_mov_b32_e32 v124, 0
	s_mov_b32 s21, exec_lo
	s_waitcnt vmcnt(0) lgkmcnt(0)
	v_dual_mov_b32 v123, 0 :: v_dual_and_b32 v0, 0xff, v33
	s_delay_alu instid0(VALU_DEP_1)
	v_cmpx_ne_u16_e32 0, v0
	s_cbranch_execz .LBB354_795
; %bb.788:                              ;   in Loop: Header=BB354_16 Depth=1
	v_bfrev_b32_e32 v123, 1
	s_mov_b32 s22, exec_lo
	v_cmpx_ne_u16_e32 0x80, v0
	s_cbranch_execz .LBB354_794
; %bb.789:                              ;   in Loop: Header=BB354_16 Depth=1
	v_and_b32_e32 v1, 0x7f, v33
	v_mov_b32_e32 v123, 0x7fc02000
	s_mov_b32 s23, exec_lo
	s_delay_alu instid0(VALU_DEP_2)
	v_cmpx_ne_u32_e32 0x7f, v1
	s_cbranch_execz .LBB354_793
; %bb.790:                              ;   in Loop: Header=BB354_16 Depth=1
	v_lshrrev_b32_e32 v0, 3, v1
	v_dual_mov_b32 v36, v34 :: v_dual_mov_b32 v35, v33
	s_mov_b32 s24, exec_lo
	v_cmpx_gt_u32_e32 8, v1
; %bb.791:                              ;   in Loop: Header=BB354_16 Depth=1
	v_and_b32_e32 v0, 7, v33
	s_delay_alu instid0(VALU_DEP_1) | instskip(NEXT) | instid1(VALU_DEP_1)
	v_clz_i32_u32_e32 v0, v0
	v_min_u32_e32 v0, 32, v0
	s_delay_alu instid0(VALU_DEP_1) | instskip(SKIP_1) | instid1(VALU_DEP_2)
	v_subrev_nc_u32_e32 v1, 28, v0
	v_sub_nc_u32_e32 v0, 29, v0
	v_lshlrev_b64 v[35:36], v1, v[33:34]
; %bb.792:                              ;   in Loop: Header=BB354_16 Depth=1
	s_or_b32 exec_lo, exec_lo, s24
	v_lshlrev_b32_e32 v1, 8, v33
	s_delay_alu instid0(VALU_DEP_3) | instskip(NEXT) | instid1(VALU_DEP_3)
	v_lshl_add_u32 v0, v0, 10, 0x2000
	v_lshlrev_b32_e32 v2, 7, v35
	s_delay_alu instid0(VALU_DEP_2) | instskip(NEXT) | instid1(VALU_DEP_1)
	v_and_or_b32 v0, 0x8000, v1, v0
	v_and_or_b32 v0, 0x380, v2, v0
	s_delay_alu instid0(VALU_DEP_1)
	v_cvt_f32_f16_e32 v123, v0
.LBB354_793:                            ;   in Loop: Header=BB354_16 Depth=1
	s_or_b32 exec_lo, exec_lo, s23
.LBB354_794:                            ;   in Loop: Header=BB354_16 Depth=1
	s_delay_alu instid0(SALU_CYCLE_1)
	s_or_b32 exec_lo, exec_lo, s22
.LBB354_795:                            ;   in Loop: Header=BB354_16 Depth=1
	s_delay_alu instid0(SALU_CYCLE_1) | instskip(SKIP_2) | instid1(VALU_DEP_1)
	s_or_b32 exec_lo, exec_lo, s21
	v_lshrrev_b16 v0, 8, v33
	s_mov_b32 s21, exec_lo
	v_cmpx_ne_u16_e32 0, v0
	s_cbranch_execz .LBB354_803
; %bb.796:                              ;   in Loop: Header=BB354_16 Depth=1
	v_bfrev_b32_e32 v124, 1
	s_mov_b32 s22, exec_lo
	v_cmpx_ne_u16_e32 0x80, v0
	s_cbranch_execz .LBB354_802
; %bb.797:                              ;   in Loop: Header=BB354_16 Depth=1
	v_and_b32_e32 v0, 0xffff, v0
	v_mov_b32_e32 v124, 0x7fc02000
	s_mov_b32 s23, exec_lo
	s_delay_alu instid0(VALU_DEP_2) | instskip(NEXT) | instid1(VALU_DEP_1)
	v_and_b32_e32 v2, 0x7f, v0
	v_cmpx_ne_u32_e32 0x7f, v2
	s_cbranch_execz .LBB354_801
; %bb.798:                              ;   in Loop: Header=BB354_16 Depth=1
	v_and_b32_e32 v7, 7, v0
	v_lshrrev_b32_e32 v1, 3, v2
	v_mov_b32_e32 v36, v8
	s_mov_b32 s24, exec_lo
	s_delay_alu instid0(VALU_DEP_3)
	v_mov_b32_e32 v35, v7
	v_cmpx_gt_u32_e32 8, v2
; %bb.799:                              ;   in Loop: Header=BB354_16 Depth=1
	v_clz_i32_u32_e32 v1, v7
	s_delay_alu instid0(VALU_DEP_1) | instskip(NEXT) | instid1(VALU_DEP_1)
	v_min_u32_e32 v1, 32, v1
	v_subrev_nc_u32_e32 v2, 28, v1
	v_sub_nc_u32_e32 v1, 29, v1
	s_delay_alu instid0(VALU_DEP_2) | instskip(NEXT) | instid1(VALU_DEP_1)
	v_lshlrev_b64 v[2:3], v2, v[7:8]
	v_and_b32_e32 v35, 7, v2
; %bb.800:                              ;   in Loop: Header=BB354_16 Depth=1
	s_or_b32 exec_lo, exec_lo, s24
	v_lshlrev_b32_e32 v0, 8, v0
	v_lshl_add_u32 v1, v1, 10, 0x2000
	s_delay_alu instid0(VALU_DEP_1) | instskip(NEXT) | instid1(VALU_DEP_1)
	v_and_or_b32 v0, 0x8000, v0, v1
	v_lshl_or_b32 v0, v35, 7, v0
	s_delay_alu instid0(VALU_DEP_1)
	v_cvt_f32_f16_e32 v124, v0
.LBB354_801:                            ;   in Loop: Header=BB354_16 Depth=1
	s_or_b32 exec_lo, exec_lo, s23
.LBB354_802:                            ;   in Loop: Header=BB354_16 Depth=1
	s_delay_alu instid0(SALU_CYCLE_1)
	s_or_b32 exec_lo, exec_lo, s22
.LBB354_803:                            ;   in Loop: Header=BB354_16 Depth=1
	s_delay_alu instid0(SALU_CYCLE_1) | instskip(SKIP_3) | instid1(VALU_DEP_2)
	s_or_b32 exec_lo, exec_lo, s21
	v_lshrrev_b32_e32 v0, 16, v33
	v_mov_b32_e32 v125, 0
	s_mov_b32 s21, exec_lo
	v_dual_mov_b32 v126, 0 :: v_dual_and_b32 v1, 0xff, v0
	s_delay_alu instid0(VALU_DEP_1)
	v_cmpx_ne_u16_e32 0, v1
	s_cbranch_execz .LBB354_811
; %bb.804:                              ;   in Loop: Header=BB354_16 Depth=1
	v_bfrev_b32_e32 v125, 1
	s_mov_b32 s22, exec_lo
	v_cmpx_ne_u16_e32 0x80, v1
	s_cbranch_execz .LBB354_810
; %bb.805:                              ;   in Loop: Header=BB354_16 Depth=1
	v_bfe_u32 v2, v33, 16, 7
	v_mov_b32_e32 v125, 0x7fc02000
	s_mov_b32 s23, exec_lo
	s_delay_alu instid0(VALU_DEP_2)
	v_cmpx_ne_u32_e32 0x7f, v2
	s_cbranch_execz .LBB354_809
; %bb.806:                              ;   in Loop: Header=BB354_16 Depth=1
	v_and_b32_e32 v7, 7, v0
	v_lshrrev_b32_e32 v1, 3, v2
	v_mov_b32_e32 v36, v8
	s_mov_b32 s24, exec_lo
	s_delay_alu instid0(VALU_DEP_3)
	v_mov_b32_e32 v35, v7
	v_cmpx_gt_u32_e32 8, v2
; %bb.807:                              ;   in Loop: Header=BB354_16 Depth=1
	v_clz_i32_u32_e32 v1, v7
	s_delay_alu instid0(VALU_DEP_1) | instskip(NEXT) | instid1(VALU_DEP_1)
	v_min_u32_e32 v1, 32, v1
	v_subrev_nc_u32_e32 v2, 28, v1
	v_sub_nc_u32_e32 v1, 29, v1
	s_delay_alu instid0(VALU_DEP_2) | instskip(NEXT) | instid1(VALU_DEP_1)
	v_lshlrev_b64 v[2:3], v2, v[7:8]
	v_and_b32_e32 v35, 7, v2
; %bb.808:                              ;   in Loop: Header=BB354_16 Depth=1
	s_or_b32 exec_lo, exec_lo, s24
	v_lshlrev_b32_e32 v0, 8, v0
	v_lshl_add_u32 v1, v1, 10, 0x2000
	s_delay_alu instid0(VALU_DEP_1) | instskip(NEXT) | instid1(VALU_DEP_1)
	v_and_or_b32 v0, 0x8000, v0, v1
	v_lshl_or_b32 v0, v35, 7, v0
	s_delay_alu instid0(VALU_DEP_1)
	v_cvt_f32_f16_e32 v125, v0
.LBB354_809:                            ;   in Loop: Header=BB354_16 Depth=1
	s_or_b32 exec_lo, exec_lo, s23
.LBB354_810:                            ;   in Loop: Header=BB354_16 Depth=1
	s_delay_alu instid0(SALU_CYCLE_1)
	s_or_b32 exec_lo, exec_lo, s22
.LBB354_811:                            ;   in Loop: Header=BB354_16 Depth=1
	s_delay_alu instid0(SALU_CYCLE_1) | instskip(NEXT) | instid1(SALU_CYCLE_1)
	s_or_b32 exec_lo, exec_lo, s21
	s_mov_b32 s21, exec_lo
	v_cmpx_lt_u32_e32 0xffffff, v33
	s_cbranch_execz .LBB354_819
; %bb.812:                              ;   in Loop: Header=BB354_16 Depth=1
	v_lshrrev_b32_e32 v0, 24, v33
	v_bfrev_b32_e32 v126, 1
	s_mov_b32 s22, exec_lo
	s_delay_alu instid0(VALU_DEP_2)
	v_cmpx_ne_u32_e32 0x80, v0
	s_cbranch_execz .LBB354_818
; %bb.813:                              ;   in Loop: Header=BB354_16 Depth=1
	v_and_b32_e32 v2, 0x7f, v0
	v_mov_b32_e32 v126, 0x7fc02000
	s_mov_b32 s23, exec_lo
	s_delay_alu instid0(VALU_DEP_2)
	v_cmpx_ne_u32_e32 0x7f, v2
	s_cbranch_execz .LBB354_817
; %bb.814:                              ;   in Loop: Header=BB354_16 Depth=1
	v_and_b32_e32 v7, 7, v0
	v_lshrrev_b32_e32 v1, 3, v2
	v_mov_b32_e32 v36, v8
	s_mov_b32 s24, exec_lo
	s_delay_alu instid0(VALU_DEP_3)
	v_mov_b32_e32 v35, v7
	v_cmpx_gt_u32_e32 8, v2
; %bb.815:                              ;   in Loop: Header=BB354_16 Depth=1
	v_clz_i32_u32_e32 v1, v7
	s_delay_alu instid0(VALU_DEP_1) | instskip(NEXT) | instid1(VALU_DEP_1)
	v_min_u32_e32 v1, 32, v1
	v_subrev_nc_u32_e32 v2, 28, v1
	v_sub_nc_u32_e32 v1, 29, v1
	s_delay_alu instid0(VALU_DEP_2) | instskip(NEXT) | instid1(VALU_DEP_1)
	v_lshlrev_b64 v[2:3], v2, v[7:8]
	v_and_b32_e32 v35, 7, v2
; %bb.816:                              ;   in Loop: Header=BB354_16 Depth=1
	s_or_b32 exec_lo, exec_lo, s24
	v_lshlrev_b32_e32 v0, 8, v0
	v_lshl_add_u32 v1, v1, 10, 0x2000
	s_delay_alu instid0(VALU_DEP_1) | instskip(NEXT) | instid1(VALU_DEP_1)
	v_and_or_b32 v0, 0x8000, v0, v1
	v_lshl_or_b32 v0, v35, 7, v0
	s_delay_alu instid0(VALU_DEP_1)
	v_cvt_f32_f16_e32 v126, v0
.LBB354_817:                            ;   in Loop: Header=BB354_16 Depth=1
	s_or_b32 exec_lo, exec_lo, s23
.LBB354_818:                            ;   in Loop: Header=BB354_16 Depth=1
	s_delay_alu instid0(SALU_CYCLE_1)
	s_or_b32 exec_lo, exec_lo, s22
.LBB354_819:                            ;   in Loop: Header=BB354_16 Depth=1
	s_delay_alu instid0(SALU_CYCLE_1) | instskip(SKIP_3) | instid1(VALU_DEP_2)
	s_or_b32 exec_lo, exec_lo, s21
	v_dual_mov_b32 v7, v34 :: v_dual_and_b32 v0, 0xff, v34
	v_dual_mov_b32 v136, 0 :: v_dual_mov_b32 v127, 0
	s_mov_b32 s21, exec_lo
	v_cmpx_ne_u16_e32 0, v0
	s_cbranch_execz .LBB354_827
; %bb.820:                              ;   in Loop: Header=BB354_16 Depth=1
	v_bfrev_b32_e32 v127, 1
	s_mov_b32 s22, exec_lo
	v_cmpx_ne_u16_e32 0x80, v0
	s_cbranch_execz .LBB354_826
; %bb.821:                              ;   in Loop: Header=BB354_16 Depth=1
	v_and_b32_e32 v1, 0x7f, v34
	v_mov_b32_e32 v127, 0x7fc02000
	s_mov_b32 s23, exec_lo
	s_delay_alu instid0(VALU_DEP_2)
	v_cmpx_ne_u32_e32 0x7f, v1
	s_cbranch_execz .LBB354_825
; %bb.822:                              ;   in Loop: Header=BB354_16 Depth=1
	v_lshrrev_b32_e32 v0, 3, v1
	v_dual_mov_b32 v36, v8 :: v_dual_mov_b32 v35, v7
	s_mov_b32 s24, exec_lo
	v_cmpx_gt_u32_e32 8, v1
; %bb.823:                              ;   in Loop: Header=BB354_16 Depth=1
	v_and_b32_e32 v0, 7, v34
	s_delay_alu instid0(VALU_DEP_1) | instskip(NEXT) | instid1(VALU_DEP_1)
	v_clz_i32_u32_e32 v0, v0
	v_min_u32_e32 v0, 32, v0
	s_delay_alu instid0(VALU_DEP_1) | instskip(SKIP_1) | instid1(VALU_DEP_2)
	v_subrev_nc_u32_e32 v1, 28, v0
	v_sub_nc_u32_e32 v0, 29, v0
	v_lshlrev_b64 v[35:36], v1, v[7:8]
; %bb.824:                              ;   in Loop: Header=BB354_16 Depth=1
	s_or_b32 exec_lo, exec_lo, s24
	v_lshlrev_b32_e32 v1, 8, v34
	s_delay_alu instid0(VALU_DEP_3) | instskip(NEXT) | instid1(VALU_DEP_3)
	v_lshl_add_u32 v0, v0, 10, 0x2000
	v_lshlrev_b32_e32 v2, 7, v35
	s_delay_alu instid0(VALU_DEP_2) | instskip(NEXT) | instid1(VALU_DEP_1)
	v_and_or_b32 v0, 0x8000, v1, v0
	v_and_or_b32 v0, 0x380, v2, v0
	s_delay_alu instid0(VALU_DEP_1)
	v_cvt_f32_f16_e32 v127, v0
.LBB354_825:                            ;   in Loop: Header=BB354_16 Depth=1
	s_or_b32 exec_lo, exec_lo, s23
.LBB354_826:                            ;   in Loop: Header=BB354_16 Depth=1
	s_delay_alu instid0(SALU_CYCLE_1)
	s_or_b32 exec_lo, exec_lo, s22
.LBB354_827:                            ;   in Loop: Header=BB354_16 Depth=1
	s_delay_alu instid0(SALU_CYCLE_1) | instskip(SKIP_2) | instid1(VALU_DEP_1)
	s_or_b32 exec_lo, exec_lo, s21
	v_lshrrev_b16 v0, 8, v7
	s_mov_b32 s21, exec_lo
	v_cmpx_ne_u16_e32 0, v0
	s_cbranch_execz .LBB354_835
; %bb.828:                              ;   in Loop: Header=BB354_16 Depth=1
	v_bfrev_b32_e32 v136, 1
	s_mov_b32 s22, exec_lo
	v_cmpx_ne_u16_e32 0x80, v0
	s_cbranch_execz .LBB354_834
; %bb.829:                              ;   in Loop: Header=BB354_16 Depth=1
	v_and_b32_e32 v0, 0xffff, v0
	v_mov_b32_e32 v136, 0x7fc02000
	s_mov_b32 s23, exec_lo
	s_delay_alu instid0(VALU_DEP_2) | instskip(NEXT) | instid1(VALU_DEP_1)
	v_and_b32_e32 v2, 0x7f, v0
	v_cmpx_ne_u32_e32 0x7f, v2
	s_cbranch_execz .LBB354_833
; %bb.830:                              ;   in Loop: Header=BB354_16 Depth=1
	v_and_b32_e32 v7, 7, v0
	v_lshrrev_b32_e32 v1, 3, v2
	v_mov_b32_e32 v36, v8
	s_mov_b32 s24, exec_lo
	s_delay_alu instid0(VALU_DEP_3)
	v_mov_b32_e32 v35, v7
	v_cmpx_gt_u32_e32 8, v2
; %bb.831:                              ;   in Loop: Header=BB354_16 Depth=1
	v_clz_i32_u32_e32 v1, v7
	s_delay_alu instid0(VALU_DEP_1) | instskip(NEXT) | instid1(VALU_DEP_1)
	v_min_u32_e32 v1, 32, v1
	v_subrev_nc_u32_e32 v2, 28, v1
	v_sub_nc_u32_e32 v1, 29, v1
	s_delay_alu instid0(VALU_DEP_2) | instskip(NEXT) | instid1(VALU_DEP_1)
	v_lshlrev_b64 v[2:3], v2, v[7:8]
	v_and_b32_e32 v35, 7, v2
; %bb.832:                              ;   in Loop: Header=BB354_16 Depth=1
	s_or_b32 exec_lo, exec_lo, s24
	v_lshlrev_b32_e32 v0, 8, v0
	v_lshl_add_u32 v1, v1, 10, 0x2000
	s_delay_alu instid0(VALU_DEP_1) | instskip(NEXT) | instid1(VALU_DEP_1)
	v_and_or_b32 v0, 0x8000, v0, v1
	v_lshl_or_b32 v0, v35, 7, v0
	s_delay_alu instid0(VALU_DEP_1)
	v_cvt_f32_f16_e64 v136, v0
.LBB354_833:                            ;   in Loop: Header=BB354_16 Depth=1
	s_or_b32 exec_lo, exec_lo, s23
.LBB354_834:                            ;   in Loop: Header=BB354_16 Depth=1
	s_delay_alu instid0(SALU_CYCLE_1)
	s_or_b32 exec_lo, exec_lo, s22
.LBB354_835:                            ;   in Loop: Header=BB354_16 Depth=1
	s_delay_alu instid0(SALU_CYCLE_1) | instskip(SKIP_3) | instid1(VALU_DEP_2)
	s_or_b32 exec_lo, exec_lo, s21
	v_lshrrev_b32_e32 v0, 16, v34
	v_mov_b32_e32 v137, 0
	s_mov_b32 s21, exec_lo
	v_dual_mov_b32 v138, 0 :: v_dual_and_b32 v1, 0xff, v0
	s_delay_alu instid0(VALU_DEP_1)
	v_cmpx_ne_u16_e32 0, v1
	s_cbranch_execz .LBB354_843
; %bb.836:                              ;   in Loop: Header=BB354_16 Depth=1
	v_bfrev_b32_e32 v138, 1
	s_mov_b32 s22, exec_lo
	v_cmpx_ne_u16_e32 0x80, v1
	s_cbranch_execz .LBB354_842
; %bb.837:                              ;   in Loop: Header=BB354_16 Depth=1
	v_bfe_u32 v2, v34, 16, 7
	v_mov_b32_e32 v138, 0x7fc02000
	s_mov_b32 s23, exec_lo
	s_delay_alu instid0(VALU_DEP_2)
	v_cmpx_ne_u32_e32 0x7f, v2
	s_cbranch_execz .LBB354_841
; %bb.838:                              ;   in Loop: Header=BB354_16 Depth=1
	v_and_b32_e32 v7, 7, v0
	v_lshrrev_b32_e32 v1, 3, v2
	v_mov_b32_e32 v36, v8
	s_mov_b32 s24, exec_lo
	s_delay_alu instid0(VALU_DEP_3)
	v_mov_b32_e32 v35, v7
	v_cmpx_gt_u32_e32 8, v2
; %bb.839:                              ;   in Loop: Header=BB354_16 Depth=1
	v_clz_i32_u32_e32 v1, v7
	s_delay_alu instid0(VALU_DEP_1) | instskip(NEXT) | instid1(VALU_DEP_1)
	v_min_u32_e32 v1, 32, v1
	v_subrev_nc_u32_e32 v2, 28, v1
	v_sub_nc_u32_e32 v1, 29, v1
	s_delay_alu instid0(VALU_DEP_2) | instskip(NEXT) | instid1(VALU_DEP_1)
	v_lshlrev_b64 v[2:3], v2, v[7:8]
	v_and_b32_e32 v35, 7, v2
; %bb.840:                              ;   in Loop: Header=BB354_16 Depth=1
	s_or_b32 exec_lo, exec_lo, s24
	v_lshlrev_b32_e32 v0, 8, v0
	v_lshl_add_u32 v1, v1, 10, 0x2000
	s_delay_alu instid0(VALU_DEP_1) | instskip(NEXT) | instid1(VALU_DEP_1)
	v_and_or_b32 v0, 0x8000, v0, v1
	v_lshl_or_b32 v0, v35, 7, v0
	s_delay_alu instid0(VALU_DEP_1)
	v_cvt_f32_f16_e64 v138, v0
.LBB354_841:                            ;   in Loop: Header=BB354_16 Depth=1
	s_or_b32 exec_lo, exec_lo, s23
.LBB354_842:                            ;   in Loop: Header=BB354_16 Depth=1
	s_delay_alu instid0(SALU_CYCLE_1)
	s_or_b32 exec_lo, exec_lo, s22
.LBB354_843:                            ;   in Loop: Header=BB354_16 Depth=1
	s_delay_alu instid0(SALU_CYCLE_1) | instskip(NEXT) | instid1(SALU_CYCLE_1)
	s_or_b32 exec_lo, exec_lo, s21
	s_mov_b32 s21, exec_lo
	v_cmpx_lt_u64_e64 s[8:9], v[33:34]
	s_cbranch_execz .LBB354_851
; %bb.844:                              ;   in Loop: Header=BB354_16 Depth=1
	v_lshrrev_b32_e32 v0, 24, v34
	v_bfrev_b32_e32 v137, 1
	s_mov_b32 s22, exec_lo
	s_delay_alu instid0(VALU_DEP_2)
	v_cmpx_ne_u32_e32 0x80, v0
	s_cbranch_execz .LBB354_850
; %bb.845:                              ;   in Loop: Header=BB354_16 Depth=1
	v_and_b32_e32 v2, 0x7f, v0
	v_mov_b32_e32 v137, 0x7fc02000
	s_mov_b32 s23, exec_lo
	s_delay_alu instid0(VALU_DEP_2)
	v_cmpx_ne_u32_e32 0x7f, v2
	s_cbranch_execz .LBB354_849
; %bb.846:                              ;   in Loop: Header=BB354_16 Depth=1
	v_and_b32_e32 v7, 7, v0
	v_lshrrev_b32_e32 v1, 3, v2
	v_mov_b32_e32 v34, v8
	s_mov_b32 s24, exec_lo
	s_delay_alu instid0(VALU_DEP_3)
	v_mov_b32_e32 v33, v7
	v_cmpx_gt_u32_e32 8, v2
; %bb.847:                              ;   in Loop: Header=BB354_16 Depth=1
	v_clz_i32_u32_e32 v1, v7
	s_delay_alu instid0(VALU_DEP_1) | instskip(NEXT) | instid1(VALU_DEP_1)
	v_min_u32_e32 v1, 32, v1
	v_subrev_nc_u32_e32 v2, 28, v1
	v_sub_nc_u32_e32 v1, 29, v1
	s_delay_alu instid0(VALU_DEP_2) | instskip(NEXT) | instid1(VALU_DEP_1)
	v_lshlrev_b64 v[2:3], v2, v[7:8]
	v_and_b32_e32 v33, 7, v2
; %bb.848:                              ;   in Loop: Header=BB354_16 Depth=1
	s_or_b32 exec_lo, exec_lo, s24
	v_lshlrev_b32_e32 v0, 8, v0
	v_lshl_add_u32 v1, v1, 10, 0x2000
	s_delay_alu instid0(VALU_DEP_1) | instskip(NEXT) | instid1(VALU_DEP_1)
	v_and_or_b32 v0, 0x8000, v0, v1
	v_lshl_or_b32 v0, v33, 7, v0
	s_delay_alu instid0(VALU_DEP_1)
	v_cvt_f32_f16_e64 v137, v0
.LBB354_849:                            ;   in Loop: Header=BB354_16 Depth=1
	s_or_b32 exec_lo, exec_lo, s23
.LBB354_850:                            ;   in Loop: Header=BB354_16 Depth=1
	s_delay_alu instid0(SALU_CYCLE_1)
	s_or_b32 exec_lo, exec_lo, s22
.LBB354_851:                            ;   in Loop: Header=BB354_16 Depth=1
	s_delay_alu instid0(SALU_CYCLE_1)
	s_or_b32 exec_lo, exec_lo, s21
	flat_load_b64 v[33:34], v[31:32] offset:3080
	v_mov_b32_e32 v140, 0
	s_mov_b32 s21, exec_lo
	s_waitcnt vmcnt(0) lgkmcnt(0)
	v_dual_mov_b32 v139, 0 :: v_dual_and_b32 v0, 0xff, v33
	s_delay_alu instid0(VALU_DEP_1)
	v_cmpx_ne_u16_e32 0, v0
	s_cbranch_execz .LBB354_859
; %bb.852:                              ;   in Loop: Header=BB354_16 Depth=1
	v_bfrev_b32_e32 v139, 1
	s_mov_b32 s22, exec_lo
	v_cmpx_ne_u16_e32 0x80, v0
	s_cbranch_execz .LBB354_858
; %bb.853:                              ;   in Loop: Header=BB354_16 Depth=1
	v_and_b32_e32 v1, 0x7f, v33
	v_mov_b32_e32 v139, 0x7fc02000
	s_mov_b32 s23, exec_lo
	s_delay_alu instid0(VALU_DEP_2)
	v_cmpx_ne_u32_e32 0x7f, v1
	s_cbranch_execz .LBB354_857
; %bb.854:                              ;   in Loop: Header=BB354_16 Depth=1
	v_lshrrev_b32_e32 v0, 3, v1
	v_dual_mov_b32 v36, v34 :: v_dual_mov_b32 v35, v33
	s_mov_b32 s24, exec_lo
	v_cmpx_gt_u32_e32 8, v1
; %bb.855:                              ;   in Loop: Header=BB354_16 Depth=1
	v_and_b32_e32 v0, 7, v33
	s_delay_alu instid0(VALU_DEP_1) | instskip(NEXT) | instid1(VALU_DEP_1)
	v_clz_i32_u32_e32 v0, v0
	v_min_u32_e32 v0, 32, v0
	s_delay_alu instid0(VALU_DEP_1) | instskip(SKIP_1) | instid1(VALU_DEP_2)
	v_subrev_nc_u32_e32 v1, 28, v0
	v_sub_nc_u32_e32 v0, 29, v0
	v_lshlrev_b64 v[35:36], v1, v[33:34]
; %bb.856:                              ;   in Loop: Header=BB354_16 Depth=1
	s_or_b32 exec_lo, exec_lo, s24
	v_lshlrev_b32_e32 v1, 8, v33
	s_delay_alu instid0(VALU_DEP_3) | instskip(NEXT) | instid1(VALU_DEP_3)
	v_lshl_add_u32 v0, v0, 10, 0x2000
	v_lshlrev_b32_e32 v2, 7, v35
	s_delay_alu instid0(VALU_DEP_2) | instskip(NEXT) | instid1(VALU_DEP_1)
	v_and_or_b32 v0, 0x8000, v1, v0
	v_and_or_b32 v0, 0x380, v2, v0
	s_delay_alu instid0(VALU_DEP_1)
	v_cvt_f32_f16_e64 v139, v0
.LBB354_857:                            ;   in Loop: Header=BB354_16 Depth=1
	s_or_b32 exec_lo, exec_lo, s23
.LBB354_858:                            ;   in Loop: Header=BB354_16 Depth=1
	s_delay_alu instid0(SALU_CYCLE_1)
	s_or_b32 exec_lo, exec_lo, s22
.LBB354_859:                            ;   in Loop: Header=BB354_16 Depth=1
	s_delay_alu instid0(SALU_CYCLE_1) | instskip(SKIP_2) | instid1(VALU_DEP_1)
	s_or_b32 exec_lo, exec_lo, s21
	v_lshrrev_b16 v0, 8, v33
	s_mov_b32 s21, exec_lo
	v_cmpx_ne_u16_e32 0, v0
	s_cbranch_execz .LBB354_867
; %bb.860:                              ;   in Loop: Header=BB354_16 Depth=1
	v_bfrev_b32_e32 v140, 1
	s_mov_b32 s22, exec_lo
	v_cmpx_ne_u16_e32 0x80, v0
	s_cbranch_execz .LBB354_866
; %bb.861:                              ;   in Loop: Header=BB354_16 Depth=1
	v_and_b32_e32 v0, 0xffff, v0
	v_mov_b32_e32 v140, 0x7fc02000
	s_mov_b32 s23, exec_lo
	s_delay_alu instid0(VALU_DEP_2) | instskip(NEXT) | instid1(VALU_DEP_1)
	v_and_b32_e32 v2, 0x7f, v0
	v_cmpx_ne_u32_e32 0x7f, v2
	s_cbranch_execz .LBB354_865
; %bb.862:                              ;   in Loop: Header=BB354_16 Depth=1
	v_and_b32_e32 v7, 7, v0
	v_lshrrev_b32_e32 v1, 3, v2
	v_mov_b32_e32 v36, v8
	s_mov_b32 s24, exec_lo
	s_delay_alu instid0(VALU_DEP_3)
	v_mov_b32_e32 v35, v7
	v_cmpx_gt_u32_e32 8, v2
; %bb.863:                              ;   in Loop: Header=BB354_16 Depth=1
	v_clz_i32_u32_e32 v1, v7
	s_delay_alu instid0(VALU_DEP_1) | instskip(NEXT) | instid1(VALU_DEP_1)
	v_min_u32_e32 v1, 32, v1
	v_subrev_nc_u32_e32 v2, 28, v1
	v_sub_nc_u32_e32 v1, 29, v1
	s_delay_alu instid0(VALU_DEP_2) | instskip(NEXT) | instid1(VALU_DEP_1)
	v_lshlrev_b64 v[2:3], v2, v[7:8]
	v_and_b32_e32 v35, 7, v2
; %bb.864:                              ;   in Loop: Header=BB354_16 Depth=1
	s_or_b32 exec_lo, exec_lo, s24
	v_lshlrev_b32_e32 v0, 8, v0
	v_lshl_add_u32 v1, v1, 10, 0x2000
	s_delay_alu instid0(VALU_DEP_1) | instskip(NEXT) | instid1(VALU_DEP_1)
	v_and_or_b32 v0, 0x8000, v0, v1
	v_lshl_or_b32 v0, v35, 7, v0
	s_delay_alu instid0(VALU_DEP_1)
	v_cvt_f32_f16_e64 v140, v0
.LBB354_865:                            ;   in Loop: Header=BB354_16 Depth=1
	s_or_b32 exec_lo, exec_lo, s23
.LBB354_866:                            ;   in Loop: Header=BB354_16 Depth=1
	s_delay_alu instid0(SALU_CYCLE_1)
	s_or_b32 exec_lo, exec_lo, s22
.LBB354_867:                            ;   in Loop: Header=BB354_16 Depth=1
	s_delay_alu instid0(SALU_CYCLE_1) | instskip(SKIP_3) | instid1(VALU_DEP_2)
	s_or_b32 exec_lo, exec_lo, s21
	v_lshrrev_b32_e32 v0, 16, v33
	v_mov_b32_e32 v141, 0
	s_mov_b32 s21, exec_lo
	v_dual_mov_b32 v142, 0 :: v_dual_and_b32 v1, 0xff, v0
	s_delay_alu instid0(VALU_DEP_1)
	v_cmpx_ne_u16_e32 0, v1
	s_cbranch_execz .LBB354_875
; %bb.868:                              ;   in Loop: Header=BB354_16 Depth=1
	v_bfrev_b32_e32 v142, 1
	s_mov_b32 s22, exec_lo
	v_cmpx_ne_u16_e32 0x80, v1
	s_cbranch_execz .LBB354_874
; %bb.869:                              ;   in Loop: Header=BB354_16 Depth=1
	v_bfe_u32 v2, v33, 16, 7
	v_mov_b32_e32 v142, 0x7fc02000
	s_mov_b32 s23, exec_lo
	s_delay_alu instid0(VALU_DEP_2)
	v_cmpx_ne_u32_e32 0x7f, v2
	s_cbranch_execz .LBB354_873
; %bb.870:                              ;   in Loop: Header=BB354_16 Depth=1
	v_and_b32_e32 v7, 7, v0
	v_mov_b32_e32 v36, v8
	v_lshrrev_b32_e32 v1, 3, v2
	s_mov_b32 s24, exec_lo
	s_delay_alu instid0(VALU_DEP_3)
	v_mov_b32_e32 v35, v7
	v_cmpx_gt_u32_e32 8, v2
; %bb.871:                              ;   in Loop: Header=BB354_16 Depth=1
	v_clz_i32_u32_e32 v1, v7
	s_delay_alu instid0(VALU_DEP_1) | instskip(NEXT) | instid1(VALU_DEP_1)
	v_min_u32_e32 v1, 32, v1
	v_subrev_nc_u32_e32 v2, 28, v1
	v_sub_nc_u32_e32 v1, 29, v1
	s_delay_alu instid0(VALU_DEP_2) | instskip(NEXT) | instid1(VALU_DEP_1)
	v_lshlrev_b64 v[2:3], v2, v[7:8]
	v_and_b32_e32 v35, 7, v2
; %bb.872:                              ;   in Loop: Header=BB354_16 Depth=1
	s_or_b32 exec_lo, exec_lo, s24
	v_lshlrev_b32_e32 v0, 8, v0
	v_lshl_add_u32 v1, v1, 10, 0x2000
	s_delay_alu instid0(VALU_DEP_1) | instskip(NEXT) | instid1(VALU_DEP_1)
	v_and_or_b32 v0, 0x8000, v0, v1
	v_lshl_or_b32 v0, v35, 7, v0
	s_delay_alu instid0(VALU_DEP_1)
	v_cvt_f32_f16_e64 v142, v0
.LBB354_873:                            ;   in Loop: Header=BB354_16 Depth=1
	s_or_b32 exec_lo, exec_lo, s23
.LBB354_874:                            ;   in Loop: Header=BB354_16 Depth=1
	s_delay_alu instid0(SALU_CYCLE_1)
	s_or_b32 exec_lo, exec_lo, s22
.LBB354_875:                            ;   in Loop: Header=BB354_16 Depth=1
	s_delay_alu instid0(SALU_CYCLE_1) | instskip(NEXT) | instid1(SALU_CYCLE_1)
	s_or_b32 exec_lo, exec_lo, s21
	s_mov_b32 s21, exec_lo
	v_cmpx_lt_u32_e32 0xffffff, v33
	s_cbranch_execz .LBB354_883
; %bb.876:                              ;   in Loop: Header=BB354_16 Depth=1
	v_lshrrev_b32_e32 v0, 24, v33
	v_bfrev_b32_e32 v141, 1
	s_mov_b32 s22, exec_lo
	s_delay_alu instid0(VALU_DEP_2)
	v_cmpx_ne_u32_e32 0x80, v0
	s_cbranch_execz .LBB354_882
; %bb.877:                              ;   in Loop: Header=BB354_16 Depth=1
	v_and_b32_e32 v2, 0x7f, v0
	v_mov_b32_e32 v141, 0x7fc02000
	s_mov_b32 s23, exec_lo
	s_delay_alu instid0(VALU_DEP_2)
	v_cmpx_ne_u32_e32 0x7f, v2
	s_cbranch_execz .LBB354_881
; %bb.878:                              ;   in Loop: Header=BB354_16 Depth=1
	v_and_b32_e32 v7, 7, v0
	v_lshrrev_b32_e32 v1, 3, v2
	v_mov_b32_e32 v36, v8
	s_mov_b32 s24, exec_lo
	s_delay_alu instid0(VALU_DEP_3)
	v_mov_b32_e32 v35, v7
	v_cmpx_gt_u32_e32 8, v2
; %bb.879:                              ;   in Loop: Header=BB354_16 Depth=1
	v_clz_i32_u32_e32 v1, v7
	s_delay_alu instid0(VALU_DEP_1) | instskip(NEXT) | instid1(VALU_DEP_1)
	v_min_u32_e32 v1, 32, v1
	v_subrev_nc_u32_e32 v2, 28, v1
	v_sub_nc_u32_e32 v1, 29, v1
	s_delay_alu instid0(VALU_DEP_2) | instskip(NEXT) | instid1(VALU_DEP_1)
	v_lshlrev_b64 v[2:3], v2, v[7:8]
	v_and_b32_e32 v35, 7, v2
; %bb.880:                              ;   in Loop: Header=BB354_16 Depth=1
	s_or_b32 exec_lo, exec_lo, s24
	v_lshlrev_b32_e32 v0, 8, v0
	v_lshl_add_u32 v1, v1, 10, 0x2000
	s_delay_alu instid0(VALU_DEP_1) | instskip(NEXT) | instid1(VALU_DEP_1)
	v_and_or_b32 v0, 0x8000, v0, v1
	v_lshl_or_b32 v0, v35, 7, v0
	s_delay_alu instid0(VALU_DEP_1)
	v_cvt_f32_f16_e64 v141, v0
.LBB354_881:                            ;   in Loop: Header=BB354_16 Depth=1
	s_or_b32 exec_lo, exec_lo, s23
.LBB354_882:                            ;   in Loop: Header=BB354_16 Depth=1
	s_delay_alu instid0(SALU_CYCLE_1)
	s_or_b32 exec_lo, exec_lo, s22
.LBB354_883:                            ;   in Loop: Header=BB354_16 Depth=1
	s_delay_alu instid0(SALU_CYCLE_1) | instskip(SKIP_3) | instid1(VALU_DEP_2)
	s_or_b32 exec_lo, exec_lo, s21
	v_dual_mov_b32 v7, v34 :: v_dual_and_b32 v0, 0xff, v34
	v_dual_mov_b32 v152, 0 :: v_dual_mov_b32 v143, 0
	s_mov_b32 s21, exec_lo
	v_cmpx_ne_u16_e32 0, v0
	s_cbranch_execz .LBB354_891
; %bb.884:                              ;   in Loop: Header=BB354_16 Depth=1
	v_bfrev_b32_e32 v143, 1
	s_mov_b32 s22, exec_lo
	v_cmpx_ne_u16_e32 0x80, v0
	s_cbranch_execz .LBB354_890
; %bb.885:                              ;   in Loop: Header=BB354_16 Depth=1
	v_and_b32_e32 v1, 0x7f, v34
	v_mov_b32_e32 v143, 0x7fc02000
	s_mov_b32 s23, exec_lo
	s_delay_alu instid0(VALU_DEP_2)
	v_cmpx_ne_u32_e32 0x7f, v1
	s_cbranch_execz .LBB354_889
; %bb.886:                              ;   in Loop: Header=BB354_16 Depth=1
	v_dual_mov_b32 v36, v8 :: v_dual_mov_b32 v35, v7
	v_lshrrev_b32_e32 v0, 3, v1
	s_mov_b32 s24, exec_lo
	v_cmpx_gt_u32_e32 8, v1
; %bb.887:                              ;   in Loop: Header=BB354_16 Depth=1
	v_and_b32_e32 v0, 7, v34
	s_delay_alu instid0(VALU_DEP_1) | instskip(NEXT) | instid1(VALU_DEP_1)
	v_clz_i32_u32_e32 v0, v0
	v_min_u32_e32 v0, 32, v0
	s_delay_alu instid0(VALU_DEP_1) | instskip(SKIP_1) | instid1(VALU_DEP_2)
	v_subrev_nc_u32_e32 v1, 28, v0
	v_sub_nc_u32_e32 v0, 29, v0
	v_lshlrev_b64 v[35:36], v1, v[7:8]
; %bb.888:                              ;   in Loop: Header=BB354_16 Depth=1
	s_or_b32 exec_lo, exec_lo, s24
	v_lshlrev_b32_e32 v1, 8, v34
	s_delay_alu instid0(VALU_DEP_3) | instskip(NEXT) | instid1(VALU_DEP_3)
	v_lshl_add_u32 v0, v0, 10, 0x2000
	v_lshlrev_b32_e32 v2, 7, v35
	s_delay_alu instid0(VALU_DEP_2) | instskip(NEXT) | instid1(VALU_DEP_1)
	v_and_or_b32 v0, 0x8000, v1, v0
	v_and_or_b32 v0, 0x380, v2, v0
	s_delay_alu instid0(VALU_DEP_1)
	v_cvt_f32_f16_e64 v143, v0
.LBB354_889:                            ;   in Loop: Header=BB354_16 Depth=1
	s_or_b32 exec_lo, exec_lo, s23
.LBB354_890:                            ;   in Loop: Header=BB354_16 Depth=1
	s_delay_alu instid0(SALU_CYCLE_1)
	s_or_b32 exec_lo, exec_lo, s22
.LBB354_891:                            ;   in Loop: Header=BB354_16 Depth=1
	s_delay_alu instid0(SALU_CYCLE_1) | instskip(SKIP_2) | instid1(VALU_DEP_1)
	s_or_b32 exec_lo, exec_lo, s21
	v_lshrrev_b16 v0, 8, v7
	s_mov_b32 s21, exec_lo
	v_cmpx_ne_u16_e32 0, v0
	s_cbranch_execz .LBB354_899
; %bb.892:                              ;   in Loop: Header=BB354_16 Depth=1
	v_bfrev_b32_e32 v152, 1
	s_mov_b32 s22, exec_lo
	v_cmpx_ne_u16_e32 0x80, v0
	s_cbranch_execz .LBB354_898
; %bb.893:                              ;   in Loop: Header=BB354_16 Depth=1
	v_and_b32_e32 v0, 0xffff, v0
	v_mov_b32_e32 v152, 0x7fc02000
	s_mov_b32 s23, exec_lo
	s_delay_alu instid0(VALU_DEP_2) | instskip(NEXT) | instid1(VALU_DEP_1)
	v_and_b32_e32 v2, 0x7f, v0
	v_cmpx_ne_u32_e32 0x7f, v2
	s_cbranch_execz .LBB354_897
; %bb.894:                              ;   in Loop: Header=BB354_16 Depth=1
	v_and_b32_e32 v7, 7, v0
	v_lshrrev_b32_e32 v1, 3, v2
	v_mov_b32_e32 v36, v8
	s_mov_b32 s24, exec_lo
	s_delay_alu instid0(VALU_DEP_3)
	v_mov_b32_e32 v35, v7
	v_cmpx_gt_u32_e32 8, v2
; %bb.895:                              ;   in Loop: Header=BB354_16 Depth=1
	v_clz_i32_u32_e32 v1, v7
	s_delay_alu instid0(VALU_DEP_1) | instskip(NEXT) | instid1(VALU_DEP_1)
	v_min_u32_e32 v1, 32, v1
	v_subrev_nc_u32_e32 v2, 28, v1
	v_sub_nc_u32_e32 v1, 29, v1
	s_delay_alu instid0(VALU_DEP_2) | instskip(NEXT) | instid1(VALU_DEP_1)
	v_lshlrev_b64 v[2:3], v2, v[7:8]
	v_and_b32_e32 v35, 7, v2
; %bb.896:                              ;   in Loop: Header=BB354_16 Depth=1
	s_or_b32 exec_lo, exec_lo, s24
	v_lshlrev_b32_e32 v0, 8, v0
	v_lshl_add_u32 v1, v1, 10, 0x2000
	s_delay_alu instid0(VALU_DEP_1) | instskip(NEXT) | instid1(VALU_DEP_1)
	v_and_or_b32 v0, 0x8000, v0, v1
	v_lshl_or_b32 v0, v35, 7, v0
	s_delay_alu instid0(VALU_DEP_1)
	v_cvt_f32_f16_e64 v152, v0
.LBB354_897:                            ;   in Loop: Header=BB354_16 Depth=1
	s_or_b32 exec_lo, exec_lo, s23
.LBB354_898:                            ;   in Loop: Header=BB354_16 Depth=1
	s_delay_alu instid0(SALU_CYCLE_1)
	s_or_b32 exec_lo, exec_lo, s22
.LBB354_899:                            ;   in Loop: Header=BB354_16 Depth=1
	s_delay_alu instid0(SALU_CYCLE_1) | instskip(SKIP_3) | instid1(VALU_DEP_2)
	s_or_b32 exec_lo, exec_lo, s21
	v_lshrrev_b32_e32 v0, 16, v34
	v_mov_b32_e32 v153, 0
	s_mov_b32 s21, exec_lo
	v_dual_mov_b32 v154, 0 :: v_dual_and_b32 v1, 0xff, v0
	s_delay_alu instid0(VALU_DEP_1)
	v_cmpx_ne_u16_e32 0, v1
	s_cbranch_execz .LBB354_907
; %bb.900:                              ;   in Loop: Header=BB354_16 Depth=1
	v_bfrev_b32_e32 v154, 1
	s_mov_b32 s22, exec_lo
	v_cmpx_ne_u16_e32 0x80, v1
	s_cbranch_execz .LBB354_906
; %bb.901:                              ;   in Loop: Header=BB354_16 Depth=1
	v_bfe_u32 v2, v34, 16, 7
	v_mov_b32_e32 v154, 0x7fc02000
	s_mov_b32 s23, exec_lo
	s_delay_alu instid0(VALU_DEP_2)
	v_cmpx_ne_u32_e32 0x7f, v2
	s_cbranch_execz .LBB354_905
; %bb.902:                              ;   in Loop: Header=BB354_16 Depth=1
	v_and_b32_e32 v7, 7, v0
	v_lshrrev_b32_e32 v1, 3, v2
	v_mov_b32_e32 v36, v8
	s_mov_b32 s24, exec_lo
	s_delay_alu instid0(VALU_DEP_3)
	v_mov_b32_e32 v35, v7
	v_cmpx_gt_u32_e32 8, v2
; %bb.903:                              ;   in Loop: Header=BB354_16 Depth=1
	v_clz_i32_u32_e32 v1, v7
	s_delay_alu instid0(VALU_DEP_1) | instskip(NEXT) | instid1(VALU_DEP_1)
	v_min_u32_e32 v1, 32, v1
	v_subrev_nc_u32_e32 v2, 28, v1
	v_sub_nc_u32_e32 v1, 29, v1
	s_delay_alu instid0(VALU_DEP_2) | instskip(NEXT) | instid1(VALU_DEP_1)
	v_lshlrev_b64 v[2:3], v2, v[7:8]
	v_and_b32_e32 v35, 7, v2
; %bb.904:                              ;   in Loop: Header=BB354_16 Depth=1
	s_or_b32 exec_lo, exec_lo, s24
	v_lshlrev_b32_e32 v0, 8, v0
	v_lshl_add_u32 v1, v1, 10, 0x2000
	s_delay_alu instid0(VALU_DEP_1) | instskip(NEXT) | instid1(VALU_DEP_1)
	v_and_or_b32 v0, 0x8000, v0, v1
	v_lshl_or_b32 v0, v35, 7, v0
	s_delay_alu instid0(VALU_DEP_1)
	v_cvt_f32_f16_e64 v154, v0
.LBB354_905:                            ;   in Loop: Header=BB354_16 Depth=1
	s_or_b32 exec_lo, exec_lo, s23
.LBB354_906:                            ;   in Loop: Header=BB354_16 Depth=1
	s_delay_alu instid0(SALU_CYCLE_1)
	s_or_b32 exec_lo, exec_lo, s22
.LBB354_907:                            ;   in Loop: Header=BB354_16 Depth=1
	s_delay_alu instid0(SALU_CYCLE_1) | instskip(NEXT) | instid1(SALU_CYCLE_1)
	s_or_b32 exec_lo, exec_lo, s21
	s_mov_b32 s21, exec_lo
	v_cmpx_lt_u64_e64 s[8:9], v[33:34]
	s_cbranch_execz .LBB354_915
; %bb.908:                              ;   in Loop: Header=BB354_16 Depth=1
	v_lshrrev_b32_e32 v0, 24, v34
	v_bfrev_b32_e32 v153, 1
	s_mov_b32 s22, exec_lo
	s_delay_alu instid0(VALU_DEP_2)
	v_cmpx_ne_u32_e32 0x80, v0
	s_cbranch_execz .LBB354_914
; %bb.909:                              ;   in Loop: Header=BB354_16 Depth=1
	v_and_b32_e32 v2, 0x7f, v0
	v_mov_b32_e32 v153, 0x7fc02000
	s_mov_b32 s23, exec_lo
	s_delay_alu instid0(VALU_DEP_2)
	v_cmpx_ne_u32_e32 0x7f, v2
	s_cbranch_execz .LBB354_913
; %bb.910:                              ;   in Loop: Header=BB354_16 Depth=1
	v_and_b32_e32 v7, 7, v0
	v_lshrrev_b32_e32 v1, 3, v2
	v_mov_b32_e32 v34, v8
	s_mov_b32 s24, exec_lo
	s_delay_alu instid0(VALU_DEP_3)
	v_mov_b32_e32 v33, v7
	v_cmpx_gt_u32_e32 8, v2
; %bb.911:                              ;   in Loop: Header=BB354_16 Depth=1
	v_clz_i32_u32_e32 v1, v7
	s_delay_alu instid0(VALU_DEP_1) | instskip(NEXT) | instid1(VALU_DEP_1)
	v_min_u32_e32 v1, 32, v1
	v_subrev_nc_u32_e32 v2, 28, v1
	v_sub_nc_u32_e32 v1, 29, v1
	s_delay_alu instid0(VALU_DEP_2) | instskip(NEXT) | instid1(VALU_DEP_1)
	v_lshlrev_b64 v[2:3], v2, v[7:8]
	v_and_b32_e32 v33, 7, v2
; %bb.912:                              ;   in Loop: Header=BB354_16 Depth=1
	s_or_b32 exec_lo, exec_lo, s24
	v_lshlrev_b32_e32 v0, 8, v0
	v_lshl_add_u32 v1, v1, 10, 0x2000
	s_delay_alu instid0(VALU_DEP_1) | instskip(NEXT) | instid1(VALU_DEP_1)
	v_and_or_b32 v0, 0x8000, v0, v1
	v_lshl_or_b32 v0, v33, 7, v0
	s_delay_alu instid0(VALU_DEP_1)
	v_cvt_f32_f16_e64 v153, v0
.LBB354_913:                            ;   in Loop: Header=BB354_16 Depth=1
	s_or_b32 exec_lo, exec_lo, s23
.LBB354_914:                            ;   in Loop: Header=BB354_16 Depth=1
	s_delay_alu instid0(SALU_CYCLE_1)
	s_or_b32 exec_lo, exec_lo, s22
.LBB354_915:                            ;   in Loop: Header=BB354_16 Depth=1
	s_delay_alu instid0(SALU_CYCLE_1)
	s_or_b32 exec_lo, exec_lo, s21
	flat_load_b64 v[33:34], v[31:32] offset:3584
	v_mov_b32_e32 v188, 0
	s_mov_b32 s21, exec_lo
	s_waitcnt vmcnt(0) lgkmcnt(0)
	v_dual_mov_b32 v155, 0 :: v_dual_and_b32 v0, 0xff, v33
	s_delay_alu instid0(VALU_DEP_1)
	v_cmpx_ne_u16_e32 0, v0
	s_cbranch_execz .LBB354_923
; %bb.916:                              ;   in Loop: Header=BB354_16 Depth=1
	v_bfrev_b32_e32 v188, 1
	s_mov_b32 s22, exec_lo
	v_cmpx_ne_u16_e32 0x80, v0
	s_cbranch_execz .LBB354_922
; %bb.917:                              ;   in Loop: Header=BB354_16 Depth=1
	v_and_b32_e32 v1, 0x7f, v33
	v_mov_b32_e32 v188, 0x7fc02000
	s_mov_b32 s23, exec_lo
	s_delay_alu instid0(VALU_DEP_2)
	v_cmpx_ne_u32_e32 0x7f, v1
	s_cbranch_execz .LBB354_921
; %bb.918:                              ;   in Loop: Header=BB354_16 Depth=1
	v_lshrrev_b32_e32 v0, 3, v1
	v_dual_mov_b32 v36, v34 :: v_dual_mov_b32 v35, v33
	s_mov_b32 s24, exec_lo
	v_cmpx_gt_u32_e32 8, v1
; %bb.919:                              ;   in Loop: Header=BB354_16 Depth=1
	v_and_b32_e32 v0, 7, v33
	s_delay_alu instid0(VALU_DEP_1) | instskip(NEXT) | instid1(VALU_DEP_1)
	v_clz_i32_u32_e32 v0, v0
	v_min_u32_e32 v0, 32, v0
	s_delay_alu instid0(VALU_DEP_1) | instskip(SKIP_1) | instid1(VALU_DEP_2)
	v_subrev_nc_u32_e32 v1, 28, v0
	v_sub_nc_u32_e32 v0, 29, v0
	v_lshlrev_b64 v[35:36], v1, v[33:34]
; %bb.920:                              ;   in Loop: Header=BB354_16 Depth=1
	s_or_b32 exec_lo, exec_lo, s24
	v_lshlrev_b32_e32 v1, 8, v33
	s_delay_alu instid0(VALU_DEP_3) | instskip(NEXT) | instid1(VALU_DEP_3)
	v_lshl_add_u32 v0, v0, 10, 0x2000
	v_lshlrev_b32_e32 v2, 7, v35
	s_delay_alu instid0(VALU_DEP_2) | instskip(NEXT) | instid1(VALU_DEP_1)
	v_and_or_b32 v0, 0x8000, v1, v0
	v_and_or_b32 v0, 0x380, v2, v0
	s_delay_alu instid0(VALU_DEP_1)
	v_cvt_f32_f16_e64 v188, v0
.LBB354_921:                            ;   in Loop: Header=BB354_16 Depth=1
	s_or_b32 exec_lo, exec_lo, s23
.LBB354_922:                            ;   in Loop: Header=BB354_16 Depth=1
	s_delay_alu instid0(SALU_CYCLE_1)
	s_or_b32 exec_lo, exec_lo, s22
.LBB354_923:                            ;   in Loop: Header=BB354_16 Depth=1
	s_delay_alu instid0(SALU_CYCLE_1) | instskip(SKIP_2) | instid1(VALU_DEP_1)
	s_or_b32 exec_lo, exec_lo, s21
	v_lshrrev_b16 v0, 8, v33
	s_mov_b32 s21, exec_lo
	v_cmpx_ne_u16_e32 0, v0
	s_cbranch_execz .LBB354_931
; %bb.924:                              ;   in Loop: Header=BB354_16 Depth=1
	v_bfrev_b32_e32 v155, 1
	s_mov_b32 s22, exec_lo
	v_cmpx_ne_u16_e32 0x80, v0
	s_cbranch_execz .LBB354_930
; %bb.925:                              ;   in Loop: Header=BB354_16 Depth=1
	v_and_b32_e32 v0, 0xffff, v0
	v_mov_b32_e32 v155, 0x7fc02000
	s_mov_b32 s23, exec_lo
	s_delay_alu instid0(VALU_DEP_2) | instskip(NEXT) | instid1(VALU_DEP_1)
	v_and_b32_e32 v2, 0x7f, v0
	v_cmpx_ne_u32_e32 0x7f, v2
	s_cbranch_execz .LBB354_929
; %bb.926:                              ;   in Loop: Header=BB354_16 Depth=1
	v_and_b32_e32 v7, 7, v0
	v_lshrrev_b32_e32 v1, 3, v2
	v_mov_b32_e32 v36, v8
	s_mov_b32 s24, exec_lo
	s_delay_alu instid0(VALU_DEP_3)
	v_mov_b32_e32 v35, v7
	v_cmpx_gt_u32_e32 8, v2
; %bb.927:                              ;   in Loop: Header=BB354_16 Depth=1
	v_clz_i32_u32_e32 v1, v7
	s_delay_alu instid0(VALU_DEP_1) | instskip(NEXT) | instid1(VALU_DEP_1)
	v_min_u32_e32 v1, 32, v1
	v_subrev_nc_u32_e32 v2, 28, v1
	v_sub_nc_u32_e32 v1, 29, v1
	s_delay_alu instid0(VALU_DEP_2) | instskip(NEXT) | instid1(VALU_DEP_1)
	v_lshlrev_b64 v[2:3], v2, v[7:8]
	v_and_b32_e32 v35, 7, v2
; %bb.928:                              ;   in Loop: Header=BB354_16 Depth=1
	s_or_b32 exec_lo, exec_lo, s24
	v_lshlrev_b32_e32 v0, 8, v0
	v_lshl_add_u32 v1, v1, 10, 0x2000
	s_delay_alu instid0(VALU_DEP_1) | instskip(NEXT) | instid1(VALU_DEP_1)
	v_and_or_b32 v0, 0x8000, v0, v1
	v_lshl_or_b32 v0, v35, 7, v0
	s_delay_alu instid0(VALU_DEP_1)
	v_cvt_f32_f16_e64 v155, v0
.LBB354_929:                            ;   in Loop: Header=BB354_16 Depth=1
	s_or_b32 exec_lo, exec_lo, s23
.LBB354_930:                            ;   in Loop: Header=BB354_16 Depth=1
	s_delay_alu instid0(SALU_CYCLE_1)
	s_or_b32 exec_lo, exec_lo, s22
.LBB354_931:                            ;   in Loop: Header=BB354_16 Depth=1
	s_delay_alu instid0(SALU_CYCLE_1) | instskip(SKIP_3) | instid1(VALU_DEP_2)
	s_or_b32 exec_lo, exec_lo, s21
	v_lshrrev_b32_e32 v0, 16, v33
	v_mov_b32_e32 v157, 0
	s_mov_b32 s21, exec_lo
	v_dual_mov_b32 v158, 0 :: v_dual_and_b32 v1, 0xff, v0
	s_delay_alu instid0(VALU_DEP_1)
	v_cmpx_ne_u16_e32 0, v1
	s_cbranch_execz .LBB354_939
; %bb.932:                              ;   in Loop: Header=BB354_16 Depth=1
	v_bfrev_b32_e32 v157, 1
	s_mov_b32 s22, exec_lo
	v_cmpx_ne_u16_e32 0x80, v1
	s_cbranch_execz .LBB354_938
; %bb.933:                              ;   in Loop: Header=BB354_16 Depth=1
	v_bfe_u32 v2, v33, 16, 7
	v_mov_b32_e32 v157, 0x7fc02000
	s_mov_b32 s23, exec_lo
	s_delay_alu instid0(VALU_DEP_2)
	v_cmpx_ne_u32_e32 0x7f, v2
	s_cbranch_execz .LBB354_937
; %bb.934:                              ;   in Loop: Header=BB354_16 Depth=1
	v_and_b32_e32 v7, 7, v0
	v_lshrrev_b32_e32 v1, 3, v2
	v_mov_b32_e32 v36, v8
	s_mov_b32 s24, exec_lo
	s_delay_alu instid0(VALU_DEP_3)
	v_mov_b32_e32 v35, v7
	v_cmpx_gt_u32_e32 8, v2
; %bb.935:                              ;   in Loop: Header=BB354_16 Depth=1
	v_clz_i32_u32_e32 v1, v7
	s_delay_alu instid0(VALU_DEP_1) | instskip(NEXT) | instid1(VALU_DEP_1)
	v_min_u32_e32 v1, 32, v1
	v_subrev_nc_u32_e32 v2, 28, v1
	v_sub_nc_u32_e32 v1, 29, v1
	s_delay_alu instid0(VALU_DEP_2) | instskip(NEXT) | instid1(VALU_DEP_1)
	v_lshlrev_b64 v[2:3], v2, v[7:8]
	v_and_b32_e32 v35, 7, v2
; %bb.936:                              ;   in Loop: Header=BB354_16 Depth=1
	s_or_b32 exec_lo, exec_lo, s24
	v_lshlrev_b32_e32 v0, 8, v0
	v_lshl_add_u32 v1, v1, 10, 0x2000
	s_delay_alu instid0(VALU_DEP_1) | instskip(NEXT) | instid1(VALU_DEP_1)
	v_and_or_b32 v0, 0x8000, v0, v1
	v_lshl_or_b32 v0, v35, 7, v0
	s_delay_alu instid0(VALU_DEP_1)
	v_cvt_f32_f16_e64 v157, v0
.LBB354_937:                            ;   in Loop: Header=BB354_16 Depth=1
	s_or_b32 exec_lo, exec_lo, s23
.LBB354_938:                            ;   in Loop: Header=BB354_16 Depth=1
	s_delay_alu instid0(SALU_CYCLE_1)
	s_or_b32 exec_lo, exec_lo, s22
.LBB354_939:                            ;   in Loop: Header=BB354_16 Depth=1
	s_delay_alu instid0(SALU_CYCLE_1) | instskip(NEXT) | instid1(SALU_CYCLE_1)
	s_or_b32 exec_lo, exec_lo, s21
	s_mov_b32 s21, exec_lo
	v_cmpx_lt_u32_e32 0xffffff, v33
	s_cbranch_execz .LBB354_947
; %bb.940:                              ;   in Loop: Header=BB354_16 Depth=1
	v_lshrrev_b32_e32 v0, 24, v33
	v_bfrev_b32_e32 v158, 1
	s_mov_b32 s22, exec_lo
	s_delay_alu instid0(VALU_DEP_2)
	v_cmpx_ne_u32_e32 0x80, v0
	s_cbranch_execz .LBB354_946
; %bb.941:                              ;   in Loop: Header=BB354_16 Depth=1
	v_and_b32_e32 v2, 0x7f, v0
	v_mov_b32_e32 v158, 0x7fc02000
	s_mov_b32 s23, exec_lo
	s_delay_alu instid0(VALU_DEP_2)
	v_cmpx_ne_u32_e32 0x7f, v2
	s_cbranch_execz .LBB354_945
; %bb.942:                              ;   in Loop: Header=BB354_16 Depth=1
	v_and_b32_e32 v7, 7, v0
	v_lshrrev_b32_e32 v1, 3, v2
	v_mov_b32_e32 v36, v8
	s_mov_b32 s24, exec_lo
	s_delay_alu instid0(VALU_DEP_3)
	v_mov_b32_e32 v35, v7
	v_cmpx_gt_u32_e32 8, v2
; %bb.943:                              ;   in Loop: Header=BB354_16 Depth=1
	v_clz_i32_u32_e32 v1, v7
	s_delay_alu instid0(VALU_DEP_1) | instskip(NEXT) | instid1(VALU_DEP_1)
	v_min_u32_e32 v1, 32, v1
	v_subrev_nc_u32_e32 v2, 28, v1
	v_sub_nc_u32_e32 v1, 29, v1
	s_delay_alu instid0(VALU_DEP_2) | instskip(NEXT) | instid1(VALU_DEP_1)
	v_lshlrev_b64 v[2:3], v2, v[7:8]
	v_and_b32_e32 v35, 7, v2
; %bb.944:                              ;   in Loop: Header=BB354_16 Depth=1
	s_or_b32 exec_lo, exec_lo, s24
	v_lshlrev_b32_e32 v0, 8, v0
	v_lshl_add_u32 v1, v1, 10, 0x2000
	s_delay_alu instid0(VALU_DEP_1) | instskip(NEXT) | instid1(VALU_DEP_1)
	v_and_or_b32 v0, 0x8000, v0, v1
	v_lshl_or_b32 v0, v35, 7, v0
	s_delay_alu instid0(VALU_DEP_1)
	v_cvt_f32_f16_e64 v158, v0
.LBB354_945:                            ;   in Loop: Header=BB354_16 Depth=1
	s_or_b32 exec_lo, exec_lo, s23
.LBB354_946:                            ;   in Loop: Header=BB354_16 Depth=1
	s_delay_alu instid0(SALU_CYCLE_1)
	s_or_b32 exec_lo, exec_lo, s22
.LBB354_947:                            ;   in Loop: Header=BB354_16 Depth=1
	s_delay_alu instid0(SALU_CYCLE_1) | instskip(SKIP_3) | instid1(VALU_DEP_2)
	s_or_b32 exec_lo, exec_lo, s21
	v_dual_mov_b32 v7, v34 :: v_dual_and_b32 v0, 0xff, v34
	v_dual_mov_b32 v168, 0 :: v_dual_mov_b32 v159, 0
	s_mov_b32 s21, exec_lo
	v_cmpx_ne_u16_e32 0, v0
	s_cbranch_execz .LBB354_955
; %bb.948:                              ;   in Loop: Header=BB354_16 Depth=1
	v_bfrev_b32_e32 v159, 1
	s_mov_b32 s22, exec_lo
	v_cmpx_ne_u16_e32 0x80, v0
	s_cbranch_execz .LBB354_954
; %bb.949:                              ;   in Loop: Header=BB354_16 Depth=1
	v_and_b32_e32 v1, 0x7f, v34
	v_mov_b32_e32 v159, 0x7fc02000
	s_mov_b32 s23, exec_lo
	s_delay_alu instid0(VALU_DEP_2)
	v_cmpx_ne_u32_e32 0x7f, v1
	s_cbranch_execz .LBB354_953
; %bb.950:                              ;   in Loop: Header=BB354_16 Depth=1
	v_dual_mov_b32 v36, v8 :: v_dual_mov_b32 v35, v7
	v_lshrrev_b32_e32 v0, 3, v1
	s_mov_b32 s24, exec_lo
	v_cmpx_gt_u32_e32 8, v1
; %bb.951:                              ;   in Loop: Header=BB354_16 Depth=1
	v_and_b32_e32 v0, 7, v34
	s_delay_alu instid0(VALU_DEP_1) | instskip(NEXT) | instid1(VALU_DEP_1)
	v_clz_i32_u32_e32 v0, v0
	v_min_u32_e32 v0, 32, v0
	s_delay_alu instid0(VALU_DEP_1) | instskip(SKIP_1) | instid1(VALU_DEP_2)
	v_subrev_nc_u32_e32 v1, 28, v0
	v_sub_nc_u32_e32 v0, 29, v0
	v_lshlrev_b64 v[35:36], v1, v[7:8]
; %bb.952:                              ;   in Loop: Header=BB354_16 Depth=1
	s_or_b32 exec_lo, exec_lo, s24
	v_lshlrev_b32_e32 v1, 8, v34
	s_delay_alu instid0(VALU_DEP_3) | instskip(NEXT) | instid1(VALU_DEP_3)
	v_lshl_add_u32 v0, v0, 10, 0x2000
	v_lshlrev_b32_e32 v2, 7, v35
	s_delay_alu instid0(VALU_DEP_2) | instskip(NEXT) | instid1(VALU_DEP_1)
	v_and_or_b32 v0, 0x8000, v1, v0
	v_and_or_b32 v0, 0x380, v2, v0
	s_delay_alu instid0(VALU_DEP_1)
	v_cvt_f32_f16_e64 v159, v0
.LBB354_953:                            ;   in Loop: Header=BB354_16 Depth=1
	s_or_b32 exec_lo, exec_lo, s23
.LBB354_954:                            ;   in Loop: Header=BB354_16 Depth=1
	s_delay_alu instid0(SALU_CYCLE_1)
	s_or_b32 exec_lo, exec_lo, s22
.LBB354_955:                            ;   in Loop: Header=BB354_16 Depth=1
	s_delay_alu instid0(SALU_CYCLE_1) | instskip(SKIP_2) | instid1(VALU_DEP_1)
	s_or_b32 exec_lo, exec_lo, s21
	v_lshrrev_b16 v0, 8, v7
	s_mov_b32 s21, exec_lo
	v_cmpx_ne_u16_e32 0, v0
	s_cbranch_execz .LBB354_963
; %bb.956:                              ;   in Loop: Header=BB354_16 Depth=1
	v_bfrev_b32_e32 v168, 1
	s_mov_b32 s22, exec_lo
	v_cmpx_ne_u16_e32 0x80, v0
	s_cbranch_execz .LBB354_962
; %bb.957:                              ;   in Loop: Header=BB354_16 Depth=1
	v_and_b32_e32 v0, 0xffff, v0
	v_mov_b32_e32 v168, 0x7fc02000
	s_mov_b32 s23, exec_lo
	s_delay_alu instid0(VALU_DEP_2) | instskip(NEXT) | instid1(VALU_DEP_1)
	v_and_b32_e32 v2, 0x7f, v0
	v_cmpx_ne_u32_e32 0x7f, v2
	s_cbranch_execz .LBB354_961
; %bb.958:                              ;   in Loop: Header=BB354_16 Depth=1
	v_and_b32_e32 v7, 7, v0
	v_lshrrev_b32_e32 v1, 3, v2
	v_mov_b32_e32 v36, v8
	s_mov_b32 s24, exec_lo
	s_delay_alu instid0(VALU_DEP_3)
	v_mov_b32_e32 v35, v7
	v_cmpx_gt_u32_e32 8, v2
; %bb.959:                              ;   in Loop: Header=BB354_16 Depth=1
	v_clz_i32_u32_e32 v1, v7
	s_delay_alu instid0(VALU_DEP_1) | instskip(NEXT) | instid1(VALU_DEP_1)
	v_min_u32_e32 v1, 32, v1
	v_subrev_nc_u32_e32 v2, 28, v1
	v_sub_nc_u32_e32 v1, 29, v1
	s_delay_alu instid0(VALU_DEP_2) | instskip(NEXT) | instid1(VALU_DEP_1)
	v_lshlrev_b64 v[2:3], v2, v[7:8]
	v_and_b32_e32 v35, 7, v2
; %bb.960:                              ;   in Loop: Header=BB354_16 Depth=1
	s_or_b32 exec_lo, exec_lo, s24
	v_lshlrev_b32_e32 v0, 8, v0
	v_lshl_add_u32 v1, v1, 10, 0x2000
	s_delay_alu instid0(VALU_DEP_1) | instskip(NEXT) | instid1(VALU_DEP_1)
	v_and_or_b32 v0, 0x8000, v0, v1
	v_lshl_or_b32 v0, v35, 7, v0
	s_delay_alu instid0(VALU_DEP_1)
	v_cvt_f32_f16_e64 v168, v0
.LBB354_961:                            ;   in Loop: Header=BB354_16 Depth=1
	s_or_b32 exec_lo, exec_lo, s23
.LBB354_962:                            ;   in Loop: Header=BB354_16 Depth=1
	s_delay_alu instid0(SALU_CYCLE_1)
	s_or_b32 exec_lo, exec_lo, s22
.LBB354_963:                            ;   in Loop: Header=BB354_16 Depth=1
	s_delay_alu instid0(SALU_CYCLE_1) | instskip(SKIP_3) | instid1(VALU_DEP_2)
	s_or_b32 exec_lo, exec_lo, s21
	v_lshrrev_b32_e32 v0, 16, v34
	v_mov_b32_e32 v171, 0
	s_mov_b32 s21, exec_lo
	v_dual_mov_b32 v172, 0 :: v_dual_and_b32 v1, 0xff, v0
	s_delay_alu instid0(VALU_DEP_1)
	v_cmpx_ne_u16_e32 0, v1
	s_cbranch_execz .LBB354_971
; %bb.964:                              ;   in Loop: Header=BB354_16 Depth=1
	v_bfrev_b32_e32 v172, 1
	s_mov_b32 s22, exec_lo
	v_cmpx_ne_u16_e32 0x80, v1
	s_cbranch_execz .LBB354_970
; %bb.965:                              ;   in Loop: Header=BB354_16 Depth=1
	v_bfe_u32 v2, v34, 16, 7
	v_mov_b32_e32 v172, 0x7fc02000
	s_mov_b32 s23, exec_lo
	s_delay_alu instid0(VALU_DEP_2)
	v_cmpx_ne_u32_e32 0x7f, v2
	s_cbranch_execz .LBB354_969
; %bb.966:                              ;   in Loop: Header=BB354_16 Depth=1
	v_and_b32_e32 v7, 7, v0
	v_lshrrev_b32_e32 v1, 3, v2
	v_mov_b32_e32 v36, v8
	s_mov_b32 s24, exec_lo
	s_delay_alu instid0(VALU_DEP_3)
	v_mov_b32_e32 v35, v7
	v_cmpx_gt_u32_e32 8, v2
; %bb.967:                              ;   in Loop: Header=BB354_16 Depth=1
	v_clz_i32_u32_e32 v1, v7
	s_delay_alu instid0(VALU_DEP_1) | instskip(NEXT) | instid1(VALU_DEP_1)
	v_min_u32_e32 v1, 32, v1
	v_subrev_nc_u32_e32 v2, 28, v1
	v_sub_nc_u32_e32 v1, 29, v1
	s_delay_alu instid0(VALU_DEP_2) | instskip(NEXT) | instid1(VALU_DEP_1)
	v_lshlrev_b64 v[2:3], v2, v[7:8]
	v_and_b32_e32 v35, 7, v2
; %bb.968:                              ;   in Loop: Header=BB354_16 Depth=1
	s_or_b32 exec_lo, exec_lo, s24
	v_lshlrev_b32_e32 v0, 8, v0
	v_lshl_add_u32 v1, v1, 10, 0x2000
	s_delay_alu instid0(VALU_DEP_1) | instskip(NEXT) | instid1(VALU_DEP_1)
	v_and_or_b32 v0, 0x8000, v0, v1
	v_lshl_or_b32 v0, v35, 7, v0
	s_delay_alu instid0(VALU_DEP_1)
	v_cvt_f32_f16_e64 v172, v0
.LBB354_969:                            ;   in Loop: Header=BB354_16 Depth=1
	s_or_b32 exec_lo, exec_lo, s23
.LBB354_970:                            ;   in Loop: Header=BB354_16 Depth=1
	s_delay_alu instid0(SALU_CYCLE_1)
	s_or_b32 exec_lo, exec_lo, s22
.LBB354_971:                            ;   in Loop: Header=BB354_16 Depth=1
	s_delay_alu instid0(SALU_CYCLE_1) | instskip(NEXT) | instid1(SALU_CYCLE_1)
	s_or_b32 exec_lo, exec_lo, s21
	s_mov_b32 s21, exec_lo
	v_cmpx_lt_u64_e64 s[8:9], v[33:34]
	s_cbranch_execz .LBB354_979
; %bb.972:                              ;   in Loop: Header=BB354_16 Depth=1
	v_lshrrev_b32_e32 v0, 24, v34
	v_bfrev_b32_e32 v171, 1
	s_mov_b32 s22, exec_lo
	s_delay_alu instid0(VALU_DEP_2)
	v_cmpx_ne_u32_e32 0x80, v0
	s_cbranch_execz .LBB354_978
; %bb.973:                              ;   in Loop: Header=BB354_16 Depth=1
	v_and_b32_e32 v2, 0x7f, v0
	v_mov_b32_e32 v171, 0x7fc02000
	s_mov_b32 s23, exec_lo
	s_delay_alu instid0(VALU_DEP_2)
	v_cmpx_ne_u32_e32 0x7f, v2
	s_cbranch_execz .LBB354_977
; %bb.974:                              ;   in Loop: Header=BB354_16 Depth=1
	v_and_b32_e32 v7, 7, v0
	v_lshrrev_b32_e32 v1, 3, v2
	v_mov_b32_e32 v34, v8
	s_mov_b32 s24, exec_lo
	s_delay_alu instid0(VALU_DEP_3)
	v_mov_b32_e32 v33, v7
	v_cmpx_gt_u32_e32 8, v2
; %bb.975:                              ;   in Loop: Header=BB354_16 Depth=1
	v_clz_i32_u32_e32 v1, v7
	s_delay_alu instid0(VALU_DEP_1) | instskip(NEXT) | instid1(VALU_DEP_1)
	v_min_u32_e32 v1, 32, v1
	v_subrev_nc_u32_e32 v2, 28, v1
	v_sub_nc_u32_e32 v1, 29, v1
	s_delay_alu instid0(VALU_DEP_2) | instskip(NEXT) | instid1(VALU_DEP_1)
	v_lshlrev_b64 v[2:3], v2, v[7:8]
	v_and_b32_e32 v33, 7, v2
; %bb.976:                              ;   in Loop: Header=BB354_16 Depth=1
	s_or_b32 exec_lo, exec_lo, s24
	v_lshlrev_b32_e32 v0, 8, v0
	v_lshl_add_u32 v1, v1, 10, 0x2000
	s_delay_alu instid0(VALU_DEP_1) | instskip(NEXT) | instid1(VALU_DEP_1)
	v_and_or_b32 v0, 0x8000, v0, v1
	v_lshl_or_b32 v0, v33, 7, v0
	s_delay_alu instid0(VALU_DEP_1)
	v_cvt_f32_f16_e64 v171, v0
.LBB354_977:                            ;   in Loop: Header=BB354_16 Depth=1
	s_or_b32 exec_lo, exec_lo, s23
.LBB354_978:                            ;   in Loop: Header=BB354_16 Depth=1
	s_delay_alu instid0(SALU_CYCLE_1)
	s_or_b32 exec_lo, exec_lo, s22
.LBB354_979:                            ;   in Loop: Header=BB354_16 Depth=1
	s_delay_alu instid0(SALU_CYCLE_1)
	s_or_b32 exec_lo, exec_lo, s21
	flat_load_b64 v[33:34], v[31:32] offset:3592
	v_mov_b32_e32 v69, 0
	s_mov_b32 s21, exec_lo
	s_waitcnt vmcnt(0) lgkmcnt(0)
	v_dual_mov_b32 v169, 0 :: v_dual_and_b32 v0, 0xff, v33
	s_delay_alu instid0(VALU_DEP_1)
	v_cmpx_ne_u16_e32 0, v0
	s_cbranch_execz .LBB354_987
; %bb.980:                              ;   in Loop: Header=BB354_16 Depth=1
	v_bfrev_b32_e32 v69, 1
	s_mov_b32 s22, exec_lo
	v_cmpx_ne_u16_e32 0x80, v0
	s_cbranch_execz .LBB354_986
; %bb.981:                              ;   in Loop: Header=BB354_16 Depth=1
	v_and_b32_e32 v1, 0x7f, v33
	v_mov_b32_e32 v69, 0x7fc02000
	s_mov_b32 s23, exec_lo
	s_delay_alu instid0(VALU_DEP_2)
	v_cmpx_ne_u32_e32 0x7f, v1
	s_cbranch_execz .LBB354_985
; %bb.982:                              ;   in Loop: Header=BB354_16 Depth=1
	v_lshrrev_b32_e32 v0, 3, v1
	v_dual_mov_b32 v36, v34 :: v_dual_mov_b32 v35, v33
	s_mov_b32 s24, exec_lo
	v_cmpx_gt_u32_e32 8, v1
; %bb.983:                              ;   in Loop: Header=BB354_16 Depth=1
	v_and_b32_e32 v0, 7, v33
	s_delay_alu instid0(VALU_DEP_1) | instskip(NEXT) | instid1(VALU_DEP_1)
	v_clz_i32_u32_e32 v0, v0
	v_min_u32_e32 v0, 32, v0
	s_delay_alu instid0(VALU_DEP_1) | instskip(SKIP_1) | instid1(VALU_DEP_2)
	v_subrev_nc_u32_e32 v1, 28, v0
	v_sub_nc_u32_e32 v0, 29, v0
	v_lshlrev_b64 v[35:36], v1, v[33:34]
; %bb.984:                              ;   in Loop: Header=BB354_16 Depth=1
	s_or_b32 exec_lo, exec_lo, s24
	v_lshlrev_b32_e32 v1, 8, v33
	s_delay_alu instid0(VALU_DEP_3) | instskip(NEXT) | instid1(VALU_DEP_3)
	v_lshl_add_u32 v0, v0, 10, 0x2000
	v_lshlrev_b32_e32 v2, 7, v35
	s_delay_alu instid0(VALU_DEP_2) | instskip(NEXT) | instid1(VALU_DEP_1)
	v_and_or_b32 v0, 0x8000, v1, v0
	v_and_or_b32 v0, 0x380, v2, v0
	s_delay_alu instid0(VALU_DEP_1)
	v_cvt_f32_f16_e32 v69, v0
.LBB354_985:                            ;   in Loop: Header=BB354_16 Depth=1
	s_or_b32 exec_lo, exec_lo, s23
.LBB354_986:                            ;   in Loop: Header=BB354_16 Depth=1
	s_delay_alu instid0(SALU_CYCLE_1)
	s_or_b32 exec_lo, exec_lo, s22
.LBB354_987:                            ;   in Loop: Header=BB354_16 Depth=1
	s_delay_alu instid0(SALU_CYCLE_1) | instskip(SKIP_2) | instid1(VALU_DEP_1)
	s_or_b32 exec_lo, exec_lo, s21
	v_lshrrev_b16 v0, 8, v33
	s_mov_b32 s21, exec_lo
	v_cmpx_ne_u16_e32 0, v0
	s_cbranch_execz .LBB354_995
; %bb.988:                              ;   in Loop: Header=BB354_16 Depth=1
	v_bfrev_b32_e32 v169, 1
	s_mov_b32 s22, exec_lo
	v_cmpx_ne_u16_e32 0x80, v0
	s_cbranch_execz .LBB354_994
; %bb.989:                              ;   in Loop: Header=BB354_16 Depth=1
	v_and_b32_e32 v0, 0xffff, v0
	v_mov_b32_e32 v169, 0x7fc02000
	s_mov_b32 s23, exec_lo
	s_delay_alu instid0(VALU_DEP_2) | instskip(NEXT) | instid1(VALU_DEP_1)
	v_and_b32_e32 v2, 0x7f, v0
	v_cmpx_ne_u32_e32 0x7f, v2
	s_cbranch_execz .LBB354_993
; %bb.990:                              ;   in Loop: Header=BB354_16 Depth=1
	v_and_b32_e32 v7, 7, v0
	v_lshrrev_b32_e32 v1, 3, v2
	v_mov_b32_e32 v36, v8
	s_mov_b32 s24, exec_lo
	s_delay_alu instid0(VALU_DEP_3)
	v_mov_b32_e32 v35, v7
	v_cmpx_gt_u32_e32 8, v2
; %bb.991:                              ;   in Loop: Header=BB354_16 Depth=1
	v_clz_i32_u32_e32 v1, v7
	s_delay_alu instid0(VALU_DEP_1) | instskip(NEXT) | instid1(VALU_DEP_1)
	v_min_u32_e32 v1, 32, v1
	v_subrev_nc_u32_e32 v2, 28, v1
	v_sub_nc_u32_e32 v1, 29, v1
	s_delay_alu instid0(VALU_DEP_2) | instskip(NEXT) | instid1(VALU_DEP_1)
	v_lshlrev_b64 v[2:3], v2, v[7:8]
	v_and_b32_e32 v35, 7, v2
; %bb.992:                              ;   in Loop: Header=BB354_16 Depth=1
	s_or_b32 exec_lo, exec_lo, s24
	v_lshlrev_b32_e32 v0, 8, v0
	v_lshl_add_u32 v1, v1, 10, 0x2000
	s_delay_alu instid0(VALU_DEP_1) | instskip(NEXT) | instid1(VALU_DEP_1)
	v_and_or_b32 v0, 0x8000, v0, v1
	v_lshl_or_b32 v0, v35, 7, v0
	s_delay_alu instid0(VALU_DEP_1)
	v_cvt_f32_f16_e64 v169, v0
.LBB354_993:                            ;   in Loop: Header=BB354_16 Depth=1
	s_or_b32 exec_lo, exec_lo, s23
.LBB354_994:                            ;   in Loop: Header=BB354_16 Depth=1
	s_delay_alu instid0(SALU_CYCLE_1)
	s_or_b32 exec_lo, exec_lo, s22
.LBB354_995:                            ;   in Loop: Header=BB354_16 Depth=1
	s_delay_alu instid0(SALU_CYCLE_1) | instskip(SKIP_3) | instid1(VALU_DEP_2)
	s_or_b32 exec_lo, exec_lo, s21
	v_lshrrev_b32_e32 v0, 16, v33
	v_mov_b32_e32 v66, 0
	s_mov_b32 s21, exec_lo
	v_dual_mov_b32 v18, 0 :: v_dual_and_b32 v1, 0xff, v0
	s_delay_alu instid0(VALU_DEP_1)
	v_cmpx_ne_u16_e32 0, v1
	s_cbranch_execz .LBB354_1003
; %bb.996:                              ;   in Loop: Header=BB354_16 Depth=1
	v_bfrev_b32_e32 v66, 1
	s_mov_b32 s22, exec_lo
	v_cmpx_ne_u16_e32 0x80, v1
	s_cbranch_execz .LBB354_1002
; %bb.997:                              ;   in Loop: Header=BB354_16 Depth=1
	v_bfe_u32 v2, v33, 16, 7
	v_mov_b32_e32 v66, 0x7fc02000
	s_mov_b32 s23, exec_lo
	s_delay_alu instid0(VALU_DEP_2)
	v_cmpx_ne_u32_e32 0x7f, v2
	s_cbranch_execz .LBB354_1001
; %bb.998:                              ;   in Loop: Header=BB354_16 Depth=1
	v_and_b32_e32 v7, 7, v0
	v_lshrrev_b32_e32 v1, 3, v2
	v_mov_b32_e32 v36, v8
	s_mov_b32 s24, exec_lo
	s_delay_alu instid0(VALU_DEP_3)
	v_mov_b32_e32 v35, v7
	v_cmpx_gt_u32_e32 8, v2
; %bb.999:                              ;   in Loop: Header=BB354_16 Depth=1
	v_clz_i32_u32_e32 v1, v7
	s_delay_alu instid0(VALU_DEP_1) | instskip(NEXT) | instid1(VALU_DEP_1)
	v_min_u32_e32 v1, 32, v1
	v_subrev_nc_u32_e32 v2, 28, v1
	v_sub_nc_u32_e32 v1, 29, v1
	s_delay_alu instid0(VALU_DEP_2) | instskip(NEXT) | instid1(VALU_DEP_1)
	v_lshlrev_b64 v[2:3], v2, v[7:8]
	v_and_b32_e32 v35, 7, v2
; %bb.1000:                             ;   in Loop: Header=BB354_16 Depth=1
	s_or_b32 exec_lo, exec_lo, s24
	v_lshlrev_b32_e32 v0, 8, v0
	v_lshl_add_u32 v1, v1, 10, 0x2000
	s_delay_alu instid0(VALU_DEP_1) | instskip(NEXT) | instid1(VALU_DEP_1)
	v_and_or_b32 v0, 0x8000, v0, v1
	v_lshl_or_b32 v0, v35, 7, v0
	s_delay_alu instid0(VALU_DEP_1)
	v_cvt_f32_f16_e32 v66, v0
.LBB354_1001:                           ;   in Loop: Header=BB354_16 Depth=1
	s_or_b32 exec_lo, exec_lo, s23
.LBB354_1002:                           ;   in Loop: Header=BB354_16 Depth=1
	s_delay_alu instid0(SALU_CYCLE_1)
	s_or_b32 exec_lo, exec_lo, s22
.LBB354_1003:                           ;   in Loop: Header=BB354_16 Depth=1
	s_delay_alu instid0(SALU_CYCLE_1) | instskip(NEXT) | instid1(SALU_CYCLE_1)
	s_or_b32 exec_lo, exec_lo, s21
	s_mov_b32 s21, exec_lo
	v_cmpx_lt_u32_e32 0xffffff, v33
	s_cbranch_execz .LBB354_1011
; %bb.1004:                             ;   in Loop: Header=BB354_16 Depth=1
	v_lshrrev_b32_e32 v0, 24, v33
	v_bfrev_b32_e32 v18, 1
	s_mov_b32 s22, exec_lo
	s_delay_alu instid0(VALU_DEP_2)
	v_cmpx_ne_u32_e32 0x80, v0
	s_cbranch_execz .LBB354_1010
; %bb.1005:                             ;   in Loop: Header=BB354_16 Depth=1
	v_and_b32_e32 v2, 0x7f, v0
	v_mov_b32_e32 v18, 0x7fc02000
	s_mov_b32 s23, exec_lo
	s_delay_alu instid0(VALU_DEP_2)
	v_cmpx_ne_u32_e32 0x7f, v2
	s_cbranch_execz .LBB354_1009
; %bb.1006:                             ;   in Loop: Header=BB354_16 Depth=1
	v_and_b32_e32 v7, 7, v0
	v_lshrrev_b32_e32 v1, 3, v2
	v_mov_b32_e32 v36, v8
	s_mov_b32 s24, exec_lo
	s_delay_alu instid0(VALU_DEP_3)
	v_mov_b32_e32 v35, v7
	v_cmpx_gt_u32_e32 8, v2
; %bb.1007:                             ;   in Loop: Header=BB354_16 Depth=1
	v_clz_i32_u32_e32 v1, v7
	s_delay_alu instid0(VALU_DEP_1) | instskip(NEXT) | instid1(VALU_DEP_1)
	v_min_u32_e32 v1, 32, v1
	v_subrev_nc_u32_e32 v2, 28, v1
	v_sub_nc_u32_e32 v1, 29, v1
	s_delay_alu instid0(VALU_DEP_2) | instskip(NEXT) | instid1(VALU_DEP_1)
	v_lshlrev_b64 v[2:3], v2, v[7:8]
	v_and_b32_e32 v35, 7, v2
; %bb.1008:                             ;   in Loop: Header=BB354_16 Depth=1
	s_or_b32 exec_lo, exec_lo, s24
	v_lshlrev_b32_e32 v0, 8, v0
	v_lshl_add_u32 v1, v1, 10, 0x2000
	s_delay_alu instid0(VALU_DEP_1) | instskip(NEXT) | instid1(VALU_DEP_1)
	v_and_or_b32 v0, 0x8000, v0, v1
	v_lshl_or_b32 v0, v35, 7, v0
	s_delay_alu instid0(VALU_DEP_1)
	v_cvt_f32_f16_e32 v18, v0
.LBB354_1009:                           ;   in Loop: Header=BB354_16 Depth=1
	s_or_b32 exec_lo, exec_lo, s23
.LBB354_1010:                           ;   in Loop: Header=BB354_16 Depth=1
	s_delay_alu instid0(SALU_CYCLE_1)
	s_or_b32 exec_lo, exec_lo, s22
.LBB354_1011:                           ;   in Loop: Header=BB354_16 Depth=1
	s_delay_alu instid0(SALU_CYCLE_1) | instskip(SKIP_3) | instid1(VALU_DEP_2)
	s_or_b32 exec_lo, exec_lo, s21
	v_dual_mov_b32 v7, v34 :: v_dual_and_b32 v0, 0xff, v34
	v_dual_mov_b32 v12, 0 :: v_dual_mov_b32 v5, 0
	s_mov_b32 s21, exec_lo
	v_cmpx_ne_u16_e32 0, v0
	s_cbranch_execz .LBB354_1019
; %bb.1012:                             ;   in Loop: Header=BB354_16 Depth=1
	v_bfrev_b32_e32 v5, 1
	s_mov_b32 s22, exec_lo
	v_cmpx_ne_u16_e32 0x80, v0
	s_cbranch_execz .LBB354_1018
; %bb.1013:                             ;   in Loop: Header=BB354_16 Depth=1
	v_and_b32_e32 v1, 0x7f, v34
	v_mov_b32_e32 v5, 0x7fc02000
	s_mov_b32 s23, exec_lo
	s_delay_alu instid0(VALU_DEP_2)
	v_cmpx_ne_u32_e32 0x7f, v1
	s_cbranch_execz .LBB354_1017
; %bb.1014:                             ;   in Loop: Header=BB354_16 Depth=1
	v_dual_mov_b32 v36, v8 :: v_dual_mov_b32 v35, v7
	v_lshrrev_b32_e32 v0, 3, v1
	s_mov_b32 s24, exec_lo
	v_cmpx_gt_u32_e32 8, v1
; %bb.1015:                             ;   in Loop: Header=BB354_16 Depth=1
	v_and_b32_e32 v0, 7, v34
	s_delay_alu instid0(VALU_DEP_1) | instskip(NEXT) | instid1(VALU_DEP_1)
	v_clz_i32_u32_e32 v0, v0
	v_min_u32_e32 v0, 32, v0
	s_delay_alu instid0(VALU_DEP_1) | instskip(SKIP_1) | instid1(VALU_DEP_2)
	v_subrev_nc_u32_e32 v1, 28, v0
	v_sub_nc_u32_e32 v0, 29, v0
	v_lshlrev_b64 v[35:36], v1, v[7:8]
; %bb.1016:                             ;   in Loop: Header=BB354_16 Depth=1
	s_or_b32 exec_lo, exec_lo, s24
	v_lshlrev_b32_e32 v1, 8, v34
	s_delay_alu instid0(VALU_DEP_3) | instskip(NEXT) | instid1(VALU_DEP_3)
	v_lshl_add_u32 v0, v0, 10, 0x2000
	v_lshlrev_b32_e32 v2, 7, v35
	s_delay_alu instid0(VALU_DEP_2) | instskip(NEXT) | instid1(VALU_DEP_1)
	v_and_or_b32 v0, 0x8000, v1, v0
	v_and_or_b32 v0, 0x380, v2, v0
	s_delay_alu instid0(VALU_DEP_1)
	v_cvt_f32_f16_e32 v5, v0
.LBB354_1017:                           ;   in Loop: Header=BB354_16 Depth=1
	s_or_b32 exec_lo, exec_lo, s23
.LBB354_1018:                           ;   in Loop: Header=BB354_16 Depth=1
	s_delay_alu instid0(SALU_CYCLE_1)
	s_or_b32 exec_lo, exec_lo, s22
.LBB354_1019:                           ;   in Loop: Header=BB354_16 Depth=1
	s_delay_alu instid0(SALU_CYCLE_1) | instskip(SKIP_2) | instid1(VALU_DEP_1)
	s_or_b32 exec_lo, exec_lo, s21
	v_lshrrev_b16 v0, 8, v7
	s_mov_b32 s21, exec_lo
	v_cmpx_ne_u16_e32 0, v0
	s_cbranch_execz .LBB354_1027
; %bb.1020:                             ;   in Loop: Header=BB354_16 Depth=1
	v_bfrev_b32_e32 v12, 1
	s_mov_b32 s22, exec_lo
	v_cmpx_ne_u16_e32 0x80, v0
	s_cbranch_execz .LBB354_1026
; %bb.1021:                             ;   in Loop: Header=BB354_16 Depth=1
	v_and_b32_e32 v0, 0xffff, v0
	v_mov_b32_e32 v12, 0x7fc02000
	s_mov_b32 s23, exec_lo
	s_delay_alu instid0(VALU_DEP_2) | instskip(NEXT) | instid1(VALU_DEP_1)
	v_and_b32_e32 v2, 0x7f, v0
	v_cmpx_ne_u32_e32 0x7f, v2
	s_cbranch_execz .LBB354_1025
; %bb.1022:                             ;   in Loop: Header=BB354_16 Depth=1
	v_and_b32_e32 v7, 7, v0
	v_lshrrev_b32_e32 v1, 3, v2
	v_mov_b32_e32 v36, v8
	s_mov_b32 s24, exec_lo
	s_delay_alu instid0(VALU_DEP_3)
	v_mov_b32_e32 v35, v7
	v_cmpx_gt_u32_e32 8, v2
; %bb.1023:                             ;   in Loop: Header=BB354_16 Depth=1
	v_clz_i32_u32_e32 v1, v7
	s_delay_alu instid0(VALU_DEP_1) | instskip(NEXT) | instid1(VALU_DEP_1)
	v_min_u32_e32 v1, 32, v1
	v_subrev_nc_u32_e32 v2, 28, v1
	v_sub_nc_u32_e32 v1, 29, v1
	s_delay_alu instid0(VALU_DEP_2) | instskip(NEXT) | instid1(VALU_DEP_1)
	v_lshlrev_b64 v[2:3], v2, v[7:8]
	v_and_b32_e32 v35, 7, v2
; %bb.1024:                             ;   in Loop: Header=BB354_16 Depth=1
	s_or_b32 exec_lo, exec_lo, s24
	v_lshlrev_b32_e32 v0, 8, v0
	v_lshl_add_u32 v1, v1, 10, 0x2000
	s_delay_alu instid0(VALU_DEP_1) | instskip(NEXT) | instid1(VALU_DEP_1)
	v_and_or_b32 v0, 0x8000, v0, v1
	v_lshl_or_b32 v0, v35, 7, v0
	s_delay_alu instid0(VALU_DEP_1)
	v_cvt_f32_f16_e32 v12, v0
.LBB354_1025:                           ;   in Loop: Header=BB354_16 Depth=1
	s_or_b32 exec_lo, exec_lo, s23
.LBB354_1026:                           ;   in Loop: Header=BB354_16 Depth=1
	s_delay_alu instid0(SALU_CYCLE_1)
	s_or_b32 exec_lo, exec_lo, s22
.LBB354_1027:                           ;   in Loop: Header=BB354_16 Depth=1
	s_delay_alu instid0(SALU_CYCLE_1) | instskip(SKIP_3) | instid1(VALU_DEP_2)
	s_or_b32 exec_lo, exec_lo, s21
	v_lshrrev_b32_e32 v0, 16, v34
	v_mov_b32_e32 v39, 0
	s_mov_b32 s21, exec_lo
	v_dual_mov_b32 v48, 0 :: v_dual_and_b32 v1, 0xff, v0
	s_delay_alu instid0(VALU_DEP_1)
	v_cmpx_ne_u16_e32 0, v1
	s_cbranch_execz .LBB354_1035
; %bb.1028:                             ;   in Loop: Header=BB354_16 Depth=1
	v_bfrev_b32_e32 v48, 1
	s_mov_b32 s22, exec_lo
	v_cmpx_ne_u16_e32 0x80, v1
	s_cbranch_execz .LBB354_1034
; %bb.1029:                             ;   in Loop: Header=BB354_16 Depth=1
	v_bfe_u32 v2, v34, 16, 7
	v_mov_b32_e32 v48, 0x7fc02000
	s_mov_b32 s23, exec_lo
	s_delay_alu instid0(VALU_DEP_2)
	v_cmpx_ne_u32_e32 0x7f, v2
	s_cbranch_execz .LBB354_1033
; %bb.1030:                             ;   in Loop: Header=BB354_16 Depth=1
	v_and_b32_e32 v7, 7, v0
	v_lshrrev_b32_e32 v1, 3, v2
	v_mov_b32_e32 v36, v8
	s_mov_b32 s24, exec_lo
	s_delay_alu instid0(VALU_DEP_3)
	v_mov_b32_e32 v35, v7
	v_cmpx_gt_u32_e32 8, v2
; %bb.1031:                             ;   in Loop: Header=BB354_16 Depth=1
	v_clz_i32_u32_e32 v1, v7
	s_delay_alu instid0(VALU_DEP_1) | instskip(NEXT) | instid1(VALU_DEP_1)
	v_min_u32_e32 v1, 32, v1
	v_subrev_nc_u32_e32 v2, 28, v1
	v_sub_nc_u32_e32 v1, 29, v1
	s_delay_alu instid0(VALU_DEP_2) | instskip(NEXT) | instid1(VALU_DEP_1)
	v_lshlrev_b64 v[2:3], v2, v[7:8]
	v_and_b32_e32 v35, 7, v2
; %bb.1032:                             ;   in Loop: Header=BB354_16 Depth=1
	s_or_b32 exec_lo, exec_lo, s24
	v_lshlrev_b32_e32 v0, 8, v0
	v_lshl_add_u32 v1, v1, 10, 0x2000
	s_delay_alu instid0(VALU_DEP_1) | instskip(NEXT) | instid1(VALU_DEP_1)
	v_and_or_b32 v0, 0x8000, v0, v1
	v_lshl_or_b32 v0, v35, 7, v0
	s_delay_alu instid0(VALU_DEP_1)
	v_cvt_f32_f16_e32 v48, v0
.LBB354_1033:                           ;   in Loop: Header=BB354_16 Depth=1
	s_or_b32 exec_lo, exec_lo, s23
.LBB354_1034:                           ;   in Loop: Header=BB354_16 Depth=1
	s_delay_alu instid0(SALU_CYCLE_1)
	s_or_b32 exec_lo, exec_lo, s22
.LBB354_1035:                           ;   in Loop: Header=BB354_16 Depth=1
	s_delay_alu instid0(SALU_CYCLE_1) | instskip(NEXT) | instid1(SALU_CYCLE_1)
	s_or_b32 exec_lo, exec_lo, s21
	s_mov_b32 s21, exec_lo
	v_cmpx_lt_u64_e64 s[8:9], v[33:34]
	s_cbranch_execz .LBB354_1043
; %bb.1036:                             ;   in Loop: Header=BB354_16 Depth=1
	v_lshrrev_b32_e32 v0, 24, v34
	v_bfrev_b32_e32 v39, 1
	s_mov_b32 s22, exec_lo
	s_delay_alu instid0(VALU_DEP_2)
	v_cmpx_ne_u32_e32 0x80, v0
	s_cbranch_execz .LBB354_1042
; %bb.1037:                             ;   in Loop: Header=BB354_16 Depth=1
	v_and_b32_e32 v2, 0x7f, v0
	v_mov_b32_e32 v39, 0x7fc02000
	s_mov_b32 s23, exec_lo
	s_delay_alu instid0(VALU_DEP_2)
	v_cmpx_ne_u32_e32 0x7f, v2
	s_cbranch_execz .LBB354_1041
; %bb.1038:                             ;   in Loop: Header=BB354_16 Depth=1
	v_and_b32_e32 v7, 7, v0
	v_lshrrev_b32_e32 v1, 3, v2
	v_mov_b32_e32 v34, v8
	s_mov_b32 s24, exec_lo
	s_delay_alu instid0(VALU_DEP_3)
	v_mov_b32_e32 v33, v7
	v_cmpx_gt_u32_e32 8, v2
; %bb.1039:                             ;   in Loop: Header=BB354_16 Depth=1
	v_clz_i32_u32_e32 v1, v7
	s_delay_alu instid0(VALU_DEP_1) | instskip(NEXT) | instid1(VALU_DEP_1)
	v_min_u32_e32 v1, 32, v1
	v_subrev_nc_u32_e32 v2, 28, v1
	v_sub_nc_u32_e32 v1, 29, v1
	s_delay_alu instid0(VALU_DEP_2) | instskip(NEXT) | instid1(VALU_DEP_1)
	v_lshlrev_b64 v[2:3], v2, v[7:8]
	v_and_b32_e32 v33, 7, v2
; %bb.1040:                             ;   in Loop: Header=BB354_16 Depth=1
	s_or_b32 exec_lo, exec_lo, s24
	v_lshlrev_b32_e32 v0, 8, v0
	v_lshl_add_u32 v1, v1, 10, 0x2000
	s_delay_alu instid0(VALU_DEP_1) | instskip(NEXT) | instid1(VALU_DEP_1)
	v_and_or_b32 v0, 0x8000, v0, v1
	v_lshl_or_b32 v0, v33, 7, v0
	s_delay_alu instid0(VALU_DEP_1)
	v_cvt_f32_f16_e32 v39, v0
.LBB354_1041:                           ;   in Loop: Header=BB354_16 Depth=1
	s_or_b32 exec_lo, exec_lo, s23
.LBB354_1042:                           ;   in Loop: Header=BB354_16 Depth=1
	s_delay_alu instid0(SALU_CYCLE_1)
	s_or_b32 exec_lo, exec_lo, s22
.LBB354_1043:                           ;   in Loop: Header=BB354_16 Depth=1
	s_delay_alu instid0(SALU_CYCLE_1) | instskip(SKIP_1) | instid1(VALU_DEP_1)
	s_or_b32 exec_lo, exec_lo, s21
	v_add_co_u32 v31, s1, 0x1000, v31
	v_add_co_ci_u32_e64 v32, s1, 0, v32, s1
	v_mov_b32_e32 v14, 0
	s_mov_b32 s21, exec_lo
	v_mov_b32_e32 v15, 0
	flat_load_b64 v[33:34], v[31:32]
	s_waitcnt vmcnt(0) lgkmcnt(0)
	v_and_b32_e32 v0, 0xff, v33
	s_delay_alu instid0(VALU_DEP_1)
	v_cmpx_ne_u16_e32 0, v0
	s_cbranch_execz .LBB354_1051
; %bb.1044:                             ;   in Loop: Header=BB354_16 Depth=1
	v_bfrev_b32_e32 v15, 1
	s_mov_b32 s22, exec_lo
	v_cmpx_ne_u16_e32 0x80, v0
	s_cbranch_execz .LBB354_1050
; %bb.1045:                             ;   in Loop: Header=BB354_16 Depth=1
	v_and_b32_e32 v1, 0x7f, v33
	v_mov_b32_e32 v15, 0x7fc02000
	s_mov_b32 s23, exec_lo
	s_delay_alu instid0(VALU_DEP_2)
	v_cmpx_ne_u32_e32 0x7f, v1
	s_cbranch_execz .LBB354_1049
; %bb.1046:                             ;   in Loop: Header=BB354_16 Depth=1
	v_lshrrev_b32_e32 v0, 3, v1
	v_dual_mov_b32 v36, v34 :: v_dual_mov_b32 v35, v33
	s_mov_b32 s24, exec_lo
	v_cmpx_gt_u32_e32 8, v1
; %bb.1047:                             ;   in Loop: Header=BB354_16 Depth=1
	v_and_b32_e32 v0, 7, v33
	s_delay_alu instid0(VALU_DEP_1) | instskip(NEXT) | instid1(VALU_DEP_1)
	v_clz_i32_u32_e32 v0, v0
	v_min_u32_e32 v0, 32, v0
	s_delay_alu instid0(VALU_DEP_1) | instskip(SKIP_1) | instid1(VALU_DEP_2)
	v_subrev_nc_u32_e32 v1, 28, v0
	v_sub_nc_u32_e32 v0, 29, v0
	v_lshlrev_b64 v[35:36], v1, v[33:34]
; %bb.1048:                             ;   in Loop: Header=BB354_16 Depth=1
	s_or_b32 exec_lo, exec_lo, s24
	v_lshlrev_b32_e32 v1, 8, v33
	s_delay_alu instid0(VALU_DEP_3) | instskip(NEXT) | instid1(VALU_DEP_3)
	v_lshl_add_u32 v0, v0, 10, 0x2000
	v_lshlrev_b32_e32 v2, 7, v35
	s_delay_alu instid0(VALU_DEP_2) | instskip(NEXT) | instid1(VALU_DEP_1)
	v_and_or_b32 v0, 0x8000, v1, v0
	v_and_or_b32 v0, 0x380, v2, v0
	s_delay_alu instid0(VALU_DEP_1)
	v_cvt_f32_f16_e32 v15, v0
.LBB354_1049:                           ;   in Loop: Header=BB354_16 Depth=1
	s_or_b32 exec_lo, exec_lo, s23
.LBB354_1050:                           ;   in Loop: Header=BB354_16 Depth=1
	s_delay_alu instid0(SALU_CYCLE_1)
	s_or_b32 exec_lo, exec_lo, s22
.LBB354_1051:                           ;   in Loop: Header=BB354_16 Depth=1
	s_delay_alu instid0(SALU_CYCLE_1) | instskip(SKIP_2) | instid1(VALU_DEP_1)
	s_or_b32 exec_lo, exec_lo, s21
	v_lshrrev_b16 v0, 8, v33
	s_mov_b32 s21, exec_lo
	v_cmpx_ne_u16_e32 0, v0
	s_cbranch_execz .LBB354_1059
; %bb.1052:                             ;   in Loop: Header=BB354_16 Depth=1
	v_bfrev_b32_e32 v14, 1
	s_mov_b32 s22, exec_lo
	v_cmpx_ne_u16_e32 0x80, v0
	s_cbranch_execz .LBB354_1058
; %bb.1053:                             ;   in Loop: Header=BB354_16 Depth=1
	v_and_b32_e32 v0, 0xffff, v0
	v_mov_b32_e32 v14, 0x7fc02000
	s_mov_b32 s23, exec_lo
	s_delay_alu instid0(VALU_DEP_2) | instskip(NEXT) | instid1(VALU_DEP_1)
	v_and_b32_e32 v2, 0x7f, v0
	v_cmpx_ne_u32_e32 0x7f, v2
	s_cbranch_execz .LBB354_1057
; %bb.1054:                             ;   in Loop: Header=BB354_16 Depth=1
	v_and_b32_e32 v7, 7, v0
	v_lshrrev_b32_e32 v1, 3, v2
	v_mov_b32_e32 v36, v8
	s_mov_b32 s24, exec_lo
	s_delay_alu instid0(VALU_DEP_3)
	v_mov_b32_e32 v35, v7
	v_cmpx_gt_u32_e32 8, v2
; %bb.1055:                             ;   in Loop: Header=BB354_16 Depth=1
	v_clz_i32_u32_e32 v1, v7
	s_delay_alu instid0(VALU_DEP_1) | instskip(NEXT) | instid1(VALU_DEP_1)
	v_min_u32_e32 v1, 32, v1
	v_subrev_nc_u32_e32 v2, 28, v1
	v_sub_nc_u32_e32 v1, 29, v1
	s_delay_alu instid0(VALU_DEP_2) | instskip(NEXT) | instid1(VALU_DEP_1)
	v_lshlrev_b64 v[2:3], v2, v[7:8]
	v_and_b32_e32 v35, 7, v2
; %bb.1056:                             ;   in Loop: Header=BB354_16 Depth=1
	s_or_b32 exec_lo, exec_lo, s24
	v_lshlrev_b32_e32 v0, 8, v0
	v_lshl_add_u32 v1, v1, 10, 0x2000
	s_delay_alu instid0(VALU_DEP_1) | instskip(NEXT) | instid1(VALU_DEP_1)
	v_and_or_b32 v0, 0x8000, v0, v1
	v_lshl_or_b32 v0, v35, 7, v0
	s_delay_alu instid0(VALU_DEP_1)
	v_cvt_f32_f16_e32 v14, v0
.LBB354_1057:                           ;   in Loop: Header=BB354_16 Depth=1
	s_or_b32 exec_lo, exec_lo, s23
.LBB354_1058:                           ;   in Loop: Header=BB354_16 Depth=1
	s_delay_alu instid0(SALU_CYCLE_1)
	s_or_b32 exec_lo, exec_lo, s22
.LBB354_1059:                           ;   in Loop: Header=BB354_16 Depth=1
	s_delay_alu instid0(SALU_CYCLE_1) | instskip(SKIP_3) | instid1(VALU_DEP_2)
	s_or_b32 exec_lo, exec_lo, s21
	v_lshrrev_b32_e32 v0, 16, v33
	v_mov_b32_e32 v21, 0
	s_mov_b32 s21, exec_lo
	v_dual_mov_b32 v20, 0 :: v_dual_and_b32 v1, 0xff, v0
	s_delay_alu instid0(VALU_DEP_1)
	v_cmpx_ne_u16_e32 0, v1
	s_cbranch_execz .LBB354_1067
; %bb.1060:                             ;   in Loop: Header=BB354_16 Depth=1
	v_bfrev_b32_e32 v20, 1
	s_mov_b32 s22, exec_lo
	v_cmpx_ne_u16_e32 0x80, v1
	s_cbranch_execz .LBB354_1066
; %bb.1061:                             ;   in Loop: Header=BB354_16 Depth=1
	v_bfe_u32 v2, v33, 16, 7
	v_mov_b32_e32 v20, 0x7fc02000
	s_mov_b32 s23, exec_lo
	s_delay_alu instid0(VALU_DEP_2)
	v_cmpx_ne_u32_e32 0x7f, v2
	s_cbranch_execz .LBB354_1065
; %bb.1062:                             ;   in Loop: Header=BB354_16 Depth=1
	v_and_b32_e32 v7, 7, v0
	v_mov_b32_e32 v36, v8
	v_lshrrev_b32_e32 v1, 3, v2
	s_mov_b32 s24, exec_lo
	s_delay_alu instid0(VALU_DEP_3)
	v_mov_b32_e32 v35, v7
	v_cmpx_gt_u32_e32 8, v2
; %bb.1063:                             ;   in Loop: Header=BB354_16 Depth=1
	v_clz_i32_u32_e32 v1, v7
	s_delay_alu instid0(VALU_DEP_1) | instskip(NEXT) | instid1(VALU_DEP_1)
	v_min_u32_e32 v1, 32, v1
	v_subrev_nc_u32_e32 v2, 28, v1
	v_sub_nc_u32_e32 v1, 29, v1
	s_delay_alu instid0(VALU_DEP_2) | instskip(NEXT) | instid1(VALU_DEP_1)
	v_lshlrev_b64 v[2:3], v2, v[7:8]
	v_and_b32_e32 v35, 7, v2
; %bb.1064:                             ;   in Loop: Header=BB354_16 Depth=1
	s_or_b32 exec_lo, exec_lo, s24
	v_lshlrev_b32_e32 v0, 8, v0
	v_lshl_add_u32 v1, v1, 10, 0x2000
	s_delay_alu instid0(VALU_DEP_1) | instskip(NEXT) | instid1(VALU_DEP_1)
	v_and_or_b32 v0, 0x8000, v0, v1
	v_lshl_or_b32 v0, v35, 7, v0
	s_delay_alu instid0(VALU_DEP_1)
	v_cvt_f32_f16_e32 v20, v0
.LBB354_1065:                           ;   in Loop: Header=BB354_16 Depth=1
	s_or_b32 exec_lo, exec_lo, s23
.LBB354_1066:                           ;   in Loop: Header=BB354_16 Depth=1
	s_delay_alu instid0(SALU_CYCLE_1)
	s_or_b32 exec_lo, exec_lo, s22
.LBB354_1067:                           ;   in Loop: Header=BB354_16 Depth=1
	s_delay_alu instid0(SALU_CYCLE_1) | instskip(NEXT) | instid1(SALU_CYCLE_1)
	s_or_b32 exec_lo, exec_lo, s21
	s_mov_b32 s21, exec_lo
	v_cmpx_lt_u32_e32 0xffffff, v33
	s_cbranch_execz .LBB354_1075
; %bb.1068:                             ;   in Loop: Header=BB354_16 Depth=1
	v_lshrrev_b32_e32 v0, 24, v33
	v_bfrev_b32_e32 v21, 1
	s_mov_b32 s22, exec_lo
	s_delay_alu instid0(VALU_DEP_2)
	v_cmpx_ne_u32_e32 0x80, v0
	s_cbranch_execz .LBB354_1074
; %bb.1069:                             ;   in Loop: Header=BB354_16 Depth=1
	v_and_b32_e32 v2, 0x7f, v0
	v_mov_b32_e32 v21, 0x7fc02000
	s_mov_b32 s23, exec_lo
	s_delay_alu instid0(VALU_DEP_2)
	v_cmpx_ne_u32_e32 0x7f, v2
	s_cbranch_execz .LBB354_1073
; %bb.1070:                             ;   in Loop: Header=BB354_16 Depth=1
	v_and_b32_e32 v7, 7, v0
	v_mov_b32_e32 v36, v8
	v_lshrrev_b32_e32 v1, 3, v2
	s_mov_b32 s24, exec_lo
	s_delay_alu instid0(VALU_DEP_3)
	v_mov_b32_e32 v35, v7
	v_cmpx_gt_u32_e32 8, v2
; %bb.1071:                             ;   in Loop: Header=BB354_16 Depth=1
	v_clz_i32_u32_e32 v1, v7
	s_delay_alu instid0(VALU_DEP_1) | instskip(NEXT) | instid1(VALU_DEP_1)
	v_min_u32_e32 v1, 32, v1
	v_subrev_nc_u32_e32 v2, 28, v1
	v_sub_nc_u32_e32 v1, 29, v1
	s_delay_alu instid0(VALU_DEP_2) | instskip(NEXT) | instid1(VALU_DEP_1)
	v_lshlrev_b64 v[2:3], v2, v[7:8]
	v_and_b32_e32 v35, 7, v2
; %bb.1072:                             ;   in Loop: Header=BB354_16 Depth=1
	s_or_b32 exec_lo, exec_lo, s24
	v_lshlrev_b32_e32 v0, 8, v0
	v_lshl_add_u32 v1, v1, 10, 0x2000
	s_delay_alu instid0(VALU_DEP_1) | instskip(NEXT) | instid1(VALU_DEP_1)
	v_and_or_b32 v0, 0x8000, v0, v1
	v_lshl_or_b32 v0, v35, 7, v0
	s_delay_alu instid0(VALU_DEP_1)
	v_cvt_f32_f16_e32 v21, v0
.LBB354_1073:                           ;   in Loop: Header=BB354_16 Depth=1
	s_or_b32 exec_lo, exec_lo, s23
.LBB354_1074:                           ;   in Loop: Header=BB354_16 Depth=1
	s_delay_alu instid0(SALU_CYCLE_1)
	s_or_b32 exec_lo, exec_lo, s22
.LBB354_1075:                           ;   in Loop: Header=BB354_16 Depth=1
	s_delay_alu instid0(SALU_CYCLE_1) | instskip(SKIP_3) | instid1(VALU_DEP_2)
	s_or_b32 exec_lo, exec_lo, s21
	v_dual_mov_b32 v7, v34 :: v_dual_and_b32 v0, 0xff, v34
	v_dual_mov_b32 v67, 0 :: v_dual_mov_b32 v6, 0
	s_mov_b32 s21, exec_lo
	v_cmpx_ne_u16_e32 0, v0
	s_cbranch_execz .LBB354_1083
; %bb.1076:                             ;   in Loop: Header=BB354_16 Depth=1
	v_bfrev_b32_e32 v6, 1
	s_mov_b32 s22, exec_lo
	v_cmpx_ne_u16_e32 0x80, v0
	s_cbranch_execz .LBB354_1082
; %bb.1077:                             ;   in Loop: Header=BB354_16 Depth=1
	v_and_b32_e32 v1, 0x7f, v34
	v_mov_b32_e32 v6, 0x7fc02000
	s_mov_b32 s23, exec_lo
	s_delay_alu instid0(VALU_DEP_2)
	v_cmpx_ne_u32_e32 0x7f, v1
	s_cbranch_execz .LBB354_1081
; %bb.1078:                             ;   in Loop: Header=BB354_16 Depth=1
	v_dual_mov_b32 v36, v8 :: v_dual_mov_b32 v35, v7
	v_lshrrev_b32_e32 v0, 3, v1
	s_mov_b32 s24, exec_lo
	v_cmpx_gt_u32_e32 8, v1
; %bb.1079:                             ;   in Loop: Header=BB354_16 Depth=1
	v_and_b32_e32 v0, 7, v34
	s_delay_alu instid0(VALU_DEP_1) | instskip(NEXT) | instid1(VALU_DEP_1)
	v_clz_i32_u32_e32 v0, v0
	v_min_u32_e32 v0, 32, v0
	s_delay_alu instid0(VALU_DEP_1) | instskip(SKIP_1) | instid1(VALU_DEP_2)
	v_subrev_nc_u32_e32 v1, 28, v0
	v_sub_nc_u32_e32 v0, 29, v0
	v_lshlrev_b64 v[35:36], v1, v[7:8]
; %bb.1080:                             ;   in Loop: Header=BB354_16 Depth=1
	s_or_b32 exec_lo, exec_lo, s24
	v_lshlrev_b32_e32 v1, 8, v34
	s_delay_alu instid0(VALU_DEP_3) | instskip(NEXT) | instid1(VALU_DEP_3)
	v_lshl_add_u32 v0, v0, 10, 0x2000
	v_lshlrev_b32_e32 v2, 7, v35
	s_delay_alu instid0(VALU_DEP_2) | instskip(NEXT) | instid1(VALU_DEP_1)
	v_and_or_b32 v0, 0x8000, v1, v0
	v_and_or_b32 v0, 0x380, v2, v0
	s_delay_alu instid0(VALU_DEP_1)
	v_cvt_f32_f16_e32 v6, v0
.LBB354_1081:                           ;   in Loop: Header=BB354_16 Depth=1
	s_or_b32 exec_lo, exec_lo, s23
.LBB354_1082:                           ;   in Loop: Header=BB354_16 Depth=1
	s_delay_alu instid0(SALU_CYCLE_1)
	s_or_b32 exec_lo, exec_lo, s22
.LBB354_1083:                           ;   in Loop: Header=BB354_16 Depth=1
	s_delay_alu instid0(SALU_CYCLE_1) | instskip(SKIP_2) | instid1(VALU_DEP_1)
	s_or_b32 exec_lo, exec_lo, s21
	v_lshrrev_b16 v0, 8, v7
	s_mov_b32 s21, exec_lo
	v_cmpx_ne_u16_e32 0, v0
	s_cbranch_execz .LBB354_1091
; %bb.1084:                             ;   in Loop: Header=BB354_16 Depth=1
	v_bfrev_b32_e32 v67, 1
	s_mov_b32 s22, exec_lo
	v_cmpx_ne_u16_e32 0x80, v0
	s_cbranch_execz .LBB354_1090
; %bb.1085:                             ;   in Loop: Header=BB354_16 Depth=1
	v_and_b32_e32 v0, 0xffff, v0
	v_mov_b32_e32 v67, 0x7fc02000
	s_mov_b32 s23, exec_lo
	s_delay_alu instid0(VALU_DEP_2) | instskip(NEXT) | instid1(VALU_DEP_1)
	v_and_b32_e32 v2, 0x7f, v0
	v_cmpx_ne_u32_e32 0x7f, v2
	s_cbranch_execz .LBB354_1089
; %bb.1086:                             ;   in Loop: Header=BB354_16 Depth=1
	v_and_b32_e32 v7, 7, v0
	v_mov_b32_e32 v36, v8
	v_lshrrev_b32_e32 v1, 3, v2
	s_mov_b32 s24, exec_lo
	s_delay_alu instid0(VALU_DEP_3)
	v_mov_b32_e32 v35, v7
	v_cmpx_gt_u32_e32 8, v2
; %bb.1087:                             ;   in Loop: Header=BB354_16 Depth=1
	v_clz_i32_u32_e32 v1, v7
	s_delay_alu instid0(VALU_DEP_1) | instskip(NEXT) | instid1(VALU_DEP_1)
	v_min_u32_e32 v1, 32, v1
	v_subrev_nc_u32_e32 v2, 28, v1
	v_sub_nc_u32_e32 v1, 29, v1
	s_delay_alu instid0(VALU_DEP_2) | instskip(NEXT) | instid1(VALU_DEP_1)
	v_lshlrev_b64 v[2:3], v2, v[7:8]
	v_and_b32_e32 v35, 7, v2
; %bb.1088:                             ;   in Loop: Header=BB354_16 Depth=1
	s_or_b32 exec_lo, exec_lo, s24
	v_lshlrev_b32_e32 v0, 8, v0
	v_lshl_add_u32 v1, v1, 10, 0x2000
	s_delay_alu instid0(VALU_DEP_1) | instskip(NEXT) | instid1(VALU_DEP_1)
	v_and_or_b32 v0, 0x8000, v0, v1
	v_lshl_or_b32 v0, v35, 7, v0
	s_delay_alu instid0(VALU_DEP_1)
	v_cvt_f32_f16_e32 v67, v0
.LBB354_1089:                           ;   in Loop: Header=BB354_16 Depth=1
	s_or_b32 exec_lo, exec_lo, s23
.LBB354_1090:                           ;   in Loop: Header=BB354_16 Depth=1
	s_delay_alu instid0(SALU_CYCLE_1)
	s_or_b32 exec_lo, exec_lo, s22
.LBB354_1091:                           ;   in Loop: Header=BB354_16 Depth=1
	s_delay_alu instid0(SALU_CYCLE_1) | instskip(SKIP_3) | instid1(VALU_DEP_2)
	s_or_b32 exec_lo, exec_lo, s21
	v_lshrrev_b32_e32 v0, 16, v34
	v_mov_b32_e32 v87, 0
	s_mov_b32 s21, exec_lo
	v_dual_mov_b32 v86, 0 :: v_dual_and_b32 v1, 0xff, v0
	s_delay_alu instid0(VALU_DEP_1)
	v_cmpx_ne_u16_e32 0, v1
	s_cbranch_execz .LBB354_1099
; %bb.1092:                             ;   in Loop: Header=BB354_16 Depth=1
	v_bfrev_b32_e32 v87, 1
	s_mov_b32 s22, exec_lo
	v_cmpx_ne_u16_e32 0x80, v1
	s_cbranch_execz .LBB354_1098
; %bb.1093:                             ;   in Loop: Header=BB354_16 Depth=1
	v_bfe_u32 v2, v34, 16, 7
	v_mov_b32_e32 v87, 0x7fc02000
	s_mov_b32 s23, exec_lo
	s_delay_alu instid0(VALU_DEP_2)
	v_cmpx_ne_u32_e32 0x7f, v2
	s_cbranch_execz .LBB354_1097
; %bb.1094:                             ;   in Loop: Header=BB354_16 Depth=1
	v_and_b32_e32 v7, 7, v0
	v_mov_b32_e32 v36, v8
	v_lshrrev_b32_e32 v1, 3, v2
	s_mov_b32 s24, exec_lo
	s_delay_alu instid0(VALU_DEP_3)
	v_mov_b32_e32 v35, v7
	v_cmpx_gt_u32_e32 8, v2
; %bb.1095:                             ;   in Loop: Header=BB354_16 Depth=1
	v_clz_i32_u32_e32 v1, v7
	s_delay_alu instid0(VALU_DEP_1) | instskip(NEXT) | instid1(VALU_DEP_1)
	v_min_u32_e32 v1, 32, v1
	v_subrev_nc_u32_e32 v2, 28, v1
	v_sub_nc_u32_e32 v1, 29, v1
	s_delay_alu instid0(VALU_DEP_2) | instskip(NEXT) | instid1(VALU_DEP_1)
	v_lshlrev_b64 v[2:3], v2, v[7:8]
	v_and_b32_e32 v35, 7, v2
; %bb.1096:                             ;   in Loop: Header=BB354_16 Depth=1
	s_or_b32 exec_lo, exec_lo, s24
	v_lshlrev_b32_e32 v0, 8, v0
	v_lshl_add_u32 v1, v1, 10, 0x2000
	s_delay_alu instid0(VALU_DEP_1) | instskip(NEXT) | instid1(VALU_DEP_1)
	v_and_or_b32 v0, 0x8000, v0, v1
	v_lshl_or_b32 v0, v35, 7, v0
	s_delay_alu instid0(VALU_DEP_1)
	v_cvt_f32_f16_e32 v87, v0
.LBB354_1097:                           ;   in Loop: Header=BB354_16 Depth=1
	s_or_b32 exec_lo, exec_lo, s23
.LBB354_1098:                           ;   in Loop: Header=BB354_16 Depth=1
	s_delay_alu instid0(SALU_CYCLE_1)
	s_or_b32 exec_lo, exec_lo, s22
.LBB354_1099:                           ;   in Loop: Header=BB354_16 Depth=1
	s_delay_alu instid0(SALU_CYCLE_1) | instskip(NEXT) | instid1(SALU_CYCLE_1)
	s_or_b32 exec_lo, exec_lo, s21
	s_mov_b32 s21, exec_lo
	v_cmpx_lt_u64_e64 s[8:9], v[33:34]
	s_cbranch_execz .LBB354_1107
; %bb.1100:                             ;   in Loop: Header=BB354_16 Depth=1
	v_lshrrev_b32_e32 v0, 24, v34
	v_bfrev_b32_e32 v86, 1
	s_mov_b32 s22, exec_lo
	s_delay_alu instid0(VALU_DEP_2)
	v_cmpx_ne_u32_e32 0x80, v0
	s_cbranch_execz .LBB354_1106
; %bb.1101:                             ;   in Loop: Header=BB354_16 Depth=1
	v_and_b32_e32 v2, 0x7f, v0
	v_mov_b32_e32 v86, 0x7fc02000
	s_mov_b32 s23, exec_lo
	s_delay_alu instid0(VALU_DEP_2)
	v_cmpx_ne_u32_e32 0x7f, v2
	s_cbranch_execz .LBB354_1105
; %bb.1102:                             ;   in Loop: Header=BB354_16 Depth=1
	v_and_b32_e32 v7, 7, v0
	v_mov_b32_e32 v34, v8
	v_lshrrev_b32_e32 v1, 3, v2
	s_mov_b32 s24, exec_lo
	s_delay_alu instid0(VALU_DEP_3)
	v_mov_b32_e32 v33, v7
	v_cmpx_gt_u32_e32 8, v2
; %bb.1103:                             ;   in Loop: Header=BB354_16 Depth=1
	v_clz_i32_u32_e32 v1, v7
	s_delay_alu instid0(VALU_DEP_1) | instskip(NEXT) | instid1(VALU_DEP_1)
	v_min_u32_e32 v1, 32, v1
	v_subrev_nc_u32_e32 v2, 28, v1
	v_sub_nc_u32_e32 v1, 29, v1
	s_delay_alu instid0(VALU_DEP_2) | instskip(NEXT) | instid1(VALU_DEP_1)
	v_lshlrev_b64 v[2:3], v2, v[7:8]
	v_and_b32_e32 v33, 7, v2
; %bb.1104:                             ;   in Loop: Header=BB354_16 Depth=1
	s_or_b32 exec_lo, exec_lo, s24
	v_lshlrev_b32_e32 v0, 8, v0
	v_lshl_add_u32 v1, v1, 10, 0x2000
	s_delay_alu instid0(VALU_DEP_1) | instskip(NEXT) | instid1(VALU_DEP_1)
	v_and_or_b32 v0, 0x8000, v0, v1
	v_lshl_or_b32 v0, v33, 7, v0
	s_delay_alu instid0(VALU_DEP_1)
	v_cvt_f32_f16_e32 v86, v0
.LBB354_1105:                           ;   in Loop: Header=BB354_16 Depth=1
	s_or_b32 exec_lo, exec_lo, s23
.LBB354_1106:                           ;   in Loop: Header=BB354_16 Depth=1
	s_delay_alu instid0(SALU_CYCLE_1)
	s_or_b32 exec_lo, exec_lo, s22
.LBB354_1107:                           ;   in Loop: Header=BB354_16 Depth=1
	s_delay_alu instid0(SALU_CYCLE_1)
	s_or_b32 exec_lo, exec_lo, s21
	flat_load_b64 v[33:34], v[31:32] offset:8
	v_mov_b32_e32 v98, 0
	s_mov_b32 s21, exec_lo
	s_waitcnt vmcnt(0) lgkmcnt(0)
	v_dual_mov_b32 v99, 0 :: v_dual_and_b32 v0, 0xff, v33
	s_delay_alu instid0(VALU_DEP_1)
	v_cmpx_ne_u16_e32 0, v0
	s_cbranch_execz .LBB354_1115
; %bb.1108:                             ;   in Loop: Header=BB354_16 Depth=1
	v_bfrev_b32_e32 v98, 1
	s_mov_b32 s22, exec_lo
	v_cmpx_ne_u16_e32 0x80, v0
	s_cbranch_execz .LBB354_1114
; %bb.1109:                             ;   in Loop: Header=BB354_16 Depth=1
	v_and_b32_e32 v1, 0x7f, v33
	v_mov_b32_e32 v98, 0x7fc02000
	s_mov_b32 s23, exec_lo
	s_delay_alu instid0(VALU_DEP_2)
	v_cmpx_ne_u32_e32 0x7f, v1
	s_cbranch_execz .LBB354_1113
; %bb.1110:                             ;   in Loop: Header=BB354_16 Depth=1
	v_lshrrev_b32_e32 v0, 3, v1
	v_dual_mov_b32 v36, v34 :: v_dual_mov_b32 v35, v33
	s_mov_b32 s24, exec_lo
	v_cmpx_gt_u32_e32 8, v1
; %bb.1111:                             ;   in Loop: Header=BB354_16 Depth=1
	v_and_b32_e32 v0, 7, v33
	s_delay_alu instid0(VALU_DEP_1) | instskip(NEXT) | instid1(VALU_DEP_1)
	v_clz_i32_u32_e32 v0, v0
	v_min_u32_e32 v0, 32, v0
	s_delay_alu instid0(VALU_DEP_1) | instskip(SKIP_1) | instid1(VALU_DEP_2)
	v_subrev_nc_u32_e32 v1, 28, v0
	v_sub_nc_u32_e32 v0, 29, v0
	v_lshlrev_b64 v[35:36], v1, v[33:34]
; %bb.1112:                             ;   in Loop: Header=BB354_16 Depth=1
	s_or_b32 exec_lo, exec_lo, s24
	v_lshlrev_b32_e32 v1, 8, v33
	s_delay_alu instid0(VALU_DEP_3) | instskip(NEXT) | instid1(VALU_DEP_3)
	v_lshl_add_u32 v0, v0, 10, 0x2000
	v_lshlrev_b32_e32 v2, 7, v35
	s_delay_alu instid0(VALU_DEP_2) | instskip(NEXT) | instid1(VALU_DEP_1)
	v_and_or_b32 v0, 0x8000, v1, v0
	v_and_or_b32 v0, 0x380, v2, v0
	s_delay_alu instid0(VALU_DEP_1)
	v_cvt_f32_f16_e32 v98, v0
.LBB354_1113:                           ;   in Loop: Header=BB354_16 Depth=1
	s_or_b32 exec_lo, exec_lo, s23
.LBB354_1114:                           ;   in Loop: Header=BB354_16 Depth=1
	s_delay_alu instid0(SALU_CYCLE_1)
	s_or_b32 exec_lo, exec_lo, s22
.LBB354_1115:                           ;   in Loop: Header=BB354_16 Depth=1
	s_delay_alu instid0(SALU_CYCLE_1) | instskip(SKIP_2) | instid1(VALU_DEP_1)
	s_or_b32 exec_lo, exec_lo, s21
	v_lshrrev_b16 v0, 8, v33
	s_mov_b32 s21, exec_lo
	v_cmpx_ne_u16_e32 0, v0
	s_cbranch_execz .LBB354_1123
; %bb.1116:                             ;   in Loop: Header=BB354_16 Depth=1
	v_bfrev_b32_e32 v99, 1
	s_mov_b32 s22, exec_lo
	v_cmpx_ne_u16_e32 0x80, v0
	s_cbranch_execz .LBB354_1122
; %bb.1117:                             ;   in Loop: Header=BB354_16 Depth=1
	v_and_b32_e32 v0, 0xffff, v0
	v_mov_b32_e32 v99, 0x7fc02000
	s_mov_b32 s23, exec_lo
	s_delay_alu instid0(VALU_DEP_2) | instskip(NEXT) | instid1(VALU_DEP_1)
	v_and_b32_e32 v2, 0x7f, v0
	v_cmpx_ne_u32_e32 0x7f, v2
	s_cbranch_execz .LBB354_1121
; %bb.1118:                             ;   in Loop: Header=BB354_16 Depth=1
	v_and_b32_e32 v7, 7, v0
	v_mov_b32_e32 v36, v8
	v_lshrrev_b32_e32 v1, 3, v2
	s_mov_b32 s24, exec_lo
	s_delay_alu instid0(VALU_DEP_3)
	v_mov_b32_e32 v35, v7
	v_cmpx_gt_u32_e32 8, v2
; %bb.1119:                             ;   in Loop: Header=BB354_16 Depth=1
	v_clz_i32_u32_e32 v1, v7
	s_delay_alu instid0(VALU_DEP_1) | instskip(NEXT) | instid1(VALU_DEP_1)
	v_min_u32_e32 v1, 32, v1
	v_subrev_nc_u32_e32 v2, 28, v1
	v_sub_nc_u32_e32 v1, 29, v1
	s_delay_alu instid0(VALU_DEP_2) | instskip(NEXT) | instid1(VALU_DEP_1)
	v_lshlrev_b64 v[2:3], v2, v[7:8]
	v_and_b32_e32 v35, 7, v2
; %bb.1120:                             ;   in Loop: Header=BB354_16 Depth=1
	s_or_b32 exec_lo, exec_lo, s24
	v_lshlrev_b32_e32 v0, 8, v0
	v_lshl_add_u32 v1, v1, 10, 0x2000
	s_delay_alu instid0(VALU_DEP_1) | instskip(NEXT) | instid1(VALU_DEP_1)
	v_and_or_b32 v0, 0x8000, v0, v1
	v_lshl_or_b32 v0, v35, 7, v0
	s_delay_alu instid0(VALU_DEP_1)
	v_cvt_f32_f16_e32 v99, v0
.LBB354_1121:                           ;   in Loop: Header=BB354_16 Depth=1
	s_or_b32 exec_lo, exec_lo, s23
.LBB354_1122:                           ;   in Loop: Header=BB354_16 Depth=1
	s_delay_alu instid0(SALU_CYCLE_1)
	s_or_b32 exec_lo, exec_lo, s22
.LBB354_1123:                           ;   in Loop: Header=BB354_16 Depth=1
	s_delay_alu instid0(SALU_CYCLE_1) | instskip(SKIP_3) | instid1(VALU_DEP_2)
	s_or_b32 exec_lo, exec_lo, s21
	v_lshrrev_b32_e32 v0, 16, v33
	v_mov_b32_e32 v101, 0
	s_mov_b32 s21, exec_lo
	v_dual_mov_b32 v100, 0 :: v_dual_and_b32 v1, 0xff, v0
	s_delay_alu instid0(VALU_DEP_1)
	v_cmpx_ne_u16_e32 0, v1
	s_cbranch_execz .LBB354_1131
; %bb.1124:                             ;   in Loop: Header=BB354_16 Depth=1
	v_bfrev_b32_e32 v100, 1
	s_mov_b32 s22, exec_lo
	v_cmpx_ne_u16_e32 0x80, v1
	s_cbranch_execz .LBB354_1130
; %bb.1125:                             ;   in Loop: Header=BB354_16 Depth=1
	v_bfe_u32 v2, v33, 16, 7
	v_mov_b32_e32 v100, 0x7fc02000
	s_mov_b32 s23, exec_lo
	s_delay_alu instid0(VALU_DEP_2)
	v_cmpx_ne_u32_e32 0x7f, v2
	s_cbranch_execz .LBB354_1129
; %bb.1126:                             ;   in Loop: Header=BB354_16 Depth=1
	v_and_b32_e32 v7, 7, v0
	v_mov_b32_e32 v36, v8
	v_lshrrev_b32_e32 v1, 3, v2
	s_mov_b32 s24, exec_lo
	s_delay_alu instid0(VALU_DEP_3)
	v_mov_b32_e32 v35, v7
	v_cmpx_gt_u32_e32 8, v2
; %bb.1127:                             ;   in Loop: Header=BB354_16 Depth=1
	v_clz_i32_u32_e32 v1, v7
	s_delay_alu instid0(VALU_DEP_1) | instskip(NEXT) | instid1(VALU_DEP_1)
	v_min_u32_e32 v1, 32, v1
	v_subrev_nc_u32_e32 v2, 28, v1
	v_sub_nc_u32_e32 v1, 29, v1
	s_delay_alu instid0(VALU_DEP_2) | instskip(NEXT) | instid1(VALU_DEP_1)
	v_lshlrev_b64 v[2:3], v2, v[7:8]
	v_and_b32_e32 v35, 7, v2
; %bb.1128:                             ;   in Loop: Header=BB354_16 Depth=1
	s_or_b32 exec_lo, exec_lo, s24
	v_lshlrev_b32_e32 v0, 8, v0
	v_lshl_add_u32 v1, v1, 10, 0x2000
	s_delay_alu instid0(VALU_DEP_1) | instskip(NEXT) | instid1(VALU_DEP_1)
	v_and_or_b32 v0, 0x8000, v0, v1
	v_lshl_or_b32 v0, v35, 7, v0
	s_delay_alu instid0(VALU_DEP_1)
	v_cvt_f32_f16_e32 v100, v0
.LBB354_1129:                           ;   in Loop: Header=BB354_16 Depth=1
	s_or_b32 exec_lo, exec_lo, s23
.LBB354_1130:                           ;   in Loop: Header=BB354_16 Depth=1
	s_delay_alu instid0(SALU_CYCLE_1)
	s_or_b32 exec_lo, exec_lo, s22
.LBB354_1131:                           ;   in Loop: Header=BB354_16 Depth=1
	s_delay_alu instid0(SALU_CYCLE_1) | instskip(NEXT) | instid1(SALU_CYCLE_1)
	s_or_b32 exec_lo, exec_lo, s21
	s_mov_b32 s21, exec_lo
	v_cmpx_lt_u32_e32 0xffffff, v33
	s_cbranch_execz .LBB354_1139
; %bb.1132:                             ;   in Loop: Header=BB354_16 Depth=1
	v_lshrrev_b32_e32 v0, 24, v33
	v_bfrev_b32_e32 v101, 1
	s_mov_b32 s22, exec_lo
	s_delay_alu instid0(VALU_DEP_2)
	v_cmpx_ne_u32_e32 0x80, v0
	s_cbranch_execz .LBB354_1138
; %bb.1133:                             ;   in Loop: Header=BB354_16 Depth=1
	v_and_b32_e32 v2, 0x7f, v0
	v_mov_b32_e32 v101, 0x7fc02000
	s_mov_b32 s23, exec_lo
	s_delay_alu instid0(VALU_DEP_2)
	v_cmpx_ne_u32_e32 0x7f, v2
	s_cbranch_execz .LBB354_1137
; %bb.1134:                             ;   in Loop: Header=BB354_16 Depth=1
	v_and_b32_e32 v7, 7, v0
	v_mov_b32_e32 v36, v8
	v_lshrrev_b32_e32 v1, 3, v2
	s_mov_b32 s24, exec_lo
	s_delay_alu instid0(VALU_DEP_3)
	v_mov_b32_e32 v35, v7
	v_cmpx_gt_u32_e32 8, v2
; %bb.1135:                             ;   in Loop: Header=BB354_16 Depth=1
	v_clz_i32_u32_e32 v1, v7
	s_delay_alu instid0(VALU_DEP_1) | instskip(NEXT) | instid1(VALU_DEP_1)
	v_min_u32_e32 v1, 32, v1
	v_subrev_nc_u32_e32 v2, 28, v1
	v_sub_nc_u32_e32 v1, 29, v1
	s_delay_alu instid0(VALU_DEP_2) | instskip(NEXT) | instid1(VALU_DEP_1)
	v_lshlrev_b64 v[2:3], v2, v[7:8]
	v_and_b32_e32 v35, 7, v2
; %bb.1136:                             ;   in Loop: Header=BB354_16 Depth=1
	s_or_b32 exec_lo, exec_lo, s24
	v_lshlrev_b32_e32 v0, 8, v0
	v_lshl_add_u32 v1, v1, 10, 0x2000
	s_delay_alu instid0(VALU_DEP_1) | instskip(NEXT) | instid1(VALU_DEP_1)
	v_and_or_b32 v0, 0x8000, v0, v1
	v_lshl_or_b32 v0, v35, 7, v0
	s_delay_alu instid0(VALU_DEP_1)
	v_cvt_f32_f16_e32 v101, v0
.LBB354_1137:                           ;   in Loop: Header=BB354_16 Depth=1
	s_or_b32 exec_lo, exec_lo, s23
.LBB354_1138:                           ;   in Loop: Header=BB354_16 Depth=1
	s_delay_alu instid0(SALU_CYCLE_1)
	s_or_b32 exec_lo, exec_lo, s22
.LBB354_1139:                           ;   in Loop: Header=BB354_16 Depth=1
	s_delay_alu instid0(SALU_CYCLE_1) | instskip(SKIP_3) | instid1(VALU_DEP_2)
	s_or_b32 exec_lo, exec_lo, s21
	v_dual_mov_b32 v7, v34 :: v_dual_and_b32 v0, 0xff, v34
	v_dual_mov_b32 v115, 0 :: v_dual_mov_b32 v114, 0
	s_mov_b32 s21, exec_lo
	v_cmpx_ne_u16_e32 0, v0
	s_cbranch_execz .LBB354_1147
; %bb.1140:                             ;   in Loop: Header=BB354_16 Depth=1
	v_bfrev_b32_e32 v114, 1
	s_mov_b32 s22, exec_lo
	v_cmpx_ne_u16_e32 0x80, v0
	s_cbranch_execz .LBB354_1146
; %bb.1141:                             ;   in Loop: Header=BB354_16 Depth=1
	v_and_b32_e32 v1, 0x7f, v34
	v_mov_b32_e32 v114, 0x7fc02000
	s_mov_b32 s23, exec_lo
	s_delay_alu instid0(VALU_DEP_2)
	v_cmpx_ne_u32_e32 0x7f, v1
	s_cbranch_execz .LBB354_1145
; %bb.1142:                             ;   in Loop: Header=BB354_16 Depth=1
	v_dual_mov_b32 v36, v8 :: v_dual_mov_b32 v35, v7
	v_lshrrev_b32_e32 v0, 3, v1
	s_mov_b32 s24, exec_lo
	v_cmpx_gt_u32_e32 8, v1
; %bb.1143:                             ;   in Loop: Header=BB354_16 Depth=1
	v_and_b32_e32 v0, 7, v34
	s_delay_alu instid0(VALU_DEP_1) | instskip(NEXT) | instid1(VALU_DEP_1)
	v_clz_i32_u32_e32 v0, v0
	v_min_u32_e32 v0, 32, v0
	s_delay_alu instid0(VALU_DEP_1) | instskip(SKIP_1) | instid1(VALU_DEP_2)
	v_subrev_nc_u32_e32 v1, 28, v0
	v_sub_nc_u32_e32 v0, 29, v0
	v_lshlrev_b64 v[35:36], v1, v[7:8]
; %bb.1144:                             ;   in Loop: Header=BB354_16 Depth=1
	s_or_b32 exec_lo, exec_lo, s24
	v_lshlrev_b32_e32 v1, 8, v34
	s_delay_alu instid0(VALU_DEP_3) | instskip(NEXT) | instid1(VALU_DEP_3)
	v_lshl_add_u32 v0, v0, 10, 0x2000
	v_lshlrev_b32_e32 v2, 7, v35
	s_delay_alu instid0(VALU_DEP_2) | instskip(NEXT) | instid1(VALU_DEP_1)
	v_and_or_b32 v0, 0x8000, v1, v0
	v_and_or_b32 v0, 0x380, v2, v0
	s_delay_alu instid0(VALU_DEP_1)
	v_cvt_f32_f16_e32 v114, v0
.LBB354_1145:                           ;   in Loop: Header=BB354_16 Depth=1
	s_or_b32 exec_lo, exec_lo, s23
.LBB354_1146:                           ;   in Loop: Header=BB354_16 Depth=1
	s_delay_alu instid0(SALU_CYCLE_1)
	s_or_b32 exec_lo, exec_lo, s22
.LBB354_1147:                           ;   in Loop: Header=BB354_16 Depth=1
	s_delay_alu instid0(SALU_CYCLE_1) | instskip(SKIP_2) | instid1(VALU_DEP_1)
	s_or_b32 exec_lo, exec_lo, s21
	v_lshrrev_b16 v0, 8, v7
	s_mov_b32 s21, exec_lo
	v_cmpx_ne_u16_e32 0, v0
	s_cbranch_execz .LBB354_1155
; %bb.1148:                             ;   in Loop: Header=BB354_16 Depth=1
	v_bfrev_b32_e32 v115, 1
	s_mov_b32 s22, exec_lo
	v_cmpx_ne_u16_e32 0x80, v0
	s_cbranch_execz .LBB354_1154
; %bb.1149:                             ;   in Loop: Header=BB354_16 Depth=1
	v_and_b32_e32 v0, 0xffff, v0
	v_mov_b32_e32 v115, 0x7fc02000
	s_mov_b32 s23, exec_lo
	s_delay_alu instid0(VALU_DEP_2) | instskip(NEXT) | instid1(VALU_DEP_1)
	v_and_b32_e32 v2, 0x7f, v0
	v_cmpx_ne_u32_e32 0x7f, v2
	s_cbranch_execz .LBB354_1153
; %bb.1150:                             ;   in Loop: Header=BB354_16 Depth=1
	v_and_b32_e32 v7, 7, v0
	v_mov_b32_e32 v36, v8
	v_lshrrev_b32_e32 v1, 3, v2
	s_mov_b32 s24, exec_lo
	s_delay_alu instid0(VALU_DEP_3)
	v_mov_b32_e32 v35, v7
	v_cmpx_gt_u32_e32 8, v2
; %bb.1151:                             ;   in Loop: Header=BB354_16 Depth=1
	v_clz_i32_u32_e32 v1, v7
	s_delay_alu instid0(VALU_DEP_1) | instskip(NEXT) | instid1(VALU_DEP_1)
	v_min_u32_e32 v1, 32, v1
	v_subrev_nc_u32_e32 v2, 28, v1
	v_sub_nc_u32_e32 v1, 29, v1
	s_delay_alu instid0(VALU_DEP_2) | instskip(NEXT) | instid1(VALU_DEP_1)
	v_lshlrev_b64 v[2:3], v2, v[7:8]
	v_and_b32_e32 v35, 7, v2
; %bb.1152:                             ;   in Loop: Header=BB354_16 Depth=1
	s_or_b32 exec_lo, exec_lo, s24
	v_lshlrev_b32_e32 v0, 8, v0
	v_lshl_add_u32 v1, v1, 10, 0x2000
	s_delay_alu instid0(VALU_DEP_1) | instskip(NEXT) | instid1(VALU_DEP_1)
	v_and_or_b32 v0, 0x8000, v0, v1
	v_lshl_or_b32 v0, v35, 7, v0
	s_delay_alu instid0(VALU_DEP_1)
	v_cvt_f32_f16_e32 v115, v0
.LBB354_1153:                           ;   in Loop: Header=BB354_16 Depth=1
	s_or_b32 exec_lo, exec_lo, s23
.LBB354_1154:                           ;   in Loop: Header=BB354_16 Depth=1
	s_delay_alu instid0(SALU_CYCLE_1)
	s_or_b32 exec_lo, exec_lo, s22
.LBB354_1155:                           ;   in Loop: Header=BB354_16 Depth=1
	s_delay_alu instid0(SALU_CYCLE_1) | instskip(SKIP_3) | instid1(VALU_DEP_2)
	s_or_b32 exec_lo, exec_lo, s21
	v_lshrrev_b32_e32 v0, 16, v34
	v_mov_b32_e32 v49, 0
	s_mov_b32 s21, exec_lo
	v_dual_mov_b32 v116, 0 :: v_dual_and_b32 v1, 0xff, v0
	s_delay_alu instid0(VALU_DEP_1)
	v_cmpx_ne_u16_e32 0, v1
	s_cbranch_execz .LBB354_1163
; %bb.1156:                             ;   in Loop: Header=BB354_16 Depth=1
	v_bfrev_b32_e32 v116, 1
	s_mov_b32 s22, exec_lo
	v_cmpx_ne_u16_e32 0x80, v1
	s_cbranch_execz .LBB354_1162
; %bb.1157:                             ;   in Loop: Header=BB354_16 Depth=1
	v_bfe_u32 v2, v34, 16, 7
	v_mov_b32_e32 v116, 0x7fc02000
	s_mov_b32 s23, exec_lo
	s_delay_alu instid0(VALU_DEP_2)
	v_cmpx_ne_u32_e32 0x7f, v2
	s_cbranch_execz .LBB354_1161
; %bb.1158:                             ;   in Loop: Header=BB354_16 Depth=1
	v_and_b32_e32 v7, 7, v0
	v_mov_b32_e32 v36, v8
	v_lshrrev_b32_e32 v1, 3, v2
	s_mov_b32 s24, exec_lo
	s_delay_alu instid0(VALU_DEP_3)
	v_mov_b32_e32 v35, v7
	v_cmpx_gt_u32_e32 8, v2
; %bb.1159:                             ;   in Loop: Header=BB354_16 Depth=1
	v_clz_i32_u32_e32 v1, v7
	s_delay_alu instid0(VALU_DEP_1) | instskip(NEXT) | instid1(VALU_DEP_1)
	v_min_u32_e32 v1, 32, v1
	v_subrev_nc_u32_e32 v2, 28, v1
	v_sub_nc_u32_e32 v1, 29, v1
	s_delay_alu instid0(VALU_DEP_2) | instskip(NEXT) | instid1(VALU_DEP_1)
	v_lshlrev_b64 v[2:3], v2, v[7:8]
	v_and_b32_e32 v35, 7, v2
; %bb.1160:                             ;   in Loop: Header=BB354_16 Depth=1
	s_or_b32 exec_lo, exec_lo, s24
	v_lshlrev_b32_e32 v0, 8, v0
	v_lshl_add_u32 v1, v1, 10, 0x2000
	s_delay_alu instid0(VALU_DEP_1) | instskip(NEXT) | instid1(VALU_DEP_1)
	v_and_or_b32 v0, 0x8000, v0, v1
	v_lshl_or_b32 v0, v35, 7, v0
	s_delay_alu instid0(VALU_DEP_1)
	v_cvt_f32_f16_e32 v116, v0
.LBB354_1161:                           ;   in Loop: Header=BB354_16 Depth=1
	s_or_b32 exec_lo, exec_lo, s23
.LBB354_1162:                           ;   in Loop: Header=BB354_16 Depth=1
	s_delay_alu instid0(SALU_CYCLE_1)
	s_or_b32 exec_lo, exec_lo, s22
.LBB354_1163:                           ;   in Loop: Header=BB354_16 Depth=1
	s_delay_alu instid0(SALU_CYCLE_1) | instskip(NEXT) | instid1(SALU_CYCLE_1)
	s_or_b32 exec_lo, exec_lo, s21
	s_mov_b32 s21, exec_lo
	v_cmpx_lt_u64_e64 s[8:9], v[33:34]
	s_cbranch_execz .LBB354_1171
; %bb.1164:                             ;   in Loop: Header=BB354_16 Depth=1
	v_lshrrev_b32_e32 v0, 24, v34
	v_bfrev_b32_e32 v49, 1
	s_mov_b32 s22, exec_lo
	s_delay_alu instid0(VALU_DEP_2)
	v_cmpx_ne_u32_e32 0x80, v0
	s_cbranch_execz .LBB354_1170
; %bb.1165:                             ;   in Loop: Header=BB354_16 Depth=1
	v_and_b32_e32 v2, 0x7f, v0
	v_mov_b32_e32 v49, 0x7fc02000
	s_mov_b32 s23, exec_lo
	s_delay_alu instid0(VALU_DEP_2)
	v_cmpx_ne_u32_e32 0x7f, v2
	s_cbranch_execz .LBB354_1169
; %bb.1166:                             ;   in Loop: Header=BB354_16 Depth=1
	v_and_b32_e32 v7, 7, v0
	v_mov_b32_e32 v34, v8
	v_lshrrev_b32_e32 v1, 3, v2
	s_mov_b32 s24, exec_lo
	s_delay_alu instid0(VALU_DEP_3)
	v_mov_b32_e32 v33, v7
	v_cmpx_gt_u32_e32 8, v2
; %bb.1167:                             ;   in Loop: Header=BB354_16 Depth=1
	v_clz_i32_u32_e32 v1, v7
	s_delay_alu instid0(VALU_DEP_1) | instskip(NEXT) | instid1(VALU_DEP_1)
	v_min_u32_e32 v1, 32, v1
	v_subrev_nc_u32_e32 v2, 28, v1
	v_sub_nc_u32_e32 v1, 29, v1
	s_delay_alu instid0(VALU_DEP_2) | instskip(NEXT) | instid1(VALU_DEP_1)
	v_lshlrev_b64 v[2:3], v2, v[7:8]
	v_and_b32_e32 v33, 7, v2
; %bb.1168:                             ;   in Loop: Header=BB354_16 Depth=1
	s_or_b32 exec_lo, exec_lo, s24
	v_lshlrev_b32_e32 v0, 8, v0
	v_lshl_add_u32 v1, v1, 10, 0x2000
	s_delay_alu instid0(VALU_DEP_1) | instskip(NEXT) | instid1(VALU_DEP_1)
	v_and_or_b32 v0, 0x8000, v0, v1
	v_lshl_or_b32 v0, v33, 7, v0
	s_delay_alu instid0(VALU_DEP_1)
	v_cvt_f32_f16_e32 v49, v0
.LBB354_1169:                           ;   in Loop: Header=BB354_16 Depth=1
	s_or_b32 exec_lo, exec_lo, s23
.LBB354_1170:                           ;   in Loop: Header=BB354_16 Depth=1
	s_delay_alu instid0(SALU_CYCLE_1)
	s_or_b32 exec_lo, exec_lo, s22
.LBB354_1171:                           ;   in Loop: Header=BB354_16 Depth=1
	s_delay_alu instid0(SALU_CYCLE_1)
	s_or_b32 exec_lo, exec_lo, s21
	flat_load_b64 v[33:34], v[31:32] offset:512
	v_mov_b32_e32 v24, 0
	v_mov_b32_e32 v22, 0
	s_mov_b32 s21, exec_lo
	s_waitcnt vmcnt(0) lgkmcnt(0)
	v_and_b32_e32 v0, 0xff, v33
	s_delay_alu instid0(VALU_DEP_1)
	v_cmpx_ne_u16_e32 0, v0
	s_cbranch_execz .LBB354_1179
; %bb.1172:                             ;   in Loop: Header=BB354_16 Depth=1
	v_bfrev_b32_e32 v22, 1
	s_mov_b32 s22, exec_lo
	v_cmpx_ne_u16_e32 0x80, v0
	s_cbranch_execz .LBB354_1178
; %bb.1173:                             ;   in Loop: Header=BB354_16 Depth=1
	v_and_b32_e32 v1, 0x7f, v33
	v_mov_b32_e32 v22, 0x7fc02000
	s_mov_b32 s23, exec_lo
	s_delay_alu instid0(VALU_DEP_2)
	v_cmpx_ne_u32_e32 0x7f, v1
	s_cbranch_execz .LBB354_1177
; %bb.1174:                             ;   in Loop: Header=BB354_16 Depth=1
	v_lshrrev_b32_e32 v0, 3, v1
	v_dual_mov_b32 v36, v34 :: v_dual_mov_b32 v35, v33
	s_mov_b32 s24, exec_lo
	v_cmpx_gt_u32_e32 8, v1
; %bb.1175:                             ;   in Loop: Header=BB354_16 Depth=1
	v_and_b32_e32 v0, 7, v33
	s_delay_alu instid0(VALU_DEP_1) | instskip(NEXT) | instid1(VALU_DEP_1)
	v_clz_i32_u32_e32 v0, v0
	v_min_u32_e32 v0, 32, v0
	s_delay_alu instid0(VALU_DEP_1) | instskip(SKIP_1) | instid1(VALU_DEP_2)
	v_subrev_nc_u32_e32 v1, 28, v0
	v_sub_nc_u32_e32 v0, 29, v0
	v_lshlrev_b64 v[35:36], v1, v[33:34]
; %bb.1176:                             ;   in Loop: Header=BB354_16 Depth=1
	s_or_b32 exec_lo, exec_lo, s24
	v_lshlrev_b32_e32 v1, 8, v33
	s_delay_alu instid0(VALU_DEP_3) | instskip(NEXT) | instid1(VALU_DEP_3)
	v_lshl_add_u32 v0, v0, 10, 0x2000
	v_lshlrev_b32_e32 v2, 7, v35
	s_delay_alu instid0(VALU_DEP_2) | instskip(NEXT) | instid1(VALU_DEP_1)
	v_and_or_b32 v0, 0x8000, v1, v0
	v_and_or_b32 v0, 0x380, v2, v0
	s_delay_alu instid0(VALU_DEP_1)
	v_cvt_f32_f16_e32 v22, v0
.LBB354_1177:                           ;   in Loop: Header=BB354_16 Depth=1
	s_or_b32 exec_lo, exec_lo, s23
.LBB354_1178:                           ;   in Loop: Header=BB354_16 Depth=1
	s_delay_alu instid0(SALU_CYCLE_1)
	s_or_b32 exec_lo, exec_lo, s22
.LBB354_1179:                           ;   in Loop: Header=BB354_16 Depth=1
	s_delay_alu instid0(SALU_CYCLE_1) | instskip(SKIP_2) | instid1(VALU_DEP_1)
	s_or_b32 exec_lo, exec_lo, s21
	v_lshrrev_b16 v0, 8, v33
	s_mov_b32 s21, exec_lo
	v_cmpx_ne_u16_e32 0, v0
	s_cbranch_execz .LBB354_1187
; %bb.1180:                             ;   in Loop: Header=BB354_16 Depth=1
	v_bfrev_b32_e32 v24, 1
	s_mov_b32 s22, exec_lo
	v_cmpx_ne_u16_e32 0x80, v0
	s_cbranch_execz .LBB354_1186
; %bb.1181:                             ;   in Loop: Header=BB354_16 Depth=1
	v_and_b32_e32 v0, 0xffff, v0
	v_mov_b32_e32 v24, 0x7fc02000
	s_mov_b32 s23, exec_lo
	s_delay_alu instid0(VALU_DEP_2) | instskip(NEXT) | instid1(VALU_DEP_1)
	v_and_b32_e32 v2, 0x7f, v0
	v_cmpx_ne_u32_e32 0x7f, v2
	s_cbranch_execz .LBB354_1185
; %bb.1182:                             ;   in Loop: Header=BB354_16 Depth=1
	v_and_b32_e32 v7, 7, v0
	v_mov_b32_e32 v36, v8
	v_lshrrev_b32_e32 v1, 3, v2
	s_mov_b32 s24, exec_lo
	s_delay_alu instid0(VALU_DEP_3)
	v_mov_b32_e32 v35, v7
	v_cmpx_gt_u32_e32 8, v2
; %bb.1183:                             ;   in Loop: Header=BB354_16 Depth=1
	v_clz_i32_u32_e32 v1, v7
	s_delay_alu instid0(VALU_DEP_1) | instskip(NEXT) | instid1(VALU_DEP_1)
	v_min_u32_e32 v1, 32, v1
	v_subrev_nc_u32_e32 v2, 28, v1
	v_sub_nc_u32_e32 v1, 29, v1
	s_delay_alu instid0(VALU_DEP_2) | instskip(NEXT) | instid1(VALU_DEP_1)
	v_lshlrev_b64 v[2:3], v2, v[7:8]
	v_and_b32_e32 v35, 7, v2
; %bb.1184:                             ;   in Loop: Header=BB354_16 Depth=1
	s_or_b32 exec_lo, exec_lo, s24
	v_lshlrev_b32_e32 v0, 8, v0
	v_lshl_add_u32 v1, v1, 10, 0x2000
	s_delay_alu instid0(VALU_DEP_1) | instskip(NEXT) | instid1(VALU_DEP_1)
	v_and_or_b32 v0, 0x8000, v0, v1
	v_lshl_or_b32 v0, v35, 7, v0
	s_delay_alu instid0(VALU_DEP_1)
	v_cvt_f32_f16_e32 v24, v0
.LBB354_1185:                           ;   in Loop: Header=BB354_16 Depth=1
	s_or_b32 exec_lo, exec_lo, s23
.LBB354_1186:                           ;   in Loop: Header=BB354_16 Depth=1
	s_delay_alu instid0(SALU_CYCLE_1)
	s_or_b32 exec_lo, exec_lo, s22
.LBB354_1187:                           ;   in Loop: Header=BB354_16 Depth=1
	s_delay_alu instid0(SALU_CYCLE_1) | instskip(SKIP_4) | instid1(VALU_DEP_3)
	s_or_b32 exec_lo, exec_lo, s21
	v_lshrrev_b32_e32 v0, 16, v33
	v_mov_b32_e32 v13, 0
	v_mov_b32_e32 v25, 0
	s_mov_b32 s21, exec_lo
	v_and_b32_e32 v1, 0xff, v0
	s_delay_alu instid0(VALU_DEP_1)
	v_cmpx_ne_u16_e32 0, v1
	s_cbranch_execz .LBB354_1195
; %bb.1188:                             ;   in Loop: Header=BB354_16 Depth=1
	v_bfrev_b32_e32 v25, 1
	s_mov_b32 s22, exec_lo
	v_cmpx_ne_u16_e32 0x80, v1
	s_cbranch_execz .LBB354_1194
; %bb.1189:                             ;   in Loop: Header=BB354_16 Depth=1
	v_bfe_u32 v2, v33, 16, 7
	v_mov_b32_e32 v25, 0x7fc02000
	s_mov_b32 s23, exec_lo
	s_delay_alu instid0(VALU_DEP_2)
	v_cmpx_ne_u32_e32 0x7f, v2
	s_cbranch_execz .LBB354_1193
; %bb.1190:                             ;   in Loop: Header=BB354_16 Depth=1
	v_and_b32_e32 v7, 7, v0
	v_mov_b32_e32 v36, v8
	v_lshrrev_b32_e32 v1, 3, v2
	s_mov_b32 s24, exec_lo
	s_delay_alu instid0(VALU_DEP_3)
	v_mov_b32_e32 v35, v7
	v_cmpx_gt_u32_e32 8, v2
; %bb.1191:                             ;   in Loop: Header=BB354_16 Depth=1
	v_clz_i32_u32_e32 v1, v7
	s_delay_alu instid0(VALU_DEP_1) | instskip(NEXT) | instid1(VALU_DEP_1)
	v_min_u32_e32 v1, 32, v1
	v_subrev_nc_u32_e32 v2, 28, v1
	v_sub_nc_u32_e32 v1, 29, v1
	s_delay_alu instid0(VALU_DEP_2) | instskip(NEXT) | instid1(VALU_DEP_1)
	v_lshlrev_b64 v[2:3], v2, v[7:8]
	v_and_b32_e32 v35, 7, v2
; %bb.1192:                             ;   in Loop: Header=BB354_16 Depth=1
	s_or_b32 exec_lo, exec_lo, s24
	v_lshlrev_b32_e32 v0, 8, v0
	v_lshl_add_u32 v1, v1, 10, 0x2000
	s_delay_alu instid0(VALU_DEP_1) | instskip(NEXT) | instid1(VALU_DEP_1)
	v_and_or_b32 v0, 0x8000, v0, v1
	v_lshl_or_b32 v0, v35, 7, v0
	s_delay_alu instid0(VALU_DEP_1)
	v_cvt_f32_f16_e32 v25, v0
.LBB354_1193:                           ;   in Loop: Header=BB354_16 Depth=1
	s_or_b32 exec_lo, exec_lo, s23
.LBB354_1194:                           ;   in Loop: Header=BB354_16 Depth=1
	s_delay_alu instid0(SALU_CYCLE_1)
	s_or_b32 exec_lo, exec_lo, s22
.LBB354_1195:                           ;   in Loop: Header=BB354_16 Depth=1
	s_delay_alu instid0(SALU_CYCLE_1) | instskip(NEXT) | instid1(SALU_CYCLE_1)
	s_or_b32 exec_lo, exec_lo, s21
	s_mov_b32 s21, exec_lo
	v_cmpx_lt_u32_e32 0xffffff, v33
	s_cbranch_execz .LBB354_1203
; %bb.1196:                             ;   in Loop: Header=BB354_16 Depth=1
	v_lshrrev_b32_e32 v0, 24, v33
	v_bfrev_b32_e32 v13, 1
	s_mov_b32 s22, exec_lo
	s_delay_alu instid0(VALU_DEP_2)
	v_cmpx_ne_u32_e32 0x80, v0
	s_cbranch_execz .LBB354_1202
; %bb.1197:                             ;   in Loop: Header=BB354_16 Depth=1
	v_and_b32_e32 v2, 0x7f, v0
	v_mov_b32_e32 v13, 0x7fc02000
	s_mov_b32 s23, exec_lo
	s_delay_alu instid0(VALU_DEP_2)
	v_cmpx_ne_u32_e32 0x7f, v2
	s_cbranch_execz .LBB354_1201
; %bb.1198:                             ;   in Loop: Header=BB354_16 Depth=1
	v_and_b32_e32 v7, 7, v0
	v_mov_b32_e32 v36, v8
	v_lshrrev_b32_e32 v1, 3, v2
	s_mov_b32 s24, exec_lo
	s_delay_alu instid0(VALU_DEP_3)
	v_mov_b32_e32 v35, v7
	v_cmpx_gt_u32_e32 8, v2
; %bb.1199:                             ;   in Loop: Header=BB354_16 Depth=1
	v_clz_i32_u32_e32 v1, v7
	s_delay_alu instid0(VALU_DEP_1) | instskip(NEXT) | instid1(VALU_DEP_1)
	v_min_u32_e32 v1, 32, v1
	v_subrev_nc_u32_e32 v2, 28, v1
	v_sub_nc_u32_e32 v1, 29, v1
	s_delay_alu instid0(VALU_DEP_2) | instskip(NEXT) | instid1(VALU_DEP_1)
	v_lshlrev_b64 v[2:3], v2, v[7:8]
	v_and_b32_e32 v35, 7, v2
; %bb.1200:                             ;   in Loop: Header=BB354_16 Depth=1
	s_or_b32 exec_lo, exec_lo, s24
	v_lshlrev_b32_e32 v0, 8, v0
	v_lshl_add_u32 v1, v1, 10, 0x2000
	s_delay_alu instid0(VALU_DEP_1) | instskip(NEXT) | instid1(VALU_DEP_1)
	v_and_or_b32 v0, 0x8000, v0, v1
	v_lshl_or_b32 v0, v35, 7, v0
	s_delay_alu instid0(VALU_DEP_1)
	v_cvt_f32_f16_e32 v13, v0
.LBB354_1201:                           ;   in Loop: Header=BB354_16 Depth=1
	s_or_b32 exec_lo, exec_lo, s23
.LBB354_1202:                           ;   in Loop: Header=BB354_16 Depth=1
	s_delay_alu instid0(SALU_CYCLE_1)
	s_or_b32 exec_lo, exec_lo, s22
.LBB354_1203:                           ;   in Loop: Header=BB354_16 Depth=1
	s_delay_alu instid0(SALU_CYCLE_1) | instskip(SKIP_3) | instid1(VALU_DEP_2)
	s_or_b32 exec_lo, exec_lo, s21
	v_dual_mov_b32 v7, v34 :: v_dual_and_b32 v0, 0xff, v34
	v_dual_mov_b32 v65, 0 :: v_dual_mov_b32 v52, 0
	s_mov_b32 s21, exec_lo
	v_cmpx_ne_u16_e32 0, v0
	s_cbranch_execz .LBB354_1211
; %bb.1204:                             ;   in Loop: Header=BB354_16 Depth=1
	v_bfrev_b32_e32 v52, 1
	s_mov_b32 s22, exec_lo
	v_cmpx_ne_u16_e32 0x80, v0
	s_cbranch_execz .LBB354_1210
; %bb.1205:                             ;   in Loop: Header=BB354_16 Depth=1
	v_and_b32_e32 v1, 0x7f, v34
	v_mov_b32_e32 v52, 0x7fc02000
	s_mov_b32 s23, exec_lo
	s_delay_alu instid0(VALU_DEP_2)
	v_cmpx_ne_u32_e32 0x7f, v1
	s_cbranch_execz .LBB354_1209
; %bb.1206:                             ;   in Loop: Header=BB354_16 Depth=1
	v_dual_mov_b32 v36, v8 :: v_dual_mov_b32 v35, v7
	v_lshrrev_b32_e32 v0, 3, v1
	s_mov_b32 s24, exec_lo
	v_cmpx_gt_u32_e32 8, v1
; %bb.1207:                             ;   in Loop: Header=BB354_16 Depth=1
	v_and_b32_e32 v0, 7, v34
	s_delay_alu instid0(VALU_DEP_1) | instskip(NEXT) | instid1(VALU_DEP_1)
	v_clz_i32_u32_e32 v0, v0
	v_min_u32_e32 v0, 32, v0
	s_delay_alu instid0(VALU_DEP_1) | instskip(SKIP_1) | instid1(VALU_DEP_2)
	v_subrev_nc_u32_e32 v1, 28, v0
	v_sub_nc_u32_e32 v0, 29, v0
	v_lshlrev_b64 v[35:36], v1, v[7:8]
; %bb.1208:                             ;   in Loop: Header=BB354_16 Depth=1
	s_or_b32 exec_lo, exec_lo, s24
	v_lshlrev_b32_e32 v1, 8, v34
	s_delay_alu instid0(VALU_DEP_3) | instskip(NEXT) | instid1(VALU_DEP_3)
	v_lshl_add_u32 v0, v0, 10, 0x2000
	v_lshlrev_b32_e32 v2, 7, v35
	s_delay_alu instid0(VALU_DEP_2) | instskip(NEXT) | instid1(VALU_DEP_1)
	v_and_or_b32 v0, 0x8000, v1, v0
	v_and_or_b32 v0, 0x380, v2, v0
	s_delay_alu instid0(VALU_DEP_1)
	v_cvt_f32_f16_e32 v52, v0
.LBB354_1209:                           ;   in Loop: Header=BB354_16 Depth=1
	s_or_b32 exec_lo, exec_lo, s23
.LBB354_1210:                           ;   in Loop: Header=BB354_16 Depth=1
	s_delay_alu instid0(SALU_CYCLE_1)
	s_or_b32 exec_lo, exec_lo, s22
.LBB354_1211:                           ;   in Loop: Header=BB354_16 Depth=1
	s_delay_alu instid0(SALU_CYCLE_1) | instskip(SKIP_2) | instid1(VALU_DEP_1)
	s_or_b32 exec_lo, exec_lo, s21
	v_lshrrev_b16 v0, 8, v7
	s_mov_b32 s21, exec_lo
	v_cmpx_ne_u16_e32 0, v0
	s_cbranch_execz .LBB354_1219
; %bb.1212:                             ;   in Loop: Header=BB354_16 Depth=1
	v_bfrev_b32_e32 v65, 1
	s_mov_b32 s22, exec_lo
	v_cmpx_ne_u16_e32 0x80, v0
	s_cbranch_execz .LBB354_1218
; %bb.1213:                             ;   in Loop: Header=BB354_16 Depth=1
	v_and_b32_e32 v0, 0xffff, v0
	v_mov_b32_e32 v65, 0x7fc02000
	s_mov_b32 s23, exec_lo
	s_delay_alu instid0(VALU_DEP_2) | instskip(NEXT) | instid1(VALU_DEP_1)
	v_and_b32_e32 v2, 0x7f, v0
	v_cmpx_ne_u32_e32 0x7f, v2
	s_cbranch_execz .LBB354_1217
; %bb.1214:                             ;   in Loop: Header=BB354_16 Depth=1
	v_and_b32_e32 v7, 7, v0
	v_mov_b32_e32 v36, v8
	v_lshrrev_b32_e32 v1, 3, v2
	s_mov_b32 s24, exec_lo
	s_delay_alu instid0(VALU_DEP_3)
	v_mov_b32_e32 v35, v7
	v_cmpx_gt_u32_e32 8, v2
; %bb.1215:                             ;   in Loop: Header=BB354_16 Depth=1
	v_clz_i32_u32_e32 v1, v7
	s_delay_alu instid0(VALU_DEP_1) | instskip(NEXT) | instid1(VALU_DEP_1)
	v_min_u32_e32 v1, 32, v1
	v_subrev_nc_u32_e32 v2, 28, v1
	v_sub_nc_u32_e32 v1, 29, v1
	s_delay_alu instid0(VALU_DEP_2) | instskip(NEXT) | instid1(VALU_DEP_1)
	v_lshlrev_b64 v[2:3], v2, v[7:8]
	v_and_b32_e32 v35, 7, v2
; %bb.1216:                             ;   in Loop: Header=BB354_16 Depth=1
	s_or_b32 exec_lo, exec_lo, s24
	v_lshlrev_b32_e32 v0, 8, v0
	v_lshl_add_u32 v1, v1, 10, 0x2000
	s_delay_alu instid0(VALU_DEP_1) | instskip(NEXT) | instid1(VALU_DEP_1)
	v_and_or_b32 v0, 0x8000, v0, v1
	v_lshl_or_b32 v0, v35, 7, v0
	s_delay_alu instid0(VALU_DEP_1)
	v_cvt_f32_f16_e32 v65, v0
.LBB354_1217:                           ;   in Loop: Header=BB354_16 Depth=1
	s_or_b32 exec_lo, exec_lo, s23
.LBB354_1218:                           ;   in Loop: Header=BB354_16 Depth=1
	s_delay_alu instid0(SALU_CYCLE_1)
	s_or_b32 exec_lo, exec_lo, s22
.LBB354_1219:                           ;   in Loop: Header=BB354_16 Depth=1
	s_delay_alu instid0(SALU_CYCLE_1) | instskip(SKIP_3) | instid1(VALU_DEP_2)
	s_or_b32 exec_lo, exec_lo, s21
	v_lshrrev_b32_e32 v0, 16, v34
	v_mov_b32_e32 v103, 0
	s_mov_b32 s21, exec_lo
	v_dual_mov_b32 v102, 0 :: v_dual_and_b32 v1, 0xff, v0
	s_delay_alu instid0(VALU_DEP_1)
	v_cmpx_ne_u16_e32 0, v1
	s_cbranch_execz .LBB354_1227
; %bb.1220:                             ;   in Loop: Header=BB354_16 Depth=1
	v_bfrev_b32_e32 v103, 1
	s_mov_b32 s22, exec_lo
	v_cmpx_ne_u16_e32 0x80, v1
	s_cbranch_execz .LBB354_1226
; %bb.1221:                             ;   in Loop: Header=BB354_16 Depth=1
	v_bfe_u32 v2, v34, 16, 7
	v_mov_b32_e32 v103, 0x7fc02000
	s_mov_b32 s23, exec_lo
	s_delay_alu instid0(VALU_DEP_2)
	v_cmpx_ne_u32_e32 0x7f, v2
	s_cbranch_execz .LBB354_1225
; %bb.1222:                             ;   in Loop: Header=BB354_16 Depth=1
	v_and_b32_e32 v7, 7, v0
	v_mov_b32_e32 v36, v8
	v_lshrrev_b32_e32 v1, 3, v2
	s_mov_b32 s24, exec_lo
	s_delay_alu instid0(VALU_DEP_3)
	v_mov_b32_e32 v35, v7
	v_cmpx_gt_u32_e32 8, v2
; %bb.1223:                             ;   in Loop: Header=BB354_16 Depth=1
	v_clz_i32_u32_e32 v1, v7
	s_delay_alu instid0(VALU_DEP_1) | instskip(NEXT) | instid1(VALU_DEP_1)
	v_min_u32_e32 v1, 32, v1
	v_subrev_nc_u32_e32 v2, 28, v1
	v_sub_nc_u32_e32 v1, 29, v1
	s_delay_alu instid0(VALU_DEP_2) | instskip(NEXT) | instid1(VALU_DEP_1)
	v_lshlrev_b64 v[2:3], v2, v[7:8]
	v_and_b32_e32 v35, 7, v2
; %bb.1224:                             ;   in Loop: Header=BB354_16 Depth=1
	s_or_b32 exec_lo, exec_lo, s24
	v_lshlrev_b32_e32 v0, 8, v0
	v_lshl_add_u32 v1, v1, 10, 0x2000
	s_delay_alu instid0(VALU_DEP_1) | instskip(NEXT) | instid1(VALU_DEP_1)
	v_and_or_b32 v0, 0x8000, v0, v1
	v_lshl_or_b32 v0, v35, 7, v0
	s_delay_alu instid0(VALU_DEP_1)
	v_cvt_f32_f16_e32 v103, v0
.LBB354_1225:                           ;   in Loop: Header=BB354_16 Depth=1
	s_or_b32 exec_lo, exec_lo, s23
.LBB354_1226:                           ;   in Loop: Header=BB354_16 Depth=1
	s_delay_alu instid0(SALU_CYCLE_1)
	s_or_b32 exec_lo, exec_lo, s22
.LBB354_1227:                           ;   in Loop: Header=BB354_16 Depth=1
	s_delay_alu instid0(SALU_CYCLE_1) | instskip(NEXT) | instid1(SALU_CYCLE_1)
	s_or_b32 exec_lo, exec_lo, s21
	s_mov_b32 s21, exec_lo
	v_cmpx_lt_u64_e64 s[8:9], v[33:34]
	s_cbranch_execz .LBB354_1235
; %bb.1228:                             ;   in Loop: Header=BB354_16 Depth=1
	v_lshrrev_b32_e32 v0, 24, v34
	v_bfrev_b32_e32 v102, 1
	s_mov_b32 s22, exec_lo
	s_delay_alu instid0(VALU_DEP_2)
	v_cmpx_ne_u32_e32 0x80, v0
	s_cbranch_execz .LBB354_1234
; %bb.1229:                             ;   in Loop: Header=BB354_16 Depth=1
	v_and_b32_e32 v2, 0x7f, v0
	v_mov_b32_e32 v102, 0x7fc02000
	s_mov_b32 s23, exec_lo
	s_delay_alu instid0(VALU_DEP_2)
	v_cmpx_ne_u32_e32 0x7f, v2
	s_cbranch_execz .LBB354_1233
; %bb.1230:                             ;   in Loop: Header=BB354_16 Depth=1
	v_and_b32_e32 v7, 7, v0
	v_mov_b32_e32 v34, v8
	v_lshrrev_b32_e32 v1, 3, v2
	s_mov_b32 s24, exec_lo
	s_delay_alu instid0(VALU_DEP_3)
	v_mov_b32_e32 v33, v7
	v_cmpx_gt_u32_e32 8, v2
; %bb.1231:                             ;   in Loop: Header=BB354_16 Depth=1
	v_clz_i32_u32_e32 v1, v7
	s_delay_alu instid0(VALU_DEP_1) | instskip(NEXT) | instid1(VALU_DEP_1)
	v_min_u32_e32 v1, 32, v1
	v_subrev_nc_u32_e32 v2, 28, v1
	v_sub_nc_u32_e32 v1, 29, v1
	s_delay_alu instid0(VALU_DEP_2) | instskip(NEXT) | instid1(VALU_DEP_1)
	v_lshlrev_b64 v[2:3], v2, v[7:8]
	v_and_b32_e32 v33, 7, v2
; %bb.1232:                             ;   in Loop: Header=BB354_16 Depth=1
	s_or_b32 exec_lo, exec_lo, s24
	v_lshlrev_b32_e32 v0, 8, v0
	v_lshl_add_u32 v1, v1, 10, 0x2000
	s_delay_alu instid0(VALU_DEP_1) | instskip(NEXT) | instid1(VALU_DEP_1)
	v_and_or_b32 v0, 0x8000, v0, v1
	v_lshl_or_b32 v0, v33, 7, v0
	s_delay_alu instid0(VALU_DEP_1)
	v_cvt_f32_f16_e32 v102, v0
.LBB354_1233:                           ;   in Loop: Header=BB354_16 Depth=1
	s_or_b32 exec_lo, exec_lo, s23
.LBB354_1234:                           ;   in Loop: Header=BB354_16 Depth=1
	s_delay_alu instid0(SALU_CYCLE_1)
	s_or_b32 exec_lo, exec_lo, s22
.LBB354_1235:                           ;   in Loop: Header=BB354_16 Depth=1
	s_delay_alu instid0(SALU_CYCLE_1)
	s_or_b32 exec_lo, exec_lo, s21
	flat_load_b64 v[33:34], v[31:32] offset:520
	v_mov_b32_e32 v2, 0
	s_mov_b32 s21, exec_lo
	s_waitcnt vmcnt(0) lgkmcnt(0)
	v_dual_mov_b32 v3, 0 :: v_dual_and_b32 v0, 0xff, v33
	s_delay_alu instid0(VALU_DEP_1)
	v_cmpx_ne_u16_e32 0, v0
	s_cbranch_execz .LBB354_1243
; %bb.1236:                             ;   in Loop: Header=BB354_16 Depth=1
	v_bfrev_b32_e32 v2, 1
	s_mov_b32 s22, exec_lo
	v_cmpx_ne_u16_e32 0x80, v0
	s_cbranch_execz .LBB354_1242
; %bb.1237:                             ;   in Loop: Header=BB354_16 Depth=1
	v_and_b32_e32 v1, 0x7f, v33
	v_mov_b32_e32 v2, 0x7fc02000
	s_mov_b32 s23, exec_lo
	s_delay_alu instid0(VALU_DEP_2)
	v_cmpx_ne_u32_e32 0x7f, v1
	s_cbranch_execz .LBB354_1241
; %bb.1238:                             ;   in Loop: Header=BB354_16 Depth=1
	v_lshrrev_b32_e32 v0, 3, v1
	v_dual_mov_b32 v36, v34 :: v_dual_mov_b32 v35, v33
	s_mov_b32 s24, exec_lo
	v_cmpx_gt_u32_e32 8, v1
; %bb.1239:                             ;   in Loop: Header=BB354_16 Depth=1
	v_and_b32_e32 v0, 7, v33
	s_delay_alu instid0(VALU_DEP_1) | instskip(NEXT) | instid1(VALU_DEP_1)
	v_clz_i32_u32_e32 v0, v0
	v_min_u32_e32 v0, 32, v0
	s_delay_alu instid0(VALU_DEP_1) | instskip(SKIP_1) | instid1(VALU_DEP_2)
	v_subrev_nc_u32_e32 v1, 28, v0
	v_sub_nc_u32_e32 v0, 29, v0
	v_lshlrev_b64 v[35:36], v1, v[33:34]
; %bb.1240:                             ;   in Loop: Header=BB354_16 Depth=1
	s_or_b32 exec_lo, exec_lo, s24
	v_lshlrev_b32_e32 v1, 8, v33
	s_delay_alu instid0(VALU_DEP_3) | instskip(NEXT) | instid1(VALU_DEP_3)
	v_lshl_add_u32 v0, v0, 10, 0x2000
	v_lshlrev_b32_e32 v2, 7, v35
	s_delay_alu instid0(VALU_DEP_2) | instskip(NEXT) | instid1(VALU_DEP_1)
	v_and_or_b32 v0, 0x8000, v1, v0
	v_and_or_b32 v0, 0x380, v2, v0
	s_delay_alu instid0(VALU_DEP_1)
	v_cvt_f32_f16_e32 v2, v0
.LBB354_1241:                           ;   in Loop: Header=BB354_16 Depth=1
	s_or_b32 exec_lo, exec_lo, s23
.LBB354_1242:                           ;   in Loop: Header=BB354_16 Depth=1
	s_delay_alu instid0(SALU_CYCLE_1)
	s_or_b32 exec_lo, exec_lo, s22
.LBB354_1243:                           ;   in Loop: Header=BB354_16 Depth=1
	s_delay_alu instid0(SALU_CYCLE_1) | instskip(SKIP_2) | instid1(VALU_DEP_1)
	s_or_b32 exec_lo, exec_lo, s21
	v_lshrrev_b16 v0, 8, v33
	s_mov_b32 s21, exec_lo
	v_cmpx_ne_u16_e32 0, v0
	s_cbranch_execz .LBB354_1251
; %bb.1244:                             ;   in Loop: Header=BB354_16 Depth=1
	v_bfrev_b32_e32 v3, 1
	s_mov_b32 s22, exec_lo
	v_cmpx_ne_u16_e32 0x80, v0
	s_cbranch_execz .LBB354_1250
; %bb.1245:                             ;   in Loop: Header=BB354_16 Depth=1
	v_and_b32_e32 v0, 0xffff, v0
	v_mov_b32_e32 v3, 0x7fc02000
	s_mov_b32 s23, exec_lo
	s_delay_alu instid0(VALU_DEP_2) | instskip(NEXT) | instid1(VALU_DEP_1)
	v_and_b32_e32 v4, 0x7f, v0
	v_cmpx_ne_u32_e32 0x7f, v4
	s_cbranch_execz .LBB354_1249
; %bb.1246:                             ;   in Loop: Header=BB354_16 Depth=1
	v_and_b32_e32 v7, 7, v0
	v_mov_b32_e32 v36, v8
	v_lshrrev_b32_e32 v1, 3, v4
	s_mov_b32 s24, exec_lo
	s_delay_alu instid0(VALU_DEP_3)
	v_mov_b32_e32 v35, v7
	v_cmpx_gt_u32_e32 8, v4
; %bb.1247:                             ;   in Loop: Header=BB354_16 Depth=1
	v_clz_i32_u32_e32 v1, v7
	s_delay_alu instid0(VALU_DEP_1) | instskip(NEXT) | instid1(VALU_DEP_1)
	v_min_u32_e32 v1, 32, v1
	v_subrev_nc_u32_e32 v3, 28, v1
	v_sub_nc_u32_e32 v1, 29, v1
	s_delay_alu instid0(VALU_DEP_2) | instskip(NEXT) | instid1(VALU_DEP_1)
	v_lshlrev_b64 v[3:4], v3, v[7:8]
	v_and_b32_e32 v35, 7, v3
; %bb.1248:                             ;   in Loop: Header=BB354_16 Depth=1
	s_or_b32 exec_lo, exec_lo, s24
	v_lshlrev_b32_e32 v0, 8, v0
	v_lshl_add_u32 v1, v1, 10, 0x2000
	s_delay_alu instid0(VALU_DEP_1) | instskip(NEXT) | instid1(VALU_DEP_1)
	v_and_or_b32 v0, 0x8000, v0, v1
	v_lshl_or_b32 v0, v35, 7, v0
	s_delay_alu instid0(VALU_DEP_1)
	v_cvt_f32_f16_e32 v3, v0
.LBB354_1249:                           ;   in Loop: Header=BB354_16 Depth=1
	s_or_b32 exec_lo, exec_lo, s23
.LBB354_1250:                           ;   in Loop: Header=BB354_16 Depth=1
	s_delay_alu instid0(SALU_CYCLE_1)
	s_or_b32 exec_lo, exec_lo, s22
.LBB354_1251:                           ;   in Loop: Header=BB354_16 Depth=1
	s_delay_alu instid0(SALU_CYCLE_1) | instskip(SKIP_3) | instid1(VALU_DEP_2)
	s_or_b32 exec_lo, exec_lo, s21
	v_lshrrev_b32_e32 v0, 16, v33
	v_mov_b32_e32 v30, 0
	s_mov_b32 s21, exec_lo
	v_dual_mov_b32 v50, 0 :: v_dual_and_b32 v1, 0xff, v0
	s_delay_alu instid0(VALU_DEP_1)
	v_cmpx_ne_u16_e32 0, v1
	s_cbranch_execz .LBB354_1259
; %bb.1252:                             ;   in Loop: Header=BB354_16 Depth=1
	v_bfrev_b32_e32 v30, 1
	s_mov_b32 s22, exec_lo
	v_cmpx_ne_u16_e32 0x80, v1
	s_cbranch_execz .LBB354_1258
; %bb.1253:                             ;   in Loop: Header=BB354_16 Depth=1
	v_bfe_u32 v4, v33, 16, 7
	v_mov_b32_e32 v30, 0x7fc02000
	s_mov_b32 s23, exec_lo
	s_delay_alu instid0(VALU_DEP_2)
	v_cmpx_ne_u32_e32 0x7f, v4
	s_cbranch_execz .LBB354_1257
; %bb.1254:                             ;   in Loop: Header=BB354_16 Depth=1
	v_and_b32_e32 v7, 7, v0
	v_mov_b32_e32 v36, v8
	v_lshrrev_b32_e32 v1, 3, v4
	s_mov_b32 s24, exec_lo
	s_delay_alu instid0(VALU_DEP_3)
	v_mov_b32_e32 v35, v7
	v_cmpx_gt_u32_e32 8, v4
; %bb.1255:                             ;   in Loop: Header=BB354_16 Depth=1
	v_clz_i32_u32_e32 v1, v7
	s_delay_alu instid0(VALU_DEP_1) | instskip(NEXT) | instid1(VALU_DEP_1)
	v_min_u32_e32 v1, 32, v1
	v_subrev_nc_u32_e32 v4, 28, v1
	v_sub_nc_u32_e32 v1, 29, v1
	s_delay_alu instid0(VALU_DEP_2) | instskip(NEXT) | instid1(VALU_DEP_1)
	v_lshlrev_b64 v[10:11], v4, v[7:8]
	v_and_b32_e32 v35, 7, v10
; %bb.1256:                             ;   in Loop: Header=BB354_16 Depth=1
	s_or_b32 exec_lo, exec_lo, s24
	v_lshlrev_b32_e32 v0, 8, v0
	v_lshl_add_u32 v1, v1, 10, 0x2000
	s_delay_alu instid0(VALU_DEP_1) | instskip(NEXT) | instid1(VALU_DEP_1)
	v_and_or_b32 v0, 0x8000, v0, v1
	v_lshl_or_b32 v0, v35, 7, v0
	s_delay_alu instid0(VALU_DEP_1)
	v_cvt_f32_f16_e32 v30, v0
.LBB354_1257:                           ;   in Loop: Header=BB354_16 Depth=1
	s_or_b32 exec_lo, exec_lo, s23
.LBB354_1258:                           ;   in Loop: Header=BB354_16 Depth=1
	s_delay_alu instid0(SALU_CYCLE_1)
	s_or_b32 exec_lo, exec_lo, s22
.LBB354_1259:                           ;   in Loop: Header=BB354_16 Depth=1
	s_delay_alu instid0(SALU_CYCLE_1) | instskip(NEXT) | instid1(SALU_CYCLE_1)
	s_or_b32 exec_lo, exec_lo, s21
	s_mov_b32 s21, exec_lo
	v_cmpx_lt_u32_e32 0xffffff, v33
	s_cbranch_execz .LBB354_1267
; %bb.1260:                             ;   in Loop: Header=BB354_16 Depth=1
	v_lshrrev_b32_e32 v0, 24, v33
	v_bfrev_b32_e32 v50, 1
	s_mov_b32 s22, exec_lo
	s_delay_alu instid0(VALU_DEP_2)
	v_cmpx_ne_u32_e32 0x80, v0
	s_cbranch_execz .LBB354_1266
; %bb.1261:                             ;   in Loop: Header=BB354_16 Depth=1
	v_and_b32_e32 v4, 0x7f, v0
	v_mov_b32_e32 v50, 0x7fc02000
	s_mov_b32 s23, exec_lo
	s_delay_alu instid0(VALU_DEP_2)
	v_cmpx_ne_u32_e32 0x7f, v4
	s_cbranch_execz .LBB354_1265
; %bb.1262:                             ;   in Loop: Header=BB354_16 Depth=1
	v_and_b32_e32 v7, 7, v0
	v_mov_b32_e32 v36, v8
	v_lshrrev_b32_e32 v1, 3, v4
	s_mov_b32 s24, exec_lo
	s_delay_alu instid0(VALU_DEP_3)
	v_mov_b32_e32 v35, v7
	v_cmpx_gt_u32_e32 8, v4
; %bb.1263:                             ;   in Loop: Header=BB354_16 Depth=1
	v_clz_i32_u32_e32 v1, v7
	s_delay_alu instid0(VALU_DEP_1) | instskip(NEXT) | instid1(VALU_DEP_1)
	v_min_u32_e32 v1, 32, v1
	v_subrev_nc_u32_e32 v4, 28, v1
	v_sub_nc_u32_e32 v1, 29, v1
	s_delay_alu instid0(VALU_DEP_2) | instskip(NEXT) | instid1(VALU_DEP_1)
	v_lshlrev_b64 v[10:11], v4, v[7:8]
	v_and_b32_e32 v35, 7, v10
; %bb.1264:                             ;   in Loop: Header=BB354_16 Depth=1
	s_or_b32 exec_lo, exec_lo, s24
	v_lshlrev_b32_e32 v0, 8, v0
	v_lshl_add_u32 v1, v1, 10, 0x2000
	s_delay_alu instid0(VALU_DEP_1) | instskip(NEXT) | instid1(VALU_DEP_1)
	v_and_or_b32 v0, 0x8000, v0, v1
	v_lshl_or_b32 v0, v35, 7, v0
	s_delay_alu instid0(VALU_DEP_1)
	v_cvt_f32_f16_e32 v50, v0
.LBB354_1265:                           ;   in Loop: Header=BB354_16 Depth=1
	s_or_b32 exec_lo, exec_lo, s23
.LBB354_1266:                           ;   in Loop: Header=BB354_16 Depth=1
	s_delay_alu instid0(SALU_CYCLE_1)
	s_or_b32 exec_lo, exec_lo, s22
.LBB354_1267:                           ;   in Loop: Header=BB354_16 Depth=1
	s_delay_alu instid0(SALU_CYCLE_1) | instskip(SKIP_4) | instid1(VALU_DEP_3)
	s_or_b32 exec_lo, exec_lo, s21
	v_dual_mov_b32 v7, v34 :: v_dual_and_b32 v0, 0xff, v34
	v_mov_b32_e32 v97, 0
	v_mov_b32_e32 v71, 0
	s_mov_b32 s21, exec_lo
	v_cmpx_ne_u16_e32 0, v0
	s_cbranch_execz .LBB354_1275
; %bb.1268:                             ;   in Loop: Header=BB354_16 Depth=1
	v_bfrev_b32_e32 v71, 1
	s_mov_b32 s22, exec_lo
	v_cmpx_ne_u16_e32 0x80, v0
	s_cbranch_execz .LBB354_1274
; %bb.1269:                             ;   in Loop: Header=BB354_16 Depth=1
	v_and_b32_e32 v1, 0x7f, v34
	v_mov_b32_e32 v71, 0x7fc02000
	s_mov_b32 s23, exec_lo
	s_delay_alu instid0(VALU_DEP_2)
	v_cmpx_ne_u32_e32 0x7f, v1
	s_cbranch_execz .LBB354_1273
; %bb.1270:                             ;   in Loop: Header=BB354_16 Depth=1
	v_dual_mov_b32 v36, v8 :: v_dual_mov_b32 v35, v7
	v_lshrrev_b32_e32 v0, 3, v1
	s_mov_b32 s24, exec_lo
	v_cmpx_gt_u32_e32 8, v1
; %bb.1271:                             ;   in Loop: Header=BB354_16 Depth=1
	v_and_b32_e32 v0, 7, v34
	s_delay_alu instid0(VALU_DEP_1) | instskip(NEXT) | instid1(VALU_DEP_1)
	v_clz_i32_u32_e32 v0, v0
	v_min_u32_e32 v0, 32, v0
	s_delay_alu instid0(VALU_DEP_1) | instskip(SKIP_1) | instid1(VALU_DEP_2)
	v_subrev_nc_u32_e32 v1, 28, v0
	v_sub_nc_u32_e32 v0, 29, v0
	v_lshlrev_b64 v[35:36], v1, v[7:8]
; %bb.1272:                             ;   in Loop: Header=BB354_16 Depth=1
	s_or_b32 exec_lo, exec_lo, s24
	v_lshlrev_b32_e32 v1, 8, v34
	s_delay_alu instid0(VALU_DEP_3) | instskip(NEXT) | instid1(VALU_DEP_3)
	v_lshl_add_u32 v0, v0, 10, 0x2000
	v_lshlrev_b32_e32 v4, 7, v35
	s_delay_alu instid0(VALU_DEP_2) | instskip(NEXT) | instid1(VALU_DEP_1)
	v_and_or_b32 v0, 0x8000, v1, v0
	v_and_or_b32 v0, 0x380, v4, v0
	s_delay_alu instid0(VALU_DEP_1)
	v_cvt_f32_f16_e32 v71, v0
.LBB354_1273:                           ;   in Loop: Header=BB354_16 Depth=1
	s_or_b32 exec_lo, exec_lo, s23
.LBB354_1274:                           ;   in Loop: Header=BB354_16 Depth=1
	s_delay_alu instid0(SALU_CYCLE_1)
	s_or_b32 exec_lo, exec_lo, s22
.LBB354_1275:                           ;   in Loop: Header=BB354_16 Depth=1
	s_delay_alu instid0(SALU_CYCLE_1) | instskip(SKIP_2) | instid1(VALU_DEP_1)
	s_or_b32 exec_lo, exec_lo, s21
	v_lshrrev_b16 v0, 8, v7
	s_mov_b32 s21, exec_lo
	v_cmpx_ne_u16_e32 0, v0
	s_cbranch_execz .LBB354_1283
; %bb.1276:                             ;   in Loop: Header=BB354_16 Depth=1
	v_bfrev_b32_e32 v97, 1
	s_mov_b32 s22, exec_lo
	v_cmpx_ne_u16_e32 0x80, v0
	s_cbranch_execz .LBB354_1282
; %bb.1277:                             ;   in Loop: Header=BB354_16 Depth=1
	v_and_b32_e32 v0, 0xffff, v0
	v_mov_b32_e32 v97, 0x7fc02000
	s_mov_b32 s23, exec_lo
	s_delay_alu instid0(VALU_DEP_2) | instskip(NEXT) | instid1(VALU_DEP_1)
	v_and_b32_e32 v4, 0x7f, v0
	v_cmpx_ne_u32_e32 0x7f, v4
	s_cbranch_execz .LBB354_1281
; %bb.1278:                             ;   in Loop: Header=BB354_16 Depth=1
	v_and_b32_e32 v7, 7, v0
	v_mov_b32_e32 v36, v8
	v_lshrrev_b32_e32 v1, 3, v4
	s_mov_b32 s24, exec_lo
	s_delay_alu instid0(VALU_DEP_3)
	v_mov_b32_e32 v35, v7
	v_cmpx_gt_u32_e32 8, v4
; %bb.1279:                             ;   in Loop: Header=BB354_16 Depth=1
	v_clz_i32_u32_e32 v1, v7
	s_delay_alu instid0(VALU_DEP_1) | instskip(NEXT) | instid1(VALU_DEP_1)
	v_min_u32_e32 v1, 32, v1
	v_subrev_nc_u32_e32 v4, 28, v1
	v_sub_nc_u32_e32 v1, 29, v1
	s_delay_alu instid0(VALU_DEP_2) | instskip(NEXT) | instid1(VALU_DEP_1)
	v_lshlrev_b64 v[10:11], v4, v[7:8]
	v_and_b32_e32 v35, 7, v10
; %bb.1280:                             ;   in Loop: Header=BB354_16 Depth=1
	s_or_b32 exec_lo, exec_lo, s24
	v_lshlrev_b32_e32 v0, 8, v0
	v_lshl_add_u32 v1, v1, 10, 0x2000
	s_delay_alu instid0(VALU_DEP_1) | instskip(NEXT) | instid1(VALU_DEP_1)
	v_and_or_b32 v0, 0x8000, v0, v1
	v_lshl_or_b32 v0, v35, 7, v0
	s_delay_alu instid0(VALU_DEP_1)
	v_cvt_f32_f16_e32 v97, v0
.LBB354_1281:                           ;   in Loop: Header=BB354_16 Depth=1
	s_or_b32 exec_lo, exec_lo, s23
.LBB354_1282:                           ;   in Loop: Header=BB354_16 Depth=1
	s_delay_alu instid0(SALU_CYCLE_1)
	s_or_b32 exec_lo, exec_lo, s22
.LBB354_1283:                           ;   in Loop: Header=BB354_16 Depth=1
	s_delay_alu instid0(SALU_CYCLE_1) | instskip(SKIP_3) | instid1(VALU_DEP_2)
	s_or_b32 exec_lo, exec_lo, s21
	v_lshrrev_b32_e32 v0, 16, v34
	v_mov_b32_e32 v113, 0
	s_mov_b32 s21, exec_lo
	v_dual_mov_b32 v112, 0 :: v_dual_and_b32 v1, 0xff, v0
	s_delay_alu instid0(VALU_DEP_1)
	v_cmpx_ne_u16_e32 0, v1
	s_cbranch_execz .LBB354_1291
; %bb.1284:                             ;   in Loop: Header=BB354_16 Depth=1
	v_bfrev_b32_e32 v113, 1
	s_mov_b32 s22, exec_lo
	v_cmpx_ne_u16_e32 0x80, v1
	s_cbranch_execz .LBB354_1290
; %bb.1285:                             ;   in Loop: Header=BB354_16 Depth=1
	v_bfe_u32 v4, v34, 16, 7
	v_mov_b32_e32 v113, 0x7fc02000
	s_mov_b32 s23, exec_lo
	s_delay_alu instid0(VALU_DEP_2)
	v_cmpx_ne_u32_e32 0x7f, v4
	s_cbranch_execz .LBB354_1289
; %bb.1286:                             ;   in Loop: Header=BB354_16 Depth=1
	v_and_b32_e32 v7, 7, v0
	v_mov_b32_e32 v36, v8
	v_lshrrev_b32_e32 v1, 3, v4
	s_mov_b32 s24, exec_lo
	s_delay_alu instid0(VALU_DEP_3)
	v_mov_b32_e32 v35, v7
	v_cmpx_gt_u32_e32 8, v4
; %bb.1287:                             ;   in Loop: Header=BB354_16 Depth=1
	v_clz_i32_u32_e32 v1, v7
	s_delay_alu instid0(VALU_DEP_1) | instskip(NEXT) | instid1(VALU_DEP_1)
	v_min_u32_e32 v1, 32, v1
	v_subrev_nc_u32_e32 v4, 28, v1
	v_sub_nc_u32_e32 v1, 29, v1
	s_delay_alu instid0(VALU_DEP_2) | instskip(NEXT) | instid1(VALU_DEP_1)
	v_lshlrev_b64 v[10:11], v4, v[7:8]
	v_and_b32_e32 v35, 7, v10
; %bb.1288:                             ;   in Loop: Header=BB354_16 Depth=1
	s_or_b32 exec_lo, exec_lo, s24
	v_lshlrev_b32_e32 v0, 8, v0
	v_lshl_add_u32 v1, v1, 10, 0x2000
	s_delay_alu instid0(VALU_DEP_1) | instskip(NEXT) | instid1(VALU_DEP_1)
	v_and_or_b32 v0, 0x8000, v0, v1
	v_lshl_or_b32 v0, v35, 7, v0
	s_delay_alu instid0(VALU_DEP_1)
	v_cvt_f32_f16_e32 v113, v0
.LBB354_1289:                           ;   in Loop: Header=BB354_16 Depth=1
	s_or_b32 exec_lo, exec_lo, s23
.LBB354_1290:                           ;   in Loop: Header=BB354_16 Depth=1
	s_delay_alu instid0(SALU_CYCLE_1)
	s_or_b32 exec_lo, exec_lo, s22
.LBB354_1291:                           ;   in Loop: Header=BB354_16 Depth=1
	s_delay_alu instid0(SALU_CYCLE_1) | instskip(NEXT) | instid1(SALU_CYCLE_1)
	s_or_b32 exec_lo, exec_lo, s21
	s_mov_b32 s21, exec_lo
	v_cmpx_lt_u64_e64 s[8:9], v[33:34]
	s_cbranch_execz .LBB354_1299
; %bb.1292:                             ;   in Loop: Header=BB354_16 Depth=1
	v_lshrrev_b32_e32 v0, 24, v34
	v_bfrev_b32_e32 v112, 1
	s_mov_b32 s22, exec_lo
	s_delay_alu instid0(VALU_DEP_2)
	v_cmpx_ne_u32_e32 0x80, v0
	s_cbranch_execz .LBB354_1298
; %bb.1293:                             ;   in Loop: Header=BB354_16 Depth=1
	v_and_b32_e32 v4, 0x7f, v0
	v_mov_b32_e32 v112, 0x7fc02000
	s_mov_b32 s23, exec_lo
	s_delay_alu instid0(VALU_DEP_2)
	v_cmpx_ne_u32_e32 0x7f, v4
	s_cbranch_execz .LBB354_1297
; %bb.1294:                             ;   in Loop: Header=BB354_16 Depth=1
	v_and_b32_e32 v7, 7, v0
	v_mov_b32_e32 v34, v8
	v_lshrrev_b32_e32 v1, 3, v4
	s_mov_b32 s24, exec_lo
	s_delay_alu instid0(VALU_DEP_3)
	v_mov_b32_e32 v33, v7
	v_cmpx_gt_u32_e32 8, v4
; %bb.1295:                             ;   in Loop: Header=BB354_16 Depth=1
	v_clz_i32_u32_e32 v1, v7
	s_delay_alu instid0(VALU_DEP_1) | instskip(NEXT) | instid1(VALU_DEP_1)
	v_min_u32_e32 v1, 32, v1
	v_subrev_nc_u32_e32 v4, 28, v1
	v_sub_nc_u32_e32 v1, 29, v1
	s_delay_alu instid0(VALU_DEP_2) | instskip(NEXT) | instid1(VALU_DEP_1)
	v_lshlrev_b64 v[10:11], v4, v[7:8]
	v_and_b32_e32 v33, 7, v10
; %bb.1296:                             ;   in Loop: Header=BB354_16 Depth=1
	s_or_b32 exec_lo, exec_lo, s24
	v_lshlrev_b32_e32 v0, 8, v0
	v_lshl_add_u32 v1, v1, 10, 0x2000
	s_delay_alu instid0(VALU_DEP_1) | instskip(NEXT) | instid1(VALU_DEP_1)
	v_and_or_b32 v0, 0x8000, v0, v1
	v_lshl_or_b32 v0, v33, 7, v0
	s_delay_alu instid0(VALU_DEP_1)
	v_cvt_f32_f16_e32 v112, v0
.LBB354_1297:                           ;   in Loop: Header=BB354_16 Depth=1
	s_or_b32 exec_lo, exec_lo, s23
.LBB354_1298:                           ;   in Loop: Header=BB354_16 Depth=1
	s_delay_alu instid0(SALU_CYCLE_1)
	s_or_b32 exec_lo, exec_lo, s22
.LBB354_1299:                           ;   in Loop: Header=BB354_16 Depth=1
	s_delay_alu instid0(SALU_CYCLE_1)
	s_or_b32 exec_lo, exec_lo, s21
	flat_load_b64 v[33:34], v[31:32] offset:1024
	v_mov_b32_e32 v0, 0
	s_mov_b32 s21, exec_lo
	s_waitcnt vmcnt(0) lgkmcnt(0)
	v_dual_mov_b32 v1, 0 :: v_dual_and_b32 v4, 0xff, v33
	s_delay_alu instid0(VALU_DEP_1)
	v_cmpx_ne_u16_e32 0, v4
	s_cbranch_execz .LBB354_1307
; %bb.1300:                             ;   in Loop: Header=BB354_16 Depth=1
	v_bfrev_b32_e32 v0, 1
	s_mov_b32 s22, exec_lo
	v_cmpx_ne_u16_e32 0x80, v4
	s_cbranch_execz .LBB354_1306
; %bb.1301:                             ;   in Loop: Header=BB354_16 Depth=1
	v_and_b32_e32 v4, 0x7f, v33
	v_mov_b32_e32 v0, 0x7fc02000
	s_mov_b32 s23, exec_lo
	s_delay_alu instid0(VALU_DEP_2)
	v_cmpx_ne_u32_e32 0x7f, v4
	s_cbranch_execz .LBB354_1305
; %bb.1302:                             ;   in Loop: Header=BB354_16 Depth=1
	v_lshrrev_b32_e32 v0, 3, v4
	v_dual_mov_b32 v36, v34 :: v_dual_mov_b32 v35, v33
	s_mov_b32 s24, exec_lo
	v_cmpx_gt_u32_e32 8, v4
; %bb.1303:                             ;   in Loop: Header=BB354_16 Depth=1
	v_and_b32_e32 v0, 7, v33
	s_delay_alu instid0(VALU_DEP_1) | instskip(NEXT) | instid1(VALU_DEP_1)
	v_clz_i32_u32_e32 v0, v0
	v_min_u32_e32 v0, 32, v0
	s_delay_alu instid0(VALU_DEP_1) | instskip(SKIP_1) | instid1(VALU_DEP_2)
	v_subrev_nc_u32_e32 v4, 28, v0
	v_sub_nc_u32_e32 v0, 29, v0
	v_lshlrev_b64 v[35:36], v4, v[33:34]
; %bb.1304:                             ;   in Loop: Header=BB354_16 Depth=1
	s_or_b32 exec_lo, exec_lo, s24
	v_lshlrev_b32_e32 v4, 8, v33
	s_delay_alu instid0(VALU_DEP_3) | instskip(NEXT) | instid1(VALU_DEP_3)
	v_lshl_add_u32 v0, v0, 10, 0x2000
	v_lshlrev_b32_e32 v7, 7, v35
	s_delay_alu instid0(VALU_DEP_2) | instskip(NEXT) | instid1(VALU_DEP_1)
	v_and_or_b32 v0, 0x8000, v4, v0
	v_and_or_b32 v0, 0x380, v7, v0
	s_delay_alu instid0(VALU_DEP_1)
	v_cvt_f32_f16_e32 v0, v0
.LBB354_1305:                           ;   in Loop: Header=BB354_16 Depth=1
	s_or_b32 exec_lo, exec_lo, s23
.LBB354_1306:                           ;   in Loop: Header=BB354_16 Depth=1
	s_delay_alu instid0(SALU_CYCLE_1)
	s_or_b32 exec_lo, exec_lo, s22
.LBB354_1307:                           ;   in Loop: Header=BB354_16 Depth=1
	s_delay_alu instid0(SALU_CYCLE_1) | instskip(SKIP_2) | instid1(VALU_DEP_1)
	s_or_b32 exec_lo, exec_lo, s21
	v_lshrrev_b16 v4, 8, v33
	s_mov_b32 s21, exec_lo
	v_cmpx_ne_u16_e32 0, v4
	s_cbranch_execz .LBB354_1315
; %bb.1308:                             ;   in Loop: Header=BB354_16 Depth=1
	v_bfrev_b32_e32 v1, 1
	s_mov_b32 s22, exec_lo
	v_cmpx_ne_u16_e32 0x80, v4
	s_cbranch_execz .LBB354_1314
; %bb.1309:                             ;   in Loop: Header=BB354_16 Depth=1
	v_and_b32_e32 v4, 0xffff, v4
	v_mov_b32_e32 v1, 0x7fc02000
	s_mov_b32 s23, exec_lo
	s_delay_alu instid0(VALU_DEP_2) | instskip(NEXT) | instid1(VALU_DEP_1)
	v_and_b32_e32 v10, 0x7f, v4
	v_cmpx_ne_u32_e32 0x7f, v10
	s_cbranch_execz .LBB354_1313
; %bb.1310:                             ;   in Loop: Header=BB354_16 Depth=1
	v_and_b32_e32 v7, 7, v4
	v_mov_b32_e32 v36, v8
	v_lshrrev_b32_e32 v1, 3, v10
	s_mov_b32 s24, exec_lo
	s_delay_alu instid0(VALU_DEP_3)
	v_mov_b32_e32 v35, v7
	v_cmpx_gt_u32_e32 8, v10
; %bb.1311:                             ;   in Loop: Header=BB354_16 Depth=1
	v_clz_i32_u32_e32 v1, v7
	s_delay_alu instid0(VALU_DEP_1) | instskip(NEXT) | instid1(VALU_DEP_1)
	v_min_u32_e32 v1, 32, v1
	v_subrev_nc_u32_e32 v10, 28, v1
	v_sub_nc_u32_e32 v1, 29, v1
	s_delay_alu instid0(VALU_DEP_2) | instskip(NEXT) | instid1(VALU_DEP_1)
	v_lshlrev_b64 v[10:11], v10, v[7:8]
	v_and_b32_e32 v35, 7, v10
; %bb.1312:                             ;   in Loop: Header=BB354_16 Depth=1
	s_or_b32 exec_lo, exec_lo, s24
	v_lshlrev_b32_e32 v4, 8, v4
	v_lshl_add_u32 v1, v1, 10, 0x2000
	s_delay_alu instid0(VALU_DEP_1) | instskip(NEXT) | instid1(VALU_DEP_1)
	v_and_or_b32 v1, 0x8000, v4, v1
	v_lshl_or_b32 v1, v35, 7, v1
	s_delay_alu instid0(VALU_DEP_1)
	v_cvt_f32_f16_e32 v1, v1
.LBB354_1313:                           ;   in Loop: Header=BB354_16 Depth=1
	s_or_b32 exec_lo, exec_lo, s23
.LBB354_1314:                           ;   in Loop: Header=BB354_16 Depth=1
	s_delay_alu instid0(SALU_CYCLE_1)
	s_or_b32 exec_lo, exec_lo, s22
.LBB354_1315:                           ;   in Loop: Header=BB354_16 Depth=1
	s_delay_alu instid0(SALU_CYCLE_1) | instskip(SKIP_3) | instid1(VALU_DEP_2)
	s_or_b32 exec_lo, exec_lo, s21
	v_lshrrev_b32_e32 v11, 16, v33
	v_mov_b32_e32 v4, 0
	s_mov_b32 s21, exec_lo
	v_dual_mov_b32 v10, 0 :: v_dual_and_b32 v7, 0xff, v11
	s_delay_alu instid0(VALU_DEP_1)
	v_cmpx_ne_u16_e32 0, v7
	s_cbranch_execz .LBB354_1323
; %bb.1316:                             ;   in Loop: Header=BB354_16 Depth=1
	v_bfrev_b32_e32 v4, 1
	s_mov_b32 s22, exec_lo
	v_cmpx_ne_u16_e32 0x80, v7
	s_cbranch_execz .LBB354_1322
; %bb.1317:                             ;   in Loop: Header=BB354_16 Depth=1
	v_bfe_u32 v17, v33, 16, 7
	v_mov_b32_e32 v4, 0x7fc02000
	s_mov_b32 s23, exec_lo
	s_delay_alu instid0(VALU_DEP_2)
	v_cmpx_ne_u32_e32 0x7f, v17
	s_cbranch_execz .LBB354_1321
; %bb.1318:                             ;   in Loop: Header=BB354_16 Depth=1
	v_and_b32_e32 v7, 7, v11
	v_mov_b32_e32 v36, v8
	v_lshrrev_b32_e32 v4, 3, v17
	s_mov_b32 s24, exec_lo
	s_delay_alu instid0(VALU_DEP_3)
	v_mov_b32_e32 v35, v7
	v_cmpx_gt_u32_e32 8, v17
; %bb.1319:                             ;   in Loop: Header=BB354_16 Depth=1
	v_clz_i32_u32_e32 v4, v7
	s_delay_alu instid0(VALU_DEP_1) | instskip(NEXT) | instid1(VALU_DEP_1)
	v_min_u32_e32 v4, 32, v4
	v_subrev_nc_u32_e32 v17, 28, v4
	v_sub_nc_u32_e32 v4, 29, v4
	s_delay_alu instid0(VALU_DEP_2) | instskip(NEXT) | instid1(VALU_DEP_1)
	v_lshlrev_b64 v[35:36], v17, v[7:8]
	v_and_b32_e32 v35, 7, v35
; %bb.1320:                             ;   in Loop: Header=BB354_16 Depth=1
	s_or_b32 exec_lo, exec_lo, s24
	v_lshlrev_b32_e32 v7, 8, v11
	v_lshl_add_u32 v4, v4, 10, 0x2000
	s_delay_alu instid0(VALU_DEP_1) | instskip(NEXT) | instid1(VALU_DEP_1)
	v_and_or_b32 v4, 0x8000, v7, v4
	v_lshl_or_b32 v4, v35, 7, v4
	s_delay_alu instid0(VALU_DEP_1)
	v_cvt_f32_f16_e32 v4, v4
.LBB354_1321:                           ;   in Loop: Header=BB354_16 Depth=1
	s_or_b32 exec_lo, exec_lo, s23
.LBB354_1322:                           ;   in Loop: Header=BB354_16 Depth=1
	s_delay_alu instid0(SALU_CYCLE_1)
	s_or_b32 exec_lo, exec_lo, s22
.LBB354_1323:                           ;   in Loop: Header=BB354_16 Depth=1
	s_delay_alu instid0(SALU_CYCLE_1) | instskip(NEXT) | instid1(SALU_CYCLE_1)
	s_or_b32 exec_lo, exec_lo, s21
	s_mov_b32 s21, exec_lo
	v_cmpx_lt_u32_e32 0xffffff, v33
	s_cbranch_execz .LBB354_1331
; %bb.1324:                             ;   in Loop: Header=BB354_16 Depth=1
	v_lshrrev_b32_e32 v11, 24, v33
	v_bfrev_b32_e32 v10, 1
	s_mov_b32 s22, exec_lo
	s_delay_alu instid0(VALU_DEP_2)
	v_cmpx_ne_u32_e32 0x80, v11
	s_cbranch_execz .LBB354_1330
; %bb.1325:                             ;   in Loop: Header=BB354_16 Depth=1
	v_and_b32_e32 v17, 0x7f, v11
	v_mov_b32_e32 v10, 0x7fc02000
	s_mov_b32 s23, exec_lo
	s_delay_alu instid0(VALU_DEP_2)
	v_cmpx_ne_u32_e32 0x7f, v17
	s_cbranch_execz .LBB354_1329
; %bb.1326:                             ;   in Loop: Header=BB354_16 Depth=1
	v_and_b32_e32 v7, 7, v11
	v_mov_b32_e32 v36, v8
	v_lshrrev_b32_e32 v10, 3, v17
	s_mov_b32 s24, exec_lo
	s_delay_alu instid0(VALU_DEP_3)
	v_mov_b32_e32 v35, v7
	v_cmpx_gt_u32_e32 8, v17
; %bb.1327:                             ;   in Loop: Header=BB354_16 Depth=1
	v_clz_i32_u32_e32 v10, v7
	s_delay_alu instid0(VALU_DEP_1) | instskip(NEXT) | instid1(VALU_DEP_1)
	v_min_u32_e32 v10, 32, v10
	v_subrev_nc_u32_e32 v17, 28, v10
	v_sub_nc_u32_e32 v10, 29, v10
	s_delay_alu instid0(VALU_DEP_2) | instskip(NEXT) | instid1(VALU_DEP_1)
	v_lshlrev_b64 v[35:36], v17, v[7:8]
	v_and_b32_e32 v35, 7, v35
; %bb.1328:                             ;   in Loop: Header=BB354_16 Depth=1
	s_or_b32 exec_lo, exec_lo, s24
	v_lshlrev_b32_e32 v7, 8, v11
	v_lshl_add_u32 v10, v10, 10, 0x2000
	s_delay_alu instid0(VALU_DEP_1) | instskip(NEXT) | instid1(VALU_DEP_1)
	v_and_or_b32 v7, 0x8000, v7, v10
	v_lshl_or_b32 v7, v35, 7, v7
	s_delay_alu instid0(VALU_DEP_1)
	v_cvt_f32_f16_e32 v10, v7
.LBB354_1329:                           ;   in Loop: Header=BB354_16 Depth=1
	s_or_b32 exec_lo, exec_lo, s23
.LBB354_1330:                           ;   in Loop: Header=BB354_16 Depth=1
	s_delay_alu instid0(SALU_CYCLE_1)
	s_or_b32 exec_lo, exec_lo, s22
.LBB354_1331:                           ;   in Loop: Header=BB354_16 Depth=1
	s_delay_alu instid0(SALU_CYCLE_1)
	s_or_b32 exec_lo, exec_lo, s21
	v_and_b32_e32 v11, 0xff, v34
	v_mov_b32_e32 v7, v34
	v_mov_b32_e32 v37, 0
	;; [unrolled: 1-line block ×3, first 2 shown]
	s_mov_b32 s21, exec_lo
	v_cmpx_ne_u16_e32 0, v11
	s_cbranch_execz .LBB354_1339
; %bb.1332:                             ;   in Loop: Header=BB354_16 Depth=1
	v_bfrev_b32_e32 v19, 1
	s_mov_b32 s22, exec_lo
	v_cmpx_ne_u16_e32 0x80, v11
	s_cbranch_execz .LBB354_1338
; %bb.1333:                             ;   in Loop: Header=BB354_16 Depth=1
	v_and_b32_e32 v17, 0x7f, v34
	v_mov_b32_e32 v19, 0x7fc02000
	s_mov_b32 s23, exec_lo
	s_delay_alu instid0(VALU_DEP_2)
	v_cmpx_ne_u32_e32 0x7f, v17
	s_cbranch_execz .LBB354_1337
; %bb.1334:                             ;   in Loop: Header=BB354_16 Depth=1
	v_dual_mov_b32 v36, v8 :: v_dual_mov_b32 v35, v7
	v_lshrrev_b32_e32 v11, 3, v17
	s_mov_b32 s24, exec_lo
	v_cmpx_gt_u32_e32 8, v17
; %bb.1335:                             ;   in Loop: Header=BB354_16 Depth=1
	v_and_b32_e32 v11, 7, v34
	s_delay_alu instid0(VALU_DEP_1) | instskip(NEXT) | instid1(VALU_DEP_1)
	v_clz_i32_u32_e32 v11, v11
	v_min_u32_e32 v11, 32, v11
	s_delay_alu instid0(VALU_DEP_1) | instskip(SKIP_1) | instid1(VALU_DEP_2)
	v_subrev_nc_u32_e32 v17, 28, v11
	v_sub_nc_u32_e32 v11, 29, v11
	v_lshlrev_b64 v[35:36], v17, v[7:8]
; %bb.1336:                             ;   in Loop: Header=BB354_16 Depth=1
	s_or_b32 exec_lo, exec_lo, s24
	v_lshlrev_b32_e32 v17, 8, v34
	s_delay_alu instid0(VALU_DEP_3) | instskip(NEXT) | instid1(VALU_DEP_3)
	v_lshl_add_u32 v11, v11, 10, 0x2000
	v_lshlrev_b32_e32 v19, 7, v35
	s_delay_alu instid0(VALU_DEP_2) | instskip(NEXT) | instid1(VALU_DEP_1)
	v_and_or_b32 v11, 0x8000, v17, v11
	v_and_or_b32 v11, 0x380, v19, v11
	s_delay_alu instid0(VALU_DEP_1)
	v_cvt_f32_f16_e32 v19, v11
.LBB354_1337:                           ;   in Loop: Header=BB354_16 Depth=1
	s_or_b32 exec_lo, exec_lo, s23
.LBB354_1338:                           ;   in Loop: Header=BB354_16 Depth=1
	s_delay_alu instid0(SALU_CYCLE_1)
	s_or_b32 exec_lo, exec_lo, s22
.LBB354_1339:                           ;   in Loop: Header=BB354_16 Depth=1
	s_delay_alu instid0(SALU_CYCLE_1) | instskip(SKIP_2) | instid1(VALU_DEP_1)
	s_or_b32 exec_lo, exec_lo, s21
	v_lshrrev_b16 v7, 8, v7
	s_mov_b32 s21, exec_lo
	v_cmpx_ne_u16_e32 0, v7
	s_cbranch_execz .LBB354_1347
; %bb.1340:                             ;   in Loop: Header=BB354_16 Depth=1
	v_bfrev_b32_e32 v37, 1
	s_mov_b32 s22, exec_lo
	v_cmpx_ne_u16_e32 0x80, v7
	s_cbranch_execz .LBB354_1346
; %bb.1341:                             ;   in Loop: Header=BB354_16 Depth=1
	v_and_b32_e32 v11, 0xffff, v7
	v_mov_b32_e32 v37, 0x7fc02000
	s_mov_b32 s23, exec_lo
	s_delay_alu instid0(VALU_DEP_2) | instskip(NEXT) | instid1(VALU_DEP_1)
	v_and_b32_e32 v23, 0x7f, v11
	v_cmpx_ne_u32_e32 0x7f, v23
	s_cbranch_execz .LBB354_1345
; %bb.1342:                             ;   in Loop: Header=BB354_16 Depth=1
	v_and_b32_e32 v7, 7, v11
	v_mov_b32_e32 v36, v8
	v_lshrrev_b32_e32 v17, 3, v23
	s_mov_b32 s24, exec_lo
	s_delay_alu instid0(VALU_DEP_3)
	v_mov_b32_e32 v35, v7
	v_cmpx_gt_u32_e32 8, v23
; %bb.1343:                             ;   in Loop: Header=BB354_16 Depth=1
	v_clz_i32_u32_e32 v17, v7
	s_delay_alu instid0(VALU_DEP_1) | instskip(NEXT) | instid1(VALU_DEP_1)
	v_min_u32_e32 v17, 32, v17
	v_subrev_nc_u32_e32 v23, 28, v17
	v_sub_nc_u32_e32 v17, 29, v17
	s_delay_alu instid0(VALU_DEP_2) | instskip(NEXT) | instid1(VALU_DEP_1)
	v_lshlrev_b64 v[35:36], v23, v[7:8]
	v_and_b32_e32 v35, 7, v35
; %bb.1344:                             ;   in Loop: Header=BB354_16 Depth=1
	s_or_b32 exec_lo, exec_lo, s24
	v_lshlrev_b32_e32 v7, 8, v11
	v_lshl_add_u32 v11, v17, 10, 0x2000
	s_delay_alu instid0(VALU_DEP_1) | instskip(NEXT) | instid1(VALU_DEP_1)
	v_and_or_b32 v7, 0x8000, v7, v11
	v_lshl_or_b32 v7, v35, 7, v7
	s_delay_alu instid0(VALU_DEP_1)
	v_cvt_f32_f16_e32 v37, v7
.LBB354_1345:                           ;   in Loop: Header=BB354_16 Depth=1
	s_or_b32 exec_lo, exec_lo, s23
.LBB354_1346:                           ;   in Loop: Header=BB354_16 Depth=1
	s_delay_alu instid0(SALU_CYCLE_1)
	s_or_b32 exec_lo, exec_lo, s22
.LBB354_1347:                           ;   in Loop: Header=BB354_16 Depth=1
	s_delay_alu instid0(SALU_CYCLE_1) | instskip(SKIP_4) | instid1(VALU_DEP_3)
	s_or_b32 exec_lo, exec_lo, s21
	v_lshrrev_b32_e32 v11, 16, v34
	v_mov_b32_e32 v51, 0
	v_mov_b32_e32 v53, 0
	s_mov_b32 s21, exec_lo
	v_and_b32_e32 v7, 0xff, v11
	s_delay_alu instid0(VALU_DEP_1)
	v_cmpx_ne_u16_e32 0, v7
	s_cbranch_execz .LBB354_1355
; %bb.1348:                             ;   in Loop: Header=BB354_16 Depth=1
	v_bfrev_b32_e32 v53, 1
	s_mov_b32 s22, exec_lo
	v_cmpx_ne_u16_e32 0x80, v7
	s_cbranch_execz .LBB354_1354
; %bb.1349:                             ;   in Loop: Header=BB354_16 Depth=1
	v_bfe_u32 v23, v34, 16, 7
	v_mov_b32_e32 v53, 0x7fc02000
	s_mov_b32 s23, exec_lo
	s_delay_alu instid0(VALU_DEP_2)
	v_cmpx_ne_u32_e32 0x7f, v23
	s_cbranch_execz .LBB354_1353
; %bb.1350:                             ;   in Loop: Header=BB354_16 Depth=1
	v_and_b32_e32 v7, 7, v11
	v_mov_b32_e32 v36, v8
	v_lshrrev_b32_e32 v17, 3, v23
	s_mov_b32 s24, exec_lo
	s_delay_alu instid0(VALU_DEP_3)
	v_mov_b32_e32 v35, v7
	v_cmpx_gt_u32_e32 8, v23
; %bb.1351:                             ;   in Loop: Header=BB354_16 Depth=1
	v_clz_i32_u32_e32 v17, v7
	s_delay_alu instid0(VALU_DEP_1) | instskip(NEXT) | instid1(VALU_DEP_1)
	v_min_u32_e32 v17, 32, v17
	v_subrev_nc_u32_e32 v23, 28, v17
	v_sub_nc_u32_e32 v17, 29, v17
	s_delay_alu instid0(VALU_DEP_2) | instskip(NEXT) | instid1(VALU_DEP_1)
	v_lshlrev_b64 v[35:36], v23, v[7:8]
	v_and_b32_e32 v35, 7, v35
; %bb.1352:                             ;   in Loop: Header=BB354_16 Depth=1
	s_or_b32 exec_lo, exec_lo, s24
	v_lshlrev_b32_e32 v7, 8, v11
	v_lshl_add_u32 v11, v17, 10, 0x2000
	s_delay_alu instid0(VALU_DEP_1) | instskip(NEXT) | instid1(VALU_DEP_1)
	v_and_or_b32 v7, 0x8000, v7, v11
	v_lshl_or_b32 v7, v35, 7, v7
	s_delay_alu instid0(VALU_DEP_1)
	v_cvt_f32_f16_e32 v53, v7
.LBB354_1353:                           ;   in Loop: Header=BB354_16 Depth=1
	s_or_b32 exec_lo, exec_lo, s23
.LBB354_1354:                           ;   in Loop: Header=BB354_16 Depth=1
	s_delay_alu instid0(SALU_CYCLE_1)
	s_or_b32 exec_lo, exec_lo, s22
.LBB354_1355:                           ;   in Loop: Header=BB354_16 Depth=1
	s_delay_alu instid0(SALU_CYCLE_1) | instskip(NEXT) | instid1(SALU_CYCLE_1)
	s_or_b32 exec_lo, exec_lo, s21
	s_mov_b32 s21, exec_lo
	v_cmpx_lt_u64_e64 s[8:9], v[33:34]
	s_cbranch_execz .LBB354_1363
; %bb.1356:                             ;   in Loop: Header=BB354_16 Depth=1
	v_lshrrev_b32_e32 v11, 24, v34
	v_bfrev_b32_e32 v51, 1
	s_mov_b32 s22, exec_lo
	s_delay_alu instid0(VALU_DEP_2)
	v_cmpx_ne_u32_e32 0x80, v11
	s_cbranch_execz .LBB354_1362
; %bb.1357:                             ;   in Loop: Header=BB354_16 Depth=1
	v_and_b32_e32 v23, 0x7f, v11
	v_mov_b32_e32 v51, 0x7fc02000
	s_mov_b32 s23, exec_lo
	s_delay_alu instid0(VALU_DEP_2)
	v_cmpx_ne_u32_e32 0x7f, v23
	s_cbranch_execz .LBB354_1361
; %bb.1358:                             ;   in Loop: Header=BB354_16 Depth=1
	v_and_b32_e32 v7, 7, v11
	v_mov_b32_e32 v34, v8
	v_lshrrev_b32_e32 v17, 3, v23
	s_mov_b32 s24, exec_lo
	s_delay_alu instid0(VALU_DEP_3)
	v_mov_b32_e32 v33, v7
	v_cmpx_gt_u32_e32 8, v23
; %bb.1359:                             ;   in Loop: Header=BB354_16 Depth=1
	v_clz_i32_u32_e32 v17, v7
	s_delay_alu instid0(VALU_DEP_1) | instskip(NEXT) | instid1(VALU_DEP_1)
	v_min_u32_e32 v17, 32, v17
	v_subrev_nc_u32_e32 v23, 28, v17
	v_sub_nc_u32_e32 v17, 29, v17
	s_delay_alu instid0(VALU_DEP_2) | instskip(NEXT) | instid1(VALU_DEP_1)
	v_lshlrev_b64 v[33:34], v23, v[7:8]
	v_and_b32_e32 v33, 7, v33
; %bb.1360:                             ;   in Loop: Header=BB354_16 Depth=1
	s_or_b32 exec_lo, exec_lo, s24
	v_lshlrev_b32_e32 v7, 8, v11
	v_lshl_add_u32 v11, v17, 10, 0x2000
	s_delay_alu instid0(VALU_DEP_1) | instskip(NEXT) | instid1(VALU_DEP_1)
	v_and_or_b32 v7, 0x8000, v7, v11
	v_lshl_or_b32 v7, v33, 7, v7
	s_delay_alu instid0(VALU_DEP_1)
	v_cvt_f32_f16_e32 v51, v7
.LBB354_1361:                           ;   in Loop: Header=BB354_16 Depth=1
	s_or_b32 exec_lo, exec_lo, s23
.LBB354_1362:                           ;   in Loop: Header=BB354_16 Depth=1
	s_delay_alu instid0(SALU_CYCLE_1)
	s_or_b32 exec_lo, exec_lo, s22
.LBB354_1363:                           ;   in Loop: Header=BB354_16 Depth=1
	s_delay_alu instid0(SALU_CYCLE_1)
	s_or_b32 exec_lo, exec_lo, s21
	flat_load_b64 v[33:34], v[31:32] offset:1032
	v_mov_b32_e32 v11, 0
	s_mov_b32 s21, exec_lo
	s_waitcnt vmcnt(0) lgkmcnt(0)
	v_dual_mov_b32 v54, 0 :: v_dual_and_b32 v7, 0xff, v33
	s_delay_alu instid0(VALU_DEP_1)
	v_cmpx_ne_u16_e32 0, v7
	s_cbranch_execz .LBB354_1371
; %bb.1364:                             ;   in Loop: Header=BB354_16 Depth=1
	v_bfrev_b32_e32 v11, 1
	s_mov_b32 s22, exec_lo
	v_cmpx_ne_u16_e32 0x80, v7
	s_cbranch_execz .LBB354_1370
; %bb.1365:                             ;   in Loop: Header=BB354_16 Depth=1
	v_and_b32_e32 v17, 0x7f, v33
	v_mov_b32_e32 v11, 0x7fc02000
	s_mov_b32 s23, exec_lo
	s_delay_alu instid0(VALU_DEP_2)
	v_cmpx_ne_u32_e32 0x7f, v17
	s_cbranch_execz .LBB354_1369
; %bb.1366:                             ;   in Loop: Header=BB354_16 Depth=1
	v_lshrrev_b32_e32 v7, 3, v17
	v_dual_mov_b32 v36, v34 :: v_dual_mov_b32 v35, v33
	s_mov_b32 s24, exec_lo
	v_cmpx_gt_u32_e32 8, v17
; %bb.1367:                             ;   in Loop: Header=BB354_16 Depth=1
	v_and_b32_e32 v7, 7, v33
	s_delay_alu instid0(VALU_DEP_1) | instskip(NEXT) | instid1(VALU_DEP_1)
	v_clz_i32_u32_e32 v7, v7
	v_min_u32_e32 v7, 32, v7
	s_delay_alu instid0(VALU_DEP_1) | instskip(SKIP_1) | instid1(VALU_DEP_2)
	v_subrev_nc_u32_e32 v11, 28, v7
	v_sub_nc_u32_e32 v7, 29, v7
	v_lshlrev_b64 v[35:36], v11, v[33:34]
; %bb.1368:                             ;   in Loop: Header=BB354_16 Depth=1
	s_or_b32 exec_lo, exec_lo, s24
	v_lshlrev_b32_e32 v11, 8, v33
	s_delay_alu instid0(VALU_DEP_3) | instskip(NEXT) | instid1(VALU_DEP_3)
	v_lshl_add_u32 v7, v7, 10, 0x2000
	v_lshlrev_b32_e32 v17, 7, v35
	s_delay_alu instid0(VALU_DEP_2) | instskip(NEXT) | instid1(VALU_DEP_1)
	v_and_or_b32 v7, 0x8000, v11, v7
	v_and_or_b32 v7, 0x380, v17, v7
	s_delay_alu instid0(VALU_DEP_1)
	v_cvt_f32_f16_e32 v11, v7
.LBB354_1369:                           ;   in Loop: Header=BB354_16 Depth=1
	s_or_b32 exec_lo, exec_lo, s23
.LBB354_1370:                           ;   in Loop: Header=BB354_16 Depth=1
	s_delay_alu instid0(SALU_CYCLE_1)
	s_or_b32 exec_lo, exec_lo, s22
.LBB354_1371:                           ;   in Loop: Header=BB354_16 Depth=1
	s_delay_alu instid0(SALU_CYCLE_1) | instskip(SKIP_2) | instid1(VALU_DEP_1)
	s_or_b32 exec_lo, exec_lo, s21
	v_lshrrev_b16 v7, 8, v33
	s_mov_b32 s21, exec_lo
	v_cmpx_ne_u16_e32 0, v7
	s_cbranch_execz .LBB354_1379
; %bb.1372:                             ;   in Loop: Header=BB354_16 Depth=1
	v_bfrev_b32_e32 v54, 1
	s_mov_b32 s22, exec_lo
	v_cmpx_ne_u16_e32 0x80, v7
	s_cbranch_execz .LBB354_1378
; %bb.1373:                             ;   in Loop: Header=BB354_16 Depth=1
	v_and_b32_e32 v17, 0xffff, v7
	v_mov_b32_e32 v54, 0x7fc02000
	s_mov_b32 s23, exec_lo
	s_delay_alu instid0(VALU_DEP_2) | instskip(NEXT) | instid1(VALU_DEP_1)
	v_and_b32_e32 v55, 0x7f, v17
	v_cmpx_ne_u32_e32 0x7f, v55
	s_cbranch_execz .LBB354_1377
; %bb.1374:                             ;   in Loop: Header=BB354_16 Depth=1
	v_and_b32_e32 v7, 7, v17
	v_mov_b32_e32 v36, v8
	v_lshrrev_b32_e32 v23, 3, v55
	s_mov_b32 s24, exec_lo
	s_delay_alu instid0(VALU_DEP_3)
	v_mov_b32_e32 v35, v7
	v_cmpx_gt_u32_e32 8, v55
; %bb.1375:                             ;   in Loop: Header=BB354_16 Depth=1
	v_clz_i32_u32_e32 v23, v7
	s_delay_alu instid0(VALU_DEP_1) | instskip(NEXT) | instid1(VALU_DEP_1)
	v_min_u32_e32 v23, 32, v23
	v_subrev_nc_u32_e32 v35, 28, v23
	v_sub_nc_u32_e32 v23, 29, v23
	s_delay_alu instid0(VALU_DEP_2) | instskip(NEXT) | instid1(VALU_DEP_1)
	v_lshlrev_b64 v[35:36], v35, v[7:8]
	v_and_b32_e32 v35, 7, v35
; %bb.1376:                             ;   in Loop: Header=BB354_16 Depth=1
	s_or_b32 exec_lo, exec_lo, s24
	v_lshlrev_b32_e32 v7, 8, v17
	v_lshl_add_u32 v17, v23, 10, 0x2000
	s_delay_alu instid0(VALU_DEP_1) | instskip(NEXT) | instid1(VALU_DEP_1)
	v_and_or_b32 v7, 0x8000, v7, v17
	v_lshl_or_b32 v7, v35, 7, v7
	s_delay_alu instid0(VALU_DEP_1)
	v_cvt_f32_f16_e32 v54, v7
.LBB354_1377:                           ;   in Loop: Header=BB354_16 Depth=1
	s_or_b32 exec_lo, exec_lo, s23
.LBB354_1378:                           ;   in Loop: Header=BB354_16 Depth=1
	s_delay_alu instid0(SALU_CYCLE_1)
	s_or_b32 exec_lo, exec_lo, s22
.LBB354_1379:                           ;   in Loop: Header=BB354_16 Depth=1
	s_delay_alu instid0(SALU_CYCLE_1) | instskip(SKIP_3) | instid1(VALU_DEP_2)
	s_or_b32 exec_lo, exec_lo, s21
	v_lshrrev_b32_e32 v17, 16, v33
	v_mov_b32_e32 v55, 0
	s_mov_b32 s21, exec_lo
	v_dual_mov_b32 v64, 0 :: v_dual_and_b32 v7, 0xff, v17
	s_delay_alu instid0(VALU_DEP_1)
	v_cmpx_ne_u16_e32 0, v7
	s_cbranch_execz .LBB354_1387
; %bb.1380:                             ;   in Loop: Header=BB354_16 Depth=1
	v_bfrev_b32_e32 v55, 1
	s_mov_b32 s22, exec_lo
	v_cmpx_ne_u16_e32 0x80, v7
	s_cbranch_execz .LBB354_1386
; %bb.1381:                             ;   in Loop: Header=BB354_16 Depth=1
	v_bfe_u32 v70, v33, 16, 7
	v_mov_b32_e32 v55, 0x7fc02000
	s_mov_b32 s23, exec_lo
	s_delay_alu instid0(VALU_DEP_2)
	v_cmpx_ne_u32_e32 0x7f, v70
	s_cbranch_execz .LBB354_1385
; %bb.1382:                             ;   in Loop: Header=BB354_16 Depth=1
	v_and_b32_e32 v7, 7, v17
	v_mov_b32_e32 v36, v8
	v_lshrrev_b32_e32 v23, 3, v70
	s_mov_b32 s24, exec_lo
	s_delay_alu instid0(VALU_DEP_3)
	v_mov_b32_e32 v35, v7
	v_cmpx_gt_u32_e32 8, v70
; %bb.1383:                             ;   in Loop: Header=BB354_16 Depth=1
	v_clz_i32_u32_e32 v23, v7
	s_delay_alu instid0(VALU_DEP_1) | instskip(NEXT) | instid1(VALU_DEP_1)
	v_min_u32_e32 v23, 32, v23
	v_subrev_nc_u32_e32 v35, 28, v23
	v_sub_nc_u32_e32 v23, 29, v23
	s_delay_alu instid0(VALU_DEP_2) | instskip(NEXT) | instid1(VALU_DEP_1)
	v_lshlrev_b64 v[35:36], v35, v[7:8]
	v_and_b32_e32 v35, 7, v35
; %bb.1384:                             ;   in Loop: Header=BB354_16 Depth=1
	s_or_b32 exec_lo, exec_lo, s24
	v_lshlrev_b32_e32 v7, 8, v17
	v_lshl_add_u32 v17, v23, 10, 0x2000
	s_delay_alu instid0(VALU_DEP_1) | instskip(NEXT) | instid1(VALU_DEP_1)
	v_and_or_b32 v7, 0x8000, v7, v17
	v_lshl_or_b32 v7, v35, 7, v7
	s_delay_alu instid0(VALU_DEP_1)
	v_cvt_f32_f16_e32 v55, v7
.LBB354_1385:                           ;   in Loop: Header=BB354_16 Depth=1
	s_or_b32 exec_lo, exec_lo, s23
.LBB354_1386:                           ;   in Loop: Header=BB354_16 Depth=1
	s_delay_alu instid0(SALU_CYCLE_1)
	s_or_b32 exec_lo, exec_lo, s22
.LBB354_1387:                           ;   in Loop: Header=BB354_16 Depth=1
	s_delay_alu instid0(SALU_CYCLE_1) | instskip(NEXT) | instid1(SALU_CYCLE_1)
	s_or_b32 exec_lo, exec_lo, s21
	s_mov_b32 s21, exec_lo
	v_cmpx_lt_u32_e32 0xffffff, v33
	s_cbranch_execz .LBB354_1395
; %bb.1388:                             ;   in Loop: Header=BB354_16 Depth=1
	v_lshrrev_b32_e32 v17, 24, v33
	v_bfrev_b32_e32 v64, 1
	s_mov_b32 s22, exec_lo
	s_delay_alu instid0(VALU_DEP_2)
	v_cmpx_ne_u32_e32 0x80, v17
	s_cbranch_execz .LBB354_1394
; %bb.1389:                             ;   in Loop: Header=BB354_16 Depth=1
	v_and_b32_e32 v70, 0x7f, v17
	v_mov_b32_e32 v64, 0x7fc02000
	s_mov_b32 s23, exec_lo
	s_delay_alu instid0(VALU_DEP_2)
	v_cmpx_ne_u32_e32 0x7f, v70
	s_cbranch_execz .LBB354_1393
; %bb.1390:                             ;   in Loop: Header=BB354_16 Depth=1
	v_and_b32_e32 v7, 7, v17
	v_mov_b32_e32 v36, v8
	v_lshrrev_b32_e32 v23, 3, v70
	s_mov_b32 s24, exec_lo
	s_delay_alu instid0(VALU_DEP_3)
	v_mov_b32_e32 v35, v7
	v_cmpx_gt_u32_e32 8, v70
; %bb.1391:                             ;   in Loop: Header=BB354_16 Depth=1
	v_clz_i32_u32_e32 v23, v7
	s_delay_alu instid0(VALU_DEP_1) | instskip(NEXT) | instid1(VALU_DEP_1)
	v_min_u32_e32 v23, 32, v23
	v_subrev_nc_u32_e32 v35, 28, v23
	v_sub_nc_u32_e32 v23, 29, v23
	s_delay_alu instid0(VALU_DEP_2) | instskip(NEXT) | instid1(VALU_DEP_1)
	v_lshlrev_b64 v[35:36], v35, v[7:8]
	v_and_b32_e32 v35, 7, v35
; %bb.1392:                             ;   in Loop: Header=BB354_16 Depth=1
	s_or_b32 exec_lo, exec_lo, s24
	v_lshlrev_b32_e32 v7, 8, v17
	v_lshl_add_u32 v17, v23, 10, 0x2000
	s_delay_alu instid0(VALU_DEP_1) | instskip(NEXT) | instid1(VALU_DEP_1)
	v_and_or_b32 v7, 0x8000, v7, v17
	v_lshl_or_b32 v7, v35, 7, v7
	s_delay_alu instid0(VALU_DEP_1)
	v_cvt_f32_f16_e32 v64, v7
.LBB354_1393:                           ;   in Loop: Header=BB354_16 Depth=1
	s_or_b32 exec_lo, exec_lo, s23
.LBB354_1394:                           ;   in Loop: Header=BB354_16 Depth=1
	s_delay_alu instid0(SALU_CYCLE_1)
	s_or_b32 exec_lo, exec_lo, s22
.LBB354_1395:                           ;   in Loop: Header=BB354_16 Depth=1
	s_delay_alu instid0(SALU_CYCLE_1) | instskip(SKIP_3) | instid1(VALU_DEP_2)
	s_or_b32 exec_lo, exec_lo, s21
	v_dual_mov_b32 v80, 0 :: v_dual_and_b32 v17, 0xff, v34
	v_dual_mov_b32 v7, v34 :: v_dual_mov_b32 v70, 0
	s_mov_b32 s21, exec_lo
	v_cmpx_ne_u16_e32 0, v17
	s_cbranch_execz .LBB354_1403
; %bb.1396:                             ;   in Loop: Header=BB354_16 Depth=1
	v_bfrev_b32_e32 v70, 1
	s_mov_b32 s22, exec_lo
	v_cmpx_ne_u16_e32 0x80, v17
	s_cbranch_execz .LBB354_1402
; %bb.1397:                             ;   in Loop: Header=BB354_16 Depth=1
	v_and_b32_e32 v23, 0x7f, v34
	v_mov_b32_e32 v70, 0x7fc02000
	s_mov_b32 s23, exec_lo
	s_delay_alu instid0(VALU_DEP_2)
	v_cmpx_ne_u32_e32 0x7f, v23
	s_cbranch_execz .LBB354_1401
; %bb.1398:                             ;   in Loop: Header=BB354_16 Depth=1
	v_dual_mov_b32 v36, v8 :: v_dual_mov_b32 v35, v7
	v_lshrrev_b32_e32 v17, 3, v23
	s_mov_b32 s24, exec_lo
	v_cmpx_gt_u32_e32 8, v23
; %bb.1399:                             ;   in Loop: Header=BB354_16 Depth=1
	v_and_b32_e32 v17, 7, v34
	s_delay_alu instid0(VALU_DEP_1) | instskip(NEXT) | instid1(VALU_DEP_1)
	v_clz_i32_u32_e32 v17, v17
	v_min_u32_e32 v17, 32, v17
	s_delay_alu instid0(VALU_DEP_1) | instskip(SKIP_1) | instid1(VALU_DEP_2)
	v_subrev_nc_u32_e32 v23, 28, v17
	v_sub_nc_u32_e32 v17, 29, v17
	v_lshlrev_b64 v[35:36], v23, v[7:8]
; %bb.1400:                             ;   in Loop: Header=BB354_16 Depth=1
	s_or_b32 exec_lo, exec_lo, s24
	v_lshlrev_b32_e32 v23, 8, v34
	s_delay_alu instid0(VALU_DEP_3) | instskip(NEXT) | instid1(VALU_DEP_3)
	v_lshl_add_u32 v17, v17, 10, 0x2000
	v_lshlrev_b32_e32 v35, 7, v35
	s_delay_alu instid0(VALU_DEP_2) | instskip(NEXT) | instid1(VALU_DEP_1)
	v_and_or_b32 v17, 0x8000, v23, v17
	v_and_or_b32 v17, 0x380, v35, v17
	s_delay_alu instid0(VALU_DEP_1)
	v_cvt_f32_f16_e32 v70, v17
.LBB354_1401:                           ;   in Loop: Header=BB354_16 Depth=1
	s_or_b32 exec_lo, exec_lo, s23
.LBB354_1402:                           ;   in Loop: Header=BB354_16 Depth=1
	s_delay_alu instid0(SALU_CYCLE_1)
	s_or_b32 exec_lo, exec_lo, s22
.LBB354_1403:                           ;   in Loop: Header=BB354_16 Depth=1
	s_delay_alu instid0(SALU_CYCLE_1) | instskip(SKIP_2) | instid1(VALU_DEP_1)
	s_or_b32 exec_lo, exec_lo, s21
	v_lshrrev_b16 v7, 8, v7
	s_mov_b32 s21, exec_lo
	v_cmpx_ne_u16_e32 0, v7
	s_cbranch_execz .LBB354_1411
; %bb.1404:                             ;   in Loop: Header=BB354_16 Depth=1
	v_bfrev_b32_e32 v80, 1
	s_mov_b32 s22, exec_lo
	v_cmpx_ne_u16_e32 0x80, v7
	s_cbranch_execz .LBB354_1410
; %bb.1405:                             ;   in Loop: Header=BB354_16 Depth=1
	v_and_b32_e32 v17, 0xffff, v7
	v_mov_b32_e32 v80, 0x7fc02000
	s_mov_b32 s23, exec_lo
	s_delay_alu instid0(VALU_DEP_2) | instskip(NEXT) | instid1(VALU_DEP_1)
	v_and_b32_e32 v83, 0x7f, v17
	v_cmpx_ne_u32_e32 0x7f, v83
	s_cbranch_execz .LBB354_1409
; %bb.1406:                             ;   in Loop: Header=BB354_16 Depth=1
	v_and_b32_e32 v7, 7, v17
	v_mov_b32_e32 v36, v8
	v_lshrrev_b32_e32 v23, 3, v83
	s_mov_b32 s24, exec_lo
	s_delay_alu instid0(VALU_DEP_3)
	v_mov_b32_e32 v35, v7
	v_cmpx_gt_u32_e32 8, v83
; %bb.1407:                             ;   in Loop: Header=BB354_16 Depth=1
	v_clz_i32_u32_e32 v23, v7
	s_delay_alu instid0(VALU_DEP_1) | instskip(NEXT) | instid1(VALU_DEP_1)
	v_min_u32_e32 v23, 32, v23
	v_subrev_nc_u32_e32 v35, 28, v23
	v_sub_nc_u32_e32 v23, 29, v23
	s_delay_alu instid0(VALU_DEP_2) | instskip(NEXT) | instid1(VALU_DEP_1)
	v_lshlrev_b64 v[35:36], v35, v[7:8]
	v_and_b32_e32 v35, 7, v35
; %bb.1408:                             ;   in Loop: Header=BB354_16 Depth=1
	s_or_b32 exec_lo, exec_lo, s24
	v_lshlrev_b32_e32 v7, 8, v17
	v_lshl_add_u32 v17, v23, 10, 0x2000
	s_delay_alu instid0(VALU_DEP_1) | instskip(NEXT) | instid1(VALU_DEP_1)
	v_and_or_b32 v7, 0x8000, v7, v17
	v_lshl_or_b32 v7, v35, 7, v7
	s_delay_alu instid0(VALU_DEP_1)
	v_cvt_f32_f16_e32 v80, v7
.LBB354_1409:                           ;   in Loop: Header=BB354_16 Depth=1
	s_or_b32 exec_lo, exec_lo, s23
.LBB354_1410:                           ;   in Loop: Header=BB354_16 Depth=1
	s_delay_alu instid0(SALU_CYCLE_1)
	s_or_b32 exec_lo, exec_lo, s22
.LBB354_1411:                           ;   in Loop: Header=BB354_16 Depth=1
	s_delay_alu instid0(SALU_CYCLE_1) | instskip(SKIP_3) | instid1(VALU_DEP_2)
	s_or_b32 exec_lo, exec_lo, s21
	v_lshrrev_b32_e32 v17, 16, v34
	v_mov_b32_e32 v117, 0
	s_mov_b32 s21, exec_lo
	v_dual_mov_b32 v118, 0 :: v_dual_and_b32 v7, 0xff, v17
	s_delay_alu instid0(VALU_DEP_1)
	v_cmpx_ne_u16_e32 0, v7
	s_cbranch_execz .LBB354_1419
; %bb.1412:                             ;   in Loop: Header=BB354_16 Depth=1
	v_bfrev_b32_e32 v118, 1
	s_mov_b32 s22, exec_lo
	v_cmpx_ne_u16_e32 0x80, v7
	s_cbranch_execz .LBB354_1418
; %bb.1413:                             ;   in Loop: Header=BB354_16 Depth=1
	v_bfe_u32 v83, v34, 16, 7
	v_mov_b32_e32 v118, 0x7fc02000
	s_mov_b32 s23, exec_lo
	s_delay_alu instid0(VALU_DEP_2)
	v_cmpx_ne_u32_e32 0x7f, v83
	s_cbranch_execz .LBB354_1417
; %bb.1414:                             ;   in Loop: Header=BB354_16 Depth=1
	v_and_b32_e32 v7, 7, v17
	v_mov_b32_e32 v36, v8
	v_lshrrev_b32_e32 v23, 3, v83
	s_mov_b32 s24, exec_lo
	s_delay_alu instid0(VALU_DEP_3)
	v_mov_b32_e32 v35, v7
	v_cmpx_gt_u32_e32 8, v83
; %bb.1415:                             ;   in Loop: Header=BB354_16 Depth=1
	v_clz_i32_u32_e32 v23, v7
	s_delay_alu instid0(VALU_DEP_1) | instskip(NEXT) | instid1(VALU_DEP_1)
	v_min_u32_e32 v23, 32, v23
	v_subrev_nc_u32_e32 v35, 28, v23
	v_sub_nc_u32_e32 v23, 29, v23
	s_delay_alu instid0(VALU_DEP_2) | instskip(NEXT) | instid1(VALU_DEP_1)
	v_lshlrev_b64 v[35:36], v35, v[7:8]
	v_and_b32_e32 v35, 7, v35
; %bb.1416:                             ;   in Loop: Header=BB354_16 Depth=1
	s_or_b32 exec_lo, exec_lo, s24
	v_lshlrev_b32_e32 v7, 8, v17
	v_lshl_add_u32 v17, v23, 10, 0x2000
	s_delay_alu instid0(VALU_DEP_1) | instskip(NEXT) | instid1(VALU_DEP_1)
	v_and_or_b32 v7, 0x8000, v7, v17
	v_lshl_or_b32 v7, v35, 7, v7
	s_delay_alu instid0(VALU_DEP_1)
	v_cvt_f32_f16_e32 v118, v7
.LBB354_1417:                           ;   in Loop: Header=BB354_16 Depth=1
	s_or_b32 exec_lo, exec_lo, s23
.LBB354_1418:                           ;   in Loop: Header=BB354_16 Depth=1
	s_delay_alu instid0(SALU_CYCLE_1)
	s_or_b32 exec_lo, exec_lo, s22
.LBB354_1419:                           ;   in Loop: Header=BB354_16 Depth=1
	s_delay_alu instid0(SALU_CYCLE_1) | instskip(NEXT) | instid1(SALU_CYCLE_1)
	s_or_b32 exec_lo, exec_lo, s21
	s_mov_b32 s21, exec_lo
	v_cmpx_lt_u64_e64 s[8:9], v[33:34]
	s_cbranch_execz .LBB354_1427
; %bb.1420:                             ;   in Loop: Header=BB354_16 Depth=1
	v_lshrrev_b32_e32 v17, 24, v34
	v_bfrev_b32_e32 v117, 1
	s_mov_b32 s22, exec_lo
	s_delay_alu instid0(VALU_DEP_2)
	v_cmpx_ne_u32_e32 0x80, v17
	s_cbranch_execz .LBB354_1426
; %bb.1421:                             ;   in Loop: Header=BB354_16 Depth=1
	v_and_b32_e32 v35, 0x7f, v17
	v_mov_b32_e32 v117, 0x7fc02000
	s_mov_b32 s23, exec_lo
	s_delay_alu instid0(VALU_DEP_2)
	v_cmpx_ne_u32_e32 0x7f, v35
	s_cbranch_execz .LBB354_1425
; %bb.1422:                             ;   in Loop: Header=BB354_16 Depth=1
	v_and_b32_e32 v7, 7, v17
	v_mov_b32_e32 v34, v8
	v_lshrrev_b32_e32 v23, 3, v35
	s_mov_b32 s24, exec_lo
	s_delay_alu instid0(VALU_DEP_3)
	v_mov_b32_e32 v33, v7
	v_cmpx_gt_u32_e32 8, v35
; %bb.1423:                             ;   in Loop: Header=BB354_16 Depth=1
	v_clz_i32_u32_e32 v23, v7
	s_delay_alu instid0(VALU_DEP_1) | instskip(NEXT) | instid1(VALU_DEP_1)
	v_min_u32_e32 v23, 32, v23
	v_subrev_nc_u32_e32 v33, 28, v23
	v_sub_nc_u32_e32 v23, 29, v23
	s_delay_alu instid0(VALU_DEP_2) | instskip(NEXT) | instid1(VALU_DEP_1)
	v_lshlrev_b64 v[33:34], v33, v[7:8]
	v_and_b32_e32 v33, 7, v33
; %bb.1424:                             ;   in Loop: Header=BB354_16 Depth=1
	s_or_b32 exec_lo, exec_lo, s24
	v_lshlrev_b32_e32 v7, 8, v17
	v_lshl_add_u32 v17, v23, 10, 0x2000
	s_delay_alu instid0(VALU_DEP_1) | instskip(NEXT) | instid1(VALU_DEP_1)
	v_and_or_b32 v7, 0x8000, v7, v17
	v_lshl_or_b32 v7, v33, 7, v7
	s_delay_alu instid0(VALU_DEP_1)
	v_cvt_f32_f16_e32 v117, v7
.LBB354_1425:                           ;   in Loop: Header=BB354_16 Depth=1
	s_or_b32 exec_lo, exec_lo, s23
.LBB354_1426:                           ;   in Loop: Header=BB354_16 Depth=1
	s_delay_alu instid0(SALU_CYCLE_1)
	s_or_b32 exec_lo, exec_lo, s22
.LBB354_1427:                           ;   in Loop: Header=BB354_16 Depth=1
	s_delay_alu instid0(SALU_CYCLE_1)
	s_or_b32 exec_lo, exec_lo, s21
	flat_load_b64 v[33:34], v[31:32] offset:1536
	v_mov_b32_e32 v119, 0
	s_mov_b32 s21, exec_lo
	s_waitcnt vmcnt(0) lgkmcnt(0)
	v_dual_mov_b32 v128, 0 :: v_dual_and_b32 v7, 0xff, v33
	s_delay_alu instid0(VALU_DEP_1)
	v_cmpx_ne_u16_e32 0, v7
	s_cbranch_execz .LBB354_1435
; %bb.1428:                             ;   in Loop: Header=BB354_16 Depth=1
	v_bfrev_b32_e32 v119, 1
	s_mov_b32 s22, exec_lo
	v_cmpx_ne_u16_e32 0x80, v7
	s_cbranch_execz .LBB354_1434
; %bb.1429:                             ;   in Loop: Header=BB354_16 Depth=1
	v_and_b32_e32 v17, 0x7f, v33
	v_mov_b32_e32 v119, 0x7fc02000
	s_mov_b32 s23, exec_lo
	s_delay_alu instid0(VALU_DEP_2)
	v_cmpx_ne_u32_e32 0x7f, v17
	s_cbranch_execz .LBB354_1433
; %bb.1430:                             ;   in Loop: Header=BB354_16 Depth=1
	v_lshrrev_b32_e32 v7, 3, v17
	v_dual_mov_b32 v36, v34 :: v_dual_mov_b32 v35, v33
	s_mov_b32 s24, exec_lo
	v_cmpx_gt_u32_e32 8, v17
; %bb.1431:                             ;   in Loop: Header=BB354_16 Depth=1
	v_and_b32_e32 v7, 7, v33
	s_delay_alu instid0(VALU_DEP_1) | instskip(NEXT) | instid1(VALU_DEP_1)
	v_clz_i32_u32_e32 v7, v7
	v_min_u32_e32 v7, 32, v7
	s_delay_alu instid0(VALU_DEP_1) | instskip(SKIP_1) | instid1(VALU_DEP_2)
	v_subrev_nc_u32_e32 v17, 28, v7
	v_sub_nc_u32_e32 v7, 29, v7
	v_lshlrev_b64 v[35:36], v17, v[33:34]
; %bb.1432:                             ;   in Loop: Header=BB354_16 Depth=1
	s_or_b32 exec_lo, exec_lo, s24
	v_lshlrev_b32_e32 v17, 8, v33
	s_delay_alu instid0(VALU_DEP_3) | instskip(NEXT) | instid1(VALU_DEP_3)
	v_lshl_add_u32 v7, v7, 10, 0x2000
	v_lshlrev_b32_e32 v23, 7, v35
	s_delay_alu instid0(VALU_DEP_2) | instskip(NEXT) | instid1(VALU_DEP_1)
	v_and_or_b32 v7, 0x8000, v17, v7
	v_and_or_b32 v7, 0x380, v23, v7
	s_delay_alu instid0(VALU_DEP_1)
	v_cvt_f32_f16_e32 v119, v7
.LBB354_1433:                           ;   in Loop: Header=BB354_16 Depth=1
	s_or_b32 exec_lo, exec_lo, s23
.LBB354_1434:                           ;   in Loop: Header=BB354_16 Depth=1
	s_delay_alu instid0(SALU_CYCLE_1)
	s_or_b32 exec_lo, exec_lo, s22
.LBB354_1435:                           ;   in Loop: Header=BB354_16 Depth=1
	s_delay_alu instid0(SALU_CYCLE_1) | instskip(SKIP_2) | instid1(VALU_DEP_1)
	s_or_b32 exec_lo, exec_lo, s21
	v_lshrrev_b16 v7, 8, v33
	s_mov_b32 s21, exec_lo
	v_cmpx_ne_u16_e32 0, v7
	s_cbranch_execz .LBB354_1443
; %bb.1436:                             ;   in Loop: Header=BB354_16 Depth=1
	v_bfrev_b32_e32 v128, 1
	s_mov_b32 s22, exec_lo
	v_cmpx_ne_u16_e32 0x80, v7
	s_cbranch_execz .LBB354_1442
; %bb.1437:                             ;   in Loop: Header=BB354_16 Depth=1
	v_and_b32_e32 v17, 0xffff, v7
	v_mov_b32_e32 v128, 0x7fc02000
	s_mov_b32 s23, exec_lo
	s_delay_alu instid0(VALU_DEP_2) | instskip(NEXT) | instid1(VALU_DEP_1)
	v_and_b32_e32 v83, 0x7f, v17
	v_cmpx_ne_u32_e32 0x7f, v83
	s_cbranch_execz .LBB354_1441
; %bb.1438:                             ;   in Loop: Header=BB354_16 Depth=1
	v_and_b32_e32 v7, 7, v17
	v_mov_b32_e32 v36, v8
	v_lshrrev_b32_e32 v23, 3, v83
	s_mov_b32 s24, exec_lo
	s_delay_alu instid0(VALU_DEP_3)
	v_mov_b32_e32 v35, v7
	v_cmpx_gt_u32_e32 8, v83
; %bb.1439:                             ;   in Loop: Header=BB354_16 Depth=1
	v_clz_i32_u32_e32 v23, v7
	s_delay_alu instid0(VALU_DEP_1) | instskip(NEXT) | instid1(VALU_DEP_1)
	v_min_u32_e32 v23, 32, v23
	v_subrev_nc_u32_e32 v35, 28, v23
	v_sub_nc_u32_e32 v23, 29, v23
	s_delay_alu instid0(VALU_DEP_2) | instskip(NEXT) | instid1(VALU_DEP_1)
	v_lshlrev_b64 v[35:36], v35, v[7:8]
	v_and_b32_e32 v35, 7, v35
; %bb.1440:                             ;   in Loop: Header=BB354_16 Depth=1
	s_or_b32 exec_lo, exec_lo, s24
	v_lshlrev_b32_e32 v7, 8, v17
	v_lshl_add_u32 v17, v23, 10, 0x2000
	s_delay_alu instid0(VALU_DEP_1) | instskip(NEXT) | instid1(VALU_DEP_1)
	v_and_or_b32 v7, 0x8000, v7, v17
	v_lshl_or_b32 v7, v35, 7, v7
	s_delay_alu instid0(VALU_DEP_1)
	v_cvt_f32_f16_e64 v128, v7
.LBB354_1441:                           ;   in Loop: Header=BB354_16 Depth=1
	s_or_b32 exec_lo, exec_lo, s23
.LBB354_1442:                           ;   in Loop: Header=BB354_16 Depth=1
	s_delay_alu instid0(SALU_CYCLE_1)
	s_or_b32 exec_lo, exec_lo, s22
.LBB354_1443:                           ;   in Loop: Header=BB354_16 Depth=1
	s_delay_alu instid0(SALU_CYCLE_1) | instskip(SKIP_4) | instid1(VALU_DEP_3)
	s_or_b32 exec_lo, exec_lo, s21
	v_lshrrev_b32_e32 v17, 16, v33
	v_mov_b32_e32 v129, 0
	v_mov_b32_e32 v83, 0
	s_mov_b32 s21, exec_lo
	v_and_b32_e32 v7, 0xff, v17
	s_delay_alu instid0(VALU_DEP_1)
	v_cmpx_ne_u16_e32 0, v7
	s_cbranch_execz .LBB354_1451
; %bb.1444:                             ;   in Loop: Header=BB354_16 Depth=1
	v_bfrev_b32_e32 v83, 1
	s_mov_b32 s22, exec_lo
	v_cmpx_ne_u16_e32 0x80, v7
	s_cbranch_execz .LBB354_1450
; %bb.1445:                             ;   in Loop: Header=BB354_16 Depth=1
	v_bfe_u32 v84, v33, 16, 7
	v_mov_b32_e32 v83, 0x7fc02000
	s_mov_b32 s23, exec_lo
	s_delay_alu instid0(VALU_DEP_2)
	v_cmpx_ne_u32_e32 0x7f, v84
	s_cbranch_execz .LBB354_1449
; %bb.1446:                             ;   in Loop: Header=BB354_16 Depth=1
	v_and_b32_e32 v7, 7, v17
	v_mov_b32_e32 v36, v8
	v_lshrrev_b32_e32 v23, 3, v84
	s_mov_b32 s24, exec_lo
	s_delay_alu instid0(VALU_DEP_3)
	v_mov_b32_e32 v35, v7
	v_cmpx_gt_u32_e32 8, v84
; %bb.1447:                             ;   in Loop: Header=BB354_16 Depth=1
	v_clz_i32_u32_e32 v23, v7
	s_delay_alu instid0(VALU_DEP_1) | instskip(NEXT) | instid1(VALU_DEP_1)
	v_min_u32_e32 v23, 32, v23
	v_subrev_nc_u32_e32 v35, 28, v23
	v_sub_nc_u32_e32 v23, 29, v23
	s_delay_alu instid0(VALU_DEP_2) | instskip(NEXT) | instid1(VALU_DEP_1)
	v_lshlrev_b64 v[35:36], v35, v[7:8]
	v_and_b32_e32 v35, 7, v35
; %bb.1448:                             ;   in Loop: Header=BB354_16 Depth=1
	s_or_b32 exec_lo, exec_lo, s24
	v_lshlrev_b32_e32 v7, 8, v17
	v_lshl_add_u32 v17, v23, 10, 0x2000
	s_delay_alu instid0(VALU_DEP_1) | instskip(NEXT) | instid1(VALU_DEP_1)
	v_and_or_b32 v7, 0x8000, v7, v17
	v_lshl_or_b32 v7, v35, 7, v7
	s_delay_alu instid0(VALU_DEP_1)
	v_cvt_f32_f16_e32 v83, v7
.LBB354_1449:                           ;   in Loop: Header=BB354_16 Depth=1
	s_or_b32 exec_lo, exec_lo, s23
.LBB354_1450:                           ;   in Loop: Header=BB354_16 Depth=1
	s_delay_alu instid0(SALU_CYCLE_1)
	s_or_b32 exec_lo, exec_lo, s22
.LBB354_1451:                           ;   in Loop: Header=BB354_16 Depth=1
	s_delay_alu instid0(SALU_CYCLE_1) | instskip(NEXT) | instid1(SALU_CYCLE_1)
	s_or_b32 exec_lo, exec_lo, s21
	s_mov_b32 s21, exec_lo
	v_cmpx_lt_u32_e32 0xffffff, v33
	s_cbranch_execz .LBB354_1459
; %bb.1452:                             ;   in Loop: Header=BB354_16 Depth=1
	v_lshrrev_b32_e32 v17, 24, v33
	v_bfrev_b32_e32 v129, 1
	s_mov_b32 s22, exec_lo
	s_delay_alu instid0(VALU_DEP_2)
	v_cmpx_ne_u32_e32 0x80, v17
	s_cbranch_execz .LBB354_1458
; %bb.1453:                             ;   in Loop: Header=BB354_16 Depth=1
	v_and_b32_e32 v84, 0x7f, v17
	v_mov_b32_e32 v129, 0x7fc02000
	s_mov_b32 s23, exec_lo
	s_delay_alu instid0(VALU_DEP_2)
	v_cmpx_ne_u32_e32 0x7f, v84
	s_cbranch_execz .LBB354_1457
; %bb.1454:                             ;   in Loop: Header=BB354_16 Depth=1
	v_and_b32_e32 v7, 7, v17
	v_mov_b32_e32 v36, v8
	v_lshrrev_b32_e32 v23, 3, v84
	s_mov_b32 s24, exec_lo
	s_delay_alu instid0(VALU_DEP_3)
	v_mov_b32_e32 v35, v7
	v_cmpx_gt_u32_e32 8, v84
; %bb.1455:                             ;   in Loop: Header=BB354_16 Depth=1
	v_clz_i32_u32_e32 v23, v7
	s_delay_alu instid0(VALU_DEP_1) | instskip(NEXT) | instid1(VALU_DEP_1)
	v_min_u32_e32 v23, 32, v23
	v_subrev_nc_u32_e32 v35, 28, v23
	v_sub_nc_u32_e32 v23, 29, v23
	s_delay_alu instid0(VALU_DEP_2) | instskip(NEXT) | instid1(VALU_DEP_1)
	v_lshlrev_b64 v[35:36], v35, v[7:8]
	v_and_b32_e32 v35, 7, v35
; %bb.1456:                             ;   in Loop: Header=BB354_16 Depth=1
	s_or_b32 exec_lo, exec_lo, s24
	v_lshlrev_b32_e32 v7, 8, v17
	v_lshl_add_u32 v17, v23, 10, 0x2000
	s_delay_alu instid0(VALU_DEP_1) | instskip(NEXT) | instid1(VALU_DEP_1)
	v_and_or_b32 v7, 0x8000, v7, v17
	v_lshl_or_b32 v7, v35, 7, v7
	s_delay_alu instid0(VALU_DEP_1)
	v_cvt_f32_f16_e64 v129, v7
.LBB354_1457:                           ;   in Loop: Header=BB354_16 Depth=1
	s_or_b32 exec_lo, exec_lo, s23
.LBB354_1458:                           ;   in Loop: Header=BB354_16 Depth=1
	s_delay_alu instid0(SALU_CYCLE_1)
	s_or_b32 exec_lo, exec_lo, s22
.LBB354_1459:                           ;   in Loop: Header=BB354_16 Depth=1
	s_delay_alu instid0(SALU_CYCLE_1) | instskip(SKIP_4) | instid1(VALU_DEP_3)
	s_or_b32 exec_lo, exec_lo, s21
	v_dual_mov_b32 v84, 0 :: v_dual_and_b32 v17, 0xff, v34
	v_mov_b32_e32 v7, v34
	v_mov_b32_e32 v85, 0
	s_mov_b32 s21, exec_lo
	v_cmpx_ne_u16_e32 0, v17
	s_cbranch_execz .LBB354_1467
; %bb.1460:                             ;   in Loop: Header=BB354_16 Depth=1
	v_bfrev_b32_e32 v84, 1
	s_mov_b32 s22, exec_lo
	v_cmpx_ne_u16_e32 0x80, v17
	s_cbranch_execz .LBB354_1466
; %bb.1461:                             ;   in Loop: Header=BB354_16 Depth=1
	v_and_b32_e32 v23, 0x7f, v34
	v_mov_b32_e32 v84, 0x7fc02000
	s_mov_b32 s23, exec_lo
	s_delay_alu instid0(VALU_DEP_2)
	v_cmpx_ne_u32_e32 0x7f, v23
	s_cbranch_execz .LBB354_1465
; %bb.1462:                             ;   in Loop: Header=BB354_16 Depth=1
	v_dual_mov_b32 v36, v8 :: v_dual_mov_b32 v35, v7
	v_lshrrev_b32_e32 v17, 3, v23
	s_mov_b32 s24, exec_lo
	v_cmpx_gt_u32_e32 8, v23
; %bb.1463:                             ;   in Loop: Header=BB354_16 Depth=1
	v_and_b32_e32 v17, 7, v34
	s_delay_alu instid0(VALU_DEP_1) | instskip(NEXT) | instid1(VALU_DEP_1)
	v_clz_i32_u32_e32 v17, v17
	v_min_u32_e32 v17, 32, v17
	s_delay_alu instid0(VALU_DEP_1) | instskip(SKIP_1) | instid1(VALU_DEP_2)
	v_subrev_nc_u32_e32 v23, 28, v17
	v_sub_nc_u32_e32 v17, 29, v17
	v_lshlrev_b64 v[35:36], v23, v[7:8]
; %bb.1464:                             ;   in Loop: Header=BB354_16 Depth=1
	s_or_b32 exec_lo, exec_lo, s24
	v_lshlrev_b32_e32 v23, 8, v34
	s_delay_alu instid0(VALU_DEP_3) | instskip(NEXT) | instid1(VALU_DEP_3)
	v_lshl_add_u32 v17, v17, 10, 0x2000
	v_lshlrev_b32_e32 v35, 7, v35
	s_delay_alu instid0(VALU_DEP_2) | instskip(NEXT) | instid1(VALU_DEP_1)
	v_and_or_b32 v17, 0x8000, v23, v17
	v_and_or_b32 v17, 0x380, v35, v17
	s_delay_alu instid0(VALU_DEP_1)
	v_cvt_f32_f16_e32 v84, v17
.LBB354_1465:                           ;   in Loop: Header=BB354_16 Depth=1
	s_or_b32 exec_lo, exec_lo, s23
.LBB354_1466:                           ;   in Loop: Header=BB354_16 Depth=1
	s_delay_alu instid0(SALU_CYCLE_1)
	s_or_b32 exec_lo, exec_lo, s22
.LBB354_1467:                           ;   in Loop: Header=BB354_16 Depth=1
	s_delay_alu instid0(SALU_CYCLE_1) | instskip(SKIP_2) | instid1(VALU_DEP_1)
	s_or_b32 exec_lo, exec_lo, s21
	v_lshrrev_b16 v7, 8, v7
	s_mov_b32 s21, exec_lo
	v_cmpx_ne_u16_e32 0, v7
	s_cbranch_execz .LBB354_1475
; %bb.1468:                             ;   in Loop: Header=BB354_16 Depth=1
	v_bfrev_b32_e32 v85, 1
	s_mov_b32 s22, exec_lo
	v_cmpx_ne_u16_e32 0x80, v7
	s_cbranch_execz .LBB354_1474
; %bb.1469:                             ;   in Loop: Header=BB354_16 Depth=1
	v_and_b32_e32 v17, 0xffff, v7
	v_mov_b32_e32 v85, 0x7fc02000
	s_mov_b32 s23, exec_lo
	s_delay_alu instid0(VALU_DEP_2) | instskip(NEXT) | instid1(VALU_DEP_1)
	v_and_b32_e32 v130, 0x7f, v17
	v_cmpx_ne_u32_e32 0x7f, v130
	s_cbranch_execz .LBB354_1473
; %bb.1470:                             ;   in Loop: Header=BB354_16 Depth=1
	v_and_b32_e32 v7, 7, v17
	v_mov_b32_e32 v36, v8
	v_lshrrev_b32_e32 v23, 3, v130
	s_mov_b32 s24, exec_lo
	s_delay_alu instid0(VALU_DEP_3)
	v_mov_b32_e32 v35, v7
	v_cmpx_gt_u32_e32 8, v130
; %bb.1471:                             ;   in Loop: Header=BB354_16 Depth=1
	v_clz_i32_u32_e32 v23, v7
	s_delay_alu instid0(VALU_DEP_1) | instskip(NEXT) | instid1(VALU_DEP_1)
	v_min_u32_e32 v23, 32, v23
	v_subrev_nc_u32_e32 v35, 28, v23
	v_sub_nc_u32_e32 v23, 29, v23
	s_delay_alu instid0(VALU_DEP_2) | instskip(NEXT) | instid1(VALU_DEP_1)
	v_lshlrev_b64 v[35:36], v35, v[7:8]
	v_and_b32_e32 v35, 7, v35
; %bb.1472:                             ;   in Loop: Header=BB354_16 Depth=1
	s_or_b32 exec_lo, exec_lo, s24
	v_lshlrev_b32_e32 v7, 8, v17
	v_lshl_add_u32 v17, v23, 10, 0x2000
	s_delay_alu instid0(VALU_DEP_1) | instskip(NEXT) | instid1(VALU_DEP_1)
	v_and_or_b32 v7, 0x8000, v7, v17
	v_lshl_or_b32 v7, v35, 7, v7
	s_delay_alu instid0(VALU_DEP_1)
	v_cvt_f32_f16_e32 v85, v7
.LBB354_1473:                           ;   in Loop: Header=BB354_16 Depth=1
	s_or_b32 exec_lo, exec_lo, s23
.LBB354_1474:                           ;   in Loop: Header=BB354_16 Depth=1
	s_delay_alu instid0(SALU_CYCLE_1)
	s_or_b32 exec_lo, exec_lo, s22
.LBB354_1475:                           ;   in Loop: Header=BB354_16 Depth=1
	s_delay_alu instid0(SALU_CYCLE_1) | instskip(SKIP_3) | instid1(VALU_DEP_2)
	s_or_b32 exec_lo, exec_lo, s21
	v_lshrrev_b32_e32 v17, 16, v34
	v_mov_b32_e32 v131, 0
	s_mov_b32 s21, exec_lo
	v_dual_mov_b32 v130, 0 :: v_dual_and_b32 v7, 0xff, v17
	s_delay_alu instid0(VALU_DEP_1)
	v_cmpx_ne_u16_e32 0, v7
	s_cbranch_execz .LBB354_1483
; %bb.1476:                             ;   in Loop: Header=BB354_16 Depth=1
	v_bfrev_b32_e32 v131, 1
	s_mov_b32 s22, exec_lo
	v_cmpx_ne_u16_e32 0x80, v7
	s_cbranch_execz .LBB354_1482
; %bb.1477:                             ;   in Loop: Header=BB354_16 Depth=1
	v_bfe_u32 v132, v34, 16, 7
	v_mov_b32_e32 v131, 0x7fc02000
	s_mov_b32 s23, exec_lo
	s_delay_alu instid0(VALU_DEP_2)
	v_cmpx_ne_u32_e32 0x7f, v132
	s_cbranch_execz .LBB354_1481
; %bb.1478:                             ;   in Loop: Header=BB354_16 Depth=1
	v_and_b32_e32 v7, 7, v17
	v_mov_b32_e32 v36, v8
	v_lshrrev_b32_e32 v23, 3, v132
	s_mov_b32 s24, exec_lo
	s_delay_alu instid0(VALU_DEP_3)
	v_mov_b32_e32 v35, v7
	v_cmpx_gt_u32_e32 8, v132
; %bb.1479:                             ;   in Loop: Header=BB354_16 Depth=1
	v_clz_i32_u32_e32 v23, v7
	s_delay_alu instid0(VALU_DEP_1) | instskip(NEXT) | instid1(VALU_DEP_1)
	v_min_u32_e32 v23, 32, v23
	v_subrev_nc_u32_e32 v35, 28, v23
	v_sub_nc_u32_e32 v23, 29, v23
	s_delay_alu instid0(VALU_DEP_2) | instskip(NEXT) | instid1(VALU_DEP_1)
	v_lshlrev_b64 v[35:36], v35, v[7:8]
	v_and_b32_e32 v35, 7, v35
; %bb.1480:                             ;   in Loop: Header=BB354_16 Depth=1
	s_or_b32 exec_lo, exec_lo, s24
	v_lshlrev_b32_e32 v7, 8, v17
	v_lshl_add_u32 v17, v23, 10, 0x2000
	s_delay_alu instid0(VALU_DEP_1) | instskip(NEXT) | instid1(VALU_DEP_1)
	v_and_or_b32 v7, 0x8000, v7, v17
	v_lshl_or_b32 v7, v35, 7, v7
	s_delay_alu instid0(VALU_DEP_1)
	v_cvt_f32_f16_e64 v131, v7
.LBB354_1481:                           ;   in Loop: Header=BB354_16 Depth=1
	s_or_b32 exec_lo, exec_lo, s23
.LBB354_1482:                           ;   in Loop: Header=BB354_16 Depth=1
	s_delay_alu instid0(SALU_CYCLE_1)
	s_or_b32 exec_lo, exec_lo, s22
.LBB354_1483:                           ;   in Loop: Header=BB354_16 Depth=1
	s_delay_alu instid0(SALU_CYCLE_1) | instskip(NEXT) | instid1(SALU_CYCLE_1)
	s_or_b32 exec_lo, exec_lo, s21
	s_mov_b32 s21, exec_lo
	v_cmpx_lt_u64_e64 s[8:9], v[33:34]
	s_cbranch_execz .LBB354_1491
; %bb.1484:                             ;   in Loop: Header=BB354_16 Depth=1
	v_lshrrev_b32_e32 v17, 24, v34
	v_bfrev_b32_e32 v130, 1
	s_mov_b32 s22, exec_lo
	s_delay_alu instid0(VALU_DEP_2)
	v_cmpx_ne_u32_e32 0x80, v17
	s_cbranch_execz .LBB354_1490
; %bb.1485:                             ;   in Loop: Header=BB354_16 Depth=1
	v_and_b32_e32 v35, 0x7f, v17
	v_mov_b32_e32 v130, 0x7fc02000
	s_mov_b32 s23, exec_lo
	s_delay_alu instid0(VALU_DEP_2)
	v_cmpx_ne_u32_e32 0x7f, v35
	s_cbranch_execz .LBB354_1489
; %bb.1486:                             ;   in Loop: Header=BB354_16 Depth=1
	v_and_b32_e32 v7, 7, v17
	v_mov_b32_e32 v34, v8
	v_lshrrev_b32_e32 v23, 3, v35
	s_mov_b32 s24, exec_lo
	s_delay_alu instid0(VALU_DEP_3)
	v_mov_b32_e32 v33, v7
	v_cmpx_gt_u32_e32 8, v35
; %bb.1487:                             ;   in Loop: Header=BB354_16 Depth=1
	v_clz_i32_u32_e32 v23, v7
	s_delay_alu instid0(VALU_DEP_1) | instskip(NEXT) | instid1(VALU_DEP_1)
	v_min_u32_e32 v23, 32, v23
	v_subrev_nc_u32_e32 v33, 28, v23
	v_sub_nc_u32_e32 v23, 29, v23
	s_delay_alu instid0(VALU_DEP_2) | instskip(NEXT) | instid1(VALU_DEP_1)
	v_lshlrev_b64 v[33:34], v33, v[7:8]
	v_and_b32_e32 v33, 7, v33
; %bb.1488:                             ;   in Loop: Header=BB354_16 Depth=1
	s_or_b32 exec_lo, exec_lo, s24
	v_lshlrev_b32_e32 v7, 8, v17
	v_lshl_add_u32 v17, v23, 10, 0x2000
	s_delay_alu instid0(VALU_DEP_1) | instskip(NEXT) | instid1(VALU_DEP_1)
	v_and_or_b32 v7, 0x8000, v7, v17
	v_lshl_or_b32 v7, v33, 7, v7
	s_delay_alu instid0(VALU_DEP_1)
	v_cvt_f32_f16_e64 v130, v7
.LBB354_1489:                           ;   in Loop: Header=BB354_16 Depth=1
	s_or_b32 exec_lo, exec_lo, s23
.LBB354_1490:                           ;   in Loop: Header=BB354_16 Depth=1
	s_delay_alu instid0(SALU_CYCLE_1)
	s_or_b32 exec_lo, exec_lo, s22
.LBB354_1491:                           ;   in Loop: Header=BB354_16 Depth=1
	s_delay_alu instid0(SALU_CYCLE_1)
	s_or_b32 exec_lo, exec_lo, s21
	flat_load_b64 v[31:32], v[31:32] offset:1544
	v_mov_b32_e32 v35, 0
	s_mov_b32 s21, exec_lo
	s_waitcnt vmcnt(0) lgkmcnt(0)
	v_dual_mov_b32 v36, 0 :: v_dual_and_b32 v7, 0xff, v31
	s_delay_alu instid0(VALU_DEP_1)
	v_cmpx_ne_u16_e32 0, v7
	s_cbranch_execz .LBB354_1499
; %bb.1492:                             ;   in Loop: Header=BB354_16 Depth=1
	v_bfrev_b32_e32 v36, 1
	s_mov_b32 s22, exec_lo
	v_cmpx_ne_u16_e32 0x80, v7
	s_cbranch_execz .LBB354_1498
; %bb.1493:                             ;   in Loop: Header=BB354_16 Depth=1
	v_and_b32_e32 v17, 0x7f, v31
	v_mov_b32_e32 v36, 0x7fc02000
	s_mov_b32 s23, exec_lo
	s_delay_alu instid0(VALU_DEP_2)
	v_cmpx_ne_u32_e32 0x7f, v17
	s_cbranch_execz .LBB354_1497
; %bb.1494:                             ;   in Loop: Header=BB354_16 Depth=1
	v_lshrrev_b32_e32 v7, 3, v17
	v_dual_mov_b32 v34, v32 :: v_dual_mov_b32 v33, v31
	s_mov_b32 s24, exec_lo
	v_cmpx_gt_u32_e32 8, v17
; %bb.1495:                             ;   in Loop: Header=BB354_16 Depth=1
	v_and_b32_e32 v7, 7, v31
	s_delay_alu instid0(VALU_DEP_1) | instskip(NEXT) | instid1(VALU_DEP_1)
	v_clz_i32_u32_e32 v7, v7
	v_min_u32_e32 v7, 32, v7
	s_delay_alu instid0(VALU_DEP_1) | instskip(SKIP_1) | instid1(VALU_DEP_2)
	v_subrev_nc_u32_e32 v17, 28, v7
	v_sub_nc_u32_e32 v7, 29, v7
	v_lshlrev_b64 v[33:34], v17, v[31:32]
; %bb.1496:                             ;   in Loop: Header=BB354_16 Depth=1
	s_or_b32 exec_lo, exec_lo, s24
	v_lshlrev_b32_e32 v17, 8, v31
	s_delay_alu instid0(VALU_DEP_3) | instskip(NEXT) | instid1(VALU_DEP_3)
	v_lshl_add_u32 v7, v7, 10, 0x2000
	v_lshlrev_b32_e32 v23, 7, v33
	s_delay_alu instid0(VALU_DEP_2) | instskip(NEXT) | instid1(VALU_DEP_1)
	v_and_or_b32 v7, 0x8000, v17, v7
	v_and_or_b32 v7, 0x380, v23, v7
	s_delay_alu instid0(VALU_DEP_1)
	v_cvt_f32_f16_e32 v36, v7
.LBB354_1497:                           ;   in Loop: Header=BB354_16 Depth=1
	s_or_b32 exec_lo, exec_lo, s23
.LBB354_1498:                           ;   in Loop: Header=BB354_16 Depth=1
	s_delay_alu instid0(SALU_CYCLE_1)
	s_or_b32 exec_lo, exec_lo, s22
.LBB354_1499:                           ;   in Loop: Header=BB354_16 Depth=1
	s_delay_alu instid0(SALU_CYCLE_1) | instskip(SKIP_2) | instid1(VALU_DEP_1)
	s_or_b32 exec_lo, exec_lo, s21
	v_lshrrev_b16 v7, 8, v31
	s_mov_b32 s21, exec_lo
	v_cmpx_ne_u16_e32 0, v7
	s_cbranch_execz .LBB354_1507
; %bb.1500:                             ;   in Loop: Header=BB354_16 Depth=1
	v_bfrev_b32_e32 v35, 1
	s_mov_b32 s22, exec_lo
	v_cmpx_ne_u16_e32 0x80, v7
	s_cbranch_execz .LBB354_1506
; %bb.1501:                             ;   in Loop: Header=BB354_16 Depth=1
	v_and_b32_e32 v17, 0xffff, v7
	v_mov_b32_e32 v35, 0x7fc02000
	s_mov_b32 s23, exec_lo
	s_delay_alu instid0(VALU_DEP_2) | instskip(NEXT) | instid1(VALU_DEP_1)
	v_and_b32_e32 v132, 0x7f, v17
	v_cmpx_ne_u32_e32 0x7f, v132
	s_cbranch_execz .LBB354_1505
; %bb.1502:                             ;   in Loop: Header=BB354_16 Depth=1
	v_and_b32_e32 v7, 7, v17
	v_mov_b32_e32 v34, v8
	v_lshrrev_b32_e32 v23, 3, v132
	s_mov_b32 s24, exec_lo
	s_delay_alu instid0(VALU_DEP_3)
	v_mov_b32_e32 v33, v7
	v_cmpx_gt_u32_e32 8, v132
; %bb.1503:                             ;   in Loop: Header=BB354_16 Depth=1
	v_clz_i32_u32_e32 v23, v7
	s_delay_alu instid0(VALU_DEP_1) | instskip(NEXT) | instid1(VALU_DEP_1)
	v_min_u32_e32 v23, 32, v23
	v_subrev_nc_u32_e32 v33, 28, v23
	v_sub_nc_u32_e32 v23, 29, v23
	s_delay_alu instid0(VALU_DEP_2) | instskip(NEXT) | instid1(VALU_DEP_1)
	v_lshlrev_b64 v[33:34], v33, v[7:8]
	v_and_b32_e32 v33, 7, v33
; %bb.1504:                             ;   in Loop: Header=BB354_16 Depth=1
	s_or_b32 exec_lo, exec_lo, s24
	v_lshlrev_b32_e32 v7, 8, v17
	v_lshl_add_u32 v17, v23, 10, 0x2000
	s_delay_alu instid0(VALU_DEP_1) | instskip(NEXT) | instid1(VALU_DEP_1)
	v_and_or_b32 v7, 0x8000, v7, v17
	v_lshl_or_b32 v7, v33, 7, v7
	s_delay_alu instid0(VALU_DEP_1)
	v_cvt_f32_f16_e32 v35, v7
.LBB354_1505:                           ;   in Loop: Header=BB354_16 Depth=1
	s_or_b32 exec_lo, exec_lo, s23
.LBB354_1506:                           ;   in Loop: Header=BB354_16 Depth=1
	s_delay_alu instid0(SALU_CYCLE_1)
	s_or_b32 exec_lo, exec_lo, s22
.LBB354_1507:                           ;   in Loop: Header=BB354_16 Depth=1
	s_delay_alu instid0(SALU_CYCLE_1) | instskip(SKIP_3) | instid1(VALU_DEP_2)
	s_or_b32 exec_lo, exec_lo, s21
	v_lshrrev_b32_e32 v17, 16, v31
	v_mov_b32_e32 v175, 0
	s_mov_b32 s21, exec_lo
	v_dual_mov_b32 v170, 0 :: v_dual_and_b32 v7, 0xff, v17
	s_delay_alu instid0(VALU_DEP_1)
	v_cmpx_ne_u16_e32 0, v7
	s_cbranch_execz .LBB354_1515
; %bb.1508:                             ;   in Loop: Header=BB354_16 Depth=1
	v_bfrev_b32_e32 v170, 1
	s_mov_b32 s22, exec_lo
	v_cmpx_ne_u16_e32 0x80, v7
	s_cbranch_execz .LBB354_1514
; %bb.1509:                             ;   in Loop: Header=BB354_16 Depth=1
	v_bfe_u32 v132, v31, 16, 7
	v_mov_b32_e32 v170, 0x7fc02000
	s_mov_b32 s23, exec_lo
	s_delay_alu instid0(VALU_DEP_2)
	v_cmpx_ne_u32_e32 0x7f, v132
	s_cbranch_execz .LBB354_1513
; %bb.1510:                             ;   in Loop: Header=BB354_16 Depth=1
	v_and_b32_e32 v7, 7, v17
	v_mov_b32_e32 v34, v8
	v_lshrrev_b32_e32 v23, 3, v132
	s_mov_b32 s24, exec_lo
	s_delay_alu instid0(VALU_DEP_3)
	v_mov_b32_e32 v33, v7
	v_cmpx_gt_u32_e32 8, v132
; %bb.1511:                             ;   in Loop: Header=BB354_16 Depth=1
	v_clz_i32_u32_e32 v23, v7
	s_delay_alu instid0(VALU_DEP_1) | instskip(NEXT) | instid1(VALU_DEP_1)
	v_min_u32_e32 v23, 32, v23
	v_subrev_nc_u32_e32 v33, 28, v23
	v_sub_nc_u32_e32 v23, 29, v23
	s_delay_alu instid0(VALU_DEP_2) | instskip(NEXT) | instid1(VALU_DEP_1)
	v_lshlrev_b64 v[33:34], v33, v[7:8]
	v_and_b32_e32 v33, 7, v33
; %bb.1512:                             ;   in Loop: Header=BB354_16 Depth=1
	s_or_b32 exec_lo, exec_lo, s24
	v_lshlrev_b32_e32 v7, 8, v17
	v_lshl_add_u32 v17, v23, 10, 0x2000
	s_delay_alu instid0(VALU_DEP_1) | instskip(NEXT) | instid1(VALU_DEP_1)
	v_and_or_b32 v7, 0x8000, v7, v17
	v_lshl_or_b32 v7, v33, 7, v7
	s_delay_alu instid0(VALU_DEP_1)
	v_cvt_f32_f16_e64 v170, v7
.LBB354_1513:                           ;   in Loop: Header=BB354_16 Depth=1
	s_or_b32 exec_lo, exec_lo, s23
.LBB354_1514:                           ;   in Loop: Header=BB354_16 Depth=1
	s_delay_alu instid0(SALU_CYCLE_1)
	s_or_b32 exec_lo, exec_lo, s22
.LBB354_1515:                           ;   in Loop: Header=BB354_16 Depth=1
	s_delay_alu instid0(SALU_CYCLE_1) | instskip(NEXT) | instid1(SALU_CYCLE_1)
	s_or_b32 exec_lo, exec_lo, s21
	s_mov_b32 s21, exec_lo
	v_cmpx_lt_u32_e32 0xffffff, v31
	s_cbranch_execz .LBB354_1523
; %bb.1516:                             ;   in Loop: Header=BB354_16 Depth=1
	v_lshrrev_b32_e32 v17, 24, v31
	v_bfrev_b32_e32 v175, 1
	s_mov_b32 s22, exec_lo
	s_delay_alu instid0(VALU_DEP_2)
	v_cmpx_ne_u32_e32 0x80, v17
	s_cbranch_execz .LBB354_1522
; %bb.1517:                             ;   in Loop: Header=BB354_16 Depth=1
	v_and_b32_e32 v132, 0x7f, v17
	v_mov_b32_e32 v175, 0x7fc02000
	s_mov_b32 s23, exec_lo
	s_delay_alu instid0(VALU_DEP_2)
	v_cmpx_ne_u32_e32 0x7f, v132
	s_cbranch_execz .LBB354_1521
; %bb.1518:                             ;   in Loop: Header=BB354_16 Depth=1
	v_and_b32_e32 v7, 7, v17
	v_mov_b32_e32 v34, v8
	v_lshrrev_b32_e32 v23, 3, v132
	s_mov_b32 s24, exec_lo
	s_delay_alu instid0(VALU_DEP_3)
	v_mov_b32_e32 v33, v7
	v_cmpx_gt_u32_e32 8, v132
; %bb.1519:                             ;   in Loop: Header=BB354_16 Depth=1
	v_clz_i32_u32_e32 v23, v7
	s_delay_alu instid0(VALU_DEP_1) | instskip(NEXT) | instid1(VALU_DEP_1)
	v_min_u32_e32 v23, 32, v23
	v_subrev_nc_u32_e32 v33, 28, v23
	v_sub_nc_u32_e32 v23, 29, v23
	s_delay_alu instid0(VALU_DEP_2) | instskip(NEXT) | instid1(VALU_DEP_1)
	v_lshlrev_b64 v[33:34], v33, v[7:8]
	v_and_b32_e32 v33, 7, v33
; %bb.1520:                             ;   in Loop: Header=BB354_16 Depth=1
	s_or_b32 exec_lo, exec_lo, s24
	v_lshlrev_b32_e32 v7, 8, v17
	v_lshl_add_u32 v17, v23, 10, 0x2000
	s_delay_alu instid0(VALU_DEP_1) | instskip(NEXT) | instid1(VALU_DEP_1)
	v_and_or_b32 v7, 0x8000, v7, v17
	v_lshl_or_b32 v7, v33, 7, v7
	s_delay_alu instid0(VALU_DEP_1)
	v_cvt_f32_f16_e64 v175, v7
.LBB354_1521:                           ;   in Loop: Header=BB354_16 Depth=1
	s_or_b32 exec_lo, exec_lo, s23
.LBB354_1522:                           ;   in Loop: Header=BB354_16 Depth=1
	s_delay_alu instid0(SALU_CYCLE_1)
	s_or_b32 exec_lo, exec_lo, s22
.LBB354_1523:                           ;   in Loop: Header=BB354_16 Depth=1
	s_delay_alu instid0(SALU_CYCLE_1) | instskip(SKIP_4) | instid1(VALU_DEP_3)
	s_or_b32 exec_lo, exec_lo, s21
	v_dual_mov_b32 v186, 0 :: v_dual_and_b32 v23, 0xff, v32
	v_mov_b32_e32 v7, v32
	v_mov_b32_e32 v17, 0
	s_mov_b32 s21, exec_lo
	v_cmpx_ne_u16_e32 0, v23
	s_cbranch_execz .LBB354_1531
; %bb.1524:                             ;   in Loop: Header=BB354_16 Depth=1
	v_bfrev_b32_e32 v186, 1
	s_mov_b32 s22, exec_lo
	v_cmpx_ne_u16_e32 0x80, v23
	s_cbranch_execz .LBB354_1530
; %bb.1525:                             ;   in Loop: Header=BB354_16 Depth=1
	v_and_b32_e32 v132, 0x7f, v32
	v_mov_b32_e32 v186, 0x7fc02000
	s_mov_b32 s23, exec_lo
	s_delay_alu instid0(VALU_DEP_2)
	v_cmpx_ne_u32_e32 0x7f, v132
	s_cbranch_execz .LBB354_1529
; %bb.1526:                             ;   in Loop: Header=BB354_16 Depth=1
	v_dual_mov_b32 v34, v8 :: v_dual_mov_b32 v33, v7
	v_lshrrev_b32_e32 v23, 3, v132
	s_mov_b32 s24, exec_lo
	v_cmpx_gt_u32_e32 8, v132
; %bb.1527:                             ;   in Loop: Header=BB354_16 Depth=1
	v_and_b32_e32 v23, 7, v32
	s_delay_alu instid0(VALU_DEP_1) | instskip(NEXT) | instid1(VALU_DEP_1)
	v_clz_i32_u32_e32 v23, v23
	v_min_u32_e32 v23, 32, v23
	s_delay_alu instid0(VALU_DEP_1) | instskip(SKIP_1) | instid1(VALU_DEP_2)
	v_subrev_nc_u32_e32 v33, 28, v23
	v_sub_nc_u32_e32 v23, 29, v23
	v_lshlrev_b64 v[33:34], v33, v[7:8]
; %bb.1528:                             ;   in Loop: Header=BB354_16 Depth=1
	s_or_b32 exec_lo, exec_lo, s24
	v_lshlrev_b32_e32 v34, 8, v32
	s_delay_alu instid0(VALU_DEP_3) | instskip(NEXT) | instid1(VALU_DEP_3)
	v_lshl_add_u32 v23, v23, 10, 0x2000
	v_lshlrev_b32_e32 v33, 7, v33
	s_delay_alu instid0(VALU_DEP_2) | instskip(NEXT) | instid1(VALU_DEP_1)
	v_and_or_b32 v23, 0x8000, v34, v23
	v_and_or_b32 v23, 0x380, v33, v23
	s_delay_alu instid0(VALU_DEP_1)
	v_cvt_f32_f16_e64 v186, v23
.LBB354_1529:                           ;   in Loop: Header=BB354_16 Depth=1
	s_or_b32 exec_lo, exec_lo, s23
.LBB354_1530:                           ;   in Loop: Header=BB354_16 Depth=1
	s_delay_alu instid0(SALU_CYCLE_1)
	s_or_b32 exec_lo, exec_lo, s22
.LBB354_1531:                           ;   in Loop: Header=BB354_16 Depth=1
	s_delay_alu instid0(SALU_CYCLE_1) | instskip(SKIP_2) | instid1(VALU_DEP_1)
	s_or_b32 exec_lo, exec_lo, s21
	v_lshrrev_b16 v7, 8, v7
	s_mov_b32 s21, exec_lo
	v_cmpx_ne_u16_e32 0, v7
	s_cbranch_execz .LBB354_1539
; %bb.1532:                             ;   in Loop: Header=BB354_16 Depth=1
	v_bfrev_b32_e32 v17, 1
	s_mov_b32 s22, exec_lo
	v_cmpx_ne_u16_e32 0x80, v7
	s_cbranch_execz .LBB354_1538
; %bb.1533:                             ;   in Loop: Header=BB354_16 Depth=1
	v_and_b32_e32 v23, 0xffff, v7
	v_mov_b32_e32 v17, 0x7fc02000
	s_mov_b32 s23, exec_lo
	s_delay_alu instid0(VALU_DEP_2) | instskip(NEXT) | instid1(VALU_DEP_1)
	v_and_b32_e32 v132, 0x7f, v23
	v_cmpx_ne_u32_e32 0x7f, v132
	s_cbranch_execz .LBB354_1537
; %bb.1534:                             ;   in Loop: Header=BB354_16 Depth=1
	v_and_b32_e32 v7, 7, v23
	v_mov_b32_e32 v34, v8
	v_lshrrev_b32_e32 v17, 3, v132
	s_mov_b32 s24, exec_lo
	s_delay_alu instid0(VALU_DEP_3)
	v_mov_b32_e32 v33, v7
	v_cmpx_gt_u32_e32 8, v132
; %bb.1535:                             ;   in Loop: Header=BB354_16 Depth=1
	v_clz_i32_u32_e32 v17, v7
	s_delay_alu instid0(VALU_DEP_1) | instskip(NEXT) | instid1(VALU_DEP_1)
	v_min_u32_e32 v17, 32, v17
	v_subrev_nc_u32_e32 v33, 28, v17
	v_sub_nc_u32_e32 v17, 29, v17
	s_delay_alu instid0(VALU_DEP_2) | instskip(NEXT) | instid1(VALU_DEP_1)
	v_lshlrev_b64 v[33:34], v33, v[7:8]
	v_and_b32_e32 v33, 7, v33
; %bb.1536:                             ;   in Loop: Header=BB354_16 Depth=1
	s_or_b32 exec_lo, exec_lo, s24
	v_lshlrev_b32_e32 v7, 8, v23
	v_lshl_add_u32 v17, v17, 10, 0x2000
	s_delay_alu instid0(VALU_DEP_1) | instskip(NEXT) | instid1(VALU_DEP_1)
	v_and_or_b32 v7, 0x8000, v7, v17
	v_lshl_or_b32 v7, v33, 7, v7
	s_delay_alu instid0(VALU_DEP_1)
	v_cvt_f32_f16_e32 v17, v7
.LBB354_1537:                           ;   in Loop: Header=BB354_16 Depth=1
	s_or_b32 exec_lo, exec_lo, s23
.LBB354_1538:                           ;   in Loop: Header=BB354_16 Depth=1
	s_delay_alu instid0(SALU_CYCLE_1)
	s_or_b32 exec_lo, exec_lo, s22
.LBB354_1539:                           ;   in Loop: Header=BB354_16 Depth=1
	s_delay_alu instid0(SALU_CYCLE_1) | instskip(SKIP_3) | instid1(VALU_DEP_2)
	s_or_b32 exec_lo, exec_lo, s21
	v_lshrrev_b32_e32 v132, 16, v32
	v_mov_b32_e32 v23, 0
	s_mov_b32 s21, exec_lo
	v_dual_mov_b32 v34, 0 :: v_dual_and_b32 v7, 0xff, v132
	s_delay_alu instid0(VALU_DEP_1)
	v_cmpx_ne_u16_e32 0, v7
	s_cbranch_execz .LBB354_1547
; %bb.1540:                             ;   in Loop: Header=BB354_16 Depth=1
	v_bfrev_b32_e32 v34, 1
	s_mov_b32 s22, exec_lo
	v_cmpx_ne_u16_e32 0x80, v7
	s_cbranch_execz .LBB354_1546
; %bb.1541:                             ;   in Loop: Header=BB354_16 Depth=1
	v_mov_b32_e32 v174, v145
	v_bfe_u32 v145, v32, 16, 7
	v_mov_b32_e32 v34, 0x7fc02000
	s_mov_b32 s23, exec_lo
	s_delay_alu instid0(VALU_DEP_2)
	v_cmpx_ne_u32_e32 0x7f, v145
	s_cbranch_execz .LBB354_1545
; %bb.1542:                             ;   in Loop: Header=BB354_16 Depth=1
	v_and_b32_e32 v7, 7, v132
	v_mov_b32_e32 v34, v8
	v_lshrrev_b32_e32 v34, 3, v145
	s_mov_b32 s24, exec_lo
	s_delay_alu instid0(VALU_DEP_3)
	v_mov_b32_e32 v33, v7
	v_cmpx_gt_u32_e32 8, v145
; %bb.1543:                             ;   in Loop: Header=BB354_16 Depth=1
	v_clz_i32_u32_e32 v33, v7
	s_delay_alu instid0(VALU_DEP_1) | instskip(NEXT) | instid1(VALU_DEP_1)
	v_min_u32_e32 v145, 32, v33
	v_subrev_nc_u32_e32 v33, 28, v145
	s_delay_alu instid0(VALU_DEP_1) | instskip(SKIP_1) | instid1(VALU_DEP_2)
	v_lshlrev_b64 v[33:34], v33, v[7:8]
	v_sub_nc_u32_e32 v34, 29, v145
	v_and_b32_e32 v33, 7, v33
; %bb.1544:                             ;   in Loop: Header=BB354_16 Depth=1
	s_or_b32 exec_lo, exec_lo, s24
	v_lshlrev_b32_e32 v7, 8, v132
	s_delay_alu instid0(VALU_DEP_3) | instskip(NEXT) | instid1(VALU_DEP_1)
	v_lshl_add_u32 v34, v34, 10, 0x2000
	v_and_or_b32 v7, 0x8000, v7, v34
	s_delay_alu instid0(VALU_DEP_1) | instskip(NEXT) | instid1(VALU_DEP_1)
	v_lshl_or_b32 v7, v33, 7, v7
	v_cvt_f32_f16_e32 v34, v7
.LBB354_1545:                           ;   in Loop: Header=BB354_16 Depth=1
	s_or_b32 exec_lo, exec_lo, s23
	v_mov_b32_e32 v145, v174
.LBB354_1546:                           ;   in Loop: Header=BB354_16 Depth=1
	s_or_b32 exec_lo, exec_lo, s22
.LBB354_1547:                           ;   in Loop: Header=BB354_16 Depth=1
	s_delay_alu instid0(SALU_CYCLE_1) | instskip(NEXT) | instid1(SALU_CYCLE_1)
	s_or_b32 exec_lo, exec_lo, s21
	s_mov_b32 s21, exec_lo
	v_cmpx_lt_u64_e64 s[8:9], v[31:32]
	s_cbranch_execz .LBB354_14
; %bb.1548:                             ;   in Loop: Header=BB354_16 Depth=1
	v_lshrrev_b32_e32 v33, 24, v32
	v_bfrev_b32_e32 v23, 1
	s_mov_b32 s22, exec_lo
	s_delay_alu instid0(VALU_DEP_2)
	v_cmpx_ne_u32_e32 0x80, v33
	s_cbranch_execz .LBB354_13
; %bb.1549:                             ;   in Loop: Header=BB354_16 Depth=1
	v_and_b32_e32 v132, 0x7f, v33
	v_mov_b32_e32 v23, 0x7fc02000
	s_mov_b32 s23, exec_lo
	s_delay_alu instid0(VALU_DEP_2)
	v_cmpx_ne_u32_e32 0x7f, v132
	s_cbranch_execz .LBB354_12
; %bb.1550:                             ;   in Loop: Header=BB354_16 Depth=1
	v_and_b32_e32 v7, 7, v33
	v_mov_b32_e32 v32, v8
	v_lshrrev_b32_e32 v23, 3, v132
	s_mov_b32 s24, exec_lo
	s_delay_alu instid0(VALU_DEP_3)
	v_mov_b32_e32 v31, v7
	v_cmpx_gt_u32_e32 8, v132
	s_cbranch_execz .LBB354_11
; %bb.1551:                             ;   in Loop: Header=BB354_16 Depth=1
	v_clz_i32_u32_e32 v23, v7
	s_delay_alu instid0(VALU_DEP_1) | instskip(NEXT) | instid1(VALU_DEP_1)
	v_min_u32_e32 v23, 32, v23
	v_subrev_nc_u32_e32 v31, 28, v23
	v_sub_nc_u32_e32 v23, 29, v23
	s_delay_alu instid0(VALU_DEP_2) | instskip(NEXT) | instid1(VALU_DEP_1)
	v_lshlrev_b64 v[31:32], v31, v[7:8]
	v_and_b32_e32 v31, 7, v31
	s_branch .LBB354_11
.LBB354_1552:
	s_or_b32 exec_lo, exec_lo, s20
	s_clause 0x17
	scratch_load_b32 v60, off, s32 offset:556
	scratch_load_b32 v61, off, s32 offset:560
	;; [unrolled: 1-line block ×7, first 2 shown]
	scratch_load_b64 v[75:76], off, s32 offset:572
	scratch_load_b32 v77, off, s32 offset:580
	scratch_load_b32 v78, off, s32 offset:416
	;; [unrolled: 1-line block ×16, first 2 shown]
.LBB354_1553:
	s_or_b32 exec_lo, exec_lo, s19
	v_mbcnt_lo_u32_b32 v0, -1, 0
	s_waitcnt lgkmcnt(0)
	s_lshr_b32 s8, s18, 16
	v_max_f32_e32 v4, v19, v19
	s_delay_alu instid0(VALU_DEP_2) | instskip(SKIP_2) | instid1(VALU_DEP_3)
	v_xor_b32_e32 v1, 16, v0
	v_xor_b32_e32 v3, 8, v0
	;; [unrolled: 1-line block ×3, first 2 shown]
	v_cmp_gt_i32_e32 vcc_lo, 32, v1
	v_cndmask_b32_e32 v1, v0, v1, vcc_lo
	s_delay_alu instid0(VALU_DEP_4) | instskip(NEXT) | instid1(VALU_DEP_2)
	v_cmp_gt_i32_e32 vcc_lo, 32, v3
	v_dual_cndmask_b32 v3, v0, v3 :: v_dual_lshlrev_b32 v2, 2, v1
	v_cmp_gt_i32_e32 vcc_lo, 32, v5
	ds_bpermute_b32 v1, v2, v19
	v_lshlrev_b32_e32 v3, 2, v3
	v_cndmask_b32_e32 v5, v0, v5, vcc_lo
	s_waitcnt lgkmcnt(0)
	v_max_f32_e32 v1, v1, v1
	s_delay_alu instid0(VALU_DEP_1) | instskip(SKIP_3) | instid1(VALU_DEP_1)
	v_max_f32_e32 v1, v4, v1
	ds_bpermute_b32 v4, v3, v1
	s_waitcnt lgkmcnt(0)
	v_max_f32_e32 v6, v4, v4
	v_dual_max_f32 v1, v1, v6 :: v_dual_lshlrev_b32 v4, 2, v5
	v_xor_b32_e32 v6, 2, v0
	ds_bpermute_b32 v5, v4, v1
	v_cmp_gt_i32_e32 vcc_lo, 32, v6
	v_cndmask_b32_e32 v6, v0, v6, vcc_lo
	s_delay_alu instid0(VALU_DEP_1) | instskip(SKIP_1) | instid1(VALU_DEP_1)
	v_lshlrev_b32_e32 v21, 2, v6
	v_xor_b32_e32 v6, 1, v0
	v_cmp_gt_i32_e32 vcc_lo, 32, v6
	s_waitcnt lgkmcnt(0)
	v_dual_max_f32 v5, v5, v5 :: v_dual_cndmask_b32 v6, v0, v6
	s_delay_alu instid0(VALU_DEP_1) | instskip(SKIP_3) | instid1(VALU_DEP_1)
	v_dual_max_f32 v1, v1, v5 :: v_dual_lshlrev_b32 v20, 2, v6
	ds_bpermute_b32 v5, v21, v1
	s_waitcnt lgkmcnt(0)
	v_max_f32_e32 v5, v5, v5
	v_max_f32_e32 v0, v1, v5
	scratch_load_b32 v5, off, s32 offset:512 ; 4-byte Folded Reload
	ds_bpermute_b32 v1, v20, v0
	s_waitcnt vmcnt(0)
	v_cmp_eq_u32_e32 vcc_lo, 0, v5
	v_lshlrev_b32_e32 v5, 2, v72
	s_and_saveexec_b32 s1, vcc_lo
	s_cbranch_execz .LBB354_1555
; %bb.1554:
	s_waitcnt lgkmcnt(0)
	v_dual_max_f32 v1, v1, v1 :: v_dual_max_f32 v0, v0, v0
	s_delay_alu instid0(VALU_DEP_1)
	v_max_f32_e32 v0, v0, v1
	ds_store_b32 v5, v0 offset:384
.LBB354_1555:
	s_or_b32 exec_lo, exec_lo, s1
	scratch_load_b32 v0, off, s32 offset:512 ; 4-byte Folded Reload
	s_waitcnt vmcnt(0) lgkmcnt(0)
	s_waitcnt_vscnt null, 0x0
	s_barrier
	buffer_gl0_inv
	v_cmp_gt_u32_e64 s1, 4, v0
	v_mov_b32_e32 v0, 0xff7fffff
	s_delay_alu instid0(VALU_DEP_2)
	s_and_saveexec_b32 s2, s1
	s_cbranch_execz .LBB354_1557
; %bb.1556:
	ds_load_b32 v0, v16 offset:384
.LBB354_1557:
	s_or_b32 exec_lo, exec_lo, s2
	s_waitcnt lgkmcnt(0)
	ds_bpermute_b32 v1, v21, v0
	v_max_f32_e32 v0, v0, v0
	v_subrev_nc_u32_e32 v7, s13, v78
	s_waitcnt lgkmcnt(0)
	v_dual_mov_b32 v6, 0 :: v_dual_max_f32 v1, v1, v1
	s_delay_alu instid0(VALU_DEP_1) | instskip(SKIP_3) | instid1(VALU_DEP_1)
	v_max_f32_e32 v0, v0, v1
	ds_bpermute_b32 v1, v20, v0
	s_waitcnt lgkmcnt(0)
	v_max_f32_e32 v1, v1, v1
	v_max_f32_e32 v0, v0, v1
	v_lshl_add_u32 v1, v7, 5, s3
	ds_bpermute_b32 v0, v6, v0
	v_min_i32_e32 v1, v1, v38
	s_delay_alu instid0(VALU_DEP_1) | instskip(NEXT) | instid1(VALU_DEP_1)
	v_subrev_nc_u32_e32 v1, s3, v1
	v_cmp_lt_i32_e64 s2, v62, v1
	s_delay_alu instid0(VALU_DEP_1)
	s_and_saveexec_b32 s9, s2
	s_cbranch_execz .LBB354_1561
; %bb.1558:
	s_getpc_b64 s[16:17]
	s_add_u32 s16, s16, llvm.amdgcn.dynlds.offset.table@rel32@lo+4
	s_addc_u32 s17, s17, llvm.amdgcn.dynlds.offset.table@rel32@hi+12
	s_ashr_i32 s7, s6, 31
	v_mov_b32_e32 v6, 0
	s_lshl_b64 s[18:19], s[6:7], 2
	v_mov_b32_e32 v8, v62
	s_add_u32 s16, s18, s16
	s_addc_u32 s17, s19, s17
	s_mov_b32 s7, 0
	s_load_b32 s3, s[16:17], 0x0
	s_waitcnt lgkmcnt(0)
	v_lshl_add_u32 v7, v62, 2, s3
	.p2align	6
.LBB354_1559:                           ; =>This Inner Loop Header: Depth=1
	ds_load_b32 v9, v7
	v_add_nc_u32_e32 v8, 0x80, v8
	s_delay_alu instid0(VALU_DEP_1) | instskip(NEXT) | instid1(VALU_DEP_1)
	v_cmp_ge_i32_e64 s3, v8, v1
	s_or_b32 s7, s3, s7
	s_waitcnt lgkmcnt(0)
	v_sub_f32_e32 v9, v9, v0
	s_delay_alu instid0(VALU_DEP_1) | instskip(NEXT) | instid1(VALU_DEP_1)
	v_mul_f32_e32 v9, 0x3fb8aa3b, v9
	v_exp_f32_e32 v9, v9
	ds_store_b32 v7, v9
	v_dual_add_f32 v6, v6, v9 :: v_dual_add_nc_u32 v7, 0x200, v7
	s_and_not1_b32 exec_lo, exec_lo, s7
	s_cbranch_execnz .LBB354_1559
; %bb.1560:
	s_or_b32 exec_lo, exec_lo, s7
.LBB354_1561:
	s_delay_alu instid0(SALU_CYCLE_1)
	s_or_b32 exec_lo, exec_lo, s9
	ds_bpermute_b32 v2, v2, v6
	s_waitcnt lgkmcnt(0)
	v_add_f32_e32 v2, v6, v2
	ds_bpermute_b32 v3, v3, v2
	s_waitcnt lgkmcnt(0)
	v_add_f32_e32 v2, v2, v3
	;; [unrolled: 3-line block ×5, first 2 shown]
	s_and_saveexec_b32 s3, vcc_lo
	s_cbranch_execz .LBB354_1563
; %bb.1562:
	ds_store_b32 v5, v2 offset:400
.LBB354_1563:
	s_or_b32 exec_lo, exec_lo, s3
	s_waitcnt lgkmcnt(0)
	s_barrier
	buffer_gl0_inv
	s_and_saveexec_b32 s3, s1
	s_cbranch_execz .LBB354_1565
; %bb.1564:
	ds_load_b32 v2, v16 offset:400
.LBB354_1565:
	s_or_b32 exec_lo, exec_lo, s3
	s_waitcnt lgkmcnt(0)
	ds_bpermute_b32 v3, v21, v2
	s_waitcnt lgkmcnt(0)
	v_add_f32_e32 v2, v2, v3
	ds_bpermute_b32 v3, v20, v2
	s_waitcnt lgkmcnt(0)
	v_dual_add_f32 v2, v2, v3 :: v_dual_mov_b32 v3, 0
	ds_bpermute_b32 v2, v3, v2
	s_and_saveexec_b32 s1, s2
	s_cbranch_execz .LBB354_1568
; %bb.1566:
	s_waitcnt lgkmcnt(0)
	v_add_f32_e32 v4, 0x358637bd, v2
	s_getpc_b64 s[2:3]
	s_add_u32 s2, s2, llvm.amdgcn.dynlds.offset.table@rel32@lo+4
	s_addc_u32 s3, s3, llvm.amdgcn.dynlds.offset.table@rel32@hi+12
	s_ashr_i32 s7, s6, 31
	s_delay_alu instid0(SALU_CYCLE_1) | instskip(SKIP_4) | instid1(VALU_DEP_1)
	s_lshl_b64 s[16:17], s[6:7], 2
	v_div_scale_f32 v3, null, v4, v4, 1.0
	s_add_u32 s2, s16, s2
	s_addc_u32 s3, s17, s3
	s_load_b32 s2, s[2:3], 0x0
	v_rcp_f32_e32 v5, v3
	s_waitcnt_depctr 0xfff
	v_fma_f32 v6, -v3, v5, 1.0
	s_delay_alu instid0(VALU_DEP_1) | instskip(SKIP_1) | instid1(VALU_DEP_1)
	v_fmac_f32_e32 v5, v6, v5
	v_div_scale_f32 v7, vcc_lo, 1.0, v4, 1.0
	v_mul_f32_e32 v6, v7, v5
	s_delay_alu instid0(VALU_DEP_1) | instskip(NEXT) | instid1(VALU_DEP_1)
	v_fma_f32 v8, -v3, v6, v7
	v_fmac_f32_e32 v6, v8, v5
	s_delay_alu instid0(VALU_DEP_1) | instskip(NEXT) | instid1(VALU_DEP_1)
	v_fma_f32 v3, -v3, v6, v7
	v_div_fmas_f32 v5, v3, v5, v6
	s_waitcnt lgkmcnt(0)
	v_lshl_add_u32 v3, v62, 2, s2
	s_mov_b32 s2, 0
	s_delay_alu instid0(VALU_DEP_2)
	v_div_fixup_f32 v4, v5, v4, 1.0
	v_mov_b32_e32 v5, v62
.LBB354_1567:                           ; =>This Inner Loop Header: Depth=1
	ds_load_b32 v6, v3
	s_waitcnt lgkmcnt(0)
	v_dual_mul_f32 v6, v4, v6 :: v_dual_add_nc_u32 v5, 0x80, v5
	s_delay_alu instid0(VALU_DEP_1) | instskip(SKIP_3) | instid1(SALU_CYCLE_1)
	v_cmp_ge_i32_e32 vcc_lo, v5, v1
	ds_store_b32 v3, v6
	v_add_nc_u32_e32 v3, 0x200, v3
	s_or_b32 s2, vcc_lo, s2
	s_and_not1_b32 exec_lo, exec_lo, s2
	s_cbranch_execnz .LBB354_1567
.LBB354_1568:
	s_or_b32 exec_lo, exec_lo, s1
	v_cmp_ne_u16_e64 s1, s8, 0
	s_waitcnt lgkmcnt(0)
	s_barrier
	buffer_gl0_inv
	s_cmp_lg_u32 s1, 0
	s_addc_u32 s1, s5, 0
	s_mov_b32 s5, exec_lo
	s_mul_i32 s2, s1, s10
	s_delay_alu instid0(SALU_CYCLE_1)
	s_mul_i32 s2, s2, s15
	v_cmpx_eq_u32_e32 0, v62
	s_cbranch_execz .LBB354_1570
; %bb.1569:
	s_mul_i32 s8, s1, s12
	s_ashr_i32 s15, s14, 31
	s_ashr_i32 s9, s8, 31
	;; [unrolled: 1-line block ×3, first 2 shown]
	s_lshl_b64 s[8:9], s[8:9], 2
	s_lshl_b64 s[12:13], s[14:15], 2
	s_lshl_b64 s[16:17], s[2:3], 2
	s_add_u32 s3, s12, s8
	s_addc_u32 s7, s13, s9
	s_add_u32 s3, s3, s16
	s_addc_u32 s7, s7, s17
	v_add_co_u32 v3, vcc_lo, s3, v32
	v_add_co_ci_u32_e32 v4, vcc_lo, s7, v25, vcc_lo
	v_add_co_u32 v5, vcc_lo, s3, v24
	v_add_co_ci_u32_e32 v6, vcc_lo, s7, v22, vcc_lo
	flat_store_b32 v[3:4], v0
	flat_store_b32 v[5:6], v2
.LBB354_1570:
	s_or_b32 exec_lo, exec_lo, s5
	s_ashr_i32 s7, s6, 31
	s_getpc_b64 s[8:9]
	s_add_u32 s8, s8, llvm.amdgcn.dynlds.offset.table@rel32@lo+4
	s_addc_u32 s9, s9, llvm.amdgcn.dynlds.offset.table@rel32@hi+12
	s_lshl_b64 s[6:7], s[6:7], 2
	v_dual_mov_b32 v86, 0 :: v_dual_mov_b32 v87, 0
	v_dual_mov_b32 v83, 0 :: v_dual_and_b32 v24, 3, v62
	v_dual_mov_b32 v43, 0 :: v_dual_mov_b32 v16, 0
	v_dual_mov_b32 v82, 0 :: v_dual_mov_b32 v81, 0
	;; [unrolled: 1-line block ×10, first 2 shown]
	v_mov_b32_e32 v25, 0
	s_add_u32 s6, s6, s8
	s_addc_u32 s7, s7, s9
	s_mov_b32 s5, 0
	s_and_saveexec_b32 s3, s0
	s_cbranch_execz .LBB354_3160
; %bb.1571:
	v_max_i32_e32 v30, v30, v17
	v_dual_mov_b32 v3, 0 :: v_dual_lshlrev_b32 v2, 3, v62
	v_mov_b32_e32 v31, 0
	s_load_b32 s0, s[6:7], 0x0
	s_delay_alu instid0(VALU_DEP_3) | instskip(NEXT) | instid1(VALU_DEP_3)
	v_cvt_f32_u32_e32 v0, v30
	v_and_b32_e32 v64, 24, v2
	v_sub_nc_u32_e32 v8, 0, v30
	v_dual_mov_b32 v33, 0 :: v_dual_and_b32 v96, 0xf8, v2
	s_delay_alu instid0(VALU_DEP_4)
	v_rcp_iflag_f32_e32 v6, v0
	v_lshlrev_b32_e32 v7, 5, v24
	v_lshlrev_b64 v[4:5], 2, v[75:76]
	v_add_co_u32 v0, vcc_lo, v10, v12
	v_add_co_ci_u32_e32 v1, vcc_lo, v11, v18, vcc_lo
	v_dual_mov_b32 v55, v38 :: v_dual_add_nc_u32 v54, -1, v13
	v_dual_mov_b32 v25, 0 :: v_dual_mov_b32 v28, 0
	s_delay_alu instid0(TRANS32_DEP_1) | instskip(SKIP_3) | instid1(VALU_DEP_4)
	v_mul_f32_e32 v6, 0x4f7ffffe, v6
	v_lshl_or_b32 v2, v72, 7, v7
	v_dual_mov_b32 v29, 0 :: v_dual_mov_b32 v32, 0
	v_or_b32_e32 v19, 0x1000, v96
	v_cvt_u32_f32_e32 v6, v6
	v_or_b32_e32 v97, 0x1100, v96
	v_or_b32_e32 v98, 0x1200, v96
	;; [unrolled: 1-line block ×4, first 2 shown]
	v_mul_lo_u32 v7, v8, v6
	scratch_load_b64 v[8:9], off, s32 offset:548 ; 8-byte Folded Reload
	v_or_b32_e32 v101, 0x1500, v96
	v_or_b32_e32 v102, 0x1600, v96
	;; [unrolled: 1-line block ×3, first 2 shown]
	v_dual_mov_b32 v36, 0 :: v_dual_mov_b32 v65, 0
	v_dual_mov_b32 v66, 0 :: v_dual_mov_b32 v67, 0
	;; [unrolled: 1-line block ×8, first 2 shown]
	s_mov_b32 s8, -1
	s_mov_b32 s9, 0xffffff
	v_dual_mov_b32 v34, 0 :: v_dual_mov_b32 v35, 0
	s_waitcnt vmcnt(0)
	v_add_co_u32 v4, vcc_lo, v8, v4
	v_add_co_ci_u32_e32 v5, vcc_lo, v9, v5, vcc_lo
	v_mul_hi_u32 v9, v6, v7
	s_delay_alu instid0(VALU_DEP_3) | instskip(NEXT) | instid1(VALU_DEP_3)
	v_add_co_u32 v7, vcc_lo, v14, v4
	v_add_co_ci_u32_e32 v8, vcc_lo, v15, v5, vcc_lo
	s_waitcnt lgkmcnt(0)
	v_add_nc_u32_e32 v15, s0, v2
	s_delay_alu instid0(VALU_DEP_4)
	v_add_nc_u32_e32 v112, v6, v9
	s_branch .LBB354_1574
.LBB354_1572:                           ;   in Loop: Header=BB354_1574 Depth=1
	s_or_b32 exec_lo, exec_lo, s0
	v_dual_add_f32 v12, v13, v14 :: v_dual_add_f32 v13, v52, v53
	v_dual_add_f32 v4, v4, v5 :: v_dual_add_f32 v5, v41, v42
	;; [unrolled: 1-line block ×3, first 2 shown]
	s_delay_alu instid0(VALU_DEP_3) | instskip(NEXT) | instid1(VALU_DEP_3)
	v_dual_add_f32 v28, v28, v12 :: v_dual_add_f32 v29, v29, v13
	v_dual_add_f32 v12, v37, v39 :: v_dual_add_f32 v35, v35, v4
	v_add_f32_e32 v6, v6, v22
	v_dual_add_f32 v13, v17, v18 :: v_dual_add_f32 v36, v36, v5
	s_delay_alu instid0(VALU_DEP_3) | instskip(SKIP_1) | instid1(VALU_DEP_3)
	v_add_f32_e32 v33, v33, v12
	v_dual_add_f32 v4, v183, v40 :: v_dual_add_f32 v5, v181, v182
	v_dual_add_f32 v34, v34, v6 :: v_dual_add_f32 v65, v65, v13
	v_add_f32_e32 v6, v179, v180
	v_dual_add_f32 v12, v177, v178 :: v_dual_add_f32 v13, v167, v176
	s_delay_alu instid0(VALU_DEP_4) | instskip(SKIP_1) | instid1(VALU_DEP_3)
	v_dual_add_f32 v66, v66, v4 :: v_dual_add_f32 v67, v67, v5
	v_dual_add_f32 v4, v165, v166 :: v_dual_add_f32 v5, v163, v164
	v_dual_add_f32 v70, v70, v13 :: v_dual_add_f32 v13, v149, v150
	s_delay_alu instid0(VALU_DEP_4)
	v_dual_add_f32 v68, v68, v6 :: v_dual_add_f32 v69, v69, v12
	v_add_f32_e32 v6, v161, v162
	v_add_f32_e32 v12, v151, v160
	;; [unrolled: 1-line block ×3, first 2 shown]
	;;#ASMSTART
	v_pk_mul_f16 v5, v118, v11;

	;;#ASMEND
	v_dual_add_f32 v31, v31, v14 :: v_dual_add_f32 v32, v32, v23
	v_add_f32_e32 v81, v81, v6
	;;#ASMSTART
	v_pk_mul_f16 v6, v117, v10;

	;;#ASMEND
	;;#ASMSTART
	v_pk_mul_f16 v2, v116, v2;

	;;#ASMEND
	;; [unrolled: 4-line block ×3, first 2 shown]
	;;#ASMSTART
	v_pk_add_f16 v5, v5, v6;

	;;#ASMEND
	;;#ASMSTART
	v_pk_add_f16 v2, v5, v2;

	;;#ASMEND
	;; [unrolled: 4-line block ×3, first 2 shown]
	v_and_b32_e32 v5, 0xffff, v2
	v_lshrrev_b32_e32 v2, 16, v2
	;;#ASMSTART
	v_cvt_f32_f16 v5, v5;
	;;#ASMEND
	;;#ASMSTART
	v_cvt_f32_f16 v2, v2;
	;;#ASMEND
	v_add_f32_e32 v9, v135, v144
	v_dual_add_f32 v71, v71, v4 :: v_dual_add_f32 v6, v145, v146
	v_add_f32_e32 v10, v113, v114
	s_delay_alu instid0(VALU_DEP_3) | instskip(SKIP_1) | instid1(VALU_DEP_4)
	v_dual_add_f32 v2, v5, v2 :: v_dual_add_f32 v87, v87, v9
	v_add_f32_e32 v4, v147, v148
	v_dual_add_f32 v82, v82, v12 :: v_dual_add_f32 v83, v83, v6
	s_delay_alu instid0(VALU_DEP_4) | instskip(NEXT) | instid1(VALU_DEP_4)
	v_add_f32_e32 v86, v86, v10
	v_dual_add_f32 v25, v25, v2 :: v_dual_add_f32 v16, v16, v13
	s_delay_alu instid0(VALU_DEP_4)
	v_add_f32_e32 v43, v43, v4
.LBB354_1573:                           ;   in Loop: Header=BB354_1574 Depth=1
	s_or_b32 exec_lo, exec_lo, s10
	v_add_nc_u32_e32 v75, 4, v75
	v_add_co_u32 v7, s0, v7, 16
	s_delay_alu instid0(VALU_DEP_1) | instskip(NEXT) | instid1(VALU_DEP_3)
	v_add_co_ci_u32_e64 v8, s0, 0, v8, s0
	v_cmp_ge_i32_e32 vcc_lo, v75, v78
	v_add_nc_u32_e32 v77, 0x80, v77
	v_add_nc_u32_e32 v15, 0x200, v15
	s_or_b32 s5, vcc_lo, s5
	s_delay_alu instid0(SALU_CYCLE_1)
	s_and_not1_b32 exec_lo, exec_lo, s5
	s_cbranch_execz .LBB354_3159
.LBB354_1574:                           ; =>This Inner Loop Header: Depth=1
	scratch_load_b32 v4, off, s32 offset:336 ; 4-byte Folded Reload
	v_sub_nc_u32_e32 v2, 0, v77
	s_delay_alu instid0(VALU_DEP_1) | instskip(SKIP_1) | instid1(VALU_DEP_1)
	v_max_i32_e32 v2, v77, v2
	s_waitcnt vmcnt(0)
	v_mul_hi_u32 v4, v2, v4
	s_delay_alu instid0(VALU_DEP_1) | instskip(NEXT) | instid1(VALU_DEP_1)
	v_mul_lo_u32 v5, v4, v73
	v_sub_nc_u32_e32 v2, v2, v5
	s_delay_alu instid0(VALU_DEP_1) | instskip(SKIP_1) | instid1(VALU_DEP_2)
	v_sub_nc_u32_e32 v6, v2, v73
	v_cmp_ge_u32_e32 vcc_lo, v2, v73
	v_dual_cndmask_b32 v2, v2, v6 :: v_dual_add_nc_u32 v5, 1, v4
	s_delay_alu instid0(VALU_DEP_1) | instskip(SKIP_1) | instid1(VALU_DEP_3)
	v_cndmask_b32_e32 v4, v4, v5, vcc_lo
	v_ashrrev_i32_e32 v5, 31, v77
	v_cmp_ge_u32_e32 vcc_lo, v2, v73
	s_delay_alu instid0(VALU_DEP_3) | instskip(NEXT) | instid1(VALU_DEP_3)
	v_add_nc_u32_e32 v6, 1, v4
	v_xor_b32_e32 v5, v5, v74
	s_delay_alu instid0(VALU_DEP_2) | instskip(NEXT) | instid1(VALU_DEP_1)
	v_cndmask_b32_e32 v2, v4, v6, vcc_lo
	v_xor_b32_e32 v2, v2, v5
	s_delay_alu instid0(VALU_DEP_1) | instskip(SKIP_3) | instid1(VALU_DEP_1)
	v_sub_nc_u32_e32 v2, v2, v5
	scratch_load_b64 v[4:5], off, s32 offset:328 ; 8-byte Folded Reload
	s_waitcnt vmcnt(0)
	v_add_nc_u32_e32 v4, v2, v4
	v_sub_nc_u32_e32 v5, 0, v4
	s_delay_alu instid0(VALU_DEP_1) | instskip(NEXT) | instid1(VALU_DEP_1)
	v_max_i32_e32 v5, v4, v5
	v_mul_hi_u32 v6, v5, v112
	s_delay_alu instid0(VALU_DEP_1) | instskip(NEXT) | instid1(VALU_DEP_1)
	v_mul_lo_u32 v6, v6, v30
	v_sub_nc_u32_e32 v5, v5, v6
	s_delay_alu instid0(VALU_DEP_1) | instskip(SKIP_1) | instid1(VALU_DEP_2)
	v_sub_nc_u32_e32 v6, v5, v30
	v_cmp_ge_u32_e32 vcc_lo, v5, v30
	v_cndmask_b32_e32 v5, v5, v6, vcc_lo
	s_delay_alu instid0(VALU_DEP_1) | instskip(SKIP_1) | instid1(VALU_DEP_2)
	v_sub_nc_u32_e32 v6, v5, v30
	v_cmp_ge_u32_e32 vcc_lo, v5, v30
	v_cndmask_b32_e32 v5, v5, v6, vcc_lo
	v_ashrrev_i32_e32 v4, 31, v4
	s_delay_alu instid0(VALU_DEP_1) | instskip(NEXT) | instid1(VALU_DEP_1)
	v_xor_b32_e32 v5, v5, v4
	v_sub_nc_u32_e32 v4, v5, v4
	s_delay_alu instid0(VALU_DEP_1) | instskip(SKIP_3) | instid1(VALU_DEP_1)
	v_cmp_eq_u32_e32 vcc_lo, 0, v4
	scratch_load_b32 v4, off, s32 offset:340 ; 4-byte Folded Reload
	s_waitcnt vmcnt(0)
	v_cmp_gt_i32_e64 s0, v2, v4
	s_or_b32 s0, vcc_lo, s0
	s_delay_alu instid0(SALU_CYCLE_1)
	s_and_saveexec_b32 s10, s0
	s_cbranch_execz .LBB354_1573
; %bb.1575:                             ;   in Loop: Header=BB354_1574 Depth=1
	flat_load_b32 v2, v[7:8]
	ds_load_2addr_b64 v[11:14], v15 offset1:1
	ds_load_2addr_b64 v[48:51], v15 offset0:2 offset1:3
	v_mov_b32_e32 v52, 0
	s_mov_b32 s0, exec_lo
	s_waitcnt lgkmcnt(1)
	;;#ASMSTART
	v_cvt_f16_f32 v37, v11;

	;;#ASMEND
	;;#ASMSTART
	v_cvt_f16_f32 v4, v12;

	;;#ASMEND
	;; [unrolled: 4-line block ×4, first 2 shown]
	s_waitcnt lgkmcnt(0)
	;;#ASMSTART
	v_cvt_f16_f32 v48, v48;

	;;#ASMEND
	;;#ASMSTART
	v_cvt_f16_f32 v6, v49;

	;;#ASMEND
	;; [unrolled: 4-line block ×4, first 2 shown]
	v_mov_b32_e32 v51, 0
	s_waitcnt vmcnt(0)
	v_mad_i64_i32 v[9:10], null, v2, v63, v[0:1]
	s_delay_alu instid0(VALU_DEP_1) | instskip(NEXT) | instid1(VALU_DEP_2)
	v_add_co_u32 v11, vcc_lo, v9, v96
	v_add_co_ci_u32_e32 v12, vcc_lo, 0, v10, vcc_lo
	flat_load_b64 v[13:14], v[11:12]
	flat_load_b32 v50, v[26:27]
	s_waitcnt vmcnt(1) lgkmcnt(1)
	v_and_b32_e32 v2, 0xff, v13
	s_delay_alu instid0(VALU_DEP_1)
	v_cmpx_ne_u16_e32 0, v2
	s_cbranch_execz .LBB354_1583
; %bb.1576:                             ;   in Loop: Header=BB354_1574 Depth=1
	v_bfrev_b32_e32 v51, 1
	s_mov_b32 s12, exec_lo
	v_cmpx_ne_u16_e32 0x80, v2
	s_cbranch_execz .LBB354_1582
; %bb.1577:                             ;   in Loop: Header=BB354_1574 Depth=1
	v_and_b32_e32 v17, 0x7f, v13
	v_mov_b32_e32 v51, 0x7fc02000
	s_mov_b32 s13, exec_lo
	s_delay_alu instid0(VALU_DEP_2)
	v_cmpx_ne_u32_e32 0x7f, v17
	s_cbranch_execz .LBB354_1581
; %bb.1578:                             ;   in Loop: Header=BB354_1574 Depth=1
	v_lshrrev_b32_e32 v2, 3, v17
	v_cmp_gt_u32_e32 vcc_lo, 8, v17
	v_dual_mov_b32 v18, v14 :: v_dual_mov_b32 v17, v13
	s_and_saveexec_b32 s15, vcc_lo
; %bb.1579:                             ;   in Loop: Header=BB354_1574 Depth=1
	v_and_b32_e32 v2, 7, v13
	s_delay_alu instid0(VALU_DEP_1) | instskip(NEXT) | instid1(VALU_DEP_1)
	v_clz_i32_u32_e32 v2, v2
	v_min_u32_e32 v2, 32, v2
	s_delay_alu instid0(VALU_DEP_1) | instskip(SKIP_1) | instid1(VALU_DEP_2)
	v_subrev_nc_u32_e32 v17, 28, v2
	v_sub_nc_u32_e32 v2, 29, v2
	v_lshlrev_b64 v[17:18], v17, v[13:14]
; %bb.1580:                             ;   in Loop: Header=BB354_1574 Depth=1
	s_or_b32 exec_lo, exec_lo, s15
	v_lshlrev_b32_e32 v18, 8, v13
	s_delay_alu instid0(VALU_DEP_3) | instskip(NEXT) | instid1(VALU_DEP_3)
	v_lshl_add_u32 v2, v2, 10, 0x2000
	v_lshlrev_b32_e32 v17, 7, v17
	s_delay_alu instid0(VALU_DEP_2) | instskip(NEXT) | instid1(VALU_DEP_1)
	v_and_or_b32 v2, 0x8000, v18, v2
	v_and_or_b32 v2, 0x380, v17, v2
	s_delay_alu instid0(VALU_DEP_1)
	v_cvt_f32_f16_e32 v51, v2
.LBB354_1581:                           ;   in Loop: Header=BB354_1574 Depth=1
	s_or_b32 exec_lo, exec_lo, s13
.LBB354_1582:                           ;   in Loop: Header=BB354_1574 Depth=1
	s_delay_alu instid0(SALU_CYCLE_1)
	s_or_b32 exec_lo, exec_lo, s12
.LBB354_1583:                           ;   in Loop: Header=BB354_1574 Depth=1
	s_delay_alu instid0(SALU_CYCLE_1) | instskip(SKIP_2) | instid1(VALU_DEP_1)
	s_or_b32 exec_lo, exec_lo, s0
	v_lshrrev_b16 v2, 8, v13
	s_mov_b32 s0, exec_lo
	v_cmpx_ne_u16_e32 0, v2
	s_cbranch_execz .LBB354_1591
; %bb.1584:                             ;   in Loop: Header=BB354_1574 Depth=1
	v_bfrev_b32_e32 v52, 1
	s_mov_b32 s12, exec_lo
	v_cmpx_ne_u16_e32 0x80, v2
	s_cbranch_execz .LBB354_1590
; %bb.1585:                             ;   in Loop: Header=BB354_1574 Depth=1
	v_and_b32_e32 v23, 0xffff, v2
	v_mov_b32_e32 v52, 0x7fc02000
	s_mov_b32 s13, exec_lo
	s_delay_alu instid0(VALU_DEP_2) | instskip(NEXT) | instid1(VALU_DEP_1)
	v_and_b32_e32 v17, 0x7f, v23
	v_cmpx_ne_u32_e32 0x7f, v17
	s_cbranch_execz .LBB354_1589
; %bb.1586:                             ;   in Loop: Header=BB354_1574 Depth=1
	v_and_b32_e32 v2, 7, v23
	v_lshrrev_b32_e32 v52, 3, v17
	v_cmp_gt_u32_e32 vcc_lo, 8, v17
	s_delay_alu instid0(VALU_DEP_3)
	v_dual_mov_b32 v18, v3 :: v_dual_mov_b32 v17, v2
	s_and_saveexec_b32 s15, vcc_lo
; %bb.1587:                             ;   in Loop: Header=BB354_1574 Depth=1
	v_clz_i32_u32_e32 v17, v2
	s_delay_alu instid0(VALU_DEP_1) | instskip(NEXT) | instid1(VALU_DEP_1)
	v_min_u32_e32 v52, 32, v17
	v_subrev_nc_u32_e32 v17, 28, v52
	v_sub_nc_u32_e32 v52, 29, v52
	s_delay_alu instid0(VALU_DEP_2) | instskip(NEXT) | instid1(VALU_DEP_1)
	v_lshlrev_b64 v[17:18], v17, v[2:3]
	v_and_b32_e32 v17, 7, v17
; %bb.1588:                             ;   in Loop: Header=BB354_1574 Depth=1
	s_or_b32 exec_lo, exec_lo, s15
	v_lshlrev_b32_e32 v2, 8, v23
	v_lshl_add_u32 v18, v52, 10, 0x2000
	s_delay_alu instid0(VALU_DEP_1) | instskip(NEXT) | instid1(VALU_DEP_1)
	v_and_or_b32 v2, 0x8000, v2, v18
	v_lshl_or_b32 v2, v17, 7, v2
	s_delay_alu instid0(VALU_DEP_1)
	v_cvt_f32_f16_e32 v52, v2
.LBB354_1589:                           ;   in Loop: Header=BB354_1574 Depth=1
	s_or_b32 exec_lo, exec_lo, s13
.LBB354_1590:                           ;   in Loop: Header=BB354_1574 Depth=1
	s_delay_alu instid0(SALU_CYCLE_1)
	s_or_b32 exec_lo, exec_lo, s12
.LBB354_1591:                           ;   in Loop: Header=BB354_1574 Depth=1
	s_delay_alu instid0(SALU_CYCLE_1) | instskip(SKIP_3) | instid1(VALU_DEP_2)
	s_or_b32 exec_lo, exec_lo, s0
	v_lshrrev_b32_e32 v23, 16, v13
	v_mov_b32_e32 v84, 0
	s_mov_b32 s0, exec_lo
	v_dual_mov_b32 v53, 0 :: v_dual_and_b32 v2, 0xff, v23
	s_delay_alu instid0(VALU_DEP_1)
	v_cmpx_ne_u16_e32 0, v2
	s_cbranch_execz .LBB354_1599
; %bb.1592:                             ;   in Loop: Header=BB354_1574 Depth=1
	v_bfrev_b32_e32 v53, 1
	s_mov_b32 s12, exec_lo
	v_cmpx_ne_u16_e32 0x80, v2
	s_cbranch_execz .LBB354_1598
; %bb.1593:                             ;   in Loop: Header=BB354_1574 Depth=1
	v_bfe_u32 v17, v13, 16, 7
	v_mov_b32_e32 v53, 0x7fc02000
	s_mov_b32 s13, exec_lo
	s_delay_alu instid0(VALU_DEP_2)
	v_cmpx_ne_u32_e32 0x7f, v17
	s_cbranch_execz .LBB354_1597
; %bb.1594:                             ;   in Loop: Header=BB354_1574 Depth=1
	v_and_b32_e32 v2, 7, v23
	v_lshrrev_b32_e32 v53, 3, v17
	v_cmp_gt_u32_e32 vcc_lo, 8, v17
	s_delay_alu instid0(VALU_DEP_3)
	v_dual_mov_b32 v18, v3 :: v_dual_mov_b32 v17, v2
	s_and_saveexec_b32 s15, vcc_lo
; %bb.1595:                             ;   in Loop: Header=BB354_1574 Depth=1
	v_clz_i32_u32_e32 v17, v2
	s_delay_alu instid0(VALU_DEP_1) | instskip(NEXT) | instid1(VALU_DEP_1)
	v_min_u32_e32 v53, 32, v17
	v_subrev_nc_u32_e32 v17, 28, v53
	v_sub_nc_u32_e32 v53, 29, v53
	s_delay_alu instid0(VALU_DEP_2) | instskip(NEXT) | instid1(VALU_DEP_1)
	v_lshlrev_b64 v[17:18], v17, v[2:3]
	v_and_b32_e32 v17, 7, v17
; %bb.1596:                             ;   in Loop: Header=BB354_1574 Depth=1
	s_or_b32 exec_lo, exec_lo, s15
	v_lshlrev_b32_e32 v2, 8, v23
	v_lshl_add_u32 v18, v53, 10, 0x2000
	s_delay_alu instid0(VALU_DEP_1) | instskip(NEXT) | instid1(VALU_DEP_1)
	v_and_or_b32 v2, 0x8000, v2, v18
	v_lshl_or_b32 v2, v17, 7, v2
	s_delay_alu instid0(VALU_DEP_1)
	v_cvt_f32_f16_e32 v53, v2
.LBB354_1597:                           ;   in Loop: Header=BB354_1574 Depth=1
	s_or_b32 exec_lo, exec_lo, s13
.LBB354_1598:                           ;   in Loop: Header=BB354_1574 Depth=1
	s_delay_alu instid0(SALU_CYCLE_1)
	s_or_b32 exec_lo, exec_lo, s12
.LBB354_1599:                           ;   in Loop: Header=BB354_1574 Depth=1
	s_delay_alu instid0(SALU_CYCLE_1) | instskip(NEXT) | instid1(SALU_CYCLE_1)
	s_or_b32 exec_lo, exec_lo, s0
	s_mov_b32 s0, exec_lo
	v_cmpx_lt_u32_e32 0xffffff, v13
	s_cbranch_execz .LBB354_1607
; %bb.1600:                             ;   in Loop: Header=BB354_1574 Depth=1
	v_lshrrev_b32_e32 v23, 24, v13
	v_bfrev_b32_e32 v84, 1
	s_mov_b32 s12, exec_lo
	s_delay_alu instid0(VALU_DEP_2)
	v_cmpx_ne_u32_e32 0x80, v23
	s_cbranch_execz .LBB354_1606
; %bb.1601:                             ;   in Loop: Header=BB354_1574 Depth=1
	v_and_b32_e32 v17, 0x7f, v23
	v_mov_b32_e32 v84, 0x7fc02000
	s_mov_b32 s13, exec_lo
	s_delay_alu instid0(VALU_DEP_2)
	v_cmpx_ne_u32_e32 0x7f, v17
	s_cbranch_execz .LBB354_1605
; %bb.1602:                             ;   in Loop: Header=BB354_1574 Depth=1
	v_and_b32_e32 v2, 7, v23
	v_lshrrev_b32_e32 v84, 3, v17
	v_cmp_gt_u32_e32 vcc_lo, 8, v17
	s_delay_alu instid0(VALU_DEP_3)
	v_dual_mov_b32 v18, v3 :: v_dual_mov_b32 v17, v2
	s_and_saveexec_b32 s15, vcc_lo
; %bb.1603:                             ;   in Loop: Header=BB354_1574 Depth=1
	v_clz_i32_u32_e32 v17, v2
	s_delay_alu instid0(VALU_DEP_1) | instskip(NEXT) | instid1(VALU_DEP_1)
	v_min_u32_e32 v84, 32, v17
	v_subrev_nc_u32_e32 v17, 28, v84
	v_sub_nc_u32_e32 v84, 29, v84
	s_delay_alu instid0(VALU_DEP_2) | instskip(NEXT) | instid1(VALU_DEP_1)
	v_lshlrev_b64 v[17:18], v17, v[2:3]
	v_and_b32_e32 v17, 7, v17
; %bb.1604:                             ;   in Loop: Header=BB354_1574 Depth=1
	s_or_b32 exec_lo, exec_lo, s15
	v_lshlrev_b32_e32 v2, 8, v23
	v_lshl_add_u32 v18, v84, 10, 0x2000
	s_delay_alu instid0(VALU_DEP_1) | instskip(NEXT) | instid1(VALU_DEP_1)
	v_and_or_b32 v2, 0x8000, v2, v18
	v_lshl_or_b32 v2, v17, 7, v2
	s_delay_alu instid0(VALU_DEP_1)
	v_cvt_f32_f16_e32 v84, v2
.LBB354_1605:                           ;   in Loop: Header=BB354_1574 Depth=1
	s_or_b32 exec_lo, exec_lo, s13
.LBB354_1606:                           ;   in Loop: Header=BB354_1574 Depth=1
	s_delay_alu instid0(SALU_CYCLE_1)
	s_or_b32 exec_lo, exec_lo, s12
.LBB354_1607:                           ;   in Loop: Header=BB354_1574 Depth=1
	s_delay_alu instid0(SALU_CYCLE_1) | instskip(SKIP_4) | instid1(VALU_DEP_3)
	s_or_b32 exec_lo, exec_lo, s0
	v_dual_mov_b32 v2, v14 :: v_dual_and_b32 v17, 0xff, v14
	v_mov_b32_e32 v85, 0
	v_mov_b32_e32 v23, 0
	s_mov_b32 s0, exec_lo
	v_cmpx_ne_u16_e32 0, v17
	s_cbranch_execz .LBB354_1615
; %bb.1608:                             ;   in Loop: Header=BB354_1574 Depth=1
	v_bfrev_b32_e32 v23, 1
	s_mov_b32 s12, exec_lo
	v_cmpx_ne_u16_e32 0x80, v17
	s_cbranch_execz .LBB354_1614
; %bb.1609:                             ;   in Loop: Header=BB354_1574 Depth=1
	v_and_b32_e32 v17, 0x7f, v14
	v_mov_b32_e32 v23, 0x7fc02000
	s_mov_b32 s13, exec_lo
	s_delay_alu instid0(VALU_DEP_2)
	v_cmpx_ne_u32_e32 0x7f, v17
	s_cbranch_execz .LBB354_1613
; %bb.1610:                             ;   in Loop: Header=BB354_1574 Depth=1
	v_lshrrev_b32_e32 v23, 3, v17
	v_cmp_gt_u32_e32 vcc_lo, 8, v17
	v_dual_mov_b32 v18, v3 :: v_dual_mov_b32 v17, v2
	s_and_saveexec_b32 s15, vcc_lo
; %bb.1611:                             ;   in Loop: Header=BB354_1574 Depth=1
	v_and_b32_e32 v17, 7, v14
	s_delay_alu instid0(VALU_DEP_1) | instskip(NEXT) | instid1(VALU_DEP_1)
	v_clz_i32_u32_e32 v17, v17
	v_min_u32_e32 v23, 32, v17
	s_delay_alu instid0(VALU_DEP_1) | instskip(SKIP_1) | instid1(VALU_DEP_2)
	v_subrev_nc_u32_e32 v17, 28, v23
	v_sub_nc_u32_e32 v23, 29, v23
	v_lshlrev_b64 v[17:18], v17, v[2:3]
; %bb.1612:                             ;   in Loop: Header=BB354_1574 Depth=1
	s_or_b32 exec_lo, exec_lo, s15
	v_lshlrev_b32_e32 v18, 8, v14
	s_delay_alu instid0(VALU_DEP_3) | instskip(NEXT) | instid1(VALU_DEP_3)
	v_lshl_add_u32 v23, v23, 10, 0x2000
	v_lshlrev_b32_e32 v17, 7, v17
	s_delay_alu instid0(VALU_DEP_2) | instskip(NEXT) | instid1(VALU_DEP_1)
	v_and_or_b32 v18, 0x8000, v18, v23
	v_and_or_b32 v17, 0x380, v17, v18
	s_delay_alu instid0(VALU_DEP_1)
	v_cvt_f32_f16_e32 v23, v17
.LBB354_1613:                           ;   in Loop: Header=BB354_1574 Depth=1
	s_or_b32 exec_lo, exec_lo, s13
.LBB354_1614:                           ;   in Loop: Header=BB354_1574 Depth=1
	s_delay_alu instid0(SALU_CYCLE_1)
	s_or_b32 exec_lo, exec_lo, s12
.LBB354_1615:                           ;   in Loop: Header=BB354_1574 Depth=1
	s_delay_alu instid0(SALU_CYCLE_1) | instskip(SKIP_2) | instid1(VALU_DEP_1)
	s_or_b32 exec_lo, exec_lo, s0
	v_lshrrev_b16 v2, 8, v2
	s_mov_b32 s0, exec_lo
	v_cmpx_ne_u16_e32 0, v2
	s_cbranch_execz .LBB354_1623
; %bb.1616:                             ;   in Loop: Header=BB354_1574 Depth=1
	v_bfrev_b32_e32 v85, 1
	s_mov_b32 s12, exec_lo
	v_cmpx_ne_u16_e32 0x80, v2
	s_cbranch_execz .LBB354_1622
; %bb.1617:                             ;   in Loop: Header=BB354_1574 Depth=1
	v_and_b32_e32 v113, 0xffff, v2
	v_mov_b32_e32 v85, 0x7fc02000
	s_mov_b32 s13, exec_lo
	s_delay_alu instid0(VALU_DEP_2) | instskip(NEXT) | instid1(VALU_DEP_1)
	v_and_b32_e32 v17, 0x7f, v113
	v_cmpx_ne_u32_e32 0x7f, v17
	s_cbranch_execz .LBB354_1621
; %bb.1618:                             ;   in Loop: Header=BB354_1574 Depth=1
	v_and_b32_e32 v2, 7, v113
	v_lshrrev_b32_e32 v85, 3, v17
	v_cmp_gt_u32_e32 vcc_lo, 8, v17
	s_delay_alu instid0(VALU_DEP_3)
	v_dual_mov_b32 v18, v3 :: v_dual_mov_b32 v17, v2
	s_and_saveexec_b32 s15, vcc_lo
; %bb.1619:                             ;   in Loop: Header=BB354_1574 Depth=1
	v_clz_i32_u32_e32 v17, v2
	s_delay_alu instid0(VALU_DEP_1) | instskip(NEXT) | instid1(VALU_DEP_1)
	v_min_u32_e32 v85, 32, v17
	v_subrev_nc_u32_e32 v17, 28, v85
	v_sub_nc_u32_e32 v85, 29, v85
	s_delay_alu instid0(VALU_DEP_2) | instskip(NEXT) | instid1(VALU_DEP_1)
	v_lshlrev_b64 v[17:18], v17, v[2:3]
	v_and_b32_e32 v17, 7, v17
; %bb.1620:                             ;   in Loop: Header=BB354_1574 Depth=1
	s_or_b32 exec_lo, exec_lo, s15
	v_lshlrev_b32_e32 v2, 8, v113
	v_lshl_add_u32 v18, v85, 10, 0x2000
	s_delay_alu instid0(VALU_DEP_1) | instskip(NEXT) | instid1(VALU_DEP_1)
	v_and_or_b32 v2, 0x8000, v2, v18
	v_lshl_or_b32 v2, v17, 7, v2
	s_delay_alu instid0(VALU_DEP_1)
	v_cvt_f32_f16_e32 v85, v2
.LBB354_1621:                           ;   in Loop: Header=BB354_1574 Depth=1
	s_or_b32 exec_lo, exec_lo, s13
.LBB354_1622:                           ;   in Loop: Header=BB354_1574 Depth=1
	s_delay_alu instid0(SALU_CYCLE_1)
	s_or_b32 exec_lo, exec_lo, s12
.LBB354_1623:                           ;   in Loop: Header=BB354_1574 Depth=1
	s_delay_alu instid0(SALU_CYCLE_1) | instskip(SKIP_3) | instid1(VALU_DEP_2)
	s_or_b32 exec_lo, exec_lo, s0
	v_lshrrev_b32_e32 v114, 16, v14
	v_mov_b32_e32 v17, 0
	s_mov_b32 s0, exec_lo
	v_dual_mov_b32 v113, 0 :: v_dual_and_b32 v2, 0xff, v114
	s_delay_alu instid0(VALU_DEP_1)
	v_cmpx_ne_u16_e32 0, v2
	s_cbranch_execz .LBB354_1631
; %bb.1624:                             ;   in Loop: Header=BB354_1574 Depth=1
	v_bfrev_b32_e32 v17, 1
	s_mov_b32 s12, exec_lo
	v_cmpx_ne_u16_e32 0x80, v2
	s_cbranch_execz .LBB354_1630
; %bb.1625:                             ;   in Loop: Header=BB354_1574 Depth=1
	v_bfe_u32 v18, v14, 16, 7
	v_mov_b32_e32 v17, 0x7fc02000
	s_mov_b32 s13, exec_lo
	s_delay_alu instid0(VALU_DEP_2)
	v_cmpx_ne_u32_e32 0x7f, v18
	s_cbranch_execz .LBB354_1629
; %bb.1626:                             ;   in Loop: Header=BB354_1574 Depth=1
	v_and_b32_e32 v2, 7, v114
	v_lshrrev_b32_e32 v115, 3, v18
	v_cmp_gt_u32_e32 vcc_lo, 8, v18
	s_delay_alu instid0(VALU_DEP_3)
	v_dual_mov_b32 v18, v3 :: v_dual_mov_b32 v17, v2
	s_and_saveexec_b32 s15, vcc_lo
; %bb.1627:                             ;   in Loop: Header=BB354_1574 Depth=1
	v_clz_i32_u32_e32 v17, v2
	s_delay_alu instid0(VALU_DEP_1) | instskip(NEXT) | instid1(VALU_DEP_1)
	v_min_u32_e32 v115, 32, v17
	v_subrev_nc_u32_e32 v17, 28, v115
	v_sub_nc_u32_e32 v115, 29, v115
	s_delay_alu instid0(VALU_DEP_2) | instskip(NEXT) | instid1(VALU_DEP_1)
	v_lshlrev_b64 v[17:18], v17, v[2:3]
	v_and_b32_e32 v17, 7, v17
; %bb.1628:                             ;   in Loop: Header=BB354_1574 Depth=1
	s_or_b32 exec_lo, exec_lo, s15
	v_lshlrev_b32_e32 v2, 8, v114
	v_lshl_add_u32 v18, v115, 10, 0x2000
	s_delay_alu instid0(VALU_DEP_1) | instskip(NEXT) | instid1(VALU_DEP_1)
	v_and_or_b32 v2, 0x8000, v2, v18
	v_lshl_or_b32 v2, v17, 7, v2
	s_delay_alu instid0(VALU_DEP_1)
	v_cvt_f32_f16_e32 v17, v2
.LBB354_1629:                           ;   in Loop: Header=BB354_1574 Depth=1
	s_or_b32 exec_lo, exec_lo, s13
.LBB354_1630:                           ;   in Loop: Header=BB354_1574 Depth=1
	s_delay_alu instid0(SALU_CYCLE_1)
	s_or_b32 exec_lo, exec_lo, s12
.LBB354_1631:                           ;   in Loop: Header=BB354_1574 Depth=1
	s_delay_alu instid0(SALU_CYCLE_1) | instskip(NEXT) | instid1(SALU_CYCLE_1)
	s_or_b32 exec_lo, exec_lo, s0
	s_mov_b32 s0, exec_lo
	v_cmpx_lt_u64_e64 s[8:9], v[13:14]
	s_cbranch_execz .LBB354_1639
; %bb.1632:                             ;   in Loop: Header=BB354_1574 Depth=1
	v_lshrrev_b32_e32 v18, 24, v14
	v_bfrev_b32_e32 v113, 1
	s_mov_b32 s12, exec_lo
	s_delay_alu instid0(VALU_DEP_2)
	v_cmpx_ne_u32_e32 0x80, v18
	s_cbranch_execz .LBB354_1638
; %bb.1633:                             ;   in Loop: Header=BB354_1574 Depth=1
	v_and_b32_e32 v13, 0x7f, v18
	v_mov_b32_e32 v113, 0x7fc02000
	s_mov_b32 s13, exec_lo
	s_delay_alu instid0(VALU_DEP_2)
	v_cmpx_ne_u32_e32 0x7f, v13
	s_cbranch_execz .LBB354_1637
; %bb.1634:                             ;   in Loop: Header=BB354_1574 Depth=1
	v_and_b32_e32 v2, 7, v18
	v_lshrrev_b32_e32 v113, 3, v13
	v_cmp_gt_u32_e32 vcc_lo, 8, v13
	s_delay_alu instid0(VALU_DEP_3)
	v_dual_mov_b32 v14, v3 :: v_dual_mov_b32 v13, v2
	s_and_saveexec_b32 s15, vcc_lo
; %bb.1635:                             ;   in Loop: Header=BB354_1574 Depth=1
	v_clz_i32_u32_e32 v13, v2
	s_delay_alu instid0(VALU_DEP_1) | instskip(NEXT) | instid1(VALU_DEP_1)
	v_min_u32_e32 v113, 32, v13
	v_subrev_nc_u32_e32 v13, 28, v113
	v_sub_nc_u32_e32 v113, 29, v113
	s_delay_alu instid0(VALU_DEP_2) | instskip(NEXT) | instid1(VALU_DEP_1)
	v_lshlrev_b64 v[13:14], v13, v[2:3]
	v_and_b32_e32 v13, 7, v13
; %bb.1636:                             ;   in Loop: Header=BB354_1574 Depth=1
	s_or_b32 exec_lo, exec_lo, s15
	v_lshlrev_b32_e32 v2, 8, v18
	v_lshl_add_u32 v14, v113, 10, 0x2000
	s_delay_alu instid0(VALU_DEP_1) | instskip(NEXT) | instid1(VALU_DEP_1)
	v_and_or_b32 v2, 0x8000, v2, v14
	v_lshl_or_b32 v2, v13, 7, v2
	s_delay_alu instid0(VALU_DEP_1)
	v_cvt_f32_f16_e32 v113, v2
.LBB354_1637:                           ;   in Loop: Header=BB354_1574 Depth=1
	s_or_b32 exec_lo, exec_lo, s13
.LBB354_1638:                           ;   in Loop: Header=BB354_1574 Depth=1
	s_delay_alu instid0(SALU_CYCLE_1)
	s_or_b32 exec_lo, exec_lo, s12
.LBB354_1639:                           ;   in Loop: Header=BB354_1574 Depth=1
	s_delay_alu instid0(SALU_CYCLE_1)
	s_or_b32 exec_lo, exec_lo, s0
	s_waitcnt vmcnt(0) lgkmcnt(0)
	v_fma_mixlo_f16 v14, v50, v52, 0
	v_fma_mixlo_f16 v2, v50, v84, 0
	v_fma_mixlo_f16 v13, v50, v53, 0
	v_fma_mixlo_f16 v23, v50, v23, 0
	v_fma_mixlo_f16 v52, v50, v113, 0
	v_lshlrev_b32_e32 v18, 16, v14
	v_fma_mixlo_f16 v14, v50, v51, 0
	v_fma_mixlo_f16 v51, v50, v85, 0
	;; [unrolled: 1-line block ×3, first 2 shown]
	v_add_nc_u32_e32 v119, v64, v77
	v_lshlrev_b32_e32 v2, 16, v2
	v_and_b32_e32 v13, 0xffff, v13
	v_and_b32_e32 v50, 0xffff, v14
	v_lshlrev_b32_e32 v51, 16, v51
	v_and_b32_e32 v23, 0xffff, v23
	v_lshlrev_b32_e32 v52, 16, v52
	v_and_b32_e32 v53, 0xffff, v17
	v_cmp_eq_u32_e32 vcc_lo, v54, v75
	v_or_b32_e32 v14, v2, v13
	v_or_b32_e32 v18, v18, v50
	v_or_b32_e32 v2, v51, v23
	v_or_b32_e32 v13, v52, v53
	v_add_nc_u32_e32 v134, 1, v119
	v_or_b32_e32 v133, 3, v119
	v_or_b32_e32 v132, 2, v119
	;; [unrolled: 1-line block ×6, first 2 shown]
	s_and_saveexec_b32 s12, vcc_lo
	s_cbranch_execz .LBB354_1641
; %bb.1640:                             ;   in Loop: Header=BB354_1574 Depth=1
	v_cmp_lt_i32_e64 s0, v119, v38
	v_lshrrev_b32_e32 v23, 16, v18
	v_lshrrev_b32_e32 v50, 16, v14
	v_lshrrev_b32_e32 v51, 16, v2
	v_lshrrev_b32_e32 v13, 16, v13
	v_cndmask_b32_e64 v18, 0, v18, s0
	v_cmp_lt_i32_e64 s0, v134, v55
	s_delay_alu instid0(VALU_DEP_1) | instskip(SKIP_1) | instid1(VALU_DEP_2)
	v_cndmask_b32_e64 v23, 0, v23, s0
	v_cmp_lt_i32_e64 s0, v133, v55
	v_perm_b32 v18, v23, v18, 0x5040100
	s_delay_alu instid0(VALU_DEP_2) | instskip(SKIP_1) | instid1(VALU_DEP_1)
	v_cndmask_b32_e64 v50, 0, v50, s0
	v_cmp_lt_i32_e64 s0, v132, v38
	v_cndmask_b32_e64 v14, 0, v14, s0
	v_cmp_lt_i32_e64 s0, v131, v55
	s_delay_alu instid0(VALU_DEP_2) | instskip(NEXT) | instid1(VALU_DEP_2)
	v_perm_b32 v14, v50, v14, 0x5040100
	v_cndmask_b32_e64 v51, 0, v51, s0
	v_cmp_lt_i32_e64 s0, v130, v38
	s_delay_alu instid0(VALU_DEP_1) | instskip(SKIP_1) | instid1(VALU_DEP_2)
	v_cndmask_b32_e64 v2, 0, v2, s0
	v_cmp_lt_i32_e64 s0, v129, v55
	v_perm_b32 v2, v51, v2, 0x5040100
	s_delay_alu instid0(VALU_DEP_2) | instskip(SKIP_1) | instid1(VALU_DEP_1)
	v_cndmask_b32_e64 v13, 0, v13, s0
	v_cmp_lt_i32_e64 s0, v128, v38
	v_cndmask_b32_e64 v17, 0, v17, s0
	s_delay_alu instid0(VALU_DEP_1)
	v_perm_b32 v13, v13, v17, 0x5040100
.LBB354_1641:                           ;   in Loop: Header=BB354_1574 Depth=1
	s_or_b32 exec_lo, exec_lo, s12
	v_and_b32_e32 v17, 0xffff, v37
	v_and_b32_e32 v23, 0xffff, v39
	;; [unrolled: 1-line block ×4, first 2 shown]
	s_mov_b32 s12, exec_lo
	v_lshl_or_b32 v118, v4, 16, v17
	v_lshl_or_b32 v117, v5, 16, v23
	v_lshl_or_b32 v116, v6, 16, v37
	;;#ASMSTART
	v_pk_mul_f16 v4, v118, v18;

	;;#ASMEND
	;;#ASMSTART
	v_pk_mul_f16 v5, v117, v14;

	;;#ASMEND
	;; [unrolled: 4-line block ×3, first 2 shown]
	v_lshl_or_b32 v115, v22, 16, v39
	;;#ASMSTART
	v_pk_mul_f16 v6, v115, v13;

	;;#ASMEND
	;;#ASMSTART
	v_pk_add_f16 v4, v4, v5;

	;;#ASMEND
	;;#ASMSTART
	v_pk_add_f16 v2, v4, v2;
	;; [unrolled: 4-line block ×3, first 2 shown]

	;;#ASMEND
	v_mov_b32_e32 v6, 0
	v_dual_mov_b32 v5, 0 :: v_dual_and_b32 v4, 0xffff, v2
	v_lshrrev_b32_e32 v2, 16, v2
	;;#ASMSTART
	v_cvt_f32_f16 v113, v4;
	;;#ASMEND
	;;#ASMSTART
	v_cvt_f32_f16 v114, v2;
	;;#ASMEND
	flat_load_b64 v[13:14], v[11:12] offset:256
	flat_load_b32 v4, v[26:27]
	s_waitcnt vmcnt(1) lgkmcnt(1)
	v_and_b32_e32 v2, 0xff, v13
	s_delay_alu instid0(VALU_DEP_1)
	v_cmpx_ne_u16_e32 0, v2
	s_cbranch_execz .LBB354_1649
; %bb.1642:                             ;   in Loop: Header=BB354_1574 Depth=1
	v_bfrev_b32_e32 v5, 1
	s_mov_b32 s13, exec_lo
	v_cmpx_ne_u16_e32 0x80, v2
	s_cbranch_execz .LBB354_1648
; %bb.1643:                             ;   in Loop: Header=BB354_1574 Depth=1
	v_and_b32_e32 v17, 0x7f, v13
	v_mov_b32_e32 v5, 0x7fc02000
	s_mov_b32 s15, exec_lo
	s_delay_alu instid0(VALU_DEP_2)
	v_cmpx_ne_u32_e32 0x7f, v17
	s_cbranch_execz .LBB354_1647
; %bb.1644:                             ;   in Loop: Header=BB354_1574 Depth=1
	v_lshrrev_b32_e32 v2, 3, v17
	v_cmp_gt_u32_e64 s0, 8, v17
	v_dual_mov_b32 v18, v14 :: v_dual_mov_b32 v17, v13
	s_delay_alu instid0(VALU_DEP_2)
	s_and_saveexec_b32 s16, s0
; %bb.1645:                             ;   in Loop: Header=BB354_1574 Depth=1
	v_and_b32_e32 v2, 7, v13
	s_delay_alu instid0(VALU_DEP_1) | instskip(NEXT) | instid1(VALU_DEP_1)
	v_clz_i32_u32_e32 v2, v2
	v_min_u32_e32 v2, 32, v2
	s_delay_alu instid0(VALU_DEP_1) | instskip(SKIP_1) | instid1(VALU_DEP_2)
	v_subrev_nc_u32_e32 v5, 28, v2
	v_sub_nc_u32_e32 v2, 29, v2
	v_lshlrev_b64 v[17:18], v5, v[13:14]
; %bb.1646:                             ;   in Loop: Header=BB354_1574 Depth=1
	s_or_b32 exec_lo, exec_lo, s16
	v_lshlrev_b32_e32 v5, 8, v13
	s_delay_alu instid0(VALU_DEP_3) | instskip(NEXT) | instid1(VALU_DEP_3)
	v_lshl_add_u32 v2, v2, 10, 0x2000
	v_lshlrev_b32_e32 v17, 7, v17
	s_delay_alu instid0(VALU_DEP_2) | instskip(NEXT) | instid1(VALU_DEP_1)
	v_and_or_b32 v2, 0x8000, v5, v2
	v_and_or_b32 v2, 0x380, v17, v2
	s_delay_alu instid0(VALU_DEP_1)
	v_cvt_f32_f16_e32 v5, v2
.LBB354_1647:                           ;   in Loop: Header=BB354_1574 Depth=1
	s_or_b32 exec_lo, exec_lo, s15
.LBB354_1648:                           ;   in Loop: Header=BB354_1574 Depth=1
	s_delay_alu instid0(SALU_CYCLE_1)
	s_or_b32 exec_lo, exec_lo, s13
.LBB354_1649:                           ;   in Loop: Header=BB354_1574 Depth=1
	s_delay_alu instid0(SALU_CYCLE_1) | instskip(SKIP_2) | instid1(VALU_DEP_1)
	s_or_b32 exec_lo, exec_lo, s12
	v_lshrrev_b16 v2, 8, v13
	s_mov_b32 s12, exec_lo
	v_cmpx_ne_u16_e32 0, v2
	s_cbranch_execz .LBB354_1657
; %bb.1650:                             ;   in Loop: Header=BB354_1574 Depth=1
	v_bfrev_b32_e32 v6, 1
	s_mov_b32 s13, exec_lo
	v_cmpx_ne_u16_e32 0x80, v2
	s_cbranch_execz .LBB354_1656
; %bb.1651:                             ;   in Loop: Header=BB354_1574 Depth=1
	v_and_b32_e32 v22, 0xffff, v2
	v_mov_b32_e32 v6, 0x7fc02000
	s_mov_b32 s15, exec_lo
	s_delay_alu instid0(VALU_DEP_2) | instskip(NEXT) | instid1(VALU_DEP_1)
	v_and_b32_e32 v17, 0x7f, v22
	v_cmpx_ne_u32_e32 0x7f, v17
	s_cbranch_execz .LBB354_1655
; %bb.1652:                             ;   in Loop: Header=BB354_1574 Depth=1
	v_and_b32_e32 v2, 7, v22
	v_lshrrev_b32_e32 v6, 3, v17
	v_cmp_gt_u32_e64 s0, 8, v17
	s_delay_alu instid0(VALU_DEP_3) | instskip(NEXT) | instid1(VALU_DEP_2)
	v_dual_mov_b32 v18, v3 :: v_dual_mov_b32 v17, v2
	s_and_saveexec_b32 s16, s0
; %bb.1653:                             ;   in Loop: Header=BB354_1574 Depth=1
	v_clz_i32_u32_e32 v6, v2
	s_delay_alu instid0(VALU_DEP_1) | instskip(NEXT) | instid1(VALU_DEP_1)
	v_min_u32_e32 v6, 32, v6
	v_subrev_nc_u32_e32 v17, 28, v6
	v_sub_nc_u32_e32 v6, 29, v6
	s_delay_alu instid0(VALU_DEP_2) | instskip(NEXT) | instid1(VALU_DEP_1)
	v_lshlrev_b64 v[17:18], v17, v[2:3]
	v_and_b32_e32 v17, 7, v17
; %bb.1654:                             ;   in Loop: Header=BB354_1574 Depth=1
	s_or_b32 exec_lo, exec_lo, s16
	v_lshlrev_b32_e32 v2, 8, v22
	v_lshl_add_u32 v6, v6, 10, 0x2000
	s_delay_alu instid0(VALU_DEP_1) | instskip(NEXT) | instid1(VALU_DEP_1)
	v_and_or_b32 v2, 0x8000, v2, v6
	v_lshl_or_b32 v2, v17, 7, v2
	s_delay_alu instid0(VALU_DEP_1)
	v_cvt_f32_f16_e32 v6, v2
.LBB354_1655:                           ;   in Loop: Header=BB354_1574 Depth=1
	s_or_b32 exec_lo, exec_lo, s15
.LBB354_1656:                           ;   in Loop: Header=BB354_1574 Depth=1
	s_delay_alu instid0(SALU_CYCLE_1)
	s_or_b32 exec_lo, exec_lo, s13
.LBB354_1657:                           ;   in Loop: Header=BB354_1574 Depth=1
	s_delay_alu instid0(SALU_CYCLE_1) | instskip(SKIP_3) | instid1(VALU_DEP_2)
	s_or_b32 exec_lo, exec_lo, s12
	v_lshrrev_b32_e32 v23, 16, v13
	v_mov_b32_e32 v22, 0
	s_mov_b32 s12, exec_lo
	v_dual_mov_b32 v37, 0 :: v_dual_and_b32 v2, 0xff, v23
	s_delay_alu instid0(VALU_DEP_1)
	v_cmpx_ne_u16_e32 0, v2
	s_cbranch_execz .LBB354_1665
; %bb.1658:                             ;   in Loop: Header=BB354_1574 Depth=1
	v_bfrev_b32_e32 v22, 1
	s_mov_b32 s13, exec_lo
	v_cmpx_ne_u16_e32 0x80, v2
	s_cbranch_execz .LBB354_1664
; %bb.1659:                             ;   in Loop: Header=BB354_1574 Depth=1
	v_bfe_u32 v17, v13, 16, 7
	v_mov_b32_e32 v22, 0x7fc02000
	s_mov_b32 s15, exec_lo
	s_delay_alu instid0(VALU_DEP_2)
	v_cmpx_ne_u32_e32 0x7f, v17
	s_cbranch_execz .LBB354_1663
; %bb.1660:                             ;   in Loop: Header=BB354_1574 Depth=1
	v_and_b32_e32 v2, 7, v23
	v_lshrrev_b32_e32 v22, 3, v17
	v_cmp_gt_u32_e64 s0, 8, v17
	s_delay_alu instid0(VALU_DEP_3) | instskip(NEXT) | instid1(VALU_DEP_2)
	v_dual_mov_b32 v18, v3 :: v_dual_mov_b32 v17, v2
	s_and_saveexec_b32 s16, s0
; %bb.1661:                             ;   in Loop: Header=BB354_1574 Depth=1
	v_clz_i32_u32_e32 v17, v2
	s_delay_alu instid0(VALU_DEP_1) | instskip(NEXT) | instid1(VALU_DEP_1)
	v_min_u32_e32 v22, 32, v17
	v_subrev_nc_u32_e32 v17, 28, v22
	v_sub_nc_u32_e32 v22, 29, v22
	s_delay_alu instid0(VALU_DEP_2) | instskip(NEXT) | instid1(VALU_DEP_1)
	v_lshlrev_b64 v[17:18], v17, v[2:3]
	v_and_b32_e32 v17, 7, v17
; %bb.1662:                             ;   in Loop: Header=BB354_1574 Depth=1
	s_or_b32 exec_lo, exec_lo, s16
	v_lshlrev_b32_e32 v2, 8, v23
	v_lshl_add_u32 v18, v22, 10, 0x2000
	s_delay_alu instid0(VALU_DEP_1) | instskip(NEXT) | instid1(VALU_DEP_1)
	v_and_or_b32 v2, 0x8000, v2, v18
	v_lshl_or_b32 v2, v17, 7, v2
	s_delay_alu instid0(VALU_DEP_1)
	v_cvt_f32_f16_e32 v22, v2
.LBB354_1663:                           ;   in Loop: Header=BB354_1574 Depth=1
	s_or_b32 exec_lo, exec_lo, s15
.LBB354_1664:                           ;   in Loop: Header=BB354_1574 Depth=1
	s_delay_alu instid0(SALU_CYCLE_1)
	s_or_b32 exec_lo, exec_lo, s13
.LBB354_1665:                           ;   in Loop: Header=BB354_1574 Depth=1
	s_delay_alu instid0(SALU_CYCLE_1) | instskip(NEXT) | instid1(SALU_CYCLE_1)
	s_or_b32 exec_lo, exec_lo, s12
	s_mov_b32 s12, exec_lo
	v_cmpx_lt_u32_e32 0xffffff, v13
	s_cbranch_execz .LBB354_1673
; %bb.1666:                             ;   in Loop: Header=BB354_1574 Depth=1
	v_lshrrev_b32_e32 v23, 24, v13
	v_bfrev_b32_e32 v37, 1
	s_mov_b32 s13, exec_lo
	s_delay_alu instid0(VALU_DEP_2)
	v_cmpx_ne_u32_e32 0x80, v23
	s_cbranch_execz .LBB354_1672
; %bb.1667:                             ;   in Loop: Header=BB354_1574 Depth=1
	v_and_b32_e32 v17, 0x7f, v23
	v_mov_b32_e32 v37, 0x7fc02000
	s_mov_b32 s15, exec_lo
	s_delay_alu instid0(VALU_DEP_2)
	v_cmpx_ne_u32_e32 0x7f, v17
	s_cbranch_execz .LBB354_1671
; %bb.1668:                             ;   in Loop: Header=BB354_1574 Depth=1
	v_and_b32_e32 v2, 7, v23
	v_lshrrev_b32_e32 v37, 3, v17
	v_cmp_gt_u32_e64 s0, 8, v17
	s_delay_alu instid0(VALU_DEP_3) | instskip(NEXT) | instid1(VALU_DEP_2)
	v_dual_mov_b32 v18, v3 :: v_dual_mov_b32 v17, v2
	s_and_saveexec_b32 s16, s0
; %bb.1669:                             ;   in Loop: Header=BB354_1574 Depth=1
	v_clz_i32_u32_e32 v17, v2
	s_delay_alu instid0(VALU_DEP_1) | instskip(NEXT) | instid1(VALU_DEP_1)
	v_min_u32_e32 v37, 32, v17
	v_subrev_nc_u32_e32 v17, 28, v37
	v_sub_nc_u32_e32 v37, 29, v37
	s_delay_alu instid0(VALU_DEP_2) | instskip(NEXT) | instid1(VALU_DEP_1)
	v_lshlrev_b64 v[17:18], v17, v[2:3]
	v_and_b32_e32 v17, 7, v17
; %bb.1670:                             ;   in Loop: Header=BB354_1574 Depth=1
	s_or_b32 exec_lo, exec_lo, s16
	v_lshlrev_b32_e32 v2, 8, v23
	v_lshl_add_u32 v18, v37, 10, 0x2000
	s_delay_alu instid0(VALU_DEP_1) | instskip(NEXT) | instid1(VALU_DEP_1)
	v_and_or_b32 v2, 0x8000, v2, v18
	v_lshl_or_b32 v2, v17, 7, v2
	s_delay_alu instid0(VALU_DEP_1)
	v_cvt_f32_f16_e32 v37, v2
.LBB354_1671:                           ;   in Loop: Header=BB354_1574 Depth=1
	s_or_b32 exec_lo, exec_lo, s15
.LBB354_1672:                           ;   in Loop: Header=BB354_1574 Depth=1
	s_delay_alu instid0(SALU_CYCLE_1)
	s_or_b32 exec_lo, exec_lo, s13
.LBB354_1673:                           ;   in Loop: Header=BB354_1574 Depth=1
	s_delay_alu instid0(SALU_CYCLE_1) | instskip(SKIP_4) | instid1(VALU_DEP_3)
	s_or_b32 exec_lo, exec_lo, s12
	v_dual_mov_b32 v2, v14 :: v_dual_and_b32 v17, 0xff, v14
	v_mov_b32_e32 v39, 0
	v_mov_b32_e32 v23, 0
	s_mov_b32 s12, exec_lo
	v_cmpx_ne_u16_e32 0, v17
	s_cbranch_execz .LBB354_1681
; %bb.1674:                             ;   in Loop: Header=BB354_1574 Depth=1
	v_bfrev_b32_e32 v23, 1
	s_mov_b32 s13, exec_lo
	v_cmpx_ne_u16_e32 0x80, v17
	s_cbranch_execz .LBB354_1680
; %bb.1675:                             ;   in Loop: Header=BB354_1574 Depth=1
	v_and_b32_e32 v17, 0x7f, v14
	v_mov_b32_e32 v23, 0x7fc02000
	s_mov_b32 s15, exec_lo
	s_delay_alu instid0(VALU_DEP_2)
	v_cmpx_ne_u32_e32 0x7f, v17
	s_cbranch_execz .LBB354_1679
; %bb.1676:                             ;   in Loop: Header=BB354_1574 Depth=1
	v_lshrrev_b32_e32 v23, 3, v17
	v_cmp_gt_u32_e64 s0, 8, v17
	v_dual_mov_b32 v18, v3 :: v_dual_mov_b32 v17, v2
	s_delay_alu instid0(VALU_DEP_2)
	s_and_saveexec_b32 s16, s0
; %bb.1677:                             ;   in Loop: Header=BB354_1574 Depth=1
	v_and_b32_e32 v17, 7, v14
	s_delay_alu instid0(VALU_DEP_1) | instskip(NEXT) | instid1(VALU_DEP_1)
	v_clz_i32_u32_e32 v17, v17
	v_min_u32_e32 v23, 32, v17
	s_delay_alu instid0(VALU_DEP_1) | instskip(SKIP_1) | instid1(VALU_DEP_2)
	v_subrev_nc_u32_e32 v17, 28, v23
	v_sub_nc_u32_e32 v23, 29, v23
	v_lshlrev_b64 v[17:18], v17, v[2:3]
; %bb.1678:                             ;   in Loop: Header=BB354_1574 Depth=1
	s_or_b32 exec_lo, exec_lo, s16
	v_lshlrev_b32_e32 v18, 8, v14
	s_delay_alu instid0(VALU_DEP_3) | instskip(NEXT) | instid1(VALU_DEP_3)
	v_lshl_add_u32 v23, v23, 10, 0x2000
	v_lshlrev_b32_e32 v17, 7, v17
	s_delay_alu instid0(VALU_DEP_2) | instskip(NEXT) | instid1(VALU_DEP_1)
	v_and_or_b32 v18, 0x8000, v18, v23
	v_and_or_b32 v17, 0x380, v17, v18
	s_delay_alu instid0(VALU_DEP_1)
	v_cvt_f32_f16_e32 v23, v17
.LBB354_1679:                           ;   in Loop: Header=BB354_1574 Depth=1
	s_or_b32 exec_lo, exec_lo, s15
.LBB354_1680:                           ;   in Loop: Header=BB354_1574 Depth=1
	s_delay_alu instid0(SALU_CYCLE_1)
	s_or_b32 exec_lo, exec_lo, s13
.LBB354_1681:                           ;   in Loop: Header=BB354_1574 Depth=1
	s_delay_alu instid0(SALU_CYCLE_1) | instskip(SKIP_2) | instid1(VALU_DEP_1)
	s_or_b32 exec_lo, exec_lo, s12
	v_lshrrev_b16 v2, 8, v2
	s_mov_b32 s12, exec_lo
	v_cmpx_ne_u16_e32 0, v2
	s_cbranch_execz .LBB354_1689
; %bb.1682:                             ;   in Loop: Header=BB354_1574 Depth=1
	v_bfrev_b32_e32 v39, 1
	s_mov_b32 s13, exec_lo
	v_cmpx_ne_u16_e32 0x80, v2
	s_cbranch_execz .LBB354_1688
; %bb.1683:                             ;   in Loop: Header=BB354_1574 Depth=1
	v_and_b32_e32 v48, 0xffff, v2
	v_mov_b32_e32 v39, 0x7fc02000
	s_mov_b32 s15, exec_lo
	s_delay_alu instid0(VALU_DEP_2) | instskip(NEXT) | instid1(VALU_DEP_1)
	v_and_b32_e32 v17, 0x7f, v48
	v_cmpx_ne_u32_e32 0x7f, v17
	s_cbranch_execz .LBB354_1687
; %bb.1684:                             ;   in Loop: Header=BB354_1574 Depth=1
	v_and_b32_e32 v2, 7, v48
	v_lshrrev_b32_e32 v39, 3, v17
	v_cmp_gt_u32_e64 s0, 8, v17
	s_delay_alu instid0(VALU_DEP_3) | instskip(NEXT) | instid1(VALU_DEP_2)
	v_dual_mov_b32 v18, v3 :: v_dual_mov_b32 v17, v2
	s_and_saveexec_b32 s16, s0
; %bb.1685:                             ;   in Loop: Header=BB354_1574 Depth=1
	v_clz_i32_u32_e32 v17, v2
	s_delay_alu instid0(VALU_DEP_1) | instskip(NEXT) | instid1(VALU_DEP_1)
	v_min_u32_e32 v39, 32, v17
	v_subrev_nc_u32_e32 v17, 28, v39
	v_sub_nc_u32_e32 v39, 29, v39
	s_delay_alu instid0(VALU_DEP_2) | instskip(NEXT) | instid1(VALU_DEP_1)
	v_lshlrev_b64 v[17:18], v17, v[2:3]
	v_and_b32_e32 v17, 7, v17
; %bb.1686:                             ;   in Loop: Header=BB354_1574 Depth=1
	s_or_b32 exec_lo, exec_lo, s16
	v_lshlrev_b32_e32 v2, 8, v48
	v_lshl_add_u32 v18, v39, 10, 0x2000
	s_delay_alu instid0(VALU_DEP_1) | instskip(NEXT) | instid1(VALU_DEP_1)
	v_and_or_b32 v2, 0x8000, v2, v18
	v_lshl_or_b32 v2, v17, 7, v2
	s_delay_alu instid0(VALU_DEP_1)
	v_cvt_f32_f16_e32 v39, v2
.LBB354_1687:                           ;   in Loop: Header=BB354_1574 Depth=1
	s_or_b32 exec_lo, exec_lo, s15
.LBB354_1688:                           ;   in Loop: Header=BB354_1574 Depth=1
	s_delay_alu instid0(SALU_CYCLE_1)
	s_or_b32 exec_lo, exec_lo, s13
.LBB354_1689:                           ;   in Loop: Header=BB354_1574 Depth=1
	s_delay_alu instid0(SALU_CYCLE_1) | instskip(SKIP_3) | instid1(VALU_DEP_2)
	s_or_b32 exec_lo, exec_lo, s12
	v_lshrrev_b32_e32 v49, 16, v14
	v_mov_b32_e32 v48, 0
	s_mov_b32 s12, exec_lo
	v_dual_mov_b32 v17, 0 :: v_dual_and_b32 v2, 0xff, v49
	s_delay_alu instid0(VALU_DEP_1)
	v_cmpx_ne_u16_e32 0, v2
	s_cbranch_execz .LBB354_1697
; %bb.1690:                             ;   in Loop: Header=BB354_1574 Depth=1
	v_bfrev_b32_e32 v17, 1
	s_mov_b32 s13, exec_lo
	v_cmpx_ne_u16_e32 0x80, v2
	s_cbranch_execz .LBB354_1696
; %bb.1691:                             ;   in Loop: Header=BB354_1574 Depth=1
	v_bfe_u32 v18, v14, 16, 7
	v_mov_b32_e32 v17, 0x7fc02000
	s_mov_b32 s15, exec_lo
	s_delay_alu instid0(VALU_DEP_2)
	v_cmpx_ne_u32_e32 0x7f, v18
	s_cbranch_execz .LBB354_1695
; %bb.1692:                             ;   in Loop: Header=BB354_1574 Depth=1
	v_and_b32_e32 v2, 7, v49
	v_lshrrev_b32_e32 v50, 3, v18
	v_cmp_gt_u32_e64 s0, 8, v18
	s_delay_alu instid0(VALU_DEP_3) | instskip(NEXT) | instid1(VALU_DEP_2)
	v_dual_mov_b32 v18, v3 :: v_dual_mov_b32 v17, v2
	s_and_saveexec_b32 s16, s0
; %bb.1693:                             ;   in Loop: Header=BB354_1574 Depth=1
	v_clz_i32_u32_e32 v17, v2
	s_delay_alu instid0(VALU_DEP_1) | instskip(NEXT) | instid1(VALU_DEP_1)
	v_min_u32_e32 v50, 32, v17
	v_subrev_nc_u32_e32 v17, 28, v50
	v_sub_nc_u32_e32 v50, 29, v50
	s_delay_alu instid0(VALU_DEP_2) | instskip(NEXT) | instid1(VALU_DEP_1)
	v_lshlrev_b64 v[17:18], v17, v[2:3]
	v_and_b32_e32 v17, 7, v17
; %bb.1694:                             ;   in Loop: Header=BB354_1574 Depth=1
	s_or_b32 exec_lo, exec_lo, s16
	v_lshlrev_b32_e32 v2, 8, v49
	v_lshl_add_u32 v18, v50, 10, 0x2000
	s_delay_alu instid0(VALU_DEP_1) | instskip(NEXT) | instid1(VALU_DEP_1)
	v_and_or_b32 v2, 0x8000, v2, v18
	v_lshl_or_b32 v2, v17, 7, v2
	s_delay_alu instid0(VALU_DEP_1)
	v_cvt_f32_f16_e32 v17, v2
.LBB354_1695:                           ;   in Loop: Header=BB354_1574 Depth=1
	s_or_b32 exec_lo, exec_lo, s15
.LBB354_1696:                           ;   in Loop: Header=BB354_1574 Depth=1
	s_delay_alu instid0(SALU_CYCLE_1)
	s_or_b32 exec_lo, exec_lo, s13
.LBB354_1697:                           ;   in Loop: Header=BB354_1574 Depth=1
	s_delay_alu instid0(SALU_CYCLE_1) | instskip(NEXT) | instid1(SALU_CYCLE_1)
	s_or_b32 exec_lo, exec_lo, s12
	s_mov_b32 s12, exec_lo
	v_cmpx_lt_u64_e64 s[8:9], v[13:14]
	s_cbranch_execz .LBB354_1705
; %bb.1698:                             ;   in Loop: Header=BB354_1574 Depth=1
	v_lshrrev_b32_e32 v18, 24, v14
	v_bfrev_b32_e32 v48, 1
	s_mov_b32 s13, exec_lo
	s_delay_alu instid0(VALU_DEP_2)
	v_cmpx_ne_u32_e32 0x80, v18
	s_cbranch_execz .LBB354_1704
; %bb.1699:                             ;   in Loop: Header=BB354_1574 Depth=1
	v_and_b32_e32 v13, 0x7f, v18
	v_mov_b32_e32 v48, 0x7fc02000
	s_mov_b32 s15, exec_lo
	s_delay_alu instid0(VALU_DEP_2)
	v_cmpx_ne_u32_e32 0x7f, v13
	s_cbranch_execz .LBB354_1703
; %bb.1700:                             ;   in Loop: Header=BB354_1574 Depth=1
	v_and_b32_e32 v2, 7, v18
	v_lshrrev_b32_e32 v48, 3, v13
	v_cmp_gt_u32_e64 s0, 8, v13
	s_delay_alu instid0(VALU_DEP_3) | instskip(NEXT) | instid1(VALU_DEP_2)
	v_dual_mov_b32 v14, v3 :: v_dual_mov_b32 v13, v2
	s_and_saveexec_b32 s16, s0
; %bb.1701:                             ;   in Loop: Header=BB354_1574 Depth=1
	v_clz_i32_u32_e32 v13, v2
	s_delay_alu instid0(VALU_DEP_1) | instskip(NEXT) | instid1(VALU_DEP_1)
	v_min_u32_e32 v48, 32, v13
	v_subrev_nc_u32_e32 v13, 28, v48
	v_sub_nc_u32_e32 v48, 29, v48
	s_delay_alu instid0(VALU_DEP_2) | instskip(NEXT) | instid1(VALU_DEP_1)
	v_lshlrev_b64 v[13:14], v13, v[2:3]
	v_and_b32_e32 v13, 7, v13
; %bb.1702:                             ;   in Loop: Header=BB354_1574 Depth=1
	s_or_b32 exec_lo, exec_lo, s16
	v_lshlrev_b32_e32 v2, 8, v18
	v_lshl_add_u32 v14, v48, 10, 0x2000
	s_delay_alu instid0(VALU_DEP_1) | instskip(NEXT) | instid1(VALU_DEP_1)
	v_and_or_b32 v2, 0x8000, v2, v14
	v_lshl_or_b32 v2, v13, 7, v2
	s_delay_alu instid0(VALU_DEP_1)
	v_cvt_f32_f16_e32 v48, v2
.LBB354_1703:                           ;   in Loop: Header=BB354_1574 Depth=1
	s_or_b32 exec_lo, exec_lo, s15
.LBB354_1704:                           ;   in Loop: Header=BB354_1574 Depth=1
	s_delay_alu instid0(SALU_CYCLE_1)
	s_or_b32 exec_lo, exec_lo, s13
.LBB354_1705:                           ;   in Loop: Header=BB354_1574 Depth=1
	s_delay_alu instid0(SALU_CYCLE_1)
	s_or_b32 exec_lo, exec_lo, s12
	s_waitcnt vmcnt(0) lgkmcnt(0)
	v_fma_mixlo_f16 v6, v4, v6, 0
	v_fma_mixlo_f16 v2, v4, v37, 0
	;; [unrolled: 1-line block ×5, first 2 shown]
	v_lshlrev_b32_e32 v14, 16, v6
	v_fma_mixlo_f16 v6, v4, v5, 0
	v_fma_mixlo_f16 v23, v4, v48, 0
	;; [unrolled: 1-line block ×3, first 2 shown]
	v_lshlrev_b32_e32 v2, 16, v2
	v_and_b32_e32 v13, 0xffff, v13
	v_and_b32_e32 v4, 0xffff, v6
	v_lshlrev_b32_e32 v17, 16, v18
	v_and_b32_e32 v18, 0xffff, v22
	v_lshlrev_b32_e32 v22, 16, v23
	v_and_b32_e32 v23, 0xffff, v5
	v_or_b32_e32 v6, v2, v13
	v_or_b32_e32 v13, v14, v4
	;; [unrolled: 1-line block ×3, first 2 shown]
	s_delay_alu instid0(VALU_DEP_4)
	v_or_b32_e32 v4, v22, v23
	s_and_saveexec_b32 s12, vcc_lo
	s_cbranch_execz .LBB354_1707
; %bb.1706:                             ;   in Loop: Header=BB354_1574 Depth=1
	v_cmp_lt_i32_e64 s0, v119, v38
	v_lshrrev_b32_e32 v14, 16, v13
	v_lshrrev_b32_e32 v17, 16, v6
	;; [unrolled: 1-line block ×4, first 2 shown]
	v_cndmask_b32_e64 v13, 0, v13, s0
	v_cmp_lt_i32_e64 s0, v134, v55
	s_delay_alu instid0(VALU_DEP_1) | instskip(SKIP_1) | instid1(VALU_DEP_2)
	v_cndmask_b32_e64 v14, 0, v14, s0
	v_cmp_lt_i32_e64 s0, v133, v55
	v_perm_b32 v13, v14, v13, 0x5040100
	s_delay_alu instid0(VALU_DEP_2) | instskip(SKIP_1) | instid1(VALU_DEP_1)
	v_cndmask_b32_e64 v17, 0, v17, s0
	v_cmp_lt_i32_e64 s0, v132, v38
	v_cndmask_b32_e64 v6, 0, v6, s0
	v_cmp_lt_i32_e64 s0, v131, v55
	s_delay_alu instid0(VALU_DEP_2) | instskip(NEXT) | instid1(VALU_DEP_2)
	v_perm_b32 v6, v17, v6, 0x5040100
	v_cndmask_b32_e64 v18, 0, v18, s0
	v_cmp_lt_i32_e64 s0, v130, v38
	s_delay_alu instid0(VALU_DEP_1) | instskip(SKIP_1) | instid1(VALU_DEP_2)
	v_cndmask_b32_e64 v2, 0, v2, s0
	v_cmp_lt_i32_e64 s0, v129, v55
	v_perm_b32 v2, v18, v2, 0x5040100
	s_delay_alu instid0(VALU_DEP_2) | instskip(SKIP_1) | instid1(VALU_DEP_1)
	v_cndmask_b32_e64 v4, 0, v4, s0
	v_cmp_lt_i32_e64 s0, v128, v38
	v_cndmask_b32_e64 v5, 0, v5, s0
	s_delay_alu instid0(VALU_DEP_1)
	v_perm_b32 v4, v4, v5, 0x5040100
.LBB354_1707:                           ;   in Loop: Header=BB354_1574 Depth=1
	s_or_b32 exec_lo, exec_lo, s12
	;;#ASMSTART
	v_pk_mul_f16 v5, v118, v13;

	;;#ASMEND
	;;#ASMSTART
	v_pk_mul_f16 v6, v117, v6;

	;;#ASMEND
	;; [unrolled: 4-line block ×4, first 2 shown]
	;;#ASMSTART
	v_pk_add_f16 v5, v5, v6;

	;;#ASMEND
	;;#ASMSTART
	v_pk_add_f16 v2, v5, v2;

	;;#ASMEND
	;; [unrolled: 4-line block ×3, first 2 shown]
	v_dual_mov_b32 v5, 0 :: v_dual_and_b32 v4, 0xffff, v2
	v_lshrrev_b32_e32 v2, 16, v2
	;;#ASMSTART
	v_cvt_f32_f16 v135, v4;
	;;#ASMEND
	;;#ASMSTART
	v_cvt_f32_f16 v144, v2;
	;;#ASMEND
	flat_load_b64 v[13:14], v[11:12] offset:512
	flat_load_b32 v4, v[26:27]
	v_mov_b32_e32 v6, 0
	s_mov_b32 s12, exec_lo
	s_waitcnt vmcnt(1) lgkmcnt(1)
	v_and_b32_e32 v2, 0xff, v13
	s_delay_alu instid0(VALU_DEP_1)
	v_cmpx_ne_u16_e32 0, v2
	s_cbranch_execz .LBB354_1715
; %bb.1708:                             ;   in Loop: Header=BB354_1574 Depth=1
	v_bfrev_b32_e32 v5, 1
	s_mov_b32 s13, exec_lo
	v_cmpx_ne_u16_e32 0x80, v2
	s_cbranch_execz .LBB354_1714
; %bb.1709:                             ;   in Loop: Header=BB354_1574 Depth=1
	v_and_b32_e32 v17, 0x7f, v13
	v_mov_b32_e32 v5, 0x7fc02000
	s_mov_b32 s15, exec_lo
	s_delay_alu instid0(VALU_DEP_2)
	v_cmpx_ne_u32_e32 0x7f, v17
	s_cbranch_execz .LBB354_1713
; %bb.1710:                             ;   in Loop: Header=BB354_1574 Depth=1
	v_lshrrev_b32_e32 v2, 3, v17
	v_cmp_gt_u32_e64 s0, 8, v17
	v_dual_mov_b32 v18, v14 :: v_dual_mov_b32 v17, v13
	s_delay_alu instid0(VALU_DEP_2)
	s_and_saveexec_b32 s16, s0
; %bb.1711:                             ;   in Loop: Header=BB354_1574 Depth=1
	v_and_b32_e32 v2, 7, v13
	s_delay_alu instid0(VALU_DEP_1) | instskip(NEXT) | instid1(VALU_DEP_1)
	v_clz_i32_u32_e32 v2, v2
	v_min_u32_e32 v2, 32, v2
	s_delay_alu instid0(VALU_DEP_1) | instskip(SKIP_1) | instid1(VALU_DEP_2)
	v_subrev_nc_u32_e32 v5, 28, v2
	v_sub_nc_u32_e32 v2, 29, v2
	v_lshlrev_b64 v[17:18], v5, v[13:14]
; %bb.1712:                             ;   in Loop: Header=BB354_1574 Depth=1
	s_or_b32 exec_lo, exec_lo, s16
	v_lshlrev_b32_e32 v5, 8, v13
	s_delay_alu instid0(VALU_DEP_3) | instskip(NEXT) | instid1(VALU_DEP_3)
	v_lshl_add_u32 v2, v2, 10, 0x2000
	v_lshlrev_b32_e32 v17, 7, v17
	s_delay_alu instid0(VALU_DEP_2) | instskip(NEXT) | instid1(VALU_DEP_1)
	v_and_or_b32 v2, 0x8000, v5, v2
	v_and_or_b32 v2, 0x380, v17, v2
	s_delay_alu instid0(VALU_DEP_1)
	v_cvt_f32_f16_e32 v5, v2
.LBB354_1713:                           ;   in Loop: Header=BB354_1574 Depth=1
	s_or_b32 exec_lo, exec_lo, s15
.LBB354_1714:                           ;   in Loop: Header=BB354_1574 Depth=1
	s_delay_alu instid0(SALU_CYCLE_1)
	s_or_b32 exec_lo, exec_lo, s13
.LBB354_1715:                           ;   in Loop: Header=BB354_1574 Depth=1
	s_delay_alu instid0(SALU_CYCLE_1) | instskip(SKIP_2) | instid1(VALU_DEP_1)
	s_or_b32 exec_lo, exec_lo, s12
	v_lshrrev_b16 v2, 8, v13
	s_mov_b32 s12, exec_lo
	v_cmpx_ne_u16_e32 0, v2
	s_cbranch_execz .LBB354_1723
; %bb.1716:                             ;   in Loop: Header=BB354_1574 Depth=1
	v_bfrev_b32_e32 v6, 1
	s_mov_b32 s13, exec_lo
	v_cmpx_ne_u16_e32 0x80, v2
	s_cbranch_execz .LBB354_1722
; %bb.1717:                             ;   in Loop: Header=BB354_1574 Depth=1
	v_and_b32_e32 v22, 0xffff, v2
	v_mov_b32_e32 v6, 0x7fc02000
	s_mov_b32 s15, exec_lo
	s_delay_alu instid0(VALU_DEP_2) | instskip(NEXT) | instid1(VALU_DEP_1)
	v_and_b32_e32 v17, 0x7f, v22
	v_cmpx_ne_u32_e32 0x7f, v17
	s_cbranch_execz .LBB354_1721
; %bb.1718:                             ;   in Loop: Header=BB354_1574 Depth=1
	v_and_b32_e32 v2, 7, v22
	v_lshrrev_b32_e32 v6, 3, v17
	v_cmp_gt_u32_e64 s0, 8, v17
	s_delay_alu instid0(VALU_DEP_3) | instskip(NEXT) | instid1(VALU_DEP_2)
	v_dual_mov_b32 v18, v3 :: v_dual_mov_b32 v17, v2
	s_and_saveexec_b32 s16, s0
; %bb.1719:                             ;   in Loop: Header=BB354_1574 Depth=1
	v_clz_i32_u32_e32 v6, v2
	s_delay_alu instid0(VALU_DEP_1) | instskip(NEXT) | instid1(VALU_DEP_1)
	v_min_u32_e32 v6, 32, v6
	v_subrev_nc_u32_e32 v17, 28, v6
	v_sub_nc_u32_e32 v6, 29, v6
	s_delay_alu instid0(VALU_DEP_2) | instskip(NEXT) | instid1(VALU_DEP_1)
	v_lshlrev_b64 v[17:18], v17, v[2:3]
	v_and_b32_e32 v17, 7, v17
; %bb.1720:                             ;   in Loop: Header=BB354_1574 Depth=1
	s_or_b32 exec_lo, exec_lo, s16
	v_lshlrev_b32_e32 v2, 8, v22
	v_lshl_add_u32 v6, v6, 10, 0x2000
	s_delay_alu instid0(VALU_DEP_1) | instskip(NEXT) | instid1(VALU_DEP_1)
	v_and_or_b32 v2, 0x8000, v2, v6
	v_lshl_or_b32 v2, v17, 7, v2
	s_delay_alu instid0(VALU_DEP_1)
	v_cvt_f32_f16_e32 v6, v2
.LBB354_1721:                           ;   in Loop: Header=BB354_1574 Depth=1
	s_or_b32 exec_lo, exec_lo, s15
.LBB354_1722:                           ;   in Loop: Header=BB354_1574 Depth=1
	s_delay_alu instid0(SALU_CYCLE_1)
	s_or_b32 exec_lo, exec_lo, s13
.LBB354_1723:                           ;   in Loop: Header=BB354_1574 Depth=1
	s_delay_alu instid0(SALU_CYCLE_1) | instskip(SKIP_3) | instid1(VALU_DEP_2)
	s_or_b32 exec_lo, exec_lo, s12
	v_lshrrev_b32_e32 v23, 16, v13
	v_mov_b32_e32 v22, 0
	s_mov_b32 s12, exec_lo
	v_dual_mov_b32 v37, 0 :: v_dual_and_b32 v2, 0xff, v23
	s_delay_alu instid0(VALU_DEP_1)
	v_cmpx_ne_u16_e32 0, v2
	s_cbranch_execz .LBB354_1731
; %bb.1724:                             ;   in Loop: Header=BB354_1574 Depth=1
	v_bfrev_b32_e32 v22, 1
	s_mov_b32 s13, exec_lo
	v_cmpx_ne_u16_e32 0x80, v2
	s_cbranch_execz .LBB354_1730
; %bb.1725:                             ;   in Loop: Header=BB354_1574 Depth=1
	v_bfe_u32 v17, v13, 16, 7
	v_mov_b32_e32 v22, 0x7fc02000
	s_mov_b32 s15, exec_lo
	s_delay_alu instid0(VALU_DEP_2)
	v_cmpx_ne_u32_e32 0x7f, v17
	s_cbranch_execz .LBB354_1729
; %bb.1726:                             ;   in Loop: Header=BB354_1574 Depth=1
	v_and_b32_e32 v2, 7, v23
	v_lshrrev_b32_e32 v22, 3, v17
	v_cmp_gt_u32_e64 s0, 8, v17
	s_delay_alu instid0(VALU_DEP_3) | instskip(NEXT) | instid1(VALU_DEP_2)
	v_dual_mov_b32 v18, v3 :: v_dual_mov_b32 v17, v2
	s_and_saveexec_b32 s16, s0
; %bb.1727:                             ;   in Loop: Header=BB354_1574 Depth=1
	v_clz_i32_u32_e32 v17, v2
	s_delay_alu instid0(VALU_DEP_1) | instskip(NEXT) | instid1(VALU_DEP_1)
	v_min_u32_e32 v22, 32, v17
	v_subrev_nc_u32_e32 v17, 28, v22
	v_sub_nc_u32_e32 v22, 29, v22
	s_delay_alu instid0(VALU_DEP_2) | instskip(NEXT) | instid1(VALU_DEP_1)
	v_lshlrev_b64 v[17:18], v17, v[2:3]
	v_and_b32_e32 v17, 7, v17
; %bb.1728:                             ;   in Loop: Header=BB354_1574 Depth=1
	s_or_b32 exec_lo, exec_lo, s16
	v_lshlrev_b32_e32 v2, 8, v23
	v_lshl_add_u32 v18, v22, 10, 0x2000
	s_delay_alu instid0(VALU_DEP_1) | instskip(NEXT) | instid1(VALU_DEP_1)
	v_and_or_b32 v2, 0x8000, v2, v18
	v_lshl_or_b32 v2, v17, 7, v2
	s_delay_alu instid0(VALU_DEP_1)
	v_cvt_f32_f16_e32 v22, v2
.LBB354_1729:                           ;   in Loop: Header=BB354_1574 Depth=1
	s_or_b32 exec_lo, exec_lo, s15
.LBB354_1730:                           ;   in Loop: Header=BB354_1574 Depth=1
	s_delay_alu instid0(SALU_CYCLE_1)
	s_or_b32 exec_lo, exec_lo, s13
.LBB354_1731:                           ;   in Loop: Header=BB354_1574 Depth=1
	s_delay_alu instid0(SALU_CYCLE_1) | instskip(NEXT) | instid1(SALU_CYCLE_1)
	s_or_b32 exec_lo, exec_lo, s12
	s_mov_b32 s12, exec_lo
	v_cmpx_lt_u32_e32 0xffffff, v13
	s_cbranch_execz .LBB354_1739
; %bb.1732:                             ;   in Loop: Header=BB354_1574 Depth=1
	v_lshrrev_b32_e32 v23, 24, v13
	v_bfrev_b32_e32 v37, 1
	s_mov_b32 s13, exec_lo
	s_delay_alu instid0(VALU_DEP_2)
	v_cmpx_ne_u32_e32 0x80, v23
	s_cbranch_execz .LBB354_1738
; %bb.1733:                             ;   in Loop: Header=BB354_1574 Depth=1
	v_and_b32_e32 v17, 0x7f, v23
	v_mov_b32_e32 v37, 0x7fc02000
	s_mov_b32 s15, exec_lo
	s_delay_alu instid0(VALU_DEP_2)
	v_cmpx_ne_u32_e32 0x7f, v17
	s_cbranch_execz .LBB354_1737
; %bb.1734:                             ;   in Loop: Header=BB354_1574 Depth=1
	v_and_b32_e32 v2, 7, v23
	v_lshrrev_b32_e32 v37, 3, v17
	v_cmp_gt_u32_e64 s0, 8, v17
	s_delay_alu instid0(VALU_DEP_3) | instskip(NEXT) | instid1(VALU_DEP_2)
	v_dual_mov_b32 v18, v3 :: v_dual_mov_b32 v17, v2
	s_and_saveexec_b32 s16, s0
; %bb.1735:                             ;   in Loop: Header=BB354_1574 Depth=1
	v_clz_i32_u32_e32 v17, v2
	s_delay_alu instid0(VALU_DEP_1) | instskip(NEXT) | instid1(VALU_DEP_1)
	v_min_u32_e32 v37, 32, v17
	v_subrev_nc_u32_e32 v17, 28, v37
	v_sub_nc_u32_e32 v37, 29, v37
	s_delay_alu instid0(VALU_DEP_2) | instskip(NEXT) | instid1(VALU_DEP_1)
	v_lshlrev_b64 v[17:18], v17, v[2:3]
	v_and_b32_e32 v17, 7, v17
; %bb.1736:                             ;   in Loop: Header=BB354_1574 Depth=1
	s_or_b32 exec_lo, exec_lo, s16
	v_lshlrev_b32_e32 v2, 8, v23
	v_lshl_add_u32 v18, v37, 10, 0x2000
	s_delay_alu instid0(VALU_DEP_1) | instskip(NEXT) | instid1(VALU_DEP_1)
	v_and_or_b32 v2, 0x8000, v2, v18
	v_lshl_or_b32 v2, v17, 7, v2
	s_delay_alu instid0(VALU_DEP_1)
	v_cvt_f32_f16_e32 v37, v2
.LBB354_1737:                           ;   in Loop: Header=BB354_1574 Depth=1
	s_or_b32 exec_lo, exec_lo, s15
.LBB354_1738:                           ;   in Loop: Header=BB354_1574 Depth=1
	s_delay_alu instid0(SALU_CYCLE_1)
	s_or_b32 exec_lo, exec_lo, s13
.LBB354_1739:                           ;   in Loop: Header=BB354_1574 Depth=1
	s_delay_alu instid0(SALU_CYCLE_1) | instskip(SKIP_4) | instid1(VALU_DEP_3)
	s_or_b32 exec_lo, exec_lo, s12
	v_dual_mov_b32 v2, v14 :: v_dual_and_b32 v17, 0xff, v14
	v_mov_b32_e32 v39, 0
	v_mov_b32_e32 v23, 0
	s_mov_b32 s12, exec_lo
	v_cmpx_ne_u16_e32 0, v17
	s_cbranch_execz .LBB354_1747
; %bb.1740:                             ;   in Loop: Header=BB354_1574 Depth=1
	v_bfrev_b32_e32 v23, 1
	s_mov_b32 s13, exec_lo
	v_cmpx_ne_u16_e32 0x80, v17
	s_cbranch_execz .LBB354_1746
; %bb.1741:                             ;   in Loop: Header=BB354_1574 Depth=1
	v_and_b32_e32 v17, 0x7f, v14
	v_mov_b32_e32 v23, 0x7fc02000
	s_mov_b32 s15, exec_lo
	s_delay_alu instid0(VALU_DEP_2)
	v_cmpx_ne_u32_e32 0x7f, v17
	s_cbranch_execz .LBB354_1745
; %bb.1742:                             ;   in Loop: Header=BB354_1574 Depth=1
	v_lshrrev_b32_e32 v23, 3, v17
	v_cmp_gt_u32_e64 s0, 8, v17
	v_dual_mov_b32 v18, v3 :: v_dual_mov_b32 v17, v2
	s_delay_alu instid0(VALU_DEP_2)
	s_and_saveexec_b32 s16, s0
; %bb.1743:                             ;   in Loop: Header=BB354_1574 Depth=1
	v_and_b32_e32 v17, 7, v14
	s_delay_alu instid0(VALU_DEP_1) | instskip(NEXT) | instid1(VALU_DEP_1)
	v_clz_i32_u32_e32 v17, v17
	v_min_u32_e32 v23, 32, v17
	s_delay_alu instid0(VALU_DEP_1) | instskip(SKIP_1) | instid1(VALU_DEP_2)
	v_subrev_nc_u32_e32 v17, 28, v23
	v_sub_nc_u32_e32 v23, 29, v23
	v_lshlrev_b64 v[17:18], v17, v[2:3]
; %bb.1744:                             ;   in Loop: Header=BB354_1574 Depth=1
	s_or_b32 exec_lo, exec_lo, s16
	v_lshlrev_b32_e32 v18, 8, v14
	s_delay_alu instid0(VALU_DEP_3) | instskip(NEXT) | instid1(VALU_DEP_3)
	v_lshl_add_u32 v23, v23, 10, 0x2000
	v_lshlrev_b32_e32 v17, 7, v17
	s_delay_alu instid0(VALU_DEP_2) | instskip(NEXT) | instid1(VALU_DEP_1)
	v_and_or_b32 v18, 0x8000, v18, v23
	v_and_or_b32 v17, 0x380, v17, v18
	s_delay_alu instid0(VALU_DEP_1)
	v_cvt_f32_f16_e32 v23, v17
.LBB354_1745:                           ;   in Loop: Header=BB354_1574 Depth=1
	s_or_b32 exec_lo, exec_lo, s15
.LBB354_1746:                           ;   in Loop: Header=BB354_1574 Depth=1
	s_delay_alu instid0(SALU_CYCLE_1)
	s_or_b32 exec_lo, exec_lo, s13
.LBB354_1747:                           ;   in Loop: Header=BB354_1574 Depth=1
	s_delay_alu instid0(SALU_CYCLE_1) | instskip(SKIP_2) | instid1(VALU_DEP_1)
	s_or_b32 exec_lo, exec_lo, s12
	v_lshrrev_b16 v2, 8, v2
	s_mov_b32 s12, exec_lo
	v_cmpx_ne_u16_e32 0, v2
	s_cbranch_execz .LBB354_1755
; %bb.1748:                             ;   in Loop: Header=BB354_1574 Depth=1
	v_bfrev_b32_e32 v39, 1
	s_mov_b32 s13, exec_lo
	v_cmpx_ne_u16_e32 0x80, v2
	s_cbranch_execz .LBB354_1754
; %bb.1749:                             ;   in Loop: Header=BB354_1574 Depth=1
	v_and_b32_e32 v48, 0xffff, v2
	v_mov_b32_e32 v39, 0x7fc02000
	s_mov_b32 s15, exec_lo
	s_delay_alu instid0(VALU_DEP_2) | instskip(NEXT) | instid1(VALU_DEP_1)
	v_and_b32_e32 v17, 0x7f, v48
	v_cmpx_ne_u32_e32 0x7f, v17
	s_cbranch_execz .LBB354_1753
; %bb.1750:                             ;   in Loop: Header=BB354_1574 Depth=1
	v_and_b32_e32 v2, 7, v48
	v_lshrrev_b32_e32 v39, 3, v17
	v_cmp_gt_u32_e64 s0, 8, v17
	s_delay_alu instid0(VALU_DEP_3) | instskip(NEXT) | instid1(VALU_DEP_2)
	v_dual_mov_b32 v18, v3 :: v_dual_mov_b32 v17, v2
	s_and_saveexec_b32 s16, s0
; %bb.1751:                             ;   in Loop: Header=BB354_1574 Depth=1
	v_clz_i32_u32_e32 v17, v2
	s_delay_alu instid0(VALU_DEP_1) | instskip(NEXT) | instid1(VALU_DEP_1)
	v_min_u32_e32 v39, 32, v17
	v_subrev_nc_u32_e32 v17, 28, v39
	v_sub_nc_u32_e32 v39, 29, v39
	s_delay_alu instid0(VALU_DEP_2) | instskip(NEXT) | instid1(VALU_DEP_1)
	v_lshlrev_b64 v[17:18], v17, v[2:3]
	v_and_b32_e32 v17, 7, v17
; %bb.1752:                             ;   in Loop: Header=BB354_1574 Depth=1
	s_or_b32 exec_lo, exec_lo, s16
	v_lshlrev_b32_e32 v2, 8, v48
	v_lshl_add_u32 v18, v39, 10, 0x2000
	s_delay_alu instid0(VALU_DEP_1) | instskip(NEXT) | instid1(VALU_DEP_1)
	v_and_or_b32 v2, 0x8000, v2, v18
	v_lshl_or_b32 v2, v17, 7, v2
	s_delay_alu instid0(VALU_DEP_1)
	v_cvt_f32_f16_e32 v39, v2
.LBB354_1753:                           ;   in Loop: Header=BB354_1574 Depth=1
	s_or_b32 exec_lo, exec_lo, s15
.LBB354_1754:                           ;   in Loop: Header=BB354_1574 Depth=1
	s_delay_alu instid0(SALU_CYCLE_1)
	s_or_b32 exec_lo, exec_lo, s13
.LBB354_1755:                           ;   in Loop: Header=BB354_1574 Depth=1
	s_delay_alu instid0(SALU_CYCLE_1) | instskip(SKIP_3) | instid1(VALU_DEP_2)
	s_or_b32 exec_lo, exec_lo, s12
	v_lshrrev_b32_e32 v49, 16, v14
	v_mov_b32_e32 v48, 0
	s_mov_b32 s12, exec_lo
	v_dual_mov_b32 v17, 0 :: v_dual_and_b32 v2, 0xff, v49
	s_delay_alu instid0(VALU_DEP_1)
	v_cmpx_ne_u16_e32 0, v2
	s_cbranch_execz .LBB354_1763
; %bb.1756:                             ;   in Loop: Header=BB354_1574 Depth=1
	v_bfrev_b32_e32 v17, 1
	s_mov_b32 s13, exec_lo
	v_cmpx_ne_u16_e32 0x80, v2
	s_cbranch_execz .LBB354_1762
; %bb.1757:                             ;   in Loop: Header=BB354_1574 Depth=1
	v_bfe_u32 v18, v14, 16, 7
	v_mov_b32_e32 v17, 0x7fc02000
	s_mov_b32 s15, exec_lo
	s_delay_alu instid0(VALU_DEP_2)
	v_cmpx_ne_u32_e32 0x7f, v18
	s_cbranch_execz .LBB354_1761
; %bb.1758:                             ;   in Loop: Header=BB354_1574 Depth=1
	v_and_b32_e32 v2, 7, v49
	v_lshrrev_b32_e32 v50, 3, v18
	v_cmp_gt_u32_e64 s0, 8, v18
	s_delay_alu instid0(VALU_DEP_3) | instskip(NEXT) | instid1(VALU_DEP_2)
	v_dual_mov_b32 v18, v3 :: v_dual_mov_b32 v17, v2
	s_and_saveexec_b32 s16, s0
; %bb.1759:                             ;   in Loop: Header=BB354_1574 Depth=1
	v_clz_i32_u32_e32 v17, v2
	s_delay_alu instid0(VALU_DEP_1) | instskip(NEXT) | instid1(VALU_DEP_1)
	v_min_u32_e32 v50, 32, v17
	v_subrev_nc_u32_e32 v17, 28, v50
	v_sub_nc_u32_e32 v50, 29, v50
	s_delay_alu instid0(VALU_DEP_2) | instskip(NEXT) | instid1(VALU_DEP_1)
	v_lshlrev_b64 v[17:18], v17, v[2:3]
	v_and_b32_e32 v17, 7, v17
; %bb.1760:                             ;   in Loop: Header=BB354_1574 Depth=1
	s_or_b32 exec_lo, exec_lo, s16
	v_lshlrev_b32_e32 v2, 8, v49
	v_lshl_add_u32 v18, v50, 10, 0x2000
	s_delay_alu instid0(VALU_DEP_1) | instskip(NEXT) | instid1(VALU_DEP_1)
	v_and_or_b32 v2, 0x8000, v2, v18
	v_lshl_or_b32 v2, v17, 7, v2
	s_delay_alu instid0(VALU_DEP_1)
	v_cvt_f32_f16_e32 v17, v2
.LBB354_1761:                           ;   in Loop: Header=BB354_1574 Depth=1
	s_or_b32 exec_lo, exec_lo, s15
.LBB354_1762:                           ;   in Loop: Header=BB354_1574 Depth=1
	s_delay_alu instid0(SALU_CYCLE_1)
	s_or_b32 exec_lo, exec_lo, s13
.LBB354_1763:                           ;   in Loop: Header=BB354_1574 Depth=1
	s_delay_alu instid0(SALU_CYCLE_1) | instskip(NEXT) | instid1(SALU_CYCLE_1)
	s_or_b32 exec_lo, exec_lo, s12
	s_mov_b32 s12, exec_lo
	v_cmpx_lt_u64_e64 s[8:9], v[13:14]
	s_cbranch_execz .LBB354_1771
; %bb.1764:                             ;   in Loop: Header=BB354_1574 Depth=1
	v_lshrrev_b32_e32 v18, 24, v14
	v_bfrev_b32_e32 v48, 1
	s_mov_b32 s13, exec_lo
	s_delay_alu instid0(VALU_DEP_2)
	v_cmpx_ne_u32_e32 0x80, v18
	s_cbranch_execz .LBB354_1770
; %bb.1765:                             ;   in Loop: Header=BB354_1574 Depth=1
	v_and_b32_e32 v13, 0x7f, v18
	v_mov_b32_e32 v48, 0x7fc02000
	s_mov_b32 s15, exec_lo
	s_delay_alu instid0(VALU_DEP_2)
	v_cmpx_ne_u32_e32 0x7f, v13
	s_cbranch_execz .LBB354_1769
; %bb.1766:                             ;   in Loop: Header=BB354_1574 Depth=1
	v_and_b32_e32 v2, 7, v18
	v_lshrrev_b32_e32 v48, 3, v13
	v_cmp_gt_u32_e64 s0, 8, v13
	s_delay_alu instid0(VALU_DEP_3) | instskip(NEXT) | instid1(VALU_DEP_2)
	v_dual_mov_b32 v14, v3 :: v_dual_mov_b32 v13, v2
	s_and_saveexec_b32 s16, s0
; %bb.1767:                             ;   in Loop: Header=BB354_1574 Depth=1
	v_clz_i32_u32_e32 v13, v2
	s_delay_alu instid0(VALU_DEP_1) | instskip(NEXT) | instid1(VALU_DEP_1)
	v_min_u32_e32 v48, 32, v13
	v_subrev_nc_u32_e32 v13, 28, v48
	v_sub_nc_u32_e32 v48, 29, v48
	s_delay_alu instid0(VALU_DEP_2) | instskip(NEXT) | instid1(VALU_DEP_1)
	v_lshlrev_b64 v[13:14], v13, v[2:3]
	v_and_b32_e32 v13, 7, v13
; %bb.1768:                             ;   in Loop: Header=BB354_1574 Depth=1
	s_or_b32 exec_lo, exec_lo, s16
	v_lshlrev_b32_e32 v2, 8, v18
	v_lshl_add_u32 v14, v48, 10, 0x2000
	s_delay_alu instid0(VALU_DEP_1) | instskip(NEXT) | instid1(VALU_DEP_1)
	v_and_or_b32 v2, 0x8000, v2, v14
	v_lshl_or_b32 v2, v13, 7, v2
	s_delay_alu instid0(VALU_DEP_1)
	v_cvt_f32_f16_e32 v48, v2
.LBB354_1769:                           ;   in Loop: Header=BB354_1574 Depth=1
	s_or_b32 exec_lo, exec_lo, s15
.LBB354_1770:                           ;   in Loop: Header=BB354_1574 Depth=1
	s_delay_alu instid0(SALU_CYCLE_1)
	s_or_b32 exec_lo, exec_lo, s13
.LBB354_1771:                           ;   in Loop: Header=BB354_1574 Depth=1
	s_delay_alu instid0(SALU_CYCLE_1)
	s_or_b32 exec_lo, exec_lo, s12
	s_waitcnt vmcnt(0) lgkmcnt(0)
	v_fma_mixlo_f16 v6, v4, v6, 0
	v_fma_mixlo_f16 v2, v4, v37, 0
	;; [unrolled: 1-line block ×5, first 2 shown]
	v_lshlrev_b32_e32 v14, 16, v6
	v_fma_mixlo_f16 v6, v4, v5, 0
	v_fma_mixlo_f16 v23, v4, v48, 0
	;; [unrolled: 1-line block ×3, first 2 shown]
	v_lshlrev_b32_e32 v2, 16, v2
	v_and_b32_e32 v13, 0xffff, v13
	v_and_b32_e32 v4, 0xffff, v6
	v_lshlrev_b32_e32 v17, 16, v18
	v_and_b32_e32 v18, 0xffff, v22
	v_lshlrev_b32_e32 v22, 16, v23
	v_and_b32_e32 v23, 0xffff, v5
	v_or_b32_e32 v6, v2, v13
	v_or_b32_e32 v13, v14, v4
	;; [unrolled: 1-line block ×3, first 2 shown]
	s_delay_alu instid0(VALU_DEP_4)
	v_or_b32_e32 v4, v22, v23
	s_and_saveexec_b32 s12, vcc_lo
	s_cbranch_execz .LBB354_1773
; %bb.1772:                             ;   in Loop: Header=BB354_1574 Depth=1
	v_cmp_lt_i32_e64 s0, v119, v38
	v_lshrrev_b32_e32 v14, 16, v13
	v_lshrrev_b32_e32 v17, 16, v6
	;; [unrolled: 1-line block ×4, first 2 shown]
	v_cndmask_b32_e64 v13, 0, v13, s0
	v_cmp_lt_i32_e64 s0, v134, v55
	s_delay_alu instid0(VALU_DEP_1) | instskip(SKIP_1) | instid1(VALU_DEP_2)
	v_cndmask_b32_e64 v14, 0, v14, s0
	v_cmp_lt_i32_e64 s0, v133, v55
	v_perm_b32 v13, v14, v13, 0x5040100
	s_delay_alu instid0(VALU_DEP_2) | instskip(SKIP_1) | instid1(VALU_DEP_1)
	v_cndmask_b32_e64 v17, 0, v17, s0
	v_cmp_lt_i32_e64 s0, v132, v38
	v_cndmask_b32_e64 v6, 0, v6, s0
	v_cmp_lt_i32_e64 s0, v131, v55
	s_delay_alu instid0(VALU_DEP_2) | instskip(NEXT) | instid1(VALU_DEP_2)
	v_perm_b32 v6, v17, v6, 0x5040100
	v_cndmask_b32_e64 v18, 0, v18, s0
	v_cmp_lt_i32_e64 s0, v130, v38
	s_delay_alu instid0(VALU_DEP_1) | instskip(SKIP_1) | instid1(VALU_DEP_2)
	v_cndmask_b32_e64 v2, 0, v2, s0
	v_cmp_lt_i32_e64 s0, v129, v55
	v_perm_b32 v2, v18, v2, 0x5040100
	s_delay_alu instid0(VALU_DEP_2) | instskip(SKIP_1) | instid1(VALU_DEP_1)
	v_cndmask_b32_e64 v4, 0, v4, s0
	v_cmp_lt_i32_e64 s0, v128, v38
	v_cndmask_b32_e64 v5, 0, v5, s0
	s_delay_alu instid0(VALU_DEP_1)
	v_perm_b32 v4, v4, v5, 0x5040100
.LBB354_1773:                           ;   in Loop: Header=BB354_1574 Depth=1
	s_or_b32 exec_lo, exec_lo, s12
	;;#ASMSTART
	v_pk_mul_f16 v5, v118, v13;

	;;#ASMEND
	;;#ASMSTART
	v_pk_mul_f16 v6, v117, v6;

	;;#ASMEND
	;; [unrolled: 4-line block ×4, first 2 shown]
	;;#ASMSTART
	v_pk_add_f16 v5, v5, v6;

	;;#ASMEND
	;;#ASMSTART
	v_pk_add_f16 v2, v5, v2;

	;;#ASMEND
	;;#ASMSTART
	v_pk_add_f16 v2, v2, v4;

	;;#ASMEND
	v_dual_mov_b32 v5, 0 :: v_dual_and_b32 v4, 0xffff, v2
	v_lshrrev_b32_e32 v2, 16, v2
	;;#ASMSTART
	v_cvt_f32_f16 v145, v4;
	;;#ASMEND
	;;#ASMSTART
	v_cvt_f32_f16 v146, v2;
	;;#ASMEND
	flat_load_b64 v[13:14], v[11:12] offset:768
	flat_load_b32 v4, v[26:27]
	v_mov_b32_e32 v6, 0
	s_mov_b32 s12, exec_lo
	s_waitcnt vmcnt(1) lgkmcnt(1)
	v_and_b32_e32 v2, 0xff, v13
	s_delay_alu instid0(VALU_DEP_1)
	v_cmpx_ne_u16_e32 0, v2
	s_cbranch_execz .LBB354_1781
; %bb.1774:                             ;   in Loop: Header=BB354_1574 Depth=1
	v_bfrev_b32_e32 v5, 1
	s_mov_b32 s13, exec_lo
	v_cmpx_ne_u16_e32 0x80, v2
	s_cbranch_execz .LBB354_1780
; %bb.1775:                             ;   in Loop: Header=BB354_1574 Depth=1
	v_and_b32_e32 v17, 0x7f, v13
	v_mov_b32_e32 v5, 0x7fc02000
	s_mov_b32 s15, exec_lo
	s_delay_alu instid0(VALU_DEP_2)
	v_cmpx_ne_u32_e32 0x7f, v17
	s_cbranch_execz .LBB354_1779
; %bb.1776:                             ;   in Loop: Header=BB354_1574 Depth=1
	v_lshrrev_b32_e32 v2, 3, v17
	v_cmp_gt_u32_e64 s0, 8, v17
	v_dual_mov_b32 v18, v14 :: v_dual_mov_b32 v17, v13
	s_delay_alu instid0(VALU_DEP_2)
	s_and_saveexec_b32 s16, s0
; %bb.1777:                             ;   in Loop: Header=BB354_1574 Depth=1
	v_and_b32_e32 v2, 7, v13
	s_delay_alu instid0(VALU_DEP_1) | instskip(NEXT) | instid1(VALU_DEP_1)
	v_clz_i32_u32_e32 v2, v2
	v_min_u32_e32 v2, 32, v2
	s_delay_alu instid0(VALU_DEP_1) | instskip(SKIP_1) | instid1(VALU_DEP_2)
	v_subrev_nc_u32_e32 v5, 28, v2
	v_sub_nc_u32_e32 v2, 29, v2
	v_lshlrev_b64 v[17:18], v5, v[13:14]
; %bb.1778:                             ;   in Loop: Header=BB354_1574 Depth=1
	s_or_b32 exec_lo, exec_lo, s16
	v_lshlrev_b32_e32 v5, 8, v13
	s_delay_alu instid0(VALU_DEP_3) | instskip(NEXT) | instid1(VALU_DEP_3)
	v_lshl_add_u32 v2, v2, 10, 0x2000
	v_lshlrev_b32_e32 v17, 7, v17
	s_delay_alu instid0(VALU_DEP_2) | instskip(NEXT) | instid1(VALU_DEP_1)
	v_and_or_b32 v2, 0x8000, v5, v2
	v_and_or_b32 v2, 0x380, v17, v2
	s_delay_alu instid0(VALU_DEP_1)
	v_cvt_f32_f16_e32 v5, v2
.LBB354_1779:                           ;   in Loop: Header=BB354_1574 Depth=1
	s_or_b32 exec_lo, exec_lo, s15
.LBB354_1780:                           ;   in Loop: Header=BB354_1574 Depth=1
	s_delay_alu instid0(SALU_CYCLE_1)
	s_or_b32 exec_lo, exec_lo, s13
.LBB354_1781:                           ;   in Loop: Header=BB354_1574 Depth=1
	s_delay_alu instid0(SALU_CYCLE_1) | instskip(SKIP_2) | instid1(VALU_DEP_1)
	s_or_b32 exec_lo, exec_lo, s12
	v_lshrrev_b16 v2, 8, v13
	s_mov_b32 s12, exec_lo
	v_cmpx_ne_u16_e32 0, v2
	s_cbranch_execz .LBB354_1789
; %bb.1782:                             ;   in Loop: Header=BB354_1574 Depth=1
	v_bfrev_b32_e32 v6, 1
	s_mov_b32 s13, exec_lo
	v_cmpx_ne_u16_e32 0x80, v2
	s_cbranch_execz .LBB354_1788
; %bb.1783:                             ;   in Loop: Header=BB354_1574 Depth=1
	v_and_b32_e32 v22, 0xffff, v2
	v_mov_b32_e32 v6, 0x7fc02000
	s_mov_b32 s15, exec_lo
	s_delay_alu instid0(VALU_DEP_2) | instskip(NEXT) | instid1(VALU_DEP_1)
	v_and_b32_e32 v17, 0x7f, v22
	v_cmpx_ne_u32_e32 0x7f, v17
	s_cbranch_execz .LBB354_1787
; %bb.1784:                             ;   in Loop: Header=BB354_1574 Depth=1
	v_and_b32_e32 v2, 7, v22
	v_lshrrev_b32_e32 v6, 3, v17
	v_cmp_gt_u32_e64 s0, 8, v17
	s_delay_alu instid0(VALU_DEP_3) | instskip(NEXT) | instid1(VALU_DEP_2)
	v_dual_mov_b32 v18, v3 :: v_dual_mov_b32 v17, v2
	s_and_saveexec_b32 s16, s0
; %bb.1785:                             ;   in Loop: Header=BB354_1574 Depth=1
	v_clz_i32_u32_e32 v6, v2
	s_delay_alu instid0(VALU_DEP_1) | instskip(NEXT) | instid1(VALU_DEP_1)
	v_min_u32_e32 v6, 32, v6
	v_subrev_nc_u32_e32 v17, 28, v6
	v_sub_nc_u32_e32 v6, 29, v6
	s_delay_alu instid0(VALU_DEP_2) | instskip(NEXT) | instid1(VALU_DEP_1)
	v_lshlrev_b64 v[17:18], v17, v[2:3]
	v_and_b32_e32 v17, 7, v17
; %bb.1786:                             ;   in Loop: Header=BB354_1574 Depth=1
	s_or_b32 exec_lo, exec_lo, s16
	v_lshlrev_b32_e32 v2, 8, v22
	v_lshl_add_u32 v6, v6, 10, 0x2000
	s_delay_alu instid0(VALU_DEP_1) | instskip(NEXT) | instid1(VALU_DEP_1)
	v_and_or_b32 v2, 0x8000, v2, v6
	v_lshl_or_b32 v2, v17, 7, v2
	s_delay_alu instid0(VALU_DEP_1)
	v_cvt_f32_f16_e32 v6, v2
.LBB354_1787:                           ;   in Loop: Header=BB354_1574 Depth=1
	s_or_b32 exec_lo, exec_lo, s15
.LBB354_1788:                           ;   in Loop: Header=BB354_1574 Depth=1
	s_delay_alu instid0(SALU_CYCLE_1)
	s_or_b32 exec_lo, exec_lo, s13
.LBB354_1789:                           ;   in Loop: Header=BB354_1574 Depth=1
	s_delay_alu instid0(SALU_CYCLE_1) | instskip(SKIP_3) | instid1(VALU_DEP_2)
	s_or_b32 exec_lo, exec_lo, s12
	v_lshrrev_b32_e32 v23, 16, v13
	v_mov_b32_e32 v22, 0
	s_mov_b32 s12, exec_lo
	v_dual_mov_b32 v37, 0 :: v_dual_and_b32 v2, 0xff, v23
	s_delay_alu instid0(VALU_DEP_1)
	v_cmpx_ne_u16_e32 0, v2
	s_cbranch_execz .LBB354_1797
; %bb.1790:                             ;   in Loop: Header=BB354_1574 Depth=1
	v_bfrev_b32_e32 v22, 1
	s_mov_b32 s13, exec_lo
	v_cmpx_ne_u16_e32 0x80, v2
	s_cbranch_execz .LBB354_1796
; %bb.1791:                             ;   in Loop: Header=BB354_1574 Depth=1
	v_bfe_u32 v17, v13, 16, 7
	v_mov_b32_e32 v22, 0x7fc02000
	s_mov_b32 s15, exec_lo
	s_delay_alu instid0(VALU_DEP_2)
	v_cmpx_ne_u32_e32 0x7f, v17
	s_cbranch_execz .LBB354_1795
; %bb.1792:                             ;   in Loop: Header=BB354_1574 Depth=1
	v_and_b32_e32 v2, 7, v23
	v_lshrrev_b32_e32 v22, 3, v17
	v_cmp_gt_u32_e64 s0, 8, v17
	s_delay_alu instid0(VALU_DEP_3) | instskip(NEXT) | instid1(VALU_DEP_2)
	v_dual_mov_b32 v18, v3 :: v_dual_mov_b32 v17, v2
	s_and_saveexec_b32 s16, s0
; %bb.1793:                             ;   in Loop: Header=BB354_1574 Depth=1
	v_clz_i32_u32_e32 v17, v2
	s_delay_alu instid0(VALU_DEP_1) | instskip(NEXT) | instid1(VALU_DEP_1)
	v_min_u32_e32 v22, 32, v17
	v_subrev_nc_u32_e32 v17, 28, v22
	v_sub_nc_u32_e32 v22, 29, v22
	s_delay_alu instid0(VALU_DEP_2) | instskip(NEXT) | instid1(VALU_DEP_1)
	v_lshlrev_b64 v[17:18], v17, v[2:3]
	v_and_b32_e32 v17, 7, v17
; %bb.1794:                             ;   in Loop: Header=BB354_1574 Depth=1
	s_or_b32 exec_lo, exec_lo, s16
	v_lshlrev_b32_e32 v2, 8, v23
	v_lshl_add_u32 v18, v22, 10, 0x2000
	s_delay_alu instid0(VALU_DEP_1) | instskip(NEXT) | instid1(VALU_DEP_1)
	v_and_or_b32 v2, 0x8000, v2, v18
	v_lshl_or_b32 v2, v17, 7, v2
	s_delay_alu instid0(VALU_DEP_1)
	v_cvt_f32_f16_e32 v22, v2
.LBB354_1795:                           ;   in Loop: Header=BB354_1574 Depth=1
	s_or_b32 exec_lo, exec_lo, s15
.LBB354_1796:                           ;   in Loop: Header=BB354_1574 Depth=1
	s_delay_alu instid0(SALU_CYCLE_1)
	s_or_b32 exec_lo, exec_lo, s13
.LBB354_1797:                           ;   in Loop: Header=BB354_1574 Depth=1
	s_delay_alu instid0(SALU_CYCLE_1) | instskip(NEXT) | instid1(SALU_CYCLE_1)
	s_or_b32 exec_lo, exec_lo, s12
	s_mov_b32 s12, exec_lo
	v_cmpx_lt_u32_e32 0xffffff, v13
	s_cbranch_execz .LBB354_1805
; %bb.1798:                             ;   in Loop: Header=BB354_1574 Depth=1
	v_lshrrev_b32_e32 v23, 24, v13
	v_bfrev_b32_e32 v37, 1
	s_mov_b32 s13, exec_lo
	s_delay_alu instid0(VALU_DEP_2)
	v_cmpx_ne_u32_e32 0x80, v23
	s_cbranch_execz .LBB354_1804
; %bb.1799:                             ;   in Loop: Header=BB354_1574 Depth=1
	v_and_b32_e32 v17, 0x7f, v23
	v_mov_b32_e32 v37, 0x7fc02000
	s_mov_b32 s15, exec_lo
	s_delay_alu instid0(VALU_DEP_2)
	v_cmpx_ne_u32_e32 0x7f, v17
	s_cbranch_execz .LBB354_1803
; %bb.1800:                             ;   in Loop: Header=BB354_1574 Depth=1
	v_and_b32_e32 v2, 7, v23
	v_lshrrev_b32_e32 v37, 3, v17
	v_cmp_gt_u32_e64 s0, 8, v17
	s_delay_alu instid0(VALU_DEP_3) | instskip(NEXT) | instid1(VALU_DEP_2)
	v_dual_mov_b32 v18, v3 :: v_dual_mov_b32 v17, v2
	s_and_saveexec_b32 s16, s0
; %bb.1801:                             ;   in Loop: Header=BB354_1574 Depth=1
	v_clz_i32_u32_e32 v17, v2
	s_delay_alu instid0(VALU_DEP_1) | instskip(NEXT) | instid1(VALU_DEP_1)
	v_min_u32_e32 v37, 32, v17
	v_subrev_nc_u32_e32 v17, 28, v37
	v_sub_nc_u32_e32 v37, 29, v37
	s_delay_alu instid0(VALU_DEP_2) | instskip(NEXT) | instid1(VALU_DEP_1)
	v_lshlrev_b64 v[17:18], v17, v[2:3]
	v_and_b32_e32 v17, 7, v17
; %bb.1802:                             ;   in Loop: Header=BB354_1574 Depth=1
	s_or_b32 exec_lo, exec_lo, s16
	v_lshlrev_b32_e32 v2, 8, v23
	v_lshl_add_u32 v18, v37, 10, 0x2000
	s_delay_alu instid0(VALU_DEP_1) | instskip(NEXT) | instid1(VALU_DEP_1)
	v_and_or_b32 v2, 0x8000, v2, v18
	v_lshl_or_b32 v2, v17, 7, v2
	s_delay_alu instid0(VALU_DEP_1)
	v_cvt_f32_f16_e32 v37, v2
.LBB354_1803:                           ;   in Loop: Header=BB354_1574 Depth=1
	s_or_b32 exec_lo, exec_lo, s15
.LBB354_1804:                           ;   in Loop: Header=BB354_1574 Depth=1
	s_delay_alu instid0(SALU_CYCLE_1)
	s_or_b32 exec_lo, exec_lo, s13
.LBB354_1805:                           ;   in Loop: Header=BB354_1574 Depth=1
	s_delay_alu instid0(SALU_CYCLE_1) | instskip(SKIP_4) | instid1(VALU_DEP_3)
	s_or_b32 exec_lo, exec_lo, s12
	v_dual_mov_b32 v2, v14 :: v_dual_and_b32 v17, 0xff, v14
	v_mov_b32_e32 v39, 0
	v_mov_b32_e32 v23, 0
	s_mov_b32 s12, exec_lo
	v_cmpx_ne_u16_e32 0, v17
	s_cbranch_execz .LBB354_1813
; %bb.1806:                             ;   in Loop: Header=BB354_1574 Depth=1
	v_bfrev_b32_e32 v23, 1
	s_mov_b32 s13, exec_lo
	v_cmpx_ne_u16_e32 0x80, v17
	s_cbranch_execz .LBB354_1812
; %bb.1807:                             ;   in Loop: Header=BB354_1574 Depth=1
	v_and_b32_e32 v17, 0x7f, v14
	v_mov_b32_e32 v23, 0x7fc02000
	s_mov_b32 s15, exec_lo
	s_delay_alu instid0(VALU_DEP_2)
	v_cmpx_ne_u32_e32 0x7f, v17
	s_cbranch_execz .LBB354_1811
; %bb.1808:                             ;   in Loop: Header=BB354_1574 Depth=1
	v_lshrrev_b32_e32 v23, 3, v17
	v_cmp_gt_u32_e64 s0, 8, v17
	v_dual_mov_b32 v18, v3 :: v_dual_mov_b32 v17, v2
	s_delay_alu instid0(VALU_DEP_2)
	s_and_saveexec_b32 s16, s0
; %bb.1809:                             ;   in Loop: Header=BB354_1574 Depth=1
	v_and_b32_e32 v17, 7, v14
	s_delay_alu instid0(VALU_DEP_1) | instskip(NEXT) | instid1(VALU_DEP_1)
	v_clz_i32_u32_e32 v17, v17
	v_min_u32_e32 v23, 32, v17
	s_delay_alu instid0(VALU_DEP_1) | instskip(SKIP_1) | instid1(VALU_DEP_2)
	v_subrev_nc_u32_e32 v17, 28, v23
	v_sub_nc_u32_e32 v23, 29, v23
	v_lshlrev_b64 v[17:18], v17, v[2:3]
; %bb.1810:                             ;   in Loop: Header=BB354_1574 Depth=1
	s_or_b32 exec_lo, exec_lo, s16
	v_lshlrev_b32_e32 v18, 8, v14
	s_delay_alu instid0(VALU_DEP_3) | instskip(NEXT) | instid1(VALU_DEP_3)
	v_lshl_add_u32 v23, v23, 10, 0x2000
	v_lshlrev_b32_e32 v17, 7, v17
	s_delay_alu instid0(VALU_DEP_2) | instskip(NEXT) | instid1(VALU_DEP_1)
	v_and_or_b32 v18, 0x8000, v18, v23
	v_and_or_b32 v17, 0x380, v17, v18
	s_delay_alu instid0(VALU_DEP_1)
	v_cvt_f32_f16_e32 v23, v17
.LBB354_1811:                           ;   in Loop: Header=BB354_1574 Depth=1
	s_or_b32 exec_lo, exec_lo, s15
.LBB354_1812:                           ;   in Loop: Header=BB354_1574 Depth=1
	s_delay_alu instid0(SALU_CYCLE_1)
	s_or_b32 exec_lo, exec_lo, s13
.LBB354_1813:                           ;   in Loop: Header=BB354_1574 Depth=1
	s_delay_alu instid0(SALU_CYCLE_1) | instskip(SKIP_2) | instid1(VALU_DEP_1)
	s_or_b32 exec_lo, exec_lo, s12
	v_lshrrev_b16 v2, 8, v2
	s_mov_b32 s12, exec_lo
	v_cmpx_ne_u16_e32 0, v2
	s_cbranch_execz .LBB354_1821
; %bb.1814:                             ;   in Loop: Header=BB354_1574 Depth=1
	v_bfrev_b32_e32 v39, 1
	s_mov_b32 s13, exec_lo
	v_cmpx_ne_u16_e32 0x80, v2
	s_cbranch_execz .LBB354_1820
; %bb.1815:                             ;   in Loop: Header=BB354_1574 Depth=1
	v_and_b32_e32 v48, 0xffff, v2
	v_mov_b32_e32 v39, 0x7fc02000
	s_mov_b32 s15, exec_lo
	s_delay_alu instid0(VALU_DEP_2) | instskip(NEXT) | instid1(VALU_DEP_1)
	v_and_b32_e32 v17, 0x7f, v48
	v_cmpx_ne_u32_e32 0x7f, v17
	s_cbranch_execz .LBB354_1819
; %bb.1816:                             ;   in Loop: Header=BB354_1574 Depth=1
	v_and_b32_e32 v2, 7, v48
	v_lshrrev_b32_e32 v39, 3, v17
	v_cmp_gt_u32_e64 s0, 8, v17
	s_delay_alu instid0(VALU_DEP_3) | instskip(NEXT) | instid1(VALU_DEP_2)
	v_dual_mov_b32 v18, v3 :: v_dual_mov_b32 v17, v2
	s_and_saveexec_b32 s16, s0
; %bb.1817:                             ;   in Loop: Header=BB354_1574 Depth=1
	v_clz_i32_u32_e32 v17, v2
	s_delay_alu instid0(VALU_DEP_1) | instskip(NEXT) | instid1(VALU_DEP_1)
	v_min_u32_e32 v39, 32, v17
	v_subrev_nc_u32_e32 v17, 28, v39
	v_sub_nc_u32_e32 v39, 29, v39
	s_delay_alu instid0(VALU_DEP_2) | instskip(NEXT) | instid1(VALU_DEP_1)
	v_lshlrev_b64 v[17:18], v17, v[2:3]
	v_and_b32_e32 v17, 7, v17
; %bb.1818:                             ;   in Loop: Header=BB354_1574 Depth=1
	s_or_b32 exec_lo, exec_lo, s16
	v_lshlrev_b32_e32 v2, 8, v48
	v_lshl_add_u32 v18, v39, 10, 0x2000
	s_delay_alu instid0(VALU_DEP_1) | instskip(NEXT) | instid1(VALU_DEP_1)
	v_and_or_b32 v2, 0x8000, v2, v18
	v_lshl_or_b32 v2, v17, 7, v2
	s_delay_alu instid0(VALU_DEP_1)
	v_cvt_f32_f16_e32 v39, v2
.LBB354_1819:                           ;   in Loop: Header=BB354_1574 Depth=1
	s_or_b32 exec_lo, exec_lo, s15
.LBB354_1820:                           ;   in Loop: Header=BB354_1574 Depth=1
	s_delay_alu instid0(SALU_CYCLE_1)
	s_or_b32 exec_lo, exec_lo, s13
.LBB354_1821:                           ;   in Loop: Header=BB354_1574 Depth=1
	s_delay_alu instid0(SALU_CYCLE_1) | instskip(SKIP_3) | instid1(VALU_DEP_2)
	s_or_b32 exec_lo, exec_lo, s12
	v_lshrrev_b32_e32 v49, 16, v14
	v_mov_b32_e32 v48, 0
	s_mov_b32 s12, exec_lo
	v_dual_mov_b32 v17, 0 :: v_dual_and_b32 v2, 0xff, v49
	s_delay_alu instid0(VALU_DEP_1)
	v_cmpx_ne_u16_e32 0, v2
	s_cbranch_execz .LBB354_1829
; %bb.1822:                             ;   in Loop: Header=BB354_1574 Depth=1
	v_bfrev_b32_e32 v17, 1
	s_mov_b32 s13, exec_lo
	v_cmpx_ne_u16_e32 0x80, v2
	s_cbranch_execz .LBB354_1828
; %bb.1823:                             ;   in Loop: Header=BB354_1574 Depth=1
	v_bfe_u32 v18, v14, 16, 7
	v_mov_b32_e32 v17, 0x7fc02000
	s_mov_b32 s15, exec_lo
	s_delay_alu instid0(VALU_DEP_2)
	v_cmpx_ne_u32_e32 0x7f, v18
	s_cbranch_execz .LBB354_1827
; %bb.1824:                             ;   in Loop: Header=BB354_1574 Depth=1
	v_and_b32_e32 v2, 7, v49
	v_lshrrev_b32_e32 v50, 3, v18
	v_cmp_gt_u32_e64 s0, 8, v18
	s_delay_alu instid0(VALU_DEP_3) | instskip(NEXT) | instid1(VALU_DEP_2)
	v_dual_mov_b32 v18, v3 :: v_dual_mov_b32 v17, v2
	s_and_saveexec_b32 s16, s0
; %bb.1825:                             ;   in Loop: Header=BB354_1574 Depth=1
	v_clz_i32_u32_e32 v17, v2
	s_delay_alu instid0(VALU_DEP_1) | instskip(NEXT) | instid1(VALU_DEP_1)
	v_min_u32_e32 v50, 32, v17
	v_subrev_nc_u32_e32 v17, 28, v50
	v_sub_nc_u32_e32 v50, 29, v50
	s_delay_alu instid0(VALU_DEP_2) | instskip(NEXT) | instid1(VALU_DEP_1)
	v_lshlrev_b64 v[17:18], v17, v[2:3]
	v_and_b32_e32 v17, 7, v17
; %bb.1826:                             ;   in Loop: Header=BB354_1574 Depth=1
	s_or_b32 exec_lo, exec_lo, s16
	v_lshlrev_b32_e32 v2, 8, v49
	v_lshl_add_u32 v18, v50, 10, 0x2000
	s_delay_alu instid0(VALU_DEP_1) | instskip(NEXT) | instid1(VALU_DEP_1)
	v_and_or_b32 v2, 0x8000, v2, v18
	v_lshl_or_b32 v2, v17, 7, v2
	s_delay_alu instid0(VALU_DEP_1)
	v_cvt_f32_f16_e32 v17, v2
.LBB354_1827:                           ;   in Loop: Header=BB354_1574 Depth=1
	s_or_b32 exec_lo, exec_lo, s15
.LBB354_1828:                           ;   in Loop: Header=BB354_1574 Depth=1
	s_delay_alu instid0(SALU_CYCLE_1)
	s_or_b32 exec_lo, exec_lo, s13
.LBB354_1829:                           ;   in Loop: Header=BB354_1574 Depth=1
	s_delay_alu instid0(SALU_CYCLE_1) | instskip(NEXT) | instid1(SALU_CYCLE_1)
	s_or_b32 exec_lo, exec_lo, s12
	s_mov_b32 s12, exec_lo
	v_cmpx_lt_u64_e64 s[8:9], v[13:14]
	s_cbranch_execz .LBB354_1837
; %bb.1830:                             ;   in Loop: Header=BB354_1574 Depth=1
	v_lshrrev_b32_e32 v18, 24, v14
	v_bfrev_b32_e32 v48, 1
	s_mov_b32 s13, exec_lo
	s_delay_alu instid0(VALU_DEP_2)
	v_cmpx_ne_u32_e32 0x80, v18
	s_cbranch_execz .LBB354_1836
; %bb.1831:                             ;   in Loop: Header=BB354_1574 Depth=1
	v_and_b32_e32 v13, 0x7f, v18
	v_mov_b32_e32 v48, 0x7fc02000
	s_mov_b32 s15, exec_lo
	s_delay_alu instid0(VALU_DEP_2)
	v_cmpx_ne_u32_e32 0x7f, v13
	s_cbranch_execz .LBB354_1835
; %bb.1832:                             ;   in Loop: Header=BB354_1574 Depth=1
	v_and_b32_e32 v2, 7, v18
	v_lshrrev_b32_e32 v48, 3, v13
	v_cmp_gt_u32_e64 s0, 8, v13
	s_delay_alu instid0(VALU_DEP_3) | instskip(NEXT) | instid1(VALU_DEP_2)
	v_dual_mov_b32 v14, v3 :: v_dual_mov_b32 v13, v2
	s_and_saveexec_b32 s16, s0
; %bb.1833:                             ;   in Loop: Header=BB354_1574 Depth=1
	v_clz_i32_u32_e32 v13, v2
	s_delay_alu instid0(VALU_DEP_1) | instskip(NEXT) | instid1(VALU_DEP_1)
	v_min_u32_e32 v48, 32, v13
	v_subrev_nc_u32_e32 v13, 28, v48
	v_sub_nc_u32_e32 v48, 29, v48
	s_delay_alu instid0(VALU_DEP_2) | instskip(NEXT) | instid1(VALU_DEP_1)
	v_lshlrev_b64 v[13:14], v13, v[2:3]
	v_and_b32_e32 v13, 7, v13
; %bb.1834:                             ;   in Loop: Header=BB354_1574 Depth=1
	s_or_b32 exec_lo, exec_lo, s16
	v_lshlrev_b32_e32 v2, 8, v18
	v_lshl_add_u32 v14, v48, 10, 0x2000
	s_delay_alu instid0(VALU_DEP_1) | instskip(NEXT) | instid1(VALU_DEP_1)
	v_and_or_b32 v2, 0x8000, v2, v14
	v_lshl_or_b32 v2, v13, 7, v2
	s_delay_alu instid0(VALU_DEP_1)
	v_cvt_f32_f16_e32 v48, v2
.LBB354_1835:                           ;   in Loop: Header=BB354_1574 Depth=1
	s_or_b32 exec_lo, exec_lo, s15
.LBB354_1836:                           ;   in Loop: Header=BB354_1574 Depth=1
	s_delay_alu instid0(SALU_CYCLE_1)
	s_or_b32 exec_lo, exec_lo, s13
.LBB354_1837:                           ;   in Loop: Header=BB354_1574 Depth=1
	s_delay_alu instid0(SALU_CYCLE_1)
	s_or_b32 exec_lo, exec_lo, s12
	s_waitcnt vmcnt(0) lgkmcnt(0)
	v_fma_mixlo_f16 v6, v4, v6, 0
	v_fma_mixlo_f16 v2, v4, v37, 0
	;; [unrolled: 1-line block ×5, first 2 shown]
	v_lshlrev_b32_e32 v14, 16, v6
	v_fma_mixlo_f16 v6, v4, v5, 0
	v_fma_mixlo_f16 v23, v4, v48, 0
	;; [unrolled: 1-line block ×3, first 2 shown]
	v_lshlrev_b32_e32 v2, 16, v2
	v_and_b32_e32 v13, 0xffff, v13
	v_and_b32_e32 v4, 0xffff, v6
	v_lshlrev_b32_e32 v17, 16, v18
	v_and_b32_e32 v18, 0xffff, v22
	v_lshlrev_b32_e32 v22, 16, v23
	v_and_b32_e32 v23, 0xffff, v5
	v_or_b32_e32 v6, v2, v13
	v_or_b32_e32 v13, v14, v4
	;; [unrolled: 1-line block ×3, first 2 shown]
	s_delay_alu instid0(VALU_DEP_4)
	v_or_b32_e32 v4, v22, v23
	s_and_saveexec_b32 s12, vcc_lo
	s_cbranch_execz .LBB354_1839
; %bb.1838:                             ;   in Loop: Header=BB354_1574 Depth=1
	v_cmp_lt_i32_e64 s0, v119, v38
	v_lshrrev_b32_e32 v14, 16, v13
	v_lshrrev_b32_e32 v17, 16, v6
	v_lshrrev_b32_e32 v18, 16, v2
	v_lshrrev_b32_e32 v4, 16, v4
	v_cndmask_b32_e64 v13, 0, v13, s0
	v_cmp_lt_i32_e64 s0, v134, v55
	s_delay_alu instid0(VALU_DEP_1) | instskip(SKIP_1) | instid1(VALU_DEP_2)
	v_cndmask_b32_e64 v14, 0, v14, s0
	v_cmp_lt_i32_e64 s0, v133, v55
	v_perm_b32 v13, v14, v13, 0x5040100
	s_delay_alu instid0(VALU_DEP_2) | instskip(SKIP_1) | instid1(VALU_DEP_1)
	v_cndmask_b32_e64 v17, 0, v17, s0
	v_cmp_lt_i32_e64 s0, v132, v38
	v_cndmask_b32_e64 v6, 0, v6, s0
	v_cmp_lt_i32_e64 s0, v131, v55
	s_delay_alu instid0(VALU_DEP_2) | instskip(NEXT) | instid1(VALU_DEP_2)
	v_perm_b32 v6, v17, v6, 0x5040100
	v_cndmask_b32_e64 v18, 0, v18, s0
	v_cmp_lt_i32_e64 s0, v130, v38
	s_delay_alu instid0(VALU_DEP_1) | instskip(SKIP_1) | instid1(VALU_DEP_2)
	v_cndmask_b32_e64 v2, 0, v2, s0
	v_cmp_lt_i32_e64 s0, v129, v55
	v_perm_b32 v2, v18, v2, 0x5040100
	s_delay_alu instid0(VALU_DEP_2) | instskip(SKIP_1) | instid1(VALU_DEP_1)
	v_cndmask_b32_e64 v4, 0, v4, s0
	v_cmp_lt_i32_e64 s0, v128, v38
	v_cndmask_b32_e64 v5, 0, v5, s0
	s_delay_alu instid0(VALU_DEP_1)
	v_perm_b32 v4, v4, v5, 0x5040100
.LBB354_1839:                           ;   in Loop: Header=BB354_1574 Depth=1
	s_or_b32 exec_lo, exec_lo, s12
	;;#ASMSTART
	v_pk_mul_f16 v5, v118, v13;

	;;#ASMEND
	;;#ASMSTART
	v_pk_mul_f16 v6, v117, v6;

	;;#ASMEND
	;; [unrolled: 4-line block ×4, first 2 shown]
	;;#ASMSTART
	v_pk_add_f16 v5, v5, v6;

	;;#ASMEND
	;;#ASMSTART
	v_pk_add_f16 v2, v5, v2;

	;;#ASMEND
	;; [unrolled: 4-line block ×3, first 2 shown]
	v_dual_mov_b32 v5, 0 :: v_dual_and_b32 v4, 0xffff, v2
	v_lshrrev_b32_e32 v2, 16, v2
	;;#ASMSTART
	v_cvt_f32_f16 v147, v4;
	;;#ASMEND
	;;#ASMSTART
	v_cvt_f32_f16 v148, v2;
	;;#ASMEND
	flat_load_b64 v[13:14], v[11:12] offset:1024
	flat_load_b32 v4, v[26:27]
	v_mov_b32_e32 v6, 0
	s_mov_b32 s12, exec_lo
	s_waitcnt vmcnt(1) lgkmcnt(1)
	v_and_b32_e32 v2, 0xff, v13
	s_delay_alu instid0(VALU_DEP_1)
	v_cmpx_ne_u16_e32 0, v2
	s_cbranch_execz .LBB354_1847
; %bb.1840:                             ;   in Loop: Header=BB354_1574 Depth=1
	v_bfrev_b32_e32 v5, 1
	s_mov_b32 s13, exec_lo
	v_cmpx_ne_u16_e32 0x80, v2
	s_cbranch_execz .LBB354_1846
; %bb.1841:                             ;   in Loop: Header=BB354_1574 Depth=1
	v_and_b32_e32 v17, 0x7f, v13
	v_mov_b32_e32 v5, 0x7fc02000
	s_mov_b32 s15, exec_lo
	s_delay_alu instid0(VALU_DEP_2)
	v_cmpx_ne_u32_e32 0x7f, v17
	s_cbranch_execz .LBB354_1845
; %bb.1842:                             ;   in Loop: Header=BB354_1574 Depth=1
	v_lshrrev_b32_e32 v2, 3, v17
	v_cmp_gt_u32_e64 s0, 8, v17
	v_dual_mov_b32 v18, v14 :: v_dual_mov_b32 v17, v13
	s_delay_alu instid0(VALU_DEP_2)
	s_and_saveexec_b32 s16, s0
; %bb.1843:                             ;   in Loop: Header=BB354_1574 Depth=1
	v_and_b32_e32 v2, 7, v13
	s_delay_alu instid0(VALU_DEP_1) | instskip(NEXT) | instid1(VALU_DEP_1)
	v_clz_i32_u32_e32 v2, v2
	v_min_u32_e32 v2, 32, v2
	s_delay_alu instid0(VALU_DEP_1) | instskip(SKIP_1) | instid1(VALU_DEP_2)
	v_subrev_nc_u32_e32 v5, 28, v2
	v_sub_nc_u32_e32 v2, 29, v2
	v_lshlrev_b64 v[17:18], v5, v[13:14]
; %bb.1844:                             ;   in Loop: Header=BB354_1574 Depth=1
	s_or_b32 exec_lo, exec_lo, s16
	v_lshlrev_b32_e32 v5, 8, v13
	s_delay_alu instid0(VALU_DEP_3) | instskip(NEXT) | instid1(VALU_DEP_3)
	v_lshl_add_u32 v2, v2, 10, 0x2000
	v_lshlrev_b32_e32 v17, 7, v17
	s_delay_alu instid0(VALU_DEP_2) | instskip(NEXT) | instid1(VALU_DEP_1)
	v_and_or_b32 v2, 0x8000, v5, v2
	v_and_or_b32 v2, 0x380, v17, v2
	s_delay_alu instid0(VALU_DEP_1)
	v_cvt_f32_f16_e32 v5, v2
.LBB354_1845:                           ;   in Loop: Header=BB354_1574 Depth=1
	s_or_b32 exec_lo, exec_lo, s15
.LBB354_1846:                           ;   in Loop: Header=BB354_1574 Depth=1
	s_delay_alu instid0(SALU_CYCLE_1)
	s_or_b32 exec_lo, exec_lo, s13
.LBB354_1847:                           ;   in Loop: Header=BB354_1574 Depth=1
	s_delay_alu instid0(SALU_CYCLE_1) | instskip(SKIP_2) | instid1(VALU_DEP_1)
	s_or_b32 exec_lo, exec_lo, s12
	v_lshrrev_b16 v2, 8, v13
	s_mov_b32 s12, exec_lo
	v_cmpx_ne_u16_e32 0, v2
	s_cbranch_execz .LBB354_1855
; %bb.1848:                             ;   in Loop: Header=BB354_1574 Depth=1
	v_bfrev_b32_e32 v6, 1
	s_mov_b32 s13, exec_lo
	v_cmpx_ne_u16_e32 0x80, v2
	s_cbranch_execz .LBB354_1854
; %bb.1849:                             ;   in Loop: Header=BB354_1574 Depth=1
	v_and_b32_e32 v22, 0xffff, v2
	v_mov_b32_e32 v6, 0x7fc02000
	s_mov_b32 s15, exec_lo
	s_delay_alu instid0(VALU_DEP_2) | instskip(NEXT) | instid1(VALU_DEP_1)
	v_and_b32_e32 v17, 0x7f, v22
	v_cmpx_ne_u32_e32 0x7f, v17
	s_cbranch_execz .LBB354_1853
; %bb.1850:                             ;   in Loop: Header=BB354_1574 Depth=1
	v_and_b32_e32 v2, 7, v22
	v_lshrrev_b32_e32 v6, 3, v17
	v_cmp_gt_u32_e64 s0, 8, v17
	s_delay_alu instid0(VALU_DEP_3) | instskip(NEXT) | instid1(VALU_DEP_2)
	v_dual_mov_b32 v18, v3 :: v_dual_mov_b32 v17, v2
	s_and_saveexec_b32 s16, s0
; %bb.1851:                             ;   in Loop: Header=BB354_1574 Depth=1
	v_clz_i32_u32_e32 v6, v2
	s_delay_alu instid0(VALU_DEP_1) | instskip(NEXT) | instid1(VALU_DEP_1)
	v_min_u32_e32 v6, 32, v6
	v_subrev_nc_u32_e32 v17, 28, v6
	v_sub_nc_u32_e32 v6, 29, v6
	s_delay_alu instid0(VALU_DEP_2) | instskip(NEXT) | instid1(VALU_DEP_1)
	v_lshlrev_b64 v[17:18], v17, v[2:3]
	v_and_b32_e32 v17, 7, v17
; %bb.1852:                             ;   in Loop: Header=BB354_1574 Depth=1
	s_or_b32 exec_lo, exec_lo, s16
	v_lshlrev_b32_e32 v2, 8, v22
	v_lshl_add_u32 v6, v6, 10, 0x2000
	s_delay_alu instid0(VALU_DEP_1) | instskip(NEXT) | instid1(VALU_DEP_1)
	v_and_or_b32 v2, 0x8000, v2, v6
	v_lshl_or_b32 v2, v17, 7, v2
	s_delay_alu instid0(VALU_DEP_1)
	v_cvt_f32_f16_e32 v6, v2
.LBB354_1853:                           ;   in Loop: Header=BB354_1574 Depth=1
	s_or_b32 exec_lo, exec_lo, s15
.LBB354_1854:                           ;   in Loop: Header=BB354_1574 Depth=1
	s_delay_alu instid0(SALU_CYCLE_1)
	s_or_b32 exec_lo, exec_lo, s13
.LBB354_1855:                           ;   in Loop: Header=BB354_1574 Depth=1
	s_delay_alu instid0(SALU_CYCLE_1) | instskip(SKIP_3) | instid1(VALU_DEP_2)
	s_or_b32 exec_lo, exec_lo, s12
	v_lshrrev_b32_e32 v23, 16, v13
	v_mov_b32_e32 v22, 0
	s_mov_b32 s12, exec_lo
	v_dual_mov_b32 v37, 0 :: v_dual_and_b32 v2, 0xff, v23
	s_delay_alu instid0(VALU_DEP_1)
	v_cmpx_ne_u16_e32 0, v2
	s_cbranch_execz .LBB354_1863
; %bb.1856:                             ;   in Loop: Header=BB354_1574 Depth=1
	v_bfrev_b32_e32 v22, 1
	s_mov_b32 s13, exec_lo
	v_cmpx_ne_u16_e32 0x80, v2
	s_cbranch_execz .LBB354_1862
; %bb.1857:                             ;   in Loop: Header=BB354_1574 Depth=1
	v_bfe_u32 v17, v13, 16, 7
	v_mov_b32_e32 v22, 0x7fc02000
	s_mov_b32 s15, exec_lo
	s_delay_alu instid0(VALU_DEP_2)
	v_cmpx_ne_u32_e32 0x7f, v17
	s_cbranch_execz .LBB354_1861
; %bb.1858:                             ;   in Loop: Header=BB354_1574 Depth=1
	v_and_b32_e32 v2, 7, v23
	v_lshrrev_b32_e32 v22, 3, v17
	v_cmp_gt_u32_e64 s0, 8, v17
	s_delay_alu instid0(VALU_DEP_3) | instskip(NEXT) | instid1(VALU_DEP_2)
	v_dual_mov_b32 v18, v3 :: v_dual_mov_b32 v17, v2
	s_and_saveexec_b32 s16, s0
; %bb.1859:                             ;   in Loop: Header=BB354_1574 Depth=1
	v_clz_i32_u32_e32 v17, v2
	s_delay_alu instid0(VALU_DEP_1) | instskip(NEXT) | instid1(VALU_DEP_1)
	v_min_u32_e32 v22, 32, v17
	v_subrev_nc_u32_e32 v17, 28, v22
	v_sub_nc_u32_e32 v22, 29, v22
	s_delay_alu instid0(VALU_DEP_2) | instskip(NEXT) | instid1(VALU_DEP_1)
	v_lshlrev_b64 v[17:18], v17, v[2:3]
	v_and_b32_e32 v17, 7, v17
; %bb.1860:                             ;   in Loop: Header=BB354_1574 Depth=1
	s_or_b32 exec_lo, exec_lo, s16
	v_lshlrev_b32_e32 v2, 8, v23
	v_lshl_add_u32 v18, v22, 10, 0x2000
	s_delay_alu instid0(VALU_DEP_1) | instskip(NEXT) | instid1(VALU_DEP_1)
	v_and_or_b32 v2, 0x8000, v2, v18
	v_lshl_or_b32 v2, v17, 7, v2
	s_delay_alu instid0(VALU_DEP_1)
	v_cvt_f32_f16_e32 v22, v2
.LBB354_1861:                           ;   in Loop: Header=BB354_1574 Depth=1
	s_or_b32 exec_lo, exec_lo, s15
.LBB354_1862:                           ;   in Loop: Header=BB354_1574 Depth=1
	s_delay_alu instid0(SALU_CYCLE_1)
	s_or_b32 exec_lo, exec_lo, s13
.LBB354_1863:                           ;   in Loop: Header=BB354_1574 Depth=1
	s_delay_alu instid0(SALU_CYCLE_1) | instskip(NEXT) | instid1(SALU_CYCLE_1)
	s_or_b32 exec_lo, exec_lo, s12
	s_mov_b32 s12, exec_lo
	v_cmpx_lt_u32_e32 0xffffff, v13
	s_cbranch_execz .LBB354_1871
; %bb.1864:                             ;   in Loop: Header=BB354_1574 Depth=1
	v_lshrrev_b32_e32 v23, 24, v13
	v_bfrev_b32_e32 v37, 1
	s_mov_b32 s13, exec_lo
	s_delay_alu instid0(VALU_DEP_2)
	v_cmpx_ne_u32_e32 0x80, v23
	s_cbranch_execz .LBB354_1870
; %bb.1865:                             ;   in Loop: Header=BB354_1574 Depth=1
	v_and_b32_e32 v17, 0x7f, v23
	v_mov_b32_e32 v37, 0x7fc02000
	s_mov_b32 s15, exec_lo
	s_delay_alu instid0(VALU_DEP_2)
	v_cmpx_ne_u32_e32 0x7f, v17
	s_cbranch_execz .LBB354_1869
; %bb.1866:                             ;   in Loop: Header=BB354_1574 Depth=1
	v_and_b32_e32 v2, 7, v23
	v_lshrrev_b32_e32 v37, 3, v17
	v_cmp_gt_u32_e64 s0, 8, v17
	s_delay_alu instid0(VALU_DEP_3) | instskip(NEXT) | instid1(VALU_DEP_2)
	v_dual_mov_b32 v18, v3 :: v_dual_mov_b32 v17, v2
	s_and_saveexec_b32 s16, s0
; %bb.1867:                             ;   in Loop: Header=BB354_1574 Depth=1
	v_clz_i32_u32_e32 v17, v2
	s_delay_alu instid0(VALU_DEP_1) | instskip(NEXT) | instid1(VALU_DEP_1)
	v_min_u32_e32 v37, 32, v17
	v_subrev_nc_u32_e32 v17, 28, v37
	v_sub_nc_u32_e32 v37, 29, v37
	s_delay_alu instid0(VALU_DEP_2) | instskip(NEXT) | instid1(VALU_DEP_1)
	v_lshlrev_b64 v[17:18], v17, v[2:3]
	v_and_b32_e32 v17, 7, v17
; %bb.1868:                             ;   in Loop: Header=BB354_1574 Depth=1
	s_or_b32 exec_lo, exec_lo, s16
	v_lshlrev_b32_e32 v2, 8, v23
	v_lshl_add_u32 v18, v37, 10, 0x2000
	s_delay_alu instid0(VALU_DEP_1) | instskip(NEXT) | instid1(VALU_DEP_1)
	v_and_or_b32 v2, 0x8000, v2, v18
	v_lshl_or_b32 v2, v17, 7, v2
	s_delay_alu instid0(VALU_DEP_1)
	v_cvt_f32_f16_e32 v37, v2
.LBB354_1869:                           ;   in Loop: Header=BB354_1574 Depth=1
	s_or_b32 exec_lo, exec_lo, s15
.LBB354_1870:                           ;   in Loop: Header=BB354_1574 Depth=1
	s_delay_alu instid0(SALU_CYCLE_1)
	s_or_b32 exec_lo, exec_lo, s13
.LBB354_1871:                           ;   in Loop: Header=BB354_1574 Depth=1
	s_delay_alu instid0(SALU_CYCLE_1) | instskip(SKIP_4) | instid1(VALU_DEP_3)
	s_or_b32 exec_lo, exec_lo, s12
	v_dual_mov_b32 v2, v14 :: v_dual_and_b32 v17, 0xff, v14
	v_mov_b32_e32 v39, 0
	v_mov_b32_e32 v23, 0
	s_mov_b32 s12, exec_lo
	v_cmpx_ne_u16_e32 0, v17
	s_cbranch_execz .LBB354_1879
; %bb.1872:                             ;   in Loop: Header=BB354_1574 Depth=1
	v_bfrev_b32_e32 v23, 1
	s_mov_b32 s13, exec_lo
	v_cmpx_ne_u16_e32 0x80, v17
	s_cbranch_execz .LBB354_1878
; %bb.1873:                             ;   in Loop: Header=BB354_1574 Depth=1
	v_and_b32_e32 v17, 0x7f, v14
	v_mov_b32_e32 v23, 0x7fc02000
	s_mov_b32 s15, exec_lo
	s_delay_alu instid0(VALU_DEP_2)
	v_cmpx_ne_u32_e32 0x7f, v17
	s_cbranch_execz .LBB354_1877
; %bb.1874:                             ;   in Loop: Header=BB354_1574 Depth=1
	v_lshrrev_b32_e32 v23, 3, v17
	v_cmp_gt_u32_e64 s0, 8, v17
	v_dual_mov_b32 v18, v3 :: v_dual_mov_b32 v17, v2
	s_delay_alu instid0(VALU_DEP_2)
	s_and_saveexec_b32 s16, s0
; %bb.1875:                             ;   in Loop: Header=BB354_1574 Depth=1
	v_and_b32_e32 v17, 7, v14
	s_delay_alu instid0(VALU_DEP_1) | instskip(NEXT) | instid1(VALU_DEP_1)
	v_clz_i32_u32_e32 v17, v17
	v_min_u32_e32 v23, 32, v17
	s_delay_alu instid0(VALU_DEP_1) | instskip(SKIP_1) | instid1(VALU_DEP_2)
	v_subrev_nc_u32_e32 v17, 28, v23
	v_sub_nc_u32_e32 v23, 29, v23
	v_lshlrev_b64 v[17:18], v17, v[2:3]
; %bb.1876:                             ;   in Loop: Header=BB354_1574 Depth=1
	s_or_b32 exec_lo, exec_lo, s16
	v_lshlrev_b32_e32 v18, 8, v14
	s_delay_alu instid0(VALU_DEP_3) | instskip(NEXT) | instid1(VALU_DEP_3)
	v_lshl_add_u32 v23, v23, 10, 0x2000
	v_lshlrev_b32_e32 v17, 7, v17
	s_delay_alu instid0(VALU_DEP_2) | instskip(NEXT) | instid1(VALU_DEP_1)
	v_and_or_b32 v18, 0x8000, v18, v23
	v_and_or_b32 v17, 0x380, v17, v18
	s_delay_alu instid0(VALU_DEP_1)
	v_cvt_f32_f16_e32 v23, v17
.LBB354_1877:                           ;   in Loop: Header=BB354_1574 Depth=1
	s_or_b32 exec_lo, exec_lo, s15
.LBB354_1878:                           ;   in Loop: Header=BB354_1574 Depth=1
	s_delay_alu instid0(SALU_CYCLE_1)
	s_or_b32 exec_lo, exec_lo, s13
.LBB354_1879:                           ;   in Loop: Header=BB354_1574 Depth=1
	s_delay_alu instid0(SALU_CYCLE_1) | instskip(SKIP_2) | instid1(VALU_DEP_1)
	s_or_b32 exec_lo, exec_lo, s12
	v_lshrrev_b16 v2, 8, v2
	s_mov_b32 s12, exec_lo
	v_cmpx_ne_u16_e32 0, v2
	s_cbranch_execz .LBB354_1887
; %bb.1880:                             ;   in Loop: Header=BB354_1574 Depth=1
	v_bfrev_b32_e32 v39, 1
	s_mov_b32 s13, exec_lo
	v_cmpx_ne_u16_e32 0x80, v2
	s_cbranch_execz .LBB354_1886
; %bb.1881:                             ;   in Loop: Header=BB354_1574 Depth=1
	v_and_b32_e32 v48, 0xffff, v2
	v_mov_b32_e32 v39, 0x7fc02000
	s_mov_b32 s15, exec_lo
	s_delay_alu instid0(VALU_DEP_2) | instskip(NEXT) | instid1(VALU_DEP_1)
	v_and_b32_e32 v17, 0x7f, v48
	v_cmpx_ne_u32_e32 0x7f, v17
	s_cbranch_execz .LBB354_1885
; %bb.1882:                             ;   in Loop: Header=BB354_1574 Depth=1
	v_and_b32_e32 v2, 7, v48
	v_lshrrev_b32_e32 v39, 3, v17
	v_cmp_gt_u32_e64 s0, 8, v17
	s_delay_alu instid0(VALU_DEP_3) | instskip(NEXT) | instid1(VALU_DEP_2)
	v_dual_mov_b32 v18, v3 :: v_dual_mov_b32 v17, v2
	s_and_saveexec_b32 s16, s0
; %bb.1883:                             ;   in Loop: Header=BB354_1574 Depth=1
	v_clz_i32_u32_e32 v17, v2
	s_delay_alu instid0(VALU_DEP_1) | instskip(NEXT) | instid1(VALU_DEP_1)
	v_min_u32_e32 v39, 32, v17
	v_subrev_nc_u32_e32 v17, 28, v39
	v_sub_nc_u32_e32 v39, 29, v39
	s_delay_alu instid0(VALU_DEP_2) | instskip(NEXT) | instid1(VALU_DEP_1)
	v_lshlrev_b64 v[17:18], v17, v[2:3]
	v_and_b32_e32 v17, 7, v17
; %bb.1884:                             ;   in Loop: Header=BB354_1574 Depth=1
	s_or_b32 exec_lo, exec_lo, s16
	v_lshlrev_b32_e32 v2, 8, v48
	v_lshl_add_u32 v18, v39, 10, 0x2000
	s_delay_alu instid0(VALU_DEP_1) | instskip(NEXT) | instid1(VALU_DEP_1)
	v_and_or_b32 v2, 0x8000, v2, v18
	v_lshl_or_b32 v2, v17, 7, v2
	s_delay_alu instid0(VALU_DEP_1)
	v_cvt_f32_f16_e32 v39, v2
.LBB354_1885:                           ;   in Loop: Header=BB354_1574 Depth=1
	s_or_b32 exec_lo, exec_lo, s15
.LBB354_1886:                           ;   in Loop: Header=BB354_1574 Depth=1
	s_delay_alu instid0(SALU_CYCLE_1)
	s_or_b32 exec_lo, exec_lo, s13
.LBB354_1887:                           ;   in Loop: Header=BB354_1574 Depth=1
	s_delay_alu instid0(SALU_CYCLE_1) | instskip(SKIP_3) | instid1(VALU_DEP_2)
	s_or_b32 exec_lo, exec_lo, s12
	v_lshrrev_b32_e32 v49, 16, v14
	v_mov_b32_e32 v48, 0
	s_mov_b32 s12, exec_lo
	v_dual_mov_b32 v17, 0 :: v_dual_and_b32 v2, 0xff, v49
	s_delay_alu instid0(VALU_DEP_1)
	v_cmpx_ne_u16_e32 0, v2
	s_cbranch_execz .LBB354_1895
; %bb.1888:                             ;   in Loop: Header=BB354_1574 Depth=1
	v_bfrev_b32_e32 v17, 1
	s_mov_b32 s13, exec_lo
	v_cmpx_ne_u16_e32 0x80, v2
	s_cbranch_execz .LBB354_1894
; %bb.1889:                             ;   in Loop: Header=BB354_1574 Depth=1
	v_bfe_u32 v18, v14, 16, 7
	v_mov_b32_e32 v17, 0x7fc02000
	s_mov_b32 s15, exec_lo
	s_delay_alu instid0(VALU_DEP_2)
	v_cmpx_ne_u32_e32 0x7f, v18
	s_cbranch_execz .LBB354_1893
; %bb.1890:                             ;   in Loop: Header=BB354_1574 Depth=1
	v_and_b32_e32 v2, 7, v49
	v_lshrrev_b32_e32 v50, 3, v18
	v_cmp_gt_u32_e64 s0, 8, v18
	s_delay_alu instid0(VALU_DEP_3) | instskip(NEXT) | instid1(VALU_DEP_2)
	v_dual_mov_b32 v18, v3 :: v_dual_mov_b32 v17, v2
	s_and_saveexec_b32 s16, s0
; %bb.1891:                             ;   in Loop: Header=BB354_1574 Depth=1
	v_clz_i32_u32_e32 v17, v2
	s_delay_alu instid0(VALU_DEP_1) | instskip(NEXT) | instid1(VALU_DEP_1)
	v_min_u32_e32 v50, 32, v17
	v_subrev_nc_u32_e32 v17, 28, v50
	v_sub_nc_u32_e32 v50, 29, v50
	s_delay_alu instid0(VALU_DEP_2) | instskip(NEXT) | instid1(VALU_DEP_1)
	v_lshlrev_b64 v[17:18], v17, v[2:3]
	v_and_b32_e32 v17, 7, v17
; %bb.1892:                             ;   in Loop: Header=BB354_1574 Depth=1
	s_or_b32 exec_lo, exec_lo, s16
	v_lshlrev_b32_e32 v2, 8, v49
	v_lshl_add_u32 v18, v50, 10, 0x2000
	s_delay_alu instid0(VALU_DEP_1) | instskip(NEXT) | instid1(VALU_DEP_1)
	v_and_or_b32 v2, 0x8000, v2, v18
	v_lshl_or_b32 v2, v17, 7, v2
	s_delay_alu instid0(VALU_DEP_1)
	v_cvt_f32_f16_e32 v17, v2
.LBB354_1893:                           ;   in Loop: Header=BB354_1574 Depth=1
	s_or_b32 exec_lo, exec_lo, s15
.LBB354_1894:                           ;   in Loop: Header=BB354_1574 Depth=1
	s_delay_alu instid0(SALU_CYCLE_1)
	s_or_b32 exec_lo, exec_lo, s13
.LBB354_1895:                           ;   in Loop: Header=BB354_1574 Depth=1
	s_delay_alu instid0(SALU_CYCLE_1) | instskip(NEXT) | instid1(SALU_CYCLE_1)
	s_or_b32 exec_lo, exec_lo, s12
	s_mov_b32 s12, exec_lo
	v_cmpx_lt_u64_e64 s[8:9], v[13:14]
	s_cbranch_execz .LBB354_1903
; %bb.1896:                             ;   in Loop: Header=BB354_1574 Depth=1
	v_lshrrev_b32_e32 v18, 24, v14
	v_bfrev_b32_e32 v48, 1
	s_mov_b32 s13, exec_lo
	s_delay_alu instid0(VALU_DEP_2)
	v_cmpx_ne_u32_e32 0x80, v18
	s_cbranch_execz .LBB354_1902
; %bb.1897:                             ;   in Loop: Header=BB354_1574 Depth=1
	v_and_b32_e32 v13, 0x7f, v18
	v_mov_b32_e32 v48, 0x7fc02000
	s_mov_b32 s15, exec_lo
	s_delay_alu instid0(VALU_DEP_2)
	v_cmpx_ne_u32_e32 0x7f, v13
	s_cbranch_execz .LBB354_1901
; %bb.1898:                             ;   in Loop: Header=BB354_1574 Depth=1
	v_and_b32_e32 v2, 7, v18
	v_lshrrev_b32_e32 v48, 3, v13
	v_cmp_gt_u32_e64 s0, 8, v13
	s_delay_alu instid0(VALU_DEP_3) | instskip(NEXT) | instid1(VALU_DEP_2)
	v_dual_mov_b32 v14, v3 :: v_dual_mov_b32 v13, v2
	s_and_saveexec_b32 s16, s0
; %bb.1899:                             ;   in Loop: Header=BB354_1574 Depth=1
	v_clz_i32_u32_e32 v13, v2
	s_delay_alu instid0(VALU_DEP_1) | instskip(NEXT) | instid1(VALU_DEP_1)
	v_min_u32_e32 v48, 32, v13
	v_subrev_nc_u32_e32 v13, 28, v48
	v_sub_nc_u32_e32 v48, 29, v48
	s_delay_alu instid0(VALU_DEP_2) | instskip(NEXT) | instid1(VALU_DEP_1)
	v_lshlrev_b64 v[13:14], v13, v[2:3]
	v_and_b32_e32 v13, 7, v13
; %bb.1900:                             ;   in Loop: Header=BB354_1574 Depth=1
	s_or_b32 exec_lo, exec_lo, s16
	v_lshlrev_b32_e32 v2, 8, v18
	v_lshl_add_u32 v14, v48, 10, 0x2000
	s_delay_alu instid0(VALU_DEP_1) | instskip(NEXT) | instid1(VALU_DEP_1)
	v_and_or_b32 v2, 0x8000, v2, v14
	v_lshl_or_b32 v2, v13, 7, v2
	s_delay_alu instid0(VALU_DEP_1)
	v_cvt_f32_f16_e32 v48, v2
.LBB354_1901:                           ;   in Loop: Header=BB354_1574 Depth=1
	s_or_b32 exec_lo, exec_lo, s15
.LBB354_1902:                           ;   in Loop: Header=BB354_1574 Depth=1
	s_delay_alu instid0(SALU_CYCLE_1)
	s_or_b32 exec_lo, exec_lo, s13
.LBB354_1903:                           ;   in Loop: Header=BB354_1574 Depth=1
	s_delay_alu instid0(SALU_CYCLE_1)
	s_or_b32 exec_lo, exec_lo, s12
	s_waitcnt vmcnt(0) lgkmcnt(0)
	v_fma_mixlo_f16 v6, v4, v6, 0
	v_fma_mixlo_f16 v2, v4, v37, 0
	;; [unrolled: 1-line block ×5, first 2 shown]
	v_lshlrev_b32_e32 v14, 16, v6
	v_fma_mixlo_f16 v6, v4, v5, 0
	v_fma_mixlo_f16 v23, v4, v48, 0
	;; [unrolled: 1-line block ×3, first 2 shown]
	v_lshlrev_b32_e32 v2, 16, v2
	v_and_b32_e32 v13, 0xffff, v13
	v_and_b32_e32 v4, 0xffff, v6
	v_lshlrev_b32_e32 v17, 16, v18
	v_and_b32_e32 v18, 0xffff, v22
	v_lshlrev_b32_e32 v22, 16, v23
	v_and_b32_e32 v23, 0xffff, v5
	v_or_b32_e32 v6, v2, v13
	v_or_b32_e32 v13, v14, v4
	;; [unrolled: 1-line block ×3, first 2 shown]
	s_delay_alu instid0(VALU_DEP_4)
	v_or_b32_e32 v4, v22, v23
	s_and_saveexec_b32 s12, vcc_lo
	s_cbranch_execz .LBB354_1905
; %bb.1904:                             ;   in Loop: Header=BB354_1574 Depth=1
	v_cmp_lt_i32_e64 s0, v119, v38
	v_lshrrev_b32_e32 v14, 16, v13
	v_lshrrev_b32_e32 v17, 16, v6
	;; [unrolled: 1-line block ×4, first 2 shown]
	v_cndmask_b32_e64 v13, 0, v13, s0
	v_cmp_lt_i32_e64 s0, v134, v55
	s_delay_alu instid0(VALU_DEP_1) | instskip(SKIP_1) | instid1(VALU_DEP_2)
	v_cndmask_b32_e64 v14, 0, v14, s0
	v_cmp_lt_i32_e64 s0, v133, v55
	v_perm_b32 v13, v14, v13, 0x5040100
	s_delay_alu instid0(VALU_DEP_2) | instskip(SKIP_1) | instid1(VALU_DEP_1)
	v_cndmask_b32_e64 v17, 0, v17, s0
	v_cmp_lt_i32_e64 s0, v132, v38
	v_cndmask_b32_e64 v6, 0, v6, s0
	v_cmp_lt_i32_e64 s0, v131, v55
	s_delay_alu instid0(VALU_DEP_2) | instskip(NEXT) | instid1(VALU_DEP_2)
	v_perm_b32 v6, v17, v6, 0x5040100
	v_cndmask_b32_e64 v18, 0, v18, s0
	v_cmp_lt_i32_e64 s0, v130, v38
	s_delay_alu instid0(VALU_DEP_1) | instskip(SKIP_1) | instid1(VALU_DEP_2)
	v_cndmask_b32_e64 v2, 0, v2, s0
	v_cmp_lt_i32_e64 s0, v129, v55
	v_perm_b32 v2, v18, v2, 0x5040100
	s_delay_alu instid0(VALU_DEP_2) | instskip(SKIP_1) | instid1(VALU_DEP_1)
	v_cndmask_b32_e64 v4, 0, v4, s0
	v_cmp_lt_i32_e64 s0, v128, v38
	v_cndmask_b32_e64 v5, 0, v5, s0
	s_delay_alu instid0(VALU_DEP_1)
	v_perm_b32 v4, v4, v5, 0x5040100
.LBB354_1905:                           ;   in Loop: Header=BB354_1574 Depth=1
	s_or_b32 exec_lo, exec_lo, s12
	;;#ASMSTART
	v_pk_mul_f16 v5, v118, v13;

	;;#ASMEND
	;;#ASMSTART
	v_pk_mul_f16 v6, v117, v6;

	;;#ASMEND
	;; [unrolled: 4-line block ×4, first 2 shown]
	;;#ASMSTART
	v_pk_add_f16 v5, v5, v6;

	;;#ASMEND
	;;#ASMSTART
	v_pk_add_f16 v2, v5, v2;

	;;#ASMEND
	;; [unrolled: 4-line block ×3, first 2 shown]
	v_dual_mov_b32 v5, 0 :: v_dual_and_b32 v4, 0xffff, v2
	v_lshrrev_b32_e32 v2, 16, v2
	;;#ASMSTART
	v_cvt_f32_f16 v149, v4;
	;;#ASMEND
	;;#ASMSTART
	v_cvt_f32_f16 v150, v2;
	;;#ASMEND
	flat_load_b64 v[13:14], v[11:12] offset:1280
	flat_load_b32 v4, v[26:27]
	v_mov_b32_e32 v6, 0
	s_mov_b32 s12, exec_lo
	s_waitcnt vmcnt(1) lgkmcnt(1)
	v_and_b32_e32 v2, 0xff, v13
	s_delay_alu instid0(VALU_DEP_1)
	v_cmpx_ne_u16_e32 0, v2
	s_cbranch_execz .LBB354_1913
; %bb.1906:                             ;   in Loop: Header=BB354_1574 Depth=1
	v_bfrev_b32_e32 v5, 1
	s_mov_b32 s13, exec_lo
	v_cmpx_ne_u16_e32 0x80, v2
	s_cbranch_execz .LBB354_1912
; %bb.1907:                             ;   in Loop: Header=BB354_1574 Depth=1
	v_and_b32_e32 v17, 0x7f, v13
	v_mov_b32_e32 v5, 0x7fc02000
	s_mov_b32 s15, exec_lo
	s_delay_alu instid0(VALU_DEP_2)
	v_cmpx_ne_u32_e32 0x7f, v17
	s_cbranch_execz .LBB354_1911
; %bb.1908:                             ;   in Loop: Header=BB354_1574 Depth=1
	v_lshrrev_b32_e32 v2, 3, v17
	v_cmp_gt_u32_e64 s0, 8, v17
	v_dual_mov_b32 v18, v14 :: v_dual_mov_b32 v17, v13
	s_delay_alu instid0(VALU_DEP_2)
	s_and_saveexec_b32 s16, s0
; %bb.1909:                             ;   in Loop: Header=BB354_1574 Depth=1
	v_and_b32_e32 v2, 7, v13
	s_delay_alu instid0(VALU_DEP_1) | instskip(NEXT) | instid1(VALU_DEP_1)
	v_clz_i32_u32_e32 v2, v2
	v_min_u32_e32 v2, 32, v2
	s_delay_alu instid0(VALU_DEP_1) | instskip(SKIP_1) | instid1(VALU_DEP_2)
	v_subrev_nc_u32_e32 v5, 28, v2
	v_sub_nc_u32_e32 v2, 29, v2
	v_lshlrev_b64 v[17:18], v5, v[13:14]
; %bb.1910:                             ;   in Loop: Header=BB354_1574 Depth=1
	s_or_b32 exec_lo, exec_lo, s16
	v_lshlrev_b32_e32 v5, 8, v13
	s_delay_alu instid0(VALU_DEP_3) | instskip(NEXT) | instid1(VALU_DEP_3)
	v_lshl_add_u32 v2, v2, 10, 0x2000
	v_lshlrev_b32_e32 v17, 7, v17
	s_delay_alu instid0(VALU_DEP_2) | instskip(NEXT) | instid1(VALU_DEP_1)
	v_and_or_b32 v2, 0x8000, v5, v2
	v_and_or_b32 v2, 0x380, v17, v2
	s_delay_alu instid0(VALU_DEP_1)
	v_cvt_f32_f16_e32 v5, v2
.LBB354_1911:                           ;   in Loop: Header=BB354_1574 Depth=1
	s_or_b32 exec_lo, exec_lo, s15
.LBB354_1912:                           ;   in Loop: Header=BB354_1574 Depth=1
	s_delay_alu instid0(SALU_CYCLE_1)
	s_or_b32 exec_lo, exec_lo, s13
.LBB354_1913:                           ;   in Loop: Header=BB354_1574 Depth=1
	s_delay_alu instid0(SALU_CYCLE_1) | instskip(SKIP_2) | instid1(VALU_DEP_1)
	s_or_b32 exec_lo, exec_lo, s12
	v_lshrrev_b16 v2, 8, v13
	s_mov_b32 s12, exec_lo
	v_cmpx_ne_u16_e32 0, v2
	s_cbranch_execz .LBB354_1921
; %bb.1914:                             ;   in Loop: Header=BB354_1574 Depth=1
	v_bfrev_b32_e32 v6, 1
	s_mov_b32 s13, exec_lo
	v_cmpx_ne_u16_e32 0x80, v2
	s_cbranch_execz .LBB354_1920
; %bb.1915:                             ;   in Loop: Header=BB354_1574 Depth=1
	v_and_b32_e32 v22, 0xffff, v2
	v_mov_b32_e32 v6, 0x7fc02000
	s_mov_b32 s15, exec_lo
	s_delay_alu instid0(VALU_DEP_2) | instskip(NEXT) | instid1(VALU_DEP_1)
	v_and_b32_e32 v17, 0x7f, v22
	v_cmpx_ne_u32_e32 0x7f, v17
	s_cbranch_execz .LBB354_1919
; %bb.1916:                             ;   in Loop: Header=BB354_1574 Depth=1
	v_and_b32_e32 v2, 7, v22
	v_lshrrev_b32_e32 v6, 3, v17
	v_cmp_gt_u32_e64 s0, 8, v17
	s_delay_alu instid0(VALU_DEP_3) | instskip(NEXT) | instid1(VALU_DEP_2)
	v_dual_mov_b32 v18, v3 :: v_dual_mov_b32 v17, v2
	s_and_saveexec_b32 s16, s0
; %bb.1917:                             ;   in Loop: Header=BB354_1574 Depth=1
	v_clz_i32_u32_e32 v6, v2
	s_delay_alu instid0(VALU_DEP_1) | instskip(NEXT) | instid1(VALU_DEP_1)
	v_min_u32_e32 v6, 32, v6
	v_subrev_nc_u32_e32 v17, 28, v6
	v_sub_nc_u32_e32 v6, 29, v6
	s_delay_alu instid0(VALU_DEP_2) | instskip(NEXT) | instid1(VALU_DEP_1)
	v_lshlrev_b64 v[17:18], v17, v[2:3]
	v_and_b32_e32 v17, 7, v17
; %bb.1918:                             ;   in Loop: Header=BB354_1574 Depth=1
	s_or_b32 exec_lo, exec_lo, s16
	v_lshlrev_b32_e32 v2, 8, v22
	v_lshl_add_u32 v6, v6, 10, 0x2000
	s_delay_alu instid0(VALU_DEP_1) | instskip(NEXT) | instid1(VALU_DEP_1)
	v_and_or_b32 v2, 0x8000, v2, v6
	v_lshl_or_b32 v2, v17, 7, v2
	s_delay_alu instid0(VALU_DEP_1)
	v_cvt_f32_f16_e32 v6, v2
.LBB354_1919:                           ;   in Loop: Header=BB354_1574 Depth=1
	s_or_b32 exec_lo, exec_lo, s15
.LBB354_1920:                           ;   in Loop: Header=BB354_1574 Depth=1
	s_delay_alu instid0(SALU_CYCLE_1)
	s_or_b32 exec_lo, exec_lo, s13
.LBB354_1921:                           ;   in Loop: Header=BB354_1574 Depth=1
	s_delay_alu instid0(SALU_CYCLE_1) | instskip(SKIP_3) | instid1(VALU_DEP_2)
	s_or_b32 exec_lo, exec_lo, s12
	v_lshrrev_b32_e32 v23, 16, v13
	v_mov_b32_e32 v22, 0
	s_mov_b32 s12, exec_lo
	v_dual_mov_b32 v37, 0 :: v_dual_and_b32 v2, 0xff, v23
	s_delay_alu instid0(VALU_DEP_1)
	v_cmpx_ne_u16_e32 0, v2
	s_cbranch_execz .LBB354_1929
; %bb.1922:                             ;   in Loop: Header=BB354_1574 Depth=1
	v_bfrev_b32_e32 v22, 1
	s_mov_b32 s13, exec_lo
	v_cmpx_ne_u16_e32 0x80, v2
	s_cbranch_execz .LBB354_1928
; %bb.1923:                             ;   in Loop: Header=BB354_1574 Depth=1
	v_bfe_u32 v17, v13, 16, 7
	v_mov_b32_e32 v22, 0x7fc02000
	s_mov_b32 s15, exec_lo
	s_delay_alu instid0(VALU_DEP_2)
	v_cmpx_ne_u32_e32 0x7f, v17
	s_cbranch_execz .LBB354_1927
; %bb.1924:                             ;   in Loop: Header=BB354_1574 Depth=1
	v_and_b32_e32 v2, 7, v23
	v_lshrrev_b32_e32 v22, 3, v17
	v_cmp_gt_u32_e64 s0, 8, v17
	s_delay_alu instid0(VALU_DEP_3) | instskip(NEXT) | instid1(VALU_DEP_2)
	v_dual_mov_b32 v18, v3 :: v_dual_mov_b32 v17, v2
	s_and_saveexec_b32 s16, s0
; %bb.1925:                             ;   in Loop: Header=BB354_1574 Depth=1
	v_clz_i32_u32_e32 v17, v2
	s_delay_alu instid0(VALU_DEP_1) | instskip(NEXT) | instid1(VALU_DEP_1)
	v_min_u32_e32 v22, 32, v17
	v_subrev_nc_u32_e32 v17, 28, v22
	v_sub_nc_u32_e32 v22, 29, v22
	s_delay_alu instid0(VALU_DEP_2) | instskip(NEXT) | instid1(VALU_DEP_1)
	v_lshlrev_b64 v[17:18], v17, v[2:3]
	v_and_b32_e32 v17, 7, v17
; %bb.1926:                             ;   in Loop: Header=BB354_1574 Depth=1
	s_or_b32 exec_lo, exec_lo, s16
	v_lshlrev_b32_e32 v2, 8, v23
	v_lshl_add_u32 v18, v22, 10, 0x2000
	s_delay_alu instid0(VALU_DEP_1) | instskip(NEXT) | instid1(VALU_DEP_1)
	v_and_or_b32 v2, 0x8000, v2, v18
	v_lshl_or_b32 v2, v17, 7, v2
	s_delay_alu instid0(VALU_DEP_1)
	v_cvt_f32_f16_e32 v22, v2
.LBB354_1927:                           ;   in Loop: Header=BB354_1574 Depth=1
	s_or_b32 exec_lo, exec_lo, s15
.LBB354_1928:                           ;   in Loop: Header=BB354_1574 Depth=1
	s_delay_alu instid0(SALU_CYCLE_1)
	s_or_b32 exec_lo, exec_lo, s13
.LBB354_1929:                           ;   in Loop: Header=BB354_1574 Depth=1
	s_delay_alu instid0(SALU_CYCLE_1) | instskip(NEXT) | instid1(SALU_CYCLE_1)
	s_or_b32 exec_lo, exec_lo, s12
	s_mov_b32 s12, exec_lo
	v_cmpx_lt_u32_e32 0xffffff, v13
	s_cbranch_execz .LBB354_1937
; %bb.1930:                             ;   in Loop: Header=BB354_1574 Depth=1
	v_lshrrev_b32_e32 v23, 24, v13
	v_bfrev_b32_e32 v37, 1
	s_mov_b32 s13, exec_lo
	s_delay_alu instid0(VALU_DEP_2)
	v_cmpx_ne_u32_e32 0x80, v23
	s_cbranch_execz .LBB354_1936
; %bb.1931:                             ;   in Loop: Header=BB354_1574 Depth=1
	v_and_b32_e32 v17, 0x7f, v23
	v_mov_b32_e32 v37, 0x7fc02000
	s_mov_b32 s15, exec_lo
	s_delay_alu instid0(VALU_DEP_2)
	v_cmpx_ne_u32_e32 0x7f, v17
	s_cbranch_execz .LBB354_1935
; %bb.1932:                             ;   in Loop: Header=BB354_1574 Depth=1
	v_and_b32_e32 v2, 7, v23
	v_lshrrev_b32_e32 v37, 3, v17
	v_cmp_gt_u32_e64 s0, 8, v17
	s_delay_alu instid0(VALU_DEP_3) | instskip(NEXT) | instid1(VALU_DEP_2)
	v_dual_mov_b32 v18, v3 :: v_dual_mov_b32 v17, v2
	s_and_saveexec_b32 s16, s0
; %bb.1933:                             ;   in Loop: Header=BB354_1574 Depth=1
	v_clz_i32_u32_e32 v17, v2
	s_delay_alu instid0(VALU_DEP_1) | instskip(NEXT) | instid1(VALU_DEP_1)
	v_min_u32_e32 v37, 32, v17
	v_subrev_nc_u32_e32 v17, 28, v37
	v_sub_nc_u32_e32 v37, 29, v37
	s_delay_alu instid0(VALU_DEP_2) | instskip(NEXT) | instid1(VALU_DEP_1)
	v_lshlrev_b64 v[17:18], v17, v[2:3]
	v_and_b32_e32 v17, 7, v17
; %bb.1934:                             ;   in Loop: Header=BB354_1574 Depth=1
	s_or_b32 exec_lo, exec_lo, s16
	v_lshlrev_b32_e32 v2, 8, v23
	v_lshl_add_u32 v18, v37, 10, 0x2000
	s_delay_alu instid0(VALU_DEP_1) | instskip(NEXT) | instid1(VALU_DEP_1)
	v_and_or_b32 v2, 0x8000, v2, v18
	v_lshl_or_b32 v2, v17, 7, v2
	s_delay_alu instid0(VALU_DEP_1)
	v_cvt_f32_f16_e32 v37, v2
.LBB354_1935:                           ;   in Loop: Header=BB354_1574 Depth=1
	s_or_b32 exec_lo, exec_lo, s15
.LBB354_1936:                           ;   in Loop: Header=BB354_1574 Depth=1
	s_delay_alu instid0(SALU_CYCLE_1)
	s_or_b32 exec_lo, exec_lo, s13
.LBB354_1937:                           ;   in Loop: Header=BB354_1574 Depth=1
	s_delay_alu instid0(SALU_CYCLE_1) | instskip(SKIP_4) | instid1(VALU_DEP_3)
	s_or_b32 exec_lo, exec_lo, s12
	v_dual_mov_b32 v2, v14 :: v_dual_and_b32 v17, 0xff, v14
	v_mov_b32_e32 v39, 0
	v_mov_b32_e32 v23, 0
	s_mov_b32 s12, exec_lo
	v_cmpx_ne_u16_e32 0, v17
	s_cbranch_execz .LBB354_1945
; %bb.1938:                             ;   in Loop: Header=BB354_1574 Depth=1
	v_bfrev_b32_e32 v23, 1
	s_mov_b32 s13, exec_lo
	v_cmpx_ne_u16_e32 0x80, v17
	s_cbranch_execz .LBB354_1944
; %bb.1939:                             ;   in Loop: Header=BB354_1574 Depth=1
	v_and_b32_e32 v17, 0x7f, v14
	v_mov_b32_e32 v23, 0x7fc02000
	s_mov_b32 s15, exec_lo
	s_delay_alu instid0(VALU_DEP_2)
	v_cmpx_ne_u32_e32 0x7f, v17
	s_cbranch_execz .LBB354_1943
; %bb.1940:                             ;   in Loop: Header=BB354_1574 Depth=1
	v_lshrrev_b32_e32 v23, 3, v17
	v_cmp_gt_u32_e64 s0, 8, v17
	v_dual_mov_b32 v18, v3 :: v_dual_mov_b32 v17, v2
	s_delay_alu instid0(VALU_DEP_2)
	s_and_saveexec_b32 s16, s0
; %bb.1941:                             ;   in Loop: Header=BB354_1574 Depth=1
	v_and_b32_e32 v17, 7, v14
	s_delay_alu instid0(VALU_DEP_1) | instskip(NEXT) | instid1(VALU_DEP_1)
	v_clz_i32_u32_e32 v17, v17
	v_min_u32_e32 v23, 32, v17
	s_delay_alu instid0(VALU_DEP_1) | instskip(SKIP_1) | instid1(VALU_DEP_2)
	v_subrev_nc_u32_e32 v17, 28, v23
	v_sub_nc_u32_e32 v23, 29, v23
	v_lshlrev_b64 v[17:18], v17, v[2:3]
; %bb.1942:                             ;   in Loop: Header=BB354_1574 Depth=1
	s_or_b32 exec_lo, exec_lo, s16
	v_lshlrev_b32_e32 v18, 8, v14
	s_delay_alu instid0(VALU_DEP_3) | instskip(NEXT) | instid1(VALU_DEP_3)
	v_lshl_add_u32 v23, v23, 10, 0x2000
	v_lshlrev_b32_e32 v17, 7, v17
	s_delay_alu instid0(VALU_DEP_2) | instskip(NEXT) | instid1(VALU_DEP_1)
	v_and_or_b32 v18, 0x8000, v18, v23
	v_and_or_b32 v17, 0x380, v17, v18
	s_delay_alu instid0(VALU_DEP_1)
	v_cvt_f32_f16_e32 v23, v17
.LBB354_1943:                           ;   in Loop: Header=BB354_1574 Depth=1
	s_or_b32 exec_lo, exec_lo, s15
.LBB354_1944:                           ;   in Loop: Header=BB354_1574 Depth=1
	s_delay_alu instid0(SALU_CYCLE_1)
	s_or_b32 exec_lo, exec_lo, s13
.LBB354_1945:                           ;   in Loop: Header=BB354_1574 Depth=1
	s_delay_alu instid0(SALU_CYCLE_1) | instskip(SKIP_2) | instid1(VALU_DEP_1)
	s_or_b32 exec_lo, exec_lo, s12
	v_lshrrev_b16 v2, 8, v2
	s_mov_b32 s12, exec_lo
	v_cmpx_ne_u16_e32 0, v2
	s_cbranch_execz .LBB354_1953
; %bb.1946:                             ;   in Loop: Header=BB354_1574 Depth=1
	v_bfrev_b32_e32 v39, 1
	s_mov_b32 s13, exec_lo
	v_cmpx_ne_u16_e32 0x80, v2
	s_cbranch_execz .LBB354_1952
; %bb.1947:                             ;   in Loop: Header=BB354_1574 Depth=1
	v_and_b32_e32 v48, 0xffff, v2
	v_mov_b32_e32 v39, 0x7fc02000
	s_mov_b32 s15, exec_lo
	s_delay_alu instid0(VALU_DEP_2) | instskip(NEXT) | instid1(VALU_DEP_1)
	v_and_b32_e32 v17, 0x7f, v48
	v_cmpx_ne_u32_e32 0x7f, v17
	s_cbranch_execz .LBB354_1951
; %bb.1948:                             ;   in Loop: Header=BB354_1574 Depth=1
	v_and_b32_e32 v2, 7, v48
	v_lshrrev_b32_e32 v39, 3, v17
	v_cmp_gt_u32_e64 s0, 8, v17
	s_delay_alu instid0(VALU_DEP_3) | instskip(NEXT) | instid1(VALU_DEP_2)
	v_dual_mov_b32 v18, v3 :: v_dual_mov_b32 v17, v2
	s_and_saveexec_b32 s16, s0
; %bb.1949:                             ;   in Loop: Header=BB354_1574 Depth=1
	v_clz_i32_u32_e32 v17, v2
	s_delay_alu instid0(VALU_DEP_1) | instskip(NEXT) | instid1(VALU_DEP_1)
	v_min_u32_e32 v39, 32, v17
	v_subrev_nc_u32_e32 v17, 28, v39
	v_sub_nc_u32_e32 v39, 29, v39
	s_delay_alu instid0(VALU_DEP_2) | instskip(NEXT) | instid1(VALU_DEP_1)
	v_lshlrev_b64 v[17:18], v17, v[2:3]
	v_and_b32_e32 v17, 7, v17
; %bb.1950:                             ;   in Loop: Header=BB354_1574 Depth=1
	s_or_b32 exec_lo, exec_lo, s16
	v_lshlrev_b32_e32 v2, 8, v48
	v_lshl_add_u32 v18, v39, 10, 0x2000
	s_delay_alu instid0(VALU_DEP_1) | instskip(NEXT) | instid1(VALU_DEP_1)
	v_and_or_b32 v2, 0x8000, v2, v18
	v_lshl_or_b32 v2, v17, 7, v2
	s_delay_alu instid0(VALU_DEP_1)
	v_cvt_f32_f16_e32 v39, v2
.LBB354_1951:                           ;   in Loop: Header=BB354_1574 Depth=1
	s_or_b32 exec_lo, exec_lo, s15
.LBB354_1952:                           ;   in Loop: Header=BB354_1574 Depth=1
	s_delay_alu instid0(SALU_CYCLE_1)
	s_or_b32 exec_lo, exec_lo, s13
.LBB354_1953:                           ;   in Loop: Header=BB354_1574 Depth=1
	s_delay_alu instid0(SALU_CYCLE_1) | instskip(SKIP_3) | instid1(VALU_DEP_2)
	s_or_b32 exec_lo, exec_lo, s12
	v_lshrrev_b32_e32 v49, 16, v14
	v_mov_b32_e32 v48, 0
	s_mov_b32 s12, exec_lo
	v_dual_mov_b32 v17, 0 :: v_dual_and_b32 v2, 0xff, v49
	s_delay_alu instid0(VALU_DEP_1)
	v_cmpx_ne_u16_e32 0, v2
	s_cbranch_execz .LBB354_1961
; %bb.1954:                             ;   in Loop: Header=BB354_1574 Depth=1
	v_bfrev_b32_e32 v17, 1
	s_mov_b32 s13, exec_lo
	v_cmpx_ne_u16_e32 0x80, v2
	s_cbranch_execz .LBB354_1960
; %bb.1955:                             ;   in Loop: Header=BB354_1574 Depth=1
	v_bfe_u32 v18, v14, 16, 7
	v_mov_b32_e32 v17, 0x7fc02000
	s_mov_b32 s15, exec_lo
	s_delay_alu instid0(VALU_DEP_2)
	v_cmpx_ne_u32_e32 0x7f, v18
	s_cbranch_execz .LBB354_1959
; %bb.1956:                             ;   in Loop: Header=BB354_1574 Depth=1
	v_and_b32_e32 v2, 7, v49
	v_lshrrev_b32_e32 v50, 3, v18
	v_cmp_gt_u32_e64 s0, 8, v18
	s_delay_alu instid0(VALU_DEP_3) | instskip(NEXT) | instid1(VALU_DEP_2)
	v_dual_mov_b32 v18, v3 :: v_dual_mov_b32 v17, v2
	s_and_saveexec_b32 s16, s0
; %bb.1957:                             ;   in Loop: Header=BB354_1574 Depth=1
	v_clz_i32_u32_e32 v17, v2
	s_delay_alu instid0(VALU_DEP_1) | instskip(NEXT) | instid1(VALU_DEP_1)
	v_min_u32_e32 v50, 32, v17
	v_subrev_nc_u32_e32 v17, 28, v50
	v_sub_nc_u32_e32 v50, 29, v50
	s_delay_alu instid0(VALU_DEP_2) | instskip(NEXT) | instid1(VALU_DEP_1)
	v_lshlrev_b64 v[17:18], v17, v[2:3]
	v_and_b32_e32 v17, 7, v17
; %bb.1958:                             ;   in Loop: Header=BB354_1574 Depth=1
	s_or_b32 exec_lo, exec_lo, s16
	v_lshlrev_b32_e32 v2, 8, v49
	v_lshl_add_u32 v18, v50, 10, 0x2000
	s_delay_alu instid0(VALU_DEP_1) | instskip(NEXT) | instid1(VALU_DEP_1)
	v_and_or_b32 v2, 0x8000, v2, v18
	v_lshl_or_b32 v2, v17, 7, v2
	s_delay_alu instid0(VALU_DEP_1)
	v_cvt_f32_f16_e32 v17, v2
.LBB354_1959:                           ;   in Loop: Header=BB354_1574 Depth=1
	s_or_b32 exec_lo, exec_lo, s15
.LBB354_1960:                           ;   in Loop: Header=BB354_1574 Depth=1
	s_delay_alu instid0(SALU_CYCLE_1)
	s_or_b32 exec_lo, exec_lo, s13
.LBB354_1961:                           ;   in Loop: Header=BB354_1574 Depth=1
	s_delay_alu instid0(SALU_CYCLE_1) | instskip(NEXT) | instid1(SALU_CYCLE_1)
	s_or_b32 exec_lo, exec_lo, s12
	s_mov_b32 s12, exec_lo
	v_cmpx_lt_u64_e64 s[8:9], v[13:14]
	s_cbranch_execz .LBB354_1969
; %bb.1962:                             ;   in Loop: Header=BB354_1574 Depth=1
	v_lshrrev_b32_e32 v18, 24, v14
	v_bfrev_b32_e32 v48, 1
	s_mov_b32 s13, exec_lo
	s_delay_alu instid0(VALU_DEP_2)
	v_cmpx_ne_u32_e32 0x80, v18
	s_cbranch_execz .LBB354_1968
; %bb.1963:                             ;   in Loop: Header=BB354_1574 Depth=1
	v_and_b32_e32 v13, 0x7f, v18
	v_mov_b32_e32 v48, 0x7fc02000
	s_mov_b32 s15, exec_lo
	s_delay_alu instid0(VALU_DEP_2)
	v_cmpx_ne_u32_e32 0x7f, v13
	s_cbranch_execz .LBB354_1967
; %bb.1964:                             ;   in Loop: Header=BB354_1574 Depth=1
	v_and_b32_e32 v2, 7, v18
	v_lshrrev_b32_e32 v48, 3, v13
	v_cmp_gt_u32_e64 s0, 8, v13
	s_delay_alu instid0(VALU_DEP_3) | instskip(NEXT) | instid1(VALU_DEP_2)
	v_dual_mov_b32 v14, v3 :: v_dual_mov_b32 v13, v2
	s_and_saveexec_b32 s16, s0
; %bb.1965:                             ;   in Loop: Header=BB354_1574 Depth=1
	v_clz_i32_u32_e32 v13, v2
	s_delay_alu instid0(VALU_DEP_1) | instskip(NEXT) | instid1(VALU_DEP_1)
	v_min_u32_e32 v48, 32, v13
	v_subrev_nc_u32_e32 v13, 28, v48
	v_sub_nc_u32_e32 v48, 29, v48
	s_delay_alu instid0(VALU_DEP_2) | instskip(NEXT) | instid1(VALU_DEP_1)
	v_lshlrev_b64 v[13:14], v13, v[2:3]
	v_and_b32_e32 v13, 7, v13
; %bb.1966:                             ;   in Loop: Header=BB354_1574 Depth=1
	s_or_b32 exec_lo, exec_lo, s16
	v_lshlrev_b32_e32 v2, 8, v18
	v_lshl_add_u32 v14, v48, 10, 0x2000
	s_delay_alu instid0(VALU_DEP_1) | instskip(NEXT) | instid1(VALU_DEP_1)
	v_and_or_b32 v2, 0x8000, v2, v14
	v_lshl_or_b32 v2, v13, 7, v2
	s_delay_alu instid0(VALU_DEP_1)
	v_cvt_f32_f16_e32 v48, v2
.LBB354_1967:                           ;   in Loop: Header=BB354_1574 Depth=1
	s_or_b32 exec_lo, exec_lo, s15
.LBB354_1968:                           ;   in Loop: Header=BB354_1574 Depth=1
	s_delay_alu instid0(SALU_CYCLE_1)
	s_or_b32 exec_lo, exec_lo, s13
.LBB354_1969:                           ;   in Loop: Header=BB354_1574 Depth=1
	s_delay_alu instid0(SALU_CYCLE_1)
	s_or_b32 exec_lo, exec_lo, s12
	s_waitcnt vmcnt(0) lgkmcnt(0)
	v_fma_mixlo_f16 v6, v4, v6, 0
	v_fma_mixlo_f16 v2, v4, v37, 0
	;; [unrolled: 1-line block ×5, first 2 shown]
	v_lshlrev_b32_e32 v14, 16, v6
	v_fma_mixlo_f16 v6, v4, v5, 0
	v_fma_mixlo_f16 v23, v4, v48, 0
	;; [unrolled: 1-line block ×3, first 2 shown]
	v_lshlrev_b32_e32 v2, 16, v2
	v_and_b32_e32 v13, 0xffff, v13
	v_and_b32_e32 v4, 0xffff, v6
	v_lshlrev_b32_e32 v17, 16, v18
	v_and_b32_e32 v18, 0xffff, v22
	v_lshlrev_b32_e32 v22, 16, v23
	v_and_b32_e32 v23, 0xffff, v5
	v_or_b32_e32 v6, v2, v13
	v_or_b32_e32 v13, v14, v4
	;; [unrolled: 1-line block ×3, first 2 shown]
	s_delay_alu instid0(VALU_DEP_4)
	v_or_b32_e32 v4, v22, v23
	s_and_saveexec_b32 s12, vcc_lo
	s_cbranch_execz .LBB354_1971
; %bb.1970:                             ;   in Loop: Header=BB354_1574 Depth=1
	v_cmp_lt_i32_e64 s0, v119, v38
	v_lshrrev_b32_e32 v14, 16, v13
	v_lshrrev_b32_e32 v17, 16, v6
	;; [unrolled: 1-line block ×4, first 2 shown]
	v_cndmask_b32_e64 v13, 0, v13, s0
	v_cmp_lt_i32_e64 s0, v134, v55
	s_delay_alu instid0(VALU_DEP_1) | instskip(SKIP_1) | instid1(VALU_DEP_2)
	v_cndmask_b32_e64 v14, 0, v14, s0
	v_cmp_lt_i32_e64 s0, v133, v55
	v_perm_b32 v13, v14, v13, 0x5040100
	s_delay_alu instid0(VALU_DEP_2) | instskip(SKIP_1) | instid1(VALU_DEP_1)
	v_cndmask_b32_e64 v17, 0, v17, s0
	v_cmp_lt_i32_e64 s0, v132, v38
	v_cndmask_b32_e64 v6, 0, v6, s0
	v_cmp_lt_i32_e64 s0, v131, v55
	s_delay_alu instid0(VALU_DEP_2) | instskip(NEXT) | instid1(VALU_DEP_2)
	v_perm_b32 v6, v17, v6, 0x5040100
	v_cndmask_b32_e64 v18, 0, v18, s0
	v_cmp_lt_i32_e64 s0, v130, v38
	s_delay_alu instid0(VALU_DEP_1) | instskip(SKIP_1) | instid1(VALU_DEP_2)
	v_cndmask_b32_e64 v2, 0, v2, s0
	v_cmp_lt_i32_e64 s0, v129, v55
	v_perm_b32 v2, v18, v2, 0x5040100
	s_delay_alu instid0(VALU_DEP_2) | instskip(SKIP_1) | instid1(VALU_DEP_1)
	v_cndmask_b32_e64 v4, 0, v4, s0
	v_cmp_lt_i32_e64 s0, v128, v38
	v_cndmask_b32_e64 v5, 0, v5, s0
	s_delay_alu instid0(VALU_DEP_1)
	v_perm_b32 v4, v4, v5, 0x5040100
.LBB354_1971:                           ;   in Loop: Header=BB354_1574 Depth=1
	s_or_b32 exec_lo, exec_lo, s12
	;;#ASMSTART
	v_pk_mul_f16 v5, v118, v13;

	;;#ASMEND
	;;#ASMSTART
	v_pk_mul_f16 v6, v117, v6;

	;;#ASMEND
	;;#ASMSTART
	v_pk_mul_f16 v2, v116, v2;

	;;#ASMEND
	;;#ASMSTART
	v_pk_mul_f16 v4, v115, v4;

	;;#ASMEND
	;;#ASMSTART
	v_pk_add_f16 v5, v5, v6;

	;;#ASMEND
	;;#ASMSTART
	v_pk_add_f16 v2, v5, v2;

	;;#ASMEND
	;;#ASMSTART
	v_pk_add_f16 v2, v2, v4;

	;;#ASMEND
	v_dual_mov_b32 v5, 0 :: v_dual_and_b32 v4, 0xffff, v2
	v_lshrrev_b32_e32 v2, 16, v2
	;;#ASMSTART
	v_cvt_f32_f16 v151, v4;
	;;#ASMEND
	;;#ASMSTART
	v_cvt_f32_f16 v160, v2;
	;;#ASMEND
	flat_load_b64 v[13:14], v[11:12] offset:1536
	flat_load_b32 v4, v[26:27]
	v_mov_b32_e32 v6, 0
	s_mov_b32 s12, exec_lo
	s_waitcnt vmcnt(1) lgkmcnt(1)
	v_and_b32_e32 v2, 0xff, v13
	s_delay_alu instid0(VALU_DEP_1)
	v_cmpx_ne_u16_e32 0, v2
	s_cbranch_execz .LBB354_1979
; %bb.1972:                             ;   in Loop: Header=BB354_1574 Depth=1
	v_bfrev_b32_e32 v5, 1
	s_mov_b32 s13, exec_lo
	v_cmpx_ne_u16_e32 0x80, v2
	s_cbranch_execz .LBB354_1978
; %bb.1973:                             ;   in Loop: Header=BB354_1574 Depth=1
	v_and_b32_e32 v17, 0x7f, v13
	v_mov_b32_e32 v5, 0x7fc02000
	s_mov_b32 s15, exec_lo
	s_delay_alu instid0(VALU_DEP_2)
	v_cmpx_ne_u32_e32 0x7f, v17
	s_cbranch_execz .LBB354_1977
; %bb.1974:                             ;   in Loop: Header=BB354_1574 Depth=1
	v_lshrrev_b32_e32 v2, 3, v17
	v_cmp_gt_u32_e64 s0, 8, v17
	v_dual_mov_b32 v18, v14 :: v_dual_mov_b32 v17, v13
	s_delay_alu instid0(VALU_DEP_2)
	s_and_saveexec_b32 s16, s0
; %bb.1975:                             ;   in Loop: Header=BB354_1574 Depth=1
	v_and_b32_e32 v2, 7, v13
	s_delay_alu instid0(VALU_DEP_1) | instskip(NEXT) | instid1(VALU_DEP_1)
	v_clz_i32_u32_e32 v2, v2
	v_min_u32_e32 v2, 32, v2
	s_delay_alu instid0(VALU_DEP_1) | instskip(SKIP_1) | instid1(VALU_DEP_2)
	v_subrev_nc_u32_e32 v5, 28, v2
	v_sub_nc_u32_e32 v2, 29, v2
	v_lshlrev_b64 v[17:18], v5, v[13:14]
; %bb.1976:                             ;   in Loop: Header=BB354_1574 Depth=1
	s_or_b32 exec_lo, exec_lo, s16
	v_lshlrev_b32_e32 v5, 8, v13
	s_delay_alu instid0(VALU_DEP_3) | instskip(NEXT) | instid1(VALU_DEP_3)
	v_lshl_add_u32 v2, v2, 10, 0x2000
	v_lshlrev_b32_e32 v17, 7, v17
	s_delay_alu instid0(VALU_DEP_2) | instskip(NEXT) | instid1(VALU_DEP_1)
	v_and_or_b32 v2, 0x8000, v5, v2
	v_and_or_b32 v2, 0x380, v17, v2
	s_delay_alu instid0(VALU_DEP_1)
	v_cvt_f32_f16_e32 v5, v2
.LBB354_1977:                           ;   in Loop: Header=BB354_1574 Depth=1
	s_or_b32 exec_lo, exec_lo, s15
.LBB354_1978:                           ;   in Loop: Header=BB354_1574 Depth=1
	s_delay_alu instid0(SALU_CYCLE_1)
	s_or_b32 exec_lo, exec_lo, s13
.LBB354_1979:                           ;   in Loop: Header=BB354_1574 Depth=1
	s_delay_alu instid0(SALU_CYCLE_1) | instskip(SKIP_2) | instid1(VALU_DEP_1)
	s_or_b32 exec_lo, exec_lo, s12
	v_lshrrev_b16 v2, 8, v13
	s_mov_b32 s12, exec_lo
	v_cmpx_ne_u16_e32 0, v2
	s_cbranch_execz .LBB354_1987
; %bb.1980:                             ;   in Loop: Header=BB354_1574 Depth=1
	v_bfrev_b32_e32 v6, 1
	s_mov_b32 s13, exec_lo
	v_cmpx_ne_u16_e32 0x80, v2
	s_cbranch_execz .LBB354_1986
; %bb.1981:                             ;   in Loop: Header=BB354_1574 Depth=1
	v_and_b32_e32 v22, 0xffff, v2
	v_mov_b32_e32 v6, 0x7fc02000
	s_mov_b32 s15, exec_lo
	s_delay_alu instid0(VALU_DEP_2) | instskip(NEXT) | instid1(VALU_DEP_1)
	v_and_b32_e32 v17, 0x7f, v22
	v_cmpx_ne_u32_e32 0x7f, v17
	s_cbranch_execz .LBB354_1985
; %bb.1982:                             ;   in Loop: Header=BB354_1574 Depth=1
	v_and_b32_e32 v2, 7, v22
	v_lshrrev_b32_e32 v6, 3, v17
	v_cmp_gt_u32_e64 s0, 8, v17
	s_delay_alu instid0(VALU_DEP_3) | instskip(NEXT) | instid1(VALU_DEP_2)
	v_dual_mov_b32 v18, v3 :: v_dual_mov_b32 v17, v2
	s_and_saveexec_b32 s16, s0
; %bb.1983:                             ;   in Loop: Header=BB354_1574 Depth=1
	v_clz_i32_u32_e32 v6, v2
	s_delay_alu instid0(VALU_DEP_1) | instskip(NEXT) | instid1(VALU_DEP_1)
	v_min_u32_e32 v6, 32, v6
	v_subrev_nc_u32_e32 v17, 28, v6
	v_sub_nc_u32_e32 v6, 29, v6
	s_delay_alu instid0(VALU_DEP_2) | instskip(NEXT) | instid1(VALU_DEP_1)
	v_lshlrev_b64 v[17:18], v17, v[2:3]
	v_and_b32_e32 v17, 7, v17
; %bb.1984:                             ;   in Loop: Header=BB354_1574 Depth=1
	s_or_b32 exec_lo, exec_lo, s16
	v_lshlrev_b32_e32 v2, 8, v22
	v_lshl_add_u32 v6, v6, 10, 0x2000
	s_delay_alu instid0(VALU_DEP_1) | instskip(NEXT) | instid1(VALU_DEP_1)
	v_and_or_b32 v2, 0x8000, v2, v6
	v_lshl_or_b32 v2, v17, 7, v2
	s_delay_alu instid0(VALU_DEP_1)
	v_cvt_f32_f16_e32 v6, v2
.LBB354_1985:                           ;   in Loop: Header=BB354_1574 Depth=1
	s_or_b32 exec_lo, exec_lo, s15
.LBB354_1986:                           ;   in Loop: Header=BB354_1574 Depth=1
	s_delay_alu instid0(SALU_CYCLE_1)
	s_or_b32 exec_lo, exec_lo, s13
.LBB354_1987:                           ;   in Loop: Header=BB354_1574 Depth=1
	s_delay_alu instid0(SALU_CYCLE_1) | instskip(SKIP_3) | instid1(VALU_DEP_2)
	s_or_b32 exec_lo, exec_lo, s12
	v_lshrrev_b32_e32 v23, 16, v13
	v_mov_b32_e32 v22, 0
	s_mov_b32 s12, exec_lo
	v_dual_mov_b32 v37, 0 :: v_dual_and_b32 v2, 0xff, v23
	s_delay_alu instid0(VALU_DEP_1)
	v_cmpx_ne_u16_e32 0, v2
	s_cbranch_execz .LBB354_1995
; %bb.1988:                             ;   in Loop: Header=BB354_1574 Depth=1
	v_bfrev_b32_e32 v22, 1
	s_mov_b32 s13, exec_lo
	v_cmpx_ne_u16_e32 0x80, v2
	s_cbranch_execz .LBB354_1994
; %bb.1989:                             ;   in Loop: Header=BB354_1574 Depth=1
	v_bfe_u32 v17, v13, 16, 7
	v_mov_b32_e32 v22, 0x7fc02000
	s_mov_b32 s15, exec_lo
	s_delay_alu instid0(VALU_DEP_2)
	v_cmpx_ne_u32_e32 0x7f, v17
	s_cbranch_execz .LBB354_1993
; %bb.1990:                             ;   in Loop: Header=BB354_1574 Depth=1
	v_and_b32_e32 v2, 7, v23
	v_lshrrev_b32_e32 v22, 3, v17
	v_cmp_gt_u32_e64 s0, 8, v17
	s_delay_alu instid0(VALU_DEP_3) | instskip(NEXT) | instid1(VALU_DEP_2)
	v_dual_mov_b32 v18, v3 :: v_dual_mov_b32 v17, v2
	s_and_saveexec_b32 s16, s0
; %bb.1991:                             ;   in Loop: Header=BB354_1574 Depth=1
	v_clz_i32_u32_e32 v17, v2
	s_delay_alu instid0(VALU_DEP_1) | instskip(NEXT) | instid1(VALU_DEP_1)
	v_min_u32_e32 v22, 32, v17
	v_subrev_nc_u32_e32 v17, 28, v22
	v_sub_nc_u32_e32 v22, 29, v22
	s_delay_alu instid0(VALU_DEP_2) | instskip(NEXT) | instid1(VALU_DEP_1)
	v_lshlrev_b64 v[17:18], v17, v[2:3]
	v_and_b32_e32 v17, 7, v17
; %bb.1992:                             ;   in Loop: Header=BB354_1574 Depth=1
	s_or_b32 exec_lo, exec_lo, s16
	v_lshlrev_b32_e32 v2, 8, v23
	v_lshl_add_u32 v18, v22, 10, 0x2000
	s_delay_alu instid0(VALU_DEP_1) | instskip(NEXT) | instid1(VALU_DEP_1)
	v_and_or_b32 v2, 0x8000, v2, v18
	v_lshl_or_b32 v2, v17, 7, v2
	s_delay_alu instid0(VALU_DEP_1)
	v_cvt_f32_f16_e32 v22, v2
.LBB354_1993:                           ;   in Loop: Header=BB354_1574 Depth=1
	s_or_b32 exec_lo, exec_lo, s15
.LBB354_1994:                           ;   in Loop: Header=BB354_1574 Depth=1
	s_delay_alu instid0(SALU_CYCLE_1)
	s_or_b32 exec_lo, exec_lo, s13
.LBB354_1995:                           ;   in Loop: Header=BB354_1574 Depth=1
	s_delay_alu instid0(SALU_CYCLE_1) | instskip(NEXT) | instid1(SALU_CYCLE_1)
	s_or_b32 exec_lo, exec_lo, s12
	s_mov_b32 s12, exec_lo
	v_cmpx_lt_u32_e32 0xffffff, v13
	s_cbranch_execz .LBB354_2003
; %bb.1996:                             ;   in Loop: Header=BB354_1574 Depth=1
	v_lshrrev_b32_e32 v23, 24, v13
	v_bfrev_b32_e32 v37, 1
	s_mov_b32 s13, exec_lo
	s_delay_alu instid0(VALU_DEP_2)
	v_cmpx_ne_u32_e32 0x80, v23
	s_cbranch_execz .LBB354_2002
; %bb.1997:                             ;   in Loop: Header=BB354_1574 Depth=1
	v_and_b32_e32 v17, 0x7f, v23
	v_mov_b32_e32 v37, 0x7fc02000
	s_mov_b32 s15, exec_lo
	s_delay_alu instid0(VALU_DEP_2)
	v_cmpx_ne_u32_e32 0x7f, v17
	s_cbranch_execz .LBB354_2001
; %bb.1998:                             ;   in Loop: Header=BB354_1574 Depth=1
	v_and_b32_e32 v2, 7, v23
	v_lshrrev_b32_e32 v37, 3, v17
	v_cmp_gt_u32_e64 s0, 8, v17
	s_delay_alu instid0(VALU_DEP_3) | instskip(NEXT) | instid1(VALU_DEP_2)
	v_dual_mov_b32 v18, v3 :: v_dual_mov_b32 v17, v2
	s_and_saveexec_b32 s16, s0
; %bb.1999:                             ;   in Loop: Header=BB354_1574 Depth=1
	v_clz_i32_u32_e32 v17, v2
	s_delay_alu instid0(VALU_DEP_1) | instskip(NEXT) | instid1(VALU_DEP_1)
	v_min_u32_e32 v37, 32, v17
	v_subrev_nc_u32_e32 v17, 28, v37
	v_sub_nc_u32_e32 v37, 29, v37
	s_delay_alu instid0(VALU_DEP_2) | instskip(NEXT) | instid1(VALU_DEP_1)
	v_lshlrev_b64 v[17:18], v17, v[2:3]
	v_and_b32_e32 v17, 7, v17
; %bb.2000:                             ;   in Loop: Header=BB354_1574 Depth=1
	s_or_b32 exec_lo, exec_lo, s16
	v_lshlrev_b32_e32 v2, 8, v23
	v_lshl_add_u32 v18, v37, 10, 0x2000
	s_delay_alu instid0(VALU_DEP_1) | instskip(NEXT) | instid1(VALU_DEP_1)
	v_and_or_b32 v2, 0x8000, v2, v18
	v_lshl_or_b32 v2, v17, 7, v2
	s_delay_alu instid0(VALU_DEP_1)
	v_cvt_f32_f16_e32 v37, v2
.LBB354_2001:                           ;   in Loop: Header=BB354_1574 Depth=1
	s_or_b32 exec_lo, exec_lo, s15
.LBB354_2002:                           ;   in Loop: Header=BB354_1574 Depth=1
	s_delay_alu instid0(SALU_CYCLE_1)
	s_or_b32 exec_lo, exec_lo, s13
.LBB354_2003:                           ;   in Loop: Header=BB354_1574 Depth=1
	s_delay_alu instid0(SALU_CYCLE_1) | instskip(SKIP_4) | instid1(VALU_DEP_3)
	s_or_b32 exec_lo, exec_lo, s12
	v_dual_mov_b32 v2, v14 :: v_dual_and_b32 v17, 0xff, v14
	v_mov_b32_e32 v39, 0
	v_mov_b32_e32 v23, 0
	s_mov_b32 s12, exec_lo
	v_cmpx_ne_u16_e32 0, v17
	s_cbranch_execz .LBB354_2011
; %bb.2004:                             ;   in Loop: Header=BB354_1574 Depth=1
	v_bfrev_b32_e32 v23, 1
	s_mov_b32 s13, exec_lo
	v_cmpx_ne_u16_e32 0x80, v17
	s_cbranch_execz .LBB354_2010
; %bb.2005:                             ;   in Loop: Header=BB354_1574 Depth=1
	v_and_b32_e32 v17, 0x7f, v14
	v_mov_b32_e32 v23, 0x7fc02000
	s_mov_b32 s15, exec_lo
	s_delay_alu instid0(VALU_DEP_2)
	v_cmpx_ne_u32_e32 0x7f, v17
	s_cbranch_execz .LBB354_2009
; %bb.2006:                             ;   in Loop: Header=BB354_1574 Depth=1
	v_lshrrev_b32_e32 v23, 3, v17
	v_cmp_gt_u32_e64 s0, 8, v17
	v_dual_mov_b32 v18, v3 :: v_dual_mov_b32 v17, v2
	s_delay_alu instid0(VALU_DEP_2)
	s_and_saveexec_b32 s16, s0
; %bb.2007:                             ;   in Loop: Header=BB354_1574 Depth=1
	v_and_b32_e32 v17, 7, v14
	s_delay_alu instid0(VALU_DEP_1) | instskip(NEXT) | instid1(VALU_DEP_1)
	v_clz_i32_u32_e32 v17, v17
	v_min_u32_e32 v23, 32, v17
	s_delay_alu instid0(VALU_DEP_1) | instskip(SKIP_1) | instid1(VALU_DEP_2)
	v_subrev_nc_u32_e32 v17, 28, v23
	v_sub_nc_u32_e32 v23, 29, v23
	v_lshlrev_b64 v[17:18], v17, v[2:3]
; %bb.2008:                             ;   in Loop: Header=BB354_1574 Depth=1
	s_or_b32 exec_lo, exec_lo, s16
	v_lshlrev_b32_e32 v18, 8, v14
	s_delay_alu instid0(VALU_DEP_3) | instskip(NEXT) | instid1(VALU_DEP_3)
	v_lshl_add_u32 v23, v23, 10, 0x2000
	v_lshlrev_b32_e32 v17, 7, v17
	s_delay_alu instid0(VALU_DEP_2) | instskip(NEXT) | instid1(VALU_DEP_1)
	v_and_or_b32 v18, 0x8000, v18, v23
	v_and_or_b32 v17, 0x380, v17, v18
	s_delay_alu instid0(VALU_DEP_1)
	v_cvt_f32_f16_e32 v23, v17
.LBB354_2009:                           ;   in Loop: Header=BB354_1574 Depth=1
	s_or_b32 exec_lo, exec_lo, s15
.LBB354_2010:                           ;   in Loop: Header=BB354_1574 Depth=1
	s_delay_alu instid0(SALU_CYCLE_1)
	s_or_b32 exec_lo, exec_lo, s13
.LBB354_2011:                           ;   in Loop: Header=BB354_1574 Depth=1
	s_delay_alu instid0(SALU_CYCLE_1) | instskip(SKIP_2) | instid1(VALU_DEP_1)
	s_or_b32 exec_lo, exec_lo, s12
	v_lshrrev_b16 v2, 8, v2
	s_mov_b32 s12, exec_lo
	v_cmpx_ne_u16_e32 0, v2
	s_cbranch_execz .LBB354_2019
; %bb.2012:                             ;   in Loop: Header=BB354_1574 Depth=1
	v_bfrev_b32_e32 v39, 1
	s_mov_b32 s13, exec_lo
	v_cmpx_ne_u16_e32 0x80, v2
	s_cbranch_execz .LBB354_2018
; %bb.2013:                             ;   in Loop: Header=BB354_1574 Depth=1
	v_and_b32_e32 v48, 0xffff, v2
	v_mov_b32_e32 v39, 0x7fc02000
	s_mov_b32 s15, exec_lo
	s_delay_alu instid0(VALU_DEP_2) | instskip(NEXT) | instid1(VALU_DEP_1)
	v_and_b32_e32 v17, 0x7f, v48
	v_cmpx_ne_u32_e32 0x7f, v17
	s_cbranch_execz .LBB354_2017
; %bb.2014:                             ;   in Loop: Header=BB354_1574 Depth=1
	v_and_b32_e32 v2, 7, v48
	v_lshrrev_b32_e32 v39, 3, v17
	v_cmp_gt_u32_e64 s0, 8, v17
	s_delay_alu instid0(VALU_DEP_3) | instskip(NEXT) | instid1(VALU_DEP_2)
	v_dual_mov_b32 v18, v3 :: v_dual_mov_b32 v17, v2
	s_and_saveexec_b32 s16, s0
; %bb.2015:                             ;   in Loop: Header=BB354_1574 Depth=1
	v_clz_i32_u32_e32 v17, v2
	s_delay_alu instid0(VALU_DEP_1) | instskip(NEXT) | instid1(VALU_DEP_1)
	v_min_u32_e32 v39, 32, v17
	v_subrev_nc_u32_e32 v17, 28, v39
	v_sub_nc_u32_e32 v39, 29, v39
	s_delay_alu instid0(VALU_DEP_2) | instskip(NEXT) | instid1(VALU_DEP_1)
	v_lshlrev_b64 v[17:18], v17, v[2:3]
	v_and_b32_e32 v17, 7, v17
; %bb.2016:                             ;   in Loop: Header=BB354_1574 Depth=1
	s_or_b32 exec_lo, exec_lo, s16
	v_lshlrev_b32_e32 v2, 8, v48
	v_lshl_add_u32 v18, v39, 10, 0x2000
	s_delay_alu instid0(VALU_DEP_1) | instskip(NEXT) | instid1(VALU_DEP_1)
	v_and_or_b32 v2, 0x8000, v2, v18
	v_lshl_or_b32 v2, v17, 7, v2
	s_delay_alu instid0(VALU_DEP_1)
	v_cvt_f32_f16_e32 v39, v2
.LBB354_2017:                           ;   in Loop: Header=BB354_1574 Depth=1
	s_or_b32 exec_lo, exec_lo, s15
.LBB354_2018:                           ;   in Loop: Header=BB354_1574 Depth=1
	s_delay_alu instid0(SALU_CYCLE_1)
	s_or_b32 exec_lo, exec_lo, s13
.LBB354_2019:                           ;   in Loop: Header=BB354_1574 Depth=1
	s_delay_alu instid0(SALU_CYCLE_1) | instskip(SKIP_3) | instid1(VALU_DEP_2)
	s_or_b32 exec_lo, exec_lo, s12
	v_lshrrev_b32_e32 v49, 16, v14
	v_mov_b32_e32 v48, 0
	s_mov_b32 s12, exec_lo
	v_dual_mov_b32 v17, 0 :: v_dual_and_b32 v2, 0xff, v49
	s_delay_alu instid0(VALU_DEP_1)
	v_cmpx_ne_u16_e32 0, v2
	s_cbranch_execz .LBB354_2027
; %bb.2020:                             ;   in Loop: Header=BB354_1574 Depth=1
	v_bfrev_b32_e32 v17, 1
	s_mov_b32 s13, exec_lo
	v_cmpx_ne_u16_e32 0x80, v2
	s_cbranch_execz .LBB354_2026
; %bb.2021:                             ;   in Loop: Header=BB354_1574 Depth=1
	v_bfe_u32 v18, v14, 16, 7
	v_mov_b32_e32 v17, 0x7fc02000
	s_mov_b32 s15, exec_lo
	s_delay_alu instid0(VALU_DEP_2)
	v_cmpx_ne_u32_e32 0x7f, v18
	s_cbranch_execz .LBB354_2025
; %bb.2022:                             ;   in Loop: Header=BB354_1574 Depth=1
	v_and_b32_e32 v2, 7, v49
	v_lshrrev_b32_e32 v50, 3, v18
	v_cmp_gt_u32_e64 s0, 8, v18
	s_delay_alu instid0(VALU_DEP_3) | instskip(NEXT) | instid1(VALU_DEP_2)
	v_dual_mov_b32 v18, v3 :: v_dual_mov_b32 v17, v2
	s_and_saveexec_b32 s16, s0
; %bb.2023:                             ;   in Loop: Header=BB354_1574 Depth=1
	v_clz_i32_u32_e32 v17, v2
	s_delay_alu instid0(VALU_DEP_1) | instskip(NEXT) | instid1(VALU_DEP_1)
	v_min_u32_e32 v50, 32, v17
	v_subrev_nc_u32_e32 v17, 28, v50
	v_sub_nc_u32_e32 v50, 29, v50
	s_delay_alu instid0(VALU_DEP_2) | instskip(NEXT) | instid1(VALU_DEP_1)
	v_lshlrev_b64 v[17:18], v17, v[2:3]
	v_and_b32_e32 v17, 7, v17
; %bb.2024:                             ;   in Loop: Header=BB354_1574 Depth=1
	s_or_b32 exec_lo, exec_lo, s16
	v_lshlrev_b32_e32 v2, 8, v49
	v_lshl_add_u32 v18, v50, 10, 0x2000
	s_delay_alu instid0(VALU_DEP_1) | instskip(NEXT) | instid1(VALU_DEP_1)
	v_and_or_b32 v2, 0x8000, v2, v18
	v_lshl_or_b32 v2, v17, 7, v2
	s_delay_alu instid0(VALU_DEP_1)
	v_cvt_f32_f16_e32 v17, v2
.LBB354_2025:                           ;   in Loop: Header=BB354_1574 Depth=1
	s_or_b32 exec_lo, exec_lo, s15
.LBB354_2026:                           ;   in Loop: Header=BB354_1574 Depth=1
	s_delay_alu instid0(SALU_CYCLE_1)
	s_or_b32 exec_lo, exec_lo, s13
.LBB354_2027:                           ;   in Loop: Header=BB354_1574 Depth=1
	s_delay_alu instid0(SALU_CYCLE_1) | instskip(NEXT) | instid1(SALU_CYCLE_1)
	s_or_b32 exec_lo, exec_lo, s12
	s_mov_b32 s12, exec_lo
	v_cmpx_lt_u64_e64 s[8:9], v[13:14]
	s_cbranch_execz .LBB354_2035
; %bb.2028:                             ;   in Loop: Header=BB354_1574 Depth=1
	v_lshrrev_b32_e32 v18, 24, v14
	v_bfrev_b32_e32 v48, 1
	s_mov_b32 s13, exec_lo
	s_delay_alu instid0(VALU_DEP_2)
	v_cmpx_ne_u32_e32 0x80, v18
	s_cbranch_execz .LBB354_2034
; %bb.2029:                             ;   in Loop: Header=BB354_1574 Depth=1
	v_and_b32_e32 v13, 0x7f, v18
	v_mov_b32_e32 v48, 0x7fc02000
	s_mov_b32 s15, exec_lo
	s_delay_alu instid0(VALU_DEP_2)
	v_cmpx_ne_u32_e32 0x7f, v13
	s_cbranch_execz .LBB354_2033
; %bb.2030:                             ;   in Loop: Header=BB354_1574 Depth=1
	v_and_b32_e32 v2, 7, v18
	v_lshrrev_b32_e32 v48, 3, v13
	v_cmp_gt_u32_e64 s0, 8, v13
	s_delay_alu instid0(VALU_DEP_3) | instskip(NEXT) | instid1(VALU_DEP_2)
	v_dual_mov_b32 v14, v3 :: v_dual_mov_b32 v13, v2
	s_and_saveexec_b32 s16, s0
; %bb.2031:                             ;   in Loop: Header=BB354_1574 Depth=1
	v_clz_i32_u32_e32 v13, v2
	s_delay_alu instid0(VALU_DEP_1) | instskip(NEXT) | instid1(VALU_DEP_1)
	v_min_u32_e32 v48, 32, v13
	v_subrev_nc_u32_e32 v13, 28, v48
	v_sub_nc_u32_e32 v48, 29, v48
	s_delay_alu instid0(VALU_DEP_2) | instskip(NEXT) | instid1(VALU_DEP_1)
	v_lshlrev_b64 v[13:14], v13, v[2:3]
	v_and_b32_e32 v13, 7, v13
; %bb.2032:                             ;   in Loop: Header=BB354_1574 Depth=1
	s_or_b32 exec_lo, exec_lo, s16
	v_lshlrev_b32_e32 v2, 8, v18
	v_lshl_add_u32 v14, v48, 10, 0x2000
	s_delay_alu instid0(VALU_DEP_1) | instskip(NEXT) | instid1(VALU_DEP_1)
	v_and_or_b32 v2, 0x8000, v2, v14
	v_lshl_or_b32 v2, v13, 7, v2
	s_delay_alu instid0(VALU_DEP_1)
	v_cvt_f32_f16_e32 v48, v2
.LBB354_2033:                           ;   in Loop: Header=BB354_1574 Depth=1
	s_or_b32 exec_lo, exec_lo, s15
.LBB354_2034:                           ;   in Loop: Header=BB354_1574 Depth=1
	s_delay_alu instid0(SALU_CYCLE_1)
	s_or_b32 exec_lo, exec_lo, s13
.LBB354_2035:                           ;   in Loop: Header=BB354_1574 Depth=1
	s_delay_alu instid0(SALU_CYCLE_1)
	s_or_b32 exec_lo, exec_lo, s12
	s_waitcnt vmcnt(0) lgkmcnt(0)
	v_fma_mixlo_f16 v6, v4, v6, 0
	v_fma_mixlo_f16 v2, v4, v37, 0
	;; [unrolled: 1-line block ×5, first 2 shown]
	v_lshlrev_b32_e32 v14, 16, v6
	v_fma_mixlo_f16 v6, v4, v5, 0
	v_fma_mixlo_f16 v23, v4, v48, 0
	v_fma_mixlo_f16 v5, v4, v17, 0
	v_lshlrev_b32_e32 v2, 16, v2
	v_and_b32_e32 v13, 0xffff, v13
	v_and_b32_e32 v4, 0xffff, v6
	v_lshlrev_b32_e32 v17, 16, v18
	v_and_b32_e32 v18, 0xffff, v22
	v_lshlrev_b32_e32 v22, 16, v23
	v_and_b32_e32 v23, 0xffff, v5
	v_or_b32_e32 v6, v2, v13
	v_or_b32_e32 v13, v14, v4
	;; [unrolled: 1-line block ×3, first 2 shown]
	s_delay_alu instid0(VALU_DEP_4)
	v_or_b32_e32 v4, v22, v23
	s_and_saveexec_b32 s12, vcc_lo
	s_cbranch_execz .LBB354_2037
; %bb.2036:                             ;   in Loop: Header=BB354_1574 Depth=1
	v_cmp_lt_i32_e64 s0, v119, v38
	v_lshrrev_b32_e32 v14, 16, v13
	v_lshrrev_b32_e32 v17, 16, v6
	;; [unrolled: 1-line block ×4, first 2 shown]
	v_cndmask_b32_e64 v13, 0, v13, s0
	v_cmp_lt_i32_e64 s0, v134, v55
	s_delay_alu instid0(VALU_DEP_1) | instskip(SKIP_1) | instid1(VALU_DEP_2)
	v_cndmask_b32_e64 v14, 0, v14, s0
	v_cmp_lt_i32_e64 s0, v133, v55
	v_perm_b32 v13, v14, v13, 0x5040100
	s_delay_alu instid0(VALU_DEP_2) | instskip(SKIP_1) | instid1(VALU_DEP_1)
	v_cndmask_b32_e64 v17, 0, v17, s0
	v_cmp_lt_i32_e64 s0, v132, v38
	v_cndmask_b32_e64 v6, 0, v6, s0
	v_cmp_lt_i32_e64 s0, v131, v55
	s_delay_alu instid0(VALU_DEP_2) | instskip(NEXT) | instid1(VALU_DEP_2)
	v_perm_b32 v6, v17, v6, 0x5040100
	v_cndmask_b32_e64 v18, 0, v18, s0
	v_cmp_lt_i32_e64 s0, v130, v38
	s_delay_alu instid0(VALU_DEP_1) | instskip(SKIP_1) | instid1(VALU_DEP_2)
	v_cndmask_b32_e64 v2, 0, v2, s0
	v_cmp_lt_i32_e64 s0, v129, v55
	v_perm_b32 v2, v18, v2, 0x5040100
	s_delay_alu instid0(VALU_DEP_2) | instskip(SKIP_1) | instid1(VALU_DEP_1)
	v_cndmask_b32_e64 v4, 0, v4, s0
	v_cmp_lt_i32_e64 s0, v128, v38
	v_cndmask_b32_e64 v5, 0, v5, s0
	s_delay_alu instid0(VALU_DEP_1)
	v_perm_b32 v4, v4, v5, 0x5040100
.LBB354_2037:                           ;   in Loop: Header=BB354_1574 Depth=1
	s_or_b32 exec_lo, exec_lo, s12
	;;#ASMSTART
	v_pk_mul_f16 v5, v118, v13;

	;;#ASMEND
	;;#ASMSTART
	v_pk_mul_f16 v6, v117, v6;

	;;#ASMEND
	;; [unrolled: 4-line block ×4, first 2 shown]
	;;#ASMSTART
	v_pk_add_f16 v5, v5, v6;

	;;#ASMEND
	;;#ASMSTART
	v_pk_add_f16 v2, v5, v2;

	;;#ASMEND
	;; [unrolled: 4-line block ×3, first 2 shown]
	v_dual_mov_b32 v5, 0 :: v_dual_and_b32 v4, 0xffff, v2
	v_lshrrev_b32_e32 v2, 16, v2
	;;#ASMSTART
	v_cvt_f32_f16 v161, v4;
	;;#ASMEND
	;;#ASMSTART
	v_cvt_f32_f16 v162, v2;
	;;#ASMEND
	flat_load_b64 v[13:14], v[11:12] offset:1792
	flat_load_b32 v4, v[26:27]
	v_mov_b32_e32 v6, 0
	s_mov_b32 s12, exec_lo
	s_waitcnt vmcnt(1) lgkmcnt(1)
	v_and_b32_e32 v2, 0xff, v13
	s_delay_alu instid0(VALU_DEP_1)
	v_cmpx_ne_u16_e32 0, v2
	s_cbranch_execz .LBB354_2045
; %bb.2038:                             ;   in Loop: Header=BB354_1574 Depth=1
	v_bfrev_b32_e32 v5, 1
	s_mov_b32 s13, exec_lo
	v_cmpx_ne_u16_e32 0x80, v2
	s_cbranch_execz .LBB354_2044
; %bb.2039:                             ;   in Loop: Header=BB354_1574 Depth=1
	v_and_b32_e32 v17, 0x7f, v13
	v_mov_b32_e32 v5, 0x7fc02000
	s_mov_b32 s15, exec_lo
	s_delay_alu instid0(VALU_DEP_2)
	v_cmpx_ne_u32_e32 0x7f, v17
	s_cbranch_execz .LBB354_2043
; %bb.2040:                             ;   in Loop: Header=BB354_1574 Depth=1
	v_lshrrev_b32_e32 v2, 3, v17
	v_cmp_gt_u32_e64 s0, 8, v17
	v_dual_mov_b32 v18, v14 :: v_dual_mov_b32 v17, v13
	s_delay_alu instid0(VALU_DEP_2)
	s_and_saveexec_b32 s16, s0
; %bb.2041:                             ;   in Loop: Header=BB354_1574 Depth=1
	v_and_b32_e32 v2, 7, v13
	s_delay_alu instid0(VALU_DEP_1) | instskip(NEXT) | instid1(VALU_DEP_1)
	v_clz_i32_u32_e32 v2, v2
	v_min_u32_e32 v2, 32, v2
	s_delay_alu instid0(VALU_DEP_1) | instskip(SKIP_1) | instid1(VALU_DEP_2)
	v_subrev_nc_u32_e32 v5, 28, v2
	v_sub_nc_u32_e32 v2, 29, v2
	v_lshlrev_b64 v[17:18], v5, v[13:14]
; %bb.2042:                             ;   in Loop: Header=BB354_1574 Depth=1
	s_or_b32 exec_lo, exec_lo, s16
	v_lshlrev_b32_e32 v5, 8, v13
	s_delay_alu instid0(VALU_DEP_3) | instskip(NEXT) | instid1(VALU_DEP_3)
	v_lshl_add_u32 v2, v2, 10, 0x2000
	v_lshlrev_b32_e32 v17, 7, v17
	s_delay_alu instid0(VALU_DEP_2) | instskip(NEXT) | instid1(VALU_DEP_1)
	v_and_or_b32 v2, 0x8000, v5, v2
	v_and_or_b32 v2, 0x380, v17, v2
	s_delay_alu instid0(VALU_DEP_1)
	v_cvt_f32_f16_e32 v5, v2
.LBB354_2043:                           ;   in Loop: Header=BB354_1574 Depth=1
	s_or_b32 exec_lo, exec_lo, s15
.LBB354_2044:                           ;   in Loop: Header=BB354_1574 Depth=1
	s_delay_alu instid0(SALU_CYCLE_1)
	s_or_b32 exec_lo, exec_lo, s13
.LBB354_2045:                           ;   in Loop: Header=BB354_1574 Depth=1
	s_delay_alu instid0(SALU_CYCLE_1) | instskip(SKIP_2) | instid1(VALU_DEP_1)
	s_or_b32 exec_lo, exec_lo, s12
	v_lshrrev_b16 v2, 8, v13
	s_mov_b32 s12, exec_lo
	v_cmpx_ne_u16_e32 0, v2
	s_cbranch_execz .LBB354_2053
; %bb.2046:                             ;   in Loop: Header=BB354_1574 Depth=1
	v_bfrev_b32_e32 v6, 1
	s_mov_b32 s13, exec_lo
	v_cmpx_ne_u16_e32 0x80, v2
	s_cbranch_execz .LBB354_2052
; %bb.2047:                             ;   in Loop: Header=BB354_1574 Depth=1
	v_and_b32_e32 v22, 0xffff, v2
	v_mov_b32_e32 v6, 0x7fc02000
	s_mov_b32 s15, exec_lo
	s_delay_alu instid0(VALU_DEP_2) | instskip(NEXT) | instid1(VALU_DEP_1)
	v_and_b32_e32 v17, 0x7f, v22
	v_cmpx_ne_u32_e32 0x7f, v17
	s_cbranch_execz .LBB354_2051
; %bb.2048:                             ;   in Loop: Header=BB354_1574 Depth=1
	v_and_b32_e32 v2, 7, v22
	v_lshrrev_b32_e32 v6, 3, v17
	v_cmp_gt_u32_e64 s0, 8, v17
	s_delay_alu instid0(VALU_DEP_3) | instskip(NEXT) | instid1(VALU_DEP_2)
	v_dual_mov_b32 v18, v3 :: v_dual_mov_b32 v17, v2
	s_and_saveexec_b32 s16, s0
; %bb.2049:                             ;   in Loop: Header=BB354_1574 Depth=1
	v_clz_i32_u32_e32 v6, v2
	s_delay_alu instid0(VALU_DEP_1) | instskip(NEXT) | instid1(VALU_DEP_1)
	v_min_u32_e32 v6, 32, v6
	v_subrev_nc_u32_e32 v17, 28, v6
	v_sub_nc_u32_e32 v6, 29, v6
	s_delay_alu instid0(VALU_DEP_2) | instskip(NEXT) | instid1(VALU_DEP_1)
	v_lshlrev_b64 v[17:18], v17, v[2:3]
	v_and_b32_e32 v17, 7, v17
; %bb.2050:                             ;   in Loop: Header=BB354_1574 Depth=1
	s_or_b32 exec_lo, exec_lo, s16
	v_lshlrev_b32_e32 v2, 8, v22
	v_lshl_add_u32 v6, v6, 10, 0x2000
	s_delay_alu instid0(VALU_DEP_1) | instskip(NEXT) | instid1(VALU_DEP_1)
	v_and_or_b32 v2, 0x8000, v2, v6
	v_lshl_or_b32 v2, v17, 7, v2
	s_delay_alu instid0(VALU_DEP_1)
	v_cvt_f32_f16_e32 v6, v2
.LBB354_2051:                           ;   in Loop: Header=BB354_1574 Depth=1
	s_or_b32 exec_lo, exec_lo, s15
.LBB354_2052:                           ;   in Loop: Header=BB354_1574 Depth=1
	s_delay_alu instid0(SALU_CYCLE_1)
	s_or_b32 exec_lo, exec_lo, s13
.LBB354_2053:                           ;   in Loop: Header=BB354_1574 Depth=1
	s_delay_alu instid0(SALU_CYCLE_1) | instskip(SKIP_3) | instid1(VALU_DEP_2)
	s_or_b32 exec_lo, exec_lo, s12
	v_lshrrev_b32_e32 v23, 16, v13
	v_mov_b32_e32 v22, 0
	s_mov_b32 s12, exec_lo
	v_dual_mov_b32 v37, 0 :: v_dual_and_b32 v2, 0xff, v23
	s_delay_alu instid0(VALU_DEP_1)
	v_cmpx_ne_u16_e32 0, v2
	s_cbranch_execz .LBB354_2061
; %bb.2054:                             ;   in Loop: Header=BB354_1574 Depth=1
	v_bfrev_b32_e32 v22, 1
	s_mov_b32 s13, exec_lo
	v_cmpx_ne_u16_e32 0x80, v2
	s_cbranch_execz .LBB354_2060
; %bb.2055:                             ;   in Loop: Header=BB354_1574 Depth=1
	v_bfe_u32 v17, v13, 16, 7
	v_mov_b32_e32 v22, 0x7fc02000
	s_mov_b32 s15, exec_lo
	s_delay_alu instid0(VALU_DEP_2)
	v_cmpx_ne_u32_e32 0x7f, v17
	s_cbranch_execz .LBB354_2059
; %bb.2056:                             ;   in Loop: Header=BB354_1574 Depth=1
	v_and_b32_e32 v2, 7, v23
	v_lshrrev_b32_e32 v22, 3, v17
	v_cmp_gt_u32_e64 s0, 8, v17
	s_delay_alu instid0(VALU_DEP_3) | instskip(NEXT) | instid1(VALU_DEP_2)
	v_dual_mov_b32 v18, v3 :: v_dual_mov_b32 v17, v2
	s_and_saveexec_b32 s16, s0
; %bb.2057:                             ;   in Loop: Header=BB354_1574 Depth=1
	v_clz_i32_u32_e32 v17, v2
	s_delay_alu instid0(VALU_DEP_1) | instskip(NEXT) | instid1(VALU_DEP_1)
	v_min_u32_e32 v22, 32, v17
	v_subrev_nc_u32_e32 v17, 28, v22
	v_sub_nc_u32_e32 v22, 29, v22
	s_delay_alu instid0(VALU_DEP_2) | instskip(NEXT) | instid1(VALU_DEP_1)
	v_lshlrev_b64 v[17:18], v17, v[2:3]
	v_and_b32_e32 v17, 7, v17
; %bb.2058:                             ;   in Loop: Header=BB354_1574 Depth=1
	s_or_b32 exec_lo, exec_lo, s16
	v_lshlrev_b32_e32 v2, 8, v23
	v_lshl_add_u32 v18, v22, 10, 0x2000
	s_delay_alu instid0(VALU_DEP_1) | instskip(NEXT) | instid1(VALU_DEP_1)
	v_and_or_b32 v2, 0x8000, v2, v18
	v_lshl_or_b32 v2, v17, 7, v2
	s_delay_alu instid0(VALU_DEP_1)
	v_cvt_f32_f16_e32 v22, v2
.LBB354_2059:                           ;   in Loop: Header=BB354_1574 Depth=1
	s_or_b32 exec_lo, exec_lo, s15
.LBB354_2060:                           ;   in Loop: Header=BB354_1574 Depth=1
	s_delay_alu instid0(SALU_CYCLE_1)
	s_or_b32 exec_lo, exec_lo, s13
.LBB354_2061:                           ;   in Loop: Header=BB354_1574 Depth=1
	s_delay_alu instid0(SALU_CYCLE_1) | instskip(NEXT) | instid1(SALU_CYCLE_1)
	s_or_b32 exec_lo, exec_lo, s12
	s_mov_b32 s12, exec_lo
	v_cmpx_lt_u32_e32 0xffffff, v13
	s_cbranch_execz .LBB354_2069
; %bb.2062:                             ;   in Loop: Header=BB354_1574 Depth=1
	v_lshrrev_b32_e32 v23, 24, v13
	v_bfrev_b32_e32 v37, 1
	s_mov_b32 s13, exec_lo
	s_delay_alu instid0(VALU_DEP_2)
	v_cmpx_ne_u32_e32 0x80, v23
	s_cbranch_execz .LBB354_2068
; %bb.2063:                             ;   in Loop: Header=BB354_1574 Depth=1
	v_and_b32_e32 v17, 0x7f, v23
	v_mov_b32_e32 v37, 0x7fc02000
	s_mov_b32 s15, exec_lo
	s_delay_alu instid0(VALU_DEP_2)
	v_cmpx_ne_u32_e32 0x7f, v17
	s_cbranch_execz .LBB354_2067
; %bb.2064:                             ;   in Loop: Header=BB354_1574 Depth=1
	v_and_b32_e32 v2, 7, v23
	v_lshrrev_b32_e32 v37, 3, v17
	v_cmp_gt_u32_e64 s0, 8, v17
	s_delay_alu instid0(VALU_DEP_3) | instskip(NEXT) | instid1(VALU_DEP_2)
	v_dual_mov_b32 v18, v3 :: v_dual_mov_b32 v17, v2
	s_and_saveexec_b32 s16, s0
; %bb.2065:                             ;   in Loop: Header=BB354_1574 Depth=1
	v_clz_i32_u32_e32 v17, v2
	s_delay_alu instid0(VALU_DEP_1) | instskip(NEXT) | instid1(VALU_DEP_1)
	v_min_u32_e32 v37, 32, v17
	v_subrev_nc_u32_e32 v17, 28, v37
	v_sub_nc_u32_e32 v37, 29, v37
	s_delay_alu instid0(VALU_DEP_2) | instskip(NEXT) | instid1(VALU_DEP_1)
	v_lshlrev_b64 v[17:18], v17, v[2:3]
	v_and_b32_e32 v17, 7, v17
; %bb.2066:                             ;   in Loop: Header=BB354_1574 Depth=1
	s_or_b32 exec_lo, exec_lo, s16
	v_lshlrev_b32_e32 v2, 8, v23
	v_lshl_add_u32 v18, v37, 10, 0x2000
	s_delay_alu instid0(VALU_DEP_1) | instskip(NEXT) | instid1(VALU_DEP_1)
	v_and_or_b32 v2, 0x8000, v2, v18
	v_lshl_or_b32 v2, v17, 7, v2
	s_delay_alu instid0(VALU_DEP_1)
	v_cvt_f32_f16_e32 v37, v2
.LBB354_2067:                           ;   in Loop: Header=BB354_1574 Depth=1
	s_or_b32 exec_lo, exec_lo, s15
.LBB354_2068:                           ;   in Loop: Header=BB354_1574 Depth=1
	s_delay_alu instid0(SALU_CYCLE_1)
	s_or_b32 exec_lo, exec_lo, s13
.LBB354_2069:                           ;   in Loop: Header=BB354_1574 Depth=1
	s_delay_alu instid0(SALU_CYCLE_1) | instskip(SKIP_4) | instid1(VALU_DEP_3)
	s_or_b32 exec_lo, exec_lo, s12
	v_dual_mov_b32 v2, v14 :: v_dual_and_b32 v17, 0xff, v14
	v_mov_b32_e32 v39, 0
	v_mov_b32_e32 v23, 0
	s_mov_b32 s12, exec_lo
	v_cmpx_ne_u16_e32 0, v17
	s_cbranch_execz .LBB354_2077
; %bb.2070:                             ;   in Loop: Header=BB354_1574 Depth=1
	v_bfrev_b32_e32 v23, 1
	s_mov_b32 s13, exec_lo
	v_cmpx_ne_u16_e32 0x80, v17
	s_cbranch_execz .LBB354_2076
; %bb.2071:                             ;   in Loop: Header=BB354_1574 Depth=1
	v_and_b32_e32 v17, 0x7f, v14
	v_mov_b32_e32 v23, 0x7fc02000
	s_mov_b32 s15, exec_lo
	s_delay_alu instid0(VALU_DEP_2)
	v_cmpx_ne_u32_e32 0x7f, v17
	s_cbranch_execz .LBB354_2075
; %bb.2072:                             ;   in Loop: Header=BB354_1574 Depth=1
	v_lshrrev_b32_e32 v23, 3, v17
	v_cmp_gt_u32_e64 s0, 8, v17
	v_dual_mov_b32 v18, v3 :: v_dual_mov_b32 v17, v2
	s_delay_alu instid0(VALU_DEP_2)
	s_and_saveexec_b32 s16, s0
; %bb.2073:                             ;   in Loop: Header=BB354_1574 Depth=1
	v_and_b32_e32 v17, 7, v14
	s_delay_alu instid0(VALU_DEP_1) | instskip(NEXT) | instid1(VALU_DEP_1)
	v_clz_i32_u32_e32 v17, v17
	v_min_u32_e32 v23, 32, v17
	s_delay_alu instid0(VALU_DEP_1) | instskip(SKIP_1) | instid1(VALU_DEP_2)
	v_subrev_nc_u32_e32 v17, 28, v23
	v_sub_nc_u32_e32 v23, 29, v23
	v_lshlrev_b64 v[17:18], v17, v[2:3]
; %bb.2074:                             ;   in Loop: Header=BB354_1574 Depth=1
	s_or_b32 exec_lo, exec_lo, s16
	v_lshlrev_b32_e32 v18, 8, v14
	s_delay_alu instid0(VALU_DEP_3) | instskip(NEXT) | instid1(VALU_DEP_3)
	v_lshl_add_u32 v23, v23, 10, 0x2000
	v_lshlrev_b32_e32 v17, 7, v17
	s_delay_alu instid0(VALU_DEP_2) | instskip(NEXT) | instid1(VALU_DEP_1)
	v_and_or_b32 v18, 0x8000, v18, v23
	v_and_or_b32 v17, 0x380, v17, v18
	s_delay_alu instid0(VALU_DEP_1)
	v_cvt_f32_f16_e32 v23, v17
.LBB354_2075:                           ;   in Loop: Header=BB354_1574 Depth=1
	s_or_b32 exec_lo, exec_lo, s15
.LBB354_2076:                           ;   in Loop: Header=BB354_1574 Depth=1
	s_delay_alu instid0(SALU_CYCLE_1)
	s_or_b32 exec_lo, exec_lo, s13
.LBB354_2077:                           ;   in Loop: Header=BB354_1574 Depth=1
	s_delay_alu instid0(SALU_CYCLE_1) | instskip(SKIP_2) | instid1(VALU_DEP_1)
	s_or_b32 exec_lo, exec_lo, s12
	v_lshrrev_b16 v2, 8, v2
	s_mov_b32 s12, exec_lo
	v_cmpx_ne_u16_e32 0, v2
	s_cbranch_execz .LBB354_2085
; %bb.2078:                             ;   in Loop: Header=BB354_1574 Depth=1
	v_bfrev_b32_e32 v39, 1
	s_mov_b32 s13, exec_lo
	v_cmpx_ne_u16_e32 0x80, v2
	s_cbranch_execz .LBB354_2084
; %bb.2079:                             ;   in Loop: Header=BB354_1574 Depth=1
	v_and_b32_e32 v48, 0xffff, v2
	v_mov_b32_e32 v39, 0x7fc02000
	s_mov_b32 s15, exec_lo
	s_delay_alu instid0(VALU_DEP_2) | instskip(NEXT) | instid1(VALU_DEP_1)
	v_and_b32_e32 v17, 0x7f, v48
	v_cmpx_ne_u32_e32 0x7f, v17
	s_cbranch_execz .LBB354_2083
; %bb.2080:                             ;   in Loop: Header=BB354_1574 Depth=1
	v_and_b32_e32 v2, 7, v48
	v_lshrrev_b32_e32 v39, 3, v17
	v_cmp_gt_u32_e64 s0, 8, v17
	s_delay_alu instid0(VALU_DEP_3) | instskip(NEXT) | instid1(VALU_DEP_2)
	v_dual_mov_b32 v18, v3 :: v_dual_mov_b32 v17, v2
	s_and_saveexec_b32 s16, s0
; %bb.2081:                             ;   in Loop: Header=BB354_1574 Depth=1
	v_clz_i32_u32_e32 v17, v2
	s_delay_alu instid0(VALU_DEP_1) | instskip(NEXT) | instid1(VALU_DEP_1)
	v_min_u32_e32 v39, 32, v17
	v_subrev_nc_u32_e32 v17, 28, v39
	v_sub_nc_u32_e32 v39, 29, v39
	s_delay_alu instid0(VALU_DEP_2) | instskip(NEXT) | instid1(VALU_DEP_1)
	v_lshlrev_b64 v[17:18], v17, v[2:3]
	v_and_b32_e32 v17, 7, v17
; %bb.2082:                             ;   in Loop: Header=BB354_1574 Depth=1
	s_or_b32 exec_lo, exec_lo, s16
	v_lshlrev_b32_e32 v2, 8, v48
	v_lshl_add_u32 v18, v39, 10, 0x2000
	s_delay_alu instid0(VALU_DEP_1) | instskip(NEXT) | instid1(VALU_DEP_1)
	v_and_or_b32 v2, 0x8000, v2, v18
	v_lshl_or_b32 v2, v17, 7, v2
	s_delay_alu instid0(VALU_DEP_1)
	v_cvt_f32_f16_e32 v39, v2
.LBB354_2083:                           ;   in Loop: Header=BB354_1574 Depth=1
	s_or_b32 exec_lo, exec_lo, s15
.LBB354_2084:                           ;   in Loop: Header=BB354_1574 Depth=1
	s_delay_alu instid0(SALU_CYCLE_1)
	s_or_b32 exec_lo, exec_lo, s13
.LBB354_2085:                           ;   in Loop: Header=BB354_1574 Depth=1
	s_delay_alu instid0(SALU_CYCLE_1) | instskip(SKIP_3) | instid1(VALU_DEP_2)
	s_or_b32 exec_lo, exec_lo, s12
	v_lshrrev_b32_e32 v49, 16, v14
	v_mov_b32_e32 v48, 0
	s_mov_b32 s12, exec_lo
	v_dual_mov_b32 v17, 0 :: v_dual_and_b32 v2, 0xff, v49
	s_delay_alu instid0(VALU_DEP_1)
	v_cmpx_ne_u16_e32 0, v2
	s_cbranch_execz .LBB354_2093
; %bb.2086:                             ;   in Loop: Header=BB354_1574 Depth=1
	v_bfrev_b32_e32 v17, 1
	s_mov_b32 s13, exec_lo
	v_cmpx_ne_u16_e32 0x80, v2
	s_cbranch_execz .LBB354_2092
; %bb.2087:                             ;   in Loop: Header=BB354_1574 Depth=1
	v_bfe_u32 v18, v14, 16, 7
	v_mov_b32_e32 v17, 0x7fc02000
	s_mov_b32 s15, exec_lo
	s_delay_alu instid0(VALU_DEP_2)
	v_cmpx_ne_u32_e32 0x7f, v18
	s_cbranch_execz .LBB354_2091
; %bb.2088:                             ;   in Loop: Header=BB354_1574 Depth=1
	v_and_b32_e32 v2, 7, v49
	v_lshrrev_b32_e32 v50, 3, v18
	v_cmp_gt_u32_e64 s0, 8, v18
	s_delay_alu instid0(VALU_DEP_3) | instskip(NEXT) | instid1(VALU_DEP_2)
	v_dual_mov_b32 v18, v3 :: v_dual_mov_b32 v17, v2
	s_and_saveexec_b32 s16, s0
; %bb.2089:                             ;   in Loop: Header=BB354_1574 Depth=1
	v_clz_i32_u32_e32 v17, v2
	s_delay_alu instid0(VALU_DEP_1) | instskip(NEXT) | instid1(VALU_DEP_1)
	v_min_u32_e32 v50, 32, v17
	v_subrev_nc_u32_e32 v17, 28, v50
	v_sub_nc_u32_e32 v50, 29, v50
	s_delay_alu instid0(VALU_DEP_2) | instskip(NEXT) | instid1(VALU_DEP_1)
	v_lshlrev_b64 v[17:18], v17, v[2:3]
	v_and_b32_e32 v17, 7, v17
; %bb.2090:                             ;   in Loop: Header=BB354_1574 Depth=1
	s_or_b32 exec_lo, exec_lo, s16
	v_lshlrev_b32_e32 v2, 8, v49
	v_lshl_add_u32 v18, v50, 10, 0x2000
	s_delay_alu instid0(VALU_DEP_1) | instskip(NEXT) | instid1(VALU_DEP_1)
	v_and_or_b32 v2, 0x8000, v2, v18
	v_lshl_or_b32 v2, v17, 7, v2
	s_delay_alu instid0(VALU_DEP_1)
	v_cvt_f32_f16_e32 v17, v2
.LBB354_2091:                           ;   in Loop: Header=BB354_1574 Depth=1
	s_or_b32 exec_lo, exec_lo, s15
.LBB354_2092:                           ;   in Loop: Header=BB354_1574 Depth=1
	s_delay_alu instid0(SALU_CYCLE_1)
	s_or_b32 exec_lo, exec_lo, s13
.LBB354_2093:                           ;   in Loop: Header=BB354_1574 Depth=1
	s_delay_alu instid0(SALU_CYCLE_1) | instskip(NEXT) | instid1(SALU_CYCLE_1)
	s_or_b32 exec_lo, exec_lo, s12
	s_mov_b32 s12, exec_lo
	v_cmpx_lt_u64_e64 s[8:9], v[13:14]
	s_cbranch_execz .LBB354_2101
; %bb.2094:                             ;   in Loop: Header=BB354_1574 Depth=1
	v_lshrrev_b32_e32 v18, 24, v14
	v_bfrev_b32_e32 v48, 1
	s_mov_b32 s13, exec_lo
	s_delay_alu instid0(VALU_DEP_2)
	v_cmpx_ne_u32_e32 0x80, v18
	s_cbranch_execz .LBB354_2100
; %bb.2095:                             ;   in Loop: Header=BB354_1574 Depth=1
	v_and_b32_e32 v13, 0x7f, v18
	v_mov_b32_e32 v48, 0x7fc02000
	s_mov_b32 s15, exec_lo
	s_delay_alu instid0(VALU_DEP_2)
	v_cmpx_ne_u32_e32 0x7f, v13
	s_cbranch_execz .LBB354_2099
; %bb.2096:                             ;   in Loop: Header=BB354_1574 Depth=1
	v_and_b32_e32 v2, 7, v18
	v_lshrrev_b32_e32 v48, 3, v13
	v_cmp_gt_u32_e64 s0, 8, v13
	s_delay_alu instid0(VALU_DEP_3) | instskip(NEXT) | instid1(VALU_DEP_2)
	v_dual_mov_b32 v14, v3 :: v_dual_mov_b32 v13, v2
	s_and_saveexec_b32 s16, s0
; %bb.2097:                             ;   in Loop: Header=BB354_1574 Depth=1
	v_clz_i32_u32_e32 v13, v2
	s_delay_alu instid0(VALU_DEP_1) | instskip(NEXT) | instid1(VALU_DEP_1)
	v_min_u32_e32 v48, 32, v13
	v_subrev_nc_u32_e32 v13, 28, v48
	v_sub_nc_u32_e32 v48, 29, v48
	s_delay_alu instid0(VALU_DEP_2) | instskip(NEXT) | instid1(VALU_DEP_1)
	v_lshlrev_b64 v[13:14], v13, v[2:3]
	v_and_b32_e32 v13, 7, v13
; %bb.2098:                             ;   in Loop: Header=BB354_1574 Depth=1
	s_or_b32 exec_lo, exec_lo, s16
	v_lshlrev_b32_e32 v2, 8, v18
	v_lshl_add_u32 v14, v48, 10, 0x2000
	s_delay_alu instid0(VALU_DEP_1) | instskip(NEXT) | instid1(VALU_DEP_1)
	v_and_or_b32 v2, 0x8000, v2, v14
	v_lshl_or_b32 v2, v13, 7, v2
	s_delay_alu instid0(VALU_DEP_1)
	v_cvt_f32_f16_e32 v48, v2
.LBB354_2099:                           ;   in Loop: Header=BB354_1574 Depth=1
	s_or_b32 exec_lo, exec_lo, s15
.LBB354_2100:                           ;   in Loop: Header=BB354_1574 Depth=1
	s_delay_alu instid0(SALU_CYCLE_1)
	s_or_b32 exec_lo, exec_lo, s13
.LBB354_2101:                           ;   in Loop: Header=BB354_1574 Depth=1
	s_delay_alu instid0(SALU_CYCLE_1)
	s_or_b32 exec_lo, exec_lo, s12
	s_waitcnt vmcnt(0) lgkmcnt(0)
	v_fma_mixlo_f16 v6, v4, v6, 0
	v_fma_mixlo_f16 v2, v4, v37, 0
	;; [unrolled: 1-line block ×5, first 2 shown]
	v_lshlrev_b32_e32 v14, 16, v6
	v_fma_mixlo_f16 v6, v4, v5, 0
	v_fma_mixlo_f16 v23, v4, v48, 0
	;; [unrolled: 1-line block ×3, first 2 shown]
	v_lshlrev_b32_e32 v2, 16, v2
	v_and_b32_e32 v13, 0xffff, v13
	v_and_b32_e32 v4, 0xffff, v6
	v_lshlrev_b32_e32 v17, 16, v18
	v_and_b32_e32 v18, 0xffff, v22
	v_lshlrev_b32_e32 v22, 16, v23
	v_and_b32_e32 v23, 0xffff, v5
	v_or_b32_e32 v6, v2, v13
	v_or_b32_e32 v13, v14, v4
	;; [unrolled: 1-line block ×3, first 2 shown]
	s_delay_alu instid0(VALU_DEP_4)
	v_or_b32_e32 v4, v22, v23
	s_and_saveexec_b32 s12, vcc_lo
	s_cbranch_execz .LBB354_2103
; %bb.2102:                             ;   in Loop: Header=BB354_1574 Depth=1
	v_cmp_lt_i32_e64 s0, v119, v38
	v_lshrrev_b32_e32 v14, 16, v13
	v_lshrrev_b32_e32 v17, 16, v6
	;; [unrolled: 1-line block ×4, first 2 shown]
	v_cndmask_b32_e64 v13, 0, v13, s0
	v_cmp_lt_i32_e64 s0, v134, v55
	s_delay_alu instid0(VALU_DEP_1) | instskip(SKIP_1) | instid1(VALU_DEP_2)
	v_cndmask_b32_e64 v14, 0, v14, s0
	v_cmp_lt_i32_e64 s0, v133, v55
	v_perm_b32 v13, v14, v13, 0x5040100
	s_delay_alu instid0(VALU_DEP_2) | instskip(SKIP_1) | instid1(VALU_DEP_1)
	v_cndmask_b32_e64 v17, 0, v17, s0
	v_cmp_lt_i32_e64 s0, v132, v38
	v_cndmask_b32_e64 v6, 0, v6, s0
	v_cmp_lt_i32_e64 s0, v131, v55
	s_delay_alu instid0(VALU_DEP_2) | instskip(NEXT) | instid1(VALU_DEP_2)
	v_perm_b32 v6, v17, v6, 0x5040100
	v_cndmask_b32_e64 v18, 0, v18, s0
	v_cmp_lt_i32_e64 s0, v130, v38
	s_delay_alu instid0(VALU_DEP_1) | instskip(SKIP_1) | instid1(VALU_DEP_2)
	v_cndmask_b32_e64 v2, 0, v2, s0
	v_cmp_lt_i32_e64 s0, v129, v55
	v_perm_b32 v2, v18, v2, 0x5040100
	s_delay_alu instid0(VALU_DEP_2) | instskip(SKIP_1) | instid1(VALU_DEP_1)
	v_cndmask_b32_e64 v4, 0, v4, s0
	v_cmp_lt_i32_e64 s0, v128, v38
	v_cndmask_b32_e64 v5, 0, v5, s0
	s_delay_alu instid0(VALU_DEP_1)
	v_perm_b32 v4, v4, v5, 0x5040100
.LBB354_2103:                           ;   in Loop: Header=BB354_1574 Depth=1
	s_or_b32 exec_lo, exec_lo, s12
	;;#ASMSTART
	v_pk_mul_f16 v5, v118, v13;

	;;#ASMEND
	;;#ASMSTART
	v_pk_mul_f16 v6, v117, v6;

	;;#ASMEND
	;; [unrolled: 4-line block ×4, first 2 shown]
	;;#ASMSTART
	v_pk_add_f16 v5, v5, v6;

	;;#ASMEND
	;;#ASMSTART
	v_pk_add_f16 v2, v5, v2;

	;;#ASMEND
	;;#ASMSTART
	v_pk_add_f16 v2, v2, v4;

	;;#ASMEND
	v_dual_mov_b32 v5, 0 :: v_dual_and_b32 v4, 0xffff, v2
	v_lshrrev_b32_e32 v2, 16, v2
	;;#ASMSTART
	v_cvt_f32_f16 v163, v4;
	;;#ASMEND
	;;#ASMSTART
	v_cvt_f32_f16 v164, v2;
	;;#ASMEND
	flat_load_b64 v[13:14], v[11:12] offset:2048
	flat_load_b32 v4, v[26:27]
	v_mov_b32_e32 v6, 0
	s_mov_b32 s12, exec_lo
	s_waitcnt vmcnt(1) lgkmcnt(1)
	v_and_b32_e32 v2, 0xff, v13
	s_delay_alu instid0(VALU_DEP_1)
	v_cmpx_ne_u16_e32 0, v2
	s_cbranch_execz .LBB354_2111
; %bb.2104:                             ;   in Loop: Header=BB354_1574 Depth=1
	v_bfrev_b32_e32 v5, 1
	s_mov_b32 s13, exec_lo
	v_cmpx_ne_u16_e32 0x80, v2
	s_cbranch_execz .LBB354_2110
; %bb.2105:                             ;   in Loop: Header=BB354_1574 Depth=1
	v_and_b32_e32 v17, 0x7f, v13
	v_mov_b32_e32 v5, 0x7fc02000
	s_mov_b32 s15, exec_lo
	s_delay_alu instid0(VALU_DEP_2)
	v_cmpx_ne_u32_e32 0x7f, v17
	s_cbranch_execz .LBB354_2109
; %bb.2106:                             ;   in Loop: Header=BB354_1574 Depth=1
	v_lshrrev_b32_e32 v2, 3, v17
	v_cmp_gt_u32_e64 s0, 8, v17
	v_dual_mov_b32 v18, v14 :: v_dual_mov_b32 v17, v13
	s_delay_alu instid0(VALU_DEP_2)
	s_and_saveexec_b32 s16, s0
; %bb.2107:                             ;   in Loop: Header=BB354_1574 Depth=1
	v_and_b32_e32 v2, 7, v13
	s_delay_alu instid0(VALU_DEP_1) | instskip(NEXT) | instid1(VALU_DEP_1)
	v_clz_i32_u32_e32 v2, v2
	v_min_u32_e32 v2, 32, v2
	s_delay_alu instid0(VALU_DEP_1) | instskip(SKIP_1) | instid1(VALU_DEP_2)
	v_subrev_nc_u32_e32 v5, 28, v2
	v_sub_nc_u32_e32 v2, 29, v2
	v_lshlrev_b64 v[17:18], v5, v[13:14]
; %bb.2108:                             ;   in Loop: Header=BB354_1574 Depth=1
	s_or_b32 exec_lo, exec_lo, s16
	v_lshlrev_b32_e32 v5, 8, v13
	s_delay_alu instid0(VALU_DEP_3) | instskip(NEXT) | instid1(VALU_DEP_3)
	v_lshl_add_u32 v2, v2, 10, 0x2000
	v_lshlrev_b32_e32 v17, 7, v17
	s_delay_alu instid0(VALU_DEP_2) | instskip(NEXT) | instid1(VALU_DEP_1)
	v_and_or_b32 v2, 0x8000, v5, v2
	v_and_or_b32 v2, 0x380, v17, v2
	s_delay_alu instid0(VALU_DEP_1)
	v_cvt_f32_f16_e32 v5, v2
.LBB354_2109:                           ;   in Loop: Header=BB354_1574 Depth=1
	s_or_b32 exec_lo, exec_lo, s15
.LBB354_2110:                           ;   in Loop: Header=BB354_1574 Depth=1
	s_delay_alu instid0(SALU_CYCLE_1)
	s_or_b32 exec_lo, exec_lo, s13
.LBB354_2111:                           ;   in Loop: Header=BB354_1574 Depth=1
	s_delay_alu instid0(SALU_CYCLE_1) | instskip(SKIP_2) | instid1(VALU_DEP_1)
	s_or_b32 exec_lo, exec_lo, s12
	v_lshrrev_b16 v2, 8, v13
	s_mov_b32 s12, exec_lo
	v_cmpx_ne_u16_e32 0, v2
	s_cbranch_execz .LBB354_2119
; %bb.2112:                             ;   in Loop: Header=BB354_1574 Depth=1
	v_bfrev_b32_e32 v6, 1
	s_mov_b32 s13, exec_lo
	v_cmpx_ne_u16_e32 0x80, v2
	s_cbranch_execz .LBB354_2118
; %bb.2113:                             ;   in Loop: Header=BB354_1574 Depth=1
	v_and_b32_e32 v22, 0xffff, v2
	v_mov_b32_e32 v6, 0x7fc02000
	s_mov_b32 s15, exec_lo
	s_delay_alu instid0(VALU_DEP_2) | instskip(NEXT) | instid1(VALU_DEP_1)
	v_and_b32_e32 v17, 0x7f, v22
	v_cmpx_ne_u32_e32 0x7f, v17
	s_cbranch_execz .LBB354_2117
; %bb.2114:                             ;   in Loop: Header=BB354_1574 Depth=1
	v_and_b32_e32 v2, 7, v22
	v_lshrrev_b32_e32 v6, 3, v17
	v_cmp_gt_u32_e64 s0, 8, v17
	s_delay_alu instid0(VALU_DEP_3) | instskip(NEXT) | instid1(VALU_DEP_2)
	v_dual_mov_b32 v18, v3 :: v_dual_mov_b32 v17, v2
	s_and_saveexec_b32 s16, s0
; %bb.2115:                             ;   in Loop: Header=BB354_1574 Depth=1
	v_clz_i32_u32_e32 v6, v2
	s_delay_alu instid0(VALU_DEP_1) | instskip(NEXT) | instid1(VALU_DEP_1)
	v_min_u32_e32 v6, 32, v6
	v_subrev_nc_u32_e32 v17, 28, v6
	v_sub_nc_u32_e32 v6, 29, v6
	s_delay_alu instid0(VALU_DEP_2) | instskip(NEXT) | instid1(VALU_DEP_1)
	v_lshlrev_b64 v[17:18], v17, v[2:3]
	v_and_b32_e32 v17, 7, v17
; %bb.2116:                             ;   in Loop: Header=BB354_1574 Depth=1
	s_or_b32 exec_lo, exec_lo, s16
	v_lshlrev_b32_e32 v2, 8, v22
	v_lshl_add_u32 v6, v6, 10, 0x2000
	s_delay_alu instid0(VALU_DEP_1) | instskip(NEXT) | instid1(VALU_DEP_1)
	v_and_or_b32 v2, 0x8000, v2, v6
	v_lshl_or_b32 v2, v17, 7, v2
	s_delay_alu instid0(VALU_DEP_1)
	v_cvt_f32_f16_e32 v6, v2
.LBB354_2117:                           ;   in Loop: Header=BB354_1574 Depth=1
	s_or_b32 exec_lo, exec_lo, s15
.LBB354_2118:                           ;   in Loop: Header=BB354_1574 Depth=1
	s_delay_alu instid0(SALU_CYCLE_1)
	s_or_b32 exec_lo, exec_lo, s13
.LBB354_2119:                           ;   in Loop: Header=BB354_1574 Depth=1
	s_delay_alu instid0(SALU_CYCLE_1) | instskip(SKIP_3) | instid1(VALU_DEP_2)
	s_or_b32 exec_lo, exec_lo, s12
	v_lshrrev_b32_e32 v23, 16, v13
	v_mov_b32_e32 v22, 0
	s_mov_b32 s12, exec_lo
	v_dual_mov_b32 v37, 0 :: v_dual_and_b32 v2, 0xff, v23
	s_delay_alu instid0(VALU_DEP_1)
	v_cmpx_ne_u16_e32 0, v2
	s_cbranch_execz .LBB354_2127
; %bb.2120:                             ;   in Loop: Header=BB354_1574 Depth=1
	v_bfrev_b32_e32 v22, 1
	s_mov_b32 s13, exec_lo
	v_cmpx_ne_u16_e32 0x80, v2
	s_cbranch_execz .LBB354_2126
; %bb.2121:                             ;   in Loop: Header=BB354_1574 Depth=1
	v_bfe_u32 v17, v13, 16, 7
	v_mov_b32_e32 v22, 0x7fc02000
	s_mov_b32 s15, exec_lo
	s_delay_alu instid0(VALU_DEP_2)
	v_cmpx_ne_u32_e32 0x7f, v17
	s_cbranch_execz .LBB354_2125
; %bb.2122:                             ;   in Loop: Header=BB354_1574 Depth=1
	v_and_b32_e32 v2, 7, v23
	v_lshrrev_b32_e32 v22, 3, v17
	v_cmp_gt_u32_e64 s0, 8, v17
	s_delay_alu instid0(VALU_DEP_3) | instskip(NEXT) | instid1(VALU_DEP_2)
	v_dual_mov_b32 v18, v3 :: v_dual_mov_b32 v17, v2
	s_and_saveexec_b32 s16, s0
; %bb.2123:                             ;   in Loop: Header=BB354_1574 Depth=1
	v_clz_i32_u32_e32 v17, v2
	s_delay_alu instid0(VALU_DEP_1) | instskip(NEXT) | instid1(VALU_DEP_1)
	v_min_u32_e32 v22, 32, v17
	v_subrev_nc_u32_e32 v17, 28, v22
	v_sub_nc_u32_e32 v22, 29, v22
	s_delay_alu instid0(VALU_DEP_2) | instskip(NEXT) | instid1(VALU_DEP_1)
	v_lshlrev_b64 v[17:18], v17, v[2:3]
	v_and_b32_e32 v17, 7, v17
; %bb.2124:                             ;   in Loop: Header=BB354_1574 Depth=1
	s_or_b32 exec_lo, exec_lo, s16
	v_lshlrev_b32_e32 v2, 8, v23
	v_lshl_add_u32 v18, v22, 10, 0x2000
	s_delay_alu instid0(VALU_DEP_1) | instskip(NEXT) | instid1(VALU_DEP_1)
	v_and_or_b32 v2, 0x8000, v2, v18
	v_lshl_or_b32 v2, v17, 7, v2
	s_delay_alu instid0(VALU_DEP_1)
	v_cvt_f32_f16_e32 v22, v2
.LBB354_2125:                           ;   in Loop: Header=BB354_1574 Depth=1
	s_or_b32 exec_lo, exec_lo, s15
.LBB354_2126:                           ;   in Loop: Header=BB354_1574 Depth=1
	s_delay_alu instid0(SALU_CYCLE_1)
	s_or_b32 exec_lo, exec_lo, s13
.LBB354_2127:                           ;   in Loop: Header=BB354_1574 Depth=1
	s_delay_alu instid0(SALU_CYCLE_1) | instskip(NEXT) | instid1(SALU_CYCLE_1)
	s_or_b32 exec_lo, exec_lo, s12
	s_mov_b32 s12, exec_lo
	v_cmpx_lt_u32_e32 0xffffff, v13
	s_cbranch_execz .LBB354_2135
; %bb.2128:                             ;   in Loop: Header=BB354_1574 Depth=1
	v_lshrrev_b32_e32 v23, 24, v13
	v_bfrev_b32_e32 v37, 1
	s_mov_b32 s13, exec_lo
	s_delay_alu instid0(VALU_DEP_2)
	v_cmpx_ne_u32_e32 0x80, v23
	s_cbranch_execz .LBB354_2134
; %bb.2129:                             ;   in Loop: Header=BB354_1574 Depth=1
	v_and_b32_e32 v17, 0x7f, v23
	v_mov_b32_e32 v37, 0x7fc02000
	s_mov_b32 s15, exec_lo
	s_delay_alu instid0(VALU_DEP_2)
	v_cmpx_ne_u32_e32 0x7f, v17
	s_cbranch_execz .LBB354_2133
; %bb.2130:                             ;   in Loop: Header=BB354_1574 Depth=1
	v_and_b32_e32 v2, 7, v23
	v_lshrrev_b32_e32 v37, 3, v17
	v_cmp_gt_u32_e64 s0, 8, v17
	s_delay_alu instid0(VALU_DEP_3) | instskip(NEXT) | instid1(VALU_DEP_2)
	v_dual_mov_b32 v18, v3 :: v_dual_mov_b32 v17, v2
	s_and_saveexec_b32 s16, s0
; %bb.2131:                             ;   in Loop: Header=BB354_1574 Depth=1
	v_clz_i32_u32_e32 v17, v2
	s_delay_alu instid0(VALU_DEP_1) | instskip(NEXT) | instid1(VALU_DEP_1)
	v_min_u32_e32 v37, 32, v17
	v_subrev_nc_u32_e32 v17, 28, v37
	v_sub_nc_u32_e32 v37, 29, v37
	s_delay_alu instid0(VALU_DEP_2) | instskip(NEXT) | instid1(VALU_DEP_1)
	v_lshlrev_b64 v[17:18], v17, v[2:3]
	v_and_b32_e32 v17, 7, v17
; %bb.2132:                             ;   in Loop: Header=BB354_1574 Depth=1
	s_or_b32 exec_lo, exec_lo, s16
	v_lshlrev_b32_e32 v2, 8, v23
	v_lshl_add_u32 v18, v37, 10, 0x2000
	s_delay_alu instid0(VALU_DEP_1) | instskip(NEXT) | instid1(VALU_DEP_1)
	v_and_or_b32 v2, 0x8000, v2, v18
	v_lshl_or_b32 v2, v17, 7, v2
	s_delay_alu instid0(VALU_DEP_1)
	v_cvt_f32_f16_e32 v37, v2
.LBB354_2133:                           ;   in Loop: Header=BB354_1574 Depth=1
	s_or_b32 exec_lo, exec_lo, s15
.LBB354_2134:                           ;   in Loop: Header=BB354_1574 Depth=1
	s_delay_alu instid0(SALU_CYCLE_1)
	s_or_b32 exec_lo, exec_lo, s13
.LBB354_2135:                           ;   in Loop: Header=BB354_1574 Depth=1
	s_delay_alu instid0(SALU_CYCLE_1) | instskip(SKIP_4) | instid1(VALU_DEP_3)
	s_or_b32 exec_lo, exec_lo, s12
	v_dual_mov_b32 v2, v14 :: v_dual_and_b32 v17, 0xff, v14
	v_mov_b32_e32 v39, 0
	v_mov_b32_e32 v23, 0
	s_mov_b32 s12, exec_lo
	v_cmpx_ne_u16_e32 0, v17
	s_cbranch_execz .LBB354_2143
; %bb.2136:                             ;   in Loop: Header=BB354_1574 Depth=1
	v_bfrev_b32_e32 v23, 1
	s_mov_b32 s13, exec_lo
	v_cmpx_ne_u16_e32 0x80, v17
	s_cbranch_execz .LBB354_2142
; %bb.2137:                             ;   in Loop: Header=BB354_1574 Depth=1
	v_and_b32_e32 v17, 0x7f, v14
	v_mov_b32_e32 v23, 0x7fc02000
	s_mov_b32 s15, exec_lo
	s_delay_alu instid0(VALU_DEP_2)
	v_cmpx_ne_u32_e32 0x7f, v17
	s_cbranch_execz .LBB354_2141
; %bb.2138:                             ;   in Loop: Header=BB354_1574 Depth=1
	v_lshrrev_b32_e32 v23, 3, v17
	v_cmp_gt_u32_e64 s0, 8, v17
	v_dual_mov_b32 v18, v3 :: v_dual_mov_b32 v17, v2
	s_delay_alu instid0(VALU_DEP_2)
	s_and_saveexec_b32 s16, s0
; %bb.2139:                             ;   in Loop: Header=BB354_1574 Depth=1
	v_and_b32_e32 v17, 7, v14
	s_delay_alu instid0(VALU_DEP_1) | instskip(NEXT) | instid1(VALU_DEP_1)
	v_clz_i32_u32_e32 v17, v17
	v_min_u32_e32 v23, 32, v17
	s_delay_alu instid0(VALU_DEP_1) | instskip(SKIP_1) | instid1(VALU_DEP_2)
	v_subrev_nc_u32_e32 v17, 28, v23
	v_sub_nc_u32_e32 v23, 29, v23
	v_lshlrev_b64 v[17:18], v17, v[2:3]
; %bb.2140:                             ;   in Loop: Header=BB354_1574 Depth=1
	s_or_b32 exec_lo, exec_lo, s16
	v_lshlrev_b32_e32 v18, 8, v14
	s_delay_alu instid0(VALU_DEP_3) | instskip(NEXT) | instid1(VALU_DEP_3)
	v_lshl_add_u32 v23, v23, 10, 0x2000
	v_lshlrev_b32_e32 v17, 7, v17
	s_delay_alu instid0(VALU_DEP_2) | instskip(NEXT) | instid1(VALU_DEP_1)
	v_and_or_b32 v18, 0x8000, v18, v23
	v_and_or_b32 v17, 0x380, v17, v18
	s_delay_alu instid0(VALU_DEP_1)
	v_cvt_f32_f16_e32 v23, v17
.LBB354_2141:                           ;   in Loop: Header=BB354_1574 Depth=1
	s_or_b32 exec_lo, exec_lo, s15
.LBB354_2142:                           ;   in Loop: Header=BB354_1574 Depth=1
	s_delay_alu instid0(SALU_CYCLE_1)
	s_or_b32 exec_lo, exec_lo, s13
.LBB354_2143:                           ;   in Loop: Header=BB354_1574 Depth=1
	s_delay_alu instid0(SALU_CYCLE_1) | instskip(SKIP_2) | instid1(VALU_DEP_1)
	s_or_b32 exec_lo, exec_lo, s12
	v_lshrrev_b16 v2, 8, v2
	s_mov_b32 s12, exec_lo
	v_cmpx_ne_u16_e32 0, v2
	s_cbranch_execz .LBB354_2151
; %bb.2144:                             ;   in Loop: Header=BB354_1574 Depth=1
	v_bfrev_b32_e32 v39, 1
	s_mov_b32 s13, exec_lo
	v_cmpx_ne_u16_e32 0x80, v2
	s_cbranch_execz .LBB354_2150
; %bb.2145:                             ;   in Loop: Header=BB354_1574 Depth=1
	v_and_b32_e32 v48, 0xffff, v2
	v_mov_b32_e32 v39, 0x7fc02000
	s_mov_b32 s15, exec_lo
	s_delay_alu instid0(VALU_DEP_2) | instskip(NEXT) | instid1(VALU_DEP_1)
	v_and_b32_e32 v17, 0x7f, v48
	v_cmpx_ne_u32_e32 0x7f, v17
	s_cbranch_execz .LBB354_2149
; %bb.2146:                             ;   in Loop: Header=BB354_1574 Depth=1
	v_and_b32_e32 v2, 7, v48
	v_lshrrev_b32_e32 v39, 3, v17
	v_cmp_gt_u32_e64 s0, 8, v17
	s_delay_alu instid0(VALU_DEP_3) | instskip(NEXT) | instid1(VALU_DEP_2)
	v_dual_mov_b32 v18, v3 :: v_dual_mov_b32 v17, v2
	s_and_saveexec_b32 s16, s0
; %bb.2147:                             ;   in Loop: Header=BB354_1574 Depth=1
	v_clz_i32_u32_e32 v17, v2
	s_delay_alu instid0(VALU_DEP_1) | instskip(NEXT) | instid1(VALU_DEP_1)
	v_min_u32_e32 v39, 32, v17
	v_subrev_nc_u32_e32 v17, 28, v39
	v_sub_nc_u32_e32 v39, 29, v39
	s_delay_alu instid0(VALU_DEP_2) | instskip(NEXT) | instid1(VALU_DEP_1)
	v_lshlrev_b64 v[17:18], v17, v[2:3]
	v_and_b32_e32 v17, 7, v17
; %bb.2148:                             ;   in Loop: Header=BB354_1574 Depth=1
	s_or_b32 exec_lo, exec_lo, s16
	v_lshlrev_b32_e32 v2, 8, v48
	v_lshl_add_u32 v18, v39, 10, 0x2000
	s_delay_alu instid0(VALU_DEP_1) | instskip(NEXT) | instid1(VALU_DEP_1)
	v_and_or_b32 v2, 0x8000, v2, v18
	v_lshl_or_b32 v2, v17, 7, v2
	s_delay_alu instid0(VALU_DEP_1)
	v_cvt_f32_f16_e32 v39, v2
.LBB354_2149:                           ;   in Loop: Header=BB354_1574 Depth=1
	s_or_b32 exec_lo, exec_lo, s15
.LBB354_2150:                           ;   in Loop: Header=BB354_1574 Depth=1
	s_delay_alu instid0(SALU_CYCLE_1)
	s_or_b32 exec_lo, exec_lo, s13
.LBB354_2151:                           ;   in Loop: Header=BB354_1574 Depth=1
	s_delay_alu instid0(SALU_CYCLE_1) | instskip(SKIP_3) | instid1(VALU_DEP_2)
	s_or_b32 exec_lo, exec_lo, s12
	v_lshrrev_b32_e32 v49, 16, v14
	v_mov_b32_e32 v48, 0
	s_mov_b32 s12, exec_lo
	v_dual_mov_b32 v17, 0 :: v_dual_and_b32 v2, 0xff, v49
	s_delay_alu instid0(VALU_DEP_1)
	v_cmpx_ne_u16_e32 0, v2
	s_cbranch_execz .LBB354_2159
; %bb.2152:                             ;   in Loop: Header=BB354_1574 Depth=1
	v_bfrev_b32_e32 v17, 1
	s_mov_b32 s13, exec_lo
	v_cmpx_ne_u16_e32 0x80, v2
	s_cbranch_execz .LBB354_2158
; %bb.2153:                             ;   in Loop: Header=BB354_1574 Depth=1
	v_bfe_u32 v18, v14, 16, 7
	v_mov_b32_e32 v17, 0x7fc02000
	s_mov_b32 s15, exec_lo
	s_delay_alu instid0(VALU_DEP_2)
	v_cmpx_ne_u32_e32 0x7f, v18
	s_cbranch_execz .LBB354_2157
; %bb.2154:                             ;   in Loop: Header=BB354_1574 Depth=1
	v_and_b32_e32 v2, 7, v49
	v_lshrrev_b32_e32 v50, 3, v18
	v_cmp_gt_u32_e64 s0, 8, v18
	s_delay_alu instid0(VALU_DEP_3) | instskip(NEXT) | instid1(VALU_DEP_2)
	v_dual_mov_b32 v18, v3 :: v_dual_mov_b32 v17, v2
	s_and_saveexec_b32 s16, s0
; %bb.2155:                             ;   in Loop: Header=BB354_1574 Depth=1
	v_clz_i32_u32_e32 v17, v2
	s_delay_alu instid0(VALU_DEP_1) | instskip(NEXT) | instid1(VALU_DEP_1)
	v_min_u32_e32 v50, 32, v17
	v_subrev_nc_u32_e32 v17, 28, v50
	v_sub_nc_u32_e32 v50, 29, v50
	s_delay_alu instid0(VALU_DEP_2) | instskip(NEXT) | instid1(VALU_DEP_1)
	v_lshlrev_b64 v[17:18], v17, v[2:3]
	v_and_b32_e32 v17, 7, v17
; %bb.2156:                             ;   in Loop: Header=BB354_1574 Depth=1
	s_or_b32 exec_lo, exec_lo, s16
	v_lshlrev_b32_e32 v2, 8, v49
	v_lshl_add_u32 v18, v50, 10, 0x2000
	s_delay_alu instid0(VALU_DEP_1) | instskip(NEXT) | instid1(VALU_DEP_1)
	v_and_or_b32 v2, 0x8000, v2, v18
	v_lshl_or_b32 v2, v17, 7, v2
	s_delay_alu instid0(VALU_DEP_1)
	v_cvt_f32_f16_e32 v17, v2
.LBB354_2157:                           ;   in Loop: Header=BB354_1574 Depth=1
	s_or_b32 exec_lo, exec_lo, s15
.LBB354_2158:                           ;   in Loop: Header=BB354_1574 Depth=1
	s_delay_alu instid0(SALU_CYCLE_1)
	s_or_b32 exec_lo, exec_lo, s13
.LBB354_2159:                           ;   in Loop: Header=BB354_1574 Depth=1
	s_delay_alu instid0(SALU_CYCLE_1) | instskip(NEXT) | instid1(SALU_CYCLE_1)
	s_or_b32 exec_lo, exec_lo, s12
	s_mov_b32 s12, exec_lo
	v_cmpx_lt_u64_e64 s[8:9], v[13:14]
	s_cbranch_execz .LBB354_2167
; %bb.2160:                             ;   in Loop: Header=BB354_1574 Depth=1
	v_lshrrev_b32_e32 v18, 24, v14
	v_bfrev_b32_e32 v48, 1
	s_mov_b32 s13, exec_lo
	s_delay_alu instid0(VALU_DEP_2)
	v_cmpx_ne_u32_e32 0x80, v18
	s_cbranch_execz .LBB354_2166
; %bb.2161:                             ;   in Loop: Header=BB354_1574 Depth=1
	v_and_b32_e32 v13, 0x7f, v18
	v_mov_b32_e32 v48, 0x7fc02000
	s_mov_b32 s15, exec_lo
	s_delay_alu instid0(VALU_DEP_2)
	v_cmpx_ne_u32_e32 0x7f, v13
	s_cbranch_execz .LBB354_2165
; %bb.2162:                             ;   in Loop: Header=BB354_1574 Depth=1
	v_and_b32_e32 v2, 7, v18
	v_lshrrev_b32_e32 v48, 3, v13
	v_cmp_gt_u32_e64 s0, 8, v13
	s_delay_alu instid0(VALU_DEP_3) | instskip(NEXT) | instid1(VALU_DEP_2)
	v_dual_mov_b32 v14, v3 :: v_dual_mov_b32 v13, v2
	s_and_saveexec_b32 s16, s0
; %bb.2163:                             ;   in Loop: Header=BB354_1574 Depth=1
	v_clz_i32_u32_e32 v13, v2
	s_delay_alu instid0(VALU_DEP_1) | instskip(NEXT) | instid1(VALU_DEP_1)
	v_min_u32_e32 v48, 32, v13
	v_subrev_nc_u32_e32 v13, 28, v48
	v_sub_nc_u32_e32 v48, 29, v48
	s_delay_alu instid0(VALU_DEP_2) | instskip(NEXT) | instid1(VALU_DEP_1)
	v_lshlrev_b64 v[13:14], v13, v[2:3]
	v_and_b32_e32 v13, 7, v13
; %bb.2164:                             ;   in Loop: Header=BB354_1574 Depth=1
	s_or_b32 exec_lo, exec_lo, s16
	v_lshlrev_b32_e32 v2, 8, v18
	v_lshl_add_u32 v14, v48, 10, 0x2000
	s_delay_alu instid0(VALU_DEP_1) | instskip(NEXT) | instid1(VALU_DEP_1)
	v_and_or_b32 v2, 0x8000, v2, v14
	v_lshl_or_b32 v2, v13, 7, v2
	s_delay_alu instid0(VALU_DEP_1)
	v_cvt_f32_f16_e32 v48, v2
.LBB354_2165:                           ;   in Loop: Header=BB354_1574 Depth=1
	s_or_b32 exec_lo, exec_lo, s15
.LBB354_2166:                           ;   in Loop: Header=BB354_1574 Depth=1
	s_delay_alu instid0(SALU_CYCLE_1)
	s_or_b32 exec_lo, exec_lo, s13
.LBB354_2167:                           ;   in Loop: Header=BB354_1574 Depth=1
	s_delay_alu instid0(SALU_CYCLE_1)
	s_or_b32 exec_lo, exec_lo, s12
	s_waitcnt vmcnt(0) lgkmcnt(0)
	v_fma_mixlo_f16 v6, v4, v6, 0
	v_fma_mixlo_f16 v2, v4, v37, 0
	;; [unrolled: 1-line block ×5, first 2 shown]
	v_lshlrev_b32_e32 v14, 16, v6
	v_fma_mixlo_f16 v6, v4, v5, 0
	v_fma_mixlo_f16 v23, v4, v48, 0
	;; [unrolled: 1-line block ×3, first 2 shown]
	v_lshlrev_b32_e32 v2, 16, v2
	v_and_b32_e32 v13, 0xffff, v13
	v_and_b32_e32 v4, 0xffff, v6
	v_lshlrev_b32_e32 v17, 16, v18
	v_and_b32_e32 v18, 0xffff, v22
	v_lshlrev_b32_e32 v22, 16, v23
	v_and_b32_e32 v23, 0xffff, v5
	v_or_b32_e32 v6, v2, v13
	v_or_b32_e32 v13, v14, v4
	;; [unrolled: 1-line block ×3, first 2 shown]
	s_delay_alu instid0(VALU_DEP_4)
	v_or_b32_e32 v4, v22, v23
	s_and_saveexec_b32 s12, vcc_lo
	s_cbranch_execz .LBB354_2169
; %bb.2168:                             ;   in Loop: Header=BB354_1574 Depth=1
	v_cmp_lt_i32_e64 s0, v119, v38
	v_lshrrev_b32_e32 v14, 16, v13
	v_lshrrev_b32_e32 v17, 16, v6
	;; [unrolled: 1-line block ×4, first 2 shown]
	v_cndmask_b32_e64 v13, 0, v13, s0
	v_cmp_lt_i32_e64 s0, v134, v55
	s_delay_alu instid0(VALU_DEP_1) | instskip(SKIP_1) | instid1(VALU_DEP_2)
	v_cndmask_b32_e64 v14, 0, v14, s0
	v_cmp_lt_i32_e64 s0, v133, v55
	v_perm_b32 v13, v14, v13, 0x5040100
	s_delay_alu instid0(VALU_DEP_2) | instskip(SKIP_1) | instid1(VALU_DEP_1)
	v_cndmask_b32_e64 v17, 0, v17, s0
	v_cmp_lt_i32_e64 s0, v132, v38
	v_cndmask_b32_e64 v6, 0, v6, s0
	v_cmp_lt_i32_e64 s0, v131, v55
	s_delay_alu instid0(VALU_DEP_2) | instskip(NEXT) | instid1(VALU_DEP_2)
	v_perm_b32 v6, v17, v6, 0x5040100
	v_cndmask_b32_e64 v18, 0, v18, s0
	v_cmp_lt_i32_e64 s0, v130, v38
	s_delay_alu instid0(VALU_DEP_1) | instskip(SKIP_1) | instid1(VALU_DEP_2)
	v_cndmask_b32_e64 v2, 0, v2, s0
	v_cmp_lt_i32_e64 s0, v129, v55
	v_perm_b32 v2, v18, v2, 0x5040100
	s_delay_alu instid0(VALU_DEP_2) | instskip(SKIP_1) | instid1(VALU_DEP_1)
	v_cndmask_b32_e64 v4, 0, v4, s0
	v_cmp_lt_i32_e64 s0, v128, v38
	v_cndmask_b32_e64 v5, 0, v5, s0
	s_delay_alu instid0(VALU_DEP_1)
	v_perm_b32 v4, v4, v5, 0x5040100
.LBB354_2169:                           ;   in Loop: Header=BB354_1574 Depth=1
	s_or_b32 exec_lo, exec_lo, s12
	;;#ASMSTART
	v_pk_mul_f16 v5, v118, v13;

	;;#ASMEND
	;;#ASMSTART
	v_pk_mul_f16 v6, v117, v6;

	;;#ASMEND
	;;#ASMSTART
	v_pk_mul_f16 v2, v116, v2;

	;;#ASMEND
	;;#ASMSTART
	v_pk_mul_f16 v4, v115, v4;

	;;#ASMEND
	;;#ASMSTART
	v_pk_add_f16 v5, v5, v6;

	;;#ASMEND
	;;#ASMSTART
	v_pk_add_f16 v2, v5, v2;

	;;#ASMEND
	;; [unrolled: 4-line block ×3, first 2 shown]
	v_dual_mov_b32 v5, 0 :: v_dual_and_b32 v4, 0xffff, v2
	v_lshrrev_b32_e32 v2, 16, v2
	;;#ASMSTART
	v_cvt_f32_f16 v165, v4;
	;;#ASMEND
	;;#ASMSTART
	v_cvt_f32_f16 v166, v2;
	;;#ASMEND
	flat_load_b64 v[13:14], v[11:12] offset:2304
	flat_load_b32 v4, v[26:27]
	v_mov_b32_e32 v6, 0
	s_mov_b32 s12, exec_lo
	s_waitcnt vmcnt(1) lgkmcnt(1)
	v_and_b32_e32 v2, 0xff, v13
	s_delay_alu instid0(VALU_DEP_1)
	v_cmpx_ne_u16_e32 0, v2
	s_cbranch_execz .LBB354_2177
; %bb.2170:                             ;   in Loop: Header=BB354_1574 Depth=1
	v_bfrev_b32_e32 v5, 1
	s_mov_b32 s13, exec_lo
	v_cmpx_ne_u16_e32 0x80, v2
	s_cbranch_execz .LBB354_2176
; %bb.2171:                             ;   in Loop: Header=BB354_1574 Depth=1
	v_and_b32_e32 v17, 0x7f, v13
	v_mov_b32_e32 v5, 0x7fc02000
	s_mov_b32 s15, exec_lo
	s_delay_alu instid0(VALU_DEP_2)
	v_cmpx_ne_u32_e32 0x7f, v17
	s_cbranch_execz .LBB354_2175
; %bb.2172:                             ;   in Loop: Header=BB354_1574 Depth=1
	v_lshrrev_b32_e32 v2, 3, v17
	v_cmp_gt_u32_e64 s0, 8, v17
	v_dual_mov_b32 v18, v14 :: v_dual_mov_b32 v17, v13
	s_delay_alu instid0(VALU_DEP_2)
	s_and_saveexec_b32 s16, s0
; %bb.2173:                             ;   in Loop: Header=BB354_1574 Depth=1
	v_and_b32_e32 v2, 7, v13
	s_delay_alu instid0(VALU_DEP_1) | instskip(NEXT) | instid1(VALU_DEP_1)
	v_clz_i32_u32_e32 v2, v2
	v_min_u32_e32 v2, 32, v2
	s_delay_alu instid0(VALU_DEP_1) | instskip(SKIP_1) | instid1(VALU_DEP_2)
	v_subrev_nc_u32_e32 v5, 28, v2
	v_sub_nc_u32_e32 v2, 29, v2
	v_lshlrev_b64 v[17:18], v5, v[13:14]
; %bb.2174:                             ;   in Loop: Header=BB354_1574 Depth=1
	s_or_b32 exec_lo, exec_lo, s16
	v_lshlrev_b32_e32 v5, 8, v13
	s_delay_alu instid0(VALU_DEP_3) | instskip(NEXT) | instid1(VALU_DEP_3)
	v_lshl_add_u32 v2, v2, 10, 0x2000
	v_lshlrev_b32_e32 v17, 7, v17
	s_delay_alu instid0(VALU_DEP_2) | instskip(NEXT) | instid1(VALU_DEP_1)
	v_and_or_b32 v2, 0x8000, v5, v2
	v_and_or_b32 v2, 0x380, v17, v2
	s_delay_alu instid0(VALU_DEP_1)
	v_cvt_f32_f16_e32 v5, v2
.LBB354_2175:                           ;   in Loop: Header=BB354_1574 Depth=1
	s_or_b32 exec_lo, exec_lo, s15
.LBB354_2176:                           ;   in Loop: Header=BB354_1574 Depth=1
	s_delay_alu instid0(SALU_CYCLE_1)
	s_or_b32 exec_lo, exec_lo, s13
.LBB354_2177:                           ;   in Loop: Header=BB354_1574 Depth=1
	s_delay_alu instid0(SALU_CYCLE_1) | instskip(SKIP_2) | instid1(VALU_DEP_1)
	s_or_b32 exec_lo, exec_lo, s12
	v_lshrrev_b16 v2, 8, v13
	s_mov_b32 s12, exec_lo
	v_cmpx_ne_u16_e32 0, v2
	s_cbranch_execz .LBB354_2185
; %bb.2178:                             ;   in Loop: Header=BB354_1574 Depth=1
	v_bfrev_b32_e32 v6, 1
	s_mov_b32 s13, exec_lo
	v_cmpx_ne_u16_e32 0x80, v2
	s_cbranch_execz .LBB354_2184
; %bb.2179:                             ;   in Loop: Header=BB354_1574 Depth=1
	v_and_b32_e32 v22, 0xffff, v2
	v_mov_b32_e32 v6, 0x7fc02000
	s_mov_b32 s15, exec_lo
	s_delay_alu instid0(VALU_DEP_2) | instskip(NEXT) | instid1(VALU_DEP_1)
	v_and_b32_e32 v17, 0x7f, v22
	v_cmpx_ne_u32_e32 0x7f, v17
	s_cbranch_execz .LBB354_2183
; %bb.2180:                             ;   in Loop: Header=BB354_1574 Depth=1
	v_and_b32_e32 v2, 7, v22
	v_lshrrev_b32_e32 v6, 3, v17
	v_cmp_gt_u32_e64 s0, 8, v17
	s_delay_alu instid0(VALU_DEP_3) | instskip(NEXT) | instid1(VALU_DEP_2)
	v_dual_mov_b32 v18, v3 :: v_dual_mov_b32 v17, v2
	s_and_saveexec_b32 s16, s0
; %bb.2181:                             ;   in Loop: Header=BB354_1574 Depth=1
	v_clz_i32_u32_e32 v6, v2
	s_delay_alu instid0(VALU_DEP_1) | instskip(NEXT) | instid1(VALU_DEP_1)
	v_min_u32_e32 v6, 32, v6
	v_subrev_nc_u32_e32 v17, 28, v6
	v_sub_nc_u32_e32 v6, 29, v6
	s_delay_alu instid0(VALU_DEP_2) | instskip(NEXT) | instid1(VALU_DEP_1)
	v_lshlrev_b64 v[17:18], v17, v[2:3]
	v_and_b32_e32 v17, 7, v17
; %bb.2182:                             ;   in Loop: Header=BB354_1574 Depth=1
	s_or_b32 exec_lo, exec_lo, s16
	v_lshlrev_b32_e32 v2, 8, v22
	v_lshl_add_u32 v6, v6, 10, 0x2000
	s_delay_alu instid0(VALU_DEP_1) | instskip(NEXT) | instid1(VALU_DEP_1)
	v_and_or_b32 v2, 0x8000, v2, v6
	v_lshl_or_b32 v2, v17, 7, v2
	s_delay_alu instid0(VALU_DEP_1)
	v_cvt_f32_f16_e32 v6, v2
.LBB354_2183:                           ;   in Loop: Header=BB354_1574 Depth=1
	s_or_b32 exec_lo, exec_lo, s15
.LBB354_2184:                           ;   in Loop: Header=BB354_1574 Depth=1
	s_delay_alu instid0(SALU_CYCLE_1)
	s_or_b32 exec_lo, exec_lo, s13
.LBB354_2185:                           ;   in Loop: Header=BB354_1574 Depth=1
	s_delay_alu instid0(SALU_CYCLE_1) | instskip(SKIP_3) | instid1(VALU_DEP_2)
	s_or_b32 exec_lo, exec_lo, s12
	v_lshrrev_b32_e32 v23, 16, v13
	v_mov_b32_e32 v22, 0
	s_mov_b32 s12, exec_lo
	v_dual_mov_b32 v37, 0 :: v_dual_and_b32 v2, 0xff, v23
	s_delay_alu instid0(VALU_DEP_1)
	v_cmpx_ne_u16_e32 0, v2
	s_cbranch_execz .LBB354_2193
; %bb.2186:                             ;   in Loop: Header=BB354_1574 Depth=1
	v_bfrev_b32_e32 v22, 1
	s_mov_b32 s13, exec_lo
	v_cmpx_ne_u16_e32 0x80, v2
	s_cbranch_execz .LBB354_2192
; %bb.2187:                             ;   in Loop: Header=BB354_1574 Depth=1
	v_bfe_u32 v17, v13, 16, 7
	v_mov_b32_e32 v22, 0x7fc02000
	s_mov_b32 s15, exec_lo
	s_delay_alu instid0(VALU_DEP_2)
	v_cmpx_ne_u32_e32 0x7f, v17
	s_cbranch_execz .LBB354_2191
; %bb.2188:                             ;   in Loop: Header=BB354_1574 Depth=1
	v_and_b32_e32 v2, 7, v23
	v_lshrrev_b32_e32 v22, 3, v17
	v_cmp_gt_u32_e64 s0, 8, v17
	s_delay_alu instid0(VALU_DEP_3) | instskip(NEXT) | instid1(VALU_DEP_2)
	v_dual_mov_b32 v18, v3 :: v_dual_mov_b32 v17, v2
	s_and_saveexec_b32 s16, s0
; %bb.2189:                             ;   in Loop: Header=BB354_1574 Depth=1
	v_clz_i32_u32_e32 v17, v2
	s_delay_alu instid0(VALU_DEP_1) | instskip(NEXT) | instid1(VALU_DEP_1)
	v_min_u32_e32 v22, 32, v17
	v_subrev_nc_u32_e32 v17, 28, v22
	v_sub_nc_u32_e32 v22, 29, v22
	s_delay_alu instid0(VALU_DEP_2) | instskip(NEXT) | instid1(VALU_DEP_1)
	v_lshlrev_b64 v[17:18], v17, v[2:3]
	v_and_b32_e32 v17, 7, v17
; %bb.2190:                             ;   in Loop: Header=BB354_1574 Depth=1
	s_or_b32 exec_lo, exec_lo, s16
	v_lshlrev_b32_e32 v2, 8, v23
	v_lshl_add_u32 v18, v22, 10, 0x2000
	s_delay_alu instid0(VALU_DEP_1) | instskip(NEXT) | instid1(VALU_DEP_1)
	v_and_or_b32 v2, 0x8000, v2, v18
	v_lshl_or_b32 v2, v17, 7, v2
	s_delay_alu instid0(VALU_DEP_1)
	v_cvt_f32_f16_e32 v22, v2
.LBB354_2191:                           ;   in Loop: Header=BB354_1574 Depth=1
	s_or_b32 exec_lo, exec_lo, s15
.LBB354_2192:                           ;   in Loop: Header=BB354_1574 Depth=1
	s_delay_alu instid0(SALU_CYCLE_1)
	s_or_b32 exec_lo, exec_lo, s13
.LBB354_2193:                           ;   in Loop: Header=BB354_1574 Depth=1
	s_delay_alu instid0(SALU_CYCLE_1) | instskip(NEXT) | instid1(SALU_CYCLE_1)
	s_or_b32 exec_lo, exec_lo, s12
	s_mov_b32 s12, exec_lo
	v_cmpx_lt_u32_e32 0xffffff, v13
	s_cbranch_execz .LBB354_2201
; %bb.2194:                             ;   in Loop: Header=BB354_1574 Depth=1
	v_lshrrev_b32_e32 v23, 24, v13
	v_bfrev_b32_e32 v37, 1
	s_mov_b32 s13, exec_lo
	s_delay_alu instid0(VALU_DEP_2)
	v_cmpx_ne_u32_e32 0x80, v23
	s_cbranch_execz .LBB354_2200
; %bb.2195:                             ;   in Loop: Header=BB354_1574 Depth=1
	v_and_b32_e32 v17, 0x7f, v23
	v_mov_b32_e32 v37, 0x7fc02000
	s_mov_b32 s15, exec_lo
	s_delay_alu instid0(VALU_DEP_2)
	v_cmpx_ne_u32_e32 0x7f, v17
	s_cbranch_execz .LBB354_2199
; %bb.2196:                             ;   in Loop: Header=BB354_1574 Depth=1
	v_and_b32_e32 v2, 7, v23
	v_lshrrev_b32_e32 v37, 3, v17
	v_cmp_gt_u32_e64 s0, 8, v17
	s_delay_alu instid0(VALU_DEP_3) | instskip(NEXT) | instid1(VALU_DEP_2)
	v_dual_mov_b32 v18, v3 :: v_dual_mov_b32 v17, v2
	s_and_saveexec_b32 s16, s0
; %bb.2197:                             ;   in Loop: Header=BB354_1574 Depth=1
	v_clz_i32_u32_e32 v17, v2
	s_delay_alu instid0(VALU_DEP_1) | instskip(NEXT) | instid1(VALU_DEP_1)
	v_min_u32_e32 v37, 32, v17
	v_subrev_nc_u32_e32 v17, 28, v37
	v_sub_nc_u32_e32 v37, 29, v37
	s_delay_alu instid0(VALU_DEP_2) | instskip(NEXT) | instid1(VALU_DEP_1)
	v_lshlrev_b64 v[17:18], v17, v[2:3]
	v_and_b32_e32 v17, 7, v17
; %bb.2198:                             ;   in Loop: Header=BB354_1574 Depth=1
	s_or_b32 exec_lo, exec_lo, s16
	v_lshlrev_b32_e32 v2, 8, v23
	v_lshl_add_u32 v18, v37, 10, 0x2000
	s_delay_alu instid0(VALU_DEP_1) | instskip(NEXT) | instid1(VALU_DEP_1)
	v_and_or_b32 v2, 0x8000, v2, v18
	v_lshl_or_b32 v2, v17, 7, v2
	s_delay_alu instid0(VALU_DEP_1)
	v_cvt_f32_f16_e32 v37, v2
.LBB354_2199:                           ;   in Loop: Header=BB354_1574 Depth=1
	s_or_b32 exec_lo, exec_lo, s15
.LBB354_2200:                           ;   in Loop: Header=BB354_1574 Depth=1
	s_delay_alu instid0(SALU_CYCLE_1)
	s_or_b32 exec_lo, exec_lo, s13
.LBB354_2201:                           ;   in Loop: Header=BB354_1574 Depth=1
	s_delay_alu instid0(SALU_CYCLE_1) | instskip(SKIP_4) | instid1(VALU_DEP_3)
	s_or_b32 exec_lo, exec_lo, s12
	v_dual_mov_b32 v2, v14 :: v_dual_and_b32 v17, 0xff, v14
	v_mov_b32_e32 v39, 0
	v_mov_b32_e32 v23, 0
	s_mov_b32 s12, exec_lo
	v_cmpx_ne_u16_e32 0, v17
	s_cbranch_execz .LBB354_2209
; %bb.2202:                             ;   in Loop: Header=BB354_1574 Depth=1
	v_bfrev_b32_e32 v23, 1
	s_mov_b32 s13, exec_lo
	v_cmpx_ne_u16_e32 0x80, v17
	s_cbranch_execz .LBB354_2208
; %bb.2203:                             ;   in Loop: Header=BB354_1574 Depth=1
	v_and_b32_e32 v17, 0x7f, v14
	v_mov_b32_e32 v23, 0x7fc02000
	s_mov_b32 s15, exec_lo
	s_delay_alu instid0(VALU_DEP_2)
	v_cmpx_ne_u32_e32 0x7f, v17
	s_cbranch_execz .LBB354_2207
; %bb.2204:                             ;   in Loop: Header=BB354_1574 Depth=1
	v_lshrrev_b32_e32 v23, 3, v17
	v_cmp_gt_u32_e64 s0, 8, v17
	v_dual_mov_b32 v18, v3 :: v_dual_mov_b32 v17, v2
	s_delay_alu instid0(VALU_DEP_2)
	s_and_saveexec_b32 s16, s0
; %bb.2205:                             ;   in Loop: Header=BB354_1574 Depth=1
	v_and_b32_e32 v17, 7, v14
	s_delay_alu instid0(VALU_DEP_1) | instskip(NEXT) | instid1(VALU_DEP_1)
	v_clz_i32_u32_e32 v17, v17
	v_min_u32_e32 v23, 32, v17
	s_delay_alu instid0(VALU_DEP_1) | instskip(SKIP_1) | instid1(VALU_DEP_2)
	v_subrev_nc_u32_e32 v17, 28, v23
	v_sub_nc_u32_e32 v23, 29, v23
	v_lshlrev_b64 v[17:18], v17, v[2:3]
; %bb.2206:                             ;   in Loop: Header=BB354_1574 Depth=1
	s_or_b32 exec_lo, exec_lo, s16
	v_lshlrev_b32_e32 v18, 8, v14
	s_delay_alu instid0(VALU_DEP_3) | instskip(NEXT) | instid1(VALU_DEP_3)
	v_lshl_add_u32 v23, v23, 10, 0x2000
	v_lshlrev_b32_e32 v17, 7, v17
	s_delay_alu instid0(VALU_DEP_2) | instskip(NEXT) | instid1(VALU_DEP_1)
	v_and_or_b32 v18, 0x8000, v18, v23
	v_and_or_b32 v17, 0x380, v17, v18
	s_delay_alu instid0(VALU_DEP_1)
	v_cvt_f32_f16_e32 v23, v17
.LBB354_2207:                           ;   in Loop: Header=BB354_1574 Depth=1
	s_or_b32 exec_lo, exec_lo, s15
.LBB354_2208:                           ;   in Loop: Header=BB354_1574 Depth=1
	s_delay_alu instid0(SALU_CYCLE_1)
	s_or_b32 exec_lo, exec_lo, s13
.LBB354_2209:                           ;   in Loop: Header=BB354_1574 Depth=1
	s_delay_alu instid0(SALU_CYCLE_1) | instskip(SKIP_2) | instid1(VALU_DEP_1)
	s_or_b32 exec_lo, exec_lo, s12
	v_lshrrev_b16 v2, 8, v2
	s_mov_b32 s12, exec_lo
	v_cmpx_ne_u16_e32 0, v2
	s_cbranch_execz .LBB354_2217
; %bb.2210:                             ;   in Loop: Header=BB354_1574 Depth=1
	v_bfrev_b32_e32 v39, 1
	s_mov_b32 s13, exec_lo
	v_cmpx_ne_u16_e32 0x80, v2
	s_cbranch_execz .LBB354_2216
; %bb.2211:                             ;   in Loop: Header=BB354_1574 Depth=1
	v_and_b32_e32 v48, 0xffff, v2
	v_mov_b32_e32 v39, 0x7fc02000
	s_mov_b32 s15, exec_lo
	s_delay_alu instid0(VALU_DEP_2) | instskip(NEXT) | instid1(VALU_DEP_1)
	v_and_b32_e32 v17, 0x7f, v48
	v_cmpx_ne_u32_e32 0x7f, v17
	s_cbranch_execz .LBB354_2215
; %bb.2212:                             ;   in Loop: Header=BB354_1574 Depth=1
	v_and_b32_e32 v2, 7, v48
	v_lshrrev_b32_e32 v39, 3, v17
	v_cmp_gt_u32_e64 s0, 8, v17
	s_delay_alu instid0(VALU_DEP_3) | instskip(NEXT) | instid1(VALU_DEP_2)
	v_dual_mov_b32 v18, v3 :: v_dual_mov_b32 v17, v2
	s_and_saveexec_b32 s16, s0
; %bb.2213:                             ;   in Loop: Header=BB354_1574 Depth=1
	v_clz_i32_u32_e32 v17, v2
	s_delay_alu instid0(VALU_DEP_1) | instskip(NEXT) | instid1(VALU_DEP_1)
	v_min_u32_e32 v39, 32, v17
	v_subrev_nc_u32_e32 v17, 28, v39
	v_sub_nc_u32_e32 v39, 29, v39
	s_delay_alu instid0(VALU_DEP_2) | instskip(NEXT) | instid1(VALU_DEP_1)
	v_lshlrev_b64 v[17:18], v17, v[2:3]
	v_and_b32_e32 v17, 7, v17
; %bb.2214:                             ;   in Loop: Header=BB354_1574 Depth=1
	s_or_b32 exec_lo, exec_lo, s16
	v_lshlrev_b32_e32 v2, 8, v48
	v_lshl_add_u32 v18, v39, 10, 0x2000
	s_delay_alu instid0(VALU_DEP_1) | instskip(NEXT) | instid1(VALU_DEP_1)
	v_and_or_b32 v2, 0x8000, v2, v18
	v_lshl_or_b32 v2, v17, 7, v2
	s_delay_alu instid0(VALU_DEP_1)
	v_cvt_f32_f16_e32 v39, v2
.LBB354_2215:                           ;   in Loop: Header=BB354_1574 Depth=1
	s_or_b32 exec_lo, exec_lo, s15
.LBB354_2216:                           ;   in Loop: Header=BB354_1574 Depth=1
	s_delay_alu instid0(SALU_CYCLE_1)
	s_or_b32 exec_lo, exec_lo, s13
.LBB354_2217:                           ;   in Loop: Header=BB354_1574 Depth=1
	s_delay_alu instid0(SALU_CYCLE_1) | instskip(SKIP_3) | instid1(VALU_DEP_2)
	s_or_b32 exec_lo, exec_lo, s12
	v_lshrrev_b32_e32 v49, 16, v14
	v_mov_b32_e32 v48, 0
	s_mov_b32 s12, exec_lo
	v_dual_mov_b32 v17, 0 :: v_dual_and_b32 v2, 0xff, v49
	s_delay_alu instid0(VALU_DEP_1)
	v_cmpx_ne_u16_e32 0, v2
	s_cbranch_execz .LBB354_2225
; %bb.2218:                             ;   in Loop: Header=BB354_1574 Depth=1
	v_bfrev_b32_e32 v17, 1
	s_mov_b32 s13, exec_lo
	v_cmpx_ne_u16_e32 0x80, v2
	s_cbranch_execz .LBB354_2224
; %bb.2219:                             ;   in Loop: Header=BB354_1574 Depth=1
	v_bfe_u32 v18, v14, 16, 7
	v_mov_b32_e32 v17, 0x7fc02000
	s_mov_b32 s15, exec_lo
	s_delay_alu instid0(VALU_DEP_2)
	v_cmpx_ne_u32_e32 0x7f, v18
	s_cbranch_execz .LBB354_2223
; %bb.2220:                             ;   in Loop: Header=BB354_1574 Depth=1
	v_and_b32_e32 v2, 7, v49
	v_lshrrev_b32_e32 v50, 3, v18
	v_cmp_gt_u32_e64 s0, 8, v18
	s_delay_alu instid0(VALU_DEP_3) | instskip(NEXT) | instid1(VALU_DEP_2)
	v_dual_mov_b32 v18, v3 :: v_dual_mov_b32 v17, v2
	s_and_saveexec_b32 s16, s0
; %bb.2221:                             ;   in Loop: Header=BB354_1574 Depth=1
	v_clz_i32_u32_e32 v17, v2
	s_delay_alu instid0(VALU_DEP_1) | instskip(NEXT) | instid1(VALU_DEP_1)
	v_min_u32_e32 v50, 32, v17
	v_subrev_nc_u32_e32 v17, 28, v50
	v_sub_nc_u32_e32 v50, 29, v50
	s_delay_alu instid0(VALU_DEP_2) | instskip(NEXT) | instid1(VALU_DEP_1)
	v_lshlrev_b64 v[17:18], v17, v[2:3]
	v_and_b32_e32 v17, 7, v17
; %bb.2222:                             ;   in Loop: Header=BB354_1574 Depth=1
	s_or_b32 exec_lo, exec_lo, s16
	v_lshlrev_b32_e32 v2, 8, v49
	v_lshl_add_u32 v18, v50, 10, 0x2000
	s_delay_alu instid0(VALU_DEP_1) | instskip(NEXT) | instid1(VALU_DEP_1)
	v_and_or_b32 v2, 0x8000, v2, v18
	v_lshl_or_b32 v2, v17, 7, v2
	s_delay_alu instid0(VALU_DEP_1)
	v_cvt_f32_f16_e32 v17, v2
.LBB354_2223:                           ;   in Loop: Header=BB354_1574 Depth=1
	s_or_b32 exec_lo, exec_lo, s15
.LBB354_2224:                           ;   in Loop: Header=BB354_1574 Depth=1
	s_delay_alu instid0(SALU_CYCLE_1)
	s_or_b32 exec_lo, exec_lo, s13
.LBB354_2225:                           ;   in Loop: Header=BB354_1574 Depth=1
	s_delay_alu instid0(SALU_CYCLE_1) | instskip(NEXT) | instid1(SALU_CYCLE_1)
	s_or_b32 exec_lo, exec_lo, s12
	s_mov_b32 s12, exec_lo
	v_cmpx_lt_u64_e64 s[8:9], v[13:14]
	s_cbranch_execz .LBB354_2233
; %bb.2226:                             ;   in Loop: Header=BB354_1574 Depth=1
	v_lshrrev_b32_e32 v18, 24, v14
	v_bfrev_b32_e32 v48, 1
	s_mov_b32 s13, exec_lo
	s_delay_alu instid0(VALU_DEP_2)
	v_cmpx_ne_u32_e32 0x80, v18
	s_cbranch_execz .LBB354_2232
; %bb.2227:                             ;   in Loop: Header=BB354_1574 Depth=1
	v_and_b32_e32 v13, 0x7f, v18
	v_mov_b32_e32 v48, 0x7fc02000
	s_mov_b32 s15, exec_lo
	s_delay_alu instid0(VALU_DEP_2)
	v_cmpx_ne_u32_e32 0x7f, v13
	s_cbranch_execz .LBB354_2231
; %bb.2228:                             ;   in Loop: Header=BB354_1574 Depth=1
	v_and_b32_e32 v2, 7, v18
	v_lshrrev_b32_e32 v48, 3, v13
	v_cmp_gt_u32_e64 s0, 8, v13
	s_delay_alu instid0(VALU_DEP_3) | instskip(NEXT) | instid1(VALU_DEP_2)
	v_dual_mov_b32 v14, v3 :: v_dual_mov_b32 v13, v2
	s_and_saveexec_b32 s16, s0
; %bb.2229:                             ;   in Loop: Header=BB354_1574 Depth=1
	v_clz_i32_u32_e32 v13, v2
	s_delay_alu instid0(VALU_DEP_1) | instskip(NEXT) | instid1(VALU_DEP_1)
	v_min_u32_e32 v48, 32, v13
	v_subrev_nc_u32_e32 v13, 28, v48
	v_sub_nc_u32_e32 v48, 29, v48
	s_delay_alu instid0(VALU_DEP_2) | instskip(NEXT) | instid1(VALU_DEP_1)
	v_lshlrev_b64 v[13:14], v13, v[2:3]
	v_and_b32_e32 v13, 7, v13
; %bb.2230:                             ;   in Loop: Header=BB354_1574 Depth=1
	s_or_b32 exec_lo, exec_lo, s16
	v_lshlrev_b32_e32 v2, 8, v18
	v_lshl_add_u32 v14, v48, 10, 0x2000
	s_delay_alu instid0(VALU_DEP_1) | instskip(NEXT) | instid1(VALU_DEP_1)
	v_and_or_b32 v2, 0x8000, v2, v14
	v_lshl_or_b32 v2, v13, 7, v2
	s_delay_alu instid0(VALU_DEP_1)
	v_cvt_f32_f16_e32 v48, v2
.LBB354_2231:                           ;   in Loop: Header=BB354_1574 Depth=1
	s_or_b32 exec_lo, exec_lo, s15
.LBB354_2232:                           ;   in Loop: Header=BB354_1574 Depth=1
	s_delay_alu instid0(SALU_CYCLE_1)
	s_or_b32 exec_lo, exec_lo, s13
.LBB354_2233:                           ;   in Loop: Header=BB354_1574 Depth=1
	s_delay_alu instid0(SALU_CYCLE_1)
	s_or_b32 exec_lo, exec_lo, s12
	s_waitcnt vmcnt(0) lgkmcnt(0)
	v_fma_mixlo_f16 v6, v4, v6, 0
	v_fma_mixlo_f16 v2, v4, v37, 0
	;; [unrolled: 1-line block ×5, first 2 shown]
	v_lshlrev_b32_e32 v14, 16, v6
	v_fma_mixlo_f16 v6, v4, v5, 0
	v_fma_mixlo_f16 v23, v4, v48, 0
	;; [unrolled: 1-line block ×3, first 2 shown]
	v_lshlrev_b32_e32 v2, 16, v2
	v_and_b32_e32 v13, 0xffff, v13
	v_and_b32_e32 v4, 0xffff, v6
	v_lshlrev_b32_e32 v17, 16, v18
	v_and_b32_e32 v18, 0xffff, v22
	v_lshlrev_b32_e32 v22, 16, v23
	v_and_b32_e32 v23, 0xffff, v5
	v_or_b32_e32 v6, v2, v13
	v_or_b32_e32 v13, v14, v4
	;; [unrolled: 1-line block ×3, first 2 shown]
	s_delay_alu instid0(VALU_DEP_4)
	v_or_b32_e32 v4, v22, v23
	s_and_saveexec_b32 s12, vcc_lo
	s_cbranch_execz .LBB354_2235
; %bb.2234:                             ;   in Loop: Header=BB354_1574 Depth=1
	v_cmp_lt_i32_e64 s0, v119, v38
	v_lshrrev_b32_e32 v14, 16, v13
	v_lshrrev_b32_e32 v17, 16, v6
	;; [unrolled: 1-line block ×4, first 2 shown]
	v_cndmask_b32_e64 v13, 0, v13, s0
	v_cmp_lt_i32_e64 s0, v134, v55
	s_delay_alu instid0(VALU_DEP_1) | instskip(SKIP_1) | instid1(VALU_DEP_2)
	v_cndmask_b32_e64 v14, 0, v14, s0
	v_cmp_lt_i32_e64 s0, v133, v55
	v_perm_b32 v13, v14, v13, 0x5040100
	s_delay_alu instid0(VALU_DEP_2) | instskip(SKIP_1) | instid1(VALU_DEP_1)
	v_cndmask_b32_e64 v17, 0, v17, s0
	v_cmp_lt_i32_e64 s0, v132, v38
	v_cndmask_b32_e64 v6, 0, v6, s0
	v_cmp_lt_i32_e64 s0, v131, v55
	s_delay_alu instid0(VALU_DEP_2) | instskip(NEXT) | instid1(VALU_DEP_2)
	v_perm_b32 v6, v17, v6, 0x5040100
	v_cndmask_b32_e64 v18, 0, v18, s0
	v_cmp_lt_i32_e64 s0, v130, v38
	s_delay_alu instid0(VALU_DEP_1) | instskip(SKIP_1) | instid1(VALU_DEP_2)
	v_cndmask_b32_e64 v2, 0, v2, s0
	v_cmp_lt_i32_e64 s0, v129, v55
	v_perm_b32 v2, v18, v2, 0x5040100
	s_delay_alu instid0(VALU_DEP_2) | instskip(SKIP_1) | instid1(VALU_DEP_1)
	v_cndmask_b32_e64 v4, 0, v4, s0
	v_cmp_lt_i32_e64 s0, v128, v38
	v_cndmask_b32_e64 v5, 0, v5, s0
	s_delay_alu instid0(VALU_DEP_1)
	v_perm_b32 v4, v4, v5, 0x5040100
.LBB354_2235:                           ;   in Loop: Header=BB354_1574 Depth=1
	s_or_b32 exec_lo, exec_lo, s12
	;;#ASMSTART
	v_pk_mul_f16 v5, v118, v13;

	;;#ASMEND
	;;#ASMSTART
	v_pk_mul_f16 v6, v117, v6;

	;;#ASMEND
	;; [unrolled: 4-line block ×4, first 2 shown]
	;;#ASMSTART
	v_pk_add_f16 v5, v5, v6;

	;;#ASMEND
	;;#ASMSTART
	v_pk_add_f16 v2, v5, v2;

	;;#ASMEND
	;; [unrolled: 4-line block ×3, first 2 shown]
	v_dual_mov_b32 v5, 0 :: v_dual_and_b32 v4, 0xffff, v2
	v_lshrrev_b32_e32 v2, 16, v2
	;;#ASMSTART
	v_cvt_f32_f16 v167, v4;
	;;#ASMEND
	;;#ASMSTART
	v_cvt_f32_f16 v176, v2;
	;;#ASMEND
	flat_load_b64 v[13:14], v[11:12] offset:2560
	flat_load_b32 v4, v[26:27]
	v_mov_b32_e32 v6, 0
	s_mov_b32 s12, exec_lo
	s_waitcnt vmcnt(1) lgkmcnt(1)
	v_and_b32_e32 v2, 0xff, v13
	s_delay_alu instid0(VALU_DEP_1)
	v_cmpx_ne_u16_e32 0, v2
	s_cbranch_execz .LBB354_2243
; %bb.2236:                             ;   in Loop: Header=BB354_1574 Depth=1
	v_bfrev_b32_e32 v5, 1
	s_mov_b32 s13, exec_lo
	v_cmpx_ne_u16_e32 0x80, v2
	s_cbranch_execz .LBB354_2242
; %bb.2237:                             ;   in Loop: Header=BB354_1574 Depth=1
	v_and_b32_e32 v17, 0x7f, v13
	v_mov_b32_e32 v5, 0x7fc02000
	s_mov_b32 s15, exec_lo
	s_delay_alu instid0(VALU_DEP_2)
	v_cmpx_ne_u32_e32 0x7f, v17
	s_cbranch_execz .LBB354_2241
; %bb.2238:                             ;   in Loop: Header=BB354_1574 Depth=1
	v_lshrrev_b32_e32 v2, 3, v17
	v_cmp_gt_u32_e64 s0, 8, v17
	v_dual_mov_b32 v18, v14 :: v_dual_mov_b32 v17, v13
	s_delay_alu instid0(VALU_DEP_2)
	s_and_saveexec_b32 s16, s0
; %bb.2239:                             ;   in Loop: Header=BB354_1574 Depth=1
	v_and_b32_e32 v2, 7, v13
	s_delay_alu instid0(VALU_DEP_1) | instskip(NEXT) | instid1(VALU_DEP_1)
	v_clz_i32_u32_e32 v2, v2
	v_min_u32_e32 v2, 32, v2
	s_delay_alu instid0(VALU_DEP_1) | instskip(SKIP_1) | instid1(VALU_DEP_2)
	v_subrev_nc_u32_e32 v5, 28, v2
	v_sub_nc_u32_e32 v2, 29, v2
	v_lshlrev_b64 v[17:18], v5, v[13:14]
; %bb.2240:                             ;   in Loop: Header=BB354_1574 Depth=1
	s_or_b32 exec_lo, exec_lo, s16
	v_lshlrev_b32_e32 v5, 8, v13
	s_delay_alu instid0(VALU_DEP_3) | instskip(NEXT) | instid1(VALU_DEP_3)
	v_lshl_add_u32 v2, v2, 10, 0x2000
	v_lshlrev_b32_e32 v17, 7, v17
	s_delay_alu instid0(VALU_DEP_2) | instskip(NEXT) | instid1(VALU_DEP_1)
	v_and_or_b32 v2, 0x8000, v5, v2
	v_and_or_b32 v2, 0x380, v17, v2
	s_delay_alu instid0(VALU_DEP_1)
	v_cvt_f32_f16_e32 v5, v2
.LBB354_2241:                           ;   in Loop: Header=BB354_1574 Depth=1
	s_or_b32 exec_lo, exec_lo, s15
.LBB354_2242:                           ;   in Loop: Header=BB354_1574 Depth=1
	s_delay_alu instid0(SALU_CYCLE_1)
	s_or_b32 exec_lo, exec_lo, s13
.LBB354_2243:                           ;   in Loop: Header=BB354_1574 Depth=1
	s_delay_alu instid0(SALU_CYCLE_1) | instskip(SKIP_2) | instid1(VALU_DEP_1)
	s_or_b32 exec_lo, exec_lo, s12
	v_lshrrev_b16 v2, 8, v13
	s_mov_b32 s12, exec_lo
	v_cmpx_ne_u16_e32 0, v2
	s_cbranch_execz .LBB354_2251
; %bb.2244:                             ;   in Loop: Header=BB354_1574 Depth=1
	v_bfrev_b32_e32 v6, 1
	s_mov_b32 s13, exec_lo
	v_cmpx_ne_u16_e32 0x80, v2
	s_cbranch_execz .LBB354_2250
; %bb.2245:                             ;   in Loop: Header=BB354_1574 Depth=1
	v_and_b32_e32 v22, 0xffff, v2
	v_mov_b32_e32 v6, 0x7fc02000
	s_mov_b32 s15, exec_lo
	s_delay_alu instid0(VALU_DEP_2) | instskip(NEXT) | instid1(VALU_DEP_1)
	v_and_b32_e32 v17, 0x7f, v22
	v_cmpx_ne_u32_e32 0x7f, v17
	s_cbranch_execz .LBB354_2249
; %bb.2246:                             ;   in Loop: Header=BB354_1574 Depth=1
	v_and_b32_e32 v2, 7, v22
	v_lshrrev_b32_e32 v6, 3, v17
	v_cmp_gt_u32_e64 s0, 8, v17
	s_delay_alu instid0(VALU_DEP_3) | instskip(NEXT) | instid1(VALU_DEP_2)
	v_dual_mov_b32 v18, v3 :: v_dual_mov_b32 v17, v2
	s_and_saveexec_b32 s16, s0
; %bb.2247:                             ;   in Loop: Header=BB354_1574 Depth=1
	v_clz_i32_u32_e32 v6, v2
	s_delay_alu instid0(VALU_DEP_1) | instskip(NEXT) | instid1(VALU_DEP_1)
	v_min_u32_e32 v6, 32, v6
	v_subrev_nc_u32_e32 v17, 28, v6
	v_sub_nc_u32_e32 v6, 29, v6
	s_delay_alu instid0(VALU_DEP_2) | instskip(NEXT) | instid1(VALU_DEP_1)
	v_lshlrev_b64 v[17:18], v17, v[2:3]
	v_and_b32_e32 v17, 7, v17
; %bb.2248:                             ;   in Loop: Header=BB354_1574 Depth=1
	s_or_b32 exec_lo, exec_lo, s16
	v_lshlrev_b32_e32 v2, 8, v22
	v_lshl_add_u32 v6, v6, 10, 0x2000
	s_delay_alu instid0(VALU_DEP_1) | instskip(NEXT) | instid1(VALU_DEP_1)
	v_and_or_b32 v2, 0x8000, v2, v6
	v_lshl_or_b32 v2, v17, 7, v2
	s_delay_alu instid0(VALU_DEP_1)
	v_cvt_f32_f16_e32 v6, v2
.LBB354_2249:                           ;   in Loop: Header=BB354_1574 Depth=1
	s_or_b32 exec_lo, exec_lo, s15
.LBB354_2250:                           ;   in Loop: Header=BB354_1574 Depth=1
	s_delay_alu instid0(SALU_CYCLE_1)
	s_or_b32 exec_lo, exec_lo, s13
.LBB354_2251:                           ;   in Loop: Header=BB354_1574 Depth=1
	s_delay_alu instid0(SALU_CYCLE_1) | instskip(SKIP_3) | instid1(VALU_DEP_2)
	s_or_b32 exec_lo, exec_lo, s12
	v_lshrrev_b32_e32 v23, 16, v13
	v_mov_b32_e32 v22, 0
	s_mov_b32 s12, exec_lo
	v_dual_mov_b32 v37, 0 :: v_dual_and_b32 v2, 0xff, v23
	s_delay_alu instid0(VALU_DEP_1)
	v_cmpx_ne_u16_e32 0, v2
	s_cbranch_execz .LBB354_2259
; %bb.2252:                             ;   in Loop: Header=BB354_1574 Depth=1
	v_bfrev_b32_e32 v22, 1
	s_mov_b32 s13, exec_lo
	v_cmpx_ne_u16_e32 0x80, v2
	s_cbranch_execz .LBB354_2258
; %bb.2253:                             ;   in Loop: Header=BB354_1574 Depth=1
	v_bfe_u32 v17, v13, 16, 7
	v_mov_b32_e32 v22, 0x7fc02000
	s_mov_b32 s15, exec_lo
	s_delay_alu instid0(VALU_DEP_2)
	v_cmpx_ne_u32_e32 0x7f, v17
	s_cbranch_execz .LBB354_2257
; %bb.2254:                             ;   in Loop: Header=BB354_1574 Depth=1
	v_and_b32_e32 v2, 7, v23
	v_lshrrev_b32_e32 v22, 3, v17
	v_cmp_gt_u32_e64 s0, 8, v17
	s_delay_alu instid0(VALU_DEP_3) | instskip(NEXT) | instid1(VALU_DEP_2)
	v_dual_mov_b32 v18, v3 :: v_dual_mov_b32 v17, v2
	s_and_saveexec_b32 s16, s0
; %bb.2255:                             ;   in Loop: Header=BB354_1574 Depth=1
	v_clz_i32_u32_e32 v17, v2
	s_delay_alu instid0(VALU_DEP_1) | instskip(NEXT) | instid1(VALU_DEP_1)
	v_min_u32_e32 v22, 32, v17
	v_subrev_nc_u32_e32 v17, 28, v22
	v_sub_nc_u32_e32 v22, 29, v22
	s_delay_alu instid0(VALU_DEP_2) | instskip(NEXT) | instid1(VALU_DEP_1)
	v_lshlrev_b64 v[17:18], v17, v[2:3]
	v_and_b32_e32 v17, 7, v17
; %bb.2256:                             ;   in Loop: Header=BB354_1574 Depth=1
	s_or_b32 exec_lo, exec_lo, s16
	v_lshlrev_b32_e32 v2, 8, v23
	v_lshl_add_u32 v18, v22, 10, 0x2000
	s_delay_alu instid0(VALU_DEP_1) | instskip(NEXT) | instid1(VALU_DEP_1)
	v_and_or_b32 v2, 0x8000, v2, v18
	v_lshl_or_b32 v2, v17, 7, v2
	s_delay_alu instid0(VALU_DEP_1)
	v_cvt_f32_f16_e32 v22, v2
.LBB354_2257:                           ;   in Loop: Header=BB354_1574 Depth=1
	s_or_b32 exec_lo, exec_lo, s15
.LBB354_2258:                           ;   in Loop: Header=BB354_1574 Depth=1
	s_delay_alu instid0(SALU_CYCLE_1)
	s_or_b32 exec_lo, exec_lo, s13
.LBB354_2259:                           ;   in Loop: Header=BB354_1574 Depth=1
	s_delay_alu instid0(SALU_CYCLE_1) | instskip(NEXT) | instid1(SALU_CYCLE_1)
	s_or_b32 exec_lo, exec_lo, s12
	s_mov_b32 s12, exec_lo
	v_cmpx_lt_u32_e32 0xffffff, v13
	s_cbranch_execz .LBB354_2267
; %bb.2260:                             ;   in Loop: Header=BB354_1574 Depth=1
	v_lshrrev_b32_e32 v23, 24, v13
	v_bfrev_b32_e32 v37, 1
	s_mov_b32 s13, exec_lo
	s_delay_alu instid0(VALU_DEP_2)
	v_cmpx_ne_u32_e32 0x80, v23
	s_cbranch_execz .LBB354_2266
; %bb.2261:                             ;   in Loop: Header=BB354_1574 Depth=1
	v_and_b32_e32 v17, 0x7f, v23
	v_mov_b32_e32 v37, 0x7fc02000
	s_mov_b32 s15, exec_lo
	s_delay_alu instid0(VALU_DEP_2)
	v_cmpx_ne_u32_e32 0x7f, v17
	s_cbranch_execz .LBB354_2265
; %bb.2262:                             ;   in Loop: Header=BB354_1574 Depth=1
	v_and_b32_e32 v2, 7, v23
	v_lshrrev_b32_e32 v37, 3, v17
	v_cmp_gt_u32_e64 s0, 8, v17
	s_delay_alu instid0(VALU_DEP_3) | instskip(NEXT) | instid1(VALU_DEP_2)
	v_dual_mov_b32 v18, v3 :: v_dual_mov_b32 v17, v2
	s_and_saveexec_b32 s16, s0
; %bb.2263:                             ;   in Loop: Header=BB354_1574 Depth=1
	v_clz_i32_u32_e32 v17, v2
	s_delay_alu instid0(VALU_DEP_1) | instskip(NEXT) | instid1(VALU_DEP_1)
	v_min_u32_e32 v37, 32, v17
	v_subrev_nc_u32_e32 v17, 28, v37
	v_sub_nc_u32_e32 v37, 29, v37
	s_delay_alu instid0(VALU_DEP_2) | instskip(NEXT) | instid1(VALU_DEP_1)
	v_lshlrev_b64 v[17:18], v17, v[2:3]
	v_and_b32_e32 v17, 7, v17
; %bb.2264:                             ;   in Loop: Header=BB354_1574 Depth=1
	s_or_b32 exec_lo, exec_lo, s16
	v_lshlrev_b32_e32 v2, 8, v23
	v_lshl_add_u32 v18, v37, 10, 0x2000
	s_delay_alu instid0(VALU_DEP_1) | instskip(NEXT) | instid1(VALU_DEP_1)
	v_and_or_b32 v2, 0x8000, v2, v18
	v_lshl_or_b32 v2, v17, 7, v2
	s_delay_alu instid0(VALU_DEP_1)
	v_cvt_f32_f16_e32 v37, v2
.LBB354_2265:                           ;   in Loop: Header=BB354_1574 Depth=1
	s_or_b32 exec_lo, exec_lo, s15
.LBB354_2266:                           ;   in Loop: Header=BB354_1574 Depth=1
	s_delay_alu instid0(SALU_CYCLE_1)
	s_or_b32 exec_lo, exec_lo, s13
.LBB354_2267:                           ;   in Loop: Header=BB354_1574 Depth=1
	s_delay_alu instid0(SALU_CYCLE_1) | instskip(SKIP_4) | instid1(VALU_DEP_3)
	s_or_b32 exec_lo, exec_lo, s12
	v_dual_mov_b32 v2, v14 :: v_dual_and_b32 v17, 0xff, v14
	v_mov_b32_e32 v39, 0
	v_mov_b32_e32 v23, 0
	s_mov_b32 s12, exec_lo
	v_cmpx_ne_u16_e32 0, v17
	s_cbranch_execz .LBB354_2275
; %bb.2268:                             ;   in Loop: Header=BB354_1574 Depth=1
	v_bfrev_b32_e32 v23, 1
	s_mov_b32 s13, exec_lo
	v_cmpx_ne_u16_e32 0x80, v17
	s_cbranch_execz .LBB354_2274
; %bb.2269:                             ;   in Loop: Header=BB354_1574 Depth=1
	v_and_b32_e32 v17, 0x7f, v14
	v_mov_b32_e32 v23, 0x7fc02000
	s_mov_b32 s15, exec_lo
	s_delay_alu instid0(VALU_DEP_2)
	v_cmpx_ne_u32_e32 0x7f, v17
	s_cbranch_execz .LBB354_2273
; %bb.2270:                             ;   in Loop: Header=BB354_1574 Depth=1
	v_lshrrev_b32_e32 v23, 3, v17
	v_cmp_gt_u32_e64 s0, 8, v17
	v_dual_mov_b32 v18, v3 :: v_dual_mov_b32 v17, v2
	s_delay_alu instid0(VALU_DEP_2)
	s_and_saveexec_b32 s16, s0
; %bb.2271:                             ;   in Loop: Header=BB354_1574 Depth=1
	v_and_b32_e32 v17, 7, v14
	s_delay_alu instid0(VALU_DEP_1) | instskip(NEXT) | instid1(VALU_DEP_1)
	v_clz_i32_u32_e32 v17, v17
	v_min_u32_e32 v23, 32, v17
	s_delay_alu instid0(VALU_DEP_1) | instskip(SKIP_1) | instid1(VALU_DEP_2)
	v_subrev_nc_u32_e32 v17, 28, v23
	v_sub_nc_u32_e32 v23, 29, v23
	v_lshlrev_b64 v[17:18], v17, v[2:3]
; %bb.2272:                             ;   in Loop: Header=BB354_1574 Depth=1
	s_or_b32 exec_lo, exec_lo, s16
	v_lshlrev_b32_e32 v18, 8, v14
	s_delay_alu instid0(VALU_DEP_3) | instskip(NEXT) | instid1(VALU_DEP_3)
	v_lshl_add_u32 v23, v23, 10, 0x2000
	v_lshlrev_b32_e32 v17, 7, v17
	s_delay_alu instid0(VALU_DEP_2) | instskip(NEXT) | instid1(VALU_DEP_1)
	v_and_or_b32 v18, 0x8000, v18, v23
	v_and_or_b32 v17, 0x380, v17, v18
	s_delay_alu instid0(VALU_DEP_1)
	v_cvt_f32_f16_e32 v23, v17
.LBB354_2273:                           ;   in Loop: Header=BB354_1574 Depth=1
	s_or_b32 exec_lo, exec_lo, s15
.LBB354_2274:                           ;   in Loop: Header=BB354_1574 Depth=1
	s_delay_alu instid0(SALU_CYCLE_1)
	s_or_b32 exec_lo, exec_lo, s13
.LBB354_2275:                           ;   in Loop: Header=BB354_1574 Depth=1
	s_delay_alu instid0(SALU_CYCLE_1) | instskip(SKIP_2) | instid1(VALU_DEP_1)
	s_or_b32 exec_lo, exec_lo, s12
	v_lshrrev_b16 v2, 8, v2
	s_mov_b32 s12, exec_lo
	v_cmpx_ne_u16_e32 0, v2
	s_cbranch_execz .LBB354_2283
; %bb.2276:                             ;   in Loop: Header=BB354_1574 Depth=1
	v_bfrev_b32_e32 v39, 1
	s_mov_b32 s13, exec_lo
	v_cmpx_ne_u16_e32 0x80, v2
	s_cbranch_execz .LBB354_2282
; %bb.2277:                             ;   in Loop: Header=BB354_1574 Depth=1
	v_and_b32_e32 v48, 0xffff, v2
	v_mov_b32_e32 v39, 0x7fc02000
	s_mov_b32 s15, exec_lo
	s_delay_alu instid0(VALU_DEP_2) | instskip(NEXT) | instid1(VALU_DEP_1)
	v_and_b32_e32 v17, 0x7f, v48
	v_cmpx_ne_u32_e32 0x7f, v17
	s_cbranch_execz .LBB354_2281
; %bb.2278:                             ;   in Loop: Header=BB354_1574 Depth=1
	v_and_b32_e32 v2, 7, v48
	v_lshrrev_b32_e32 v39, 3, v17
	v_cmp_gt_u32_e64 s0, 8, v17
	s_delay_alu instid0(VALU_DEP_3) | instskip(NEXT) | instid1(VALU_DEP_2)
	v_dual_mov_b32 v18, v3 :: v_dual_mov_b32 v17, v2
	s_and_saveexec_b32 s16, s0
; %bb.2279:                             ;   in Loop: Header=BB354_1574 Depth=1
	v_clz_i32_u32_e32 v17, v2
	s_delay_alu instid0(VALU_DEP_1) | instskip(NEXT) | instid1(VALU_DEP_1)
	v_min_u32_e32 v39, 32, v17
	v_subrev_nc_u32_e32 v17, 28, v39
	v_sub_nc_u32_e32 v39, 29, v39
	s_delay_alu instid0(VALU_DEP_2) | instskip(NEXT) | instid1(VALU_DEP_1)
	v_lshlrev_b64 v[17:18], v17, v[2:3]
	v_and_b32_e32 v17, 7, v17
; %bb.2280:                             ;   in Loop: Header=BB354_1574 Depth=1
	s_or_b32 exec_lo, exec_lo, s16
	v_lshlrev_b32_e32 v2, 8, v48
	v_lshl_add_u32 v18, v39, 10, 0x2000
	s_delay_alu instid0(VALU_DEP_1) | instskip(NEXT) | instid1(VALU_DEP_1)
	v_and_or_b32 v2, 0x8000, v2, v18
	v_lshl_or_b32 v2, v17, 7, v2
	s_delay_alu instid0(VALU_DEP_1)
	v_cvt_f32_f16_e32 v39, v2
.LBB354_2281:                           ;   in Loop: Header=BB354_1574 Depth=1
	s_or_b32 exec_lo, exec_lo, s15
.LBB354_2282:                           ;   in Loop: Header=BB354_1574 Depth=1
	s_delay_alu instid0(SALU_CYCLE_1)
	s_or_b32 exec_lo, exec_lo, s13
.LBB354_2283:                           ;   in Loop: Header=BB354_1574 Depth=1
	s_delay_alu instid0(SALU_CYCLE_1) | instskip(SKIP_3) | instid1(VALU_DEP_2)
	s_or_b32 exec_lo, exec_lo, s12
	v_lshrrev_b32_e32 v49, 16, v14
	v_mov_b32_e32 v48, 0
	s_mov_b32 s12, exec_lo
	v_dual_mov_b32 v17, 0 :: v_dual_and_b32 v2, 0xff, v49
	s_delay_alu instid0(VALU_DEP_1)
	v_cmpx_ne_u16_e32 0, v2
	s_cbranch_execz .LBB354_2291
; %bb.2284:                             ;   in Loop: Header=BB354_1574 Depth=1
	v_bfrev_b32_e32 v17, 1
	s_mov_b32 s13, exec_lo
	v_cmpx_ne_u16_e32 0x80, v2
	s_cbranch_execz .LBB354_2290
; %bb.2285:                             ;   in Loop: Header=BB354_1574 Depth=1
	v_bfe_u32 v18, v14, 16, 7
	v_mov_b32_e32 v17, 0x7fc02000
	s_mov_b32 s15, exec_lo
	s_delay_alu instid0(VALU_DEP_2)
	v_cmpx_ne_u32_e32 0x7f, v18
	s_cbranch_execz .LBB354_2289
; %bb.2286:                             ;   in Loop: Header=BB354_1574 Depth=1
	v_and_b32_e32 v2, 7, v49
	v_lshrrev_b32_e32 v50, 3, v18
	v_cmp_gt_u32_e64 s0, 8, v18
	s_delay_alu instid0(VALU_DEP_3) | instskip(NEXT) | instid1(VALU_DEP_2)
	v_dual_mov_b32 v18, v3 :: v_dual_mov_b32 v17, v2
	s_and_saveexec_b32 s16, s0
; %bb.2287:                             ;   in Loop: Header=BB354_1574 Depth=1
	v_clz_i32_u32_e32 v17, v2
	s_delay_alu instid0(VALU_DEP_1) | instskip(NEXT) | instid1(VALU_DEP_1)
	v_min_u32_e32 v50, 32, v17
	v_subrev_nc_u32_e32 v17, 28, v50
	v_sub_nc_u32_e32 v50, 29, v50
	s_delay_alu instid0(VALU_DEP_2) | instskip(NEXT) | instid1(VALU_DEP_1)
	v_lshlrev_b64 v[17:18], v17, v[2:3]
	v_and_b32_e32 v17, 7, v17
; %bb.2288:                             ;   in Loop: Header=BB354_1574 Depth=1
	s_or_b32 exec_lo, exec_lo, s16
	v_lshlrev_b32_e32 v2, 8, v49
	v_lshl_add_u32 v18, v50, 10, 0x2000
	s_delay_alu instid0(VALU_DEP_1) | instskip(NEXT) | instid1(VALU_DEP_1)
	v_and_or_b32 v2, 0x8000, v2, v18
	v_lshl_or_b32 v2, v17, 7, v2
	s_delay_alu instid0(VALU_DEP_1)
	v_cvt_f32_f16_e32 v17, v2
.LBB354_2289:                           ;   in Loop: Header=BB354_1574 Depth=1
	s_or_b32 exec_lo, exec_lo, s15
.LBB354_2290:                           ;   in Loop: Header=BB354_1574 Depth=1
	s_delay_alu instid0(SALU_CYCLE_1)
	s_or_b32 exec_lo, exec_lo, s13
.LBB354_2291:                           ;   in Loop: Header=BB354_1574 Depth=1
	s_delay_alu instid0(SALU_CYCLE_1) | instskip(NEXT) | instid1(SALU_CYCLE_1)
	s_or_b32 exec_lo, exec_lo, s12
	s_mov_b32 s12, exec_lo
	v_cmpx_lt_u64_e64 s[8:9], v[13:14]
	s_cbranch_execz .LBB354_2299
; %bb.2292:                             ;   in Loop: Header=BB354_1574 Depth=1
	v_lshrrev_b32_e32 v18, 24, v14
	v_bfrev_b32_e32 v48, 1
	s_mov_b32 s13, exec_lo
	s_delay_alu instid0(VALU_DEP_2)
	v_cmpx_ne_u32_e32 0x80, v18
	s_cbranch_execz .LBB354_2298
; %bb.2293:                             ;   in Loop: Header=BB354_1574 Depth=1
	v_and_b32_e32 v13, 0x7f, v18
	v_mov_b32_e32 v48, 0x7fc02000
	s_mov_b32 s15, exec_lo
	s_delay_alu instid0(VALU_DEP_2)
	v_cmpx_ne_u32_e32 0x7f, v13
	s_cbranch_execz .LBB354_2297
; %bb.2294:                             ;   in Loop: Header=BB354_1574 Depth=1
	v_and_b32_e32 v2, 7, v18
	v_lshrrev_b32_e32 v48, 3, v13
	v_cmp_gt_u32_e64 s0, 8, v13
	s_delay_alu instid0(VALU_DEP_3) | instskip(NEXT) | instid1(VALU_DEP_2)
	v_dual_mov_b32 v14, v3 :: v_dual_mov_b32 v13, v2
	s_and_saveexec_b32 s16, s0
; %bb.2295:                             ;   in Loop: Header=BB354_1574 Depth=1
	v_clz_i32_u32_e32 v13, v2
	s_delay_alu instid0(VALU_DEP_1) | instskip(NEXT) | instid1(VALU_DEP_1)
	v_min_u32_e32 v48, 32, v13
	v_subrev_nc_u32_e32 v13, 28, v48
	v_sub_nc_u32_e32 v48, 29, v48
	s_delay_alu instid0(VALU_DEP_2) | instskip(NEXT) | instid1(VALU_DEP_1)
	v_lshlrev_b64 v[13:14], v13, v[2:3]
	v_and_b32_e32 v13, 7, v13
; %bb.2296:                             ;   in Loop: Header=BB354_1574 Depth=1
	s_or_b32 exec_lo, exec_lo, s16
	v_lshlrev_b32_e32 v2, 8, v18
	v_lshl_add_u32 v14, v48, 10, 0x2000
	s_delay_alu instid0(VALU_DEP_1) | instskip(NEXT) | instid1(VALU_DEP_1)
	v_and_or_b32 v2, 0x8000, v2, v14
	v_lshl_or_b32 v2, v13, 7, v2
	s_delay_alu instid0(VALU_DEP_1)
	v_cvt_f32_f16_e32 v48, v2
.LBB354_2297:                           ;   in Loop: Header=BB354_1574 Depth=1
	s_or_b32 exec_lo, exec_lo, s15
.LBB354_2298:                           ;   in Loop: Header=BB354_1574 Depth=1
	s_delay_alu instid0(SALU_CYCLE_1)
	s_or_b32 exec_lo, exec_lo, s13
.LBB354_2299:                           ;   in Loop: Header=BB354_1574 Depth=1
	s_delay_alu instid0(SALU_CYCLE_1)
	s_or_b32 exec_lo, exec_lo, s12
	s_waitcnt vmcnt(0) lgkmcnt(0)
	v_fma_mixlo_f16 v6, v4, v6, 0
	v_fma_mixlo_f16 v2, v4, v37, 0
	;; [unrolled: 1-line block ×5, first 2 shown]
	v_lshlrev_b32_e32 v14, 16, v6
	v_fma_mixlo_f16 v6, v4, v5, 0
	v_fma_mixlo_f16 v23, v4, v48, 0
	;; [unrolled: 1-line block ×3, first 2 shown]
	v_lshlrev_b32_e32 v2, 16, v2
	v_and_b32_e32 v13, 0xffff, v13
	v_and_b32_e32 v4, 0xffff, v6
	v_lshlrev_b32_e32 v17, 16, v18
	v_and_b32_e32 v18, 0xffff, v22
	v_lshlrev_b32_e32 v22, 16, v23
	v_and_b32_e32 v23, 0xffff, v5
	v_or_b32_e32 v6, v2, v13
	v_or_b32_e32 v13, v14, v4
	;; [unrolled: 1-line block ×3, first 2 shown]
	s_delay_alu instid0(VALU_DEP_4)
	v_or_b32_e32 v4, v22, v23
	s_and_saveexec_b32 s12, vcc_lo
	s_cbranch_execz .LBB354_2301
; %bb.2300:                             ;   in Loop: Header=BB354_1574 Depth=1
	v_cmp_lt_i32_e64 s0, v119, v38
	v_lshrrev_b32_e32 v14, 16, v13
	v_lshrrev_b32_e32 v17, 16, v6
	;; [unrolled: 1-line block ×4, first 2 shown]
	v_cndmask_b32_e64 v13, 0, v13, s0
	v_cmp_lt_i32_e64 s0, v134, v55
	s_delay_alu instid0(VALU_DEP_1) | instskip(SKIP_1) | instid1(VALU_DEP_2)
	v_cndmask_b32_e64 v14, 0, v14, s0
	v_cmp_lt_i32_e64 s0, v133, v55
	v_perm_b32 v13, v14, v13, 0x5040100
	s_delay_alu instid0(VALU_DEP_2) | instskip(SKIP_1) | instid1(VALU_DEP_1)
	v_cndmask_b32_e64 v17, 0, v17, s0
	v_cmp_lt_i32_e64 s0, v132, v38
	v_cndmask_b32_e64 v6, 0, v6, s0
	v_cmp_lt_i32_e64 s0, v131, v55
	s_delay_alu instid0(VALU_DEP_2) | instskip(NEXT) | instid1(VALU_DEP_2)
	v_perm_b32 v6, v17, v6, 0x5040100
	v_cndmask_b32_e64 v18, 0, v18, s0
	v_cmp_lt_i32_e64 s0, v130, v38
	s_delay_alu instid0(VALU_DEP_1) | instskip(SKIP_1) | instid1(VALU_DEP_2)
	v_cndmask_b32_e64 v2, 0, v2, s0
	v_cmp_lt_i32_e64 s0, v129, v55
	v_perm_b32 v2, v18, v2, 0x5040100
	s_delay_alu instid0(VALU_DEP_2) | instskip(SKIP_1) | instid1(VALU_DEP_1)
	v_cndmask_b32_e64 v4, 0, v4, s0
	v_cmp_lt_i32_e64 s0, v128, v38
	v_cndmask_b32_e64 v5, 0, v5, s0
	s_delay_alu instid0(VALU_DEP_1)
	v_perm_b32 v4, v4, v5, 0x5040100
.LBB354_2301:                           ;   in Loop: Header=BB354_1574 Depth=1
	s_or_b32 exec_lo, exec_lo, s12
	;;#ASMSTART
	v_pk_mul_f16 v5, v118, v13;

	;;#ASMEND
	;;#ASMSTART
	v_pk_mul_f16 v6, v117, v6;

	;;#ASMEND
	;; [unrolled: 4-line block ×4, first 2 shown]
	;;#ASMSTART
	v_pk_add_f16 v5, v5, v6;

	;;#ASMEND
	;;#ASMSTART
	v_pk_add_f16 v2, v5, v2;

	;;#ASMEND
	;; [unrolled: 4-line block ×3, first 2 shown]
	v_dual_mov_b32 v5, 0 :: v_dual_and_b32 v4, 0xffff, v2
	v_lshrrev_b32_e32 v2, 16, v2
	;;#ASMSTART
	v_cvt_f32_f16 v177, v4;
	;;#ASMEND
	;;#ASMSTART
	v_cvt_f32_f16 v178, v2;
	;;#ASMEND
	flat_load_b64 v[13:14], v[11:12] offset:2816
	flat_load_b32 v4, v[26:27]
	v_mov_b32_e32 v6, 0
	s_mov_b32 s12, exec_lo
	s_waitcnt vmcnt(1) lgkmcnt(1)
	v_and_b32_e32 v2, 0xff, v13
	s_delay_alu instid0(VALU_DEP_1)
	v_cmpx_ne_u16_e32 0, v2
	s_cbranch_execz .LBB354_2309
; %bb.2302:                             ;   in Loop: Header=BB354_1574 Depth=1
	v_bfrev_b32_e32 v5, 1
	s_mov_b32 s13, exec_lo
	v_cmpx_ne_u16_e32 0x80, v2
	s_cbranch_execz .LBB354_2308
; %bb.2303:                             ;   in Loop: Header=BB354_1574 Depth=1
	v_and_b32_e32 v17, 0x7f, v13
	v_mov_b32_e32 v5, 0x7fc02000
	s_mov_b32 s15, exec_lo
	s_delay_alu instid0(VALU_DEP_2)
	v_cmpx_ne_u32_e32 0x7f, v17
	s_cbranch_execz .LBB354_2307
; %bb.2304:                             ;   in Loop: Header=BB354_1574 Depth=1
	v_lshrrev_b32_e32 v2, 3, v17
	v_cmp_gt_u32_e64 s0, 8, v17
	v_dual_mov_b32 v18, v14 :: v_dual_mov_b32 v17, v13
	s_delay_alu instid0(VALU_DEP_2)
	s_and_saveexec_b32 s16, s0
; %bb.2305:                             ;   in Loop: Header=BB354_1574 Depth=1
	v_and_b32_e32 v2, 7, v13
	s_delay_alu instid0(VALU_DEP_1) | instskip(NEXT) | instid1(VALU_DEP_1)
	v_clz_i32_u32_e32 v2, v2
	v_min_u32_e32 v2, 32, v2
	s_delay_alu instid0(VALU_DEP_1) | instskip(SKIP_1) | instid1(VALU_DEP_2)
	v_subrev_nc_u32_e32 v5, 28, v2
	v_sub_nc_u32_e32 v2, 29, v2
	v_lshlrev_b64 v[17:18], v5, v[13:14]
; %bb.2306:                             ;   in Loop: Header=BB354_1574 Depth=1
	s_or_b32 exec_lo, exec_lo, s16
	v_lshlrev_b32_e32 v5, 8, v13
	s_delay_alu instid0(VALU_DEP_3) | instskip(NEXT) | instid1(VALU_DEP_3)
	v_lshl_add_u32 v2, v2, 10, 0x2000
	v_lshlrev_b32_e32 v17, 7, v17
	s_delay_alu instid0(VALU_DEP_2) | instskip(NEXT) | instid1(VALU_DEP_1)
	v_and_or_b32 v2, 0x8000, v5, v2
	v_and_or_b32 v2, 0x380, v17, v2
	s_delay_alu instid0(VALU_DEP_1)
	v_cvt_f32_f16_e32 v5, v2
.LBB354_2307:                           ;   in Loop: Header=BB354_1574 Depth=1
	s_or_b32 exec_lo, exec_lo, s15
.LBB354_2308:                           ;   in Loop: Header=BB354_1574 Depth=1
	s_delay_alu instid0(SALU_CYCLE_1)
	s_or_b32 exec_lo, exec_lo, s13
.LBB354_2309:                           ;   in Loop: Header=BB354_1574 Depth=1
	s_delay_alu instid0(SALU_CYCLE_1) | instskip(SKIP_2) | instid1(VALU_DEP_1)
	s_or_b32 exec_lo, exec_lo, s12
	v_lshrrev_b16 v2, 8, v13
	s_mov_b32 s12, exec_lo
	v_cmpx_ne_u16_e32 0, v2
	s_cbranch_execz .LBB354_2317
; %bb.2310:                             ;   in Loop: Header=BB354_1574 Depth=1
	v_bfrev_b32_e32 v6, 1
	s_mov_b32 s13, exec_lo
	v_cmpx_ne_u16_e32 0x80, v2
	s_cbranch_execz .LBB354_2316
; %bb.2311:                             ;   in Loop: Header=BB354_1574 Depth=1
	v_and_b32_e32 v22, 0xffff, v2
	v_mov_b32_e32 v6, 0x7fc02000
	s_mov_b32 s15, exec_lo
	s_delay_alu instid0(VALU_DEP_2) | instskip(NEXT) | instid1(VALU_DEP_1)
	v_and_b32_e32 v17, 0x7f, v22
	v_cmpx_ne_u32_e32 0x7f, v17
	s_cbranch_execz .LBB354_2315
; %bb.2312:                             ;   in Loop: Header=BB354_1574 Depth=1
	v_and_b32_e32 v2, 7, v22
	v_lshrrev_b32_e32 v6, 3, v17
	v_cmp_gt_u32_e64 s0, 8, v17
	s_delay_alu instid0(VALU_DEP_3) | instskip(NEXT) | instid1(VALU_DEP_2)
	v_dual_mov_b32 v18, v3 :: v_dual_mov_b32 v17, v2
	s_and_saveexec_b32 s16, s0
; %bb.2313:                             ;   in Loop: Header=BB354_1574 Depth=1
	v_clz_i32_u32_e32 v6, v2
	s_delay_alu instid0(VALU_DEP_1) | instskip(NEXT) | instid1(VALU_DEP_1)
	v_min_u32_e32 v6, 32, v6
	v_subrev_nc_u32_e32 v17, 28, v6
	v_sub_nc_u32_e32 v6, 29, v6
	s_delay_alu instid0(VALU_DEP_2) | instskip(NEXT) | instid1(VALU_DEP_1)
	v_lshlrev_b64 v[17:18], v17, v[2:3]
	v_and_b32_e32 v17, 7, v17
; %bb.2314:                             ;   in Loop: Header=BB354_1574 Depth=1
	s_or_b32 exec_lo, exec_lo, s16
	v_lshlrev_b32_e32 v2, 8, v22
	v_lshl_add_u32 v6, v6, 10, 0x2000
	s_delay_alu instid0(VALU_DEP_1) | instskip(NEXT) | instid1(VALU_DEP_1)
	v_and_or_b32 v2, 0x8000, v2, v6
	v_lshl_or_b32 v2, v17, 7, v2
	s_delay_alu instid0(VALU_DEP_1)
	v_cvt_f32_f16_e32 v6, v2
.LBB354_2315:                           ;   in Loop: Header=BB354_1574 Depth=1
	s_or_b32 exec_lo, exec_lo, s15
.LBB354_2316:                           ;   in Loop: Header=BB354_1574 Depth=1
	s_delay_alu instid0(SALU_CYCLE_1)
	s_or_b32 exec_lo, exec_lo, s13
.LBB354_2317:                           ;   in Loop: Header=BB354_1574 Depth=1
	s_delay_alu instid0(SALU_CYCLE_1) | instskip(SKIP_3) | instid1(VALU_DEP_2)
	s_or_b32 exec_lo, exec_lo, s12
	v_lshrrev_b32_e32 v23, 16, v13
	v_mov_b32_e32 v22, 0
	s_mov_b32 s12, exec_lo
	v_dual_mov_b32 v37, 0 :: v_dual_and_b32 v2, 0xff, v23
	s_delay_alu instid0(VALU_DEP_1)
	v_cmpx_ne_u16_e32 0, v2
	s_cbranch_execz .LBB354_2325
; %bb.2318:                             ;   in Loop: Header=BB354_1574 Depth=1
	v_bfrev_b32_e32 v22, 1
	s_mov_b32 s13, exec_lo
	v_cmpx_ne_u16_e32 0x80, v2
	s_cbranch_execz .LBB354_2324
; %bb.2319:                             ;   in Loop: Header=BB354_1574 Depth=1
	v_bfe_u32 v17, v13, 16, 7
	v_mov_b32_e32 v22, 0x7fc02000
	s_mov_b32 s15, exec_lo
	s_delay_alu instid0(VALU_DEP_2)
	v_cmpx_ne_u32_e32 0x7f, v17
	s_cbranch_execz .LBB354_2323
; %bb.2320:                             ;   in Loop: Header=BB354_1574 Depth=1
	v_and_b32_e32 v2, 7, v23
	v_lshrrev_b32_e32 v22, 3, v17
	v_cmp_gt_u32_e64 s0, 8, v17
	s_delay_alu instid0(VALU_DEP_3) | instskip(NEXT) | instid1(VALU_DEP_2)
	v_dual_mov_b32 v18, v3 :: v_dual_mov_b32 v17, v2
	s_and_saveexec_b32 s16, s0
; %bb.2321:                             ;   in Loop: Header=BB354_1574 Depth=1
	v_clz_i32_u32_e32 v17, v2
	s_delay_alu instid0(VALU_DEP_1) | instskip(NEXT) | instid1(VALU_DEP_1)
	v_min_u32_e32 v22, 32, v17
	v_subrev_nc_u32_e32 v17, 28, v22
	v_sub_nc_u32_e32 v22, 29, v22
	s_delay_alu instid0(VALU_DEP_2) | instskip(NEXT) | instid1(VALU_DEP_1)
	v_lshlrev_b64 v[17:18], v17, v[2:3]
	v_and_b32_e32 v17, 7, v17
; %bb.2322:                             ;   in Loop: Header=BB354_1574 Depth=1
	s_or_b32 exec_lo, exec_lo, s16
	v_lshlrev_b32_e32 v2, 8, v23
	v_lshl_add_u32 v18, v22, 10, 0x2000
	s_delay_alu instid0(VALU_DEP_1) | instskip(NEXT) | instid1(VALU_DEP_1)
	v_and_or_b32 v2, 0x8000, v2, v18
	v_lshl_or_b32 v2, v17, 7, v2
	s_delay_alu instid0(VALU_DEP_1)
	v_cvt_f32_f16_e32 v22, v2
.LBB354_2323:                           ;   in Loop: Header=BB354_1574 Depth=1
	s_or_b32 exec_lo, exec_lo, s15
.LBB354_2324:                           ;   in Loop: Header=BB354_1574 Depth=1
	s_delay_alu instid0(SALU_CYCLE_1)
	s_or_b32 exec_lo, exec_lo, s13
.LBB354_2325:                           ;   in Loop: Header=BB354_1574 Depth=1
	s_delay_alu instid0(SALU_CYCLE_1) | instskip(NEXT) | instid1(SALU_CYCLE_1)
	s_or_b32 exec_lo, exec_lo, s12
	s_mov_b32 s12, exec_lo
	v_cmpx_lt_u32_e32 0xffffff, v13
	s_cbranch_execz .LBB354_2333
; %bb.2326:                             ;   in Loop: Header=BB354_1574 Depth=1
	v_lshrrev_b32_e32 v23, 24, v13
	v_bfrev_b32_e32 v37, 1
	s_mov_b32 s13, exec_lo
	s_delay_alu instid0(VALU_DEP_2)
	v_cmpx_ne_u32_e32 0x80, v23
	s_cbranch_execz .LBB354_2332
; %bb.2327:                             ;   in Loop: Header=BB354_1574 Depth=1
	v_and_b32_e32 v17, 0x7f, v23
	v_mov_b32_e32 v37, 0x7fc02000
	s_mov_b32 s15, exec_lo
	s_delay_alu instid0(VALU_DEP_2)
	v_cmpx_ne_u32_e32 0x7f, v17
	s_cbranch_execz .LBB354_2331
; %bb.2328:                             ;   in Loop: Header=BB354_1574 Depth=1
	v_and_b32_e32 v2, 7, v23
	v_lshrrev_b32_e32 v37, 3, v17
	v_cmp_gt_u32_e64 s0, 8, v17
	s_delay_alu instid0(VALU_DEP_3) | instskip(NEXT) | instid1(VALU_DEP_2)
	v_dual_mov_b32 v18, v3 :: v_dual_mov_b32 v17, v2
	s_and_saveexec_b32 s16, s0
; %bb.2329:                             ;   in Loop: Header=BB354_1574 Depth=1
	v_clz_i32_u32_e32 v17, v2
	s_delay_alu instid0(VALU_DEP_1) | instskip(NEXT) | instid1(VALU_DEP_1)
	v_min_u32_e32 v37, 32, v17
	v_subrev_nc_u32_e32 v17, 28, v37
	v_sub_nc_u32_e32 v37, 29, v37
	s_delay_alu instid0(VALU_DEP_2) | instskip(NEXT) | instid1(VALU_DEP_1)
	v_lshlrev_b64 v[17:18], v17, v[2:3]
	v_and_b32_e32 v17, 7, v17
; %bb.2330:                             ;   in Loop: Header=BB354_1574 Depth=1
	s_or_b32 exec_lo, exec_lo, s16
	v_lshlrev_b32_e32 v2, 8, v23
	v_lshl_add_u32 v18, v37, 10, 0x2000
	s_delay_alu instid0(VALU_DEP_1) | instskip(NEXT) | instid1(VALU_DEP_1)
	v_and_or_b32 v2, 0x8000, v2, v18
	v_lshl_or_b32 v2, v17, 7, v2
	s_delay_alu instid0(VALU_DEP_1)
	v_cvt_f32_f16_e32 v37, v2
.LBB354_2331:                           ;   in Loop: Header=BB354_1574 Depth=1
	s_or_b32 exec_lo, exec_lo, s15
.LBB354_2332:                           ;   in Loop: Header=BB354_1574 Depth=1
	s_delay_alu instid0(SALU_CYCLE_1)
	s_or_b32 exec_lo, exec_lo, s13
.LBB354_2333:                           ;   in Loop: Header=BB354_1574 Depth=1
	s_delay_alu instid0(SALU_CYCLE_1) | instskip(SKIP_4) | instid1(VALU_DEP_3)
	s_or_b32 exec_lo, exec_lo, s12
	v_dual_mov_b32 v2, v14 :: v_dual_and_b32 v17, 0xff, v14
	v_mov_b32_e32 v39, 0
	v_mov_b32_e32 v23, 0
	s_mov_b32 s12, exec_lo
	v_cmpx_ne_u16_e32 0, v17
	s_cbranch_execz .LBB354_2341
; %bb.2334:                             ;   in Loop: Header=BB354_1574 Depth=1
	v_bfrev_b32_e32 v23, 1
	s_mov_b32 s13, exec_lo
	v_cmpx_ne_u16_e32 0x80, v17
	s_cbranch_execz .LBB354_2340
; %bb.2335:                             ;   in Loop: Header=BB354_1574 Depth=1
	v_and_b32_e32 v17, 0x7f, v14
	v_mov_b32_e32 v23, 0x7fc02000
	s_mov_b32 s15, exec_lo
	s_delay_alu instid0(VALU_DEP_2)
	v_cmpx_ne_u32_e32 0x7f, v17
	s_cbranch_execz .LBB354_2339
; %bb.2336:                             ;   in Loop: Header=BB354_1574 Depth=1
	v_lshrrev_b32_e32 v23, 3, v17
	v_cmp_gt_u32_e64 s0, 8, v17
	v_dual_mov_b32 v18, v3 :: v_dual_mov_b32 v17, v2
	s_delay_alu instid0(VALU_DEP_2)
	s_and_saveexec_b32 s16, s0
; %bb.2337:                             ;   in Loop: Header=BB354_1574 Depth=1
	v_and_b32_e32 v17, 7, v14
	s_delay_alu instid0(VALU_DEP_1) | instskip(NEXT) | instid1(VALU_DEP_1)
	v_clz_i32_u32_e32 v17, v17
	v_min_u32_e32 v23, 32, v17
	s_delay_alu instid0(VALU_DEP_1) | instskip(SKIP_1) | instid1(VALU_DEP_2)
	v_subrev_nc_u32_e32 v17, 28, v23
	v_sub_nc_u32_e32 v23, 29, v23
	v_lshlrev_b64 v[17:18], v17, v[2:3]
; %bb.2338:                             ;   in Loop: Header=BB354_1574 Depth=1
	s_or_b32 exec_lo, exec_lo, s16
	v_lshlrev_b32_e32 v18, 8, v14
	s_delay_alu instid0(VALU_DEP_3) | instskip(NEXT) | instid1(VALU_DEP_3)
	v_lshl_add_u32 v23, v23, 10, 0x2000
	v_lshlrev_b32_e32 v17, 7, v17
	s_delay_alu instid0(VALU_DEP_2) | instskip(NEXT) | instid1(VALU_DEP_1)
	v_and_or_b32 v18, 0x8000, v18, v23
	v_and_or_b32 v17, 0x380, v17, v18
	s_delay_alu instid0(VALU_DEP_1)
	v_cvt_f32_f16_e32 v23, v17
.LBB354_2339:                           ;   in Loop: Header=BB354_1574 Depth=1
	s_or_b32 exec_lo, exec_lo, s15
.LBB354_2340:                           ;   in Loop: Header=BB354_1574 Depth=1
	s_delay_alu instid0(SALU_CYCLE_1)
	s_or_b32 exec_lo, exec_lo, s13
.LBB354_2341:                           ;   in Loop: Header=BB354_1574 Depth=1
	s_delay_alu instid0(SALU_CYCLE_1) | instskip(SKIP_2) | instid1(VALU_DEP_1)
	s_or_b32 exec_lo, exec_lo, s12
	v_lshrrev_b16 v2, 8, v2
	s_mov_b32 s12, exec_lo
	v_cmpx_ne_u16_e32 0, v2
	s_cbranch_execz .LBB354_2349
; %bb.2342:                             ;   in Loop: Header=BB354_1574 Depth=1
	v_bfrev_b32_e32 v39, 1
	s_mov_b32 s13, exec_lo
	v_cmpx_ne_u16_e32 0x80, v2
	s_cbranch_execz .LBB354_2348
; %bb.2343:                             ;   in Loop: Header=BB354_1574 Depth=1
	v_and_b32_e32 v48, 0xffff, v2
	v_mov_b32_e32 v39, 0x7fc02000
	s_mov_b32 s15, exec_lo
	s_delay_alu instid0(VALU_DEP_2) | instskip(NEXT) | instid1(VALU_DEP_1)
	v_and_b32_e32 v17, 0x7f, v48
	v_cmpx_ne_u32_e32 0x7f, v17
	s_cbranch_execz .LBB354_2347
; %bb.2344:                             ;   in Loop: Header=BB354_1574 Depth=1
	v_and_b32_e32 v2, 7, v48
	v_lshrrev_b32_e32 v39, 3, v17
	v_cmp_gt_u32_e64 s0, 8, v17
	s_delay_alu instid0(VALU_DEP_3) | instskip(NEXT) | instid1(VALU_DEP_2)
	v_dual_mov_b32 v18, v3 :: v_dual_mov_b32 v17, v2
	s_and_saveexec_b32 s16, s0
; %bb.2345:                             ;   in Loop: Header=BB354_1574 Depth=1
	v_clz_i32_u32_e32 v17, v2
	s_delay_alu instid0(VALU_DEP_1) | instskip(NEXT) | instid1(VALU_DEP_1)
	v_min_u32_e32 v39, 32, v17
	v_subrev_nc_u32_e32 v17, 28, v39
	v_sub_nc_u32_e32 v39, 29, v39
	s_delay_alu instid0(VALU_DEP_2) | instskip(NEXT) | instid1(VALU_DEP_1)
	v_lshlrev_b64 v[17:18], v17, v[2:3]
	v_and_b32_e32 v17, 7, v17
; %bb.2346:                             ;   in Loop: Header=BB354_1574 Depth=1
	s_or_b32 exec_lo, exec_lo, s16
	v_lshlrev_b32_e32 v2, 8, v48
	v_lshl_add_u32 v18, v39, 10, 0x2000
	s_delay_alu instid0(VALU_DEP_1) | instskip(NEXT) | instid1(VALU_DEP_1)
	v_and_or_b32 v2, 0x8000, v2, v18
	v_lshl_or_b32 v2, v17, 7, v2
	s_delay_alu instid0(VALU_DEP_1)
	v_cvt_f32_f16_e32 v39, v2
.LBB354_2347:                           ;   in Loop: Header=BB354_1574 Depth=1
	s_or_b32 exec_lo, exec_lo, s15
.LBB354_2348:                           ;   in Loop: Header=BB354_1574 Depth=1
	s_delay_alu instid0(SALU_CYCLE_1)
	s_or_b32 exec_lo, exec_lo, s13
.LBB354_2349:                           ;   in Loop: Header=BB354_1574 Depth=1
	s_delay_alu instid0(SALU_CYCLE_1) | instskip(SKIP_3) | instid1(VALU_DEP_2)
	s_or_b32 exec_lo, exec_lo, s12
	v_lshrrev_b32_e32 v49, 16, v14
	v_mov_b32_e32 v48, 0
	s_mov_b32 s12, exec_lo
	v_dual_mov_b32 v17, 0 :: v_dual_and_b32 v2, 0xff, v49
	s_delay_alu instid0(VALU_DEP_1)
	v_cmpx_ne_u16_e32 0, v2
	s_cbranch_execz .LBB354_2357
; %bb.2350:                             ;   in Loop: Header=BB354_1574 Depth=1
	v_bfrev_b32_e32 v17, 1
	s_mov_b32 s13, exec_lo
	v_cmpx_ne_u16_e32 0x80, v2
	s_cbranch_execz .LBB354_2356
; %bb.2351:                             ;   in Loop: Header=BB354_1574 Depth=1
	v_bfe_u32 v18, v14, 16, 7
	v_mov_b32_e32 v17, 0x7fc02000
	s_mov_b32 s15, exec_lo
	s_delay_alu instid0(VALU_DEP_2)
	v_cmpx_ne_u32_e32 0x7f, v18
	s_cbranch_execz .LBB354_2355
; %bb.2352:                             ;   in Loop: Header=BB354_1574 Depth=1
	v_and_b32_e32 v2, 7, v49
	v_lshrrev_b32_e32 v50, 3, v18
	v_cmp_gt_u32_e64 s0, 8, v18
	s_delay_alu instid0(VALU_DEP_3) | instskip(NEXT) | instid1(VALU_DEP_2)
	v_dual_mov_b32 v18, v3 :: v_dual_mov_b32 v17, v2
	s_and_saveexec_b32 s16, s0
; %bb.2353:                             ;   in Loop: Header=BB354_1574 Depth=1
	v_clz_i32_u32_e32 v17, v2
	s_delay_alu instid0(VALU_DEP_1) | instskip(NEXT) | instid1(VALU_DEP_1)
	v_min_u32_e32 v50, 32, v17
	v_subrev_nc_u32_e32 v17, 28, v50
	v_sub_nc_u32_e32 v50, 29, v50
	s_delay_alu instid0(VALU_DEP_2) | instskip(NEXT) | instid1(VALU_DEP_1)
	v_lshlrev_b64 v[17:18], v17, v[2:3]
	v_and_b32_e32 v17, 7, v17
; %bb.2354:                             ;   in Loop: Header=BB354_1574 Depth=1
	s_or_b32 exec_lo, exec_lo, s16
	v_lshlrev_b32_e32 v2, 8, v49
	v_lshl_add_u32 v18, v50, 10, 0x2000
	s_delay_alu instid0(VALU_DEP_1) | instskip(NEXT) | instid1(VALU_DEP_1)
	v_and_or_b32 v2, 0x8000, v2, v18
	v_lshl_or_b32 v2, v17, 7, v2
	s_delay_alu instid0(VALU_DEP_1)
	v_cvt_f32_f16_e32 v17, v2
.LBB354_2355:                           ;   in Loop: Header=BB354_1574 Depth=1
	s_or_b32 exec_lo, exec_lo, s15
.LBB354_2356:                           ;   in Loop: Header=BB354_1574 Depth=1
	s_delay_alu instid0(SALU_CYCLE_1)
	s_or_b32 exec_lo, exec_lo, s13
.LBB354_2357:                           ;   in Loop: Header=BB354_1574 Depth=1
	s_delay_alu instid0(SALU_CYCLE_1) | instskip(NEXT) | instid1(SALU_CYCLE_1)
	s_or_b32 exec_lo, exec_lo, s12
	s_mov_b32 s12, exec_lo
	v_cmpx_lt_u64_e64 s[8:9], v[13:14]
	s_cbranch_execz .LBB354_2365
; %bb.2358:                             ;   in Loop: Header=BB354_1574 Depth=1
	v_lshrrev_b32_e32 v18, 24, v14
	v_bfrev_b32_e32 v48, 1
	s_mov_b32 s13, exec_lo
	s_delay_alu instid0(VALU_DEP_2)
	v_cmpx_ne_u32_e32 0x80, v18
	s_cbranch_execz .LBB354_2364
; %bb.2359:                             ;   in Loop: Header=BB354_1574 Depth=1
	v_and_b32_e32 v13, 0x7f, v18
	v_mov_b32_e32 v48, 0x7fc02000
	s_mov_b32 s15, exec_lo
	s_delay_alu instid0(VALU_DEP_2)
	v_cmpx_ne_u32_e32 0x7f, v13
	s_cbranch_execz .LBB354_2363
; %bb.2360:                             ;   in Loop: Header=BB354_1574 Depth=1
	v_and_b32_e32 v2, 7, v18
	v_lshrrev_b32_e32 v48, 3, v13
	v_cmp_gt_u32_e64 s0, 8, v13
	s_delay_alu instid0(VALU_DEP_3) | instskip(NEXT) | instid1(VALU_DEP_2)
	v_dual_mov_b32 v14, v3 :: v_dual_mov_b32 v13, v2
	s_and_saveexec_b32 s16, s0
; %bb.2361:                             ;   in Loop: Header=BB354_1574 Depth=1
	v_clz_i32_u32_e32 v13, v2
	s_delay_alu instid0(VALU_DEP_1) | instskip(NEXT) | instid1(VALU_DEP_1)
	v_min_u32_e32 v48, 32, v13
	v_subrev_nc_u32_e32 v13, 28, v48
	v_sub_nc_u32_e32 v48, 29, v48
	s_delay_alu instid0(VALU_DEP_2) | instskip(NEXT) | instid1(VALU_DEP_1)
	v_lshlrev_b64 v[13:14], v13, v[2:3]
	v_and_b32_e32 v13, 7, v13
; %bb.2362:                             ;   in Loop: Header=BB354_1574 Depth=1
	s_or_b32 exec_lo, exec_lo, s16
	v_lshlrev_b32_e32 v2, 8, v18
	v_lshl_add_u32 v14, v48, 10, 0x2000
	s_delay_alu instid0(VALU_DEP_1) | instskip(NEXT) | instid1(VALU_DEP_1)
	v_and_or_b32 v2, 0x8000, v2, v14
	v_lshl_or_b32 v2, v13, 7, v2
	s_delay_alu instid0(VALU_DEP_1)
	v_cvt_f32_f16_e32 v48, v2
.LBB354_2363:                           ;   in Loop: Header=BB354_1574 Depth=1
	s_or_b32 exec_lo, exec_lo, s15
.LBB354_2364:                           ;   in Loop: Header=BB354_1574 Depth=1
	s_delay_alu instid0(SALU_CYCLE_1)
	s_or_b32 exec_lo, exec_lo, s13
.LBB354_2365:                           ;   in Loop: Header=BB354_1574 Depth=1
	s_delay_alu instid0(SALU_CYCLE_1)
	s_or_b32 exec_lo, exec_lo, s12
	s_waitcnt vmcnt(0) lgkmcnt(0)
	v_fma_mixlo_f16 v6, v4, v6, 0
	v_fma_mixlo_f16 v2, v4, v37, 0
	v_fma_mixlo_f16 v13, v4, v22, 0
	v_fma_mixlo_f16 v18, v4, v39, 0
	v_fma_mixlo_f16 v22, v4, v23, 0
	v_lshlrev_b32_e32 v14, 16, v6
	v_fma_mixlo_f16 v6, v4, v5, 0
	v_fma_mixlo_f16 v23, v4, v48, 0
	;; [unrolled: 1-line block ×3, first 2 shown]
	v_lshlrev_b32_e32 v2, 16, v2
	v_and_b32_e32 v13, 0xffff, v13
	v_and_b32_e32 v4, 0xffff, v6
	v_lshlrev_b32_e32 v17, 16, v18
	v_and_b32_e32 v18, 0xffff, v22
	v_lshlrev_b32_e32 v22, 16, v23
	v_and_b32_e32 v23, 0xffff, v5
	v_or_b32_e32 v6, v2, v13
	v_or_b32_e32 v13, v14, v4
	;; [unrolled: 1-line block ×3, first 2 shown]
	s_delay_alu instid0(VALU_DEP_4)
	v_or_b32_e32 v4, v22, v23
	s_and_saveexec_b32 s12, vcc_lo
	s_cbranch_execz .LBB354_2367
; %bb.2366:                             ;   in Loop: Header=BB354_1574 Depth=1
	v_cmp_lt_i32_e64 s0, v119, v38
	v_lshrrev_b32_e32 v14, 16, v13
	v_lshrrev_b32_e32 v17, 16, v6
	;; [unrolled: 1-line block ×4, first 2 shown]
	v_cndmask_b32_e64 v13, 0, v13, s0
	v_cmp_lt_i32_e64 s0, v134, v55
	s_delay_alu instid0(VALU_DEP_1) | instskip(SKIP_1) | instid1(VALU_DEP_2)
	v_cndmask_b32_e64 v14, 0, v14, s0
	v_cmp_lt_i32_e64 s0, v133, v55
	v_perm_b32 v13, v14, v13, 0x5040100
	s_delay_alu instid0(VALU_DEP_2) | instskip(SKIP_1) | instid1(VALU_DEP_1)
	v_cndmask_b32_e64 v17, 0, v17, s0
	v_cmp_lt_i32_e64 s0, v132, v38
	v_cndmask_b32_e64 v6, 0, v6, s0
	v_cmp_lt_i32_e64 s0, v131, v55
	s_delay_alu instid0(VALU_DEP_2) | instskip(NEXT) | instid1(VALU_DEP_2)
	v_perm_b32 v6, v17, v6, 0x5040100
	v_cndmask_b32_e64 v18, 0, v18, s0
	v_cmp_lt_i32_e64 s0, v130, v38
	s_delay_alu instid0(VALU_DEP_1) | instskip(SKIP_1) | instid1(VALU_DEP_2)
	v_cndmask_b32_e64 v2, 0, v2, s0
	v_cmp_lt_i32_e64 s0, v129, v55
	v_perm_b32 v2, v18, v2, 0x5040100
	s_delay_alu instid0(VALU_DEP_2) | instskip(SKIP_1) | instid1(VALU_DEP_1)
	v_cndmask_b32_e64 v4, 0, v4, s0
	v_cmp_lt_i32_e64 s0, v128, v38
	v_cndmask_b32_e64 v5, 0, v5, s0
	s_delay_alu instid0(VALU_DEP_1)
	v_perm_b32 v4, v4, v5, 0x5040100
.LBB354_2367:                           ;   in Loop: Header=BB354_1574 Depth=1
	s_or_b32 exec_lo, exec_lo, s12
	;;#ASMSTART
	v_pk_mul_f16 v5, v118, v13;

	;;#ASMEND
	;;#ASMSTART
	v_pk_mul_f16 v6, v117, v6;

	;;#ASMEND
	;; [unrolled: 4-line block ×4, first 2 shown]
	;;#ASMSTART
	v_pk_add_f16 v5, v5, v6;

	;;#ASMEND
	;;#ASMSTART
	v_pk_add_f16 v2, v5, v2;

	;;#ASMEND
	;; [unrolled: 4-line block ×3, first 2 shown]
	v_dual_mov_b32 v5, 0 :: v_dual_and_b32 v4, 0xffff, v2
	v_lshrrev_b32_e32 v2, 16, v2
	;;#ASMSTART
	v_cvt_f32_f16 v179, v4;
	;;#ASMEND
	;;#ASMSTART
	v_cvt_f32_f16 v180, v2;
	;;#ASMEND
	flat_load_b64 v[13:14], v[11:12] offset:3072
	flat_load_b32 v4, v[26:27]
	v_mov_b32_e32 v6, 0
	s_mov_b32 s12, exec_lo
	s_waitcnt vmcnt(1) lgkmcnt(1)
	v_and_b32_e32 v2, 0xff, v13
	s_delay_alu instid0(VALU_DEP_1)
	v_cmpx_ne_u16_e32 0, v2
	s_cbranch_execz .LBB354_2375
; %bb.2368:                             ;   in Loop: Header=BB354_1574 Depth=1
	v_bfrev_b32_e32 v5, 1
	s_mov_b32 s13, exec_lo
	v_cmpx_ne_u16_e32 0x80, v2
	s_cbranch_execz .LBB354_2374
; %bb.2369:                             ;   in Loop: Header=BB354_1574 Depth=1
	v_and_b32_e32 v17, 0x7f, v13
	v_mov_b32_e32 v5, 0x7fc02000
	s_mov_b32 s15, exec_lo
	s_delay_alu instid0(VALU_DEP_2)
	v_cmpx_ne_u32_e32 0x7f, v17
	s_cbranch_execz .LBB354_2373
; %bb.2370:                             ;   in Loop: Header=BB354_1574 Depth=1
	v_lshrrev_b32_e32 v2, 3, v17
	v_cmp_gt_u32_e64 s0, 8, v17
	v_dual_mov_b32 v18, v14 :: v_dual_mov_b32 v17, v13
	s_delay_alu instid0(VALU_DEP_2)
	s_and_saveexec_b32 s16, s0
; %bb.2371:                             ;   in Loop: Header=BB354_1574 Depth=1
	v_and_b32_e32 v2, 7, v13
	s_delay_alu instid0(VALU_DEP_1) | instskip(NEXT) | instid1(VALU_DEP_1)
	v_clz_i32_u32_e32 v2, v2
	v_min_u32_e32 v2, 32, v2
	s_delay_alu instid0(VALU_DEP_1) | instskip(SKIP_1) | instid1(VALU_DEP_2)
	v_subrev_nc_u32_e32 v5, 28, v2
	v_sub_nc_u32_e32 v2, 29, v2
	v_lshlrev_b64 v[17:18], v5, v[13:14]
; %bb.2372:                             ;   in Loop: Header=BB354_1574 Depth=1
	s_or_b32 exec_lo, exec_lo, s16
	v_lshlrev_b32_e32 v5, 8, v13
	s_delay_alu instid0(VALU_DEP_3) | instskip(NEXT) | instid1(VALU_DEP_3)
	v_lshl_add_u32 v2, v2, 10, 0x2000
	v_lshlrev_b32_e32 v17, 7, v17
	s_delay_alu instid0(VALU_DEP_2) | instskip(NEXT) | instid1(VALU_DEP_1)
	v_and_or_b32 v2, 0x8000, v5, v2
	v_and_or_b32 v2, 0x380, v17, v2
	s_delay_alu instid0(VALU_DEP_1)
	v_cvt_f32_f16_e32 v5, v2
.LBB354_2373:                           ;   in Loop: Header=BB354_1574 Depth=1
	s_or_b32 exec_lo, exec_lo, s15
.LBB354_2374:                           ;   in Loop: Header=BB354_1574 Depth=1
	s_delay_alu instid0(SALU_CYCLE_1)
	s_or_b32 exec_lo, exec_lo, s13
.LBB354_2375:                           ;   in Loop: Header=BB354_1574 Depth=1
	s_delay_alu instid0(SALU_CYCLE_1) | instskip(SKIP_2) | instid1(VALU_DEP_1)
	s_or_b32 exec_lo, exec_lo, s12
	v_lshrrev_b16 v2, 8, v13
	s_mov_b32 s12, exec_lo
	v_cmpx_ne_u16_e32 0, v2
	s_cbranch_execz .LBB354_2383
; %bb.2376:                             ;   in Loop: Header=BB354_1574 Depth=1
	v_bfrev_b32_e32 v6, 1
	s_mov_b32 s13, exec_lo
	v_cmpx_ne_u16_e32 0x80, v2
	s_cbranch_execz .LBB354_2382
; %bb.2377:                             ;   in Loop: Header=BB354_1574 Depth=1
	v_and_b32_e32 v22, 0xffff, v2
	v_mov_b32_e32 v6, 0x7fc02000
	s_mov_b32 s15, exec_lo
	s_delay_alu instid0(VALU_DEP_2) | instskip(NEXT) | instid1(VALU_DEP_1)
	v_and_b32_e32 v17, 0x7f, v22
	v_cmpx_ne_u32_e32 0x7f, v17
	s_cbranch_execz .LBB354_2381
; %bb.2378:                             ;   in Loop: Header=BB354_1574 Depth=1
	v_and_b32_e32 v2, 7, v22
	v_lshrrev_b32_e32 v6, 3, v17
	v_cmp_gt_u32_e64 s0, 8, v17
	s_delay_alu instid0(VALU_DEP_3) | instskip(NEXT) | instid1(VALU_DEP_2)
	v_dual_mov_b32 v18, v3 :: v_dual_mov_b32 v17, v2
	s_and_saveexec_b32 s16, s0
; %bb.2379:                             ;   in Loop: Header=BB354_1574 Depth=1
	v_clz_i32_u32_e32 v6, v2
	s_delay_alu instid0(VALU_DEP_1) | instskip(NEXT) | instid1(VALU_DEP_1)
	v_min_u32_e32 v6, 32, v6
	v_subrev_nc_u32_e32 v17, 28, v6
	v_sub_nc_u32_e32 v6, 29, v6
	s_delay_alu instid0(VALU_DEP_2) | instskip(NEXT) | instid1(VALU_DEP_1)
	v_lshlrev_b64 v[17:18], v17, v[2:3]
	v_and_b32_e32 v17, 7, v17
; %bb.2380:                             ;   in Loop: Header=BB354_1574 Depth=1
	s_or_b32 exec_lo, exec_lo, s16
	v_lshlrev_b32_e32 v2, 8, v22
	v_lshl_add_u32 v6, v6, 10, 0x2000
	s_delay_alu instid0(VALU_DEP_1) | instskip(NEXT) | instid1(VALU_DEP_1)
	v_and_or_b32 v2, 0x8000, v2, v6
	v_lshl_or_b32 v2, v17, 7, v2
	s_delay_alu instid0(VALU_DEP_1)
	v_cvt_f32_f16_e32 v6, v2
.LBB354_2381:                           ;   in Loop: Header=BB354_1574 Depth=1
	s_or_b32 exec_lo, exec_lo, s15
.LBB354_2382:                           ;   in Loop: Header=BB354_1574 Depth=1
	s_delay_alu instid0(SALU_CYCLE_1)
	s_or_b32 exec_lo, exec_lo, s13
.LBB354_2383:                           ;   in Loop: Header=BB354_1574 Depth=1
	s_delay_alu instid0(SALU_CYCLE_1) | instskip(SKIP_3) | instid1(VALU_DEP_2)
	s_or_b32 exec_lo, exec_lo, s12
	v_lshrrev_b32_e32 v23, 16, v13
	v_mov_b32_e32 v22, 0
	s_mov_b32 s12, exec_lo
	v_dual_mov_b32 v37, 0 :: v_dual_and_b32 v2, 0xff, v23
	s_delay_alu instid0(VALU_DEP_1)
	v_cmpx_ne_u16_e32 0, v2
	s_cbranch_execz .LBB354_2391
; %bb.2384:                             ;   in Loop: Header=BB354_1574 Depth=1
	v_bfrev_b32_e32 v22, 1
	s_mov_b32 s13, exec_lo
	v_cmpx_ne_u16_e32 0x80, v2
	s_cbranch_execz .LBB354_2390
; %bb.2385:                             ;   in Loop: Header=BB354_1574 Depth=1
	v_bfe_u32 v17, v13, 16, 7
	v_mov_b32_e32 v22, 0x7fc02000
	s_mov_b32 s15, exec_lo
	s_delay_alu instid0(VALU_DEP_2)
	v_cmpx_ne_u32_e32 0x7f, v17
	s_cbranch_execz .LBB354_2389
; %bb.2386:                             ;   in Loop: Header=BB354_1574 Depth=1
	v_and_b32_e32 v2, 7, v23
	v_lshrrev_b32_e32 v22, 3, v17
	v_cmp_gt_u32_e64 s0, 8, v17
	s_delay_alu instid0(VALU_DEP_3) | instskip(NEXT) | instid1(VALU_DEP_2)
	v_dual_mov_b32 v18, v3 :: v_dual_mov_b32 v17, v2
	s_and_saveexec_b32 s16, s0
; %bb.2387:                             ;   in Loop: Header=BB354_1574 Depth=1
	v_clz_i32_u32_e32 v17, v2
	s_delay_alu instid0(VALU_DEP_1) | instskip(NEXT) | instid1(VALU_DEP_1)
	v_min_u32_e32 v22, 32, v17
	v_subrev_nc_u32_e32 v17, 28, v22
	v_sub_nc_u32_e32 v22, 29, v22
	s_delay_alu instid0(VALU_DEP_2) | instskip(NEXT) | instid1(VALU_DEP_1)
	v_lshlrev_b64 v[17:18], v17, v[2:3]
	v_and_b32_e32 v17, 7, v17
; %bb.2388:                             ;   in Loop: Header=BB354_1574 Depth=1
	s_or_b32 exec_lo, exec_lo, s16
	v_lshlrev_b32_e32 v2, 8, v23
	v_lshl_add_u32 v18, v22, 10, 0x2000
	s_delay_alu instid0(VALU_DEP_1) | instskip(NEXT) | instid1(VALU_DEP_1)
	v_and_or_b32 v2, 0x8000, v2, v18
	v_lshl_or_b32 v2, v17, 7, v2
	s_delay_alu instid0(VALU_DEP_1)
	v_cvt_f32_f16_e32 v22, v2
.LBB354_2389:                           ;   in Loop: Header=BB354_1574 Depth=1
	s_or_b32 exec_lo, exec_lo, s15
.LBB354_2390:                           ;   in Loop: Header=BB354_1574 Depth=1
	s_delay_alu instid0(SALU_CYCLE_1)
	s_or_b32 exec_lo, exec_lo, s13
.LBB354_2391:                           ;   in Loop: Header=BB354_1574 Depth=1
	s_delay_alu instid0(SALU_CYCLE_1) | instskip(NEXT) | instid1(SALU_CYCLE_1)
	s_or_b32 exec_lo, exec_lo, s12
	s_mov_b32 s12, exec_lo
	v_cmpx_lt_u32_e32 0xffffff, v13
	s_cbranch_execz .LBB354_2399
; %bb.2392:                             ;   in Loop: Header=BB354_1574 Depth=1
	v_lshrrev_b32_e32 v23, 24, v13
	v_bfrev_b32_e32 v37, 1
	s_mov_b32 s13, exec_lo
	s_delay_alu instid0(VALU_DEP_2)
	v_cmpx_ne_u32_e32 0x80, v23
	s_cbranch_execz .LBB354_2398
; %bb.2393:                             ;   in Loop: Header=BB354_1574 Depth=1
	v_and_b32_e32 v17, 0x7f, v23
	v_mov_b32_e32 v37, 0x7fc02000
	s_mov_b32 s15, exec_lo
	s_delay_alu instid0(VALU_DEP_2)
	v_cmpx_ne_u32_e32 0x7f, v17
	s_cbranch_execz .LBB354_2397
; %bb.2394:                             ;   in Loop: Header=BB354_1574 Depth=1
	v_and_b32_e32 v2, 7, v23
	v_lshrrev_b32_e32 v37, 3, v17
	v_cmp_gt_u32_e64 s0, 8, v17
	s_delay_alu instid0(VALU_DEP_3) | instskip(NEXT) | instid1(VALU_DEP_2)
	v_dual_mov_b32 v18, v3 :: v_dual_mov_b32 v17, v2
	s_and_saveexec_b32 s16, s0
; %bb.2395:                             ;   in Loop: Header=BB354_1574 Depth=1
	v_clz_i32_u32_e32 v17, v2
	s_delay_alu instid0(VALU_DEP_1) | instskip(NEXT) | instid1(VALU_DEP_1)
	v_min_u32_e32 v37, 32, v17
	v_subrev_nc_u32_e32 v17, 28, v37
	v_sub_nc_u32_e32 v37, 29, v37
	s_delay_alu instid0(VALU_DEP_2) | instskip(NEXT) | instid1(VALU_DEP_1)
	v_lshlrev_b64 v[17:18], v17, v[2:3]
	v_and_b32_e32 v17, 7, v17
; %bb.2396:                             ;   in Loop: Header=BB354_1574 Depth=1
	s_or_b32 exec_lo, exec_lo, s16
	v_lshlrev_b32_e32 v2, 8, v23
	v_lshl_add_u32 v18, v37, 10, 0x2000
	s_delay_alu instid0(VALU_DEP_1) | instskip(NEXT) | instid1(VALU_DEP_1)
	v_and_or_b32 v2, 0x8000, v2, v18
	v_lshl_or_b32 v2, v17, 7, v2
	s_delay_alu instid0(VALU_DEP_1)
	v_cvt_f32_f16_e32 v37, v2
.LBB354_2397:                           ;   in Loop: Header=BB354_1574 Depth=1
	s_or_b32 exec_lo, exec_lo, s15
.LBB354_2398:                           ;   in Loop: Header=BB354_1574 Depth=1
	s_delay_alu instid0(SALU_CYCLE_1)
	s_or_b32 exec_lo, exec_lo, s13
.LBB354_2399:                           ;   in Loop: Header=BB354_1574 Depth=1
	s_delay_alu instid0(SALU_CYCLE_1) | instskip(SKIP_4) | instid1(VALU_DEP_3)
	s_or_b32 exec_lo, exec_lo, s12
	v_dual_mov_b32 v2, v14 :: v_dual_and_b32 v17, 0xff, v14
	v_mov_b32_e32 v39, 0
	v_mov_b32_e32 v23, 0
	s_mov_b32 s12, exec_lo
	v_cmpx_ne_u16_e32 0, v17
	s_cbranch_execz .LBB354_2407
; %bb.2400:                             ;   in Loop: Header=BB354_1574 Depth=1
	v_bfrev_b32_e32 v23, 1
	s_mov_b32 s13, exec_lo
	v_cmpx_ne_u16_e32 0x80, v17
	s_cbranch_execz .LBB354_2406
; %bb.2401:                             ;   in Loop: Header=BB354_1574 Depth=1
	v_and_b32_e32 v17, 0x7f, v14
	v_mov_b32_e32 v23, 0x7fc02000
	s_mov_b32 s15, exec_lo
	s_delay_alu instid0(VALU_DEP_2)
	v_cmpx_ne_u32_e32 0x7f, v17
	s_cbranch_execz .LBB354_2405
; %bb.2402:                             ;   in Loop: Header=BB354_1574 Depth=1
	v_lshrrev_b32_e32 v23, 3, v17
	v_cmp_gt_u32_e64 s0, 8, v17
	v_dual_mov_b32 v18, v3 :: v_dual_mov_b32 v17, v2
	s_delay_alu instid0(VALU_DEP_2)
	s_and_saveexec_b32 s16, s0
; %bb.2403:                             ;   in Loop: Header=BB354_1574 Depth=1
	v_and_b32_e32 v17, 7, v14
	s_delay_alu instid0(VALU_DEP_1) | instskip(NEXT) | instid1(VALU_DEP_1)
	v_clz_i32_u32_e32 v17, v17
	v_min_u32_e32 v23, 32, v17
	s_delay_alu instid0(VALU_DEP_1) | instskip(SKIP_1) | instid1(VALU_DEP_2)
	v_subrev_nc_u32_e32 v17, 28, v23
	v_sub_nc_u32_e32 v23, 29, v23
	v_lshlrev_b64 v[17:18], v17, v[2:3]
; %bb.2404:                             ;   in Loop: Header=BB354_1574 Depth=1
	s_or_b32 exec_lo, exec_lo, s16
	v_lshlrev_b32_e32 v18, 8, v14
	s_delay_alu instid0(VALU_DEP_3) | instskip(NEXT) | instid1(VALU_DEP_3)
	v_lshl_add_u32 v23, v23, 10, 0x2000
	v_lshlrev_b32_e32 v17, 7, v17
	s_delay_alu instid0(VALU_DEP_2) | instskip(NEXT) | instid1(VALU_DEP_1)
	v_and_or_b32 v18, 0x8000, v18, v23
	v_and_or_b32 v17, 0x380, v17, v18
	s_delay_alu instid0(VALU_DEP_1)
	v_cvt_f32_f16_e32 v23, v17
.LBB354_2405:                           ;   in Loop: Header=BB354_1574 Depth=1
	s_or_b32 exec_lo, exec_lo, s15
.LBB354_2406:                           ;   in Loop: Header=BB354_1574 Depth=1
	s_delay_alu instid0(SALU_CYCLE_1)
	s_or_b32 exec_lo, exec_lo, s13
.LBB354_2407:                           ;   in Loop: Header=BB354_1574 Depth=1
	s_delay_alu instid0(SALU_CYCLE_1) | instskip(SKIP_2) | instid1(VALU_DEP_1)
	s_or_b32 exec_lo, exec_lo, s12
	v_lshrrev_b16 v2, 8, v2
	s_mov_b32 s12, exec_lo
	v_cmpx_ne_u16_e32 0, v2
	s_cbranch_execz .LBB354_2415
; %bb.2408:                             ;   in Loop: Header=BB354_1574 Depth=1
	v_bfrev_b32_e32 v39, 1
	s_mov_b32 s13, exec_lo
	v_cmpx_ne_u16_e32 0x80, v2
	s_cbranch_execz .LBB354_2414
; %bb.2409:                             ;   in Loop: Header=BB354_1574 Depth=1
	v_and_b32_e32 v48, 0xffff, v2
	v_mov_b32_e32 v39, 0x7fc02000
	s_mov_b32 s15, exec_lo
	s_delay_alu instid0(VALU_DEP_2) | instskip(NEXT) | instid1(VALU_DEP_1)
	v_and_b32_e32 v17, 0x7f, v48
	v_cmpx_ne_u32_e32 0x7f, v17
	s_cbranch_execz .LBB354_2413
; %bb.2410:                             ;   in Loop: Header=BB354_1574 Depth=1
	v_and_b32_e32 v2, 7, v48
	v_lshrrev_b32_e32 v39, 3, v17
	v_cmp_gt_u32_e64 s0, 8, v17
	s_delay_alu instid0(VALU_DEP_3) | instskip(NEXT) | instid1(VALU_DEP_2)
	v_dual_mov_b32 v18, v3 :: v_dual_mov_b32 v17, v2
	s_and_saveexec_b32 s16, s0
; %bb.2411:                             ;   in Loop: Header=BB354_1574 Depth=1
	v_clz_i32_u32_e32 v17, v2
	s_delay_alu instid0(VALU_DEP_1) | instskip(NEXT) | instid1(VALU_DEP_1)
	v_min_u32_e32 v39, 32, v17
	v_subrev_nc_u32_e32 v17, 28, v39
	v_sub_nc_u32_e32 v39, 29, v39
	s_delay_alu instid0(VALU_DEP_2) | instskip(NEXT) | instid1(VALU_DEP_1)
	v_lshlrev_b64 v[17:18], v17, v[2:3]
	v_and_b32_e32 v17, 7, v17
; %bb.2412:                             ;   in Loop: Header=BB354_1574 Depth=1
	s_or_b32 exec_lo, exec_lo, s16
	v_lshlrev_b32_e32 v2, 8, v48
	v_lshl_add_u32 v18, v39, 10, 0x2000
	s_delay_alu instid0(VALU_DEP_1) | instskip(NEXT) | instid1(VALU_DEP_1)
	v_and_or_b32 v2, 0x8000, v2, v18
	v_lshl_or_b32 v2, v17, 7, v2
	s_delay_alu instid0(VALU_DEP_1)
	v_cvt_f32_f16_e32 v39, v2
.LBB354_2413:                           ;   in Loop: Header=BB354_1574 Depth=1
	s_or_b32 exec_lo, exec_lo, s15
.LBB354_2414:                           ;   in Loop: Header=BB354_1574 Depth=1
	s_delay_alu instid0(SALU_CYCLE_1)
	s_or_b32 exec_lo, exec_lo, s13
.LBB354_2415:                           ;   in Loop: Header=BB354_1574 Depth=1
	s_delay_alu instid0(SALU_CYCLE_1) | instskip(SKIP_3) | instid1(VALU_DEP_2)
	s_or_b32 exec_lo, exec_lo, s12
	v_lshrrev_b32_e32 v49, 16, v14
	v_mov_b32_e32 v48, 0
	s_mov_b32 s12, exec_lo
	v_dual_mov_b32 v17, 0 :: v_dual_and_b32 v2, 0xff, v49
	s_delay_alu instid0(VALU_DEP_1)
	v_cmpx_ne_u16_e32 0, v2
	s_cbranch_execz .LBB354_2423
; %bb.2416:                             ;   in Loop: Header=BB354_1574 Depth=1
	v_bfrev_b32_e32 v17, 1
	s_mov_b32 s13, exec_lo
	v_cmpx_ne_u16_e32 0x80, v2
	s_cbranch_execz .LBB354_2422
; %bb.2417:                             ;   in Loop: Header=BB354_1574 Depth=1
	v_bfe_u32 v18, v14, 16, 7
	v_mov_b32_e32 v17, 0x7fc02000
	s_mov_b32 s15, exec_lo
	s_delay_alu instid0(VALU_DEP_2)
	v_cmpx_ne_u32_e32 0x7f, v18
	s_cbranch_execz .LBB354_2421
; %bb.2418:                             ;   in Loop: Header=BB354_1574 Depth=1
	v_and_b32_e32 v2, 7, v49
	v_lshrrev_b32_e32 v50, 3, v18
	v_cmp_gt_u32_e64 s0, 8, v18
	s_delay_alu instid0(VALU_DEP_3) | instskip(NEXT) | instid1(VALU_DEP_2)
	v_dual_mov_b32 v18, v3 :: v_dual_mov_b32 v17, v2
	s_and_saveexec_b32 s16, s0
; %bb.2419:                             ;   in Loop: Header=BB354_1574 Depth=1
	v_clz_i32_u32_e32 v17, v2
	s_delay_alu instid0(VALU_DEP_1) | instskip(NEXT) | instid1(VALU_DEP_1)
	v_min_u32_e32 v50, 32, v17
	v_subrev_nc_u32_e32 v17, 28, v50
	v_sub_nc_u32_e32 v50, 29, v50
	s_delay_alu instid0(VALU_DEP_2) | instskip(NEXT) | instid1(VALU_DEP_1)
	v_lshlrev_b64 v[17:18], v17, v[2:3]
	v_and_b32_e32 v17, 7, v17
; %bb.2420:                             ;   in Loop: Header=BB354_1574 Depth=1
	s_or_b32 exec_lo, exec_lo, s16
	v_lshlrev_b32_e32 v2, 8, v49
	v_lshl_add_u32 v18, v50, 10, 0x2000
	s_delay_alu instid0(VALU_DEP_1) | instskip(NEXT) | instid1(VALU_DEP_1)
	v_and_or_b32 v2, 0x8000, v2, v18
	v_lshl_or_b32 v2, v17, 7, v2
	s_delay_alu instid0(VALU_DEP_1)
	v_cvt_f32_f16_e32 v17, v2
.LBB354_2421:                           ;   in Loop: Header=BB354_1574 Depth=1
	s_or_b32 exec_lo, exec_lo, s15
.LBB354_2422:                           ;   in Loop: Header=BB354_1574 Depth=1
	s_delay_alu instid0(SALU_CYCLE_1)
	s_or_b32 exec_lo, exec_lo, s13
.LBB354_2423:                           ;   in Loop: Header=BB354_1574 Depth=1
	s_delay_alu instid0(SALU_CYCLE_1) | instskip(NEXT) | instid1(SALU_CYCLE_1)
	s_or_b32 exec_lo, exec_lo, s12
	s_mov_b32 s12, exec_lo
	v_cmpx_lt_u64_e64 s[8:9], v[13:14]
	s_cbranch_execz .LBB354_2431
; %bb.2424:                             ;   in Loop: Header=BB354_1574 Depth=1
	v_lshrrev_b32_e32 v18, 24, v14
	v_bfrev_b32_e32 v48, 1
	s_mov_b32 s13, exec_lo
	s_delay_alu instid0(VALU_DEP_2)
	v_cmpx_ne_u32_e32 0x80, v18
	s_cbranch_execz .LBB354_2430
; %bb.2425:                             ;   in Loop: Header=BB354_1574 Depth=1
	v_and_b32_e32 v49, 0x7f, v18
	v_mov_b32_e32 v48, 0x7fc02000
	s_mov_b32 s15, exec_lo
	s_delay_alu instid0(VALU_DEP_2)
	v_cmpx_ne_u32_e32 0x7f, v49
	s_cbranch_execz .LBB354_2429
; %bb.2426:                             ;   in Loop: Header=BB354_1574 Depth=1
	v_and_b32_e32 v2, 7, v18
	v_lshrrev_b32_e32 v48, 3, v49
	v_mov_b32_e32 v14, v3
	s_mov_b32 s16, exec_lo
	s_delay_alu instid0(VALU_DEP_3)
	v_mov_b32_e32 v13, v2
	v_cmpx_gt_u32_e32 8, v49
; %bb.2427:                             ;   in Loop: Header=BB354_1574 Depth=1
	v_clz_i32_u32_e32 v13, v2
	s_delay_alu instid0(VALU_DEP_1) | instskip(NEXT) | instid1(VALU_DEP_1)
	v_min_u32_e32 v48, 32, v13
	v_subrev_nc_u32_e32 v13, 28, v48
	v_sub_nc_u32_e32 v48, 29, v48
	s_delay_alu instid0(VALU_DEP_2) | instskip(NEXT) | instid1(VALU_DEP_1)
	v_lshlrev_b64 v[13:14], v13, v[2:3]
	v_and_b32_e32 v13, 7, v13
; %bb.2428:                             ;   in Loop: Header=BB354_1574 Depth=1
	s_or_b32 exec_lo, exec_lo, s16
	v_lshlrev_b32_e32 v2, 8, v18
	v_lshl_add_u32 v14, v48, 10, 0x2000
	s_delay_alu instid0(VALU_DEP_1) | instskip(NEXT) | instid1(VALU_DEP_1)
	v_and_or_b32 v2, 0x8000, v2, v14
	v_lshl_or_b32 v2, v13, 7, v2
	s_delay_alu instid0(VALU_DEP_1)
	v_cvt_f32_f16_e32 v48, v2
.LBB354_2429:                           ;   in Loop: Header=BB354_1574 Depth=1
	s_or_b32 exec_lo, exec_lo, s15
.LBB354_2430:                           ;   in Loop: Header=BB354_1574 Depth=1
	s_delay_alu instid0(SALU_CYCLE_1)
	s_or_b32 exec_lo, exec_lo, s13
.LBB354_2431:                           ;   in Loop: Header=BB354_1574 Depth=1
	s_delay_alu instid0(SALU_CYCLE_1)
	s_or_b32 exec_lo, exec_lo, s12
	s_waitcnt vmcnt(0) lgkmcnt(0)
	v_fma_mixlo_f16 v6, v4, v6, 0
	v_fma_mixlo_f16 v2, v4, v37, 0
	;; [unrolled: 1-line block ×5, first 2 shown]
	v_lshlrev_b32_e32 v14, 16, v6
	v_fma_mixlo_f16 v6, v4, v5, 0
	v_fma_mixlo_f16 v23, v4, v48, 0
	;; [unrolled: 1-line block ×3, first 2 shown]
	v_lshlrev_b32_e32 v2, 16, v2
	v_and_b32_e32 v13, 0xffff, v13
	v_and_b32_e32 v4, 0xffff, v6
	v_lshlrev_b32_e32 v17, 16, v18
	v_and_b32_e32 v18, 0xffff, v22
	v_lshlrev_b32_e32 v22, 16, v23
	v_and_b32_e32 v23, 0xffff, v5
	v_or_b32_e32 v6, v2, v13
	v_or_b32_e32 v13, v14, v4
	;; [unrolled: 1-line block ×3, first 2 shown]
	s_delay_alu instid0(VALU_DEP_4)
	v_or_b32_e32 v4, v22, v23
	s_and_saveexec_b32 s12, vcc_lo
	s_cbranch_execz .LBB354_2433
; %bb.2432:                             ;   in Loop: Header=BB354_1574 Depth=1
	v_cmp_lt_i32_e64 s0, v119, v38
	v_lshrrev_b32_e32 v14, 16, v13
	v_lshrrev_b32_e32 v17, 16, v6
	;; [unrolled: 1-line block ×4, first 2 shown]
	v_cndmask_b32_e64 v13, 0, v13, s0
	v_cmp_lt_i32_e64 s0, v134, v55
	s_delay_alu instid0(VALU_DEP_1) | instskip(SKIP_1) | instid1(VALU_DEP_2)
	v_cndmask_b32_e64 v14, 0, v14, s0
	v_cmp_lt_i32_e64 s0, v133, v55
	v_perm_b32 v13, v14, v13, 0x5040100
	s_delay_alu instid0(VALU_DEP_2) | instskip(SKIP_1) | instid1(VALU_DEP_1)
	v_cndmask_b32_e64 v17, 0, v17, s0
	v_cmp_lt_i32_e64 s0, v132, v38
	v_cndmask_b32_e64 v6, 0, v6, s0
	v_cmp_lt_i32_e64 s0, v131, v55
	s_delay_alu instid0(VALU_DEP_2) | instskip(NEXT) | instid1(VALU_DEP_2)
	v_perm_b32 v6, v17, v6, 0x5040100
	v_cndmask_b32_e64 v18, 0, v18, s0
	v_cmp_lt_i32_e64 s0, v130, v38
	s_delay_alu instid0(VALU_DEP_1) | instskip(SKIP_1) | instid1(VALU_DEP_2)
	v_cndmask_b32_e64 v2, 0, v2, s0
	v_cmp_lt_i32_e64 s0, v129, v55
	v_perm_b32 v2, v18, v2, 0x5040100
	s_delay_alu instid0(VALU_DEP_2) | instskip(SKIP_1) | instid1(VALU_DEP_1)
	v_cndmask_b32_e64 v4, 0, v4, s0
	v_cmp_lt_i32_e64 s0, v128, v38
	v_cndmask_b32_e64 v5, 0, v5, s0
	s_delay_alu instid0(VALU_DEP_1)
	v_perm_b32 v4, v4, v5, 0x5040100
.LBB354_2433:                           ;   in Loop: Header=BB354_1574 Depth=1
	s_or_b32 exec_lo, exec_lo, s12
	;;#ASMSTART
	v_pk_mul_f16 v5, v118, v13;

	;;#ASMEND
	;;#ASMSTART
	v_pk_mul_f16 v6, v117, v6;

	;;#ASMEND
	;; [unrolled: 4-line block ×4, first 2 shown]
	;;#ASMSTART
	v_pk_add_f16 v5, v5, v6;

	;;#ASMEND
	;;#ASMSTART
	v_pk_add_f16 v2, v5, v2;

	;;#ASMEND
	;; [unrolled: 4-line block ×3, first 2 shown]
	v_dual_mov_b32 v5, 0 :: v_dual_and_b32 v4, 0xffff, v2
	v_lshrrev_b32_e32 v2, 16, v2
	;;#ASMSTART
	v_cvt_f32_f16 v181, v4;
	;;#ASMEND
	;;#ASMSTART
	v_cvt_f32_f16 v182, v2;
	;;#ASMEND
	flat_load_b64 v[13:14], v[11:12] offset:3328
	flat_load_b32 v4, v[26:27]
	v_mov_b32_e32 v6, 0
	s_mov_b32 s12, exec_lo
	s_waitcnt vmcnt(1) lgkmcnt(1)
	v_and_b32_e32 v2, 0xff, v13
	s_delay_alu instid0(VALU_DEP_1)
	v_cmpx_ne_u16_e32 0, v2
	s_cbranch_execz .LBB354_2441
; %bb.2434:                             ;   in Loop: Header=BB354_1574 Depth=1
	v_bfrev_b32_e32 v5, 1
	s_mov_b32 s13, exec_lo
	v_cmpx_ne_u16_e32 0x80, v2
	s_cbranch_execz .LBB354_2440
; %bb.2435:                             ;   in Loop: Header=BB354_1574 Depth=1
	v_and_b32_e32 v17, 0x7f, v13
	v_mov_b32_e32 v5, 0x7fc02000
	s_mov_b32 s15, exec_lo
	s_delay_alu instid0(VALU_DEP_2)
	v_cmpx_ne_u32_e32 0x7f, v17
	s_cbranch_execz .LBB354_2439
; %bb.2436:                             ;   in Loop: Header=BB354_1574 Depth=1
	v_lshrrev_b32_e32 v2, 3, v17
	v_cmp_gt_u32_e64 s0, 8, v17
	v_dual_mov_b32 v18, v14 :: v_dual_mov_b32 v17, v13
	s_delay_alu instid0(VALU_DEP_2)
	s_and_saveexec_b32 s16, s0
; %bb.2437:                             ;   in Loop: Header=BB354_1574 Depth=1
	v_and_b32_e32 v2, 7, v13
	s_delay_alu instid0(VALU_DEP_1) | instskip(NEXT) | instid1(VALU_DEP_1)
	v_clz_i32_u32_e32 v2, v2
	v_min_u32_e32 v2, 32, v2
	s_delay_alu instid0(VALU_DEP_1) | instskip(SKIP_1) | instid1(VALU_DEP_2)
	v_subrev_nc_u32_e32 v5, 28, v2
	v_sub_nc_u32_e32 v2, 29, v2
	v_lshlrev_b64 v[17:18], v5, v[13:14]
; %bb.2438:                             ;   in Loop: Header=BB354_1574 Depth=1
	s_or_b32 exec_lo, exec_lo, s16
	v_lshlrev_b32_e32 v5, 8, v13
	s_delay_alu instid0(VALU_DEP_3) | instskip(NEXT) | instid1(VALU_DEP_3)
	v_lshl_add_u32 v2, v2, 10, 0x2000
	v_lshlrev_b32_e32 v17, 7, v17
	s_delay_alu instid0(VALU_DEP_2) | instskip(NEXT) | instid1(VALU_DEP_1)
	v_and_or_b32 v2, 0x8000, v5, v2
	v_and_or_b32 v2, 0x380, v17, v2
	s_delay_alu instid0(VALU_DEP_1)
	v_cvt_f32_f16_e32 v5, v2
.LBB354_2439:                           ;   in Loop: Header=BB354_1574 Depth=1
	s_or_b32 exec_lo, exec_lo, s15
.LBB354_2440:                           ;   in Loop: Header=BB354_1574 Depth=1
	s_delay_alu instid0(SALU_CYCLE_1)
	s_or_b32 exec_lo, exec_lo, s13
.LBB354_2441:                           ;   in Loop: Header=BB354_1574 Depth=1
	s_delay_alu instid0(SALU_CYCLE_1) | instskip(SKIP_2) | instid1(VALU_DEP_1)
	s_or_b32 exec_lo, exec_lo, s12
	v_lshrrev_b16 v2, 8, v13
	s_mov_b32 s12, exec_lo
	v_cmpx_ne_u16_e32 0, v2
	s_cbranch_execz .LBB354_2449
; %bb.2442:                             ;   in Loop: Header=BB354_1574 Depth=1
	v_bfrev_b32_e32 v6, 1
	s_mov_b32 s13, exec_lo
	v_cmpx_ne_u16_e32 0x80, v2
	s_cbranch_execz .LBB354_2448
; %bb.2443:                             ;   in Loop: Header=BB354_1574 Depth=1
	v_and_b32_e32 v22, 0xffff, v2
	v_mov_b32_e32 v6, 0x7fc02000
	s_mov_b32 s15, exec_lo
	s_delay_alu instid0(VALU_DEP_2) | instskip(NEXT) | instid1(VALU_DEP_1)
	v_and_b32_e32 v23, 0x7f, v22
	v_cmpx_ne_u32_e32 0x7f, v23
	s_cbranch_execz .LBB354_2447
; %bb.2444:                             ;   in Loop: Header=BB354_1574 Depth=1
	v_and_b32_e32 v2, 7, v22
	v_lshrrev_b32_e32 v6, 3, v23
	v_mov_b32_e32 v18, v3
	s_mov_b32 s16, exec_lo
	s_delay_alu instid0(VALU_DEP_3)
	v_mov_b32_e32 v17, v2
	v_cmpx_gt_u32_e32 8, v23
; %bb.2445:                             ;   in Loop: Header=BB354_1574 Depth=1
	v_clz_i32_u32_e32 v6, v2
	s_delay_alu instid0(VALU_DEP_1) | instskip(NEXT) | instid1(VALU_DEP_1)
	v_min_u32_e32 v6, 32, v6
	v_subrev_nc_u32_e32 v17, 28, v6
	v_sub_nc_u32_e32 v6, 29, v6
	s_delay_alu instid0(VALU_DEP_2) | instskip(NEXT) | instid1(VALU_DEP_1)
	v_lshlrev_b64 v[17:18], v17, v[2:3]
	v_and_b32_e32 v17, 7, v17
; %bb.2446:                             ;   in Loop: Header=BB354_1574 Depth=1
	s_or_b32 exec_lo, exec_lo, s16
	v_lshlrev_b32_e32 v2, 8, v22
	v_lshl_add_u32 v6, v6, 10, 0x2000
	s_delay_alu instid0(VALU_DEP_1) | instskip(NEXT) | instid1(VALU_DEP_1)
	v_and_or_b32 v2, 0x8000, v2, v6
	v_lshl_or_b32 v2, v17, 7, v2
	s_delay_alu instid0(VALU_DEP_1)
	v_cvt_f32_f16_e32 v6, v2
.LBB354_2447:                           ;   in Loop: Header=BB354_1574 Depth=1
	s_or_b32 exec_lo, exec_lo, s15
.LBB354_2448:                           ;   in Loop: Header=BB354_1574 Depth=1
	s_delay_alu instid0(SALU_CYCLE_1)
	s_or_b32 exec_lo, exec_lo, s13
.LBB354_2449:                           ;   in Loop: Header=BB354_1574 Depth=1
	s_delay_alu instid0(SALU_CYCLE_1) | instskip(SKIP_3) | instid1(VALU_DEP_2)
	s_or_b32 exec_lo, exec_lo, s12
	v_lshrrev_b32_e32 v23, 16, v13
	v_mov_b32_e32 v22, 0
	s_mov_b32 s12, exec_lo
	v_dual_mov_b32 v37, 0 :: v_dual_and_b32 v2, 0xff, v23
	s_delay_alu instid0(VALU_DEP_1)
	v_cmpx_ne_u16_e32 0, v2
	s_cbranch_execz .LBB354_2457
; %bb.2450:                             ;   in Loop: Header=BB354_1574 Depth=1
	v_bfrev_b32_e32 v22, 1
	s_mov_b32 s13, exec_lo
	v_cmpx_ne_u16_e32 0x80, v2
	s_cbranch_execz .LBB354_2456
; %bb.2451:                             ;   in Loop: Header=BB354_1574 Depth=1
	v_bfe_u32 v39, v13, 16, 7
	v_mov_b32_e32 v22, 0x7fc02000
	s_mov_b32 s15, exec_lo
	s_delay_alu instid0(VALU_DEP_2)
	v_cmpx_ne_u32_e32 0x7f, v39
	s_cbranch_execz .LBB354_2455
; %bb.2452:                             ;   in Loop: Header=BB354_1574 Depth=1
	v_and_b32_e32 v2, 7, v23
	v_lshrrev_b32_e32 v22, 3, v39
	v_mov_b32_e32 v18, v3
	s_mov_b32 s16, exec_lo
	s_delay_alu instid0(VALU_DEP_3)
	v_mov_b32_e32 v17, v2
	v_cmpx_gt_u32_e32 8, v39
; %bb.2453:                             ;   in Loop: Header=BB354_1574 Depth=1
	v_clz_i32_u32_e32 v17, v2
	s_delay_alu instid0(VALU_DEP_1) | instskip(NEXT) | instid1(VALU_DEP_1)
	v_min_u32_e32 v22, 32, v17
	v_subrev_nc_u32_e32 v17, 28, v22
	v_sub_nc_u32_e32 v22, 29, v22
	s_delay_alu instid0(VALU_DEP_2) | instskip(NEXT) | instid1(VALU_DEP_1)
	v_lshlrev_b64 v[17:18], v17, v[2:3]
	v_and_b32_e32 v17, 7, v17
; %bb.2454:                             ;   in Loop: Header=BB354_1574 Depth=1
	s_or_b32 exec_lo, exec_lo, s16
	v_lshlrev_b32_e32 v2, 8, v23
	v_lshl_add_u32 v18, v22, 10, 0x2000
	s_delay_alu instid0(VALU_DEP_1) | instskip(NEXT) | instid1(VALU_DEP_1)
	v_and_or_b32 v2, 0x8000, v2, v18
	v_lshl_or_b32 v2, v17, 7, v2
	s_delay_alu instid0(VALU_DEP_1)
	v_cvt_f32_f16_e32 v22, v2
.LBB354_2455:                           ;   in Loop: Header=BB354_1574 Depth=1
	s_or_b32 exec_lo, exec_lo, s15
.LBB354_2456:                           ;   in Loop: Header=BB354_1574 Depth=1
	s_delay_alu instid0(SALU_CYCLE_1)
	s_or_b32 exec_lo, exec_lo, s13
.LBB354_2457:                           ;   in Loop: Header=BB354_1574 Depth=1
	s_delay_alu instid0(SALU_CYCLE_1) | instskip(NEXT) | instid1(SALU_CYCLE_1)
	s_or_b32 exec_lo, exec_lo, s12
	s_mov_b32 s12, exec_lo
	v_cmpx_lt_u32_e32 0xffffff, v13
	s_cbranch_execz .LBB354_2465
; %bb.2458:                             ;   in Loop: Header=BB354_1574 Depth=1
	v_lshrrev_b32_e32 v23, 24, v13
	v_bfrev_b32_e32 v37, 1
	s_mov_b32 s13, exec_lo
	s_delay_alu instid0(VALU_DEP_2)
	v_cmpx_ne_u32_e32 0x80, v23
	s_cbranch_execz .LBB354_2464
; %bb.2459:                             ;   in Loop: Header=BB354_1574 Depth=1
	v_and_b32_e32 v39, 0x7f, v23
	v_mov_b32_e32 v37, 0x7fc02000
	s_mov_b32 s15, exec_lo
	s_delay_alu instid0(VALU_DEP_2)
	v_cmpx_ne_u32_e32 0x7f, v39
	s_cbranch_execz .LBB354_2463
; %bb.2460:                             ;   in Loop: Header=BB354_1574 Depth=1
	v_and_b32_e32 v2, 7, v23
	v_lshrrev_b32_e32 v37, 3, v39
	v_mov_b32_e32 v18, v3
	s_mov_b32 s16, exec_lo
	s_delay_alu instid0(VALU_DEP_3)
	v_mov_b32_e32 v17, v2
	v_cmpx_gt_u32_e32 8, v39
; %bb.2461:                             ;   in Loop: Header=BB354_1574 Depth=1
	v_clz_i32_u32_e32 v17, v2
	s_delay_alu instid0(VALU_DEP_1) | instskip(NEXT) | instid1(VALU_DEP_1)
	v_min_u32_e32 v37, 32, v17
	v_subrev_nc_u32_e32 v17, 28, v37
	v_sub_nc_u32_e32 v37, 29, v37
	s_delay_alu instid0(VALU_DEP_2) | instskip(NEXT) | instid1(VALU_DEP_1)
	v_lshlrev_b64 v[17:18], v17, v[2:3]
	v_and_b32_e32 v17, 7, v17
; %bb.2462:                             ;   in Loop: Header=BB354_1574 Depth=1
	s_or_b32 exec_lo, exec_lo, s16
	v_lshlrev_b32_e32 v2, 8, v23
	v_lshl_add_u32 v18, v37, 10, 0x2000
	s_delay_alu instid0(VALU_DEP_1) | instskip(NEXT) | instid1(VALU_DEP_1)
	v_and_or_b32 v2, 0x8000, v2, v18
	v_lshl_or_b32 v2, v17, 7, v2
	s_delay_alu instid0(VALU_DEP_1)
	v_cvt_f32_f16_e32 v37, v2
.LBB354_2463:                           ;   in Loop: Header=BB354_1574 Depth=1
	s_or_b32 exec_lo, exec_lo, s15
.LBB354_2464:                           ;   in Loop: Header=BB354_1574 Depth=1
	s_delay_alu instid0(SALU_CYCLE_1)
	s_or_b32 exec_lo, exec_lo, s13
.LBB354_2465:                           ;   in Loop: Header=BB354_1574 Depth=1
	s_delay_alu instid0(SALU_CYCLE_1) | instskip(SKIP_4) | instid1(VALU_DEP_3)
	s_or_b32 exec_lo, exec_lo, s12
	v_dual_mov_b32 v2, v14 :: v_dual_and_b32 v17, 0xff, v14
	v_mov_b32_e32 v39, 0
	v_mov_b32_e32 v23, 0
	s_mov_b32 s12, exec_lo
	v_cmpx_ne_u16_e32 0, v17
	s_cbranch_execz .LBB354_2473
; %bb.2466:                             ;   in Loop: Header=BB354_1574 Depth=1
	v_bfrev_b32_e32 v23, 1
	s_mov_b32 s13, exec_lo
	v_cmpx_ne_u16_e32 0x80, v17
	s_cbranch_execz .LBB354_2472
; %bb.2467:                             ;   in Loop: Header=BB354_1574 Depth=1
	v_and_b32_e32 v48, 0x7f, v14
	v_mov_b32_e32 v23, 0x7fc02000
	s_mov_b32 s15, exec_lo
	s_delay_alu instid0(VALU_DEP_2)
	v_cmpx_ne_u32_e32 0x7f, v48
	s_cbranch_execz .LBB354_2471
; %bb.2468:                             ;   in Loop: Header=BB354_1574 Depth=1
	v_dual_mov_b32 v18, v3 :: v_dual_mov_b32 v17, v2
	v_lshrrev_b32_e32 v18, 3, v48
	s_mov_b32 s16, exec_lo
	v_cmpx_gt_u32_e32 8, v48
; %bb.2469:                             ;   in Loop: Header=BB354_1574 Depth=1
	v_and_b32_e32 v17, 7, v14
	s_delay_alu instid0(VALU_DEP_1) | instskip(NEXT) | instid1(VALU_DEP_1)
	v_clz_i32_u32_e32 v17, v17
	v_min_u32_e32 v23, 32, v17
	s_delay_alu instid0(VALU_DEP_1) | instskip(NEXT) | instid1(VALU_DEP_1)
	v_subrev_nc_u32_e32 v17, 28, v23
	v_lshlrev_b64 v[17:18], v17, v[2:3]
	v_sub_nc_u32_e32 v18, 29, v23
; %bb.2470:                             ;   in Loop: Header=BB354_1574 Depth=1
	s_or_b32 exec_lo, exec_lo, s16
	v_lshlrev_b32_e32 v23, 8, v14
	s_delay_alu instid0(VALU_DEP_2) | instskip(NEXT) | instid1(VALU_DEP_4)
	v_lshl_add_u32 v18, v18, 10, 0x2000
	v_lshlrev_b32_e32 v17, 7, v17
	s_delay_alu instid0(VALU_DEP_2) | instskip(NEXT) | instid1(VALU_DEP_1)
	v_and_or_b32 v18, 0x8000, v23, v18
	v_and_or_b32 v17, 0x380, v17, v18
	s_delay_alu instid0(VALU_DEP_1)
	v_cvt_f32_f16_e32 v23, v17
.LBB354_2471:                           ;   in Loop: Header=BB354_1574 Depth=1
	s_or_b32 exec_lo, exec_lo, s15
.LBB354_2472:                           ;   in Loop: Header=BB354_1574 Depth=1
	s_delay_alu instid0(SALU_CYCLE_1)
	s_or_b32 exec_lo, exec_lo, s13
.LBB354_2473:                           ;   in Loop: Header=BB354_1574 Depth=1
	s_delay_alu instid0(SALU_CYCLE_1) | instskip(SKIP_2) | instid1(VALU_DEP_1)
	s_or_b32 exec_lo, exec_lo, s12
	v_lshrrev_b16 v2, 8, v2
	s_mov_b32 s12, exec_lo
	v_cmpx_ne_u16_e32 0, v2
	s_cbranch_execz .LBB354_2481
; %bb.2474:                             ;   in Loop: Header=BB354_1574 Depth=1
	v_bfrev_b32_e32 v39, 1
	s_mov_b32 s13, exec_lo
	v_cmpx_ne_u16_e32 0x80, v2
	s_cbranch_execz .LBB354_2480
; %bb.2475:                             ;   in Loop: Header=BB354_1574 Depth=1
	v_and_b32_e32 v48, 0xffff, v2
	v_mov_b32_e32 v39, 0x7fc02000
	s_mov_b32 s15, exec_lo
	s_delay_alu instid0(VALU_DEP_2) | instskip(NEXT) | instid1(VALU_DEP_1)
	v_and_b32_e32 v49, 0x7f, v48
	v_cmpx_ne_u32_e32 0x7f, v49
	s_cbranch_execz .LBB354_2479
; %bb.2476:                             ;   in Loop: Header=BB354_1574 Depth=1
	v_and_b32_e32 v2, 7, v48
	v_lshrrev_b32_e32 v39, 3, v49
	v_mov_b32_e32 v18, v3
	s_mov_b32 s16, exec_lo
	s_delay_alu instid0(VALU_DEP_3)
	v_mov_b32_e32 v17, v2
	v_cmpx_gt_u32_e32 8, v49
; %bb.2477:                             ;   in Loop: Header=BB354_1574 Depth=1
	v_clz_i32_u32_e32 v17, v2
	s_delay_alu instid0(VALU_DEP_1) | instskip(NEXT) | instid1(VALU_DEP_1)
	v_min_u32_e32 v39, 32, v17
	v_subrev_nc_u32_e32 v17, 28, v39
	v_sub_nc_u32_e32 v39, 29, v39
	s_delay_alu instid0(VALU_DEP_2) | instskip(NEXT) | instid1(VALU_DEP_1)
	v_lshlrev_b64 v[17:18], v17, v[2:3]
	v_and_b32_e32 v17, 7, v17
; %bb.2478:                             ;   in Loop: Header=BB354_1574 Depth=1
	s_or_b32 exec_lo, exec_lo, s16
	v_lshlrev_b32_e32 v2, 8, v48
	v_lshl_add_u32 v18, v39, 10, 0x2000
	s_delay_alu instid0(VALU_DEP_1) | instskip(NEXT) | instid1(VALU_DEP_1)
	v_and_or_b32 v2, 0x8000, v2, v18
	v_lshl_or_b32 v2, v17, 7, v2
	s_delay_alu instid0(VALU_DEP_1)
	v_cvt_f32_f16_e32 v39, v2
.LBB354_2479:                           ;   in Loop: Header=BB354_1574 Depth=1
	s_or_b32 exec_lo, exec_lo, s15
.LBB354_2480:                           ;   in Loop: Header=BB354_1574 Depth=1
	s_delay_alu instid0(SALU_CYCLE_1)
	s_or_b32 exec_lo, exec_lo, s13
.LBB354_2481:                           ;   in Loop: Header=BB354_1574 Depth=1
	s_delay_alu instid0(SALU_CYCLE_1) | instskip(SKIP_3) | instid1(VALU_DEP_2)
	s_or_b32 exec_lo, exec_lo, s12
	v_lshrrev_b32_e32 v49, 16, v14
	v_mov_b32_e32 v48, 0
	s_mov_b32 s12, exec_lo
	v_dual_mov_b32 v17, 0 :: v_dual_and_b32 v2, 0xff, v49
	s_delay_alu instid0(VALU_DEP_1)
	v_cmpx_ne_u16_e32 0, v2
	s_cbranch_execz .LBB354_2489
; %bb.2482:                             ;   in Loop: Header=BB354_1574 Depth=1
	v_bfrev_b32_e32 v17, 1
	s_mov_b32 s13, exec_lo
	v_cmpx_ne_u16_e32 0x80, v2
	s_cbranch_execz .LBB354_2488
; %bb.2483:                             ;   in Loop: Header=BB354_1574 Depth=1
	v_bfe_u32 v51, v14, 16, 7
	v_mov_b32_e32 v17, 0x7fc02000
	s_mov_b32 s15, exec_lo
	s_delay_alu instid0(VALU_DEP_2)
	v_cmpx_ne_u32_e32 0x7f, v51
	s_cbranch_execz .LBB354_2487
; %bb.2484:                             ;   in Loop: Header=BB354_1574 Depth=1
	v_and_b32_e32 v2, 7, v49
	v_lshrrev_b32_e32 v50, 3, v51
	v_mov_b32_e32 v18, v3
	s_mov_b32 s16, exec_lo
	s_delay_alu instid0(VALU_DEP_3)
	v_mov_b32_e32 v17, v2
	v_cmpx_gt_u32_e32 8, v51
; %bb.2485:                             ;   in Loop: Header=BB354_1574 Depth=1
	v_clz_i32_u32_e32 v17, v2
	s_delay_alu instid0(VALU_DEP_1) | instskip(NEXT) | instid1(VALU_DEP_1)
	v_min_u32_e32 v50, 32, v17
	v_subrev_nc_u32_e32 v17, 28, v50
	v_sub_nc_u32_e32 v50, 29, v50
	s_delay_alu instid0(VALU_DEP_2) | instskip(NEXT) | instid1(VALU_DEP_1)
	v_lshlrev_b64 v[17:18], v17, v[2:3]
	v_and_b32_e32 v17, 7, v17
; %bb.2486:                             ;   in Loop: Header=BB354_1574 Depth=1
	s_or_b32 exec_lo, exec_lo, s16
	v_lshlrev_b32_e32 v2, 8, v49
	v_lshl_add_u32 v18, v50, 10, 0x2000
	s_delay_alu instid0(VALU_DEP_1) | instskip(NEXT) | instid1(VALU_DEP_1)
	v_and_or_b32 v2, 0x8000, v2, v18
	v_lshl_or_b32 v2, v17, 7, v2
	s_delay_alu instid0(VALU_DEP_1)
	v_cvt_f32_f16_e32 v17, v2
.LBB354_2487:                           ;   in Loop: Header=BB354_1574 Depth=1
	s_or_b32 exec_lo, exec_lo, s15
.LBB354_2488:                           ;   in Loop: Header=BB354_1574 Depth=1
	s_delay_alu instid0(SALU_CYCLE_1)
	s_or_b32 exec_lo, exec_lo, s13
.LBB354_2489:                           ;   in Loop: Header=BB354_1574 Depth=1
	s_delay_alu instid0(SALU_CYCLE_1) | instskip(NEXT) | instid1(SALU_CYCLE_1)
	s_or_b32 exec_lo, exec_lo, s12
	s_mov_b32 s12, exec_lo
	v_cmpx_lt_u64_e64 s[8:9], v[13:14]
	s_cbranch_execz .LBB354_2497
; %bb.2490:                             ;   in Loop: Header=BB354_1574 Depth=1
	v_lshrrev_b32_e32 v18, 24, v14
	v_bfrev_b32_e32 v48, 1
	s_mov_b32 s13, exec_lo
	s_delay_alu instid0(VALU_DEP_2)
	v_cmpx_ne_u32_e32 0x80, v18
	s_cbranch_execz .LBB354_2496
; %bb.2491:                             ;   in Loop: Header=BB354_1574 Depth=1
	v_and_b32_e32 v49, 0x7f, v18
	v_mov_b32_e32 v48, 0x7fc02000
	s_mov_b32 s15, exec_lo
	s_delay_alu instid0(VALU_DEP_2)
	v_cmpx_ne_u32_e32 0x7f, v49
	s_cbranch_execz .LBB354_2495
; %bb.2492:                             ;   in Loop: Header=BB354_1574 Depth=1
	v_and_b32_e32 v2, 7, v18
	v_lshrrev_b32_e32 v48, 3, v49
	v_mov_b32_e32 v14, v3
	s_mov_b32 s16, exec_lo
	s_delay_alu instid0(VALU_DEP_3)
	v_mov_b32_e32 v13, v2
	v_cmpx_gt_u32_e32 8, v49
; %bb.2493:                             ;   in Loop: Header=BB354_1574 Depth=1
	v_clz_i32_u32_e32 v13, v2
	s_delay_alu instid0(VALU_DEP_1) | instskip(NEXT) | instid1(VALU_DEP_1)
	v_min_u32_e32 v48, 32, v13
	v_subrev_nc_u32_e32 v13, 28, v48
	v_sub_nc_u32_e32 v48, 29, v48
	s_delay_alu instid0(VALU_DEP_2) | instskip(NEXT) | instid1(VALU_DEP_1)
	v_lshlrev_b64 v[13:14], v13, v[2:3]
	v_and_b32_e32 v13, 7, v13
; %bb.2494:                             ;   in Loop: Header=BB354_1574 Depth=1
	s_or_b32 exec_lo, exec_lo, s16
	v_lshlrev_b32_e32 v2, 8, v18
	v_lshl_add_u32 v14, v48, 10, 0x2000
	s_delay_alu instid0(VALU_DEP_1) | instskip(NEXT) | instid1(VALU_DEP_1)
	v_and_or_b32 v2, 0x8000, v2, v14
	v_lshl_or_b32 v2, v13, 7, v2
	s_delay_alu instid0(VALU_DEP_1)
	v_cvt_f32_f16_e32 v48, v2
.LBB354_2495:                           ;   in Loop: Header=BB354_1574 Depth=1
	s_or_b32 exec_lo, exec_lo, s15
.LBB354_2496:                           ;   in Loop: Header=BB354_1574 Depth=1
	s_delay_alu instid0(SALU_CYCLE_1)
	s_or_b32 exec_lo, exec_lo, s13
.LBB354_2497:                           ;   in Loop: Header=BB354_1574 Depth=1
	s_delay_alu instid0(SALU_CYCLE_1)
	s_or_b32 exec_lo, exec_lo, s12
	s_waitcnt vmcnt(0) lgkmcnt(0)
	v_fma_mixlo_f16 v6, v4, v6, 0
	v_fma_mixlo_f16 v2, v4, v37, 0
	;; [unrolled: 1-line block ×5, first 2 shown]
	v_lshlrev_b32_e32 v14, 16, v6
	v_fma_mixlo_f16 v6, v4, v5, 0
	v_fma_mixlo_f16 v23, v4, v48, 0
	;; [unrolled: 1-line block ×3, first 2 shown]
	v_lshlrev_b32_e32 v2, 16, v2
	v_and_b32_e32 v13, 0xffff, v13
	v_and_b32_e32 v4, 0xffff, v6
	v_lshlrev_b32_e32 v17, 16, v18
	v_and_b32_e32 v18, 0xffff, v22
	v_lshlrev_b32_e32 v22, 16, v23
	v_and_b32_e32 v23, 0xffff, v5
	v_or_b32_e32 v6, v2, v13
	v_or_b32_e32 v13, v14, v4
	;; [unrolled: 1-line block ×3, first 2 shown]
	s_delay_alu instid0(VALU_DEP_4)
	v_or_b32_e32 v4, v22, v23
	s_and_saveexec_b32 s12, vcc_lo
	s_cbranch_execz .LBB354_2499
; %bb.2498:                             ;   in Loop: Header=BB354_1574 Depth=1
	v_cmp_lt_i32_e64 s0, v119, v38
	v_lshrrev_b32_e32 v14, 16, v13
	v_lshrrev_b32_e32 v17, 16, v6
	;; [unrolled: 1-line block ×4, first 2 shown]
	v_cndmask_b32_e64 v13, 0, v13, s0
	v_cmp_lt_i32_e64 s0, v134, v55
	s_delay_alu instid0(VALU_DEP_1) | instskip(SKIP_1) | instid1(VALU_DEP_2)
	v_cndmask_b32_e64 v14, 0, v14, s0
	v_cmp_lt_i32_e64 s0, v133, v55
	v_perm_b32 v13, v14, v13, 0x5040100
	s_delay_alu instid0(VALU_DEP_2) | instskip(SKIP_1) | instid1(VALU_DEP_1)
	v_cndmask_b32_e64 v17, 0, v17, s0
	v_cmp_lt_i32_e64 s0, v132, v38
	v_cndmask_b32_e64 v6, 0, v6, s0
	v_cmp_lt_i32_e64 s0, v131, v55
	s_delay_alu instid0(VALU_DEP_2) | instskip(NEXT) | instid1(VALU_DEP_2)
	v_perm_b32 v6, v17, v6, 0x5040100
	v_cndmask_b32_e64 v18, 0, v18, s0
	v_cmp_lt_i32_e64 s0, v130, v38
	s_delay_alu instid0(VALU_DEP_1) | instskip(SKIP_1) | instid1(VALU_DEP_2)
	v_cndmask_b32_e64 v2, 0, v2, s0
	v_cmp_lt_i32_e64 s0, v129, v55
	v_perm_b32 v2, v18, v2, 0x5040100
	s_delay_alu instid0(VALU_DEP_2) | instskip(SKIP_1) | instid1(VALU_DEP_1)
	v_cndmask_b32_e64 v4, 0, v4, s0
	v_cmp_lt_i32_e64 s0, v128, v38
	v_cndmask_b32_e64 v5, 0, v5, s0
	s_delay_alu instid0(VALU_DEP_1)
	v_perm_b32 v4, v4, v5, 0x5040100
.LBB354_2499:                           ;   in Loop: Header=BB354_1574 Depth=1
	s_or_b32 exec_lo, exec_lo, s12
	;;#ASMSTART
	v_pk_mul_f16 v5, v118, v13;

	;;#ASMEND
	;;#ASMSTART
	v_pk_mul_f16 v6, v117, v6;

	;;#ASMEND
	;; [unrolled: 4-line block ×4, first 2 shown]
	;;#ASMSTART
	v_pk_add_f16 v5, v5, v6;

	;;#ASMEND
	;;#ASMSTART
	v_pk_add_f16 v2, v5, v2;

	;;#ASMEND
	;; [unrolled: 4-line block ×3, first 2 shown]
	v_dual_mov_b32 v5, 0 :: v_dual_and_b32 v4, 0xffff, v2
	v_lshrrev_b32_e32 v2, 16, v2
	;;#ASMSTART
	v_cvt_f32_f16 v183, v4;
	;;#ASMEND
	;;#ASMSTART
	v_cvt_f32_f16 v40, v2;
	;;#ASMEND
	flat_load_b64 v[13:14], v[11:12] offset:3584
	flat_load_b32 v4, v[26:27]
	v_mov_b32_e32 v6, 0
	s_mov_b32 s12, exec_lo
	s_waitcnt vmcnt(1) lgkmcnt(1)
	v_and_b32_e32 v2, 0xff, v13
	s_delay_alu instid0(VALU_DEP_1)
	v_cmpx_ne_u16_e32 0, v2
	s_cbranch_execz .LBB354_2507
; %bb.2500:                             ;   in Loop: Header=BB354_1574 Depth=1
	v_bfrev_b32_e32 v5, 1
	s_mov_b32 s13, exec_lo
	v_cmpx_ne_u16_e32 0x80, v2
	s_cbranch_execz .LBB354_2506
; %bb.2501:                             ;   in Loop: Header=BB354_1574 Depth=1
	v_and_b32_e32 v17, 0x7f, v13
	v_mov_b32_e32 v5, 0x7fc02000
	s_mov_b32 s15, exec_lo
	s_delay_alu instid0(VALU_DEP_2)
	v_cmpx_ne_u32_e32 0x7f, v17
	s_cbranch_execz .LBB354_2505
; %bb.2502:                             ;   in Loop: Header=BB354_1574 Depth=1
	v_lshrrev_b32_e32 v2, 3, v17
	v_cmp_gt_u32_e64 s0, 8, v17
	v_dual_mov_b32 v18, v14 :: v_dual_mov_b32 v17, v13
	s_delay_alu instid0(VALU_DEP_2)
	s_and_saveexec_b32 s16, s0
; %bb.2503:                             ;   in Loop: Header=BB354_1574 Depth=1
	v_and_b32_e32 v2, 7, v13
	s_delay_alu instid0(VALU_DEP_1) | instskip(NEXT) | instid1(VALU_DEP_1)
	v_clz_i32_u32_e32 v2, v2
	v_min_u32_e32 v2, 32, v2
	s_delay_alu instid0(VALU_DEP_1) | instskip(SKIP_1) | instid1(VALU_DEP_2)
	v_subrev_nc_u32_e32 v5, 28, v2
	v_sub_nc_u32_e32 v2, 29, v2
	v_lshlrev_b64 v[17:18], v5, v[13:14]
; %bb.2504:                             ;   in Loop: Header=BB354_1574 Depth=1
	s_or_b32 exec_lo, exec_lo, s16
	v_lshlrev_b32_e32 v5, 8, v13
	s_delay_alu instid0(VALU_DEP_3) | instskip(NEXT) | instid1(VALU_DEP_3)
	v_lshl_add_u32 v2, v2, 10, 0x2000
	v_lshlrev_b32_e32 v17, 7, v17
	s_delay_alu instid0(VALU_DEP_2) | instskip(NEXT) | instid1(VALU_DEP_1)
	v_and_or_b32 v2, 0x8000, v5, v2
	v_and_or_b32 v2, 0x380, v17, v2
	s_delay_alu instid0(VALU_DEP_1)
	v_cvt_f32_f16_e32 v5, v2
.LBB354_2505:                           ;   in Loop: Header=BB354_1574 Depth=1
	s_or_b32 exec_lo, exec_lo, s15
.LBB354_2506:                           ;   in Loop: Header=BB354_1574 Depth=1
	s_delay_alu instid0(SALU_CYCLE_1)
	s_or_b32 exec_lo, exec_lo, s13
.LBB354_2507:                           ;   in Loop: Header=BB354_1574 Depth=1
	s_delay_alu instid0(SALU_CYCLE_1) | instskip(SKIP_2) | instid1(VALU_DEP_1)
	s_or_b32 exec_lo, exec_lo, s12
	v_lshrrev_b16 v2, 8, v13
	s_mov_b32 s12, exec_lo
	v_cmpx_ne_u16_e32 0, v2
	s_cbranch_execz .LBB354_2515
; %bb.2508:                             ;   in Loop: Header=BB354_1574 Depth=1
	v_bfrev_b32_e32 v6, 1
	s_mov_b32 s13, exec_lo
	v_cmpx_ne_u16_e32 0x80, v2
	s_cbranch_execz .LBB354_2514
; %bb.2509:                             ;   in Loop: Header=BB354_1574 Depth=1
	v_and_b32_e32 v22, 0xffff, v2
	v_mov_b32_e32 v6, 0x7fc02000
	s_mov_b32 s15, exec_lo
	s_delay_alu instid0(VALU_DEP_2) | instskip(NEXT) | instid1(VALU_DEP_1)
	v_and_b32_e32 v23, 0x7f, v22
	v_cmpx_ne_u32_e32 0x7f, v23
	s_cbranch_execz .LBB354_2513
; %bb.2510:                             ;   in Loop: Header=BB354_1574 Depth=1
	v_and_b32_e32 v2, 7, v22
	v_lshrrev_b32_e32 v6, 3, v23
	v_mov_b32_e32 v18, v3
	s_mov_b32 s16, exec_lo
	s_delay_alu instid0(VALU_DEP_3)
	v_mov_b32_e32 v17, v2
	v_cmpx_gt_u32_e32 8, v23
; %bb.2511:                             ;   in Loop: Header=BB354_1574 Depth=1
	v_clz_i32_u32_e32 v6, v2
	s_delay_alu instid0(VALU_DEP_1) | instskip(NEXT) | instid1(VALU_DEP_1)
	v_min_u32_e32 v6, 32, v6
	v_subrev_nc_u32_e32 v17, 28, v6
	v_sub_nc_u32_e32 v6, 29, v6
	s_delay_alu instid0(VALU_DEP_2) | instskip(NEXT) | instid1(VALU_DEP_1)
	v_lshlrev_b64 v[17:18], v17, v[2:3]
	v_and_b32_e32 v17, 7, v17
; %bb.2512:                             ;   in Loop: Header=BB354_1574 Depth=1
	s_or_b32 exec_lo, exec_lo, s16
	v_lshlrev_b32_e32 v2, 8, v22
	v_lshl_add_u32 v6, v6, 10, 0x2000
	s_delay_alu instid0(VALU_DEP_1) | instskip(NEXT) | instid1(VALU_DEP_1)
	v_and_or_b32 v2, 0x8000, v2, v6
	v_lshl_or_b32 v2, v17, 7, v2
	s_delay_alu instid0(VALU_DEP_1)
	v_cvt_f32_f16_e32 v6, v2
.LBB354_2513:                           ;   in Loop: Header=BB354_1574 Depth=1
	s_or_b32 exec_lo, exec_lo, s15
.LBB354_2514:                           ;   in Loop: Header=BB354_1574 Depth=1
	s_delay_alu instid0(SALU_CYCLE_1)
	s_or_b32 exec_lo, exec_lo, s13
.LBB354_2515:                           ;   in Loop: Header=BB354_1574 Depth=1
	s_delay_alu instid0(SALU_CYCLE_1) | instskip(SKIP_3) | instid1(VALU_DEP_2)
	s_or_b32 exec_lo, exec_lo, s12
	v_lshrrev_b32_e32 v23, 16, v13
	v_mov_b32_e32 v22, 0
	s_mov_b32 s12, exec_lo
	v_dual_mov_b32 v37, 0 :: v_dual_and_b32 v2, 0xff, v23
	s_delay_alu instid0(VALU_DEP_1)
	v_cmpx_ne_u16_e32 0, v2
	s_cbranch_execz .LBB354_2523
; %bb.2516:                             ;   in Loop: Header=BB354_1574 Depth=1
	v_bfrev_b32_e32 v22, 1
	s_mov_b32 s13, exec_lo
	v_cmpx_ne_u16_e32 0x80, v2
	s_cbranch_execz .LBB354_2522
; %bb.2517:                             ;   in Loop: Header=BB354_1574 Depth=1
	v_bfe_u32 v39, v13, 16, 7
	v_mov_b32_e32 v22, 0x7fc02000
	s_mov_b32 s15, exec_lo
	s_delay_alu instid0(VALU_DEP_2)
	v_cmpx_ne_u32_e32 0x7f, v39
	s_cbranch_execz .LBB354_2521
; %bb.2518:                             ;   in Loop: Header=BB354_1574 Depth=1
	v_and_b32_e32 v2, 7, v23
	v_lshrrev_b32_e32 v22, 3, v39
	v_mov_b32_e32 v18, v3
	s_mov_b32 s16, exec_lo
	s_delay_alu instid0(VALU_DEP_3)
	v_mov_b32_e32 v17, v2
	v_cmpx_gt_u32_e32 8, v39
; %bb.2519:                             ;   in Loop: Header=BB354_1574 Depth=1
	v_clz_i32_u32_e32 v17, v2
	s_delay_alu instid0(VALU_DEP_1) | instskip(NEXT) | instid1(VALU_DEP_1)
	v_min_u32_e32 v22, 32, v17
	v_subrev_nc_u32_e32 v17, 28, v22
	v_sub_nc_u32_e32 v22, 29, v22
	s_delay_alu instid0(VALU_DEP_2) | instskip(NEXT) | instid1(VALU_DEP_1)
	v_lshlrev_b64 v[17:18], v17, v[2:3]
	v_and_b32_e32 v17, 7, v17
; %bb.2520:                             ;   in Loop: Header=BB354_1574 Depth=1
	s_or_b32 exec_lo, exec_lo, s16
	v_lshlrev_b32_e32 v2, 8, v23
	v_lshl_add_u32 v18, v22, 10, 0x2000
	s_delay_alu instid0(VALU_DEP_1) | instskip(NEXT) | instid1(VALU_DEP_1)
	v_and_or_b32 v2, 0x8000, v2, v18
	v_lshl_or_b32 v2, v17, 7, v2
	s_delay_alu instid0(VALU_DEP_1)
	v_cvt_f32_f16_e32 v22, v2
.LBB354_2521:                           ;   in Loop: Header=BB354_1574 Depth=1
	s_or_b32 exec_lo, exec_lo, s15
.LBB354_2522:                           ;   in Loop: Header=BB354_1574 Depth=1
	s_delay_alu instid0(SALU_CYCLE_1)
	s_or_b32 exec_lo, exec_lo, s13
.LBB354_2523:                           ;   in Loop: Header=BB354_1574 Depth=1
	s_delay_alu instid0(SALU_CYCLE_1) | instskip(NEXT) | instid1(SALU_CYCLE_1)
	s_or_b32 exec_lo, exec_lo, s12
	s_mov_b32 s12, exec_lo
	v_cmpx_lt_u32_e32 0xffffff, v13
	s_cbranch_execz .LBB354_2531
; %bb.2524:                             ;   in Loop: Header=BB354_1574 Depth=1
	v_lshrrev_b32_e32 v23, 24, v13
	v_bfrev_b32_e32 v37, 1
	s_mov_b32 s13, exec_lo
	s_delay_alu instid0(VALU_DEP_2)
	v_cmpx_ne_u32_e32 0x80, v23
	s_cbranch_execz .LBB354_2530
; %bb.2525:                             ;   in Loop: Header=BB354_1574 Depth=1
	v_and_b32_e32 v39, 0x7f, v23
	v_mov_b32_e32 v37, 0x7fc02000
	s_mov_b32 s15, exec_lo
	s_delay_alu instid0(VALU_DEP_2)
	v_cmpx_ne_u32_e32 0x7f, v39
	s_cbranch_execz .LBB354_2529
; %bb.2526:                             ;   in Loop: Header=BB354_1574 Depth=1
	v_and_b32_e32 v2, 7, v23
	v_lshrrev_b32_e32 v37, 3, v39
	v_mov_b32_e32 v18, v3
	s_mov_b32 s16, exec_lo
	s_delay_alu instid0(VALU_DEP_3)
	v_mov_b32_e32 v17, v2
	v_cmpx_gt_u32_e32 8, v39
; %bb.2527:                             ;   in Loop: Header=BB354_1574 Depth=1
	v_clz_i32_u32_e32 v17, v2
	s_delay_alu instid0(VALU_DEP_1) | instskip(NEXT) | instid1(VALU_DEP_1)
	v_min_u32_e32 v37, 32, v17
	v_subrev_nc_u32_e32 v17, 28, v37
	v_sub_nc_u32_e32 v37, 29, v37
	s_delay_alu instid0(VALU_DEP_2) | instskip(NEXT) | instid1(VALU_DEP_1)
	v_lshlrev_b64 v[17:18], v17, v[2:3]
	v_and_b32_e32 v17, 7, v17
; %bb.2528:                             ;   in Loop: Header=BB354_1574 Depth=1
	s_or_b32 exec_lo, exec_lo, s16
	v_lshlrev_b32_e32 v2, 8, v23
	v_lshl_add_u32 v18, v37, 10, 0x2000
	s_delay_alu instid0(VALU_DEP_1) | instskip(NEXT) | instid1(VALU_DEP_1)
	v_and_or_b32 v2, 0x8000, v2, v18
	v_lshl_or_b32 v2, v17, 7, v2
	s_delay_alu instid0(VALU_DEP_1)
	v_cvt_f32_f16_e32 v37, v2
.LBB354_2529:                           ;   in Loop: Header=BB354_1574 Depth=1
	s_or_b32 exec_lo, exec_lo, s15
.LBB354_2530:                           ;   in Loop: Header=BB354_1574 Depth=1
	s_delay_alu instid0(SALU_CYCLE_1)
	s_or_b32 exec_lo, exec_lo, s13
.LBB354_2531:                           ;   in Loop: Header=BB354_1574 Depth=1
	s_delay_alu instid0(SALU_CYCLE_1) | instskip(SKIP_4) | instid1(VALU_DEP_3)
	s_or_b32 exec_lo, exec_lo, s12
	v_dual_mov_b32 v2, v14 :: v_dual_and_b32 v17, 0xff, v14
	v_mov_b32_e32 v39, 0
	v_mov_b32_e32 v23, 0
	s_mov_b32 s12, exec_lo
	v_cmpx_ne_u16_e32 0, v17
	s_cbranch_execz .LBB354_2539
; %bb.2532:                             ;   in Loop: Header=BB354_1574 Depth=1
	v_bfrev_b32_e32 v23, 1
	s_mov_b32 s13, exec_lo
	v_cmpx_ne_u16_e32 0x80, v17
	s_cbranch_execz .LBB354_2538
; %bb.2533:                             ;   in Loop: Header=BB354_1574 Depth=1
	v_and_b32_e32 v48, 0x7f, v14
	v_mov_b32_e32 v23, 0x7fc02000
	s_mov_b32 s15, exec_lo
	s_delay_alu instid0(VALU_DEP_2)
	v_cmpx_ne_u32_e32 0x7f, v48
	s_cbranch_execz .LBB354_2537
; %bb.2534:                             ;   in Loop: Header=BB354_1574 Depth=1
	v_dual_mov_b32 v18, v3 :: v_dual_mov_b32 v17, v2
	v_lshrrev_b32_e32 v18, 3, v48
	s_mov_b32 s16, exec_lo
	v_cmpx_gt_u32_e32 8, v48
; %bb.2535:                             ;   in Loop: Header=BB354_1574 Depth=1
	v_and_b32_e32 v17, 7, v14
	s_delay_alu instid0(VALU_DEP_1) | instskip(NEXT) | instid1(VALU_DEP_1)
	v_clz_i32_u32_e32 v17, v17
	v_min_u32_e32 v23, 32, v17
	s_delay_alu instid0(VALU_DEP_1) | instskip(NEXT) | instid1(VALU_DEP_1)
	v_subrev_nc_u32_e32 v17, 28, v23
	v_lshlrev_b64 v[17:18], v17, v[2:3]
	v_sub_nc_u32_e32 v18, 29, v23
; %bb.2536:                             ;   in Loop: Header=BB354_1574 Depth=1
	s_or_b32 exec_lo, exec_lo, s16
	v_lshlrev_b32_e32 v23, 8, v14
	s_delay_alu instid0(VALU_DEP_2) | instskip(NEXT) | instid1(VALU_DEP_4)
	v_lshl_add_u32 v18, v18, 10, 0x2000
	v_lshlrev_b32_e32 v17, 7, v17
	s_delay_alu instid0(VALU_DEP_2) | instskip(NEXT) | instid1(VALU_DEP_1)
	v_and_or_b32 v18, 0x8000, v23, v18
	v_and_or_b32 v17, 0x380, v17, v18
	s_delay_alu instid0(VALU_DEP_1)
	v_cvt_f32_f16_e32 v23, v17
.LBB354_2537:                           ;   in Loop: Header=BB354_1574 Depth=1
	s_or_b32 exec_lo, exec_lo, s15
.LBB354_2538:                           ;   in Loop: Header=BB354_1574 Depth=1
	s_delay_alu instid0(SALU_CYCLE_1)
	s_or_b32 exec_lo, exec_lo, s13
.LBB354_2539:                           ;   in Loop: Header=BB354_1574 Depth=1
	s_delay_alu instid0(SALU_CYCLE_1) | instskip(SKIP_2) | instid1(VALU_DEP_1)
	s_or_b32 exec_lo, exec_lo, s12
	v_lshrrev_b16 v2, 8, v2
	s_mov_b32 s12, exec_lo
	v_cmpx_ne_u16_e32 0, v2
	s_cbranch_execz .LBB354_2547
; %bb.2540:                             ;   in Loop: Header=BB354_1574 Depth=1
	v_bfrev_b32_e32 v39, 1
	s_mov_b32 s13, exec_lo
	v_cmpx_ne_u16_e32 0x80, v2
	s_cbranch_execz .LBB354_2546
; %bb.2541:                             ;   in Loop: Header=BB354_1574 Depth=1
	v_and_b32_e32 v48, 0xffff, v2
	v_mov_b32_e32 v39, 0x7fc02000
	s_mov_b32 s15, exec_lo
	s_delay_alu instid0(VALU_DEP_2) | instskip(NEXT) | instid1(VALU_DEP_1)
	v_and_b32_e32 v49, 0x7f, v48
	v_cmpx_ne_u32_e32 0x7f, v49
	s_cbranch_execz .LBB354_2545
; %bb.2542:                             ;   in Loop: Header=BB354_1574 Depth=1
	v_and_b32_e32 v2, 7, v48
	v_lshrrev_b32_e32 v39, 3, v49
	v_mov_b32_e32 v18, v3
	s_mov_b32 s16, exec_lo
	s_delay_alu instid0(VALU_DEP_3)
	v_mov_b32_e32 v17, v2
	v_cmpx_gt_u32_e32 8, v49
; %bb.2543:                             ;   in Loop: Header=BB354_1574 Depth=1
	v_clz_i32_u32_e32 v17, v2
	s_delay_alu instid0(VALU_DEP_1) | instskip(NEXT) | instid1(VALU_DEP_1)
	v_min_u32_e32 v39, 32, v17
	v_subrev_nc_u32_e32 v17, 28, v39
	v_sub_nc_u32_e32 v39, 29, v39
	s_delay_alu instid0(VALU_DEP_2) | instskip(NEXT) | instid1(VALU_DEP_1)
	v_lshlrev_b64 v[17:18], v17, v[2:3]
	v_and_b32_e32 v17, 7, v17
; %bb.2544:                             ;   in Loop: Header=BB354_1574 Depth=1
	s_or_b32 exec_lo, exec_lo, s16
	v_lshlrev_b32_e32 v2, 8, v48
	v_lshl_add_u32 v18, v39, 10, 0x2000
	s_delay_alu instid0(VALU_DEP_1) | instskip(NEXT) | instid1(VALU_DEP_1)
	v_and_or_b32 v2, 0x8000, v2, v18
	v_lshl_or_b32 v2, v17, 7, v2
	s_delay_alu instid0(VALU_DEP_1)
	v_cvt_f32_f16_e32 v39, v2
.LBB354_2545:                           ;   in Loop: Header=BB354_1574 Depth=1
	s_or_b32 exec_lo, exec_lo, s15
.LBB354_2546:                           ;   in Loop: Header=BB354_1574 Depth=1
	s_delay_alu instid0(SALU_CYCLE_1)
	s_or_b32 exec_lo, exec_lo, s13
.LBB354_2547:                           ;   in Loop: Header=BB354_1574 Depth=1
	s_delay_alu instid0(SALU_CYCLE_1) | instskip(SKIP_3) | instid1(VALU_DEP_2)
	s_or_b32 exec_lo, exec_lo, s12
	v_lshrrev_b32_e32 v49, 16, v14
	v_mov_b32_e32 v48, 0
	s_mov_b32 s12, exec_lo
	v_dual_mov_b32 v17, 0 :: v_dual_and_b32 v2, 0xff, v49
	s_delay_alu instid0(VALU_DEP_1)
	v_cmpx_ne_u16_e32 0, v2
	s_cbranch_execz .LBB354_2555
; %bb.2548:                             ;   in Loop: Header=BB354_1574 Depth=1
	v_bfrev_b32_e32 v17, 1
	s_mov_b32 s13, exec_lo
	v_cmpx_ne_u16_e32 0x80, v2
	s_cbranch_execz .LBB354_2554
; %bb.2549:                             ;   in Loop: Header=BB354_1574 Depth=1
	v_bfe_u32 v51, v14, 16, 7
	v_mov_b32_e32 v17, 0x7fc02000
	s_mov_b32 s15, exec_lo
	s_delay_alu instid0(VALU_DEP_2)
	v_cmpx_ne_u32_e32 0x7f, v51
	s_cbranch_execz .LBB354_2553
; %bb.2550:                             ;   in Loop: Header=BB354_1574 Depth=1
	v_and_b32_e32 v2, 7, v49
	v_lshrrev_b32_e32 v50, 3, v51
	v_mov_b32_e32 v18, v3
	s_mov_b32 s16, exec_lo
	s_delay_alu instid0(VALU_DEP_3)
	v_mov_b32_e32 v17, v2
	v_cmpx_gt_u32_e32 8, v51
; %bb.2551:                             ;   in Loop: Header=BB354_1574 Depth=1
	v_clz_i32_u32_e32 v17, v2
	s_delay_alu instid0(VALU_DEP_1) | instskip(NEXT) | instid1(VALU_DEP_1)
	v_min_u32_e32 v50, 32, v17
	v_subrev_nc_u32_e32 v17, 28, v50
	v_sub_nc_u32_e32 v50, 29, v50
	s_delay_alu instid0(VALU_DEP_2) | instskip(NEXT) | instid1(VALU_DEP_1)
	v_lshlrev_b64 v[17:18], v17, v[2:3]
	v_and_b32_e32 v17, 7, v17
; %bb.2552:                             ;   in Loop: Header=BB354_1574 Depth=1
	s_or_b32 exec_lo, exec_lo, s16
	v_lshlrev_b32_e32 v2, 8, v49
	v_lshl_add_u32 v18, v50, 10, 0x2000
	s_delay_alu instid0(VALU_DEP_1) | instskip(NEXT) | instid1(VALU_DEP_1)
	v_and_or_b32 v2, 0x8000, v2, v18
	v_lshl_or_b32 v2, v17, 7, v2
	s_delay_alu instid0(VALU_DEP_1)
	v_cvt_f32_f16_e32 v17, v2
.LBB354_2553:                           ;   in Loop: Header=BB354_1574 Depth=1
	s_or_b32 exec_lo, exec_lo, s15
.LBB354_2554:                           ;   in Loop: Header=BB354_1574 Depth=1
	s_delay_alu instid0(SALU_CYCLE_1)
	s_or_b32 exec_lo, exec_lo, s13
.LBB354_2555:                           ;   in Loop: Header=BB354_1574 Depth=1
	s_delay_alu instid0(SALU_CYCLE_1) | instskip(NEXT) | instid1(SALU_CYCLE_1)
	s_or_b32 exec_lo, exec_lo, s12
	s_mov_b32 s12, exec_lo
	v_cmpx_lt_u64_e64 s[8:9], v[13:14]
	s_cbranch_execz .LBB354_2563
; %bb.2556:                             ;   in Loop: Header=BB354_1574 Depth=1
	v_lshrrev_b32_e32 v18, 24, v14
	v_bfrev_b32_e32 v48, 1
	s_mov_b32 s13, exec_lo
	s_delay_alu instid0(VALU_DEP_2)
	v_cmpx_ne_u32_e32 0x80, v18
	s_cbranch_execz .LBB354_2562
; %bb.2557:                             ;   in Loop: Header=BB354_1574 Depth=1
	v_and_b32_e32 v49, 0x7f, v18
	v_mov_b32_e32 v48, 0x7fc02000
	s_mov_b32 s15, exec_lo
	s_delay_alu instid0(VALU_DEP_2)
	v_cmpx_ne_u32_e32 0x7f, v49
	s_cbranch_execz .LBB354_2561
; %bb.2558:                             ;   in Loop: Header=BB354_1574 Depth=1
	v_and_b32_e32 v2, 7, v18
	v_lshrrev_b32_e32 v48, 3, v49
	v_mov_b32_e32 v14, v3
	s_mov_b32 s16, exec_lo
	s_delay_alu instid0(VALU_DEP_3)
	v_mov_b32_e32 v13, v2
	v_cmpx_gt_u32_e32 8, v49
; %bb.2559:                             ;   in Loop: Header=BB354_1574 Depth=1
	v_clz_i32_u32_e32 v13, v2
	s_delay_alu instid0(VALU_DEP_1) | instskip(NEXT) | instid1(VALU_DEP_1)
	v_min_u32_e32 v48, 32, v13
	v_subrev_nc_u32_e32 v13, 28, v48
	v_sub_nc_u32_e32 v48, 29, v48
	s_delay_alu instid0(VALU_DEP_2) | instskip(NEXT) | instid1(VALU_DEP_1)
	v_lshlrev_b64 v[13:14], v13, v[2:3]
	v_and_b32_e32 v13, 7, v13
; %bb.2560:                             ;   in Loop: Header=BB354_1574 Depth=1
	s_or_b32 exec_lo, exec_lo, s16
	v_lshlrev_b32_e32 v2, 8, v18
	v_lshl_add_u32 v14, v48, 10, 0x2000
	s_delay_alu instid0(VALU_DEP_1) | instskip(NEXT) | instid1(VALU_DEP_1)
	v_and_or_b32 v2, 0x8000, v2, v14
	v_lshl_or_b32 v2, v13, 7, v2
	s_delay_alu instid0(VALU_DEP_1)
	v_cvt_f32_f16_e32 v48, v2
.LBB354_2561:                           ;   in Loop: Header=BB354_1574 Depth=1
	s_or_b32 exec_lo, exec_lo, s15
.LBB354_2562:                           ;   in Loop: Header=BB354_1574 Depth=1
	s_delay_alu instid0(SALU_CYCLE_1)
	s_or_b32 exec_lo, exec_lo, s13
.LBB354_2563:                           ;   in Loop: Header=BB354_1574 Depth=1
	s_delay_alu instid0(SALU_CYCLE_1)
	s_or_b32 exec_lo, exec_lo, s12
	s_waitcnt vmcnt(0) lgkmcnt(0)
	v_fma_mixlo_f16 v6, v4, v6, 0
	v_fma_mixlo_f16 v2, v4, v37, 0
	;; [unrolled: 1-line block ×5, first 2 shown]
	v_lshlrev_b32_e32 v14, 16, v6
	v_fma_mixlo_f16 v6, v4, v5, 0
	v_fma_mixlo_f16 v23, v4, v48, 0
	;; [unrolled: 1-line block ×3, first 2 shown]
	v_lshlrev_b32_e32 v2, 16, v2
	v_and_b32_e32 v13, 0xffff, v13
	v_and_b32_e32 v4, 0xffff, v6
	v_lshlrev_b32_e32 v17, 16, v18
	v_and_b32_e32 v18, 0xffff, v22
	v_lshlrev_b32_e32 v22, 16, v23
	v_and_b32_e32 v23, 0xffff, v5
	v_or_b32_e32 v6, v2, v13
	v_or_b32_e32 v13, v14, v4
	;; [unrolled: 1-line block ×3, first 2 shown]
	s_delay_alu instid0(VALU_DEP_4)
	v_or_b32_e32 v4, v22, v23
	s_and_saveexec_b32 s12, vcc_lo
	s_cbranch_execz .LBB354_2565
; %bb.2564:                             ;   in Loop: Header=BB354_1574 Depth=1
	v_cmp_lt_i32_e64 s0, v119, v38
	v_lshrrev_b32_e32 v14, 16, v13
	v_lshrrev_b32_e32 v17, 16, v6
	;; [unrolled: 1-line block ×4, first 2 shown]
	v_cndmask_b32_e64 v13, 0, v13, s0
	v_cmp_lt_i32_e64 s0, v134, v55
	s_delay_alu instid0(VALU_DEP_1) | instskip(SKIP_1) | instid1(VALU_DEP_2)
	v_cndmask_b32_e64 v14, 0, v14, s0
	v_cmp_lt_i32_e64 s0, v133, v55
	v_perm_b32 v13, v14, v13, 0x5040100
	s_delay_alu instid0(VALU_DEP_2) | instskip(SKIP_1) | instid1(VALU_DEP_1)
	v_cndmask_b32_e64 v17, 0, v17, s0
	v_cmp_lt_i32_e64 s0, v132, v38
	v_cndmask_b32_e64 v6, 0, v6, s0
	v_cmp_lt_i32_e64 s0, v131, v55
	s_delay_alu instid0(VALU_DEP_2) | instskip(NEXT) | instid1(VALU_DEP_2)
	v_perm_b32 v6, v17, v6, 0x5040100
	v_cndmask_b32_e64 v18, 0, v18, s0
	v_cmp_lt_i32_e64 s0, v130, v38
	s_delay_alu instid0(VALU_DEP_1) | instskip(SKIP_1) | instid1(VALU_DEP_2)
	v_cndmask_b32_e64 v2, 0, v2, s0
	v_cmp_lt_i32_e64 s0, v129, v55
	v_perm_b32 v2, v18, v2, 0x5040100
	s_delay_alu instid0(VALU_DEP_2) | instskip(SKIP_1) | instid1(VALU_DEP_1)
	v_cndmask_b32_e64 v4, 0, v4, s0
	v_cmp_lt_i32_e64 s0, v128, v38
	v_cndmask_b32_e64 v5, 0, v5, s0
	s_delay_alu instid0(VALU_DEP_1)
	v_perm_b32 v4, v4, v5, 0x5040100
.LBB354_2565:                           ;   in Loop: Header=BB354_1574 Depth=1
	s_or_b32 exec_lo, exec_lo, s12
	;;#ASMSTART
	v_pk_mul_f16 v5, v118, v13;

	;;#ASMEND
	;;#ASMSTART
	v_pk_mul_f16 v6, v117, v6;

	;;#ASMEND
	;; [unrolled: 4-line block ×4, first 2 shown]
	;;#ASMSTART
	v_pk_add_f16 v5, v5, v6;

	;;#ASMEND
	;;#ASMSTART
	v_pk_add_f16 v2, v5, v2;

	;;#ASMEND
	;; [unrolled: 4-line block ×3, first 2 shown]
	v_dual_mov_b32 v5, 0 :: v_dual_and_b32 v4, 0xffff, v2
	v_lshrrev_b32_e32 v2, 16, v2
	;;#ASMSTART
	v_cvt_f32_f16 v17, v4;
	;;#ASMEND
	;;#ASMSTART
	v_cvt_f32_f16 v18, v2;
	;;#ASMEND
	flat_load_b64 v[11:12], v[11:12] offset:3840
	flat_load_b32 v4, v[26:27]
	v_mov_b32_e32 v6, 0
	s_mov_b32 s12, exec_lo
	s_waitcnt vmcnt(1) lgkmcnt(1)
	v_and_b32_e32 v2, 0xff, v11
	s_delay_alu instid0(VALU_DEP_1)
	v_cmpx_ne_u16_e32 0, v2
	s_cbranch_execz .LBB354_2573
; %bb.2566:                             ;   in Loop: Header=BB354_1574 Depth=1
	v_bfrev_b32_e32 v5, 1
	s_mov_b32 s13, exec_lo
	v_cmpx_ne_u16_e32 0x80, v2
	s_cbranch_execz .LBB354_2572
; %bb.2567:                             ;   in Loop: Header=BB354_1574 Depth=1
	v_and_b32_e32 v13, 0x7f, v11
	v_mov_b32_e32 v5, 0x7fc02000
	s_mov_b32 s15, exec_lo
	s_delay_alu instid0(VALU_DEP_2)
	v_cmpx_ne_u32_e32 0x7f, v13
	s_cbranch_execz .LBB354_2571
; %bb.2568:                             ;   in Loop: Header=BB354_1574 Depth=1
	v_lshrrev_b32_e32 v2, 3, v13
	v_cmp_gt_u32_e64 s0, 8, v13
	v_dual_mov_b32 v14, v12 :: v_dual_mov_b32 v13, v11
	s_delay_alu instid0(VALU_DEP_2)
	s_and_saveexec_b32 s16, s0
; %bb.2569:                             ;   in Loop: Header=BB354_1574 Depth=1
	v_and_b32_e32 v2, 7, v11
	s_delay_alu instid0(VALU_DEP_1) | instskip(NEXT) | instid1(VALU_DEP_1)
	v_clz_i32_u32_e32 v2, v2
	v_min_u32_e32 v2, 32, v2
	s_delay_alu instid0(VALU_DEP_1) | instskip(SKIP_1) | instid1(VALU_DEP_2)
	v_subrev_nc_u32_e32 v5, 28, v2
	v_sub_nc_u32_e32 v2, 29, v2
	v_lshlrev_b64 v[13:14], v5, v[11:12]
; %bb.2570:                             ;   in Loop: Header=BB354_1574 Depth=1
	s_or_b32 exec_lo, exec_lo, s16
	v_lshlrev_b32_e32 v5, 8, v11
	s_delay_alu instid0(VALU_DEP_3) | instskip(NEXT) | instid1(VALU_DEP_3)
	v_lshl_add_u32 v2, v2, 10, 0x2000
	v_lshlrev_b32_e32 v13, 7, v13
	s_delay_alu instid0(VALU_DEP_2) | instskip(NEXT) | instid1(VALU_DEP_1)
	v_and_or_b32 v2, 0x8000, v5, v2
	v_and_or_b32 v2, 0x380, v13, v2
	s_delay_alu instid0(VALU_DEP_1)
	v_cvt_f32_f16_e32 v5, v2
.LBB354_2571:                           ;   in Loop: Header=BB354_1574 Depth=1
	s_or_b32 exec_lo, exec_lo, s15
.LBB354_2572:                           ;   in Loop: Header=BB354_1574 Depth=1
	s_delay_alu instid0(SALU_CYCLE_1)
	s_or_b32 exec_lo, exec_lo, s13
.LBB354_2573:                           ;   in Loop: Header=BB354_1574 Depth=1
	s_delay_alu instid0(SALU_CYCLE_1) | instskip(SKIP_2) | instid1(VALU_DEP_1)
	s_or_b32 exec_lo, exec_lo, s12
	v_lshrrev_b16 v2, 8, v11
	s_mov_b32 s12, exec_lo
	v_cmpx_ne_u16_e32 0, v2
	s_cbranch_execz .LBB354_2581
; %bb.2574:                             ;   in Loop: Header=BB354_1574 Depth=1
	v_bfrev_b32_e32 v6, 1
	s_mov_b32 s13, exec_lo
	v_cmpx_ne_u16_e32 0x80, v2
	s_cbranch_execz .LBB354_2580
; %bb.2575:                             ;   in Loop: Header=BB354_1574 Depth=1
	v_and_b32_e32 v22, 0xffff, v2
	v_mov_b32_e32 v6, 0x7fc02000
	s_mov_b32 s15, exec_lo
	s_delay_alu instid0(VALU_DEP_2) | instskip(NEXT) | instid1(VALU_DEP_1)
	v_and_b32_e32 v23, 0x7f, v22
	v_cmpx_ne_u32_e32 0x7f, v23
	s_cbranch_execz .LBB354_2579
; %bb.2576:                             ;   in Loop: Header=BB354_1574 Depth=1
	v_and_b32_e32 v2, 7, v22
	v_lshrrev_b32_e32 v6, 3, v23
	v_mov_b32_e32 v14, v3
	s_mov_b32 s16, exec_lo
	s_delay_alu instid0(VALU_DEP_3)
	v_mov_b32_e32 v13, v2
	v_cmpx_gt_u32_e32 8, v23
; %bb.2577:                             ;   in Loop: Header=BB354_1574 Depth=1
	v_clz_i32_u32_e32 v6, v2
	s_delay_alu instid0(VALU_DEP_1) | instskip(NEXT) | instid1(VALU_DEP_1)
	v_min_u32_e32 v6, 32, v6
	v_subrev_nc_u32_e32 v13, 28, v6
	v_sub_nc_u32_e32 v6, 29, v6
	s_delay_alu instid0(VALU_DEP_2) | instskip(NEXT) | instid1(VALU_DEP_1)
	v_lshlrev_b64 v[13:14], v13, v[2:3]
	v_and_b32_e32 v13, 7, v13
; %bb.2578:                             ;   in Loop: Header=BB354_1574 Depth=1
	s_or_b32 exec_lo, exec_lo, s16
	v_lshlrev_b32_e32 v2, 8, v22
	v_lshl_add_u32 v6, v6, 10, 0x2000
	s_delay_alu instid0(VALU_DEP_1) | instskip(NEXT) | instid1(VALU_DEP_1)
	v_and_or_b32 v2, 0x8000, v2, v6
	v_lshl_or_b32 v2, v13, 7, v2
	s_delay_alu instid0(VALU_DEP_1)
	v_cvt_f32_f16_e32 v6, v2
.LBB354_2579:                           ;   in Loop: Header=BB354_1574 Depth=1
	s_or_b32 exec_lo, exec_lo, s15
.LBB354_2580:                           ;   in Loop: Header=BB354_1574 Depth=1
	s_delay_alu instid0(SALU_CYCLE_1)
	s_or_b32 exec_lo, exec_lo, s13
.LBB354_2581:                           ;   in Loop: Header=BB354_1574 Depth=1
	s_delay_alu instid0(SALU_CYCLE_1) | instskip(SKIP_3) | instid1(VALU_DEP_2)
	s_or_b32 exec_lo, exec_lo, s12
	v_lshrrev_b32_e32 v23, 16, v11
	v_mov_b32_e32 v22, 0
	s_mov_b32 s12, exec_lo
	v_dual_mov_b32 v37, 0 :: v_dual_and_b32 v2, 0xff, v23
	s_delay_alu instid0(VALU_DEP_1)
	v_cmpx_ne_u16_e32 0, v2
	s_cbranch_execz .LBB354_2589
; %bb.2582:                             ;   in Loop: Header=BB354_1574 Depth=1
	v_bfrev_b32_e32 v22, 1
	s_mov_b32 s13, exec_lo
	v_cmpx_ne_u16_e32 0x80, v2
	s_cbranch_execz .LBB354_2588
; %bb.2583:                             ;   in Loop: Header=BB354_1574 Depth=1
	v_bfe_u32 v39, v11, 16, 7
	v_mov_b32_e32 v22, 0x7fc02000
	s_mov_b32 s15, exec_lo
	s_delay_alu instid0(VALU_DEP_2)
	v_cmpx_ne_u32_e32 0x7f, v39
	s_cbranch_execz .LBB354_2587
; %bb.2584:                             ;   in Loop: Header=BB354_1574 Depth=1
	v_and_b32_e32 v2, 7, v23
	v_lshrrev_b32_e32 v22, 3, v39
	v_mov_b32_e32 v14, v3
	s_mov_b32 s16, exec_lo
	s_delay_alu instid0(VALU_DEP_3)
	v_mov_b32_e32 v13, v2
	v_cmpx_gt_u32_e32 8, v39
; %bb.2585:                             ;   in Loop: Header=BB354_1574 Depth=1
	v_clz_i32_u32_e32 v13, v2
	s_delay_alu instid0(VALU_DEP_1) | instskip(NEXT) | instid1(VALU_DEP_1)
	v_min_u32_e32 v22, 32, v13
	v_subrev_nc_u32_e32 v13, 28, v22
	v_sub_nc_u32_e32 v22, 29, v22
	s_delay_alu instid0(VALU_DEP_2) | instskip(NEXT) | instid1(VALU_DEP_1)
	v_lshlrev_b64 v[13:14], v13, v[2:3]
	v_and_b32_e32 v13, 7, v13
; %bb.2586:                             ;   in Loop: Header=BB354_1574 Depth=1
	s_or_b32 exec_lo, exec_lo, s16
	v_lshlrev_b32_e32 v2, 8, v23
	v_lshl_add_u32 v14, v22, 10, 0x2000
	s_delay_alu instid0(VALU_DEP_1) | instskip(NEXT) | instid1(VALU_DEP_1)
	v_and_or_b32 v2, 0x8000, v2, v14
	v_lshl_or_b32 v2, v13, 7, v2
	s_delay_alu instid0(VALU_DEP_1)
	v_cvt_f32_f16_e32 v22, v2
.LBB354_2587:                           ;   in Loop: Header=BB354_1574 Depth=1
	s_or_b32 exec_lo, exec_lo, s15
.LBB354_2588:                           ;   in Loop: Header=BB354_1574 Depth=1
	s_delay_alu instid0(SALU_CYCLE_1)
	s_or_b32 exec_lo, exec_lo, s13
.LBB354_2589:                           ;   in Loop: Header=BB354_1574 Depth=1
	s_delay_alu instid0(SALU_CYCLE_1) | instskip(NEXT) | instid1(SALU_CYCLE_1)
	s_or_b32 exec_lo, exec_lo, s12
	s_mov_b32 s12, exec_lo
	v_cmpx_lt_u32_e32 0xffffff, v11
	s_cbranch_execz .LBB354_2597
; %bb.2590:                             ;   in Loop: Header=BB354_1574 Depth=1
	v_lshrrev_b32_e32 v23, 24, v11
	v_bfrev_b32_e32 v37, 1
	s_mov_b32 s13, exec_lo
	s_delay_alu instid0(VALU_DEP_2)
	v_cmpx_ne_u32_e32 0x80, v23
	s_cbranch_execz .LBB354_2596
; %bb.2591:                             ;   in Loop: Header=BB354_1574 Depth=1
	v_and_b32_e32 v39, 0x7f, v23
	v_mov_b32_e32 v37, 0x7fc02000
	s_mov_b32 s15, exec_lo
	s_delay_alu instid0(VALU_DEP_2)
	v_cmpx_ne_u32_e32 0x7f, v39
	s_cbranch_execz .LBB354_2595
; %bb.2592:                             ;   in Loop: Header=BB354_1574 Depth=1
	v_and_b32_e32 v2, 7, v23
	v_lshrrev_b32_e32 v37, 3, v39
	v_mov_b32_e32 v14, v3
	s_mov_b32 s16, exec_lo
	s_delay_alu instid0(VALU_DEP_3)
	v_mov_b32_e32 v13, v2
	v_cmpx_gt_u32_e32 8, v39
; %bb.2593:                             ;   in Loop: Header=BB354_1574 Depth=1
	v_clz_i32_u32_e32 v13, v2
	s_delay_alu instid0(VALU_DEP_1) | instskip(NEXT) | instid1(VALU_DEP_1)
	v_min_u32_e32 v37, 32, v13
	v_subrev_nc_u32_e32 v13, 28, v37
	v_sub_nc_u32_e32 v37, 29, v37
	s_delay_alu instid0(VALU_DEP_2) | instskip(NEXT) | instid1(VALU_DEP_1)
	v_lshlrev_b64 v[13:14], v13, v[2:3]
	v_and_b32_e32 v13, 7, v13
; %bb.2594:                             ;   in Loop: Header=BB354_1574 Depth=1
	s_or_b32 exec_lo, exec_lo, s16
	v_lshlrev_b32_e32 v2, 8, v23
	v_lshl_add_u32 v14, v37, 10, 0x2000
	s_delay_alu instid0(VALU_DEP_1) | instskip(NEXT) | instid1(VALU_DEP_1)
	v_and_or_b32 v2, 0x8000, v2, v14
	v_lshl_or_b32 v2, v13, 7, v2
	s_delay_alu instid0(VALU_DEP_1)
	v_cvt_f32_f16_e32 v37, v2
.LBB354_2595:                           ;   in Loop: Header=BB354_1574 Depth=1
	s_or_b32 exec_lo, exec_lo, s15
.LBB354_2596:                           ;   in Loop: Header=BB354_1574 Depth=1
	s_delay_alu instid0(SALU_CYCLE_1)
	s_or_b32 exec_lo, exec_lo, s13
.LBB354_2597:                           ;   in Loop: Header=BB354_1574 Depth=1
	s_delay_alu instid0(SALU_CYCLE_1) | instskip(SKIP_4) | instid1(VALU_DEP_3)
	s_or_b32 exec_lo, exec_lo, s12
	v_dual_mov_b32 v2, v12 :: v_dual_and_b32 v13, 0xff, v12
	v_mov_b32_e32 v39, 0
	v_mov_b32_e32 v23, 0
	s_mov_b32 s12, exec_lo
	v_cmpx_ne_u16_e32 0, v13
	s_cbranch_execz .LBB354_2605
; %bb.2598:                             ;   in Loop: Header=BB354_1574 Depth=1
	v_bfrev_b32_e32 v23, 1
	s_mov_b32 s13, exec_lo
	v_cmpx_ne_u16_e32 0x80, v13
	s_cbranch_execz .LBB354_2604
; %bb.2599:                             ;   in Loop: Header=BB354_1574 Depth=1
	v_and_b32_e32 v48, 0x7f, v12
	v_mov_b32_e32 v23, 0x7fc02000
	s_mov_b32 s15, exec_lo
	s_delay_alu instid0(VALU_DEP_2)
	v_cmpx_ne_u32_e32 0x7f, v48
	s_cbranch_execz .LBB354_2603
; %bb.2600:                             ;   in Loop: Header=BB354_1574 Depth=1
	v_dual_mov_b32 v14, v3 :: v_dual_mov_b32 v13, v2
	v_lshrrev_b32_e32 v14, 3, v48
	s_mov_b32 s16, exec_lo
	v_cmpx_gt_u32_e32 8, v48
; %bb.2601:                             ;   in Loop: Header=BB354_1574 Depth=1
	v_and_b32_e32 v13, 7, v12
	s_delay_alu instid0(VALU_DEP_1) | instskip(NEXT) | instid1(VALU_DEP_1)
	v_clz_i32_u32_e32 v13, v13
	v_min_u32_e32 v23, 32, v13
	s_delay_alu instid0(VALU_DEP_1) | instskip(NEXT) | instid1(VALU_DEP_1)
	v_subrev_nc_u32_e32 v13, 28, v23
	v_lshlrev_b64 v[13:14], v13, v[2:3]
	v_sub_nc_u32_e32 v14, 29, v23
; %bb.2602:                             ;   in Loop: Header=BB354_1574 Depth=1
	s_or_b32 exec_lo, exec_lo, s16
	v_lshlrev_b32_e32 v23, 8, v12
	s_delay_alu instid0(VALU_DEP_2) | instskip(NEXT) | instid1(VALU_DEP_4)
	v_lshl_add_u32 v14, v14, 10, 0x2000
	v_lshlrev_b32_e32 v13, 7, v13
	s_delay_alu instid0(VALU_DEP_2) | instskip(NEXT) | instid1(VALU_DEP_1)
	v_and_or_b32 v14, 0x8000, v23, v14
	v_and_or_b32 v13, 0x380, v13, v14
	s_delay_alu instid0(VALU_DEP_1)
	v_cvt_f32_f16_e32 v23, v13
.LBB354_2603:                           ;   in Loop: Header=BB354_1574 Depth=1
	s_or_b32 exec_lo, exec_lo, s15
.LBB354_2604:                           ;   in Loop: Header=BB354_1574 Depth=1
	s_delay_alu instid0(SALU_CYCLE_1)
	s_or_b32 exec_lo, exec_lo, s13
.LBB354_2605:                           ;   in Loop: Header=BB354_1574 Depth=1
	s_delay_alu instid0(SALU_CYCLE_1) | instskip(SKIP_2) | instid1(VALU_DEP_1)
	s_or_b32 exec_lo, exec_lo, s12
	v_lshrrev_b16 v2, 8, v2
	s_mov_b32 s12, exec_lo
	v_cmpx_ne_u16_e32 0, v2
	s_cbranch_execz .LBB354_2613
; %bb.2606:                             ;   in Loop: Header=BB354_1574 Depth=1
	v_bfrev_b32_e32 v39, 1
	s_mov_b32 s13, exec_lo
	v_cmpx_ne_u16_e32 0x80, v2
	s_cbranch_execz .LBB354_2612
; %bb.2607:                             ;   in Loop: Header=BB354_1574 Depth=1
	v_and_b32_e32 v48, 0xffff, v2
	v_mov_b32_e32 v39, 0x7fc02000
	s_mov_b32 s15, exec_lo
	s_delay_alu instid0(VALU_DEP_2) | instskip(NEXT) | instid1(VALU_DEP_1)
	v_and_b32_e32 v49, 0x7f, v48
	v_cmpx_ne_u32_e32 0x7f, v49
	s_cbranch_execz .LBB354_2611
; %bb.2608:                             ;   in Loop: Header=BB354_1574 Depth=1
	v_and_b32_e32 v2, 7, v48
	v_lshrrev_b32_e32 v39, 3, v49
	v_mov_b32_e32 v14, v3
	s_mov_b32 s16, exec_lo
	s_delay_alu instid0(VALU_DEP_3)
	v_mov_b32_e32 v13, v2
	v_cmpx_gt_u32_e32 8, v49
; %bb.2609:                             ;   in Loop: Header=BB354_1574 Depth=1
	v_clz_i32_u32_e32 v13, v2
	s_delay_alu instid0(VALU_DEP_1) | instskip(NEXT) | instid1(VALU_DEP_1)
	v_min_u32_e32 v39, 32, v13
	v_subrev_nc_u32_e32 v13, 28, v39
	v_sub_nc_u32_e32 v39, 29, v39
	s_delay_alu instid0(VALU_DEP_2) | instskip(NEXT) | instid1(VALU_DEP_1)
	v_lshlrev_b64 v[13:14], v13, v[2:3]
	v_and_b32_e32 v13, 7, v13
; %bb.2610:                             ;   in Loop: Header=BB354_1574 Depth=1
	s_or_b32 exec_lo, exec_lo, s16
	v_lshlrev_b32_e32 v2, 8, v48
	v_lshl_add_u32 v14, v39, 10, 0x2000
	s_delay_alu instid0(VALU_DEP_1) | instskip(NEXT) | instid1(VALU_DEP_1)
	v_and_or_b32 v2, 0x8000, v2, v14
	v_lshl_or_b32 v2, v13, 7, v2
	s_delay_alu instid0(VALU_DEP_1)
	v_cvt_f32_f16_e32 v39, v2
.LBB354_2611:                           ;   in Loop: Header=BB354_1574 Depth=1
	s_or_b32 exec_lo, exec_lo, s15
.LBB354_2612:                           ;   in Loop: Header=BB354_1574 Depth=1
	s_delay_alu instid0(SALU_CYCLE_1)
	s_or_b32 exec_lo, exec_lo, s13
.LBB354_2613:                           ;   in Loop: Header=BB354_1574 Depth=1
	s_delay_alu instid0(SALU_CYCLE_1) | instskip(SKIP_3) | instid1(VALU_DEP_2)
	s_or_b32 exec_lo, exec_lo, s12
	v_lshrrev_b32_e32 v49, 16, v12
	v_mov_b32_e32 v48, 0
	s_mov_b32 s12, exec_lo
	v_dual_mov_b32 v13, 0 :: v_dual_and_b32 v2, 0xff, v49
	s_delay_alu instid0(VALU_DEP_1)
	v_cmpx_ne_u16_e32 0, v2
	s_cbranch_execz .LBB354_2621
; %bb.2614:                             ;   in Loop: Header=BB354_1574 Depth=1
	v_bfrev_b32_e32 v13, 1
	s_mov_b32 s13, exec_lo
	v_cmpx_ne_u16_e32 0x80, v2
	s_cbranch_execz .LBB354_2620
; %bb.2615:                             ;   in Loop: Header=BB354_1574 Depth=1
	v_bfe_u32 v51, v12, 16, 7
	v_mov_b32_e32 v13, 0x7fc02000
	s_mov_b32 s15, exec_lo
	s_delay_alu instid0(VALU_DEP_2)
	v_cmpx_ne_u32_e32 0x7f, v51
	s_cbranch_execz .LBB354_2619
; %bb.2616:                             ;   in Loop: Header=BB354_1574 Depth=1
	v_and_b32_e32 v2, 7, v49
	v_lshrrev_b32_e32 v50, 3, v51
	v_mov_b32_e32 v14, v3
	s_mov_b32 s16, exec_lo
	s_delay_alu instid0(VALU_DEP_3)
	v_mov_b32_e32 v13, v2
	v_cmpx_gt_u32_e32 8, v51
; %bb.2617:                             ;   in Loop: Header=BB354_1574 Depth=1
	v_clz_i32_u32_e32 v13, v2
	s_delay_alu instid0(VALU_DEP_1) | instskip(NEXT) | instid1(VALU_DEP_1)
	v_min_u32_e32 v50, 32, v13
	v_subrev_nc_u32_e32 v13, 28, v50
	v_sub_nc_u32_e32 v50, 29, v50
	s_delay_alu instid0(VALU_DEP_2) | instskip(NEXT) | instid1(VALU_DEP_1)
	v_lshlrev_b64 v[13:14], v13, v[2:3]
	v_and_b32_e32 v13, 7, v13
; %bb.2618:                             ;   in Loop: Header=BB354_1574 Depth=1
	s_or_b32 exec_lo, exec_lo, s16
	v_lshlrev_b32_e32 v2, 8, v49
	v_lshl_add_u32 v14, v50, 10, 0x2000
	s_delay_alu instid0(VALU_DEP_1) | instskip(NEXT) | instid1(VALU_DEP_1)
	v_and_or_b32 v2, 0x8000, v2, v14
	v_lshl_or_b32 v2, v13, 7, v2
	s_delay_alu instid0(VALU_DEP_1)
	v_cvt_f32_f16_e32 v13, v2
.LBB354_2619:                           ;   in Loop: Header=BB354_1574 Depth=1
	s_or_b32 exec_lo, exec_lo, s15
.LBB354_2620:                           ;   in Loop: Header=BB354_1574 Depth=1
	s_delay_alu instid0(SALU_CYCLE_1)
	s_or_b32 exec_lo, exec_lo, s13
.LBB354_2621:                           ;   in Loop: Header=BB354_1574 Depth=1
	s_delay_alu instid0(SALU_CYCLE_1) | instskip(NEXT) | instid1(SALU_CYCLE_1)
	s_or_b32 exec_lo, exec_lo, s12
	s_mov_b32 s12, exec_lo
	v_cmpx_lt_u64_e64 s[8:9], v[11:12]
	s_cbranch_execz .LBB354_2629
; %bb.2622:                             ;   in Loop: Header=BB354_1574 Depth=1
	v_lshrrev_b32_e32 v14, 24, v12
	v_bfrev_b32_e32 v48, 1
	s_mov_b32 s13, exec_lo
	s_delay_alu instid0(VALU_DEP_2)
	v_cmpx_ne_u32_e32 0x80, v14
	s_cbranch_execz .LBB354_2628
; %bb.2623:                             ;   in Loop: Header=BB354_1574 Depth=1
	v_and_b32_e32 v49, 0x7f, v14
	v_mov_b32_e32 v48, 0x7fc02000
	s_mov_b32 s15, exec_lo
	s_delay_alu instid0(VALU_DEP_2)
	v_cmpx_ne_u32_e32 0x7f, v49
	s_cbranch_execz .LBB354_2627
; %bb.2624:                             ;   in Loop: Header=BB354_1574 Depth=1
	v_and_b32_e32 v2, 7, v14
	v_lshrrev_b32_e32 v48, 3, v49
	v_mov_b32_e32 v12, v3
	s_mov_b32 s16, exec_lo
	s_delay_alu instid0(VALU_DEP_3)
	v_mov_b32_e32 v11, v2
	v_cmpx_gt_u32_e32 8, v49
; %bb.2625:                             ;   in Loop: Header=BB354_1574 Depth=1
	v_clz_i32_u32_e32 v11, v2
	s_delay_alu instid0(VALU_DEP_1) | instskip(NEXT) | instid1(VALU_DEP_1)
	v_min_u32_e32 v48, 32, v11
	v_subrev_nc_u32_e32 v11, 28, v48
	v_sub_nc_u32_e32 v48, 29, v48
	s_delay_alu instid0(VALU_DEP_2) | instskip(NEXT) | instid1(VALU_DEP_1)
	v_lshlrev_b64 v[11:12], v11, v[2:3]
	v_and_b32_e32 v11, 7, v11
; %bb.2626:                             ;   in Loop: Header=BB354_1574 Depth=1
	s_or_b32 exec_lo, exec_lo, s16
	v_lshlrev_b32_e32 v2, 8, v14
	v_lshl_add_u32 v12, v48, 10, 0x2000
	s_delay_alu instid0(VALU_DEP_1) | instskip(NEXT) | instid1(VALU_DEP_1)
	v_and_or_b32 v2, 0x8000, v2, v12
	v_lshl_or_b32 v2, v11, 7, v2
	s_delay_alu instid0(VALU_DEP_1)
	v_cvt_f32_f16_e32 v48, v2
.LBB354_2627:                           ;   in Loop: Header=BB354_1574 Depth=1
	s_or_b32 exec_lo, exec_lo, s15
.LBB354_2628:                           ;   in Loop: Header=BB354_1574 Depth=1
	s_delay_alu instid0(SALU_CYCLE_1)
	s_or_b32 exec_lo, exec_lo, s13
.LBB354_2629:                           ;   in Loop: Header=BB354_1574 Depth=1
	s_delay_alu instid0(SALU_CYCLE_1)
	s_or_b32 exec_lo, exec_lo, s12
	s_waitcnt vmcnt(0) lgkmcnt(0)
	v_fma_mixlo_f16 v6, v4, v6, 0
	v_fma_mixlo_f16 v2, v4, v37, 0
	;; [unrolled: 1-line block ×5, first 2 shown]
	v_lshlrev_b32_e32 v12, 16, v6
	v_fma_mixlo_f16 v6, v4, v5, 0
	v_fma_mixlo_f16 v23, v4, v48, 0
	;; [unrolled: 1-line block ×3, first 2 shown]
	v_lshlrev_b32_e32 v2, 16, v2
	v_and_b32_e32 v11, 0xffff, v11
	v_and_b32_e32 v4, 0xffff, v6
	v_lshlrev_b32_e32 v13, 16, v14
	v_and_b32_e32 v14, 0xffff, v22
	v_lshlrev_b32_e32 v22, 16, v23
	v_and_b32_e32 v23, 0xffff, v5
	v_or_b32_e32 v6, v2, v11
	v_or_b32_e32 v11, v12, v4
	;; [unrolled: 1-line block ×3, first 2 shown]
	s_delay_alu instid0(VALU_DEP_4)
	v_or_b32_e32 v4, v22, v23
	s_and_saveexec_b32 s12, vcc_lo
	s_cbranch_execz .LBB354_2631
; %bb.2630:                             ;   in Loop: Header=BB354_1574 Depth=1
	v_cmp_lt_i32_e64 s0, v119, v38
	v_lshrrev_b32_e32 v12, 16, v11
	v_lshrrev_b32_e32 v13, 16, v6
	v_lshrrev_b32_e32 v14, 16, v2
	v_lshrrev_b32_e32 v4, 16, v4
	v_cndmask_b32_e64 v11, 0, v11, s0
	v_cmp_lt_i32_e64 s0, v134, v55
	s_delay_alu instid0(VALU_DEP_1) | instskip(SKIP_1) | instid1(VALU_DEP_2)
	v_cndmask_b32_e64 v12, 0, v12, s0
	v_cmp_lt_i32_e64 s0, v133, v55
	v_perm_b32 v11, v12, v11, 0x5040100
	s_delay_alu instid0(VALU_DEP_2) | instskip(SKIP_1) | instid1(VALU_DEP_1)
	v_cndmask_b32_e64 v13, 0, v13, s0
	v_cmp_lt_i32_e64 s0, v132, v38
	v_cndmask_b32_e64 v6, 0, v6, s0
	v_cmp_lt_i32_e64 s0, v131, v55
	s_delay_alu instid0(VALU_DEP_2) | instskip(NEXT) | instid1(VALU_DEP_2)
	v_perm_b32 v6, v13, v6, 0x5040100
	v_cndmask_b32_e64 v14, 0, v14, s0
	v_cmp_lt_i32_e64 s0, v130, v38
	s_delay_alu instid0(VALU_DEP_1) | instskip(SKIP_1) | instid1(VALU_DEP_2)
	v_cndmask_b32_e64 v2, 0, v2, s0
	v_cmp_lt_i32_e64 s0, v129, v55
	v_perm_b32 v2, v14, v2, 0x5040100
	s_delay_alu instid0(VALU_DEP_2) | instskip(SKIP_1) | instid1(VALU_DEP_1)
	v_cndmask_b32_e64 v4, 0, v4, s0
	v_cmp_lt_i32_e64 s0, v128, v38
	v_cndmask_b32_e64 v5, 0, v5, s0
	s_delay_alu instid0(VALU_DEP_1)
	v_perm_b32 v4, v4, v5, 0x5040100
.LBB354_2631:                           ;   in Loop: Header=BB354_1574 Depth=1
	s_or_b32 exec_lo, exec_lo, s12
	;;#ASMSTART
	v_pk_mul_f16 v5, v118, v11;

	;;#ASMEND
	;;#ASMSTART
	v_pk_mul_f16 v6, v117, v6;

	;;#ASMEND
	;; [unrolled: 4-line block ×4, first 2 shown]
	;;#ASMSTART
	v_pk_add_f16 v5, v5, v6;

	;;#ASMEND
	;;#ASMSTART
	v_pk_add_f16 v2, v5, v2;

	;;#ASMEND
	;; [unrolled: 4-line block ×3, first 2 shown]
	v_add_co_u32 v4, s0, v9, v19
	s_delay_alu instid0(VALU_DEP_1)
	v_add_co_ci_u32_e64 v5, s0, 0, v10, s0
	v_lshrrev_b32_e32 v6, 16, v2
	v_and_b32_e32 v2, 0xffff, v2
	;;#ASMSTART
	v_cvt_f32_f16 v41, v2;
	;;#ASMEND
	;;#ASMSTART
	v_cvt_f32_f16 v42, v6;
	;;#ASMEND
	flat_load_b64 v[11:12], v[4:5]
	flat_load_b32 v4, v[26:27]
	v_dual_mov_b32 v5, 0 :: v_dual_mov_b32 v6, 0
	s_mov_b32 s12, exec_lo
	s_waitcnt vmcnt(1) lgkmcnt(1)
	v_and_b32_e32 v2, 0xff, v11
	s_delay_alu instid0(VALU_DEP_1)
	v_cmpx_ne_u16_e32 0, v2
	s_cbranch_execz .LBB354_2639
; %bb.2632:                             ;   in Loop: Header=BB354_1574 Depth=1
	v_bfrev_b32_e32 v5, 1
	s_mov_b32 s13, exec_lo
	v_cmpx_ne_u16_e32 0x80, v2
	s_cbranch_execz .LBB354_2638
; %bb.2633:                             ;   in Loop: Header=BB354_1574 Depth=1
	v_and_b32_e32 v13, 0x7f, v11
	v_mov_b32_e32 v5, 0x7fc02000
	s_mov_b32 s15, exec_lo
	s_delay_alu instid0(VALU_DEP_2)
	v_cmpx_ne_u32_e32 0x7f, v13
	s_cbranch_execz .LBB354_2637
; %bb.2634:                             ;   in Loop: Header=BB354_1574 Depth=1
	v_lshrrev_b32_e32 v2, 3, v13
	v_cmp_gt_u32_e64 s0, 8, v13
	v_dual_mov_b32 v14, v12 :: v_dual_mov_b32 v13, v11
	s_delay_alu instid0(VALU_DEP_2)
	s_and_saveexec_b32 s16, s0
; %bb.2635:                             ;   in Loop: Header=BB354_1574 Depth=1
	v_and_b32_e32 v2, 7, v11
	s_delay_alu instid0(VALU_DEP_1) | instskip(NEXT) | instid1(VALU_DEP_1)
	v_clz_i32_u32_e32 v2, v2
	v_min_u32_e32 v2, 32, v2
	s_delay_alu instid0(VALU_DEP_1) | instskip(SKIP_1) | instid1(VALU_DEP_2)
	v_subrev_nc_u32_e32 v5, 28, v2
	v_sub_nc_u32_e32 v2, 29, v2
	v_lshlrev_b64 v[13:14], v5, v[11:12]
; %bb.2636:                             ;   in Loop: Header=BB354_1574 Depth=1
	s_or_b32 exec_lo, exec_lo, s16
	v_lshlrev_b32_e32 v5, 8, v11
	s_delay_alu instid0(VALU_DEP_3) | instskip(NEXT) | instid1(VALU_DEP_3)
	v_lshl_add_u32 v2, v2, 10, 0x2000
	v_lshlrev_b32_e32 v13, 7, v13
	s_delay_alu instid0(VALU_DEP_2) | instskip(NEXT) | instid1(VALU_DEP_1)
	v_and_or_b32 v2, 0x8000, v5, v2
	v_and_or_b32 v2, 0x380, v13, v2
	s_delay_alu instid0(VALU_DEP_1)
	v_cvt_f32_f16_e32 v5, v2
.LBB354_2637:                           ;   in Loop: Header=BB354_1574 Depth=1
	s_or_b32 exec_lo, exec_lo, s15
.LBB354_2638:                           ;   in Loop: Header=BB354_1574 Depth=1
	s_delay_alu instid0(SALU_CYCLE_1)
	s_or_b32 exec_lo, exec_lo, s13
.LBB354_2639:                           ;   in Loop: Header=BB354_1574 Depth=1
	s_delay_alu instid0(SALU_CYCLE_1) | instskip(SKIP_2) | instid1(VALU_DEP_1)
	s_or_b32 exec_lo, exec_lo, s12
	v_lshrrev_b16 v2, 8, v11
	s_mov_b32 s12, exec_lo
	v_cmpx_ne_u16_e32 0, v2
	s_cbranch_execz .LBB354_2647
; %bb.2640:                             ;   in Loop: Header=BB354_1574 Depth=1
	v_bfrev_b32_e32 v6, 1
	s_mov_b32 s13, exec_lo
	v_cmpx_ne_u16_e32 0x80, v2
	s_cbranch_execz .LBB354_2646
; %bb.2641:                             ;   in Loop: Header=BB354_1574 Depth=1
	v_and_b32_e32 v22, 0xffff, v2
	v_mov_b32_e32 v6, 0x7fc02000
	s_mov_b32 s15, exec_lo
	s_delay_alu instid0(VALU_DEP_2) | instskip(NEXT) | instid1(VALU_DEP_1)
	v_and_b32_e32 v23, 0x7f, v22
	v_cmpx_ne_u32_e32 0x7f, v23
	s_cbranch_execz .LBB354_2645
; %bb.2642:                             ;   in Loop: Header=BB354_1574 Depth=1
	v_and_b32_e32 v2, 7, v22
	v_lshrrev_b32_e32 v6, 3, v23
	v_mov_b32_e32 v14, v3
	s_mov_b32 s16, exec_lo
	s_delay_alu instid0(VALU_DEP_3)
	v_mov_b32_e32 v13, v2
	v_cmpx_gt_u32_e32 8, v23
; %bb.2643:                             ;   in Loop: Header=BB354_1574 Depth=1
	v_clz_i32_u32_e32 v6, v2
	s_delay_alu instid0(VALU_DEP_1) | instskip(NEXT) | instid1(VALU_DEP_1)
	v_min_u32_e32 v6, 32, v6
	v_subrev_nc_u32_e32 v13, 28, v6
	v_sub_nc_u32_e32 v6, 29, v6
	s_delay_alu instid0(VALU_DEP_2) | instskip(NEXT) | instid1(VALU_DEP_1)
	v_lshlrev_b64 v[13:14], v13, v[2:3]
	v_and_b32_e32 v13, 7, v13
; %bb.2644:                             ;   in Loop: Header=BB354_1574 Depth=1
	s_or_b32 exec_lo, exec_lo, s16
	v_lshlrev_b32_e32 v2, 8, v22
	v_lshl_add_u32 v6, v6, 10, 0x2000
	s_delay_alu instid0(VALU_DEP_1) | instskip(NEXT) | instid1(VALU_DEP_1)
	v_and_or_b32 v2, 0x8000, v2, v6
	v_lshl_or_b32 v2, v13, 7, v2
	s_delay_alu instid0(VALU_DEP_1)
	v_cvt_f32_f16_e32 v6, v2
.LBB354_2645:                           ;   in Loop: Header=BB354_1574 Depth=1
	s_or_b32 exec_lo, exec_lo, s15
.LBB354_2646:                           ;   in Loop: Header=BB354_1574 Depth=1
	s_delay_alu instid0(SALU_CYCLE_1)
	s_or_b32 exec_lo, exec_lo, s13
.LBB354_2647:                           ;   in Loop: Header=BB354_1574 Depth=1
	s_delay_alu instid0(SALU_CYCLE_1) | instskip(SKIP_3) | instid1(VALU_DEP_2)
	s_or_b32 exec_lo, exec_lo, s12
	v_lshrrev_b32_e32 v23, 16, v11
	v_mov_b32_e32 v22, 0
	s_mov_b32 s12, exec_lo
	v_dual_mov_b32 v37, 0 :: v_dual_and_b32 v2, 0xff, v23
	s_delay_alu instid0(VALU_DEP_1)
	v_cmpx_ne_u16_e32 0, v2
	s_cbranch_execz .LBB354_2655
; %bb.2648:                             ;   in Loop: Header=BB354_1574 Depth=1
	v_bfrev_b32_e32 v22, 1
	s_mov_b32 s13, exec_lo
	v_cmpx_ne_u16_e32 0x80, v2
	s_cbranch_execz .LBB354_2654
; %bb.2649:                             ;   in Loop: Header=BB354_1574 Depth=1
	v_bfe_u32 v39, v11, 16, 7
	v_mov_b32_e32 v22, 0x7fc02000
	s_mov_b32 s15, exec_lo
	s_delay_alu instid0(VALU_DEP_2)
	v_cmpx_ne_u32_e32 0x7f, v39
	s_cbranch_execz .LBB354_2653
; %bb.2650:                             ;   in Loop: Header=BB354_1574 Depth=1
	v_and_b32_e32 v2, 7, v23
	v_lshrrev_b32_e32 v22, 3, v39
	v_mov_b32_e32 v14, v3
	s_mov_b32 s16, exec_lo
	s_delay_alu instid0(VALU_DEP_3)
	v_mov_b32_e32 v13, v2
	v_cmpx_gt_u32_e32 8, v39
; %bb.2651:                             ;   in Loop: Header=BB354_1574 Depth=1
	v_clz_i32_u32_e32 v13, v2
	s_delay_alu instid0(VALU_DEP_1) | instskip(NEXT) | instid1(VALU_DEP_1)
	v_min_u32_e32 v22, 32, v13
	v_subrev_nc_u32_e32 v13, 28, v22
	v_sub_nc_u32_e32 v22, 29, v22
	s_delay_alu instid0(VALU_DEP_2) | instskip(NEXT) | instid1(VALU_DEP_1)
	v_lshlrev_b64 v[13:14], v13, v[2:3]
	v_and_b32_e32 v13, 7, v13
; %bb.2652:                             ;   in Loop: Header=BB354_1574 Depth=1
	s_or_b32 exec_lo, exec_lo, s16
	v_lshlrev_b32_e32 v2, 8, v23
	v_lshl_add_u32 v14, v22, 10, 0x2000
	s_delay_alu instid0(VALU_DEP_1) | instskip(NEXT) | instid1(VALU_DEP_1)
	v_and_or_b32 v2, 0x8000, v2, v14
	v_lshl_or_b32 v2, v13, 7, v2
	s_delay_alu instid0(VALU_DEP_1)
	v_cvt_f32_f16_e32 v22, v2
.LBB354_2653:                           ;   in Loop: Header=BB354_1574 Depth=1
	s_or_b32 exec_lo, exec_lo, s15
.LBB354_2654:                           ;   in Loop: Header=BB354_1574 Depth=1
	s_delay_alu instid0(SALU_CYCLE_1)
	s_or_b32 exec_lo, exec_lo, s13
.LBB354_2655:                           ;   in Loop: Header=BB354_1574 Depth=1
	s_delay_alu instid0(SALU_CYCLE_1) | instskip(NEXT) | instid1(SALU_CYCLE_1)
	s_or_b32 exec_lo, exec_lo, s12
	s_mov_b32 s12, exec_lo
	v_cmpx_lt_u32_e32 0xffffff, v11
	s_cbranch_execz .LBB354_2663
; %bb.2656:                             ;   in Loop: Header=BB354_1574 Depth=1
	v_lshrrev_b32_e32 v23, 24, v11
	v_bfrev_b32_e32 v37, 1
	s_mov_b32 s13, exec_lo
	s_delay_alu instid0(VALU_DEP_2)
	v_cmpx_ne_u32_e32 0x80, v23
	s_cbranch_execz .LBB354_2662
; %bb.2657:                             ;   in Loop: Header=BB354_1574 Depth=1
	v_and_b32_e32 v39, 0x7f, v23
	v_mov_b32_e32 v37, 0x7fc02000
	s_mov_b32 s15, exec_lo
	s_delay_alu instid0(VALU_DEP_2)
	v_cmpx_ne_u32_e32 0x7f, v39
	s_cbranch_execz .LBB354_2661
; %bb.2658:                             ;   in Loop: Header=BB354_1574 Depth=1
	v_and_b32_e32 v2, 7, v23
	v_lshrrev_b32_e32 v37, 3, v39
	v_mov_b32_e32 v14, v3
	s_mov_b32 s16, exec_lo
	s_delay_alu instid0(VALU_DEP_3)
	v_mov_b32_e32 v13, v2
	v_cmpx_gt_u32_e32 8, v39
; %bb.2659:                             ;   in Loop: Header=BB354_1574 Depth=1
	v_clz_i32_u32_e32 v13, v2
	s_delay_alu instid0(VALU_DEP_1) | instskip(NEXT) | instid1(VALU_DEP_1)
	v_min_u32_e32 v37, 32, v13
	v_subrev_nc_u32_e32 v13, 28, v37
	v_sub_nc_u32_e32 v37, 29, v37
	s_delay_alu instid0(VALU_DEP_2) | instskip(NEXT) | instid1(VALU_DEP_1)
	v_lshlrev_b64 v[13:14], v13, v[2:3]
	v_and_b32_e32 v13, 7, v13
; %bb.2660:                             ;   in Loop: Header=BB354_1574 Depth=1
	s_or_b32 exec_lo, exec_lo, s16
	v_lshlrev_b32_e32 v2, 8, v23
	v_lshl_add_u32 v14, v37, 10, 0x2000
	s_delay_alu instid0(VALU_DEP_1) | instskip(NEXT) | instid1(VALU_DEP_1)
	v_and_or_b32 v2, 0x8000, v2, v14
	v_lshl_or_b32 v2, v13, 7, v2
	s_delay_alu instid0(VALU_DEP_1)
	v_cvt_f32_f16_e32 v37, v2
.LBB354_2661:                           ;   in Loop: Header=BB354_1574 Depth=1
	s_or_b32 exec_lo, exec_lo, s15
.LBB354_2662:                           ;   in Loop: Header=BB354_1574 Depth=1
	s_delay_alu instid0(SALU_CYCLE_1)
	s_or_b32 exec_lo, exec_lo, s13
.LBB354_2663:                           ;   in Loop: Header=BB354_1574 Depth=1
	s_delay_alu instid0(SALU_CYCLE_1) | instskip(SKIP_4) | instid1(VALU_DEP_3)
	s_or_b32 exec_lo, exec_lo, s12
	v_dual_mov_b32 v2, v12 :: v_dual_and_b32 v13, 0xff, v12
	v_mov_b32_e32 v39, 0
	v_mov_b32_e32 v23, 0
	s_mov_b32 s12, exec_lo
	v_cmpx_ne_u16_e32 0, v13
	s_cbranch_execz .LBB354_2671
; %bb.2664:                             ;   in Loop: Header=BB354_1574 Depth=1
	v_bfrev_b32_e32 v23, 1
	s_mov_b32 s13, exec_lo
	v_cmpx_ne_u16_e32 0x80, v13
	s_cbranch_execz .LBB354_2670
; %bb.2665:                             ;   in Loop: Header=BB354_1574 Depth=1
	v_and_b32_e32 v48, 0x7f, v12
	v_mov_b32_e32 v23, 0x7fc02000
	s_mov_b32 s15, exec_lo
	s_delay_alu instid0(VALU_DEP_2)
	v_cmpx_ne_u32_e32 0x7f, v48
	s_cbranch_execz .LBB354_2669
; %bb.2666:                             ;   in Loop: Header=BB354_1574 Depth=1
	v_dual_mov_b32 v14, v3 :: v_dual_mov_b32 v13, v2
	v_lshrrev_b32_e32 v14, 3, v48
	s_mov_b32 s16, exec_lo
	v_cmpx_gt_u32_e32 8, v48
; %bb.2667:                             ;   in Loop: Header=BB354_1574 Depth=1
	v_and_b32_e32 v13, 7, v12
	s_delay_alu instid0(VALU_DEP_1) | instskip(NEXT) | instid1(VALU_DEP_1)
	v_clz_i32_u32_e32 v13, v13
	v_min_u32_e32 v23, 32, v13
	s_delay_alu instid0(VALU_DEP_1) | instskip(NEXT) | instid1(VALU_DEP_1)
	v_subrev_nc_u32_e32 v13, 28, v23
	v_lshlrev_b64 v[13:14], v13, v[2:3]
	v_sub_nc_u32_e32 v14, 29, v23
; %bb.2668:                             ;   in Loop: Header=BB354_1574 Depth=1
	s_or_b32 exec_lo, exec_lo, s16
	v_lshlrev_b32_e32 v23, 8, v12
	s_delay_alu instid0(VALU_DEP_2) | instskip(NEXT) | instid1(VALU_DEP_4)
	v_lshl_add_u32 v14, v14, 10, 0x2000
	v_lshlrev_b32_e32 v13, 7, v13
	s_delay_alu instid0(VALU_DEP_2) | instskip(NEXT) | instid1(VALU_DEP_1)
	v_and_or_b32 v14, 0x8000, v23, v14
	v_and_or_b32 v13, 0x380, v13, v14
	s_delay_alu instid0(VALU_DEP_1)
	v_cvt_f32_f16_e32 v23, v13
.LBB354_2669:                           ;   in Loop: Header=BB354_1574 Depth=1
	s_or_b32 exec_lo, exec_lo, s15
.LBB354_2670:                           ;   in Loop: Header=BB354_1574 Depth=1
	s_delay_alu instid0(SALU_CYCLE_1)
	s_or_b32 exec_lo, exec_lo, s13
.LBB354_2671:                           ;   in Loop: Header=BB354_1574 Depth=1
	s_delay_alu instid0(SALU_CYCLE_1) | instskip(SKIP_2) | instid1(VALU_DEP_1)
	s_or_b32 exec_lo, exec_lo, s12
	v_lshrrev_b16 v2, 8, v2
	s_mov_b32 s12, exec_lo
	v_cmpx_ne_u16_e32 0, v2
	s_cbranch_execz .LBB354_2679
; %bb.2672:                             ;   in Loop: Header=BB354_1574 Depth=1
	v_bfrev_b32_e32 v39, 1
	s_mov_b32 s13, exec_lo
	v_cmpx_ne_u16_e32 0x80, v2
	s_cbranch_execz .LBB354_2678
; %bb.2673:                             ;   in Loop: Header=BB354_1574 Depth=1
	v_and_b32_e32 v48, 0xffff, v2
	v_mov_b32_e32 v39, 0x7fc02000
	s_mov_b32 s15, exec_lo
	s_delay_alu instid0(VALU_DEP_2) | instskip(NEXT) | instid1(VALU_DEP_1)
	v_and_b32_e32 v49, 0x7f, v48
	v_cmpx_ne_u32_e32 0x7f, v49
	s_cbranch_execz .LBB354_2677
; %bb.2674:                             ;   in Loop: Header=BB354_1574 Depth=1
	v_and_b32_e32 v2, 7, v48
	v_lshrrev_b32_e32 v39, 3, v49
	v_mov_b32_e32 v14, v3
	s_mov_b32 s16, exec_lo
	s_delay_alu instid0(VALU_DEP_3)
	v_mov_b32_e32 v13, v2
	v_cmpx_gt_u32_e32 8, v49
; %bb.2675:                             ;   in Loop: Header=BB354_1574 Depth=1
	v_clz_i32_u32_e32 v13, v2
	s_delay_alu instid0(VALU_DEP_1) | instskip(NEXT) | instid1(VALU_DEP_1)
	v_min_u32_e32 v39, 32, v13
	v_subrev_nc_u32_e32 v13, 28, v39
	v_sub_nc_u32_e32 v39, 29, v39
	s_delay_alu instid0(VALU_DEP_2) | instskip(NEXT) | instid1(VALU_DEP_1)
	v_lshlrev_b64 v[13:14], v13, v[2:3]
	v_and_b32_e32 v13, 7, v13
; %bb.2676:                             ;   in Loop: Header=BB354_1574 Depth=1
	s_or_b32 exec_lo, exec_lo, s16
	v_lshlrev_b32_e32 v2, 8, v48
	v_lshl_add_u32 v14, v39, 10, 0x2000
	s_delay_alu instid0(VALU_DEP_1) | instskip(NEXT) | instid1(VALU_DEP_1)
	v_and_or_b32 v2, 0x8000, v2, v14
	v_lshl_or_b32 v2, v13, 7, v2
	s_delay_alu instid0(VALU_DEP_1)
	v_cvt_f32_f16_e32 v39, v2
.LBB354_2677:                           ;   in Loop: Header=BB354_1574 Depth=1
	s_or_b32 exec_lo, exec_lo, s15
.LBB354_2678:                           ;   in Loop: Header=BB354_1574 Depth=1
	s_delay_alu instid0(SALU_CYCLE_1)
	s_or_b32 exec_lo, exec_lo, s13
.LBB354_2679:                           ;   in Loop: Header=BB354_1574 Depth=1
	s_delay_alu instid0(SALU_CYCLE_1) | instskip(SKIP_3) | instid1(VALU_DEP_2)
	s_or_b32 exec_lo, exec_lo, s12
	v_lshrrev_b32_e32 v49, 16, v12
	v_mov_b32_e32 v48, 0
	s_mov_b32 s12, exec_lo
	v_dual_mov_b32 v13, 0 :: v_dual_and_b32 v2, 0xff, v49
	s_delay_alu instid0(VALU_DEP_1)
	v_cmpx_ne_u16_e32 0, v2
	s_cbranch_execz .LBB354_2687
; %bb.2680:                             ;   in Loop: Header=BB354_1574 Depth=1
	v_bfrev_b32_e32 v13, 1
	s_mov_b32 s13, exec_lo
	v_cmpx_ne_u16_e32 0x80, v2
	s_cbranch_execz .LBB354_2686
; %bb.2681:                             ;   in Loop: Header=BB354_1574 Depth=1
	v_bfe_u32 v51, v12, 16, 7
	v_mov_b32_e32 v13, 0x7fc02000
	s_mov_b32 s15, exec_lo
	s_delay_alu instid0(VALU_DEP_2)
	v_cmpx_ne_u32_e32 0x7f, v51
	s_cbranch_execz .LBB354_2685
; %bb.2682:                             ;   in Loop: Header=BB354_1574 Depth=1
	v_and_b32_e32 v2, 7, v49
	v_lshrrev_b32_e32 v50, 3, v51
	v_mov_b32_e32 v14, v3
	s_mov_b32 s16, exec_lo
	s_delay_alu instid0(VALU_DEP_3)
	v_mov_b32_e32 v13, v2
	v_cmpx_gt_u32_e32 8, v51
; %bb.2683:                             ;   in Loop: Header=BB354_1574 Depth=1
	v_clz_i32_u32_e32 v13, v2
	s_delay_alu instid0(VALU_DEP_1) | instskip(NEXT) | instid1(VALU_DEP_1)
	v_min_u32_e32 v50, 32, v13
	v_subrev_nc_u32_e32 v13, 28, v50
	v_sub_nc_u32_e32 v50, 29, v50
	s_delay_alu instid0(VALU_DEP_2) | instskip(NEXT) | instid1(VALU_DEP_1)
	v_lshlrev_b64 v[13:14], v13, v[2:3]
	v_and_b32_e32 v13, 7, v13
; %bb.2684:                             ;   in Loop: Header=BB354_1574 Depth=1
	s_or_b32 exec_lo, exec_lo, s16
	v_lshlrev_b32_e32 v2, 8, v49
	v_lshl_add_u32 v14, v50, 10, 0x2000
	s_delay_alu instid0(VALU_DEP_1) | instskip(NEXT) | instid1(VALU_DEP_1)
	v_and_or_b32 v2, 0x8000, v2, v14
	v_lshl_or_b32 v2, v13, 7, v2
	s_delay_alu instid0(VALU_DEP_1)
	v_cvt_f32_f16_e32 v13, v2
.LBB354_2685:                           ;   in Loop: Header=BB354_1574 Depth=1
	s_or_b32 exec_lo, exec_lo, s15
.LBB354_2686:                           ;   in Loop: Header=BB354_1574 Depth=1
	s_delay_alu instid0(SALU_CYCLE_1)
	s_or_b32 exec_lo, exec_lo, s13
.LBB354_2687:                           ;   in Loop: Header=BB354_1574 Depth=1
	s_delay_alu instid0(SALU_CYCLE_1) | instskip(NEXT) | instid1(SALU_CYCLE_1)
	s_or_b32 exec_lo, exec_lo, s12
	s_mov_b32 s12, exec_lo
	v_cmpx_lt_u64_e64 s[8:9], v[11:12]
	s_cbranch_execz .LBB354_2695
; %bb.2688:                             ;   in Loop: Header=BB354_1574 Depth=1
	v_lshrrev_b32_e32 v14, 24, v12
	v_bfrev_b32_e32 v48, 1
	s_mov_b32 s13, exec_lo
	s_delay_alu instid0(VALU_DEP_2)
	v_cmpx_ne_u32_e32 0x80, v14
	s_cbranch_execz .LBB354_2694
; %bb.2689:                             ;   in Loop: Header=BB354_1574 Depth=1
	v_and_b32_e32 v49, 0x7f, v14
	v_mov_b32_e32 v48, 0x7fc02000
	s_mov_b32 s15, exec_lo
	s_delay_alu instid0(VALU_DEP_2)
	v_cmpx_ne_u32_e32 0x7f, v49
	s_cbranch_execz .LBB354_2693
; %bb.2690:                             ;   in Loop: Header=BB354_1574 Depth=1
	v_and_b32_e32 v2, 7, v14
	v_lshrrev_b32_e32 v48, 3, v49
	v_mov_b32_e32 v12, v3
	s_mov_b32 s16, exec_lo
	s_delay_alu instid0(VALU_DEP_3)
	v_mov_b32_e32 v11, v2
	v_cmpx_gt_u32_e32 8, v49
; %bb.2691:                             ;   in Loop: Header=BB354_1574 Depth=1
	v_clz_i32_u32_e32 v11, v2
	s_delay_alu instid0(VALU_DEP_1) | instskip(NEXT) | instid1(VALU_DEP_1)
	v_min_u32_e32 v48, 32, v11
	v_subrev_nc_u32_e32 v11, 28, v48
	v_sub_nc_u32_e32 v48, 29, v48
	s_delay_alu instid0(VALU_DEP_2) | instskip(NEXT) | instid1(VALU_DEP_1)
	v_lshlrev_b64 v[11:12], v11, v[2:3]
	v_and_b32_e32 v11, 7, v11
; %bb.2692:                             ;   in Loop: Header=BB354_1574 Depth=1
	s_or_b32 exec_lo, exec_lo, s16
	v_lshlrev_b32_e32 v2, 8, v14
	v_lshl_add_u32 v12, v48, 10, 0x2000
	s_delay_alu instid0(VALU_DEP_1) | instskip(NEXT) | instid1(VALU_DEP_1)
	v_and_or_b32 v2, 0x8000, v2, v12
	v_lshl_or_b32 v2, v11, 7, v2
	s_delay_alu instid0(VALU_DEP_1)
	v_cvt_f32_f16_e32 v48, v2
.LBB354_2693:                           ;   in Loop: Header=BB354_1574 Depth=1
	s_or_b32 exec_lo, exec_lo, s15
.LBB354_2694:                           ;   in Loop: Header=BB354_1574 Depth=1
	s_delay_alu instid0(SALU_CYCLE_1)
	s_or_b32 exec_lo, exec_lo, s13
.LBB354_2695:                           ;   in Loop: Header=BB354_1574 Depth=1
	s_delay_alu instid0(SALU_CYCLE_1)
	s_or_b32 exec_lo, exec_lo, s12
	s_waitcnt vmcnt(0) lgkmcnt(0)
	v_fma_mixlo_f16 v6, v4, v6, 0
	v_fma_mixlo_f16 v2, v4, v37, 0
	v_fma_mixlo_f16 v11, v4, v22, 0
	v_fma_mixlo_f16 v14, v4, v39, 0
	v_fma_mixlo_f16 v22, v4, v23, 0
	v_lshlrev_b32_e32 v12, 16, v6
	v_fma_mixlo_f16 v6, v4, v5, 0
	v_fma_mixlo_f16 v23, v4, v48, 0
	;; [unrolled: 1-line block ×3, first 2 shown]
	v_lshlrev_b32_e32 v2, 16, v2
	v_and_b32_e32 v11, 0xffff, v11
	v_and_b32_e32 v4, 0xffff, v6
	v_lshlrev_b32_e32 v13, 16, v14
	v_and_b32_e32 v14, 0xffff, v22
	v_lshlrev_b32_e32 v22, 16, v23
	v_and_b32_e32 v23, 0xffff, v5
	v_or_b32_e32 v6, v2, v11
	v_or_b32_e32 v11, v12, v4
	;; [unrolled: 1-line block ×3, first 2 shown]
	s_delay_alu instid0(VALU_DEP_4)
	v_or_b32_e32 v4, v22, v23
	s_and_saveexec_b32 s12, vcc_lo
	s_cbranch_execz .LBB354_2697
; %bb.2696:                             ;   in Loop: Header=BB354_1574 Depth=1
	v_cmp_lt_i32_e64 s0, v119, v38
	v_lshrrev_b32_e32 v12, 16, v11
	v_lshrrev_b32_e32 v13, 16, v6
	;; [unrolled: 1-line block ×4, first 2 shown]
	v_cndmask_b32_e64 v11, 0, v11, s0
	v_cmp_lt_i32_e64 s0, v134, v55
	s_delay_alu instid0(VALU_DEP_1) | instskip(SKIP_1) | instid1(VALU_DEP_2)
	v_cndmask_b32_e64 v12, 0, v12, s0
	v_cmp_lt_i32_e64 s0, v133, v55
	v_perm_b32 v11, v12, v11, 0x5040100
	s_delay_alu instid0(VALU_DEP_2) | instskip(SKIP_1) | instid1(VALU_DEP_1)
	v_cndmask_b32_e64 v13, 0, v13, s0
	v_cmp_lt_i32_e64 s0, v132, v38
	v_cndmask_b32_e64 v6, 0, v6, s0
	v_cmp_lt_i32_e64 s0, v131, v55
	s_delay_alu instid0(VALU_DEP_2) | instskip(NEXT) | instid1(VALU_DEP_2)
	v_perm_b32 v6, v13, v6, 0x5040100
	v_cndmask_b32_e64 v14, 0, v14, s0
	v_cmp_lt_i32_e64 s0, v130, v38
	s_delay_alu instid0(VALU_DEP_1) | instskip(SKIP_1) | instid1(VALU_DEP_2)
	v_cndmask_b32_e64 v2, 0, v2, s0
	v_cmp_lt_i32_e64 s0, v129, v55
	v_perm_b32 v2, v14, v2, 0x5040100
	s_delay_alu instid0(VALU_DEP_2) | instskip(SKIP_1) | instid1(VALU_DEP_1)
	v_cndmask_b32_e64 v4, 0, v4, s0
	v_cmp_lt_i32_e64 s0, v128, v38
	v_cndmask_b32_e64 v5, 0, v5, s0
	s_delay_alu instid0(VALU_DEP_1)
	v_perm_b32 v4, v4, v5, 0x5040100
.LBB354_2697:                           ;   in Loop: Header=BB354_1574 Depth=1
	s_or_b32 exec_lo, exec_lo, s12
	;;#ASMSTART
	v_pk_mul_f16 v5, v118, v11;

	;;#ASMEND
	v_add_co_u32 v11, s0, v9, v97
	s_delay_alu instid0(VALU_DEP_1)
	v_add_co_ci_u32_e64 v12, s0, 0, v10, s0
	;;#ASMSTART
	v_pk_mul_f16 v6, v117, v6;

	;;#ASMEND
	;;#ASMSTART
	v_pk_mul_f16 v2, v116, v2;

	;;#ASMEND
	;; [unrolled: 4-line block ×3, first 2 shown]
	;;#ASMSTART
	v_pk_add_f16 v5, v5, v6;

	;;#ASMEND
	;;#ASMSTART
	v_pk_add_f16 v2, v5, v2;

	;;#ASMEND
	;; [unrolled: 4-line block ×3, first 2 shown]
	v_lshrrev_b32_e32 v5, 16, v2
	v_dual_mov_b32 v37, 0 :: v_dual_and_b32 v2, 0xffff, v2
	;;#ASMSTART
	v_cvt_f32_f16 v4, v2;
	;;#ASMEND
	;;#ASMSTART
	v_cvt_f32_f16 v5, v5;
	;;#ASMEND
	flat_load_b64 v[11:12], v[11:12]
	flat_load_b32 v6, v[26:27]
	v_mov_b32_e32 v22, 0
	s_mov_b32 s12, exec_lo
	s_waitcnt vmcnt(1) lgkmcnt(1)
	v_and_b32_e32 v2, 0xff, v11
	s_delay_alu instid0(VALU_DEP_1)
	v_cmpx_ne_u16_e32 0, v2
	s_cbranch_execz .LBB354_2705
; %bb.2698:                             ;   in Loop: Header=BB354_1574 Depth=1
	v_bfrev_b32_e32 v22, 1
	s_mov_b32 s13, exec_lo
	v_cmpx_ne_u16_e32 0x80, v2
	s_cbranch_execz .LBB354_2704
; %bb.2699:                             ;   in Loop: Header=BB354_1574 Depth=1
	v_and_b32_e32 v13, 0x7f, v11
	v_mov_b32_e32 v22, 0x7fc02000
	s_mov_b32 s15, exec_lo
	s_delay_alu instid0(VALU_DEP_2)
	v_cmpx_ne_u32_e32 0x7f, v13
	s_cbranch_execz .LBB354_2703
; %bb.2700:                             ;   in Loop: Header=BB354_1574 Depth=1
	v_lshrrev_b32_e32 v2, 3, v13
	v_cmp_gt_u32_e64 s0, 8, v13
	v_dual_mov_b32 v14, v12 :: v_dual_mov_b32 v13, v11
	s_delay_alu instid0(VALU_DEP_2)
	s_and_saveexec_b32 s16, s0
; %bb.2701:                             ;   in Loop: Header=BB354_1574 Depth=1
	v_and_b32_e32 v2, 7, v11
	s_delay_alu instid0(VALU_DEP_1) | instskip(NEXT) | instid1(VALU_DEP_1)
	v_clz_i32_u32_e32 v2, v2
	v_min_u32_e32 v2, 32, v2
	s_delay_alu instid0(VALU_DEP_1) | instskip(SKIP_1) | instid1(VALU_DEP_2)
	v_subrev_nc_u32_e32 v13, 28, v2
	v_sub_nc_u32_e32 v2, 29, v2
	v_lshlrev_b64 v[13:14], v13, v[11:12]
; %bb.2702:                             ;   in Loop: Header=BB354_1574 Depth=1
	s_or_b32 exec_lo, exec_lo, s16
	v_lshlrev_b32_e32 v14, 8, v11
	s_delay_alu instid0(VALU_DEP_3) | instskip(NEXT) | instid1(VALU_DEP_3)
	v_lshl_add_u32 v2, v2, 10, 0x2000
	v_lshlrev_b32_e32 v13, 7, v13
	s_delay_alu instid0(VALU_DEP_2) | instskip(NEXT) | instid1(VALU_DEP_1)
	v_and_or_b32 v2, 0x8000, v14, v2
	v_and_or_b32 v2, 0x380, v13, v2
	s_delay_alu instid0(VALU_DEP_1)
	v_cvt_f32_f16_e32 v22, v2
.LBB354_2703:                           ;   in Loop: Header=BB354_1574 Depth=1
	s_or_b32 exec_lo, exec_lo, s15
.LBB354_2704:                           ;   in Loop: Header=BB354_1574 Depth=1
	s_delay_alu instid0(SALU_CYCLE_1)
	s_or_b32 exec_lo, exec_lo, s13
.LBB354_2705:                           ;   in Loop: Header=BB354_1574 Depth=1
	s_delay_alu instid0(SALU_CYCLE_1) | instskip(SKIP_2) | instid1(VALU_DEP_1)
	s_or_b32 exec_lo, exec_lo, s12
	v_lshrrev_b16 v2, 8, v11
	s_mov_b32 s12, exec_lo
	v_cmpx_ne_u16_e32 0, v2
	s_cbranch_execz .LBB354_2713
; %bb.2706:                             ;   in Loop: Header=BB354_1574 Depth=1
	v_bfrev_b32_e32 v37, 1
	s_mov_b32 s13, exec_lo
	v_cmpx_ne_u16_e32 0x80, v2
	s_cbranch_execz .LBB354_2712
; %bb.2707:                             ;   in Loop: Header=BB354_1574 Depth=1
	v_and_b32_e32 v23, 0xffff, v2
	v_mov_b32_e32 v37, 0x7fc02000
	s_mov_b32 s15, exec_lo
	s_delay_alu instid0(VALU_DEP_2) | instskip(NEXT) | instid1(VALU_DEP_1)
	v_and_b32_e32 v39, 0x7f, v23
	v_cmpx_ne_u32_e32 0x7f, v39
	s_cbranch_execz .LBB354_2711
; %bb.2708:                             ;   in Loop: Header=BB354_1574 Depth=1
	v_and_b32_e32 v2, 7, v23
	v_lshrrev_b32_e32 v37, 3, v39
	v_mov_b32_e32 v14, v3
	s_mov_b32 s16, exec_lo
	s_delay_alu instid0(VALU_DEP_3)
	v_mov_b32_e32 v13, v2
	v_cmpx_gt_u32_e32 8, v39
; %bb.2709:                             ;   in Loop: Header=BB354_1574 Depth=1
	v_clz_i32_u32_e32 v13, v2
	s_delay_alu instid0(VALU_DEP_1) | instskip(NEXT) | instid1(VALU_DEP_1)
	v_min_u32_e32 v37, 32, v13
	v_subrev_nc_u32_e32 v13, 28, v37
	v_sub_nc_u32_e32 v37, 29, v37
	s_delay_alu instid0(VALU_DEP_2) | instskip(NEXT) | instid1(VALU_DEP_1)
	v_lshlrev_b64 v[13:14], v13, v[2:3]
	v_and_b32_e32 v13, 7, v13
; %bb.2710:                             ;   in Loop: Header=BB354_1574 Depth=1
	s_or_b32 exec_lo, exec_lo, s16
	v_lshlrev_b32_e32 v2, 8, v23
	v_lshl_add_u32 v14, v37, 10, 0x2000
	s_delay_alu instid0(VALU_DEP_1) | instskip(NEXT) | instid1(VALU_DEP_1)
	v_and_or_b32 v2, 0x8000, v2, v14
	v_lshl_or_b32 v2, v13, 7, v2
	s_delay_alu instid0(VALU_DEP_1)
	v_cvt_f32_f16_e32 v37, v2
.LBB354_2711:                           ;   in Loop: Header=BB354_1574 Depth=1
	s_or_b32 exec_lo, exec_lo, s15
.LBB354_2712:                           ;   in Loop: Header=BB354_1574 Depth=1
	s_delay_alu instid0(SALU_CYCLE_1)
	s_or_b32 exec_lo, exec_lo, s13
.LBB354_2713:                           ;   in Loop: Header=BB354_1574 Depth=1
	s_delay_alu instid0(SALU_CYCLE_1) | instskip(SKIP_3) | instid1(VALU_DEP_2)
	s_or_b32 exec_lo, exec_lo, s12
	v_lshrrev_b32_e32 v23, 16, v11
	v_mov_b32_e32 v48, 0
	s_mov_b32 s12, exec_lo
	v_dual_mov_b32 v39, 0 :: v_dual_and_b32 v2, 0xff, v23
	s_delay_alu instid0(VALU_DEP_1)
	v_cmpx_ne_u16_e32 0, v2
	s_cbranch_execz .LBB354_2721
; %bb.2714:                             ;   in Loop: Header=BB354_1574 Depth=1
	v_bfrev_b32_e32 v39, 1
	s_mov_b32 s13, exec_lo
	v_cmpx_ne_u16_e32 0x80, v2
	s_cbranch_execz .LBB354_2720
; %bb.2715:                             ;   in Loop: Header=BB354_1574 Depth=1
	v_bfe_u32 v49, v11, 16, 7
	v_mov_b32_e32 v39, 0x7fc02000
	s_mov_b32 s15, exec_lo
	s_delay_alu instid0(VALU_DEP_2)
	v_cmpx_ne_u32_e32 0x7f, v49
	s_cbranch_execz .LBB354_2719
; %bb.2716:                             ;   in Loop: Header=BB354_1574 Depth=1
	v_and_b32_e32 v2, 7, v23
	v_lshrrev_b32_e32 v39, 3, v49
	v_mov_b32_e32 v14, v3
	s_mov_b32 s16, exec_lo
	s_delay_alu instid0(VALU_DEP_3)
	v_mov_b32_e32 v13, v2
	v_cmpx_gt_u32_e32 8, v49
; %bb.2717:                             ;   in Loop: Header=BB354_1574 Depth=1
	v_clz_i32_u32_e32 v13, v2
	s_delay_alu instid0(VALU_DEP_1) | instskip(NEXT) | instid1(VALU_DEP_1)
	v_min_u32_e32 v39, 32, v13
	v_subrev_nc_u32_e32 v13, 28, v39
	v_sub_nc_u32_e32 v39, 29, v39
	s_delay_alu instid0(VALU_DEP_2) | instskip(NEXT) | instid1(VALU_DEP_1)
	v_lshlrev_b64 v[13:14], v13, v[2:3]
	v_and_b32_e32 v13, 7, v13
; %bb.2718:                             ;   in Loop: Header=BB354_1574 Depth=1
	s_or_b32 exec_lo, exec_lo, s16
	v_lshlrev_b32_e32 v2, 8, v23
	v_lshl_add_u32 v14, v39, 10, 0x2000
	s_delay_alu instid0(VALU_DEP_1) | instskip(NEXT) | instid1(VALU_DEP_1)
	v_and_or_b32 v2, 0x8000, v2, v14
	v_lshl_or_b32 v2, v13, 7, v2
	s_delay_alu instid0(VALU_DEP_1)
	v_cvt_f32_f16_e32 v39, v2
.LBB354_2719:                           ;   in Loop: Header=BB354_1574 Depth=1
	s_or_b32 exec_lo, exec_lo, s15
.LBB354_2720:                           ;   in Loop: Header=BB354_1574 Depth=1
	s_delay_alu instid0(SALU_CYCLE_1)
	s_or_b32 exec_lo, exec_lo, s13
.LBB354_2721:                           ;   in Loop: Header=BB354_1574 Depth=1
	s_delay_alu instid0(SALU_CYCLE_1) | instskip(NEXT) | instid1(SALU_CYCLE_1)
	s_or_b32 exec_lo, exec_lo, s12
	s_mov_b32 s12, exec_lo
	v_cmpx_lt_u32_e32 0xffffff, v11
	s_cbranch_execz .LBB354_2729
; %bb.2722:                             ;   in Loop: Header=BB354_1574 Depth=1
	v_lshrrev_b32_e32 v23, 24, v11
	v_bfrev_b32_e32 v48, 1
	s_mov_b32 s13, exec_lo
	s_delay_alu instid0(VALU_DEP_2)
	v_cmpx_ne_u32_e32 0x80, v23
	s_cbranch_execz .LBB354_2728
; %bb.2723:                             ;   in Loop: Header=BB354_1574 Depth=1
	v_and_b32_e32 v49, 0x7f, v23
	v_mov_b32_e32 v48, 0x7fc02000
	s_mov_b32 s15, exec_lo
	s_delay_alu instid0(VALU_DEP_2)
	v_cmpx_ne_u32_e32 0x7f, v49
	s_cbranch_execz .LBB354_2727
; %bb.2724:                             ;   in Loop: Header=BB354_1574 Depth=1
	v_and_b32_e32 v2, 7, v23
	v_lshrrev_b32_e32 v48, 3, v49
	v_mov_b32_e32 v14, v3
	s_mov_b32 s16, exec_lo
	s_delay_alu instid0(VALU_DEP_3)
	v_mov_b32_e32 v13, v2
	v_cmpx_gt_u32_e32 8, v49
; %bb.2725:                             ;   in Loop: Header=BB354_1574 Depth=1
	v_clz_i32_u32_e32 v13, v2
	s_delay_alu instid0(VALU_DEP_1) | instskip(NEXT) | instid1(VALU_DEP_1)
	v_min_u32_e32 v48, 32, v13
	v_subrev_nc_u32_e32 v13, 28, v48
	v_sub_nc_u32_e32 v48, 29, v48
	s_delay_alu instid0(VALU_DEP_2) | instskip(NEXT) | instid1(VALU_DEP_1)
	v_lshlrev_b64 v[13:14], v13, v[2:3]
	v_and_b32_e32 v13, 7, v13
; %bb.2726:                             ;   in Loop: Header=BB354_1574 Depth=1
	s_or_b32 exec_lo, exec_lo, s16
	v_lshlrev_b32_e32 v2, 8, v23
	v_lshl_add_u32 v14, v48, 10, 0x2000
	s_delay_alu instid0(VALU_DEP_1) | instskip(NEXT) | instid1(VALU_DEP_1)
	v_and_or_b32 v2, 0x8000, v2, v14
	v_lshl_or_b32 v2, v13, 7, v2
	s_delay_alu instid0(VALU_DEP_1)
	v_cvt_f32_f16_e32 v48, v2
.LBB354_2727:                           ;   in Loop: Header=BB354_1574 Depth=1
	s_or_b32 exec_lo, exec_lo, s15
.LBB354_2728:                           ;   in Loop: Header=BB354_1574 Depth=1
	s_delay_alu instid0(SALU_CYCLE_1)
	s_or_b32 exec_lo, exec_lo, s13
.LBB354_2729:                           ;   in Loop: Header=BB354_1574 Depth=1
	s_delay_alu instid0(SALU_CYCLE_1) | instskip(SKIP_4) | instid1(VALU_DEP_3)
	s_or_b32 exec_lo, exec_lo, s12
	v_dual_mov_b32 v2, v12 :: v_dual_and_b32 v13, 0xff, v12
	v_mov_b32_e32 v49, 0
	v_mov_b32_e32 v23, 0
	s_mov_b32 s12, exec_lo
	v_cmpx_ne_u16_e32 0, v13
	s_cbranch_execz .LBB354_2737
; %bb.2730:                             ;   in Loop: Header=BB354_1574 Depth=1
	v_bfrev_b32_e32 v23, 1
	s_mov_b32 s13, exec_lo
	v_cmpx_ne_u16_e32 0x80, v13
	s_cbranch_execz .LBB354_2736
; %bb.2731:                             ;   in Loop: Header=BB354_1574 Depth=1
	v_and_b32_e32 v50, 0x7f, v12
	v_mov_b32_e32 v23, 0x7fc02000
	s_mov_b32 s15, exec_lo
	s_delay_alu instid0(VALU_DEP_2)
	v_cmpx_ne_u32_e32 0x7f, v50
	s_cbranch_execz .LBB354_2735
; %bb.2732:                             ;   in Loop: Header=BB354_1574 Depth=1
	v_dual_mov_b32 v14, v3 :: v_dual_mov_b32 v13, v2
	v_lshrrev_b32_e32 v14, 3, v50
	s_mov_b32 s16, exec_lo
	v_cmpx_gt_u32_e32 8, v50
; %bb.2733:                             ;   in Loop: Header=BB354_1574 Depth=1
	v_and_b32_e32 v13, 7, v12
	s_delay_alu instid0(VALU_DEP_1) | instskip(NEXT) | instid1(VALU_DEP_1)
	v_clz_i32_u32_e32 v13, v13
	v_min_u32_e32 v23, 32, v13
	s_delay_alu instid0(VALU_DEP_1) | instskip(NEXT) | instid1(VALU_DEP_1)
	v_subrev_nc_u32_e32 v13, 28, v23
	v_lshlrev_b64 v[13:14], v13, v[2:3]
	v_sub_nc_u32_e32 v14, 29, v23
; %bb.2734:                             ;   in Loop: Header=BB354_1574 Depth=1
	s_or_b32 exec_lo, exec_lo, s16
	v_lshlrev_b32_e32 v23, 8, v12
	s_delay_alu instid0(VALU_DEP_2) | instskip(NEXT) | instid1(VALU_DEP_4)
	v_lshl_add_u32 v14, v14, 10, 0x2000
	v_lshlrev_b32_e32 v13, 7, v13
	s_delay_alu instid0(VALU_DEP_2) | instskip(NEXT) | instid1(VALU_DEP_1)
	v_and_or_b32 v14, 0x8000, v23, v14
	v_and_or_b32 v13, 0x380, v13, v14
	s_delay_alu instid0(VALU_DEP_1)
	v_cvt_f32_f16_e32 v23, v13
.LBB354_2735:                           ;   in Loop: Header=BB354_1574 Depth=1
	s_or_b32 exec_lo, exec_lo, s15
.LBB354_2736:                           ;   in Loop: Header=BB354_1574 Depth=1
	s_delay_alu instid0(SALU_CYCLE_1)
	s_or_b32 exec_lo, exec_lo, s13
.LBB354_2737:                           ;   in Loop: Header=BB354_1574 Depth=1
	s_delay_alu instid0(SALU_CYCLE_1) | instskip(SKIP_2) | instid1(VALU_DEP_1)
	s_or_b32 exec_lo, exec_lo, s12
	v_lshrrev_b16 v2, 8, v2
	s_mov_b32 s12, exec_lo
	v_cmpx_ne_u16_e32 0, v2
	s_cbranch_execz .LBB354_2745
; %bb.2738:                             ;   in Loop: Header=BB354_1574 Depth=1
	v_bfrev_b32_e32 v49, 1
	s_mov_b32 s13, exec_lo
	v_cmpx_ne_u16_e32 0x80, v2
	s_cbranch_execz .LBB354_2744
; %bb.2739:                             ;   in Loop: Header=BB354_1574 Depth=1
	v_and_b32_e32 v50, 0xffff, v2
	v_mov_b32_e32 v49, 0x7fc02000
	s_mov_b32 s15, exec_lo
	s_delay_alu instid0(VALU_DEP_2) | instskip(NEXT) | instid1(VALU_DEP_1)
	v_and_b32_e32 v51, 0x7f, v50
	v_cmpx_ne_u32_e32 0x7f, v51
	s_cbranch_execz .LBB354_2743
; %bb.2740:                             ;   in Loop: Header=BB354_1574 Depth=1
	v_and_b32_e32 v2, 7, v50
	v_lshrrev_b32_e32 v49, 3, v51
	v_mov_b32_e32 v14, v3
	s_mov_b32 s16, exec_lo
	s_delay_alu instid0(VALU_DEP_3)
	v_mov_b32_e32 v13, v2
	v_cmpx_gt_u32_e32 8, v51
; %bb.2741:                             ;   in Loop: Header=BB354_1574 Depth=1
	v_clz_i32_u32_e32 v13, v2
	s_delay_alu instid0(VALU_DEP_1) | instskip(NEXT) | instid1(VALU_DEP_1)
	v_min_u32_e32 v49, 32, v13
	v_subrev_nc_u32_e32 v13, 28, v49
	v_sub_nc_u32_e32 v49, 29, v49
	s_delay_alu instid0(VALU_DEP_2) | instskip(NEXT) | instid1(VALU_DEP_1)
	v_lshlrev_b64 v[13:14], v13, v[2:3]
	v_and_b32_e32 v13, 7, v13
; %bb.2742:                             ;   in Loop: Header=BB354_1574 Depth=1
	s_or_b32 exec_lo, exec_lo, s16
	v_lshlrev_b32_e32 v2, 8, v50
	v_lshl_add_u32 v14, v49, 10, 0x2000
	s_delay_alu instid0(VALU_DEP_1) | instskip(NEXT) | instid1(VALU_DEP_1)
	v_and_or_b32 v2, 0x8000, v2, v14
	v_lshl_or_b32 v2, v13, 7, v2
	s_delay_alu instid0(VALU_DEP_1)
	v_cvt_f32_f16_e32 v49, v2
.LBB354_2743:                           ;   in Loop: Header=BB354_1574 Depth=1
	s_or_b32 exec_lo, exec_lo, s15
.LBB354_2744:                           ;   in Loop: Header=BB354_1574 Depth=1
	s_delay_alu instid0(SALU_CYCLE_1)
	s_or_b32 exec_lo, exec_lo, s13
.LBB354_2745:                           ;   in Loop: Header=BB354_1574 Depth=1
	s_delay_alu instid0(SALU_CYCLE_1) | instskip(SKIP_3) | instid1(VALU_DEP_2)
	s_or_b32 exec_lo, exec_lo, s12
	v_lshrrev_b32_e32 v51, 16, v12
	v_mov_b32_e32 v50, 0
	s_mov_b32 s12, exec_lo
	v_dual_mov_b32 v13, 0 :: v_dual_and_b32 v2, 0xff, v51
	s_delay_alu instid0(VALU_DEP_1)
	v_cmpx_ne_u16_e32 0, v2
	s_cbranch_execz .LBB354_2753
; %bb.2746:                             ;   in Loop: Header=BB354_1574 Depth=1
	v_bfrev_b32_e32 v13, 1
	s_mov_b32 s13, exec_lo
	v_cmpx_ne_u16_e32 0x80, v2
	s_cbranch_execz .LBB354_2752
; %bb.2747:                             ;   in Loop: Header=BB354_1574 Depth=1
	v_bfe_u32 v53, v12, 16, 7
	v_mov_b32_e32 v13, 0x7fc02000
	s_mov_b32 s15, exec_lo
	s_delay_alu instid0(VALU_DEP_2)
	v_cmpx_ne_u32_e32 0x7f, v53
	s_cbranch_execz .LBB354_2751
; %bb.2748:                             ;   in Loop: Header=BB354_1574 Depth=1
	v_and_b32_e32 v2, 7, v51
	v_lshrrev_b32_e32 v52, 3, v53
	v_mov_b32_e32 v14, v3
	s_mov_b32 s16, exec_lo
	s_delay_alu instid0(VALU_DEP_3)
	v_mov_b32_e32 v13, v2
	v_cmpx_gt_u32_e32 8, v53
; %bb.2749:                             ;   in Loop: Header=BB354_1574 Depth=1
	v_clz_i32_u32_e32 v13, v2
	s_delay_alu instid0(VALU_DEP_1) | instskip(NEXT) | instid1(VALU_DEP_1)
	v_min_u32_e32 v52, 32, v13
	v_subrev_nc_u32_e32 v13, 28, v52
	v_sub_nc_u32_e32 v52, 29, v52
	s_delay_alu instid0(VALU_DEP_2) | instskip(NEXT) | instid1(VALU_DEP_1)
	v_lshlrev_b64 v[13:14], v13, v[2:3]
	v_and_b32_e32 v13, 7, v13
; %bb.2750:                             ;   in Loop: Header=BB354_1574 Depth=1
	s_or_b32 exec_lo, exec_lo, s16
	v_lshlrev_b32_e32 v2, 8, v51
	v_lshl_add_u32 v14, v52, 10, 0x2000
	s_delay_alu instid0(VALU_DEP_1) | instskip(NEXT) | instid1(VALU_DEP_1)
	v_and_or_b32 v2, 0x8000, v2, v14
	v_lshl_or_b32 v2, v13, 7, v2
	s_delay_alu instid0(VALU_DEP_1)
	v_cvt_f32_f16_e32 v13, v2
.LBB354_2751:                           ;   in Loop: Header=BB354_1574 Depth=1
	s_or_b32 exec_lo, exec_lo, s15
.LBB354_2752:                           ;   in Loop: Header=BB354_1574 Depth=1
	s_delay_alu instid0(SALU_CYCLE_1)
	s_or_b32 exec_lo, exec_lo, s13
.LBB354_2753:                           ;   in Loop: Header=BB354_1574 Depth=1
	s_delay_alu instid0(SALU_CYCLE_1) | instskip(NEXT) | instid1(SALU_CYCLE_1)
	s_or_b32 exec_lo, exec_lo, s12
	s_mov_b32 s12, exec_lo
	v_cmpx_lt_u64_e64 s[8:9], v[11:12]
	s_cbranch_execz .LBB354_2761
; %bb.2754:                             ;   in Loop: Header=BB354_1574 Depth=1
	v_lshrrev_b32_e32 v14, 24, v12
	v_bfrev_b32_e32 v50, 1
	s_mov_b32 s13, exec_lo
	s_delay_alu instid0(VALU_DEP_2)
	v_cmpx_ne_u32_e32 0x80, v14
	s_cbranch_execz .LBB354_2760
; %bb.2755:                             ;   in Loop: Header=BB354_1574 Depth=1
	v_and_b32_e32 v51, 0x7f, v14
	v_mov_b32_e32 v50, 0x7fc02000
	s_mov_b32 s15, exec_lo
	s_delay_alu instid0(VALU_DEP_2)
	v_cmpx_ne_u32_e32 0x7f, v51
	s_cbranch_execz .LBB354_2759
; %bb.2756:                             ;   in Loop: Header=BB354_1574 Depth=1
	v_and_b32_e32 v2, 7, v14
	v_lshrrev_b32_e32 v50, 3, v51
	v_mov_b32_e32 v12, v3
	s_mov_b32 s16, exec_lo
	s_delay_alu instid0(VALU_DEP_3)
	v_mov_b32_e32 v11, v2
	v_cmpx_gt_u32_e32 8, v51
; %bb.2757:                             ;   in Loop: Header=BB354_1574 Depth=1
	v_clz_i32_u32_e32 v11, v2
	s_delay_alu instid0(VALU_DEP_1) | instskip(NEXT) | instid1(VALU_DEP_1)
	v_min_u32_e32 v50, 32, v11
	v_subrev_nc_u32_e32 v11, 28, v50
	v_sub_nc_u32_e32 v50, 29, v50
	s_delay_alu instid0(VALU_DEP_2) | instskip(NEXT) | instid1(VALU_DEP_1)
	v_lshlrev_b64 v[11:12], v11, v[2:3]
	v_and_b32_e32 v11, 7, v11
; %bb.2758:                             ;   in Loop: Header=BB354_1574 Depth=1
	s_or_b32 exec_lo, exec_lo, s16
	v_lshlrev_b32_e32 v2, 8, v14
	v_lshl_add_u32 v12, v50, 10, 0x2000
	s_delay_alu instid0(VALU_DEP_1) | instskip(NEXT) | instid1(VALU_DEP_1)
	v_and_or_b32 v2, 0x8000, v2, v12
	v_lshl_or_b32 v2, v11, 7, v2
	s_delay_alu instid0(VALU_DEP_1)
	v_cvt_f32_f16_e32 v50, v2
.LBB354_2759:                           ;   in Loop: Header=BB354_1574 Depth=1
	s_or_b32 exec_lo, exec_lo, s15
.LBB354_2760:                           ;   in Loop: Header=BB354_1574 Depth=1
	s_delay_alu instid0(SALU_CYCLE_1)
	s_or_b32 exec_lo, exec_lo, s13
.LBB354_2761:                           ;   in Loop: Header=BB354_1574 Depth=1
	s_delay_alu instid0(SALU_CYCLE_1)
	s_or_b32 exec_lo, exec_lo, s12
	s_waitcnt vmcnt(0) lgkmcnt(0)
	v_fma_mixlo_f16 v11, v6, v39, 0
	v_fma_mixlo_f16 v12, v6, v37, 0
	;; [unrolled: 1-line block ×5, first 2 shown]
	v_and_b32_e32 v14, 0xffff, v11
	v_lshlrev_b32_e32 v37, 16, v12
	v_fma_mixlo_f16 v12, v6, v22, 0
	v_fma_mixlo_f16 v22, v6, v49, 0
	;; [unrolled: 1-line block ×3, first 2 shown]
	v_lshlrev_b32_e32 v2, 16, v2
	v_and_b32_e32 v23, 0xffff, v23
	v_and_b32_e32 v6, 0xffff, v12
	v_lshlrev_b32_e32 v22, 16, v22
	v_lshlrev_b32_e32 v39, 16, v39
	v_and_b32_e32 v48, 0xffff, v11
	v_or_b32_e32 v12, v2, v14
	v_or_b32_e32 v13, v37, v6
	;; [unrolled: 1-line block ×3, first 2 shown]
	s_delay_alu instid0(VALU_DEP_4)
	v_or_b32_e32 v6, v39, v48
	s_and_saveexec_b32 s12, vcc_lo
	s_cbranch_execz .LBB354_2763
; %bb.2762:                             ;   in Loop: Header=BB354_1574 Depth=1
	v_cmp_lt_i32_e64 s0, v119, v38
	v_lshrrev_b32_e32 v14, 16, v13
	v_lshrrev_b32_e32 v22, 16, v12
	;; [unrolled: 1-line block ×4, first 2 shown]
	v_cndmask_b32_e64 v13, 0, v13, s0
	v_cmp_lt_i32_e64 s0, v134, v55
	s_delay_alu instid0(VALU_DEP_1) | instskip(SKIP_1) | instid1(VALU_DEP_2)
	v_cndmask_b32_e64 v14, 0, v14, s0
	v_cmp_lt_i32_e64 s0, v133, v55
	v_perm_b32 v13, v14, v13, 0x5040100
	s_delay_alu instid0(VALU_DEP_2) | instskip(SKIP_1) | instid1(VALU_DEP_1)
	v_cndmask_b32_e64 v22, 0, v22, s0
	v_cmp_lt_i32_e64 s0, v132, v38
	v_cndmask_b32_e64 v12, 0, v12, s0
	v_cmp_lt_i32_e64 s0, v131, v55
	s_delay_alu instid0(VALU_DEP_2) | instskip(NEXT) | instid1(VALU_DEP_2)
	v_perm_b32 v12, v22, v12, 0x5040100
	v_cndmask_b32_e64 v23, 0, v23, s0
	v_cmp_lt_i32_e64 s0, v130, v38
	s_delay_alu instid0(VALU_DEP_1) | instskip(SKIP_1) | instid1(VALU_DEP_2)
	v_cndmask_b32_e64 v2, 0, v2, s0
	v_cmp_lt_i32_e64 s0, v129, v55
	v_perm_b32 v2, v23, v2, 0x5040100
	s_delay_alu instid0(VALU_DEP_2) | instskip(SKIP_1) | instid1(VALU_DEP_1)
	v_cndmask_b32_e64 v6, 0, v6, s0
	v_cmp_lt_i32_e64 s0, v128, v38
	v_cndmask_b32_e64 v11, 0, v11, s0
	s_delay_alu instid0(VALU_DEP_1)
	v_perm_b32 v6, v6, v11, 0x5040100
.LBB354_2763:                           ;   in Loop: Header=BB354_1574 Depth=1
	s_or_b32 exec_lo, exec_lo, s12
	;;#ASMSTART
	v_pk_mul_f16 v11, v118, v13;

	;;#ASMEND
	;;#ASMSTART
	v_pk_mul_f16 v12, v117, v12;

	;;#ASMEND
	;; [unrolled: 4-line block ×4, first 2 shown]
	;;#ASMSTART
	v_pk_add_f16 v11, v11, v12;

	;;#ASMEND
	;;#ASMSTART
	v_pk_add_f16 v2, v11, v2;

	;;#ASMEND
	v_add_co_u32 v11, s0, v9, v98
	s_delay_alu instid0(VALU_DEP_1)
	v_add_co_ci_u32_e64 v12, s0, 0, v10, s0
	;;#ASMSTART
	v_pk_add_f16 v2, v2, v6;

	;;#ASMEND
	v_lshrrev_b32_e32 v13, 16, v2
	v_dual_mov_b32 v39, 0 :: v_dual_and_b32 v2, 0xffff, v2
	;;#ASMSTART
	v_cvt_f32_f16 v6, v2;
	;;#ASMEND
	;;#ASMSTART
	v_cvt_f32_f16 v22, v13;
	;;#ASMEND
	flat_load_b64 v[11:12], v[11:12]
	flat_load_b32 v37, v[26:27]
	v_mov_b32_e32 v48, 0
	s_mov_b32 s12, exec_lo
	s_waitcnt vmcnt(1) lgkmcnt(1)
	v_and_b32_e32 v2, 0xff, v11
	s_delay_alu instid0(VALU_DEP_1)
	v_cmpx_ne_u16_e32 0, v2
	s_cbranch_execz .LBB354_2771
; %bb.2764:                             ;   in Loop: Header=BB354_1574 Depth=1
	v_bfrev_b32_e32 v39, 1
	s_mov_b32 s13, exec_lo
	v_cmpx_ne_u16_e32 0x80, v2
	s_cbranch_execz .LBB354_2770
; %bb.2765:                             ;   in Loop: Header=BB354_1574 Depth=1
	v_and_b32_e32 v13, 0x7f, v11
	v_mov_b32_e32 v39, 0x7fc02000
	s_mov_b32 s15, exec_lo
	s_delay_alu instid0(VALU_DEP_2)
	v_cmpx_ne_u32_e32 0x7f, v13
	s_cbranch_execz .LBB354_2769
; %bb.2766:                             ;   in Loop: Header=BB354_1574 Depth=1
	v_lshrrev_b32_e32 v2, 3, v13
	v_cmp_gt_u32_e64 s0, 8, v13
	v_dual_mov_b32 v14, v12 :: v_dual_mov_b32 v13, v11
	s_delay_alu instid0(VALU_DEP_2)
	s_and_saveexec_b32 s16, s0
; %bb.2767:                             ;   in Loop: Header=BB354_1574 Depth=1
	v_and_b32_e32 v2, 7, v11
	s_delay_alu instid0(VALU_DEP_1) | instskip(NEXT) | instid1(VALU_DEP_1)
	v_clz_i32_u32_e32 v2, v2
	v_min_u32_e32 v2, 32, v2
	s_delay_alu instid0(VALU_DEP_1) | instskip(SKIP_1) | instid1(VALU_DEP_2)
	v_subrev_nc_u32_e32 v13, 28, v2
	v_sub_nc_u32_e32 v2, 29, v2
	v_lshlrev_b64 v[13:14], v13, v[11:12]
; %bb.2768:                             ;   in Loop: Header=BB354_1574 Depth=1
	s_or_b32 exec_lo, exec_lo, s16
	v_lshlrev_b32_e32 v14, 8, v11
	s_delay_alu instid0(VALU_DEP_3) | instskip(NEXT) | instid1(VALU_DEP_3)
	v_lshl_add_u32 v2, v2, 10, 0x2000
	v_lshlrev_b32_e32 v13, 7, v13
	s_delay_alu instid0(VALU_DEP_2) | instskip(NEXT) | instid1(VALU_DEP_1)
	v_and_or_b32 v2, 0x8000, v14, v2
	v_and_or_b32 v2, 0x380, v13, v2
	s_delay_alu instid0(VALU_DEP_1)
	v_cvt_f32_f16_e32 v39, v2
.LBB354_2769:                           ;   in Loop: Header=BB354_1574 Depth=1
	s_or_b32 exec_lo, exec_lo, s15
.LBB354_2770:                           ;   in Loop: Header=BB354_1574 Depth=1
	s_delay_alu instid0(SALU_CYCLE_1)
	s_or_b32 exec_lo, exec_lo, s13
.LBB354_2771:                           ;   in Loop: Header=BB354_1574 Depth=1
	s_delay_alu instid0(SALU_CYCLE_1) | instskip(SKIP_2) | instid1(VALU_DEP_1)
	s_or_b32 exec_lo, exec_lo, s12
	v_lshrrev_b16 v2, 8, v11
	s_mov_b32 s12, exec_lo
	v_cmpx_ne_u16_e32 0, v2
	s_cbranch_execz .LBB354_2779
; %bb.2772:                             ;   in Loop: Header=BB354_1574 Depth=1
	v_bfrev_b32_e32 v48, 1
	s_mov_b32 s13, exec_lo
	v_cmpx_ne_u16_e32 0x80, v2
	s_cbranch_execz .LBB354_2778
; %bb.2773:                             ;   in Loop: Header=BB354_1574 Depth=1
	v_and_b32_e32 v23, 0xffff, v2
	v_mov_b32_e32 v48, 0x7fc02000
	s_mov_b32 s15, exec_lo
	s_delay_alu instid0(VALU_DEP_2) | instskip(NEXT) | instid1(VALU_DEP_1)
	v_and_b32_e32 v49, 0x7f, v23
	v_cmpx_ne_u32_e32 0x7f, v49
	s_cbranch_execz .LBB354_2777
; %bb.2774:                             ;   in Loop: Header=BB354_1574 Depth=1
	v_and_b32_e32 v2, 7, v23
	v_lshrrev_b32_e32 v48, 3, v49
	v_mov_b32_e32 v14, v3
	s_mov_b32 s16, exec_lo
	s_delay_alu instid0(VALU_DEP_3)
	v_mov_b32_e32 v13, v2
	v_cmpx_gt_u32_e32 8, v49
; %bb.2775:                             ;   in Loop: Header=BB354_1574 Depth=1
	v_clz_i32_u32_e32 v13, v2
	s_delay_alu instid0(VALU_DEP_1) | instskip(NEXT) | instid1(VALU_DEP_1)
	v_min_u32_e32 v48, 32, v13
	v_subrev_nc_u32_e32 v13, 28, v48
	v_sub_nc_u32_e32 v48, 29, v48
	s_delay_alu instid0(VALU_DEP_2) | instskip(NEXT) | instid1(VALU_DEP_1)
	v_lshlrev_b64 v[13:14], v13, v[2:3]
	v_and_b32_e32 v13, 7, v13
; %bb.2776:                             ;   in Loop: Header=BB354_1574 Depth=1
	s_or_b32 exec_lo, exec_lo, s16
	v_lshlrev_b32_e32 v2, 8, v23
	v_lshl_add_u32 v14, v48, 10, 0x2000
	s_delay_alu instid0(VALU_DEP_1) | instskip(NEXT) | instid1(VALU_DEP_1)
	v_and_or_b32 v2, 0x8000, v2, v14
	v_lshl_or_b32 v2, v13, 7, v2
	s_delay_alu instid0(VALU_DEP_1)
	v_cvt_f32_f16_e32 v48, v2
.LBB354_2777:                           ;   in Loop: Header=BB354_1574 Depth=1
	s_or_b32 exec_lo, exec_lo, s15
.LBB354_2778:                           ;   in Loop: Header=BB354_1574 Depth=1
	s_delay_alu instid0(SALU_CYCLE_1)
	s_or_b32 exec_lo, exec_lo, s13
.LBB354_2779:                           ;   in Loop: Header=BB354_1574 Depth=1
	s_delay_alu instid0(SALU_CYCLE_1) | instskip(SKIP_3) | instid1(VALU_DEP_2)
	s_or_b32 exec_lo, exec_lo, s12
	v_lshrrev_b32_e32 v23, 16, v11
	v_mov_b32_e32 v50, 0
	s_mov_b32 s12, exec_lo
	v_dual_mov_b32 v49, 0 :: v_dual_and_b32 v2, 0xff, v23
	s_delay_alu instid0(VALU_DEP_1)
	v_cmpx_ne_u16_e32 0, v2
	s_cbranch_execz .LBB354_2787
; %bb.2780:                             ;   in Loop: Header=BB354_1574 Depth=1
	v_bfrev_b32_e32 v49, 1
	s_mov_b32 s13, exec_lo
	v_cmpx_ne_u16_e32 0x80, v2
	s_cbranch_execz .LBB354_2786
; %bb.2781:                             ;   in Loop: Header=BB354_1574 Depth=1
	v_bfe_u32 v51, v11, 16, 7
	v_mov_b32_e32 v49, 0x7fc02000
	s_mov_b32 s15, exec_lo
	s_delay_alu instid0(VALU_DEP_2)
	v_cmpx_ne_u32_e32 0x7f, v51
	s_cbranch_execz .LBB354_2785
; %bb.2782:                             ;   in Loop: Header=BB354_1574 Depth=1
	v_and_b32_e32 v2, 7, v23
	v_lshrrev_b32_e32 v49, 3, v51
	v_mov_b32_e32 v14, v3
	s_mov_b32 s16, exec_lo
	s_delay_alu instid0(VALU_DEP_3)
	v_mov_b32_e32 v13, v2
	v_cmpx_gt_u32_e32 8, v51
; %bb.2783:                             ;   in Loop: Header=BB354_1574 Depth=1
	v_clz_i32_u32_e32 v13, v2
	s_delay_alu instid0(VALU_DEP_1) | instskip(NEXT) | instid1(VALU_DEP_1)
	v_min_u32_e32 v49, 32, v13
	v_subrev_nc_u32_e32 v13, 28, v49
	v_sub_nc_u32_e32 v49, 29, v49
	s_delay_alu instid0(VALU_DEP_2) | instskip(NEXT) | instid1(VALU_DEP_1)
	v_lshlrev_b64 v[13:14], v13, v[2:3]
	v_and_b32_e32 v13, 7, v13
; %bb.2784:                             ;   in Loop: Header=BB354_1574 Depth=1
	s_or_b32 exec_lo, exec_lo, s16
	v_lshlrev_b32_e32 v2, 8, v23
	v_lshl_add_u32 v14, v49, 10, 0x2000
	s_delay_alu instid0(VALU_DEP_1) | instskip(NEXT) | instid1(VALU_DEP_1)
	v_and_or_b32 v2, 0x8000, v2, v14
	v_lshl_or_b32 v2, v13, 7, v2
	s_delay_alu instid0(VALU_DEP_1)
	v_cvt_f32_f16_e32 v49, v2
.LBB354_2785:                           ;   in Loop: Header=BB354_1574 Depth=1
	s_or_b32 exec_lo, exec_lo, s15
.LBB354_2786:                           ;   in Loop: Header=BB354_1574 Depth=1
	s_delay_alu instid0(SALU_CYCLE_1)
	s_or_b32 exec_lo, exec_lo, s13
.LBB354_2787:                           ;   in Loop: Header=BB354_1574 Depth=1
	s_delay_alu instid0(SALU_CYCLE_1) | instskip(NEXT) | instid1(SALU_CYCLE_1)
	s_or_b32 exec_lo, exec_lo, s12
	s_mov_b32 s12, exec_lo
	v_cmpx_lt_u32_e32 0xffffff, v11
	s_cbranch_execz .LBB354_2795
; %bb.2788:                             ;   in Loop: Header=BB354_1574 Depth=1
	v_lshrrev_b32_e32 v23, 24, v11
	v_bfrev_b32_e32 v50, 1
	s_mov_b32 s13, exec_lo
	s_delay_alu instid0(VALU_DEP_2)
	v_cmpx_ne_u32_e32 0x80, v23
	s_cbranch_execz .LBB354_2794
; %bb.2789:                             ;   in Loop: Header=BB354_1574 Depth=1
	v_and_b32_e32 v51, 0x7f, v23
	v_mov_b32_e32 v50, 0x7fc02000
	s_mov_b32 s15, exec_lo
	s_delay_alu instid0(VALU_DEP_2)
	v_cmpx_ne_u32_e32 0x7f, v51
	s_cbranch_execz .LBB354_2793
; %bb.2790:                             ;   in Loop: Header=BB354_1574 Depth=1
	v_and_b32_e32 v2, 7, v23
	v_lshrrev_b32_e32 v50, 3, v51
	v_mov_b32_e32 v14, v3
	s_mov_b32 s16, exec_lo
	s_delay_alu instid0(VALU_DEP_3)
	v_mov_b32_e32 v13, v2
	v_cmpx_gt_u32_e32 8, v51
; %bb.2791:                             ;   in Loop: Header=BB354_1574 Depth=1
	v_clz_i32_u32_e32 v13, v2
	s_delay_alu instid0(VALU_DEP_1) | instskip(NEXT) | instid1(VALU_DEP_1)
	v_min_u32_e32 v50, 32, v13
	v_subrev_nc_u32_e32 v13, 28, v50
	v_sub_nc_u32_e32 v50, 29, v50
	s_delay_alu instid0(VALU_DEP_2) | instskip(NEXT) | instid1(VALU_DEP_1)
	v_lshlrev_b64 v[13:14], v13, v[2:3]
	v_and_b32_e32 v13, 7, v13
; %bb.2792:                             ;   in Loop: Header=BB354_1574 Depth=1
	s_or_b32 exec_lo, exec_lo, s16
	v_lshlrev_b32_e32 v2, 8, v23
	v_lshl_add_u32 v14, v50, 10, 0x2000
	s_delay_alu instid0(VALU_DEP_1) | instskip(NEXT) | instid1(VALU_DEP_1)
	v_and_or_b32 v2, 0x8000, v2, v14
	v_lshl_or_b32 v2, v13, 7, v2
	s_delay_alu instid0(VALU_DEP_1)
	v_cvt_f32_f16_e32 v50, v2
.LBB354_2793:                           ;   in Loop: Header=BB354_1574 Depth=1
	s_or_b32 exec_lo, exec_lo, s15
.LBB354_2794:                           ;   in Loop: Header=BB354_1574 Depth=1
	s_delay_alu instid0(SALU_CYCLE_1)
	s_or_b32 exec_lo, exec_lo, s13
.LBB354_2795:                           ;   in Loop: Header=BB354_1574 Depth=1
	s_delay_alu instid0(SALU_CYCLE_1) | instskip(SKIP_4) | instid1(VALU_DEP_3)
	s_or_b32 exec_lo, exec_lo, s12
	v_dual_mov_b32 v2, v12 :: v_dual_and_b32 v13, 0xff, v12
	v_mov_b32_e32 v51, 0
	v_mov_b32_e32 v23, 0
	s_mov_b32 s12, exec_lo
	v_cmpx_ne_u16_e32 0, v13
	s_cbranch_execz .LBB354_2803
; %bb.2796:                             ;   in Loop: Header=BB354_1574 Depth=1
	v_bfrev_b32_e32 v23, 1
	s_mov_b32 s13, exec_lo
	v_cmpx_ne_u16_e32 0x80, v13
	s_cbranch_execz .LBB354_2802
; %bb.2797:                             ;   in Loop: Header=BB354_1574 Depth=1
	v_and_b32_e32 v52, 0x7f, v12
	v_mov_b32_e32 v23, 0x7fc02000
	s_mov_b32 s15, exec_lo
	s_delay_alu instid0(VALU_DEP_2)
	v_cmpx_ne_u32_e32 0x7f, v52
	s_cbranch_execz .LBB354_2801
; %bb.2798:                             ;   in Loop: Header=BB354_1574 Depth=1
	v_dual_mov_b32 v14, v3 :: v_dual_mov_b32 v13, v2
	v_lshrrev_b32_e32 v14, 3, v52
	s_mov_b32 s16, exec_lo
	v_cmpx_gt_u32_e32 8, v52
; %bb.2799:                             ;   in Loop: Header=BB354_1574 Depth=1
	v_and_b32_e32 v13, 7, v12
	s_delay_alu instid0(VALU_DEP_1) | instskip(NEXT) | instid1(VALU_DEP_1)
	v_clz_i32_u32_e32 v13, v13
	v_min_u32_e32 v23, 32, v13
	s_delay_alu instid0(VALU_DEP_1) | instskip(NEXT) | instid1(VALU_DEP_1)
	v_subrev_nc_u32_e32 v13, 28, v23
	v_lshlrev_b64 v[13:14], v13, v[2:3]
	v_sub_nc_u32_e32 v14, 29, v23
; %bb.2800:                             ;   in Loop: Header=BB354_1574 Depth=1
	s_or_b32 exec_lo, exec_lo, s16
	v_lshlrev_b32_e32 v23, 8, v12
	s_delay_alu instid0(VALU_DEP_2) | instskip(NEXT) | instid1(VALU_DEP_4)
	v_lshl_add_u32 v14, v14, 10, 0x2000
	v_lshlrev_b32_e32 v13, 7, v13
	s_delay_alu instid0(VALU_DEP_2) | instskip(NEXT) | instid1(VALU_DEP_1)
	v_and_or_b32 v14, 0x8000, v23, v14
	v_and_or_b32 v13, 0x380, v13, v14
	s_delay_alu instid0(VALU_DEP_1)
	v_cvt_f32_f16_e32 v23, v13
.LBB354_2801:                           ;   in Loop: Header=BB354_1574 Depth=1
	s_or_b32 exec_lo, exec_lo, s15
.LBB354_2802:                           ;   in Loop: Header=BB354_1574 Depth=1
	s_delay_alu instid0(SALU_CYCLE_1)
	s_or_b32 exec_lo, exec_lo, s13
.LBB354_2803:                           ;   in Loop: Header=BB354_1574 Depth=1
	s_delay_alu instid0(SALU_CYCLE_1) | instskip(SKIP_2) | instid1(VALU_DEP_1)
	s_or_b32 exec_lo, exec_lo, s12
	v_lshrrev_b16 v2, 8, v2
	s_mov_b32 s12, exec_lo
	v_cmpx_ne_u16_e32 0, v2
	s_cbranch_execz .LBB354_2811
; %bb.2804:                             ;   in Loop: Header=BB354_1574 Depth=1
	v_bfrev_b32_e32 v51, 1
	s_mov_b32 s13, exec_lo
	v_cmpx_ne_u16_e32 0x80, v2
	s_cbranch_execz .LBB354_2810
; %bb.2805:                             ;   in Loop: Header=BB354_1574 Depth=1
	v_and_b32_e32 v52, 0xffff, v2
	v_mov_b32_e32 v51, 0x7fc02000
	s_mov_b32 s15, exec_lo
	s_delay_alu instid0(VALU_DEP_2) | instskip(NEXT) | instid1(VALU_DEP_1)
	v_and_b32_e32 v53, 0x7f, v52
	v_cmpx_ne_u32_e32 0x7f, v53
	s_cbranch_execz .LBB354_2809
; %bb.2806:                             ;   in Loop: Header=BB354_1574 Depth=1
	v_and_b32_e32 v2, 7, v52
	v_lshrrev_b32_e32 v51, 3, v53
	v_mov_b32_e32 v14, v3
	s_mov_b32 s16, exec_lo
	s_delay_alu instid0(VALU_DEP_3)
	v_mov_b32_e32 v13, v2
	v_cmpx_gt_u32_e32 8, v53
; %bb.2807:                             ;   in Loop: Header=BB354_1574 Depth=1
	v_clz_i32_u32_e32 v13, v2
	s_delay_alu instid0(VALU_DEP_1) | instskip(NEXT) | instid1(VALU_DEP_1)
	v_min_u32_e32 v51, 32, v13
	v_subrev_nc_u32_e32 v13, 28, v51
	v_sub_nc_u32_e32 v51, 29, v51
	s_delay_alu instid0(VALU_DEP_2) | instskip(NEXT) | instid1(VALU_DEP_1)
	v_lshlrev_b64 v[13:14], v13, v[2:3]
	v_and_b32_e32 v13, 7, v13
; %bb.2808:                             ;   in Loop: Header=BB354_1574 Depth=1
	s_or_b32 exec_lo, exec_lo, s16
	v_lshlrev_b32_e32 v2, 8, v52
	v_lshl_add_u32 v14, v51, 10, 0x2000
	s_delay_alu instid0(VALU_DEP_1) | instskip(NEXT) | instid1(VALU_DEP_1)
	v_and_or_b32 v2, 0x8000, v2, v14
	v_lshl_or_b32 v2, v13, 7, v2
	s_delay_alu instid0(VALU_DEP_1)
	v_cvt_f32_f16_e32 v51, v2
.LBB354_2809:                           ;   in Loop: Header=BB354_1574 Depth=1
	s_or_b32 exec_lo, exec_lo, s15
.LBB354_2810:                           ;   in Loop: Header=BB354_1574 Depth=1
	s_delay_alu instid0(SALU_CYCLE_1)
	s_or_b32 exec_lo, exec_lo, s13
.LBB354_2811:                           ;   in Loop: Header=BB354_1574 Depth=1
	s_delay_alu instid0(SALU_CYCLE_1) | instskip(SKIP_3) | instid1(VALU_DEP_2)
	s_or_b32 exec_lo, exec_lo, s12
	v_lshrrev_b32_e32 v53, 16, v12
	v_mov_b32_e32 v52, 0
	s_mov_b32 s12, exec_lo
	v_dual_mov_b32 v13, 0 :: v_dual_and_b32 v2, 0xff, v53
	s_delay_alu instid0(VALU_DEP_1)
	v_cmpx_ne_u16_e32 0, v2
	s_cbranch_execz .LBB354_2819
; %bb.2812:                             ;   in Loop: Header=BB354_1574 Depth=1
	v_bfrev_b32_e32 v13, 1
	s_mov_b32 s13, exec_lo
	v_cmpx_ne_u16_e32 0x80, v2
	s_cbranch_execz .LBB354_2818
; %bb.2813:                             ;   in Loop: Header=BB354_1574 Depth=1
	v_bfe_u32 v85, v12, 16, 7
	v_mov_b32_e32 v13, 0x7fc02000
	s_mov_b32 s15, exec_lo
	s_delay_alu instid0(VALU_DEP_2)
	v_cmpx_ne_u32_e32 0x7f, v85
	s_cbranch_execz .LBB354_2817
; %bb.2814:                             ;   in Loop: Header=BB354_1574 Depth=1
	v_and_b32_e32 v2, 7, v53
	v_lshrrev_b32_e32 v84, 3, v85
	v_mov_b32_e32 v14, v3
	s_mov_b32 s16, exec_lo
	s_delay_alu instid0(VALU_DEP_3)
	v_mov_b32_e32 v13, v2
	v_cmpx_gt_u32_e32 8, v85
; %bb.2815:                             ;   in Loop: Header=BB354_1574 Depth=1
	v_clz_i32_u32_e32 v13, v2
	s_delay_alu instid0(VALU_DEP_1) | instskip(NEXT) | instid1(VALU_DEP_1)
	v_min_u32_e32 v84, 32, v13
	v_subrev_nc_u32_e32 v13, 28, v84
	v_sub_nc_u32_e32 v84, 29, v84
	s_delay_alu instid0(VALU_DEP_2) | instskip(NEXT) | instid1(VALU_DEP_1)
	v_lshlrev_b64 v[13:14], v13, v[2:3]
	v_and_b32_e32 v13, 7, v13
; %bb.2816:                             ;   in Loop: Header=BB354_1574 Depth=1
	s_or_b32 exec_lo, exec_lo, s16
	v_lshlrev_b32_e32 v2, 8, v53
	v_lshl_add_u32 v14, v84, 10, 0x2000
	s_delay_alu instid0(VALU_DEP_1) | instskip(NEXT) | instid1(VALU_DEP_1)
	v_and_or_b32 v2, 0x8000, v2, v14
	v_lshl_or_b32 v2, v13, 7, v2
	s_delay_alu instid0(VALU_DEP_1)
	v_cvt_f32_f16_e32 v13, v2
.LBB354_2817:                           ;   in Loop: Header=BB354_1574 Depth=1
	s_or_b32 exec_lo, exec_lo, s15
.LBB354_2818:                           ;   in Loop: Header=BB354_1574 Depth=1
	s_delay_alu instid0(SALU_CYCLE_1)
	s_or_b32 exec_lo, exec_lo, s13
.LBB354_2819:                           ;   in Loop: Header=BB354_1574 Depth=1
	s_delay_alu instid0(SALU_CYCLE_1) | instskip(NEXT) | instid1(SALU_CYCLE_1)
	s_or_b32 exec_lo, exec_lo, s12
	s_mov_b32 s12, exec_lo
	v_cmpx_lt_u64_e64 s[8:9], v[11:12]
	s_cbranch_execz .LBB354_2827
; %bb.2820:                             ;   in Loop: Header=BB354_1574 Depth=1
	v_lshrrev_b32_e32 v14, 24, v12
	v_bfrev_b32_e32 v52, 1
	s_mov_b32 s13, exec_lo
	s_delay_alu instid0(VALU_DEP_2)
	v_cmpx_ne_u32_e32 0x80, v14
	s_cbranch_execz .LBB354_2826
; %bb.2821:                             ;   in Loop: Header=BB354_1574 Depth=1
	v_and_b32_e32 v53, 0x7f, v14
	v_mov_b32_e32 v52, 0x7fc02000
	s_mov_b32 s15, exec_lo
	s_delay_alu instid0(VALU_DEP_2)
	v_cmpx_ne_u32_e32 0x7f, v53
	s_cbranch_execz .LBB354_2825
; %bb.2822:                             ;   in Loop: Header=BB354_1574 Depth=1
	v_and_b32_e32 v2, 7, v14
	v_lshrrev_b32_e32 v52, 3, v53
	v_mov_b32_e32 v12, v3
	s_mov_b32 s16, exec_lo
	s_delay_alu instid0(VALU_DEP_3)
	v_mov_b32_e32 v11, v2
	v_cmpx_gt_u32_e32 8, v53
; %bb.2823:                             ;   in Loop: Header=BB354_1574 Depth=1
	v_clz_i32_u32_e32 v11, v2
	s_delay_alu instid0(VALU_DEP_1) | instskip(NEXT) | instid1(VALU_DEP_1)
	v_min_u32_e32 v52, 32, v11
	v_subrev_nc_u32_e32 v11, 28, v52
	v_sub_nc_u32_e32 v52, 29, v52
	s_delay_alu instid0(VALU_DEP_2) | instskip(NEXT) | instid1(VALU_DEP_1)
	v_lshlrev_b64 v[11:12], v11, v[2:3]
	v_and_b32_e32 v11, 7, v11
; %bb.2824:                             ;   in Loop: Header=BB354_1574 Depth=1
	s_or_b32 exec_lo, exec_lo, s16
	v_lshlrev_b32_e32 v2, 8, v14
	v_lshl_add_u32 v12, v52, 10, 0x2000
	s_delay_alu instid0(VALU_DEP_1) | instskip(NEXT) | instid1(VALU_DEP_1)
	v_and_or_b32 v2, 0x8000, v2, v12
	v_lshl_or_b32 v2, v11, 7, v2
	s_delay_alu instid0(VALU_DEP_1)
	v_cvt_f32_f16_e32 v52, v2
.LBB354_2825:                           ;   in Loop: Header=BB354_1574 Depth=1
	s_or_b32 exec_lo, exec_lo, s15
.LBB354_2826:                           ;   in Loop: Header=BB354_1574 Depth=1
	s_delay_alu instid0(SALU_CYCLE_1)
	s_or_b32 exec_lo, exec_lo, s13
.LBB354_2827:                           ;   in Loop: Header=BB354_1574 Depth=1
	s_delay_alu instid0(SALU_CYCLE_1)
	s_or_b32 exec_lo, exec_lo, s12
	s_waitcnt vmcnt(0) lgkmcnt(0)
	v_fma_mixlo_f16 v12, v37, v48, 0
	v_fma_mixlo_f16 v2, v37, v50, 0
	;; [unrolled: 1-line block ×5, first 2 shown]
	v_lshlrev_b32_e32 v14, 16, v12
	v_fma_mixlo_f16 v23, v37, v23, 0
	v_fma_mixlo_f16 v49, v37, v52, 0
	;; [unrolled: 1-line block ×3, first 2 shown]
	v_lshlrev_b32_e32 v2, 16, v2
	v_and_b32_e32 v11, 0xffff, v11
	v_and_b32_e32 v37, 0xffff, v39
	v_lshlrev_b32_e32 v39, 16, v48
	v_and_b32_e32 v23, 0xffff, v23
	v_lshlrev_b32_e32 v48, 16, v49
	v_and_b32_e32 v49, 0xffff, v12
	v_or_b32_e32 v13, v2, v11
	v_or_b32_e32 v14, v14, v37
	;; [unrolled: 1-line block ×3, first 2 shown]
	s_delay_alu instid0(VALU_DEP_4)
	v_or_b32_e32 v11, v48, v49
	s_and_saveexec_b32 s12, vcc_lo
	s_cbranch_execz .LBB354_2829
; %bb.2828:                             ;   in Loop: Header=BB354_1574 Depth=1
	v_cmp_lt_i32_e64 s0, v119, v38
	v_lshrrev_b32_e32 v23, 16, v14
	v_lshrrev_b32_e32 v37, 16, v13
	;; [unrolled: 1-line block ×4, first 2 shown]
	v_cndmask_b32_e64 v14, 0, v14, s0
	v_cmp_lt_i32_e64 s0, v134, v55
	s_delay_alu instid0(VALU_DEP_1) | instskip(SKIP_1) | instid1(VALU_DEP_2)
	v_cndmask_b32_e64 v23, 0, v23, s0
	v_cmp_lt_i32_e64 s0, v133, v55
	v_perm_b32 v14, v23, v14, 0x5040100
	s_delay_alu instid0(VALU_DEP_2) | instskip(SKIP_1) | instid1(VALU_DEP_1)
	v_cndmask_b32_e64 v37, 0, v37, s0
	v_cmp_lt_i32_e64 s0, v132, v38
	v_cndmask_b32_e64 v13, 0, v13, s0
	v_cmp_lt_i32_e64 s0, v131, v55
	s_delay_alu instid0(VALU_DEP_2) | instskip(NEXT) | instid1(VALU_DEP_2)
	v_perm_b32 v13, v37, v13, 0x5040100
	v_cndmask_b32_e64 v39, 0, v39, s0
	v_cmp_lt_i32_e64 s0, v130, v38
	s_delay_alu instid0(VALU_DEP_1) | instskip(SKIP_1) | instid1(VALU_DEP_2)
	v_cndmask_b32_e64 v2, 0, v2, s0
	v_cmp_lt_i32_e64 s0, v129, v55
	v_perm_b32 v2, v39, v2, 0x5040100
	s_delay_alu instid0(VALU_DEP_2) | instskip(SKIP_1) | instid1(VALU_DEP_1)
	v_cndmask_b32_e64 v11, 0, v11, s0
	v_cmp_lt_i32_e64 s0, v128, v38
	v_cndmask_b32_e64 v12, 0, v12, s0
	s_delay_alu instid0(VALU_DEP_1)
	v_perm_b32 v11, v11, v12, 0x5040100
.LBB354_2829:                           ;   in Loop: Header=BB354_1574 Depth=1
	s_or_b32 exec_lo, exec_lo, s12
	;;#ASMSTART
	v_pk_mul_f16 v12, v118, v14;

	;;#ASMEND
	;;#ASMSTART
	v_pk_mul_f16 v13, v117, v13;

	;;#ASMEND
	;; [unrolled: 4-line block ×4, first 2 shown]
	;;#ASMSTART
	v_pk_add_f16 v12, v12, v13;

	;;#ASMEND
	;;#ASMSTART
	v_pk_add_f16 v2, v12, v2;

	;;#ASMEND
	;; [unrolled: 4-line block ×3, first 2 shown]
	v_add_co_u32 v11, s0, v9, v99
	s_delay_alu instid0(VALU_DEP_1)
	v_add_co_ci_u32_e64 v12, s0, 0, v10, s0
	v_lshrrev_b32_e32 v13, 16, v2
	v_dual_mov_b32 v49, 0 :: v_dual_and_b32 v2, 0xffff, v2
	;;#ASMSTART
	v_cvt_f32_f16 v37, v2;
	;;#ASMEND
	;;#ASMSTART
	v_cvt_f32_f16 v39, v13;
	;;#ASMEND
	flat_load_b64 v[11:12], v[11:12]
	flat_load_b32 v48, v[26:27]
	v_mov_b32_e32 v50, 0
	s_mov_b32 s12, exec_lo
	s_waitcnt vmcnt(1) lgkmcnt(1)
	v_and_b32_e32 v2, 0xff, v11
	s_delay_alu instid0(VALU_DEP_1)
	v_cmpx_ne_u16_e32 0, v2
	s_cbranch_execz .LBB354_2837
; %bb.2830:                             ;   in Loop: Header=BB354_1574 Depth=1
	v_bfrev_b32_e32 v49, 1
	s_mov_b32 s13, exec_lo
	v_cmpx_ne_u16_e32 0x80, v2
	s_cbranch_execz .LBB354_2836
; %bb.2831:                             ;   in Loop: Header=BB354_1574 Depth=1
	v_and_b32_e32 v13, 0x7f, v11
	v_mov_b32_e32 v49, 0x7fc02000
	s_mov_b32 s15, exec_lo
	s_delay_alu instid0(VALU_DEP_2)
	v_cmpx_ne_u32_e32 0x7f, v13
	s_cbranch_execz .LBB354_2835
; %bb.2832:                             ;   in Loop: Header=BB354_1574 Depth=1
	v_lshrrev_b32_e32 v2, 3, v13
	v_cmp_gt_u32_e64 s0, 8, v13
	v_dual_mov_b32 v14, v12 :: v_dual_mov_b32 v13, v11
	s_delay_alu instid0(VALU_DEP_2)
	s_and_saveexec_b32 s16, s0
; %bb.2833:                             ;   in Loop: Header=BB354_1574 Depth=1
	v_and_b32_e32 v2, 7, v11
	s_delay_alu instid0(VALU_DEP_1) | instskip(NEXT) | instid1(VALU_DEP_1)
	v_clz_i32_u32_e32 v2, v2
	v_min_u32_e32 v2, 32, v2
	s_delay_alu instid0(VALU_DEP_1) | instskip(SKIP_1) | instid1(VALU_DEP_2)
	v_subrev_nc_u32_e32 v13, 28, v2
	v_sub_nc_u32_e32 v2, 29, v2
	v_lshlrev_b64 v[13:14], v13, v[11:12]
; %bb.2834:                             ;   in Loop: Header=BB354_1574 Depth=1
	s_or_b32 exec_lo, exec_lo, s16
	v_lshlrev_b32_e32 v14, 8, v11
	s_delay_alu instid0(VALU_DEP_3) | instskip(NEXT) | instid1(VALU_DEP_3)
	v_lshl_add_u32 v2, v2, 10, 0x2000
	v_lshlrev_b32_e32 v13, 7, v13
	s_delay_alu instid0(VALU_DEP_2) | instskip(NEXT) | instid1(VALU_DEP_1)
	v_and_or_b32 v2, 0x8000, v14, v2
	v_and_or_b32 v2, 0x380, v13, v2
	s_delay_alu instid0(VALU_DEP_1)
	v_cvt_f32_f16_e32 v49, v2
.LBB354_2835:                           ;   in Loop: Header=BB354_1574 Depth=1
	s_or_b32 exec_lo, exec_lo, s15
.LBB354_2836:                           ;   in Loop: Header=BB354_1574 Depth=1
	s_delay_alu instid0(SALU_CYCLE_1)
	s_or_b32 exec_lo, exec_lo, s13
.LBB354_2837:                           ;   in Loop: Header=BB354_1574 Depth=1
	s_delay_alu instid0(SALU_CYCLE_1) | instskip(SKIP_2) | instid1(VALU_DEP_1)
	s_or_b32 exec_lo, exec_lo, s12
	v_lshrrev_b16 v2, 8, v11
	s_mov_b32 s12, exec_lo
	v_cmpx_ne_u16_e32 0, v2
	s_cbranch_execz .LBB354_2845
; %bb.2838:                             ;   in Loop: Header=BB354_1574 Depth=1
	v_bfrev_b32_e32 v50, 1
	s_mov_b32 s13, exec_lo
	v_cmpx_ne_u16_e32 0x80, v2
	s_cbranch_execz .LBB354_2844
; %bb.2839:                             ;   in Loop: Header=BB354_1574 Depth=1
	v_and_b32_e32 v23, 0xffff, v2
	v_mov_b32_e32 v50, 0x7fc02000
	s_mov_b32 s15, exec_lo
	s_delay_alu instid0(VALU_DEP_2) | instskip(NEXT) | instid1(VALU_DEP_1)
	v_and_b32_e32 v51, 0x7f, v23
	v_cmpx_ne_u32_e32 0x7f, v51
	s_cbranch_execz .LBB354_2843
; %bb.2840:                             ;   in Loop: Header=BB354_1574 Depth=1
	v_and_b32_e32 v2, 7, v23
	v_lshrrev_b32_e32 v50, 3, v51
	v_mov_b32_e32 v14, v3
	s_mov_b32 s16, exec_lo
	s_delay_alu instid0(VALU_DEP_3)
	v_mov_b32_e32 v13, v2
	v_cmpx_gt_u32_e32 8, v51
; %bb.2841:                             ;   in Loop: Header=BB354_1574 Depth=1
	v_clz_i32_u32_e32 v13, v2
	s_delay_alu instid0(VALU_DEP_1) | instskip(NEXT) | instid1(VALU_DEP_1)
	v_min_u32_e32 v50, 32, v13
	v_subrev_nc_u32_e32 v13, 28, v50
	v_sub_nc_u32_e32 v50, 29, v50
	s_delay_alu instid0(VALU_DEP_2) | instskip(NEXT) | instid1(VALU_DEP_1)
	v_lshlrev_b64 v[13:14], v13, v[2:3]
	v_and_b32_e32 v13, 7, v13
; %bb.2842:                             ;   in Loop: Header=BB354_1574 Depth=1
	s_or_b32 exec_lo, exec_lo, s16
	v_lshlrev_b32_e32 v2, 8, v23
	v_lshl_add_u32 v14, v50, 10, 0x2000
	s_delay_alu instid0(VALU_DEP_1) | instskip(NEXT) | instid1(VALU_DEP_1)
	v_and_or_b32 v2, 0x8000, v2, v14
	v_lshl_or_b32 v2, v13, 7, v2
	s_delay_alu instid0(VALU_DEP_1)
	v_cvt_f32_f16_e32 v50, v2
.LBB354_2843:                           ;   in Loop: Header=BB354_1574 Depth=1
	s_or_b32 exec_lo, exec_lo, s15
.LBB354_2844:                           ;   in Loop: Header=BB354_1574 Depth=1
	s_delay_alu instid0(SALU_CYCLE_1)
	s_or_b32 exec_lo, exec_lo, s13
.LBB354_2845:                           ;   in Loop: Header=BB354_1574 Depth=1
	s_delay_alu instid0(SALU_CYCLE_1) | instskip(SKIP_3) | instid1(VALU_DEP_2)
	s_or_b32 exec_lo, exec_lo, s12
	v_lshrrev_b32_e32 v23, 16, v11
	v_mov_b32_e32 v52, 0
	s_mov_b32 s12, exec_lo
	v_dual_mov_b32 v51, 0 :: v_dual_and_b32 v2, 0xff, v23
	s_delay_alu instid0(VALU_DEP_1)
	v_cmpx_ne_u16_e32 0, v2
	s_cbranch_execz .LBB354_2853
; %bb.2846:                             ;   in Loop: Header=BB354_1574 Depth=1
	v_bfrev_b32_e32 v51, 1
	s_mov_b32 s13, exec_lo
	v_cmpx_ne_u16_e32 0x80, v2
	s_cbranch_execz .LBB354_2852
; %bb.2847:                             ;   in Loop: Header=BB354_1574 Depth=1
	v_bfe_u32 v53, v11, 16, 7
	v_mov_b32_e32 v51, 0x7fc02000
	s_mov_b32 s15, exec_lo
	s_delay_alu instid0(VALU_DEP_2)
	v_cmpx_ne_u32_e32 0x7f, v53
	s_cbranch_execz .LBB354_2851
; %bb.2848:                             ;   in Loop: Header=BB354_1574 Depth=1
	v_and_b32_e32 v2, 7, v23
	v_lshrrev_b32_e32 v51, 3, v53
	v_mov_b32_e32 v14, v3
	s_mov_b32 s16, exec_lo
	s_delay_alu instid0(VALU_DEP_3)
	v_mov_b32_e32 v13, v2
	v_cmpx_gt_u32_e32 8, v53
; %bb.2849:                             ;   in Loop: Header=BB354_1574 Depth=1
	v_clz_i32_u32_e32 v13, v2
	s_delay_alu instid0(VALU_DEP_1) | instskip(NEXT) | instid1(VALU_DEP_1)
	v_min_u32_e32 v51, 32, v13
	v_subrev_nc_u32_e32 v13, 28, v51
	v_sub_nc_u32_e32 v51, 29, v51
	s_delay_alu instid0(VALU_DEP_2) | instskip(NEXT) | instid1(VALU_DEP_1)
	v_lshlrev_b64 v[13:14], v13, v[2:3]
	v_and_b32_e32 v13, 7, v13
; %bb.2850:                             ;   in Loop: Header=BB354_1574 Depth=1
	s_or_b32 exec_lo, exec_lo, s16
	v_lshlrev_b32_e32 v2, 8, v23
	v_lshl_add_u32 v14, v51, 10, 0x2000
	s_delay_alu instid0(VALU_DEP_1) | instskip(NEXT) | instid1(VALU_DEP_1)
	v_and_or_b32 v2, 0x8000, v2, v14
	v_lshl_or_b32 v2, v13, 7, v2
	s_delay_alu instid0(VALU_DEP_1)
	v_cvt_f32_f16_e32 v51, v2
.LBB354_2851:                           ;   in Loop: Header=BB354_1574 Depth=1
	s_or_b32 exec_lo, exec_lo, s15
.LBB354_2852:                           ;   in Loop: Header=BB354_1574 Depth=1
	s_delay_alu instid0(SALU_CYCLE_1)
	s_or_b32 exec_lo, exec_lo, s13
.LBB354_2853:                           ;   in Loop: Header=BB354_1574 Depth=1
	s_delay_alu instid0(SALU_CYCLE_1) | instskip(NEXT) | instid1(SALU_CYCLE_1)
	s_or_b32 exec_lo, exec_lo, s12
	s_mov_b32 s12, exec_lo
	v_cmpx_lt_u32_e32 0xffffff, v11
	s_cbranch_execz .LBB354_2861
; %bb.2854:                             ;   in Loop: Header=BB354_1574 Depth=1
	v_lshrrev_b32_e32 v23, 24, v11
	v_bfrev_b32_e32 v52, 1
	s_mov_b32 s13, exec_lo
	s_delay_alu instid0(VALU_DEP_2)
	v_cmpx_ne_u32_e32 0x80, v23
	s_cbranch_execz .LBB354_2860
; %bb.2855:                             ;   in Loop: Header=BB354_1574 Depth=1
	v_and_b32_e32 v53, 0x7f, v23
	v_mov_b32_e32 v52, 0x7fc02000
	s_mov_b32 s15, exec_lo
	s_delay_alu instid0(VALU_DEP_2)
	v_cmpx_ne_u32_e32 0x7f, v53
	s_cbranch_execz .LBB354_2859
; %bb.2856:                             ;   in Loop: Header=BB354_1574 Depth=1
	v_and_b32_e32 v2, 7, v23
	v_lshrrev_b32_e32 v52, 3, v53
	v_mov_b32_e32 v14, v3
	s_mov_b32 s16, exec_lo
	s_delay_alu instid0(VALU_DEP_3)
	v_mov_b32_e32 v13, v2
	v_cmpx_gt_u32_e32 8, v53
; %bb.2857:                             ;   in Loop: Header=BB354_1574 Depth=1
	v_clz_i32_u32_e32 v13, v2
	s_delay_alu instid0(VALU_DEP_1) | instskip(NEXT) | instid1(VALU_DEP_1)
	v_min_u32_e32 v52, 32, v13
	v_subrev_nc_u32_e32 v13, 28, v52
	v_sub_nc_u32_e32 v52, 29, v52
	s_delay_alu instid0(VALU_DEP_2) | instskip(NEXT) | instid1(VALU_DEP_1)
	v_lshlrev_b64 v[13:14], v13, v[2:3]
	v_and_b32_e32 v13, 7, v13
; %bb.2858:                             ;   in Loop: Header=BB354_1574 Depth=1
	s_or_b32 exec_lo, exec_lo, s16
	v_lshlrev_b32_e32 v2, 8, v23
	v_lshl_add_u32 v14, v52, 10, 0x2000
	s_delay_alu instid0(VALU_DEP_1) | instskip(NEXT) | instid1(VALU_DEP_1)
	v_and_or_b32 v2, 0x8000, v2, v14
	v_lshl_or_b32 v2, v13, 7, v2
	s_delay_alu instid0(VALU_DEP_1)
	v_cvt_f32_f16_e32 v52, v2
.LBB354_2859:                           ;   in Loop: Header=BB354_1574 Depth=1
	s_or_b32 exec_lo, exec_lo, s15
.LBB354_2860:                           ;   in Loop: Header=BB354_1574 Depth=1
	s_delay_alu instid0(SALU_CYCLE_1)
	s_or_b32 exec_lo, exec_lo, s13
.LBB354_2861:                           ;   in Loop: Header=BB354_1574 Depth=1
	s_delay_alu instid0(SALU_CYCLE_1) | instskip(SKIP_4) | instid1(VALU_DEP_3)
	s_or_b32 exec_lo, exec_lo, s12
	v_dual_mov_b32 v2, v12 :: v_dual_and_b32 v13, 0xff, v12
	v_mov_b32_e32 v53, 0
	v_mov_b32_e32 v23, 0
	s_mov_b32 s12, exec_lo
	v_cmpx_ne_u16_e32 0, v13
	s_cbranch_execz .LBB354_2869
; %bb.2862:                             ;   in Loop: Header=BB354_1574 Depth=1
	v_bfrev_b32_e32 v23, 1
	s_mov_b32 s13, exec_lo
	v_cmpx_ne_u16_e32 0x80, v13
	s_cbranch_execz .LBB354_2868
; %bb.2863:                             ;   in Loop: Header=BB354_1574 Depth=1
	v_and_b32_e32 v84, 0x7f, v12
	v_mov_b32_e32 v23, 0x7fc02000
	s_mov_b32 s15, exec_lo
	s_delay_alu instid0(VALU_DEP_2)
	v_cmpx_ne_u32_e32 0x7f, v84
	s_cbranch_execz .LBB354_2867
; %bb.2864:                             ;   in Loop: Header=BB354_1574 Depth=1
	v_dual_mov_b32 v14, v3 :: v_dual_mov_b32 v13, v2
	v_lshrrev_b32_e32 v14, 3, v84
	s_mov_b32 s16, exec_lo
	v_cmpx_gt_u32_e32 8, v84
; %bb.2865:                             ;   in Loop: Header=BB354_1574 Depth=1
	v_and_b32_e32 v13, 7, v12
	s_delay_alu instid0(VALU_DEP_1) | instskip(NEXT) | instid1(VALU_DEP_1)
	v_clz_i32_u32_e32 v13, v13
	v_min_u32_e32 v23, 32, v13
	s_delay_alu instid0(VALU_DEP_1) | instskip(NEXT) | instid1(VALU_DEP_1)
	v_subrev_nc_u32_e32 v13, 28, v23
	v_lshlrev_b64 v[13:14], v13, v[2:3]
	v_sub_nc_u32_e32 v14, 29, v23
; %bb.2866:                             ;   in Loop: Header=BB354_1574 Depth=1
	s_or_b32 exec_lo, exec_lo, s16
	v_lshlrev_b32_e32 v23, 8, v12
	s_delay_alu instid0(VALU_DEP_2) | instskip(NEXT) | instid1(VALU_DEP_4)
	v_lshl_add_u32 v14, v14, 10, 0x2000
	v_lshlrev_b32_e32 v13, 7, v13
	s_delay_alu instid0(VALU_DEP_2) | instskip(NEXT) | instid1(VALU_DEP_1)
	v_and_or_b32 v14, 0x8000, v23, v14
	v_and_or_b32 v13, 0x380, v13, v14
	s_delay_alu instid0(VALU_DEP_1)
	v_cvt_f32_f16_e32 v23, v13
.LBB354_2867:                           ;   in Loop: Header=BB354_1574 Depth=1
	s_or_b32 exec_lo, exec_lo, s15
.LBB354_2868:                           ;   in Loop: Header=BB354_1574 Depth=1
	s_delay_alu instid0(SALU_CYCLE_1)
	s_or_b32 exec_lo, exec_lo, s13
.LBB354_2869:                           ;   in Loop: Header=BB354_1574 Depth=1
	s_delay_alu instid0(SALU_CYCLE_1) | instskip(SKIP_2) | instid1(VALU_DEP_1)
	s_or_b32 exec_lo, exec_lo, s12
	v_lshrrev_b16 v2, 8, v2
	s_mov_b32 s12, exec_lo
	v_cmpx_ne_u16_e32 0, v2
	s_cbranch_execz .LBB354_2877
; %bb.2870:                             ;   in Loop: Header=BB354_1574 Depth=1
	v_bfrev_b32_e32 v53, 1
	s_mov_b32 s13, exec_lo
	v_cmpx_ne_u16_e32 0x80, v2
	s_cbranch_execz .LBB354_2876
; %bb.2871:                             ;   in Loop: Header=BB354_1574 Depth=1
	v_and_b32_e32 v84, 0xffff, v2
	v_mov_b32_e32 v53, 0x7fc02000
	s_mov_b32 s15, exec_lo
	s_delay_alu instid0(VALU_DEP_2) | instskip(NEXT) | instid1(VALU_DEP_1)
	v_and_b32_e32 v85, 0x7f, v84
	v_cmpx_ne_u32_e32 0x7f, v85
	s_cbranch_execz .LBB354_2875
; %bb.2872:                             ;   in Loop: Header=BB354_1574 Depth=1
	v_and_b32_e32 v2, 7, v84
	v_lshrrev_b32_e32 v53, 3, v85
	v_mov_b32_e32 v14, v3
	s_mov_b32 s16, exec_lo
	s_delay_alu instid0(VALU_DEP_3)
	v_mov_b32_e32 v13, v2
	v_cmpx_gt_u32_e32 8, v85
; %bb.2873:                             ;   in Loop: Header=BB354_1574 Depth=1
	v_clz_i32_u32_e32 v13, v2
	s_delay_alu instid0(VALU_DEP_1) | instskip(NEXT) | instid1(VALU_DEP_1)
	v_min_u32_e32 v53, 32, v13
	v_subrev_nc_u32_e32 v13, 28, v53
	v_sub_nc_u32_e32 v53, 29, v53
	s_delay_alu instid0(VALU_DEP_2) | instskip(NEXT) | instid1(VALU_DEP_1)
	v_lshlrev_b64 v[13:14], v13, v[2:3]
	v_and_b32_e32 v13, 7, v13
; %bb.2874:                             ;   in Loop: Header=BB354_1574 Depth=1
	s_or_b32 exec_lo, exec_lo, s16
	v_lshlrev_b32_e32 v2, 8, v84
	v_lshl_add_u32 v14, v53, 10, 0x2000
	s_delay_alu instid0(VALU_DEP_1) | instskip(NEXT) | instid1(VALU_DEP_1)
	v_and_or_b32 v2, 0x8000, v2, v14
	v_lshl_or_b32 v2, v13, 7, v2
	s_delay_alu instid0(VALU_DEP_1)
	v_cvt_f32_f16_e32 v53, v2
.LBB354_2875:                           ;   in Loop: Header=BB354_1574 Depth=1
	s_or_b32 exec_lo, exec_lo, s15
.LBB354_2876:                           ;   in Loop: Header=BB354_1574 Depth=1
	s_delay_alu instid0(SALU_CYCLE_1)
	s_or_b32 exec_lo, exec_lo, s13
.LBB354_2877:                           ;   in Loop: Header=BB354_1574 Depth=1
	s_delay_alu instid0(SALU_CYCLE_1) | instskip(SKIP_3) | instid1(VALU_DEP_2)
	s_or_b32 exec_lo, exec_lo, s12
	v_lshrrev_b32_e32 v85, 16, v12
	v_mov_b32_e32 v84, 0
	s_mov_b32 s12, exec_lo
	v_dual_mov_b32 v13, 0 :: v_dual_and_b32 v2, 0xff, v85
	s_delay_alu instid0(VALU_DEP_1)
	v_cmpx_ne_u16_e32 0, v2
	s_cbranch_execz .LBB354_2885
; %bb.2878:                             ;   in Loop: Header=BB354_1574 Depth=1
	v_bfrev_b32_e32 v13, 1
	s_mov_b32 s13, exec_lo
	v_cmpx_ne_u16_e32 0x80, v2
	s_cbranch_execz .LBB354_2884
; %bb.2879:                             ;   in Loop: Header=BB354_1574 Depth=1
	v_bfe_u32 v45, v12, 16, 7
	v_mov_b32_e32 v13, 0x7fc02000
	s_mov_b32 s15, exec_lo
	s_delay_alu instid0(VALU_DEP_2)
	v_cmpx_ne_u32_e32 0x7f, v45
	s_cbranch_execz .LBB354_2883
; %bb.2880:                             ;   in Loop: Header=BB354_1574 Depth=1
	v_and_b32_e32 v2, 7, v85
	v_lshrrev_b32_e32 v44, 3, v45
	v_mov_b32_e32 v14, v3
	s_mov_b32 s16, exec_lo
	s_delay_alu instid0(VALU_DEP_3)
	v_mov_b32_e32 v13, v2
	v_cmpx_gt_u32_e32 8, v45
; %bb.2881:                             ;   in Loop: Header=BB354_1574 Depth=1
	v_clz_i32_u32_e32 v13, v2
	s_delay_alu instid0(VALU_DEP_1) | instskip(NEXT) | instid1(VALU_DEP_1)
	v_min_u32_e32 v44, 32, v13
	v_subrev_nc_u32_e32 v13, 28, v44
	v_sub_nc_u32_e32 v44, 29, v44
	s_delay_alu instid0(VALU_DEP_2) | instskip(NEXT) | instid1(VALU_DEP_1)
	v_lshlrev_b64 v[13:14], v13, v[2:3]
	v_and_b32_e32 v13, 7, v13
; %bb.2882:                             ;   in Loop: Header=BB354_1574 Depth=1
	s_or_b32 exec_lo, exec_lo, s16
	v_lshlrev_b32_e32 v2, 8, v85
	v_lshl_add_u32 v14, v44, 10, 0x2000
	s_delay_alu instid0(VALU_DEP_1) | instskip(NEXT) | instid1(VALU_DEP_1)
	v_and_or_b32 v2, 0x8000, v2, v14
	v_lshl_or_b32 v2, v13, 7, v2
	s_delay_alu instid0(VALU_DEP_1)
	v_cvt_f32_f16_e32 v13, v2
.LBB354_2883:                           ;   in Loop: Header=BB354_1574 Depth=1
	s_or_b32 exec_lo, exec_lo, s15
.LBB354_2884:                           ;   in Loop: Header=BB354_1574 Depth=1
	s_delay_alu instid0(SALU_CYCLE_1)
	s_or_b32 exec_lo, exec_lo, s13
.LBB354_2885:                           ;   in Loop: Header=BB354_1574 Depth=1
	s_delay_alu instid0(SALU_CYCLE_1) | instskip(NEXT) | instid1(SALU_CYCLE_1)
	s_or_b32 exec_lo, exec_lo, s12
	s_mov_b32 s12, exec_lo
	v_cmpx_lt_u64_e64 s[8:9], v[11:12]
	s_cbranch_execz .LBB354_2893
; %bb.2886:                             ;   in Loop: Header=BB354_1574 Depth=1
	v_lshrrev_b32_e32 v14, 24, v12
	v_bfrev_b32_e32 v84, 1
	s_mov_b32 s13, exec_lo
	s_delay_alu instid0(VALU_DEP_2)
	v_cmpx_ne_u32_e32 0x80, v14
	s_cbranch_execz .LBB354_2892
; %bb.2887:                             ;   in Loop: Header=BB354_1574 Depth=1
	v_and_b32_e32 v85, 0x7f, v14
	v_mov_b32_e32 v84, 0x7fc02000
	s_mov_b32 s15, exec_lo
	s_delay_alu instid0(VALU_DEP_2)
	v_cmpx_ne_u32_e32 0x7f, v85
	s_cbranch_execz .LBB354_2891
; %bb.2888:                             ;   in Loop: Header=BB354_1574 Depth=1
	v_and_b32_e32 v2, 7, v14
	v_lshrrev_b32_e32 v84, 3, v85
	v_mov_b32_e32 v12, v3
	s_mov_b32 s16, exec_lo
	s_delay_alu instid0(VALU_DEP_3)
	v_mov_b32_e32 v11, v2
	v_cmpx_gt_u32_e32 8, v85
; %bb.2889:                             ;   in Loop: Header=BB354_1574 Depth=1
	v_clz_i32_u32_e32 v11, v2
	s_delay_alu instid0(VALU_DEP_1) | instskip(NEXT) | instid1(VALU_DEP_1)
	v_min_u32_e32 v84, 32, v11
	v_subrev_nc_u32_e32 v11, 28, v84
	v_sub_nc_u32_e32 v84, 29, v84
	s_delay_alu instid0(VALU_DEP_2) | instskip(NEXT) | instid1(VALU_DEP_1)
	v_lshlrev_b64 v[11:12], v11, v[2:3]
	v_and_b32_e32 v11, 7, v11
; %bb.2890:                             ;   in Loop: Header=BB354_1574 Depth=1
	s_or_b32 exec_lo, exec_lo, s16
	v_lshlrev_b32_e32 v2, 8, v14
	v_lshl_add_u32 v12, v84, 10, 0x2000
	s_delay_alu instid0(VALU_DEP_1) | instskip(NEXT) | instid1(VALU_DEP_1)
	v_and_or_b32 v2, 0x8000, v2, v12
	v_lshl_or_b32 v2, v11, 7, v2
	s_delay_alu instid0(VALU_DEP_1)
	v_cvt_f32_f16_e32 v84, v2
.LBB354_2891:                           ;   in Loop: Header=BB354_1574 Depth=1
	s_or_b32 exec_lo, exec_lo, s15
.LBB354_2892:                           ;   in Loop: Header=BB354_1574 Depth=1
	s_delay_alu instid0(SALU_CYCLE_1)
	s_or_b32 exec_lo, exec_lo, s13
.LBB354_2893:                           ;   in Loop: Header=BB354_1574 Depth=1
	s_delay_alu instid0(SALU_CYCLE_1)
	s_or_b32 exec_lo, exec_lo, s12
	s_waitcnt vmcnt(0) lgkmcnt(0)
	v_fma_mixlo_f16 v12, v48, v50, 0
	v_fma_mixlo_f16 v2, v48, v52, 0
	;; [unrolled: 1-line block ×5, first 2 shown]
	v_lshlrev_b32_e32 v14, 16, v12
	v_fma_mixlo_f16 v23, v48, v23, 0
	v_fma_mixlo_f16 v51, v48, v84, 0
	;; [unrolled: 1-line block ×3, first 2 shown]
	v_lshlrev_b32_e32 v2, 16, v2
	v_and_b32_e32 v11, 0xffff, v11
	v_and_b32_e32 v48, 0xffff, v49
	v_lshlrev_b32_e32 v49, 16, v50
	v_and_b32_e32 v23, 0xffff, v23
	v_lshlrev_b32_e32 v50, 16, v51
	v_and_b32_e32 v51, 0xffff, v12
	v_or_b32_e32 v13, v2, v11
	v_or_b32_e32 v14, v14, v48
	;; [unrolled: 1-line block ×3, first 2 shown]
	s_delay_alu instid0(VALU_DEP_4)
	v_or_b32_e32 v11, v50, v51
	s_and_saveexec_b32 s12, vcc_lo
	s_cbranch_execz .LBB354_2895
; %bb.2894:                             ;   in Loop: Header=BB354_1574 Depth=1
	v_cmp_lt_i32_e64 s0, v119, v38
	v_lshrrev_b32_e32 v23, 16, v14
	v_lshrrev_b32_e32 v48, 16, v13
	;; [unrolled: 1-line block ×4, first 2 shown]
	v_cndmask_b32_e64 v14, 0, v14, s0
	v_cmp_lt_i32_e64 s0, v134, v55
	s_delay_alu instid0(VALU_DEP_1) | instskip(SKIP_1) | instid1(VALU_DEP_2)
	v_cndmask_b32_e64 v23, 0, v23, s0
	v_cmp_lt_i32_e64 s0, v133, v55
	v_perm_b32 v14, v23, v14, 0x5040100
	s_delay_alu instid0(VALU_DEP_2) | instskip(SKIP_1) | instid1(VALU_DEP_1)
	v_cndmask_b32_e64 v48, 0, v48, s0
	v_cmp_lt_i32_e64 s0, v132, v38
	v_cndmask_b32_e64 v13, 0, v13, s0
	v_cmp_lt_i32_e64 s0, v131, v55
	s_delay_alu instid0(VALU_DEP_2) | instskip(NEXT) | instid1(VALU_DEP_2)
	v_perm_b32 v13, v48, v13, 0x5040100
	v_cndmask_b32_e64 v49, 0, v49, s0
	v_cmp_lt_i32_e64 s0, v130, v38
	s_delay_alu instid0(VALU_DEP_1) | instskip(SKIP_1) | instid1(VALU_DEP_2)
	v_cndmask_b32_e64 v2, 0, v2, s0
	v_cmp_lt_i32_e64 s0, v129, v55
	v_perm_b32 v2, v49, v2, 0x5040100
	s_delay_alu instid0(VALU_DEP_2) | instskip(SKIP_1) | instid1(VALU_DEP_1)
	v_cndmask_b32_e64 v11, 0, v11, s0
	v_cmp_lt_i32_e64 s0, v128, v38
	v_cndmask_b32_e64 v12, 0, v12, s0
	s_delay_alu instid0(VALU_DEP_1)
	v_perm_b32 v11, v11, v12, 0x5040100
.LBB354_2895:                           ;   in Loop: Header=BB354_1574 Depth=1
	s_or_b32 exec_lo, exec_lo, s12
	;;#ASMSTART
	v_pk_mul_f16 v12, v118, v14;

	;;#ASMEND
	;;#ASMSTART
	v_pk_mul_f16 v13, v117, v13;

	;;#ASMEND
	;; [unrolled: 4-line block ×4, first 2 shown]
	;;#ASMSTART
	v_pk_add_f16 v12, v12, v13;

	;;#ASMEND
	;;#ASMSTART
	v_pk_add_f16 v2, v12, v2;

	;;#ASMEND
	;; [unrolled: 4-line block ×3, first 2 shown]
	v_add_co_u32 v11, s0, v9, v100
	s_delay_alu instid0(VALU_DEP_1)
	v_add_co_ci_u32_e64 v12, s0, 0, v10, s0
	v_lshrrev_b32_e32 v13, 16, v2
	v_dual_mov_b32 v51, 0 :: v_dual_and_b32 v2, 0xffff, v2
	;;#ASMSTART
	v_cvt_f32_f16 v48, v2;
	;;#ASMEND
	;;#ASMSTART
	v_cvt_f32_f16 v49, v13;
	;;#ASMEND
	flat_load_b64 v[11:12], v[11:12]
	flat_load_b32 v50, v[26:27]
	v_mov_b32_e32 v52, 0
	s_mov_b32 s12, exec_lo
	s_waitcnt vmcnt(1) lgkmcnt(1)
	v_and_b32_e32 v2, 0xff, v11
	s_delay_alu instid0(VALU_DEP_1)
	v_cmpx_ne_u16_e32 0, v2
	s_cbranch_execz .LBB354_2903
; %bb.2896:                             ;   in Loop: Header=BB354_1574 Depth=1
	v_bfrev_b32_e32 v51, 1
	s_mov_b32 s13, exec_lo
	v_cmpx_ne_u16_e32 0x80, v2
	s_cbranch_execz .LBB354_2902
; %bb.2897:                             ;   in Loop: Header=BB354_1574 Depth=1
	v_and_b32_e32 v13, 0x7f, v11
	v_mov_b32_e32 v51, 0x7fc02000
	s_mov_b32 s15, exec_lo
	s_delay_alu instid0(VALU_DEP_2)
	v_cmpx_ne_u32_e32 0x7f, v13
	s_cbranch_execz .LBB354_2901
; %bb.2898:                             ;   in Loop: Header=BB354_1574 Depth=1
	v_lshrrev_b32_e32 v2, 3, v13
	v_cmp_gt_u32_e64 s0, 8, v13
	v_dual_mov_b32 v14, v12 :: v_dual_mov_b32 v13, v11
	s_delay_alu instid0(VALU_DEP_2)
	s_and_saveexec_b32 s16, s0
; %bb.2899:                             ;   in Loop: Header=BB354_1574 Depth=1
	v_and_b32_e32 v2, 7, v11
	s_delay_alu instid0(VALU_DEP_1) | instskip(NEXT) | instid1(VALU_DEP_1)
	v_clz_i32_u32_e32 v2, v2
	v_min_u32_e32 v2, 32, v2
	s_delay_alu instid0(VALU_DEP_1) | instskip(SKIP_1) | instid1(VALU_DEP_2)
	v_subrev_nc_u32_e32 v13, 28, v2
	v_sub_nc_u32_e32 v2, 29, v2
	v_lshlrev_b64 v[13:14], v13, v[11:12]
; %bb.2900:                             ;   in Loop: Header=BB354_1574 Depth=1
	s_or_b32 exec_lo, exec_lo, s16
	v_lshlrev_b32_e32 v14, 8, v11
	s_delay_alu instid0(VALU_DEP_3) | instskip(NEXT) | instid1(VALU_DEP_3)
	v_lshl_add_u32 v2, v2, 10, 0x2000
	v_lshlrev_b32_e32 v13, 7, v13
	s_delay_alu instid0(VALU_DEP_2) | instskip(NEXT) | instid1(VALU_DEP_1)
	v_and_or_b32 v2, 0x8000, v14, v2
	v_and_or_b32 v2, 0x380, v13, v2
	s_delay_alu instid0(VALU_DEP_1)
	v_cvt_f32_f16_e32 v51, v2
.LBB354_2901:                           ;   in Loop: Header=BB354_1574 Depth=1
	s_or_b32 exec_lo, exec_lo, s15
.LBB354_2902:                           ;   in Loop: Header=BB354_1574 Depth=1
	s_delay_alu instid0(SALU_CYCLE_1)
	s_or_b32 exec_lo, exec_lo, s13
.LBB354_2903:                           ;   in Loop: Header=BB354_1574 Depth=1
	s_delay_alu instid0(SALU_CYCLE_1) | instskip(SKIP_2) | instid1(VALU_DEP_1)
	s_or_b32 exec_lo, exec_lo, s12
	v_lshrrev_b16 v2, 8, v11
	s_mov_b32 s12, exec_lo
	v_cmpx_ne_u16_e32 0, v2
	s_cbranch_execz .LBB354_2911
; %bb.2904:                             ;   in Loop: Header=BB354_1574 Depth=1
	v_bfrev_b32_e32 v52, 1
	s_mov_b32 s13, exec_lo
	v_cmpx_ne_u16_e32 0x80, v2
	s_cbranch_execz .LBB354_2910
; %bb.2905:                             ;   in Loop: Header=BB354_1574 Depth=1
	v_and_b32_e32 v23, 0xffff, v2
	v_mov_b32_e32 v52, 0x7fc02000
	s_mov_b32 s15, exec_lo
	s_delay_alu instid0(VALU_DEP_2) | instskip(NEXT) | instid1(VALU_DEP_1)
	v_and_b32_e32 v53, 0x7f, v23
	v_cmpx_ne_u32_e32 0x7f, v53
	s_cbranch_execz .LBB354_2909
; %bb.2906:                             ;   in Loop: Header=BB354_1574 Depth=1
	v_and_b32_e32 v2, 7, v23
	v_lshrrev_b32_e32 v52, 3, v53
	v_mov_b32_e32 v14, v3
	s_mov_b32 s16, exec_lo
	s_delay_alu instid0(VALU_DEP_3)
	v_mov_b32_e32 v13, v2
	v_cmpx_gt_u32_e32 8, v53
; %bb.2907:                             ;   in Loop: Header=BB354_1574 Depth=1
	v_clz_i32_u32_e32 v13, v2
	s_delay_alu instid0(VALU_DEP_1) | instskip(NEXT) | instid1(VALU_DEP_1)
	v_min_u32_e32 v52, 32, v13
	v_subrev_nc_u32_e32 v13, 28, v52
	v_sub_nc_u32_e32 v52, 29, v52
	s_delay_alu instid0(VALU_DEP_2) | instskip(NEXT) | instid1(VALU_DEP_1)
	v_lshlrev_b64 v[13:14], v13, v[2:3]
	v_and_b32_e32 v13, 7, v13
; %bb.2908:                             ;   in Loop: Header=BB354_1574 Depth=1
	s_or_b32 exec_lo, exec_lo, s16
	v_lshlrev_b32_e32 v2, 8, v23
	v_lshl_add_u32 v14, v52, 10, 0x2000
	s_delay_alu instid0(VALU_DEP_1) | instskip(NEXT) | instid1(VALU_DEP_1)
	v_and_or_b32 v2, 0x8000, v2, v14
	v_lshl_or_b32 v2, v13, 7, v2
	s_delay_alu instid0(VALU_DEP_1)
	v_cvt_f32_f16_e32 v52, v2
.LBB354_2909:                           ;   in Loop: Header=BB354_1574 Depth=1
	s_or_b32 exec_lo, exec_lo, s15
.LBB354_2910:                           ;   in Loop: Header=BB354_1574 Depth=1
	s_delay_alu instid0(SALU_CYCLE_1)
	s_or_b32 exec_lo, exec_lo, s13
.LBB354_2911:                           ;   in Loop: Header=BB354_1574 Depth=1
	s_delay_alu instid0(SALU_CYCLE_1) | instskip(SKIP_3) | instid1(VALU_DEP_2)
	s_or_b32 exec_lo, exec_lo, s12
	v_lshrrev_b32_e32 v23, 16, v11
	v_mov_b32_e32 v84, 0
	s_mov_b32 s12, exec_lo
	v_dual_mov_b32 v53, 0 :: v_dual_and_b32 v2, 0xff, v23
	s_delay_alu instid0(VALU_DEP_1)
	v_cmpx_ne_u16_e32 0, v2
	s_cbranch_execz .LBB354_2919
; %bb.2912:                             ;   in Loop: Header=BB354_1574 Depth=1
	v_bfrev_b32_e32 v53, 1
	s_mov_b32 s13, exec_lo
	v_cmpx_ne_u16_e32 0x80, v2
	s_cbranch_execz .LBB354_2918
; %bb.2913:                             ;   in Loop: Header=BB354_1574 Depth=1
	v_bfe_u32 v85, v11, 16, 7
	v_mov_b32_e32 v53, 0x7fc02000
	s_mov_b32 s15, exec_lo
	s_delay_alu instid0(VALU_DEP_2)
	v_cmpx_ne_u32_e32 0x7f, v85
	s_cbranch_execz .LBB354_2917
; %bb.2914:                             ;   in Loop: Header=BB354_1574 Depth=1
	v_and_b32_e32 v2, 7, v23
	v_lshrrev_b32_e32 v53, 3, v85
	v_mov_b32_e32 v14, v3
	s_mov_b32 s16, exec_lo
	s_delay_alu instid0(VALU_DEP_3)
	v_mov_b32_e32 v13, v2
	v_cmpx_gt_u32_e32 8, v85
; %bb.2915:                             ;   in Loop: Header=BB354_1574 Depth=1
	v_clz_i32_u32_e32 v13, v2
	s_delay_alu instid0(VALU_DEP_1) | instskip(NEXT) | instid1(VALU_DEP_1)
	v_min_u32_e32 v53, 32, v13
	v_subrev_nc_u32_e32 v13, 28, v53
	v_sub_nc_u32_e32 v53, 29, v53
	s_delay_alu instid0(VALU_DEP_2) | instskip(NEXT) | instid1(VALU_DEP_1)
	v_lshlrev_b64 v[13:14], v13, v[2:3]
	v_and_b32_e32 v13, 7, v13
; %bb.2916:                             ;   in Loop: Header=BB354_1574 Depth=1
	s_or_b32 exec_lo, exec_lo, s16
	v_lshlrev_b32_e32 v2, 8, v23
	v_lshl_add_u32 v14, v53, 10, 0x2000
	s_delay_alu instid0(VALU_DEP_1) | instskip(NEXT) | instid1(VALU_DEP_1)
	v_and_or_b32 v2, 0x8000, v2, v14
	v_lshl_or_b32 v2, v13, 7, v2
	s_delay_alu instid0(VALU_DEP_1)
	v_cvt_f32_f16_e32 v53, v2
.LBB354_2917:                           ;   in Loop: Header=BB354_1574 Depth=1
	s_or_b32 exec_lo, exec_lo, s15
.LBB354_2918:                           ;   in Loop: Header=BB354_1574 Depth=1
	s_delay_alu instid0(SALU_CYCLE_1)
	s_or_b32 exec_lo, exec_lo, s13
.LBB354_2919:                           ;   in Loop: Header=BB354_1574 Depth=1
	s_delay_alu instid0(SALU_CYCLE_1) | instskip(NEXT) | instid1(SALU_CYCLE_1)
	s_or_b32 exec_lo, exec_lo, s12
	s_mov_b32 s12, exec_lo
	v_cmpx_lt_u32_e32 0xffffff, v11
	s_cbranch_execz .LBB354_2927
; %bb.2920:                             ;   in Loop: Header=BB354_1574 Depth=1
	v_lshrrev_b32_e32 v23, 24, v11
	v_bfrev_b32_e32 v84, 1
	s_mov_b32 s13, exec_lo
	s_delay_alu instid0(VALU_DEP_2)
	v_cmpx_ne_u32_e32 0x80, v23
	s_cbranch_execz .LBB354_2926
; %bb.2921:                             ;   in Loop: Header=BB354_1574 Depth=1
	v_and_b32_e32 v85, 0x7f, v23
	v_mov_b32_e32 v84, 0x7fc02000
	s_mov_b32 s15, exec_lo
	s_delay_alu instid0(VALU_DEP_2)
	v_cmpx_ne_u32_e32 0x7f, v85
	s_cbranch_execz .LBB354_2925
; %bb.2922:                             ;   in Loop: Header=BB354_1574 Depth=1
	v_and_b32_e32 v2, 7, v23
	v_lshrrev_b32_e32 v84, 3, v85
	v_mov_b32_e32 v14, v3
	s_mov_b32 s16, exec_lo
	s_delay_alu instid0(VALU_DEP_3)
	v_mov_b32_e32 v13, v2
	v_cmpx_gt_u32_e32 8, v85
; %bb.2923:                             ;   in Loop: Header=BB354_1574 Depth=1
	v_clz_i32_u32_e32 v13, v2
	s_delay_alu instid0(VALU_DEP_1) | instskip(NEXT) | instid1(VALU_DEP_1)
	v_min_u32_e32 v84, 32, v13
	v_subrev_nc_u32_e32 v13, 28, v84
	v_sub_nc_u32_e32 v84, 29, v84
	s_delay_alu instid0(VALU_DEP_2) | instskip(NEXT) | instid1(VALU_DEP_1)
	v_lshlrev_b64 v[13:14], v13, v[2:3]
	v_and_b32_e32 v13, 7, v13
; %bb.2924:                             ;   in Loop: Header=BB354_1574 Depth=1
	s_or_b32 exec_lo, exec_lo, s16
	v_lshlrev_b32_e32 v2, 8, v23
	v_lshl_add_u32 v14, v84, 10, 0x2000
	s_delay_alu instid0(VALU_DEP_1) | instskip(NEXT) | instid1(VALU_DEP_1)
	v_and_or_b32 v2, 0x8000, v2, v14
	v_lshl_or_b32 v2, v13, 7, v2
	s_delay_alu instid0(VALU_DEP_1)
	v_cvt_f32_f16_e32 v84, v2
.LBB354_2925:                           ;   in Loop: Header=BB354_1574 Depth=1
	s_or_b32 exec_lo, exec_lo, s15
.LBB354_2926:                           ;   in Loop: Header=BB354_1574 Depth=1
	s_delay_alu instid0(SALU_CYCLE_1)
	s_or_b32 exec_lo, exec_lo, s13
.LBB354_2927:                           ;   in Loop: Header=BB354_1574 Depth=1
	s_delay_alu instid0(SALU_CYCLE_1) | instskip(SKIP_4) | instid1(VALU_DEP_3)
	s_or_b32 exec_lo, exec_lo, s12
	v_dual_mov_b32 v2, v12 :: v_dual_and_b32 v13, 0xff, v12
	v_mov_b32_e32 v85, 0
	v_mov_b32_e32 v23, 0
	s_mov_b32 s12, exec_lo
	v_cmpx_ne_u16_e32 0, v13
	s_cbranch_execz .LBB354_2935
; %bb.2928:                             ;   in Loop: Header=BB354_1574 Depth=1
	v_bfrev_b32_e32 v23, 1
	s_mov_b32 s13, exec_lo
	v_cmpx_ne_u16_e32 0x80, v13
	s_cbranch_execz .LBB354_2934
; %bb.2929:                             ;   in Loop: Header=BB354_1574 Depth=1
	v_and_b32_e32 v44, 0x7f, v12
	v_mov_b32_e32 v23, 0x7fc02000
	s_mov_b32 s15, exec_lo
	s_delay_alu instid0(VALU_DEP_2)
	v_cmpx_ne_u32_e32 0x7f, v44
	s_cbranch_execz .LBB354_2933
; %bb.2930:                             ;   in Loop: Header=BB354_1574 Depth=1
	v_dual_mov_b32 v14, v3 :: v_dual_mov_b32 v13, v2
	v_lshrrev_b32_e32 v14, 3, v44
	s_mov_b32 s16, exec_lo
	v_cmpx_gt_u32_e32 8, v44
; %bb.2931:                             ;   in Loop: Header=BB354_1574 Depth=1
	v_and_b32_e32 v13, 7, v12
	s_delay_alu instid0(VALU_DEP_1) | instskip(NEXT) | instid1(VALU_DEP_1)
	v_clz_i32_u32_e32 v13, v13
	v_min_u32_e32 v23, 32, v13
	s_delay_alu instid0(VALU_DEP_1) | instskip(NEXT) | instid1(VALU_DEP_1)
	v_subrev_nc_u32_e32 v13, 28, v23
	v_lshlrev_b64 v[13:14], v13, v[2:3]
	v_sub_nc_u32_e32 v14, 29, v23
; %bb.2932:                             ;   in Loop: Header=BB354_1574 Depth=1
	s_or_b32 exec_lo, exec_lo, s16
	v_lshlrev_b32_e32 v23, 8, v12
	s_delay_alu instid0(VALU_DEP_2) | instskip(NEXT) | instid1(VALU_DEP_4)
	v_lshl_add_u32 v14, v14, 10, 0x2000
	v_lshlrev_b32_e32 v13, 7, v13
	s_delay_alu instid0(VALU_DEP_2) | instskip(NEXT) | instid1(VALU_DEP_1)
	v_and_or_b32 v14, 0x8000, v23, v14
	v_and_or_b32 v13, 0x380, v13, v14
	s_delay_alu instid0(VALU_DEP_1)
	v_cvt_f32_f16_e32 v23, v13
.LBB354_2933:                           ;   in Loop: Header=BB354_1574 Depth=1
	s_or_b32 exec_lo, exec_lo, s15
.LBB354_2934:                           ;   in Loop: Header=BB354_1574 Depth=1
	s_delay_alu instid0(SALU_CYCLE_1)
	s_or_b32 exec_lo, exec_lo, s13
.LBB354_2935:                           ;   in Loop: Header=BB354_1574 Depth=1
	s_delay_alu instid0(SALU_CYCLE_1) | instskip(SKIP_2) | instid1(VALU_DEP_1)
	s_or_b32 exec_lo, exec_lo, s12
	v_lshrrev_b16 v2, 8, v2
	s_mov_b32 s12, exec_lo
	v_cmpx_ne_u16_e32 0, v2
	s_cbranch_execz .LBB354_2943
; %bb.2936:                             ;   in Loop: Header=BB354_1574 Depth=1
	v_bfrev_b32_e32 v85, 1
	s_mov_b32 s13, exec_lo
	v_cmpx_ne_u16_e32 0x80, v2
	s_cbranch_execz .LBB354_2942
; %bb.2937:                             ;   in Loop: Header=BB354_1574 Depth=1
	v_and_b32_e32 v44, 0xffff, v2
	v_mov_b32_e32 v85, 0x7fc02000
	s_mov_b32 s15, exec_lo
	s_delay_alu instid0(VALU_DEP_2) | instskip(NEXT) | instid1(VALU_DEP_1)
	v_and_b32_e32 v45, 0x7f, v44
	v_cmpx_ne_u32_e32 0x7f, v45
	s_cbranch_execz .LBB354_2941
; %bb.2938:                             ;   in Loop: Header=BB354_1574 Depth=1
	v_and_b32_e32 v2, 7, v44
	v_lshrrev_b32_e32 v85, 3, v45
	v_mov_b32_e32 v14, v3
	s_mov_b32 s16, exec_lo
	s_delay_alu instid0(VALU_DEP_3)
	v_mov_b32_e32 v13, v2
	v_cmpx_gt_u32_e32 8, v45
; %bb.2939:                             ;   in Loop: Header=BB354_1574 Depth=1
	v_clz_i32_u32_e32 v13, v2
	s_delay_alu instid0(VALU_DEP_1) | instskip(NEXT) | instid1(VALU_DEP_1)
	v_min_u32_e32 v85, 32, v13
	v_subrev_nc_u32_e32 v13, 28, v85
	v_sub_nc_u32_e32 v85, 29, v85
	s_delay_alu instid0(VALU_DEP_2) | instskip(NEXT) | instid1(VALU_DEP_1)
	v_lshlrev_b64 v[13:14], v13, v[2:3]
	v_and_b32_e32 v13, 7, v13
; %bb.2940:                             ;   in Loop: Header=BB354_1574 Depth=1
	s_or_b32 exec_lo, exec_lo, s16
	v_lshlrev_b32_e32 v2, 8, v44
	v_lshl_add_u32 v14, v85, 10, 0x2000
	s_delay_alu instid0(VALU_DEP_1) | instskip(NEXT) | instid1(VALU_DEP_1)
	v_and_or_b32 v2, 0x8000, v2, v14
	v_lshl_or_b32 v2, v13, 7, v2
	s_delay_alu instid0(VALU_DEP_1)
	v_cvt_f32_f16_e32 v85, v2
.LBB354_2941:                           ;   in Loop: Header=BB354_1574 Depth=1
	s_or_b32 exec_lo, exec_lo, s15
.LBB354_2942:                           ;   in Loop: Header=BB354_1574 Depth=1
	s_delay_alu instid0(SALU_CYCLE_1)
	s_or_b32 exec_lo, exec_lo, s13
.LBB354_2943:                           ;   in Loop: Header=BB354_1574 Depth=1
	s_delay_alu instid0(SALU_CYCLE_1) | instskip(SKIP_3) | instid1(VALU_DEP_2)
	s_or_b32 exec_lo, exec_lo, s12
	v_lshrrev_b32_e32 v45, 16, v12
	v_mov_b32_e32 v44, 0
	s_mov_b32 s12, exec_lo
	v_dual_mov_b32 v13, 0 :: v_dual_and_b32 v2, 0xff, v45
	s_delay_alu instid0(VALU_DEP_1)
	v_cmpx_ne_u16_e32 0, v2
	s_cbranch_execz .LBB354_2951
; %bb.2944:                             ;   in Loop: Header=BB354_1574 Depth=1
	v_bfrev_b32_e32 v13, 1
	s_mov_b32 s13, exec_lo
	v_cmpx_ne_u16_e32 0x80, v2
	s_cbranch_execz .LBB354_2950
; %bb.2945:                             ;   in Loop: Header=BB354_1574 Depth=1
	v_bfe_u32 v47, v12, 16, 7
	v_mov_b32_e32 v13, 0x7fc02000
	s_mov_b32 s15, exec_lo
	s_delay_alu instid0(VALU_DEP_2)
	v_cmpx_ne_u32_e32 0x7f, v47
	s_cbranch_execz .LBB354_2949
; %bb.2946:                             ;   in Loop: Header=BB354_1574 Depth=1
	v_and_b32_e32 v2, 7, v45
	v_lshrrev_b32_e32 v46, 3, v47
	v_mov_b32_e32 v14, v3
	s_mov_b32 s16, exec_lo
	s_delay_alu instid0(VALU_DEP_3)
	v_mov_b32_e32 v13, v2
	v_cmpx_gt_u32_e32 8, v47
; %bb.2947:                             ;   in Loop: Header=BB354_1574 Depth=1
	v_clz_i32_u32_e32 v13, v2
	s_delay_alu instid0(VALU_DEP_1) | instskip(NEXT) | instid1(VALU_DEP_1)
	v_min_u32_e32 v46, 32, v13
	v_subrev_nc_u32_e32 v13, 28, v46
	v_sub_nc_u32_e32 v46, 29, v46
	s_delay_alu instid0(VALU_DEP_2) | instskip(NEXT) | instid1(VALU_DEP_1)
	v_lshlrev_b64 v[13:14], v13, v[2:3]
	v_and_b32_e32 v13, 7, v13
; %bb.2948:                             ;   in Loop: Header=BB354_1574 Depth=1
	s_or_b32 exec_lo, exec_lo, s16
	v_lshlrev_b32_e32 v2, 8, v45
	v_lshl_add_u32 v14, v46, 10, 0x2000
	s_delay_alu instid0(VALU_DEP_1) | instskip(NEXT) | instid1(VALU_DEP_1)
	v_and_or_b32 v2, 0x8000, v2, v14
	v_lshl_or_b32 v2, v13, 7, v2
	s_delay_alu instid0(VALU_DEP_1)
	v_cvt_f32_f16_e32 v13, v2
.LBB354_2949:                           ;   in Loop: Header=BB354_1574 Depth=1
	s_or_b32 exec_lo, exec_lo, s15
.LBB354_2950:                           ;   in Loop: Header=BB354_1574 Depth=1
	s_delay_alu instid0(SALU_CYCLE_1)
	s_or_b32 exec_lo, exec_lo, s13
.LBB354_2951:                           ;   in Loop: Header=BB354_1574 Depth=1
	s_delay_alu instid0(SALU_CYCLE_1) | instskip(NEXT) | instid1(SALU_CYCLE_1)
	s_or_b32 exec_lo, exec_lo, s12
	s_mov_b32 s12, exec_lo
	v_cmpx_lt_u64_e64 s[8:9], v[11:12]
	s_cbranch_execz .LBB354_2959
; %bb.2952:                             ;   in Loop: Header=BB354_1574 Depth=1
	v_lshrrev_b32_e32 v14, 24, v12
	v_bfrev_b32_e32 v44, 1
	s_mov_b32 s13, exec_lo
	s_delay_alu instid0(VALU_DEP_2)
	v_cmpx_ne_u32_e32 0x80, v14
	s_cbranch_execz .LBB354_2958
; %bb.2953:                             ;   in Loop: Header=BB354_1574 Depth=1
	v_and_b32_e32 v45, 0x7f, v14
	v_mov_b32_e32 v44, 0x7fc02000
	s_mov_b32 s15, exec_lo
	s_delay_alu instid0(VALU_DEP_2)
	v_cmpx_ne_u32_e32 0x7f, v45
	s_cbranch_execz .LBB354_2957
; %bb.2954:                             ;   in Loop: Header=BB354_1574 Depth=1
	v_and_b32_e32 v2, 7, v14
	v_lshrrev_b32_e32 v44, 3, v45
	v_mov_b32_e32 v12, v3
	s_mov_b32 s16, exec_lo
	s_delay_alu instid0(VALU_DEP_3)
	v_mov_b32_e32 v11, v2
	v_cmpx_gt_u32_e32 8, v45
; %bb.2955:                             ;   in Loop: Header=BB354_1574 Depth=1
	v_clz_i32_u32_e32 v11, v2
	s_delay_alu instid0(VALU_DEP_1) | instskip(NEXT) | instid1(VALU_DEP_1)
	v_min_u32_e32 v44, 32, v11
	v_subrev_nc_u32_e32 v11, 28, v44
	v_sub_nc_u32_e32 v44, 29, v44
	s_delay_alu instid0(VALU_DEP_2) | instskip(NEXT) | instid1(VALU_DEP_1)
	v_lshlrev_b64 v[11:12], v11, v[2:3]
	v_and_b32_e32 v11, 7, v11
; %bb.2956:                             ;   in Loop: Header=BB354_1574 Depth=1
	s_or_b32 exec_lo, exec_lo, s16
	v_lshlrev_b32_e32 v2, 8, v14
	v_lshl_add_u32 v12, v44, 10, 0x2000
	s_delay_alu instid0(VALU_DEP_1) | instskip(NEXT) | instid1(VALU_DEP_1)
	v_and_or_b32 v2, 0x8000, v2, v12
	v_lshl_or_b32 v2, v11, 7, v2
	s_delay_alu instid0(VALU_DEP_1)
	v_cvt_f32_f16_e32 v44, v2
.LBB354_2957:                           ;   in Loop: Header=BB354_1574 Depth=1
	s_or_b32 exec_lo, exec_lo, s15
.LBB354_2958:                           ;   in Loop: Header=BB354_1574 Depth=1
	s_delay_alu instid0(SALU_CYCLE_1)
	s_or_b32 exec_lo, exec_lo, s13
.LBB354_2959:                           ;   in Loop: Header=BB354_1574 Depth=1
	s_delay_alu instid0(SALU_CYCLE_1)
	s_or_b32 exec_lo, exec_lo, s12
	s_waitcnt vmcnt(0) lgkmcnt(0)
	v_fma_mixlo_f16 v12, v50, v52, 0
	v_fma_mixlo_f16 v2, v50, v84, 0
	;; [unrolled: 1-line block ×5, first 2 shown]
	v_lshlrev_b32_e32 v14, 16, v12
	v_fma_mixlo_f16 v23, v50, v23, 0
	v_fma_mixlo_f16 v53, v50, v44, 0
	;; [unrolled: 1-line block ×3, first 2 shown]
	v_lshlrev_b32_e32 v2, 16, v2
	v_and_b32_e32 v11, 0xffff, v11
	v_and_b32_e32 v50, 0xffff, v51
	v_lshlrev_b32_e32 v51, 16, v52
	v_and_b32_e32 v23, 0xffff, v23
	v_lshlrev_b32_e32 v52, 16, v53
	v_and_b32_e32 v53, 0xffff, v12
	v_or_b32_e32 v13, v2, v11
	v_or_b32_e32 v14, v14, v50
	;; [unrolled: 1-line block ×3, first 2 shown]
	s_delay_alu instid0(VALU_DEP_4)
	v_or_b32_e32 v11, v52, v53
	s_and_saveexec_b32 s12, vcc_lo
	s_cbranch_execz .LBB354_2961
; %bb.2960:                             ;   in Loop: Header=BB354_1574 Depth=1
	v_cmp_lt_i32_e64 s0, v119, v38
	v_lshrrev_b32_e32 v23, 16, v14
	v_lshrrev_b32_e32 v50, 16, v13
	;; [unrolled: 1-line block ×4, first 2 shown]
	v_cndmask_b32_e64 v14, 0, v14, s0
	v_cmp_lt_i32_e64 s0, v134, v55
	s_delay_alu instid0(VALU_DEP_1) | instskip(SKIP_1) | instid1(VALU_DEP_2)
	v_cndmask_b32_e64 v23, 0, v23, s0
	v_cmp_lt_i32_e64 s0, v133, v55
	v_perm_b32 v14, v23, v14, 0x5040100
	s_delay_alu instid0(VALU_DEP_2) | instskip(SKIP_1) | instid1(VALU_DEP_1)
	v_cndmask_b32_e64 v50, 0, v50, s0
	v_cmp_lt_i32_e64 s0, v132, v38
	v_cndmask_b32_e64 v13, 0, v13, s0
	v_cmp_lt_i32_e64 s0, v131, v55
	s_delay_alu instid0(VALU_DEP_2) | instskip(NEXT) | instid1(VALU_DEP_2)
	v_perm_b32 v13, v50, v13, 0x5040100
	v_cndmask_b32_e64 v51, 0, v51, s0
	v_cmp_lt_i32_e64 s0, v130, v38
	s_delay_alu instid0(VALU_DEP_1) | instskip(SKIP_1) | instid1(VALU_DEP_2)
	v_cndmask_b32_e64 v2, 0, v2, s0
	v_cmp_lt_i32_e64 s0, v129, v55
	v_perm_b32 v2, v51, v2, 0x5040100
	s_delay_alu instid0(VALU_DEP_2) | instskip(SKIP_1) | instid1(VALU_DEP_1)
	v_cndmask_b32_e64 v11, 0, v11, s0
	v_cmp_lt_i32_e64 s0, v128, v38
	v_cndmask_b32_e64 v12, 0, v12, s0
	s_delay_alu instid0(VALU_DEP_1)
	v_perm_b32 v11, v11, v12, 0x5040100
.LBB354_2961:                           ;   in Loop: Header=BB354_1574 Depth=1
	s_or_b32 exec_lo, exec_lo, s12
	;;#ASMSTART
	v_pk_mul_f16 v12, v118, v14;

	;;#ASMEND
	;;#ASMSTART
	v_pk_mul_f16 v13, v117, v13;

	;;#ASMEND
	;; [unrolled: 4-line block ×4, first 2 shown]
	;;#ASMSTART
	v_pk_add_f16 v12, v12, v13;

	;;#ASMEND
	;;#ASMSTART
	v_pk_add_f16 v2, v12, v2;

	;;#ASMEND
	;; [unrolled: 4-line block ×3, first 2 shown]
	v_add_co_u32 v11, s0, v9, v101
	s_delay_alu instid0(VALU_DEP_1)
	v_add_co_ci_u32_e64 v12, s0, 0, v10, s0
	v_lshrrev_b32_e32 v13, 16, v2
	v_dual_mov_b32 v53, 0 :: v_dual_and_b32 v2, 0xffff, v2
	;;#ASMSTART
	v_cvt_f32_f16 v50, v2;
	;;#ASMEND
	;;#ASMSTART
	v_cvt_f32_f16 v51, v13;
	;;#ASMEND
	flat_load_b64 v[11:12], v[11:12]
	flat_load_b32 v52, v[26:27]
	v_mov_b32_e32 v84, 0
	s_mov_b32 s12, exec_lo
	s_waitcnt vmcnt(1) lgkmcnt(1)
	v_and_b32_e32 v2, 0xff, v11
	s_delay_alu instid0(VALU_DEP_1)
	v_cmpx_ne_u16_e32 0, v2
	s_cbranch_execz .LBB354_2969
; %bb.2962:                             ;   in Loop: Header=BB354_1574 Depth=1
	v_bfrev_b32_e32 v53, 1
	s_mov_b32 s13, exec_lo
	v_cmpx_ne_u16_e32 0x80, v2
	s_cbranch_execz .LBB354_2968
; %bb.2963:                             ;   in Loop: Header=BB354_1574 Depth=1
	v_and_b32_e32 v13, 0x7f, v11
	v_mov_b32_e32 v53, 0x7fc02000
	s_mov_b32 s15, exec_lo
	s_delay_alu instid0(VALU_DEP_2)
	v_cmpx_ne_u32_e32 0x7f, v13
	s_cbranch_execz .LBB354_2967
; %bb.2964:                             ;   in Loop: Header=BB354_1574 Depth=1
	v_lshrrev_b32_e32 v2, 3, v13
	v_cmp_gt_u32_e64 s0, 8, v13
	v_dual_mov_b32 v14, v12 :: v_dual_mov_b32 v13, v11
	s_delay_alu instid0(VALU_DEP_2)
	s_and_saveexec_b32 s16, s0
; %bb.2965:                             ;   in Loop: Header=BB354_1574 Depth=1
	v_and_b32_e32 v2, 7, v11
	s_delay_alu instid0(VALU_DEP_1) | instskip(NEXT) | instid1(VALU_DEP_1)
	v_clz_i32_u32_e32 v2, v2
	v_min_u32_e32 v2, 32, v2
	s_delay_alu instid0(VALU_DEP_1) | instskip(SKIP_1) | instid1(VALU_DEP_2)
	v_subrev_nc_u32_e32 v13, 28, v2
	v_sub_nc_u32_e32 v2, 29, v2
	v_lshlrev_b64 v[13:14], v13, v[11:12]
; %bb.2966:                             ;   in Loop: Header=BB354_1574 Depth=1
	s_or_b32 exec_lo, exec_lo, s16
	v_lshlrev_b32_e32 v14, 8, v11
	s_delay_alu instid0(VALU_DEP_3) | instskip(NEXT) | instid1(VALU_DEP_3)
	v_lshl_add_u32 v2, v2, 10, 0x2000
	v_lshlrev_b32_e32 v13, 7, v13
	s_delay_alu instid0(VALU_DEP_2) | instskip(NEXT) | instid1(VALU_DEP_1)
	v_and_or_b32 v2, 0x8000, v14, v2
	v_and_or_b32 v2, 0x380, v13, v2
	s_delay_alu instid0(VALU_DEP_1)
	v_cvt_f32_f16_e32 v53, v2
.LBB354_2967:                           ;   in Loop: Header=BB354_1574 Depth=1
	s_or_b32 exec_lo, exec_lo, s15
.LBB354_2968:                           ;   in Loop: Header=BB354_1574 Depth=1
	s_delay_alu instid0(SALU_CYCLE_1)
	s_or_b32 exec_lo, exec_lo, s13
.LBB354_2969:                           ;   in Loop: Header=BB354_1574 Depth=1
	s_delay_alu instid0(SALU_CYCLE_1) | instskip(SKIP_2) | instid1(VALU_DEP_1)
	s_or_b32 exec_lo, exec_lo, s12
	v_lshrrev_b16 v2, 8, v11
	s_mov_b32 s12, exec_lo
	v_cmpx_ne_u16_e32 0, v2
	s_cbranch_execz .LBB354_2977
; %bb.2970:                             ;   in Loop: Header=BB354_1574 Depth=1
	v_bfrev_b32_e32 v84, 1
	s_mov_b32 s13, exec_lo
	v_cmpx_ne_u16_e32 0x80, v2
	s_cbranch_execz .LBB354_2976
; %bb.2971:                             ;   in Loop: Header=BB354_1574 Depth=1
	v_and_b32_e32 v23, 0xffff, v2
	v_mov_b32_e32 v84, 0x7fc02000
	s_mov_b32 s15, exec_lo
	s_delay_alu instid0(VALU_DEP_2) | instskip(NEXT) | instid1(VALU_DEP_1)
	v_and_b32_e32 v85, 0x7f, v23
	v_cmpx_ne_u32_e32 0x7f, v85
	s_cbranch_execz .LBB354_2975
; %bb.2972:                             ;   in Loop: Header=BB354_1574 Depth=1
	v_and_b32_e32 v2, 7, v23
	v_lshrrev_b32_e32 v84, 3, v85
	v_mov_b32_e32 v14, v3
	s_mov_b32 s16, exec_lo
	s_delay_alu instid0(VALU_DEP_3)
	v_mov_b32_e32 v13, v2
	v_cmpx_gt_u32_e32 8, v85
; %bb.2973:                             ;   in Loop: Header=BB354_1574 Depth=1
	v_clz_i32_u32_e32 v13, v2
	s_delay_alu instid0(VALU_DEP_1) | instskip(NEXT) | instid1(VALU_DEP_1)
	v_min_u32_e32 v84, 32, v13
	v_subrev_nc_u32_e32 v13, 28, v84
	v_sub_nc_u32_e32 v84, 29, v84
	s_delay_alu instid0(VALU_DEP_2) | instskip(NEXT) | instid1(VALU_DEP_1)
	v_lshlrev_b64 v[13:14], v13, v[2:3]
	v_and_b32_e32 v13, 7, v13
; %bb.2974:                             ;   in Loop: Header=BB354_1574 Depth=1
	s_or_b32 exec_lo, exec_lo, s16
	v_lshlrev_b32_e32 v2, 8, v23
	v_lshl_add_u32 v14, v84, 10, 0x2000
	s_delay_alu instid0(VALU_DEP_1) | instskip(NEXT) | instid1(VALU_DEP_1)
	v_and_or_b32 v2, 0x8000, v2, v14
	v_lshl_or_b32 v2, v13, 7, v2
	s_delay_alu instid0(VALU_DEP_1)
	v_cvt_f32_f16_e32 v84, v2
.LBB354_2975:                           ;   in Loop: Header=BB354_1574 Depth=1
	s_or_b32 exec_lo, exec_lo, s15
.LBB354_2976:                           ;   in Loop: Header=BB354_1574 Depth=1
	s_delay_alu instid0(SALU_CYCLE_1)
	s_or_b32 exec_lo, exec_lo, s13
.LBB354_2977:                           ;   in Loop: Header=BB354_1574 Depth=1
	s_delay_alu instid0(SALU_CYCLE_1) | instskip(SKIP_3) | instid1(VALU_DEP_2)
	s_or_b32 exec_lo, exec_lo, s12
	v_lshrrev_b32_e32 v23, 16, v11
	v_mov_b32_e32 v44, 0
	s_mov_b32 s12, exec_lo
	v_dual_mov_b32 v85, 0 :: v_dual_and_b32 v2, 0xff, v23
	s_delay_alu instid0(VALU_DEP_1)
	v_cmpx_ne_u16_e32 0, v2
	s_cbranch_execz .LBB354_2985
; %bb.2978:                             ;   in Loop: Header=BB354_1574 Depth=1
	v_bfrev_b32_e32 v85, 1
	s_mov_b32 s13, exec_lo
	v_cmpx_ne_u16_e32 0x80, v2
	s_cbranch_execz .LBB354_2984
; %bb.2979:                             ;   in Loop: Header=BB354_1574 Depth=1
	v_bfe_u32 v45, v11, 16, 7
	v_mov_b32_e32 v85, 0x7fc02000
	s_mov_b32 s15, exec_lo
	s_delay_alu instid0(VALU_DEP_2)
	v_cmpx_ne_u32_e32 0x7f, v45
	s_cbranch_execz .LBB354_2983
; %bb.2980:                             ;   in Loop: Header=BB354_1574 Depth=1
	v_and_b32_e32 v2, 7, v23
	v_lshrrev_b32_e32 v85, 3, v45
	v_mov_b32_e32 v14, v3
	s_mov_b32 s16, exec_lo
	s_delay_alu instid0(VALU_DEP_3)
	v_mov_b32_e32 v13, v2
	v_cmpx_gt_u32_e32 8, v45
; %bb.2981:                             ;   in Loop: Header=BB354_1574 Depth=1
	v_clz_i32_u32_e32 v13, v2
	s_delay_alu instid0(VALU_DEP_1) | instskip(NEXT) | instid1(VALU_DEP_1)
	v_min_u32_e32 v85, 32, v13
	v_subrev_nc_u32_e32 v13, 28, v85
	v_sub_nc_u32_e32 v85, 29, v85
	s_delay_alu instid0(VALU_DEP_2) | instskip(NEXT) | instid1(VALU_DEP_1)
	v_lshlrev_b64 v[13:14], v13, v[2:3]
	v_and_b32_e32 v13, 7, v13
; %bb.2982:                             ;   in Loop: Header=BB354_1574 Depth=1
	s_or_b32 exec_lo, exec_lo, s16
	v_lshlrev_b32_e32 v2, 8, v23
	v_lshl_add_u32 v14, v85, 10, 0x2000
	s_delay_alu instid0(VALU_DEP_1) | instskip(NEXT) | instid1(VALU_DEP_1)
	v_and_or_b32 v2, 0x8000, v2, v14
	v_lshl_or_b32 v2, v13, 7, v2
	s_delay_alu instid0(VALU_DEP_1)
	v_cvt_f32_f16_e32 v85, v2
.LBB354_2983:                           ;   in Loop: Header=BB354_1574 Depth=1
	s_or_b32 exec_lo, exec_lo, s15
.LBB354_2984:                           ;   in Loop: Header=BB354_1574 Depth=1
	s_delay_alu instid0(SALU_CYCLE_1)
	s_or_b32 exec_lo, exec_lo, s13
.LBB354_2985:                           ;   in Loop: Header=BB354_1574 Depth=1
	s_delay_alu instid0(SALU_CYCLE_1) | instskip(NEXT) | instid1(SALU_CYCLE_1)
	s_or_b32 exec_lo, exec_lo, s12
	s_mov_b32 s12, exec_lo
	v_cmpx_lt_u32_e32 0xffffff, v11
	s_cbranch_execz .LBB354_2993
; %bb.2986:                             ;   in Loop: Header=BB354_1574 Depth=1
	v_lshrrev_b32_e32 v23, 24, v11
	v_bfrev_b32_e32 v44, 1
	s_mov_b32 s13, exec_lo
	s_delay_alu instid0(VALU_DEP_2)
	v_cmpx_ne_u32_e32 0x80, v23
	s_cbranch_execz .LBB354_2992
; %bb.2987:                             ;   in Loop: Header=BB354_1574 Depth=1
	v_and_b32_e32 v45, 0x7f, v23
	v_mov_b32_e32 v44, 0x7fc02000
	s_mov_b32 s15, exec_lo
	s_delay_alu instid0(VALU_DEP_2)
	v_cmpx_ne_u32_e32 0x7f, v45
	s_cbranch_execz .LBB354_2991
; %bb.2988:                             ;   in Loop: Header=BB354_1574 Depth=1
	v_and_b32_e32 v2, 7, v23
	v_lshrrev_b32_e32 v44, 3, v45
	v_mov_b32_e32 v14, v3
	s_mov_b32 s16, exec_lo
	s_delay_alu instid0(VALU_DEP_3)
	v_mov_b32_e32 v13, v2
	v_cmpx_gt_u32_e32 8, v45
; %bb.2989:                             ;   in Loop: Header=BB354_1574 Depth=1
	v_clz_i32_u32_e32 v13, v2
	s_delay_alu instid0(VALU_DEP_1) | instskip(NEXT) | instid1(VALU_DEP_1)
	v_min_u32_e32 v44, 32, v13
	v_subrev_nc_u32_e32 v13, 28, v44
	v_sub_nc_u32_e32 v44, 29, v44
	s_delay_alu instid0(VALU_DEP_2) | instskip(NEXT) | instid1(VALU_DEP_1)
	v_lshlrev_b64 v[13:14], v13, v[2:3]
	v_and_b32_e32 v13, 7, v13
; %bb.2990:                             ;   in Loop: Header=BB354_1574 Depth=1
	s_or_b32 exec_lo, exec_lo, s16
	v_lshlrev_b32_e32 v2, 8, v23
	v_lshl_add_u32 v14, v44, 10, 0x2000
	s_delay_alu instid0(VALU_DEP_1) | instskip(NEXT) | instid1(VALU_DEP_1)
	v_and_or_b32 v2, 0x8000, v2, v14
	v_lshl_or_b32 v2, v13, 7, v2
	s_delay_alu instid0(VALU_DEP_1)
	v_cvt_f32_f16_e32 v44, v2
.LBB354_2991:                           ;   in Loop: Header=BB354_1574 Depth=1
	s_or_b32 exec_lo, exec_lo, s15
.LBB354_2992:                           ;   in Loop: Header=BB354_1574 Depth=1
	s_delay_alu instid0(SALU_CYCLE_1)
	s_or_b32 exec_lo, exec_lo, s13
.LBB354_2993:                           ;   in Loop: Header=BB354_1574 Depth=1
	s_delay_alu instid0(SALU_CYCLE_1) | instskip(SKIP_4) | instid1(VALU_DEP_3)
	s_or_b32 exec_lo, exec_lo, s12
	v_dual_mov_b32 v2, v12 :: v_dual_and_b32 v13, 0xff, v12
	v_mov_b32_e32 v45, 0
	v_mov_b32_e32 v23, 0
	s_mov_b32 s12, exec_lo
	v_cmpx_ne_u16_e32 0, v13
	s_cbranch_execz .LBB354_3001
; %bb.2994:                             ;   in Loop: Header=BB354_1574 Depth=1
	v_bfrev_b32_e32 v23, 1
	s_mov_b32 s13, exec_lo
	v_cmpx_ne_u16_e32 0x80, v13
	s_cbranch_execz .LBB354_3000
; %bb.2995:                             ;   in Loop: Header=BB354_1574 Depth=1
	v_and_b32_e32 v46, 0x7f, v12
	v_mov_b32_e32 v23, 0x7fc02000
	s_mov_b32 s15, exec_lo
	s_delay_alu instid0(VALU_DEP_2)
	v_cmpx_ne_u32_e32 0x7f, v46
	s_cbranch_execz .LBB354_2999
; %bb.2996:                             ;   in Loop: Header=BB354_1574 Depth=1
	v_dual_mov_b32 v14, v3 :: v_dual_mov_b32 v13, v2
	v_lshrrev_b32_e32 v14, 3, v46
	s_mov_b32 s16, exec_lo
	v_cmpx_gt_u32_e32 8, v46
; %bb.2997:                             ;   in Loop: Header=BB354_1574 Depth=1
	v_and_b32_e32 v13, 7, v12
	s_delay_alu instid0(VALU_DEP_1) | instskip(NEXT) | instid1(VALU_DEP_1)
	v_clz_i32_u32_e32 v13, v13
	v_min_u32_e32 v23, 32, v13
	s_delay_alu instid0(VALU_DEP_1) | instskip(NEXT) | instid1(VALU_DEP_1)
	v_subrev_nc_u32_e32 v13, 28, v23
	v_lshlrev_b64 v[13:14], v13, v[2:3]
	v_sub_nc_u32_e32 v14, 29, v23
; %bb.2998:                             ;   in Loop: Header=BB354_1574 Depth=1
	s_or_b32 exec_lo, exec_lo, s16
	v_lshlrev_b32_e32 v23, 8, v12
	s_delay_alu instid0(VALU_DEP_2) | instskip(NEXT) | instid1(VALU_DEP_4)
	v_lshl_add_u32 v14, v14, 10, 0x2000
	v_lshlrev_b32_e32 v13, 7, v13
	s_delay_alu instid0(VALU_DEP_2) | instskip(NEXT) | instid1(VALU_DEP_1)
	v_and_or_b32 v14, 0x8000, v23, v14
	v_and_or_b32 v13, 0x380, v13, v14
	s_delay_alu instid0(VALU_DEP_1)
	v_cvt_f32_f16_e32 v23, v13
.LBB354_2999:                           ;   in Loop: Header=BB354_1574 Depth=1
	s_or_b32 exec_lo, exec_lo, s15
.LBB354_3000:                           ;   in Loop: Header=BB354_1574 Depth=1
	s_delay_alu instid0(SALU_CYCLE_1)
	s_or_b32 exec_lo, exec_lo, s13
.LBB354_3001:                           ;   in Loop: Header=BB354_1574 Depth=1
	s_delay_alu instid0(SALU_CYCLE_1) | instskip(SKIP_2) | instid1(VALU_DEP_1)
	s_or_b32 exec_lo, exec_lo, s12
	v_lshrrev_b16 v2, 8, v2
	s_mov_b32 s12, exec_lo
	v_cmpx_ne_u16_e32 0, v2
	s_cbranch_execz .LBB354_3009
; %bb.3002:                             ;   in Loop: Header=BB354_1574 Depth=1
	v_bfrev_b32_e32 v45, 1
	s_mov_b32 s13, exec_lo
	v_cmpx_ne_u16_e32 0x80, v2
	s_cbranch_execz .LBB354_3008
; %bb.3003:                             ;   in Loop: Header=BB354_1574 Depth=1
	v_and_b32_e32 v46, 0xffff, v2
	v_mov_b32_e32 v45, 0x7fc02000
	s_mov_b32 s15, exec_lo
	s_delay_alu instid0(VALU_DEP_2) | instskip(NEXT) | instid1(VALU_DEP_1)
	v_and_b32_e32 v47, 0x7f, v46
	v_cmpx_ne_u32_e32 0x7f, v47
	s_cbranch_execz .LBB354_3007
; %bb.3004:                             ;   in Loop: Header=BB354_1574 Depth=1
	v_and_b32_e32 v2, 7, v46
	v_lshrrev_b32_e32 v45, 3, v47
	v_mov_b32_e32 v14, v3
	s_mov_b32 s16, exec_lo
	s_delay_alu instid0(VALU_DEP_3)
	v_mov_b32_e32 v13, v2
	v_cmpx_gt_u32_e32 8, v47
; %bb.3005:                             ;   in Loop: Header=BB354_1574 Depth=1
	v_clz_i32_u32_e32 v13, v2
	s_delay_alu instid0(VALU_DEP_1) | instskip(NEXT) | instid1(VALU_DEP_1)
	v_min_u32_e32 v45, 32, v13
	v_subrev_nc_u32_e32 v13, 28, v45
	v_sub_nc_u32_e32 v45, 29, v45
	s_delay_alu instid0(VALU_DEP_2) | instskip(NEXT) | instid1(VALU_DEP_1)
	v_lshlrev_b64 v[13:14], v13, v[2:3]
	v_and_b32_e32 v13, 7, v13
; %bb.3006:                             ;   in Loop: Header=BB354_1574 Depth=1
	s_or_b32 exec_lo, exec_lo, s16
	v_lshlrev_b32_e32 v2, 8, v46
	v_lshl_add_u32 v14, v45, 10, 0x2000
	s_delay_alu instid0(VALU_DEP_1) | instskip(NEXT) | instid1(VALU_DEP_1)
	v_and_or_b32 v2, 0x8000, v2, v14
	v_lshl_or_b32 v2, v13, 7, v2
	s_delay_alu instid0(VALU_DEP_1)
	v_cvt_f32_f16_e32 v45, v2
.LBB354_3007:                           ;   in Loop: Header=BB354_1574 Depth=1
	s_or_b32 exec_lo, exec_lo, s15
.LBB354_3008:                           ;   in Loop: Header=BB354_1574 Depth=1
	s_delay_alu instid0(SALU_CYCLE_1)
	s_or_b32 exec_lo, exec_lo, s13
.LBB354_3009:                           ;   in Loop: Header=BB354_1574 Depth=1
	s_delay_alu instid0(SALU_CYCLE_1) | instskip(SKIP_3) | instid1(VALU_DEP_2)
	s_or_b32 exec_lo, exec_lo, s12
	v_lshrrev_b32_e32 v47, 16, v12
	v_mov_b32_e32 v46, 0
	s_mov_b32 s12, exec_lo
	v_dual_mov_b32 v13, 0 :: v_dual_and_b32 v2, 0xff, v47
	s_delay_alu instid0(VALU_DEP_1)
	v_cmpx_ne_u16_e32 0, v2
	s_cbranch_execz .LBB354_3017
; %bb.3010:                             ;   in Loop: Header=BB354_1574 Depth=1
	v_bfrev_b32_e32 v13, 1
	s_mov_b32 s13, exec_lo
	v_cmpx_ne_u16_e32 0x80, v2
	s_cbranch_execz .LBB354_3016
; %bb.3011:                             ;   in Loop: Header=BB354_1574 Depth=1
	v_bfe_u32 v57, v12, 16, 7
	v_mov_b32_e32 v13, 0x7fc02000
	s_mov_b32 s15, exec_lo
	s_delay_alu instid0(VALU_DEP_2)
	v_cmpx_ne_u32_e32 0x7f, v57
	s_cbranch_execz .LBB354_3015
; %bb.3012:                             ;   in Loop: Header=BB354_1574 Depth=1
	v_and_b32_e32 v2, 7, v47
	v_lshrrev_b32_e32 v56, 3, v57
	v_mov_b32_e32 v14, v3
	s_mov_b32 s16, exec_lo
	s_delay_alu instid0(VALU_DEP_3)
	v_mov_b32_e32 v13, v2
	v_cmpx_gt_u32_e32 8, v57
; %bb.3013:                             ;   in Loop: Header=BB354_1574 Depth=1
	v_clz_i32_u32_e32 v13, v2
	s_delay_alu instid0(VALU_DEP_1) | instskip(NEXT) | instid1(VALU_DEP_1)
	v_min_u32_e32 v56, 32, v13
	v_subrev_nc_u32_e32 v13, 28, v56
	v_sub_nc_u32_e32 v56, 29, v56
	s_delay_alu instid0(VALU_DEP_2) | instskip(NEXT) | instid1(VALU_DEP_1)
	v_lshlrev_b64 v[13:14], v13, v[2:3]
	v_and_b32_e32 v13, 7, v13
; %bb.3014:                             ;   in Loop: Header=BB354_1574 Depth=1
	s_or_b32 exec_lo, exec_lo, s16
	v_lshlrev_b32_e32 v2, 8, v47
	v_lshl_add_u32 v14, v56, 10, 0x2000
	s_delay_alu instid0(VALU_DEP_1) | instskip(NEXT) | instid1(VALU_DEP_1)
	v_and_or_b32 v2, 0x8000, v2, v14
	v_lshl_or_b32 v2, v13, 7, v2
	s_delay_alu instid0(VALU_DEP_1)
	v_cvt_f32_f16_e32 v13, v2
.LBB354_3015:                           ;   in Loop: Header=BB354_1574 Depth=1
	s_or_b32 exec_lo, exec_lo, s15
.LBB354_3016:                           ;   in Loop: Header=BB354_1574 Depth=1
	s_delay_alu instid0(SALU_CYCLE_1)
	s_or_b32 exec_lo, exec_lo, s13
.LBB354_3017:                           ;   in Loop: Header=BB354_1574 Depth=1
	s_delay_alu instid0(SALU_CYCLE_1) | instskip(NEXT) | instid1(SALU_CYCLE_1)
	s_or_b32 exec_lo, exec_lo, s12
	s_mov_b32 s12, exec_lo
	v_cmpx_lt_u64_e64 s[8:9], v[11:12]
	s_cbranch_execz .LBB354_3025
; %bb.3018:                             ;   in Loop: Header=BB354_1574 Depth=1
	v_lshrrev_b32_e32 v14, 24, v12
	v_bfrev_b32_e32 v46, 1
	s_mov_b32 s13, exec_lo
	s_delay_alu instid0(VALU_DEP_2)
	v_cmpx_ne_u32_e32 0x80, v14
	s_cbranch_execz .LBB354_3024
; %bb.3019:                             ;   in Loop: Header=BB354_1574 Depth=1
	v_and_b32_e32 v47, 0x7f, v14
	v_mov_b32_e32 v46, 0x7fc02000
	s_mov_b32 s15, exec_lo
	s_delay_alu instid0(VALU_DEP_2)
	v_cmpx_ne_u32_e32 0x7f, v47
	s_cbranch_execz .LBB354_3023
; %bb.3020:                             ;   in Loop: Header=BB354_1574 Depth=1
	v_and_b32_e32 v2, 7, v14
	v_lshrrev_b32_e32 v46, 3, v47
	v_mov_b32_e32 v12, v3
	s_mov_b32 s16, exec_lo
	s_delay_alu instid0(VALU_DEP_3)
	v_mov_b32_e32 v11, v2
	v_cmpx_gt_u32_e32 8, v47
; %bb.3021:                             ;   in Loop: Header=BB354_1574 Depth=1
	v_clz_i32_u32_e32 v11, v2
	s_delay_alu instid0(VALU_DEP_1) | instskip(NEXT) | instid1(VALU_DEP_1)
	v_min_u32_e32 v46, 32, v11
	v_subrev_nc_u32_e32 v11, 28, v46
	v_sub_nc_u32_e32 v46, 29, v46
	s_delay_alu instid0(VALU_DEP_2) | instskip(NEXT) | instid1(VALU_DEP_1)
	v_lshlrev_b64 v[11:12], v11, v[2:3]
	v_and_b32_e32 v11, 7, v11
; %bb.3022:                             ;   in Loop: Header=BB354_1574 Depth=1
	s_or_b32 exec_lo, exec_lo, s16
	v_lshlrev_b32_e32 v2, 8, v14
	v_lshl_add_u32 v12, v46, 10, 0x2000
	s_delay_alu instid0(VALU_DEP_1) | instskip(NEXT) | instid1(VALU_DEP_1)
	v_and_or_b32 v2, 0x8000, v2, v12
	v_lshl_or_b32 v2, v11, 7, v2
	s_delay_alu instid0(VALU_DEP_1)
	v_cvt_f32_f16_e32 v46, v2
.LBB354_3023:                           ;   in Loop: Header=BB354_1574 Depth=1
	s_or_b32 exec_lo, exec_lo, s15
.LBB354_3024:                           ;   in Loop: Header=BB354_1574 Depth=1
	s_delay_alu instid0(SALU_CYCLE_1)
	s_or_b32 exec_lo, exec_lo, s13
.LBB354_3025:                           ;   in Loop: Header=BB354_1574 Depth=1
	s_delay_alu instid0(SALU_CYCLE_1)
	s_or_b32 exec_lo, exec_lo, s12
	s_waitcnt vmcnt(0) lgkmcnt(0)
	v_fma_mixlo_f16 v12, v52, v84, 0
	v_fma_mixlo_f16 v2, v52, v44, 0
	;; [unrolled: 1-line block ×5, first 2 shown]
	v_lshlrev_b32_e32 v14, 16, v12
	v_fma_mixlo_f16 v23, v52, v23, 0
	v_fma_mixlo_f16 v85, v52, v46, 0
	;; [unrolled: 1-line block ×3, first 2 shown]
	v_lshlrev_b32_e32 v2, 16, v2
	v_and_b32_e32 v11, 0xffff, v11
	v_and_b32_e32 v52, 0xffff, v53
	v_lshlrev_b32_e32 v53, 16, v84
	v_and_b32_e32 v23, 0xffff, v23
	v_lshlrev_b32_e32 v84, 16, v85
	v_and_b32_e32 v85, 0xffff, v12
	v_or_b32_e32 v13, v2, v11
	v_or_b32_e32 v14, v14, v52
	;; [unrolled: 1-line block ×3, first 2 shown]
	s_delay_alu instid0(VALU_DEP_4)
	v_or_b32_e32 v11, v84, v85
	s_and_saveexec_b32 s12, vcc_lo
	s_cbranch_execz .LBB354_3027
; %bb.3026:                             ;   in Loop: Header=BB354_1574 Depth=1
	v_cmp_lt_i32_e64 s0, v119, v38
	v_lshrrev_b32_e32 v23, 16, v14
	v_lshrrev_b32_e32 v52, 16, v13
	;; [unrolled: 1-line block ×4, first 2 shown]
	v_cndmask_b32_e64 v14, 0, v14, s0
	v_cmp_lt_i32_e64 s0, v134, v55
	s_delay_alu instid0(VALU_DEP_1) | instskip(SKIP_1) | instid1(VALU_DEP_2)
	v_cndmask_b32_e64 v23, 0, v23, s0
	v_cmp_lt_i32_e64 s0, v133, v55
	v_perm_b32 v14, v23, v14, 0x5040100
	s_delay_alu instid0(VALU_DEP_2) | instskip(SKIP_1) | instid1(VALU_DEP_1)
	v_cndmask_b32_e64 v52, 0, v52, s0
	v_cmp_lt_i32_e64 s0, v132, v38
	v_cndmask_b32_e64 v13, 0, v13, s0
	v_cmp_lt_i32_e64 s0, v131, v55
	s_delay_alu instid0(VALU_DEP_2) | instskip(NEXT) | instid1(VALU_DEP_2)
	v_perm_b32 v13, v52, v13, 0x5040100
	v_cndmask_b32_e64 v53, 0, v53, s0
	v_cmp_lt_i32_e64 s0, v130, v38
	s_delay_alu instid0(VALU_DEP_1) | instskip(SKIP_1) | instid1(VALU_DEP_2)
	v_cndmask_b32_e64 v2, 0, v2, s0
	v_cmp_lt_i32_e64 s0, v129, v55
	v_perm_b32 v2, v53, v2, 0x5040100
	s_delay_alu instid0(VALU_DEP_2) | instskip(SKIP_1) | instid1(VALU_DEP_1)
	v_cndmask_b32_e64 v11, 0, v11, s0
	v_cmp_lt_i32_e64 s0, v128, v38
	v_cndmask_b32_e64 v12, 0, v12, s0
	s_delay_alu instid0(VALU_DEP_1)
	v_perm_b32 v11, v11, v12, 0x5040100
.LBB354_3027:                           ;   in Loop: Header=BB354_1574 Depth=1
	s_or_b32 exec_lo, exec_lo, s12
	;;#ASMSTART
	v_pk_mul_f16 v12, v118, v14;

	;;#ASMEND
	;;#ASMSTART
	v_pk_mul_f16 v13, v117, v13;

	;;#ASMEND
	;; [unrolled: 4-line block ×4, first 2 shown]
	;;#ASMSTART
	v_pk_add_f16 v12, v12, v13;

	;;#ASMEND
	;;#ASMSTART
	v_pk_add_f16 v2, v12, v2;

	;;#ASMEND
	;; [unrolled: 4-line block ×3, first 2 shown]
	v_add_co_u32 v11, s0, v9, v102
	s_delay_alu instid0(VALU_DEP_1)
	v_add_co_ci_u32_e64 v12, s0, 0, v10, s0
	v_lshrrev_b32_e32 v13, 16, v2
	v_dual_mov_b32 v85, 0 :: v_dual_and_b32 v2, 0xffff, v2
	;;#ASMSTART
	v_cvt_f32_f16 v52, v2;
	;;#ASMEND
	;;#ASMSTART
	v_cvt_f32_f16 v53, v13;
	;;#ASMEND
	flat_load_b64 v[11:12], v[11:12]
	flat_load_b32 v84, v[26:27]
	v_mov_b32_e32 v44, 0
	s_mov_b32 s12, exec_lo
	s_waitcnt vmcnt(1) lgkmcnt(1)
	v_and_b32_e32 v2, 0xff, v11
	s_delay_alu instid0(VALU_DEP_1)
	v_cmpx_ne_u16_e32 0, v2
	s_cbranch_execz .LBB354_3035
; %bb.3028:                             ;   in Loop: Header=BB354_1574 Depth=1
	v_bfrev_b32_e32 v85, 1
	s_mov_b32 s13, exec_lo
	v_cmpx_ne_u16_e32 0x80, v2
	s_cbranch_execz .LBB354_3034
; %bb.3029:                             ;   in Loop: Header=BB354_1574 Depth=1
	v_and_b32_e32 v13, 0x7f, v11
	v_mov_b32_e32 v85, 0x7fc02000
	s_mov_b32 s15, exec_lo
	s_delay_alu instid0(VALU_DEP_2)
	v_cmpx_ne_u32_e32 0x7f, v13
	s_cbranch_execz .LBB354_3033
; %bb.3030:                             ;   in Loop: Header=BB354_1574 Depth=1
	v_lshrrev_b32_e32 v2, 3, v13
	v_cmp_gt_u32_e64 s0, 8, v13
	v_dual_mov_b32 v14, v12 :: v_dual_mov_b32 v13, v11
	s_delay_alu instid0(VALU_DEP_2)
	s_and_saveexec_b32 s16, s0
; %bb.3031:                             ;   in Loop: Header=BB354_1574 Depth=1
	v_and_b32_e32 v2, 7, v11
	s_delay_alu instid0(VALU_DEP_1) | instskip(NEXT) | instid1(VALU_DEP_1)
	v_clz_i32_u32_e32 v2, v2
	v_min_u32_e32 v2, 32, v2
	s_delay_alu instid0(VALU_DEP_1) | instskip(SKIP_1) | instid1(VALU_DEP_2)
	v_subrev_nc_u32_e32 v13, 28, v2
	v_sub_nc_u32_e32 v2, 29, v2
	v_lshlrev_b64 v[13:14], v13, v[11:12]
; %bb.3032:                             ;   in Loop: Header=BB354_1574 Depth=1
	s_or_b32 exec_lo, exec_lo, s16
	v_lshlrev_b32_e32 v14, 8, v11
	s_delay_alu instid0(VALU_DEP_3) | instskip(NEXT) | instid1(VALU_DEP_3)
	v_lshl_add_u32 v2, v2, 10, 0x2000
	v_lshlrev_b32_e32 v13, 7, v13
	s_delay_alu instid0(VALU_DEP_2) | instskip(NEXT) | instid1(VALU_DEP_1)
	v_and_or_b32 v2, 0x8000, v14, v2
	v_and_or_b32 v2, 0x380, v13, v2
	s_delay_alu instid0(VALU_DEP_1)
	v_cvt_f32_f16_e32 v85, v2
.LBB354_3033:                           ;   in Loop: Header=BB354_1574 Depth=1
	s_or_b32 exec_lo, exec_lo, s15
.LBB354_3034:                           ;   in Loop: Header=BB354_1574 Depth=1
	s_delay_alu instid0(SALU_CYCLE_1)
	s_or_b32 exec_lo, exec_lo, s13
.LBB354_3035:                           ;   in Loop: Header=BB354_1574 Depth=1
	s_delay_alu instid0(SALU_CYCLE_1) | instskip(SKIP_2) | instid1(VALU_DEP_1)
	s_or_b32 exec_lo, exec_lo, s12
	v_lshrrev_b16 v2, 8, v11
	s_mov_b32 s12, exec_lo
	v_cmpx_ne_u16_e32 0, v2
	s_cbranch_execz .LBB354_3043
; %bb.3036:                             ;   in Loop: Header=BB354_1574 Depth=1
	v_bfrev_b32_e32 v44, 1
	s_mov_b32 s13, exec_lo
	v_cmpx_ne_u16_e32 0x80, v2
	s_cbranch_execz .LBB354_3042
; %bb.3037:                             ;   in Loop: Header=BB354_1574 Depth=1
	v_and_b32_e32 v23, 0xffff, v2
	v_mov_b32_e32 v44, 0x7fc02000
	s_mov_b32 s15, exec_lo
	s_delay_alu instid0(VALU_DEP_2) | instskip(NEXT) | instid1(VALU_DEP_1)
	v_and_b32_e32 v45, 0x7f, v23
	v_cmpx_ne_u32_e32 0x7f, v45
	s_cbranch_execz .LBB354_3041
; %bb.3038:                             ;   in Loop: Header=BB354_1574 Depth=1
	v_and_b32_e32 v2, 7, v23
	v_lshrrev_b32_e32 v44, 3, v45
	v_mov_b32_e32 v14, v3
	s_mov_b32 s16, exec_lo
	s_delay_alu instid0(VALU_DEP_3)
	v_mov_b32_e32 v13, v2
	v_cmpx_gt_u32_e32 8, v45
; %bb.3039:                             ;   in Loop: Header=BB354_1574 Depth=1
	v_clz_i32_u32_e32 v13, v2
	s_delay_alu instid0(VALU_DEP_1) | instskip(NEXT) | instid1(VALU_DEP_1)
	v_min_u32_e32 v44, 32, v13
	v_subrev_nc_u32_e32 v13, 28, v44
	v_sub_nc_u32_e32 v44, 29, v44
	s_delay_alu instid0(VALU_DEP_2) | instskip(NEXT) | instid1(VALU_DEP_1)
	v_lshlrev_b64 v[13:14], v13, v[2:3]
	v_and_b32_e32 v13, 7, v13
; %bb.3040:                             ;   in Loop: Header=BB354_1574 Depth=1
	s_or_b32 exec_lo, exec_lo, s16
	v_lshlrev_b32_e32 v2, 8, v23
	v_lshl_add_u32 v14, v44, 10, 0x2000
	s_delay_alu instid0(VALU_DEP_1) | instskip(NEXT) | instid1(VALU_DEP_1)
	v_and_or_b32 v2, 0x8000, v2, v14
	v_lshl_or_b32 v2, v13, 7, v2
	s_delay_alu instid0(VALU_DEP_1)
	v_cvt_f32_f16_e32 v44, v2
.LBB354_3041:                           ;   in Loop: Header=BB354_1574 Depth=1
	s_or_b32 exec_lo, exec_lo, s15
.LBB354_3042:                           ;   in Loop: Header=BB354_1574 Depth=1
	s_delay_alu instid0(SALU_CYCLE_1)
	s_or_b32 exec_lo, exec_lo, s13
.LBB354_3043:                           ;   in Loop: Header=BB354_1574 Depth=1
	s_delay_alu instid0(SALU_CYCLE_1) | instskip(SKIP_3) | instid1(VALU_DEP_2)
	s_or_b32 exec_lo, exec_lo, s12
	v_lshrrev_b32_e32 v23, 16, v11
	v_mov_b32_e32 v46, 0
	s_mov_b32 s12, exec_lo
	v_dual_mov_b32 v45, 0 :: v_dual_and_b32 v2, 0xff, v23
	s_delay_alu instid0(VALU_DEP_1)
	v_cmpx_ne_u16_e32 0, v2
	s_cbranch_execz .LBB354_3051
; %bb.3044:                             ;   in Loop: Header=BB354_1574 Depth=1
	v_bfrev_b32_e32 v45, 1
	s_mov_b32 s13, exec_lo
	v_cmpx_ne_u16_e32 0x80, v2
	s_cbranch_execz .LBB354_3050
; %bb.3045:                             ;   in Loop: Header=BB354_1574 Depth=1
	v_bfe_u32 v47, v11, 16, 7
	v_mov_b32_e32 v45, 0x7fc02000
	s_mov_b32 s15, exec_lo
	s_delay_alu instid0(VALU_DEP_2)
	v_cmpx_ne_u32_e32 0x7f, v47
	s_cbranch_execz .LBB354_3049
; %bb.3046:                             ;   in Loop: Header=BB354_1574 Depth=1
	v_and_b32_e32 v2, 7, v23
	v_lshrrev_b32_e32 v45, 3, v47
	v_mov_b32_e32 v14, v3
	s_mov_b32 s16, exec_lo
	s_delay_alu instid0(VALU_DEP_3)
	v_mov_b32_e32 v13, v2
	v_cmpx_gt_u32_e32 8, v47
; %bb.3047:                             ;   in Loop: Header=BB354_1574 Depth=1
	v_clz_i32_u32_e32 v13, v2
	s_delay_alu instid0(VALU_DEP_1) | instskip(NEXT) | instid1(VALU_DEP_1)
	v_min_u32_e32 v45, 32, v13
	v_subrev_nc_u32_e32 v13, 28, v45
	v_sub_nc_u32_e32 v45, 29, v45
	s_delay_alu instid0(VALU_DEP_2) | instskip(NEXT) | instid1(VALU_DEP_1)
	v_lshlrev_b64 v[13:14], v13, v[2:3]
	v_and_b32_e32 v13, 7, v13
; %bb.3048:                             ;   in Loop: Header=BB354_1574 Depth=1
	s_or_b32 exec_lo, exec_lo, s16
	v_lshlrev_b32_e32 v2, 8, v23
	v_lshl_add_u32 v14, v45, 10, 0x2000
	s_delay_alu instid0(VALU_DEP_1) | instskip(NEXT) | instid1(VALU_DEP_1)
	v_and_or_b32 v2, 0x8000, v2, v14
	v_lshl_or_b32 v2, v13, 7, v2
	s_delay_alu instid0(VALU_DEP_1)
	v_cvt_f32_f16_e32 v45, v2
.LBB354_3049:                           ;   in Loop: Header=BB354_1574 Depth=1
	s_or_b32 exec_lo, exec_lo, s15
.LBB354_3050:                           ;   in Loop: Header=BB354_1574 Depth=1
	s_delay_alu instid0(SALU_CYCLE_1)
	s_or_b32 exec_lo, exec_lo, s13
.LBB354_3051:                           ;   in Loop: Header=BB354_1574 Depth=1
	s_delay_alu instid0(SALU_CYCLE_1) | instskip(NEXT) | instid1(SALU_CYCLE_1)
	s_or_b32 exec_lo, exec_lo, s12
	s_mov_b32 s12, exec_lo
	v_cmpx_lt_u32_e32 0xffffff, v11
	s_cbranch_execz .LBB354_3059
; %bb.3052:                             ;   in Loop: Header=BB354_1574 Depth=1
	v_lshrrev_b32_e32 v23, 24, v11
	v_bfrev_b32_e32 v46, 1
	s_mov_b32 s13, exec_lo
	s_delay_alu instid0(VALU_DEP_2)
	v_cmpx_ne_u32_e32 0x80, v23
	s_cbranch_execz .LBB354_3058
; %bb.3053:                             ;   in Loop: Header=BB354_1574 Depth=1
	v_and_b32_e32 v47, 0x7f, v23
	v_mov_b32_e32 v46, 0x7fc02000
	s_mov_b32 s15, exec_lo
	s_delay_alu instid0(VALU_DEP_2)
	v_cmpx_ne_u32_e32 0x7f, v47
	s_cbranch_execz .LBB354_3057
; %bb.3054:                             ;   in Loop: Header=BB354_1574 Depth=1
	v_and_b32_e32 v2, 7, v23
	v_lshrrev_b32_e32 v46, 3, v47
	v_mov_b32_e32 v14, v3
	s_mov_b32 s16, exec_lo
	s_delay_alu instid0(VALU_DEP_3)
	v_mov_b32_e32 v13, v2
	v_cmpx_gt_u32_e32 8, v47
; %bb.3055:                             ;   in Loop: Header=BB354_1574 Depth=1
	v_clz_i32_u32_e32 v13, v2
	s_delay_alu instid0(VALU_DEP_1) | instskip(NEXT) | instid1(VALU_DEP_1)
	v_min_u32_e32 v46, 32, v13
	v_subrev_nc_u32_e32 v13, 28, v46
	v_sub_nc_u32_e32 v46, 29, v46
	s_delay_alu instid0(VALU_DEP_2) | instskip(NEXT) | instid1(VALU_DEP_1)
	v_lshlrev_b64 v[13:14], v13, v[2:3]
	v_and_b32_e32 v13, 7, v13
; %bb.3056:                             ;   in Loop: Header=BB354_1574 Depth=1
	s_or_b32 exec_lo, exec_lo, s16
	v_lshlrev_b32_e32 v2, 8, v23
	v_lshl_add_u32 v14, v46, 10, 0x2000
	s_delay_alu instid0(VALU_DEP_1) | instskip(NEXT) | instid1(VALU_DEP_1)
	v_and_or_b32 v2, 0x8000, v2, v14
	v_lshl_or_b32 v2, v13, 7, v2
	s_delay_alu instid0(VALU_DEP_1)
	v_cvt_f32_f16_e32 v46, v2
.LBB354_3057:                           ;   in Loop: Header=BB354_1574 Depth=1
	s_or_b32 exec_lo, exec_lo, s15
.LBB354_3058:                           ;   in Loop: Header=BB354_1574 Depth=1
	s_delay_alu instid0(SALU_CYCLE_1)
	s_or_b32 exec_lo, exec_lo, s13
.LBB354_3059:                           ;   in Loop: Header=BB354_1574 Depth=1
	s_delay_alu instid0(SALU_CYCLE_1) | instskip(SKIP_4) | instid1(VALU_DEP_3)
	s_or_b32 exec_lo, exec_lo, s12
	v_dual_mov_b32 v2, v12 :: v_dual_and_b32 v13, 0xff, v12
	v_mov_b32_e32 v47, 0
	v_mov_b32_e32 v23, 0
	s_mov_b32 s12, exec_lo
	v_cmpx_ne_u16_e32 0, v13
	s_cbranch_execz .LBB354_3067
; %bb.3060:                             ;   in Loop: Header=BB354_1574 Depth=1
	v_bfrev_b32_e32 v23, 1
	s_mov_b32 s13, exec_lo
	v_cmpx_ne_u16_e32 0x80, v13
	s_cbranch_execz .LBB354_3066
; %bb.3061:                             ;   in Loop: Header=BB354_1574 Depth=1
	v_and_b32_e32 v56, 0x7f, v12
	v_mov_b32_e32 v23, 0x7fc02000
	s_mov_b32 s15, exec_lo
	s_delay_alu instid0(VALU_DEP_2)
	v_cmpx_ne_u32_e32 0x7f, v56
	s_cbranch_execz .LBB354_3065
; %bb.3062:                             ;   in Loop: Header=BB354_1574 Depth=1
	v_dual_mov_b32 v14, v3 :: v_dual_mov_b32 v13, v2
	v_lshrrev_b32_e32 v14, 3, v56
	s_mov_b32 s16, exec_lo
	v_cmpx_gt_u32_e32 8, v56
; %bb.3063:                             ;   in Loop: Header=BB354_1574 Depth=1
	v_and_b32_e32 v13, 7, v12
	s_delay_alu instid0(VALU_DEP_1) | instskip(NEXT) | instid1(VALU_DEP_1)
	v_clz_i32_u32_e32 v13, v13
	v_min_u32_e32 v23, 32, v13
	s_delay_alu instid0(VALU_DEP_1) | instskip(NEXT) | instid1(VALU_DEP_1)
	v_subrev_nc_u32_e32 v13, 28, v23
	v_lshlrev_b64 v[13:14], v13, v[2:3]
	v_sub_nc_u32_e32 v14, 29, v23
; %bb.3064:                             ;   in Loop: Header=BB354_1574 Depth=1
	s_or_b32 exec_lo, exec_lo, s16
	v_lshlrev_b32_e32 v23, 8, v12
	s_delay_alu instid0(VALU_DEP_2) | instskip(NEXT) | instid1(VALU_DEP_4)
	v_lshl_add_u32 v14, v14, 10, 0x2000
	v_lshlrev_b32_e32 v13, 7, v13
	s_delay_alu instid0(VALU_DEP_2) | instskip(NEXT) | instid1(VALU_DEP_1)
	v_and_or_b32 v14, 0x8000, v23, v14
	v_and_or_b32 v13, 0x380, v13, v14
	s_delay_alu instid0(VALU_DEP_1)
	v_cvt_f32_f16_e32 v23, v13
.LBB354_3065:                           ;   in Loop: Header=BB354_1574 Depth=1
	s_or_b32 exec_lo, exec_lo, s15
.LBB354_3066:                           ;   in Loop: Header=BB354_1574 Depth=1
	s_delay_alu instid0(SALU_CYCLE_1)
	s_or_b32 exec_lo, exec_lo, s13
.LBB354_3067:                           ;   in Loop: Header=BB354_1574 Depth=1
	s_delay_alu instid0(SALU_CYCLE_1) | instskip(SKIP_2) | instid1(VALU_DEP_1)
	s_or_b32 exec_lo, exec_lo, s12
	v_lshrrev_b16 v2, 8, v2
	s_mov_b32 s12, exec_lo
	v_cmpx_ne_u16_e32 0, v2
	s_cbranch_execz .LBB354_3075
; %bb.3068:                             ;   in Loop: Header=BB354_1574 Depth=1
	v_bfrev_b32_e32 v47, 1
	s_mov_b32 s13, exec_lo
	v_cmpx_ne_u16_e32 0x80, v2
	s_cbranch_execz .LBB354_3074
; %bb.3069:                             ;   in Loop: Header=BB354_1574 Depth=1
	v_and_b32_e32 v56, 0xffff, v2
	v_mov_b32_e32 v47, 0x7fc02000
	s_mov_b32 s15, exec_lo
	s_delay_alu instid0(VALU_DEP_2) | instskip(NEXT) | instid1(VALU_DEP_1)
	v_and_b32_e32 v57, 0x7f, v56
	v_cmpx_ne_u32_e32 0x7f, v57
	s_cbranch_execz .LBB354_3073
; %bb.3070:                             ;   in Loop: Header=BB354_1574 Depth=1
	v_and_b32_e32 v2, 7, v56
	v_lshrrev_b32_e32 v47, 3, v57
	v_mov_b32_e32 v14, v3
	s_mov_b32 s16, exec_lo
	s_delay_alu instid0(VALU_DEP_3)
	v_mov_b32_e32 v13, v2
	v_cmpx_gt_u32_e32 8, v57
; %bb.3071:                             ;   in Loop: Header=BB354_1574 Depth=1
	v_clz_i32_u32_e32 v13, v2
	s_delay_alu instid0(VALU_DEP_1) | instskip(NEXT) | instid1(VALU_DEP_1)
	v_min_u32_e32 v47, 32, v13
	v_subrev_nc_u32_e32 v13, 28, v47
	v_sub_nc_u32_e32 v47, 29, v47
	s_delay_alu instid0(VALU_DEP_2) | instskip(NEXT) | instid1(VALU_DEP_1)
	v_lshlrev_b64 v[13:14], v13, v[2:3]
	v_and_b32_e32 v13, 7, v13
; %bb.3072:                             ;   in Loop: Header=BB354_1574 Depth=1
	s_or_b32 exec_lo, exec_lo, s16
	v_lshlrev_b32_e32 v2, 8, v56
	v_lshl_add_u32 v14, v47, 10, 0x2000
	s_delay_alu instid0(VALU_DEP_1) | instskip(NEXT) | instid1(VALU_DEP_1)
	v_and_or_b32 v2, 0x8000, v2, v14
	v_lshl_or_b32 v2, v13, 7, v2
	s_delay_alu instid0(VALU_DEP_1)
	v_cvt_f32_f16_e32 v47, v2
.LBB354_3073:                           ;   in Loop: Header=BB354_1574 Depth=1
	s_or_b32 exec_lo, exec_lo, s15
.LBB354_3074:                           ;   in Loop: Header=BB354_1574 Depth=1
	s_delay_alu instid0(SALU_CYCLE_1)
	s_or_b32 exec_lo, exec_lo, s13
.LBB354_3075:                           ;   in Loop: Header=BB354_1574 Depth=1
	s_delay_alu instid0(SALU_CYCLE_1) | instskip(SKIP_3) | instid1(VALU_DEP_2)
	s_or_b32 exec_lo, exec_lo, s12
	v_lshrrev_b32_e32 v57, 16, v12
	v_mov_b32_e32 v56, 0
	s_mov_b32 s12, exec_lo
	v_dual_mov_b32 v13, 0 :: v_dual_and_b32 v2, 0xff, v57
	s_delay_alu instid0(VALU_DEP_1)
	v_cmpx_ne_u16_e32 0, v2
	s_cbranch_execz .LBB354_3083
; %bb.3076:                             ;   in Loop: Header=BB354_1574 Depth=1
	v_bfrev_b32_e32 v13, 1
	s_mov_b32 s13, exec_lo
	v_cmpx_ne_u16_e32 0x80, v2
	s_cbranch_execz .LBB354_3082
; %bb.3077:                             ;   in Loop: Header=BB354_1574 Depth=1
	v_bfe_u32 v59, v12, 16, 7
	v_mov_b32_e32 v13, 0x7fc02000
	s_mov_b32 s15, exec_lo
	s_delay_alu instid0(VALU_DEP_2)
	v_cmpx_ne_u32_e32 0x7f, v59
	s_cbranch_execz .LBB354_3081
; %bb.3078:                             ;   in Loop: Header=BB354_1574 Depth=1
	v_and_b32_e32 v2, 7, v57
	v_lshrrev_b32_e32 v58, 3, v59
	v_mov_b32_e32 v14, v3
	s_mov_b32 s16, exec_lo
	s_delay_alu instid0(VALU_DEP_3)
	v_mov_b32_e32 v13, v2
	v_cmpx_gt_u32_e32 8, v59
; %bb.3079:                             ;   in Loop: Header=BB354_1574 Depth=1
	v_clz_i32_u32_e32 v13, v2
	s_delay_alu instid0(VALU_DEP_1) | instskip(NEXT) | instid1(VALU_DEP_1)
	v_min_u32_e32 v58, 32, v13
	v_subrev_nc_u32_e32 v13, 28, v58
	v_sub_nc_u32_e32 v58, 29, v58
	s_delay_alu instid0(VALU_DEP_2) | instskip(NEXT) | instid1(VALU_DEP_1)
	v_lshlrev_b64 v[13:14], v13, v[2:3]
	v_and_b32_e32 v13, 7, v13
; %bb.3080:                             ;   in Loop: Header=BB354_1574 Depth=1
	s_or_b32 exec_lo, exec_lo, s16
	v_lshlrev_b32_e32 v2, 8, v57
	v_lshl_add_u32 v14, v58, 10, 0x2000
	s_delay_alu instid0(VALU_DEP_1) | instskip(NEXT) | instid1(VALU_DEP_1)
	v_and_or_b32 v2, 0x8000, v2, v14
	v_lshl_or_b32 v2, v13, 7, v2
	s_delay_alu instid0(VALU_DEP_1)
	v_cvt_f32_f16_e32 v13, v2
.LBB354_3081:                           ;   in Loop: Header=BB354_1574 Depth=1
	s_or_b32 exec_lo, exec_lo, s15
.LBB354_3082:                           ;   in Loop: Header=BB354_1574 Depth=1
	s_delay_alu instid0(SALU_CYCLE_1)
	s_or_b32 exec_lo, exec_lo, s13
.LBB354_3083:                           ;   in Loop: Header=BB354_1574 Depth=1
	s_delay_alu instid0(SALU_CYCLE_1) | instskip(NEXT) | instid1(SALU_CYCLE_1)
	s_or_b32 exec_lo, exec_lo, s12
	s_mov_b32 s12, exec_lo
	v_cmpx_lt_u64_e64 s[8:9], v[11:12]
	s_cbranch_execz .LBB354_3091
; %bb.3084:                             ;   in Loop: Header=BB354_1574 Depth=1
	v_lshrrev_b32_e32 v14, 24, v12
	v_bfrev_b32_e32 v56, 1
	s_mov_b32 s13, exec_lo
	s_delay_alu instid0(VALU_DEP_2)
	v_cmpx_ne_u32_e32 0x80, v14
	s_cbranch_execz .LBB354_3090
; %bb.3085:                             ;   in Loop: Header=BB354_1574 Depth=1
	v_and_b32_e32 v57, 0x7f, v14
	v_mov_b32_e32 v56, 0x7fc02000
	s_mov_b32 s15, exec_lo
	s_delay_alu instid0(VALU_DEP_2)
	v_cmpx_ne_u32_e32 0x7f, v57
	s_cbranch_execz .LBB354_3089
; %bb.3086:                             ;   in Loop: Header=BB354_1574 Depth=1
	v_and_b32_e32 v2, 7, v14
	v_lshrrev_b32_e32 v56, 3, v57
	v_mov_b32_e32 v12, v3
	s_mov_b32 s16, exec_lo
	s_delay_alu instid0(VALU_DEP_3)
	v_mov_b32_e32 v11, v2
	v_cmpx_gt_u32_e32 8, v57
; %bb.3087:                             ;   in Loop: Header=BB354_1574 Depth=1
	v_clz_i32_u32_e32 v11, v2
	s_delay_alu instid0(VALU_DEP_1) | instskip(NEXT) | instid1(VALU_DEP_1)
	v_min_u32_e32 v56, 32, v11
	v_subrev_nc_u32_e32 v11, 28, v56
	v_sub_nc_u32_e32 v56, 29, v56
	s_delay_alu instid0(VALU_DEP_2) | instskip(NEXT) | instid1(VALU_DEP_1)
	v_lshlrev_b64 v[11:12], v11, v[2:3]
	v_and_b32_e32 v11, 7, v11
; %bb.3088:                             ;   in Loop: Header=BB354_1574 Depth=1
	s_or_b32 exec_lo, exec_lo, s16
	v_lshlrev_b32_e32 v2, 8, v14
	v_lshl_add_u32 v12, v56, 10, 0x2000
	s_delay_alu instid0(VALU_DEP_1) | instskip(NEXT) | instid1(VALU_DEP_1)
	v_and_or_b32 v2, 0x8000, v2, v12
	v_lshl_or_b32 v2, v11, 7, v2
	s_delay_alu instid0(VALU_DEP_1)
	v_cvt_f32_f16_e32 v56, v2
.LBB354_3089:                           ;   in Loop: Header=BB354_1574 Depth=1
	s_or_b32 exec_lo, exec_lo, s15
.LBB354_3090:                           ;   in Loop: Header=BB354_1574 Depth=1
	s_delay_alu instid0(SALU_CYCLE_1)
	s_or_b32 exec_lo, exec_lo, s13
.LBB354_3091:                           ;   in Loop: Header=BB354_1574 Depth=1
	s_delay_alu instid0(SALU_CYCLE_1)
	s_or_b32 exec_lo, exec_lo, s12
	s_waitcnt vmcnt(0) lgkmcnt(0)
	v_fma_mixlo_f16 v12, v84, v44, 0
	v_fma_mixlo_f16 v2, v84, v46, 0
	;; [unrolled: 1-line block ×5, first 2 shown]
	v_lshlrev_b32_e32 v14, 16, v12
	v_fma_mixlo_f16 v23, v84, v23, 0
	v_fma_mixlo_f16 v45, v84, v56, 0
	;; [unrolled: 1-line block ×3, first 2 shown]
	v_lshlrev_b32_e32 v2, 16, v2
	v_and_b32_e32 v11, 0xffff, v11
	v_and_b32_e32 v84, 0xffff, v85
	v_lshlrev_b32_e32 v85, 16, v44
	v_and_b32_e32 v23, 0xffff, v23
	v_lshlrev_b32_e32 v44, 16, v45
	v_and_b32_e32 v45, 0xffff, v12
	v_or_b32_e32 v13, v2, v11
	v_or_b32_e32 v14, v14, v84
	;; [unrolled: 1-line block ×3, first 2 shown]
	s_delay_alu instid0(VALU_DEP_4)
	v_or_b32_e32 v11, v44, v45
	s_and_saveexec_b32 s12, vcc_lo
	s_cbranch_execz .LBB354_3093
; %bb.3092:                             ;   in Loop: Header=BB354_1574 Depth=1
	v_cmp_lt_i32_e64 s0, v119, v38
	v_lshrrev_b32_e32 v23, 16, v14
	v_lshrrev_b32_e32 v84, 16, v13
	;; [unrolled: 1-line block ×4, first 2 shown]
	v_cndmask_b32_e64 v14, 0, v14, s0
	v_cmp_lt_i32_e64 s0, v134, v55
	s_delay_alu instid0(VALU_DEP_1) | instskip(SKIP_1) | instid1(VALU_DEP_2)
	v_cndmask_b32_e64 v23, 0, v23, s0
	v_cmp_lt_i32_e64 s0, v133, v55
	v_perm_b32 v14, v23, v14, 0x5040100
	s_delay_alu instid0(VALU_DEP_2) | instskip(SKIP_1) | instid1(VALU_DEP_1)
	v_cndmask_b32_e64 v84, 0, v84, s0
	v_cmp_lt_i32_e64 s0, v132, v38
	v_cndmask_b32_e64 v13, 0, v13, s0
	v_cmp_lt_i32_e64 s0, v131, v55
	s_delay_alu instid0(VALU_DEP_2) | instskip(NEXT) | instid1(VALU_DEP_2)
	v_perm_b32 v13, v84, v13, 0x5040100
	v_cndmask_b32_e64 v85, 0, v85, s0
	v_cmp_lt_i32_e64 s0, v130, v38
	s_delay_alu instid0(VALU_DEP_1) | instskip(SKIP_1) | instid1(VALU_DEP_2)
	v_cndmask_b32_e64 v2, 0, v2, s0
	v_cmp_lt_i32_e64 s0, v129, v55
	v_perm_b32 v2, v85, v2, 0x5040100
	s_delay_alu instid0(VALU_DEP_2) | instskip(SKIP_1) | instid1(VALU_DEP_1)
	v_cndmask_b32_e64 v11, 0, v11, s0
	v_cmp_lt_i32_e64 s0, v128, v38
	v_cndmask_b32_e64 v12, 0, v12, s0
	s_delay_alu instid0(VALU_DEP_1)
	v_perm_b32 v11, v11, v12, 0x5040100
.LBB354_3093:                           ;   in Loop: Header=BB354_1574 Depth=1
	s_or_b32 exec_lo, exec_lo, s12
	v_add_co_u32 v9, s0, v9, v103
	s_delay_alu instid0(VALU_DEP_1)
	v_add_co_ci_u32_e64 v10, s0, 0, v10, s0
	;;#ASMSTART
	v_pk_mul_f16 v12, v118, v14;

	;;#ASMEND
	;;#ASMSTART
	v_pk_mul_f16 v13, v117, v13;

	;;#ASMEND
	;; [unrolled: 4-line block ×4, first 2 shown]
	;;#ASMSTART
	v_pk_add_f16 v12, v12, v13;

	;;#ASMEND
	;;#ASMSTART
	v_pk_add_f16 v2, v12, v2;

	;;#ASMEND
	;; [unrolled: 4-line block ×3, first 2 shown]
	v_lshrrev_b32_e32 v11, 16, v2
	v_dual_mov_b32 v85, 0 :: v_dual_and_b32 v2, 0xffff, v2
	;;#ASMSTART
	v_cvt_f32_f16 v13, v2;
	;;#ASMEND
	;;#ASMSTART
	v_cvt_f32_f16 v14, v11;
	;;#ASMEND
	flat_load_b64 v[9:10], v[9:10]
	flat_load_b32 v84, v[26:27]
	v_mov_b32_e32 v44, 0
	s_mov_b32 s12, exec_lo
	s_waitcnt vmcnt(1) lgkmcnt(1)
	v_and_b32_e32 v2, 0xff, v9
	s_delay_alu instid0(VALU_DEP_1)
	v_cmpx_ne_u16_e32 0, v2
	s_cbranch_execz .LBB354_3101
; %bb.3094:                             ;   in Loop: Header=BB354_1574 Depth=1
	v_bfrev_b32_e32 v85, 1
	s_mov_b32 s13, exec_lo
	v_cmpx_ne_u16_e32 0x80, v2
	s_cbranch_execz .LBB354_3100
; %bb.3095:                             ;   in Loop: Header=BB354_1574 Depth=1
	v_and_b32_e32 v11, 0x7f, v9
	v_mov_b32_e32 v85, 0x7fc02000
	s_mov_b32 s15, exec_lo
	s_delay_alu instid0(VALU_DEP_2)
	v_cmpx_ne_u32_e32 0x7f, v11
	s_cbranch_execz .LBB354_3099
; %bb.3096:                             ;   in Loop: Header=BB354_1574 Depth=1
	v_lshrrev_b32_e32 v2, 3, v11
	v_cmp_gt_u32_e64 s0, 8, v11
	v_dual_mov_b32 v12, v10 :: v_dual_mov_b32 v11, v9
	s_delay_alu instid0(VALU_DEP_2)
	s_and_saveexec_b32 s16, s0
; %bb.3097:                             ;   in Loop: Header=BB354_1574 Depth=1
	v_and_b32_e32 v2, 7, v9
	s_delay_alu instid0(VALU_DEP_1) | instskip(NEXT) | instid1(VALU_DEP_1)
	v_clz_i32_u32_e32 v2, v2
	v_min_u32_e32 v2, 32, v2
	s_delay_alu instid0(VALU_DEP_1) | instskip(SKIP_1) | instid1(VALU_DEP_2)
	v_subrev_nc_u32_e32 v11, 28, v2
	v_sub_nc_u32_e32 v2, 29, v2
	v_lshlrev_b64 v[11:12], v11, v[9:10]
; %bb.3098:                             ;   in Loop: Header=BB354_1574 Depth=1
	s_or_b32 exec_lo, exec_lo, s16
	v_lshlrev_b32_e32 v12, 8, v9
	s_delay_alu instid0(VALU_DEP_3) | instskip(NEXT) | instid1(VALU_DEP_3)
	v_lshl_add_u32 v2, v2, 10, 0x2000
	v_lshlrev_b32_e32 v11, 7, v11
	s_delay_alu instid0(VALU_DEP_2) | instskip(NEXT) | instid1(VALU_DEP_1)
	v_and_or_b32 v2, 0x8000, v12, v2
	v_and_or_b32 v2, 0x380, v11, v2
	s_delay_alu instid0(VALU_DEP_1)
	v_cvt_f32_f16_e32 v85, v2
.LBB354_3099:                           ;   in Loop: Header=BB354_1574 Depth=1
	s_or_b32 exec_lo, exec_lo, s15
.LBB354_3100:                           ;   in Loop: Header=BB354_1574 Depth=1
	s_delay_alu instid0(SALU_CYCLE_1)
	s_or_b32 exec_lo, exec_lo, s13
.LBB354_3101:                           ;   in Loop: Header=BB354_1574 Depth=1
	s_delay_alu instid0(SALU_CYCLE_1) | instskip(SKIP_2) | instid1(VALU_DEP_1)
	s_or_b32 exec_lo, exec_lo, s12
	v_lshrrev_b16 v2, 8, v9
	s_mov_b32 s12, exec_lo
	v_cmpx_ne_u16_e32 0, v2
	s_cbranch_execz .LBB354_3109
; %bb.3102:                             ;   in Loop: Header=BB354_1574 Depth=1
	v_bfrev_b32_e32 v44, 1
	s_mov_b32 s13, exec_lo
	v_cmpx_ne_u16_e32 0x80, v2
	s_cbranch_execz .LBB354_3108
; %bb.3103:                             ;   in Loop: Header=BB354_1574 Depth=1
	v_and_b32_e32 v23, 0xffff, v2
	v_mov_b32_e32 v44, 0x7fc02000
	s_mov_b32 s15, exec_lo
	s_delay_alu instid0(VALU_DEP_2) | instskip(NEXT) | instid1(VALU_DEP_1)
	v_and_b32_e32 v45, 0x7f, v23
	v_cmpx_ne_u32_e32 0x7f, v45
	s_cbranch_execz .LBB354_3107
; %bb.3104:                             ;   in Loop: Header=BB354_1574 Depth=1
	v_and_b32_e32 v2, 7, v23
	v_lshrrev_b32_e32 v44, 3, v45
	v_mov_b32_e32 v12, v3
	s_mov_b32 s16, exec_lo
	s_delay_alu instid0(VALU_DEP_3)
	v_mov_b32_e32 v11, v2
	v_cmpx_gt_u32_e32 8, v45
; %bb.3105:                             ;   in Loop: Header=BB354_1574 Depth=1
	v_clz_i32_u32_e32 v11, v2
	s_delay_alu instid0(VALU_DEP_1) | instskip(NEXT) | instid1(VALU_DEP_1)
	v_min_u32_e32 v44, 32, v11
	v_subrev_nc_u32_e32 v11, 28, v44
	v_sub_nc_u32_e32 v44, 29, v44
	s_delay_alu instid0(VALU_DEP_2) | instskip(NEXT) | instid1(VALU_DEP_1)
	v_lshlrev_b64 v[11:12], v11, v[2:3]
	v_and_b32_e32 v11, 7, v11
; %bb.3106:                             ;   in Loop: Header=BB354_1574 Depth=1
	s_or_b32 exec_lo, exec_lo, s16
	v_lshlrev_b32_e32 v2, 8, v23
	v_lshl_add_u32 v12, v44, 10, 0x2000
	s_delay_alu instid0(VALU_DEP_1) | instskip(NEXT) | instid1(VALU_DEP_1)
	v_and_or_b32 v2, 0x8000, v2, v12
	v_lshl_or_b32 v2, v11, 7, v2
	s_delay_alu instid0(VALU_DEP_1)
	v_cvt_f32_f16_e32 v44, v2
.LBB354_3107:                           ;   in Loop: Header=BB354_1574 Depth=1
	s_or_b32 exec_lo, exec_lo, s15
.LBB354_3108:                           ;   in Loop: Header=BB354_1574 Depth=1
	s_delay_alu instid0(SALU_CYCLE_1)
	s_or_b32 exec_lo, exec_lo, s13
.LBB354_3109:                           ;   in Loop: Header=BB354_1574 Depth=1
	s_delay_alu instid0(SALU_CYCLE_1) | instskip(SKIP_3) | instid1(VALU_DEP_2)
	s_or_b32 exec_lo, exec_lo, s12
	v_lshrrev_b32_e32 v23, 16, v9
	v_mov_b32_e32 v46, 0
	s_mov_b32 s12, exec_lo
	v_dual_mov_b32 v45, 0 :: v_dual_and_b32 v2, 0xff, v23
	s_delay_alu instid0(VALU_DEP_1)
	v_cmpx_ne_u16_e32 0, v2
	s_cbranch_execz .LBB354_3117
; %bb.3110:                             ;   in Loop: Header=BB354_1574 Depth=1
	v_bfrev_b32_e32 v45, 1
	s_mov_b32 s13, exec_lo
	v_cmpx_ne_u16_e32 0x80, v2
	s_cbranch_execz .LBB354_3116
; %bb.3111:                             ;   in Loop: Header=BB354_1574 Depth=1
	v_bfe_u32 v47, v9, 16, 7
	v_mov_b32_e32 v45, 0x7fc02000
	s_mov_b32 s15, exec_lo
	s_delay_alu instid0(VALU_DEP_2)
	v_cmpx_ne_u32_e32 0x7f, v47
	s_cbranch_execz .LBB354_3115
; %bb.3112:                             ;   in Loop: Header=BB354_1574 Depth=1
	v_and_b32_e32 v2, 7, v23
	v_lshrrev_b32_e32 v45, 3, v47
	v_mov_b32_e32 v12, v3
	s_mov_b32 s16, exec_lo
	s_delay_alu instid0(VALU_DEP_3)
	v_mov_b32_e32 v11, v2
	v_cmpx_gt_u32_e32 8, v47
; %bb.3113:                             ;   in Loop: Header=BB354_1574 Depth=1
	v_clz_i32_u32_e32 v11, v2
	s_delay_alu instid0(VALU_DEP_1) | instskip(NEXT) | instid1(VALU_DEP_1)
	v_min_u32_e32 v45, 32, v11
	v_subrev_nc_u32_e32 v11, 28, v45
	v_sub_nc_u32_e32 v45, 29, v45
	s_delay_alu instid0(VALU_DEP_2) | instskip(NEXT) | instid1(VALU_DEP_1)
	v_lshlrev_b64 v[11:12], v11, v[2:3]
	v_and_b32_e32 v11, 7, v11
; %bb.3114:                             ;   in Loop: Header=BB354_1574 Depth=1
	s_or_b32 exec_lo, exec_lo, s16
	v_lshlrev_b32_e32 v2, 8, v23
	v_lshl_add_u32 v12, v45, 10, 0x2000
	s_delay_alu instid0(VALU_DEP_1) | instskip(NEXT) | instid1(VALU_DEP_1)
	v_and_or_b32 v2, 0x8000, v2, v12
	v_lshl_or_b32 v2, v11, 7, v2
	s_delay_alu instid0(VALU_DEP_1)
	v_cvt_f32_f16_e32 v45, v2
.LBB354_3115:                           ;   in Loop: Header=BB354_1574 Depth=1
	s_or_b32 exec_lo, exec_lo, s15
.LBB354_3116:                           ;   in Loop: Header=BB354_1574 Depth=1
	s_delay_alu instid0(SALU_CYCLE_1)
	s_or_b32 exec_lo, exec_lo, s13
.LBB354_3117:                           ;   in Loop: Header=BB354_1574 Depth=1
	s_delay_alu instid0(SALU_CYCLE_1) | instskip(NEXT) | instid1(SALU_CYCLE_1)
	s_or_b32 exec_lo, exec_lo, s12
	s_mov_b32 s12, exec_lo
	v_cmpx_lt_u32_e32 0xffffff, v9
	s_cbranch_execz .LBB354_3125
; %bb.3118:                             ;   in Loop: Header=BB354_1574 Depth=1
	v_lshrrev_b32_e32 v23, 24, v9
	v_bfrev_b32_e32 v46, 1
	s_mov_b32 s13, exec_lo
	s_delay_alu instid0(VALU_DEP_2)
	v_cmpx_ne_u32_e32 0x80, v23
	s_cbranch_execz .LBB354_3124
; %bb.3119:                             ;   in Loop: Header=BB354_1574 Depth=1
	v_and_b32_e32 v47, 0x7f, v23
	v_mov_b32_e32 v46, 0x7fc02000
	s_mov_b32 s15, exec_lo
	s_delay_alu instid0(VALU_DEP_2)
	v_cmpx_ne_u32_e32 0x7f, v47
	s_cbranch_execz .LBB354_3123
; %bb.3120:                             ;   in Loop: Header=BB354_1574 Depth=1
	v_and_b32_e32 v2, 7, v23
	v_lshrrev_b32_e32 v46, 3, v47
	v_mov_b32_e32 v12, v3
	s_mov_b32 s16, exec_lo
	s_delay_alu instid0(VALU_DEP_3)
	v_mov_b32_e32 v11, v2
	v_cmpx_gt_u32_e32 8, v47
; %bb.3121:                             ;   in Loop: Header=BB354_1574 Depth=1
	v_clz_i32_u32_e32 v11, v2
	s_delay_alu instid0(VALU_DEP_1) | instskip(NEXT) | instid1(VALU_DEP_1)
	v_min_u32_e32 v46, 32, v11
	v_subrev_nc_u32_e32 v11, 28, v46
	v_sub_nc_u32_e32 v46, 29, v46
	s_delay_alu instid0(VALU_DEP_2) | instskip(NEXT) | instid1(VALU_DEP_1)
	v_lshlrev_b64 v[11:12], v11, v[2:3]
	v_and_b32_e32 v11, 7, v11
; %bb.3122:                             ;   in Loop: Header=BB354_1574 Depth=1
	s_or_b32 exec_lo, exec_lo, s16
	v_lshlrev_b32_e32 v2, 8, v23
	v_lshl_add_u32 v12, v46, 10, 0x2000
	s_delay_alu instid0(VALU_DEP_1) | instskip(NEXT) | instid1(VALU_DEP_1)
	v_and_or_b32 v2, 0x8000, v2, v12
	v_lshl_or_b32 v2, v11, 7, v2
	s_delay_alu instid0(VALU_DEP_1)
	v_cvt_f32_f16_e32 v46, v2
.LBB354_3123:                           ;   in Loop: Header=BB354_1574 Depth=1
	s_or_b32 exec_lo, exec_lo, s15
.LBB354_3124:                           ;   in Loop: Header=BB354_1574 Depth=1
	s_delay_alu instid0(SALU_CYCLE_1)
	s_or_b32 exec_lo, exec_lo, s13
.LBB354_3125:                           ;   in Loop: Header=BB354_1574 Depth=1
	s_delay_alu instid0(SALU_CYCLE_1) | instskip(SKIP_4) | instid1(VALU_DEP_3)
	s_or_b32 exec_lo, exec_lo, s12
	v_dual_mov_b32 v2, v10 :: v_dual_and_b32 v11, 0xff, v10
	v_mov_b32_e32 v47, 0
	v_mov_b32_e32 v23, 0
	s_mov_b32 s12, exec_lo
	v_cmpx_ne_u16_e32 0, v11
	s_cbranch_execz .LBB354_3133
; %bb.3126:                             ;   in Loop: Header=BB354_1574 Depth=1
	v_bfrev_b32_e32 v23, 1
	s_mov_b32 s13, exec_lo
	v_cmpx_ne_u16_e32 0x80, v11
	s_cbranch_execz .LBB354_3132
; %bb.3127:                             ;   in Loop: Header=BB354_1574 Depth=1
	v_and_b32_e32 v56, 0x7f, v10
	v_mov_b32_e32 v23, 0x7fc02000
	s_mov_b32 s15, exec_lo
	s_delay_alu instid0(VALU_DEP_2)
	v_cmpx_ne_u32_e32 0x7f, v56
	s_cbranch_execz .LBB354_3131
; %bb.3128:                             ;   in Loop: Header=BB354_1574 Depth=1
	v_dual_mov_b32 v12, v3 :: v_dual_mov_b32 v11, v2
	v_lshrrev_b32_e32 v12, 3, v56
	s_mov_b32 s16, exec_lo
	v_cmpx_gt_u32_e32 8, v56
; %bb.3129:                             ;   in Loop: Header=BB354_1574 Depth=1
	v_and_b32_e32 v11, 7, v10
	s_delay_alu instid0(VALU_DEP_1) | instskip(NEXT) | instid1(VALU_DEP_1)
	v_clz_i32_u32_e32 v11, v11
	v_min_u32_e32 v23, 32, v11
	s_delay_alu instid0(VALU_DEP_1) | instskip(NEXT) | instid1(VALU_DEP_1)
	v_subrev_nc_u32_e32 v11, 28, v23
	v_lshlrev_b64 v[11:12], v11, v[2:3]
	v_sub_nc_u32_e32 v12, 29, v23
; %bb.3130:                             ;   in Loop: Header=BB354_1574 Depth=1
	s_or_b32 exec_lo, exec_lo, s16
	v_lshlrev_b32_e32 v23, 8, v10
	s_delay_alu instid0(VALU_DEP_2) | instskip(NEXT) | instid1(VALU_DEP_4)
	v_lshl_add_u32 v12, v12, 10, 0x2000
	v_lshlrev_b32_e32 v11, 7, v11
	s_delay_alu instid0(VALU_DEP_2) | instskip(NEXT) | instid1(VALU_DEP_1)
	v_and_or_b32 v12, 0x8000, v23, v12
	v_and_or_b32 v11, 0x380, v11, v12
	s_delay_alu instid0(VALU_DEP_1)
	v_cvt_f32_f16_e32 v23, v11
.LBB354_3131:                           ;   in Loop: Header=BB354_1574 Depth=1
	s_or_b32 exec_lo, exec_lo, s15
.LBB354_3132:                           ;   in Loop: Header=BB354_1574 Depth=1
	s_delay_alu instid0(SALU_CYCLE_1)
	s_or_b32 exec_lo, exec_lo, s13
.LBB354_3133:                           ;   in Loop: Header=BB354_1574 Depth=1
	s_delay_alu instid0(SALU_CYCLE_1) | instskip(SKIP_2) | instid1(VALU_DEP_1)
	s_or_b32 exec_lo, exec_lo, s12
	v_lshrrev_b16 v2, 8, v2
	s_mov_b32 s12, exec_lo
	v_cmpx_ne_u16_e32 0, v2
	s_cbranch_execz .LBB354_3141
; %bb.3134:                             ;   in Loop: Header=BB354_1574 Depth=1
	v_bfrev_b32_e32 v47, 1
	s_mov_b32 s13, exec_lo
	v_cmpx_ne_u16_e32 0x80, v2
	s_cbranch_execz .LBB354_3140
; %bb.3135:                             ;   in Loop: Header=BB354_1574 Depth=1
	v_and_b32_e32 v56, 0xffff, v2
	v_mov_b32_e32 v47, 0x7fc02000
	s_mov_b32 s15, exec_lo
	s_delay_alu instid0(VALU_DEP_2) | instskip(NEXT) | instid1(VALU_DEP_1)
	v_and_b32_e32 v57, 0x7f, v56
	v_cmpx_ne_u32_e32 0x7f, v57
	s_cbranch_execz .LBB354_3139
; %bb.3136:                             ;   in Loop: Header=BB354_1574 Depth=1
	v_and_b32_e32 v2, 7, v56
	v_lshrrev_b32_e32 v47, 3, v57
	v_mov_b32_e32 v12, v3
	s_mov_b32 s16, exec_lo
	s_delay_alu instid0(VALU_DEP_3)
	v_mov_b32_e32 v11, v2
	v_cmpx_gt_u32_e32 8, v57
; %bb.3137:                             ;   in Loop: Header=BB354_1574 Depth=1
	v_clz_i32_u32_e32 v11, v2
	s_delay_alu instid0(VALU_DEP_1) | instskip(NEXT) | instid1(VALU_DEP_1)
	v_min_u32_e32 v47, 32, v11
	v_subrev_nc_u32_e32 v11, 28, v47
	v_sub_nc_u32_e32 v47, 29, v47
	s_delay_alu instid0(VALU_DEP_2) | instskip(NEXT) | instid1(VALU_DEP_1)
	v_lshlrev_b64 v[11:12], v11, v[2:3]
	v_and_b32_e32 v11, 7, v11
; %bb.3138:                             ;   in Loop: Header=BB354_1574 Depth=1
	s_or_b32 exec_lo, exec_lo, s16
	v_lshlrev_b32_e32 v2, 8, v56
	v_lshl_add_u32 v12, v47, 10, 0x2000
	s_delay_alu instid0(VALU_DEP_1) | instskip(NEXT) | instid1(VALU_DEP_1)
	v_and_or_b32 v2, 0x8000, v2, v12
	v_lshl_or_b32 v2, v11, 7, v2
	s_delay_alu instid0(VALU_DEP_1)
	v_cvt_f32_f16_e32 v47, v2
.LBB354_3139:                           ;   in Loop: Header=BB354_1574 Depth=1
	s_or_b32 exec_lo, exec_lo, s15
.LBB354_3140:                           ;   in Loop: Header=BB354_1574 Depth=1
	s_delay_alu instid0(SALU_CYCLE_1)
	s_or_b32 exec_lo, exec_lo, s13
.LBB354_3141:                           ;   in Loop: Header=BB354_1574 Depth=1
	s_delay_alu instid0(SALU_CYCLE_1) | instskip(SKIP_3) | instid1(VALU_DEP_2)
	s_or_b32 exec_lo, exec_lo, s12
	v_lshrrev_b32_e32 v57, 16, v10
	v_mov_b32_e32 v56, 0
	s_mov_b32 s12, exec_lo
	v_dual_mov_b32 v11, 0 :: v_dual_and_b32 v2, 0xff, v57
	s_delay_alu instid0(VALU_DEP_1)
	v_cmpx_ne_u16_e32 0, v2
	s_cbranch_execz .LBB354_3149
; %bb.3142:                             ;   in Loop: Header=BB354_1574 Depth=1
	v_bfrev_b32_e32 v11, 1
	s_mov_b32 s13, exec_lo
	v_cmpx_ne_u16_e32 0x80, v2
	s_cbranch_execz .LBB354_3148
; %bb.3143:                             ;   in Loop: Header=BB354_1574 Depth=1
	v_bfe_u32 v59, v10, 16, 7
	v_mov_b32_e32 v11, 0x7fc02000
	s_mov_b32 s15, exec_lo
	s_delay_alu instid0(VALU_DEP_2)
	v_cmpx_ne_u32_e32 0x7f, v59
	s_cbranch_execz .LBB354_3147
; %bb.3144:                             ;   in Loop: Header=BB354_1574 Depth=1
	v_and_b32_e32 v2, 7, v57
	v_lshrrev_b32_e32 v58, 3, v59
	v_mov_b32_e32 v12, v3
	s_mov_b32 s16, exec_lo
	s_delay_alu instid0(VALU_DEP_3)
	v_mov_b32_e32 v11, v2
	v_cmpx_gt_u32_e32 8, v59
; %bb.3145:                             ;   in Loop: Header=BB354_1574 Depth=1
	v_clz_i32_u32_e32 v11, v2
	s_delay_alu instid0(VALU_DEP_1) | instskip(NEXT) | instid1(VALU_DEP_1)
	v_min_u32_e32 v58, 32, v11
	v_subrev_nc_u32_e32 v11, 28, v58
	v_sub_nc_u32_e32 v58, 29, v58
	s_delay_alu instid0(VALU_DEP_2) | instskip(NEXT) | instid1(VALU_DEP_1)
	v_lshlrev_b64 v[11:12], v11, v[2:3]
	v_and_b32_e32 v11, 7, v11
; %bb.3146:                             ;   in Loop: Header=BB354_1574 Depth=1
	s_or_b32 exec_lo, exec_lo, s16
	v_lshlrev_b32_e32 v2, 8, v57
	v_lshl_add_u32 v12, v58, 10, 0x2000
	s_delay_alu instid0(VALU_DEP_1) | instskip(NEXT) | instid1(VALU_DEP_1)
	v_and_or_b32 v2, 0x8000, v2, v12
	v_lshl_or_b32 v2, v11, 7, v2
	s_delay_alu instid0(VALU_DEP_1)
	v_cvt_f32_f16_e32 v11, v2
.LBB354_3147:                           ;   in Loop: Header=BB354_1574 Depth=1
	s_or_b32 exec_lo, exec_lo, s15
.LBB354_3148:                           ;   in Loop: Header=BB354_1574 Depth=1
	s_delay_alu instid0(SALU_CYCLE_1)
	s_or_b32 exec_lo, exec_lo, s13
.LBB354_3149:                           ;   in Loop: Header=BB354_1574 Depth=1
	s_delay_alu instid0(SALU_CYCLE_1) | instskip(NEXT) | instid1(SALU_CYCLE_1)
	s_or_b32 exec_lo, exec_lo, s12
	s_mov_b32 s12, exec_lo
	v_cmpx_lt_u64_e64 s[8:9], v[9:10]
	s_cbranch_execz .LBB354_3157
; %bb.3150:                             ;   in Loop: Header=BB354_1574 Depth=1
	v_lshrrev_b32_e32 v12, 24, v10
	v_bfrev_b32_e32 v56, 1
	s_mov_b32 s13, exec_lo
	s_delay_alu instid0(VALU_DEP_2)
	v_cmpx_ne_u32_e32 0x80, v12
	s_cbranch_execz .LBB354_3156
; %bb.3151:                             ;   in Loop: Header=BB354_1574 Depth=1
	v_and_b32_e32 v57, 0x7f, v12
	v_mov_b32_e32 v56, 0x7fc02000
	s_mov_b32 s15, exec_lo
	s_delay_alu instid0(VALU_DEP_2)
	v_cmpx_ne_u32_e32 0x7f, v57
	s_cbranch_execz .LBB354_3155
; %bb.3152:                             ;   in Loop: Header=BB354_1574 Depth=1
	v_and_b32_e32 v2, 7, v12
	v_lshrrev_b32_e32 v56, 3, v57
	v_mov_b32_e32 v10, v3
	s_mov_b32 s16, exec_lo
	s_delay_alu instid0(VALU_DEP_3)
	v_mov_b32_e32 v9, v2
	v_cmpx_gt_u32_e32 8, v57
; %bb.3153:                             ;   in Loop: Header=BB354_1574 Depth=1
	v_clz_i32_u32_e32 v9, v2
	s_delay_alu instid0(VALU_DEP_1) | instskip(NEXT) | instid1(VALU_DEP_1)
	v_min_u32_e32 v56, 32, v9
	v_subrev_nc_u32_e32 v9, 28, v56
	v_sub_nc_u32_e32 v56, 29, v56
	s_delay_alu instid0(VALU_DEP_2) | instskip(NEXT) | instid1(VALU_DEP_1)
	v_lshlrev_b64 v[9:10], v9, v[2:3]
	v_and_b32_e32 v9, 7, v9
; %bb.3154:                             ;   in Loop: Header=BB354_1574 Depth=1
	s_or_b32 exec_lo, exec_lo, s16
	v_lshlrev_b32_e32 v2, 8, v12
	v_lshl_add_u32 v10, v56, 10, 0x2000
	s_delay_alu instid0(VALU_DEP_1) | instskip(NEXT) | instid1(VALU_DEP_1)
	v_and_or_b32 v2, 0x8000, v2, v10
	v_lshl_or_b32 v2, v9, 7, v2
	s_delay_alu instid0(VALU_DEP_1)
	v_cvt_f32_f16_e32 v56, v2
.LBB354_3155:                           ;   in Loop: Header=BB354_1574 Depth=1
	s_or_b32 exec_lo, exec_lo, s15
.LBB354_3156:                           ;   in Loop: Header=BB354_1574 Depth=1
	s_delay_alu instid0(SALU_CYCLE_1)
	s_or_b32 exec_lo, exec_lo, s13
.LBB354_3157:                           ;   in Loop: Header=BB354_1574 Depth=1
	s_delay_alu instid0(SALU_CYCLE_1)
	s_or_b32 exec_lo, exec_lo, s12
	s_waitcnt vmcnt(0) lgkmcnt(0)
	v_fma_mixlo_f16 v10, v84, v44, 0
	v_fma_mixlo_f16 v2, v84, v46, 0
	;; [unrolled: 1-line block ×5, first 2 shown]
	v_lshlrev_b32_e32 v44, 16, v10
	v_fma_mixlo_f16 v10, v84, v85, 0
	v_fma_mixlo_f16 v85, v84, v47, 0
	;; [unrolled: 1-line block ×3, first 2 shown]
	v_lshlrev_b32_e32 v2, 16, v2
	v_and_b32_e32 v9, 0xffff, v9
	v_and_b32_e32 v11, 0xffff, v10
	v_lshlrev_b32_e32 v84, 16, v85
	v_and_b32_e32 v23, 0xffff, v23
	v_lshlrev_b32_e32 v85, 16, v45
	v_and_b32_e32 v45, 0xffff, v12
	v_or_b32_e32 v10, v2, v9
	v_or_b32_e32 v11, v44, v11
	;; [unrolled: 1-line block ×3, first 2 shown]
	s_delay_alu instid0(VALU_DEP_4)
	v_or_b32_e32 v9, v85, v45
	s_and_saveexec_b32 s0, vcc_lo
	s_cbranch_execz .LBB354_1572
; %bb.3158:                             ;   in Loop: Header=BB354_1574 Depth=1
	v_cmp_lt_i32_e32 vcc_lo, v119, v38
	v_lshrrev_b32_e32 v23, 16, v11
	v_lshrrev_b32_e32 v84, 16, v10
	;; [unrolled: 1-line block ×4, first 2 shown]
	v_cndmask_b32_e32 v11, 0, v11, vcc_lo
	v_cmp_lt_i32_e32 vcc_lo, v134, v55
	v_cndmask_b32_e32 v23, 0, v23, vcc_lo
	v_cmp_lt_i32_e32 vcc_lo, v133, v55
	v_cndmask_b32_e32 v84, 0, v84, vcc_lo
	v_cmp_lt_i32_e32 vcc_lo, v132, v38
	v_cndmask_b32_e32 v10, 0, v10, vcc_lo
	v_cmp_lt_i32_e32 vcc_lo, v131, v55
	v_perm_b32 v11, v23, v11, 0x5040100
	s_delay_alu instid0(VALU_DEP_3) | instskip(SKIP_4) | instid1(VALU_DEP_2)
	v_perm_b32 v10, v84, v10, 0x5040100
	v_cndmask_b32_e32 v85, 0, v85, vcc_lo
	v_cmp_lt_i32_e32 vcc_lo, v130, v38
	v_cndmask_b32_e32 v2, 0, v2, vcc_lo
	v_cmp_lt_i32_e32 vcc_lo, v129, v55
	v_perm_b32 v2, v85, v2, 0x5040100
	v_cndmask_b32_e32 v9, 0, v9, vcc_lo
	v_cmp_lt_i32_e32 vcc_lo, v128, v38
	v_cndmask_b32_e32 v12, 0, v12, vcc_lo
	s_delay_alu instid0(VALU_DEP_1)
	v_perm_b32 v9, v9, v12, 0x5040100
	s_branch .LBB354_1572
.LBB354_3159:
	s_or_b32 exec_lo, exec_lo, s5
.LBB354_3160:
	s_delay_alu instid0(SALU_CYCLE_1)
	s_or_b32 exec_lo, exec_lo, s3
	ds_bpermute_b32 v0, v21, v86
	ds_bpermute_b32 v6, v21, v81
	;; [unrolled: 1-line block ×10, first 2 shown]
	s_waitcnt lgkmcnt(0)
	s_waitcnt_vscnt null, 0x0
	s_barrier
	buffer_gl0_inv
	ds_bpermute_b32 v8, v21, v71
	ds_bpermute_b32 v9, v21, v70
	;; [unrolled: 1-line block ×7, first 2 shown]
	v_add_f32_e32 v0, v86, v0
	v_dual_add_f32 v14, v81, v6 :: v_dual_add_f32 v1, v87, v1
	v_dual_add_f32 v3, v43, v3 :: v_dual_add_f32 v12, v16, v4
	ds_bpermute_b32 v4, v20, v0
	v_add_f32_e32 v7, v80, v7
	ds_bpermute_b32 v19, v20, v14
	v_dual_add_f32 v2, v83, v2 :: v_dual_add_f32 v13, v82, v5
	ds_bpermute_b32 v5, v20, v1
	ds_bpermute_b32 v17, v20, v12
	;; [unrolled: 1-line block ×8, first 2 shown]
	s_waitcnt lgkmcnt(15)
	v_dual_add_f32 v8, v71, v8 :: v_dual_add_f32 v9, v70, v9
	s_waitcnt lgkmcnt(14)
	v_add_f32_e32 v10, v69, v10
	s_waitcnt lgkmcnt(12)
	v_dual_add_f32 v26, v65, v26 :: v_dual_add_f32 v27, v36, v27
	s_waitcnt lgkmcnt(11)
	v_add_f32_e32 v11, v68, v11
	ds_bpermute_b32 v48, v20, v8
	s_waitcnt lgkmcnt(10)
	v_dual_add_f32 v6, v0, v4 :: v_dual_add_f32 v33, v33, v38
	s_waitcnt lgkmcnt(9)
	v_add_f32_e32 v0, v14, v19
	ds_bpermute_b32 v14, v21, v32
	ds_bpermute_b32 v19, v20, v9
	s_waitcnt lgkmcnt(10)
	v_add_f32_e32 v5, v1, v5
	ds_bpermute_b32 v36, v20, v27
	ds_bpermute_b32 v53, v20, v33
	s_waitcnt lgkmcnt(8)
	v_dual_add_f32 v4, v2, v15 :: v_dual_add_f32 v1, v13, v18
	v_dual_add_f32 v2, v12, v17 :: v_dual_add_f32 v13, v66, v23
	s_waitcnt lgkmcnt(7)
	v_add_f32_e32 v3, v3, v16
	ds_bpermute_b32 v15, v21, v31
	ds_bpermute_b32 v16, v21, v29
	ds_bpermute_b32 v17, v21, v28
	ds_bpermute_b32 v18, v21, v25
	v_add_f32_e32 v30, v35, v30
	s_waitcnt lgkmcnt(10)
	v_add_f32_e32 v12, v67, v22
	ds_bpermute_b32 v50, v20, v11
	v_add_f32_e32 v23, v7, v39
	scratch_load_b32 v7, off, s32 offset:512 ; 4-byte Folded Reload
	s_waitcnt lgkmcnt(10)
	v_add_f32_e32 v34, v34, v37
	s_waitcnt lgkmcnt(8)
	v_add_f32_e32 v32, v32, v14
	ds_bpermute_b32 v35, v20, v26
	ds_bpermute_b32 v49, v20, v10
	;; [unrolled: 1-line block ×4, first 2 shown]
	s_load_b32 s0, s[6:7], 0x0
	s_waitcnt lgkmcnt(0)
	v_dual_add_f32 v21, v9, v19 :: v_dual_add_f32 v22, v8, v48
	v_add_f32_e32 v31, v31, v15
	v_add_f32_e32 v29, v29, v16
	ds_bpermute_b32 v37, v20, v30
	v_add_f32_e32 v28, v28, v17
	v_dual_add_f32 v54, v25, v18 :: v_dual_add_f32 v15, v27, v36
	ds_bpermute_b32 v25, v20, v32
	ds_bpermute_b32 v38, v20, v34
	;; [unrolled: 1-line block ×6, first 2 shown]
	v_dual_add_f32 v19, v11, v50 :: v_dual_add_f32 v16, v26, v35
	v_dual_add_f32 v20, v10, v49 :: v_dual_and_b32 v27, 0x3c3, v62
	v_dual_add_f32 v17, v13, v52 :: v_dual_add_f32 v18, v12, v51
	v_add_f32_e32 v12, v33, v53
	v_mad_u32_u24 v26, 0x300, v72, s0
	s_delay_alu instid0(VALU_DEP_4)
	v_cmp_eq_u32_e32 vcc_lo, 64, v27
	s_waitcnt lgkmcnt(6)
	v_add_f32_e32 v14, v30, v37
	s_waitcnt lgkmcnt(5)
	v_add_f32_e32 v11, v32, v25
	s_waitcnt lgkmcnt(3)
	v_dual_add_f32 v13, v34, v38 :: v_dual_add_f32 v10, v31, v55
	s_waitcnt lgkmcnt(1)
	v_add_f32_e32 v9, v28, v65
	s_waitcnt vmcnt(0)
	v_lshrrev_b32_e32 v25, 2, v7
	s_waitcnt lgkmcnt(0)
	v_dual_add_f32 v8, v29, v64 :: v_dual_add_f32 v7, v54, v66
	s_delay_alu instid0(VALU_DEP_2)
	v_lshlrev_b32_e32 v27, 2, v25
	s_and_saveexec_b32 s0, vcc_lo
	s_cbranch_execz .LBB354_3162
; %bb.3161:
	s_delay_alu instid0(VALU_DEP_1)
	v_add3_u32 v28, v26, v27, 0xfffffa00
	ds_store_2addr_b32 v28, v6, v5 offset1:8
	ds_store_2addr_b32 v28, v4, v3 offset0:16 offset1:24
	ds_store_2addr_b32 v28, v2, v1 offset0:32 offset1:40
	;; [unrolled: 1-line block ×11, first 2 shown]
.LBB354_3162:
	s_or_b32 exec_lo, exec_lo, s0
	v_cmp_eq_u32_e32 vcc_lo, 0, v24
	s_mov_b32 s3, exec_lo
	s_waitcnt lgkmcnt(0)
	s_barrier
	buffer_gl0_inv
	v_cmpx_gt_u32_e32 64, v62
	s_cbranch_execz .LBB354_3189
; %bb.3163:
	s_and_saveexec_b32 s0, vcc_lo
	s_cbranch_execnz .LBB354_3221
; %bb.3164:
	s_or_b32 exec_lo, exec_lo, s0
	s_and_saveexec_b32 s0, vcc_lo
	s_cbranch_execnz .LBB354_3222
.LBB354_3165:
	s_or_b32 exec_lo, exec_lo, s0
	s_and_saveexec_b32 s0, vcc_lo
	s_cbranch_execnz .LBB354_3223
.LBB354_3166:
	s_or_b32 exec_lo, exec_lo, s0
	s_and_saveexec_b32 s0, vcc_lo
	s_cbranch_execnz .LBB354_3224
.LBB354_3167:
	s_or_b32 exec_lo, exec_lo, s0
	s_and_saveexec_b32 s0, vcc_lo
	s_cbranch_execnz .LBB354_3225
.LBB354_3168:
	s_or_b32 exec_lo, exec_lo, s0
	s_and_saveexec_b32 s0, vcc_lo
	s_cbranch_execnz .LBB354_3226
.LBB354_3169:
	s_or_b32 exec_lo, exec_lo, s0
	s_and_saveexec_b32 s0, vcc_lo
	s_cbranch_execnz .LBB354_3227
.LBB354_3170:
	s_or_b32 exec_lo, exec_lo, s0
	s_and_saveexec_b32 s0, vcc_lo
	s_cbranch_execnz .LBB354_3228
.LBB354_3171:
	s_or_b32 exec_lo, exec_lo, s0
	s_and_saveexec_b32 s0, vcc_lo
	s_cbranch_execnz .LBB354_3229
.LBB354_3172:
	s_or_b32 exec_lo, exec_lo, s0
	s_and_saveexec_b32 s0, vcc_lo
	s_cbranch_execnz .LBB354_3230
.LBB354_3173:
	s_or_b32 exec_lo, exec_lo, s0
	s_and_saveexec_b32 s0, vcc_lo
	s_cbranch_execnz .LBB354_3231
.LBB354_3174:
	s_or_b32 exec_lo, exec_lo, s0
	s_and_saveexec_b32 s0, vcc_lo
	s_cbranch_execnz .LBB354_3232
.LBB354_3175:
	s_or_b32 exec_lo, exec_lo, s0
	s_and_saveexec_b32 s0, vcc_lo
	s_cbranch_execnz .LBB354_3233
.LBB354_3176:
	s_or_b32 exec_lo, exec_lo, s0
	s_and_saveexec_b32 s0, vcc_lo
	s_cbranch_execnz .LBB354_3234
.LBB354_3177:
	s_or_b32 exec_lo, exec_lo, s0
	s_and_saveexec_b32 s0, vcc_lo
	s_cbranch_execnz .LBB354_3235
.LBB354_3178:
	s_or_b32 exec_lo, exec_lo, s0
	s_and_saveexec_b32 s0, vcc_lo
	s_cbranch_execnz .LBB354_3236
.LBB354_3179:
	s_or_b32 exec_lo, exec_lo, s0
	s_and_saveexec_b32 s0, vcc_lo
	s_cbranch_execnz .LBB354_3237
.LBB354_3180:
	s_or_b32 exec_lo, exec_lo, s0
	s_and_saveexec_b32 s0, vcc_lo
	s_cbranch_execnz .LBB354_3238
.LBB354_3181:
	s_or_b32 exec_lo, exec_lo, s0
	s_and_saveexec_b32 s0, vcc_lo
	s_cbranch_execnz .LBB354_3239
.LBB354_3182:
	s_or_b32 exec_lo, exec_lo, s0
	s_and_saveexec_b32 s0, vcc_lo
	s_cbranch_execnz .LBB354_3240
.LBB354_3183:
	s_or_b32 exec_lo, exec_lo, s0
	s_and_saveexec_b32 s0, vcc_lo
	s_cbranch_execnz .LBB354_3241
.LBB354_3184:
	s_or_b32 exec_lo, exec_lo, s0
	s_and_saveexec_b32 s0, vcc_lo
	s_cbranch_execnz .LBB354_3242
.LBB354_3185:
	s_or_b32 exec_lo, exec_lo, s0
	s_and_saveexec_b32 s0, vcc_lo
	s_cbranch_execnz .LBB354_3243
.LBB354_3186:
	s_or_b32 exec_lo, exec_lo, s0
	s_and_saveexec_b32 s0, vcc_lo
	s_cbranch_execz .LBB354_3188
.LBB354_3187:
	v_lshl_add_u32 v24, v25, 2, v26
	ds_load_b32 v24, v24 offset:736
	s_waitcnt lgkmcnt(0)
	v_add_f32_e32 v7, v24, v7
.LBB354_3188:
	s_or_b32 exec_lo, exec_lo, s0
.LBB354_3189:
	s_delay_alu instid0(SALU_CYCLE_1)
	s_or_b32 exec_lo, exec_lo, s3
	v_and_b32_e32 v24, 0x3e3, v62
	s_mov_b32 s3, exec_lo
	s_barrier
	buffer_gl0_inv
	v_cmpx_eq_u32_e32 32, v24
	s_cbranch_execz .LBB354_3191
; %bb.3190:
	v_add3_u32 v27, v26, v27, 0xfffffd00
	ds_store_2addr_b32 v27, v6, v5 offset1:8
	ds_store_2addr_b32 v27, v4, v3 offset0:16 offset1:24
	ds_store_2addr_b32 v27, v2, v1 offset0:32 offset1:40
	;; [unrolled: 1-line block ×11, first 2 shown]
.LBB354_3191:
	s_or_b32 exec_lo, exec_lo, s3
	s_delay_alu instid0(SALU_CYCLE_1)
	s_mov_b32 s3, exec_lo
	s_waitcnt lgkmcnt(0)
	s_barrier
	buffer_gl0_inv
	v_cmpx_gt_u32_e32 32, v62
	s_cbranch_execz .LBB354_3218
; %bb.3192:
	v_lshl_add_u32 v25, v25, 2, v26
	s_and_saveexec_b32 s0, vcc_lo
	s_cbranch_execnz .LBB354_3244
; %bb.3193:
	s_or_b32 exec_lo, exec_lo, s0
	s_and_saveexec_b32 s0, vcc_lo
	s_cbranch_execnz .LBB354_3245
.LBB354_3194:
	s_or_b32 exec_lo, exec_lo, s0
	s_and_saveexec_b32 s0, vcc_lo
	s_cbranch_execnz .LBB354_3246
.LBB354_3195:
	s_or_b32 exec_lo, exec_lo, s0
	s_and_saveexec_b32 s0, vcc_lo
	s_cbranch_execnz .LBB354_3247
.LBB354_3196:
	s_or_b32 exec_lo, exec_lo, s0
	s_and_saveexec_b32 s0, vcc_lo
	s_cbranch_execnz .LBB354_3248
.LBB354_3197:
	s_or_b32 exec_lo, exec_lo, s0
	s_and_saveexec_b32 s0, vcc_lo
	s_cbranch_execnz .LBB354_3249
.LBB354_3198:
	s_or_b32 exec_lo, exec_lo, s0
	s_and_saveexec_b32 s0, vcc_lo
	s_cbranch_execnz .LBB354_3250
.LBB354_3199:
	s_or_b32 exec_lo, exec_lo, s0
	s_and_saveexec_b32 s0, vcc_lo
	s_cbranch_execnz .LBB354_3251
.LBB354_3200:
	s_or_b32 exec_lo, exec_lo, s0
	s_and_saveexec_b32 s0, vcc_lo
	s_cbranch_execnz .LBB354_3252
.LBB354_3201:
	s_or_b32 exec_lo, exec_lo, s0
	s_and_saveexec_b32 s0, vcc_lo
	s_cbranch_execnz .LBB354_3253
.LBB354_3202:
	s_or_b32 exec_lo, exec_lo, s0
	s_and_saveexec_b32 s0, vcc_lo
	s_cbranch_execnz .LBB354_3254
.LBB354_3203:
	s_or_b32 exec_lo, exec_lo, s0
	s_and_saveexec_b32 s0, vcc_lo
	s_cbranch_execnz .LBB354_3255
.LBB354_3204:
	s_or_b32 exec_lo, exec_lo, s0
	s_and_saveexec_b32 s0, vcc_lo
	s_cbranch_execnz .LBB354_3256
.LBB354_3205:
	s_or_b32 exec_lo, exec_lo, s0
	s_and_saveexec_b32 s0, vcc_lo
	s_cbranch_execnz .LBB354_3257
.LBB354_3206:
	s_or_b32 exec_lo, exec_lo, s0
	s_and_saveexec_b32 s0, vcc_lo
	s_cbranch_execnz .LBB354_3258
.LBB354_3207:
	s_or_b32 exec_lo, exec_lo, s0
	s_and_saveexec_b32 s0, vcc_lo
	s_cbranch_execnz .LBB354_3259
.LBB354_3208:
	s_or_b32 exec_lo, exec_lo, s0
	s_and_saveexec_b32 s0, vcc_lo
	s_cbranch_execnz .LBB354_3260
.LBB354_3209:
	s_or_b32 exec_lo, exec_lo, s0
	s_and_saveexec_b32 s0, vcc_lo
	s_cbranch_execnz .LBB354_3261
.LBB354_3210:
	s_or_b32 exec_lo, exec_lo, s0
	s_and_saveexec_b32 s0, vcc_lo
	s_cbranch_execnz .LBB354_3262
.LBB354_3211:
	s_or_b32 exec_lo, exec_lo, s0
	s_and_saveexec_b32 s0, vcc_lo
	s_cbranch_execnz .LBB354_3263
.LBB354_3212:
	s_or_b32 exec_lo, exec_lo, s0
	s_and_saveexec_b32 s0, vcc_lo
	s_cbranch_execnz .LBB354_3264
.LBB354_3213:
	s_or_b32 exec_lo, exec_lo, s0
	s_and_saveexec_b32 s0, vcc_lo
	s_cbranch_execnz .LBB354_3265
.LBB354_3214:
	s_or_b32 exec_lo, exec_lo, s0
	s_and_saveexec_b32 s0, vcc_lo
	s_cbranch_execnz .LBB354_3266
.LBB354_3215:
	s_or_b32 exec_lo, exec_lo, s0
	s_and_saveexec_b32 s0, vcc_lo
	s_cbranch_execz .LBB354_3217
.LBB354_3216:
	ds_load_b32 v25, v25 offset:736
	s_waitcnt lgkmcnt(0)
	v_add_f32_e32 v7, v25, v7
.LBB354_3217:
	s_or_b32 exec_lo, exec_lo, s0
.LBB354_3218:
	s_delay_alu instid0(SALU_CYCLE_1)
	s_or_b32 exec_lo, exec_lo, s3
	v_cmp_eq_u32_e32 vcc_lo, 0, v24
	s_barrier
	buffer_gl0_inv
	s_and_b32 exec_lo, exec_lo, vcc_lo
	s_cbranch_execz .LBB354_3220
; %bb.3219:
	s_mul_i32 s0, s2, 0xc0
	s_mul_i32 s2, s4, s1
	;; [unrolled: 1-line block ×3, first 2 shown]
	s_ashr_i32 s3, s2, 31
	s_ashr_i32 s5, s4, 31
	;; [unrolled: 1-line block ×3, first 2 shown]
	s_lshl_b64 s[2:3], s[2:3], 1
	s_lshl_b64 s[4:5], s[4:5], 1
	;; [unrolled: 1-line block ×3, first 2 shown]
	s_add_u32 s2, s4, s2
	s_addc_u32 s3, s5, s3
	s_add_u32 s0, s2, s0
	s_addc_u32 s1, s3, s1
	v_lshrrev_b32_e32 v24, 1, v62
	v_add_co_u32 v25, vcc_lo, s0, v61
	v_add_co_ci_u32_e32 v26, vcc_lo, s1, v60, vcc_lo
	;;#ASMSTART
	v_cvt_f16_f32 v6, v6;

	;;#ASMEND
	s_delay_alu instid0(VALU_DEP_2) | instskip(NEXT) | instid1(VALU_DEP_2)
	v_add_co_u32 v24, vcc_lo, v25, v24
	v_add_co_ci_u32_e32 v25, vcc_lo, 0, v26, vcc_lo
	flat_store_b16 v[24:25], v6
	;;#ASMSTART
	v_cvt_f16_f32 v5, v5;

	;;#ASMEND
	flat_store_b16 v[24:25], v5 offset:16
	;;#ASMSTART
	v_cvt_f16_f32 v4, v4;

	;;#ASMEND
	flat_store_b16 v[24:25], v4 offset:32
	;; [unrolled: 5-line block ×23, first 2 shown]
.LBB354_3220:
	s_or_b32 exec_lo, exec_lo, s11
	s_clause 0x1f
	scratch_load_b32 v191, off, s32 offset:8
	scratch_load_b32 v190, off, s32 offset:12
	;; [unrolled: 1-line block ×32, first 2 shown]
	s_clause 0x1f
	scratch_load_b32 v127, off, s32 offset:136
	scratch_load_b32 v126, off, s32 offset:140
	;; [unrolled: 1-line block ×32, first 2 shown]
	s_clause 0xf
	scratch_load_b32 v63, off, s32 offset:264
	scratch_load_b32 v62, off, s32 offset:268
	;; [unrolled: 1-line block ×16, first 2 shown]
	s_waitcnt vmcnt(0) lgkmcnt(0)
	s_setpc_b64 s[30:31]
.LBB354_3221:
	v_lshl_add_u32 v24, v25, 2, v26
	ds_load_b32 v24, v24
	s_waitcnt lgkmcnt(0)
	v_add_f32_e32 v6, v24, v6
	s_or_b32 exec_lo, exec_lo, s0
	s_and_saveexec_b32 s0, vcc_lo
	s_cbranch_execz .LBB354_3165
.LBB354_3222:
	v_lshl_add_u32 v24, v25, 2, v26
	ds_load_b32 v24, v24 offset:32
	s_waitcnt lgkmcnt(0)
	v_add_f32_e32 v5, v24, v5
	s_or_b32 exec_lo, exec_lo, s0
	s_and_saveexec_b32 s0, vcc_lo
	s_cbranch_execz .LBB354_3166
.LBB354_3223:
	v_lshl_add_u32 v24, v25, 2, v26
	ds_load_b32 v24, v24 offset:64
	s_waitcnt lgkmcnt(0)
	v_add_f32_e32 v4, v24, v4
	s_or_b32 exec_lo, exec_lo, s0
	s_and_saveexec_b32 s0, vcc_lo
	s_cbranch_execz .LBB354_3167
.LBB354_3224:
	v_lshl_add_u32 v24, v25, 2, v26
	ds_load_b32 v24, v24 offset:96
	s_waitcnt lgkmcnt(0)
	v_add_f32_e32 v3, v24, v3
	s_or_b32 exec_lo, exec_lo, s0
	s_and_saveexec_b32 s0, vcc_lo
	s_cbranch_execz .LBB354_3168
.LBB354_3225:
	v_lshl_add_u32 v24, v25, 2, v26
	ds_load_b32 v24, v24 offset:128
	s_waitcnt lgkmcnt(0)
	v_add_f32_e32 v2, v24, v2
	s_or_b32 exec_lo, exec_lo, s0
	s_and_saveexec_b32 s0, vcc_lo
	s_cbranch_execz .LBB354_3169
.LBB354_3226:
	v_lshl_add_u32 v24, v25, 2, v26
	ds_load_b32 v24, v24 offset:160
	s_waitcnt lgkmcnt(0)
	v_add_f32_e32 v1, v24, v1
	s_or_b32 exec_lo, exec_lo, s0
	s_and_saveexec_b32 s0, vcc_lo
	s_cbranch_execz .LBB354_3170
.LBB354_3227:
	v_lshl_add_u32 v24, v25, 2, v26
	ds_load_b32 v24, v24 offset:192
	s_waitcnt lgkmcnt(0)
	v_add_f32_e32 v0, v24, v0
	s_or_b32 exec_lo, exec_lo, s0
	s_and_saveexec_b32 s0, vcc_lo
	s_cbranch_execz .LBB354_3171
.LBB354_3228:
	v_lshl_add_u32 v24, v25, 2, v26
	ds_load_b32 v24, v24 offset:224
	s_waitcnt lgkmcnt(0)
	v_add_f32_e32 v23, v24, v23
	s_or_b32 exec_lo, exec_lo, s0
	s_and_saveexec_b32 s0, vcc_lo
	s_cbranch_execz .LBB354_3172
.LBB354_3229:
	v_lshl_add_u32 v24, v25, 2, v26
	ds_load_b32 v24, v24 offset:256
	s_waitcnt lgkmcnt(0)
	v_add_f32_e32 v22, v24, v22
	s_or_b32 exec_lo, exec_lo, s0
	s_and_saveexec_b32 s0, vcc_lo
	s_cbranch_execz .LBB354_3173
.LBB354_3230:
	v_lshl_add_u32 v24, v25, 2, v26
	ds_load_b32 v24, v24 offset:288
	s_waitcnt lgkmcnt(0)
	v_add_f32_e32 v21, v24, v21
	s_or_b32 exec_lo, exec_lo, s0
	s_and_saveexec_b32 s0, vcc_lo
	s_cbranch_execz .LBB354_3174
.LBB354_3231:
	v_lshl_add_u32 v24, v25, 2, v26
	ds_load_b32 v24, v24 offset:320
	s_waitcnt lgkmcnt(0)
	v_add_f32_e32 v20, v24, v20
	s_or_b32 exec_lo, exec_lo, s0
	s_and_saveexec_b32 s0, vcc_lo
	s_cbranch_execz .LBB354_3175
.LBB354_3232:
	v_lshl_add_u32 v24, v25, 2, v26
	ds_load_b32 v24, v24 offset:352
	s_waitcnt lgkmcnt(0)
	v_add_f32_e32 v19, v24, v19
	s_or_b32 exec_lo, exec_lo, s0
	s_and_saveexec_b32 s0, vcc_lo
	s_cbranch_execz .LBB354_3176
.LBB354_3233:
	v_lshl_add_u32 v24, v25, 2, v26
	ds_load_b32 v24, v24 offset:384
	s_waitcnt lgkmcnt(0)
	v_add_f32_e32 v18, v24, v18
	s_or_b32 exec_lo, exec_lo, s0
	s_and_saveexec_b32 s0, vcc_lo
	s_cbranch_execz .LBB354_3177
.LBB354_3234:
	v_lshl_add_u32 v24, v25, 2, v26
	ds_load_b32 v24, v24 offset:416
	s_waitcnt lgkmcnt(0)
	v_add_f32_e32 v17, v24, v17
	s_or_b32 exec_lo, exec_lo, s0
	s_and_saveexec_b32 s0, vcc_lo
	s_cbranch_execz .LBB354_3178
.LBB354_3235:
	v_lshl_add_u32 v24, v25, 2, v26
	ds_load_b32 v24, v24 offset:448
	s_waitcnt lgkmcnt(0)
	v_add_f32_e32 v16, v24, v16
	s_or_b32 exec_lo, exec_lo, s0
	s_and_saveexec_b32 s0, vcc_lo
	s_cbranch_execz .LBB354_3179
.LBB354_3236:
	v_lshl_add_u32 v24, v25, 2, v26
	ds_load_b32 v24, v24 offset:480
	s_waitcnt lgkmcnt(0)
	v_add_f32_e32 v15, v24, v15
	s_or_b32 exec_lo, exec_lo, s0
	s_and_saveexec_b32 s0, vcc_lo
	s_cbranch_execz .LBB354_3180
.LBB354_3237:
	v_lshl_add_u32 v24, v25, 2, v26
	ds_load_b32 v24, v24 offset:512
	s_waitcnt lgkmcnt(0)
	v_add_f32_e32 v14, v24, v14
	s_or_b32 exec_lo, exec_lo, s0
	s_and_saveexec_b32 s0, vcc_lo
	s_cbranch_execz .LBB354_3181
.LBB354_3238:
	v_lshl_add_u32 v24, v25, 2, v26
	ds_load_b32 v24, v24 offset:544
	s_waitcnt lgkmcnt(0)
	v_add_f32_e32 v13, v24, v13
	s_or_b32 exec_lo, exec_lo, s0
	s_and_saveexec_b32 s0, vcc_lo
	s_cbranch_execz .LBB354_3182
.LBB354_3239:
	v_lshl_add_u32 v24, v25, 2, v26
	ds_load_b32 v24, v24 offset:576
	s_waitcnt lgkmcnt(0)
	v_add_f32_e32 v12, v24, v12
	s_or_b32 exec_lo, exec_lo, s0
	s_and_saveexec_b32 s0, vcc_lo
	s_cbranch_execz .LBB354_3183
.LBB354_3240:
	v_lshl_add_u32 v24, v25, 2, v26
	ds_load_b32 v24, v24 offset:608
	s_waitcnt lgkmcnt(0)
	v_add_f32_e32 v11, v24, v11
	s_or_b32 exec_lo, exec_lo, s0
	s_and_saveexec_b32 s0, vcc_lo
	s_cbranch_execz .LBB354_3184
.LBB354_3241:
	v_lshl_add_u32 v24, v25, 2, v26
	ds_load_b32 v24, v24 offset:640
	s_waitcnt lgkmcnt(0)
	v_add_f32_e32 v10, v24, v10
	s_or_b32 exec_lo, exec_lo, s0
	s_and_saveexec_b32 s0, vcc_lo
	s_cbranch_execz .LBB354_3185
.LBB354_3242:
	v_lshl_add_u32 v24, v25, 2, v26
	ds_load_b32 v24, v24 offset:672
	s_waitcnt lgkmcnt(0)
	v_add_f32_e32 v8, v24, v8
	s_or_b32 exec_lo, exec_lo, s0
	s_and_saveexec_b32 s0, vcc_lo
	s_cbranch_execz .LBB354_3186
.LBB354_3243:
	v_lshl_add_u32 v24, v25, 2, v26
	ds_load_b32 v24, v24 offset:704
	s_waitcnt lgkmcnt(0)
	v_add_f32_e32 v9, v24, v9
	s_or_b32 exec_lo, exec_lo, s0
	s_and_saveexec_b32 s0, vcc_lo
	s_cbranch_execnz .LBB354_3187
	s_branch .LBB354_3188
.LBB354_3244:
	ds_load_b32 v26, v25
	s_waitcnt lgkmcnt(0)
	v_add_f32_e32 v6, v26, v6
	s_or_b32 exec_lo, exec_lo, s0
	s_and_saveexec_b32 s0, vcc_lo
	s_cbranch_execz .LBB354_3194
.LBB354_3245:
	ds_load_b32 v26, v25 offset:32
	s_waitcnt lgkmcnt(0)
	v_add_f32_e32 v5, v26, v5
	s_or_b32 exec_lo, exec_lo, s0
	s_and_saveexec_b32 s0, vcc_lo
	s_cbranch_execz .LBB354_3195
.LBB354_3246:
	ds_load_b32 v26, v25 offset:64
	s_waitcnt lgkmcnt(0)
	v_add_f32_e32 v4, v26, v4
	s_or_b32 exec_lo, exec_lo, s0
	s_and_saveexec_b32 s0, vcc_lo
	s_cbranch_execz .LBB354_3196
.LBB354_3247:
	ds_load_b32 v26, v25 offset:96
	s_waitcnt lgkmcnt(0)
	v_add_f32_e32 v3, v26, v3
	s_or_b32 exec_lo, exec_lo, s0
	s_and_saveexec_b32 s0, vcc_lo
	s_cbranch_execz .LBB354_3197
.LBB354_3248:
	ds_load_b32 v26, v25 offset:128
	s_waitcnt lgkmcnt(0)
	v_add_f32_e32 v2, v26, v2
	s_or_b32 exec_lo, exec_lo, s0
	s_and_saveexec_b32 s0, vcc_lo
	s_cbranch_execz .LBB354_3198
.LBB354_3249:
	ds_load_b32 v26, v25 offset:160
	s_waitcnt lgkmcnt(0)
	v_add_f32_e32 v1, v26, v1
	s_or_b32 exec_lo, exec_lo, s0
	s_and_saveexec_b32 s0, vcc_lo
	s_cbranch_execz .LBB354_3199
.LBB354_3250:
	ds_load_b32 v26, v25 offset:192
	s_waitcnt lgkmcnt(0)
	v_add_f32_e32 v0, v26, v0
	s_or_b32 exec_lo, exec_lo, s0
	s_and_saveexec_b32 s0, vcc_lo
	s_cbranch_execz .LBB354_3200
.LBB354_3251:
	ds_load_b32 v26, v25 offset:224
	s_waitcnt lgkmcnt(0)
	v_add_f32_e32 v23, v26, v23
	s_or_b32 exec_lo, exec_lo, s0
	s_and_saveexec_b32 s0, vcc_lo
	s_cbranch_execz .LBB354_3201
.LBB354_3252:
	ds_load_b32 v26, v25 offset:256
	s_waitcnt lgkmcnt(0)
	v_add_f32_e32 v22, v26, v22
	s_or_b32 exec_lo, exec_lo, s0
	s_and_saveexec_b32 s0, vcc_lo
	s_cbranch_execz .LBB354_3202
.LBB354_3253:
	ds_load_b32 v26, v25 offset:288
	s_waitcnt lgkmcnt(0)
	v_add_f32_e32 v21, v26, v21
	s_or_b32 exec_lo, exec_lo, s0
	s_and_saveexec_b32 s0, vcc_lo
	s_cbranch_execz .LBB354_3203
.LBB354_3254:
	ds_load_b32 v26, v25 offset:320
	s_waitcnt lgkmcnt(0)
	v_add_f32_e32 v20, v26, v20
	s_or_b32 exec_lo, exec_lo, s0
	s_and_saveexec_b32 s0, vcc_lo
	s_cbranch_execz .LBB354_3204
.LBB354_3255:
	ds_load_b32 v26, v25 offset:352
	s_waitcnt lgkmcnt(0)
	v_add_f32_e32 v19, v26, v19
	s_or_b32 exec_lo, exec_lo, s0
	s_and_saveexec_b32 s0, vcc_lo
	s_cbranch_execz .LBB354_3205
.LBB354_3256:
	ds_load_b32 v26, v25 offset:384
	s_waitcnt lgkmcnt(0)
	v_add_f32_e32 v18, v26, v18
	s_or_b32 exec_lo, exec_lo, s0
	s_and_saveexec_b32 s0, vcc_lo
	s_cbranch_execz .LBB354_3206
.LBB354_3257:
	ds_load_b32 v26, v25 offset:416
	s_waitcnt lgkmcnt(0)
	v_add_f32_e32 v17, v26, v17
	s_or_b32 exec_lo, exec_lo, s0
	s_and_saveexec_b32 s0, vcc_lo
	s_cbranch_execz .LBB354_3207
.LBB354_3258:
	ds_load_b32 v26, v25 offset:448
	s_waitcnt lgkmcnt(0)
	v_add_f32_e32 v16, v26, v16
	s_or_b32 exec_lo, exec_lo, s0
	s_and_saveexec_b32 s0, vcc_lo
	s_cbranch_execz .LBB354_3208
.LBB354_3259:
	ds_load_b32 v26, v25 offset:480
	s_waitcnt lgkmcnt(0)
	v_add_f32_e32 v15, v26, v15
	s_or_b32 exec_lo, exec_lo, s0
	s_and_saveexec_b32 s0, vcc_lo
	s_cbranch_execz .LBB354_3209
.LBB354_3260:
	ds_load_b32 v26, v25 offset:512
	s_waitcnt lgkmcnt(0)
	v_add_f32_e32 v14, v26, v14
	s_or_b32 exec_lo, exec_lo, s0
	s_and_saveexec_b32 s0, vcc_lo
	s_cbranch_execz .LBB354_3210
.LBB354_3261:
	ds_load_b32 v26, v25 offset:544
	s_waitcnt lgkmcnt(0)
	v_add_f32_e32 v13, v26, v13
	s_or_b32 exec_lo, exec_lo, s0
	s_and_saveexec_b32 s0, vcc_lo
	s_cbranch_execz .LBB354_3211
.LBB354_3262:
	ds_load_b32 v26, v25 offset:576
	s_waitcnt lgkmcnt(0)
	v_add_f32_e32 v12, v26, v12
	s_or_b32 exec_lo, exec_lo, s0
	s_and_saveexec_b32 s0, vcc_lo
	s_cbranch_execz .LBB354_3212
.LBB354_3263:
	ds_load_b32 v26, v25 offset:608
	s_waitcnt lgkmcnt(0)
	v_add_f32_e32 v11, v26, v11
	s_or_b32 exec_lo, exec_lo, s0
	s_and_saveexec_b32 s0, vcc_lo
	s_cbranch_execz .LBB354_3213
.LBB354_3264:
	ds_load_b32 v26, v25 offset:640
	s_waitcnt lgkmcnt(0)
	v_add_f32_e32 v10, v26, v10
	s_or_b32 exec_lo, exec_lo, s0
	s_and_saveexec_b32 s0, vcc_lo
	s_cbranch_execz .LBB354_3214
.LBB354_3265:
	ds_load_b32 v26, v25 offset:672
	s_waitcnt lgkmcnt(0)
	v_add_f32_e32 v8, v26, v8
	s_or_b32 exec_lo, exec_lo, s0
	s_and_saveexec_b32 s0, vcc_lo
	s_cbranch_execz .LBB354_3215
.LBB354_3266:
	ds_load_b32 v26, v25 offset:704
	s_waitcnt lgkmcnt(0)
	v_add_f32_e32 v9, v26, v9
	s_or_b32 exec_lo, exec_lo, s0
	s_and_saveexec_b32 s0, vcc_lo
	s_cbranch_execnz .LBB354_3216
	s_branch .LBB354_3217
.Lfunc_end354:
	.size	_ZN4vllm22paged_attention_kernelIthLi192ELi32ELi128ELNS_18Fp8KVCacheDataTypeE1ELb1ELi512EEEvPfS2_PT_PKS3_PKT0_S9_ifPKiSB_iPKfiiiSD_SD_iiiii, .Lfunc_end354-_ZN4vllm22paged_attention_kernelIthLi192ELi32ELi128ELNS_18Fp8KVCacheDataTypeE1ELb1ELi512EEEvPfS2_PT_PKS3_PKT0_S9_ifPKiSB_iPKfiiiSD_SD_iiiii
                                        ; -- End function
	.section	.AMDGPU.csdata,"",@progbits
; Function info:
; codeLenInByte = 125484
; NumSgprs: 35
; NumVgprs: 192
; ScratchSize: 644
; MemoryBound: 0
	.section	.text._ZN4vllm25paged_attention_v2_kernelIthLi192ELi32ELi128ELNS_18Fp8KVCacheDataTypeE1ELb1ELi512EEEvPfS2_PT_PKS3_PKT0_S9_ifPKiSB_iPKfiiiSD_SD_iiiii,"axG",@progbits,_ZN4vllm25paged_attention_v2_kernelIthLi192ELi32ELi128ELNS_18Fp8KVCacheDataTypeE1ELb1ELi512EEEvPfS2_PT_PKS3_PKT0_S9_ifPKiSB_iPKfiiiSD_SD_iiiii,comdat
	.protected	_ZN4vllm25paged_attention_v2_kernelIthLi192ELi32ELi128ELNS_18Fp8KVCacheDataTypeE1ELb1ELi512EEEvPfS2_PT_PKS3_PKT0_S9_ifPKiSB_iPKfiiiSD_SD_iiiii ; -- Begin function _ZN4vllm25paged_attention_v2_kernelIthLi192ELi32ELi128ELNS_18Fp8KVCacheDataTypeE1ELb1ELi512EEEvPfS2_PT_PKS3_PKT0_S9_ifPKiSB_iPKfiiiSD_SD_iiiii
	.globl	_ZN4vllm25paged_attention_v2_kernelIthLi192ELi32ELi128ELNS_18Fp8KVCacheDataTypeE1ELb1ELi512EEEvPfS2_PT_PKS3_PKT0_S9_ifPKiSB_iPKfiiiSD_SD_iiiii
	.p2align	8
	.type	_ZN4vllm25paged_attention_v2_kernelIthLi192ELi32ELi128ELNS_18Fp8KVCacheDataTypeE1ELb1ELi512EEEvPfS2_PT_PKS3_PKT0_S9_ifPKiSB_iPKfiiiSD_SD_iiiii,@function
_ZN4vllm25paged_attention_v2_kernelIthLi192ELi32ELi128ELNS_18Fp8KVCacheDataTypeE1ELb1ELi512EEEvPfS2_PT_PKS3_PKT0_S9_ifPKiSB_iPKfiiiSD_SD_iiiii: ; @_ZN4vllm25paged_attention_v2_kernelIthLi192ELi32ELi128ELNS_18Fp8KVCacheDataTypeE1ELb1ELi512EEEvPfS2_PT_PKS3_PKT0_S9_ifPKiSB_iPKfiiiSD_SD_iiiii
; %bb.0:
	s_mov_b32 s12, s13
	s_clause 0x7
	s_load_b128 s[4:7], s[0:1], 0x78
	s_load_b32 s8, s[0:1], 0x88
	s_load_b256 s[24:31], s[0:1], 0x0
	s_load_b256 s[36:43], s[0:1], 0x20
	s_load_b64 s[2:3], s[0:1], 0x40
	s_load_b64 s[10:11], s[0:1], 0x50
	s_load_b32 s13, s[0:1], 0x48
	s_load_b256 s[16:23], s[0:1], 0x58
	s_mov_b32 s32, 0
	v_mov_b32_e32 v31, v0
	s_waitcnt lgkmcnt(0)
	v_dual_mov_b32 v1, s7 :: v_dual_mov_b32 v2, s8
	v_dual_mov_b32 v0, s24 :: v_dual_mov_b32 v3, s27
	;; [unrolled: 1-line block ×3, first 2 shown]
	v_mov_b32_e32 v6, s30
	scratch_store_b64 off, v[1:2], s32
	v_dual_mov_b32 v1, s25 :: v_dual_mov_b32 v2, s26
	v_dual_mov_b32 v7, s31 :: v_dual_mov_b32 v8, s36
	;; [unrolled: 1-line block ×13, first 2 shown]
	s_add_u32 s8, s0, 0x90
	s_addc_u32 s9, s1, 0
	s_mov_b32 s13, s14
	s_mov_b32 s14, s15
	s_movk_i32 s15, 0x62
	s_getpc_b64 s[0:1]
	s_add_u32 s0, s0, _ZN4vllm22paged_attention_kernelIthLi192ELi32ELi128ELNS_18Fp8KVCacheDataTypeE1ELb1ELi512EEEvPfS2_PT_PKS3_PKT0_S9_ifPKiSB_iPKfiiiSD_SD_iiiii@rel32@lo+4
	s_addc_u32 s1, s1, _ZN4vllm22paged_attention_kernelIthLi192ELi32ELi128ELNS_18Fp8KVCacheDataTypeE1ELb1ELi512EEEvPfS2_PT_PKS3_PKT0_S9_ifPKiSB_iPKfiiiSD_SD_iiiii@rel32@hi+12
	s_delay_alu instid0(SALU_CYCLE_1)
	s_swappc_b64 s[30:31], s[0:1]
	s_endpgm
	.section	.rodata,"a",@progbits
	.p2align	6, 0x0
	.amdhsa_kernel _ZN4vllm25paged_attention_v2_kernelIthLi192ELi32ELi128ELNS_18Fp8KVCacheDataTypeE1ELb1ELi512EEEvPfS2_PT_PKS3_PKT0_S9_ifPKiSB_iPKfiiiSD_SD_iiiii
		.amdhsa_group_segment_fixed_size 416
		.amdhsa_private_segment_fixed_size 644
		.amdhsa_kernarg_size 400
		.amdhsa_user_sgpr_count 13
		.amdhsa_user_sgpr_dispatch_ptr 0
		.amdhsa_user_sgpr_queue_ptr 0
		.amdhsa_user_sgpr_kernarg_segment_ptr 1
		.amdhsa_user_sgpr_dispatch_id 0
		.amdhsa_user_sgpr_private_segment_size 0
		.amdhsa_wavefront_size32 1
		.amdhsa_uses_dynamic_stack 0
		.amdhsa_enable_private_segment 1
		.amdhsa_system_sgpr_workgroup_id_x 1
		.amdhsa_system_sgpr_workgroup_id_y 1
		.amdhsa_system_sgpr_workgroup_id_z 1
		.amdhsa_system_sgpr_workgroup_info 0
		.amdhsa_system_vgpr_workitem_id 0
		.amdhsa_next_free_vgpr 192
		.amdhsa_next_free_sgpr 44
		.amdhsa_reserve_vcc 1
		.amdhsa_float_round_mode_32 0
		.amdhsa_float_round_mode_16_64 0
		.amdhsa_float_denorm_mode_32 3
		.amdhsa_float_denorm_mode_16_64 3
		.amdhsa_dx10_clamp 1
		.amdhsa_ieee_mode 1
		.amdhsa_fp16_overflow 0
		.amdhsa_workgroup_processor_mode 1
		.amdhsa_memory_ordered 1
		.amdhsa_forward_progress 0
		.amdhsa_shared_vgpr_count 0
		.amdhsa_exception_fp_ieee_invalid_op 0
		.amdhsa_exception_fp_denorm_src 0
		.amdhsa_exception_fp_ieee_div_zero 0
		.amdhsa_exception_fp_ieee_overflow 0
		.amdhsa_exception_fp_ieee_underflow 0
		.amdhsa_exception_fp_ieee_inexact 0
		.amdhsa_exception_int_div_zero 0
	.end_amdhsa_kernel
	.section	.text._ZN4vllm25paged_attention_v2_kernelIthLi192ELi32ELi128ELNS_18Fp8KVCacheDataTypeE1ELb1ELi512EEEvPfS2_PT_PKS3_PKT0_S9_ifPKiSB_iPKfiiiSD_SD_iiiii,"axG",@progbits,_ZN4vllm25paged_attention_v2_kernelIthLi192ELi32ELi128ELNS_18Fp8KVCacheDataTypeE1ELb1ELi512EEEvPfS2_PT_PKS3_PKT0_S9_ifPKiSB_iPKfiiiSD_SD_iiiii,comdat
.Lfunc_end355:
	.size	_ZN4vllm25paged_attention_v2_kernelIthLi192ELi32ELi128ELNS_18Fp8KVCacheDataTypeE1ELb1ELi512EEEvPfS2_PT_PKS3_PKT0_S9_ifPKiSB_iPKfiiiSD_SD_iiiii, .Lfunc_end355-_ZN4vllm25paged_attention_v2_kernelIthLi192ELi32ELi128ELNS_18Fp8KVCacheDataTypeE1ELb1ELi512EEEvPfS2_PT_PKS3_PKT0_S9_ifPKiSB_iPKfiiiSD_SD_iiiii
                                        ; -- End function
	.section	.AMDGPU.csdata,"",@progbits
; Kernel info:
; codeLenInByte = 280
; NumSgprs: 46
; NumVgprs: 192
; ScratchSize: 644
; MemoryBound: 0
; FloatMode: 240
; IeeeMode: 1
; LDSByteSize: 416 bytes/workgroup (compile time only)
; SGPRBlocks: 5
; VGPRBlocks: 23
; NumSGPRsForWavesPerEU: 46
; NumVGPRsForWavesPerEU: 192
; Occupancy: 8
; WaveLimiterHint : 1
; COMPUTE_PGM_RSRC2:SCRATCH_EN: 1
; COMPUTE_PGM_RSRC2:USER_SGPR: 13
; COMPUTE_PGM_RSRC2:TRAP_HANDLER: 0
; COMPUTE_PGM_RSRC2:TGID_X_EN: 1
; COMPUTE_PGM_RSRC2:TGID_Y_EN: 1
; COMPUTE_PGM_RSRC2:TGID_Z_EN: 1
; COMPUTE_PGM_RSRC2:TIDIG_COMP_CNT: 0
	.text
	.p2align	2                               ; -- Begin function _ZN4vllm22paged_attention_kernelIthLi256ELi32ELi128ELNS_18Fp8KVCacheDataTypeE1ELb1ELi512EEEvPfS2_PT_PKS3_PKT0_S9_ifPKiSB_iPKfiiiSD_SD_iiiii
	.type	_ZN4vllm22paged_attention_kernelIthLi256ELi32ELi128ELNS_18Fp8KVCacheDataTypeE1ELb1ELi512EEEvPfS2_PT_PKS3_PKT0_S9_ifPKiSB_iPKfiiiSD_SD_iiiii,@function
_ZN4vllm22paged_attention_kernelIthLi256ELi32ELi128ELNS_18Fp8KVCacheDataTypeE1ELb1ELi512EEEvPfS2_PT_PKS3_PKT0_S9_ifPKiSB_iPKfiiiSD_SD_iiiii: ; @_ZN4vllm22paged_attention_kernelIthLi256ELi32ELi128ELNS_18Fp8KVCacheDataTypeE1ELb1ELi512EEEvPfS2_PT_PKS3_PKT0_S9_ifPKiSB_iPKfiiiSD_SD_iiiii
; %bb.0:
	s_waitcnt vmcnt(0) expcnt(0) lgkmcnt(0)
	s_clause 0x1f
	scratch_store_b32 off, v40, s32 offset:324
	; meta instruction
	scratch_store_b32 off, v41, s32 offset:320
	; meta instruction
	;; [unrolled: 2-line block ×31, first 2 shown]
	scratch_store_b32 off, v95, s32 offset:200
	s_clause 0x1f
	scratch_store_b32 off, v104, s32 offset:196
	; meta instruction
	scratch_store_b32 off, v105, s32 offset:192
	; meta instruction
	;; [unrolled: 2-line block ×31, first 2 shown]
	scratch_store_b32 off, v159, s32 offset:72
	s_clause 0xf
	scratch_store_b32 off, v168, s32 offset:68
	; meta instruction
	scratch_store_b32 off, v169, s32 offset:64
	; meta instruction
	;; [unrolled: 2-line block ×15, first 2 shown]
	scratch_store_b32 off, v191, s32 offset:8
	s_mov_b32 s6, s13
	s_ashr_i32 s7, s13, 31
	s_clause 0x2
	scratch_store_b64 off, v[24:25], s32 offset:1040
	scratch_store_b32 off, v22, s32 offset:688
	scratch_store_b32 off, v13, s32 offset:1048
	s_lshl_b64 s[0:1], s[6:7], 2
	v_dual_mov_b32 v22, v10 :: v_dual_mov_b32 v25, v0
	v_add_co_u32 v0, vcc_lo, v16, s0
	v_mov_b32_e32 v24, v1
	v_add_co_ci_u32_e32 v1, vcc_lo, s1, v17, vcc_lo
	s_clause 0x1
	scratch_store_b32 off, v5, s32 offset:1076
	scratch_store_b32 off, v4, s32 offset:1080
	v_dual_mov_b32 v32, v3 :: v_dual_mov_b32 v33, v2
	flat_load_b32 v2, v[0:1]
	s_clause 0x1
	scratch_load_b32 v0, off, s32 offset:4
	scratch_load_b32 v1, off, s32
	s_lshl_b32 s3, s14, 9
	s_mov_b32 s20, exec_lo
	s_waitcnt vmcnt(2) lgkmcnt(0)
	scratch_store_b32 off, v2, s32 offset:520 ; 4-byte Folded Spill
	v_cmpx_lt_i32_e64 s3, v2
	s_cbranch_execnz .LBB356_1
; %bb.4147:
	s_getpc_b64 s[26:27]
.Lpost_getpc2:
	s_add_u32 s26, s26, (.LBB356_4146-.Lpost_getpc2)&4294967295
	s_addc_u32 s27, s27, (.LBB356_4146-.Lpost_getpc2)>>32
	s_setpc_b64 s[26:27]
.LBB356_1:
	v_sub_nc_u32_e32 v2, 0, v12
	s_clause 0x1
	s_load_b32 s0, s[8:9], 0x10
	s_load_b32 s1, s[8:9], 0x0
	s_mov_b32 s4, s15
	v_max_i32_e32 v2, v12, v2
	s_delay_alu instid0(VALU_DEP_1) | instskip(SKIP_1) | instid1(VALU_DEP_2)
	v_cvt_f32_u32_e32 v3, v2
	v_sub_nc_u32_e32 v4, 0, v2
	v_rcp_iflag_f32_e32 v3, v3
	s_waitcnt lgkmcnt(0)
	s_lshr_b32 s0, s0, 16
	s_delay_alu instid0(SALU_CYCLE_1)
	s_cmp_lg_u32 s0, 0
	s_cselect_b32 s0, -1, 0
	s_waitcnt_depctr 0xfff
	v_mul_f32_e32 v3, 0x4f7ffffe, v3
	s_cmp_lg_u32 s0, 0
	s_addc_u32 s7, s1, 0
	s_mov_b32 s1, exec_lo
	s_delay_alu instid0(VALU_DEP_1) | instskip(SKIP_1) | instid1(VALU_DEP_1)
	v_cvt_u32_f32_e32 v3, v3
	s_abs_i32 s0, s7
	v_mul_lo_u32 v4, v4, v3
	s_delay_alu instid0(VALU_DEP_1) | instskip(NEXT) | instid1(VALU_DEP_1)
	v_mul_hi_u32 v4, v3, v4
	v_add_nc_u32_e32 v3, v3, v4
	s_delay_alu instid0(VALU_DEP_1) | instskip(NEXT) | instid1(VALU_DEP_1)
	v_mul_hi_u32 v3, s0, v3
	v_mul_lo_u32 v4, v3, v2
	v_add_nc_u32_e32 v5, 1, v3
	s_delay_alu instid0(VALU_DEP_2) | instskip(SKIP_1) | instid1(VALU_DEP_1)
	v_sub_nc_u32_e32 v4, s0, v4
	s_abs_i32 s0, s12
	v_sub_nc_u32_e32 v10, v4, v2
	v_cmp_ge_u32_e32 vcc_lo, v4, v2
	s_delay_alu instid0(VALU_DEP_2) | instskip(SKIP_1) | instid1(VALU_DEP_2)
	v_dual_cndmask_b32 v3, v3, v5 :: v_dual_cndmask_b32 v4, v4, v10
	v_xor_b32_e32 v5, s7, v12
	v_add_nc_u32_e32 v10, 1, v3
	s_delay_alu instid0(VALU_DEP_3) | instskip(NEXT) | instid1(VALU_DEP_3)
	v_cmp_ge_u32_e32 vcc_lo, v4, v2
	v_ashrrev_i32_e32 v5, 31, v5
	s_delay_alu instid0(VALU_DEP_3) | instskip(NEXT) | instid1(VALU_DEP_1)
	v_cndmask_b32_e32 v2, v3, v10, vcc_lo
	v_xor_b32_e32 v2, v2, v5
	s_delay_alu instid0(VALU_DEP_1) | instskip(NEXT) | instid1(VALU_DEP_1)
	v_sub_nc_u32_e32 v3, v2, v5
	v_sub_nc_u32_e32 v2, 0, v3
	s_delay_alu instid0(VALU_DEP_1) | instskip(NEXT) | instid1(VALU_DEP_1)
	v_max_i32_e32 v2, v3, v2
	v_cvt_f32_u32_e32 v4, v2
	v_sub_nc_u32_e32 v5, 0, v2
	s_delay_alu instid0(VALU_DEP_2) | instskip(SKIP_2) | instid1(VALU_DEP_1)
	v_rcp_iflag_f32_e32 v4, v4
	s_waitcnt_depctr 0xfff
	v_mul_f32_e32 v4, 0x4f7ffffe, v4
	v_cvt_u32_f32_e32 v4, v4
	s_delay_alu instid0(VALU_DEP_1) | instskip(NEXT) | instid1(VALU_DEP_1)
	v_mul_lo_u32 v5, v5, v4
	v_mul_hi_u32 v5, v4, v5
	s_delay_alu instid0(VALU_DEP_1) | instskip(NEXT) | instid1(VALU_DEP_1)
	v_add_nc_u32_e32 v4, v4, v5
	v_mad_u64_u32 v[16:17], null, s0, v4, 0
	v_mov_b32_e32 v4, 0
	scratch_store_b32 off, v4, s32 offset:1052 ; 4-byte Folded Spill
	v_cmpx_ne_u64_e32 0, v[19:20]
	s_cbranch_execz .LBB356_3
; %bb.2:
	s_ashr_i32 s13, s12, 31
	s_delay_alu instid0(SALU_CYCLE_1) | instskip(NEXT) | instid1(SALU_CYCLE_1)
	s_lshl_b64 s[10:11], s[12:13], 2
	v_add_co_u32 v4, vcc_lo, v19, s10
	v_add_co_ci_u32_e32 v5, vcc_lo, s11, v20, vcc_lo
	flat_load_b32 v4, v[4:5]
	s_waitcnt vmcnt(0) lgkmcnt(0)
	scratch_store_b32 off, v4, s32 offset:1052 ; 4-byte Folded Spill
.LBB356_3:
	s_or_b32 exec_lo, exec_lo, s1
	v_and_b32_e32 v4, 0x3ff, v31
	v_ashrrev_i32_e32 v3, 31, v3
	s_ashr_i32 s1, s12, 31
	s_lshl_b32 s10, s12, 8
	s_mov_b32 s2, exec_lo
	scratch_store_b32 off, v4, s32 offset:1056 ; 4-byte Folded Spill
	v_cmpx_gt_u32_e32 32, v4
	s_cbranch_execz .LBB356_5
; %bb.4:
	scratch_load_b32 v10, off, s32 offset:1056 ; 4-byte Folded Reload
	v_mul_lo_u32 v4, s6, v21
	s_ashr_i32 s11, s10, 31
	s_delay_alu instid0(SALU_CYCLE_1) | instskip(NEXT) | instid1(VALU_DEP_1)
	s_lshl_b64 s[16:17], s[10:11], 1
	v_ashrrev_i32_e32 v5, 31, v4
	s_delay_alu instid0(VALU_DEP_1) | instskip(NEXT) | instid1(VALU_DEP_1)
	v_lshlrev_b64 v[4:5], 1, v[4:5]
	v_add_co_u32 v4, vcc_lo, v6, v4
	s_delay_alu instid0(VALU_DEP_2) | instskip(NEXT) | instid1(VALU_DEP_2)
	v_add_co_ci_u32_e32 v5, vcc_lo, v7, v5, vcc_lo
	v_add_co_u32 v4, vcc_lo, v4, s16
	s_delay_alu instid0(VALU_DEP_2) | instskip(SKIP_2) | instid1(VALU_DEP_1)
	v_add_co_ci_u32_e32 v5, vcc_lo, s17, v5, vcc_lo
	s_waitcnt vmcnt(0)
	v_lshlrev_b32_e32 v10, 4, v10
	v_add_co_u32 v4, vcc_lo, v4, v10
	s_delay_alu instid0(VALU_DEP_3)
	v_add_co_ci_u32_e32 v5, vcc_lo, 0, v5, vcc_lo
	flat_load_b128 v[4:7], v[4:5]
	s_waitcnt vmcnt(0) lgkmcnt(0)
	ds_store_b128 v10, v[4:7]
.LBB356_5:
	s_or_b32 exec_lo, exec_lo, s2
	s_waitcnt vmcnt(0)
	v_sub_nc_u32_e32 v4, 0, v1
	v_mul_lo_u32 v5, v17, v2
	v_xor_b32_e32 v3, s1, v3
	s_delay_alu instid0(VALU_DEP_3) | instskip(NEXT) | instid1(VALU_DEP_3)
	v_max_i32_e32 v7, v1, v4
	v_sub_nc_u32_e32 v5, s0, v5
	s_delay_alu instid0(VALU_DEP_2) | instskip(SKIP_1) | instid1(VALU_DEP_2)
	v_cvt_f32_u32_e32 v4, v7
	s_mov_b32 s0, exec_lo
	v_sub_nc_u32_e32 v10, v5, v2
	s_delay_alu instid0(VALU_DEP_2) | instskip(SKIP_3) | instid1(VALU_DEP_1)
	v_rcp_iflag_f32_e32 v4, v4
	v_cmp_ge_u32_e32 vcc_lo, v5, v2
	s_waitcnt_depctr 0xfff
	v_mul_f32_e32 v4, 0x4f7ffffe, v4
	v_cvt_u32_f32_e32 v6, v4
	v_sub_nc_u32_e32 v4, 0, v7
	s_delay_alu instid0(VALU_DEP_1) | instskip(SKIP_2) | instid1(VALU_DEP_1)
	v_mul_lo_u32 v13, v4, v6
	scratch_load_b32 v4, off, s32 offset:520 ; 4-byte Folded Reload
	v_mul_hi_u32 v16, v6, v13
	v_add_nc_u32_e32 v6, v6, v16
	scratch_store_b32 off, v7, s32 offset:336 ; 4-byte Folded Spill
	v_add_nc_u32_e32 v7, 1, v17
	scratch_store_b32 off, v6, s32 offset:356 ; 4-byte Folded Spill
	s_waitcnt vmcnt(0) lgkmcnt(0)
	s_waitcnt_vscnt null, 0x0
	v_cndmask_b32_e32 v7, v17, v7, vcc_lo
	s_barrier
	buffer_gl0_inv
	v_dual_cndmask_b32 v5, v5, v10 :: v_dual_add_nc_u32 v4, -1, v4
	v_add_nc_u32_e32 v10, 1, v7
	s_delay_alu instid0(VALU_DEP_2) | instskip(NEXT) | instid1(VALU_DEP_3)
	v_sub_nc_u32_e32 v13, 0, v4
	v_cmp_ge_u32_e32 vcc_lo, v5, v2
	s_delay_alu instid0(VALU_DEP_2) | instskip(NEXT) | instid1(VALU_DEP_4)
	v_max_i32_e32 v2, v4, v13
	v_cndmask_b32_e32 v5, v7, v10, vcc_lo
	s_delay_alu instid0(VALU_DEP_2) | instskip(NEXT) | instid1(VALU_DEP_2)
	v_mad_u64_u32 v[16:17], null, v2, v6, 0
	v_xor_b32_e32 v5, v5, v3
	s_delay_alu instid0(VALU_DEP_1)
	v_sub_nc_u32_e32 v16, v5, v3
                                        ; implicit-def: $vgpr3
	scratch_store_b64 off, v[3:4], s32 offset:340 ; 8-byte Folded Spill
	v_cmpx_gt_i32_e32 0, v0
	s_xor_b32 s0, exec_lo, s0
	s_cbranch_execz .LBB356_7
; %bb.6:
	v_mad_u64_u32 v[5:6], null, v28, v12, v[16:17]
                                        ; implicit-def: $vgpr28
	s_delay_alu instid0(VALU_DEP_1) | instskip(NEXT) | instid1(VALU_DEP_1)
	v_mul_lo_u32 v0, v5, v0
	v_sub_nc_u32_e32 v0, 1, v0
	scratch_store_b64 off, v[0:1], s32 offset:340 ; 8-byte Folded Spill
                                        ; implicit-def: $vgpr0
.LBB356_7:
	s_or_saveexec_b32 s0, s0
	v_ashrrev_i32_e32 v3, 31, v4
	v_ashrrev_i32_e32 v1, 31, v1
	scratch_store_b32 off, v1, s32 offset:348 ; 4-byte Folded Spill
	s_xor_b32 exec_lo, exec_lo, s0
	s_cbranch_execz .LBB356_9
; %bb.8:
	v_mad_u64_u32 v[4:5], null, s7, v28, s[12:13]
	s_delay_alu instid0(VALU_DEP_1)
	v_mad_u64_u32 v[5:6], null, v4, v0, 1
	scratch_store_b64 off, v[5:6], s32 offset:340 ; 8-byte Folded Spill
.LBB356_9:
	s_or_b32 exec_lo, exec_lo, s0
	scratch_load_b32 v12, off, s32 offset:336 ; 4-byte Folded Reload
	s_clause 0x1
	s_load_b32 s15, s[8:9], 0x14
	s_load_b32 s11, s[8:9], 0x8
	s_clause 0x2
	scratch_load_b32 v1, off, s32 offset:520
	scratch_load_b32 v7, off, s32 offset:1056
	;; [unrolled: 1-line block ×3, first 2 shown]
	v_add_nc_u32_e32 v4, 1, v17
	s_lshl_b32 s13, s14, 4
	v_mul_lo_u32 v13, v16, v23
	s_add_i32 s0, s13, 16
	s_waitcnt vmcnt(3)
	v_mul_lo_u32 v0, v17, v12
	s_waitcnt vmcnt(1)
	v_lshrrev_b32_e32 v10, 5, v7
	s_waitcnt vmcnt(0)
	v_xor_b32_e32 v3, v3, v5
	v_and_b32_e32 v7, 31, v7
	s_delay_alu instid0(VALU_DEP_4)
	v_sub_nc_u32_e32 v2, v2, v0
	v_mul_lo_u32 v0, s6, v18
	v_sub_nc_u32_e32 v18, 0, v30
	scratch_store_b32 off, v10, s32 offset:1072 ; 4-byte Folded Spill
	v_lshlrev_b32_e32 v19, 2, v7
	v_cmp_ge_u32_e32 vcc_lo, v2, v12
	v_add_nc_u32_e32 v1, 31, v1
	v_sub_nc_u32_e32 v6, v2, v12
	v_cndmask_b32_e32 v4, v17, v4, vcc_lo
	s_delay_alu instid0(VALU_DEP_3) | instskip(NEXT) | instid1(VALU_DEP_3)
	v_ashrrev_i32_e32 v5, 31, v1
	v_cndmask_b32_e32 v2, v2, v6, vcc_lo
	s_delay_alu instid0(VALU_DEP_3) | instskip(NEXT) | instid1(VALU_DEP_3)
	v_add_nc_u32_e32 v6, 1, v4
	v_lshrrev_b32_e32 v5, 27, v5
	s_delay_alu instid0(VALU_DEP_3) | instskip(SKIP_2) | instid1(VALU_DEP_4)
	v_cmp_ge_u32_e32 vcc_lo, v2, v12
	v_mov_b32_e32 v20, 0xff7fffff
	v_lshl_add_u32 v12, v10, 5, s3
	v_dual_cndmask_b32 v2, v4, v6 :: v_dual_add_nc_u32 v1, v1, v5
	v_add_nc_u32_e32 v4, s13, v10
	v_ashrrev_i32_e32 v10, 31, v13
	s_delay_alu instid0(VALU_DEP_3) | instskip(SKIP_3) | instid1(VALU_DEP_4)
	v_ashrrev_i32_e32 v17, 5, v1
	v_ashrrev_i32_e32 v1, 31, v0
	v_xor_b32_e32 v2, v2, v3
	v_ashrrev_i32_e32 v5, 31, v4
	v_min_i32_e32 v6, s0, v17
	s_delay_alu instid0(VALU_DEP_4) | instskip(NEXT) | instid1(VALU_DEP_4)
	v_lshlrev_b64 v[0:1], 2, v[0:1]
	v_sub_nc_u32_e32 v2, v2, v3
	s_clause 0x2
	scratch_store_b64 off, v[0:1], s32 offset:1084
	scratch_store_b64 off, v[4:5], s32 offset:328
	scratch_store_b32 off, v6, s32 offset:352
	v_cmp_lt_i32_e64 s0, v4, v6
	v_sub_nc_u32_e32 v0, v2, v29
	s_clause 0x1
	scratch_store_b32 off, v0, s32 offset:360
	scratch_store_b32 off, v7, s32 offset:1036
	s_and_saveexec_b32 s18, s0
	s_cbranch_execz .LBB356_2065
; %bb.10:
	s_clause 0x9
	scratch_store_b32 off, v17, s32 offset:1136
	scratch_store_b32 off, v33, s32 offset:1128
	;; [unrolled: 1-line block ×10, first 2 shown]
	v_max_i32_e32 v12, v30, v18
	scratch_load_b32 v7, off, s32 offset:1036 ; 4-byte Folded Reload
	v_add_co_u32 v3, vcc_lo, v8, v13
	scratch_store_b32 off, v10, s32 offset:1144 ; 4-byte Folded Spill
	v_cvt_f32_u32_e32 v0, v12
	v_add_co_ci_u32_e32 v4, vcc_lo, v9, v10, vcc_lo
	s_clause 0x1
	scratch_load_b64 v[10:11], off, s32 offset:328
	scratch_load_b32 v6, off, s32 offset:1072
	v_rcp_iflag_f32_e32 v2, v0
	scratch_load_b32 v0, off, s32 offset:1052 ; 4-byte Folded Reload
	s_ashr_i32 s5, s4, 31
	s_getpc_b64 s[16:17]
	s_add_u32 s16, s16, llvm.amdgcn.dynlds.offset.table@rel32@lo+4
	s_addc_u32 s17, s17, llvm.amdgcn.dynlds.offset.table@rel32@hi+12
	s_lshl_b64 s[22:23], s[4:5], 2
	v_mov_b32_e32 v20, 0xff7fffff
	s_add_u32 s16, s22, s16
	s_addc_u32 s17, s23, s17
	s_mov_b32 s8, -1
	s_load_b32 s5, s[16:17], 0x0
	s_mov_b32 s9, 0xffffff
	s_mov_b32 s19, 0
	v_mov_b32_e32 v8, 0
	scratch_store_b32 off, v19, s32 offset:1148 ; 4-byte Folded Spill
	s_waitcnt vmcnt(1)
	v_lshl_add_u32 v9, v6, 5, s3
	v_lshl_or_b32 v155, v6, 7, v19
	scratch_load_b32 v6, off, s32 offset:520 ; 4-byte Folded Reload
	v_dual_mul_f32 v2, 0x4f7ffffe, v2 :: v_dual_lshlrev_b32 v5, 4, v7
	v_mov_b32_e32 v81, v10
	s_waitcnt vmcnt(1)
	v_cmp_neq_f32_e32 vcc_lo, 0, v0
	v_lshlrev_b64 v[0:1], 2, v[10:11]
	v_add_co_u32 v3, s1, v3, v5
	s_delay_alu instid0(VALU_DEP_1)
	v_add_co_ci_u32_e64 v4, s1, 0, v4, s1
	s_clause 0x1
	scratch_store_b32 off, v12, s32 offset:692
	scratch_store_b32 off, v13, s32 offset:1132
	v_cvt_u32_f32_e32 v2, v2
	scratch_store_b64 off, v[3:4], s32 offset:1060 ; 8-byte Folded Spill
	scratch_load_b64 v[4:5], off, s32 offset:1084 ; 8-byte Folded Reload
	s_waitcnt vmcnt(1)
	v_sub_nc_u32_e32 v6, v7, v6
	v_sub_nc_u32_e32 v7, 0, v12
	s_delay_alu instid0(VALU_DEP_1) | instskip(SKIP_2) | instid1(VALU_DEP_2)
	v_mul_lo_u32 v7, v7, v2
	s_waitcnt vmcnt(0)
	v_add_co_u32 v0, s1, v4, v0
	v_mul_hi_u32 v3, v2, v7
	v_add_co_ci_u32_e64 v1, s1, v5, v1, s1
	s_delay_alu instid0(VALU_DEP_3) | instskip(SKIP_1) | instid1(VALU_DEP_3)
	v_add_co_u32 v28, s1, v14, v0
	v_add_nc_u32_e32 v4, 1, v6
	v_add_co_ci_u32_e64 v29, s1, v15, v1, s1
	v_add_nc_u32_e32 v0, v2, v3
	s_clause 0x3
	scratch_store_b32 off, v4, s32 offset:1068
	scratch_store_b32 off, v14, s32 offset:1100
	;; [unrolled: 1-line block ×4, first 2 shown]
	s_branch .LBB356_16
.LBB356_11:                             ;   in Loop: Header=BB356_16 Depth=1
	s_or_b32 exec_lo, exec_lo, s24
	v_lshlrev_b32_e32 v7, 8, v33
	v_lshl_add_u32 v14, v14, 10, 0x2000
	s_delay_alu instid0(VALU_DEP_1) | instskip(NEXT) | instid1(VALU_DEP_1)
	v_and_or_b32 v7, 0x8000, v7, v14
	v_lshl_or_b32 v7, v31, 7, v7
	s_delay_alu instid0(VALU_DEP_1)
	v_cvt_f32_f16_e32 v14, v7
.LBB356_12:                             ;   in Loop: Header=BB356_16 Depth=1
	s_or_b32 exec_lo, exec_lo, s23
.LBB356_13:                             ;   in Loop: Header=BB356_16 Depth=1
	s_delay_alu instid0(SALU_CYCLE_1)
	s_or_b32 exec_lo, exec_lo, s22
.LBB356_14:                             ;   in Loop: Header=BB356_16 Depth=1
	s_delay_alu instid0(SALU_CYCLE_1)
	s_or_b32 exec_lo, exec_lo, s21
	v_fma_mixlo_f16 v7, v82, v77, 0
	v_fma_mixlo_f16 v1, v82, v1, 0
	v_fma_mixlo_f16 v32, v82, v175, 0
	v_fma_mixlo_f16 v175, v82, v158, 0
	v_fma_mixlo_f16 v158, v82, v159, 0
	s_clause 0x1
	scratch_store_b32 off, v7, s32 offset:720
	scratch_store_b32 off, v1, s32 offset:756
	v_fma_mixlo_f16 v7, v82, v76, 0
	v_fma_mixlo_f16 v1, v82, v99, 0
	v_fma_mixlo_f16 v159, v82, v141, 0
	v_fma_mixlo_f16 v141, v82, v152, 0
	v_fma_mixlo_f16 v152, v82, v125, 0
	s_clause 0x1
	scratch_store_b32 off, v7, s32 offset:724
	scratch_store_b32 off, v1, s32 offset:760
	;; [unrolled: 8-line block ×3, first 2 shown]
	v_fma_mixlo_f16 v7, v82, v145, 0
	v_fma_mixlo_f16 v1, v82, v113, 0
	;; [unrolled: 1-line block ×5, first 2 shown]
	scratch_store_b32 off, v7, s32 offset:732 ; 4-byte Folded Spill
	v_fma_mixlo_f16 v7, v82, v90, 0
	scratch_store_b32 off, v1, s32 offset:744 ; 4-byte Folded Spill
	v_fma_mixlo_f16 v1, v82, v112, 0
	v_fma_mixlo_f16 v168, v82, v142, 0
	v_fma_mixlo_f16 v142, v82, v143, 0
	scratch_store_b32 off, v7, s32 offset:712 ; 4-byte Folded Spill
	v_fma_mixlo_f16 v7, v82, v89, 0
	scratch_store_b32 off, v1, s32 offset:748 ; 4-byte Folded Spill
	v_fma_mixlo_f16 v1, v82, v119, 0
	v_fma_mixlo_f16 v143, v82, v126, 0
	v_fma_mixlo_f16 v126, v82, v127, 0
	scratch_store_b32 off, v7, s32 offset:716 ; 4-byte Folded Spill
	v_fma_mixlo_f16 v7, v82, v35, 0
	scratch_store_b32 off, v1, s32 offset:740 ; 4-byte Folded Spill
	v_fma_mixlo_f16 v1, v82, v118, 0
	v_fma_mixlo_f16 v127, v82, v110, 0
	v_fma_mixlo_f16 v110, v82, v120, 0
	scratch_store_b32 off, v7, s32 offset:708 ; 4-byte Folded Spill
	v_fma_mixlo_f16 v7, v82, v91, 0
	scratch_store_b32 off, v1, s32 offset:736 ; 4-byte Folded Spill
	v_fma_mixlo_f16 v1, v82, v65, 0
	v_fma_mixlo_f16 v34, v82, v186, 0
	v_fma_mixlo_f16 v186, v82, v107, 0
	scratch_store_b32 off, v7, s32 offset:704 ; 4-byte Folded Spill
	v_fma_mixlo_f16 v7, v82, v100, 0
	scratch_store_b32 off, v1, s32 offset:784 ; 4-byte Folded Spill
	v_fma_mixlo_f16 v1, v82, v52, 0
	v_fma_mixlo_f16 v37, v82, v37, 0
	v_fma_mixlo_f16 v15, v82, v15, 0
	scratch_store_b32 off, v7, s32 offset:752 ; 4-byte Folded Spill
	v_fma_mixlo_f16 v7, v82, v190, 0
	scratch_store_b32 off, v1, s32 offset:788 ; 4-byte Folded Spill
	v_fma_mixlo_f16 v1, v82, v25, 0
	v_fma_mixlo_f16 v19, v82, v19, 0
	v_fma_mixlo_f16 v18, v82, v18, 0
	v_fma_mixlo_f16 v31, v82, v105, 0
	v_fma_mixlo_f16 v35, v82, v185, 0
	scratch_store_b32 off, v1, s32 offset:792 ; 4-byte Folded Spill
	v_fma_mixlo_f16 v1, v82, v17, 0
	v_fma_mixlo_f16 v17, v82, v182, 0
	v_fma_mixlo_f16 v185, v82, v156, 0
	v_fma_mixlo_f16 v156, v82, v170, 0
	v_fma_mixlo_f16 v170, v82, v139, 0
	scratch_store_b32 off, v1, s32 offset:796 ; 4-byte Folded Spill
	v_fma_mixlo_f16 v1, v82, v83, 0
	v_fma_mixlo_f16 v139, v82, v153, 0
	v_fma_mixlo_f16 v153, v82, v124, 0
	;; [unrolled: 6-line block ×3, first 2 shown]
	v_fma_mixlo_f16 v105, v82, v171, 0
	v_fma_mixlo_f16 v64, v82, v64, 0
	scratch_store_b32 off, v1, s32 offset:780 ; 4-byte Folded Spill
	v_fma_mixlo_f16 v1, v82, v97, 0
	s_waitcnt vmcnt(0)
	v_fma_mixlo_f16 v171, v82, v191, 0
	s_load_b32 s21, s[16:17], 0x0
	v_and_b32_e32 v189, 0xffff, v189
	scratch_store_b32 off, v1, s32 offset:772 ; 4-byte Folded Spill
	v_fma_mixlo_f16 v1, v82, v84, 0
	scratch_store_b32 off, v1, s32 offset:768 ; 4-byte Folded Spill
	v_fma_mixlo_f16 v1, v82, v21, 0
	;; [unrolled: 2-line block ×4, first 2 shown]
	v_fma_mixlo_f16 v103, v82, v79, 0
	scratch_store_b32 off, v1, s32 offset:824 ; 4-byte Folded Spill
	v_fma_mixlo_f16 v1, v82, v16, 0
	scratch_store_b32 off, v1, s32 offset:828 ; 4-byte Folded Spill
	;; [unrolled: 2-line block ×3, first 2 shown]
	v_fma_mixlo_f16 v1, v82, v22, 0
	v_fma_mixlo_f16 v22, v82, v104, 0
	;; [unrolled: 1-line block ×3, first 2 shown]
	scratch_store_b32 off, v1, s32 offset:812 ; 4-byte Folded Spill
	v_fma_mixlo_f16 v1, v82, v23, 0
	scratch_store_b32 off, v1, s32 offset:804 ; 4-byte Folded Spill
	v_fma_mixlo_f16 v1, v82, v6, 0
	v_fma_mixlo_f16 v6, v82, v169, 0
	v_fma_mixlo_f16 v169, v82, v140, 0
	v_fma_mixlo_f16 v140, v82, v154, 0
	v_fma_mixlo_f16 v154, v82, v123, 0
	scratch_store_b32 off, v1, s32 offset:800 ; 4-byte Folded Spill
	v_fma_mixlo_f16 v1, v82, v134, 0
	v_fma_mixlo_f16 v123, v82, v137, 0
	;; [unrolled: 1-line block ×5, first 2 shown]
	scratch_store_b32 off, v1, s32 offset:848 ; 4-byte Folded Spill
	v_fma_mixlo_f16 v1, v82, v133, 0
	v_fma_mixlo_f16 v133, v82, v144, 0
	scratch_store_b32 off, v1, s32 offset:852 ; 4-byte Folded Spill
	v_fma_mixlo_f16 v1, v82, v132, 0
	v_fma_mixlo_f16 v132, v82, v106, 0
	;; [unrolled: 1-line block ×3, first 2 shown]
	scratch_store_b32 off, v1, s32 offset:856 ; 4-byte Folded Spill
	v_fma_mixlo_f16 v1, v82, v131, 0
	v_fma_mixlo_f16 v131, v82, v88, 0
	scratch_store_b32 off, v1, s32 offset:860 ; 4-byte Folded Spill
	v_fma_mixlo_f16 v1, v82, v163, 0
	v_fma_mixlo_f16 v163, v82, v48, 0
	scratch_store_b32 off, v1, s32 offset:840 ; 4-byte Folded Spill
	v_fma_mixlo_f16 v1, v82, v162, 0
	v_fma_mixlo_f16 v162, v82, v116, 0
	scratch_store_b32 off, v1, s32 offset:844 ; 4-byte Folded Spill
	v_fma_mixlo_f16 v1, v82, v165, 0
	v_fma_mixlo_f16 v165, v82, v67, 0
	scratch_store_b32 off, v1, s32 offset:836 ; 4-byte Folded Spill
	v_fma_mixlo_f16 v1, v82, v164, 0
	v_fma_mixlo_f16 v164, v82, v4, 0
	scratch_store_b32 off, v1, s32 offset:832 ; 4-byte Folded Spill
	v_fma_mixlo_f16 v1, v82, v161, 0
	v_fma_mixlo_f16 v161, v82, v115, 0
	scratch_store_b32 off, v1, s32 offset:880 ; 4-byte Folded Spill
	v_fma_mixlo_f16 v1, v82, v160, 0
	v_fma_mixlo_f16 v160, v82, v114, 0
	scratch_store_b32 off, v1, s32 offset:884 ; 4-byte Folded Spill
	v_fma_mixlo_f16 v1, v82, v149, 0
	v_fma_mixlo_f16 v149, v82, v167, 0
	v_fma_mixlo_f16 v167, v82, v172, 0
	scratch_store_b32 off, v1, s32 offset:888 ; 4-byte Folded Spill
	v_fma_mixlo_f16 v1, v82, v49, 0
	v_fma_mixlo_f16 v49, v82, v55, 0
	scratch_store_b32 off, v1, s32 offset:892 ; 4-byte Folded Spill
	v_fma_mixlo_f16 v1, v82, v183, 0
	;; [unrolled: 3-line block ×17, first 2 shown]
	v_fma_mixlo_f16 v41, v82, v0, 0
	scratch_load_b32 v0, off, s32 offset:508 ; 4-byte Folded Reload
	scratch_store_b32 off, v1, s32 offset:956 ; 4-byte Folded Spill
	v_fma_mixlo_f16 v1, v82, v62, 0
	v_fma_mixlo_f16 v62, v82, v2, 0
	scratch_store_b32 off, v1, s32 offset:936 ; 4-byte Folded Spill
	v_fma_mixlo_f16 v1, v82, v61, 0
	v_fma_mixlo_f16 v61, v82, v5, 0
	;; [unrolled: 3-line block ×4, first 2 shown]
	scratch_store_b32 off, v1, s32 offset:928 ; 4-byte Folded Spill
	v_fma_mixlo_f16 v1, v82, v43, 0
	scratch_load_b32 v43, off, s32 offset:1052 ; 4-byte Folded Reload
	scratch_store_b32 off, v1, s32 offset:976 ; 4-byte Folded Spill
	v_fma_mixlo_f16 v1, v82, v54, 0
	scratch_store_b32 off, v1, s32 offset:980 ; 4-byte Folded Spill
	v_fma_mixlo_f16 v1, v82, v180, 0
	v_fma_mixlo_f16 v180, v82, v188, 0
	scratch_store_b32 off, v1, s32 offset:984 ; 4-byte Folded Spill
	v_fma_mixlo_f16 v1, v82, v95, 0
	scratch_store_b32 off, v1, s32 offset:988 ; 4-byte Folded Spill
	v_fma_mixlo_f16 v1, v82, v60, 0
	v_fma_mixlo_f16 v60, v82, v11, 0
	scratch_store_b32 off, v1, s32 offset:968 ; 4-byte Folded Spill
	v_fma_mixlo_f16 v1, v82, v59, 0
	;; [unrolled: 3-line block ×5, first 2 shown]
	scratch_store_b32 off, v1, s32 offset:1008 ; 4-byte Folded Spill
	v_fma_mixlo_f16 v1, v82, v130, 0
	scratch_store_b32 off, v1, s32 offset:1012 ; 4-byte Folded Spill
	v_fma_mixlo_f16 v1, v82, v117, 0
	;; [unrolled: 2-line block ×6, first 2 shown]
	v_fma_mixlo_f16 v166, v82, v173, 0
	scratch_store_b32 off, v1, s32 offset:996 ; 4-byte Folded Spill
	v_fma_mixlo_f16 v1, v82, v94, 0
	scratch_store_b32 off, v1, s32 offset:992 ; 4-byte Folded Spill
	v_fma_mixlo_f16 v1, v82, v87, 0
	scratch_store_b32 off, v1, s32 offset:1032 ; 4-byte Folded Spill
	v_fma_mixlo_f16 v1, v82, v102, 0
	scratch_store_b32 off, v1, s32 offset:1028 ; 4-byte Folded Spill
	v_fma_mixlo_f16 v1, v82, v101, 0
	scratch_store_b32 off, v1, s32 offset:1024 ; 4-byte Folded Spill
	s_waitcnt vmcnt(1)
	v_fma_mixlo_f16 v20, v82, v0, 0
	scratch_load_b32 v0, off, s32 offset:676 ; 4-byte Folded Reload
	s_waitcnt vmcnt(0)
	v_fma_mixlo_f16 v83, v82, v0, 0
	scratch_load_b32 v0, off, s32 offset:504 ; 4-byte Folded Reload
	s_waitcnt vmcnt(0)
	v_fma_mixlo_f16 v21, v82, v0, 0
	scratch_load_b32 v0, off, s32 offset:672 ; 4-byte Folded Reload
	s_waitcnt vmcnt(0)
	v_fma_mixlo_f16 v24, v82, v0, 0
	scratch_load_b32 v0, off, s32 offset:512 ; 4-byte Folded Reload
	s_waitcnt vmcnt(0)
	v_fma_mixlo_f16 v122, v82, v0, 0
	scratch_load_b32 v0, off, s32 offset:680 ; 4-byte Folded Reload
	s_waitcnt vmcnt(0)
	v_fma_mixlo_f16 v16, v82, v0, 0
	scratch_load_b32 v0, off, s32 offset:684 ; 4-byte Folded Reload
	s_waitcnt vmcnt(0)
	v_fma_mixlo_f16 v121, v82, v0, 0
	scratch_load_b32 v0, off, s32 offset:516 ; 4-byte Folded Reload
	s_waitcnt vmcnt(0)
	v_fma_mixlo_f16 v120, v82, v0, 0
	scratch_load_b32 v0, off, s32 offset:492 ; 4-byte Folded Reload
	s_waitcnt vmcnt(0)
	v_fma_mixlo_f16 v101, v82, v0, 0
	scratch_load_b32 v0, off, s32 offset:660 ; 4-byte Folded Reload
	s_waitcnt vmcnt(0)
	v_fma_mixlo_f16 v115, v82, v0, 0
	scratch_load_b32 v0, off, s32 offset:488 ; 4-byte Folded Reload
	s_waitcnt vmcnt(0)
	v_fma_mixlo_f16 v116, v82, v0, 0
	scratch_load_b32 v0, off, s32 offset:656 ; 4-byte Folded Reload
	s_waitcnt vmcnt(0)
	v_fma_mixlo_f16 v117, v82, v0, 0
	scratch_load_b32 v0, off, s32 offset:496 ; 4-byte Folded Reload
	s_waitcnt vmcnt(0)
	v_fma_mixlo_f16 v99, v82, v0, 0
	scratch_load_b32 v0, off, s32 offset:664 ; 4-byte Folded Reload
	s_waitcnt vmcnt(0)
	v_fma_mixlo_f16 v100, v82, v0, 0
	scratch_load_b32 v0, off, s32 offset:668 ; 4-byte Folded Reload
	s_waitcnt vmcnt(0)
	v_fma_mixlo_f16 v98, v82, v0, 0
	scratch_load_b32 v0, off, s32 offset:500 ; 4-byte Folded Reload
	s_waitcnt vmcnt(0)
	v_fma_mixlo_f16 v97, v82, v0, 0
	scratch_load_b32 v0, off, s32 offset:476 ; 4-byte Folded Reload
	s_waitcnt vmcnt(0)
	v_fma_mixlo_f16 v84, v82, v0, 0
	scratch_load_b32 v0, off, s32 offset:644 ; 4-byte Folded Reload
	s_waitcnt vmcnt(0)
	v_fma_mixlo_f16 v65, v82, v0, 0
	scratch_load_b32 v0, off, s32 offset:472 ; 4-byte Folded Reload
	s_waitcnt vmcnt(0)
	v_fma_mixlo_f16 v112, v82, v0, 0
	scratch_load_b32 v0, off, s32 offset:640 ; 4-byte Folded Reload
	s_waitcnt vmcnt(0)
	v_fma_mixlo_f16 v102, v82, v0, 0
	scratch_load_b32 v0, off, s32 offset:480 ; 4-byte Folded Reload
	s_waitcnt vmcnt(0)
	v_fma_mixlo_f16 v148, v82, v0, 0
	scratch_load_b32 v0, off, s32 offset:648 ; 4-byte Folded Reload
	s_waitcnt vmcnt(0)
	v_fma_mixlo_f16 v23, v82, v0, 0
	scratch_load_b32 v0, off, s32 offset:652 ; 4-byte Folded Reload
	s_waitcnt vmcnt(0)
	v_fma_mixlo_f16 v147, v82, v0, 0
	scratch_load_b32 v0, off, s32 offset:484 ; 4-byte Folded Reload
	s_waitcnt vmcnt(0)
	v_fma_mixlo_f16 v118, v82, v0, 0
	scratch_load_b32 v0, off, s32 offset:460 ; 4-byte Folded Reload
	s_waitcnt vmcnt(0)
	v_fma_mixlo_f16 v4, v82, v0, 0
	scratch_load_b32 v0, off, s32 offset:628 ; 4-byte Folded Reload
	v_and_b32_e32 v4, 0xffff, v4
	s_waitcnt vmcnt(0)
	v_fma_mixlo_f16 v5, v82, v0, 0
	scratch_load_b32 v0, off, s32 offset:456 ; 4-byte Folded Reload
	s_waitcnt vmcnt(0)
	v_fma_mixlo_f16 v50, v82, v0, 0
	scratch_load_b32 v0, off, s32 offset:624 ; 4-byte Folded Reload
	;; [unrolled: 3-line block ×10, first 2 shown]
	v_and_b32_e32 v10, 0xffff, v10
	s_waitcnt vmcnt(0)
	v_fma_mixlo_f16 v11, v82, v0, 0
	scratch_load_b32 v0, off, s32 offset:448 ; 4-byte Folded Reload
	s_waitcnt vmcnt(0)
	v_fma_mixlo_f16 v69, v82, v0, 0
	scratch_load_b32 v0, off, s32 offset:616 ; 4-byte Folded Reload
	;; [unrolled: 3-line block ×10, first 2 shown]
	v_and_b32_e32 v13, 0xffff, v13
	s_waitcnt vmcnt(0)
	v_fma_mixlo_f16 v53, v82, v0, 0
	scratch_load_b32 v0, off, s32 offset:604 ; 4-byte Folded Reload
	v_and_b32_e32 v53, 0xffff, v53
	s_waitcnt vmcnt(0)
	v_fma_mixlo_f16 v3, v82, v0, 0
	scratch_load_b32 v0, off, s32 offset:436 ; 4-byte Folded Reload
	;; [unrolled: 4-line block ×4, first 2 shown]
	s_waitcnt vmcnt(0)
	v_fma_mixlo_f16 v1, v82, v0, 0
	scratch_load_b32 v0, off, s32 offset:408 ; 4-byte Folded Reload
	s_waitcnt vmcnt(0)
	v_fma_mixlo_f16 v77, v82, v0, 0
	scratch_load_b32 v0, off, s32 offset:572 ; 4-byte Folded Reload
	;; [unrolled: 3-line block ×8, first 2 shown]
	v_and_b32_e32 v66, 0xffff, v66
	s_waitcnt vmcnt(0)
	v_fma_mixlo_f16 v89, v82, v0, 0
	scratch_load_b32 v0, off, s32 offset:392 ; 4-byte Folded Reload
	scratch_store_b32 off, v18, s32 offset:392 ; 4-byte Folded Spill
	s_waitcnt vmcnt(0)
	v_fma_mixlo_f16 v129, v82, v0, 0
	scratch_load_b32 v0, off, s32 offset:556 ; 4-byte Folded Reload
	s_waitcnt vmcnt(0)
	v_fma_mixlo_f16 v130, v82, v0, 0
	scratch_load_b32 v0, off, s32 offset:400 ; 4-byte Folded Reload
	;; [unrolled: 3-line block ×7, first 2 shown]
	v_and_b32_e32 v135, 0xffff, v135
	s_waitcnt vmcnt(0)
	v_fma_mixlo_f16 v144, v82, v0, 0
	scratch_load_b32 v0, off, s32 offset:376 ; 4-byte Folded Reload
	s_waitcnt vmcnt(0)
	v_fma_mixlo_f16 v94, v82, v0, 0
	scratch_load_b32 v0, off, s32 offset:540 ; 4-byte Folded Reload
	;; [unrolled: 3-line block ×11, first 2 shown]
	v_and_b32_e32 v30, 0xffff, v30
	s_waitcnt vmcnt(0)
	v_fma_mixlo_f16 v150, v82, v0, 0
	scratch_load_b32 v0, off, s32 offset:536 ; 4-byte Folded Reload
	s_waitcnt vmcnt(0)
	v_fma_mixlo_f16 v44, v82, v0, 0
	scratch_load_b32 v0, off, s32 offset:372 ; 4-byte Folded Reload
	s_clause 0x1
	scratch_store_b32 off, v37, s32 offset:380
	scratch_store_b32 off, v15, s32 offset:372
	v_fma_mixlo_f16 v15, v82, v39, 0
	v_fma_mixlo_f16 v37, v82, v38, 0
	s_clause 0x1
	scratch_store_b32 off, v19, s32 offset:388
	scratch_store_b32 off, v15, s32 offset:376
	v_fma_mixlo_f16 v15, v82, v36, 0
	s_waitcnt vmcnt(0)
	v_fma_mixlo_f16 v55, v82, v0, 0
	scratch_load_b32 v0, off, s32 offset:1036 ; 4-byte Folded Reload
	v_fma_mixlo_f16 v82, v82, v14, 0
	scratch_load_b32 v14, off, s32 offset:520 ; 4-byte Folded Reload
	v_and_b32_e32 v55, 0xffff, v55
	s_waitcnt vmcnt(1)
	v_add_nc_u32_e32 v182, v0, v9
	scratch_load_b32 v0, off, s32 offset:1068 ; 4-byte Folded Reload
	s_waitcnt vmcnt(1)
	v_cmp_lt_i32_e64 s1, v182, v14
	s_waitcnt lgkmcnt(0)
	v_add_nc_u32_e32 v14, s21, v155
	s_clause 0x1
	scratch_store_b32 off, v37, s32 offset:384
	scratch_store_b32 off, v15, s32 offset:368
	ds_load_b128 v[36:39], v8
	scratch_store_b32 off, v14, s32 offset:364 ; 4-byte Folded Spill
	s_waitcnt lgkmcnt(0)
	v_lshrrev_b32_e32 v14, 16, v36
	v_and_b32_e32 v15, 0xffff, v36
	;;#ASMSTART
	v_cvt_f32_f16 v15, v15;
	;;#ASMEND
	;;#ASMSTART
	v_cvt_f32_f16 v18, v14;
	;;#ASMEND
	v_and_b32_e32 v14, 0xffff, v105
	;;#ASMSTART
	v_cvt_f32_f16 v19, v14;
	;;#ASMEND
	v_and_b32_e32 v14, 0xffff, v167
	;;#ASMSTART
	v_cvt_f32_f16 v167, v14;
	;;#ASMEND
	v_lshrrev_b32_e32 v14, 16, v37
	v_and_b32_e32 v36, 0xffff, v37
	;;#ASMSTART
	v_cvt_f32_f16 v182, v36;
	;;#ASMEND
	;;#ASMSTART
	v_cvt_f32_f16 v105, v14;
	;;#ASMEND
	v_and_b32_e32 v14, 0xffff, v166
	;;#ASMSTART
	v_cvt_f32_f16 v166, v14;
	;;#ASMEND
	v_and_b32_e32 v14, 0xffff, v104
	;;#ASMSTART
	v_cvt_f32_f16 v104, v14;
	;;#ASMEND
	v_lshrrev_b32_e32 v14, 16, v38
	v_and_b32_e32 v36, 0xffff, v38
	;;#ASMSTART
	v_cvt_f32_f16 v172, v36;
	;;#ASMEND
	;;#ASMSTART
	v_cvt_f32_f16 v173, v14;
	;;#ASMEND
	v_and_b32_e32 v14, 0xffff, v64
	;;#ASMSTART
	v_cvt_f32_f16 v64, v14;
	;;#ASMEND
	v_and_b32_e32 v14, 0xffff, v106
	;;#ASMSTART
	v_cvt_f32_f16 v106, v14;
	;;#ASMEND
	v_lshrrev_b32_e32 v14, 16, v39
	v_and_b32_e32 v36, 0xffff, v39
	;;#ASMSTART
	v_cvt_f32_f16 v174, v36;
	;;#ASMEND
	;;#ASMSTART
	v_cvt_f32_f16 v191, v14;
	;;#ASMEND
	v_and_b32_e32 v14, 0xffff, v171
	;;#ASMSTART
	v_cvt_f32_f16 v171, v14;
	;;#ASMEND
	v_and_b32_e32 v14, 0xffff, v180
	;;#ASMSTART
	v_cvt_f32_f16 v180, v14;
	;;#ASMEND
	ds_load_b128 v[36:39], v8 offset:16
	s_waitcnt lgkmcnt(0)
	v_lshrrev_b32_e32 v14, 16, v36
	v_and_b32_e32 v36, 0xffff, v36
	;;#ASMSTART
	v_cvt_f32_f16 v36, v36;
	;;#ASMEND
	s_waitcnt vmcnt(0)
	v_add_nc_u32_e32 v0, v0, v9
	s_delay_alu instid0(VALU_DEP_1) | instskip(NEXT) | instid1(VALU_DEP_1)
	v_cvt_f32_i32_e32 v0, v0
	v_mul_f32_e32 v0, v43, v0
	;;#ASMSTART
	v_cvt_f32_f16 v43, v14;
	;;#ASMEND
	v_and_b32_e32 v14, 0xffff, v190
	;;#ASMSTART
	v_cvt_f32_f16 v14, v14;
	;;#ASMEND
	s_delay_alu instid0(VALU_DEP_1) | instskip(SKIP_3) | instid1(VALU_DEP_3)
	v_mul_f32_e32 v14, v36, v14
	;;#ASMSTART
	v_cvt_f32_f16 v189, v189;
	;;#ASMEND
	v_cndmask_b32_e32 v0, 0, v0, vcc_lo
	v_and_b32_e32 v36, 0xffff, v54
	v_dual_fmac_f32 v14, v15, v19 :: v_dual_and_b32 v19, 0xffff, v37
	v_mul_f32_e32 v15, v43, v189
	;;#ASMSTART
	v_cvt_f32_f16 v19, v19;
	;;#ASMEND
	s_delay_alu instid0(VALU_DEP_1)
	v_fmac_f32_e32 v15, v18, v167
	v_lshrrev_b32_e32 v18, 16, v37
	v_and_b32_e32 v37, 0xffff, v151
	;;#ASMSTART
	v_cvt_f32_f16 v18, v18;
	;;#ASMEND
	;;#ASMSTART
	v_cvt_f32_f16 v36, v36;
	;;#ASMEND
	;; [unrolled: 3-line block ×3, first 2 shown]
	s_delay_alu instid0(VALU_DEP_1)
	v_dual_mul_f32 v19, v19, v36 :: v_dual_mul_f32 v18, v18, v37
	v_and_b32_e32 v37, 0xffff, v38
	v_lshrrev_b32_e32 v36, 16, v38
	v_and_b32_e32 v38, 0xffff, v150
	;;#ASMSTART
	v_cvt_f32_f16 v37, v37;
	;;#ASMEND
	;;#ASMSTART
	v_cvt_f32_f16 v36, v36;
	;;#ASMEND
	;; [unrolled: 3-line block ×4, first 2 shown]
	v_mul_f32_e32 v30, v36, v30
	v_mul_f32_e32 v37, v37, v38
	v_lshrrev_b32_e32 v36, 16, v39
	v_and_b32_e32 v38, 0xffff, v39
	s_delay_alu instid0(VALU_DEP_4)
	v_dual_fmac_f32 v30, v173, v106 :: v_dual_and_b32 v39, 0xffff, v44
	;;#ASMSTART
	v_cvt_f32_f16 v38, v38;
	;;#ASMEND
	;;#ASMSTART
	v_cvt_f32_f16 v36, v36;
	;;#ASMEND
	;; [unrolled: 3-line block ×4, first 2 shown]
	ds_load_b128 v[187:190], v8 offset:32
	v_mul_f32_e32 v39, v38, v39
	v_dual_mul_f32 v38, v36, v55 :: v_dual_fmac_f32 v19, v182, v166
	v_fmac_f32_e32 v18, v105, v104
	v_dual_fmac_f32 v37, v172, v64 :: v_dual_and_b32 v64, 0xffff, v95
	s_delay_alu instid0(VALU_DEP_4)
	v_dual_fmac_f32 v39, v174, v171 :: v_dual_and_b32 v150, 0xffff, v94
	s_waitcnt lgkmcnt(0)
	v_lshrrev_b32_e32 v36, 16, v187
	v_and_b32_e32 v55, 0xffff, v187
	;;#ASMSTART
	v_cvt_f32_f16 v55, v55;
	;;#ASMEND
	;;#ASMSTART
	v_cvt_f32_f16 v36, v36;
	;;#ASMEND
	;; [unrolled: 3-line block ×4, first 2 shown]
	v_dual_fmac_f32 v14, v55, v64 :: v_dual_fmac_f32 v15, v36, v150
	v_lshrrev_b32_e32 v36, 16, v188
	v_and_b32_e32 v55, 0xffff, v188
	v_fmac_f32_e32 v38, v191, v180
	v_and_b32_e32 v64, 0xffff, v144
	;;#ASMSTART
	v_cvt_f32_f16 v55, v55;
	;;#ASMEND
	;;#ASMSTART
	v_cvt_f32_f16 v36, v36;
	;;#ASMEND
	;; [unrolled: 3-line block ×4, first 2 shown]
	v_dual_fmac_f32 v19, v55, v64 :: v_dual_fmac_f32 v18, v36, v135
	v_and_b32_e32 v135, 0xffff, v92
	v_lshrrev_b32_e32 v36, 16, v189
	v_and_b32_e32 v55, 0xffff, v189
	v_and_b32_e32 v64, 0xffff, v107
	;;#ASMSTART
	v_cvt_f32_f16 v55, v55;
	;;#ASMEND
	;;#ASMSTART
	v_cvt_f32_f16 v36, v36;
	;;#ASMEND
	;; [unrolled: 3-line block ×4, first 2 shown]
	v_dual_fmac_f32 v37, v55, v64 :: v_dual_fmac_f32 v30, v36, v135
	v_and_b32_e32 v55, 0xffff, v190
	v_lshrrev_b32_e32 v36, 16, v190
	v_and_b32_e32 v64, 0xffff, v91
	v_and_b32_e32 v135, 0xffff, v90
	;;#ASMSTART
	v_cvt_f32_f16 v55, v55;
	;;#ASMEND
	;;#ASMSTART
	v_cvt_f32_f16 v36, v36;
	;;#ASMEND
	;;#ASMSTART
	v_cvt_f32_f16 v64, v64;
	;;#ASMEND
	;;#ASMSTART
	v_cvt_f32_f16 v135, v135;
	;;#ASMEND
	ds_load_b128 v[90:93], v8 offset:48
	v_dual_fmac_f32 v39, v55, v64 :: v_dual_fmac_f32 v38, v36, v135
	v_and_b32_e32 v64, 0xffff, v130
	v_and_b32_e32 v129, 0xffff, v129
	s_waitcnt lgkmcnt(0)
	v_lshrrev_b32_e32 v36, 16, v90
	v_and_b32_e32 v55, 0xffff, v90
	;;#ASMSTART
	v_cvt_f32_f16 v55, v55;
	;;#ASMEND
	;;#ASMSTART
	v_cvt_f32_f16 v36, v36;
	;;#ASMEND
	;; [unrolled: 3-line block ×4, first 2 shown]
	v_dual_fmac_f32 v14, v55, v64 :: v_dual_fmac_f32 v15, v36, v129
	v_lshrrev_b32_e32 v36, 16, v91
	v_and_b32_e32 v55, 0xffff, v91
	v_and_b32_e32 v64, 0xffff, v89
	;;#ASMSTART
	v_cvt_f32_f16 v55, v55;
	;;#ASMEND
	;;#ASMSTART
	v_cvt_f32_f16 v36, v36;
	;;#ASMEND
	;; [unrolled: 3-line block ×4, first 2 shown]
	v_dual_fmac_f32 v19, v55, v64 :: v_dual_fmac_f32 v18, v36, v66
	v_lshrrev_b32_e32 v36, 16, v92
	v_and_b32_e32 v55, 0xffff, v92
	v_and_b32_e32 v64, 0xffff, v88
	;; [unrolled: 1-line block ×3, first 2 shown]
	;;#ASMSTART
	v_cvt_f32_f16 v55, v55;
	;;#ASMEND
	;;#ASMSTART
	v_cvt_f32_f16 v36, v36;
	;;#ASMEND
	;;#ASMSTART
	v_cvt_f32_f16 v64, v64;
	;;#ASMEND
	;;#ASMSTART
	v_cvt_f32_f16 v66, v66;
	;;#ASMEND
	v_dual_fmac_f32 v37, v55, v64 :: v_dual_fmac_f32 v30, v36, v66
	v_lshrrev_b32_e32 v36, 16, v93
	v_and_b32_e32 v55, 0xffff, v93
	v_and_b32_e32 v64, 0xffff, v114
	;; [unrolled: 1-line block ×3, first 2 shown]
	;;#ASMSTART
	v_cvt_f32_f16 v55, v55;
	;;#ASMEND
	;;#ASMSTART
	v_cvt_f32_f16 v36, v36;
	;;#ASMEND
	;; [unrolled: 3-line block ×4, first 2 shown]
	ds_load_b128 v[88:91], v8 offset:64
	v_dual_fmac_f32 v39, v55, v64 :: v_dual_fmac_f32 v38, v36, v66
	v_and_b32_e32 v64, 0xffff, v78
	v_and_b32_e32 v66, 0xffff, v77
	s_waitcnt lgkmcnt(0)
	v_lshrrev_b32_e32 v36, 16, v88
	v_and_b32_e32 v55, 0xffff, v88
	;;#ASMSTART
	v_cvt_f32_f16 v55, v55;
	;;#ASMEND
	;;#ASMSTART
	v_cvt_f32_f16 v36, v36;
	;;#ASMEND
	;; [unrolled: 3-line block ×4, first 2 shown]
	v_dual_fmac_f32 v14, v55, v64 :: v_dual_and_b32 v55, 0xffff, v89
	v_fmac_f32_e32 v15, v36, v66
	v_lshrrev_b32_e32 v36, 16, v89
	v_and_b32_e32 v1, 0xffff, v1
	v_and_b32_e32 v64, 0xffff, v76
	;;#ASMSTART
	v_cvt_f32_f16 v55, v55;
	;;#ASMEND
	;;#ASMSTART
	v_cvt_f32_f16 v36, v36;
	;;#ASMEND
	;;#ASMSTART
	v_cvt_f32_f16 v1, v1;
	;;#ASMEND
	;;#ASMSTART
	v_cvt_f32_f16 v64, v64;
	;;#ASMEND
	v_dual_fmac_f32 v19, v55, v1 :: v_dual_fmac_f32 v18, v36, v64
	v_lshrrev_b32_e32 v1, 16, v90
	v_and_b32_e32 v36, 0xffff, v90
	v_and_b32_e32 v55, 0xffff, v96
	;; [unrolled: 1-line block ×3, first 2 shown]
	;;#ASMSTART
	v_cvt_f32_f16 v36, v36;
	;;#ASMEND
	;;#ASMSTART
	v_cvt_f32_f16 v1, v1;
	;;#ASMEND
	;; [unrolled: 3-line block ×4, first 2 shown]
	v_dual_fmac_f32 v37, v36, v55 :: v_dual_fmac_f32 v30, v1, v64
	v_lshrrev_b32_e32 v1, 16, v91
	v_and_b32_e32 v36, 0xffff, v91
	v_and_b32_e32 v55, 0xffff, v80
	;; [unrolled: 1-line block ×3, first 2 shown]
	;;#ASMSTART
	v_cvt_f32_f16 v36, v36;
	;;#ASMEND
	;;#ASMSTART
	v_cvt_f32_f16 v1, v1;
	;;#ASMEND
	;; [unrolled: 3-line block ×4, first 2 shown]
	ds_load_b128 v[76:79], v8 offset:80
	v_dual_fmac_f32 v39, v36, v55 :: v_dual_fmac_f32 v38, v1, v64
	v_and_b32_e32 v55, 0xffff, v75
	v_and_b32_e32 v64, 0xffff, v86
	s_waitcnt lgkmcnt(0)
	v_lshrrev_b32_e32 v1, 16, v76
	v_and_b32_e32 v36, 0xffff, v76
	;;#ASMSTART
	v_cvt_f32_f16 v36, v36;
	;;#ASMEND
	;;#ASMSTART
	v_cvt_f32_f16 v1, v1;
	;;#ASMEND
	;; [unrolled: 3-line block ×4, first 2 shown]
	v_dual_fmac_f32 v14, v36, v55 :: v_dual_fmac_f32 v15, v1, v64
	v_lshrrev_b32_e32 v1, 16, v77
	v_and_b32_e32 v36, 0xffff, v77
	;;#ASMSTART
	v_cvt_f32_f16 v36, v36;
	;;#ASMEND
	;;#ASMSTART
	v_cvt_f32_f16 v1, v1;
	;;#ASMEND
	v_and_b32_e32 v55, 0xffff, v85
	v_and_b32_e32 v64, 0xffff, v71
	;;#ASMSTART
	v_cvt_f32_f16 v55, v55;
	;;#ASMEND
	;;#ASMSTART
	v_cvt_f32_f16 v64, v64;
	;;#ASMEND
	s_delay_alu instid0(VALU_DEP_1)
	v_dual_fmac_f32 v19, v36, v55 :: v_dual_fmac_f32 v18, v1, v64
	v_lshrrev_b32_e32 v1, 16, v78
	v_and_b32_e32 v36, 0xffff, v78
	;;#ASMSTART
	v_cvt_f32_f16 v36, v36;
	;;#ASMEND
	;;#ASMSTART
	v_cvt_f32_f16 v1, v1;
	;;#ASMEND
	;; [unrolled: 3-line block ×4, first 2 shown]
	v_fmac_f32_e32 v30, v1, v13
	v_lshrrev_b32_e32 v1, 16, v79
	v_and_b32_e32 v13, 0xffff, v79
	;;#ASMSTART
	v_cvt_f32_f16 v13, v13;
	;;#ASMEND
	;;#ASMSTART
	v_cvt_f32_f16 v1, v1;
	;;#ASMEND
	;; [unrolled: 3-line block ×4, first 2 shown]
	ds_load_b128 v[75:78], v8 offset:96
	v_fmac_f32_e32 v39, v13, v3
	v_dual_fmac_f32 v38, v1, v2 :: v_dual_and_b32 v3, 0xffff, v11
	v_fmac_f32_e32 v37, v36, v53
	s_waitcnt lgkmcnt(0)
	v_lshrrev_b32_e32 v1, 16, v75
	v_and_b32_e32 v2, 0xffff, v75
	;;#ASMSTART
	v_cvt_f32_f16 v2, v2;
	;;#ASMEND
	;;#ASMSTART
	v_cvt_f32_f16 v1, v1;
	;;#ASMEND
	;;#ASMSTART
	v_cvt_f32_f16 v3, v3;
	;;#ASMEND
	;;#ASMSTART
	v_cvt_f32_f16 v10, v10;
	;;#ASMEND
	v_dual_fmac_f32 v14, v2, v3 :: v_dual_fmac_f32 v15, v1, v10
	v_lshrrev_b32_e32 v1, 16, v76
	v_and_b32_e32 v2, 0xffff, v76
	v_and_b32_e32 v3, 0xffff, v12
	v_and_b32_e32 v10, 0xffff, v146
	;;#ASMSTART
	v_cvt_f32_f16 v2, v2;
	;;#ASMEND
	;;#ASMSTART
	v_cvt_f32_f16 v1, v1;
	;;#ASMEND
	;;#ASMSTART
	v_cvt_f32_f16 v3, v3;
	;;#ASMEND
	;;#ASMSTART
	v_cvt_f32_f16 v10, v10;
	;;#ASMEND
	v_dual_fmac_f32 v19, v2, v3 :: v_dual_fmac_f32 v18, v1, v10
	v_lshrrev_b32_e32 v1, 16, v77
	v_and_b32_e32 v2, 0xffff, v77
	v_and_b32_e32 v3, 0xffff, v145
	v_and_b32_e32 v10, 0xffff, v69
	;;#ASMSTART
	v_cvt_f32_f16 v2, v2;
	;;#ASMEND
	;;#ASMSTART
	v_cvt_f32_f16 v1, v1;
	;;#ASMEND
	;;#ASMSTART
	v_cvt_f32_f16 v3, v3;
	;;#ASMEND
	;;#ASMSTART
	v_cvt_f32_f16 v10, v10;
	;;#ASMEND
	v_dual_fmac_f32 v37, v2, v3 :: v_dual_fmac_f32 v30, v1, v10
	v_lshrrev_b32_e32 v1, 16, v78
	v_and_b32_e32 v2, 0xffff, v78
	v_and_b32_e32 v3, 0xffff, v67
	v_and_b32_e32 v10, 0xffff, v52
	;;#ASMSTART
	v_cvt_f32_f16 v2, v2;
	;;#ASMEND
	;;#ASMSTART
	v_cvt_f32_f16 v1, v1;
	;;#ASMEND
	;; [unrolled: 3-line block ×4, first 2 shown]
	v_fmac_f32_e32 v38, v1, v10
	ds_load_b128 v[10:13], v8 offset:112
	v_fmac_f32_e32 v39, v2, v3
	v_and_b32_e32 v3, 0xffff, v51
	s_waitcnt lgkmcnt(0)
	v_lshrrev_b32_e32 v1, 16, v10
	v_and_b32_e32 v2, 0xffff, v10
	;;#ASMSTART
	v_cvt_f32_f16 v2, v2;
	;;#ASMEND
	;;#ASMSTART
	v_cvt_f32_f16 v1, v1;
	;;#ASMEND
	;; [unrolled: 3-line block ×3, first 2 shown]
	v_and_b32_e32 v10, 0xffff, v50
	;;#ASMSTART
	v_cvt_f32_f16 v10, v10;
	;;#ASMEND
	v_dual_fmac_f32 v14, v2, v3 :: v_dual_and_b32 v3, 0xffff, v5
	s_delay_alu instid0(VALU_DEP_2)
	v_fmac_f32_e32 v15, v1, v10
	v_lshrrev_b32_e32 v1, 16, v11
	v_and_b32_e32 v2, 0xffff, v11
	;;#ASMSTART
	v_cvt_f32_f16 v2, v2;
	;;#ASMEND
	;;#ASMSTART
	v_cvt_f32_f16 v1, v1;
	;;#ASMEND
	;; [unrolled: 3-line block ×4, first 2 shown]
	v_dual_fmac_f32 v19, v2, v3 :: v_dual_fmac_f32 v18, v1, v4
	v_lshrrev_b32_e32 v1, 16, v12
	v_and_b32_e32 v2, 0xffff, v12
	v_and_b32_e32 v3, 0xffff, v48
	;; [unrolled: 1-line block ×3, first 2 shown]
	;;#ASMSTART
	v_cvt_f32_f16 v2, v2;
	;;#ASMEND
	;;#ASMSTART
	v_cvt_f32_f16 v1, v1;
	;;#ASMEND
	;; [unrolled: 3-line block ×4, first 2 shown]
	v_dual_fmac_f32 v37, v2, v3 :: v_dual_fmac_f32 v30, v1, v4
	v_lshrrev_b32_e32 v1, 16, v13
	v_and_b32_e32 v2, 0xffff, v13
	v_and_b32_e32 v3, 0xffff, v128
	;; [unrolled: 1-line block ×3, first 2 shown]
	;;#ASMSTART
	v_cvt_f32_f16 v2, v2;
	;;#ASMEND
	;;#ASMSTART
	v_cvt_f32_f16 v1, v1;
	;;#ASMEND
	;; [unrolled: 3-line block ×4, first 2 shown]
	v_dual_fmac_f32 v39, v2, v3 :: v_dual_fmac_f32 v38, v1, v4
	ds_load_b128 v[1:4], v8 offset:128
	v_and_b32_e32 v10, 0xffff, v102
	v_and_b32_e32 v11, 0xffff, v112
	s_waitcnt lgkmcnt(0)
	v_lshrrev_b32_e32 v5, 16, v1
	v_and_b32_e32 v1, 0xffff, v1
	;;#ASMSTART
	v_cvt_f32_f16 v1, v1;
	;;#ASMEND
	;;#ASMSTART
	v_cvt_f32_f16 v5, v5;
	;;#ASMEND
	;; [unrolled: 3-line block ×3, first 2 shown]
	s_delay_alu instid0(VALU_DEP_1)
	v_fmac_f32_e32 v14, v1, v10
	v_lshrrev_b32_e32 v1, 16, v2
	v_and_b32_e32 v2, 0xffff, v2
	;;#ASMSTART
	v_cvt_f32_f16 v11, v11;
	;;#ASMEND
	v_fmac_f32_e32 v15, v5, v11
	;;#ASMSTART
	v_cvt_f32_f16 v2, v2;
	;;#ASMEND
	;;#ASMSTART
	v_cvt_f32_f16 v1, v1;
	;;#ASMEND
	v_and_b32_e32 v5, 0xffff, v65
	v_and_b32_e32 v10, 0xffff, v84
	;;#ASMSTART
	v_cvt_f32_f16 v5, v5;
	;;#ASMEND
	;;#ASMSTART
	v_cvt_f32_f16 v10, v10;
	;;#ASMEND
	s_delay_alu instid0(VALU_DEP_1)
	v_dual_fmac_f32 v19, v2, v5 :: v_dual_fmac_f32 v18, v1, v10
	v_lshrrev_b32_e32 v1, 16, v3
	v_and_b32_e32 v2, 0xffff, v3
	v_and_b32_e32 v3, 0xffff, v23
	;;#ASMSTART
	v_cvt_f32_f16 v2, v2;
	;;#ASMEND
	;;#ASMSTART
	v_cvt_f32_f16 v1, v1;
	;;#ASMEND
	;; [unrolled: 3-line block ×3, first 2 shown]
	v_and_b32_e32 v5, 0xffff, v148
	;;#ASMSTART
	v_cvt_f32_f16 v5, v5;
	;;#ASMEND
	s_delay_alu instid0(VALU_DEP_1)
	v_dual_fmac_f32 v37, v2, v3 :: v_dual_fmac_f32 v30, v1, v5
	v_lshrrev_b32_e32 v1, 16, v4
	v_and_b32_e32 v2, 0xffff, v4
	v_and_b32_e32 v3, 0xffff, v147
	v_and_b32_e32 v4, 0xffff, v118
	;;#ASMSTART
	v_cvt_f32_f16 v2, v2;
	;;#ASMEND
	;;#ASMSTART
	v_cvt_f32_f16 v1, v1;
	;;#ASMEND
	;;#ASMSTART
	v_cvt_f32_f16 v3, v3;
	;;#ASMEND
	;;#ASMSTART
	v_cvt_f32_f16 v4, v4;
	;;#ASMEND
	v_dual_fmac_f32 v39, v2, v3 :: v_dual_fmac_f32 v38, v1, v4
	ds_load_b128 v[1:4], v8 offset:144
	v_and_b32_e32 v10, 0xffff, v117
	v_and_b32_e32 v11, 0xffff, v116
	s_waitcnt lgkmcnt(0)
	v_lshrrev_b32_e32 v5, 16, v1
	v_and_b32_e32 v1, 0xffff, v1
	;;#ASMSTART
	v_cvt_f32_f16 v1, v1;
	;;#ASMEND
	;;#ASMSTART
	v_cvt_f32_f16 v5, v5;
	;;#ASMEND
	;; [unrolled: 3-line block ×3, first 2 shown]
	s_delay_alu instid0(VALU_DEP_1)
	v_fmac_f32_e32 v14, v1, v10
	v_lshrrev_b32_e32 v1, 16, v2
	v_and_b32_e32 v2, 0xffff, v2
	;;#ASMSTART
	v_cvt_f32_f16 v11, v11;
	;;#ASMEND
	v_fmac_f32_e32 v15, v5, v11
	;;#ASMSTART
	v_cvt_f32_f16 v2, v2;
	;;#ASMEND
	;;#ASMSTART
	v_cvt_f32_f16 v1, v1;
	;;#ASMEND
	v_and_b32_e32 v5, 0xffff, v115
	v_and_b32_e32 v10, 0xffff, v101
	;;#ASMSTART
	v_cvt_f32_f16 v5, v5;
	;;#ASMEND
	;;#ASMSTART
	v_cvt_f32_f16 v10, v10;
	;;#ASMEND
	s_delay_alu instid0(VALU_DEP_1)
	v_dual_fmac_f32 v19, v2, v5 :: v_dual_fmac_f32 v18, v1, v10
	v_lshrrev_b32_e32 v1, 16, v3
	v_and_b32_e32 v2, 0xffff, v3
	v_and_b32_e32 v3, 0xffff, v100
	;;#ASMSTART
	v_cvt_f32_f16 v2, v2;
	;;#ASMEND
	;;#ASMSTART
	v_cvt_f32_f16 v1, v1;
	;;#ASMEND
	;; [unrolled: 3-line block ×3, first 2 shown]
	v_and_b32_e32 v5, 0xffff, v99
	;;#ASMSTART
	v_cvt_f32_f16 v5, v5;
	;;#ASMEND
	s_delay_alu instid0(VALU_DEP_1)
	v_dual_fmac_f32 v37, v2, v3 :: v_dual_fmac_f32 v30, v1, v5
	v_lshrrev_b32_e32 v1, 16, v4
	v_and_b32_e32 v2, 0xffff, v4
	v_and_b32_e32 v3, 0xffff, v98
	;; [unrolled: 1-line block ×3, first 2 shown]
	;;#ASMSTART
	v_cvt_f32_f16 v2, v2;
	;;#ASMEND
	;;#ASMSTART
	v_cvt_f32_f16 v1, v1;
	;;#ASMEND
	;; [unrolled: 3-line block ×4, first 2 shown]
	v_dual_fmac_f32 v39, v2, v3 :: v_dual_fmac_f32 v38, v1, v4
	ds_load_b128 v[1:4], v8 offset:160
	v_and_b32_e32 v10, 0xffff, v24
	v_and_b32_e32 v11, 0xffff, v21
	s_waitcnt lgkmcnt(0)
	v_lshrrev_b32_e32 v5, 16, v1
	v_and_b32_e32 v1, 0xffff, v1
	;;#ASMSTART
	v_cvt_f32_f16 v1, v1;
	;;#ASMEND
	;;#ASMSTART
	v_cvt_f32_f16 v5, v5;
	;;#ASMEND
	;; [unrolled: 3-line block ×3, first 2 shown]
	s_delay_alu instid0(VALU_DEP_1)
	v_fmac_f32_e32 v14, v1, v10
	v_lshrrev_b32_e32 v1, 16, v2
	v_and_b32_e32 v2, 0xffff, v2
	;;#ASMSTART
	v_cvt_f32_f16 v11, v11;
	;;#ASMEND
	v_fmac_f32_e32 v15, v5, v11
	;;#ASMSTART
	v_cvt_f32_f16 v2, v2;
	;;#ASMEND
	;;#ASMSTART
	v_cvt_f32_f16 v1, v1;
	;;#ASMEND
	v_and_b32_e32 v5, 0xffff, v83
	v_and_b32_e32 v10, 0xffff, v20
	;;#ASMSTART
	v_cvt_f32_f16 v5, v5;
	;;#ASMEND
	;;#ASMSTART
	v_cvt_f32_f16 v10, v10;
	;;#ASMEND
	s_delay_alu instid0(VALU_DEP_1)
	v_dual_fmac_f32 v19, v2, v5 :: v_dual_fmac_f32 v18, v1, v10
	v_lshrrev_b32_e32 v1, 16, v3
	v_and_b32_e32 v2, 0xffff, v3
	v_and_b32_e32 v3, 0xffff, v16
	;;#ASMSTART
	v_cvt_f32_f16 v2, v2;
	;;#ASMEND
	;;#ASMSTART
	v_cvt_f32_f16 v1, v1;
	;;#ASMEND
	;; [unrolled: 3-line block ×3, first 2 shown]
	v_and_b32_e32 v5, 0xffff, v122
	;;#ASMSTART
	v_cvt_f32_f16 v5, v5;
	;;#ASMEND
	s_delay_alu instid0(VALU_DEP_1)
	v_dual_fmac_f32 v37, v2, v3 :: v_dual_fmac_f32 v30, v1, v5
	v_lshrrev_b32_e32 v1, 16, v4
	v_and_b32_e32 v2, 0xffff, v4
	v_and_b32_e32 v3, 0xffff, v121
	;; [unrolled: 1-line block ×3, first 2 shown]
	;;#ASMSTART
	v_cvt_f32_f16 v2, v2;
	;;#ASMEND
	;;#ASMSTART
	v_cvt_f32_f16 v1, v1;
	;;#ASMEND
	;; [unrolled: 3-line block ×4, first 2 shown]
	v_dual_fmac_f32 v39, v2, v3 :: v_dual_fmac_f32 v38, v1, v4
	ds_load_b128 v[1:4], v8 offset:176
	v_and_b32_e32 v10, 0xffff, v138
	v_and_b32_e32 v11, 0xffff, v137
	s_waitcnt lgkmcnt(0)
	v_lshrrev_b32_e32 v5, 16, v1
	v_and_b32_e32 v1, 0xffff, v1
	;;#ASMSTART
	v_cvt_f32_f16 v1, v1;
	;;#ASMEND
	;;#ASMSTART
	v_cvt_f32_f16 v5, v5;
	;;#ASMEND
	;; [unrolled: 3-line block ×3, first 2 shown]
	s_delay_alu instid0(VALU_DEP_1)
	v_fmac_f32_e32 v14, v1, v10
	v_lshrrev_b32_e32 v1, 16, v2
	v_and_b32_e32 v2, 0xffff, v2
	;;#ASMSTART
	v_cvt_f32_f16 v11, v11;
	;;#ASMEND
	v_fmac_f32_e32 v15, v5, v11
	;;#ASMSTART
	v_cvt_f32_f16 v2, v2;
	;;#ASMEND
	;;#ASMSTART
	v_cvt_f32_f16 v1, v1;
	;;#ASMEND
	v_and_b32_e32 v5, 0xffff, v136
	v_and_b32_e32 v10, 0xffff, v127
	;;#ASMSTART
	v_cvt_f32_f16 v5, v5;
	;;#ASMEND
	;;#ASMSTART
	v_cvt_f32_f16 v10, v10;
	;;#ASMEND
	s_delay_alu instid0(VALU_DEP_1)
	v_dual_fmac_f32 v19, v2, v5 :: v_dual_fmac_f32 v18, v1, v10
	v_lshrrev_b32_e32 v1, 16, v3
	v_and_b32_e32 v2, 0xffff, v3
	v_and_b32_e32 v3, 0xffff, v111
	;;#ASMSTART
	v_cvt_f32_f16 v2, v2;
	;;#ASMEND
	;;#ASMSTART
	v_cvt_f32_f16 v1, v1;
	;;#ASMEND
	;; [unrolled: 3-line block ×3, first 2 shown]
	v_and_b32_e32 v5, 0xffff, v110
	;;#ASMSTART
	v_cvt_f32_f16 v5, v5;
	;;#ASMEND
	s_delay_alu instid0(VALU_DEP_1)
	v_dual_fmac_f32 v37, v2, v3 :: v_dual_fmac_f32 v30, v1, v5
	v_lshrrev_b32_e32 v1, 16, v4
	v_and_b32_e32 v2, 0xffff, v4
	v_and_b32_e32 v3, 0xffff, v109
	;; [unrolled: 1-line block ×3, first 2 shown]
	;;#ASMSTART
	v_cvt_f32_f16 v2, v2;
	;;#ASMEND
	;;#ASMSTART
	v_cvt_f32_f16 v1, v1;
	;;#ASMEND
	;; [unrolled: 3-line block ×4, first 2 shown]
	v_dual_fmac_f32 v39, v2, v3 :: v_dual_fmac_f32 v38, v1, v4
	ds_load_b128 v[1:4], v8 offset:192
	v_and_b32_e32 v10, 0xffff, v154
	v_and_b32_e32 v11, 0xffff, v153
	s_waitcnt lgkmcnt(0)
	v_lshrrev_b32_e32 v5, 16, v1
	v_and_b32_e32 v1, 0xffff, v1
	;;#ASMSTART
	v_cvt_f32_f16 v1, v1;
	;;#ASMEND
	;;#ASMSTART
	v_cvt_f32_f16 v5, v5;
	;;#ASMEND
	;; [unrolled: 3-line block ×3, first 2 shown]
	s_delay_alu instid0(VALU_DEP_1)
	v_fmac_f32_e32 v14, v1, v10
	v_lshrrev_b32_e32 v1, 16, v2
	v_and_b32_e32 v2, 0xffff, v2
	;;#ASMSTART
	v_cvt_f32_f16 v11, v11;
	;;#ASMEND
	v_fmac_f32_e32 v15, v5, v11
	;;#ASMSTART
	v_cvt_f32_f16 v2, v2;
	;;#ASMEND
	;;#ASMSTART
	v_cvt_f32_f16 v1, v1;
	;;#ASMEND
	v_and_b32_e32 v5, 0xffff, v152
	v_and_b32_e32 v10, 0xffff, v143
	;;#ASMSTART
	v_cvt_f32_f16 v5, v5;
	;;#ASMEND
	;;#ASMSTART
	v_cvt_f32_f16 v10, v10;
	;;#ASMEND
	s_delay_alu instid0(VALU_DEP_1)
	v_dual_fmac_f32 v19, v2, v5 :: v_dual_fmac_f32 v18, v1, v10
	v_lshrrev_b32_e32 v1, 16, v3
	v_and_b32_e32 v2, 0xffff, v3
	v_and_b32_e32 v3, 0xffff, v126
	;;#ASMSTART
	v_cvt_f32_f16 v2, v2;
	;;#ASMEND
	;;#ASMSTART
	v_cvt_f32_f16 v1, v1;
	;;#ASMEND
	;; [unrolled: 3-line block ×3, first 2 shown]
	v_and_b32_e32 v5, 0xffff, v125
	;;#ASMSTART
	v_cvt_f32_f16 v5, v5;
	;;#ASMEND
	s_delay_alu instid0(VALU_DEP_1)
	v_dual_fmac_f32 v37, v2, v3 :: v_dual_fmac_f32 v30, v1, v5
	v_lshrrev_b32_e32 v1, 16, v4
	v_and_b32_e32 v2, 0xffff, v4
	v_and_b32_e32 v3, 0xffff, v124
	;; [unrolled: 1-line block ×3, first 2 shown]
	;;#ASMSTART
	v_cvt_f32_f16 v2, v2;
	;;#ASMEND
	;;#ASMSTART
	v_cvt_f32_f16 v1, v1;
	;;#ASMEND
	;; [unrolled: 3-line block ×4, first 2 shown]
	v_dual_fmac_f32 v39, v2, v3 :: v_dual_fmac_f32 v38, v1, v4
	ds_load_b128 v[1:4], v8 offset:208
	v_and_b32_e32 v10, 0xffff, v170
	v_and_b32_e32 v11, 0xffff, v169
	s_waitcnt lgkmcnt(0)
	v_lshrrev_b32_e32 v5, 16, v1
	v_and_b32_e32 v1, 0xffff, v1
	;;#ASMSTART
	v_cvt_f32_f16 v1, v1;
	;;#ASMEND
	;;#ASMSTART
	v_cvt_f32_f16 v5, v5;
	;;#ASMEND
	;;#ASMSTART
	v_cvt_f32_f16 v10, v10;
	;;#ASMEND
	s_delay_alu instid0(VALU_DEP_1)
	v_fmac_f32_e32 v14, v1, v10
	v_lshrrev_b32_e32 v1, 16, v2
	v_and_b32_e32 v2, 0xffff, v2
	;;#ASMSTART
	v_cvt_f32_f16 v11, v11;
	;;#ASMEND
	v_fmac_f32_e32 v15, v5, v11
	;;#ASMSTART
	v_cvt_f32_f16 v2, v2;
	;;#ASMEND
	;;#ASMSTART
	v_cvt_f32_f16 v1, v1;
	;;#ASMEND
	v_and_b32_e32 v5, 0xffff, v168
	v_and_b32_e32 v10, 0xffff, v159
	;;#ASMSTART
	v_cvt_f32_f16 v5, v5;
	;;#ASMEND
	;;#ASMSTART
	v_cvt_f32_f16 v10, v10;
	;;#ASMEND
	s_delay_alu instid0(VALU_DEP_1)
	v_dual_fmac_f32 v19, v2, v5 :: v_dual_fmac_f32 v18, v1, v10
	v_lshrrev_b32_e32 v1, 16, v3
	v_and_b32_e32 v2, 0xffff, v3
	v_and_b32_e32 v3, 0xffff, v142
	;;#ASMSTART
	v_cvt_f32_f16 v2, v2;
	;;#ASMEND
	;;#ASMSTART
	v_cvt_f32_f16 v1, v1;
	;;#ASMEND
	;; [unrolled: 3-line block ×3, first 2 shown]
	v_and_b32_e32 v5, 0xffff, v141
	;;#ASMSTART
	v_cvt_f32_f16 v5, v5;
	;;#ASMEND
	s_delay_alu instid0(VALU_DEP_1)
	v_dual_fmac_f32 v37, v2, v3 :: v_dual_fmac_f32 v30, v1, v5
	v_lshrrev_b32_e32 v1, 16, v4
	v_and_b32_e32 v2, 0xffff, v4
	v_and_b32_e32 v3, 0xffff, v140
	v_and_b32_e32 v4, 0xffff, v139
	;;#ASMSTART
	v_cvt_f32_f16 v2, v2;
	;;#ASMEND
	;;#ASMSTART
	v_cvt_f32_f16 v1, v1;
	;;#ASMEND
	;; [unrolled: 3-line block ×4, first 2 shown]
	v_dual_fmac_f32 v39, v2, v3 :: v_dual_fmac_f32 v38, v1, v4
	ds_load_b128 v[1:4], v8 offset:224
	v_and_b32_e32 v10, 0xffff, v186
	v_and_b32_e32 v11, 0xffff, v185
	s_waitcnt lgkmcnt(0)
	v_lshrrev_b32_e32 v5, 16, v1
	v_and_b32_e32 v1, 0xffff, v1
	;;#ASMSTART
	v_cvt_f32_f16 v1, v1;
	;;#ASMEND
	;;#ASMSTART
	v_cvt_f32_f16 v5, v5;
	;;#ASMEND
	;; [unrolled: 3-line block ×3, first 2 shown]
	s_delay_alu instid0(VALU_DEP_1)
	v_fmac_f32_e32 v14, v1, v10
	v_lshrrev_b32_e32 v1, 16, v2
	v_and_b32_e32 v2, 0xffff, v2
	;;#ASMSTART
	v_cvt_f32_f16 v11, v11;
	;;#ASMEND
	v_fmac_f32_e32 v15, v5, v11
	;;#ASMSTART
	v_cvt_f32_f16 v2, v2;
	;;#ASMEND
	;;#ASMSTART
	v_cvt_f32_f16 v1, v1;
	;;#ASMEND
	v_and_b32_e32 v5, 0xffff, v184
	v_and_b32_e32 v10, 0xffff, v175
	;;#ASMSTART
	v_cvt_f32_f16 v5, v5;
	;;#ASMEND
	;;#ASMSTART
	v_cvt_f32_f16 v10, v10;
	;;#ASMEND
	s_delay_alu instid0(VALU_DEP_1)
	v_dual_fmac_f32 v19, v2, v5 :: v_dual_fmac_f32 v18, v1, v10
	v_lshrrev_b32_e32 v1, 16, v3
	v_and_b32_e32 v2, 0xffff, v3
	v_and_b32_e32 v3, 0xffff, v158
	;;#ASMSTART
	v_cvt_f32_f16 v2, v2;
	;;#ASMEND
	;;#ASMSTART
	v_cvt_f32_f16 v1, v1;
	;;#ASMEND
	;; [unrolled: 3-line block ×3, first 2 shown]
	v_and_b32_e32 v5, 0xffff, v157
	;;#ASMSTART
	v_cvt_f32_f16 v5, v5;
	;;#ASMEND
	s_delay_alu instid0(VALU_DEP_1)
	v_dual_fmac_f32 v37, v2, v3 :: v_dual_fmac_f32 v30, v1, v5
	v_lshrrev_b32_e32 v1, 16, v4
	v_and_b32_e32 v2, 0xffff, v4
	v_and_b32_e32 v3, 0xffff, v156
	;; [unrolled: 1-line block ×3, first 2 shown]
	;;#ASMSTART
	v_cvt_f32_f16 v2, v2;
	;;#ASMEND
	;;#ASMSTART
	v_cvt_f32_f16 v1, v1;
	;;#ASMEND
	;; [unrolled: 3-line block ×4, first 2 shown]
	v_dual_fmac_f32 v39, v2, v3 :: v_dual_fmac_f32 v38, v1, v4
	ds_load_b128 v[1:4], v8 offset:240
	v_and_b32_e32 v10, 0xffff, v7
	v_and_b32_e32 v11, 0xffff, v17
	v_and_b32_e32 v6, 0xffff, v31
	v_and_b32_e32 v7, 0xffff, v68
	s_waitcnt lgkmcnt(0)
	v_lshrrev_b32_e32 v5, 16, v1
	v_and_b32_e32 v1, 0xffff, v1
	;;#ASMSTART
	v_cvt_f32_f16 v1, v1;
	;;#ASMEND
	;;#ASMSTART
	v_cvt_f32_f16 v5, v5;
	;;#ASMEND
	;; [unrolled: 3-line block ×3, first 2 shown]
	s_delay_alu instid0(VALU_DEP_1)
	v_fmac_f32_e32 v14, v1, v10
	v_lshrrev_b32_e32 v1, 16, v2
	v_and_b32_e32 v2, 0xffff, v2
	;;#ASMSTART
	v_cvt_f32_f16 v11, v11;
	;;#ASMEND
	v_fmac_f32_e32 v15, v5, v11
	;;#ASMSTART
	v_cvt_f32_f16 v2, v2;
	;;#ASMEND
	;;#ASMSTART
	v_cvt_f32_f16 v1, v1;
	;;#ASMEND
	v_and_b32_e32 v5, 0xffff, v22
	;;#ASMSTART
	v_cvt_f32_f16 v5, v5;
	;;#ASMEND
	;;#ASMSTART
	v_cvt_f32_f16 v6, v6;
	;;#ASMEND
	s_delay_alu instid0(VALU_DEP_1)
	v_dual_fmac_f32 v19, v2, v5 :: v_dual_fmac_f32 v18, v1, v6
	v_lshrrev_b32_e32 v1, 16, v3
	v_and_b32_e32 v2, 0xffff, v3
	v_and_b32_e32 v3, 0xffff, v32
	;;#ASMSTART
	v_cvt_f32_f16 v2, v2;
	;;#ASMEND
	;;#ASMSTART
	v_cvt_f32_f16 v1, v1;
	;;#ASMEND
	;;#ASMSTART
	v_cvt_f32_f16 v3, v3;
	;;#ASMEND
	v_and_b32_e32 v5, 0xffff, v33
	;;#ASMSTART
	v_cvt_f32_f16 v5, v5;
	;;#ASMEND
	s_delay_alu instid0(VALU_DEP_1)
	v_dual_fmac_f32 v37, v2, v3 :: v_dual_fmac_f32 v30, v1, v5
	v_lshrrev_b32_e32 v1, 16, v4
	v_and_b32_e32 v2, 0xffff, v4
	v_and_b32_e32 v3, 0xffff, v34
	;; [unrolled: 1-line block ×3, first 2 shown]
	;;#ASMSTART
	v_cvt_f32_f16 v2, v2;
	;;#ASMEND
	;;#ASMSTART
	v_cvt_f32_f16 v1, v1;
	;;#ASMEND
	;;#ASMSTART
	v_cvt_f32_f16 v3, v3;
	;;#ASMEND
	;;#ASMSTART
	v_cvt_f32_f16 v4, v4;
	;;#ASMEND
	v_dual_fmac_f32 v39, v2, v3 :: v_dual_fmac_f32 v38, v1, v4
	ds_load_b128 v[1:4], v8 offset:256
	v_and_b32_e32 v6, 0xffff, v49
	s_waitcnt lgkmcnt(0)
	v_lshrrev_b32_e32 v5, 16, v1
	v_and_b32_e32 v1, 0xffff, v1
	;;#ASMSTART
	v_cvt_f32_f16 v1, v1;
	;;#ASMEND
	;;#ASMSTART
	v_cvt_f32_f16 v5, v5;
	;;#ASMEND
	;; [unrolled: 3-line block ×3, first 2 shown]
	s_delay_alu instid0(VALU_DEP_1)
	v_fmac_f32_e32 v14, v1, v6
	v_lshrrev_b32_e32 v1, 16, v2
	v_and_b32_e32 v2, 0xffff, v2
	;;#ASMSTART
	v_cvt_f32_f16 v7, v7;
	;;#ASMEND
	v_fmac_f32_e32 v15, v5, v7
	;;#ASMSTART
	v_cvt_f32_f16 v2, v2;
	;;#ASMEND
	;;#ASMSTART
	v_cvt_f32_f16 v1, v1;
	;;#ASMEND
	v_and_b32_e32 v5, 0xffff, v103
	v_and_b32_e32 v6, 0xffff, v131
	;;#ASMSTART
	v_cvt_f32_f16 v5, v5;
	;;#ASMEND
	;;#ASMSTART
	v_cvt_f32_f16 v6, v6;
	;;#ASMEND
	s_delay_alu instid0(VALU_DEP_1)
	v_dual_fmac_f32 v19, v2, v5 :: v_dual_fmac_f32 v18, v1, v6
	v_lshrrev_b32_e32 v1, 16, v3
	v_and_b32_e32 v2, 0xffff, v3
	v_and_b32_e32 v3, 0xffff, v132
	;;#ASMSTART
	v_cvt_f32_f16 v2, v2;
	;;#ASMEND
	;;#ASMSTART
	v_cvt_f32_f16 v1, v1;
	;;#ASMEND
	;; [unrolled: 3-line block ×3, first 2 shown]
	v_and_b32_e32 v5, 0xffff, v133
	;;#ASMSTART
	v_cvt_f32_f16 v5, v5;
	;;#ASMEND
	s_delay_alu instid0(VALU_DEP_1)
	v_dual_fmac_f32 v37, v2, v3 :: v_dual_fmac_f32 v30, v1, v5
	v_lshrrev_b32_e32 v1, 16, v4
	v_and_b32_e32 v2, 0xffff, v4
	v_and_b32_e32 v3, 0xffff, v134
	;; [unrolled: 1-line block ×3, first 2 shown]
	;;#ASMSTART
	v_cvt_f32_f16 v2, v2;
	;;#ASMEND
	;;#ASMSTART
	v_cvt_f32_f16 v1, v1;
	;;#ASMEND
	;; [unrolled: 3-line block ×4, first 2 shown]
	v_dual_fmac_f32 v39, v2, v3 :: v_dual_fmac_f32 v38, v1, v4
	ds_load_b128 v[1:4], v8 offset:272
	v_and_b32_e32 v6, 0xffff, v160
	v_and_b32_e32 v7, 0xffff, v161
	s_waitcnt lgkmcnt(0)
	v_lshrrev_b32_e32 v5, 16, v1
	v_and_b32_e32 v1, 0xffff, v1
	;;#ASMSTART
	v_cvt_f32_f16 v1, v1;
	;;#ASMEND
	;;#ASMSTART
	v_cvt_f32_f16 v5, v5;
	;;#ASMEND
	;; [unrolled: 3-line block ×3, first 2 shown]
	s_delay_alu instid0(VALU_DEP_1)
	v_fmac_f32_e32 v14, v1, v6
	v_lshrrev_b32_e32 v1, 16, v2
	v_and_b32_e32 v2, 0xffff, v2
	;;#ASMSTART
	v_cvt_f32_f16 v7, v7;
	;;#ASMEND
	v_fmac_f32_e32 v15, v5, v7
	;;#ASMSTART
	v_cvt_f32_f16 v2, v2;
	;;#ASMEND
	;;#ASMSTART
	v_cvt_f32_f16 v1, v1;
	;;#ASMEND
	v_and_b32_e32 v5, 0xffff, v162
	v_and_b32_e32 v6, 0xffff, v163
	;;#ASMSTART
	v_cvt_f32_f16 v5, v5;
	;;#ASMEND
	;;#ASMSTART
	v_cvt_f32_f16 v6, v6;
	;;#ASMEND
	s_delay_alu instid0(VALU_DEP_1)
	v_dual_fmac_f32 v19, v2, v5 :: v_dual_fmac_f32 v18, v1, v6
	v_lshrrev_b32_e32 v1, 16, v3
	v_and_b32_e32 v2, 0xffff, v3
	v_and_b32_e32 v3, 0xffff, v164
	;;#ASMSTART
	v_cvt_f32_f16 v2, v2;
	;;#ASMEND
	;;#ASMSTART
	v_cvt_f32_f16 v1, v1;
	;;#ASMEND
	;;#ASMSTART
	v_cvt_f32_f16 v3, v3;
	;;#ASMEND
	v_and_b32_e32 v5, 0xffff, v165
	;;#ASMSTART
	v_cvt_f32_f16 v5, v5;
	;;#ASMEND
	s_delay_alu instid0(VALU_DEP_1)
	v_dual_fmac_f32 v37, v2, v3 :: v_dual_fmac_f32 v30, v1, v5
	v_lshrrev_b32_e32 v1, 16, v4
	v_and_b32_e32 v2, 0xffff, v4
	v_and_b32_e32 v3, 0xffff, v176
	;; [unrolled: 1-line block ×3, first 2 shown]
	;;#ASMSTART
	v_cvt_f32_f16 v2, v2;
	;;#ASMEND
	;;#ASMSTART
	v_cvt_f32_f16 v1, v1;
	;;#ASMEND
	;; [unrolled: 3-line block ×4, first 2 shown]
	v_dual_fmac_f32 v39, v2, v3 :: v_dual_fmac_f32 v38, v1, v4
	ds_load_b128 v[1:4], v8 offset:288
	v_and_b32_e32 v6, 0xffff, v178
	v_and_b32_e32 v7, 0xffff, v179
	s_waitcnt lgkmcnt(0)
	v_lshrrev_b32_e32 v5, 16, v1
	v_and_b32_e32 v1, 0xffff, v1
	;;#ASMSTART
	v_cvt_f32_f16 v1, v1;
	;;#ASMEND
	;;#ASMSTART
	v_cvt_f32_f16 v5, v5;
	;;#ASMEND
	;; [unrolled: 3-line block ×3, first 2 shown]
	s_delay_alu instid0(VALU_DEP_1)
	v_fmac_f32_e32 v14, v1, v6
	v_lshrrev_b32_e32 v1, 16, v2
	v_and_b32_e32 v2, 0xffff, v2
	;;#ASMSTART
	v_cvt_f32_f16 v7, v7;
	;;#ASMEND
	v_fmac_f32_e32 v15, v5, v7
	;;#ASMSTART
	v_cvt_f32_f16 v2, v2;
	;;#ASMEND
	;;#ASMSTART
	v_cvt_f32_f16 v1, v1;
	;;#ASMEND
	v_and_b32_e32 v5, 0xffff, v181
	v_and_b32_e32 v6, 0xffff, v183
	;;#ASMSTART
	v_cvt_f32_f16 v5, v5;
	;;#ASMEND
	;;#ASMSTART
	v_cvt_f32_f16 v6, v6;
	;;#ASMEND
	s_delay_alu instid0(VALU_DEP_1)
	v_dual_fmac_f32 v19, v2, v5 :: v_dual_fmac_f32 v18, v1, v6
	v_lshrrev_b32_e32 v1, 16, v3
	v_and_b32_e32 v2, 0xffff, v3
	v_and_b32_e32 v3, 0xffff, v40
	;;#ASMSTART
	v_cvt_f32_f16 v2, v2;
	;;#ASMEND
	;;#ASMSTART
	v_cvt_f32_f16 v1, v1;
	;;#ASMEND
	;; [unrolled: 3-line block ×3, first 2 shown]
	v_and_b32_e32 v5, 0xffff, v41
	;;#ASMSTART
	v_cvt_f32_f16 v5, v5;
	;;#ASMEND
	s_delay_alu instid0(VALU_DEP_1)
	v_dual_fmac_f32 v37, v2, v3 :: v_dual_fmac_f32 v30, v1, v5
	v_lshrrev_b32_e32 v1, 16, v4
	v_and_b32_e32 v2, 0xffff, v4
	v_and_b32_e32 v3, 0xffff, v42
	v_and_b32_e32 v4, 0xffff, v45
	;;#ASMSTART
	v_cvt_f32_f16 v2, v2;
	;;#ASMEND
	;;#ASMSTART
	v_cvt_f32_f16 v1, v1;
	;;#ASMEND
	;; [unrolled: 3-line block ×4, first 2 shown]
	v_dual_fmac_f32 v39, v2, v3 :: v_dual_fmac_f32 v38, v1, v4
	ds_load_b128 v[1:4], v8 offset:304
	v_and_b32_e32 v6, 0xffff, v46
	v_and_b32_e32 v7, 0xffff, v47
	s_waitcnt lgkmcnt(0)
	v_lshrrev_b32_e32 v5, 16, v1
	v_and_b32_e32 v1, 0xffff, v1
	;;#ASMSTART
	v_cvt_f32_f16 v1, v1;
	;;#ASMEND
	;;#ASMSTART
	v_cvt_f32_f16 v5, v5;
	;;#ASMEND
	;; [unrolled: 3-line block ×3, first 2 shown]
	s_delay_alu instid0(VALU_DEP_1)
	v_fmac_f32_e32 v14, v1, v6
	v_lshrrev_b32_e32 v1, 16, v2
	v_and_b32_e32 v2, 0xffff, v2
	;;#ASMSTART
	v_cvt_f32_f16 v7, v7;
	;;#ASMEND
	v_fmac_f32_e32 v15, v5, v7
	;;#ASMSTART
	v_cvt_f32_f16 v2, v2;
	;;#ASMEND
	;;#ASMSTART
	v_cvt_f32_f16 v1, v1;
	;;#ASMEND
	v_and_b32_e32 v5, 0xffff, v56
	v_and_b32_e32 v6, 0xffff, v57
	;;#ASMSTART
	v_cvt_f32_f16 v5, v5;
	;;#ASMEND
	;;#ASMSTART
	v_cvt_f32_f16 v6, v6;
	;;#ASMEND
	s_delay_alu instid0(VALU_DEP_1)
	v_dual_fmac_f32 v19, v2, v5 :: v_dual_fmac_f32 v18, v1, v6
	v_lshrrev_b32_e32 v1, 16, v3
	v_and_b32_e32 v2, 0xffff, v3
	v_and_b32_e32 v3, 0xffff, v58
	;;#ASMSTART
	v_cvt_f32_f16 v2, v2;
	;;#ASMEND
	;;#ASMSTART
	v_cvt_f32_f16 v1, v1;
	;;#ASMEND
	;; [unrolled: 3-line block ×3, first 2 shown]
	v_and_b32_e32 v5, 0xffff, v59
	;;#ASMSTART
	v_cvt_f32_f16 v5, v5;
	;;#ASMEND
	s_delay_alu instid0(VALU_DEP_1)
	v_dual_fmac_f32 v37, v2, v3 :: v_dual_fmac_f32 v30, v1, v5
	v_lshrrev_b32_e32 v1, 16, v4
	v_and_b32_e32 v2, 0xffff, v4
	v_and_b32_e32 v3, 0xffff, v60
	;; [unrolled: 1-line block ×3, first 2 shown]
	;;#ASMSTART
	v_cvt_f32_f16 v2, v2;
	;;#ASMEND
	;;#ASMSTART
	v_cvt_f32_f16 v1, v1;
	;;#ASMEND
	;; [unrolled: 3-line block ×4, first 2 shown]
	v_dual_fmac_f32 v39, v2, v3 :: v_dual_fmac_f32 v38, v1, v4
	ds_load_b128 v[1:4], v8 offset:320
	v_and_b32_e32 v6, 0xffff, v62
	v_and_b32_e32 v7, 0xffff, v63
	s_waitcnt lgkmcnt(0)
	v_lshrrev_b32_e32 v5, 16, v1
	v_and_b32_e32 v1, 0xffff, v1
	;;#ASMSTART
	v_cvt_f32_f16 v1, v1;
	;;#ASMEND
	;;#ASMSTART
	v_cvt_f32_f16 v5, v5;
	;;#ASMEND
	;; [unrolled: 3-line block ×3, first 2 shown]
	s_delay_alu instid0(VALU_DEP_1)
	v_fmac_f32_e32 v14, v1, v6
	v_lshrrev_b32_e32 v1, 16, v2
	v_and_b32_e32 v2, 0xffff, v2
	;;#ASMSTART
	v_cvt_f32_f16 v7, v7;
	;;#ASMEND
	v_fmac_f32_e32 v15, v5, v7
	;;#ASMSTART
	v_cvt_f32_f16 v2, v2;
	;;#ASMEND
	;;#ASMSTART
	v_cvt_f32_f16 v1, v1;
	;;#ASMEND
	v_and_b32_e32 v5, 0xffff, v72
	v_and_b32_e32 v6, 0xffff, v73
	;;#ASMSTART
	v_cvt_f32_f16 v5, v5;
	;;#ASMEND
	;;#ASMSTART
	v_cvt_f32_f16 v6, v6;
	;;#ASMEND
	s_delay_alu instid0(VALU_DEP_1)
	v_dual_fmac_f32 v19, v2, v5 :: v_dual_fmac_f32 v18, v1, v6
	v_lshrrev_b32_e32 v1, 16, v3
	v_and_b32_e32 v2, 0xffff, v3
	v_and_b32_e32 v3, 0xffff, v74
	;;#ASMSTART
	v_cvt_f32_f16 v2, v2;
	;;#ASMEND
	;;#ASMSTART
	v_cvt_f32_f16 v1, v1;
	;;#ASMEND
	;; [unrolled: 3-line block ×3, first 2 shown]
	scratch_load_b32 v5, off, s32 offset:1032 ; 4-byte Folded Reload
	v_dual_fmac_f32 v37, v2, v3 :: v_dual_and_b32 v2, 0xffff, v4
	s_waitcnt vmcnt(0)
	v_and_b32_e32 v5, 0xffff, v5
	;;#ASMSTART
	v_cvt_f32_f16 v5, v5;
	;;#ASMEND
	s_delay_alu instid0(VALU_DEP_1)
	v_fmac_f32_e32 v30, v1, v5
	v_lshrrev_b32_e32 v1, 16, v4
	;;#ASMSTART
	v_cvt_f32_f16 v2, v2;
	;;#ASMEND
	;;#ASMSTART
	v_cvt_f32_f16 v1, v1;
	;;#ASMEND
	scratch_load_b32 v3, off, s32 offset:1028 ; 4-byte Folded Reload
	s_waitcnt vmcnt(0)
	v_and_b32_e32 v3, 0xffff, v3
	;;#ASMSTART
	v_cvt_f32_f16 v3, v3;
	;;#ASMEND
	scratch_load_b32 v4, off, s32 offset:1024 ; 4-byte Folded Reload
	s_waitcnt vmcnt(0)
	v_dual_fmac_f32 v39, v2, v3 :: v_dual_and_b32 v4, 0xffff, v4
	;;#ASMSTART
	v_cvt_f32_f16 v4, v4;
	;;#ASMEND
	s_delay_alu instid0(VALU_DEP_1)
	v_fmac_f32_e32 v38, v1, v4
	ds_load_b128 v[1:4], v8 offset:336
	s_waitcnt lgkmcnt(0)
	v_lshrrev_b32_e32 v5, 16, v1
	v_and_b32_e32 v1, 0xffff, v1
	;;#ASMSTART
	v_cvt_f32_f16 v1, v1;
	;;#ASMEND
	;;#ASMSTART
	v_cvt_f32_f16 v5, v5;
	;;#ASMEND
	scratch_load_b32 v6, off, s32 offset:1020 ; 4-byte Folded Reload
	s_waitcnt vmcnt(0)
	v_and_b32_e32 v6, 0xffff, v6
	;;#ASMSTART
	v_cvt_f32_f16 v6, v6;
	;;#ASMEND
	scratch_load_b32 v7, off, s32 offset:1016 ; 4-byte Folded Reload
	v_fmac_f32_e32 v14, v1, v6
	v_lshrrev_b32_e32 v1, 16, v2
	v_and_b32_e32 v2, 0xffff, v2
	s_waitcnt vmcnt(0)
	v_and_b32_e32 v7, 0xffff, v7
	;;#ASMSTART
	v_cvt_f32_f16 v7, v7;
	;;#ASMEND
	s_delay_alu instid0(VALU_DEP_1)
	v_fmac_f32_e32 v15, v5, v7
	;;#ASMSTART
	v_cvt_f32_f16 v2, v2;
	;;#ASMEND
	;;#ASMSTART
	v_cvt_f32_f16 v1, v1;
	;;#ASMEND
	scratch_load_b32 v5, off, s32 offset:1012 ; 4-byte Folded Reload
	s_waitcnt vmcnt(0)
	v_and_b32_e32 v5, 0xffff, v5
	;;#ASMSTART
	v_cvt_f32_f16 v5, v5;
	;;#ASMEND
	scratch_load_b32 v6, off, s32 offset:1008 ; 4-byte Folded Reload
	v_dual_fmac_f32 v19, v2, v5 :: v_dual_and_b32 v2, 0xffff, v3
	s_waitcnt vmcnt(0)
	v_and_b32_e32 v6, 0xffff, v6
	;;#ASMSTART
	v_cvt_f32_f16 v6, v6;
	;;#ASMEND
	s_delay_alu instid0(VALU_DEP_1)
	v_fmac_f32_e32 v18, v1, v6
	v_lshrrev_b32_e32 v1, 16, v3
	;;#ASMSTART
	v_cvt_f32_f16 v2, v2;
	;;#ASMEND
	;;#ASMSTART
	v_cvt_f32_f16 v1, v1;
	;;#ASMEND
	scratch_load_b32 v3, off, s32 offset:1004 ; 4-byte Folded Reload
	s_waitcnt vmcnt(0)
	v_and_b32_e32 v3, 0xffff, v3
	;;#ASMSTART
	v_cvt_f32_f16 v3, v3;
	;;#ASMEND
	scratch_load_b32 v5, off, s32 offset:1000 ; 4-byte Folded Reload
	v_dual_fmac_f32 v37, v2, v3 :: v_dual_and_b32 v2, 0xffff, v4
	s_waitcnt vmcnt(0)
	v_and_b32_e32 v5, 0xffff, v5
	;;#ASMSTART
	v_cvt_f32_f16 v5, v5;
	;;#ASMEND
	s_delay_alu instid0(VALU_DEP_1)
	v_fmac_f32_e32 v30, v1, v5
	v_lshrrev_b32_e32 v1, 16, v4
	;;#ASMSTART
	v_cvt_f32_f16 v2, v2;
	;;#ASMEND
	;;#ASMSTART
	v_cvt_f32_f16 v1, v1;
	;;#ASMEND
	scratch_load_b32 v3, off, s32 offset:996 ; 4-byte Folded Reload
	s_waitcnt vmcnt(0)
	v_and_b32_e32 v3, 0xffff, v3
	;;#ASMSTART
	v_cvt_f32_f16 v3, v3;
	;;#ASMEND
	scratch_load_b32 v4, off, s32 offset:992 ; 4-byte Folded Reload
	s_waitcnt vmcnt(0)
	v_dual_fmac_f32 v39, v2, v3 :: v_dual_and_b32 v4, 0xffff, v4
	;;#ASMSTART
	v_cvt_f32_f16 v4, v4;
	;;#ASMEND
	s_delay_alu instid0(VALU_DEP_1)
	v_fmac_f32_e32 v38, v1, v4
	ds_load_b128 v[1:4], v8 offset:352
	s_waitcnt lgkmcnt(0)
	v_lshrrev_b32_e32 v5, 16, v1
	v_and_b32_e32 v1, 0xffff, v1
	;;#ASMSTART
	v_cvt_f32_f16 v1, v1;
	;;#ASMEND
	;;#ASMSTART
	v_cvt_f32_f16 v5, v5;
	;;#ASMEND
	scratch_load_b32 v6, off, s32 offset:988 ; 4-byte Folded Reload
	s_waitcnt vmcnt(0)
	v_and_b32_e32 v6, 0xffff, v6
	;;#ASMSTART
	v_cvt_f32_f16 v6, v6;
	;;#ASMEND
	scratch_load_b32 v7, off, s32 offset:984 ; 4-byte Folded Reload
	v_fmac_f32_e32 v14, v1, v6
	v_lshrrev_b32_e32 v1, 16, v2
	v_and_b32_e32 v2, 0xffff, v2
	s_waitcnt vmcnt(0)
	v_and_b32_e32 v7, 0xffff, v7
	;;#ASMSTART
	v_cvt_f32_f16 v7, v7;
	;;#ASMEND
	s_delay_alu instid0(VALU_DEP_1)
	v_fmac_f32_e32 v15, v5, v7
	;;#ASMSTART
	v_cvt_f32_f16 v2, v2;
	;;#ASMEND
	;;#ASMSTART
	v_cvt_f32_f16 v1, v1;
	;;#ASMEND
	scratch_load_b32 v5, off, s32 offset:980 ; 4-byte Folded Reload
	s_waitcnt vmcnt(0)
	v_and_b32_e32 v5, 0xffff, v5
	;;#ASMSTART
	v_cvt_f32_f16 v5, v5;
	;;#ASMEND
	scratch_load_b32 v6, off, s32 offset:976 ; 4-byte Folded Reload
	v_dual_fmac_f32 v19, v2, v5 :: v_dual_and_b32 v2, 0xffff, v3
	s_waitcnt vmcnt(0)
	v_and_b32_e32 v6, 0xffff, v6
	;;#ASMSTART
	v_cvt_f32_f16 v6, v6;
	;;#ASMEND
	s_delay_alu instid0(VALU_DEP_1)
	v_fmac_f32_e32 v18, v1, v6
	v_lshrrev_b32_e32 v1, 16, v3
	;;#ASMSTART
	v_cvt_f32_f16 v2, v2;
	;;#ASMEND
	;;#ASMSTART
	v_cvt_f32_f16 v1, v1;
	;;#ASMEND
	scratch_load_b32 v3, off, s32 offset:972 ; 4-byte Folded Reload
	s_waitcnt vmcnt(0)
	v_and_b32_e32 v3, 0xffff, v3
	;;#ASMSTART
	v_cvt_f32_f16 v3, v3;
	;;#ASMEND
	scratch_load_b32 v5, off, s32 offset:968 ; 4-byte Folded Reload
	v_dual_fmac_f32 v37, v2, v3 :: v_dual_and_b32 v2, 0xffff, v4
	s_waitcnt vmcnt(0)
	v_and_b32_e32 v5, 0xffff, v5
	;;#ASMSTART
	v_cvt_f32_f16 v5, v5;
	;;#ASMEND
	s_delay_alu instid0(VALU_DEP_1)
	v_fmac_f32_e32 v30, v1, v5
	v_lshrrev_b32_e32 v1, 16, v4
	;;#ASMSTART
	v_cvt_f32_f16 v2, v2;
	;;#ASMEND
	;;#ASMSTART
	v_cvt_f32_f16 v1, v1;
	;;#ASMEND
	scratch_load_b32 v3, off, s32 offset:964 ; 4-byte Folded Reload
	s_waitcnt vmcnt(0)
	v_and_b32_e32 v3, 0xffff, v3
	;;#ASMSTART
	v_cvt_f32_f16 v3, v3;
	;;#ASMEND
	scratch_load_b32 v4, off, s32 offset:960 ; 4-byte Folded Reload
	s_waitcnt vmcnt(0)
	v_dual_fmac_f32 v39, v2, v3 :: v_dual_and_b32 v4, 0xffff, v4
	;;#ASMSTART
	v_cvt_f32_f16 v4, v4;
	;;#ASMEND
	s_delay_alu instid0(VALU_DEP_1)
	v_fmac_f32_e32 v38, v1, v4
	ds_load_b128 v[1:4], v8 offset:368
	s_waitcnt lgkmcnt(0)
	v_lshrrev_b32_e32 v5, 16, v1
	v_and_b32_e32 v1, 0xffff, v1
	;;#ASMSTART
	v_cvt_f32_f16 v1, v1;
	;;#ASMEND
	;;#ASMSTART
	v_cvt_f32_f16 v5, v5;
	;;#ASMEND
	scratch_load_b32 v6, off, s32 offset:956 ; 4-byte Folded Reload
	s_waitcnt vmcnt(0)
	v_and_b32_e32 v6, 0xffff, v6
	;;#ASMSTART
	v_cvt_f32_f16 v6, v6;
	;;#ASMEND
	scratch_load_b32 v7, off, s32 offset:952 ; 4-byte Folded Reload
	v_fmac_f32_e32 v14, v1, v6
	v_lshrrev_b32_e32 v1, 16, v2
	v_and_b32_e32 v2, 0xffff, v2
	s_waitcnt vmcnt(0)
	v_and_b32_e32 v7, 0xffff, v7
	;;#ASMSTART
	v_cvt_f32_f16 v7, v7;
	;;#ASMEND
	s_delay_alu instid0(VALU_DEP_1)
	v_fmac_f32_e32 v15, v5, v7
	;;#ASMSTART
	v_cvt_f32_f16 v2, v2;
	;;#ASMEND
	;;#ASMSTART
	v_cvt_f32_f16 v1, v1;
	;;#ASMEND
	scratch_load_b32 v5, off, s32 offset:948 ; 4-byte Folded Reload
	s_waitcnt vmcnt(0)
	v_and_b32_e32 v5, 0xffff, v5
	;;#ASMSTART
	v_cvt_f32_f16 v5, v5;
	;;#ASMEND
	scratch_load_b32 v6, off, s32 offset:944 ; 4-byte Folded Reload
	v_dual_fmac_f32 v19, v2, v5 :: v_dual_and_b32 v2, 0xffff, v3
	s_waitcnt vmcnt(0)
	v_and_b32_e32 v6, 0xffff, v6
	;;#ASMSTART
	v_cvt_f32_f16 v6, v6;
	;;#ASMEND
	s_delay_alu instid0(VALU_DEP_1)
	v_fmac_f32_e32 v18, v1, v6
	v_lshrrev_b32_e32 v1, 16, v3
	;;#ASMSTART
	v_cvt_f32_f16 v2, v2;
	;;#ASMEND
	;;#ASMSTART
	v_cvt_f32_f16 v1, v1;
	;;#ASMEND
	scratch_load_b32 v3, off, s32 offset:940 ; 4-byte Folded Reload
	s_waitcnt vmcnt(0)
	v_and_b32_e32 v3, 0xffff, v3
	;;#ASMSTART
	v_cvt_f32_f16 v3, v3;
	;;#ASMEND
	scratch_load_b32 v5, off, s32 offset:936 ; 4-byte Folded Reload
	v_dual_fmac_f32 v37, v2, v3 :: v_dual_and_b32 v2, 0xffff, v4
	s_waitcnt vmcnt(0)
	v_and_b32_e32 v5, 0xffff, v5
	;;#ASMSTART
	v_cvt_f32_f16 v5, v5;
	;;#ASMEND
	s_delay_alu instid0(VALU_DEP_1)
	v_fmac_f32_e32 v30, v1, v5
	v_lshrrev_b32_e32 v1, 16, v4
	;;#ASMSTART
	v_cvt_f32_f16 v2, v2;
	;;#ASMEND
	;;#ASMSTART
	v_cvt_f32_f16 v1, v1;
	;;#ASMEND
	scratch_load_b32 v3, off, s32 offset:932 ; 4-byte Folded Reload
	s_waitcnt vmcnt(0)
	v_and_b32_e32 v3, 0xffff, v3
	;;#ASMSTART
	v_cvt_f32_f16 v3, v3;
	;;#ASMEND
	scratch_load_b32 v4, off, s32 offset:928 ; 4-byte Folded Reload
	s_waitcnt vmcnt(0)
	v_dual_fmac_f32 v39, v2, v3 :: v_dual_and_b32 v4, 0xffff, v4
	;;#ASMSTART
	v_cvt_f32_f16 v4, v4;
	;;#ASMEND
	s_delay_alu instid0(VALU_DEP_1)
	v_fmac_f32_e32 v38, v1, v4
	ds_load_b128 v[1:4], v8 offset:384
	s_waitcnt lgkmcnt(0)
	v_lshrrev_b32_e32 v5, 16, v1
	v_and_b32_e32 v1, 0xffff, v1
	;;#ASMSTART
	v_cvt_f32_f16 v1, v1;
	;;#ASMEND
	;;#ASMSTART
	v_cvt_f32_f16 v5, v5;
	;;#ASMEND
	scratch_load_b32 v6, off, s32 offset:924 ; 4-byte Folded Reload
	s_waitcnt vmcnt(0)
	v_and_b32_e32 v6, 0xffff, v6
	;;#ASMSTART
	v_cvt_f32_f16 v6, v6;
	;;#ASMEND
	scratch_load_b32 v7, off, s32 offset:920 ; 4-byte Folded Reload
	v_fmac_f32_e32 v14, v1, v6
	v_lshrrev_b32_e32 v1, 16, v2
	v_and_b32_e32 v2, 0xffff, v2
	s_waitcnt vmcnt(0)
	v_and_b32_e32 v7, 0xffff, v7
	;;#ASMSTART
	v_cvt_f32_f16 v7, v7;
	;;#ASMEND
	s_delay_alu instid0(VALU_DEP_1)
	v_fmac_f32_e32 v15, v5, v7
	;;#ASMSTART
	v_cvt_f32_f16 v2, v2;
	;;#ASMEND
	;;#ASMSTART
	v_cvt_f32_f16 v1, v1;
	;;#ASMEND
	scratch_load_b32 v5, off, s32 offset:916 ; 4-byte Folded Reload
	s_waitcnt vmcnt(0)
	v_and_b32_e32 v5, 0xffff, v5
	;;#ASMSTART
	v_cvt_f32_f16 v5, v5;
	;;#ASMEND
	scratch_load_b32 v6, off, s32 offset:912 ; 4-byte Folded Reload
	v_dual_fmac_f32 v19, v2, v5 :: v_dual_and_b32 v2, 0xffff, v3
	s_waitcnt vmcnt(0)
	v_and_b32_e32 v6, 0xffff, v6
	;;#ASMSTART
	v_cvt_f32_f16 v6, v6;
	;;#ASMEND
	s_delay_alu instid0(VALU_DEP_1)
	v_fmac_f32_e32 v18, v1, v6
	v_lshrrev_b32_e32 v1, 16, v3
	;;#ASMSTART
	v_cvt_f32_f16 v2, v2;
	;;#ASMEND
	;;#ASMSTART
	v_cvt_f32_f16 v1, v1;
	;;#ASMEND
	scratch_load_b32 v3, off, s32 offset:908 ; 4-byte Folded Reload
	s_waitcnt vmcnt(0)
	v_and_b32_e32 v3, 0xffff, v3
	;;#ASMSTART
	v_cvt_f32_f16 v3, v3;
	;;#ASMEND
	scratch_load_b32 v5, off, s32 offset:904 ; 4-byte Folded Reload
	v_dual_fmac_f32 v37, v2, v3 :: v_dual_and_b32 v2, 0xffff, v4
	s_waitcnt vmcnt(0)
	v_and_b32_e32 v5, 0xffff, v5
	;;#ASMSTART
	v_cvt_f32_f16 v5, v5;
	;;#ASMEND
	s_delay_alu instid0(VALU_DEP_1)
	v_fmac_f32_e32 v30, v1, v5
	v_lshrrev_b32_e32 v1, 16, v4
	;;#ASMSTART
	v_cvt_f32_f16 v2, v2;
	;;#ASMEND
	;;#ASMSTART
	v_cvt_f32_f16 v1, v1;
	;;#ASMEND
	scratch_load_b32 v3, off, s32 offset:900 ; 4-byte Folded Reload
	s_waitcnt vmcnt(0)
	v_and_b32_e32 v3, 0xffff, v3
	;;#ASMSTART
	v_cvt_f32_f16 v3, v3;
	;;#ASMEND
	scratch_load_b32 v4, off, s32 offset:896 ; 4-byte Folded Reload
	s_waitcnt vmcnt(0)
	v_dual_fmac_f32 v39, v2, v3 :: v_dual_and_b32 v4, 0xffff, v4
	;;#ASMSTART
	v_cvt_f32_f16 v4, v4;
	;;#ASMEND
	s_delay_alu instid0(VALU_DEP_1)
	v_fmac_f32_e32 v38, v1, v4
	ds_load_b128 v[1:4], v8 offset:400
	s_waitcnt lgkmcnt(0)
	v_lshrrev_b32_e32 v5, 16, v1
	v_and_b32_e32 v1, 0xffff, v1
	;;#ASMSTART
	v_cvt_f32_f16 v1, v1;
	;;#ASMEND
	;;#ASMSTART
	v_cvt_f32_f16 v5, v5;
	;;#ASMEND
	scratch_load_b32 v6, off, s32 offset:892 ; 4-byte Folded Reload
	s_waitcnt vmcnt(0)
	v_and_b32_e32 v6, 0xffff, v6
	;;#ASMSTART
	v_cvt_f32_f16 v6, v6;
	;;#ASMEND
	scratch_load_b32 v7, off, s32 offset:888 ; 4-byte Folded Reload
	v_fmac_f32_e32 v14, v1, v6
	v_lshrrev_b32_e32 v1, 16, v2
	v_and_b32_e32 v2, 0xffff, v2
	s_waitcnt vmcnt(0)
	v_and_b32_e32 v7, 0xffff, v7
	;;#ASMSTART
	v_cvt_f32_f16 v7, v7;
	;;#ASMEND
	s_delay_alu instid0(VALU_DEP_1)
	v_fmac_f32_e32 v15, v5, v7
	;;#ASMSTART
	v_cvt_f32_f16 v2, v2;
	;;#ASMEND
	;;#ASMSTART
	v_cvt_f32_f16 v1, v1;
	;;#ASMEND
	scratch_load_b32 v5, off, s32 offset:884 ; 4-byte Folded Reload
	s_waitcnt vmcnt(0)
	v_and_b32_e32 v5, 0xffff, v5
	;;#ASMSTART
	v_cvt_f32_f16 v5, v5;
	;;#ASMEND
	scratch_load_b32 v6, off, s32 offset:880 ; 4-byte Folded Reload
	v_dual_fmac_f32 v19, v2, v5 :: v_dual_and_b32 v2, 0xffff, v3
	s_waitcnt vmcnt(0)
	v_and_b32_e32 v6, 0xffff, v6
	;;#ASMSTART
	v_cvt_f32_f16 v6, v6;
	;;#ASMEND
	s_delay_alu instid0(VALU_DEP_1)
	v_fmac_f32_e32 v18, v1, v6
	v_lshrrev_b32_e32 v1, 16, v3
	;;#ASMSTART
	v_cvt_f32_f16 v2, v2;
	;;#ASMEND
	;;#ASMSTART
	v_cvt_f32_f16 v1, v1;
	;;#ASMEND
	scratch_load_b32 v3, off, s32 offset:876 ; 4-byte Folded Reload
	s_waitcnt vmcnt(0)
	v_and_b32_e32 v3, 0xffff, v3
	;;#ASMSTART
	v_cvt_f32_f16 v3, v3;
	;;#ASMEND
	scratch_load_b32 v5, off, s32 offset:872 ; 4-byte Folded Reload
	v_dual_fmac_f32 v37, v2, v3 :: v_dual_and_b32 v2, 0xffff, v4
	s_waitcnt vmcnt(0)
	v_and_b32_e32 v5, 0xffff, v5
	;;#ASMSTART
	v_cvt_f32_f16 v5, v5;
	;;#ASMEND
	s_delay_alu instid0(VALU_DEP_1)
	v_fmac_f32_e32 v30, v1, v5
	v_lshrrev_b32_e32 v1, 16, v4
	;;#ASMSTART
	v_cvt_f32_f16 v2, v2;
	;;#ASMEND
	;;#ASMSTART
	v_cvt_f32_f16 v1, v1;
	;;#ASMEND
	scratch_load_b32 v3, off, s32 offset:868 ; 4-byte Folded Reload
	s_waitcnt vmcnt(0)
	v_and_b32_e32 v3, 0xffff, v3
	;;#ASMSTART
	v_cvt_f32_f16 v3, v3;
	;;#ASMEND
	scratch_load_b32 v4, off, s32 offset:864 ; 4-byte Folded Reload
	s_waitcnt vmcnt(0)
	v_dual_fmac_f32 v39, v2, v3 :: v_dual_and_b32 v4, 0xffff, v4
	;;#ASMSTART
	v_cvt_f32_f16 v4, v4;
	;;#ASMEND
	s_delay_alu instid0(VALU_DEP_1)
	v_fmac_f32_e32 v38, v1, v4
	ds_load_b128 v[1:4], v8 offset:416
	s_waitcnt lgkmcnt(0)
	v_lshrrev_b32_e32 v5, 16, v1
	v_and_b32_e32 v1, 0xffff, v1
	;;#ASMSTART
	v_cvt_f32_f16 v1, v1;
	;;#ASMEND
	;;#ASMSTART
	v_cvt_f32_f16 v5, v5;
	;;#ASMEND
	scratch_load_b32 v6, off, s32 offset:860 ; 4-byte Folded Reload
	s_waitcnt vmcnt(0)
	v_and_b32_e32 v6, 0xffff, v6
	;;#ASMSTART
	v_cvt_f32_f16 v6, v6;
	;;#ASMEND
	scratch_load_b32 v7, off, s32 offset:856 ; 4-byte Folded Reload
	v_fmac_f32_e32 v14, v1, v6
	v_lshrrev_b32_e32 v1, 16, v2
	v_and_b32_e32 v2, 0xffff, v2
	s_waitcnt vmcnt(0)
	v_and_b32_e32 v7, 0xffff, v7
	;;#ASMSTART
	v_cvt_f32_f16 v7, v7;
	;;#ASMEND
	s_delay_alu instid0(VALU_DEP_1)
	v_fmac_f32_e32 v15, v5, v7
	;;#ASMSTART
	v_cvt_f32_f16 v2, v2;
	;;#ASMEND
	;;#ASMSTART
	v_cvt_f32_f16 v1, v1;
	;;#ASMEND
	scratch_load_b32 v5, off, s32 offset:852 ; 4-byte Folded Reload
	s_waitcnt vmcnt(0)
	v_and_b32_e32 v5, 0xffff, v5
	;;#ASMSTART
	v_cvt_f32_f16 v5, v5;
	;;#ASMEND
	scratch_load_b32 v6, off, s32 offset:848 ; 4-byte Folded Reload
	v_dual_fmac_f32 v19, v2, v5 :: v_dual_and_b32 v2, 0xffff, v3
	s_waitcnt vmcnt(0)
	v_and_b32_e32 v6, 0xffff, v6
	;;#ASMSTART
	v_cvt_f32_f16 v6, v6;
	;;#ASMEND
	s_delay_alu instid0(VALU_DEP_1)
	v_fmac_f32_e32 v18, v1, v6
	v_lshrrev_b32_e32 v1, 16, v3
	;;#ASMSTART
	v_cvt_f32_f16 v2, v2;
	;;#ASMEND
	;;#ASMSTART
	v_cvt_f32_f16 v1, v1;
	;;#ASMEND
	scratch_load_b32 v3, off, s32 offset:844 ; 4-byte Folded Reload
	s_waitcnt vmcnt(0)
	v_and_b32_e32 v3, 0xffff, v3
	;;#ASMSTART
	v_cvt_f32_f16 v3, v3;
	;;#ASMEND
	scratch_load_b32 v5, off, s32 offset:840 ; 4-byte Folded Reload
	v_dual_fmac_f32 v37, v2, v3 :: v_dual_and_b32 v2, 0xffff, v4
	s_waitcnt vmcnt(0)
	v_and_b32_e32 v5, 0xffff, v5
	;;#ASMSTART
	v_cvt_f32_f16 v5, v5;
	;;#ASMEND
	s_delay_alu instid0(VALU_DEP_1)
	v_fmac_f32_e32 v30, v1, v5
	v_lshrrev_b32_e32 v1, 16, v4
	;;#ASMSTART
	v_cvt_f32_f16 v2, v2;
	;;#ASMEND
	;;#ASMSTART
	v_cvt_f32_f16 v1, v1;
	;;#ASMEND
	scratch_load_b32 v3, off, s32 offset:836 ; 4-byte Folded Reload
	s_waitcnt vmcnt(0)
	v_and_b32_e32 v3, 0xffff, v3
	;;#ASMSTART
	v_cvt_f32_f16 v3, v3;
	;;#ASMEND
	scratch_load_b32 v4, off, s32 offset:832 ; 4-byte Folded Reload
	s_waitcnt vmcnt(0)
	v_dual_fmac_f32 v39, v2, v3 :: v_dual_and_b32 v4, 0xffff, v4
	;;#ASMSTART
	v_cvt_f32_f16 v4, v4;
	;;#ASMEND
	s_delay_alu instid0(VALU_DEP_1)
	v_fmac_f32_e32 v38, v1, v4
	ds_load_b128 v[1:4], v8 offset:432
	s_waitcnt lgkmcnt(0)
	v_lshrrev_b32_e32 v5, 16, v1
	v_and_b32_e32 v1, 0xffff, v1
	;;#ASMSTART
	v_cvt_f32_f16 v1, v1;
	;;#ASMEND
	;;#ASMSTART
	v_cvt_f32_f16 v5, v5;
	;;#ASMEND
	scratch_load_b32 v6, off, s32 offset:828 ; 4-byte Folded Reload
	s_waitcnt vmcnt(0)
	v_and_b32_e32 v6, 0xffff, v6
	;;#ASMSTART
	v_cvt_f32_f16 v6, v6;
	;;#ASMEND
	scratch_load_b32 v7, off, s32 offset:824 ; 4-byte Folded Reload
	v_fmac_f32_e32 v14, v1, v6
	v_lshrrev_b32_e32 v1, 16, v2
	v_and_b32_e32 v2, 0xffff, v2
	s_waitcnt vmcnt(0)
	v_and_b32_e32 v7, 0xffff, v7
	;;#ASMSTART
	v_cvt_f32_f16 v7, v7;
	;;#ASMEND
	s_delay_alu instid0(VALU_DEP_1)
	v_fmac_f32_e32 v15, v5, v7
	;;#ASMSTART
	v_cvt_f32_f16 v2, v2;
	;;#ASMEND
	;;#ASMSTART
	v_cvt_f32_f16 v1, v1;
	;;#ASMEND
	scratch_load_b32 v5, off, s32 offset:820 ; 4-byte Folded Reload
	s_waitcnt vmcnt(0)
	v_and_b32_e32 v5, 0xffff, v5
	;;#ASMSTART
	v_cvt_f32_f16 v5, v5;
	;;#ASMEND
	scratch_load_b32 v6, off, s32 offset:816 ; 4-byte Folded Reload
	v_dual_fmac_f32 v19, v2, v5 :: v_dual_and_b32 v2, 0xffff, v3
	s_waitcnt vmcnt(0)
	v_and_b32_e32 v6, 0xffff, v6
	;;#ASMSTART
	v_cvt_f32_f16 v6, v6;
	;;#ASMEND
	s_delay_alu instid0(VALU_DEP_1)
	v_fmac_f32_e32 v18, v1, v6
	v_lshrrev_b32_e32 v1, 16, v3
	;;#ASMSTART
	v_cvt_f32_f16 v2, v2;
	;;#ASMEND
	;;#ASMSTART
	v_cvt_f32_f16 v1, v1;
	;;#ASMEND
	scratch_load_b32 v3, off, s32 offset:812 ; 4-byte Folded Reload
	s_waitcnt vmcnt(0)
	v_and_b32_e32 v3, 0xffff, v3
	;;#ASMSTART
	v_cvt_f32_f16 v3, v3;
	;;#ASMEND
	scratch_load_b32 v5, off, s32 offset:808 ; 4-byte Folded Reload
	v_dual_fmac_f32 v37, v2, v3 :: v_dual_and_b32 v2, 0xffff, v4
	s_waitcnt vmcnt(0)
	v_and_b32_e32 v5, 0xffff, v5
	;;#ASMSTART
	v_cvt_f32_f16 v5, v5;
	;;#ASMEND
	s_delay_alu instid0(VALU_DEP_1)
	v_fmac_f32_e32 v30, v1, v5
	v_lshrrev_b32_e32 v1, 16, v4
	;;#ASMSTART
	v_cvt_f32_f16 v2, v2;
	;;#ASMEND
	;;#ASMSTART
	v_cvt_f32_f16 v1, v1;
	;;#ASMEND
	scratch_load_b32 v3, off, s32 offset:804 ; 4-byte Folded Reload
	s_waitcnt vmcnt(0)
	v_and_b32_e32 v3, 0xffff, v3
	;;#ASMSTART
	v_cvt_f32_f16 v3, v3;
	;;#ASMEND
	scratch_load_b32 v4, off, s32 offset:800 ; 4-byte Folded Reload
	s_waitcnt vmcnt(0)
	v_dual_fmac_f32 v39, v2, v3 :: v_dual_and_b32 v4, 0xffff, v4
	;;#ASMSTART
	v_cvt_f32_f16 v4, v4;
	;;#ASMEND
	s_delay_alu instid0(VALU_DEP_1)
	v_fmac_f32_e32 v38, v1, v4
	ds_load_b128 v[1:4], v8 offset:448
	s_waitcnt lgkmcnt(0)
	v_lshrrev_b32_e32 v5, 16, v1
	v_and_b32_e32 v1, 0xffff, v1
	;;#ASMSTART
	v_cvt_f32_f16 v1, v1;
	;;#ASMEND
	;;#ASMSTART
	v_cvt_f32_f16 v5, v5;
	;;#ASMEND
	scratch_load_b32 v6, off, s32 offset:796 ; 4-byte Folded Reload
	s_waitcnt vmcnt(0)
	v_and_b32_e32 v6, 0xffff, v6
	;;#ASMSTART
	v_cvt_f32_f16 v6, v6;
	;;#ASMEND
	scratch_load_b32 v7, off, s32 offset:792 ; 4-byte Folded Reload
	v_fmac_f32_e32 v14, v1, v6
	v_lshrrev_b32_e32 v1, 16, v2
	v_and_b32_e32 v2, 0xffff, v2
	s_waitcnt vmcnt(0)
	v_and_b32_e32 v7, 0xffff, v7
	;;#ASMSTART
	v_cvt_f32_f16 v7, v7;
	;;#ASMEND
	s_delay_alu instid0(VALU_DEP_1)
	v_fmac_f32_e32 v15, v5, v7
	;;#ASMSTART
	v_cvt_f32_f16 v2, v2;
	;;#ASMEND
	;;#ASMSTART
	v_cvt_f32_f16 v1, v1;
	;;#ASMEND
	scratch_load_b32 v5, off, s32 offset:788 ; 4-byte Folded Reload
	s_waitcnt vmcnt(0)
	v_and_b32_e32 v5, 0xffff, v5
	;;#ASMSTART
	v_cvt_f32_f16 v5, v5;
	;;#ASMEND
	scratch_load_b32 v6, off, s32 offset:784 ; 4-byte Folded Reload
	v_dual_fmac_f32 v19, v2, v5 :: v_dual_and_b32 v2, 0xffff, v3
	s_waitcnt vmcnt(0)
	v_and_b32_e32 v6, 0xffff, v6
	;;#ASMSTART
	v_cvt_f32_f16 v6, v6;
	;;#ASMEND
	s_delay_alu instid0(VALU_DEP_1)
	v_fmac_f32_e32 v18, v1, v6
	v_lshrrev_b32_e32 v1, 16, v3
	;;#ASMSTART
	v_cvt_f32_f16 v2, v2;
	;;#ASMEND
	;;#ASMSTART
	v_cvt_f32_f16 v1, v1;
	;;#ASMEND
	scratch_load_b32 v3, off, s32 offset:780 ; 4-byte Folded Reload
	s_waitcnt vmcnt(0)
	v_and_b32_e32 v3, 0xffff, v3
	;;#ASMSTART
	v_cvt_f32_f16 v3, v3;
	;;#ASMEND
	scratch_load_b32 v5, off, s32 offset:776 ; 4-byte Folded Reload
	v_dual_fmac_f32 v37, v2, v3 :: v_dual_and_b32 v2, 0xffff, v4
	s_waitcnt vmcnt(0)
	v_and_b32_e32 v5, 0xffff, v5
	;;#ASMSTART
	v_cvt_f32_f16 v5, v5;
	;;#ASMEND
	s_delay_alu instid0(VALU_DEP_1)
	v_fmac_f32_e32 v30, v1, v5
	v_lshrrev_b32_e32 v1, 16, v4
	;;#ASMSTART
	v_cvt_f32_f16 v2, v2;
	;;#ASMEND
	;;#ASMSTART
	v_cvt_f32_f16 v1, v1;
	;;#ASMEND
	scratch_load_b32 v3, off, s32 offset:772 ; 4-byte Folded Reload
	s_waitcnt vmcnt(0)
	v_and_b32_e32 v3, 0xffff, v3
	;;#ASMSTART
	v_cvt_f32_f16 v3, v3;
	;;#ASMEND
	scratch_load_b32 v4, off, s32 offset:768 ; 4-byte Folded Reload
	s_waitcnt vmcnt(0)
	v_dual_fmac_f32 v39, v2, v3 :: v_dual_and_b32 v4, 0xffff, v4
	;;#ASMSTART
	v_cvt_f32_f16 v4, v4;
	;;#ASMEND
	s_delay_alu instid0(VALU_DEP_1)
	v_fmac_f32_e32 v38, v1, v4
	ds_load_b128 v[1:4], v8 offset:464
	s_waitcnt lgkmcnt(0)
	v_lshrrev_b32_e32 v5, 16, v1
	v_and_b32_e32 v1, 0xffff, v1
	;;#ASMSTART
	v_cvt_f32_f16 v1, v1;
	;;#ASMEND
	;;#ASMSTART
	v_cvt_f32_f16 v5, v5;
	;;#ASMEND
	scratch_load_b32 v6, off, s32 offset:764 ; 4-byte Folded Reload
	s_waitcnt vmcnt(0)
	v_and_b32_e32 v6, 0xffff, v6
	;;#ASMSTART
	v_cvt_f32_f16 v6, v6;
	;;#ASMEND
	scratch_load_b32 v7, off, s32 offset:760 ; 4-byte Folded Reload
	v_fmac_f32_e32 v14, v1, v6
	v_lshrrev_b32_e32 v1, 16, v2
	v_and_b32_e32 v2, 0xffff, v2
	s_waitcnt vmcnt(0)
	v_and_b32_e32 v7, 0xffff, v7
	;;#ASMSTART
	v_cvt_f32_f16 v7, v7;
	;;#ASMEND
	s_delay_alu instid0(VALU_DEP_1)
	v_fmac_f32_e32 v15, v5, v7
	;;#ASMSTART
	v_cvt_f32_f16 v2, v2;
	;;#ASMEND
	;;#ASMSTART
	v_cvt_f32_f16 v1, v1;
	;;#ASMEND
	scratch_load_b32 v5, off, s32 offset:756 ; 4-byte Folded Reload
	s_waitcnt vmcnt(0)
	v_and_b32_e32 v5, 0xffff, v5
	;;#ASMSTART
	v_cvt_f32_f16 v5, v5;
	;;#ASMEND
	scratch_load_b32 v6, off, s32 offset:752 ; 4-byte Folded Reload
	v_dual_fmac_f32 v19, v2, v5 :: v_dual_and_b32 v2, 0xffff, v3
	s_waitcnt vmcnt(0)
	v_and_b32_e32 v6, 0xffff, v6
	;;#ASMSTART
	v_cvt_f32_f16 v6, v6;
	;;#ASMEND
	s_delay_alu instid0(VALU_DEP_1)
	v_fmac_f32_e32 v18, v1, v6
	v_lshrrev_b32_e32 v1, 16, v3
	;;#ASMSTART
	v_cvt_f32_f16 v2, v2;
	;;#ASMEND
	;;#ASMSTART
	v_cvt_f32_f16 v1, v1;
	;;#ASMEND
	scratch_load_b32 v3, off, s32 offset:748 ; 4-byte Folded Reload
	s_waitcnt vmcnt(0)
	v_and_b32_e32 v3, 0xffff, v3
	;;#ASMSTART
	v_cvt_f32_f16 v3, v3;
	;;#ASMEND
	scratch_load_b32 v5, off, s32 offset:744 ; 4-byte Folded Reload
	v_dual_fmac_f32 v37, v2, v3 :: v_dual_and_b32 v2, 0xffff, v4
	s_waitcnt vmcnt(0)
	v_and_b32_e32 v5, 0xffff, v5
	;;#ASMSTART
	v_cvt_f32_f16 v5, v5;
	;;#ASMEND
	s_delay_alu instid0(VALU_DEP_1)
	v_fmac_f32_e32 v30, v1, v5
	v_lshrrev_b32_e32 v1, 16, v4
	;;#ASMSTART
	v_cvt_f32_f16 v2, v2;
	;;#ASMEND
	;;#ASMSTART
	v_cvt_f32_f16 v1, v1;
	;;#ASMEND
	scratch_load_b32 v3, off, s32 offset:740 ; 4-byte Folded Reload
	s_waitcnt vmcnt(0)
	v_and_b32_e32 v3, 0xffff, v3
	;;#ASMSTART
	v_cvt_f32_f16 v3, v3;
	;;#ASMEND
	scratch_load_b32 v4, off, s32 offset:736 ; 4-byte Folded Reload
	s_waitcnt vmcnt(0)
	v_dual_fmac_f32 v39, v2, v3 :: v_dual_and_b32 v4, 0xffff, v4
	;;#ASMSTART
	v_cvt_f32_f16 v4, v4;
	;;#ASMEND
	s_delay_alu instid0(VALU_DEP_1)
	v_fmac_f32_e32 v38, v1, v4
	ds_load_b128 v[1:4], v8 offset:480
	s_waitcnt lgkmcnt(0)
	v_lshrrev_b32_e32 v5, 16, v1
	v_and_b32_e32 v1, 0xffff, v1
	;;#ASMSTART
	v_cvt_f32_f16 v1, v1;
	;;#ASMEND
	;;#ASMSTART
	v_cvt_f32_f16 v5, v5;
	;;#ASMEND
	scratch_load_b32 v6, off, s32 offset:732 ; 4-byte Folded Reload
	s_waitcnt vmcnt(0)
	v_and_b32_e32 v6, 0xffff, v6
	;;#ASMSTART
	v_cvt_f32_f16 v6, v6;
	;;#ASMEND
	scratch_load_b32 v7, off, s32 offset:728 ; 4-byte Folded Reload
	v_fmac_f32_e32 v14, v1, v6
	v_lshrrev_b32_e32 v1, 16, v2
	v_and_b32_e32 v2, 0xffff, v2
	s_waitcnt vmcnt(0)
	v_and_b32_e32 v7, 0xffff, v7
	;;#ASMSTART
	v_cvt_f32_f16 v7, v7;
	;;#ASMEND
	s_delay_alu instid0(VALU_DEP_1)
	v_fmac_f32_e32 v15, v5, v7
	;;#ASMSTART
	v_cvt_f32_f16 v2, v2;
	;;#ASMEND
	;;#ASMSTART
	v_cvt_f32_f16 v1, v1;
	;;#ASMEND
	scratch_load_b32 v5, off, s32 offset:724 ; 4-byte Folded Reload
	s_waitcnt vmcnt(0)
	v_and_b32_e32 v5, 0xffff, v5
	;;#ASMSTART
	v_cvt_f32_f16 v5, v5;
	;;#ASMEND
	scratch_load_b32 v6, off, s32 offset:720 ; 4-byte Folded Reload
	v_dual_fmac_f32 v19, v2, v5 :: v_dual_and_b32 v2, 0xffff, v3
	s_waitcnt vmcnt(0)
	v_and_b32_e32 v6, 0xffff, v6
	;;#ASMSTART
	v_cvt_f32_f16 v6, v6;
	;;#ASMEND
	s_delay_alu instid0(VALU_DEP_1)
	v_fmac_f32_e32 v18, v1, v6
	v_lshrrev_b32_e32 v1, 16, v3
	;;#ASMSTART
	v_cvt_f32_f16 v2, v2;
	;;#ASMEND
	;;#ASMSTART
	v_cvt_f32_f16 v1, v1;
	;;#ASMEND
	scratch_load_b32 v3, off, s32 offset:716 ; 4-byte Folded Reload
	s_waitcnt vmcnt(0)
	v_and_b32_e32 v3, 0xffff, v3
	;;#ASMSTART
	v_cvt_f32_f16 v3, v3;
	;;#ASMEND
	scratch_load_b32 v5, off, s32 offset:712 ; 4-byte Folded Reload
	v_dual_fmac_f32 v37, v2, v3 :: v_dual_and_b32 v2, 0xffff, v4
	s_waitcnt vmcnt(0)
	v_and_b32_e32 v5, 0xffff, v5
	;;#ASMSTART
	v_cvt_f32_f16 v5, v5;
	;;#ASMEND
	s_delay_alu instid0(VALU_DEP_1)
	v_fmac_f32_e32 v30, v1, v5
	v_lshrrev_b32_e32 v1, 16, v4
	;;#ASMSTART
	v_cvt_f32_f16 v2, v2;
	;;#ASMEND
	;;#ASMSTART
	v_cvt_f32_f16 v1, v1;
	;;#ASMEND
	scratch_load_b32 v3, off, s32 offset:708 ; 4-byte Folded Reload
	s_waitcnt vmcnt(0)
	v_and_b32_e32 v3, 0xffff, v3
	;;#ASMSTART
	v_cvt_f32_f16 v3, v3;
	;;#ASMEND
	scratch_load_b32 v4, off, s32 offset:704 ; 4-byte Folded Reload
	s_waitcnt vmcnt(0)
	v_dual_fmac_f32 v39, v2, v3 :: v_dual_and_b32 v4, 0xffff, v4
	;;#ASMSTART
	v_cvt_f32_f16 v4, v4;
	;;#ASMEND
	s_delay_alu instid0(VALU_DEP_1)
	v_fmac_f32_e32 v38, v1, v4
	ds_load_b128 v[1:4], v8 offset:496
	s_waitcnt lgkmcnt(0)
	v_lshrrev_b32_e32 v5, 16, v1
	v_and_b32_e32 v1, 0xffff, v1
	;;#ASMSTART
	v_cvt_f32_f16 v1, v1;
	;;#ASMEND
	;;#ASMSTART
	v_cvt_f32_f16 v5, v5;
	;;#ASMEND
	scratch_load_b32 v6, off, s32 offset:392 ; 4-byte Folded Reload
	s_waitcnt vmcnt(0)
	v_and_b32_e32 v6, 0xffff, v6
	;;#ASMSTART
	v_cvt_f32_f16 v6, v6;
	;;#ASMEND
	scratch_load_b32 v7, off, s32 offset:388 ; 4-byte Folded Reload
	v_fmac_f32_e32 v14, v1, v6
	v_lshrrev_b32_e32 v1, 16, v2
	v_and_b32_e32 v2, 0xffff, v2
	s_waitcnt vmcnt(0)
	v_and_b32_e32 v7, 0xffff, v7
	;;#ASMSTART
	v_cvt_f32_f16 v7, v7;
	;;#ASMEND
	s_delay_alu instid0(VALU_DEP_1)
	v_fmac_f32_e32 v15, v5, v7
	;;#ASMSTART
	v_cvt_f32_f16 v2, v2;
	;;#ASMEND
	;;#ASMSTART
	v_cvt_f32_f16 v1, v1;
	;;#ASMEND
	scratch_load_b32 v5, off, s32 offset:384 ; 4-byte Folded Reload
	s_waitcnt vmcnt(0)
	v_and_b32_e32 v5, 0xffff, v5
	;;#ASMSTART
	v_cvt_f32_f16 v5, v5;
	;;#ASMEND
	scratch_load_b32 v6, off, s32 offset:380 ; 4-byte Folded Reload
	v_dual_fmac_f32 v19, v2, v5 :: v_dual_and_b32 v2, 0xffff, v3
	s_waitcnt vmcnt(0)
	v_and_b32_e32 v6, 0xffff, v6
	;;#ASMSTART
	v_cvt_f32_f16 v6, v6;
	;;#ASMEND
	s_delay_alu instid0(VALU_DEP_1)
	v_fmac_f32_e32 v18, v1, v6
	v_lshrrev_b32_e32 v1, 16, v3
	;;#ASMSTART
	v_cvt_f32_f16 v2, v2;
	;;#ASMEND
	;;#ASMSTART
	v_cvt_f32_f16 v1, v1;
	;;#ASMEND
	scratch_load_b32 v3, off, s32 offset:376 ; 4-byte Folded Reload
	s_waitcnt vmcnt(0)
	v_and_b32_e32 v3, 0xffff, v3
	;;#ASMSTART
	v_cvt_f32_f16 v3, v3;
	;;#ASMEND
	scratch_load_b32 v5, off, s32 offset:372 ; 4-byte Folded Reload
	v_dual_fmac_f32 v37, v2, v3 :: v_dual_and_b32 v2, 0xffff, v4
	s_waitcnt vmcnt(0)
	v_and_b32_e32 v5, 0xffff, v5
	;;#ASMSTART
	v_cvt_f32_f16 v5, v5;
	;;#ASMEND
	s_delay_alu instid0(VALU_DEP_1)
	v_fmac_f32_e32 v30, v1, v5
	v_lshrrev_b32_e32 v1, 16, v4
	;;#ASMSTART
	v_cvt_f32_f16 v2, v2;
	;;#ASMEND
	;;#ASMSTART
	v_cvt_f32_f16 v1, v1;
	;;#ASMEND
	scratch_load_b32 v3, off, s32 offset:368 ; 4-byte Folded Reload
	v_and_b32_e32 v4, 0xffff, v82
	s_waitcnt vmcnt(0)
	v_and_b32_e32 v3, 0xffff, v3
	;;#ASMSTART
	v_cvt_f32_f16 v3, v3;
	;;#ASMEND
	;;#ASMSTART
	v_cvt_f32_f16 v4, v4;
	;;#ASMEND
	s_delay_alu instid0(VALU_DEP_1) | instskip(SKIP_4) | instid1(VALU_DEP_1)
	v_fmac_f32_e32 v39, v2, v3
	scratch_load_b32 v2, off, s32 offset:1048 ; 4-byte Folded Reload
	v_dual_fmac_f32 v38, v1, v4 :: v_dual_add_f32 v1, v14, v15
	scratch_load_b32 v20, off, s32 offset:700 ; 4-byte Folded Reload
	v_add_f32_e32 v1, v1, v19
	v_add_f32_e32 v1, v18, v1
	s_delay_alu instid0(VALU_DEP_1) | instskip(NEXT) | instid1(VALU_DEP_1)
	v_add_f32_e32 v1, v1, v37
	v_add_f32_e32 v1, v30, v1
	s_delay_alu instid0(VALU_DEP_1) | instskip(NEXT) | instid1(VALU_DEP_1)
	v_add_f32_e32 v1, v1, v39
	v_add_f32_e32 v1, v38, v1
	s_waitcnt vmcnt(1)
	s_delay_alu instid0(VALU_DEP_1)
	v_fmac_f32_e32 v0, v1, v2
	scratch_load_b32 v2, off, s32 offset:364 ; 4-byte Folded Reload
	v_cndmask_b32_e64 v1, 0, v0, s1
	s_waitcnt vmcnt(0)
	ds_store_b32 v2, v1
	v_max_f32_e32 v1, v20, v20
	s_delay_alu instid0(VALU_DEP_1) | instskip(NEXT) | instid1(VALU_DEP_1)
	v_max_f32_e32 v0, v1, v0
	v_cndmask_b32_e64 v20, v20, v0, s1
.LBB356_15:                             ;   in Loop: Header=BB356_16 Depth=1
	s_or_b32 exec_lo, exec_lo, s2
	scratch_load_b32 v0, off, s32 offset:352 ; 4-byte Folded Reload
	v_add_nc_u32_e32 v81, 4, v81
	v_add_co_u32 v28, s2, v28, 16
	s_delay_alu instid0(VALU_DEP_1) | instskip(SKIP_4) | instid1(VALU_DEP_1)
	v_add_co_ci_u32_e64 v29, s2, 0, v29, s2
	v_add_nc_u32_e32 v9, 0x80, v9
	v_add_nc_u32_e32 v155, 0x200, v155
	s_waitcnt vmcnt(0)
	v_cmp_ge_i32_e64 s1, v81, v0
	s_or_b32 s19, s1, s19
	s_delay_alu instid0(SALU_CYCLE_1)
	s_and_not1_b32 exec_lo, exec_lo, s19
	s_cbranch_execz .LBB356_2064
.LBB356_16:                             ; =>This Inner Loop Header: Depth=1
	s_clause 0x2
	scratch_load_b32 v1, off, s32 offset:356
	scratch_load_b32 v5, off, s32 offset:348
	;; [unrolled: 1-line block ×3, first 2 shown]
	v_sub_nc_u32_e32 v0, 0, v9
	s_delay_alu instid0(VALU_DEP_1) | instskip(SKIP_1) | instid1(VALU_DEP_1)
	v_max_i32_e32 v0, v9, v0
	s_waitcnt vmcnt(2)
	v_mul_hi_u32 v1, v0, v1
	s_waitcnt vmcnt(0)
	s_delay_alu instid0(VALU_DEP_1) | instskip(NEXT) | instid1(VALU_DEP_1)
	v_mul_lo_u32 v2, v1, v4
	v_sub_nc_u32_e32 v0, v0, v2
	v_add_nc_u32_e32 v2, 1, v1
	s_delay_alu instid0(VALU_DEP_2) | instskip(SKIP_1) | instid1(VALU_DEP_1)
	v_sub_nc_u32_e32 v3, v0, v4
	v_cmp_ge_u32_e64 s1, v0, v4
	v_cndmask_b32_e64 v1, v1, v2, s1
	s_delay_alu instid0(VALU_DEP_3) | instskip(SKIP_1) | instid1(VALU_DEP_3)
	v_cndmask_b32_e64 v0, v0, v3, s1
	v_ashrrev_i32_e32 v2, 31, v9
	v_add_nc_u32_e32 v3, 1, v1
	s_delay_alu instid0(VALU_DEP_3) | instskip(NEXT) | instid1(VALU_DEP_3)
	v_cmp_ge_u32_e64 s1, v0, v4
	v_xor_b32_e32 v2, v2, v5
	scratch_load_b32 v4, off, s32 offset:692 ; 4-byte Folded Reload
	v_cndmask_b32_e64 v0, v1, v3, s1
	scratch_load_b32 v3, off, s32 offset:696 ; 4-byte Folded Reload
	v_xor_b32_e32 v0, v0, v2
	s_delay_alu instid0(VALU_DEP_1) | instskip(SKIP_3) | instid1(VALU_DEP_1)
	v_sub_nc_u32_e32 v0, v0, v2
	scratch_load_b64 v[1:2], off, s32 offset:340 ; 8-byte Folded Reload
	s_waitcnt vmcnt(0)
	v_add_nc_u32_e32 v1, v0, v1
	v_sub_nc_u32_e32 v2, 0, v1
	s_delay_alu instid0(VALU_DEP_1) | instskip(SKIP_1) | instid1(VALU_DEP_2)
	v_max_i32_e32 v2, v1, v2
	v_ashrrev_i32_e32 v1, 31, v1
	v_mul_hi_u32 v3, v2, v3
	s_delay_alu instid0(VALU_DEP_1) | instskip(NEXT) | instid1(VALU_DEP_1)
	v_mul_lo_u32 v3, v3, v4
	v_sub_nc_u32_e32 v2, v2, v3
	s_delay_alu instid0(VALU_DEP_1) | instskip(SKIP_1) | instid1(VALU_DEP_1)
	v_sub_nc_u32_e32 v3, v2, v4
	v_cmp_ge_u32_e64 s1, v2, v4
	v_cndmask_b32_e64 v2, v2, v3, s1
	s_delay_alu instid0(VALU_DEP_1) | instskip(SKIP_1) | instid1(VALU_DEP_1)
	v_sub_nc_u32_e32 v3, v2, v4
	v_cmp_ge_u32_e64 s1, v2, v4
	v_cndmask_b32_e64 v2, v2, v3, s1
	s_delay_alu instid0(VALU_DEP_1) | instskip(NEXT) | instid1(VALU_DEP_1)
	v_xor_b32_e32 v2, v2, v1
	v_sub_nc_u32_e32 v1, v2, v1
	s_delay_alu instid0(VALU_DEP_1) | instskip(SKIP_3) | instid1(VALU_DEP_1)
	v_cmp_ne_u32_e64 s1, 0, v1
	scratch_load_b32 v1, off, s32 offset:360 ; 4-byte Folded Reload
	s_waitcnt vmcnt(0)
	v_cmp_le_i32_e64 s2, v0, v1
	s_and_b32 s1, s1, s2
	s_delay_alu instid0(SALU_CYCLE_1) | instskip(NEXT) | instid1(SALU_CYCLE_1)
	s_and_saveexec_b32 s2, s1
	s_xor_b32 s1, exec_lo, s2
	s_cbranch_execz .LBB356_18
; %bb.17:                               ;   in Loop: Header=BB356_16 Depth=1
	s_waitcnt lgkmcnt(0)
	v_dual_mov_b32 v1, 0xff7fffff :: v_dual_add_nc_u32 v0, s5, v155
	ds_store_b32 v0, v1
.LBB356_18:                             ;   in Loop: Header=BB356_16 Depth=1
	s_and_not1_saveexec_b32 s2, s1
	s_cbranch_execz .LBB356_15
; %bb.19:                               ;   in Loop: Header=BB356_16 Depth=1
	scratch_store_b32 off, v20, s32 offset:700 ; 4-byte Folded Spill
	flat_load_b32 v0, v[28:29]
	s_clause 0x1
	scratch_load_b32 v1, off, s32 offset:688
	scratch_load_b64 v[2:3], off, s32 offset:1060
	v_mov_b32_e32 v172, 0
	s_mov_b32 s21, exec_lo
	v_mov_b32_e32 v171, 0
	s_waitcnt vmcnt(0) lgkmcnt(0)
	v_mad_i64_i32 v[31:32], null, v0, v1, v[2:3]
	flat_load_b64 v[33:34], v[31:32]
	scratch_load_b64 v[0:1], off, s32 offset:1040 ; 8-byte Folded Reload
	s_waitcnt vmcnt(0)
	flat_load_b32 v82, v[0:1]
	s_waitcnt lgkmcnt(1)
	v_and_b32_e32 v0, 0xff, v33
	s_delay_alu instid0(VALU_DEP_1)
	v_cmpx_ne_u16_e32 0, v0
	s_cbranch_execz .LBB356_27
; %bb.20:                               ;   in Loop: Header=BB356_16 Depth=1
	v_bfrev_b32_e32 v171, 1
	s_mov_b32 s22, exec_lo
	v_cmpx_ne_u16_e32 0x80, v0
	s_cbranch_execz .LBB356_26
; %bb.21:                               ;   in Loop: Header=BB356_16 Depth=1
	v_and_b32_e32 v1, 0x7f, v33
	v_mov_b32_e32 v171, 0x7fc02000
	s_mov_b32 s23, exec_lo
	s_delay_alu instid0(VALU_DEP_2)
	v_cmpx_ne_u32_e32 0x7f, v1
	s_cbranch_execz .LBB356_25
; %bb.22:                               ;   in Loop: Header=BB356_16 Depth=1
	v_lshrrev_b32_e32 v0, 3, v1
	v_dual_mov_b32 v36, v34 :: v_dual_mov_b32 v35, v33
	s_mov_b32 s24, exec_lo
	v_cmpx_gt_u32_e32 8, v1
; %bb.23:                               ;   in Loop: Header=BB356_16 Depth=1
	v_and_b32_e32 v0, 7, v33
	s_delay_alu instid0(VALU_DEP_1) | instskip(NEXT) | instid1(VALU_DEP_1)
	v_clz_i32_u32_e32 v0, v0
	v_min_u32_e32 v0, 32, v0
	s_delay_alu instid0(VALU_DEP_1) | instskip(SKIP_1) | instid1(VALU_DEP_2)
	v_subrev_nc_u32_e32 v1, 28, v0
	v_sub_nc_u32_e32 v0, 29, v0
	v_lshlrev_b64 v[35:36], v1, v[33:34]
; %bb.24:                               ;   in Loop: Header=BB356_16 Depth=1
	s_or_b32 exec_lo, exec_lo, s24
	v_lshlrev_b32_e32 v1, 8, v33
	s_delay_alu instid0(VALU_DEP_3) | instskip(NEXT) | instid1(VALU_DEP_3)
	v_lshl_add_u32 v0, v0, 10, 0x2000
	v_lshlrev_b32_e32 v2, 7, v35
	s_delay_alu instid0(VALU_DEP_2) | instskip(NEXT) | instid1(VALU_DEP_1)
	v_and_or_b32 v0, 0x8000, v1, v0
	v_and_or_b32 v0, 0x380, v2, v0
	s_delay_alu instid0(VALU_DEP_1)
	v_cvt_f32_f16_e64 v171, v0
.LBB356_25:                             ;   in Loop: Header=BB356_16 Depth=1
	s_or_b32 exec_lo, exec_lo, s23
.LBB356_26:                             ;   in Loop: Header=BB356_16 Depth=1
	s_delay_alu instid0(SALU_CYCLE_1)
	s_or_b32 exec_lo, exec_lo, s22
.LBB356_27:                             ;   in Loop: Header=BB356_16 Depth=1
	s_delay_alu instid0(SALU_CYCLE_1) | instskip(SKIP_2) | instid1(VALU_DEP_1)
	s_or_b32 exec_lo, exec_lo, s21
	v_lshrrev_b16 v0, 8, v33
	s_mov_b32 s21, exec_lo
	v_cmpx_ne_u16_e32 0, v0
	s_cbranch_execz .LBB356_35
; %bb.28:                               ;   in Loop: Header=BB356_16 Depth=1
	v_bfrev_b32_e32 v172, 1
	s_mov_b32 s22, exec_lo
	v_cmpx_ne_u16_e32 0x80, v0
	s_cbranch_execz .LBB356_34
; %bb.29:                               ;   in Loop: Header=BB356_16 Depth=1
	v_and_b32_e32 v0, 0xffff, v0
	v_mov_b32_e32 v172, 0x7fc02000
	s_mov_b32 s23, exec_lo
	s_delay_alu instid0(VALU_DEP_2) | instskip(NEXT) | instid1(VALU_DEP_1)
	v_and_b32_e32 v2, 0x7f, v0
	v_cmpx_ne_u32_e32 0x7f, v2
	s_cbranch_execz .LBB356_33
; %bb.30:                               ;   in Loop: Header=BB356_16 Depth=1
	v_and_b32_e32 v7, 7, v0
	v_lshrrev_b32_e32 v1, 3, v2
	v_mov_b32_e32 v36, v8
	s_mov_b32 s24, exec_lo
	s_delay_alu instid0(VALU_DEP_3)
	v_mov_b32_e32 v35, v7
	v_cmpx_gt_u32_e32 8, v2
; %bb.31:                               ;   in Loop: Header=BB356_16 Depth=1
	v_clz_i32_u32_e32 v1, v7
	s_delay_alu instid0(VALU_DEP_1) | instskip(NEXT) | instid1(VALU_DEP_1)
	v_min_u32_e32 v1, 32, v1
	v_subrev_nc_u32_e32 v2, 28, v1
	v_sub_nc_u32_e32 v1, 29, v1
	s_delay_alu instid0(VALU_DEP_2) | instskip(NEXT) | instid1(VALU_DEP_1)
	v_lshlrev_b64 v[2:3], v2, v[7:8]
	v_and_b32_e32 v35, 7, v2
; %bb.32:                               ;   in Loop: Header=BB356_16 Depth=1
	s_or_b32 exec_lo, exec_lo, s24
	v_lshlrev_b32_e32 v0, 8, v0
	v_lshl_add_u32 v1, v1, 10, 0x2000
	s_delay_alu instid0(VALU_DEP_1) | instskip(NEXT) | instid1(VALU_DEP_1)
	v_and_or_b32 v0, 0x8000, v0, v1
	v_lshl_or_b32 v0, v35, 7, v0
	s_delay_alu instid0(VALU_DEP_1)
	v_cvt_f32_f16_e64 v172, v0
.LBB356_33:                             ;   in Loop: Header=BB356_16 Depth=1
	s_or_b32 exec_lo, exec_lo, s23
.LBB356_34:                             ;   in Loop: Header=BB356_16 Depth=1
	s_delay_alu instid0(SALU_CYCLE_1)
	s_or_b32 exec_lo, exec_lo, s22
.LBB356_35:                             ;   in Loop: Header=BB356_16 Depth=1
	s_delay_alu instid0(SALU_CYCLE_1) | instskip(SKIP_3) | instid1(VALU_DEP_2)
	s_or_b32 exec_lo, exec_lo, s21
	v_lshrrev_b32_e32 v0, 16, v33
	v_mov_b32_e32 v173, 0
	s_mov_b32 s21, exec_lo
	v_dual_mov_b32 v174, 0 :: v_dual_and_b32 v1, 0xff, v0
	s_delay_alu instid0(VALU_DEP_1)
	v_cmpx_ne_u16_e32 0, v1
	s_cbranch_execz .LBB356_43
; %bb.36:                               ;   in Loop: Header=BB356_16 Depth=1
	v_bfrev_b32_e32 v173, 1
	s_mov_b32 s22, exec_lo
	v_cmpx_ne_u16_e32 0x80, v1
	s_cbranch_execz .LBB356_42
; %bb.37:                               ;   in Loop: Header=BB356_16 Depth=1
	v_bfe_u32 v2, v33, 16, 7
	v_mov_b32_e32 v173, 0x7fc02000
	s_mov_b32 s23, exec_lo
	s_delay_alu instid0(VALU_DEP_2)
	v_cmpx_ne_u32_e32 0x7f, v2
	s_cbranch_execz .LBB356_41
; %bb.38:                               ;   in Loop: Header=BB356_16 Depth=1
	v_and_b32_e32 v7, 7, v0
	v_lshrrev_b32_e32 v1, 3, v2
	v_mov_b32_e32 v36, v8
	s_mov_b32 s24, exec_lo
	s_delay_alu instid0(VALU_DEP_3)
	v_mov_b32_e32 v35, v7
	v_cmpx_gt_u32_e32 8, v2
; %bb.39:                               ;   in Loop: Header=BB356_16 Depth=1
	v_clz_i32_u32_e32 v1, v7
	s_delay_alu instid0(VALU_DEP_1) | instskip(NEXT) | instid1(VALU_DEP_1)
	v_min_u32_e32 v1, 32, v1
	v_subrev_nc_u32_e32 v2, 28, v1
	v_sub_nc_u32_e32 v1, 29, v1
	s_delay_alu instid0(VALU_DEP_2) | instskip(NEXT) | instid1(VALU_DEP_1)
	v_lshlrev_b64 v[2:3], v2, v[7:8]
	v_and_b32_e32 v35, 7, v2
; %bb.40:                               ;   in Loop: Header=BB356_16 Depth=1
	s_or_b32 exec_lo, exec_lo, s24
	v_lshlrev_b32_e32 v0, 8, v0
	v_lshl_add_u32 v1, v1, 10, 0x2000
	s_delay_alu instid0(VALU_DEP_1) | instskip(NEXT) | instid1(VALU_DEP_1)
	v_and_or_b32 v0, 0x8000, v0, v1
	v_lshl_or_b32 v0, v35, 7, v0
	s_delay_alu instid0(VALU_DEP_1)
	v_cvt_f32_f16_e64 v173, v0
.LBB356_41:                             ;   in Loop: Header=BB356_16 Depth=1
	s_or_b32 exec_lo, exec_lo, s23
.LBB356_42:                             ;   in Loop: Header=BB356_16 Depth=1
	s_delay_alu instid0(SALU_CYCLE_1)
	s_or_b32 exec_lo, exec_lo, s22
.LBB356_43:                             ;   in Loop: Header=BB356_16 Depth=1
	s_delay_alu instid0(SALU_CYCLE_1) | instskip(NEXT) | instid1(SALU_CYCLE_1)
	s_or_b32 exec_lo, exec_lo, s21
	s_mov_b32 s21, exec_lo
	v_cmpx_lt_u32_e32 0xffffff, v33
	s_cbranch_execz .LBB356_51
; %bb.44:                               ;   in Loop: Header=BB356_16 Depth=1
	v_lshrrev_b32_e32 v0, 24, v33
	v_bfrev_b32_e32 v174, 1
	s_mov_b32 s22, exec_lo
	s_delay_alu instid0(VALU_DEP_2)
	v_cmpx_ne_u32_e32 0x80, v0
	s_cbranch_execz .LBB356_50
; %bb.45:                               ;   in Loop: Header=BB356_16 Depth=1
	v_and_b32_e32 v2, 0x7f, v0
	v_mov_b32_e32 v174, 0x7fc02000
	s_mov_b32 s23, exec_lo
	s_delay_alu instid0(VALU_DEP_2)
	v_cmpx_ne_u32_e32 0x7f, v2
	s_cbranch_execz .LBB356_49
; %bb.46:                               ;   in Loop: Header=BB356_16 Depth=1
	v_and_b32_e32 v7, 7, v0
	v_lshrrev_b32_e32 v1, 3, v2
	v_mov_b32_e32 v36, v8
	s_mov_b32 s24, exec_lo
	s_delay_alu instid0(VALU_DEP_3)
	v_mov_b32_e32 v35, v7
	v_cmpx_gt_u32_e32 8, v2
; %bb.47:                               ;   in Loop: Header=BB356_16 Depth=1
	v_clz_i32_u32_e32 v1, v7
	s_delay_alu instid0(VALU_DEP_1) | instskip(NEXT) | instid1(VALU_DEP_1)
	v_min_u32_e32 v1, 32, v1
	v_subrev_nc_u32_e32 v2, 28, v1
	v_sub_nc_u32_e32 v1, 29, v1
	s_delay_alu instid0(VALU_DEP_2) | instskip(NEXT) | instid1(VALU_DEP_1)
	v_lshlrev_b64 v[2:3], v2, v[7:8]
	v_and_b32_e32 v35, 7, v2
; %bb.48:                               ;   in Loop: Header=BB356_16 Depth=1
	s_or_b32 exec_lo, exec_lo, s24
	v_lshlrev_b32_e32 v0, 8, v0
	v_lshl_add_u32 v1, v1, 10, 0x2000
	s_delay_alu instid0(VALU_DEP_1) | instskip(NEXT) | instid1(VALU_DEP_1)
	v_and_or_b32 v0, 0x8000, v0, v1
	v_lshl_or_b32 v0, v35, 7, v0
	s_delay_alu instid0(VALU_DEP_1)
	v_cvt_f32_f16_e64 v174, v0
.LBB356_49:                             ;   in Loop: Header=BB356_16 Depth=1
	s_or_b32 exec_lo, exec_lo, s23
.LBB356_50:                             ;   in Loop: Header=BB356_16 Depth=1
	s_delay_alu instid0(SALU_CYCLE_1)
	s_or_b32 exec_lo, exec_lo, s22
.LBB356_51:                             ;   in Loop: Header=BB356_16 Depth=1
	s_delay_alu instid0(SALU_CYCLE_1) | instskip(SKIP_3) | instid1(VALU_DEP_2)
	s_or_b32 exec_lo, exec_lo, s21
	v_dual_mov_b32 v7, v34 :: v_dual_and_b32 v0, 0xff, v34
	v_dual_mov_b32 v187, 0 :: v_dual_mov_b32 v64, 0
	s_mov_b32 s21, exec_lo
	v_cmpx_ne_u16_e32 0, v0
	s_cbranch_execz .LBB356_59
; %bb.52:                               ;   in Loop: Header=BB356_16 Depth=1
	v_bfrev_b32_e32 v64, 1
	s_mov_b32 s22, exec_lo
	v_cmpx_ne_u16_e32 0x80, v0
	s_cbranch_execz .LBB356_58
; %bb.53:                               ;   in Loop: Header=BB356_16 Depth=1
	v_and_b32_e32 v1, 0x7f, v34
	v_mov_b32_e32 v64, 0x7fc02000
	s_mov_b32 s23, exec_lo
	s_delay_alu instid0(VALU_DEP_2)
	v_cmpx_ne_u32_e32 0x7f, v1
	s_cbranch_execz .LBB356_57
; %bb.54:                               ;   in Loop: Header=BB356_16 Depth=1
	v_lshrrev_b32_e32 v0, 3, v1
	v_dual_mov_b32 v36, v8 :: v_dual_mov_b32 v35, v7
	s_mov_b32 s24, exec_lo
	v_cmpx_gt_u32_e32 8, v1
; %bb.55:                               ;   in Loop: Header=BB356_16 Depth=1
	v_and_b32_e32 v0, 7, v34
	s_delay_alu instid0(VALU_DEP_1) | instskip(NEXT) | instid1(VALU_DEP_1)
	v_clz_i32_u32_e32 v0, v0
	v_min_u32_e32 v0, 32, v0
	s_delay_alu instid0(VALU_DEP_1) | instskip(SKIP_1) | instid1(VALU_DEP_2)
	v_subrev_nc_u32_e32 v1, 28, v0
	v_sub_nc_u32_e32 v0, 29, v0
	v_lshlrev_b64 v[35:36], v1, v[7:8]
; %bb.56:                               ;   in Loop: Header=BB356_16 Depth=1
	s_or_b32 exec_lo, exec_lo, s24
	v_lshlrev_b32_e32 v1, 8, v34
	s_delay_alu instid0(VALU_DEP_3) | instskip(NEXT) | instid1(VALU_DEP_3)
	v_lshl_add_u32 v0, v0, 10, 0x2000
	v_lshlrev_b32_e32 v2, 7, v35
	s_delay_alu instid0(VALU_DEP_2) | instskip(NEXT) | instid1(VALU_DEP_1)
	v_and_or_b32 v0, 0x8000, v1, v0
	v_and_or_b32 v0, 0x380, v2, v0
	s_delay_alu instid0(VALU_DEP_1)
	v_cvt_f32_f16_e32 v64, v0
.LBB356_57:                             ;   in Loop: Header=BB356_16 Depth=1
	s_or_b32 exec_lo, exec_lo, s23
.LBB356_58:                             ;   in Loop: Header=BB356_16 Depth=1
	s_delay_alu instid0(SALU_CYCLE_1)
	s_or_b32 exec_lo, exec_lo, s22
.LBB356_59:                             ;   in Loop: Header=BB356_16 Depth=1
	s_delay_alu instid0(SALU_CYCLE_1) | instskip(SKIP_2) | instid1(VALU_DEP_1)
	s_or_b32 exec_lo, exec_lo, s21
	v_lshrrev_b16 v0, 8, v7
	s_mov_b32 s21, exec_lo
	v_cmpx_ne_u16_e32 0, v0
	s_cbranch_execz .LBB356_67
; %bb.60:                               ;   in Loop: Header=BB356_16 Depth=1
	v_bfrev_b32_e32 v187, 1
	s_mov_b32 s22, exec_lo
	v_cmpx_ne_u16_e32 0x80, v0
	s_cbranch_execz .LBB356_66
; %bb.61:                               ;   in Loop: Header=BB356_16 Depth=1
	v_and_b32_e32 v0, 0xffff, v0
	v_mov_b32_e32 v187, 0x7fc02000
	s_mov_b32 s23, exec_lo
	s_delay_alu instid0(VALU_DEP_2) | instskip(NEXT) | instid1(VALU_DEP_1)
	v_and_b32_e32 v2, 0x7f, v0
	v_cmpx_ne_u32_e32 0x7f, v2
	s_cbranch_execz .LBB356_65
; %bb.62:                               ;   in Loop: Header=BB356_16 Depth=1
	v_and_b32_e32 v7, 7, v0
	v_lshrrev_b32_e32 v1, 3, v2
	v_mov_b32_e32 v36, v8
	s_mov_b32 s24, exec_lo
	s_delay_alu instid0(VALU_DEP_3)
	v_mov_b32_e32 v35, v7
	v_cmpx_gt_u32_e32 8, v2
; %bb.63:                               ;   in Loop: Header=BB356_16 Depth=1
	v_clz_i32_u32_e32 v1, v7
	s_delay_alu instid0(VALU_DEP_1) | instskip(NEXT) | instid1(VALU_DEP_1)
	v_min_u32_e32 v1, 32, v1
	v_subrev_nc_u32_e32 v2, 28, v1
	v_sub_nc_u32_e32 v1, 29, v1
	s_delay_alu instid0(VALU_DEP_2) | instskip(NEXT) | instid1(VALU_DEP_1)
	v_lshlrev_b64 v[2:3], v2, v[7:8]
	v_and_b32_e32 v35, 7, v2
; %bb.64:                               ;   in Loop: Header=BB356_16 Depth=1
	s_or_b32 exec_lo, exec_lo, s24
	v_lshlrev_b32_e32 v0, 8, v0
	v_lshl_add_u32 v1, v1, 10, 0x2000
	s_delay_alu instid0(VALU_DEP_1) | instskip(NEXT) | instid1(VALU_DEP_1)
	v_and_or_b32 v0, 0x8000, v0, v1
	v_lshl_or_b32 v0, v35, 7, v0
	s_delay_alu instid0(VALU_DEP_1)
	v_cvt_f32_f16_e64 v187, v0
.LBB356_65:                             ;   in Loop: Header=BB356_16 Depth=1
	s_or_b32 exec_lo, exec_lo, s23
.LBB356_66:                             ;   in Loop: Header=BB356_16 Depth=1
	s_delay_alu instid0(SALU_CYCLE_1)
	s_or_b32 exec_lo, exec_lo, s22
.LBB356_67:                             ;   in Loop: Header=BB356_16 Depth=1
	s_delay_alu instid0(SALU_CYCLE_1) | instskip(SKIP_3) | instid1(VALU_DEP_2)
	s_or_b32 exec_lo, exec_lo, s21
	v_lshrrev_b32_e32 v0, 16, v34
	v_mov_b32_e32 v2, 0
	s_mov_b32 s21, exec_lo
	v_dual_mov_b32 v188, 0 :: v_dual_and_b32 v1, 0xff, v0
	scratch_store_b32 off, v2, s32 offset:596 ; 4-byte Folded Spill
	v_cmpx_ne_u16_e32 0, v1
	s_cbranch_execz .LBB356_75
; %bb.68:                               ;   in Loop: Header=BB356_16 Depth=1
	v_cmp_ne_u16_e64 s1, 0x80, v1
	v_bfrev_b32_e32 v1, 1
	s_delay_alu instid0(VALU_DEP_2)
	s_and_saveexec_b32 s22, s1
	s_cbranch_execz .LBB356_74
; %bb.69:                               ;   in Loop: Header=BB356_16 Depth=1
	v_bfe_u32 v2, v34, 16, 7
	v_mov_b32_e32 v1, 0x7fc02000
	s_mov_b32 s23, exec_lo
	s_delay_alu instid0(VALU_DEP_2)
	v_cmpx_ne_u32_e32 0x7f, v2
	s_cbranch_execz .LBB356_73
; %bb.70:                               ;   in Loop: Header=BB356_16 Depth=1
	v_and_b32_e32 v7, 7, v0
	v_lshrrev_b32_e32 v1, 3, v2
	v_mov_b32_e32 v36, v8
	s_mov_b32 s24, exec_lo
	s_delay_alu instid0(VALU_DEP_3)
	v_mov_b32_e32 v35, v7
	v_cmpx_gt_u32_e32 8, v2
; %bb.71:                               ;   in Loop: Header=BB356_16 Depth=1
	v_clz_i32_u32_e32 v1, v7
	s_delay_alu instid0(VALU_DEP_1) | instskip(NEXT) | instid1(VALU_DEP_1)
	v_min_u32_e32 v1, 32, v1
	v_subrev_nc_u32_e32 v2, 28, v1
	v_sub_nc_u32_e32 v1, 29, v1
	s_delay_alu instid0(VALU_DEP_2) | instskip(NEXT) | instid1(VALU_DEP_1)
	v_lshlrev_b64 v[2:3], v2, v[7:8]
	v_and_b32_e32 v35, 7, v2
; %bb.72:                               ;   in Loop: Header=BB356_16 Depth=1
	s_or_b32 exec_lo, exec_lo, s24
	v_lshlrev_b32_e32 v0, 8, v0
	v_lshl_add_u32 v1, v1, 10, 0x2000
	s_delay_alu instid0(VALU_DEP_1) | instskip(NEXT) | instid1(VALU_DEP_1)
	v_and_or_b32 v0, 0x8000, v0, v1
	v_lshl_or_b32 v0, v35, 7, v0
	s_delay_alu instid0(VALU_DEP_1)
	v_cvt_f32_f16_e32 v1, v0
.LBB356_73:                             ;   in Loop: Header=BB356_16 Depth=1
	s_or_b32 exec_lo, exec_lo, s23
.LBB356_74:                             ;   in Loop: Header=BB356_16 Depth=1
	s_delay_alu instid0(SALU_CYCLE_1)
	s_or_b32 exec_lo, exec_lo, s22
	scratch_store_b32 off, v1, s32 offset:596 ; 4-byte Folded Spill
.LBB356_75:                             ;   in Loop: Header=BB356_16 Depth=1
	s_or_b32 exec_lo, exec_lo, s21
	s_delay_alu instid0(SALU_CYCLE_1)
	s_mov_b32 s21, exec_lo
	v_cmpx_lt_u64_e64 s[8:9], v[33:34]
	s_cbranch_execz .LBB356_83
; %bb.76:                               ;   in Loop: Header=BB356_16 Depth=1
	v_lshrrev_b32_e32 v0, 24, v34
	v_bfrev_b32_e32 v188, 1
	s_mov_b32 s22, exec_lo
	s_delay_alu instid0(VALU_DEP_2)
	v_cmpx_ne_u32_e32 0x80, v0
	s_cbranch_execz .LBB356_82
; %bb.77:                               ;   in Loop: Header=BB356_16 Depth=1
	v_and_b32_e32 v2, 0x7f, v0
	v_mov_b32_e32 v188, 0x7fc02000
	s_mov_b32 s23, exec_lo
	s_delay_alu instid0(VALU_DEP_2)
	v_cmpx_ne_u32_e32 0x7f, v2
	s_cbranch_execz .LBB356_81
; %bb.78:                               ;   in Loop: Header=BB356_16 Depth=1
	v_and_b32_e32 v7, 7, v0
	v_lshrrev_b32_e32 v1, 3, v2
	v_mov_b32_e32 v34, v8
	s_mov_b32 s24, exec_lo
	s_delay_alu instid0(VALU_DEP_3)
	v_mov_b32_e32 v33, v7
	v_cmpx_gt_u32_e32 8, v2
; %bb.79:                               ;   in Loop: Header=BB356_16 Depth=1
	v_clz_i32_u32_e32 v1, v7
	s_delay_alu instid0(VALU_DEP_1) | instskip(NEXT) | instid1(VALU_DEP_1)
	v_min_u32_e32 v1, 32, v1
	v_subrev_nc_u32_e32 v2, 28, v1
	v_sub_nc_u32_e32 v1, 29, v1
	s_delay_alu instid0(VALU_DEP_2) | instskip(NEXT) | instid1(VALU_DEP_1)
	v_lshlrev_b64 v[2:3], v2, v[7:8]
	v_and_b32_e32 v33, 7, v2
; %bb.80:                               ;   in Loop: Header=BB356_16 Depth=1
	s_or_b32 exec_lo, exec_lo, s24
	v_lshlrev_b32_e32 v0, 8, v0
	v_lshl_add_u32 v1, v1, 10, 0x2000
	s_delay_alu instid0(VALU_DEP_1) | instskip(NEXT) | instid1(VALU_DEP_1)
	v_and_or_b32 v0, 0x8000, v0, v1
	v_lshl_or_b32 v0, v33, 7, v0
	s_delay_alu instid0(VALU_DEP_1)
	v_cvt_f32_f16_e64 v188, v0
.LBB356_81:                             ;   in Loop: Header=BB356_16 Depth=1
	s_or_b32 exec_lo, exec_lo, s23
.LBB356_82:                             ;   in Loop: Header=BB356_16 Depth=1
	s_delay_alu instid0(SALU_CYCLE_1)
	s_or_b32 exec_lo, exec_lo, s22
.LBB356_83:                             ;   in Loop: Header=BB356_16 Depth=1
	s_delay_alu instid0(SALU_CYCLE_1)
	s_or_b32 exec_lo, exec_lo, s21
	flat_load_b64 v[33:34], v[31:32] offset:8
	v_mov_b32_e32 v1, 0
	s_mov_b32 s21, exec_lo
	v_mov_b32_e32 v93, 0
	scratch_store_b32 off, v1, s32 offset:524 ; 4-byte Folded Spill
	s_waitcnt vmcnt(0) lgkmcnt(0)
	v_and_b32_e32 v0, 0xff, v33
	s_delay_alu instid0(VALU_DEP_1)
	v_cmpx_ne_u16_e32 0, v0
	s_cbranch_execz .LBB356_91
; %bb.84:                               ;   in Loop: Header=BB356_16 Depth=1
	v_cmp_ne_u16_e64 s1, 0x80, v0
	v_bfrev_b32_e32 v0, 1
	s_delay_alu instid0(VALU_DEP_2)
	s_and_saveexec_b32 s22, s1
	s_cbranch_execz .LBB356_90
; %bb.85:                               ;   in Loop: Header=BB356_16 Depth=1
	v_and_b32_e32 v1, 0x7f, v33
	v_mov_b32_e32 v0, 0x7fc02000
	s_mov_b32 s23, exec_lo
	s_delay_alu instid0(VALU_DEP_2)
	v_cmpx_ne_u32_e32 0x7f, v1
	s_cbranch_execz .LBB356_89
; %bb.86:                               ;   in Loop: Header=BB356_16 Depth=1
	v_lshrrev_b32_e32 v0, 3, v1
	v_dual_mov_b32 v36, v34 :: v_dual_mov_b32 v35, v33
	s_mov_b32 s24, exec_lo
	v_cmpx_gt_u32_e32 8, v1
; %bb.87:                               ;   in Loop: Header=BB356_16 Depth=1
	v_and_b32_e32 v0, 7, v33
	s_delay_alu instid0(VALU_DEP_1) | instskip(NEXT) | instid1(VALU_DEP_1)
	v_clz_i32_u32_e32 v0, v0
	v_min_u32_e32 v0, 32, v0
	s_delay_alu instid0(VALU_DEP_1) | instskip(SKIP_1) | instid1(VALU_DEP_2)
	v_subrev_nc_u32_e32 v1, 28, v0
	v_sub_nc_u32_e32 v0, 29, v0
	v_lshlrev_b64 v[35:36], v1, v[33:34]
; %bb.88:                               ;   in Loop: Header=BB356_16 Depth=1
	s_or_b32 exec_lo, exec_lo, s24
	v_lshlrev_b32_e32 v1, 8, v33
	s_delay_alu instid0(VALU_DEP_3) | instskip(NEXT) | instid1(VALU_DEP_3)
	v_lshl_add_u32 v0, v0, 10, 0x2000
	v_lshlrev_b32_e32 v2, 7, v35
	s_delay_alu instid0(VALU_DEP_2) | instskip(NEXT) | instid1(VALU_DEP_1)
	v_and_or_b32 v0, 0x8000, v1, v0
	v_and_or_b32 v0, 0x380, v2, v0
	s_delay_alu instid0(VALU_DEP_1)
	v_cvt_f32_f16_e32 v0, v0
.LBB356_89:                             ;   in Loop: Header=BB356_16 Depth=1
	s_or_b32 exec_lo, exec_lo, s23
.LBB356_90:                             ;   in Loop: Header=BB356_16 Depth=1
	s_delay_alu instid0(SALU_CYCLE_1)
	s_or_b32 exec_lo, exec_lo, s22
	scratch_store_b32 off, v0, s32 offset:524 ; 4-byte Folded Spill
.LBB356_91:                             ;   in Loop: Header=BB356_16 Depth=1
	s_or_b32 exec_lo, exec_lo, s21
	v_lshrrev_b16 v0, 8, v33
	s_mov_b32 s21, exec_lo
	s_delay_alu instid0(VALU_DEP_1)
	v_cmpx_ne_u16_e32 0, v0
	s_cbranch_execz .LBB356_99
; %bb.92:                               ;   in Loop: Header=BB356_16 Depth=1
	v_bfrev_b32_e32 v93, 1
	s_mov_b32 s22, exec_lo
	v_cmpx_ne_u16_e32 0x80, v0
	s_cbranch_execz .LBB356_98
; %bb.93:                               ;   in Loop: Header=BB356_16 Depth=1
	v_and_b32_e32 v0, 0xffff, v0
	v_mov_b32_e32 v93, 0x7fc02000
	s_mov_b32 s23, exec_lo
	s_delay_alu instid0(VALU_DEP_2) | instskip(NEXT) | instid1(VALU_DEP_1)
	v_and_b32_e32 v2, 0x7f, v0
	v_cmpx_ne_u32_e32 0x7f, v2
	s_cbranch_execz .LBB356_97
; %bb.94:                               ;   in Loop: Header=BB356_16 Depth=1
	v_and_b32_e32 v7, 7, v0
	v_lshrrev_b32_e32 v1, 3, v2
	v_mov_b32_e32 v36, v8
	s_mov_b32 s24, exec_lo
	s_delay_alu instid0(VALU_DEP_3)
	v_mov_b32_e32 v35, v7
	v_cmpx_gt_u32_e32 8, v2
; %bb.95:                               ;   in Loop: Header=BB356_16 Depth=1
	v_clz_i32_u32_e32 v1, v7
	s_delay_alu instid0(VALU_DEP_1) | instskip(NEXT) | instid1(VALU_DEP_1)
	v_min_u32_e32 v1, 32, v1
	v_subrev_nc_u32_e32 v2, 28, v1
	v_sub_nc_u32_e32 v1, 29, v1
	s_delay_alu instid0(VALU_DEP_2) | instskip(NEXT) | instid1(VALU_DEP_1)
	v_lshlrev_b64 v[2:3], v2, v[7:8]
	v_and_b32_e32 v35, 7, v2
; %bb.96:                               ;   in Loop: Header=BB356_16 Depth=1
	s_or_b32 exec_lo, exec_lo, s24
	v_lshlrev_b32_e32 v0, 8, v0
	v_lshl_add_u32 v1, v1, 10, 0x2000
	s_delay_alu instid0(VALU_DEP_1) | instskip(NEXT) | instid1(VALU_DEP_1)
	v_and_or_b32 v0, 0x8000, v0, v1
	v_lshl_or_b32 v0, v35, 7, v0
	s_delay_alu instid0(VALU_DEP_1)
	v_cvt_f32_f16_e32 v93, v0
.LBB356_97:                             ;   in Loop: Header=BB356_16 Depth=1
	s_or_b32 exec_lo, exec_lo, s23
.LBB356_98:                             ;   in Loop: Header=BB356_16 Depth=1
	s_delay_alu instid0(SALU_CYCLE_1)
	s_or_b32 exec_lo, exec_lo, s22
.LBB356_99:                             ;   in Loop: Header=BB356_16 Depth=1
	s_delay_alu instid0(SALU_CYCLE_1) | instskip(SKIP_2) | instid1(VALU_DEP_1)
	s_or_b32 exec_lo, exec_lo, s21
	v_lshrrev_b32_e32 v0, 16, v33
	s_mov_b32 s21, exec_lo
	v_dual_mov_b32 v2, 0 :: v_dual_and_b32 v1, 0xff, v0
	scratch_store_b32 off, v2, s32 offset:364 ; 4-byte Folded Spill
	v_mov_b32_e32 v2, 0
	scratch_store_b32 off, v2, s32 offset:528 ; 4-byte Folded Spill
	v_cmpx_ne_u16_e32 0, v1
	s_cbranch_execz .LBB356_107
; %bb.100:                              ;   in Loop: Header=BB356_16 Depth=1
	v_cmp_ne_u16_e64 s1, 0x80, v1
	v_bfrev_b32_e32 v1, 1
	s_delay_alu instid0(VALU_DEP_2)
	s_and_saveexec_b32 s22, s1
	s_cbranch_execz .LBB356_106
; %bb.101:                              ;   in Loop: Header=BB356_16 Depth=1
	v_bfe_u32 v2, v33, 16, 7
	v_mov_b32_e32 v1, 0x7fc02000
	s_mov_b32 s23, exec_lo
	s_delay_alu instid0(VALU_DEP_2)
	v_cmpx_ne_u32_e32 0x7f, v2
	s_cbranch_execz .LBB356_105
; %bb.102:                              ;   in Loop: Header=BB356_16 Depth=1
	v_and_b32_e32 v7, 7, v0
	v_lshrrev_b32_e32 v1, 3, v2
	v_mov_b32_e32 v36, v8
	s_mov_b32 s24, exec_lo
	s_delay_alu instid0(VALU_DEP_3)
	v_mov_b32_e32 v35, v7
	v_cmpx_gt_u32_e32 8, v2
; %bb.103:                              ;   in Loop: Header=BB356_16 Depth=1
	v_clz_i32_u32_e32 v1, v7
	s_delay_alu instid0(VALU_DEP_1) | instskip(NEXT) | instid1(VALU_DEP_1)
	v_min_u32_e32 v1, 32, v1
	v_subrev_nc_u32_e32 v2, 28, v1
	v_sub_nc_u32_e32 v1, 29, v1
	s_delay_alu instid0(VALU_DEP_2) | instskip(NEXT) | instid1(VALU_DEP_1)
	v_lshlrev_b64 v[2:3], v2, v[7:8]
	v_and_b32_e32 v35, 7, v2
; %bb.104:                              ;   in Loop: Header=BB356_16 Depth=1
	s_or_b32 exec_lo, exec_lo, s24
	v_lshlrev_b32_e32 v0, 8, v0
	v_lshl_add_u32 v1, v1, 10, 0x2000
	s_delay_alu instid0(VALU_DEP_1) | instskip(NEXT) | instid1(VALU_DEP_1)
	v_and_or_b32 v0, 0x8000, v0, v1
	v_lshl_or_b32 v0, v35, 7, v0
	s_delay_alu instid0(VALU_DEP_1)
	v_cvt_f32_f16_e32 v1, v0
.LBB356_105:                            ;   in Loop: Header=BB356_16 Depth=1
	s_or_b32 exec_lo, exec_lo, s23
.LBB356_106:                            ;   in Loop: Header=BB356_16 Depth=1
	s_delay_alu instid0(SALU_CYCLE_1)
	s_or_b32 exec_lo, exec_lo, s22
	scratch_store_b32 off, v1, s32 offset:528 ; 4-byte Folded Spill
.LBB356_107:                            ;   in Loop: Header=BB356_16 Depth=1
	s_or_b32 exec_lo, exec_lo, s21
	s_delay_alu instid0(SALU_CYCLE_1)
	s_mov_b32 s21, exec_lo
	v_cmpx_lt_u32_e32 0xffffff, v33
	s_cbranch_execz .LBB356_115
; %bb.108:                              ;   in Loop: Header=BB356_16 Depth=1
	v_lshrrev_b32_e32 v0, 24, v33
	v_bfrev_b32_e32 v1, 1
	s_mov_b32 s22, exec_lo
	scratch_store_b32 off, v1, s32 offset:364 ; 4-byte Folded Spill
	v_cmpx_ne_u32_e32 0x80, v0
	s_cbranch_execz .LBB356_114
; %bb.109:                              ;   in Loop: Header=BB356_16 Depth=1
	v_and_b32_e32 v2, 0x7f, v0
	v_mov_b32_e32 v1, 0x7fc02000
	s_mov_b32 s23, exec_lo
	scratch_store_b32 off, v1, s32 offset:364 ; 4-byte Folded Spill
	v_cmpx_ne_u32_e32 0x7f, v2
	s_cbranch_execz .LBB356_113
; %bb.110:                              ;   in Loop: Header=BB356_16 Depth=1
	v_and_b32_e32 v7, 7, v0
	v_lshrrev_b32_e32 v1, 3, v2
	v_mov_b32_e32 v36, v8
	s_mov_b32 s24, exec_lo
	s_delay_alu instid0(VALU_DEP_3)
	v_mov_b32_e32 v35, v7
	v_cmpx_gt_u32_e32 8, v2
; %bb.111:                              ;   in Loop: Header=BB356_16 Depth=1
	v_clz_i32_u32_e32 v1, v7
	s_delay_alu instid0(VALU_DEP_1) | instskip(NEXT) | instid1(VALU_DEP_1)
	v_min_u32_e32 v1, 32, v1
	v_subrev_nc_u32_e32 v2, 28, v1
	v_sub_nc_u32_e32 v1, 29, v1
	s_delay_alu instid0(VALU_DEP_2) | instskip(NEXT) | instid1(VALU_DEP_1)
	v_lshlrev_b64 v[2:3], v2, v[7:8]
	v_and_b32_e32 v35, 7, v2
; %bb.112:                              ;   in Loop: Header=BB356_16 Depth=1
	s_or_b32 exec_lo, exec_lo, s24
	v_lshlrev_b32_e32 v0, 8, v0
	v_lshl_add_u32 v1, v1, 10, 0x2000
	s_delay_alu instid0(VALU_DEP_1) | instskip(NEXT) | instid1(VALU_DEP_1)
	v_and_or_b32 v0, 0x8000, v0, v1
	v_lshl_or_b32 v0, v35, 7, v0
	s_delay_alu instid0(VALU_DEP_1)
	v_cvt_f32_f16_e32 v0, v0
	scratch_store_b32 off, v0, s32 offset:364 ; 4-byte Folded Spill
.LBB356_113:                            ;   in Loop: Header=BB356_16 Depth=1
	s_or_b32 exec_lo, exec_lo, s23
.LBB356_114:                            ;   in Loop: Header=BB356_16 Depth=1
	s_delay_alu instid0(SALU_CYCLE_1)
	s_or_b32 exec_lo, exec_lo, s22
.LBB356_115:                            ;   in Loop: Header=BB356_16 Depth=1
	s_delay_alu instid0(SALU_CYCLE_1)
	s_or_b32 exec_lo, exec_lo, s21
	v_dual_mov_b32 v1, 0 :: v_dual_and_b32 v0, 0xff, v34
	v_mov_b32_e32 v7, v34
	s_mov_b32 s21, exec_lo
	scratch_store_b32 off, v1, s32 offset:368 ; 4-byte Folded Spill
	v_mov_b32_e32 v1, 0
	scratch_store_b32 off, v1, s32 offset:532 ; 4-byte Folded Spill
	v_cmpx_ne_u16_e32 0, v0
	s_cbranch_execz .LBB356_123
; %bb.116:                              ;   in Loop: Header=BB356_16 Depth=1
	v_cmp_ne_u16_e64 s1, 0x80, v0
	v_bfrev_b32_e32 v0, 1
	s_delay_alu instid0(VALU_DEP_2)
	s_and_saveexec_b32 s22, s1
	s_cbranch_execz .LBB356_122
; %bb.117:                              ;   in Loop: Header=BB356_16 Depth=1
	v_and_b32_e32 v1, 0x7f, v34
	v_mov_b32_e32 v0, 0x7fc02000
	s_mov_b32 s23, exec_lo
	s_delay_alu instid0(VALU_DEP_2)
	v_cmpx_ne_u32_e32 0x7f, v1
	s_cbranch_execz .LBB356_121
; %bb.118:                              ;   in Loop: Header=BB356_16 Depth=1
	v_lshrrev_b32_e32 v0, 3, v1
	v_dual_mov_b32 v36, v8 :: v_dual_mov_b32 v35, v7
	s_mov_b32 s24, exec_lo
	v_cmpx_gt_u32_e32 8, v1
; %bb.119:                              ;   in Loop: Header=BB356_16 Depth=1
	v_and_b32_e32 v0, 7, v34
	s_delay_alu instid0(VALU_DEP_1) | instskip(NEXT) | instid1(VALU_DEP_1)
	v_clz_i32_u32_e32 v0, v0
	v_min_u32_e32 v0, 32, v0
	s_delay_alu instid0(VALU_DEP_1) | instskip(SKIP_1) | instid1(VALU_DEP_2)
	v_subrev_nc_u32_e32 v1, 28, v0
	v_sub_nc_u32_e32 v0, 29, v0
	v_lshlrev_b64 v[35:36], v1, v[7:8]
; %bb.120:                              ;   in Loop: Header=BB356_16 Depth=1
	s_or_b32 exec_lo, exec_lo, s24
	v_lshlrev_b32_e32 v1, 8, v34
	s_delay_alu instid0(VALU_DEP_3) | instskip(NEXT) | instid1(VALU_DEP_3)
	v_lshl_add_u32 v0, v0, 10, 0x2000
	v_lshlrev_b32_e32 v2, 7, v35
	s_delay_alu instid0(VALU_DEP_2) | instskip(NEXT) | instid1(VALU_DEP_1)
	v_and_or_b32 v0, 0x8000, v1, v0
	v_and_or_b32 v0, 0x380, v2, v0
	s_delay_alu instid0(VALU_DEP_1)
	v_cvt_f32_f16_e32 v0, v0
.LBB356_121:                            ;   in Loop: Header=BB356_16 Depth=1
	s_or_b32 exec_lo, exec_lo, s23
.LBB356_122:                            ;   in Loop: Header=BB356_16 Depth=1
	s_delay_alu instid0(SALU_CYCLE_1)
	s_or_b32 exec_lo, exec_lo, s22
	scratch_store_b32 off, v0, s32 offset:532 ; 4-byte Folded Spill
.LBB356_123:                            ;   in Loop: Header=BB356_16 Depth=1
	s_or_b32 exec_lo, exec_lo, s21
	v_lshrrev_b16 v0, 8, v7
	s_mov_b32 s21, exec_lo
	s_delay_alu instid0(VALU_DEP_1)
	v_cmpx_ne_u16_e32 0, v0
	s_cbranch_execz .LBB356_131
; %bb.124:                              ;   in Loop: Header=BB356_16 Depth=1
	v_bfrev_b32_e32 v1, 1
	s_mov_b32 s22, exec_lo
	scratch_store_b32 off, v1, s32 offset:368 ; 4-byte Folded Spill
	v_cmpx_ne_u16_e32 0x80, v0
	s_cbranch_execz .LBB356_130
; %bb.125:                              ;   in Loop: Header=BB356_16 Depth=1
	v_and_b32_e32 v0, 0xffff, v0
	v_mov_b32_e32 v1, 0x7fc02000
	s_mov_b32 s23, exec_lo
	s_delay_alu instid0(VALU_DEP_2)
	v_and_b32_e32 v2, 0x7f, v0
	scratch_store_b32 off, v1, s32 offset:368 ; 4-byte Folded Spill
	v_cmpx_ne_u32_e32 0x7f, v2
	s_cbranch_execz .LBB356_129
; %bb.126:                              ;   in Loop: Header=BB356_16 Depth=1
	v_and_b32_e32 v7, 7, v0
	v_lshrrev_b32_e32 v1, 3, v2
	v_mov_b32_e32 v36, v8
	s_mov_b32 s24, exec_lo
	s_delay_alu instid0(VALU_DEP_3)
	v_mov_b32_e32 v35, v7
	v_cmpx_gt_u32_e32 8, v2
; %bb.127:                              ;   in Loop: Header=BB356_16 Depth=1
	v_clz_i32_u32_e32 v1, v7
	s_delay_alu instid0(VALU_DEP_1) | instskip(NEXT) | instid1(VALU_DEP_1)
	v_min_u32_e32 v1, 32, v1
	v_subrev_nc_u32_e32 v2, 28, v1
	v_sub_nc_u32_e32 v1, 29, v1
	s_delay_alu instid0(VALU_DEP_2) | instskip(NEXT) | instid1(VALU_DEP_1)
	v_lshlrev_b64 v[2:3], v2, v[7:8]
	v_and_b32_e32 v35, 7, v2
; %bb.128:                              ;   in Loop: Header=BB356_16 Depth=1
	s_or_b32 exec_lo, exec_lo, s24
	v_lshlrev_b32_e32 v0, 8, v0
	v_lshl_add_u32 v1, v1, 10, 0x2000
	s_delay_alu instid0(VALU_DEP_1) | instskip(NEXT) | instid1(VALU_DEP_1)
	v_and_or_b32 v0, 0x8000, v0, v1
	v_lshl_or_b32 v0, v35, 7, v0
	s_delay_alu instid0(VALU_DEP_1)
	v_cvt_f32_f16_e32 v0, v0
	scratch_store_b32 off, v0, s32 offset:368 ; 4-byte Folded Spill
.LBB356_129:                            ;   in Loop: Header=BB356_16 Depth=1
	s_or_b32 exec_lo, exec_lo, s23
.LBB356_130:                            ;   in Loop: Header=BB356_16 Depth=1
	s_delay_alu instid0(SALU_CYCLE_1)
	s_or_b32 exec_lo, exec_lo, s22
.LBB356_131:                            ;   in Loop: Header=BB356_16 Depth=1
	s_delay_alu instid0(SALU_CYCLE_1) | instskip(SKIP_2) | instid1(VALU_DEP_1)
	s_or_b32 exec_lo, exec_lo, s21
	v_lshrrev_b32_e32 v0, 16, v34
	s_mov_b32 s21, exec_lo
	v_dual_mov_b32 v2, 0 :: v_dual_and_b32 v1, 0xff, v0
	scratch_store_b32 off, v2, s32 offset:372 ; 4-byte Folded Spill
	v_mov_b32_e32 v2, 0
	scratch_store_b32 off, v2, s32 offset:536 ; 4-byte Folded Spill
	v_cmpx_ne_u16_e32 0, v1
	s_cbranch_execz .LBB356_139
; %bb.132:                              ;   in Loop: Header=BB356_16 Depth=1
	v_cmp_ne_u16_e64 s1, 0x80, v1
	v_bfrev_b32_e32 v1, 1
	s_delay_alu instid0(VALU_DEP_2)
	s_and_saveexec_b32 s22, s1
	s_cbranch_execz .LBB356_138
; %bb.133:                              ;   in Loop: Header=BB356_16 Depth=1
	v_bfe_u32 v2, v34, 16, 7
	v_mov_b32_e32 v1, 0x7fc02000
	s_mov_b32 s23, exec_lo
	s_delay_alu instid0(VALU_DEP_2)
	v_cmpx_ne_u32_e32 0x7f, v2
	s_cbranch_execz .LBB356_137
; %bb.134:                              ;   in Loop: Header=BB356_16 Depth=1
	v_and_b32_e32 v7, 7, v0
	v_lshrrev_b32_e32 v1, 3, v2
	v_mov_b32_e32 v36, v8
	s_mov_b32 s24, exec_lo
	s_delay_alu instid0(VALU_DEP_3)
	v_mov_b32_e32 v35, v7
	v_cmpx_gt_u32_e32 8, v2
; %bb.135:                              ;   in Loop: Header=BB356_16 Depth=1
	v_clz_i32_u32_e32 v1, v7
	s_delay_alu instid0(VALU_DEP_1) | instskip(NEXT) | instid1(VALU_DEP_1)
	v_min_u32_e32 v1, 32, v1
	v_subrev_nc_u32_e32 v2, 28, v1
	v_sub_nc_u32_e32 v1, 29, v1
	s_delay_alu instid0(VALU_DEP_2) | instskip(NEXT) | instid1(VALU_DEP_1)
	v_lshlrev_b64 v[2:3], v2, v[7:8]
	v_and_b32_e32 v35, 7, v2
; %bb.136:                              ;   in Loop: Header=BB356_16 Depth=1
	s_or_b32 exec_lo, exec_lo, s24
	v_lshlrev_b32_e32 v0, 8, v0
	v_lshl_add_u32 v1, v1, 10, 0x2000
	s_delay_alu instid0(VALU_DEP_1) | instskip(NEXT) | instid1(VALU_DEP_1)
	v_and_or_b32 v0, 0x8000, v0, v1
	v_lshl_or_b32 v0, v35, 7, v0
	s_delay_alu instid0(VALU_DEP_1)
	v_cvt_f32_f16_e32 v1, v0
.LBB356_137:                            ;   in Loop: Header=BB356_16 Depth=1
	s_or_b32 exec_lo, exec_lo, s23
.LBB356_138:                            ;   in Loop: Header=BB356_16 Depth=1
	s_delay_alu instid0(SALU_CYCLE_1)
	s_or_b32 exec_lo, exec_lo, s22
	scratch_store_b32 off, v1, s32 offset:536 ; 4-byte Folded Spill
.LBB356_139:                            ;   in Loop: Header=BB356_16 Depth=1
	s_or_b32 exec_lo, exec_lo, s21
	s_delay_alu instid0(SALU_CYCLE_1)
	s_mov_b32 s21, exec_lo
	v_cmpx_lt_u64_e64 s[8:9], v[33:34]
	s_cbranch_execz .LBB356_147
; %bb.140:                              ;   in Loop: Header=BB356_16 Depth=1
	v_lshrrev_b32_e32 v0, 24, v34
	v_bfrev_b32_e32 v1, 1
	s_mov_b32 s22, exec_lo
	scratch_store_b32 off, v1, s32 offset:372 ; 4-byte Folded Spill
	v_cmpx_ne_u32_e32 0x80, v0
	s_cbranch_execz .LBB356_146
; %bb.141:                              ;   in Loop: Header=BB356_16 Depth=1
	v_and_b32_e32 v2, 0x7f, v0
	v_mov_b32_e32 v1, 0x7fc02000
	s_mov_b32 s23, exec_lo
	scratch_store_b32 off, v1, s32 offset:372 ; 4-byte Folded Spill
	v_cmpx_ne_u32_e32 0x7f, v2
	s_cbranch_execz .LBB356_145
; %bb.142:                              ;   in Loop: Header=BB356_16 Depth=1
	v_and_b32_e32 v7, 7, v0
	v_lshrrev_b32_e32 v1, 3, v2
	v_mov_b32_e32 v34, v8
	s_mov_b32 s24, exec_lo
	s_delay_alu instid0(VALU_DEP_3)
	v_mov_b32_e32 v33, v7
	v_cmpx_gt_u32_e32 8, v2
; %bb.143:                              ;   in Loop: Header=BB356_16 Depth=1
	v_clz_i32_u32_e32 v1, v7
	s_delay_alu instid0(VALU_DEP_1) | instskip(NEXT) | instid1(VALU_DEP_1)
	v_min_u32_e32 v1, 32, v1
	v_subrev_nc_u32_e32 v2, 28, v1
	v_sub_nc_u32_e32 v1, 29, v1
	s_delay_alu instid0(VALU_DEP_2) | instskip(NEXT) | instid1(VALU_DEP_1)
	v_lshlrev_b64 v[2:3], v2, v[7:8]
	v_and_b32_e32 v33, 7, v2
; %bb.144:                              ;   in Loop: Header=BB356_16 Depth=1
	s_or_b32 exec_lo, exec_lo, s24
	v_lshlrev_b32_e32 v0, 8, v0
	v_lshl_add_u32 v1, v1, 10, 0x2000
	s_delay_alu instid0(VALU_DEP_1) | instskip(NEXT) | instid1(VALU_DEP_1)
	v_and_or_b32 v0, 0x8000, v0, v1
	v_lshl_or_b32 v0, v33, 7, v0
	s_delay_alu instid0(VALU_DEP_1)
	v_cvt_f32_f16_e32 v0, v0
	scratch_store_b32 off, v0, s32 offset:372 ; 4-byte Folded Spill
.LBB356_145:                            ;   in Loop: Header=BB356_16 Depth=1
	s_or_b32 exec_lo, exec_lo, s23
.LBB356_146:                            ;   in Loop: Header=BB356_16 Depth=1
	s_delay_alu instid0(SALU_CYCLE_1)
	s_or_b32 exec_lo, exec_lo, s22
.LBB356_147:                            ;   in Loop: Header=BB356_16 Depth=1
	s_delay_alu instid0(SALU_CYCLE_1)
	s_or_b32 exec_lo, exec_lo, s21
	flat_load_b64 v[33:34], v[31:32] offset:512
	s_mov_b32 s21, exec_lo
	v_mov_b32_e32 v1, 0
	scratch_store_b32 off, v1, s32 offset:376 ; 4-byte Folded Spill
	v_mov_b32_e32 v1, 0
	scratch_store_b32 off, v1, s32 offset:540 ; 4-byte Folded Spill
	s_waitcnt vmcnt(0) lgkmcnt(0)
	v_and_b32_e32 v0, 0xff, v33
	s_delay_alu instid0(VALU_DEP_1)
	v_cmpx_ne_u16_e32 0, v0
	s_cbranch_execz .LBB356_155
; %bb.148:                              ;   in Loop: Header=BB356_16 Depth=1
	v_cmp_ne_u16_e64 s1, 0x80, v0
	v_bfrev_b32_e32 v0, 1
	s_delay_alu instid0(VALU_DEP_2)
	s_and_saveexec_b32 s22, s1
	s_cbranch_execz .LBB356_154
; %bb.149:                              ;   in Loop: Header=BB356_16 Depth=1
	v_and_b32_e32 v1, 0x7f, v33
	v_mov_b32_e32 v0, 0x7fc02000
	s_mov_b32 s23, exec_lo
	s_delay_alu instid0(VALU_DEP_2)
	v_cmpx_ne_u32_e32 0x7f, v1
	s_cbranch_execz .LBB356_153
; %bb.150:                              ;   in Loop: Header=BB356_16 Depth=1
	v_lshrrev_b32_e32 v0, 3, v1
	v_dual_mov_b32 v36, v34 :: v_dual_mov_b32 v35, v33
	s_mov_b32 s24, exec_lo
	v_cmpx_gt_u32_e32 8, v1
; %bb.151:                              ;   in Loop: Header=BB356_16 Depth=1
	v_and_b32_e32 v0, 7, v33
	s_delay_alu instid0(VALU_DEP_1) | instskip(NEXT) | instid1(VALU_DEP_1)
	v_clz_i32_u32_e32 v0, v0
	v_min_u32_e32 v0, 32, v0
	s_delay_alu instid0(VALU_DEP_1) | instskip(SKIP_1) | instid1(VALU_DEP_2)
	v_subrev_nc_u32_e32 v1, 28, v0
	v_sub_nc_u32_e32 v0, 29, v0
	v_lshlrev_b64 v[35:36], v1, v[33:34]
; %bb.152:                              ;   in Loop: Header=BB356_16 Depth=1
	s_or_b32 exec_lo, exec_lo, s24
	v_lshlrev_b32_e32 v1, 8, v33
	s_delay_alu instid0(VALU_DEP_3) | instskip(NEXT) | instid1(VALU_DEP_3)
	v_lshl_add_u32 v0, v0, 10, 0x2000
	v_lshlrev_b32_e32 v2, 7, v35
	s_delay_alu instid0(VALU_DEP_2) | instskip(NEXT) | instid1(VALU_DEP_1)
	v_and_or_b32 v0, 0x8000, v1, v0
	v_and_or_b32 v0, 0x380, v2, v0
	s_delay_alu instid0(VALU_DEP_1)
	v_cvt_f32_f16_e32 v0, v0
.LBB356_153:                            ;   in Loop: Header=BB356_16 Depth=1
	s_or_b32 exec_lo, exec_lo, s23
.LBB356_154:                            ;   in Loop: Header=BB356_16 Depth=1
	s_delay_alu instid0(SALU_CYCLE_1)
	s_or_b32 exec_lo, exec_lo, s22
	scratch_store_b32 off, v0, s32 offset:540 ; 4-byte Folded Spill
.LBB356_155:                            ;   in Loop: Header=BB356_16 Depth=1
	s_or_b32 exec_lo, exec_lo, s21
	v_lshrrev_b16 v0, 8, v33
	s_mov_b32 s21, exec_lo
	s_delay_alu instid0(VALU_DEP_1)
	v_cmpx_ne_u16_e32 0, v0
	s_cbranch_execz .LBB356_163
; %bb.156:                              ;   in Loop: Header=BB356_16 Depth=1
	v_bfrev_b32_e32 v1, 1
	s_mov_b32 s22, exec_lo
	scratch_store_b32 off, v1, s32 offset:376 ; 4-byte Folded Spill
	v_cmpx_ne_u16_e32 0x80, v0
	s_cbranch_execz .LBB356_162
; %bb.157:                              ;   in Loop: Header=BB356_16 Depth=1
	v_and_b32_e32 v0, 0xffff, v0
	v_mov_b32_e32 v1, 0x7fc02000
	s_mov_b32 s23, exec_lo
	s_delay_alu instid0(VALU_DEP_2)
	v_and_b32_e32 v2, 0x7f, v0
	scratch_store_b32 off, v1, s32 offset:376 ; 4-byte Folded Spill
	v_cmpx_ne_u32_e32 0x7f, v2
	s_cbranch_execz .LBB356_161
; %bb.158:                              ;   in Loop: Header=BB356_16 Depth=1
	v_and_b32_e32 v7, 7, v0
	v_lshrrev_b32_e32 v1, 3, v2
	v_mov_b32_e32 v36, v8
	s_mov_b32 s24, exec_lo
	s_delay_alu instid0(VALU_DEP_3)
	v_mov_b32_e32 v35, v7
	v_cmpx_gt_u32_e32 8, v2
; %bb.159:                              ;   in Loop: Header=BB356_16 Depth=1
	v_clz_i32_u32_e32 v1, v7
	s_delay_alu instid0(VALU_DEP_1) | instskip(NEXT) | instid1(VALU_DEP_1)
	v_min_u32_e32 v1, 32, v1
	v_subrev_nc_u32_e32 v2, 28, v1
	v_sub_nc_u32_e32 v1, 29, v1
	s_delay_alu instid0(VALU_DEP_2) | instskip(NEXT) | instid1(VALU_DEP_1)
	v_lshlrev_b64 v[2:3], v2, v[7:8]
	v_and_b32_e32 v35, 7, v2
; %bb.160:                              ;   in Loop: Header=BB356_16 Depth=1
	s_or_b32 exec_lo, exec_lo, s24
	v_lshlrev_b32_e32 v0, 8, v0
	v_lshl_add_u32 v1, v1, 10, 0x2000
	s_delay_alu instid0(VALU_DEP_1) | instskip(NEXT) | instid1(VALU_DEP_1)
	v_and_or_b32 v0, 0x8000, v0, v1
	v_lshl_or_b32 v0, v35, 7, v0
	s_delay_alu instid0(VALU_DEP_1)
	v_cvt_f32_f16_e32 v0, v0
	scratch_store_b32 off, v0, s32 offset:376 ; 4-byte Folded Spill
.LBB356_161:                            ;   in Loop: Header=BB356_16 Depth=1
	s_or_b32 exec_lo, exec_lo, s23
.LBB356_162:                            ;   in Loop: Header=BB356_16 Depth=1
	s_delay_alu instid0(SALU_CYCLE_1)
	s_or_b32 exec_lo, exec_lo, s22
.LBB356_163:                            ;   in Loop: Header=BB356_16 Depth=1
	s_delay_alu instid0(SALU_CYCLE_1) | instskip(SKIP_2) | instid1(VALU_DEP_1)
	s_or_b32 exec_lo, exec_lo, s21
	v_lshrrev_b32_e32 v0, 16, v33
	s_mov_b32 s21, exec_lo
	v_dual_mov_b32 v2, 0 :: v_dual_and_b32 v1, 0xff, v0
	scratch_store_b32 off, v2, s32 offset:380 ; 4-byte Folded Spill
	v_mov_b32_e32 v2, 0
	scratch_store_b32 off, v2, s32 offset:544 ; 4-byte Folded Spill
	v_cmpx_ne_u16_e32 0, v1
	s_cbranch_execz .LBB356_171
; %bb.164:                              ;   in Loop: Header=BB356_16 Depth=1
	v_cmp_ne_u16_e64 s1, 0x80, v1
	v_bfrev_b32_e32 v1, 1
	s_delay_alu instid0(VALU_DEP_2)
	s_and_saveexec_b32 s22, s1
	s_cbranch_execz .LBB356_170
; %bb.165:                              ;   in Loop: Header=BB356_16 Depth=1
	v_bfe_u32 v2, v33, 16, 7
	v_mov_b32_e32 v1, 0x7fc02000
	s_mov_b32 s23, exec_lo
	s_delay_alu instid0(VALU_DEP_2)
	v_cmpx_ne_u32_e32 0x7f, v2
	s_cbranch_execz .LBB356_169
; %bb.166:                              ;   in Loop: Header=BB356_16 Depth=1
	v_and_b32_e32 v7, 7, v0
	v_lshrrev_b32_e32 v1, 3, v2
	v_mov_b32_e32 v36, v8
	s_mov_b32 s24, exec_lo
	s_delay_alu instid0(VALU_DEP_3)
	v_mov_b32_e32 v35, v7
	v_cmpx_gt_u32_e32 8, v2
; %bb.167:                              ;   in Loop: Header=BB356_16 Depth=1
	v_clz_i32_u32_e32 v1, v7
	s_delay_alu instid0(VALU_DEP_1) | instskip(NEXT) | instid1(VALU_DEP_1)
	v_min_u32_e32 v1, 32, v1
	v_subrev_nc_u32_e32 v2, 28, v1
	v_sub_nc_u32_e32 v1, 29, v1
	s_delay_alu instid0(VALU_DEP_2) | instskip(NEXT) | instid1(VALU_DEP_1)
	v_lshlrev_b64 v[2:3], v2, v[7:8]
	v_and_b32_e32 v35, 7, v2
; %bb.168:                              ;   in Loop: Header=BB356_16 Depth=1
	s_or_b32 exec_lo, exec_lo, s24
	v_lshlrev_b32_e32 v0, 8, v0
	v_lshl_add_u32 v1, v1, 10, 0x2000
	s_delay_alu instid0(VALU_DEP_1) | instskip(NEXT) | instid1(VALU_DEP_1)
	v_and_or_b32 v0, 0x8000, v0, v1
	v_lshl_or_b32 v0, v35, 7, v0
	s_delay_alu instid0(VALU_DEP_1)
	v_cvt_f32_f16_e32 v1, v0
.LBB356_169:                            ;   in Loop: Header=BB356_16 Depth=1
	s_or_b32 exec_lo, exec_lo, s23
.LBB356_170:                            ;   in Loop: Header=BB356_16 Depth=1
	s_delay_alu instid0(SALU_CYCLE_1)
	s_or_b32 exec_lo, exec_lo, s22
	scratch_store_b32 off, v1, s32 offset:544 ; 4-byte Folded Spill
.LBB356_171:                            ;   in Loop: Header=BB356_16 Depth=1
	s_or_b32 exec_lo, exec_lo, s21
	s_delay_alu instid0(SALU_CYCLE_1)
	s_mov_b32 s21, exec_lo
	v_cmpx_lt_u32_e32 0xffffff, v33
	s_cbranch_execz .LBB356_179
; %bb.172:                              ;   in Loop: Header=BB356_16 Depth=1
	v_lshrrev_b32_e32 v0, 24, v33
	v_bfrev_b32_e32 v1, 1
	s_mov_b32 s22, exec_lo
	scratch_store_b32 off, v1, s32 offset:380 ; 4-byte Folded Spill
	v_cmpx_ne_u32_e32 0x80, v0
	s_cbranch_execz .LBB356_178
; %bb.173:                              ;   in Loop: Header=BB356_16 Depth=1
	v_and_b32_e32 v2, 0x7f, v0
	v_mov_b32_e32 v1, 0x7fc02000
	s_mov_b32 s23, exec_lo
	scratch_store_b32 off, v1, s32 offset:380 ; 4-byte Folded Spill
	v_cmpx_ne_u32_e32 0x7f, v2
	s_cbranch_execz .LBB356_177
; %bb.174:                              ;   in Loop: Header=BB356_16 Depth=1
	v_and_b32_e32 v7, 7, v0
	v_lshrrev_b32_e32 v1, 3, v2
	v_mov_b32_e32 v36, v8
	s_mov_b32 s24, exec_lo
	s_delay_alu instid0(VALU_DEP_3)
	v_mov_b32_e32 v35, v7
	v_cmpx_gt_u32_e32 8, v2
; %bb.175:                              ;   in Loop: Header=BB356_16 Depth=1
	v_clz_i32_u32_e32 v1, v7
	s_delay_alu instid0(VALU_DEP_1) | instskip(NEXT) | instid1(VALU_DEP_1)
	v_min_u32_e32 v1, 32, v1
	v_subrev_nc_u32_e32 v2, 28, v1
	v_sub_nc_u32_e32 v1, 29, v1
	s_delay_alu instid0(VALU_DEP_2) | instskip(NEXT) | instid1(VALU_DEP_1)
	v_lshlrev_b64 v[2:3], v2, v[7:8]
	v_and_b32_e32 v35, 7, v2
; %bb.176:                              ;   in Loop: Header=BB356_16 Depth=1
	s_or_b32 exec_lo, exec_lo, s24
	v_lshlrev_b32_e32 v0, 8, v0
	v_lshl_add_u32 v1, v1, 10, 0x2000
	s_delay_alu instid0(VALU_DEP_1) | instskip(NEXT) | instid1(VALU_DEP_1)
	v_and_or_b32 v0, 0x8000, v0, v1
	v_lshl_or_b32 v0, v35, 7, v0
	s_delay_alu instid0(VALU_DEP_1)
	v_cvt_f32_f16_e32 v0, v0
	scratch_store_b32 off, v0, s32 offset:380 ; 4-byte Folded Spill
.LBB356_177:                            ;   in Loop: Header=BB356_16 Depth=1
	s_or_b32 exec_lo, exec_lo, s23
.LBB356_178:                            ;   in Loop: Header=BB356_16 Depth=1
	s_delay_alu instid0(SALU_CYCLE_1)
	s_or_b32 exec_lo, exec_lo, s22
.LBB356_179:                            ;   in Loop: Header=BB356_16 Depth=1
	s_delay_alu instid0(SALU_CYCLE_1)
	s_or_b32 exec_lo, exec_lo, s21
	v_dual_mov_b32 v1, 0 :: v_dual_and_b32 v0, 0xff, v34
	v_mov_b32_e32 v7, v34
	s_mov_b32 s21, exec_lo
	scratch_store_b32 off, v1, s32 offset:384 ; 4-byte Folded Spill
	v_mov_b32_e32 v1, 0
	scratch_store_b32 off, v1, s32 offset:548 ; 4-byte Folded Spill
	v_cmpx_ne_u16_e32 0, v0
	s_cbranch_execz .LBB356_187
; %bb.180:                              ;   in Loop: Header=BB356_16 Depth=1
	v_cmp_ne_u16_e64 s1, 0x80, v0
	v_bfrev_b32_e32 v0, 1
	s_delay_alu instid0(VALU_DEP_2)
	s_and_saveexec_b32 s22, s1
	s_cbranch_execz .LBB356_186
; %bb.181:                              ;   in Loop: Header=BB356_16 Depth=1
	v_and_b32_e32 v1, 0x7f, v34
	v_mov_b32_e32 v0, 0x7fc02000
	s_mov_b32 s23, exec_lo
	s_delay_alu instid0(VALU_DEP_2)
	v_cmpx_ne_u32_e32 0x7f, v1
	s_cbranch_execz .LBB356_185
; %bb.182:                              ;   in Loop: Header=BB356_16 Depth=1
	v_lshrrev_b32_e32 v0, 3, v1
	v_dual_mov_b32 v36, v8 :: v_dual_mov_b32 v35, v7
	s_mov_b32 s24, exec_lo
	v_cmpx_gt_u32_e32 8, v1
; %bb.183:                              ;   in Loop: Header=BB356_16 Depth=1
	v_and_b32_e32 v0, 7, v34
	s_delay_alu instid0(VALU_DEP_1) | instskip(NEXT) | instid1(VALU_DEP_1)
	v_clz_i32_u32_e32 v0, v0
	v_min_u32_e32 v0, 32, v0
	s_delay_alu instid0(VALU_DEP_1) | instskip(SKIP_1) | instid1(VALU_DEP_2)
	v_subrev_nc_u32_e32 v1, 28, v0
	v_sub_nc_u32_e32 v0, 29, v0
	v_lshlrev_b64 v[35:36], v1, v[7:8]
; %bb.184:                              ;   in Loop: Header=BB356_16 Depth=1
	s_or_b32 exec_lo, exec_lo, s24
	v_lshlrev_b32_e32 v1, 8, v34
	s_delay_alu instid0(VALU_DEP_3) | instskip(NEXT) | instid1(VALU_DEP_3)
	v_lshl_add_u32 v0, v0, 10, 0x2000
	v_lshlrev_b32_e32 v2, 7, v35
	s_delay_alu instid0(VALU_DEP_2) | instskip(NEXT) | instid1(VALU_DEP_1)
	v_and_or_b32 v0, 0x8000, v1, v0
	v_and_or_b32 v0, 0x380, v2, v0
	s_delay_alu instid0(VALU_DEP_1)
	v_cvt_f32_f16_e32 v0, v0
.LBB356_185:                            ;   in Loop: Header=BB356_16 Depth=1
	s_or_b32 exec_lo, exec_lo, s23
.LBB356_186:                            ;   in Loop: Header=BB356_16 Depth=1
	s_delay_alu instid0(SALU_CYCLE_1)
	s_or_b32 exec_lo, exec_lo, s22
	scratch_store_b32 off, v0, s32 offset:548 ; 4-byte Folded Spill
.LBB356_187:                            ;   in Loop: Header=BB356_16 Depth=1
	s_or_b32 exec_lo, exec_lo, s21
	v_lshrrev_b16 v0, 8, v7
	s_mov_b32 s21, exec_lo
	s_delay_alu instid0(VALU_DEP_1)
	v_cmpx_ne_u16_e32 0, v0
	s_cbranch_execz .LBB356_195
; %bb.188:                              ;   in Loop: Header=BB356_16 Depth=1
	v_bfrev_b32_e32 v1, 1
	s_mov_b32 s22, exec_lo
	scratch_store_b32 off, v1, s32 offset:384 ; 4-byte Folded Spill
	v_cmpx_ne_u16_e32 0x80, v0
	s_cbranch_execz .LBB356_194
; %bb.189:                              ;   in Loop: Header=BB356_16 Depth=1
	v_and_b32_e32 v0, 0xffff, v0
	v_mov_b32_e32 v1, 0x7fc02000
	s_mov_b32 s23, exec_lo
	s_delay_alu instid0(VALU_DEP_2)
	v_and_b32_e32 v2, 0x7f, v0
	scratch_store_b32 off, v1, s32 offset:384 ; 4-byte Folded Spill
	v_cmpx_ne_u32_e32 0x7f, v2
	s_cbranch_execz .LBB356_193
; %bb.190:                              ;   in Loop: Header=BB356_16 Depth=1
	v_and_b32_e32 v7, 7, v0
	v_lshrrev_b32_e32 v1, 3, v2
	v_mov_b32_e32 v36, v8
	s_mov_b32 s24, exec_lo
	s_delay_alu instid0(VALU_DEP_3)
	v_mov_b32_e32 v35, v7
	v_cmpx_gt_u32_e32 8, v2
; %bb.191:                              ;   in Loop: Header=BB356_16 Depth=1
	v_clz_i32_u32_e32 v1, v7
	s_delay_alu instid0(VALU_DEP_1) | instskip(NEXT) | instid1(VALU_DEP_1)
	v_min_u32_e32 v1, 32, v1
	v_subrev_nc_u32_e32 v2, 28, v1
	v_sub_nc_u32_e32 v1, 29, v1
	s_delay_alu instid0(VALU_DEP_2) | instskip(NEXT) | instid1(VALU_DEP_1)
	v_lshlrev_b64 v[2:3], v2, v[7:8]
	v_and_b32_e32 v35, 7, v2
; %bb.192:                              ;   in Loop: Header=BB356_16 Depth=1
	s_or_b32 exec_lo, exec_lo, s24
	v_lshlrev_b32_e32 v0, 8, v0
	v_lshl_add_u32 v1, v1, 10, 0x2000
	s_delay_alu instid0(VALU_DEP_1) | instskip(NEXT) | instid1(VALU_DEP_1)
	v_and_or_b32 v0, 0x8000, v0, v1
	v_lshl_or_b32 v0, v35, 7, v0
	s_delay_alu instid0(VALU_DEP_1)
	v_cvt_f32_f16_e32 v0, v0
	scratch_store_b32 off, v0, s32 offset:384 ; 4-byte Folded Spill
.LBB356_193:                            ;   in Loop: Header=BB356_16 Depth=1
	s_or_b32 exec_lo, exec_lo, s23
.LBB356_194:                            ;   in Loop: Header=BB356_16 Depth=1
	s_delay_alu instid0(SALU_CYCLE_1)
	s_or_b32 exec_lo, exec_lo, s22
.LBB356_195:                            ;   in Loop: Header=BB356_16 Depth=1
	s_delay_alu instid0(SALU_CYCLE_1) | instskip(SKIP_2) | instid1(VALU_DEP_1)
	s_or_b32 exec_lo, exec_lo, s21
	v_lshrrev_b32_e32 v0, 16, v34
	s_mov_b32 s21, exec_lo
	v_dual_mov_b32 v2, 0 :: v_dual_and_b32 v1, 0xff, v0
	scratch_store_b32 off, v2, s32 offset:388 ; 4-byte Folded Spill
	v_mov_b32_e32 v2, 0
	scratch_store_b32 off, v2, s32 offset:552 ; 4-byte Folded Spill
	v_cmpx_ne_u16_e32 0, v1
	s_cbranch_execz .LBB356_203
; %bb.196:                              ;   in Loop: Header=BB356_16 Depth=1
	v_cmp_ne_u16_e64 s1, 0x80, v1
	v_bfrev_b32_e32 v1, 1
	s_delay_alu instid0(VALU_DEP_2)
	s_and_saveexec_b32 s22, s1
	s_cbranch_execz .LBB356_202
; %bb.197:                              ;   in Loop: Header=BB356_16 Depth=1
	v_bfe_u32 v2, v34, 16, 7
	v_mov_b32_e32 v1, 0x7fc02000
	s_mov_b32 s23, exec_lo
	s_delay_alu instid0(VALU_DEP_2)
	v_cmpx_ne_u32_e32 0x7f, v2
	s_cbranch_execz .LBB356_201
; %bb.198:                              ;   in Loop: Header=BB356_16 Depth=1
	v_and_b32_e32 v7, 7, v0
	v_lshrrev_b32_e32 v1, 3, v2
	v_mov_b32_e32 v36, v8
	s_mov_b32 s24, exec_lo
	s_delay_alu instid0(VALU_DEP_3)
	v_mov_b32_e32 v35, v7
	v_cmpx_gt_u32_e32 8, v2
; %bb.199:                              ;   in Loop: Header=BB356_16 Depth=1
	v_clz_i32_u32_e32 v1, v7
	s_delay_alu instid0(VALU_DEP_1) | instskip(NEXT) | instid1(VALU_DEP_1)
	v_min_u32_e32 v1, 32, v1
	v_subrev_nc_u32_e32 v2, 28, v1
	v_sub_nc_u32_e32 v1, 29, v1
	s_delay_alu instid0(VALU_DEP_2) | instskip(NEXT) | instid1(VALU_DEP_1)
	v_lshlrev_b64 v[2:3], v2, v[7:8]
	v_and_b32_e32 v35, 7, v2
; %bb.200:                              ;   in Loop: Header=BB356_16 Depth=1
	s_or_b32 exec_lo, exec_lo, s24
	v_lshlrev_b32_e32 v0, 8, v0
	v_lshl_add_u32 v1, v1, 10, 0x2000
	s_delay_alu instid0(VALU_DEP_1) | instskip(NEXT) | instid1(VALU_DEP_1)
	v_and_or_b32 v0, 0x8000, v0, v1
	v_lshl_or_b32 v0, v35, 7, v0
	s_delay_alu instid0(VALU_DEP_1)
	v_cvt_f32_f16_e32 v1, v0
.LBB356_201:                            ;   in Loop: Header=BB356_16 Depth=1
	s_or_b32 exec_lo, exec_lo, s23
.LBB356_202:                            ;   in Loop: Header=BB356_16 Depth=1
	s_delay_alu instid0(SALU_CYCLE_1)
	s_or_b32 exec_lo, exec_lo, s22
	scratch_store_b32 off, v1, s32 offset:552 ; 4-byte Folded Spill
.LBB356_203:                            ;   in Loop: Header=BB356_16 Depth=1
	s_or_b32 exec_lo, exec_lo, s21
	s_delay_alu instid0(SALU_CYCLE_1)
	s_mov_b32 s21, exec_lo
	v_cmpx_lt_u64_e64 s[8:9], v[33:34]
	s_cbranch_execz .LBB356_211
; %bb.204:                              ;   in Loop: Header=BB356_16 Depth=1
	v_lshrrev_b32_e32 v0, 24, v34
	v_bfrev_b32_e32 v1, 1
	s_mov_b32 s22, exec_lo
	scratch_store_b32 off, v1, s32 offset:388 ; 4-byte Folded Spill
	v_cmpx_ne_u32_e32 0x80, v0
	s_cbranch_execz .LBB356_210
; %bb.205:                              ;   in Loop: Header=BB356_16 Depth=1
	v_and_b32_e32 v2, 0x7f, v0
	v_mov_b32_e32 v1, 0x7fc02000
	s_mov_b32 s23, exec_lo
	scratch_store_b32 off, v1, s32 offset:388 ; 4-byte Folded Spill
	v_cmpx_ne_u32_e32 0x7f, v2
	s_cbranch_execz .LBB356_209
; %bb.206:                              ;   in Loop: Header=BB356_16 Depth=1
	v_and_b32_e32 v7, 7, v0
	v_lshrrev_b32_e32 v1, 3, v2
	v_mov_b32_e32 v34, v8
	s_mov_b32 s24, exec_lo
	s_delay_alu instid0(VALU_DEP_3)
	v_mov_b32_e32 v33, v7
	v_cmpx_gt_u32_e32 8, v2
; %bb.207:                              ;   in Loop: Header=BB356_16 Depth=1
	v_clz_i32_u32_e32 v1, v7
	s_delay_alu instid0(VALU_DEP_1) | instskip(NEXT) | instid1(VALU_DEP_1)
	v_min_u32_e32 v1, 32, v1
	v_subrev_nc_u32_e32 v2, 28, v1
	v_sub_nc_u32_e32 v1, 29, v1
	s_delay_alu instid0(VALU_DEP_2) | instskip(NEXT) | instid1(VALU_DEP_1)
	v_lshlrev_b64 v[2:3], v2, v[7:8]
	v_and_b32_e32 v33, 7, v2
; %bb.208:                              ;   in Loop: Header=BB356_16 Depth=1
	s_or_b32 exec_lo, exec_lo, s24
	v_lshlrev_b32_e32 v0, 8, v0
	v_lshl_add_u32 v1, v1, 10, 0x2000
	s_delay_alu instid0(VALU_DEP_1) | instskip(NEXT) | instid1(VALU_DEP_1)
	v_and_or_b32 v0, 0x8000, v0, v1
	v_lshl_or_b32 v0, v33, 7, v0
	s_delay_alu instid0(VALU_DEP_1)
	v_cvt_f32_f16_e32 v0, v0
	scratch_store_b32 off, v0, s32 offset:388 ; 4-byte Folded Spill
.LBB356_209:                            ;   in Loop: Header=BB356_16 Depth=1
	s_or_b32 exec_lo, exec_lo, s23
.LBB356_210:                            ;   in Loop: Header=BB356_16 Depth=1
	s_delay_alu instid0(SALU_CYCLE_1)
	s_or_b32 exec_lo, exec_lo, s22
.LBB356_211:                            ;   in Loop: Header=BB356_16 Depth=1
	s_delay_alu instid0(SALU_CYCLE_1)
	s_or_b32 exec_lo, exec_lo, s21
	flat_load_b64 v[33:34], v[31:32] offset:520
	s_mov_b32 s21, exec_lo
	v_mov_b32_e32 v1, 0
	scratch_store_b32 off, v1, s32 offset:392 ; 4-byte Folded Spill
	v_mov_b32_e32 v1, 0
	scratch_store_b32 off, v1, s32 offset:556 ; 4-byte Folded Spill
	s_waitcnt vmcnt(0) lgkmcnt(0)
	v_and_b32_e32 v0, 0xff, v33
	s_delay_alu instid0(VALU_DEP_1)
	v_cmpx_ne_u16_e32 0, v0
	s_cbranch_execz .LBB356_219
; %bb.212:                              ;   in Loop: Header=BB356_16 Depth=1
	v_cmp_ne_u16_e64 s1, 0x80, v0
	v_bfrev_b32_e32 v0, 1
	s_delay_alu instid0(VALU_DEP_2)
	s_and_saveexec_b32 s22, s1
	s_cbranch_execz .LBB356_218
; %bb.213:                              ;   in Loop: Header=BB356_16 Depth=1
	v_and_b32_e32 v1, 0x7f, v33
	v_mov_b32_e32 v0, 0x7fc02000
	s_mov_b32 s23, exec_lo
	s_delay_alu instid0(VALU_DEP_2)
	v_cmpx_ne_u32_e32 0x7f, v1
	s_cbranch_execz .LBB356_217
; %bb.214:                              ;   in Loop: Header=BB356_16 Depth=1
	v_lshrrev_b32_e32 v0, 3, v1
	v_dual_mov_b32 v36, v34 :: v_dual_mov_b32 v35, v33
	s_mov_b32 s24, exec_lo
	v_cmpx_gt_u32_e32 8, v1
; %bb.215:                              ;   in Loop: Header=BB356_16 Depth=1
	v_and_b32_e32 v0, 7, v33
	s_delay_alu instid0(VALU_DEP_1) | instskip(NEXT) | instid1(VALU_DEP_1)
	v_clz_i32_u32_e32 v0, v0
	v_min_u32_e32 v0, 32, v0
	s_delay_alu instid0(VALU_DEP_1) | instskip(SKIP_1) | instid1(VALU_DEP_2)
	v_subrev_nc_u32_e32 v1, 28, v0
	v_sub_nc_u32_e32 v0, 29, v0
	v_lshlrev_b64 v[35:36], v1, v[33:34]
; %bb.216:                              ;   in Loop: Header=BB356_16 Depth=1
	s_or_b32 exec_lo, exec_lo, s24
	v_lshlrev_b32_e32 v1, 8, v33
	s_delay_alu instid0(VALU_DEP_3) | instskip(NEXT) | instid1(VALU_DEP_3)
	v_lshl_add_u32 v0, v0, 10, 0x2000
	v_lshlrev_b32_e32 v2, 7, v35
	s_delay_alu instid0(VALU_DEP_2) | instskip(NEXT) | instid1(VALU_DEP_1)
	v_and_or_b32 v0, 0x8000, v1, v0
	v_and_or_b32 v0, 0x380, v2, v0
	s_delay_alu instid0(VALU_DEP_1)
	v_cvt_f32_f16_e32 v0, v0
.LBB356_217:                            ;   in Loop: Header=BB356_16 Depth=1
	s_or_b32 exec_lo, exec_lo, s23
.LBB356_218:                            ;   in Loop: Header=BB356_16 Depth=1
	s_delay_alu instid0(SALU_CYCLE_1)
	s_or_b32 exec_lo, exec_lo, s22
	scratch_store_b32 off, v0, s32 offset:556 ; 4-byte Folded Spill
.LBB356_219:                            ;   in Loop: Header=BB356_16 Depth=1
	s_or_b32 exec_lo, exec_lo, s21
	v_lshrrev_b16 v0, 8, v33
	s_mov_b32 s21, exec_lo
	s_delay_alu instid0(VALU_DEP_1)
	v_cmpx_ne_u16_e32 0, v0
	s_cbranch_execz .LBB356_227
; %bb.220:                              ;   in Loop: Header=BB356_16 Depth=1
	v_bfrev_b32_e32 v1, 1
	s_mov_b32 s22, exec_lo
	scratch_store_b32 off, v1, s32 offset:392 ; 4-byte Folded Spill
	v_cmpx_ne_u16_e32 0x80, v0
	s_cbranch_execz .LBB356_226
; %bb.221:                              ;   in Loop: Header=BB356_16 Depth=1
	v_and_b32_e32 v0, 0xffff, v0
	v_mov_b32_e32 v1, 0x7fc02000
	s_mov_b32 s23, exec_lo
	s_delay_alu instid0(VALU_DEP_2)
	v_and_b32_e32 v2, 0x7f, v0
	scratch_store_b32 off, v1, s32 offset:392 ; 4-byte Folded Spill
	v_cmpx_ne_u32_e32 0x7f, v2
	s_cbranch_execz .LBB356_225
; %bb.222:                              ;   in Loop: Header=BB356_16 Depth=1
	v_and_b32_e32 v7, 7, v0
	v_lshrrev_b32_e32 v1, 3, v2
	v_mov_b32_e32 v36, v8
	s_mov_b32 s24, exec_lo
	s_delay_alu instid0(VALU_DEP_3)
	v_mov_b32_e32 v35, v7
	v_cmpx_gt_u32_e32 8, v2
; %bb.223:                              ;   in Loop: Header=BB356_16 Depth=1
	v_clz_i32_u32_e32 v1, v7
	s_delay_alu instid0(VALU_DEP_1) | instskip(NEXT) | instid1(VALU_DEP_1)
	v_min_u32_e32 v1, 32, v1
	v_subrev_nc_u32_e32 v2, 28, v1
	v_sub_nc_u32_e32 v1, 29, v1
	s_delay_alu instid0(VALU_DEP_2) | instskip(NEXT) | instid1(VALU_DEP_1)
	v_lshlrev_b64 v[2:3], v2, v[7:8]
	v_and_b32_e32 v35, 7, v2
; %bb.224:                              ;   in Loop: Header=BB356_16 Depth=1
	s_or_b32 exec_lo, exec_lo, s24
	v_lshlrev_b32_e32 v0, 8, v0
	v_lshl_add_u32 v1, v1, 10, 0x2000
	s_delay_alu instid0(VALU_DEP_1) | instskip(NEXT) | instid1(VALU_DEP_1)
	v_and_or_b32 v0, 0x8000, v0, v1
	v_lshl_or_b32 v0, v35, 7, v0
	s_delay_alu instid0(VALU_DEP_1)
	v_cvt_f32_f16_e32 v0, v0
	scratch_store_b32 off, v0, s32 offset:392 ; 4-byte Folded Spill
.LBB356_225:                            ;   in Loop: Header=BB356_16 Depth=1
	s_or_b32 exec_lo, exec_lo, s23
.LBB356_226:                            ;   in Loop: Header=BB356_16 Depth=1
	s_delay_alu instid0(SALU_CYCLE_1)
	s_or_b32 exec_lo, exec_lo, s22
.LBB356_227:                            ;   in Loop: Header=BB356_16 Depth=1
	s_delay_alu instid0(SALU_CYCLE_1) | instskip(SKIP_2) | instid1(VALU_DEP_1)
	s_or_b32 exec_lo, exec_lo, s21
	v_lshrrev_b32_e32 v0, 16, v33
	s_mov_b32 s21, exec_lo
	v_dual_mov_b32 v2, 0 :: v_dual_and_b32 v1, 0xff, v0
	scratch_store_b32 off, v2, s32 offset:396 ; 4-byte Folded Spill
	v_mov_b32_e32 v2, 0
	scratch_store_b32 off, v2, s32 offset:560 ; 4-byte Folded Spill
	v_cmpx_ne_u16_e32 0, v1
	s_cbranch_execz .LBB356_235
; %bb.228:                              ;   in Loop: Header=BB356_16 Depth=1
	v_cmp_ne_u16_e64 s1, 0x80, v1
	v_bfrev_b32_e32 v1, 1
	s_delay_alu instid0(VALU_DEP_2)
	s_and_saveexec_b32 s22, s1
	s_cbranch_execz .LBB356_234
; %bb.229:                              ;   in Loop: Header=BB356_16 Depth=1
	v_bfe_u32 v2, v33, 16, 7
	v_mov_b32_e32 v1, 0x7fc02000
	s_mov_b32 s23, exec_lo
	s_delay_alu instid0(VALU_DEP_2)
	v_cmpx_ne_u32_e32 0x7f, v2
	s_cbranch_execz .LBB356_233
; %bb.230:                              ;   in Loop: Header=BB356_16 Depth=1
	v_and_b32_e32 v7, 7, v0
	v_lshrrev_b32_e32 v1, 3, v2
	v_mov_b32_e32 v36, v8
	s_mov_b32 s24, exec_lo
	s_delay_alu instid0(VALU_DEP_3)
	v_mov_b32_e32 v35, v7
	v_cmpx_gt_u32_e32 8, v2
; %bb.231:                              ;   in Loop: Header=BB356_16 Depth=1
	v_clz_i32_u32_e32 v1, v7
	s_delay_alu instid0(VALU_DEP_1) | instskip(NEXT) | instid1(VALU_DEP_1)
	v_min_u32_e32 v1, 32, v1
	v_subrev_nc_u32_e32 v2, 28, v1
	v_sub_nc_u32_e32 v1, 29, v1
	s_delay_alu instid0(VALU_DEP_2) | instskip(NEXT) | instid1(VALU_DEP_1)
	v_lshlrev_b64 v[2:3], v2, v[7:8]
	v_and_b32_e32 v35, 7, v2
; %bb.232:                              ;   in Loop: Header=BB356_16 Depth=1
	s_or_b32 exec_lo, exec_lo, s24
	v_lshlrev_b32_e32 v0, 8, v0
	v_lshl_add_u32 v1, v1, 10, 0x2000
	s_delay_alu instid0(VALU_DEP_1) | instskip(NEXT) | instid1(VALU_DEP_1)
	v_and_or_b32 v0, 0x8000, v0, v1
	v_lshl_or_b32 v0, v35, 7, v0
	s_delay_alu instid0(VALU_DEP_1)
	v_cvt_f32_f16_e32 v1, v0
.LBB356_233:                            ;   in Loop: Header=BB356_16 Depth=1
	s_or_b32 exec_lo, exec_lo, s23
.LBB356_234:                            ;   in Loop: Header=BB356_16 Depth=1
	s_delay_alu instid0(SALU_CYCLE_1)
	s_or_b32 exec_lo, exec_lo, s22
	scratch_store_b32 off, v1, s32 offset:560 ; 4-byte Folded Spill
.LBB356_235:                            ;   in Loop: Header=BB356_16 Depth=1
	s_or_b32 exec_lo, exec_lo, s21
	s_delay_alu instid0(SALU_CYCLE_1)
	s_mov_b32 s21, exec_lo
	v_cmpx_lt_u32_e32 0xffffff, v33
	s_cbranch_execz .LBB356_243
; %bb.236:                              ;   in Loop: Header=BB356_16 Depth=1
	v_lshrrev_b32_e32 v0, 24, v33
	v_bfrev_b32_e32 v1, 1
	s_mov_b32 s22, exec_lo
	scratch_store_b32 off, v1, s32 offset:396 ; 4-byte Folded Spill
	v_cmpx_ne_u32_e32 0x80, v0
	s_cbranch_execz .LBB356_242
; %bb.237:                              ;   in Loop: Header=BB356_16 Depth=1
	v_and_b32_e32 v2, 0x7f, v0
	v_mov_b32_e32 v1, 0x7fc02000
	s_mov_b32 s23, exec_lo
	scratch_store_b32 off, v1, s32 offset:396 ; 4-byte Folded Spill
	v_cmpx_ne_u32_e32 0x7f, v2
	s_cbranch_execz .LBB356_241
; %bb.238:                              ;   in Loop: Header=BB356_16 Depth=1
	v_and_b32_e32 v7, 7, v0
	v_lshrrev_b32_e32 v1, 3, v2
	v_mov_b32_e32 v36, v8
	s_mov_b32 s24, exec_lo
	s_delay_alu instid0(VALU_DEP_3)
	v_mov_b32_e32 v35, v7
	v_cmpx_gt_u32_e32 8, v2
; %bb.239:                              ;   in Loop: Header=BB356_16 Depth=1
	v_clz_i32_u32_e32 v1, v7
	s_delay_alu instid0(VALU_DEP_1) | instskip(NEXT) | instid1(VALU_DEP_1)
	v_min_u32_e32 v1, 32, v1
	v_subrev_nc_u32_e32 v2, 28, v1
	v_sub_nc_u32_e32 v1, 29, v1
	s_delay_alu instid0(VALU_DEP_2) | instskip(NEXT) | instid1(VALU_DEP_1)
	v_lshlrev_b64 v[2:3], v2, v[7:8]
	v_and_b32_e32 v35, 7, v2
; %bb.240:                              ;   in Loop: Header=BB356_16 Depth=1
	s_or_b32 exec_lo, exec_lo, s24
	v_lshlrev_b32_e32 v0, 8, v0
	v_lshl_add_u32 v1, v1, 10, 0x2000
	s_delay_alu instid0(VALU_DEP_1) | instskip(NEXT) | instid1(VALU_DEP_1)
	v_and_or_b32 v0, 0x8000, v0, v1
	v_lshl_or_b32 v0, v35, 7, v0
	s_delay_alu instid0(VALU_DEP_1)
	v_cvt_f32_f16_e32 v0, v0
	scratch_store_b32 off, v0, s32 offset:396 ; 4-byte Folded Spill
.LBB356_241:                            ;   in Loop: Header=BB356_16 Depth=1
	s_or_b32 exec_lo, exec_lo, s23
.LBB356_242:                            ;   in Loop: Header=BB356_16 Depth=1
	s_delay_alu instid0(SALU_CYCLE_1)
	s_or_b32 exec_lo, exec_lo, s22
.LBB356_243:                            ;   in Loop: Header=BB356_16 Depth=1
	s_delay_alu instid0(SALU_CYCLE_1)
	s_or_b32 exec_lo, exec_lo, s21
	v_dual_mov_b32 v1, 0 :: v_dual_and_b32 v0, 0xff, v34
	v_mov_b32_e32 v7, v34
	s_mov_b32 s21, exec_lo
	scratch_store_b32 off, v1, s32 offset:400 ; 4-byte Folded Spill
	v_mov_b32_e32 v1, 0
	scratch_store_b32 off, v1, s32 offset:564 ; 4-byte Folded Spill
	v_cmpx_ne_u16_e32 0, v0
	s_cbranch_execz .LBB356_251
; %bb.244:                              ;   in Loop: Header=BB356_16 Depth=1
	v_cmp_ne_u16_e64 s1, 0x80, v0
	v_bfrev_b32_e32 v0, 1
	s_delay_alu instid0(VALU_DEP_2)
	s_and_saveexec_b32 s22, s1
	s_cbranch_execz .LBB356_250
; %bb.245:                              ;   in Loop: Header=BB356_16 Depth=1
	v_and_b32_e32 v1, 0x7f, v34
	v_mov_b32_e32 v0, 0x7fc02000
	s_mov_b32 s23, exec_lo
	s_delay_alu instid0(VALU_DEP_2)
	v_cmpx_ne_u32_e32 0x7f, v1
	s_cbranch_execz .LBB356_249
; %bb.246:                              ;   in Loop: Header=BB356_16 Depth=1
	v_lshrrev_b32_e32 v0, 3, v1
	v_dual_mov_b32 v36, v8 :: v_dual_mov_b32 v35, v7
	s_mov_b32 s24, exec_lo
	v_cmpx_gt_u32_e32 8, v1
; %bb.247:                              ;   in Loop: Header=BB356_16 Depth=1
	v_and_b32_e32 v0, 7, v34
	s_delay_alu instid0(VALU_DEP_1) | instskip(NEXT) | instid1(VALU_DEP_1)
	v_clz_i32_u32_e32 v0, v0
	v_min_u32_e32 v0, 32, v0
	s_delay_alu instid0(VALU_DEP_1) | instskip(SKIP_1) | instid1(VALU_DEP_2)
	v_subrev_nc_u32_e32 v1, 28, v0
	v_sub_nc_u32_e32 v0, 29, v0
	v_lshlrev_b64 v[35:36], v1, v[7:8]
; %bb.248:                              ;   in Loop: Header=BB356_16 Depth=1
	s_or_b32 exec_lo, exec_lo, s24
	v_lshlrev_b32_e32 v1, 8, v34
	s_delay_alu instid0(VALU_DEP_3) | instskip(NEXT) | instid1(VALU_DEP_3)
	v_lshl_add_u32 v0, v0, 10, 0x2000
	v_lshlrev_b32_e32 v2, 7, v35
	s_delay_alu instid0(VALU_DEP_2) | instskip(NEXT) | instid1(VALU_DEP_1)
	v_and_or_b32 v0, 0x8000, v1, v0
	v_and_or_b32 v0, 0x380, v2, v0
	s_delay_alu instid0(VALU_DEP_1)
	v_cvt_f32_f16_e32 v0, v0
.LBB356_249:                            ;   in Loop: Header=BB356_16 Depth=1
	s_or_b32 exec_lo, exec_lo, s23
.LBB356_250:                            ;   in Loop: Header=BB356_16 Depth=1
	s_delay_alu instid0(SALU_CYCLE_1)
	s_or_b32 exec_lo, exec_lo, s22
	scratch_store_b32 off, v0, s32 offset:564 ; 4-byte Folded Spill
.LBB356_251:                            ;   in Loop: Header=BB356_16 Depth=1
	s_or_b32 exec_lo, exec_lo, s21
	v_lshrrev_b16 v0, 8, v7
	s_mov_b32 s21, exec_lo
	s_delay_alu instid0(VALU_DEP_1)
	v_cmpx_ne_u16_e32 0, v0
	s_cbranch_execz .LBB356_259
; %bb.252:                              ;   in Loop: Header=BB356_16 Depth=1
	v_bfrev_b32_e32 v1, 1
	s_mov_b32 s22, exec_lo
	scratch_store_b32 off, v1, s32 offset:400 ; 4-byte Folded Spill
	v_cmpx_ne_u16_e32 0x80, v0
	s_cbranch_execz .LBB356_258
; %bb.253:                              ;   in Loop: Header=BB356_16 Depth=1
	v_and_b32_e32 v0, 0xffff, v0
	v_mov_b32_e32 v1, 0x7fc02000
	s_mov_b32 s23, exec_lo
	s_delay_alu instid0(VALU_DEP_2)
	v_and_b32_e32 v2, 0x7f, v0
	scratch_store_b32 off, v1, s32 offset:400 ; 4-byte Folded Spill
	v_cmpx_ne_u32_e32 0x7f, v2
	s_cbranch_execz .LBB356_257
; %bb.254:                              ;   in Loop: Header=BB356_16 Depth=1
	v_and_b32_e32 v7, 7, v0
	v_lshrrev_b32_e32 v1, 3, v2
	v_mov_b32_e32 v36, v8
	s_mov_b32 s24, exec_lo
	s_delay_alu instid0(VALU_DEP_3)
	v_mov_b32_e32 v35, v7
	v_cmpx_gt_u32_e32 8, v2
; %bb.255:                              ;   in Loop: Header=BB356_16 Depth=1
	v_clz_i32_u32_e32 v1, v7
	s_delay_alu instid0(VALU_DEP_1) | instskip(NEXT) | instid1(VALU_DEP_1)
	v_min_u32_e32 v1, 32, v1
	v_subrev_nc_u32_e32 v2, 28, v1
	v_sub_nc_u32_e32 v1, 29, v1
	s_delay_alu instid0(VALU_DEP_2) | instskip(NEXT) | instid1(VALU_DEP_1)
	v_lshlrev_b64 v[2:3], v2, v[7:8]
	v_and_b32_e32 v35, 7, v2
; %bb.256:                              ;   in Loop: Header=BB356_16 Depth=1
	s_or_b32 exec_lo, exec_lo, s24
	v_lshlrev_b32_e32 v0, 8, v0
	v_lshl_add_u32 v1, v1, 10, 0x2000
	s_delay_alu instid0(VALU_DEP_1) | instskip(NEXT) | instid1(VALU_DEP_1)
	v_and_or_b32 v0, 0x8000, v0, v1
	v_lshl_or_b32 v0, v35, 7, v0
	s_delay_alu instid0(VALU_DEP_1)
	v_cvt_f32_f16_e32 v0, v0
	scratch_store_b32 off, v0, s32 offset:400 ; 4-byte Folded Spill
.LBB356_257:                            ;   in Loop: Header=BB356_16 Depth=1
	s_or_b32 exec_lo, exec_lo, s23
.LBB356_258:                            ;   in Loop: Header=BB356_16 Depth=1
	s_delay_alu instid0(SALU_CYCLE_1)
	s_or_b32 exec_lo, exec_lo, s22
.LBB356_259:                            ;   in Loop: Header=BB356_16 Depth=1
	s_delay_alu instid0(SALU_CYCLE_1) | instskip(SKIP_2) | instid1(VALU_DEP_1)
	s_or_b32 exec_lo, exec_lo, s21
	v_lshrrev_b32_e32 v0, 16, v34
	s_mov_b32 s21, exec_lo
	v_dual_mov_b32 v2, 0 :: v_dual_and_b32 v1, 0xff, v0
	scratch_store_b32 off, v2, s32 offset:404 ; 4-byte Folded Spill
	v_mov_b32_e32 v2, 0
	scratch_store_b32 off, v2, s32 offset:568 ; 4-byte Folded Spill
	v_cmpx_ne_u16_e32 0, v1
	s_cbranch_execz .LBB356_267
; %bb.260:                              ;   in Loop: Header=BB356_16 Depth=1
	v_cmp_ne_u16_e64 s1, 0x80, v1
	v_bfrev_b32_e32 v1, 1
	s_delay_alu instid0(VALU_DEP_2)
	s_and_saveexec_b32 s22, s1
	s_cbranch_execz .LBB356_266
; %bb.261:                              ;   in Loop: Header=BB356_16 Depth=1
	v_bfe_u32 v2, v34, 16, 7
	v_mov_b32_e32 v1, 0x7fc02000
	s_mov_b32 s23, exec_lo
	s_delay_alu instid0(VALU_DEP_2)
	v_cmpx_ne_u32_e32 0x7f, v2
	s_cbranch_execz .LBB356_265
; %bb.262:                              ;   in Loop: Header=BB356_16 Depth=1
	v_and_b32_e32 v7, 7, v0
	v_lshrrev_b32_e32 v1, 3, v2
	v_mov_b32_e32 v36, v8
	s_mov_b32 s24, exec_lo
	s_delay_alu instid0(VALU_DEP_3)
	v_mov_b32_e32 v35, v7
	v_cmpx_gt_u32_e32 8, v2
; %bb.263:                              ;   in Loop: Header=BB356_16 Depth=1
	v_clz_i32_u32_e32 v1, v7
	s_delay_alu instid0(VALU_DEP_1) | instskip(NEXT) | instid1(VALU_DEP_1)
	v_min_u32_e32 v1, 32, v1
	v_subrev_nc_u32_e32 v2, 28, v1
	v_sub_nc_u32_e32 v1, 29, v1
	s_delay_alu instid0(VALU_DEP_2) | instskip(NEXT) | instid1(VALU_DEP_1)
	v_lshlrev_b64 v[2:3], v2, v[7:8]
	v_and_b32_e32 v35, 7, v2
; %bb.264:                              ;   in Loop: Header=BB356_16 Depth=1
	s_or_b32 exec_lo, exec_lo, s24
	v_lshlrev_b32_e32 v0, 8, v0
	v_lshl_add_u32 v1, v1, 10, 0x2000
	s_delay_alu instid0(VALU_DEP_1) | instskip(NEXT) | instid1(VALU_DEP_1)
	v_and_or_b32 v0, 0x8000, v0, v1
	v_lshl_or_b32 v0, v35, 7, v0
	s_delay_alu instid0(VALU_DEP_1)
	v_cvt_f32_f16_e32 v1, v0
.LBB356_265:                            ;   in Loop: Header=BB356_16 Depth=1
	s_or_b32 exec_lo, exec_lo, s23
.LBB356_266:                            ;   in Loop: Header=BB356_16 Depth=1
	s_delay_alu instid0(SALU_CYCLE_1)
	s_or_b32 exec_lo, exec_lo, s22
	scratch_store_b32 off, v1, s32 offset:568 ; 4-byte Folded Spill
.LBB356_267:                            ;   in Loop: Header=BB356_16 Depth=1
	s_or_b32 exec_lo, exec_lo, s21
	s_delay_alu instid0(SALU_CYCLE_1)
	s_mov_b32 s21, exec_lo
	v_cmpx_lt_u64_e64 s[8:9], v[33:34]
	s_cbranch_execz .LBB356_275
; %bb.268:                              ;   in Loop: Header=BB356_16 Depth=1
	v_lshrrev_b32_e32 v0, 24, v34
	v_bfrev_b32_e32 v1, 1
	s_mov_b32 s22, exec_lo
	scratch_store_b32 off, v1, s32 offset:404 ; 4-byte Folded Spill
	v_cmpx_ne_u32_e32 0x80, v0
	s_cbranch_execz .LBB356_274
; %bb.269:                              ;   in Loop: Header=BB356_16 Depth=1
	v_and_b32_e32 v2, 0x7f, v0
	v_mov_b32_e32 v1, 0x7fc02000
	s_mov_b32 s23, exec_lo
	scratch_store_b32 off, v1, s32 offset:404 ; 4-byte Folded Spill
	v_cmpx_ne_u32_e32 0x7f, v2
	s_cbranch_execz .LBB356_273
; %bb.270:                              ;   in Loop: Header=BB356_16 Depth=1
	v_and_b32_e32 v7, 7, v0
	v_lshrrev_b32_e32 v1, 3, v2
	v_mov_b32_e32 v34, v8
	s_mov_b32 s24, exec_lo
	s_delay_alu instid0(VALU_DEP_3)
	v_mov_b32_e32 v33, v7
	v_cmpx_gt_u32_e32 8, v2
; %bb.271:                              ;   in Loop: Header=BB356_16 Depth=1
	v_clz_i32_u32_e32 v1, v7
	s_delay_alu instid0(VALU_DEP_1) | instskip(NEXT) | instid1(VALU_DEP_1)
	v_min_u32_e32 v1, 32, v1
	v_subrev_nc_u32_e32 v2, 28, v1
	v_sub_nc_u32_e32 v1, 29, v1
	s_delay_alu instid0(VALU_DEP_2) | instskip(NEXT) | instid1(VALU_DEP_1)
	v_lshlrev_b64 v[2:3], v2, v[7:8]
	v_and_b32_e32 v33, 7, v2
; %bb.272:                              ;   in Loop: Header=BB356_16 Depth=1
	s_or_b32 exec_lo, exec_lo, s24
	v_lshlrev_b32_e32 v0, 8, v0
	v_lshl_add_u32 v1, v1, 10, 0x2000
	s_delay_alu instid0(VALU_DEP_1) | instskip(NEXT) | instid1(VALU_DEP_1)
	v_and_or_b32 v0, 0x8000, v0, v1
	v_lshl_or_b32 v0, v33, 7, v0
	s_delay_alu instid0(VALU_DEP_1)
	v_cvt_f32_f16_e32 v0, v0
	scratch_store_b32 off, v0, s32 offset:404 ; 4-byte Folded Spill
.LBB356_273:                            ;   in Loop: Header=BB356_16 Depth=1
	s_or_b32 exec_lo, exec_lo, s23
.LBB356_274:                            ;   in Loop: Header=BB356_16 Depth=1
	s_delay_alu instid0(SALU_CYCLE_1)
	s_or_b32 exec_lo, exec_lo, s22
.LBB356_275:                            ;   in Loop: Header=BB356_16 Depth=1
	s_delay_alu instid0(SALU_CYCLE_1)
	s_or_b32 exec_lo, exec_lo, s21
	flat_load_b64 v[33:34], v[31:32] offset:1024
	s_mov_b32 s21, exec_lo
	v_mov_b32_e32 v1, 0
	scratch_store_b32 off, v1, s32 offset:408 ; 4-byte Folded Spill
	v_mov_b32_e32 v1, 0
	scratch_store_b32 off, v1, s32 offset:572 ; 4-byte Folded Spill
	s_waitcnt vmcnt(0) lgkmcnt(0)
	v_and_b32_e32 v0, 0xff, v33
	s_delay_alu instid0(VALU_DEP_1)
	v_cmpx_ne_u16_e32 0, v0
	s_cbranch_execz .LBB356_283
; %bb.276:                              ;   in Loop: Header=BB356_16 Depth=1
	v_cmp_ne_u16_e64 s1, 0x80, v0
	v_bfrev_b32_e32 v0, 1
	s_delay_alu instid0(VALU_DEP_2)
	s_and_saveexec_b32 s22, s1
	s_cbranch_execz .LBB356_282
; %bb.277:                              ;   in Loop: Header=BB356_16 Depth=1
	v_and_b32_e32 v1, 0x7f, v33
	v_mov_b32_e32 v0, 0x7fc02000
	s_mov_b32 s23, exec_lo
	s_delay_alu instid0(VALU_DEP_2)
	v_cmpx_ne_u32_e32 0x7f, v1
	s_cbranch_execz .LBB356_281
; %bb.278:                              ;   in Loop: Header=BB356_16 Depth=1
	v_lshrrev_b32_e32 v0, 3, v1
	v_dual_mov_b32 v36, v34 :: v_dual_mov_b32 v35, v33
	s_mov_b32 s24, exec_lo
	v_cmpx_gt_u32_e32 8, v1
; %bb.279:                              ;   in Loop: Header=BB356_16 Depth=1
	v_and_b32_e32 v0, 7, v33
	s_delay_alu instid0(VALU_DEP_1) | instskip(NEXT) | instid1(VALU_DEP_1)
	v_clz_i32_u32_e32 v0, v0
	v_min_u32_e32 v0, 32, v0
	s_delay_alu instid0(VALU_DEP_1) | instskip(SKIP_1) | instid1(VALU_DEP_2)
	v_subrev_nc_u32_e32 v1, 28, v0
	v_sub_nc_u32_e32 v0, 29, v0
	v_lshlrev_b64 v[35:36], v1, v[33:34]
; %bb.280:                              ;   in Loop: Header=BB356_16 Depth=1
	s_or_b32 exec_lo, exec_lo, s24
	v_lshlrev_b32_e32 v1, 8, v33
	s_delay_alu instid0(VALU_DEP_3) | instskip(NEXT) | instid1(VALU_DEP_3)
	v_lshl_add_u32 v0, v0, 10, 0x2000
	v_lshlrev_b32_e32 v2, 7, v35
	s_delay_alu instid0(VALU_DEP_2) | instskip(NEXT) | instid1(VALU_DEP_1)
	v_and_or_b32 v0, 0x8000, v1, v0
	v_and_or_b32 v0, 0x380, v2, v0
	s_delay_alu instid0(VALU_DEP_1)
	v_cvt_f32_f16_e32 v0, v0
.LBB356_281:                            ;   in Loop: Header=BB356_16 Depth=1
	s_or_b32 exec_lo, exec_lo, s23
.LBB356_282:                            ;   in Loop: Header=BB356_16 Depth=1
	s_delay_alu instid0(SALU_CYCLE_1)
	s_or_b32 exec_lo, exec_lo, s22
	scratch_store_b32 off, v0, s32 offset:572 ; 4-byte Folded Spill
.LBB356_283:                            ;   in Loop: Header=BB356_16 Depth=1
	s_or_b32 exec_lo, exec_lo, s21
	v_lshrrev_b16 v0, 8, v33
	s_mov_b32 s21, exec_lo
	s_delay_alu instid0(VALU_DEP_1)
	v_cmpx_ne_u16_e32 0, v0
	s_cbranch_execz .LBB356_291
; %bb.284:                              ;   in Loop: Header=BB356_16 Depth=1
	v_bfrev_b32_e32 v1, 1
	s_mov_b32 s22, exec_lo
	scratch_store_b32 off, v1, s32 offset:408 ; 4-byte Folded Spill
	v_cmpx_ne_u16_e32 0x80, v0
	s_cbranch_execz .LBB356_290
; %bb.285:                              ;   in Loop: Header=BB356_16 Depth=1
	v_and_b32_e32 v0, 0xffff, v0
	v_mov_b32_e32 v1, 0x7fc02000
	s_mov_b32 s23, exec_lo
	s_delay_alu instid0(VALU_DEP_2)
	v_and_b32_e32 v2, 0x7f, v0
	scratch_store_b32 off, v1, s32 offset:408 ; 4-byte Folded Spill
	v_cmpx_ne_u32_e32 0x7f, v2
	s_cbranch_execz .LBB356_289
; %bb.286:                              ;   in Loop: Header=BB356_16 Depth=1
	v_and_b32_e32 v7, 7, v0
	v_lshrrev_b32_e32 v1, 3, v2
	v_mov_b32_e32 v36, v8
	s_mov_b32 s24, exec_lo
	s_delay_alu instid0(VALU_DEP_3)
	v_mov_b32_e32 v35, v7
	v_cmpx_gt_u32_e32 8, v2
; %bb.287:                              ;   in Loop: Header=BB356_16 Depth=1
	v_clz_i32_u32_e32 v1, v7
	s_delay_alu instid0(VALU_DEP_1) | instskip(NEXT) | instid1(VALU_DEP_1)
	v_min_u32_e32 v1, 32, v1
	v_subrev_nc_u32_e32 v2, 28, v1
	v_sub_nc_u32_e32 v1, 29, v1
	s_delay_alu instid0(VALU_DEP_2) | instskip(NEXT) | instid1(VALU_DEP_1)
	v_lshlrev_b64 v[2:3], v2, v[7:8]
	v_and_b32_e32 v35, 7, v2
; %bb.288:                              ;   in Loop: Header=BB356_16 Depth=1
	s_or_b32 exec_lo, exec_lo, s24
	v_lshlrev_b32_e32 v0, 8, v0
	v_lshl_add_u32 v1, v1, 10, 0x2000
	s_delay_alu instid0(VALU_DEP_1) | instskip(NEXT) | instid1(VALU_DEP_1)
	v_and_or_b32 v0, 0x8000, v0, v1
	v_lshl_or_b32 v0, v35, 7, v0
	s_delay_alu instid0(VALU_DEP_1)
	v_cvt_f32_f16_e32 v0, v0
	scratch_store_b32 off, v0, s32 offset:408 ; 4-byte Folded Spill
.LBB356_289:                            ;   in Loop: Header=BB356_16 Depth=1
	s_or_b32 exec_lo, exec_lo, s23
.LBB356_290:                            ;   in Loop: Header=BB356_16 Depth=1
	s_delay_alu instid0(SALU_CYCLE_1)
	s_or_b32 exec_lo, exec_lo, s22
.LBB356_291:                            ;   in Loop: Header=BB356_16 Depth=1
	s_delay_alu instid0(SALU_CYCLE_1) | instskip(SKIP_2) | instid1(VALU_DEP_1)
	s_or_b32 exec_lo, exec_lo, s21
	v_lshrrev_b32_e32 v0, 16, v33
	s_mov_b32 s21, exec_lo
	v_dual_mov_b32 v2, 0 :: v_dual_and_b32 v1, 0xff, v0
	scratch_store_b32 off, v2, s32 offset:412 ; 4-byte Folded Spill
	v_mov_b32_e32 v2, 0
	scratch_store_b32 off, v2, s32 offset:576 ; 4-byte Folded Spill
	v_cmpx_ne_u16_e32 0, v1
	s_cbranch_execz .LBB356_299
; %bb.292:                              ;   in Loop: Header=BB356_16 Depth=1
	v_cmp_ne_u16_e64 s1, 0x80, v1
	v_bfrev_b32_e32 v1, 1
	s_delay_alu instid0(VALU_DEP_2)
	s_and_saveexec_b32 s22, s1
	s_cbranch_execz .LBB356_298
; %bb.293:                              ;   in Loop: Header=BB356_16 Depth=1
	v_bfe_u32 v2, v33, 16, 7
	v_mov_b32_e32 v1, 0x7fc02000
	s_mov_b32 s23, exec_lo
	s_delay_alu instid0(VALU_DEP_2)
	v_cmpx_ne_u32_e32 0x7f, v2
	s_cbranch_execz .LBB356_297
; %bb.294:                              ;   in Loop: Header=BB356_16 Depth=1
	v_and_b32_e32 v7, 7, v0
	v_lshrrev_b32_e32 v1, 3, v2
	v_mov_b32_e32 v36, v8
	s_mov_b32 s24, exec_lo
	s_delay_alu instid0(VALU_DEP_3)
	v_mov_b32_e32 v35, v7
	v_cmpx_gt_u32_e32 8, v2
; %bb.295:                              ;   in Loop: Header=BB356_16 Depth=1
	v_clz_i32_u32_e32 v1, v7
	s_delay_alu instid0(VALU_DEP_1) | instskip(NEXT) | instid1(VALU_DEP_1)
	v_min_u32_e32 v1, 32, v1
	v_subrev_nc_u32_e32 v2, 28, v1
	v_sub_nc_u32_e32 v1, 29, v1
	s_delay_alu instid0(VALU_DEP_2) | instskip(NEXT) | instid1(VALU_DEP_1)
	v_lshlrev_b64 v[2:3], v2, v[7:8]
	v_and_b32_e32 v35, 7, v2
; %bb.296:                              ;   in Loop: Header=BB356_16 Depth=1
	s_or_b32 exec_lo, exec_lo, s24
	v_lshlrev_b32_e32 v0, 8, v0
	v_lshl_add_u32 v1, v1, 10, 0x2000
	s_delay_alu instid0(VALU_DEP_1) | instskip(NEXT) | instid1(VALU_DEP_1)
	v_and_or_b32 v0, 0x8000, v0, v1
	v_lshl_or_b32 v0, v35, 7, v0
	s_delay_alu instid0(VALU_DEP_1)
	v_cvt_f32_f16_e32 v1, v0
.LBB356_297:                            ;   in Loop: Header=BB356_16 Depth=1
	s_or_b32 exec_lo, exec_lo, s23
.LBB356_298:                            ;   in Loop: Header=BB356_16 Depth=1
	s_delay_alu instid0(SALU_CYCLE_1)
	s_or_b32 exec_lo, exec_lo, s22
	scratch_store_b32 off, v1, s32 offset:576 ; 4-byte Folded Spill
.LBB356_299:                            ;   in Loop: Header=BB356_16 Depth=1
	s_or_b32 exec_lo, exec_lo, s21
	s_delay_alu instid0(SALU_CYCLE_1)
	s_mov_b32 s21, exec_lo
	v_cmpx_lt_u32_e32 0xffffff, v33
	s_cbranch_execz .LBB356_307
; %bb.300:                              ;   in Loop: Header=BB356_16 Depth=1
	v_lshrrev_b32_e32 v0, 24, v33
	v_bfrev_b32_e32 v1, 1
	s_mov_b32 s22, exec_lo
	scratch_store_b32 off, v1, s32 offset:412 ; 4-byte Folded Spill
	v_cmpx_ne_u32_e32 0x80, v0
	s_cbranch_execz .LBB356_306
; %bb.301:                              ;   in Loop: Header=BB356_16 Depth=1
	v_and_b32_e32 v2, 0x7f, v0
	v_mov_b32_e32 v1, 0x7fc02000
	s_mov_b32 s23, exec_lo
	scratch_store_b32 off, v1, s32 offset:412 ; 4-byte Folded Spill
	v_cmpx_ne_u32_e32 0x7f, v2
	s_cbranch_execz .LBB356_305
; %bb.302:                              ;   in Loop: Header=BB356_16 Depth=1
	v_and_b32_e32 v7, 7, v0
	v_lshrrev_b32_e32 v1, 3, v2
	v_mov_b32_e32 v36, v8
	s_mov_b32 s24, exec_lo
	s_delay_alu instid0(VALU_DEP_3)
	v_mov_b32_e32 v35, v7
	v_cmpx_gt_u32_e32 8, v2
; %bb.303:                              ;   in Loop: Header=BB356_16 Depth=1
	v_clz_i32_u32_e32 v1, v7
	s_delay_alu instid0(VALU_DEP_1) | instskip(NEXT) | instid1(VALU_DEP_1)
	v_min_u32_e32 v1, 32, v1
	v_subrev_nc_u32_e32 v2, 28, v1
	v_sub_nc_u32_e32 v1, 29, v1
	s_delay_alu instid0(VALU_DEP_2) | instskip(NEXT) | instid1(VALU_DEP_1)
	v_lshlrev_b64 v[2:3], v2, v[7:8]
	v_and_b32_e32 v35, 7, v2
; %bb.304:                              ;   in Loop: Header=BB356_16 Depth=1
	s_or_b32 exec_lo, exec_lo, s24
	v_lshlrev_b32_e32 v0, 8, v0
	v_lshl_add_u32 v1, v1, 10, 0x2000
	s_delay_alu instid0(VALU_DEP_1) | instskip(NEXT) | instid1(VALU_DEP_1)
	v_and_or_b32 v0, 0x8000, v0, v1
	v_lshl_or_b32 v0, v35, 7, v0
	s_delay_alu instid0(VALU_DEP_1)
	v_cvt_f32_f16_e32 v0, v0
	scratch_store_b32 off, v0, s32 offset:412 ; 4-byte Folded Spill
.LBB356_305:                            ;   in Loop: Header=BB356_16 Depth=1
	s_or_b32 exec_lo, exec_lo, s23
.LBB356_306:                            ;   in Loop: Header=BB356_16 Depth=1
	s_delay_alu instid0(SALU_CYCLE_1)
	s_or_b32 exec_lo, exec_lo, s22
.LBB356_307:                            ;   in Loop: Header=BB356_16 Depth=1
	s_delay_alu instid0(SALU_CYCLE_1)
	s_or_b32 exec_lo, exec_lo, s21
	v_dual_mov_b32 v1, 0 :: v_dual_and_b32 v0, 0xff, v34
	v_mov_b32_e32 v7, v34
	s_mov_b32 s21, exec_lo
	scratch_store_b32 off, v1, s32 offset:416 ; 4-byte Folded Spill
	v_mov_b32_e32 v1, 0
	scratch_store_b32 off, v1, s32 offset:580 ; 4-byte Folded Spill
	v_cmpx_ne_u16_e32 0, v0
	s_cbranch_execz .LBB356_315
; %bb.308:                              ;   in Loop: Header=BB356_16 Depth=1
	v_cmp_ne_u16_e64 s1, 0x80, v0
	v_bfrev_b32_e32 v0, 1
	s_delay_alu instid0(VALU_DEP_2)
	s_and_saveexec_b32 s22, s1
	s_cbranch_execz .LBB356_314
; %bb.309:                              ;   in Loop: Header=BB356_16 Depth=1
	v_and_b32_e32 v1, 0x7f, v34
	v_mov_b32_e32 v0, 0x7fc02000
	s_mov_b32 s23, exec_lo
	s_delay_alu instid0(VALU_DEP_2)
	v_cmpx_ne_u32_e32 0x7f, v1
	s_cbranch_execz .LBB356_313
; %bb.310:                              ;   in Loop: Header=BB356_16 Depth=1
	v_lshrrev_b32_e32 v0, 3, v1
	v_dual_mov_b32 v36, v8 :: v_dual_mov_b32 v35, v7
	s_mov_b32 s24, exec_lo
	v_cmpx_gt_u32_e32 8, v1
; %bb.311:                              ;   in Loop: Header=BB356_16 Depth=1
	v_and_b32_e32 v0, 7, v34
	s_delay_alu instid0(VALU_DEP_1) | instskip(NEXT) | instid1(VALU_DEP_1)
	v_clz_i32_u32_e32 v0, v0
	v_min_u32_e32 v0, 32, v0
	s_delay_alu instid0(VALU_DEP_1) | instskip(SKIP_1) | instid1(VALU_DEP_2)
	v_subrev_nc_u32_e32 v1, 28, v0
	v_sub_nc_u32_e32 v0, 29, v0
	v_lshlrev_b64 v[35:36], v1, v[7:8]
; %bb.312:                              ;   in Loop: Header=BB356_16 Depth=1
	s_or_b32 exec_lo, exec_lo, s24
	v_lshlrev_b32_e32 v1, 8, v34
	s_delay_alu instid0(VALU_DEP_3) | instskip(NEXT) | instid1(VALU_DEP_3)
	v_lshl_add_u32 v0, v0, 10, 0x2000
	v_lshlrev_b32_e32 v2, 7, v35
	s_delay_alu instid0(VALU_DEP_2) | instskip(NEXT) | instid1(VALU_DEP_1)
	v_and_or_b32 v0, 0x8000, v1, v0
	v_and_or_b32 v0, 0x380, v2, v0
	s_delay_alu instid0(VALU_DEP_1)
	v_cvt_f32_f16_e32 v0, v0
.LBB356_313:                            ;   in Loop: Header=BB356_16 Depth=1
	s_or_b32 exec_lo, exec_lo, s23
.LBB356_314:                            ;   in Loop: Header=BB356_16 Depth=1
	s_delay_alu instid0(SALU_CYCLE_1)
	s_or_b32 exec_lo, exec_lo, s22
	scratch_store_b32 off, v0, s32 offset:580 ; 4-byte Folded Spill
.LBB356_315:                            ;   in Loop: Header=BB356_16 Depth=1
	s_or_b32 exec_lo, exec_lo, s21
	v_lshrrev_b16 v0, 8, v7
	s_mov_b32 s21, exec_lo
	s_delay_alu instid0(VALU_DEP_1)
	v_cmpx_ne_u16_e32 0, v0
	s_cbranch_execz .LBB356_323
; %bb.316:                              ;   in Loop: Header=BB356_16 Depth=1
	v_bfrev_b32_e32 v1, 1
	s_mov_b32 s22, exec_lo
	scratch_store_b32 off, v1, s32 offset:416 ; 4-byte Folded Spill
	v_cmpx_ne_u16_e32 0x80, v0
	s_cbranch_execz .LBB356_322
; %bb.317:                              ;   in Loop: Header=BB356_16 Depth=1
	v_and_b32_e32 v0, 0xffff, v0
	v_mov_b32_e32 v1, 0x7fc02000
	s_mov_b32 s23, exec_lo
	s_delay_alu instid0(VALU_DEP_2)
	v_and_b32_e32 v2, 0x7f, v0
	scratch_store_b32 off, v1, s32 offset:416 ; 4-byte Folded Spill
	v_cmpx_ne_u32_e32 0x7f, v2
	s_cbranch_execz .LBB356_321
; %bb.318:                              ;   in Loop: Header=BB356_16 Depth=1
	v_and_b32_e32 v7, 7, v0
	v_lshrrev_b32_e32 v1, 3, v2
	v_mov_b32_e32 v36, v8
	s_mov_b32 s24, exec_lo
	s_delay_alu instid0(VALU_DEP_3)
	v_mov_b32_e32 v35, v7
	v_cmpx_gt_u32_e32 8, v2
; %bb.319:                              ;   in Loop: Header=BB356_16 Depth=1
	v_clz_i32_u32_e32 v1, v7
	s_delay_alu instid0(VALU_DEP_1) | instskip(NEXT) | instid1(VALU_DEP_1)
	v_min_u32_e32 v1, 32, v1
	v_subrev_nc_u32_e32 v2, 28, v1
	v_sub_nc_u32_e32 v1, 29, v1
	s_delay_alu instid0(VALU_DEP_2) | instskip(NEXT) | instid1(VALU_DEP_1)
	v_lshlrev_b64 v[2:3], v2, v[7:8]
	v_and_b32_e32 v35, 7, v2
; %bb.320:                              ;   in Loop: Header=BB356_16 Depth=1
	s_or_b32 exec_lo, exec_lo, s24
	v_lshlrev_b32_e32 v0, 8, v0
	v_lshl_add_u32 v1, v1, 10, 0x2000
	s_delay_alu instid0(VALU_DEP_1) | instskip(NEXT) | instid1(VALU_DEP_1)
	v_and_or_b32 v0, 0x8000, v0, v1
	v_lshl_or_b32 v0, v35, 7, v0
	s_delay_alu instid0(VALU_DEP_1)
	v_cvt_f32_f16_e32 v0, v0
	scratch_store_b32 off, v0, s32 offset:416 ; 4-byte Folded Spill
.LBB356_321:                            ;   in Loop: Header=BB356_16 Depth=1
	s_or_b32 exec_lo, exec_lo, s23
.LBB356_322:                            ;   in Loop: Header=BB356_16 Depth=1
	s_delay_alu instid0(SALU_CYCLE_1)
	s_or_b32 exec_lo, exec_lo, s22
.LBB356_323:                            ;   in Loop: Header=BB356_16 Depth=1
	s_delay_alu instid0(SALU_CYCLE_1) | instskip(SKIP_2) | instid1(VALU_DEP_1)
	s_or_b32 exec_lo, exec_lo, s21
	v_lshrrev_b32_e32 v0, 16, v34
	s_mov_b32 s21, exec_lo
	v_dual_mov_b32 v2, 0 :: v_dual_and_b32 v1, 0xff, v0
	scratch_store_b32 off, v2, s32 offset:420 ; 4-byte Folded Spill
	v_mov_b32_e32 v2, 0
	scratch_store_b32 off, v2, s32 offset:584 ; 4-byte Folded Spill
	v_cmpx_ne_u16_e32 0, v1
	s_cbranch_execz .LBB356_331
; %bb.324:                              ;   in Loop: Header=BB356_16 Depth=1
	v_cmp_ne_u16_e64 s1, 0x80, v1
	v_bfrev_b32_e32 v1, 1
	s_delay_alu instid0(VALU_DEP_2)
	s_and_saveexec_b32 s22, s1
	s_cbranch_execz .LBB356_330
; %bb.325:                              ;   in Loop: Header=BB356_16 Depth=1
	v_bfe_u32 v2, v34, 16, 7
	v_mov_b32_e32 v1, 0x7fc02000
	s_mov_b32 s23, exec_lo
	s_delay_alu instid0(VALU_DEP_2)
	v_cmpx_ne_u32_e32 0x7f, v2
	s_cbranch_execz .LBB356_329
; %bb.326:                              ;   in Loop: Header=BB356_16 Depth=1
	v_and_b32_e32 v7, 7, v0
	v_lshrrev_b32_e32 v1, 3, v2
	v_mov_b32_e32 v36, v8
	s_mov_b32 s24, exec_lo
	s_delay_alu instid0(VALU_DEP_3)
	v_mov_b32_e32 v35, v7
	v_cmpx_gt_u32_e32 8, v2
; %bb.327:                              ;   in Loop: Header=BB356_16 Depth=1
	v_clz_i32_u32_e32 v1, v7
	s_delay_alu instid0(VALU_DEP_1) | instskip(NEXT) | instid1(VALU_DEP_1)
	v_min_u32_e32 v1, 32, v1
	v_subrev_nc_u32_e32 v2, 28, v1
	v_sub_nc_u32_e32 v1, 29, v1
	s_delay_alu instid0(VALU_DEP_2) | instskip(NEXT) | instid1(VALU_DEP_1)
	v_lshlrev_b64 v[2:3], v2, v[7:8]
	v_and_b32_e32 v35, 7, v2
; %bb.328:                              ;   in Loop: Header=BB356_16 Depth=1
	s_or_b32 exec_lo, exec_lo, s24
	v_lshlrev_b32_e32 v0, 8, v0
	v_lshl_add_u32 v1, v1, 10, 0x2000
	s_delay_alu instid0(VALU_DEP_1) | instskip(NEXT) | instid1(VALU_DEP_1)
	v_and_or_b32 v0, 0x8000, v0, v1
	v_lshl_or_b32 v0, v35, 7, v0
	s_delay_alu instid0(VALU_DEP_1)
	v_cvt_f32_f16_e32 v1, v0
.LBB356_329:                            ;   in Loop: Header=BB356_16 Depth=1
	s_or_b32 exec_lo, exec_lo, s23
.LBB356_330:                            ;   in Loop: Header=BB356_16 Depth=1
	s_delay_alu instid0(SALU_CYCLE_1)
	s_or_b32 exec_lo, exec_lo, s22
	scratch_store_b32 off, v1, s32 offset:584 ; 4-byte Folded Spill
.LBB356_331:                            ;   in Loop: Header=BB356_16 Depth=1
	s_or_b32 exec_lo, exec_lo, s21
	s_delay_alu instid0(SALU_CYCLE_1)
	s_mov_b32 s21, exec_lo
	v_cmpx_lt_u64_e64 s[8:9], v[33:34]
	s_cbranch_execz .LBB356_339
; %bb.332:                              ;   in Loop: Header=BB356_16 Depth=1
	v_lshrrev_b32_e32 v0, 24, v34
	v_bfrev_b32_e32 v1, 1
	s_mov_b32 s22, exec_lo
	scratch_store_b32 off, v1, s32 offset:420 ; 4-byte Folded Spill
	v_cmpx_ne_u32_e32 0x80, v0
	s_cbranch_execz .LBB356_338
; %bb.333:                              ;   in Loop: Header=BB356_16 Depth=1
	v_and_b32_e32 v2, 0x7f, v0
	v_mov_b32_e32 v1, 0x7fc02000
	s_mov_b32 s23, exec_lo
	scratch_store_b32 off, v1, s32 offset:420 ; 4-byte Folded Spill
	v_cmpx_ne_u32_e32 0x7f, v2
	s_cbranch_execz .LBB356_337
; %bb.334:                              ;   in Loop: Header=BB356_16 Depth=1
	v_and_b32_e32 v7, 7, v0
	v_lshrrev_b32_e32 v1, 3, v2
	v_mov_b32_e32 v34, v8
	s_mov_b32 s24, exec_lo
	s_delay_alu instid0(VALU_DEP_3)
	v_mov_b32_e32 v33, v7
	v_cmpx_gt_u32_e32 8, v2
; %bb.335:                              ;   in Loop: Header=BB356_16 Depth=1
	v_clz_i32_u32_e32 v1, v7
	s_delay_alu instid0(VALU_DEP_1) | instskip(NEXT) | instid1(VALU_DEP_1)
	v_min_u32_e32 v1, 32, v1
	v_subrev_nc_u32_e32 v2, 28, v1
	v_sub_nc_u32_e32 v1, 29, v1
	s_delay_alu instid0(VALU_DEP_2) | instskip(NEXT) | instid1(VALU_DEP_1)
	v_lshlrev_b64 v[2:3], v2, v[7:8]
	v_and_b32_e32 v33, 7, v2
; %bb.336:                              ;   in Loop: Header=BB356_16 Depth=1
	s_or_b32 exec_lo, exec_lo, s24
	v_lshlrev_b32_e32 v0, 8, v0
	v_lshl_add_u32 v1, v1, 10, 0x2000
	s_delay_alu instid0(VALU_DEP_1) | instskip(NEXT) | instid1(VALU_DEP_1)
	v_and_or_b32 v0, 0x8000, v0, v1
	v_lshl_or_b32 v0, v33, 7, v0
	s_delay_alu instid0(VALU_DEP_1)
	v_cvt_f32_f16_e32 v0, v0
	scratch_store_b32 off, v0, s32 offset:420 ; 4-byte Folded Spill
.LBB356_337:                            ;   in Loop: Header=BB356_16 Depth=1
	s_or_b32 exec_lo, exec_lo, s23
.LBB356_338:                            ;   in Loop: Header=BB356_16 Depth=1
	s_delay_alu instid0(SALU_CYCLE_1)
	s_or_b32 exec_lo, exec_lo, s22
.LBB356_339:                            ;   in Loop: Header=BB356_16 Depth=1
	s_delay_alu instid0(SALU_CYCLE_1)
	s_or_b32 exec_lo, exec_lo, s21
	flat_load_b64 v[33:34], v[31:32] offset:1032
	s_mov_b32 s21, exec_lo
	v_mov_b32_e32 v1, 0
	scratch_store_b32 off, v1, s32 offset:424 ; 4-byte Folded Spill
	v_mov_b32_e32 v1, 0
	scratch_store_b32 off, v1, s32 offset:588 ; 4-byte Folded Spill
	s_waitcnt vmcnt(0) lgkmcnt(0)
	v_and_b32_e32 v0, 0xff, v33
	s_delay_alu instid0(VALU_DEP_1)
	v_cmpx_ne_u16_e32 0, v0
	s_cbranch_execz .LBB356_347
; %bb.340:                              ;   in Loop: Header=BB356_16 Depth=1
	v_cmp_ne_u16_e64 s1, 0x80, v0
	v_bfrev_b32_e32 v0, 1
	s_delay_alu instid0(VALU_DEP_2)
	s_and_saveexec_b32 s22, s1
	s_cbranch_execz .LBB356_346
; %bb.341:                              ;   in Loop: Header=BB356_16 Depth=1
	v_and_b32_e32 v1, 0x7f, v33
	v_mov_b32_e32 v0, 0x7fc02000
	s_mov_b32 s23, exec_lo
	s_delay_alu instid0(VALU_DEP_2)
	v_cmpx_ne_u32_e32 0x7f, v1
	s_cbranch_execz .LBB356_345
; %bb.342:                              ;   in Loop: Header=BB356_16 Depth=1
	v_lshrrev_b32_e32 v0, 3, v1
	v_dual_mov_b32 v36, v34 :: v_dual_mov_b32 v35, v33
	s_mov_b32 s24, exec_lo
	v_cmpx_gt_u32_e32 8, v1
; %bb.343:                              ;   in Loop: Header=BB356_16 Depth=1
	v_and_b32_e32 v0, 7, v33
	s_delay_alu instid0(VALU_DEP_1) | instskip(NEXT) | instid1(VALU_DEP_1)
	v_clz_i32_u32_e32 v0, v0
	v_min_u32_e32 v0, 32, v0
	s_delay_alu instid0(VALU_DEP_1) | instskip(SKIP_1) | instid1(VALU_DEP_2)
	v_subrev_nc_u32_e32 v1, 28, v0
	v_sub_nc_u32_e32 v0, 29, v0
	v_lshlrev_b64 v[35:36], v1, v[33:34]
; %bb.344:                              ;   in Loop: Header=BB356_16 Depth=1
	s_or_b32 exec_lo, exec_lo, s24
	v_lshlrev_b32_e32 v1, 8, v33
	s_delay_alu instid0(VALU_DEP_3) | instskip(NEXT) | instid1(VALU_DEP_3)
	v_lshl_add_u32 v0, v0, 10, 0x2000
	v_lshlrev_b32_e32 v2, 7, v35
	s_delay_alu instid0(VALU_DEP_2) | instskip(NEXT) | instid1(VALU_DEP_1)
	v_and_or_b32 v0, 0x8000, v1, v0
	v_and_or_b32 v0, 0x380, v2, v0
	s_delay_alu instid0(VALU_DEP_1)
	v_cvt_f32_f16_e32 v0, v0
.LBB356_345:                            ;   in Loop: Header=BB356_16 Depth=1
	s_or_b32 exec_lo, exec_lo, s23
.LBB356_346:                            ;   in Loop: Header=BB356_16 Depth=1
	s_delay_alu instid0(SALU_CYCLE_1)
	s_or_b32 exec_lo, exec_lo, s22
	scratch_store_b32 off, v0, s32 offset:588 ; 4-byte Folded Spill
.LBB356_347:                            ;   in Loop: Header=BB356_16 Depth=1
	s_or_b32 exec_lo, exec_lo, s21
	v_lshrrev_b16 v0, 8, v33
	s_mov_b32 s21, exec_lo
	s_delay_alu instid0(VALU_DEP_1)
	v_cmpx_ne_u16_e32 0, v0
	s_cbranch_execz .LBB356_355
; %bb.348:                              ;   in Loop: Header=BB356_16 Depth=1
	v_bfrev_b32_e32 v1, 1
	s_mov_b32 s22, exec_lo
	scratch_store_b32 off, v1, s32 offset:424 ; 4-byte Folded Spill
	v_cmpx_ne_u16_e32 0x80, v0
	s_cbranch_execz .LBB356_354
; %bb.349:                              ;   in Loop: Header=BB356_16 Depth=1
	v_and_b32_e32 v0, 0xffff, v0
	v_mov_b32_e32 v1, 0x7fc02000
	s_mov_b32 s23, exec_lo
	s_delay_alu instid0(VALU_DEP_2)
	v_and_b32_e32 v2, 0x7f, v0
	scratch_store_b32 off, v1, s32 offset:424 ; 4-byte Folded Spill
	v_cmpx_ne_u32_e32 0x7f, v2
	s_cbranch_execz .LBB356_353
; %bb.350:                              ;   in Loop: Header=BB356_16 Depth=1
	v_and_b32_e32 v7, 7, v0
	v_lshrrev_b32_e32 v1, 3, v2
	v_mov_b32_e32 v36, v8
	s_mov_b32 s24, exec_lo
	s_delay_alu instid0(VALU_DEP_3)
	v_mov_b32_e32 v35, v7
	v_cmpx_gt_u32_e32 8, v2
; %bb.351:                              ;   in Loop: Header=BB356_16 Depth=1
	v_clz_i32_u32_e32 v1, v7
	s_delay_alu instid0(VALU_DEP_1) | instskip(NEXT) | instid1(VALU_DEP_1)
	v_min_u32_e32 v1, 32, v1
	v_subrev_nc_u32_e32 v2, 28, v1
	v_sub_nc_u32_e32 v1, 29, v1
	s_delay_alu instid0(VALU_DEP_2) | instskip(NEXT) | instid1(VALU_DEP_1)
	v_lshlrev_b64 v[2:3], v2, v[7:8]
	v_and_b32_e32 v35, 7, v2
; %bb.352:                              ;   in Loop: Header=BB356_16 Depth=1
	s_or_b32 exec_lo, exec_lo, s24
	v_lshlrev_b32_e32 v0, 8, v0
	v_lshl_add_u32 v1, v1, 10, 0x2000
	s_delay_alu instid0(VALU_DEP_1) | instskip(NEXT) | instid1(VALU_DEP_1)
	v_and_or_b32 v0, 0x8000, v0, v1
	v_lshl_or_b32 v0, v35, 7, v0
	s_delay_alu instid0(VALU_DEP_1)
	v_cvt_f32_f16_e32 v0, v0
	scratch_store_b32 off, v0, s32 offset:424 ; 4-byte Folded Spill
.LBB356_353:                            ;   in Loop: Header=BB356_16 Depth=1
	s_or_b32 exec_lo, exec_lo, s23
.LBB356_354:                            ;   in Loop: Header=BB356_16 Depth=1
	s_delay_alu instid0(SALU_CYCLE_1)
	s_or_b32 exec_lo, exec_lo, s22
.LBB356_355:                            ;   in Loop: Header=BB356_16 Depth=1
	s_delay_alu instid0(SALU_CYCLE_1) | instskip(SKIP_2) | instid1(VALU_DEP_1)
	s_or_b32 exec_lo, exec_lo, s21
	v_lshrrev_b32_e32 v0, 16, v33
	s_mov_b32 s21, exec_lo
	v_dual_mov_b32 v2, 0 :: v_dual_and_b32 v1, 0xff, v0
	scratch_store_b32 off, v2, s32 offset:428 ; 4-byte Folded Spill
	v_mov_b32_e32 v2, 0
	scratch_store_b32 off, v2, s32 offset:592 ; 4-byte Folded Spill
	v_cmpx_ne_u16_e32 0, v1
	s_cbranch_execz .LBB356_363
; %bb.356:                              ;   in Loop: Header=BB356_16 Depth=1
	v_cmp_ne_u16_e64 s1, 0x80, v1
	v_bfrev_b32_e32 v1, 1
	s_delay_alu instid0(VALU_DEP_2)
	s_and_saveexec_b32 s22, s1
	s_cbranch_execz .LBB356_362
; %bb.357:                              ;   in Loop: Header=BB356_16 Depth=1
	v_bfe_u32 v2, v33, 16, 7
	v_mov_b32_e32 v1, 0x7fc02000
	s_mov_b32 s23, exec_lo
	s_delay_alu instid0(VALU_DEP_2)
	v_cmpx_ne_u32_e32 0x7f, v2
	s_cbranch_execz .LBB356_361
; %bb.358:                              ;   in Loop: Header=BB356_16 Depth=1
	v_and_b32_e32 v7, 7, v0
	v_lshrrev_b32_e32 v1, 3, v2
	v_mov_b32_e32 v36, v8
	s_mov_b32 s24, exec_lo
	s_delay_alu instid0(VALU_DEP_3)
	v_mov_b32_e32 v35, v7
	v_cmpx_gt_u32_e32 8, v2
; %bb.359:                              ;   in Loop: Header=BB356_16 Depth=1
	v_clz_i32_u32_e32 v1, v7
	s_delay_alu instid0(VALU_DEP_1) | instskip(NEXT) | instid1(VALU_DEP_1)
	v_min_u32_e32 v1, 32, v1
	v_subrev_nc_u32_e32 v2, 28, v1
	v_sub_nc_u32_e32 v1, 29, v1
	s_delay_alu instid0(VALU_DEP_2) | instskip(NEXT) | instid1(VALU_DEP_1)
	v_lshlrev_b64 v[2:3], v2, v[7:8]
	v_and_b32_e32 v35, 7, v2
; %bb.360:                              ;   in Loop: Header=BB356_16 Depth=1
	s_or_b32 exec_lo, exec_lo, s24
	v_lshlrev_b32_e32 v0, 8, v0
	v_lshl_add_u32 v1, v1, 10, 0x2000
	s_delay_alu instid0(VALU_DEP_1) | instskip(NEXT) | instid1(VALU_DEP_1)
	v_and_or_b32 v0, 0x8000, v0, v1
	v_lshl_or_b32 v0, v35, 7, v0
	s_delay_alu instid0(VALU_DEP_1)
	v_cvt_f32_f16_e32 v1, v0
.LBB356_361:                            ;   in Loop: Header=BB356_16 Depth=1
	s_or_b32 exec_lo, exec_lo, s23
.LBB356_362:                            ;   in Loop: Header=BB356_16 Depth=1
	s_delay_alu instid0(SALU_CYCLE_1)
	s_or_b32 exec_lo, exec_lo, s22
	scratch_store_b32 off, v1, s32 offset:592 ; 4-byte Folded Spill
.LBB356_363:                            ;   in Loop: Header=BB356_16 Depth=1
	s_or_b32 exec_lo, exec_lo, s21
	s_delay_alu instid0(SALU_CYCLE_1)
	s_mov_b32 s21, exec_lo
	v_cmpx_lt_u32_e32 0xffffff, v33
	s_cbranch_execz .LBB356_371
; %bb.364:                              ;   in Loop: Header=BB356_16 Depth=1
	v_lshrrev_b32_e32 v0, 24, v33
	v_bfrev_b32_e32 v1, 1
	s_mov_b32 s22, exec_lo
	scratch_store_b32 off, v1, s32 offset:428 ; 4-byte Folded Spill
	v_cmpx_ne_u32_e32 0x80, v0
	s_cbranch_execz .LBB356_370
; %bb.365:                              ;   in Loop: Header=BB356_16 Depth=1
	v_and_b32_e32 v2, 0x7f, v0
	v_mov_b32_e32 v1, 0x7fc02000
	s_mov_b32 s23, exec_lo
	scratch_store_b32 off, v1, s32 offset:428 ; 4-byte Folded Spill
	v_cmpx_ne_u32_e32 0x7f, v2
	s_cbranch_execz .LBB356_369
; %bb.366:                              ;   in Loop: Header=BB356_16 Depth=1
	v_and_b32_e32 v7, 7, v0
	v_lshrrev_b32_e32 v1, 3, v2
	v_mov_b32_e32 v36, v8
	s_mov_b32 s24, exec_lo
	s_delay_alu instid0(VALU_DEP_3)
	v_mov_b32_e32 v35, v7
	v_cmpx_gt_u32_e32 8, v2
; %bb.367:                              ;   in Loop: Header=BB356_16 Depth=1
	v_clz_i32_u32_e32 v1, v7
	s_delay_alu instid0(VALU_DEP_1) | instskip(NEXT) | instid1(VALU_DEP_1)
	v_min_u32_e32 v1, 32, v1
	v_subrev_nc_u32_e32 v2, 28, v1
	v_sub_nc_u32_e32 v1, 29, v1
	s_delay_alu instid0(VALU_DEP_2) | instskip(NEXT) | instid1(VALU_DEP_1)
	v_lshlrev_b64 v[2:3], v2, v[7:8]
	v_and_b32_e32 v35, 7, v2
; %bb.368:                              ;   in Loop: Header=BB356_16 Depth=1
	s_or_b32 exec_lo, exec_lo, s24
	v_lshlrev_b32_e32 v0, 8, v0
	v_lshl_add_u32 v1, v1, 10, 0x2000
	s_delay_alu instid0(VALU_DEP_1) | instskip(NEXT) | instid1(VALU_DEP_1)
	v_and_or_b32 v0, 0x8000, v0, v1
	v_lshl_or_b32 v0, v35, 7, v0
	s_delay_alu instid0(VALU_DEP_1)
	v_cvt_f32_f16_e32 v0, v0
	scratch_store_b32 off, v0, s32 offset:428 ; 4-byte Folded Spill
.LBB356_369:                            ;   in Loop: Header=BB356_16 Depth=1
	s_or_b32 exec_lo, exec_lo, s23
.LBB356_370:                            ;   in Loop: Header=BB356_16 Depth=1
	s_delay_alu instid0(SALU_CYCLE_1)
	s_or_b32 exec_lo, exec_lo, s22
.LBB356_371:                            ;   in Loop: Header=BB356_16 Depth=1
	s_delay_alu instid0(SALU_CYCLE_1)
	s_or_b32 exec_lo, exec_lo, s21
	v_dual_mov_b32 v1, 0 :: v_dual_and_b32 v0, 0xff, v34
	v_mov_b32_e32 v7, v34
	s_mov_b32 s21, exec_lo
	scratch_store_b32 off, v1, s32 offset:432 ; 4-byte Folded Spill
	v_mov_b32_e32 v1, 0
	scratch_store_b32 off, v1, s32 offset:600 ; 4-byte Folded Spill
	v_cmpx_ne_u16_e32 0, v0
	s_cbranch_execz .LBB356_379
; %bb.372:                              ;   in Loop: Header=BB356_16 Depth=1
	v_cmp_ne_u16_e64 s1, 0x80, v0
	v_bfrev_b32_e32 v0, 1
	s_delay_alu instid0(VALU_DEP_2)
	s_and_saveexec_b32 s22, s1
	s_cbranch_execz .LBB356_378
; %bb.373:                              ;   in Loop: Header=BB356_16 Depth=1
	v_and_b32_e32 v1, 0x7f, v34
	v_mov_b32_e32 v0, 0x7fc02000
	s_mov_b32 s23, exec_lo
	s_delay_alu instid0(VALU_DEP_2)
	v_cmpx_ne_u32_e32 0x7f, v1
	s_cbranch_execz .LBB356_377
; %bb.374:                              ;   in Loop: Header=BB356_16 Depth=1
	v_lshrrev_b32_e32 v0, 3, v1
	v_dual_mov_b32 v36, v8 :: v_dual_mov_b32 v35, v7
	s_mov_b32 s24, exec_lo
	v_cmpx_gt_u32_e32 8, v1
; %bb.375:                              ;   in Loop: Header=BB356_16 Depth=1
	v_and_b32_e32 v0, 7, v34
	s_delay_alu instid0(VALU_DEP_1) | instskip(NEXT) | instid1(VALU_DEP_1)
	v_clz_i32_u32_e32 v0, v0
	v_min_u32_e32 v0, 32, v0
	s_delay_alu instid0(VALU_DEP_1) | instskip(SKIP_1) | instid1(VALU_DEP_2)
	v_subrev_nc_u32_e32 v1, 28, v0
	v_sub_nc_u32_e32 v0, 29, v0
	v_lshlrev_b64 v[35:36], v1, v[7:8]
; %bb.376:                              ;   in Loop: Header=BB356_16 Depth=1
	s_or_b32 exec_lo, exec_lo, s24
	v_lshlrev_b32_e32 v1, 8, v34
	s_delay_alu instid0(VALU_DEP_3) | instskip(NEXT) | instid1(VALU_DEP_3)
	v_lshl_add_u32 v0, v0, 10, 0x2000
	v_lshlrev_b32_e32 v2, 7, v35
	s_delay_alu instid0(VALU_DEP_2) | instskip(NEXT) | instid1(VALU_DEP_1)
	v_and_or_b32 v0, 0x8000, v1, v0
	v_and_or_b32 v0, 0x380, v2, v0
	s_delay_alu instid0(VALU_DEP_1)
	v_cvt_f32_f16_e32 v0, v0
.LBB356_377:                            ;   in Loop: Header=BB356_16 Depth=1
	s_or_b32 exec_lo, exec_lo, s23
.LBB356_378:                            ;   in Loop: Header=BB356_16 Depth=1
	s_delay_alu instid0(SALU_CYCLE_1)
	s_or_b32 exec_lo, exec_lo, s22
	scratch_store_b32 off, v0, s32 offset:600 ; 4-byte Folded Spill
.LBB356_379:                            ;   in Loop: Header=BB356_16 Depth=1
	s_or_b32 exec_lo, exec_lo, s21
	v_lshrrev_b16 v0, 8, v7
	s_mov_b32 s21, exec_lo
	s_delay_alu instid0(VALU_DEP_1)
	v_cmpx_ne_u16_e32 0, v0
	s_cbranch_execz .LBB356_387
; %bb.380:                              ;   in Loop: Header=BB356_16 Depth=1
	v_bfrev_b32_e32 v1, 1
	s_mov_b32 s22, exec_lo
	scratch_store_b32 off, v1, s32 offset:432 ; 4-byte Folded Spill
	v_cmpx_ne_u16_e32 0x80, v0
	s_cbranch_execz .LBB356_386
; %bb.381:                              ;   in Loop: Header=BB356_16 Depth=1
	v_and_b32_e32 v0, 0xffff, v0
	v_mov_b32_e32 v1, 0x7fc02000
	s_mov_b32 s23, exec_lo
	s_delay_alu instid0(VALU_DEP_2)
	v_and_b32_e32 v2, 0x7f, v0
	scratch_store_b32 off, v1, s32 offset:432 ; 4-byte Folded Spill
	v_cmpx_ne_u32_e32 0x7f, v2
	s_cbranch_execz .LBB356_385
; %bb.382:                              ;   in Loop: Header=BB356_16 Depth=1
	v_and_b32_e32 v7, 7, v0
	v_lshrrev_b32_e32 v1, 3, v2
	v_mov_b32_e32 v36, v8
	s_mov_b32 s24, exec_lo
	s_delay_alu instid0(VALU_DEP_3)
	v_mov_b32_e32 v35, v7
	v_cmpx_gt_u32_e32 8, v2
; %bb.383:                              ;   in Loop: Header=BB356_16 Depth=1
	v_clz_i32_u32_e32 v1, v7
	s_delay_alu instid0(VALU_DEP_1) | instskip(NEXT) | instid1(VALU_DEP_1)
	v_min_u32_e32 v1, 32, v1
	v_subrev_nc_u32_e32 v2, 28, v1
	v_sub_nc_u32_e32 v1, 29, v1
	s_delay_alu instid0(VALU_DEP_2) | instskip(NEXT) | instid1(VALU_DEP_1)
	v_lshlrev_b64 v[2:3], v2, v[7:8]
	v_and_b32_e32 v35, 7, v2
; %bb.384:                              ;   in Loop: Header=BB356_16 Depth=1
	s_or_b32 exec_lo, exec_lo, s24
	v_lshlrev_b32_e32 v0, 8, v0
	v_lshl_add_u32 v1, v1, 10, 0x2000
	s_delay_alu instid0(VALU_DEP_1) | instskip(NEXT) | instid1(VALU_DEP_1)
	v_and_or_b32 v0, 0x8000, v0, v1
	v_lshl_or_b32 v0, v35, 7, v0
	s_delay_alu instid0(VALU_DEP_1)
	v_cvt_f32_f16_e32 v0, v0
	scratch_store_b32 off, v0, s32 offset:432 ; 4-byte Folded Spill
.LBB356_385:                            ;   in Loop: Header=BB356_16 Depth=1
	s_or_b32 exec_lo, exec_lo, s23
.LBB356_386:                            ;   in Loop: Header=BB356_16 Depth=1
	s_delay_alu instid0(SALU_CYCLE_1)
	s_or_b32 exec_lo, exec_lo, s22
.LBB356_387:                            ;   in Loop: Header=BB356_16 Depth=1
	s_delay_alu instid0(SALU_CYCLE_1) | instskip(SKIP_2) | instid1(VALU_DEP_1)
	s_or_b32 exec_lo, exec_lo, s21
	v_lshrrev_b32_e32 v0, 16, v34
	s_mov_b32 s21, exec_lo
	v_dual_mov_b32 v2, 0 :: v_dual_and_b32 v1, 0xff, v0
	scratch_store_b32 off, v2, s32 offset:436 ; 4-byte Folded Spill
	v_mov_b32_e32 v2, 0
	scratch_store_b32 off, v2, s32 offset:604 ; 4-byte Folded Spill
	v_cmpx_ne_u16_e32 0, v1
	s_cbranch_execz .LBB356_395
; %bb.388:                              ;   in Loop: Header=BB356_16 Depth=1
	v_cmp_ne_u16_e64 s1, 0x80, v1
	v_bfrev_b32_e32 v1, 1
	s_delay_alu instid0(VALU_DEP_2)
	s_and_saveexec_b32 s22, s1
	s_cbranch_execz .LBB356_394
; %bb.389:                              ;   in Loop: Header=BB356_16 Depth=1
	v_bfe_u32 v2, v34, 16, 7
	v_mov_b32_e32 v1, 0x7fc02000
	s_mov_b32 s23, exec_lo
	s_delay_alu instid0(VALU_DEP_2)
	v_cmpx_ne_u32_e32 0x7f, v2
	s_cbranch_execz .LBB356_393
; %bb.390:                              ;   in Loop: Header=BB356_16 Depth=1
	v_and_b32_e32 v7, 7, v0
	v_lshrrev_b32_e32 v1, 3, v2
	v_mov_b32_e32 v36, v8
	s_mov_b32 s24, exec_lo
	s_delay_alu instid0(VALU_DEP_3)
	v_mov_b32_e32 v35, v7
	v_cmpx_gt_u32_e32 8, v2
; %bb.391:                              ;   in Loop: Header=BB356_16 Depth=1
	v_clz_i32_u32_e32 v1, v7
	s_delay_alu instid0(VALU_DEP_1) | instskip(NEXT) | instid1(VALU_DEP_1)
	v_min_u32_e32 v1, 32, v1
	v_subrev_nc_u32_e32 v2, 28, v1
	v_sub_nc_u32_e32 v1, 29, v1
	s_delay_alu instid0(VALU_DEP_2) | instskip(NEXT) | instid1(VALU_DEP_1)
	v_lshlrev_b64 v[2:3], v2, v[7:8]
	v_and_b32_e32 v35, 7, v2
; %bb.392:                              ;   in Loop: Header=BB356_16 Depth=1
	s_or_b32 exec_lo, exec_lo, s24
	v_lshlrev_b32_e32 v0, 8, v0
	v_lshl_add_u32 v1, v1, 10, 0x2000
	s_delay_alu instid0(VALU_DEP_1) | instskip(NEXT) | instid1(VALU_DEP_1)
	v_and_or_b32 v0, 0x8000, v0, v1
	v_lshl_or_b32 v0, v35, 7, v0
	s_delay_alu instid0(VALU_DEP_1)
	v_cvt_f32_f16_e32 v1, v0
.LBB356_393:                            ;   in Loop: Header=BB356_16 Depth=1
	s_or_b32 exec_lo, exec_lo, s23
.LBB356_394:                            ;   in Loop: Header=BB356_16 Depth=1
	s_delay_alu instid0(SALU_CYCLE_1)
	s_or_b32 exec_lo, exec_lo, s22
	scratch_store_b32 off, v1, s32 offset:604 ; 4-byte Folded Spill
.LBB356_395:                            ;   in Loop: Header=BB356_16 Depth=1
	s_or_b32 exec_lo, exec_lo, s21
	s_delay_alu instid0(SALU_CYCLE_1)
	s_mov_b32 s21, exec_lo
	v_cmpx_lt_u64_e64 s[8:9], v[33:34]
	s_cbranch_execz .LBB356_403
; %bb.396:                              ;   in Loop: Header=BB356_16 Depth=1
	v_lshrrev_b32_e32 v0, 24, v34
	v_bfrev_b32_e32 v1, 1
	s_mov_b32 s22, exec_lo
	scratch_store_b32 off, v1, s32 offset:436 ; 4-byte Folded Spill
	v_cmpx_ne_u32_e32 0x80, v0
	s_cbranch_execz .LBB356_402
; %bb.397:                              ;   in Loop: Header=BB356_16 Depth=1
	v_and_b32_e32 v2, 0x7f, v0
	v_mov_b32_e32 v1, 0x7fc02000
	s_mov_b32 s23, exec_lo
	scratch_store_b32 off, v1, s32 offset:436 ; 4-byte Folded Spill
	v_cmpx_ne_u32_e32 0x7f, v2
	s_cbranch_execz .LBB356_401
; %bb.398:                              ;   in Loop: Header=BB356_16 Depth=1
	v_and_b32_e32 v7, 7, v0
	v_lshrrev_b32_e32 v1, 3, v2
	v_mov_b32_e32 v34, v8
	s_mov_b32 s24, exec_lo
	s_delay_alu instid0(VALU_DEP_3)
	v_mov_b32_e32 v33, v7
	v_cmpx_gt_u32_e32 8, v2
; %bb.399:                              ;   in Loop: Header=BB356_16 Depth=1
	v_clz_i32_u32_e32 v1, v7
	s_delay_alu instid0(VALU_DEP_1) | instskip(NEXT) | instid1(VALU_DEP_1)
	v_min_u32_e32 v1, 32, v1
	v_subrev_nc_u32_e32 v2, 28, v1
	v_sub_nc_u32_e32 v1, 29, v1
	s_delay_alu instid0(VALU_DEP_2) | instskip(NEXT) | instid1(VALU_DEP_1)
	v_lshlrev_b64 v[2:3], v2, v[7:8]
	v_and_b32_e32 v33, 7, v2
; %bb.400:                              ;   in Loop: Header=BB356_16 Depth=1
	s_or_b32 exec_lo, exec_lo, s24
	v_lshlrev_b32_e32 v0, 8, v0
	v_lshl_add_u32 v1, v1, 10, 0x2000
	s_delay_alu instid0(VALU_DEP_1) | instskip(NEXT) | instid1(VALU_DEP_1)
	v_and_or_b32 v0, 0x8000, v0, v1
	v_lshl_or_b32 v0, v33, 7, v0
	s_delay_alu instid0(VALU_DEP_1)
	v_cvt_f32_f16_e32 v0, v0
	scratch_store_b32 off, v0, s32 offset:436 ; 4-byte Folded Spill
.LBB356_401:                            ;   in Loop: Header=BB356_16 Depth=1
	s_or_b32 exec_lo, exec_lo, s23
.LBB356_402:                            ;   in Loop: Header=BB356_16 Depth=1
	s_delay_alu instid0(SALU_CYCLE_1)
	s_or_b32 exec_lo, exec_lo, s22
.LBB356_403:                            ;   in Loop: Header=BB356_16 Depth=1
	s_delay_alu instid0(SALU_CYCLE_1)
	s_or_b32 exec_lo, exec_lo, s21
	flat_load_b64 v[33:34], v[31:32] offset:1536
	s_mov_b32 s21, exec_lo
	v_mov_b32_e32 v1, 0
	scratch_store_b32 off, v1, s32 offset:440 ; 4-byte Folded Spill
	v_mov_b32_e32 v1, 0
	scratch_store_b32 off, v1, s32 offset:608 ; 4-byte Folded Spill
	s_waitcnt vmcnt(0) lgkmcnt(0)
	v_and_b32_e32 v0, 0xff, v33
	s_delay_alu instid0(VALU_DEP_1)
	v_cmpx_ne_u16_e32 0, v0
	s_cbranch_execz .LBB356_411
; %bb.404:                              ;   in Loop: Header=BB356_16 Depth=1
	v_cmp_ne_u16_e64 s1, 0x80, v0
	v_bfrev_b32_e32 v0, 1
	s_delay_alu instid0(VALU_DEP_2)
	s_and_saveexec_b32 s22, s1
	s_cbranch_execz .LBB356_410
; %bb.405:                              ;   in Loop: Header=BB356_16 Depth=1
	v_and_b32_e32 v1, 0x7f, v33
	v_mov_b32_e32 v0, 0x7fc02000
	s_mov_b32 s23, exec_lo
	s_delay_alu instid0(VALU_DEP_2)
	v_cmpx_ne_u32_e32 0x7f, v1
	s_cbranch_execz .LBB356_409
; %bb.406:                              ;   in Loop: Header=BB356_16 Depth=1
	v_lshrrev_b32_e32 v0, 3, v1
	v_dual_mov_b32 v36, v34 :: v_dual_mov_b32 v35, v33
	s_mov_b32 s24, exec_lo
	v_cmpx_gt_u32_e32 8, v1
; %bb.407:                              ;   in Loop: Header=BB356_16 Depth=1
	v_and_b32_e32 v0, 7, v33
	s_delay_alu instid0(VALU_DEP_1) | instskip(NEXT) | instid1(VALU_DEP_1)
	v_clz_i32_u32_e32 v0, v0
	v_min_u32_e32 v0, 32, v0
	s_delay_alu instid0(VALU_DEP_1) | instskip(SKIP_1) | instid1(VALU_DEP_2)
	v_subrev_nc_u32_e32 v1, 28, v0
	v_sub_nc_u32_e32 v0, 29, v0
	v_lshlrev_b64 v[35:36], v1, v[33:34]
; %bb.408:                              ;   in Loop: Header=BB356_16 Depth=1
	s_or_b32 exec_lo, exec_lo, s24
	v_lshlrev_b32_e32 v1, 8, v33
	s_delay_alu instid0(VALU_DEP_3) | instskip(NEXT) | instid1(VALU_DEP_3)
	v_lshl_add_u32 v0, v0, 10, 0x2000
	v_lshlrev_b32_e32 v2, 7, v35
	s_delay_alu instid0(VALU_DEP_2) | instskip(NEXT) | instid1(VALU_DEP_1)
	v_and_or_b32 v0, 0x8000, v1, v0
	v_and_or_b32 v0, 0x380, v2, v0
	s_delay_alu instid0(VALU_DEP_1)
	v_cvt_f32_f16_e32 v0, v0
.LBB356_409:                            ;   in Loop: Header=BB356_16 Depth=1
	s_or_b32 exec_lo, exec_lo, s23
.LBB356_410:                            ;   in Loop: Header=BB356_16 Depth=1
	s_delay_alu instid0(SALU_CYCLE_1)
	s_or_b32 exec_lo, exec_lo, s22
	scratch_store_b32 off, v0, s32 offset:608 ; 4-byte Folded Spill
.LBB356_411:                            ;   in Loop: Header=BB356_16 Depth=1
	s_or_b32 exec_lo, exec_lo, s21
	v_lshrrev_b16 v0, 8, v33
	s_mov_b32 s21, exec_lo
	s_delay_alu instid0(VALU_DEP_1)
	v_cmpx_ne_u16_e32 0, v0
	s_cbranch_execz .LBB356_419
; %bb.412:                              ;   in Loop: Header=BB356_16 Depth=1
	v_bfrev_b32_e32 v1, 1
	s_mov_b32 s22, exec_lo
	scratch_store_b32 off, v1, s32 offset:440 ; 4-byte Folded Spill
	v_cmpx_ne_u16_e32 0x80, v0
	s_cbranch_execz .LBB356_418
; %bb.413:                              ;   in Loop: Header=BB356_16 Depth=1
	v_and_b32_e32 v0, 0xffff, v0
	v_mov_b32_e32 v1, 0x7fc02000
	s_mov_b32 s23, exec_lo
	s_delay_alu instid0(VALU_DEP_2)
	v_and_b32_e32 v2, 0x7f, v0
	scratch_store_b32 off, v1, s32 offset:440 ; 4-byte Folded Spill
	v_cmpx_ne_u32_e32 0x7f, v2
	s_cbranch_execz .LBB356_417
; %bb.414:                              ;   in Loop: Header=BB356_16 Depth=1
	v_and_b32_e32 v7, 7, v0
	v_lshrrev_b32_e32 v1, 3, v2
	v_mov_b32_e32 v36, v8
	s_mov_b32 s24, exec_lo
	s_delay_alu instid0(VALU_DEP_3)
	v_mov_b32_e32 v35, v7
	v_cmpx_gt_u32_e32 8, v2
; %bb.415:                              ;   in Loop: Header=BB356_16 Depth=1
	v_clz_i32_u32_e32 v1, v7
	s_delay_alu instid0(VALU_DEP_1) | instskip(NEXT) | instid1(VALU_DEP_1)
	v_min_u32_e32 v1, 32, v1
	v_subrev_nc_u32_e32 v2, 28, v1
	v_sub_nc_u32_e32 v1, 29, v1
	s_delay_alu instid0(VALU_DEP_2) | instskip(NEXT) | instid1(VALU_DEP_1)
	v_lshlrev_b64 v[2:3], v2, v[7:8]
	v_and_b32_e32 v35, 7, v2
; %bb.416:                              ;   in Loop: Header=BB356_16 Depth=1
	s_or_b32 exec_lo, exec_lo, s24
	v_lshlrev_b32_e32 v0, 8, v0
	v_lshl_add_u32 v1, v1, 10, 0x2000
	s_delay_alu instid0(VALU_DEP_1) | instskip(NEXT) | instid1(VALU_DEP_1)
	v_and_or_b32 v0, 0x8000, v0, v1
	v_lshl_or_b32 v0, v35, 7, v0
	s_delay_alu instid0(VALU_DEP_1)
	v_cvt_f32_f16_e32 v0, v0
	scratch_store_b32 off, v0, s32 offset:440 ; 4-byte Folded Spill
.LBB356_417:                            ;   in Loop: Header=BB356_16 Depth=1
	s_or_b32 exec_lo, exec_lo, s23
.LBB356_418:                            ;   in Loop: Header=BB356_16 Depth=1
	s_delay_alu instid0(SALU_CYCLE_1)
	s_or_b32 exec_lo, exec_lo, s22
.LBB356_419:                            ;   in Loop: Header=BB356_16 Depth=1
	s_delay_alu instid0(SALU_CYCLE_1) | instskip(SKIP_2) | instid1(VALU_DEP_1)
	s_or_b32 exec_lo, exec_lo, s21
	v_lshrrev_b32_e32 v0, 16, v33
	s_mov_b32 s21, exec_lo
	v_dual_mov_b32 v2, 0 :: v_dual_and_b32 v1, 0xff, v0
	scratch_store_b32 off, v2, s32 offset:444 ; 4-byte Folded Spill
	v_mov_b32_e32 v2, 0
	scratch_store_b32 off, v2, s32 offset:612 ; 4-byte Folded Spill
	v_cmpx_ne_u16_e32 0, v1
	s_cbranch_execz .LBB356_427
; %bb.420:                              ;   in Loop: Header=BB356_16 Depth=1
	v_cmp_ne_u16_e64 s1, 0x80, v1
	v_bfrev_b32_e32 v1, 1
	s_delay_alu instid0(VALU_DEP_2)
	s_and_saveexec_b32 s22, s1
	s_cbranch_execz .LBB356_426
; %bb.421:                              ;   in Loop: Header=BB356_16 Depth=1
	v_bfe_u32 v2, v33, 16, 7
	v_mov_b32_e32 v1, 0x7fc02000
	s_mov_b32 s23, exec_lo
	s_delay_alu instid0(VALU_DEP_2)
	v_cmpx_ne_u32_e32 0x7f, v2
	s_cbranch_execz .LBB356_425
; %bb.422:                              ;   in Loop: Header=BB356_16 Depth=1
	v_and_b32_e32 v7, 7, v0
	v_lshrrev_b32_e32 v1, 3, v2
	v_mov_b32_e32 v36, v8
	s_mov_b32 s24, exec_lo
	s_delay_alu instid0(VALU_DEP_3)
	v_mov_b32_e32 v35, v7
	v_cmpx_gt_u32_e32 8, v2
; %bb.423:                              ;   in Loop: Header=BB356_16 Depth=1
	v_clz_i32_u32_e32 v1, v7
	s_delay_alu instid0(VALU_DEP_1) | instskip(NEXT) | instid1(VALU_DEP_1)
	v_min_u32_e32 v1, 32, v1
	v_subrev_nc_u32_e32 v2, 28, v1
	v_sub_nc_u32_e32 v1, 29, v1
	s_delay_alu instid0(VALU_DEP_2) | instskip(NEXT) | instid1(VALU_DEP_1)
	v_lshlrev_b64 v[2:3], v2, v[7:8]
	v_and_b32_e32 v35, 7, v2
; %bb.424:                              ;   in Loop: Header=BB356_16 Depth=1
	s_or_b32 exec_lo, exec_lo, s24
	v_lshlrev_b32_e32 v0, 8, v0
	v_lshl_add_u32 v1, v1, 10, 0x2000
	s_delay_alu instid0(VALU_DEP_1) | instskip(NEXT) | instid1(VALU_DEP_1)
	v_and_or_b32 v0, 0x8000, v0, v1
	v_lshl_or_b32 v0, v35, 7, v0
	s_delay_alu instid0(VALU_DEP_1)
	v_cvt_f32_f16_e32 v1, v0
.LBB356_425:                            ;   in Loop: Header=BB356_16 Depth=1
	s_or_b32 exec_lo, exec_lo, s23
.LBB356_426:                            ;   in Loop: Header=BB356_16 Depth=1
	s_delay_alu instid0(SALU_CYCLE_1)
	s_or_b32 exec_lo, exec_lo, s22
	scratch_store_b32 off, v1, s32 offset:612 ; 4-byte Folded Spill
.LBB356_427:                            ;   in Loop: Header=BB356_16 Depth=1
	s_or_b32 exec_lo, exec_lo, s21
	s_delay_alu instid0(SALU_CYCLE_1)
	s_mov_b32 s21, exec_lo
	v_cmpx_lt_u32_e32 0xffffff, v33
	s_cbranch_execz .LBB356_435
; %bb.428:                              ;   in Loop: Header=BB356_16 Depth=1
	v_lshrrev_b32_e32 v0, 24, v33
	v_bfrev_b32_e32 v1, 1
	s_mov_b32 s22, exec_lo
	scratch_store_b32 off, v1, s32 offset:444 ; 4-byte Folded Spill
	v_cmpx_ne_u32_e32 0x80, v0
	s_cbranch_execz .LBB356_434
; %bb.429:                              ;   in Loop: Header=BB356_16 Depth=1
	v_and_b32_e32 v2, 0x7f, v0
	v_mov_b32_e32 v1, 0x7fc02000
	s_mov_b32 s23, exec_lo
	scratch_store_b32 off, v1, s32 offset:444 ; 4-byte Folded Spill
	v_cmpx_ne_u32_e32 0x7f, v2
	s_cbranch_execz .LBB356_433
; %bb.430:                              ;   in Loop: Header=BB356_16 Depth=1
	v_and_b32_e32 v7, 7, v0
	v_lshrrev_b32_e32 v1, 3, v2
	v_mov_b32_e32 v36, v8
	s_mov_b32 s24, exec_lo
	s_delay_alu instid0(VALU_DEP_3)
	v_mov_b32_e32 v35, v7
	v_cmpx_gt_u32_e32 8, v2
; %bb.431:                              ;   in Loop: Header=BB356_16 Depth=1
	v_clz_i32_u32_e32 v1, v7
	s_delay_alu instid0(VALU_DEP_1) | instskip(NEXT) | instid1(VALU_DEP_1)
	v_min_u32_e32 v1, 32, v1
	v_subrev_nc_u32_e32 v2, 28, v1
	v_sub_nc_u32_e32 v1, 29, v1
	s_delay_alu instid0(VALU_DEP_2) | instskip(NEXT) | instid1(VALU_DEP_1)
	v_lshlrev_b64 v[2:3], v2, v[7:8]
	v_and_b32_e32 v35, 7, v2
; %bb.432:                              ;   in Loop: Header=BB356_16 Depth=1
	s_or_b32 exec_lo, exec_lo, s24
	v_lshlrev_b32_e32 v0, 8, v0
	v_lshl_add_u32 v1, v1, 10, 0x2000
	s_delay_alu instid0(VALU_DEP_1) | instskip(NEXT) | instid1(VALU_DEP_1)
	v_and_or_b32 v0, 0x8000, v0, v1
	v_lshl_or_b32 v0, v35, 7, v0
	s_delay_alu instid0(VALU_DEP_1)
	v_cvt_f32_f16_e32 v0, v0
	scratch_store_b32 off, v0, s32 offset:444 ; 4-byte Folded Spill
.LBB356_433:                            ;   in Loop: Header=BB356_16 Depth=1
	s_or_b32 exec_lo, exec_lo, s23
.LBB356_434:                            ;   in Loop: Header=BB356_16 Depth=1
	s_delay_alu instid0(SALU_CYCLE_1)
	s_or_b32 exec_lo, exec_lo, s22
.LBB356_435:                            ;   in Loop: Header=BB356_16 Depth=1
	s_delay_alu instid0(SALU_CYCLE_1)
	s_or_b32 exec_lo, exec_lo, s21
	v_dual_mov_b32 v1, 0 :: v_dual_and_b32 v0, 0xff, v34
	v_mov_b32_e32 v7, v34
	s_mov_b32 s21, exec_lo
	scratch_store_b32 off, v1, s32 offset:448 ; 4-byte Folded Spill
	v_mov_b32_e32 v1, 0
	scratch_store_b32 off, v1, s32 offset:616 ; 4-byte Folded Spill
	v_cmpx_ne_u16_e32 0, v0
	s_cbranch_execz .LBB356_443
; %bb.436:                              ;   in Loop: Header=BB356_16 Depth=1
	v_cmp_ne_u16_e64 s1, 0x80, v0
	v_bfrev_b32_e32 v0, 1
	s_delay_alu instid0(VALU_DEP_2)
	s_and_saveexec_b32 s22, s1
	s_cbranch_execz .LBB356_442
; %bb.437:                              ;   in Loop: Header=BB356_16 Depth=1
	v_and_b32_e32 v1, 0x7f, v34
	v_mov_b32_e32 v0, 0x7fc02000
	s_mov_b32 s23, exec_lo
	s_delay_alu instid0(VALU_DEP_2)
	v_cmpx_ne_u32_e32 0x7f, v1
	s_cbranch_execz .LBB356_441
; %bb.438:                              ;   in Loop: Header=BB356_16 Depth=1
	v_lshrrev_b32_e32 v0, 3, v1
	v_dual_mov_b32 v36, v8 :: v_dual_mov_b32 v35, v7
	s_mov_b32 s24, exec_lo
	v_cmpx_gt_u32_e32 8, v1
; %bb.439:                              ;   in Loop: Header=BB356_16 Depth=1
	v_and_b32_e32 v0, 7, v34
	s_delay_alu instid0(VALU_DEP_1) | instskip(NEXT) | instid1(VALU_DEP_1)
	v_clz_i32_u32_e32 v0, v0
	v_min_u32_e32 v0, 32, v0
	s_delay_alu instid0(VALU_DEP_1) | instskip(SKIP_1) | instid1(VALU_DEP_2)
	v_subrev_nc_u32_e32 v1, 28, v0
	v_sub_nc_u32_e32 v0, 29, v0
	v_lshlrev_b64 v[35:36], v1, v[7:8]
; %bb.440:                              ;   in Loop: Header=BB356_16 Depth=1
	s_or_b32 exec_lo, exec_lo, s24
	v_lshlrev_b32_e32 v1, 8, v34
	s_delay_alu instid0(VALU_DEP_3) | instskip(NEXT) | instid1(VALU_DEP_3)
	v_lshl_add_u32 v0, v0, 10, 0x2000
	v_lshlrev_b32_e32 v2, 7, v35
	s_delay_alu instid0(VALU_DEP_2) | instskip(NEXT) | instid1(VALU_DEP_1)
	v_and_or_b32 v0, 0x8000, v1, v0
	v_and_or_b32 v0, 0x380, v2, v0
	s_delay_alu instid0(VALU_DEP_1)
	v_cvt_f32_f16_e32 v0, v0
.LBB356_441:                            ;   in Loop: Header=BB356_16 Depth=1
	s_or_b32 exec_lo, exec_lo, s23
.LBB356_442:                            ;   in Loop: Header=BB356_16 Depth=1
	s_delay_alu instid0(SALU_CYCLE_1)
	s_or_b32 exec_lo, exec_lo, s22
	scratch_store_b32 off, v0, s32 offset:616 ; 4-byte Folded Spill
.LBB356_443:                            ;   in Loop: Header=BB356_16 Depth=1
	s_or_b32 exec_lo, exec_lo, s21
	v_lshrrev_b16 v0, 8, v7
	s_mov_b32 s21, exec_lo
	s_delay_alu instid0(VALU_DEP_1)
	v_cmpx_ne_u16_e32 0, v0
	s_cbranch_execz .LBB356_451
; %bb.444:                              ;   in Loop: Header=BB356_16 Depth=1
	v_bfrev_b32_e32 v1, 1
	s_mov_b32 s22, exec_lo
	scratch_store_b32 off, v1, s32 offset:448 ; 4-byte Folded Spill
	v_cmpx_ne_u16_e32 0x80, v0
	s_cbranch_execz .LBB356_450
; %bb.445:                              ;   in Loop: Header=BB356_16 Depth=1
	v_and_b32_e32 v0, 0xffff, v0
	v_mov_b32_e32 v1, 0x7fc02000
	s_mov_b32 s23, exec_lo
	s_delay_alu instid0(VALU_DEP_2)
	v_and_b32_e32 v2, 0x7f, v0
	scratch_store_b32 off, v1, s32 offset:448 ; 4-byte Folded Spill
	v_cmpx_ne_u32_e32 0x7f, v2
	s_cbranch_execz .LBB356_449
; %bb.446:                              ;   in Loop: Header=BB356_16 Depth=1
	v_and_b32_e32 v7, 7, v0
	v_lshrrev_b32_e32 v1, 3, v2
	v_mov_b32_e32 v36, v8
	s_mov_b32 s24, exec_lo
	s_delay_alu instid0(VALU_DEP_3)
	v_mov_b32_e32 v35, v7
	v_cmpx_gt_u32_e32 8, v2
; %bb.447:                              ;   in Loop: Header=BB356_16 Depth=1
	v_clz_i32_u32_e32 v1, v7
	s_delay_alu instid0(VALU_DEP_1) | instskip(NEXT) | instid1(VALU_DEP_1)
	v_min_u32_e32 v1, 32, v1
	v_subrev_nc_u32_e32 v2, 28, v1
	v_sub_nc_u32_e32 v1, 29, v1
	s_delay_alu instid0(VALU_DEP_2) | instskip(NEXT) | instid1(VALU_DEP_1)
	v_lshlrev_b64 v[2:3], v2, v[7:8]
	v_and_b32_e32 v35, 7, v2
; %bb.448:                              ;   in Loop: Header=BB356_16 Depth=1
	s_or_b32 exec_lo, exec_lo, s24
	v_lshlrev_b32_e32 v0, 8, v0
	v_lshl_add_u32 v1, v1, 10, 0x2000
	s_delay_alu instid0(VALU_DEP_1) | instskip(NEXT) | instid1(VALU_DEP_1)
	v_and_or_b32 v0, 0x8000, v0, v1
	v_lshl_or_b32 v0, v35, 7, v0
	s_delay_alu instid0(VALU_DEP_1)
	v_cvt_f32_f16_e32 v0, v0
	scratch_store_b32 off, v0, s32 offset:448 ; 4-byte Folded Spill
.LBB356_449:                            ;   in Loop: Header=BB356_16 Depth=1
	s_or_b32 exec_lo, exec_lo, s23
.LBB356_450:                            ;   in Loop: Header=BB356_16 Depth=1
	s_delay_alu instid0(SALU_CYCLE_1)
	s_or_b32 exec_lo, exec_lo, s22
.LBB356_451:                            ;   in Loop: Header=BB356_16 Depth=1
	s_delay_alu instid0(SALU_CYCLE_1) | instskip(SKIP_2) | instid1(VALU_DEP_1)
	s_or_b32 exec_lo, exec_lo, s21
	v_lshrrev_b32_e32 v0, 16, v34
	s_mov_b32 s21, exec_lo
	v_dual_mov_b32 v2, 0 :: v_dual_and_b32 v1, 0xff, v0
	scratch_store_b32 off, v2, s32 offset:452 ; 4-byte Folded Spill
	v_mov_b32_e32 v2, 0
	scratch_store_b32 off, v2, s32 offset:620 ; 4-byte Folded Spill
	v_cmpx_ne_u16_e32 0, v1
	s_cbranch_execz .LBB356_459
; %bb.452:                              ;   in Loop: Header=BB356_16 Depth=1
	v_cmp_ne_u16_e64 s1, 0x80, v1
	v_bfrev_b32_e32 v1, 1
	s_delay_alu instid0(VALU_DEP_2)
	s_and_saveexec_b32 s22, s1
	s_cbranch_execz .LBB356_458
; %bb.453:                              ;   in Loop: Header=BB356_16 Depth=1
	v_bfe_u32 v2, v34, 16, 7
	v_mov_b32_e32 v1, 0x7fc02000
	s_mov_b32 s23, exec_lo
	s_delay_alu instid0(VALU_DEP_2)
	v_cmpx_ne_u32_e32 0x7f, v2
	s_cbranch_execz .LBB356_457
; %bb.454:                              ;   in Loop: Header=BB356_16 Depth=1
	v_and_b32_e32 v7, 7, v0
	v_lshrrev_b32_e32 v1, 3, v2
	v_mov_b32_e32 v36, v8
	s_mov_b32 s24, exec_lo
	s_delay_alu instid0(VALU_DEP_3)
	v_mov_b32_e32 v35, v7
	v_cmpx_gt_u32_e32 8, v2
; %bb.455:                              ;   in Loop: Header=BB356_16 Depth=1
	v_clz_i32_u32_e32 v1, v7
	s_delay_alu instid0(VALU_DEP_1) | instskip(NEXT) | instid1(VALU_DEP_1)
	v_min_u32_e32 v1, 32, v1
	v_subrev_nc_u32_e32 v2, 28, v1
	v_sub_nc_u32_e32 v1, 29, v1
	s_delay_alu instid0(VALU_DEP_2) | instskip(NEXT) | instid1(VALU_DEP_1)
	v_lshlrev_b64 v[2:3], v2, v[7:8]
	v_and_b32_e32 v35, 7, v2
; %bb.456:                              ;   in Loop: Header=BB356_16 Depth=1
	s_or_b32 exec_lo, exec_lo, s24
	v_lshlrev_b32_e32 v0, 8, v0
	v_lshl_add_u32 v1, v1, 10, 0x2000
	s_delay_alu instid0(VALU_DEP_1) | instskip(NEXT) | instid1(VALU_DEP_1)
	v_and_or_b32 v0, 0x8000, v0, v1
	v_lshl_or_b32 v0, v35, 7, v0
	s_delay_alu instid0(VALU_DEP_1)
	v_cvt_f32_f16_e32 v1, v0
.LBB356_457:                            ;   in Loop: Header=BB356_16 Depth=1
	s_or_b32 exec_lo, exec_lo, s23
.LBB356_458:                            ;   in Loop: Header=BB356_16 Depth=1
	s_delay_alu instid0(SALU_CYCLE_1)
	s_or_b32 exec_lo, exec_lo, s22
	scratch_store_b32 off, v1, s32 offset:620 ; 4-byte Folded Spill
.LBB356_459:                            ;   in Loop: Header=BB356_16 Depth=1
	s_or_b32 exec_lo, exec_lo, s21
	s_delay_alu instid0(SALU_CYCLE_1)
	s_mov_b32 s21, exec_lo
	v_cmpx_lt_u64_e64 s[8:9], v[33:34]
	s_cbranch_execz .LBB356_467
; %bb.460:                              ;   in Loop: Header=BB356_16 Depth=1
	v_lshrrev_b32_e32 v0, 24, v34
	v_bfrev_b32_e32 v1, 1
	s_mov_b32 s22, exec_lo
	scratch_store_b32 off, v1, s32 offset:452 ; 4-byte Folded Spill
	v_cmpx_ne_u32_e32 0x80, v0
	s_cbranch_execz .LBB356_466
; %bb.461:                              ;   in Loop: Header=BB356_16 Depth=1
	v_and_b32_e32 v2, 0x7f, v0
	v_mov_b32_e32 v1, 0x7fc02000
	s_mov_b32 s23, exec_lo
	scratch_store_b32 off, v1, s32 offset:452 ; 4-byte Folded Spill
	v_cmpx_ne_u32_e32 0x7f, v2
	s_cbranch_execz .LBB356_465
; %bb.462:                              ;   in Loop: Header=BB356_16 Depth=1
	v_and_b32_e32 v7, 7, v0
	v_lshrrev_b32_e32 v1, 3, v2
	v_mov_b32_e32 v34, v8
	s_mov_b32 s24, exec_lo
	s_delay_alu instid0(VALU_DEP_3)
	v_mov_b32_e32 v33, v7
	v_cmpx_gt_u32_e32 8, v2
; %bb.463:                              ;   in Loop: Header=BB356_16 Depth=1
	v_clz_i32_u32_e32 v1, v7
	s_delay_alu instid0(VALU_DEP_1) | instskip(NEXT) | instid1(VALU_DEP_1)
	v_min_u32_e32 v1, 32, v1
	v_subrev_nc_u32_e32 v2, 28, v1
	v_sub_nc_u32_e32 v1, 29, v1
	s_delay_alu instid0(VALU_DEP_2) | instskip(NEXT) | instid1(VALU_DEP_1)
	v_lshlrev_b64 v[2:3], v2, v[7:8]
	v_and_b32_e32 v33, 7, v2
; %bb.464:                              ;   in Loop: Header=BB356_16 Depth=1
	s_or_b32 exec_lo, exec_lo, s24
	v_lshlrev_b32_e32 v0, 8, v0
	v_lshl_add_u32 v1, v1, 10, 0x2000
	s_delay_alu instid0(VALU_DEP_1) | instskip(NEXT) | instid1(VALU_DEP_1)
	v_and_or_b32 v0, 0x8000, v0, v1
	v_lshl_or_b32 v0, v33, 7, v0
	s_delay_alu instid0(VALU_DEP_1)
	v_cvt_f32_f16_e32 v0, v0
	scratch_store_b32 off, v0, s32 offset:452 ; 4-byte Folded Spill
.LBB356_465:                            ;   in Loop: Header=BB356_16 Depth=1
	s_or_b32 exec_lo, exec_lo, s23
.LBB356_466:                            ;   in Loop: Header=BB356_16 Depth=1
	s_delay_alu instid0(SALU_CYCLE_1)
	s_or_b32 exec_lo, exec_lo, s22
.LBB356_467:                            ;   in Loop: Header=BB356_16 Depth=1
	s_delay_alu instid0(SALU_CYCLE_1)
	s_or_b32 exec_lo, exec_lo, s21
	flat_load_b64 v[33:34], v[31:32] offset:1544
	s_mov_b32 s21, exec_lo
	v_mov_b32_e32 v1, 0
	scratch_store_b32 off, v1, s32 offset:456 ; 4-byte Folded Spill
	v_mov_b32_e32 v1, 0
	scratch_store_b32 off, v1, s32 offset:624 ; 4-byte Folded Spill
	s_waitcnt vmcnt(0) lgkmcnt(0)
	v_and_b32_e32 v0, 0xff, v33
	s_delay_alu instid0(VALU_DEP_1)
	v_cmpx_ne_u16_e32 0, v0
	s_cbranch_execz .LBB356_475
; %bb.468:                              ;   in Loop: Header=BB356_16 Depth=1
	v_cmp_ne_u16_e64 s1, 0x80, v0
	v_bfrev_b32_e32 v0, 1
	s_delay_alu instid0(VALU_DEP_2)
	s_and_saveexec_b32 s22, s1
	s_cbranch_execz .LBB356_474
; %bb.469:                              ;   in Loop: Header=BB356_16 Depth=1
	v_and_b32_e32 v1, 0x7f, v33
	v_mov_b32_e32 v0, 0x7fc02000
	s_mov_b32 s23, exec_lo
	s_delay_alu instid0(VALU_DEP_2)
	v_cmpx_ne_u32_e32 0x7f, v1
	s_cbranch_execz .LBB356_473
; %bb.470:                              ;   in Loop: Header=BB356_16 Depth=1
	v_lshrrev_b32_e32 v0, 3, v1
	v_dual_mov_b32 v36, v34 :: v_dual_mov_b32 v35, v33
	s_mov_b32 s24, exec_lo
	v_cmpx_gt_u32_e32 8, v1
; %bb.471:                              ;   in Loop: Header=BB356_16 Depth=1
	v_and_b32_e32 v0, 7, v33
	s_delay_alu instid0(VALU_DEP_1) | instskip(NEXT) | instid1(VALU_DEP_1)
	v_clz_i32_u32_e32 v0, v0
	v_min_u32_e32 v0, 32, v0
	s_delay_alu instid0(VALU_DEP_1) | instskip(SKIP_1) | instid1(VALU_DEP_2)
	v_subrev_nc_u32_e32 v1, 28, v0
	v_sub_nc_u32_e32 v0, 29, v0
	v_lshlrev_b64 v[35:36], v1, v[33:34]
; %bb.472:                              ;   in Loop: Header=BB356_16 Depth=1
	s_or_b32 exec_lo, exec_lo, s24
	v_lshlrev_b32_e32 v1, 8, v33
	s_delay_alu instid0(VALU_DEP_3) | instskip(NEXT) | instid1(VALU_DEP_3)
	v_lshl_add_u32 v0, v0, 10, 0x2000
	v_lshlrev_b32_e32 v2, 7, v35
	s_delay_alu instid0(VALU_DEP_2) | instskip(NEXT) | instid1(VALU_DEP_1)
	v_and_or_b32 v0, 0x8000, v1, v0
	v_and_or_b32 v0, 0x380, v2, v0
	s_delay_alu instid0(VALU_DEP_1)
	v_cvt_f32_f16_e32 v0, v0
.LBB356_473:                            ;   in Loop: Header=BB356_16 Depth=1
	s_or_b32 exec_lo, exec_lo, s23
.LBB356_474:                            ;   in Loop: Header=BB356_16 Depth=1
	s_delay_alu instid0(SALU_CYCLE_1)
	s_or_b32 exec_lo, exec_lo, s22
	scratch_store_b32 off, v0, s32 offset:624 ; 4-byte Folded Spill
.LBB356_475:                            ;   in Loop: Header=BB356_16 Depth=1
	s_or_b32 exec_lo, exec_lo, s21
	v_lshrrev_b16 v0, 8, v33
	s_mov_b32 s21, exec_lo
	s_delay_alu instid0(VALU_DEP_1)
	v_cmpx_ne_u16_e32 0, v0
	s_cbranch_execz .LBB356_483
; %bb.476:                              ;   in Loop: Header=BB356_16 Depth=1
	v_bfrev_b32_e32 v1, 1
	s_mov_b32 s22, exec_lo
	scratch_store_b32 off, v1, s32 offset:456 ; 4-byte Folded Spill
	v_cmpx_ne_u16_e32 0x80, v0
	s_cbranch_execz .LBB356_482
; %bb.477:                              ;   in Loop: Header=BB356_16 Depth=1
	v_and_b32_e32 v0, 0xffff, v0
	v_mov_b32_e32 v1, 0x7fc02000
	s_mov_b32 s23, exec_lo
	s_delay_alu instid0(VALU_DEP_2)
	v_and_b32_e32 v2, 0x7f, v0
	scratch_store_b32 off, v1, s32 offset:456 ; 4-byte Folded Spill
	v_cmpx_ne_u32_e32 0x7f, v2
	s_cbranch_execz .LBB356_481
; %bb.478:                              ;   in Loop: Header=BB356_16 Depth=1
	v_and_b32_e32 v7, 7, v0
	v_lshrrev_b32_e32 v1, 3, v2
	v_mov_b32_e32 v36, v8
	s_mov_b32 s24, exec_lo
	s_delay_alu instid0(VALU_DEP_3)
	v_mov_b32_e32 v35, v7
	v_cmpx_gt_u32_e32 8, v2
; %bb.479:                              ;   in Loop: Header=BB356_16 Depth=1
	v_clz_i32_u32_e32 v1, v7
	s_delay_alu instid0(VALU_DEP_1) | instskip(NEXT) | instid1(VALU_DEP_1)
	v_min_u32_e32 v1, 32, v1
	v_subrev_nc_u32_e32 v2, 28, v1
	v_sub_nc_u32_e32 v1, 29, v1
	s_delay_alu instid0(VALU_DEP_2) | instskip(NEXT) | instid1(VALU_DEP_1)
	v_lshlrev_b64 v[2:3], v2, v[7:8]
	v_and_b32_e32 v35, 7, v2
; %bb.480:                              ;   in Loop: Header=BB356_16 Depth=1
	s_or_b32 exec_lo, exec_lo, s24
	v_lshlrev_b32_e32 v0, 8, v0
	v_lshl_add_u32 v1, v1, 10, 0x2000
	s_delay_alu instid0(VALU_DEP_1) | instskip(NEXT) | instid1(VALU_DEP_1)
	v_and_or_b32 v0, 0x8000, v0, v1
	v_lshl_or_b32 v0, v35, 7, v0
	s_delay_alu instid0(VALU_DEP_1)
	v_cvt_f32_f16_e32 v0, v0
	scratch_store_b32 off, v0, s32 offset:456 ; 4-byte Folded Spill
.LBB356_481:                            ;   in Loop: Header=BB356_16 Depth=1
	s_or_b32 exec_lo, exec_lo, s23
.LBB356_482:                            ;   in Loop: Header=BB356_16 Depth=1
	s_delay_alu instid0(SALU_CYCLE_1)
	s_or_b32 exec_lo, exec_lo, s22
.LBB356_483:                            ;   in Loop: Header=BB356_16 Depth=1
	s_delay_alu instid0(SALU_CYCLE_1) | instskip(SKIP_2) | instid1(VALU_DEP_1)
	s_or_b32 exec_lo, exec_lo, s21
	v_lshrrev_b32_e32 v0, 16, v33
	s_mov_b32 s21, exec_lo
	v_dual_mov_b32 v2, 0 :: v_dual_and_b32 v1, 0xff, v0
	scratch_store_b32 off, v2, s32 offset:460 ; 4-byte Folded Spill
	v_mov_b32_e32 v2, 0
	scratch_store_b32 off, v2, s32 offset:628 ; 4-byte Folded Spill
	v_cmpx_ne_u16_e32 0, v1
	s_cbranch_execz .LBB356_491
; %bb.484:                              ;   in Loop: Header=BB356_16 Depth=1
	v_cmp_ne_u16_e64 s1, 0x80, v1
	v_bfrev_b32_e32 v1, 1
	s_delay_alu instid0(VALU_DEP_2)
	s_and_saveexec_b32 s22, s1
	s_cbranch_execz .LBB356_490
; %bb.485:                              ;   in Loop: Header=BB356_16 Depth=1
	v_bfe_u32 v2, v33, 16, 7
	v_mov_b32_e32 v1, 0x7fc02000
	s_mov_b32 s23, exec_lo
	s_delay_alu instid0(VALU_DEP_2)
	v_cmpx_ne_u32_e32 0x7f, v2
	s_cbranch_execz .LBB356_489
; %bb.486:                              ;   in Loop: Header=BB356_16 Depth=1
	v_and_b32_e32 v7, 7, v0
	v_lshrrev_b32_e32 v1, 3, v2
	v_mov_b32_e32 v36, v8
	s_mov_b32 s24, exec_lo
	s_delay_alu instid0(VALU_DEP_3)
	v_mov_b32_e32 v35, v7
	v_cmpx_gt_u32_e32 8, v2
; %bb.487:                              ;   in Loop: Header=BB356_16 Depth=1
	v_clz_i32_u32_e32 v1, v7
	s_delay_alu instid0(VALU_DEP_1) | instskip(NEXT) | instid1(VALU_DEP_1)
	v_min_u32_e32 v1, 32, v1
	v_subrev_nc_u32_e32 v2, 28, v1
	v_sub_nc_u32_e32 v1, 29, v1
	s_delay_alu instid0(VALU_DEP_2) | instskip(NEXT) | instid1(VALU_DEP_1)
	v_lshlrev_b64 v[2:3], v2, v[7:8]
	v_and_b32_e32 v35, 7, v2
; %bb.488:                              ;   in Loop: Header=BB356_16 Depth=1
	s_or_b32 exec_lo, exec_lo, s24
	v_lshlrev_b32_e32 v0, 8, v0
	v_lshl_add_u32 v1, v1, 10, 0x2000
	s_delay_alu instid0(VALU_DEP_1) | instskip(NEXT) | instid1(VALU_DEP_1)
	v_and_or_b32 v0, 0x8000, v0, v1
	v_lshl_or_b32 v0, v35, 7, v0
	s_delay_alu instid0(VALU_DEP_1)
	v_cvt_f32_f16_e32 v1, v0
.LBB356_489:                            ;   in Loop: Header=BB356_16 Depth=1
	s_or_b32 exec_lo, exec_lo, s23
.LBB356_490:                            ;   in Loop: Header=BB356_16 Depth=1
	s_delay_alu instid0(SALU_CYCLE_1)
	s_or_b32 exec_lo, exec_lo, s22
	scratch_store_b32 off, v1, s32 offset:628 ; 4-byte Folded Spill
.LBB356_491:                            ;   in Loop: Header=BB356_16 Depth=1
	s_or_b32 exec_lo, exec_lo, s21
	s_delay_alu instid0(SALU_CYCLE_1)
	s_mov_b32 s21, exec_lo
	v_cmpx_lt_u32_e32 0xffffff, v33
	s_cbranch_execz .LBB356_499
; %bb.492:                              ;   in Loop: Header=BB356_16 Depth=1
	v_lshrrev_b32_e32 v0, 24, v33
	v_bfrev_b32_e32 v1, 1
	s_mov_b32 s22, exec_lo
	scratch_store_b32 off, v1, s32 offset:460 ; 4-byte Folded Spill
	v_cmpx_ne_u32_e32 0x80, v0
	s_cbranch_execz .LBB356_498
; %bb.493:                              ;   in Loop: Header=BB356_16 Depth=1
	v_and_b32_e32 v2, 0x7f, v0
	v_mov_b32_e32 v1, 0x7fc02000
	s_mov_b32 s23, exec_lo
	scratch_store_b32 off, v1, s32 offset:460 ; 4-byte Folded Spill
	v_cmpx_ne_u32_e32 0x7f, v2
	s_cbranch_execz .LBB356_497
; %bb.494:                              ;   in Loop: Header=BB356_16 Depth=1
	v_and_b32_e32 v7, 7, v0
	v_lshrrev_b32_e32 v1, 3, v2
	v_mov_b32_e32 v36, v8
	s_mov_b32 s24, exec_lo
	s_delay_alu instid0(VALU_DEP_3)
	v_mov_b32_e32 v35, v7
	v_cmpx_gt_u32_e32 8, v2
; %bb.495:                              ;   in Loop: Header=BB356_16 Depth=1
	v_clz_i32_u32_e32 v1, v7
	s_delay_alu instid0(VALU_DEP_1) | instskip(NEXT) | instid1(VALU_DEP_1)
	v_min_u32_e32 v1, 32, v1
	v_subrev_nc_u32_e32 v2, 28, v1
	v_sub_nc_u32_e32 v1, 29, v1
	s_delay_alu instid0(VALU_DEP_2) | instskip(NEXT) | instid1(VALU_DEP_1)
	v_lshlrev_b64 v[2:3], v2, v[7:8]
	v_and_b32_e32 v35, 7, v2
; %bb.496:                              ;   in Loop: Header=BB356_16 Depth=1
	s_or_b32 exec_lo, exec_lo, s24
	v_lshlrev_b32_e32 v0, 8, v0
	v_lshl_add_u32 v1, v1, 10, 0x2000
	s_delay_alu instid0(VALU_DEP_1) | instskip(NEXT) | instid1(VALU_DEP_1)
	v_and_or_b32 v0, 0x8000, v0, v1
	v_lshl_or_b32 v0, v35, 7, v0
	s_delay_alu instid0(VALU_DEP_1)
	v_cvt_f32_f16_e32 v0, v0
	scratch_store_b32 off, v0, s32 offset:460 ; 4-byte Folded Spill
.LBB356_497:                            ;   in Loop: Header=BB356_16 Depth=1
	s_or_b32 exec_lo, exec_lo, s23
.LBB356_498:                            ;   in Loop: Header=BB356_16 Depth=1
	s_delay_alu instid0(SALU_CYCLE_1)
	s_or_b32 exec_lo, exec_lo, s22
.LBB356_499:                            ;   in Loop: Header=BB356_16 Depth=1
	s_delay_alu instid0(SALU_CYCLE_1)
	s_or_b32 exec_lo, exec_lo, s21
	v_dual_mov_b32 v1, 0 :: v_dual_and_b32 v0, 0xff, v34
	v_mov_b32_e32 v7, v34
	s_mov_b32 s21, exec_lo
	scratch_store_b32 off, v1, s32 offset:464 ; 4-byte Folded Spill
	v_mov_b32_e32 v1, 0
	scratch_store_b32 off, v1, s32 offset:632 ; 4-byte Folded Spill
	v_cmpx_ne_u16_e32 0, v0
	s_cbranch_execz .LBB356_507
; %bb.500:                              ;   in Loop: Header=BB356_16 Depth=1
	v_cmp_ne_u16_e64 s1, 0x80, v0
	v_bfrev_b32_e32 v0, 1
	s_delay_alu instid0(VALU_DEP_2)
	s_and_saveexec_b32 s22, s1
	s_cbranch_execz .LBB356_506
; %bb.501:                              ;   in Loop: Header=BB356_16 Depth=1
	v_and_b32_e32 v1, 0x7f, v34
	v_mov_b32_e32 v0, 0x7fc02000
	s_mov_b32 s23, exec_lo
	s_delay_alu instid0(VALU_DEP_2)
	v_cmpx_ne_u32_e32 0x7f, v1
	s_cbranch_execz .LBB356_505
; %bb.502:                              ;   in Loop: Header=BB356_16 Depth=1
	v_lshrrev_b32_e32 v0, 3, v1
	v_dual_mov_b32 v36, v8 :: v_dual_mov_b32 v35, v7
	s_mov_b32 s24, exec_lo
	v_cmpx_gt_u32_e32 8, v1
; %bb.503:                              ;   in Loop: Header=BB356_16 Depth=1
	v_and_b32_e32 v0, 7, v34
	s_delay_alu instid0(VALU_DEP_1) | instskip(NEXT) | instid1(VALU_DEP_1)
	v_clz_i32_u32_e32 v0, v0
	v_min_u32_e32 v0, 32, v0
	s_delay_alu instid0(VALU_DEP_1) | instskip(SKIP_1) | instid1(VALU_DEP_2)
	v_subrev_nc_u32_e32 v1, 28, v0
	v_sub_nc_u32_e32 v0, 29, v0
	v_lshlrev_b64 v[35:36], v1, v[7:8]
; %bb.504:                              ;   in Loop: Header=BB356_16 Depth=1
	s_or_b32 exec_lo, exec_lo, s24
	v_lshlrev_b32_e32 v1, 8, v34
	s_delay_alu instid0(VALU_DEP_3) | instskip(NEXT) | instid1(VALU_DEP_3)
	v_lshl_add_u32 v0, v0, 10, 0x2000
	v_lshlrev_b32_e32 v2, 7, v35
	s_delay_alu instid0(VALU_DEP_2) | instskip(NEXT) | instid1(VALU_DEP_1)
	v_and_or_b32 v0, 0x8000, v1, v0
	v_and_or_b32 v0, 0x380, v2, v0
	s_delay_alu instid0(VALU_DEP_1)
	v_cvt_f32_f16_e32 v0, v0
.LBB356_505:                            ;   in Loop: Header=BB356_16 Depth=1
	s_or_b32 exec_lo, exec_lo, s23
.LBB356_506:                            ;   in Loop: Header=BB356_16 Depth=1
	s_delay_alu instid0(SALU_CYCLE_1)
	s_or_b32 exec_lo, exec_lo, s22
	scratch_store_b32 off, v0, s32 offset:632 ; 4-byte Folded Spill
.LBB356_507:                            ;   in Loop: Header=BB356_16 Depth=1
	s_or_b32 exec_lo, exec_lo, s21
	v_lshrrev_b16 v0, 8, v7
	s_mov_b32 s21, exec_lo
	s_delay_alu instid0(VALU_DEP_1)
	v_cmpx_ne_u16_e32 0, v0
	s_cbranch_execz .LBB356_515
; %bb.508:                              ;   in Loop: Header=BB356_16 Depth=1
	v_bfrev_b32_e32 v1, 1
	s_mov_b32 s22, exec_lo
	scratch_store_b32 off, v1, s32 offset:464 ; 4-byte Folded Spill
	v_cmpx_ne_u16_e32 0x80, v0
	s_cbranch_execz .LBB356_514
; %bb.509:                              ;   in Loop: Header=BB356_16 Depth=1
	v_and_b32_e32 v0, 0xffff, v0
	v_mov_b32_e32 v1, 0x7fc02000
	s_mov_b32 s23, exec_lo
	s_delay_alu instid0(VALU_DEP_2)
	v_and_b32_e32 v2, 0x7f, v0
	scratch_store_b32 off, v1, s32 offset:464 ; 4-byte Folded Spill
	v_cmpx_ne_u32_e32 0x7f, v2
	s_cbranch_execz .LBB356_513
; %bb.510:                              ;   in Loop: Header=BB356_16 Depth=1
	v_and_b32_e32 v7, 7, v0
	v_lshrrev_b32_e32 v1, 3, v2
	v_mov_b32_e32 v36, v8
	s_mov_b32 s24, exec_lo
	s_delay_alu instid0(VALU_DEP_3)
	v_mov_b32_e32 v35, v7
	v_cmpx_gt_u32_e32 8, v2
; %bb.511:                              ;   in Loop: Header=BB356_16 Depth=1
	v_clz_i32_u32_e32 v1, v7
	s_delay_alu instid0(VALU_DEP_1) | instskip(NEXT) | instid1(VALU_DEP_1)
	v_min_u32_e32 v1, 32, v1
	v_subrev_nc_u32_e32 v2, 28, v1
	v_sub_nc_u32_e32 v1, 29, v1
	s_delay_alu instid0(VALU_DEP_2) | instskip(NEXT) | instid1(VALU_DEP_1)
	v_lshlrev_b64 v[2:3], v2, v[7:8]
	v_and_b32_e32 v35, 7, v2
; %bb.512:                              ;   in Loop: Header=BB356_16 Depth=1
	s_or_b32 exec_lo, exec_lo, s24
	v_lshlrev_b32_e32 v0, 8, v0
	v_lshl_add_u32 v1, v1, 10, 0x2000
	s_delay_alu instid0(VALU_DEP_1) | instskip(NEXT) | instid1(VALU_DEP_1)
	v_and_or_b32 v0, 0x8000, v0, v1
	v_lshl_or_b32 v0, v35, 7, v0
	s_delay_alu instid0(VALU_DEP_1)
	v_cvt_f32_f16_e32 v0, v0
	scratch_store_b32 off, v0, s32 offset:464 ; 4-byte Folded Spill
.LBB356_513:                            ;   in Loop: Header=BB356_16 Depth=1
	s_or_b32 exec_lo, exec_lo, s23
.LBB356_514:                            ;   in Loop: Header=BB356_16 Depth=1
	s_delay_alu instid0(SALU_CYCLE_1)
	s_or_b32 exec_lo, exec_lo, s22
.LBB356_515:                            ;   in Loop: Header=BB356_16 Depth=1
	s_delay_alu instid0(SALU_CYCLE_1) | instskip(SKIP_2) | instid1(VALU_DEP_1)
	s_or_b32 exec_lo, exec_lo, s21
	v_lshrrev_b32_e32 v0, 16, v34
	s_mov_b32 s21, exec_lo
	v_dual_mov_b32 v2, 0 :: v_dual_and_b32 v1, 0xff, v0
	scratch_store_b32 off, v2, s32 offset:468 ; 4-byte Folded Spill
	v_mov_b32_e32 v2, 0
	scratch_store_b32 off, v2, s32 offset:636 ; 4-byte Folded Spill
	v_cmpx_ne_u16_e32 0, v1
	s_cbranch_execz .LBB356_523
; %bb.516:                              ;   in Loop: Header=BB356_16 Depth=1
	v_cmp_ne_u16_e64 s1, 0x80, v1
	v_bfrev_b32_e32 v1, 1
	s_delay_alu instid0(VALU_DEP_2)
	s_and_saveexec_b32 s22, s1
	s_cbranch_execz .LBB356_522
; %bb.517:                              ;   in Loop: Header=BB356_16 Depth=1
	v_bfe_u32 v2, v34, 16, 7
	v_mov_b32_e32 v1, 0x7fc02000
	s_mov_b32 s23, exec_lo
	s_delay_alu instid0(VALU_DEP_2)
	v_cmpx_ne_u32_e32 0x7f, v2
	s_cbranch_execz .LBB356_521
; %bb.518:                              ;   in Loop: Header=BB356_16 Depth=1
	v_and_b32_e32 v7, 7, v0
	v_lshrrev_b32_e32 v1, 3, v2
	v_mov_b32_e32 v36, v8
	s_mov_b32 s24, exec_lo
	s_delay_alu instid0(VALU_DEP_3)
	v_mov_b32_e32 v35, v7
	v_cmpx_gt_u32_e32 8, v2
; %bb.519:                              ;   in Loop: Header=BB356_16 Depth=1
	v_clz_i32_u32_e32 v1, v7
	s_delay_alu instid0(VALU_DEP_1) | instskip(NEXT) | instid1(VALU_DEP_1)
	v_min_u32_e32 v1, 32, v1
	v_subrev_nc_u32_e32 v2, 28, v1
	v_sub_nc_u32_e32 v1, 29, v1
	s_delay_alu instid0(VALU_DEP_2) | instskip(NEXT) | instid1(VALU_DEP_1)
	v_lshlrev_b64 v[2:3], v2, v[7:8]
	v_and_b32_e32 v35, 7, v2
; %bb.520:                              ;   in Loop: Header=BB356_16 Depth=1
	s_or_b32 exec_lo, exec_lo, s24
	v_lshlrev_b32_e32 v0, 8, v0
	v_lshl_add_u32 v1, v1, 10, 0x2000
	s_delay_alu instid0(VALU_DEP_1) | instskip(NEXT) | instid1(VALU_DEP_1)
	v_and_or_b32 v0, 0x8000, v0, v1
	v_lshl_or_b32 v0, v35, 7, v0
	s_delay_alu instid0(VALU_DEP_1)
	v_cvt_f32_f16_e32 v1, v0
.LBB356_521:                            ;   in Loop: Header=BB356_16 Depth=1
	s_or_b32 exec_lo, exec_lo, s23
.LBB356_522:                            ;   in Loop: Header=BB356_16 Depth=1
	s_delay_alu instid0(SALU_CYCLE_1)
	s_or_b32 exec_lo, exec_lo, s22
	scratch_store_b32 off, v1, s32 offset:636 ; 4-byte Folded Spill
.LBB356_523:                            ;   in Loop: Header=BB356_16 Depth=1
	s_or_b32 exec_lo, exec_lo, s21
	s_delay_alu instid0(SALU_CYCLE_1)
	s_mov_b32 s21, exec_lo
	v_cmpx_lt_u64_e64 s[8:9], v[33:34]
	s_cbranch_execz .LBB356_531
; %bb.524:                              ;   in Loop: Header=BB356_16 Depth=1
	v_lshrrev_b32_e32 v0, 24, v34
	v_bfrev_b32_e32 v1, 1
	s_mov_b32 s22, exec_lo
	scratch_store_b32 off, v1, s32 offset:468 ; 4-byte Folded Spill
	v_cmpx_ne_u32_e32 0x80, v0
	s_cbranch_execz .LBB356_530
; %bb.525:                              ;   in Loop: Header=BB356_16 Depth=1
	v_and_b32_e32 v2, 0x7f, v0
	v_mov_b32_e32 v1, 0x7fc02000
	s_mov_b32 s23, exec_lo
	scratch_store_b32 off, v1, s32 offset:468 ; 4-byte Folded Spill
	v_cmpx_ne_u32_e32 0x7f, v2
	s_cbranch_execz .LBB356_529
; %bb.526:                              ;   in Loop: Header=BB356_16 Depth=1
	v_and_b32_e32 v7, 7, v0
	v_lshrrev_b32_e32 v1, 3, v2
	v_mov_b32_e32 v34, v8
	s_mov_b32 s24, exec_lo
	s_delay_alu instid0(VALU_DEP_3)
	v_mov_b32_e32 v33, v7
	v_cmpx_gt_u32_e32 8, v2
; %bb.527:                              ;   in Loop: Header=BB356_16 Depth=1
	v_clz_i32_u32_e32 v1, v7
	s_delay_alu instid0(VALU_DEP_1) | instskip(NEXT) | instid1(VALU_DEP_1)
	v_min_u32_e32 v1, 32, v1
	v_subrev_nc_u32_e32 v2, 28, v1
	v_sub_nc_u32_e32 v1, 29, v1
	s_delay_alu instid0(VALU_DEP_2) | instskip(NEXT) | instid1(VALU_DEP_1)
	v_lshlrev_b64 v[2:3], v2, v[7:8]
	v_and_b32_e32 v33, 7, v2
; %bb.528:                              ;   in Loop: Header=BB356_16 Depth=1
	s_or_b32 exec_lo, exec_lo, s24
	v_lshlrev_b32_e32 v0, 8, v0
	v_lshl_add_u32 v1, v1, 10, 0x2000
	s_delay_alu instid0(VALU_DEP_1) | instskip(NEXT) | instid1(VALU_DEP_1)
	v_and_or_b32 v0, 0x8000, v0, v1
	v_lshl_or_b32 v0, v33, 7, v0
	s_delay_alu instid0(VALU_DEP_1)
	v_cvt_f32_f16_e32 v0, v0
	scratch_store_b32 off, v0, s32 offset:468 ; 4-byte Folded Spill
.LBB356_529:                            ;   in Loop: Header=BB356_16 Depth=1
	s_or_b32 exec_lo, exec_lo, s23
.LBB356_530:                            ;   in Loop: Header=BB356_16 Depth=1
	s_delay_alu instid0(SALU_CYCLE_1)
	s_or_b32 exec_lo, exec_lo, s22
.LBB356_531:                            ;   in Loop: Header=BB356_16 Depth=1
	s_delay_alu instid0(SALU_CYCLE_1)
	s_or_b32 exec_lo, exec_lo, s21
	flat_load_b64 v[33:34], v[31:32] offset:2048
	s_mov_b32 s21, exec_lo
	v_mov_b32_e32 v1, 0
	scratch_store_b32 off, v1, s32 offset:472 ; 4-byte Folded Spill
	v_mov_b32_e32 v1, 0
	scratch_store_b32 off, v1, s32 offset:640 ; 4-byte Folded Spill
	s_waitcnt vmcnt(0) lgkmcnt(0)
	v_and_b32_e32 v0, 0xff, v33
	s_delay_alu instid0(VALU_DEP_1)
	v_cmpx_ne_u16_e32 0, v0
	s_cbranch_execz .LBB356_539
; %bb.532:                              ;   in Loop: Header=BB356_16 Depth=1
	v_cmp_ne_u16_e64 s1, 0x80, v0
	v_bfrev_b32_e32 v0, 1
	s_delay_alu instid0(VALU_DEP_2)
	s_and_saveexec_b32 s22, s1
	s_cbranch_execz .LBB356_538
; %bb.533:                              ;   in Loop: Header=BB356_16 Depth=1
	v_and_b32_e32 v1, 0x7f, v33
	v_mov_b32_e32 v0, 0x7fc02000
	s_mov_b32 s23, exec_lo
	s_delay_alu instid0(VALU_DEP_2)
	v_cmpx_ne_u32_e32 0x7f, v1
	s_cbranch_execz .LBB356_537
; %bb.534:                              ;   in Loop: Header=BB356_16 Depth=1
	v_lshrrev_b32_e32 v0, 3, v1
	v_dual_mov_b32 v36, v34 :: v_dual_mov_b32 v35, v33
	s_mov_b32 s24, exec_lo
	v_cmpx_gt_u32_e32 8, v1
; %bb.535:                              ;   in Loop: Header=BB356_16 Depth=1
	v_and_b32_e32 v0, 7, v33
	s_delay_alu instid0(VALU_DEP_1) | instskip(NEXT) | instid1(VALU_DEP_1)
	v_clz_i32_u32_e32 v0, v0
	v_min_u32_e32 v0, 32, v0
	s_delay_alu instid0(VALU_DEP_1) | instskip(SKIP_1) | instid1(VALU_DEP_2)
	v_subrev_nc_u32_e32 v1, 28, v0
	v_sub_nc_u32_e32 v0, 29, v0
	v_lshlrev_b64 v[35:36], v1, v[33:34]
; %bb.536:                              ;   in Loop: Header=BB356_16 Depth=1
	s_or_b32 exec_lo, exec_lo, s24
	v_lshlrev_b32_e32 v1, 8, v33
	s_delay_alu instid0(VALU_DEP_3) | instskip(NEXT) | instid1(VALU_DEP_3)
	v_lshl_add_u32 v0, v0, 10, 0x2000
	v_lshlrev_b32_e32 v2, 7, v35
	s_delay_alu instid0(VALU_DEP_2) | instskip(NEXT) | instid1(VALU_DEP_1)
	v_and_or_b32 v0, 0x8000, v1, v0
	v_and_or_b32 v0, 0x380, v2, v0
	s_delay_alu instid0(VALU_DEP_1)
	v_cvt_f32_f16_e32 v0, v0
.LBB356_537:                            ;   in Loop: Header=BB356_16 Depth=1
	s_or_b32 exec_lo, exec_lo, s23
.LBB356_538:                            ;   in Loop: Header=BB356_16 Depth=1
	s_delay_alu instid0(SALU_CYCLE_1)
	s_or_b32 exec_lo, exec_lo, s22
	scratch_store_b32 off, v0, s32 offset:640 ; 4-byte Folded Spill
.LBB356_539:                            ;   in Loop: Header=BB356_16 Depth=1
	s_or_b32 exec_lo, exec_lo, s21
	v_lshrrev_b16 v0, 8, v33
	s_mov_b32 s21, exec_lo
	s_delay_alu instid0(VALU_DEP_1)
	v_cmpx_ne_u16_e32 0, v0
	s_cbranch_execz .LBB356_547
; %bb.540:                              ;   in Loop: Header=BB356_16 Depth=1
	v_bfrev_b32_e32 v1, 1
	s_mov_b32 s22, exec_lo
	scratch_store_b32 off, v1, s32 offset:472 ; 4-byte Folded Spill
	v_cmpx_ne_u16_e32 0x80, v0
	s_cbranch_execz .LBB356_546
; %bb.541:                              ;   in Loop: Header=BB356_16 Depth=1
	v_and_b32_e32 v0, 0xffff, v0
	v_mov_b32_e32 v1, 0x7fc02000
	s_mov_b32 s23, exec_lo
	s_delay_alu instid0(VALU_DEP_2)
	v_and_b32_e32 v2, 0x7f, v0
	scratch_store_b32 off, v1, s32 offset:472 ; 4-byte Folded Spill
	v_cmpx_ne_u32_e32 0x7f, v2
	s_cbranch_execz .LBB356_545
; %bb.542:                              ;   in Loop: Header=BB356_16 Depth=1
	v_and_b32_e32 v7, 7, v0
	v_lshrrev_b32_e32 v1, 3, v2
	v_mov_b32_e32 v36, v8
	s_mov_b32 s24, exec_lo
	s_delay_alu instid0(VALU_DEP_3)
	v_mov_b32_e32 v35, v7
	v_cmpx_gt_u32_e32 8, v2
; %bb.543:                              ;   in Loop: Header=BB356_16 Depth=1
	v_clz_i32_u32_e32 v1, v7
	s_delay_alu instid0(VALU_DEP_1) | instskip(NEXT) | instid1(VALU_DEP_1)
	v_min_u32_e32 v1, 32, v1
	v_subrev_nc_u32_e32 v2, 28, v1
	v_sub_nc_u32_e32 v1, 29, v1
	s_delay_alu instid0(VALU_DEP_2) | instskip(NEXT) | instid1(VALU_DEP_1)
	v_lshlrev_b64 v[2:3], v2, v[7:8]
	v_and_b32_e32 v35, 7, v2
; %bb.544:                              ;   in Loop: Header=BB356_16 Depth=1
	s_or_b32 exec_lo, exec_lo, s24
	v_lshlrev_b32_e32 v0, 8, v0
	v_lshl_add_u32 v1, v1, 10, 0x2000
	s_delay_alu instid0(VALU_DEP_1) | instskip(NEXT) | instid1(VALU_DEP_1)
	v_and_or_b32 v0, 0x8000, v0, v1
	v_lshl_or_b32 v0, v35, 7, v0
	s_delay_alu instid0(VALU_DEP_1)
	v_cvt_f32_f16_e32 v0, v0
	scratch_store_b32 off, v0, s32 offset:472 ; 4-byte Folded Spill
.LBB356_545:                            ;   in Loop: Header=BB356_16 Depth=1
	s_or_b32 exec_lo, exec_lo, s23
.LBB356_546:                            ;   in Loop: Header=BB356_16 Depth=1
	s_delay_alu instid0(SALU_CYCLE_1)
	s_or_b32 exec_lo, exec_lo, s22
.LBB356_547:                            ;   in Loop: Header=BB356_16 Depth=1
	s_delay_alu instid0(SALU_CYCLE_1) | instskip(SKIP_2) | instid1(VALU_DEP_1)
	s_or_b32 exec_lo, exec_lo, s21
	v_lshrrev_b32_e32 v0, 16, v33
	s_mov_b32 s21, exec_lo
	v_dual_mov_b32 v2, 0 :: v_dual_and_b32 v1, 0xff, v0
	scratch_store_b32 off, v2, s32 offset:476 ; 4-byte Folded Spill
	v_mov_b32_e32 v2, 0
	scratch_store_b32 off, v2, s32 offset:644 ; 4-byte Folded Spill
	v_cmpx_ne_u16_e32 0, v1
	s_cbranch_execz .LBB356_555
; %bb.548:                              ;   in Loop: Header=BB356_16 Depth=1
	v_cmp_ne_u16_e64 s1, 0x80, v1
	v_bfrev_b32_e32 v1, 1
	s_delay_alu instid0(VALU_DEP_2)
	s_and_saveexec_b32 s22, s1
	s_cbranch_execz .LBB356_554
; %bb.549:                              ;   in Loop: Header=BB356_16 Depth=1
	v_bfe_u32 v2, v33, 16, 7
	v_mov_b32_e32 v1, 0x7fc02000
	s_mov_b32 s23, exec_lo
	s_delay_alu instid0(VALU_DEP_2)
	v_cmpx_ne_u32_e32 0x7f, v2
	s_cbranch_execz .LBB356_553
; %bb.550:                              ;   in Loop: Header=BB356_16 Depth=1
	v_and_b32_e32 v7, 7, v0
	v_lshrrev_b32_e32 v1, 3, v2
	v_mov_b32_e32 v36, v8
	s_mov_b32 s24, exec_lo
	s_delay_alu instid0(VALU_DEP_3)
	v_mov_b32_e32 v35, v7
	v_cmpx_gt_u32_e32 8, v2
; %bb.551:                              ;   in Loop: Header=BB356_16 Depth=1
	v_clz_i32_u32_e32 v1, v7
	s_delay_alu instid0(VALU_DEP_1) | instskip(NEXT) | instid1(VALU_DEP_1)
	v_min_u32_e32 v1, 32, v1
	v_subrev_nc_u32_e32 v2, 28, v1
	v_sub_nc_u32_e32 v1, 29, v1
	s_delay_alu instid0(VALU_DEP_2) | instskip(NEXT) | instid1(VALU_DEP_1)
	v_lshlrev_b64 v[2:3], v2, v[7:8]
	v_and_b32_e32 v35, 7, v2
; %bb.552:                              ;   in Loop: Header=BB356_16 Depth=1
	s_or_b32 exec_lo, exec_lo, s24
	v_lshlrev_b32_e32 v0, 8, v0
	v_lshl_add_u32 v1, v1, 10, 0x2000
	s_delay_alu instid0(VALU_DEP_1) | instskip(NEXT) | instid1(VALU_DEP_1)
	v_and_or_b32 v0, 0x8000, v0, v1
	v_lshl_or_b32 v0, v35, 7, v0
	s_delay_alu instid0(VALU_DEP_1)
	v_cvt_f32_f16_e32 v1, v0
.LBB356_553:                            ;   in Loop: Header=BB356_16 Depth=1
	s_or_b32 exec_lo, exec_lo, s23
.LBB356_554:                            ;   in Loop: Header=BB356_16 Depth=1
	s_delay_alu instid0(SALU_CYCLE_1)
	s_or_b32 exec_lo, exec_lo, s22
	scratch_store_b32 off, v1, s32 offset:644 ; 4-byte Folded Spill
.LBB356_555:                            ;   in Loop: Header=BB356_16 Depth=1
	s_or_b32 exec_lo, exec_lo, s21
	s_delay_alu instid0(SALU_CYCLE_1)
	s_mov_b32 s21, exec_lo
	v_cmpx_lt_u32_e32 0xffffff, v33
	s_cbranch_execz .LBB356_563
; %bb.556:                              ;   in Loop: Header=BB356_16 Depth=1
	v_lshrrev_b32_e32 v0, 24, v33
	v_bfrev_b32_e32 v1, 1
	s_mov_b32 s22, exec_lo
	scratch_store_b32 off, v1, s32 offset:476 ; 4-byte Folded Spill
	v_cmpx_ne_u32_e32 0x80, v0
	s_cbranch_execz .LBB356_562
; %bb.557:                              ;   in Loop: Header=BB356_16 Depth=1
	v_and_b32_e32 v2, 0x7f, v0
	v_mov_b32_e32 v1, 0x7fc02000
	s_mov_b32 s23, exec_lo
	scratch_store_b32 off, v1, s32 offset:476 ; 4-byte Folded Spill
	v_cmpx_ne_u32_e32 0x7f, v2
	s_cbranch_execz .LBB356_561
; %bb.558:                              ;   in Loop: Header=BB356_16 Depth=1
	v_and_b32_e32 v7, 7, v0
	v_lshrrev_b32_e32 v1, 3, v2
	v_mov_b32_e32 v36, v8
	s_mov_b32 s24, exec_lo
	s_delay_alu instid0(VALU_DEP_3)
	v_mov_b32_e32 v35, v7
	v_cmpx_gt_u32_e32 8, v2
; %bb.559:                              ;   in Loop: Header=BB356_16 Depth=1
	v_clz_i32_u32_e32 v1, v7
	s_delay_alu instid0(VALU_DEP_1) | instskip(NEXT) | instid1(VALU_DEP_1)
	v_min_u32_e32 v1, 32, v1
	v_subrev_nc_u32_e32 v2, 28, v1
	v_sub_nc_u32_e32 v1, 29, v1
	s_delay_alu instid0(VALU_DEP_2) | instskip(NEXT) | instid1(VALU_DEP_1)
	v_lshlrev_b64 v[2:3], v2, v[7:8]
	v_and_b32_e32 v35, 7, v2
; %bb.560:                              ;   in Loop: Header=BB356_16 Depth=1
	s_or_b32 exec_lo, exec_lo, s24
	v_lshlrev_b32_e32 v0, 8, v0
	v_lshl_add_u32 v1, v1, 10, 0x2000
	s_delay_alu instid0(VALU_DEP_1) | instskip(NEXT) | instid1(VALU_DEP_1)
	v_and_or_b32 v0, 0x8000, v0, v1
	v_lshl_or_b32 v0, v35, 7, v0
	s_delay_alu instid0(VALU_DEP_1)
	v_cvt_f32_f16_e32 v0, v0
	scratch_store_b32 off, v0, s32 offset:476 ; 4-byte Folded Spill
.LBB356_561:                            ;   in Loop: Header=BB356_16 Depth=1
	s_or_b32 exec_lo, exec_lo, s23
.LBB356_562:                            ;   in Loop: Header=BB356_16 Depth=1
	s_delay_alu instid0(SALU_CYCLE_1)
	s_or_b32 exec_lo, exec_lo, s22
.LBB356_563:                            ;   in Loop: Header=BB356_16 Depth=1
	s_delay_alu instid0(SALU_CYCLE_1)
	s_or_b32 exec_lo, exec_lo, s21
	v_dual_mov_b32 v1, 0 :: v_dual_and_b32 v0, 0xff, v34
	v_mov_b32_e32 v7, v34
	s_mov_b32 s21, exec_lo
	scratch_store_b32 off, v1, s32 offset:480 ; 4-byte Folded Spill
	v_mov_b32_e32 v1, 0
	scratch_store_b32 off, v1, s32 offset:648 ; 4-byte Folded Spill
	v_cmpx_ne_u16_e32 0, v0
	s_cbranch_execz .LBB356_571
; %bb.564:                              ;   in Loop: Header=BB356_16 Depth=1
	v_cmp_ne_u16_e64 s1, 0x80, v0
	v_bfrev_b32_e32 v0, 1
	s_delay_alu instid0(VALU_DEP_2)
	s_and_saveexec_b32 s22, s1
	s_cbranch_execz .LBB356_570
; %bb.565:                              ;   in Loop: Header=BB356_16 Depth=1
	v_and_b32_e32 v1, 0x7f, v34
	v_mov_b32_e32 v0, 0x7fc02000
	s_mov_b32 s23, exec_lo
	s_delay_alu instid0(VALU_DEP_2)
	v_cmpx_ne_u32_e32 0x7f, v1
	s_cbranch_execz .LBB356_569
; %bb.566:                              ;   in Loop: Header=BB356_16 Depth=1
	v_lshrrev_b32_e32 v0, 3, v1
	v_dual_mov_b32 v36, v8 :: v_dual_mov_b32 v35, v7
	s_mov_b32 s24, exec_lo
	v_cmpx_gt_u32_e32 8, v1
; %bb.567:                              ;   in Loop: Header=BB356_16 Depth=1
	v_and_b32_e32 v0, 7, v34
	s_delay_alu instid0(VALU_DEP_1) | instskip(NEXT) | instid1(VALU_DEP_1)
	v_clz_i32_u32_e32 v0, v0
	v_min_u32_e32 v0, 32, v0
	s_delay_alu instid0(VALU_DEP_1) | instskip(SKIP_1) | instid1(VALU_DEP_2)
	v_subrev_nc_u32_e32 v1, 28, v0
	v_sub_nc_u32_e32 v0, 29, v0
	v_lshlrev_b64 v[35:36], v1, v[7:8]
; %bb.568:                              ;   in Loop: Header=BB356_16 Depth=1
	s_or_b32 exec_lo, exec_lo, s24
	v_lshlrev_b32_e32 v1, 8, v34
	s_delay_alu instid0(VALU_DEP_3) | instskip(NEXT) | instid1(VALU_DEP_3)
	v_lshl_add_u32 v0, v0, 10, 0x2000
	v_lshlrev_b32_e32 v2, 7, v35
	s_delay_alu instid0(VALU_DEP_2) | instskip(NEXT) | instid1(VALU_DEP_1)
	v_and_or_b32 v0, 0x8000, v1, v0
	v_and_or_b32 v0, 0x380, v2, v0
	s_delay_alu instid0(VALU_DEP_1)
	v_cvt_f32_f16_e32 v0, v0
.LBB356_569:                            ;   in Loop: Header=BB356_16 Depth=1
	s_or_b32 exec_lo, exec_lo, s23
.LBB356_570:                            ;   in Loop: Header=BB356_16 Depth=1
	s_delay_alu instid0(SALU_CYCLE_1)
	s_or_b32 exec_lo, exec_lo, s22
	scratch_store_b32 off, v0, s32 offset:648 ; 4-byte Folded Spill
.LBB356_571:                            ;   in Loop: Header=BB356_16 Depth=1
	s_or_b32 exec_lo, exec_lo, s21
	v_lshrrev_b16 v0, 8, v7
	s_mov_b32 s21, exec_lo
	s_delay_alu instid0(VALU_DEP_1)
	v_cmpx_ne_u16_e32 0, v0
	s_cbranch_execz .LBB356_579
; %bb.572:                              ;   in Loop: Header=BB356_16 Depth=1
	v_bfrev_b32_e32 v1, 1
	s_mov_b32 s22, exec_lo
	scratch_store_b32 off, v1, s32 offset:480 ; 4-byte Folded Spill
	v_cmpx_ne_u16_e32 0x80, v0
	s_cbranch_execz .LBB356_578
; %bb.573:                              ;   in Loop: Header=BB356_16 Depth=1
	v_and_b32_e32 v0, 0xffff, v0
	v_mov_b32_e32 v1, 0x7fc02000
	s_mov_b32 s23, exec_lo
	s_delay_alu instid0(VALU_DEP_2)
	v_and_b32_e32 v2, 0x7f, v0
	scratch_store_b32 off, v1, s32 offset:480 ; 4-byte Folded Spill
	v_cmpx_ne_u32_e32 0x7f, v2
	s_cbranch_execz .LBB356_577
; %bb.574:                              ;   in Loop: Header=BB356_16 Depth=1
	v_and_b32_e32 v7, 7, v0
	v_lshrrev_b32_e32 v1, 3, v2
	v_mov_b32_e32 v36, v8
	s_mov_b32 s24, exec_lo
	s_delay_alu instid0(VALU_DEP_3)
	v_mov_b32_e32 v35, v7
	v_cmpx_gt_u32_e32 8, v2
; %bb.575:                              ;   in Loop: Header=BB356_16 Depth=1
	v_clz_i32_u32_e32 v1, v7
	s_delay_alu instid0(VALU_DEP_1) | instskip(NEXT) | instid1(VALU_DEP_1)
	v_min_u32_e32 v1, 32, v1
	v_subrev_nc_u32_e32 v2, 28, v1
	v_sub_nc_u32_e32 v1, 29, v1
	s_delay_alu instid0(VALU_DEP_2) | instskip(NEXT) | instid1(VALU_DEP_1)
	v_lshlrev_b64 v[2:3], v2, v[7:8]
	v_and_b32_e32 v35, 7, v2
; %bb.576:                              ;   in Loop: Header=BB356_16 Depth=1
	s_or_b32 exec_lo, exec_lo, s24
	v_lshlrev_b32_e32 v0, 8, v0
	v_lshl_add_u32 v1, v1, 10, 0x2000
	s_delay_alu instid0(VALU_DEP_1) | instskip(NEXT) | instid1(VALU_DEP_1)
	v_and_or_b32 v0, 0x8000, v0, v1
	v_lshl_or_b32 v0, v35, 7, v0
	s_delay_alu instid0(VALU_DEP_1)
	v_cvt_f32_f16_e32 v0, v0
	scratch_store_b32 off, v0, s32 offset:480 ; 4-byte Folded Spill
.LBB356_577:                            ;   in Loop: Header=BB356_16 Depth=1
	s_or_b32 exec_lo, exec_lo, s23
.LBB356_578:                            ;   in Loop: Header=BB356_16 Depth=1
	s_delay_alu instid0(SALU_CYCLE_1)
	s_or_b32 exec_lo, exec_lo, s22
.LBB356_579:                            ;   in Loop: Header=BB356_16 Depth=1
	s_delay_alu instid0(SALU_CYCLE_1) | instskip(SKIP_2) | instid1(VALU_DEP_1)
	s_or_b32 exec_lo, exec_lo, s21
	v_lshrrev_b32_e32 v0, 16, v34
	s_mov_b32 s21, exec_lo
	v_dual_mov_b32 v2, 0 :: v_dual_and_b32 v1, 0xff, v0
	scratch_store_b32 off, v2, s32 offset:484 ; 4-byte Folded Spill
	v_mov_b32_e32 v2, 0
	scratch_store_b32 off, v2, s32 offset:652 ; 4-byte Folded Spill
	v_cmpx_ne_u16_e32 0, v1
	s_cbranch_execz .LBB356_587
; %bb.580:                              ;   in Loop: Header=BB356_16 Depth=1
	v_cmp_ne_u16_e64 s1, 0x80, v1
	v_bfrev_b32_e32 v1, 1
	s_delay_alu instid0(VALU_DEP_2)
	s_and_saveexec_b32 s22, s1
	s_cbranch_execz .LBB356_586
; %bb.581:                              ;   in Loop: Header=BB356_16 Depth=1
	v_bfe_u32 v2, v34, 16, 7
	v_mov_b32_e32 v1, 0x7fc02000
	s_mov_b32 s23, exec_lo
	s_delay_alu instid0(VALU_DEP_2)
	v_cmpx_ne_u32_e32 0x7f, v2
	s_cbranch_execz .LBB356_585
; %bb.582:                              ;   in Loop: Header=BB356_16 Depth=1
	v_and_b32_e32 v7, 7, v0
	v_lshrrev_b32_e32 v1, 3, v2
	v_mov_b32_e32 v36, v8
	s_mov_b32 s24, exec_lo
	s_delay_alu instid0(VALU_DEP_3)
	v_mov_b32_e32 v35, v7
	v_cmpx_gt_u32_e32 8, v2
; %bb.583:                              ;   in Loop: Header=BB356_16 Depth=1
	v_clz_i32_u32_e32 v1, v7
	s_delay_alu instid0(VALU_DEP_1) | instskip(NEXT) | instid1(VALU_DEP_1)
	v_min_u32_e32 v1, 32, v1
	v_subrev_nc_u32_e32 v2, 28, v1
	v_sub_nc_u32_e32 v1, 29, v1
	s_delay_alu instid0(VALU_DEP_2) | instskip(NEXT) | instid1(VALU_DEP_1)
	v_lshlrev_b64 v[2:3], v2, v[7:8]
	v_and_b32_e32 v35, 7, v2
; %bb.584:                              ;   in Loop: Header=BB356_16 Depth=1
	s_or_b32 exec_lo, exec_lo, s24
	v_lshlrev_b32_e32 v0, 8, v0
	v_lshl_add_u32 v1, v1, 10, 0x2000
	s_delay_alu instid0(VALU_DEP_1) | instskip(NEXT) | instid1(VALU_DEP_1)
	v_and_or_b32 v0, 0x8000, v0, v1
	v_lshl_or_b32 v0, v35, 7, v0
	s_delay_alu instid0(VALU_DEP_1)
	v_cvt_f32_f16_e32 v1, v0
.LBB356_585:                            ;   in Loop: Header=BB356_16 Depth=1
	s_or_b32 exec_lo, exec_lo, s23
.LBB356_586:                            ;   in Loop: Header=BB356_16 Depth=1
	s_delay_alu instid0(SALU_CYCLE_1)
	s_or_b32 exec_lo, exec_lo, s22
	scratch_store_b32 off, v1, s32 offset:652 ; 4-byte Folded Spill
.LBB356_587:                            ;   in Loop: Header=BB356_16 Depth=1
	s_or_b32 exec_lo, exec_lo, s21
	s_delay_alu instid0(SALU_CYCLE_1)
	s_mov_b32 s21, exec_lo
	v_cmpx_lt_u64_e64 s[8:9], v[33:34]
	s_cbranch_execz .LBB356_595
; %bb.588:                              ;   in Loop: Header=BB356_16 Depth=1
	v_lshrrev_b32_e32 v0, 24, v34
	v_bfrev_b32_e32 v1, 1
	s_mov_b32 s22, exec_lo
	scratch_store_b32 off, v1, s32 offset:484 ; 4-byte Folded Spill
	v_cmpx_ne_u32_e32 0x80, v0
	s_cbranch_execz .LBB356_594
; %bb.589:                              ;   in Loop: Header=BB356_16 Depth=1
	v_and_b32_e32 v2, 0x7f, v0
	v_mov_b32_e32 v1, 0x7fc02000
	s_mov_b32 s23, exec_lo
	scratch_store_b32 off, v1, s32 offset:484 ; 4-byte Folded Spill
	v_cmpx_ne_u32_e32 0x7f, v2
	s_cbranch_execz .LBB356_593
; %bb.590:                              ;   in Loop: Header=BB356_16 Depth=1
	v_and_b32_e32 v7, 7, v0
	v_lshrrev_b32_e32 v1, 3, v2
	v_mov_b32_e32 v34, v8
	s_mov_b32 s24, exec_lo
	s_delay_alu instid0(VALU_DEP_3)
	v_mov_b32_e32 v33, v7
	v_cmpx_gt_u32_e32 8, v2
; %bb.591:                              ;   in Loop: Header=BB356_16 Depth=1
	v_clz_i32_u32_e32 v1, v7
	s_delay_alu instid0(VALU_DEP_1) | instskip(NEXT) | instid1(VALU_DEP_1)
	v_min_u32_e32 v1, 32, v1
	v_subrev_nc_u32_e32 v2, 28, v1
	v_sub_nc_u32_e32 v1, 29, v1
	s_delay_alu instid0(VALU_DEP_2) | instskip(NEXT) | instid1(VALU_DEP_1)
	v_lshlrev_b64 v[2:3], v2, v[7:8]
	v_and_b32_e32 v33, 7, v2
; %bb.592:                              ;   in Loop: Header=BB356_16 Depth=1
	s_or_b32 exec_lo, exec_lo, s24
	v_lshlrev_b32_e32 v0, 8, v0
	v_lshl_add_u32 v1, v1, 10, 0x2000
	s_delay_alu instid0(VALU_DEP_1) | instskip(NEXT) | instid1(VALU_DEP_1)
	v_and_or_b32 v0, 0x8000, v0, v1
	v_lshl_or_b32 v0, v33, 7, v0
	s_delay_alu instid0(VALU_DEP_1)
	v_cvt_f32_f16_e32 v0, v0
	scratch_store_b32 off, v0, s32 offset:484 ; 4-byte Folded Spill
.LBB356_593:                            ;   in Loop: Header=BB356_16 Depth=1
	s_or_b32 exec_lo, exec_lo, s23
.LBB356_594:                            ;   in Loop: Header=BB356_16 Depth=1
	s_delay_alu instid0(SALU_CYCLE_1)
	s_or_b32 exec_lo, exec_lo, s22
.LBB356_595:                            ;   in Loop: Header=BB356_16 Depth=1
	s_delay_alu instid0(SALU_CYCLE_1)
	s_or_b32 exec_lo, exec_lo, s21
	flat_load_b64 v[33:34], v[31:32] offset:2056
	s_mov_b32 s21, exec_lo
	v_mov_b32_e32 v1, 0
	scratch_store_b32 off, v1, s32 offset:488 ; 4-byte Folded Spill
	v_mov_b32_e32 v1, 0
	scratch_store_b32 off, v1, s32 offset:656 ; 4-byte Folded Spill
	s_waitcnt vmcnt(0) lgkmcnt(0)
	v_and_b32_e32 v0, 0xff, v33
	s_delay_alu instid0(VALU_DEP_1)
	v_cmpx_ne_u16_e32 0, v0
	s_cbranch_execz .LBB356_603
; %bb.596:                              ;   in Loop: Header=BB356_16 Depth=1
	v_cmp_ne_u16_e64 s1, 0x80, v0
	v_bfrev_b32_e32 v0, 1
	s_delay_alu instid0(VALU_DEP_2)
	s_and_saveexec_b32 s22, s1
	s_cbranch_execz .LBB356_602
; %bb.597:                              ;   in Loop: Header=BB356_16 Depth=1
	v_and_b32_e32 v1, 0x7f, v33
	v_mov_b32_e32 v0, 0x7fc02000
	s_mov_b32 s23, exec_lo
	s_delay_alu instid0(VALU_DEP_2)
	v_cmpx_ne_u32_e32 0x7f, v1
	s_cbranch_execz .LBB356_601
; %bb.598:                              ;   in Loop: Header=BB356_16 Depth=1
	v_lshrrev_b32_e32 v0, 3, v1
	v_dual_mov_b32 v36, v34 :: v_dual_mov_b32 v35, v33
	s_mov_b32 s24, exec_lo
	v_cmpx_gt_u32_e32 8, v1
; %bb.599:                              ;   in Loop: Header=BB356_16 Depth=1
	v_and_b32_e32 v0, 7, v33
	s_delay_alu instid0(VALU_DEP_1) | instskip(NEXT) | instid1(VALU_DEP_1)
	v_clz_i32_u32_e32 v0, v0
	v_min_u32_e32 v0, 32, v0
	s_delay_alu instid0(VALU_DEP_1) | instskip(SKIP_1) | instid1(VALU_DEP_2)
	v_subrev_nc_u32_e32 v1, 28, v0
	v_sub_nc_u32_e32 v0, 29, v0
	v_lshlrev_b64 v[35:36], v1, v[33:34]
; %bb.600:                              ;   in Loop: Header=BB356_16 Depth=1
	s_or_b32 exec_lo, exec_lo, s24
	v_lshlrev_b32_e32 v1, 8, v33
	s_delay_alu instid0(VALU_DEP_3) | instskip(NEXT) | instid1(VALU_DEP_3)
	v_lshl_add_u32 v0, v0, 10, 0x2000
	v_lshlrev_b32_e32 v2, 7, v35
	s_delay_alu instid0(VALU_DEP_2) | instskip(NEXT) | instid1(VALU_DEP_1)
	v_and_or_b32 v0, 0x8000, v1, v0
	v_and_or_b32 v0, 0x380, v2, v0
	s_delay_alu instid0(VALU_DEP_1)
	v_cvt_f32_f16_e32 v0, v0
.LBB356_601:                            ;   in Loop: Header=BB356_16 Depth=1
	s_or_b32 exec_lo, exec_lo, s23
.LBB356_602:                            ;   in Loop: Header=BB356_16 Depth=1
	s_delay_alu instid0(SALU_CYCLE_1)
	s_or_b32 exec_lo, exec_lo, s22
	scratch_store_b32 off, v0, s32 offset:656 ; 4-byte Folded Spill
.LBB356_603:                            ;   in Loop: Header=BB356_16 Depth=1
	s_or_b32 exec_lo, exec_lo, s21
	v_lshrrev_b16 v0, 8, v33
	s_mov_b32 s21, exec_lo
	s_delay_alu instid0(VALU_DEP_1)
	v_cmpx_ne_u16_e32 0, v0
	s_cbranch_execz .LBB356_611
; %bb.604:                              ;   in Loop: Header=BB356_16 Depth=1
	v_bfrev_b32_e32 v1, 1
	s_mov_b32 s22, exec_lo
	scratch_store_b32 off, v1, s32 offset:488 ; 4-byte Folded Spill
	v_cmpx_ne_u16_e32 0x80, v0
	s_cbranch_execz .LBB356_610
; %bb.605:                              ;   in Loop: Header=BB356_16 Depth=1
	v_and_b32_e32 v0, 0xffff, v0
	v_mov_b32_e32 v1, 0x7fc02000
	s_mov_b32 s23, exec_lo
	s_delay_alu instid0(VALU_DEP_2)
	v_and_b32_e32 v2, 0x7f, v0
	scratch_store_b32 off, v1, s32 offset:488 ; 4-byte Folded Spill
	v_cmpx_ne_u32_e32 0x7f, v2
	s_cbranch_execz .LBB356_609
; %bb.606:                              ;   in Loop: Header=BB356_16 Depth=1
	v_and_b32_e32 v7, 7, v0
	v_lshrrev_b32_e32 v1, 3, v2
	v_mov_b32_e32 v36, v8
	s_mov_b32 s24, exec_lo
	s_delay_alu instid0(VALU_DEP_3)
	v_mov_b32_e32 v35, v7
	v_cmpx_gt_u32_e32 8, v2
; %bb.607:                              ;   in Loop: Header=BB356_16 Depth=1
	v_clz_i32_u32_e32 v1, v7
	s_delay_alu instid0(VALU_DEP_1) | instskip(NEXT) | instid1(VALU_DEP_1)
	v_min_u32_e32 v1, 32, v1
	v_subrev_nc_u32_e32 v2, 28, v1
	v_sub_nc_u32_e32 v1, 29, v1
	s_delay_alu instid0(VALU_DEP_2) | instskip(NEXT) | instid1(VALU_DEP_1)
	v_lshlrev_b64 v[2:3], v2, v[7:8]
	v_and_b32_e32 v35, 7, v2
; %bb.608:                              ;   in Loop: Header=BB356_16 Depth=1
	s_or_b32 exec_lo, exec_lo, s24
	v_lshlrev_b32_e32 v0, 8, v0
	v_lshl_add_u32 v1, v1, 10, 0x2000
	s_delay_alu instid0(VALU_DEP_1) | instskip(NEXT) | instid1(VALU_DEP_1)
	v_and_or_b32 v0, 0x8000, v0, v1
	v_lshl_or_b32 v0, v35, 7, v0
	s_delay_alu instid0(VALU_DEP_1)
	v_cvt_f32_f16_e32 v0, v0
	scratch_store_b32 off, v0, s32 offset:488 ; 4-byte Folded Spill
.LBB356_609:                            ;   in Loop: Header=BB356_16 Depth=1
	s_or_b32 exec_lo, exec_lo, s23
.LBB356_610:                            ;   in Loop: Header=BB356_16 Depth=1
	s_delay_alu instid0(SALU_CYCLE_1)
	s_or_b32 exec_lo, exec_lo, s22
.LBB356_611:                            ;   in Loop: Header=BB356_16 Depth=1
	s_delay_alu instid0(SALU_CYCLE_1) | instskip(SKIP_2) | instid1(VALU_DEP_1)
	s_or_b32 exec_lo, exec_lo, s21
	v_lshrrev_b32_e32 v0, 16, v33
	s_mov_b32 s21, exec_lo
	v_dual_mov_b32 v2, 0 :: v_dual_and_b32 v1, 0xff, v0
	scratch_store_b32 off, v2, s32 offset:492 ; 4-byte Folded Spill
	v_mov_b32_e32 v2, 0
	scratch_store_b32 off, v2, s32 offset:660 ; 4-byte Folded Spill
	v_cmpx_ne_u16_e32 0, v1
	s_cbranch_execz .LBB356_619
; %bb.612:                              ;   in Loop: Header=BB356_16 Depth=1
	v_cmp_ne_u16_e64 s1, 0x80, v1
	v_bfrev_b32_e32 v1, 1
	s_delay_alu instid0(VALU_DEP_2)
	s_and_saveexec_b32 s22, s1
	s_cbranch_execz .LBB356_618
; %bb.613:                              ;   in Loop: Header=BB356_16 Depth=1
	v_bfe_u32 v2, v33, 16, 7
	v_mov_b32_e32 v1, 0x7fc02000
	s_mov_b32 s23, exec_lo
	s_delay_alu instid0(VALU_DEP_2)
	v_cmpx_ne_u32_e32 0x7f, v2
	s_cbranch_execz .LBB356_617
; %bb.614:                              ;   in Loop: Header=BB356_16 Depth=1
	v_and_b32_e32 v7, 7, v0
	v_lshrrev_b32_e32 v1, 3, v2
	v_mov_b32_e32 v36, v8
	s_mov_b32 s24, exec_lo
	s_delay_alu instid0(VALU_DEP_3)
	v_mov_b32_e32 v35, v7
	v_cmpx_gt_u32_e32 8, v2
; %bb.615:                              ;   in Loop: Header=BB356_16 Depth=1
	v_clz_i32_u32_e32 v1, v7
	s_delay_alu instid0(VALU_DEP_1) | instskip(NEXT) | instid1(VALU_DEP_1)
	v_min_u32_e32 v1, 32, v1
	v_subrev_nc_u32_e32 v2, 28, v1
	v_sub_nc_u32_e32 v1, 29, v1
	s_delay_alu instid0(VALU_DEP_2) | instskip(NEXT) | instid1(VALU_DEP_1)
	v_lshlrev_b64 v[2:3], v2, v[7:8]
	v_and_b32_e32 v35, 7, v2
; %bb.616:                              ;   in Loop: Header=BB356_16 Depth=1
	s_or_b32 exec_lo, exec_lo, s24
	v_lshlrev_b32_e32 v0, 8, v0
	v_lshl_add_u32 v1, v1, 10, 0x2000
	s_delay_alu instid0(VALU_DEP_1) | instskip(NEXT) | instid1(VALU_DEP_1)
	v_and_or_b32 v0, 0x8000, v0, v1
	v_lshl_or_b32 v0, v35, 7, v0
	s_delay_alu instid0(VALU_DEP_1)
	v_cvt_f32_f16_e32 v1, v0
.LBB356_617:                            ;   in Loop: Header=BB356_16 Depth=1
	s_or_b32 exec_lo, exec_lo, s23
.LBB356_618:                            ;   in Loop: Header=BB356_16 Depth=1
	s_delay_alu instid0(SALU_CYCLE_1)
	s_or_b32 exec_lo, exec_lo, s22
	scratch_store_b32 off, v1, s32 offset:660 ; 4-byte Folded Spill
.LBB356_619:                            ;   in Loop: Header=BB356_16 Depth=1
	s_or_b32 exec_lo, exec_lo, s21
	s_delay_alu instid0(SALU_CYCLE_1)
	s_mov_b32 s21, exec_lo
	v_cmpx_lt_u32_e32 0xffffff, v33
	s_cbranch_execz .LBB356_627
; %bb.620:                              ;   in Loop: Header=BB356_16 Depth=1
	v_lshrrev_b32_e32 v0, 24, v33
	v_bfrev_b32_e32 v1, 1
	s_mov_b32 s22, exec_lo
	scratch_store_b32 off, v1, s32 offset:492 ; 4-byte Folded Spill
	v_cmpx_ne_u32_e32 0x80, v0
	s_cbranch_execz .LBB356_626
; %bb.621:                              ;   in Loop: Header=BB356_16 Depth=1
	v_and_b32_e32 v2, 0x7f, v0
	v_mov_b32_e32 v1, 0x7fc02000
	s_mov_b32 s23, exec_lo
	scratch_store_b32 off, v1, s32 offset:492 ; 4-byte Folded Spill
	v_cmpx_ne_u32_e32 0x7f, v2
	s_cbranch_execz .LBB356_625
; %bb.622:                              ;   in Loop: Header=BB356_16 Depth=1
	v_and_b32_e32 v7, 7, v0
	v_lshrrev_b32_e32 v1, 3, v2
	v_mov_b32_e32 v36, v8
	s_mov_b32 s24, exec_lo
	s_delay_alu instid0(VALU_DEP_3)
	v_mov_b32_e32 v35, v7
	v_cmpx_gt_u32_e32 8, v2
; %bb.623:                              ;   in Loop: Header=BB356_16 Depth=1
	v_clz_i32_u32_e32 v1, v7
	s_delay_alu instid0(VALU_DEP_1) | instskip(NEXT) | instid1(VALU_DEP_1)
	v_min_u32_e32 v1, 32, v1
	v_subrev_nc_u32_e32 v2, 28, v1
	v_sub_nc_u32_e32 v1, 29, v1
	s_delay_alu instid0(VALU_DEP_2) | instskip(NEXT) | instid1(VALU_DEP_1)
	v_lshlrev_b64 v[2:3], v2, v[7:8]
	v_and_b32_e32 v35, 7, v2
; %bb.624:                              ;   in Loop: Header=BB356_16 Depth=1
	s_or_b32 exec_lo, exec_lo, s24
	v_lshlrev_b32_e32 v0, 8, v0
	v_lshl_add_u32 v1, v1, 10, 0x2000
	s_delay_alu instid0(VALU_DEP_1) | instskip(NEXT) | instid1(VALU_DEP_1)
	v_and_or_b32 v0, 0x8000, v0, v1
	v_lshl_or_b32 v0, v35, 7, v0
	s_delay_alu instid0(VALU_DEP_1)
	v_cvt_f32_f16_e32 v0, v0
	scratch_store_b32 off, v0, s32 offset:492 ; 4-byte Folded Spill
.LBB356_625:                            ;   in Loop: Header=BB356_16 Depth=1
	s_or_b32 exec_lo, exec_lo, s23
.LBB356_626:                            ;   in Loop: Header=BB356_16 Depth=1
	s_delay_alu instid0(SALU_CYCLE_1)
	s_or_b32 exec_lo, exec_lo, s22
.LBB356_627:                            ;   in Loop: Header=BB356_16 Depth=1
	s_delay_alu instid0(SALU_CYCLE_1)
	s_or_b32 exec_lo, exec_lo, s21
	v_dual_mov_b32 v1, 0 :: v_dual_and_b32 v0, 0xff, v34
	v_mov_b32_e32 v7, v34
	s_mov_b32 s21, exec_lo
	scratch_store_b32 off, v1, s32 offset:496 ; 4-byte Folded Spill
	v_mov_b32_e32 v1, 0
	scratch_store_b32 off, v1, s32 offset:664 ; 4-byte Folded Spill
	v_cmpx_ne_u16_e32 0, v0
	s_cbranch_execz .LBB356_635
; %bb.628:                              ;   in Loop: Header=BB356_16 Depth=1
	v_cmp_ne_u16_e64 s1, 0x80, v0
	v_bfrev_b32_e32 v0, 1
	s_delay_alu instid0(VALU_DEP_2)
	s_and_saveexec_b32 s22, s1
	s_cbranch_execz .LBB356_634
; %bb.629:                              ;   in Loop: Header=BB356_16 Depth=1
	v_and_b32_e32 v1, 0x7f, v34
	v_mov_b32_e32 v0, 0x7fc02000
	s_mov_b32 s23, exec_lo
	s_delay_alu instid0(VALU_DEP_2)
	v_cmpx_ne_u32_e32 0x7f, v1
	s_cbranch_execz .LBB356_633
; %bb.630:                              ;   in Loop: Header=BB356_16 Depth=1
	v_lshrrev_b32_e32 v0, 3, v1
	v_dual_mov_b32 v36, v8 :: v_dual_mov_b32 v35, v7
	s_mov_b32 s24, exec_lo
	v_cmpx_gt_u32_e32 8, v1
; %bb.631:                              ;   in Loop: Header=BB356_16 Depth=1
	v_and_b32_e32 v0, 7, v34
	s_delay_alu instid0(VALU_DEP_1) | instskip(NEXT) | instid1(VALU_DEP_1)
	v_clz_i32_u32_e32 v0, v0
	v_min_u32_e32 v0, 32, v0
	s_delay_alu instid0(VALU_DEP_1) | instskip(SKIP_1) | instid1(VALU_DEP_2)
	v_subrev_nc_u32_e32 v1, 28, v0
	v_sub_nc_u32_e32 v0, 29, v0
	v_lshlrev_b64 v[35:36], v1, v[7:8]
; %bb.632:                              ;   in Loop: Header=BB356_16 Depth=1
	s_or_b32 exec_lo, exec_lo, s24
	v_lshlrev_b32_e32 v1, 8, v34
	s_delay_alu instid0(VALU_DEP_3) | instskip(NEXT) | instid1(VALU_DEP_3)
	v_lshl_add_u32 v0, v0, 10, 0x2000
	v_lshlrev_b32_e32 v2, 7, v35
	s_delay_alu instid0(VALU_DEP_2) | instskip(NEXT) | instid1(VALU_DEP_1)
	v_and_or_b32 v0, 0x8000, v1, v0
	v_and_or_b32 v0, 0x380, v2, v0
	s_delay_alu instid0(VALU_DEP_1)
	v_cvt_f32_f16_e32 v0, v0
.LBB356_633:                            ;   in Loop: Header=BB356_16 Depth=1
	s_or_b32 exec_lo, exec_lo, s23
.LBB356_634:                            ;   in Loop: Header=BB356_16 Depth=1
	s_delay_alu instid0(SALU_CYCLE_1)
	s_or_b32 exec_lo, exec_lo, s22
	scratch_store_b32 off, v0, s32 offset:664 ; 4-byte Folded Spill
.LBB356_635:                            ;   in Loop: Header=BB356_16 Depth=1
	s_or_b32 exec_lo, exec_lo, s21
	v_lshrrev_b16 v0, 8, v7
	s_mov_b32 s21, exec_lo
	s_delay_alu instid0(VALU_DEP_1)
	v_cmpx_ne_u16_e32 0, v0
	s_cbranch_execz .LBB356_643
; %bb.636:                              ;   in Loop: Header=BB356_16 Depth=1
	v_bfrev_b32_e32 v1, 1
	s_mov_b32 s22, exec_lo
	scratch_store_b32 off, v1, s32 offset:496 ; 4-byte Folded Spill
	v_cmpx_ne_u16_e32 0x80, v0
	s_cbranch_execz .LBB356_642
; %bb.637:                              ;   in Loop: Header=BB356_16 Depth=1
	v_and_b32_e32 v0, 0xffff, v0
	v_mov_b32_e32 v1, 0x7fc02000
	s_mov_b32 s23, exec_lo
	s_delay_alu instid0(VALU_DEP_2)
	v_and_b32_e32 v2, 0x7f, v0
	scratch_store_b32 off, v1, s32 offset:496 ; 4-byte Folded Spill
	v_cmpx_ne_u32_e32 0x7f, v2
	s_cbranch_execz .LBB356_641
; %bb.638:                              ;   in Loop: Header=BB356_16 Depth=1
	v_and_b32_e32 v7, 7, v0
	v_lshrrev_b32_e32 v1, 3, v2
	v_mov_b32_e32 v36, v8
	s_mov_b32 s24, exec_lo
	s_delay_alu instid0(VALU_DEP_3)
	v_mov_b32_e32 v35, v7
	v_cmpx_gt_u32_e32 8, v2
; %bb.639:                              ;   in Loop: Header=BB356_16 Depth=1
	v_clz_i32_u32_e32 v1, v7
	s_delay_alu instid0(VALU_DEP_1) | instskip(NEXT) | instid1(VALU_DEP_1)
	v_min_u32_e32 v1, 32, v1
	v_subrev_nc_u32_e32 v2, 28, v1
	v_sub_nc_u32_e32 v1, 29, v1
	s_delay_alu instid0(VALU_DEP_2) | instskip(NEXT) | instid1(VALU_DEP_1)
	v_lshlrev_b64 v[2:3], v2, v[7:8]
	v_and_b32_e32 v35, 7, v2
; %bb.640:                              ;   in Loop: Header=BB356_16 Depth=1
	s_or_b32 exec_lo, exec_lo, s24
	v_lshlrev_b32_e32 v0, 8, v0
	v_lshl_add_u32 v1, v1, 10, 0x2000
	s_delay_alu instid0(VALU_DEP_1) | instskip(NEXT) | instid1(VALU_DEP_1)
	v_and_or_b32 v0, 0x8000, v0, v1
	v_lshl_or_b32 v0, v35, 7, v0
	s_delay_alu instid0(VALU_DEP_1)
	v_cvt_f32_f16_e32 v0, v0
	scratch_store_b32 off, v0, s32 offset:496 ; 4-byte Folded Spill
.LBB356_641:                            ;   in Loop: Header=BB356_16 Depth=1
	s_or_b32 exec_lo, exec_lo, s23
.LBB356_642:                            ;   in Loop: Header=BB356_16 Depth=1
	s_delay_alu instid0(SALU_CYCLE_1)
	s_or_b32 exec_lo, exec_lo, s22
.LBB356_643:                            ;   in Loop: Header=BB356_16 Depth=1
	s_delay_alu instid0(SALU_CYCLE_1) | instskip(SKIP_2) | instid1(VALU_DEP_1)
	s_or_b32 exec_lo, exec_lo, s21
	v_lshrrev_b32_e32 v0, 16, v34
	s_mov_b32 s21, exec_lo
	v_dual_mov_b32 v2, 0 :: v_dual_and_b32 v1, 0xff, v0
	scratch_store_b32 off, v2, s32 offset:500 ; 4-byte Folded Spill
	v_mov_b32_e32 v2, 0
	scratch_store_b32 off, v2, s32 offset:668 ; 4-byte Folded Spill
	v_cmpx_ne_u16_e32 0, v1
	s_cbranch_execz .LBB356_651
; %bb.644:                              ;   in Loop: Header=BB356_16 Depth=1
	v_cmp_ne_u16_e64 s1, 0x80, v1
	v_bfrev_b32_e32 v1, 1
	s_delay_alu instid0(VALU_DEP_2)
	s_and_saveexec_b32 s22, s1
	s_cbranch_execz .LBB356_650
; %bb.645:                              ;   in Loop: Header=BB356_16 Depth=1
	v_bfe_u32 v2, v34, 16, 7
	v_mov_b32_e32 v1, 0x7fc02000
	s_mov_b32 s23, exec_lo
	s_delay_alu instid0(VALU_DEP_2)
	v_cmpx_ne_u32_e32 0x7f, v2
	s_cbranch_execz .LBB356_649
; %bb.646:                              ;   in Loop: Header=BB356_16 Depth=1
	v_and_b32_e32 v7, 7, v0
	v_lshrrev_b32_e32 v1, 3, v2
	v_mov_b32_e32 v36, v8
	s_mov_b32 s24, exec_lo
	s_delay_alu instid0(VALU_DEP_3)
	v_mov_b32_e32 v35, v7
	v_cmpx_gt_u32_e32 8, v2
; %bb.647:                              ;   in Loop: Header=BB356_16 Depth=1
	v_clz_i32_u32_e32 v1, v7
	s_delay_alu instid0(VALU_DEP_1) | instskip(NEXT) | instid1(VALU_DEP_1)
	v_min_u32_e32 v1, 32, v1
	v_subrev_nc_u32_e32 v2, 28, v1
	v_sub_nc_u32_e32 v1, 29, v1
	s_delay_alu instid0(VALU_DEP_2) | instskip(NEXT) | instid1(VALU_DEP_1)
	v_lshlrev_b64 v[2:3], v2, v[7:8]
	v_and_b32_e32 v35, 7, v2
; %bb.648:                              ;   in Loop: Header=BB356_16 Depth=1
	s_or_b32 exec_lo, exec_lo, s24
	v_lshlrev_b32_e32 v0, 8, v0
	v_lshl_add_u32 v1, v1, 10, 0x2000
	s_delay_alu instid0(VALU_DEP_1) | instskip(NEXT) | instid1(VALU_DEP_1)
	v_and_or_b32 v0, 0x8000, v0, v1
	v_lshl_or_b32 v0, v35, 7, v0
	s_delay_alu instid0(VALU_DEP_1)
	v_cvt_f32_f16_e32 v1, v0
.LBB356_649:                            ;   in Loop: Header=BB356_16 Depth=1
	s_or_b32 exec_lo, exec_lo, s23
.LBB356_650:                            ;   in Loop: Header=BB356_16 Depth=1
	s_delay_alu instid0(SALU_CYCLE_1)
	s_or_b32 exec_lo, exec_lo, s22
	scratch_store_b32 off, v1, s32 offset:668 ; 4-byte Folded Spill
.LBB356_651:                            ;   in Loop: Header=BB356_16 Depth=1
	s_or_b32 exec_lo, exec_lo, s21
	s_delay_alu instid0(SALU_CYCLE_1)
	s_mov_b32 s21, exec_lo
	v_cmpx_lt_u64_e64 s[8:9], v[33:34]
	s_cbranch_execz .LBB356_659
; %bb.652:                              ;   in Loop: Header=BB356_16 Depth=1
	v_lshrrev_b32_e32 v0, 24, v34
	v_bfrev_b32_e32 v1, 1
	s_mov_b32 s22, exec_lo
	scratch_store_b32 off, v1, s32 offset:500 ; 4-byte Folded Spill
	v_cmpx_ne_u32_e32 0x80, v0
	s_cbranch_execz .LBB356_658
; %bb.653:                              ;   in Loop: Header=BB356_16 Depth=1
	v_and_b32_e32 v2, 0x7f, v0
	v_mov_b32_e32 v1, 0x7fc02000
	s_mov_b32 s23, exec_lo
	scratch_store_b32 off, v1, s32 offset:500 ; 4-byte Folded Spill
	v_cmpx_ne_u32_e32 0x7f, v2
	s_cbranch_execz .LBB356_657
; %bb.654:                              ;   in Loop: Header=BB356_16 Depth=1
	v_and_b32_e32 v7, 7, v0
	v_lshrrev_b32_e32 v1, 3, v2
	v_mov_b32_e32 v34, v8
	s_mov_b32 s24, exec_lo
	s_delay_alu instid0(VALU_DEP_3)
	v_mov_b32_e32 v33, v7
	v_cmpx_gt_u32_e32 8, v2
; %bb.655:                              ;   in Loop: Header=BB356_16 Depth=1
	v_clz_i32_u32_e32 v1, v7
	s_delay_alu instid0(VALU_DEP_1) | instskip(NEXT) | instid1(VALU_DEP_1)
	v_min_u32_e32 v1, 32, v1
	v_subrev_nc_u32_e32 v2, 28, v1
	v_sub_nc_u32_e32 v1, 29, v1
	s_delay_alu instid0(VALU_DEP_2) | instskip(NEXT) | instid1(VALU_DEP_1)
	v_lshlrev_b64 v[2:3], v2, v[7:8]
	v_and_b32_e32 v33, 7, v2
; %bb.656:                              ;   in Loop: Header=BB356_16 Depth=1
	s_or_b32 exec_lo, exec_lo, s24
	v_lshlrev_b32_e32 v0, 8, v0
	v_lshl_add_u32 v1, v1, 10, 0x2000
	s_delay_alu instid0(VALU_DEP_1) | instskip(NEXT) | instid1(VALU_DEP_1)
	v_and_or_b32 v0, 0x8000, v0, v1
	v_lshl_or_b32 v0, v33, 7, v0
	s_delay_alu instid0(VALU_DEP_1)
	v_cvt_f32_f16_e32 v0, v0
	scratch_store_b32 off, v0, s32 offset:500 ; 4-byte Folded Spill
.LBB356_657:                            ;   in Loop: Header=BB356_16 Depth=1
	s_or_b32 exec_lo, exec_lo, s23
.LBB356_658:                            ;   in Loop: Header=BB356_16 Depth=1
	s_delay_alu instid0(SALU_CYCLE_1)
	s_or_b32 exec_lo, exec_lo, s22
.LBB356_659:                            ;   in Loop: Header=BB356_16 Depth=1
	s_delay_alu instid0(SALU_CYCLE_1)
	s_or_b32 exec_lo, exec_lo, s21
	flat_load_b64 v[33:34], v[31:32] offset:2560
	s_mov_b32 s21, exec_lo
	v_mov_b32_e32 v1, 0
	scratch_store_b32 off, v1, s32 offset:504 ; 4-byte Folded Spill
	v_mov_b32_e32 v1, 0
	scratch_store_b32 off, v1, s32 offset:672 ; 4-byte Folded Spill
	s_waitcnt vmcnt(0) lgkmcnt(0)
	v_and_b32_e32 v0, 0xff, v33
	s_delay_alu instid0(VALU_DEP_1)
	v_cmpx_ne_u16_e32 0, v0
	s_cbranch_execz .LBB356_667
; %bb.660:                              ;   in Loop: Header=BB356_16 Depth=1
	v_cmp_ne_u16_e64 s1, 0x80, v0
	v_bfrev_b32_e32 v0, 1
	s_delay_alu instid0(VALU_DEP_2)
	s_and_saveexec_b32 s22, s1
	s_cbranch_execz .LBB356_666
; %bb.661:                              ;   in Loop: Header=BB356_16 Depth=1
	v_and_b32_e32 v1, 0x7f, v33
	v_mov_b32_e32 v0, 0x7fc02000
	s_mov_b32 s23, exec_lo
	s_delay_alu instid0(VALU_DEP_2)
	v_cmpx_ne_u32_e32 0x7f, v1
	s_cbranch_execz .LBB356_665
; %bb.662:                              ;   in Loop: Header=BB356_16 Depth=1
	v_lshrrev_b32_e32 v0, 3, v1
	v_dual_mov_b32 v36, v34 :: v_dual_mov_b32 v35, v33
	s_mov_b32 s24, exec_lo
	v_cmpx_gt_u32_e32 8, v1
; %bb.663:                              ;   in Loop: Header=BB356_16 Depth=1
	v_and_b32_e32 v0, 7, v33
	s_delay_alu instid0(VALU_DEP_1) | instskip(NEXT) | instid1(VALU_DEP_1)
	v_clz_i32_u32_e32 v0, v0
	v_min_u32_e32 v0, 32, v0
	s_delay_alu instid0(VALU_DEP_1) | instskip(SKIP_1) | instid1(VALU_DEP_2)
	v_subrev_nc_u32_e32 v1, 28, v0
	v_sub_nc_u32_e32 v0, 29, v0
	v_lshlrev_b64 v[35:36], v1, v[33:34]
; %bb.664:                              ;   in Loop: Header=BB356_16 Depth=1
	s_or_b32 exec_lo, exec_lo, s24
	v_lshlrev_b32_e32 v1, 8, v33
	s_delay_alu instid0(VALU_DEP_3) | instskip(NEXT) | instid1(VALU_DEP_3)
	v_lshl_add_u32 v0, v0, 10, 0x2000
	v_lshlrev_b32_e32 v2, 7, v35
	s_delay_alu instid0(VALU_DEP_2) | instskip(NEXT) | instid1(VALU_DEP_1)
	v_and_or_b32 v0, 0x8000, v1, v0
	v_and_or_b32 v0, 0x380, v2, v0
	s_delay_alu instid0(VALU_DEP_1)
	v_cvt_f32_f16_e32 v0, v0
.LBB356_665:                            ;   in Loop: Header=BB356_16 Depth=1
	s_or_b32 exec_lo, exec_lo, s23
.LBB356_666:                            ;   in Loop: Header=BB356_16 Depth=1
	s_delay_alu instid0(SALU_CYCLE_1)
	s_or_b32 exec_lo, exec_lo, s22
	scratch_store_b32 off, v0, s32 offset:672 ; 4-byte Folded Spill
.LBB356_667:                            ;   in Loop: Header=BB356_16 Depth=1
	s_or_b32 exec_lo, exec_lo, s21
	v_lshrrev_b16 v0, 8, v33
	s_mov_b32 s21, exec_lo
	s_delay_alu instid0(VALU_DEP_1)
	v_cmpx_ne_u16_e32 0, v0
	s_cbranch_execz .LBB356_675
; %bb.668:                              ;   in Loop: Header=BB356_16 Depth=1
	v_bfrev_b32_e32 v1, 1
	s_mov_b32 s22, exec_lo
	scratch_store_b32 off, v1, s32 offset:504 ; 4-byte Folded Spill
	v_cmpx_ne_u16_e32 0x80, v0
	s_cbranch_execz .LBB356_674
; %bb.669:                              ;   in Loop: Header=BB356_16 Depth=1
	v_and_b32_e32 v0, 0xffff, v0
	v_mov_b32_e32 v1, 0x7fc02000
	s_mov_b32 s23, exec_lo
	s_delay_alu instid0(VALU_DEP_2)
	v_and_b32_e32 v2, 0x7f, v0
	scratch_store_b32 off, v1, s32 offset:504 ; 4-byte Folded Spill
	v_cmpx_ne_u32_e32 0x7f, v2
	s_cbranch_execz .LBB356_673
; %bb.670:                              ;   in Loop: Header=BB356_16 Depth=1
	v_and_b32_e32 v7, 7, v0
	v_lshrrev_b32_e32 v1, 3, v2
	v_mov_b32_e32 v36, v8
	s_mov_b32 s24, exec_lo
	s_delay_alu instid0(VALU_DEP_3)
	v_mov_b32_e32 v35, v7
	v_cmpx_gt_u32_e32 8, v2
; %bb.671:                              ;   in Loop: Header=BB356_16 Depth=1
	v_clz_i32_u32_e32 v1, v7
	s_delay_alu instid0(VALU_DEP_1) | instskip(NEXT) | instid1(VALU_DEP_1)
	v_min_u32_e32 v1, 32, v1
	v_subrev_nc_u32_e32 v2, 28, v1
	v_sub_nc_u32_e32 v1, 29, v1
	s_delay_alu instid0(VALU_DEP_2) | instskip(NEXT) | instid1(VALU_DEP_1)
	v_lshlrev_b64 v[2:3], v2, v[7:8]
	v_and_b32_e32 v35, 7, v2
; %bb.672:                              ;   in Loop: Header=BB356_16 Depth=1
	s_or_b32 exec_lo, exec_lo, s24
	v_lshlrev_b32_e32 v0, 8, v0
	v_lshl_add_u32 v1, v1, 10, 0x2000
	s_delay_alu instid0(VALU_DEP_1) | instskip(NEXT) | instid1(VALU_DEP_1)
	v_and_or_b32 v0, 0x8000, v0, v1
	v_lshl_or_b32 v0, v35, 7, v0
	s_delay_alu instid0(VALU_DEP_1)
	v_cvt_f32_f16_e32 v0, v0
	scratch_store_b32 off, v0, s32 offset:504 ; 4-byte Folded Spill
.LBB356_673:                            ;   in Loop: Header=BB356_16 Depth=1
	s_or_b32 exec_lo, exec_lo, s23
.LBB356_674:                            ;   in Loop: Header=BB356_16 Depth=1
	s_delay_alu instid0(SALU_CYCLE_1)
	s_or_b32 exec_lo, exec_lo, s22
.LBB356_675:                            ;   in Loop: Header=BB356_16 Depth=1
	s_delay_alu instid0(SALU_CYCLE_1) | instskip(SKIP_2) | instid1(VALU_DEP_1)
	s_or_b32 exec_lo, exec_lo, s21
	v_lshrrev_b32_e32 v0, 16, v33
	s_mov_b32 s21, exec_lo
	v_dual_mov_b32 v2, 0 :: v_dual_and_b32 v1, 0xff, v0
	scratch_store_b32 off, v2, s32 offset:508 ; 4-byte Folded Spill
	v_mov_b32_e32 v2, 0
	scratch_store_b32 off, v2, s32 offset:676 ; 4-byte Folded Spill
	v_cmpx_ne_u16_e32 0, v1
	s_cbranch_execz .LBB356_683
; %bb.676:                              ;   in Loop: Header=BB356_16 Depth=1
	v_cmp_ne_u16_e64 s1, 0x80, v1
	v_bfrev_b32_e32 v1, 1
	s_delay_alu instid0(VALU_DEP_2)
	s_and_saveexec_b32 s22, s1
	s_cbranch_execz .LBB356_682
; %bb.677:                              ;   in Loop: Header=BB356_16 Depth=1
	v_bfe_u32 v2, v33, 16, 7
	v_mov_b32_e32 v1, 0x7fc02000
	s_mov_b32 s23, exec_lo
	s_delay_alu instid0(VALU_DEP_2)
	v_cmpx_ne_u32_e32 0x7f, v2
	s_cbranch_execz .LBB356_681
; %bb.678:                              ;   in Loop: Header=BB356_16 Depth=1
	v_and_b32_e32 v7, 7, v0
	v_lshrrev_b32_e32 v1, 3, v2
	v_mov_b32_e32 v36, v8
	s_mov_b32 s24, exec_lo
	s_delay_alu instid0(VALU_DEP_3)
	v_mov_b32_e32 v35, v7
	v_cmpx_gt_u32_e32 8, v2
; %bb.679:                              ;   in Loop: Header=BB356_16 Depth=1
	v_clz_i32_u32_e32 v1, v7
	s_delay_alu instid0(VALU_DEP_1) | instskip(NEXT) | instid1(VALU_DEP_1)
	v_min_u32_e32 v1, 32, v1
	v_subrev_nc_u32_e32 v2, 28, v1
	v_sub_nc_u32_e32 v1, 29, v1
	s_delay_alu instid0(VALU_DEP_2) | instskip(NEXT) | instid1(VALU_DEP_1)
	v_lshlrev_b64 v[2:3], v2, v[7:8]
	v_and_b32_e32 v35, 7, v2
; %bb.680:                              ;   in Loop: Header=BB356_16 Depth=1
	s_or_b32 exec_lo, exec_lo, s24
	v_lshlrev_b32_e32 v0, 8, v0
	v_lshl_add_u32 v1, v1, 10, 0x2000
	s_delay_alu instid0(VALU_DEP_1) | instskip(NEXT) | instid1(VALU_DEP_1)
	v_and_or_b32 v0, 0x8000, v0, v1
	v_lshl_or_b32 v0, v35, 7, v0
	s_delay_alu instid0(VALU_DEP_1)
	v_cvt_f32_f16_e32 v1, v0
.LBB356_681:                            ;   in Loop: Header=BB356_16 Depth=1
	s_or_b32 exec_lo, exec_lo, s23
.LBB356_682:                            ;   in Loop: Header=BB356_16 Depth=1
	s_delay_alu instid0(SALU_CYCLE_1)
	s_or_b32 exec_lo, exec_lo, s22
	scratch_store_b32 off, v1, s32 offset:676 ; 4-byte Folded Spill
.LBB356_683:                            ;   in Loop: Header=BB356_16 Depth=1
	s_or_b32 exec_lo, exec_lo, s21
	s_delay_alu instid0(SALU_CYCLE_1)
	s_mov_b32 s21, exec_lo
	v_cmpx_lt_u32_e32 0xffffff, v33
	s_cbranch_execz .LBB356_691
; %bb.684:                              ;   in Loop: Header=BB356_16 Depth=1
	v_lshrrev_b32_e32 v0, 24, v33
	v_bfrev_b32_e32 v1, 1
	s_mov_b32 s22, exec_lo
	scratch_store_b32 off, v1, s32 offset:508 ; 4-byte Folded Spill
	v_cmpx_ne_u32_e32 0x80, v0
	s_cbranch_execz .LBB356_690
; %bb.685:                              ;   in Loop: Header=BB356_16 Depth=1
	v_and_b32_e32 v2, 0x7f, v0
	v_mov_b32_e32 v1, 0x7fc02000
	s_mov_b32 s23, exec_lo
	scratch_store_b32 off, v1, s32 offset:508 ; 4-byte Folded Spill
	v_cmpx_ne_u32_e32 0x7f, v2
	s_cbranch_execz .LBB356_689
; %bb.686:                              ;   in Loop: Header=BB356_16 Depth=1
	v_and_b32_e32 v7, 7, v0
	v_lshrrev_b32_e32 v1, 3, v2
	v_mov_b32_e32 v36, v8
	s_mov_b32 s24, exec_lo
	s_delay_alu instid0(VALU_DEP_3)
	v_mov_b32_e32 v35, v7
	v_cmpx_gt_u32_e32 8, v2
; %bb.687:                              ;   in Loop: Header=BB356_16 Depth=1
	v_clz_i32_u32_e32 v1, v7
	s_delay_alu instid0(VALU_DEP_1) | instskip(NEXT) | instid1(VALU_DEP_1)
	v_min_u32_e32 v1, 32, v1
	v_subrev_nc_u32_e32 v2, 28, v1
	v_sub_nc_u32_e32 v1, 29, v1
	s_delay_alu instid0(VALU_DEP_2) | instskip(NEXT) | instid1(VALU_DEP_1)
	v_lshlrev_b64 v[2:3], v2, v[7:8]
	v_and_b32_e32 v35, 7, v2
; %bb.688:                              ;   in Loop: Header=BB356_16 Depth=1
	s_or_b32 exec_lo, exec_lo, s24
	v_lshlrev_b32_e32 v0, 8, v0
	v_lshl_add_u32 v1, v1, 10, 0x2000
	s_delay_alu instid0(VALU_DEP_1) | instskip(NEXT) | instid1(VALU_DEP_1)
	v_and_or_b32 v0, 0x8000, v0, v1
	v_lshl_or_b32 v0, v35, 7, v0
	s_delay_alu instid0(VALU_DEP_1)
	v_cvt_f32_f16_e32 v0, v0
	scratch_store_b32 off, v0, s32 offset:508 ; 4-byte Folded Spill
.LBB356_689:                            ;   in Loop: Header=BB356_16 Depth=1
	s_or_b32 exec_lo, exec_lo, s23
.LBB356_690:                            ;   in Loop: Header=BB356_16 Depth=1
	s_delay_alu instid0(SALU_CYCLE_1)
	s_or_b32 exec_lo, exec_lo, s22
.LBB356_691:                            ;   in Loop: Header=BB356_16 Depth=1
	s_delay_alu instid0(SALU_CYCLE_1)
	s_or_b32 exec_lo, exec_lo, s21
	v_dual_mov_b32 v1, 0 :: v_dual_and_b32 v0, 0xff, v34
	v_mov_b32_e32 v7, v34
	s_mov_b32 s21, exec_lo
	scratch_store_b32 off, v1, s32 offset:512 ; 4-byte Folded Spill
	v_mov_b32_e32 v1, 0
	scratch_store_b32 off, v1, s32 offset:680 ; 4-byte Folded Spill
	v_cmpx_ne_u16_e32 0, v0
	s_cbranch_execz .LBB356_699
; %bb.692:                              ;   in Loop: Header=BB356_16 Depth=1
	v_cmp_ne_u16_e64 s1, 0x80, v0
	v_bfrev_b32_e32 v0, 1
	s_delay_alu instid0(VALU_DEP_2)
	s_and_saveexec_b32 s22, s1
	s_cbranch_execz .LBB356_698
; %bb.693:                              ;   in Loop: Header=BB356_16 Depth=1
	v_and_b32_e32 v1, 0x7f, v34
	v_mov_b32_e32 v0, 0x7fc02000
	s_mov_b32 s23, exec_lo
	s_delay_alu instid0(VALU_DEP_2)
	v_cmpx_ne_u32_e32 0x7f, v1
	s_cbranch_execz .LBB356_697
; %bb.694:                              ;   in Loop: Header=BB356_16 Depth=1
	v_lshrrev_b32_e32 v0, 3, v1
	v_dual_mov_b32 v36, v8 :: v_dual_mov_b32 v35, v7
	s_mov_b32 s24, exec_lo
	v_cmpx_gt_u32_e32 8, v1
; %bb.695:                              ;   in Loop: Header=BB356_16 Depth=1
	v_and_b32_e32 v0, 7, v34
	s_delay_alu instid0(VALU_DEP_1) | instskip(NEXT) | instid1(VALU_DEP_1)
	v_clz_i32_u32_e32 v0, v0
	v_min_u32_e32 v0, 32, v0
	s_delay_alu instid0(VALU_DEP_1) | instskip(SKIP_1) | instid1(VALU_DEP_2)
	v_subrev_nc_u32_e32 v1, 28, v0
	v_sub_nc_u32_e32 v0, 29, v0
	v_lshlrev_b64 v[35:36], v1, v[7:8]
; %bb.696:                              ;   in Loop: Header=BB356_16 Depth=1
	s_or_b32 exec_lo, exec_lo, s24
	v_lshlrev_b32_e32 v1, 8, v34
	s_delay_alu instid0(VALU_DEP_3) | instskip(NEXT) | instid1(VALU_DEP_3)
	v_lshl_add_u32 v0, v0, 10, 0x2000
	v_lshlrev_b32_e32 v2, 7, v35
	s_delay_alu instid0(VALU_DEP_2) | instskip(NEXT) | instid1(VALU_DEP_1)
	v_and_or_b32 v0, 0x8000, v1, v0
	v_and_or_b32 v0, 0x380, v2, v0
	s_delay_alu instid0(VALU_DEP_1)
	v_cvt_f32_f16_e32 v0, v0
.LBB356_697:                            ;   in Loop: Header=BB356_16 Depth=1
	s_or_b32 exec_lo, exec_lo, s23
.LBB356_698:                            ;   in Loop: Header=BB356_16 Depth=1
	s_delay_alu instid0(SALU_CYCLE_1)
	s_or_b32 exec_lo, exec_lo, s22
	scratch_store_b32 off, v0, s32 offset:680 ; 4-byte Folded Spill
.LBB356_699:                            ;   in Loop: Header=BB356_16 Depth=1
	s_or_b32 exec_lo, exec_lo, s21
	v_lshrrev_b16 v0, 8, v7
	s_mov_b32 s21, exec_lo
	s_delay_alu instid0(VALU_DEP_1)
	v_cmpx_ne_u16_e32 0, v0
	s_cbranch_execz .LBB356_707
; %bb.700:                              ;   in Loop: Header=BB356_16 Depth=1
	v_bfrev_b32_e32 v1, 1
	s_mov_b32 s22, exec_lo
	scratch_store_b32 off, v1, s32 offset:512 ; 4-byte Folded Spill
	v_cmpx_ne_u16_e32 0x80, v0
	s_cbranch_execz .LBB356_706
; %bb.701:                              ;   in Loop: Header=BB356_16 Depth=1
	v_and_b32_e32 v0, 0xffff, v0
	v_mov_b32_e32 v1, 0x7fc02000
	s_mov_b32 s23, exec_lo
	s_delay_alu instid0(VALU_DEP_2)
	v_and_b32_e32 v2, 0x7f, v0
	scratch_store_b32 off, v1, s32 offset:512 ; 4-byte Folded Spill
	v_cmpx_ne_u32_e32 0x7f, v2
	s_cbranch_execz .LBB356_705
; %bb.702:                              ;   in Loop: Header=BB356_16 Depth=1
	v_and_b32_e32 v7, 7, v0
	v_lshrrev_b32_e32 v1, 3, v2
	v_mov_b32_e32 v36, v8
	s_mov_b32 s24, exec_lo
	s_delay_alu instid0(VALU_DEP_3)
	v_mov_b32_e32 v35, v7
	v_cmpx_gt_u32_e32 8, v2
; %bb.703:                              ;   in Loop: Header=BB356_16 Depth=1
	v_clz_i32_u32_e32 v1, v7
	s_delay_alu instid0(VALU_DEP_1) | instskip(NEXT) | instid1(VALU_DEP_1)
	v_min_u32_e32 v1, 32, v1
	v_subrev_nc_u32_e32 v2, 28, v1
	v_sub_nc_u32_e32 v1, 29, v1
	s_delay_alu instid0(VALU_DEP_2) | instskip(NEXT) | instid1(VALU_DEP_1)
	v_lshlrev_b64 v[2:3], v2, v[7:8]
	v_and_b32_e32 v35, 7, v2
; %bb.704:                              ;   in Loop: Header=BB356_16 Depth=1
	s_or_b32 exec_lo, exec_lo, s24
	v_lshlrev_b32_e32 v0, 8, v0
	v_lshl_add_u32 v1, v1, 10, 0x2000
	s_delay_alu instid0(VALU_DEP_1) | instskip(NEXT) | instid1(VALU_DEP_1)
	v_and_or_b32 v0, 0x8000, v0, v1
	v_lshl_or_b32 v0, v35, 7, v0
	s_delay_alu instid0(VALU_DEP_1)
	v_cvt_f32_f16_e32 v0, v0
	scratch_store_b32 off, v0, s32 offset:512 ; 4-byte Folded Spill
.LBB356_705:                            ;   in Loop: Header=BB356_16 Depth=1
	s_or_b32 exec_lo, exec_lo, s23
.LBB356_706:                            ;   in Loop: Header=BB356_16 Depth=1
	s_delay_alu instid0(SALU_CYCLE_1)
	s_or_b32 exec_lo, exec_lo, s22
.LBB356_707:                            ;   in Loop: Header=BB356_16 Depth=1
	s_delay_alu instid0(SALU_CYCLE_1) | instskip(SKIP_2) | instid1(VALU_DEP_1)
	s_or_b32 exec_lo, exec_lo, s21
	v_lshrrev_b32_e32 v0, 16, v34
	s_mov_b32 s21, exec_lo
	v_dual_mov_b32 v2, 0 :: v_dual_and_b32 v1, 0xff, v0
	scratch_store_b32 off, v2, s32 offset:516 ; 4-byte Folded Spill
	v_mov_b32_e32 v2, 0
	scratch_store_b32 off, v2, s32 offset:684 ; 4-byte Folded Spill
	v_cmpx_ne_u16_e32 0, v1
	s_cbranch_execz .LBB356_715
; %bb.708:                              ;   in Loop: Header=BB356_16 Depth=1
	v_cmp_ne_u16_e64 s1, 0x80, v1
	v_bfrev_b32_e32 v1, 1
	s_delay_alu instid0(VALU_DEP_2)
	s_and_saveexec_b32 s22, s1
	s_cbranch_execz .LBB356_714
; %bb.709:                              ;   in Loop: Header=BB356_16 Depth=1
	v_bfe_u32 v2, v34, 16, 7
	v_mov_b32_e32 v1, 0x7fc02000
	s_mov_b32 s23, exec_lo
	s_delay_alu instid0(VALU_DEP_2)
	v_cmpx_ne_u32_e32 0x7f, v2
	s_cbranch_execz .LBB356_713
; %bb.710:                              ;   in Loop: Header=BB356_16 Depth=1
	v_and_b32_e32 v7, 7, v0
	v_lshrrev_b32_e32 v1, 3, v2
	v_mov_b32_e32 v36, v8
	s_mov_b32 s24, exec_lo
	s_delay_alu instid0(VALU_DEP_3)
	v_mov_b32_e32 v35, v7
	v_cmpx_gt_u32_e32 8, v2
; %bb.711:                              ;   in Loop: Header=BB356_16 Depth=1
	v_clz_i32_u32_e32 v1, v7
	s_delay_alu instid0(VALU_DEP_1) | instskip(NEXT) | instid1(VALU_DEP_1)
	v_min_u32_e32 v1, 32, v1
	v_subrev_nc_u32_e32 v2, 28, v1
	v_sub_nc_u32_e32 v1, 29, v1
	s_delay_alu instid0(VALU_DEP_2) | instskip(NEXT) | instid1(VALU_DEP_1)
	v_lshlrev_b64 v[2:3], v2, v[7:8]
	v_and_b32_e32 v35, 7, v2
; %bb.712:                              ;   in Loop: Header=BB356_16 Depth=1
	s_or_b32 exec_lo, exec_lo, s24
	v_lshlrev_b32_e32 v0, 8, v0
	v_lshl_add_u32 v1, v1, 10, 0x2000
	s_delay_alu instid0(VALU_DEP_1) | instskip(NEXT) | instid1(VALU_DEP_1)
	v_and_or_b32 v0, 0x8000, v0, v1
	v_lshl_or_b32 v0, v35, 7, v0
	s_delay_alu instid0(VALU_DEP_1)
	v_cvt_f32_f16_e32 v1, v0
.LBB356_713:                            ;   in Loop: Header=BB356_16 Depth=1
	s_or_b32 exec_lo, exec_lo, s23
.LBB356_714:                            ;   in Loop: Header=BB356_16 Depth=1
	s_delay_alu instid0(SALU_CYCLE_1)
	s_or_b32 exec_lo, exec_lo, s22
	scratch_store_b32 off, v1, s32 offset:684 ; 4-byte Folded Spill
.LBB356_715:                            ;   in Loop: Header=BB356_16 Depth=1
	s_or_b32 exec_lo, exec_lo, s21
	s_delay_alu instid0(SALU_CYCLE_1)
	s_mov_b32 s21, exec_lo
	v_cmpx_lt_u64_e64 s[8:9], v[33:34]
	s_cbranch_execz .LBB356_723
; %bb.716:                              ;   in Loop: Header=BB356_16 Depth=1
	v_lshrrev_b32_e32 v0, 24, v34
	v_bfrev_b32_e32 v1, 1
	s_mov_b32 s22, exec_lo
	scratch_store_b32 off, v1, s32 offset:516 ; 4-byte Folded Spill
	v_cmpx_ne_u32_e32 0x80, v0
	s_cbranch_execz .LBB356_722
; %bb.717:                              ;   in Loop: Header=BB356_16 Depth=1
	v_and_b32_e32 v2, 0x7f, v0
	v_mov_b32_e32 v1, 0x7fc02000
	s_mov_b32 s23, exec_lo
	scratch_store_b32 off, v1, s32 offset:516 ; 4-byte Folded Spill
	v_cmpx_ne_u32_e32 0x7f, v2
	s_cbranch_execz .LBB356_721
; %bb.718:                              ;   in Loop: Header=BB356_16 Depth=1
	v_and_b32_e32 v7, 7, v0
	v_lshrrev_b32_e32 v1, 3, v2
	v_mov_b32_e32 v34, v8
	s_mov_b32 s24, exec_lo
	s_delay_alu instid0(VALU_DEP_3)
	v_mov_b32_e32 v33, v7
	v_cmpx_gt_u32_e32 8, v2
; %bb.719:                              ;   in Loop: Header=BB356_16 Depth=1
	v_clz_i32_u32_e32 v1, v7
	s_delay_alu instid0(VALU_DEP_1) | instskip(NEXT) | instid1(VALU_DEP_1)
	v_min_u32_e32 v1, 32, v1
	v_subrev_nc_u32_e32 v2, 28, v1
	v_sub_nc_u32_e32 v1, 29, v1
	s_delay_alu instid0(VALU_DEP_2) | instskip(NEXT) | instid1(VALU_DEP_1)
	v_lshlrev_b64 v[2:3], v2, v[7:8]
	v_and_b32_e32 v33, 7, v2
; %bb.720:                              ;   in Loop: Header=BB356_16 Depth=1
	s_or_b32 exec_lo, exec_lo, s24
	v_lshlrev_b32_e32 v0, 8, v0
	v_lshl_add_u32 v1, v1, 10, 0x2000
	s_delay_alu instid0(VALU_DEP_1) | instskip(NEXT) | instid1(VALU_DEP_1)
	v_and_or_b32 v0, 0x8000, v0, v1
	v_lshl_or_b32 v0, v33, 7, v0
	s_delay_alu instid0(VALU_DEP_1)
	v_cvt_f32_f16_e32 v0, v0
	scratch_store_b32 off, v0, s32 offset:516 ; 4-byte Folded Spill
.LBB356_721:                            ;   in Loop: Header=BB356_16 Depth=1
	s_or_b32 exec_lo, exec_lo, s23
.LBB356_722:                            ;   in Loop: Header=BB356_16 Depth=1
	s_delay_alu instid0(SALU_CYCLE_1)
	s_or_b32 exec_lo, exec_lo, s22
.LBB356_723:                            ;   in Loop: Header=BB356_16 Depth=1
	s_delay_alu instid0(SALU_CYCLE_1)
	s_or_b32 exec_lo, exec_lo, s21
	flat_load_b64 v[33:34], v[31:32] offset:2568
	v_mov_b32_e32 v108, 0
	s_mov_b32 s21, exec_lo
	s_waitcnt vmcnt(0) lgkmcnt(0)
	v_dual_mov_b32 v189, 0 :: v_dual_and_b32 v0, 0xff, v33
	s_delay_alu instid0(VALU_DEP_1)
	v_cmpx_ne_u16_e32 0, v0
	s_cbranch_execz .LBB356_731
; %bb.724:                              ;   in Loop: Header=BB356_16 Depth=1
	v_bfrev_b32_e32 v189, 1
	s_mov_b32 s22, exec_lo
	v_cmpx_ne_u16_e32 0x80, v0
	s_cbranch_execz .LBB356_730
; %bb.725:                              ;   in Loop: Header=BB356_16 Depth=1
	v_and_b32_e32 v1, 0x7f, v33
	v_mov_b32_e32 v189, 0x7fc02000
	s_mov_b32 s23, exec_lo
	s_delay_alu instid0(VALU_DEP_2)
	v_cmpx_ne_u32_e32 0x7f, v1
	s_cbranch_execz .LBB356_729
; %bb.726:                              ;   in Loop: Header=BB356_16 Depth=1
	v_lshrrev_b32_e32 v0, 3, v1
	v_dual_mov_b32 v36, v34 :: v_dual_mov_b32 v35, v33
	s_mov_b32 s24, exec_lo
	v_cmpx_gt_u32_e32 8, v1
; %bb.727:                              ;   in Loop: Header=BB356_16 Depth=1
	v_and_b32_e32 v0, 7, v33
	s_delay_alu instid0(VALU_DEP_1) | instskip(NEXT) | instid1(VALU_DEP_1)
	v_clz_i32_u32_e32 v0, v0
	v_min_u32_e32 v0, 32, v0
	s_delay_alu instid0(VALU_DEP_1) | instskip(SKIP_1) | instid1(VALU_DEP_2)
	v_subrev_nc_u32_e32 v1, 28, v0
	v_sub_nc_u32_e32 v0, 29, v0
	v_lshlrev_b64 v[35:36], v1, v[33:34]
; %bb.728:                              ;   in Loop: Header=BB356_16 Depth=1
	s_or_b32 exec_lo, exec_lo, s24
	v_lshlrev_b32_e32 v1, 8, v33
	s_delay_alu instid0(VALU_DEP_3) | instskip(NEXT) | instid1(VALU_DEP_3)
	v_lshl_add_u32 v0, v0, 10, 0x2000
	v_lshlrev_b32_e32 v2, 7, v35
	s_delay_alu instid0(VALU_DEP_2) | instskip(NEXT) | instid1(VALU_DEP_1)
	v_and_or_b32 v0, 0x8000, v1, v0
	v_and_or_b32 v0, 0x380, v2, v0
	s_delay_alu instid0(VALU_DEP_1)
	v_cvt_f32_f16_e64 v189, v0
.LBB356_729:                            ;   in Loop: Header=BB356_16 Depth=1
	s_or_b32 exec_lo, exec_lo, s23
.LBB356_730:                            ;   in Loop: Header=BB356_16 Depth=1
	s_delay_alu instid0(SALU_CYCLE_1)
	s_or_b32 exec_lo, exec_lo, s22
.LBB356_731:                            ;   in Loop: Header=BB356_16 Depth=1
	s_delay_alu instid0(SALU_CYCLE_1) | instskip(SKIP_2) | instid1(VALU_DEP_1)
	s_or_b32 exec_lo, exec_lo, s21
	v_lshrrev_b16 v0, 8, v33
	s_mov_b32 s21, exec_lo
	v_cmpx_ne_u16_e32 0, v0
	s_cbranch_execz .LBB356_739
; %bb.732:                              ;   in Loop: Header=BB356_16 Depth=1
	v_bfrev_b32_e32 v108, 1
	s_mov_b32 s22, exec_lo
	v_cmpx_ne_u16_e32 0x80, v0
	s_cbranch_execz .LBB356_738
; %bb.733:                              ;   in Loop: Header=BB356_16 Depth=1
	v_and_b32_e32 v0, 0xffff, v0
	v_mov_b32_e32 v108, 0x7fc02000
	s_mov_b32 s23, exec_lo
	s_delay_alu instid0(VALU_DEP_2) | instskip(NEXT) | instid1(VALU_DEP_1)
	v_and_b32_e32 v2, 0x7f, v0
	v_cmpx_ne_u32_e32 0x7f, v2
	s_cbranch_execz .LBB356_737
; %bb.734:                              ;   in Loop: Header=BB356_16 Depth=1
	v_and_b32_e32 v7, 7, v0
	v_lshrrev_b32_e32 v1, 3, v2
	v_mov_b32_e32 v36, v8
	s_mov_b32 s24, exec_lo
	s_delay_alu instid0(VALU_DEP_3)
	v_mov_b32_e32 v35, v7
	v_cmpx_gt_u32_e32 8, v2
; %bb.735:                              ;   in Loop: Header=BB356_16 Depth=1
	v_clz_i32_u32_e32 v1, v7
	s_delay_alu instid0(VALU_DEP_1) | instskip(NEXT) | instid1(VALU_DEP_1)
	v_min_u32_e32 v1, 32, v1
	v_subrev_nc_u32_e32 v2, 28, v1
	v_sub_nc_u32_e32 v1, 29, v1
	s_delay_alu instid0(VALU_DEP_2) | instskip(NEXT) | instid1(VALU_DEP_1)
	v_lshlrev_b64 v[2:3], v2, v[7:8]
	v_and_b32_e32 v35, 7, v2
; %bb.736:                              ;   in Loop: Header=BB356_16 Depth=1
	s_or_b32 exec_lo, exec_lo, s24
	v_lshlrev_b32_e32 v0, 8, v0
	v_lshl_add_u32 v1, v1, 10, 0x2000
	s_delay_alu instid0(VALU_DEP_1) | instskip(NEXT) | instid1(VALU_DEP_1)
	v_and_or_b32 v0, 0x8000, v0, v1
	v_lshl_or_b32 v0, v35, 7, v0
	s_delay_alu instid0(VALU_DEP_1)
	v_cvt_f32_f16_e32 v108, v0
.LBB356_737:                            ;   in Loop: Header=BB356_16 Depth=1
	s_or_b32 exec_lo, exec_lo, s23
.LBB356_738:                            ;   in Loop: Header=BB356_16 Depth=1
	s_delay_alu instid0(SALU_CYCLE_1)
	s_or_b32 exec_lo, exec_lo, s22
.LBB356_739:                            ;   in Loop: Header=BB356_16 Depth=1
	s_delay_alu instid0(SALU_CYCLE_1) | instskip(SKIP_3) | instid1(VALU_DEP_2)
	s_or_b32 exec_lo, exec_lo, s21
	v_lshrrev_b32_e32 v0, 16, v33
	v_mov_b32_e32 v109, 0
	s_mov_b32 s21, exec_lo
	v_dual_mov_b32 v110, 0 :: v_dual_and_b32 v1, 0xff, v0
	s_delay_alu instid0(VALU_DEP_1)
	v_cmpx_ne_u16_e32 0, v1
	s_cbranch_execz .LBB356_747
; %bb.740:                              ;   in Loop: Header=BB356_16 Depth=1
	v_bfrev_b32_e32 v109, 1
	s_mov_b32 s22, exec_lo
	v_cmpx_ne_u16_e32 0x80, v1
	s_cbranch_execz .LBB356_746
; %bb.741:                              ;   in Loop: Header=BB356_16 Depth=1
	v_bfe_u32 v2, v33, 16, 7
	v_mov_b32_e32 v109, 0x7fc02000
	s_mov_b32 s23, exec_lo
	s_delay_alu instid0(VALU_DEP_2)
	v_cmpx_ne_u32_e32 0x7f, v2
	s_cbranch_execz .LBB356_745
; %bb.742:                              ;   in Loop: Header=BB356_16 Depth=1
	v_and_b32_e32 v7, 7, v0
	v_lshrrev_b32_e32 v1, 3, v2
	v_mov_b32_e32 v36, v8
	s_mov_b32 s24, exec_lo
	s_delay_alu instid0(VALU_DEP_3)
	v_mov_b32_e32 v35, v7
	v_cmpx_gt_u32_e32 8, v2
; %bb.743:                              ;   in Loop: Header=BB356_16 Depth=1
	v_clz_i32_u32_e32 v1, v7
	s_delay_alu instid0(VALU_DEP_1) | instskip(NEXT) | instid1(VALU_DEP_1)
	v_min_u32_e32 v1, 32, v1
	v_subrev_nc_u32_e32 v2, 28, v1
	v_sub_nc_u32_e32 v1, 29, v1
	s_delay_alu instid0(VALU_DEP_2) | instskip(NEXT) | instid1(VALU_DEP_1)
	v_lshlrev_b64 v[2:3], v2, v[7:8]
	v_and_b32_e32 v35, 7, v2
; %bb.744:                              ;   in Loop: Header=BB356_16 Depth=1
	s_or_b32 exec_lo, exec_lo, s24
	v_lshlrev_b32_e32 v0, 8, v0
	v_lshl_add_u32 v1, v1, 10, 0x2000
	s_delay_alu instid0(VALU_DEP_1) | instskip(NEXT) | instid1(VALU_DEP_1)
	v_and_or_b32 v0, 0x8000, v0, v1
	v_lshl_or_b32 v0, v35, 7, v0
	s_delay_alu instid0(VALU_DEP_1)
	v_cvt_f32_f16_e32 v109, v0
.LBB356_745:                            ;   in Loop: Header=BB356_16 Depth=1
	s_or_b32 exec_lo, exec_lo, s23
.LBB356_746:                            ;   in Loop: Header=BB356_16 Depth=1
	s_delay_alu instid0(SALU_CYCLE_1)
	s_or_b32 exec_lo, exec_lo, s22
.LBB356_747:                            ;   in Loop: Header=BB356_16 Depth=1
	s_delay_alu instid0(SALU_CYCLE_1) | instskip(NEXT) | instid1(SALU_CYCLE_1)
	s_or_b32 exec_lo, exec_lo, s21
	s_mov_b32 s21, exec_lo
	v_cmpx_lt_u32_e32 0xffffff, v33
	s_cbranch_execz .LBB356_755
; %bb.748:                              ;   in Loop: Header=BB356_16 Depth=1
	v_lshrrev_b32_e32 v0, 24, v33
	v_bfrev_b32_e32 v110, 1
	s_mov_b32 s22, exec_lo
	s_delay_alu instid0(VALU_DEP_2)
	v_cmpx_ne_u32_e32 0x80, v0
	s_cbranch_execz .LBB356_754
; %bb.749:                              ;   in Loop: Header=BB356_16 Depth=1
	v_and_b32_e32 v2, 0x7f, v0
	v_mov_b32_e32 v110, 0x7fc02000
	s_mov_b32 s23, exec_lo
	s_delay_alu instid0(VALU_DEP_2)
	v_cmpx_ne_u32_e32 0x7f, v2
	s_cbranch_execz .LBB356_753
; %bb.750:                              ;   in Loop: Header=BB356_16 Depth=1
	v_and_b32_e32 v7, 7, v0
	v_lshrrev_b32_e32 v1, 3, v2
	v_mov_b32_e32 v36, v8
	s_mov_b32 s24, exec_lo
	s_delay_alu instid0(VALU_DEP_3)
	v_mov_b32_e32 v35, v7
	v_cmpx_gt_u32_e32 8, v2
; %bb.751:                              ;   in Loop: Header=BB356_16 Depth=1
	v_clz_i32_u32_e32 v1, v7
	s_delay_alu instid0(VALU_DEP_1) | instskip(NEXT) | instid1(VALU_DEP_1)
	v_min_u32_e32 v1, 32, v1
	v_subrev_nc_u32_e32 v2, 28, v1
	v_sub_nc_u32_e32 v1, 29, v1
	s_delay_alu instid0(VALU_DEP_2) | instskip(NEXT) | instid1(VALU_DEP_1)
	v_lshlrev_b64 v[2:3], v2, v[7:8]
	v_and_b32_e32 v35, 7, v2
; %bb.752:                              ;   in Loop: Header=BB356_16 Depth=1
	s_or_b32 exec_lo, exec_lo, s24
	v_lshlrev_b32_e32 v0, 8, v0
	v_lshl_add_u32 v1, v1, 10, 0x2000
	s_delay_alu instid0(VALU_DEP_1) | instskip(NEXT) | instid1(VALU_DEP_1)
	v_and_or_b32 v0, 0x8000, v0, v1
	v_lshl_or_b32 v0, v35, 7, v0
	s_delay_alu instid0(VALU_DEP_1)
	v_cvt_f32_f16_e32 v110, v0
.LBB356_753:                            ;   in Loop: Header=BB356_16 Depth=1
	s_or_b32 exec_lo, exec_lo, s23
.LBB356_754:                            ;   in Loop: Header=BB356_16 Depth=1
	s_delay_alu instid0(SALU_CYCLE_1)
	s_or_b32 exec_lo, exec_lo, s22
.LBB356_755:                            ;   in Loop: Header=BB356_16 Depth=1
	s_delay_alu instid0(SALU_CYCLE_1) | instskip(SKIP_3) | instid1(VALU_DEP_2)
	s_or_b32 exec_lo, exec_lo, s21
	v_dual_mov_b32 v7, v34 :: v_dual_and_b32 v0, 0xff, v34
	v_dual_mov_b32 v120, 0 :: v_dual_mov_b32 v111, 0
	s_mov_b32 s21, exec_lo
	v_cmpx_ne_u16_e32 0, v0
	s_cbranch_execz .LBB356_763
; %bb.756:                              ;   in Loop: Header=BB356_16 Depth=1
	v_bfrev_b32_e32 v111, 1
	s_mov_b32 s22, exec_lo
	v_cmpx_ne_u16_e32 0x80, v0
	s_cbranch_execz .LBB356_762
; %bb.757:                              ;   in Loop: Header=BB356_16 Depth=1
	v_and_b32_e32 v1, 0x7f, v34
	v_mov_b32_e32 v111, 0x7fc02000
	s_mov_b32 s23, exec_lo
	s_delay_alu instid0(VALU_DEP_2)
	v_cmpx_ne_u32_e32 0x7f, v1
	s_cbranch_execz .LBB356_761
; %bb.758:                              ;   in Loop: Header=BB356_16 Depth=1
	v_lshrrev_b32_e32 v0, 3, v1
	v_dual_mov_b32 v36, v8 :: v_dual_mov_b32 v35, v7
	s_mov_b32 s24, exec_lo
	v_cmpx_gt_u32_e32 8, v1
; %bb.759:                              ;   in Loop: Header=BB356_16 Depth=1
	v_and_b32_e32 v0, 7, v34
	s_delay_alu instid0(VALU_DEP_1) | instskip(NEXT) | instid1(VALU_DEP_1)
	v_clz_i32_u32_e32 v0, v0
	v_min_u32_e32 v0, 32, v0
	s_delay_alu instid0(VALU_DEP_1) | instskip(SKIP_1) | instid1(VALU_DEP_2)
	v_subrev_nc_u32_e32 v1, 28, v0
	v_sub_nc_u32_e32 v0, 29, v0
	v_lshlrev_b64 v[35:36], v1, v[7:8]
; %bb.760:                              ;   in Loop: Header=BB356_16 Depth=1
	s_or_b32 exec_lo, exec_lo, s24
	v_lshlrev_b32_e32 v1, 8, v34
	s_delay_alu instid0(VALU_DEP_3) | instskip(NEXT) | instid1(VALU_DEP_3)
	v_lshl_add_u32 v0, v0, 10, 0x2000
	v_lshlrev_b32_e32 v2, 7, v35
	s_delay_alu instid0(VALU_DEP_2) | instskip(NEXT) | instid1(VALU_DEP_1)
	v_and_or_b32 v0, 0x8000, v1, v0
	v_and_or_b32 v0, 0x380, v2, v0
	s_delay_alu instid0(VALU_DEP_1)
	v_cvt_f32_f16_e32 v111, v0
.LBB356_761:                            ;   in Loop: Header=BB356_16 Depth=1
	s_or_b32 exec_lo, exec_lo, s23
.LBB356_762:                            ;   in Loop: Header=BB356_16 Depth=1
	s_delay_alu instid0(SALU_CYCLE_1)
	s_or_b32 exec_lo, exec_lo, s22
.LBB356_763:                            ;   in Loop: Header=BB356_16 Depth=1
	s_delay_alu instid0(SALU_CYCLE_1) | instskip(SKIP_2) | instid1(VALU_DEP_1)
	s_or_b32 exec_lo, exec_lo, s21
	v_lshrrev_b16 v0, 8, v7
	s_mov_b32 s21, exec_lo
	v_cmpx_ne_u16_e32 0, v0
	s_cbranch_execz .LBB356_771
; %bb.764:                              ;   in Loop: Header=BB356_16 Depth=1
	v_bfrev_b32_e32 v120, 1
	s_mov_b32 s22, exec_lo
	v_cmpx_ne_u16_e32 0x80, v0
	s_cbranch_execz .LBB356_770
; %bb.765:                              ;   in Loop: Header=BB356_16 Depth=1
	v_and_b32_e32 v0, 0xffff, v0
	v_mov_b32_e32 v120, 0x7fc02000
	s_mov_b32 s23, exec_lo
	s_delay_alu instid0(VALU_DEP_2) | instskip(NEXT) | instid1(VALU_DEP_1)
	v_and_b32_e32 v2, 0x7f, v0
	v_cmpx_ne_u32_e32 0x7f, v2
	s_cbranch_execz .LBB356_769
; %bb.766:                              ;   in Loop: Header=BB356_16 Depth=1
	v_and_b32_e32 v7, 7, v0
	v_lshrrev_b32_e32 v1, 3, v2
	v_mov_b32_e32 v36, v8
	s_mov_b32 s24, exec_lo
	s_delay_alu instid0(VALU_DEP_3)
	v_mov_b32_e32 v35, v7
	v_cmpx_gt_u32_e32 8, v2
; %bb.767:                              ;   in Loop: Header=BB356_16 Depth=1
	v_clz_i32_u32_e32 v1, v7
	s_delay_alu instid0(VALU_DEP_1) | instskip(NEXT) | instid1(VALU_DEP_1)
	v_min_u32_e32 v1, 32, v1
	v_subrev_nc_u32_e32 v2, 28, v1
	v_sub_nc_u32_e32 v1, 29, v1
	s_delay_alu instid0(VALU_DEP_2) | instskip(NEXT) | instid1(VALU_DEP_1)
	v_lshlrev_b64 v[2:3], v2, v[7:8]
	v_and_b32_e32 v35, 7, v2
; %bb.768:                              ;   in Loop: Header=BB356_16 Depth=1
	s_or_b32 exec_lo, exec_lo, s24
	v_lshlrev_b32_e32 v0, 8, v0
	v_lshl_add_u32 v1, v1, 10, 0x2000
	s_delay_alu instid0(VALU_DEP_1) | instskip(NEXT) | instid1(VALU_DEP_1)
	v_and_or_b32 v0, 0x8000, v0, v1
	v_lshl_or_b32 v0, v35, 7, v0
	s_delay_alu instid0(VALU_DEP_1)
	v_cvt_f32_f16_e32 v120, v0
.LBB356_769:                            ;   in Loop: Header=BB356_16 Depth=1
	s_or_b32 exec_lo, exec_lo, s23
.LBB356_770:                            ;   in Loop: Header=BB356_16 Depth=1
	s_delay_alu instid0(SALU_CYCLE_1)
	s_or_b32 exec_lo, exec_lo, s22
.LBB356_771:                            ;   in Loop: Header=BB356_16 Depth=1
	s_delay_alu instid0(SALU_CYCLE_1) | instskip(SKIP_3) | instid1(VALU_DEP_2)
	s_or_b32 exec_lo, exec_lo, s21
	v_lshrrev_b32_e32 v0, 16, v34
	v_mov_b32_e32 v121, 0
	s_mov_b32 s21, exec_lo
	v_dual_mov_b32 v122, 0 :: v_dual_and_b32 v1, 0xff, v0
	s_delay_alu instid0(VALU_DEP_1)
	v_cmpx_ne_u16_e32 0, v1
	s_cbranch_execz .LBB356_779
; %bb.772:                              ;   in Loop: Header=BB356_16 Depth=1
	v_bfrev_b32_e32 v122, 1
	s_mov_b32 s22, exec_lo
	v_cmpx_ne_u16_e32 0x80, v1
	s_cbranch_execz .LBB356_778
; %bb.773:                              ;   in Loop: Header=BB356_16 Depth=1
	v_bfe_u32 v2, v34, 16, 7
	v_mov_b32_e32 v122, 0x7fc02000
	s_mov_b32 s23, exec_lo
	s_delay_alu instid0(VALU_DEP_2)
	v_cmpx_ne_u32_e32 0x7f, v2
	s_cbranch_execz .LBB356_777
; %bb.774:                              ;   in Loop: Header=BB356_16 Depth=1
	v_and_b32_e32 v7, 7, v0
	v_lshrrev_b32_e32 v1, 3, v2
	v_mov_b32_e32 v36, v8
	s_mov_b32 s24, exec_lo
	s_delay_alu instid0(VALU_DEP_3)
	v_mov_b32_e32 v35, v7
	v_cmpx_gt_u32_e32 8, v2
; %bb.775:                              ;   in Loop: Header=BB356_16 Depth=1
	v_clz_i32_u32_e32 v1, v7
	s_delay_alu instid0(VALU_DEP_1) | instskip(NEXT) | instid1(VALU_DEP_1)
	v_min_u32_e32 v1, 32, v1
	v_subrev_nc_u32_e32 v2, 28, v1
	v_sub_nc_u32_e32 v1, 29, v1
	s_delay_alu instid0(VALU_DEP_2) | instskip(NEXT) | instid1(VALU_DEP_1)
	v_lshlrev_b64 v[2:3], v2, v[7:8]
	v_and_b32_e32 v35, 7, v2
; %bb.776:                              ;   in Loop: Header=BB356_16 Depth=1
	s_or_b32 exec_lo, exec_lo, s24
	v_lshlrev_b32_e32 v0, 8, v0
	v_lshl_add_u32 v1, v1, 10, 0x2000
	s_delay_alu instid0(VALU_DEP_1) | instskip(NEXT) | instid1(VALU_DEP_1)
	v_and_or_b32 v0, 0x8000, v0, v1
	v_lshl_or_b32 v0, v35, 7, v0
	s_delay_alu instid0(VALU_DEP_1)
	v_cvt_f32_f16_e32 v122, v0
.LBB356_777:                            ;   in Loop: Header=BB356_16 Depth=1
	s_or_b32 exec_lo, exec_lo, s23
.LBB356_778:                            ;   in Loop: Header=BB356_16 Depth=1
	s_delay_alu instid0(SALU_CYCLE_1)
	s_or_b32 exec_lo, exec_lo, s22
.LBB356_779:                            ;   in Loop: Header=BB356_16 Depth=1
	s_delay_alu instid0(SALU_CYCLE_1) | instskip(NEXT) | instid1(SALU_CYCLE_1)
	s_or_b32 exec_lo, exec_lo, s21
	s_mov_b32 s21, exec_lo
	v_cmpx_lt_u64_e64 s[8:9], v[33:34]
	s_cbranch_execz .LBB356_787
; %bb.780:                              ;   in Loop: Header=BB356_16 Depth=1
	v_lshrrev_b32_e32 v0, 24, v34
	v_bfrev_b32_e32 v121, 1
	s_mov_b32 s22, exec_lo
	s_delay_alu instid0(VALU_DEP_2)
	v_cmpx_ne_u32_e32 0x80, v0
	s_cbranch_execz .LBB356_786
; %bb.781:                              ;   in Loop: Header=BB356_16 Depth=1
	v_and_b32_e32 v2, 0x7f, v0
	v_mov_b32_e32 v121, 0x7fc02000
	s_mov_b32 s23, exec_lo
	s_delay_alu instid0(VALU_DEP_2)
	v_cmpx_ne_u32_e32 0x7f, v2
	s_cbranch_execz .LBB356_785
; %bb.782:                              ;   in Loop: Header=BB356_16 Depth=1
	v_and_b32_e32 v7, 7, v0
	v_lshrrev_b32_e32 v1, 3, v2
	v_mov_b32_e32 v34, v8
	s_mov_b32 s24, exec_lo
	s_delay_alu instid0(VALU_DEP_3)
	v_mov_b32_e32 v33, v7
	v_cmpx_gt_u32_e32 8, v2
; %bb.783:                              ;   in Loop: Header=BB356_16 Depth=1
	v_clz_i32_u32_e32 v1, v7
	s_delay_alu instid0(VALU_DEP_1) | instskip(NEXT) | instid1(VALU_DEP_1)
	v_min_u32_e32 v1, 32, v1
	v_subrev_nc_u32_e32 v2, 28, v1
	v_sub_nc_u32_e32 v1, 29, v1
	s_delay_alu instid0(VALU_DEP_2) | instskip(NEXT) | instid1(VALU_DEP_1)
	v_lshlrev_b64 v[2:3], v2, v[7:8]
	v_and_b32_e32 v33, 7, v2
; %bb.784:                              ;   in Loop: Header=BB356_16 Depth=1
	s_or_b32 exec_lo, exec_lo, s24
	v_lshlrev_b32_e32 v0, 8, v0
	v_lshl_add_u32 v1, v1, 10, 0x2000
	s_delay_alu instid0(VALU_DEP_1) | instskip(NEXT) | instid1(VALU_DEP_1)
	v_and_or_b32 v0, 0x8000, v0, v1
	v_lshl_or_b32 v0, v33, 7, v0
	s_delay_alu instid0(VALU_DEP_1)
	v_cvt_f32_f16_e32 v121, v0
.LBB356_785:                            ;   in Loop: Header=BB356_16 Depth=1
	s_or_b32 exec_lo, exec_lo, s23
.LBB356_786:                            ;   in Loop: Header=BB356_16 Depth=1
	s_delay_alu instid0(SALU_CYCLE_1)
	s_or_b32 exec_lo, exec_lo, s22
.LBB356_787:                            ;   in Loop: Header=BB356_16 Depth=1
	s_delay_alu instid0(SALU_CYCLE_1)
	s_or_b32 exec_lo, exec_lo, s21
	flat_load_b64 v[33:34], v[31:32] offset:3072
	v_mov_b32_e32 v124, 0
	s_mov_b32 s21, exec_lo
	s_waitcnt vmcnt(0) lgkmcnt(0)
	v_dual_mov_b32 v123, 0 :: v_dual_and_b32 v0, 0xff, v33
	s_delay_alu instid0(VALU_DEP_1)
	v_cmpx_ne_u16_e32 0, v0
	s_cbranch_execz .LBB356_795
; %bb.788:                              ;   in Loop: Header=BB356_16 Depth=1
	v_bfrev_b32_e32 v123, 1
	s_mov_b32 s22, exec_lo
	v_cmpx_ne_u16_e32 0x80, v0
	s_cbranch_execz .LBB356_794
; %bb.789:                              ;   in Loop: Header=BB356_16 Depth=1
	v_and_b32_e32 v1, 0x7f, v33
	v_mov_b32_e32 v123, 0x7fc02000
	s_mov_b32 s23, exec_lo
	s_delay_alu instid0(VALU_DEP_2)
	v_cmpx_ne_u32_e32 0x7f, v1
	s_cbranch_execz .LBB356_793
; %bb.790:                              ;   in Loop: Header=BB356_16 Depth=1
	v_lshrrev_b32_e32 v0, 3, v1
	v_dual_mov_b32 v36, v34 :: v_dual_mov_b32 v35, v33
	s_mov_b32 s24, exec_lo
	v_cmpx_gt_u32_e32 8, v1
; %bb.791:                              ;   in Loop: Header=BB356_16 Depth=1
	v_and_b32_e32 v0, 7, v33
	s_delay_alu instid0(VALU_DEP_1) | instskip(NEXT) | instid1(VALU_DEP_1)
	v_clz_i32_u32_e32 v0, v0
	v_min_u32_e32 v0, 32, v0
	s_delay_alu instid0(VALU_DEP_1) | instskip(SKIP_1) | instid1(VALU_DEP_2)
	v_subrev_nc_u32_e32 v1, 28, v0
	v_sub_nc_u32_e32 v0, 29, v0
	v_lshlrev_b64 v[35:36], v1, v[33:34]
; %bb.792:                              ;   in Loop: Header=BB356_16 Depth=1
	s_or_b32 exec_lo, exec_lo, s24
	v_lshlrev_b32_e32 v1, 8, v33
	s_delay_alu instid0(VALU_DEP_3) | instskip(NEXT) | instid1(VALU_DEP_3)
	v_lshl_add_u32 v0, v0, 10, 0x2000
	v_lshlrev_b32_e32 v2, 7, v35
	s_delay_alu instid0(VALU_DEP_2) | instskip(NEXT) | instid1(VALU_DEP_1)
	v_and_or_b32 v0, 0x8000, v1, v0
	v_and_or_b32 v0, 0x380, v2, v0
	s_delay_alu instid0(VALU_DEP_1)
	v_cvt_f32_f16_e32 v123, v0
.LBB356_793:                            ;   in Loop: Header=BB356_16 Depth=1
	s_or_b32 exec_lo, exec_lo, s23
.LBB356_794:                            ;   in Loop: Header=BB356_16 Depth=1
	s_delay_alu instid0(SALU_CYCLE_1)
	s_or_b32 exec_lo, exec_lo, s22
.LBB356_795:                            ;   in Loop: Header=BB356_16 Depth=1
	s_delay_alu instid0(SALU_CYCLE_1) | instskip(SKIP_2) | instid1(VALU_DEP_1)
	s_or_b32 exec_lo, exec_lo, s21
	v_lshrrev_b16 v0, 8, v33
	s_mov_b32 s21, exec_lo
	v_cmpx_ne_u16_e32 0, v0
	s_cbranch_execz .LBB356_803
; %bb.796:                              ;   in Loop: Header=BB356_16 Depth=1
	v_bfrev_b32_e32 v124, 1
	s_mov_b32 s22, exec_lo
	v_cmpx_ne_u16_e32 0x80, v0
	s_cbranch_execz .LBB356_802
; %bb.797:                              ;   in Loop: Header=BB356_16 Depth=1
	v_and_b32_e32 v0, 0xffff, v0
	v_mov_b32_e32 v124, 0x7fc02000
	s_mov_b32 s23, exec_lo
	s_delay_alu instid0(VALU_DEP_2) | instskip(NEXT) | instid1(VALU_DEP_1)
	v_and_b32_e32 v2, 0x7f, v0
	v_cmpx_ne_u32_e32 0x7f, v2
	s_cbranch_execz .LBB356_801
; %bb.798:                              ;   in Loop: Header=BB356_16 Depth=1
	v_and_b32_e32 v7, 7, v0
	v_lshrrev_b32_e32 v1, 3, v2
	v_mov_b32_e32 v36, v8
	s_mov_b32 s24, exec_lo
	s_delay_alu instid0(VALU_DEP_3)
	v_mov_b32_e32 v35, v7
	v_cmpx_gt_u32_e32 8, v2
; %bb.799:                              ;   in Loop: Header=BB356_16 Depth=1
	v_clz_i32_u32_e32 v1, v7
	s_delay_alu instid0(VALU_DEP_1) | instskip(NEXT) | instid1(VALU_DEP_1)
	v_min_u32_e32 v1, 32, v1
	v_subrev_nc_u32_e32 v2, 28, v1
	v_sub_nc_u32_e32 v1, 29, v1
	s_delay_alu instid0(VALU_DEP_2) | instskip(NEXT) | instid1(VALU_DEP_1)
	v_lshlrev_b64 v[2:3], v2, v[7:8]
	v_and_b32_e32 v35, 7, v2
; %bb.800:                              ;   in Loop: Header=BB356_16 Depth=1
	s_or_b32 exec_lo, exec_lo, s24
	v_lshlrev_b32_e32 v0, 8, v0
	v_lshl_add_u32 v1, v1, 10, 0x2000
	s_delay_alu instid0(VALU_DEP_1) | instskip(NEXT) | instid1(VALU_DEP_1)
	v_and_or_b32 v0, 0x8000, v0, v1
	v_lshl_or_b32 v0, v35, 7, v0
	s_delay_alu instid0(VALU_DEP_1)
	v_cvt_f32_f16_e32 v124, v0
.LBB356_801:                            ;   in Loop: Header=BB356_16 Depth=1
	s_or_b32 exec_lo, exec_lo, s23
.LBB356_802:                            ;   in Loop: Header=BB356_16 Depth=1
	s_delay_alu instid0(SALU_CYCLE_1)
	s_or_b32 exec_lo, exec_lo, s22
.LBB356_803:                            ;   in Loop: Header=BB356_16 Depth=1
	s_delay_alu instid0(SALU_CYCLE_1) | instskip(SKIP_3) | instid1(VALU_DEP_2)
	s_or_b32 exec_lo, exec_lo, s21
	v_lshrrev_b32_e32 v0, 16, v33
	v_mov_b32_e32 v125, 0
	s_mov_b32 s21, exec_lo
	v_dual_mov_b32 v126, 0 :: v_dual_and_b32 v1, 0xff, v0
	s_delay_alu instid0(VALU_DEP_1)
	v_cmpx_ne_u16_e32 0, v1
	s_cbranch_execz .LBB356_811
; %bb.804:                              ;   in Loop: Header=BB356_16 Depth=1
	v_bfrev_b32_e32 v125, 1
	s_mov_b32 s22, exec_lo
	v_cmpx_ne_u16_e32 0x80, v1
	s_cbranch_execz .LBB356_810
; %bb.805:                              ;   in Loop: Header=BB356_16 Depth=1
	v_bfe_u32 v2, v33, 16, 7
	v_mov_b32_e32 v125, 0x7fc02000
	s_mov_b32 s23, exec_lo
	s_delay_alu instid0(VALU_DEP_2)
	v_cmpx_ne_u32_e32 0x7f, v2
	s_cbranch_execz .LBB356_809
; %bb.806:                              ;   in Loop: Header=BB356_16 Depth=1
	v_and_b32_e32 v7, 7, v0
	v_lshrrev_b32_e32 v1, 3, v2
	v_mov_b32_e32 v36, v8
	s_mov_b32 s24, exec_lo
	s_delay_alu instid0(VALU_DEP_3)
	v_mov_b32_e32 v35, v7
	v_cmpx_gt_u32_e32 8, v2
; %bb.807:                              ;   in Loop: Header=BB356_16 Depth=1
	v_clz_i32_u32_e32 v1, v7
	s_delay_alu instid0(VALU_DEP_1) | instskip(NEXT) | instid1(VALU_DEP_1)
	v_min_u32_e32 v1, 32, v1
	v_subrev_nc_u32_e32 v2, 28, v1
	v_sub_nc_u32_e32 v1, 29, v1
	s_delay_alu instid0(VALU_DEP_2) | instskip(NEXT) | instid1(VALU_DEP_1)
	v_lshlrev_b64 v[2:3], v2, v[7:8]
	v_and_b32_e32 v35, 7, v2
; %bb.808:                              ;   in Loop: Header=BB356_16 Depth=1
	s_or_b32 exec_lo, exec_lo, s24
	v_lshlrev_b32_e32 v0, 8, v0
	v_lshl_add_u32 v1, v1, 10, 0x2000
	s_delay_alu instid0(VALU_DEP_1) | instskip(NEXT) | instid1(VALU_DEP_1)
	v_and_or_b32 v0, 0x8000, v0, v1
	v_lshl_or_b32 v0, v35, 7, v0
	s_delay_alu instid0(VALU_DEP_1)
	v_cvt_f32_f16_e32 v125, v0
.LBB356_809:                            ;   in Loop: Header=BB356_16 Depth=1
	s_or_b32 exec_lo, exec_lo, s23
.LBB356_810:                            ;   in Loop: Header=BB356_16 Depth=1
	s_delay_alu instid0(SALU_CYCLE_1)
	s_or_b32 exec_lo, exec_lo, s22
.LBB356_811:                            ;   in Loop: Header=BB356_16 Depth=1
	s_delay_alu instid0(SALU_CYCLE_1) | instskip(NEXT) | instid1(SALU_CYCLE_1)
	s_or_b32 exec_lo, exec_lo, s21
	s_mov_b32 s21, exec_lo
	v_cmpx_lt_u32_e32 0xffffff, v33
	s_cbranch_execz .LBB356_819
; %bb.812:                              ;   in Loop: Header=BB356_16 Depth=1
	v_lshrrev_b32_e32 v0, 24, v33
	v_bfrev_b32_e32 v126, 1
	s_mov_b32 s22, exec_lo
	s_delay_alu instid0(VALU_DEP_2)
	v_cmpx_ne_u32_e32 0x80, v0
	s_cbranch_execz .LBB356_818
; %bb.813:                              ;   in Loop: Header=BB356_16 Depth=1
	v_and_b32_e32 v2, 0x7f, v0
	v_mov_b32_e32 v126, 0x7fc02000
	s_mov_b32 s23, exec_lo
	s_delay_alu instid0(VALU_DEP_2)
	v_cmpx_ne_u32_e32 0x7f, v2
	s_cbranch_execz .LBB356_817
; %bb.814:                              ;   in Loop: Header=BB356_16 Depth=1
	v_and_b32_e32 v7, 7, v0
	v_lshrrev_b32_e32 v1, 3, v2
	v_mov_b32_e32 v36, v8
	s_mov_b32 s24, exec_lo
	s_delay_alu instid0(VALU_DEP_3)
	v_mov_b32_e32 v35, v7
	v_cmpx_gt_u32_e32 8, v2
; %bb.815:                              ;   in Loop: Header=BB356_16 Depth=1
	v_clz_i32_u32_e32 v1, v7
	s_delay_alu instid0(VALU_DEP_1) | instskip(NEXT) | instid1(VALU_DEP_1)
	v_min_u32_e32 v1, 32, v1
	v_subrev_nc_u32_e32 v2, 28, v1
	v_sub_nc_u32_e32 v1, 29, v1
	s_delay_alu instid0(VALU_DEP_2) | instskip(NEXT) | instid1(VALU_DEP_1)
	v_lshlrev_b64 v[2:3], v2, v[7:8]
	v_and_b32_e32 v35, 7, v2
; %bb.816:                              ;   in Loop: Header=BB356_16 Depth=1
	s_or_b32 exec_lo, exec_lo, s24
	v_lshlrev_b32_e32 v0, 8, v0
	v_lshl_add_u32 v1, v1, 10, 0x2000
	s_delay_alu instid0(VALU_DEP_1) | instskip(NEXT) | instid1(VALU_DEP_1)
	v_and_or_b32 v0, 0x8000, v0, v1
	v_lshl_or_b32 v0, v35, 7, v0
	s_delay_alu instid0(VALU_DEP_1)
	v_cvt_f32_f16_e32 v126, v0
.LBB356_817:                            ;   in Loop: Header=BB356_16 Depth=1
	s_or_b32 exec_lo, exec_lo, s23
.LBB356_818:                            ;   in Loop: Header=BB356_16 Depth=1
	s_delay_alu instid0(SALU_CYCLE_1)
	s_or_b32 exec_lo, exec_lo, s22
.LBB356_819:                            ;   in Loop: Header=BB356_16 Depth=1
	s_delay_alu instid0(SALU_CYCLE_1) | instskip(SKIP_3) | instid1(VALU_DEP_2)
	s_or_b32 exec_lo, exec_lo, s21
	v_dual_mov_b32 v7, v34 :: v_dual_and_b32 v0, 0xff, v34
	v_dual_mov_b32 v136, 0 :: v_dual_mov_b32 v127, 0
	s_mov_b32 s21, exec_lo
	v_cmpx_ne_u16_e32 0, v0
	s_cbranch_execz .LBB356_827
; %bb.820:                              ;   in Loop: Header=BB356_16 Depth=1
	v_bfrev_b32_e32 v127, 1
	s_mov_b32 s22, exec_lo
	v_cmpx_ne_u16_e32 0x80, v0
	s_cbranch_execz .LBB356_826
; %bb.821:                              ;   in Loop: Header=BB356_16 Depth=1
	v_and_b32_e32 v1, 0x7f, v34
	v_mov_b32_e32 v127, 0x7fc02000
	s_mov_b32 s23, exec_lo
	s_delay_alu instid0(VALU_DEP_2)
	v_cmpx_ne_u32_e32 0x7f, v1
	s_cbranch_execz .LBB356_825
; %bb.822:                              ;   in Loop: Header=BB356_16 Depth=1
	v_lshrrev_b32_e32 v0, 3, v1
	v_dual_mov_b32 v36, v8 :: v_dual_mov_b32 v35, v7
	s_mov_b32 s24, exec_lo
	v_cmpx_gt_u32_e32 8, v1
; %bb.823:                              ;   in Loop: Header=BB356_16 Depth=1
	v_and_b32_e32 v0, 7, v34
	s_delay_alu instid0(VALU_DEP_1) | instskip(NEXT) | instid1(VALU_DEP_1)
	v_clz_i32_u32_e32 v0, v0
	v_min_u32_e32 v0, 32, v0
	s_delay_alu instid0(VALU_DEP_1) | instskip(SKIP_1) | instid1(VALU_DEP_2)
	v_subrev_nc_u32_e32 v1, 28, v0
	v_sub_nc_u32_e32 v0, 29, v0
	v_lshlrev_b64 v[35:36], v1, v[7:8]
; %bb.824:                              ;   in Loop: Header=BB356_16 Depth=1
	s_or_b32 exec_lo, exec_lo, s24
	v_lshlrev_b32_e32 v1, 8, v34
	s_delay_alu instid0(VALU_DEP_3) | instskip(NEXT) | instid1(VALU_DEP_3)
	v_lshl_add_u32 v0, v0, 10, 0x2000
	v_lshlrev_b32_e32 v2, 7, v35
	s_delay_alu instid0(VALU_DEP_2) | instskip(NEXT) | instid1(VALU_DEP_1)
	v_and_or_b32 v0, 0x8000, v1, v0
	v_and_or_b32 v0, 0x380, v2, v0
	s_delay_alu instid0(VALU_DEP_1)
	v_cvt_f32_f16_e32 v127, v0
.LBB356_825:                            ;   in Loop: Header=BB356_16 Depth=1
	s_or_b32 exec_lo, exec_lo, s23
.LBB356_826:                            ;   in Loop: Header=BB356_16 Depth=1
	s_delay_alu instid0(SALU_CYCLE_1)
	s_or_b32 exec_lo, exec_lo, s22
.LBB356_827:                            ;   in Loop: Header=BB356_16 Depth=1
	s_delay_alu instid0(SALU_CYCLE_1) | instskip(SKIP_2) | instid1(VALU_DEP_1)
	s_or_b32 exec_lo, exec_lo, s21
	v_lshrrev_b16 v0, 8, v7
	s_mov_b32 s21, exec_lo
	v_cmpx_ne_u16_e32 0, v0
	s_cbranch_execz .LBB356_835
; %bb.828:                              ;   in Loop: Header=BB356_16 Depth=1
	v_bfrev_b32_e32 v136, 1
	s_mov_b32 s22, exec_lo
	v_cmpx_ne_u16_e32 0x80, v0
	s_cbranch_execz .LBB356_834
; %bb.829:                              ;   in Loop: Header=BB356_16 Depth=1
	v_and_b32_e32 v0, 0xffff, v0
	v_mov_b32_e32 v136, 0x7fc02000
	s_mov_b32 s23, exec_lo
	s_delay_alu instid0(VALU_DEP_2) | instskip(NEXT) | instid1(VALU_DEP_1)
	v_and_b32_e32 v2, 0x7f, v0
	v_cmpx_ne_u32_e32 0x7f, v2
	s_cbranch_execz .LBB356_833
; %bb.830:                              ;   in Loop: Header=BB356_16 Depth=1
	v_and_b32_e32 v7, 7, v0
	v_lshrrev_b32_e32 v1, 3, v2
	v_mov_b32_e32 v36, v8
	s_mov_b32 s24, exec_lo
	s_delay_alu instid0(VALU_DEP_3)
	v_mov_b32_e32 v35, v7
	v_cmpx_gt_u32_e32 8, v2
; %bb.831:                              ;   in Loop: Header=BB356_16 Depth=1
	v_clz_i32_u32_e32 v1, v7
	s_delay_alu instid0(VALU_DEP_1) | instskip(NEXT) | instid1(VALU_DEP_1)
	v_min_u32_e32 v1, 32, v1
	v_subrev_nc_u32_e32 v2, 28, v1
	v_sub_nc_u32_e32 v1, 29, v1
	s_delay_alu instid0(VALU_DEP_2) | instskip(NEXT) | instid1(VALU_DEP_1)
	v_lshlrev_b64 v[2:3], v2, v[7:8]
	v_and_b32_e32 v35, 7, v2
; %bb.832:                              ;   in Loop: Header=BB356_16 Depth=1
	s_or_b32 exec_lo, exec_lo, s24
	v_lshlrev_b32_e32 v0, 8, v0
	v_lshl_add_u32 v1, v1, 10, 0x2000
	s_delay_alu instid0(VALU_DEP_1) | instskip(NEXT) | instid1(VALU_DEP_1)
	v_and_or_b32 v0, 0x8000, v0, v1
	v_lshl_or_b32 v0, v35, 7, v0
	s_delay_alu instid0(VALU_DEP_1)
	v_cvt_f32_f16_e64 v136, v0
.LBB356_833:                            ;   in Loop: Header=BB356_16 Depth=1
	s_or_b32 exec_lo, exec_lo, s23
.LBB356_834:                            ;   in Loop: Header=BB356_16 Depth=1
	s_delay_alu instid0(SALU_CYCLE_1)
	s_or_b32 exec_lo, exec_lo, s22
.LBB356_835:                            ;   in Loop: Header=BB356_16 Depth=1
	s_delay_alu instid0(SALU_CYCLE_1) | instskip(SKIP_3) | instid1(VALU_DEP_2)
	s_or_b32 exec_lo, exec_lo, s21
	v_lshrrev_b32_e32 v0, 16, v34
	v_mov_b32_e32 v137, 0
	s_mov_b32 s21, exec_lo
	v_dual_mov_b32 v138, 0 :: v_dual_and_b32 v1, 0xff, v0
	s_delay_alu instid0(VALU_DEP_1)
	v_cmpx_ne_u16_e32 0, v1
	s_cbranch_execz .LBB356_843
; %bb.836:                              ;   in Loop: Header=BB356_16 Depth=1
	v_bfrev_b32_e32 v138, 1
	s_mov_b32 s22, exec_lo
	v_cmpx_ne_u16_e32 0x80, v1
	s_cbranch_execz .LBB356_842
; %bb.837:                              ;   in Loop: Header=BB356_16 Depth=1
	v_bfe_u32 v2, v34, 16, 7
	v_mov_b32_e32 v138, 0x7fc02000
	s_mov_b32 s23, exec_lo
	s_delay_alu instid0(VALU_DEP_2)
	v_cmpx_ne_u32_e32 0x7f, v2
	s_cbranch_execz .LBB356_841
; %bb.838:                              ;   in Loop: Header=BB356_16 Depth=1
	v_and_b32_e32 v7, 7, v0
	v_lshrrev_b32_e32 v1, 3, v2
	v_mov_b32_e32 v36, v8
	s_mov_b32 s24, exec_lo
	s_delay_alu instid0(VALU_DEP_3)
	v_mov_b32_e32 v35, v7
	v_cmpx_gt_u32_e32 8, v2
; %bb.839:                              ;   in Loop: Header=BB356_16 Depth=1
	v_clz_i32_u32_e32 v1, v7
	s_delay_alu instid0(VALU_DEP_1) | instskip(NEXT) | instid1(VALU_DEP_1)
	v_min_u32_e32 v1, 32, v1
	v_subrev_nc_u32_e32 v2, 28, v1
	v_sub_nc_u32_e32 v1, 29, v1
	s_delay_alu instid0(VALU_DEP_2) | instskip(NEXT) | instid1(VALU_DEP_1)
	v_lshlrev_b64 v[2:3], v2, v[7:8]
	v_and_b32_e32 v35, 7, v2
; %bb.840:                              ;   in Loop: Header=BB356_16 Depth=1
	s_or_b32 exec_lo, exec_lo, s24
	v_lshlrev_b32_e32 v0, 8, v0
	v_lshl_add_u32 v1, v1, 10, 0x2000
	s_delay_alu instid0(VALU_DEP_1) | instskip(NEXT) | instid1(VALU_DEP_1)
	v_and_or_b32 v0, 0x8000, v0, v1
	v_lshl_or_b32 v0, v35, 7, v0
	s_delay_alu instid0(VALU_DEP_1)
	v_cvt_f32_f16_e64 v138, v0
.LBB356_841:                            ;   in Loop: Header=BB356_16 Depth=1
	s_or_b32 exec_lo, exec_lo, s23
.LBB356_842:                            ;   in Loop: Header=BB356_16 Depth=1
	s_delay_alu instid0(SALU_CYCLE_1)
	s_or_b32 exec_lo, exec_lo, s22
.LBB356_843:                            ;   in Loop: Header=BB356_16 Depth=1
	s_delay_alu instid0(SALU_CYCLE_1) | instskip(NEXT) | instid1(SALU_CYCLE_1)
	s_or_b32 exec_lo, exec_lo, s21
	s_mov_b32 s21, exec_lo
	v_cmpx_lt_u64_e64 s[8:9], v[33:34]
	s_cbranch_execz .LBB356_851
; %bb.844:                              ;   in Loop: Header=BB356_16 Depth=1
	v_lshrrev_b32_e32 v0, 24, v34
	v_bfrev_b32_e32 v137, 1
	s_mov_b32 s22, exec_lo
	s_delay_alu instid0(VALU_DEP_2)
	v_cmpx_ne_u32_e32 0x80, v0
	s_cbranch_execz .LBB356_850
; %bb.845:                              ;   in Loop: Header=BB356_16 Depth=1
	v_and_b32_e32 v2, 0x7f, v0
	v_mov_b32_e32 v137, 0x7fc02000
	s_mov_b32 s23, exec_lo
	s_delay_alu instid0(VALU_DEP_2)
	v_cmpx_ne_u32_e32 0x7f, v2
	s_cbranch_execz .LBB356_849
; %bb.846:                              ;   in Loop: Header=BB356_16 Depth=1
	v_and_b32_e32 v7, 7, v0
	v_lshrrev_b32_e32 v1, 3, v2
	v_mov_b32_e32 v34, v8
	s_mov_b32 s24, exec_lo
	s_delay_alu instid0(VALU_DEP_3)
	v_mov_b32_e32 v33, v7
	v_cmpx_gt_u32_e32 8, v2
; %bb.847:                              ;   in Loop: Header=BB356_16 Depth=1
	v_clz_i32_u32_e32 v1, v7
	s_delay_alu instid0(VALU_DEP_1) | instskip(NEXT) | instid1(VALU_DEP_1)
	v_min_u32_e32 v1, 32, v1
	v_subrev_nc_u32_e32 v2, 28, v1
	v_sub_nc_u32_e32 v1, 29, v1
	s_delay_alu instid0(VALU_DEP_2) | instskip(NEXT) | instid1(VALU_DEP_1)
	v_lshlrev_b64 v[2:3], v2, v[7:8]
	v_and_b32_e32 v33, 7, v2
; %bb.848:                              ;   in Loop: Header=BB356_16 Depth=1
	s_or_b32 exec_lo, exec_lo, s24
	v_lshlrev_b32_e32 v0, 8, v0
	v_lshl_add_u32 v1, v1, 10, 0x2000
	s_delay_alu instid0(VALU_DEP_1) | instskip(NEXT) | instid1(VALU_DEP_1)
	v_and_or_b32 v0, 0x8000, v0, v1
	v_lshl_or_b32 v0, v33, 7, v0
	s_delay_alu instid0(VALU_DEP_1)
	v_cvt_f32_f16_e64 v137, v0
.LBB356_849:                            ;   in Loop: Header=BB356_16 Depth=1
	s_or_b32 exec_lo, exec_lo, s23
.LBB356_850:                            ;   in Loop: Header=BB356_16 Depth=1
	s_delay_alu instid0(SALU_CYCLE_1)
	s_or_b32 exec_lo, exec_lo, s22
.LBB356_851:                            ;   in Loop: Header=BB356_16 Depth=1
	s_delay_alu instid0(SALU_CYCLE_1)
	s_or_b32 exec_lo, exec_lo, s21
	flat_load_b64 v[33:34], v[31:32] offset:3080
	v_mov_b32_e32 v140, 0
	s_mov_b32 s21, exec_lo
	s_waitcnt vmcnt(0) lgkmcnt(0)
	v_dual_mov_b32 v139, 0 :: v_dual_and_b32 v0, 0xff, v33
	s_delay_alu instid0(VALU_DEP_1)
	v_cmpx_ne_u16_e32 0, v0
	s_cbranch_execz .LBB356_859
; %bb.852:                              ;   in Loop: Header=BB356_16 Depth=1
	v_bfrev_b32_e32 v139, 1
	s_mov_b32 s22, exec_lo
	v_cmpx_ne_u16_e32 0x80, v0
	s_cbranch_execz .LBB356_858
; %bb.853:                              ;   in Loop: Header=BB356_16 Depth=1
	v_and_b32_e32 v1, 0x7f, v33
	v_mov_b32_e32 v139, 0x7fc02000
	s_mov_b32 s23, exec_lo
	s_delay_alu instid0(VALU_DEP_2)
	v_cmpx_ne_u32_e32 0x7f, v1
	s_cbranch_execz .LBB356_857
; %bb.854:                              ;   in Loop: Header=BB356_16 Depth=1
	v_lshrrev_b32_e32 v0, 3, v1
	v_dual_mov_b32 v36, v34 :: v_dual_mov_b32 v35, v33
	s_mov_b32 s24, exec_lo
	v_cmpx_gt_u32_e32 8, v1
; %bb.855:                              ;   in Loop: Header=BB356_16 Depth=1
	v_and_b32_e32 v0, 7, v33
	s_delay_alu instid0(VALU_DEP_1) | instskip(NEXT) | instid1(VALU_DEP_1)
	v_clz_i32_u32_e32 v0, v0
	v_min_u32_e32 v0, 32, v0
	s_delay_alu instid0(VALU_DEP_1) | instskip(SKIP_1) | instid1(VALU_DEP_2)
	v_subrev_nc_u32_e32 v1, 28, v0
	v_sub_nc_u32_e32 v0, 29, v0
	v_lshlrev_b64 v[35:36], v1, v[33:34]
; %bb.856:                              ;   in Loop: Header=BB356_16 Depth=1
	s_or_b32 exec_lo, exec_lo, s24
	v_lshlrev_b32_e32 v1, 8, v33
	s_delay_alu instid0(VALU_DEP_3) | instskip(NEXT) | instid1(VALU_DEP_3)
	v_lshl_add_u32 v0, v0, 10, 0x2000
	v_lshlrev_b32_e32 v2, 7, v35
	s_delay_alu instid0(VALU_DEP_2) | instskip(NEXT) | instid1(VALU_DEP_1)
	v_and_or_b32 v0, 0x8000, v1, v0
	v_and_or_b32 v0, 0x380, v2, v0
	s_delay_alu instid0(VALU_DEP_1)
	v_cvt_f32_f16_e64 v139, v0
.LBB356_857:                            ;   in Loop: Header=BB356_16 Depth=1
	s_or_b32 exec_lo, exec_lo, s23
.LBB356_858:                            ;   in Loop: Header=BB356_16 Depth=1
	s_delay_alu instid0(SALU_CYCLE_1)
	s_or_b32 exec_lo, exec_lo, s22
.LBB356_859:                            ;   in Loop: Header=BB356_16 Depth=1
	s_delay_alu instid0(SALU_CYCLE_1) | instskip(SKIP_2) | instid1(VALU_DEP_1)
	s_or_b32 exec_lo, exec_lo, s21
	v_lshrrev_b16 v0, 8, v33
	s_mov_b32 s21, exec_lo
	v_cmpx_ne_u16_e32 0, v0
	s_cbranch_execz .LBB356_867
; %bb.860:                              ;   in Loop: Header=BB356_16 Depth=1
	v_bfrev_b32_e32 v140, 1
	s_mov_b32 s22, exec_lo
	v_cmpx_ne_u16_e32 0x80, v0
	s_cbranch_execz .LBB356_866
; %bb.861:                              ;   in Loop: Header=BB356_16 Depth=1
	v_and_b32_e32 v0, 0xffff, v0
	v_mov_b32_e32 v140, 0x7fc02000
	s_mov_b32 s23, exec_lo
	s_delay_alu instid0(VALU_DEP_2) | instskip(NEXT) | instid1(VALU_DEP_1)
	v_and_b32_e32 v2, 0x7f, v0
	v_cmpx_ne_u32_e32 0x7f, v2
	s_cbranch_execz .LBB356_865
; %bb.862:                              ;   in Loop: Header=BB356_16 Depth=1
	v_and_b32_e32 v7, 7, v0
	v_lshrrev_b32_e32 v1, 3, v2
	v_mov_b32_e32 v36, v8
	s_mov_b32 s24, exec_lo
	s_delay_alu instid0(VALU_DEP_3)
	v_mov_b32_e32 v35, v7
	v_cmpx_gt_u32_e32 8, v2
; %bb.863:                              ;   in Loop: Header=BB356_16 Depth=1
	v_clz_i32_u32_e32 v1, v7
	s_delay_alu instid0(VALU_DEP_1) | instskip(NEXT) | instid1(VALU_DEP_1)
	v_min_u32_e32 v1, 32, v1
	v_subrev_nc_u32_e32 v2, 28, v1
	v_sub_nc_u32_e32 v1, 29, v1
	s_delay_alu instid0(VALU_DEP_2) | instskip(NEXT) | instid1(VALU_DEP_1)
	v_lshlrev_b64 v[2:3], v2, v[7:8]
	v_and_b32_e32 v35, 7, v2
; %bb.864:                              ;   in Loop: Header=BB356_16 Depth=1
	s_or_b32 exec_lo, exec_lo, s24
	v_lshlrev_b32_e32 v0, 8, v0
	v_lshl_add_u32 v1, v1, 10, 0x2000
	s_delay_alu instid0(VALU_DEP_1) | instskip(NEXT) | instid1(VALU_DEP_1)
	v_and_or_b32 v0, 0x8000, v0, v1
	v_lshl_or_b32 v0, v35, 7, v0
	s_delay_alu instid0(VALU_DEP_1)
	v_cvt_f32_f16_e64 v140, v0
.LBB356_865:                            ;   in Loop: Header=BB356_16 Depth=1
	s_or_b32 exec_lo, exec_lo, s23
.LBB356_866:                            ;   in Loop: Header=BB356_16 Depth=1
	s_delay_alu instid0(SALU_CYCLE_1)
	s_or_b32 exec_lo, exec_lo, s22
.LBB356_867:                            ;   in Loop: Header=BB356_16 Depth=1
	s_delay_alu instid0(SALU_CYCLE_1) | instskip(SKIP_3) | instid1(VALU_DEP_2)
	s_or_b32 exec_lo, exec_lo, s21
	v_lshrrev_b32_e32 v0, 16, v33
	v_mov_b32_e32 v141, 0
	s_mov_b32 s21, exec_lo
	v_dual_mov_b32 v142, 0 :: v_dual_and_b32 v1, 0xff, v0
	s_delay_alu instid0(VALU_DEP_1)
	v_cmpx_ne_u16_e32 0, v1
	s_cbranch_execz .LBB356_875
; %bb.868:                              ;   in Loop: Header=BB356_16 Depth=1
	v_bfrev_b32_e32 v142, 1
	s_mov_b32 s22, exec_lo
	v_cmpx_ne_u16_e32 0x80, v1
	s_cbranch_execz .LBB356_874
; %bb.869:                              ;   in Loop: Header=BB356_16 Depth=1
	v_bfe_u32 v2, v33, 16, 7
	v_mov_b32_e32 v142, 0x7fc02000
	s_mov_b32 s23, exec_lo
	s_delay_alu instid0(VALU_DEP_2)
	v_cmpx_ne_u32_e32 0x7f, v2
	s_cbranch_execz .LBB356_873
; %bb.870:                              ;   in Loop: Header=BB356_16 Depth=1
	v_and_b32_e32 v7, 7, v0
	v_mov_b32_e32 v36, v8
	v_lshrrev_b32_e32 v1, 3, v2
	s_mov_b32 s24, exec_lo
	s_delay_alu instid0(VALU_DEP_3)
	v_mov_b32_e32 v35, v7
	v_cmpx_gt_u32_e32 8, v2
; %bb.871:                              ;   in Loop: Header=BB356_16 Depth=1
	v_clz_i32_u32_e32 v1, v7
	s_delay_alu instid0(VALU_DEP_1) | instskip(NEXT) | instid1(VALU_DEP_1)
	v_min_u32_e32 v1, 32, v1
	v_subrev_nc_u32_e32 v2, 28, v1
	v_sub_nc_u32_e32 v1, 29, v1
	s_delay_alu instid0(VALU_DEP_2) | instskip(NEXT) | instid1(VALU_DEP_1)
	v_lshlrev_b64 v[2:3], v2, v[7:8]
	v_and_b32_e32 v35, 7, v2
; %bb.872:                              ;   in Loop: Header=BB356_16 Depth=1
	s_or_b32 exec_lo, exec_lo, s24
	v_lshlrev_b32_e32 v0, 8, v0
	v_lshl_add_u32 v1, v1, 10, 0x2000
	s_delay_alu instid0(VALU_DEP_1) | instskip(NEXT) | instid1(VALU_DEP_1)
	v_and_or_b32 v0, 0x8000, v0, v1
	v_lshl_or_b32 v0, v35, 7, v0
	s_delay_alu instid0(VALU_DEP_1)
	v_cvt_f32_f16_e64 v142, v0
.LBB356_873:                            ;   in Loop: Header=BB356_16 Depth=1
	s_or_b32 exec_lo, exec_lo, s23
.LBB356_874:                            ;   in Loop: Header=BB356_16 Depth=1
	s_delay_alu instid0(SALU_CYCLE_1)
	s_or_b32 exec_lo, exec_lo, s22
.LBB356_875:                            ;   in Loop: Header=BB356_16 Depth=1
	s_delay_alu instid0(SALU_CYCLE_1) | instskip(NEXT) | instid1(SALU_CYCLE_1)
	s_or_b32 exec_lo, exec_lo, s21
	s_mov_b32 s21, exec_lo
	v_cmpx_lt_u32_e32 0xffffff, v33
	s_cbranch_execz .LBB356_883
; %bb.876:                              ;   in Loop: Header=BB356_16 Depth=1
	v_lshrrev_b32_e32 v0, 24, v33
	v_bfrev_b32_e32 v141, 1
	s_mov_b32 s22, exec_lo
	s_delay_alu instid0(VALU_DEP_2)
	v_cmpx_ne_u32_e32 0x80, v0
	s_cbranch_execz .LBB356_882
; %bb.877:                              ;   in Loop: Header=BB356_16 Depth=1
	v_and_b32_e32 v2, 0x7f, v0
	v_mov_b32_e32 v141, 0x7fc02000
	s_mov_b32 s23, exec_lo
	s_delay_alu instid0(VALU_DEP_2)
	v_cmpx_ne_u32_e32 0x7f, v2
	s_cbranch_execz .LBB356_881
; %bb.878:                              ;   in Loop: Header=BB356_16 Depth=1
	v_and_b32_e32 v7, 7, v0
	v_lshrrev_b32_e32 v1, 3, v2
	v_mov_b32_e32 v36, v8
	s_mov_b32 s24, exec_lo
	s_delay_alu instid0(VALU_DEP_3)
	v_mov_b32_e32 v35, v7
	v_cmpx_gt_u32_e32 8, v2
; %bb.879:                              ;   in Loop: Header=BB356_16 Depth=1
	v_clz_i32_u32_e32 v1, v7
	s_delay_alu instid0(VALU_DEP_1) | instskip(NEXT) | instid1(VALU_DEP_1)
	v_min_u32_e32 v1, 32, v1
	v_subrev_nc_u32_e32 v2, 28, v1
	v_sub_nc_u32_e32 v1, 29, v1
	s_delay_alu instid0(VALU_DEP_2) | instskip(NEXT) | instid1(VALU_DEP_1)
	v_lshlrev_b64 v[2:3], v2, v[7:8]
	v_and_b32_e32 v35, 7, v2
; %bb.880:                              ;   in Loop: Header=BB356_16 Depth=1
	s_or_b32 exec_lo, exec_lo, s24
	v_lshlrev_b32_e32 v0, 8, v0
	v_lshl_add_u32 v1, v1, 10, 0x2000
	s_delay_alu instid0(VALU_DEP_1) | instskip(NEXT) | instid1(VALU_DEP_1)
	v_and_or_b32 v0, 0x8000, v0, v1
	v_lshl_or_b32 v0, v35, 7, v0
	s_delay_alu instid0(VALU_DEP_1)
	v_cvt_f32_f16_e64 v141, v0
.LBB356_881:                            ;   in Loop: Header=BB356_16 Depth=1
	s_or_b32 exec_lo, exec_lo, s23
.LBB356_882:                            ;   in Loop: Header=BB356_16 Depth=1
	s_delay_alu instid0(SALU_CYCLE_1)
	s_or_b32 exec_lo, exec_lo, s22
.LBB356_883:                            ;   in Loop: Header=BB356_16 Depth=1
	s_delay_alu instid0(SALU_CYCLE_1) | instskip(SKIP_3) | instid1(VALU_DEP_2)
	s_or_b32 exec_lo, exec_lo, s21
	v_dual_mov_b32 v7, v34 :: v_dual_and_b32 v0, 0xff, v34
	v_dual_mov_b32 v152, 0 :: v_dual_mov_b32 v143, 0
	s_mov_b32 s21, exec_lo
	v_cmpx_ne_u16_e32 0, v0
	s_cbranch_execz .LBB356_891
; %bb.884:                              ;   in Loop: Header=BB356_16 Depth=1
	v_bfrev_b32_e32 v143, 1
	s_mov_b32 s22, exec_lo
	v_cmpx_ne_u16_e32 0x80, v0
	s_cbranch_execz .LBB356_890
; %bb.885:                              ;   in Loop: Header=BB356_16 Depth=1
	v_and_b32_e32 v1, 0x7f, v34
	v_mov_b32_e32 v143, 0x7fc02000
	s_mov_b32 s23, exec_lo
	s_delay_alu instid0(VALU_DEP_2)
	v_cmpx_ne_u32_e32 0x7f, v1
	s_cbranch_execz .LBB356_889
; %bb.886:                              ;   in Loop: Header=BB356_16 Depth=1
	v_dual_mov_b32 v36, v8 :: v_dual_mov_b32 v35, v7
	v_lshrrev_b32_e32 v0, 3, v1
	s_mov_b32 s24, exec_lo
	v_cmpx_gt_u32_e32 8, v1
; %bb.887:                              ;   in Loop: Header=BB356_16 Depth=1
	v_and_b32_e32 v0, 7, v34
	s_delay_alu instid0(VALU_DEP_1) | instskip(NEXT) | instid1(VALU_DEP_1)
	v_clz_i32_u32_e32 v0, v0
	v_min_u32_e32 v0, 32, v0
	s_delay_alu instid0(VALU_DEP_1) | instskip(SKIP_1) | instid1(VALU_DEP_2)
	v_subrev_nc_u32_e32 v1, 28, v0
	v_sub_nc_u32_e32 v0, 29, v0
	v_lshlrev_b64 v[35:36], v1, v[7:8]
; %bb.888:                              ;   in Loop: Header=BB356_16 Depth=1
	s_or_b32 exec_lo, exec_lo, s24
	v_lshlrev_b32_e32 v1, 8, v34
	s_delay_alu instid0(VALU_DEP_3) | instskip(NEXT) | instid1(VALU_DEP_3)
	v_lshl_add_u32 v0, v0, 10, 0x2000
	v_lshlrev_b32_e32 v2, 7, v35
	s_delay_alu instid0(VALU_DEP_2) | instskip(NEXT) | instid1(VALU_DEP_1)
	v_and_or_b32 v0, 0x8000, v1, v0
	v_and_or_b32 v0, 0x380, v2, v0
	s_delay_alu instid0(VALU_DEP_1)
	v_cvt_f32_f16_e64 v143, v0
.LBB356_889:                            ;   in Loop: Header=BB356_16 Depth=1
	s_or_b32 exec_lo, exec_lo, s23
.LBB356_890:                            ;   in Loop: Header=BB356_16 Depth=1
	s_delay_alu instid0(SALU_CYCLE_1)
	s_or_b32 exec_lo, exec_lo, s22
.LBB356_891:                            ;   in Loop: Header=BB356_16 Depth=1
	s_delay_alu instid0(SALU_CYCLE_1) | instskip(SKIP_2) | instid1(VALU_DEP_1)
	s_or_b32 exec_lo, exec_lo, s21
	v_lshrrev_b16 v0, 8, v7
	s_mov_b32 s21, exec_lo
	v_cmpx_ne_u16_e32 0, v0
	s_cbranch_execz .LBB356_899
; %bb.892:                              ;   in Loop: Header=BB356_16 Depth=1
	v_bfrev_b32_e32 v152, 1
	s_mov_b32 s22, exec_lo
	v_cmpx_ne_u16_e32 0x80, v0
	s_cbranch_execz .LBB356_898
; %bb.893:                              ;   in Loop: Header=BB356_16 Depth=1
	v_and_b32_e32 v0, 0xffff, v0
	v_mov_b32_e32 v152, 0x7fc02000
	s_mov_b32 s23, exec_lo
	s_delay_alu instid0(VALU_DEP_2) | instskip(NEXT) | instid1(VALU_DEP_1)
	v_and_b32_e32 v2, 0x7f, v0
	v_cmpx_ne_u32_e32 0x7f, v2
	s_cbranch_execz .LBB356_897
; %bb.894:                              ;   in Loop: Header=BB356_16 Depth=1
	v_and_b32_e32 v7, 7, v0
	v_lshrrev_b32_e32 v1, 3, v2
	v_mov_b32_e32 v36, v8
	s_mov_b32 s24, exec_lo
	s_delay_alu instid0(VALU_DEP_3)
	v_mov_b32_e32 v35, v7
	v_cmpx_gt_u32_e32 8, v2
; %bb.895:                              ;   in Loop: Header=BB356_16 Depth=1
	v_clz_i32_u32_e32 v1, v7
	s_delay_alu instid0(VALU_DEP_1) | instskip(NEXT) | instid1(VALU_DEP_1)
	v_min_u32_e32 v1, 32, v1
	v_subrev_nc_u32_e32 v2, 28, v1
	v_sub_nc_u32_e32 v1, 29, v1
	s_delay_alu instid0(VALU_DEP_2) | instskip(NEXT) | instid1(VALU_DEP_1)
	v_lshlrev_b64 v[2:3], v2, v[7:8]
	v_and_b32_e32 v35, 7, v2
; %bb.896:                              ;   in Loop: Header=BB356_16 Depth=1
	s_or_b32 exec_lo, exec_lo, s24
	v_lshlrev_b32_e32 v0, 8, v0
	v_lshl_add_u32 v1, v1, 10, 0x2000
	s_delay_alu instid0(VALU_DEP_1) | instskip(NEXT) | instid1(VALU_DEP_1)
	v_and_or_b32 v0, 0x8000, v0, v1
	v_lshl_or_b32 v0, v35, 7, v0
	s_delay_alu instid0(VALU_DEP_1)
	v_cvt_f32_f16_e64 v152, v0
.LBB356_897:                            ;   in Loop: Header=BB356_16 Depth=1
	s_or_b32 exec_lo, exec_lo, s23
.LBB356_898:                            ;   in Loop: Header=BB356_16 Depth=1
	s_delay_alu instid0(SALU_CYCLE_1)
	s_or_b32 exec_lo, exec_lo, s22
.LBB356_899:                            ;   in Loop: Header=BB356_16 Depth=1
	s_delay_alu instid0(SALU_CYCLE_1) | instskip(SKIP_3) | instid1(VALU_DEP_2)
	s_or_b32 exec_lo, exec_lo, s21
	v_lshrrev_b32_e32 v0, 16, v34
	v_mov_b32_e32 v153, 0
	s_mov_b32 s21, exec_lo
	v_dual_mov_b32 v154, 0 :: v_dual_and_b32 v1, 0xff, v0
	s_delay_alu instid0(VALU_DEP_1)
	v_cmpx_ne_u16_e32 0, v1
	s_cbranch_execz .LBB356_907
; %bb.900:                              ;   in Loop: Header=BB356_16 Depth=1
	v_bfrev_b32_e32 v154, 1
	s_mov_b32 s22, exec_lo
	v_cmpx_ne_u16_e32 0x80, v1
	s_cbranch_execz .LBB356_906
; %bb.901:                              ;   in Loop: Header=BB356_16 Depth=1
	v_bfe_u32 v2, v34, 16, 7
	v_mov_b32_e32 v154, 0x7fc02000
	s_mov_b32 s23, exec_lo
	s_delay_alu instid0(VALU_DEP_2)
	v_cmpx_ne_u32_e32 0x7f, v2
	s_cbranch_execz .LBB356_905
; %bb.902:                              ;   in Loop: Header=BB356_16 Depth=1
	v_and_b32_e32 v7, 7, v0
	v_lshrrev_b32_e32 v1, 3, v2
	v_mov_b32_e32 v36, v8
	s_mov_b32 s24, exec_lo
	s_delay_alu instid0(VALU_DEP_3)
	v_mov_b32_e32 v35, v7
	v_cmpx_gt_u32_e32 8, v2
; %bb.903:                              ;   in Loop: Header=BB356_16 Depth=1
	v_clz_i32_u32_e32 v1, v7
	s_delay_alu instid0(VALU_DEP_1) | instskip(NEXT) | instid1(VALU_DEP_1)
	v_min_u32_e32 v1, 32, v1
	v_subrev_nc_u32_e32 v2, 28, v1
	v_sub_nc_u32_e32 v1, 29, v1
	s_delay_alu instid0(VALU_DEP_2) | instskip(NEXT) | instid1(VALU_DEP_1)
	v_lshlrev_b64 v[2:3], v2, v[7:8]
	v_and_b32_e32 v35, 7, v2
; %bb.904:                              ;   in Loop: Header=BB356_16 Depth=1
	s_or_b32 exec_lo, exec_lo, s24
	v_lshlrev_b32_e32 v0, 8, v0
	v_lshl_add_u32 v1, v1, 10, 0x2000
	s_delay_alu instid0(VALU_DEP_1) | instskip(NEXT) | instid1(VALU_DEP_1)
	v_and_or_b32 v0, 0x8000, v0, v1
	v_lshl_or_b32 v0, v35, 7, v0
	s_delay_alu instid0(VALU_DEP_1)
	v_cvt_f32_f16_e64 v154, v0
.LBB356_905:                            ;   in Loop: Header=BB356_16 Depth=1
	s_or_b32 exec_lo, exec_lo, s23
.LBB356_906:                            ;   in Loop: Header=BB356_16 Depth=1
	s_delay_alu instid0(SALU_CYCLE_1)
	s_or_b32 exec_lo, exec_lo, s22
.LBB356_907:                            ;   in Loop: Header=BB356_16 Depth=1
	s_delay_alu instid0(SALU_CYCLE_1) | instskip(NEXT) | instid1(SALU_CYCLE_1)
	s_or_b32 exec_lo, exec_lo, s21
	s_mov_b32 s21, exec_lo
	v_cmpx_lt_u64_e64 s[8:9], v[33:34]
	s_cbranch_execz .LBB356_915
; %bb.908:                              ;   in Loop: Header=BB356_16 Depth=1
	v_lshrrev_b32_e32 v0, 24, v34
	v_bfrev_b32_e32 v153, 1
	s_mov_b32 s22, exec_lo
	s_delay_alu instid0(VALU_DEP_2)
	v_cmpx_ne_u32_e32 0x80, v0
	s_cbranch_execz .LBB356_914
; %bb.909:                              ;   in Loop: Header=BB356_16 Depth=1
	v_and_b32_e32 v2, 0x7f, v0
	v_mov_b32_e32 v153, 0x7fc02000
	s_mov_b32 s23, exec_lo
	s_delay_alu instid0(VALU_DEP_2)
	v_cmpx_ne_u32_e32 0x7f, v2
	s_cbranch_execz .LBB356_913
; %bb.910:                              ;   in Loop: Header=BB356_16 Depth=1
	v_and_b32_e32 v7, 7, v0
	v_lshrrev_b32_e32 v1, 3, v2
	v_mov_b32_e32 v34, v8
	s_mov_b32 s24, exec_lo
	s_delay_alu instid0(VALU_DEP_3)
	v_mov_b32_e32 v33, v7
	v_cmpx_gt_u32_e32 8, v2
; %bb.911:                              ;   in Loop: Header=BB356_16 Depth=1
	v_clz_i32_u32_e32 v1, v7
	s_delay_alu instid0(VALU_DEP_1) | instskip(NEXT) | instid1(VALU_DEP_1)
	v_min_u32_e32 v1, 32, v1
	v_subrev_nc_u32_e32 v2, 28, v1
	v_sub_nc_u32_e32 v1, 29, v1
	s_delay_alu instid0(VALU_DEP_2) | instskip(NEXT) | instid1(VALU_DEP_1)
	v_lshlrev_b64 v[2:3], v2, v[7:8]
	v_and_b32_e32 v33, 7, v2
; %bb.912:                              ;   in Loop: Header=BB356_16 Depth=1
	s_or_b32 exec_lo, exec_lo, s24
	v_lshlrev_b32_e32 v0, 8, v0
	v_lshl_add_u32 v1, v1, 10, 0x2000
	s_delay_alu instid0(VALU_DEP_1) | instskip(NEXT) | instid1(VALU_DEP_1)
	v_and_or_b32 v0, 0x8000, v0, v1
	v_lshl_or_b32 v0, v33, 7, v0
	s_delay_alu instid0(VALU_DEP_1)
	v_cvt_f32_f16_e64 v153, v0
.LBB356_913:                            ;   in Loop: Header=BB356_16 Depth=1
	s_or_b32 exec_lo, exec_lo, s23
.LBB356_914:                            ;   in Loop: Header=BB356_16 Depth=1
	s_delay_alu instid0(SALU_CYCLE_1)
	s_or_b32 exec_lo, exec_lo, s22
.LBB356_915:                            ;   in Loop: Header=BB356_16 Depth=1
	s_delay_alu instid0(SALU_CYCLE_1)
	s_or_b32 exec_lo, exec_lo, s21
	flat_load_b64 v[33:34], v[31:32] offset:3584
	v_mov_b32_e32 v156, 0
	s_mov_b32 s21, exec_lo
	s_waitcnt vmcnt(0) lgkmcnt(0)
	v_dual_mov_b32 v107, 0 :: v_dual_and_b32 v0, 0xff, v33
	s_delay_alu instid0(VALU_DEP_1)
	v_cmpx_ne_u16_e32 0, v0
	s_cbranch_execz .LBB356_923
; %bb.916:                              ;   in Loop: Header=BB356_16 Depth=1
	v_bfrev_b32_e32 v107, 1
	s_mov_b32 s22, exec_lo
	v_cmpx_ne_u16_e32 0x80, v0
	s_cbranch_execz .LBB356_922
; %bb.917:                              ;   in Loop: Header=BB356_16 Depth=1
	v_and_b32_e32 v1, 0x7f, v33
	v_mov_b32_e32 v107, 0x7fc02000
	s_mov_b32 s23, exec_lo
	s_delay_alu instid0(VALU_DEP_2)
	v_cmpx_ne_u32_e32 0x7f, v1
	s_cbranch_execz .LBB356_921
; %bb.918:                              ;   in Loop: Header=BB356_16 Depth=1
	v_lshrrev_b32_e32 v0, 3, v1
	v_dual_mov_b32 v36, v34 :: v_dual_mov_b32 v35, v33
	s_mov_b32 s24, exec_lo
	v_cmpx_gt_u32_e32 8, v1
; %bb.919:                              ;   in Loop: Header=BB356_16 Depth=1
	v_and_b32_e32 v0, 7, v33
	s_delay_alu instid0(VALU_DEP_1) | instskip(NEXT) | instid1(VALU_DEP_1)
	v_clz_i32_u32_e32 v0, v0
	v_min_u32_e32 v0, 32, v0
	s_delay_alu instid0(VALU_DEP_1) | instskip(SKIP_1) | instid1(VALU_DEP_2)
	v_subrev_nc_u32_e32 v1, 28, v0
	v_sub_nc_u32_e32 v0, 29, v0
	v_lshlrev_b64 v[35:36], v1, v[33:34]
; %bb.920:                              ;   in Loop: Header=BB356_16 Depth=1
	s_or_b32 exec_lo, exec_lo, s24
	v_lshlrev_b32_e32 v1, 8, v33
	s_delay_alu instid0(VALU_DEP_3) | instskip(NEXT) | instid1(VALU_DEP_3)
	v_lshl_add_u32 v0, v0, 10, 0x2000
	v_lshlrev_b32_e32 v2, 7, v35
	s_delay_alu instid0(VALU_DEP_2) | instskip(NEXT) | instid1(VALU_DEP_1)
	v_and_or_b32 v0, 0x8000, v1, v0
	v_and_or_b32 v0, 0x380, v2, v0
	s_delay_alu instid0(VALU_DEP_1)
	v_cvt_f32_f16_e32 v107, v0
.LBB356_921:                            ;   in Loop: Header=BB356_16 Depth=1
	s_or_b32 exec_lo, exec_lo, s23
.LBB356_922:                            ;   in Loop: Header=BB356_16 Depth=1
	s_delay_alu instid0(SALU_CYCLE_1)
	s_or_b32 exec_lo, exec_lo, s22
.LBB356_923:                            ;   in Loop: Header=BB356_16 Depth=1
	s_delay_alu instid0(SALU_CYCLE_1) | instskip(SKIP_2) | instid1(VALU_DEP_1)
	s_or_b32 exec_lo, exec_lo, s21
	v_lshrrev_b16 v0, 8, v33
	s_mov_b32 s21, exec_lo
	v_cmpx_ne_u16_e32 0, v0
	s_cbranch_execz .LBB356_931
; %bb.924:                              ;   in Loop: Header=BB356_16 Depth=1
	v_bfrev_b32_e32 v156, 1
	s_mov_b32 s22, exec_lo
	v_cmpx_ne_u16_e32 0x80, v0
	s_cbranch_execz .LBB356_930
; %bb.925:                              ;   in Loop: Header=BB356_16 Depth=1
	v_and_b32_e32 v0, 0xffff, v0
	v_mov_b32_e32 v156, 0x7fc02000
	s_mov_b32 s23, exec_lo
	s_delay_alu instid0(VALU_DEP_2) | instskip(NEXT) | instid1(VALU_DEP_1)
	v_and_b32_e32 v2, 0x7f, v0
	v_cmpx_ne_u32_e32 0x7f, v2
	s_cbranch_execz .LBB356_929
; %bb.926:                              ;   in Loop: Header=BB356_16 Depth=1
	v_and_b32_e32 v7, 7, v0
	v_lshrrev_b32_e32 v1, 3, v2
	v_mov_b32_e32 v36, v8
	s_mov_b32 s24, exec_lo
	s_delay_alu instid0(VALU_DEP_3)
	v_mov_b32_e32 v35, v7
	v_cmpx_gt_u32_e32 8, v2
; %bb.927:                              ;   in Loop: Header=BB356_16 Depth=1
	v_clz_i32_u32_e32 v1, v7
	s_delay_alu instid0(VALU_DEP_1) | instskip(NEXT) | instid1(VALU_DEP_1)
	v_min_u32_e32 v1, 32, v1
	v_subrev_nc_u32_e32 v2, 28, v1
	v_sub_nc_u32_e32 v1, 29, v1
	s_delay_alu instid0(VALU_DEP_2) | instskip(NEXT) | instid1(VALU_DEP_1)
	v_lshlrev_b64 v[2:3], v2, v[7:8]
	v_and_b32_e32 v35, 7, v2
; %bb.928:                              ;   in Loop: Header=BB356_16 Depth=1
	s_or_b32 exec_lo, exec_lo, s24
	v_lshlrev_b32_e32 v0, 8, v0
	v_lshl_add_u32 v1, v1, 10, 0x2000
	s_delay_alu instid0(VALU_DEP_1) | instskip(NEXT) | instid1(VALU_DEP_1)
	v_and_or_b32 v0, 0x8000, v0, v1
	v_lshl_or_b32 v0, v35, 7, v0
	s_delay_alu instid0(VALU_DEP_1)
	v_cvt_f32_f16_e64 v156, v0
.LBB356_929:                            ;   in Loop: Header=BB356_16 Depth=1
	s_or_b32 exec_lo, exec_lo, s23
.LBB356_930:                            ;   in Loop: Header=BB356_16 Depth=1
	s_delay_alu instid0(SALU_CYCLE_1)
	s_or_b32 exec_lo, exec_lo, s22
.LBB356_931:                            ;   in Loop: Header=BB356_16 Depth=1
	s_delay_alu instid0(SALU_CYCLE_1) | instskip(SKIP_3) | instid1(VALU_DEP_2)
	s_or_b32 exec_lo, exec_lo, s21
	v_lshrrev_b32_e32 v0, 16, v33
	v_mov_b32_e32 v157, 0
	s_mov_b32 s21, exec_lo
	v_dual_mov_b32 v158, 0 :: v_dual_and_b32 v1, 0xff, v0
	s_delay_alu instid0(VALU_DEP_1)
	v_cmpx_ne_u16_e32 0, v1
	s_cbranch_execz .LBB356_939
; %bb.932:                              ;   in Loop: Header=BB356_16 Depth=1
	v_bfrev_b32_e32 v157, 1
	s_mov_b32 s22, exec_lo
	v_cmpx_ne_u16_e32 0x80, v1
	s_cbranch_execz .LBB356_938
; %bb.933:                              ;   in Loop: Header=BB356_16 Depth=1
	v_bfe_u32 v2, v33, 16, 7
	v_mov_b32_e32 v157, 0x7fc02000
	s_mov_b32 s23, exec_lo
	s_delay_alu instid0(VALU_DEP_2)
	v_cmpx_ne_u32_e32 0x7f, v2
	s_cbranch_execz .LBB356_937
; %bb.934:                              ;   in Loop: Header=BB356_16 Depth=1
	v_and_b32_e32 v7, 7, v0
	v_lshrrev_b32_e32 v1, 3, v2
	v_mov_b32_e32 v36, v8
	s_mov_b32 s24, exec_lo
	s_delay_alu instid0(VALU_DEP_3)
	v_mov_b32_e32 v35, v7
	v_cmpx_gt_u32_e32 8, v2
; %bb.935:                              ;   in Loop: Header=BB356_16 Depth=1
	v_clz_i32_u32_e32 v1, v7
	s_delay_alu instid0(VALU_DEP_1) | instskip(NEXT) | instid1(VALU_DEP_1)
	v_min_u32_e32 v1, 32, v1
	v_subrev_nc_u32_e32 v2, 28, v1
	v_sub_nc_u32_e32 v1, 29, v1
	s_delay_alu instid0(VALU_DEP_2) | instskip(NEXT) | instid1(VALU_DEP_1)
	v_lshlrev_b64 v[2:3], v2, v[7:8]
	v_and_b32_e32 v35, 7, v2
; %bb.936:                              ;   in Loop: Header=BB356_16 Depth=1
	s_or_b32 exec_lo, exec_lo, s24
	v_lshlrev_b32_e32 v0, 8, v0
	v_lshl_add_u32 v1, v1, 10, 0x2000
	s_delay_alu instid0(VALU_DEP_1) | instskip(NEXT) | instid1(VALU_DEP_1)
	v_and_or_b32 v0, 0x8000, v0, v1
	v_lshl_or_b32 v0, v35, 7, v0
	s_delay_alu instid0(VALU_DEP_1)
	v_cvt_f32_f16_e64 v157, v0
.LBB356_937:                            ;   in Loop: Header=BB356_16 Depth=1
	s_or_b32 exec_lo, exec_lo, s23
.LBB356_938:                            ;   in Loop: Header=BB356_16 Depth=1
	s_delay_alu instid0(SALU_CYCLE_1)
	s_or_b32 exec_lo, exec_lo, s22
.LBB356_939:                            ;   in Loop: Header=BB356_16 Depth=1
	s_delay_alu instid0(SALU_CYCLE_1) | instskip(NEXT) | instid1(SALU_CYCLE_1)
	s_or_b32 exec_lo, exec_lo, s21
	s_mov_b32 s21, exec_lo
	v_cmpx_lt_u32_e32 0xffffff, v33
	s_cbranch_execz .LBB356_947
; %bb.940:                              ;   in Loop: Header=BB356_16 Depth=1
	v_lshrrev_b32_e32 v0, 24, v33
	v_bfrev_b32_e32 v158, 1
	s_mov_b32 s22, exec_lo
	s_delay_alu instid0(VALU_DEP_2)
	v_cmpx_ne_u32_e32 0x80, v0
	s_cbranch_execz .LBB356_946
; %bb.941:                              ;   in Loop: Header=BB356_16 Depth=1
	v_and_b32_e32 v2, 0x7f, v0
	v_mov_b32_e32 v158, 0x7fc02000
	s_mov_b32 s23, exec_lo
	s_delay_alu instid0(VALU_DEP_2)
	v_cmpx_ne_u32_e32 0x7f, v2
	s_cbranch_execz .LBB356_945
; %bb.942:                              ;   in Loop: Header=BB356_16 Depth=1
	v_and_b32_e32 v7, 7, v0
	v_lshrrev_b32_e32 v1, 3, v2
	v_mov_b32_e32 v36, v8
	s_mov_b32 s24, exec_lo
	s_delay_alu instid0(VALU_DEP_3)
	v_mov_b32_e32 v35, v7
	v_cmpx_gt_u32_e32 8, v2
; %bb.943:                              ;   in Loop: Header=BB356_16 Depth=1
	v_clz_i32_u32_e32 v1, v7
	s_delay_alu instid0(VALU_DEP_1) | instskip(NEXT) | instid1(VALU_DEP_1)
	v_min_u32_e32 v1, 32, v1
	v_subrev_nc_u32_e32 v2, 28, v1
	v_sub_nc_u32_e32 v1, 29, v1
	s_delay_alu instid0(VALU_DEP_2) | instskip(NEXT) | instid1(VALU_DEP_1)
	v_lshlrev_b64 v[2:3], v2, v[7:8]
	v_and_b32_e32 v35, 7, v2
; %bb.944:                              ;   in Loop: Header=BB356_16 Depth=1
	s_or_b32 exec_lo, exec_lo, s24
	v_lshlrev_b32_e32 v0, 8, v0
	v_lshl_add_u32 v1, v1, 10, 0x2000
	s_delay_alu instid0(VALU_DEP_1) | instskip(NEXT) | instid1(VALU_DEP_1)
	v_and_or_b32 v0, 0x8000, v0, v1
	v_lshl_or_b32 v0, v35, 7, v0
	s_delay_alu instid0(VALU_DEP_1)
	v_cvt_f32_f16_e64 v158, v0
.LBB356_945:                            ;   in Loop: Header=BB356_16 Depth=1
	s_or_b32 exec_lo, exec_lo, s23
.LBB356_946:                            ;   in Loop: Header=BB356_16 Depth=1
	s_delay_alu instid0(SALU_CYCLE_1)
	s_or_b32 exec_lo, exec_lo, s22
.LBB356_947:                            ;   in Loop: Header=BB356_16 Depth=1
	s_delay_alu instid0(SALU_CYCLE_1) | instskip(SKIP_3) | instid1(VALU_DEP_2)
	s_or_b32 exec_lo, exec_lo, s21
	v_dual_mov_b32 v7, v34 :: v_dual_and_b32 v0, 0xff, v34
	v_dual_mov_b32 v168, 0 :: v_dual_mov_b32 v159, 0
	s_mov_b32 s21, exec_lo
	v_cmpx_ne_u16_e32 0, v0
	s_cbranch_execz .LBB356_955
; %bb.948:                              ;   in Loop: Header=BB356_16 Depth=1
	v_bfrev_b32_e32 v159, 1
	s_mov_b32 s22, exec_lo
	v_cmpx_ne_u16_e32 0x80, v0
	s_cbranch_execz .LBB356_954
; %bb.949:                              ;   in Loop: Header=BB356_16 Depth=1
	v_and_b32_e32 v1, 0x7f, v34
	v_mov_b32_e32 v159, 0x7fc02000
	s_mov_b32 s23, exec_lo
	s_delay_alu instid0(VALU_DEP_2)
	v_cmpx_ne_u32_e32 0x7f, v1
	s_cbranch_execz .LBB356_953
; %bb.950:                              ;   in Loop: Header=BB356_16 Depth=1
	v_dual_mov_b32 v36, v8 :: v_dual_mov_b32 v35, v7
	v_lshrrev_b32_e32 v0, 3, v1
	s_mov_b32 s24, exec_lo
	v_cmpx_gt_u32_e32 8, v1
; %bb.951:                              ;   in Loop: Header=BB356_16 Depth=1
	v_and_b32_e32 v0, 7, v34
	s_delay_alu instid0(VALU_DEP_1) | instskip(NEXT) | instid1(VALU_DEP_1)
	v_clz_i32_u32_e32 v0, v0
	v_min_u32_e32 v0, 32, v0
	s_delay_alu instid0(VALU_DEP_1) | instskip(SKIP_1) | instid1(VALU_DEP_2)
	v_subrev_nc_u32_e32 v1, 28, v0
	v_sub_nc_u32_e32 v0, 29, v0
	v_lshlrev_b64 v[35:36], v1, v[7:8]
; %bb.952:                              ;   in Loop: Header=BB356_16 Depth=1
	s_or_b32 exec_lo, exec_lo, s24
	v_lshlrev_b32_e32 v1, 8, v34
	s_delay_alu instid0(VALU_DEP_3) | instskip(NEXT) | instid1(VALU_DEP_3)
	v_lshl_add_u32 v0, v0, 10, 0x2000
	v_lshlrev_b32_e32 v2, 7, v35
	s_delay_alu instid0(VALU_DEP_2) | instskip(NEXT) | instid1(VALU_DEP_1)
	v_and_or_b32 v0, 0x8000, v1, v0
	v_and_or_b32 v0, 0x380, v2, v0
	s_delay_alu instid0(VALU_DEP_1)
	v_cvt_f32_f16_e64 v159, v0
.LBB356_953:                            ;   in Loop: Header=BB356_16 Depth=1
	s_or_b32 exec_lo, exec_lo, s23
.LBB356_954:                            ;   in Loop: Header=BB356_16 Depth=1
	s_delay_alu instid0(SALU_CYCLE_1)
	s_or_b32 exec_lo, exec_lo, s22
.LBB356_955:                            ;   in Loop: Header=BB356_16 Depth=1
	s_delay_alu instid0(SALU_CYCLE_1) | instskip(SKIP_2) | instid1(VALU_DEP_1)
	s_or_b32 exec_lo, exec_lo, s21
	v_lshrrev_b16 v0, 8, v7
	s_mov_b32 s21, exec_lo
	v_cmpx_ne_u16_e32 0, v0
	s_cbranch_execz .LBB356_963
; %bb.956:                              ;   in Loop: Header=BB356_16 Depth=1
	v_bfrev_b32_e32 v168, 1
	s_mov_b32 s22, exec_lo
	v_cmpx_ne_u16_e32 0x80, v0
	s_cbranch_execz .LBB356_962
; %bb.957:                              ;   in Loop: Header=BB356_16 Depth=1
	v_and_b32_e32 v0, 0xffff, v0
	v_mov_b32_e32 v168, 0x7fc02000
	s_mov_b32 s23, exec_lo
	s_delay_alu instid0(VALU_DEP_2) | instskip(NEXT) | instid1(VALU_DEP_1)
	v_and_b32_e32 v2, 0x7f, v0
	v_cmpx_ne_u32_e32 0x7f, v2
	s_cbranch_execz .LBB356_961
; %bb.958:                              ;   in Loop: Header=BB356_16 Depth=1
	v_and_b32_e32 v7, 7, v0
	v_lshrrev_b32_e32 v1, 3, v2
	v_mov_b32_e32 v36, v8
	s_mov_b32 s24, exec_lo
	s_delay_alu instid0(VALU_DEP_3)
	v_mov_b32_e32 v35, v7
	v_cmpx_gt_u32_e32 8, v2
; %bb.959:                              ;   in Loop: Header=BB356_16 Depth=1
	v_clz_i32_u32_e32 v1, v7
	s_delay_alu instid0(VALU_DEP_1) | instskip(NEXT) | instid1(VALU_DEP_1)
	v_min_u32_e32 v1, 32, v1
	v_subrev_nc_u32_e32 v2, 28, v1
	v_sub_nc_u32_e32 v1, 29, v1
	s_delay_alu instid0(VALU_DEP_2) | instskip(NEXT) | instid1(VALU_DEP_1)
	v_lshlrev_b64 v[2:3], v2, v[7:8]
	v_and_b32_e32 v35, 7, v2
; %bb.960:                              ;   in Loop: Header=BB356_16 Depth=1
	s_or_b32 exec_lo, exec_lo, s24
	v_lshlrev_b32_e32 v0, 8, v0
	v_lshl_add_u32 v1, v1, 10, 0x2000
	s_delay_alu instid0(VALU_DEP_1) | instskip(NEXT) | instid1(VALU_DEP_1)
	v_and_or_b32 v0, 0x8000, v0, v1
	v_lshl_or_b32 v0, v35, 7, v0
	s_delay_alu instid0(VALU_DEP_1)
	v_cvt_f32_f16_e64 v168, v0
.LBB356_961:                            ;   in Loop: Header=BB356_16 Depth=1
	s_or_b32 exec_lo, exec_lo, s23
.LBB356_962:                            ;   in Loop: Header=BB356_16 Depth=1
	s_delay_alu instid0(SALU_CYCLE_1)
	s_or_b32 exec_lo, exec_lo, s22
.LBB356_963:                            ;   in Loop: Header=BB356_16 Depth=1
	s_delay_alu instid0(SALU_CYCLE_1) | instskip(SKIP_3) | instid1(VALU_DEP_2)
	s_or_b32 exec_lo, exec_lo, s21
	v_lshrrev_b32_e32 v0, 16, v34
	v_mov_b32_e32 v169, 0
	s_mov_b32 s21, exec_lo
	v_dual_mov_b32 v170, 0 :: v_dual_and_b32 v1, 0xff, v0
	s_delay_alu instid0(VALU_DEP_1)
	v_cmpx_ne_u16_e32 0, v1
	s_cbranch_execz .LBB356_971
; %bb.964:                              ;   in Loop: Header=BB356_16 Depth=1
	v_bfrev_b32_e32 v170, 1
	s_mov_b32 s22, exec_lo
	v_cmpx_ne_u16_e32 0x80, v1
	s_cbranch_execz .LBB356_970
; %bb.965:                              ;   in Loop: Header=BB356_16 Depth=1
	v_bfe_u32 v2, v34, 16, 7
	v_mov_b32_e32 v170, 0x7fc02000
	s_mov_b32 s23, exec_lo
	s_delay_alu instid0(VALU_DEP_2)
	v_cmpx_ne_u32_e32 0x7f, v2
	s_cbranch_execz .LBB356_969
; %bb.966:                              ;   in Loop: Header=BB356_16 Depth=1
	v_and_b32_e32 v7, 7, v0
	v_lshrrev_b32_e32 v1, 3, v2
	v_mov_b32_e32 v36, v8
	s_mov_b32 s24, exec_lo
	s_delay_alu instid0(VALU_DEP_3)
	v_mov_b32_e32 v35, v7
	v_cmpx_gt_u32_e32 8, v2
; %bb.967:                              ;   in Loop: Header=BB356_16 Depth=1
	v_clz_i32_u32_e32 v1, v7
	s_delay_alu instid0(VALU_DEP_1) | instskip(NEXT) | instid1(VALU_DEP_1)
	v_min_u32_e32 v1, 32, v1
	v_subrev_nc_u32_e32 v2, 28, v1
	v_sub_nc_u32_e32 v1, 29, v1
	s_delay_alu instid0(VALU_DEP_2) | instskip(NEXT) | instid1(VALU_DEP_1)
	v_lshlrev_b64 v[2:3], v2, v[7:8]
	v_and_b32_e32 v35, 7, v2
; %bb.968:                              ;   in Loop: Header=BB356_16 Depth=1
	s_or_b32 exec_lo, exec_lo, s24
	v_lshlrev_b32_e32 v0, 8, v0
	v_lshl_add_u32 v1, v1, 10, 0x2000
	s_delay_alu instid0(VALU_DEP_1) | instskip(NEXT) | instid1(VALU_DEP_1)
	v_and_or_b32 v0, 0x8000, v0, v1
	v_lshl_or_b32 v0, v35, 7, v0
	s_delay_alu instid0(VALU_DEP_1)
	v_cvt_f32_f16_e64 v170, v0
.LBB356_969:                            ;   in Loop: Header=BB356_16 Depth=1
	s_or_b32 exec_lo, exec_lo, s23
.LBB356_970:                            ;   in Loop: Header=BB356_16 Depth=1
	s_delay_alu instid0(SALU_CYCLE_1)
	s_or_b32 exec_lo, exec_lo, s22
.LBB356_971:                            ;   in Loop: Header=BB356_16 Depth=1
	s_delay_alu instid0(SALU_CYCLE_1) | instskip(NEXT) | instid1(SALU_CYCLE_1)
	s_or_b32 exec_lo, exec_lo, s21
	s_mov_b32 s21, exec_lo
	v_cmpx_lt_u64_e64 s[8:9], v[33:34]
	s_cbranch_execz .LBB356_979
; %bb.972:                              ;   in Loop: Header=BB356_16 Depth=1
	v_lshrrev_b32_e32 v0, 24, v34
	v_bfrev_b32_e32 v169, 1
	s_mov_b32 s22, exec_lo
	s_delay_alu instid0(VALU_DEP_2)
	v_cmpx_ne_u32_e32 0x80, v0
	s_cbranch_execz .LBB356_978
; %bb.973:                              ;   in Loop: Header=BB356_16 Depth=1
	v_and_b32_e32 v2, 0x7f, v0
	v_mov_b32_e32 v169, 0x7fc02000
	s_mov_b32 s23, exec_lo
	s_delay_alu instid0(VALU_DEP_2)
	v_cmpx_ne_u32_e32 0x7f, v2
	s_cbranch_execz .LBB356_977
; %bb.974:                              ;   in Loop: Header=BB356_16 Depth=1
	v_and_b32_e32 v7, 7, v0
	v_lshrrev_b32_e32 v1, 3, v2
	v_mov_b32_e32 v34, v8
	s_mov_b32 s24, exec_lo
	s_delay_alu instid0(VALU_DEP_3)
	v_mov_b32_e32 v33, v7
	v_cmpx_gt_u32_e32 8, v2
; %bb.975:                              ;   in Loop: Header=BB356_16 Depth=1
	v_clz_i32_u32_e32 v1, v7
	s_delay_alu instid0(VALU_DEP_1) | instskip(NEXT) | instid1(VALU_DEP_1)
	v_min_u32_e32 v1, 32, v1
	v_subrev_nc_u32_e32 v2, 28, v1
	v_sub_nc_u32_e32 v1, 29, v1
	s_delay_alu instid0(VALU_DEP_2) | instskip(NEXT) | instid1(VALU_DEP_1)
	v_lshlrev_b64 v[2:3], v2, v[7:8]
	v_and_b32_e32 v33, 7, v2
; %bb.976:                              ;   in Loop: Header=BB356_16 Depth=1
	s_or_b32 exec_lo, exec_lo, s24
	v_lshlrev_b32_e32 v0, 8, v0
	v_lshl_add_u32 v1, v1, 10, 0x2000
	s_delay_alu instid0(VALU_DEP_1) | instskip(NEXT) | instid1(VALU_DEP_1)
	v_and_or_b32 v0, 0x8000, v0, v1
	v_lshl_or_b32 v0, v33, 7, v0
	s_delay_alu instid0(VALU_DEP_1)
	v_cvt_f32_f16_e64 v169, v0
.LBB356_977:                            ;   in Loop: Header=BB356_16 Depth=1
	s_or_b32 exec_lo, exec_lo, s23
.LBB356_978:                            ;   in Loop: Header=BB356_16 Depth=1
	s_delay_alu instid0(SALU_CYCLE_1)
	s_or_b32 exec_lo, exec_lo, s22
.LBB356_979:                            ;   in Loop: Header=BB356_16 Depth=1
	s_delay_alu instid0(SALU_CYCLE_1)
	s_or_b32 exec_lo, exec_lo, s21
	flat_load_b64 v[33:34], v[31:32] offset:3592
	v_mov_b32_e32 v182, 0
	v_mov_b32_e32 v190, 0
	s_mov_b32 s21, exec_lo
	s_waitcnt vmcnt(0) lgkmcnt(0)
	v_and_b32_e32 v0, 0xff, v33
	s_delay_alu instid0(VALU_DEP_1)
	v_cmpx_ne_u16_e32 0, v0
	s_cbranch_execz .LBB356_987
; %bb.980:                              ;   in Loop: Header=BB356_16 Depth=1
	v_bfrev_b32_e32 v190, 1
	s_mov_b32 s22, exec_lo
	v_cmpx_ne_u16_e32 0x80, v0
	s_cbranch_execz .LBB356_986
; %bb.981:                              ;   in Loop: Header=BB356_16 Depth=1
	v_and_b32_e32 v1, 0x7f, v33
	v_mov_b32_e32 v190, 0x7fc02000
	s_mov_b32 s23, exec_lo
	s_delay_alu instid0(VALU_DEP_2)
	v_cmpx_ne_u32_e32 0x7f, v1
	s_cbranch_execz .LBB356_985
; %bb.982:                              ;   in Loop: Header=BB356_16 Depth=1
	v_lshrrev_b32_e32 v0, 3, v1
	v_dual_mov_b32 v36, v34 :: v_dual_mov_b32 v35, v33
	s_mov_b32 s24, exec_lo
	v_cmpx_gt_u32_e32 8, v1
; %bb.983:                              ;   in Loop: Header=BB356_16 Depth=1
	v_and_b32_e32 v0, 7, v33
	s_delay_alu instid0(VALU_DEP_1) | instskip(NEXT) | instid1(VALU_DEP_1)
	v_clz_i32_u32_e32 v0, v0
	v_min_u32_e32 v0, 32, v0
	s_delay_alu instid0(VALU_DEP_1) | instskip(SKIP_1) | instid1(VALU_DEP_2)
	v_subrev_nc_u32_e32 v1, 28, v0
	v_sub_nc_u32_e32 v0, 29, v0
	v_lshlrev_b64 v[35:36], v1, v[33:34]
; %bb.984:                              ;   in Loop: Header=BB356_16 Depth=1
	s_or_b32 exec_lo, exec_lo, s24
	v_lshlrev_b32_e32 v1, 8, v33
	s_delay_alu instid0(VALU_DEP_3) | instskip(NEXT) | instid1(VALU_DEP_3)
	v_lshl_add_u32 v0, v0, 10, 0x2000
	v_lshlrev_b32_e32 v2, 7, v35
	s_delay_alu instid0(VALU_DEP_2) | instskip(NEXT) | instid1(VALU_DEP_1)
	v_and_or_b32 v0, 0x8000, v1, v0
	v_and_or_b32 v0, 0x380, v2, v0
	s_delay_alu instid0(VALU_DEP_1)
	v_cvt_f32_f16_e64 v190, v0
.LBB356_985:                            ;   in Loop: Header=BB356_16 Depth=1
	s_or_b32 exec_lo, exec_lo, s23
.LBB356_986:                            ;   in Loop: Header=BB356_16 Depth=1
	s_delay_alu instid0(SALU_CYCLE_1)
	s_or_b32 exec_lo, exec_lo, s22
.LBB356_987:                            ;   in Loop: Header=BB356_16 Depth=1
	s_delay_alu instid0(SALU_CYCLE_1) | instskip(SKIP_2) | instid1(VALU_DEP_1)
	s_or_b32 exec_lo, exec_lo, s21
	v_lshrrev_b16 v0, 8, v33
	s_mov_b32 s21, exec_lo
	v_cmpx_ne_u16_e32 0, v0
	s_cbranch_execz .LBB356_995
; %bb.988:                              ;   in Loop: Header=BB356_16 Depth=1
	v_bfrev_b32_e32 v182, 1
	s_mov_b32 s22, exec_lo
	v_cmpx_ne_u16_e32 0x80, v0
	s_cbranch_execz .LBB356_994
; %bb.989:                              ;   in Loop: Header=BB356_16 Depth=1
	v_and_b32_e32 v0, 0xffff, v0
	v_mov_b32_e32 v182, 0x7fc02000
	s_mov_b32 s23, exec_lo
	s_delay_alu instid0(VALU_DEP_2) | instskip(NEXT) | instid1(VALU_DEP_1)
	v_and_b32_e32 v2, 0x7f, v0
	v_cmpx_ne_u32_e32 0x7f, v2
	s_cbranch_execz .LBB356_993
; %bb.990:                              ;   in Loop: Header=BB356_16 Depth=1
	v_and_b32_e32 v7, 7, v0
	v_lshrrev_b32_e32 v1, 3, v2
	v_mov_b32_e32 v36, v8
	s_mov_b32 s24, exec_lo
	s_delay_alu instid0(VALU_DEP_3)
	v_mov_b32_e32 v35, v7
	v_cmpx_gt_u32_e32 8, v2
; %bb.991:                              ;   in Loop: Header=BB356_16 Depth=1
	v_clz_i32_u32_e32 v1, v7
	s_delay_alu instid0(VALU_DEP_1) | instskip(NEXT) | instid1(VALU_DEP_1)
	v_min_u32_e32 v1, 32, v1
	v_subrev_nc_u32_e32 v2, 28, v1
	v_sub_nc_u32_e32 v1, 29, v1
	s_delay_alu instid0(VALU_DEP_2) | instskip(NEXT) | instid1(VALU_DEP_1)
	v_lshlrev_b64 v[2:3], v2, v[7:8]
	v_and_b32_e32 v35, 7, v2
; %bb.992:                              ;   in Loop: Header=BB356_16 Depth=1
	s_or_b32 exec_lo, exec_lo, s24
	v_lshlrev_b32_e32 v0, 8, v0
	v_lshl_add_u32 v1, v1, 10, 0x2000
	s_delay_alu instid0(VALU_DEP_1) | instskip(NEXT) | instid1(VALU_DEP_1)
	v_and_or_b32 v0, 0x8000, v0, v1
	v_lshl_or_b32 v0, v35, 7, v0
	s_delay_alu instid0(VALU_DEP_1)
	v_cvt_f32_f16_e64 v182, v0
.LBB356_993:                            ;   in Loop: Header=BB356_16 Depth=1
	s_or_b32 exec_lo, exec_lo, s23
.LBB356_994:                            ;   in Loop: Header=BB356_16 Depth=1
	s_delay_alu instid0(SALU_CYCLE_1)
	s_or_b32 exec_lo, exec_lo, s22
.LBB356_995:                            ;   in Loop: Header=BB356_16 Depth=1
	s_delay_alu instid0(SALU_CYCLE_1) | instskip(SKIP_3) | instid1(VALU_DEP_2)
	s_or_b32 exec_lo, exec_lo, s21
	v_lshrrev_b32_e32 v0, 16, v33
	v_mov_b32_e32 v105, 0
	s_mov_b32 s21, exec_lo
	v_dual_mov_b32 v104, 0 :: v_dual_and_b32 v1, 0xff, v0
	s_delay_alu instid0(VALU_DEP_1)
	v_cmpx_ne_u16_e32 0, v1
	s_cbranch_execz .LBB356_1003
; %bb.996:                              ;   in Loop: Header=BB356_16 Depth=1
	v_bfrev_b32_e32 v104, 1
	s_mov_b32 s22, exec_lo
	v_cmpx_ne_u16_e32 0x80, v1
	s_cbranch_execz .LBB356_1002
; %bb.997:                              ;   in Loop: Header=BB356_16 Depth=1
	v_bfe_u32 v2, v33, 16, 7
	v_mov_b32_e32 v104, 0x7fc02000
	s_mov_b32 s23, exec_lo
	s_delay_alu instid0(VALU_DEP_2)
	v_cmpx_ne_u32_e32 0x7f, v2
	s_cbranch_execz .LBB356_1001
; %bb.998:                              ;   in Loop: Header=BB356_16 Depth=1
	v_and_b32_e32 v7, 7, v0
	v_lshrrev_b32_e32 v1, 3, v2
	v_mov_b32_e32 v36, v8
	s_mov_b32 s24, exec_lo
	s_delay_alu instid0(VALU_DEP_3)
	v_mov_b32_e32 v35, v7
	v_cmpx_gt_u32_e32 8, v2
; %bb.999:                              ;   in Loop: Header=BB356_16 Depth=1
	v_clz_i32_u32_e32 v1, v7
	s_delay_alu instid0(VALU_DEP_1) | instskip(NEXT) | instid1(VALU_DEP_1)
	v_min_u32_e32 v1, 32, v1
	v_subrev_nc_u32_e32 v2, 28, v1
	v_sub_nc_u32_e32 v1, 29, v1
	s_delay_alu instid0(VALU_DEP_2) | instskip(NEXT) | instid1(VALU_DEP_1)
	v_lshlrev_b64 v[2:3], v2, v[7:8]
	v_and_b32_e32 v35, 7, v2
; %bb.1000:                             ;   in Loop: Header=BB356_16 Depth=1
	s_or_b32 exec_lo, exec_lo, s24
	v_lshlrev_b32_e32 v0, 8, v0
	v_lshl_add_u32 v1, v1, 10, 0x2000
	s_delay_alu instid0(VALU_DEP_1) | instskip(NEXT) | instid1(VALU_DEP_1)
	v_and_or_b32 v0, 0x8000, v0, v1
	v_lshl_or_b32 v0, v35, 7, v0
	s_delay_alu instid0(VALU_DEP_1)
	v_cvt_f32_f16_e32 v104, v0
.LBB356_1001:                           ;   in Loop: Header=BB356_16 Depth=1
	s_or_b32 exec_lo, exec_lo, s23
.LBB356_1002:                           ;   in Loop: Header=BB356_16 Depth=1
	s_delay_alu instid0(SALU_CYCLE_1)
	s_or_b32 exec_lo, exec_lo, s22
.LBB356_1003:                           ;   in Loop: Header=BB356_16 Depth=1
	s_delay_alu instid0(SALU_CYCLE_1) | instskip(NEXT) | instid1(SALU_CYCLE_1)
	s_or_b32 exec_lo, exec_lo, s21
	s_mov_b32 s21, exec_lo
	v_cmpx_lt_u32_e32 0xffffff, v33
	s_cbranch_execz .LBB356_1011
; %bb.1004:                             ;   in Loop: Header=BB356_16 Depth=1
	v_lshrrev_b32_e32 v0, 24, v33
	v_bfrev_b32_e32 v105, 1
	s_mov_b32 s22, exec_lo
	s_delay_alu instid0(VALU_DEP_2)
	v_cmpx_ne_u32_e32 0x80, v0
	s_cbranch_execz .LBB356_1010
; %bb.1005:                             ;   in Loop: Header=BB356_16 Depth=1
	v_and_b32_e32 v2, 0x7f, v0
	v_mov_b32_e32 v105, 0x7fc02000
	s_mov_b32 s23, exec_lo
	s_delay_alu instid0(VALU_DEP_2)
	v_cmpx_ne_u32_e32 0x7f, v2
	s_cbranch_execz .LBB356_1009
; %bb.1006:                             ;   in Loop: Header=BB356_16 Depth=1
	v_and_b32_e32 v7, 7, v0
	v_lshrrev_b32_e32 v1, 3, v2
	v_mov_b32_e32 v36, v8
	s_mov_b32 s24, exec_lo
	s_delay_alu instid0(VALU_DEP_3)
	v_mov_b32_e32 v35, v7
	v_cmpx_gt_u32_e32 8, v2
; %bb.1007:                             ;   in Loop: Header=BB356_16 Depth=1
	v_clz_i32_u32_e32 v1, v7
	s_delay_alu instid0(VALU_DEP_1) | instskip(NEXT) | instid1(VALU_DEP_1)
	v_min_u32_e32 v1, 32, v1
	v_subrev_nc_u32_e32 v2, 28, v1
	v_sub_nc_u32_e32 v1, 29, v1
	s_delay_alu instid0(VALU_DEP_2) | instskip(NEXT) | instid1(VALU_DEP_1)
	v_lshlrev_b64 v[2:3], v2, v[7:8]
	v_and_b32_e32 v35, 7, v2
; %bb.1008:                             ;   in Loop: Header=BB356_16 Depth=1
	s_or_b32 exec_lo, exec_lo, s24
	v_lshlrev_b32_e32 v0, 8, v0
	v_lshl_add_u32 v1, v1, 10, 0x2000
	s_delay_alu instid0(VALU_DEP_1) | instskip(NEXT) | instid1(VALU_DEP_1)
	v_and_or_b32 v0, 0x8000, v0, v1
	v_lshl_or_b32 v0, v35, 7, v0
	s_delay_alu instid0(VALU_DEP_1)
	v_cvt_f32_f16_e32 v105, v0
.LBB356_1009:                           ;   in Loop: Header=BB356_16 Depth=1
	s_or_b32 exec_lo, exec_lo, s23
.LBB356_1010:                           ;   in Loop: Header=BB356_16 Depth=1
	s_delay_alu instid0(SALU_CYCLE_1)
	s_or_b32 exec_lo, exec_lo, s22
.LBB356_1011:                           ;   in Loop: Header=BB356_16 Depth=1
	s_delay_alu instid0(SALU_CYCLE_1) | instskip(SKIP_3) | instid1(VALU_DEP_2)
	s_or_b32 exec_lo, exec_lo, s21
	v_dual_mov_b32 v7, v34 :: v_dual_and_b32 v0, 0xff, v34
	v_dual_mov_b32 v184, 0 :: v_dual_mov_b32 v175, 0
	s_mov_b32 s21, exec_lo
	v_cmpx_ne_u16_e32 0, v0
	s_cbranch_execz .LBB356_1019
; %bb.1012:                             ;   in Loop: Header=BB356_16 Depth=1
	v_bfrev_b32_e32 v175, 1
	s_mov_b32 s22, exec_lo
	v_cmpx_ne_u16_e32 0x80, v0
	s_cbranch_execz .LBB356_1018
; %bb.1013:                             ;   in Loop: Header=BB356_16 Depth=1
	v_and_b32_e32 v1, 0x7f, v34
	v_mov_b32_e32 v175, 0x7fc02000
	s_mov_b32 s23, exec_lo
	s_delay_alu instid0(VALU_DEP_2)
	v_cmpx_ne_u32_e32 0x7f, v1
	s_cbranch_execz .LBB356_1017
; %bb.1014:                             ;   in Loop: Header=BB356_16 Depth=1
	v_dual_mov_b32 v36, v8 :: v_dual_mov_b32 v35, v7
	v_lshrrev_b32_e32 v0, 3, v1
	s_mov_b32 s24, exec_lo
	v_cmpx_gt_u32_e32 8, v1
; %bb.1015:                             ;   in Loop: Header=BB356_16 Depth=1
	v_and_b32_e32 v0, 7, v34
	s_delay_alu instid0(VALU_DEP_1) | instskip(NEXT) | instid1(VALU_DEP_1)
	v_clz_i32_u32_e32 v0, v0
	v_min_u32_e32 v0, 32, v0
	s_delay_alu instid0(VALU_DEP_1) | instskip(SKIP_1) | instid1(VALU_DEP_2)
	v_subrev_nc_u32_e32 v1, 28, v0
	v_sub_nc_u32_e32 v0, 29, v0
	v_lshlrev_b64 v[35:36], v1, v[7:8]
; %bb.1016:                             ;   in Loop: Header=BB356_16 Depth=1
	s_or_b32 exec_lo, exec_lo, s24
	v_lshlrev_b32_e32 v1, 8, v34
	s_delay_alu instid0(VALU_DEP_3) | instskip(NEXT) | instid1(VALU_DEP_3)
	v_lshl_add_u32 v0, v0, 10, 0x2000
	v_lshlrev_b32_e32 v2, 7, v35
	s_delay_alu instid0(VALU_DEP_2) | instskip(NEXT) | instid1(VALU_DEP_1)
	v_and_or_b32 v0, 0x8000, v1, v0
	v_and_or_b32 v0, 0x380, v2, v0
	s_delay_alu instid0(VALU_DEP_1)
	v_cvt_f32_f16_e64 v175, v0
.LBB356_1017:                           ;   in Loop: Header=BB356_16 Depth=1
	s_or_b32 exec_lo, exec_lo, s23
.LBB356_1018:                           ;   in Loop: Header=BB356_16 Depth=1
	s_delay_alu instid0(SALU_CYCLE_1)
	s_or_b32 exec_lo, exec_lo, s22
.LBB356_1019:                           ;   in Loop: Header=BB356_16 Depth=1
	s_delay_alu instid0(SALU_CYCLE_1) | instskip(SKIP_2) | instid1(VALU_DEP_1)
	s_or_b32 exec_lo, exec_lo, s21
	v_lshrrev_b16 v0, 8, v7
	s_mov_b32 s21, exec_lo
	v_cmpx_ne_u16_e32 0, v0
	s_cbranch_execz .LBB356_1027
; %bb.1020:                             ;   in Loop: Header=BB356_16 Depth=1
	v_bfrev_b32_e32 v184, 1
	s_mov_b32 s22, exec_lo
	v_cmpx_ne_u16_e32 0x80, v0
	s_cbranch_execz .LBB356_1026
; %bb.1021:                             ;   in Loop: Header=BB356_16 Depth=1
	v_and_b32_e32 v0, 0xffff, v0
	v_mov_b32_e32 v184, 0x7fc02000
	s_mov_b32 s23, exec_lo
	s_delay_alu instid0(VALU_DEP_2) | instskip(NEXT) | instid1(VALU_DEP_1)
	v_and_b32_e32 v2, 0x7f, v0
	v_cmpx_ne_u32_e32 0x7f, v2
	s_cbranch_execz .LBB356_1025
; %bb.1022:                             ;   in Loop: Header=BB356_16 Depth=1
	v_and_b32_e32 v7, 7, v0
	v_lshrrev_b32_e32 v1, 3, v2
	v_mov_b32_e32 v36, v8
	s_mov_b32 s24, exec_lo
	s_delay_alu instid0(VALU_DEP_3)
	v_mov_b32_e32 v35, v7
	v_cmpx_gt_u32_e32 8, v2
; %bb.1023:                             ;   in Loop: Header=BB356_16 Depth=1
	v_clz_i32_u32_e32 v1, v7
	s_delay_alu instid0(VALU_DEP_1) | instskip(NEXT) | instid1(VALU_DEP_1)
	v_min_u32_e32 v1, 32, v1
	v_subrev_nc_u32_e32 v2, 28, v1
	v_sub_nc_u32_e32 v1, 29, v1
	s_delay_alu instid0(VALU_DEP_2) | instskip(NEXT) | instid1(VALU_DEP_1)
	v_lshlrev_b64 v[2:3], v2, v[7:8]
	v_and_b32_e32 v35, 7, v2
; %bb.1024:                             ;   in Loop: Header=BB356_16 Depth=1
	s_or_b32 exec_lo, exec_lo, s24
	v_lshlrev_b32_e32 v0, 8, v0
	v_lshl_add_u32 v1, v1, 10, 0x2000
	s_delay_alu instid0(VALU_DEP_1) | instskip(NEXT) | instid1(VALU_DEP_1)
	v_and_or_b32 v0, 0x8000, v0, v1
	v_lshl_or_b32 v0, v35, 7, v0
	s_delay_alu instid0(VALU_DEP_1)
	v_cvt_f32_f16_e64 v184, v0
.LBB356_1025:                           ;   in Loop: Header=BB356_16 Depth=1
	s_or_b32 exec_lo, exec_lo, s23
.LBB356_1026:                           ;   in Loop: Header=BB356_16 Depth=1
	s_delay_alu instid0(SALU_CYCLE_1)
	s_or_b32 exec_lo, exec_lo, s22
.LBB356_1027:                           ;   in Loop: Header=BB356_16 Depth=1
	s_delay_alu instid0(SALU_CYCLE_1) | instskip(SKIP_3) | instid1(VALU_DEP_2)
	s_or_b32 exec_lo, exec_lo, s21
	v_lshrrev_b32_e32 v0, 16, v34
	v_mov_b32_e32 v185, 0
	s_mov_b32 s21, exec_lo
	v_dual_mov_b32 v186, 0 :: v_dual_and_b32 v1, 0xff, v0
	s_delay_alu instid0(VALU_DEP_1)
	v_cmpx_ne_u16_e32 0, v1
	s_cbranch_execz .LBB356_1035
; %bb.1028:                             ;   in Loop: Header=BB356_16 Depth=1
	v_bfrev_b32_e32 v186, 1
	s_mov_b32 s22, exec_lo
	v_cmpx_ne_u16_e32 0x80, v1
	s_cbranch_execz .LBB356_1034
; %bb.1029:                             ;   in Loop: Header=BB356_16 Depth=1
	v_bfe_u32 v2, v34, 16, 7
	v_mov_b32_e32 v186, 0x7fc02000
	s_mov_b32 s23, exec_lo
	s_delay_alu instid0(VALU_DEP_2)
	v_cmpx_ne_u32_e32 0x7f, v2
	s_cbranch_execz .LBB356_1033
; %bb.1030:                             ;   in Loop: Header=BB356_16 Depth=1
	v_and_b32_e32 v7, 7, v0
	v_lshrrev_b32_e32 v1, 3, v2
	v_mov_b32_e32 v36, v8
	s_mov_b32 s24, exec_lo
	s_delay_alu instid0(VALU_DEP_3)
	v_mov_b32_e32 v35, v7
	v_cmpx_gt_u32_e32 8, v2
; %bb.1031:                             ;   in Loop: Header=BB356_16 Depth=1
	v_clz_i32_u32_e32 v1, v7
	s_delay_alu instid0(VALU_DEP_1) | instskip(NEXT) | instid1(VALU_DEP_1)
	v_min_u32_e32 v1, 32, v1
	v_subrev_nc_u32_e32 v2, 28, v1
	v_sub_nc_u32_e32 v1, 29, v1
	s_delay_alu instid0(VALU_DEP_2) | instskip(NEXT) | instid1(VALU_DEP_1)
	v_lshlrev_b64 v[2:3], v2, v[7:8]
	v_and_b32_e32 v35, 7, v2
; %bb.1032:                             ;   in Loop: Header=BB356_16 Depth=1
	s_or_b32 exec_lo, exec_lo, s24
	v_lshlrev_b32_e32 v0, 8, v0
	v_lshl_add_u32 v1, v1, 10, 0x2000
	s_delay_alu instid0(VALU_DEP_1) | instskip(NEXT) | instid1(VALU_DEP_1)
	v_and_or_b32 v0, 0x8000, v0, v1
	v_lshl_or_b32 v0, v35, 7, v0
	s_delay_alu instid0(VALU_DEP_1)
	v_cvt_f32_f16_e64 v186, v0
.LBB356_1033:                           ;   in Loop: Header=BB356_16 Depth=1
	s_or_b32 exec_lo, exec_lo, s23
.LBB356_1034:                           ;   in Loop: Header=BB356_16 Depth=1
	s_delay_alu instid0(SALU_CYCLE_1)
	s_or_b32 exec_lo, exec_lo, s22
.LBB356_1035:                           ;   in Loop: Header=BB356_16 Depth=1
	s_delay_alu instid0(SALU_CYCLE_1) | instskip(NEXT) | instid1(SALU_CYCLE_1)
	s_or_b32 exec_lo, exec_lo, s21
	s_mov_b32 s21, exec_lo
	v_cmpx_lt_u64_e64 s[8:9], v[33:34]
	s_cbranch_execz .LBB356_1043
; %bb.1036:                             ;   in Loop: Header=BB356_16 Depth=1
	v_lshrrev_b32_e32 v0, 24, v34
	v_bfrev_b32_e32 v185, 1
	s_mov_b32 s22, exec_lo
	s_delay_alu instid0(VALU_DEP_2)
	v_cmpx_ne_u32_e32 0x80, v0
	s_cbranch_execz .LBB356_1042
; %bb.1037:                             ;   in Loop: Header=BB356_16 Depth=1
	v_and_b32_e32 v2, 0x7f, v0
	v_mov_b32_e32 v185, 0x7fc02000
	s_mov_b32 s23, exec_lo
	s_delay_alu instid0(VALU_DEP_2)
	v_cmpx_ne_u32_e32 0x7f, v2
	s_cbranch_execz .LBB356_1041
; %bb.1038:                             ;   in Loop: Header=BB356_16 Depth=1
	v_and_b32_e32 v7, 7, v0
	v_lshrrev_b32_e32 v1, 3, v2
	v_mov_b32_e32 v34, v8
	s_mov_b32 s24, exec_lo
	s_delay_alu instid0(VALU_DEP_3)
	v_mov_b32_e32 v33, v7
	v_cmpx_gt_u32_e32 8, v2
; %bb.1039:                             ;   in Loop: Header=BB356_16 Depth=1
	v_clz_i32_u32_e32 v1, v7
	s_delay_alu instid0(VALU_DEP_1) | instskip(NEXT) | instid1(VALU_DEP_1)
	v_min_u32_e32 v1, 32, v1
	v_subrev_nc_u32_e32 v2, 28, v1
	v_sub_nc_u32_e32 v1, 29, v1
	s_delay_alu instid0(VALU_DEP_2) | instskip(NEXT) | instid1(VALU_DEP_1)
	v_lshlrev_b64 v[2:3], v2, v[7:8]
	v_and_b32_e32 v33, 7, v2
; %bb.1040:                             ;   in Loop: Header=BB356_16 Depth=1
	s_or_b32 exec_lo, exec_lo, s24
	v_lshlrev_b32_e32 v0, 8, v0
	v_lshl_add_u32 v1, v1, 10, 0x2000
	s_delay_alu instid0(VALU_DEP_1) | instskip(NEXT) | instid1(VALU_DEP_1)
	v_and_or_b32 v0, 0x8000, v0, v1
	v_lshl_or_b32 v0, v33, 7, v0
	s_delay_alu instid0(VALU_DEP_1)
	v_cvt_f32_f16_e64 v185, v0
.LBB356_1041:                           ;   in Loop: Header=BB356_16 Depth=1
	s_or_b32 exec_lo, exec_lo, s23
.LBB356_1042:                           ;   in Loop: Header=BB356_16 Depth=1
	s_delay_alu instid0(SALU_CYCLE_1)
	s_or_b32 exec_lo, exec_lo, s22
.LBB356_1043:                           ;   in Loop: Header=BB356_16 Depth=1
	s_delay_alu instid0(SALU_CYCLE_1) | instskip(SKIP_1) | instid1(VALU_DEP_1)
	s_or_b32 exec_lo, exec_lo, s21
	v_add_co_u32 v31, s1, 0x1000, v31
	v_add_co_ci_u32_e64 v32, s1, 0, v32, s1
	v_mov_b32_e32 v55, 0
	s_mov_b32 s21, exec_lo
	v_mov_b32_e32 v151, 0
	flat_load_b64 v[33:34], v[31:32]
	s_waitcnt vmcnt(0) lgkmcnt(0)
	v_and_b32_e32 v0, 0xff, v33
	s_delay_alu instid0(VALU_DEP_1)
	v_cmpx_ne_u16_e32 0, v0
	s_cbranch_execz .LBB356_1051
; %bb.1044:                             ;   in Loop: Header=BB356_16 Depth=1
	v_bfrev_b32_e32 v55, 1
	s_mov_b32 s22, exec_lo
	v_cmpx_ne_u16_e32 0x80, v0
	s_cbranch_execz .LBB356_1050
; %bb.1045:                             ;   in Loop: Header=BB356_16 Depth=1
	v_and_b32_e32 v1, 0x7f, v33
	v_mov_b32_e32 v55, 0x7fc02000
	s_mov_b32 s23, exec_lo
	s_delay_alu instid0(VALU_DEP_2)
	v_cmpx_ne_u32_e32 0x7f, v1
	s_cbranch_execz .LBB356_1049
; %bb.1046:                             ;   in Loop: Header=BB356_16 Depth=1
	v_lshrrev_b32_e32 v0, 3, v1
	v_dual_mov_b32 v36, v34 :: v_dual_mov_b32 v35, v33
	s_mov_b32 s24, exec_lo
	v_cmpx_gt_u32_e32 8, v1
; %bb.1047:                             ;   in Loop: Header=BB356_16 Depth=1
	v_and_b32_e32 v0, 7, v33
	s_delay_alu instid0(VALU_DEP_1) | instskip(NEXT) | instid1(VALU_DEP_1)
	v_clz_i32_u32_e32 v0, v0
	v_min_u32_e32 v0, 32, v0
	s_delay_alu instid0(VALU_DEP_1) | instskip(SKIP_1) | instid1(VALU_DEP_2)
	v_subrev_nc_u32_e32 v1, 28, v0
	v_sub_nc_u32_e32 v0, 29, v0
	v_lshlrev_b64 v[35:36], v1, v[33:34]
; %bb.1048:                             ;   in Loop: Header=BB356_16 Depth=1
	s_or_b32 exec_lo, exec_lo, s24
	v_lshlrev_b32_e32 v1, 8, v33
	s_delay_alu instid0(VALU_DEP_3) | instskip(NEXT) | instid1(VALU_DEP_3)
	v_lshl_add_u32 v0, v0, 10, 0x2000
	v_lshlrev_b32_e32 v2, 7, v35
	s_delay_alu instid0(VALU_DEP_2) | instskip(NEXT) | instid1(VALU_DEP_1)
	v_and_or_b32 v0, 0x8000, v1, v0
	v_and_or_b32 v0, 0x380, v2, v0
	s_delay_alu instid0(VALU_DEP_1)
	v_cvt_f32_f16_e32 v55, v0
.LBB356_1049:                           ;   in Loop: Header=BB356_16 Depth=1
	s_or_b32 exec_lo, exec_lo, s23
.LBB356_1050:                           ;   in Loop: Header=BB356_16 Depth=1
	s_delay_alu instid0(SALU_CYCLE_1)
	s_or_b32 exec_lo, exec_lo, s22
.LBB356_1051:                           ;   in Loop: Header=BB356_16 Depth=1
	s_delay_alu instid0(SALU_CYCLE_1) | instskip(SKIP_2) | instid1(VALU_DEP_1)
	s_or_b32 exec_lo, exec_lo, s21
	v_lshrrev_b16 v0, 8, v33
	s_mov_b32 s21, exec_lo
	v_cmpx_ne_u16_e32 0, v0
	s_cbranch_execz .LBB356_1059
; %bb.1052:                             ;   in Loop: Header=BB356_16 Depth=1
	v_bfrev_b32_e32 v151, 1
	s_mov_b32 s22, exec_lo
	v_cmpx_ne_u16_e32 0x80, v0
	s_cbranch_execz .LBB356_1058
; %bb.1053:                             ;   in Loop: Header=BB356_16 Depth=1
	v_and_b32_e32 v0, 0xffff, v0
	v_mov_b32_e32 v151, 0x7fc02000
	s_mov_b32 s23, exec_lo
	s_delay_alu instid0(VALU_DEP_2) | instskip(NEXT) | instid1(VALU_DEP_1)
	v_and_b32_e32 v2, 0x7f, v0
	v_cmpx_ne_u32_e32 0x7f, v2
	s_cbranch_execz .LBB356_1057
; %bb.1054:                             ;   in Loop: Header=BB356_16 Depth=1
	v_and_b32_e32 v7, 7, v0
	v_lshrrev_b32_e32 v1, 3, v2
	v_mov_b32_e32 v36, v8
	s_mov_b32 s24, exec_lo
	s_delay_alu instid0(VALU_DEP_3)
	v_mov_b32_e32 v35, v7
	v_cmpx_gt_u32_e32 8, v2
; %bb.1055:                             ;   in Loop: Header=BB356_16 Depth=1
	v_clz_i32_u32_e32 v1, v7
	s_delay_alu instid0(VALU_DEP_1) | instskip(NEXT) | instid1(VALU_DEP_1)
	v_min_u32_e32 v1, 32, v1
	v_subrev_nc_u32_e32 v2, 28, v1
	v_sub_nc_u32_e32 v1, 29, v1
	s_delay_alu instid0(VALU_DEP_2) | instskip(NEXT) | instid1(VALU_DEP_1)
	v_lshlrev_b64 v[2:3], v2, v[7:8]
	v_and_b32_e32 v35, 7, v2
; %bb.1056:                             ;   in Loop: Header=BB356_16 Depth=1
	s_or_b32 exec_lo, exec_lo, s24
	v_lshlrev_b32_e32 v0, 8, v0
	v_lshl_add_u32 v1, v1, 10, 0x2000
	s_delay_alu instid0(VALU_DEP_1) | instskip(NEXT) | instid1(VALU_DEP_1)
	v_and_or_b32 v0, 0x8000, v0, v1
	v_lshl_or_b32 v0, v35, 7, v0
	s_delay_alu instid0(VALU_DEP_1)
	v_cvt_f32_f16_e64 v151, v0
.LBB356_1057:                           ;   in Loop: Header=BB356_16 Depth=1
	s_or_b32 exec_lo, exec_lo, s23
.LBB356_1058:                           ;   in Loop: Header=BB356_16 Depth=1
	s_delay_alu instid0(SALU_CYCLE_1)
	s_or_b32 exec_lo, exec_lo, s22
.LBB356_1059:                           ;   in Loop: Header=BB356_16 Depth=1
	s_delay_alu instid0(SALU_CYCLE_1) | instskip(SKIP_3) | instid1(VALU_DEP_2)
	s_or_b32 exec_lo, exec_lo, s21
	v_lshrrev_b32_e32 v0, 16, v33
	v_mov_b32_e32 v79, 0
	s_mov_b32 s21, exec_lo
	v_dual_mov_b32 v88, 0 :: v_dual_and_b32 v1, 0xff, v0
	s_delay_alu instid0(VALU_DEP_1)
	v_cmpx_ne_u16_e32 0, v1
	s_cbranch_execz .LBB356_1067
; %bb.1060:                             ;   in Loop: Header=BB356_16 Depth=1
	v_bfrev_b32_e32 v79, 1
	s_mov_b32 s22, exec_lo
	v_cmpx_ne_u16_e32 0x80, v1
	s_cbranch_execz .LBB356_1066
; %bb.1061:                             ;   in Loop: Header=BB356_16 Depth=1
	v_bfe_u32 v2, v33, 16, 7
	v_mov_b32_e32 v79, 0x7fc02000
	s_mov_b32 s23, exec_lo
	s_delay_alu instid0(VALU_DEP_2)
	v_cmpx_ne_u32_e32 0x7f, v2
	s_cbranch_execz .LBB356_1065
; %bb.1062:                             ;   in Loop: Header=BB356_16 Depth=1
	v_and_b32_e32 v7, 7, v0
	v_mov_b32_e32 v36, v8
	v_lshrrev_b32_e32 v1, 3, v2
	s_mov_b32 s24, exec_lo
	s_delay_alu instid0(VALU_DEP_3)
	v_mov_b32_e32 v35, v7
	v_cmpx_gt_u32_e32 8, v2
; %bb.1063:                             ;   in Loop: Header=BB356_16 Depth=1
	v_clz_i32_u32_e32 v1, v7
	s_delay_alu instid0(VALU_DEP_1) | instskip(NEXT) | instid1(VALU_DEP_1)
	v_min_u32_e32 v1, 32, v1
	v_subrev_nc_u32_e32 v2, 28, v1
	v_sub_nc_u32_e32 v1, 29, v1
	s_delay_alu instid0(VALU_DEP_2) | instskip(NEXT) | instid1(VALU_DEP_1)
	v_lshlrev_b64 v[2:3], v2, v[7:8]
	v_and_b32_e32 v35, 7, v2
; %bb.1064:                             ;   in Loop: Header=BB356_16 Depth=1
	s_or_b32 exec_lo, exec_lo, s24
	v_lshlrev_b32_e32 v0, 8, v0
	v_lshl_add_u32 v1, v1, 10, 0x2000
	s_delay_alu instid0(VALU_DEP_1) | instskip(NEXT) | instid1(VALU_DEP_1)
	v_and_or_b32 v0, 0x8000, v0, v1
	v_lshl_or_b32 v0, v35, 7, v0
	s_delay_alu instid0(VALU_DEP_1)
	v_cvt_f32_f16_e32 v79, v0
.LBB356_1065:                           ;   in Loop: Header=BB356_16 Depth=1
	s_or_b32 exec_lo, exec_lo, s23
.LBB356_1066:                           ;   in Loop: Header=BB356_16 Depth=1
	s_delay_alu instid0(SALU_CYCLE_1)
	s_or_b32 exec_lo, exec_lo, s22
.LBB356_1067:                           ;   in Loop: Header=BB356_16 Depth=1
	s_delay_alu instid0(SALU_CYCLE_1) | instskip(NEXT) | instid1(SALU_CYCLE_1)
	s_or_b32 exec_lo, exec_lo, s21
	s_mov_b32 s21, exec_lo
	v_cmpx_lt_u32_e32 0xffffff, v33
	s_cbranch_execz .LBB356_1075
; %bb.1068:                             ;   in Loop: Header=BB356_16 Depth=1
	v_lshrrev_b32_e32 v0, 24, v33
	v_bfrev_b32_e32 v88, 1
	s_mov_b32 s22, exec_lo
	s_delay_alu instid0(VALU_DEP_2)
	v_cmpx_ne_u32_e32 0x80, v0
	s_cbranch_execz .LBB356_1074
; %bb.1069:                             ;   in Loop: Header=BB356_16 Depth=1
	v_and_b32_e32 v2, 0x7f, v0
	v_mov_b32_e32 v88, 0x7fc02000
	s_mov_b32 s23, exec_lo
	s_delay_alu instid0(VALU_DEP_2)
	v_cmpx_ne_u32_e32 0x7f, v2
	s_cbranch_execz .LBB356_1073
; %bb.1070:                             ;   in Loop: Header=BB356_16 Depth=1
	v_and_b32_e32 v7, 7, v0
	v_mov_b32_e32 v36, v8
	v_lshrrev_b32_e32 v1, 3, v2
	s_mov_b32 s24, exec_lo
	s_delay_alu instid0(VALU_DEP_3)
	v_mov_b32_e32 v35, v7
	v_cmpx_gt_u32_e32 8, v2
; %bb.1071:                             ;   in Loop: Header=BB356_16 Depth=1
	v_clz_i32_u32_e32 v1, v7
	s_delay_alu instid0(VALU_DEP_1) | instskip(NEXT) | instid1(VALU_DEP_1)
	v_min_u32_e32 v1, 32, v1
	v_subrev_nc_u32_e32 v2, 28, v1
	v_sub_nc_u32_e32 v1, 29, v1
	s_delay_alu instid0(VALU_DEP_2) | instskip(NEXT) | instid1(VALU_DEP_1)
	v_lshlrev_b64 v[2:3], v2, v[7:8]
	v_and_b32_e32 v35, 7, v2
; %bb.1072:                             ;   in Loop: Header=BB356_16 Depth=1
	s_or_b32 exec_lo, exec_lo, s24
	v_lshlrev_b32_e32 v0, 8, v0
	v_lshl_add_u32 v1, v1, 10, 0x2000
	s_delay_alu instid0(VALU_DEP_1) | instskip(NEXT) | instid1(VALU_DEP_1)
	v_and_or_b32 v0, 0x8000, v0, v1
	v_lshl_or_b32 v0, v35, 7, v0
	s_delay_alu instid0(VALU_DEP_1)
	v_cvt_f32_f16_e32 v88, v0
.LBB356_1073:                           ;   in Loop: Header=BB356_16 Depth=1
	s_or_b32 exec_lo, exec_lo, s23
.LBB356_1074:                           ;   in Loop: Header=BB356_16 Depth=1
	s_delay_alu instid0(SALU_CYCLE_1)
	s_or_b32 exec_lo, exec_lo, s22
.LBB356_1075:                           ;   in Loop: Header=BB356_16 Depth=1
	s_delay_alu instid0(SALU_CYCLE_1) | instskip(SKIP_4) | instid1(VALU_DEP_3)
	s_or_b32 exec_lo, exec_lo, s21
	v_dual_mov_b32 v7, v34 :: v_dual_and_b32 v0, 0xff, v34
	v_mov_b32_e32 v144, 0
	v_mov_b32_e32 v106, 0
	s_mov_b32 s21, exec_lo
	v_cmpx_ne_u16_e32 0, v0
	s_cbranch_execz .LBB356_1083
; %bb.1076:                             ;   in Loop: Header=BB356_16 Depth=1
	v_bfrev_b32_e32 v106, 1
	s_mov_b32 s22, exec_lo
	v_cmpx_ne_u16_e32 0x80, v0
	s_cbranch_execz .LBB356_1082
; %bb.1077:                             ;   in Loop: Header=BB356_16 Depth=1
	v_and_b32_e32 v1, 0x7f, v34
	v_mov_b32_e32 v106, 0x7fc02000
	s_mov_b32 s23, exec_lo
	s_delay_alu instid0(VALU_DEP_2)
	v_cmpx_ne_u32_e32 0x7f, v1
	s_cbranch_execz .LBB356_1081
; %bb.1078:                             ;   in Loop: Header=BB356_16 Depth=1
	v_dual_mov_b32 v36, v8 :: v_dual_mov_b32 v35, v7
	v_lshrrev_b32_e32 v0, 3, v1
	s_mov_b32 s24, exec_lo
	v_cmpx_gt_u32_e32 8, v1
; %bb.1079:                             ;   in Loop: Header=BB356_16 Depth=1
	v_and_b32_e32 v0, 7, v34
	s_delay_alu instid0(VALU_DEP_1) | instskip(NEXT) | instid1(VALU_DEP_1)
	v_clz_i32_u32_e32 v0, v0
	v_min_u32_e32 v0, 32, v0
	s_delay_alu instid0(VALU_DEP_1) | instskip(SKIP_1) | instid1(VALU_DEP_2)
	v_subrev_nc_u32_e32 v1, 28, v0
	v_sub_nc_u32_e32 v0, 29, v0
	v_lshlrev_b64 v[35:36], v1, v[7:8]
; %bb.1080:                             ;   in Loop: Header=BB356_16 Depth=1
	s_or_b32 exec_lo, exec_lo, s24
	v_lshlrev_b32_e32 v1, 8, v34
	s_delay_alu instid0(VALU_DEP_3) | instskip(NEXT) | instid1(VALU_DEP_3)
	v_lshl_add_u32 v0, v0, 10, 0x2000
	v_lshlrev_b32_e32 v2, 7, v35
	s_delay_alu instid0(VALU_DEP_2) | instskip(NEXT) | instid1(VALU_DEP_1)
	v_and_or_b32 v0, 0x8000, v1, v0
	v_and_or_b32 v0, 0x380, v2, v0
	s_delay_alu instid0(VALU_DEP_1)
	v_cvt_f32_f16_e32 v106, v0
.LBB356_1081:                           ;   in Loop: Header=BB356_16 Depth=1
	s_or_b32 exec_lo, exec_lo, s23
.LBB356_1082:                           ;   in Loop: Header=BB356_16 Depth=1
	s_delay_alu instid0(SALU_CYCLE_1)
	s_or_b32 exec_lo, exec_lo, s22
.LBB356_1083:                           ;   in Loop: Header=BB356_16 Depth=1
	s_delay_alu instid0(SALU_CYCLE_1) | instskip(SKIP_2) | instid1(VALU_DEP_1)
	s_or_b32 exec_lo, exec_lo, s21
	v_lshrrev_b16 v0, 8, v7
	s_mov_b32 s21, exec_lo
	v_cmpx_ne_u16_e32 0, v0
	s_cbranch_execz .LBB356_1091
; %bb.1084:                             ;   in Loop: Header=BB356_16 Depth=1
	v_bfrev_b32_e32 v144, 1
	s_mov_b32 s22, exec_lo
	v_cmpx_ne_u16_e32 0x80, v0
	s_cbranch_execz .LBB356_1090
; %bb.1085:                             ;   in Loop: Header=BB356_16 Depth=1
	v_and_b32_e32 v0, 0xffff, v0
	v_mov_b32_e32 v144, 0x7fc02000
	s_mov_b32 s23, exec_lo
	s_delay_alu instid0(VALU_DEP_2) | instskip(NEXT) | instid1(VALU_DEP_1)
	v_and_b32_e32 v2, 0x7f, v0
	v_cmpx_ne_u32_e32 0x7f, v2
	s_cbranch_execz .LBB356_1089
; %bb.1086:                             ;   in Loop: Header=BB356_16 Depth=1
	v_and_b32_e32 v7, 7, v0
	v_mov_b32_e32 v36, v8
	v_lshrrev_b32_e32 v1, 3, v2
	s_mov_b32 s24, exec_lo
	s_delay_alu instid0(VALU_DEP_3)
	v_mov_b32_e32 v35, v7
	v_cmpx_gt_u32_e32 8, v2
; %bb.1087:                             ;   in Loop: Header=BB356_16 Depth=1
	v_clz_i32_u32_e32 v1, v7
	s_delay_alu instid0(VALU_DEP_1) | instskip(NEXT) | instid1(VALU_DEP_1)
	v_min_u32_e32 v1, 32, v1
	v_subrev_nc_u32_e32 v2, 28, v1
	v_sub_nc_u32_e32 v1, 29, v1
	s_delay_alu instid0(VALU_DEP_2) | instskip(NEXT) | instid1(VALU_DEP_1)
	v_lshlrev_b64 v[2:3], v2, v[7:8]
	v_and_b32_e32 v35, 7, v2
; %bb.1088:                             ;   in Loop: Header=BB356_16 Depth=1
	s_or_b32 exec_lo, exec_lo, s24
	v_lshlrev_b32_e32 v0, 8, v0
	v_lshl_add_u32 v1, v1, 10, 0x2000
	s_delay_alu instid0(VALU_DEP_1) | instskip(NEXT) | instid1(VALU_DEP_1)
	v_and_or_b32 v0, 0x8000, v0, v1
	v_lshl_or_b32 v0, v35, 7, v0
	s_delay_alu instid0(VALU_DEP_1)
	v_cvt_f32_f16_e64 v144, v0
.LBB356_1089:                           ;   in Loop: Header=BB356_16 Depth=1
	s_or_b32 exec_lo, exec_lo, s23
.LBB356_1090:                           ;   in Loop: Header=BB356_16 Depth=1
	s_delay_alu instid0(SALU_CYCLE_1)
	s_or_b32 exec_lo, exec_lo, s22
.LBB356_1091:                           ;   in Loop: Header=BB356_16 Depth=1
	s_delay_alu instid0(SALU_CYCLE_1) | instskip(SKIP_3) | instid1(VALU_DEP_2)
	s_or_b32 exec_lo, exec_lo, s21
	v_lshrrev_b32_e32 v0, 16, v34
	v_mov_b32_e32 v167, 0
	s_mov_b32 s21, exec_lo
	v_dual_mov_b32 v44, 0 :: v_dual_and_b32 v1, 0xff, v0
	s_delay_alu instid0(VALU_DEP_1)
	v_cmpx_ne_u16_e32 0, v1
	s_cbranch_execz .LBB356_1099
; %bb.1092:                             ;   in Loop: Header=BB356_16 Depth=1
	v_bfrev_b32_e32 v44, 1
	s_mov_b32 s22, exec_lo
	v_cmpx_ne_u16_e32 0x80, v1
	s_cbranch_execz .LBB356_1098
; %bb.1093:                             ;   in Loop: Header=BB356_16 Depth=1
	v_bfe_u32 v2, v34, 16, 7
	v_mov_b32_e32 v44, 0x7fc02000
	s_mov_b32 s23, exec_lo
	s_delay_alu instid0(VALU_DEP_2)
	v_cmpx_ne_u32_e32 0x7f, v2
	s_cbranch_execz .LBB356_1097
; %bb.1094:                             ;   in Loop: Header=BB356_16 Depth=1
	v_and_b32_e32 v7, 7, v0
	v_mov_b32_e32 v36, v8
	v_lshrrev_b32_e32 v1, 3, v2
	s_mov_b32 s24, exec_lo
	s_delay_alu instid0(VALU_DEP_3)
	v_mov_b32_e32 v35, v7
	v_cmpx_gt_u32_e32 8, v2
; %bb.1095:                             ;   in Loop: Header=BB356_16 Depth=1
	v_clz_i32_u32_e32 v1, v7
	s_delay_alu instid0(VALU_DEP_1) | instskip(NEXT) | instid1(VALU_DEP_1)
	v_min_u32_e32 v1, 32, v1
	v_subrev_nc_u32_e32 v2, 28, v1
	v_sub_nc_u32_e32 v1, 29, v1
	s_delay_alu instid0(VALU_DEP_2) | instskip(NEXT) | instid1(VALU_DEP_1)
	v_lshlrev_b64 v[2:3], v2, v[7:8]
	v_and_b32_e32 v35, 7, v2
; %bb.1096:                             ;   in Loop: Header=BB356_16 Depth=1
	s_or_b32 exec_lo, exec_lo, s24
	v_lshlrev_b32_e32 v0, 8, v0
	v_lshl_add_u32 v1, v1, 10, 0x2000
	s_delay_alu instid0(VALU_DEP_1) | instskip(NEXT) | instid1(VALU_DEP_1)
	v_and_or_b32 v0, 0x8000, v0, v1
	v_lshl_or_b32 v0, v35, 7, v0
	s_delay_alu instid0(VALU_DEP_1)
	v_cvt_f32_f16_e32 v44, v0
.LBB356_1097:                           ;   in Loop: Header=BB356_16 Depth=1
	s_or_b32 exec_lo, exec_lo, s23
.LBB356_1098:                           ;   in Loop: Header=BB356_16 Depth=1
	s_delay_alu instid0(SALU_CYCLE_1)
	s_or_b32 exec_lo, exec_lo, s22
.LBB356_1099:                           ;   in Loop: Header=BB356_16 Depth=1
	s_delay_alu instid0(SALU_CYCLE_1) | instskip(NEXT) | instid1(SALU_CYCLE_1)
	s_or_b32 exec_lo, exec_lo, s21
	s_mov_b32 s21, exec_lo
	v_cmpx_lt_u64_e64 s[8:9], v[33:34]
	s_cbranch_execz .LBB356_1107
; %bb.1100:                             ;   in Loop: Header=BB356_16 Depth=1
	v_lshrrev_b32_e32 v0, 24, v34
	v_bfrev_b32_e32 v167, 1
	s_mov_b32 s22, exec_lo
	s_delay_alu instid0(VALU_DEP_2)
	v_cmpx_ne_u32_e32 0x80, v0
	s_cbranch_execz .LBB356_1106
; %bb.1101:                             ;   in Loop: Header=BB356_16 Depth=1
	v_and_b32_e32 v2, 0x7f, v0
	v_mov_b32_e32 v167, 0x7fc02000
	s_mov_b32 s23, exec_lo
	s_delay_alu instid0(VALU_DEP_2)
	v_cmpx_ne_u32_e32 0x7f, v2
	s_cbranch_execz .LBB356_1105
; %bb.1102:                             ;   in Loop: Header=BB356_16 Depth=1
	v_and_b32_e32 v7, 7, v0
	v_mov_b32_e32 v34, v8
	v_lshrrev_b32_e32 v1, 3, v2
	s_mov_b32 s24, exec_lo
	s_delay_alu instid0(VALU_DEP_3)
	v_mov_b32_e32 v33, v7
	v_cmpx_gt_u32_e32 8, v2
; %bb.1103:                             ;   in Loop: Header=BB356_16 Depth=1
	v_clz_i32_u32_e32 v1, v7
	s_delay_alu instid0(VALU_DEP_1) | instskip(NEXT) | instid1(VALU_DEP_1)
	v_min_u32_e32 v1, 32, v1
	v_subrev_nc_u32_e32 v2, 28, v1
	v_sub_nc_u32_e32 v1, 29, v1
	s_delay_alu instid0(VALU_DEP_2) | instskip(NEXT) | instid1(VALU_DEP_1)
	v_lshlrev_b64 v[2:3], v2, v[7:8]
	v_and_b32_e32 v33, 7, v2
; %bb.1104:                             ;   in Loop: Header=BB356_16 Depth=1
	s_or_b32 exec_lo, exec_lo, s24
	v_lshlrev_b32_e32 v0, 8, v0
	v_lshl_add_u32 v1, v1, 10, 0x2000
	s_delay_alu instid0(VALU_DEP_1) | instskip(NEXT) | instid1(VALU_DEP_1)
	v_and_or_b32 v0, 0x8000, v0, v1
	v_lshl_or_b32 v0, v33, 7, v0
	s_delay_alu instid0(VALU_DEP_1)
	v_cvt_f32_f16_e64 v167, v0
.LBB356_1105:                           ;   in Loop: Header=BB356_16 Depth=1
	s_or_b32 exec_lo, exec_lo, s23
.LBB356_1106:                           ;   in Loop: Header=BB356_16 Depth=1
	s_delay_alu instid0(SALU_CYCLE_1)
	s_or_b32 exec_lo, exec_lo, s22
.LBB356_1107:                           ;   in Loop: Header=BB356_16 Depth=1
	s_delay_alu instid0(SALU_CYCLE_1)
	s_or_b32 exec_lo, exec_lo, s21
	flat_load_b64 v[33:34], v[31:32] offset:8
	v_mov_b32_e32 v114, 0
	s_mov_b32 s21, exec_lo
	s_waitcnt vmcnt(0) lgkmcnt(0)
	v_dual_mov_b32 v115, 0 :: v_dual_and_b32 v0, 0xff, v33
	s_delay_alu instid0(VALU_DEP_1)
	v_cmpx_ne_u16_e32 0, v0
	s_cbranch_execz .LBB356_1115
; %bb.1108:                             ;   in Loop: Header=BB356_16 Depth=1
	v_bfrev_b32_e32 v114, 1
	s_mov_b32 s22, exec_lo
	v_cmpx_ne_u16_e32 0x80, v0
	s_cbranch_execz .LBB356_1114
; %bb.1109:                             ;   in Loop: Header=BB356_16 Depth=1
	v_and_b32_e32 v1, 0x7f, v33
	v_mov_b32_e32 v114, 0x7fc02000
	s_mov_b32 s23, exec_lo
	s_delay_alu instid0(VALU_DEP_2)
	v_cmpx_ne_u32_e32 0x7f, v1
	s_cbranch_execz .LBB356_1113
; %bb.1110:                             ;   in Loop: Header=BB356_16 Depth=1
	v_lshrrev_b32_e32 v0, 3, v1
	v_dual_mov_b32 v36, v34 :: v_dual_mov_b32 v35, v33
	s_mov_b32 s24, exec_lo
	v_cmpx_gt_u32_e32 8, v1
; %bb.1111:                             ;   in Loop: Header=BB356_16 Depth=1
	v_and_b32_e32 v0, 7, v33
	s_delay_alu instid0(VALU_DEP_1) | instskip(NEXT) | instid1(VALU_DEP_1)
	v_clz_i32_u32_e32 v0, v0
	v_min_u32_e32 v0, 32, v0
	s_delay_alu instid0(VALU_DEP_1) | instskip(SKIP_1) | instid1(VALU_DEP_2)
	v_subrev_nc_u32_e32 v1, 28, v0
	v_sub_nc_u32_e32 v0, 29, v0
	v_lshlrev_b64 v[35:36], v1, v[33:34]
; %bb.1112:                             ;   in Loop: Header=BB356_16 Depth=1
	s_or_b32 exec_lo, exec_lo, s24
	v_lshlrev_b32_e32 v1, 8, v33
	s_delay_alu instid0(VALU_DEP_3) | instskip(NEXT) | instid1(VALU_DEP_3)
	v_lshl_add_u32 v0, v0, 10, 0x2000
	v_lshlrev_b32_e32 v2, 7, v35
	s_delay_alu instid0(VALU_DEP_2) | instskip(NEXT) | instid1(VALU_DEP_1)
	v_and_or_b32 v0, 0x8000, v1, v0
	v_and_or_b32 v0, 0x380, v2, v0
	s_delay_alu instid0(VALU_DEP_1)
	v_cvt_f32_f16_e32 v114, v0
.LBB356_1113:                           ;   in Loop: Header=BB356_16 Depth=1
	s_or_b32 exec_lo, exec_lo, s23
.LBB356_1114:                           ;   in Loop: Header=BB356_16 Depth=1
	s_delay_alu instid0(SALU_CYCLE_1)
	s_or_b32 exec_lo, exec_lo, s22
.LBB356_1115:                           ;   in Loop: Header=BB356_16 Depth=1
	s_delay_alu instid0(SALU_CYCLE_1) | instskip(SKIP_2) | instid1(VALU_DEP_1)
	s_or_b32 exec_lo, exec_lo, s21
	v_lshrrev_b16 v0, 8, v33
	s_mov_b32 s21, exec_lo
	v_cmpx_ne_u16_e32 0, v0
	s_cbranch_execz .LBB356_1123
; %bb.1116:                             ;   in Loop: Header=BB356_16 Depth=1
	v_bfrev_b32_e32 v115, 1
	s_mov_b32 s22, exec_lo
	v_cmpx_ne_u16_e32 0x80, v0
	s_cbranch_execz .LBB356_1122
; %bb.1117:                             ;   in Loop: Header=BB356_16 Depth=1
	v_and_b32_e32 v0, 0xffff, v0
	v_mov_b32_e32 v115, 0x7fc02000
	s_mov_b32 s23, exec_lo
	s_delay_alu instid0(VALU_DEP_2) | instskip(NEXT) | instid1(VALU_DEP_1)
	v_and_b32_e32 v2, 0x7f, v0
	v_cmpx_ne_u32_e32 0x7f, v2
	s_cbranch_execz .LBB356_1121
; %bb.1118:                             ;   in Loop: Header=BB356_16 Depth=1
	v_and_b32_e32 v7, 7, v0
	v_mov_b32_e32 v36, v8
	v_lshrrev_b32_e32 v1, 3, v2
	s_mov_b32 s24, exec_lo
	s_delay_alu instid0(VALU_DEP_3)
	v_mov_b32_e32 v35, v7
	v_cmpx_gt_u32_e32 8, v2
; %bb.1119:                             ;   in Loop: Header=BB356_16 Depth=1
	v_clz_i32_u32_e32 v1, v7
	s_delay_alu instid0(VALU_DEP_1) | instskip(NEXT) | instid1(VALU_DEP_1)
	v_min_u32_e32 v1, 32, v1
	v_subrev_nc_u32_e32 v2, 28, v1
	v_sub_nc_u32_e32 v1, 29, v1
	s_delay_alu instid0(VALU_DEP_2) | instskip(NEXT) | instid1(VALU_DEP_1)
	v_lshlrev_b64 v[2:3], v2, v[7:8]
	v_and_b32_e32 v35, 7, v2
; %bb.1120:                             ;   in Loop: Header=BB356_16 Depth=1
	s_or_b32 exec_lo, exec_lo, s24
	v_lshlrev_b32_e32 v0, 8, v0
	v_lshl_add_u32 v1, v1, 10, 0x2000
	s_delay_alu instid0(VALU_DEP_1) | instskip(NEXT) | instid1(VALU_DEP_1)
	v_and_or_b32 v0, 0x8000, v0, v1
	v_lshl_or_b32 v0, v35, 7, v0
	s_delay_alu instid0(VALU_DEP_1)
	v_cvt_f32_f16_e32 v115, v0
.LBB356_1121:                           ;   in Loop: Header=BB356_16 Depth=1
	s_or_b32 exec_lo, exec_lo, s23
.LBB356_1122:                           ;   in Loop: Header=BB356_16 Depth=1
	s_delay_alu instid0(SALU_CYCLE_1)
	s_or_b32 exec_lo, exec_lo, s22
.LBB356_1123:                           ;   in Loop: Header=BB356_16 Depth=1
	s_delay_alu instid0(SALU_CYCLE_1) | instskip(SKIP_3) | instid1(VALU_DEP_2)
	s_or_b32 exec_lo, exec_lo, s21
	v_lshrrev_b32_e32 v0, 16, v33
	v_mov_b32_e32 v116, 0
	s_mov_b32 s21, exec_lo
	v_dual_mov_b32 v48, 0 :: v_dual_and_b32 v1, 0xff, v0
	s_delay_alu instid0(VALU_DEP_1)
	v_cmpx_ne_u16_e32 0, v1
	s_cbranch_execz .LBB356_1131
; %bb.1124:                             ;   in Loop: Header=BB356_16 Depth=1
	v_bfrev_b32_e32 v116, 1
	s_mov_b32 s22, exec_lo
	v_cmpx_ne_u16_e32 0x80, v1
	s_cbranch_execz .LBB356_1130
; %bb.1125:                             ;   in Loop: Header=BB356_16 Depth=1
	v_bfe_u32 v2, v33, 16, 7
	v_mov_b32_e32 v116, 0x7fc02000
	s_mov_b32 s23, exec_lo
	s_delay_alu instid0(VALU_DEP_2)
	v_cmpx_ne_u32_e32 0x7f, v2
	s_cbranch_execz .LBB356_1129
; %bb.1126:                             ;   in Loop: Header=BB356_16 Depth=1
	v_and_b32_e32 v7, 7, v0
	v_mov_b32_e32 v36, v8
	v_lshrrev_b32_e32 v1, 3, v2
	s_mov_b32 s24, exec_lo
	s_delay_alu instid0(VALU_DEP_3)
	v_mov_b32_e32 v35, v7
	v_cmpx_gt_u32_e32 8, v2
; %bb.1127:                             ;   in Loop: Header=BB356_16 Depth=1
	v_clz_i32_u32_e32 v1, v7
	s_delay_alu instid0(VALU_DEP_1) | instskip(NEXT) | instid1(VALU_DEP_1)
	v_min_u32_e32 v1, 32, v1
	v_subrev_nc_u32_e32 v2, 28, v1
	v_sub_nc_u32_e32 v1, 29, v1
	s_delay_alu instid0(VALU_DEP_2) | instskip(NEXT) | instid1(VALU_DEP_1)
	v_lshlrev_b64 v[2:3], v2, v[7:8]
	v_and_b32_e32 v35, 7, v2
; %bb.1128:                             ;   in Loop: Header=BB356_16 Depth=1
	s_or_b32 exec_lo, exec_lo, s24
	v_lshlrev_b32_e32 v0, 8, v0
	v_lshl_add_u32 v1, v1, 10, 0x2000
	s_delay_alu instid0(VALU_DEP_1) | instskip(NEXT) | instid1(VALU_DEP_1)
	v_and_or_b32 v0, 0x8000, v0, v1
	v_lshl_or_b32 v0, v35, 7, v0
	s_delay_alu instid0(VALU_DEP_1)
	v_cvt_f32_f16_e32 v116, v0
.LBB356_1129:                           ;   in Loop: Header=BB356_16 Depth=1
	s_or_b32 exec_lo, exec_lo, s23
.LBB356_1130:                           ;   in Loop: Header=BB356_16 Depth=1
	s_delay_alu instid0(SALU_CYCLE_1)
	s_or_b32 exec_lo, exec_lo, s22
.LBB356_1131:                           ;   in Loop: Header=BB356_16 Depth=1
	s_delay_alu instid0(SALU_CYCLE_1) | instskip(NEXT) | instid1(SALU_CYCLE_1)
	s_or_b32 exec_lo, exec_lo, s21
	s_mov_b32 s21, exec_lo
	v_cmpx_lt_u32_e32 0xffffff, v33
	s_cbranch_execz .LBB356_1139
; %bb.1132:                             ;   in Loop: Header=BB356_16 Depth=1
	v_lshrrev_b32_e32 v0, 24, v33
	v_bfrev_b32_e32 v48, 1
	s_mov_b32 s22, exec_lo
	s_delay_alu instid0(VALU_DEP_2)
	v_cmpx_ne_u32_e32 0x80, v0
	s_cbranch_execz .LBB356_1138
; %bb.1133:                             ;   in Loop: Header=BB356_16 Depth=1
	v_and_b32_e32 v2, 0x7f, v0
	v_mov_b32_e32 v48, 0x7fc02000
	s_mov_b32 s23, exec_lo
	s_delay_alu instid0(VALU_DEP_2)
	v_cmpx_ne_u32_e32 0x7f, v2
	s_cbranch_execz .LBB356_1137
; %bb.1134:                             ;   in Loop: Header=BB356_16 Depth=1
	v_and_b32_e32 v7, 7, v0
	v_mov_b32_e32 v36, v8
	v_lshrrev_b32_e32 v1, 3, v2
	s_mov_b32 s24, exec_lo
	s_delay_alu instid0(VALU_DEP_3)
	v_mov_b32_e32 v35, v7
	v_cmpx_gt_u32_e32 8, v2
; %bb.1135:                             ;   in Loop: Header=BB356_16 Depth=1
	v_clz_i32_u32_e32 v1, v7
	s_delay_alu instid0(VALU_DEP_1) | instskip(NEXT) | instid1(VALU_DEP_1)
	v_min_u32_e32 v1, 32, v1
	v_subrev_nc_u32_e32 v2, 28, v1
	v_sub_nc_u32_e32 v1, 29, v1
	s_delay_alu instid0(VALU_DEP_2) | instskip(NEXT) | instid1(VALU_DEP_1)
	v_lshlrev_b64 v[2:3], v2, v[7:8]
	v_and_b32_e32 v35, 7, v2
; %bb.1136:                             ;   in Loop: Header=BB356_16 Depth=1
	s_or_b32 exec_lo, exec_lo, s24
	v_lshlrev_b32_e32 v0, 8, v0
	v_lshl_add_u32 v1, v1, 10, 0x2000
	s_delay_alu instid0(VALU_DEP_1) | instskip(NEXT) | instid1(VALU_DEP_1)
	v_and_or_b32 v0, 0x8000, v0, v1
	v_lshl_or_b32 v0, v35, 7, v0
	s_delay_alu instid0(VALU_DEP_1)
	v_cvt_f32_f16_e32 v48, v0
.LBB356_1137:                           ;   in Loop: Header=BB356_16 Depth=1
	s_or_b32 exec_lo, exec_lo, s23
.LBB356_1138:                           ;   in Loop: Header=BB356_16 Depth=1
	s_delay_alu instid0(SALU_CYCLE_1)
	s_or_b32 exec_lo, exec_lo, s22
.LBB356_1139:                           ;   in Loop: Header=BB356_16 Depth=1
	s_delay_alu instid0(SALU_CYCLE_1) | instskip(SKIP_3) | instid1(VALU_DEP_2)
	s_or_b32 exec_lo, exec_lo, s21
	v_dual_mov_b32 v7, v34 :: v_dual_and_b32 v0, 0xff, v34
	v_dual_mov_b32 v67, 0 :: v_dual_mov_b32 v4, 0
	s_mov_b32 s21, exec_lo
	v_cmpx_ne_u16_e32 0, v0
	s_cbranch_execz .LBB356_1147
; %bb.1140:                             ;   in Loop: Header=BB356_16 Depth=1
	v_bfrev_b32_e32 v4, 1
	s_mov_b32 s22, exec_lo
	v_cmpx_ne_u16_e32 0x80, v0
	s_cbranch_execz .LBB356_1146
; %bb.1141:                             ;   in Loop: Header=BB356_16 Depth=1
	v_and_b32_e32 v1, 0x7f, v34
	v_mov_b32_e32 v4, 0x7fc02000
	s_mov_b32 s23, exec_lo
	s_delay_alu instid0(VALU_DEP_2)
	v_cmpx_ne_u32_e32 0x7f, v1
	s_cbranch_execz .LBB356_1145
; %bb.1142:                             ;   in Loop: Header=BB356_16 Depth=1
	v_dual_mov_b32 v36, v8 :: v_dual_mov_b32 v35, v7
	v_lshrrev_b32_e32 v0, 3, v1
	s_mov_b32 s24, exec_lo
	v_cmpx_gt_u32_e32 8, v1
; %bb.1143:                             ;   in Loop: Header=BB356_16 Depth=1
	v_and_b32_e32 v0, 7, v34
	s_delay_alu instid0(VALU_DEP_1) | instskip(NEXT) | instid1(VALU_DEP_1)
	v_clz_i32_u32_e32 v0, v0
	v_min_u32_e32 v0, 32, v0
	s_delay_alu instid0(VALU_DEP_1) | instskip(SKIP_1) | instid1(VALU_DEP_2)
	v_subrev_nc_u32_e32 v1, 28, v0
	v_sub_nc_u32_e32 v0, 29, v0
	v_lshlrev_b64 v[35:36], v1, v[7:8]
; %bb.1144:                             ;   in Loop: Header=BB356_16 Depth=1
	s_or_b32 exec_lo, exec_lo, s24
	v_lshlrev_b32_e32 v1, 8, v34
	s_delay_alu instid0(VALU_DEP_3) | instskip(NEXT) | instid1(VALU_DEP_3)
	v_lshl_add_u32 v0, v0, 10, 0x2000
	v_lshlrev_b32_e32 v2, 7, v35
	s_delay_alu instid0(VALU_DEP_2) | instskip(NEXT) | instid1(VALU_DEP_1)
	v_and_or_b32 v0, 0x8000, v1, v0
	v_and_or_b32 v0, 0x380, v2, v0
	s_delay_alu instid0(VALU_DEP_1)
	v_cvt_f32_f16_e32 v4, v0
.LBB356_1145:                           ;   in Loop: Header=BB356_16 Depth=1
	s_or_b32 exec_lo, exec_lo, s23
.LBB356_1146:                           ;   in Loop: Header=BB356_16 Depth=1
	s_delay_alu instid0(SALU_CYCLE_1)
	s_or_b32 exec_lo, exec_lo, s22
.LBB356_1147:                           ;   in Loop: Header=BB356_16 Depth=1
	s_delay_alu instid0(SALU_CYCLE_1) | instskip(SKIP_2) | instid1(VALU_DEP_1)
	s_or_b32 exec_lo, exec_lo, s21
	v_lshrrev_b16 v0, 8, v7
	s_mov_b32 s21, exec_lo
	v_cmpx_ne_u16_e32 0, v0
	s_cbranch_execz .LBB356_1155
; %bb.1148:                             ;   in Loop: Header=BB356_16 Depth=1
	v_bfrev_b32_e32 v67, 1
	s_mov_b32 s22, exec_lo
	v_cmpx_ne_u16_e32 0x80, v0
	s_cbranch_execz .LBB356_1154
; %bb.1149:                             ;   in Loop: Header=BB356_16 Depth=1
	v_and_b32_e32 v0, 0xffff, v0
	v_mov_b32_e32 v67, 0x7fc02000
	s_mov_b32 s23, exec_lo
	s_delay_alu instid0(VALU_DEP_2) | instskip(NEXT) | instid1(VALU_DEP_1)
	v_and_b32_e32 v2, 0x7f, v0
	v_cmpx_ne_u32_e32 0x7f, v2
	s_cbranch_execz .LBB356_1153
; %bb.1150:                             ;   in Loop: Header=BB356_16 Depth=1
	v_and_b32_e32 v7, 7, v0
	v_mov_b32_e32 v36, v8
	v_lshrrev_b32_e32 v1, 3, v2
	s_mov_b32 s24, exec_lo
	s_delay_alu instid0(VALU_DEP_3)
	v_mov_b32_e32 v35, v7
	v_cmpx_gt_u32_e32 8, v2
; %bb.1151:                             ;   in Loop: Header=BB356_16 Depth=1
	v_clz_i32_u32_e32 v1, v7
	s_delay_alu instid0(VALU_DEP_1) | instskip(NEXT) | instid1(VALU_DEP_1)
	v_min_u32_e32 v1, 32, v1
	v_subrev_nc_u32_e32 v2, 28, v1
	v_sub_nc_u32_e32 v1, 29, v1
	s_delay_alu instid0(VALU_DEP_2) | instskip(NEXT) | instid1(VALU_DEP_1)
	v_lshlrev_b64 v[2:3], v2, v[7:8]
	v_and_b32_e32 v35, 7, v2
; %bb.1152:                             ;   in Loop: Header=BB356_16 Depth=1
	s_or_b32 exec_lo, exec_lo, s24
	v_lshlrev_b32_e32 v0, 8, v0
	v_lshl_add_u32 v1, v1, 10, 0x2000
	s_delay_alu instid0(VALU_DEP_1) | instskip(NEXT) | instid1(VALU_DEP_1)
	v_and_or_b32 v0, 0x8000, v0, v1
	v_lshl_or_b32 v0, v35, 7, v0
	s_delay_alu instid0(VALU_DEP_1)
	v_cvt_f32_f16_e32 v67, v0
.LBB356_1153:                           ;   in Loop: Header=BB356_16 Depth=1
	s_or_b32 exec_lo, exec_lo, s23
.LBB356_1154:                           ;   in Loop: Header=BB356_16 Depth=1
	s_delay_alu instid0(SALU_CYCLE_1)
	s_or_b32 exec_lo, exec_lo, s22
.LBB356_1155:                           ;   in Loop: Header=BB356_16 Depth=1
	s_delay_alu instid0(SALU_CYCLE_1) | instskip(SKIP_3) | instid1(VALU_DEP_2)
	s_or_b32 exec_lo, exec_lo, s21
	v_lshrrev_b32_e32 v0, 16, v34
	v_mov_b32_e32 v129, 0
	s_mov_b32 s21, exec_lo
	v_dual_mov_b32 v128, 0 :: v_dual_and_b32 v1, 0xff, v0
	s_delay_alu instid0(VALU_DEP_1)
	v_cmpx_ne_u16_e32 0, v1
	s_cbranch_execz .LBB356_1163
; %bb.1156:                             ;   in Loop: Header=BB356_16 Depth=1
	v_bfrev_b32_e32 v129, 1
	s_mov_b32 s22, exec_lo
	v_cmpx_ne_u16_e32 0x80, v1
	s_cbranch_execz .LBB356_1162
; %bb.1157:                             ;   in Loop: Header=BB356_16 Depth=1
	v_bfe_u32 v2, v34, 16, 7
	v_mov_b32_e32 v129, 0x7fc02000
	s_mov_b32 s23, exec_lo
	s_delay_alu instid0(VALU_DEP_2)
	v_cmpx_ne_u32_e32 0x7f, v2
	s_cbranch_execz .LBB356_1161
; %bb.1158:                             ;   in Loop: Header=BB356_16 Depth=1
	v_and_b32_e32 v7, 7, v0
	v_mov_b32_e32 v36, v8
	v_lshrrev_b32_e32 v1, 3, v2
	s_mov_b32 s24, exec_lo
	s_delay_alu instid0(VALU_DEP_3)
	v_mov_b32_e32 v35, v7
	v_cmpx_gt_u32_e32 8, v2
; %bb.1159:                             ;   in Loop: Header=BB356_16 Depth=1
	v_clz_i32_u32_e32 v1, v7
	s_delay_alu instid0(VALU_DEP_1) | instskip(NEXT) | instid1(VALU_DEP_1)
	v_min_u32_e32 v1, 32, v1
	v_subrev_nc_u32_e32 v2, 28, v1
	v_sub_nc_u32_e32 v1, 29, v1
	s_delay_alu instid0(VALU_DEP_2) | instskip(NEXT) | instid1(VALU_DEP_1)
	v_lshlrev_b64 v[2:3], v2, v[7:8]
	v_and_b32_e32 v35, 7, v2
; %bb.1160:                             ;   in Loop: Header=BB356_16 Depth=1
	s_or_b32 exec_lo, exec_lo, s24
	v_lshlrev_b32_e32 v0, 8, v0
	v_lshl_add_u32 v1, v1, 10, 0x2000
	s_delay_alu instid0(VALU_DEP_1) | instskip(NEXT) | instid1(VALU_DEP_1)
	v_and_or_b32 v0, 0x8000, v0, v1
	v_lshl_or_b32 v0, v35, 7, v0
	s_delay_alu instid0(VALU_DEP_1)
	v_cvt_f32_f16_e64 v129, v0
.LBB356_1161:                           ;   in Loop: Header=BB356_16 Depth=1
	s_or_b32 exec_lo, exec_lo, s23
.LBB356_1162:                           ;   in Loop: Header=BB356_16 Depth=1
	s_delay_alu instid0(SALU_CYCLE_1)
	s_or_b32 exec_lo, exec_lo, s22
.LBB356_1163:                           ;   in Loop: Header=BB356_16 Depth=1
	s_delay_alu instid0(SALU_CYCLE_1) | instskip(NEXT) | instid1(SALU_CYCLE_1)
	s_or_b32 exec_lo, exec_lo, s21
	s_mov_b32 s21, exec_lo
	v_cmpx_lt_u64_e64 s[8:9], v[33:34]
	s_cbranch_execz .LBB356_1171
; %bb.1164:                             ;   in Loop: Header=BB356_16 Depth=1
	v_lshrrev_b32_e32 v0, 24, v34
	v_bfrev_b32_e32 v128, 1
	s_mov_b32 s22, exec_lo
	s_delay_alu instid0(VALU_DEP_2)
	v_cmpx_ne_u32_e32 0x80, v0
	s_cbranch_execz .LBB356_1170
; %bb.1165:                             ;   in Loop: Header=BB356_16 Depth=1
	v_and_b32_e32 v2, 0x7f, v0
	v_mov_b32_e32 v128, 0x7fc02000
	s_mov_b32 s23, exec_lo
	s_delay_alu instid0(VALU_DEP_2)
	v_cmpx_ne_u32_e32 0x7f, v2
	s_cbranch_execz .LBB356_1169
; %bb.1166:                             ;   in Loop: Header=BB356_16 Depth=1
	v_and_b32_e32 v7, 7, v0
	v_mov_b32_e32 v34, v8
	v_lshrrev_b32_e32 v1, 3, v2
	s_mov_b32 s24, exec_lo
	s_delay_alu instid0(VALU_DEP_3)
	v_mov_b32_e32 v33, v7
	v_cmpx_gt_u32_e32 8, v2
; %bb.1167:                             ;   in Loop: Header=BB356_16 Depth=1
	v_clz_i32_u32_e32 v1, v7
	s_delay_alu instid0(VALU_DEP_1) | instskip(NEXT) | instid1(VALU_DEP_1)
	v_min_u32_e32 v1, 32, v1
	v_subrev_nc_u32_e32 v2, 28, v1
	v_sub_nc_u32_e32 v1, 29, v1
	s_delay_alu instid0(VALU_DEP_2) | instskip(NEXT) | instid1(VALU_DEP_1)
	v_lshlrev_b64 v[2:3], v2, v[7:8]
	v_and_b32_e32 v33, 7, v2
; %bb.1168:                             ;   in Loop: Header=BB356_16 Depth=1
	s_or_b32 exec_lo, exec_lo, s24
	v_lshlrev_b32_e32 v0, 8, v0
	v_lshl_add_u32 v1, v1, 10, 0x2000
	s_delay_alu instid0(VALU_DEP_1) | instskip(NEXT) | instid1(VALU_DEP_1)
	v_and_or_b32 v0, 0x8000, v0, v1
	v_lshl_or_b32 v0, v33, 7, v0
	s_delay_alu instid0(VALU_DEP_1)
	v_cvt_f32_f16_e64 v128, v0
.LBB356_1169:                           ;   in Loop: Header=BB356_16 Depth=1
	s_or_b32 exec_lo, exec_lo, s23
.LBB356_1170:                           ;   in Loop: Header=BB356_16 Depth=1
	s_delay_alu instid0(SALU_CYCLE_1)
	s_or_b32 exec_lo, exec_lo, s22
.LBB356_1171:                           ;   in Loop: Header=BB356_16 Depth=1
	s_delay_alu instid0(SALU_CYCLE_1)
	s_or_b32 exec_lo, exec_lo, s21
	flat_load_b64 v[33:34], v[31:32] offset:512
	v_mov_b32_e32 v86, 0
	v_mov_b32_e32 v146, 0
	s_mov_b32 s21, exec_lo
	s_waitcnt vmcnt(0) lgkmcnt(0)
	v_and_b32_e32 v0, 0xff, v33
	s_delay_alu instid0(VALU_DEP_1)
	v_cmpx_ne_u16_e32 0, v0
	s_cbranch_execz .LBB356_1179
; %bb.1172:                             ;   in Loop: Header=BB356_16 Depth=1
	v_bfrev_b32_e32 v146, 1
	s_mov_b32 s22, exec_lo
	v_cmpx_ne_u16_e32 0x80, v0
	s_cbranch_execz .LBB356_1178
; %bb.1173:                             ;   in Loop: Header=BB356_16 Depth=1
	v_and_b32_e32 v1, 0x7f, v33
	v_mov_b32_e32 v146, 0x7fc02000
	s_mov_b32 s23, exec_lo
	s_delay_alu instid0(VALU_DEP_2)
	v_cmpx_ne_u32_e32 0x7f, v1
	s_cbranch_execz .LBB356_1177
; %bb.1174:                             ;   in Loop: Header=BB356_16 Depth=1
	v_lshrrev_b32_e32 v0, 3, v1
	v_dual_mov_b32 v36, v34 :: v_dual_mov_b32 v35, v33
	s_mov_b32 s24, exec_lo
	v_cmpx_gt_u32_e32 8, v1
; %bb.1175:                             ;   in Loop: Header=BB356_16 Depth=1
	v_and_b32_e32 v0, 7, v33
	s_delay_alu instid0(VALU_DEP_1) | instskip(NEXT) | instid1(VALU_DEP_1)
	v_clz_i32_u32_e32 v0, v0
	v_min_u32_e32 v0, 32, v0
	s_delay_alu instid0(VALU_DEP_1) | instskip(SKIP_1) | instid1(VALU_DEP_2)
	v_subrev_nc_u32_e32 v1, 28, v0
	v_sub_nc_u32_e32 v0, 29, v0
	v_lshlrev_b64 v[35:36], v1, v[33:34]
; %bb.1176:                             ;   in Loop: Header=BB356_16 Depth=1
	s_or_b32 exec_lo, exec_lo, s24
	v_lshlrev_b32_e32 v1, 8, v33
	s_delay_alu instid0(VALU_DEP_3) | instskip(NEXT) | instid1(VALU_DEP_3)
	v_lshl_add_u32 v0, v0, 10, 0x2000
	v_lshlrev_b32_e32 v2, 7, v35
	s_delay_alu instid0(VALU_DEP_2) | instskip(NEXT) | instid1(VALU_DEP_1)
	v_and_or_b32 v0, 0x8000, v1, v0
	v_and_or_b32 v0, 0x380, v2, v0
	s_delay_alu instid0(VALU_DEP_1)
	v_cvt_f32_f16_e64 v146, v0
.LBB356_1177:                           ;   in Loop: Header=BB356_16 Depth=1
	s_or_b32 exec_lo, exec_lo, s23
.LBB356_1178:                           ;   in Loop: Header=BB356_16 Depth=1
	s_delay_alu instid0(SALU_CYCLE_1)
	s_or_b32 exec_lo, exec_lo, s22
.LBB356_1179:                           ;   in Loop: Header=BB356_16 Depth=1
	s_delay_alu instid0(SALU_CYCLE_1) | instskip(SKIP_2) | instid1(VALU_DEP_1)
	s_or_b32 exec_lo, exec_lo, s21
	v_lshrrev_b16 v0, 8, v33
	s_mov_b32 s21, exec_lo
	v_cmpx_ne_u16_e32 0, v0
	s_cbranch_execz .LBB356_1187
; %bb.1180:                             ;   in Loop: Header=BB356_16 Depth=1
	v_bfrev_b32_e32 v86, 1
	s_mov_b32 s22, exec_lo
	v_cmpx_ne_u16_e32 0x80, v0
	s_cbranch_execz .LBB356_1186
; %bb.1181:                             ;   in Loop: Header=BB356_16 Depth=1
	v_and_b32_e32 v0, 0xffff, v0
	v_mov_b32_e32 v86, 0x7fc02000
	s_mov_b32 s23, exec_lo
	s_delay_alu instid0(VALU_DEP_2) | instskip(NEXT) | instid1(VALU_DEP_1)
	v_and_b32_e32 v2, 0x7f, v0
	v_cmpx_ne_u32_e32 0x7f, v2
	s_cbranch_execz .LBB356_1185
; %bb.1182:                             ;   in Loop: Header=BB356_16 Depth=1
	v_and_b32_e32 v7, 7, v0
	v_mov_b32_e32 v36, v8
	v_lshrrev_b32_e32 v1, 3, v2
	s_mov_b32 s24, exec_lo
	s_delay_alu instid0(VALU_DEP_3)
	v_mov_b32_e32 v35, v7
	v_cmpx_gt_u32_e32 8, v2
; %bb.1183:                             ;   in Loop: Header=BB356_16 Depth=1
	v_clz_i32_u32_e32 v1, v7
	s_delay_alu instid0(VALU_DEP_1) | instskip(NEXT) | instid1(VALU_DEP_1)
	v_min_u32_e32 v1, 32, v1
	v_subrev_nc_u32_e32 v2, 28, v1
	v_sub_nc_u32_e32 v1, 29, v1
	s_delay_alu instid0(VALU_DEP_2) | instskip(NEXT) | instid1(VALU_DEP_1)
	v_lshlrev_b64 v[2:3], v2, v[7:8]
	v_and_b32_e32 v35, 7, v2
; %bb.1184:                             ;   in Loop: Header=BB356_16 Depth=1
	s_or_b32 exec_lo, exec_lo, s24
	v_lshlrev_b32_e32 v0, 8, v0
	v_lshl_add_u32 v1, v1, 10, 0x2000
	s_delay_alu instid0(VALU_DEP_1) | instskip(NEXT) | instid1(VALU_DEP_1)
	v_and_or_b32 v0, 0x8000, v0, v1
	v_lshl_or_b32 v0, v35, 7, v0
	s_delay_alu instid0(VALU_DEP_1)
	v_cvt_f32_f16_e32 v86, v0
.LBB356_1185:                           ;   in Loop: Header=BB356_16 Depth=1
	s_or_b32 exec_lo, exec_lo, s23
.LBB356_1186:                           ;   in Loop: Header=BB356_16 Depth=1
	s_delay_alu instid0(SALU_CYCLE_1)
	s_or_b32 exec_lo, exec_lo, s22
.LBB356_1187:                           ;   in Loop: Header=BB356_16 Depth=1
	s_delay_alu instid0(SALU_CYCLE_1) | instskip(SKIP_3) | instid1(VALU_DEP_2)
	s_or_b32 exec_lo, exec_lo, s21
	v_lshrrev_b32_e32 v0, 16, v33
	v_mov_b32_e32 v10, 0
	s_mov_b32 s21, exec_lo
	v_dual_mov_b32 v12, 0 :: v_dual_and_b32 v1, 0xff, v0
	s_delay_alu instid0(VALU_DEP_1)
	v_cmpx_ne_u16_e32 0, v1
	s_cbranch_execz .LBB356_1195
; %bb.1188:                             ;   in Loop: Header=BB356_16 Depth=1
	v_bfrev_b32_e32 v10, 1
	s_mov_b32 s22, exec_lo
	v_cmpx_ne_u16_e32 0x80, v1
	s_cbranch_execz .LBB356_1194
; %bb.1189:                             ;   in Loop: Header=BB356_16 Depth=1
	v_bfe_u32 v2, v33, 16, 7
	v_mov_b32_e32 v10, 0x7fc02000
	s_mov_b32 s23, exec_lo
	s_delay_alu instid0(VALU_DEP_2)
	v_cmpx_ne_u32_e32 0x7f, v2
	s_cbranch_execz .LBB356_1193
; %bb.1190:                             ;   in Loop: Header=BB356_16 Depth=1
	v_and_b32_e32 v7, 7, v0
	v_mov_b32_e32 v36, v8
	v_lshrrev_b32_e32 v1, 3, v2
	s_mov_b32 s24, exec_lo
	s_delay_alu instid0(VALU_DEP_3)
	v_mov_b32_e32 v35, v7
	v_cmpx_gt_u32_e32 8, v2
; %bb.1191:                             ;   in Loop: Header=BB356_16 Depth=1
	v_clz_i32_u32_e32 v1, v7
	s_delay_alu instid0(VALU_DEP_1) | instskip(NEXT) | instid1(VALU_DEP_1)
	v_min_u32_e32 v1, 32, v1
	v_subrev_nc_u32_e32 v2, 28, v1
	v_sub_nc_u32_e32 v1, 29, v1
	s_delay_alu instid0(VALU_DEP_2) | instskip(NEXT) | instid1(VALU_DEP_1)
	v_lshlrev_b64 v[2:3], v2, v[7:8]
	v_and_b32_e32 v35, 7, v2
; %bb.1192:                             ;   in Loop: Header=BB356_16 Depth=1
	s_or_b32 exec_lo, exec_lo, s24
	v_lshlrev_b32_e32 v0, 8, v0
	v_lshl_add_u32 v1, v1, 10, 0x2000
	s_delay_alu instid0(VALU_DEP_1) | instskip(NEXT) | instid1(VALU_DEP_1)
	v_and_or_b32 v0, 0x8000, v0, v1
	v_lshl_or_b32 v0, v35, 7, v0
	s_delay_alu instid0(VALU_DEP_1)
	v_cvt_f32_f16_e32 v10, v0
.LBB356_1193:                           ;   in Loop: Header=BB356_16 Depth=1
	s_or_b32 exec_lo, exec_lo, s23
.LBB356_1194:                           ;   in Loop: Header=BB356_16 Depth=1
	s_delay_alu instid0(SALU_CYCLE_1)
	s_or_b32 exec_lo, exec_lo, s22
.LBB356_1195:                           ;   in Loop: Header=BB356_16 Depth=1
	s_delay_alu instid0(SALU_CYCLE_1) | instskip(NEXT) | instid1(SALU_CYCLE_1)
	s_or_b32 exec_lo, exec_lo, s21
	s_mov_b32 s21, exec_lo
	v_cmpx_lt_u32_e32 0xffffff, v33
	s_cbranch_execz .LBB356_1203
; %bb.1196:                             ;   in Loop: Header=BB356_16 Depth=1
	v_lshrrev_b32_e32 v0, 24, v33
	v_bfrev_b32_e32 v12, 1
	s_mov_b32 s22, exec_lo
	s_delay_alu instid0(VALU_DEP_2)
	v_cmpx_ne_u32_e32 0x80, v0
	s_cbranch_execz .LBB356_1202
; %bb.1197:                             ;   in Loop: Header=BB356_16 Depth=1
	v_and_b32_e32 v2, 0x7f, v0
	v_mov_b32_e32 v12, 0x7fc02000
	s_mov_b32 s23, exec_lo
	s_delay_alu instid0(VALU_DEP_2)
	v_cmpx_ne_u32_e32 0x7f, v2
	s_cbranch_execz .LBB356_1201
; %bb.1198:                             ;   in Loop: Header=BB356_16 Depth=1
	v_and_b32_e32 v7, 7, v0
	v_mov_b32_e32 v36, v8
	v_lshrrev_b32_e32 v1, 3, v2
	s_mov_b32 s24, exec_lo
	s_delay_alu instid0(VALU_DEP_3)
	v_mov_b32_e32 v35, v7
	v_cmpx_gt_u32_e32 8, v2
; %bb.1199:                             ;   in Loop: Header=BB356_16 Depth=1
	v_clz_i32_u32_e32 v1, v7
	s_delay_alu instid0(VALU_DEP_1) | instskip(NEXT) | instid1(VALU_DEP_1)
	v_min_u32_e32 v1, 32, v1
	v_subrev_nc_u32_e32 v2, 28, v1
	v_sub_nc_u32_e32 v1, 29, v1
	s_delay_alu instid0(VALU_DEP_2) | instskip(NEXT) | instid1(VALU_DEP_1)
	v_lshlrev_b64 v[2:3], v2, v[7:8]
	v_and_b32_e32 v35, 7, v2
; %bb.1200:                             ;   in Loop: Header=BB356_16 Depth=1
	s_or_b32 exec_lo, exec_lo, s24
	v_lshlrev_b32_e32 v0, 8, v0
	v_lshl_add_u32 v1, v1, 10, 0x2000
	s_delay_alu instid0(VALU_DEP_1) | instskip(NEXT) | instid1(VALU_DEP_1)
	v_and_or_b32 v0, 0x8000, v0, v1
	v_lshl_or_b32 v0, v35, 7, v0
	s_delay_alu instid0(VALU_DEP_1)
	v_cvt_f32_f16_e32 v12, v0
.LBB356_1201:                           ;   in Loop: Header=BB356_16 Depth=1
	s_or_b32 exec_lo, exec_lo, s23
.LBB356_1202:                           ;   in Loop: Header=BB356_16 Depth=1
	s_delay_alu instid0(SALU_CYCLE_1)
	s_or_b32 exec_lo, exec_lo, s22
.LBB356_1203:                           ;   in Loop: Header=BB356_16 Depth=1
	s_delay_alu instid0(SALU_CYCLE_1) | instskip(SKIP_3) | instid1(VALU_DEP_2)
	s_or_b32 exec_lo, exec_lo, s21
	v_dual_mov_b32 v0, 0 :: v_dual_and_b32 v1, 0xff, v34
	v_dual_mov_b32 v7, v34 :: v_dual_mov_b32 v96, 0
	s_mov_b32 s21, exec_lo
	v_cmpx_ne_u16_e32 0, v1
	s_cbranch_execz .LBB356_1211
; %bb.1204:                             ;   in Loop: Header=BB356_16 Depth=1
	v_bfrev_b32_e32 v96, 1
	s_mov_b32 s22, exec_lo
	v_cmpx_ne_u16_e32 0x80, v1
	s_cbranch_execz .LBB356_1210
; %bb.1205:                             ;   in Loop: Header=BB356_16 Depth=1
	v_and_b32_e32 v2, 0x7f, v34
	v_mov_b32_e32 v96, 0x7fc02000
	s_mov_b32 s23, exec_lo
	s_delay_alu instid0(VALU_DEP_2)
	v_cmpx_ne_u32_e32 0x7f, v2
	s_cbranch_execz .LBB356_1209
; %bb.1206:                             ;   in Loop: Header=BB356_16 Depth=1
	v_dual_mov_b32 v36, v8 :: v_dual_mov_b32 v35, v7
	v_lshrrev_b32_e32 v1, 3, v2
	s_mov_b32 s24, exec_lo
	v_cmpx_gt_u32_e32 8, v2
; %bb.1207:                             ;   in Loop: Header=BB356_16 Depth=1
	v_and_b32_e32 v1, 7, v34
	s_delay_alu instid0(VALU_DEP_1) | instskip(NEXT) | instid1(VALU_DEP_1)
	v_clz_i32_u32_e32 v1, v1
	v_min_u32_e32 v1, 32, v1
	s_delay_alu instid0(VALU_DEP_1) | instskip(SKIP_1) | instid1(VALU_DEP_2)
	v_subrev_nc_u32_e32 v2, 28, v1
	v_sub_nc_u32_e32 v1, 29, v1
	v_lshlrev_b64 v[35:36], v2, v[7:8]
; %bb.1208:                             ;   in Loop: Header=BB356_16 Depth=1
	s_or_b32 exec_lo, exec_lo, s24
	v_lshlrev_b32_e32 v2, 8, v34
	s_delay_alu instid0(VALU_DEP_3) | instskip(NEXT) | instid1(VALU_DEP_3)
	v_lshl_add_u32 v1, v1, 10, 0x2000
	v_lshlrev_b32_e32 v3, 7, v35
	s_delay_alu instid0(VALU_DEP_2) | instskip(NEXT) | instid1(VALU_DEP_1)
	v_and_or_b32 v1, 0x8000, v2, v1
	v_and_or_b32 v1, 0x380, v3, v1
	s_delay_alu instid0(VALU_DEP_1)
	v_cvt_f32_f16_e32 v96, v1
.LBB356_1209:                           ;   in Loop: Header=BB356_16 Depth=1
	s_or_b32 exec_lo, exec_lo, s23
.LBB356_1210:                           ;   in Loop: Header=BB356_16 Depth=1
	s_delay_alu instid0(SALU_CYCLE_1)
	s_or_b32 exec_lo, exec_lo, s22
.LBB356_1211:                           ;   in Loop: Header=BB356_16 Depth=1
	s_delay_alu instid0(SALU_CYCLE_1) | instskip(SKIP_2) | instid1(VALU_DEP_1)
	s_or_b32 exec_lo, exec_lo, s21
	v_lshrrev_b16 v1, 8, v7
	s_mov_b32 s21, exec_lo
	v_cmpx_ne_u16_e32 0, v1
	s_cbranch_execz .LBB356_1219
; %bb.1212:                             ;   in Loop: Header=BB356_16 Depth=1
	v_bfrev_b32_e32 v0, 1
	s_mov_b32 s22, exec_lo
	v_cmpx_ne_u16_e32 0x80, v1
	s_cbranch_execz .LBB356_1218
; %bb.1213:                             ;   in Loop: Header=BB356_16 Depth=1
	v_and_b32_e32 v1, 0xffff, v1
	v_mov_b32_e32 v0, 0x7fc02000
	s_mov_b32 s23, exec_lo
	s_delay_alu instid0(VALU_DEP_2) | instskip(NEXT) | instid1(VALU_DEP_1)
	v_and_b32_e32 v2, 0x7f, v1
	v_cmpx_ne_u32_e32 0x7f, v2
	s_cbranch_execz .LBB356_1217
; %bb.1214:                             ;   in Loop: Header=BB356_16 Depth=1
	v_and_b32_e32 v7, 7, v1
	v_mov_b32_e32 v36, v8
	v_lshrrev_b32_e32 v0, 3, v2
	s_mov_b32 s24, exec_lo
	s_delay_alu instid0(VALU_DEP_3)
	v_mov_b32_e32 v35, v7
	v_cmpx_gt_u32_e32 8, v2
; %bb.1215:                             ;   in Loop: Header=BB356_16 Depth=1
	v_clz_i32_u32_e32 v0, v7
	s_delay_alu instid0(VALU_DEP_1) | instskip(NEXT) | instid1(VALU_DEP_1)
	v_min_u32_e32 v0, 32, v0
	v_subrev_nc_u32_e32 v2, 28, v0
	v_sub_nc_u32_e32 v0, 29, v0
	s_delay_alu instid0(VALU_DEP_2) | instskip(NEXT) | instid1(VALU_DEP_1)
	v_lshlrev_b64 v[2:3], v2, v[7:8]
	v_and_b32_e32 v35, 7, v2
; %bb.1216:                             ;   in Loop: Header=BB356_16 Depth=1
	s_or_b32 exec_lo, exec_lo, s24
	v_lshlrev_b32_e32 v1, 8, v1
	v_lshl_add_u32 v0, v0, 10, 0x2000
	s_delay_alu instid0(VALU_DEP_1) | instskip(NEXT) | instid1(VALU_DEP_1)
	v_and_or_b32 v0, 0x8000, v1, v0
	v_lshl_or_b32 v0, v35, 7, v0
	s_delay_alu instid0(VALU_DEP_1)
	v_cvt_f32_f16_e32 v0, v0
.LBB356_1217:                           ;   in Loop: Header=BB356_16 Depth=1
	s_or_b32 exec_lo, exec_lo, s23
.LBB356_1218:                           ;   in Loop: Header=BB356_16 Depth=1
	s_delay_alu instid0(SALU_CYCLE_1)
	s_or_b32 exec_lo, exec_lo, s22
.LBB356_1219:                           ;   in Loop: Header=BB356_16 Depth=1
	s_delay_alu instid0(SALU_CYCLE_1) | instskip(SKIP_3) | instid1(VALU_DEP_2)
	s_or_b32 exec_lo, exec_lo, s21
	v_lshrrev_b32_e32 v1, 16, v34
	v_mov_b32_e32 v50, 0
	s_mov_b32 s21, exec_lo
	v_dual_mov_b32 v51, 0 :: v_dual_and_b32 v2, 0xff, v1
	s_delay_alu instid0(VALU_DEP_1)
	v_cmpx_ne_u16_e32 0, v2
	s_cbranch_execz .LBB356_1227
; %bb.1220:                             ;   in Loop: Header=BB356_16 Depth=1
	v_bfrev_b32_e32 v50, 1
	s_mov_b32 s22, exec_lo
	v_cmpx_ne_u16_e32 0x80, v2
	s_cbranch_execz .LBB356_1226
; %bb.1221:                             ;   in Loop: Header=BB356_16 Depth=1
	v_bfe_u32 v3, v34, 16, 7
	v_mov_b32_e32 v50, 0x7fc02000
	s_mov_b32 s23, exec_lo
	s_delay_alu instid0(VALU_DEP_2)
	v_cmpx_ne_u32_e32 0x7f, v3
	s_cbranch_execz .LBB356_1225
; %bb.1222:                             ;   in Loop: Header=BB356_16 Depth=1
	v_and_b32_e32 v7, 7, v1
	v_mov_b32_e32 v36, v8
	v_lshrrev_b32_e32 v2, 3, v3
	s_mov_b32 s24, exec_lo
	s_delay_alu instid0(VALU_DEP_3)
	v_mov_b32_e32 v35, v7
	v_cmpx_gt_u32_e32 8, v3
; %bb.1223:                             ;   in Loop: Header=BB356_16 Depth=1
	v_clz_i32_u32_e32 v2, v7
	s_delay_alu instid0(VALU_DEP_1) | instskip(NEXT) | instid1(VALU_DEP_1)
	v_min_u32_e32 v2, 32, v2
	v_subrev_nc_u32_e32 v3, 28, v2
	v_sub_nc_u32_e32 v2, 29, v2
	s_delay_alu instid0(VALU_DEP_2) | instskip(NEXT) | instid1(VALU_DEP_1)
	v_lshlrev_b64 v[5:6], v3, v[7:8]
	v_and_b32_e32 v35, 7, v5
; %bb.1224:                             ;   in Loop: Header=BB356_16 Depth=1
	s_or_b32 exec_lo, exec_lo, s24
	v_lshlrev_b32_e32 v1, 8, v1
	v_lshl_add_u32 v2, v2, 10, 0x2000
	s_delay_alu instid0(VALU_DEP_1) | instskip(NEXT) | instid1(VALU_DEP_1)
	v_and_or_b32 v1, 0x8000, v1, v2
	v_lshl_or_b32 v1, v35, 7, v1
	s_delay_alu instid0(VALU_DEP_1)
	v_cvt_f32_f16_e32 v50, v1
.LBB356_1225:                           ;   in Loop: Header=BB356_16 Depth=1
	s_or_b32 exec_lo, exec_lo, s23
.LBB356_1226:                           ;   in Loop: Header=BB356_16 Depth=1
	s_delay_alu instid0(SALU_CYCLE_1)
	s_or_b32 exec_lo, exec_lo, s22
.LBB356_1227:                           ;   in Loop: Header=BB356_16 Depth=1
	s_delay_alu instid0(SALU_CYCLE_1) | instskip(NEXT) | instid1(SALU_CYCLE_1)
	s_or_b32 exec_lo, exec_lo, s21
	s_mov_b32 s21, exec_lo
	v_cmpx_lt_u64_e64 s[8:9], v[33:34]
	s_cbranch_execz .LBB356_1235
; %bb.1228:                             ;   in Loop: Header=BB356_16 Depth=1
	v_lshrrev_b32_e32 v1, 24, v34
	v_bfrev_b32_e32 v51, 1
	s_mov_b32 s22, exec_lo
	s_delay_alu instid0(VALU_DEP_2)
	v_cmpx_ne_u32_e32 0x80, v1
	s_cbranch_execz .LBB356_1234
; %bb.1229:                             ;   in Loop: Header=BB356_16 Depth=1
	v_and_b32_e32 v3, 0x7f, v1
	v_mov_b32_e32 v51, 0x7fc02000
	s_mov_b32 s23, exec_lo
	s_delay_alu instid0(VALU_DEP_2)
	v_cmpx_ne_u32_e32 0x7f, v3
	s_cbranch_execz .LBB356_1233
; %bb.1230:                             ;   in Loop: Header=BB356_16 Depth=1
	v_and_b32_e32 v7, 7, v1
	v_mov_b32_e32 v34, v8
	v_lshrrev_b32_e32 v2, 3, v3
	s_mov_b32 s24, exec_lo
	s_delay_alu instid0(VALU_DEP_3)
	v_mov_b32_e32 v33, v7
	v_cmpx_gt_u32_e32 8, v3
; %bb.1231:                             ;   in Loop: Header=BB356_16 Depth=1
	v_clz_i32_u32_e32 v2, v7
	s_delay_alu instid0(VALU_DEP_1) | instskip(NEXT) | instid1(VALU_DEP_1)
	v_min_u32_e32 v2, 32, v2
	v_subrev_nc_u32_e32 v3, 28, v2
	v_sub_nc_u32_e32 v2, 29, v2
	s_delay_alu instid0(VALU_DEP_2) | instskip(NEXT) | instid1(VALU_DEP_1)
	v_lshlrev_b64 v[5:6], v3, v[7:8]
	v_and_b32_e32 v33, 7, v5
; %bb.1232:                             ;   in Loop: Header=BB356_16 Depth=1
	s_or_b32 exec_lo, exec_lo, s24
	v_lshlrev_b32_e32 v1, 8, v1
	v_lshl_add_u32 v2, v2, 10, 0x2000
	s_delay_alu instid0(VALU_DEP_1) | instskip(NEXT) | instid1(VALU_DEP_1)
	v_and_or_b32 v1, 0x8000, v1, v2
	v_lshl_or_b32 v1, v33, 7, v1
	s_delay_alu instid0(VALU_DEP_1)
	v_cvt_f32_f16_e32 v51, v1
.LBB356_1233:                           ;   in Loop: Header=BB356_16 Depth=1
	s_or_b32 exec_lo, exec_lo, s23
.LBB356_1234:                           ;   in Loop: Header=BB356_16 Depth=1
	s_delay_alu instid0(SALU_CYCLE_1)
	s_or_b32 exec_lo, exec_lo, s22
.LBB356_1235:                           ;   in Loop: Header=BB356_16 Depth=1
	s_delay_alu instid0(SALU_CYCLE_1)
	s_or_b32 exec_lo, exec_lo, s21
	flat_load_b64 v[33:34], v[31:32] offset:520
	v_mov_b32_e32 v148, 0
	s_mov_b32 s21, exec_lo
	s_waitcnt vmcnt(0) lgkmcnt(0)
	v_dual_mov_b32 v78, 0 :: v_dual_and_b32 v1, 0xff, v33
	s_delay_alu instid0(VALU_DEP_1)
	v_cmpx_ne_u16_e32 0, v1
	s_cbranch_execz .LBB356_1243
; %bb.1236:                             ;   in Loop: Header=BB356_16 Depth=1
	v_bfrev_b32_e32 v148, 1
	s_mov_b32 s22, exec_lo
	v_cmpx_ne_u16_e32 0x80, v1
	s_cbranch_execz .LBB356_1242
; %bb.1237:                             ;   in Loop: Header=BB356_16 Depth=1
	v_and_b32_e32 v2, 0x7f, v33
	v_mov_b32_e32 v148, 0x7fc02000
	s_mov_b32 s23, exec_lo
	s_delay_alu instid0(VALU_DEP_2)
	v_cmpx_ne_u32_e32 0x7f, v2
	s_cbranch_execz .LBB356_1241
; %bb.1238:                             ;   in Loop: Header=BB356_16 Depth=1
	v_lshrrev_b32_e32 v1, 3, v2
	v_dual_mov_b32 v36, v34 :: v_dual_mov_b32 v35, v33
	s_mov_b32 s24, exec_lo
	v_cmpx_gt_u32_e32 8, v2
; %bb.1239:                             ;   in Loop: Header=BB356_16 Depth=1
	v_and_b32_e32 v1, 7, v33
	s_delay_alu instid0(VALU_DEP_1) | instskip(NEXT) | instid1(VALU_DEP_1)
	v_clz_i32_u32_e32 v1, v1
	v_min_u32_e32 v1, 32, v1
	s_delay_alu instid0(VALU_DEP_1) | instskip(SKIP_1) | instid1(VALU_DEP_2)
	v_subrev_nc_u32_e32 v2, 28, v1
	v_sub_nc_u32_e32 v1, 29, v1
	v_lshlrev_b64 v[35:36], v2, v[33:34]
; %bb.1240:                             ;   in Loop: Header=BB356_16 Depth=1
	s_or_b32 exec_lo, exec_lo, s24
	v_lshlrev_b32_e32 v2, 8, v33
	s_delay_alu instid0(VALU_DEP_3) | instskip(NEXT) | instid1(VALU_DEP_3)
	v_lshl_add_u32 v1, v1, 10, 0x2000
	v_lshlrev_b32_e32 v3, 7, v35
	s_delay_alu instid0(VALU_DEP_2) | instskip(NEXT) | instid1(VALU_DEP_1)
	v_and_or_b32 v1, 0x8000, v2, v1
	v_and_or_b32 v1, 0x380, v3, v1
	s_delay_alu instid0(VALU_DEP_1)
	v_cvt_f32_f16_e64 v148, v1
.LBB356_1241:                           ;   in Loop: Header=BB356_16 Depth=1
	s_or_b32 exec_lo, exec_lo, s23
.LBB356_1242:                           ;   in Loop: Header=BB356_16 Depth=1
	s_delay_alu instid0(SALU_CYCLE_1)
	s_or_b32 exec_lo, exec_lo, s22
.LBB356_1243:                           ;   in Loop: Header=BB356_16 Depth=1
	s_delay_alu instid0(SALU_CYCLE_1) | instskip(SKIP_2) | instid1(VALU_DEP_1)
	s_or_b32 exec_lo, exec_lo, s21
	v_lshrrev_b16 v1, 8, v33
	s_mov_b32 s21, exec_lo
	v_cmpx_ne_u16_e32 0, v1
	s_cbranch_execz .LBB356_1251
; %bb.1244:                             ;   in Loop: Header=BB356_16 Depth=1
	v_bfrev_b32_e32 v78, 1
	s_mov_b32 s22, exec_lo
	v_cmpx_ne_u16_e32 0x80, v1
	s_cbranch_execz .LBB356_1250
; %bb.1245:                             ;   in Loop: Header=BB356_16 Depth=1
	v_and_b32_e32 v1, 0xffff, v1
	v_mov_b32_e32 v78, 0x7fc02000
	s_mov_b32 s23, exec_lo
	s_delay_alu instid0(VALU_DEP_2) | instskip(NEXT) | instid1(VALU_DEP_1)
	v_and_b32_e32 v3, 0x7f, v1
	v_cmpx_ne_u32_e32 0x7f, v3
	s_cbranch_execz .LBB356_1249
; %bb.1246:                             ;   in Loop: Header=BB356_16 Depth=1
	v_and_b32_e32 v7, 7, v1
	v_mov_b32_e32 v36, v8
	v_lshrrev_b32_e32 v2, 3, v3
	s_mov_b32 s24, exec_lo
	s_delay_alu instid0(VALU_DEP_3)
	v_mov_b32_e32 v35, v7
	v_cmpx_gt_u32_e32 8, v3
; %bb.1247:                             ;   in Loop: Header=BB356_16 Depth=1
	v_clz_i32_u32_e32 v2, v7
	s_delay_alu instid0(VALU_DEP_1) | instskip(NEXT) | instid1(VALU_DEP_1)
	v_min_u32_e32 v2, 32, v2
	v_subrev_nc_u32_e32 v3, 28, v2
	v_sub_nc_u32_e32 v2, 29, v2
	s_delay_alu instid0(VALU_DEP_2) | instskip(NEXT) | instid1(VALU_DEP_1)
	v_lshlrev_b64 v[5:6], v3, v[7:8]
	v_and_b32_e32 v35, 7, v5
; %bb.1248:                             ;   in Loop: Header=BB356_16 Depth=1
	s_or_b32 exec_lo, exec_lo, s24
	v_lshlrev_b32_e32 v1, 8, v1
	v_lshl_add_u32 v2, v2, 10, 0x2000
	s_delay_alu instid0(VALU_DEP_1) | instskip(NEXT) | instid1(VALU_DEP_1)
	v_and_or_b32 v1, 0x8000, v1, v2
	v_lshl_or_b32 v1, v35, 7, v1
	s_delay_alu instid0(VALU_DEP_1)
	v_cvt_f32_f16_e32 v78, v1
.LBB356_1249:                           ;   in Loop: Header=BB356_16 Depth=1
	s_or_b32 exec_lo, exec_lo, s23
.LBB356_1250:                           ;   in Loop: Header=BB356_16 Depth=1
	s_delay_alu instid0(SALU_CYCLE_1)
	s_or_b32 exec_lo, exec_lo, s22
.LBB356_1251:                           ;   in Loop: Header=BB356_16 Depth=1
	s_delay_alu instid0(SALU_CYCLE_1) | instskip(SKIP_3) | instid1(VALU_DEP_2)
	s_or_b32 exec_lo, exec_lo, s21
	v_lshrrev_b32_e32 v1, 16, v33
	v_mov_b32_e32 v30, 0
	s_mov_b32 s21, exec_lo
	v_dual_mov_b32 v53, 0 :: v_dual_and_b32 v2, 0xff, v1
	s_delay_alu instid0(VALU_DEP_1)
	v_cmpx_ne_u16_e32 0, v2
	s_cbranch_execz .LBB356_1259
; %bb.1252:                             ;   in Loop: Header=BB356_16 Depth=1
	v_bfrev_b32_e32 v30, 1
	s_mov_b32 s22, exec_lo
	v_cmpx_ne_u16_e32 0x80, v2
	s_cbranch_execz .LBB356_1258
; %bb.1253:                             ;   in Loop: Header=BB356_16 Depth=1
	v_bfe_u32 v3, v33, 16, 7
	v_mov_b32_e32 v30, 0x7fc02000
	s_mov_b32 s23, exec_lo
	s_delay_alu instid0(VALU_DEP_2)
	v_cmpx_ne_u32_e32 0x7f, v3
	s_cbranch_execz .LBB356_1257
; %bb.1254:                             ;   in Loop: Header=BB356_16 Depth=1
	v_and_b32_e32 v7, 7, v1
	v_mov_b32_e32 v36, v8
	v_lshrrev_b32_e32 v2, 3, v3
	s_mov_b32 s24, exec_lo
	s_delay_alu instid0(VALU_DEP_3)
	v_mov_b32_e32 v35, v7
	v_cmpx_gt_u32_e32 8, v3
; %bb.1255:                             ;   in Loop: Header=BB356_16 Depth=1
	v_clz_i32_u32_e32 v2, v7
	s_delay_alu instid0(VALU_DEP_1) | instskip(NEXT) | instid1(VALU_DEP_1)
	v_min_u32_e32 v2, 32, v2
	v_subrev_nc_u32_e32 v3, 28, v2
	v_sub_nc_u32_e32 v2, 29, v2
	s_delay_alu instid0(VALU_DEP_2) | instskip(NEXT) | instid1(VALU_DEP_1)
	v_lshlrev_b64 v[5:6], v3, v[7:8]
	v_and_b32_e32 v35, 7, v5
; %bb.1256:                             ;   in Loop: Header=BB356_16 Depth=1
	s_or_b32 exec_lo, exec_lo, s24
	v_lshlrev_b32_e32 v1, 8, v1
	v_lshl_add_u32 v2, v2, 10, 0x2000
	s_delay_alu instid0(VALU_DEP_1) | instskip(NEXT) | instid1(VALU_DEP_1)
	v_and_or_b32 v1, 0x8000, v1, v2
	v_lshl_or_b32 v1, v35, 7, v1
	s_delay_alu instid0(VALU_DEP_1)
	v_cvt_f32_f16_e32 v30, v1
.LBB356_1257:                           ;   in Loop: Header=BB356_16 Depth=1
	s_or_b32 exec_lo, exec_lo, s23
.LBB356_1258:                           ;   in Loop: Header=BB356_16 Depth=1
	s_delay_alu instid0(SALU_CYCLE_1)
	s_or_b32 exec_lo, exec_lo, s22
.LBB356_1259:                           ;   in Loop: Header=BB356_16 Depth=1
	s_delay_alu instid0(SALU_CYCLE_1) | instskip(NEXT) | instid1(SALU_CYCLE_1)
	s_or_b32 exec_lo, exec_lo, s21
	s_mov_b32 s21, exec_lo
	v_cmpx_lt_u32_e32 0xffffff, v33
	s_cbranch_execz .LBB356_1267
; %bb.1260:                             ;   in Loop: Header=BB356_16 Depth=1
	v_lshrrev_b32_e32 v1, 24, v33
	v_bfrev_b32_e32 v53, 1
	s_mov_b32 s22, exec_lo
	s_delay_alu instid0(VALU_DEP_2)
	v_cmpx_ne_u32_e32 0x80, v1
	s_cbranch_execz .LBB356_1266
; %bb.1261:                             ;   in Loop: Header=BB356_16 Depth=1
	v_and_b32_e32 v3, 0x7f, v1
	v_mov_b32_e32 v53, 0x7fc02000
	s_mov_b32 s23, exec_lo
	s_delay_alu instid0(VALU_DEP_2)
	v_cmpx_ne_u32_e32 0x7f, v3
	s_cbranch_execz .LBB356_1265
; %bb.1262:                             ;   in Loop: Header=BB356_16 Depth=1
	v_and_b32_e32 v7, 7, v1
	v_mov_b32_e32 v36, v8
	v_lshrrev_b32_e32 v2, 3, v3
	s_mov_b32 s24, exec_lo
	s_delay_alu instid0(VALU_DEP_3)
	v_mov_b32_e32 v35, v7
	v_cmpx_gt_u32_e32 8, v3
; %bb.1263:                             ;   in Loop: Header=BB356_16 Depth=1
	v_clz_i32_u32_e32 v2, v7
	s_delay_alu instid0(VALU_DEP_1) | instskip(NEXT) | instid1(VALU_DEP_1)
	v_min_u32_e32 v2, 32, v2
	v_subrev_nc_u32_e32 v3, 28, v2
	v_sub_nc_u32_e32 v2, 29, v2
	s_delay_alu instid0(VALU_DEP_2) | instskip(NEXT) | instid1(VALU_DEP_1)
	v_lshlrev_b64 v[5:6], v3, v[7:8]
	v_and_b32_e32 v35, 7, v5
; %bb.1264:                             ;   in Loop: Header=BB356_16 Depth=1
	s_or_b32 exec_lo, exec_lo, s24
	v_lshlrev_b32_e32 v1, 8, v1
	v_lshl_add_u32 v2, v2, 10, 0x2000
	s_delay_alu instid0(VALU_DEP_1) | instskip(NEXT) | instid1(VALU_DEP_1)
	v_and_or_b32 v1, 0x8000, v1, v2
	v_lshl_or_b32 v1, v35, 7, v1
	s_delay_alu instid0(VALU_DEP_1)
	v_cvt_f32_f16_e32 v53, v1
.LBB356_1265:                           ;   in Loop: Header=BB356_16 Depth=1
	s_or_b32 exec_lo, exec_lo, s23
.LBB356_1266:                           ;   in Loop: Header=BB356_16 Depth=1
	s_delay_alu instid0(SALU_CYCLE_1)
	s_or_b32 exec_lo, exec_lo, s22
.LBB356_1267:                           ;   in Loop: Header=BB356_16 Depth=1
	s_delay_alu instid0(SALU_CYCLE_1) | instskip(SKIP_4) | instid1(VALU_DEP_3)
	s_or_b32 exec_lo, exec_lo, s21
	v_dual_mov_b32 v70, 0 :: v_dual_and_b32 v1, 0xff, v34
	v_mov_b32_e32 v7, v34
	v_mov_b32_e32 v13, 0
	s_mov_b32 s21, exec_lo
	v_cmpx_ne_u16_e32 0, v1
	s_cbranch_execz .LBB356_1275
; %bb.1268:                             ;   in Loop: Header=BB356_16 Depth=1
	v_bfrev_b32_e32 v70, 1
	s_mov_b32 s22, exec_lo
	v_cmpx_ne_u16_e32 0x80, v1
	s_cbranch_execz .LBB356_1274
; %bb.1269:                             ;   in Loop: Header=BB356_16 Depth=1
	v_and_b32_e32 v2, 0x7f, v34
	v_mov_b32_e32 v70, 0x7fc02000
	s_mov_b32 s23, exec_lo
	s_delay_alu instid0(VALU_DEP_2)
	v_cmpx_ne_u32_e32 0x7f, v2
	s_cbranch_execz .LBB356_1273
; %bb.1270:                             ;   in Loop: Header=BB356_16 Depth=1
	v_dual_mov_b32 v36, v8 :: v_dual_mov_b32 v35, v7
	v_lshrrev_b32_e32 v1, 3, v2
	s_mov_b32 s24, exec_lo
	v_cmpx_gt_u32_e32 8, v2
; %bb.1271:                             ;   in Loop: Header=BB356_16 Depth=1
	v_and_b32_e32 v1, 7, v34
	s_delay_alu instid0(VALU_DEP_1) | instskip(NEXT) | instid1(VALU_DEP_1)
	v_clz_i32_u32_e32 v1, v1
	v_min_u32_e32 v1, 32, v1
	s_delay_alu instid0(VALU_DEP_1) | instskip(SKIP_1) | instid1(VALU_DEP_2)
	v_subrev_nc_u32_e32 v2, 28, v1
	v_sub_nc_u32_e32 v1, 29, v1
	v_lshlrev_b64 v[35:36], v2, v[7:8]
; %bb.1272:                             ;   in Loop: Header=BB356_16 Depth=1
	s_or_b32 exec_lo, exec_lo, s24
	v_lshlrev_b32_e32 v2, 8, v34
	s_delay_alu instid0(VALU_DEP_3) | instskip(NEXT) | instid1(VALU_DEP_3)
	v_lshl_add_u32 v1, v1, 10, 0x2000
	v_lshlrev_b32_e32 v3, 7, v35
	s_delay_alu instid0(VALU_DEP_2) | instskip(NEXT) | instid1(VALU_DEP_1)
	v_and_or_b32 v1, 0x8000, v2, v1
	v_and_or_b32 v1, 0x380, v3, v1
	s_delay_alu instid0(VALU_DEP_1)
	v_cvt_f32_f16_e32 v70, v1
.LBB356_1273:                           ;   in Loop: Header=BB356_16 Depth=1
	s_or_b32 exec_lo, exec_lo, s23
.LBB356_1274:                           ;   in Loop: Header=BB356_16 Depth=1
	s_delay_alu instid0(SALU_CYCLE_1)
	s_or_b32 exec_lo, exec_lo, s22
.LBB356_1275:                           ;   in Loop: Header=BB356_16 Depth=1
	s_delay_alu instid0(SALU_CYCLE_1) | instskip(SKIP_2) | instid1(VALU_DEP_1)
	s_or_b32 exec_lo, exec_lo, s21
	v_lshrrev_b16 v1, 8, v7
	s_mov_b32 s21, exec_lo
	v_cmpx_ne_u16_e32 0, v1
	s_cbranch_execz .LBB356_1283
; %bb.1276:                             ;   in Loop: Header=BB356_16 Depth=1
	v_bfrev_b32_e32 v13, 1
	s_mov_b32 s22, exec_lo
	v_cmpx_ne_u16_e32 0x80, v1
	s_cbranch_execz .LBB356_1282
; %bb.1277:                             ;   in Loop: Header=BB356_16 Depth=1
	v_and_b32_e32 v1, 0xffff, v1
	v_mov_b32_e32 v13, 0x7fc02000
	s_mov_b32 s23, exec_lo
	s_delay_alu instid0(VALU_DEP_2) | instskip(NEXT) | instid1(VALU_DEP_1)
	v_and_b32_e32 v3, 0x7f, v1
	v_cmpx_ne_u32_e32 0x7f, v3
	s_cbranch_execz .LBB356_1281
; %bb.1278:                             ;   in Loop: Header=BB356_16 Depth=1
	v_and_b32_e32 v7, 7, v1
	v_mov_b32_e32 v36, v8
	v_lshrrev_b32_e32 v2, 3, v3
	s_mov_b32 s24, exec_lo
	s_delay_alu instid0(VALU_DEP_3)
	v_mov_b32_e32 v35, v7
	v_cmpx_gt_u32_e32 8, v3
; %bb.1279:                             ;   in Loop: Header=BB356_16 Depth=1
	v_clz_i32_u32_e32 v2, v7
	s_delay_alu instid0(VALU_DEP_1) | instskip(NEXT) | instid1(VALU_DEP_1)
	v_min_u32_e32 v2, 32, v2
	v_subrev_nc_u32_e32 v3, 28, v2
	v_sub_nc_u32_e32 v2, 29, v2
	s_delay_alu instid0(VALU_DEP_2) | instskip(NEXT) | instid1(VALU_DEP_1)
	v_lshlrev_b64 v[5:6], v3, v[7:8]
	v_and_b32_e32 v35, 7, v5
; %bb.1280:                             ;   in Loop: Header=BB356_16 Depth=1
	s_or_b32 exec_lo, exec_lo, s24
	v_lshlrev_b32_e32 v1, 8, v1
	v_lshl_add_u32 v2, v2, 10, 0x2000
	s_delay_alu instid0(VALU_DEP_1) | instskip(NEXT) | instid1(VALU_DEP_1)
	v_and_or_b32 v1, 0x8000, v1, v2
	v_lshl_or_b32 v1, v35, 7, v1
	s_delay_alu instid0(VALU_DEP_1)
	v_cvt_f32_f16_e32 v13, v1
.LBB356_1281:                           ;   in Loop: Header=BB356_16 Depth=1
	s_or_b32 exec_lo, exec_lo, s23
.LBB356_1282:                           ;   in Loop: Header=BB356_16 Depth=1
	s_delay_alu instid0(SALU_CYCLE_1)
	s_or_b32 exec_lo, exec_lo, s22
.LBB356_1283:                           ;   in Loop: Header=BB356_16 Depth=1
	s_delay_alu instid0(SALU_CYCLE_1) | instskip(SKIP_3) | instid1(VALU_DEP_2)
	s_or_b32 exec_lo, exec_lo, s21
	v_lshrrev_b32_e32 v1, 16, v34
	v_mov_b32_e32 v11, 0
	s_mov_b32 s21, exec_lo
	v_dual_mov_b32 v5, 0 :: v_dual_and_b32 v2, 0xff, v1
	s_delay_alu instid0(VALU_DEP_1)
	v_cmpx_ne_u16_e32 0, v2
	s_cbranch_execz .LBB356_1291
; %bb.1284:                             ;   in Loop: Header=BB356_16 Depth=1
	v_bfrev_b32_e32 v11, 1
	s_mov_b32 s22, exec_lo
	v_cmpx_ne_u16_e32 0x80, v2
	s_cbranch_execz .LBB356_1290
; %bb.1285:                             ;   in Loop: Header=BB356_16 Depth=1
	v_bfe_u32 v3, v34, 16, 7
	v_mov_b32_e32 v11, 0x7fc02000
	s_mov_b32 s23, exec_lo
	s_delay_alu instid0(VALU_DEP_2)
	v_cmpx_ne_u32_e32 0x7f, v3
	s_cbranch_execz .LBB356_1289
; %bb.1286:                             ;   in Loop: Header=BB356_16 Depth=1
	v_and_b32_e32 v7, 7, v1
	v_mov_b32_e32 v36, v8
	v_lshrrev_b32_e32 v2, 3, v3
	s_mov_b32 s24, exec_lo
	s_delay_alu instid0(VALU_DEP_3)
	v_mov_b32_e32 v35, v7
	v_cmpx_gt_u32_e32 8, v3
; %bb.1287:                             ;   in Loop: Header=BB356_16 Depth=1
	v_clz_i32_u32_e32 v2, v7
	s_delay_alu instid0(VALU_DEP_1) | instskip(NEXT) | instid1(VALU_DEP_1)
	v_min_u32_e32 v2, 32, v2
	v_subrev_nc_u32_e32 v3, 28, v2
	v_sub_nc_u32_e32 v2, 29, v2
	s_delay_alu instid0(VALU_DEP_2) | instskip(NEXT) | instid1(VALU_DEP_1)
	v_lshlrev_b64 v[6:7], v3, v[7:8]
	v_and_b32_e32 v35, 7, v6
; %bb.1288:                             ;   in Loop: Header=BB356_16 Depth=1
	s_or_b32 exec_lo, exec_lo, s24
	v_lshlrev_b32_e32 v1, 8, v1
	v_lshl_add_u32 v2, v2, 10, 0x2000
	s_delay_alu instid0(VALU_DEP_1) | instskip(NEXT) | instid1(VALU_DEP_1)
	v_and_or_b32 v1, 0x8000, v1, v2
	v_lshl_or_b32 v1, v35, 7, v1
	s_delay_alu instid0(VALU_DEP_1)
	v_cvt_f32_f16_e32 v11, v1
.LBB356_1289:                           ;   in Loop: Header=BB356_16 Depth=1
	s_or_b32 exec_lo, exec_lo, s23
.LBB356_1290:                           ;   in Loop: Header=BB356_16 Depth=1
	s_delay_alu instid0(SALU_CYCLE_1)
	s_or_b32 exec_lo, exec_lo, s22
.LBB356_1291:                           ;   in Loop: Header=BB356_16 Depth=1
	s_delay_alu instid0(SALU_CYCLE_1) | instskip(NEXT) | instid1(SALU_CYCLE_1)
	s_or_b32 exec_lo, exec_lo, s21
	s_mov_b32 s21, exec_lo
	v_cmpx_lt_u64_e64 s[8:9], v[33:34]
	s_cbranch_execz .LBB356_1299
; %bb.1292:                             ;   in Loop: Header=BB356_16 Depth=1
	v_lshrrev_b32_e32 v1, 24, v34
	v_bfrev_b32_e32 v5, 1
	s_mov_b32 s22, exec_lo
	s_delay_alu instid0(VALU_DEP_2)
	v_cmpx_ne_u32_e32 0x80, v1
	s_cbranch_execz .LBB356_1298
; %bb.1293:                             ;   in Loop: Header=BB356_16 Depth=1
	v_and_b32_e32 v3, 0x7f, v1
	v_mov_b32_e32 v5, 0x7fc02000
	s_mov_b32 s23, exec_lo
	s_delay_alu instid0(VALU_DEP_2)
	v_cmpx_ne_u32_e32 0x7f, v3
	s_cbranch_execz .LBB356_1297
; %bb.1294:                             ;   in Loop: Header=BB356_16 Depth=1
	v_and_b32_e32 v7, 7, v1
	v_mov_b32_e32 v34, v8
	v_lshrrev_b32_e32 v2, 3, v3
	s_mov_b32 s24, exec_lo
	s_delay_alu instid0(VALU_DEP_3)
	v_mov_b32_e32 v33, v7
	v_cmpx_gt_u32_e32 8, v3
; %bb.1295:                             ;   in Loop: Header=BB356_16 Depth=1
	v_clz_i32_u32_e32 v2, v7
	s_delay_alu instid0(VALU_DEP_1) | instskip(NEXT) | instid1(VALU_DEP_1)
	v_min_u32_e32 v2, 32, v2
	v_subrev_nc_u32_e32 v3, 28, v2
	v_sub_nc_u32_e32 v2, 29, v2
	s_delay_alu instid0(VALU_DEP_2) | instskip(NEXT) | instid1(VALU_DEP_1)
	v_lshlrev_b64 v[5:6], v3, v[7:8]
	v_and_b32_e32 v33, 7, v5
; %bb.1296:                             ;   in Loop: Header=BB356_16 Depth=1
	s_or_b32 exec_lo, exec_lo, s24
	v_lshlrev_b32_e32 v1, 8, v1
	v_lshl_add_u32 v2, v2, 10, 0x2000
	s_delay_alu instid0(VALU_DEP_1) | instskip(NEXT) | instid1(VALU_DEP_1)
	v_and_or_b32 v1, 0x8000, v1, v2
	v_lshl_or_b32 v1, v33, 7, v1
	s_delay_alu instid0(VALU_DEP_1)
	v_cvt_f32_f16_e32 v5, v1
.LBB356_1297:                           ;   in Loop: Header=BB356_16 Depth=1
	s_or_b32 exec_lo, exec_lo, s23
.LBB356_1298:                           ;   in Loop: Header=BB356_16 Depth=1
	s_delay_alu instid0(SALU_CYCLE_1)
	s_or_b32 exec_lo, exec_lo, s22
.LBB356_1299:                           ;   in Loop: Header=BB356_16 Depth=1
	s_delay_alu instid0(SALU_CYCLE_1)
	s_or_b32 exec_lo, exec_lo, s21
	flat_load_b64 v[33:34], v[31:32] offset:1024
	v_mov_b32_e32 v3, 0
	s_mov_b32 s21, exec_lo
	s_waitcnt vmcnt(0) lgkmcnt(0)
	v_dual_mov_b32 v2, 0 :: v_dual_and_b32 v1, 0xff, v33
	s_delay_alu instid0(VALU_DEP_1)
	v_cmpx_ne_u16_e32 0, v1
	s_cbranch_execz .LBB356_1307
; %bb.1300:                             ;   in Loop: Header=BB356_16 Depth=1
	v_bfrev_b32_e32 v2, 1
	s_mov_b32 s22, exec_lo
	v_cmpx_ne_u16_e32 0x80, v1
	s_cbranch_execz .LBB356_1306
; %bb.1301:                             ;   in Loop: Header=BB356_16 Depth=1
	v_and_b32_e32 v6, 0x7f, v33
	v_mov_b32_e32 v2, 0x7fc02000
	s_mov_b32 s23, exec_lo
	s_delay_alu instid0(VALU_DEP_2)
	v_cmpx_ne_u32_e32 0x7f, v6
	s_cbranch_execz .LBB356_1305
; %bb.1302:                             ;   in Loop: Header=BB356_16 Depth=1
	v_lshrrev_b32_e32 v1, 3, v6
	v_dual_mov_b32 v36, v34 :: v_dual_mov_b32 v35, v33
	s_mov_b32 s24, exec_lo
	v_cmpx_gt_u32_e32 8, v6
; %bb.1303:                             ;   in Loop: Header=BB356_16 Depth=1
	v_and_b32_e32 v1, 7, v33
	s_delay_alu instid0(VALU_DEP_1) | instskip(NEXT) | instid1(VALU_DEP_1)
	v_clz_i32_u32_e32 v1, v1
	v_min_u32_e32 v1, 32, v1
	s_delay_alu instid0(VALU_DEP_1) | instskip(SKIP_1) | instid1(VALU_DEP_2)
	v_subrev_nc_u32_e32 v2, 28, v1
	v_sub_nc_u32_e32 v1, 29, v1
	v_lshlrev_b64 v[35:36], v2, v[33:34]
; %bb.1304:                             ;   in Loop: Header=BB356_16 Depth=1
	s_or_b32 exec_lo, exec_lo, s24
	v_lshlrev_b32_e32 v2, 8, v33
	s_delay_alu instid0(VALU_DEP_3) | instskip(NEXT) | instid1(VALU_DEP_3)
	v_lshl_add_u32 v1, v1, 10, 0x2000
	v_lshlrev_b32_e32 v6, 7, v35
	s_delay_alu instid0(VALU_DEP_2) | instskip(NEXT) | instid1(VALU_DEP_1)
	v_and_or_b32 v1, 0x8000, v2, v1
	v_and_or_b32 v1, 0x380, v6, v1
	s_delay_alu instid0(VALU_DEP_1)
	v_cvt_f32_f16_e32 v2, v1
.LBB356_1305:                           ;   in Loop: Header=BB356_16 Depth=1
	s_or_b32 exec_lo, exec_lo, s23
.LBB356_1306:                           ;   in Loop: Header=BB356_16 Depth=1
	s_delay_alu instid0(SALU_CYCLE_1)
	s_or_b32 exec_lo, exec_lo, s22
.LBB356_1307:                           ;   in Loop: Header=BB356_16 Depth=1
	s_delay_alu instid0(SALU_CYCLE_1) | instskip(SKIP_2) | instid1(VALU_DEP_1)
	s_or_b32 exec_lo, exec_lo, s21
	v_lshrrev_b16 v1, 8, v33
	s_mov_b32 s21, exec_lo
	v_cmpx_ne_u16_e32 0, v1
	s_cbranch_execz .LBB356_1315
; %bb.1308:                             ;   in Loop: Header=BB356_16 Depth=1
	v_bfrev_b32_e32 v3, 1
	s_mov_b32 s22, exec_lo
	v_cmpx_ne_u16_e32 0x80, v1
	s_cbranch_execz .LBB356_1314
; %bb.1309:                             ;   in Loop: Header=BB356_16 Depth=1
	v_and_b32_e32 v1, 0xffff, v1
	v_mov_b32_e32 v3, 0x7fc02000
	s_mov_b32 s23, exec_lo
	s_delay_alu instid0(VALU_DEP_2) | instskip(NEXT) | instid1(VALU_DEP_1)
	v_and_b32_e32 v6, 0x7f, v1
	v_cmpx_ne_u32_e32 0x7f, v6
	s_cbranch_execz .LBB356_1313
; %bb.1310:                             ;   in Loop: Header=BB356_16 Depth=1
	v_and_b32_e32 v7, 7, v1
	v_mov_b32_e32 v36, v8
	v_lshrrev_b32_e32 v3, 3, v6
	s_mov_b32 s24, exec_lo
	s_delay_alu instid0(VALU_DEP_3)
	v_mov_b32_e32 v35, v7
	v_cmpx_gt_u32_e32 8, v6
; %bb.1311:                             ;   in Loop: Header=BB356_16 Depth=1
	v_clz_i32_u32_e32 v3, v7
	s_delay_alu instid0(VALU_DEP_1) | instskip(NEXT) | instid1(VALU_DEP_1)
	v_min_u32_e32 v3, 32, v3
	v_subrev_nc_u32_e32 v6, 28, v3
	v_sub_nc_u32_e32 v3, 29, v3
	s_delay_alu instid0(VALU_DEP_2) | instskip(NEXT) | instid1(VALU_DEP_1)
	v_lshlrev_b64 v[6:7], v6, v[7:8]
	v_and_b32_e32 v35, 7, v6
; %bb.1312:                             ;   in Loop: Header=BB356_16 Depth=1
	s_or_b32 exec_lo, exec_lo, s24
	v_lshlrev_b32_e32 v1, 8, v1
	v_lshl_add_u32 v3, v3, 10, 0x2000
	s_delay_alu instid0(VALU_DEP_1) | instskip(NEXT) | instid1(VALU_DEP_1)
	v_and_or_b32 v1, 0x8000, v1, v3
	v_lshl_or_b32 v1, v35, 7, v1
	s_delay_alu instid0(VALU_DEP_1)
	v_cvt_f32_f16_e32 v3, v1
.LBB356_1313:                           ;   in Loop: Header=BB356_16 Depth=1
	s_or_b32 exec_lo, exec_lo, s23
.LBB356_1314:                           ;   in Loop: Header=BB356_16 Depth=1
	s_delay_alu instid0(SALU_CYCLE_1)
	s_or_b32 exec_lo, exec_lo, s22
.LBB356_1315:                           ;   in Loop: Header=BB356_16 Depth=1
	s_delay_alu instid0(SALU_CYCLE_1) | instskip(SKIP_3) | instid1(VALU_DEP_2)
	s_or_b32 exec_lo, exec_lo, s21
	v_lshrrev_b32_e32 v1, 16, v33
	v_mov_b32_e32 v71, 0
	s_mov_b32 s21, exec_lo
	v_dual_mov_b32 v85, 0 :: v_dual_and_b32 v6, 0xff, v1
	s_delay_alu instid0(VALU_DEP_1)
	v_cmpx_ne_u16_e32 0, v6
	s_cbranch_execz .LBB356_1323
; %bb.1316:                             ;   in Loop: Header=BB356_16 Depth=1
	v_bfrev_b32_e32 v71, 1
	s_mov_b32 s22, exec_lo
	v_cmpx_ne_u16_e32 0x80, v6
	s_cbranch_execz .LBB356_1322
; %bb.1317:                             ;   in Loop: Header=BB356_16 Depth=1
	v_bfe_u32 v14, v33, 16, 7
	v_mov_b32_e32 v71, 0x7fc02000
	s_mov_b32 s23, exec_lo
	s_delay_alu instid0(VALU_DEP_2)
	v_cmpx_ne_u32_e32 0x7f, v14
	s_cbranch_execz .LBB356_1321
; %bb.1318:                             ;   in Loop: Header=BB356_16 Depth=1
	v_and_b32_e32 v7, 7, v1
	v_mov_b32_e32 v36, v8
	v_lshrrev_b32_e32 v6, 3, v14
	s_mov_b32 s24, exec_lo
	s_delay_alu instid0(VALU_DEP_3)
	v_mov_b32_e32 v35, v7
	v_cmpx_gt_u32_e32 8, v14
; %bb.1319:                             ;   in Loop: Header=BB356_16 Depth=1
	v_clz_i32_u32_e32 v6, v7
	s_delay_alu instid0(VALU_DEP_1) | instskip(NEXT) | instid1(VALU_DEP_1)
	v_min_u32_e32 v6, 32, v6
	v_subrev_nc_u32_e32 v14, 28, v6
	v_sub_nc_u32_e32 v6, 29, v6
	s_delay_alu instid0(VALU_DEP_2) | instskip(NEXT) | instid1(VALU_DEP_1)
	v_lshlrev_b64 v[14:15], v14, v[7:8]
	v_and_b32_e32 v35, 7, v14
; %bb.1320:                             ;   in Loop: Header=BB356_16 Depth=1
	s_or_b32 exec_lo, exec_lo, s24
	v_lshlrev_b32_e32 v1, 8, v1
	v_lshl_add_u32 v6, v6, 10, 0x2000
	s_delay_alu instid0(VALU_DEP_1) | instskip(NEXT) | instid1(VALU_DEP_1)
	v_and_or_b32 v1, 0x8000, v1, v6
	v_lshl_or_b32 v1, v35, 7, v1
	s_delay_alu instid0(VALU_DEP_1)
	v_cvt_f32_f16_e32 v71, v1
.LBB356_1321:                           ;   in Loop: Header=BB356_16 Depth=1
	s_or_b32 exec_lo, exec_lo, s23
.LBB356_1322:                           ;   in Loop: Header=BB356_16 Depth=1
	s_delay_alu instid0(SALU_CYCLE_1)
	s_or_b32 exec_lo, exec_lo, s22
.LBB356_1323:                           ;   in Loop: Header=BB356_16 Depth=1
	s_delay_alu instid0(SALU_CYCLE_1) | instskip(NEXT) | instid1(SALU_CYCLE_1)
	s_or_b32 exec_lo, exec_lo, s21
	s_mov_b32 s21, exec_lo
	v_cmpx_lt_u32_e32 0xffffff, v33
	s_cbranch_execz .LBB356_1331
; %bb.1324:                             ;   in Loop: Header=BB356_16 Depth=1
	v_lshrrev_b32_e32 v1, 24, v33
	v_bfrev_b32_e32 v85, 1
	s_mov_b32 s22, exec_lo
	s_delay_alu instid0(VALU_DEP_2)
	v_cmpx_ne_u32_e32 0x80, v1
	s_cbranch_execz .LBB356_1330
; %bb.1325:                             ;   in Loop: Header=BB356_16 Depth=1
	v_and_b32_e32 v14, 0x7f, v1
	v_mov_b32_e32 v85, 0x7fc02000
	s_mov_b32 s23, exec_lo
	s_delay_alu instid0(VALU_DEP_2)
	v_cmpx_ne_u32_e32 0x7f, v14
	s_cbranch_execz .LBB356_1329
; %bb.1326:                             ;   in Loop: Header=BB356_16 Depth=1
	v_and_b32_e32 v7, 7, v1
	v_mov_b32_e32 v36, v8
	v_lshrrev_b32_e32 v6, 3, v14
	s_mov_b32 s24, exec_lo
	s_delay_alu instid0(VALU_DEP_3)
	v_mov_b32_e32 v35, v7
	v_cmpx_gt_u32_e32 8, v14
; %bb.1327:                             ;   in Loop: Header=BB356_16 Depth=1
	v_clz_i32_u32_e32 v6, v7
	s_delay_alu instid0(VALU_DEP_1) | instskip(NEXT) | instid1(VALU_DEP_1)
	v_min_u32_e32 v6, 32, v6
	v_subrev_nc_u32_e32 v14, 28, v6
	v_sub_nc_u32_e32 v6, 29, v6
	s_delay_alu instid0(VALU_DEP_2) | instskip(NEXT) | instid1(VALU_DEP_1)
	v_lshlrev_b64 v[14:15], v14, v[7:8]
	v_and_b32_e32 v35, 7, v14
; %bb.1328:                             ;   in Loop: Header=BB356_16 Depth=1
	s_or_b32 exec_lo, exec_lo, s24
	v_lshlrev_b32_e32 v1, 8, v1
	v_lshl_add_u32 v6, v6, 10, 0x2000
	s_delay_alu instid0(VALU_DEP_1) | instskip(NEXT) | instid1(VALU_DEP_1)
	v_and_or_b32 v1, 0x8000, v1, v6
	v_lshl_or_b32 v1, v35, 7, v1
	s_delay_alu instid0(VALU_DEP_1)
	v_cvt_f32_f16_e32 v85, v1
.LBB356_1329:                           ;   in Loop: Header=BB356_16 Depth=1
	s_or_b32 exec_lo, exec_lo, s23
.LBB356_1330:                           ;   in Loop: Header=BB356_16 Depth=1
	s_delay_alu instid0(SALU_CYCLE_1)
	s_or_b32 exec_lo, exec_lo, s22
.LBB356_1331:                           ;   in Loop: Header=BB356_16 Depth=1
	s_delay_alu instid0(SALU_CYCLE_1) | instskip(SKIP_4) | instid1(VALU_DEP_3)
	s_or_b32 exec_lo, exec_lo, s21
	v_dual_mov_b32 v80, 0 :: v_dual_and_b32 v1, 0xff, v34
	v_mov_b32_e32 v7, v34
	v_mov_b32_e32 v87, 0
	s_mov_b32 s21, exec_lo
	v_cmpx_ne_u16_e32 0, v1
	s_cbranch_execz .LBB356_1339
; %bb.1332:                             ;   in Loop: Header=BB356_16 Depth=1
	v_bfrev_b32_e32 v80, 1
	s_mov_b32 s22, exec_lo
	v_cmpx_ne_u16_e32 0x80, v1
	s_cbranch_execz .LBB356_1338
; %bb.1333:                             ;   in Loop: Header=BB356_16 Depth=1
	v_and_b32_e32 v6, 0x7f, v34
	v_mov_b32_e32 v80, 0x7fc02000
	s_mov_b32 s23, exec_lo
	s_delay_alu instid0(VALU_DEP_2)
	v_cmpx_ne_u32_e32 0x7f, v6
	s_cbranch_execz .LBB356_1337
; %bb.1334:                             ;   in Loop: Header=BB356_16 Depth=1
	v_dual_mov_b32 v36, v8 :: v_dual_mov_b32 v35, v7
	v_lshrrev_b32_e32 v1, 3, v6
	s_mov_b32 s24, exec_lo
	v_cmpx_gt_u32_e32 8, v6
; %bb.1335:                             ;   in Loop: Header=BB356_16 Depth=1
	v_and_b32_e32 v1, 7, v34
	s_delay_alu instid0(VALU_DEP_1) | instskip(NEXT) | instid1(VALU_DEP_1)
	v_clz_i32_u32_e32 v1, v1
	v_min_u32_e32 v1, 32, v1
	s_delay_alu instid0(VALU_DEP_1) | instskip(SKIP_1) | instid1(VALU_DEP_2)
	v_subrev_nc_u32_e32 v6, 28, v1
	v_sub_nc_u32_e32 v1, 29, v1
	v_lshlrev_b64 v[35:36], v6, v[7:8]
; %bb.1336:                             ;   in Loop: Header=BB356_16 Depth=1
	s_or_b32 exec_lo, exec_lo, s24
	v_lshlrev_b32_e32 v6, 8, v34
	s_delay_alu instid0(VALU_DEP_3) | instskip(NEXT) | instid1(VALU_DEP_3)
	v_lshl_add_u32 v1, v1, 10, 0x2000
	v_lshlrev_b32_e32 v14, 7, v35
	s_delay_alu instid0(VALU_DEP_2) | instskip(NEXT) | instid1(VALU_DEP_1)
	v_and_or_b32 v1, 0x8000, v6, v1
	v_and_or_b32 v1, 0x380, v14, v1
	s_delay_alu instid0(VALU_DEP_1)
	v_cvt_f32_f16_e32 v80, v1
.LBB356_1337:                           ;   in Loop: Header=BB356_16 Depth=1
	s_or_b32 exec_lo, exec_lo, s23
.LBB356_1338:                           ;   in Loop: Header=BB356_16 Depth=1
	s_delay_alu instid0(SALU_CYCLE_1)
	s_or_b32 exec_lo, exec_lo, s22
.LBB356_1339:                           ;   in Loop: Header=BB356_16 Depth=1
	s_delay_alu instid0(SALU_CYCLE_1) | instskip(SKIP_2) | instid1(VALU_DEP_1)
	s_or_b32 exec_lo, exec_lo, s21
	v_lshrrev_b16 v1, 8, v7
	s_mov_b32 s21, exec_lo
	v_cmpx_ne_u16_e32 0, v1
	s_cbranch_execz .LBB356_1347
; %bb.1340:                             ;   in Loop: Header=BB356_16 Depth=1
	v_bfrev_b32_e32 v87, 1
	s_mov_b32 s22, exec_lo
	v_cmpx_ne_u16_e32 0x80, v1
	s_cbranch_execz .LBB356_1346
; %bb.1341:                             ;   in Loop: Header=BB356_16 Depth=1
	v_and_b32_e32 v1, 0xffff, v1
	v_mov_b32_e32 v87, 0x7fc02000
	s_mov_b32 s23, exec_lo
	s_delay_alu instid0(VALU_DEP_2) | instskip(NEXT) | instid1(VALU_DEP_1)
	v_and_b32_e32 v14, 0x7f, v1
	v_cmpx_ne_u32_e32 0x7f, v14
	s_cbranch_execz .LBB356_1345
; %bb.1342:                             ;   in Loop: Header=BB356_16 Depth=1
	v_and_b32_e32 v7, 7, v1
	v_mov_b32_e32 v36, v8
	v_lshrrev_b32_e32 v6, 3, v14
	s_mov_b32 s24, exec_lo
	s_delay_alu instid0(VALU_DEP_3)
	v_mov_b32_e32 v35, v7
	v_cmpx_gt_u32_e32 8, v14
; %bb.1343:                             ;   in Loop: Header=BB356_16 Depth=1
	v_clz_i32_u32_e32 v6, v7
	s_delay_alu instid0(VALU_DEP_1) | instskip(NEXT) | instid1(VALU_DEP_1)
	v_min_u32_e32 v6, 32, v6
	v_subrev_nc_u32_e32 v14, 28, v6
	v_sub_nc_u32_e32 v6, 29, v6
	s_delay_alu instid0(VALU_DEP_2) | instskip(NEXT) | instid1(VALU_DEP_1)
	v_lshlrev_b64 v[14:15], v14, v[7:8]
	v_and_b32_e32 v35, 7, v14
; %bb.1344:                             ;   in Loop: Header=BB356_16 Depth=1
	s_or_b32 exec_lo, exec_lo, s24
	v_lshlrev_b32_e32 v1, 8, v1
	v_lshl_add_u32 v6, v6, 10, 0x2000
	s_delay_alu instid0(VALU_DEP_1) | instskip(NEXT) | instid1(VALU_DEP_1)
	v_and_or_b32 v1, 0x8000, v1, v6
	v_lshl_or_b32 v1, v35, 7, v1
	s_delay_alu instid0(VALU_DEP_1)
	v_cvt_f32_f16_e32 v87, v1
.LBB356_1345:                           ;   in Loop: Header=BB356_16 Depth=1
	s_or_b32 exec_lo, exec_lo, s23
.LBB356_1346:                           ;   in Loop: Header=BB356_16 Depth=1
	s_delay_alu instid0(SALU_CYCLE_1)
	s_or_b32 exec_lo, exec_lo, s22
.LBB356_1347:                           ;   in Loop: Header=BB356_16 Depth=1
	s_delay_alu instid0(SALU_CYCLE_1) | instskip(SKIP_3) | instid1(VALU_DEP_2)
	s_or_b32 exec_lo, exec_lo, s21
	v_lshrrev_b32_e32 v1, 16, v34
	v_mov_b32_e32 v102, 0
	s_mov_b32 s21, exec_lo
	v_dual_mov_b32 v101, 0 :: v_dual_and_b32 v6, 0xff, v1
	s_delay_alu instid0(VALU_DEP_1)
	v_cmpx_ne_u16_e32 0, v6
	s_cbranch_execz .LBB356_1355
; %bb.1348:                             ;   in Loop: Header=BB356_16 Depth=1
	v_bfrev_b32_e32 v102, 1
	s_mov_b32 s22, exec_lo
	v_cmpx_ne_u16_e32 0x80, v6
	s_cbranch_execz .LBB356_1354
; %bb.1349:                             ;   in Loop: Header=BB356_16 Depth=1
	v_bfe_u32 v14, v34, 16, 7
	v_mov_b32_e32 v102, 0x7fc02000
	s_mov_b32 s23, exec_lo
	s_delay_alu instid0(VALU_DEP_2)
	v_cmpx_ne_u32_e32 0x7f, v14
	s_cbranch_execz .LBB356_1353
; %bb.1350:                             ;   in Loop: Header=BB356_16 Depth=1
	v_and_b32_e32 v7, 7, v1
	v_mov_b32_e32 v36, v8
	v_lshrrev_b32_e32 v6, 3, v14
	s_mov_b32 s24, exec_lo
	s_delay_alu instid0(VALU_DEP_3)
	v_mov_b32_e32 v35, v7
	v_cmpx_gt_u32_e32 8, v14
; %bb.1351:                             ;   in Loop: Header=BB356_16 Depth=1
	v_clz_i32_u32_e32 v6, v7
	s_delay_alu instid0(VALU_DEP_1) | instskip(NEXT) | instid1(VALU_DEP_1)
	v_min_u32_e32 v6, 32, v6
	v_subrev_nc_u32_e32 v14, 28, v6
	v_sub_nc_u32_e32 v6, 29, v6
	s_delay_alu instid0(VALU_DEP_2) | instskip(NEXT) | instid1(VALU_DEP_1)
	v_lshlrev_b64 v[14:15], v14, v[7:8]
	v_and_b32_e32 v35, 7, v14
; %bb.1352:                             ;   in Loop: Header=BB356_16 Depth=1
	s_or_b32 exec_lo, exec_lo, s24
	v_lshlrev_b32_e32 v1, 8, v1
	v_lshl_add_u32 v6, v6, 10, 0x2000
	s_delay_alu instid0(VALU_DEP_1) | instskip(NEXT) | instid1(VALU_DEP_1)
	v_and_or_b32 v1, 0x8000, v1, v6
	v_lshl_or_b32 v1, v35, 7, v1
	s_delay_alu instid0(VALU_DEP_1)
	v_cvt_f32_f16_e32 v102, v1
.LBB356_1353:                           ;   in Loop: Header=BB356_16 Depth=1
	s_or_b32 exec_lo, exec_lo, s23
.LBB356_1354:                           ;   in Loop: Header=BB356_16 Depth=1
	s_delay_alu instid0(SALU_CYCLE_1)
	s_or_b32 exec_lo, exec_lo, s22
.LBB356_1355:                           ;   in Loop: Header=BB356_16 Depth=1
	s_delay_alu instid0(SALU_CYCLE_1) | instskip(NEXT) | instid1(SALU_CYCLE_1)
	s_or_b32 exec_lo, exec_lo, s21
	s_mov_b32 s21, exec_lo
	v_cmpx_lt_u64_e64 s[8:9], v[33:34]
	s_cbranch_execz .LBB356_1363
; %bb.1356:                             ;   in Loop: Header=BB356_16 Depth=1
	v_lshrrev_b32_e32 v1, 24, v34
	v_bfrev_b32_e32 v101, 1
	s_mov_b32 s22, exec_lo
	s_delay_alu instid0(VALU_DEP_2)
	v_cmpx_ne_u32_e32 0x80, v1
	s_cbranch_execz .LBB356_1362
; %bb.1357:                             ;   in Loop: Header=BB356_16 Depth=1
	v_and_b32_e32 v14, 0x7f, v1
	v_mov_b32_e32 v101, 0x7fc02000
	s_mov_b32 s23, exec_lo
	s_delay_alu instid0(VALU_DEP_2)
	v_cmpx_ne_u32_e32 0x7f, v14
	s_cbranch_execz .LBB356_1361
; %bb.1358:                             ;   in Loop: Header=BB356_16 Depth=1
	v_and_b32_e32 v7, 7, v1
	v_mov_b32_e32 v34, v8
	v_lshrrev_b32_e32 v6, 3, v14
	s_mov_b32 s24, exec_lo
	s_delay_alu instid0(VALU_DEP_3)
	v_mov_b32_e32 v33, v7
	v_cmpx_gt_u32_e32 8, v14
; %bb.1359:                             ;   in Loop: Header=BB356_16 Depth=1
	v_clz_i32_u32_e32 v6, v7
	s_delay_alu instid0(VALU_DEP_1) | instskip(NEXT) | instid1(VALU_DEP_1)
	v_min_u32_e32 v6, 32, v6
	v_subrev_nc_u32_e32 v14, 28, v6
	v_sub_nc_u32_e32 v6, 29, v6
	s_delay_alu instid0(VALU_DEP_2) | instskip(NEXT) | instid1(VALU_DEP_1)
	v_lshlrev_b64 v[14:15], v14, v[7:8]
	v_and_b32_e32 v33, 7, v14
; %bb.1360:                             ;   in Loop: Header=BB356_16 Depth=1
	s_or_b32 exec_lo, exec_lo, s24
	v_lshlrev_b32_e32 v1, 8, v1
	v_lshl_add_u32 v6, v6, 10, 0x2000
	s_delay_alu instid0(VALU_DEP_1) | instskip(NEXT) | instid1(VALU_DEP_1)
	v_and_or_b32 v1, 0x8000, v1, v6
	v_lshl_or_b32 v1, v33, 7, v1
	s_delay_alu instid0(VALU_DEP_1)
	v_cvt_f32_f16_e32 v101, v1
.LBB356_1361:                           ;   in Loop: Header=BB356_16 Depth=1
	s_or_b32 exec_lo, exec_lo, s23
.LBB356_1362:                           ;   in Loop: Header=BB356_16 Depth=1
	s_delay_alu instid0(SALU_CYCLE_1)
	s_or_b32 exec_lo, exec_lo, s22
.LBB356_1363:                           ;   in Loop: Header=BB356_16 Depth=1
	s_delay_alu instid0(SALU_CYCLE_1)
	s_or_b32 exec_lo, exec_lo, s21
	flat_load_b64 v[33:34], v[31:32] offset:1032
	v_mov_b32_e32 v117, 0
	s_mov_b32 s21, exec_lo
	s_waitcnt vmcnt(0) lgkmcnt(0)
	v_dual_mov_b32 v66, 0 :: v_dual_and_b32 v1, 0xff, v33
	s_delay_alu instid0(VALU_DEP_1)
	v_cmpx_ne_u16_e32 0, v1
	s_cbranch_execz .LBB356_1371
; %bb.1364:                             ;   in Loop: Header=BB356_16 Depth=1
	v_bfrev_b32_e32 v66, 1
	s_mov_b32 s22, exec_lo
	v_cmpx_ne_u16_e32 0x80, v1
	s_cbranch_execz .LBB356_1370
; %bb.1365:                             ;   in Loop: Header=BB356_16 Depth=1
	v_and_b32_e32 v6, 0x7f, v33
	v_mov_b32_e32 v66, 0x7fc02000
	s_mov_b32 s23, exec_lo
	s_delay_alu instid0(VALU_DEP_2)
	v_cmpx_ne_u32_e32 0x7f, v6
	s_cbranch_execz .LBB356_1369
; %bb.1366:                             ;   in Loop: Header=BB356_16 Depth=1
	v_lshrrev_b32_e32 v1, 3, v6
	v_dual_mov_b32 v36, v34 :: v_dual_mov_b32 v35, v33
	s_mov_b32 s24, exec_lo
	v_cmpx_gt_u32_e32 8, v6
; %bb.1367:                             ;   in Loop: Header=BB356_16 Depth=1
	v_and_b32_e32 v1, 7, v33
	s_delay_alu instid0(VALU_DEP_1) | instskip(NEXT) | instid1(VALU_DEP_1)
	v_clz_i32_u32_e32 v1, v1
	v_min_u32_e32 v1, 32, v1
	s_delay_alu instid0(VALU_DEP_1) | instskip(SKIP_1) | instid1(VALU_DEP_2)
	v_subrev_nc_u32_e32 v6, 28, v1
	v_sub_nc_u32_e32 v1, 29, v1
	v_lshlrev_b64 v[35:36], v6, v[33:34]
; %bb.1368:                             ;   in Loop: Header=BB356_16 Depth=1
	s_or_b32 exec_lo, exec_lo, s24
	v_lshlrev_b32_e32 v6, 8, v33
	s_delay_alu instid0(VALU_DEP_3) | instskip(NEXT) | instid1(VALU_DEP_3)
	v_lshl_add_u32 v1, v1, 10, 0x2000
	v_lshlrev_b32_e32 v7, 7, v35
	s_delay_alu instid0(VALU_DEP_2) | instskip(NEXT) | instid1(VALU_DEP_1)
	v_and_or_b32 v1, 0x8000, v6, v1
	v_and_or_b32 v1, 0x380, v7, v1
	s_delay_alu instid0(VALU_DEP_1)
	v_cvt_f32_f16_e32 v66, v1
.LBB356_1369:                           ;   in Loop: Header=BB356_16 Depth=1
	s_or_b32 exec_lo, exec_lo, s23
.LBB356_1370:                           ;   in Loop: Header=BB356_16 Depth=1
	s_delay_alu instid0(SALU_CYCLE_1)
	s_or_b32 exec_lo, exec_lo, s22
.LBB356_1371:                           ;   in Loop: Header=BB356_16 Depth=1
	s_delay_alu instid0(SALU_CYCLE_1) | instskip(SKIP_2) | instid1(VALU_DEP_1)
	s_or_b32 exec_lo, exec_lo, s21
	v_lshrrev_b16 v1, 8, v33
	s_mov_b32 s21, exec_lo
	v_cmpx_ne_u16_e32 0, v1
	s_cbranch_execz .LBB356_1379
; %bb.1372:                             ;   in Loop: Header=BB356_16 Depth=1
	v_bfrev_b32_e32 v117, 1
	s_mov_b32 s22, exec_lo
	v_cmpx_ne_u16_e32 0x80, v1
	s_cbranch_execz .LBB356_1378
; %bb.1373:                             ;   in Loop: Header=BB356_16 Depth=1
	v_and_b32_e32 v1, 0xffff, v1
	v_mov_b32_e32 v117, 0x7fc02000
	s_mov_b32 s23, exec_lo
	s_delay_alu instid0(VALU_DEP_2) | instskip(NEXT) | instid1(VALU_DEP_1)
	v_and_b32_e32 v14, 0x7f, v1
	v_cmpx_ne_u32_e32 0x7f, v14
	s_cbranch_execz .LBB356_1377
; %bb.1374:                             ;   in Loop: Header=BB356_16 Depth=1
	v_and_b32_e32 v7, 7, v1
	v_mov_b32_e32 v36, v8
	v_lshrrev_b32_e32 v6, 3, v14
	s_mov_b32 s24, exec_lo
	s_delay_alu instid0(VALU_DEP_3)
	v_mov_b32_e32 v35, v7
	v_cmpx_gt_u32_e32 8, v14
; %bb.1375:                             ;   in Loop: Header=BB356_16 Depth=1
	v_clz_i32_u32_e32 v6, v7
	s_delay_alu instid0(VALU_DEP_1) | instskip(NEXT) | instid1(VALU_DEP_1)
	v_min_u32_e32 v6, 32, v6
	v_subrev_nc_u32_e32 v14, 28, v6
	v_sub_nc_u32_e32 v6, 29, v6
	s_delay_alu instid0(VALU_DEP_2) | instskip(NEXT) | instid1(VALU_DEP_1)
	v_lshlrev_b64 v[14:15], v14, v[7:8]
	v_and_b32_e32 v35, 7, v14
; %bb.1376:                             ;   in Loop: Header=BB356_16 Depth=1
	s_or_b32 exec_lo, exec_lo, s24
	v_lshlrev_b32_e32 v1, 8, v1
	v_lshl_add_u32 v6, v6, 10, 0x2000
	s_delay_alu instid0(VALU_DEP_1) | instskip(NEXT) | instid1(VALU_DEP_1)
	v_and_or_b32 v1, 0x8000, v1, v6
	v_lshl_or_b32 v1, v35, 7, v1
	s_delay_alu instid0(VALU_DEP_1)
	v_cvt_f32_f16_e32 v117, v1
.LBB356_1377:                           ;   in Loop: Header=BB356_16 Depth=1
	s_or_b32 exec_lo, exec_lo, s23
.LBB356_1378:                           ;   in Loop: Header=BB356_16 Depth=1
	s_delay_alu instid0(SALU_CYCLE_1)
	s_or_b32 exec_lo, exec_lo, s22
.LBB356_1379:                           ;   in Loop: Header=BB356_16 Depth=1
	s_delay_alu instid0(SALU_CYCLE_1) | instskip(SKIP_3) | instid1(VALU_DEP_2)
	s_or_b32 exec_lo, exec_lo, s21
	v_lshrrev_b32_e32 v1, 16, v33
	v_mov_b32_e32 v130, 0
	s_mov_b32 s21, exec_lo
	v_dual_mov_b32 v135, 0 :: v_dual_and_b32 v6, 0xff, v1
	s_delay_alu instid0(VALU_DEP_1)
	v_cmpx_ne_u16_e32 0, v6
	s_cbranch_execz .LBB356_1387
; %bb.1380:                             ;   in Loop: Header=BB356_16 Depth=1
	v_bfrev_b32_e32 v130, 1
	s_mov_b32 s22, exec_lo
	v_cmpx_ne_u16_e32 0x80, v6
	s_cbranch_execz .LBB356_1386
; %bb.1381:                             ;   in Loop: Header=BB356_16 Depth=1
	v_bfe_u32 v14, v33, 16, 7
	v_mov_b32_e32 v130, 0x7fc02000
	s_mov_b32 s23, exec_lo
	s_delay_alu instid0(VALU_DEP_2)
	v_cmpx_ne_u32_e32 0x7f, v14
	s_cbranch_execz .LBB356_1385
; %bb.1382:                             ;   in Loop: Header=BB356_16 Depth=1
	v_and_b32_e32 v7, 7, v1
	v_mov_b32_e32 v36, v8
	v_lshrrev_b32_e32 v6, 3, v14
	s_mov_b32 s24, exec_lo
	s_delay_alu instid0(VALU_DEP_3)
	v_mov_b32_e32 v35, v7
	v_cmpx_gt_u32_e32 8, v14
; %bb.1383:                             ;   in Loop: Header=BB356_16 Depth=1
	v_clz_i32_u32_e32 v6, v7
	s_delay_alu instid0(VALU_DEP_1) | instskip(NEXT) | instid1(VALU_DEP_1)
	v_min_u32_e32 v6, 32, v6
	v_subrev_nc_u32_e32 v14, 28, v6
	v_sub_nc_u32_e32 v6, 29, v6
	s_delay_alu instid0(VALU_DEP_2) | instskip(NEXT) | instid1(VALU_DEP_1)
	v_lshlrev_b64 v[14:15], v14, v[7:8]
	v_and_b32_e32 v35, 7, v14
; %bb.1384:                             ;   in Loop: Header=BB356_16 Depth=1
	s_or_b32 exec_lo, exec_lo, s24
	v_lshlrev_b32_e32 v1, 8, v1
	v_lshl_add_u32 v6, v6, 10, 0x2000
	s_delay_alu instid0(VALU_DEP_1) | instskip(NEXT) | instid1(VALU_DEP_1)
	v_and_or_b32 v1, 0x8000, v1, v6
	v_lshl_or_b32 v1, v35, 7, v1
	s_delay_alu instid0(VALU_DEP_1)
	v_cvt_f32_f16_e64 v130, v1
.LBB356_1385:                           ;   in Loop: Header=BB356_16 Depth=1
	s_or_b32 exec_lo, exec_lo, s23
.LBB356_1386:                           ;   in Loop: Header=BB356_16 Depth=1
	s_delay_alu instid0(SALU_CYCLE_1)
	s_or_b32 exec_lo, exec_lo, s22
.LBB356_1387:                           ;   in Loop: Header=BB356_16 Depth=1
	s_delay_alu instid0(SALU_CYCLE_1) | instskip(NEXT) | instid1(SALU_CYCLE_1)
	s_or_b32 exec_lo, exec_lo, s21
	s_mov_b32 s21, exec_lo
	v_cmpx_lt_u32_e32 0xffffff, v33
	s_cbranch_execz .LBB356_1395
; %bb.1388:                             ;   in Loop: Header=BB356_16 Depth=1
	v_lshrrev_b32_e32 v1, 24, v33
	v_bfrev_b32_e32 v135, 1
	s_mov_b32 s22, exec_lo
	s_delay_alu instid0(VALU_DEP_2)
	v_cmpx_ne_u32_e32 0x80, v1
	s_cbranch_execz .LBB356_1394
; %bb.1389:                             ;   in Loop: Header=BB356_16 Depth=1
	v_and_b32_e32 v14, 0x7f, v1
	v_mov_b32_e32 v135, 0x7fc02000
	s_mov_b32 s23, exec_lo
	s_delay_alu instid0(VALU_DEP_2)
	v_cmpx_ne_u32_e32 0x7f, v14
	s_cbranch_execz .LBB356_1393
; %bb.1390:                             ;   in Loop: Header=BB356_16 Depth=1
	v_and_b32_e32 v7, 7, v1
	v_mov_b32_e32 v36, v8
	v_lshrrev_b32_e32 v6, 3, v14
	s_mov_b32 s24, exec_lo
	s_delay_alu instid0(VALU_DEP_3)
	v_mov_b32_e32 v35, v7
	v_cmpx_gt_u32_e32 8, v14
; %bb.1391:                             ;   in Loop: Header=BB356_16 Depth=1
	v_clz_i32_u32_e32 v6, v7
	s_delay_alu instid0(VALU_DEP_1) | instskip(NEXT) | instid1(VALU_DEP_1)
	v_min_u32_e32 v6, 32, v6
	v_subrev_nc_u32_e32 v14, 28, v6
	v_sub_nc_u32_e32 v6, 29, v6
	s_delay_alu instid0(VALU_DEP_2) | instskip(NEXT) | instid1(VALU_DEP_1)
	v_lshlrev_b64 v[14:15], v14, v[7:8]
	v_and_b32_e32 v35, 7, v14
; %bb.1392:                             ;   in Loop: Header=BB356_16 Depth=1
	s_or_b32 exec_lo, exec_lo, s24
	v_lshlrev_b32_e32 v1, 8, v1
	v_lshl_add_u32 v6, v6, 10, 0x2000
	s_delay_alu instid0(VALU_DEP_1) | instskip(NEXT) | instid1(VALU_DEP_1)
	v_and_or_b32 v1, 0x8000, v1, v6
	v_lshl_or_b32 v1, v35, 7, v1
	s_delay_alu instid0(VALU_DEP_1)
	v_cvt_f32_f16_e64 v135, v1
.LBB356_1393:                           ;   in Loop: Header=BB356_16 Depth=1
	s_or_b32 exec_lo, exec_lo, s23
.LBB356_1394:                           ;   in Loop: Header=BB356_16 Depth=1
	s_delay_alu instid0(SALU_CYCLE_1)
	s_or_b32 exec_lo, exec_lo, s22
.LBB356_1395:                           ;   in Loop: Header=BB356_16 Depth=1
	s_delay_alu instid0(SALU_CYCLE_1) | instskip(SKIP_4) | instid1(VALU_DEP_3)
	s_or_b32 exec_lo, exec_lo, s21
	v_dual_mov_b32 v150, 0 :: v_dual_and_b32 v1, 0xff, v34
	v_mov_b32_e32 v7, v34
	v_mov_b32_e32 v75, 0
	s_mov_b32 s21, exec_lo
	v_cmpx_ne_u16_e32 0, v1
	s_cbranch_execz .LBB356_1403
; %bb.1396:                             ;   in Loop: Header=BB356_16 Depth=1
	v_bfrev_b32_e32 v75, 1
	s_mov_b32 s22, exec_lo
	v_cmpx_ne_u16_e32 0x80, v1
	s_cbranch_execz .LBB356_1402
; %bb.1397:                             ;   in Loop: Header=BB356_16 Depth=1
	v_and_b32_e32 v6, 0x7f, v34
	v_mov_b32_e32 v75, 0x7fc02000
	s_mov_b32 s23, exec_lo
	s_delay_alu instid0(VALU_DEP_2)
	v_cmpx_ne_u32_e32 0x7f, v6
	s_cbranch_execz .LBB356_1401
; %bb.1398:                             ;   in Loop: Header=BB356_16 Depth=1
	v_dual_mov_b32 v36, v8 :: v_dual_mov_b32 v35, v7
	v_lshrrev_b32_e32 v1, 3, v6
	s_mov_b32 s24, exec_lo
	v_cmpx_gt_u32_e32 8, v6
; %bb.1399:                             ;   in Loop: Header=BB356_16 Depth=1
	v_and_b32_e32 v1, 7, v34
	s_delay_alu instid0(VALU_DEP_1) | instskip(NEXT) | instid1(VALU_DEP_1)
	v_clz_i32_u32_e32 v1, v1
	v_min_u32_e32 v1, 32, v1
	s_delay_alu instid0(VALU_DEP_1) | instskip(SKIP_1) | instid1(VALU_DEP_2)
	v_subrev_nc_u32_e32 v6, 28, v1
	v_sub_nc_u32_e32 v1, 29, v1
	v_lshlrev_b64 v[35:36], v6, v[7:8]
; %bb.1400:                             ;   in Loop: Header=BB356_16 Depth=1
	s_or_b32 exec_lo, exec_lo, s24
	v_lshlrev_b32_e32 v6, 8, v34
	s_delay_alu instid0(VALU_DEP_3) | instskip(NEXT) | instid1(VALU_DEP_3)
	v_lshl_add_u32 v1, v1, 10, 0x2000
	v_lshlrev_b32_e32 v14, 7, v35
	s_delay_alu instid0(VALU_DEP_2) | instskip(NEXT) | instid1(VALU_DEP_1)
	v_and_or_b32 v1, 0x8000, v6, v1
	v_and_or_b32 v1, 0x380, v14, v1
	s_delay_alu instid0(VALU_DEP_1)
	v_cvt_f32_f16_e32 v75, v1
.LBB356_1401:                           ;   in Loop: Header=BB356_16 Depth=1
	s_or_b32 exec_lo, exec_lo, s23
.LBB356_1402:                           ;   in Loop: Header=BB356_16 Depth=1
	s_delay_alu instid0(SALU_CYCLE_1)
	s_or_b32 exec_lo, exec_lo, s22
.LBB356_1403:                           ;   in Loop: Header=BB356_16 Depth=1
	s_delay_alu instid0(SALU_CYCLE_1) | instskip(SKIP_2) | instid1(VALU_DEP_1)
	s_or_b32 exec_lo, exec_lo, s21
	v_lshrrev_b16 v1, 8, v7
	s_mov_b32 s21, exec_lo
	v_cmpx_ne_u16_e32 0, v1
	s_cbranch_execz .LBB356_1411
; %bb.1404:                             ;   in Loop: Header=BB356_16 Depth=1
	v_bfrev_b32_e32 v150, 1
	s_mov_b32 s22, exec_lo
	v_cmpx_ne_u16_e32 0x80, v1
	s_cbranch_execz .LBB356_1410
; %bb.1405:                             ;   in Loop: Header=BB356_16 Depth=1
	v_and_b32_e32 v1, 0xffff, v1
	v_mov_b32_e32 v150, 0x7fc02000
	s_mov_b32 s23, exec_lo
	s_delay_alu instid0(VALU_DEP_2) | instskip(NEXT) | instid1(VALU_DEP_1)
	v_and_b32_e32 v14, 0x7f, v1
	v_cmpx_ne_u32_e32 0x7f, v14
	s_cbranch_execz .LBB356_1409
; %bb.1406:                             ;   in Loop: Header=BB356_16 Depth=1
	v_and_b32_e32 v7, 7, v1
	v_mov_b32_e32 v36, v8
	v_lshrrev_b32_e32 v6, 3, v14
	s_mov_b32 s24, exec_lo
	s_delay_alu instid0(VALU_DEP_3)
	v_mov_b32_e32 v35, v7
	v_cmpx_gt_u32_e32 8, v14
; %bb.1407:                             ;   in Loop: Header=BB356_16 Depth=1
	v_clz_i32_u32_e32 v6, v7
	s_delay_alu instid0(VALU_DEP_1) | instskip(NEXT) | instid1(VALU_DEP_1)
	v_min_u32_e32 v6, 32, v6
	v_subrev_nc_u32_e32 v14, 28, v6
	v_sub_nc_u32_e32 v6, 29, v6
	s_delay_alu instid0(VALU_DEP_2) | instskip(NEXT) | instid1(VALU_DEP_1)
	v_lshlrev_b64 v[14:15], v14, v[7:8]
	v_and_b32_e32 v35, 7, v14
; %bb.1408:                             ;   in Loop: Header=BB356_16 Depth=1
	s_or_b32 exec_lo, exec_lo, s24
	v_lshlrev_b32_e32 v1, 8, v1
	v_lshl_add_u32 v6, v6, 10, 0x2000
	s_delay_alu instid0(VALU_DEP_1) | instskip(NEXT) | instid1(VALU_DEP_1)
	v_and_or_b32 v1, 0x8000, v1, v6
	v_lshl_or_b32 v1, v35, 7, v1
	s_delay_alu instid0(VALU_DEP_1)
	v_cvt_f32_f16_e64 v150, v1
.LBB356_1409:                           ;   in Loop: Header=BB356_16 Depth=1
	s_or_b32 exec_lo, exec_lo, s23
.LBB356_1410:                           ;   in Loop: Header=BB356_16 Depth=1
	s_delay_alu instid0(SALU_CYCLE_1)
	s_or_b32 exec_lo, exec_lo, s22
.LBB356_1411:                           ;   in Loop: Header=BB356_16 Depth=1
	s_delay_alu instid0(SALU_CYCLE_1) | instskip(SKIP_4) | instid1(VALU_DEP_3)
	s_or_b32 exec_lo, exec_lo, s21
	v_lshrrev_b32_e32 v1, 16, v34
	v_mov_b32_e32 v94, 0
	v_mov_b32_e32 v166, 0
	s_mov_b32 s21, exec_lo
	v_and_b32_e32 v6, 0xff, v1
	s_delay_alu instid0(VALU_DEP_1)
	v_cmpx_ne_u16_e32 0, v6
	s_cbranch_execz .LBB356_1419
; %bb.1412:                             ;   in Loop: Header=BB356_16 Depth=1
	v_bfrev_b32_e32 v166, 1
	s_mov_b32 s22, exec_lo
	v_cmpx_ne_u16_e32 0x80, v6
	s_cbranch_execz .LBB356_1418
; %bb.1413:                             ;   in Loop: Header=BB356_16 Depth=1
	v_bfe_u32 v14, v34, 16, 7
	v_mov_b32_e32 v166, 0x7fc02000
	s_mov_b32 s23, exec_lo
	s_delay_alu instid0(VALU_DEP_2)
	v_cmpx_ne_u32_e32 0x7f, v14
	s_cbranch_execz .LBB356_1417
; %bb.1414:                             ;   in Loop: Header=BB356_16 Depth=1
	v_and_b32_e32 v7, 7, v1
	v_mov_b32_e32 v36, v8
	v_lshrrev_b32_e32 v6, 3, v14
	s_mov_b32 s24, exec_lo
	s_delay_alu instid0(VALU_DEP_3)
	v_mov_b32_e32 v35, v7
	v_cmpx_gt_u32_e32 8, v14
; %bb.1415:                             ;   in Loop: Header=BB356_16 Depth=1
	v_clz_i32_u32_e32 v6, v7
	s_delay_alu instid0(VALU_DEP_1) | instskip(NEXT) | instid1(VALU_DEP_1)
	v_min_u32_e32 v6, 32, v6
	v_subrev_nc_u32_e32 v14, 28, v6
	v_sub_nc_u32_e32 v6, 29, v6
	s_delay_alu instid0(VALU_DEP_2) | instskip(NEXT) | instid1(VALU_DEP_1)
	v_lshlrev_b64 v[14:15], v14, v[7:8]
	v_and_b32_e32 v35, 7, v14
; %bb.1416:                             ;   in Loop: Header=BB356_16 Depth=1
	s_or_b32 exec_lo, exec_lo, s24
	v_lshlrev_b32_e32 v1, 8, v1
	v_lshl_add_u32 v6, v6, 10, 0x2000
	s_delay_alu instid0(VALU_DEP_1) | instskip(NEXT) | instid1(VALU_DEP_1)
	v_and_or_b32 v1, 0x8000, v1, v6
	v_lshl_or_b32 v1, v35, 7, v1
	s_delay_alu instid0(VALU_DEP_1)
	v_cvt_f32_f16_e64 v166, v1
.LBB356_1417:                           ;   in Loop: Header=BB356_16 Depth=1
	s_or_b32 exec_lo, exec_lo, s23
.LBB356_1418:                           ;   in Loop: Header=BB356_16 Depth=1
	s_delay_alu instid0(SALU_CYCLE_1)
	s_or_b32 exec_lo, exec_lo, s22
.LBB356_1419:                           ;   in Loop: Header=BB356_16 Depth=1
	s_delay_alu instid0(SALU_CYCLE_1) | instskip(NEXT) | instid1(SALU_CYCLE_1)
	s_or_b32 exec_lo, exec_lo, s21
	s_mov_b32 s21, exec_lo
	v_cmpx_lt_u64_e64 s[8:9], v[33:34]
	s_cbranch_execz .LBB356_1427
; %bb.1420:                             ;   in Loop: Header=BB356_16 Depth=1
	v_lshrrev_b32_e32 v1, 24, v34
	v_bfrev_b32_e32 v94, 1
	s_mov_b32 s22, exec_lo
	s_delay_alu instid0(VALU_DEP_2)
	v_cmpx_ne_u32_e32 0x80, v1
	s_cbranch_execz .LBB356_1426
; %bb.1421:                             ;   in Loop: Header=BB356_16 Depth=1
	v_and_b32_e32 v14, 0x7f, v1
	v_mov_b32_e32 v94, 0x7fc02000
	s_mov_b32 s23, exec_lo
	s_delay_alu instid0(VALU_DEP_2)
	v_cmpx_ne_u32_e32 0x7f, v14
	s_cbranch_execz .LBB356_1425
; %bb.1422:                             ;   in Loop: Header=BB356_16 Depth=1
	v_and_b32_e32 v7, 7, v1
	v_mov_b32_e32 v34, v8
	v_lshrrev_b32_e32 v6, 3, v14
	s_mov_b32 s24, exec_lo
	s_delay_alu instid0(VALU_DEP_3)
	v_mov_b32_e32 v33, v7
	v_cmpx_gt_u32_e32 8, v14
; %bb.1423:                             ;   in Loop: Header=BB356_16 Depth=1
	v_clz_i32_u32_e32 v6, v7
	s_delay_alu instid0(VALU_DEP_1) | instskip(NEXT) | instid1(VALU_DEP_1)
	v_min_u32_e32 v6, 32, v6
	v_subrev_nc_u32_e32 v14, 28, v6
	v_sub_nc_u32_e32 v6, 29, v6
	s_delay_alu instid0(VALU_DEP_2) | instskip(NEXT) | instid1(VALU_DEP_1)
	v_lshlrev_b64 v[14:15], v14, v[7:8]
	v_and_b32_e32 v33, 7, v14
; %bb.1424:                             ;   in Loop: Header=BB356_16 Depth=1
	s_or_b32 exec_lo, exec_lo, s24
	v_lshlrev_b32_e32 v1, 8, v1
	v_lshl_add_u32 v6, v6, 10, 0x2000
	s_delay_alu instid0(VALU_DEP_1) | instskip(NEXT) | instid1(VALU_DEP_1)
	v_and_or_b32 v1, 0x8000, v1, v6
	v_lshl_or_b32 v1, v33, 7, v1
	s_delay_alu instid0(VALU_DEP_1)
	v_cvt_f32_f16_e32 v94, v1
.LBB356_1425:                           ;   in Loop: Header=BB356_16 Depth=1
	s_or_b32 exec_lo, exec_lo, s23
.LBB356_1426:                           ;   in Loop: Header=BB356_16 Depth=1
	s_delay_alu instid0(SALU_CYCLE_1)
	s_or_b32 exec_lo, exec_lo, s22
.LBB356_1427:                           ;   in Loop: Header=BB356_16 Depth=1
	s_delay_alu instid0(SALU_CYCLE_1)
	s_or_b32 exec_lo, exec_lo, s21
	flat_load_b64 v[33:34], v[31:32] offset:1536
	v_mov_b32_e32 v95, 0
	s_mov_b32 s21, exec_lo
	s_waitcnt vmcnt(0) lgkmcnt(0)
	v_dual_mov_b32 v180, 0 :: v_dual_and_b32 v1, 0xff, v33
	s_delay_alu instid0(VALU_DEP_1)
	v_cmpx_ne_u16_e32 0, v1
	s_cbranch_execz .LBB356_1435
; %bb.1428:                             ;   in Loop: Header=BB356_16 Depth=1
	v_bfrev_b32_e32 v95, 1
	s_mov_b32 s22, exec_lo
	v_cmpx_ne_u16_e32 0x80, v1
	s_cbranch_execz .LBB356_1434
; %bb.1429:                             ;   in Loop: Header=BB356_16 Depth=1
	v_and_b32_e32 v6, 0x7f, v33
	v_mov_b32_e32 v95, 0x7fc02000
	s_mov_b32 s23, exec_lo
	s_delay_alu instid0(VALU_DEP_2)
	v_cmpx_ne_u32_e32 0x7f, v6
	s_cbranch_execz .LBB356_1433
; %bb.1430:                             ;   in Loop: Header=BB356_16 Depth=1
	v_lshrrev_b32_e32 v1, 3, v6
	v_dual_mov_b32 v36, v34 :: v_dual_mov_b32 v35, v33
	s_mov_b32 s24, exec_lo
	v_cmpx_gt_u32_e32 8, v6
; %bb.1431:                             ;   in Loop: Header=BB356_16 Depth=1
	v_and_b32_e32 v1, 7, v33
	s_delay_alu instid0(VALU_DEP_1) | instskip(NEXT) | instid1(VALU_DEP_1)
	v_clz_i32_u32_e32 v1, v1
	v_min_u32_e32 v1, 32, v1
	s_delay_alu instid0(VALU_DEP_1) | instskip(SKIP_1) | instid1(VALU_DEP_2)
	v_subrev_nc_u32_e32 v6, 28, v1
	v_sub_nc_u32_e32 v1, 29, v1
	v_lshlrev_b64 v[35:36], v6, v[33:34]
; %bb.1432:                             ;   in Loop: Header=BB356_16 Depth=1
	s_or_b32 exec_lo, exec_lo, s24
	v_lshlrev_b32_e32 v6, 8, v33
	s_delay_alu instid0(VALU_DEP_3) | instskip(NEXT) | instid1(VALU_DEP_3)
	v_lshl_add_u32 v1, v1, 10, 0x2000
	v_lshlrev_b32_e32 v7, 7, v35
	s_delay_alu instid0(VALU_DEP_2) | instskip(NEXT) | instid1(VALU_DEP_1)
	v_and_or_b32 v1, 0x8000, v6, v1
	v_and_or_b32 v1, 0x380, v7, v1
	s_delay_alu instid0(VALU_DEP_1)
	v_cvt_f32_f16_e32 v95, v1
.LBB356_1433:                           ;   in Loop: Header=BB356_16 Depth=1
	s_or_b32 exec_lo, exec_lo, s23
.LBB356_1434:                           ;   in Loop: Header=BB356_16 Depth=1
	s_delay_alu instid0(SALU_CYCLE_1)
	s_or_b32 exec_lo, exec_lo, s22
.LBB356_1435:                           ;   in Loop: Header=BB356_16 Depth=1
	s_delay_alu instid0(SALU_CYCLE_1) | instskip(SKIP_2) | instid1(VALU_DEP_1)
	s_or_b32 exec_lo, exec_lo, s21
	v_lshrrev_b16 v1, 8, v33
	s_mov_b32 s21, exec_lo
	v_cmpx_ne_u16_e32 0, v1
	s_cbranch_execz .LBB356_1443
; %bb.1436:                             ;   in Loop: Header=BB356_16 Depth=1
	v_bfrev_b32_e32 v180, 1
	s_mov_b32 s22, exec_lo
	v_cmpx_ne_u16_e32 0x80, v1
	s_cbranch_execz .LBB356_1442
; %bb.1437:                             ;   in Loop: Header=BB356_16 Depth=1
	v_and_b32_e32 v1, 0xffff, v1
	v_mov_b32_e32 v180, 0x7fc02000
	s_mov_b32 s23, exec_lo
	s_delay_alu instid0(VALU_DEP_2) | instskip(NEXT) | instid1(VALU_DEP_1)
	v_and_b32_e32 v14, 0x7f, v1
	v_cmpx_ne_u32_e32 0x7f, v14
	s_cbranch_execz .LBB356_1441
; %bb.1438:                             ;   in Loop: Header=BB356_16 Depth=1
	v_and_b32_e32 v7, 7, v1
	v_mov_b32_e32 v36, v8
	v_lshrrev_b32_e32 v6, 3, v14
	s_mov_b32 s24, exec_lo
	s_delay_alu instid0(VALU_DEP_3)
	v_mov_b32_e32 v35, v7
	v_cmpx_gt_u32_e32 8, v14
; %bb.1439:                             ;   in Loop: Header=BB356_16 Depth=1
	v_clz_i32_u32_e32 v6, v7
	s_delay_alu instid0(VALU_DEP_1) | instskip(NEXT) | instid1(VALU_DEP_1)
	v_min_u32_e32 v6, 32, v6
	v_subrev_nc_u32_e32 v14, 28, v6
	v_sub_nc_u32_e32 v6, 29, v6
	s_delay_alu instid0(VALU_DEP_2) | instskip(NEXT) | instid1(VALU_DEP_1)
	v_lshlrev_b64 v[14:15], v14, v[7:8]
	v_and_b32_e32 v35, 7, v14
; %bb.1440:                             ;   in Loop: Header=BB356_16 Depth=1
	s_or_b32 exec_lo, exec_lo, s24
	v_lshlrev_b32_e32 v1, 8, v1
	v_lshl_add_u32 v6, v6, 10, 0x2000
	s_delay_alu instid0(VALU_DEP_1) | instskip(NEXT) | instid1(VALU_DEP_1)
	v_and_or_b32 v1, 0x8000, v1, v6
	v_lshl_or_b32 v1, v35, 7, v1
	s_delay_alu instid0(VALU_DEP_1)
	v_cvt_f32_f16_e64 v180, v1
.LBB356_1441:                           ;   in Loop: Header=BB356_16 Depth=1
	s_or_b32 exec_lo, exec_lo, s23
.LBB356_1442:                           ;   in Loop: Header=BB356_16 Depth=1
	s_delay_alu instid0(SALU_CYCLE_1)
	s_or_b32 exec_lo, exec_lo, s22
.LBB356_1443:                           ;   in Loop: Header=BB356_16 Depth=1
	s_delay_alu instid0(SALU_CYCLE_1) | instskip(SKIP_3) | instid1(VALU_DEP_2)
	s_or_b32 exec_lo, exec_lo, s21
	v_lshrrev_b32_e32 v1, 16, v33
	v_mov_b32_e32 v54, 0
	s_mov_b32 s21, exec_lo
	v_dual_mov_b32 v43, 0 :: v_dual_and_b32 v6, 0xff, v1
	s_delay_alu instid0(VALU_DEP_1)
	v_cmpx_ne_u16_e32 0, v6
	s_cbranch_execz .LBB356_1451
; %bb.1444:                             ;   in Loop: Header=BB356_16 Depth=1
	v_bfrev_b32_e32 v54, 1
	s_mov_b32 s22, exec_lo
	v_cmpx_ne_u16_e32 0x80, v6
	s_cbranch_execz .LBB356_1450
; %bb.1445:                             ;   in Loop: Header=BB356_16 Depth=1
	v_bfe_u32 v14, v33, 16, 7
	v_mov_b32_e32 v54, 0x7fc02000
	s_mov_b32 s23, exec_lo
	s_delay_alu instid0(VALU_DEP_2)
	v_cmpx_ne_u32_e32 0x7f, v14
	s_cbranch_execz .LBB356_1449
; %bb.1446:                             ;   in Loop: Header=BB356_16 Depth=1
	v_and_b32_e32 v7, 7, v1
	v_mov_b32_e32 v36, v8
	v_lshrrev_b32_e32 v6, 3, v14
	s_mov_b32 s24, exec_lo
	s_delay_alu instid0(VALU_DEP_3)
	v_mov_b32_e32 v35, v7
	v_cmpx_gt_u32_e32 8, v14
; %bb.1447:                             ;   in Loop: Header=BB356_16 Depth=1
	v_clz_i32_u32_e32 v6, v7
	s_delay_alu instid0(VALU_DEP_1) | instskip(NEXT) | instid1(VALU_DEP_1)
	v_min_u32_e32 v6, 32, v6
	v_subrev_nc_u32_e32 v14, 28, v6
	v_sub_nc_u32_e32 v6, 29, v6
	s_delay_alu instid0(VALU_DEP_2) | instskip(NEXT) | instid1(VALU_DEP_1)
	v_lshlrev_b64 v[14:15], v14, v[7:8]
	v_and_b32_e32 v35, 7, v14
; %bb.1448:                             ;   in Loop: Header=BB356_16 Depth=1
	s_or_b32 exec_lo, exec_lo, s24
	v_lshlrev_b32_e32 v1, 8, v1
	v_lshl_add_u32 v6, v6, 10, 0x2000
	s_delay_alu instid0(VALU_DEP_1) | instskip(NEXT) | instid1(VALU_DEP_1)
	v_and_or_b32 v1, 0x8000, v1, v6
	v_lshl_or_b32 v1, v35, 7, v1
	s_delay_alu instid0(VALU_DEP_1)
	v_cvt_f32_f16_e32 v54, v1
.LBB356_1449:                           ;   in Loop: Header=BB356_16 Depth=1
	s_or_b32 exec_lo, exec_lo, s23
.LBB356_1450:                           ;   in Loop: Header=BB356_16 Depth=1
	s_delay_alu instid0(SALU_CYCLE_1)
	s_or_b32 exec_lo, exec_lo, s22
.LBB356_1451:                           ;   in Loop: Header=BB356_16 Depth=1
	s_delay_alu instid0(SALU_CYCLE_1) | instskip(NEXT) | instid1(SALU_CYCLE_1)
	s_or_b32 exec_lo, exec_lo, s21
	s_mov_b32 s21, exec_lo
	v_cmpx_lt_u32_e32 0xffffff, v33
	s_cbranch_execz .LBB356_1459
; %bb.1452:                             ;   in Loop: Header=BB356_16 Depth=1
	v_lshrrev_b32_e32 v1, 24, v33
	v_bfrev_b32_e32 v43, 1
	s_mov_b32 s22, exec_lo
	s_delay_alu instid0(VALU_DEP_2)
	v_cmpx_ne_u32_e32 0x80, v1
	s_cbranch_execz .LBB356_1458
; %bb.1453:                             ;   in Loop: Header=BB356_16 Depth=1
	v_and_b32_e32 v14, 0x7f, v1
	v_mov_b32_e32 v43, 0x7fc02000
	s_mov_b32 s23, exec_lo
	s_delay_alu instid0(VALU_DEP_2)
	v_cmpx_ne_u32_e32 0x7f, v14
	s_cbranch_execz .LBB356_1457
; %bb.1454:                             ;   in Loop: Header=BB356_16 Depth=1
	v_and_b32_e32 v7, 7, v1
	v_mov_b32_e32 v36, v8
	v_lshrrev_b32_e32 v6, 3, v14
	s_mov_b32 s24, exec_lo
	s_delay_alu instid0(VALU_DEP_3)
	v_mov_b32_e32 v35, v7
	v_cmpx_gt_u32_e32 8, v14
; %bb.1455:                             ;   in Loop: Header=BB356_16 Depth=1
	v_clz_i32_u32_e32 v6, v7
	s_delay_alu instid0(VALU_DEP_1) | instskip(NEXT) | instid1(VALU_DEP_1)
	v_min_u32_e32 v6, 32, v6
	v_subrev_nc_u32_e32 v14, 28, v6
	v_sub_nc_u32_e32 v6, 29, v6
	s_delay_alu instid0(VALU_DEP_2) | instskip(NEXT) | instid1(VALU_DEP_1)
	v_lshlrev_b64 v[14:15], v14, v[7:8]
	v_and_b32_e32 v35, 7, v14
; %bb.1456:                             ;   in Loop: Header=BB356_16 Depth=1
	s_or_b32 exec_lo, exec_lo, s24
	v_lshlrev_b32_e32 v1, 8, v1
	v_lshl_add_u32 v6, v6, 10, 0x2000
	s_delay_alu instid0(VALU_DEP_1) | instskip(NEXT) | instid1(VALU_DEP_1)
	v_and_or_b32 v1, 0x8000, v1, v6
	v_lshl_or_b32 v1, v35, 7, v1
	s_delay_alu instid0(VALU_DEP_1)
	v_cvt_f32_f16_e32 v43, v1
.LBB356_1457:                           ;   in Loop: Header=BB356_16 Depth=1
	s_or_b32 exec_lo, exec_lo, s23
.LBB356_1458:                           ;   in Loop: Header=BB356_16 Depth=1
	s_delay_alu instid0(SALU_CYCLE_1)
	s_or_b32 exec_lo, exec_lo, s22
.LBB356_1459:                           ;   in Loop: Header=BB356_16 Depth=1
	s_delay_alu instid0(SALU_CYCLE_1) | instskip(SKIP_4) | instid1(VALU_DEP_3)
	s_or_b32 exec_lo, exec_lo, s21
	v_dual_mov_b32 v60, 0 :: v_dual_and_b32 v1, 0xff, v34
	v_mov_b32_e32 v7, v34
	v_mov_b32_e32 v59, 0
	s_mov_b32 s21, exec_lo
	v_cmpx_ne_u16_e32 0, v1
	s_cbranch_execz .LBB356_1467
; %bb.1460:                             ;   in Loop: Header=BB356_16 Depth=1
	v_bfrev_b32_e32 v59, 1
	s_mov_b32 s22, exec_lo
	v_cmpx_ne_u16_e32 0x80, v1
	s_cbranch_execz .LBB356_1466
; %bb.1461:                             ;   in Loop: Header=BB356_16 Depth=1
	v_and_b32_e32 v6, 0x7f, v34
	v_mov_b32_e32 v59, 0x7fc02000
	s_mov_b32 s23, exec_lo
	s_delay_alu instid0(VALU_DEP_2)
	v_cmpx_ne_u32_e32 0x7f, v6
	s_cbranch_execz .LBB356_1465
; %bb.1462:                             ;   in Loop: Header=BB356_16 Depth=1
	v_dual_mov_b32 v36, v8 :: v_dual_mov_b32 v35, v7
	v_lshrrev_b32_e32 v1, 3, v6
	s_mov_b32 s24, exec_lo
	v_cmpx_gt_u32_e32 8, v6
; %bb.1463:                             ;   in Loop: Header=BB356_16 Depth=1
	v_and_b32_e32 v1, 7, v34
	s_delay_alu instid0(VALU_DEP_1) | instskip(NEXT) | instid1(VALU_DEP_1)
	v_clz_i32_u32_e32 v1, v1
	v_min_u32_e32 v1, 32, v1
	s_delay_alu instid0(VALU_DEP_1) | instskip(SKIP_1) | instid1(VALU_DEP_2)
	v_subrev_nc_u32_e32 v6, 28, v1
	v_sub_nc_u32_e32 v1, 29, v1
	v_lshlrev_b64 v[35:36], v6, v[7:8]
; %bb.1464:                             ;   in Loop: Header=BB356_16 Depth=1
	s_or_b32 exec_lo, exec_lo, s24
	v_lshlrev_b32_e32 v6, 8, v34
	s_delay_alu instid0(VALU_DEP_3) | instskip(NEXT) | instid1(VALU_DEP_3)
	v_lshl_add_u32 v1, v1, 10, 0x2000
	v_lshlrev_b32_e32 v14, 7, v35
	s_delay_alu instid0(VALU_DEP_2) | instskip(NEXT) | instid1(VALU_DEP_1)
	v_and_or_b32 v1, 0x8000, v6, v1
	v_and_or_b32 v1, 0x380, v14, v1
	s_delay_alu instid0(VALU_DEP_1)
	v_cvt_f32_f16_e32 v59, v1
.LBB356_1465:                           ;   in Loop: Header=BB356_16 Depth=1
	s_or_b32 exec_lo, exec_lo, s23
.LBB356_1466:                           ;   in Loop: Header=BB356_16 Depth=1
	s_delay_alu instid0(SALU_CYCLE_1)
	s_or_b32 exec_lo, exec_lo, s22
.LBB356_1467:                           ;   in Loop: Header=BB356_16 Depth=1
	s_delay_alu instid0(SALU_CYCLE_1) | instskip(SKIP_2) | instid1(VALU_DEP_1)
	s_or_b32 exec_lo, exec_lo, s21
	v_lshrrev_b16 v1, 8, v7
	s_mov_b32 s21, exec_lo
	v_cmpx_ne_u16_e32 0, v1
	s_cbranch_execz .LBB356_1475
; %bb.1468:                             ;   in Loop: Header=BB356_16 Depth=1
	v_bfrev_b32_e32 v60, 1
	s_mov_b32 s22, exec_lo
	v_cmpx_ne_u16_e32 0x80, v1
	s_cbranch_execz .LBB356_1474
; %bb.1469:                             ;   in Loop: Header=BB356_16 Depth=1
	v_and_b32_e32 v1, 0xffff, v1
	v_mov_b32_e32 v60, 0x7fc02000
	s_mov_b32 s23, exec_lo
	s_delay_alu instid0(VALU_DEP_2) | instskip(NEXT) | instid1(VALU_DEP_1)
	v_and_b32_e32 v14, 0x7f, v1
	v_cmpx_ne_u32_e32 0x7f, v14
	s_cbranch_execz .LBB356_1473
; %bb.1470:                             ;   in Loop: Header=BB356_16 Depth=1
	v_and_b32_e32 v7, 7, v1
	v_mov_b32_e32 v36, v8
	v_lshrrev_b32_e32 v6, 3, v14
	s_mov_b32 s24, exec_lo
	s_delay_alu instid0(VALU_DEP_3)
	v_mov_b32_e32 v35, v7
	v_cmpx_gt_u32_e32 8, v14
; %bb.1471:                             ;   in Loop: Header=BB356_16 Depth=1
	v_clz_i32_u32_e32 v6, v7
	s_delay_alu instid0(VALU_DEP_1) | instskip(NEXT) | instid1(VALU_DEP_1)
	v_min_u32_e32 v6, 32, v6
	v_subrev_nc_u32_e32 v14, 28, v6
	v_sub_nc_u32_e32 v6, 29, v6
	s_delay_alu instid0(VALU_DEP_2) | instskip(NEXT) | instid1(VALU_DEP_1)
	v_lshlrev_b64 v[14:15], v14, v[7:8]
	v_and_b32_e32 v35, 7, v14
; %bb.1472:                             ;   in Loop: Header=BB356_16 Depth=1
	s_or_b32 exec_lo, exec_lo, s24
	v_lshlrev_b32_e32 v1, 8, v1
	v_lshl_add_u32 v6, v6, 10, 0x2000
	s_delay_alu instid0(VALU_DEP_1) | instskip(NEXT) | instid1(VALU_DEP_1)
	v_and_or_b32 v1, 0x8000, v1, v6
	v_lshl_or_b32 v1, v35, 7, v1
	s_delay_alu instid0(VALU_DEP_1)
	v_cvt_f32_f16_e32 v60, v1
.LBB356_1473:                           ;   in Loop: Header=BB356_16 Depth=1
	s_or_b32 exec_lo, exec_lo, s23
.LBB356_1474:                           ;   in Loop: Header=BB356_16 Depth=1
	s_delay_alu instid0(SALU_CYCLE_1)
	s_or_b32 exec_lo, exec_lo, s22
.LBB356_1475:                           ;   in Loop: Header=BB356_16 Depth=1
	s_delay_alu instid0(SALU_CYCLE_1) | instskip(SKIP_3) | instid1(VALU_DEP_2)
	s_or_b32 exec_lo, exec_lo, s21
	v_lshrrev_b32_e32 v1, 16, v34
	v_mov_b32_e32 v72, 0
	s_mov_b32 s21, exec_lo
	v_dual_mov_b32 v63, 0 :: v_dual_and_b32 v6, 0xff, v1
	s_delay_alu instid0(VALU_DEP_1)
	v_cmpx_ne_u16_e32 0, v6
	s_cbranch_execz .LBB356_1483
; %bb.1476:                             ;   in Loop: Header=BB356_16 Depth=1
	v_bfrev_b32_e32 v72, 1
	s_mov_b32 s22, exec_lo
	v_cmpx_ne_u16_e32 0x80, v6
	s_cbranch_execz .LBB356_1482
; %bb.1477:                             ;   in Loop: Header=BB356_16 Depth=1
	v_bfe_u32 v14, v34, 16, 7
	v_mov_b32_e32 v72, 0x7fc02000
	s_mov_b32 s23, exec_lo
	s_delay_alu instid0(VALU_DEP_2)
	v_cmpx_ne_u32_e32 0x7f, v14
	s_cbranch_execz .LBB356_1481
; %bb.1478:                             ;   in Loop: Header=BB356_16 Depth=1
	v_and_b32_e32 v7, 7, v1
	v_mov_b32_e32 v36, v8
	v_lshrrev_b32_e32 v6, 3, v14
	s_mov_b32 s24, exec_lo
	s_delay_alu instid0(VALU_DEP_3)
	v_mov_b32_e32 v35, v7
	v_cmpx_gt_u32_e32 8, v14
; %bb.1479:                             ;   in Loop: Header=BB356_16 Depth=1
	v_clz_i32_u32_e32 v6, v7
	s_delay_alu instid0(VALU_DEP_1) | instskip(NEXT) | instid1(VALU_DEP_1)
	v_min_u32_e32 v6, 32, v6
	v_subrev_nc_u32_e32 v14, 28, v6
	v_sub_nc_u32_e32 v6, 29, v6
	s_delay_alu instid0(VALU_DEP_2) | instskip(NEXT) | instid1(VALU_DEP_1)
	v_lshlrev_b64 v[14:15], v14, v[7:8]
	v_and_b32_e32 v35, 7, v14
; %bb.1480:                             ;   in Loop: Header=BB356_16 Depth=1
	s_or_b32 exec_lo, exec_lo, s24
	v_lshlrev_b32_e32 v1, 8, v1
	v_lshl_add_u32 v6, v6, 10, 0x2000
	s_delay_alu instid0(VALU_DEP_1) | instskip(NEXT) | instid1(VALU_DEP_1)
	v_and_or_b32 v1, 0x8000, v1, v6
	v_lshl_or_b32 v1, v35, 7, v1
	s_delay_alu instid0(VALU_DEP_1)
	v_cvt_f32_f16_e32 v72, v1
.LBB356_1481:                           ;   in Loop: Header=BB356_16 Depth=1
	s_or_b32 exec_lo, exec_lo, s23
.LBB356_1482:                           ;   in Loop: Header=BB356_16 Depth=1
	s_delay_alu instid0(SALU_CYCLE_1)
	s_or_b32 exec_lo, exec_lo, s22
.LBB356_1483:                           ;   in Loop: Header=BB356_16 Depth=1
	s_delay_alu instid0(SALU_CYCLE_1) | instskip(NEXT) | instid1(SALU_CYCLE_1)
	s_or_b32 exec_lo, exec_lo, s21
	s_mov_b32 s21, exec_lo
	v_cmpx_lt_u64_e64 s[8:9], v[33:34]
	s_cbranch_execz .LBB356_1491
; %bb.1484:                             ;   in Loop: Header=BB356_16 Depth=1
	v_lshrrev_b32_e32 v1, 24, v34
	v_bfrev_b32_e32 v63, 1
	s_mov_b32 s22, exec_lo
	s_delay_alu instid0(VALU_DEP_2)
	v_cmpx_ne_u32_e32 0x80, v1
	s_cbranch_execz .LBB356_1490
; %bb.1485:                             ;   in Loop: Header=BB356_16 Depth=1
	v_and_b32_e32 v14, 0x7f, v1
	v_mov_b32_e32 v63, 0x7fc02000
	s_mov_b32 s23, exec_lo
	s_delay_alu instid0(VALU_DEP_2)
	v_cmpx_ne_u32_e32 0x7f, v14
	s_cbranch_execz .LBB356_1489
; %bb.1486:                             ;   in Loop: Header=BB356_16 Depth=1
	v_and_b32_e32 v7, 7, v1
	v_mov_b32_e32 v34, v8
	v_lshrrev_b32_e32 v6, 3, v14
	s_mov_b32 s24, exec_lo
	s_delay_alu instid0(VALU_DEP_3)
	v_mov_b32_e32 v33, v7
	v_cmpx_gt_u32_e32 8, v14
; %bb.1487:                             ;   in Loop: Header=BB356_16 Depth=1
	v_clz_i32_u32_e32 v6, v7
	s_delay_alu instid0(VALU_DEP_1) | instskip(NEXT) | instid1(VALU_DEP_1)
	v_min_u32_e32 v6, 32, v6
	v_subrev_nc_u32_e32 v14, 28, v6
	v_sub_nc_u32_e32 v6, 29, v6
	s_delay_alu instid0(VALU_DEP_2) | instskip(NEXT) | instid1(VALU_DEP_1)
	v_lshlrev_b64 v[14:15], v14, v[7:8]
	v_and_b32_e32 v33, 7, v14
; %bb.1488:                             ;   in Loop: Header=BB356_16 Depth=1
	s_or_b32 exec_lo, exec_lo, s24
	v_lshlrev_b32_e32 v1, 8, v1
	v_lshl_add_u32 v6, v6, 10, 0x2000
	s_delay_alu instid0(VALU_DEP_1) | instskip(NEXT) | instid1(VALU_DEP_1)
	v_and_or_b32 v1, 0x8000, v1, v6
	v_lshl_or_b32 v1, v33, 7, v1
	s_delay_alu instid0(VALU_DEP_1)
	v_cvt_f32_f16_e32 v63, v1
.LBB356_1489:                           ;   in Loop: Header=BB356_16 Depth=1
	s_or_b32 exec_lo, exec_lo, s23
.LBB356_1490:                           ;   in Loop: Header=BB356_16 Depth=1
	s_delay_alu instid0(SALU_CYCLE_1)
	s_or_b32 exec_lo, exec_lo, s22
.LBB356_1491:                           ;   in Loop: Header=BB356_16 Depth=1
	s_delay_alu instid0(SALU_CYCLE_1)
	s_or_b32 exec_lo, exec_lo, s21
	flat_load_b64 v[33:34], v[31:32] offset:1544
	v_mov_b32_e32 v41, 0
	s_mov_b32 s21, exec_lo
	s_waitcnt vmcnt(0) lgkmcnt(0)
	v_dual_mov_b32 v42, 0 :: v_dual_and_b32 v1, 0xff, v33
	s_delay_alu instid0(VALU_DEP_1)
	v_cmpx_ne_u16_e32 0, v1
	s_cbranch_execz .LBB356_1499
; %bb.1492:                             ;   in Loop: Header=BB356_16 Depth=1
	v_bfrev_b32_e32 v41, 1
	s_mov_b32 s22, exec_lo
	v_cmpx_ne_u16_e32 0x80, v1
	s_cbranch_execz .LBB356_1498
; %bb.1493:                             ;   in Loop: Header=BB356_16 Depth=1
	v_and_b32_e32 v6, 0x7f, v33
	v_mov_b32_e32 v41, 0x7fc02000
	s_mov_b32 s23, exec_lo
	s_delay_alu instid0(VALU_DEP_2)
	v_cmpx_ne_u32_e32 0x7f, v6
	s_cbranch_execz .LBB356_1497
; %bb.1494:                             ;   in Loop: Header=BB356_16 Depth=1
	v_lshrrev_b32_e32 v1, 3, v6
	v_dual_mov_b32 v36, v34 :: v_dual_mov_b32 v35, v33
	s_mov_b32 s24, exec_lo
	v_cmpx_gt_u32_e32 8, v6
; %bb.1495:                             ;   in Loop: Header=BB356_16 Depth=1
	v_and_b32_e32 v1, 7, v33
	s_delay_alu instid0(VALU_DEP_1) | instskip(NEXT) | instid1(VALU_DEP_1)
	v_clz_i32_u32_e32 v1, v1
	v_min_u32_e32 v1, 32, v1
	s_delay_alu instid0(VALU_DEP_1) | instskip(SKIP_1) | instid1(VALU_DEP_2)
	v_subrev_nc_u32_e32 v6, 28, v1
	v_sub_nc_u32_e32 v1, 29, v1
	v_lshlrev_b64 v[35:36], v6, v[33:34]
; %bb.1496:                             ;   in Loop: Header=BB356_16 Depth=1
	s_or_b32 exec_lo, exec_lo, s24
	v_lshlrev_b32_e32 v6, 8, v33
	s_delay_alu instid0(VALU_DEP_3) | instskip(NEXT) | instid1(VALU_DEP_3)
	v_lshl_add_u32 v1, v1, 10, 0x2000
	v_lshlrev_b32_e32 v7, 7, v35
	s_delay_alu instid0(VALU_DEP_2) | instskip(NEXT) | instid1(VALU_DEP_1)
	v_and_or_b32 v1, 0x8000, v6, v1
	v_and_or_b32 v1, 0x380, v7, v1
	s_delay_alu instid0(VALU_DEP_1)
	v_cvt_f32_f16_e32 v41, v1
.LBB356_1497:                           ;   in Loop: Header=BB356_16 Depth=1
	s_or_b32 exec_lo, exec_lo, s23
.LBB356_1498:                           ;   in Loop: Header=BB356_16 Depth=1
	s_delay_alu instid0(SALU_CYCLE_1)
	s_or_b32 exec_lo, exec_lo, s22
.LBB356_1499:                           ;   in Loop: Header=BB356_16 Depth=1
	s_delay_alu instid0(SALU_CYCLE_1) | instskip(SKIP_2) | instid1(VALU_DEP_1)
	s_or_b32 exec_lo, exec_lo, s21
	v_lshrrev_b16 v1, 8, v33
	s_mov_b32 s21, exec_lo
	v_cmpx_ne_u16_e32 0, v1
	s_cbranch_execz .LBB356_1507
; %bb.1500:                             ;   in Loop: Header=BB356_16 Depth=1
	v_bfrev_b32_e32 v42, 1
	s_mov_b32 s22, exec_lo
	v_cmpx_ne_u16_e32 0x80, v1
	s_cbranch_execz .LBB356_1506
; %bb.1501:                             ;   in Loop: Header=BB356_16 Depth=1
	v_and_b32_e32 v1, 0xffff, v1
	v_mov_b32_e32 v42, 0x7fc02000
	s_mov_b32 s23, exec_lo
	s_delay_alu instid0(VALU_DEP_2) | instskip(NEXT) | instid1(VALU_DEP_1)
	v_and_b32_e32 v14, 0x7f, v1
	v_cmpx_ne_u32_e32 0x7f, v14
	s_cbranch_execz .LBB356_1505
; %bb.1502:                             ;   in Loop: Header=BB356_16 Depth=1
	v_and_b32_e32 v7, 7, v1
	v_mov_b32_e32 v36, v8
	v_lshrrev_b32_e32 v6, 3, v14
	s_mov_b32 s24, exec_lo
	s_delay_alu instid0(VALU_DEP_3)
	v_mov_b32_e32 v35, v7
	v_cmpx_gt_u32_e32 8, v14
; %bb.1503:                             ;   in Loop: Header=BB356_16 Depth=1
	v_clz_i32_u32_e32 v6, v7
	s_delay_alu instid0(VALU_DEP_1) | instskip(NEXT) | instid1(VALU_DEP_1)
	v_min_u32_e32 v6, 32, v6
	v_subrev_nc_u32_e32 v14, 28, v6
	v_sub_nc_u32_e32 v6, 29, v6
	s_delay_alu instid0(VALU_DEP_2) | instskip(NEXT) | instid1(VALU_DEP_1)
	v_lshlrev_b64 v[14:15], v14, v[7:8]
	v_and_b32_e32 v35, 7, v14
; %bb.1504:                             ;   in Loop: Header=BB356_16 Depth=1
	s_or_b32 exec_lo, exec_lo, s24
	v_lshlrev_b32_e32 v1, 8, v1
	v_lshl_add_u32 v6, v6, 10, 0x2000
	s_delay_alu instid0(VALU_DEP_1) | instskip(NEXT) | instid1(VALU_DEP_1)
	v_and_or_b32 v1, 0x8000, v1, v6
	v_lshl_or_b32 v1, v35, 7, v1
	s_delay_alu instid0(VALU_DEP_1)
	v_cvt_f32_f16_e32 v42, v1
.LBB356_1505:                           ;   in Loop: Header=BB356_16 Depth=1
	s_or_b32 exec_lo, exec_lo, s23
.LBB356_1506:                           ;   in Loop: Header=BB356_16 Depth=1
	s_delay_alu instid0(SALU_CYCLE_1)
	s_or_b32 exec_lo, exec_lo, s22
.LBB356_1507:                           ;   in Loop: Header=BB356_16 Depth=1
	s_delay_alu instid0(SALU_CYCLE_1) | instskip(SKIP_3) | instid1(VALU_DEP_2)
	s_or_b32 exec_lo, exec_lo, s21
	v_lshrrev_b32_e32 v1, 16, v33
	v_mov_b32_e32 v46, 0
	s_mov_b32 s21, exec_lo
	v_dual_mov_b32 v45, 0 :: v_dual_and_b32 v6, 0xff, v1
	s_delay_alu instid0(VALU_DEP_1)
	v_cmpx_ne_u16_e32 0, v6
	s_cbranch_execz .LBB356_1515
; %bb.1508:                             ;   in Loop: Header=BB356_16 Depth=1
	v_bfrev_b32_e32 v45, 1
	s_mov_b32 s22, exec_lo
	v_cmpx_ne_u16_e32 0x80, v6
	s_cbranch_execz .LBB356_1514
; %bb.1509:                             ;   in Loop: Header=BB356_16 Depth=1
	v_bfe_u32 v14, v33, 16, 7
	v_mov_b32_e32 v45, 0x7fc02000
	s_mov_b32 s23, exec_lo
	s_delay_alu instid0(VALU_DEP_2)
	v_cmpx_ne_u32_e32 0x7f, v14
	s_cbranch_execz .LBB356_1513
; %bb.1510:                             ;   in Loop: Header=BB356_16 Depth=1
	v_and_b32_e32 v7, 7, v1
	v_mov_b32_e32 v36, v8
	v_lshrrev_b32_e32 v6, 3, v14
	s_mov_b32 s24, exec_lo
	s_delay_alu instid0(VALU_DEP_3)
	v_mov_b32_e32 v35, v7
	v_cmpx_gt_u32_e32 8, v14
; %bb.1511:                             ;   in Loop: Header=BB356_16 Depth=1
	v_clz_i32_u32_e32 v6, v7
	s_delay_alu instid0(VALU_DEP_1) | instskip(NEXT) | instid1(VALU_DEP_1)
	v_min_u32_e32 v6, 32, v6
	v_subrev_nc_u32_e32 v14, 28, v6
	v_sub_nc_u32_e32 v6, 29, v6
	s_delay_alu instid0(VALU_DEP_2) | instskip(NEXT) | instid1(VALU_DEP_1)
	v_lshlrev_b64 v[14:15], v14, v[7:8]
	v_and_b32_e32 v35, 7, v14
; %bb.1512:                             ;   in Loop: Header=BB356_16 Depth=1
	s_or_b32 exec_lo, exec_lo, s24
	v_lshlrev_b32_e32 v1, 8, v1
	v_lshl_add_u32 v6, v6, 10, 0x2000
	s_delay_alu instid0(VALU_DEP_1) | instskip(NEXT) | instid1(VALU_DEP_1)
	v_and_or_b32 v1, 0x8000, v1, v6
	v_lshl_or_b32 v1, v35, 7, v1
	s_delay_alu instid0(VALU_DEP_1)
	v_cvt_f32_f16_e32 v45, v1
.LBB356_1513:                           ;   in Loop: Header=BB356_16 Depth=1
	s_or_b32 exec_lo, exec_lo, s23
.LBB356_1514:                           ;   in Loop: Header=BB356_16 Depth=1
	s_delay_alu instid0(SALU_CYCLE_1)
	s_or_b32 exec_lo, exec_lo, s22
.LBB356_1515:                           ;   in Loop: Header=BB356_16 Depth=1
	s_delay_alu instid0(SALU_CYCLE_1) | instskip(NEXT) | instid1(SALU_CYCLE_1)
	s_or_b32 exec_lo, exec_lo, s21
	s_mov_b32 s21, exec_lo
	v_cmpx_lt_u32_e32 0xffffff, v33
	s_cbranch_execz .LBB356_1523
; %bb.1516:                             ;   in Loop: Header=BB356_16 Depth=1
	v_lshrrev_b32_e32 v1, 24, v33
	v_bfrev_b32_e32 v46, 1
	s_mov_b32 s22, exec_lo
	s_delay_alu instid0(VALU_DEP_2)
	v_cmpx_ne_u32_e32 0x80, v1
	s_cbranch_execz .LBB356_1522
; %bb.1517:                             ;   in Loop: Header=BB356_16 Depth=1
	v_and_b32_e32 v14, 0x7f, v1
	v_mov_b32_e32 v46, 0x7fc02000
	s_mov_b32 s23, exec_lo
	s_delay_alu instid0(VALU_DEP_2)
	v_cmpx_ne_u32_e32 0x7f, v14
	s_cbranch_execz .LBB356_1521
; %bb.1518:                             ;   in Loop: Header=BB356_16 Depth=1
	v_and_b32_e32 v7, 7, v1
	v_mov_b32_e32 v36, v8
	v_lshrrev_b32_e32 v6, 3, v14
	s_mov_b32 s24, exec_lo
	s_delay_alu instid0(VALU_DEP_3)
	v_mov_b32_e32 v35, v7
	v_cmpx_gt_u32_e32 8, v14
; %bb.1519:                             ;   in Loop: Header=BB356_16 Depth=1
	v_clz_i32_u32_e32 v6, v7
	s_delay_alu instid0(VALU_DEP_1) | instskip(NEXT) | instid1(VALU_DEP_1)
	v_min_u32_e32 v6, 32, v6
	v_subrev_nc_u32_e32 v14, 28, v6
	v_sub_nc_u32_e32 v6, 29, v6
	s_delay_alu instid0(VALU_DEP_2) | instskip(NEXT) | instid1(VALU_DEP_1)
	v_lshlrev_b64 v[14:15], v14, v[7:8]
	v_and_b32_e32 v35, 7, v14
; %bb.1520:                             ;   in Loop: Header=BB356_16 Depth=1
	s_or_b32 exec_lo, exec_lo, s24
	v_lshlrev_b32_e32 v1, 8, v1
	v_lshl_add_u32 v6, v6, 10, 0x2000
	s_delay_alu instid0(VALU_DEP_1) | instskip(NEXT) | instid1(VALU_DEP_1)
	v_and_or_b32 v1, 0x8000, v1, v6
	v_lshl_or_b32 v1, v35, 7, v1
	s_delay_alu instid0(VALU_DEP_1)
	v_cvt_f32_f16_e32 v46, v1
.LBB356_1521:                           ;   in Loop: Header=BB356_16 Depth=1
	s_or_b32 exec_lo, exec_lo, s23
.LBB356_1522:                           ;   in Loop: Header=BB356_16 Depth=1
	s_delay_alu instid0(SALU_CYCLE_1)
	s_or_b32 exec_lo, exec_lo, s22
.LBB356_1523:                           ;   in Loop: Header=BB356_16 Depth=1
	s_delay_alu instid0(SALU_CYCLE_1) | instskip(SKIP_4) | instid1(VALU_DEP_3)
	s_or_b32 exec_lo, exec_lo, s21
	v_dual_mov_b32 v62, 0 :: v_dual_and_b32 v1, 0xff, v34
	v_mov_b32_e32 v7, v34
	v_mov_b32_e32 v61, 0
	s_mov_b32 s21, exec_lo
	v_cmpx_ne_u16_e32 0, v1
	s_cbranch_execz .LBB356_1531
; %bb.1524:                             ;   in Loop: Header=BB356_16 Depth=1
	v_bfrev_b32_e32 v61, 1
	s_mov_b32 s22, exec_lo
	v_cmpx_ne_u16_e32 0x80, v1
	s_cbranch_execz .LBB356_1530
; %bb.1525:                             ;   in Loop: Header=BB356_16 Depth=1
	v_and_b32_e32 v6, 0x7f, v34
	v_mov_b32_e32 v61, 0x7fc02000
	s_mov_b32 s23, exec_lo
	s_delay_alu instid0(VALU_DEP_2)
	v_cmpx_ne_u32_e32 0x7f, v6
	s_cbranch_execz .LBB356_1529
; %bb.1526:                             ;   in Loop: Header=BB356_16 Depth=1
	v_dual_mov_b32 v36, v8 :: v_dual_mov_b32 v35, v7
	v_lshrrev_b32_e32 v1, 3, v6
	s_mov_b32 s24, exec_lo
	v_cmpx_gt_u32_e32 8, v6
; %bb.1527:                             ;   in Loop: Header=BB356_16 Depth=1
	v_and_b32_e32 v1, 7, v34
	s_delay_alu instid0(VALU_DEP_1) | instskip(NEXT) | instid1(VALU_DEP_1)
	v_clz_i32_u32_e32 v1, v1
	v_min_u32_e32 v1, 32, v1
	s_delay_alu instid0(VALU_DEP_1) | instskip(SKIP_1) | instid1(VALU_DEP_2)
	v_subrev_nc_u32_e32 v6, 28, v1
	v_sub_nc_u32_e32 v1, 29, v1
	v_lshlrev_b64 v[35:36], v6, v[7:8]
; %bb.1528:                             ;   in Loop: Header=BB356_16 Depth=1
	s_or_b32 exec_lo, exec_lo, s24
	v_lshlrev_b32_e32 v6, 8, v34
	s_delay_alu instid0(VALU_DEP_3) | instskip(NEXT) | instid1(VALU_DEP_3)
	v_lshl_add_u32 v1, v1, 10, 0x2000
	v_lshlrev_b32_e32 v14, 7, v35
	s_delay_alu instid0(VALU_DEP_2) | instskip(NEXT) | instid1(VALU_DEP_1)
	v_and_or_b32 v1, 0x8000, v6, v1
	v_and_or_b32 v1, 0x380, v14, v1
	s_delay_alu instid0(VALU_DEP_1)
	v_cvt_f32_f16_e32 v61, v1
.LBB356_1529:                           ;   in Loop: Header=BB356_16 Depth=1
	s_or_b32 exec_lo, exec_lo, s23
.LBB356_1530:                           ;   in Loop: Header=BB356_16 Depth=1
	s_delay_alu instid0(SALU_CYCLE_1)
	s_or_b32 exec_lo, exec_lo, s22
.LBB356_1531:                           ;   in Loop: Header=BB356_16 Depth=1
	s_delay_alu instid0(SALU_CYCLE_1) | instskip(SKIP_2) | instid1(VALU_DEP_1)
	s_or_b32 exec_lo, exec_lo, s21
	v_lshrrev_b16 v1, 8, v7
	s_mov_b32 s21, exec_lo
	v_cmpx_ne_u16_e32 0, v1
	s_cbranch_execz .LBB356_1539
; %bb.1532:                             ;   in Loop: Header=BB356_16 Depth=1
	v_bfrev_b32_e32 v62, 1
	s_mov_b32 s22, exec_lo
	v_cmpx_ne_u16_e32 0x80, v1
	s_cbranch_execz .LBB356_1538
; %bb.1533:                             ;   in Loop: Header=BB356_16 Depth=1
	v_and_b32_e32 v1, 0xffff, v1
	v_mov_b32_e32 v62, 0x7fc02000
	s_mov_b32 s23, exec_lo
	s_delay_alu instid0(VALU_DEP_2) | instskip(NEXT) | instid1(VALU_DEP_1)
	v_and_b32_e32 v14, 0x7f, v1
	v_cmpx_ne_u32_e32 0x7f, v14
	s_cbranch_execz .LBB356_1537
; %bb.1534:                             ;   in Loop: Header=BB356_16 Depth=1
	v_and_b32_e32 v7, 7, v1
	v_mov_b32_e32 v36, v8
	v_lshrrev_b32_e32 v6, 3, v14
	s_mov_b32 s24, exec_lo
	s_delay_alu instid0(VALU_DEP_3)
	v_mov_b32_e32 v35, v7
	v_cmpx_gt_u32_e32 8, v14
; %bb.1535:                             ;   in Loop: Header=BB356_16 Depth=1
	v_clz_i32_u32_e32 v6, v7
	s_delay_alu instid0(VALU_DEP_1) | instskip(NEXT) | instid1(VALU_DEP_1)
	v_min_u32_e32 v6, 32, v6
	v_subrev_nc_u32_e32 v14, 28, v6
	v_sub_nc_u32_e32 v6, 29, v6
	s_delay_alu instid0(VALU_DEP_2) | instskip(NEXT) | instid1(VALU_DEP_1)
	v_lshlrev_b64 v[14:15], v14, v[7:8]
	v_and_b32_e32 v35, 7, v14
; %bb.1536:                             ;   in Loop: Header=BB356_16 Depth=1
	s_or_b32 exec_lo, exec_lo, s24
	v_lshlrev_b32_e32 v1, 8, v1
	v_lshl_add_u32 v6, v6, 10, 0x2000
	s_delay_alu instid0(VALU_DEP_1) | instskip(NEXT) | instid1(VALU_DEP_1)
	v_and_or_b32 v1, 0x8000, v1, v6
	v_lshl_or_b32 v1, v35, 7, v1
	s_delay_alu instid0(VALU_DEP_1)
	v_cvt_f32_f16_e32 v62, v1
.LBB356_1537:                           ;   in Loop: Header=BB356_16 Depth=1
	s_or_b32 exec_lo, exec_lo, s23
.LBB356_1538:                           ;   in Loop: Header=BB356_16 Depth=1
	s_delay_alu instid0(SALU_CYCLE_1)
	s_or_b32 exec_lo, exec_lo, s22
.LBB356_1539:                           ;   in Loop: Header=BB356_16 Depth=1
	s_delay_alu instid0(SALU_CYCLE_1) | instskip(SKIP_3) | instid1(VALU_DEP_2)
	s_or_b32 exec_lo, exec_lo, s21
	v_lshrrev_b32_e32 v1, 16, v34
	v_mov_b32_e32 v74, 0
	s_mov_b32 s21, exec_lo
	v_dual_mov_b32 v73, 0 :: v_dual_and_b32 v6, 0xff, v1
	s_delay_alu instid0(VALU_DEP_1)
	v_cmpx_ne_u16_e32 0, v6
	s_cbranch_execz .LBB356_1547
; %bb.1540:                             ;   in Loop: Header=BB356_16 Depth=1
	v_bfrev_b32_e32 v74, 1
	s_mov_b32 s22, exec_lo
	v_cmpx_ne_u16_e32 0x80, v6
	s_cbranch_execz .LBB356_1546
; %bb.1541:                             ;   in Loop: Header=BB356_16 Depth=1
	v_bfe_u32 v14, v34, 16, 7
	v_mov_b32_e32 v74, 0x7fc02000
	s_mov_b32 s23, exec_lo
	s_delay_alu instid0(VALU_DEP_2)
	v_cmpx_ne_u32_e32 0x7f, v14
	s_cbranch_execz .LBB356_1545
; %bb.1542:                             ;   in Loop: Header=BB356_16 Depth=1
	v_and_b32_e32 v7, 7, v1
	v_mov_b32_e32 v36, v8
	v_lshrrev_b32_e32 v6, 3, v14
	s_mov_b32 s24, exec_lo
	s_delay_alu instid0(VALU_DEP_3)
	v_mov_b32_e32 v35, v7
	v_cmpx_gt_u32_e32 8, v14
; %bb.1543:                             ;   in Loop: Header=BB356_16 Depth=1
	v_clz_i32_u32_e32 v6, v7
	s_delay_alu instid0(VALU_DEP_1) | instskip(NEXT) | instid1(VALU_DEP_1)
	v_min_u32_e32 v6, 32, v6
	v_subrev_nc_u32_e32 v14, 28, v6
	v_sub_nc_u32_e32 v6, 29, v6
	s_delay_alu instid0(VALU_DEP_2) | instskip(NEXT) | instid1(VALU_DEP_1)
	v_lshlrev_b64 v[14:15], v14, v[7:8]
	v_and_b32_e32 v35, 7, v14
; %bb.1544:                             ;   in Loop: Header=BB356_16 Depth=1
	s_or_b32 exec_lo, exec_lo, s24
	v_lshlrev_b32_e32 v1, 8, v1
	v_lshl_add_u32 v6, v6, 10, 0x2000
	s_delay_alu instid0(VALU_DEP_1) | instskip(NEXT) | instid1(VALU_DEP_1)
	v_and_or_b32 v1, 0x8000, v1, v6
	v_lshl_or_b32 v1, v35, 7, v1
	s_delay_alu instid0(VALU_DEP_1)
	v_cvt_f32_f16_e32 v74, v1
.LBB356_1545:                           ;   in Loop: Header=BB356_16 Depth=1
	s_or_b32 exec_lo, exec_lo, s23
.LBB356_1546:                           ;   in Loop: Header=BB356_16 Depth=1
	s_delay_alu instid0(SALU_CYCLE_1)
	s_or_b32 exec_lo, exec_lo, s22
.LBB356_1547:                           ;   in Loop: Header=BB356_16 Depth=1
	s_delay_alu instid0(SALU_CYCLE_1) | instskip(NEXT) | instid1(SALU_CYCLE_1)
	s_or_b32 exec_lo, exec_lo, s21
	s_mov_b32 s21, exec_lo
	v_cmpx_lt_u64_e64 s[8:9], v[33:34]
	s_cbranch_execz .LBB356_1555
; %bb.1548:                             ;   in Loop: Header=BB356_16 Depth=1
	v_lshrrev_b32_e32 v1, 24, v34
	v_bfrev_b32_e32 v73, 1
	s_mov_b32 s22, exec_lo
	s_delay_alu instid0(VALU_DEP_2)
	v_cmpx_ne_u32_e32 0x80, v1
	s_cbranch_execz .LBB356_1554
; %bb.1549:                             ;   in Loop: Header=BB356_16 Depth=1
	v_and_b32_e32 v14, 0x7f, v1
	v_mov_b32_e32 v73, 0x7fc02000
	s_mov_b32 s23, exec_lo
	s_delay_alu instid0(VALU_DEP_2)
	v_cmpx_ne_u32_e32 0x7f, v14
	s_cbranch_execz .LBB356_1553
; %bb.1550:                             ;   in Loop: Header=BB356_16 Depth=1
	v_and_b32_e32 v7, 7, v1
	v_mov_b32_e32 v34, v8
	v_lshrrev_b32_e32 v6, 3, v14
	s_mov_b32 s24, exec_lo
	s_delay_alu instid0(VALU_DEP_3)
	v_mov_b32_e32 v33, v7
	v_cmpx_gt_u32_e32 8, v14
; %bb.1551:                             ;   in Loop: Header=BB356_16 Depth=1
	v_clz_i32_u32_e32 v6, v7
	s_delay_alu instid0(VALU_DEP_1) | instskip(NEXT) | instid1(VALU_DEP_1)
	v_min_u32_e32 v6, 32, v6
	v_subrev_nc_u32_e32 v14, 28, v6
	v_sub_nc_u32_e32 v6, 29, v6
	s_delay_alu instid0(VALU_DEP_2) | instskip(NEXT) | instid1(VALU_DEP_1)
	v_lshlrev_b64 v[14:15], v14, v[7:8]
	v_and_b32_e32 v33, 7, v14
; %bb.1552:                             ;   in Loop: Header=BB356_16 Depth=1
	s_or_b32 exec_lo, exec_lo, s24
	v_lshlrev_b32_e32 v1, 8, v1
	v_lshl_add_u32 v6, v6, 10, 0x2000
	s_delay_alu instid0(VALU_DEP_1) | instskip(NEXT) | instid1(VALU_DEP_1)
	v_and_or_b32 v1, 0x8000, v1, v6
	v_lshl_or_b32 v1, v33, 7, v1
	s_delay_alu instid0(VALU_DEP_1)
	v_cvt_f32_f16_e32 v73, v1
.LBB356_1553:                           ;   in Loop: Header=BB356_16 Depth=1
	s_or_b32 exec_lo, exec_lo, s23
.LBB356_1554:                           ;   in Loop: Header=BB356_16 Depth=1
	s_delay_alu instid0(SALU_CYCLE_1)
	s_or_b32 exec_lo, exec_lo, s22
.LBB356_1555:                           ;   in Loop: Header=BB356_16 Depth=1
	s_delay_alu instid0(SALU_CYCLE_1)
	s_or_b32 exec_lo, exec_lo, s21
	flat_load_b64 v[33:34], v[31:32] offset:2048
	v_mov_b32_e32 v177, 0
	s_mov_b32 s21, exec_lo
	s_waitcnt vmcnt(0) lgkmcnt(0)
	v_dual_mov_b32 v176, 0 :: v_dual_and_b32 v1, 0xff, v33
	s_delay_alu instid0(VALU_DEP_1)
	v_cmpx_ne_u16_e32 0, v1
	s_cbranch_execz .LBB356_1563
; %bb.1556:                             ;   in Loop: Header=BB356_16 Depth=1
	v_bfrev_b32_e32 v176, 1
	s_mov_b32 s22, exec_lo
	v_cmpx_ne_u16_e32 0x80, v1
	s_cbranch_execz .LBB356_1562
; %bb.1557:                             ;   in Loop: Header=BB356_16 Depth=1
	v_and_b32_e32 v6, 0x7f, v33
	v_mov_b32_e32 v176, 0x7fc02000
	s_mov_b32 s23, exec_lo
	s_delay_alu instid0(VALU_DEP_2)
	v_cmpx_ne_u32_e32 0x7f, v6
	s_cbranch_execz .LBB356_1561
; %bb.1558:                             ;   in Loop: Header=BB356_16 Depth=1
	v_lshrrev_b32_e32 v1, 3, v6
	v_dual_mov_b32 v36, v34 :: v_dual_mov_b32 v35, v33
	s_mov_b32 s24, exec_lo
	v_cmpx_gt_u32_e32 8, v6
; %bb.1559:                             ;   in Loop: Header=BB356_16 Depth=1
	v_and_b32_e32 v1, 7, v33
	s_delay_alu instid0(VALU_DEP_1) | instskip(NEXT) | instid1(VALU_DEP_1)
	v_clz_i32_u32_e32 v1, v1
	v_min_u32_e32 v1, 32, v1
	s_delay_alu instid0(VALU_DEP_1) | instskip(SKIP_1) | instid1(VALU_DEP_2)
	v_subrev_nc_u32_e32 v6, 28, v1
	v_sub_nc_u32_e32 v1, 29, v1
	v_lshlrev_b64 v[35:36], v6, v[33:34]
; %bb.1560:                             ;   in Loop: Header=BB356_16 Depth=1
	s_or_b32 exec_lo, exec_lo, s24
	v_lshlrev_b32_e32 v6, 8, v33
	s_delay_alu instid0(VALU_DEP_3) | instskip(NEXT) | instid1(VALU_DEP_3)
	v_lshl_add_u32 v1, v1, 10, 0x2000
	v_lshlrev_b32_e32 v7, 7, v35
	s_delay_alu instid0(VALU_DEP_2) | instskip(NEXT) | instid1(VALU_DEP_1)
	v_and_or_b32 v1, 0x8000, v6, v1
	v_and_or_b32 v1, 0x380, v7, v1
	s_delay_alu instid0(VALU_DEP_1)
	v_cvt_f32_f16_e64 v176, v1
.LBB356_1561:                           ;   in Loop: Header=BB356_16 Depth=1
	s_or_b32 exec_lo, exec_lo, s23
.LBB356_1562:                           ;   in Loop: Header=BB356_16 Depth=1
	s_delay_alu instid0(SALU_CYCLE_1)
	s_or_b32 exec_lo, exec_lo, s22
.LBB356_1563:                           ;   in Loop: Header=BB356_16 Depth=1
	s_delay_alu instid0(SALU_CYCLE_1) | instskip(SKIP_2) | instid1(VALU_DEP_1)
	s_or_b32 exec_lo, exec_lo, s21
	v_lshrrev_b16 v1, 8, v33
	s_mov_b32 s21, exec_lo
	v_cmpx_ne_u16_e32 0, v1
	s_cbranch_execz .LBB356_1571
; %bb.1564:                             ;   in Loop: Header=BB356_16 Depth=1
	v_bfrev_b32_e32 v177, 1
	s_mov_b32 s22, exec_lo
	v_cmpx_ne_u16_e32 0x80, v1
	s_cbranch_execz .LBB356_1570
; %bb.1565:                             ;   in Loop: Header=BB356_16 Depth=1
	v_and_b32_e32 v1, 0xffff, v1
	v_mov_b32_e32 v177, 0x7fc02000
	s_mov_b32 s23, exec_lo
	s_delay_alu instid0(VALU_DEP_2) | instskip(NEXT) | instid1(VALU_DEP_1)
	v_and_b32_e32 v14, 0x7f, v1
	v_cmpx_ne_u32_e32 0x7f, v14
	s_cbranch_execz .LBB356_1569
; %bb.1566:                             ;   in Loop: Header=BB356_16 Depth=1
	v_and_b32_e32 v7, 7, v1
	v_mov_b32_e32 v36, v8
	v_lshrrev_b32_e32 v6, 3, v14
	s_mov_b32 s24, exec_lo
	s_delay_alu instid0(VALU_DEP_3)
	v_mov_b32_e32 v35, v7
	v_cmpx_gt_u32_e32 8, v14
; %bb.1567:                             ;   in Loop: Header=BB356_16 Depth=1
	v_clz_i32_u32_e32 v6, v7
	s_delay_alu instid0(VALU_DEP_1) | instskip(NEXT) | instid1(VALU_DEP_1)
	v_min_u32_e32 v6, 32, v6
	v_subrev_nc_u32_e32 v14, 28, v6
	v_sub_nc_u32_e32 v6, 29, v6
	s_delay_alu instid0(VALU_DEP_2) | instskip(NEXT) | instid1(VALU_DEP_1)
	v_lshlrev_b64 v[14:15], v14, v[7:8]
	v_and_b32_e32 v35, 7, v14
; %bb.1568:                             ;   in Loop: Header=BB356_16 Depth=1
	s_or_b32 exec_lo, exec_lo, s24
	v_lshlrev_b32_e32 v1, 8, v1
	v_lshl_add_u32 v6, v6, 10, 0x2000
	s_delay_alu instid0(VALU_DEP_1) | instskip(NEXT) | instid1(VALU_DEP_1)
	v_and_or_b32 v1, 0x8000, v1, v6
	v_lshl_or_b32 v1, v35, 7, v1
	s_delay_alu instid0(VALU_DEP_1)
	v_cvt_f32_f16_e64 v177, v1
.LBB356_1569:                           ;   in Loop: Header=BB356_16 Depth=1
	s_or_b32 exec_lo, exec_lo, s23
.LBB356_1570:                           ;   in Loop: Header=BB356_16 Depth=1
	s_delay_alu instid0(SALU_CYCLE_1)
	s_or_b32 exec_lo, exec_lo, s22
.LBB356_1571:                           ;   in Loop: Header=BB356_16 Depth=1
	s_delay_alu instid0(SALU_CYCLE_1) | instskip(SKIP_4) | instid1(VALU_DEP_3)
	s_or_b32 exec_lo, exec_lo, s21
	v_lshrrev_b32_e32 v1, 16, v33
	v_mov_b32_e32 v178, 0
	v_mov_b32_e32 v68, 0
	s_mov_b32 s21, exec_lo
	v_and_b32_e32 v6, 0xff, v1
	s_delay_alu instid0(VALU_DEP_1)
	v_cmpx_ne_u16_e32 0, v6
	s_cbranch_execz .LBB356_1579
; %bb.1572:                             ;   in Loop: Header=BB356_16 Depth=1
	v_bfrev_b32_e32 v68, 1
	s_mov_b32 s22, exec_lo
	v_cmpx_ne_u16_e32 0x80, v6
	s_cbranch_execz .LBB356_1578
; %bb.1573:                             ;   in Loop: Header=BB356_16 Depth=1
	v_bfe_u32 v14, v33, 16, 7
	v_mov_b32_e32 v68, 0x7fc02000
	s_mov_b32 s23, exec_lo
	s_delay_alu instid0(VALU_DEP_2)
	v_cmpx_ne_u32_e32 0x7f, v14
	s_cbranch_execz .LBB356_1577
; %bb.1574:                             ;   in Loop: Header=BB356_16 Depth=1
	v_and_b32_e32 v7, 7, v1
	v_mov_b32_e32 v36, v8
	v_lshrrev_b32_e32 v6, 3, v14
	s_mov_b32 s24, exec_lo
	s_delay_alu instid0(VALU_DEP_3)
	v_mov_b32_e32 v35, v7
	v_cmpx_gt_u32_e32 8, v14
; %bb.1575:                             ;   in Loop: Header=BB356_16 Depth=1
	v_clz_i32_u32_e32 v6, v7
	s_delay_alu instid0(VALU_DEP_1) | instskip(NEXT) | instid1(VALU_DEP_1)
	v_min_u32_e32 v6, 32, v6
	v_subrev_nc_u32_e32 v14, 28, v6
	v_sub_nc_u32_e32 v6, 29, v6
	s_delay_alu instid0(VALU_DEP_2) | instskip(NEXT) | instid1(VALU_DEP_1)
	v_lshlrev_b64 v[14:15], v14, v[7:8]
	v_and_b32_e32 v35, 7, v14
; %bb.1576:                             ;   in Loop: Header=BB356_16 Depth=1
	s_or_b32 exec_lo, exec_lo, s24
	v_lshlrev_b32_e32 v1, 8, v1
	v_lshl_add_u32 v6, v6, 10, 0x2000
	s_delay_alu instid0(VALU_DEP_1) | instskip(NEXT) | instid1(VALU_DEP_1)
	v_and_or_b32 v1, 0x8000, v1, v6
	v_lshl_or_b32 v1, v35, 7, v1
	s_delay_alu instid0(VALU_DEP_1)
	v_cvt_f32_f16_e32 v68, v1
.LBB356_1577:                           ;   in Loop: Header=BB356_16 Depth=1
	s_or_b32 exec_lo, exec_lo, s23
.LBB356_1578:                           ;   in Loop: Header=BB356_16 Depth=1
	s_delay_alu instid0(SALU_CYCLE_1)
	s_or_b32 exec_lo, exec_lo, s22
.LBB356_1579:                           ;   in Loop: Header=BB356_16 Depth=1
	s_delay_alu instid0(SALU_CYCLE_1) | instskip(NEXT) | instid1(SALU_CYCLE_1)
	s_or_b32 exec_lo, exec_lo, s21
	s_mov_b32 s21, exec_lo
	v_cmpx_lt_u32_e32 0xffffff, v33
	s_cbranch_execz .LBB356_1587
; %bb.1580:                             ;   in Loop: Header=BB356_16 Depth=1
	v_lshrrev_b32_e32 v1, 24, v33
	v_bfrev_b32_e32 v178, 1
	s_mov_b32 s22, exec_lo
	s_delay_alu instid0(VALU_DEP_2)
	v_cmpx_ne_u32_e32 0x80, v1
	s_cbranch_execz .LBB356_1586
; %bb.1581:                             ;   in Loop: Header=BB356_16 Depth=1
	v_and_b32_e32 v14, 0x7f, v1
	v_mov_b32_e32 v178, 0x7fc02000
	s_mov_b32 s23, exec_lo
	s_delay_alu instid0(VALU_DEP_2)
	v_cmpx_ne_u32_e32 0x7f, v14
	s_cbranch_execz .LBB356_1585
; %bb.1582:                             ;   in Loop: Header=BB356_16 Depth=1
	v_and_b32_e32 v7, 7, v1
	v_mov_b32_e32 v36, v8
	v_lshrrev_b32_e32 v6, 3, v14
	s_mov_b32 s24, exec_lo
	s_delay_alu instid0(VALU_DEP_3)
	v_mov_b32_e32 v35, v7
	v_cmpx_gt_u32_e32 8, v14
; %bb.1583:                             ;   in Loop: Header=BB356_16 Depth=1
	v_clz_i32_u32_e32 v6, v7
	s_delay_alu instid0(VALU_DEP_1) | instskip(NEXT) | instid1(VALU_DEP_1)
	v_min_u32_e32 v6, 32, v6
	v_subrev_nc_u32_e32 v14, 28, v6
	v_sub_nc_u32_e32 v6, 29, v6
	s_delay_alu instid0(VALU_DEP_2) | instskip(NEXT) | instid1(VALU_DEP_1)
	v_lshlrev_b64 v[14:15], v14, v[7:8]
	v_and_b32_e32 v35, 7, v14
; %bb.1584:                             ;   in Loop: Header=BB356_16 Depth=1
	s_or_b32 exec_lo, exec_lo, s24
	v_lshlrev_b32_e32 v1, 8, v1
	v_lshl_add_u32 v6, v6, 10, 0x2000
	s_delay_alu instid0(VALU_DEP_1) | instskip(NEXT) | instid1(VALU_DEP_1)
	v_and_or_b32 v1, 0x8000, v1, v6
	v_lshl_or_b32 v1, v35, 7, v1
	s_delay_alu instid0(VALU_DEP_1)
	v_cvt_f32_f16_e64 v178, v1
.LBB356_1585:                           ;   in Loop: Header=BB356_16 Depth=1
	s_or_b32 exec_lo, exec_lo, s23
.LBB356_1586:                           ;   in Loop: Header=BB356_16 Depth=1
	s_delay_alu instid0(SALU_CYCLE_1)
	s_or_b32 exec_lo, exec_lo, s22
.LBB356_1587:                           ;   in Loop: Header=BB356_16 Depth=1
	s_delay_alu instid0(SALU_CYCLE_1)
	s_or_b32 exec_lo, exec_lo, s21
	v_and_b32_e32 v1, 0xff, v34
	v_mov_b32_e32 v7, v34
	v_mov_b32_e32 v47, 0
	;; [unrolled: 1-line block ×3, first 2 shown]
	s_mov_b32 s21, exec_lo
	v_cmpx_ne_u16_e32 0, v1
	s_cbranch_execz .LBB356_1595
; %bb.1588:                             ;   in Loop: Header=BB356_16 Depth=1
	v_bfrev_b32_e32 v179, 1
	s_mov_b32 s22, exec_lo
	v_cmpx_ne_u16_e32 0x80, v1
	s_cbranch_execz .LBB356_1594
; %bb.1589:                             ;   in Loop: Header=BB356_16 Depth=1
	v_and_b32_e32 v6, 0x7f, v34
	v_mov_b32_e32 v179, 0x7fc02000
	s_mov_b32 s23, exec_lo
	s_delay_alu instid0(VALU_DEP_2)
	v_cmpx_ne_u32_e32 0x7f, v6
	s_cbranch_execz .LBB356_1593
; %bb.1590:                             ;   in Loop: Header=BB356_16 Depth=1
	v_dual_mov_b32 v36, v8 :: v_dual_mov_b32 v35, v7
	v_lshrrev_b32_e32 v1, 3, v6
	s_mov_b32 s24, exec_lo
	v_cmpx_gt_u32_e32 8, v6
; %bb.1591:                             ;   in Loop: Header=BB356_16 Depth=1
	v_and_b32_e32 v1, 7, v34
	s_delay_alu instid0(VALU_DEP_1) | instskip(NEXT) | instid1(VALU_DEP_1)
	v_clz_i32_u32_e32 v1, v1
	v_min_u32_e32 v1, 32, v1
	s_delay_alu instid0(VALU_DEP_1) | instskip(SKIP_1) | instid1(VALU_DEP_2)
	v_subrev_nc_u32_e32 v6, 28, v1
	v_sub_nc_u32_e32 v1, 29, v1
	v_lshlrev_b64 v[35:36], v6, v[7:8]
; %bb.1592:                             ;   in Loop: Header=BB356_16 Depth=1
	s_or_b32 exec_lo, exec_lo, s24
	v_lshlrev_b32_e32 v6, 8, v34
	s_delay_alu instid0(VALU_DEP_3) | instskip(NEXT) | instid1(VALU_DEP_3)
	v_lshl_add_u32 v1, v1, 10, 0x2000
	v_lshlrev_b32_e32 v14, 7, v35
	s_delay_alu instid0(VALU_DEP_2) | instskip(NEXT) | instid1(VALU_DEP_1)
	v_and_or_b32 v1, 0x8000, v6, v1
	v_and_or_b32 v1, 0x380, v14, v1
	s_delay_alu instid0(VALU_DEP_1)
	v_cvt_f32_f16_e64 v179, v1
.LBB356_1593:                           ;   in Loop: Header=BB356_16 Depth=1
	s_or_b32 exec_lo, exec_lo, s23
.LBB356_1594:                           ;   in Loop: Header=BB356_16 Depth=1
	s_delay_alu instid0(SALU_CYCLE_1)
	s_or_b32 exec_lo, exec_lo, s22
.LBB356_1595:                           ;   in Loop: Header=BB356_16 Depth=1
	s_delay_alu instid0(SALU_CYCLE_1) | instskip(SKIP_2) | instid1(VALU_DEP_1)
	s_or_b32 exec_lo, exec_lo, s21
	v_lshrrev_b16 v1, 8, v7
	s_mov_b32 s21, exec_lo
	v_cmpx_ne_u16_e32 0, v1
	s_cbranch_execz .LBB356_1603
; %bb.1596:                             ;   in Loop: Header=BB356_16 Depth=1
	v_bfrev_b32_e32 v47, 1
	s_mov_b32 s22, exec_lo
	v_cmpx_ne_u16_e32 0x80, v1
	s_cbranch_execz .LBB356_1602
; %bb.1597:                             ;   in Loop: Header=BB356_16 Depth=1
	v_and_b32_e32 v1, 0xffff, v1
	v_mov_b32_e32 v47, 0x7fc02000
	s_mov_b32 s23, exec_lo
	s_delay_alu instid0(VALU_DEP_2) | instskip(NEXT) | instid1(VALU_DEP_1)
	v_and_b32_e32 v14, 0x7f, v1
	v_cmpx_ne_u32_e32 0x7f, v14
	s_cbranch_execz .LBB356_1601
; %bb.1598:                             ;   in Loop: Header=BB356_16 Depth=1
	v_and_b32_e32 v7, 7, v1
	v_mov_b32_e32 v36, v8
	v_lshrrev_b32_e32 v6, 3, v14
	s_mov_b32 s24, exec_lo
	s_delay_alu instid0(VALU_DEP_3)
	v_mov_b32_e32 v35, v7
	v_cmpx_gt_u32_e32 8, v14
; %bb.1599:                             ;   in Loop: Header=BB356_16 Depth=1
	v_clz_i32_u32_e32 v6, v7
	s_delay_alu instid0(VALU_DEP_1) | instskip(NEXT) | instid1(VALU_DEP_1)
	v_min_u32_e32 v6, 32, v6
	v_subrev_nc_u32_e32 v14, 28, v6
	v_sub_nc_u32_e32 v6, 29, v6
	s_delay_alu instid0(VALU_DEP_2) | instskip(NEXT) | instid1(VALU_DEP_1)
	v_lshlrev_b64 v[14:15], v14, v[7:8]
	v_and_b32_e32 v35, 7, v14
; %bb.1600:                             ;   in Loop: Header=BB356_16 Depth=1
	s_or_b32 exec_lo, exec_lo, s24
	v_lshlrev_b32_e32 v1, 8, v1
	v_lshl_add_u32 v6, v6, 10, 0x2000
	s_delay_alu instid0(VALU_DEP_1) | instskip(NEXT) | instid1(VALU_DEP_1)
	v_and_or_b32 v1, 0x8000, v1, v6
	v_lshl_or_b32 v1, v35, 7, v1
	s_delay_alu instid0(VALU_DEP_1)
	v_cvt_f32_f16_e32 v47, v1
.LBB356_1601:                           ;   in Loop: Header=BB356_16 Depth=1
	s_or_b32 exec_lo, exec_lo, s23
.LBB356_1602:                           ;   in Loop: Header=BB356_16 Depth=1
	s_delay_alu instid0(SALU_CYCLE_1)
	s_or_b32 exec_lo, exec_lo, s22
.LBB356_1603:                           ;   in Loop: Header=BB356_16 Depth=1
	s_delay_alu instid0(SALU_CYCLE_1) | instskip(SKIP_3) | instid1(VALU_DEP_2)
	s_or_b32 exec_lo, exec_lo, s21
	v_lshrrev_b32_e32 v1, 16, v34
	v_mov_b32_e32 v56, 0
	s_mov_b32 s21, exec_lo
	v_dual_mov_b32 v57, 0 :: v_dual_and_b32 v6, 0xff, v1
	s_delay_alu instid0(VALU_DEP_1)
	v_cmpx_ne_u16_e32 0, v6
	s_cbranch_execz .LBB356_1611
; %bb.1604:                             ;   in Loop: Header=BB356_16 Depth=1
	v_bfrev_b32_e32 v57, 1
	s_mov_b32 s22, exec_lo
	v_cmpx_ne_u16_e32 0x80, v6
	s_cbranch_execz .LBB356_1610
; %bb.1605:                             ;   in Loop: Header=BB356_16 Depth=1
	v_bfe_u32 v14, v34, 16, 7
	v_mov_b32_e32 v57, 0x7fc02000
	s_mov_b32 s23, exec_lo
	s_delay_alu instid0(VALU_DEP_2)
	v_cmpx_ne_u32_e32 0x7f, v14
	s_cbranch_execz .LBB356_1609
; %bb.1606:                             ;   in Loop: Header=BB356_16 Depth=1
	v_and_b32_e32 v7, 7, v1
	v_mov_b32_e32 v36, v8
	v_lshrrev_b32_e32 v6, 3, v14
	s_mov_b32 s24, exec_lo
	s_delay_alu instid0(VALU_DEP_3)
	v_mov_b32_e32 v35, v7
	v_cmpx_gt_u32_e32 8, v14
; %bb.1607:                             ;   in Loop: Header=BB356_16 Depth=1
	v_clz_i32_u32_e32 v6, v7
	s_delay_alu instid0(VALU_DEP_1) | instskip(NEXT) | instid1(VALU_DEP_1)
	v_min_u32_e32 v6, 32, v6
	v_subrev_nc_u32_e32 v14, 28, v6
	v_sub_nc_u32_e32 v6, 29, v6
	s_delay_alu instid0(VALU_DEP_2) | instskip(NEXT) | instid1(VALU_DEP_1)
	v_lshlrev_b64 v[14:15], v14, v[7:8]
	v_and_b32_e32 v35, 7, v14
; %bb.1608:                             ;   in Loop: Header=BB356_16 Depth=1
	s_or_b32 exec_lo, exec_lo, s24
	v_lshlrev_b32_e32 v1, 8, v1
	v_lshl_add_u32 v6, v6, 10, 0x2000
	s_delay_alu instid0(VALU_DEP_1) | instskip(NEXT) | instid1(VALU_DEP_1)
	v_and_or_b32 v1, 0x8000, v1, v6
	v_lshl_or_b32 v1, v35, 7, v1
	s_delay_alu instid0(VALU_DEP_1)
	v_cvt_f32_f16_e32 v57, v1
.LBB356_1609:                           ;   in Loop: Header=BB356_16 Depth=1
	s_or_b32 exec_lo, exec_lo, s23
.LBB356_1610:                           ;   in Loop: Header=BB356_16 Depth=1
	s_delay_alu instid0(SALU_CYCLE_1)
	s_or_b32 exec_lo, exec_lo, s22
.LBB356_1611:                           ;   in Loop: Header=BB356_16 Depth=1
	s_delay_alu instid0(SALU_CYCLE_1) | instskip(NEXT) | instid1(SALU_CYCLE_1)
	s_or_b32 exec_lo, exec_lo, s21
	s_mov_b32 s21, exec_lo
	v_cmpx_lt_u64_e64 s[8:9], v[33:34]
	s_cbranch_execz .LBB356_1619
; %bb.1612:                             ;   in Loop: Header=BB356_16 Depth=1
	v_lshrrev_b32_e32 v1, 24, v34
	v_bfrev_b32_e32 v56, 1
	s_mov_b32 s22, exec_lo
	s_delay_alu instid0(VALU_DEP_2)
	v_cmpx_ne_u32_e32 0x80, v1
	s_cbranch_execz .LBB356_1618
; %bb.1613:                             ;   in Loop: Header=BB356_16 Depth=1
	v_and_b32_e32 v14, 0x7f, v1
	v_mov_b32_e32 v56, 0x7fc02000
	s_mov_b32 s23, exec_lo
	s_delay_alu instid0(VALU_DEP_2)
	v_cmpx_ne_u32_e32 0x7f, v14
	s_cbranch_execz .LBB356_1617
; %bb.1614:                             ;   in Loop: Header=BB356_16 Depth=1
	v_and_b32_e32 v7, 7, v1
	v_mov_b32_e32 v34, v8
	v_lshrrev_b32_e32 v6, 3, v14
	s_mov_b32 s24, exec_lo
	s_delay_alu instid0(VALU_DEP_3)
	v_mov_b32_e32 v33, v7
	v_cmpx_gt_u32_e32 8, v14
; %bb.1615:                             ;   in Loop: Header=BB356_16 Depth=1
	v_clz_i32_u32_e32 v6, v7
	s_delay_alu instid0(VALU_DEP_1) | instskip(NEXT) | instid1(VALU_DEP_1)
	v_min_u32_e32 v6, 32, v6
	v_subrev_nc_u32_e32 v14, 28, v6
	v_sub_nc_u32_e32 v6, 29, v6
	s_delay_alu instid0(VALU_DEP_2) | instskip(NEXT) | instid1(VALU_DEP_1)
	v_lshlrev_b64 v[14:15], v14, v[7:8]
	v_and_b32_e32 v33, 7, v14
; %bb.1616:                             ;   in Loop: Header=BB356_16 Depth=1
	s_or_b32 exec_lo, exec_lo, s24
	v_lshlrev_b32_e32 v1, 8, v1
	v_lshl_add_u32 v6, v6, 10, 0x2000
	s_delay_alu instid0(VALU_DEP_1) | instskip(NEXT) | instid1(VALU_DEP_1)
	v_and_or_b32 v1, 0x8000, v1, v6
	v_lshl_or_b32 v1, v33, 7, v1
	s_delay_alu instid0(VALU_DEP_1)
	v_cvt_f32_f16_e32 v56, v1
.LBB356_1617:                           ;   in Loop: Header=BB356_16 Depth=1
	s_or_b32 exec_lo, exec_lo, s23
.LBB356_1618:                           ;   in Loop: Header=BB356_16 Depth=1
	s_delay_alu instid0(SALU_CYCLE_1)
	s_or_b32 exec_lo, exec_lo, s22
.LBB356_1619:                           ;   in Loop: Header=BB356_16 Depth=1
	s_delay_alu instid0(SALU_CYCLE_1)
	s_or_b32 exec_lo, exec_lo, s21
	flat_load_b64 v[33:34], v[31:32] offset:2056
	v_mov_b32_e32 v149, 0
	v_mov_b32_e32 v49, 0
	s_mov_b32 s21, exec_lo
	s_waitcnt vmcnt(0) lgkmcnt(0)
	v_and_b32_e32 v1, 0xff, v33
	s_delay_alu instid0(VALU_DEP_1)
	v_cmpx_ne_u16_e32 0, v1
	s_cbranch_execz .LBB356_1627
; %bb.1620:                             ;   in Loop: Header=BB356_16 Depth=1
	v_bfrev_b32_e32 v49, 1
	s_mov_b32 s22, exec_lo
	v_cmpx_ne_u16_e32 0x80, v1
	s_cbranch_execz .LBB356_1626
; %bb.1621:                             ;   in Loop: Header=BB356_16 Depth=1
	v_and_b32_e32 v6, 0x7f, v33
	v_mov_b32_e32 v49, 0x7fc02000
	s_mov_b32 s23, exec_lo
	s_delay_alu instid0(VALU_DEP_2)
	v_cmpx_ne_u32_e32 0x7f, v6
	s_cbranch_execz .LBB356_1625
; %bb.1622:                             ;   in Loop: Header=BB356_16 Depth=1
	v_lshrrev_b32_e32 v1, 3, v6
	v_dual_mov_b32 v36, v34 :: v_dual_mov_b32 v35, v33
	s_mov_b32 s24, exec_lo
	v_cmpx_gt_u32_e32 8, v6
; %bb.1623:                             ;   in Loop: Header=BB356_16 Depth=1
	v_and_b32_e32 v1, 7, v33
	s_delay_alu instid0(VALU_DEP_1) | instskip(NEXT) | instid1(VALU_DEP_1)
	v_clz_i32_u32_e32 v1, v1
	v_min_u32_e32 v1, 32, v1
	s_delay_alu instid0(VALU_DEP_1) | instskip(SKIP_1) | instid1(VALU_DEP_2)
	v_subrev_nc_u32_e32 v6, 28, v1
	v_sub_nc_u32_e32 v1, 29, v1
	v_lshlrev_b64 v[35:36], v6, v[33:34]
; %bb.1624:                             ;   in Loop: Header=BB356_16 Depth=1
	s_or_b32 exec_lo, exec_lo, s24
	v_lshlrev_b32_e32 v6, 8, v33
	s_delay_alu instid0(VALU_DEP_3) | instskip(NEXT) | instid1(VALU_DEP_3)
	v_lshl_add_u32 v1, v1, 10, 0x2000
	v_lshlrev_b32_e32 v7, 7, v35
	s_delay_alu instid0(VALU_DEP_2) | instskip(NEXT) | instid1(VALU_DEP_1)
	v_and_or_b32 v1, 0x8000, v6, v1
	v_and_or_b32 v1, 0x380, v7, v1
	s_delay_alu instid0(VALU_DEP_1)
	v_cvt_f32_f16_e32 v49, v1
.LBB356_1625:                           ;   in Loop: Header=BB356_16 Depth=1
	s_or_b32 exec_lo, exec_lo, s23
.LBB356_1626:                           ;   in Loop: Header=BB356_16 Depth=1
	s_delay_alu instid0(SALU_CYCLE_1)
	s_or_b32 exec_lo, exec_lo, s22
.LBB356_1627:                           ;   in Loop: Header=BB356_16 Depth=1
	s_delay_alu instid0(SALU_CYCLE_1) | instskip(SKIP_2) | instid1(VALU_DEP_1)
	s_or_b32 exec_lo, exec_lo, s21
	v_lshrrev_b16 v1, 8, v33
	s_mov_b32 s21, exec_lo
	v_cmpx_ne_u16_e32 0, v1
	s_cbranch_execz .LBB356_1635
; %bb.1628:                             ;   in Loop: Header=BB356_16 Depth=1
	v_bfrev_b32_e32 v149, 1
	s_mov_b32 s22, exec_lo
	v_cmpx_ne_u16_e32 0x80, v1
	s_cbranch_execz .LBB356_1634
; %bb.1629:                             ;   in Loop: Header=BB356_16 Depth=1
	v_and_b32_e32 v1, 0xffff, v1
	v_mov_b32_e32 v149, 0x7fc02000
	s_mov_b32 s23, exec_lo
	s_delay_alu instid0(VALU_DEP_2) | instskip(NEXT) | instid1(VALU_DEP_1)
	v_and_b32_e32 v14, 0x7f, v1
	v_cmpx_ne_u32_e32 0x7f, v14
	s_cbranch_execz .LBB356_1633
; %bb.1630:                             ;   in Loop: Header=BB356_16 Depth=1
	v_and_b32_e32 v7, 7, v1
	v_mov_b32_e32 v36, v8
	v_lshrrev_b32_e32 v6, 3, v14
	s_mov_b32 s24, exec_lo
	s_delay_alu instid0(VALU_DEP_3)
	v_mov_b32_e32 v35, v7
	v_cmpx_gt_u32_e32 8, v14
; %bb.1631:                             ;   in Loop: Header=BB356_16 Depth=1
	v_clz_i32_u32_e32 v6, v7
	s_delay_alu instid0(VALU_DEP_1) | instskip(NEXT) | instid1(VALU_DEP_1)
	v_min_u32_e32 v6, 32, v6
	v_subrev_nc_u32_e32 v14, 28, v6
	v_sub_nc_u32_e32 v6, 29, v6
	s_delay_alu instid0(VALU_DEP_2) | instskip(NEXT) | instid1(VALU_DEP_1)
	v_lshlrev_b64 v[14:15], v14, v[7:8]
	v_and_b32_e32 v35, 7, v14
; %bb.1632:                             ;   in Loop: Header=BB356_16 Depth=1
	s_or_b32 exec_lo, exec_lo, s24
	v_lshlrev_b32_e32 v1, 8, v1
	v_lshl_add_u32 v6, v6, 10, 0x2000
	s_delay_alu instid0(VALU_DEP_1) | instskip(NEXT) | instid1(VALU_DEP_1)
	v_and_or_b32 v1, 0x8000, v1, v6
	v_lshl_or_b32 v1, v35, 7, v1
	s_delay_alu instid0(VALU_DEP_1)
	v_cvt_f32_f16_e64 v149, v1
.LBB356_1633:                           ;   in Loop: Header=BB356_16 Depth=1
	s_or_b32 exec_lo, exec_lo, s23
.LBB356_1634:                           ;   in Loop: Header=BB356_16 Depth=1
	s_delay_alu instid0(SALU_CYCLE_1)
	s_or_b32 exec_lo, exec_lo, s22
.LBB356_1635:                           ;   in Loop: Header=BB356_16 Depth=1
	s_delay_alu instid0(SALU_CYCLE_1) | instskip(SKIP_3) | instid1(VALU_DEP_2)
	s_or_b32 exec_lo, exec_lo, s21
	v_lshrrev_b32_e32 v1, 16, v33
	v_mov_b32_e32 v160, 0
	s_mov_b32 s21, exec_lo
	v_dual_mov_b32 v161, 0 :: v_dual_and_b32 v6, 0xff, v1
	s_delay_alu instid0(VALU_DEP_1)
	v_cmpx_ne_u16_e32 0, v6
	s_cbranch_execz .LBB356_1643
; %bb.1636:                             ;   in Loop: Header=BB356_16 Depth=1
	v_bfrev_b32_e32 v160, 1
	s_mov_b32 s22, exec_lo
	v_cmpx_ne_u16_e32 0x80, v6
	s_cbranch_execz .LBB356_1642
; %bb.1637:                             ;   in Loop: Header=BB356_16 Depth=1
	v_bfe_u32 v14, v33, 16, 7
	v_mov_b32_e32 v160, 0x7fc02000
	s_mov_b32 s23, exec_lo
	s_delay_alu instid0(VALU_DEP_2)
	v_cmpx_ne_u32_e32 0x7f, v14
	s_cbranch_execz .LBB356_1641
; %bb.1638:                             ;   in Loop: Header=BB356_16 Depth=1
	v_and_b32_e32 v7, 7, v1
	v_mov_b32_e32 v36, v8
	v_lshrrev_b32_e32 v6, 3, v14
	s_mov_b32 s24, exec_lo
	s_delay_alu instid0(VALU_DEP_3)
	v_mov_b32_e32 v35, v7
	v_cmpx_gt_u32_e32 8, v14
; %bb.1639:                             ;   in Loop: Header=BB356_16 Depth=1
	v_clz_i32_u32_e32 v6, v7
	s_delay_alu instid0(VALU_DEP_1) | instskip(NEXT) | instid1(VALU_DEP_1)
	v_min_u32_e32 v6, 32, v6
	v_subrev_nc_u32_e32 v14, 28, v6
	v_sub_nc_u32_e32 v6, 29, v6
	s_delay_alu instid0(VALU_DEP_2) | instskip(NEXT) | instid1(VALU_DEP_1)
	v_lshlrev_b64 v[14:15], v14, v[7:8]
	v_and_b32_e32 v35, 7, v14
; %bb.1640:                             ;   in Loop: Header=BB356_16 Depth=1
	s_or_b32 exec_lo, exec_lo, s24
	v_lshlrev_b32_e32 v1, 8, v1
	v_lshl_add_u32 v6, v6, 10, 0x2000
	s_delay_alu instid0(VALU_DEP_1) | instskip(NEXT) | instid1(VALU_DEP_1)
	v_and_or_b32 v1, 0x8000, v1, v6
	v_lshl_or_b32 v1, v35, 7, v1
	s_delay_alu instid0(VALU_DEP_1)
	v_cvt_f32_f16_e64 v160, v1
.LBB356_1641:                           ;   in Loop: Header=BB356_16 Depth=1
	s_or_b32 exec_lo, exec_lo, s23
.LBB356_1642:                           ;   in Loop: Header=BB356_16 Depth=1
	s_delay_alu instid0(SALU_CYCLE_1)
	s_or_b32 exec_lo, exec_lo, s22
.LBB356_1643:                           ;   in Loop: Header=BB356_16 Depth=1
	s_delay_alu instid0(SALU_CYCLE_1) | instskip(NEXT) | instid1(SALU_CYCLE_1)
	s_or_b32 exec_lo, exec_lo, s21
	s_mov_b32 s21, exec_lo
	v_cmpx_lt_u32_e32 0xffffff, v33
	s_cbranch_execz .LBB356_1651
; %bb.1644:                             ;   in Loop: Header=BB356_16 Depth=1
	v_lshrrev_b32_e32 v1, 24, v33
	v_bfrev_b32_e32 v161, 1
	s_mov_b32 s22, exec_lo
	s_delay_alu instid0(VALU_DEP_2)
	v_cmpx_ne_u32_e32 0x80, v1
	s_cbranch_execz .LBB356_1650
; %bb.1645:                             ;   in Loop: Header=BB356_16 Depth=1
	v_and_b32_e32 v14, 0x7f, v1
	v_mov_b32_e32 v161, 0x7fc02000
	s_mov_b32 s23, exec_lo
	s_delay_alu instid0(VALU_DEP_2)
	v_cmpx_ne_u32_e32 0x7f, v14
	s_cbranch_execz .LBB356_1649
; %bb.1646:                             ;   in Loop: Header=BB356_16 Depth=1
	v_and_b32_e32 v7, 7, v1
	v_mov_b32_e32 v36, v8
	v_lshrrev_b32_e32 v6, 3, v14
	s_mov_b32 s24, exec_lo
	s_delay_alu instid0(VALU_DEP_3)
	v_mov_b32_e32 v35, v7
	v_cmpx_gt_u32_e32 8, v14
; %bb.1647:                             ;   in Loop: Header=BB356_16 Depth=1
	v_clz_i32_u32_e32 v6, v7
	s_delay_alu instid0(VALU_DEP_1) | instskip(NEXT) | instid1(VALU_DEP_1)
	v_min_u32_e32 v6, 32, v6
	v_subrev_nc_u32_e32 v14, 28, v6
	v_sub_nc_u32_e32 v6, 29, v6
	s_delay_alu instid0(VALU_DEP_2) | instskip(NEXT) | instid1(VALU_DEP_1)
	v_lshlrev_b64 v[14:15], v14, v[7:8]
	v_and_b32_e32 v35, 7, v14
; %bb.1648:                             ;   in Loop: Header=BB356_16 Depth=1
	s_or_b32 exec_lo, exec_lo, s24
	v_lshlrev_b32_e32 v1, 8, v1
	v_lshl_add_u32 v6, v6, 10, 0x2000
	s_delay_alu instid0(VALU_DEP_1) | instskip(NEXT) | instid1(VALU_DEP_1)
	v_and_or_b32 v1, 0x8000, v1, v6
	v_lshl_or_b32 v1, v35, 7, v1
	s_delay_alu instid0(VALU_DEP_1)
	v_cvt_f32_f16_e64 v161, v1
.LBB356_1649:                           ;   in Loop: Header=BB356_16 Depth=1
	s_or_b32 exec_lo, exec_lo, s23
.LBB356_1650:                           ;   in Loop: Header=BB356_16 Depth=1
	s_delay_alu instid0(SALU_CYCLE_1)
	s_or_b32 exec_lo, exec_lo, s22
.LBB356_1651:                           ;   in Loop: Header=BB356_16 Depth=1
	s_delay_alu instid0(SALU_CYCLE_1)
	s_or_b32 exec_lo, exec_lo, s21
	v_and_b32_e32 v1, 0xff, v34
	v_mov_b32_e32 v7, v34
	v_mov_b32_e32 v183, 0
	;; [unrolled: 1-line block ×3, first 2 shown]
	s_mov_b32 s21, exec_lo
	v_cmpx_ne_u16_e32 0, v1
	s_cbranch_execz .LBB356_1659
; %bb.1652:                             ;   in Loop: Header=BB356_16 Depth=1
	v_bfrev_b32_e32 v181, 1
	s_mov_b32 s22, exec_lo
	v_cmpx_ne_u16_e32 0x80, v1
	s_cbranch_execz .LBB356_1658
; %bb.1653:                             ;   in Loop: Header=BB356_16 Depth=1
	v_and_b32_e32 v6, 0x7f, v34
	v_mov_b32_e32 v181, 0x7fc02000
	s_mov_b32 s23, exec_lo
	s_delay_alu instid0(VALU_DEP_2)
	v_cmpx_ne_u32_e32 0x7f, v6
	s_cbranch_execz .LBB356_1657
; %bb.1654:                             ;   in Loop: Header=BB356_16 Depth=1
	v_dual_mov_b32 v36, v8 :: v_dual_mov_b32 v35, v7
	v_lshrrev_b32_e32 v1, 3, v6
	s_mov_b32 s24, exec_lo
	v_cmpx_gt_u32_e32 8, v6
; %bb.1655:                             ;   in Loop: Header=BB356_16 Depth=1
	v_and_b32_e32 v1, 7, v34
	s_delay_alu instid0(VALU_DEP_1) | instskip(NEXT) | instid1(VALU_DEP_1)
	v_clz_i32_u32_e32 v1, v1
	v_min_u32_e32 v1, 32, v1
	s_delay_alu instid0(VALU_DEP_1) | instskip(SKIP_1) | instid1(VALU_DEP_2)
	v_subrev_nc_u32_e32 v6, 28, v1
	v_sub_nc_u32_e32 v1, 29, v1
	v_lshlrev_b64 v[35:36], v6, v[7:8]
; %bb.1656:                             ;   in Loop: Header=BB356_16 Depth=1
	s_or_b32 exec_lo, exec_lo, s24
	v_lshlrev_b32_e32 v6, 8, v34
	s_delay_alu instid0(VALU_DEP_3) | instskip(NEXT) | instid1(VALU_DEP_3)
	v_lshl_add_u32 v1, v1, 10, 0x2000
	v_lshlrev_b32_e32 v14, 7, v35
	s_delay_alu instid0(VALU_DEP_2) | instskip(NEXT) | instid1(VALU_DEP_1)
	v_and_or_b32 v1, 0x8000, v6, v1
	v_and_or_b32 v1, 0x380, v14, v1
	s_delay_alu instid0(VALU_DEP_1)
	v_cvt_f32_f16_e64 v181, v1
.LBB356_1657:                           ;   in Loop: Header=BB356_16 Depth=1
	s_or_b32 exec_lo, exec_lo, s23
.LBB356_1658:                           ;   in Loop: Header=BB356_16 Depth=1
	s_delay_alu instid0(SALU_CYCLE_1)
	s_or_b32 exec_lo, exec_lo, s22
.LBB356_1659:                           ;   in Loop: Header=BB356_16 Depth=1
	s_delay_alu instid0(SALU_CYCLE_1) | instskip(SKIP_2) | instid1(VALU_DEP_1)
	s_or_b32 exec_lo, exec_lo, s21
	v_lshrrev_b16 v1, 8, v7
	s_mov_b32 s21, exec_lo
	v_cmpx_ne_u16_e32 0, v1
	s_cbranch_execz .LBB356_1667
; %bb.1660:                             ;   in Loop: Header=BB356_16 Depth=1
	v_bfrev_b32_e32 v183, 1
	s_mov_b32 s22, exec_lo
	v_cmpx_ne_u16_e32 0x80, v1
	s_cbranch_execz .LBB356_1666
; %bb.1661:                             ;   in Loop: Header=BB356_16 Depth=1
	v_and_b32_e32 v1, 0xffff, v1
	v_mov_b32_e32 v183, 0x7fc02000
	s_mov_b32 s23, exec_lo
	s_delay_alu instid0(VALU_DEP_2) | instskip(NEXT) | instid1(VALU_DEP_1)
	v_and_b32_e32 v14, 0x7f, v1
	v_cmpx_ne_u32_e32 0x7f, v14
	s_cbranch_execz .LBB356_1665
; %bb.1662:                             ;   in Loop: Header=BB356_16 Depth=1
	v_and_b32_e32 v7, 7, v1
	v_mov_b32_e32 v36, v8
	v_lshrrev_b32_e32 v6, 3, v14
	s_mov_b32 s24, exec_lo
	s_delay_alu instid0(VALU_DEP_3)
	v_mov_b32_e32 v35, v7
	v_cmpx_gt_u32_e32 8, v14
; %bb.1663:                             ;   in Loop: Header=BB356_16 Depth=1
	v_clz_i32_u32_e32 v6, v7
	s_delay_alu instid0(VALU_DEP_1) | instskip(NEXT) | instid1(VALU_DEP_1)
	v_min_u32_e32 v6, 32, v6
	v_subrev_nc_u32_e32 v14, 28, v6
	v_sub_nc_u32_e32 v6, 29, v6
	s_delay_alu instid0(VALU_DEP_2) | instskip(NEXT) | instid1(VALU_DEP_1)
	v_lshlrev_b64 v[14:15], v14, v[7:8]
	v_and_b32_e32 v35, 7, v14
; %bb.1664:                             ;   in Loop: Header=BB356_16 Depth=1
	s_or_b32 exec_lo, exec_lo, s24
	v_lshlrev_b32_e32 v1, 8, v1
	v_lshl_add_u32 v6, v6, 10, 0x2000
	s_delay_alu instid0(VALU_DEP_1) | instskip(NEXT) | instid1(VALU_DEP_1)
	v_and_or_b32 v1, 0x8000, v1, v6
	v_lshl_or_b32 v1, v35, 7, v1
	s_delay_alu instid0(VALU_DEP_1)
	v_cvt_f32_f16_e64 v183, v1
.LBB356_1665:                           ;   in Loop: Header=BB356_16 Depth=1
	s_or_b32 exec_lo, exec_lo, s23
.LBB356_1666:                           ;   in Loop: Header=BB356_16 Depth=1
	s_delay_alu instid0(SALU_CYCLE_1)
	s_or_b32 exec_lo, exec_lo, s22
.LBB356_1667:                           ;   in Loop: Header=BB356_16 Depth=1
	s_delay_alu instid0(SALU_CYCLE_1) | instskip(SKIP_4) | instid1(VALU_DEP_3)
	s_or_b32 exec_lo, exec_lo, s21
	v_lshrrev_b32_e32 v1, 16, v34
	v_mov_b32_e32 v40, 0
	v_mov_b32_e32 v58, 0
	s_mov_b32 s21, exec_lo
	v_and_b32_e32 v6, 0xff, v1
	s_delay_alu instid0(VALU_DEP_1)
	v_cmpx_ne_u16_e32 0, v6
	s_cbranch_execz .LBB356_1675
; %bb.1668:                             ;   in Loop: Header=BB356_16 Depth=1
	v_bfrev_b32_e32 v58, 1
	s_mov_b32 s22, exec_lo
	v_cmpx_ne_u16_e32 0x80, v6
	s_cbranch_execz .LBB356_1674
; %bb.1669:                             ;   in Loop: Header=BB356_16 Depth=1
	v_bfe_u32 v14, v34, 16, 7
	v_mov_b32_e32 v58, 0x7fc02000
	s_mov_b32 s23, exec_lo
	s_delay_alu instid0(VALU_DEP_2)
	v_cmpx_ne_u32_e32 0x7f, v14
	s_cbranch_execz .LBB356_1673
; %bb.1670:                             ;   in Loop: Header=BB356_16 Depth=1
	v_and_b32_e32 v7, 7, v1
	v_mov_b32_e32 v36, v8
	v_lshrrev_b32_e32 v6, 3, v14
	s_mov_b32 s24, exec_lo
	s_delay_alu instid0(VALU_DEP_3)
	v_mov_b32_e32 v35, v7
	v_cmpx_gt_u32_e32 8, v14
; %bb.1671:                             ;   in Loop: Header=BB356_16 Depth=1
	v_clz_i32_u32_e32 v6, v7
	s_delay_alu instid0(VALU_DEP_1) | instskip(NEXT) | instid1(VALU_DEP_1)
	v_min_u32_e32 v6, 32, v6
	v_subrev_nc_u32_e32 v14, 28, v6
	v_sub_nc_u32_e32 v6, 29, v6
	s_delay_alu instid0(VALU_DEP_2) | instskip(NEXT) | instid1(VALU_DEP_1)
	v_lshlrev_b64 v[14:15], v14, v[7:8]
	v_and_b32_e32 v35, 7, v14
; %bb.1672:                             ;   in Loop: Header=BB356_16 Depth=1
	s_or_b32 exec_lo, exec_lo, s24
	v_lshlrev_b32_e32 v1, 8, v1
	v_lshl_add_u32 v6, v6, 10, 0x2000
	s_delay_alu instid0(VALU_DEP_1) | instskip(NEXT) | instid1(VALU_DEP_1)
	v_and_or_b32 v1, 0x8000, v1, v6
	v_lshl_or_b32 v1, v35, 7, v1
	s_delay_alu instid0(VALU_DEP_1)
	v_cvt_f32_f16_e32 v58, v1
.LBB356_1673:                           ;   in Loop: Header=BB356_16 Depth=1
	s_or_b32 exec_lo, exec_lo, s23
.LBB356_1674:                           ;   in Loop: Header=BB356_16 Depth=1
	s_delay_alu instid0(SALU_CYCLE_1)
	s_or_b32 exec_lo, exec_lo, s22
.LBB356_1675:                           ;   in Loop: Header=BB356_16 Depth=1
	s_delay_alu instid0(SALU_CYCLE_1) | instskip(NEXT) | instid1(SALU_CYCLE_1)
	s_or_b32 exec_lo, exec_lo, s21
	s_mov_b32 s21, exec_lo
	v_cmpx_lt_u64_e64 s[8:9], v[33:34]
	s_cbranch_execz .LBB356_1683
; %bb.1676:                             ;   in Loop: Header=BB356_16 Depth=1
	v_lshrrev_b32_e32 v1, 24, v34
	v_bfrev_b32_e32 v40, 1
	s_mov_b32 s22, exec_lo
	s_delay_alu instid0(VALU_DEP_2)
	v_cmpx_ne_u32_e32 0x80, v1
	s_cbranch_execz .LBB356_1682
; %bb.1677:                             ;   in Loop: Header=BB356_16 Depth=1
	v_and_b32_e32 v14, 0x7f, v1
	v_mov_b32_e32 v40, 0x7fc02000
	s_mov_b32 s23, exec_lo
	s_delay_alu instid0(VALU_DEP_2)
	v_cmpx_ne_u32_e32 0x7f, v14
	s_cbranch_execz .LBB356_1681
; %bb.1678:                             ;   in Loop: Header=BB356_16 Depth=1
	v_and_b32_e32 v7, 7, v1
	v_mov_b32_e32 v34, v8
	v_lshrrev_b32_e32 v6, 3, v14
	s_mov_b32 s24, exec_lo
	s_delay_alu instid0(VALU_DEP_3)
	v_mov_b32_e32 v33, v7
	v_cmpx_gt_u32_e32 8, v14
; %bb.1679:                             ;   in Loop: Header=BB356_16 Depth=1
	v_clz_i32_u32_e32 v6, v7
	s_delay_alu instid0(VALU_DEP_1) | instskip(NEXT) | instid1(VALU_DEP_1)
	v_min_u32_e32 v6, 32, v6
	v_subrev_nc_u32_e32 v14, 28, v6
	v_sub_nc_u32_e32 v6, 29, v6
	s_delay_alu instid0(VALU_DEP_2) | instskip(NEXT) | instid1(VALU_DEP_1)
	v_lshlrev_b64 v[14:15], v14, v[7:8]
	v_and_b32_e32 v33, 7, v14
; %bb.1680:                             ;   in Loop: Header=BB356_16 Depth=1
	s_or_b32 exec_lo, exec_lo, s24
	v_lshlrev_b32_e32 v1, 8, v1
	v_lshl_add_u32 v6, v6, 10, 0x2000
	s_delay_alu instid0(VALU_DEP_1) | instskip(NEXT) | instid1(VALU_DEP_1)
	v_and_or_b32 v1, 0x8000, v1, v6
	v_lshl_or_b32 v1, v33, 7, v1
	s_delay_alu instid0(VALU_DEP_1)
	v_cvt_f32_f16_e32 v40, v1
.LBB356_1681:                           ;   in Loop: Header=BB356_16 Depth=1
	s_or_b32 exec_lo, exec_lo, s23
.LBB356_1682:                           ;   in Loop: Header=BB356_16 Depth=1
	s_delay_alu instid0(SALU_CYCLE_1)
	s_or_b32 exec_lo, exec_lo, s22
.LBB356_1683:                           ;   in Loop: Header=BB356_16 Depth=1
	s_delay_alu instid0(SALU_CYCLE_1)
	s_or_b32 exec_lo, exec_lo, s21
	flat_load_b64 v[33:34], v[31:32] offset:2560
	v_mov_b32_e32 v131, 0
	s_mov_b32 s21, exec_lo
	s_waitcnt vmcnt(0) lgkmcnt(0)
	v_dual_mov_b32 v132, 0 :: v_dual_and_b32 v1, 0xff, v33
	s_delay_alu instid0(VALU_DEP_1)
	v_cmpx_ne_u16_e32 0, v1
	s_cbranch_execz .LBB356_1691
; %bb.1684:                             ;   in Loop: Header=BB356_16 Depth=1
	v_bfrev_b32_e32 v131, 1
	s_mov_b32 s22, exec_lo
	v_cmpx_ne_u16_e32 0x80, v1
	s_cbranch_execz .LBB356_1690
; %bb.1685:                             ;   in Loop: Header=BB356_16 Depth=1
	v_and_b32_e32 v6, 0x7f, v33
	v_mov_b32_e32 v131, 0x7fc02000
	s_mov_b32 s23, exec_lo
	s_delay_alu instid0(VALU_DEP_2)
	v_cmpx_ne_u32_e32 0x7f, v6
	s_cbranch_execz .LBB356_1689
; %bb.1686:                             ;   in Loop: Header=BB356_16 Depth=1
	v_lshrrev_b32_e32 v1, 3, v6
	v_dual_mov_b32 v36, v34 :: v_dual_mov_b32 v35, v33
	s_mov_b32 s24, exec_lo
	v_cmpx_gt_u32_e32 8, v6
; %bb.1687:                             ;   in Loop: Header=BB356_16 Depth=1
	v_and_b32_e32 v1, 7, v33
	s_delay_alu instid0(VALU_DEP_1) | instskip(NEXT) | instid1(VALU_DEP_1)
	v_clz_i32_u32_e32 v1, v1
	v_min_u32_e32 v1, 32, v1
	s_delay_alu instid0(VALU_DEP_1) | instskip(SKIP_1) | instid1(VALU_DEP_2)
	v_subrev_nc_u32_e32 v6, 28, v1
	v_sub_nc_u32_e32 v1, 29, v1
	v_lshlrev_b64 v[35:36], v6, v[33:34]
; %bb.1688:                             ;   in Loop: Header=BB356_16 Depth=1
	s_or_b32 exec_lo, exec_lo, s24
	v_lshlrev_b32_e32 v6, 8, v33
	s_delay_alu instid0(VALU_DEP_3) | instskip(NEXT) | instid1(VALU_DEP_3)
	v_lshl_add_u32 v1, v1, 10, 0x2000
	v_lshlrev_b32_e32 v7, 7, v35
	s_delay_alu instid0(VALU_DEP_2) | instskip(NEXT) | instid1(VALU_DEP_1)
	v_and_or_b32 v1, 0x8000, v6, v1
	v_and_or_b32 v1, 0x380, v7, v1
	s_delay_alu instid0(VALU_DEP_1)
	v_cvt_f32_f16_e64 v131, v1
.LBB356_1689:                           ;   in Loop: Header=BB356_16 Depth=1
	s_or_b32 exec_lo, exec_lo, s23
.LBB356_1690:                           ;   in Loop: Header=BB356_16 Depth=1
	s_delay_alu instid0(SALU_CYCLE_1)
	s_or_b32 exec_lo, exec_lo, s22
.LBB356_1691:                           ;   in Loop: Header=BB356_16 Depth=1
	s_delay_alu instid0(SALU_CYCLE_1) | instskip(SKIP_2) | instid1(VALU_DEP_1)
	s_or_b32 exec_lo, exec_lo, s21
	v_lshrrev_b16 v1, 8, v33
	s_mov_b32 s21, exec_lo
	v_cmpx_ne_u16_e32 0, v1
	s_cbranch_execz .LBB356_1699
; %bb.1692:                             ;   in Loop: Header=BB356_16 Depth=1
	v_bfrev_b32_e32 v132, 1
	s_mov_b32 s22, exec_lo
	v_cmpx_ne_u16_e32 0x80, v1
	s_cbranch_execz .LBB356_1698
; %bb.1693:                             ;   in Loop: Header=BB356_16 Depth=1
	v_and_b32_e32 v1, 0xffff, v1
	v_mov_b32_e32 v132, 0x7fc02000
	s_mov_b32 s23, exec_lo
	s_delay_alu instid0(VALU_DEP_2) | instskip(NEXT) | instid1(VALU_DEP_1)
	v_and_b32_e32 v14, 0x7f, v1
	v_cmpx_ne_u32_e32 0x7f, v14
	s_cbranch_execz .LBB356_1697
; %bb.1694:                             ;   in Loop: Header=BB356_16 Depth=1
	v_and_b32_e32 v7, 7, v1
	v_mov_b32_e32 v36, v8
	v_lshrrev_b32_e32 v6, 3, v14
	s_mov_b32 s24, exec_lo
	s_delay_alu instid0(VALU_DEP_3)
	v_mov_b32_e32 v35, v7
	v_cmpx_gt_u32_e32 8, v14
; %bb.1695:                             ;   in Loop: Header=BB356_16 Depth=1
	v_clz_i32_u32_e32 v6, v7
	s_delay_alu instid0(VALU_DEP_1) | instskip(NEXT) | instid1(VALU_DEP_1)
	v_min_u32_e32 v6, 32, v6
	v_subrev_nc_u32_e32 v14, 28, v6
	v_sub_nc_u32_e32 v6, 29, v6
	s_delay_alu instid0(VALU_DEP_2) | instskip(NEXT) | instid1(VALU_DEP_1)
	v_lshlrev_b64 v[14:15], v14, v[7:8]
	v_and_b32_e32 v35, 7, v14
; %bb.1696:                             ;   in Loop: Header=BB356_16 Depth=1
	s_or_b32 exec_lo, exec_lo, s24
	v_lshlrev_b32_e32 v1, 8, v1
	v_lshl_add_u32 v6, v6, 10, 0x2000
	s_delay_alu instid0(VALU_DEP_1) | instskip(NEXT) | instid1(VALU_DEP_1)
	v_and_or_b32 v1, 0x8000, v1, v6
	v_lshl_or_b32 v1, v35, 7, v1
	s_delay_alu instid0(VALU_DEP_1)
	v_cvt_f32_f16_e64 v132, v1
.LBB356_1697:                           ;   in Loop: Header=BB356_16 Depth=1
	s_or_b32 exec_lo, exec_lo, s23
.LBB356_1698:                           ;   in Loop: Header=BB356_16 Depth=1
	s_delay_alu instid0(SALU_CYCLE_1)
	s_or_b32 exec_lo, exec_lo, s22
.LBB356_1699:                           ;   in Loop: Header=BB356_16 Depth=1
	s_delay_alu instid0(SALU_CYCLE_1) | instskip(SKIP_3) | instid1(VALU_DEP_2)
	s_or_b32 exec_lo, exec_lo, s21
	v_lshrrev_b32_e32 v1, 16, v33
	v_mov_b32_e32 v134, 0
	s_mov_b32 s21, exec_lo
	v_dual_mov_b32 v133, 0 :: v_dual_and_b32 v6, 0xff, v1
	s_delay_alu instid0(VALU_DEP_1)
	v_cmpx_ne_u16_e32 0, v6
	s_cbranch_execz .LBB356_1707
; %bb.1700:                             ;   in Loop: Header=BB356_16 Depth=1
	v_bfrev_b32_e32 v133, 1
	s_mov_b32 s22, exec_lo
	v_cmpx_ne_u16_e32 0x80, v6
	s_cbranch_execz .LBB356_1706
; %bb.1701:                             ;   in Loop: Header=BB356_16 Depth=1
	v_bfe_u32 v14, v33, 16, 7
	v_mov_b32_e32 v133, 0x7fc02000
	s_mov_b32 s23, exec_lo
	s_delay_alu instid0(VALU_DEP_2)
	v_cmpx_ne_u32_e32 0x7f, v14
	s_cbranch_execz .LBB356_1705
; %bb.1702:                             ;   in Loop: Header=BB356_16 Depth=1
	v_and_b32_e32 v7, 7, v1
	v_mov_b32_e32 v36, v8
	v_lshrrev_b32_e32 v6, 3, v14
	s_mov_b32 s24, exec_lo
	s_delay_alu instid0(VALU_DEP_3)
	v_mov_b32_e32 v35, v7
	v_cmpx_gt_u32_e32 8, v14
; %bb.1703:                             ;   in Loop: Header=BB356_16 Depth=1
	v_clz_i32_u32_e32 v6, v7
	s_delay_alu instid0(VALU_DEP_1) | instskip(NEXT) | instid1(VALU_DEP_1)
	v_min_u32_e32 v6, 32, v6
	v_subrev_nc_u32_e32 v14, 28, v6
	v_sub_nc_u32_e32 v6, 29, v6
	s_delay_alu instid0(VALU_DEP_2) | instskip(NEXT) | instid1(VALU_DEP_1)
	v_lshlrev_b64 v[14:15], v14, v[7:8]
	v_and_b32_e32 v35, 7, v14
; %bb.1704:                             ;   in Loop: Header=BB356_16 Depth=1
	s_or_b32 exec_lo, exec_lo, s24
	v_lshlrev_b32_e32 v1, 8, v1
	v_lshl_add_u32 v6, v6, 10, 0x2000
	s_delay_alu instid0(VALU_DEP_1) | instskip(NEXT) | instid1(VALU_DEP_1)
	v_and_or_b32 v1, 0x8000, v1, v6
	v_lshl_or_b32 v1, v35, 7, v1
	s_delay_alu instid0(VALU_DEP_1)
	v_cvt_f32_f16_e64 v133, v1
.LBB356_1705:                           ;   in Loop: Header=BB356_16 Depth=1
	s_or_b32 exec_lo, exec_lo, s23
.LBB356_1706:                           ;   in Loop: Header=BB356_16 Depth=1
	s_delay_alu instid0(SALU_CYCLE_1)
	s_or_b32 exec_lo, exec_lo, s22
.LBB356_1707:                           ;   in Loop: Header=BB356_16 Depth=1
	s_delay_alu instid0(SALU_CYCLE_1) | instskip(NEXT) | instid1(SALU_CYCLE_1)
	s_or_b32 exec_lo, exec_lo, s21
	s_mov_b32 s21, exec_lo
	v_cmpx_lt_u32_e32 0xffffff, v33
	s_cbranch_execz .LBB356_1715
; %bb.1708:                             ;   in Loop: Header=BB356_16 Depth=1
	v_lshrrev_b32_e32 v1, 24, v33
	v_bfrev_b32_e32 v134, 1
	s_mov_b32 s22, exec_lo
	s_delay_alu instid0(VALU_DEP_2)
	v_cmpx_ne_u32_e32 0x80, v1
	s_cbranch_execz .LBB356_1714
; %bb.1709:                             ;   in Loop: Header=BB356_16 Depth=1
	v_and_b32_e32 v14, 0x7f, v1
	v_mov_b32_e32 v134, 0x7fc02000
	s_mov_b32 s23, exec_lo
	s_delay_alu instid0(VALU_DEP_2)
	v_cmpx_ne_u32_e32 0x7f, v14
	s_cbranch_execz .LBB356_1713
; %bb.1710:                             ;   in Loop: Header=BB356_16 Depth=1
	v_and_b32_e32 v7, 7, v1
	v_mov_b32_e32 v36, v8
	v_lshrrev_b32_e32 v6, 3, v14
	s_mov_b32 s24, exec_lo
	s_delay_alu instid0(VALU_DEP_3)
	v_mov_b32_e32 v35, v7
	v_cmpx_gt_u32_e32 8, v14
; %bb.1711:                             ;   in Loop: Header=BB356_16 Depth=1
	v_clz_i32_u32_e32 v6, v7
	s_delay_alu instid0(VALU_DEP_1) | instskip(NEXT) | instid1(VALU_DEP_1)
	v_min_u32_e32 v6, 32, v6
	v_subrev_nc_u32_e32 v14, 28, v6
	v_sub_nc_u32_e32 v6, 29, v6
	s_delay_alu instid0(VALU_DEP_2) | instskip(NEXT) | instid1(VALU_DEP_1)
	v_lshlrev_b64 v[14:15], v14, v[7:8]
	v_and_b32_e32 v35, 7, v14
; %bb.1712:                             ;   in Loop: Header=BB356_16 Depth=1
	s_or_b32 exec_lo, exec_lo, s24
	v_lshlrev_b32_e32 v1, 8, v1
	v_lshl_add_u32 v6, v6, 10, 0x2000
	s_delay_alu instid0(VALU_DEP_1) | instskip(NEXT) | instid1(VALU_DEP_1)
	v_and_or_b32 v1, 0x8000, v1, v6
	v_lshl_or_b32 v1, v35, 7, v1
	s_delay_alu instid0(VALU_DEP_1)
	v_cvt_f32_f16_e64 v134, v1
.LBB356_1713:                           ;   in Loop: Header=BB356_16 Depth=1
	s_or_b32 exec_lo, exec_lo, s23
.LBB356_1714:                           ;   in Loop: Header=BB356_16 Depth=1
	s_delay_alu instid0(SALU_CYCLE_1)
	s_or_b32 exec_lo, exec_lo, s22
.LBB356_1715:                           ;   in Loop: Header=BB356_16 Depth=1
	s_delay_alu instid0(SALU_CYCLE_1) | instskip(SKIP_4) | instid1(VALU_DEP_3)
	s_or_b32 exec_lo, exec_lo, s21
	v_dual_mov_b32 v162, 0 :: v_dual_and_b32 v1, 0xff, v34
	v_mov_b32_e32 v7, v34
	v_mov_b32_e32 v163, 0
	s_mov_b32 s21, exec_lo
	v_cmpx_ne_u16_e32 0, v1
	s_cbranch_execz .LBB356_1723
; %bb.1716:                             ;   in Loop: Header=BB356_16 Depth=1
	v_bfrev_b32_e32 v162, 1
	s_mov_b32 s22, exec_lo
	v_cmpx_ne_u16_e32 0x80, v1
	s_cbranch_execz .LBB356_1722
; %bb.1717:                             ;   in Loop: Header=BB356_16 Depth=1
	v_and_b32_e32 v6, 0x7f, v34
	v_mov_b32_e32 v162, 0x7fc02000
	s_mov_b32 s23, exec_lo
	s_delay_alu instid0(VALU_DEP_2)
	v_cmpx_ne_u32_e32 0x7f, v6
	s_cbranch_execz .LBB356_1721
; %bb.1718:                             ;   in Loop: Header=BB356_16 Depth=1
	v_dual_mov_b32 v36, v8 :: v_dual_mov_b32 v35, v7
	v_lshrrev_b32_e32 v1, 3, v6
	s_mov_b32 s24, exec_lo
	v_cmpx_gt_u32_e32 8, v6
; %bb.1719:                             ;   in Loop: Header=BB356_16 Depth=1
	v_and_b32_e32 v1, 7, v34
	s_delay_alu instid0(VALU_DEP_1) | instskip(NEXT) | instid1(VALU_DEP_1)
	v_clz_i32_u32_e32 v1, v1
	v_min_u32_e32 v1, 32, v1
	s_delay_alu instid0(VALU_DEP_1) | instskip(SKIP_1) | instid1(VALU_DEP_2)
	v_subrev_nc_u32_e32 v6, 28, v1
	v_sub_nc_u32_e32 v1, 29, v1
	v_lshlrev_b64 v[35:36], v6, v[7:8]
; %bb.1720:                             ;   in Loop: Header=BB356_16 Depth=1
	s_or_b32 exec_lo, exec_lo, s24
	v_lshlrev_b32_e32 v6, 8, v34
	s_delay_alu instid0(VALU_DEP_3) | instskip(NEXT) | instid1(VALU_DEP_3)
	v_lshl_add_u32 v1, v1, 10, 0x2000
	v_lshlrev_b32_e32 v14, 7, v35
	s_delay_alu instid0(VALU_DEP_2) | instskip(NEXT) | instid1(VALU_DEP_1)
	v_and_or_b32 v1, 0x8000, v6, v1
	v_and_or_b32 v1, 0x380, v14, v1
	s_delay_alu instid0(VALU_DEP_1)
	v_cvt_f32_f16_e64 v162, v1
.LBB356_1721:                           ;   in Loop: Header=BB356_16 Depth=1
	s_or_b32 exec_lo, exec_lo, s23
.LBB356_1722:                           ;   in Loop: Header=BB356_16 Depth=1
	s_delay_alu instid0(SALU_CYCLE_1)
	s_or_b32 exec_lo, exec_lo, s22
.LBB356_1723:                           ;   in Loop: Header=BB356_16 Depth=1
	s_delay_alu instid0(SALU_CYCLE_1) | instskip(SKIP_2) | instid1(VALU_DEP_1)
	s_or_b32 exec_lo, exec_lo, s21
	v_lshrrev_b16 v1, 8, v7
	s_mov_b32 s21, exec_lo
	v_cmpx_ne_u16_e32 0, v1
	s_cbranch_execz .LBB356_1731
; %bb.1724:                             ;   in Loop: Header=BB356_16 Depth=1
	v_bfrev_b32_e32 v163, 1
	s_mov_b32 s22, exec_lo
	v_cmpx_ne_u16_e32 0x80, v1
	s_cbranch_execz .LBB356_1730
; %bb.1725:                             ;   in Loop: Header=BB356_16 Depth=1
	v_and_b32_e32 v1, 0xffff, v1
	v_mov_b32_e32 v163, 0x7fc02000
	s_mov_b32 s23, exec_lo
	s_delay_alu instid0(VALU_DEP_2) | instskip(NEXT) | instid1(VALU_DEP_1)
	v_and_b32_e32 v14, 0x7f, v1
	v_cmpx_ne_u32_e32 0x7f, v14
	s_cbranch_execz .LBB356_1729
; %bb.1726:                             ;   in Loop: Header=BB356_16 Depth=1
	v_and_b32_e32 v7, 7, v1
	v_mov_b32_e32 v36, v8
	v_lshrrev_b32_e32 v6, 3, v14
	s_mov_b32 s24, exec_lo
	s_delay_alu instid0(VALU_DEP_3)
	v_mov_b32_e32 v35, v7
	v_cmpx_gt_u32_e32 8, v14
; %bb.1727:                             ;   in Loop: Header=BB356_16 Depth=1
	v_clz_i32_u32_e32 v6, v7
	s_delay_alu instid0(VALU_DEP_1) | instskip(NEXT) | instid1(VALU_DEP_1)
	v_min_u32_e32 v6, 32, v6
	v_subrev_nc_u32_e32 v14, 28, v6
	v_sub_nc_u32_e32 v6, 29, v6
	s_delay_alu instid0(VALU_DEP_2) | instskip(NEXT) | instid1(VALU_DEP_1)
	v_lshlrev_b64 v[14:15], v14, v[7:8]
	v_and_b32_e32 v35, 7, v14
; %bb.1728:                             ;   in Loop: Header=BB356_16 Depth=1
	s_or_b32 exec_lo, exec_lo, s24
	v_lshlrev_b32_e32 v1, 8, v1
	v_lshl_add_u32 v6, v6, 10, 0x2000
	s_delay_alu instid0(VALU_DEP_1) | instskip(NEXT) | instid1(VALU_DEP_1)
	v_and_or_b32 v1, 0x8000, v1, v6
	v_lshl_or_b32 v1, v35, 7, v1
	s_delay_alu instid0(VALU_DEP_1)
	v_cvt_f32_f16_e64 v163, v1
.LBB356_1729:                           ;   in Loop: Header=BB356_16 Depth=1
	s_or_b32 exec_lo, exec_lo, s23
.LBB356_1730:                           ;   in Loop: Header=BB356_16 Depth=1
	s_delay_alu instid0(SALU_CYCLE_1)
	s_or_b32 exec_lo, exec_lo, s22
.LBB356_1731:                           ;   in Loop: Header=BB356_16 Depth=1
	s_delay_alu instid0(SALU_CYCLE_1) | instskip(SKIP_3) | instid1(VALU_DEP_2)
	s_or_b32 exec_lo, exec_lo, s21
	v_lshrrev_b32_e32 v1, 16, v34
	v_mov_b32_e32 v164, 0
	s_mov_b32 s21, exec_lo
	v_dual_mov_b32 v165, 0 :: v_dual_and_b32 v6, 0xff, v1
	s_delay_alu instid0(VALU_DEP_1)
	v_cmpx_ne_u16_e32 0, v6
	s_cbranch_execz .LBB356_1739
; %bb.1732:                             ;   in Loop: Header=BB356_16 Depth=1
	v_bfrev_b32_e32 v165, 1
	s_mov_b32 s22, exec_lo
	v_cmpx_ne_u16_e32 0x80, v6
	s_cbranch_execz .LBB356_1738
; %bb.1733:                             ;   in Loop: Header=BB356_16 Depth=1
	v_bfe_u32 v14, v34, 16, 7
	v_mov_b32_e32 v165, 0x7fc02000
	s_mov_b32 s23, exec_lo
	s_delay_alu instid0(VALU_DEP_2)
	v_cmpx_ne_u32_e32 0x7f, v14
	s_cbranch_execz .LBB356_1737
; %bb.1734:                             ;   in Loop: Header=BB356_16 Depth=1
	v_and_b32_e32 v7, 7, v1
	v_mov_b32_e32 v36, v8
	v_lshrrev_b32_e32 v6, 3, v14
	s_mov_b32 s24, exec_lo
	s_delay_alu instid0(VALU_DEP_3)
	v_mov_b32_e32 v35, v7
	v_cmpx_gt_u32_e32 8, v14
; %bb.1735:                             ;   in Loop: Header=BB356_16 Depth=1
	v_clz_i32_u32_e32 v6, v7
	s_delay_alu instid0(VALU_DEP_1) | instskip(NEXT) | instid1(VALU_DEP_1)
	v_min_u32_e32 v6, 32, v6
	v_subrev_nc_u32_e32 v14, 28, v6
	v_sub_nc_u32_e32 v6, 29, v6
	s_delay_alu instid0(VALU_DEP_2) | instskip(NEXT) | instid1(VALU_DEP_1)
	v_lshlrev_b64 v[14:15], v14, v[7:8]
	v_and_b32_e32 v35, 7, v14
; %bb.1736:                             ;   in Loop: Header=BB356_16 Depth=1
	s_or_b32 exec_lo, exec_lo, s24
	v_lshlrev_b32_e32 v1, 8, v1
	v_lshl_add_u32 v6, v6, 10, 0x2000
	s_delay_alu instid0(VALU_DEP_1) | instskip(NEXT) | instid1(VALU_DEP_1)
	v_and_or_b32 v1, 0x8000, v1, v6
	v_lshl_or_b32 v1, v35, 7, v1
	s_delay_alu instid0(VALU_DEP_1)
	v_cvt_f32_f16_e64 v165, v1
.LBB356_1737:                           ;   in Loop: Header=BB356_16 Depth=1
	s_or_b32 exec_lo, exec_lo, s23
.LBB356_1738:                           ;   in Loop: Header=BB356_16 Depth=1
	s_delay_alu instid0(SALU_CYCLE_1)
	s_or_b32 exec_lo, exec_lo, s22
.LBB356_1739:                           ;   in Loop: Header=BB356_16 Depth=1
	s_delay_alu instid0(SALU_CYCLE_1) | instskip(NEXT) | instid1(SALU_CYCLE_1)
	s_or_b32 exec_lo, exec_lo, s21
	s_mov_b32 s21, exec_lo
	v_cmpx_lt_u64_e64 s[8:9], v[33:34]
	s_cbranch_execz .LBB356_1747
; %bb.1740:                             ;   in Loop: Header=BB356_16 Depth=1
	v_lshrrev_b32_e32 v1, 24, v34
	v_bfrev_b32_e32 v164, 1
	s_mov_b32 s22, exec_lo
	s_delay_alu instid0(VALU_DEP_2)
	v_cmpx_ne_u32_e32 0x80, v1
	s_cbranch_execz .LBB356_1746
; %bb.1741:                             ;   in Loop: Header=BB356_16 Depth=1
	v_and_b32_e32 v14, 0x7f, v1
	v_mov_b32_e32 v164, 0x7fc02000
	s_mov_b32 s23, exec_lo
	s_delay_alu instid0(VALU_DEP_2)
	v_cmpx_ne_u32_e32 0x7f, v14
	s_cbranch_execz .LBB356_1745
; %bb.1742:                             ;   in Loop: Header=BB356_16 Depth=1
	v_and_b32_e32 v7, 7, v1
	v_mov_b32_e32 v34, v8
	v_lshrrev_b32_e32 v6, 3, v14
	s_mov_b32 s24, exec_lo
	s_delay_alu instid0(VALU_DEP_3)
	v_mov_b32_e32 v33, v7
	v_cmpx_gt_u32_e32 8, v14
; %bb.1743:                             ;   in Loop: Header=BB356_16 Depth=1
	v_clz_i32_u32_e32 v6, v7
	s_delay_alu instid0(VALU_DEP_1) | instskip(NEXT) | instid1(VALU_DEP_1)
	v_min_u32_e32 v6, 32, v6
	v_subrev_nc_u32_e32 v14, 28, v6
	v_sub_nc_u32_e32 v6, 29, v6
	s_delay_alu instid0(VALU_DEP_2) | instskip(NEXT) | instid1(VALU_DEP_1)
	v_lshlrev_b64 v[14:15], v14, v[7:8]
	v_and_b32_e32 v33, 7, v14
; %bb.1744:                             ;   in Loop: Header=BB356_16 Depth=1
	s_or_b32 exec_lo, exec_lo, s24
	v_lshlrev_b32_e32 v1, 8, v1
	v_lshl_add_u32 v6, v6, 10, 0x2000
	s_delay_alu instid0(VALU_DEP_1) | instskip(NEXT) | instid1(VALU_DEP_1)
	v_and_or_b32 v1, 0x8000, v1, v6
	v_lshl_or_b32 v1, v33, 7, v1
	s_delay_alu instid0(VALU_DEP_1)
	v_cvt_f32_f16_e64 v164, v1
.LBB356_1745:                           ;   in Loop: Header=BB356_16 Depth=1
	s_or_b32 exec_lo, exec_lo, s23
.LBB356_1746:                           ;   in Loop: Header=BB356_16 Depth=1
	s_delay_alu instid0(SALU_CYCLE_1)
	s_or_b32 exec_lo, exec_lo, s22
.LBB356_1747:                           ;   in Loop: Header=BB356_16 Depth=1
	s_delay_alu instid0(SALU_CYCLE_1)
	s_or_b32 exec_lo, exec_lo, s21
	flat_load_b64 v[33:34], v[31:32] offset:2568
	v_mov_b32_e32 v103, 0
	s_mov_b32 s21, exec_lo
	s_waitcnt vmcnt(0) lgkmcnt(0)
	v_dual_mov_b32 v16, 0 :: v_dual_and_b32 v1, 0xff, v33
	s_delay_alu instid0(VALU_DEP_1)
	v_cmpx_ne_u16_e32 0, v1
	s_cbranch_execz .LBB356_1755
; %bb.1748:                             ;   in Loop: Header=BB356_16 Depth=1
	v_bfrev_b32_e32 v16, 1
	s_mov_b32 s22, exec_lo
	v_cmpx_ne_u16_e32 0x80, v1
	s_cbranch_execz .LBB356_1754
; %bb.1749:                             ;   in Loop: Header=BB356_16 Depth=1
	v_and_b32_e32 v6, 0x7f, v33
	v_mov_b32_e32 v16, 0x7fc02000
	s_mov_b32 s23, exec_lo
	s_delay_alu instid0(VALU_DEP_2)
	v_cmpx_ne_u32_e32 0x7f, v6
	s_cbranch_execz .LBB356_1753
; %bb.1750:                             ;   in Loop: Header=BB356_16 Depth=1
	v_lshrrev_b32_e32 v1, 3, v6
	v_dual_mov_b32 v36, v34 :: v_dual_mov_b32 v35, v33
	s_mov_b32 s24, exec_lo
	v_cmpx_gt_u32_e32 8, v6
; %bb.1751:                             ;   in Loop: Header=BB356_16 Depth=1
	v_and_b32_e32 v1, 7, v33
	s_delay_alu instid0(VALU_DEP_1) | instskip(NEXT) | instid1(VALU_DEP_1)
	v_clz_i32_u32_e32 v1, v1
	v_min_u32_e32 v1, 32, v1
	s_delay_alu instid0(VALU_DEP_1) | instskip(SKIP_1) | instid1(VALU_DEP_2)
	v_subrev_nc_u32_e32 v6, 28, v1
	v_sub_nc_u32_e32 v1, 29, v1
	v_lshlrev_b64 v[35:36], v6, v[33:34]
; %bb.1752:                             ;   in Loop: Header=BB356_16 Depth=1
	s_or_b32 exec_lo, exec_lo, s24
	v_lshlrev_b32_e32 v6, 8, v33
	s_delay_alu instid0(VALU_DEP_3) | instskip(NEXT) | instid1(VALU_DEP_3)
	v_lshl_add_u32 v1, v1, 10, 0x2000
	v_lshlrev_b32_e32 v7, 7, v35
	s_delay_alu instid0(VALU_DEP_2) | instskip(NEXT) | instid1(VALU_DEP_1)
	v_and_or_b32 v1, 0x8000, v6, v1
	v_and_or_b32 v1, 0x380, v7, v1
	s_delay_alu instid0(VALU_DEP_1)
	v_cvt_f32_f16_e32 v16, v1
.LBB356_1753:                           ;   in Loop: Header=BB356_16 Depth=1
	s_or_b32 exec_lo, exec_lo, s23
.LBB356_1754:                           ;   in Loop: Header=BB356_16 Depth=1
	s_delay_alu instid0(SALU_CYCLE_1)
	s_or_b32 exec_lo, exec_lo, s22
.LBB356_1755:                           ;   in Loop: Header=BB356_16 Depth=1
	s_delay_alu instid0(SALU_CYCLE_1) | instskip(SKIP_2) | instid1(VALU_DEP_1)
	s_or_b32 exec_lo, exec_lo, s21
	v_lshrrev_b16 v1, 8, v33
	s_mov_b32 s21, exec_lo
	v_cmpx_ne_u16_e32 0, v1
	s_cbranch_execz .LBB356_1763
; %bb.1756:                             ;   in Loop: Header=BB356_16 Depth=1
	v_bfrev_b32_e32 v103, 1
	s_mov_b32 s22, exec_lo
	v_cmpx_ne_u16_e32 0x80, v1
	s_cbranch_execz .LBB356_1762
; %bb.1757:                             ;   in Loop: Header=BB356_16 Depth=1
	v_and_b32_e32 v1, 0xffff, v1
	v_mov_b32_e32 v103, 0x7fc02000
	s_mov_b32 s23, exec_lo
	s_delay_alu instid0(VALU_DEP_2) | instskip(NEXT) | instid1(VALU_DEP_1)
	v_and_b32_e32 v14, 0x7f, v1
	v_cmpx_ne_u32_e32 0x7f, v14
	s_cbranch_execz .LBB356_1761
; %bb.1758:                             ;   in Loop: Header=BB356_16 Depth=1
	v_and_b32_e32 v7, 7, v1
	v_mov_b32_e32 v36, v8
	v_lshrrev_b32_e32 v6, 3, v14
	s_mov_b32 s24, exec_lo
	s_delay_alu instid0(VALU_DEP_3)
	v_mov_b32_e32 v35, v7
	v_cmpx_gt_u32_e32 8, v14
; %bb.1759:                             ;   in Loop: Header=BB356_16 Depth=1
	v_clz_i32_u32_e32 v6, v7
	s_delay_alu instid0(VALU_DEP_1) | instskip(NEXT) | instid1(VALU_DEP_1)
	v_min_u32_e32 v6, 32, v6
	v_subrev_nc_u32_e32 v14, 28, v6
	v_sub_nc_u32_e32 v6, 29, v6
	s_delay_alu instid0(VALU_DEP_2) | instskip(NEXT) | instid1(VALU_DEP_1)
	v_lshlrev_b64 v[14:15], v14, v[7:8]
	v_and_b32_e32 v35, 7, v14
; %bb.1760:                             ;   in Loop: Header=BB356_16 Depth=1
	s_or_b32 exec_lo, exec_lo, s24
	v_lshlrev_b32_e32 v1, 8, v1
	v_lshl_add_u32 v6, v6, 10, 0x2000
	s_delay_alu instid0(VALU_DEP_1) | instskip(NEXT) | instid1(VALU_DEP_1)
	v_and_or_b32 v1, 0x8000, v1, v6
	v_lshl_or_b32 v1, v35, 7, v1
	s_delay_alu instid0(VALU_DEP_1)
	v_cvt_f32_f16_e32 v103, v1
.LBB356_1761:                           ;   in Loop: Header=BB356_16 Depth=1
	s_or_b32 exec_lo, exec_lo, s23
.LBB356_1762:                           ;   in Loop: Header=BB356_16 Depth=1
	s_delay_alu instid0(SALU_CYCLE_1)
	s_or_b32 exec_lo, exec_lo, s22
.LBB356_1763:                           ;   in Loop: Header=BB356_16 Depth=1
	s_delay_alu instid0(SALU_CYCLE_1) | instskip(SKIP_3) | instid1(VALU_DEP_2)
	s_or_b32 exec_lo, exec_lo, s21
	v_lshrrev_b32_e32 v1, 16, v33
	v_mov_b32_e32 v20, 0
	s_mov_b32 s21, exec_lo
	v_dual_mov_b32 v21, 0 :: v_dual_and_b32 v6, 0xff, v1
	s_delay_alu instid0(VALU_DEP_1)
	v_cmpx_ne_u16_e32 0, v6
	s_cbranch_execz .LBB356_1771
; %bb.1764:                             ;   in Loop: Header=BB356_16 Depth=1
	v_bfrev_b32_e32 v20, 1
	s_mov_b32 s22, exec_lo
	v_cmpx_ne_u16_e32 0x80, v6
	s_cbranch_execz .LBB356_1770
; %bb.1765:                             ;   in Loop: Header=BB356_16 Depth=1
	v_bfe_u32 v14, v33, 16, 7
	v_mov_b32_e32 v20, 0x7fc02000
	s_mov_b32 s23, exec_lo
	s_delay_alu instid0(VALU_DEP_2)
	v_cmpx_ne_u32_e32 0x7f, v14
	s_cbranch_execz .LBB356_1769
; %bb.1766:                             ;   in Loop: Header=BB356_16 Depth=1
	v_and_b32_e32 v7, 7, v1
	v_mov_b32_e32 v36, v8
	v_lshrrev_b32_e32 v6, 3, v14
	s_mov_b32 s24, exec_lo
	s_delay_alu instid0(VALU_DEP_3)
	v_mov_b32_e32 v35, v7
	v_cmpx_gt_u32_e32 8, v14
; %bb.1767:                             ;   in Loop: Header=BB356_16 Depth=1
	v_clz_i32_u32_e32 v6, v7
	s_delay_alu instid0(VALU_DEP_1) | instskip(NEXT) | instid1(VALU_DEP_1)
	v_min_u32_e32 v6, 32, v6
	v_subrev_nc_u32_e32 v14, 28, v6
	v_sub_nc_u32_e32 v6, 29, v6
	s_delay_alu instid0(VALU_DEP_2) | instskip(NEXT) | instid1(VALU_DEP_1)
	v_lshlrev_b64 v[14:15], v14, v[7:8]
	v_and_b32_e32 v35, 7, v14
; %bb.1768:                             ;   in Loop: Header=BB356_16 Depth=1
	s_or_b32 exec_lo, exec_lo, s24
	v_lshlrev_b32_e32 v1, 8, v1
	v_lshl_add_u32 v6, v6, 10, 0x2000
	s_delay_alu instid0(VALU_DEP_1) | instskip(NEXT) | instid1(VALU_DEP_1)
	v_and_or_b32 v1, 0x8000, v1, v6
	v_lshl_or_b32 v1, v35, 7, v1
	s_delay_alu instid0(VALU_DEP_1)
	v_cvt_f32_f16_e32 v20, v1
.LBB356_1769:                           ;   in Loop: Header=BB356_16 Depth=1
	s_or_b32 exec_lo, exec_lo, s23
.LBB356_1770:                           ;   in Loop: Header=BB356_16 Depth=1
	s_delay_alu instid0(SALU_CYCLE_1)
	s_or_b32 exec_lo, exec_lo, s22
.LBB356_1771:                           ;   in Loop: Header=BB356_16 Depth=1
	s_delay_alu instid0(SALU_CYCLE_1) | instskip(NEXT) | instid1(SALU_CYCLE_1)
	s_or_b32 exec_lo, exec_lo, s21
	s_mov_b32 s21, exec_lo
	v_cmpx_lt_u32_e32 0xffffff, v33
	s_cbranch_execz .LBB356_1779
; %bb.1772:                             ;   in Loop: Header=BB356_16 Depth=1
	v_lshrrev_b32_e32 v1, 24, v33
	v_bfrev_b32_e32 v21, 1
	s_mov_b32 s22, exec_lo
	s_delay_alu instid0(VALU_DEP_2)
	v_cmpx_ne_u32_e32 0x80, v1
	s_cbranch_execz .LBB356_1778
; %bb.1773:                             ;   in Loop: Header=BB356_16 Depth=1
	v_and_b32_e32 v14, 0x7f, v1
	v_mov_b32_e32 v21, 0x7fc02000
	s_mov_b32 s23, exec_lo
	s_delay_alu instid0(VALU_DEP_2)
	v_cmpx_ne_u32_e32 0x7f, v14
	s_cbranch_execz .LBB356_1777
; %bb.1774:                             ;   in Loop: Header=BB356_16 Depth=1
	v_and_b32_e32 v7, 7, v1
	v_mov_b32_e32 v36, v8
	v_lshrrev_b32_e32 v6, 3, v14
	s_mov_b32 s24, exec_lo
	s_delay_alu instid0(VALU_DEP_3)
	v_mov_b32_e32 v35, v7
	v_cmpx_gt_u32_e32 8, v14
; %bb.1775:                             ;   in Loop: Header=BB356_16 Depth=1
	v_clz_i32_u32_e32 v6, v7
	s_delay_alu instid0(VALU_DEP_1) | instskip(NEXT) | instid1(VALU_DEP_1)
	v_min_u32_e32 v6, 32, v6
	v_subrev_nc_u32_e32 v14, 28, v6
	v_sub_nc_u32_e32 v6, 29, v6
	s_delay_alu instid0(VALU_DEP_2) | instskip(NEXT) | instid1(VALU_DEP_1)
	v_lshlrev_b64 v[14:15], v14, v[7:8]
	v_and_b32_e32 v35, 7, v14
; %bb.1776:                             ;   in Loop: Header=BB356_16 Depth=1
	s_or_b32 exec_lo, exec_lo, s24
	v_lshlrev_b32_e32 v1, 8, v1
	v_lshl_add_u32 v6, v6, 10, 0x2000
	s_delay_alu instid0(VALU_DEP_1) | instskip(NEXT) | instid1(VALU_DEP_1)
	v_and_or_b32 v1, 0x8000, v1, v6
	v_lshl_or_b32 v1, v35, 7, v1
	s_delay_alu instid0(VALU_DEP_1)
	v_cvt_f32_f16_e32 v21, v1
.LBB356_1777:                           ;   in Loop: Header=BB356_16 Depth=1
	s_or_b32 exec_lo, exec_lo, s23
.LBB356_1778:                           ;   in Loop: Header=BB356_16 Depth=1
	s_delay_alu instid0(SALU_CYCLE_1)
	s_or_b32 exec_lo, exec_lo, s22
.LBB356_1779:                           ;   in Loop: Header=BB356_16 Depth=1
	s_delay_alu instid0(SALU_CYCLE_1) | instskip(SKIP_3) | instid1(VALU_DEP_2)
	s_or_b32 exec_lo, exec_lo, s21
	v_dual_mov_b32 v24, 0 :: v_dual_and_b32 v1, 0xff, v34
	v_dual_mov_b32 v7, v34 :: v_dual_mov_b32 v22, 0
	s_mov_b32 s21, exec_lo
	v_cmpx_ne_u16_e32 0, v1
	s_cbranch_execz .LBB356_1787
; %bb.1780:                             ;   in Loop: Header=BB356_16 Depth=1
	v_bfrev_b32_e32 v22, 1
	s_mov_b32 s22, exec_lo
	v_cmpx_ne_u16_e32 0x80, v1
	s_cbranch_execz .LBB356_1786
; %bb.1781:                             ;   in Loop: Header=BB356_16 Depth=1
	v_and_b32_e32 v6, 0x7f, v34
	v_mov_b32_e32 v22, 0x7fc02000
	s_mov_b32 s23, exec_lo
	s_delay_alu instid0(VALU_DEP_2)
	v_cmpx_ne_u32_e32 0x7f, v6
	s_cbranch_execz .LBB356_1785
; %bb.1782:                             ;   in Loop: Header=BB356_16 Depth=1
	v_dual_mov_b32 v36, v8 :: v_dual_mov_b32 v35, v7
	v_lshrrev_b32_e32 v1, 3, v6
	s_mov_b32 s24, exec_lo
	v_cmpx_gt_u32_e32 8, v6
; %bb.1783:                             ;   in Loop: Header=BB356_16 Depth=1
	v_and_b32_e32 v1, 7, v34
	s_delay_alu instid0(VALU_DEP_1) | instskip(NEXT) | instid1(VALU_DEP_1)
	v_clz_i32_u32_e32 v1, v1
	v_min_u32_e32 v1, 32, v1
	s_delay_alu instid0(VALU_DEP_1) | instskip(SKIP_1) | instid1(VALU_DEP_2)
	v_subrev_nc_u32_e32 v6, 28, v1
	v_sub_nc_u32_e32 v1, 29, v1
	v_lshlrev_b64 v[35:36], v6, v[7:8]
; %bb.1784:                             ;   in Loop: Header=BB356_16 Depth=1
	s_or_b32 exec_lo, exec_lo, s24
	v_lshlrev_b32_e32 v6, 8, v34
	s_delay_alu instid0(VALU_DEP_3) | instskip(NEXT) | instid1(VALU_DEP_3)
	v_lshl_add_u32 v1, v1, 10, 0x2000
	v_lshlrev_b32_e32 v14, 7, v35
	s_delay_alu instid0(VALU_DEP_2) | instskip(NEXT) | instid1(VALU_DEP_1)
	v_and_or_b32 v1, 0x8000, v6, v1
	v_and_or_b32 v1, 0x380, v14, v1
	s_delay_alu instid0(VALU_DEP_1)
	v_cvt_f32_f16_e32 v22, v1
.LBB356_1785:                           ;   in Loop: Header=BB356_16 Depth=1
	s_or_b32 exec_lo, exec_lo, s23
.LBB356_1786:                           ;   in Loop: Header=BB356_16 Depth=1
	s_delay_alu instid0(SALU_CYCLE_1)
	s_or_b32 exec_lo, exec_lo, s22
.LBB356_1787:                           ;   in Loop: Header=BB356_16 Depth=1
	s_delay_alu instid0(SALU_CYCLE_1) | instskip(SKIP_2) | instid1(VALU_DEP_1)
	s_or_b32 exec_lo, exec_lo, s21
	v_lshrrev_b16 v1, 8, v7
	s_mov_b32 s21, exec_lo
	v_cmpx_ne_u16_e32 0, v1
	s_cbranch_execz .LBB356_1795
; %bb.1788:                             ;   in Loop: Header=BB356_16 Depth=1
	v_bfrev_b32_e32 v24, 1
	s_mov_b32 s22, exec_lo
	v_cmpx_ne_u16_e32 0x80, v1
	s_cbranch_execz .LBB356_1794
; %bb.1789:                             ;   in Loop: Header=BB356_16 Depth=1
	v_and_b32_e32 v1, 0xffff, v1
	v_mov_b32_e32 v24, 0x7fc02000
	s_mov_b32 s23, exec_lo
	s_delay_alu instid0(VALU_DEP_2) | instskip(NEXT) | instid1(VALU_DEP_1)
	v_and_b32_e32 v14, 0x7f, v1
	v_cmpx_ne_u32_e32 0x7f, v14
	s_cbranch_execz .LBB356_1793
; %bb.1790:                             ;   in Loop: Header=BB356_16 Depth=1
	v_and_b32_e32 v7, 7, v1
	v_mov_b32_e32 v36, v8
	v_lshrrev_b32_e32 v6, 3, v14
	s_mov_b32 s24, exec_lo
	s_delay_alu instid0(VALU_DEP_3)
	v_mov_b32_e32 v35, v7
	v_cmpx_gt_u32_e32 8, v14
; %bb.1791:                             ;   in Loop: Header=BB356_16 Depth=1
	v_clz_i32_u32_e32 v6, v7
	s_delay_alu instid0(VALU_DEP_1) | instskip(NEXT) | instid1(VALU_DEP_1)
	v_min_u32_e32 v6, 32, v6
	v_subrev_nc_u32_e32 v14, 28, v6
	v_sub_nc_u32_e32 v6, 29, v6
	s_delay_alu instid0(VALU_DEP_2) | instskip(NEXT) | instid1(VALU_DEP_1)
	v_lshlrev_b64 v[14:15], v14, v[7:8]
	v_and_b32_e32 v35, 7, v14
; %bb.1792:                             ;   in Loop: Header=BB356_16 Depth=1
	s_or_b32 exec_lo, exec_lo, s24
	v_lshlrev_b32_e32 v1, 8, v1
	v_lshl_add_u32 v6, v6, 10, 0x2000
	s_delay_alu instid0(VALU_DEP_1) | instskip(NEXT) | instid1(VALU_DEP_1)
	v_and_or_b32 v1, 0x8000, v1, v6
	v_lshl_or_b32 v1, v35, 7, v1
	s_delay_alu instid0(VALU_DEP_1)
	v_cvt_f32_f16_e32 v24, v1
.LBB356_1793:                           ;   in Loop: Header=BB356_16 Depth=1
	s_or_b32 exec_lo, exec_lo, s23
.LBB356_1794:                           ;   in Loop: Header=BB356_16 Depth=1
	s_delay_alu instid0(SALU_CYCLE_1)
	s_or_b32 exec_lo, exec_lo, s22
.LBB356_1795:                           ;   in Loop: Header=BB356_16 Depth=1
	s_delay_alu instid0(SALU_CYCLE_1) | instskip(SKIP_3) | instid1(VALU_DEP_2)
	s_or_b32 exec_lo, exec_lo, s21
	v_lshrrev_b32_e32 v1, 16, v34
	v_mov_b32_e32 v23, 0
	s_mov_b32 s21, exec_lo
	v_dual_mov_b32 v6, 0 :: v_dual_and_b32 v7, 0xff, v1
	s_delay_alu instid0(VALU_DEP_1)
	v_cmpx_ne_u16_e32 0, v7
	s_cbranch_execz .LBB356_1803
; %bb.1796:                             ;   in Loop: Header=BB356_16 Depth=1
	v_bfrev_b32_e32 v23, 1
	s_mov_b32 s22, exec_lo
	v_cmpx_ne_u16_e32 0x80, v7
	s_cbranch_execz .LBB356_1802
; %bb.1797:                             ;   in Loop: Header=BB356_16 Depth=1
	v_bfe_u32 v15, v34, 16, 7
	v_mov_b32_e32 v23, 0x7fc02000
	s_mov_b32 s23, exec_lo
	s_delay_alu instid0(VALU_DEP_2)
	v_cmpx_ne_u32_e32 0x7f, v15
	s_cbranch_execz .LBB356_1801
; %bb.1798:                             ;   in Loop: Header=BB356_16 Depth=1
	v_and_b32_e32 v7, 7, v1
	v_mov_b32_e32 v36, v8
	v_lshrrev_b32_e32 v14, 3, v15
	s_mov_b32 s24, exec_lo
	s_delay_alu instid0(VALU_DEP_3)
	v_mov_b32_e32 v35, v7
	v_cmpx_gt_u32_e32 8, v15
; %bb.1799:                             ;   in Loop: Header=BB356_16 Depth=1
	v_clz_i32_u32_e32 v14, v7
	s_delay_alu instid0(VALU_DEP_1) | instskip(NEXT) | instid1(VALU_DEP_1)
	v_min_u32_e32 v14, 32, v14
	v_subrev_nc_u32_e32 v15, 28, v14
	v_sub_nc_u32_e32 v14, 29, v14
	s_delay_alu instid0(VALU_DEP_2) | instskip(NEXT) | instid1(VALU_DEP_1)
	v_lshlrev_b64 v[17:18], v15, v[7:8]
	v_and_b32_e32 v35, 7, v17
; %bb.1800:                             ;   in Loop: Header=BB356_16 Depth=1
	s_or_b32 exec_lo, exec_lo, s24
	v_lshlrev_b32_e32 v1, 8, v1
	v_lshl_add_u32 v7, v14, 10, 0x2000
	s_delay_alu instid0(VALU_DEP_1) | instskip(NEXT) | instid1(VALU_DEP_1)
	v_and_or_b32 v1, 0x8000, v1, v7
	v_lshl_or_b32 v1, v35, 7, v1
	s_delay_alu instid0(VALU_DEP_1)
	v_cvt_f32_f16_e32 v23, v1
.LBB356_1801:                           ;   in Loop: Header=BB356_16 Depth=1
	s_or_b32 exec_lo, exec_lo, s23
.LBB356_1802:                           ;   in Loop: Header=BB356_16 Depth=1
	s_delay_alu instid0(SALU_CYCLE_1)
	s_or_b32 exec_lo, exec_lo, s22
.LBB356_1803:                           ;   in Loop: Header=BB356_16 Depth=1
	s_delay_alu instid0(SALU_CYCLE_1) | instskip(NEXT) | instid1(SALU_CYCLE_1)
	s_or_b32 exec_lo, exec_lo, s21
	s_mov_b32 s21, exec_lo
	v_cmpx_lt_u64_e64 s[8:9], v[33:34]
	s_cbranch_execz .LBB356_1811
; %bb.1804:                             ;   in Loop: Header=BB356_16 Depth=1
	v_lshrrev_b32_e32 v1, 24, v34
	v_bfrev_b32_e32 v6, 1
	s_mov_b32 s22, exec_lo
	s_delay_alu instid0(VALU_DEP_2)
	v_cmpx_ne_u32_e32 0x80, v1
	s_cbranch_execz .LBB356_1810
; %bb.1805:                             ;   in Loop: Header=BB356_16 Depth=1
	v_and_b32_e32 v14, 0x7f, v1
	v_mov_b32_e32 v6, 0x7fc02000
	s_mov_b32 s23, exec_lo
	s_delay_alu instid0(VALU_DEP_2)
	v_cmpx_ne_u32_e32 0x7f, v14
	s_cbranch_execz .LBB356_1809
; %bb.1806:                             ;   in Loop: Header=BB356_16 Depth=1
	v_and_b32_e32 v7, 7, v1
	v_mov_b32_e32 v34, v8
	v_lshrrev_b32_e32 v6, 3, v14
	s_mov_b32 s24, exec_lo
	s_delay_alu instid0(VALU_DEP_3)
	v_mov_b32_e32 v33, v7
	v_cmpx_gt_u32_e32 8, v14
; %bb.1807:                             ;   in Loop: Header=BB356_16 Depth=1
	v_clz_i32_u32_e32 v6, v7
	s_delay_alu instid0(VALU_DEP_1) | instskip(NEXT) | instid1(VALU_DEP_1)
	v_min_u32_e32 v6, 32, v6
	v_subrev_nc_u32_e32 v14, 28, v6
	v_sub_nc_u32_e32 v6, 29, v6
	s_delay_alu instid0(VALU_DEP_2) | instskip(NEXT) | instid1(VALU_DEP_1)
	v_lshlrev_b64 v[14:15], v14, v[7:8]
	v_and_b32_e32 v33, 7, v14
; %bb.1808:                             ;   in Loop: Header=BB356_16 Depth=1
	s_or_b32 exec_lo, exec_lo, s24
	v_lshlrev_b32_e32 v1, 8, v1
	v_lshl_add_u32 v6, v6, 10, 0x2000
	s_delay_alu instid0(VALU_DEP_1) | instskip(NEXT) | instid1(VALU_DEP_1)
	v_and_or_b32 v1, 0x8000, v1, v6
	v_lshl_or_b32 v1, v33, 7, v1
	s_delay_alu instid0(VALU_DEP_1)
	v_cvt_f32_f16_e32 v6, v1
.LBB356_1809:                           ;   in Loop: Header=BB356_16 Depth=1
	s_or_b32 exec_lo, exec_lo, s23
.LBB356_1810:                           ;   in Loop: Header=BB356_16 Depth=1
	s_delay_alu instid0(SALU_CYCLE_1)
	s_or_b32 exec_lo, exec_lo, s22
.LBB356_1811:                           ;   in Loop: Header=BB356_16 Depth=1
	s_delay_alu instid0(SALU_CYCLE_1)
	s_or_b32 exec_lo, exec_lo, s21
	flat_load_b64 v[33:34], v[31:32] offset:3072
	v_mov_b32_e32 v25, 0
	v_mov_b32_e32 v17, 0
	s_mov_b32 s21, exec_lo
	s_waitcnt vmcnt(0) lgkmcnt(0)
	v_and_b32_e32 v1, 0xff, v33
	s_delay_alu instid0(VALU_DEP_1)
	v_cmpx_ne_u16_e32 0, v1
	s_cbranch_execz .LBB356_1819
; %bb.1812:                             ;   in Loop: Header=BB356_16 Depth=1
	v_bfrev_b32_e32 v17, 1
	s_mov_b32 s22, exec_lo
	v_cmpx_ne_u16_e32 0x80, v1
	s_cbranch_execz .LBB356_1818
; %bb.1813:                             ;   in Loop: Header=BB356_16 Depth=1
	v_and_b32_e32 v7, 0x7f, v33
	v_mov_b32_e32 v17, 0x7fc02000
	s_mov_b32 s23, exec_lo
	s_delay_alu instid0(VALU_DEP_2)
	v_cmpx_ne_u32_e32 0x7f, v7
	s_cbranch_execz .LBB356_1817
; %bb.1814:                             ;   in Loop: Header=BB356_16 Depth=1
	v_lshrrev_b32_e32 v1, 3, v7
	v_dual_mov_b32 v36, v34 :: v_dual_mov_b32 v35, v33
	s_mov_b32 s24, exec_lo
	v_cmpx_gt_u32_e32 8, v7
; %bb.1815:                             ;   in Loop: Header=BB356_16 Depth=1
	v_and_b32_e32 v1, 7, v33
	s_delay_alu instid0(VALU_DEP_1) | instskip(NEXT) | instid1(VALU_DEP_1)
	v_clz_i32_u32_e32 v1, v1
	v_min_u32_e32 v1, 32, v1
	s_delay_alu instid0(VALU_DEP_1) | instskip(SKIP_1) | instid1(VALU_DEP_2)
	v_subrev_nc_u32_e32 v7, 28, v1
	v_sub_nc_u32_e32 v1, 29, v1
	v_lshlrev_b64 v[35:36], v7, v[33:34]
; %bb.1816:                             ;   in Loop: Header=BB356_16 Depth=1
	s_or_b32 exec_lo, exec_lo, s24
	v_lshlrev_b32_e32 v7, 8, v33
	s_delay_alu instid0(VALU_DEP_3) | instskip(NEXT) | instid1(VALU_DEP_3)
	v_lshl_add_u32 v1, v1, 10, 0x2000
	v_lshlrev_b32_e32 v14, 7, v35
	s_delay_alu instid0(VALU_DEP_2) | instskip(NEXT) | instid1(VALU_DEP_1)
	v_and_or_b32 v1, 0x8000, v7, v1
	v_and_or_b32 v1, 0x380, v14, v1
	s_delay_alu instid0(VALU_DEP_1)
	v_cvt_f32_f16_e32 v17, v1
.LBB356_1817:                           ;   in Loop: Header=BB356_16 Depth=1
	s_or_b32 exec_lo, exec_lo, s23
.LBB356_1818:                           ;   in Loop: Header=BB356_16 Depth=1
	s_delay_alu instid0(SALU_CYCLE_1)
	s_or_b32 exec_lo, exec_lo, s22
.LBB356_1819:                           ;   in Loop: Header=BB356_16 Depth=1
	s_delay_alu instid0(SALU_CYCLE_1) | instskip(SKIP_2) | instid1(VALU_DEP_1)
	s_or_b32 exec_lo, exec_lo, s21
	v_lshrrev_b16 v1, 8, v33
	s_mov_b32 s21, exec_lo
	v_cmpx_ne_u16_e32 0, v1
	s_cbranch_execz .LBB356_1827
; %bb.1820:                             ;   in Loop: Header=BB356_16 Depth=1
	v_bfrev_b32_e32 v25, 1
	s_mov_b32 s22, exec_lo
	v_cmpx_ne_u16_e32 0x80, v1
	s_cbranch_execz .LBB356_1826
; %bb.1821:                             ;   in Loop: Header=BB356_16 Depth=1
	v_and_b32_e32 v1, 0xffff, v1
	v_mov_b32_e32 v25, 0x7fc02000
	s_mov_b32 s23, exec_lo
	s_delay_alu instid0(VALU_DEP_2) | instskip(NEXT) | instid1(VALU_DEP_1)
	v_and_b32_e32 v15, 0x7f, v1
	v_cmpx_ne_u32_e32 0x7f, v15
	s_cbranch_execz .LBB356_1825
; %bb.1822:                             ;   in Loop: Header=BB356_16 Depth=1
	v_and_b32_e32 v7, 7, v1
	v_mov_b32_e32 v36, v8
	v_lshrrev_b32_e32 v14, 3, v15
	s_mov_b32 s24, exec_lo
	s_delay_alu instid0(VALU_DEP_3)
	v_mov_b32_e32 v35, v7
	v_cmpx_gt_u32_e32 8, v15
; %bb.1823:                             ;   in Loop: Header=BB356_16 Depth=1
	v_clz_i32_u32_e32 v14, v7
	s_delay_alu instid0(VALU_DEP_1) | instskip(NEXT) | instid1(VALU_DEP_1)
	v_min_u32_e32 v14, 32, v14
	v_subrev_nc_u32_e32 v15, 28, v14
	v_sub_nc_u32_e32 v14, 29, v14
	s_delay_alu instid0(VALU_DEP_2) | instskip(NEXT) | instid1(VALU_DEP_1)
	v_lshlrev_b64 v[18:19], v15, v[7:8]
	v_and_b32_e32 v35, 7, v18
; %bb.1824:                             ;   in Loop: Header=BB356_16 Depth=1
	s_or_b32 exec_lo, exec_lo, s24
	v_lshlrev_b32_e32 v1, 8, v1
	v_lshl_add_u32 v7, v14, 10, 0x2000
	s_delay_alu instid0(VALU_DEP_1) | instskip(NEXT) | instid1(VALU_DEP_1)
	v_and_or_b32 v1, 0x8000, v1, v7
	v_lshl_or_b32 v1, v35, 7, v1
	s_delay_alu instid0(VALU_DEP_1)
	v_cvt_f32_f16_e32 v25, v1
.LBB356_1825:                           ;   in Loop: Header=BB356_16 Depth=1
	s_or_b32 exec_lo, exec_lo, s23
.LBB356_1826:                           ;   in Loop: Header=BB356_16 Depth=1
	s_delay_alu instid0(SALU_CYCLE_1)
	s_or_b32 exec_lo, exec_lo, s22
.LBB356_1827:                           ;   in Loop: Header=BB356_16 Depth=1
	s_delay_alu instid0(SALU_CYCLE_1) | instskip(SKIP_3) | instid1(VALU_DEP_2)
	s_or_b32 exec_lo, exec_lo, s21
	v_lshrrev_b32_e32 v1, 16, v33
	v_mov_b32_e32 v65, 0
	s_mov_b32 s21, exec_lo
	v_dual_mov_b32 v52, 0 :: v_dual_and_b32 v7, 0xff, v1
	s_delay_alu instid0(VALU_DEP_1)
	v_cmpx_ne_u16_e32 0, v7
	s_cbranch_execz .LBB356_1835
; %bb.1828:                             ;   in Loop: Header=BB356_16 Depth=1
	v_bfrev_b32_e32 v52, 1
	s_mov_b32 s22, exec_lo
	v_cmpx_ne_u16_e32 0x80, v7
	s_cbranch_execz .LBB356_1834
; %bb.1829:                             ;   in Loop: Header=BB356_16 Depth=1
	v_bfe_u32 v15, v33, 16, 7
	v_mov_b32_e32 v52, 0x7fc02000
	s_mov_b32 s23, exec_lo
	s_delay_alu instid0(VALU_DEP_2)
	v_cmpx_ne_u32_e32 0x7f, v15
	s_cbranch_execz .LBB356_1833
; %bb.1830:                             ;   in Loop: Header=BB356_16 Depth=1
	v_and_b32_e32 v7, 7, v1
	v_mov_b32_e32 v36, v8
	v_lshrrev_b32_e32 v14, 3, v15
	s_mov_b32 s24, exec_lo
	s_delay_alu instid0(VALU_DEP_3)
	v_mov_b32_e32 v35, v7
	v_cmpx_gt_u32_e32 8, v15
; %bb.1831:                             ;   in Loop: Header=BB356_16 Depth=1
	v_clz_i32_u32_e32 v14, v7
	s_delay_alu instid0(VALU_DEP_1) | instskip(NEXT) | instid1(VALU_DEP_1)
	v_min_u32_e32 v14, 32, v14
	v_subrev_nc_u32_e32 v15, 28, v14
	v_sub_nc_u32_e32 v14, 29, v14
	s_delay_alu instid0(VALU_DEP_2) | instskip(NEXT) | instid1(VALU_DEP_1)
	v_lshlrev_b64 v[18:19], v15, v[7:8]
	v_and_b32_e32 v35, 7, v18
; %bb.1832:                             ;   in Loop: Header=BB356_16 Depth=1
	s_or_b32 exec_lo, exec_lo, s24
	v_lshlrev_b32_e32 v1, 8, v1
	v_lshl_add_u32 v7, v14, 10, 0x2000
	s_delay_alu instid0(VALU_DEP_1) | instskip(NEXT) | instid1(VALU_DEP_1)
	v_and_or_b32 v1, 0x8000, v1, v7
	v_lshl_or_b32 v1, v35, 7, v1
	s_delay_alu instid0(VALU_DEP_1)
	v_cvt_f32_f16_e32 v52, v1
.LBB356_1833:                           ;   in Loop: Header=BB356_16 Depth=1
	s_or_b32 exec_lo, exec_lo, s23
.LBB356_1834:                           ;   in Loop: Header=BB356_16 Depth=1
	s_delay_alu instid0(SALU_CYCLE_1)
	s_or_b32 exec_lo, exec_lo, s22
.LBB356_1835:                           ;   in Loop: Header=BB356_16 Depth=1
	s_delay_alu instid0(SALU_CYCLE_1) | instskip(NEXT) | instid1(SALU_CYCLE_1)
	s_or_b32 exec_lo, exec_lo, s21
	s_mov_b32 s21, exec_lo
	v_cmpx_lt_u32_e32 0xffffff, v33
	s_cbranch_execz .LBB356_1843
; %bb.1836:                             ;   in Loop: Header=BB356_16 Depth=1
	v_lshrrev_b32_e32 v1, 24, v33
	v_bfrev_b32_e32 v65, 1
	s_mov_b32 s22, exec_lo
	s_delay_alu instid0(VALU_DEP_2)
	v_cmpx_ne_u32_e32 0x80, v1
	s_cbranch_execz .LBB356_1842
; %bb.1837:                             ;   in Loop: Header=BB356_16 Depth=1
	v_and_b32_e32 v15, 0x7f, v1
	v_mov_b32_e32 v65, 0x7fc02000
	s_mov_b32 s23, exec_lo
	s_delay_alu instid0(VALU_DEP_2)
	v_cmpx_ne_u32_e32 0x7f, v15
	s_cbranch_execz .LBB356_1841
; %bb.1838:                             ;   in Loop: Header=BB356_16 Depth=1
	v_and_b32_e32 v7, 7, v1
	v_mov_b32_e32 v36, v8
	v_lshrrev_b32_e32 v14, 3, v15
	s_mov_b32 s24, exec_lo
	s_delay_alu instid0(VALU_DEP_3)
	v_mov_b32_e32 v35, v7
	v_cmpx_gt_u32_e32 8, v15
; %bb.1839:                             ;   in Loop: Header=BB356_16 Depth=1
	v_clz_i32_u32_e32 v14, v7
	s_delay_alu instid0(VALU_DEP_1) | instskip(NEXT) | instid1(VALU_DEP_1)
	v_min_u32_e32 v14, 32, v14
	v_subrev_nc_u32_e32 v15, 28, v14
	v_sub_nc_u32_e32 v14, 29, v14
	s_delay_alu instid0(VALU_DEP_2) | instskip(NEXT) | instid1(VALU_DEP_1)
	v_lshlrev_b64 v[18:19], v15, v[7:8]
	v_and_b32_e32 v35, 7, v18
; %bb.1840:                             ;   in Loop: Header=BB356_16 Depth=1
	s_or_b32 exec_lo, exec_lo, s24
	v_lshlrev_b32_e32 v1, 8, v1
	v_lshl_add_u32 v7, v14, 10, 0x2000
	s_delay_alu instid0(VALU_DEP_1) | instskip(NEXT) | instid1(VALU_DEP_1)
	v_and_or_b32 v1, 0x8000, v1, v7
	v_lshl_or_b32 v1, v35, 7, v1
	s_delay_alu instid0(VALU_DEP_1)
	v_cvt_f32_f16_e32 v65, v1
.LBB356_1841:                           ;   in Loop: Header=BB356_16 Depth=1
	s_or_b32 exec_lo, exec_lo, s23
.LBB356_1842:                           ;   in Loop: Header=BB356_16 Depth=1
	s_delay_alu instid0(SALU_CYCLE_1)
	s_or_b32 exec_lo, exec_lo, s22
.LBB356_1843:                           ;   in Loop: Header=BB356_16 Depth=1
	s_delay_alu instid0(SALU_CYCLE_1)
	s_or_b32 exec_lo, exec_lo, s21
	v_and_b32_e32 v1, 0xff, v34
	v_mov_b32_e32 v7, v34
	v_mov_b32_e32 v83, 0
	;; [unrolled: 1-line block ×3, first 2 shown]
	s_mov_b32 s21, exec_lo
	v_cmpx_ne_u16_e32 0, v1
	s_cbranch_execz .LBB356_1851
; %bb.1844:                             ;   in Loop: Header=BB356_16 Depth=1
	v_bfrev_b32_e32 v69, 1
	s_mov_b32 s22, exec_lo
	v_cmpx_ne_u16_e32 0x80, v1
	s_cbranch_execz .LBB356_1850
; %bb.1845:                             ;   in Loop: Header=BB356_16 Depth=1
	v_and_b32_e32 v14, 0x7f, v34
	v_mov_b32_e32 v69, 0x7fc02000
	s_mov_b32 s23, exec_lo
	s_delay_alu instid0(VALU_DEP_2)
	v_cmpx_ne_u32_e32 0x7f, v14
	s_cbranch_execz .LBB356_1849
; %bb.1846:                             ;   in Loop: Header=BB356_16 Depth=1
	v_dual_mov_b32 v36, v8 :: v_dual_mov_b32 v35, v7
	v_lshrrev_b32_e32 v1, 3, v14
	s_mov_b32 s24, exec_lo
	v_cmpx_gt_u32_e32 8, v14
; %bb.1847:                             ;   in Loop: Header=BB356_16 Depth=1
	v_and_b32_e32 v1, 7, v34
	s_delay_alu instid0(VALU_DEP_1) | instskip(NEXT) | instid1(VALU_DEP_1)
	v_clz_i32_u32_e32 v1, v1
	v_min_u32_e32 v1, 32, v1
	s_delay_alu instid0(VALU_DEP_1) | instskip(SKIP_1) | instid1(VALU_DEP_2)
	v_subrev_nc_u32_e32 v14, 28, v1
	v_sub_nc_u32_e32 v1, 29, v1
	v_lshlrev_b64 v[35:36], v14, v[7:8]
; %bb.1848:                             ;   in Loop: Header=BB356_16 Depth=1
	s_or_b32 exec_lo, exec_lo, s24
	v_lshlrev_b32_e32 v14, 8, v34
	s_delay_alu instid0(VALU_DEP_3) | instskip(NEXT) | instid1(VALU_DEP_3)
	v_lshl_add_u32 v1, v1, 10, 0x2000
	v_lshlrev_b32_e32 v15, 7, v35
	s_delay_alu instid0(VALU_DEP_2) | instskip(NEXT) | instid1(VALU_DEP_1)
	v_and_or_b32 v1, 0x8000, v14, v1
	v_and_or_b32 v1, 0x380, v15, v1
	s_delay_alu instid0(VALU_DEP_1)
	v_cvt_f32_f16_e32 v69, v1
.LBB356_1849:                           ;   in Loop: Header=BB356_16 Depth=1
	s_or_b32 exec_lo, exec_lo, s23
.LBB356_1850:                           ;   in Loop: Header=BB356_16 Depth=1
	s_delay_alu instid0(SALU_CYCLE_1)
	s_or_b32 exec_lo, exec_lo, s22
.LBB356_1851:                           ;   in Loop: Header=BB356_16 Depth=1
	s_delay_alu instid0(SALU_CYCLE_1) | instskip(SKIP_2) | instid1(VALU_DEP_1)
	s_or_b32 exec_lo, exec_lo, s21
	v_lshrrev_b16 v1, 8, v7
	s_mov_b32 s21, exec_lo
	v_cmpx_ne_u16_e32 0, v1
	s_cbranch_execz .LBB356_1859
; %bb.1852:                             ;   in Loop: Header=BB356_16 Depth=1
	v_bfrev_b32_e32 v83, 1
	s_mov_b32 s22, exec_lo
	v_cmpx_ne_u16_e32 0x80, v1
	s_cbranch_execz .LBB356_1858
; %bb.1853:                             ;   in Loop: Header=BB356_16 Depth=1
	v_and_b32_e32 v1, 0xffff, v1
	v_mov_b32_e32 v83, 0x7fc02000
	s_mov_b32 s23, exec_lo
	s_delay_alu instid0(VALU_DEP_2) | instskip(NEXT) | instid1(VALU_DEP_1)
	v_and_b32_e32 v15, 0x7f, v1
	v_cmpx_ne_u32_e32 0x7f, v15
	s_cbranch_execz .LBB356_1857
; %bb.1854:                             ;   in Loop: Header=BB356_16 Depth=1
	v_and_b32_e32 v7, 7, v1
	v_mov_b32_e32 v36, v8
	v_lshrrev_b32_e32 v14, 3, v15
	s_mov_b32 s24, exec_lo
	s_delay_alu instid0(VALU_DEP_3)
	v_mov_b32_e32 v35, v7
	v_cmpx_gt_u32_e32 8, v15
; %bb.1855:                             ;   in Loop: Header=BB356_16 Depth=1
	v_clz_i32_u32_e32 v14, v7
	s_delay_alu instid0(VALU_DEP_1) | instskip(NEXT) | instid1(VALU_DEP_1)
	v_min_u32_e32 v14, 32, v14
	v_subrev_nc_u32_e32 v15, 28, v14
	v_sub_nc_u32_e32 v14, 29, v14
	s_delay_alu instid0(VALU_DEP_2) | instskip(NEXT) | instid1(VALU_DEP_1)
	v_lshlrev_b64 v[18:19], v15, v[7:8]
	v_and_b32_e32 v35, 7, v18
; %bb.1856:                             ;   in Loop: Header=BB356_16 Depth=1
	s_or_b32 exec_lo, exec_lo, s24
	v_lshlrev_b32_e32 v1, 8, v1
	v_lshl_add_u32 v7, v14, 10, 0x2000
	s_delay_alu instid0(VALU_DEP_1) | instskip(NEXT) | instid1(VALU_DEP_1)
	v_and_or_b32 v1, 0x8000, v1, v7
	v_lshl_or_b32 v1, v35, 7, v1
	s_delay_alu instid0(VALU_DEP_1)
	v_cvt_f32_f16_e32 v83, v1
.LBB356_1857:                           ;   in Loop: Header=BB356_16 Depth=1
	s_or_b32 exec_lo, exec_lo, s23
.LBB356_1858:                           ;   in Loop: Header=BB356_16 Depth=1
	s_delay_alu instid0(SALU_CYCLE_1)
	s_or_b32 exec_lo, exec_lo, s22
.LBB356_1859:                           ;   in Loop: Header=BB356_16 Depth=1
	s_delay_alu instid0(SALU_CYCLE_1) | instskip(SKIP_3) | instid1(VALU_DEP_2)
	s_or_b32 exec_lo, exec_lo, s21
	v_lshrrev_b32_e32 v1, 16, v34
	v_mov_b32_e32 v97, 0
	s_mov_b32 s21, exec_lo
	v_dual_mov_b32 v84, 0 :: v_dual_and_b32 v7, 0xff, v1
	s_delay_alu instid0(VALU_DEP_1)
	v_cmpx_ne_u16_e32 0, v7
	s_cbranch_execz .LBB356_1867
; %bb.1860:                             ;   in Loop: Header=BB356_16 Depth=1
	v_bfrev_b32_e32 v97, 1
	s_mov_b32 s22, exec_lo
	v_cmpx_ne_u16_e32 0x80, v7
	s_cbranch_execz .LBB356_1866
; %bb.1861:                             ;   in Loop: Header=BB356_16 Depth=1
	v_bfe_u32 v15, v34, 16, 7
	v_mov_b32_e32 v97, 0x7fc02000
	s_mov_b32 s23, exec_lo
	s_delay_alu instid0(VALU_DEP_2)
	v_cmpx_ne_u32_e32 0x7f, v15
	s_cbranch_execz .LBB356_1865
; %bb.1862:                             ;   in Loop: Header=BB356_16 Depth=1
	v_and_b32_e32 v7, 7, v1
	v_mov_b32_e32 v36, v8
	v_lshrrev_b32_e32 v14, 3, v15
	s_mov_b32 s24, exec_lo
	s_delay_alu instid0(VALU_DEP_3)
	v_mov_b32_e32 v35, v7
	v_cmpx_gt_u32_e32 8, v15
; %bb.1863:                             ;   in Loop: Header=BB356_16 Depth=1
	v_clz_i32_u32_e32 v14, v7
	s_delay_alu instid0(VALU_DEP_1) | instskip(NEXT) | instid1(VALU_DEP_1)
	v_min_u32_e32 v14, 32, v14
	v_subrev_nc_u32_e32 v15, 28, v14
	v_sub_nc_u32_e32 v14, 29, v14
	s_delay_alu instid0(VALU_DEP_2) | instskip(NEXT) | instid1(VALU_DEP_1)
	v_lshlrev_b64 v[18:19], v15, v[7:8]
	v_and_b32_e32 v35, 7, v18
; %bb.1864:                             ;   in Loop: Header=BB356_16 Depth=1
	s_or_b32 exec_lo, exec_lo, s24
	v_lshlrev_b32_e32 v1, 8, v1
	v_lshl_add_u32 v7, v14, 10, 0x2000
	s_delay_alu instid0(VALU_DEP_1) | instskip(NEXT) | instid1(VALU_DEP_1)
	v_and_or_b32 v1, 0x8000, v1, v7
	v_lshl_or_b32 v1, v35, 7, v1
	s_delay_alu instid0(VALU_DEP_1)
	v_cvt_f32_f16_e32 v97, v1
.LBB356_1865:                           ;   in Loop: Header=BB356_16 Depth=1
	s_or_b32 exec_lo, exec_lo, s23
.LBB356_1866:                           ;   in Loop: Header=BB356_16 Depth=1
	s_delay_alu instid0(SALU_CYCLE_1)
	s_or_b32 exec_lo, exec_lo, s22
.LBB356_1867:                           ;   in Loop: Header=BB356_16 Depth=1
	s_delay_alu instid0(SALU_CYCLE_1) | instskip(NEXT) | instid1(SALU_CYCLE_1)
	s_or_b32 exec_lo, exec_lo, s21
	s_mov_b32 s21, exec_lo
	v_cmpx_lt_u64_e64 s[8:9], v[33:34]
	s_cbranch_execz .LBB356_1875
; %bb.1868:                             ;   in Loop: Header=BB356_16 Depth=1
	v_lshrrev_b32_e32 v1, 24, v34
	v_bfrev_b32_e32 v84, 1
	s_mov_b32 s22, exec_lo
	s_delay_alu instid0(VALU_DEP_2)
	v_cmpx_ne_u32_e32 0x80, v1
	s_cbranch_execz .LBB356_1874
; %bb.1869:                             ;   in Loop: Header=BB356_16 Depth=1
	v_and_b32_e32 v15, 0x7f, v1
	v_mov_b32_e32 v84, 0x7fc02000
	s_mov_b32 s23, exec_lo
	s_delay_alu instid0(VALU_DEP_2)
	v_cmpx_ne_u32_e32 0x7f, v15
	s_cbranch_execz .LBB356_1873
; %bb.1870:                             ;   in Loop: Header=BB356_16 Depth=1
	v_and_b32_e32 v7, 7, v1
	v_mov_b32_e32 v34, v8
	v_lshrrev_b32_e32 v14, 3, v15
	s_mov_b32 s24, exec_lo
	s_delay_alu instid0(VALU_DEP_3)
	v_mov_b32_e32 v33, v7
	v_cmpx_gt_u32_e32 8, v15
; %bb.1871:                             ;   in Loop: Header=BB356_16 Depth=1
	v_clz_i32_u32_e32 v14, v7
	s_delay_alu instid0(VALU_DEP_1) | instskip(NEXT) | instid1(VALU_DEP_1)
	v_min_u32_e32 v14, 32, v14
	v_subrev_nc_u32_e32 v15, 28, v14
	v_sub_nc_u32_e32 v14, 29, v14
	s_delay_alu instid0(VALU_DEP_2) | instskip(NEXT) | instid1(VALU_DEP_1)
	v_lshlrev_b64 v[18:19], v15, v[7:8]
	v_and_b32_e32 v33, 7, v18
; %bb.1872:                             ;   in Loop: Header=BB356_16 Depth=1
	s_or_b32 exec_lo, exec_lo, s24
	v_lshlrev_b32_e32 v1, 8, v1
	v_lshl_add_u32 v7, v14, 10, 0x2000
	s_delay_alu instid0(VALU_DEP_1) | instskip(NEXT) | instid1(VALU_DEP_1)
	v_and_or_b32 v1, 0x8000, v1, v7
	v_lshl_or_b32 v1, v33, 7, v1
	s_delay_alu instid0(VALU_DEP_1)
	v_cvt_f32_f16_e32 v84, v1
.LBB356_1873:                           ;   in Loop: Header=BB356_16 Depth=1
	s_or_b32 exec_lo, exec_lo, s23
.LBB356_1874:                           ;   in Loop: Header=BB356_16 Depth=1
	s_delay_alu instid0(SALU_CYCLE_1)
	s_or_b32 exec_lo, exec_lo, s22
.LBB356_1875:                           ;   in Loop: Header=BB356_16 Depth=1
	s_delay_alu instid0(SALU_CYCLE_1)
	s_or_b32 exec_lo, exec_lo, s21
	flat_load_b64 v[33:34], v[31:32] offset:3080
	v_mov_b32_e32 v99, 0
	s_mov_b32 s21, exec_lo
	s_waitcnt vmcnt(0) lgkmcnt(0)
	v_dual_mov_b32 v98, 0 :: v_dual_and_b32 v1, 0xff, v33
	s_delay_alu instid0(VALU_DEP_1)
	v_cmpx_ne_u16_e32 0, v1
	s_cbranch_execz .LBB356_1883
; %bb.1876:                             ;   in Loop: Header=BB356_16 Depth=1
	v_bfrev_b32_e32 v98, 1
	s_mov_b32 s22, exec_lo
	v_cmpx_ne_u16_e32 0x80, v1
	s_cbranch_execz .LBB356_1882
; %bb.1877:                             ;   in Loop: Header=BB356_16 Depth=1
	v_and_b32_e32 v7, 0x7f, v33
	v_mov_b32_e32 v98, 0x7fc02000
	s_mov_b32 s23, exec_lo
	s_delay_alu instid0(VALU_DEP_2)
	v_cmpx_ne_u32_e32 0x7f, v7
	s_cbranch_execz .LBB356_1881
; %bb.1878:                             ;   in Loop: Header=BB356_16 Depth=1
	v_lshrrev_b32_e32 v1, 3, v7
	v_dual_mov_b32 v36, v34 :: v_dual_mov_b32 v35, v33
	s_mov_b32 s24, exec_lo
	v_cmpx_gt_u32_e32 8, v7
; %bb.1879:                             ;   in Loop: Header=BB356_16 Depth=1
	v_and_b32_e32 v1, 7, v33
	s_delay_alu instid0(VALU_DEP_1) | instskip(NEXT) | instid1(VALU_DEP_1)
	v_clz_i32_u32_e32 v1, v1
	v_min_u32_e32 v1, 32, v1
	s_delay_alu instid0(VALU_DEP_1) | instskip(SKIP_1) | instid1(VALU_DEP_2)
	v_subrev_nc_u32_e32 v7, 28, v1
	v_sub_nc_u32_e32 v1, 29, v1
	v_lshlrev_b64 v[35:36], v7, v[33:34]
; %bb.1880:                             ;   in Loop: Header=BB356_16 Depth=1
	s_or_b32 exec_lo, exec_lo, s24
	v_lshlrev_b32_e32 v7, 8, v33
	s_delay_alu instid0(VALU_DEP_3) | instskip(NEXT) | instid1(VALU_DEP_3)
	v_lshl_add_u32 v1, v1, 10, 0x2000
	v_lshlrev_b32_e32 v14, 7, v35
	s_delay_alu instid0(VALU_DEP_2) | instskip(NEXT) | instid1(VALU_DEP_1)
	v_and_or_b32 v1, 0x8000, v7, v1
	v_and_or_b32 v1, 0x380, v14, v1
	s_delay_alu instid0(VALU_DEP_1)
	v_cvt_f32_f16_e32 v98, v1
.LBB356_1881:                           ;   in Loop: Header=BB356_16 Depth=1
	s_or_b32 exec_lo, exec_lo, s23
.LBB356_1882:                           ;   in Loop: Header=BB356_16 Depth=1
	s_delay_alu instid0(SALU_CYCLE_1)
	s_or_b32 exec_lo, exec_lo, s22
.LBB356_1883:                           ;   in Loop: Header=BB356_16 Depth=1
	s_delay_alu instid0(SALU_CYCLE_1) | instskip(SKIP_2) | instid1(VALU_DEP_1)
	s_or_b32 exec_lo, exec_lo, s21
	v_lshrrev_b16 v1, 8, v33
	s_mov_b32 s21, exec_lo
	v_cmpx_ne_u16_e32 0, v1
	s_cbranch_execz .LBB356_1891
; %bb.1884:                             ;   in Loop: Header=BB356_16 Depth=1
	v_bfrev_b32_e32 v99, 1
	s_mov_b32 s22, exec_lo
	v_cmpx_ne_u16_e32 0x80, v1
	s_cbranch_execz .LBB356_1890
; %bb.1885:                             ;   in Loop: Header=BB356_16 Depth=1
	v_and_b32_e32 v1, 0xffff, v1
	v_mov_b32_e32 v99, 0x7fc02000
	s_mov_b32 s23, exec_lo
	s_delay_alu instid0(VALU_DEP_2) | instskip(NEXT) | instid1(VALU_DEP_1)
	v_and_b32_e32 v15, 0x7f, v1
	v_cmpx_ne_u32_e32 0x7f, v15
	s_cbranch_execz .LBB356_1889
; %bb.1886:                             ;   in Loop: Header=BB356_16 Depth=1
	v_and_b32_e32 v7, 7, v1
	v_mov_b32_e32 v36, v8
	v_lshrrev_b32_e32 v14, 3, v15
	s_mov_b32 s24, exec_lo
	s_delay_alu instid0(VALU_DEP_3)
	v_mov_b32_e32 v35, v7
	v_cmpx_gt_u32_e32 8, v15
; %bb.1887:                             ;   in Loop: Header=BB356_16 Depth=1
	v_clz_i32_u32_e32 v14, v7
	s_delay_alu instid0(VALU_DEP_1) | instskip(NEXT) | instid1(VALU_DEP_1)
	v_min_u32_e32 v14, 32, v14
	v_subrev_nc_u32_e32 v15, 28, v14
	v_sub_nc_u32_e32 v14, 29, v14
	s_delay_alu instid0(VALU_DEP_2) | instskip(NEXT) | instid1(VALU_DEP_1)
	v_lshlrev_b64 v[18:19], v15, v[7:8]
	v_and_b32_e32 v35, 7, v18
; %bb.1888:                             ;   in Loop: Header=BB356_16 Depth=1
	s_or_b32 exec_lo, exec_lo, s24
	v_lshlrev_b32_e32 v1, 8, v1
	v_lshl_add_u32 v7, v14, 10, 0x2000
	s_delay_alu instid0(VALU_DEP_1) | instskip(NEXT) | instid1(VALU_DEP_1)
	v_and_or_b32 v1, 0x8000, v1, v7
	v_lshl_or_b32 v1, v35, 7, v1
	s_delay_alu instid0(VALU_DEP_1)
	v_cvt_f32_f16_e32 v99, v1
.LBB356_1889:                           ;   in Loop: Header=BB356_16 Depth=1
	s_or_b32 exec_lo, exec_lo, s23
.LBB356_1890:                           ;   in Loop: Header=BB356_16 Depth=1
	s_delay_alu instid0(SALU_CYCLE_1)
	s_or_b32 exec_lo, exec_lo, s22
.LBB356_1891:                           ;   in Loop: Header=BB356_16 Depth=1
	s_delay_alu instid0(SALU_CYCLE_1) | instskip(SKIP_3) | instid1(VALU_DEP_2)
	s_or_b32 exec_lo, exec_lo, s21
	v_lshrrev_b32_e32 v14, 16, v33
	v_mov_b32_e32 v1, 0
	s_mov_b32 s21, exec_lo
	v_dual_mov_b32 v100, 0 :: v_dual_and_b32 v7, 0xff, v14
	s_delay_alu instid0(VALU_DEP_1)
	v_cmpx_ne_u16_e32 0, v7
	s_cbranch_execz .LBB356_1899
; %bb.1892:                             ;   in Loop: Header=BB356_16 Depth=1
	v_bfrev_b32_e32 v1, 1
	s_mov_b32 s22, exec_lo
	v_cmpx_ne_u16_e32 0x80, v7
	s_cbranch_execz .LBB356_1898
; %bb.1893:                             ;   in Loop: Header=BB356_16 Depth=1
	v_bfe_u32 v15, v33, 16, 7
	v_mov_b32_e32 v1, 0x7fc02000
	s_mov_b32 s23, exec_lo
	s_delay_alu instid0(VALU_DEP_2)
	v_cmpx_ne_u32_e32 0x7f, v15
	s_cbranch_execz .LBB356_1897
; %bb.1894:                             ;   in Loop: Header=BB356_16 Depth=1
	v_and_b32_e32 v7, 7, v14
	v_mov_b32_e32 v36, v8
	v_lshrrev_b32_e32 v1, 3, v15
	s_mov_b32 s24, exec_lo
	s_delay_alu instid0(VALU_DEP_3)
	v_mov_b32_e32 v35, v7
	v_cmpx_gt_u32_e32 8, v15
; %bb.1895:                             ;   in Loop: Header=BB356_16 Depth=1
	v_clz_i32_u32_e32 v1, v7
	s_delay_alu instid0(VALU_DEP_1) | instskip(NEXT) | instid1(VALU_DEP_1)
	v_min_u32_e32 v1, 32, v1
	v_subrev_nc_u32_e32 v15, 28, v1
	v_sub_nc_u32_e32 v1, 29, v1
	s_delay_alu instid0(VALU_DEP_2) | instskip(NEXT) | instid1(VALU_DEP_1)
	v_lshlrev_b64 v[18:19], v15, v[7:8]
	v_and_b32_e32 v35, 7, v18
; %bb.1896:                             ;   in Loop: Header=BB356_16 Depth=1
	s_or_b32 exec_lo, exec_lo, s24
	v_lshlrev_b32_e32 v7, 8, v14
	v_lshl_add_u32 v1, v1, 10, 0x2000
	s_delay_alu instid0(VALU_DEP_1) | instskip(NEXT) | instid1(VALU_DEP_1)
	v_and_or_b32 v1, 0x8000, v7, v1
	v_lshl_or_b32 v1, v35, 7, v1
	s_delay_alu instid0(VALU_DEP_1)
	v_cvt_f32_f16_e32 v1, v1
.LBB356_1897:                           ;   in Loop: Header=BB356_16 Depth=1
	s_or_b32 exec_lo, exec_lo, s23
.LBB356_1898:                           ;   in Loop: Header=BB356_16 Depth=1
	s_delay_alu instid0(SALU_CYCLE_1)
	s_or_b32 exec_lo, exec_lo, s22
.LBB356_1899:                           ;   in Loop: Header=BB356_16 Depth=1
	s_delay_alu instid0(SALU_CYCLE_1) | instskip(NEXT) | instid1(SALU_CYCLE_1)
	s_or_b32 exec_lo, exec_lo, s21
	s_mov_b32 s21, exec_lo
	v_cmpx_lt_u32_e32 0xffffff, v33
	s_cbranch_execz .LBB356_1907
; %bb.1900:                             ;   in Loop: Header=BB356_16 Depth=1
	v_lshrrev_b32_e32 v14, 24, v33
	v_bfrev_b32_e32 v100, 1
	s_mov_b32 s22, exec_lo
	s_delay_alu instid0(VALU_DEP_2)
	v_cmpx_ne_u32_e32 0x80, v14
	s_cbranch_execz .LBB356_1906
; %bb.1901:                             ;   in Loop: Header=BB356_16 Depth=1
	v_and_b32_e32 v18, 0x7f, v14
	v_mov_b32_e32 v100, 0x7fc02000
	s_mov_b32 s23, exec_lo
	s_delay_alu instid0(VALU_DEP_2)
	v_cmpx_ne_u32_e32 0x7f, v18
	s_cbranch_execz .LBB356_1905
; %bb.1902:                             ;   in Loop: Header=BB356_16 Depth=1
	v_and_b32_e32 v7, 7, v14
	v_mov_b32_e32 v36, v8
	v_lshrrev_b32_e32 v15, 3, v18
	s_mov_b32 s24, exec_lo
	s_delay_alu instid0(VALU_DEP_3)
	v_mov_b32_e32 v35, v7
	v_cmpx_gt_u32_e32 8, v18
; %bb.1903:                             ;   in Loop: Header=BB356_16 Depth=1
	v_clz_i32_u32_e32 v15, v7
	s_delay_alu instid0(VALU_DEP_1) | instskip(NEXT) | instid1(VALU_DEP_1)
	v_min_u32_e32 v15, 32, v15
	v_subrev_nc_u32_e32 v18, 28, v15
	v_sub_nc_u32_e32 v15, 29, v15
	s_delay_alu instid0(VALU_DEP_2) | instskip(NEXT) | instid1(VALU_DEP_1)
	v_lshlrev_b64 v[18:19], v18, v[7:8]
	v_and_b32_e32 v35, 7, v18
; %bb.1904:                             ;   in Loop: Header=BB356_16 Depth=1
	s_or_b32 exec_lo, exec_lo, s24
	v_lshlrev_b32_e32 v7, 8, v14
	v_lshl_add_u32 v14, v15, 10, 0x2000
	s_delay_alu instid0(VALU_DEP_1) | instskip(NEXT) | instid1(VALU_DEP_1)
	v_and_or_b32 v7, 0x8000, v7, v14
	v_lshl_or_b32 v7, v35, 7, v7
	s_delay_alu instid0(VALU_DEP_1)
	v_cvt_f32_f16_e32 v100, v7
.LBB356_1905:                           ;   in Loop: Header=BB356_16 Depth=1
	s_or_b32 exec_lo, exec_lo, s23
.LBB356_1906:                           ;   in Loop: Header=BB356_16 Depth=1
	s_delay_alu instid0(SALU_CYCLE_1)
	s_or_b32 exec_lo, exec_lo, s22
.LBB356_1907:                           ;   in Loop: Header=BB356_16 Depth=1
	s_delay_alu instid0(SALU_CYCLE_1) | instskip(SKIP_3) | instid1(VALU_DEP_2)
	s_or_b32 exec_lo, exec_lo, s21
	v_dual_mov_b32 v7, v34 :: v_dual_and_b32 v14, 0xff, v34
	v_dual_mov_b32 v113, 0 :: v_dual_mov_b32 v112, 0
	s_mov_b32 s21, exec_lo
	v_cmpx_ne_u16_e32 0, v14
	s_cbranch_execz .LBB356_1915
; %bb.1908:                             ;   in Loop: Header=BB356_16 Depth=1
	v_bfrev_b32_e32 v112, 1
	s_mov_b32 s22, exec_lo
	v_cmpx_ne_u16_e32 0x80, v14
	s_cbranch_execz .LBB356_1914
; %bb.1909:                             ;   in Loop: Header=BB356_16 Depth=1
	v_and_b32_e32 v15, 0x7f, v34
	v_mov_b32_e32 v112, 0x7fc02000
	s_mov_b32 s23, exec_lo
	s_delay_alu instid0(VALU_DEP_2)
	v_cmpx_ne_u32_e32 0x7f, v15
	s_cbranch_execz .LBB356_1913
; %bb.1910:                             ;   in Loop: Header=BB356_16 Depth=1
	v_dual_mov_b32 v36, v8 :: v_dual_mov_b32 v35, v7
	v_lshrrev_b32_e32 v14, 3, v15
	s_mov_b32 s24, exec_lo
	v_cmpx_gt_u32_e32 8, v15
; %bb.1911:                             ;   in Loop: Header=BB356_16 Depth=1
	v_and_b32_e32 v14, 7, v34
	s_delay_alu instid0(VALU_DEP_1) | instskip(NEXT) | instid1(VALU_DEP_1)
	v_clz_i32_u32_e32 v14, v14
	v_min_u32_e32 v14, 32, v14
	s_delay_alu instid0(VALU_DEP_1) | instskip(SKIP_1) | instid1(VALU_DEP_2)
	v_subrev_nc_u32_e32 v15, 28, v14
	v_sub_nc_u32_e32 v14, 29, v14
	v_lshlrev_b64 v[35:36], v15, v[7:8]
; %bb.1912:                             ;   in Loop: Header=BB356_16 Depth=1
	s_or_b32 exec_lo, exec_lo, s24
	v_lshlrev_b32_e32 v15, 8, v34
	s_delay_alu instid0(VALU_DEP_3) | instskip(NEXT) | instid1(VALU_DEP_3)
	v_lshl_add_u32 v14, v14, 10, 0x2000
	v_lshlrev_b32_e32 v18, 7, v35
	s_delay_alu instid0(VALU_DEP_2) | instskip(NEXT) | instid1(VALU_DEP_1)
	v_and_or_b32 v14, 0x8000, v15, v14
	v_and_or_b32 v14, 0x380, v18, v14
	s_delay_alu instid0(VALU_DEP_1)
	v_cvt_f32_f16_e32 v112, v14
.LBB356_1913:                           ;   in Loop: Header=BB356_16 Depth=1
	s_or_b32 exec_lo, exec_lo, s23
.LBB356_1914:                           ;   in Loop: Header=BB356_16 Depth=1
	s_delay_alu instid0(SALU_CYCLE_1)
	s_or_b32 exec_lo, exec_lo, s22
.LBB356_1915:                           ;   in Loop: Header=BB356_16 Depth=1
	s_delay_alu instid0(SALU_CYCLE_1) | instskip(SKIP_2) | instid1(VALU_DEP_1)
	s_or_b32 exec_lo, exec_lo, s21
	v_lshrrev_b16 v7, 8, v7
	s_mov_b32 s21, exec_lo
	v_cmpx_ne_u16_e32 0, v7
	s_cbranch_execz .LBB356_1923
; %bb.1916:                             ;   in Loop: Header=BB356_16 Depth=1
	v_bfrev_b32_e32 v113, 1
	s_mov_b32 s22, exec_lo
	v_cmpx_ne_u16_e32 0x80, v7
	s_cbranch_execz .LBB356_1922
; %bb.1917:                             ;   in Loop: Header=BB356_16 Depth=1
	v_and_b32_e32 v14, 0xffff, v7
	v_mov_b32_e32 v113, 0x7fc02000
	s_mov_b32 s23, exec_lo
	s_delay_alu instid0(VALU_DEP_2) | instskip(NEXT) | instid1(VALU_DEP_1)
	v_and_b32_e32 v18, 0x7f, v14
	v_cmpx_ne_u32_e32 0x7f, v18
	s_cbranch_execz .LBB356_1921
; %bb.1918:                             ;   in Loop: Header=BB356_16 Depth=1
	v_and_b32_e32 v7, 7, v14
	v_mov_b32_e32 v36, v8
	v_lshrrev_b32_e32 v15, 3, v18
	s_mov_b32 s24, exec_lo
	s_delay_alu instid0(VALU_DEP_3)
	v_mov_b32_e32 v35, v7
	v_cmpx_gt_u32_e32 8, v18
; %bb.1919:                             ;   in Loop: Header=BB356_16 Depth=1
	v_clz_i32_u32_e32 v15, v7
	s_delay_alu instid0(VALU_DEP_1) | instskip(NEXT) | instid1(VALU_DEP_1)
	v_min_u32_e32 v15, 32, v15
	v_subrev_nc_u32_e32 v18, 28, v15
	v_sub_nc_u32_e32 v15, 29, v15
	s_delay_alu instid0(VALU_DEP_2) | instskip(NEXT) | instid1(VALU_DEP_1)
	v_lshlrev_b64 v[18:19], v18, v[7:8]
	v_and_b32_e32 v35, 7, v18
; %bb.1920:                             ;   in Loop: Header=BB356_16 Depth=1
	s_or_b32 exec_lo, exec_lo, s24
	v_lshlrev_b32_e32 v7, 8, v14
	v_lshl_add_u32 v14, v15, 10, 0x2000
	s_delay_alu instid0(VALU_DEP_1) | instskip(NEXT) | instid1(VALU_DEP_1)
	v_and_or_b32 v7, 0x8000, v7, v14
	v_lshl_or_b32 v7, v35, 7, v7
	s_delay_alu instid0(VALU_DEP_1)
	v_cvt_f32_f16_e32 v113, v7
.LBB356_1921:                           ;   in Loop: Header=BB356_16 Depth=1
	s_or_b32 exec_lo, exec_lo, s23
.LBB356_1922:                           ;   in Loop: Header=BB356_16 Depth=1
	s_delay_alu instid0(SALU_CYCLE_1)
	s_or_b32 exec_lo, exec_lo, s22
.LBB356_1923:                           ;   in Loop: Header=BB356_16 Depth=1
	s_delay_alu instid0(SALU_CYCLE_1) | instskip(SKIP_3) | instid1(VALU_DEP_2)
	s_or_b32 exec_lo, exec_lo, s21
	v_lshrrev_b32_e32 v14, 16, v34
	v_mov_b32_e32 v119, 0
	s_mov_b32 s21, exec_lo
	v_dual_mov_b32 v118, 0 :: v_dual_and_b32 v7, 0xff, v14
	s_delay_alu instid0(VALU_DEP_1)
	v_cmpx_ne_u16_e32 0, v7
	s_cbranch_execz .LBB356_1931
; %bb.1924:                             ;   in Loop: Header=BB356_16 Depth=1
	v_bfrev_b32_e32 v119, 1
	s_mov_b32 s22, exec_lo
	v_cmpx_ne_u16_e32 0x80, v7
	s_cbranch_execz .LBB356_1930
; %bb.1925:                             ;   in Loop: Header=BB356_16 Depth=1
	v_bfe_u32 v18, v34, 16, 7
	v_mov_b32_e32 v119, 0x7fc02000
	s_mov_b32 s23, exec_lo
	s_delay_alu instid0(VALU_DEP_2)
	v_cmpx_ne_u32_e32 0x7f, v18
	s_cbranch_execz .LBB356_1929
; %bb.1926:                             ;   in Loop: Header=BB356_16 Depth=1
	v_and_b32_e32 v7, 7, v14
	v_mov_b32_e32 v36, v8
	v_lshrrev_b32_e32 v15, 3, v18
	s_mov_b32 s24, exec_lo
	s_delay_alu instid0(VALU_DEP_3)
	v_mov_b32_e32 v35, v7
	v_cmpx_gt_u32_e32 8, v18
; %bb.1927:                             ;   in Loop: Header=BB356_16 Depth=1
	v_clz_i32_u32_e32 v15, v7
	s_delay_alu instid0(VALU_DEP_1) | instskip(NEXT) | instid1(VALU_DEP_1)
	v_min_u32_e32 v15, 32, v15
	v_subrev_nc_u32_e32 v18, 28, v15
	v_sub_nc_u32_e32 v15, 29, v15
	s_delay_alu instid0(VALU_DEP_2) | instskip(NEXT) | instid1(VALU_DEP_1)
	v_lshlrev_b64 v[18:19], v18, v[7:8]
	v_and_b32_e32 v35, 7, v18
; %bb.1928:                             ;   in Loop: Header=BB356_16 Depth=1
	s_or_b32 exec_lo, exec_lo, s24
	v_lshlrev_b32_e32 v7, 8, v14
	v_lshl_add_u32 v14, v15, 10, 0x2000
	s_delay_alu instid0(VALU_DEP_1) | instskip(NEXT) | instid1(VALU_DEP_1)
	v_and_or_b32 v7, 0x8000, v7, v14
	v_lshl_or_b32 v7, v35, 7, v7
	s_delay_alu instid0(VALU_DEP_1)
	v_cvt_f32_f16_e32 v119, v7
.LBB356_1929:                           ;   in Loop: Header=BB356_16 Depth=1
	s_or_b32 exec_lo, exec_lo, s23
.LBB356_1930:                           ;   in Loop: Header=BB356_16 Depth=1
	s_delay_alu instid0(SALU_CYCLE_1)
	s_or_b32 exec_lo, exec_lo, s22
.LBB356_1931:                           ;   in Loop: Header=BB356_16 Depth=1
	s_delay_alu instid0(SALU_CYCLE_1) | instskip(NEXT) | instid1(SALU_CYCLE_1)
	s_or_b32 exec_lo, exec_lo, s21
	s_mov_b32 s21, exec_lo
	v_cmpx_lt_u64_e64 s[8:9], v[33:34]
	s_cbranch_execz .LBB356_1939
; %bb.1932:                             ;   in Loop: Header=BB356_16 Depth=1
	v_lshrrev_b32_e32 v14, 24, v34
	v_bfrev_b32_e32 v118, 1
	s_mov_b32 s22, exec_lo
	s_delay_alu instid0(VALU_DEP_2)
	v_cmpx_ne_u32_e32 0x80, v14
	s_cbranch_execz .LBB356_1938
; %bb.1933:                             ;   in Loop: Header=BB356_16 Depth=1
	v_and_b32_e32 v18, 0x7f, v14
	v_mov_b32_e32 v118, 0x7fc02000
	s_mov_b32 s23, exec_lo
	s_delay_alu instid0(VALU_DEP_2)
	v_cmpx_ne_u32_e32 0x7f, v18
	s_cbranch_execz .LBB356_1937
; %bb.1934:                             ;   in Loop: Header=BB356_16 Depth=1
	v_and_b32_e32 v7, 7, v14
	v_mov_b32_e32 v34, v8
	v_lshrrev_b32_e32 v15, 3, v18
	s_mov_b32 s24, exec_lo
	s_delay_alu instid0(VALU_DEP_3)
	v_mov_b32_e32 v33, v7
	v_cmpx_gt_u32_e32 8, v18
; %bb.1935:                             ;   in Loop: Header=BB356_16 Depth=1
	v_clz_i32_u32_e32 v15, v7
	s_delay_alu instid0(VALU_DEP_1) | instskip(NEXT) | instid1(VALU_DEP_1)
	v_min_u32_e32 v15, 32, v15
	v_subrev_nc_u32_e32 v18, 28, v15
	v_sub_nc_u32_e32 v15, 29, v15
	s_delay_alu instid0(VALU_DEP_2) | instskip(NEXT) | instid1(VALU_DEP_1)
	v_lshlrev_b64 v[18:19], v18, v[7:8]
	v_and_b32_e32 v33, 7, v18
; %bb.1936:                             ;   in Loop: Header=BB356_16 Depth=1
	s_or_b32 exec_lo, exec_lo, s24
	v_lshlrev_b32_e32 v7, 8, v14
	v_lshl_add_u32 v14, v15, 10, 0x2000
	s_delay_alu instid0(VALU_DEP_1) | instskip(NEXT) | instid1(VALU_DEP_1)
	v_and_or_b32 v7, 0x8000, v7, v14
	v_lshl_or_b32 v7, v33, 7, v7
	s_delay_alu instid0(VALU_DEP_1)
	v_cvt_f32_f16_e32 v118, v7
.LBB356_1937:                           ;   in Loop: Header=BB356_16 Depth=1
	s_or_b32 exec_lo, exec_lo, s23
.LBB356_1938:                           ;   in Loop: Header=BB356_16 Depth=1
	s_delay_alu instid0(SALU_CYCLE_1)
	s_or_b32 exec_lo, exec_lo, s22
.LBB356_1939:                           ;   in Loop: Header=BB356_16 Depth=1
	s_delay_alu instid0(SALU_CYCLE_1)
	s_or_b32 exec_lo, exec_lo, s21
	flat_load_b64 v[33:34], v[31:32] offset:3584
	v_mov_b32_e32 v147, 0
	v_mov_b32_e32 v145, 0
	s_mov_b32 s21, exec_lo
	s_waitcnt vmcnt(0) lgkmcnt(0)
	v_and_b32_e32 v7, 0xff, v33
	s_delay_alu instid0(VALU_DEP_1)
	v_cmpx_ne_u16_e32 0, v7
	s_cbranch_execz .LBB356_1947
; %bb.1940:                             ;   in Loop: Header=BB356_16 Depth=1
	v_bfrev_b32_e32 v145, 1
	s_mov_b32 s22, exec_lo
	v_cmpx_ne_u16_e32 0x80, v7
	s_cbranch_execz .LBB356_1946
; %bb.1941:                             ;   in Loop: Header=BB356_16 Depth=1
	v_and_b32_e32 v14, 0x7f, v33
	v_mov_b32_e32 v145, 0x7fc02000
	s_mov_b32 s23, exec_lo
	s_delay_alu instid0(VALU_DEP_2)
	v_cmpx_ne_u32_e32 0x7f, v14
	s_cbranch_execz .LBB356_1945
; %bb.1942:                             ;   in Loop: Header=BB356_16 Depth=1
	v_lshrrev_b32_e32 v7, 3, v14
	v_dual_mov_b32 v36, v34 :: v_dual_mov_b32 v35, v33
	s_mov_b32 s24, exec_lo
	v_cmpx_gt_u32_e32 8, v14
; %bb.1943:                             ;   in Loop: Header=BB356_16 Depth=1
	v_and_b32_e32 v7, 7, v33
	s_delay_alu instid0(VALU_DEP_1) | instskip(NEXT) | instid1(VALU_DEP_1)
	v_clz_i32_u32_e32 v7, v7
	v_min_u32_e32 v7, 32, v7
	s_delay_alu instid0(VALU_DEP_1) | instskip(SKIP_1) | instid1(VALU_DEP_2)
	v_subrev_nc_u32_e32 v14, 28, v7
	v_sub_nc_u32_e32 v7, 29, v7
	v_lshlrev_b64 v[35:36], v14, v[33:34]
; %bb.1944:                             ;   in Loop: Header=BB356_16 Depth=1
	s_or_b32 exec_lo, exec_lo, s24
	v_lshlrev_b32_e32 v14, 8, v33
	s_delay_alu instid0(VALU_DEP_3) | instskip(NEXT) | instid1(VALU_DEP_3)
	v_lshl_add_u32 v7, v7, 10, 0x2000
	v_lshlrev_b32_e32 v15, 7, v35
	s_delay_alu instid0(VALU_DEP_2) | instskip(NEXT) | instid1(VALU_DEP_1)
	v_and_or_b32 v7, 0x8000, v14, v7
	v_and_or_b32 v7, 0x380, v15, v7
	s_delay_alu instid0(VALU_DEP_1)
	v_cvt_f32_f16_e64 v145, v7
.LBB356_1945:                           ;   in Loop: Header=BB356_16 Depth=1
	s_or_b32 exec_lo, exec_lo, s23
.LBB356_1946:                           ;   in Loop: Header=BB356_16 Depth=1
	s_delay_alu instid0(SALU_CYCLE_1)
	s_or_b32 exec_lo, exec_lo, s22
.LBB356_1947:                           ;   in Loop: Header=BB356_16 Depth=1
	s_delay_alu instid0(SALU_CYCLE_1) | instskip(SKIP_2) | instid1(VALU_DEP_1)
	s_or_b32 exec_lo, exec_lo, s21
	v_lshrrev_b16 v7, 8, v33
	s_mov_b32 s21, exec_lo
	v_cmpx_ne_u16_e32 0, v7
	s_cbranch_execz .LBB356_1955
; %bb.1948:                             ;   in Loop: Header=BB356_16 Depth=1
	v_bfrev_b32_e32 v147, 1
	s_mov_b32 s22, exec_lo
	v_cmpx_ne_u16_e32 0x80, v7
	s_cbranch_execz .LBB356_1954
; %bb.1949:                             ;   in Loop: Header=BB356_16 Depth=1
	v_and_b32_e32 v14, 0xffff, v7
	v_mov_b32_e32 v147, 0x7fc02000
	s_mov_b32 s23, exec_lo
	s_delay_alu instid0(VALU_DEP_2) | instskip(NEXT) | instid1(VALU_DEP_1)
	v_and_b32_e32 v18, 0x7f, v14
	v_cmpx_ne_u32_e32 0x7f, v18
	s_cbranch_execz .LBB356_1953
; %bb.1950:                             ;   in Loop: Header=BB356_16 Depth=1
	v_and_b32_e32 v7, 7, v14
	v_mov_b32_e32 v36, v8
	v_lshrrev_b32_e32 v15, 3, v18
	s_mov_b32 s24, exec_lo
	s_delay_alu instid0(VALU_DEP_3)
	v_mov_b32_e32 v35, v7
	v_cmpx_gt_u32_e32 8, v18
; %bb.1951:                             ;   in Loop: Header=BB356_16 Depth=1
	v_clz_i32_u32_e32 v15, v7
	s_delay_alu instid0(VALU_DEP_1) | instskip(NEXT) | instid1(VALU_DEP_1)
	v_min_u32_e32 v15, 32, v15
	v_subrev_nc_u32_e32 v18, 28, v15
	v_sub_nc_u32_e32 v15, 29, v15
	s_delay_alu instid0(VALU_DEP_2) | instskip(NEXT) | instid1(VALU_DEP_1)
	v_lshlrev_b64 v[18:19], v18, v[7:8]
	v_and_b32_e32 v35, 7, v18
; %bb.1952:                             ;   in Loop: Header=BB356_16 Depth=1
	s_or_b32 exec_lo, exec_lo, s24
	v_lshlrev_b32_e32 v7, 8, v14
	v_lshl_add_u32 v14, v15, 10, 0x2000
	s_delay_alu instid0(VALU_DEP_1) | instskip(NEXT) | instid1(VALU_DEP_1)
	v_and_or_b32 v7, 0x8000, v7, v14
	v_lshl_or_b32 v7, v35, 7, v7
	s_delay_alu instid0(VALU_DEP_1)
	v_cvt_f32_f16_e64 v147, v7
.LBB356_1953:                           ;   in Loop: Header=BB356_16 Depth=1
	s_or_b32 exec_lo, exec_lo, s23
.LBB356_1954:                           ;   in Loop: Header=BB356_16 Depth=1
	s_delay_alu instid0(SALU_CYCLE_1)
	s_or_b32 exec_lo, exec_lo, s22
.LBB356_1955:                           ;   in Loop: Header=BB356_16 Depth=1
	s_delay_alu instid0(SALU_CYCLE_1) | instskip(SKIP_3) | instid1(VALU_DEP_2)
	s_or_b32 exec_lo, exec_lo, s21
	v_lshrrev_b32_e32 v14, 16, v33
	v_mov_b32_e32 v77, 0
	s_mov_b32 s21, exec_lo
	v_dual_mov_b32 v76, 0 :: v_dual_and_b32 v7, 0xff, v14
	s_delay_alu instid0(VALU_DEP_1)
	v_cmpx_ne_u16_e32 0, v7
	s_cbranch_execz .LBB356_1963
; %bb.1956:                             ;   in Loop: Header=BB356_16 Depth=1
	v_bfrev_b32_e32 v76, 1
	s_mov_b32 s22, exec_lo
	v_cmpx_ne_u16_e32 0x80, v7
	s_cbranch_execz .LBB356_1962
; %bb.1957:                             ;   in Loop: Header=BB356_16 Depth=1
	v_bfe_u32 v18, v33, 16, 7
	v_mov_b32_e32 v76, 0x7fc02000
	s_mov_b32 s23, exec_lo
	s_delay_alu instid0(VALU_DEP_2)
	v_cmpx_ne_u32_e32 0x7f, v18
	s_cbranch_execz .LBB356_1961
; %bb.1958:                             ;   in Loop: Header=BB356_16 Depth=1
	v_and_b32_e32 v7, 7, v14
	v_mov_b32_e32 v36, v8
	v_lshrrev_b32_e32 v15, 3, v18
	s_mov_b32 s24, exec_lo
	s_delay_alu instid0(VALU_DEP_3)
	v_mov_b32_e32 v35, v7
	v_cmpx_gt_u32_e32 8, v18
; %bb.1959:                             ;   in Loop: Header=BB356_16 Depth=1
	v_clz_i32_u32_e32 v15, v7
	s_delay_alu instid0(VALU_DEP_1) | instskip(NEXT) | instid1(VALU_DEP_1)
	v_min_u32_e32 v15, 32, v15
	v_subrev_nc_u32_e32 v18, 28, v15
	v_sub_nc_u32_e32 v15, 29, v15
	s_delay_alu instid0(VALU_DEP_2) | instskip(NEXT) | instid1(VALU_DEP_1)
	v_lshlrev_b64 v[18:19], v18, v[7:8]
	v_and_b32_e32 v35, 7, v18
; %bb.1960:                             ;   in Loop: Header=BB356_16 Depth=1
	s_or_b32 exec_lo, exec_lo, s24
	v_lshlrev_b32_e32 v7, 8, v14
	v_lshl_add_u32 v14, v15, 10, 0x2000
	s_delay_alu instid0(VALU_DEP_1) | instskip(NEXT) | instid1(VALU_DEP_1)
	v_and_or_b32 v7, 0x8000, v7, v14
	v_lshl_or_b32 v7, v35, 7, v7
	s_delay_alu instid0(VALU_DEP_1)
	v_cvt_f32_f16_e32 v76, v7
.LBB356_1961:                           ;   in Loop: Header=BB356_16 Depth=1
	s_or_b32 exec_lo, exec_lo, s23
.LBB356_1962:                           ;   in Loop: Header=BB356_16 Depth=1
	s_delay_alu instid0(SALU_CYCLE_1)
	s_or_b32 exec_lo, exec_lo, s22
.LBB356_1963:                           ;   in Loop: Header=BB356_16 Depth=1
	s_delay_alu instid0(SALU_CYCLE_1) | instskip(NEXT) | instid1(SALU_CYCLE_1)
	s_or_b32 exec_lo, exec_lo, s21
	s_mov_b32 s21, exec_lo
	v_cmpx_lt_u32_e32 0xffffff, v33
	s_cbranch_execz .LBB356_1971
; %bb.1964:                             ;   in Loop: Header=BB356_16 Depth=1
	v_lshrrev_b32_e32 v14, 24, v33
	v_bfrev_b32_e32 v77, 1
	s_mov_b32 s22, exec_lo
	s_delay_alu instid0(VALU_DEP_2)
	v_cmpx_ne_u32_e32 0x80, v14
	s_cbranch_execz .LBB356_1970
; %bb.1965:                             ;   in Loop: Header=BB356_16 Depth=1
	v_and_b32_e32 v18, 0x7f, v14
	v_mov_b32_e32 v77, 0x7fc02000
	s_mov_b32 s23, exec_lo
	s_delay_alu instid0(VALU_DEP_2)
	v_cmpx_ne_u32_e32 0x7f, v18
	s_cbranch_execz .LBB356_1969
; %bb.1966:                             ;   in Loop: Header=BB356_16 Depth=1
	v_and_b32_e32 v7, 7, v14
	v_mov_b32_e32 v36, v8
	v_lshrrev_b32_e32 v15, 3, v18
	s_mov_b32 s24, exec_lo
	s_delay_alu instid0(VALU_DEP_3)
	v_mov_b32_e32 v35, v7
	v_cmpx_gt_u32_e32 8, v18
; %bb.1967:                             ;   in Loop: Header=BB356_16 Depth=1
	v_clz_i32_u32_e32 v15, v7
	s_delay_alu instid0(VALU_DEP_1) | instskip(NEXT) | instid1(VALU_DEP_1)
	v_min_u32_e32 v15, 32, v15
	v_subrev_nc_u32_e32 v18, 28, v15
	v_sub_nc_u32_e32 v15, 29, v15
	s_delay_alu instid0(VALU_DEP_2) | instskip(NEXT) | instid1(VALU_DEP_1)
	v_lshlrev_b64 v[18:19], v18, v[7:8]
	v_and_b32_e32 v35, 7, v18
; %bb.1968:                             ;   in Loop: Header=BB356_16 Depth=1
	s_or_b32 exec_lo, exec_lo, s24
	v_lshlrev_b32_e32 v7, 8, v14
	v_lshl_add_u32 v14, v15, 10, 0x2000
	s_delay_alu instid0(VALU_DEP_1) | instskip(NEXT) | instid1(VALU_DEP_1)
	v_and_or_b32 v7, 0x8000, v7, v14
	v_lshl_or_b32 v7, v35, 7, v7
	s_delay_alu instid0(VALU_DEP_1)
	v_cvt_f32_f16_e32 v77, v7
.LBB356_1969:                           ;   in Loop: Header=BB356_16 Depth=1
	s_or_b32 exec_lo, exec_lo, s23
.LBB356_1970:                           ;   in Loop: Header=BB356_16 Depth=1
	s_delay_alu instid0(SALU_CYCLE_1)
	s_or_b32 exec_lo, exec_lo, s22
.LBB356_1971:                           ;   in Loop: Header=BB356_16 Depth=1
	s_delay_alu instid0(SALU_CYCLE_1) | instskip(SKIP_3) | instid1(VALU_DEP_2)
	s_or_b32 exec_lo, exec_lo, s21
	v_dual_mov_b32 v7, v34 :: v_dual_and_b32 v14, 0xff, v34
	v_dual_mov_b32 v90, 0 :: v_dual_mov_b32 v89, 0
	s_mov_b32 s21, exec_lo
	v_cmpx_ne_u16_e32 0, v14
	s_cbranch_execz .LBB356_1979
; %bb.1972:                             ;   in Loop: Header=BB356_16 Depth=1
	v_bfrev_b32_e32 v89, 1
	s_mov_b32 s22, exec_lo
	v_cmpx_ne_u16_e32 0x80, v14
	s_cbranch_execz .LBB356_1978
; %bb.1973:                             ;   in Loop: Header=BB356_16 Depth=1
	v_and_b32_e32 v15, 0x7f, v34
	v_mov_b32_e32 v89, 0x7fc02000
	s_mov_b32 s23, exec_lo
	s_delay_alu instid0(VALU_DEP_2)
	v_cmpx_ne_u32_e32 0x7f, v15
	s_cbranch_execz .LBB356_1977
; %bb.1974:                             ;   in Loop: Header=BB356_16 Depth=1
	v_dual_mov_b32 v36, v8 :: v_dual_mov_b32 v35, v7
	v_lshrrev_b32_e32 v14, 3, v15
	s_mov_b32 s24, exec_lo
	v_cmpx_gt_u32_e32 8, v15
; %bb.1975:                             ;   in Loop: Header=BB356_16 Depth=1
	v_and_b32_e32 v14, 7, v34
	s_delay_alu instid0(VALU_DEP_1) | instskip(NEXT) | instid1(VALU_DEP_1)
	v_clz_i32_u32_e32 v14, v14
	v_min_u32_e32 v14, 32, v14
	s_delay_alu instid0(VALU_DEP_1) | instskip(SKIP_1) | instid1(VALU_DEP_2)
	v_subrev_nc_u32_e32 v15, 28, v14
	v_sub_nc_u32_e32 v14, 29, v14
	v_lshlrev_b64 v[35:36], v15, v[7:8]
; %bb.1976:                             ;   in Loop: Header=BB356_16 Depth=1
	s_or_b32 exec_lo, exec_lo, s24
	v_lshlrev_b32_e32 v15, 8, v34
	s_delay_alu instid0(VALU_DEP_3) | instskip(NEXT) | instid1(VALU_DEP_3)
	v_lshl_add_u32 v14, v14, 10, 0x2000
	v_lshlrev_b32_e32 v18, 7, v35
	s_delay_alu instid0(VALU_DEP_2) | instskip(NEXT) | instid1(VALU_DEP_1)
	v_and_or_b32 v14, 0x8000, v15, v14
	v_and_or_b32 v14, 0x380, v18, v14
	s_delay_alu instid0(VALU_DEP_1)
	v_cvt_f32_f16_e32 v89, v14
.LBB356_1977:                           ;   in Loop: Header=BB356_16 Depth=1
	s_or_b32 exec_lo, exec_lo, s23
.LBB356_1978:                           ;   in Loop: Header=BB356_16 Depth=1
	s_delay_alu instid0(SALU_CYCLE_1)
	s_or_b32 exec_lo, exec_lo, s22
.LBB356_1979:                           ;   in Loop: Header=BB356_16 Depth=1
	s_delay_alu instid0(SALU_CYCLE_1) | instskip(SKIP_2) | instid1(VALU_DEP_1)
	s_or_b32 exec_lo, exec_lo, s21
	v_lshrrev_b16 v7, 8, v7
	s_mov_b32 s21, exec_lo
	v_cmpx_ne_u16_e32 0, v7
	s_cbranch_execz .LBB356_1987
; %bb.1980:                             ;   in Loop: Header=BB356_16 Depth=1
	v_bfrev_b32_e32 v90, 1
	s_mov_b32 s22, exec_lo
	v_cmpx_ne_u16_e32 0x80, v7
	s_cbranch_execz .LBB356_1986
; %bb.1981:                             ;   in Loop: Header=BB356_16 Depth=1
	v_and_b32_e32 v14, 0xffff, v7
	v_mov_b32_e32 v90, 0x7fc02000
	s_mov_b32 s23, exec_lo
	s_delay_alu instid0(VALU_DEP_2) | instskip(NEXT) | instid1(VALU_DEP_1)
	v_and_b32_e32 v18, 0x7f, v14
	v_cmpx_ne_u32_e32 0x7f, v18
	s_cbranch_execz .LBB356_1985
; %bb.1982:                             ;   in Loop: Header=BB356_16 Depth=1
	v_and_b32_e32 v7, 7, v14
	v_mov_b32_e32 v36, v8
	v_lshrrev_b32_e32 v15, 3, v18
	s_mov_b32 s24, exec_lo
	s_delay_alu instid0(VALU_DEP_3)
	v_mov_b32_e32 v35, v7
	v_cmpx_gt_u32_e32 8, v18
; %bb.1983:                             ;   in Loop: Header=BB356_16 Depth=1
	v_clz_i32_u32_e32 v15, v7
	s_delay_alu instid0(VALU_DEP_1) | instskip(NEXT) | instid1(VALU_DEP_1)
	v_min_u32_e32 v15, 32, v15
	v_subrev_nc_u32_e32 v18, 28, v15
	v_sub_nc_u32_e32 v15, 29, v15
	s_delay_alu instid0(VALU_DEP_2) | instskip(NEXT) | instid1(VALU_DEP_1)
	v_lshlrev_b64 v[18:19], v18, v[7:8]
	v_and_b32_e32 v35, 7, v18
; %bb.1984:                             ;   in Loop: Header=BB356_16 Depth=1
	s_or_b32 exec_lo, exec_lo, s24
	v_lshlrev_b32_e32 v7, 8, v14
	v_lshl_add_u32 v14, v15, 10, 0x2000
	s_delay_alu instid0(VALU_DEP_1) | instskip(NEXT) | instid1(VALU_DEP_1)
	v_and_or_b32 v7, 0x8000, v7, v14
	v_lshl_or_b32 v7, v35, 7, v7
	s_delay_alu instid0(VALU_DEP_1)
	v_cvt_f32_f16_e32 v90, v7
.LBB356_1985:                           ;   in Loop: Header=BB356_16 Depth=1
	s_or_b32 exec_lo, exec_lo, s23
.LBB356_1986:                           ;   in Loop: Header=BB356_16 Depth=1
	s_delay_alu instid0(SALU_CYCLE_1)
	s_or_b32 exec_lo, exec_lo, s22
.LBB356_1987:                           ;   in Loop: Header=BB356_16 Depth=1
	s_delay_alu instid0(SALU_CYCLE_1) | instskip(SKIP_4) | instid1(VALU_DEP_3)
	s_or_b32 exec_lo, exec_lo, s21
	v_lshrrev_b32_e32 v14, 16, v34
	v_mov_b32_e32 v91, 0
	v_mov_b32_e32 v35, 0
	s_mov_b32 s21, exec_lo
	v_and_b32_e32 v7, 0xff, v14
	s_delay_alu instid0(VALU_DEP_1)
	v_cmpx_ne_u16_e32 0, v7
	s_cbranch_execz .LBB356_1995
; %bb.1988:                             ;   in Loop: Header=BB356_16 Depth=1
	v_bfrev_b32_e32 v35, 1
	s_mov_b32 s22, exec_lo
	v_cmpx_ne_u16_e32 0x80, v7
	s_cbranch_execz .LBB356_1994
; %bb.1989:                             ;   in Loop: Header=BB356_16 Depth=1
	v_bfe_u32 v18, v34, 16, 7
	v_mov_b32_e32 v35, 0x7fc02000
	s_mov_b32 s23, exec_lo
	s_delay_alu instid0(VALU_DEP_2)
	v_cmpx_ne_u32_e32 0x7f, v18
	s_cbranch_execz .LBB356_1993
; %bb.1990:                             ;   in Loop: Header=BB356_16 Depth=1
	v_and_b32_e32 v7, 7, v14
	v_mov_b32_e32 v36, v8
	v_lshrrev_b32_e32 v15, 3, v18
	s_mov_b32 s24, exec_lo
	s_delay_alu instid0(VALU_DEP_3)
	v_mov_b32_e32 v35, v7
	v_cmpx_gt_u32_e32 8, v18
; %bb.1991:                             ;   in Loop: Header=BB356_16 Depth=1
	v_clz_i32_u32_e32 v15, v7
	s_delay_alu instid0(VALU_DEP_1) | instskip(NEXT) | instid1(VALU_DEP_1)
	v_min_u32_e32 v15, 32, v15
	v_subrev_nc_u32_e32 v18, 28, v15
	v_sub_nc_u32_e32 v15, 29, v15
	s_delay_alu instid0(VALU_DEP_2) | instskip(NEXT) | instid1(VALU_DEP_1)
	v_lshlrev_b64 v[18:19], v18, v[7:8]
	v_and_b32_e32 v35, 7, v18
; %bb.1992:                             ;   in Loop: Header=BB356_16 Depth=1
	s_or_b32 exec_lo, exec_lo, s24
	v_lshlrev_b32_e32 v7, 8, v14
	v_lshl_add_u32 v14, v15, 10, 0x2000
	s_delay_alu instid0(VALU_DEP_1) | instskip(NEXT) | instid1(VALU_DEP_1)
	v_and_or_b32 v7, 0x8000, v7, v14
	v_lshl_or_b32 v7, v35, 7, v7
	s_delay_alu instid0(VALU_DEP_1)
	v_cvt_f32_f16_e32 v35, v7
.LBB356_1993:                           ;   in Loop: Header=BB356_16 Depth=1
	s_or_b32 exec_lo, exec_lo, s23
.LBB356_1994:                           ;   in Loop: Header=BB356_16 Depth=1
	s_delay_alu instid0(SALU_CYCLE_1)
	s_or_b32 exec_lo, exec_lo, s22
.LBB356_1995:                           ;   in Loop: Header=BB356_16 Depth=1
	s_delay_alu instid0(SALU_CYCLE_1) | instskip(NEXT) | instid1(SALU_CYCLE_1)
	s_or_b32 exec_lo, exec_lo, s21
	s_mov_b32 s21, exec_lo
	v_cmpx_lt_u64_e64 s[8:9], v[33:34]
	s_cbranch_execz .LBB356_2003
; %bb.1996:                             ;   in Loop: Header=BB356_16 Depth=1
	v_lshrrev_b32_e32 v14, 24, v34
	v_bfrev_b32_e32 v91, 1
	s_mov_b32 s22, exec_lo
	s_delay_alu instid0(VALU_DEP_2)
	v_cmpx_ne_u32_e32 0x80, v14
	s_cbranch_execz .LBB356_2002
; %bb.1997:                             ;   in Loop: Header=BB356_16 Depth=1
	v_and_b32_e32 v18, 0x7f, v14
	v_mov_b32_e32 v91, 0x7fc02000
	s_mov_b32 s23, exec_lo
	s_delay_alu instid0(VALU_DEP_2)
	v_cmpx_ne_u32_e32 0x7f, v18
	s_cbranch_execz .LBB356_2001
; %bb.1998:                             ;   in Loop: Header=BB356_16 Depth=1
	v_and_b32_e32 v7, 7, v14
	v_mov_b32_e32 v34, v8
	v_lshrrev_b32_e32 v15, 3, v18
	s_mov_b32 s24, exec_lo
	s_delay_alu instid0(VALU_DEP_3)
	v_mov_b32_e32 v33, v7
	v_cmpx_gt_u32_e32 8, v18
; %bb.1999:                             ;   in Loop: Header=BB356_16 Depth=1
	v_clz_i32_u32_e32 v15, v7
	s_delay_alu instid0(VALU_DEP_1) | instskip(NEXT) | instid1(VALU_DEP_1)
	v_min_u32_e32 v15, 32, v15
	v_subrev_nc_u32_e32 v18, 28, v15
	v_sub_nc_u32_e32 v15, 29, v15
	s_delay_alu instid0(VALU_DEP_2) | instskip(NEXT) | instid1(VALU_DEP_1)
	v_lshlrev_b64 v[18:19], v18, v[7:8]
	v_and_b32_e32 v33, 7, v18
; %bb.2000:                             ;   in Loop: Header=BB356_16 Depth=1
	s_or_b32 exec_lo, exec_lo, s24
	v_lshlrev_b32_e32 v7, 8, v14
	v_lshl_add_u32 v14, v15, 10, 0x2000
	s_delay_alu instid0(VALU_DEP_1) | instskip(NEXT) | instid1(VALU_DEP_1)
	v_and_or_b32 v7, 0x8000, v7, v14
	v_lshl_or_b32 v7, v33, 7, v7
	s_delay_alu instid0(VALU_DEP_1)
	v_cvt_f32_f16_e32 v91, v7
.LBB356_2001:                           ;   in Loop: Header=BB356_16 Depth=1
	s_or_b32 exec_lo, exec_lo, s23
.LBB356_2002:                           ;   in Loop: Header=BB356_16 Depth=1
	s_delay_alu instid0(SALU_CYCLE_1)
	s_or_b32 exec_lo, exec_lo, s22
.LBB356_2003:                           ;   in Loop: Header=BB356_16 Depth=1
	s_delay_alu instid0(SALU_CYCLE_1)
	s_or_b32 exec_lo, exec_lo, s21
	flat_load_b64 v[31:32], v[31:32] offset:3592
	v_mov_b32_e32 v19, 0
	s_mov_b32 s21, exec_lo
	s_waitcnt vmcnt(0) lgkmcnt(0)
	v_dual_mov_b32 v18, 0 :: v_dual_and_b32 v7, 0xff, v31
	s_delay_alu instid0(VALU_DEP_1)
	v_cmpx_ne_u16_e32 0, v7
	s_cbranch_execz .LBB356_2011
; %bb.2004:                             ;   in Loop: Header=BB356_16 Depth=1
	v_bfrev_b32_e32 v18, 1
	s_mov_b32 s22, exec_lo
	v_cmpx_ne_u16_e32 0x80, v7
	s_cbranch_execz .LBB356_2010
; %bb.2005:                             ;   in Loop: Header=BB356_16 Depth=1
	v_and_b32_e32 v14, 0x7f, v31
	v_mov_b32_e32 v18, 0x7fc02000
	s_mov_b32 s23, exec_lo
	s_delay_alu instid0(VALU_DEP_2)
	v_cmpx_ne_u32_e32 0x7f, v14
	s_cbranch_execz .LBB356_2009
; %bb.2006:                             ;   in Loop: Header=BB356_16 Depth=1
	v_lshrrev_b32_e32 v7, 3, v14
	v_dual_mov_b32 v34, v32 :: v_dual_mov_b32 v33, v31
	s_mov_b32 s24, exec_lo
	v_cmpx_gt_u32_e32 8, v14
; %bb.2007:                             ;   in Loop: Header=BB356_16 Depth=1
	v_and_b32_e32 v7, 7, v31
	s_delay_alu instid0(VALU_DEP_1) | instskip(NEXT) | instid1(VALU_DEP_1)
	v_clz_i32_u32_e32 v7, v7
	v_min_u32_e32 v7, 32, v7
	s_delay_alu instid0(VALU_DEP_1) | instskip(SKIP_1) | instid1(VALU_DEP_2)
	v_subrev_nc_u32_e32 v14, 28, v7
	v_sub_nc_u32_e32 v7, 29, v7
	v_lshlrev_b64 v[33:34], v14, v[31:32]
; %bb.2008:                             ;   in Loop: Header=BB356_16 Depth=1
	s_or_b32 exec_lo, exec_lo, s24
	v_lshlrev_b32_e32 v14, 8, v31
	s_delay_alu instid0(VALU_DEP_3) | instskip(NEXT) | instid1(VALU_DEP_3)
	v_lshl_add_u32 v7, v7, 10, 0x2000
	v_lshlrev_b32_e32 v15, 7, v33
	s_delay_alu instid0(VALU_DEP_2) | instskip(NEXT) | instid1(VALU_DEP_1)
	v_and_or_b32 v7, 0x8000, v14, v7
	v_and_or_b32 v7, 0x380, v15, v7
	s_delay_alu instid0(VALU_DEP_1)
	v_cvt_f32_f16_e32 v18, v7
.LBB356_2009:                           ;   in Loop: Header=BB356_16 Depth=1
	s_or_b32 exec_lo, exec_lo, s23
.LBB356_2010:                           ;   in Loop: Header=BB356_16 Depth=1
	s_delay_alu instid0(SALU_CYCLE_1)
	s_or_b32 exec_lo, exec_lo, s22
.LBB356_2011:                           ;   in Loop: Header=BB356_16 Depth=1
	s_delay_alu instid0(SALU_CYCLE_1) | instskip(SKIP_2) | instid1(VALU_DEP_1)
	s_or_b32 exec_lo, exec_lo, s21
	v_lshrrev_b16 v7, 8, v31
	s_mov_b32 s21, exec_lo
	v_cmpx_ne_u16_e32 0, v7
	s_cbranch_execz .LBB356_2019
; %bb.2012:                             ;   in Loop: Header=BB356_16 Depth=1
	v_bfrev_b32_e32 v19, 1
	s_mov_b32 s22, exec_lo
	v_cmpx_ne_u16_e32 0x80, v7
	s_cbranch_execz .LBB356_2018
; %bb.2013:                             ;   in Loop: Header=BB356_16 Depth=1
	v_and_b32_e32 v14, 0xffff, v7
	v_mov_b32_e32 v19, 0x7fc02000
	s_mov_b32 s23, exec_lo
	s_delay_alu instid0(VALU_DEP_2) | instskip(NEXT) | instid1(VALU_DEP_1)
	v_and_b32_e32 v36, 0x7f, v14
	v_cmpx_ne_u32_e32 0x7f, v36
	s_cbranch_execz .LBB356_2017
; %bb.2014:                             ;   in Loop: Header=BB356_16 Depth=1
	v_and_b32_e32 v7, 7, v14
	v_mov_b32_e32 v34, v8
	v_lshrrev_b32_e32 v15, 3, v36
	s_mov_b32 s24, exec_lo
	s_delay_alu instid0(VALU_DEP_3)
	v_mov_b32_e32 v33, v7
	v_cmpx_gt_u32_e32 8, v36
; %bb.2015:                             ;   in Loop: Header=BB356_16 Depth=1
	v_clz_i32_u32_e32 v15, v7
	s_delay_alu instid0(VALU_DEP_1) | instskip(NEXT) | instid1(VALU_DEP_1)
	v_min_u32_e32 v15, 32, v15
	v_subrev_nc_u32_e32 v19, 28, v15
	v_sub_nc_u32_e32 v15, 29, v15
	s_delay_alu instid0(VALU_DEP_2) | instskip(NEXT) | instid1(VALU_DEP_1)
	v_lshlrev_b64 v[33:34], v19, v[7:8]
	v_and_b32_e32 v33, 7, v33
; %bb.2016:                             ;   in Loop: Header=BB356_16 Depth=1
	s_or_b32 exec_lo, exec_lo, s24
	v_lshlrev_b32_e32 v7, 8, v14
	v_lshl_add_u32 v14, v15, 10, 0x2000
	s_delay_alu instid0(VALU_DEP_1) | instskip(NEXT) | instid1(VALU_DEP_1)
	v_and_or_b32 v7, 0x8000, v7, v14
	v_lshl_or_b32 v7, v33, 7, v7
	s_delay_alu instid0(VALU_DEP_1)
	v_cvt_f32_f16_e32 v19, v7
.LBB356_2017:                           ;   in Loop: Header=BB356_16 Depth=1
	s_or_b32 exec_lo, exec_lo, s23
.LBB356_2018:                           ;   in Loop: Header=BB356_16 Depth=1
	s_delay_alu instid0(SALU_CYCLE_1)
	s_or_b32 exec_lo, exec_lo, s22
.LBB356_2019:                           ;   in Loop: Header=BB356_16 Depth=1
	s_delay_alu instid0(SALU_CYCLE_1) | instskip(SKIP_3) | instid1(VALU_DEP_2)
	s_or_b32 exec_lo, exec_lo, s21
	v_lshrrev_b32_e32 v14, 16, v31
	v_mov_b32_e32 v37, 0
	s_mov_b32 s21, exec_lo
	v_dual_mov_b32 v38, 0 :: v_dual_and_b32 v7, 0xff, v14
	s_delay_alu instid0(VALU_DEP_1)
	v_cmpx_ne_u16_e32 0, v7
	s_cbranch_execz .LBB356_2027
; %bb.2020:                             ;   in Loop: Header=BB356_16 Depth=1
	v_bfrev_b32_e32 v38, 1
	s_mov_b32 s22, exec_lo
	v_cmpx_ne_u16_e32 0x80, v7
	s_cbranch_execz .LBB356_2026
; %bb.2021:                             ;   in Loop: Header=BB356_16 Depth=1
	v_bfe_u32 v36, v31, 16, 7
	v_mov_b32_e32 v38, 0x7fc02000
	s_mov_b32 s23, exec_lo
	s_delay_alu instid0(VALU_DEP_2)
	v_cmpx_ne_u32_e32 0x7f, v36
	s_cbranch_execz .LBB356_2025
; %bb.2022:                             ;   in Loop: Header=BB356_16 Depth=1
	v_and_b32_e32 v7, 7, v14
	v_mov_b32_e32 v34, v8
	v_lshrrev_b32_e32 v15, 3, v36
	s_mov_b32 s24, exec_lo
	s_delay_alu instid0(VALU_DEP_3)
	v_mov_b32_e32 v33, v7
	v_cmpx_gt_u32_e32 8, v36
; %bb.2023:                             ;   in Loop: Header=BB356_16 Depth=1
	v_clz_i32_u32_e32 v15, v7
	s_delay_alu instid0(VALU_DEP_1) | instskip(NEXT) | instid1(VALU_DEP_1)
	v_min_u32_e32 v15, 32, v15
	v_subrev_nc_u32_e32 v33, 28, v15
	v_sub_nc_u32_e32 v15, 29, v15
	s_delay_alu instid0(VALU_DEP_2) | instskip(NEXT) | instid1(VALU_DEP_1)
	v_lshlrev_b64 v[33:34], v33, v[7:8]
	v_and_b32_e32 v33, 7, v33
; %bb.2024:                             ;   in Loop: Header=BB356_16 Depth=1
	s_or_b32 exec_lo, exec_lo, s24
	v_lshlrev_b32_e32 v7, 8, v14
	v_lshl_add_u32 v14, v15, 10, 0x2000
	s_delay_alu instid0(VALU_DEP_1) | instskip(NEXT) | instid1(VALU_DEP_1)
	v_and_or_b32 v7, 0x8000, v7, v14
	v_lshl_or_b32 v7, v33, 7, v7
	s_delay_alu instid0(VALU_DEP_1)
	v_cvt_f32_f16_e32 v38, v7
.LBB356_2025:                           ;   in Loop: Header=BB356_16 Depth=1
	s_or_b32 exec_lo, exec_lo, s23
.LBB356_2026:                           ;   in Loop: Header=BB356_16 Depth=1
	s_delay_alu instid0(SALU_CYCLE_1)
	s_or_b32 exec_lo, exec_lo, s22
.LBB356_2027:                           ;   in Loop: Header=BB356_16 Depth=1
	s_delay_alu instid0(SALU_CYCLE_1) | instskip(NEXT) | instid1(SALU_CYCLE_1)
	s_or_b32 exec_lo, exec_lo, s21
	s_mov_b32 s21, exec_lo
	v_cmpx_lt_u32_e32 0xffffff, v31
	s_cbranch_execz .LBB356_2035
; %bb.2028:                             ;   in Loop: Header=BB356_16 Depth=1
	v_lshrrev_b32_e32 v14, 24, v31
	v_bfrev_b32_e32 v37, 1
	s_mov_b32 s22, exec_lo
	s_delay_alu instid0(VALU_DEP_2)
	v_cmpx_ne_u32_e32 0x80, v14
	s_cbranch_execz .LBB356_2034
; %bb.2029:                             ;   in Loop: Header=BB356_16 Depth=1
	v_and_b32_e32 v36, 0x7f, v14
	v_mov_b32_e32 v37, 0x7fc02000
	s_mov_b32 s23, exec_lo
	s_delay_alu instid0(VALU_DEP_2)
	v_cmpx_ne_u32_e32 0x7f, v36
	s_cbranch_execz .LBB356_2033
; %bb.2030:                             ;   in Loop: Header=BB356_16 Depth=1
	v_and_b32_e32 v7, 7, v14
	v_mov_b32_e32 v34, v8
	v_lshrrev_b32_e32 v15, 3, v36
	s_mov_b32 s24, exec_lo
	s_delay_alu instid0(VALU_DEP_3)
	v_mov_b32_e32 v33, v7
	v_cmpx_gt_u32_e32 8, v36
; %bb.2031:                             ;   in Loop: Header=BB356_16 Depth=1
	v_clz_i32_u32_e32 v15, v7
	s_delay_alu instid0(VALU_DEP_1) | instskip(NEXT) | instid1(VALU_DEP_1)
	v_min_u32_e32 v15, 32, v15
	v_subrev_nc_u32_e32 v33, 28, v15
	v_sub_nc_u32_e32 v15, 29, v15
	s_delay_alu instid0(VALU_DEP_2) | instskip(NEXT) | instid1(VALU_DEP_1)
	v_lshlrev_b64 v[33:34], v33, v[7:8]
	v_and_b32_e32 v33, 7, v33
; %bb.2032:                             ;   in Loop: Header=BB356_16 Depth=1
	s_or_b32 exec_lo, exec_lo, s24
	v_lshlrev_b32_e32 v7, 8, v14
	v_lshl_add_u32 v14, v15, 10, 0x2000
	s_delay_alu instid0(VALU_DEP_1) | instskip(NEXT) | instid1(VALU_DEP_1)
	v_and_or_b32 v7, 0x8000, v7, v14
	v_lshl_or_b32 v7, v33, 7, v7
	s_delay_alu instid0(VALU_DEP_1)
	v_cvt_f32_f16_e32 v37, v7
.LBB356_2033:                           ;   in Loop: Header=BB356_16 Depth=1
	s_or_b32 exec_lo, exec_lo, s23
.LBB356_2034:                           ;   in Loop: Header=BB356_16 Depth=1
	s_delay_alu instid0(SALU_CYCLE_1)
	s_or_b32 exec_lo, exec_lo, s22
.LBB356_2035:                           ;   in Loop: Header=BB356_16 Depth=1
	s_delay_alu instid0(SALU_CYCLE_1) | instskip(SKIP_4) | instid1(VALU_DEP_3)
	s_or_b32 exec_lo, exec_lo, s21
	v_dual_mov_b32 v7, v32 :: v_dual_and_b32 v14, 0xff, v32
	v_mov_b32_e32 v15, 0
	v_mov_b32_e32 v39, 0
	s_mov_b32 s21, exec_lo
	v_cmpx_ne_u16_e32 0, v14
	s_cbranch_execz .LBB356_2043
; %bb.2036:                             ;   in Loop: Header=BB356_16 Depth=1
	v_bfrev_b32_e32 v39, 1
	s_mov_b32 s22, exec_lo
	v_cmpx_ne_u16_e32 0x80, v14
	s_cbranch_execz .LBB356_2042
; %bb.2037:                             ;   in Loop: Header=BB356_16 Depth=1
	v_and_b32_e32 v36, 0x7f, v32
	v_mov_b32_e32 v39, 0x7fc02000
	s_mov_b32 s23, exec_lo
	s_delay_alu instid0(VALU_DEP_2)
	v_cmpx_ne_u32_e32 0x7f, v36
	s_cbranch_execz .LBB356_2041
; %bb.2038:                             ;   in Loop: Header=BB356_16 Depth=1
	v_dual_mov_b32 v34, v8 :: v_dual_mov_b32 v33, v7
	v_lshrrev_b32_e32 v14, 3, v36
	s_mov_b32 s24, exec_lo
	v_cmpx_gt_u32_e32 8, v36
; %bb.2039:                             ;   in Loop: Header=BB356_16 Depth=1
	v_and_b32_e32 v14, 7, v32
	s_delay_alu instid0(VALU_DEP_1) | instskip(NEXT) | instid1(VALU_DEP_1)
	v_clz_i32_u32_e32 v14, v14
	v_min_u32_e32 v14, 32, v14
	s_delay_alu instid0(VALU_DEP_1) | instskip(SKIP_1) | instid1(VALU_DEP_2)
	v_subrev_nc_u32_e32 v33, 28, v14
	v_sub_nc_u32_e32 v14, 29, v14
	v_lshlrev_b64 v[33:34], v33, v[7:8]
; %bb.2040:                             ;   in Loop: Header=BB356_16 Depth=1
	s_or_b32 exec_lo, exec_lo, s24
	v_lshlrev_b32_e32 v34, 8, v32
	s_delay_alu instid0(VALU_DEP_3) | instskip(NEXT) | instid1(VALU_DEP_3)
	v_lshl_add_u32 v14, v14, 10, 0x2000
	v_lshlrev_b32_e32 v33, 7, v33
	s_delay_alu instid0(VALU_DEP_2) | instskip(NEXT) | instid1(VALU_DEP_1)
	v_and_or_b32 v14, 0x8000, v34, v14
	v_and_or_b32 v14, 0x380, v33, v14
	s_delay_alu instid0(VALU_DEP_1)
	v_cvt_f32_f16_e32 v39, v14
.LBB356_2041:                           ;   in Loop: Header=BB356_16 Depth=1
	s_or_b32 exec_lo, exec_lo, s23
.LBB356_2042:                           ;   in Loop: Header=BB356_16 Depth=1
	s_delay_alu instid0(SALU_CYCLE_1)
	s_or_b32 exec_lo, exec_lo, s22
.LBB356_2043:                           ;   in Loop: Header=BB356_16 Depth=1
	s_delay_alu instid0(SALU_CYCLE_1) | instskip(SKIP_2) | instid1(VALU_DEP_1)
	s_or_b32 exec_lo, exec_lo, s21
	v_lshrrev_b16 v7, 8, v7
	s_mov_b32 s21, exec_lo
	v_cmpx_ne_u16_e32 0, v7
	s_cbranch_execz .LBB356_2051
; %bb.2044:                             ;   in Loop: Header=BB356_16 Depth=1
	v_bfrev_b32_e32 v15, 1
	s_mov_b32 s22, exec_lo
	v_cmpx_ne_u16_e32 0x80, v7
	s_cbranch_execz .LBB356_2050
; %bb.2045:                             ;   in Loop: Header=BB356_16 Depth=1
	v_and_b32_e32 v14, 0xffff, v7
	v_mov_b32_e32 v15, 0x7fc02000
	s_mov_b32 s23, exec_lo
	s_delay_alu instid0(VALU_DEP_2) | instskip(NEXT) | instid1(VALU_DEP_1)
	v_and_b32_e32 v36, 0x7f, v14
	v_cmpx_ne_u32_e32 0x7f, v36
	s_cbranch_execz .LBB356_2049
; %bb.2046:                             ;   in Loop: Header=BB356_16 Depth=1
	v_and_b32_e32 v7, 7, v14
	v_mov_b32_e32 v34, v8
	v_lshrrev_b32_e32 v15, 3, v36
	s_mov_b32 s24, exec_lo
	s_delay_alu instid0(VALU_DEP_3)
	v_mov_b32_e32 v33, v7
	v_cmpx_gt_u32_e32 8, v36
; %bb.2047:                             ;   in Loop: Header=BB356_16 Depth=1
	v_clz_i32_u32_e32 v15, v7
	s_delay_alu instid0(VALU_DEP_1) | instskip(NEXT) | instid1(VALU_DEP_1)
	v_min_u32_e32 v15, 32, v15
	v_subrev_nc_u32_e32 v33, 28, v15
	v_sub_nc_u32_e32 v15, 29, v15
	s_delay_alu instid0(VALU_DEP_2) | instskip(NEXT) | instid1(VALU_DEP_1)
	v_lshlrev_b64 v[33:34], v33, v[7:8]
	v_and_b32_e32 v33, 7, v33
; %bb.2048:                             ;   in Loop: Header=BB356_16 Depth=1
	s_or_b32 exec_lo, exec_lo, s24
	v_lshlrev_b32_e32 v7, 8, v14
	v_lshl_add_u32 v14, v15, 10, 0x2000
	s_delay_alu instid0(VALU_DEP_1) | instskip(NEXT) | instid1(VALU_DEP_1)
	v_and_or_b32 v7, 0x8000, v7, v14
	v_lshl_or_b32 v7, v33, 7, v7
	s_delay_alu instid0(VALU_DEP_1)
	v_cvt_f32_f16_e32 v15, v7
.LBB356_2049:                           ;   in Loop: Header=BB356_16 Depth=1
	s_or_b32 exec_lo, exec_lo, s23
.LBB356_2050:                           ;   in Loop: Header=BB356_16 Depth=1
	s_delay_alu instid0(SALU_CYCLE_1)
	s_or_b32 exec_lo, exec_lo, s22
.LBB356_2051:                           ;   in Loop: Header=BB356_16 Depth=1
	s_delay_alu instid0(SALU_CYCLE_1) | instskip(SKIP_3) | instid1(VALU_DEP_2)
	s_or_b32 exec_lo, exec_lo, s21
	v_lshrrev_b32_e32 v92, 16, v32
	v_mov_b32_e32 v36, 0
	s_mov_b32 s21, exec_lo
	v_dual_mov_b32 v14, 0 :: v_dual_and_b32 v7, 0xff, v92
	s_delay_alu instid0(VALU_DEP_1)
	v_cmpx_ne_u16_e32 0, v7
	s_cbranch_execz .LBB356_2059
; %bb.2052:                             ;   in Loop: Header=BB356_16 Depth=1
	v_bfrev_b32_e32 v36, 1
	s_mov_b32 s22, exec_lo
	v_cmpx_ne_u16_e32 0x80, v7
	s_cbranch_execz .LBB356_2058
; %bb.2053:                             ;   in Loop: Header=BB356_16 Depth=1
	v_dual_mov_b32 v191, v93 :: v_dual_mov_b32 v36, 0x7fc02000
	v_bfe_u32 v93, v32, 16, 7
	s_mov_b32 s23, exec_lo
	s_delay_alu instid0(VALU_DEP_1)
	v_cmpx_ne_u32_e32 0x7f, v93
	s_cbranch_execz .LBB356_2057
; %bb.2054:                             ;   in Loop: Header=BB356_16 Depth=1
	v_and_b32_e32 v7, 7, v92
	v_mov_b32_e32 v34, v8
	v_lshrrev_b32_e32 v34, 3, v93
	s_mov_b32 s24, exec_lo
	s_delay_alu instid0(VALU_DEP_3)
	v_mov_b32_e32 v33, v7
	v_cmpx_gt_u32_e32 8, v93
; %bb.2055:                             ;   in Loop: Header=BB356_16 Depth=1
	v_clz_i32_u32_e32 v33, v7
	s_delay_alu instid0(VALU_DEP_1) | instskip(NEXT) | instid1(VALU_DEP_1)
	v_min_u32_e32 v36, 32, v33
	v_subrev_nc_u32_e32 v33, 28, v36
	s_delay_alu instid0(VALU_DEP_1) | instskip(SKIP_1) | instid1(VALU_DEP_2)
	v_lshlrev_b64 v[33:34], v33, v[7:8]
	v_sub_nc_u32_e32 v34, 29, v36
	v_and_b32_e32 v33, 7, v33
; %bb.2056:                             ;   in Loop: Header=BB356_16 Depth=1
	s_or_b32 exec_lo, exec_lo, s24
	v_lshlrev_b32_e32 v7, 8, v92
	s_delay_alu instid0(VALU_DEP_3) | instskip(NEXT) | instid1(VALU_DEP_1)
	v_lshl_add_u32 v34, v34, 10, 0x2000
	v_and_or_b32 v7, 0x8000, v7, v34
	s_delay_alu instid0(VALU_DEP_1) | instskip(NEXT) | instid1(VALU_DEP_1)
	v_lshl_or_b32 v7, v33, 7, v7
	v_cvt_f32_f16_e32 v36, v7
.LBB356_2057:                           ;   in Loop: Header=BB356_16 Depth=1
	s_or_b32 exec_lo, exec_lo, s23
	v_mov_b32_e32 v93, v191
.LBB356_2058:                           ;   in Loop: Header=BB356_16 Depth=1
	s_or_b32 exec_lo, exec_lo, s22
.LBB356_2059:                           ;   in Loop: Header=BB356_16 Depth=1
	s_delay_alu instid0(SALU_CYCLE_1)
	s_or_b32 exec_lo, exec_lo, s21
	scratch_load_b32 v191, off, s32 offset:596 ; 4-byte Folded Reload
	s_mov_b32 s21, exec_lo
	v_cmpx_lt_u64_e64 s[8:9], v[31:32]
	s_cbranch_execz .LBB356_14
; %bb.2060:                             ;   in Loop: Header=BB356_16 Depth=1
	v_lshrrev_b32_e32 v33, 24, v32
	v_bfrev_b32_e32 v14, 1
	s_mov_b32 s22, exec_lo
	s_delay_alu instid0(VALU_DEP_2)
	v_cmpx_ne_u32_e32 0x80, v33
	s_cbranch_execz .LBB356_13
; %bb.2061:                             ;   in Loop: Header=BB356_16 Depth=1
	v_and_b32_e32 v34, 0x7f, v33
	v_mov_b32_e32 v14, 0x7fc02000
	s_mov_b32 s23, exec_lo
	s_delay_alu instid0(VALU_DEP_2)
	v_cmpx_ne_u32_e32 0x7f, v34
	s_cbranch_execz .LBB356_12
; %bb.2062:                             ;   in Loop: Header=BB356_16 Depth=1
	v_and_b32_e32 v7, 7, v33
	v_mov_b32_e32 v32, v8
	v_lshrrev_b32_e32 v14, 3, v34
	s_mov_b32 s24, exec_lo
	s_delay_alu instid0(VALU_DEP_3)
	v_mov_b32_e32 v31, v7
	v_cmpx_gt_u32_e32 8, v34
	s_cbranch_execz .LBB356_11
; %bb.2063:                             ;   in Loop: Header=BB356_16 Depth=1
	v_clz_i32_u32_e32 v14, v7
	s_delay_alu instid0(VALU_DEP_1) | instskip(NEXT) | instid1(VALU_DEP_1)
	v_min_u32_e32 v14, 32, v14
	v_subrev_nc_u32_e32 v31, 28, v14
	v_sub_nc_u32_e32 v14, 29, v14
	s_delay_alu instid0(VALU_DEP_2) | instskip(NEXT) | instid1(VALU_DEP_1)
	v_lshlrev_b64 v[31:32], v31, v[7:8]
	v_and_b32_e32 v31, 7, v31
	s_branch .LBB356_11
.LBB356_2064:
	s_or_b32 exec_lo, exec_lo, s19
	s_clause 0xe
	scratch_load_b32 v12, off, s32 offset:1092
	scratch_load_b32 v15, off, s32 offset:1096
	;; [unrolled: 1-line block ×15, first 2 shown]
.LBB356_2065:
	s_or_b32 exec_lo, exec_lo, s18
	v_mbcnt_lo_u32_b32 v0, -1, 0
	s_waitcnt lgkmcnt(0)
	s_lshr_b32 s8, s15, 16
	s_delay_alu instid0(VALU_DEP_1) | instskip(SKIP_2) | instid1(VALU_DEP_3)
	v_xor_b32_e32 v1, 16, v0
	v_xor_b32_e32 v3, 8, v0
	;; [unrolled: 1-line block ×3, first 2 shown]
	v_cmp_gt_i32_e32 vcc_lo, 32, v1
	v_cndmask_b32_e32 v1, v0, v1, vcc_lo
	s_delay_alu instid0(VALU_DEP_4) | instskip(NEXT) | instid1(VALU_DEP_2)
	v_cmp_gt_i32_e32 vcc_lo, 32, v3
	v_dual_cndmask_b32 v3, v0, v3 :: v_dual_lshlrev_b32 v2, 2, v1
	v_cmp_gt_i32_e32 vcc_lo, 32, v5
	ds_bpermute_b32 v1, v2, v20
	v_dual_max_f32 v4, v20, v20 :: v_dual_lshlrev_b32 v3, 2, v3
	v_cndmask_b32_e32 v5, v0, v5, vcc_lo
	s_waitcnt lgkmcnt(0)
	v_max_f32_e32 v1, v1, v1
	s_delay_alu instid0(VALU_DEP_1) | instskip(SKIP_3) | instid1(VALU_DEP_1)
	v_max_f32_e32 v1, v4, v1
	ds_bpermute_b32 v4, v3, v1
	s_waitcnt lgkmcnt(0)
	v_max_f32_e32 v6, v4, v4
	v_dual_max_f32 v1, v1, v6 :: v_dual_lshlrev_b32 v4, 2, v5
	v_xor_b32_e32 v6, 2, v0
	ds_bpermute_b32 v5, v4, v1
	v_cmp_gt_i32_e32 vcc_lo, 32, v6
	s_waitcnt lgkmcnt(0)
	v_dual_cndmask_b32 v6, v0, v6 :: v_dual_max_f32 v5, v5, v5
	s_delay_alu instid0(VALU_DEP_1) | instskip(NEXT) | instid1(VALU_DEP_2)
	v_max_f32_e32 v1, v1, v5
	v_lshlrev_b32_e32 v75, 2, v6
	v_xor_b32_e32 v6, 1, v0
	s_delay_alu instid0(VALU_DEP_1) | instskip(SKIP_4) | instid1(VALU_DEP_1)
	v_cmp_gt_i32_e32 vcc_lo, 32, v6
	v_cndmask_b32_e32 v6, v0, v6, vcc_lo
	ds_bpermute_b32 v5, v75, v1
	s_waitcnt lgkmcnt(0)
	v_dual_max_f32 v5, v5, v5 :: v_dual_lshlrev_b32 v16, 2, v6
	v_max_f32_e32 v0, v1, v5
	scratch_load_b32 v5, off, s32 offset:1036 ; 4-byte Folded Reload
	ds_bpermute_b32 v1, v16, v0
	s_waitcnt vmcnt(0)
	v_cmp_eq_u32_e32 vcc_lo, 0, v5
	scratch_load_b32 v5, off, s32 offset:1072 ; 4-byte Folded Reload
	s_waitcnt vmcnt(0)
	v_lshlrev_b32_e32 v5, 2, v5
	s_and_saveexec_b32 s1, vcc_lo
	s_cbranch_execz .LBB356_2067
; %bb.2066:
	s_waitcnt lgkmcnt(0)
	v_dual_max_f32 v1, v1, v1 :: v_dual_max_f32 v0, v0, v0
	s_delay_alu instid0(VALU_DEP_1)
	v_max_f32_e32 v0, v0, v1
	ds_store_b32 v5, v0 offset:512
.LBB356_2067:
	s_or_b32 exec_lo, exec_lo, s1
	scratch_load_b32 v0, off, s32 offset:1036 ; 4-byte Folded Reload
	s_waitcnt vmcnt(0) lgkmcnt(0)
	s_waitcnt_vscnt null, 0x0
	s_barrier
	buffer_gl0_inv
	v_cmp_gt_u32_e64 s1, 4, v0
	v_mov_b32_e32 v0, 0xff7fffff
	s_delay_alu instid0(VALU_DEP_2)
	s_and_saveexec_b32 s2, s1
	s_cbranch_execz .LBB356_2069
; %bb.2068:
	ds_load_b32 v0, v19 offset:512
.LBB356_2069:
	s_or_b32 exec_lo, exec_lo, s2
	scratch_load_b32 v6, off, s32 offset:352 ; 4-byte Folded Reload
	s_waitcnt lgkmcnt(0)
	ds_bpermute_b32 v1, v75, v0
	s_waitcnt lgkmcnt(0)
	v_dual_max_f32 v0, v0, v0 :: v_dual_max_f32 v1, v1, v1
	s_delay_alu instid0(VALU_DEP_1)
	v_max_f32_e32 v0, v0, v1
	ds_bpermute_b32 v1, v16, v0
	s_waitcnt lgkmcnt(0)
	v_max_f32_e32 v1, v1, v1
	s_waitcnt vmcnt(0)
	v_subrev_nc_u32_e32 v7, s13, v6
	v_mov_b32_e32 v6, 0
	s_delay_alu instid0(VALU_DEP_3) | instskip(NEXT) | instid1(VALU_DEP_3)
	v_max_f32_e32 v0, v0, v1
	v_lshl_add_u32 v1, v7, 5, s3
	scratch_load_b32 v7, off, s32 offset:520 ; 4-byte Folded Reload
	ds_bpermute_b32 v0, v6, v0
	s_waitcnt vmcnt(0)
	v_min_i32_e32 v1, v1, v7
	scratch_load_b32 v7, off, s32 offset:1056 ; 4-byte Folded Reload
	v_subrev_nc_u32_e32 v1, s3, v1
	s_waitcnt vmcnt(0)
	s_delay_alu instid0(VALU_DEP_1) | instskip(NEXT) | instid1(VALU_DEP_1)
	v_cmp_lt_i32_e64 s2, v7, v1
	s_and_saveexec_b32 s9, s2
	s_cbranch_execz .LBB356_2073
; %bb.2070:
	scratch_load_b32 v8, off, s32 offset:1056 ; 4-byte Folded Reload
	s_getpc_b64 s[16:17]
	s_add_u32 s16, s16, llvm.amdgcn.dynlds.offset.table@rel32@lo+4
	s_addc_u32 s17, s17, llvm.amdgcn.dynlds.offset.table@rel32@hi+12
	s_ashr_i32 s5, s4, 31
	v_mov_b32_e32 v6, 0
	s_lshl_b64 s[18:19], s[4:5], 2
	s_mov_b32 s5, 0
	s_add_u32 s16, s18, s16
	s_addc_u32 s17, s19, s17
	s_load_b32 s3, s[16:17], 0x0
	s_waitcnt vmcnt(0) lgkmcnt(0)
	v_lshl_add_u32 v7, v8, 2, s3
	.p2align	6
.LBB356_2071:                           ; =>This Inner Loop Header: Depth=1
	ds_load_b32 v9, v7
	v_add_nc_u32_e32 v8, 0x80, v8
	s_delay_alu instid0(VALU_DEP_1) | instskip(NEXT) | instid1(VALU_DEP_1)
	v_cmp_ge_i32_e64 s3, v8, v1
	s_or_b32 s5, s3, s5
	s_waitcnt lgkmcnt(0)
	v_sub_f32_e32 v9, v9, v0
	s_delay_alu instid0(VALU_DEP_1) | instskip(NEXT) | instid1(VALU_DEP_1)
	v_mul_f32_e32 v9, 0x3fb8aa3b, v9
	v_exp_f32_e32 v9, v9
	ds_store_b32 v7, v9
	v_dual_add_f32 v6, v6, v9 :: v_dual_add_nc_u32 v7, 0x200, v7
	s_and_not1_b32 exec_lo, exec_lo, s5
	s_cbranch_execnz .LBB356_2071
; %bb.2072:
	s_or_b32 exec_lo, exec_lo, s5
.LBB356_2073:
	s_delay_alu instid0(SALU_CYCLE_1)
	s_or_b32 exec_lo, exec_lo, s9
	ds_bpermute_b32 v2, v2, v6
	s_waitcnt lgkmcnt(0)
	v_add_f32_e32 v2, v6, v2
	ds_bpermute_b32 v3, v3, v2
	s_waitcnt lgkmcnt(0)
	v_add_f32_e32 v2, v2, v3
	;; [unrolled: 3-line block ×5, first 2 shown]
	s_and_saveexec_b32 s3, vcc_lo
	s_cbranch_execz .LBB356_2075
; %bb.2074:
	ds_store_b32 v5, v2 offset:528
.LBB356_2075:
	s_or_b32 exec_lo, exec_lo, s3
	s_waitcnt lgkmcnt(0)
	s_barrier
	buffer_gl0_inv
	s_and_saveexec_b32 s3, s1
	s_cbranch_execz .LBB356_2077
; %bb.2076:
	ds_load_b32 v2, v19 offset:528
.LBB356_2077:
	s_or_b32 exec_lo, exec_lo, s3
	s_waitcnt lgkmcnt(0)
	ds_bpermute_b32 v3, v75, v2
	s_waitcnt lgkmcnt(0)
	v_add_f32_e32 v2, v2, v3
	ds_bpermute_b32 v3, v16, v2
	s_waitcnt lgkmcnt(0)
	v_dual_add_f32 v2, v2, v3 :: v_dual_mov_b32 v3, 0
	ds_bpermute_b32 v2, v3, v2
	s_and_saveexec_b32 s1, s2
	s_cbranch_execz .LBB356_2080
; %bb.2078:
	s_waitcnt lgkmcnt(0)
	v_add_f32_e32 v4, 0x358637bd, v2
	s_getpc_b64 s[2:3]
	s_add_u32 s2, s2, llvm.amdgcn.dynlds.offset.table@rel32@lo+4
	s_addc_u32 s3, s3, llvm.amdgcn.dynlds.offset.table@rel32@hi+12
	s_ashr_i32 s5, s4, 31
	s_delay_alu instid0(SALU_CYCLE_1) | instskip(SKIP_4) | instid1(VALU_DEP_1)
	s_lshl_b64 s[16:17], s[4:5], 2
	v_div_scale_f32 v3, null, v4, v4, 1.0
	s_add_u32 s2, s16, s2
	s_addc_u32 s3, s17, s3
	s_load_b32 s2, s[2:3], 0x0
	v_rcp_f32_e32 v5, v3
	s_waitcnt_depctr 0xfff
	v_fma_f32 v6, -v3, v5, 1.0
	s_delay_alu instid0(VALU_DEP_1) | instskip(SKIP_1) | instid1(VALU_DEP_1)
	v_fmac_f32_e32 v5, v6, v5
	v_div_scale_f32 v7, vcc_lo, 1.0, v4, 1.0
	v_mul_f32_e32 v6, v7, v5
	s_delay_alu instid0(VALU_DEP_1) | instskip(NEXT) | instid1(VALU_DEP_1)
	v_fma_f32 v8, -v3, v6, v7
	v_fmac_f32_e32 v6, v8, v5
	s_delay_alu instid0(VALU_DEP_1) | instskip(NEXT) | instid1(VALU_DEP_1)
	v_fma_f32 v3, -v3, v6, v7
	v_div_fmas_f32 v5, v3, v5, v6
	scratch_load_b32 v6, off, s32 offset:1056 ; 4-byte Folded Reload
	v_div_fixup_f32 v4, v5, v4, 1.0
	s_waitcnt vmcnt(0) lgkmcnt(0)
	v_lshl_add_u32 v3, v6, 2, s2
	v_mov_b32_e32 v5, v6
	s_mov_b32 s2, 0
.LBB356_2079:                           ; =>This Inner Loop Header: Depth=1
	ds_load_b32 v6, v3
	s_waitcnt lgkmcnt(0)
	v_dual_mul_f32 v6, v4, v6 :: v_dual_add_nc_u32 v5, 0x80, v5
	s_delay_alu instid0(VALU_DEP_1) | instskip(SKIP_3) | instid1(SALU_CYCLE_1)
	v_cmp_ge_i32_e32 vcc_lo, v5, v1
	ds_store_b32 v3, v6
	v_add_nc_u32_e32 v3, 0x200, v3
	s_or_b32 s2, vcc_lo, s2
	s_and_not1_b32 exec_lo, exec_lo, s2
	s_cbranch_execnz .LBB356_2079
.LBB356_2080:
	s_or_b32 exec_lo, exec_lo, s1
	s_waitcnt lgkmcnt(0)
	scratch_load_b32 v1, off, s32 offset:1056 ; 4-byte Folded Reload
	v_cmp_ne_u16_e64 s1, s8, 0
	s_waitcnt vmcnt(0)
	s_barrier
	buffer_gl0_inv
	s_cmp_lg_u32 s1, 0
	s_addc_u32 s9, s11, 0
	s_delay_alu instid0(SALU_CYCLE_1) | instskip(NEXT) | instid1(SALU_CYCLE_1)
	s_mul_i32 s1, s9, s6
	s_mul_i32 s16, s1, s7
	s_mov_b32 s1, exec_lo
	v_cmpx_eq_u32_e32 0, v1
	s_cbranch_execz .LBB356_2082
; %bb.2081:
	s_mul_i32 s2, s9, s12
	s_ashr_i32 s15, s14, 31
	s_ashr_i32 s3, s2, 31
	;; [unrolled: 1-line block ×3, first 2 shown]
	s_lshl_b64 s[2:3], s[2:3], 2
	s_lshl_b64 s[6:7], s[14:15], 2
	;; [unrolled: 1-line block ×3, first 2 shown]
	s_add_u32 s2, s6, s2
	s_addc_u32 s3, s7, s3
	s_add_u32 s2, s2, s12
	s_addc_u32 s3, s3, s13
	v_add_co_u32 v3, vcc_lo, s2, v33
	v_add_co_ci_u32_e32 v4, vcc_lo, s3, v32, vcc_lo
	v_add_co_u32 v5, vcc_lo, s2, v25
	v_add_co_ci_u32_e32 v6, vcc_lo, s3, v24, vcc_lo
	flat_store_b32 v[3:4], v0
	flat_store_b32 v[5:6], v2
.LBB356_2082:
	s_or_b32 exec_lo, exec_lo, s1
	s_ashr_i32 s5, s4, 31
	s_getpc_b64 s[2:3]
	s_add_u32 s2, s2, llvm.amdgcn.dynlds.offset.table@rel32@lo+4
	s_addc_u32 s3, s3, llvm.amdgcn.dynlds.offset.table@rel32@hi+12
	s_lshl_b64 s[4:5], s[4:5], 2
	v_dual_mov_b32 v100, 0 :: v_dual_mov_b32 v99, 0
	v_dual_mov_b32 v98, 0 :: v_dual_mov_b32 v97, 0
	;; [unrolled: 1-line block ×14, first 2 shown]
	v_mov_b32_e32 v34, 0
	v_mov_b32_e32 v32, 0
	;; [unrolled: 1-line block ×4, first 2 shown]
	s_add_u32 s12, s4, s2
	s_addc_u32 s13, s5, s3
	s_mov_b32 s15, 0
	s_and_saveexec_b32 s11, s0
	s_cbranch_execz .LBB356_4136
; %bb.2083:
	s_clause 0x3
	scratch_load_b32 v7, off, s32 offset:1056
	scratch_load_b64 v[8:9], off, s32 offset:1084
	scratch_load_b32 v55, off, s32 offset:520
	scratch_load_b64 v[4:5], off, s32 offset:328
	v_max_i32_e32 v30, v30, v18
	s_load_b32 s0, s[12:13], 0x0
	v_dual_mov_b32 v21, 0 :: v_dual_add_nc_u32 v54, -1, v17
	v_dual_mov_b32 v31, 0 :: v_dual_mov_b32 v36, 0
	s_delay_alu instid0(VALU_DEP_3) | instskip(SKIP_2) | instid1(VALU_DEP_3)
	v_cvt_f32_u32_e32 v0, v30
	v_dual_mov_b32 v33, 0 :: v_dual_mov_b32 v84, 0
	v_dual_mov_b32 v35, 0 :: v_dual_mov_b32 v66, 0
	v_rcp_iflag_f32_e32 v6, v0
	v_add_co_u32 v0, vcc_lo, v22, v13
	v_add_co_ci_u32_e32 v1, vcc_lo, v11, v10, vcc_lo
	v_dual_mov_b32 v52, 0 :: v_dual_mov_b32 v69, 0
	v_dual_mov_b32 v68, 0 :: v_dual_mov_b32 v71, 0
	;; [unrolled: 1-line block ×9, first 2 shown]
	v_mov_b32_e32 v98, 0
	v_mov_b32_e32 v100, 0
	s_mov_b32 s18, -1
	s_mov_b32 s19, 0xffffff
	v_dual_mul_f32 v6, 0x4f7ffffe, v6 :: v_dual_mov_b32 v3, 0
	v_dual_mov_b32 v28, 0 :: v_dual_mov_b32 v29, 0
	v_mov_b32_e32 v32, 0
	s_delay_alu instid0(VALU_DEP_3)
	v_cvt_u32_f32_e32 v6, v6
	v_mov_b32_e32 v34, 0
	s_waitcnt vmcnt(3)
	v_lshlrev_b32_e32 v2, 3, v7
	v_and_b32_e32 v7, 3, v7
	s_waitcnt vmcnt(0)
	v_lshlrev_b64 v[4:5], 2, v[4:5]
	s_delay_alu instid0(VALU_DEP_3)
	v_and_b32_e32 v64, 24, v2
	v_and_b32_e32 v103, 0xf8, v2
	v_or_b32_e32 v65, 0x1f00, v2
	v_sub_nc_u32_e32 v2, 0, v30
	v_add_co_u32 v4, vcc_lo, v8, v4
	scratch_load_b32 v8, off, s32 offset:1072 ; 4-byte Folded Reload
	v_lshlrev_b32_e32 v7, 5, v7
	v_mul_lo_u32 v2, v2, v6
	v_add_co_ci_u32_e32 v5, vcc_lo, v9, v5, vcc_lo
	s_delay_alu instid0(VALU_DEP_2) | instskip(NEXT) | instid1(VALU_DEP_1)
	v_mul_hi_u32 v2, v6, v2
	v_dual_mov_b32 v6, 0 :: v_dual_add_nc_u32 v135, v6, v2
	v_or_b32_e32 v19, 0x1000, v103
	v_or_b32_e32 v113, 0x1100, v103
	;; [unrolled: 1-line block ×15, first 2 shown]
	s_waitcnt vmcnt(0)
	v_lshl_or_b32 v9, v8, 7, v7
	v_add_co_u32 v7, vcc_lo, v14, v4
	v_add_co_ci_u32_e32 v8, vcc_lo, v15, v5, vcc_lo
	s_waitcnt lgkmcnt(0)
	s_delay_alu instid0(VALU_DEP_3)
	v_add_nc_u32_e32 v15, s0, v9
	s_branch .LBB356_2089
.LBB356_2084:                           ;   in Loop: Header=BB356_2089 Depth=1
	s_or_b32 exec_lo, exec_lo, s24
	v_lshlrev_b32_e32 v2, 8, v12
	v_lshl_add_u32 v10, v94, 10, 0x2000
	s_delay_alu instid0(VALU_DEP_1) | instskip(NEXT) | instid1(VALU_DEP_1)
	v_and_or_b32 v2, 0x8000, v2, v10
	v_lshl_or_b32 v2, v9, 7, v2
	s_delay_alu instid0(VALU_DEP_1)
	v_cvt_f32_f16_e32 v94, v2
.LBB356_2085:                           ;   in Loop: Header=BB356_2089 Depth=1
	s_or_b32 exec_lo, exec_lo, s23
.LBB356_2086:                           ;   in Loop: Header=BB356_2089 Depth=1
	s_delay_alu instid0(SALU_CYCLE_1)
	s_or_b32 exec_lo, exec_lo, s22
.LBB356_2087:                           ;   in Loop: Header=BB356_2089 Depth=1
	s_delay_alu instid0(SALU_CYCLE_1)
	s_or_b32 exec_lo, exec_lo, s21
	v_dual_add_f32 v2, v88, v89 :: v_dual_add_f32 v9, v77, v78
	v_add_f32_e32 v10, v67, v76
	s_waitcnt vmcnt(0) lgkmcnt(0)
	v_fma_mixlo_f16 v11, v13, v11, 0
	v_add_f32_e32 v5, v5, v50
	v_dual_add_f32 v21, v21, v2 :: v_dual_add_f32 v12, v147, v148
	v_dual_add_f32 v29, v29, v10 :: v_dual_add_f32 v28, v28, v9
	;; [unrolled: 1-line block ×3, first 2 shown]
	s_delay_alu instid0(VALU_DEP_3) | instskip(SKIP_1) | instid1(VALU_DEP_3)
	v_dual_add_f32 v31, v31, v12 :: v_dual_add_f32 v10, v61, v62
	v_fma_mixlo_f16 v12, v13, v14, 0
	v_add_f32_e32 v33, v33, v9
	s_delay_alu instid0(VALU_DEP_4) | instskip(SKIP_3) | instid1(VALU_DEP_4)
	v_dual_add_f32 v9, v119, v49 :: v_dual_add_f32 v32, v32, v2
	v_add_f32_e32 v2, v51, v53
	v_add_f32_e32 v34, v34, v10
	;; [unrolled: 1-line block ×4, first 2 shown]
	v_dual_add_f32 v9, v56, v57 :: v_dual_add_f32 v10, v22, v102
	v_add_f32_e32 v35, v35, v2
	v_dual_add_f32 v2, v39, v60 :: v_dual_add_f32 v5, v37, v38
	s_delay_alu instid0(VALU_DEP_3) | instskip(SKIP_1) | instid1(VALU_DEP_3)
	v_dual_add_f32 v71, v71, v9 :: v_dual_add_f32 v66, v66, v10
	v_add_f32_e32 v9, v40, v41
	v_add_f32_e32 v52, v52, v2
	;; [unrolled: 1-line block ×3, first 2 shown]
	v_fma_mixlo_f16 v10, v13, v79, 0
	v_fma_mixlo_f16 v14, v13, v93, 0
	v_dual_add_f32 v83, v83, v9 :: v_dual_add_f32 v4, v58, v59
	s_delay_alu instid0(VALU_DEP_4) | instskip(SKIP_4) | instid1(VALU_DEP_4)
	v_dual_add_f32 v69, v69, v2 :: v_dual_add_f32 v2, v46, v47
	v_dual_add_f32 v68, v68, v5 :: v_dual_add_f32 v5, v17, v18
	v_add_f32_e32 v9, v166, v167
	v_fma_mixlo_f16 v17, v13, v92, 0
	v_lshlrev_b32_e32 v22, 16, v10
	v_dual_add_f32 v80, v80, v5 :: v_dual_and_b32 v37, 0xffff, v12
	s_delay_alu instid0(VALU_DEP_4) | instskip(SKIP_3) | instid1(VALU_DEP_4)
	v_dual_add_f32 v5, v42, v43 :: v_dual_add_f32 v24, v24, v9
	v_fma_mixlo_f16 v9, v13, v90, 0
	v_lshlrev_b32_e32 v38, 16, v14
	v_and_b32_e32 v39, 0xffff, v17
	v_add_f32_e32 v20, v20, v5
	v_add_f32_e32 v5, v176, v177
	v_dual_add_f32 v81, v81, v2 :: v_dual_add_f32 v2, v182, v183
	v_add_f32_e32 v70, v70, v4
	v_and_b32_e32 v18, 0xffff, v9
	s_delay_alu instid0(VALU_DEP_4)
	v_add_f32_e32 v96, v96, v5
	v_fma_mixlo_f16 v48, v13, v94, 0
	v_dual_add_f32 v85, v85, v2 :: v_dual_add_f32 v2, v178, v179
	v_add_f32_e32 v4, v44, v45
	v_cndmask_b32_e32 v12, 0, v12, vcc_lo
	v_cndmask_b32_e64 v10, 0, v10, s0
	v_cndmask_b32_e64 v9, 0, v9, s2
	s_delay_alu instid0(VALU_DEP_4)
	v_dual_add_f32 v87, v87, v2 :: v_dual_add_f32 v82, v82, v4
	v_add_f32_e32 v4, v180, v181
	v_add_f32_e32 v2, v164, v165
	v_cndmask_b32_e64 v17, 0, v17, s6
	v_cndmask_b32_e64 v14, 0, v14, s7
	v_perm_b32 v10, v10, v12, 0x5040100
	s_delay_alu instid0(VALU_DEP_4)
	v_dual_add_f32 v86, v86, v4 :: v_dual_add_f32 v23, v23, v2
	v_fma_mixlo_f16 v4, v13, v91, 0
	v_or_b32_e32 v13, v22, v37
	v_lshlrev_b32_e32 v22, 16, v48
	v_and_b32_e32 v37, 0xffff, v11
	v_cndmask_b32_e64 v11, 0, v11, s3
	v_lshlrev_b32_e32 v5, 16, v4
	v_cndmask_b32_e64 v4, 0, v4, s4
	v_cndmask_b32_e64 v2, v13, v10, s1
	v_or_b32_e32 v22, v22, v37
	;;#ASMSTART
	v_pk_mul_f16 v2, v146, v2;

	;;#ASMEND
	v_or_b32_e32 v5, v5, v18
	v_or_b32_e32 v18, v38, v39
	v_cndmask_b32_e64 v38, 0, v48, s5
	v_perm_b32 v4, v4, v9, 0x5040100
	v_perm_b32 v9, v14, v17, 0x5040100
	v_add_f32_e32 v10, v162, v163
	s_delay_alu instid0(VALU_DEP_4) | instskip(NEXT) | instid1(VALU_DEP_4)
	v_perm_b32 v11, v38, v11, 0x5040100
	v_cndmask_b32_e64 v4, v5, v4, s1
	s_delay_alu instid0(VALU_DEP_4)
	v_cndmask_b32_e64 v5, v18, v9, s1
	;;#ASMSTART
	v_pk_mul_f16 v4, v145, v4;

	;;#ASMEND
	;;#ASMSTART
	v_pk_mul_f16 v5, v144, v5;

	;;#ASMEND
	v_cndmask_b32_e64 v9, v22, v11, s1
	;;#ASMSTART
	v_pk_mul_f16 v9, v149, v9;

	;;#ASMEND
	;;#ASMSTART
	v_pk_add_f16 v2, v2, v4;

	;;#ASMEND
	;;#ASMSTART
	v_pk_add_f16 v2, v2, v5;
	;; [unrolled: 4-line block ×3, first 2 shown]

	;;#ASMEND
	v_and_b32_e32 v4, 0xffff, v2
	v_lshrrev_b32_e32 v2, 16, v2
	;;#ASMSTART
	v_cvt_f32_f16 v4, v4;
	;;#ASMEND
	;;#ASMSTART
	v_cvt_f32_f16 v2, v2;
	;;#ASMEND
	v_add_f32_e32 v5, v160, v161
	v_add_f32_e32 v9, v150, v151
	v_dual_add_f32 v11, v118, v128 :: v_dual_add_f32 v2, v4, v2
	s_delay_alu instid0(VALU_DEP_3) | instskip(NEXT) | instid1(VALU_DEP_2)
	v_dual_add_f32 v97, v97, v10 :: v_dual_add_f32 v98, v98, v5
	v_dual_add_f32 v99, v99, v9 :: v_dual_add_f32 v100, v100, v11
	s_delay_alu instid0(VALU_DEP_3)
	v_add_f32_e32 v6, v6, v2
.LBB356_2088:                           ;   in Loop: Header=BB356_2089 Depth=1
	s_or_b32 exec_lo, exec_lo, s17
	scratch_load_b64 v[4:5], off, s32 offset:328 ; 8-byte Folded Reload
	v_mov_b32_e32 v12, v106
	v_add_co_u32 v7, s0, v7, 16
	s_delay_alu instid0(VALU_DEP_1) | instskip(NEXT) | instid1(VALU_DEP_3)
	v_add_co_ci_u32_e64 v8, s0, 0, v8, s0
	v_add_nc_u32_e32 v12, 0x80, v12
	v_add_nc_u32_e32 v15, 0x200, v15
	s_waitcnt vmcnt(0)
	v_add_nc_u32_e32 v4, 4, v4
	s_delay_alu instid0(VALU_DEP_1)
	v_mov_b32_e32 v2, v4
	scratch_store_b64 off, v[2:3], s32 offset:328 ; 8-byte Folded Spill
	scratch_load_b32 v2, off, s32 offset:352 ; 4-byte Folded Reload
	s_waitcnt vmcnt(0)
	v_cmp_ge_i32_e32 vcc_lo, v4, v2
	s_or_b32 s15, vcc_lo, s15
	s_delay_alu instid0(SALU_CYCLE_1)
	s_and_not1_b32 exec_lo, exec_lo, s15
	s_cbranch_execz .LBB356_4135
.LBB356_2089:                           ; =>This Inner Loop Header: Depth=1
	s_clause 0x2
	scratch_load_b32 v4, off, s32 offset:356
	scratch_load_b32 v11, off, s32 offset:348
	;; [unrolled: 1-line block ×3, first 2 shown]
	v_sub_nc_u32_e32 v2, 0, v12
	v_mov_b32_e32 v106, v12
	s_delay_alu instid0(VALU_DEP_2) | instskip(SKIP_1) | instid1(VALU_DEP_1)
	v_max_i32_e32 v2, v12, v2
	s_waitcnt vmcnt(2)
	v_mul_hi_u32 v4, v2, v4
	s_waitcnt vmcnt(0)
	s_delay_alu instid0(VALU_DEP_1) | instskip(NEXT) | instid1(VALU_DEP_1)
	v_mul_lo_u32 v5, v4, v10
	v_sub_nc_u32_e32 v2, v2, v5
	v_add_nc_u32_e32 v5, 1, v4
	s_delay_alu instid0(VALU_DEP_2) | instskip(SKIP_1) | instid1(VALU_DEP_3)
	v_sub_nc_u32_e32 v9, v2, v10
	v_cmp_ge_u32_e32 vcc_lo, v2, v10
	v_cndmask_b32_e32 v4, v4, v5, vcc_lo
	s_delay_alu instid0(VALU_DEP_3) | instskip(SKIP_1) | instid1(VALU_DEP_3)
	v_cndmask_b32_e32 v2, v2, v9, vcc_lo
	v_ashrrev_i32_e32 v5, 31, v12
	v_add_nc_u32_e32 v9, 1, v4
	s_delay_alu instid0(VALU_DEP_3) | instskip(NEXT) | instid1(VALU_DEP_3)
	v_cmp_ge_u32_e32 vcc_lo, v2, v10
	v_xor_b32_e32 v5, v5, v11
	s_delay_alu instid0(VALU_DEP_3) | instskip(NEXT) | instid1(VALU_DEP_1)
	v_cndmask_b32_e32 v2, v4, v9, vcc_lo
	v_xor_b32_e32 v2, v2, v5
	s_delay_alu instid0(VALU_DEP_1) | instskip(SKIP_3) | instid1(VALU_DEP_1)
	v_sub_nc_u32_e32 v2, v2, v5
	scratch_load_b64 v[4:5], off, s32 offset:340 ; 8-byte Folded Reload
	s_waitcnt vmcnt(0)
	v_add_nc_u32_e32 v4, v2, v4
	v_sub_nc_u32_e32 v5, 0, v4
	s_delay_alu instid0(VALU_DEP_1) | instskip(NEXT) | instid1(VALU_DEP_1)
	v_max_i32_e32 v5, v4, v5
	v_mul_hi_u32 v9, v5, v135
	s_delay_alu instid0(VALU_DEP_1) | instskip(NEXT) | instid1(VALU_DEP_1)
	v_mul_lo_u32 v9, v9, v30
	v_sub_nc_u32_e32 v5, v5, v9
	s_delay_alu instid0(VALU_DEP_1) | instskip(SKIP_1) | instid1(VALU_DEP_2)
	v_sub_nc_u32_e32 v9, v5, v30
	v_cmp_ge_u32_e32 vcc_lo, v5, v30
	v_cndmask_b32_e32 v5, v5, v9, vcc_lo
	v_ashrrev_i32_e32 v4, 31, v4
	s_delay_alu instid0(VALU_DEP_2) | instskip(SKIP_1) | instid1(VALU_DEP_2)
	v_sub_nc_u32_e32 v9, v5, v30
	v_cmp_ge_u32_e32 vcc_lo, v5, v30
	v_cndmask_b32_e32 v5, v5, v9, vcc_lo
	s_delay_alu instid0(VALU_DEP_1) | instskip(NEXT) | instid1(VALU_DEP_1)
	v_xor_b32_e32 v5, v5, v4
	v_sub_nc_u32_e32 v4, v5, v4
	s_delay_alu instid0(VALU_DEP_1) | instskip(SKIP_3) | instid1(VALU_DEP_1)
	v_cmp_eq_u32_e32 vcc_lo, 0, v4
	scratch_load_b32 v4, off, s32 offset:360 ; 4-byte Folded Reload
	s_waitcnt vmcnt(0)
	v_cmp_gt_i32_e64 s0, v2, v4
	s_or_b32 s0, vcc_lo, s0
	s_delay_alu instid0(SALU_CYCLE_1)
	s_and_saveexec_b32 s17, s0
	s_cbranch_execz .LBB356_2088
; %bb.2090:                             ;   in Loop: Header=BB356_2089 Depth=1
	flat_load_b32 v2, v[7:8]
	ds_load_2addr_b64 v[11:14], v15 offset1:1
	ds_load_2addr_b64 v[144:147], v15 offset0:2 offset1:3
	scratch_load_b32 v4, off, s32 offset:688 ; 4-byte Folded Reload
	v_mov_b32_e32 v51, 0
	s_mov_b32 s0, exec_lo
	s_waitcnt lgkmcnt(1)
	;;#ASMSTART
	v_cvt_f16_f32 v39, v11;

	;;#ASMEND
	;;#ASMSTART
	v_cvt_f16_f32 v37, v12;

	;;#ASMEND
	;; [unrolled: 4-line block ×4, first 2 shown]
	s_waitcnt lgkmcnt(0)
	;;#ASMSTART
	v_cvt_f16_f32 v50, v144;

	;;#ASMEND
	;;#ASMSTART
	v_cvt_f16_f32 v49, v145;

	;;#ASMEND
	;; [unrolled: 4-line block ×3, first 2 shown]
	v_mov_b32_e32 v53, 0
	s_waitcnt vmcnt(0)
	v_mad_i64_i32 v[9:10], null, v2, v4, v[0:1]
	;;#ASMSTART
	v_cvt_f16_f32 v4, v147;

	;;#ASMEND
	s_delay_alu instid0(VALU_DEP_1) | instskip(NEXT) | instid1(VALU_DEP_2)
	v_add_co_u32 v11, vcc_lo, v9, v103
	v_add_co_ci_u32_e32 v12, vcc_lo, 0, v10, vcc_lo
	flat_load_b64 v[13:14], v[11:12]
	flat_load_b32 v22, v[26:27]
	s_waitcnt vmcnt(1) lgkmcnt(1)
	v_and_b32_e32 v2, 0xff, v13
	s_delay_alu instid0(VALU_DEP_1)
	v_cmpx_ne_u16_e32 0, v2
	s_cbranch_execz .LBB356_2098
; %bb.2091:                             ;   in Loop: Header=BB356_2089 Depth=1
	v_bfrev_b32_e32 v51, 1
	s_mov_b32 s1, exec_lo
	v_cmpx_ne_u16_e32 0x80, v2
	s_cbranch_execz .LBB356_2097
; %bb.2092:                             ;   in Loop: Header=BB356_2089 Depth=1
	v_and_b32_e32 v17, 0x7f, v13
	v_mov_b32_e32 v51, 0x7fc02000
	s_mov_b32 s2, exec_lo
	s_delay_alu instid0(VALU_DEP_2)
	v_cmpx_ne_u32_e32 0x7f, v17
	s_cbranch_execz .LBB356_2096
; %bb.2093:                             ;   in Loop: Header=BB356_2089 Depth=1
	v_lshrrev_b32_e32 v2, 3, v17
	v_cmp_gt_u32_e32 vcc_lo, 8, v17
	v_dual_mov_b32 v18, v14 :: v_dual_mov_b32 v17, v13
	s_and_saveexec_b32 s3, vcc_lo
; %bb.2094:                             ;   in Loop: Header=BB356_2089 Depth=1
	v_and_b32_e32 v2, 7, v13
	s_delay_alu instid0(VALU_DEP_1) | instskip(NEXT) | instid1(VALU_DEP_1)
	v_clz_i32_u32_e32 v2, v2
	v_min_u32_e32 v2, 32, v2
	s_delay_alu instid0(VALU_DEP_1) | instskip(SKIP_1) | instid1(VALU_DEP_2)
	v_subrev_nc_u32_e32 v17, 28, v2
	v_sub_nc_u32_e32 v2, 29, v2
	v_lshlrev_b64 v[17:18], v17, v[13:14]
; %bb.2095:                             ;   in Loop: Header=BB356_2089 Depth=1
	s_or_b32 exec_lo, exec_lo, s3
	v_lshlrev_b32_e32 v18, 8, v13
	s_delay_alu instid0(VALU_DEP_3) | instskip(NEXT) | instid1(VALU_DEP_3)
	v_lshl_add_u32 v2, v2, 10, 0x2000
	v_lshlrev_b32_e32 v17, 7, v17
	s_delay_alu instid0(VALU_DEP_2) | instskip(NEXT) | instid1(VALU_DEP_1)
	v_and_or_b32 v2, 0x8000, v18, v2
	v_and_or_b32 v2, 0x380, v17, v2
	s_delay_alu instid0(VALU_DEP_1)
	v_cvt_f32_f16_e32 v51, v2
.LBB356_2096:                           ;   in Loop: Header=BB356_2089 Depth=1
	s_or_b32 exec_lo, exec_lo, s2
.LBB356_2097:                           ;   in Loop: Header=BB356_2089 Depth=1
	s_delay_alu instid0(SALU_CYCLE_1)
	s_or_b32 exec_lo, exec_lo, s1
.LBB356_2098:                           ;   in Loop: Header=BB356_2089 Depth=1
	s_delay_alu instid0(SALU_CYCLE_1) | instskip(SKIP_2) | instid1(VALU_DEP_1)
	s_or_b32 exec_lo, exec_lo, s0
	v_lshrrev_b16 v2, 8, v13
	s_mov_b32 s0, exec_lo
	v_cmpx_ne_u16_e32 0, v2
	s_cbranch_execz .LBB356_2106
; %bb.2099:                             ;   in Loop: Header=BB356_2089 Depth=1
	v_bfrev_b32_e32 v53, 1
	s_mov_b32 s1, exec_lo
	v_cmpx_ne_u16_e32 0x80, v2
	s_cbranch_execz .LBB356_2105
; %bb.2100:                             ;   in Loop: Header=BB356_2089 Depth=1
	v_and_b32_e32 v67, 0xffff, v2
	v_mov_b32_e32 v53, 0x7fc02000
	s_mov_b32 s2, exec_lo
	s_delay_alu instid0(VALU_DEP_2) | instskip(NEXT) | instid1(VALU_DEP_1)
	v_and_b32_e32 v17, 0x7f, v67
	v_cmpx_ne_u32_e32 0x7f, v17
	s_cbranch_execz .LBB356_2104
; %bb.2101:                             ;   in Loop: Header=BB356_2089 Depth=1
	v_and_b32_e32 v2, 7, v67
	v_lshrrev_b32_e32 v53, 3, v17
	v_cmp_gt_u32_e32 vcc_lo, 8, v17
	s_delay_alu instid0(VALU_DEP_3)
	v_dual_mov_b32 v18, v3 :: v_dual_mov_b32 v17, v2
	s_and_saveexec_b32 s3, vcc_lo
; %bb.2102:                             ;   in Loop: Header=BB356_2089 Depth=1
	v_clz_i32_u32_e32 v17, v2
	s_delay_alu instid0(VALU_DEP_1) | instskip(NEXT) | instid1(VALU_DEP_1)
	v_min_u32_e32 v53, 32, v17
	v_subrev_nc_u32_e32 v17, 28, v53
	v_sub_nc_u32_e32 v53, 29, v53
	s_delay_alu instid0(VALU_DEP_2) | instskip(NEXT) | instid1(VALU_DEP_1)
	v_lshlrev_b64 v[17:18], v17, v[2:3]
	v_and_b32_e32 v17, 7, v17
; %bb.2103:                             ;   in Loop: Header=BB356_2089 Depth=1
	s_or_b32 exec_lo, exec_lo, s3
	v_lshlrev_b32_e32 v2, 8, v67
	v_lshl_add_u32 v18, v53, 10, 0x2000
	s_delay_alu instid0(VALU_DEP_1) | instskip(NEXT) | instid1(VALU_DEP_1)
	v_and_or_b32 v2, 0x8000, v2, v18
	v_lshl_or_b32 v2, v17, 7, v2
	s_delay_alu instid0(VALU_DEP_1)
	v_cvt_f32_f16_e32 v53, v2
.LBB356_2104:                           ;   in Loop: Header=BB356_2089 Depth=1
	s_or_b32 exec_lo, exec_lo, s2
.LBB356_2105:                           ;   in Loop: Header=BB356_2089 Depth=1
	s_delay_alu instid0(SALU_CYCLE_1)
	s_or_b32 exec_lo, exec_lo, s1
.LBB356_2106:                           ;   in Loop: Header=BB356_2089 Depth=1
	s_delay_alu instid0(SALU_CYCLE_1) | instskip(SKIP_3) | instid1(VALU_DEP_2)
	s_or_b32 exec_lo, exec_lo, s0
	v_lshrrev_b32_e32 v118, 16, v13
	v_mov_b32_e32 v102, 0
	s_mov_b32 s0, exec_lo
	v_dual_mov_b32 v67, 0 :: v_dual_and_b32 v2, 0xff, v118
	s_delay_alu instid0(VALU_DEP_1)
	v_cmpx_ne_u16_e32 0, v2
	s_cbranch_execz .LBB356_2114
; %bb.2107:                             ;   in Loop: Header=BB356_2089 Depth=1
	v_bfrev_b32_e32 v67, 1
	s_mov_b32 s1, exec_lo
	v_cmpx_ne_u16_e32 0x80, v2
	s_cbranch_execz .LBB356_2113
; %bb.2108:                             ;   in Loop: Header=BB356_2089 Depth=1
	v_bfe_u32 v17, v13, 16, 7
	v_mov_b32_e32 v67, 0x7fc02000
	s_mov_b32 s2, exec_lo
	s_delay_alu instid0(VALU_DEP_2)
	v_cmpx_ne_u32_e32 0x7f, v17
	s_cbranch_execz .LBB356_2112
; %bb.2109:                             ;   in Loop: Header=BB356_2089 Depth=1
	v_and_b32_e32 v2, 7, v118
	v_lshrrev_b32_e32 v67, 3, v17
	v_cmp_gt_u32_e32 vcc_lo, 8, v17
	s_delay_alu instid0(VALU_DEP_3)
	v_dual_mov_b32 v18, v3 :: v_dual_mov_b32 v17, v2
	s_and_saveexec_b32 s3, vcc_lo
; %bb.2110:                             ;   in Loop: Header=BB356_2089 Depth=1
	v_clz_i32_u32_e32 v17, v2
	s_delay_alu instid0(VALU_DEP_1) | instskip(NEXT) | instid1(VALU_DEP_1)
	v_min_u32_e32 v67, 32, v17
	v_subrev_nc_u32_e32 v17, 28, v67
	v_sub_nc_u32_e32 v67, 29, v67
	s_delay_alu instid0(VALU_DEP_2) | instskip(NEXT) | instid1(VALU_DEP_1)
	v_lshlrev_b64 v[17:18], v17, v[2:3]
	v_and_b32_e32 v17, 7, v17
; %bb.2111:                             ;   in Loop: Header=BB356_2089 Depth=1
	s_or_b32 exec_lo, exec_lo, s3
	v_lshlrev_b32_e32 v2, 8, v118
	v_lshl_add_u32 v18, v67, 10, 0x2000
	s_delay_alu instid0(VALU_DEP_1) | instskip(NEXT) | instid1(VALU_DEP_1)
	v_and_or_b32 v2, 0x8000, v2, v18
	v_lshl_or_b32 v2, v17, 7, v2
	s_delay_alu instid0(VALU_DEP_1)
	v_cvt_f32_f16_e32 v67, v2
.LBB356_2112:                           ;   in Loop: Header=BB356_2089 Depth=1
	s_or_b32 exec_lo, exec_lo, s2
.LBB356_2113:                           ;   in Loop: Header=BB356_2089 Depth=1
	s_delay_alu instid0(SALU_CYCLE_1)
	s_or_b32 exec_lo, exec_lo, s1
.LBB356_2114:                           ;   in Loop: Header=BB356_2089 Depth=1
	s_delay_alu instid0(SALU_CYCLE_1) | instskip(NEXT) | instid1(SALU_CYCLE_1)
	s_or_b32 exec_lo, exec_lo, s0
	s_mov_b32 s0, exec_lo
	v_cmpx_lt_u32_e32 0xffffff, v13
	s_cbranch_execz .LBB356_2122
; %bb.2115:                             ;   in Loop: Header=BB356_2089 Depth=1
	v_lshrrev_b32_e32 v118, 24, v13
	v_bfrev_b32_e32 v102, 1
	s_mov_b32 s1, exec_lo
	s_delay_alu instid0(VALU_DEP_2)
	v_cmpx_ne_u32_e32 0x80, v118
	s_cbranch_execz .LBB356_2121
; %bb.2116:                             ;   in Loop: Header=BB356_2089 Depth=1
	v_and_b32_e32 v17, 0x7f, v118
	v_mov_b32_e32 v102, 0x7fc02000
	s_mov_b32 s2, exec_lo
	s_delay_alu instid0(VALU_DEP_2)
	v_cmpx_ne_u32_e32 0x7f, v17
	s_cbranch_execz .LBB356_2120
; %bb.2117:                             ;   in Loop: Header=BB356_2089 Depth=1
	v_and_b32_e32 v2, 7, v118
	v_lshrrev_b32_e32 v102, 3, v17
	v_cmp_gt_u32_e32 vcc_lo, 8, v17
	s_delay_alu instid0(VALU_DEP_3)
	v_dual_mov_b32 v18, v3 :: v_dual_mov_b32 v17, v2
	s_and_saveexec_b32 s3, vcc_lo
; %bb.2118:                             ;   in Loop: Header=BB356_2089 Depth=1
	v_clz_i32_u32_e32 v17, v2
	s_delay_alu instid0(VALU_DEP_1) | instskip(NEXT) | instid1(VALU_DEP_1)
	v_min_u32_e32 v102, 32, v17
	v_subrev_nc_u32_e32 v17, 28, v102
	v_sub_nc_u32_e32 v102, 29, v102
	s_delay_alu instid0(VALU_DEP_2) | instskip(NEXT) | instid1(VALU_DEP_1)
	v_lshlrev_b64 v[17:18], v17, v[2:3]
	v_and_b32_e32 v17, 7, v17
; %bb.2119:                             ;   in Loop: Header=BB356_2089 Depth=1
	s_or_b32 exec_lo, exec_lo, s3
	v_lshlrev_b32_e32 v2, 8, v118
	v_lshl_add_u32 v18, v102, 10, 0x2000
	s_delay_alu instid0(VALU_DEP_1) | instskip(NEXT) | instid1(VALU_DEP_1)
	v_and_or_b32 v2, 0x8000, v2, v18
	v_lshl_or_b32 v2, v17, 7, v2
	s_delay_alu instid0(VALU_DEP_1)
	v_cvt_f32_f16_e32 v102, v2
.LBB356_2120:                           ;   in Loop: Header=BB356_2089 Depth=1
	s_or_b32 exec_lo, exec_lo, s2
.LBB356_2121:                           ;   in Loop: Header=BB356_2089 Depth=1
	s_delay_alu instid0(SALU_CYCLE_1)
	s_or_b32 exec_lo, exec_lo, s1
.LBB356_2122:                           ;   in Loop: Header=BB356_2089 Depth=1
	s_delay_alu instid0(SALU_CYCLE_1) | instskip(SKIP_3) | instid1(VALU_DEP_2)
	s_or_b32 exec_lo, exec_lo, s0
	v_dual_mov_b32 v2, v14 :: v_dual_and_b32 v17, 0xff, v14
	v_dual_mov_b32 v119, 0 :: v_dual_mov_b32 v118, 0
	s_mov_b32 s0, exec_lo
	v_cmpx_ne_u16_e32 0, v17
	s_cbranch_execz .LBB356_2130
; %bb.2123:                             ;   in Loop: Header=BB356_2089 Depth=1
	v_bfrev_b32_e32 v118, 1
	s_mov_b32 s1, exec_lo
	v_cmpx_ne_u16_e32 0x80, v17
	s_cbranch_execz .LBB356_2129
; %bb.2124:                             ;   in Loop: Header=BB356_2089 Depth=1
	v_and_b32_e32 v17, 0x7f, v14
	v_mov_b32_e32 v118, 0x7fc02000
	s_mov_b32 s2, exec_lo
	s_delay_alu instid0(VALU_DEP_2)
	v_cmpx_ne_u32_e32 0x7f, v17
	s_cbranch_execz .LBB356_2128
; %bb.2125:                             ;   in Loop: Header=BB356_2089 Depth=1
	v_lshrrev_b32_e32 v118, 3, v17
	v_cmp_gt_u32_e32 vcc_lo, 8, v17
	v_dual_mov_b32 v18, v3 :: v_dual_mov_b32 v17, v2
	s_and_saveexec_b32 s3, vcc_lo
; %bb.2126:                             ;   in Loop: Header=BB356_2089 Depth=1
	v_and_b32_e32 v17, 7, v14
	s_delay_alu instid0(VALU_DEP_1) | instskip(NEXT) | instid1(VALU_DEP_1)
	v_clz_i32_u32_e32 v17, v17
	v_min_u32_e32 v118, 32, v17
	s_delay_alu instid0(VALU_DEP_1) | instskip(SKIP_1) | instid1(VALU_DEP_2)
	v_subrev_nc_u32_e32 v17, 28, v118
	v_sub_nc_u32_e32 v118, 29, v118
	v_lshlrev_b64 v[17:18], v17, v[2:3]
; %bb.2127:                             ;   in Loop: Header=BB356_2089 Depth=1
	s_or_b32 exec_lo, exec_lo, s3
	v_lshlrev_b32_e32 v18, 8, v14
	s_delay_alu instid0(VALU_DEP_3) | instskip(NEXT) | instid1(VALU_DEP_3)
	v_lshl_add_u32 v118, v118, 10, 0x2000
	v_lshlrev_b32_e32 v17, 7, v17
	s_delay_alu instid0(VALU_DEP_2) | instskip(NEXT) | instid1(VALU_DEP_1)
	v_and_or_b32 v18, 0x8000, v18, v118
	v_and_or_b32 v17, 0x380, v17, v18
	s_delay_alu instid0(VALU_DEP_1)
	v_cvt_f32_f16_e32 v118, v17
.LBB356_2128:                           ;   in Loop: Header=BB356_2089 Depth=1
	s_or_b32 exec_lo, exec_lo, s2
.LBB356_2129:                           ;   in Loop: Header=BB356_2089 Depth=1
	s_delay_alu instid0(SALU_CYCLE_1)
	s_or_b32 exec_lo, exec_lo, s1
.LBB356_2130:                           ;   in Loop: Header=BB356_2089 Depth=1
	s_delay_alu instid0(SALU_CYCLE_1) | instskip(SKIP_2) | instid1(VALU_DEP_1)
	s_or_b32 exec_lo, exec_lo, s0
	v_lshrrev_b16 v2, 8, v2
	s_mov_b32 s0, exec_lo
	v_cmpx_ne_u16_e32 0, v2
	s_cbranch_execz .LBB356_2138
; %bb.2131:                             ;   in Loop: Header=BB356_2089 Depth=1
	v_bfrev_b32_e32 v119, 1
	s_mov_b32 s1, exec_lo
	v_cmpx_ne_u16_e32 0x80, v2
	s_cbranch_execz .LBB356_2137
; %bb.2132:                             ;   in Loop: Header=BB356_2089 Depth=1
	v_and_b32_e32 v128, 0xffff, v2
	v_mov_b32_e32 v119, 0x7fc02000
	s_mov_b32 s2, exec_lo
	s_delay_alu instid0(VALU_DEP_2) | instskip(NEXT) | instid1(VALU_DEP_1)
	v_and_b32_e32 v17, 0x7f, v128
	v_cmpx_ne_u32_e32 0x7f, v17
	s_cbranch_execz .LBB356_2136
; %bb.2133:                             ;   in Loop: Header=BB356_2089 Depth=1
	v_and_b32_e32 v2, 7, v128
	v_lshrrev_b32_e32 v119, 3, v17
	v_cmp_gt_u32_e32 vcc_lo, 8, v17
	s_delay_alu instid0(VALU_DEP_3)
	v_dual_mov_b32 v18, v3 :: v_dual_mov_b32 v17, v2
	s_and_saveexec_b32 s3, vcc_lo
; %bb.2134:                             ;   in Loop: Header=BB356_2089 Depth=1
	v_clz_i32_u32_e32 v17, v2
	s_delay_alu instid0(VALU_DEP_1) | instskip(NEXT) | instid1(VALU_DEP_1)
	v_min_u32_e32 v119, 32, v17
	v_subrev_nc_u32_e32 v17, 28, v119
	v_sub_nc_u32_e32 v119, 29, v119
	s_delay_alu instid0(VALU_DEP_2) | instskip(NEXT) | instid1(VALU_DEP_1)
	v_lshlrev_b64 v[17:18], v17, v[2:3]
	v_and_b32_e32 v17, 7, v17
; %bb.2135:                             ;   in Loop: Header=BB356_2089 Depth=1
	s_or_b32 exec_lo, exec_lo, s3
	v_lshlrev_b32_e32 v2, 8, v128
	v_lshl_add_u32 v18, v119, 10, 0x2000
	s_delay_alu instid0(VALU_DEP_1) | instskip(NEXT) | instid1(VALU_DEP_1)
	v_and_or_b32 v2, 0x8000, v2, v18
	v_lshl_or_b32 v2, v17, 7, v2
	s_delay_alu instid0(VALU_DEP_1)
	v_cvt_f32_f16_e32 v119, v2
.LBB356_2136:                           ;   in Loop: Header=BB356_2089 Depth=1
	s_or_b32 exec_lo, exec_lo, s2
.LBB356_2137:                           ;   in Loop: Header=BB356_2089 Depth=1
	s_delay_alu instid0(SALU_CYCLE_1)
	s_or_b32 exec_lo, exec_lo, s1
.LBB356_2138:                           ;   in Loop: Header=BB356_2089 Depth=1
	s_delay_alu instid0(SALU_CYCLE_1) | instskip(SKIP_3) | instid1(VALU_DEP_2)
	s_or_b32 exec_lo, exec_lo, s0
	v_lshrrev_b32_e32 v144, 16, v14
	v_mov_b32_e32 v128, 0
	s_mov_b32 s0, exec_lo
	v_dual_mov_b32 v17, 0 :: v_dual_and_b32 v2, 0xff, v144
	s_delay_alu instid0(VALU_DEP_1)
	v_cmpx_ne_u16_e32 0, v2
	s_cbranch_execz .LBB356_2146
; %bb.2139:                             ;   in Loop: Header=BB356_2089 Depth=1
	v_bfrev_b32_e32 v17, 1
	s_mov_b32 s1, exec_lo
	v_cmpx_ne_u16_e32 0x80, v2
	s_cbranch_execz .LBB356_2145
; %bb.2140:                             ;   in Loop: Header=BB356_2089 Depth=1
	v_bfe_u32 v18, v14, 16, 7
	v_mov_b32_e32 v17, 0x7fc02000
	s_mov_b32 s2, exec_lo
	s_delay_alu instid0(VALU_DEP_2)
	v_cmpx_ne_u32_e32 0x7f, v18
	s_cbranch_execz .LBB356_2144
; %bb.2141:                             ;   in Loop: Header=BB356_2089 Depth=1
	v_and_b32_e32 v2, 7, v144
	v_lshrrev_b32_e32 v145, 3, v18
	v_cmp_gt_u32_e32 vcc_lo, 8, v18
	s_delay_alu instid0(VALU_DEP_3)
	v_dual_mov_b32 v18, v3 :: v_dual_mov_b32 v17, v2
	s_and_saveexec_b32 s3, vcc_lo
; %bb.2142:                             ;   in Loop: Header=BB356_2089 Depth=1
	v_clz_i32_u32_e32 v17, v2
	s_delay_alu instid0(VALU_DEP_1) | instskip(NEXT) | instid1(VALU_DEP_1)
	v_min_u32_e32 v145, 32, v17
	v_subrev_nc_u32_e32 v17, 28, v145
	v_sub_nc_u32_e32 v145, 29, v145
	s_delay_alu instid0(VALU_DEP_2) | instskip(NEXT) | instid1(VALU_DEP_1)
	v_lshlrev_b64 v[17:18], v17, v[2:3]
	v_and_b32_e32 v17, 7, v17
; %bb.2143:                             ;   in Loop: Header=BB356_2089 Depth=1
	s_or_b32 exec_lo, exec_lo, s3
	v_lshlrev_b32_e32 v2, 8, v144
	v_lshl_add_u32 v18, v145, 10, 0x2000
	s_delay_alu instid0(VALU_DEP_1) | instskip(NEXT) | instid1(VALU_DEP_1)
	v_and_or_b32 v2, 0x8000, v2, v18
	v_lshl_or_b32 v2, v17, 7, v2
	s_delay_alu instid0(VALU_DEP_1)
	v_cvt_f32_f16_e32 v17, v2
.LBB356_2144:                           ;   in Loop: Header=BB356_2089 Depth=1
	s_or_b32 exec_lo, exec_lo, s2
.LBB356_2145:                           ;   in Loop: Header=BB356_2089 Depth=1
	s_delay_alu instid0(SALU_CYCLE_1)
	s_or_b32 exec_lo, exec_lo, s1
.LBB356_2146:                           ;   in Loop: Header=BB356_2089 Depth=1
	s_delay_alu instid0(SALU_CYCLE_1) | instskip(NEXT) | instid1(SALU_CYCLE_1)
	s_or_b32 exec_lo, exec_lo, s0
	s_mov_b32 s0, exec_lo
	v_cmpx_lt_u64_e64 s[18:19], v[13:14]
	s_cbranch_execz .LBB356_2154
; %bb.2147:                             ;   in Loop: Header=BB356_2089 Depth=1
	v_lshrrev_b32_e32 v18, 24, v14
	v_bfrev_b32_e32 v128, 1
	s_mov_b32 s1, exec_lo
	s_delay_alu instid0(VALU_DEP_2)
	v_cmpx_ne_u32_e32 0x80, v18
	s_cbranch_execz .LBB356_2153
; %bb.2148:                             ;   in Loop: Header=BB356_2089 Depth=1
	v_and_b32_e32 v13, 0x7f, v18
	v_mov_b32_e32 v128, 0x7fc02000
	s_mov_b32 s2, exec_lo
	s_delay_alu instid0(VALU_DEP_2)
	v_cmpx_ne_u32_e32 0x7f, v13
	s_cbranch_execz .LBB356_2152
; %bb.2149:                             ;   in Loop: Header=BB356_2089 Depth=1
	v_and_b32_e32 v2, 7, v18
	v_lshrrev_b32_e32 v128, 3, v13
	v_cmp_gt_u32_e32 vcc_lo, 8, v13
	s_delay_alu instid0(VALU_DEP_3)
	v_dual_mov_b32 v14, v3 :: v_dual_mov_b32 v13, v2
	s_and_saveexec_b32 s3, vcc_lo
; %bb.2150:                             ;   in Loop: Header=BB356_2089 Depth=1
	v_clz_i32_u32_e32 v13, v2
	s_delay_alu instid0(VALU_DEP_1) | instskip(NEXT) | instid1(VALU_DEP_1)
	v_min_u32_e32 v128, 32, v13
	v_subrev_nc_u32_e32 v13, 28, v128
	v_sub_nc_u32_e32 v128, 29, v128
	s_delay_alu instid0(VALU_DEP_2) | instskip(NEXT) | instid1(VALU_DEP_1)
	v_lshlrev_b64 v[13:14], v13, v[2:3]
	v_and_b32_e32 v13, 7, v13
; %bb.2151:                             ;   in Loop: Header=BB356_2089 Depth=1
	s_or_b32 exec_lo, exec_lo, s3
	v_lshlrev_b32_e32 v2, 8, v18
	v_lshl_add_u32 v14, v128, 10, 0x2000
	s_delay_alu instid0(VALU_DEP_1) | instskip(NEXT) | instid1(VALU_DEP_1)
	v_and_or_b32 v2, 0x8000, v2, v14
	v_lshl_or_b32 v2, v13, 7, v2
	s_delay_alu instid0(VALU_DEP_1)
	v_cvt_f32_f16_e64 v128, v2
.LBB356_2152:                           ;   in Loop: Header=BB356_2089 Depth=1
	s_or_b32 exec_lo, exec_lo, s2
.LBB356_2153:                           ;   in Loop: Header=BB356_2089 Depth=1
	s_delay_alu instid0(SALU_CYCLE_1)
	s_or_b32 exec_lo, exec_lo, s1
.LBB356_2154:                           ;   in Loop: Header=BB356_2089 Depth=1
	s_delay_alu instid0(SALU_CYCLE_1)
	s_or_b32 exec_lo, exec_lo, s0
	s_waitcnt vmcnt(0) lgkmcnt(0)
	v_fma_mixlo_f16 v51, v22, v51, 0
	v_and_b32_e32 v13, 0xffff, v48
	v_and_b32_e32 v2, 0xffff, v39
	v_fma_mixlo_f16 v39, v22, v67, 0
	v_fma_mixlo_f16 v119, v22, v119, 0
	;; [unrolled: 1-line block ×3, first 2 shown]
	v_lshl_or_b32 v145, v38, 16, v13
	v_fma_mixlo_f16 v38, v22, v102, 0
	v_add_nc_u32_e32 v18, v64, v106
	v_fma_mixlo_f16 v48, v22, v53, 0
	v_and_b32_e32 v67, 0xffff, v39
	v_lshlrev_b32_e32 v147, 16, v119
	v_lshlrev_b32_e32 v53, 16, v38
	v_and_b32_e32 v148, 0xffff, v118
	v_and_b32_e32 v14, 0xffff, v50
	v_lshl_or_b32 v146, v37, 16, v2
	v_add_nc_u32_e32 v2, 1, v18
	v_or_b32_e32 v53, v53, v67
	v_or_b32_e32 v67, v147, v148
	scratch_load_b32 v147, off, s32 offset:520 ; 4-byte Folded Reload
	v_lshl_or_b32 v144, v49, 16, v14
	v_or_b32_e32 v49, 5, v18
	v_cmp_lt_i32_e64 s0, v2, v55
	v_lshlrev_b32_e32 v102, 16, v48
	v_or_b32_e32 v13, 2, v18
	v_or_b32_e32 v14, 3, v18
	v_cmp_lt_i32_e64 s7, v49, v55
	v_cndmask_b32_e64 v2, 0, v48, s0
	scratch_load_b64 v[48:49], off, s32 offset:328 ; 8-byte Folded Reload
	v_or_b32_e32 v37, 4, v18
	v_or_b32_e32 v50, 6, v18
	;; [unrolled: 1-line block ×3, first 2 shown]
	v_cmp_lt_i32_e64 s4, v14, v55
	v_fma_mixlo_f16 v128, v22, v128, 0
	v_fma_mixlo_f16 v17, v22, v17, 0
	v_and_b32_e32 v22, 0xffff, v51
	v_cmp_lt_i32_e64 s5, v151, v55
	v_cndmask_b32_e64 v14, 0, v38, s4
	v_lshlrev_b32_e32 v149, 16, v128
	v_and_b32_e32 v150, 0xffff, v17
	v_or_b32_e32 v22, v102, v22
	v_cndmask_b32_e64 v38, 0, v128, s5
	v_and_b32_e32 v5, 0xffff, v5
	s_mov_b32 s21, exec_lo
	v_or_b32_e32 v102, v149, v150
	s_delay_alu instid0(VALU_DEP_2)
	v_lshl_or_b32 v149, v4, 16, v5
	s_waitcnt vmcnt(1)
	v_cmp_lt_i32_e32 vcc_lo, v18, v147
	v_cmp_lt_i32_e64 s2, v13, v147
	v_cmp_lt_i32_e64 s3, v50, v147
	;; [unrolled: 1-line block ×3, first 2 shown]
	v_cndmask_b32_e32 v18, 0, v51, vcc_lo
	s_delay_alu instid0(VALU_DEP_4) | instskip(NEXT) | instid1(VALU_DEP_4)
	v_cndmask_b32_e64 v13, 0, v39, s2
	v_cndmask_b32_e64 v17, 0, v17, s3
	s_delay_alu instid0(VALU_DEP_4)
	v_cndmask_b32_e64 v37, 0, v118, s6
	v_cndmask_b32_e64 v39, 0, v119, s7
	v_perm_b32 v2, v2, v18, 0x5040100
	s_waitcnt vmcnt(0)
	v_cmp_eq_u32_e64 s1, v54, v48
	v_perm_b32 v13, v14, v13, 0x5040100
	v_perm_b32 v17, v38, v17, 0x5040100
	;; [unrolled: 1-line block ×3, first 2 shown]
	s_delay_alu instid0(VALU_DEP_4) | instskip(NEXT) | instid1(VALU_DEP_4)
	v_cndmask_b32_e64 v2, v22, v2, s1
	v_cndmask_b32_e64 v13, v53, v13, s1
	;;#ASMSTART
	v_pk_mul_f16 v2, v146, v2;

	;;#ASMEND
	v_cndmask_b32_e64 v17, v102, v17, s1
	v_cndmask_b32_e64 v14, v67, v14, s1
	;;#ASMSTART
	v_pk_mul_f16 v4, v145, v13;

	;;#ASMEND
	;;#ASMSTART
	v_pk_mul_f16 v5, v144, v14;

	;;#ASMEND
	;; [unrolled: 4-line block ×3, first 2 shown]
	;;#ASMSTART
	v_pk_add_f16 v2, v2, v4;

	;;#ASMEND
	;;#ASMSTART
	v_pk_add_f16 v2, v2, v5;

	;;#ASMEND
	;;#ASMSTART
	v_pk_add_f16 v2, v2, v13;

	;;#ASMEND
	v_and_b32_e32 v4, 0xffff, v2
	v_lshrrev_b32_e32 v2, 16, v2
	;;#ASMSTART
	v_cvt_f32_f16 v118, v4;
	;;#ASMEND
	;;#ASMSTART
	v_cvt_f32_f16 v128, v2;
	;;#ASMEND
	flat_load_b64 v[13:14], v[11:12] offset:256
	flat_load_b32 v4, v[26:27]
	v_dual_mov_b32 v22, 0 :: v_dual_mov_b32 v5, 0
	s_waitcnt vmcnt(1) lgkmcnt(1)
	v_and_b32_e32 v2, 0xff, v13
	s_delay_alu instid0(VALU_DEP_1)
	v_cmpx_ne_u16_e32 0, v2
	s_cbranch_execz .LBB356_2162
; %bb.2155:                             ;   in Loop: Header=BB356_2089 Depth=1
	v_bfrev_b32_e32 v5, 1
	s_mov_b32 s22, exec_lo
	v_cmpx_ne_u16_e32 0x80, v2
	s_cbranch_execz .LBB356_2161
; %bb.2156:                             ;   in Loop: Header=BB356_2089 Depth=1
	v_and_b32_e32 v17, 0x7f, v13
	v_mov_b32_e32 v5, 0x7fc02000
	s_mov_b32 s23, exec_lo
	s_delay_alu instid0(VALU_DEP_2)
	v_cmpx_ne_u32_e32 0x7f, v17
	s_cbranch_execz .LBB356_2160
; %bb.2157:                             ;   in Loop: Header=BB356_2089 Depth=1
	v_lshrrev_b32_e32 v2, 3, v17
	v_cmp_gt_u32_e64 s8, 8, v17
	v_dual_mov_b32 v18, v14 :: v_dual_mov_b32 v17, v13
	s_delay_alu instid0(VALU_DEP_2)
	s_and_saveexec_b32 s24, s8
; %bb.2158:                             ;   in Loop: Header=BB356_2089 Depth=1
	v_and_b32_e32 v2, 7, v13
	s_delay_alu instid0(VALU_DEP_1) | instskip(NEXT) | instid1(VALU_DEP_1)
	v_clz_i32_u32_e32 v2, v2
	v_min_u32_e32 v2, 32, v2
	s_delay_alu instid0(VALU_DEP_1) | instskip(SKIP_1) | instid1(VALU_DEP_2)
	v_subrev_nc_u32_e32 v5, 28, v2
	v_sub_nc_u32_e32 v2, 29, v2
	v_lshlrev_b64 v[17:18], v5, v[13:14]
; %bb.2159:                             ;   in Loop: Header=BB356_2089 Depth=1
	s_or_b32 exec_lo, exec_lo, s24
	v_lshlrev_b32_e32 v5, 8, v13
	s_delay_alu instid0(VALU_DEP_3) | instskip(NEXT) | instid1(VALU_DEP_3)
	v_lshl_add_u32 v2, v2, 10, 0x2000
	v_lshlrev_b32_e32 v17, 7, v17
	s_delay_alu instid0(VALU_DEP_2) | instskip(NEXT) | instid1(VALU_DEP_1)
	v_and_or_b32 v2, 0x8000, v5, v2
	v_and_or_b32 v2, 0x380, v17, v2
	s_delay_alu instid0(VALU_DEP_1)
	v_cvt_f32_f16_e32 v5, v2
.LBB356_2160:                           ;   in Loop: Header=BB356_2089 Depth=1
	s_or_b32 exec_lo, exec_lo, s23
.LBB356_2161:                           ;   in Loop: Header=BB356_2089 Depth=1
	s_delay_alu instid0(SALU_CYCLE_1)
	s_or_b32 exec_lo, exec_lo, s22
.LBB356_2162:                           ;   in Loop: Header=BB356_2089 Depth=1
	s_delay_alu instid0(SALU_CYCLE_1) | instskip(SKIP_2) | instid1(VALU_DEP_1)
	s_or_b32 exec_lo, exec_lo, s21
	v_lshrrev_b16 v2, 8, v13
	s_mov_b32 s21, exec_lo
	v_cmpx_ne_u16_e32 0, v2
	s_cbranch_execz .LBB356_2170
; %bb.2163:                             ;   in Loop: Header=BB356_2089 Depth=1
	v_bfrev_b32_e32 v22, 1
	s_mov_b32 s22, exec_lo
	v_cmpx_ne_u16_e32 0x80, v2
	s_cbranch_execz .LBB356_2169
; %bb.2164:                             ;   in Loop: Header=BB356_2089 Depth=1
	v_and_b32_e32 v37, 0xffff, v2
	v_mov_b32_e32 v22, 0x7fc02000
	s_mov_b32 s23, exec_lo
	s_delay_alu instid0(VALU_DEP_2) | instskip(NEXT) | instid1(VALU_DEP_1)
	v_and_b32_e32 v17, 0x7f, v37
	v_cmpx_ne_u32_e32 0x7f, v17
	s_cbranch_execz .LBB356_2168
; %bb.2165:                             ;   in Loop: Header=BB356_2089 Depth=1
	v_and_b32_e32 v2, 7, v37
	v_lshrrev_b32_e32 v22, 3, v17
	v_cmp_gt_u32_e64 s8, 8, v17
	s_delay_alu instid0(VALU_DEP_3) | instskip(NEXT) | instid1(VALU_DEP_2)
	v_dual_mov_b32 v18, v3 :: v_dual_mov_b32 v17, v2
	s_and_saveexec_b32 s24, s8
; %bb.2166:                             ;   in Loop: Header=BB356_2089 Depth=1
	v_clz_i32_u32_e32 v17, v2
	s_delay_alu instid0(VALU_DEP_1) | instskip(NEXT) | instid1(VALU_DEP_1)
	v_min_u32_e32 v22, 32, v17
	v_subrev_nc_u32_e32 v17, 28, v22
	v_sub_nc_u32_e32 v22, 29, v22
	s_delay_alu instid0(VALU_DEP_2) | instskip(NEXT) | instid1(VALU_DEP_1)
	v_lshlrev_b64 v[17:18], v17, v[2:3]
	v_and_b32_e32 v17, 7, v17
; %bb.2167:                             ;   in Loop: Header=BB356_2089 Depth=1
	s_or_b32 exec_lo, exec_lo, s24
	v_lshlrev_b32_e32 v2, 8, v37
	v_lshl_add_u32 v18, v22, 10, 0x2000
	s_delay_alu instid0(VALU_DEP_1) | instskip(NEXT) | instid1(VALU_DEP_1)
	v_and_or_b32 v2, 0x8000, v2, v18
	v_lshl_or_b32 v2, v17, 7, v2
	s_delay_alu instid0(VALU_DEP_1)
	v_cvt_f32_f16_e32 v22, v2
.LBB356_2168:                           ;   in Loop: Header=BB356_2089 Depth=1
	s_or_b32 exec_lo, exec_lo, s23
.LBB356_2169:                           ;   in Loop: Header=BB356_2089 Depth=1
	s_delay_alu instid0(SALU_CYCLE_1)
	s_or_b32 exec_lo, exec_lo, s22
.LBB356_2170:                           ;   in Loop: Header=BB356_2089 Depth=1
	s_delay_alu instid0(SALU_CYCLE_1) | instskip(SKIP_3) | instid1(VALU_DEP_2)
	s_or_b32 exec_lo, exec_lo, s21
	v_lshrrev_b32_e32 v39, 16, v13
	v_mov_b32_e32 v38, 0
	s_mov_b32 s21, exec_lo
	v_dual_mov_b32 v37, 0 :: v_dual_and_b32 v2, 0xff, v39
	s_delay_alu instid0(VALU_DEP_1)
	v_cmpx_ne_u16_e32 0, v2
	s_cbranch_execz .LBB356_2178
; %bb.2171:                             ;   in Loop: Header=BB356_2089 Depth=1
	v_bfrev_b32_e32 v37, 1
	s_mov_b32 s22, exec_lo
	v_cmpx_ne_u16_e32 0x80, v2
	s_cbranch_execz .LBB356_2177
; %bb.2172:                             ;   in Loop: Header=BB356_2089 Depth=1
	v_bfe_u32 v17, v13, 16, 7
	v_mov_b32_e32 v37, 0x7fc02000
	s_mov_b32 s23, exec_lo
	s_delay_alu instid0(VALU_DEP_2)
	v_cmpx_ne_u32_e32 0x7f, v17
	s_cbranch_execz .LBB356_2176
; %bb.2173:                             ;   in Loop: Header=BB356_2089 Depth=1
	v_and_b32_e32 v2, 7, v39
	v_lshrrev_b32_e32 v37, 3, v17
	v_cmp_gt_u32_e64 s8, 8, v17
	s_delay_alu instid0(VALU_DEP_3) | instskip(NEXT) | instid1(VALU_DEP_2)
	v_dual_mov_b32 v18, v3 :: v_dual_mov_b32 v17, v2
	s_and_saveexec_b32 s24, s8
; %bb.2174:                             ;   in Loop: Header=BB356_2089 Depth=1
	v_clz_i32_u32_e32 v17, v2
	s_delay_alu instid0(VALU_DEP_1) | instskip(NEXT) | instid1(VALU_DEP_1)
	v_min_u32_e32 v37, 32, v17
	v_subrev_nc_u32_e32 v17, 28, v37
	v_sub_nc_u32_e32 v37, 29, v37
	s_delay_alu instid0(VALU_DEP_2) | instskip(NEXT) | instid1(VALU_DEP_1)
	v_lshlrev_b64 v[17:18], v17, v[2:3]
	v_and_b32_e32 v17, 7, v17
; %bb.2175:                             ;   in Loop: Header=BB356_2089 Depth=1
	s_or_b32 exec_lo, exec_lo, s24
	v_lshlrev_b32_e32 v2, 8, v39
	v_lshl_add_u32 v18, v37, 10, 0x2000
	s_delay_alu instid0(VALU_DEP_1) | instskip(NEXT) | instid1(VALU_DEP_1)
	v_and_or_b32 v2, 0x8000, v2, v18
	v_lshl_or_b32 v2, v17, 7, v2
	s_delay_alu instid0(VALU_DEP_1)
	v_cvt_f32_f16_e32 v37, v2
.LBB356_2176:                           ;   in Loop: Header=BB356_2089 Depth=1
	s_or_b32 exec_lo, exec_lo, s23
.LBB356_2177:                           ;   in Loop: Header=BB356_2089 Depth=1
	s_delay_alu instid0(SALU_CYCLE_1)
	s_or_b32 exec_lo, exec_lo, s22
.LBB356_2178:                           ;   in Loop: Header=BB356_2089 Depth=1
	s_delay_alu instid0(SALU_CYCLE_1) | instskip(NEXT) | instid1(SALU_CYCLE_1)
	s_or_b32 exec_lo, exec_lo, s21
	s_mov_b32 s21, exec_lo
	v_cmpx_lt_u32_e32 0xffffff, v13
	s_cbranch_execz .LBB356_2186
; %bb.2179:                             ;   in Loop: Header=BB356_2089 Depth=1
	v_lshrrev_b32_e32 v39, 24, v13
	v_bfrev_b32_e32 v38, 1
	s_mov_b32 s22, exec_lo
	s_delay_alu instid0(VALU_DEP_2)
	v_cmpx_ne_u32_e32 0x80, v39
	s_cbranch_execz .LBB356_2185
; %bb.2180:                             ;   in Loop: Header=BB356_2089 Depth=1
	v_and_b32_e32 v17, 0x7f, v39
	v_mov_b32_e32 v38, 0x7fc02000
	s_mov_b32 s23, exec_lo
	s_delay_alu instid0(VALU_DEP_2)
	v_cmpx_ne_u32_e32 0x7f, v17
	s_cbranch_execz .LBB356_2184
; %bb.2181:                             ;   in Loop: Header=BB356_2089 Depth=1
	v_and_b32_e32 v2, 7, v39
	v_lshrrev_b32_e32 v38, 3, v17
	v_cmp_gt_u32_e64 s8, 8, v17
	s_delay_alu instid0(VALU_DEP_3) | instskip(NEXT) | instid1(VALU_DEP_2)
	v_dual_mov_b32 v18, v3 :: v_dual_mov_b32 v17, v2
	s_and_saveexec_b32 s24, s8
; %bb.2182:                             ;   in Loop: Header=BB356_2089 Depth=1
	v_clz_i32_u32_e32 v17, v2
	s_delay_alu instid0(VALU_DEP_1) | instskip(NEXT) | instid1(VALU_DEP_1)
	v_min_u32_e32 v38, 32, v17
	v_subrev_nc_u32_e32 v17, 28, v38
	v_sub_nc_u32_e32 v38, 29, v38
	s_delay_alu instid0(VALU_DEP_2) | instskip(NEXT) | instid1(VALU_DEP_1)
	v_lshlrev_b64 v[17:18], v17, v[2:3]
	v_and_b32_e32 v17, 7, v17
; %bb.2183:                             ;   in Loop: Header=BB356_2089 Depth=1
	s_or_b32 exec_lo, exec_lo, s24
	v_lshlrev_b32_e32 v2, 8, v39
	v_lshl_add_u32 v18, v38, 10, 0x2000
	s_delay_alu instid0(VALU_DEP_1) | instskip(NEXT) | instid1(VALU_DEP_1)
	v_and_or_b32 v2, 0x8000, v2, v18
	v_lshl_or_b32 v2, v17, 7, v2
	s_delay_alu instid0(VALU_DEP_1)
	v_cvt_f32_f16_e32 v38, v2
.LBB356_2184:                           ;   in Loop: Header=BB356_2089 Depth=1
	s_or_b32 exec_lo, exec_lo, s23
.LBB356_2185:                           ;   in Loop: Header=BB356_2089 Depth=1
	s_delay_alu instid0(SALU_CYCLE_1)
	s_or_b32 exec_lo, exec_lo, s22
.LBB356_2186:                           ;   in Loop: Header=BB356_2089 Depth=1
	s_delay_alu instid0(SALU_CYCLE_1) | instskip(SKIP_3) | instid1(VALU_DEP_2)
	s_or_b32 exec_lo, exec_lo, s21
	v_dual_mov_b32 v2, v14 :: v_dual_and_b32 v17, 0xff, v14
	v_dual_mov_b32 v48, 0 :: v_dual_mov_b32 v39, 0
	s_mov_b32 s21, exec_lo
	v_cmpx_ne_u16_e32 0, v17
	s_cbranch_execz .LBB356_2194
; %bb.2187:                             ;   in Loop: Header=BB356_2089 Depth=1
	v_bfrev_b32_e32 v39, 1
	s_mov_b32 s22, exec_lo
	v_cmpx_ne_u16_e32 0x80, v17
	s_cbranch_execz .LBB356_2193
; %bb.2188:                             ;   in Loop: Header=BB356_2089 Depth=1
	v_and_b32_e32 v17, 0x7f, v14
	v_mov_b32_e32 v39, 0x7fc02000
	s_mov_b32 s23, exec_lo
	s_delay_alu instid0(VALU_DEP_2)
	v_cmpx_ne_u32_e32 0x7f, v17
	s_cbranch_execz .LBB356_2192
; %bb.2189:                             ;   in Loop: Header=BB356_2089 Depth=1
	v_lshrrev_b32_e32 v39, 3, v17
	v_cmp_gt_u32_e64 s8, 8, v17
	v_dual_mov_b32 v18, v3 :: v_dual_mov_b32 v17, v2
	s_delay_alu instid0(VALU_DEP_2)
	s_and_saveexec_b32 s24, s8
; %bb.2190:                             ;   in Loop: Header=BB356_2089 Depth=1
	v_and_b32_e32 v17, 7, v14
	s_delay_alu instid0(VALU_DEP_1) | instskip(NEXT) | instid1(VALU_DEP_1)
	v_clz_i32_u32_e32 v17, v17
	v_min_u32_e32 v39, 32, v17
	s_delay_alu instid0(VALU_DEP_1) | instskip(SKIP_1) | instid1(VALU_DEP_2)
	v_subrev_nc_u32_e32 v17, 28, v39
	v_sub_nc_u32_e32 v39, 29, v39
	v_lshlrev_b64 v[17:18], v17, v[2:3]
; %bb.2191:                             ;   in Loop: Header=BB356_2089 Depth=1
	s_or_b32 exec_lo, exec_lo, s24
	v_lshlrev_b32_e32 v18, 8, v14
	s_delay_alu instid0(VALU_DEP_3) | instskip(NEXT) | instid1(VALU_DEP_3)
	v_lshl_add_u32 v39, v39, 10, 0x2000
	v_lshlrev_b32_e32 v17, 7, v17
	s_delay_alu instid0(VALU_DEP_2) | instskip(NEXT) | instid1(VALU_DEP_1)
	v_and_or_b32 v18, 0x8000, v18, v39
	v_and_or_b32 v17, 0x380, v17, v18
	s_delay_alu instid0(VALU_DEP_1)
	v_cvt_f32_f16_e32 v39, v17
.LBB356_2192:                           ;   in Loop: Header=BB356_2089 Depth=1
	s_or_b32 exec_lo, exec_lo, s23
.LBB356_2193:                           ;   in Loop: Header=BB356_2089 Depth=1
	s_delay_alu instid0(SALU_CYCLE_1)
	s_or_b32 exec_lo, exec_lo, s22
.LBB356_2194:                           ;   in Loop: Header=BB356_2089 Depth=1
	s_delay_alu instid0(SALU_CYCLE_1) | instskip(SKIP_2) | instid1(VALU_DEP_1)
	s_or_b32 exec_lo, exec_lo, s21
	v_lshrrev_b16 v2, 8, v2
	s_mov_b32 s21, exec_lo
	v_cmpx_ne_u16_e32 0, v2
	s_cbranch_execz .LBB356_2202
; %bb.2195:                             ;   in Loop: Header=BB356_2089 Depth=1
	v_bfrev_b32_e32 v48, 1
	s_mov_b32 s22, exec_lo
	v_cmpx_ne_u16_e32 0x80, v2
	s_cbranch_execz .LBB356_2201
; %bb.2196:                             ;   in Loop: Header=BB356_2089 Depth=1
	v_and_b32_e32 v49, 0xffff, v2
	v_mov_b32_e32 v48, 0x7fc02000
	s_mov_b32 s23, exec_lo
	s_delay_alu instid0(VALU_DEP_2) | instskip(NEXT) | instid1(VALU_DEP_1)
	v_and_b32_e32 v17, 0x7f, v49
	v_cmpx_ne_u32_e32 0x7f, v17
	s_cbranch_execz .LBB356_2200
; %bb.2197:                             ;   in Loop: Header=BB356_2089 Depth=1
	v_and_b32_e32 v2, 7, v49
	v_lshrrev_b32_e32 v48, 3, v17
	v_cmp_gt_u32_e64 s8, 8, v17
	s_delay_alu instid0(VALU_DEP_3) | instskip(NEXT) | instid1(VALU_DEP_2)
	v_dual_mov_b32 v18, v3 :: v_dual_mov_b32 v17, v2
	s_and_saveexec_b32 s24, s8
; %bb.2198:                             ;   in Loop: Header=BB356_2089 Depth=1
	v_clz_i32_u32_e32 v17, v2
	s_delay_alu instid0(VALU_DEP_1) | instskip(NEXT) | instid1(VALU_DEP_1)
	v_min_u32_e32 v48, 32, v17
	v_subrev_nc_u32_e32 v17, 28, v48
	v_sub_nc_u32_e32 v48, 29, v48
	s_delay_alu instid0(VALU_DEP_2) | instskip(NEXT) | instid1(VALU_DEP_1)
	v_lshlrev_b64 v[17:18], v17, v[2:3]
	v_and_b32_e32 v17, 7, v17
; %bb.2199:                             ;   in Loop: Header=BB356_2089 Depth=1
	s_or_b32 exec_lo, exec_lo, s24
	v_lshlrev_b32_e32 v2, 8, v49
	v_lshl_add_u32 v18, v48, 10, 0x2000
	s_delay_alu instid0(VALU_DEP_1) | instskip(NEXT) | instid1(VALU_DEP_1)
	v_and_or_b32 v2, 0x8000, v2, v18
	v_lshl_or_b32 v2, v17, 7, v2
	s_delay_alu instid0(VALU_DEP_1)
	v_cvt_f32_f16_e32 v48, v2
.LBB356_2200:                           ;   in Loop: Header=BB356_2089 Depth=1
	s_or_b32 exec_lo, exec_lo, s23
.LBB356_2201:                           ;   in Loop: Header=BB356_2089 Depth=1
	s_delay_alu instid0(SALU_CYCLE_1)
	s_or_b32 exec_lo, exec_lo, s22
.LBB356_2202:                           ;   in Loop: Header=BB356_2089 Depth=1
	s_delay_alu instid0(SALU_CYCLE_1) | instskip(SKIP_3) | instid1(VALU_DEP_2)
	s_or_b32 exec_lo, exec_lo, s21
	v_lshrrev_b32_e32 v50, 16, v14
	v_mov_b32_e32 v17, 0
	s_mov_b32 s21, exec_lo
	v_dual_mov_b32 v49, 0 :: v_dual_and_b32 v2, 0xff, v50
	s_delay_alu instid0(VALU_DEP_1)
	v_cmpx_ne_u16_e32 0, v2
	s_cbranch_execz .LBB356_2210
; %bb.2203:                             ;   in Loop: Header=BB356_2089 Depth=1
	v_bfrev_b32_e32 v17, 1
	s_mov_b32 s22, exec_lo
	v_cmpx_ne_u16_e32 0x80, v2
	s_cbranch_execz .LBB356_2209
; %bb.2204:                             ;   in Loop: Header=BB356_2089 Depth=1
	v_bfe_u32 v18, v14, 16, 7
	v_mov_b32_e32 v17, 0x7fc02000
	s_mov_b32 s23, exec_lo
	s_delay_alu instid0(VALU_DEP_2)
	v_cmpx_ne_u32_e32 0x7f, v18
	s_cbranch_execz .LBB356_2208
; %bb.2205:                             ;   in Loop: Header=BB356_2089 Depth=1
	v_and_b32_e32 v2, 7, v50
	v_lshrrev_b32_e32 v51, 3, v18
	v_cmp_gt_u32_e64 s8, 8, v18
	s_delay_alu instid0(VALU_DEP_3) | instskip(NEXT) | instid1(VALU_DEP_2)
	v_dual_mov_b32 v18, v3 :: v_dual_mov_b32 v17, v2
	s_and_saveexec_b32 s24, s8
; %bb.2206:                             ;   in Loop: Header=BB356_2089 Depth=1
	v_clz_i32_u32_e32 v17, v2
	s_delay_alu instid0(VALU_DEP_1) | instskip(NEXT) | instid1(VALU_DEP_1)
	v_min_u32_e32 v51, 32, v17
	v_subrev_nc_u32_e32 v17, 28, v51
	v_sub_nc_u32_e32 v51, 29, v51
	s_delay_alu instid0(VALU_DEP_2) | instskip(NEXT) | instid1(VALU_DEP_1)
	v_lshlrev_b64 v[17:18], v17, v[2:3]
	v_and_b32_e32 v17, 7, v17
; %bb.2207:                             ;   in Loop: Header=BB356_2089 Depth=1
	s_or_b32 exec_lo, exec_lo, s24
	v_lshlrev_b32_e32 v2, 8, v50
	v_lshl_add_u32 v18, v51, 10, 0x2000
	s_delay_alu instid0(VALU_DEP_1) | instskip(NEXT) | instid1(VALU_DEP_1)
	v_and_or_b32 v2, 0x8000, v2, v18
	v_lshl_or_b32 v2, v17, 7, v2
	s_delay_alu instid0(VALU_DEP_1)
	v_cvt_f32_f16_e32 v17, v2
.LBB356_2208:                           ;   in Loop: Header=BB356_2089 Depth=1
	s_or_b32 exec_lo, exec_lo, s23
.LBB356_2209:                           ;   in Loop: Header=BB356_2089 Depth=1
	s_delay_alu instid0(SALU_CYCLE_1)
	s_or_b32 exec_lo, exec_lo, s22
.LBB356_2210:                           ;   in Loop: Header=BB356_2089 Depth=1
	s_delay_alu instid0(SALU_CYCLE_1) | instskip(NEXT) | instid1(SALU_CYCLE_1)
	s_or_b32 exec_lo, exec_lo, s21
	s_mov_b32 s21, exec_lo
	v_cmpx_lt_u64_e64 s[18:19], v[13:14]
	s_cbranch_execz .LBB356_2218
; %bb.2211:                             ;   in Loop: Header=BB356_2089 Depth=1
	v_lshrrev_b32_e32 v18, 24, v14
	v_bfrev_b32_e32 v49, 1
	s_mov_b32 s22, exec_lo
	s_delay_alu instid0(VALU_DEP_2)
	v_cmpx_ne_u32_e32 0x80, v18
	s_cbranch_execz .LBB356_2217
; %bb.2212:                             ;   in Loop: Header=BB356_2089 Depth=1
	v_and_b32_e32 v13, 0x7f, v18
	v_mov_b32_e32 v49, 0x7fc02000
	s_mov_b32 s23, exec_lo
	s_delay_alu instid0(VALU_DEP_2)
	v_cmpx_ne_u32_e32 0x7f, v13
	s_cbranch_execz .LBB356_2216
; %bb.2213:                             ;   in Loop: Header=BB356_2089 Depth=1
	v_and_b32_e32 v2, 7, v18
	v_lshrrev_b32_e32 v49, 3, v13
	v_cmp_gt_u32_e64 s8, 8, v13
	s_delay_alu instid0(VALU_DEP_3) | instskip(NEXT) | instid1(VALU_DEP_2)
	v_dual_mov_b32 v14, v3 :: v_dual_mov_b32 v13, v2
	s_and_saveexec_b32 s24, s8
; %bb.2214:                             ;   in Loop: Header=BB356_2089 Depth=1
	v_clz_i32_u32_e32 v13, v2
	s_delay_alu instid0(VALU_DEP_1) | instskip(NEXT) | instid1(VALU_DEP_1)
	v_min_u32_e32 v49, 32, v13
	v_subrev_nc_u32_e32 v13, 28, v49
	v_sub_nc_u32_e32 v49, 29, v49
	s_delay_alu instid0(VALU_DEP_2) | instskip(NEXT) | instid1(VALU_DEP_1)
	v_lshlrev_b64 v[13:14], v13, v[2:3]
	v_and_b32_e32 v13, 7, v13
; %bb.2215:                             ;   in Loop: Header=BB356_2089 Depth=1
	s_or_b32 exec_lo, exec_lo, s24
	v_lshlrev_b32_e32 v2, 8, v18
	v_lshl_add_u32 v14, v49, 10, 0x2000
	s_delay_alu instid0(VALU_DEP_1) | instskip(NEXT) | instid1(VALU_DEP_1)
	v_and_or_b32 v2, 0x8000, v2, v14
	v_lshl_or_b32 v2, v13, 7, v2
	s_delay_alu instid0(VALU_DEP_1)
	v_cvt_f32_f16_e32 v49, v2
.LBB356_2216:                           ;   in Loop: Header=BB356_2089 Depth=1
	s_or_b32 exec_lo, exec_lo, s23
.LBB356_2217:                           ;   in Loop: Header=BB356_2089 Depth=1
	s_delay_alu instid0(SALU_CYCLE_1)
	s_or_b32 exec_lo, exec_lo, s22
.LBB356_2218:                           ;   in Loop: Header=BB356_2089 Depth=1
	s_delay_alu instid0(SALU_CYCLE_1)
	s_or_b32 exec_lo, exec_lo, s21
	s_waitcnt vmcnt(0) lgkmcnt(0)
	v_fma_mixlo_f16 v2, v4, v38, 0
	v_fma_mixlo_f16 v13, v4, v37, 0
	;; [unrolled: 1-line block ×5, first 2 shown]
	v_lshlrev_b32_e32 v22, 16, v2
	v_fma_mixlo_f16 v37, v4, v39, 0
	v_and_b32_e32 v38, 0xffff, v13
	v_lshlrev_b32_e32 v39, 16, v14
	v_and_b32_e32 v48, 0xffff, v5
	v_fma_mixlo_f16 v49, v4, v49, 0
	v_fma_mixlo_f16 v4, v4, v17, 0
	v_cndmask_b32_e32 v5, 0, v5, vcc_lo
	v_cndmask_b32_e64 v14, 0, v14, s0
	v_cndmask_b32_e64 v13, 0, v13, s2
	;; [unrolled: 1-line block ×3, first 2 shown]
	v_lshlrev_b32_e32 v50, 16, v18
	v_and_b32_e32 v51, 0xffff, v37
	v_or_b32_e32 v17, v22, v38
	v_or_b32_e32 v22, v39, v48
	v_lshlrev_b32_e32 v39, 16, v49
	v_and_b32_e32 v48, 0xffff, v4
	v_cndmask_b32_e64 v37, 0, v37, s6
	v_cndmask_b32_e64 v18, 0, v18, s7
	;; [unrolled: 1-line block ×4, first 2 shown]
	v_perm_b32 v5, v14, v5, 0x5040100
	v_perm_b32 v2, v2, v13, 0x5040100
	v_or_b32_e32 v38, v50, v51
	v_or_b32_e32 v39, v39, v48
	v_perm_b32 v13, v18, v37, 0x5040100
	v_perm_b32 v4, v49, v4, 0x5040100
	v_cndmask_b32_e64 v5, v22, v5, s1
	v_mov_b32_e32 v22, 0
	v_cndmask_b32_e64 v2, v17, v2, s1
	v_cndmask_b32_e64 v13, v38, v13, s1
	;; [unrolled: 1-line block ×3, first 2 shown]
	;;#ASMSTART
	v_pk_mul_f16 v5, v146, v5;

	;;#ASMEND
	;;#ASMSTART
	v_pk_mul_f16 v2, v145, v2;

	;;#ASMEND
	;; [unrolled: 4-line block ×4, first 2 shown]
	;;#ASMSTART
	v_pk_add_f16 v2, v5, v2;

	;;#ASMEND
	;;#ASMSTART
	v_pk_add_f16 v2, v2, v13;

	;;#ASMEND
	;; [unrolled: 4-line block ×3, first 2 shown]
	v_and_b32_e32 v4, 0xffff, v2
	v_lshrrev_b32_e32 v2, 16, v2
	;;#ASMSTART
	v_cvt_f32_f16 v150, v4;
	;;#ASMEND
	;;#ASMSTART
	v_cvt_f32_f16 v151, v2;
	;;#ASMEND
	flat_load_b64 v[13:14], v[11:12] offset:512
	flat_load_b32 v4, v[26:27]
	v_mov_b32_e32 v5, 0
	s_mov_b32 s21, exec_lo
	s_waitcnt vmcnt(1) lgkmcnt(1)
	v_and_b32_e32 v2, 0xff, v13
	s_delay_alu instid0(VALU_DEP_1)
	v_cmpx_ne_u16_e32 0, v2
	s_cbranch_execz .LBB356_2226
; %bb.2219:                             ;   in Loop: Header=BB356_2089 Depth=1
	v_bfrev_b32_e32 v5, 1
	s_mov_b32 s22, exec_lo
	v_cmpx_ne_u16_e32 0x80, v2
	s_cbranch_execz .LBB356_2225
; %bb.2220:                             ;   in Loop: Header=BB356_2089 Depth=1
	v_and_b32_e32 v17, 0x7f, v13
	v_mov_b32_e32 v5, 0x7fc02000
	s_mov_b32 s23, exec_lo
	s_delay_alu instid0(VALU_DEP_2)
	v_cmpx_ne_u32_e32 0x7f, v17
	s_cbranch_execz .LBB356_2224
; %bb.2221:                             ;   in Loop: Header=BB356_2089 Depth=1
	v_lshrrev_b32_e32 v2, 3, v17
	v_cmp_gt_u32_e64 s8, 8, v17
	v_dual_mov_b32 v18, v14 :: v_dual_mov_b32 v17, v13
	s_delay_alu instid0(VALU_DEP_2)
	s_and_saveexec_b32 s24, s8
; %bb.2222:                             ;   in Loop: Header=BB356_2089 Depth=1
	v_and_b32_e32 v2, 7, v13
	s_delay_alu instid0(VALU_DEP_1) | instskip(NEXT) | instid1(VALU_DEP_1)
	v_clz_i32_u32_e32 v2, v2
	v_min_u32_e32 v2, 32, v2
	s_delay_alu instid0(VALU_DEP_1) | instskip(SKIP_1) | instid1(VALU_DEP_2)
	v_subrev_nc_u32_e32 v5, 28, v2
	v_sub_nc_u32_e32 v2, 29, v2
	v_lshlrev_b64 v[17:18], v5, v[13:14]
; %bb.2223:                             ;   in Loop: Header=BB356_2089 Depth=1
	s_or_b32 exec_lo, exec_lo, s24
	v_lshlrev_b32_e32 v5, 8, v13
	s_delay_alu instid0(VALU_DEP_3) | instskip(NEXT) | instid1(VALU_DEP_3)
	v_lshl_add_u32 v2, v2, 10, 0x2000
	v_lshlrev_b32_e32 v17, 7, v17
	s_delay_alu instid0(VALU_DEP_2) | instskip(NEXT) | instid1(VALU_DEP_1)
	v_and_or_b32 v2, 0x8000, v5, v2
	v_and_or_b32 v2, 0x380, v17, v2
	s_delay_alu instid0(VALU_DEP_1)
	v_cvt_f32_f16_e32 v5, v2
.LBB356_2224:                           ;   in Loop: Header=BB356_2089 Depth=1
	s_or_b32 exec_lo, exec_lo, s23
.LBB356_2225:                           ;   in Loop: Header=BB356_2089 Depth=1
	s_delay_alu instid0(SALU_CYCLE_1)
	s_or_b32 exec_lo, exec_lo, s22
.LBB356_2226:                           ;   in Loop: Header=BB356_2089 Depth=1
	s_delay_alu instid0(SALU_CYCLE_1) | instskip(SKIP_2) | instid1(VALU_DEP_1)
	s_or_b32 exec_lo, exec_lo, s21
	v_lshrrev_b16 v2, 8, v13
	s_mov_b32 s21, exec_lo
	v_cmpx_ne_u16_e32 0, v2
	s_cbranch_execz .LBB356_2234
; %bb.2227:                             ;   in Loop: Header=BB356_2089 Depth=1
	v_bfrev_b32_e32 v22, 1
	s_mov_b32 s22, exec_lo
	v_cmpx_ne_u16_e32 0x80, v2
	s_cbranch_execz .LBB356_2233
; %bb.2228:                             ;   in Loop: Header=BB356_2089 Depth=1
	v_and_b32_e32 v37, 0xffff, v2
	v_mov_b32_e32 v22, 0x7fc02000
	s_mov_b32 s23, exec_lo
	s_delay_alu instid0(VALU_DEP_2) | instskip(NEXT) | instid1(VALU_DEP_1)
	v_and_b32_e32 v17, 0x7f, v37
	v_cmpx_ne_u32_e32 0x7f, v17
	s_cbranch_execz .LBB356_2232
; %bb.2229:                             ;   in Loop: Header=BB356_2089 Depth=1
	v_and_b32_e32 v2, 7, v37
	v_lshrrev_b32_e32 v22, 3, v17
	v_cmp_gt_u32_e64 s8, 8, v17
	s_delay_alu instid0(VALU_DEP_3) | instskip(NEXT) | instid1(VALU_DEP_2)
	v_dual_mov_b32 v18, v3 :: v_dual_mov_b32 v17, v2
	s_and_saveexec_b32 s24, s8
; %bb.2230:                             ;   in Loop: Header=BB356_2089 Depth=1
	v_clz_i32_u32_e32 v17, v2
	s_delay_alu instid0(VALU_DEP_1) | instskip(NEXT) | instid1(VALU_DEP_1)
	v_min_u32_e32 v22, 32, v17
	v_subrev_nc_u32_e32 v17, 28, v22
	v_sub_nc_u32_e32 v22, 29, v22
	s_delay_alu instid0(VALU_DEP_2) | instskip(NEXT) | instid1(VALU_DEP_1)
	v_lshlrev_b64 v[17:18], v17, v[2:3]
	v_and_b32_e32 v17, 7, v17
; %bb.2231:                             ;   in Loop: Header=BB356_2089 Depth=1
	s_or_b32 exec_lo, exec_lo, s24
	v_lshlrev_b32_e32 v2, 8, v37
	v_lshl_add_u32 v18, v22, 10, 0x2000
	s_delay_alu instid0(VALU_DEP_1) | instskip(NEXT) | instid1(VALU_DEP_1)
	v_and_or_b32 v2, 0x8000, v2, v18
	v_lshl_or_b32 v2, v17, 7, v2
	s_delay_alu instid0(VALU_DEP_1)
	v_cvt_f32_f16_e32 v22, v2
.LBB356_2232:                           ;   in Loop: Header=BB356_2089 Depth=1
	s_or_b32 exec_lo, exec_lo, s23
.LBB356_2233:                           ;   in Loop: Header=BB356_2089 Depth=1
	s_delay_alu instid0(SALU_CYCLE_1)
	s_or_b32 exec_lo, exec_lo, s22
.LBB356_2234:                           ;   in Loop: Header=BB356_2089 Depth=1
	s_delay_alu instid0(SALU_CYCLE_1) | instskip(SKIP_3) | instid1(VALU_DEP_2)
	s_or_b32 exec_lo, exec_lo, s21
	v_lshrrev_b32_e32 v39, 16, v13
	v_mov_b32_e32 v38, 0
	s_mov_b32 s21, exec_lo
	v_dual_mov_b32 v37, 0 :: v_dual_and_b32 v2, 0xff, v39
	s_delay_alu instid0(VALU_DEP_1)
	v_cmpx_ne_u16_e32 0, v2
	s_cbranch_execz .LBB356_2242
; %bb.2235:                             ;   in Loop: Header=BB356_2089 Depth=1
	v_bfrev_b32_e32 v37, 1
	s_mov_b32 s22, exec_lo
	v_cmpx_ne_u16_e32 0x80, v2
	s_cbranch_execz .LBB356_2241
; %bb.2236:                             ;   in Loop: Header=BB356_2089 Depth=1
	v_bfe_u32 v17, v13, 16, 7
	v_mov_b32_e32 v37, 0x7fc02000
	s_mov_b32 s23, exec_lo
	s_delay_alu instid0(VALU_DEP_2)
	v_cmpx_ne_u32_e32 0x7f, v17
	s_cbranch_execz .LBB356_2240
; %bb.2237:                             ;   in Loop: Header=BB356_2089 Depth=1
	v_and_b32_e32 v2, 7, v39
	v_lshrrev_b32_e32 v37, 3, v17
	v_cmp_gt_u32_e64 s8, 8, v17
	s_delay_alu instid0(VALU_DEP_3) | instskip(NEXT) | instid1(VALU_DEP_2)
	v_dual_mov_b32 v18, v3 :: v_dual_mov_b32 v17, v2
	s_and_saveexec_b32 s24, s8
; %bb.2238:                             ;   in Loop: Header=BB356_2089 Depth=1
	v_clz_i32_u32_e32 v17, v2
	s_delay_alu instid0(VALU_DEP_1) | instskip(NEXT) | instid1(VALU_DEP_1)
	v_min_u32_e32 v37, 32, v17
	v_subrev_nc_u32_e32 v17, 28, v37
	v_sub_nc_u32_e32 v37, 29, v37
	s_delay_alu instid0(VALU_DEP_2) | instskip(NEXT) | instid1(VALU_DEP_1)
	v_lshlrev_b64 v[17:18], v17, v[2:3]
	v_and_b32_e32 v17, 7, v17
; %bb.2239:                             ;   in Loop: Header=BB356_2089 Depth=1
	s_or_b32 exec_lo, exec_lo, s24
	v_lshlrev_b32_e32 v2, 8, v39
	v_lshl_add_u32 v18, v37, 10, 0x2000
	s_delay_alu instid0(VALU_DEP_1) | instskip(NEXT) | instid1(VALU_DEP_1)
	v_and_or_b32 v2, 0x8000, v2, v18
	v_lshl_or_b32 v2, v17, 7, v2
	s_delay_alu instid0(VALU_DEP_1)
	v_cvt_f32_f16_e32 v37, v2
.LBB356_2240:                           ;   in Loop: Header=BB356_2089 Depth=1
	s_or_b32 exec_lo, exec_lo, s23
.LBB356_2241:                           ;   in Loop: Header=BB356_2089 Depth=1
	s_delay_alu instid0(SALU_CYCLE_1)
	s_or_b32 exec_lo, exec_lo, s22
.LBB356_2242:                           ;   in Loop: Header=BB356_2089 Depth=1
	s_delay_alu instid0(SALU_CYCLE_1) | instskip(NEXT) | instid1(SALU_CYCLE_1)
	s_or_b32 exec_lo, exec_lo, s21
	s_mov_b32 s21, exec_lo
	v_cmpx_lt_u32_e32 0xffffff, v13
	s_cbranch_execz .LBB356_2250
; %bb.2243:                             ;   in Loop: Header=BB356_2089 Depth=1
	v_lshrrev_b32_e32 v39, 24, v13
	v_bfrev_b32_e32 v38, 1
	s_mov_b32 s22, exec_lo
	s_delay_alu instid0(VALU_DEP_2)
	v_cmpx_ne_u32_e32 0x80, v39
	s_cbranch_execz .LBB356_2249
; %bb.2244:                             ;   in Loop: Header=BB356_2089 Depth=1
	v_and_b32_e32 v17, 0x7f, v39
	v_mov_b32_e32 v38, 0x7fc02000
	s_mov_b32 s23, exec_lo
	s_delay_alu instid0(VALU_DEP_2)
	v_cmpx_ne_u32_e32 0x7f, v17
	s_cbranch_execz .LBB356_2248
; %bb.2245:                             ;   in Loop: Header=BB356_2089 Depth=1
	v_and_b32_e32 v2, 7, v39
	v_lshrrev_b32_e32 v38, 3, v17
	v_cmp_gt_u32_e64 s8, 8, v17
	s_delay_alu instid0(VALU_DEP_3) | instskip(NEXT) | instid1(VALU_DEP_2)
	v_dual_mov_b32 v18, v3 :: v_dual_mov_b32 v17, v2
	s_and_saveexec_b32 s24, s8
; %bb.2246:                             ;   in Loop: Header=BB356_2089 Depth=1
	v_clz_i32_u32_e32 v17, v2
	s_delay_alu instid0(VALU_DEP_1) | instskip(NEXT) | instid1(VALU_DEP_1)
	v_min_u32_e32 v38, 32, v17
	v_subrev_nc_u32_e32 v17, 28, v38
	v_sub_nc_u32_e32 v38, 29, v38
	s_delay_alu instid0(VALU_DEP_2) | instskip(NEXT) | instid1(VALU_DEP_1)
	v_lshlrev_b64 v[17:18], v17, v[2:3]
	v_and_b32_e32 v17, 7, v17
; %bb.2247:                             ;   in Loop: Header=BB356_2089 Depth=1
	s_or_b32 exec_lo, exec_lo, s24
	v_lshlrev_b32_e32 v2, 8, v39
	v_lshl_add_u32 v18, v38, 10, 0x2000
	s_delay_alu instid0(VALU_DEP_1) | instskip(NEXT) | instid1(VALU_DEP_1)
	v_and_or_b32 v2, 0x8000, v2, v18
	v_lshl_or_b32 v2, v17, 7, v2
	s_delay_alu instid0(VALU_DEP_1)
	v_cvt_f32_f16_e32 v38, v2
.LBB356_2248:                           ;   in Loop: Header=BB356_2089 Depth=1
	s_or_b32 exec_lo, exec_lo, s23
.LBB356_2249:                           ;   in Loop: Header=BB356_2089 Depth=1
	s_delay_alu instid0(SALU_CYCLE_1)
	s_or_b32 exec_lo, exec_lo, s22
.LBB356_2250:                           ;   in Loop: Header=BB356_2089 Depth=1
	s_delay_alu instid0(SALU_CYCLE_1) | instskip(SKIP_3) | instid1(VALU_DEP_2)
	s_or_b32 exec_lo, exec_lo, s21
	v_dual_mov_b32 v2, v14 :: v_dual_and_b32 v17, 0xff, v14
	v_dual_mov_b32 v48, 0 :: v_dual_mov_b32 v39, 0
	s_mov_b32 s21, exec_lo
	v_cmpx_ne_u16_e32 0, v17
	s_cbranch_execz .LBB356_2258
; %bb.2251:                             ;   in Loop: Header=BB356_2089 Depth=1
	v_bfrev_b32_e32 v39, 1
	s_mov_b32 s22, exec_lo
	v_cmpx_ne_u16_e32 0x80, v17
	s_cbranch_execz .LBB356_2257
; %bb.2252:                             ;   in Loop: Header=BB356_2089 Depth=1
	v_and_b32_e32 v17, 0x7f, v14
	v_mov_b32_e32 v39, 0x7fc02000
	s_mov_b32 s23, exec_lo
	s_delay_alu instid0(VALU_DEP_2)
	v_cmpx_ne_u32_e32 0x7f, v17
	s_cbranch_execz .LBB356_2256
; %bb.2253:                             ;   in Loop: Header=BB356_2089 Depth=1
	v_lshrrev_b32_e32 v39, 3, v17
	v_cmp_gt_u32_e64 s8, 8, v17
	v_dual_mov_b32 v18, v3 :: v_dual_mov_b32 v17, v2
	s_delay_alu instid0(VALU_DEP_2)
	s_and_saveexec_b32 s24, s8
; %bb.2254:                             ;   in Loop: Header=BB356_2089 Depth=1
	v_and_b32_e32 v17, 7, v14
	s_delay_alu instid0(VALU_DEP_1) | instskip(NEXT) | instid1(VALU_DEP_1)
	v_clz_i32_u32_e32 v17, v17
	v_min_u32_e32 v39, 32, v17
	s_delay_alu instid0(VALU_DEP_1) | instskip(SKIP_1) | instid1(VALU_DEP_2)
	v_subrev_nc_u32_e32 v17, 28, v39
	v_sub_nc_u32_e32 v39, 29, v39
	v_lshlrev_b64 v[17:18], v17, v[2:3]
; %bb.2255:                             ;   in Loop: Header=BB356_2089 Depth=1
	s_or_b32 exec_lo, exec_lo, s24
	v_lshlrev_b32_e32 v18, 8, v14
	s_delay_alu instid0(VALU_DEP_3) | instskip(NEXT) | instid1(VALU_DEP_3)
	v_lshl_add_u32 v39, v39, 10, 0x2000
	v_lshlrev_b32_e32 v17, 7, v17
	s_delay_alu instid0(VALU_DEP_2) | instskip(NEXT) | instid1(VALU_DEP_1)
	v_and_or_b32 v18, 0x8000, v18, v39
	v_and_or_b32 v17, 0x380, v17, v18
	s_delay_alu instid0(VALU_DEP_1)
	v_cvt_f32_f16_e32 v39, v17
.LBB356_2256:                           ;   in Loop: Header=BB356_2089 Depth=1
	s_or_b32 exec_lo, exec_lo, s23
.LBB356_2257:                           ;   in Loop: Header=BB356_2089 Depth=1
	s_delay_alu instid0(SALU_CYCLE_1)
	s_or_b32 exec_lo, exec_lo, s22
.LBB356_2258:                           ;   in Loop: Header=BB356_2089 Depth=1
	s_delay_alu instid0(SALU_CYCLE_1) | instskip(SKIP_2) | instid1(VALU_DEP_1)
	s_or_b32 exec_lo, exec_lo, s21
	v_lshrrev_b16 v2, 8, v2
	s_mov_b32 s21, exec_lo
	v_cmpx_ne_u16_e32 0, v2
	s_cbranch_execz .LBB356_2266
; %bb.2259:                             ;   in Loop: Header=BB356_2089 Depth=1
	v_bfrev_b32_e32 v48, 1
	s_mov_b32 s22, exec_lo
	v_cmpx_ne_u16_e32 0x80, v2
	s_cbranch_execz .LBB356_2265
; %bb.2260:                             ;   in Loop: Header=BB356_2089 Depth=1
	v_and_b32_e32 v49, 0xffff, v2
	v_mov_b32_e32 v48, 0x7fc02000
	s_mov_b32 s23, exec_lo
	s_delay_alu instid0(VALU_DEP_2) | instskip(NEXT) | instid1(VALU_DEP_1)
	v_and_b32_e32 v17, 0x7f, v49
	v_cmpx_ne_u32_e32 0x7f, v17
	s_cbranch_execz .LBB356_2264
; %bb.2261:                             ;   in Loop: Header=BB356_2089 Depth=1
	v_and_b32_e32 v2, 7, v49
	v_lshrrev_b32_e32 v48, 3, v17
	v_cmp_gt_u32_e64 s8, 8, v17
	s_delay_alu instid0(VALU_DEP_3) | instskip(NEXT) | instid1(VALU_DEP_2)
	v_dual_mov_b32 v18, v3 :: v_dual_mov_b32 v17, v2
	s_and_saveexec_b32 s24, s8
; %bb.2262:                             ;   in Loop: Header=BB356_2089 Depth=1
	v_clz_i32_u32_e32 v17, v2
	s_delay_alu instid0(VALU_DEP_1) | instskip(NEXT) | instid1(VALU_DEP_1)
	v_min_u32_e32 v48, 32, v17
	v_subrev_nc_u32_e32 v17, 28, v48
	v_sub_nc_u32_e32 v48, 29, v48
	s_delay_alu instid0(VALU_DEP_2) | instskip(NEXT) | instid1(VALU_DEP_1)
	v_lshlrev_b64 v[17:18], v17, v[2:3]
	v_and_b32_e32 v17, 7, v17
; %bb.2263:                             ;   in Loop: Header=BB356_2089 Depth=1
	s_or_b32 exec_lo, exec_lo, s24
	v_lshlrev_b32_e32 v2, 8, v49
	v_lshl_add_u32 v18, v48, 10, 0x2000
	s_delay_alu instid0(VALU_DEP_1) | instskip(NEXT) | instid1(VALU_DEP_1)
	v_and_or_b32 v2, 0x8000, v2, v18
	v_lshl_or_b32 v2, v17, 7, v2
	s_delay_alu instid0(VALU_DEP_1)
	v_cvt_f32_f16_e32 v48, v2
.LBB356_2264:                           ;   in Loop: Header=BB356_2089 Depth=1
	s_or_b32 exec_lo, exec_lo, s23
.LBB356_2265:                           ;   in Loop: Header=BB356_2089 Depth=1
	s_delay_alu instid0(SALU_CYCLE_1)
	s_or_b32 exec_lo, exec_lo, s22
.LBB356_2266:                           ;   in Loop: Header=BB356_2089 Depth=1
	s_delay_alu instid0(SALU_CYCLE_1) | instskip(SKIP_3) | instid1(VALU_DEP_2)
	s_or_b32 exec_lo, exec_lo, s21
	v_lshrrev_b32_e32 v50, 16, v14
	v_mov_b32_e32 v17, 0
	s_mov_b32 s21, exec_lo
	v_dual_mov_b32 v49, 0 :: v_dual_and_b32 v2, 0xff, v50
	s_delay_alu instid0(VALU_DEP_1)
	v_cmpx_ne_u16_e32 0, v2
	s_cbranch_execz .LBB356_2274
; %bb.2267:                             ;   in Loop: Header=BB356_2089 Depth=1
	v_bfrev_b32_e32 v17, 1
	s_mov_b32 s22, exec_lo
	v_cmpx_ne_u16_e32 0x80, v2
	s_cbranch_execz .LBB356_2273
; %bb.2268:                             ;   in Loop: Header=BB356_2089 Depth=1
	v_bfe_u32 v18, v14, 16, 7
	v_mov_b32_e32 v17, 0x7fc02000
	s_mov_b32 s23, exec_lo
	s_delay_alu instid0(VALU_DEP_2)
	v_cmpx_ne_u32_e32 0x7f, v18
	s_cbranch_execz .LBB356_2272
; %bb.2269:                             ;   in Loop: Header=BB356_2089 Depth=1
	v_and_b32_e32 v2, 7, v50
	v_lshrrev_b32_e32 v51, 3, v18
	v_cmp_gt_u32_e64 s8, 8, v18
	s_delay_alu instid0(VALU_DEP_3) | instskip(NEXT) | instid1(VALU_DEP_2)
	v_dual_mov_b32 v18, v3 :: v_dual_mov_b32 v17, v2
	s_and_saveexec_b32 s24, s8
; %bb.2270:                             ;   in Loop: Header=BB356_2089 Depth=1
	v_clz_i32_u32_e32 v17, v2
	s_delay_alu instid0(VALU_DEP_1) | instskip(NEXT) | instid1(VALU_DEP_1)
	v_min_u32_e32 v51, 32, v17
	v_subrev_nc_u32_e32 v17, 28, v51
	v_sub_nc_u32_e32 v51, 29, v51
	s_delay_alu instid0(VALU_DEP_2) | instskip(NEXT) | instid1(VALU_DEP_1)
	v_lshlrev_b64 v[17:18], v17, v[2:3]
	v_and_b32_e32 v17, 7, v17
; %bb.2271:                             ;   in Loop: Header=BB356_2089 Depth=1
	s_or_b32 exec_lo, exec_lo, s24
	v_lshlrev_b32_e32 v2, 8, v50
	v_lshl_add_u32 v18, v51, 10, 0x2000
	s_delay_alu instid0(VALU_DEP_1) | instskip(NEXT) | instid1(VALU_DEP_1)
	v_and_or_b32 v2, 0x8000, v2, v18
	v_lshl_or_b32 v2, v17, 7, v2
	s_delay_alu instid0(VALU_DEP_1)
	v_cvt_f32_f16_e32 v17, v2
.LBB356_2272:                           ;   in Loop: Header=BB356_2089 Depth=1
	s_or_b32 exec_lo, exec_lo, s23
.LBB356_2273:                           ;   in Loop: Header=BB356_2089 Depth=1
	s_delay_alu instid0(SALU_CYCLE_1)
	s_or_b32 exec_lo, exec_lo, s22
.LBB356_2274:                           ;   in Loop: Header=BB356_2089 Depth=1
	s_delay_alu instid0(SALU_CYCLE_1) | instskip(NEXT) | instid1(SALU_CYCLE_1)
	s_or_b32 exec_lo, exec_lo, s21
	s_mov_b32 s21, exec_lo
	v_cmpx_lt_u64_e64 s[18:19], v[13:14]
	s_cbranch_execz .LBB356_2282
; %bb.2275:                             ;   in Loop: Header=BB356_2089 Depth=1
	v_lshrrev_b32_e32 v18, 24, v14
	v_bfrev_b32_e32 v49, 1
	s_mov_b32 s22, exec_lo
	s_delay_alu instid0(VALU_DEP_2)
	v_cmpx_ne_u32_e32 0x80, v18
	s_cbranch_execz .LBB356_2281
; %bb.2276:                             ;   in Loop: Header=BB356_2089 Depth=1
	v_and_b32_e32 v13, 0x7f, v18
	v_mov_b32_e32 v49, 0x7fc02000
	s_mov_b32 s23, exec_lo
	s_delay_alu instid0(VALU_DEP_2)
	v_cmpx_ne_u32_e32 0x7f, v13
	s_cbranch_execz .LBB356_2280
; %bb.2277:                             ;   in Loop: Header=BB356_2089 Depth=1
	v_and_b32_e32 v2, 7, v18
	v_lshrrev_b32_e32 v49, 3, v13
	v_cmp_gt_u32_e64 s8, 8, v13
	s_delay_alu instid0(VALU_DEP_3) | instskip(NEXT) | instid1(VALU_DEP_2)
	v_dual_mov_b32 v14, v3 :: v_dual_mov_b32 v13, v2
	s_and_saveexec_b32 s24, s8
; %bb.2278:                             ;   in Loop: Header=BB356_2089 Depth=1
	v_clz_i32_u32_e32 v13, v2
	s_delay_alu instid0(VALU_DEP_1) | instskip(NEXT) | instid1(VALU_DEP_1)
	v_min_u32_e32 v49, 32, v13
	v_subrev_nc_u32_e32 v13, 28, v49
	v_sub_nc_u32_e32 v49, 29, v49
	s_delay_alu instid0(VALU_DEP_2) | instskip(NEXT) | instid1(VALU_DEP_1)
	v_lshlrev_b64 v[13:14], v13, v[2:3]
	v_and_b32_e32 v13, 7, v13
; %bb.2279:                             ;   in Loop: Header=BB356_2089 Depth=1
	s_or_b32 exec_lo, exec_lo, s24
	v_lshlrev_b32_e32 v2, 8, v18
	v_lshl_add_u32 v14, v49, 10, 0x2000
	s_delay_alu instid0(VALU_DEP_1) | instskip(NEXT) | instid1(VALU_DEP_1)
	v_and_or_b32 v2, 0x8000, v2, v14
	v_lshl_or_b32 v2, v13, 7, v2
	s_delay_alu instid0(VALU_DEP_1)
	v_cvt_f32_f16_e32 v49, v2
.LBB356_2280:                           ;   in Loop: Header=BB356_2089 Depth=1
	s_or_b32 exec_lo, exec_lo, s23
.LBB356_2281:                           ;   in Loop: Header=BB356_2089 Depth=1
	s_delay_alu instid0(SALU_CYCLE_1)
	s_or_b32 exec_lo, exec_lo, s22
.LBB356_2282:                           ;   in Loop: Header=BB356_2089 Depth=1
	s_delay_alu instid0(SALU_CYCLE_1)
	s_or_b32 exec_lo, exec_lo, s21
	s_waitcnt vmcnt(0) lgkmcnt(0)
	v_fma_mixlo_f16 v2, v4, v38, 0
	v_fma_mixlo_f16 v13, v4, v37, 0
	;; [unrolled: 1-line block ×5, first 2 shown]
	v_lshlrev_b32_e32 v22, 16, v2
	v_fma_mixlo_f16 v37, v4, v39, 0
	v_and_b32_e32 v38, 0xffff, v13
	v_lshlrev_b32_e32 v39, 16, v14
	v_and_b32_e32 v48, 0xffff, v5
	v_fma_mixlo_f16 v49, v4, v49, 0
	v_fma_mixlo_f16 v4, v4, v17, 0
	v_cndmask_b32_e32 v5, 0, v5, vcc_lo
	v_cndmask_b32_e64 v14, 0, v14, s0
	v_cndmask_b32_e64 v13, 0, v13, s2
	;; [unrolled: 1-line block ×3, first 2 shown]
	v_lshlrev_b32_e32 v50, 16, v18
	v_and_b32_e32 v51, 0xffff, v37
	v_or_b32_e32 v17, v22, v38
	v_or_b32_e32 v22, v39, v48
	v_lshlrev_b32_e32 v39, 16, v49
	v_and_b32_e32 v48, 0xffff, v4
	v_cndmask_b32_e64 v37, 0, v37, s6
	v_cndmask_b32_e64 v18, 0, v18, s7
	;; [unrolled: 1-line block ×4, first 2 shown]
	v_perm_b32 v5, v14, v5, 0x5040100
	v_perm_b32 v2, v2, v13, 0x5040100
	v_or_b32_e32 v38, v50, v51
	v_or_b32_e32 v39, v39, v48
	v_perm_b32 v13, v18, v37, 0x5040100
	v_perm_b32 v4, v49, v4, 0x5040100
	v_cndmask_b32_e64 v5, v22, v5, s1
	v_mov_b32_e32 v22, 0
	v_cndmask_b32_e64 v2, v17, v2, s1
	v_cndmask_b32_e64 v13, v38, v13, s1
	;; [unrolled: 1-line block ×3, first 2 shown]
	;;#ASMSTART
	v_pk_mul_f16 v5, v146, v5;

	;;#ASMEND
	;;#ASMSTART
	v_pk_mul_f16 v2, v145, v2;

	;;#ASMEND
	;; [unrolled: 4-line block ×4, first 2 shown]
	;;#ASMSTART
	v_pk_add_f16 v2, v5, v2;

	;;#ASMEND
	;;#ASMSTART
	v_pk_add_f16 v2, v2, v13;

	;;#ASMEND
	;; [unrolled: 4-line block ×3, first 2 shown]
	v_and_b32_e32 v4, 0xffff, v2
	v_lshrrev_b32_e32 v2, 16, v2
	;;#ASMSTART
	v_cvt_f32_f16 v160, v4;
	;;#ASMEND
	;;#ASMSTART
	v_cvt_f32_f16 v161, v2;
	;;#ASMEND
	flat_load_b64 v[13:14], v[11:12] offset:768
	flat_load_b32 v4, v[26:27]
	v_mov_b32_e32 v5, 0
	s_mov_b32 s21, exec_lo
	s_waitcnt vmcnt(1) lgkmcnt(1)
	v_and_b32_e32 v2, 0xff, v13
	s_delay_alu instid0(VALU_DEP_1)
	v_cmpx_ne_u16_e32 0, v2
	s_cbranch_execz .LBB356_2290
; %bb.2283:                             ;   in Loop: Header=BB356_2089 Depth=1
	v_bfrev_b32_e32 v5, 1
	s_mov_b32 s22, exec_lo
	v_cmpx_ne_u16_e32 0x80, v2
	s_cbranch_execz .LBB356_2289
; %bb.2284:                             ;   in Loop: Header=BB356_2089 Depth=1
	v_and_b32_e32 v17, 0x7f, v13
	v_mov_b32_e32 v5, 0x7fc02000
	s_mov_b32 s23, exec_lo
	s_delay_alu instid0(VALU_DEP_2)
	v_cmpx_ne_u32_e32 0x7f, v17
	s_cbranch_execz .LBB356_2288
; %bb.2285:                             ;   in Loop: Header=BB356_2089 Depth=1
	v_lshrrev_b32_e32 v2, 3, v17
	v_cmp_gt_u32_e64 s8, 8, v17
	v_dual_mov_b32 v18, v14 :: v_dual_mov_b32 v17, v13
	s_delay_alu instid0(VALU_DEP_2)
	s_and_saveexec_b32 s24, s8
; %bb.2286:                             ;   in Loop: Header=BB356_2089 Depth=1
	v_and_b32_e32 v2, 7, v13
	s_delay_alu instid0(VALU_DEP_1) | instskip(NEXT) | instid1(VALU_DEP_1)
	v_clz_i32_u32_e32 v2, v2
	v_min_u32_e32 v2, 32, v2
	s_delay_alu instid0(VALU_DEP_1) | instskip(SKIP_1) | instid1(VALU_DEP_2)
	v_subrev_nc_u32_e32 v5, 28, v2
	v_sub_nc_u32_e32 v2, 29, v2
	v_lshlrev_b64 v[17:18], v5, v[13:14]
; %bb.2287:                             ;   in Loop: Header=BB356_2089 Depth=1
	s_or_b32 exec_lo, exec_lo, s24
	v_lshlrev_b32_e32 v5, 8, v13
	s_delay_alu instid0(VALU_DEP_3) | instskip(NEXT) | instid1(VALU_DEP_3)
	v_lshl_add_u32 v2, v2, 10, 0x2000
	v_lshlrev_b32_e32 v17, 7, v17
	s_delay_alu instid0(VALU_DEP_2) | instskip(NEXT) | instid1(VALU_DEP_1)
	v_and_or_b32 v2, 0x8000, v5, v2
	v_and_or_b32 v2, 0x380, v17, v2
	s_delay_alu instid0(VALU_DEP_1)
	v_cvt_f32_f16_e32 v5, v2
.LBB356_2288:                           ;   in Loop: Header=BB356_2089 Depth=1
	s_or_b32 exec_lo, exec_lo, s23
.LBB356_2289:                           ;   in Loop: Header=BB356_2089 Depth=1
	s_delay_alu instid0(SALU_CYCLE_1)
	s_or_b32 exec_lo, exec_lo, s22
.LBB356_2290:                           ;   in Loop: Header=BB356_2089 Depth=1
	s_delay_alu instid0(SALU_CYCLE_1) | instskip(SKIP_2) | instid1(VALU_DEP_1)
	s_or_b32 exec_lo, exec_lo, s21
	v_lshrrev_b16 v2, 8, v13
	s_mov_b32 s21, exec_lo
	v_cmpx_ne_u16_e32 0, v2
	s_cbranch_execz .LBB356_2298
; %bb.2291:                             ;   in Loop: Header=BB356_2089 Depth=1
	v_bfrev_b32_e32 v22, 1
	s_mov_b32 s22, exec_lo
	v_cmpx_ne_u16_e32 0x80, v2
	s_cbranch_execz .LBB356_2297
; %bb.2292:                             ;   in Loop: Header=BB356_2089 Depth=1
	v_and_b32_e32 v37, 0xffff, v2
	v_mov_b32_e32 v22, 0x7fc02000
	s_mov_b32 s23, exec_lo
	s_delay_alu instid0(VALU_DEP_2) | instskip(NEXT) | instid1(VALU_DEP_1)
	v_and_b32_e32 v17, 0x7f, v37
	v_cmpx_ne_u32_e32 0x7f, v17
	s_cbranch_execz .LBB356_2296
; %bb.2293:                             ;   in Loop: Header=BB356_2089 Depth=1
	v_and_b32_e32 v2, 7, v37
	v_lshrrev_b32_e32 v22, 3, v17
	v_cmp_gt_u32_e64 s8, 8, v17
	s_delay_alu instid0(VALU_DEP_3) | instskip(NEXT) | instid1(VALU_DEP_2)
	v_dual_mov_b32 v18, v3 :: v_dual_mov_b32 v17, v2
	s_and_saveexec_b32 s24, s8
; %bb.2294:                             ;   in Loop: Header=BB356_2089 Depth=1
	v_clz_i32_u32_e32 v17, v2
	s_delay_alu instid0(VALU_DEP_1) | instskip(NEXT) | instid1(VALU_DEP_1)
	v_min_u32_e32 v22, 32, v17
	v_subrev_nc_u32_e32 v17, 28, v22
	v_sub_nc_u32_e32 v22, 29, v22
	s_delay_alu instid0(VALU_DEP_2) | instskip(NEXT) | instid1(VALU_DEP_1)
	v_lshlrev_b64 v[17:18], v17, v[2:3]
	v_and_b32_e32 v17, 7, v17
; %bb.2295:                             ;   in Loop: Header=BB356_2089 Depth=1
	s_or_b32 exec_lo, exec_lo, s24
	v_lshlrev_b32_e32 v2, 8, v37
	v_lshl_add_u32 v18, v22, 10, 0x2000
	s_delay_alu instid0(VALU_DEP_1) | instskip(NEXT) | instid1(VALU_DEP_1)
	v_and_or_b32 v2, 0x8000, v2, v18
	v_lshl_or_b32 v2, v17, 7, v2
	s_delay_alu instid0(VALU_DEP_1)
	v_cvt_f32_f16_e32 v22, v2
.LBB356_2296:                           ;   in Loop: Header=BB356_2089 Depth=1
	s_or_b32 exec_lo, exec_lo, s23
.LBB356_2297:                           ;   in Loop: Header=BB356_2089 Depth=1
	s_delay_alu instid0(SALU_CYCLE_1)
	s_or_b32 exec_lo, exec_lo, s22
.LBB356_2298:                           ;   in Loop: Header=BB356_2089 Depth=1
	s_delay_alu instid0(SALU_CYCLE_1) | instskip(SKIP_3) | instid1(VALU_DEP_2)
	s_or_b32 exec_lo, exec_lo, s21
	v_lshrrev_b32_e32 v39, 16, v13
	v_mov_b32_e32 v38, 0
	s_mov_b32 s21, exec_lo
	v_dual_mov_b32 v37, 0 :: v_dual_and_b32 v2, 0xff, v39
	s_delay_alu instid0(VALU_DEP_1)
	v_cmpx_ne_u16_e32 0, v2
	s_cbranch_execz .LBB356_2306
; %bb.2299:                             ;   in Loop: Header=BB356_2089 Depth=1
	v_bfrev_b32_e32 v37, 1
	s_mov_b32 s22, exec_lo
	v_cmpx_ne_u16_e32 0x80, v2
	s_cbranch_execz .LBB356_2305
; %bb.2300:                             ;   in Loop: Header=BB356_2089 Depth=1
	v_bfe_u32 v17, v13, 16, 7
	v_mov_b32_e32 v37, 0x7fc02000
	s_mov_b32 s23, exec_lo
	s_delay_alu instid0(VALU_DEP_2)
	v_cmpx_ne_u32_e32 0x7f, v17
	s_cbranch_execz .LBB356_2304
; %bb.2301:                             ;   in Loop: Header=BB356_2089 Depth=1
	v_and_b32_e32 v2, 7, v39
	v_lshrrev_b32_e32 v37, 3, v17
	v_cmp_gt_u32_e64 s8, 8, v17
	s_delay_alu instid0(VALU_DEP_3) | instskip(NEXT) | instid1(VALU_DEP_2)
	v_dual_mov_b32 v18, v3 :: v_dual_mov_b32 v17, v2
	s_and_saveexec_b32 s24, s8
; %bb.2302:                             ;   in Loop: Header=BB356_2089 Depth=1
	v_clz_i32_u32_e32 v17, v2
	s_delay_alu instid0(VALU_DEP_1) | instskip(NEXT) | instid1(VALU_DEP_1)
	v_min_u32_e32 v37, 32, v17
	v_subrev_nc_u32_e32 v17, 28, v37
	v_sub_nc_u32_e32 v37, 29, v37
	s_delay_alu instid0(VALU_DEP_2) | instskip(NEXT) | instid1(VALU_DEP_1)
	v_lshlrev_b64 v[17:18], v17, v[2:3]
	v_and_b32_e32 v17, 7, v17
; %bb.2303:                             ;   in Loop: Header=BB356_2089 Depth=1
	s_or_b32 exec_lo, exec_lo, s24
	v_lshlrev_b32_e32 v2, 8, v39
	v_lshl_add_u32 v18, v37, 10, 0x2000
	s_delay_alu instid0(VALU_DEP_1) | instskip(NEXT) | instid1(VALU_DEP_1)
	v_and_or_b32 v2, 0x8000, v2, v18
	v_lshl_or_b32 v2, v17, 7, v2
	s_delay_alu instid0(VALU_DEP_1)
	v_cvt_f32_f16_e32 v37, v2
.LBB356_2304:                           ;   in Loop: Header=BB356_2089 Depth=1
	s_or_b32 exec_lo, exec_lo, s23
.LBB356_2305:                           ;   in Loop: Header=BB356_2089 Depth=1
	s_delay_alu instid0(SALU_CYCLE_1)
	s_or_b32 exec_lo, exec_lo, s22
.LBB356_2306:                           ;   in Loop: Header=BB356_2089 Depth=1
	s_delay_alu instid0(SALU_CYCLE_1) | instskip(NEXT) | instid1(SALU_CYCLE_1)
	s_or_b32 exec_lo, exec_lo, s21
	s_mov_b32 s21, exec_lo
	v_cmpx_lt_u32_e32 0xffffff, v13
	s_cbranch_execz .LBB356_2314
; %bb.2307:                             ;   in Loop: Header=BB356_2089 Depth=1
	v_lshrrev_b32_e32 v39, 24, v13
	v_bfrev_b32_e32 v38, 1
	s_mov_b32 s22, exec_lo
	s_delay_alu instid0(VALU_DEP_2)
	v_cmpx_ne_u32_e32 0x80, v39
	s_cbranch_execz .LBB356_2313
; %bb.2308:                             ;   in Loop: Header=BB356_2089 Depth=1
	v_and_b32_e32 v17, 0x7f, v39
	v_mov_b32_e32 v38, 0x7fc02000
	s_mov_b32 s23, exec_lo
	s_delay_alu instid0(VALU_DEP_2)
	v_cmpx_ne_u32_e32 0x7f, v17
	s_cbranch_execz .LBB356_2312
; %bb.2309:                             ;   in Loop: Header=BB356_2089 Depth=1
	v_and_b32_e32 v2, 7, v39
	v_lshrrev_b32_e32 v38, 3, v17
	v_cmp_gt_u32_e64 s8, 8, v17
	s_delay_alu instid0(VALU_DEP_3) | instskip(NEXT) | instid1(VALU_DEP_2)
	v_dual_mov_b32 v18, v3 :: v_dual_mov_b32 v17, v2
	s_and_saveexec_b32 s24, s8
; %bb.2310:                             ;   in Loop: Header=BB356_2089 Depth=1
	v_clz_i32_u32_e32 v17, v2
	s_delay_alu instid0(VALU_DEP_1) | instskip(NEXT) | instid1(VALU_DEP_1)
	v_min_u32_e32 v38, 32, v17
	v_subrev_nc_u32_e32 v17, 28, v38
	v_sub_nc_u32_e32 v38, 29, v38
	s_delay_alu instid0(VALU_DEP_2) | instskip(NEXT) | instid1(VALU_DEP_1)
	v_lshlrev_b64 v[17:18], v17, v[2:3]
	v_and_b32_e32 v17, 7, v17
; %bb.2311:                             ;   in Loop: Header=BB356_2089 Depth=1
	s_or_b32 exec_lo, exec_lo, s24
	v_lshlrev_b32_e32 v2, 8, v39
	v_lshl_add_u32 v18, v38, 10, 0x2000
	s_delay_alu instid0(VALU_DEP_1) | instskip(NEXT) | instid1(VALU_DEP_1)
	v_and_or_b32 v2, 0x8000, v2, v18
	v_lshl_or_b32 v2, v17, 7, v2
	s_delay_alu instid0(VALU_DEP_1)
	v_cvt_f32_f16_e32 v38, v2
.LBB356_2312:                           ;   in Loop: Header=BB356_2089 Depth=1
	s_or_b32 exec_lo, exec_lo, s23
.LBB356_2313:                           ;   in Loop: Header=BB356_2089 Depth=1
	s_delay_alu instid0(SALU_CYCLE_1)
	s_or_b32 exec_lo, exec_lo, s22
.LBB356_2314:                           ;   in Loop: Header=BB356_2089 Depth=1
	s_delay_alu instid0(SALU_CYCLE_1) | instskip(SKIP_3) | instid1(VALU_DEP_2)
	s_or_b32 exec_lo, exec_lo, s21
	v_dual_mov_b32 v2, v14 :: v_dual_and_b32 v17, 0xff, v14
	v_dual_mov_b32 v48, 0 :: v_dual_mov_b32 v39, 0
	s_mov_b32 s21, exec_lo
	v_cmpx_ne_u16_e32 0, v17
	s_cbranch_execz .LBB356_2322
; %bb.2315:                             ;   in Loop: Header=BB356_2089 Depth=1
	v_bfrev_b32_e32 v39, 1
	s_mov_b32 s22, exec_lo
	v_cmpx_ne_u16_e32 0x80, v17
	s_cbranch_execz .LBB356_2321
; %bb.2316:                             ;   in Loop: Header=BB356_2089 Depth=1
	v_and_b32_e32 v17, 0x7f, v14
	v_mov_b32_e32 v39, 0x7fc02000
	s_mov_b32 s23, exec_lo
	s_delay_alu instid0(VALU_DEP_2)
	v_cmpx_ne_u32_e32 0x7f, v17
	s_cbranch_execz .LBB356_2320
; %bb.2317:                             ;   in Loop: Header=BB356_2089 Depth=1
	v_lshrrev_b32_e32 v39, 3, v17
	v_cmp_gt_u32_e64 s8, 8, v17
	v_dual_mov_b32 v18, v3 :: v_dual_mov_b32 v17, v2
	s_delay_alu instid0(VALU_DEP_2)
	s_and_saveexec_b32 s24, s8
; %bb.2318:                             ;   in Loop: Header=BB356_2089 Depth=1
	v_and_b32_e32 v17, 7, v14
	s_delay_alu instid0(VALU_DEP_1) | instskip(NEXT) | instid1(VALU_DEP_1)
	v_clz_i32_u32_e32 v17, v17
	v_min_u32_e32 v39, 32, v17
	s_delay_alu instid0(VALU_DEP_1) | instskip(SKIP_1) | instid1(VALU_DEP_2)
	v_subrev_nc_u32_e32 v17, 28, v39
	v_sub_nc_u32_e32 v39, 29, v39
	v_lshlrev_b64 v[17:18], v17, v[2:3]
; %bb.2319:                             ;   in Loop: Header=BB356_2089 Depth=1
	s_or_b32 exec_lo, exec_lo, s24
	v_lshlrev_b32_e32 v18, 8, v14
	s_delay_alu instid0(VALU_DEP_3) | instskip(NEXT) | instid1(VALU_DEP_3)
	v_lshl_add_u32 v39, v39, 10, 0x2000
	v_lshlrev_b32_e32 v17, 7, v17
	s_delay_alu instid0(VALU_DEP_2) | instskip(NEXT) | instid1(VALU_DEP_1)
	v_and_or_b32 v18, 0x8000, v18, v39
	v_and_or_b32 v17, 0x380, v17, v18
	s_delay_alu instid0(VALU_DEP_1)
	v_cvt_f32_f16_e32 v39, v17
.LBB356_2320:                           ;   in Loop: Header=BB356_2089 Depth=1
	s_or_b32 exec_lo, exec_lo, s23
.LBB356_2321:                           ;   in Loop: Header=BB356_2089 Depth=1
	s_delay_alu instid0(SALU_CYCLE_1)
	s_or_b32 exec_lo, exec_lo, s22
.LBB356_2322:                           ;   in Loop: Header=BB356_2089 Depth=1
	s_delay_alu instid0(SALU_CYCLE_1) | instskip(SKIP_2) | instid1(VALU_DEP_1)
	s_or_b32 exec_lo, exec_lo, s21
	v_lshrrev_b16 v2, 8, v2
	s_mov_b32 s21, exec_lo
	v_cmpx_ne_u16_e32 0, v2
	s_cbranch_execz .LBB356_2330
; %bb.2323:                             ;   in Loop: Header=BB356_2089 Depth=1
	v_bfrev_b32_e32 v48, 1
	s_mov_b32 s22, exec_lo
	v_cmpx_ne_u16_e32 0x80, v2
	s_cbranch_execz .LBB356_2329
; %bb.2324:                             ;   in Loop: Header=BB356_2089 Depth=1
	v_and_b32_e32 v49, 0xffff, v2
	v_mov_b32_e32 v48, 0x7fc02000
	s_mov_b32 s23, exec_lo
	s_delay_alu instid0(VALU_DEP_2) | instskip(NEXT) | instid1(VALU_DEP_1)
	v_and_b32_e32 v17, 0x7f, v49
	v_cmpx_ne_u32_e32 0x7f, v17
	s_cbranch_execz .LBB356_2328
; %bb.2325:                             ;   in Loop: Header=BB356_2089 Depth=1
	v_and_b32_e32 v2, 7, v49
	v_lshrrev_b32_e32 v48, 3, v17
	v_cmp_gt_u32_e64 s8, 8, v17
	s_delay_alu instid0(VALU_DEP_3) | instskip(NEXT) | instid1(VALU_DEP_2)
	v_dual_mov_b32 v18, v3 :: v_dual_mov_b32 v17, v2
	s_and_saveexec_b32 s24, s8
; %bb.2326:                             ;   in Loop: Header=BB356_2089 Depth=1
	v_clz_i32_u32_e32 v17, v2
	s_delay_alu instid0(VALU_DEP_1) | instskip(NEXT) | instid1(VALU_DEP_1)
	v_min_u32_e32 v48, 32, v17
	v_subrev_nc_u32_e32 v17, 28, v48
	v_sub_nc_u32_e32 v48, 29, v48
	s_delay_alu instid0(VALU_DEP_2) | instskip(NEXT) | instid1(VALU_DEP_1)
	v_lshlrev_b64 v[17:18], v17, v[2:3]
	v_and_b32_e32 v17, 7, v17
; %bb.2327:                             ;   in Loop: Header=BB356_2089 Depth=1
	s_or_b32 exec_lo, exec_lo, s24
	v_lshlrev_b32_e32 v2, 8, v49
	v_lshl_add_u32 v18, v48, 10, 0x2000
	s_delay_alu instid0(VALU_DEP_1) | instskip(NEXT) | instid1(VALU_DEP_1)
	v_and_or_b32 v2, 0x8000, v2, v18
	v_lshl_or_b32 v2, v17, 7, v2
	s_delay_alu instid0(VALU_DEP_1)
	v_cvt_f32_f16_e32 v48, v2
.LBB356_2328:                           ;   in Loop: Header=BB356_2089 Depth=1
	s_or_b32 exec_lo, exec_lo, s23
.LBB356_2329:                           ;   in Loop: Header=BB356_2089 Depth=1
	s_delay_alu instid0(SALU_CYCLE_1)
	s_or_b32 exec_lo, exec_lo, s22
.LBB356_2330:                           ;   in Loop: Header=BB356_2089 Depth=1
	s_delay_alu instid0(SALU_CYCLE_1) | instskip(SKIP_3) | instid1(VALU_DEP_2)
	s_or_b32 exec_lo, exec_lo, s21
	v_lshrrev_b32_e32 v50, 16, v14
	v_mov_b32_e32 v17, 0
	s_mov_b32 s21, exec_lo
	v_dual_mov_b32 v49, 0 :: v_dual_and_b32 v2, 0xff, v50
	s_delay_alu instid0(VALU_DEP_1)
	v_cmpx_ne_u16_e32 0, v2
	s_cbranch_execz .LBB356_2338
; %bb.2331:                             ;   in Loop: Header=BB356_2089 Depth=1
	v_bfrev_b32_e32 v17, 1
	s_mov_b32 s22, exec_lo
	v_cmpx_ne_u16_e32 0x80, v2
	s_cbranch_execz .LBB356_2337
; %bb.2332:                             ;   in Loop: Header=BB356_2089 Depth=1
	v_bfe_u32 v18, v14, 16, 7
	v_mov_b32_e32 v17, 0x7fc02000
	s_mov_b32 s23, exec_lo
	s_delay_alu instid0(VALU_DEP_2)
	v_cmpx_ne_u32_e32 0x7f, v18
	s_cbranch_execz .LBB356_2336
; %bb.2333:                             ;   in Loop: Header=BB356_2089 Depth=1
	v_and_b32_e32 v2, 7, v50
	v_lshrrev_b32_e32 v51, 3, v18
	v_cmp_gt_u32_e64 s8, 8, v18
	s_delay_alu instid0(VALU_DEP_3) | instskip(NEXT) | instid1(VALU_DEP_2)
	v_dual_mov_b32 v18, v3 :: v_dual_mov_b32 v17, v2
	s_and_saveexec_b32 s24, s8
; %bb.2334:                             ;   in Loop: Header=BB356_2089 Depth=1
	v_clz_i32_u32_e32 v17, v2
	s_delay_alu instid0(VALU_DEP_1) | instskip(NEXT) | instid1(VALU_DEP_1)
	v_min_u32_e32 v51, 32, v17
	v_subrev_nc_u32_e32 v17, 28, v51
	v_sub_nc_u32_e32 v51, 29, v51
	s_delay_alu instid0(VALU_DEP_2) | instskip(NEXT) | instid1(VALU_DEP_1)
	v_lshlrev_b64 v[17:18], v17, v[2:3]
	v_and_b32_e32 v17, 7, v17
; %bb.2335:                             ;   in Loop: Header=BB356_2089 Depth=1
	s_or_b32 exec_lo, exec_lo, s24
	v_lshlrev_b32_e32 v2, 8, v50
	v_lshl_add_u32 v18, v51, 10, 0x2000
	s_delay_alu instid0(VALU_DEP_1) | instskip(NEXT) | instid1(VALU_DEP_1)
	v_and_or_b32 v2, 0x8000, v2, v18
	v_lshl_or_b32 v2, v17, 7, v2
	s_delay_alu instid0(VALU_DEP_1)
	v_cvt_f32_f16_e32 v17, v2
.LBB356_2336:                           ;   in Loop: Header=BB356_2089 Depth=1
	s_or_b32 exec_lo, exec_lo, s23
.LBB356_2337:                           ;   in Loop: Header=BB356_2089 Depth=1
	s_delay_alu instid0(SALU_CYCLE_1)
	s_or_b32 exec_lo, exec_lo, s22
.LBB356_2338:                           ;   in Loop: Header=BB356_2089 Depth=1
	s_delay_alu instid0(SALU_CYCLE_1) | instskip(NEXT) | instid1(SALU_CYCLE_1)
	s_or_b32 exec_lo, exec_lo, s21
	s_mov_b32 s21, exec_lo
	v_cmpx_lt_u64_e64 s[18:19], v[13:14]
	s_cbranch_execz .LBB356_2346
; %bb.2339:                             ;   in Loop: Header=BB356_2089 Depth=1
	v_lshrrev_b32_e32 v18, 24, v14
	v_bfrev_b32_e32 v49, 1
	s_mov_b32 s22, exec_lo
	s_delay_alu instid0(VALU_DEP_2)
	v_cmpx_ne_u32_e32 0x80, v18
	s_cbranch_execz .LBB356_2345
; %bb.2340:                             ;   in Loop: Header=BB356_2089 Depth=1
	v_and_b32_e32 v13, 0x7f, v18
	v_mov_b32_e32 v49, 0x7fc02000
	s_mov_b32 s23, exec_lo
	s_delay_alu instid0(VALU_DEP_2)
	v_cmpx_ne_u32_e32 0x7f, v13
	s_cbranch_execz .LBB356_2344
; %bb.2341:                             ;   in Loop: Header=BB356_2089 Depth=1
	v_and_b32_e32 v2, 7, v18
	v_lshrrev_b32_e32 v49, 3, v13
	v_cmp_gt_u32_e64 s8, 8, v13
	s_delay_alu instid0(VALU_DEP_3) | instskip(NEXT) | instid1(VALU_DEP_2)
	v_dual_mov_b32 v14, v3 :: v_dual_mov_b32 v13, v2
	s_and_saveexec_b32 s24, s8
; %bb.2342:                             ;   in Loop: Header=BB356_2089 Depth=1
	v_clz_i32_u32_e32 v13, v2
	s_delay_alu instid0(VALU_DEP_1) | instskip(NEXT) | instid1(VALU_DEP_1)
	v_min_u32_e32 v49, 32, v13
	v_subrev_nc_u32_e32 v13, 28, v49
	v_sub_nc_u32_e32 v49, 29, v49
	s_delay_alu instid0(VALU_DEP_2) | instskip(NEXT) | instid1(VALU_DEP_1)
	v_lshlrev_b64 v[13:14], v13, v[2:3]
	v_and_b32_e32 v13, 7, v13
; %bb.2343:                             ;   in Loop: Header=BB356_2089 Depth=1
	s_or_b32 exec_lo, exec_lo, s24
	v_lshlrev_b32_e32 v2, 8, v18
	v_lshl_add_u32 v14, v49, 10, 0x2000
	s_delay_alu instid0(VALU_DEP_1) | instskip(NEXT) | instid1(VALU_DEP_1)
	v_and_or_b32 v2, 0x8000, v2, v14
	v_lshl_or_b32 v2, v13, 7, v2
	s_delay_alu instid0(VALU_DEP_1)
	v_cvt_f32_f16_e32 v49, v2
.LBB356_2344:                           ;   in Loop: Header=BB356_2089 Depth=1
	s_or_b32 exec_lo, exec_lo, s23
.LBB356_2345:                           ;   in Loop: Header=BB356_2089 Depth=1
	s_delay_alu instid0(SALU_CYCLE_1)
	s_or_b32 exec_lo, exec_lo, s22
.LBB356_2346:                           ;   in Loop: Header=BB356_2089 Depth=1
	s_delay_alu instid0(SALU_CYCLE_1)
	s_or_b32 exec_lo, exec_lo, s21
	s_waitcnt vmcnt(0) lgkmcnt(0)
	v_fma_mixlo_f16 v2, v4, v38, 0
	v_fma_mixlo_f16 v13, v4, v37, 0
	;; [unrolled: 1-line block ×5, first 2 shown]
	v_lshlrev_b32_e32 v22, 16, v2
	v_fma_mixlo_f16 v37, v4, v39, 0
	v_and_b32_e32 v38, 0xffff, v13
	v_lshlrev_b32_e32 v39, 16, v14
	v_and_b32_e32 v48, 0xffff, v5
	v_fma_mixlo_f16 v49, v4, v49, 0
	v_fma_mixlo_f16 v4, v4, v17, 0
	v_cndmask_b32_e32 v5, 0, v5, vcc_lo
	v_cndmask_b32_e64 v14, 0, v14, s0
	v_cndmask_b32_e64 v13, 0, v13, s2
	;; [unrolled: 1-line block ×3, first 2 shown]
	v_lshlrev_b32_e32 v50, 16, v18
	v_and_b32_e32 v51, 0xffff, v37
	v_or_b32_e32 v17, v22, v38
	v_or_b32_e32 v22, v39, v48
	v_lshlrev_b32_e32 v39, 16, v49
	v_and_b32_e32 v48, 0xffff, v4
	v_cndmask_b32_e64 v37, 0, v37, s6
	v_cndmask_b32_e64 v18, 0, v18, s7
	;; [unrolled: 1-line block ×4, first 2 shown]
	v_perm_b32 v5, v14, v5, 0x5040100
	v_perm_b32 v2, v2, v13, 0x5040100
	v_or_b32_e32 v38, v50, v51
	v_or_b32_e32 v39, v39, v48
	v_perm_b32 v13, v18, v37, 0x5040100
	v_perm_b32 v4, v49, v4, 0x5040100
	v_cndmask_b32_e64 v5, v22, v5, s1
	v_mov_b32_e32 v22, 0
	v_cndmask_b32_e64 v2, v17, v2, s1
	v_cndmask_b32_e64 v13, v38, v13, s1
	;; [unrolled: 1-line block ×3, first 2 shown]
	;;#ASMSTART
	v_pk_mul_f16 v5, v146, v5;

	;;#ASMEND
	;;#ASMSTART
	v_pk_mul_f16 v2, v145, v2;

	;;#ASMEND
	;; [unrolled: 4-line block ×4, first 2 shown]
	;;#ASMSTART
	v_pk_add_f16 v2, v5, v2;

	;;#ASMEND
	;;#ASMSTART
	v_pk_add_f16 v2, v2, v13;

	;;#ASMEND
	;; [unrolled: 4-line block ×3, first 2 shown]
	v_and_b32_e32 v4, 0xffff, v2
	v_lshrrev_b32_e32 v2, 16, v2
	;;#ASMSTART
	v_cvt_f32_f16 v162, v4;
	;;#ASMEND
	;;#ASMSTART
	v_cvt_f32_f16 v163, v2;
	;;#ASMEND
	flat_load_b64 v[13:14], v[11:12] offset:1024
	flat_load_b32 v4, v[26:27]
	v_mov_b32_e32 v5, 0
	s_mov_b32 s21, exec_lo
	s_waitcnt vmcnt(1) lgkmcnt(1)
	v_and_b32_e32 v2, 0xff, v13
	s_delay_alu instid0(VALU_DEP_1)
	v_cmpx_ne_u16_e32 0, v2
	s_cbranch_execz .LBB356_2354
; %bb.2347:                             ;   in Loop: Header=BB356_2089 Depth=1
	v_bfrev_b32_e32 v5, 1
	s_mov_b32 s22, exec_lo
	v_cmpx_ne_u16_e32 0x80, v2
	s_cbranch_execz .LBB356_2353
; %bb.2348:                             ;   in Loop: Header=BB356_2089 Depth=1
	v_and_b32_e32 v17, 0x7f, v13
	v_mov_b32_e32 v5, 0x7fc02000
	s_mov_b32 s23, exec_lo
	s_delay_alu instid0(VALU_DEP_2)
	v_cmpx_ne_u32_e32 0x7f, v17
	s_cbranch_execz .LBB356_2352
; %bb.2349:                             ;   in Loop: Header=BB356_2089 Depth=1
	v_lshrrev_b32_e32 v2, 3, v17
	v_cmp_gt_u32_e64 s8, 8, v17
	v_dual_mov_b32 v18, v14 :: v_dual_mov_b32 v17, v13
	s_delay_alu instid0(VALU_DEP_2)
	s_and_saveexec_b32 s24, s8
; %bb.2350:                             ;   in Loop: Header=BB356_2089 Depth=1
	v_and_b32_e32 v2, 7, v13
	s_delay_alu instid0(VALU_DEP_1) | instskip(NEXT) | instid1(VALU_DEP_1)
	v_clz_i32_u32_e32 v2, v2
	v_min_u32_e32 v2, 32, v2
	s_delay_alu instid0(VALU_DEP_1) | instskip(SKIP_1) | instid1(VALU_DEP_2)
	v_subrev_nc_u32_e32 v5, 28, v2
	v_sub_nc_u32_e32 v2, 29, v2
	v_lshlrev_b64 v[17:18], v5, v[13:14]
; %bb.2351:                             ;   in Loop: Header=BB356_2089 Depth=1
	s_or_b32 exec_lo, exec_lo, s24
	v_lshlrev_b32_e32 v5, 8, v13
	s_delay_alu instid0(VALU_DEP_3) | instskip(NEXT) | instid1(VALU_DEP_3)
	v_lshl_add_u32 v2, v2, 10, 0x2000
	v_lshlrev_b32_e32 v17, 7, v17
	s_delay_alu instid0(VALU_DEP_2) | instskip(NEXT) | instid1(VALU_DEP_1)
	v_and_or_b32 v2, 0x8000, v5, v2
	v_and_or_b32 v2, 0x380, v17, v2
	s_delay_alu instid0(VALU_DEP_1)
	v_cvt_f32_f16_e32 v5, v2
.LBB356_2352:                           ;   in Loop: Header=BB356_2089 Depth=1
	s_or_b32 exec_lo, exec_lo, s23
.LBB356_2353:                           ;   in Loop: Header=BB356_2089 Depth=1
	s_delay_alu instid0(SALU_CYCLE_1)
	s_or_b32 exec_lo, exec_lo, s22
.LBB356_2354:                           ;   in Loop: Header=BB356_2089 Depth=1
	s_delay_alu instid0(SALU_CYCLE_1) | instskip(SKIP_2) | instid1(VALU_DEP_1)
	s_or_b32 exec_lo, exec_lo, s21
	v_lshrrev_b16 v2, 8, v13
	s_mov_b32 s21, exec_lo
	v_cmpx_ne_u16_e32 0, v2
	s_cbranch_execz .LBB356_2362
; %bb.2355:                             ;   in Loop: Header=BB356_2089 Depth=1
	v_bfrev_b32_e32 v22, 1
	s_mov_b32 s22, exec_lo
	v_cmpx_ne_u16_e32 0x80, v2
	s_cbranch_execz .LBB356_2361
; %bb.2356:                             ;   in Loop: Header=BB356_2089 Depth=1
	v_and_b32_e32 v37, 0xffff, v2
	v_mov_b32_e32 v22, 0x7fc02000
	s_mov_b32 s23, exec_lo
	s_delay_alu instid0(VALU_DEP_2) | instskip(NEXT) | instid1(VALU_DEP_1)
	v_and_b32_e32 v17, 0x7f, v37
	v_cmpx_ne_u32_e32 0x7f, v17
	s_cbranch_execz .LBB356_2360
; %bb.2357:                             ;   in Loop: Header=BB356_2089 Depth=1
	v_and_b32_e32 v2, 7, v37
	v_lshrrev_b32_e32 v22, 3, v17
	v_cmp_gt_u32_e64 s8, 8, v17
	s_delay_alu instid0(VALU_DEP_3) | instskip(NEXT) | instid1(VALU_DEP_2)
	v_dual_mov_b32 v18, v3 :: v_dual_mov_b32 v17, v2
	s_and_saveexec_b32 s24, s8
; %bb.2358:                             ;   in Loop: Header=BB356_2089 Depth=1
	v_clz_i32_u32_e32 v17, v2
	s_delay_alu instid0(VALU_DEP_1) | instskip(NEXT) | instid1(VALU_DEP_1)
	v_min_u32_e32 v22, 32, v17
	v_subrev_nc_u32_e32 v17, 28, v22
	v_sub_nc_u32_e32 v22, 29, v22
	s_delay_alu instid0(VALU_DEP_2) | instskip(NEXT) | instid1(VALU_DEP_1)
	v_lshlrev_b64 v[17:18], v17, v[2:3]
	v_and_b32_e32 v17, 7, v17
; %bb.2359:                             ;   in Loop: Header=BB356_2089 Depth=1
	s_or_b32 exec_lo, exec_lo, s24
	v_lshlrev_b32_e32 v2, 8, v37
	v_lshl_add_u32 v18, v22, 10, 0x2000
	s_delay_alu instid0(VALU_DEP_1) | instskip(NEXT) | instid1(VALU_DEP_1)
	v_and_or_b32 v2, 0x8000, v2, v18
	v_lshl_or_b32 v2, v17, 7, v2
	s_delay_alu instid0(VALU_DEP_1)
	v_cvt_f32_f16_e32 v22, v2
.LBB356_2360:                           ;   in Loop: Header=BB356_2089 Depth=1
	s_or_b32 exec_lo, exec_lo, s23
.LBB356_2361:                           ;   in Loop: Header=BB356_2089 Depth=1
	s_delay_alu instid0(SALU_CYCLE_1)
	s_or_b32 exec_lo, exec_lo, s22
.LBB356_2362:                           ;   in Loop: Header=BB356_2089 Depth=1
	s_delay_alu instid0(SALU_CYCLE_1) | instskip(SKIP_3) | instid1(VALU_DEP_2)
	s_or_b32 exec_lo, exec_lo, s21
	v_lshrrev_b32_e32 v39, 16, v13
	v_mov_b32_e32 v38, 0
	s_mov_b32 s21, exec_lo
	v_dual_mov_b32 v37, 0 :: v_dual_and_b32 v2, 0xff, v39
	s_delay_alu instid0(VALU_DEP_1)
	v_cmpx_ne_u16_e32 0, v2
	s_cbranch_execz .LBB356_2370
; %bb.2363:                             ;   in Loop: Header=BB356_2089 Depth=1
	v_bfrev_b32_e32 v37, 1
	s_mov_b32 s22, exec_lo
	v_cmpx_ne_u16_e32 0x80, v2
	s_cbranch_execz .LBB356_2369
; %bb.2364:                             ;   in Loop: Header=BB356_2089 Depth=1
	v_bfe_u32 v17, v13, 16, 7
	v_mov_b32_e32 v37, 0x7fc02000
	s_mov_b32 s23, exec_lo
	s_delay_alu instid0(VALU_DEP_2)
	v_cmpx_ne_u32_e32 0x7f, v17
	s_cbranch_execz .LBB356_2368
; %bb.2365:                             ;   in Loop: Header=BB356_2089 Depth=1
	v_and_b32_e32 v2, 7, v39
	v_lshrrev_b32_e32 v37, 3, v17
	v_cmp_gt_u32_e64 s8, 8, v17
	s_delay_alu instid0(VALU_DEP_3) | instskip(NEXT) | instid1(VALU_DEP_2)
	v_dual_mov_b32 v18, v3 :: v_dual_mov_b32 v17, v2
	s_and_saveexec_b32 s24, s8
; %bb.2366:                             ;   in Loop: Header=BB356_2089 Depth=1
	v_clz_i32_u32_e32 v17, v2
	s_delay_alu instid0(VALU_DEP_1) | instskip(NEXT) | instid1(VALU_DEP_1)
	v_min_u32_e32 v37, 32, v17
	v_subrev_nc_u32_e32 v17, 28, v37
	v_sub_nc_u32_e32 v37, 29, v37
	s_delay_alu instid0(VALU_DEP_2) | instskip(NEXT) | instid1(VALU_DEP_1)
	v_lshlrev_b64 v[17:18], v17, v[2:3]
	v_and_b32_e32 v17, 7, v17
; %bb.2367:                             ;   in Loop: Header=BB356_2089 Depth=1
	s_or_b32 exec_lo, exec_lo, s24
	v_lshlrev_b32_e32 v2, 8, v39
	v_lshl_add_u32 v18, v37, 10, 0x2000
	s_delay_alu instid0(VALU_DEP_1) | instskip(NEXT) | instid1(VALU_DEP_1)
	v_and_or_b32 v2, 0x8000, v2, v18
	v_lshl_or_b32 v2, v17, 7, v2
	s_delay_alu instid0(VALU_DEP_1)
	v_cvt_f32_f16_e32 v37, v2
.LBB356_2368:                           ;   in Loop: Header=BB356_2089 Depth=1
	s_or_b32 exec_lo, exec_lo, s23
.LBB356_2369:                           ;   in Loop: Header=BB356_2089 Depth=1
	s_delay_alu instid0(SALU_CYCLE_1)
	s_or_b32 exec_lo, exec_lo, s22
.LBB356_2370:                           ;   in Loop: Header=BB356_2089 Depth=1
	s_delay_alu instid0(SALU_CYCLE_1) | instskip(NEXT) | instid1(SALU_CYCLE_1)
	s_or_b32 exec_lo, exec_lo, s21
	s_mov_b32 s21, exec_lo
	v_cmpx_lt_u32_e32 0xffffff, v13
	s_cbranch_execz .LBB356_2378
; %bb.2371:                             ;   in Loop: Header=BB356_2089 Depth=1
	v_lshrrev_b32_e32 v39, 24, v13
	v_bfrev_b32_e32 v38, 1
	s_mov_b32 s22, exec_lo
	s_delay_alu instid0(VALU_DEP_2)
	v_cmpx_ne_u32_e32 0x80, v39
	s_cbranch_execz .LBB356_2377
; %bb.2372:                             ;   in Loop: Header=BB356_2089 Depth=1
	v_and_b32_e32 v17, 0x7f, v39
	v_mov_b32_e32 v38, 0x7fc02000
	s_mov_b32 s23, exec_lo
	s_delay_alu instid0(VALU_DEP_2)
	v_cmpx_ne_u32_e32 0x7f, v17
	s_cbranch_execz .LBB356_2376
; %bb.2373:                             ;   in Loop: Header=BB356_2089 Depth=1
	v_and_b32_e32 v2, 7, v39
	v_lshrrev_b32_e32 v38, 3, v17
	v_cmp_gt_u32_e64 s8, 8, v17
	s_delay_alu instid0(VALU_DEP_3) | instskip(NEXT) | instid1(VALU_DEP_2)
	v_dual_mov_b32 v18, v3 :: v_dual_mov_b32 v17, v2
	s_and_saveexec_b32 s24, s8
; %bb.2374:                             ;   in Loop: Header=BB356_2089 Depth=1
	v_clz_i32_u32_e32 v17, v2
	s_delay_alu instid0(VALU_DEP_1) | instskip(NEXT) | instid1(VALU_DEP_1)
	v_min_u32_e32 v38, 32, v17
	v_subrev_nc_u32_e32 v17, 28, v38
	v_sub_nc_u32_e32 v38, 29, v38
	s_delay_alu instid0(VALU_DEP_2) | instskip(NEXT) | instid1(VALU_DEP_1)
	v_lshlrev_b64 v[17:18], v17, v[2:3]
	v_and_b32_e32 v17, 7, v17
; %bb.2375:                             ;   in Loop: Header=BB356_2089 Depth=1
	s_or_b32 exec_lo, exec_lo, s24
	v_lshlrev_b32_e32 v2, 8, v39
	v_lshl_add_u32 v18, v38, 10, 0x2000
	s_delay_alu instid0(VALU_DEP_1) | instskip(NEXT) | instid1(VALU_DEP_1)
	v_and_or_b32 v2, 0x8000, v2, v18
	v_lshl_or_b32 v2, v17, 7, v2
	s_delay_alu instid0(VALU_DEP_1)
	v_cvt_f32_f16_e32 v38, v2
.LBB356_2376:                           ;   in Loop: Header=BB356_2089 Depth=1
	s_or_b32 exec_lo, exec_lo, s23
.LBB356_2377:                           ;   in Loop: Header=BB356_2089 Depth=1
	s_delay_alu instid0(SALU_CYCLE_1)
	s_or_b32 exec_lo, exec_lo, s22
.LBB356_2378:                           ;   in Loop: Header=BB356_2089 Depth=1
	s_delay_alu instid0(SALU_CYCLE_1) | instskip(SKIP_3) | instid1(VALU_DEP_2)
	s_or_b32 exec_lo, exec_lo, s21
	v_dual_mov_b32 v2, v14 :: v_dual_and_b32 v17, 0xff, v14
	v_dual_mov_b32 v48, 0 :: v_dual_mov_b32 v39, 0
	s_mov_b32 s21, exec_lo
	v_cmpx_ne_u16_e32 0, v17
	s_cbranch_execz .LBB356_2386
; %bb.2379:                             ;   in Loop: Header=BB356_2089 Depth=1
	v_bfrev_b32_e32 v39, 1
	s_mov_b32 s22, exec_lo
	v_cmpx_ne_u16_e32 0x80, v17
	s_cbranch_execz .LBB356_2385
; %bb.2380:                             ;   in Loop: Header=BB356_2089 Depth=1
	v_and_b32_e32 v17, 0x7f, v14
	v_mov_b32_e32 v39, 0x7fc02000
	s_mov_b32 s23, exec_lo
	s_delay_alu instid0(VALU_DEP_2)
	v_cmpx_ne_u32_e32 0x7f, v17
	s_cbranch_execz .LBB356_2384
; %bb.2381:                             ;   in Loop: Header=BB356_2089 Depth=1
	v_lshrrev_b32_e32 v39, 3, v17
	v_cmp_gt_u32_e64 s8, 8, v17
	v_dual_mov_b32 v18, v3 :: v_dual_mov_b32 v17, v2
	s_delay_alu instid0(VALU_DEP_2)
	s_and_saveexec_b32 s24, s8
; %bb.2382:                             ;   in Loop: Header=BB356_2089 Depth=1
	v_and_b32_e32 v17, 7, v14
	s_delay_alu instid0(VALU_DEP_1) | instskip(NEXT) | instid1(VALU_DEP_1)
	v_clz_i32_u32_e32 v17, v17
	v_min_u32_e32 v39, 32, v17
	s_delay_alu instid0(VALU_DEP_1) | instskip(SKIP_1) | instid1(VALU_DEP_2)
	v_subrev_nc_u32_e32 v17, 28, v39
	v_sub_nc_u32_e32 v39, 29, v39
	v_lshlrev_b64 v[17:18], v17, v[2:3]
; %bb.2383:                             ;   in Loop: Header=BB356_2089 Depth=1
	s_or_b32 exec_lo, exec_lo, s24
	v_lshlrev_b32_e32 v18, 8, v14
	s_delay_alu instid0(VALU_DEP_3) | instskip(NEXT) | instid1(VALU_DEP_3)
	v_lshl_add_u32 v39, v39, 10, 0x2000
	v_lshlrev_b32_e32 v17, 7, v17
	s_delay_alu instid0(VALU_DEP_2) | instskip(NEXT) | instid1(VALU_DEP_1)
	v_and_or_b32 v18, 0x8000, v18, v39
	v_and_or_b32 v17, 0x380, v17, v18
	s_delay_alu instid0(VALU_DEP_1)
	v_cvt_f32_f16_e32 v39, v17
.LBB356_2384:                           ;   in Loop: Header=BB356_2089 Depth=1
	s_or_b32 exec_lo, exec_lo, s23
.LBB356_2385:                           ;   in Loop: Header=BB356_2089 Depth=1
	s_delay_alu instid0(SALU_CYCLE_1)
	s_or_b32 exec_lo, exec_lo, s22
.LBB356_2386:                           ;   in Loop: Header=BB356_2089 Depth=1
	s_delay_alu instid0(SALU_CYCLE_1) | instskip(SKIP_2) | instid1(VALU_DEP_1)
	s_or_b32 exec_lo, exec_lo, s21
	v_lshrrev_b16 v2, 8, v2
	s_mov_b32 s21, exec_lo
	v_cmpx_ne_u16_e32 0, v2
	s_cbranch_execz .LBB356_2394
; %bb.2387:                             ;   in Loop: Header=BB356_2089 Depth=1
	v_bfrev_b32_e32 v48, 1
	s_mov_b32 s22, exec_lo
	v_cmpx_ne_u16_e32 0x80, v2
	s_cbranch_execz .LBB356_2393
; %bb.2388:                             ;   in Loop: Header=BB356_2089 Depth=1
	v_and_b32_e32 v49, 0xffff, v2
	v_mov_b32_e32 v48, 0x7fc02000
	s_mov_b32 s23, exec_lo
	s_delay_alu instid0(VALU_DEP_2) | instskip(NEXT) | instid1(VALU_DEP_1)
	v_and_b32_e32 v17, 0x7f, v49
	v_cmpx_ne_u32_e32 0x7f, v17
	s_cbranch_execz .LBB356_2392
; %bb.2389:                             ;   in Loop: Header=BB356_2089 Depth=1
	v_and_b32_e32 v2, 7, v49
	v_lshrrev_b32_e32 v48, 3, v17
	v_cmp_gt_u32_e64 s8, 8, v17
	s_delay_alu instid0(VALU_DEP_3) | instskip(NEXT) | instid1(VALU_DEP_2)
	v_dual_mov_b32 v18, v3 :: v_dual_mov_b32 v17, v2
	s_and_saveexec_b32 s24, s8
; %bb.2390:                             ;   in Loop: Header=BB356_2089 Depth=1
	v_clz_i32_u32_e32 v17, v2
	s_delay_alu instid0(VALU_DEP_1) | instskip(NEXT) | instid1(VALU_DEP_1)
	v_min_u32_e32 v48, 32, v17
	v_subrev_nc_u32_e32 v17, 28, v48
	v_sub_nc_u32_e32 v48, 29, v48
	s_delay_alu instid0(VALU_DEP_2) | instskip(NEXT) | instid1(VALU_DEP_1)
	v_lshlrev_b64 v[17:18], v17, v[2:3]
	v_and_b32_e32 v17, 7, v17
; %bb.2391:                             ;   in Loop: Header=BB356_2089 Depth=1
	s_or_b32 exec_lo, exec_lo, s24
	v_lshlrev_b32_e32 v2, 8, v49
	v_lshl_add_u32 v18, v48, 10, 0x2000
	s_delay_alu instid0(VALU_DEP_1) | instskip(NEXT) | instid1(VALU_DEP_1)
	v_and_or_b32 v2, 0x8000, v2, v18
	v_lshl_or_b32 v2, v17, 7, v2
	s_delay_alu instid0(VALU_DEP_1)
	v_cvt_f32_f16_e32 v48, v2
.LBB356_2392:                           ;   in Loop: Header=BB356_2089 Depth=1
	s_or_b32 exec_lo, exec_lo, s23
.LBB356_2393:                           ;   in Loop: Header=BB356_2089 Depth=1
	s_delay_alu instid0(SALU_CYCLE_1)
	s_or_b32 exec_lo, exec_lo, s22
.LBB356_2394:                           ;   in Loop: Header=BB356_2089 Depth=1
	s_delay_alu instid0(SALU_CYCLE_1) | instskip(SKIP_3) | instid1(VALU_DEP_2)
	s_or_b32 exec_lo, exec_lo, s21
	v_lshrrev_b32_e32 v50, 16, v14
	v_mov_b32_e32 v17, 0
	s_mov_b32 s21, exec_lo
	v_dual_mov_b32 v49, 0 :: v_dual_and_b32 v2, 0xff, v50
	s_delay_alu instid0(VALU_DEP_1)
	v_cmpx_ne_u16_e32 0, v2
	s_cbranch_execz .LBB356_2402
; %bb.2395:                             ;   in Loop: Header=BB356_2089 Depth=1
	v_bfrev_b32_e32 v17, 1
	s_mov_b32 s22, exec_lo
	v_cmpx_ne_u16_e32 0x80, v2
	s_cbranch_execz .LBB356_2401
; %bb.2396:                             ;   in Loop: Header=BB356_2089 Depth=1
	v_bfe_u32 v18, v14, 16, 7
	v_mov_b32_e32 v17, 0x7fc02000
	s_mov_b32 s23, exec_lo
	s_delay_alu instid0(VALU_DEP_2)
	v_cmpx_ne_u32_e32 0x7f, v18
	s_cbranch_execz .LBB356_2400
; %bb.2397:                             ;   in Loop: Header=BB356_2089 Depth=1
	v_and_b32_e32 v2, 7, v50
	v_lshrrev_b32_e32 v51, 3, v18
	v_cmp_gt_u32_e64 s8, 8, v18
	s_delay_alu instid0(VALU_DEP_3) | instskip(NEXT) | instid1(VALU_DEP_2)
	v_dual_mov_b32 v18, v3 :: v_dual_mov_b32 v17, v2
	s_and_saveexec_b32 s24, s8
; %bb.2398:                             ;   in Loop: Header=BB356_2089 Depth=1
	v_clz_i32_u32_e32 v17, v2
	s_delay_alu instid0(VALU_DEP_1) | instskip(NEXT) | instid1(VALU_DEP_1)
	v_min_u32_e32 v51, 32, v17
	v_subrev_nc_u32_e32 v17, 28, v51
	v_sub_nc_u32_e32 v51, 29, v51
	s_delay_alu instid0(VALU_DEP_2) | instskip(NEXT) | instid1(VALU_DEP_1)
	v_lshlrev_b64 v[17:18], v17, v[2:3]
	v_and_b32_e32 v17, 7, v17
; %bb.2399:                             ;   in Loop: Header=BB356_2089 Depth=1
	s_or_b32 exec_lo, exec_lo, s24
	v_lshlrev_b32_e32 v2, 8, v50
	v_lshl_add_u32 v18, v51, 10, 0x2000
	s_delay_alu instid0(VALU_DEP_1) | instskip(NEXT) | instid1(VALU_DEP_1)
	v_and_or_b32 v2, 0x8000, v2, v18
	v_lshl_or_b32 v2, v17, 7, v2
	s_delay_alu instid0(VALU_DEP_1)
	v_cvt_f32_f16_e32 v17, v2
.LBB356_2400:                           ;   in Loop: Header=BB356_2089 Depth=1
	s_or_b32 exec_lo, exec_lo, s23
.LBB356_2401:                           ;   in Loop: Header=BB356_2089 Depth=1
	s_delay_alu instid0(SALU_CYCLE_1)
	s_or_b32 exec_lo, exec_lo, s22
.LBB356_2402:                           ;   in Loop: Header=BB356_2089 Depth=1
	s_delay_alu instid0(SALU_CYCLE_1) | instskip(NEXT) | instid1(SALU_CYCLE_1)
	s_or_b32 exec_lo, exec_lo, s21
	s_mov_b32 s21, exec_lo
	v_cmpx_lt_u64_e64 s[18:19], v[13:14]
	s_cbranch_execz .LBB356_2410
; %bb.2403:                             ;   in Loop: Header=BB356_2089 Depth=1
	v_lshrrev_b32_e32 v18, 24, v14
	v_bfrev_b32_e32 v49, 1
	s_mov_b32 s22, exec_lo
	s_delay_alu instid0(VALU_DEP_2)
	v_cmpx_ne_u32_e32 0x80, v18
	s_cbranch_execz .LBB356_2409
; %bb.2404:                             ;   in Loop: Header=BB356_2089 Depth=1
	v_and_b32_e32 v13, 0x7f, v18
	v_mov_b32_e32 v49, 0x7fc02000
	s_mov_b32 s23, exec_lo
	s_delay_alu instid0(VALU_DEP_2)
	v_cmpx_ne_u32_e32 0x7f, v13
	s_cbranch_execz .LBB356_2408
; %bb.2405:                             ;   in Loop: Header=BB356_2089 Depth=1
	v_and_b32_e32 v2, 7, v18
	v_lshrrev_b32_e32 v49, 3, v13
	v_cmp_gt_u32_e64 s8, 8, v13
	s_delay_alu instid0(VALU_DEP_3) | instskip(NEXT) | instid1(VALU_DEP_2)
	v_dual_mov_b32 v14, v3 :: v_dual_mov_b32 v13, v2
	s_and_saveexec_b32 s24, s8
; %bb.2406:                             ;   in Loop: Header=BB356_2089 Depth=1
	v_clz_i32_u32_e32 v13, v2
	s_delay_alu instid0(VALU_DEP_1) | instskip(NEXT) | instid1(VALU_DEP_1)
	v_min_u32_e32 v49, 32, v13
	v_subrev_nc_u32_e32 v13, 28, v49
	v_sub_nc_u32_e32 v49, 29, v49
	s_delay_alu instid0(VALU_DEP_2) | instskip(NEXT) | instid1(VALU_DEP_1)
	v_lshlrev_b64 v[13:14], v13, v[2:3]
	v_and_b32_e32 v13, 7, v13
; %bb.2407:                             ;   in Loop: Header=BB356_2089 Depth=1
	s_or_b32 exec_lo, exec_lo, s24
	v_lshlrev_b32_e32 v2, 8, v18
	v_lshl_add_u32 v14, v49, 10, 0x2000
	s_delay_alu instid0(VALU_DEP_1) | instskip(NEXT) | instid1(VALU_DEP_1)
	v_and_or_b32 v2, 0x8000, v2, v14
	v_lshl_or_b32 v2, v13, 7, v2
	s_delay_alu instid0(VALU_DEP_1)
	v_cvt_f32_f16_e32 v49, v2
.LBB356_2408:                           ;   in Loop: Header=BB356_2089 Depth=1
	s_or_b32 exec_lo, exec_lo, s23
.LBB356_2409:                           ;   in Loop: Header=BB356_2089 Depth=1
	s_delay_alu instid0(SALU_CYCLE_1)
	s_or_b32 exec_lo, exec_lo, s22
.LBB356_2410:                           ;   in Loop: Header=BB356_2089 Depth=1
	s_delay_alu instid0(SALU_CYCLE_1)
	s_or_b32 exec_lo, exec_lo, s21
	s_waitcnt vmcnt(0) lgkmcnt(0)
	v_fma_mixlo_f16 v2, v4, v38, 0
	v_fma_mixlo_f16 v13, v4, v37, 0
	;; [unrolled: 1-line block ×5, first 2 shown]
	v_lshlrev_b32_e32 v22, 16, v2
	v_fma_mixlo_f16 v37, v4, v39, 0
	v_and_b32_e32 v38, 0xffff, v13
	v_lshlrev_b32_e32 v39, 16, v14
	v_and_b32_e32 v48, 0xffff, v5
	v_fma_mixlo_f16 v49, v4, v49, 0
	v_fma_mixlo_f16 v4, v4, v17, 0
	v_cndmask_b32_e32 v5, 0, v5, vcc_lo
	v_cndmask_b32_e64 v14, 0, v14, s0
	v_cndmask_b32_e64 v13, 0, v13, s2
	;; [unrolled: 1-line block ×3, first 2 shown]
	v_lshlrev_b32_e32 v50, 16, v18
	v_and_b32_e32 v51, 0xffff, v37
	v_or_b32_e32 v17, v22, v38
	v_or_b32_e32 v22, v39, v48
	v_lshlrev_b32_e32 v39, 16, v49
	v_and_b32_e32 v48, 0xffff, v4
	v_cndmask_b32_e64 v37, 0, v37, s6
	v_cndmask_b32_e64 v18, 0, v18, s7
	;; [unrolled: 1-line block ×4, first 2 shown]
	v_perm_b32 v5, v14, v5, 0x5040100
	v_perm_b32 v2, v2, v13, 0x5040100
	v_or_b32_e32 v38, v50, v51
	v_or_b32_e32 v39, v39, v48
	v_perm_b32 v13, v18, v37, 0x5040100
	v_perm_b32 v4, v49, v4, 0x5040100
	v_cndmask_b32_e64 v5, v22, v5, s1
	v_mov_b32_e32 v22, 0
	v_cndmask_b32_e64 v2, v17, v2, s1
	v_cndmask_b32_e64 v13, v38, v13, s1
	;; [unrolled: 1-line block ×3, first 2 shown]
	;;#ASMSTART
	v_pk_mul_f16 v5, v146, v5;

	;;#ASMEND
	;;#ASMSTART
	v_pk_mul_f16 v2, v145, v2;

	;;#ASMEND
	;; [unrolled: 4-line block ×4, first 2 shown]
	;;#ASMSTART
	v_pk_add_f16 v2, v5, v2;

	;;#ASMEND
	;;#ASMSTART
	v_pk_add_f16 v2, v2, v13;

	;;#ASMEND
	;; [unrolled: 4-line block ×3, first 2 shown]
	v_and_b32_e32 v4, 0xffff, v2
	v_lshrrev_b32_e32 v2, 16, v2
	;;#ASMSTART
	v_cvt_f32_f16 v164, v4;
	;;#ASMEND
	;;#ASMSTART
	v_cvt_f32_f16 v165, v2;
	;;#ASMEND
	flat_load_b64 v[13:14], v[11:12] offset:1280
	flat_load_b32 v4, v[26:27]
	v_mov_b32_e32 v5, 0
	s_mov_b32 s21, exec_lo
	s_waitcnt vmcnt(1) lgkmcnt(1)
	v_and_b32_e32 v2, 0xff, v13
	s_delay_alu instid0(VALU_DEP_1)
	v_cmpx_ne_u16_e32 0, v2
	s_cbranch_execz .LBB356_2418
; %bb.2411:                             ;   in Loop: Header=BB356_2089 Depth=1
	v_bfrev_b32_e32 v5, 1
	s_mov_b32 s22, exec_lo
	v_cmpx_ne_u16_e32 0x80, v2
	s_cbranch_execz .LBB356_2417
; %bb.2412:                             ;   in Loop: Header=BB356_2089 Depth=1
	v_and_b32_e32 v17, 0x7f, v13
	v_mov_b32_e32 v5, 0x7fc02000
	s_mov_b32 s23, exec_lo
	s_delay_alu instid0(VALU_DEP_2)
	v_cmpx_ne_u32_e32 0x7f, v17
	s_cbranch_execz .LBB356_2416
; %bb.2413:                             ;   in Loop: Header=BB356_2089 Depth=1
	v_lshrrev_b32_e32 v2, 3, v17
	v_cmp_gt_u32_e64 s8, 8, v17
	v_dual_mov_b32 v18, v14 :: v_dual_mov_b32 v17, v13
	s_delay_alu instid0(VALU_DEP_2)
	s_and_saveexec_b32 s24, s8
; %bb.2414:                             ;   in Loop: Header=BB356_2089 Depth=1
	v_and_b32_e32 v2, 7, v13
	s_delay_alu instid0(VALU_DEP_1) | instskip(NEXT) | instid1(VALU_DEP_1)
	v_clz_i32_u32_e32 v2, v2
	v_min_u32_e32 v2, 32, v2
	s_delay_alu instid0(VALU_DEP_1) | instskip(SKIP_1) | instid1(VALU_DEP_2)
	v_subrev_nc_u32_e32 v5, 28, v2
	v_sub_nc_u32_e32 v2, 29, v2
	v_lshlrev_b64 v[17:18], v5, v[13:14]
; %bb.2415:                             ;   in Loop: Header=BB356_2089 Depth=1
	s_or_b32 exec_lo, exec_lo, s24
	v_lshlrev_b32_e32 v5, 8, v13
	s_delay_alu instid0(VALU_DEP_3) | instskip(NEXT) | instid1(VALU_DEP_3)
	v_lshl_add_u32 v2, v2, 10, 0x2000
	v_lshlrev_b32_e32 v17, 7, v17
	s_delay_alu instid0(VALU_DEP_2) | instskip(NEXT) | instid1(VALU_DEP_1)
	v_and_or_b32 v2, 0x8000, v5, v2
	v_and_or_b32 v2, 0x380, v17, v2
	s_delay_alu instid0(VALU_DEP_1)
	v_cvt_f32_f16_e32 v5, v2
.LBB356_2416:                           ;   in Loop: Header=BB356_2089 Depth=1
	s_or_b32 exec_lo, exec_lo, s23
.LBB356_2417:                           ;   in Loop: Header=BB356_2089 Depth=1
	s_delay_alu instid0(SALU_CYCLE_1)
	s_or_b32 exec_lo, exec_lo, s22
.LBB356_2418:                           ;   in Loop: Header=BB356_2089 Depth=1
	s_delay_alu instid0(SALU_CYCLE_1) | instskip(SKIP_2) | instid1(VALU_DEP_1)
	s_or_b32 exec_lo, exec_lo, s21
	v_lshrrev_b16 v2, 8, v13
	s_mov_b32 s21, exec_lo
	v_cmpx_ne_u16_e32 0, v2
	s_cbranch_execz .LBB356_2426
; %bb.2419:                             ;   in Loop: Header=BB356_2089 Depth=1
	v_bfrev_b32_e32 v22, 1
	s_mov_b32 s22, exec_lo
	v_cmpx_ne_u16_e32 0x80, v2
	s_cbranch_execz .LBB356_2425
; %bb.2420:                             ;   in Loop: Header=BB356_2089 Depth=1
	v_and_b32_e32 v37, 0xffff, v2
	v_mov_b32_e32 v22, 0x7fc02000
	s_mov_b32 s23, exec_lo
	s_delay_alu instid0(VALU_DEP_2) | instskip(NEXT) | instid1(VALU_DEP_1)
	v_and_b32_e32 v17, 0x7f, v37
	v_cmpx_ne_u32_e32 0x7f, v17
	s_cbranch_execz .LBB356_2424
; %bb.2421:                             ;   in Loop: Header=BB356_2089 Depth=1
	v_and_b32_e32 v2, 7, v37
	v_lshrrev_b32_e32 v22, 3, v17
	v_cmp_gt_u32_e64 s8, 8, v17
	s_delay_alu instid0(VALU_DEP_3) | instskip(NEXT) | instid1(VALU_DEP_2)
	v_dual_mov_b32 v18, v3 :: v_dual_mov_b32 v17, v2
	s_and_saveexec_b32 s24, s8
; %bb.2422:                             ;   in Loop: Header=BB356_2089 Depth=1
	v_clz_i32_u32_e32 v17, v2
	s_delay_alu instid0(VALU_DEP_1) | instskip(NEXT) | instid1(VALU_DEP_1)
	v_min_u32_e32 v22, 32, v17
	v_subrev_nc_u32_e32 v17, 28, v22
	v_sub_nc_u32_e32 v22, 29, v22
	s_delay_alu instid0(VALU_DEP_2) | instskip(NEXT) | instid1(VALU_DEP_1)
	v_lshlrev_b64 v[17:18], v17, v[2:3]
	v_and_b32_e32 v17, 7, v17
; %bb.2423:                             ;   in Loop: Header=BB356_2089 Depth=1
	s_or_b32 exec_lo, exec_lo, s24
	v_lshlrev_b32_e32 v2, 8, v37
	v_lshl_add_u32 v18, v22, 10, 0x2000
	s_delay_alu instid0(VALU_DEP_1) | instskip(NEXT) | instid1(VALU_DEP_1)
	v_and_or_b32 v2, 0x8000, v2, v18
	v_lshl_or_b32 v2, v17, 7, v2
	s_delay_alu instid0(VALU_DEP_1)
	v_cvt_f32_f16_e32 v22, v2
.LBB356_2424:                           ;   in Loop: Header=BB356_2089 Depth=1
	s_or_b32 exec_lo, exec_lo, s23
.LBB356_2425:                           ;   in Loop: Header=BB356_2089 Depth=1
	s_delay_alu instid0(SALU_CYCLE_1)
	s_or_b32 exec_lo, exec_lo, s22
.LBB356_2426:                           ;   in Loop: Header=BB356_2089 Depth=1
	s_delay_alu instid0(SALU_CYCLE_1) | instskip(SKIP_3) | instid1(VALU_DEP_2)
	s_or_b32 exec_lo, exec_lo, s21
	v_lshrrev_b32_e32 v39, 16, v13
	v_mov_b32_e32 v38, 0
	s_mov_b32 s21, exec_lo
	v_dual_mov_b32 v37, 0 :: v_dual_and_b32 v2, 0xff, v39
	s_delay_alu instid0(VALU_DEP_1)
	v_cmpx_ne_u16_e32 0, v2
	s_cbranch_execz .LBB356_2434
; %bb.2427:                             ;   in Loop: Header=BB356_2089 Depth=1
	v_bfrev_b32_e32 v37, 1
	s_mov_b32 s22, exec_lo
	v_cmpx_ne_u16_e32 0x80, v2
	s_cbranch_execz .LBB356_2433
; %bb.2428:                             ;   in Loop: Header=BB356_2089 Depth=1
	v_bfe_u32 v17, v13, 16, 7
	v_mov_b32_e32 v37, 0x7fc02000
	s_mov_b32 s23, exec_lo
	s_delay_alu instid0(VALU_DEP_2)
	v_cmpx_ne_u32_e32 0x7f, v17
	s_cbranch_execz .LBB356_2432
; %bb.2429:                             ;   in Loop: Header=BB356_2089 Depth=1
	v_and_b32_e32 v2, 7, v39
	v_lshrrev_b32_e32 v37, 3, v17
	v_cmp_gt_u32_e64 s8, 8, v17
	s_delay_alu instid0(VALU_DEP_3) | instskip(NEXT) | instid1(VALU_DEP_2)
	v_dual_mov_b32 v18, v3 :: v_dual_mov_b32 v17, v2
	s_and_saveexec_b32 s24, s8
; %bb.2430:                             ;   in Loop: Header=BB356_2089 Depth=1
	v_clz_i32_u32_e32 v17, v2
	s_delay_alu instid0(VALU_DEP_1) | instskip(NEXT) | instid1(VALU_DEP_1)
	v_min_u32_e32 v37, 32, v17
	v_subrev_nc_u32_e32 v17, 28, v37
	v_sub_nc_u32_e32 v37, 29, v37
	s_delay_alu instid0(VALU_DEP_2) | instskip(NEXT) | instid1(VALU_DEP_1)
	v_lshlrev_b64 v[17:18], v17, v[2:3]
	v_and_b32_e32 v17, 7, v17
; %bb.2431:                             ;   in Loop: Header=BB356_2089 Depth=1
	s_or_b32 exec_lo, exec_lo, s24
	v_lshlrev_b32_e32 v2, 8, v39
	v_lshl_add_u32 v18, v37, 10, 0x2000
	s_delay_alu instid0(VALU_DEP_1) | instskip(NEXT) | instid1(VALU_DEP_1)
	v_and_or_b32 v2, 0x8000, v2, v18
	v_lshl_or_b32 v2, v17, 7, v2
	s_delay_alu instid0(VALU_DEP_1)
	v_cvt_f32_f16_e32 v37, v2
.LBB356_2432:                           ;   in Loop: Header=BB356_2089 Depth=1
	s_or_b32 exec_lo, exec_lo, s23
.LBB356_2433:                           ;   in Loop: Header=BB356_2089 Depth=1
	s_delay_alu instid0(SALU_CYCLE_1)
	s_or_b32 exec_lo, exec_lo, s22
.LBB356_2434:                           ;   in Loop: Header=BB356_2089 Depth=1
	s_delay_alu instid0(SALU_CYCLE_1) | instskip(NEXT) | instid1(SALU_CYCLE_1)
	s_or_b32 exec_lo, exec_lo, s21
	s_mov_b32 s21, exec_lo
	v_cmpx_lt_u32_e32 0xffffff, v13
	s_cbranch_execz .LBB356_2442
; %bb.2435:                             ;   in Loop: Header=BB356_2089 Depth=1
	v_lshrrev_b32_e32 v39, 24, v13
	v_bfrev_b32_e32 v38, 1
	s_mov_b32 s22, exec_lo
	s_delay_alu instid0(VALU_DEP_2)
	v_cmpx_ne_u32_e32 0x80, v39
	s_cbranch_execz .LBB356_2441
; %bb.2436:                             ;   in Loop: Header=BB356_2089 Depth=1
	v_and_b32_e32 v17, 0x7f, v39
	v_mov_b32_e32 v38, 0x7fc02000
	s_mov_b32 s23, exec_lo
	s_delay_alu instid0(VALU_DEP_2)
	v_cmpx_ne_u32_e32 0x7f, v17
	s_cbranch_execz .LBB356_2440
; %bb.2437:                             ;   in Loop: Header=BB356_2089 Depth=1
	v_and_b32_e32 v2, 7, v39
	v_lshrrev_b32_e32 v38, 3, v17
	v_cmp_gt_u32_e64 s8, 8, v17
	s_delay_alu instid0(VALU_DEP_3) | instskip(NEXT) | instid1(VALU_DEP_2)
	v_dual_mov_b32 v18, v3 :: v_dual_mov_b32 v17, v2
	s_and_saveexec_b32 s24, s8
; %bb.2438:                             ;   in Loop: Header=BB356_2089 Depth=1
	v_clz_i32_u32_e32 v17, v2
	s_delay_alu instid0(VALU_DEP_1) | instskip(NEXT) | instid1(VALU_DEP_1)
	v_min_u32_e32 v38, 32, v17
	v_subrev_nc_u32_e32 v17, 28, v38
	v_sub_nc_u32_e32 v38, 29, v38
	s_delay_alu instid0(VALU_DEP_2) | instskip(NEXT) | instid1(VALU_DEP_1)
	v_lshlrev_b64 v[17:18], v17, v[2:3]
	v_and_b32_e32 v17, 7, v17
; %bb.2439:                             ;   in Loop: Header=BB356_2089 Depth=1
	s_or_b32 exec_lo, exec_lo, s24
	v_lshlrev_b32_e32 v2, 8, v39
	v_lshl_add_u32 v18, v38, 10, 0x2000
	s_delay_alu instid0(VALU_DEP_1) | instskip(NEXT) | instid1(VALU_DEP_1)
	v_and_or_b32 v2, 0x8000, v2, v18
	v_lshl_or_b32 v2, v17, 7, v2
	s_delay_alu instid0(VALU_DEP_1)
	v_cvt_f32_f16_e32 v38, v2
.LBB356_2440:                           ;   in Loop: Header=BB356_2089 Depth=1
	s_or_b32 exec_lo, exec_lo, s23
.LBB356_2441:                           ;   in Loop: Header=BB356_2089 Depth=1
	s_delay_alu instid0(SALU_CYCLE_1)
	s_or_b32 exec_lo, exec_lo, s22
.LBB356_2442:                           ;   in Loop: Header=BB356_2089 Depth=1
	s_delay_alu instid0(SALU_CYCLE_1) | instskip(SKIP_3) | instid1(VALU_DEP_2)
	s_or_b32 exec_lo, exec_lo, s21
	v_dual_mov_b32 v2, v14 :: v_dual_and_b32 v17, 0xff, v14
	v_dual_mov_b32 v48, 0 :: v_dual_mov_b32 v39, 0
	s_mov_b32 s21, exec_lo
	v_cmpx_ne_u16_e32 0, v17
	s_cbranch_execz .LBB356_2450
; %bb.2443:                             ;   in Loop: Header=BB356_2089 Depth=1
	v_bfrev_b32_e32 v39, 1
	s_mov_b32 s22, exec_lo
	v_cmpx_ne_u16_e32 0x80, v17
	s_cbranch_execz .LBB356_2449
; %bb.2444:                             ;   in Loop: Header=BB356_2089 Depth=1
	v_and_b32_e32 v17, 0x7f, v14
	v_mov_b32_e32 v39, 0x7fc02000
	s_mov_b32 s23, exec_lo
	s_delay_alu instid0(VALU_DEP_2)
	v_cmpx_ne_u32_e32 0x7f, v17
	s_cbranch_execz .LBB356_2448
; %bb.2445:                             ;   in Loop: Header=BB356_2089 Depth=1
	v_lshrrev_b32_e32 v39, 3, v17
	v_cmp_gt_u32_e64 s8, 8, v17
	v_dual_mov_b32 v18, v3 :: v_dual_mov_b32 v17, v2
	s_delay_alu instid0(VALU_DEP_2)
	s_and_saveexec_b32 s24, s8
; %bb.2446:                             ;   in Loop: Header=BB356_2089 Depth=1
	v_and_b32_e32 v17, 7, v14
	s_delay_alu instid0(VALU_DEP_1) | instskip(NEXT) | instid1(VALU_DEP_1)
	v_clz_i32_u32_e32 v17, v17
	v_min_u32_e32 v39, 32, v17
	s_delay_alu instid0(VALU_DEP_1) | instskip(SKIP_1) | instid1(VALU_DEP_2)
	v_subrev_nc_u32_e32 v17, 28, v39
	v_sub_nc_u32_e32 v39, 29, v39
	v_lshlrev_b64 v[17:18], v17, v[2:3]
; %bb.2447:                             ;   in Loop: Header=BB356_2089 Depth=1
	s_or_b32 exec_lo, exec_lo, s24
	v_lshlrev_b32_e32 v18, 8, v14
	s_delay_alu instid0(VALU_DEP_3) | instskip(NEXT) | instid1(VALU_DEP_3)
	v_lshl_add_u32 v39, v39, 10, 0x2000
	v_lshlrev_b32_e32 v17, 7, v17
	s_delay_alu instid0(VALU_DEP_2) | instskip(NEXT) | instid1(VALU_DEP_1)
	v_and_or_b32 v18, 0x8000, v18, v39
	v_and_or_b32 v17, 0x380, v17, v18
	s_delay_alu instid0(VALU_DEP_1)
	v_cvt_f32_f16_e32 v39, v17
.LBB356_2448:                           ;   in Loop: Header=BB356_2089 Depth=1
	s_or_b32 exec_lo, exec_lo, s23
.LBB356_2449:                           ;   in Loop: Header=BB356_2089 Depth=1
	s_delay_alu instid0(SALU_CYCLE_1)
	s_or_b32 exec_lo, exec_lo, s22
.LBB356_2450:                           ;   in Loop: Header=BB356_2089 Depth=1
	s_delay_alu instid0(SALU_CYCLE_1) | instskip(SKIP_2) | instid1(VALU_DEP_1)
	s_or_b32 exec_lo, exec_lo, s21
	v_lshrrev_b16 v2, 8, v2
	s_mov_b32 s21, exec_lo
	v_cmpx_ne_u16_e32 0, v2
	s_cbranch_execz .LBB356_2458
; %bb.2451:                             ;   in Loop: Header=BB356_2089 Depth=1
	v_bfrev_b32_e32 v48, 1
	s_mov_b32 s22, exec_lo
	v_cmpx_ne_u16_e32 0x80, v2
	s_cbranch_execz .LBB356_2457
; %bb.2452:                             ;   in Loop: Header=BB356_2089 Depth=1
	v_and_b32_e32 v49, 0xffff, v2
	v_mov_b32_e32 v48, 0x7fc02000
	s_mov_b32 s23, exec_lo
	s_delay_alu instid0(VALU_DEP_2) | instskip(NEXT) | instid1(VALU_DEP_1)
	v_and_b32_e32 v17, 0x7f, v49
	v_cmpx_ne_u32_e32 0x7f, v17
	s_cbranch_execz .LBB356_2456
; %bb.2453:                             ;   in Loop: Header=BB356_2089 Depth=1
	v_and_b32_e32 v2, 7, v49
	v_lshrrev_b32_e32 v48, 3, v17
	v_cmp_gt_u32_e64 s8, 8, v17
	s_delay_alu instid0(VALU_DEP_3) | instskip(NEXT) | instid1(VALU_DEP_2)
	v_dual_mov_b32 v18, v3 :: v_dual_mov_b32 v17, v2
	s_and_saveexec_b32 s24, s8
; %bb.2454:                             ;   in Loop: Header=BB356_2089 Depth=1
	v_clz_i32_u32_e32 v17, v2
	s_delay_alu instid0(VALU_DEP_1) | instskip(NEXT) | instid1(VALU_DEP_1)
	v_min_u32_e32 v48, 32, v17
	v_subrev_nc_u32_e32 v17, 28, v48
	v_sub_nc_u32_e32 v48, 29, v48
	s_delay_alu instid0(VALU_DEP_2) | instskip(NEXT) | instid1(VALU_DEP_1)
	v_lshlrev_b64 v[17:18], v17, v[2:3]
	v_and_b32_e32 v17, 7, v17
; %bb.2455:                             ;   in Loop: Header=BB356_2089 Depth=1
	s_or_b32 exec_lo, exec_lo, s24
	v_lshlrev_b32_e32 v2, 8, v49
	v_lshl_add_u32 v18, v48, 10, 0x2000
	s_delay_alu instid0(VALU_DEP_1) | instskip(NEXT) | instid1(VALU_DEP_1)
	v_and_or_b32 v2, 0x8000, v2, v18
	v_lshl_or_b32 v2, v17, 7, v2
	s_delay_alu instid0(VALU_DEP_1)
	v_cvt_f32_f16_e32 v48, v2
.LBB356_2456:                           ;   in Loop: Header=BB356_2089 Depth=1
	s_or_b32 exec_lo, exec_lo, s23
.LBB356_2457:                           ;   in Loop: Header=BB356_2089 Depth=1
	s_delay_alu instid0(SALU_CYCLE_1)
	s_or_b32 exec_lo, exec_lo, s22
.LBB356_2458:                           ;   in Loop: Header=BB356_2089 Depth=1
	s_delay_alu instid0(SALU_CYCLE_1) | instskip(SKIP_3) | instid1(VALU_DEP_2)
	s_or_b32 exec_lo, exec_lo, s21
	v_lshrrev_b32_e32 v50, 16, v14
	v_mov_b32_e32 v17, 0
	s_mov_b32 s21, exec_lo
	v_dual_mov_b32 v49, 0 :: v_dual_and_b32 v2, 0xff, v50
	s_delay_alu instid0(VALU_DEP_1)
	v_cmpx_ne_u16_e32 0, v2
	s_cbranch_execz .LBB356_2466
; %bb.2459:                             ;   in Loop: Header=BB356_2089 Depth=1
	v_bfrev_b32_e32 v17, 1
	s_mov_b32 s22, exec_lo
	v_cmpx_ne_u16_e32 0x80, v2
	s_cbranch_execz .LBB356_2465
; %bb.2460:                             ;   in Loop: Header=BB356_2089 Depth=1
	v_bfe_u32 v18, v14, 16, 7
	v_mov_b32_e32 v17, 0x7fc02000
	s_mov_b32 s23, exec_lo
	s_delay_alu instid0(VALU_DEP_2)
	v_cmpx_ne_u32_e32 0x7f, v18
	s_cbranch_execz .LBB356_2464
; %bb.2461:                             ;   in Loop: Header=BB356_2089 Depth=1
	v_and_b32_e32 v2, 7, v50
	v_lshrrev_b32_e32 v51, 3, v18
	v_cmp_gt_u32_e64 s8, 8, v18
	s_delay_alu instid0(VALU_DEP_3) | instskip(NEXT) | instid1(VALU_DEP_2)
	v_dual_mov_b32 v18, v3 :: v_dual_mov_b32 v17, v2
	s_and_saveexec_b32 s24, s8
; %bb.2462:                             ;   in Loop: Header=BB356_2089 Depth=1
	v_clz_i32_u32_e32 v17, v2
	s_delay_alu instid0(VALU_DEP_1) | instskip(NEXT) | instid1(VALU_DEP_1)
	v_min_u32_e32 v51, 32, v17
	v_subrev_nc_u32_e32 v17, 28, v51
	v_sub_nc_u32_e32 v51, 29, v51
	s_delay_alu instid0(VALU_DEP_2) | instskip(NEXT) | instid1(VALU_DEP_1)
	v_lshlrev_b64 v[17:18], v17, v[2:3]
	v_and_b32_e32 v17, 7, v17
; %bb.2463:                             ;   in Loop: Header=BB356_2089 Depth=1
	s_or_b32 exec_lo, exec_lo, s24
	v_lshlrev_b32_e32 v2, 8, v50
	v_lshl_add_u32 v18, v51, 10, 0x2000
	s_delay_alu instid0(VALU_DEP_1) | instskip(NEXT) | instid1(VALU_DEP_1)
	v_and_or_b32 v2, 0x8000, v2, v18
	v_lshl_or_b32 v2, v17, 7, v2
	s_delay_alu instid0(VALU_DEP_1)
	v_cvt_f32_f16_e32 v17, v2
.LBB356_2464:                           ;   in Loop: Header=BB356_2089 Depth=1
	s_or_b32 exec_lo, exec_lo, s23
.LBB356_2465:                           ;   in Loop: Header=BB356_2089 Depth=1
	s_delay_alu instid0(SALU_CYCLE_1)
	s_or_b32 exec_lo, exec_lo, s22
.LBB356_2466:                           ;   in Loop: Header=BB356_2089 Depth=1
	s_delay_alu instid0(SALU_CYCLE_1) | instskip(NEXT) | instid1(SALU_CYCLE_1)
	s_or_b32 exec_lo, exec_lo, s21
	s_mov_b32 s21, exec_lo
	v_cmpx_lt_u64_e64 s[18:19], v[13:14]
	s_cbranch_execz .LBB356_2474
; %bb.2467:                             ;   in Loop: Header=BB356_2089 Depth=1
	v_lshrrev_b32_e32 v18, 24, v14
	v_bfrev_b32_e32 v49, 1
	s_mov_b32 s22, exec_lo
	s_delay_alu instid0(VALU_DEP_2)
	v_cmpx_ne_u32_e32 0x80, v18
	s_cbranch_execz .LBB356_2473
; %bb.2468:                             ;   in Loop: Header=BB356_2089 Depth=1
	v_and_b32_e32 v13, 0x7f, v18
	v_mov_b32_e32 v49, 0x7fc02000
	s_mov_b32 s23, exec_lo
	s_delay_alu instid0(VALU_DEP_2)
	v_cmpx_ne_u32_e32 0x7f, v13
	s_cbranch_execz .LBB356_2472
; %bb.2469:                             ;   in Loop: Header=BB356_2089 Depth=1
	v_and_b32_e32 v2, 7, v18
	v_lshrrev_b32_e32 v49, 3, v13
	v_cmp_gt_u32_e64 s8, 8, v13
	s_delay_alu instid0(VALU_DEP_3) | instskip(NEXT) | instid1(VALU_DEP_2)
	v_dual_mov_b32 v14, v3 :: v_dual_mov_b32 v13, v2
	s_and_saveexec_b32 s24, s8
; %bb.2470:                             ;   in Loop: Header=BB356_2089 Depth=1
	v_clz_i32_u32_e32 v13, v2
	s_delay_alu instid0(VALU_DEP_1) | instskip(NEXT) | instid1(VALU_DEP_1)
	v_min_u32_e32 v49, 32, v13
	v_subrev_nc_u32_e32 v13, 28, v49
	v_sub_nc_u32_e32 v49, 29, v49
	s_delay_alu instid0(VALU_DEP_2) | instskip(NEXT) | instid1(VALU_DEP_1)
	v_lshlrev_b64 v[13:14], v13, v[2:3]
	v_and_b32_e32 v13, 7, v13
; %bb.2471:                             ;   in Loop: Header=BB356_2089 Depth=1
	s_or_b32 exec_lo, exec_lo, s24
	v_lshlrev_b32_e32 v2, 8, v18
	v_lshl_add_u32 v14, v49, 10, 0x2000
	s_delay_alu instid0(VALU_DEP_1) | instskip(NEXT) | instid1(VALU_DEP_1)
	v_and_or_b32 v2, 0x8000, v2, v14
	v_lshl_or_b32 v2, v13, 7, v2
	s_delay_alu instid0(VALU_DEP_1)
	v_cvt_f32_f16_e32 v49, v2
.LBB356_2472:                           ;   in Loop: Header=BB356_2089 Depth=1
	s_or_b32 exec_lo, exec_lo, s23
.LBB356_2473:                           ;   in Loop: Header=BB356_2089 Depth=1
	s_delay_alu instid0(SALU_CYCLE_1)
	s_or_b32 exec_lo, exec_lo, s22
.LBB356_2474:                           ;   in Loop: Header=BB356_2089 Depth=1
	s_delay_alu instid0(SALU_CYCLE_1)
	s_or_b32 exec_lo, exec_lo, s21
	s_waitcnt vmcnt(0) lgkmcnt(0)
	v_fma_mixlo_f16 v2, v4, v38, 0
	v_fma_mixlo_f16 v13, v4, v37, 0
	v_fma_mixlo_f16 v14, v4, v22, 0
	v_fma_mixlo_f16 v5, v4, v5, 0
	v_fma_mixlo_f16 v18, v4, v48, 0
	v_lshlrev_b32_e32 v22, 16, v2
	v_fma_mixlo_f16 v37, v4, v39, 0
	v_and_b32_e32 v38, 0xffff, v13
	v_lshlrev_b32_e32 v39, 16, v14
	v_and_b32_e32 v48, 0xffff, v5
	v_fma_mixlo_f16 v49, v4, v49, 0
	v_fma_mixlo_f16 v4, v4, v17, 0
	v_cndmask_b32_e32 v5, 0, v5, vcc_lo
	v_cndmask_b32_e64 v14, 0, v14, s0
	v_cndmask_b32_e64 v13, 0, v13, s2
	;; [unrolled: 1-line block ×3, first 2 shown]
	v_lshlrev_b32_e32 v50, 16, v18
	v_and_b32_e32 v51, 0xffff, v37
	v_or_b32_e32 v17, v22, v38
	v_or_b32_e32 v22, v39, v48
	v_lshlrev_b32_e32 v39, 16, v49
	v_and_b32_e32 v48, 0xffff, v4
	v_cndmask_b32_e64 v37, 0, v37, s6
	v_cndmask_b32_e64 v18, 0, v18, s7
	;; [unrolled: 1-line block ×4, first 2 shown]
	v_perm_b32 v5, v14, v5, 0x5040100
	v_perm_b32 v2, v2, v13, 0x5040100
	v_or_b32_e32 v38, v50, v51
	v_or_b32_e32 v39, v39, v48
	v_perm_b32 v13, v18, v37, 0x5040100
	v_perm_b32 v4, v49, v4, 0x5040100
	v_cndmask_b32_e64 v5, v22, v5, s1
	v_mov_b32_e32 v22, 0
	v_cndmask_b32_e64 v2, v17, v2, s1
	v_cndmask_b32_e64 v13, v38, v13, s1
	;; [unrolled: 1-line block ×3, first 2 shown]
	;;#ASMSTART
	v_pk_mul_f16 v5, v146, v5;

	;;#ASMEND
	;;#ASMSTART
	v_pk_mul_f16 v2, v145, v2;

	;;#ASMEND
	;;#ASMSTART
	v_pk_mul_f16 v13, v144, v13;

	;;#ASMEND
	;;#ASMSTART
	v_pk_mul_f16 v4, v149, v4;

	;;#ASMEND
	;;#ASMSTART
	v_pk_add_f16 v2, v5, v2;

	;;#ASMEND
	;;#ASMSTART
	v_pk_add_f16 v2, v2, v13;

	;;#ASMEND
	;; [unrolled: 4-line block ×3, first 2 shown]
	v_and_b32_e32 v4, 0xffff, v2
	v_lshrrev_b32_e32 v2, 16, v2
	;;#ASMSTART
	v_cvt_f32_f16 v166, v4;
	;;#ASMEND
	;;#ASMSTART
	v_cvt_f32_f16 v167, v2;
	;;#ASMEND
	flat_load_b64 v[13:14], v[11:12] offset:1536
	flat_load_b32 v4, v[26:27]
	v_mov_b32_e32 v5, 0
	s_mov_b32 s21, exec_lo
	s_waitcnt vmcnt(1) lgkmcnt(1)
	v_and_b32_e32 v2, 0xff, v13
	s_delay_alu instid0(VALU_DEP_1)
	v_cmpx_ne_u16_e32 0, v2
	s_cbranch_execz .LBB356_2482
; %bb.2475:                             ;   in Loop: Header=BB356_2089 Depth=1
	v_bfrev_b32_e32 v5, 1
	s_mov_b32 s22, exec_lo
	v_cmpx_ne_u16_e32 0x80, v2
	s_cbranch_execz .LBB356_2481
; %bb.2476:                             ;   in Loop: Header=BB356_2089 Depth=1
	v_and_b32_e32 v17, 0x7f, v13
	v_mov_b32_e32 v5, 0x7fc02000
	s_mov_b32 s23, exec_lo
	s_delay_alu instid0(VALU_DEP_2)
	v_cmpx_ne_u32_e32 0x7f, v17
	s_cbranch_execz .LBB356_2480
; %bb.2477:                             ;   in Loop: Header=BB356_2089 Depth=1
	v_lshrrev_b32_e32 v2, 3, v17
	v_cmp_gt_u32_e64 s8, 8, v17
	v_dual_mov_b32 v18, v14 :: v_dual_mov_b32 v17, v13
	s_delay_alu instid0(VALU_DEP_2)
	s_and_saveexec_b32 s24, s8
; %bb.2478:                             ;   in Loop: Header=BB356_2089 Depth=1
	v_and_b32_e32 v2, 7, v13
	s_delay_alu instid0(VALU_DEP_1) | instskip(NEXT) | instid1(VALU_DEP_1)
	v_clz_i32_u32_e32 v2, v2
	v_min_u32_e32 v2, 32, v2
	s_delay_alu instid0(VALU_DEP_1) | instskip(SKIP_1) | instid1(VALU_DEP_2)
	v_subrev_nc_u32_e32 v5, 28, v2
	v_sub_nc_u32_e32 v2, 29, v2
	v_lshlrev_b64 v[17:18], v5, v[13:14]
; %bb.2479:                             ;   in Loop: Header=BB356_2089 Depth=1
	s_or_b32 exec_lo, exec_lo, s24
	v_lshlrev_b32_e32 v5, 8, v13
	s_delay_alu instid0(VALU_DEP_3) | instskip(NEXT) | instid1(VALU_DEP_3)
	v_lshl_add_u32 v2, v2, 10, 0x2000
	v_lshlrev_b32_e32 v17, 7, v17
	s_delay_alu instid0(VALU_DEP_2) | instskip(NEXT) | instid1(VALU_DEP_1)
	v_and_or_b32 v2, 0x8000, v5, v2
	v_and_or_b32 v2, 0x380, v17, v2
	s_delay_alu instid0(VALU_DEP_1)
	v_cvt_f32_f16_e32 v5, v2
.LBB356_2480:                           ;   in Loop: Header=BB356_2089 Depth=1
	s_or_b32 exec_lo, exec_lo, s23
.LBB356_2481:                           ;   in Loop: Header=BB356_2089 Depth=1
	s_delay_alu instid0(SALU_CYCLE_1)
	s_or_b32 exec_lo, exec_lo, s22
.LBB356_2482:                           ;   in Loop: Header=BB356_2089 Depth=1
	s_delay_alu instid0(SALU_CYCLE_1) | instskip(SKIP_2) | instid1(VALU_DEP_1)
	s_or_b32 exec_lo, exec_lo, s21
	v_lshrrev_b16 v2, 8, v13
	s_mov_b32 s21, exec_lo
	v_cmpx_ne_u16_e32 0, v2
	s_cbranch_execz .LBB356_2490
; %bb.2483:                             ;   in Loop: Header=BB356_2089 Depth=1
	v_bfrev_b32_e32 v22, 1
	s_mov_b32 s22, exec_lo
	v_cmpx_ne_u16_e32 0x80, v2
	s_cbranch_execz .LBB356_2489
; %bb.2484:                             ;   in Loop: Header=BB356_2089 Depth=1
	v_and_b32_e32 v37, 0xffff, v2
	v_mov_b32_e32 v22, 0x7fc02000
	s_mov_b32 s23, exec_lo
	s_delay_alu instid0(VALU_DEP_2) | instskip(NEXT) | instid1(VALU_DEP_1)
	v_and_b32_e32 v17, 0x7f, v37
	v_cmpx_ne_u32_e32 0x7f, v17
	s_cbranch_execz .LBB356_2488
; %bb.2485:                             ;   in Loop: Header=BB356_2089 Depth=1
	v_and_b32_e32 v2, 7, v37
	v_lshrrev_b32_e32 v22, 3, v17
	v_cmp_gt_u32_e64 s8, 8, v17
	s_delay_alu instid0(VALU_DEP_3) | instskip(NEXT) | instid1(VALU_DEP_2)
	v_dual_mov_b32 v18, v3 :: v_dual_mov_b32 v17, v2
	s_and_saveexec_b32 s24, s8
; %bb.2486:                             ;   in Loop: Header=BB356_2089 Depth=1
	v_clz_i32_u32_e32 v17, v2
	s_delay_alu instid0(VALU_DEP_1) | instskip(NEXT) | instid1(VALU_DEP_1)
	v_min_u32_e32 v22, 32, v17
	v_subrev_nc_u32_e32 v17, 28, v22
	v_sub_nc_u32_e32 v22, 29, v22
	s_delay_alu instid0(VALU_DEP_2) | instskip(NEXT) | instid1(VALU_DEP_1)
	v_lshlrev_b64 v[17:18], v17, v[2:3]
	v_and_b32_e32 v17, 7, v17
; %bb.2487:                             ;   in Loop: Header=BB356_2089 Depth=1
	s_or_b32 exec_lo, exec_lo, s24
	v_lshlrev_b32_e32 v2, 8, v37
	v_lshl_add_u32 v18, v22, 10, 0x2000
	s_delay_alu instid0(VALU_DEP_1) | instskip(NEXT) | instid1(VALU_DEP_1)
	v_and_or_b32 v2, 0x8000, v2, v18
	v_lshl_or_b32 v2, v17, 7, v2
	s_delay_alu instid0(VALU_DEP_1)
	v_cvt_f32_f16_e32 v22, v2
.LBB356_2488:                           ;   in Loop: Header=BB356_2089 Depth=1
	s_or_b32 exec_lo, exec_lo, s23
.LBB356_2489:                           ;   in Loop: Header=BB356_2089 Depth=1
	s_delay_alu instid0(SALU_CYCLE_1)
	s_or_b32 exec_lo, exec_lo, s22
.LBB356_2490:                           ;   in Loop: Header=BB356_2089 Depth=1
	s_delay_alu instid0(SALU_CYCLE_1) | instskip(SKIP_3) | instid1(VALU_DEP_2)
	s_or_b32 exec_lo, exec_lo, s21
	v_lshrrev_b32_e32 v39, 16, v13
	v_mov_b32_e32 v38, 0
	s_mov_b32 s21, exec_lo
	v_dual_mov_b32 v37, 0 :: v_dual_and_b32 v2, 0xff, v39
	s_delay_alu instid0(VALU_DEP_1)
	v_cmpx_ne_u16_e32 0, v2
	s_cbranch_execz .LBB356_2498
; %bb.2491:                             ;   in Loop: Header=BB356_2089 Depth=1
	v_bfrev_b32_e32 v37, 1
	s_mov_b32 s22, exec_lo
	v_cmpx_ne_u16_e32 0x80, v2
	s_cbranch_execz .LBB356_2497
; %bb.2492:                             ;   in Loop: Header=BB356_2089 Depth=1
	v_bfe_u32 v17, v13, 16, 7
	v_mov_b32_e32 v37, 0x7fc02000
	s_mov_b32 s23, exec_lo
	s_delay_alu instid0(VALU_DEP_2)
	v_cmpx_ne_u32_e32 0x7f, v17
	s_cbranch_execz .LBB356_2496
; %bb.2493:                             ;   in Loop: Header=BB356_2089 Depth=1
	v_and_b32_e32 v2, 7, v39
	v_lshrrev_b32_e32 v37, 3, v17
	v_cmp_gt_u32_e64 s8, 8, v17
	s_delay_alu instid0(VALU_DEP_3) | instskip(NEXT) | instid1(VALU_DEP_2)
	v_dual_mov_b32 v18, v3 :: v_dual_mov_b32 v17, v2
	s_and_saveexec_b32 s24, s8
; %bb.2494:                             ;   in Loop: Header=BB356_2089 Depth=1
	v_clz_i32_u32_e32 v17, v2
	s_delay_alu instid0(VALU_DEP_1) | instskip(NEXT) | instid1(VALU_DEP_1)
	v_min_u32_e32 v37, 32, v17
	v_subrev_nc_u32_e32 v17, 28, v37
	v_sub_nc_u32_e32 v37, 29, v37
	s_delay_alu instid0(VALU_DEP_2) | instskip(NEXT) | instid1(VALU_DEP_1)
	v_lshlrev_b64 v[17:18], v17, v[2:3]
	v_and_b32_e32 v17, 7, v17
; %bb.2495:                             ;   in Loop: Header=BB356_2089 Depth=1
	s_or_b32 exec_lo, exec_lo, s24
	v_lshlrev_b32_e32 v2, 8, v39
	v_lshl_add_u32 v18, v37, 10, 0x2000
	s_delay_alu instid0(VALU_DEP_1) | instskip(NEXT) | instid1(VALU_DEP_1)
	v_and_or_b32 v2, 0x8000, v2, v18
	v_lshl_or_b32 v2, v17, 7, v2
	s_delay_alu instid0(VALU_DEP_1)
	v_cvt_f32_f16_e32 v37, v2
.LBB356_2496:                           ;   in Loop: Header=BB356_2089 Depth=1
	s_or_b32 exec_lo, exec_lo, s23
.LBB356_2497:                           ;   in Loop: Header=BB356_2089 Depth=1
	s_delay_alu instid0(SALU_CYCLE_1)
	s_or_b32 exec_lo, exec_lo, s22
.LBB356_2498:                           ;   in Loop: Header=BB356_2089 Depth=1
	s_delay_alu instid0(SALU_CYCLE_1) | instskip(NEXT) | instid1(SALU_CYCLE_1)
	s_or_b32 exec_lo, exec_lo, s21
	s_mov_b32 s21, exec_lo
	v_cmpx_lt_u32_e32 0xffffff, v13
	s_cbranch_execz .LBB356_2506
; %bb.2499:                             ;   in Loop: Header=BB356_2089 Depth=1
	v_lshrrev_b32_e32 v39, 24, v13
	v_bfrev_b32_e32 v38, 1
	s_mov_b32 s22, exec_lo
	s_delay_alu instid0(VALU_DEP_2)
	v_cmpx_ne_u32_e32 0x80, v39
	s_cbranch_execz .LBB356_2505
; %bb.2500:                             ;   in Loop: Header=BB356_2089 Depth=1
	v_and_b32_e32 v17, 0x7f, v39
	v_mov_b32_e32 v38, 0x7fc02000
	s_mov_b32 s23, exec_lo
	s_delay_alu instid0(VALU_DEP_2)
	v_cmpx_ne_u32_e32 0x7f, v17
	s_cbranch_execz .LBB356_2504
; %bb.2501:                             ;   in Loop: Header=BB356_2089 Depth=1
	v_and_b32_e32 v2, 7, v39
	v_lshrrev_b32_e32 v38, 3, v17
	v_cmp_gt_u32_e64 s8, 8, v17
	s_delay_alu instid0(VALU_DEP_3) | instskip(NEXT) | instid1(VALU_DEP_2)
	v_dual_mov_b32 v18, v3 :: v_dual_mov_b32 v17, v2
	s_and_saveexec_b32 s24, s8
; %bb.2502:                             ;   in Loop: Header=BB356_2089 Depth=1
	v_clz_i32_u32_e32 v17, v2
	s_delay_alu instid0(VALU_DEP_1) | instskip(NEXT) | instid1(VALU_DEP_1)
	v_min_u32_e32 v38, 32, v17
	v_subrev_nc_u32_e32 v17, 28, v38
	v_sub_nc_u32_e32 v38, 29, v38
	s_delay_alu instid0(VALU_DEP_2) | instskip(NEXT) | instid1(VALU_DEP_1)
	v_lshlrev_b64 v[17:18], v17, v[2:3]
	v_and_b32_e32 v17, 7, v17
; %bb.2503:                             ;   in Loop: Header=BB356_2089 Depth=1
	s_or_b32 exec_lo, exec_lo, s24
	v_lshlrev_b32_e32 v2, 8, v39
	v_lshl_add_u32 v18, v38, 10, 0x2000
	s_delay_alu instid0(VALU_DEP_1) | instskip(NEXT) | instid1(VALU_DEP_1)
	v_and_or_b32 v2, 0x8000, v2, v18
	v_lshl_or_b32 v2, v17, 7, v2
	s_delay_alu instid0(VALU_DEP_1)
	v_cvt_f32_f16_e32 v38, v2
.LBB356_2504:                           ;   in Loop: Header=BB356_2089 Depth=1
	s_or_b32 exec_lo, exec_lo, s23
.LBB356_2505:                           ;   in Loop: Header=BB356_2089 Depth=1
	s_delay_alu instid0(SALU_CYCLE_1)
	s_or_b32 exec_lo, exec_lo, s22
.LBB356_2506:                           ;   in Loop: Header=BB356_2089 Depth=1
	s_delay_alu instid0(SALU_CYCLE_1) | instskip(SKIP_3) | instid1(VALU_DEP_2)
	s_or_b32 exec_lo, exec_lo, s21
	v_dual_mov_b32 v2, v14 :: v_dual_and_b32 v17, 0xff, v14
	v_dual_mov_b32 v48, 0 :: v_dual_mov_b32 v39, 0
	s_mov_b32 s21, exec_lo
	v_cmpx_ne_u16_e32 0, v17
	s_cbranch_execz .LBB356_2514
; %bb.2507:                             ;   in Loop: Header=BB356_2089 Depth=1
	v_bfrev_b32_e32 v39, 1
	s_mov_b32 s22, exec_lo
	v_cmpx_ne_u16_e32 0x80, v17
	s_cbranch_execz .LBB356_2513
; %bb.2508:                             ;   in Loop: Header=BB356_2089 Depth=1
	v_and_b32_e32 v17, 0x7f, v14
	v_mov_b32_e32 v39, 0x7fc02000
	s_mov_b32 s23, exec_lo
	s_delay_alu instid0(VALU_DEP_2)
	v_cmpx_ne_u32_e32 0x7f, v17
	s_cbranch_execz .LBB356_2512
; %bb.2509:                             ;   in Loop: Header=BB356_2089 Depth=1
	v_lshrrev_b32_e32 v39, 3, v17
	v_cmp_gt_u32_e64 s8, 8, v17
	v_dual_mov_b32 v18, v3 :: v_dual_mov_b32 v17, v2
	s_delay_alu instid0(VALU_DEP_2)
	s_and_saveexec_b32 s24, s8
; %bb.2510:                             ;   in Loop: Header=BB356_2089 Depth=1
	v_and_b32_e32 v17, 7, v14
	s_delay_alu instid0(VALU_DEP_1) | instskip(NEXT) | instid1(VALU_DEP_1)
	v_clz_i32_u32_e32 v17, v17
	v_min_u32_e32 v39, 32, v17
	s_delay_alu instid0(VALU_DEP_1) | instskip(SKIP_1) | instid1(VALU_DEP_2)
	v_subrev_nc_u32_e32 v17, 28, v39
	v_sub_nc_u32_e32 v39, 29, v39
	v_lshlrev_b64 v[17:18], v17, v[2:3]
; %bb.2511:                             ;   in Loop: Header=BB356_2089 Depth=1
	s_or_b32 exec_lo, exec_lo, s24
	v_lshlrev_b32_e32 v18, 8, v14
	s_delay_alu instid0(VALU_DEP_3) | instskip(NEXT) | instid1(VALU_DEP_3)
	v_lshl_add_u32 v39, v39, 10, 0x2000
	v_lshlrev_b32_e32 v17, 7, v17
	s_delay_alu instid0(VALU_DEP_2) | instskip(NEXT) | instid1(VALU_DEP_1)
	v_and_or_b32 v18, 0x8000, v18, v39
	v_and_or_b32 v17, 0x380, v17, v18
	s_delay_alu instid0(VALU_DEP_1)
	v_cvt_f32_f16_e32 v39, v17
.LBB356_2512:                           ;   in Loop: Header=BB356_2089 Depth=1
	s_or_b32 exec_lo, exec_lo, s23
.LBB356_2513:                           ;   in Loop: Header=BB356_2089 Depth=1
	s_delay_alu instid0(SALU_CYCLE_1)
	s_or_b32 exec_lo, exec_lo, s22
.LBB356_2514:                           ;   in Loop: Header=BB356_2089 Depth=1
	s_delay_alu instid0(SALU_CYCLE_1) | instskip(SKIP_2) | instid1(VALU_DEP_1)
	s_or_b32 exec_lo, exec_lo, s21
	v_lshrrev_b16 v2, 8, v2
	s_mov_b32 s21, exec_lo
	v_cmpx_ne_u16_e32 0, v2
	s_cbranch_execz .LBB356_2522
; %bb.2515:                             ;   in Loop: Header=BB356_2089 Depth=1
	v_bfrev_b32_e32 v48, 1
	s_mov_b32 s22, exec_lo
	v_cmpx_ne_u16_e32 0x80, v2
	s_cbranch_execz .LBB356_2521
; %bb.2516:                             ;   in Loop: Header=BB356_2089 Depth=1
	v_and_b32_e32 v49, 0xffff, v2
	v_mov_b32_e32 v48, 0x7fc02000
	s_mov_b32 s23, exec_lo
	s_delay_alu instid0(VALU_DEP_2) | instskip(NEXT) | instid1(VALU_DEP_1)
	v_and_b32_e32 v17, 0x7f, v49
	v_cmpx_ne_u32_e32 0x7f, v17
	s_cbranch_execz .LBB356_2520
; %bb.2517:                             ;   in Loop: Header=BB356_2089 Depth=1
	v_and_b32_e32 v2, 7, v49
	v_lshrrev_b32_e32 v48, 3, v17
	v_cmp_gt_u32_e64 s8, 8, v17
	s_delay_alu instid0(VALU_DEP_3) | instskip(NEXT) | instid1(VALU_DEP_2)
	v_dual_mov_b32 v18, v3 :: v_dual_mov_b32 v17, v2
	s_and_saveexec_b32 s24, s8
; %bb.2518:                             ;   in Loop: Header=BB356_2089 Depth=1
	v_clz_i32_u32_e32 v17, v2
	s_delay_alu instid0(VALU_DEP_1) | instskip(NEXT) | instid1(VALU_DEP_1)
	v_min_u32_e32 v48, 32, v17
	v_subrev_nc_u32_e32 v17, 28, v48
	v_sub_nc_u32_e32 v48, 29, v48
	s_delay_alu instid0(VALU_DEP_2) | instskip(NEXT) | instid1(VALU_DEP_1)
	v_lshlrev_b64 v[17:18], v17, v[2:3]
	v_and_b32_e32 v17, 7, v17
; %bb.2519:                             ;   in Loop: Header=BB356_2089 Depth=1
	s_or_b32 exec_lo, exec_lo, s24
	v_lshlrev_b32_e32 v2, 8, v49
	v_lshl_add_u32 v18, v48, 10, 0x2000
	s_delay_alu instid0(VALU_DEP_1) | instskip(NEXT) | instid1(VALU_DEP_1)
	v_and_or_b32 v2, 0x8000, v2, v18
	v_lshl_or_b32 v2, v17, 7, v2
	s_delay_alu instid0(VALU_DEP_1)
	v_cvt_f32_f16_e32 v48, v2
.LBB356_2520:                           ;   in Loop: Header=BB356_2089 Depth=1
	s_or_b32 exec_lo, exec_lo, s23
.LBB356_2521:                           ;   in Loop: Header=BB356_2089 Depth=1
	s_delay_alu instid0(SALU_CYCLE_1)
	s_or_b32 exec_lo, exec_lo, s22
.LBB356_2522:                           ;   in Loop: Header=BB356_2089 Depth=1
	s_delay_alu instid0(SALU_CYCLE_1) | instskip(SKIP_3) | instid1(VALU_DEP_2)
	s_or_b32 exec_lo, exec_lo, s21
	v_lshrrev_b32_e32 v50, 16, v14
	v_mov_b32_e32 v17, 0
	s_mov_b32 s21, exec_lo
	v_dual_mov_b32 v49, 0 :: v_dual_and_b32 v2, 0xff, v50
	s_delay_alu instid0(VALU_DEP_1)
	v_cmpx_ne_u16_e32 0, v2
	s_cbranch_execz .LBB356_2530
; %bb.2523:                             ;   in Loop: Header=BB356_2089 Depth=1
	v_bfrev_b32_e32 v17, 1
	s_mov_b32 s22, exec_lo
	v_cmpx_ne_u16_e32 0x80, v2
	s_cbranch_execz .LBB356_2529
; %bb.2524:                             ;   in Loop: Header=BB356_2089 Depth=1
	v_bfe_u32 v18, v14, 16, 7
	v_mov_b32_e32 v17, 0x7fc02000
	s_mov_b32 s23, exec_lo
	s_delay_alu instid0(VALU_DEP_2)
	v_cmpx_ne_u32_e32 0x7f, v18
	s_cbranch_execz .LBB356_2528
; %bb.2525:                             ;   in Loop: Header=BB356_2089 Depth=1
	v_and_b32_e32 v2, 7, v50
	v_lshrrev_b32_e32 v51, 3, v18
	v_cmp_gt_u32_e64 s8, 8, v18
	s_delay_alu instid0(VALU_DEP_3) | instskip(NEXT) | instid1(VALU_DEP_2)
	v_dual_mov_b32 v18, v3 :: v_dual_mov_b32 v17, v2
	s_and_saveexec_b32 s24, s8
; %bb.2526:                             ;   in Loop: Header=BB356_2089 Depth=1
	v_clz_i32_u32_e32 v17, v2
	s_delay_alu instid0(VALU_DEP_1) | instskip(NEXT) | instid1(VALU_DEP_1)
	v_min_u32_e32 v51, 32, v17
	v_subrev_nc_u32_e32 v17, 28, v51
	v_sub_nc_u32_e32 v51, 29, v51
	s_delay_alu instid0(VALU_DEP_2) | instskip(NEXT) | instid1(VALU_DEP_1)
	v_lshlrev_b64 v[17:18], v17, v[2:3]
	v_and_b32_e32 v17, 7, v17
; %bb.2527:                             ;   in Loop: Header=BB356_2089 Depth=1
	s_or_b32 exec_lo, exec_lo, s24
	v_lshlrev_b32_e32 v2, 8, v50
	v_lshl_add_u32 v18, v51, 10, 0x2000
	s_delay_alu instid0(VALU_DEP_1) | instskip(NEXT) | instid1(VALU_DEP_1)
	v_and_or_b32 v2, 0x8000, v2, v18
	v_lshl_or_b32 v2, v17, 7, v2
	s_delay_alu instid0(VALU_DEP_1)
	v_cvt_f32_f16_e32 v17, v2
.LBB356_2528:                           ;   in Loop: Header=BB356_2089 Depth=1
	s_or_b32 exec_lo, exec_lo, s23
.LBB356_2529:                           ;   in Loop: Header=BB356_2089 Depth=1
	s_delay_alu instid0(SALU_CYCLE_1)
	s_or_b32 exec_lo, exec_lo, s22
.LBB356_2530:                           ;   in Loop: Header=BB356_2089 Depth=1
	s_delay_alu instid0(SALU_CYCLE_1) | instskip(NEXT) | instid1(SALU_CYCLE_1)
	s_or_b32 exec_lo, exec_lo, s21
	s_mov_b32 s21, exec_lo
	v_cmpx_lt_u64_e64 s[18:19], v[13:14]
	s_cbranch_execz .LBB356_2538
; %bb.2531:                             ;   in Loop: Header=BB356_2089 Depth=1
	v_lshrrev_b32_e32 v18, 24, v14
	v_bfrev_b32_e32 v49, 1
	s_mov_b32 s22, exec_lo
	s_delay_alu instid0(VALU_DEP_2)
	v_cmpx_ne_u32_e32 0x80, v18
	s_cbranch_execz .LBB356_2537
; %bb.2532:                             ;   in Loop: Header=BB356_2089 Depth=1
	v_and_b32_e32 v13, 0x7f, v18
	v_mov_b32_e32 v49, 0x7fc02000
	s_mov_b32 s23, exec_lo
	s_delay_alu instid0(VALU_DEP_2)
	v_cmpx_ne_u32_e32 0x7f, v13
	s_cbranch_execz .LBB356_2536
; %bb.2533:                             ;   in Loop: Header=BB356_2089 Depth=1
	v_and_b32_e32 v2, 7, v18
	v_lshrrev_b32_e32 v49, 3, v13
	v_cmp_gt_u32_e64 s8, 8, v13
	s_delay_alu instid0(VALU_DEP_3) | instskip(NEXT) | instid1(VALU_DEP_2)
	v_dual_mov_b32 v14, v3 :: v_dual_mov_b32 v13, v2
	s_and_saveexec_b32 s24, s8
; %bb.2534:                             ;   in Loop: Header=BB356_2089 Depth=1
	v_clz_i32_u32_e32 v13, v2
	s_delay_alu instid0(VALU_DEP_1) | instskip(NEXT) | instid1(VALU_DEP_1)
	v_min_u32_e32 v49, 32, v13
	v_subrev_nc_u32_e32 v13, 28, v49
	v_sub_nc_u32_e32 v49, 29, v49
	s_delay_alu instid0(VALU_DEP_2) | instskip(NEXT) | instid1(VALU_DEP_1)
	v_lshlrev_b64 v[13:14], v13, v[2:3]
	v_and_b32_e32 v13, 7, v13
; %bb.2535:                             ;   in Loop: Header=BB356_2089 Depth=1
	s_or_b32 exec_lo, exec_lo, s24
	v_lshlrev_b32_e32 v2, 8, v18
	v_lshl_add_u32 v14, v49, 10, 0x2000
	s_delay_alu instid0(VALU_DEP_1) | instskip(NEXT) | instid1(VALU_DEP_1)
	v_and_or_b32 v2, 0x8000, v2, v14
	v_lshl_or_b32 v2, v13, 7, v2
	s_delay_alu instid0(VALU_DEP_1)
	v_cvt_f32_f16_e32 v49, v2
.LBB356_2536:                           ;   in Loop: Header=BB356_2089 Depth=1
	s_or_b32 exec_lo, exec_lo, s23
.LBB356_2537:                           ;   in Loop: Header=BB356_2089 Depth=1
	s_delay_alu instid0(SALU_CYCLE_1)
	s_or_b32 exec_lo, exec_lo, s22
.LBB356_2538:                           ;   in Loop: Header=BB356_2089 Depth=1
	s_delay_alu instid0(SALU_CYCLE_1)
	s_or_b32 exec_lo, exec_lo, s21
	s_waitcnt vmcnt(0) lgkmcnt(0)
	v_fma_mixlo_f16 v2, v4, v38, 0
	v_fma_mixlo_f16 v13, v4, v37, 0
	;; [unrolled: 1-line block ×5, first 2 shown]
	v_lshlrev_b32_e32 v22, 16, v2
	v_fma_mixlo_f16 v37, v4, v39, 0
	v_and_b32_e32 v38, 0xffff, v13
	v_lshlrev_b32_e32 v39, 16, v14
	v_and_b32_e32 v48, 0xffff, v5
	v_fma_mixlo_f16 v49, v4, v49, 0
	v_fma_mixlo_f16 v4, v4, v17, 0
	v_cndmask_b32_e32 v5, 0, v5, vcc_lo
	v_cndmask_b32_e64 v14, 0, v14, s0
	v_cndmask_b32_e64 v13, 0, v13, s2
	;; [unrolled: 1-line block ×3, first 2 shown]
	v_lshlrev_b32_e32 v50, 16, v18
	v_and_b32_e32 v51, 0xffff, v37
	v_or_b32_e32 v17, v22, v38
	v_or_b32_e32 v22, v39, v48
	v_lshlrev_b32_e32 v39, 16, v49
	v_and_b32_e32 v48, 0xffff, v4
	v_cndmask_b32_e64 v37, 0, v37, s6
	v_cndmask_b32_e64 v18, 0, v18, s7
	;; [unrolled: 1-line block ×4, first 2 shown]
	v_perm_b32 v5, v14, v5, 0x5040100
	v_perm_b32 v2, v2, v13, 0x5040100
	v_or_b32_e32 v38, v50, v51
	v_or_b32_e32 v39, v39, v48
	v_perm_b32 v13, v18, v37, 0x5040100
	v_perm_b32 v4, v49, v4, 0x5040100
	v_cndmask_b32_e64 v5, v22, v5, s1
	v_mov_b32_e32 v22, 0
	v_cndmask_b32_e64 v2, v17, v2, s1
	v_cndmask_b32_e64 v13, v38, v13, s1
	v_cndmask_b32_e64 v4, v39, v4, s1
	;;#ASMSTART
	v_pk_mul_f16 v5, v146, v5;

	;;#ASMEND
	;;#ASMSTART
	v_pk_mul_f16 v2, v145, v2;

	;;#ASMEND
	;; [unrolled: 4-line block ×4, first 2 shown]
	;;#ASMSTART
	v_pk_add_f16 v2, v5, v2;

	;;#ASMEND
	;;#ASMSTART
	v_pk_add_f16 v2, v2, v13;

	;;#ASMEND
	;; [unrolled: 4-line block ×3, first 2 shown]
	v_and_b32_e32 v4, 0xffff, v2
	v_lshrrev_b32_e32 v2, 16, v2
	;;#ASMSTART
	v_cvt_f32_f16 v176, v4;
	;;#ASMEND
	;;#ASMSTART
	v_cvt_f32_f16 v177, v2;
	;;#ASMEND
	flat_load_b64 v[13:14], v[11:12] offset:1792
	flat_load_b32 v4, v[26:27]
	v_mov_b32_e32 v5, 0
	s_mov_b32 s21, exec_lo
	s_waitcnt vmcnt(1) lgkmcnt(1)
	v_and_b32_e32 v2, 0xff, v13
	s_delay_alu instid0(VALU_DEP_1)
	v_cmpx_ne_u16_e32 0, v2
	s_cbranch_execz .LBB356_2546
; %bb.2539:                             ;   in Loop: Header=BB356_2089 Depth=1
	v_bfrev_b32_e32 v5, 1
	s_mov_b32 s22, exec_lo
	v_cmpx_ne_u16_e32 0x80, v2
	s_cbranch_execz .LBB356_2545
; %bb.2540:                             ;   in Loop: Header=BB356_2089 Depth=1
	v_and_b32_e32 v17, 0x7f, v13
	v_mov_b32_e32 v5, 0x7fc02000
	s_mov_b32 s23, exec_lo
	s_delay_alu instid0(VALU_DEP_2)
	v_cmpx_ne_u32_e32 0x7f, v17
	s_cbranch_execz .LBB356_2544
; %bb.2541:                             ;   in Loop: Header=BB356_2089 Depth=1
	v_lshrrev_b32_e32 v2, 3, v17
	v_cmp_gt_u32_e64 s8, 8, v17
	v_dual_mov_b32 v18, v14 :: v_dual_mov_b32 v17, v13
	s_delay_alu instid0(VALU_DEP_2)
	s_and_saveexec_b32 s24, s8
; %bb.2542:                             ;   in Loop: Header=BB356_2089 Depth=1
	v_and_b32_e32 v2, 7, v13
	s_delay_alu instid0(VALU_DEP_1) | instskip(NEXT) | instid1(VALU_DEP_1)
	v_clz_i32_u32_e32 v2, v2
	v_min_u32_e32 v2, 32, v2
	s_delay_alu instid0(VALU_DEP_1) | instskip(SKIP_1) | instid1(VALU_DEP_2)
	v_subrev_nc_u32_e32 v5, 28, v2
	v_sub_nc_u32_e32 v2, 29, v2
	v_lshlrev_b64 v[17:18], v5, v[13:14]
; %bb.2543:                             ;   in Loop: Header=BB356_2089 Depth=1
	s_or_b32 exec_lo, exec_lo, s24
	v_lshlrev_b32_e32 v5, 8, v13
	s_delay_alu instid0(VALU_DEP_3) | instskip(NEXT) | instid1(VALU_DEP_3)
	v_lshl_add_u32 v2, v2, 10, 0x2000
	v_lshlrev_b32_e32 v17, 7, v17
	s_delay_alu instid0(VALU_DEP_2) | instskip(NEXT) | instid1(VALU_DEP_1)
	v_and_or_b32 v2, 0x8000, v5, v2
	v_and_or_b32 v2, 0x380, v17, v2
	s_delay_alu instid0(VALU_DEP_1)
	v_cvt_f32_f16_e32 v5, v2
.LBB356_2544:                           ;   in Loop: Header=BB356_2089 Depth=1
	s_or_b32 exec_lo, exec_lo, s23
.LBB356_2545:                           ;   in Loop: Header=BB356_2089 Depth=1
	s_delay_alu instid0(SALU_CYCLE_1)
	s_or_b32 exec_lo, exec_lo, s22
.LBB356_2546:                           ;   in Loop: Header=BB356_2089 Depth=1
	s_delay_alu instid0(SALU_CYCLE_1) | instskip(SKIP_2) | instid1(VALU_DEP_1)
	s_or_b32 exec_lo, exec_lo, s21
	v_lshrrev_b16 v2, 8, v13
	s_mov_b32 s21, exec_lo
	v_cmpx_ne_u16_e32 0, v2
	s_cbranch_execz .LBB356_2554
; %bb.2547:                             ;   in Loop: Header=BB356_2089 Depth=1
	v_bfrev_b32_e32 v22, 1
	s_mov_b32 s22, exec_lo
	v_cmpx_ne_u16_e32 0x80, v2
	s_cbranch_execz .LBB356_2553
; %bb.2548:                             ;   in Loop: Header=BB356_2089 Depth=1
	v_and_b32_e32 v37, 0xffff, v2
	v_mov_b32_e32 v22, 0x7fc02000
	s_mov_b32 s23, exec_lo
	s_delay_alu instid0(VALU_DEP_2) | instskip(NEXT) | instid1(VALU_DEP_1)
	v_and_b32_e32 v17, 0x7f, v37
	v_cmpx_ne_u32_e32 0x7f, v17
	s_cbranch_execz .LBB356_2552
; %bb.2549:                             ;   in Loop: Header=BB356_2089 Depth=1
	v_and_b32_e32 v2, 7, v37
	v_lshrrev_b32_e32 v22, 3, v17
	v_cmp_gt_u32_e64 s8, 8, v17
	s_delay_alu instid0(VALU_DEP_3) | instskip(NEXT) | instid1(VALU_DEP_2)
	v_dual_mov_b32 v18, v3 :: v_dual_mov_b32 v17, v2
	s_and_saveexec_b32 s24, s8
; %bb.2550:                             ;   in Loop: Header=BB356_2089 Depth=1
	v_clz_i32_u32_e32 v17, v2
	s_delay_alu instid0(VALU_DEP_1) | instskip(NEXT) | instid1(VALU_DEP_1)
	v_min_u32_e32 v22, 32, v17
	v_subrev_nc_u32_e32 v17, 28, v22
	v_sub_nc_u32_e32 v22, 29, v22
	s_delay_alu instid0(VALU_DEP_2) | instskip(NEXT) | instid1(VALU_DEP_1)
	v_lshlrev_b64 v[17:18], v17, v[2:3]
	v_and_b32_e32 v17, 7, v17
; %bb.2551:                             ;   in Loop: Header=BB356_2089 Depth=1
	s_or_b32 exec_lo, exec_lo, s24
	v_lshlrev_b32_e32 v2, 8, v37
	v_lshl_add_u32 v18, v22, 10, 0x2000
	s_delay_alu instid0(VALU_DEP_1) | instskip(NEXT) | instid1(VALU_DEP_1)
	v_and_or_b32 v2, 0x8000, v2, v18
	v_lshl_or_b32 v2, v17, 7, v2
	s_delay_alu instid0(VALU_DEP_1)
	v_cvt_f32_f16_e32 v22, v2
.LBB356_2552:                           ;   in Loop: Header=BB356_2089 Depth=1
	s_or_b32 exec_lo, exec_lo, s23
.LBB356_2553:                           ;   in Loop: Header=BB356_2089 Depth=1
	s_delay_alu instid0(SALU_CYCLE_1)
	s_or_b32 exec_lo, exec_lo, s22
.LBB356_2554:                           ;   in Loop: Header=BB356_2089 Depth=1
	s_delay_alu instid0(SALU_CYCLE_1) | instskip(SKIP_3) | instid1(VALU_DEP_2)
	s_or_b32 exec_lo, exec_lo, s21
	v_lshrrev_b32_e32 v39, 16, v13
	v_mov_b32_e32 v38, 0
	s_mov_b32 s21, exec_lo
	v_dual_mov_b32 v37, 0 :: v_dual_and_b32 v2, 0xff, v39
	s_delay_alu instid0(VALU_DEP_1)
	v_cmpx_ne_u16_e32 0, v2
	s_cbranch_execz .LBB356_2562
; %bb.2555:                             ;   in Loop: Header=BB356_2089 Depth=1
	v_bfrev_b32_e32 v37, 1
	s_mov_b32 s22, exec_lo
	v_cmpx_ne_u16_e32 0x80, v2
	s_cbranch_execz .LBB356_2561
; %bb.2556:                             ;   in Loop: Header=BB356_2089 Depth=1
	v_bfe_u32 v17, v13, 16, 7
	v_mov_b32_e32 v37, 0x7fc02000
	s_mov_b32 s23, exec_lo
	s_delay_alu instid0(VALU_DEP_2)
	v_cmpx_ne_u32_e32 0x7f, v17
	s_cbranch_execz .LBB356_2560
; %bb.2557:                             ;   in Loop: Header=BB356_2089 Depth=1
	v_and_b32_e32 v2, 7, v39
	v_lshrrev_b32_e32 v37, 3, v17
	v_cmp_gt_u32_e64 s8, 8, v17
	s_delay_alu instid0(VALU_DEP_3) | instskip(NEXT) | instid1(VALU_DEP_2)
	v_dual_mov_b32 v18, v3 :: v_dual_mov_b32 v17, v2
	s_and_saveexec_b32 s24, s8
; %bb.2558:                             ;   in Loop: Header=BB356_2089 Depth=1
	v_clz_i32_u32_e32 v17, v2
	s_delay_alu instid0(VALU_DEP_1) | instskip(NEXT) | instid1(VALU_DEP_1)
	v_min_u32_e32 v37, 32, v17
	v_subrev_nc_u32_e32 v17, 28, v37
	v_sub_nc_u32_e32 v37, 29, v37
	s_delay_alu instid0(VALU_DEP_2) | instskip(NEXT) | instid1(VALU_DEP_1)
	v_lshlrev_b64 v[17:18], v17, v[2:3]
	v_and_b32_e32 v17, 7, v17
; %bb.2559:                             ;   in Loop: Header=BB356_2089 Depth=1
	s_or_b32 exec_lo, exec_lo, s24
	v_lshlrev_b32_e32 v2, 8, v39
	v_lshl_add_u32 v18, v37, 10, 0x2000
	s_delay_alu instid0(VALU_DEP_1) | instskip(NEXT) | instid1(VALU_DEP_1)
	v_and_or_b32 v2, 0x8000, v2, v18
	v_lshl_or_b32 v2, v17, 7, v2
	s_delay_alu instid0(VALU_DEP_1)
	v_cvt_f32_f16_e32 v37, v2
.LBB356_2560:                           ;   in Loop: Header=BB356_2089 Depth=1
	s_or_b32 exec_lo, exec_lo, s23
.LBB356_2561:                           ;   in Loop: Header=BB356_2089 Depth=1
	s_delay_alu instid0(SALU_CYCLE_1)
	s_or_b32 exec_lo, exec_lo, s22
.LBB356_2562:                           ;   in Loop: Header=BB356_2089 Depth=1
	s_delay_alu instid0(SALU_CYCLE_1) | instskip(NEXT) | instid1(SALU_CYCLE_1)
	s_or_b32 exec_lo, exec_lo, s21
	s_mov_b32 s21, exec_lo
	v_cmpx_lt_u32_e32 0xffffff, v13
	s_cbranch_execz .LBB356_2570
; %bb.2563:                             ;   in Loop: Header=BB356_2089 Depth=1
	v_lshrrev_b32_e32 v39, 24, v13
	v_bfrev_b32_e32 v38, 1
	s_mov_b32 s22, exec_lo
	s_delay_alu instid0(VALU_DEP_2)
	v_cmpx_ne_u32_e32 0x80, v39
	s_cbranch_execz .LBB356_2569
; %bb.2564:                             ;   in Loop: Header=BB356_2089 Depth=1
	v_and_b32_e32 v17, 0x7f, v39
	v_mov_b32_e32 v38, 0x7fc02000
	s_mov_b32 s23, exec_lo
	s_delay_alu instid0(VALU_DEP_2)
	v_cmpx_ne_u32_e32 0x7f, v17
	s_cbranch_execz .LBB356_2568
; %bb.2565:                             ;   in Loop: Header=BB356_2089 Depth=1
	v_and_b32_e32 v2, 7, v39
	v_lshrrev_b32_e32 v38, 3, v17
	v_cmp_gt_u32_e64 s8, 8, v17
	s_delay_alu instid0(VALU_DEP_3) | instskip(NEXT) | instid1(VALU_DEP_2)
	v_dual_mov_b32 v18, v3 :: v_dual_mov_b32 v17, v2
	s_and_saveexec_b32 s24, s8
; %bb.2566:                             ;   in Loop: Header=BB356_2089 Depth=1
	v_clz_i32_u32_e32 v17, v2
	s_delay_alu instid0(VALU_DEP_1) | instskip(NEXT) | instid1(VALU_DEP_1)
	v_min_u32_e32 v38, 32, v17
	v_subrev_nc_u32_e32 v17, 28, v38
	v_sub_nc_u32_e32 v38, 29, v38
	s_delay_alu instid0(VALU_DEP_2) | instskip(NEXT) | instid1(VALU_DEP_1)
	v_lshlrev_b64 v[17:18], v17, v[2:3]
	v_and_b32_e32 v17, 7, v17
; %bb.2567:                             ;   in Loop: Header=BB356_2089 Depth=1
	s_or_b32 exec_lo, exec_lo, s24
	v_lshlrev_b32_e32 v2, 8, v39
	v_lshl_add_u32 v18, v38, 10, 0x2000
	s_delay_alu instid0(VALU_DEP_1) | instskip(NEXT) | instid1(VALU_DEP_1)
	v_and_or_b32 v2, 0x8000, v2, v18
	v_lshl_or_b32 v2, v17, 7, v2
	s_delay_alu instid0(VALU_DEP_1)
	v_cvt_f32_f16_e32 v38, v2
.LBB356_2568:                           ;   in Loop: Header=BB356_2089 Depth=1
	s_or_b32 exec_lo, exec_lo, s23
.LBB356_2569:                           ;   in Loop: Header=BB356_2089 Depth=1
	s_delay_alu instid0(SALU_CYCLE_1)
	s_or_b32 exec_lo, exec_lo, s22
.LBB356_2570:                           ;   in Loop: Header=BB356_2089 Depth=1
	s_delay_alu instid0(SALU_CYCLE_1) | instskip(SKIP_3) | instid1(VALU_DEP_2)
	s_or_b32 exec_lo, exec_lo, s21
	v_dual_mov_b32 v2, v14 :: v_dual_and_b32 v17, 0xff, v14
	v_dual_mov_b32 v48, 0 :: v_dual_mov_b32 v39, 0
	s_mov_b32 s21, exec_lo
	v_cmpx_ne_u16_e32 0, v17
	s_cbranch_execz .LBB356_2578
; %bb.2571:                             ;   in Loop: Header=BB356_2089 Depth=1
	v_bfrev_b32_e32 v39, 1
	s_mov_b32 s22, exec_lo
	v_cmpx_ne_u16_e32 0x80, v17
	s_cbranch_execz .LBB356_2577
; %bb.2572:                             ;   in Loop: Header=BB356_2089 Depth=1
	v_and_b32_e32 v17, 0x7f, v14
	v_mov_b32_e32 v39, 0x7fc02000
	s_mov_b32 s23, exec_lo
	s_delay_alu instid0(VALU_DEP_2)
	v_cmpx_ne_u32_e32 0x7f, v17
	s_cbranch_execz .LBB356_2576
; %bb.2573:                             ;   in Loop: Header=BB356_2089 Depth=1
	v_lshrrev_b32_e32 v39, 3, v17
	v_cmp_gt_u32_e64 s8, 8, v17
	v_dual_mov_b32 v18, v3 :: v_dual_mov_b32 v17, v2
	s_delay_alu instid0(VALU_DEP_2)
	s_and_saveexec_b32 s24, s8
; %bb.2574:                             ;   in Loop: Header=BB356_2089 Depth=1
	v_and_b32_e32 v17, 7, v14
	s_delay_alu instid0(VALU_DEP_1) | instskip(NEXT) | instid1(VALU_DEP_1)
	v_clz_i32_u32_e32 v17, v17
	v_min_u32_e32 v39, 32, v17
	s_delay_alu instid0(VALU_DEP_1) | instskip(SKIP_1) | instid1(VALU_DEP_2)
	v_subrev_nc_u32_e32 v17, 28, v39
	v_sub_nc_u32_e32 v39, 29, v39
	v_lshlrev_b64 v[17:18], v17, v[2:3]
; %bb.2575:                             ;   in Loop: Header=BB356_2089 Depth=1
	s_or_b32 exec_lo, exec_lo, s24
	v_lshlrev_b32_e32 v18, 8, v14
	s_delay_alu instid0(VALU_DEP_3) | instskip(NEXT) | instid1(VALU_DEP_3)
	v_lshl_add_u32 v39, v39, 10, 0x2000
	v_lshlrev_b32_e32 v17, 7, v17
	s_delay_alu instid0(VALU_DEP_2) | instskip(NEXT) | instid1(VALU_DEP_1)
	v_and_or_b32 v18, 0x8000, v18, v39
	v_and_or_b32 v17, 0x380, v17, v18
	s_delay_alu instid0(VALU_DEP_1)
	v_cvt_f32_f16_e32 v39, v17
.LBB356_2576:                           ;   in Loop: Header=BB356_2089 Depth=1
	s_or_b32 exec_lo, exec_lo, s23
.LBB356_2577:                           ;   in Loop: Header=BB356_2089 Depth=1
	s_delay_alu instid0(SALU_CYCLE_1)
	s_or_b32 exec_lo, exec_lo, s22
.LBB356_2578:                           ;   in Loop: Header=BB356_2089 Depth=1
	s_delay_alu instid0(SALU_CYCLE_1) | instskip(SKIP_2) | instid1(VALU_DEP_1)
	s_or_b32 exec_lo, exec_lo, s21
	v_lshrrev_b16 v2, 8, v2
	s_mov_b32 s21, exec_lo
	v_cmpx_ne_u16_e32 0, v2
	s_cbranch_execz .LBB356_2586
; %bb.2579:                             ;   in Loop: Header=BB356_2089 Depth=1
	v_bfrev_b32_e32 v48, 1
	s_mov_b32 s22, exec_lo
	v_cmpx_ne_u16_e32 0x80, v2
	s_cbranch_execz .LBB356_2585
; %bb.2580:                             ;   in Loop: Header=BB356_2089 Depth=1
	v_and_b32_e32 v49, 0xffff, v2
	v_mov_b32_e32 v48, 0x7fc02000
	s_mov_b32 s23, exec_lo
	s_delay_alu instid0(VALU_DEP_2) | instskip(NEXT) | instid1(VALU_DEP_1)
	v_and_b32_e32 v17, 0x7f, v49
	v_cmpx_ne_u32_e32 0x7f, v17
	s_cbranch_execz .LBB356_2584
; %bb.2581:                             ;   in Loop: Header=BB356_2089 Depth=1
	v_and_b32_e32 v2, 7, v49
	v_lshrrev_b32_e32 v48, 3, v17
	v_cmp_gt_u32_e64 s8, 8, v17
	s_delay_alu instid0(VALU_DEP_3) | instskip(NEXT) | instid1(VALU_DEP_2)
	v_dual_mov_b32 v18, v3 :: v_dual_mov_b32 v17, v2
	s_and_saveexec_b32 s24, s8
; %bb.2582:                             ;   in Loop: Header=BB356_2089 Depth=1
	v_clz_i32_u32_e32 v17, v2
	s_delay_alu instid0(VALU_DEP_1) | instskip(NEXT) | instid1(VALU_DEP_1)
	v_min_u32_e32 v48, 32, v17
	v_subrev_nc_u32_e32 v17, 28, v48
	v_sub_nc_u32_e32 v48, 29, v48
	s_delay_alu instid0(VALU_DEP_2) | instskip(NEXT) | instid1(VALU_DEP_1)
	v_lshlrev_b64 v[17:18], v17, v[2:3]
	v_and_b32_e32 v17, 7, v17
; %bb.2583:                             ;   in Loop: Header=BB356_2089 Depth=1
	s_or_b32 exec_lo, exec_lo, s24
	v_lshlrev_b32_e32 v2, 8, v49
	v_lshl_add_u32 v18, v48, 10, 0x2000
	s_delay_alu instid0(VALU_DEP_1) | instskip(NEXT) | instid1(VALU_DEP_1)
	v_and_or_b32 v2, 0x8000, v2, v18
	v_lshl_or_b32 v2, v17, 7, v2
	s_delay_alu instid0(VALU_DEP_1)
	v_cvt_f32_f16_e32 v48, v2
.LBB356_2584:                           ;   in Loop: Header=BB356_2089 Depth=1
	s_or_b32 exec_lo, exec_lo, s23
.LBB356_2585:                           ;   in Loop: Header=BB356_2089 Depth=1
	s_delay_alu instid0(SALU_CYCLE_1)
	s_or_b32 exec_lo, exec_lo, s22
.LBB356_2586:                           ;   in Loop: Header=BB356_2089 Depth=1
	s_delay_alu instid0(SALU_CYCLE_1) | instskip(SKIP_3) | instid1(VALU_DEP_2)
	s_or_b32 exec_lo, exec_lo, s21
	v_lshrrev_b32_e32 v50, 16, v14
	v_mov_b32_e32 v17, 0
	s_mov_b32 s21, exec_lo
	v_dual_mov_b32 v49, 0 :: v_dual_and_b32 v2, 0xff, v50
	s_delay_alu instid0(VALU_DEP_1)
	v_cmpx_ne_u16_e32 0, v2
	s_cbranch_execz .LBB356_2594
; %bb.2587:                             ;   in Loop: Header=BB356_2089 Depth=1
	v_bfrev_b32_e32 v17, 1
	s_mov_b32 s22, exec_lo
	v_cmpx_ne_u16_e32 0x80, v2
	s_cbranch_execz .LBB356_2593
; %bb.2588:                             ;   in Loop: Header=BB356_2089 Depth=1
	v_bfe_u32 v18, v14, 16, 7
	v_mov_b32_e32 v17, 0x7fc02000
	s_mov_b32 s23, exec_lo
	s_delay_alu instid0(VALU_DEP_2)
	v_cmpx_ne_u32_e32 0x7f, v18
	s_cbranch_execz .LBB356_2592
; %bb.2589:                             ;   in Loop: Header=BB356_2089 Depth=1
	v_and_b32_e32 v2, 7, v50
	v_lshrrev_b32_e32 v51, 3, v18
	v_cmp_gt_u32_e64 s8, 8, v18
	s_delay_alu instid0(VALU_DEP_3) | instskip(NEXT) | instid1(VALU_DEP_2)
	v_dual_mov_b32 v18, v3 :: v_dual_mov_b32 v17, v2
	s_and_saveexec_b32 s24, s8
; %bb.2590:                             ;   in Loop: Header=BB356_2089 Depth=1
	v_clz_i32_u32_e32 v17, v2
	s_delay_alu instid0(VALU_DEP_1) | instskip(NEXT) | instid1(VALU_DEP_1)
	v_min_u32_e32 v51, 32, v17
	v_subrev_nc_u32_e32 v17, 28, v51
	v_sub_nc_u32_e32 v51, 29, v51
	s_delay_alu instid0(VALU_DEP_2) | instskip(NEXT) | instid1(VALU_DEP_1)
	v_lshlrev_b64 v[17:18], v17, v[2:3]
	v_and_b32_e32 v17, 7, v17
; %bb.2591:                             ;   in Loop: Header=BB356_2089 Depth=1
	s_or_b32 exec_lo, exec_lo, s24
	v_lshlrev_b32_e32 v2, 8, v50
	v_lshl_add_u32 v18, v51, 10, 0x2000
	s_delay_alu instid0(VALU_DEP_1) | instskip(NEXT) | instid1(VALU_DEP_1)
	v_and_or_b32 v2, 0x8000, v2, v18
	v_lshl_or_b32 v2, v17, 7, v2
	s_delay_alu instid0(VALU_DEP_1)
	v_cvt_f32_f16_e32 v17, v2
.LBB356_2592:                           ;   in Loop: Header=BB356_2089 Depth=1
	s_or_b32 exec_lo, exec_lo, s23
.LBB356_2593:                           ;   in Loop: Header=BB356_2089 Depth=1
	s_delay_alu instid0(SALU_CYCLE_1)
	s_or_b32 exec_lo, exec_lo, s22
.LBB356_2594:                           ;   in Loop: Header=BB356_2089 Depth=1
	s_delay_alu instid0(SALU_CYCLE_1) | instskip(NEXT) | instid1(SALU_CYCLE_1)
	s_or_b32 exec_lo, exec_lo, s21
	s_mov_b32 s21, exec_lo
	v_cmpx_lt_u64_e64 s[18:19], v[13:14]
	s_cbranch_execz .LBB356_2602
; %bb.2595:                             ;   in Loop: Header=BB356_2089 Depth=1
	v_lshrrev_b32_e32 v18, 24, v14
	v_bfrev_b32_e32 v49, 1
	s_mov_b32 s22, exec_lo
	s_delay_alu instid0(VALU_DEP_2)
	v_cmpx_ne_u32_e32 0x80, v18
	s_cbranch_execz .LBB356_2601
; %bb.2596:                             ;   in Loop: Header=BB356_2089 Depth=1
	v_and_b32_e32 v13, 0x7f, v18
	v_mov_b32_e32 v49, 0x7fc02000
	s_mov_b32 s23, exec_lo
	s_delay_alu instid0(VALU_DEP_2)
	v_cmpx_ne_u32_e32 0x7f, v13
	s_cbranch_execz .LBB356_2600
; %bb.2597:                             ;   in Loop: Header=BB356_2089 Depth=1
	v_and_b32_e32 v2, 7, v18
	v_lshrrev_b32_e32 v49, 3, v13
	v_cmp_gt_u32_e64 s8, 8, v13
	s_delay_alu instid0(VALU_DEP_3) | instskip(NEXT) | instid1(VALU_DEP_2)
	v_dual_mov_b32 v14, v3 :: v_dual_mov_b32 v13, v2
	s_and_saveexec_b32 s24, s8
; %bb.2598:                             ;   in Loop: Header=BB356_2089 Depth=1
	v_clz_i32_u32_e32 v13, v2
	s_delay_alu instid0(VALU_DEP_1) | instskip(NEXT) | instid1(VALU_DEP_1)
	v_min_u32_e32 v49, 32, v13
	v_subrev_nc_u32_e32 v13, 28, v49
	v_sub_nc_u32_e32 v49, 29, v49
	s_delay_alu instid0(VALU_DEP_2) | instskip(NEXT) | instid1(VALU_DEP_1)
	v_lshlrev_b64 v[13:14], v13, v[2:3]
	v_and_b32_e32 v13, 7, v13
; %bb.2599:                             ;   in Loop: Header=BB356_2089 Depth=1
	s_or_b32 exec_lo, exec_lo, s24
	v_lshlrev_b32_e32 v2, 8, v18
	v_lshl_add_u32 v14, v49, 10, 0x2000
	s_delay_alu instid0(VALU_DEP_1) | instskip(NEXT) | instid1(VALU_DEP_1)
	v_and_or_b32 v2, 0x8000, v2, v14
	v_lshl_or_b32 v2, v13, 7, v2
	s_delay_alu instid0(VALU_DEP_1)
	v_cvt_f32_f16_e32 v49, v2
.LBB356_2600:                           ;   in Loop: Header=BB356_2089 Depth=1
	s_or_b32 exec_lo, exec_lo, s23
.LBB356_2601:                           ;   in Loop: Header=BB356_2089 Depth=1
	s_delay_alu instid0(SALU_CYCLE_1)
	s_or_b32 exec_lo, exec_lo, s22
.LBB356_2602:                           ;   in Loop: Header=BB356_2089 Depth=1
	s_delay_alu instid0(SALU_CYCLE_1)
	s_or_b32 exec_lo, exec_lo, s21
	s_waitcnt vmcnt(0) lgkmcnt(0)
	v_fma_mixlo_f16 v2, v4, v38, 0
	v_fma_mixlo_f16 v13, v4, v37, 0
	;; [unrolled: 1-line block ×5, first 2 shown]
	v_lshlrev_b32_e32 v22, 16, v2
	v_fma_mixlo_f16 v37, v4, v39, 0
	v_and_b32_e32 v38, 0xffff, v13
	v_lshlrev_b32_e32 v39, 16, v14
	v_and_b32_e32 v48, 0xffff, v5
	v_fma_mixlo_f16 v49, v4, v49, 0
	v_fma_mixlo_f16 v4, v4, v17, 0
	v_cndmask_b32_e32 v5, 0, v5, vcc_lo
	v_cndmask_b32_e64 v14, 0, v14, s0
	v_cndmask_b32_e64 v13, 0, v13, s2
	;; [unrolled: 1-line block ×3, first 2 shown]
	v_lshlrev_b32_e32 v50, 16, v18
	v_and_b32_e32 v51, 0xffff, v37
	v_or_b32_e32 v17, v22, v38
	v_or_b32_e32 v22, v39, v48
	v_lshlrev_b32_e32 v39, 16, v49
	v_and_b32_e32 v48, 0xffff, v4
	v_cndmask_b32_e64 v37, 0, v37, s6
	v_cndmask_b32_e64 v18, 0, v18, s7
	;; [unrolled: 1-line block ×4, first 2 shown]
	v_perm_b32 v5, v14, v5, 0x5040100
	v_perm_b32 v2, v2, v13, 0x5040100
	v_or_b32_e32 v38, v50, v51
	v_or_b32_e32 v39, v39, v48
	v_perm_b32 v13, v18, v37, 0x5040100
	v_perm_b32 v4, v49, v4, 0x5040100
	v_cndmask_b32_e64 v5, v22, v5, s1
	v_mov_b32_e32 v22, 0
	v_cndmask_b32_e64 v2, v17, v2, s1
	v_cndmask_b32_e64 v13, v38, v13, s1
	;; [unrolled: 1-line block ×3, first 2 shown]
	;;#ASMSTART
	v_pk_mul_f16 v5, v146, v5;

	;;#ASMEND
	;;#ASMSTART
	v_pk_mul_f16 v2, v145, v2;

	;;#ASMEND
	;; [unrolled: 4-line block ×4, first 2 shown]
	;;#ASMSTART
	v_pk_add_f16 v2, v5, v2;

	;;#ASMEND
	;;#ASMSTART
	v_pk_add_f16 v2, v2, v13;

	;;#ASMEND
	;; [unrolled: 4-line block ×3, first 2 shown]
	v_and_b32_e32 v4, 0xffff, v2
	v_lshrrev_b32_e32 v2, 16, v2
	;;#ASMSTART
	v_cvt_f32_f16 v178, v4;
	;;#ASMEND
	;;#ASMSTART
	v_cvt_f32_f16 v179, v2;
	;;#ASMEND
	flat_load_b64 v[13:14], v[11:12] offset:2048
	flat_load_b32 v4, v[26:27]
	v_mov_b32_e32 v5, 0
	s_mov_b32 s21, exec_lo
	s_waitcnt vmcnt(1) lgkmcnt(1)
	v_and_b32_e32 v2, 0xff, v13
	s_delay_alu instid0(VALU_DEP_1)
	v_cmpx_ne_u16_e32 0, v2
	s_cbranch_execz .LBB356_2610
; %bb.2603:                             ;   in Loop: Header=BB356_2089 Depth=1
	v_bfrev_b32_e32 v5, 1
	s_mov_b32 s22, exec_lo
	v_cmpx_ne_u16_e32 0x80, v2
	s_cbranch_execz .LBB356_2609
; %bb.2604:                             ;   in Loop: Header=BB356_2089 Depth=1
	v_and_b32_e32 v17, 0x7f, v13
	v_mov_b32_e32 v5, 0x7fc02000
	s_mov_b32 s23, exec_lo
	s_delay_alu instid0(VALU_DEP_2)
	v_cmpx_ne_u32_e32 0x7f, v17
	s_cbranch_execz .LBB356_2608
; %bb.2605:                             ;   in Loop: Header=BB356_2089 Depth=1
	v_lshrrev_b32_e32 v2, 3, v17
	v_cmp_gt_u32_e64 s8, 8, v17
	v_dual_mov_b32 v18, v14 :: v_dual_mov_b32 v17, v13
	s_delay_alu instid0(VALU_DEP_2)
	s_and_saveexec_b32 s24, s8
; %bb.2606:                             ;   in Loop: Header=BB356_2089 Depth=1
	v_and_b32_e32 v2, 7, v13
	s_delay_alu instid0(VALU_DEP_1) | instskip(NEXT) | instid1(VALU_DEP_1)
	v_clz_i32_u32_e32 v2, v2
	v_min_u32_e32 v2, 32, v2
	s_delay_alu instid0(VALU_DEP_1) | instskip(SKIP_1) | instid1(VALU_DEP_2)
	v_subrev_nc_u32_e32 v5, 28, v2
	v_sub_nc_u32_e32 v2, 29, v2
	v_lshlrev_b64 v[17:18], v5, v[13:14]
; %bb.2607:                             ;   in Loop: Header=BB356_2089 Depth=1
	s_or_b32 exec_lo, exec_lo, s24
	v_lshlrev_b32_e32 v5, 8, v13
	s_delay_alu instid0(VALU_DEP_3) | instskip(NEXT) | instid1(VALU_DEP_3)
	v_lshl_add_u32 v2, v2, 10, 0x2000
	v_lshlrev_b32_e32 v17, 7, v17
	s_delay_alu instid0(VALU_DEP_2) | instskip(NEXT) | instid1(VALU_DEP_1)
	v_and_or_b32 v2, 0x8000, v5, v2
	v_and_or_b32 v2, 0x380, v17, v2
	s_delay_alu instid0(VALU_DEP_1)
	v_cvt_f32_f16_e32 v5, v2
.LBB356_2608:                           ;   in Loop: Header=BB356_2089 Depth=1
	s_or_b32 exec_lo, exec_lo, s23
.LBB356_2609:                           ;   in Loop: Header=BB356_2089 Depth=1
	s_delay_alu instid0(SALU_CYCLE_1)
	s_or_b32 exec_lo, exec_lo, s22
.LBB356_2610:                           ;   in Loop: Header=BB356_2089 Depth=1
	s_delay_alu instid0(SALU_CYCLE_1) | instskip(SKIP_2) | instid1(VALU_DEP_1)
	s_or_b32 exec_lo, exec_lo, s21
	v_lshrrev_b16 v2, 8, v13
	s_mov_b32 s21, exec_lo
	v_cmpx_ne_u16_e32 0, v2
	s_cbranch_execz .LBB356_2618
; %bb.2611:                             ;   in Loop: Header=BB356_2089 Depth=1
	v_bfrev_b32_e32 v22, 1
	s_mov_b32 s22, exec_lo
	v_cmpx_ne_u16_e32 0x80, v2
	s_cbranch_execz .LBB356_2617
; %bb.2612:                             ;   in Loop: Header=BB356_2089 Depth=1
	v_and_b32_e32 v37, 0xffff, v2
	v_mov_b32_e32 v22, 0x7fc02000
	s_mov_b32 s23, exec_lo
	s_delay_alu instid0(VALU_DEP_2) | instskip(NEXT) | instid1(VALU_DEP_1)
	v_and_b32_e32 v17, 0x7f, v37
	v_cmpx_ne_u32_e32 0x7f, v17
	s_cbranch_execz .LBB356_2616
; %bb.2613:                             ;   in Loop: Header=BB356_2089 Depth=1
	v_and_b32_e32 v2, 7, v37
	v_lshrrev_b32_e32 v22, 3, v17
	v_cmp_gt_u32_e64 s8, 8, v17
	s_delay_alu instid0(VALU_DEP_3) | instskip(NEXT) | instid1(VALU_DEP_2)
	v_dual_mov_b32 v18, v3 :: v_dual_mov_b32 v17, v2
	s_and_saveexec_b32 s24, s8
; %bb.2614:                             ;   in Loop: Header=BB356_2089 Depth=1
	v_clz_i32_u32_e32 v17, v2
	s_delay_alu instid0(VALU_DEP_1) | instskip(NEXT) | instid1(VALU_DEP_1)
	v_min_u32_e32 v22, 32, v17
	v_subrev_nc_u32_e32 v17, 28, v22
	v_sub_nc_u32_e32 v22, 29, v22
	s_delay_alu instid0(VALU_DEP_2) | instskip(NEXT) | instid1(VALU_DEP_1)
	v_lshlrev_b64 v[17:18], v17, v[2:3]
	v_and_b32_e32 v17, 7, v17
; %bb.2615:                             ;   in Loop: Header=BB356_2089 Depth=1
	s_or_b32 exec_lo, exec_lo, s24
	v_lshlrev_b32_e32 v2, 8, v37
	v_lshl_add_u32 v18, v22, 10, 0x2000
	s_delay_alu instid0(VALU_DEP_1) | instskip(NEXT) | instid1(VALU_DEP_1)
	v_and_or_b32 v2, 0x8000, v2, v18
	v_lshl_or_b32 v2, v17, 7, v2
	s_delay_alu instid0(VALU_DEP_1)
	v_cvt_f32_f16_e32 v22, v2
.LBB356_2616:                           ;   in Loop: Header=BB356_2089 Depth=1
	s_or_b32 exec_lo, exec_lo, s23
.LBB356_2617:                           ;   in Loop: Header=BB356_2089 Depth=1
	s_delay_alu instid0(SALU_CYCLE_1)
	s_or_b32 exec_lo, exec_lo, s22
.LBB356_2618:                           ;   in Loop: Header=BB356_2089 Depth=1
	s_delay_alu instid0(SALU_CYCLE_1) | instskip(SKIP_3) | instid1(VALU_DEP_2)
	s_or_b32 exec_lo, exec_lo, s21
	v_lshrrev_b32_e32 v39, 16, v13
	v_mov_b32_e32 v38, 0
	s_mov_b32 s21, exec_lo
	v_dual_mov_b32 v37, 0 :: v_dual_and_b32 v2, 0xff, v39
	s_delay_alu instid0(VALU_DEP_1)
	v_cmpx_ne_u16_e32 0, v2
	s_cbranch_execz .LBB356_2626
; %bb.2619:                             ;   in Loop: Header=BB356_2089 Depth=1
	v_bfrev_b32_e32 v37, 1
	s_mov_b32 s22, exec_lo
	v_cmpx_ne_u16_e32 0x80, v2
	s_cbranch_execz .LBB356_2625
; %bb.2620:                             ;   in Loop: Header=BB356_2089 Depth=1
	v_bfe_u32 v17, v13, 16, 7
	v_mov_b32_e32 v37, 0x7fc02000
	s_mov_b32 s23, exec_lo
	s_delay_alu instid0(VALU_DEP_2)
	v_cmpx_ne_u32_e32 0x7f, v17
	s_cbranch_execz .LBB356_2624
; %bb.2621:                             ;   in Loop: Header=BB356_2089 Depth=1
	v_and_b32_e32 v2, 7, v39
	v_lshrrev_b32_e32 v37, 3, v17
	v_cmp_gt_u32_e64 s8, 8, v17
	s_delay_alu instid0(VALU_DEP_3) | instskip(NEXT) | instid1(VALU_DEP_2)
	v_dual_mov_b32 v18, v3 :: v_dual_mov_b32 v17, v2
	s_and_saveexec_b32 s24, s8
; %bb.2622:                             ;   in Loop: Header=BB356_2089 Depth=1
	v_clz_i32_u32_e32 v17, v2
	s_delay_alu instid0(VALU_DEP_1) | instskip(NEXT) | instid1(VALU_DEP_1)
	v_min_u32_e32 v37, 32, v17
	v_subrev_nc_u32_e32 v17, 28, v37
	v_sub_nc_u32_e32 v37, 29, v37
	s_delay_alu instid0(VALU_DEP_2) | instskip(NEXT) | instid1(VALU_DEP_1)
	v_lshlrev_b64 v[17:18], v17, v[2:3]
	v_and_b32_e32 v17, 7, v17
; %bb.2623:                             ;   in Loop: Header=BB356_2089 Depth=1
	s_or_b32 exec_lo, exec_lo, s24
	v_lshlrev_b32_e32 v2, 8, v39
	v_lshl_add_u32 v18, v37, 10, 0x2000
	s_delay_alu instid0(VALU_DEP_1) | instskip(NEXT) | instid1(VALU_DEP_1)
	v_and_or_b32 v2, 0x8000, v2, v18
	v_lshl_or_b32 v2, v17, 7, v2
	s_delay_alu instid0(VALU_DEP_1)
	v_cvt_f32_f16_e32 v37, v2
.LBB356_2624:                           ;   in Loop: Header=BB356_2089 Depth=1
	s_or_b32 exec_lo, exec_lo, s23
.LBB356_2625:                           ;   in Loop: Header=BB356_2089 Depth=1
	s_delay_alu instid0(SALU_CYCLE_1)
	s_or_b32 exec_lo, exec_lo, s22
.LBB356_2626:                           ;   in Loop: Header=BB356_2089 Depth=1
	s_delay_alu instid0(SALU_CYCLE_1) | instskip(NEXT) | instid1(SALU_CYCLE_1)
	s_or_b32 exec_lo, exec_lo, s21
	s_mov_b32 s21, exec_lo
	v_cmpx_lt_u32_e32 0xffffff, v13
	s_cbranch_execz .LBB356_2634
; %bb.2627:                             ;   in Loop: Header=BB356_2089 Depth=1
	v_lshrrev_b32_e32 v39, 24, v13
	v_bfrev_b32_e32 v38, 1
	s_mov_b32 s22, exec_lo
	s_delay_alu instid0(VALU_DEP_2)
	v_cmpx_ne_u32_e32 0x80, v39
	s_cbranch_execz .LBB356_2633
; %bb.2628:                             ;   in Loop: Header=BB356_2089 Depth=1
	v_and_b32_e32 v17, 0x7f, v39
	v_mov_b32_e32 v38, 0x7fc02000
	s_mov_b32 s23, exec_lo
	s_delay_alu instid0(VALU_DEP_2)
	v_cmpx_ne_u32_e32 0x7f, v17
	s_cbranch_execz .LBB356_2632
; %bb.2629:                             ;   in Loop: Header=BB356_2089 Depth=1
	v_and_b32_e32 v2, 7, v39
	v_lshrrev_b32_e32 v38, 3, v17
	v_cmp_gt_u32_e64 s8, 8, v17
	s_delay_alu instid0(VALU_DEP_3) | instskip(NEXT) | instid1(VALU_DEP_2)
	v_dual_mov_b32 v18, v3 :: v_dual_mov_b32 v17, v2
	s_and_saveexec_b32 s24, s8
; %bb.2630:                             ;   in Loop: Header=BB356_2089 Depth=1
	v_clz_i32_u32_e32 v17, v2
	s_delay_alu instid0(VALU_DEP_1) | instskip(NEXT) | instid1(VALU_DEP_1)
	v_min_u32_e32 v38, 32, v17
	v_subrev_nc_u32_e32 v17, 28, v38
	v_sub_nc_u32_e32 v38, 29, v38
	s_delay_alu instid0(VALU_DEP_2) | instskip(NEXT) | instid1(VALU_DEP_1)
	v_lshlrev_b64 v[17:18], v17, v[2:3]
	v_and_b32_e32 v17, 7, v17
; %bb.2631:                             ;   in Loop: Header=BB356_2089 Depth=1
	s_or_b32 exec_lo, exec_lo, s24
	v_lshlrev_b32_e32 v2, 8, v39
	v_lshl_add_u32 v18, v38, 10, 0x2000
	s_delay_alu instid0(VALU_DEP_1) | instskip(NEXT) | instid1(VALU_DEP_1)
	v_and_or_b32 v2, 0x8000, v2, v18
	v_lshl_or_b32 v2, v17, 7, v2
	s_delay_alu instid0(VALU_DEP_1)
	v_cvt_f32_f16_e32 v38, v2
.LBB356_2632:                           ;   in Loop: Header=BB356_2089 Depth=1
	s_or_b32 exec_lo, exec_lo, s23
.LBB356_2633:                           ;   in Loop: Header=BB356_2089 Depth=1
	s_delay_alu instid0(SALU_CYCLE_1)
	s_or_b32 exec_lo, exec_lo, s22
.LBB356_2634:                           ;   in Loop: Header=BB356_2089 Depth=1
	s_delay_alu instid0(SALU_CYCLE_1) | instskip(SKIP_3) | instid1(VALU_DEP_2)
	s_or_b32 exec_lo, exec_lo, s21
	v_dual_mov_b32 v2, v14 :: v_dual_and_b32 v17, 0xff, v14
	v_dual_mov_b32 v48, 0 :: v_dual_mov_b32 v39, 0
	s_mov_b32 s21, exec_lo
	v_cmpx_ne_u16_e32 0, v17
	s_cbranch_execz .LBB356_2642
; %bb.2635:                             ;   in Loop: Header=BB356_2089 Depth=1
	v_bfrev_b32_e32 v39, 1
	s_mov_b32 s22, exec_lo
	v_cmpx_ne_u16_e32 0x80, v17
	s_cbranch_execz .LBB356_2641
; %bb.2636:                             ;   in Loop: Header=BB356_2089 Depth=1
	v_and_b32_e32 v17, 0x7f, v14
	v_mov_b32_e32 v39, 0x7fc02000
	s_mov_b32 s23, exec_lo
	s_delay_alu instid0(VALU_DEP_2)
	v_cmpx_ne_u32_e32 0x7f, v17
	s_cbranch_execz .LBB356_2640
; %bb.2637:                             ;   in Loop: Header=BB356_2089 Depth=1
	v_lshrrev_b32_e32 v39, 3, v17
	v_cmp_gt_u32_e64 s8, 8, v17
	v_dual_mov_b32 v18, v3 :: v_dual_mov_b32 v17, v2
	s_delay_alu instid0(VALU_DEP_2)
	s_and_saveexec_b32 s24, s8
; %bb.2638:                             ;   in Loop: Header=BB356_2089 Depth=1
	v_and_b32_e32 v17, 7, v14
	s_delay_alu instid0(VALU_DEP_1) | instskip(NEXT) | instid1(VALU_DEP_1)
	v_clz_i32_u32_e32 v17, v17
	v_min_u32_e32 v39, 32, v17
	s_delay_alu instid0(VALU_DEP_1) | instskip(SKIP_1) | instid1(VALU_DEP_2)
	v_subrev_nc_u32_e32 v17, 28, v39
	v_sub_nc_u32_e32 v39, 29, v39
	v_lshlrev_b64 v[17:18], v17, v[2:3]
; %bb.2639:                             ;   in Loop: Header=BB356_2089 Depth=1
	s_or_b32 exec_lo, exec_lo, s24
	v_lshlrev_b32_e32 v18, 8, v14
	s_delay_alu instid0(VALU_DEP_3) | instskip(NEXT) | instid1(VALU_DEP_3)
	v_lshl_add_u32 v39, v39, 10, 0x2000
	v_lshlrev_b32_e32 v17, 7, v17
	s_delay_alu instid0(VALU_DEP_2) | instskip(NEXT) | instid1(VALU_DEP_1)
	v_and_or_b32 v18, 0x8000, v18, v39
	v_and_or_b32 v17, 0x380, v17, v18
	s_delay_alu instid0(VALU_DEP_1)
	v_cvt_f32_f16_e32 v39, v17
.LBB356_2640:                           ;   in Loop: Header=BB356_2089 Depth=1
	s_or_b32 exec_lo, exec_lo, s23
.LBB356_2641:                           ;   in Loop: Header=BB356_2089 Depth=1
	s_delay_alu instid0(SALU_CYCLE_1)
	s_or_b32 exec_lo, exec_lo, s22
.LBB356_2642:                           ;   in Loop: Header=BB356_2089 Depth=1
	s_delay_alu instid0(SALU_CYCLE_1) | instskip(SKIP_2) | instid1(VALU_DEP_1)
	s_or_b32 exec_lo, exec_lo, s21
	v_lshrrev_b16 v2, 8, v2
	s_mov_b32 s21, exec_lo
	v_cmpx_ne_u16_e32 0, v2
	s_cbranch_execz .LBB356_2650
; %bb.2643:                             ;   in Loop: Header=BB356_2089 Depth=1
	v_bfrev_b32_e32 v48, 1
	s_mov_b32 s22, exec_lo
	v_cmpx_ne_u16_e32 0x80, v2
	s_cbranch_execz .LBB356_2649
; %bb.2644:                             ;   in Loop: Header=BB356_2089 Depth=1
	v_and_b32_e32 v49, 0xffff, v2
	v_mov_b32_e32 v48, 0x7fc02000
	s_mov_b32 s23, exec_lo
	s_delay_alu instid0(VALU_DEP_2) | instskip(NEXT) | instid1(VALU_DEP_1)
	v_and_b32_e32 v17, 0x7f, v49
	v_cmpx_ne_u32_e32 0x7f, v17
	s_cbranch_execz .LBB356_2648
; %bb.2645:                             ;   in Loop: Header=BB356_2089 Depth=1
	v_and_b32_e32 v2, 7, v49
	v_lshrrev_b32_e32 v48, 3, v17
	v_cmp_gt_u32_e64 s8, 8, v17
	s_delay_alu instid0(VALU_DEP_3) | instskip(NEXT) | instid1(VALU_DEP_2)
	v_dual_mov_b32 v18, v3 :: v_dual_mov_b32 v17, v2
	s_and_saveexec_b32 s24, s8
; %bb.2646:                             ;   in Loop: Header=BB356_2089 Depth=1
	v_clz_i32_u32_e32 v17, v2
	s_delay_alu instid0(VALU_DEP_1) | instskip(NEXT) | instid1(VALU_DEP_1)
	v_min_u32_e32 v48, 32, v17
	v_subrev_nc_u32_e32 v17, 28, v48
	v_sub_nc_u32_e32 v48, 29, v48
	s_delay_alu instid0(VALU_DEP_2) | instskip(NEXT) | instid1(VALU_DEP_1)
	v_lshlrev_b64 v[17:18], v17, v[2:3]
	v_and_b32_e32 v17, 7, v17
; %bb.2647:                             ;   in Loop: Header=BB356_2089 Depth=1
	s_or_b32 exec_lo, exec_lo, s24
	v_lshlrev_b32_e32 v2, 8, v49
	v_lshl_add_u32 v18, v48, 10, 0x2000
	s_delay_alu instid0(VALU_DEP_1) | instskip(NEXT) | instid1(VALU_DEP_1)
	v_and_or_b32 v2, 0x8000, v2, v18
	v_lshl_or_b32 v2, v17, 7, v2
	s_delay_alu instid0(VALU_DEP_1)
	v_cvt_f32_f16_e32 v48, v2
.LBB356_2648:                           ;   in Loop: Header=BB356_2089 Depth=1
	s_or_b32 exec_lo, exec_lo, s23
.LBB356_2649:                           ;   in Loop: Header=BB356_2089 Depth=1
	s_delay_alu instid0(SALU_CYCLE_1)
	s_or_b32 exec_lo, exec_lo, s22
.LBB356_2650:                           ;   in Loop: Header=BB356_2089 Depth=1
	s_delay_alu instid0(SALU_CYCLE_1) | instskip(SKIP_3) | instid1(VALU_DEP_2)
	s_or_b32 exec_lo, exec_lo, s21
	v_lshrrev_b32_e32 v50, 16, v14
	v_mov_b32_e32 v17, 0
	s_mov_b32 s21, exec_lo
	v_dual_mov_b32 v49, 0 :: v_dual_and_b32 v2, 0xff, v50
	s_delay_alu instid0(VALU_DEP_1)
	v_cmpx_ne_u16_e32 0, v2
	s_cbranch_execz .LBB356_2658
; %bb.2651:                             ;   in Loop: Header=BB356_2089 Depth=1
	v_bfrev_b32_e32 v17, 1
	s_mov_b32 s22, exec_lo
	v_cmpx_ne_u16_e32 0x80, v2
	s_cbranch_execz .LBB356_2657
; %bb.2652:                             ;   in Loop: Header=BB356_2089 Depth=1
	v_bfe_u32 v18, v14, 16, 7
	v_mov_b32_e32 v17, 0x7fc02000
	s_mov_b32 s23, exec_lo
	s_delay_alu instid0(VALU_DEP_2)
	v_cmpx_ne_u32_e32 0x7f, v18
	s_cbranch_execz .LBB356_2656
; %bb.2653:                             ;   in Loop: Header=BB356_2089 Depth=1
	v_and_b32_e32 v2, 7, v50
	v_lshrrev_b32_e32 v51, 3, v18
	v_cmp_gt_u32_e64 s8, 8, v18
	s_delay_alu instid0(VALU_DEP_3) | instskip(NEXT) | instid1(VALU_DEP_2)
	v_dual_mov_b32 v18, v3 :: v_dual_mov_b32 v17, v2
	s_and_saveexec_b32 s24, s8
; %bb.2654:                             ;   in Loop: Header=BB356_2089 Depth=1
	v_clz_i32_u32_e32 v17, v2
	s_delay_alu instid0(VALU_DEP_1) | instskip(NEXT) | instid1(VALU_DEP_1)
	v_min_u32_e32 v51, 32, v17
	v_subrev_nc_u32_e32 v17, 28, v51
	v_sub_nc_u32_e32 v51, 29, v51
	s_delay_alu instid0(VALU_DEP_2) | instskip(NEXT) | instid1(VALU_DEP_1)
	v_lshlrev_b64 v[17:18], v17, v[2:3]
	v_and_b32_e32 v17, 7, v17
; %bb.2655:                             ;   in Loop: Header=BB356_2089 Depth=1
	s_or_b32 exec_lo, exec_lo, s24
	v_lshlrev_b32_e32 v2, 8, v50
	v_lshl_add_u32 v18, v51, 10, 0x2000
	s_delay_alu instid0(VALU_DEP_1) | instskip(NEXT) | instid1(VALU_DEP_1)
	v_and_or_b32 v2, 0x8000, v2, v18
	v_lshl_or_b32 v2, v17, 7, v2
	s_delay_alu instid0(VALU_DEP_1)
	v_cvt_f32_f16_e32 v17, v2
.LBB356_2656:                           ;   in Loop: Header=BB356_2089 Depth=1
	s_or_b32 exec_lo, exec_lo, s23
.LBB356_2657:                           ;   in Loop: Header=BB356_2089 Depth=1
	s_delay_alu instid0(SALU_CYCLE_1)
	s_or_b32 exec_lo, exec_lo, s22
.LBB356_2658:                           ;   in Loop: Header=BB356_2089 Depth=1
	s_delay_alu instid0(SALU_CYCLE_1) | instskip(NEXT) | instid1(SALU_CYCLE_1)
	s_or_b32 exec_lo, exec_lo, s21
	s_mov_b32 s21, exec_lo
	v_cmpx_lt_u64_e64 s[18:19], v[13:14]
	s_cbranch_execz .LBB356_2666
; %bb.2659:                             ;   in Loop: Header=BB356_2089 Depth=1
	v_lshrrev_b32_e32 v18, 24, v14
	v_bfrev_b32_e32 v49, 1
	s_mov_b32 s22, exec_lo
	s_delay_alu instid0(VALU_DEP_2)
	v_cmpx_ne_u32_e32 0x80, v18
	s_cbranch_execz .LBB356_2665
; %bb.2660:                             ;   in Loop: Header=BB356_2089 Depth=1
	v_and_b32_e32 v13, 0x7f, v18
	v_mov_b32_e32 v49, 0x7fc02000
	s_mov_b32 s23, exec_lo
	s_delay_alu instid0(VALU_DEP_2)
	v_cmpx_ne_u32_e32 0x7f, v13
	s_cbranch_execz .LBB356_2664
; %bb.2661:                             ;   in Loop: Header=BB356_2089 Depth=1
	v_and_b32_e32 v2, 7, v18
	v_lshrrev_b32_e32 v49, 3, v13
	v_cmp_gt_u32_e64 s8, 8, v13
	s_delay_alu instid0(VALU_DEP_3) | instskip(NEXT) | instid1(VALU_DEP_2)
	v_dual_mov_b32 v14, v3 :: v_dual_mov_b32 v13, v2
	s_and_saveexec_b32 s24, s8
; %bb.2662:                             ;   in Loop: Header=BB356_2089 Depth=1
	v_clz_i32_u32_e32 v13, v2
	s_delay_alu instid0(VALU_DEP_1) | instskip(NEXT) | instid1(VALU_DEP_1)
	v_min_u32_e32 v49, 32, v13
	v_subrev_nc_u32_e32 v13, 28, v49
	v_sub_nc_u32_e32 v49, 29, v49
	s_delay_alu instid0(VALU_DEP_2) | instskip(NEXT) | instid1(VALU_DEP_1)
	v_lshlrev_b64 v[13:14], v13, v[2:3]
	v_and_b32_e32 v13, 7, v13
; %bb.2663:                             ;   in Loop: Header=BB356_2089 Depth=1
	s_or_b32 exec_lo, exec_lo, s24
	v_lshlrev_b32_e32 v2, 8, v18
	v_lshl_add_u32 v14, v49, 10, 0x2000
	s_delay_alu instid0(VALU_DEP_1) | instskip(NEXT) | instid1(VALU_DEP_1)
	v_and_or_b32 v2, 0x8000, v2, v14
	v_lshl_or_b32 v2, v13, 7, v2
	s_delay_alu instid0(VALU_DEP_1)
	v_cvt_f32_f16_e32 v49, v2
.LBB356_2664:                           ;   in Loop: Header=BB356_2089 Depth=1
	s_or_b32 exec_lo, exec_lo, s23
.LBB356_2665:                           ;   in Loop: Header=BB356_2089 Depth=1
	s_delay_alu instid0(SALU_CYCLE_1)
	s_or_b32 exec_lo, exec_lo, s22
.LBB356_2666:                           ;   in Loop: Header=BB356_2089 Depth=1
	s_delay_alu instid0(SALU_CYCLE_1)
	s_or_b32 exec_lo, exec_lo, s21
	s_waitcnt vmcnt(0) lgkmcnt(0)
	v_fma_mixlo_f16 v2, v4, v38, 0
	v_fma_mixlo_f16 v13, v4, v37, 0
	;; [unrolled: 1-line block ×5, first 2 shown]
	v_lshlrev_b32_e32 v22, 16, v2
	v_fma_mixlo_f16 v37, v4, v39, 0
	v_and_b32_e32 v38, 0xffff, v13
	v_lshlrev_b32_e32 v39, 16, v14
	v_and_b32_e32 v48, 0xffff, v5
	v_fma_mixlo_f16 v49, v4, v49, 0
	v_fma_mixlo_f16 v4, v4, v17, 0
	v_cndmask_b32_e32 v5, 0, v5, vcc_lo
	v_cndmask_b32_e64 v14, 0, v14, s0
	v_cndmask_b32_e64 v13, 0, v13, s2
	;; [unrolled: 1-line block ×3, first 2 shown]
	v_lshlrev_b32_e32 v50, 16, v18
	v_and_b32_e32 v51, 0xffff, v37
	v_or_b32_e32 v17, v22, v38
	v_or_b32_e32 v22, v39, v48
	v_lshlrev_b32_e32 v39, 16, v49
	v_and_b32_e32 v48, 0xffff, v4
	v_cndmask_b32_e64 v37, 0, v37, s6
	v_cndmask_b32_e64 v18, 0, v18, s7
	v_cndmask_b32_e64 v4, 0, v4, s3
	v_cndmask_b32_e64 v49, 0, v49, s5
	v_perm_b32 v5, v14, v5, 0x5040100
	v_perm_b32 v2, v2, v13, 0x5040100
	v_or_b32_e32 v38, v50, v51
	v_or_b32_e32 v39, v39, v48
	v_perm_b32 v13, v18, v37, 0x5040100
	v_perm_b32 v4, v49, v4, 0x5040100
	v_cndmask_b32_e64 v5, v22, v5, s1
	v_mov_b32_e32 v22, 0
	v_cndmask_b32_e64 v2, v17, v2, s1
	v_cndmask_b32_e64 v13, v38, v13, s1
	;; [unrolled: 1-line block ×3, first 2 shown]
	;;#ASMSTART
	v_pk_mul_f16 v5, v146, v5;

	;;#ASMEND
	;;#ASMSTART
	v_pk_mul_f16 v2, v145, v2;

	;;#ASMEND
	;; [unrolled: 4-line block ×4, first 2 shown]
	;;#ASMSTART
	v_pk_add_f16 v2, v5, v2;

	;;#ASMEND
	;;#ASMSTART
	v_pk_add_f16 v2, v2, v13;

	;;#ASMEND
	;; [unrolled: 4-line block ×3, first 2 shown]
	v_and_b32_e32 v4, 0xffff, v2
	v_lshrrev_b32_e32 v2, 16, v2
	;;#ASMSTART
	v_cvt_f32_f16 v180, v4;
	;;#ASMEND
	;;#ASMSTART
	v_cvt_f32_f16 v181, v2;
	;;#ASMEND
	flat_load_b64 v[13:14], v[11:12] offset:2304
	flat_load_b32 v4, v[26:27]
	v_mov_b32_e32 v5, 0
	s_mov_b32 s21, exec_lo
	s_waitcnt vmcnt(1) lgkmcnt(1)
	v_and_b32_e32 v2, 0xff, v13
	s_delay_alu instid0(VALU_DEP_1)
	v_cmpx_ne_u16_e32 0, v2
	s_cbranch_execz .LBB356_2674
; %bb.2667:                             ;   in Loop: Header=BB356_2089 Depth=1
	v_bfrev_b32_e32 v5, 1
	s_mov_b32 s22, exec_lo
	v_cmpx_ne_u16_e32 0x80, v2
	s_cbranch_execz .LBB356_2673
; %bb.2668:                             ;   in Loop: Header=BB356_2089 Depth=1
	v_and_b32_e32 v17, 0x7f, v13
	v_mov_b32_e32 v5, 0x7fc02000
	s_mov_b32 s23, exec_lo
	s_delay_alu instid0(VALU_DEP_2)
	v_cmpx_ne_u32_e32 0x7f, v17
	s_cbranch_execz .LBB356_2672
; %bb.2669:                             ;   in Loop: Header=BB356_2089 Depth=1
	v_lshrrev_b32_e32 v2, 3, v17
	v_cmp_gt_u32_e64 s8, 8, v17
	v_dual_mov_b32 v18, v14 :: v_dual_mov_b32 v17, v13
	s_delay_alu instid0(VALU_DEP_2)
	s_and_saveexec_b32 s24, s8
; %bb.2670:                             ;   in Loop: Header=BB356_2089 Depth=1
	v_and_b32_e32 v2, 7, v13
	s_delay_alu instid0(VALU_DEP_1) | instskip(NEXT) | instid1(VALU_DEP_1)
	v_clz_i32_u32_e32 v2, v2
	v_min_u32_e32 v2, 32, v2
	s_delay_alu instid0(VALU_DEP_1) | instskip(SKIP_1) | instid1(VALU_DEP_2)
	v_subrev_nc_u32_e32 v5, 28, v2
	v_sub_nc_u32_e32 v2, 29, v2
	v_lshlrev_b64 v[17:18], v5, v[13:14]
; %bb.2671:                             ;   in Loop: Header=BB356_2089 Depth=1
	s_or_b32 exec_lo, exec_lo, s24
	v_lshlrev_b32_e32 v5, 8, v13
	s_delay_alu instid0(VALU_DEP_3) | instskip(NEXT) | instid1(VALU_DEP_3)
	v_lshl_add_u32 v2, v2, 10, 0x2000
	v_lshlrev_b32_e32 v17, 7, v17
	s_delay_alu instid0(VALU_DEP_2) | instskip(NEXT) | instid1(VALU_DEP_1)
	v_and_or_b32 v2, 0x8000, v5, v2
	v_and_or_b32 v2, 0x380, v17, v2
	s_delay_alu instid0(VALU_DEP_1)
	v_cvt_f32_f16_e32 v5, v2
.LBB356_2672:                           ;   in Loop: Header=BB356_2089 Depth=1
	s_or_b32 exec_lo, exec_lo, s23
.LBB356_2673:                           ;   in Loop: Header=BB356_2089 Depth=1
	s_delay_alu instid0(SALU_CYCLE_1)
	s_or_b32 exec_lo, exec_lo, s22
.LBB356_2674:                           ;   in Loop: Header=BB356_2089 Depth=1
	s_delay_alu instid0(SALU_CYCLE_1) | instskip(SKIP_2) | instid1(VALU_DEP_1)
	s_or_b32 exec_lo, exec_lo, s21
	v_lshrrev_b16 v2, 8, v13
	s_mov_b32 s21, exec_lo
	v_cmpx_ne_u16_e32 0, v2
	s_cbranch_execz .LBB356_2682
; %bb.2675:                             ;   in Loop: Header=BB356_2089 Depth=1
	v_bfrev_b32_e32 v22, 1
	s_mov_b32 s22, exec_lo
	v_cmpx_ne_u16_e32 0x80, v2
	s_cbranch_execz .LBB356_2681
; %bb.2676:                             ;   in Loop: Header=BB356_2089 Depth=1
	v_and_b32_e32 v37, 0xffff, v2
	v_mov_b32_e32 v22, 0x7fc02000
	s_mov_b32 s23, exec_lo
	s_delay_alu instid0(VALU_DEP_2) | instskip(NEXT) | instid1(VALU_DEP_1)
	v_and_b32_e32 v17, 0x7f, v37
	v_cmpx_ne_u32_e32 0x7f, v17
	s_cbranch_execz .LBB356_2680
; %bb.2677:                             ;   in Loop: Header=BB356_2089 Depth=1
	v_and_b32_e32 v2, 7, v37
	v_lshrrev_b32_e32 v22, 3, v17
	v_cmp_gt_u32_e64 s8, 8, v17
	s_delay_alu instid0(VALU_DEP_3) | instskip(NEXT) | instid1(VALU_DEP_2)
	v_dual_mov_b32 v18, v3 :: v_dual_mov_b32 v17, v2
	s_and_saveexec_b32 s24, s8
; %bb.2678:                             ;   in Loop: Header=BB356_2089 Depth=1
	v_clz_i32_u32_e32 v17, v2
	s_delay_alu instid0(VALU_DEP_1) | instskip(NEXT) | instid1(VALU_DEP_1)
	v_min_u32_e32 v22, 32, v17
	v_subrev_nc_u32_e32 v17, 28, v22
	v_sub_nc_u32_e32 v22, 29, v22
	s_delay_alu instid0(VALU_DEP_2) | instskip(NEXT) | instid1(VALU_DEP_1)
	v_lshlrev_b64 v[17:18], v17, v[2:3]
	v_and_b32_e32 v17, 7, v17
; %bb.2679:                             ;   in Loop: Header=BB356_2089 Depth=1
	s_or_b32 exec_lo, exec_lo, s24
	v_lshlrev_b32_e32 v2, 8, v37
	v_lshl_add_u32 v18, v22, 10, 0x2000
	s_delay_alu instid0(VALU_DEP_1) | instskip(NEXT) | instid1(VALU_DEP_1)
	v_and_or_b32 v2, 0x8000, v2, v18
	v_lshl_or_b32 v2, v17, 7, v2
	s_delay_alu instid0(VALU_DEP_1)
	v_cvt_f32_f16_e32 v22, v2
.LBB356_2680:                           ;   in Loop: Header=BB356_2089 Depth=1
	s_or_b32 exec_lo, exec_lo, s23
.LBB356_2681:                           ;   in Loop: Header=BB356_2089 Depth=1
	s_delay_alu instid0(SALU_CYCLE_1)
	s_or_b32 exec_lo, exec_lo, s22
.LBB356_2682:                           ;   in Loop: Header=BB356_2089 Depth=1
	s_delay_alu instid0(SALU_CYCLE_1) | instskip(SKIP_3) | instid1(VALU_DEP_2)
	s_or_b32 exec_lo, exec_lo, s21
	v_lshrrev_b32_e32 v39, 16, v13
	v_mov_b32_e32 v38, 0
	s_mov_b32 s21, exec_lo
	v_dual_mov_b32 v37, 0 :: v_dual_and_b32 v2, 0xff, v39
	s_delay_alu instid0(VALU_DEP_1)
	v_cmpx_ne_u16_e32 0, v2
	s_cbranch_execz .LBB356_2690
; %bb.2683:                             ;   in Loop: Header=BB356_2089 Depth=1
	v_bfrev_b32_e32 v37, 1
	s_mov_b32 s22, exec_lo
	v_cmpx_ne_u16_e32 0x80, v2
	s_cbranch_execz .LBB356_2689
; %bb.2684:                             ;   in Loop: Header=BB356_2089 Depth=1
	v_bfe_u32 v17, v13, 16, 7
	v_mov_b32_e32 v37, 0x7fc02000
	s_mov_b32 s23, exec_lo
	s_delay_alu instid0(VALU_DEP_2)
	v_cmpx_ne_u32_e32 0x7f, v17
	s_cbranch_execz .LBB356_2688
; %bb.2685:                             ;   in Loop: Header=BB356_2089 Depth=1
	v_and_b32_e32 v2, 7, v39
	v_lshrrev_b32_e32 v37, 3, v17
	v_cmp_gt_u32_e64 s8, 8, v17
	s_delay_alu instid0(VALU_DEP_3) | instskip(NEXT) | instid1(VALU_DEP_2)
	v_dual_mov_b32 v18, v3 :: v_dual_mov_b32 v17, v2
	s_and_saveexec_b32 s24, s8
; %bb.2686:                             ;   in Loop: Header=BB356_2089 Depth=1
	v_clz_i32_u32_e32 v17, v2
	s_delay_alu instid0(VALU_DEP_1) | instskip(NEXT) | instid1(VALU_DEP_1)
	v_min_u32_e32 v37, 32, v17
	v_subrev_nc_u32_e32 v17, 28, v37
	v_sub_nc_u32_e32 v37, 29, v37
	s_delay_alu instid0(VALU_DEP_2) | instskip(NEXT) | instid1(VALU_DEP_1)
	v_lshlrev_b64 v[17:18], v17, v[2:3]
	v_and_b32_e32 v17, 7, v17
; %bb.2687:                             ;   in Loop: Header=BB356_2089 Depth=1
	s_or_b32 exec_lo, exec_lo, s24
	v_lshlrev_b32_e32 v2, 8, v39
	v_lshl_add_u32 v18, v37, 10, 0x2000
	s_delay_alu instid0(VALU_DEP_1) | instskip(NEXT) | instid1(VALU_DEP_1)
	v_and_or_b32 v2, 0x8000, v2, v18
	v_lshl_or_b32 v2, v17, 7, v2
	s_delay_alu instid0(VALU_DEP_1)
	v_cvt_f32_f16_e32 v37, v2
.LBB356_2688:                           ;   in Loop: Header=BB356_2089 Depth=1
	s_or_b32 exec_lo, exec_lo, s23
.LBB356_2689:                           ;   in Loop: Header=BB356_2089 Depth=1
	s_delay_alu instid0(SALU_CYCLE_1)
	s_or_b32 exec_lo, exec_lo, s22
.LBB356_2690:                           ;   in Loop: Header=BB356_2089 Depth=1
	s_delay_alu instid0(SALU_CYCLE_1) | instskip(NEXT) | instid1(SALU_CYCLE_1)
	s_or_b32 exec_lo, exec_lo, s21
	s_mov_b32 s21, exec_lo
	v_cmpx_lt_u32_e32 0xffffff, v13
	s_cbranch_execz .LBB356_2698
; %bb.2691:                             ;   in Loop: Header=BB356_2089 Depth=1
	v_lshrrev_b32_e32 v39, 24, v13
	v_bfrev_b32_e32 v38, 1
	s_mov_b32 s22, exec_lo
	s_delay_alu instid0(VALU_DEP_2)
	v_cmpx_ne_u32_e32 0x80, v39
	s_cbranch_execz .LBB356_2697
; %bb.2692:                             ;   in Loop: Header=BB356_2089 Depth=1
	v_and_b32_e32 v17, 0x7f, v39
	v_mov_b32_e32 v38, 0x7fc02000
	s_mov_b32 s23, exec_lo
	s_delay_alu instid0(VALU_DEP_2)
	v_cmpx_ne_u32_e32 0x7f, v17
	s_cbranch_execz .LBB356_2696
; %bb.2693:                             ;   in Loop: Header=BB356_2089 Depth=1
	v_and_b32_e32 v2, 7, v39
	v_lshrrev_b32_e32 v38, 3, v17
	v_cmp_gt_u32_e64 s8, 8, v17
	s_delay_alu instid0(VALU_DEP_3) | instskip(NEXT) | instid1(VALU_DEP_2)
	v_dual_mov_b32 v18, v3 :: v_dual_mov_b32 v17, v2
	s_and_saveexec_b32 s24, s8
; %bb.2694:                             ;   in Loop: Header=BB356_2089 Depth=1
	v_clz_i32_u32_e32 v17, v2
	s_delay_alu instid0(VALU_DEP_1) | instskip(NEXT) | instid1(VALU_DEP_1)
	v_min_u32_e32 v38, 32, v17
	v_subrev_nc_u32_e32 v17, 28, v38
	v_sub_nc_u32_e32 v38, 29, v38
	s_delay_alu instid0(VALU_DEP_2) | instskip(NEXT) | instid1(VALU_DEP_1)
	v_lshlrev_b64 v[17:18], v17, v[2:3]
	v_and_b32_e32 v17, 7, v17
; %bb.2695:                             ;   in Loop: Header=BB356_2089 Depth=1
	s_or_b32 exec_lo, exec_lo, s24
	v_lshlrev_b32_e32 v2, 8, v39
	v_lshl_add_u32 v18, v38, 10, 0x2000
	s_delay_alu instid0(VALU_DEP_1) | instskip(NEXT) | instid1(VALU_DEP_1)
	v_and_or_b32 v2, 0x8000, v2, v18
	v_lshl_or_b32 v2, v17, 7, v2
	s_delay_alu instid0(VALU_DEP_1)
	v_cvt_f32_f16_e32 v38, v2
.LBB356_2696:                           ;   in Loop: Header=BB356_2089 Depth=1
	s_or_b32 exec_lo, exec_lo, s23
.LBB356_2697:                           ;   in Loop: Header=BB356_2089 Depth=1
	s_delay_alu instid0(SALU_CYCLE_1)
	s_or_b32 exec_lo, exec_lo, s22
.LBB356_2698:                           ;   in Loop: Header=BB356_2089 Depth=1
	s_delay_alu instid0(SALU_CYCLE_1) | instskip(SKIP_3) | instid1(VALU_DEP_2)
	s_or_b32 exec_lo, exec_lo, s21
	v_dual_mov_b32 v2, v14 :: v_dual_and_b32 v17, 0xff, v14
	v_dual_mov_b32 v48, 0 :: v_dual_mov_b32 v39, 0
	s_mov_b32 s21, exec_lo
	v_cmpx_ne_u16_e32 0, v17
	s_cbranch_execz .LBB356_2706
; %bb.2699:                             ;   in Loop: Header=BB356_2089 Depth=1
	v_bfrev_b32_e32 v39, 1
	s_mov_b32 s22, exec_lo
	v_cmpx_ne_u16_e32 0x80, v17
	s_cbranch_execz .LBB356_2705
; %bb.2700:                             ;   in Loop: Header=BB356_2089 Depth=1
	v_and_b32_e32 v17, 0x7f, v14
	v_mov_b32_e32 v39, 0x7fc02000
	s_mov_b32 s23, exec_lo
	s_delay_alu instid0(VALU_DEP_2)
	v_cmpx_ne_u32_e32 0x7f, v17
	s_cbranch_execz .LBB356_2704
; %bb.2701:                             ;   in Loop: Header=BB356_2089 Depth=1
	v_lshrrev_b32_e32 v39, 3, v17
	v_cmp_gt_u32_e64 s8, 8, v17
	v_dual_mov_b32 v18, v3 :: v_dual_mov_b32 v17, v2
	s_delay_alu instid0(VALU_DEP_2)
	s_and_saveexec_b32 s24, s8
; %bb.2702:                             ;   in Loop: Header=BB356_2089 Depth=1
	v_and_b32_e32 v17, 7, v14
	s_delay_alu instid0(VALU_DEP_1) | instskip(NEXT) | instid1(VALU_DEP_1)
	v_clz_i32_u32_e32 v17, v17
	v_min_u32_e32 v39, 32, v17
	s_delay_alu instid0(VALU_DEP_1) | instskip(SKIP_1) | instid1(VALU_DEP_2)
	v_subrev_nc_u32_e32 v17, 28, v39
	v_sub_nc_u32_e32 v39, 29, v39
	v_lshlrev_b64 v[17:18], v17, v[2:3]
; %bb.2703:                             ;   in Loop: Header=BB356_2089 Depth=1
	s_or_b32 exec_lo, exec_lo, s24
	v_lshlrev_b32_e32 v18, 8, v14
	s_delay_alu instid0(VALU_DEP_3) | instskip(NEXT) | instid1(VALU_DEP_3)
	v_lshl_add_u32 v39, v39, 10, 0x2000
	v_lshlrev_b32_e32 v17, 7, v17
	s_delay_alu instid0(VALU_DEP_2) | instskip(NEXT) | instid1(VALU_DEP_1)
	v_and_or_b32 v18, 0x8000, v18, v39
	v_and_or_b32 v17, 0x380, v17, v18
	s_delay_alu instid0(VALU_DEP_1)
	v_cvt_f32_f16_e32 v39, v17
.LBB356_2704:                           ;   in Loop: Header=BB356_2089 Depth=1
	s_or_b32 exec_lo, exec_lo, s23
.LBB356_2705:                           ;   in Loop: Header=BB356_2089 Depth=1
	s_delay_alu instid0(SALU_CYCLE_1)
	s_or_b32 exec_lo, exec_lo, s22
.LBB356_2706:                           ;   in Loop: Header=BB356_2089 Depth=1
	s_delay_alu instid0(SALU_CYCLE_1) | instskip(SKIP_2) | instid1(VALU_DEP_1)
	s_or_b32 exec_lo, exec_lo, s21
	v_lshrrev_b16 v2, 8, v2
	s_mov_b32 s21, exec_lo
	v_cmpx_ne_u16_e32 0, v2
	s_cbranch_execz .LBB356_2714
; %bb.2707:                             ;   in Loop: Header=BB356_2089 Depth=1
	v_bfrev_b32_e32 v48, 1
	s_mov_b32 s22, exec_lo
	v_cmpx_ne_u16_e32 0x80, v2
	s_cbranch_execz .LBB356_2713
; %bb.2708:                             ;   in Loop: Header=BB356_2089 Depth=1
	v_and_b32_e32 v49, 0xffff, v2
	v_mov_b32_e32 v48, 0x7fc02000
	s_mov_b32 s23, exec_lo
	s_delay_alu instid0(VALU_DEP_2) | instskip(NEXT) | instid1(VALU_DEP_1)
	v_and_b32_e32 v17, 0x7f, v49
	v_cmpx_ne_u32_e32 0x7f, v17
	s_cbranch_execz .LBB356_2712
; %bb.2709:                             ;   in Loop: Header=BB356_2089 Depth=1
	v_and_b32_e32 v2, 7, v49
	v_lshrrev_b32_e32 v48, 3, v17
	v_cmp_gt_u32_e64 s8, 8, v17
	s_delay_alu instid0(VALU_DEP_3) | instskip(NEXT) | instid1(VALU_DEP_2)
	v_dual_mov_b32 v18, v3 :: v_dual_mov_b32 v17, v2
	s_and_saveexec_b32 s24, s8
; %bb.2710:                             ;   in Loop: Header=BB356_2089 Depth=1
	v_clz_i32_u32_e32 v17, v2
	s_delay_alu instid0(VALU_DEP_1) | instskip(NEXT) | instid1(VALU_DEP_1)
	v_min_u32_e32 v48, 32, v17
	v_subrev_nc_u32_e32 v17, 28, v48
	v_sub_nc_u32_e32 v48, 29, v48
	s_delay_alu instid0(VALU_DEP_2) | instskip(NEXT) | instid1(VALU_DEP_1)
	v_lshlrev_b64 v[17:18], v17, v[2:3]
	v_and_b32_e32 v17, 7, v17
; %bb.2711:                             ;   in Loop: Header=BB356_2089 Depth=1
	s_or_b32 exec_lo, exec_lo, s24
	v_lshlrev_b32_e32 v2, 8, v49
	v_lshl_add_u32 v18, v48, 10, 0x2000
	s_delay_alu instid0(VALU_DEP_1) | instskip(NEXT) | instid1(VALU_DEP_1)
	v_and_or_b32 v2, 0x8000, v2, v18
	v_lshl_or_b32 v2, v17, 7, v2
	s_delay_alu instid0(VALU_DEP_1)
	v_cvt_f32_f16_e32 v48, v2
.LBB356_2712:                           ;   in Loop: Header=BB356_2089 Depth=1
	s_or_b32 exec_lo, exec_lo, s23
.LBB356_2713:                           ;   in Loop: Header=BB356_2089 Depth=1
	s_delay_alu instid0(SALU_CYCLE_1)
	s_or_b32 exec_lo, exec_lo, s22
.LBB356_2714:                           ;   in Loop: Header=BB356_2089 Depth=1
	s_delay_alu instid0(SALU_CYCLE_1) | instskip(SKIP_3) | instid1(VALU_DEP_2)
	s_or_b32 exec_lo, exec_lo, s21
	v_lshrrev_b32_e32 v50, 16, v14
	v_mov_b32_e32 v17, 0
	s_mov_b32 s21, exec_lo
	v_dual_mov_b32 v49, 0 :: v_dual_and_b32 v2, 0xff, v50
	s_delay_alu instid0(VALU_DEP_1)
	v_cmpx_ne_u16_e32 0, v2
	s_cbranch_execz .LBB356_2722
; %bb.2715:                             ;   in Loop: Header=BB356_2089 Depth=1
	v_bfrev_b32_e32 v17, 1
	s_mov_b32 s22, exec_lo
	v_cmpx_ne_u16_e32 0x80, v2
	s_cbranch_execz .LBB356_2721
; %bb.2716:                             ;   in Loop: Header=BB356_2089 Depth=1
	v_bfe_u32 v18, v14, 16, 7
	v_mov_b32_e32 v17, 0x7fc02000
	s_mov_b32 s23, exec_lo
	s_delay_alu instid0(VALU_DEP_2)
	v_cmpx_ne_u32_e32 0x7f, v18
	s_cbranch_execz .LBB356_2720
; %bb.2717:                             ;   in Loop: Header=BB356_2089 Depth=1
	v_and_b32_e32 v2, 7, v50
	v_lshrrev_b32_e32 v51, 3, v18
	v_cmp_gt_u32_e64 s8, 8, v18
	s_delay_alu instid0(VALU_DEP_3) | instskip(NEXT) | instid1(VALU_DEP_2)
	v_dual_mov_b32 v18, v3 :: v_dual_mov_b32 v17, v2
	s_and_saveexec_b32 s24, s8
; %bb.2718:                             ;   in Loop: Header=BB356_2089 Depth=1
	v_clz_i32_u32_e32 v17, v2
	s_delay_alu instid0(VALU_DEP_1) | instskip(NEXT) | instid1(VALU_DEP_1)
	v_min_u32_e32 v51, 32, v17
	v_subrev_nc_u32_e32 v17, 28, v51
	v_sub_nc_u32_e32 v51, 29, v51
	s_delay_alu instid0(VALU_DEP_2) | instskip(NEXT) | instid1(VALU_DEP_1)
	v_lshlrev_b64 v[17:18], v17, v[2:3]
	v_and_b32_e32 v17, 7, v17
; %bb.2719:                             ;   in Loop: Header=BB356_2089 Depth=1
	s_or_b32 exec_lo, exec_lo, s24
	v_lshlrev_b32_e32 v2, 8, v50
	v_lshl_add_u32 v18, v51, 10, 0x2000
	s_delay_alu instid0(VALU_DEP_1) | instskip(NEXT) | instid1(VALU_DEP_1)
	v_and_or_b32 v2, 0x8000, v2, v18
	v_lshl_or_b32 v2, v17, 7, v2
	s_delay_alu instid0(VALU_DEP_1)
	v_cvt_f32_f16_e32 v17, v2
.LBB356_2720:                           ;   in Loop: Header=BB356_2089 Depth=1
	s_or_b32 exec_lo, exec_lo, s23
.LBB356_2721:                           ;   in Loop: Header=BB356_2089 Depth=1
	s_delay_alu instid0(SALU_CYCLE_1)
	s_or_b32 exec_lo, exec_lo, s22
.LBB356_2722:                           ;   in Loop: Header=BB356_2089 Depth=1
	s_delay_alu instid0(SALU_CYCLE_1) | instskip(NEXT) | instid1(SALU_CYCLE_1)
	s_or_b32 exec_lo, exec_lo, s21
	s_mov_b32 s21, exec_lo
	v_cmpx_lt_u64_e64 s[18:19], v[13:14]
	s_cbranch_execz .LBB356_2730
; %bb.2723:                             ;   in Loop: Header=BB356_2089 Depth=1
	v_lshrrev_b32_e32 v18, 24, v14
	v_bfrev_b32_e32 v49, 1
	s_mov_b32 s22, exec_lo
	s_delay_alu instid0(VALU_DEP_2)
	v_cmpx_ne_u32_e32 0x80, v18
	s_cbranch_execz .LBB356_2729
; %bb.2724:                             ;   in Loop: Header=BB356_2089 Depth=1
	v_and_b32_e32 v13, 0x7f, v18
	v_mov_b32_e32 v49, 0x7fc02000
	s_mov_b32 s23, exec_lo
	s_delay_alu instid0(VALU_DEP_2)
	v_cmpx_ne_u32_e32 0x7f, v13
	s_cbranch_execz .LBB356_2728
; %bb.2725:                             ;   in Loop: Header=BB356_2089 Depth=1
	v_and_b32_e32 v2, 7, v18
	v_lshrrev_b32_e32 v49, 3, v13
	v_cmp_gt_u32_e64 s8, 8, v13
	s_delay_alu instid0(VALU_DEP_3) | instskip(NEXT) | instid1(VALU_DEP_2)
	v_dual_mov_b32 v14, v3 :: v_dual_mov_b32 v13, v2
	s_and_saveexec_b32 s24, s8
; %bb.2726:                             ;   in Loop: Header=BB356_2089 Depth=1
	v_clz_i32_u32_e32 v13, v2
	s_delay_alu instid0(VALU_DEP_1) | instskip(NEXT) | instid1(VALU_DEP_1)
	v_min_u32_e32 v49, 32, v13
	v_subrev_nc_u32_e32 v13, 28, v49
	v_sub_nc_u32_e32 v49, 29, v49
	s_delay_alu instid0(VALU_DEP_2) | instskip(NEXT) | instid1(VALU_DEP_1)
	v_lshlrev_b64 v[13:14], v13, v[2:3]
	v_and_b32_e32 v13, 7, v13
; %bb.2727:                             ;   in Loop: Header=BB356_2089 Depth=1
	s_or_b32 exec_lo, exec_lo, s24
	v_lshlrev_b32_e32 v2, 8, v18
	v_lshl_add_u32 v14, v49, 10, 0x2000
	s_delay_alu instid0(VALU_DEP_1) | instskip(NEXT) | instid1(VALU_DEP_1)
	v_and_or_b32 v2, 0x8000, v2, v14
	v_lshl_or_b32 v2, v13, 7, v2
	s_delay_alu instid0(VALU_DEP_1)
	v_cvt_f32_f16_e32 v49, v2
.LBB356_2728:                           ;   in Loop: Header=BB356_2089 Depth=1
	s_or_b32 exec_lo, exec_lo, s23
.LBB356_2729:                           ;   in Loop: Header=BB356_2089 Depth=1
	s_delay_alu instid0(SALU_CYCLE_1)
	s_or_b32 exec_lo, exec_lo, s22
.LBB356_2730:                           ;   in Loop: Header=BB356_2089 Depth=1
	s_delay_alu instid0(SALU_CYCLE_1)
	s_or_b32 exec_lo, exec_lo, s21
	s_waitcnt vmcnt(0) lgkmcnt(0)
	v_fma_mixlo_f16 v2, v4, v38, 0
	v_fma_mixlo_f16 v13, v4, v37, 0
	;; [unrolled: 1-line block ×5, first 2 shown]
	v_lshlrev_b32_e32 v22, 16, v2
	v_fma_mixlo_f16 v37, v4, v39, 0
	v_and_b32_e32 v38, 0xffff, v13
	v_lshlrev_b32_e32 v39, 16, v14
	v_and_b32_e32 v48, 0xffff, v5
	v_fma_mixlo_f16 v49, v4, v49, 0
	v_fma_mixlo_f16 v4, v4, v17, 0
	v_cndmask_b32_e32 v5, 0, v5, vcc_lo
	v_cndmask_b32_e64 v14, 0, v14, s0
	v_cndmask_b32_e64 v13, 0, v13, s2
	;; [unrolled: 1-line block ×3, first 2 shown]
	v_lshlrev_b32_e32 v50, 16, v18
	v_and_b32_e32 v51, 0xffff, v37
	v_or_b32_e32 v17, v22, v38
	v_or_b32_e32 v22, v39, v48
	v_lshlrev_b32_e32 v39, 16, v49
	v_and_b32_e32 v48, 0xffff, v4
	v_cndmask_b32_e64 v37, 0, v37, s6
	v_cndmask_b32_e64 v18, 0, v18, s7
	;; [unrolled: 1-line block ×4, first 2 shown]
	v_perm_b32 v5, v14, v5, 0x5040100
	v_perm_b32 v2, v2, v13, 0x5040100
	v_or_b32_e32 v38, v50, v51
	v_or_b32_e32 v39, v39, v48
	v_perm_b32 v13, v18, v37, 0x5040100
	v_perm_b32 v4, v49, v4, 0x5040100
	v_cndmask_b32_e64 v5, v22, v5, s1
	v_mov_b32_e32 v22, 0
	v_cndmask_b32_e64 v2, v17, v2, s1
	v_cndmask_b32_e64 v13, v38, v13, s1
	v_cndmask_b32_e64 v4, v39, v4, s1
	;;#ASMSTART
	v_pk_mul_f16 v5, v146, v5;

	;;#ASMEND
	;;#ASMSTART
	v_pk_mul_f16 v2, v145, v2;

	;;#ASMEND
	;; [unrolled: 4-line block ×4, first 2 shown]
	;;#ASMSTART
	v_pk_add_f16 v2, v5, v2;

	;;#ASMEND
	;;#ASMSTART
	v_pk_add_f16 v2, v2, v13;

	;;#ASMEND
	;;#ASMSTART
	v_pk_add_f16 v2, v2, v4;

	;;#ASMEND
	v_and_b32_e32 v4, 0xffff, v2
	v_lshrrev_b32_e32 v2, 16, v2
	;;#ASMSTART
	v_cvt_f32_f16 v182, v4;
	;;#ASMEND
	;;#ASMSTART
	v_cvt_f32_f16 v183, v2;
	;;#ASMEND
	flat_load_b64 v[13:14], v[11:12] offset:2560
	flat_load_b32 v4, v[26:27]
	v_mov_b32_e32 v5, 0
	s_mov_b32 s21, exec_lo
	s_waitcnt vmcnt(1) lgkmcnt(1)
	v_and_b32_e32 v2, 0xff, v13
	s_delay_alu instid0(VALU_DEP_1)
	v_cmpx_ne_u16_e32 0, v2
	s_cbranch_execz .LBB356_2738
; %bb.2731:                             ;   in Loop: Header=BB356_2089 Depth=1
	v_bfrev_b32_e32 v5, 1
	s_mov_b32 s22, exec_lo
	v_cmpx_ne_u16_e32 0x80, v2
	s_cbranch_execz .LBB356_2737
; %bb.2732:                             ;   in Loop: Header=BB356_2089 Depth=1
	v_and_b32_e32 v17, 0x7f, v13
	v_mov_b32_e32 v5, 0x7fc02000
	s_mov_b32 s23, exec_lo
	s_delay_alu instid0(VALU_DEP_2)
	v_cmpx_ne_u32_e32 0x7f, v17
	s_cbranch_execz .LBB356_2736
; %bb.2733:                             ;   in Loop: Header=BB356_2089 Depth=1
	v_lshrrev_b32_e32 v2, 3, v17
	v_cmp_gt_u32_e64 s8, 8, v17
	v_dual_mov_b32 v18, v14 :: v_dual_mov_b32 v17, v13
	s_delay_alu instid0(VALU_DEP_2)
	s_and_saveexec_b32 s24, s8
; %bb.2734:                             ;   in Loop: Header=BB356_2089 Depth=1
	v_and_b32_e32 v2, 7, v13
	s_delay_alu instid0(VALU_DEP_1) | instskip(NEXT) | instid1(VALU_DEP_1)
	v_clz_i32_u32_e32 v2, v2
	v_min_u32_e32 v2, 32, v2
	s_delay_alu instid0(VALU_DEP_1) | instskip(SKIP_1) | instid1(VALU_DEP_2)
	v_subrev_nc_u32_e32 v5, 28, v2
	v_sub_nc_u32_e32 v2, 29, v2
	v_lshlrev_b64 v[17:18], v5, v[13:14]
; %bb.2735:                             ;   in Loop: Header=BB356_2089 Depth=1
	s_or_b32 exec_lo, exec_lo, s24
	v_lshlrev_b32_e32 v5, 8, v13
	s_delay_alu instid0(VALU_DEP_3) | instskip(NEXT) | instid1(VALU_DEP_3)
	v_lshl_add_u32 v2, v2, 10, 0x2000
	v_lshlrev_b32_e32 v17, 7, v17
	s_delay_alu instid0(VALU_DEP_2) | instskip(NEXT) | instid1(VALU_DEP_1)
	v_and_or_b32 v2, 0x8000, v5, v2
	v_and_or_b32 v2, 0x380, v17, v2
	s_delay_alu instid0(VALU_DEP_1)
	v_cvt_f32_f16_e32 v5, v2
.LBB356_2736:                           ;   in Loop: Header=BB356_2089 Depth=1
	s_or_b32 exec_lo, exec_lo, s23
.LBB356_2737:                           ;   in Loop: Header=BB356_2089 Depth=1
	s_delay_alu instid0(SALU_CYCLE_1)
	s_or_b32 exec_lo, exec_lo, s22
.LBB356_2738:                           ;   in Loop: Header=BB356_2089 Depth=1
	s_delay_alu instid0(SALU_CYCLE_1) | instskip(SKIP_2) | instid1(VALU_DEP_1)
	s_or_b32 exec_lo, exec_lo, s21
	v_lshrrev_b16 v2, 8, v13
	s_mov_b32 s21, exec_lo
	v_cmpx_ne_u16_e32 0, v2
	s_cbranch_execz .LBB356_2746
; %bb.2739:                             ;   in Loop: Header=BB356_2089 Depth=1
	v_bfrev_b32_e32 v22, 1
	s_mov_b32 s22, exec_lo
	v_cmpx_ne_u16_e32 0x80, v2
	s_cbranch_execz .LBB356_2745
; %bb.2740:                             ;   in Loop: Header=BB356_2089 Depth=1
	v_and_b32_e32 v37, 0xffff, v2
	v_mov_b32_e32 v22, 0x7fc02000
	s_mov_b32 s23, exec_lo
	s_delay_alu instid0(VALU_DEP_2) | instskip(NEXT) | instid1(VALU_DEP_1)
	v_and_b32_e32 v17, 0x7f, v37
	v_cmpx_ne_u32_e32 0x7f, v17
	s_cbranch_execz .LBB356_2744
; %bb.2741:                             ;   in Loop: Header=BB356_2089 Depth=1
	v_and_b32_e32 v2, 7, v37
	v_lshrrev_b32_e32 v22, 3, v17
	v_cmp_gt_u32_e64 s8, 8, v17
	s_delay_alu instid0(VALU_DEP_3) | instskip(NEXT) | instid1(VALU_DEP_2)
	v_dual_mov_b32 v18, v3 :: v_dual_mov_b32 v17, v2
	s_and_saveexec_b32 s24, s8
; %bb.2742:                             ;   in Loop: Header=BB356_2089 Depth=1
	v_clz_i32_u32_e32 v17, v2
	s_delay_alu instid0(VALU_DEP_1) | instskip(NEXT) | instid1(VALU_DEP_1)
	v_min_u32_e32 v22, 32, v17
	v_subrev_nc_u32_e32 v17, 28, v22
	v_sub_nc_u32_e32 v22, 29, v22
	s_delay_alu instid0(VALU_DEP_2) | instskip(NEXT) | instid1(VALU_DEP_1)
	v_lshlrev_b64 v[17:18], v17, v[2:3]
	v_and_b32_e32 v17, 7, v17
; %bb.2743:                             ;   in Loop: Header=BB356_2089 Depth=1
	s_or_b32 exec_lo, exec_lo, s24
	v_lshlrev_b32_e32 v2, 8, v37
	v_lshl_add_u32 v18, v22, 10, 0x2000
	s_delay_alu instid0(VALU_DEP_1) | instskip(NEXT) | instid1(VALU_DEP_1)
	v_and_or_b32 v2, 0x8000, v2, v18
	v_lshl_or_b32 v2, v17, 7, v2
	s_delay_alu instid0(VALU_DEP_1)
	v_cvt_f32_f16_e32 v22, v2
.LBB356_2744:                           ;   in Loop: Header=BB356_2089 Depth=1
	s_or_b32 exec_lo, exec_lo, s23
.LBB356_2745:                           ;   in Loop: Header=BB356_2089 Depth=1
	s_delay_alu instid0(SALU_CYCLE_1)
	s_or_b32 exec_lo, exec_lo, s22
.LBB356_2746:                           ;   in Loop: Header=BB356_2089 Depth=1
	s_delay_alu instid0(SALU_CYCLE_1) | instskip(SKIP_3) | instid1(VALU_DEP_2)
	s_or_b32 exec_lo, exec_lo, s21
	v_lshrrev_b32_e32 v39, 16, v13
	v_mov_b32_e32 v38, 0
	s_mov_b32 s21, exec_lo
	v_dual_mov_b32 v37, 0 :: v_dual_and_b32 v2, 0xff, v39
	s_delay_alu instid0(VALU_DEP_1)
	v_cmpx_ne_u16_e32 0, v2
	s_cbranch_execz .LBB356_2754
; %bb.2747:                             ;   in Loop: Header=BB356_2089 Depth=1
	v_bfrev_b32_e32 v37, 1
	s_mov_b32 s22, exec_lo
	v_cmpx_ne_u16_e32 0x80, v2
	s_cbranch_execz .LBB356_2753
; %bb.2748:                             ;   in Loop: Header=BB356_2089 Depth=1
	v_bfe_u32 v17, v13, 16, 7
	v_mov_b32_e32 v37, 0x7fc02000
	s_mov_b32 s23, exec_lo
	s_delay_alu instid0(VALU_DEP_2)
	v_cmpx_ne_u32_e32 0x7f, v17
	s_cbranch_execz .LBB356_2752
; %bb.2749:                             ;   in Loop: Header=BB356_2089 Depth=1
	v_and_b32_e32 v2, 7, v39
	v_lshrrev_b32_e32 v37, 3, v17
	v_cmp_gt_u32_e64 s8, 8, v17
	s_delay_alu instid0(VALU_DEP_3) | instskip(NEXT) | instid1(VALU_DEP_2)
	v_dual_mov_b32 v18, v3 :: v_dual_mov_b32 v17, v2
	s_and_saveexec_b32 s24, s8
; %bb.2750:                             ;   in Loop: Header=BB356_2089 Depth=1
	v_clz_i32_u32_e32 v17, v2
	s_delay_alu instid0(VALU_DEP_1) | instskip(NEXT) | instid1(VALU_DEP_1)
	v_min_u32_e32 v37, 32, v17
	v_subrev_nc_u32_e32 v17, 28, v37
	v_sub_nc_u32_e32 v37, 29, v37
	s_delay_alu instid0(VALU_DEP_2) | instskip(NEXT) | instid1(VALU_DEP_1)
	v_lshlrev_b64 v[17:18], v17, v[2:3]
	v_and_b32_e32 v17, 7, v17
; %bb.2751:                             ;   in Loop: Header=BB356_2089 Depth=1
	s_or_b32 exec_lo, exec_lo, s24
	v_lshlrev_b32_e32 v2, 8, v39
	v_lshl_add_u32 v18, v37, 10, 0x2000
	s_delay_alu instid0(VALU_DEP_1) | instskip(NEXT) | instid1(VALU_DEP_1)
	v_and_or_b32 v2, 0x8000, v2, v18
	v_lshl_or_b32 v2, v17, 7, v2
	s_delay_alu instid0(VALU_DEP_1)
	v_cvt_f32_f16_e32 v37, v2
.LBB356_2752:                           ;   in Loop: Header=BB356_2089 Depth=1
	s_or_b32 exec_lo, exec_lo, s23
.LBB356_2753:                           ;   in Loop: Header=BB356_2089 Depth=1
	s_delay_alu instid0(SALU_CYCLE_1)
	s_or_b32 exec_lo, exec_lo, s22
.LBB356_2754:                           ;   in Loop: Header=BB356_2089 Depth=1
	s_delay_alu instid0(SALU_CYCLE_1) | instskip(NEXT) | instid1(SALU_CYCLE_1)
	s_or_b32 exec_lo, exec_lo, s21
	s_mov_b32 s21, exec_lo
	v_cmpx_lt_u32_e32 0xffffff, v13
	s_cbranch_execz .LBB356_2762
; %bb.2755:                             ;   in Loop: Header=BB356_2089 Depth=1
	v_lshrrev_b32_e32 v39, 24, v13
	v_bfrev_b32_e32 v38, 1
	s_mov_b32 s22, exec_lo
	s_delay_alu instid0(VALU_DEP_2)
	v_cmpx_ne_u32_e32 0x80, v39
	s_cbranch_execz .LBB356_2761
; %bb.2756:                             ;   in Loop: Header=BB356_2089 Depth=1
	v_and_b32_e32 v17, 0x7f, v39
	v_mov_b32_e32 v38, 0x7fc02000
	s_mov_b32 s23, exec_lo
	s_delay_alu instid0(VALU_DEP_2)
	v_cmpx_ne_u32_e32 0x7f, v17
	s_cbranch_execz .LBB356_2760
; %bb.2757:                             ;   in Loop: Header=BB356_2089 Depth=1
	v_and_b32_e32 v2, 7, v39
	v_lshrrev_b32_e32 v38, 3, v17
	v_cmp_gt_u32_e64 s8, 8, v17
	s_delay_alu instid0(VALU_DEP_3) | instskip(NEXT) | instid1(VALU_DEP_2)
	v_dual_mov_b32 v18, v3 :: v_dual_mov_b32 v17, v2
	s_and_saveexec_b32 s24, s8
; %bb.2758:                             ;   in Loop: Header=BB356_2089 Depth=1
	v_clz_i32_u32_e32 v17, v2
	s_delay_alu instid0(VALU_DEP_1) | instskip(NEXT) | instid1(VALU_DEP_1)
	v_min_u32_e32 v38, 32, v17
	v_subrev_nc_u32_e32 v17, 28, v38
	v_sub_nc_u32_e32 v38, 29, v38
	s_delay_alu instid0(VALU_DEP_2) | instskip(NEXT) | instid1(VALU_DEP_1)
	v_lshlrev_b64 v[17:18], v17, v[2:3]
	v_and_b32_e32 v17, 7, v17
; %bb.2759:                             ;   in Loop: Header=BB356_2089 Depth=1
	s_or_b32 exec_lo, exec_lo, s24
	v_lshlrev_b32_e32 v2, 8, v39
	v_lshl_add_u32 v18, v38, 10, 0x2000
	s_delay_alu instid0(VALU_DEP_1) | instskip(NEXT) | instid1(VALU_DEP_1)
	v_and_or_b32 v2, 0x8000, v2, v18
	v_lshl_or_b32 v2, v17, 7, v2
	s_delay_alu instid0(VALU_DEP_1)
	v_cvt_f32_f16_e32 v38, v2
.LBB356_2760:                           ;   in Loop: Header=BB356_2089 Depth=1
	s_or_b32 exec_lo, exec_lo, s23
.LBB356_2761:                           ;   in Loop: Header=BB356_2089 Depth=1
	s_delay_alu instid0(SALU_CYCLE_1)
	s_or_b32 exec_lo, exec_lo, s22
.LBB356_2762:                           ;   in Loop: Header=BB356_2089 Depth=1
	s_delay_alu instid0(SALU_CYCLE_1) | instskip(SKIP_3) | instid1(VALU_DEP_2)
	s_or_b32 exec_lo, exec_lo, s21
	v_dual_mov_b32 v2, v14 :: v_dual_and_b32 v17, 0xff, v14
	v_dual_mov_b32 v48, 0 :: v_dual_mov_b32 v39, 0
	s_mov_b32 s21, exec_lo
	v_cmpx_ne_u16_e32 0, v17
	s_cbranch_execz .LBB356_2770
; %bb.2763:                             ;   in Loop: Header=BB356_2089 Depth=1
	v_bfrev_b32_e32 v39, 1
	s_mov_b32 s22, exec_lo
	v_cmpx_ne_u16_e32 0x80, v17
	s_cbranch_execz .LBB356_2769
; %bb.2764:                             ;   in Loop: Header=BB356_2089 Depth=1
	v_and_b32_e32 v17, 0x7f, v14
	v_mov_b32_e32 v39, 0x7fc02000
	s_mov_b32 s23, exec_lo
	s_delay_alu instid0(VALU_DEP_2)
	v_cmpx_ne_u32_e32 0x7f, v17
	s_cbranch_execz .LBB356_2768
; %bb.2765:                             ;   in Loop: Header=BB356_2089 Depth=1
	v_lshrrev_b32_e32 v39, 3, v17
	v_cmp_gt_u32_e64 s8, 8, v17
	v_dual_mov_b32 v18, v3 :: v_dual_mov_b32 v17, v2
	s_delay_alu instid0(VALU_DEP_2)
	s_and_saveexec_b32 s24, s8
; %bb.2766:                             ;   in Loop: Header=BB356_2089 Depth=1
	v_and_b32_e32 v17, 7, v14
	s_delay_alu instid0(VALU_DEP_1) | instskip(NEXT) | instid1(VALU_DEP_1)
	v_clz_i32_u32_e32 v17, v17
	v_min_u32_e32 v39, 32, v17
	s_delay_alu instid0(VALU_DEP_1) | instskip(SKIP_1) | instid1(VALU_DEP_2)
	v_subrev_nc_u32_e32 v17, 28, v39
	v_sub_nc_u32_e32 v39, 29, v39
	v_lshlrev_b64 v[17:18], v17, v[2:3]
; %bb.2767:                             ;   in Loop: Header=BB356_2089 Depth=1
	s_or_b32 exec_lo, exec_lo, s24
	v_lshlrev_b32_e32 v18, 8, v14
	s_delay_alu instid0(VALU_DEP_3) | instskip(NEXT) | instid1(VALU_DEP_3)
	v_lshl_add_u32 v39, v39, 10, 0x2000
	v_lshlrev_b32_e32 v17, 7, v17
	s_delay_alu instid0(VALU_DEP_2) | instskip(NEXT) | instid1(VALU_DEP_1)
	v_and_or_b32 v18, 0x8000, v18, v39
	v_and_or_b32 v17, 0x380, v17, v18
	s_delay_alu instid0(VALU_DEP_1)
	v_cvt_f32_f16_e32 v39, v17
.LBB356_2768:                           ;   in Loop: Header=BB356_2089 Depth=1
	s_or_b32 exec_lo, exec_lo, s23
.LBB356_2769:                           ;   in Loop: Header=BB356_2089 Depth=1
	s_delay_alu instid0(SALU_CYCLE_1)
	s_or_b32 exec_lo, exec_lo, s22
.LBB356_2770:                           ;   in Loop: Header=BB356_2089 Depth=1
	s_delay_alu instid0(SALU_CYCLE_1) | instskip(SKIP_2) | instid1(VALU_DEP_1)
	s_or_b32 exec_lo, exec_lo, s21
	v_lshrrev_b16 v2, 8, v2
	s_mov_b32 s21, exec_lo
	v_cmpx_ne_u16_e32 0, v2
	s_cbranch_execz .LBB356_2778
; %bb.2771:                             ;   in Loop: Header=BB356_2089 Depth=1
	v_bfrev_b32_e32 v48, 1
	s_mov_b32 s22, exec_lo
	v_cmpx_ne_u16_e32 0x80, v2
	s_cbranch_execz .LBB356_2777
; %bb.2772:                             ;   in Loop: Header=BB356_2089 Depth=1
	v_and_b32_e32 v49, 0xffff, v2
	v_mov_b32_e32 v48, 0x7fc02000
	s_mov_b32 s23, exec_lo
	s_delay_alu instid0(VALU_DEP_2) | instskip(NEXT) | instid1(VALU_DEP_1)
	v_and_b32_e32 v17, 0x7f, v49
	v_cmpx_ne_u32_e32 0x7f, v17
	s_cbranch_execz .LBB356_2776
; %bb.2773:                             ;   in Loop: Header=BB356_2089 Depth=1
	v_and_b32_e32 v2, 7, v49
	v_lshrrev_b32_e32 v48, 3, v17
	v_cmp_gt_u32_e64 s8, 8, v17
	s_delay_alu instid0(VALU_DEP_3) | instskip(NEXT) | instid1(VALU_DEP_2)
	v_dual_mov_b32 v18, v3 :: v_dual_mov_b32 v17, v2
	s_and_saveexec_b32 s24, s8
; %bb.2774:                             ;   in Loop: Header=BB356_2089 Depth=1
	v_clz_i32_u32_e32 v17, v2
	s_delay_alu instid0(VALU_DEP_1) | instskip(NEXT) | instid1(VALU_DEP_1)
	v_min_u32_e32 v48, 32, v17
	v_subrev_nc_u32_e32 v17, 28, v48
	v_sub_nc_u32_e32 v48, 29, v48
	s_delay_alu instid0(VALU_DEP_2) | instskip(NEXT) | instid1(VALU_DEP_1)
	v_lshlrev_b64 v[17:18], v17, v[2:3]
	v_and_b32_e32 v17, 7, v17
; %bb.2775:                             ;   in Loop: Header=BB356_2089 Depth=1
	s_or_b32 exec_lo, exec_lo, s24
	v_lshlrev_b32_e32 v2, 8, v49
	v_lshl_add_u32 v18, v48, 10, 0x2000
	s_delay_alu instid0(VALU_DEP_1) | instskip(NEXT) | instid1(VALU_DEP_1)
	v_and_or_b32 v2, 0x8000, v2, v18
	v_lshl_or_b32 v2, v17, 7, v2
	s_delay_alu instid0(VALU_DEP_1)
	v_cvt_f32_f16_e32 v48, v2
.LBB356_2776:                           ;   in Loop: Header=BB356_2089 Depth=1
	s_or_b32 exec_lo, exec_lo, s23
.LBB356_2777:                           ;   in Loop: Header=BB356_2089 Depth=1
	s_delay_alu instid0(SALU_CYCLE_1)
	s_or_b32 exec_lo, exec_lo, s22
.LBB356_2778:                           ;   in Loop: Header=BB356_2089 Depth=1
	s_delay_alu instid0(SALU_CYCLE_1) | instskip(SKIP_3) | instid1(VALU_DEP_2)
	s_or_b32 exec_lo, exec_lo, s21
	v_lshrrev_b32_e32 v50, 16, v14
	v_mov_b32_e32 v17, 0
	s_mov_b32 s21, exec_lo
	v_dual_mov_b32 v49, 0 :: v_dual_and_b32 v2, 0xff, v50
	s_delay_alu instid0(VALU_DEP_1)
	v_cmpx_ne_u16_e32 0, v2
	s_cbranch_execz .LBB356_2786
; %bb.2779:                             ;   in Loop: Header=BB356_2089 Depth=1
	v_bfrev_b32_e32 v17, 1
	s_mov_b32 s22, exec_lo
	v_cmpx_ne_u16_e32 0x80, v2
	s_cbranch_execz .LBB356_2785
; %bb.2780:                             ;   in Loop: Header=BB356_2089 Depth=1
	v_bfe_u32 v18, v14, 16, 7
	v_mov_b32_e32 v17, 0x7fc02000
	s_mov_b32 s23, exec_lo
	s_delay_alu instid0(VALU_DEP_2)
	v_cmpx_ne_u32_e32 0x7f, v18
	s_cbranch_execz .LBB356_2784
; %bb.2781:                             ;   in Loop: Header=BB356_2089 Depth=1
	v_and_b32_e32 v2, 7, v50
	v_lshrrev_b32_e32 v51, 3, v18
	v_cmp_gt_u32_e64 s8, 8, v18
	s_delay_alu instid0(VALU_DEP_3) | instskip(NEXT) | instid1(VALU_DEP_2)
	v_dual_mov_b32 v18, v3 :: v_dual_mov_b32 v17, v2
	s_and_saveexec_b32 s24, s8
; %bb.2782:                             ;   in Loop: Header=BB356_2089 Depth=1
	v_clz_i32_u32_e32 v17, v2
	s_delay_alu instid0(VALU_DEP_1) | instskip(NEXT) | instid1(VALU_DEP_1)
	v_min_u32_e32 v51, 32, v17
	v_subrev_nc_u32_e32 v17, 28, v51
	v_sub_nc_u32_e32 v51, 29, v51
	s_delay_alu instid0(VALU_DEP_2) | instskip(NEXT) | instid1(VALU_DEP_1)
	v_lshlrev_b64 v[17:18], v17, v[2:3]
	v_and_b32_e32 v17, 7, v17
; %bb.2783:                             ;   in Loop: Header=BB356_2089 Depth=1
	s_or_b32 exec_lo, exec_lo, s24
	v_lshlrev_b32_e32 v2, 8, v50
	v_lshl_add_u32 v18, v51, 10, 0x2000
	s_delay_alu instid0(VALU_DEP_1) | instskip(NEXT) | instid1(VALU_DEP_1)
	v_and_or_b32 v2, 0x8000, v2, v18
	v_lshl_or_b32 v2, v17, 7, v2
	s_delay_alu instid0(VALU_DEP_1)
	v_cvt_f32_f16_e32 v17, v2
.LBB356_2784:                           ;   in Loop: Header=BB356_2089 Depth=1
	s_or_b32 exec_lo, exec_lo, s23
.LBB356_2785:                           ;   in Loop: Header=BB356_2089 Depth=1
	s_delay_alu instid0(SALU_CYCLE_1)
	s_or_b32 exec_lo, exec_lo, s22
.LBB356_2786:                           ;   in Loop: Header=BB356_2089 Depth=1
	s_delay_alu instid0(SALU_CYCLE_1) | instskip(NEXT) | instid1(SALU_CYCLE_1)
	s_or_b32 exec_lo, exec_lo, s21
	s_mov_b32 s21, exec_lo
	v_cmpx_lt_u64_e64 s[18:19], v[13:14]
	s_cbranch_execz .LBB356_2794
; %bb.2787:                             ;   in Loop: Header=BB356_2089 Depth=1
	v_lshrrev_b32_e32 v18, 24, v14
	v_bfrev_b32_e32 v49, 1
	s_mov_b32 s22, exec_lo
	s_delay_alu instid0(VALU_DEP_2)
	v_cmpx_ne_u32_e32 0x80, v18
	s_cbranch_execz .LBB356_2793
; %bb.2788:                             ;   in Loop: Header=BB356_2089 Depth=1
	v_and_b32_e32 v13, 0x7f, v18
	v_mov_b32_e32 v49, 0x7fc02000
	s_mov_b32 s23, exec_lo
	s_delay_alu instid0(VALU_DEP_2)
	v_cmpx_ne_u32_e32 0x7f, v13
	s_cbranch_execz .LBB356_2792
; %bb.2789:                             ;   in Loop: Header=BB356_2089 Depth=1
	v_and_b32_e32 v2, 7, v18
	v_lshrrev_b32_e32 v49, 3, v13
	v_cmp_gt_u32_e64 s8, 8, v13
	s_delay_alu instid0(VALU_DEP_3) | instskip(NEXT) | instid1(VALU_DEP_2)
	v_dual_mov_b32 v14, v3 :: v_dual_mov_b32 v13, v2
	s_and_saveexec_b32 s24, s8
; %bb.2790:                             ;   in Loop: Header=BB356_2089 Depth=1
	v_clz_i32_u32_e32 v13, v2
	s_delay_alu instid0(VALU_DEP_1) | instskip(NEXT) | instid1(VALU_DEP_1)
	v_min_u32_e32 v49, 32, v13
	v_subrev_nc_u32_e32 v13, 28, v49
	v_sub_nc_u32_e32 v49, 29, v49
	s_delay_alu instid0(VALU_DEP_2) | instskip(NEXT) | instid1(VALU_DEP_1)
	v_lshlrev_b64 v[13:14], v13, v[2:3]
	v_and_b32_e32 v13, 7, v13
; %bb.2791:                             ;   in Loop: Header=BB356_2089 Depth=1
	s_or_b32 exec_lo, exec_lo, s24
	v_lshlrev_b32_e32 v2, 8, v18
	v_lshl_add_u32 v14, v49, 10, 0x2000
	s_delay_alu instid0(VALU_DEP_1) | instskip(NEXT) | instid1(VALU_DEP_1)
	v_and_or_b32 v2, 0x8000, v2, v14
	v_lshl_or_b32 v2, v13, 7, v2
	s_delay_alu instid0(VALU_DEP_1)
	v_cvt_f32_f16_e32 v49, v2
.LBB356_2792:                           ;   in Loop: Header=BB356_2089 Depth=1
	s_or_b32 exec_lo, exec_lo, s23
.LBB356_2793:                           ;   in Loop: Header=BB356_2089 Depth=1
	s_delay_alu instid0(SALU_CYCLE_1)
	s_or_b32 exec_lo, exec_lo, s22
.LBB356_2794:                           ;   in Loop: Header=BB356_2089 Depth=1
	s_delay_alu instid0(SALU_CYCLE_1)
	s_or_b32 exec_lo, exec_lo, s21
	s_waitcnt vmcnt(0) lgkmcnt(0)
	v_fma_mixlo_f16 v2, v4, v38, 0
	v_fma_mixlo_f16 v13, v4, v37, 0
	;; [unrolled: 1-line block ×5, first 2 shown]
	v_lshlrev_b32_e32 v22, 16, v2
	v_fma_mixlo_f16 v37, v4, v39, 0
	v_and_b32_e32 v38, 0xffff, v13
	v_lshlrev_b32_e32 v39, 16, v14
	v_and_b32_e32 v48, 0xffff, v5
	v_fma_mixlo_f16 v49, v4, v49, 0
	v_fma_mixlo_f16 v4, v4, v17, 0
	v_cndmask_b32_e32 v5, 0, v5, vcc_lo
	v_cndmask_b32_e64 v14, 0, v14, s0
	v_cndmask_b32_e64 v13, 0, v13, s2
	;; [unrolled: 1-line block ×3, first 2 shown]
	v_lshlrev_b32_e32 v50, 16, v18
	v_and_b32_e32 v51, 0xffff, v37
	v_or_b32_e32 v17, v22, v38
	v_or_b32_e32 v22, v39, v48
	v_lshlrev_b32_e32 v39, 16, v49
	v_and_b32_e32 v48, 0xffff, v4
	v_cndmask_b32_e64 v37, 0, v37, s6
	v_cndmask_b32_e64 v18, 0, v18, s7
	v_cndmask_b32_e64 v4, 0, v4, s3
	v_cndmask_b32_e64 v49, 0, v49, s5
	v_perm_b32 v5, v14, v5, 0x5040100
	v_perm_b32 v2, v2, v13, 0x5040100
	v_or_b32_e32 v38, v50, v51
	v_or_b32_e32 v39, v39, v48
	v_perm_b32 v13, v18, v37, 0x5040100
	v_perm_b32 v4, v49, v4, 0x5040100
	v_cndmask_b32_e64 v5, v22, v5, s1
	v_mov_b32_e32 v22, 0
	v_cndmask_b32_e64 v2, v17, v2, s1
	v_cndmask_b32_e64 v13, v38, v13, s1
	;; [unrolled: 1-line block ×3, first 2 shown]
	;;#ASMSTART
	v_pk_mul_f16 v5, v146, v5;

	;;#ASMEND
	;;#ASMSTART
	v_pk_mul_f16 v2, v145, v2;

	;;#ASMEND
	;; [unrolled: 4-line block ×4, first 2 shown]
	;;#ASMSTART
	v_pk_add_f16 v2, v5, v2;

	;;#ASMEND
	;;#ASMSTART
	v_pk_add_f16 v2, v2, v13;

	;;#ASMEND
	;; [unrolled: 4-line block ×3, first 2 shown]
	v_and_b32_e32 v4, 0xffff, v2
	v_lshrrev_b32_e32 v2, 16, v2
	;;#ASMSTART
	v_cvt_f32_f16 v40, v4;
	;;#ASMEND
	;;#ASMSTART
	v_cvt_f32_f16 v41, v2;
	;;#ASMEND
	flat_load_b64 v[13:14], v[11:12] offset:2816
	flat_load_b32 v4, v[26:27]
	v_mov_b32_e32 v5, 0
	s_mov_b32 s21, exec_lo
	s_waitcnt vmcnt(1) lgkmcnt(1)
	v_and_b32_e32 v2, 0xff, v13
	s_delay_alu instid0(VALU_DEP_1)
	v_cmpx_ne_u16_e32 0, v2
	s_cbranch_execz .LBB356_2802
; %bb.2795:                             ;   in Loop: Header=BB356_2089 Depth=1
	v_bfrev_b32_e32 v5, 1
	s_mov_b32 s22, exec_lo
	v_cmpx_ne_u16_e32 0x80, v2
	s_cbranch_execz .LBB356_2801
; %bb.2796:                             ;   in Loop: Header=BB356_2089 Depth=1
	v_and_b32_e32 v17, 0x7f, v13
	v_mov_b32_e32 v5, 0x7fc02000
	s_mov_b32 s23, exec_lo
	s_delay_alu instid0(VALU_DEP_2)
	v_cmpx_ne_u32_e32 0x7f, v17
	s_cbranch_execz .LBB356_2800
; %bb.2797:                             ;   in Loop: Header=BB356_2089 Depth=1
	v_lshrrev_b32_e32 v2, 3, v17
	v_cmp_gt_u32_e64 s8, 8, v17
	v_dual_mov_b32 v18, v14 :: v_dual_mov_b32 v17, v13
	s_delay_alu instid0(VALU_DEP_2)
	s_and_saveexec_b32 s24, s8
; %bb.2798:                             ;   in Loop: Header=BB356_2089 Depth=1
	v_and_b32_e32 v2, 7, v13
	s_delay_alu instid0(VALU_DEP_1) | instskip(NEXT) | instid1(VALU_DEP_1)
	v_clz_i32_u32_e32 v2, v2
	v_min_u32_e32 v2, 32, v2
	s_delay_alu instid0(VALU_DEP_1) | instskip(SKIP_1) | instid1(VALU_DEP_2)
	v_subrev_nc_u32_e32 v5, 28, v2
	v_sub_nc_u32_e32 v2, 29, v2
	v_lshlrev_b64 v[17:18], v5, v[13:14]
; %bb.2799:                             ;   in Loop: Header=BB356_2089 Depth=1
	s_or_b32 exec_lo, exec_lo, s24
	v_lshlrev_b32_e32 v5, 8, v13
	s_delay_alu instid0(VALU_DEP_3) | instskip(NEXT) | instid1(VALU_DEP_3)
	v_lshl_add_u32 v2, v2, 10, 0x2000
	v_lshlrev_b32_e32 v17, 7, v17
	s_delay_alu instid0(VALU_DEP_2) | instskip(NEXT) | instid1(VALU_DEP_1)
	v_and_or_b32 v2, 0x8000, v5, v2
	v_and_or_b32 v2, 0x380, v17, v2
	s_delay_alu instid0(VALU_DEP_1)
	v_cvt_f32_f16_e32 v5, v2
.LBB356_2800:                           ;   in Loop: Header=BB356_2089 Depth=1
	s_or_b32 exec_lo, exec_lo, s23
.LBB356_2801:                           ;   in Loop: Header=BB356_2089 Depth=1
	s_delay_alu instid0(SALU_CYCLE_1)
	s_or_b32 exec_lo, exec_lo, s22
.LBB356_2802:                           ;   in Loop: Header=BB356_2089 Depth=1
	s_delay_alu instid0(SALU_CYCLE_1) | instskip(SKIP_2) | instid1(VALU_DEP_1)
	s_or_b32 exec_lo, exec_lo, s21
	v_lshrrev_b16 v2, 8, v13
	s_mov_b32 s21, exec_lo
	v_cmpx_ne_u16_e32 0, v2
	s_cbranch_execz .LBB356_2810
; %bb.2803:                             ;   in Loop: Header=BB356_2089 Depth=1
	v_bfrev_b32_e32 v22, 1
	s_mov_b32 s22, exec_lo
	v_cmpx_ne_u16_e32 0x80, v2
	s_cbranch_execz .LBB356_2809
; %bb.2804:                             ;   in Loop: Header=BB356_2089 Depth=1
	v_and_b32_e32 v37, 0xffff, v2
	v_mov_b32_e32 v22, 0x7fc02000
	s_mov_b32 s23, exec_lo
	s_delay_alu instid0(VALU_DEP_2) | instskip(NEXT) | instid1(VALU_DEP_1)
	v_and_b32_e32 v17, 0x7f, v37
	v_cmpx_ne_u32_e32 0x7f, v17
	s_cbranch_execz .LBB356_2808
; %bb.2805:                             ;   in Loop: Header=BB356_2089 Depth=1
	v_and_b32_e32 v2, 7, v37
	v_lshrrev_b32_e32 v22, 3, v17
	v_cmp_gt_u32_e64 s8, 8, v17
	s_delay_alu instid0(VALU_DEP_3) | instskip(NEXT) | instid1(VALU_DEP_2)
	v_dual_mov_b32 v18, v3 :: v_dual_mov_b32 v17, v2
	s_and_saveexec_b32 s24, s8
; %bb.2806:                             ;   in Loop: Header=BB356_2089 Depth=1
	v_clz_i32_u32_e32 v17, v2
	s_delay_alu instid0(VALU_DEP_1) | instskip(NEXT) | instid1(VALU_DEP_1)
	v_min_u32_e32 v22, 32, v17
	v_subrev_nc_u32_e32 v17, 28, v22
	v_sub_nc_u32_e32 v22, 29, v22
	s_delay_alu instid0(VALU_DEP_2) | instskip(NEXT) | instid1(VALU_DEP_1)
	v_lshlrev_b64 v[17:18], v17, v[2:3]
	v_and_b32_e32 v17, 7, v17
; %bb.2807:                             ;   in Loop: Header=BB356_2089 Depth=1
	s_or_b32 exec_lo, exec_lo, s24
	v_lshlrev_b32_e32 v2, 8, v37
	v_lshl_add_u32 v18, v22, 10, 0x2000
	s_delay_alu instid0(VALU_DEP_1) | instskip(NEXT) | instid1(VALU_DEP_1)
	v_and_or_b32 v2, 0x8000, v2, v18
	v_lshl_or_b32 v2, v17, 7, v2
	s_delay_alu instid0(VALU_DEP_1)
	v_cvt_f32_f16_e32 v22, v2
.LBB356_2808:                           ;   in Loop: Header=BB356_2089 Depth=1
	s_or_b32 exec_lo, exec_lo, s23
.LBB356_2809:                           ;   in Loop: Header=BB356_2089 Depth=1
	s_delay_alu instid0(SALU_CYCLE_1)
	s_or_b32 exec_lo, exec_lo, s22
.LBB356_2810:                           ;   in Loop: Header=BB356_2089 Depth=1
	s_delay_alu instid0(SALU_CYCLE_1) | instskip(SKIP_3) | instid1(VALU_DEP_2)
	s_or_b32 exec_lo, exec_lo, s21
	v_lshrrev_b32_e32 v39, 16, v13
	v_mov_b32_e32 v38, 0
	s_mov_b32 s21, exec_lo
	v_dual_mov_b32 v37, 0 :: v_dual_and_b32 v2, 0xff, v39
	s_delay_alu instid0(VALU_DEP_1)
	v_cmpx_ne_u16_e32 0, v2
	s_cbranch_execz .LBB356_2818
; %bb.2811:                             ;   in Loop: Header=BB356_2089 Depth=1
	v_bfrev_b32_e32 v37, 1
	s_mov_b32 s22, exec_lo
	v_cmpx_ne_u16_e32 0x80, v2
	s_cbranch_execz .LBB356_2817
; %bb.2812:                             ;   in Loop: Header=BB356_2089 Depth=1
	v_bfe_u32 v17, v13, 16, 7
	v_mov_b32_e32 v37, 0x7fc02000
	s_mov_b32 s23, exec_lo
	s_delay_alu instid0(VALU_DEP_2)
	v_cmpx_ne_u32_e32 0x7f, v17
	s_cbranch_execz .LBB356_2816
; %bb.2813:                             ;   in Loop: Header=BB356_2089 Depth=1
	v_and_b32_e32 v2, 7, v39
	v_lshrrev_b32_e32 v37, 3, v17
	v_cmp_gt_u32_e64 s8, 8, v17
	s_delay_alu instid0(VALU_DEP_3) | instskip(NEXT) | instid1(VALU_DEP_2)
	v_dual_mov_b32 v18, v3 :: v_dual_mov_b32 v17, v2
	s_and_saveexec_b32 s24, s8
; %bb.2814:                             ;   in Loop: Header=BB356_2089 Depth=1
	v_clz_i32_u32_e32 v17, v2
	s_delay_alu instid0(VALU_DEP_1) | instskip(NEXT) | instid1(VALU_DEP_1)
	v_min_u32_e32 v37, 32, v17
	v_subrev_nc_u32_e32 v17, 28, v37
	v_sub_nc_u32_e32 v37, 29, v37
	s_delay_alu instid0(VALU_DEP_2) | instskip(NEXT) | instid1(VALU_DEP_1)
	v_lshlrev_b64 v[17:18], v17, v[2:3]
	v_and_b32_e32 v17, 7, v17
; %bb.2815:                             ;   in Loop: Header=BB356_2089 Depth=1
	s_or_b32 exec_lo, exec_lo, s24
	v_lshlrev_b32_e32 v2, 8, v39
	v_lshl_add_u32 v18, v37, 10, 0x2000
	s_delay_alu instid0(VALU_DEP_1) | instskip(NEXT) | instid1(VALU_DEP_1)
	v_and_or_b32 v2, 0x8000, v2, v18
	v_lshl_or_b32 v2, v17, 7, v2
	s_delay_alu instid0(VALU_DEP_1)
	v_cvt_f32_f16_e32 v37, v2
.LBB356_2816:                           ;   in Loop: Header=BB356_2089 Depth=1
	s_or_b32 exec_lo, exec_lo, s23
.LBB356_2817:                           ;   in Loop: Header=BB356_2089 Depth=1
	s_delay_alu instid0(SALU_CYCLE_1)
	s_or_b32 exec_lo, exec_lo, s22
.LBB356_2818:                           ;   in Loop: Header=BB356_2089 Depth=1
	s_delay_alu instid0(SALU_CYCLE_1) | instskip(NEXT) | instid1(SALU_CYCLE_1)
	s_or_b32 exec_lo, exec_lo, s21
	s_mov_b32 s21, exec_lo
	v_cmpx_lt_u32_e32 0xffffff, v13
	s_cbranch_execz .LBB356_2826
; %bb.2819:                             ;   in Loop: Header=BB356_2089 Depth=1
	v_lshrrev_b32_e32 v39, 24, v13
	v_bfrev_b32_e32 v38, 1
	s_mov_b32 s22, exec_lo
	s_delay_alu instid0(VALU_DEP_2)
	v_cmpx_ne_u32_e32 0x80, v39
	s_cbranch_execz .LBB356_2825
; %bb.2820:                             ;   in Loop: Header=BB356_2089 Depth=1
	v_and_b32_e32 v17, 0x7f, v39
	v_mov_b32_e32 v38, 0x7fc02000
	s_mov_b32 s23, exec_lo
	s_delay_alu instid0(VALU_DEP_2)
	v_cmpx_ne_u32_e32 0x7f, v17
	s_cbranch_execz .LBB356_2824
; %bb.2821:                             ;   in Loop: Header=BB356_2089 Depth=1
	v_and_b32_e32 v2, 7, v39
	v_lshrrev_b32_e32 v38, 3, v17
	v_cmp_gt_u32_e64 s8, 8, v17
	s_delay_alu instid0(VALU_DEP_3) | instskip(NEXT) | instid1(VALU_DEP_2)
	v_dual_mov_b32 v18, v3 :: v_dual_mov_b32 v17, v2
	s_and_saveexec_b32 s24, s8
; %bb.2822:                             ;   in Loop: Header=BB356_2089 Depth=1
	v_clz_i32_u32_e32 v17, v2
	s_delay_alu instid0(VALU_DEP_1) | instskip(NEXT) | instid1(VALU_DEP_1)
	v_min_u32_e32 v38, 32, v17
	v_subrev_nc_u32_e32 v17, 28, v38
	v_sub_nc_u32_e32 v38, 29, v38
	s_delay_alu instid0(VALU_DEP_2) | instskip(NEXT) | instid1(VALU_DEP_1)
	v_lshlrev_b64 v[17:18], v17, v[2:3]
	v_and_b32_e32 v17, 7, v17
; %bb.2823:                             ;   in Loop: Header=BB356_2089 Depth=1
	s_or_b32 exec_lo, exec_lo, s24
	v_lshlrev_b32_e32 v2, 8, v39
	v_lshl_add_u32 v18, v38, 10, 0x2000
	s_delay_alu instid0(VALU_DEP_1) | instskip(NEXT) | instid1(VALU_DEP_1)
	v_and_or_b32 v2, 0x8000, v2, v18
	v_lshl_or_b32 v2, v17, 7, v2
	s_delay_alu instid0(VALU_DEP_1)
	v_cvt_f32_f16_e32 v38, v2
.LBB356_2824:                           ;   in Loop: Header=BB356_2089 Depth=1
	s_or_b32 exec_lo, exec_lo, s23
.LBB356_2825:                           ;   in Loop: Header=BB356_2089 Depth=1
	s_delay_alu instid0(SALU_CYCLE_1)
	s_or_b32 exec_lo, exec_lo, s22
.LBB356_2826:                           ;   in Loop: Header=BB356_2089 Depth=1
	s_delay_alu instid0(SALU_CYCLE_1) | instskip(SKIP_3) | instid1(VALU_DEP_2)
	s_or_b32 exec_lo, exec_lo, s21
	v_dual_mov_b32 v2, v14 :: v_dual_and_b32 v17, 0xff, v14
	v_dual_mov_b32 v48, 0 :: v_dual_mov_b32 v39, 0
	s_mov_b32 s21, exec_lo
	v_cmpx_ne_u16_e32 0, v17
	s_cbranch_execz .LBB356_2834
; %bb.2827:                             ;   in Loop: Header=BB356_2089 Depth=1
	v_bfrev_b32_e32 v39, 1
	s_mov_b32 s22, exec_lo
	v_cmpx_ne_u16_e32 0x80, v17
	s_cbranch_execz .LBB356_2833
; %bb.2828:                             ;   in Loop: Header=BB356_2089 Depth=1
	v_and_b32_e32 v17, 0x7f, v14
	v_mov_b32_e32 v39, 0x7fc02000
	s_mov_b32 s23, exec_lo
	s_delay_alu instid0(VALU_DEP_2)
	v_cmpx_ne_u32_e32 0x7f, v17
	s_cbranch_execz .LBB356_2832
; %bb.2829:                             ;   in Loop: Header=BB356_2089 Depth=1
	v_lshrrev_b32_e32 v39, 3, v17
	v_cmp_gt_u32_e64 s8, 8, v17
	v_dual_mov_b32 v18, v3 :: v_dual_mov_b32 v17, v2
	s_delay_alu instid0(VALU_DEP_2)
	s_and_saveexec_b32 s24, s8
; %bb.2830:                             ;   in Loop: Header=BB356_2089 Depth=1
	v_and_b32_e32 v17, 7, v14
	s_delay_alu instid0(VALU_DEP_1) | instskip(NEXT) | instid1(VALU_DEP_1)
	v_clz_i32_u32_e32 v17, v17
	v_min_u32_e32 v39, 32, v17
	s_delay_alu instid0(VALU_DEP_1) | instskip(SKIP_1) | instid1(VALU_DEP_2)
	v_subrev_nc_u32_e32 v17, 28, v39
	v_sub_nc_u32_e32 v39, 29, v39
	v_lshlrev_b64 v[17:18], v17, v[2:3]
; %bb.2831:                             ;   in Loop: Header=BB356_2089 Depth=1
	s_or_b32 exec_lo, exec_lo, s24
	v_lshlrev_b32_e32 v18, 8, v14
	s_delay_alu instid0(VALU_DEP_3) | instskip(NEXT) | instid1(VALU_DEP_3)
	v_lshl_add_u32 v39, v39, 10, 0x2000
	v_lshlrev_b32_e32 v17, 7, v17
	s_delay_alu instid0(VALU_DEP_2) | instskip(NEXT) | instid1(VALU_DEP_1)
	v_and_or_b32 v18, 0x8000, v18, v39
	v_and_or_b32 v17, 0x380, v17, v18
	s_delay_alu instid0(VALU_DEP_1)
	v_cvt_f32_f16_e32 v39, v17
.LBB356_2832:                           ;   in Loop: Header=BB356_2089 Depth=1
	s_or_b32 exec_lo, exec_lo, s23
.LBB356_2833:                           ;   in Loop: Header=BB356_2089 Depth=1
	s_delay_alu instid0(SALU_CYCLE_1)
	s_or_b32 exec_lo, exec_lo, s22
.LBB356_2834:                           ;   in Loop: Header=BB356_2089 Depth=1
	s_delay_alu instid0(SALU_CYCLE_1) | instskip(SKIP_2) | instid1(VALU_DEP_1)
	s_or_b32 exec_lo, exec_lo, s21
	v_lshrrev_b16 v2, 8, v2
	s_mov_b32 s21, exec_lo
	v_cmpx_ne_u16_e32 0, v2
	s_cbranch_execz .LBB356_2842
; %bb.2835:                             ;   in Loop: Header=BB356_2089 Depth=1
	v_bfrev_b32_e32 v48, 1
	s_mov_b32 s22, exec_lo
	v_cmpx_ne_u16_e32 0x80, v2
	s_cbranch_execz .LBB356_2841
; %bb.2836:                             ;   in Loop: Header=BB356_2089 Depth=1
	v_and_b32_e32 v49, 0xffff, v2
	v_mov_b32_e32 v48, 0x7fc02000
	s_mov_b32 s23, exec_lo
	s_delay_alu instid0(VALU_DEP_2) | instskip(NEXT) | instid1(VALU_DEP_1)
	v_and_b32_e32 v17, 0x7f, v49
	v_cmpx_ne_u32_e32 0x7f, v17
	s_cbranch_execz .LBB356_2840
; %bb.2837:                             ;   in Loop: Header=BB356_2089 Depth=1
	v_and_b32_e32 v2, 7, v49
	v_lshrrev_b32_e32 v48, 3, v17
	v_cmp_gt_u32_e64 s8, 8, v17
	s_delay_alu instid0(VALU_DEP_3) | instskip(NEXT) | instid1(VALU_DEP_2)
	v_dual_mov_b32 v18, v3 :: v_dual_mov_b32 v17, v2
	s_and_saveexec_b32 s24, s8
; %bb.2838:                             ;   in Loop: Header=BB356_2089 Depth=1
	v_clz_i32_u32_e32 v17, v2
	s_delay_alu instid0(VALU_DEP_1) | instskip(NEXT) | instid1(VALU_DEP_1)
	v_min_u32_e32 v48, 32, v17
	v_subrev_nc_u32_e32 v17, 28, v48
	v_sub_nc_u32_e32 v48, 29, v48
	s_delay_alu instid0(VALU_DEP_2) | instskip(NEXT) | instid1(VALU_DEP_1)
	v_lshlrev_b64 v[17:18], v17, v[2:3]
	v_and_b32_e32 v17, 7, v17
; %bb.2839:                             ;   in Loop: Header=BB356_2089 Depth=1
	s_or_b32 exec_lo, exec_lo, s24
	v_lshlrev_b32_e32 v2, 8, v49
	v_lshl_add_u32 v18, v48, 10, 0x2000
	s_delay_alu instid0(VALU_DEP_1) | instskip(NEXT) | instid1(VALU_DEP_1)
	v_and_or_b32 v2, 0x8000, v2, v18
	v_lshl_or_b32 v2, v17, 7, v2
	s_delay_alu instid0(VALU_DEP_1)
	v_cvt_f32_f16_e32 v48, v2
.LBB356_2840:                           ;   in Loop: Header=BB356_2089 Depth=1
	s_or_b32 exec_lo, exec_lo, s23
.LBB356_2841:                           ;   in Loop: Header=BB356_2089 Depth=1
	s_delay_alu instid0(SALU_CYCLE_1)
	s_or_b32 exec_lo, exec_lo, s22
.LBB356_2842:                           ;   in Loop: Header=BB356_2089 Depth=1
	s_delay_alu instid0(SALU_CYCLE_1) | instskip(SKIP_3) | instid1(VALU_DEP_2)
	s_or_b32 exec_lo, exec_lo, s21
	v_lshrrev_b32_e32 v50, 16, v14
	v_mov_b32_e32 v17, 0
	s_mov_b32 s21, exec_lo
	v_dual_mov_b32 v49, 0 :: v_dual_and_b32 v2, 0xff, v50
	s_delay_alu instid0(VALU_DEP_1)
	v_cmpx_ne_u16_e32 0, v2
	s_cbranch_execz .LBB356_2850
; %bb.2843:                             ;   in Loop: Header=BB356_2089 Depth=1
	v_bfrev_b32_e32 v17, 1
	s_mov_b32 s22, exec_lo
	v_cmpx_ne_u16_e32 0x80, v2
	s_cbranch_execz .LBB356_2849
; %bb.2844:                             ;   in Loop: Header=BB356_2089 Depth=1
	v_bfe_u32 v18, v14, 16, 7
	v_mov_b32_e32 v17, 0x7fc02000
	s_mov_b32 s23, exec_lo
	s_delay_alu instid0(VALU_DEP_2)
	v_cmpx_ne_u32_e32 0x7f, v18
	s_cbranch_execz .LBB356_2848
; %bb.2845:                             ;   in Loop: Header=BB356_2089 Depth=1
	v_and_b32_e32 v2, 7, v50
	v_lshrrev_b32_e32 v51, 3, v18
	v_cmp_gt_u32_e64 s8, 8, v18
	s_delay_alu instid0(VALU_DEP_3) | instskip(NEXT) | instid1(VALU_DEP_2)
	v_dual_mov_b32 v18, v3 :: v_dual_mov_b32 v17, v2
	s_and_saveexec_b32 s24, s8
; %bb.2846:                             ;   in Loop: Header=BB356_2089 Depth=1
	v_clz_i32_u32_e32 v17, v2
	s_delay_alu instid0(VALU_DEP_1) | instskip(NEXT) | instid1(VALU_DEP_1)
	v_min_u32_e32 v51, 32, v17
	v_subrev_nc_u32_e32 v17, 28, v51
	v_sub_nc_u32_e32 v51, 29, v51
	s_delay_alu instid0(VALU_DEP_2) | instskip(NEXT) | instid1(VALU_DEP_1)
	v_lshlrev_b64 v[17:18], v17, v[2:3]
	v_and_b32_e32 v17, 7, v17
; %bb.2847:                             ;   in Loop: Header=BB356_2089 Depth=1
	s_or_b32 exec_lo, exec_lo, s24
	v_lshlrev_b32_e32 v2, 8, v50
	v_lshl_add_u32 v18, v51, 10, 0x2000
	s_delay_alu instid0(VALU_DEP_1) | instskip(NEXT) | instid1(VALU_DEP_1)
	v_and_or_b32 v2, 0x8000, v2, v18
	v_lshl_or_b32 v2, v17, 7, v2
	s_delay_alu instid0(VALU_DEP_1)
	v_cvt_f32_f16_e32 v17, v2
.LBB356_2848:                           ;   in Loop: Header=BB356_2089 Depth=1
	s_or_b32 exec_lo, exec_lo, s23
.LBB356_2849:                           ;   in Loop: Header=BB356_2089 Depth=1
	s_delay_alu instid0(SALU_CYCLE_1)
	s_or_b32 exec_lo, exec_lo, s22
.LBB356_2850:                           ;   in Loop: Header=BB356_2089 Depth=1
	s_delay_alu instid0(SALU_CYCLE_1) | instskip(NEXT) | instid1(SALU_CYCLE_1)
	s_or_b32 exec_lo, exec_lo, s21
	s_mov_b32 s21, exec_lo
	v_cmpx_lt_u64_e64 s[18:19], v[13:14]
	s_cbranch_execz .LBB356_2858
; %bb.2851:                             ;   in Loop: Header=BB356_2089 Depth=1
	v_lshrrev_b32_e32 v18, 24, v14
	v_bfrev_b32_e32 v49, 1
	s_mov_b32 s22, exec_lo
	s_delay_alu instid0(VALU_DEP_2)
	v_cmpx_ne_u32_e32 0x80, v18
	s_cbranch_execz .LBB356_2857
; %bb.2852:                             ;   in Loop: Header=BB356_2089 Depth=1
	v_and_b32_e32 v13, 0x7f, v18
	v_mov_b32_e32 v49, 0x7fc02000
	s_mov_b32 s23, exec_lo
	s_delay_alu instid0(VALU_DEP_2)
	v_cmpx_ne_u32_e32 0x7f, v13
	s_cbranch_execz .LBB356_2856
; %bb.2853:                             ;   in Loop: Header=BB356_2089 Depth=1
	v_and_b32_e32 v2, 7, v18
	v_lshrrev_b32_e32 v49, 3, v13
	v_cmp_gt_u32_e64 s8, 8, v13
	s_delay_alu instid0(VALU_DEP_3) | instskip(NEXT) | instid1(VALU_DEP_2)
	v_dual_mov_b32 v14, v3 :: v_dual_mov_b32 v13, v2
	s_and_saveexec_b32 s24, s8
; %bb.2854:                             ;   in Loop: Header=BB356_2089 Depth=1
	v_clz_i32_u32_e32 v13, v2
	s_delay_alu instid0(VALU_DEP_1) | instskip(NEXT) | instid1(VALU_DEP_1)
	v_min_u32_e32 v49, 32, v13
	v_subrev_nc_u32_e32 v13, 28, v49
	v_sub_nc_u32_e32 v49, 29, v49
	s_delay_alu instid0(VALU_DEP_2) | instskip(NEXT) | instid1(VALU_DEP_1)
	v_lshlrev_b64 v[13:14], v13, v[2:3]
	v_and_b32_e32 v13, 7, v13
; %bb.2855:                             ;   in Loop: Header=BB356_2089 Depth=1
	s_or_b32 exec_lo, exec_lo, s24
	v_lshlrev_b32_e32 v2, 8, v18
	v_lshl_add_u32 v14, v49, 10, 0x2000
	s_delay_alu instid0(VALU_DEP_1) | instskip(NEXT) | instid1(VALU_DEP_1)
	v_and_or_b32 v2, 0x8000, v2, v14
	v_lshl_or_b32 v2, v13, 7, v2
	s_delay_alu instid0(VALU_DEP_1)
	v_cvt_f32_f16_e32 v49, v2
.LBB356_2856:                           ;   in Loop: Header=BB356_2089 Depth=1
	s_or_b32 exec_lo, exec_lo, s23
.LBB356_2857:                           ;   in Loop: Header=BB356_2089 Depth=1
	s_delay_alu instid0(SALU_CYCLE_1)
	s_or_b32 exec_lo, exec_lo, s22
.LBB356_2858:                           ;   in Loop: Header=BB356_2089 Depth=1
	s_delay_alu instid0(SALU_CYCLE_1)
	s_or_b32 exec_lo, exec_lo, s21
	s_waitcnt vmcnt(0) lgkmcnt(0)
	v_fma_mixlo_f16 v2, v4, v38, 0
	v_fma_mixlo_f16 v13, v4, v37, 0
	;; [unrolled: 1-line block ×5, first 2 shown]
	v_lshlrev_b32_e32 v22, 16, v2
	v_fma_mixlo_f16 v37, v4, v39, 0
	v_and_b32_e32 v38, 0xffff, v13
	v_lshlrev_b32_e32 v39, 16, v14
	v_and_b32_e32 v48, 0xffff, v5
	v_fma_mixlo_f16 v49, v4, v49, 0
	v_fma_mixlo_f16 v4, v4, v17, 0
	v_cndmask_b32_e32 v5, 0, v5, vcc_lo
	v_cndmask_b32_e64 v14, 0, v14, s0
	v_cndmask_b32_e64 v13, 0, v13, s2
	;; [unrolled: 1-line block ×3, first 2 shown]
	v_lshlrev_b32_e32 v50, 16, v18
	v_and_b32_e32 v51, 0xffff, v37
	v_or_b32_e32 v17, v22, v38
	v_or_b32_e32 v22, v39, v48
	v_lshlrev_b32_e32 v39, 16, v49
	v_and_b32_e32 v48, 0xffff, v4
	v_cndmask_b32_e64 v37, 0, v37, s6
	v_cndmask_b32_e64 v18, 0, v18, s7
	;; [unrolled: 1-line block ×4, first 2 shown]
	v_perm_b32 v5, v14, v5, 0x5040100
	v_perm_b32 v2, v2, v13, 0x5040100
	v_or_b32_e32 v38, v50, v51
	v_or_b32_e32 v39, v39, v48
	v_perm_b32 v13, v18, v37, 0x5040100
	v_perm_b32 v4, v49, v4, 0x5040100
	v_cndmask_b32_e64 v5, v22, v5, s1
	v_mov_b32_e32 v22, 0
	v_cndmask_b32_e64 v2, v17, v2, s1
	v_cndmask_b32_e64 v13, v38, v13, s1
	;; [unrolled: 1-line block ×3, first 2 shown]
	;;#ASMSTART
	v_pk_mul_f16 v5, v146, v5;

	;;#ASMEND
	;;#ASMSTART
	v_pk_mul_f16 v2, v145, v2;

	;;#ASMEND
	;; [unrolled: 4-line block ×4, first 2 shown]
	;;#ASMSTART
	v_pk_add_f16 v2, v5, v2;

	;;#ASMEND
	;;#ASMSTART
	v_pk_add_f16 v2, v2, v13;

	;;#ASMEND
	;; [unrolled: 4-line block ×3, first 2 shown]
	v_and_b32_e32 v4, 0xffff, v2
	v_lshrrev_b32_e32 v2, 16, v2
	;;#ASMSTART
	v_cvt_f32_f16 v42, v4;
	;;#ASMEND
	;;#ASMSTART
	v_cvt_f32_f16 v43, v2;
	;;#ASMEND
	flat_load_b64 v[13:14], v[11:12] offset:3072
	flat_load_b32 v4, v[26:27]
	v_mov_b32_e32 v5, 0
	s_mov_b32 s21, exec_lo
	s_waitcnt vmcnt(1) lgkmcnt(1)
	v_and_b32_e32 v2, 0xff, v13
	s_delay_alu instid0(VALU_DEP_1)
	v_cmpx_ne_u16_e32 0, v2
	s_cbranch_execz .LBB356_2866
; %bb.2859:                             ;   in Loop: Header=BB356_2089 Depth=1
	v_bfrev_b32_e32 v5, 1
	s_mov_b32 s22, exec_lo
	v_cmpx_ne_u16_e32 0x80, v2
	s_cbranch_execz .LBB356_2865
; %bb.2860:                             ;   in Loop: Header=BB356_2089 Depth=1
	v_and_b32_e32 v17, 0x7f, v13
	v_mov_b32_e32 v5, 0x7fc02000
	s_mov_b32 s23, exec_lo
	s_delay_alu instid0(VALU_DEP_2)
	v_cmpx_ne_u32_e32 0x7f, v17
	s_cbranch_execz .LBB356_2864
; %bb.2861:                             ;   in Loop: Header=BB356_2089 Depth=1
	v_lshrrev_b32_e32 v2, 3, v17
	v_cmp_gt_u32_e64 s8, 8, v17
	v_dual_mov_b32 v18, v14 :: v_dual_mov_b32 v17, v13
	s_delay_alu instid0(VALU_DEP_2)
	s_and_saveexec_b32 s24, s8
; %bb.2862:                             ;   in Loop: Header=BB356_2089 Depth=1
	v_and_b32_e32 v2, 7, v13
	s_delay_alu instid0(VALU_DEP_1) | instskip(NEXT) | instid1(VALU_DEP_1)
	v_clz_i32_u32_e32 v2, v2
	v_min_u32_e32 v2, 32, v2
	s_delay_alu instid0(VALU_DEP_1) | instskip(SKIP_1) | instid1(VALU_DEP_2)
	v_subrev_nc_u32_e32 v5, 28, v2
	v_sub_nc_u32_e32 v2, 29, v2
	v_lshlrev_b64 v[17:18], v5, v[13:14]
; %bb.2863:                             ;   in Loop: Header=BB356_2089 Depth=1
	s_or_b32 exec_lo, exec_lo, s24
	v_lshlrev_b32_e32 v5, 8, v13
	s_delay_alu instid0(VALU_DEP_3) | instskip(NEXT) | instid1(VALU_DEP_3)
	v_lshl_add_u32 v2, v2, 10, 0x2000
	v_lshlrev_b32_e32 v17, 7, v17
	s_delay_alu instid0(VALU_DEP_2) | instskip(NEXT) | instid1(VALU_DEP_1)
	v_and_or_b32 v2, 0x8000, v5, v2
	v_and_or_b32 v2, 0x380, v17, v2
	s_delay_alu instid0(VALU_DEP_1)
	v_cvt_f32_f16_e32 v5, v2
.LBB356_2864:                           ;   in Loop: Header=BB356_2089 Depth=1
	s_or_b32 exec_lo, exec_lo, s23
.LBB356_2865:                           ;   in Loop: Header=BB356_2089 Depth=1
	s_delay_alu instid0(SALU_CYCLE_1)
	s_or_b32 exec_lo, exec_lo, s22
.LBB356_2866:                           ;   in Loop: Header=BB356_2089 Depth=1
	s_delay_alu instid0(SALU_CYCLE_1) | instskip(SKIP_2) | instid1(VALU_DEP_1)
	s_or_b32 exec_lo, exec_lo, s21
	v_lshrrev_b16 v2, 8, v13
	s_mov_b32 s21, exec_lo
	v_cmpx_ne_u16_e32 0, v2
	s_cbranch_execz .LBB356_2874
; %bb.2867:                             ;   in Loop: Header=BB356_2089 Depth=1
	v_bfrev_b32_e32 v22, 1
	s_mov_b32 s22, exec_lo
	v_cmpx_ne_u16_e32 0x80, v2
	s_cbranch_execz .LBB356_2873
; %bb.2868:                             ;   in Loop: Header=BB356_2089 Depth=1
	v_and_b32_e32 v37, 0xffff, v2
	v_mov_b32_e32 v22, 0x7fc02000
	s_mov_b32 s23, exec_lo
	s_delay_alu instid0(VALU_DEP_2) | instskip(NEXT) | instid1(VALU_DEP_1)
	v_and_b32_e32 v17, 0x7f, v37
	v_cmpx_ne_u32_e32 0x7f, v17
	s_cbranch_execz .LBB356_2872
; %bb.2869:                             ;   in Loop: Header=BB356_2089 Depth=1
	v_and_b32_e32 v2, 7, v37
	v_lshrrev_b32_e32 v22, 3, v17
	v_cmp_gt_u32_e64 s8, 8, v17
	s_delay_alu instid0(VALU_DEP_3) | instskip(NEXT) | instid1(VALU_DEP_2)
	v_dual_mov_b32 v18, v3 :: v_dual_mov_b32 v17, v2
	s_and_saveexec_b32 s24, s8
; %bb.2870:                             ;   in Loop: Header=BB356_2089 Depth=1
	v_clz_i32_u32_e32 v17, v2
	s_delay_alu instid0(VALU_DEP_1) | instskip(NEXT) | instid1(VALU_DEP_1)
	v_min_u32_e32 v22, 32, v17
	v_subrev_nc_u32_e32 v17, 28, v22
	v_sub_nc_u32_e32 v22, 29, v22
	s_delay_alu instid0(VALU_DEP_2) | instskip(NEXT) | instid1(VALU_DEP_1)
	v_lshlrev_b64 v[17:18], v17, v[2:3]
	v_and_b32_e32 v17, 7, v17
; %bb.2871:                             ;   in Loop: Header=BB356_2089 Depth=1
	s_or_b32 exec_lo, exec_lo, s24
	v_lshlrev_b32_e32 v2, 8, v37
	v_lshl_add_u32 v18, v22, 10, 0x2000
	s_delay_alu instid0(VALU_DEP_1) | instskip(NEXT) | instid1(VALU_DEP_1)
	v_and_or_b32 v2, 0x8000, v2, v18
	v_lshl_or_b32 v2, v17, 7, v2
	s_delay_alu instid0(VALU_DEP_1)
	v_cvt_f32_f16_e32 v22, v2
.LBB356_2872:                           ;   in Loop: Header=BB356_2089 Depth=1
	s_or_b32 exec_lo, exec_lo, s23
.LBB356_2873:                           ;   in Loop: Header=BB356_2089 Depth=1
	s_delay_alu instid0(SALU_CYCLE_1)
	s_or_b32 exec_lo, exec_lo, s22
.LBB356_2874:                           ;   in Loop: Header=BB356_2089 Depth=1
	s_delay_alu instid0(SALU_CYCLE_1) | instskip(SKIP_3) | instid1(VALU_DEP_2)
	s_or_b32 exec_lo, exec_lo, s21
	v_lshrrev_b32_e32 v39, 16, v13
	v_mov_b32_e32 v38, 0
	s_mov_b32 s21, exec_lo
	v_dual_mov_b32 v37, 0 :: v_dual_and_b32 v2, 0xff, v39
	s_delay_alu instid0(VALU_DEP_1)
	v_cmpx_ne_u16_e32 0, v2
	s_cbranch_execz .LBB356_2882
; %bb.2875:                             ;   in Loop: Header=BB356_2089 Depth=1
	v_bfrev_b32_e32 v37, 1
	s_mov_b32 s22, exec_lo
	v_cmpx_ne_u16_e32 0x80, v2
	s_cbranch_execz .LBB356_2881
; %bb.2876:                             ;   in Loop: Header=BB356_2089 Depth=1
	v_bfe_u32 v17, v13, 16, 7
	v_mov_b32_e32 v37, 0x7fc02000
	s_mov_b32 s23, exec_lo
	s_delay_alu instid0(VALU_DEP_2)
	v_cmpx_ne_u32_e32 0x7f, v17
	s_cbranch_execz .LBB356_2880
; %bb.2877:                             ;   in Loop: Header=BB356_2089 Depth=1
	v_and_b32_e32 v2, 7, v39
	v_lshrrev_b32_e32 v37, 3, v17
	v_cmp_gt_u32_e64 s8, 8, v17
	s_delay_alu instid0(VALU_DEP_3) | instskip(NEXT) | instid1(VALU_DEP_2)
	v_dual_mov_b32 v18, v3 :: v_dual_mov_b32 v17, v2
	s_and_saveexec_b32 s24, s8
; %bb.2878:                             ;   in Loop: Header=BB356_2089 Depth=1
	v_clz_i32_u32_e32 v17, v2
	s_delay_alu instid0(VALU_DEP_1) | instskip(NEXT) | instid1(VALU_DEP_1)
	v_min_u32_e32 v37, 32, v17
	v_subrev_nc_u32_e32 v17, 28, v37
	v_sub_nc_u32_e32 v37, 29, v37
	s_delay_alu instid0(VALU_DEP_2) | instskip(NEXT) | instid1(VALU_DEP_1)
	v_lshlrev_b64 v[17:18], v17, v[2:3]
	v_and_b32_e32 v17, 7, v17
; %bb.2879:                             ;   in Loop: Header=BB356_2089 Depth=1
	s_or_b32 exec_lo, exec_lo, s24
	v_lshlrev_b32_e32 v2, 8, v39
	v_lshl_add_u32 v18, v37, 10, 0x2000
	s_delay_alu instid0(VALU_DEP_1) | instskip(NEXT) | instid1(VALU_DEP_1)
	v_and_or_b32 v2, 0x8000, v2, v18
	v_lshl_or_b32 v2, v17, 7, v2
	s_delay_alu instid0(VALU_DEP_1)
	v_cvt_f32_f16_e32 v37, v2
.LBB356_2880:                           ;   in Loop: Header=BB356_2089 Depth=1
	s_or_b32 exec_lo, exec_lo, s23
.LBB356_2881:                           ;   in Loop: Header=BB356_2089 Depth=1
	s_delay_alu instid0(SALU_CYCLE_1)
	s_or_b32 exec_lo, exec_lo, s22
.LBB356_2882:                           ;   in Loop: Header=BB356_2089 Depth=1
	s_delay_alu instid0(SALU_CYCLE_1) | instskip(NEXT) | instid1(SALU_CYCLE_1)
	s_or_b32 exec_lo, exec_lo, s21
	s_mov_b32 s21, exec_lo
	v_cmpx_lt_u32_e32 0xffffff, v13
	s_cbranch_execz .LBB356_2890
; %bb.2883:                             ;   in Loop: Header=BB356_2089 Depth=1
	v_lshrrev_b32_e32 v39, 24, v13
	v_bfrev_b32_e32 v38, 1
	s_mov_b32 s22, exec_lo
	s_delay_alu instid0(VALU_DEP_2)
	v_cmpx_ne_u32_e32 0x80, v39
	s_cbranch_execz .LBB356_2889
; %bb.2884:                             ;   in Loop: Header=BB356_2089 Depth=1
	v_and_b32_e32 v17, 0x7f, v39
	v_mov_b32_e32 v38, 0x7fc02000
	s_mov_b32 s23, exec_lo
	s_delay_alu instid0(VALU_DEP_2)
	v_cmpx_ne_u32_e32 0x7f, v17
	s_cbranch_execz .LBB356_2888
; %bb.2885:                             ;   in Loop: Header=BB356_2089 Depth=1
	v_and_b32_e32 v2, 7, v39
	v_lshrrev_b32_e32 v38, 3, v17
	v_cmp_gt_u32_e64 s8, 8, v17
	s_delay_alu instid0(VALU_DEP_3) | instskip(NEXT) | instid1(VALU_DEP_2)
	v_dual_mov_b32 v18, v3 :: v_dual_mov_b32 v17, v2
	s_and_saveexec_b32 s24, s8
; %bb.2886:                             ;   in Loop: Header=BB356_2089 Depth=1
	v_clz_i32_u32_e32 v17, v2
	s_delay_alu instid0(VALU_DEP_1) | instskip(NEXT) | instid1(VALU_DEP_1)
	v_min_u32_e32 v38, 32, v17
	v_subrev_nc_u32_e32 v17, 28, v38
	v_sub_nc_u32_e32 v38, 29, v38
	s_delay_alu instid0(VALU_DEP_2) | instskip(NEXT) | instid1(VALU_DEP_1)
	v_lshlrev_b64 v[17:18], v17, v[2:3]
	v_and_b32_e32 v17, 7, v17
; %bb.2887:                             ;   in Loop: Header=BB356_2089 Depth=1
	s_or_b32 exec_lo, exec_lo, s24
	v_lshlrev_b32_e32 v2, 8, v39
	v_lshl_add_u32 v18, v38, 10, 0x2000
	s_delay_alu instid0(VALU_DEP_1) | instskip(NEXT) | instid1(VALU_DEP_1)
	v_and_or_b32 v2, 0x8000, v2, v18
	v_lshl_or_b32 v2, v17, 7, v2
	s_delay_alu instid0(VALU_DEP_1)
	v_cvt_f32_f16_e32 v38, v2
.LBB356_2888:                           ;   in Loop: Header=BB356_2089 Depth=1
	s_or_b32 exec_lo, exec_lo, s23
.LBB356_2889:                           ;   in Loop: Header=BB356_2089 Depth=1
	s_delay_alu instid0(SALU_CYCLE_1)
	s_or_b32 exec_lo, exec_lo, s22
.LBB356_2890:                           ;   in Loop: Header=BB356_2089 Depth=1
	s_delay_alu instid0(SALU_CYCLE_1) | instskip(SKIP_3) | instid1(VALU_DEP_2)
	s_or_b32 exec_lo, exec_lo, s21
	v_dual_mov_b32 v2, v14 :: v_dual_and_b32 v17, 0xff, v14
	v_dual_mov_b32 v48, 0 :: v_dual_mov_b32 v39, 0
	s_mov_b32 s21, exec_lo
	v_cmpx_ne_u16_e32 0, v17
	s_cbranch_execz .LBB356_2898
; %bb.2891:                             ;   in Loop: Header=BB356_2089 Depth=1
	v_bfrev_b32_e32 v39, 1
	s_mov_b32 s22, exec_lo
	v_cmpx_ne_u16_e32 0x80, v17
	s_cbranch_execz .LBB356_2897
; %bb.2892:                             ;   in Loop: Header=BB356_2089 Depth=1
	v_and_b32_e32 v17, 0x7f, v14
	v_mov_b32_e32 v39, 0x7fc02000
	s_mov_b32 s23, exec_lo
	s_delay_alu instid0(VALU_DEP_2)
	v_cmpx_ne_u32_e32 0x7f, v17
	s_cbranch_execz .LBB356_2896
; %bb.2893:                             ;   in Loop: Header=BB356_2089 Depth=1
	v_lshrrev_b32_e32 v39, 3, v17
	v_cmp_gt_u32_e64 s8, 8, v17
	v_dual_mov_b32 v18, v3 :: v_dual_mov_b32 v17, v2
	s_delay_alu instid0(VALU_DEP_2)
	s_and_saveexec_b32 s24, s8
; %bb.2894:                             ;   in Loop: Header=BB356_2089 Depth=1
	v_and_b32_e32 v17, 7, v14
	s_delay_alu instid0(VALU_DEP_1) | instskip(NEXT) | instid1(VALU_DEP_1)
	v_clz_i32_u32_e32 v17, v17
	v_min_u32_e32 v39, 32, v17
	s_delay_alu instid0(VALU_DEP_1) | instskip(SKIP_1) | instid1(VALU_DEP_2)
	v_subrev_nc_u32_e32 v17, 28, v39
	v_sub_nc_u32_e32 v39, 29, v39
	v_lshlrev_b64 v[17:18], v17, v[2:3]
; %bb.2895:                             ;   in Loop: Header=BB356_2089 Depth=1
	s_or_b32 exec_lo, exec_lo, s24
	v_lshlrev_b32_e32 v18, 8, v14
	s_delay_alu instid0(VALU_DEP_3) | instskip(NEXT) | instid1(VALU_DEP_3)
	v_lshl_add_u32 v39, v39, 10, 0x2000
	v_lshlrev_b32_e32 v17, 7, v17
	s_delay_alu instid0(VALU_DEP_2) | instskip(NEXT) | instid1(VALU_DEP_1)
	v_and_or_b32 v18, 0x8000, v18, v39
	v_and_or_b32 v17, 0x380, v17, v18
	s_delay_alu instid0(VALU_DEP_1)
	v_cvt_f32_f16_e32 v39, v17
.LBB356_2896:                           ;   in Loop: Header=BB356_2089 Depth=1
	s_or_b32 exec_lo, exec_lo, s23
.LBB356_2897:                           ;   in Loop: Header=BB356_2089 Depth=1
	s_delay_alu instid0(SALU_CYCLE_1)
	s_or_b32 exec_lo, exec_lo, s22
.LBB356_2898:                           ;   in Loop: Header=BB356_2089 Depth=1
	s_delay_alu instid0(SALU_CYCLE_1) | instskip(SKIP_2) | instid1(VALU_DEP_1)
	s_or_b32 exec_lo, exec_lo, s21
	v_lshrrev_b16 v2, 8, v2
	s_mov_b32 s21, exec_lo
	v_cmpx_ne_u16_e32 0, v2
	s_cbranch_execz .LBB356_2906
; %bb.2899:                             ;   in Loop: Header=BB356_2089 Depth=1
	v_bfrev_b32_e32 v48, 1
	s_mov_b32 s22, exec_lo
	v_cmpx_ne_u16_e32 0x80, v2
	s_cbranch_execz .LBB356_2905
; %bb.2900:                             ;   in Loop: Header=BB356_2089 Depth=1
	v_and_b32_e32 v49, 0xffff, v2
	v_mov_b32_e32 v48, 0x7fc02000
	s_mov_b32 s23, exec_lo
	s_delay_alu instid0(VALU_DEP_2) | instskip(NEXT) | instid1(VALU_DEP_1)
	v_and_b32_e32 v17, 0x7f, v49
	v_cmpx_ne_u32_e32 0x7f, v17
	s_cbranch_execz .LBB356_2904
; %bb.2901:                             ;   in Loop: Header=BB356_2089 Depth=1
	v_and_b32_e32 v2, 7, v49
	v_lshrrev_b32_e32 v48, 3, v17
	v_cmp_gt_u32_e64 s8, 8, v17
	s_delay_alu instid0(VALU_DEP_3) | instskip(NEXT) | instid1(VALU_DEP_2)
	v_dual_mov_b32 v18, v3 :: v_dual_mov_b32 v17, v2
	s_and_saveexec_b32 s24, s8
; %bb.2902:                             ;   in Loop: Header=BB356_2089 Depth=1
	v_clz_i32_u32_e32 v17, v2
	s_delay_alu instid0(VALU_DEP_1) | instskip(NEXT) | instid1(VALU_DEP_1)
	v_min_u32_e32 v48, 32, v17
	v_subrev_nc_u32_e32 v17, 28, v48
	v_sub_nc_u32_e32 v48, 29, v48
	s_delay_alu instid0(VALU_DEP_2) | instskip(NEXT) | instid1(VALU_DEP_1)
	v_lshlrev_b64 v[17:18], v17, v[2:3]
	v_and_b32_e32 v17, 7, v17
; %bb.2903:                             ;   in Loop: Header=BB356_2089 Depth=1
	s_or_b32 exec_lo, exec_lo, s24
	v_lshlrev_b32_e32 v2, 8, v49
	v_lshl_add_u32 v18, v48, 10, 0x2000
	s_delay_alu instid0(VALU_DEP_1) | instskip(NEXT) | instid1(VALU_DEP_1)
	v_and_or_b32 v2, 0x8000, v2, v18
	v_lshl_or_b32 v2, v17, 7, v2
	s_delay_alu instid0(VALU_DEP_1)
	v_cvt_f32_f16_e32 v48, v2
.LBB356_2904:                           ;   in Loop: Header=BB356_2089 Depth=1
	s_or_b32 exec_lo, exec_lo, s23
.LBB356_2905:                           ;   in Loop: Header=BB356_2089 Depth=1
	s_delay_alu instid0(SALU_CYCLE_1)
	s_or_b32 exec_lo, exec_lo, s22
.LBB356_2906:                           ;   in Loop: Header=BB356_2089 Depth=1
	s_delay_alu instid0(SALU_CYCLE_1) | instskip(SKIP_3) | instid1(VALU_DEP_2)
	s_or_b32 exec_lo, exec_lo, s21
	v_lshrrev_b32_e32 v50, 16, v14
	v_mov_b32_e32 v17, 0
	s_mov_b32 s21, exec_lo
	v_dual_mov_b32 v49, 0 :: v_dual_and_b32 v2, 0xff, v50
	s_delay_alu instid0(VALU_DEP_1)
	v_cmpx_ne_u16_e32 0, v2
	s_cbranch_execz .LBB356_2914
; %bb.2907:                             ;   in Loop: Header=BB356_2089 Depth=1
	v_bfrev_b32_e32 v17, 1
	s_mov_b32 s22, exec_lo
	v_cmpx_ne_u16_e32 0x80, v2
	s_cbranch_execz .LBB356_2913
; %bb.2908:                             ;   in Loop: Header=BB356_2089 Depth=1
	v_bfe_u32 v18, v14, 16, 7
	v_mov_b32_e32 v17, 0x7fc02000
	s_mov_b32 s23, exec_lo
	s_delay_alu instid0(VALU_DEP_2)
	v_cmpx_ne_u32_e32 0x7f, v18
	s_cbranch_execz .LBB356_2912
; %bb.2909:                             ;   in Loop: Header=BB356_2089 Depth=1
	v_and_b32_e32 v2, 7, v50
	v_lshrrev_b32_e32 v51, 3, v18
	v_cmp_gt_u32_e64 s8, 8, v18
	s_delay_alu instid0(VALU_DEP_3) | instskip(NEXT) | instid1(VALU_DEP_2)
	v_dual_mov_b32 v18, v3 :: v_dual_mov_b32 v17, v2
	s_and_saveexec_b32 s24, s8
; %bb.2910:                             ;   in Loop: Header=BB356_2089 Depth=1
	v_clz_i32_u32_e32 v17, v2
	s_delay_alu instid0(VALU_DEP_1) | instskip(NEXT) | instid1(VALU_DEP_1)
	v_min_u32_e32 v51, 32, v17
	v_subrev_nc_u32_e32 v17, 28, v51
	v_sub_nc_u32_e32 v51, 29, v51
	s_delay_alu instid0(VALU_DEP_2) | instskip(NEXT) | instid1(VALU_DEP_1)
	v_lshlrev_b64 v[17:18], v17, v[2:3]
	v_and_b32_e32 v17, 7, v17
; %bb.2911:                             ;   in Loop: Header=BB356_2089 Depth=1
	s_or_b32 exec_lo, exec_lo, s24
	v_lshlrev_b32_e32 v2, 8, v50
	v_lshl_add_u32 v18, v51, 10, 0x2000
	s_delay_alu instid0(VALU_DEP_1) | instskip(NEXT) | instid1(VALU_DEP_1)
	v_and_or_b32 v2, 0x8000, v2, v18
	v_lshl_or_b32 v2, v17, 7, v2
	s_delay_alu instid0(VALU_DEP_1)
	v_cvt_f32_f16_e32 v17, v2
.LBB356_2912:                           ;   in Loop: Header=BB356_2089 Depth=1
	s_or_b32 exec_lo, exec_lo, s23
.LBB356_2913:                           ;   in Loop: Header=BB356_2089 Depth=1
	s_delay_alu instid0(SALU_CYCLE_1)
	s_or_b32 exec_lo, exec_lo, s22
.LBB356_2914:                           ;   in Loop: Header=BB356_2089 Depth=1
	s_delay_alu instid0(SALU_CYCLE_1) | instskip(NEXT) | instid1(SALU_CYCLE_1)
	s_or_b32 exec_lo, exec_lo, s21
	s_mov_b32 s21, exec_lo
	v_cmpx_lt_u64_e64 s[18:19], v[13:14]
	s_cbranch_execz .LBB356_2922
; %bb.2915:                             ;   in Loop: Header=BB356_2089 Depth=1
	v_lshrrev_b32_e32 v18, 24, v14
	v_bfrev_b32_e32 v49, 1
	s_mov_b32 s22, exec_lo
	s_delay_alu instid0(VALU_DEP_2)
	v_cmpx_ne_u32_e32 0x80, v18
	s_cbranch_execz .LBB356_2921
; %bb.2916:                             ;   in Loop: Header=BB356_2089 Depth=1
	v_and_b32_e32 v50, 0x7f, v18
	v_mov_b32_e32 v49, 0x7fc02000
	s_mov_b32 s23, exec_lo
	s_delay_alu instid0(VALU_DEP_2)
	v_cmpx_ne_u32_e32 0x7f, v50
	s_cbranch_execz .LBB356_2920
; %bb.2917:                             ;   in Loop: Header=BB356_2089 Depth=1
	v_and_b32_e32 v2, 7, v18
	v_lshrrev_b32_e32 v49, 3, v50
	v_mov_b32_e32 v14, v3
	s_mov_b32 s24, exec_lo
	s_delay_alu instid0(VALU_DEP_3)
	v_mov_b32_e32 v13, v2
	v_cmpx_gt_u32_e32 8, v50
; %bb.2918:                             ;   in Loop: Header=BB356_2089 Depth=1
	v_clz_i32_u32_e32 v13, v2
	s_delay_alu instid0(VALU_DEP_1) | instskip(NEXT) | instid1(VALU_DEP_1)
	v_min_u32_e32 v49, 32, v13
	v_subrev_nc_u32_e32 v13, 28, v49
	v_sub_nc_u32_e32 v49, 29, v49
	s_delay_alu instid0(VALU_DEP_2) | instskip(NEXT) | instid1(VALU_DEP_1)
	v_lshlrev_b64 v[13:14], v13, v[2:3]
	v_and_b32_e32 v13, 7, v13
; %bb.2919:                             ;   in Loop: Header=BB356_2089 Depth=1
	s_or_b32 exec_lo, exec_lo, s24
	v_lshlrev_b32_e32 v2, 8, v18
	v_lshl_add_u32 v14, v49, 10, 0x2000
	s_delay_alu instid0(VALU_DEP_1) | instskip(NEXT) | instid1(VALU_DEP_1)
	v_and_or_b32 v2, 0x8000, v2, v14
	v_lshl_or_b32 v2, v13, 7, v2
	s_delay_alu instid0(VALU_DEP_1)
	v_cvt_f32_f16_e32 v49, v2
.LBB356_2920:                           ;   in Loop: Header=BB356_2089 Depth=1
	s_or_b32 exec_lo, exec_lo, s23
.LBB356_2921:                           ;   in Loop: Header=BB356_2089 Depth=1
	s_delay_alu instid0(SALU_CYCLE_1)
	s_or_b32 exec_lo, exec_lo, s22
.LBB356_2922:                           ;   in Loop: Header=BB356_2089 Depth=1
	s_delay_alu instid0(SALU_CYCLE_1)
	s_or_b32 exec_lo, exec_lo, s21
	s_waitcnt vmcnt(0) lgkmcnt(0)
	v_fma_mixlo_f16 v2, v4, v38, 0
	v_fma_mixlo_f16 v13, v4, v37, 0
	v_fma_mixlo_f16 v14, v4, v22, 0
	v_fma_mixlo_f16 v5, v4, v5, 0
	v_fma_mixlo_f16 v18, v4, v48, 0
	v_lshlrev_b32_e32 v22, 16, v2
	v_fma_mixlo_f16 v37, v4, v39, 0
	v_and_b32_e32 v38, 0xffff, v13
	v_lshlrev_b32_e32 v39, 16, v14
	v_and_b32_e32 v48, 0xffff, v5
	v_fma_mixlo_f16 v49, v4, v49, 0
	v_fma_mixlo_f16 v4, v4, v17, 0
	v_cndmask_b32_e32 v5, 0, v5, vcc_lo
	v_cndmask_b32_e64 v14, 0, v14, s0
	v_cndmask_b32_e64 v13, 0, v13, s2
	;; [unrolled: 1-line block ×3, first 2 shown]
	v_lshlrev_b32_e32 v50, 16, v18
	v_and_b32_e32 v51, 0xffff, v37
	v_or_b32_e32 v17, v22, v38
	v_or_b32_e32 v22, v39, v48
	v_lshlrev_b32_e32 v39, 16, v49
	v_and_b32_e32 v48, 0xffff, v4
	v_cndmask_b32_e64 v37, 0, v37, s6
	v_cndmask_b32_e64 v18, 0, v18, s7
	;; [unrolled: 1-line block ×4, first 2 shown]
	v_perm_b32 v5, v14, v5, 0x5040100
	v_perm_b32 v2, v2, v13, 0x5040100
	v_or_b32_e32 v38, v50, v51
	v_or_b32_e32 v39, v39, v48
	v_perm_b32 v13, v18, v37, 0x5040100
	v_perm_b32 v4, v49, v4, 0x5040100
	v_cndmask_b32_e64 v5, v22, v5, s1
	v_mov_b32_e32 v22, 0
	v_cndmask_b32_e64 v2, v17, v2, s1
	v_cndmask_b32_e64 v13, v38, v13, s1
	;; [unrolled: 1-line block ×3, first 2 shown]
	;;#ASMSTART
	v_pk_mul_f16 v5, v146, v5;

	;;#ASMEND
	;;#ASMSTART
	v_pk_mul_f16 v2, v145, v2;

	;;#ASMEND
	;;#ASMSTART
	v_pk_mul_f16 v13, v144, v13;

	;;#ASMEND
	;;#ASMSTART
	v_pk_mul_f16 v4, v149, v4;

	;;#ASMEND
	;;#ASMSTART
	v_pk_add_f16 v2, v5, v2;

	;;#ASMEND
	;;#ASMSTART
	v_pk_add_f16 v2, v2, v13;

	;;#ASMEND
	;;#ASMSTART
	v_pk_add_f16 v2, v2, v4;

	;;#ASMEND
	v_and_b32_e32 v4, 0xffff, v2
	v_lshrrev_b32_e32 v2, 16, v2
	;;#ASMSTART
	v_cvt_f32_f16 v44, v4;
	;;#ASMEND
	;;#ASMSTART
	v_cvt_f32_f16 v45, v2;
	;;#ASMEND
	flat_load_b64 v[13:14], v[11:12] offset:3328
	flat_load_b32 v4, v[26:27]
	v_mov_b32_e32 v5, 0
	s_mov_b32 s21, exec_lo
	s_waitcnt vmcnt(1) lgkmcnt(1)
	v_and_b32_e32 v2, 0xff, v13
	s_delay_alu instid0(VALU_DEP_1)
	v_cmpx_ne_u16_e32 0, v2
	s_cbranch_execz .LBB356_2930
; %bb.2923:                             ;   in Loop: Header=BB356_2089 Depth=1
	v_bfrev_b32_e32 v5, 1
	s_mov_b32 s22, exec_lo
	v_cmpx_ne_u16_e32 0x80, v2
	s_cbranch_execz .LBB356_2929
; %bb.2924:                             ;   in Loop: Header=BB356_2089 Depth=1
	v_and_b32_e32 v17, 0x7f, v13
	v_mov_b32_e32 v5, 0x7fc02000
	s_mov_b32 s23, exec_lo
	s_delay_alu instid0(VALU_DEP_2)
	v_cmpx_ne_u32_e32 0x7f, v17
	s_cbranch_execz .LBB356_2928
; %bb.2925:                             ;   in Loop: Header=BB356_2089 Depth=1
	v_lshrrev_b32_e32 v2, 3, v17
	v_cmp_gt_u32_e64 s8, 8, v17
	v_dual_mov_b32 v18, v14 :: v_dual_mov_b32 v17, v13
	s_delay_alu instid0(VALU_DEP_2)
	s_and_saveexec_b32 s24, s8
; %bb.2926:                             ;   in Loop: Header=BB356_2089 Depth=1
	v_and_b32_e32 v2, 7, v13
	s_delay_alu instid0(VALU_DEP_1) | instskip(NEXT) | instid1(VALU_DEP_1)
	v_clz_i32_u32_e32 v2, v2
	v_min_u32_e32 v2, 32, v2
	s_delay_alu instid0(VALU_DEP_1) | instskip(SKIP_1) | instid1(VALU_DEP_2)
	v_subrev_nc_u32_e32 v5, 28, v2
	v_sub_nc_u32_e32 v2, 29, v2
	v_lshlrev_b64 v[17:18], v5, v[13:14]
; %bb.2927:                             ;   in Loop: Header=BB356_2089 Depth=1
	s_or_b32 exec_lo, exec_lo, s24
	v_lshlrev_b32_e32 v5, 8, v13
	s_delay_alu instid0(VALU_DEP_3) | instskip(NEXT) | instid1(VALU_DEP_3)
	v_lshl_add_u32 v2, v2, 10, 0x2000
	v_lshlrev_b32_e32 v17, 7, v17
	s_delay_alu instid0(VALU_DEP_2) | instskip(NEXT) | instid1(VALU_DEP_1)
	v_and_or_b32 v2, 0x8000, v5, v2
	v_and_or_b32 v2, 0x380, v17, v2
	s_delay_alu instid0(VALU_DEP_1)
	v_cvt_f32_f16_e32 v5, v2
.LBB356_2928:                           ;   in Loop: Header=BB356_2089 Depth=1
	s_or_b32 exec_lo, exec_lo, s23
.LBB356_2929:                           ;   in Loop: Header=BB356_2089 Depth=1
	s_delay_alu instid0(SALU_CYCLE_1)
	s_or_b32 exec_lo, exec_lo, s22
.LBB356_2930:                           ;   in Loop: Header=BB356_2089 Depth=1
	s_delay_alu instid0(SALU_CYCLE_1) | instskip(SKIP_2) | instid1(VALU_DEP_1)
	s_or_b32 exec_lo, exec_lo, s21
	v_lshrrev_b16 v2, 8, v13
	s_mov_b32 s21, exec_lo
	v_cmpx_ne_u16_e32 0, v2
	s_cbranch_execz .LBB356_2938
; %bb.2931:                             ;   in Loop: Header=BB356_2089 Depth=1
	v_bfrev_b32_e32 v22, 1
	s_mov_b32 s22, exec_lo
	v_cmpx_ne_u16_e32 0x80, v2
	s_cbranch_execz .LBB356_2937
; %bb.2932:                             ;   in Loop: Header=BB356_2089 Depth=1
	v_and_b32_e32 v37, 0xffff, v2
	v_mov_b32_e32 v22, 0x7fc02000
	s_mov_b32 s23, exec_lo
	s_delay_alu instid0(VALU_DEP_2) | instskip(NEXT) | instid1(VALU_DEP_1)
	v_and_b32_e32 v38, 0x7f, v37
	v_cmpx_ne_u32_e32 0x7f, v38
	s_cbranch_execz .LBB356_2936
; %bb.2933:                             ;   in Loop: Header=BB356_2089 Depth=1
	v_and_b32_e32 v2, 7, v37
	v_lshrrev_b32_e32 v22, 3, v38
	v_mov_b32_e32 v18, v3
	s_mov_b32 s24, exec_lo
	s_delay_alu instid0(VALU_DEP_3)
	v_mov_b32_e32 v17, v2
	v_cmpx_gt_u32_e32 8, v38
; %bb.2934:                             ;   in Loop: Header=BB356_2089 Depth=1
	v_clz_i32_u32_e32 v17, v2
	s_delay_alu instid0(VALU_DEP_1) | instskip(NEXT) | instid1(VALU_DEP_1)
	v_min_u32_e32 v22, 32, v17
	v_subrev_nc_u32_e32 v17, 28, v22
	v_sub_nc_u32_e32 v22, 29, v22
	s_delay_alu instid0(VALU_DEP_2) | instskip(NEXT) | instid1(VALU_DEP_1)
	v_lshlrev_b64 v[17:18], v17, v[2:3]
	v_and_b32_e32 v17, 7, v17
; %bb.2935:                             ;   in Loop: Header=BB356_2089 Depth=1
	s_or_b32 exec_lo, exec_lo, s24
	v_lshlrev_b32_e32 v2, 8, v37
	v_lshl_add_u32 v18, v22, 10, 0x2000
	s_delay_alu instid0(VALU_DEP_1) | instskip(NEXT) | instid1(VALU_DEP_1)
	v_and_or_b32 v2, 0x8000, v2, v18
	v_lshl_or_b32 v2, v17, 7, v2
	s_delay_alu instid0(VALU_DEP_1)
	v_cvt_f32_f16_e32 v22, v2
.LBB356_2936:                           ;   in Loop: Header=BB356_2089 Depth=1
	s_or_b32 exec_lo, exec_lo, s23
.LBB356_2937:                           ;   in Loop: Header=BB356_2089 Depth=1
	s_delay_alu instid0(SALU_CYCLE_1)
	s_or_b32 exec_lo, exec_lo, s22
.LBB356_2938:                           ;   in Loop: Header=BB356_2089 Depth=1
	s_delay_alu instid0(SALU_CYCLE_1) | instskip(SKIP_3) | instid1(VALU_DEP_2)
	s_or_b32 exec_lo, exec_lo, s21
	v_lshrrev_b32_e32 v39, 16, v13
	v_mov_b32_e32 v38, 0
	s_mov_b32 s21, exec_lo
	v_dual_mov_b32 v37, 0 :: v_dual_and_b32 v2, 0xff, v39
	s_delay_alu instid0(VALU_DEP_1)
	v_cmpx_ne_u16_e32 0, v2
	s_cbranch_execz .LBB356_2946
; %bb.2939:                             ;   in Loop: Header=BB356_2089 Depth=1
	v_bfrev_b32_e32 v37, 1
	s_mov_b32 s22, exec_lo
	v_cmpx_ne_u16_e32 0x80, v2
	s_cbranch_execz .LBB356_2945
; %bb.2940:                             ;   in Loop: Header=BB356_2089 Depth=1
	v_bfe_u32 v48, v13, 16, 7
	v_mov_b32_e32 v37, 0x7fc02000
	s_mov_b32 s23, exec_lo
	s_delay_alu instid0(VALU_DEP_2)
	v_cmpx_ne_u32_e32 0x7f, v48
	s_cbranch_execz .LBB356_2944
; %bb.2941:                             ;   in Loop: Header=BB356_2089 Depth=1
	v_and_b32_e32 v2, 7, v39
	v_lshrrev_b32_e32 v37, 3, v48
	v_mov_b32_e32 v18, v3
	s_mov_b32 s24, exec_lo
	s_delay_alu instid0(VALU_DEP_3)
	v_mov_b32_e32 v17, v2
	v_cmpx_gt_u32_e32 8, v48
; %bb.2942:                             ;   in Loop: Header=BB356_2089 Depth=1
	v_clz_i32_u32_e32 v17, v2
	s_delay_alu instid0(VALU_DEP_1) | instskip(NEXT) | instid1(VALU_DEP_1)
	v_min_u32_e32 v37, 32, v17
	v_subrev_nc_u32_e32 v17, 28, v37
	v_sub_nc_u32_e32 v37, 29, v37
	s_delay_alu instid0(VALU_DEP_2) | instskip(NEXT) | instid1(VALU_DEP_1)
	v_lshlrev_b64 v[17:18], v17, v[2:3]
	v_and_b32_e32 v17, 7, v17
; %bb.2943:                             ;   in Loop: Header=BB356_2089 Depth=1
	s_or_b32 exec_lo, exec_lo, s24
	v_lshlrev_b32_e32 v2, 8, v39
	v_lshl_add_u32 v18, v37, 10, 0x2000
	s_delay_alu instid0(VALU_DEP_1) | instskip(NEXT) | instid1(VALU_DEP_1)
	v_and_or_b32 v2, 0x8000, v2, v18
	v_lshl_or_b32 v2, v17, 7, v2
	s_delay_alu instid0(VALU_DEP_1)
	v_cvt_f32_f16_e32 v37, v2
.LBB356_2944:                           ;   in Loop: Header=BB356_2089 Depth=1
	s_or_b32 exec_lo, exec_lo, s23
.LBB356_2945:                           ;   in Loop: Header=BB356_2089 Depth=1
	s_delay_alu instid0(SALU_CYCLE_1)
	s_or_b32 exec_lo, exec_lo, s22
.LBB356_2946:                           ;   in Loop: Header=BB356_2089 Depth=1
	s_delay_alu instid0(SALU_CYCLE_1) | instskip(NEXT) | instid1(SALU_CYCLE_1)
	s_or_b32 exec_lo, exec_lo, s21
	s_mov_b32 s21, exec_lo
	v_cmpx_lt_u32_e32 0xffffff, v13
	s_cbranch_execz .LBB356_2954
; %bb.2947:                             ;   in Loop: Header=BB356_2089 Depth=1
	v_lshrrev_b32_e32 v39, 24, v13
	v_bfrev_b32_e32 v38, 1
	s_mov_b32 s22, exec_lo
	s_delay_alu instid0(VALU_DEP_2)
	v_cmpx_ne_u32_e32 0x80, v39
	s_cbranch_execz .LBB356_2953
; %bb.2948:                             ;   in Loop: Header=BB356_2089 Depth=1
	v_and_b32_e32 v48, 0x7f, v39
	v_mov_b32_e32 v38, 0x7fc02000
	s_mov_b32 s23, exec_lo
	s_delay_alu instid0(VALU_DEP_2)
	v_cmpx_ne_u32_e32 0x7f, v48
	s_cbranch_execz .LBB356_2952
; %bb.2949:                             ;   in Loop: Header=BB356_2089 Depth=1
	v_and_b32_e32 v2, 7, v39
	v_lshrrev_b32_e32 v38, 3, v48
	v_mov_b32_e32 v18, v3
	s_mov_b32 s24, exec_lo
	s_delay_alu instid0(VALU_DEP_3)
	v_mov_b32_e32 v17, v2
	v_cmpx_gt_u32_e32 8, v48
; %bb.2950:                             ;   in Loop: Header=BB356_2089 Depth=1
	v_clz_i32_u32_e32 v17, v2
	s_delay_alu instid0(VALU_DEP_1) | instskip(NEXT) | instid1(VALU_DEP_1)
	v_min_u32_e32 v38, 32, v17
	v_subrev_nc_u32_e32 v17, 28, v38
	v_sub_nc_u32_e32 v38, 29, v38
	s_delay_alu instid0(VALU_DEP_2) | instskip(NEXT) | instid1(VALU_DEP_1)
	v_lshlrev_b64 v[17:18], v17, v[2:3]
	v_and_b32_e32 v17, 7, v17
; %bb.2951:                             ;   in Loop: Header=BB356_2089 Depth=1
	s_or_b32 exec_lo, exec_lo, s24
	v_lshlrev_b32_e32 v2, 8, v39
	v_lshl_add_u32 v18, v38, 10, 0x2000
	s_delay_alu instid0(VALU_DEP_1) | instskip(NEXT) | instid1(VALU_DEP_1)
	v_and_or_b32 v2, 0x8000, v2, v18
	v_lshl_or_b32 v2, v17, 7, v2
	s_delay_alu instid0(VALU_DEP_1)
	v_cvt_f32_f16_e32 v38, v2
.LBB356_2952:                           ;   in Loop: Header=BB356_2089 Depth=1
	s_or_b32 exec_lo, exec_lo, s23
.LBB356_2953:                           ;   in Loop: Header=BB356_2089 Depth=1
	s_delay_alu instid0(SALU_CYCLE_1)
	s_or_b32 exec_lo, exec_lo, s22
.LBB356_2954:                           ;   in Loop: Header=BB356_2089 Depth=1
	s_delay_alu instid0(SALU_CYCLE_1) | instskip(SKIP_3) | instid1(VALU_DEP_2)
	s_or_b32 exec_lo, exec_lo, s21
	v_dual_mov_b32 v2, v14 :: v_dual_and_b32 v17, 0xff, v14
	v_dual_mov_b32 v48, 0 :: v_dual_mov_b32 v39, 0
	s_mov_b32 s21, exec_lo
	v_cmpx_ne_u16_e32 0, v17
	s_cbranch_execz .LBB356_2962
; %bb.2955:                             ;   in Loop: Header=BB356_2089 Depth=1
	v_bfrev_b32_e32 v39, 1
	s_mov_b32 s22, exec_lo
	v_cmpx_ne_u16_e32 0x80, v17
	s_cbranch_execz .LBB356_2961
; %bb.2956:                             ;   in Loop: Header=BB356_2089 Depth=1
	v_and_b32_e32 v49, 0x7f, v14
	v_mov_b32_e32 v39, 0x7fc02000
	s_mov_b32 s23, exec_lo
	s_delay_alu instid0(VALU_DEP_2)
	v_cmpx_ne_u32_e32 0x7f, v49
	s_cbranch_execz .LBB356_2960
; %bb.2957:                             ;   in Loop: Header=BB356_2089 Depth=1
	v_dual_mov_b32 v18, v3 :: v_dual_mov_b32 v17, v2
	v_lshrrev_b32_e32 v18, 3, v49
	s_mov_b32 s24, exec_lo
	v_cmpx_gt_u32_e32 8, v49
; %bb.2958:                             ;   in Loop: Header=BB356_2089 Depth=1
	v_and_b32_e32 v17, 7, v14
	s_delay_alu instid0(VALU_DEP_1) | instskip(NEXT) | instid1(VALU_DEP_1)
	v_clz_i32_u32_e32 v17, v17
	v_min_u32_e32 v39, 32, v17
	s_delay_alu instid0(VALU_DEP_1) | instskip(NEXT) | instid1(VALU_DEP_1)
	v_subrev_nc_u32_e32 v17, 28, v39
	v_lshlrev_b64 v[17:18], v17, v[2:3]
	v_sub_nc_u32_e32 v18, 29, v39
; %bb.2959:                             ;   in Loop: Header=BB356_2089 Depth=1
	s_or_b32 exec_lo, exec_lo, s24
	v_lshlrev_b32_e32 v39, 8, v14
	s_delay_alu instid0(VALU_DEP_2) | instskip(NEXT) | instid1(VALU_DEP_4)
	v_lshl_add_u32 v18, v18, 10, 0x2000
	v_lshlrev_b32_e32 v17, 7, v17
	s_delay_alu instid0(VALU_DEP_2) | instskip(NEXT) | instid1(VALU_DEP_1)
	v_and_or_b32 v18, 0x8000, v39, v18
	v_and_or_b32 v17, 0x380, v17, v18
	s_delay_alu instid0(VALU_DEP_1)
	v_cvt_f32_f16_e32 v39, v17
.LBB356_2960:                           ;   in Loop: Header=BB356_2089 Depth=1
	s_or_b32 exec_lo, exec_lo, s23
.LBB356_2961:                           ;   in Loop: Header=BB356_2089 Depth=1
	s_delay_alu instid0(SALU_CYCLE_1)
	s_or_b32 exec_lo, exec_lo, s22
.LBB356_2962:                           ;   in Loop: Header=BB356_2089 Depth=1
	s_delay_alu instid0(SALU_CYCLE_1) | instskip(SKIP_2) | instid1(VALU_DEP_1)
	s_or_b32 exec_lo, exec_lo, s21
	v_lshrrev_b16 v2, 8, v2
	s_mov_b32 s21, exec_lo
	v_cmpx_ne_u16_e32 0, v2
	s_cbranch_execz .LBB356_2970
; %bb.2963:                             ;   in Loop: Header=BB356_2089 Depth=1
	v_bfrev_b32_e32 v48, 1
	s_mov_b32 s22, exec_lo
	v_cmpx_ne_u16_e32 0x80, v2
	s_cbranch_execz .LBB356_2969
; %bb.2964:                             ;   in Loop: Header=BB356_2089 Depth=1
	v_and_b32_e32 v49, 0xffff, v2
	v_mov_b32_e32 v48, 0x7fc02000
	s_mov_b32 s23, exec_lo
	s_delay_alu instid0(VALU_DEP_2) | instskip(NEXT) | instid1(VALU_DEP_1)
	v_and_b32_e32 v50, 0x7f, v49
	v_cmpx_ne_u32_e32 0x7f, v50
	s_cbranch_execz .LBB356_2968
; %bb.2965:                             ;   in Loop: Header=BB356_2089 Depth=1
	v_and_b32_e32 v2, 7, v49
	v_lshrrev_b32_e32 v48, 3, v50
	v_mov_b32_e32 v18, v3
	s_mov_b32 s24, exec_lo
	s_delay_alu instid0(VALU_DEP_3)
	v_mov_b32_e32 v17, v2
	v_cmpx_gt_u32_e32 8, v50
; %bb.2966:                             ;   in Loop: Header=BB356_2089 Depth=1
	v_clz_i32_u32_e32 v17, v2
	s_delay_alu instid0(VALU_DEP_1) | instskip(NEXT) | instid1(VALU_DEP_1)
	v_min_u32_e32 v48, 32, v17
	v_subrev_nc_u32_e32 v17, 28, v48
	v_sub_nc_u32_e32 v48, 29, v48
	s_delay_alu instid0(VALU_DEP_2) | instskip(NEXT) | instid1(VALU_DEP_1)
	v_lshlrev_b64 v[17:18], v17, v[2:3]
	v_and_b32_e32 v17, 7, v17
; %bb.2967:                             ;   in Loop: Header=BB356_2089 Depth=1
	s_or_b32 exec_lo, exec_lo, s24
	v_lshlrev_b32_e32 v2, 8, v49
	v_lshl_add_u32 v18, v48, 10, 0x2000
	s_delay_alu instid0(VALU_DEP_1) | instskip(NEXT) | instid1(VALU_DEP_1)
	v_and_or_b32 v2, 0x8000, v2, v18
	v_lshl_or_b32 v2, v17, 7, v2
	s_delay_alu instid0(VALU_DEP_1)
	v_cvt_f32_f16_e32 v48, v2
.LBB356_2968:                           ;   in Loop: Header=BB356_2089 Depth=1
	s_or_b32 exec_lo, exec_lo, s23
.LBB356_2969:                           ;   in Loop: Header=BB356_2089 Depth=1
	s_delay_alu instid0(SALU_CYCLE_1)
	s_or_b32 exec_lo, exec_lo, s22
.LBB356_2970:                           ;   in Loop: Header=BB356_2089 Depth=1
	s_delay_alu instid0(SALU_CYCLE_1) | instskip(SKIP_3) | instid1(VALU_DEP_2)
	s_or_b32 exec_lo, exec_lo, s21
	v_lshrrev_b32_e32 v50, 16, v14
	v_mov_b32_e32 v17, 0
	s_mov_b32 s21, exec_lo
	v_dual_mov_b32 v49, 0 :: v_dual_and_b32 v2, 0xff, v50
	s_delay_alu instid0(VALU_DEP_1)
	v_cmpx_ne_u16_e32 0, v2
	s_cbranch_execz .LBB356_2978
; %bb.2971:                             ;   in Loop: Header=BB356_2089 Depth=1
	v_bfrev_b32_e32 v17, 1
	s_mov_b32 s22, exec_lo
	v_cmpx_ne_u16_e32 0x80, v2
	s_cbranch_execz .LBB356_2977
; %bb.2972:                             ;   in Loop: Header=BB356_2089 Depth=1
	v_bfe_u32 v53, v14, 16, 7
	v_mov_b32_e32 v17, 0x7fc02000
	s_mov_b32 s23, exec_lo
	s_delay_alu instid0(VALU_DEP_2)
	v_cmpx_ne_u32_e32 0x7f, v53
	s_cbranch_execz .LBB356_2976
; %bb.2973:                             ;   in Loop: Header=BB356_2089 Depth=1
	v_and_b32_e32 v2, 7, v50
	v_lshrrev_b32_e32 v51, 3, v53
	v_mov_b32_e32 v18, v3
	s_mov_b32 s24, exec_lo
	s_delay_alu instid0(VALU_DEP_3)
	v_mov_b32_e32 v17, v2
	v_cmpx_gt_u32_e32 8, v53
; %bb.2974:                             ;   in Loop: Header=BB356_2089 Depth=1
	v_clz_i32_u32_e32 v17, v2
	s_delay_alu instid0(VALU_DEP_1) | instskip(NEXT) | instid1(VALU_DEP_1)
	v_min_u32_e32 v51, 32, v17
	v_subrev_nc_u32_e32 v17, 28, v51
	v_sub_nc_u32_e32 v51, 29, v51
	s_delay_alu instid0(VALU_DEP_2) | instskip(NEXT) | instid1(VALU_DEP_1)
	v_lshlrev_b64 v[17:18], v17, v[2:3]
	v_and_b32_e32 v17, 7, v17
; %bb.2975:                             ;   in Loop: Header=BB356_2089 Depth=1
	s_or_b32 exec_lo, exec_lo, s24
	v_lshlrev_b32_e32 v2, 8, v50
	v_lshl_add_u32 v18, v51, 10, 0x2000
	s_delay_alu instid0(VALU_DEP_1) | instskip(NEXT) | instid1(VALU_DEP_1)
	v_and_or_b32 v2, 0x8000, v2, v18
	v_lshl_or_b32 v2, v17, 7, v2
	s_delay_alu instid0(VALU_DEP_1)
	v_cvt_f32_f16_e32 v17, v2
.LBB356_2976:                           ;   in Loop: Header=BB356_2089 Depth=1
	s_or_b32 exec_lo, exec_lo, s23
.LBB356_2977:                           ;   in Loop: Header=BB356_2089 Depth=1
	s_delay_alu instid0(SALU_CYCLE_1)
	s_or_b32 exec_lo, exec_lo, s22
.LBB356_2978:                           ;   in Loop: Header=BB356_2089 Depth=1
	s_delay_alu instid0(SALU_CYCLE_1) | instskip(NEXT) | instid1(SALU_CYCLE_1)
	s_or_b32 exec_lo, exec_lo, s21
	s_mov_b32 s21, exec_lo
	v_cmpx_lt_u64_e64 s[18:19], v[13:14]
	s_cbranch_execz .LBB356_2986
; %bb.2979:                             ;   in Loop: Header=BB356_2089 Depth=1
	v_lshrrev_b32_e32 v18, 24, v14
	v_bfrev_b32_e32 v49, 1
	s_mov_b32 s22, exec_lo
	s_delay_alu instid0(VALU_DEP_2)
	v_cmpx_ne_u32_e32 0x80, v18
	s_cbranch_execz .LBB356_2985
; %bb.2980:                             ;   in Loop: Header=BB356_2089 Depth=1
	v_and_b32_e32 v50, 0x7f, v18
	v_mov_b32_e32 v49, 0x7fc02000
	s_mov_b32 s23, exec_lo
	s_delay_alu instid0(VALU_DEP_2)
	v_cmpx_ne_u32_e32 0x7f, v50
	s_cbranch_execz .LBB356_2984
; %bb.2981:                             ;   in Loop: Header=BB356_2089 Depth=1
	v_and_b32_e32 v2, 7, v18
	v_lshrrev_b32_e32 v49, 3, v50
	v_mov_b32_e32 v14, v3
	s_mov_b32 s24, exec_lo
	s_delay_alu instid0(VALU_DEP_3)
	v_mov_b32_e32 v13, v2
	v_cmpx_gt_u32_e32 8, v50
; %bb.2982:                             ;   in Loop: Header=BB356_2089 Depth=1
	v_clz_i32_u32_e32 v13, v2
	s_delay_alu instid0(VALU_DEP_1) | instskip(NEXT) | instid1(VALU_DEP_1)
	v_min_u32_e32 v49, 32, v13
	v_subrev_nc_u32_e32 v13, 28, v49
	v_sub_nc_u32_e32 v49, 29, v49
	s_delay_alu instid0(VALU_DEP_2) | instskip(NEXT) | instid1(VALU_DEP_1)
	v_lshlrev_b64 v[13:14], v13, v[2:3]
	v_and_b32_e32 v13, 7, v13
; %bb.2983:                             ;   in Loop: Header=BB356_2089 Depth=1
	s_or_b32 exec_lo, exec_lo, s24
	v_lshlrev_b32_e32 v2, 8, v18
	v_lshl_add_u32 v14, v49, 10, 0x2000
	s_delay_alu instid0(VALU_DEP_1) | instskip(NEXT) | instid1(VALU_DEP_1)
	v_and_or_b32 v2, 0x8000, v2, v14
	v_lshl_or_b32 v2, v13, 7, v2
	s_delay_alu instid0(VALU_DEP_1)
	v_cvt_f32_f16_e32 v49, v2
.LBB356_2984:                           ;   in Loop: Header=BB356_2089 Depth=1
	s_or_b32 exec_lo, exec_lo, s23
.LBB356_2985:                           ;   in Loop: Header=BB356_2089 Depth=1
	s_delay_alu instid0(SALU_CYCLE_1)
	s_or_b32 exec_lo, exec_lo, s22
.LBB356_2986:                           ;   in Loop: Header=BB356_2089 Depth=1
	s_delay_alu instid0(SALU_CYCLE_1)
	s_or_b32 exec_lo, exec_lo, s21
	s_waitcnt vmcnt(0) lgkmcnt(0)
	v_fma_mixlo_f16 v2, v4, v38, 0
	v_fma_mixlo_f16 v13, v4, v37, 0
	;; [unrolled: 1-line block ×5, first 2 shown]
	v_lshlrev_b32_e32 v22, 16, v2
	v_fma_mixlo_f16 v37, v4, v39, 0
	v_and_b32_e32 v38, 0xffff, v13
	v_lshlrev_b32_e32 v39, 16, v14
	v_and_b32_e32 v48, 0xffff, v5
	v_fma_mixlo_f16 v49, v4, v49, 0
	v_fma_mixlo_f16 v4, v4, v17, 0
	v_cndmask_b32_e32 v5, 0, v5, vcc_lo
	v_cndmask_b32_e64 v14, 0, v14, s0
	v_cndmask_b32_e64 v13, 0, v13, s2
	;; [unrolled: 1-line block ×3, first 2 shown]
	v_lshlrev_b32_e32 v50, 16, v18
	v_and_b32_e32 v51, 0xffff, v37
	v_or_b32_e32 v17, v22, v38
	v_or_b32_e32 v22, v39, v48
	v_lshlrev_b32_e32 v39, 16, v49
	v_and_b32_e32 v48, 0xffff, v4
	v_cndmask_b32_e64 v37, 0, v37, s6
	v_cndmask_b32_e64 v18, 0, v18, s7
	v_cndmask_b32_e64 v4, 0, v4, s3
	v_cndmask_b32_e64 v49, 0, v49, s5
	v_perm_b32 v5, v14, v5, 0x5040100
	v_perm_b32 v2, v2, v13, 0x5040100
	v_or_b32_e32 v38, v50, v51
	v_or_b32_e32 v39, v39, v48
	v_perm_b32 v13, v18, v37, 0x5040100
	v_perm_b32 v4, v49, v4, 0x5040100
	v_cndmask_b32_e64 v5, v22, v5, s1
	v_mov_b32_e32 v22, 0
	v_cndmask_b32_e64 v2, v17, v2, s1
	v_cndmask_b32_e64 v13, v38, v13, s1
	;; [unrolled: 1-line block ×3, first 2 shown]
	;;#ASMSTART
	v_pk_mul_f16 v5, v146, v5;

	;;#ASMEND
	;;#ASMSTART
	v_pk_mul_f16 v2, v145, v2;

	;;#ASMEND
	;; [unrolled: 4-line block ×4, first 2 shown]
	;;#ASMSTART
	v_pk_add_f16 v2, v5, v2;

	;;#ASMEND
	;;#ASMSTART
	v_pk_add_f16 v2, v2, v13;

	;;#ASMEND
	;; [unrolled: 4-line block ×3, first 2 shown]
	v_and_b32_e32 v4, 0xffff, v2
	v_lshrrev_b32_e32 v2, 16, v2
	;;#ASMSTART
	v_cvt_f32_f16 v46, v4;
	;;#ASMEND
	;;#ASMSTART
	v_cvt_f32_f16 v47, v2;
	;;#ASMEND
	flat_load_b64 v[13:14], v[11:12] offset:3584
	flat_load_b32 v4, v[26:27]
	v_mov_b32_e32 v5, 0
	s_mov_b32 s21, exec_lo
	s_waitcnt vmcnt(1) lgkmcnt(1)
	v_and_b32_e32 v2, 0xff, v13
	s_delay_alu instid0(VALU_DEP_1)
	v_cmpx_ne_u16_e32 0, v2
	s_cbranch_execz .LBB356_2994
; %bb.2987:                             ;   in Loop: Header=BB356_2089 Depth=1
	v_bfrev_b32_e32 v5, 1
	s_mov_b32 s22, exec_lo
	v_cmpx_ne_u16_e32 0x80, v2
	s_cbranch_execz .LBB356_2993
; %bb.2988:                             ;   in Loop: Header=BB356_2089 Depth=1
	v_and_b32_e32 v17, 0x7f, v13
	v_mov_b32_e32 v5, 0x7fc02000
	s_mov_b32 s23, exec_lo
	s_delay_alu instid0(VALU_DEP_2)
	v_cmpx_ne_u32_e32 0x7f, v17
	s_cbranch_execz .LBB356_2992
; %bb.2989:                             ;   in Loop: Header=BB356_2089 Depth=1
	v_lshrrev_b32_e32 v2, 3, v17
	v_cmp_gt_u32_e64 s8, 8, v17
	v_dual_mov_b32 v18, v14 :: v_dual_mov_b32 v17, v13
	s_delay_alu instid0(VALU_DEP_2)
	s_and_saveexec_b32 s24, s8
; %bb.2990:                             ;   in Loop: Header=BB356_2089 Depth=1
	v_and_b32_e32 v2, 7, v13
	s_delay_alu instid0(VALU_DEP_1) | instskip(NEXT) | instid1(VALU_DEP_1)
	v_clz_i32_u32_e32 v2, v2
	v_min_u32_e32 v2, 32, v2
	s_delay_alu instid0(VALU_DEP_1) | instskip(SKIP_1) | instid1(VALU_DEP_2)
	v_subrev_nc_u32_e32 v5, 28, v2
	v_sub_nc_u32_e32 v2, 29, v2
	v_lshlrev_b64 v[17:18], v5, v[13:14]
; %bb.2991:                             ;   in Loop: Header=BB356_2089 Depth=1
	s_or_b32 exec_lo, exec_lo, s24
	v_lshlrev_b32_e32 v5, 8, v13
	s_delay_alu instid0(VALU_DEP_3) | instskip(NEXT) | instid1(VALU_DEP_3)
	v_lshl_add_u32 v2, v2, 10, 0x2000
	v_lshlrev_b32_e32 v17, 7, v17
	s_delay_alu instid0(VALU_DEP_2) | instskip(NEXT) | instid1(VALU_DEP_1)
	v_and_or_b32 v2, 0x8000, v5, v2
	v_and_or_b32 v2, 0x380, v17, v2
	s_delay_alu instid0(VALU_DEP_1)
	v_cvt_f32_f16_e32 v5, v2
.LBB356_2992:                           ;   in Loop: Header=BB356_2089 Depth=1
	s_or_b32 exec_lo, exec_lo, s23
.LBB356_2993:                           ;   in Loop: Header=BB356_2089 Depth=1
	s_delay_alu instid0(SALU_CYCLE_1)
	s_or_b32 exec_lo, exec_lo, s22
.LBB356_2994:                           ;   in Loop: Header=BB356_2089 Depth=1
	s_delay_alu instid0(SALU_CYCLE_1) | instskip(SKIP_2) | instid1(VALU_DEP_1)
	s_or_b32 exec_lo, exec_lo, s21
	v_lshrrev_b16 v2, 8, v13
	s_mov_b32 s21, exec_lo
	v_cmpx_ne_u16_e32 0, v2
	s_cbranch_execz .LBB356_3002
; %bb.2995:                             ;   in Loop: Header=BB356_2089 Depth=1
	v_bfrev_b32_e32 v22, 1
	s_mov_b32 s22, exec_lo
	v_cmpx_ne_u16_e32 0x80, v2
	s_cbranch_execz .LBB356_3001
; %bb.2996:                             ;   in Loop: Header=BB356_2089 Depth=1
	v_and_b32_e32 v37, 0xffff, v2
	v_mov_b32_e32 v22, 0x7fc02000
	s_mov_b32 s23, exec_lo
	s_delay_alu instid0(VALU_DEP_2) | instskip(NEXT) | instid1(VALU_DEP_1)
	v_and_b32_e32 v38, 0x7f, v37
	v_cmpx_ne_u32_e32 0x7f, v38
	s_cbranch_execz .LBB356_3000
; %bb.2997:                             ;   in Loop: Header=BB356_2089 Depth=1
	v_and_b32_e32 v2, 7, v37
	v_lshrrev_b32_e32 v22, 3, v38
	v_mov_b32_e32 v18, v3
	s_mov_b32 s24, exec_lo
	s_delay_alu instid0(VALU_DEP_3)
	v_mov_b32_e32 v17, v2
	v_cmpx_gt_u32_e32 8, v38
; %bb.2998:                             ;   in Loop: Header=BB356_2089 Depth=1
	v_clz_i32_u32_e32 v17, v2
	s_delay_alu instid0(VALU_DEP_1) | instskip(NEXT) | instid1(VALU_DEP_1)
	v_min_u32_e32 v22, 32, v17
	v_subrev_nc_u32_e32 v17, 28, v22
	v_sub_nc_u32_e32 v22, 29, v22
	s_delay_alu instid0(VALU_DEP_2) | instskip(NEXT) | instid1(VALU_DEP_1)
	v_lshlrev_b64 v[17:18], v17, v[2:3]
	v_and_b32_e32 v17, 7, v17
; %bb.2999:                             ;   in Loop: Header=BB356_2089 Depth=1
	s_or_b32 exec_lo, exec_lo, s24
	v_lshlrev_b32_e32 v2, 8, v37
	v_lshl_add_u32 v18, v22, 10, 0x2000
	s_delay_alu instid0(VALU_DEP_1) | instskip(NEXT) | instid1(VALU_DEP_1)
	v_and_or_b32 v2, 0x8000, v2, v18
	v_lshl_or_b32 v2, v17, 7, v2
	s_delay_alu instid0(VALU_DEP_1)
	v_cvt_f32_f16_e32 v22, v2
.LBB356_3000:                           ;   in Loop: Header=BB356_2089 Depth=1
	s_or_b32 exec_lo, exec_lo, s23
.LBB356_3001:                           ;   in Loop: Header=BB356_2089 Depth=1
	s_delay_alu instid0(SALU_CYCLE_1)
	s_or_b32 exec_lo, exec_lo, s22
.LBB356_3002:                           ;   in Loop: Header=BB356_2089 Depth=1
	s_delay_alu instid0(SALU_CYCLE_1) | instskip(SKIP_3) | instid1(VALU_DEP_2)
	s_or_b32 exec_lo, exec_lo, s21
	v_lshrrev_b32_e32 v39, 16, v13
	v_mov_b32_e32 v38, 0
	s_mov_b32 s21, exec_lo
	v_dual_mov_b32 v37, 0 :: v_dual_and_b32 v2, 0xff, v39
	s_delay_alu instid0(VALU_DEP_1)
	v_cmpx_ne_u16_e32 0, v2
	s_cbranch_execz .LBB356_3010
; %bb.3003:                             ;   in Loop: Header=BB356_2089 Depth=1
	v_bfrev_b32_e32 v37, 1
	s_mov_b32 s22, exec_lo
	v_cmpx_ne_u16_e32 0x80, v2
	s_cbranch_execz .LBB356_3009
; %bb.3004:                             ;   in Loop: Header=BB356_2089 Depth=1
	v_bfe_u32 v48, v13, 16, 7
	v_mov_b32_e32 v37, 0x7fc02000
	s_mov_b32 s23, exec_lo
	s_delay_alu instid0(VALU_DEP_2)
	v_cmpx_ne_u32_e32 0x7f, v48
	s_cbranch_execz .LBB356_3008
; %bb.3005:                             ;   in Loop: Header=BB356_2089 Depth=1
	v_and_b32_e32 v2, 7, v39
	v_lshrrev_b32_e32 v37, 3, v48
	v_mov_b32_e32 v18, v3
	s_mov_b32 s24, exec_lo
	s_delay_alu instid0(VALU_DEP_3)
	v_mov_b32_e32 v17, v2
	v_cmpx_gt_u32_e32 8, v48
; %bb.3006:                             ;   in Loop: Header=BB356_2089 Depth=1
	v_clz_i32_u32_e32 v17, v2
	s_delay_alu instid0(VALU_DEP_1) | instskip(NEXT) | instid1(VALU_DEP_1)
	v_min_u32_e32 v37, 32, v17
	v_subrev_nc_u32_e32 v17, 28, v37
	v_sub_nc_u32_e32 v37, 29, v37
	s_delay_alu instid0(VALU_DEP_2) | instskip(NEXT) | instid1(VALU_DEP_1)
	v_lshlrev_b64 v[17:18], v17, v[2:3]
	v_and_b32_e32 v17, 7, v17
; %bb.3007:                             ;   in Loop: Header=BB356_2089 Depth=1
	s_or_b32 exec_lo, exec_lo, s24
	v_lshlrev_b32_e32 v2, 8, v39
	v_lshl_add_u32 v18, v37, 10, 0x2000
	s_delay_alu instid0(VALU_DEP_1) | instskip(NEXT) | instid1(VALU_DEP_1)
	v_and_or_b32 v2, 0x8000, v2, v18
	v_lshl_or_b32 v2, v17, 7, v2
	s_delay_alu instid0(VALU_DEP_1)
	v_cvt_f32_f16_e32 v37, v2
.LBB356_3008:                           ;   in Loop: Header=BB356_2089 Depth=1
	s_or_b32 exec_lo, exec_lo, s23
.LBB356_3009:                           ;   in Loop: Header=BB356_2089 Depth=1
	s_delay_alu instid0(SALU_CYCLE_1)
	s_or_b32 exec_lo, exec_lo, s22
.LBB356_3010:                           ;   in Loop: Header=BB356_2089 Depth=1
	s_delay_alu instid0(SALU_CYCLE_1) | instskip(NEXT) | instid1(SALU_CYCLE_1)
	s_or_b32 exec_lo, exec_lo, s21
	s_mov_b32 s21, exec_lo
	v_cmpx_lt_u32_e32 0xffffff, v13
	s_cbranch_execz .LBB356_3018
; %bb.3011:                             ;   in Loop: Header=BB356_2089 Depth=1
	v_lshrrev_b32_e32 v39, 24, v13
	v_bfrev_b32_e32 v38, 1
	s_mov_b32 s22, exec_lo
	s_delay_alu instid0(VALU_DEP_2)
	v_cmpx_ne_u32_e32 0x80, v39
	s_cbranch_execz .LBB356_3017
; %bb.3012:                             ;   in Loop: Header=BB356_2089 Depth=1
	v_and_b32_e32 v48, 0x7f, v39
	v_mov_b32_e32 v38, 0x7fc02000
	s_mov_b32 s23, exec_lo
	s_delay_alu instid0(VALU_DEP_2)
	v_cmpx_ne_u32_e32 0x7f, v48
	s_cbranch_execz .LBB356_3016
; %bb.3013:                             ;   in Loop: Header=BB356_2089 Depth=1
	v_and_b32_e32 v2, 7, v39
	v_lshrrev_b32_e32 v38, 3, v48
	v_mov_b32_e32 v18, v3
	s_mov_b32 s24, exec_lo
	s_delay_alu instid0(VALU_DEP_3)
	v_mov_b32_e32 v17, v2
	v_cmpx_gt_u32_e32 8, v48
; %bb.3014:                             ;   in Loop: Header=BB356_2089 Depth=1
	v_clz_i32_u32_e32 v17, v2
	s_delay_alu instid0(VALU_DEP_1) | instskip(NEXT) | instid1(VALU_DEP_1)
	v_min_u32_e32 v38, 32, v17
	v_subrev_nc_u32_e32 v17, 28, v38
	v_sub_nc_u32_e32 v38, 29, v38
	s_delay_alu instid0(VALU_DEP_2) | instskip(NEXT) | instid1(VALU_DEP_1)
	v_lshlrev_b64 v[17:18], v17, v[2:3]
	v_and_b32_e32 v17, 7, v17
; %bb.3015:                             ;   in Loop: Header=BB356_2089 Depth=1
	s_or_b32 exec_lo, exec_lo, s24
	v_lshlrev_b32_e32 v2, 8, v39
	v_lshl_add_u32 v18, v38, 10, 0x2000
	s_delay_alu instid0(VALU_DEP_1) | instskip(NEXT) | instid1(VALU_DEP_1)
	v_and_or_b32 v2, 0x8000, v2, v18
	v_lshl_or_b32 v2, v17, 7, v2
	s_delay_alu instid0(VALU_DEP_1)
	v_cvt_f32_f16_e32 v38, v2
.LBB356_3016:                           ;   in Loop: Header=BB356_2089 Depth=1
	s_or_b32 exec_lo, exec_lo, s23
.LBB356_3017:                           ;   in Loop: Header=BB356_2089 Depth=1
	s_delay_alu instid0(SALU_CYCLE_1)
	s_or_b32 exec_lo, exec_lo, s22
.LBB356_3018:                           ;   in Loop: Header=BB356_2089 Depth=1
	s_delay_alu instid0(SALU_CYCLE_1) | instskip(SKIP_3) | instid1(VALU_DEP_2)
	s_or_b32 exec_lo, exec_lo, s21
	v_dual_mov_b32 v2, v14 :: v_dual_and_b32 v17, 0xff, v14
	v_dual_mov_b32 v48, 0 :: v_dual_mov_b32 v39, 0
	s_mov_b32 s21, exec_lo
	v_cmpx_ne_u16_e32 0, v17
	s_cbranch_execz .LBB356_3026
; %bb.3019:                             ;   in Loop: Header=BB356_2089 Depth=1
	v_bfrev_b32_e32 v39, 1
	s_mov_b32 s22, exec_lo
	v_cmpx_ne_u16_e32 0x80, v17
	s_cbranch_execz .LBB356_3025
; %bb.3020:                             ;   in Loop: Header=BB356_2089 Depth=1
	v_and_b32_e32 v49, 0x7f, v14
	v_mov_b32_e32 v39, 0x7fc02000
	s_mov_b32 s23, exec_lo
	s_delay_alu instid0(VALU_DEP_2)
	v_cmpx_ne_u32_e32 0x7f, v49
	s_cbranch_execz .LBB356_3024
; %bb.3021:                             ;   in Loop: Header=BB356_2089 Depth=1
	v_dual_mov_b32 v18, v3 :: v_dual_mov_b32 v17, v2
	v_lshrrev_b32_e32 v18, 3, v49
	s_mov_b32 s24, exec_lo
	v_cmpx_gt_u32_e32 8, v49
; %bb.3022:                             ;   in Loop: Header=BB356_2089 Depth=1
	v_and_b32_e32 v17, 7, v14
	s_delay_alu instid0(VALU_DEP_1) | instskip(NEXT) | instid1(VALU_DEP_1)
	v_clz_i32_u32_e32 v17, v17
	v_min_u32_e32 v39, 32, v17
	s_delay_alu instid0(VALU_DEP_1) | instskip(NEXT) | instid1(VALU_DEP_1)
	v_subrev_nc_u32_e32 v17, 28, v39
	v_lshlrev_b64 v[17:18], v17, v[2:3]
	v_sub_nc_u32_e32 v18, 29, v39
; %bb.3023:                             ;   in Loop: Header=BB356_2089 Depth=1
	s_or_b32 exec_lo, exec_lo, s24
	v_lshlrev_b32_e32 v39, 8, v14
	s_delay_alu instid0(VALU_DEP_2) | instskip(NEXT) | instid1(VALU_DEP_4)
	v_lshl_add_u32 v18, v18, 10, 0x2000
	v_lshlrev_b32_e32 v17, 7, v17
	s_delay_alu instid0(VALU_DEP_2) | instskip(NEXT) | instid1(VALU_DEP_1)
	v_and_or_b32 v18, 0x8000, v39, v18
	v_and_or_b32 v17, 0x380, v17, v18
	s_delay_alu instid0(VALU_DEP_1)
	v_cvt_f32_f16_e32 v39, v17
.LBB356_3024:                           ;   in Loop: Header=BB356_2089 Depth=1
	s_or_b32 exec_lo, exec_lo, s23
.LBB356_3025:                           ;   in Loop: Header=BB356_2089 Depth=1
	s_delay_alu instid0(SALU_CYCLE_1)
	s_or_b32 exec_lo, exec_lo, s22
.LBB356_3026:                           ;   in Loop: Header=BB356_2089 Depth=1
	s_delay_alu instid0(SALU_CYCLE_1) | instskip(SKIP_2) | instid1(VALU_DEP_1)
	s_or_b32 exec_lo, exec_lo, s21
	v_lshrrev_b16 v2, 8, v2
	s_mov_b32 s21, exec_lo
	v_cmpx_ne_u16_e32 0, v2
	s_cbranch_execz .LBB356_3034
; %bb.3027:                             ;   in Loop: Header=BB356_2089 Depth=1
	v_bfrev_b32_e32 v48, 1
	s_mov_b32 s22, exec_lo
	v_cmpx_ne_u16_e32 0x80, v2
	s_cbranch_execz .LBB356_3033
; %bb.3028:                             ;   in Loop: Header=BB356_2089 Depth=1
	v_and_b32_e32 v49, 0xffff, v2
	v_mov_b32_e32 v48, 0x7fc02000
	s_mov_b32 s23, exec_lo
	s_delay_alu instid0(VALU_DEP_2) | instskip(NEXT) | instid1(VALU_DEP_1)
	v_and_b32_e32 v50, 0x7f, v49
	v_cmpx_ne_u32_e32 0x7f, v50
	s_cbranch_execz .LBB356_3032
; %bb.3029:                             ;   in Loop: Header=BB356_2089 Depth=1
	v_and_b32_e32 v2, 7, v49
	v_lshrrev_b32_e32 v48, 3, v50
	v_mov_b32_e32 v18, v3
	s_mov_b32 s24, exec_lo
	s_delay_alu instid0(VALU_DEP_3)
	v_mov_b32_e32 v17, v2
	v_cmpx_gt_u32_e32 8, v50
; %bb.3030:                             ;   in Loop: Header=BB356_2089 Depth=1
	v_clz_i32_u32_e32 v17, v2
	s_delay_alu instid0(VALU_DEP_1) | instskip(NEXT) | instid1(VALU_DEP_1)
	v_min_u32_e32 v48, 32, v17
	v_subrev_nc_u32_e32 v17, 28, v48
	v_sub_nc_u32_e32 v48, 29, v48
	s_delay_alu instid0(VALU_DEP_2) | instskip(NEXT) | instid1(VALU_DEP_1)
	v_lshlrev_b64 v[17:18], v17, v[2:3]
	v_and_b32_e32 v17, 7, v17
; %bb.3031:                             ;   in Loop: Header=BB356_2089 Depth=1
	s_or_b32 exec_lo, exec_lo, s24
	v_lshlrev_b32_e32 v2, 8, v49
	v_lshl_add_u32 v18, v48, 10, 0x2000
	s_delay_alu instid0(VALU_DEP_1) | instskip(NEXT) | instid1(VALU_DEP_1)
	v_and_or_b32 v2, 0x8000, v2, v18
	v_lshl_or_b32 v2, v17, 7, v2
	s_delay_alu instid0(VALU_DEP_1)
	v_cvt_f32_f16_e32 v48, v2
.LBB356_3032:                           ;   in Loop: Header=BB356_2089 Depth=1
	s_or_b32 exec_lo, exec_lo, s23
.LBB356_3033:                           ;   in Loop: Header=BB356_2089 Depth=1
	s_delay_alu instid0(SALU_CYCLE_1)
	s_or_b32 exec_lo, exec_lo, s22
.LBB356_3034:                           ;   in Loop: Header=BB356_2089 Depth=1
	s_delay_alu instid0(SALU_CYCLE_1) | instskip(SKIP_3) | instid1(VALU_DEP_2)
	s_or_b32 exec_lo, exec_lo, s21
	v_lshrrev_b32_e32 v50, 16, v14
	v_mov_b32_e32 v17, 0
	s_mov_b32 s21, exec_lo
	v_dual_mov_b32 v49, 0 :: v_dual_and_b32 v2, 0xff, v50
	s_delay_alu instid0(VALU_DEP_1)
	v_cmpx_ne_u16_e32 0, v2
	s_cbranch_execz .LBB356_3042
; %bb.3035:                             ;   in Loop: Header=BB356_2089 Depth=1
	v_bfrev_b32_e32 v17, 1
	s_mov_b32 s22, exec_lo
	v_cmpx_ne_u16_e32 0x80, v2
	s_cbranch_execz .LBB356_3041
; %bb.3036:                             ;   in Loop: Header=BB356_2089 Depth=1
	v_bfe_u32 v53, v14, 16, 7
	v_mov_b32_e32 v17, 0x7fc02000
	s_mov_b32 s23, exec_lo
	s_delay_alu instid0(VALU_DEP_2)
	v_cmpx_ne_u32_e32 0x7f, v53
	s_cbranch_execz .LBB356_3040
; %bb.3037:                             ;   in Loop: Header=BB356_2089 Depth=1
	v_and_b32_e32 v2, 7, v50
	v_lshrrev_b32_e32 v51, 3, v53
	v_mov_b32_e32 v18, v3
	s_mov_b32 s24, exec_lo
	s_delay_alu instid0(VALU_DEP_3)
	v_mov_b32_e32 v17, v2
	v_cmpx_gt_u32_e32 8, v53
; %bb.3038:                             ;   in Loop: Header=BB356_2089 Depth=1
	v_clz_i32_u32_e32 v17, v2
	s_delay_alu instid0(VALU_DEP_1) | instskip(NEXT) | instid1(VALU_DEP_1)
	v_min_u32_e32 v51, 32, v17
	v_subrev_nc_u32_e32 v17, 28, v51
	v_sub_nc_u32_e32 v51, 29, v51
	s_delay_alu instid0(VALU_DEP_2) | instskip(NEXT) | instid1(VALU_DEP_1)
	v_lshlrev_b64 v[17:18], v17, v[2:3]
	v_and_b32_e32 v17, 7, v17
; %bb.3039:                             ;   in Loop: Header=BB356_2089 Depth=1
	s_or_b32 exec_lo, exec_lo, s24
	v_lshlrev_b32_e32 v2, 8, v50
	v_lshl_add_u32 v18, v51, 10, 0x2000
	s_delay_alu instid0(VALU_DEP_1) | instskip(NEXT) | instid1(VALU_DEP_1)
	v_and_or_b32 v2, 0x8000, v2, v18
	v_lshl_or_b32 v2, v17, 7, v2
	s_delay_alu instid0(VALU_DEP_1)
	v_cvt_f32_f16_e32 v17, v2
.LBB356_3040:                           ;   in Loop: Header=BB356_2089 Depth=1
	s_or_b32 exec_lo, exec_lo, s23
.LBB356_3041:                           ;   in Loop: Header=BB356_2089 Depth=1
	s_delay_alu instid0(SALU_CYCLE_1)
	s_or_b32 exec_lo, exec_lo, s22
.LBB356_3042:                           ;   in Loop: Header=BB356_2089 Depth=1
	s_delay_alu instid0(SALU_CYCLE_1) | instskip(NEXT) | instid1(SALU_CYCLE_1)
	s_or_b32 exec_lo, exec_lo, s21
	s_mov_b32 s21, exec_lo
	v_cmpx_lt_u64_e64 s[18:19], v[13:14]
	s_cbranch_execz .LBB356_3050
; %bb.3043:                             ;   in Loop: Header=BB356_2089 Depth=1
	v_lshrrev_b32_e32 v18, 24, v14
	v_bfrev_b32_e32 v49, 1
	s_mov_b32 s22, exec_lo
	s_delay_alu instid0(VALU_DEP_2)
	v_cmpx_ne_u32_e32 0x80, v18
	s_cbranch_execz .LBB356_3049
; %bb.3044:                             ;   in Loop: Header=BB356_2089 Depth=1
	v_and_b32_e32 v50, 0x7f, v18
	v_mov_b32_e32 v49, 0x7fc02000
	s_mov_b32 s23, exec_lo
	s_delay_alu instid0(VALU_DEP_2)
	v_cmpx_ne_u32_e32 0x7f, v50
	s_cbranch_execz .LBB356_3048
; %bb.3045:                             ;   in Loop: Header=BB356_2089 Depth=1
	v_and_b32_e32 v2, 7, v18
	v_lshrrev_b32_e32 v49, 3, v50
	v_mov_b32_e32 v14, v3
	s_mov_b32 s24, exec_lo
	s_delay_alu instid0(VALU_DEP_3)
	v_mov_b32_e32 v13, v2
	v_cmpx_gt_u32_e32 8, v50
; %bb.3046:                             ;   in Loop: Header=BB356_2089 Depth=1
	v_clz_i32_u32_e32 v13, v2
	s_delay_alu instid0(VALU_DEP_1) | instskip(NEXT) | instid1(VALU_DEP_1)
	v_min_u32_e32 v49, 32, v13
	v_subrev_nc_u32_e32 v13, 28, v49
	v_sub_nc_u32_e32 v49, 29, v49
	s_delay_alu instid0(VALU_DEP_2) | instskip(NEXT) | instid1(VALU_DEP_1)
	v_lshlrev_b64 v[13:14], v13, v[2:3]
	v_and_b32_e32 v13, 7, v13
; %bb.3047:                             ;   in Loop: Header=BB356_2089 Depth=1
	s_or_b32 exec_lo, exec_lo, s24
	v_lshlrev_b32_e32 v2, 8, v18
	v_lshl_add_u32 v14, v49, 10, 0x2000
	s_delay_alu instid0(VALU_DEP_1) | instskip(NEXT) | instid1(VALU_DEP_1)
	v_and_or_b32 v2, 0x8000, v2, v14
	v_lshl_or_b32 v2, v13, 7, v2
	s_delay_alu instid0(VALU_DEP_1)
	v_cvt_f32_f16_e32 v49, v2
.LBB356_3048:                           ;   in Loop: Header=BB356_2089 Depth=1
	s_or_b32 exec_lo, exec_lo, s23
.LBB356_3049:                           ;   in Loop: Header=BB356_2089 Depth=1
	s_delay_alu instid0(SALU_CYCLE_1)
	s_or_b32 exec_lo, exec_lo, s22
.LBB356_3050:                           ;   in Loop: Header=BB356_2089 Depth=1
	s_delay_alu instid0(SALU_CYCLE_1)
	s_or_b32 exec_lo, exec_lo, s21
	s_waitcnt vmcnt(0) lgkmcnt(0)
	v_fma_mixlo_f16 v2, v4, v38, 0
	v_fma_mixlo_f16 v13, v4, v37, 0
	;; [unrolled: 1-line block ×5, first 2 shown]
	v_lshlrev_b32_e32 v22, 16, v2
	v_fma_mixlo_f16 v37, v4, v39, 0
	v_and_b32_e32 v38, 0xffff, v13
	v_lshlrev_b32_e32 v39, 16, v14
	v_and_b32_e32 v48, 0xffff, v5
	v_fma_mixlo_f16 v49, v4, v49, 0
	v_fma_mixlo_f16 v4, v4, v17, 0
	v_cndmask_b32_e32 v5, 0, v5, vcc_lo
	v_cndmask_b32_e64 v14, 0, v14, s0
	v_cndmask_b32_e64 v13, 0, v13, s2
	;; [unrolled: 1-line block ×3, first 2 shown]
	v_lshlrev_b32_e32 v50, 16, v18
	v_and_b32_e32 v51, 0xffff, v37
	v_or_b32_e32 v17, v22, v38
	v_or_b32_e32 v22, v39, v48
	v_lshlrev_b32_e32 v39, 16, v49
	v_and_b32_e32 v48, 0xffff, v4
	v_cndmask_b32_e64 v37, 0, v37, s6
	v_cndmask_b32_e64 v18, 0, v18, s7
	;; [unrolled: 1-line block ×4, first 2 shown]
	v_perm_b32 v5, v14, v5, 0x5040100
	v_perm_b32 v2, v2, v13, 0x5040100
	v_or_b32_e32 v38, v50, v51
	v_or_b32_e32 v39, v39, v48
	v_perm_b32 v13, v18, v37, 0x5040100
	v_perm_b32 v4, v49, v4, 0x5040100
	v_cndmask_b32_e64 v5, v22, v5, s1
	v_mov_b32_e32 v22, 0
	v_cndmask_b32_e64 v2, v17, v2, s1
	v_cndmask_b32_e64 v13, v38, v13, s1
	v_cndmask_b32_e64 v4, v39, v4, s1
	;;#ASMSTART
	v_pk_mul_f16 v5, v146, v5;

	;;#ASMEND
	;;#ASMSTART
	v_pk_mul_f16 v2, v145, v2;

	;;#ASMEND
	;; [unrolled: 4-line block ×4, first 2 shown]
	;;#ASMSTART
	v_pk_add_f16 v2, v5, v2;

	;;#ASMEND
	;;#ASMSTART
	v_pk_add_f16 v2, v2, v13;

	;;#ASMEND
	;; [unrolled: 4-line block ×3, first 2 shown]
	v_and_b32_e32 v4, 0xffff, v2
	v_lshrrev_b32_e32 v2, 16, v2
	;;#ASMSTART
	v_cvt_f32_f16 v17, v4;
	;;#ASMEND
	;;#ASMSTART
	v_cvt_f32_f16 v18, v2;
	;;#ASMEND
	flat_load_b64 v[11:12], v[11:12] offset:3840
	flat_load_b32 v4, v[26:27]
	v_mov_b32_e32 v5, 0
	s_mov_b32 s21, exec_lo
	s_waitcnt vmcnt(1) lgkmcnt(1)
	v_and_b32_e32 v2, 0xff, v11
	s_delay_alu instid0(VALU_DEP_1)
	v_cmpx_ne_u16_e32 0, v2
	s_cbranch_execz .LBB356_3058
; %bb.3051:                             ;   in Loop: Header=BB356_2089 Depth=1
	v_bfrev_b32_e32 v5, 1
	s_mov_b32 s22, exec_lo
	v_cmpx_ne_u16_e32 0x80, v2
	s_cbranch_execz .LBB356_3057
; %bb.3052:                             ;   in Loop: Header=BB356_2089 Depth=1
	v_and_b32_e32 v13, 0x7f, v11
	v_mov_b32_e32 v5, 0x7fc02000
	s_mov_b32 s23, exec_lo
	s_delay_alu instid0(VALU_DEP_2)
	v_cmpx_ne_u32_e32 0x7f, v13
	s_cbranch_execz .LBB356_3056
; %bb.3053:                             ;   in Loop: Header=BB356_2089 Depth=1
	v_lshrrev_b32_e32 v2, 3, v13
	v_cmp_gt_u32_e64 s8, 8, v13
	v_dual_mov_b32 v14, v12 :: v_dual_mov_b32 v13, v11
	s_delay_alu instid0(VALU_DEP_2)
	s_and_saveexec_b32 s24, s8
; %bb.3054:                             ;   in Loop: Header=BB356_2089 Depth=1
	v_and_b32_e32 v2, 7, v11
	s_delay_alu instid0(VALU_DEP_1) | instskip(NEXT) | instid1(VALU_DEP_1)
	v_clz_i32_u32_e32 v2, v2
	v_min_u32_e32 v2, 32, v2
	s_delay_alu instid0(VALU_DEP_1) | instskip(SKIP_1) | instid1(VALU_DEP_2)
	v_subrev_nc_u32_e32 v5, 28, v2
	v_sub_nc_u32_e32 v2, 29, v2
	v_lshlrev_b64 v[13:14], v5, v[11:12]
; %bb.3055:                             ;   in Loop: Header=BB356_2089 Depth=1
	s_or_b32 exec_lo, exec_lo, s24
	v_lshlrev_b32_e32 v5, 8, v11
	s_delay_alu instid0(VALU_DEP_3) | instskip(NEXT) | instid1(VALU_DEP_3)
	v_lshl_add_u32 v2, v2, 10, 0x2000
	v_lshlrev_b32_e32 v13, 7, v13
	s_delay_alu instid0(VALU_DEP_2) | instskip(NEXT) | instid1(VALU_DEP_1)
	v_and_or_b32 v2, 0x8000, v5, v2
	v_and_or_b32 v2, 0x380, v13, v2
	s_delay_alu instid0(VALU_DEP_1)
	v_cvt_f32_f16_e32 v5, v2
.LBB356_3056:                           ;   in Loop: Header=BB356_2089 Depth=1
	s_or_b32 exec_lo, exec_lo, s23
.LBB356_3057:                           ;   in Loop: Header=BB356_2089 Depth=1
	s_delay_alu instid0(SALU_CYCLE_1)
	s_or_b32 exec_lo, exec_lo, s22
.LBB356_3058:                           ;   in Loop: Header=BB356_2089 Depth=1
	s_delay_alu instid0(SALU_CYCLE_1) | instskip(SKIP_2) | instid1(VALU_DEP_1)
	s_or_b32 exec_lo, exec_lo, s21
	v_lshrrev_b16 v2, 8, v11
	s_mov_b32 s21, exec_lo
	v_cmpx_ne_u16_e32 0, v2
	s_cbranch_execz .LBB356_3066
; %bb.3059:                             ;   in Loop: Header=BB356_2089 Depth=1
	v_bfrev_b32_e32 v22, 1
	s_mov_b32 s22, exec_lo
	v_cmpx_ne_u16_e32 0x80, v2
	s_cbranch_execz .LBB356_3065
; %bb.3060:                             ;   in Loop: Header=BB356_2089 Depth=1
	v_and_b32_e32 v37, 0xffff, v2
	v_mov_b32_e32 v22, 0x7fc02000
	s_mov_b32 s23, exec_lo
	s_delay_alu instid0(VALU_DEP_2) | instskip(NEXT) | instid1(VALU_DEP_1)
	v_and_b32_e32 v38, 0x7f, v37
	v_cmpx_ne_u32_e32 0x7f, v38
	s_cbranch_execz .LBB356_3064
; %bb.3061:                             ;   in Loop: Header=BB356_2089 Depth=1
	v_and_b32_e32 v2, 7, v37
	v_lshrrev_b32_e32 v22, 3, v38
	v_mov_b32_e32 v14, v3
	s_mov_b32 s24, exec_lo
	s_delay_alu instid0(VALU_DEP_3)
	v_mov_b32_e32 v13, v2
	v_cmpx_gt_u32_e32 8, v38
; %bb.3062:                             ;   in Loop: Header=BB356_2089 Depth=1
	v_clz_i32_u32_e32 v13, v2
	s_delay_alu instid0(VALU_DEP_1) | instskip(NEXT) | instid1(VALU_DEP_1)
	v_min_u32_e32 v22, 32, v13
	v_subrev_nc_u32_e32 v13, 28, v22
	v_sub_nc_u32_e32 v22, 29, v22
	s_delay_alu instid0(VALU_DEP_2) | instskip(NEXT) | instid1(VALU_DEP_1)
	v_lshlrev_b64 v[13:14], v13, v[2:3]
	v_and_b32_e32 v13, 7, v13
; %bb.3063:                             ;   in Loop: Header=BB356_2089 Depth=1
	s_or_b32 exec_lo, exec_lo, s24
	v_lshlrev_b32_e32 v2, 8, v37
	v_lshl_add_u32 v14, v22, 10, 0x2000
	s_delay_alu instid0(VALU_DEP_1) | instskip(NEXT) | instid1(VALU_DEP_1)
	v_and_or_b32 v2, 0x8000, v2, v14
	v_lshl_or_b32 v2, v13, 7, v2
	s_delay_alu instid0(VALU_DEP_1)
	v_cvt_f32_f16_e32 v22, v2
.LBB356_3064:                           ;   in Loop: Header=BB356_2089 Depth=1
	s_or_b32 exec_lo, exec_lo, s23
.LBB356_3065:                           ;   in Loop: Header=BB356_2089 Depth=1
	s_delay_alu instid0(SALU_CYCLE_1)
	s_or_b32 exec_lo, exec_lo, s22
.LBB356_3066:                           ;   in Loop: Header=BB356_2089 Depth=1
	s_delay_alu instid0(SALU_CYCLE_1) | instskip(SKIP_3) | instid1(VALU_DEP_2)
	s_or_b32 exec_lo, exec_lo, s21
	v_lshrrev_b32_e32 v39, 16, v11
	v_mov_b32_e32 v38, 0
	s_mov_b32 s21, exec_lo
	v_dual_mov_b32 v37, 0 :: v_dual_and_b32 v2, 0xff, v39
	s_delay_alu instid0(VALU_DEP_1)
	v_cmpx_ne_u16_e32 0, v2
	s_cbranch_execz .LBB356_3074
; %bb.3067:                             ;   in Loop: Header=BB356_2089 Depth=1
	v_bfrev_b32_e32 v37, 1
	s_mov_b32 s22, exec_lo
	v_cmpx_ne_u16_e32 0x80, v2
	s_cbranch_execz .LBB356_3073
; %bb.3068:                             ;   in Loop: Header=BB356_2089 Depth=1
	v_bfe_u32 v48, v11, 16, 7
	v_mov_b32_e32 v37, 0x7fc02000
	s_mov_b32 s23, exec_lo
	s_delay_alu instid0(VALU_DEP_2)
	v_cmpx_ne_u32_e32 0x7f, v48
	s_cbranch_execz .LBB356_3072
; %bb.3069:                             ;   in Loop: Header=BB356_2089 Depth=1
	v_and_b32_e32 v2, 7, v39
	v_lshrrev_b32_e32 v37, 3, v48
	v_mov_b32_e32 v14, v3
	s_mov_b32 s24, exec_lo
	s_delay_alu instid0(VALU_DEP_3)
	v_mov_b32_e32 v13, v2
	v_cmpx_gt_u32_e32 8, v48
; %bb.3070:                             ;   in Loop: Header=BB356_2089 Depth=1
	v_clz_i32_u32_e32 v13, v2
	s_delay_alu instid0(VALU_DEP_1) | instskip(NEXT) | instid1(VALU_DEP_1)
	v_min_u32_e32 v37, 32, v13
	v_subrev_nc_u32_e32 v13, 28, v37
	v_sub_nc_u32_e32 v37, 29, v37
	s_delay_alu instid0(VALU_DEP_2) | instskip(NEXT) | instid1(VALU_DEP_1)
	v_lshlrev_b64 v[13:14], v13, v[2:3]
	v_and_b32_e32 v13, 7, v13
; %bb.3071:                             ;   in Loop: Header=BB356_2089 Depth=1
	s_or_b32 exec_lo, exec_lo, s24
	v_lshlrev_b32_e32 v2, 8, v39
	v_lshl_add_u32 v14, v37, 10, 0x2000
	s_delay_alu instid0(VALU_DEP_1) | instskip(NEXT) | instid1(VALU_DEP_1)
	v_and_or_b32 v2, 0x8000, v2, v14
	v_lshl_or_b32 v2, v13, 7, v2
	s_delay_alu instid0(VALU_DEP_1)
	v_cvt_f32_f16_e32 v37, v2
.LBB356_3072:                           ;   in Loop: Header=BB356_2089 Depth=1
	s_or_b32 exec_lo, exec_lo, s23
.LBB356_3073:                           ;   in Loop: Header=BB356_2089 Depth=1
	s_delay_alu instid0(SALU_CYCLE_1)
	s_or_b32 exec_lo, exec_lo, s22
.LBB356_3074:                           ;   in Loop: Header=BB356_2089 Depth=1
	s_delay_alu instid0(SALU_CYCLE_1) | instskip(NEXT) | instid1(SALU_CYCLE_1)
	s_or_b32 exec_lo, exec_lo, s21
	s_mov_b32 s21, exec_lo
	v_cmpx_lt_u32_e32 0xffffff, v11
	s_cbranch_execz .LBB356_3082
; %bb.3075:                             ;   in Loop: Header=BB356_2089 Depth=1
	v_lshrrev_b32_e32 v39, 24, v11
	v_bfrev_b32_e32 v38, 1
	s_mov_b32 s22, exec_lo
	s_delay_alu instid0(VALU_DEP_2)
	v_cmpx_ne_u32_e32 0x80, v39
	s_cbranch_execz .LBB356_3081
; %bb.3076:                             ;   in Loop: Header=BB356_2089 Depth=1
	v_and_b32_e32 v48, 0x7f, v39
	v_mov_b32_e32 v38, 0x7fc02000
	s_mov_b32 s23, exec_lo
	s_delay_alu instid0(VALU_DEP_2)
	v_cmpx_ne_u32_e32 0x7f, v48
	s_cbranch_execz .LBB356_3080
; %bb.3077:                             ;   in Loop: Header=BB356_2089 Depth=1
	v_and_b32_e32 v2, 7, v39
	v_lshrrev_b32_e32 v38, 3, v48
	v_mov_b32_e32 v14, v3
	s_mov_b32 s24, exec_lo
	s_delay_alu instid0(VALU_DEP_3)
	v_mov_b32_e32 v13, v2
	v_cmpx_gt_u32_e32 8, v48
; %bb.3078:                             ;   in Loop: Header=BB356_2089 Depth=1
	v_clz_i32_u32_e32 v13, v2
	s_delay_alu instid0(VALU_DEP_1) | instskip(NEXT) | instid1(VALU_DEP_1)
	v_min_u32_e32 v38, 32, v13
	v_subrev_nc_u32_e32 v13, 28, v38
	v_sub_nc_u32_e32 v38, 29, v38
	s_delay_alu instid0(VALU_DEP_2) | instskip(NEXT) | instid1(VALU_DEP_1)
	v_lshlrev_b64 v[13:14], v13, v[2:3]
	v_and_b32_e32 v13, 7, v13
; %bb.3079:                             ;   in Loop: Header=BB356_2089 Depth=1
	s_or_b32 exec_lo, exec_lo, s24
	v_lshlrev_b32_e32 v2, 8, v39
	v_lshl_add_u32 v14, v38, 10, 0x2000
	s_delay_alu instid0(VALU_DEP_1) | instskip(NEXT) | instid1(VALU_DEP_1)
	v_and_or_b32 v2, 0x8000, v2, v14
	v_lshl_or_b32 v2, v13, 7, v2
	s_delay_alu instid0(VALU_DEP_1)
	v_cvt_f32_f16_e32 v38, v2
.LBB356_3080:                           ;   in Loop: Header=BB356_2089 Depth=1
	s_or_b32 exec_lo, exec_lo, s23
.LBB356_3081:                           ;   in Loop: Header=BB356_2089 Depth=1
	s_delay_alu instid0(SALU_CYCLE_1)
	s_or_b32 exec_lo, exec_lo, s22
.LBB356_3082:                           ;   in Loop: Header=BB356_2089 Depth=1
	s_delay_alu instid0(SALU_CYCLE_1) | instskip(SKIP_3) | instid1(VALU_DEP_2)
	s_or_b32 exec_lo, exec_lo, s21
	v_dual_mov_b32 v2, v12 :: v_dual_and_b32 v13, 0xff, v12
	v_dual_mov_b32 v48, 0 :: v_dual_mov_b32 v39, 0
	s_mov_b32 s21, exec_lo
	v_cmpx_ne_u16_e32 0, v13
	s_cbranch_execz .LBB356_3090
; %bb.3083:                             ;   in Loop: Header=BB356_2089 Depth=1
	v_bfrev_b32_e32 v39, 1
	s_mov_b32 s22, exec_lo
	v_cmpx_ne_u16_e32 0x80, v13
	s_cbranch_execz .LBB356_3089
; %bb.3084:                             ;   in Loop: Header=BB356_2089 Depth=1
	v_and_b32_e32 v49, 0x7f, v12
	v_mov_b32_e32 v39, 0x7fc02000
	s_mov_b32 s23, exec_lo
	s_delay_alu instid0(VALU_DEP_2)
	v_cmpx_ne_u32_e32 0x7f, v49
	s_cbranch_execz .LBB356_3088
; %bb.3085:                             ;   in Loop: Header=BB356_2089 Depth=1
	v_dual_mov_b32 v14, v3 :: v_dual_mov_b32 v13, v2
	v_lshrrev_b32_e32 v14, 3, v49
	s_mov_b32 s24, exec_lo
	v_cmpx_gt_u32_e32 8, v49
; %bb.3086:                             ;   in Loop: Header=BB356_2089 Depth=1
	v_and_b32_e32 v13, 7, v12
	s_delay_alu instid0(VALU_DEP_1) | instskip(NEXT) | instid1(VALU_DEP_1)
	v_clz_i32_u32_e32 v13, v13
	v_min_u32_e32 v39, 32, v13
	s_delay_alu instid0(VALU_DEP_1) | instskip(NEXT) | instid1(VALU_DEP_1)
	v_subrev_nc_u32_e32 v13, 28, v39
	v_lshlrev_b64 v[13:14], v13, v[2:3]
	v_sub_nc_u32_e32 v14, 29, v39
; %bb.3087:                             ;   in Loop: Header=BB356_2089 Depth=1
	s_or_b32 exec_lo, exec_lo, s24
	v_lshlrev_b32_e32 v39, 8, v12
	s_delay_alu instid0(VALU_DEP_2) | instskip(NEXT) | instid1(VALU_DEP_4)
	v_lshl_add_u32 v14, v14, 10, 0x2000
	v_lshlrev_b32_e32 v13, 7, v13
	s_delay_alu instid0(VALU_DEP_2) | instskip(NEXT) | instid1(VALU_DEP_1)
	v_and_or_b32 v14, 0x8000, v39, v14
	v_and_or_b32 v13, 0x380, v13, v14
	s_delay_alu instid0(VALU_DEP_1)
	v_cvt_f32_f16_e32 v39, v13
.LBB356_3088:                           ;   in Loop: Header=BB356_2089 Depth=1
	s_or_b32 exec_lo, exec_lo, s23
.LBB356_3089:                           ;   in Loop: Header=BB356_2089 Depth=1
	s_delay_alu instid0(SALU_CYCLE_1)
	s_or_b32 exec_lo, exec_lo, s22
.LBB356_3090:                           ;   in Loop: Header=BB356_2089 Depth=1
	s_delay_alu instid0(SALU_CYCLE_1) | instskip(SKIP_2) | instid1(VALU_DEP_1)
	s_or_b32 exec_lo, exec_lo, s21
	v_lshrrev_b16 v2, 8, v2
	s_mov_b32 s21, exec_lo
	v_cmpx_ne_u16_e32 0, v2
	s_cbranch_execz .LBB356_3098
; %bb.3091:                             ;   in Loop: Header=BB356_2089 Depth=1
	v_bfrev_b32_e32 v48, 1
	s_mov_b32 s22, exec_lo
	v_cmpx_ne_u16_e32 0x80, v2
	s_cbranch_execz .LBB356_3097
; %bb.3092:                             ;   in Loop: Header=BB356_2089 Depth=1
	v_and_b32_e32 v49, 0xffff, v2
	v_mov_b32_e32 v48, 0x7fc02000
	s_mov_b32 s23, exec_lo
	s_delay_alu instid0(VALU_DEP_2) | instskip(NEXT) | instid1(VALU_DEP_1)
	v_and_b32_e32 v50, 0x7f, v49
	v_cmpx_ne_u32_e32 0x7f, v50
	s_cbranch_execz .LBB356_3096
; %bb.3093:                             ;   in Loop: Header=BB356_2089 Depth=1
	v_and_b32_e32 v2, 7, v49
	v_lshrrev_b32_e32 v48, 3, v50
	v_mov_b32_e32 v14, v3
	s_mov_b32 s24, exec_lo
	s_delay_alu instid0(VALU_DEP_3)
	v_mov_b32_e32 v13, v2
	v_cmpx_gt_u32_e32 8, v50
; %bb.3094:                             ;   in Loop: Header=BB356_2089 Depth=1
	v_clz_i32_u32_e32 v13, v2
	s_delay_alu instid0(VALU_DEP_1) | instskip(NEXT) | instid1(VALU_DEP_1)
	v_min_u32_e32 v48, 32, v13
	v_subrev_nc_u32_e32 v13, 28, v48
	v_sub_nc_u32_e32 v48, 29, v48
	s_delay_alu instid0(VALU_DEP_2) | instskip(NEXT) | instid1(VALU_DEP_1)
	v_lshlrev_b64 v[13:14], v13, v[2:3]
	v_and_b32_e32 v13, 7, v13
; %bb.3095:                             ;   in Loop: Header=BB356_2089 Depth=1
	s_or_b32 exec_lo, exec_lo, s24
	v_lshlrev_b32_e32 v2, 8, v49
	v_lshl_add_u32 v14, v48, 10, 0x2000
	s_delay_alu instid0(VALU_DEP_1) | instskip(NEXT) | instid1(VALU_DEP_1)
	v_and_or_b32 v2, 0x8000, v2, v14
	v_lshl_or_b32 v2, v13, 7, v2
	s_delay_alu instid0(VALU_DEP_1)
	v_cvt_f32_f16_e32 v48, v2
.LBB356_3096:                           ;   in Loop: Header=BB356_2089 Depth=1
	s_or_b32 exec_lo, exec_lo, s23
.LBB356_3097:                           ;   in Loop: Header=BB356_2089 Depth=1
	s_delay_alu instid0(SALU_CYCLE_1)
	s_or_b32 exec_lo, exec_lo, s22
.LBB356_3098:                           ;   in Loop: Header=BB356_2089 Depth=1
	s_delay_alu instid0(SALU_CYCLE_1) | instskip(SKIP_3) | instid1(VALU_DEP_2)
	s_or_b32 exec_lo, exec_lo, s21
	v_lshrrev_b32_e32 v50, 16, v12
	v_mov_b32_e32 v13, 0
	s_mov_b32 s21, exec_lo
	v_dual_mov_b32 v49, 0 :: v_dual_and_b32 v2, 0xff, v50
	s_delay_alu instid0(VALU_DEP_1)
	v_cmpx_ne_u16_e32 0, v2
	s_cbranch_execz .LBB356_3106
; %bb.3099:                             ;   in Loop: Header=BB356_2089 Depth=1
	v_bfrev_b32_e32 v13, 1
	s_mov_b32 s22, exec_lo
	v_cmpx_ne_u16_e32 0x80, v2
	s_cbranch_execz .LBB356_3105
; %bb.3100:                             ;   in Loop: Header=BB356_2089 Depth=1
	v_bfe_u32 v53, v12, 16, 7
	v_mov_b32_e32 v13, 0x7fc02000
	s_mov_b32 s23, exec_lo
	s_delay_alu instid0(VALU_DEP_2)
	v_cmpx_ne_u32_e32 0x7f, v53
	s_cbranch_execz .LBB356_3104
; %bb.3101:                             ;   in Loop: Header=BB356_2089 Depth=1
	v_and_b32_e32 v2, 7, v50
	v_lshrrev_b32_e32 v51, 3, v53
	v_mov_b32_e32 v14, v3
	s_mov_b32 s24, exec_lo
	s_delay_alu instid0(VALU_DEP_3)
	v_mov_b32_e32 v13, v2
	v_cmpx_gt_u32_e32 8, v53
; %bb.3102:                             ;   in Loop: Header=BB356_2089 Depth=1
	v_clz_i32_u32_e32 v13, v2
	s_delay_alu instid0(VALU_DEP_1) | instskip(NEXT) | instid1(VALU_DEP_1)
	v_min_u32_e32 v51, 32, v13
	v_subrev_nc_u32_e32 v13, 28, v51
	v_sub_nc_u32_e32 v51, 29, v51
	s_delay_alu instid0(VALU_DEP_2) | instskip(NEXT) | instid1(VALU_DEP_1)
	v_lshlrev_b64 v[13:14], v13, v[2:3]
	v_and_b32_e32 v13, 7, v13
; %bb.3103:                             ;   in Loop: Header=BB356_2089 Depth=1
	s_or_b32 exec_lo, exec_lo, s24
	v_lshlrev_b32_e32 v2, 8, v50
	v_lshl_add_u32 v14, v51, 10, 0x2000
	s_delay_alu instid0(VALU_DEP_1) | instskip(NEXT) | instid1(VALU_DEP_1)
	v_and_or_b32 v2, 0x8000, v2, v14
	v_lshl_or_b32 v2, v13, 7, v2
	s_delay_alu instid0(VALU_DEP_1)
	v_cvt_f32_f16_e32 v13, v2
.LBB356_3104:                           ;   in Loop: Header=BB356_2089 Depth=1
	s_or_b32 exec_lo, exec_lo, s23
.LBB356_3105:                           ;   in Loop: Header=BB356_2089 Depth=1
	s_delay_alu instid0(SALU_CYCLE_1)
	s_or_b32 exec_lo, exec_lo, s22
.LBB356_3106:                           ;   in Loop: Header=BB356_2089 Depth=1
	s_delay_alu instid0(SALU_CYCLE_1) | instskip(NEXT) | instid1(SALU_CYCLE_1)
	s_or_b32 exec_lo, exec_lo, s21
	s_mov_b32 s21, exec_lo
	v_cmpx_lt_u64_e64 s[18:19], v[11:12]
	s_cbranch_execz .LBB356_3114
; %bb.3107:                             ;   in Loop: Header=BB356_2089 Depth=1
	v_lshrrev_b32_e32 v14, 24, v12
	v_bfrev_b32_e32 v49, 1
	s_mov_b32 s22, exec_lo
	s_delay_alu instid0(VALU_DEP_2)
	v_cmpx_ne_u32_e32 0x80, v14
	s_cbranch_execz .LBB356_3113
; %bb.3108:                             ;   in Loop: Header=BB356_2089 Depth=1
	v_and_b32_e32 v50, 0x7f, v14
	v_mov_b32_e32 v49, 0x7fc02000
	s_mov_b32 s23, exec_lo
	s_delay_alu instid0(VALU_DEP_2)
	v_cmpx_ne_u32_e32 0x7f, v50
	s_cbranch_execz .LBB356_3112
; %bb.3109:                             ;   in Loop: Header=BB356_2089 Depth=1
	v_and_b32_e32 v2, 7, v14
	v_lshrrev_b32_e32 v49, 3, v50
	v_mov_b32_e32 v12, v3
	s_mov_b32 s24, exec_lo
	s_delay_alu instid0(VALU_DEP_3)
	v_mov_b32_e32 v11, v2
	v_cmpx_gt_u32_e32 8, v50
; %bb.3110:                             ;   in Loop: Header=BB356_2089 Depth=1
	v_clz_i32_u32_e32 v11, v2
	s_delay_alu instid0(VALU_DEP_1) | instskip(NEXT) | instid1(VALU_DEP_1)
	v_min_u32_e32 v49, 32, v11
	v_subrev_nc_u32_e32 v11, 28, v49
	v_sub_nc_u32_e32 v49, 29, v49
	s_delay_alu instid0(VALU_DEP_2) | instskip(NEXT) | instid1(VALU_DEP_1)
	v_lshlrev_b64 v[11:12], v11, v[2:3]
	v_and_b32_e32 v11, 7, v11
; %bb.3111:                             ;   in Loop: Header=BB356_2089 Depth=1
	s_or_b32 exec_lo, exec_lo, s24
	v_lshlrev_b32_e32 v2, 8, v14
	v_lshl_add_u32 v12, v49, 10, 0x2000
	s_delay_alu instid0(VALU_DEP_1) | instskip(NEXT) | instid1(VALU_DEP_1)
	v_and_or_b32 v2, 0x8000, v2, v12
	v_lshl_or_b32 v2, v11, 7, v2
	s_delay_alu instid0(VALU_DEP_1)
	v_cvt_f32_f16_e32 v49, v2
.LBB356_3112:                           ;   in Loop: Header=BB356_2089 Depth=1
	s_or_b32 exec_lo, exec_lo, s23
.LBB356_3113:                           ;   in Loop: Header=BB356_2089 Depth=1
	s_delay_alu instid0(SALU_CYCLE_1)
	s_or_b32 exec_lo, exec_lo, s22
.LBB356_3114:                           ;   in Loop: Header=BB356_2089 Depth=1
	s_delay_alu instid0(SALU_CYCLE_1)
	s_or_b32 exec_lo, exec_lo, s21
	s_waitcnt vmcnt(0) lgkmcnt(0)
	v_fma_mixlo_f16 v2, v4, v38, 0
	v_fma_mixlo_f16 v11, v4, v37, 0
	;; [unrolled: 1-line block ×5, first 2 shown]
	v_lshlrev_b32_e32 v22, 16, v2
	v_fma_mixlo_f16 v37, v4, v39, 0
	v_and_b32_e32 v38, 0xffff, v11
	v_lshlrev_b32_e32 v39, 16, v12
	v_and_b32_e32 v48, 0xffff, v5
	v_fma_mixlo_f16 v49, v4, v49, 0
	v_fma_mixlo_f16 v4, v4, v13, 0
	v_cndmask_b32_e32 v5, 0, v5, vcc_lo
	v_cndmask_b32_e64 v12, 0, v12, s0
	v_cndmask_b32_e64 v11, 0, v11, s2
	;; [unrolled: 1-line block ×3, first 2 shown]
	v_lshlrev_b32_e32 v50, 16, v14
	v_and_b32_e32 v51, 0xffff, v37
	v_or_b32_e32 v13, v22, v38
	v_or_b32_e32 v22, v39, v48
	v_lshlrev_b32_e32 v39, 16, v49
	v_and_b32_e32 v48, 0xffff, v4
	v_cndmask_b32_e64 v37, 0, v37, s6
	v_cndmask_b32_e64 v14, 0, v14, s7
	;; [unrolled: 1-line block ×4, first 2 shown]
	v_perm_b32 v5, v12, v5, 0x5040100
	v_perm_b32 v2, v2, v11, 0x5040100
	v_or_b32_e32 v38, v50, v51
	v_or_b32_e32 v39, v39, v48
	v_perm_b32 v11, v14, v37, 0x5040100
	v_perm_b32 v4, v49, v4, 0x5040100
	v_cndmask_b32_e64 v5, v22, v5, s1
	v_mov_b32_e32 v22, 0
	v_cndmask_b32_e64 v2, v13, v2, s1
	v_cndmask_b32_e64 v11, v38, v11, s1
	;; [unrolled: 1-line block ×3, first 2 shown]
	;;#ASMSTART
	v_pk_mul_f16 v5, v146, v5;

	;;#ASMEND
	;;#ASMSTART
	v_pk_mul_f16 v2, v145, v2;

	;;#ASMEND
	;; [unrolled: 4-line block ×4, first 2 shown]
	;;#ASMSTART
	v_pk_add_f16 v2, v5, v2;

	;;#ASMEND
	;;#ASMSTART
	v_pk_add_f16 v2, v2, v11;

	;;#ASMEND
	;; [unrolled: 4-line block ×3, first 2 shown]
	v_add_co_u32 v4, s8, v9, v19
	s_delay_alu instid0(VALU_DEP_1)
	v_add_co_ci_u32_e64 v5, s8, 0, v10, s8
	v_lshrrev_b32_e32 v11, 16, v2
	v_and_b32_e32 v2, 0xffff, v2
	;;#ASMSTART
	v_cvt_f32_f16 v56, v2;
	;;#ASMEND
	;;#ASMSTART
	v_cvt_f32_f16 v57, v11;
	;;#ASMEND
	flat_load_b64 v[11:12], v[4:5]
	flat_load_b32 v4, v[26:27]
	v_mov_b32_e32 v5, 0
	s_mov_b32 s21, exec_lo
	s_waitcnt vmcnt(1) lgkmcnt(1)
	v_and_b32_e32 v2, 0xff, v11
	s_delay_alu instid0(VALU_DEP_1)
	v_cmpx_ne_u16_e32 0, v2
	s_cbranch_execz .LBB356_3122
; %bb.3115:                             ;   in Loop: Header=BB356_2089 Depth=1
	v_bfrev_b32_e32 v5, 1
	s_mov_b32 s22, exec_lo
	v_cmpx_ne_u16_e32 0x80, v2
	s_cbranch_execz .LBB356_3121
; %bb.3116:                             ;   in Loop: Header=BB356_2089 Depth=1
	v_and_b32_e32 v13, 0x7f, v11
	v_mov_b32_e32 v5, 0x7fc02000
	s_mov_b32 s23, exec_lo
	s_delay_alu instid0(VALU_DEP_2)
	v_cmpx_ne_u32_e32 0x7f, v13
	s_cbranch_execz .LBB356_3120
; %bb.3117:                             ;   in Loop: Header=BB356_2089 Depth=1
	v_lshrrev_b32_e32 v2, 3, v13
	v_cmp_gt_u32_e64 s8, 8, v13
	v_dual_mov_b32 v14, v12 :: v_dual_mov_b32 v13, v11
	s_delay_alu instid0(VALU_DEP_2)
	s_and_saveexec_b32 s24, s8
; %bb.3118:                             ;   in Loop: Header=BB356_2089 Depth=1
	v_and_b32_e32 v2, 7, v11
	s_delay_alu instid0(VALU_DEP_1) | instskip(NEXT) | instid1(VALU_DEP_1)
	v_clz_i32_u32_e32 v2, v2
	v_min_u32_e32 v2, 32, v2
	s_delay_alu instid0(VALU_DEP_1) | instskip(SKIP_1) | instid1(VALU_DEP_2)
	v_subrev_nc_u32_e32 v5, 28, v2
	v_sub_nc_u32_e32 v2, 29, v2
	v_lshlrev_b64 v[13:14], v5, v[11:12]
; %bb.3119:                             ;   in Loop: Header=BB356_2089 Depth=1
	s_or_b32 exec_lo, exec_lo, s24
	v_lshlrev_b32_e32 v5, 8, v11
	s_delay_alu instid0(VALU_DEP_3) | instskip(NEXT) | instid1(VALU_DEP_3)
	v_lshl_add_u32 v2, v2, 10, 0x2000
	v_lshlrev_b32_e32 v13, 7, v13
	s_delay_alu instid0(VALU_DEP_2) | instskip(NEXT) | instid1(VALU_DEP_1)
	v_and_or_b32 v2, 0x8000, v5, v2
	v_and_or_b32 v2, 0x380, v13, v2
	s_delay_alu instid0(VALU_DEP_1)
	v_cvt_f32_f16_e32 v5, v2
.LBB356_3120:                           ;   in Loop: Header=BB356_2089 Depth=1
	s_or_b32 exec_lo, exec_lo, s23
.LBB356_3121:                           ;   in Loop: Header=BB356_2089 Depth=1
	s_delay_alu instid0(SALU_CYCLE_1)
	s_or_b32 exec_lo, exec_lo, s22
.LBB356_3122:                           ;   in Loop: Header=BB356_2089 Depth=1
	s_delay_alu instid0(SALU_CYCLE_1) | instskip(SKIP_2) | instid1(VALU_DEP_1)
	s_or_b32 exec_lo, exec_lo, s21
	v_lshrrev_b16 v2, 8, v11
	s_mov_b32 s21, exec_lo
	v_cmpx_ne_u16_e32 0, v2
	s_cbranch_execz .LBB356_3130
; %bb.3123:                             ;   in Loop: Header=BB356_2089 Depth=1
	v_bfrev_b32_e32 v22, 1
	s_mov_b32 s22, exec_lo
	v_cmpx_ne_u16_e32 0x80, v2
	s_cbranch_execz .LBB356_3129
; %bb.3124:                             ;   in Loop: Header=BB356_2089 Depth=1
	v_and_b32_e32 v37, 0xffff, v2
	v_mov_b32_e32 v22, 0x7fc02000
	s_mov_b32 s23, exec_lo
	s_delay_alu instid0(VALU_DEP_2) | instskip(NEXT) | instid1(VALU_DEP_1)
	v_and_b32_e32 v38, 0x7f, v37
	v_cmpx_ne_u32_e32 0x7f, v38
	s_cbranch_execz .LBB356_3128
; %bb.3125:                             ;   in Loop: Header=BB356_2089 Depth=1
	v_and_b32_e32 v2, 7, v37
	v_lshrrev_b32_e32 v22, 3, v38
	v_mov_b32_e32 v14, v3
	s_mov_b32 s24, exec_lo
	s_delay_alu instid0(VALU_DEP_3)
	v_mov_b32_e32 v13, v2
	v_cmpx_gt_u32_e32 8, v38
; %bb.3126:                             ;   in Loop: Header=BB356_2089 Depth=1
	v_clz_i32_u32_e32 v13, v2
	s_delay_alu instid0(VALU_DEP_1) | instskip(NEXT) | instid1(VALU_DEP_1)
	v_min_u32_e32 v22, 32, v13
	v_subrev_nc_u32_e32 v13, 28, v22
	v_sub_nc_u32_e32 v22, 29, v22
	s_delay_alu instid0(VALU_DEP_2) | instskip(NEXT) | instid1(VALU_DEP_1)
	v_lshlrev_b64 v[13:14], v13, v[2:3]
	v_and_b32_e32 v13, 7, v13
; %bb.3127:                             ;   in Loop: Header=BB356_2089 Depth=1
	s_or_b32 exec_lo, exec_lo, s24
	v_lshlrev_b32_e32 v2, 8, v37
	v_lshl_add_u32 v14, v22, 10, 0x2000
	s_delay_alu instid0(VALU_DEP_1) | instskip(NEXT) | instid1(VALU_DEP_1)
	v_and_or_b32 v2, 0x8000, v2, v14
	v_lshl_or_b32 v2, v13, 7, v2
	s_delay_alu instid0(VALU_DEP_1)
	v_cvt_f32_f16_e32 v22, v2
.LBB356_3128:                           ;   in Loop: Header=BB356_2089 Depth=1
	s_or_b32 exec_lo, exec_lo, s23
.LBB356_3129:                           ;   in Loop: Header=BB356_2089 Depth=1
	s_delay_alu instid0(SALU_CYCLE_1)
	s_or_b32 exec_lo, exec_lo, s22
.LBB356_3130:                           ;   in Loop: Header=BB356_2089 Depth=1
	s_delay_alu instid0(SALU_CYCLE_1) | instskip(SKIP_3) | instid1(VALU_DEP_2)
	s_or_b32 exec_lo, exec_lo, s21
	v_lshrrev_b32_e32 v39, 16, v11
	v_mov_b32_e32 v38, 0
	s_mov_b32 s21, exec_lo
	v_dual_mov_b32 v37, 0 :: v_dual_and_b32 v2, 0xff, v39
	s_delay_alu instid0(VALU_DEP_1)
	v_cmpx_ne_u16_e32 0, v2
	s_cbranch_execz .LBB356_3138
; %bb.3131:                             ;   in Loop: Header=BB356_2089 Depth=1
	v_bfrev_b32_e32 v37, 1
	s_mov_b32 s22, exec_lo
	v_cmpx_ne_u16_e32 0x80, v2
	s_cbranch_execz .LBB356_3137
; %bb.3132:                             ;   in Loop: Header=BB356_2089 Depth=1
	v_bfe_u32 v48, v11, 16, 7
	v_mov_b32_e32 v37, 0x7fc02000
	s_mov_b32 s23, exec_lo
	s_delay_alu instid0(VALU_DEP_2)
	v_cmpx_ne_u32_e32 0x7f, v48
	s_cbranch_execz .LBB356_3136
; %bb.3133:                             ;   in Loop: Header=BB356_2089 Depth=1
	v_and_b32_e32 v2, 7, v39
	v_lshrrev_b32_e32 v37, 3, v48
	v_mov_b32_e32 v14, v3
	s_mov_b32 s24, exec_lo
	s_delay_alu instid0(VALU_DEP_3)
	v_mov_b32_e32 v13, v2
	v_cmpx_gt_u32_e32 8, v48
; %bb.3134:                             ;   in Loop: Header=BB356_2089 Depth=1
	v_clz_i32_u32_e32 v13, v2
	s_delay_alu instid0(VALU_DEP_1) | instskip(NEXT) | instid1(VALU_DEP_1)
	v_min_u32_e32 v37, 32, v13
	v_subrev_nc_u32_e32 v13, 28, v37
	v_sub_nc_u32_e32 v37, 29, v37
	s_delay_alu instid0(VALU_DEP_2) | instskip(NEXT) | instid1(VALU_DEP_1)
	v_lshlrev_b64 v[13:14], v13, v[2:3]
	v_and_b32_e32 v13, 7, v13
; %bb.3135:                             ;   in Loop: Header=BB356_2089 Depth=1
	s_or_b32 exec_lo, exec_lo, s24
	v_lshlrev_b32_e32 v2, 8, v39
	v_lshl_add_u32 v14, v37, 10, 0x2000
	s_delay_alu instid0(VALU_DEP_1) | instskip(NEXT) | instid1(VALU_DEP_1)
	v_and_or_b32 v2, 0x8000, v2, v14
	v_lshl_or_b32 v2, v13, 7, v2
	s_delay_alu instid0(VALU_DEP_1)
	v_cvt_f32_f16_e32 v37, v2
.LBB356_3136:                           ;   in Loop: Header=BB356_2089 Depth=1
	s_or_b32 exec_lo, exec_lo, s23
.LBB356_3137:                           ;   in Loop: Header=BB356_2089 Depth=1
	s_delay_alu instid0(SALU_CYCLE_1)
	s_or_b32 exec_lo, exec_lo, s22
.LBB356_3138:                           ;   in Loop: Header=BB356_2089 Depth=1
	s_delay_alu instid0(SALU_CYCLE_1) | instskip(NEXT) | instid1(SALU_CYCLE_1)
	s_or_b32 exec_lo, exec_lo, s21
	s_mov_b32 s21, exec_lo
	v_cmpx_lt_u32_e32 0xffffff, v11
	s_cbranch_execz .LBB356_3146
; %bb.3139:                             ;   in Loop: Header=BB356_2089 Depth=1
	v_lshrrev_b32_e32 v39, 24, v11
	v_bfrev_b32_e32 v38, 1
	s_mov_b32 s22, exec_lo
	s_delay_alu instid0(VALU_DEP_2)
	v_cmpx_ne_u32_e32 0x80, v39
	s_cbranch_execz .LBB356_3145
; %bb.3140:                             ;   in Loop: Header=BB356_2089 Depth=1
	v_and_b32_e32 v48, 0x7f, v39
	v_mov_b32_e32 v38, 0x7fc02000
	s_mov_b32 s23, exec_lo
	s_delay_alu instid0(VALU_DEP_2)
	v_cmpx_ne_u32_e32 0x7f, v48
	s_cbranch_execz .LBB356_3144
; %bb.3141:                             ;   in Loop: Header=BB356_2089 Depth=1
	v_and_b32_e32 v2, 7, v39
	v_lshrrev_b32_e32 v38, 3, v48
	v_mov_b32_e32 v14, v3
	s_mov_b32 s24, exec_lo
	s_delay_alu instid0(VALU_DEP_3)
	v_mov_b32_e32 v13, v2
	v_cmpx_gt_u32_e32 8, v48
; %bb.3142:                             ;   in Loop: Header=BB356_2089 Depth=1
	v_clz_i32_u32_e32 v13, v2
	s_delay_alu instid0(VALU_DEP_1) | instskip(NEXT) | instid1(VALU_DEP_1)
	v_min_u32_e32 v38, 32, v13
	v_subrev_nc_u32_e32 v13, 28, v38
	v_sub_nc_u32_e32 v38, 29, v38
	s_delay_alu instid0(VALU_DEP_2) | instskip(NEXT) | instid1(VALU_DEP_1)
	v_lshlrev_b64 v[13:14], v13, v[2:3]
	v_and_b32_e32 v13, 7, v13
; %bb.3143:                             ;   in Loop: Header=BB356_2089 Depth=1
	s_or_b32 exec_lo, exec_lo, s24
	v_lshlrev_b32_e32 v2, 8, v39
	v_lshl_add_u32 v14, v38, 10, 0x2000
	s_delay_alu instid0(VALU_DEP_1) | instskip(NEXT) | instid1(VALU_DEP_1)
	v_and_or_b32 v2, 0x8000, v2, v14
	v_lshl_or_b32 v2, v13, 7, v2
	s_delay_alu instid0(VALU_DEP_1)
	v_cvt_f32_f16_e32 v38, v2
.LBB356_3144:                           ;   in Loop: Header=BB356_2089 Depth=1
	s_or_b32 exec_lo, exec_lo, s23
.LBB356_3145:                           ;   in Loop: Header=BB356_2089 Depth=1
	s_delay_alu instid0(SALU_CYCLE_1)
	s_or_b32 exec_lo, exec_lo, s22
.LBB356_3146:                           ;   in Loop: Header=BB356_2089 Depth=1
	s_delay_alu instid0(SALU_CYCLE_1) | instskip(SKIP_3) | instid1(VALU_DEP_2)
	s_or_b32 exec_lo, exec_lo, s21
	v_dual_mov_b32 v2, v12 :: v_dual_and_b32 v13, 0xff, v12
	v_dual_mov_b32 v48, 0 :: v_dual_mov_b32 v39, 0
	s_mov_b32 s21, exec_lo
	v_cmpx_ne_u16_e32 0, v13
	s_cbranch_execz .LBB356_3154
; %bb.3147:                             ;   in Loop: Header=BB356_2089 Depth=1
	v_bfrev_b32_e32 v39, 1
	s_mov_b32 s22, exec_lo
	v_cmpx_ne_u16_e32 0x80, v13
	s_cbranch_execz .LBB356_3153
; %bb.3148:                             ;   in Loop: Header=BB356_2089 Depth=1
	v_and_b32_e32 v49, 0x7f, v12
	v_mov_b32_e32 v39, 0x7fc02000
	s_mov_b32 s23, exec_lo
	s_delay_alu instid0(VALU_DEP_2)
	v_cmpx_ne_u32_e32 0x7f, v49
	s_cbranch_execz .LBB356_3152
; %bb.3149:                             ;   in Loop: Header=BB356_2089 Depth=1
	v_dual_mov_b32 v14, v3 :: v_dual_mov_b32 v13, v2
	v_lshrrev_b32_e32 v14, 3, v49
	s_mov_b32 s24, exec_lo
	v_cmpx_gt_u32_e32 8, v49
; %bb.3150:                             ;   in Loop: Header=BB356_2089 Depth=1
	v_and_b32_e32 v13, 7, v12
	s_delay_alu instid0(VALU_DEP_1) | instskip(NEXT) | instid1(VALU_DEP_1)
	v_clz_i32_u32_e32 v13, v13
	v_min_u32_e32 v39, 32, v13
	s_delay_alu instid0(VALU_DEP_1) | instskip(NEXT) | instid1(VALU_DEP_1)
	v_subrev_nc_u32_e32 v13, 28, v39
	v_lshlrev_b64 v[13:14], v13, v[2:3]
	v_sub_nc_u32_e32 v14, 29, v39
; %bb.3151:                             ;   in Loop: Header=BB356_2089 Depth=1
	s_or_b32 exec_lo, exec_lo, s24
	v_lshlrev_b32_e32 v39, 8, v12
	s_delay_alu instid0(VALU_DEP_2) | instskip(NEXT) | instid1(VALU_DEP_4)
	v_lshl_add_u32 v14, v14, 10, 0x2000
	v_lshlrev_b32_e32 v13, 7, v13
	s_delay_alu instid0(VALU_DEP_2) | instskip(NEXT) | instid1(VALU_DEP_1)
	v_and_or_b32 v14, 0x8000, v39, v14
	v_and_or_b32 v13, 0x380, v13, v14
	s_delay_alu instid0(VALU_DEP_1)
	v_cvt_f32_f16_e32 v39, v13
.LBB356_3152:                           ;   in Loop: Header=BB356_2089 Depth=1
	s_or_b32 exec_lo, exec_lo, s23
.LBB356_3153:                           ;   in Loop: Header=BB356_2089 Depth=1
	s_delay_alu instid0(SALU_CYCLE_1)
	s_or_b32 exec_lo, exec_lo, s22
.LBB356_3154:                           ;   in Loop: Header=BB356_2089 Depth=1
	s_delay_alu instid0(SALU_CYCLE_1) | instskip(SKIP_2) | instid1(VALU_DEP_1)
	s_or_b32 exec_lo, exec_lo, s21
	v_lshrrev_b16 v2, 8, v2
	s_mov_b32 s21, exec_lo
	v_cmpx_ne_u16_e32 0, v2
	s_cbranch_execz .LBB356_3162
; %bb.3155:                             ;   in Loop: Header=BB356_2089 Depth=1
	v_bfrev_b32_e32 v48, 1
	s_mov_b32 s22, exec_lo
	v_cmpx_ne_u16_e32 0x80, v2
	s_cbranch_execz .LBB356_3161
; %bb.3156:                             ;   in Loop: Header=BB356_2089 Depth=1
	v_and_b32_e32 v49, 0xffff, v2
	v_mov_b32_e32 v48, 0x7fc02000
	s_mov_b32 s23, exec_lo
	s_delay_alu instid0(VALU_DEP_2) | instskip(NEXT) | instid1(VALU_DEP_1)
	v_and_b32_e32 v50, 0x7f, v49
	v_cmpx_ne_u32_e32 0x7f, v50
	s_cbranch_execz .LBB356_3160
; %bb.3157:                             ;   in Loop: Header=BB356_2089 Depth=1
	v_and_b32_e32 v2, 7, v49
	v_lshrrev_b32_e32 v48, 3, v50
	v_mov_b32_e32 v14, v3
	s_mov_b32 s24, exec_lo
	s_delay_alu instid0(VALU_DEP_3)
	v_mov_b32_e32 v13, v2
	v_cmpx_gt_u32_e32 8, v50
; %bb.3158:                             ;   in Loop: Header=BB356_2089 Depth=1
	v_clz_i32_u32_e32 v13, v2
	s_delay_alu instid0(VALU_DEP_1) | instskip(NEXT) | instid1(VALU_DEP_1)
	v_min_u32_e32 v48, 32, v13
	v_subrev_nc_u32_e32 v13, 28, v48
	v_sub_nc_u32_e32 v48, 29, v48
	s_delay_alu instid0(VALU_DEP_2) | instskip(NEXT) | instid1(VALU_DEP_1)
	v_lshlrev_b64 v[13:14], v13, v[2:3]
	v_and_b32_e32 v13, 7, v13
; %bb.3159:                             ;   in Loop: Header=BB356_2089 Depth=1
	s_or_b32 exec_lo, exec_lo, s24
	v_lshlrev_b32_e32 v2, 8, v49
	v_lshl_add_u32 v14, v48, 10, 0x2000
	s_delay_alu instid0(VALU_DEP_1) | instskip(NEXT) | instid1(VALU_DEP_1)
	v_and_or_b32 v2, 0x8000, v2, v14
	v_lshl_or_b32 v2, v13, 7, v2
	s_delay_alu instid0(VALU_DEP_1)
	v_cvt_f32_f16_e32 v48, v2
.LBB356_3160:                           ;   in Loop: Header=BB356_2089 Depth=1
	s_or_b32 exec_lo, exec_lo, s23
.LBB356_3161:                           ;   in Loop: Header=BB356_2089 Depth=1
	s_delay_alu instid0(SALU_CYCLE_1)
	s_or_b32 exec_lo, exec_lo, s22
.LBB356_3162:                           ;   in Loop: Header=BB356_2089 Depth=1
	s_delay_alu instid0(SALU_CYCLE_1) | instskip(SKIP_3) | instid1(VALU_DEP_2)
	s_or_b32 exec_lo, exec_lo, s21
	v_lshrrev_b32_e32 v50, 16, v12
	v_mov_b32_e32 v13, 0
	s_mov_b32 s21, exec_lo
	v_dual_mov_b32 v49, 0 :: v_dual_and_b32 v2, 0xff, v50
	s_delay_alu instid0(VALU_DEP_1)
	v_cmpx_ne_u16_e32 0, v2
	s_cbranch_execz .LBB356_3170
; %bb.3163:                             ;   in Loop: Header=BB356_2089 Depth=1
	v_bfrev_b32_e32 v13, 1
	s_mov_b32 s22, exec_lo
	v_cmpx_ne_u16_e32 0x80, v2
	s_cbranch_execz .LBB356_3169
; %bb.3164:                             ;   in Loop: Header=BB356_2089 Depth=1
	v_bfe_u32 v53, v12, 16, 7
	v_mov_b32_e32 v13, 0x7fc02000
	s_mov_b32 s23, exec_lo
	s_delay_alu instid0(VALU_DEP_2)
	v_cmpx_ne_u32_e32 0x7f, v53
	s_cbranch_execz .LBB356_3168
; %bb.3165:                             ;   in Loop: Header=BB356_2089 Depth=1
	v_and_b32_e32 v2, 7, v50
	v_lshrrev_b32_e32 v51, 3, v53
	v_mov_b32_e32 v14, v3
	s_mov_b32 s24, exec_lo
	s_delay_alu instid0(VALU_DEP_3)
	v_mov_b32_e32 v13, v2
	v_cmpx_gt_u32_e32 8, v53
; %bb.3166:                             ;   in Loop: Header=BB356_2089 Depth=1
	v_clz_i32_u32_e32 v13, v2
	s_delay_alu instid0(VALU_DEP_1) | instskip(NEXT) | instid1(VALU_DEP_1)
	v_min_u32_e32 v51, 32, v13
	v_subrev_nc_u32_e32 v13, 28, v51
	v_sub_nc_u32_e32 v51, 29, v51
	s_delay_alu instid0(VALU_DEP_2) | instskip(NEXT) | instid1(VALU_DEP_1)
	v_lshlrev_b64 v[13:14], v13, v[2:3]
	v_and_b32_e32 v13, 7, v13
; %bb.3167:                             ;   in Loop: Header=BB356_2089 Depth=1
	s_or_b32 exec_lo, exec_lo, s24
	v_lshlrev_b32_e32 v2, 8, v50
	v_lshl_add_u32 v14, v51, 10, 0x2000
	s_delay_alu instid0(VALU_DEP_1) | instskip(NEXT) | instid1(VALU_DEP_1)
	v_and_or_b32 v2, 0x8000, v2, v14
	v_lshl_or_b32 v2, v13, 7, v2
	s_delay_alu instid0(VALU_DEP_1)
	v_cvt_f32_f16_e32 v13, v2
.LBB356_3168:                           ;   in Loop: Header=BB356_2089 Depth=1
	s_or_b32 exec_lo, exec_lo, s23
.LBB356_3169:                           ;   in Loop: Header=BB356_2089 Depth=1
	s_delay_alu instid0(SALU_CYCLE_1)
	s_or_b32 exec_lo, exec_lo, s22
.LBB356_3170:                           ;   in Loop: Header=BB356_2089 Depth=1
	s_delay_alu instid0(SALU_CYCLE_1) | instskip(NEXT) | instid1(SALU_CYCLE_1)
	s_or_b32 exec_lo, exec_lo, s21
	s_mov_b32 s21, exec_lo
	v_cmpx_lt_u64_e64 s[18:19], v[11:12]
	s_cbranch_execz .LBB356_3178
; %bb.3171:                             ;   in Loop: Header=BB356_2089 Depth=1
	v_lshrrev_b32_e32 v14, 24, v12
	v_bfrev_b32_e32 v49, 1
	s_mov_b32 s22, exec_lo
	s_delay_alu instid0(VALU_DEP_2)
	v_cmpx_ne_u32_e32 0x80, v14
	s_cbranch_execz .LBB356_3177
; %bb.3172:                             ;   in Loop: Header=BB356_2089 Depth=1
	v_and_b32_e32 v50, 0x7f, v14
	v_mov_b32_e32 v49, 0x7fc02000
	s_mov_b32 s23, exec_lo
	s_delay_alu instid0(VALU_DEP_2)
	v_cmpx_ne_u32_e32 0x7f, v50
	s_cbranch_execz .LBB356_3176
; %bb.3173:                             ;   in Loop: Header=BB356_2089 Depth=1
	v_and_b32_e32 v2, 7, v14
	v_lshrrev_b32_e32 v49, 3, v50
	v_mov_b32_e32 v12, v3
	s_mov_b32 s24, exec_lo
	s_delay_alu instid0(VALU_DEP_3)
	v_mov_b32_e32 v11, v2
	v_cmpx_gt_u32_e32 8, v50
; %bb.3174:                             ;   in Loop: Header=BB356_2089 Depth=1
	v_clz_i32_u32_e32 v11, v2
	s_delay_alu instid0(VALU_DEP_1) | instskip(NEXT) | instid1(VALU_DEP_1)
	v_min_u32_e32 v49, 32, v11
	v_subrev_nc_u32_e32 v11, 28, v49
	v_sub_nc_u32_e32 v49, 29, v49
	s_delay_alu instid0(VALU_DEP_2) | instskip(NEXT) | instid1(VALU_DEP_1)
	v_lshlrev_b64 v[11:12], v11, v[2:3]
	v_and_b32_e32 v11, 7, v11
; %bb.3175:                             ;   in Loop: Header=BB356_2089 Depth=1
	s_or_b32 exec_lo, exec_lo, s24
	v_lshlrev_b32_e32 v2, 8, v14
	v_lshl_add_u32 v12, v49, 10, 0x2000
	s_delay_alu instid0(VALU_DEP_1) | instskip(NEXT) | instid1(VALU_DEP_1)
	v_and_or_b32 v2, 0x8000, v2, v12
	v_lshl_or_b32 v2, v11, 7, v2
	s_delay_alu instid0(VALU_DEP_1)
	v_cvt_f32_f16_e32 v49, v2
.LBB356_3176:                           ;   in Loop: Header=BB356_2089 Depth=1
	s_or_b32 exec_lo, exec_lo, s23
.LBB356_3177:                           ;   in Loop: Header=BB356_2089 Depth=1
	s_delay_alu instid0(SALU_CYCLE_1)
	s_or_b32 exec_lo, exec_lo, s22
.LBB356_3178:                           ;   in Loop: Header=BB356_2089 Depth=1
	s_delay_alu instid0(SALU_CYCLE_1)
	s_or_b32 exec_lo, exec_lo, s21
	s_waitcnt vmcnt(0) lgkmcnt(0)
	v_fma_mixlo_f16 v2, v4, v38, 0
	v_fma_mixlo_f16 v11, v4, v37, 0
	;; [unrolled: 1-line block ×5, first 2 shown]
	v_lshlrev_b32_e32 v22, 16, v2
	v_fma_mixlo_f16 v37, v4, v39, 0
	v_and_b32_e32 v38, 0xffff, v11
	v_lshlrev_b32_e32 v39, 16, v12
	v_and_b32_e32 v48, 0xffff, v5
	v_fma_mixlo_f16 v49, v4, v49, 0
	v_fma_mixlo_f16 v4, v4, v13, 0
	v_cndmask_b32_e32 v5, 0, v5, vcc_lo
	v_cndmask_b32_e64 v12, 0, v12, s0
	v_cndmask_b32_e64 v11, 0, v11, s2
	;; [unrolled: 1-line block ×3, first 2 shown]
	v_lshlrev_b32_e32 v50, 16, v14
	v_and_b32_e32 v51, 0xffff, v37
	v_or_b32_e32 v13, v22, v38
	v_or_b32_e32 v22, v39, v48
	v_lshlrev_b32_e32 v39, 16, v49
	v_and_b32_e32 v48, 0xffff, v4
	v_cndmask_b32_e64 v37, 0, v37, s6
	v_cndmask_b32_e64 v14, 0, v14, s7
	v_cndmask_b32_e64 v4, 0, v4, s3
	v_cndmask_b32_e64 v49, 0, v49, s5
	v_perm_b32 v5, v12, v5, 0x5040100
	v_perm_b32 v2, v2, v11, 0x5040100
	v_or_b32_e32 v38, v50, v51
	v_or_b32_e32 v39, v39, v48
	v_perm_b32 v11, v14, v37, 0x5040100
	v_perm_b32 v4, v49, v4, 0x5040100
	v_cndmask_b32_e64 v5, v22, v5, s1
	v_mov_b32_e32 v22, 0
	v_cndmask_b32_e64 v2, v13, v2, s1
	v_cndmask_b32_e64 v11, v38, v11, s1
	;; [unrolled: 1-line block ×3, first 2 shown]
	;;#ASMSTART
	v_pk_mul_f16 v5, v146, v5;

	;;#ASMEND
	;;#ASMSTART
	v_pk_mul_f16 v2, v145, v2;

	;;#ASMEND
	;; [unrolled: 4-line block ×4, first 2 shown]
	;;#ASMSTART
	v_pk_add_f16 v2, v5, v2;

	;;#ASMEND
	;;#ASMSTART
	v_pk_add_f16 v2, v2, v11;

	;;#ASMEND
	;; [unrolled: 4-line block ×3, first 2 shown]
	v_add_co_u32 v4, s8, v9, v113
	s_delay_alu instid0(VALU_DEP_1)
	v_add_co_ci_u32_e64 v5, s8, 0, v10, s8
	v_lshrrev_b32_e32 v11, 16, v2
	v_and_b32_e32 v2, 0xffff, v2
	;;#ASMSTART
	v_cvt_f32_f16 v58, v2;
	;;#ASMEND
	;;#ASMSTART
	v_cvt_f32_f16 v59, v11;
	;;#ASMEND
	flat_load_b64 v[11:12], v[4:5]
	flat_load_b32 v4, v[26:27]
	v_mov_b32_e32 v5, 0
	s_mov_b32 s21, exec_lo
	s_waitcnt vmcnt(1) lgkmcnt(1)
	v_and_b32_e32 v2, 0xff, v11
	s_delay_alu instid0(VALU_DEP_1)
	v_cmpx_ne_u16_e32 0, v2
	s_cbranch_execz .LBB356_3186
; %bb.3179:                             ;   in Loop: Header=BB356_2089 Depth=1
	v_bfrev_b32_e32 v5, 1
	s_mov_b32 s22, exec_lo
	v_cmpx_ne_u16_e32 0x80, v2
	s_cbranch_execz .LBB356_3185
; %bb.3180:                             ;   in Loop: Header=BB356_2089 Depth=1
	v_and_b32_e32 v13, 0x7f, v11
	v_mov_b32_e32 v5, 0x7fc02000
	s_mov_b32 s23, exec_lo
	s_delay_alu instid0(VALU_DEP_2)
	v_cmpx_ne_u32_e32 0x7f, v13
	s_cbranch_execz .LBB356_3184
; %bb.3181:                             ;   in Loop: Header=BB356_2089 Depth=1
	v_lshrrev_b32_e32 v2, 3, v13
	v_cmp_gt_u32_e64 s8, 8, v13
	v_dual_mov_b32 v14, v12 :: v_dual_mov_b32 v13, v11
	s_delay_alu instid0(VALU_DEP_2)
	s_and_saveexec_b32 s24, s8
; %bb.3182:                             ;   in Loop: Header=BB356_2089 Depth=1
	v_and_b32_e32 v2, 7, v11
	s_delay_alu instid0(VALU_DEP_1) | instskip(NEXT) | instid1(VALU_DEP_1)
	v_clz_i32_u32_e32 v2, v2
	v_min_u32_e32 v2, 32, v2
	s_delay_alu instid0(VALU_DEP_1) | instskip(SKIP_1) | instid1(VALU_DEP_2)
	v_subrev_nc_u32_e32 v5, 28, v2
	v_sub_nc_u32_e32 v2, 29, v2
	v_lshlrev_b64 v[13:14], v5, v[11:12]
; %bb.3183:                             ;   in Loop: Header=BB356_2089 Depth=1
	s_or_b32 exec_lo, exec_lo, s24
	v_lshlrev_b32_e32 v5, 8, v11
	s_delay_alu instid0(VALU_DEP_3) | instskip(NEXT) | instid1(VALU_DEP_3)
	v_lshl_add_u32 v2, v2, 10, 0x2000
	v_lshlrev_b32_e32 v13, 7, v13
	s_delay_alu instid0(VALU_DEP_2) | instskip(NEXT) | instid1(VALU_DEP_1)
	v_and_or_b32 v2, 0x8000, v5, v2
	v_and_or_b32 v2, 0x380, v13, v2
	s_delay_alu instid0(VALU_DEP_1)
	v_cvt_f32_f16_e32 v5, v2
.LBB356_3184:                           ;   in Loop: Header=BB356_2089 Depth=1
	s_or_b32 exec_lo, exec_lo, s23
.LBB356_3185:                           ;   in Loop: Header=BB356_2089 Depth=1
	s_delay_alu instid0(SALU_CYCLE_1)
	s_or_b32 exec_lo, exec_lo, s22
.LBB356_3186:                           ;   in Loop: Header=BB356_2089 Depth=1
	s_delay_alu instid0(SALU_CYCLE_1) | instskip(SKIP_2) | instid1(VALU_DEP_1)
	s_or_b32 exec_lo, exec_lo, s21
	v_lshrrev_b16 v2, 8, v11
	s_mov_b32 s21, exec_lo
	v_cmpx_ne_u16_e32 0, v2
	s_cbranch_execz .LBB356_3194
; %bb.3187:                             ;   in Loop: Header=BB356_2089 Depth=1
	v_bfrev_b32_e32 v22, 1
	s_mov_b32 s22, exec_lo
	v_cmpx_ne_u16_e32 0x80, v2
	s_cbranch_execz .LBB356_3193
; %bb.3188:                             ;   in Loop: Header=BB356_2089 Depth=1
	v_and_b32_e32 v37, 0xffff, v2
	v_mov_b32_e32 v22, 0x7fc02000
	s_mov_b32 s23, exec_lo
	s_delay_alu instid0(VALU_DEP_2) | instskip(NEXT) | instid1(VALU_DEP_1)
	v_and_b32_e32 v38, 0x7f, v37
	v_cmpx_ne_u32_e32 0x7f, v38
	s_cbranch_execz .LBB356_3192
; %bb.3189:                             ;   in Loop: Header=BB356_2089 Depth=1
	v_and_b32_e32 v2, 7, v37
	v_lshrrev_b32_e32 v22, 3, v38
	v_mov_b32_e32 v14, v3
	s_mov_b32 s24, exec_lo
	s_delay_alu instid0(VALU_DEP_3)
	v_mov_b32_e32 v13, v2
	v_cmpx_gt_u32_e32 8, v38
; %bb.3190:                             ;   in Loop: Header=BB356_2089 Depth=1
	v_clz_i32_u32_e32 v13, v2
	s_delay_alu instid0(VALU_DEP_1) | instskip(NEXT) | instid1(VALU_DEP_1)
	v_min_u32_e32 v22, 32, v13
	v_subrev_nc_u32_e32 v13, 28, v22
	v_sub_nc_u32_e32 v22, 29, v22
	s_delay_alu instid0(VALU_DEP_2) | instskip(NEXT) | instid1(VALU_DEP_1)
	v_lshlrev_b64 v[13:14], v13, v[2:3]
	v_and_b32_e32 v13, 7, v13
; %bb.3191:                             ;   in Loop: Header=BB356_2089 Depth=1
	s_or_b32 exec_lo, exec_lo, s24
	v_lshlrev_b32_e32 v2, 8, v37
	v_lshl_add_u32 v14, v22, 10, 0x2000
	s_delay_alu instid0(VALU_DEP_1) | instskip(NEXT) | instid1(VALU_DEP_1)
	v_and_or_b32 v2, 0x8000, v2, v14
	v_lshl_or_b32 v2, v13, 7, v2
	s_delay_alu instid0(VALU_DEP_1)
	v_cvt_f32_f16_e32 v22, v2
.LBB356_3192:                           ;   in Loop: Header=BB356_2089 Depth=1
	s_or_b32 exec_lo, exec_lo, s23
.LBB356_3193:                           ;   in Loop: Header=BB356_2089 Depth=1
	s_delay_alu instid0(SALU_CYCLE_1)
	s_or_b32 exec_lo, exec_lo, s22
.LBB356_3194:                           ;   in Loop: Header=BB356_2089 Depth=1
	s_delay_alu instid0(SALU_CYCLE_1) | instskip(SKIP_3) | instid1(VALU_DEP_2)
	s_or_b32 exec_lo, exec_lo, s21
	v_lshrrev_b32_e32 v39, 16, v11
	v_mov_b32_e32 v38, 0
	s_mov_b32 s21, exec_lo
	v_dual_mov_b32 v37, 0 :: v_dual_and_b32 v2, 0xff, v39
	s_delay_alu instid0(VALU_DEP_1)
	v_cmpx_ne_u16_e32 0, v2
	s_cbranch_execz .LBB356_3202
; %bb.3195:                             ;   in Loop: Header=BB356_2089 Depth=1
	v_bfrev_b32_e32 v37, 1
	s_mov_b32 s22, exec_lo
	v_cmpx_ne_u16_e32 0x80, v2
	s_cbranch_execz .LBB356_3201
; %bb.3196:                             ;   in Loop: Header=BB356_2089 Depth=1
	v_bfe_u32 v48, v11, 16, 7
	v_mov_b32_e32 v37, 0x7fc02000
	s_mov_b32 s23, exec_lo
	s_delay_alu instid0(VALU_DEP_2)
	v_cmpx_ne_u32_e32 0x7f, v48
	s_cbranch_execz .LBB356_3200
; %bb.3197:                             ;   in Loop: Header=BB356_2089 Depth=1
	v_and_b32_e32 v2, 7, v39
	v_lshrrev_b32_e32 v37, 3, v48
	v_mov_b32_e32 v14, v3
	s_mov_b32 s24, exec_lo
	s_delay_alu instid0(VALU_DEP_3)
	v_mov_b32_e32 v13, v2
	v_cmpx_gt_u32_e32 8, v48
; %bb.3198:                             ;   in Loop: Header=BB356_2089 Depth=1
	v_clz_i32_u32_e32 v13, v2
	s_delay_alu instid0(VALU_DEP_1) | instskip(NEXT) | instid1(VALU_DEP_1)
	v_min_u32_e32 v37, 32, v13
	v_subrev_nc_u32_e32 v13, 28, v37
	v_sub_nc_u32_e32 v37, 29, v37
	s_delay_alu instid0(VALU_DEP_2) | instskip(NEXT) | instid1(VALU_DEP_1)
	v_lshlrev_b64 v[13:14], v13, v[2:3]
	v_and_b32_e32 v13, 7, v13
; %bb.3199:                             ;   in Loop: Header=BB356_2089 Depth=1
	s_or_b32 exec_lo, exec_lo, s24
	v_lshlrev_b32_e32 v2, 8, v39
	v_lshl_add_u32 v14, v37, 10, 0x2000
	s_delay_alu instid0(VALU_DEP_1) | instskip(NEXT) | instid1(VALU_DEP_1)
	v_and_or_b32 v2, 0x8000, v2, v14
	v_lshl_or_b32 v2, v13, 7, v2
	s_delay_alu instid0(VALU_DEP_1)
	v_cvt_f32_f16_e32 v37, v2
.LBB356_3200:                           ;   in Loop: Header=BB356_2089 Depth=1
	s_or_b32 exec_lo, exec_lo, s23
.LBB356_3201:                           ;   in Loop: Header=BB356_2089 Depth=1
	s_delay_alu instid0(SALU_CYCLE_1)
	s_or_b32 exec_lo, exec_lo, s22
.LBB356_3202:                           ;   in Loop: Header=BB356_2089 Depth=1
	s_delay_alu instid0(SALU_CYCLE_1) | instskip(NEXT) | instid1(SALU_CYCLE_1)
	s_or_b32 exec_lo, exec_lo, s21
	s_mov_b32 s21, exec_lo
	v_cmpx_lt_u32_e32 0xffffff, v11
	s_cbranch_execz .LBB356_3210
; %bb.3203:                             ;   in Loop: Header=BB356_2089 Depth=1
	v_lshrrev_b32_e32 v39, 24, v11
	v_bfrev_b32_e32 v38, 1
	s_mov_b32 s22, exec_lo
	s_delay_alu instid0(VALU_DEP_2)
	v_cmpx_ne_u32_e32 0x80, v39
	s_cbranch_execz .LBB356_3209
; %bb.3204:                             ;   in Loop: Header=BB356_2089 Depth=1
	v_and_b32_e32 v48, 0x7f, v39
	v_mov_b32_e32 v38, 0x7fc02000
	s_mov_b32 s23, exec_lo
	s_delay_alu instid0(VALU_DEP_2)
	v_cmpx_ne_u32_e32 0x7f, v48
	s_cbranch_execz .LBB356_3208
; %bb.3205:                             ;   in Loop: Header=BB356_2089 Depth=1
	v_and_b32_e32 v2, 7, v39
	v_lshrrev_b32_e32 v38, 3, v48
	v_mov_b32_e32 v14, v3
	s_mov_b32 s24, exec_lo
	s_delay_alu instid0(VALU_DEP_3)
	v_mov_b32_e32 v13, v2
	v_cmpx_gt_u32_e32 8, v48
; %bb.3206:                             ;   in Loop: Header=BB356_2089 Depth=1
	v_clz_i32_u32_e32 v13, v2
	s_delay_alu instid0(VALU_DEP_1) | instskip(NEXT) | instid1(VALU_DEP_1)
	v_min_u32_e32 v38, 32, v13
	v_subrev_nc_u32_e32 v13, 28, v38
	v_sub_nc_u32_e32 v38, 29, v38
	s_delay_alu instid0(VALU_DEP_2) | instskip(NEXT) | instid1(VALU_DEP_1)
	v_lshlrev_b64 v[13:14], v13, v[2:3]
	v_and_b32_e32 v13, 7, v13
; %bb.3207:                             ;   in Loop: Header=BB356_2089 Depth=1
	s_or_b32 exec_lo, exec_lo, s24
	v_lshlrev_b32_e32 v2, 8, v39
	v_lshl_add_u32 v14, v38, 10, 0x2000
	s_delay_alu instid0(VALU_DEP_1) | instskip(NEXT) | instid1(VALU_DEP_1)
	v_and_or_b32 v2, 0x8000, v2, v14
	v_lshl_or_b32 v2, v13, 7, v2
	s_delay_alu instid0(VALU_DEP_1)
	v_cvt_f32_f16_e32 v38, v2
.LBB356_3208:                           ;   in Loop: Header=BB356_2089 Depth=1
	s_or_b32 exec_lo, exec_lo, s23
.LBB356_3209:                           ;   in Loop: Header=BB356_2089 Depth=1
	s_delay_alu instid0(SALU_CYCLE_1)
	s_or_b32 exec_lo, exec_lo, s22
.LBB356_3210:                           ;   in Loop: Header=BB356_2089 Depth=1
	s_delay_alu instid0(SALU_CYCLE_1) | instskip(SKIP_3) | instid1(VALU_DEP_2)
	s_or_b32 exec_lo, exec_lo, s21
	v_dual_mov_b32 v2, v12 :: v_dual_and_b32 v13, 0xff, v12
	v_dual_mov_b32 v48, 0 :: v_dual_mov_b32 v39, 0
	s_mov_b32 s21, exec_lo
	v_cmpx_ne_u16_e32 0, v13
	s_cbranch_execz .LBB356_3218
; %bb.3211:                             ;   in Loop: Header=BB356_2089 Depth=1
	v_bfrev_b32_e32 v39, 1
	s_mov_b32 s22, exec_lo
	v_cmpx_ne_u16_e32 0x80, v13
	s_cbranch_execz .LBB356_3217
; %bb.3212:                             ;   in Loop: Header=BB356_2089 Depth=1
	v_and_b32_e32 v49, 0x7f, v12
	v_mov_b32_e32 v39, 0x7fc02000
	s_mov_b32 s23, exec_lo
	s_delay_alu instid0(VALU_DEP_2)
	v_cmpx_ne_u32_e32 0x7f, v49
	s_cbranch_execz .LBB356_3216
; %bb.3213:                             ;   in Loop: Header=BB356_2089 Depth=1
	v_dual_mov_b32 v14, v3 :: v_dual_mov_b32 v13, v2
	v_lshrrev_b32_e32 v14, 3, v49
	s_mov_b32 s24, exec_lo
	v_cmpx_gt_u32_e32 8, v49
; %bb.3214:                             ;   in Loop: Header=BB356_2089 Depth=1
	v_and_b32_e32 v13, 7, v12
	s_delay_alu instid0(VALU_DEP_1) | instskip(NEXT) | instid1(VALU_DEP_1)
	v_clz_i32_u32_e32 v13, v13
	v_min_u32_e32 v39, 32, v13
	s_delay_alu instid0(VALU_DEP_1) | instskip(NEXT) | instid1(VALU_DEP_1)
	v_subrev_nc_u32_e32 v13, 28, v39
	v_lshlrev_b64 v[13:14], v13, v[2:3]
	v_sub_nc_u32_e32 v14, 29, v39
; %bb.3215:                             ;   in Loop: Header=BB356_2089 Depth=1
	s_or_b32 exec_lo, exec_lo, s24
	v_lshlrev_b32_e32 v39, 8, v12
	s_delay_alu instid0(VALU_DEP_2) | instskip(NEXT) | instid1(VALU_DEP_4)
	v_lshl_add_u32 v14, v14, 10, 0x2000
	v_lshlrev_b32_e32 v13, 7, v13
	s_delay_alu instid0(VALU_DEP_2) | instskip(NEXT) | instid1(VALU_DEP_1)
	v_and_or_b32 v14, 0x8000, v39, v14
	v_and_or_b32 v13, 0x380, v13, v14
	s_delay_alu instid0(VALU_DEP_1)
	v_cvt_f32_f16_e32 v39, v13
.LBB356_3216:                           ;   in Loop: Header=BB356_2089 Depth=1
	s_or_b32 exec_lo, exec_lo, s23
.LBB356_3217:                           ;   in Loop: Header=BB356_2089 Depth=1
	s_delay_alu instid0(SALU_CYCLE_1)
	s_or_b32 exec_lo, exec_lo, s22
.LBB356_3218:                           ;   in Loop: Header=BB356_2089 Depth=1
	s_delay_alu instid0(SALU_CYCLE_1) | instskip(SKIP_2) | instid1(VALU_DEP_1)
	s_or_b32 exec_lo, exec_lo, s21
	v_lshrrev_b16 v2, 8, v2
	s_mov_b32 s21, exec_lo
	v_cmpx_ne_u16_e32 0, v2
	s_cbranch_execz .LBB356_3226
; %bb.3219:                             ;   in Loop: Header=BB356_2089 Depth=1
	v_bfrev_b32_e32 v48, 1
	s_mov_b32 s22, exec_lo
	v_cmpx_ne_u16_e32 0x80, v2
	s_cbranch_execz .LBB356_3225
; %bb.3220:                             ;   in Loop: Header=BB356_2089 Depth=1
	v_and_b32_e32 v49, 0xffff, v2
	v_mov_b32_e32 v48, 0x7fc02000
	s_mov_b32 s23, exec_lo
	s_delay_alu instid0(VALU_DEP_2) | instskip(NEXT) | instid1(VALU_DEP_1)
	v_and_b32_e32 v50, 0x7f, v49
	v_cmpx_ne_u32_e32 0x7f, v50
	s_cbranch_execz .LBB356_3224
; %bb.3221:                             ;   in Loop: Header=BB356_2089 Depth=1
	v_and_b32_e32 v2, 7, v49
	v_lshrrev_b32_e32 v48, 3, v50
	v_mov_b32_e32 v14, v3
	s_mov_b32 s24, exec_lo
	s_delay_alu instid0(VALU_DEP_3)
	v_mov_b32_e32 v13, v2
	v_cmpx_gt_u32_e32 8, v50
; %bb.3222:                             ;   in Loop: Header=BB356_2089 Depth=1
	v_clz_i32_u32_e32 v13, v2
	s_delay_alu instid0(VALU_DEP_1) | instskip(NEXT) | instid1(VALU_DEP_1)
	v_min_u32_e32 v48, 32, v13
	v_subrev_nc_u32_e32 v13, 28, v48
	v_sub_nc_u32_e32 v48, 29, v48
	s_delay_alu instid0(VALU_DEP_2) | instskip(NEXT) | instid1(VALU_DEP_1)
	v_lshlrev_b64 v[13:14], v13, v[2:3]
	v_and_b32_e32 v13, 7, v13
; %bb.3223:                             ;   in Loop: Header=BB356_2089 Depth=1
	s_or_b32 exec_lo, exec_lo, s24
	v_lshlrev_b32_e32 v2, 8, v49
	v_lshl_add_u32 v14, v48, 10, 0x2000
	s_delay_alu instid0(VALU_DEP_1) | instskip(NEXT) | instid1(VALU_DEP_1)
	v_and_or_b32 v2, 0x8000, v2, v14
	v_lshl_or_b32 v2, v13, 7, v2
	s_delay_alu instid0(VALU_DEP_1)
	v_cvt_f32_f16_e32 v48, v2
.LBB356_3224:                           ;   in Loop: Header=BB356_2089 Depth=1
	s_or_b32 exec_lo, exec_lo, s23
.LBB356_3225:                           ;   in Loop: Header=BB356_2089 Depth=1
	s_delay_alu instid0(SALU_CYCLE_1)
	s_or_b32 exec_lo, exec_lo, s22
.LBB356_3226:                           ;   in Loop: Header=BB356_2089 Depth=1
	s_delay_alu instid0(SALU_CYCLE_1) | instskip(SKIP_3) | instid1(VALU_DEP_2)
	s_or_b32 exec_lo, exec_lo, s21
	v_lshrrev_b32_e32 v50, 16, v12
	v_mov_b32_e32 v13, 0
	s_mov_b32 s21, exec_lo
	v_dual_mov_b32 v49, 0 :: v_dual_and_b32 v2, 0xff, v50
	s_delay_alu instid0(VALU_DEP_1)
	v_cmpx_ne_u16_e32 0, v2
	s_cbranch_execz .LBB356_3234
; %bb.3227:                             ;   in Loop: Header=BB356_2089 Depth=1
	v_bfrev_b32_e32 v13, 1
	s_mov_b32 s22, exec_lo
	v_cmpx_ne_u16_e32 0x80, v2
	s_cbranch_execz .LBB356_3233
; %bb.3228:                             ;   in Loop: Header=BB356_2089 Depth=1
	v_bfe_u32 v53, v12, 16, 7
	v_mov_b32_e32 v13, 0x7fc02000
	s_mov_b32 s23, exec_lo
	s_delay_alu instid0(VALU_DEP_2)
	v_cmpx_ne_u32_e32 0x7f, v53
	s_cbranch_execz .LBB356_3232
; %bb.3229:                             ;   in Loop: Header=BB356_2089 Depth=1
	v_and_b32_e32 v2, 7, v50
	v_lshrrev_b32_e32 v51, 3, v53
	v_mov_b32_e32 v14, v3
	s_mov_b32 s24, exec_lo
	s_delay_alu instid0(VALU_DEP_3)
	v_mov_b32_e32 v13, v2
	v_cmpx_gt_u32_e32 8, v53
; %bb.3230:                             ;   in Loop: Header=BB356_2089 Depth=1
	v_clz_i32_u32_e32 v13, v2
	s_delay_alu instid0(VALU_DEP_1) | instskip(NEXT) | instid1(VALU_DEP_1)
	v_min_u32_e32 v51, 32, v13
	v_subrev_nc_u32_e32 v13, 28, v51
	v_sub_nc_u32_e32 v51, 29, v51
	s_delay_alu instid0(VALU_DEP_2) | instskip(NEXT) | instid1(VALU_DEP_1)
	v_lshlrev_b64 v[13:14], v13, v[2:3]
	v_and_b32_e32 v13, 7, v13
; %bb.3231:                             ;   in Loop: Header=BB356_2089 Depth=1
	s_or_b32 exec_lo, exec_lo, s24
	v_lshlrev_b32_e32 v2, 8, v50
	v_lshl_add_u32 v14, v51, 10, 0x2000
	s_delay_alu instid0(VALU_DEP_1) | instskip(NEXT) | instid1(VALU_DEP_1)
	v_and_or_b32 v2, 0x8000, v2, v14
	v_lshl_or_b32 v2, v13, 7, v2
	s_delay_alu instid0(VALU_DEP_1)
	v_cvt_f32_f16_e32 v13, v2
.LBB356_3232:                           ;   in Loop: Header=BB356_2089 Depth=1
	s_or_b32 exec_lo, exec_lo, s23
.LBB356_3233:                           ;   in Loop: Header=BB356_2089 Depth=1
	s_delay_alu instid0(SALU_CYCLE_1)
	s_or_b32 exec_lo, exec_lo, s22
.LBB356_3234:                           ;   in Loop: Header=BB356_2089 Depth=1
	s_delay_alu instid0(SALU_CYCLE_1) | instskip(NEXT) | instid1(SALU_CYCLE_1)
	s_or_b32 exec_lo, exec_lo, s21
	s_mov_b32 s21, exec_lo
	v_cmpx_lt_u64_e64 s[18:19], v[11:12]
	s_cbranch_execz .LBB356_3242
; %bb.3235:                             ;   in Loop: Header=BB356_2089 Depth=1
	v_lshrrev_b32_e32 v14, 24, v12
	v_bfrev_b32_e32 v49, 1
	s_mov_b32 s22, exec_lo
	s_delay_alu instid0(VALU_DEP_2)
	v_cmpx_ne_u32_e32 0x80, v14
	s_cbranch_execz .LBB356_3241
; %bb.3236:                             ;   in Loop: Header=BB356_2089 Depth=1
	v_and_b32_e32 v50, 0x7f, v14
	v_mov_b32_e32 v49, 0x7fc02000
	s_mov_b32 s23, exec_lo
	s_delay_alu instid0(VALU_DEP_2)
	v_cmpx_ne_u32_e32 0x7f, v50
	s_cbranch_execz .LBB356_3240
; %bb.3237:                             ;   in Loop: Header=BB356_2089 Depth=1
	v_and_b32_e32 v2, 7, v14
	v_lshrrev_b32_e32 v49, 3, v50
	v_mov_b32_e32 v12, v3
	s_mov_b32 s24, exec_lo
	s_delay_alu instid0(VALU_DEP_3)
	v_mov_b32_e32 v11, v2
	v_cmpx_gt_u32_e32 8, v50
; %bb.3238:                             ;   in Loop: Header=BB356_2089 Depth=1
	v_clz_i32_u32_e32 v11, v2
	s_delay_alu instid0(VALU_DEP_1) | instskip(NEXT) | instid1(VALU_DEP_1)
	v_min_u32_e32 v49, 32, v11
	v_subrev_nc_u32_e32 v11, 28, v49
	v_sub_nc_u32_e32 v49, 29, v49
	s_delay_alu instid0(VALU_DEP_2) | instskip(NEXT) | instid1(VALU_DEP_1)
	v_lshlrev_b64 v[11:12], v11, v[2:3]
	v_and_b32_e32 v11, 7, v11
; %bb.3239:                             ;   in Loop: Header=BB356_2089 Depth=1
	s_or_b32 exec_lo, exec_lo, s24
	v_lshlrev_b32_e32 v2, 8, v14
	v_lshl_add_u32 v12, v49, 10, 0x2000
	s_delay_alu instid0(VALU_DEP_1) | instskip(NEXT) | instid1(VALU_DEP_1)
	v_and_or_b32 v2, 0x8000, v2, v12
	v_lshl_or_b32 v2, v11, 7, v2
	s_delay_alu instid0(VALU_DEP_1)
	v_cvt_f32_f16_e32 v49, v2
.LBB356_3240:                           ;   in Loop: Header=BB356_2089 Depth=1
	s_or_b32 exec_lo, exec_lo, s23
.LBB356_3241:                           ;   in Loop: Header=BB356_2089 Depth=1
	s_delay_alu instid0(SALU_CYCLE_1)
	s_or_b32 exec_lo, exec_lo, s22
.LBB356_3242:                           ;   in Loop: Header=BB356_2089 Depth=1
	s_delay_alu instid0(SALU_CYCLE_1)
	s_or_b32 exec_lo, exec_lo, s21
	s_waitcnt vmcnt(0) lgkmcnt(0)
	v_fma_mixlo_f16 v2, v4, v38, 0
	v_fma_mixlo_f16 v11, v4, v37, 0
	;; [unrolled: 1-line block ×6, first 2 shown]
	v_lshlrev_b32_e32 v22, 16, v2
	v_and_b32_e32 v38, 0xffff, v11
	v_lshlrev_b32_e32 v39, 16, v12
	v_and_b32_e32 v48, 0xffff, v5
	;; [unrolled: 2-line block ×3, first 2 shown]
	v_fma_mixlo_f16 v49, v4, v49, 0
	v_fma_mixlo_f16 v4, v4, v13, 0
	v_cndmask_b32_e64 v11, 0, v11, s2
	v_cndmask_b32_e64 v2, 0, v2, s4
	;; [unrolled: 1-line block ×4, first 2 shown]
	v_cndmask_b32_e32 v5, 0, v5, vcc_lo
	v_cndmask_b32_e64 v12, 0, v12, s0
	v_perm_b32 v2, v2, v11, 0x5040100
	s_mov_b32 s21, exec_lo
	v_perm_b32 v11, v14, v37, 0x5040100
	v_mov_b32_e32 v37, 0
	v_or_b32_e32 v13, v22, v38
	v_or_b32_e32 v22, v39, v48
	v_lshlrev_b32_e32 v39, 16, v49
	v_and_b32_e32 v48, 0xffff, v4
	v_cndmask_b32_e64 v4, 0, v4, s3
	v_cndmask_b32_e64 v49, 0, v49, s5
	v_perm_b32 v5, v12, v5, 0x5040100
	v_or_b32_e32 v38, v50, v51
	v_or_b32_e32 v39, v39, v48
	v_cndmask_b32_e64 v2, v13, v2, s1
	v_perm_b32 v4, v49, v4, 0x5040100
	v_cndmask_b32_e64 v5, v22, v5, s1
	v_mov_b32_e32 v22, 0
	v_cndmask_b32_e64 v11, v38, v11, s1
	;;#ASMSTART
	v_pk_mul_f16 v5, v146, v5;

	;;#ASMEND
	v_cndmask_b32_e64 v4, v39, v4, s1
	;;#ASMSTART
	v_pk_mul_f16 v2, v145, v2;

	;;#ASMEND
	;;#ASMSTART
	v_pk_mul_f16 v11, v144, v11;

	;;#ASMEND
	;; [unrolled: 4-line block ×3, first 2 shown]
	;;#ASMSTART
	v_pk_add_f16 v2, v5, v2;

	;;#ASMEND
	;;#ASMSTART
	v_pk_add_f16 v2, v2, v11;

	;;#ASMEND
	v_add_co_u32 v11, s8, v9, v114
	s_delay_alu instid0(VALU_DEP_1)
	v_add_co_ci_u32_e64 v12, s8, 0, v10, s8
	;;#ASMSTART
	v_pk_add_f16 v2, v2, v4;

	;;#ASMEND
	v_lshrrev_b32_e32 v4, 16, v2
	v_and_b32_e32 v2, 0xffff, v2
	;;#ASMSTART
	v_cvt_f32_f16 v48, v2;
	;;#ASMEND
	;;#ASMSTART
	v_cvt_f32_f16 v4, v4;
	;;#ASMEND
	flat_load_b64 v[11:12], v[11:12]
	flat_load_b32 v5, v[26:27]
	s_waitcnt vmcnt(1) lgkmcnt(1)
	v_and_b32_e32 v2, 0xff, v11
	s_delay_alu instid0(VALU_DEP_1)
	v_cmpx_ne_u16_e32 0, v2
	s_cbranch_execz .LBB356_3250
; %bb.3243:                             ;   in Loop: Header=BB356_2089 Depth=1
	v_bfrev_b32_e32 v22, 1
	s_mov_b32 s22, exec_lo
	v_cmpx_ne_u16_e32 0x80, v2
	s_cbranch_execz .LBB356_3249
; %bb.3244:                             ;   in Loop: Header=BB356_2089 Depth=1
	v_and_b32_e32 v13, 0x7f, v11
	v_mov_b32_e32 v22, 0x7fc02000
	s_mov_b32 s23, exec_lo
	s_delay_alu instid0(VALU_DEP_2)
	v_cmpx_ne_u32_e32 0x7f, v13
	s_cbranch_execz .LBB356_3248
; %bb.3245:                             ;   in Loop: Header=BB356_2089 Depth=1
	v_lshrrev_b32_e32 v2, 3, v13
	v_cmp_gt_u32_e64 s8, 8, v13
	v_dual_mov_b32 v14, v12 :: v_dual_mov_b32 v13, v11
	s_delay_alu instid0(VALU_DEP_2)
	s_and_saveexec_b32 s24, s8
; %bb.3246:                             ;   in Loop: Header=BB356_2089 Depth=1
	v_and_b32_e32 v2, 7, v11
	s_delay_alu instid0(VALU_DEP_1) | instskip(NEXT) | instid1(VALU_DEP_1)
	v_clz_i32_u32_e32 v2, v2
	v_min_u32_e32 v2, 32, v2
	s_delay_alu instid0(VALU_DEP_1) | instskip(SKIP_1) | instid1(VALU_DEP_2)
	v_subrev_nc_u32_e32 v13, 28, v2
	v_sub_nc_u32_e32 v2, 29, v2
	v_lshlrev_b64 v[13:14], v13, v[11:12]
; %bb.3247:                             ;   in Loop: Header=BB356_2089 Depth=1
	s_or_b32 exec_lo, exec_lo, s24
	v_lshlrev_b32_e32 v14, 8, v11
	s_delay_alu instid0(VALU_DEP_3) | instskip(NEXT) | instid1(VALU_DEP_3)
	v_lshl_add_u32 v2, v2, 10, 0x2000
	v_lshlrev_b32_e32 v13, 7, v13
	s_delay_alu instid0(VALU_DEP_2) | instskip(NEXT) | instid1(VALU_DEP_1)
	v_and_or_b32 v2, 0x8000, v14, v2
	v_and_or_b32 v2, 0x380, v13, v2
	s_delay_alu instid0(VALU_DEP_1)
	v_cvt_f32_f16_e32 v22, v2
.LBB356_3248:                           ;   in Loop: Header=BB356_2089 Depth=1
	s_or_b32 exec_lo, exec_lo, s23
.LBB356_3249:                           ;   in Loop: Header=BB356_2089 Depth=1
	s_delay_alu instid0(SALU_CYCLE_1)
	s_or_b32 exec_lo, exec_lo, s22
.LBB356_3250:                           ;   in Loop: Header=BB356_2089 Depth=1
	s_delay_alu instid0(SALU_CYCLE_1) | instskip(SKIP_2) | instid1(VALU_DEP_1)
	s_or_b32 exec_lo, exec_lo, s21
	v_lshrrev_b16 v2, 8, v11
	s_mov_b32 s21, exec_lo
	v_cmpx_ne_u16_e32 0, v2
	s_cbranch_execz .LBB356_3258
; %bb.3251:                             ;   in Loop: Header=BB356_2089 Depth=1
	v_bfrev_b32_e32 v37, 1
	s_mov_b32 s22, exec_lo
	v_cmpx_ne_u16_e32 0x80, v2
	s_cbranch_execz .LBB356_3257
; %bb.3252:                             ;   in Loop: Header=BB356_2089 Depth=1
	v_and_b32_e32 v38, 0xffff, v2
	v_mov_b32_e32 v37, 0x7fc02000
	s_mov_b32 s23, exec_lo
	s_delay_alu instid0(VALU_DEP_2) | instskip(NEXT) | instid1(VALU_DEP_1)
	v_and_b32_e32 v39, 0x7f, v38
	v_cmpx_ne_u32_e32 0x7f, v39
	s_cbranch_execz .LBB356_3256
; %bb.3253:                             ;   in Loop: Header=BB356_2089 Depth=1
	v_and_b32_e32 v2, 7, v38
	v_lshrrev_b32_e32 v37, 3, v39
	v_mov_b32_e32 v14, v3
	s_mov_b32 s24, exec_lo
	s_delay_alu instid0(VALU_DEP_3)
	v_mov_b32_e32 v13, v2
	v_cmpx_gt_u32_e32 8, v39
; %bb.3254:                             ;   in Loop: Header=BB356_2089 Depth=1
	v_clz_i32_u32_e32 v13, v2
	s_delay_alu instid0(VALU_DEP_1) | instskip(NEXT) | instid1(VALU_DEP_1)
	v_min_u32_e32 v37, 32, v13
	v_subrev_nc_u32_e32 v13, 28, v37
	v_sub_nc_u32_e32 v37, 29, v37
	s_delay_alu instid0(VALU_DEP_2) | instskip(NEXT) | instid1(VALU_DEP_1)
	v_lshlrev_b64 v[13:14], v13, v[2:3]
	v_and_b32_e32 v13, 7, v13
; %bb.3255:                             ;   in Loop: Header=BB356_2089 Depth=1
	s_or_b32 exec_lo, exec_lo, s24
	v_lshlrev_b32_e32 v2, 8, v38
	v_lshl_add_u32 v14, v37, 10, 0x2000
	s_delay_alu instid0(VALU_DEP_1) | instskip(NEXT) | instid1(VALU_DEP_1)
	v_and_or_b32 v2, 0x8000, v2, v14
	v_lshl_or_b32 v2, v13, 7, v2
	s_delay_alu instid0(VALU_DEP_1)
	v_cvt_f32_f16_e32 v37, v2
.LBB356_3256:                           ;   in Loop: Header=BB356_2089 Depth=1
	s_or_b32 exec_lo, exec_lo, s23
.LBB356_3257:                           ;   in Loop: Header=BB356_2089 Depth=1
	s_delay_alu instid0(SALU_CYCLE_1)
	s_or_b32 exec_lo, exec_lo, s22
.LBB356_3258:                           ;   in Loop: Header=BB356_2089 Depth=1
	s_delay_alu instid0(SALU_CYCLE_1) | instskip(SKIP_3) | instid1(VALU_DEP_2)
	s_or_b32 exec_lo, exec_lo, s21
	v_lshrrev_b32_e32 v49, 16, v11
	v_mov_b32_e32 v38, 0
	s_mov_b32 s21, exec_lo
	v_dual_mov_b32 v39, 0 :: v_dual_and_b32 v2, 0xff, v49
	s_delay_alu instid0(VALU_DEP_1)
	v_cmpx_ne_u16_e32 0, v2
	s_cbranch_execz .LBB356_3266
; %bb.3259:                             ;   in Loop: Header=BB356_2089 Depth=1
	v_bfrev_b32_e32 v38, 1
	s_mov_b32 s22, exec_lo
	v_cmpx_ne_u16_e32 0x80, v2
	s_cbranch_execz .LBB356_3265
; %bb.3260:                             ;   in Loop: Header=BB356_2089 Depth=1
	v_bfe_u32 v50, v11, 16, 7
	v_mov_b32_e32 v38, 0x7fc02000
	s_mov_b32 s23, exec_lo
	s_delay_alu instid0(VALU_DEP_2)
	v_cmpx_ne_u32_e32 0x7f, v50
	s_cbranch_execz .LBB356_3264
; %bb.3261:                             ;   in Loop: Header=BB356_2089 Depth=1
	v_and_b32_e32 v2, 7, v49
	v_lshrrev_b32_e32 v38, 3, v50
	v_mov_b32_e32 v14, v3
	s_mov_b32 s24, exec_lo
	s_delay_alu instid0(VALU_DEP_3)
	v_mov_b32_e32 v13, v2
	v_cmpx_gt_u32_e32 8, v50
; %bb.3262:                             ;   in Loop: Header=BB356_2089 Depth=1
	v_clz_i32_u32_e32 v13, v2
	s_delay_alu instid0(VALU_DEP_1) | instskip(NEXT) | instid1(VALU_DEP_1)
	v_min_u32_e32 v38, 32, v13
	v_subrev_nc_u32_e32 v13, 28, v38
	v_sub_nc_u32_e32 v38, 29, v38
	s_delay_alu instid0(VALU_DEP_2) | instskip(NEXT) | instid1(VALU_DEP_1)
	v_lshlrev_b64 v[13:14], v13, v[2:3]
	v_and_b32_e32 v13, 7, v13
; %bb.3263:                             ;   in Loop: Header=BB356_2089 Depth=1
	s_or_b32 exec_lo, exec_lo, s24
	v_lshlrev_b32_e32 v2, 8, v49
	v_lshl_add_u32 v14, v38, 10, 0x2000
	s_delay_alu instid0(VALU_DEP_1) | instskip(NEXT) | instid1(VALU_DEP_1)
	v_and_or_b32 v2, 0x8000, v2, v14
	v_lshl_or_b32 v2, v13, 7, v2
	s_delay_alu instid0(VALU_DEP_1)
	v_cvt_f32_f16_e32 v38, v2
.LBB356_3264:                           ;   in Loop: Header=BB356_2089 Depth=1
	s_or_b32 exec_lo, exec_lo, s23
.LBB356_3265:                           ;   in Loop: Header=BB356_2089 Depth=1
	s_delay_alu instid0(SALU_CYCLE_1)
	s_or_b32 exec_lo, exec_lo, s22
.LBB356_3266:                           ;   in Loop: Header=BB356_2089 Depth=1
	s_delay_alu instid0(SALU_CYCLE_1) | instskip(NEXT) | instid1(SALU_CYCLE_1)
	s_or_b32 exec_lo, exec_lo, s21
	s_mov_b32 s21, exec_lo
	v_cmpx_lt_u32_e32 0xffffff, v11
	s_cbranch_execz .LBB356_3274
; %bb.3267:                             ;   in Loop: Header=BB356_2089 Depth=1
	v_lshrrev_b32_e32 v49, 24, v11
	v_bfrev_b32_e32 v39, 1
	s_mov_b32 s22, exec_lo
	s_delay_alu instid0(VALU_DEP_2)
	v_cmpx_ne_u32_e32 0x80, v49
	s_cbranch_execz .LBB356_3273
; %bb.3268:                             ;   in Loop: Header=BB356_2089 Depth=1
	v_and_b32_e32 v50, 0x7f, v49
	v_mov_b32_e32 v39, 0x7fc02000
	s_mov_b32 s23, exec_lo
	s_delay_alu instid0(VALU_DEP_2)
	v_cmpx_ne_u32_e32 0x7f, v50
	s_cbranch_execz .LBB356_3272
; %bb.3269:                             ;   in Loop: Header=BB356_2089 Depth=1
	v_and_b32_e32 v2, 7, v49
	v_lshrrev_b32_e32 v39, 3, v50
	v_mov_b32_e32 v14, v3
	s_mov_b32 s24, exec_lo
	s_delay_alu instid0(VALU_DEP_3)
	v_mov_b32_e32 v13, v2
	v_cmpx_gt_u32_e32 8, v50
; %bb.3270:                             ;   in Loop: Header=BB356_2089 Depth=1
	v_clz_i32_u32_e32 v13, v2
	s_delay_alu instid0(VALU_DEP_1) | instskip(NEXT) | instid1(VALU_DEP_1)
	v_min_u32_e32 v39, 32, v13
	v_subrev_nc_u32_e32 v13, 28, v39
	v_sub_nc_u32_e32 v39, 29, v39
	s_delay_alu instid0(VALU_DEP_2) | instskip(NEXT) | instid1(VALU_DEP_1)
	v_lshlrev_b64 v[13:14], v13, v[2:3]
	v_and_b32_e32 v13, 7, v13
; %bb.3271:                             ;   in Loop: Header=BB356_2089 Depth=1
	s_or_b32 exec_lo, exec_lo, s24
	v_lshlrev_b32_e32 v2, 8, v49
	v_lshl_add_u32 v14, v39, 10, 0x2000
	s_delay_alu instid0(VALU_DEP_1) | instskip(NEXT) | instid1(VALU_DEP_1)
	v_and_or_b32 v2, 0x8000, v2, v14
	v_lshl_or_b32 v2, v13, 7, v2
	s_delay_alu instid0(VALU_DEP_1)
	v_cvt_f32_f16_e32 v39, v2
.LBB356_3272:                           ;   in Loop: Header=BB356_2089 Depth=1
	s_or_b32 exec_lo, exec_lo, s23
.LBB356_3273:                           ;   in Loop: Header=BB356_2089 Depth=1
	s_delay_alu instid0(SALU_CYCLE_1)
	s_or_b32 exec_lo, exec_lo, s22
.LBB356_3274:                           ;   in Loop: Header=BB356_2089 Depth=1
	s_delay_alu instid0(SALU_CYCLE_1) | instskip(SKIP_3) | instid1(VALU_DEP_2)
	s_or_b32 exec_lo, exec_lo, s21
	v_dual_mov_b32 v2, v12 :: v_dual_and_b32 v13, 0xff, v12
	v_dual_mov_b32 v50, 0 :: v_dual_mov_b32 v49, 0
	s_mov_b32 s21, exec_lo
	v_cmpx_ne_u16_e32 0, v13
	s_cbranch_execz .LBB356_3282
; %bb.3275:                             ;   in Loop: Header=BB356_2089 Depth=1
	v_bfrev_b32_e32 v49, 1
	s_mov_b32 s22, exec_lo
	v_cmpx_ne_u16_e32 0x80, v13
	s_cbranch_execz .LBB356_3281
; %bb.3276:                             ;   in Loop: Header=BB356_2089 Depth=1
	v_and_b32_e32 v51, 0x7f, v12
	v_mov_b32_e32 v49, 0x7fc02000
	s_mov_b32 s23, exec_lo
	s_delay_alu instid0(VALU_DEP_2)
	v_cmpx_ne_u32_e32 0x7f, v51
	s_cbranch_execz .LBB356_3280
; %bb.3277:                             ;   in Loop: Header=BB356_2089 Depth=1
	v_dual_mov_b32 v14, v3 :: v_dual_mov_b32 v13, v2
	v_lshrrev_b32_e32 v14, 3, v51
	s_mov_b32 s24, exec_lo
	v_cmpx_gt_u32_e32 8, v51
; %bb.3278:                             ;   in Loop: Header=BB356_2089 Depth=1
	v_and_b32_e32 v13, 7, v12
	s_delay_alu instid0(VALU_DEP_1) | instskip(NEXT) | instid1(VALU_DEP_1)
	v_clz_i32_u32_e32 v13, v13
	v_min_u32_e32 v49, 32, v13
	s_delay_alu instid0(VALU_DEP_1) | instskip(NEXT) | instid1(VALU_DEP_1)
	v_subrev_nc_u32_e32 v13, 28, v49
	v_lshlrev_b64 v[13:14], v13, v[2:3]
	v_sub_nc_u32_e32 v14, 29, v49
; %bb.3279:                             ;   in Loop: Header=BB356_2089 Depth=1
	s_or_b32 exec_lo, exec_lo, s24
	v_lshlrev_b32_e32 v49, 8, v12
	s_delay_alu instid0(VALU_DEP_2) | instskip(NEXT) | instid1(VALU_DEP_4)
	v_lshl_add_u32 v14, v14, 10, 0x2000
	v_lshlrev_b32_e32 v13, 7, v13
	s_delay_alu instid0(VALU_DEP_2) | instskip(NEXT) | instid1(VALU_DEP_1)
	v_and_or_b32 v14, 0x8000, v49, v14
	v_and_or_b32 v13, 0x380, v13, v14
	s_delay_alu instid0(VALU_DEP_1)
	v_cvt_f32_f16_e32 v49, v13
.LBB356_3280:                           ;   in Loop: Header=BB356_2089 Depth=1
	s_or_b32 exec_lo, exec_lo, s23
.LBB356_3281:                           ;   in Loop: Header=BB356_2089 Depth=1
	s_delay_alu instid0(SALU_CYCLE_1)
	s_or_b32 exec_lo, exec_lo, s22
.LBB356_3282:                           ;   in Loop: Header=BB356_2089 Depth=1
	s_delay_alu instid0(SALU_CYCLE_1) | instskip(SKIP_2) | instid1(VALU_DEP_1)
	s_or_b32 exec_lo, exec_lo, s21
	v_lshrrev_b16 v2, 8, v2
	s_mov_b32 s21, exec_lo
	v_cmpx_ne_u16_e32 0, v2
	s_cbranch_execz .LBB356_3290
; %bb.3283:                             ;   in Loop: Header=BB356_2089 Depth=1
	v_bfrev_b32_e32 v50, 1
	s_mov_b32 s22, exec_lo
	v_cmpx_ne_u16_e32 0x80, v2
	s_cbranch_execz .LBB356_3289
; %bb.3284:                             ;   in Loop: Header=BB356_2089 Depth=1
	v_and_b32_e32 v51, 0xffff, v2
	v_mov_b32_e32 v50, 0x7fc02000
	s_mov_b32 s23, exec_lo
	s_delay_alu instid0(VALU_DEP_2) | instskip(NEXT) | instid1(VALU_DEP_1)
	v_and_b32_e32 v53, 0x7f, v51
	v_cmpx_ne_u32_e32 0x7f, v53
	s_cbranch_execz .LBB356_3288
; %bb.3285:                             ;   in Loop: Header=BB356_2089 Depth=1
	v_and_b32_e32 v2, 7, v51
	v_lshrrev_b32_e32 v50, 3, v53
	v_mov_b32_e32 v14, v3
	s_mov_b32 s24, exec_lo
	s_delay_alu instid0(VALU_DEP_3)
	v_mov_b32_e32 v13, v2
	v_cmpx_gt_u32_e32 8, v53
; %bb.3286:                             ;   in Loop: Header=BB356_2089 Depth=1
	v_clz_i32_u32_e32 v13, v2
	s_delay_alu instid0(VALU_DEP_1) | instskip(NEXT) | instid1(VALU_DEP_1)
	v_min_u32_e32 v50, 32, v13
	v_subrev_nc_u32_e32 v13, 28, v50
	v_sub_nc_u32_e32 v50, 29, v50
	s_delay_alu instid0(VALU_DEP_2) | instskip(NEXT) | instid1(VALU_DEP_1)
	v_lshlrev_b64 v[13:14], v13, v[2:3]
	v_and_b32_e32 v13, 7, v13
; %bb.3287:                             ;   in Loop: Header=BB356_2089 Depth=1
	s_or_b32 exec_lo, exec_lo, s24
	v_lshlrev_b32_e32 v2, 8, v51
	v_lshl_add_u32 v14, v50, 10, 0x2000
	s_delay_alu instid0(VALU_DEP_1) | instskip(NEXT) | instid1(VALU_DEP_1)
	v_and_or_b32 v2, 0x8000, v2, v14
	v_lshl_or_b32 v2, v13, 7, v2
	s_delay_alu instid0(VALU_DEP_1)
	v_cvt_f32_f16_e32 v50, v2
.LBB356_3288:                           ;   in Loop: Header=BB356_2089 Depth=1
	s_or_b32 exec_lo, exec_lo, s23
.LBB356_3289:                           ;   in Loop: Header=BB356_2089 Depth=1
	s_delay_alu instid0(SALU_CYCLE_1)
	s_or_b32 exec_lo, exec_lo, s22
.LBB356_3290:                           ;   in Loop: Header=BB356_2089 Depth=1
	s_delay_alu instid0(SALU_CYCLE_1) | instskip(SKIP_3) | instid1(VALU_DEP_2)
	s_or_b32 exec_lo, exec_lo, s21
	v_lshrrev_b32_e32 v53, 16, v12
	v_mov_b32_e32 v13, 0
	s_mov_b32 s21, exec_lo
	v_dual_mov_b32 v51, 0 :: v_dual_and_b32 v2, 0xff, v53
	s_delay_alu instid0(VALU_DEP_1)
	v_cmpx_ne_u16_e32 0, v2
	s_cbranch_execz .LBB356_3298
; %bb.3291:                             ;   in Loop: Header=BB356_2089 Depth=1
	v_bfrev_b32_e32 v13, 1
	s_mov_b32 s22, exec_lo
	v_cmpx_ne_u16_e32 0x80, v2
	s_cbranch_execz .LBB356_3297
; %bb.3292:                             ;   in Loop: Header=BB356_2089 Depth=1
	v_bfe_u32 v102, v12, 16, 7
	v_mov_b32_e32 v13, 0x7fc02000
	s_mov_b32 s23, exec_lo
	s_delay_alu instid0(VALU_DEP_2)
	v_cmpx_ne_u32_e32 0x7f, v102
	s_cbranch_execz .LBB356_3296
; %bb.3293:                             ;   in Loop: Header=BB356_2089 Depth=1
	v_and_b32_e32 v2, 7, v53
	v_lshrrev_b32_e32 v67, 3, v102
	v_mov_b32_e32 v14, v3
	s_mov_b32 s24, exec_lo
	s_delay_alu instid0(VALU_DEP_3)
	v_mov_b32_e32 v13, v2
	v_cmpx_gt_u32_e32 8, v102
; %bb.3294:                             ;   in Loop: Header=BB356_2089 Depth=1
	v_clz_i32_u32_e32 v13, v2
	s_delay_alu instid0(VALU_DEP_1) | instskip(NEXT) | instid1(VALU_DEP_1)
	v_min_u32_e32 v67, 32, v13
	v_subrev_nc_u32_e32 v13, 28, v67
	v_sub_nc_u32_e32 v67, 29, v67
	s_delay_alu instid0(VALU_DEP_2) | instskip(NEXT) | instid1(VALU_DEP_1)
	v_lshlrev_b64 v[13:14], v13, v[2:3]
	v_and_b32_e32 v13, 7, v13
; %bb.3295:                             ;   in Loop: Header=BB356_2089 Depth=1
	s_or_b32 exec_lo, exec_lo, s24
	v_lshlrev_b32_e32 v2, 8, v53
	v_lshl_add_u32 v14, v67, 10, 0x2000
	s_delay_alu instid0(VALU_DEP_1) | instskip(NEXT) | instid1(VALU_DEP_1)
	v_and_or_b32 v2, 0x8000, v2, v14
	v_lshl_or_b32 v2, v13, 7, v2
	s_delay_alu instid0(VALU_DEP_1)
	v_cvt_f32_f16_e32 v13, v2
.LBB356_3296:                           ;   in Loop: Header=BB356_2089 Depth=1
	s_or_b32 exec_lo, exec_lo, s23
.LBB356_3297:                           ;   in Loop: Header=BB356_2089 Depth=1
	s_delay_alu instid0(SALU_CYCLE_1)
	s_or_b32 exec_lo, exec_lo, s22
.LBB356_3298:                           ;   in Loop: Header=BB356_2089 Depth=1
	s_delay_alu instid0(SALU_CYCLE_1) | instskip(NEXT) | instid1(SALU_CYCLE_1)
	s_or_b32 exec_lo, exec_lo, s21
	s_mov_b32 s21, exec_lo
	v_cmpx_lt_u64_e64 s[18:19], v[11:12]
	s_cbranch_execz .LBB356_3306
; %bb.3299:                             ;   in Loop: Header=BB356_2089 Depth=1
	v_lshrrev_b32_e32 v14, 24, v12
	v_bfrev_b32_e32 v51, 1
	s_mov_b32 s22, exec_lo
	s_delay_alu instid0(VALU_DEP_2)
	v_cmpx_ne_u32_e32 0x80, v14
	s_cbranch_execz .LBB356_3305
; %bb.3300:                             ;   in Loop: Header=BB356_2089 Depth=1
	v_and_b32_e32 v53, 0x7f, v14
	v_mov_b32_e32 v51, 0x7fc02000
	s_mov_b32 s23, exec_lo
	s_delay_alu instid0(VALU_DEP_2)
	v_cmpx_ne_u32_e32 0x7f, v53
	s_cbranch_execz .LBB356_3304
; %bb.3301:                             ;   in Loop: Header=BB356_2089 Depth=1
	v_and_b32_e32 v2, 7, v14
	v_lshrrev_b32_e32 v51, 3, v53
	v_mov_b32_e32 v12, v3
	s_mov_b32 s24, exec_lo
	s_delay_alu instid0(VALU_DEP_3)
	v_mov_b32_e32 v11, v2
	v_cmpx_gt_u32_e32 8, v53
; %bb.3302:                             ;   in Loop: Header=BB356_2089 Depth=1
	v_clz_i32_u32_e32 v11, v2
	s_delay_alu instid0(VALU_DEP_1) | instskip(NEXT) | instid1(VALU_DEP_1)
	v_min_u32_e32 v51, 32, v11
	v_subrev_nc_u32_e32 v11, 28, v51
	v_sub_nc_u32_e32 v51, 29, v51
	s_delay_alu instid0(VALU_DEP_2) | instskip(NEXT) | instid1(VALU_DEP_1)
	v_lshlrev_b64 v[11:12], v11, v[2:3]
	v_and_b32_e32 v11, 7, v11
; %bb.3303:                             ;   in Loop: Header=BB356_2089 Depth=1
	s_or_b32 exec_lo, exec_lo, s24
	v_lshlrev_b32_e32 v2, 8, v14
	v_lshl_add_u32 v12, v51, 10, 0x2000
	s_delay_alu instid0(VALU_DEP_1) | instskip(NEXT) | instid1(VALU_DEP_1)
	v_and_or_b32 v2, 0x8000, v2, v12
	v_lshl_or_b32 v2, v11, 7, v2
	s_delay_alu instid0(VALU_DEP_1)
	v_cvt_f32_f16_e32 v51, v2
.LBB356_3304:                           ;   in Loop: Header=BB356_2089 Depth=1
	s_or_b32 exec_lo, exec_lo, s23
.LBB356_3305:                           ;   in Loop: Header=BB356_2089 Depth=1
	s_delay_alu instid0(SALU_CYCLE_1)
	s_or_b32 exec_lo, exec_lo, s22
.LBB356_3306:                           ;   in Loop: Header=BB356_2089 Depth=1
	s_delay_alu instid0(SALU_CYCLE_1)
	s_or_b32 exec_lo, exec_lo, s21
	s_waitcnt vmcnt(0) lgkmcnt(0)
	v_fma_mixlo_f16 v2, v5, v39, 0
	v_fma_mixlo_f16 v11, v5, v38, 0
	;; [unrolled: 1-line block ×6, first 2 shown]
	v_lshlrev_b32_e32 v37, 16, v2
	v_and_b32_e32 v39, 0xffff, v11
	v_lshlrev_b32_e32 v53, 16, v22
	v_and_b32_e32 v67, 0xffff, v38
	v_cndmask_b32_e64 v11, 0, v11, s2
	v_cndmask_b32_e64 v2, 0, v2, s4
	v_cndmask_b32_e64 v38, 0, v38, s6
	v_cndmask_b32_e64 v22, 0, v22, s7
	v_lshlrev_b32_e32 v49, 16, v12
	v_and_b32_e32 v50, 0xffff, v14
	v_fma_mixlo_f16 v51, v5, v51, 0
	v_fma_mixlo_f16 v5, v5, v13, 0
	v_cndmask_b32_e32 v14, 0, v14, vcc_lo
	v_perm_b32 v2, v2, v11, 0x5040100
	v_perm_b32 v11, v22, v38, 0x5040100
	v_mov_b32_e32 v22, 0
	v_or_b32_e32 v13, v37, v39
	v_or_b32_e32 v39, v53, v67
	v_cndmask_b32_e64 v12, 0, v12, s0
	s_mov_b32 s21, exec_lo
	s_delay_alu instid0(VALU_DEP_3) | instskip(NEXT) | instid1(VALU_DEP_3)
	v_cndmask_b32_e64 v2, v13, v2, s1
	v_cndmask_b32_e64 v11, v39, v11, s1
	v_mov_b32_e32 v39, 0
	v_or_b32_e32 v37, v49, v50
	v_lshlrev_b32_e32 v49, 16, v51
	v_and_b32_e32 v50, 0xffff, v5
	v_cndmask_b32_e64 v5, 0, v5, s3
	v_cndmask_b32_e64 v51, 0, v51, s5
	v_perm_b32 v12, v12, v14, 0x5040100
	s_delay_alu instid0(VALU_DEP_4) | instskip(NEXT) | instid1(VALU_DEP_3)
	v_or_b32_e32 v49, v49, v50
	v_perm_b32 v5, v51, v5, 0x5040100
	s_delay_alu instid0(VALU_DEP_3)
	v_cndmask_b32_e64 v12, v37, v12, s1
	;;#ASMSTART
	v_pk_mul_f16 v12, v146, v12;

	;;#ASMEND
	;;#ASMSTART
	v_pk_mul_f16 v2, v145, v2;

	;;#ASMEND
	;; [unrolled: 4-line block ×3, first 2 shown]
	v_cndmask_b32_e64 v5, v49, v5, s1
	;;#ASMSTART
	v_pk_mul_f16 v5, v149, v5;

	;;#ASMEND
	;;#ASMSTART
	v_pk_add_f16 v2, v12, v2;

	;;#ASMEND
	;;#ASMSTART
	v_pk_add_f16 v2, v2, v11;

	;;#ASMEND
	v_add_co_u32 v11, s8, v9, v101
	s_delay_alu instid0(VALU_DEP_1)
	v_add_co_ci_u32_e64 v12, s8, 0, v10, s8
	;;#ASMSTART
	v_pk_add_f16 v2, v2, v5;

	;;#ASMEND
	v_lshrrev_b32_e32 v5, 16, v2
	v_and_b32_e32 v2, 0xffff, v2
	;;#ASMSTART
	v_cvt_f32_f16 v37, v2;
	;;#ASMEND
	;;#ASMSTART
	v_cvt_f32_f16 v38, v5;
	;;#ASMEND
	flat_load_b64 v[11:12], v[11:12]
	flat_load_b32 v5, v[26:27]
	s_waitcnt vmcnt(1) lgkmcnt(1)
	v_and_b32_e32 v2, 0xff, v11
	s_delay_alu instid0(VALU_DEP_1)
	v_cmpx_ne_u16_e32 0, v2
	s_cbranch_execz .LBB356_3314
; %bb.3307:                             ;   in Loop: Header=BB356_2089 Depth=1
	v_bfrev_b32_e32 v22, 1
	s_mov_b32 s22, exec_lo
	v_cmpx_ne_u16_e32 0x80, v2
	s_cbranch_execz .LBB356_3313
; %bb.3308:                             ;   in Loop: Header=BB356_2089 Depth=1
	v_and_b32_e32 v13, 0x7f, v11
	v_mov_b32_e32 v22, 0x7fc02000
	s_mov_b32 s23, exec_lo
	s_delay_alu instid0(VALU_DEP_2)
	v_cmpx_ne_u32_e32 0x7f, v13
	s_cbranch_execz .LBB356_3312
; %bb.3309:                             ;   in Loop: Header=BB356_2089 Depth=1
	v_lshrrev_b32_e32 v2, 3, v13
	v_cmp_gt_u32_e64 s8, 8, v13
	v_dual_mov_b32 v14, v12 :: v_dual_mov_b32 v13, v11
	s_delay_alu instid0(VALU_DEP_2)
	s_and_saveexec_b32 s24, s8
; %bb.3310:                             ;   in Loop: Header=BB356_2089 Depth=1
	v_and_b32_e32 v2, 7, v11
	s_delay_alu instid0(VALU_DEP_1) | instskip(NEXT) | instid1(VALU_DEP_1)
	v_clz_i32_u32_e32 v2, v2
	v_min_u32_e32 v2, 32, v2
	s_delay_alu instid0(VALU_DEP_1) | instskip(SKIP_1) | instid1(VALU_DEP_2)
	v_subrev_nc_u32_e32 v13, 28, v2
	v_sub_nc_u32_e32 v2, 29, v2
	v_lshlrev_b64 v[13:14], v13, v[11:12]
; %bb.3311:                             ;   in Loop: Header=BB356_2089 Depth=1
	s_or_b32 exec_lo, exec_lo, s24
	v_lshlrev_b32_e32 v14, 8, v11
	s_delay_alu instid0(VALU_DEP_3) | instskip(NEXT) | instid1(VALU_DEP_3)
	v_lshl_add_u32 v2, v2, 10, 0x2000
	v_lshlrev_b32_e32 v13, 7, v13
	s_delay_alu instid0(VALU_DEP_2) | instskip(NEXT) | instid1(VALU_DEP_1)
	v_and_or_b32 v2, 0x8000, v14, v2
	v_and_or_b32 v2, 0x380, v13, v2
	s_delay_alu instid0(VALU_DEP_1)
	v_cvt_f32_f16_e32 v22, v2
.LBB356_3312:                           ;   in Loop: Header=BB356_2089 Depth=1
	s_or_b32 exec_lo, exec_lo, s23
.LBB356_3313:                           ;   in Loop: Header=BB356_2089 Depth=1
	s_delay_alu instid0(SALU_CYCLE_1)
	s_or_b32 exec_lo, exec_lo, s22
.LBB356_3314:                           ;   in Loop: Header=BB356_2089 Depth=1
	s_delay_alu instid0(SALU_CYCLE_1) | instskip(SKIP_2) | instid1(VALU_DEP_1)
	s_or_b32 exec_lo, exec_lo, s21
	v_lshrrev_b16 v2, 8, v11
	s_mov_b32 s21, exec_lo
	v_cmpx_ne_u16_e32 0, v2
	s_cbranch_execz .LBB356_3322
; %bb.3315:                             ;   in Loop: Header=BB356_2089 Depth=1
	v_bfrev_b32_e32 v39, 1
	s_mov_b32 s22, exec_lo
	v_cmpx_ne_u16_e32 0x80, v2
	s_cbranch_execz .LBB356_3321
; %bb.3316:                             ;   in Loop: Header=BB356_2089 Depth=1
	v_and_b32_e32 v49, 0xffff, v2
	v_mov_b32_e32 v39, 0x7fc02000
	s_mov_b32 s23, exec_lo
	s_delay_alu instid0(VALU_DEP_2) | instskip(NEXT) | instid1(VALU_DEP_1)
	v_and_b32_e32 v50, 0x7f, v49
	v_cmpx_ne_u32_e32 0x7f, v50
	s_cbranch_execz .LBB356_3320
; %bb.3317:                             ;   in Loop: Header=BB356_2089 Depth=1
	v_and_b32_e32 v2, 7, v49
	v_lshrrev_b32_e32 v39, 3, v50
	v_mov_b32_e32 v14, v3
	s_mov_b32 s24, exec_lo
	s_delay_alu instid0(VALU_DEP_3)
	v_mov_b32_e32 v13, v2
	v_cmpx_gt_u32_e32 8, v50
; %bb.3318:                             ;   in Loop: Header=BB356_2089 Depth=1
	v_clz_i32_u32_e32 v13, v2
	s_delay_alu instid0(VALU_DEP_1) | instskip(NEXT) | instid1(VALU_DEP_1)
	v_min_u32_e32 v39, 32, v13
	v_subrev_nc_u32_e32 v13, 28, v39
	v_sub_nc_u32_e32 v39, 29, v39
	s_delay_alu instid0(VALU_DEP_2) | instskip(NEXT) | instid1(VALU_DEP_1)
	v_lshlrev_b64 v[13:14], v13, v[2:3]
	v_and_b32_e32 v13, 7, v13
; %bb.3319:                             ;   in Loop: Header=BB356_2089 Depth=1
	s_or_b32 exec_lo, exec_lo, s24
	v_lshlrev_b32_e32 v2, 8, v49
	v_lshl_add_u32 v14, v39, 10, 0x2000
	s_delay_alu instid0(VALU_DEP_1) | instskip(NEXT) | instid1(VALU_DEP_1)
	v_and_or_b32 v2, 0x8000, v2, v14
	v_lshl_or_b32 v2, v13, 7, v2
	s_delay_alu instid0(VALU_DEP_1)
	v_cvt_f32_f16_e32 v39, v2
.LBB356_3320:                           ;   in Loop: Header=BB356_2089 Depth=1
	s_or_b32 exec_lo, exec_lo, s23
.LBB356_3321:                           ;   in Loop: Header=BB356_2089 Depth=1
	s_delay_alu instid0(SALU_CYCLE_1)
	s_or_b32 exec_lo, exec_lo, s22
.LBB356_3322:                           ;   in Loop: Header=BB356_2089 Depth=1
	s_delay_alu instid0(SALU_CYCLE_1) | instskip(SKIP_3) | instid1(VALU_DEP_2)
	s_or_b32 exec_lo, exec_lo, s21
	v_lshrrev_b32_e32 v51, 16, v11
	v_mov_b32_e32 v50, 0
	s_mov_b32 s21, exec_lo
	v_dual_mov_b32 v49, 0 :: v_dual_and_b32 v2, 0xff, v51
	s_delay_alu instid0(VALU_DEP_1)
	v_cmpx_ne_u16_e32 0, v2
	s_cbranch_execz .LBB356_3330
; %bb.3323:                             ;   in Loop: Header=BB356_2089 Depth=1
	v_bfrev_b32_e32 v49, 1
	s_mov_b32 s22, exec_lo
	v_cmpx_ne_u16_e32 0x80, v2
	s_cbranch_execz .LBB356_3329
; %bb.3324:                             ;   in Loop: Header=BB356_2089 Depth=1
	v_bfe_u32 v53, v11, 16, 7
	v_mov_b32_e32 v49, 0x7fc02000
	s_mov_b32 s23, exec_lo
	s_delay_alu instid0(VALU_DEP_2)
	v_cmpx_ne_u32_e32 0x7f, v53
	s_cbranch_execz .LBB356_3328
; %bb.3325:                             ;   in Loop: Header=BB356_2089 Depth=1
	v_and_b32_e32 v2, 7, v51
	v_lshrrev_b32_e32 v49, 3, v53
	v_mov_b32_e32 v14, v3
	s_mov_b32 s24, exec_lo
	s_delay_alu instid0(VALU_DEP_3)
	v_mov_b32_e32 v13, v2
	v_cmpx_gt_u32_e32 8, v53
; %bb.3326:                             ;   in Loop: Header=BB356_2089 Depth=1
	v_clz_i32_u32_e32 v13, v2
	s_delay_alu instid0(VALU_DEP_1) | instskip(NEXT) | instid1(VALU_DEP_1)
	v_min_u32_e32 v49, 32, v13
	v_subrev_nc_u32_e32 v13, 28, v49
	v_sub_nc_u32_e32 v49, 29, v49
	s_delay_alu instid0(VALU_DEP_2) | instskip(NEXT) | instid1(VALU_DEP_1)
	v_lshlrev_b64 v[13:14], v13, v[2:3]
	v_and_b32_e32 v13, 7, v13
; %bb.3327:                             ;   in Loop: Header=BB356_2089 Depth=1
	s_or_b32 exec_lo, exec_lo, s24
	v_lshlrev_b32_e32 v2, 8, v51
	v_lshl_add_u32 v14, v49, 10, 0x2000
	s_delay_alu instid0(VALU_DEP_1) | instskip(NEXT) | instid1(VALU_DEP_1)
	v_and_or_b32 v2, 0x8000, v2, v14
	v_lshl_or_b32 v2, v13, 7, v2
	s_delay_alu instid0(VALU_DEP_1)
	v_cvt_f32_f16_e32 v49, v2
.LBB356_3328:                           ;   in Loop: Header=BB356_2089 Depth=1
	s_or_b32 exec_lo, exec_lo, s23
.LBB356_3329:                           ;   in Loop: Header=BB356_2089 Depth=1
	s_delay_alu instid0(SALU_CYCLE_1)
	s_or_b32 exec_lo, exec_lo, s22
.LBB356_3330:                           ;   in Loop: Header=BB356_2089 Depth=1
	s_delay_alu instid0(SALU_CYCLE_1) | instskip(NEXT) | instid1(SALU_CYCLE_1)
	s_or_b32 exec_lo, exec_lo, s21
	s_mov_b32 s21, exec_lo
	v_cmpx_lt_u32_e32 0xffffff, v11
	s_cbranch_execz .LBB356_3338
; %bb.3331:                             ;   in Loop: Header=BB356_2089 Depth=1
	v_lshrrev_b32_e32 v51, 24, v11
	v_bfrev_b32_e32 v50, 1
	s_mov_b32 s22, exec_lo
	s_delay_alu instid0(VALU_DEP_2)
	v_cmpx_ne_u32_e32 0x80, v51
	s_cbranch_execz .LBB356_3337
; %bb.3332:                             ;   in Loop: Header=BB356_2089 Depth=1
	v_and_b32_e32 v53, 0x7f, v51
	v_mov_b32_e32 v50, 0x7fc02000
	s_mov_b32 s23, exec_lo
	s_delay_alu instid0(VALU_DEP_2)
	v_cmpx_ne_u32_e32 0x7f, v53
	s_cbranch_execz .LBB356_3336
; %bb.3333:                             ;   in Loop: Header=BB356_2089 Depth=1
	v_and_b32_e32 v2, 7, v51
	v_lshrrev_b32_e32 v50, 3, v53
	v_mov_b32_e32 v14, v3
	s_mov_b32 s24, exec_lo
	s_delay_alu instid0(VALU_DEP_3)
	v_mov_b32_e32 v13, v2
	v_cmpx_gt_u32_e32 8, v53
; %bb.3334:                             ;   in Loop: Header=BB356_2089 Depth=1
	v_clz_i32_u32_e32 v13, v2
	s_delay_alu instid0(VALU_DEP_1) | instskip(NEXT) | instid1(VALU_DEP_1)
	v_min_u32_e32 v50, 32, v13
	v_subrev_nc_u32_e32 v13, 28, v50
	v_sub_nc_u32_e32 v50, 29, v50
	s_delay_alu instid0(VALU_DEP_2) | instskip(NEXT) | instid1(VALU_DEP_1)
	v_lshlrev_b64 v[13:14], v13, v[2:3]
	v_and_b32_e32 v13, 7, v13
; %bb.3335:                             ;   in Loop: Header=BB356_2089 Depth=1
	s_or_b32 exec_lo, exec_lo, s24
	v_lshlrev_b32_e32 v2, 8, v51
	v_lshl_add_u32 v14, v50, 10, 0x2000
	s_delay_alu instid0(VALU_DEP_1) | instskip(NEXT) | instid1(VALU_DEP_1)
	v_and_or_b32 v2, 0x8000, v2, v14
	v_lshl_or_b32 v2, v13, 7, v2
	s_delay_alu instid0(VALU_DEP_1)
	v_cvt_f32_f16_e32 v50, v2
.LBB356_3336:                           ;   in Loop: Header=BB356_2089 Depth=1
	s_or_b32 exec_lo, exec_lo, s23
.LBB356_3337:                           ;   in Loop: Header=BB356_2089 Depth=1
	s_delay_alu instid0(SALU_CYCLE_1)
	s_or_b32 exec_lo, exec_lo, s22
.LBB356_3338:                           ;   in Loop: Header=BB356_2089 Depth=1
	s_delay_alu instid0(SALU_CYCLE_1) | instskip(SKIP_4) | instid1(VALU_DEP_3)
	s_or_b32 exec_lo, exec_lo, s21
	v_dual_mov_b32 v2, v12 :: v_dual_and_b32 v13, 0xff, v12
	v_mov_b32_e32 v53, 0
	v_mov_b32_e32 v51, 0
	s_mov_b32 s21, exec_lo
	v_cmpx_ne_u16_e32 0, v13
	s_cbranch_execz .LBB356_3346
; %bb.3339:                             ;   in Loop: Header=BB356_2089 Depth=1
	v_bfrev_b32_e32 v51, 1
	s_mov_b32 s22, exec_lo
	v_cmpx_ne_u16_e32 0x80, v13
	s_cbranch_execz .LBB356_3345
; %bb.3340:                             ;   in Loop: Header=BB356_2089 Depth=1
	v_and_b32_e32 v67, 0x7f, v12
	v_mov_b32_e32 v51, 0x7fc02000
	s_mov_b32 s23, exec_lo
	s_delay_alu instid0(VALU_DEP_2)
	v_cmpx_ne_u32_e32 0x7f, v67
	s_cbranch_execz .LBB356_3344
; %bb.3341:                             ;   in Loop: Header=BB356_2089 Depth=1
	v_dual_mov_b32 v14, v3 :: v_dual_mov_b32 v13, v2
	v_lshrrev_b32_e32 v14, 3, v67
	s_mov_b32 s24, exec_lo
	v_cmpx_gt_u32_e32 8, v67
; %bb.3342:                             ;   in Loop: Header=BB356_2089 Depth=1
	v_and_b32_e32 v13, 7, v12
	s_delay_alu instid0(VALU_DEP_1) | instskip(NEXT) | instid1(VALU_DEP_1)
	v_clz_i32_u32_e32 v13, v13
	v_min_u32_e32 v51, 32, v13
	s_delay_alu instid0(VALU_DEP_1) | instskip(NEXT) | instid1(VALU_DEP_1)
	v_subrev_nc_u32_e32 v13, 28, v51
	v_lshlrev_b64 v[13:14], v13, v[2:3]
	v_sub_nc_u32_e32 v14, 29, v51
; %bb.3343:                             ;   in Loop: Header=BB356_2089 Depth=1
	s_or_b32 exec_lo, exec_lo, s24
	v_lshlrev_b32_e32 v51, 8, v12
	s_delay_alu instid0(VALU_DEP_2) | instskip(NEXT) | instid1(VALU_DEP_4)
	v_lshl_add_u32 v14, v14, 10, 0x2000
	v_lshlrev_b32_e32 v13, 7, v13
	s_delay_alu instid0(VALU_DEP_2) | instskip(NEXT) | instid1(VALU_DEP_1)
	v_and_or_b32 v14, 0x8000, v51, v14
	v_and_or_b32 v13, 0x380, v13, v14
	s_delay_alu instid0(VALU_DEP_1)
	v_cvt_f32_f16_e32 v51, v13
.LBB356_3344:                           ;   in Loop: Header=BB356_2089 Depth=1
	s_or_b32 exec_lo, exec_lo, s23
.LBB356_3345:                           ;   in Loop: Header=BB356_2089 Depth=1
	s_delay_alu instid0(SALU_CYCLE_1)
	s_or_b32 exec_lo, exec_lo, s22
.LBB356_3346:                           ;   in Loop: Header=BB356_2089 Depth=1
	s_delay_alu instid0(SALU_CYCLE_1) | instskip(SKIP_2) | instid1(VALU_DEP_1)
	s_or_b32 exec_lo, exec_lo, s21
	v_lshrrev_b16 v2, 8, v2
	s_mov_b32 s21, exec_lo
	v_cmpx_ne_u16_e32 0, v2
	s_cbranch_execz .LBB356_3354
; %bb.3347:                             ;   in Loop: Header=BB356_2089 Depth=1
	v_bfrev_b32_e32 v53, 1
	s_mov_b32 s22, exec_lo
	v_cmpx_ne_u16_e32 0x80, v2
	s_cbranch_execz .LBB356_3353
; %bb.3348:                             ;   in Loop: Header=BB356_2089 Depth=1
	v_and_b32_e32 v67, 0xffff, v2
	v_mov_b32_e32 v53, 0x7fc02000
	s_mov_b32 s23, exec_lo
	s_delay_alu instid0(VALU_DEP_2) | instskip(NEXT) | instid1(VALU_DEP_1)
	v_and_b32_e32 v102, 0x7f, v67
	v_cmpx_ne_u32_e32 0x7f, v102
	s_cbranch_execz .LBB356_3352
; %bb.3349:                             ;   in Loop: Header=BB356_2089 Depth=1
	v_and_b32_e32 v2, 7, v67
	v_lshrrev_b32_e32 v53, 3, v102
	v_mov_b32_e32 v14, v3
	s_mov_b32 s24, exec_lo
	s_delay_alu instid0(VALU_DEP_3)
	v_mov_b32_e32 v13, v2
	v_cmpx_gt_u32_e32 8, v102
; %bb.3350:                             ;   in Loop: Header=BB356_2089 Depth=1
	v_clz_i32_u32_e32 v13, v2
	s_delay_alu instid0(VALU_DEP_1) | instskip(NEXT) | instid1(VALU_DEP_1)
	v_min_u32_e32 v53, 32, v13
	v_subrev_nc_u32_e32 v13, 28, v53
	v_sub_nc_u32_e32 v53, 29, v53
	s_delay_alu instid0(VALU_DEP_2) | instskip(NEXT) | instid1(VALU_DEP_1)
	v_lshlrev_b64 v[13:14], v13, v[2:3]
	v_and_b32_e32 v13, 7, v13
; %bb.3351:                             ;   in Loop: Header=BB356_2089 Depth=1
	s_or_b32 exec_lo, exec_lo, s24
	v_lshlrev_b32_e32 v2, 8, v67
	v_lshl_add_u32 v14, v53, 10, 0x2000
	s_delay_alu instid0(VALU_DEP_1) | instskip(NEXT) | instid1(VALU_DEP_1)
	v_and_or_b32 v2, 0x8000, v2, v14
	v_lshl_or_b32 v2, v13, 7, v2
	s_delay_alu instid0(VALU_DEP_1)
	v_cvt_f32_f16_e32 v53, v2
.LBB356_3352:                           ;   in Loop: Header=BB356_2089 Depth=1
	s_or_b32 exec_lo, exec_lo, s23
.LBB356_3353:                           ;   in Loop: Header=BB356_2089 Depth=1
	s_delay_alu instid0(SALU_CYCLE_1)
	s_or_b32 exec_lo, exec_lo, s22
.LBB356_3354:                           ;   in Loop: Header=BB356_2089 Depth=1
	s_delay_alu instid0(SALU_CYCLE_1) | instskip(SKIP_3) | instid1(VALU_DEP_2)
	s_or_b32 exec_lo, exec_lo, s21
	v_lshrrev_b32_e32 v102, 16, v12
	v_mov_b32_e32 v13, 0
	s_mov_b32 s21, exec_lo
	v_dual_mov_b32 v67, 0 :: v_dual_and_b32 v2, 0xff, v102
	s_delay_alu instid0(VALU_DEP_1)
	v_cmpx_ne_u16_e32 0, v2
	s_cbranch_execz .LBB356_3362
; %bb.3355:                             ;   in Loop: Header=BB356_2089 Depth=1
	v_bfrev_b32_e32 v13, 1
	s_mov_b32 s22, exec_lo
	v_cmpx_ne_u16_e32 0x80, v2
	s_cbranch_execz .LBB356_3361
; %bb.3356:                             ;   in Loop: Header=BB356_2089 Depth=1
	v_bfe_u32 v147, v12, 16, 7
	v_mov_b32_e32 v13, 0x7fc02000
	s_mov_b32 s23, exec_lo
	s_delay_alu instid0(VALU_DEP_2)
	v_cmpx_ne_u32_e32 0x7f, v147
	s_cbranch_execz .LBB356_3360
; %bb.3357:                             ;   in Loop: Header=BB356_2089 Depth=1
	v_and_b32_e32 v2, 7, v102
	v_lshrrev_b32_e32 v119, 3, v147
	v_mov_b32_e32 v14, v3
	s_mov_b32 s24, exec_lo
	s_delay_alu instid0(VALU_DEP_3)
	v_mov_b32_e32 v13, v2
	v_cmpx_gt_u32_e32 8, v147
; %bb.3358:                             ;   in Loop: Header=BB356_2089 Depth=1
	v_clz_i32_u32_e32 v13, v2
	s_delay_alu instid0(VALU_DEP_1) | instskip(NEXT) | instid1(VALU_DEP_1)
	v_min_u32_e32 v119, 32, v13
	v_subrev_nc_u32_e32 v13, 28, v119
	v_sub_nc_u32_e32 v119, 29, v119
	s_delay_alu instid0(VALU_DEP_2) | instskip(NEXT) | instid1(VALU_DEP_1)
	v_lshlrev_b64 v[13:14], v13, v[2:3]
	v_and_b32_e32 v13, 7, v13
; %bb.3359:                             ;   in Loop: Header=BB356_2089 Depth=1
	s_or_b32 exec_lo, exec_lo, s24
	v_lshlrev_b32_e32 v2, 8, v102
	v_lshl_add_u32 v14, v119, 10, 0x2000
	s_delay_alu instid0(VALU_DEP_1) | instskip(NEXT) | instid1(VALU_DEP_1)
	v_and_or_b32 v2, 0x8000, v2, v14
	v_lshl_or_b32 v2, v13, 7, v2
	s_delay_alu instid0(VALU_DEP_1)
	v_cvt_f32_f16_e32 v13, v2
.LBB356_3360:                           ;   in Loop: Header=BB356_2089 Depth=1
	s_or_b32 exec_lo, exec_lo, s23
.LBB356_3361:                           ;   in Loop: Header=BB356_2089 Depth=1
	s_delay_alu instid0(SALU_CYCLE_1)
	s_or_b32 exec_lo, exec_lo, s22
.LBB356_3362:                           ;   in Loop: Header=BB356_2089 Depth=1
	s_delay_alu instid0(SALU_CYCLE_1) | instskip(NEXT) | instid1(SALU_CYCLE_1)
	s_or_b32 exec_lo, exec_lo, s21
	s_mov_b32 s21, exec_lo
	v_cmpx_lt_u64_e64 s[18:19], v[11:12]
	s_cbranch_execz .LBB356_3370
; %bb.3363:                             ;   in Loop: Header=BB356_2089 Depth=1
	v_lshrrev_b32_e32 v14, 24, v12
	v_bfrev_b32_e32 v67, 1
	s_mov_b32 s22, exec_lo
	s_delay_alu instid0(VALU_DEP_2)
	v_cmpx_ne_u32_e32 0x80, v14
	s_cbranch_execz .LBB356_3369
; %bb.3364:                             ;   in Loop: Header=BB356_2089 Depth=1
	v_and_b32_e32 v102, 0x7f, v14
	v_mov_b32_e32 v67, 0x7fc02000
	s_mov_b32 s23, exec_lo
	s_delay_alu instid0(VALU_DEP_2)
	v_cmpx_ne_u32_e32 0x7f, v102
	s_cbranch_execz .LBB356_3368
; %bb.3365:                             ;   in Loop: Header=BB356_2089 Depth=1
	v_and_b32_e32 v2, 7, v14
	v_lshrrev_b32_e32 v67, 3, v102
	v_mov_b32_e32 v12, v3
	s_mov_b32 s24, exec_lo
	s_delay_alu instid0(VALU_DEP_3)
	v_mov_b32_e32 v11, v2
	v_cmpx_gt_u32_e32 8, v102
; %bb.3366:                             ;   in Loop: Header=BB356_2089 Depth=1
	v_clz_i32_u32_e32 v11, v2
	s_delay_alu instid0(VALU_DEP_1) | instskip(NEXT) | instid1(VALU_DEP_1)
	v_min_u32_e32 v67, 32, v11
	v_subrev_nc_u32_e32 v11, 28, v67
	v_sub_nc_u32_e32 v67, 29, v67
	s_delay_alu instid0(VALU_DEP_2) | instskip(NEXT) | instid1(VALU_DEP_1)
	v_lshlrev_b64 v[11:12], v11, v[2:3]
	v_and_b32_e32 v11, 7, v11
; %bb.3367:                             ;   in Loop: Header=BB356_2089 Depth=1
	s_or_b32 exec_lo, exec_lo, s24
	v_lshlrev_b32_e32 v2, 8, v14
	v_lshl_add_u32 v12, v67, 10, 0x2000
	s_delay_alu instid0(VALU_DEP_1) | instskip(NEXT) | instid1(VALU_DEP_1)
	v_and_or_b32 v2, 0x8000, v2, v12
	v_lshl_or_b32 v2, v11, 7, v2
	s_delay_alu instid0(VALU_DEP_1)
	v_cvt_f32_f16_e32 v67, v2
.LBB356_3368:                           ;   in Loop: Header=BB356_2089 Depth=1
	s_or_b32 exec_lo, exec_lo, s23
.LBB356_3369:                           ;   in Loop: Header=BB356_2089 Depth=1
	s_delay_alu instid0(SALU_CYCLE_1)
	s_or_b32 exec_lo, exec_lo, s22
.LBB356_3370:                           ;   in Loop: Header=BB356_2089 Depth=1
	s_delay_alu instid0(SALU_CYCLE_1)
	s_or_b32 exec_lo, exec_lo, s21
	s_waitcnt vmcnt(0) lgkmcnt(0)
	v_fma_mixlo_f16 v2, v5, v50, 0
	v_fma_mixlo_f16 v11, v5, v49, 0
	;; [unrolled: 1-line block ×6, first 2 shown]
	v_lshlrev_b32_e32 v39, 16, v2
	v_and_b32_e32 v50, 0xffff, v11
	v_lshlrev_b32_e32 v51, 16, v12
	v_and_b32_e32 v53, 0xffff, v14
	v_cndmask_b32_e32 v14, 0, v14, vcc_lo
	v_lshlrev_b32_e32 v102, 16, v22
	v_and_b32_e32 v119, 0xffff, v49
	v_fma_mixlo_f16 v67, v5, v67, 0
	v_fma_mixlo_f16 v5, v5, v13, 0
	v_cndmask_b32_e64 v11, 0, v11, s2
	v_cndmask_b32_e64 v2, 0, v2, s4
	;; [unrolled: 1-line block ×5, first 2 shown]
	s_mov_b32 s21, exec_lo
	v_perm_b32 v2, v2, v11, 0x5040100
	s_delay_alu instid0(VALU_DEP_3)
	v_perm_b32 v11, v22, v49, 0x5040100
	v_dual_mov_b32 v49, 0 :: v_dual_mov_b32 v22, 0
	v_or_b32_e32 v13, v39, v50
	v_or_b32_e32 v39, v51, v53
	v_lshlrev_b32_e32 v51, 16, v67
	v_and_b32_e32 v53, 0xffff, v5
	v_cndmask_b32_e64 v5, 0, v5, s3
	v_cndmask_b32_e64 v67, 0, v67, s5
	v_perm_b32 v12, v12, v14, 0x5040100
	v_or_b32_e32 v50, v102, v119
	v_or_b32_e32 v51, v51, v53
	v_cndmask_b32_e64 v2, v13, v2, s1
	v_perm_b32 v5, v67, v5, 0x5040100
	v_cndmask_b32_e64 v12, v39, v12, s1
	v_cndmask_b32_e64 v11, v50, v11, s1
	;;#ASMSTART
	v_pk_mul_f16 v12, v146, v12;

	;;#ASMEND
	;;#ASMSTART
	v_pk_mul_f16 v2, v145, v2;

	;;#ASMEND
	v_cndmask_b32_e64 v5, v51, v5, s1
	;;#ASMSTART
	v_pk_mul_f16 v11, v144, v11;

	;;#ASMEND
	;;#ASMSTART
	v_pk_mul_f16 v5, v149, v5;

	;;#ASMEND
	;;#ASMSTART
	v_pk_add_f16 v2, v12, v2;

	;;#ASMEND
	;;#ASMSTART
	v_pk_add_f16 v2, v2, v11;

	;;#ASMEND
	v_add_co_u32 v11, s8, v9, v112
	s_delay_alu instid0(VALU_DEP_1)
	v_add_co_ci_u32_e64 v12, s8, 0, v10, s8
	;;#ASMSTART
	v_pk_add_f16 v2, v2, v5;

	;;#ASMEND
	v_lshrrev_b32_e32 v5, 16, v2
	v_and_b32_e32 v2, 0xffff, v2
	;;#ASMSTART
	v_cvt_f32_f16 v39, v2;
	;;#ASMEND
	;;#ASMSTART
	v_cvt_f32_f16 v60, v5;
	;;#ASMEND
	flat_load_b64 v[11:12], v[11:12]
	flat_load_b32 v5, v[26:27]
	s_waitcnt vmcnt(1) lgkmcnt(1)
	v_and_b32_e32 v2, 0xff, v11
	s_delay_alu instid0(VALU_DEP_1)
	v_cmpx_ne_u16_e32 0, v2
	s_cbranch_execz .LBB356_3378
; %bb.3371:                             ;   in Loop: Header=BB356_2089 Depth=1
	v_bfrev_b32_e32 v22, 1
	s_mov_b32 s22, exec_lo
	v_cmpx_ne_u16_e32 0x80, v2
	s_cbranch_execz .LBB356_3377
; %bb.3372:                             ;   in Loop: Header=BB356_2089 Depth=1
	v_and_b32_e32 v13, 0x7f, v11
	v_mov_b32_e32 v22, 0x7fc02000
	s_mov_b32 s23, exec_lo
	s_delay_alu instid0(VALU_DEP_2)
	v_cmpx_ne_u32_e32 0x7f, v13
	s_cbranch_execz .LBB356_3376
; %bb.3373:                             ;   in Loop: Header=BB356_2089 Depth=1
	v_lshrrev_b32_e32 v2, 3, v13
	v_cmp_gt_u32_e64 s8, 8, v13
	v_dual_mov_b32 v14, v12 :: v_dual_mov_b32 v13, v11
	s_delay_alu instid0(VALU_DEP_2)
	s_and_saveexec_b32 s24, s8
; %bb.3374:                             ;   in Loop: Header=BB356_2089 Depth=1
	v_and_b32_e32 v2, 7, v11
	s_delay_alu instid0(VALU_DEP_1) | instskip(NEXT) | instid1(VALU_DEP_1)
	v_clz_i32_u32_e32 v2, v2
	v_min_u32_e32 v2, 32, v2
	s_delay_alu instid0(VALU_DEP_1) | instskip(SKIP_1) | instid1(VALU_DEP_2)
	v_subrev_nc_u32_e32 v13, 28, v2
	v_sub_nc_u32_e32 v2, 29, v2
	v_lshlrev_b64 v[13:14], v13, v[11:12]
; %bb.3375:                             ;   in Loop: Header=BB356_2089 Depth=1
	s_or_b32 exec_lo, exec_lo, s24
	v_lshlrev_b32_e32 v14, 8, v11
	s_delay_alu instid0(VALU_DEP_3) | instskip(NEXT) | instid1(VALU_DEP_3)
	v_lshl_add_u32 v2, v2, 10, 0x2000
	v_lshlrev_b32_e32 v13, 7, v13
	s_delay_alu instid0(VALU_DEP_2) | instskip(NEXT) | instid1(VALU_DEP_1)
	v_and_or_b32 v2, 0x8000, v14, v2
	v_and_or_b32 v2, 0x380, v13, v2
	s_delay_alu instid0(VALU_DEP_1)
	v_cvt_f32_f16_e32 v22, v2
.LBB356_3376:                           ;   in Loop: Header=BB356_2089 Depth=1
	s_or_b32 exec_lo, exec_lo, s23
.LBB356_3377:                           ;   in Loop: Header=BB356_2089 Depth=1
	s_delay_alu instid0(SALU_CYCLE_1)
	s_or_b32 exec_lo, exec_lo, s22
.LBB356_3378:                           ;   in Loop: Header=BB356_2089 Depth=1
	s_delay_alu instid0(SALU_CYCLE_1) | instskip(SKIP_2) | instid1(VALU_DEP_1)
	s_or_b32 exec_lo, exec_lo, s21
	v_lshrrev_b16 v2, 8, v11
	s_mov_b32 s21, exec_lo
	v_cmpx_ne_u16_e32 0, v2
	s_cbranch_execz .LBB356_3386
; %bb.3379:                             ;   in Loop: Header=BB356_2089 Depth=1
	v_bfrev_b32_e32 v49, 1
	s_mov_b32 s22, exec_lo
	v_cmpx_ne_u16_e32 0x80, v2
	s_cbranch_execz .LBB356_3385
; %bb.3380:                             ;   in Loop: Header=BB356_2089 Depth=1
	v_and_b32_e32 v50, 0xffff, v2
	v_mov_b32_e32 v49, 0x7fc02000
	s_mov_b32 s23, exec_lo
	s_delay_alu instid0(VALU_DEP_2) | instskip(NEXT) | instid1(VALU_DEP_1)
	v_and_b32_e32 v51, 0x7f, v50
	v_cmpx_ne_u32_e32 0x7f, v51
	s_cbranch_execz .LBB356_3384
; %bb.3381:                             ;   in Loop: Header=BB356_2089 Depth=1
	v_and_b32_e32 v2, 7, v50
	v_lshrrev_b32_e32 v49, 3, v51
	v_mov_b32_e32 v14, v3
	s_mov_b32 s24, exec_lo
	s_delay_alu instid0(VALU_DEP_3)
	v_mov_b32_e32 v13, v2
	v_cmpx_gt_u32_e32 8, v51
; %bb.3382:                             ;   in Loop: Header=BB356_2089 Depth=1
	v_clz_i32_u32_e32 v13, v2
	s_delay_alu instid0(VALU_DEP_1) | instskip(NEXT) | instid1(VALU_DEP_1)
	v_min_u32_e32 v49, 32, v13
	v_subrev_nc_u32_e32 v13, 28, v49
	v_sub_nc_u32_e32 v49, 29, v49
	s_delay_alu instid0(VALU_DEP_2) | instskip(NEXT) | instid1(VALU_DEP_1)
	v_lshlrev_b64 v[13:14], v13, v[2:3]
	v_and_b32_e32 v13, 7, v13
; %bb.3383:                             ;   in Loop: Header=BB356_2089 Depth=1
	s_or_b32 exec_lo, exec_lo, s24
	v_lshlrev_b32_e32 v2, 8, v50
	v_lshl_add_u32 v14, v49, 10, 0x2000
	s_delay_alu instid0(VALU_DEP_1) | instskip(NEXT) | instid1(VALU_DEP_1)
	v_and_or_b32 v2, 0x8000, v2, v14
	v_lshl_or_b32 v2, v13, 7, v2
	s_delay_alu instid0(VALU_DEP_1)
	v_cvt_f32_f16_e32 v49, v2
.LBB356_3384:                           ;   in Loop: Header=BB356_2089 Depth=1
	s_or_b32 exec_lo, exec_lo, s23
.LBB356_3385:                           ;   in Loop: Header=BB356_2089 Depth=1
	s_delay_alu instid0(SALU_CYCLE_1)
	s_or_b32 exec_lo, exec_lo, s22
.LBB356_3386:                           ;   in Loop: Header=BB356_2089 Depth=1
	s_delay_alu instid0(SALU_CYCLE_1) | instskip(SKIP_3) | instid1(VALU_DEP_2)
	s_or_b32 exec_lo, exec_lo, s21
	v_lshrrev_b32_e32 v53, 16, v11
	v_mov_b32_e32 v50, 0
	s_mov_b32 s21, exec_lo
	v_dual_mov_b32 v51, 0 :: v_dual_and_b32 v2, 0xff, v53
	s_delay_alu instid0(VALU_DEP_1)
	v_cmpx_ne_u16_e32 0, v2
	s_cbranch_execz .LBB356_3394
; %bb.3387:                             ;   in Loop: Header=BB356_2089 Depth=1
	v_bfrev_b32_e32 v50, 1
	s_mov_b32 s22, exec_lo
	v_cmpx_ne_u16_e32 0x80, v2
	s_cbranch_execz .LBB356_3393
; %bb.3388:                             ;   in Loop: Header=BB356_2089 Depth=1
	v_bfe_u32 v67, v11, 16, 7
	v_mov_b32_e32 v50, 0x7fc02000
	s_mov_b32 s23, exec_lo
	s_delay_alu instid0(VALU_DEP_2)
	v_cmpx_ne_u32_e32 0x7f, v67
	s_cbranch_execz .LBB356_3392
; %bb.3389:                             ;   in Loop: Header=BB356_2089 Depth=1
	v_and_b32_e32 v2, 7, v53
	v_lshrrev_b32_e32 v50, 3, v67
	v_mov_b32_e32 v14, v3
	s_mov_b32 s24, exec_lo
	s_delay_alu instid0(VALU_DEP_3)
	v_mov_b32_e32 v13, v2
	v_cmpx_gt_u32_e32 8, v67
; %bb.3390:                             ;   in Loop: Header=BB356_2089 Depth=1
	v_clz_i32_u32_e32 v13, v2
	s_delay_alu instid0(VALU_DEP_1) | instskip(NEXT) | instid1(VALU_DEP_1)
	v_min_u32_e32 v50, 32, v13
	v_subrev_nc_u32_e32 v13, 28, v50
	v_sub_nc_u32_e32 v50, 29, v50
	s_delay_alu instid0(VALU_DEP_2) | instskip(NEXT) | instid1(VALU_DEP_1)
	v_lshlrev_b64 v[13:14], v13, v[2:3]
	v_and_b32_e32 v13, 7, v13
; %bb.3391:                             ;   in Loop: Header=BB356_2089 Depth=1
	s_or_b32 exec_lo, exec_lo, s24
	v_lshlrev_b32_e32 v2, 8, v53
	v_lshl_add_u32 v14, v50, 10, 0x2000
	s_delay_alu instid0(VALU_DEP_1) | instskip(NEXT) | instid1(VALU_DEP_1)
	v_and_or_b32 v2, 0x8000, v2, v14
	v_lshl_or_b32 v2, v13, 7, v2
	s_delay_alu instid0(VALU_DEP_1)
	v_cvt_f32_f16_e32 v50, v2
.LBB356_3392:                           ;   in Loop: Header=BB356_2089 Depth=1
	s_or_b32 exec_lo, exec_lo, s23
.LBB356_3393:                           ;   in Loop: Header=BB356_2089 Depth=1
	s_delay_alu instid0(SALU_CYCLE_1)
	s_or_b32 exec_lo, exec_lo, s22
.LBB356_3394:                           ;   in Loop: Header=BB356_2089 Depth=1
	s_delay_alu instid0(SALU_CYCLE_1) | instskip(NEXT) | instid1(SALU_CYCLE_1)
	s_or_b32 exec_lo, exec_lo, s21
	s_mov_b32 s21, exec_lo
	v_cmpx_lt_u32_e32 0xffffff, v11
	s_cbranch_execz .LBB356_3402
; %bb.3395:                             ;   in Loop: Header=BB356_2089 Depth=1
	v_lshrrev_b32_e32 v53, 24, v11
	v_bfrev_b32_e32 v51, 1
	s_mov_b32 s22, exec_lo
	s_delay_alu instid0(VALU_DEP_2)
	v_cmpx_ne_u32_e32 0x80, v53
	s_cbranch_execz .LBB356_3401
; %bb.3396:                             ;   in Loop: Header=BB356_2089 Depth=1
	v_and_b32_e32 v67, 0x7f, v53
	v_mov_b32_e32 v51, 0x7fc02000
	s_mov_b32 s23, exec_lo
	s_delay_alu instid0(VALU_DEP_2)
	v_cmpx_ne_u32_e32 0x7f, v67
	s_cbranch_execz .LBB356_3400
; %bb.3397:                             ;   in Loop: Header=BB356_2089 Depth=1
	v_and_b32_e32 v2, 7, v53
	v_lshrrev_b32_e32 v51, 3, v67
	v_mov_b32_e32 v14, v3
	s_mov_b32 s24, exec_lo
	s_delay_alu instid0(VALU_DEP_3)
	v_mov_b32_e32 v13, v2
	v_cmpx_gt_u32_e32 8, v67
; %bb.3398:                             ;   in Loop: Header=BB356_2089 Depth=1
	v_clz_i32_u32_e32 v13, v2
	s_delay_alu instid0(VALU_DEP_1) | instskip(NEXT) | instid1(VALU_DEP_1)
	v_min_u32_e32 v51, 32, v13
	v_subrev_nc_u32_e32 v13, 28, v51
	v_sub_nc_u32_e32 v51, 29, v51
	s_delay_alu instid0(VALU_DEP_2) | instskip(NEXT) | instid1(VALU_DEP_1)
	v_lshlrev_b64 v[13:14], v13, v[2:3]
	v_and_b32_e32 v13, 7, v13
; %bb.3399:                             ;   in Loop: Header=BB356_2089 Depth=1
	s_or_b32 exec_lo, exec_lo, s24
	v_lshlrev_b32_e32 v2, 8, v53
	v_lshl_add_u32 v14, v51, 10, 0x2000
	s_delay_alu instid0(VALU_DEP_1) | instskip(NEXT) | instid1(VALU_DEP_1)
	v_and_or_b32 v2, 0x8000, v2, v14
	v_lshl_or_b32 v2, v13, 7, v2
	s_delay_alu instid0(VALU_DEP_1)
	v_cvt_f32_f16_e32 v51, v2
.LBB356_3400:                           ;   in Loop: Header=BB356_2089 Depth=1
	s_or_b32 exec_lo, exec_lo, s23
.LBB356_3401:                           ;   in Loop: Header=BB356_2089 Depth=1
	s_delay_alu instid0(SALU_CYCLE_1)
	s_or_b32 exec_lo, exec_lo, s22
.LBB356_3402:                           ;   in Loop: Header=BB356_2089 Depth=1
	s_delay_alu instid0(SALU_CYCLE_1) | instskip(SKIP_4) | instid1(VALU_DEP_3)
	s_or_b32 exec_lo, exec_lo, s21
	v_dual_mov_b32 v2, v12 :: v_dual_and_b32 v13, 0xff, v12
	v_mov_b32_e32 v67, 0
	v_mov_b32_e32 v53, 0
	s_mov_b32 s21, exec_lo
	v_cmpx_ne_u16_e32 0, v13
	s_cbranch_execz .LBB356_3410
; %bb.3403:                             ;   in Loop: Header=BB356_2089 Depth=1
	v_bfrev_b32_e32 v53, 1
	s_mov_b32 s22, exec_lo
	v_cmpx_ne_u16_e32 0x80, v13
	s_cbranch_execz .LBB356_3409
; %bb.3404:                             ;   in Loop: Header=BB356_2089 Depth=1
	v_and_b32_e32 v102, 0x7f, v12
	v_mov_b32_e32 v53, 0x7fc02000
	s_mov_b32 s23, exec_lo
	s_delay_alu instid0(VALU_DEP_2)
	v_cmpx_ne_u32_e32 0x7f, v102
	s_cbranch_execz .LBB356_3408
; %bb.3405:                             ;   in Loop: Header=BB356_2089 Depth=1
	v_dual_mov_b32 v14, v3 :: v_dual_mov_b32 v13, v2
	v_lshrrev_b32_e32 v14, 3, v102
	s_mov_b32 s24, exec_lo
	v_cmpx_gt_u32_e32 8, v102
; %bb.3406:                             ;   in Loop: Header=BB356_2089 Depth=1
	v_and_b32_e32 v13, 7, v12
	s_delay_alu instid0(VALU_DEP_1) | instskip(NEXT) | instid1(VALU_DEP_1)
	v_clz_i32_u32_e32 v13, v13
	v_min_u32_e32 v53, 32, v13
	s_delay_alu instid0(VALU_DEP_1) | instskip(NEXT) | instid1(VALU_DEP_1)
	v_subrev_nc_u32_e32 v13, 28, v53
	v_lshlrev_b64 v[13:14], v13, v[2:3]
	v_sub_nc_u32_e32 v14, 29, v53
; %bb.3407:                             ;   in Loop: Header=BB356_2089 Depth=1
	s_or_b32 exec_lo, exec_lo, s24
	v_lshlrev_b32_e32 v53, 8, v12
	s_delay_alu instid0(VALU_DEP_2) | instskip(NEXT) | instid1(VALU_DEP_4)
	v_lshl_add_u32 v14, v14, 10, 0x2000
	v_lshlrev_b32_e32 v13, 7, v13
	s_delay_alu instid0(VALU_DEP_2) | instskip(NEXT) | instid1(VALU_DEP_1)
	v_and_or_b32 v14, 0x8000, v53, v14
	v_and_or_b32 v13, 0x380, v13, v14
	s_delay_alu instid0(VALU_DEP_1)
	v_cvt_f32_f16_e32 v53, v13
.LBB356_3408:                           ;   in Loop: Header=BB356_2089 Depth=1
	s_or_b32 exec_lo, exec_lo, s23
.LBB356_3409:                           ;   in Loop: Header=BB356_2089 Depth=1
	s_delay_alu instid0(SALU_CYCLE_1)
	s_or_b32 exec_lo, exec_lo, s22
.LBB356_3410:                           ;   in Loop: Header=BB356_2089 Depth=1
	s_delay_alu instid0(SALU_CYCLE_1) | instskip(SKIP_2) | instid1(VALU_DEP_1)
	s_or_b32 exec_lo, exec_lo, s21
	v_lshrrev_b16 v2, 8, v2
	s_mov_b32 s21, exec_lo
	v_cmpx_ne_u16_e32 0, v2
	s_cbranch_execz .LBB356_3418
; %bb.3411:                             ;   in Loop: Header=BB356_2089 Depth=1
	v_bfrev_b32_e32 v67, 1
	s_mov_b32 s22, exec_lo
	v_cmpx_ne_u16_e32 0x80, v2
	s_cbranch_execz .LBB356_3417
; %bb.3412:                             ;   in Loop: Header=BB356_2089 Depth=1
	v_and_b32_e32 v102, 0xffff, v2
	v_mov_b32_e32 v67, 0x7fc02000
	s_mov_b32 s23, exec_lo
	s_delay_alu instid0(VALU_DEP_2) | instskip(NEXT) | instid1(VALU_DEP_1)
	v_and_b32_e32 v119, 0x7f, v102
	v_cmpx_ne_u32_e32 0x7f, v119
	s_cbranch_execz .LBB356_3416
; %bb.3413:                             ;   in Loop: Header=BB356_2089 Depth=1
	v_and_b32_e32 v2, 7, v102
	v_lshrrev_b32_e32 v67, 3, v119
	v_mov_b32_e32 v14, v3
	s_mov_b32 s24, exec_lo
	s_delay_alu instid0(VALU_DEP_3)
	v_mov_b32_e32 v13, v2
	v_cmpx_gt_u32_e32 8, v119
; %bb.3414:                             ;   in Loop: Header=BB356_2089 Depth=1
	v_clz_i32_u32_e32 v13, v2
	s_delay_alu instid0(VALU_DEP_1) | instskip(NEXT) | instid1(VALU_DEP_1)
	v_min_u32_e32 v67, 32, v13
	v_subrev_nc_u32_e32 v13, 28, v67
	v_sub_nc_u32_e32 v67, 29, v67
	s_delay_alu instid0(VALU_DEP_2) | instskip(NEXT) | instid1(VALU_DEP_1)
	v_lshlrev_b64 v[13:14], v13, v[2:3]
	v_and_b32_e32 v13, 7, v13
; %bb.3415:                             ;   in Loop: Header=BB356_2089 Depth=1
	s_or_b32 exec_lo, exec_lo, s24
	v_lshlrev_b32_e32 v2, 8, v102
	v_lshl_add_u32 v14, v67, 10, 0x2000
	s_delay_alu instid0(VALU_DEP_1) | instskip(NEXT) | instid1(VALU_DEP_1)
	v_and_or_b32 v2, 0x8000, v2, v14
	v_lshl_or_b32 v2, v13, 7, v2
	s_delay_alu instid0(VALU_DEP_1)
	v_cvt_f32_f16_e32 v67, v2
.LBB356_3416:                           ;   in Loop: Header=BB356_2089 Depth=1
	s_or_b32 exec_lo, exec_lo, s23
.LBB356_3417:                           ;   in Loop: Header=BB356_2089 Depth=1
	s_delay_alu instid0(SALU_CYCLE_1)
	s_or_b32 exec_lo, exec_lo, s22
.LBB356_3418:                           ;   in Loop: Header=BB356_2089 Depth=1
	s_delay_alu instid0(SALU_CYCLE_1) | instskip(SKIP_3) | instid1(VALU_DEP_2)
	s_or_b32 exec_lo, exec_lo, s21
	v_lshrrev_b32_e32 v119, 16, v12
	v_mov_b32_e32 v102, 0
	s_mov_b32 s21, exec_lo
	v_dual_mov_b32 v13, 0 :: v_dual_and_b32 v2, 0xff, v119
	s_delay_alu instid0(VALU_DEP_1)
	v_cmpx_ne_u16_e32 0, v2
	s_cbranch_execz .LBB356_3426
; %bb.3419:                             ;   in Loop: Header=BB356_2089 Depth=1
	v_bfrev_b32_e32 v13, 1
	s_mov_b32 s22, exec_lo
	v_cmpx_ne_u16_e32 0x80, v2
	s_cbranch_execz .LBB356_3425
; %bb.3420:                             ;   in Loop: Header=BB356_2089 Depth=1
	v_bfe_u32 v148, v12, 16, 7
	v_mov_b32_e32 v13, 0x7fc02000
	s_mov_b32 s23, exec_lo
	s_delay_alu instid0(VALU_DEP_2)
	v_cmpx_ne_u32_e32 0x7f, v148
	s_cbranch_execz .LBB356_3424
; %bb.3421:                             ;   in Loop: Header=BB356_2089 Depth=1
	v_and_b32_e32 v2, 7, v119
	v_lshrrev_b32_e32 v147, 3, v148
	v_mov_b32_e32 v14, v3
	s_mov_b32 s24, exec_lo
	s_delay_alu instid0(VALU_DEP_3)
	v_mov_b32_e32 v13, v2
	v_cmpx_gt_u32_e32 8, v148
; %bb.3422:                             ;   in Loop: Header=BB356_2089 Depth=1
	v_clz_i32_u32_e32 v13, v2
	s_delay_alu instid0(VALU_DEP_1) | instskip(NEXT) | instid1(VALU_DEP_1)
	v_min_u32_e32 v147, 32, v13
	v_subrev_nc_u32_e32 v13, 28, v147
	v_sub_nc_u32_e32 v147, 29, v147
	s_delay_alu instid0(VALU_DEP_2) | instskip(NEXT) | instid1(VALU_DEP_1)
	v_lshlrev_b64 v[13:14], v13, v[2:3]
	v_and_b32_e32 v13, 7, v13
; %bb.3423:                             ;   in Loop: Header=BB356_2089 Depth=1
	s_or_b32 exec_lo, exec_lo, s24
	v_lshlrev_b32_e32 v2, 8, v119
	v_lshl_add_u32 v14, v147, 10, 0x2000
	s_delay_alu instid0(VALU_DEP_1) | instskip(NEXT) | instid1(VALU_DEP_1)
	v_and_or_b32 v2, 0x8000, v2, v14
	v_lshl_or_b32 v2, v13, 7, v2
	s_delay_alu instid0(VALU_DEP_1)
	v_cvt_f32_f16_e32 v13, v2
.LBB356_3424:                           ;   in Loop: Header=BB356_2089 Depth=1
	s_or_b32 exec_lo, exec_lo, s23
.LBB356_3425:                           ;   in Loop: Header=BB356_2089 Depth=1
	s_delay_alu instid0(SALU_CYCLE_1)
	s_or_b32 exec_lo, exec_lo, s22
.LBB356_3426:                           ;   in Loop: Header=BB356_2089 Depth=1
	s_delay_alu instid0(SALU_CYCLE_1) | instskip(NEXT) | instid1(SALU_CYCLE_1)
	s_or_b32 exec_lo, exec_lo, s21
	s_mov_b32 s21, exec_lo
	v_cmpx_lt_u64_e64 s[18:19], v[11:12]
	s_cbranch_execz .LBB356_3434
; %bb.3427:                             ;   in Loop: Header=BB356_2089 Depth=1
	v_lshrrev_b32_e32 v14, 24, v12
	v_bfrev_b32_e32 v102, 1
	s_mov_b32 s22, exec_lo
	s_delay_alu instid0(VALU_DEP_2)
	v_cmpx_ne_u32_e32 0x80, v14
	s_cbranch_execz .LBB356_3433
; %bb.3428:                             ;   in Loop: Header=BB356_2089 Depth=1
	v_and_b32_e32 v119, 0x7f, v14
	v_mov_b32_e32 v102, 0x7fc02000
	s_mov_b32 s23, exec_lo
	s_delay_alu instid0(VALU_DEP_2)
	v_cmpx_ne_u32_e32 0x7f, v119
	s_cbranch_execz .LBB356_3432
; %bb.3429:                             ;   in Loop: Header=BB356_2089 Depth=1
	v_and_b32_e32 v2, 7, v14
	v_lshrrev_b32_e32 v102, 3, v119
	v_mov_b32_e32 v12, v3
	s_mov_b32 s24, exec_lo
	s_delay_alu instid0(VALU_DEP_3)
	v_mov_b32_e32 v11, v2
	v_cmpx_gt_u32_e32 8, v119
; %bb.3430:                             ;   in Loop: Header=BB356_2089 Depth=1
	v_clz_i32_u32_e32 v11, v2
	s_delay_alu instid0(VALU_DEP_1) | instskip(NEXT) | instid1(VALU_DEP_1)
	v_min_u32_e32 v102, 32, v11
	v_subrev_nc_u32_e32 v11, 28, v102
	v_sub_nc_u32_e32 v102, 29, v102
	s_delay_alu instid0(VALU_DEP_2) | instskip(NEXT) | instid1(VALU_DEP_1)
	v_lshlrev_b64 v[11:12], v11, v[2:3]
	v_and_b32_e32 v11, 7, v11
; %bb.3431:                             ;   in Loop: Header=BB356_2089 Depth=1
	s_or_b32 exec_lo, exec_lo, s24
	v_lshlrev_b32_e32 v2, 8, v14
	v_lshl_add_u32 v12, v102, 10, 0x2000
	s_delay_alu instid0(VALU_DEP_1) | instskip(NEXT) | instid1(VALU_DEP_1)
	v_and_or_b32 v2, 0x8000, v2, v12
	v_lshl_or_b32 v2, v11, 7, v2
	s_delay_alu instid0(VALU_DEP_1)
	v_cvt_f32_f16_e32 v102, v2
.LBB356_3432:                           ;   in Loop: Header=BB356_2089 Depth=1
	s_or_b32 exec_lo, exec_lo, s23
.LBB356_3433:                           ;   in Loop: Header=BB356_2089 Depth=1
	s_delay_alu instid0(SALU_CYCLE_1)
	s_or_b32 exec_lo, exec_lo, s22
.LBB356_3434:                           ;   in Loop: Header=BB356_2089 Depth=1
	s_delay_alu instid0(SALU_CYCLE_1)
	s_or_b32 exec_lo, exec_lo, s21
	s_waitcnt vmcnt(0) lgkmcnt(0)
	v_fma_mixlo_f16 v2, v5, v51, 0
	v_fma_mixlo_f16 v11, v5, v50, 0
	;; [unrolled: 1-line block ×6, first 2 shown]
	v_lshlrev_b32_e32 v49, 16, v2
	v_and_b32_e32 v51, 0xffff, v11
	v_lshlrev_b32_e32 v53, 16, v12
	v_and_b32_e32 v67, 0xffff, v14
	v_cndmask_b32_e32 v14, 0, v14, vcc_lo
	v_lshlrev_b32_e32 v119, 16, v22
	v_and_b32_e32 v147, 0xffff, v50
	v_fma_mixlo_f16 v102, v5, v102, 0
	v_fma_mixlo_f16 v5, v5, v13, 0
	v_cndmask_b32_e64 v11, 0, v11, s2
	v_cndmask_b32_e64 v2, 0, v2, s4
	;; [unrolled: 1-line block ×5, first 2 shown]
	s_mov_b32 s21, exec_lo
	v_perm_b32 v2, v2, v11, 0x5040100
	s_delay_alu instid0(VALU_DEP_3)
	v_perm_b32 v11, v22, v50, 0x5040100
	v_mov_b32_e32 v50, 0
	v_or_b32_e32 v13, v49, v51
	v_or_b32_e32 v49, v53, v67
	v_lshlrev_b32_e32 v53, 16, v102
	v_and_b32_e32 v67, 0xffff, v5
	v_cndmask_b32_e64 v5, 0, v5, s3
	v_cndmask_b32_e64 v102, 0, v102, s5
	v_perm_b32 v12, v12, v14, 0x5040100
	v_or_b32_e32 v51, v119, v147
	v_or_b32_e32 v53, v53, v67
	v_cndmask_b32_e64 v2, v13, v2, s1
	v_perm_b32 v5, v102, v5, 0x5040100
	v_cndmask_b32_e64 v12, v49, v12, s1
	v_cndmask_b32_e64 v11, v51, v11, s1
	;;#ASMSTART
	v_pk_mul_f16 v12, v146, v12;

	;;#ASMEND
	;;#ASMSTART
	v_pk_mul_f16 v2, v145, v2;

	;;#ASMEND
	v_cndmask_b32_e64 v5, v53, v5, s1
	;;#ASMSTART
	v_pk_mul_f16 v11, v144, v11;

	;;#ASMEND
	;;#ASMSTART
	v_pk_mul_f16 v5, v149, v5;

	;;#ASMEND
	;;#ASMSTART
	v_pk_add_f16 v2, v12, v2;

	;;#ASMEND
	;;#ASMSTART
	v_pk_add_f16 v2, v2, v11;

	;;#ASMEND
	v_add_co_u32 v11, s8, v9, v115
	s_delay_alu instid0(VALU_DEP_1)
	v_add_co_ci_u32_e64 v12, s8, 0, v10, s8
	;;#ASMSTART
	v_pk_add_f16 v2, v2, v5;

	;;#ASMEND
	v_lshrrev_b32_e32 v5, 16, v2
	v_dual_mov_b32 v49, 0 :: v_dual_and_b32 v2, 0xffff, v2
	;;#ASMSTART
	v_cvt_f32_f16 v22, v2;
	;;#ASMEND
	;;#ASMSTART
	v_cvt_f32_f16 v102, v5;
	;;#ASMEND
	flat_load_b64 v[11:12], v[11:12]
	flat_load_b32 v5, v[26:27]
	s_waitcnt vmcnt(1) lgkmcnt(1)
	v_and_b32_e32 v2, 0xff, v11
	s_delay_alu instid0(VALU_DEP_1)
	v_cmpx_ne_u16_e32 0, v2
	s_cbranch_execz .LBB356_3442
; %bb.3435:                             ;   in Loop: Header=BB356_2089 Depth=1
	v_bfrev_b32_e32 v49, 1
	s_mov_b32 s22, exec_lo
	v_cmpx_ne_u16_e32 0x80, v2
	s_cbranch_execz .LBB356_3441
; %bb.3436:                             ;   in Loop: Header=BB356_2089 Depth=1
	v_and_b32_e32 v13, 0x7f, v11
	v_mov_b32_e32 v49, 0x7fc02000
	s_mov_b32 s23, exec_lo
	s_delay_alu instid0(VALU_DEP_2)
	v_cmpx_ne_u32_e32 0x7f, v13
	s_cbranch_execz .LBB356_3440
; %bb.3437:                             ;   in Loop: Header=BB356_2089 Depth=1
	v_lshrrev_b32_e32 v2, 3, v13
	v_cmp_gt_u32_e64 s8, 8, v13
	v_dual_mov_b32 v14, v12 :: v_dual_mov_b32 v13, v11
	s_delay_alu instid0(VALU_DEP_2)
	s_and_saveexec_b32 s24, s8
; %bb.3438:                             ;   in Loop: Header=BB356_2089 Depth=1
	v_and_b32_e32 v2, 7, v11
	s_delay_alu instid0(VALU_DEP_1) | instskip(NEXT) | instid1(VALU_DEP_1)
	v_clz_i32_u32_e32 v2, v2
	v_min_u32_e32 v2, 32, v2
	s_delay_alu instid0(VALU_DEP_1) | instskip(SKIP_1) | instid1(VALU_DEP_2)
	v_subrev_nc_u32_e32 v13, 28, v2
	v_sub_nc_u32_e32 v2, 29, v2
	v_lshlrev_b64 v[13:14], v13, v[11:12]
; %bb.3439:                             ;   in Loop: Header=BB356_2089 Depth=1
	s_or_b32 exec_lo, exec_lo, s24
	v_lshlrev_b32_e32 v14, 8, v11
	s_delay_alu instid0(VALU_DEP_3) | instskip(NEXT) | instid1(VALU_DEP_3)
	v_lshl_add_u32 v2, v2, 10, 0x2000
	v_lshlrev_b32_e32 v13, 7, v13
	s_delay_alu instid0(VALU_DEP_2) | instskip(NEXT) | instid1(VALU_DEP_1)
	v_and_or_b32 v2, 0x8000, v14, v2
	v_and_or_b32 v2, 0x380, v13, v2
	s_delay_alu instid0(VALU_DEP_1)
	v_cvt_f32_f16_e32 v49, v2
.LBB356_3440:                           ;   in Loop: Header=BB356_2089 Depth=1
	s_or_b32 exec_lo, exec_lo, s23
.LBB356_3441:                           ;   in Loop: Header=BB356_2089 Depth=1
	s_delay_alu instid0(SALU_CYCLE_1)
	s_or_b32 exec_lo, exec_lo, s22
.LBB356_3442:                           ;   in Loop: Header=BB356_2089 Depth=1
	s_delay_alu instid0(SALU_CYCLE_1) | instskip(SKIP_2) | instid1(VALU_DEP_1)
	s_or_b32 exec_lo, exec_lo, s21
	v_lshrrev_b16 v2, 8, v11
	s_mov_b32 s21, exec_lo
	v_cmpx_ne_u16_e32 0, v2
	s_cbranch_execz .LBB356_3450
; %bb.3443:                             ;   in Loop: Header=BB356_2089 Depth=1
	v_bfrev_b32_e32 v50, 1
	s_mov_b32 s22, exec_lo
	v_cmpx_ne_u16_e32 0x80, v2
	s_cbranch_execz .LBB356_3449
; %bb.3444:                             ;   in Loop: Header=BB356_2089 Depth=1
	v_and_b32_e32 v51, 0xffff, v2
	v_mov_b32_e32 v50, 0x7fc02000
	s_mov_b32 s23, exec_lo
	s_delay_alu instid0(VALU_DEP_2) | instskip(NEXT) | instid1(VALU_DEP_1)
	v_and_b32_e32 v53, 0x7f, v51
	v_cmpx_ne_u32_e32 0x7f, v53
	s_cbranch_execz .LBB356_3448
; %bb.3445:                             ;   in Loop: Header=BB356_2089 Depth=1
	v_and_b32_e32 v2, 7, v51
	v_lshrrev_b32_e32 v50, 3, v53
	v_mov_b32_e32 v14, v3
	s_mov_b32 s24, exec_lo
	s_delay_alu instid0(VALU_DEP_3)
	v_mov_b32_e32 v13, v2
	v_cmpx_gt_u32_e32 8, v53
; %bb.3446:                             ;   in Loop: Header=BB356_2089 Depth=1
	v_clz_i32_u32_e32 v13, v2
	s_delay_alu instid0(VALU_DEP_1) | instskip(NEXT) | instid1(VALU_DEP_1)
	v_min_u32_e32 v50, 32, v13
	v_subrev_nc_u32_e32 v13, 28, v50
	v_sub_nc_u32_e32 v50, 29, v50
	s_delay_alu instid0(VALU_DEP_2) | instskip(NEXT) | instid1(VALU_DEP_1)
	v_lshlrev_b64 v[13:14], v13, v[2:3]
	v_and_b32_e32 v13, 7, v13
; %bb.3447:                             ;   in Loop: Header=BB356_2089 Depth=1
	s_or_b32 exec_lo, exec_lo, s24
	v_lshlrev_b32_e32 v2, 8, v51
	v_lshl_add_u32 v14, v50, 10, 0x2000
	s_delay_alu instid0(VALU_DEP_1) | instskip(NEXT) | instid1(VALU_DEP_1)
	v_and_or_b32 v2, 0x8000, v2, v14
	v_lshl_or_b32 v2, v13, 7, v2
	s_delay_alu instid0(VALU_DEP_1)
	v_cvt_f32_f16_e32 v50, v2
.LBB356_3448:                           ;   in Loop: Header=BB356_2089 Depth=1
	s_or_b32 exec_lo, exec_lo, s23
.LBB356_3449:                           ;   in Loop: Header=BB356_2089 Depth=1
	s_delay_alu instid0(SALU_CYCLE_1)
	s_or_b32 exec_lo, exec_lo, s22
.LBB356_3450:                           ;   in Loop: Header=BB356_2089 Depth=1
	s_delay_alu instid0(SALU_CYCLE_1) | instskip(SKIP_3) | instid1(VALU_DEP_2)
	s_or_b32 exec_lo, exec_lo, s21
	v_lshrrev_b32_e32 v67, 16, v11
	v_mov_b32_e32 v51, 0
	s_mov_b32 s21, exec_lo
	v_dual_mov_b32 v53, 0 :: v_dual_and_b32 v2, 0xff, v67
	s_delay_alu instid0(VALU_DEP_1)
	v_cmpx_ne_u16_e32 0, v2
	s_cbranch_execz .LBB356_3458
; %bb.3451:                             ;   in Loop: Header=BB356_2089 Depth=1
	v_bfrev_b32_e32 v51, 1
	s_mov_b32 s22, exec_lo
	v_cmpx_ne_u16_e32 0x80, v2
	s_cbranch_execz .LBB356_3457
; %bb.3452:                             ;   in Loop: Header=BB356_2089 Depth=1
	v_bfe_u32 v119, v11, 16, 7
	v_mov_b32_e32 v51, 0x7fc02000
	s_mov_b32 s23, exec_lo
	s_delay_alu instid0(VALU_DEP_2)
	v_cmpx_ne_u32_e32 0x7f, v119
	s_cbranch_execz .LBB356_3456
; %bb.3453:                             ;   in Loop: Header=BB356_2089 Depth=1
	v_and_b32_e32 v2, 7, v67
	v_lshrrev_b32_e32 v51, 3, v119
	v_mov_b32_e32 v14, v3
	s_mov_b32 s24, exec_lo
	s_delay_alu instid0(VALU_DEP_3)
	v_mov_b32_e32 v13, v2
	v_cmpx_gt_u32_e32 8, v119
; %bb.3454:                             ;   in Loop: Header=BB356_2089 Depth=1
	v_clz_i32_u32_e32 v13, v2
	s_delay_alu instid0(VALU_DEP_1) | instskip(NEXT) | instid1(VALU_DEP_1)
	v_min_u32_e32 v51, 32, v13
	v_subrev_nc_u32_e32 v13, 28, v51
	v_sub_nc_u32_e32 v51, 29, v51
	s_delay_alu instid0(VALU_DEP_2) | instskip(NEXT) | instid1(VALU_DEP_1)
	v_lshlrev_b64 v[13:14], v13, v[2:3]
	v_and_b32_e32 v13, 7, v13
; %bb.3455:                             ;   in Loop: Header=BB356_2089 Depth=1
	s_or_b32 exec_lo, exec_lo, s24
	v_lshlrev_b32_e32 v2, 8, v67
	v_lshl_add_u32 v14, v51, 10, 0x2000
	s_delay_alu instid0(VALU_DEP_1) | instskip(NEXT) | instid1(VALU_DEP_1)
	v_and_or_b32 v2, 0x8000, v2, v14
	v_lshl_or_b32 v2, v13, 7, v2
	s_delay_alu instid0(VALU_DEP_1)
	v_cvt_f32_f16_e32 v51, v2
.LBB356_3456:                           ;   in Loop: Header=BB356_2089 Depth=1
	s_or_b32 exec_lo, exec_lo, s23
.LBB356_3457:                           ;   in Loop: Header=BB356_2089 Depth=1
	s_delay_alu instid0(SALU_CYCLE_1)
	s_or_b32 exec_lo, exec_lo, s22
.LBB356_3458:                           ;   in Loop: Header=BB356_2089 Depth=1
	s_delay_alu instid0(SALU_CYCLE_1) | instskip(NEXT) | instid1(SALU_CYCLE_1)
	s_or_b32 exec_lo, exec_lo, s21
	s_mov_b32 s21, exec_lo
	v_cmpx_lt_u32_e32 0xffffff, v11
	s_cbranch_execz .LBB356_3466
; %bb.3459:                             ;   in Loop: Header=BB356_2089 Depth=1
	v_lshrrev_b32_e32 v67, 24, v11
	v_bfrev_b32_e32 v53, 1
	s_mov_b32 s22, exec_lo
	s_delay_alu instid0(VALU_DEP_2)
	v_cmpx_ne_u32_e32 0x80, v67
	s_cbranch_execz .LBB356_3465
; %bb.3460:                             ;   in Loop: Header=BB356_2089 Depth=1
	v_and_b32_e32 v119, 0x7f, v67
	v_mov_b32_e32 v53, 0x7fc02000
	s_mov_b32 s23, exec_lo
	s_delay_alu instid0(VALU_DEP_2)
	v_cmpx_ne_u32_e32 0x7f, v119
	s_cbranch_execz .LBB356_3464
; %bb.3461:                             ;   in Loop: Header=BB356_2089 Depth=1
	v_and_b32_e32 v2, 7, v67
	v_lshrrev_b32_e32 v53, 3, v119
	v_mov_b32_e32 v14, v3
	s_mov_b32 s24, exec_lo
	s_delay_alu instid0(VALU_DEP_3)
	v_mov_b32_e32 v13, v2
	v_cmpx_gt_u32_e32 8, v119
; %bb.3462:                             ;   in Loop: Header=BB356_2089 Depth=1
	v_clz_i32_u32_e32 v13, v2
	s_delay_alu instid0(VALU_DEP_1) | instskip(NEXT) | instid1(VALU_DEP_1)
	v_min_u32_e32 v53, 32, v13
	v_subrev_nc_u32_e32 v13, 28, v53
	v_sub_nc_u32_e32 v53, 29, v53
	s_delay_alu instid0(VALU_DEP_2) | instskip(NEXT) | instid1(VALU_DEP_1)
	v_lshlrev_b64 v[13:14], v13, v[2:3]
	v_and_b32_e32 v13, 7, v13
; %bb.3463:                             ;   in Loop: Header=BB356_2089 Depth=1
	s_or_b32 exec_lo, exec_lo, s24
	v_lshlrev_b32_e32 v2, 8, v67
	v_lshl_add_u32 v14, v53, 10, 0x2000
	s_delay_alu instid0(VALU_DEP_1) | instskip(NEXT) | instid1(VALU_DEP_1)
	v_and_or_b32 v2, 0x8000, v2, v14
	v_lshl_or_b32 v2, v13, 7, v2
	s_delay_alu instid0(VALU_DEP_1)
	v_cvt_f32_f16_e32 v53, v2
.LBB356_3464:                           ;   in Loop: Header=BB356_2089 Depth=1
	s_or_b32 exec_lo, exec_lo, s23
.LBB356_3465:                           ;   in Loop: Header=BB356_2089 Depth=1
	s_delay_alu instid0(SALU_CYCLE_1)
	s_or_b32 exec_lo, exec_lo, s22
.LBB356_3466:                           ;   in Loop: Header=BB356_2089 Depth=1
	s_delay_alu instid0(SALU_CYCLE_1) | instskip(SKIP_4) | instid1(VALU_DEP_3)
	s_or_b32 exec_lo, exec_lo, s21
	v_dual_mov_b32 v2, v12 :: v_dual_and_b32 v13, 0xff, v12
	v_mov_b32_e32 v119, 0
	v_mov_b32_e32 v67, 0
	s_mov_b32 s21, exec_lo
	v_cmpx_ne_u16_e32 0, v13
	s_cbranch_execz .LBB356_3474
; %bb.3467:                             ;   in Loop: Header=BB356_2089 Depth=1
	v_bfrev_b32_e32 v67, 1
	s_mov_b32 s22, exec_lo
	v_cmpx_ne_u16_e32 0x80, v13
	s_cbranch_execz .LBB356_3473
; %bb.3468:                             ;   in Loop: Header=BB356_2089 Depth=1
	v_and_b32_e32 v147, 0x7f, v12
	v_mov_b32_e32 v67, 0x7fc02000
	s_mov_b32 s23, exec_lo
	s_delay_alu instid0(VALU_DEP_2)
	v_cmpx_ne_u32_e32 0x7f, v147
	s_cbranch_execz .LBB356_3472
; %bb.3469:                             ;   in Loop: Header=BB356_2089 Depth=1
	v_dual_mov_b32 v14, v3 :: v_dual_mov_b32 v13, v2
	v_lshrrev_b32_e32 v14, 3, v147
	s_mov_b32 s24, exec_lo
	v_cmpx_gt_u32_e32 8, v147
; %bb.3470:                             ;   in Loop: Header=BB356_2089 Depth=1
	v_and_b32_e32 v13, 7, v12
	s_delay_alu instid0(VALU_DEP_1) | instskip(NEXT) | instid1(VALU_DEP_1)
	v_clz_i32_u32_e32 v13, v13
	v_min_u32_e32 v67, 32, v13
	s_delay_alu instid0(VALU_DEP_1) | instskip(NEXT) | instid1(VALU_DEP_1)
	v_subrev_nc_u32_e32 v13, 28, v67
	v_lshlrev_b64 v[13:14], v13, v[2:3]
	v_sub_nc_u32_e32 v14, 29, v67
; %bb.3471:                             ;   in Loop: Header=BB356_2089 Depth=1
	s_or_b32 exec_lo, exec_lo, s24
	v_lshlrev_b32_e32 v67, 8, v12
	s_delay_alu instid0(VALU_DEP_2) | instskip(NEXT) | instid1(VALU_DEP_4)
	v_lshl_add_u32 v14, v14, 10, 0x2000
	v_lshlrev_b32_e32 v13, 7, v13
	s_delay_alu instid0(VALU_DEP_2) | instskip(NEXT) | instid1(VALU_DEP_1)
	v_and_or_b32 v14, 0x8000, v67, v14
	v_and_or_b32 v13, 0x380, v13, v14
	s_delay_alu instid0(VALU_DEP_1)
	v_cvt_f32_f16_e32 v67, v13
.LBB356_3472:                           ;   in Loop: Header=BB356_2089 Depth=1
	s_or_b32 exec_lo, exec_lo, s23
.LBB356_3473:                           ;   in Loop: Header=BB356_2089 Depth=1
	s_delay_alu instid0(SALU_CYCLE_1)
	s_or_b32 exec_lo, exec_lo, s22
.LBB356_3474:                           ;   in Loop: Header=BB356_2089 Depth=1
	s_delay_alu instid0(SALU_CYCLE_1) | instskip(SKIP_2) | instid1(VALU_DEP_1)
	s_or_b32 exec_lo, exec_lo, s21
	v_lshrrev_b16 v2, 8, v2
	s_mov_b32 s21, exec_lo
	v_cmpx_ne_u16_e32 0, v2
	s_cbranch_execz .LBB356_3482
; %bb.3475:                             ;   in Loop: Header=BB356_2089 Depth=1
	v_bfrev_b32_e32 v119, 1
	s_mov_b32 s22, exec_lo
	v_cmpx_ne_u16_e32 0x80, v2
	s_cbranch_execz .LBB356_3481
; %bb.3476:                             ;   in Loop: Header=BB356_2089 Depth=1
	v_and_b32_e32 v147, 0xffff, v2
	v_mov_b32_e32 v119, 0x7fc02000
	s_mov_b32 s23, exec_lo
	s_delay_alu instid0(VALU_DEP_2) | instskip(NEXT) | instid1(VALU_DEP_1)
	v_and_b32_e32 v148, 0x7f, v147
	v_cmpx_ne_u32_e32 0x7f, v148
	s_cbranch_execz .LBB356_3480
; %bb.3477:                             ;   in Loop: Header=BB356_2089 Depth=1
	v_and_b32_e32 v2, 7, v147
	v_lshrrev_b32_e32 v119, 3, v148
	v_mov_b32_e32 v14, v3
	s_mov_b32 s24, exec_lo
	s_delay_alu instid0(VALU_DEP_3)
	v_mov_b32_e32 v13, v2
	v_cmpx_gt_u32_e32 8, v148
; %bb.3478:                             ;   in Loop: Header=BB356_2089 Depth=1
	v_clz_i32_u32_e32 v13, v2
	s_delay_alu instid0(VALU_DEP_1) | instskip(NEXT) | instid1(VALU_DEP_1)
	v_min_u32_e32 v119, 32, v13
	v_subrev_nc_u32_e32 v13, 28, v119
	v_sub_nc_u32_e32 v119, 29, v119
	s_delay_alu instid0(VALU_DEP_2) | instskip(NEXT) | instid1(VALU_DEP_1)
	v_lshlrev_b64 v[13:14], v13, v[2:3]
	v_and_b32_e32 v13, 7, v13
; %bb.3479:                             ;   in Loop: Header=BB356_2089 Depth=1
	s_or_b32 exec_lo, exec_lo, s24
	v_lshlrev_b32_e32 v2, 8, v147
	v_lshl_add_u32 v14, v119, 10, 0x2000
	s_delay_alu instid0(VALU_DEP_1) | instskip(NEXT) | instid1(VALU_DEP_1)
	v_and_or_b32 v2, 0x8000, v2, v14
	v_lshl_or_b32 v2, v13, 7, v2
	s_delay_alu instid0(VALU_DEP_1)
	v_cvt_f32_f16_e32 v119, v2
.LBB356_3480:                           ;   in Loop: Header=BB356_2089 Depth=1
	s_or_b32 exec_lo, exec_lo, s23
.LBB356_3481:                           ;   in Loop: Header=BB356_2089 Depth=1
	s_delay_alu instid0(SALU_CYCLE_1)
	s_or_b32 exec_lo, exec_lo, s22
.LBB356_3482:                           ;   in Loop: Header=BB356_2089 Depth=1
	s_delay_alu instid0(SALU_CYCLE_1) | instskip(SKIP_3) | instid1(VALU_DEP_2)
	s_or_b32 exec_lo, exec_lo, s21
	v_lshrrev_b32_e32 v148, 16, v12
	v_mov_b32_e32 v13, 0
	s_mov_b32 s21, exec_lo
	v_dual_mov_b32 v147, 0 :: v_dual_and_b32 v2, 0xff, v148
	s_delay_alu instid0(VALU_DEP_1)
	v_cmpx_ne_u16_e32 0, v2
	s_cbranch_execz .LBB356_3490
; %bb.3483:                             ;   in Loop: Header=BB356_2089 Depth=1
	v_bfrev_b32_e32 v13, 1
	s_mov_b32 s22, exec_lo
	v_cmpx_ne_u16_e32 0x80, v2
	s_cbranch_execz .LBB356_3489
; %bb.3484:                             ;   in Loop: Header=BB356_2089 Depth=1
	v_bfe_u32 v62, v12, 16, 7
	v_mov_b32_e32 v13, 0x7fc02000
	s_mov_b32 s23, exec_lo
	s_delay_alu instid0(VALU_DEP_2)
	v_cmpx_ne_u32_e32 0x7f, v62
	s_cbranch_execz .LBB356_3488
; %bb.3485:                             ;   in Loop: Header=BB356_2089 Depth=1
	v_and_b32_e32 v2, 7, v148
	v_lshrrev_b32_e32 v61, 3, v62
	v_mov_b32_e32 v14, v3
	s_mov_b32 s24, exec_lo
	s_delay_alu instid0(VALU_DEP_3)
	v_mov_b32_e32 v13, v2
	v_cmpx_gt_u32_e32 8, v62
; %bb.3486:                             ;   in Loop: Header=BB356_2089 Depth=1
	v_clz_i32_u32_e32 v13, v2
	s_delay_alu instid0(VALU_DEP_1) | instskip(NEXT) | instid1(VALU_DEP_1)
	v_min_u32_e32 v61, 32, v13
	v_subrev_nc_u32_e32 v13, 28, v61
	v_sub_nc_u32_e32 v61, 29, v61
	s_delay_alu instid0(VALU_DEP_2) | instskip(NEXT) | instid1(VALU_DEP_1)
	v_lshlrev_b64 v[13:14], v13, v[2:3]
	v_and_b32_e32 v13, 7, v13
; %bb.3487:                             ;   in Loop: Header=BB356_2089 Depth=1
	s_or_b32 exec_lo, exec_lo, s24
	v_lshlrev_b32_e32 v2, 8, v148
	v_lshl_add_u32 v14, v61, 10, 0x2000
	s_delay_alu instid0(VALU_DEP_1) | instskip(NEXT) | instid1(VALU_DEP_1)
	v_and_or_b32 v2, 0x8000, v2, v14
	v_lshl_or_b32 v2, v13, 7, v2
	s_delay_alu instid0(VALU_DEP_1)
	v_cvt_f32_f16_e32 v13, v2
.LBB356_3488:                           ;   in Loop: Header=BB356_2089 Depth=1
	s_or_b32 exec_lo, exec_lo, s23
.LBB356_3489:                           ;   in Loop: Header=BB356_2089 Depth=1
	s_delay_alu instid0(SALU_CYCLE_1)
	s_or_b32 exec_lo, exec_lo, s22
.LBB356_3490:                           ;   in Loop: Header=BB356_2089 Depth=1
	s_delay_alu instid0(SALU_CYCLE_1) | instskip(NEXT) | instid1(SALU_CYCLE_1)
	s_or_b32 exec_lo, exec_lo, s21
	s_mov_b32 s21, exec_lo
	v_cmpx_lt_u64_e64 s[18:19], v[11:12]
	s_cbranch_execz .LBB356_3498
; %bb.3491:                             ;   in Loop: Header=BB356_2089 Depth=1
	v_lshrrev_b32_e32 v14, 24, v12
	v_bfrev_b32_e32 v147, 1
	s_mov_b32 s22, exec_lo
	s_delay_alu instid0(VALU_DEP_2)
	v_cmpx_ne_u32_e32 0x80, v14
	s_cbranch_execz .LBB356_3497
; %bb.3492:                             ;   in Loop: Header=BB356_2089 Depth=1
	v_and_b32_e32 v148, 0x7f, v14
	v_mov_b32_e32 v147, 0x7fc02000
	s_mov_b32 s23, exec_lo
	s_delay_alu instid0(VALU_DEP_2)
	v_cmpx_ne_u32_e32 0x7f, v148
	s_cbranch_execz .LBB356_3496
; %bb.3493:                             ;   in Loop: Header=BB356_2089 Depth=1
	v_and_b32_e32 v2, 7, v14
	v_lshrrev_b32_e32 v147, 3, v148
	v_mov_b32_e32 v12, v3
	s_mov_b32 s24, exec_lo
	s_delay_alu instid0(VALU_DEP_3)
	v_mov_b32_e32 v11, v2
	v_cmpx_gt_u32_e32 8, v148
; %bb.3494:                             ;   in Loop: Header=BB356_2089 Depth=1
	v_clz_i32_u32_e32 v11, v2
	s_delay_alu instid0(VALU_DEP_1) | instskip(NEXT) | instid1(VALU_DEP_1)
	v_min_u32_e32 v147, 32, v11
	v_subrev_nc_u32_e32 v11, 28, v147
	v_sub_nc_u32_e32 v147, 29, v147
	s_delay_alu instid0(VALU_DEP_2) | instskip(NEXT) | instid1(VALU_DEP_1)
	v_lshlrev_b64 v[11:12], v11, v[2:3]
	v_and_b32_e32 v11, 7, v11
; %bb.3495:                             ;   in Loop: Header=BB356_2089 Depth=1
	s_or_b32 exec_lo, exec_lo, s24
	v_lshlrev_b32_e32 v2, 8, v14
	v_lshl_add_u32 v12, v147, 10, 0x2000
	s_delay_alu instid0(VALU_DEP_1) | instskip(NEXT) | instid1(VALU_DEP_1)
	v_and_or_b32 v2, 0x8000, v2, v12
	v_lshl_or_b32 v2, v11, 7, v2
	s_delay_alu instid0(VALU_DEP_1)
	v_cvt_f32_f16_e64 v147, v2
.LBB356_3496:                           ;   in Loop: Header=BB356_2089 Depth=1
	s_or_b32 exec_lo, exec_lo, s23
.LBB356_3497:                           ;   in Loop: Header=BB356_2089 Depth=1
	s_delay_alu instid0(SALU_CYCLE_1)
	s_or_b32 exec_lo, exec_lo, s22
.LBB356_3498:                           ;   in Loop: Header=BB356_2089 Depth=1
	s_delay_alu instid0(SALU_CYCLE_1)
	s_or_b32 exec_lo, exec_lo, s21
	s_waitcnt vmcnt(0) lgkmcnt(0)
	v_fma_mixlo_f16 v2, v5, v53, 0
	v_fma_mixlo_f16 v11, v5, v51, 0
	;; [unrolled: 1-line block ×6, first 2 shown]
	v_lshlrev_b32_e32 v50, 16, v2
	v_and_b32_e32 v53, 0xffff, v11
	v_lshlrev_b32_e32 v67, 16, v12
	v_and_b32_e32 v119, 0xffff, v14
	;; [unrolled: 2-line block ×3, first 2 shown]
	v_fma_mixlo_f16 v147, v5, v147, 0
	v_fma_mixlo_f16 v5, v5, v13, 0
	v_cndmask_b32_e64 v11, 0, v11, s2
	v_cndmask_b32_e64 v2, 0, v2, s4
	;; [unrolled: 1-line block ×4, first 2 shown]
	v_cndmask_b32_e32 v14, 0, v14, vcc_lo
	v_cndmask_b32_e64 v12, 0, v12, s0
	v_perm_b32 v2, v2, v11, 0x5040100
	s_mov_b32 s21, exec_lo
	v_perm_b32 v11, v49, v51, 0x5040100
	v_mov_b32_e32 v51, 0
	v_or_b32_e32 v13, v50, v53
	v_or_b32_e32 v50, v67, v119
	v_lshlrev_b32_e32 v67, 16, v147
	v_and_b32_e32 v119, 0xffff, v5
	v_cndmask_b32_e64 v5, 0, v5, s3
	v_cndmask_b32_e64 v147, 0, v147, s5
	v_perm_b32 v12, v12, v14, 0x5040100
	v_or_b32_e32 v53, v148, v61
	v_or_b32_e32 v67, v67, v119
	v_cndmask_b32_e64 v2, v13, v2, s1
	v_perm_b32 v5, v147, v5, 0x5040100
	v_cndmask_b32_e64 v12, v50, v12, s1
	v_mov_b32_e32 v50, 0
	v_cndmask_b32_e64 v11, v53, v11, s1
	;;#ASMSTART
	v_pk_mul_f16 v12, v146, v12;

	;;#ASMEND
	v_cndmask_b32_e64 v5, v67, v5, s1
	;;#ASMSTART
	v_pk_mul_f16 v2, v145, v2;

	;;#ASMEND
	;;#ASMSTART
	v_pk_mul_f16 v11, v144, v11;

	;;#ASMEND
	;; [unrolled: 4-line block ×3, first 2 shown]
	;;#ASMSTART
	v_pk_add_f16 v2, v12, v2;

	;;#ASMEND
	;;#ASMSTART
	v_pk_add_f16 v2, v2, v11;

	;;#ASMEND
	v_add_co_u32 v11, s8, v9, v116
	s_delay_alu instid0(VALU_DEP_1)
	v_add_co_ci_u32_e64 v12, s8, 0, v10, s8
	;;#ASMSTART
	v_pk_add_f16 v2, v2, v5;

	;;#ASMEND
	v_lshrrev_b32_e32 v5, 16, v2
	v_and_b32_e32 v2, 0xffff, v2
	;;#ASMSTART
	v_cvt_f32_f16 v119, v2;
	;;#ASMEND
	;;#ASMSTART
	v_cvt_f32_f16 v49, v5;
	;;#ASMEND
	flat_load_b64 v[11:12], v[11:12]
	flat_load_b32 v5, v[26:27]
	s_waitcnt vmcnt(1) lgkmcnt(1)
	v_and_b32_e32 v2, 0xff, v11
	s_delay_alu instid0(VALU_DEP_1)
	v_cmpx_ne_u16_e32 0, v2
	s_cbranch_execz .LBB356_3506
; %bb.3499:                             ;   in Loop: Header=BB356_2089 Depth=1
	v_bfrev_b32_e32 v50, 1
	s_mov_b32 s22, exec_lo
	v_cmpx_ne_u16_e32 0x80, v2
	s_cbranch_execz .LBB356_3505
; %bb.3500:                             ;   in Loop: Header=BB356_2089 Depth=1
	v_and_b32_e32 v13, 0x7f, v11
	v_mov_b32_e32 v50, 0x7fc02000
	s_mov_b32 s23, exec_lo
	s_delay_alu instid0(VALU_DEP_2)
	v_cmpx_ne_u32_e32 0x7f, v13
	s_cbranch_execz .LBB356_3504
; %bb.3501:                             ;   in Loop: Header=BB356_2089 Depth=1
	v_lshrrev_b32_e32 v2, 3, v13
	v_cmp_gt_u32_e64 s8, 8, v13
	v_dual_mov_b32 v14, v12 :: v_dual_mov_b32 v13, v11
	s_delay_alu instid0(VALU_DEP_2)
	s_and_saveexec_b32 s24, s8
; %bb.3502:                             ;   in Loop: Header=BB356_2089 Depth=1
	v_and_b32_e32 v2, 7, v11
	s_delay_alu instid0(VALU_DEP_1) | instskip(NEXT) | instid1(VALU_DEP_1)
	v_clz_i32_u32_e32 v2, v2
	v_min_u32_e32 v2, 32, v2
	s_delay_alu instid0(VALU_DEP_1) | instskip(SKIP_1) | instid1(VALU_DEP_2)
	v_subrev_nc_u32_e32 v13, 28, v2
	v_sub_nc_u32_e32 v2, 29, v2
	v_lshlrev_b64 v[13:14], v13, v[11:12]
; %bb.3503:                             ;   in Loop: Header=BB356_2089 Depth=1
	s_or_b32 exec_lo, exec_lo, s24
	v_lshlrev_b32_e32 v14, 8, v11
	s_delay_alu instid0(VALU_DEP_3) | instskip(NEXT) | instid1(VALU_DEP_3)
	v_lshl_add_u32 v2, v2, 10, 0x2000
	v_lshlrev_b32_e32 v13, 7, v13
	s_delay_alu instid0(VALU_DEP_2) | instskip(NEXT) | instid1(VALU_DEP_1)
	v_and_or_b32 v2, 0x8000, v14, v2
	v_and_or_b32 v2, 0x380, v13, v2
	s_delay_alu instid0(VALU_DEP_1)
	v_cvt_f32_f16_e32 v50, v2
.LBB356_3504:                           ;   in Loop: Header=BB356_2089 Depth=1
	s_or_b32 exec_lo, exec_lo, s23
.LBB356_3505:                           ;   in Loop: Header=BB356_2089 Depth=1
	s_delay_alu instid0(SALU_CYCLE_1)
	s_or_b32 exec_lo, exec_lo, s22
.LBB356_3506:                           ;   in Loop: Header=BB356_2089 Depth=1
	s_delay_alu instid0(SALU_CYCLE_1) | instskip(SKIP_2) | instid1(VALU_DEP_1)
	s_or_b32 exec_lo, exec_lo, s21
	v_lshrrev_b16 v2, 8, v11
	s_mov_b32 s21, exec_lo
	v_cmpx_ne_u16_e32 0, v2
	s_cbranch_execz .LBB356_3514
; %bb.3507:                             ;   in Loop: Header=BB356_2089 Depth=1
	v_bfrev_b32_e32 v51, 1
	s_mov_b32 s22, exec_lo
	v_cmpx_ne_u16_e32 0x80, v2
	s_cbranch_execz .LBB356_3513
; %bb.3508:                             ;   in Loop: Header=BB356_2089 Depth=1
	v_and_b32_e32 v53, 0xffff, v2
	v_mov_b32_e32 v51, 0x7fc02000
	s_mov_b32 s23, exec_lo
	s_delay_alu instid0(VALU_DEP_2) | instskip(NEXT) | instid1(VALU_DEP_1)
	v_and_b32_e32 v67, 0x7f, v53
	v_cmpx_ne_u32_e32 0x7f, v67
	s_cbranch_execz .LBB356_3512
; %bb.3509:                             ;   in Loop: Header=BB356_2089 Depth=1
	v_and_b32_e32 v2, 7, v53
	v_lshrrev_b32_e32 v51, 3, v67
	v_mov_b32_e32 v14, v3
	s_mov_b32 s24, exec_lo
	s_delay_alu instid0(VALU_DEP_3)
	v_mov_b32_e32 v13, v2
	v_cmpx_gt_u32_e32 8, v67
; %bb.3510:                             ;   in Loop: Header=BB356_2089 Depth=1
	v_clz_i32_u32_e32 v13, v2
	s_delay_alu instid0(VALU_DEP_1) | instskip(NEXT) | instid1(VALU_DEP_1)
	v_min_u32_e32 v51, 32, v13
	v_subrev_nc_u32_e32 v13, 28, v51
	v_sub_nc_u32_e32 v51, 29, v51
	s_delay_alu instid0(VALU_DEP_2) | instskip(NEXT) | instid1(VALU_DEP_1)
	v_lshlrev_b64 v[13:14], v13, v[2:3]
	v_and_b32_e32 v13, 7, v13
; %bb.3511:                             ;   in Loop: Header=BB356_2089 Depth=1
	s_or_b32 exec_lo, exec_lo, s24
	v_lshlrev_b32_e32 v2, 8, v53
	v_lshl_add_u32 v14, v51, 10, 0x2000
	s_delay_alu instid0(VALU_DEP_1) | instskip(NEXT) | instid1(VALU_DEP_1)
	v_and_or_b32 v2, 0x8000, v2, v14
	v_lshl_or_b32 v2, v13, 7, v2
	s_delay_alu instid0(VALU_DEP_1)
	v_cvt_f32_f16_e32 v51, v2
.LBB356_3512:                           ;   in Loop: Header=BB356_2089 Depth=1
	s_or_b32 exec_lo, exec_lo, s23
.LBB356_3513:                           ;   in Loop: Header=BB356_2089 Depth=1
	s_delay_alu instid0(SALU_CYCLE_1)
	s_or_b32 exec_lo, exec_lo, s22
.LBB356_3514:                           ;   in Loop: Header=BB356_2089 Depth=1
	s_delay_alu instid0(SALU_CYCLE_1) | instskip(SKIP_3) | instid1(VALU_DEP_2)
	s_or_b32 exec_lo, exec_lo, s21
	v_lshrrev_b32_e32 v147, 16, v11
	v_mov_b32_e32 v53, 0
	s_mov_b32 s21, exec_lo
	v_dual_mov_b32 v67, 0 :: v_dual_and_b32 v2, 0xff, v147
	s_delay_alu instid0(VALU_DEP_1)
	v_cmpx_ne_u16_e32 0, v2
	s_cbranch_execz .LBB356_3522
; %bb.3515:                             ;   in Loop: Header=BB356_2089 Depth=1
	v_bfrev_b32_e32 v53, 1
	s_mov_b32 s22, exec_lo
	v_cmpx_ne_u16_e32 0x80, v2
	s_cbranch_execz .LBB356_3521
; %bb.3516:                             ;   in Loop: Header=BB356_2089 Depth=1
	v_bfe_u32 v148, v11, 16, 7
	v_mov_b32_e32 v53, 0x7fc02000
	s_mov_b32 s23, exec_lo
	s_delay_alu instid0(VALU_DEP_2)
	v_cmpx_ne_u32_e32 0x7f, v148
	s_cbranch_execz .LBB356_3520
; %bb.3517:                             ;   in Loop: Header=BB356_2089 Depth=1
	v_and_b32_e32 v2, 7, v147
	v_lshrrev_b32_e32 v53, 3, v148
	v_mov_b32_e32 v14, v3
	s_mov_b32 s24, exec_lo
	s_delay_alu instid0(VALU_DEP_3)
	v_mov_b32_e32 v13, v2
	v_cmpx_gt_u32_e32 8, v148
; %bb.3518:                             ;   in Loop: Header=BB356_2089 Depth=1
	v_clz_i32_u32_e32 v13, v2
	s_delay_alu instid0(VALU_DEP_1) | instskip(NEXT) | instid1(VALU_DEP_1)
	v_min_u32_e32 v53, 32, v13
	v_subrev_nc_u32_e32 v13, 28, v53
	v_sub_nc_u32_e32 v53, 29, v53
	s_delay_alu instid0(VALU_DEP_2) | instskip(NEXT) | instid1(VALU_DEP_1)
	v_lshlrev_b64 v[13:14], v13, v[2:3]
	v_and_b32_e32 v13, 7, v13
; %bb.3519:                             ;   in Loop: Header=BB356_2089 Depth=1
	s_or_b32 exec_lo, exec_lo, s24
	v_lshlrev_b32_e32 v2, 8, v147
	v_lshl_add_u32 v14, v53, 10, 0x2000
	s_delay_alu instid0(VALU_DEP_1) | instskip(NEXT) | instid1(VALU_DEP_1)
	v_and_or_b32 v2, 0x8000, v2, v14
	v_lshl_or_b32 v2, v13, 7, v2
	s_delay_alu instid0(VALU_DEP_1)
	v_cvt_f32_f16_e32 v53, v2
.LBB356_3520:                           ;   in Loop: Header=BB356_2089 Depth=1
	s_or_b32 exec_lo, exec_lo, s23
.LBB356_3521:                           ;   in Loop: Header=BB356_2089 Depth=1
	s_delay_alu instid0(SALU_CYCLE_1)
	s_or_b32 exec_lo, exec_lo, s22
.LBB356_3522:                           ;   in Loop: Header=BB356_2089 Depth=1
	s_delay_alu instid0(SALU_CYCLE_1) | instskip(NEXT) | instid1(SALU_CYCLE_1)
	s_or_b32 exec_lo, exec_lo, s21
	s_mov_b32 s21, exec_lo
	v_cmpx_lt_u32_e32 0xffffff, v11
	s_cbranch_execz .LBB356_3530
; %bb.3523:                             ;   in Loop: Header=BB356_2089 Depth=1
	v_lshrrev_b32_e32 v147, 24, v11
	v_bfrev_b32_e32 v67, 1
	s_mov_b32 s22, exec_lo
	s_delay_alu instid0(VALU_DEP_2)
	v_cmpx_ne_u32_e32 0x80, v147
	s_cbranch_execz .LBB356_3529
; %bb.3524:                             ;   in Loop: Header=BB356_2089 Depth=1
	v_and_b32_e32 v148, 0x7f, v147
	v_mov_b32_e32 v67, 0x7fc02000
	s_mov_b32 s23, exec_lo
	s_delay_alu instid0(VALU_DEP_2)
	v_cmpx_ne_u32_e32 0x7f, v148
	s_cbranch_execz .LBB356_3528
; %bb.3525:                             ;   in Loop: Header=BB356_2089 Depth=1
	v_and_b32_e32 v2, 7, v147
	v_lshrrev_b32_e32 v67, 3, v148
	v_mov_b32_e32 v14, v3
	s_mov_b32 s24, exec_lo
	s_delay_alu instid0(VALU_DEP_3)
	v_mov_b32_e32 v13, v2
	v_cmpx_gt_u32_e32 8, v148
; %bb.3526:                             ;   in Loop: Header=BB356_2089 Depth=1
	v_clz_i32_u32_e32 v13, v2
	s_delay_alu instid0(VALU_DEP_1) | instskip(NEXT) | instid1(VALU_DEP_1)
	v_min_u32_e32 v67, 32, v13
	v_subrev_nc_u32_e32 v13, 28, v67
	v_sub_nc_u32_e32 v67, 29, v67
	s_delay_alu instid0(VALU_DEP_2) | instskip(NEXT) | instid1(VALU_DEP_1)
	v_lshlrev_b64 v[13:14], v13, v[2:3]
	v_and_b32_e32 v13, 7, v13
; %bb.3527:                             ;   in Loop: Header=BB356_2089 Depth=1
	s_or_b32 exec_lo, exec_lo, s24
	v_lshlrev_b32_e32 v2, 8, v147
	v_lshl_add_u32 v14, v67, 10, 0x2000
	s_delay_alu instid0(VALU_DEP_1) | instskip(NEXT) | instid1(VALU_DEP_1)
	v_and_or_b32 v2, 0x8000, v2, v14
	v_lshl_or_b32 v2, v13, 7, v2
	s_delay_alu instid0(VALU_DEP_1)
	v_cvt_f32_f16_e32 v67, v2
.LBB356_3528:                           ;   in Loop: Header=BB356_2089 Depth=1
	s_or_b32 exec_lo, exec_lo, s23
.LBB356_3529:                           ;   in Loop: Header=BB356_2089 Depth=1
	s_delay_alu instid0(SALU_CYCLE_1)
	s_or_b32 exec_lo, exec_lo, s22
.LBB356_3530:                           ;   in Loop: Header=BB356_2089 Depth=1
	s_delay_alu instid0(SALU_CYCLE_1) | instskip(SKIP_3) | instid1(VALU_DEP_2)
	s_or_b32 exec_lo, exec_lo, s21
	v_dual_mov_b32 v2, v12 :: v_dual_and_b32 v13, 0xff, v12
	v_dual_mov_b32 v148, 0 :: v_dual_mov_b32 v147, 0
	s_mov_b32 s21, exec_lo
	v_cmpx_ne_u16_e32 0, v13
	s_cbranch_execz .LBB356_3538
; %bb.3531:                             ;   in Loop: Header=BB356_2089 Depth=1
	v_bfrev_b32_e32 v147, 1
	s_mov_b32 s22, exec_lo
	v_cmpx_ne_u16_e32 0x80, v13
	s_cbranch_execz .LBB356_3537
; %bb.3532:                             ;   in Loop: Header=BB356_2089 Depth=1
	v_and_b32_e32 v61, 0x7f, v12
	v_mov_b32_e32 v147, 0x7fc02000
	s_mov_b32 s23, exec_lo
	s_delay_alu instid0(VALU_DEP_2)
	v_cmpx_ne_u32_e32 0x7f, v61
	s_cbranch_execz .LBB356_3536
; %bb.3533:                             ;   in Loop: Header=BB356_2089 Depth=1
	v_dual_mov_b32 v14, v3 :: v_dual_mov_b32 v13, v2
	v_lshrrev_b32_e32 v14, 3, v61
	s_mov_b32 s24, exec_lo
	v_cmpx_gt_u32_e32 8, v61
; %bb.3534:                             ;   in Loop: Header=BB356_2089 Depth=1
	v_and_b32_e32 v13, 7, v12
	s_delay_alu instid0(VALU_DEP_1) | instskip(NEXT) | instid1(VALU_DEP_1)
	v_clz_i32_u32_e32 v13, v13
	v_min_u32_e32 v147, 32, v13
	s_delay_alu instid0(VALU_DEP_1) | instskip(NEXT) | instid1(VALU_DEP_1)
	v_subrev_nc_u32_e32 v13, 28, v147
	v_lshlrev_b64 v[13:14], v13, v[2:3]
	v_sub_nc_u32_e32 v14, 29, v147
; %bb.3535:                             ;   in Loop: Header=BB356_2089 Depth=1
	s_or_b32 exec_lo, exec_lo, s24
	v_lshlrev_b32_e32 v147, 8, v12
	s_delay_alu instid0(VALU_DEP_2) | instskip(NEXT) | instid1(VALU_DEP_4)
	v_lshl_add_u32 v14, v14, 10, 0x2000
	v_lshlrev_b32_e32 v13, 7, v13
	s_delay_alu instid0(VALU_DEP_2) | instskip(NEXT) | instid1(VALU_DEP_1)
	v_and_or_b32 v14, 0x8000, v147, v14
	v_and_or_b32 v13, 0x380, v13, v14
	s_delay_alu instid0(VALU_DEP_1)
	v_cvt_f32_f16_e64 v147, v13
.LBB356_3536:                           ;   in Loop: Header=BB356_2089 Depth=1
	s_or_b32 exec_lo, exec_lo, s23
.LBB356_3537:                           ;   in Loop: Header=BB356_2089 Depth=1
	s_delay_alu instid0(SALU_CYCLE_1)
	s_or_b32 exec_lo, exec_lo, s22
.LBB356_3538:                           ;   in Loop: Header=BB356_2089 Depth=1
	s_delay_alu instid0(SALU_CYCLE_1) | instskip(SKIP_2) | instid1(VALU_DEP_1)
	s_or_b32 exec_lo, exec_lo, s21
	v_lshrrev_b16 v2, 8, v2
	s_mov_b32 s21, exec_lo
	v_cmpx_ne_u16_e32 0, v2
	s_cbranch_execz .LBB356_3546
; %bb.3539:                             ;   in Loop: Header=BB356_2089 Depth=1
	v_bfrev_b32_e32 v148, 1
	s_mov_b32 s22, exec_lo
	v_cmpx_ne_u16_e32 0x80, v2
	s_cbranch_execz .LBB356_3545
; %bb.3540:                             ;   in Loop: Header=BB356_2089 Depth=1
	v_and_b32_e32 v61, 0xffff, v2
	v_mov_b32_e32 v148, 0x7fc02000
	s_mov_b32 s23, exec_lo
	s_delay_alu instid0(VALU_DEP_2) | instskip(NEXT) | instid1(VALU_DEP_1)
	v_and_b32_e32 v62, 0x7f, v61
	v_cmpx_ne_u32_e32 0x7f, v62
	s_cbranch_execz .LBB356_3544
; %bb.3541:                             ;   in Loop: Header=BB356_2089 Depth=1
	v_and_b32_e32 v2, 7, v61
	v_lshrrev_b32_e32 v148, 3, v62
	v_mov_b32_e32 v14, v3
	s_mov_b32 s24, exec_lo
	s_delay_alu instid0(VALU_DEP_3)
	v_mov_b32_e32 v13, v2
	v_cmpx_gt_u32_e32 8, v62
; %bb.3542:                             ;   in Loop: Header=BB356_2089 Depth=1
	v_clz_i32_u32_e32 v13, v2
	s_delay_alu instid0(VALU_DEP_1) | instskip(NEXT) | instid1(VALU_DEP_1)
	v_min_u32_e32 v148, 32, v13
	v_subrev_nc_u32_e32 v13, 28, v148
	v_sub_nc_u32_e32 v148, 29, v148
	s_delay_alu instid0(VALU_DEP_2) | instskip(NEXT) | instid1(VALU_DEP_1)
	v_lshlrev_b64 v[13:14], v13, v[2:3]
	v_and_b32_e32 v13, 7, v13
; %bb.3543:                             ;   in Loop: Header=BB356_2089 Depth=1
	s_or_b32 exec_lo, exec_lo, s24
	v_lshlrev_b32_e32 v2, 8, v61
	v_lshl_add_u32 v14, v148, 10, 0x2000
	s_delay_alu instid0(VALU_DEP_1) | instskip(NEXT) | instid1(VALU_DEP_1)
	v_and_or_b32 v2, 0x8000, v2, v14
	v_lshl_or_b32 v2, v13, 7, v2
	s_delay_alu instid0(VALU_DEP_1)
	v_cvt_f32_f16_e64 v148, v2
.LBB356_3544:                           ;   in Loop: Header=BB356_2089 Depth=1
	s_or_b32 exec_lo, exec_lo, s23
.LBB356_3545:                           ;   in Loop: Header=BB356_2089 Depth=1
	s_delay_alu instid0(SALU_CYCLE_1)
	s_or_b32 exec_lo, exec_lo, s22
.LBB356_3546:                           ;   in Loop: Header=BB356_2089 Depth=1
	s_delay_alu instid0(SALU_CYCLE_1) | instskip(SKIP_3) | instid1(VALU_DEP_2)
	s_or_b32 exec_lo, exec_lo, s21
	v_lshrrev_b32_e32 v62, 16, v12
	v_mov_b32_e32 v13, 0
	s_mov_b32 s21, exec_lo
	v_dual_mov_b32 v61, 0 :: v_dual_and_b32 v2, 0xff, v62
	s_delay_alu instid0(VALU_DEP_1)
	v_cmpx_ne_u16_e32 0, v2
	s_cbranch_execz .LBB356_3554
; %bb.3547:                             ;   in Loop: Header=BB356_2089 Depth=1
	v_bfrev_b32_e32 v13, 1
	s_mov_b32 s22, exec_lo
	v_cmpx_ne_u16_e32 0x80, v2
	s_cbranch_execz .LBB356_3553
; %bb.3548:                             ;   in Loop: Header=BB356_2089 Depth=1
	v_bfe_u32 v72, v12, 16, 7
	v_mov_b32_e32 v13, 0x7fc02000
	s_mov_b32 s23, exec_lo
	s_delay_alu instid0(VALU_DEP_2)
	v_cmpx_ne_u32_e32 0x7f, v72
	s_cbranch_execz .LBB356_3552
; %bb.3549:                             ;   in Loop: Header=BB356_2089 Depth=1
	v_and_b32_e32 v2, 7, v62
	v_lshrrev_b32_e32 v63, 3, v72
	v_mov_b32_e32 v14, v3
	s_mov_b32 s24, exec_lo
	s_delay_alu instid0(VALU_DEP_3)
	v_mov_b32_e32 v13, v2
	v_cmpx_gt_u32_e32 8, v72
; %bb.3550:                             ;   in Loop: Header=BB356_2089 Depth=1
	v_clz_i32_u32_e32 v13, v2
	s_delay_alu instid0(VALU_DEP_1) | instskip(NEXT) | instid1(VALU_DEP_1)
	v_min_u32_e32 v63, 32, v13
	v_subrev_nc_u32_e32 v13, 28, v63
	v_sub_nc_u32_e32 v63, 29, v63
	s_delay_alu instid0(VALU_DEP_2) | instskip(NEXT) | instid1(VALU_DEP_1)
	v_lshlrev_b64 v[13:14], v13, v[2:3]
	v_and_b32_e32 v13, 7, v13
; %bb.3551:                             ;   in Loop: Header=BB356_2089 Depth=1
	s_or_b32 exec_lo, exec_lo, s24
	v_lshlrev_b32_e32 v2, 8, v62
	v_lshl_add_u32 v14, v63, 10, 0x2000
	s_delay_alu instid0(VALU_DEP_1) | instskip(NEXT) | instid1(VALU_DEP_1)
	v_and_or_b32 v2, 0x8000, v2, v14
	v_lshl_or_b32 v2, v13, 7, v2
	s_delay_alu instid0(VALU_DEP_1)
	v_cvt_f32_f16_e32 v13, v2
.LBB356_3552:                           ;   in Loop: Header=BB356_2089 Depth=1
	s_or_b32 exec_lo, exec_lo, s23
.LBB356_3553:                           ;   in Loop: Header=BB356_2089 Depth=1
	s_delay_alu instid0(SALU_CYCLE_1)
	s_or_b32 exec_lo, exec_lo, s22
.LBB356_3554:                           ;   in Loop: Header=BB356_2089 Depth=1
	s_delay_alu instid0(SALU_CYCLE_1) | instskip(NEXT) | instid1(SALU_CYCLE_1)
	s_or_b32 exec_lo, exec_lo, s21
	s_mov_b32 s21, exec_lo
	v_cmpx_lt_u64_e64 s[18:19], v[11:12]
	s_cbranch_execz .LBB356_3562
; %bb.3555:                             ;   in Loop: Header=BB356_2089 Depth=1
	v_lshrrev_b32_e32 v14, 24, v12
	v_bfrev_b32_e32 v61, 1
	s_mov_b32 s22, exec_lo
	s_delay_alu instid0(VALU_DEP_2)
	v_cmpx_ne_u32_e32 0x80, v14
	s_cbranch_execz .LBB356_3561
; %bb.3556:                             ;   in Loop: Header=BB356_2089 Depth=1
	v_and_b32_e32 v62, 0x7f, v14
	v_mov_b32_e32 v61, 0x7fc02000
	s_mov_b32 s23, exec_lo
	s_delay_alu instid0(VALU_DEP_2)
	v_cmpx_ne_u32_e32 0x7f, v62
	s_cbranch_execz .LBB356_3560
; %bb.3557:                             ;   in Loop: Header=BB356_2089 Depth=1
	v_and_b32_e32 v2, 7, v14
	v_lshrrev_b32_e32 v61, 3, v62
	v_mov_b32_e32 v12, v3
	s_mov_b32 s24, exec_lo
	s_delay_alu instid0(VALU_DEP_3)
	v_mov_b32_e32 v11, v2
	v_cmpx_gt_u32_e32 8, v62
; %bb.3558:                             ;   in Loop: Header=BB356_2089 Depth=1
	v_clz_i32_u32_e32 v11, v2
	s_delay_alu instid0(VALU_DEP_1) | instskip(NEXT) | instid1(VALU_DEP_1)
	v_min_u32_e32 v61, 32, v11
	v_subrev_nc_u32_e32 v11, 28, v61
	v_sub_nc_u32_e32 v61, 29, v61
	s_delay_alu instid0(VALU_DEP_2) | instskip(NEXT) | instid1(VALU_DEP_1)
	v_lshlrev_b64 v[11:12], v11, v[2:3]
	v_and_b32_e32 v11, 7, v11
; %bb.3559:                             ;   in Loop: Header=BB356_2089 Depth=1
	s_or_b32 exec_lo, exec_lo, s24
	v_lshlrev_b32_e32 v2, 8, v14
	v_lshl_add_u32 v12, v61, 10, 0x2000
	s_delay_alu instid0(VALU_DEP_1) | instskip(NEXT) | instid1(VALU_DEP_1)
	v_and_or_b32 v2, 0x8000, v2, v12
	v_lshl_or_b32 v2, v11, 7, v2
	s_delay_alu instid0(VALU_DEP_1)
	v_cvt_f32_f16_e32 v61, v2
.LBB356_3560:                           ;   in Loop: Header=BB356_2089 Depth=1
	s_or_b32 exec_lo, exec_lo, s23
.LBB356_3561:                           ;   in Loop: Header=BB356_2089 Depth=1
	s_delay_alu instid0(SALU_CYCLE_1)
	s_or_b32 exec_lo, exec_lo, s22
.LBB356_3562:                           ;   in Loop: Header=BB356_2089 Depth=1
	s_delay_alu instid0(SALU_CYCLE_1)
	s_or_b32 exec_lo, exec_lo, s21
	s_waitcnt vmcnt(0) lgkmcnt(0)
	v_fma_mixlo_f16 v2, v5, v67, 0
	v_fma_mixlo_f16 v11, v5, v53, 0
	;; [unrolled: 1-line block ×6, first 2 shown]
	v_lshlrev_b32_e32 v51, 16, v2
	v_and_b32_e32 v67, 0xffff, v11
	v_lshlrev_b32_e32 v62, 16, v50
	v_and_b32_e32 v63, 0xffff, v53
	v_cndmask_b32_e64 v11, 0, v11, s2
	v_cndmask_b32_e64 v2, 0, v2, s4
	;; [unrolled: 1-line block ×4, first 2 shown]
	v_lshlrev_b32_e32 v147, 16, v12
	v_and_b32_e32 v148, 0xffff, v14
	v_fma_mixlo_f16 v61, v5, v61, 0
	v_fma_mixlo_f16 v5, v5, v13, 0
	v_cndmask_b32_e32 v14, 0, v14, vcc_lo
	v_or_b32_e32 v13, v51, v67
	v_perm_b32 v2, v2, v11, 0x5040100
	v_perm_b32 v11, v50, v53, 0x5040100
	v_mov_b32_e32 v53, 0
	v_or_b32_e32 v67, v62, v63
	v_cndmask_b32_e64 v12, 0, v12, s0
	v_cndmask_b32_e64 v2, v13, v2, s1
	s_mov_b32 s21, exec_lo
	s_delay_alu instid0(VALU_DEP_3)
	v_cndmask_b32_e64 v11, v67, v11, s1
	v_mov_b32_e32 v67, 0
	v_or_b32_e32 v51, v147, v148
	v_lshlrev_b32_e32 v147, 16, v61
	v_and_b32_e32 v148, 0xffff, v5
	v_cndmask_b32_e64 v5, 0, v5, s3
	v_cndmask_b32_e64 v61, 0, v61, s5
	v_perm_b32 v12, v12, v14, 0x5040100
	s_delay_alu instid0(VALU_DEP_4) | instskip(NEXT) | instid1(VALU_DEP_3)
	v_or_b32_e32 v147, v147, v148
	v_perm_b32 v5, v61, v5, 0x5040100
	s_delay_alu instid0(VALU_DEP_3)
	v_cndmask_b32_e64 v12, v51, v12, s1
	;;#ASMSTART
	v_pk_mul_f16 v12, v146, v12;

	;;#ASMEND
	;;#ASMSTART
	v_pk_mul_f16 v2, v145, v2;

	;;#ASMEND
	;;#ASMSTART
	v_pk_mul_f16 v11, v144, v11;

	;;#ASMEND
	v_cndmask_b32_e64 v5, v147, v5, s1
	;;#ASMSTART
	v_pk_mul_f16 v5, v149, v5;

	;;#ASMEND
	;;#ASMSTART
	v_pk_add_f16 v2, v12, v2;

	;;#ASMEND
	;;#ASMSTART
	v_pk_add_f16 v2, v2, v11;

	;;#ASMEND
	v_add_co_u32 v11, s8, v9, v117
	s_delay_alu instid0(VALU_DEP_1)
	v_add_co_ci_u32_e64 v12, s8, 0, v10, s8
	;;#ASMSTART
	v_pk_add_f16 v2, v2, v5;

	;;#ASMEND
	v_lshrrev_b32_e32 v13, 16, v2
	v_and_b32_e32 v2, 0xffff, v2
	;;#ASMSTART
	v_cvt_f32_f16 v5, v2;
	;;#ASMEND
	;;#ASMSTART
	v_cvt_f32_f16 v50, v13;
	;;#ASMEND
	flat_load_b64 v[11:12], v[11:12]
	flat_load_b32 v51, v[26:27]
	s_waitcnt vmcnt(1) lgkmcnt(1)
	v_and_b32_e32 v2, 0xff, v11
	s_delay_alu instid0(VALU_DEP_1)
	v_cmpx_ne_u16_e32 0, v2
	s_cbranch_execz .LBB356_3570
; %bb.3563:                             ;   in Loop: Header=BB356_2089 Depth=1
	v_bfrev_b32_e32 v53, 1
	s_mov_b32 s22, exec_lo
	v_cmpx_ne_u16_e32 0x80, v2
	s_cbranch_execz .LBB356_3569
; %bb.3564:                             ;   in Loop: Header=BB356_2089 Depth=1
	v_and_b32_e32 v13, 0x7f, v11
	v_mov_b32_e32 v53, 0x7fc02000
	s_mov_b32 s23, exec_lo
	s_delay_alu instid0(VALU_DEP_2)
	v_cmpx_ne_u32_e32 0x7f, v13
	s_cbranch_execz .LBB356_3568
; %bb.3565:                             ;   in Loop: Header=BB356_2089 Depth=1
	v_lshrrev_b32_e32 v2, 3, v13
	v_cmp_gt_u32_e64 s8, 8, v13
	v_dual_mov_b32 v14, v12 :: v_dual_mov_b32 v13, v11
	s_delay_alu instid0(VALU_DEP_2)
	s_and_saveexec_b32 s24, s8
; %bb.3566:                             ;   in Loop: Header=BB356_2089 Depth=1
	v_and_b32_e32 v2, 7, v11
	s_delay_alu instid0(VALU_DEP_1) | instskip(NEXT) | instid1(VALU_DEP_1)
	v_clz_i32_u32_e32 v2, v2
	v_min_u32_e32 v2, 32, v2
	s_delay_alu instid0(VALU_DEP_1) | instskip(SKIP_1) | instid1(VALU_DEP_2)
	v_subrev_nc_u32_e32 v13, 28, v2
	v_sub_nc_u32_e32 v2, 29, v2
	v_lshlrev_b64 v[13:14], v13, v[11:12]
; %bb.3567:                             ;   in Loop: Header=BB356_2089 Depth=1
	s_or_b32 exec_lo, exec_lo, s24
	v_lshlrev_b32_e32 v14, 8, v11
	s_delay_alu instid0(VALU_DEP_3) | instskip(NEXT) | instid1(VALU_DEP_3)
	v_lshl_add_u32 v2, v2, 10, 0x2000
	v_lshlrev_b32_e32 v13, 7, v13
	s_delay_alu instid0(VALU_DEP_2) | instskip(NEXT) | instid1(VALU_DEP_1)
	v_and_or_b32 v2, 0x8000, v14, v2
	v_and_or_b32 v2, 0x380, v13, v2
	s_delay_alu instid0(VALU_DEP_1)
	v_cvt_f32_f16_e32 v53, v2
.LBB356_3568:                           ;   in Loop: Header=BB356_2089 Depth=1
	s_or_b32 exec_lo, exec_lo, s23
.LBB356_3569:                           ;   in Loop: Header=BB356_2089 Depth=1
	s_delay_alu instid0(SALU_CYCLE_1)
	s_or_b32 exec_lo, exec_lo, s22
.LBB356_3570:                           ;   in Loop: Header=BB356_2089 Depth=1
	s_delay_alu instid0(SALU_CYCLE_1) | instskip(SKIP_2) | instid1(VALU_DEP_1)
	s_or_b32 exec_lo, exec_lo, s21
	v_lshrrev_b16 v2, 8, v11
	s_mov_b32 s21, exec_lo
	v_cmpx_ne_u16_e32 0, v2
	s_cbranch_execz .LBB356_3578
; %bb.3571:                             ;   in Loop: Header=BB356_2089 Depth=1
	v_bfrev_b32_e32 v67, 1
	s_mov_b32 s22, exec_lo
	v_cmpx_ne_u16_e32 0x80, v2
	s_cbranch_execz .LBB356_3577
; %bb.3572:                             ;   in Loop: Header=BB356_2089 Depth=1
	v_and_b32_e32 v147, 0xffff, v2
	v_mov_b32_e32 v67, 0x7fc02000
	s_mov_b32 s23, exec_lo
	s_delay_alu instid0(VALU_DEP_2) | instskip(NEXT) | instid1(VALU_DEP_1)
	v_and_b32_e32 v148, 0x7f, v147
	v_cmpx_ne_u32_e32 0x7f, v148
	s_cbranch_execz .LBB356_3576
; %bb.3573:                             ;   in Loop: Header=BB356_2089 Depth=1
	v_and_b32_e32 v2, 7, v147
	v_lshrrev_b32_e32 v67, 3, v148
	v_mov_b32_e32 v14, v3
	s_mov_b32 s24, exec_lo
	s_delay_alu instid0(VALU_DEP_3)
	v_mov_b32_e32 v13, v2
	v_cmpx_gt_u32_e32 8, v148
; %bb.3574:                             ;   in Loop: Header=BB356_2089 Depth=1
	v_clz_i32_u32_e32 v13, v2
	s_delay_alu instid0(VALU_DEP_1) | instskip(NEXT) | instid1(VALU_DEP_1)
	v_min_u32_e32 v67, 32, v13
	v_subrev_nc_u32_e32 v13, 28, v67
	v_sub_nc_u32_e32 v67, 29, v67
	s_delay_alu instid0(VALU_DEP_2) | instskip(NEXT) | instid1(VALU_DEP_1)
	v_lshlrev_b64 v[13:14], v13, v[2:3]
	v_and_b32_e32 v13, 7, v13
; %bb.3575:                             ;   in Loop: Header=BB356_2089 Depth=1
	s_or_b32 exec_lo, exec_lo, s24
	v_lshlrev_b32_e32 v2, 8, v147
	v_lshl_add_u32 v14, v67, 10, 0x2000
	s_delay_alu instid0(VALU_DEP_1) | instskip(NEXT) | instid1(VALU_DEP_1)
	v_and_or_b32 v2, 0x8000, v2, v14
	v_lshl_or_b32 v2, v13, 7, v2
	s_delay_alu instid0(VALU_DEP_1)
	v_cvt_f32_f16_e32 v67, v2
.LBB356_3576:                           ;   in Loop: Header=BB356_2089 Depth=1
	s_or_b32 exec_lo, exec_lo, s23
.LBB356_3577:                           ;   in Loop: Header=BB356_2089 Depth=1
	s_delay_alu instid0(SALU_CYCLE_1)
	s_or_b32 exec_lo, exec_lo, s22
.LBB356_3578:                           ;   in Loop: Header=BB356_2089 Depth=1
	s_delay_alu instid0(SALU_CYCLE_1) | instskip(SKIP_3) | instid1(VALU_DEP_2)
	s_or_b32 exec_lo, exec_lo, s21
	v_lshrrev_b32_e32 v61, 16, v11
	v_mov_b32_e32 v148, 0
	s_mov_b32 s21, exec_lo
	v_dual_mov_b32 v147, 0 :: v_dual_and_b32 v2, 0xff, v61
	s_delay_alu instid0(VALU_DEP_1)
	v_cmpx_ne_u16_e32 0, v2
	s_cbranch_execz .LBB356_3586
; %bb.3579:                             ;   in Loop: Header=BB356_2089 Depth=1
	v_bfrev_b32_e32 v147, 1
	s_mov_b32 s22, exec_lo
	v_cmpx_ne_u16_e32 0x80, v2
	s_cbranch_execz .LBB356_3585
; %bb.3580:                             ;   in Loop: Header=BB356_2089 Depth=1
	v_bfe_u32 v62, v11, 16, 7
	v_mov_b32_e32 v147, 0x7fc02000
	s_mov_b32 s23, exec_lo
	s_delay_alu instid0(VALU_DEP_2)
	v_cmpx_ne_u32_e32 0x7f, v62
	s_cbranch_execz .LBB356_3584
; %bb.3581:                             ;   in Loop: Header=BB356_2089 Depth=1
	v_and_b32_e32 v2, 7, v61
	v_lshrrev_b32_e32 v147, 3, v62
	v_mov_b32_e32 v14, v3
	s_mov_b32 s24, exec_lo
	s_delay_alu instid0(VALU_DEP_3)
	v_mov_b32_e32 v13, v2
	v_cmpx_gt_u32_e32 8, v62
; %bb.3582:                             ;   in Loop: Header=BB356_2089 Depth=1
	v_clz_i32_u32_e32 v13, v2
	s_delay_alu instid0(VALU_DEP_1) | instskip(NEXT) | instid1(VALU_DEP_1)
	v_min_u32_e32 v147, 32, v13
	v_subrev_nc_u32_e32 v13, 28, v147
	v_sub_nc_u32_e32 v147, 29, v147
	s_delay_alu instid0(VALU_DEP_2) | instskip(NEXT) | instid1(VALU_DEP_1)
	v_lshlrev_b64 v[13:14], v13, v[2:3]
	v_and_b32_e32 v13, 7, v13
; %bb.3583:                             ;   in Loop: Header=BB356_2089 Depth=1
	s_or_b32 exec_lo, exec_lo, s24
	v_lshlrev_b32_e32 v2, 8, v61
	v_lshl_add_u32 v14, v147, 10, 0x2000
	s_delay_alu instid0(VALU_DEP_1) | instskip(NEXT) | instid1(VALU_DEP_1)
	v_and_or_b32 v2, 0x8000, v2, v14
	v_lshl_or_b32 v2, v13, 7, v2
	s_delay_alu instid0(VALU_DEP_1)
	v_cvt_f32_f16_e64 v147, v2
.LBB356_3584:                           ;   in Loop: Header=BB356_2089 Depth=1
	s_or_b32 exec_lo, exec_lo, s23
.LBB356_3585:                           ;   in Loop: Header=BB356_2089 Depth=1
	s_delay_alu instid0(SALU_CYCLE_1)
	s_or_b32 exec_lo, exec_lo, s22
.LBB356_3586:                           ;   in Loop: Header=BB356_2089 Depth=1
	s_delay_alu instid0(SALU_CYCLE_1) | instskip(NEXT) | instid1(SALU_CYCLE_1)
	s_or_b32 exec_lo, exec_lo, s21
	s_mov_b32 s21, exec_lo
	v_cmpx_lt_u32_e32 0xffffff, v11
	s_cbranch_execz .LBB356_3594
; %bb.3587:                             ;   in Loop: Header=BB356_2089 Depth=1
	v_lshrrev_b32_e32 v61, 24, v11
	v_bfrev_b32_e32 v148, 1
	s_mov_b32 s22, exec_lo
	s_delay_alu instid0(VALU_DEP_2)
	v_cmpx_ne_u32_e32 0x80, v61
	s_cbranch_execz .LBB356_3593
; %bb.3588:                             ;   in Loop: Header=BB356_2089 Depth=1
	v_and_b32_e32 v62, 0x7f, v61
	v_mov_b32_e32 v148, 0x7fc02000
	s_mov_b32 s23, exec_lo
	s_delay_alu instid0(VALU_DEP_2)
	v_cmpx_ne_u32_e32 0x7f, v62
	s_cbranch_execz .LBB356_3592
; %bb.3589:                             ;   in Loop: Header=BB356_2089 Depth=1
	v_and_b32_e32 v2, 7, v61
	v_lshrrev_b32_e32 v148, 3, v62
	v_mov_b32_e32 v14, v3
	s_mov_b32 s24, exec_lo
	s_delay_alu instid0(VALU_DEP_3)
	v_mov_b32_e32 v13, v2
	v_cmpx_gt_u32_e32 8, v62
; %bb.3590:                             ;   in Loop: Header=BB356_2089 Depth=1
	v_clz_i32_u32_e32 v13, v2
	s_delay_alu instid0(VALU_DEP_1) | instskip(NEXT) | instid1(VALU_DEP_1)
	v_min_u32_e32 v148, 32, v13
	v_subrev_nc_u32_e32 v13, 28, v148
	v_sub_nc_u32_e32 v148, 29, v148
	s_delay_alu instid0(VALU_DEP_2) | instskip(NEXT) | instid1(VALU_DEP_1)
	v_lshlrev_b64 v[13:14], v13, v[2:3]
	v_and_b32_e32 v13, 7, v13
; %bb.3591:                             ;   in Loop: Header=BB356_2089 Depth=1
	s_or_b32 exec_lo, exec_lo, s24
	v_lshlrev_b32_e32 v2, 8, v61
	v_lshl_add_u32 v14, v148, 10, 0x2000
	s_delay_alu instid0(VALU_DEP_1) | instskip(NEXT) | instid1(VALU_DEP_1)
	v_and_or_b32 v2, 0x8000, v2, v14
	v_lshl_or_b32 v2, v13, 7, v2
	s_delay_alu instid0(VALU_DEP_1)
	v_cvt_f32_f16_e64 v148, v2
.LBB356_3592:                           ;   in Loop: Header=BB356_2089 Depth=1
	s_or_b32 exec_lo, exec_lo, s23
.LBB356_3593:                           ;   in Loop: Header=BB356_2089 Depth=1
	s_delay_alu instid0(SALU_CYCLE_1)
	s_or_b32 exec_lo, exec_lo, s22
.LBB356_3594:                           ;   in Loop: Header=BB356_2089 Depth=1
	s_delay_alu instid0(SALU_CYCLE_1) | instskip(SKIP_3) | instid1(VALU_DEP_2)
	s_or_b32 exec_lo, exec_lo, s21
	v_dual_mov_b32 v2, v12 :: v_dual_and_b32 v13, 0xff, v12
	v_dual_mov_b32 v62, 0 :: v_dual_mov_b32 v61, 0
	s_mov_b32 s21, exec_lo
	v_cmpx_ne_u16_e32 0, v13
	s_cbranch_execz .LBB356_3602
; %bb.3595:                             ;   in Loop: Header=BB356_2089 Depth=1
	v_bfrev_b32_e32 v61, 1
	s_mov_b32 s22, exec_lo
	v_cmpx_ne_u16_e32 0x80, v13
	s_cbranch_execz .LBB356_3601
; %bb.3596:                             ;   in Loop: Header=BB356_2089 Depth=1
	v_and_b32_e32 v63, 0x7f, v12
	v_mov_b32_e32 v61, 0x7fc02000
	s_mov_b32 s23, exec_lo
	s_delay_alu instid0(VALU_DEP_2)
	v_cmpx_ne_u32_e32 0x7f, v63
	s_cbranch_execz .LBB356_3600
; %bb.3597:                             ;   in Loop: Header=BB356_2089 Depth=1
	v_dual_mov_b32 v14, v3 :: v_dual_mov_b32 v13, v2
	v_lshrrev_b32_e32 v14, 3, v63
	s_mov_b32 s24, exec_lo
	v_cmpx_gt_u32_e32 8, v63
; %bb.3598:                             ;   in Loop: Header=BB356_2089 Depth=1
	v_and_b32_e32 v13, 7, v12
	s_delay_alu instid0(VALU_DEP_1) | instskip(NEXT) | instid1(VALU_DEP_1)
	v_clz_i32_u32_e32 v13, v13
	v_min_u32_e32 v61, 32, v13
	s_delay_alu instid0(VALU_DEP_1) | instskip(NEXT) | instid1(VALU_DEP_1)
	v_subrev_nc_u32_e32 v13, 28, v61
	v_lshlrev_b64 v[13:14], v13, v[2:3]
	v_sub_nc_u32_e32 v14, 29, v61
; %bb.3599:                             ;   in Loop: Header=BB356_2089 Depth=1
	s_or_b32 exec_lo, exec_lo, s24
	v_lshlrev_b32_e32 v61, 8, v12
	s_delay_alu instid0(VALU_DEP_2) | instskip(NEXT) | instid1(VALU_DEP_4)
	v_lshl_add_u32 v14, v14, 10, 0x2000
	v_lshlrev_b32_e32 v13, 7, v13
	s_delay_alu instid0(VALU_DEP_2) | instskip(NEXT) | instid1(VALU_DEP_1)
	v_and_or_b32 v14, 0x8000, v61, v14
	v_and_or_b32 v13, 0x380, v13, v14
	s_delay_alu instid0(VALU_DEP_1)
	v_cvt_f32_f16_e32 v61, v13
.LBB356_3600:                           ;   in Loop: Header=BB356_2089 Depth=1
	s_or_b32 exec_lo, exec_lo, s23
.LBB356_3601:                           ;   in Loop: Header=BB356_2089 Depth=1
	s_delay_alu instid0(SALU_CYCLE_1)
	s_or_b32 exec_lo, exec_lo, s22
.LBB356_3602:                           ;   in Loop: Header=BB356_2089 Depth=1
	s_delay_alu instid0(SALU_CYCLE_1) | instskip(SKIP_2) | instid1(VALU_DEP_1)
	s_or_b32 exec_lo, exec_lo, s21
	v_lshrrev_b16 v2, 8, v2
	s_mov_b32 s21, exec_lo
	v_cmpx_ne_u16_e32 0, v2
	s_cbranch_execz .LBB356_3610
; %bb.3603:                             ;   in Loop: Header=BB356_2089 Depth=1
	v_bfrev_b32_e32 v62, 1
	s_mov_b32 s22, exec_lo
	v_cmpx_ne_u16_e32 0x80, v2
	s_cbranch_execz .LBB356_3609
; %bb.3604:                             ;   in Loop: Header=BB356_2089 Depth=1
	v_and_b32_e32 v63, 0xffff, v2
	v_mov_b32_e32 v62, 0x7fc02000
	s_mov_b32 s23, exec_lo
	s_delay_alu instid0(VALU_DEP_2) | instskip(NEXT) | instid1(VALU_DEP_1)
	v_and_b32_e32 v72, 0x7f, v63
	v_cmpx_ne_u32_e32 0x7f, v72
	s_cbranch_execz .LBB356_3608
; %bb.3605:                             ;   in Loop: Header=BB356_2089 Depth=1
	v_and_b32_e32 v2, 7, v63
	v_lshrrev_b32_e32 v62, 3, v72
	v_mov_b32_e32 v14, v3
	s_mov_b32 s24, exec_lo
	s_delay_alu instid0(VALU_DEP_3)
	v_mov_b32_e32 v13, v2
	v_cmpx_gt_u32_e32 8, v72
; %bb.3606:                             ;   in Loop: Header=BB356_2089 Depth=1
	v_clz_i32_u32_e32 v13, v2
	s_delay_alu instid0(VALU_DEP_1) | instskip(NEXT) | instid1(VALU_DEP_1)
	v_min_u32_e32 v62, 32, v13
	v_subrev_nc_u32_e32 v13, 28, v62
	v_sub_nc_u32_e32 v62, 29, v62
	s_delay_alu instid0(VALU_DEP_2) | instskip(NEXT) | instid1(VALU_DEP_1)
	v_lshlrev_b64 v[13:14], v13, v[2:3]
	v_and_b32_e32 v13, 7, v13
; %bb.3607:                             ;   in Loop: Header=BB356_2089 Depth=1
	s_or_b32 exec_lo, exec_lo, s24
	v_lshlrev_b32_e32 v2, 8, v63
	v_lshl_add_u32 v14, v62, 10, 0x2000
	s_delay_alu instid0(VALU_DEP_1) | instskip(NEXT) | instid1(VALU_DEP_1)
	v_and_or_b32 v2, 0x8000, v2, v14
	v_lshl_or_b32 v2, v13, 7, v2
	s_delay_alu instid0(VALU_DEP_1)
	v_cvt_f32_f16_e32 v62, v2
.LBB356_3608:                           ;   in Loop: Header=BB356_2089 Depth=1
	s_or_b32 exec_lo, exec_lo, s23
.LBB356_3609:                           ;   in Loop: Header=BB356_2089 Depth=1
	s_delay_alu instid0(SALU_CYCLE_1)
	s_or_b32 exec_lo, exec_lo, s22
.LBB356_3610:                           ;   in Loop: Header=BB356_2089 Depth=1
	s_delay_alu instid0(SALU_CYCLE_1) | instskip(SKIP_3) | instid1(VALU_DEP_2)
	s_or_b32 exec_lo, exec_lo, s21
	v_lshrrev_b32_e32 v72, 16, v12
	v_mov_b32_e32 v13, 0
	s_mov_b32 s21, exec_lo
	v_dual_mov_b32 v63, 0 :: v_dual_and_b32 v2, 0xff, v72
	s_delay_alu instid0(VALU_DEP_1)
	v_cmpx_ne_u16_e32 0, v2
	s_cbranch_execz .LBB356_3618
; %bb.3611:                             ;   in Loop: Header=BB356_2089 Depth=1
	v_bfrev_b32_e32 v13, 1
	s_mov_b32 s22, exec_lo
	v_cmpx_ne_u16_e32 0x80, v2
	s_cbranch_execz .LBB356_3617
; %bb.3612:                             ;   in Loop: Header=BB356_2089 Depth=1
	v_bfe_u32 v74, v12, 16, 7
	v_mov_b32_e32 v13, 0x7fc02000
	s_mov_b32 s23, exec_lo
	s_delay_alu instid0(VALU_DEP_2)
	v_cmpx_ne_u32_e32 0x7f, v74
	s_cbranch_execz .LBB356_3616
; %bb.3613:                             ;   in Loop: Header=BB356_2089 Depth=1
	v_and_b32_e32 v2, 7, v72
	v_lshrrev_b32_e32 v73, 3, v74
	v_mov_b32_e32 v14, v3
	s_mov_b32 s24, exec_lo
	s_delay_alu instid0(VALU_DEP_3)
	v_mov_b32_e32 v13, v2
	v_cmpx_gt_u32_e32 8, v74
; %bb.3614:                             ;   in Loop: Header=BB356_2089 Depth=1
	v_clz_i32_u32_e32 v13, v2
	s_delay_alu instid0(VALU_DEP_1) | instskip(NEXT) | instid1(VALU_DEP_1)
	v_min_u32_e32 v73, 32, v13
	v_subrev_nc_u32_e32 v13, 28, v73
	v_sub_nc_u32_e32 v73, 29, v73
	s_delay_alu instid0(VALU_DEP_2) | instskip(NEXT) | instid1(VALU_DEP_1)
	v_lshlrev_b64 v[13:14], v13, v[2:3]
	v_and_b32_e32 v13, 7, v13
; %bb.3615:                             ;   in Loop: Header=BB356_2089 Depth=1
	s_or_b32 exec_lo, exec_lo, s24
	v_lshlrev_b32_e32 v2, 8, v72
	v_lshl_add_u32 v14, v73, 10, 0x2000
	s_delay_alu instid0(VALU_DEP_1) | instskip(NEXT) | instid1(VALU_DEP_1)
	v_and_or_b32 v2, 0x8000, v2, v14
	v_lshl_or_b32 v2, v13, 7, v2
	s_delay_alu instid0(VALU_DEP_1)
	v_cvt_f32_f16_e32 v13, v2
.LBB356_3616:                           ;   in Loop: Header=BB356_2089 Depth=1
	s_or_b32 exec_lo, exec_lo, s23
.LBB356_3617:                           ;   in Loop: Header=BB356_2089 Depth=1
	s_delay_alu instid0(SALU_CYCLE_1)
	s_or_b32 exec_lo, exec_lo, s22
.LBB356_3618:                           ;   in Loop: Header=BB356_2089 Depth=1
	s_delay_alu instid0(SALU_CYCLE_1) | instskip(NEXT) | instid1(SALU_CYCLE_1)
	s_or_b32 exec_lo, exec_lo, s21
	s_mov_b32 s21, exec_lo
	v_cmpx_lt_u64_e64 s[18:19], v[11:12]
	s_cbranch_execz .LBB356_3626
; %bb.3619:                             ;   in Loop: Header=BB356_2089 Depth=1
	v_lshrrev_b32_e32 v14, 24, v12
	v_bfrev_b32_e32 v63, 1
	s_mov_b32 s22, exec_lo
	s_delay_alu instid0(VALU_DEP_2)
	v_cmpx_ne_u32_e32 0x80, v14
	s_cbranch_execz .LBB356_3625
; %bb.3620:                             ;   in Loop: Header=BB356_2089 Depth=1
	v_and_b32_e32 v72, 0x7f, v14
	v_mov_b32_e32 v63, 0x7fc02000
	s_mov_b32 s23, exec_lo
	s_delay_alu instid0(VALU_DEP_2)
	v_cmpx_ne_u32_e32 0x7f, v72
	s_cbranch_execz .LBB356_3624
; %bb.3621:                             ;   in Loop: Header=BB356_2089 Depth=1
	v_and_b32_e32 v2, 7, v14
	v_lshrrev_b32_e32 v63, 3, v72
	v_mov_b32_e32 v12, v3
	s_mov_b32 s24, exec_lo
	s_delay_alu instid0(VALU_DEP_3)
	v_mov_b32_e32 v11, v2
	v_cmpx_gt_u32_e32 8, v72
; %bb.3622:                             ;   in Loop: Header=BB356_2089 Depth=1
	v_clz_i32_u32_e32 v11, v2
	s_delay_alu instid0(VALU_DEP_1) | instskip(NEXT) | instid1(VALU_DEP_1)
	v_min_u32_e32 v63, 32, v11
	v_subrev_nc_u32_e32 v11, 28, v63
	v_sub_nc_u32_e32 v63, 29, v63
	s_delay_alu instid0(VALU_DEP_2) | instskip(NEXT) | instid1(VALU_DEP_1)
	v_lshlrev_b64 v[11:12], v11, v[2:3]
	v_and_b32_e32 v11, 7, v11
; %bb.3623:                             ;   in Loop: Header=BB356_2089 Depth=1
	s_or_b32 exec_lo, exec_lo, s24
	v_lshlrev_b32_e32 v2, 8, v14
	v_lshl_add_u32 v12, v63, 10, 0x2000
	s_delay_alu instid0(VALU_DEP_1) | instskip(NEXT) | instid1(VALU_DEP_1)
	v_and_or_b32 v2, 0x8000, v2, v12
	v_lshl_or_b32 v2, v11, 7, v2
	s_delay_alu instid0(VALU_DEP_1)
	v_cvt_f32_f16_e32 v63, v2
.LBB356_3624:                           ;   in Loop: Header=BB356_2089 Depth=1
	s_or_b32 exec_lo, exec_lo, s23
.LBB356_3625:                           ;   in Loop: Header=BB356_2089 Depth=1
	s_delay_alu instid0(SALU_CYCLE_1)
	s_or_b32 exec_lo, exec_lo, s22
.LBB356_3626:                           ;   in Loop: Header=BB356_2089 Depth=1
	s_delay_alu instid0(SALU_CYCLE_1)
	s_or_b32 exec_lo, exec_lo, s21
	s_waitcnt vmcnt(0) lgkmcnt(0)
	v_fma_mixlo_f16 v2, v51, v148, 0
	v_fma_mixlo_f16 v11, v51, v147, 0
	v_fma_mixlo_f16 v12, v51, v67, 0
	v_fma_mixlo_f16 v14, v51, v53, 0
	v_fma_mixlo_f16 v53, v51, v62, 0
	v_fma_mixlo_f16 v147, v51, v61, 0
	v_lshlrev_b32_e32 v67, 16, v2
	v_and_b32_e32 v148, 0xffff, v11
	v_lshlrev_b32_e32 v61, 16, v12
	v_and_b32_e32 v62, 0xffff, v14
	v_cndmask_b32_e32 v14, 0, v14, vcc_lo
	v_lshlrev_b32_e32 v72, 16, v53
	v_and_b32_e32 v73, 0xffff, v147
	v_fma_mixlo_f16 v63, v51, v63, 0
	v_fma_mixlo_f16 v13, v51, v13, 0
	v_cndmask_b32_e64 v11, 0, v11, s2
	v_cndmask_b32_e64 v2, 0, v2, s4
	;; [unrolled: 1-line block ×5, first 2 shown]
	s_mov_b32 s21, exec_lo
	v_perm_b32 v2, v2, v11, 0x5040100
	s_delay_alu instid0(VALU_DEP_3)
	v_perm_b32 v11, v53, v147, 0x5040100
	v_mov_b32_e32 v147, 0
	v_or_b32_e32 v51, v67, v148
	v_or_b32_e32 v67, v61, v62
	v_lshlrev_b32_e32 v61, 16, v63
	v_and_b32_e32 v62, 0xffff, v13
	v_cndmask_b32_e64 v13, 0, v13, s3
	v_cndmask_b32_e64 v63, 0, v63, s5
	v_perm_b32 v12, v12, v14, 0x5040100
	v_or_b32_e32 v148, v72, v73
	v_or_b32_e32 v61, v61, v62
	v_cndmask_b32_e64 v2, v51, v2, s1
	v_perm_b32 v13, v63, v13, 0x5040100
	v_cndmask_b32_e64 v12, v67, v12, s1
	v_cndmask_b32_e64 v11, v148, v11, s1
	;;#ASMSTART
	v_pk_mul_f16 v12, v146, v12;

	;;#ASMEND
	;;#ASMSTART
	v_pk_mul_f16 v2, v145, v2;

	;;#ASMEND
	v_cndmask_b32_e64 v13, v61, v13, s1
	;;#ASMSTART
	v_pk_mul_f16 v11, v144, v11;

	;;#ASMEND
	;;#ASMSTART
	v_pk_mul_f16 v13, v149, v13;

	;;#ASMEND
	;;#ASMSTART
	v_pk_add_f16 v2, v12, v2;

	;;#ASMEND
	;;#ASMSTART
	v_pk_add_f16 v2, v2, v11;

	;;#ASMEND
	v_add_co_u32 v11, s8, v9, v25
	s_delay_alu instid0(VALU_DEP_1)
	v_add_co_ci_u32_e64 v12, s8, 0, v10, s8
	;;#ASMSTART
	v_pk_add_f16 v2, v2, v13;

	;;#ASMEND
	v_lshrrev_b32_e32 v13, 16, v2
	v_and_b32_e32 v2, 0xffff, v2
	;;#ASMSTART
	v_cvt_f32_f16 v51, v2;
	;;#ASMEND
	;;#ASMSTART
	v_cvt_f32_f16 v53, v13;
	;;#ASMEND
	flat_load_b64 v[11:12], v[11:12]
	flat_load_b32 v67, v[26:27]
	v_mov_b32_e32 v148, 0
	s_waitcnt vmcnt(1) lgkmcnt(1)
	v_and_b32_e32 v2, 0xff, v11
	s_delay_alu instid0(VALU_DEP_1)
	v_cmpx_ne_u16_e32 0, v2
	s_cbranch_execz .LBB356_3634
; %bb.3627:                             ;   in Loop: Header=BB356_2089 Depth=1
	v_bfrev_b32_e32 v147, 1
	s_mov_b32 s22, exec_lo
	v_cmpx_ne_u16_e32 0x80, v2
	s_cbranch_execz .LBB356_3633
; %bb.3628:                             ;   in Loop: Header=BB356_2089 Depth=1
	v_and_b32_e32 v13, 0x7f, v11
	v_mov_b32_e32 v147, 0x7fc02000
	s_mov_b32 s23, exec_lo
	s_delay_alu instid0(VALU_DEP_2)
	v_cmpx_ne_u32_e32 0x7f, v13
	s_cbranch_execz .LBB356_3632
; %bb.3629:                             ;   in Loop: Header=BB356_2089 Depth=1
	v_lshrrev_b32_e32 v2, 3, v13
	v_cmp_gt_u32_e64 s8, 8, v13
	v_dual_mov_b32 v14, v12 :: v_dual_mov_b32 v13, v11
	s_delay_alu instid0(VALU_DEP_2)
	s_and_saveexec_b32 s24, s8
; %bb.3630:                             ;   in Loop: Header=BB356_2089 Depth=1
	v_and_b32_e32 v2, 7, v11
	s_delay_alu instid0(VALU_DEP_1) | instskip(NEXT) | instid1(VALU_DEP_1)
	v_clz_i32_u32_e32 v2, v2
	v_min_u32_e32 v2, 32, v2
	s_delay_alu instid0(VALU_DEP_1) | instskip(SKIP_1) | instid1(VALU_DEP_2)
	v_subrev_nc_u32_e32 v13, 28, v2
	v_sub_nc_u32_e32 v2, 29, v2
	v_lshlrev_b64 v[13:14], v13, v[11:12]
; %bb.3631:                             ;   in Loop: Header=BB356_2089 Depth=1
	s_or_b32 exec_lo, exec_lo, s24
	v_lshlrev_b32_e32 v14, 8, v11
	s_delay_alu instid0(VALU_DEP_3) | instskip(NEXT) | instid1(VALU_DEP_3)
	v_lshl_add_u32 v2, v2, 10, 0x2000
	v_lshlrev_b32_e32 v13, 7, v13
	s_delay_alu instid0(VALU_DEP_2) | instskip(NEXT) | instid1(VALU_DEP_1)
	v_and_or_b32 v2, 0x8000, v14, v2
	v_and_or_b32 v2, 0x380, v13, v2
	s_delay_alu instid0(VALU_DEP_1)
	v_cvt_f32_f16_e64 v147, v2
.LBB356_3632:                           ;   in Loop: Header=BB356_2089 Depth=1
	s_or_b32 exec_lo, exec_lo, s23
.LBB356_3633:                           ;   in Loop: Header=BB356_2089 Depth=1
	s_delay_alu instid0(SALU_CYCLE_1)
	s_or_b32 exec_lo, exec_lo, s22
.LBB356_3634:                           ;   in Loop: Header=BB356_2089 Depth=1
	s_delay_alu instid0(SALU_CYCLE_1) | instskip(SKIP_2) | instid1(VALU_DEP_1)
	s_or_b32 exec_lo, exec_lo, s21
	v_lshrrev_b16 v2, 8, v11
	s_mov_b32 s21, exec_lo
	v_cmpx_ne_u16_e32 0, v2
	s_cbranch_execz .LBB356_3642
; %bb.3635:                             ;   in Loop: Header=BB356_2089 Depth=1
	v_bfrev_b32_e32 v148, 1
	s_mov_b32 s22, exec_lo
	v_cmpx_ne_u16_e32 0x80, v2
	s_cbranch_execz .LBB356_3641
; %bb.3636:                             ;   in Loop: Header=BB356_2089 Depth=1
	v_and_b32_e32 v61, 0xffff, v2
	v_mov_b32_e32 v148, 0x7fc02000
	s_mov_b32 s23, exec_lo
	s_delay_alu instid0(VALU_DEP_2) | instskip(NEXT) | instid1(VALU_DEP_1)
	v_and_b32_e32 v62, 0x7f, v61
	v_cmpx_ne_u32_e32 0x7f, v62
	s_cbranch_execz .LBB356_3640
; %bb.3637:                             ;   in Loop: Header=BB356_2089 Depth=1
	v_and_b32_e32 v2, 7, v61
	v_lshrrev_b32_e32 v148, 3, v62
	v_mov_b32_e32 v14, v3
	s_mov_b32 s24, exec_lo
	s_delay_alu instid0(VALU_DEP_3)
	v_mov_b32_e32 v13, v2
	v_cmpx_gt_u32_e32 8, v62
; %bb.3638:                             ;   in Loop: Header=BB356_2089 Depth=1
	v_clz_i32_u32_e32 v13, v2
	s_delay_alu instid0(VALU_DEP_1) | instskip(NEXT) | instid1(VALU_DEP_1)
	v_min_u32_e32 v148, 32, v13
	v_subrev_nc_u32_e32 v13, 28, v148
	v_sub_nc_u32_e32 v148, 29, v148
	s_delay_alu instid0(VALU_DEP_2) | instskip(NEXT) | instid1(VALU_DEP_1)
	v_lshlrev_b64 v[13:14], v13, v[2:3]
	v_and_b32_e32 v13, 7, v13
; %bb.3639:                             ;   in Loop: Header=BB356_2089 Depth=1
	s_or_b32 exec_lo, exec_lo, s24
	v_lshlrev_b32_e32 v2, 8, v61
	v_lshl_add_u32 v14, v148, 10, 0x2000
	s_delay_alu instid0(VALU_DEP_1) | instskip(NEXT) | instid1(VALU_DEP_1)
	v_and_or_b32 v2, 0x8000, v2, v14
	v_lshl_or_b32 v2, v13, 7, v2
	s_delay_alu instid0(VALU_DEP_1)
	v_cvt_f32_f16_e64 v148, v2
.LBB356_3640:                           ;   in Loop: Header=BB356_2089 Depth=1
	s_or_b32 exec_lo, exec_lo, s23
.LBB356_3641:                           ;   in Loop: Header=BB356_2089 Depth=1
	s_delay_alu instid0(SALU_CYCLE_1)
	s_or_b32 exec_lo, exec_lo, s22
.LBB356_3642:                           ;   in Loop: Header=BB356_2089 Depth=1
	s_delay_alu instid0(SALU_CYCLE_1) | instskip(SKIP_3) | instid1(VALU_DEP_2)
	s_or_b32 exec_lo, exec_lo, s21
	v_lshrrev_b32_e32 v63, 16, v11
	v_mov_b32_e32 v62, 0
	s_mov_b32 s21, exec_lo
	v_dual_mov_b32 v61, 0 :: v_dual_and_b32 v2, 0xff, v63
	s_delay_alu instid0(VALU_DEP_1)
	v_cmpx_ne_u16_e32 0, v2
	s_cbranch_execz .LBB356_3650
; %bb.3643:                             ;   in Loop: Header=BB356_2089 Depth=1
	v_bfrev_b32_e32 v61, 1
	s_mov_b32 s22, exec_lo
	v_cmpx_ne_u16_e32 0x80, v2
	s_cbranch_execz .LBB356_3649
; %bb.3644:                             ;   in Loop: Header=BB356_2089 Depth=1
	v_bfe_u32 v72, v11, 16, 7
	v_mov_b32_e32 v61, 0x7fc02000
	s_mov_b32 s23, exec_lo
	s_delay_alu instid0(VALU_DEP_2)
	v_cmpx_ne_u32_e32 0x7f, v72
	s_cbranch_execz .LBB356_3648
; %bb.3645:                             ;   in Loop: Header=BB356_2089 Depth=1
	v_and_b32_e32 v2, 7, v63
	v_lshrrev_b32_e32 v61, 3, v72
	v_mov_b32_e32 v14, v3
	s_mov_b32 s24, exec_lo
	s_delay_alu instid0(VALU_DEP_3)
	v_mov_b32_e32 v13, v2
	v_cmpx_gt_u32_e32 8, v72
; %bb.3646:                             ;   in Loop: Header=BB356_2089 Depth=1
	v_clz_i32_u32_e32 v13, v2
	s_delay_alu instid0(VALU_DEP_1) | instskip(NEXT) | instid1(VALU_DEP_1)
	v_min_u32_e32 v61, 32, v13
	v_subrev_nc_u32_e32 v13, 28, v61
	v_sub_nc_u32_e32 v61, 29, v61
	s_delay_alu instid0(VALU_DEP_2) | instskip(NEXT) | instid1(VALU_DEP_1)
	v_lshlrev_b64 v[13:14], v13, v[2:3]
	v_and_b32_e32 v13, 7, v13
; %bb.3647:                             ;   in Loop: Header=BB356_2089 Depth=1
	s_or_b32 exec_lo, exec_lo, s24
	v_lshlrev_b32_e32 v2, 8, v63
	v_lshl_add_u32 v14, v61, 10, 0x2000
	s_delay_alu instid0(VALU_DEP_1) | instskip(NEXT) | instid1(VALU_DEP_1)
	v_and_or_b32 v2, 0x8000, v2, v14
	v_lshl_or_b32 v2, v13, 7, v2
	s_delay_alu instid0(VALU_DEP_1)
	v_cvt_f32_f16_e32 v61, v2
.LBB356_3648:                           ;   in Loop: Header=BB356_2089 Depth=1
	s_or_b32 exec_lo, exec_lo, s23
.LBB356_3649:                           ;   in Loop: Header=BB356_2089 Depth=1
	s_delay_alu instid0(SALU_CYCLE_1)
	s_or_b32 exec_lo, exec_lo, s22
.LBB356_3650:                           ;   in Loop: Header=BB356_2089 Depth=1
	s_delay_alu instid0(SALU_CYCLE_1) | instskip(NEXT) | instid1(SALU_CYCLE_1)
	s_or_b32 exec_lo, exec_lo, s21
	s_mov_b32 s21, exec_lo
	v_cmpx_lt_u32_e32 0xffffff, v11
	s_cbranch_execz .LBB356_3658
; %bb.3651:                             ;   in Loop: Header=BB356_2089 Depth=1
	v_lshrrev_b32_e32 v63, 24, v11
	v_bfrev_b32_e32 v62, 1
	s_mov_b32 s22, exec_lo
	s_delay_alu instid0(VALU_DEP_2)
	v_cmpx_ne_u32_e32 0x80, v63
	s_cbranch_execz .LBB356_3657
; %bb.3652:                             ;   in Loop: Header=BB356_2089 Depth=1
	v_and_b32_e32 v72, 0x7f, v63
	v_mov_b32_e32 v62, 0x7fc02000
	s_mov_b32 s23, exec_lo
	s_delay_alu instid0(VALU_DEP_2)
	v_cmpx_ne_u32_e32 0x7f, v72
	s_cbranch_execz .LBB356_3656
; %bb.3653:                             ;   in Loop: Header=BB356_2089 Depth=1
	v_and_b32_e32 v2, 7, v63
	v_lshrrev_b32_e32 v62, 3, v72
	v_mov_b32_e32 v14, v3
	s_mov_b32 s24, exec_lo
	s_delay_alu instid0(VALU_DEP_3)
	v_mov_b32_e32 v13, v2
	v_cmpx_gt_u32_e32 8, v72
; %bb.3654:                             ;   in Loop: Header=BB356_2089 Depth=1
	v_clz_i32_u32_e32 v13, v2
	s_delay_alu instid0(VALU_DEP_1) | instskip(NEXT) | instid1(VALU_DEP_1)
	v_min_u32_e32 v62, 32, v13
	v_subrev_nc_u32_e32 v13, 28, v62
	v_sub_nc_u32_e32 v62, 29, v62
	s_delay_alu instid0(VALU_DEP_2) | instskip(NEXT) | instid1(VALU_DEP_1)
	v_lshlrev_b64 v[13:14], v13, v[2:3]
	v_and_b32_e32 v13, 7, v13
; %bb.3655:                             ;   in Loop: Header=BB356_2089 Depth=1
	s_or_b32 exec_lo, exec_lo, s24
	v_lshlrev_b32_e32 v2, 8, v63
	v_lshl_add_u32 v14, v62, 10, 0x2000
	s_delay_alu instid0(VALU_DEP_1) | instskip(NEXT) | instid1(VALU_DEP_1)
	v_and_or_b32 v2, 0x8000, v2, v14
	v_lshl_or_b32 v2, v13, 7, v2
	s_delay_alu instid0(VALU_DEP_1)
	v_cvt_f32_f16_e32 v62, v2
.LBB356_3656:                           ;   in Loop: Header=BB356_2089 Depth=1
	s_or_b32 exec_lo, exec_lo, s23
.LBB356_3657:                           ;   in Loop: Header=BB356_2089 Depth=1
	s_delay_alu instid0(SALU_CYCLE_1)
	s_or_b32 exec_lo, exec_lo, s22
.LBB356_3658:                           ;   in Loop: Header=BB356_2089 Depth=1
	s_delay_alu instid0(SALU_CYCLE_1) | instskip(SKIP_3) | instid1(VALU_DEP_2)
	s_or_b32 exec_lo, exec_lo, s21
	v_dual_mov_b32 v2, v12 :: v_dual_and_b32 v13, 0xff, v12
	v_dual_mov_b32 v72, 0 :: v_dual_mov_b32 v63, 0
	s_mov_b32 s21, exec_lo
	v_cmpx_ne_u16_e32 0, v13
	s_cbranch_execz .LBB356_3666
; %bb.3659:                             ;   in Loop: Header=BB356_2089 Depth=1
	v_bfrev_b32_e32 v63, 1
	s_mov_b32 s22, exec_lo
	v_cmpx_ne_u16_e32 0x80, v13
	s_cbranch_execz .LBB356_3665
; %bb.3660:                             ;   in Loop: Header=BB356_2089 Depth=1
	v_and_b32_e32 v73, 0x7f, v12
	v_mov_b32_e32 v63, 0x7fc02000
	s_mov_b32 s23, exec_lo
	s_delay_alu instid0(VALU_DEP_2)
	v_cmpx_ne_u32_e32 0x7f, v73
	s_cbranch_execz .LBB356_3664
; %bb.3661:                             ;   in Loop: Header=BB356_2089 Depth=1
	v_dual_mov_b32 v14, v3 :: v_dual_mov_b32 v13, v2
	v_lshrrev_b32_e32 v14, 3, v73
	s_mov_b32 s24, exec_lo
	v_cmpx_gt_u32_e32 8, v73
; %bb.3662:                             ;   in Loop: Header=BB356_2089 Depth=1
	v_and_b32_e32 v13, 7, v12
	s_delay_alu instid0(VALU_DEP_1) | instskip(NEXT) | instid1(VALU_DEP_1)
	v_clz_i32_u32_e32 v13, v13
	v_min_u32_e32 v63, 32, v13
	s_delay_alu instid0(VALU_DEP_1) | instskip(NEXT) | instid1(VALU_DEP_1)
	v_subrev_nc_u32_e32 v13, 28, v63
	v_lshlrev_b64 v[13:14], v13, v[2:3]
	v_sub_nc_u32_e32 v14, 29, v63
; %bb.3663:                             ;   in Loop: Header=BB356_2089 Depth=1
	s_or_b32 exec_lo, exec_lo, s24
	v_lshlrev_b32_e32 v63, 8, v12
	s_delay_alu instid0(VALU_DEP_2) | instskip(NEXT) | instid1(VALU_DEP_4)
	v_lshl_add_u32 v14, v14, 10, 0x2000
	v_lshlrev_b32_e32 v13, 7, v13
	s_delay_alu instid0(VALU_DEP_2) | instskip(NEXT) | instid1(VALU_DEP_1)
	v_and_or_b32 v14, 0x8000, v63, v14
	v_and_or_b32 v13, 0x380, v13, v14
	s_delay_alu instid0(VALU_DEP_1)
	v_cvt_f32_f16_e32 v63, v13
.LBB356_3664:                           ;   in Loop: Header=BB356_2089 Depth=1
	s_or_b32 exec_lo, exec_lo, s23
.LBB356_3665:                           ;   in Loop: Header=BB356_2089 Depth=1
	s_delay_alu instid0(SALU_CYCLE_1)
	s_or_b32 exec_lo, exec_lo, s22
.LBB356_3666:                           ;   in Loop: Header=BB356_2089 Depth=1
	s_delay_alu instid0(SALU_CYCLE_1) | instskip(SKIP_2) | instid1(VALU_DEP_1)
	s_or_b32 exec_lo, exec_lo, s21
	v_lshrrev_b16 v2, 8, v2
	s_mov_b32 s21, exec_lo
	v_cmpx_ne_u16_e32 0, v2
	s_cbranch_execz .LBB356_3674
; %bb.3667:                             ;   in Loop: Header=BB356_2089 Depth=1
	v_bfrev_b32_e32 v72, 1
	s_mov_b32 s22, exec_lo
	v_cmpx_ne_u16_e32 0x80, v2
	s_cbranch_execz .LBB356_3673
; %bb.3668:                             ;   in Loop: Header=BB356_2089 Depth=1
	v_and_b32_e32 v73, 0xffff, v2
	v_mov_b32_e32 v72, 0x7fc02000
	s_mov_b32 s23, exec_lo
	s_delay_alu instid0(VALU_DEP_2) | instskip(NEXT) | instid1(VALU_DEP_1)
	v_and_b32_e32 v74, 0x7f, v73
	v_cmpx_ne_u32_e32 0x7f, v74
	s_cbranch_execz .LBB356_3672
; %bb.3669:                             ;   in Loop: Header=BB356_2089 Depth=1
	v_and_b32_e32 v2, 7, v73
	v_lshrrev_b32_e32 v72, 3, v74
	v_mov_b32_e32 v14, v3
	s_mov_b32 s24, exec_lo
	s_delay_alu instid0(VALU_DEP_3)
	v_mov_b32_e32 v13, v2
	v_cmpx_gt_u32_e32 8, v74
; %bb.3670:                             ;   in Loop: Header=BB356_2089 Depth=1
	v_clz_i32_u32_e32 v13, v2
	s_delay_alu instid0(VALU_DEP_1) | instskip(NEXT) | instid1(VALU_DEP_1)
	v_min_u32_e32 v72, 32, v13
	v_subrev_nc_u32_e32 v13, 28, v72
	v_sub_nc_u32_e32 v72, 29, v72
	s_delay_alu instid0(VALU_DEP_2) | instskip(NEXT) | instid1(VALU_DEP_1)
	v_lshlrev_b64 v[13:14], v13, v[2:3]
	v_and_b32_e32 v13, 7, v13
; %bb.3671:                             ;   in Loop: Header=BB356_2089 Depth=1
	s_or_b32 exec_lo, exec_lo, s24
	v_lshlrev_b32_e32 v2, 8, v73
	v_lshl_add_u32 v14, v72, 10, 0x2000
	s_delay_alu instid0(VALU_DEP_1) | instskip(NEXT) | instid1(VALU_DEP_1)
	v_and_or_b32 v2, 0x8000, v2, v14
	v_lshl_or_b32 v2, v13, 7, v2
	s_delay_alu instid0(VALU_DEP_1)
	v_cvt_f32_f16_e32 v72, v2
.LBB356_3672:                           ;   in Loop: Header=BB356_2089 Depth=1
	s_or_b32 exec_lo, exec_lo, s23
.LBB356_3673:                           ;   in Loop: Header=BB356_2089 Depth=1
	s_delay_alu instid0(SALU_CYCLE_1)
	s_or_b32 exec_lo, exec_lo, s22
.LBB356_3674:                           ;   in Loop: Header=BB356_2089 Depth=1
	s_delay_alu instid0(SALU_CYCLE_1) | instskip(SKIP_3) | instid1(VALU_DEP_2)
	s_or_b32 exec_lo, exec_lo, s21
	v_lshrrev_b32_e32 v74, 16, v12
	v_mov_b32_e32 v13, 0
	s_mov_b32 s21, exec_lo
	v_dual_mov_b32 v73, 0 :: v_dual_and_b32 v2, 0xff, v74
	s_delay_alu instid0(VALU_DEP_1)
	v_cmpx_ne_u16_e32 0, v2
	s_cbranch_execz .LBB356_3682
; %bb.3675:                             ;   in Loop: Header=BB356_2089 Depth=1
	v_bfrev_b32_e32 v13, 1
	s_mov_b32 s22, exec_lo
	v_cmpx_ne_u16_e32 0x80, v2
	s_cbranch_execz .LBB356_3681
; %bb.3676:                             ;   in Loop: Header=BB356_2089 Depth=1
	v_bfe_u32 v77, v12, 16, 7
	v_mov_b32_e32 v13, 0x7fc02000
	s_mov_b32 s23, exec_lo
	s_delay_alu instid0(VALU_DEP_2)
	v_cmpx_ne_u32_e32 0x7f, v77
	s_cbranch_execz .LBB356_3680
; %bb.3677:                             ;   in Loop: Header=BB356_2089 Depth=1
	v_and_b32_e32 v2, 7, v74
	v_lshrrev_b32_e32 v76, 3, v77
	v_mov_b32_e32 v14, v3
	s_mov_b32 s24, exec_lo
	s_delay_alu instid0(VALU_DEP_3)
	v_mov_b32_e32 v13, v2
	v_cmpx_gt_u32_e32 8, v77
; %bb.3678:                             ;   in Loop: Header=BB356_2089 Depth=1
	v_clz_i32_u32_e32 v13, v2
	s_delay_alu instid0(VALU_DEP_1) | instskip(NEXT) | instid1(VALU_DEP_1)
	v_min_u32_e32 v76, 32, v13
	v_subrev_nc_u32_e32 v13, 28, v76
	v_sub_nc_u32_e32 v76, 29, v76
	s_delay_alu instid0(VALU_DEP_2) | instskip(NEXT) | instid1(VALU_DEP_1)
	v_lshlrev_b64 v[13:14], v13, v[2:3]
	v_and_b32_e32 v13, 7, v13
; %bb.3679:                             ;   in Loop: Header=BB356_2089 Depth=1
	s_or_b32 exec_lo, exec_lo, s24
	v_lshlrev_b32_e32 v2, 8, v74
	v_lshl_add_u32 v14, v76, 10, 0x2000
	s_delay_alu instid0(VALU_DEP_1) | instskip(NEXT) | instid1(VALU_DEP_1)
	v_and_or_b32 v2, 0x8000, v2, v14
	v_lshl_or_b32 v2, v13, 7, v2
	s_delay_alu instid0(VALU_DEP_1)
	v_cvt_f32_f16_e32 v13, v2
.LBB356_3680:                           ;   in Loop: Header=BB356_2089 Depth=1
	s_or_b32 exec_lo, exec_lo, s23
.LBB356_3681:                           ;   in Loop: Header=BB356_2089 Depth=1
	s_delay_alu instid0(SALU_CYCLE_1)
	s_or_b32 exec_lo, exec_lo, s22
.LBB356_3682:                           ;   in Loop: Header=BB356_2089 Depth=1
	s_delay_alu instid0(SALU_CYCLE_1) | instskip(NEXT) | instid1(SALU_CYCLE_1)
	s_or_b32 exec_lo, exec_lo, s21
	s_mov_b32 s21, exec_lo
	v_cmpx_lt_u64_e64 s[18:19], v[11:12]
	s_cbranch_execz .LBB356_3690
; %bb.3683:                             ;   in Loop: Header=BB356_2089 Depth=1
	v_lshrrev_b32_e32 v14, 24, v12
	v_bfrev_b32_e32 v73, 1
	s_mov_b32 s22, exec_lo
	s_delay_alu instid0(VALU_DEP_2)
	v_cmpx_ne_u32_e32 0x80, v14
	s_cbranch_execz .LBB356_3689
; %bb.3684:                             ;   in Loop: Header=BB356_2089 Depth=1
	v_and_b32_e32 v74, 0x7f, v14
	v_mov_b32_e32 v73, 0x7fc02000
	s_mov_b32 s23, exec_lo
	s_delay_alu instid0(VALU_DEP_2)
	v_cmpx_ne_u32_e32 0x7f, v74
	s_cbranch_execz .LBB356_3688
; %bb.3685:                             ;   in Loop: Header=BB356_2089 Depth=1
	v_and_b32_e32 v2, 7, v14
	v_lshrrev_b32_e32 v73, 3, v74
	v_mov_b32_e32 v12, v3
	s_mov_b32 s24, exec_lo
	s_delay_alu instid0(VALU_DEP_3)
	v_mov_b32_e32 v11, v2
	v_cmpx_gt_u32_e32 8, v74
; %bb.3686:                             ;   in Loop: Header=BB356_2089 Depth=1
	v_clz_i32_u32_e32 v11, v2
	s_delay_alu instid0(VALU_DEP_1) | instskip(NEXT) | instid1(VALU_DEP_1)
	v_min_u32_e32 v73, 32, v11
	v_subrev_nc_u32_e32 v11, 28, v73
	v_sub_nc_u32_e32 v73, 29, v73
	s_delay_alu instid0(VALU_DEP_2) | instskip(NEXT) | instid1(VALU_DEP_1)
	v_lshlrev_b64 v[11:12], v11, v[2:3]
	v_and_b32_e32 v11, 7, v11
; %bb.3687:                             ;   in Loop: Header=BB356_2089 Depth=1
	s_or_b32 exec_lo, exec_lo, s24
	v_lshlrev_b32_e32 v2, 8, v14
	v_lshl_add_u32 v12, v73, 10, 0x2000
	s_delay_alu instid0(VALU_DEP_1) | instskip(NEXT) | instid1(VALU_DEP_1)
	v_and_or_b32 v2, 0x8000, v2, v12
	v_lshl_or_b32 v2, v11, 7, v2
	s_delay_alu instid0(VALU_DEP_1)
	v_cvt_f32_f16_e32 v73, v2
.LBB356_3688:                           ;   in Loop: Header=BB356_2089 Depth=1
	s_or_b32 exec_lo, exec_lo, s23
.LBB356_3689:                           ;   in Loop: Header=BB356_2089 Depth=1
	s_delay_alu instid0(SALU_CYCLE_1)
	s_or_b32 exec_lo, exec_lo, s22
.LBB356_3690:                           ;   in Loop: Header=BB356_2089 Depth=1
	s_delay_alu instid0(SALU_CYCLE_1)
	s_or_b32 exec_lo, exec_lo, s21
	s_waitcnt vmcnt(0) lgkmcnt(0)
	v_fma_mixlo_f16 v2, v67, v62, 0
	v_fma_mixlo_f16 v11, v67, v61, 0
	;; [unrolled: 1-line block ×6, first 2 shown]
	v_lshlrev_b32_e32 v148, 16, v2
	v_and_b32_e32 v62, 0xffff, v11
	v_lshlrev_b32_e32 v63, 16, v12
	v_and_b32_e32 v72, 0xffff, v14
	v_cndmask_b32_e32 v14, 0, v14, vcc_lo
	v_lshlrev_b32_e32 v74, 16, v147
	v_and_b32_e32 v76, 0xffff, v61
	v_fma_mixlo_f16 v73, v67, v73, 0
	v_fma_mixlo_f16 v13, v67, v13, 0
	v_cndmask_b32_e64 v12, 0, v12, s0
	v_cndmask_b32_e64 v11, 0, v11, s2
	;; [unrolled: 1-line block ×5, first 2 shown]
	v_perm_b32 v12, v12, v14, 0x5040100
	s_mov_b32 s21, exec_lo
	v_perm_b32 v2, v2, v11, 0x5040100
	s_delay_alu instid0(VALU_DEP_3)
	v_perm_b32 v11, v147, v61, 0x5040100
	v_mov_b32_e32 v147, 0
	v_or_b32_e32 v67, v148, v62
	v_or_b32_e32 v148, v63, v72
	v_lshlrev_b32_e32 v63, 16, v73
	v_and_b32_e32 v72, 0xffff, v13
	v_cndmask_b32_e64 v13, 0, v13, s3
	v_cndmask_b32_e64 v73, 0, v73, s5
	v_or_b32_e32 v62, v74, v76
	v_cndmask_b32_e64 v12, v148, v12, s1
	v_mov_b32_e32 v148, 0
	v_or_b32_e32 v63, v63, v72
	v_perm_b32 v13, v73, v13, 0x5040100
	v_cndmask_b32_e64 v2, v67, v2, s1
	v_cndmask_b32_e64 v11, v62, v11, s1
	;;#ASMSTART
	v_pk_mul_f16 v12, v146, v12;

	;;#ASMEND
	;;#ASMSTART
	v_pk_mul_f16 v2, v145, v2;

	;;#ASMEND
	v_cndmask_b32_e64 v13, v63, v13, s1
	;;#ASMSTART
	v_pk_mul_f16 v11, v144, v11;

	;;#ASMEND
	;;#ASMSTART
	v_pk_mul_f16 v13, v149, v13;

	;;#ASMEND
	;;#ASMSTART
	v_pk_add_f16 v2, v12, v2;

	;;#ASMEND
	;;#ASMSTART
	v_pk_add_f16 v2, v2, v11;

	;;#ASMEND
	v_add_co_u32 v11, s8, v9, v129
	s_delay_alu instid0(VALU_DEP_1)
	v_add_co_ci_u32_e64 v12, s8, 0, v10, s8
	;;#ASMSTART
	v_pk_add_f16 v2, v2, v13;

	;;#ASMEND
	v_lshrrev_b32_e32 v13, 16, v2
	v_and_b32_e32 v2, 0xffff, v2
	;;#ASMSTART
	v_cvt_f32_f16 v61, v2;
	;;#ASMEND
	;;#ASMSTART
	v_cvt_f32_f16 v62, v13;
	;;#ASMEND
	flat_load_b64 v[11:12], v[11:12]
	flat_load_b32 v67, v[26:27]
	s_waitcnt vmcnt(1) lgkmcnt(1)
	v_and_b32_e32 v2, 0xff, v11
	s_delay_alu instid0(VALU_DEP_1)
	v_cmpx_ne_u16_e32 0, v2
	s_cbranch_execz .LBB356_3698
; %bb.3691:                             ;   in Loop: Header=BB356_2089 Depth=1
	v_bfrev_b32_e32 v147, 1
	s_mov_b32 s22, exec_lo
	v_cmpx_ne_u16_e32 0x80, v2
	s_cbranch_execz .LBB356_3697
; %bb.3692:                             ;   in Loop: Header=BB356_2089 Depth=1
	v_and_b32_e32 v13, 0x7f, v11
	v_mov_b32_e32 v147, 0x7fc02000
	s_mov_b32 s23, exec_lo
	s_delay_alu instid0(VALU_DEP_2)
	v_cmpx_ne_u32_e32 0x7f, v13
	s_cbranch_execz .LBB356_3696
; %bb.3693:                             ;   in Loop: Header=BB356_2089 Depth=1
	v_lshrrev_b32_e32 v2, 3, v13
	v_cmp_gt_u32_e64 s8, 8, v13
	v_dual_mov_b32 v14, v12 :: v_dual_mov_b32 v13, v11
	s_delay_alu instid0(VALU_DEP_2)
	s_and_saveexec_b32 s24, s8
; %bb.3694:                             ;   in Loop: Header=BB356_2089 Depth=1
	v_and_b32_e32 v2, 7, v11
	s_delay_alu instid0(VALU_DEP_1) | instskip(NEXT) | instid1(VALU_DEP_1)
	v_clz_i32_u32_e32 v2, v2
	v_min_u32_e32 v2, 32, v2
	s_delay_alu instid0(VALU_DEP_1) | instskip(SKIP_1) | instid1(VALU_DEP_2)
	v_subrev_nc_u32_e32 v13, 28, v2
	v_sub_nc_u32_e32 v2, 29, v2
	v_lshlrev_b64 v[13:14], v13, v[11:12]
; %bb.3695:                             ;   in Loop: Header=BB356_2089 Depth=1
	s_or_b32 exec_lo, exec_lo, s24
	v_lshlrev_b32_e32 v14, 8, v11
	s_delay_alu instid0(VALU_DEP_3) | instskip(NEXT) | instid1(VALU_DEP_3)
	v_lshl_add_u32 v2, v2, 10, 0x2000
	v_lshlrev_b32_e32 v13, 7, v13
	s_delay_alu instid0(VALU_DEP_2) | instskip(NEXT) | instid1(VALU_DEP_1)
	v_and_or_b32 v2, 0x8000, v14, v2
	v_and_or_b32 v2, 0x380, v13, v2
	s_delay_alu instid0(VALU_DEP_1)
	v_cvt_f32_f16_e64 v147, v2
.LBB356_3696:                           ;   in Loop: Header=BB356_2089 Depth=1
	s_or_b32 exec_lo, exec_lo, s23
.LBB356_3697:                           ;   in Loop: Header=BB356_2089 Depth=1
	s_delay_alu instid0(SALU_CYCLE_1)
	s_or_b32 exec_lo, exec_lo, s22
.LBB356_3698:                           ;   in Loop: Header=BB356_2089 Depth=1
	s_delay_alu instid0(SALU_CYCLE_1) | instskip(SKIP_2) | instid1(VALU_DEP_1)
	s_or_b32 exec_lo, exec_lo, s21
	v_lshrrev_b16 v2, 8, v11
	s_mov_b32 s21, exec_lo
	v_cmpx_ne_u16_e32 0, v2
	s_cbranch_execz .LBB356_3706
; %bb.3699:                             ;   in Loop: Header=BB356_2089 Depth=1
	v_bfrev_b32_e32 v148, 1
	s_mov_b32 s22, exec_lo
	v_cmpx_ne_u16_e32 0x80, v2
	s_cbranch_execz .LBB356_3705
; %bb.3700:                             ;   in Loop: Header=BB356_2089 Depth=1
	v_and_b32_e32 v63, 0xffff, v2
	v_mov_b32_e32 v148, 0x7fc02000
	s_mov_b32 s23, exec_lo
	s_delay_alu instid0(VALU_DEP_2) | instskip(NEXT) | instid1(VALU_DEP_1)
	v_and_b32_e32 v72, 0x7f, v63
	v_cmpx_ne_u32_e32 0x7f, v72
	s_cbranch_execz .LBB356_3704
; %bb.3701:                             ;   in Loop: Header=BB356_2089 Depth=1
	v_and_b32_e32 v2, 7, v63
	v_lshrrev_b32_e32 v148, 3, v72
	v_mov_b32_e32 v14, v3
	s_mov_b32 s24, exec_lo
	s_delay_alu instid0(VALU_DEP_3)
	v_mov_b32_e32 v13, v2
	v_cmpx_gt_u32_e32 8, v72
; %bb.3702:                             ;   in Loop: Header=BB356_2089 Depth=1
	v_clz_i32_u32_e32 v13, v2
	s_delay_alu instid0(VALU_DEP_1) | instskip(NEXT) | instid1(VALU_DEP_1)
	v_min_u32_e32 v148, 32, v13
	v_subrev_nc_u32_e32 v13, 28, v148
	v_sub_nc_u32_e32 v148, 29, v148
	s_delay_alu instid0(VALU_DEP_2) | instskip(NEXT) | instid1(VALU_DEP_1)
	v_lshlrev_b64 v[13:14], v13, v[2:3]
	v_and_b32_e32 v13, 7, v13
; %bb.3703:                             ;   in Loop: Header=BB356_2089 Depth=1
	s_or_b32 exec_lo, exec_lo, s24
	v_lshlrev_b32_e32 v2, 8, v63
	v_lshl_add_u32 v14, v148, 10, 0x2000
	s_delay_alu instid0(VALU_DEP_1) | instskip(NEXT) | instid1(VALU_DEP_1)
	v_and_or_b32 v2, 0x8000, v2, v14
	v_lshl_or_b32 v2, v13, 7, v2
	s_delay_alu instid0(VALU_DEP_1)
	v_cvt_f32_f16_e64 v148, v2
.LBB356_3704:                           ;   in Loop: Header=BB356_2089 Depth=1
	s_or_b32 exec_lo, exec_lo, s23
.LBB356_3705:                           ;   in Loop: Header=BB356_2089 Depth=1
	s_delay_alu instid0(SALU_CYCLE_1)
	s_or_b32 exec_lo, exec_lo, s22
.LBB356_3706:                           ;   in Loop: Header=BB356_2089 Depth=1
	s_delay_alu instid0(SALU_CYCLE_1) | instskip(SKIP_3) | instid1(VALU_DEP_2)
	s_or_b32 exec_lo, exec_lo, s21
	v_lshrrev_b32_e32 v73, 16, v11
	v_mov_b32_e32 v72, 0
	s_mov_b32 s21, exec_lo
	v_dual_mov_b32 v63, 0 :: v_dual_and_b32 v2, 0xff, v73
	s_delay_alu instid0(VALU_DEP_1)
	v_cmpx_ne_u16_e32 0, v2
	s_cbranch_execz .LBB356_3714
; %bb.3707:                             ;   in Loop: Header=BB356_2089 Depth=1
	v_bfrev_b32_e32 v63, 1
	s_mov_b32 s22, exec_lo
	v_cmpx_ne_u16_e32 0x80, v2
	s_cbranch_execz .LBB356_3713
; %bb.3708:                             ;   in Loop: Header=BB356_2089 Depth=1
	v_bfe_u32 v74, v11, 16, 7
	v_mov_b32_e32 v63, 0x7fc02000
	s_mov_b32 s23, exec_lo
	s_delay_alu instid0(VALU_DEP_2)
	v_cmpx_ne_u32_e32 0x7f, v74
	s_cbranch_execz .LBB356_3712
; %bb.3709:                             ;   in Loop: Header=BB356_2089 Depth=1
	v_and_b32_e32 v2, 7, v73
	v_lshrrev_b32_e32 v63, 3, v74
	v_mov_b32_e32 v14, v3
	s_mov_b32 s24, exec_lo
	s_delay_alu instid0(VALU_DEP_3)
	v_mov_b32_e32 v13, v2
	v_cmpx_gt_u32_e32 8, v74
; %bb.3710:                             ;   in Loop: Header=BB356_2089 Depth=1
	v_clz_i32_u32_e32 v13, v2
	s_delay_alu instid0(VALU_DEP_1) | instskip(NEXT) | instid1(VALU_DEP_1)
	v_min_u32_e32 v63, 32, v13
	v_subrev_nc_u32_e32 v13, 28, v63
	v_sub_nc_u32_e32 v63, 29, v63
	s_delay_alu instid0(VALU_DEP_2) | instskip(NEXT) | instid1(VALU_DEP_1)
	v_lshlrev_b64 v[13:14], v13, v[2:3]
	v_and_b32_e32 v13, 7, v13
; %bb.3711:                             ;   in Loop: Header=BB356_2089 Depth=1
	s_or_b32 exec_lo, exec_lo, s24
	v_lshlrev_b32_e32 v2, 8, v73
	v_lshl_add_u32 v14, v63, 10, 0x2000
	s_delay_alu instid0(VALU_DEP_1) | instskip(NEXT) | instid1(VALU_DEP_1)
	v_and_or_b32 v2, 0x8000, v2, v14
	v_lshl_or_b32 v2, v13, 7, v2
	s_delay_alu instid0(VALU_DEP_1)
	v_cvt_f32_f16_e32 v63, v2
.LBB356_3712:                           ;   in Loop: Header=BB356_2089 Depth=1
	s_or_b32 exec_lo, exec_lo, s23
.LBB356_3713:                           ;   in Loop: Header=BB356_2089 Depth=1
	s_delay_alu instid0(SALU_CYCLE_1)
	s_or_b32 exec_lo, exec_lo, s22
.LBB356_3714:                           ;   in Loop: Header=BB356_2089 Depth=1
	s_delay_alu instid0(SALU_CYCLE_1) | instskip(NEXT) | instid1(SALU_CYCLE_1)
	s_or_b32 exec_lo, exec_lo, s21
	s_mov_b32 s21, exec_lo
	v_cmpx_lt_u32_e32 0xffffff, v11
	s_cbranch_execz .LBB356_3722
; %bb.3715:                             ;   in Loop: Header=BB356_2089 Depth=1
	v_lshrrev_b32_e32 v73, 24, v11
	v_bfrev_b32_e32 v72, 1
	s_mov_b32 s22, exec_lo
	s_delay_alu instid0(VALU_DEP_2)
	v_cmpx_ne_u32_e32 0x80, v73
	s_cbranch_execz .LBB356_3721
; %bb.3716:                             ;   in Loop: Header=BB356_2089 Depth=1
	v_and_b32_e32 v74, 0x7f, v73
	v_mov_b32_e32 v72, 0x7fc02000
	s_mov_b32 s23, exec_lo
	s_delay_alu instid0(VALU_DEP_2)
	v_cmpx_ne_u32_e32 0x7f, v74
	s_cbranch_execz .LBB356_3720
; %bb.3717:                             ;   in Loop: Header=BB356_2089 Depth=1
	v_and_b32_e32 v2, 7, v73
	v_lshrrev_b32_e32 v72, 3, v74
	v_mov_b32_e32 v14, v3
	s_mov_b32 s24, exec_lo
	s_delay_alu instid0(VALU_DEP_3)
	v_mov_b32_e32 v13, v2
	v_cmpx_gt_u32_e32 8, v74
; %bb.3718:                             ;   in Loop: Header=BB356_2089 Depth=1
	v_clz_i32_u32_e32 v13, v2
	s_delay_alu instid0(VALU_DEP_1) | instskip(NEXT) | instid1(VALU_DEP_1)
	v_min_u32_e32 v72, 32, v13
	v_subrev_nc_u32_e32 v13, 28, v72
	v_sub_nc_u32_e32 v72, 29, v72
	s_delay_alu instid0(VALU_DEP_2) | instskip(NEXT) | instid1(VALU_DEP_1)
	v_lshlrev_b64 v[13:14], v13, v[2:3]
	v_and_b32_e32 v13, 7, v13
; %bb.3719:                             ;   in Loop: Header=BB356_2089 Depth=1
	s_or_b32 exec_lo, exec_lo, s24
	v_lshlrev_b32_e32 v2, 8, v73
	v_lshl_add_u32 v14, v72, 10, 0x2000
	s_delay_alu instid0(VALU_DEP_1) | instskip(NEXT) | instid1(VALU_DEP_1)
	v_and_or_b32 v2, 0x8000, v2, v14
	v_lshl_or_b32 v2, v13, 7, v2
	s_delay_alu instid0(VALU_DEP_1)
	v_cvt_f32_f16_e32 v72, v2
.LBB356_3720:                           ;   in Loop: Header=BB356_2089 Depth=1
	s_or_b32 exec_lo, exec_lo, s23
.LBB356_3721:                           ;   in Loop: Header=BB356_2089 Depth=1
	s_delay_alu instid0(SALU_CYCLE_1)
	s_or_b32 exec_lo, exec_lo, s22
.LBB356_3722:                           ;   in Loop: Header=BB356_2089 Depth=1
	s_delay_alu instid0(SALU_CYCLE_1) | instskip(SKIP_3) | instid1(VALU_DEP_2)
	s_or_b32 exec_lo, exec_lo, s21
	v_dual_mov_b32 v2, v12 :: v_dual_and_b32 v13, 0xff, v12
	v_dual_mov_b32 v74, 0 :: v_dual_mov_b32 v73, 0
	s_mov_b32 s21, exec_lo
	v_cmpx_ne_u16_e32 0, v13
	s_cbranch_execz .LBB356_3730
; %bb.3723:                             ;   in Loop: Header=BB356_2089 Depth=1
	v_bfrev_b32_e32 v73, 1
	s_mov_b32 s22, exec_lo
	v_cmpx_ne_u16_e32 0x80, v13
	s_cbranch_execz .LBB356_3729
; %bb.3724:                             ;   in Loop: Header=BB356_2089 Depth=1
	v_and_b32_e32 v76, 0x7f, v12
	v_mov_b32_e32 v73, 0x7fc02000
	s_mov_b32 s23, exec_lo
	s_delay_alu instid0(VALU_DEP_2)
	v_cmpx_ne_u32_e32 0x7f, v76
	s_cbranch_execz .LBB356_3728
; %bb.3725:                             ;   in Loop: Header=BB356_2089 Depth=1
	v_dual_mov_b32 v14, v3 :: v_dual_mov_b32 v13, v2
	v_lshrrev_b32_e32 v14, 3, v76
	s_mov_b32 s24, exec_lo
	v_cmpx_gt_u32_e32 8, v76
; %bb.3726:                             ;   in Loop: Header=BB356_2089 Depth=1
	v_and_b32_e32 v13, 7, v12
	s_delay_alu instid0(VALU_DEP_1) | instskip(NEXT) | instid1(VALU_DEP_1)
	v_clz_i32_u32_e32 v13, v13
	v_min_u32_e32 v73, 32, v13
	s_delay_alu instid0(VALU_DEP_1) | instskip(NEXT) | instid1(VALU_DEP_1)
	v_subrev_nc_u32_e32 v13, 28, v73
	v_lshlrev_b64 v[13:14], v13, v[2:3]
	v_sub_nc_u32_e32 v14, 29, v73
; %bb.3727:                             ;   in Loop: Header=BB356_2089 Depth=1
	s_or_b32 exec_lo, exec_lo, s24
	v_lshlrev_b32_e32 v73, 8, v12
	s_delay_alu instid0(VALU_DEP_2) | instskip(NEXT) | instid1(VALU_DEP_4)
	v_lshl_add_u32 v14, v14, 10, 0x2000
	v_lshlrev_b32_e32 v13, 7, v13
	s_delay_alu instid0(VALU_DEP_2) | instskip(NEXT) | instid1(VALU_DEP_1)
	v_and_or_b32 v14, 0x8000, v73, v14
	v_and_or_b32 v13, 0x380, v13, v14
	s_delay_alu instid0(VALU_DEP_1)
	v_cvt_f32_f16_e32 v73, v13
.LBB356_3728:                           ;   in Loop: Header=BB356_2089 Depth=1
	s_or_b32 exec_lo, exec_lo, s23
.LBB356_3729:                           ;   in Loop: Header=BB356_2089 Depth=1
	s_delay_alu instid0(SALU_CYCLE_1)
	s_or_b32 exec_lo, exec_lo, s22
.LBB356_3730:                           ;   in Loop: Header=BB356_2089 Depth=1
	s_delay_alu instid0(SALU_CYCLE_1) | instskip(SKIP_2) | instid1(VALU_DEP_1)
	s_or_b32 exec_lo, exec_lo, s21
	v_lshrrev_b16 v2, 8, v2
	s_mov_b32 s21, exec_lo
	v_cmpx_ne_u16_e32 0, v2
	s_cbranch_execz .LBB356_3738
; %bb.3731:                             ;   in Loop: Header=BB356_2089 Depth=1
	v_bfrev_b32_e32 v74, 1
	s_mov_b32 s22, exec_lo
	v_cmpx_ne_u16_e32 0x80, v2
	s_cbranch_execz .LBB356_3737
; %bb.3732:                             ;   in Loop: Header=BB356_2089 Depth=1
	v_and_b32_e32 v76, 0xffff, v2
	v_mov_b32_e32 v74, 0x7fc02000
	s_mov_b32 s23, exec_lo
	s_delay_alu instid0(VALU_DEP_2) | instskip(NEXT) | instid1(VALU_DEP_1)
	v_and_b32_e32 v77, 0x7f, v76
	v_cmpx_ne_u32_e32 0x7f, v77
	s_cbranch_execz .LBB356_3736
; %bb.3733:                             ;   in Loop: Header=BB356_2089 Depth=1
	v_and_b32_e32 v2, 7, v76
	v_lshrrev_b32_e32 v74, 3, v77
	v_mov_b32_e32 v14, v3
	s_mov_b32 s24, exec_lo
	s_delay_alu instid0(VALU_DEP_3)
	v_mov_b32_e32 v13, v2
	v_cmpx_gt_u32_e32 8, v77
; %bb.3734:                             ;   in Loop: Header=BB356_2089 Depth=1
	v_clz_i32_u32_e32 v13, v2
	s_delay_alu instid0(VALU_DEP_1) | instskip(NEXT) | instid1(VALU_DEP_1)
	v_min_u32_e32 v74, 32, v13
	v_subrev_nc_u32_e32 v13, 28, v74
	v_sub_nc_u32_e32 v74, 29, v74
	s_delay_alu instid0(VALU_DEP_2) | instskip(NEXT) | instid1(VALU_DEP_1)
	v_lshlrev_b64 v[13:14], v13, v[2:3]
	v_and_b32_e32 v13, 7, v13
; %bb.3735:                             ;   in Loop: Header=BB356_2089 Depth=1
	s_or_b32 exec_lo, exec_lo, s24
	v_lshlrev_b32_e32 v2, 8, v76
	v_lshl_add_u32 v14, v74, 10, 0x2000
	s_delay_alu instid0(VALU_DEP_1) | instskip(NEXT) | instid1(VALU_DEP_1)
	v_and_or_b32 v2, 0x8000, v2, v14
	v_lshl_or_b32 v2, v13, 7, v2
	s_delay_alu instid0(VALU_DEP_1)
	v_cvt_f32_f16_e32 v74, v2
.LBB356_3736:                           ;   in Loop: Header=BB356_2089 Depth=1
	s_or_b32 exec_lo, exec_lo, s23
.LBB356_3737:                           ;   in Loop: Header=BB356_2089 Depth=1
	s_delay_alu instid0(SALU_CYCLE_1)
	s_or_b32 exec_lo, exec_lo, s22
.LBB356_3738:                           ;   in Loop: Header=BB356_2089 Depth=1
	s_delay_alu instid0(SALU_CYCLE_1) | instskip(SKIP_3) | instid1(VALU_DEP_2)
	s_or_b32 exec_lo, exec_lo, s21
	v_lshrrev_b32_e32 v77, 16, v12
	v_mov_b32_e32 v76, 0
	s_mov_b32 s21, exec_lo
	v_dual_mov_b32 v13, 0 :: v_dual_and_b32 v2, 0xff, v77
	s_delay_alu instid0(VALU_DEP_1)
	v_cmpx_ne_u16_e32 0, v2
	s_cbranch_execz .LBB356_3746
; %bb.3739:                             ;   in Loop: Header=BB356_2089 Depth=1
	v_bfrev_b32_e32 v13, 1
	s_mov_b32 s22, exec_lo
	v_cmpx_ne_u16_e32 0x80, v2
	s_cbranch_execz .LBB356_3745
; %bb.3740:                             ;   in Loop: Header=BB356_2089 Depth=1
	v_bfe_u32 v79, v12, 16, 7
	v_mov_b32_e32 v13, 0x7fc02000
	s_mov_b32 s23, exec_lo
	s_delay_alu instid0(VALU_DEP_2)
	v_cmpx_ne_u32_e32 0x7f, v79
	s_cbranch_execz .LBB356_3744
; %bb.3741:                             ;   in Loop: Header=BB356_2089 Depth=1
	v_and_b32_e32 v2, 7, v77
	v_lshrrev_b32_e32 v78, 3, v79
	v_mov_b32_e32 v14, v3
	s_mov_b32 s24, exec_lo
	s_delay_alu instid0(VALU_DEP_3)
	v_mov_b32_e32 v13, v2
	v_cmpx_gt_u32_e32 8, v79
; %bb.3742:                             ;   in Loop: Header=BB356_2089 Depth=1
	v_clz_i32_u32_e32 v13, v2
	s_delay_alu instid0(VALU_DEP_1) | instskip(NEXT) | instid1(VALU_DEP_1)
	v_min_u32_e32 v78, 32, v13
	v_subrev_nc_u32_e32 v13, 28, v78
	v_sub_nc_u32_e32 v78, 29, v78
	s_delay_alu instid0(VALU_DEP_2) | instskip(NEXT) | instid1(VALU_DEP_1)
	v_lshlrev_b64 v[13:14], v13, v[2:3]
	v_and_b32_e32 v13, 7, v13
; %bb.3743:                             ;   in Loop: Header=BB356_2089 Depth=1
	s_or_b32 exec_lo, exec_lo, s24
	v_lshlrev_b32_e32 v2, 8, v77
	v_lshl_add_u32 v14, v78, 10, 0x2000
	s_delay_alu instid0(VALU_DEP_1) | instskip(NEXT) | instid1(VALU_DEP_1)
	v_and_or_b32 v2, 0x8000, v2, v14
	v_lshl_or_b32 v2, v13, 7, v2
	s_delay_alu instid0(VALU_DEP_1)
	v_cvt_f32_f16_e32 v13, v2
.LBB356_3744:                           ;   in Loop: Header=BB356_2089 Depth=1
	s_or_b32 exec_lo, exec_lo, s23
.LBB356_3745:                           ;   in Loop: Header=BB356_2089 Depth=1
	s_delay_alu instid0(SALU_CYCLE_1)
	s_or_b32 exec_lo, exec_lo, s22
.LBB356_3746:                           ;   in Loop: Header=BB356_2089 Depth=1
	s_delay_alu instid0(SALU_CYCLE_1) | instskip(NEXT) | instid1(SALU_CYCLE_1)
	s_or_b32 exec_lo, exec_lo, s21
	s_mov_b32 s21, exec_lo
	v_cmpx_lt_u64_e64 s[18:19], v[11:12]
	s_cbranch_execz .LBB356_3754
; %bb.3747:                             ;   in Loop: Header=BB356_2089 Depth=1
	v_lshrrev_b32_e32 v14, 24, v12
	v_bfrev_b32_e32 v76, 1
	s_mov_b32 s22, exec_lo
	s_delay_alu instid0(VALU_DEP_2)
	v_cmpx_ne_u32_e32 0x80, v14
	s_cbranch_execz .LBB356_3753
; %bb.3748:                             ;   in Loop: Header=BB356_2089 Depth=1
	v_and_b32_e32 v77, 0x7f, v14
	v_mov_b32_e32 v76, 0x7fc02000
	s_mov_b32 s23, exec_lo
	s_delay_alu instid0(VALU_DEP_2)
	v_cmpx_ne_u32_e32 0x7f, v77
	s_cbranch_execz .LBB356_3752
; %bb.3749:                             ;   in Loop: Header=BB356_2089 Depth=1
	v_and_b32_e32 v2, 7, v14
	v_lshrrev_b32_e32 v76, 3, v77
	v_mov_b32_e32 v12, v3
	s_mov_b32 s24, exec_lo
	s_delay_alu instid0(VALU_DEP_3)
	v_mov_b32_e32 v11, v2
	v_cmpx_gt_u32_e32 8, v77
; %bb.3750:                             ;   in Loop: Header=BB356_2089 Depth=1
	v_clz_i32_u32_e32 v11, v2
	s_delay_alu instid0(VALU_DEP_1) | instskip(NEXT) | instid1(VALU_DEP_1)
	v_min_u32_e32 v76, 32, v11
	v_subrev_nc_u32_e32 v11, 28, v76
	v_sub_nc_u32_e32 v76, 29, v76
	s_delay_alu instid0(VALU_DEP_2) | instskip(NEXT) | instid1(VALU_DEP_1)
	v_lshlrev_b64 v[11:12], v11, v[2:3]
	v_and_b32_e32 v11, 7, v11
; %bb.3751:                             ;   in Loop: Header=BB356_2089 Depth=1
	s_or_b32 exec_lo, exec_lo, s24
	v_lshlrev_b32_e32 v2, 8, v14
	v_lshl_add_u32 v12, v76, 10, 0x2000
	s_delay_alu instid0(VALU_DEP_1) | instskip(NEXT) | instid1(VALU_DEP_1)
	v_and_or_b32 v2, 0x8000, v2, v12
	v_lshl_or_b32 v2, v11, 7, v2
	s_delay_alu instid0(VALU_DEP_1)
	v_cvt_f32_f16_e32 v76, v2
.LBB356_3752:                           ;   in Loop: Header=BB356_2089 Depth=1
	s_or_b32 exec_lo, exec_lo, s23
.LBB356_3753:                           ;   in Loop: Header=BB356_2089 Depth=1
	s_delay_alu instid0(SALU_CYCLE_1)
	s_or_b32 exec_lo, exec_lo, s22
.LBB356_3754:                           ;   in Loop: Header=BB356_2089 Depth=1
	s_delay_alu instid0(SALU_CYCLE_1)
	s_or_b32 exec_lo, exec_lo, s21
	s_waitcnt vmcnt(0) lgkmcnt(0)
	v_fma_mixlo_f16 v2, v67, v72, 0
	v_fma_mixlo_f16 v11, v67, v63, 0
	;; [unrolled: 1-line block ×6, first 2 shown]
	v_lshlrev_b32_e32 v148, 16, v2
	v_and_b32_e32 v72, 0xffff, v11
	v_lshlrev_b32_e32 v73, 16, v12
	v_and_b32_e32 v74, 0xffff, v14
	v_dual_cndmask_b32 v14, 0, v14 :: v_dual_lshlrev_b32 v77, 16, v147
	v_and_b32_e32 v78, 0xffff, v63
	v_fma_mixlo_f16 v76, v67, v76, 0
	v_fma_mixlo_f16 v13, v67, v13, 0
	v_cndmask_b32_e64 v12, 0, v12, s0
	v_cndmask_b32_e64 v11, 0, v11, s2
	;; [unrolled: 1-line block ×5, first 2 shown]
	v_perm_b32 v12, v12, v14, 0x5040100
	s_mov_b32 s21, exec_lo
	v_perm_b32 v2, v2, v11, 0x5040100
	s_delay_alu instid0(VALU_DEP_3)
	v_perm_b32 v11, v147, v63, 0x5040100
	v_mov_b32_e32 v147, 0
	v_or_b32_e32 v67, v148, v72
	v_or_b32_e32 v148, v73, v74
	v_lshlrev_b32_e32 v73, 16, v76
	v_and_b32_e32 v74, 0xffff, v13
	v_cndmask_b32_e64 v13, 0, v13, s3
	v_cndmask_b32_e64 v76, 0, v76, s5
	;; [unrolled: 1-line block ×3, first 2 shown]
	v_mov_b32_e32 v148, 0
	v_or_b32_e32 v72, v77, v78
	v_or_b32_e32 v73, v73, v74
	v_perm_b32 v13, v76, v13, 0x5040100
	v_cndmask_b32_e64 v2, v67, v2, s1
	;;#ASMSTART
	v_pk_mul_f16 v12, v146, v12;

	;;#ASMEND
	v_cndmask_b32_e64 v11, v72, v11, s1
	;;#ASMSTART
	v_pk_mul_f16 v2, v145, v2;

	;;#ASMEND
	;; [unrolled: 5-line block ×3, first 2 shown]
	;;#ASMSTART
	v_pk_mul_f16 v13, v149, v13;

	;;#ASMEND
	;;#ASMSTART
	v_pk_add_f16 v2, v12, v2;

	;;#ASMEND
	;;#ASMSTART
	v_pk_add_f16 v2, v2, v11;

	;;#ASMEND
	v_add_co_u32 v11, s8, v9, v130
	s_delay_alu instid0(VALU_DEP_1)
	v_add_co_ci_u32_e64 v12, s8, 0, v10, s8
	;;#ASMSTART
	v_pk_add_f16 v2, v2, v13;

	;;#ASMEND
	v_lshrrev_b32_e32 v13, 16, v2
	v_and_b32_e32 v2, 0xffff, v2
	;;#ASMSTART
	v_cvt_f32_f16 v63, v2;
	;;#ASMEND
	;;#ASMSTART
	v_cvt_f32_f16 v72, v13;
	;;#ASMEND
	flat_load_b64 v[11:12], v[11:12]
	flat_load_b32 v67, v[26:27]
	s_waitcnt vmcnt(1) lgkmcnt(1)
	v_and_b32_e32 v2, 0xff, v11
	s_delay_alu instid0(VALU_DEP_1)
	v_cmpx_ne_u16_e32 0, v2
	s_cbranch_execz .LBB356_3762
; %bb.3755:                             ;   in Loop: Header=BB356_2089 Depth=1
	v_bfrev_b32_e32 v147, 1
	s_mov_b32 s22, exec_lo
	v_cmpx_ne_u16_e32 0x80, v2
	s_cbranch_execz .LBB356_3761
; %bb.3756:                             ;   in Loop: Header=BB356_2089 Depth=1
	v_and_b32_e32 v13, 0x7f, v11
	v_mov_b32_e32 v147, 0x7fc02000
	s_mov_b32 s23, exec_lo
	s_delay_alu instid0(VALU_DEP_2)
	v_cmpx_ne_u32_e32 0x7f, v13
	s_cbranch_execz .LBB356_3760
; %bb.3757:                             ;   in Loop: Header=BB356_2089 Depth=1
	v_lshrrev_b32_e32 v2, 3, v13
	v_cmp_gt_u32_e64 s8, 8, v13
	v_dual_mov_b32 v14, v12 :: v_dual_mov_b32 v13, v11
	s_delay_alu instid0(VALU_DEP_2)
	s_and_saveexec_b32 s24, s8
; %bb.3758:                             ;   in Loop: Header=BB356_2089 Depth=1
	v_and_b32_e32 v2, 7, v11
	s_delay_alu instid0(VALU_DEP_1) | instskip(NEXT) | instid1(VALU_DEP_1)
	v_clz_i32_u32_e32 v2, v2
	v_min_u32_e32 v2, 32, v2
	s_delay_alu instid0(VALU_DEP_1) | instskip(SKIP_1) | instid1(VALU_DEP_2)
	v_subrev_nc_u32_e32 v13, 28, v2
	v_sub_nc_u32_e32 v2, 29, v2
	v_lshlrev_b64 v[13:14], v13, v[11:12]
; %bb.3759:                             ;   in Loop: Header=BB356_2089 Depth=1
	s_or_b32 exec_lo, exec_lo, s24
	v_lshlrev_b32_e32 v14, 8, v11
	s_delay_alu instid0(VALU_DEP_3) | instskip(NEXT) | instid1(VALU_DEP_3)
	v_lshl_add_u32 v2, v2, 10, 0x2000
	v_lshlrev_b32_e32 v13, 7, v13
	s_delay_alu instid0(VALU_DEP_2) | instskip(NEXT) | instid1(VALU_DEP_1)
	v_and_or_b32 v2, 0x8000, v14, v2
	v_and_or_b32 v2, 0x380, v13, v2
	s_delay_alu instid0(VALU_DEP_1)
	v_cvt_f32_f16_e64 v147, v2
.LBB356_3760:                           ;   in Loop: Header=BB356_2089 Depth=1
	s_or_b32 exec_lo, exec_lo, s23
.LBB356_3761:                           ;   in Loop: Header=BB356_2089 Depth=1
	s_delay_alu instid0(SALU_CYCLE_1)
	s_or_b32 exec_lo, exec_lo, s22
.LBB356_3762:                           ;   in Loop: Header=BB356_2089 Depth=1
	s_delay_alu instid0(SALU_CYCLE_1) | instskip(SKIP_2) | instid1(VALU_DEP_1)
	s_or_b32 exec_lo, exec_lo, s21
	v_lshrrev_b16 v2, 8, v11
	s_mov_b32 s21, exec_lo
	v_cmpx_ne_u16_e32 0, v2
	s_cbranch_execz .LBB356_3770
; %bb.3763:                             ;   in Loop: Header=BB356_2089 Depth=1
	v_bfrev_b32_e32 v148, 1
	s_mov_b32 s22, exec_lo
	v_cmpx_ne_u16_e32 0x80, v2
	s_cbranch_execz .LBB356_3769
; %bb.3764:                             ;   in Loop: Header=BB356_2089 Depth=1
	v_and_b32_e32 v73, 0xffff, v2
	v_mov_b32_e32 v148, 0x7fc02000
	s_mov_b32 s23, exec_lo
	s_delay_alu instid0(VALU_DEP_2) | instskip(NEXT) | instid1(VALU_DEP_1)
	v_and_b32_e32 v74, 0x7f, v73
	v_cmpx_ne_u32_e32 0x7f, v74
	s_cbranch_execz .LBB356_3768
; %bb.3765:                             ;   in Loop: Header=BB356_2089 Depth=1
	v_and_b32_e32 v2, 7, v73
	v_lshrrev_b32_e32 v148, 3, v74
	v_mov_b32_e32 v14, v3
	s_mov_b32 s24, exec_lo
	s_delay_alu instid0(VALU_DEP_3)
	v_mov_b32_e32 v13, v2
	v_cmpx_gt_u32_e32 8, v74
; %bb.3766:                             ;   in Loop: Header=BB356_2089 Depth=1
	v_clz_i32_u32_e32 v13, v2
	s_delay_alu instid0(VALU_DEP_1) | instskip(NEXT) | instid1(VALU_DEP_1)
	v_min_u32_e32 v148, 32, v13
	v_subrev_nc_u32_e32 v13, 28, v148
	v_sub_nc_u32_e32 v148, 29, v148
	s_delay_alu instid0(VALU_DEP_2) | instskip(NEXT) | instid1(VALU_DEP_1)
	v_lshlrev_b64 v[13:14], v13, v[2:3]
	v_and_b32_e32 v13, 7, v13
; %bb.3767:                             ;   in Loop: Header=BB356_2089 Depth=1
	s_or_b32 exec_lo, exec_lo, s24
	v_lshlrev_b32_e32 v2, 8, v73
	v_lshl_add_u32 v14, v148, 10, 0x2000
	s_delay_alu instid0(VALU_DEP_1) | instskip(NEXT) | instid1(VALU_DEP_1)
	v_and_or_b32 v2, 0x8000, v2, v14
	v_lshl_or_b32 v2, v13, 7, v2
	s_delay_alu instid0(VALU_DEP_1)
	v_cvt_f32_f16_e64 v148, v2
.LBB356_3768:                           ;   in Loop: Header=BB356_2089 Depth=1
	s_or_b32 exec_lo, exec_lo, s23
.LBB356_3769:                           ;   in Loop: Header=BB356_2089 Depth=1
	s_delay_alu instid0(SALU_CYCLE_1)
	s_or_b32 exec_lo, exec_lo, s22
.LBB356_3770:                           ;   in Loop: Header=BB356_2089 Depth=1
	s_delay_alu instid0(SALU_CYCLE_1) | instskip(SKIP_3) | instid1(VALU_DEP_2)
	s_or_b32 exec_lo, exec_lo, s21
	v_lshrrev_b32_e32 v76, 16, v11
	v_mov_b32_e32 v74, 0
	s_mov_b32 s21, exec_lo
	v_dual_mov_b32 v73, 0 :: v_dual_and_b32 v2, 0xff, v76
	s_delay_alu instid0(VALU_DEP_1)
	v_cmpx_ne_u16_e32 0, v2
	s_cbranch_execz .LBB356_3778
; %bb.3771:                             ;   in Loop: Header=BB356_2089 Depth=1
	v_bfrev_b32_e32 v73, 1
	s_mov_b32 s22, exec_lo
	v_cmpx_ne_u16_e32 0x80, v2
	s_cbranch_execz .LBB356_3777
; %bb.3772:                             ;   in Loop: Header=BB356_2089 Depth=1
	v_bfe_u32 v77, v11, 16, 7
	v_mov_b32_e32 v73, 0x7fc02000
	s_mov_b32 s23, exec_lo
	s_delay_alu instid0(VALU_DEP_2)
	v_cmpx_ne_u32_e32 0x7f, v77
	s_cbranch_execz .LBB356_3776
; %bb.3773:                             ;   in Loop: Header=BB356_2089 Depth=1
	v_and_b32_e32 v2, 7, v76
	v_lshrrev_b32_e32 v73, 3, v77
	v_mov_b32_e32 v14, v3
	s_mov_b32 s24, exec_lo
	s_delay_alu instid0(VALU_DEP_3)
	v_mov_b32_e32 v13, v2
	v_cmpx_gt_u32_e32 8, v77
; %bb.3774:                             ;   in Loop: Header=BB356_2089 Depth=1
	v_clz_i32_u32_e32 v13, v2
	s_delay_alu instid0(VALU_DEP_1) | instskip(NEXT) | instid1(VALU_DEP_1)
	v_min_u32_e32 v73, 32, v13
	v_subrev_nc_u32_e32 v13, 28, v73
	v_sub_nc_u32_e32 v73, 29, v73
	s_delay_alu instid0(VALU_DEP_2) | instskip(NEXT) | instid1(VALU_DEP_1)
	v_lshlrev_b64 v[13:14], v13, v[2:3]
	v_and_b32_e32 v13, 7, v13
; %bb.3775:                             ;   in Loop: Header=BB356_2089 Depth=1
	s_or_b32 exec_lo, exec_lo, s24
	v_lshlrev_b32_e32 v2, 8, v76
	v_lshl_add_u32 v14, v73, 10, 0x2000
	s_delay_alu instid0(VALU_DEP_1) | instskip(NEXT) | instid1(VALU_DEP_1)
	v_and_or_b32 v2, 0x8000, v2, v14
	v_lshl_or_b32 v2, v13, 7, v2
	s_delay_alu instid0(VALU_DEP_1)
	v_cvt_f32_f16_e32 v73, v2
.LBB356_3776:                           ;   in Loop: Header=BB356_2089 Depth=1
	s_or_b32 exec_lo, exec_lo, s23
.LBB356_3777:                           ;   in Loop: Header=BB356_2089 Depth=1
	s_delay_alu instid0(SALU_CYCLE_1)
	s_or_b32 exec_lo, exec_lo, s22
.LBB356_3778:                           ;   in Loop: Header=BB356_2089 Depth=1
	s_delay_alu instid0(SALU_CYCLE_1) | instskip(NEXT) | instid1(SALU_CYCLE_1)
	s_or_b32 exec_lo, exec_lo, s21
	s_mov_b32 s21, exec_lo
	v_cmpx_lt_u32_e32 0xffffff, v11
	s_cbranch_execz .LBB356_3786
; %bb.3779:                             ;   in Loop: Header=BB356_2089 Depth=1
	v_lshrrev_b32_e32 v76, 24, v11
	v_bfrev_b32_e32 v74, 1
	s_mov_b32 s22, exec_lo
	s_delay_alu instid0(VALU_DEP_2)
	v_cmpx_ne_u32_e32 0x80, v76
	s_cbranch_execz .LBB356_3785
; %bb.3780:                             ;   in Loop: Header=BB356_2089 Depth=1
	v_and_b32_e32 v77, 0x7f, v76
	v_mov_b32_e32 v74, 0x7fc02000
	s_mov_b32 s23, exec_lo
	s_delay_alu instid0(VALU_DEP_2)
	v_cmpx_ne_u32_e32 0x7f, v77
	s_cbranch_execz .LBB356_3784
; %bb.3781:                             ;   in Loop: Header=BB356_2089 Depth=1
	v_and_b32_e32 v2, 7, v76
	v_lshrrev_b32_e32 v74, 3, v77
	v_mov_b32_e32 v14, v3
	s_mov_b32 s24, exec_lo
	s_delay_alu instid0(VALU_DEP_3)
	v_mov_b32_e32 v13, v2
	v_cmpx_gt_u32_e32 8, v77
; %bb.3782:                             ;   in Loop: Header=BB356_2089 Depth=1
	v_clz_i32_u32_e32 v13, v2
	s_delay_alu instid0(VALU_DEP_1) | instskip(NEXT) | instid1(VALU_DEP_1)
	v_min_u32_e32 v74, 32, v13
	v_subrev_nc_u32_e32 v13, 28, v74
	v_sub_nc_u32_e32 v74, 29, v74
	s_delay_alu instid0(VALU_DEP_2) | instskip(NEXT) | instid1(VALU_DEP_1)
	v_lshlrev_b64 v[13:14], v13, v[2:3]
	v_and_b32_e32 v13, 7, v13
; %bb.3783:                             ;   in Loop: Header=BB356_2089 Depth=1
	s_or_b32 exec_lo, exec_lo, s24
	v_lshlrev_b32_e32 v2, 8, v76
	v_lshl_add_u32 v14, v74, 10, 0x2000
	s_delay_alu instid0(VALU_DEP_1) | instskip(NEXT) | instid1(VALU_DEP_1)
	v_and_or_b32 v2, 0x8000, v2, v14
	v_lshl_or_b32 v2, v13, 7, v2
	s_delay_alu instid0(VALU_DEP_1)
	v_cvt_f32_f16_e32 v74, v2
.LBB356_3784:                           ;   in Loop: Header=BB356_2089 Depth=1
	s_or_b32 exec_lo, exec_lo, s23
.LBB356_3785:                           ;   in Loop: Header=BB356_2089 Depth=1
	s_delay_alu instid0(SALU_CYCLE_1)
	s_or_b32 exec_lo, exec_lo, s22
.LBB356_3786:                           ;   in Loop: Header=BB356_2089 Depth=1
	s_delay_alu instid0(SALU_CYCLE_1) | instskip(SKIP_3) | instid1(VALU_DEP_2)
	s_or_b32 exec_lo, exec_lo, s21
	v_dual_mov_b32 v2, v12 :: v_dual_and_b32 v13, 0xff, v12
	v_dual_mov_b32 v77, 0 :: v_dual_mov_b32 v76, 0
	s_mov_b32 s21, exec_lo
	v_cmpx_ne_u16_e32 0, v13
	s_cbranch_execz .LBB356_3794
; %bb.3787:                             ;   in Loop: Header=BB356_2089 Depth=1
	v_bfrev_b32_e32 v76, 1
	s_mov_b32 s22, exec_lo
	v_cmpx_ne_u16_e32 0x80, v13
	s_cbranch_execz .LBB356_3793
; %bb.3788:                             ;   in Loop: Header=BB356_2089 Depth=1
	v_and_b32_e32 v78, 0x7f, v12
	v_mov_b32_e32 v76, 0x7fc02000
	s_mov_b32 s23, exec_lo
	s_delay_alu instid0(VALU_DEP_2)
	v_cmpx_ne_u32_e32 0x7f, v78
	s_cbranch_execz .LBB356_3792
; %bb.3789:                             ;   in Loop: Header=BB356_2089 Depth=1
	v_dual_mov_b32 v14, v3 :: v_dual_mov_b32 v13, v2
	v_lshrrev_b32_e32 v14, 3, v78
	s_mov_b32 s24, exec_lo
	v_cmpx_gt_u32_e32 8, v78
; %bb.3790:                             ;   in Loop: Header=BB356_2089 Depth=1
	v_and_b32_e32 v13, 7, v12
	s_delay_alu instid0(VALU_DEP_1) | instskip(NEXT) | instid1(VALU_DEP_1)
	v_clz_i32_u32_e32 v13, v13
	v_min_u32_e32 v76, 32, v13
	s_delay_alu instid0(VALU_DEP_1) | instskip(NEXT) | instid1(VALU_DEP_1)
	v_subrev_nc_u32_e32 v13, 28, v76
	v_lshlrev_b64 v[13:14], v13, v[2:3]
	v_sub_nc_u32_e32 v14, 29, v76
; %bb.3791:                             ;   in Loop: Header=BB356_2089 Depth=1
	s_or_b32 exec_lo, exec_lo, s24
	v_lshlrev_b32_e32 v76, 8, v12
	s_delay_alu instid0(VALU_DEP_2) | instskip(NEXT) | instid1(VALU_DEP_4)
	v_lshl_add_u32 v14, v14, 10, 0x2000
	v_lshlrev_b32_e32 v13, 7, v13
	s_delay_alu instid0(VALU_DEP_2) | instskip(NEXT) | instid1(VALU_DEP_1)
	v_and_or_b32 v14, 0x8000, v76, v14
	v_and_or_b32 v13, 0x380, v13, v14
	s_delay_alu instid0(VALU_DEP_1)
	v_cvt_f32_f16_e32 v76, v13
.LBB356_3792:                           ;   in Loop: Header=BB356_2089 Depth=1
	s_or_b32 exec_lo, exec_lo, s23
.LBB356_3793:                           ;   in Loop: Header=BB356_2089 Depth=1
	s_delay_alu instid0(SALU_CYCLE_1)
	s_or_b32 exec_lo, exec_lo, s22
.LBB356_3794:                           ;   in Loop: Header=BB356_2089 Depth=1
	s_delay_alu instid0(SALU_CYCLE_1) | instskip(SKIP_2) | instid1(VALU_DEP_1)
	s_or_b32 exec_lo, exec_lo, s21
	v_lshrrev_b16 v2, 8, v2
	s_mov_b32 s21, exec_lo
	v_cmpx_ne_u16_e32 0, v2
	s_cbranch_execz .LBB356_3802
; %bb.3795:                             ;   in Loop: Header=BB356_2089 Depth=1
	v_bfrev_b32_e32 v77, 1
	s_mov_b32 s22, exec_lo
	v_cmpx_ne_u16_e32 0x80, v2
	s_cbranch_execz .LBB356_3801
; %bb.3796:                             ;   in Loop: Header=BB356_2089 Depth=1
	v_and_b32_e32 v78, 0xffff, v2
	v_mov_b32_e32 v77, 0x7fc02000
	s_mov_b32 s23, exec_lo
	s_delay_alu instid0(VALU_DEP_2) | instskip(NEXT) | instid1(VALU_DEP_1)
	v_and_b32_e32 v79, 0x7f, v78
	v_cmpx_ne_u32_e32 0x7f, v79
	s_cbranch_execz .LBB356_3800
; %bb.3797:                             ;   in Loop: Header=BB356_2089 Depth=1
	v_and_b32_e32 v2, 7, v78
	v_lshrrev_b32_e32 v77, 3, v79
	v_mov_b32_e32 v14, v3
	s_mov_b32 s24, exec_lo
	s_delay_alu instid0(VALU_DEP_3)
	v_mov_b32_e32 v13, v2
	v_cmpx_gt_u32_e32 8, v79
; %bb.3798:                             ;   in Loop: Header=BB356_2089 Depth=1
	v_clz_i32_u32_e32 v13, v2
	s_delay_alu instid0(VALU_DEP_1) | instskip(NEXT) | instid1(VALU_DEP_1)
	v_min_u32_e32 v77, 32, v13
	v_subrev_nc_u32_e32 v13, 28, v77
	v_sub_nc_u32_e32 v77, 29, v77
	s_delay_alu instid0(VALU_DEP_2) | instskip(NEXT) | instid1(VALU_DEP_1)
	v_lshlrev_b64 v[13:14], v13, v[2:3]
	v_and_b32_e32 v13, 7, v13
; %bb.3799:                             ;   in Loop: Header=BB356_2089 Depth=1
	s_or_b32 exec_lo, exec_lo, s24
	v_lshlrev_b32_e32 v2, 8, v78
	v_lshl_add_u32 v14, v77, 10, 0x2000
	s_delay_alu instid0(VALU_DEP_1) | instskip(NEXT) | instid1(VALU_DEP_1)
	v_and_or_b32 v2, 0x8000, v2, v14
	v_lshl_or_b32 v2, v13, 7, v2
	s_delay_alu instid0(VALU_DEP_1)
	v_cvt_f32_f16_e32 v77, v2
.LBB356_3800:                           ;   in Loop: Header=BB356_2089 Depth=1
	s_or_b32 exec_lo, exec_lo, s23
.LBB356_3801:                           ;   in Loop: Header=BB356_2089 Depth=1
	s_delay_alu instid0(SALU_CYCLE_1)
	s_or_b32 exec_lo, exec_lo, s22
.LBB356_3802:                           ;   in Loop: Header=BB356_2089 Depth=1
	s_delay_alu instid0(SALU_CYCLE_1) | instskip(SKIP_3) | instid1(VALU_DEP_2)
	s_or_b32 exec_lo, exec_lo, s21
	v_lshrrev_b32_e32 v79, 16, v12
	v_mov_b32_e32 v78, 0
	s_mov_b32 s21, exec_lo
	v_dual_mov_b32 v13, 0 :: v_dual_and_b32 v2, 0xff, v79
	s_delay_alu instid0(VALU_DEP_1)
	v_cmpx_ne_u16_e32 0, v2
	s_cbranch_execz .LBB356_3810
; %bb.3803:                             ;   in Loop: Header=BB356_2089 Depth=1
	v_bfrev_b32_e32 v13, 1
	s_mov_b32 s22, exec_lo
	v_cmpx_ne_u16_e32 0x80, v2
	s_cbranch_execz .LBB356_3809
; %bb.3804:                             ;   in Loop: Header=BB356_2089 Depth=1
	v_bfe_u32 v89, v12, 16, 7
	v_mov_b32_e32 v13, 0x7fc02000
	s_mov_b32 s23, exec_lo
	s_delay_alu instid0(VALU_DEP_2)
	v_cmpx_ne_u32_e32 0x7f, v89
	s_cbranch_execz .LBB356_3808
; %bb.3805:                             ;   in Loop: Header=BB356_2089 Depth=1
	v_and_b32_e32 v2, 7, v79
	v_lshrrev_b32_e32 v88, 3, v89
	v_mov_b32_e32 v14, v3
	s_mov_b32 s24, exec_lo
	s_delay_alu instid0(VALU_DEP_3)
	v_mov_b32_e32 v13, v2
	v_cmpx_gt_u32_e32 8, v89
; %bb.3806:                             ;   in Loop: Header=BB356_2089 Depth=1
	v_clz_i32_u32_e32 v13, v2
	s_delay_alu instid0(VALU_DEP_1) | instskip(NEXT) | instid1(VALU_DEP_1)
	v_min_u32_e32 v88, 32, v13
	v_subrev_nc_u32_e32 v13, 28, v88
	v_sub_nc_u32_e32 v88, 29, v88
	s_delay_alu instid0(VALU_DEP_2) | instskip(NEXT) | instid1(VALU_DEP_1)
	v_lshlrev_b64 v[13:14], v13, v[2:3]
	v_and_b32_e32 v13, 7, v13
; %bb.3807:                             ;   in Loop: Header=BB356_2089 Depth=1
	s_or_b32 exec_lo, exec_lo, s24
	v_lshlrev_b32_e32 v2, 8, v79
	v_lshl_add_u32 v14, v88, 10, 0x2000
	s_delay_alu instid0(VALU_DEP_1) | instskip(NEXT) | instid1(VALU_DEP_1)
	v_and_or_b32 v2, 0x8000, v2, v14
	v_lshl_or_b32 v2, v13, 7, v2
	s_delay_alu instid0(VALU_DEP_1)
	v_cvt_f32_f16_e32 v13, v2
.LBB356_3808:                           ;   in Loop: Header=BB356_2089 Depth=1
	s_or_b32 exec_lo, exec_lo, s23
.LBB356_3809:                           ;   in Loop: Header=BB356_2089 Depth=1
	s_delay_alu instid0(SALU_CYCLE_1)
	s_or_b32 exec_lo, exec_lo, s22
.LBB356_3810:                           ;   in Loop: Header=BB356_2089 Depth=1
	s_delay_alu instid0(SALU_CYCLE_1) | instskip(NEXT) | instid1(SALU_CYCLE_1)
	s_or_b32 exec_lo, exec_lo, s21
	s_mov_b32 s21, exec_lo
	v_cmpx_lt_u64_e64 s[18:19], v[11:12]
	s_cbranch_execz .LBB356_3818
; %bb.3811:                             ;   in Loop: Header=BB356_2089 Depth=1
	v_lshrrev_b32_e32 v14, 24, v12
	v_bfrev_b32_e32 v78, 1
	s_mov_b32 s22, exec_lo
	s_delay_alu instid0(VALU_DEP_2)
	v_cmpx_ne_u32_e32 0x80, v14
	s_cbranch_execz .LBB356_3817
; %bb.3812:                             ;   in Loop: Header=BB356_2089 Depth=1
	v_and_b32_e32 v79, 0x7f, v14
	v_mov_b32_e32 v78, 0x7fc02000
	s_mov_b32 s23, exec_lo
	s_delay_alu instid0(VALU_DEP_2)
	v_cmpx_ne_u32_e32 0x7f, v79
	s_cbranch_execz .LBB356_3816
; %bb.3813:                             ;   in Loop: Header=BB356_2089 Depth=1
	v_and_b32_e32 v2, 7, v14
	v_lshrrev_b32_e32 v78, 3, v79
	v_mov_b32_e32 v12, v3
	s_mov_b32 s24, exec_lo
	s_delay_alu instid0(VALU_DEP_3)
	v_mov_b32_e32 v11, v2
	v_cmpx_gt_u32_e32 8, v79
; %bb.3814:                             ;   in Loop: Header=BB356_2089 Depth=1
	v_clz_i32_u32_e32 v11, v2
	s_delay_alu instid0(VALU_DEP_1) | instskip(NEXT) | instid1(VALU_DEP_1)
	v_min_u32_e32 v78, 32, v11
	v_subrev_nc_u32_e32 v11, 28, v78
	v_sub_nc_u32_e32 v78, 29, v78
	s_delay_alu instid0(VALU_DEP_2) | instskip(NEXT) | instid1(VALU_DEP_1)
	v_lshlrev_b64 v[11:12], v11, v[2:3]
	v_and_b32_e32 v11, 7, v11
; %bb.3815:                             ;   in Loop: Header=BB356_2089 Depth=1
	s_or_b32 exec_lo, exec_lo, s24
	v_lshlrev_b32_e32 v2, 8, v14
	v_lshl_add_u32 v12, v78, 10, 0x2000
	s_delay_alu instid0(VALU_DEP_1) | instskip(NEXT) | instid1(VALU_DEP_1)
	v_and_or_b32 v2, 0x8000, v2, v12
	v_lshl_or_b32 v2, v11, 7, v2
	s_delay_alu instid0(VALU_DEP_1)
	v_cvt_f32_f16_e32 v78, v2
.LBB356_3816:                           ;   in Loop: Header=BB356_2089 Depth=1
	s_or_b32 exec_lo, exec_lo, s23
.LBB356_3817:                           ;   in Loop: Header=BB356_2089 Depth=1
	s_delay_alu instid0(SALU_CYCLE_1)
	s_or_b32 exec_lo, exec_lo, s22
.LBB356_3818:                           ;   in Loop: Header=BB356_2089 Depth=1
	s_delay_alu instid0(SALU_CYCLE_1)
	s_or_b32 exec_lo, exec_lo, s21
	s_waitcnt vmcnt(0) lgkmcnt(0)
	v_fma_mixlo_f16 v2, v67, v74, 0
	v_fma_mixlo_f16 v11, v67, v73, 0
	;; [unrolled: 1-line block ×6, first 2 shown]
	v_lshlrev_b32_e32 v148, 16, v2
	v_and_b32_e32 v74, 0xffff, v11
	v_lshlrev_b32_e32 v76, 16, v12
	v_and_b32_e32 v77, 0xffff, v14
	v_dual_cndmask_b32 v14, 0, v14 :: v_dual_lshlrev_b32 v79, 16, v147
	v_and_b32_e32 v88, 0xffff, v73
	v_fma_mixlo_f16 v78, v67, v78, 0
	v_fma_mixlo_f16 v13, v67, v13, 0
	v_cndmask_b32_e64 v11, 0, v11, s2
	v_cndmask_b32_e64 v2, 0, v2, s4
	;; [unrolled: 1-line block ×5, first 2 shown]
	s_mov_b32 s21, exec_lo
	v_perm_b32 v2, v2, v11, 0x5040100
	s_delay_alu instid0(VALU_DEP_3)
	v_perm_b32 v11, v147, v73, 0x5040100
	v_mov_b32_e32 v147, 0
	v_or_b32_e32 v67, v148, v74
	v_or_b32_e32 v148, v76, v77
	v_lshlrev_b32_e32 v76, 16, v78
	v_and_b32_e32 v77, 0xffff, v13
	v_cndmask_b32_e64 v13, 0, v13, s3
	v_cndmask_b32_e64 v78, 0, v78, s5
	v_perm_b32 v12, v12, v14, 0x5040100
	v_or_b32_e32 v74, v79, v88
	v_or_b32_e32 v76, v76, v77
	v_cndmask_b32_e64 v2, v67, v2, s1
	v_perm_b32 v13, v78, v13, 0x5040100
	v_cndmask_b32_e64 v12, v148, v12, s1
	v_cndmask_b32_e64 v11, v74, v11, s1
	;;#ASMSTART
	v_pk_mul_f16 v12, v146, v12;

	;;#ASMEND
	;;#ASMSTART
	v_pk_mul_f16 v2, v145, v2;

	;;#ASMEND
	v_cndmask_b32_e64 v13, v76, v13, s1
	;;#ASMSTART
	v_pk_mul_f16 v11, v144, v11;

	;;#ASMEND
	;;#ASMSTART
	v_pk_mul_f16 v13, v149, v13;

	;;#ASMEND
	;;#ASMSTART
	v_pk_add_f16 v2, v12, v2;

	;;#ASMEND
	;;#ASMSTART
	v_pk_add_f16 v2, v2, v11;

	;;#ASMEND
	v_add_co_u32 v11, s8, v9, v131
	s_delay_alu instid0(VALU_DEP_1)
	v_add_co_ci_u32_e64 v12, s8, 0, v10, s8
	;;#ASMSTART
	v_pk_add_f16 v2, v2, v13;

	;;#ASMEND
	v_lshrrev_b32_e32 v13, 16, v2
	v_and_b32_e32 v2, 0xffff, v2
	;;#ASMSTART
	v_cvt_f32_f16 v73, v2;
	;;#ASMEND
	;;#ASMSTART
	v_cvt_f32_f16 v74, v13;
	;;#ASMEND
	flat_load_b64 v[11:12], v[11:12]
	flat_load_b32 v67, v[26:27]
	v_mov_b32_e32 v148, 0
	s_waitcnt vmcnt(1) lgkmcnt(1)
	v_and_b32_e32 v2, 0xff, v11
	s_delay_alu instid0(VALU_DEP_1)
	v_cmpx_ne_u16_e32 0, v2
	s_cbranch_execz .LBB356_3826
; %bb.3819:                             ;   in Loop: Header=BB356_2089 Depth=1
	v_bfrev_b32_e32 v147, 1
	s_mov_b32 s22, exec_lo
	v_cmpx_ne_u16_e32 0x80, v2
	s_cbranch_execz .LBB356_3825
; %bb.3820:                             ;   in Loop: Header=BB356_2089 Depth=1
	v_and_b32_e32 v13, 0x7f, v11
	v_mov_b32_e32 v147, 0x7fc02000
	s_mov_b32 s23, exec_lo
	s_delay_alu instid0(VALU_DEP_2)
	v_cmpx_ne_u32_e32 0x7f, v13
	s_cbranch_execz .LBB356_3824
; %bb.3821:                             ;   in Loop: Header=BB356_2089 Depth=1
	v_lshrrev_b32_e32 v2, 3, v13
	v_cmp_gt_u32_e64 s8, 8, v13
	v_dual_mov_b32 v14, v12 :: v_dual_mov_b32 v13, v11
	s_delay_alu instid0(VALU_DEP_2)
	s_and_saveexec_b32 s24, s8
; %bb.3822:                             ;   in Loop: Header=BB356_2089 Depth=1
	v_and_b32_e32 v2, 7, v11
	s_delay_alu instid0(VALU_DEP_1) | instskip(NEXT) | instid1(VALU_DEP_1)
	v_clz_i32_u32_e32 v2, v2
	v_min_u32_e32 v2, 32, v2
	s_delay_alu instid0(VALU_DEP_1) | instskip(SKIP_1) | instid1(VALU_DEP_2)
	v_subrev_nc_u32_e32 v13, 28, v2
	v_sub_nc_u32_e32 v2, 29, v2
	v_lshlrev_b64 v[13:14], v13, v[11:12]
; %bb.3823:                             ;   in Loop: Header=BB356_2089 Depth=1
	s_or_b32 exec_lo, exec_lo, s24
	v_lshlrev_b32_e32 v14, 8, v11
	s_delay_alu instid0(VALU_DEP_3) | instskip(NEXT) | instid1(VALU_DEP_3)
	v_lshl_add_u32 v2, v2, 10, 0x2000
	v_lshlrev_b32_e32 v13, 7, v13
	s_delay_alu instid0(VALU_DEP_2) | instskip(NEXT) | instid1(VALU_DEP_1)
	v_and_or_b32 v2, 0x8000, v14, v2
	v_and_or_b32 v2, 0x380, v13, v2
	s_delay_alu instid0(VALU_DEP_1)
	v_cvt_f32_f16_e64 v147, v2
.LBB356_3824:                           ;   in Loop: Header=BB356_2089 Depth=1
	s_or_b32 exec_lo, exec_lo, s23
.LBB356_3825:                           ;   in Loop: Header=BB356_2089 Depth=1
	s_delay_alu instid0(SALU_CYCLE_1)
	s_or_b32 exec_lo, exec_lo, s22
.LBB356_3826:                           ;   in Loop: Header=BB356_2089 Depth=1
	s_delay_alu instid0(SALU_CYCLE_1) | instskip(SKIP_2) | instid1(VALU_DEP_1)
	s_or_b32 exec_lo, exec_lo, s21
	v_lshrrev_b16 v2, 8, v11
	s_mov_b32 s21, exec_lo
	v_cmpx_ne_u16_e32 0, v2
	s_cbranch_execz .LBB356_3834
; %bb.3827:                             ;   in Loop: Header=BB356_2089 Depth=1
	v_bfrev_b32_e32 v148, 1
	s_mov_b32 s22, exec_lo
	v_cmpx_ne_u16_e32 0x80, v2
	s_cbranch_execz .LBB356_3833
; %bb.3828:                             ;   in Loop: Header=BB356_2089 Depth=1
	v_and_b32_e32 v76, 0xffff, v2
	v_mov_b32_e32 v148, 0x7fc02000
	s_mov_b32 s23, exec_lo
	s_delay_alu instid0(VALU_DEP_2) | instskip(NEXT) | instid1(VALU_DEP_1)
	v_and_b32_e32 v77, 0x7f, v76
	v_cmpx_ne_u32_e32 0x7f, v77
	s_cbranch_execz .LBB356_3832
; %bb.3829:                             ;   in Loop: Header=BB356_2089 Depth=1
	v_and_b32_e32 v2, 7, v76
	v_lshrrev_b32_e32 v148, 3, v77
	v_mov_b32_e32 v14, v3
	s_mov_b32 s24, exec_lo
	s_delay_alu instid0(VALU_DEP_3)
	v_mov_b32_e32 v13, v2
	v_cmpx_gt_u32_e32 8, v77
; %bb.3830:                             ;   in Loop: Header=BB356_2089 Depth=1
	v_clz_i32_u32_e32 v13, v2
	s_delay_alu instid0(VALU_DEP_1) | instskip(NEXT) | instid1(VALU_DEP_1)
	v_min_u32_e32 v148, 32, v13
	v_subrev_nc_u32_e32 v13, 28, v148
	v_sub_nc_u32_e32 v148, 29, v148
	s_delay_alu instid0(VALU_DEP_2) | instskip(NEXT) | instid1(VALU_DEP_1)
	v_lshlrev_b64 v[13:14], v13, v[2:3]
	v_and_b32_e32 v13, 7, v13
; %bb.3831:                             ;   in Loop: Header=BB356_2089 Depth=1
	s_or_b32 exec_lo, exec_lo, s24
	v_lshlrev_b32_e32 v2, 8, v76
	v_lshl_add_u32 v14, v148, 10, 0x2000
	s_delay_alu instid0(VALU_DEP_1) | instskip(NEXT) | instid1(VALU_DEP_1)
	v_and_or_b32 v2, 0x8000, v2, v14
	v_lshl_or_b32 v2, v13, 7, v2
	s_delay_alu instid0(VALU_DEP_1)
	v_cvt_f32_f16_e64 v148, v2
.LBB356_3832:                           ;   in Loop: Header=BB356_2089 Depth=1
	s_or_b32 exec_lo, exec_lo, s23
.LBB356_3833:                           ;   in Loop: Header=BB356_2089 Depth=1
	s_delay_alu instid0(SALU_CYCLE_1)
	s_or_b32 exec_lo, exec_lo, s22
.LBB356_3834:                           ;   in Loop: Header=BB356_2089 Depth=1
	s_delay_alu instid0(SALU_CYCLE_1) | instskip(SKIP_3) | instid1(VALU_DEP_2)
	s_or_b32 exec_lo, exec_lo, s21
	v_lshrrev_b32_e32 v78, 16, v11
	v_mov_b32_e32 v76, 0
	s_mov_b32 s21, exec_lo
	v_dual_mov_b32 v77, 0 :: v_dual_and_b32 v2, 0xff, v78
	s_delay_alu instid0(VALU_DEP_1)
	v_cmpx_ne_u16_e32 0, v2
	s_cbranch_execz .LBB356_3842
; %bb.3835:                             ;   in Loop: Header=BB356_2089 Depth=1
	v_bfrev_b32_e32 v76, 1
	s_mov_b32 s22, exec_lo
	v_cmpx_ne_u16_e32 0x80, v2
	s_cbranch_execz .LBB356_3841
; %bb.3836:                             ;   in Loop: Header=BB356_2089 Depth=1
	v_bfe_u32 v79, v11, 16, 7
	v_mov_b32_e32 v76, 0x7fc02000
	s_mov_b32 s23, exec_lo
	s_delay_alu instid0(VALU_DEP_2)
	v_cmpx_ne_u32_e32 0x7f, v79
	s_cbranch_execz .LBB356_3840
; %bb.3837:                             ;   in Loop: Header=BB356_2089 Depth=1
	v_and_b32_e32 v2, 7, v78
	v_lshrrev_b32_e32 v76, 3, v79
	v_mov_b32_e32 v14, v3
	s_mov_b32 s24, exec_lo
	s_delay_alu instid0(VALU_DEP_3)
	v_mov_b32_e32 v13, v2
	v_cmpx_gt_u32_e32 8, v79
; %bb.3838:                             ;   in Loop: Header=BB356_2089 Depth=1
	v_clz_i32_u32_e32 v13, v2
	s_delay_alu instid0(VALU_DEP_1) | instskip(NEXT) | instid1(VALU_DEP_1)
	v_min_u32_e32 v76, 32, v13
	v_subrev_nc_u32_e32 v13, 28, v76
	v_sub_nc_u32_e32 v76, 29, v76
	s_delay_alu instid0(VALU_DEP_2) | instskip(NEXT) | instid1(VALU_DEP_1)
	v_lshlrev_b64 v[13:14], v13, v[2:3]
	v_and_b32_e32 v13, 7, v13
; %bb.3839:                             ;   in Loop: Header=BB356_2089 Depth=1
	s_or_b32 exec_lo, exec_lo, s24
	v_lshlrev_b32_e32 v2, 8, v78
	v_lshl_add_u32 v14, v76, 10, 0x2000
	s_delay_alu instid0(VALU_DEP_1) | instskip(NEXT) | instid1(VALU_DEP_1)
	v_and_or_b32 v2, 0x8000, v2, v14
	v_lshl_or_b32 v2, v13, 7, v2
	s_delay_alu instid0(VALU_DEP_1)
	v_cvt_f32_f16_e32 v76, v2
.LBB356_3840:                           ;   in Loop: Header=BB356_2089 Depth=1
	s_or_b32 exec_lo, exec_lo, s23
.LBB356_3841:                           ;   in Loop: Header=BB356_2089 Depth=1
	s_delay_alu instid0(SALU_CYCLE_1)
	s_or_b32 exec_lo, exec_lo, s22
.LBB356_3842:                           ;   in Loop: Header=BB356_2089 Depth=1
	s_delay_alu instid0(SALU_CYCLE_1) | instskip(NEXT) | instid1(SALU_CYCLE_1)
	s_or_b32 exec_lo, exec_lo, s21
	s_mov_b32 s21, exec_lo
	v_cmpx_lt_u32_e32 0xffffff, v11
	s_cbranch_execz .LBB356_3850
; %bb.3843:                             ;   in Loop: Header=BB356_2089 Depth=1
	v_lshrrev_b32_e32 v78, 24, v11
	v_bfrev_b32_e32 v77, 1
	s_mov_b32 s22, exec_lo
	s_delay_alu instid0(VALU_DEP_2)
	v_cmpx_ne_u32_e32 0x80, v78
	s_cbranch_execz .LBB356_3849
; %bb.3844:                             ;   in Loop: Header=BB356_2089 Depth=1
	v_and_b32_e32 v79, 0x7f, v78
	v_mov_b32_e32 v77, 0x7fc02000
	s_mov_b32 s23, exec_lo
	s_delay_alu instid0(VALU_DEP_2)
	v_cmpx_ne_u32_e32 0x7f, v79
	s_cbranch_execz .LBB356_3848
; %bb.3845:                             ;   in Loop: Header=BB356_2089 Depth=1
	v_and_b32_e32 v2, 7, v78
	v_lshrrev_b32_e32 v77, 3, v79
	v_mov_b32_e32 v14, v3
	s_mov_b32 s24, exec_lo
	s_delay_alu instid0(VALU_DEP_3)
	v_mov_b32_e32 v13, v2
	v_cmpx_gt_u32_e32 8, v79
; %bb.3846:                             ;   in Loop: Header=BB356_2089 Depth=1
	v_clz_i32_u32_e32 v13, v2
	s_delay_alu instid0(VALU_DEP_1) | instskip(NEXT) | instid1(VALU_DEP_1)
	v_min_u32_e32 v77, 32, v13
	v_subrev_nc_u32_e32 v13, 28, v77
	v_sub_nc_u32_e32 v77, 29, v77
	s_delay_alu instid0(VALU_DEP_2) | instskip(NEXT) | instid1(VALU_DEP_1)
	v_lshlrev_b64 v[13:14], v13, v[2:3]
	v_and_b32_e32 v13, 7, v13
; %bb.3847:                             ;   in Loop: Header=BB356_2089 Depth=1
	s_or_b32 exec_lo, exec_lo, s24
	v_lshlrev_b32_e32 v2, 8, v78
	v_lshl_add_u32 v14, v77, 10, 0x2000
	s_delay_alu instid0(VALU_DEP_1) | instskip(NEXT) | instid1(VALU_DEP_1)
	v_and_or_b32 v2, 0x8000, v2, v14
	v_lshl_or_b32 v2, v13, 7, v2
	s_delay_alu instid0(VALU_DEP_1)
	v_cvt_f32_f16_e32 v77, v2
.LBB356_3848:                           ;   in Loop: Header=BB356_2089 Depth=1
	s_or_b32 exec_lo, exec_lo, s23
.LBB356_3849:                           ;   in Loop: Header=BB356_2089 Depth=1
	s_delay_alu instid0(SALU_CYCLE_1)
	s_or_b32 exec_lo, exec_lo, s22
.LBB356_3850:                           ;   in Loop: Header=BB356_2089 Depth=1
	s_delay_alu instid0(SALU_CYCLE_1) | instskip(SKIP_3) | instid1(VALU_DEP_2)
	s_or_b32 exec_lo, exec_lo, s21
	v_dual_mov_b32 v2, v12 :: v_dual_and_b32 v13, 0xff, v12
	v_dual_mov_b32 v79, 0 :: v_dual_mov_b32 v78, 0
	s_mov_b32 s21, exec_lo
	v_cmpx_ne_u16_e32 0, v13
	s_cbranch_execz .LBB356_3858
; %bb.3851:                             ;   in Loop: Header=BB356_2089 Depth=1
	v_bfrev_b32_e32 v78, 1
	s_mov_b32 s22, exec_lo
	v_cmpx_ne_u16_e32 0x80, v13
	s_cbranch_execz .LBB356_3857
; %bb.3852:                             ;   in Loop: Header=BB356_2089 Depth=1
	v_and_b32_e32 v88, 0x7f, v12
	v_mov_b32_e32 v78, 0x7fc02000
	s_mov_b32 s23, exec_lo
	s_delay_alu instid0(VALU_DEP_2)
	v_cmpx_ne_u32_e32 0x7f, v88
	s_cbranch_execz .LBB356_3856
; %bb.3853:                             ;   in Loop: Header=BB356_2089 Depth=1
	v_dual_mov_b32 v14, v3 :: v_dual_mov_b32 v13, v2
	v_lshrrev_b32_e32 v14, 3, v88
	s_mov_b32 s24, exec_lo
	v_cmpx_gt_u32_e32 8, v88
; %bb.3854:                             ;   in Loop: Header=BB356_2089 Depth=1
	v_and_b32_e32 v13, 7, v12
	s_delay_alu instid0(VALU_DEP_1) | instskip(NEXT) | instid1(VALU_DEP_1)
	v_clz_i32_u32_e32 v13, v13
	v_min_u32_e32 v78, 32, v13
	s_delay_alu instid0(VALU_DEP_1) | instskip(NEXT) | instid1(VALU_DEP_1)
	v_subrev_nc_u32_e32 v13, 28, v78
	v_lshlrev_b64 v[13:14], v13, v[2:3]
	v_sub_nc_u32_e32 v14, 29, v78
; %bb.3855:                             ;   in Loop: Header=BB356_2089 Depth=1
	s_or_b32 exec_lo, exec_lo, s24
	v_lshlrev_b32_e32 v78, 8, v12
	s_delay_alu instid0(VALU_DEP_2) | instskip(NEXT) | instid1(VALU_DEP_4)
	v_lshl_add_u32 v14, v14, 10, 0x2000
	v_lshlrev_b32_e32 v13, 7, v13
	s_delay_alu instid0(VALU_DEP_2) | instskip(NEXT) | instid1(VALU_DEP_1)
	v_and_or_b32 v14, 0x8000, v78, v14
	v_and_or_b32 v13, 0x380, v13, v14
	s_delay_alu instid0(VALU_DEP_1)
	v_cvt_f32_f16_e32 v78, v13
.LBB356_3856:                           ;   in Loop: Header=BB356_2089 Depth=1
	s_or_b32 exec_lo, exec_lo, s23
.LBB356_3857:                           ;   in Loop: Header=BB356_2089 Depth=1
	s_delay_alu instid0(SALU_CYCLE_1)
	s_or_b32 exec_lo, exec_lo, s22
.LBB356_3858:                           ;   in Loop: Header=BB356_2089 Depth=1
	s_delay_alu instid0(SALU_CYCLE_1) | instskip(SKIP_2) | instid1(VALU_DEP_1)
	s_or_b32 exec_lo, exec_lo, s21
	v_lshrrev_b16 v2, 8, v2
	s_mov_b32 s21, exec_lo
	v_cmpx_ne_u16_e32 0, v2
	s_cbranch_execz .LBB356_3866
; %bb.3859:                             ;   in Loop: Header=BB356_2089 Depth=1
	v_bfrev_b32_e32 v79, 1
	s_mov_b32 s22, exec_lo
	v_cmpx_ne_u16_e32 0x80, v2
	s_cbranch_execz .LBB356_3865
; %bb.3860:                             ;   in Loop: Header=BB356_2089 Depth=1
	v_and_b32_e32 v88, 0xffff, v2
	v_mov_b32_e32 v79, 0x7fc02000
	s_mov_b32 s23, exec_lo
	s_delay_alu instid0(VALU_DEP_2) | instskip(NEXT) | instid1(VALU_DEP_1)
	v_and_b32_e32 v89, 0x7f, v88
	v_cmpx_ne_u32_e32 0x7f, v89
	s_cbranch_execz .LBB356_3864
; %bb.3861:                             ;   in Loop: Header=BB356_2089 Depth=1
	v_and_b32_e32 v2, 7, v88
	v_lshrrev_b32_e32 v79, 3, v89
	v_mov_b32_e32 v14, v3
	s_mov_b32 s24, exec_lo
	s_delay_alu instid0(VALU_DEP_3)
	v_mov_b32_e32 v13, v2
	v_cmpx_gt_u32_e32 8, v89
; %bb.3862:                             ;   in Loop: Header=BB356_2089 Depth=1
	v_clz_i32_u32_e32 v13, v2
	s_delay_alu instid0(VALU_DEP_1) | instskip(NEXT) | instid1(VALU_DEP_1)
	v_min_u32_e32 v79, 32, v13
	v_subrev_nc_u32_e32 v13, 28, v79
	v_sub_nc_u32_e32 v79, 29, v79
	s_delay_alu instid0(VALU_DEP_2) | instskip(NEXT) | instid1(VALU_DEP_1)
	v_lshlrev_b64 v[13:14], v13, v[2:3]
	v_and_b32_e32 v13, 7, v13
; %bb.3863:                             ;   in Loop: Header=BB356_2089 Depth=1
	s_or_b32 exec_lo, exec_lo, s24
	v_lshlrev_b32_e32 v2, 8, v88
	v_lshl_add_u32 v14, v79, 10, 0x2000
	s_delay_alu instid0(VALU_DEP_1) | instskip(NEXT) | instid1(VALU_DEP_1)
	v_and_or_b32 v2, 0x8000, v2, v14
	v_lshl_or_b32 v2, v13, 7, v2
	s_delay_alu instid0(VALU_DEP_1)
	v_cvt_f32_f16_e32 v79, v2
.LBB356_3864:                           ;   in Loop: Header=BB356_2089 Depth=1
	s_or_b32 exec_lo, exec_lo, s23
.LBB356_3865:                           ;   in Loop: Header=BB356_2089 Depth=1
	s_delay_alu instid0(SALU_CYCLE_1)
	s_or_b32 exec_lo, exec_lo, s22
.LBB356_3866:                           ;   in Loop: Header=BB356_2089 Depth=1
	s_delay_alu instid0(SALU_CYCLE_1) | instskip(SKIP_3) | instid1(VALU_DEP_2)
	s_or_b32 exec_lo, exec_lo, s21
	v_lshrrev_b32_e32 v89, 16, v12
	v_mov_b32_e32 v88, 0
	s_mov_b32 s21, exec_lo
	v_dual_mov_b32 v13, 0 :: v_dual_and_b32 v2, 0xff, v89
	s_delay_alu instid0(VALU_DEP_1)
	v_cmpx_ne_u16_e32 0, v2
	s_cbranch_execz .LBB356_3874
; %bb.3867:                             ;   in Loop: Header=BB356_2089 Depth=1
	v_bfrev_b32_e32 v13, 1
	s_mov_b32 s22, exec_lo
	v_cmpx_ne_u16_e32 0x80, v2
	s_cbranch_execz .LBB356_3873
; %bb.3868:                             ;   in Loop: Header=BB356_2089 Depth=1
	v_bfe_u32 v91, v12, 16, 7
	v_mov_b32_e32 v13, 0x7fc02000
	s_mov_b32 s23, exec_lo
	s_delay_alu instid0(VALU_DEP_2)
	v_cmpx_ne_u32_e32 0x7f, v91
	s_cbranch_execz .LBB356_3872
; %bb.3869:                             ;   in Loop: Header=BB356_2089 Depth=1
	v_and_b32_e32 v2, 7, v89
	v_lshrrev_b32_e32 v90, 3, v91
	v_mov_b32_e32 v14, v3
	s_mov_b32 s24, exec_lo
	s_delay_alu instid0(VALU_DEP_3)
	v_mov_b32_e32 v13, v2
	v_cmpx_gt_u32_e32 8, v91
; %bb.3870:                             ;   in Loop: Header=BB356_2089 Depth=1
	v_clz_i32_u32_e32 v13, v2
	s_delay_alu instid0(VALU_DEP_1) | instskip(NEXT) | instid1(VALU_DEP_1)
	v_min_u32_e32 v90, 32, v13
	v_subrev_nc_u32_e32 v13, 28, v90
	v_sub_nc_u32_e32 v90, 29, v90
	s_delay_alu instid0(VALU_DEP_2) | instskip(NEXT) | instid1(VALU_DEP_1)
	v_lshlrev_b64 v[13:14], v13, v[2:3]
	v_and_b32_e32 v13, 7, v13
; %bb.3871:                             ;   in Loop: Header=BB356_2089 Depth=1
	s_or_b32 exec_lo, exec_lo, s24
	v_lshlrev_b32_e32 v2, 8, v89
	v_lshl_add_u32 v14, v90, 10, 0x2000
	s_delay_alu instid0(VALU_DEP_1) | instskip(NEXT) | instid1(VALU_DEP_1)
	v_and_or_b32 v2, 0x8000, v2, v14
	v_lshl_or_b32 v2, v13, 7, v2
	s_delay_alu instid0(VALU_DEP_1)
	v_cvt_f32_f16_e32 v13, v2
.LBB356_3872:                           ;   in Loop: Header=BB356_2089 Depth=1
	s_or_b32 exec_lo, exec_lo, s23
.LBB356_3873:                           ;   in Loop: Header=BB356_2089 Depth=1
	s_delay_alu instid0(SALU_CYCLE_1)
	s_or_b32 exec_lo, exec_lo, s22
.LBB356_3874:                           ;   in Loop: Header=BB356_2089 Depth=1
	s_delay_alu instid0(SALU_CYCLE_1) | instskip(NEXT) | instid1(SALU_CYCLE_1)
	s_or_b32 exec_lo, exec_lo, s21
	s_mov_b32 s21, exec_lo
	v_cmpx_lt_u64_e64 s[18:19], v[11:12]
	s_cbranch_execz .LBB356_3882
; %bb.3875:                             ;   in Loop: Header=BB356_2089 Depth=1
	v_lshrrev_b32_e32 v14, 24, v12
	v_bfrev_b32_e32 v88, 1
	s_mov_b32 s22, exec_lo
	s_delay_alu instid0(VALU_DEP_2)
	v_cmpx_ne_u32_e32 0x80, v14
	s_cbranch_execz .LBB356_3881
; %bb.3876:                             ;   in Loop: Header=BB356_2089 Depth=1
	v_and_b32_e32 v89, 0x7f, v14
	v_mov_b32_e32 v88, 0x7fc02000
	s_mov_b32 s23, exec_lo
	s_delay_alu instid0(VALU_DEP_2)
	v_cmpx_ne_u32_e32 0x7f, v89
	s_cbranch_execz .LBB356_3880
; %bb.3877:                             ;   in Loop: Header=BB356_2089 Depth=1
	v_and_b32_e32 v2, 7, v14
	v_lshrrev_b32_e32 v88, 3, v89
	v_mov_b32_e32 v12, v3
	s_mov_b32 s24, exec_lo
	s_delay_alu instid0(VALU_DEP_3)
	v_mov_b32_e32 v11, v2
	v_cmpx_gt_u32_e32 8, v89
; %bb.3878:                             ;   in Loop: Header=BB356_2089 Depth=1
	v_clz_i32_u32_e32 v11, v2
	s_delay_alu instid0(VALU_DEP_1) | instskip(NEXT) | instid1(VALU_DEP_1)
	v_min_u32_e32 v88, 32, v11
	v_subrev_nc_u32_e32 v11, 28, v88
	v_sub_nc_u32_e32 v88, 29, v88
	s_delay_alu instid0(VALU_DEP_2) | instskip(NEXT) | instid1(VALU_DEP_1)
	v_lshlrev_b64 v[11:12], v11, v[2:3]
	v_and_b32_e32 v11, 7, v11
; %bb.3879:                             ;   in Loop: Header=BB356_2089 Depth=1
	s_or_b32 exec_lo, exec_lo, s24
	v_lshlrev_b32_e32 v2, 8, v14
	v_lshl_add_u32 v12, v88, 10, 0x2000
	s_delay_alu instid0(VALU_DEP_1) | instskip(NEXT) | instid1(VALU_DEP_1)
	v_and_or_b32 v2, 0x8000, v2, v12
	v_lshl_or_b32 v2, v11, 7, v2
	s_delay_alu instid0(VALU_DEP_1)
	v_cvt_f32_f16_e32 v88, v2
.LBB356_3880:                           ;   in Loop: Header=BB356_2089 Depth=1
	s_or_b32 exec_lo, exec_lo, s23
.LBB356_3881:                           ;   in Loop: Header=BB356_2089 Depth=1
	s_delay_alu instid0(SALU_CYCLE_1)
	s_or_b32 exec_lo, exec_lo, s22
.LBB356_3882:                           ;   in Loop: Header=BB356_2089 Depth=1
	s_delay_alu instid0(SALU_CYCLE_1)
	s_or_b32 exec_lo, exec_lo, s21
	s_waitcnt vmcnt(0) lgkmcnt(0)
	v_fma_mixlo_f16 v2, v67, v77, 0
	v_fma_mixlo_f16 v11, v67, v76, 0
	;; [unrolled: 1-line block ×6, first 2 shown]
	v_lshlrev_b32_e32 v148, 16, v2
	v_and_b32_e32 v77, 0xffff, v11
	v_lshlrev_b32_e32 v78, 16, v12
	v_and_b32_e32 v79, 0xffff, v14
	;; [unrolled: 2-line block ×3, first 2 shown]
	v_fma_mixlo_f16 v88, v67, v88, 0
	v_fma_mixlo_f16 v13, v67, v13, 0
	v_cndmask_b32_e64 v11, 0, v11, s2
	v_cndmask_b32_e64 v2, 0, v2, s4
	;; [unrolled: 1-line block ×4, first 2 shown]
	v_cndmask_b32_e32 v14, 0, v14, vcc_lo
	v_cndmask_b32_e64 v12, 0, v12, s0
	v_or_b32_e32 v67, v148, v77
	v_perm_b32 v2, v2, v11, 0x5040100
	v_perm_b32 v11, v147, v76, 0x5040100
	v_mov_b32_e32 v76, 0
	v_or_b32_e32 v148, v78, v79
	v_lshlrev_b32_e32 v78, 16, v88
	v_and_b32_e32 v79, 0xffff, v13
	v_cndmask_b32_e64 v13, 0, v13, s3
	v_cndmask_b32_e64 v88, 0, v88, s5
	v_perm_b32 v12, v12, v14, 0x5040100
	v_or_b32_e32 v77, v89, v90
	v_or_b32_e32 v78, v78, v79
	v_cndmask_b32_e64 v2, v67, v2, s1
	v_perm_b32 v13, v88, v13, 0x5040100
	v_cndmask_b32_e64 v12, v148, v12, s1
	v_cndmask_b32_e64 v11, v77, v11, s1
	;;#ASMSTART
	v_pk_mul_f16 v12, v146, v12;

	;;#ASMEND
	;;#ASMSTART
	v_pk_mul_f16 v2, v145, v2;

	;;#ASMEND
	v_cndmask_b32_e64 v13, v78, v13, s1
	;;#ASMSTART
	v_pk_mul_f16 v11, v144, v11;

	;;#ASMEND
	;;#ASMSTART
	v_pk_mul_f16 v13, v149, v13;

	;;#ASMEND
	;;#ASMSTART
	v_pk_add_f16 v2, v12, v2;

	;;#ASMEND
	;;#ASMSTART
	v_pk_add_f16 v2, v2, v11;

	;;#ASMEND
	v_add_co_u32 v11, s8, v9, v132
	s_delay_alu instid0(VALU_DEP_1)
	v_add_co_ci_u32_e64 v12, s8, 0, v10, s8
	;;#ASMSTART
	v_pk_add_f16 v2, v2, v13;

	;;#ASMEND
	v_lshrrev_b32_e32 v13, 16, v2
	v_and_b32_e32 v2, 0xffff, v2
	;;#ASMSTART
	v_cvt_f32_f16 v147, v2;
	;;#ASMEND
	;;#ASMSTART
	v_cvt_f32_f16 v148, v13;
	;;#ASMEND
	flat_load_b64 v[11:12], v[11:12]
	flat_load_b32 v67, v[26:27]
	v_mov_b32_e32 v77, 0
	s_mov_b32 s21, exec_lo
	s_waitcnt vmcnt(1) lgkmcnt(1)
	v_and_b32_e32 v2, 0xff, v11
	s_delay_alu instid0(VALU_DEP_1)
	v_cmpx_ne_u16_e32 0, v2
	s_cbranch_execz .LBB356_3890
; %bb.3883:                             ;   in Loop: Header=BB356_2089 Depth=1
	v_bfrev_b32_e32 v76, 1
	s_mov_b32 s22, exec_lo
	v_cmpx_ne_u16_e32 0x80, v2
	s_cbranch_execz .LBB356_3889
; %bb.3884:                             ;   in Loop: Header=BB356_2089 Depth=1
	v_and_b32_e32 v13, 0x7f, v11
	v_mov_b32_e32 v76, 0x7fc02000
	s_mov_b32 s23, exec_lo
	s_delay_alu instid0(VALU_DEP_2)
	v_cmpx_ne_u32_e32 0x7f, v13
	s_cbranch_execz .LBB356_3888
; %bb.3885:                             ;   in Loop: Header=BB356_2089 Depth=1
	v_lshrrev_b32_e32 v2, 3, v13
	v_cmp_gt_u32_e64 s8, 8, v13
	v_dual_mov_b32 v14, v12 :: v_dual_mov_b32 v13, v11
	s_delay_alu instid0(VALU_DEP_2)
	s_and_saveexec_b32 s24, s8
; %bb.3886:                             ;   in Loop: Header=BB356_2089 Depth=1
	v_and_b32_e32 v2, 7, v11
	s_delay_alu instid0(VALU_DEP_1) | instskip(NEXT) | instid1(VALU_DEP_1)
	v_clz_i32_u32_e32 v2, v2
	v_min_u32_e32 v2, 32, v2
	s_delay_alu instid0(VALU_DEP_1) | instskip(SKIP_1) | instid1(VALU_DEP_2)
	v_subrev_nc_u32_e32 v13, 28, v2
	v_sub_nc_u32_e32 v2, 29, v2
	v_lshlrev_b64 v[13:14], v13, v[11:12]
; %bb.3887:                             ;   in Loop: Header=BB356_2089 Depth=1
	s_or_b32 exec_lo, exec_lo, s24
	v_lshlrev_b32_e32 v14, 8, v11
	s_delay_alu instid0(VALU_DEP_3) | instskip(NEXT) | instid1(VALU_DEP_3)
	v_lshl_add_u32 v2, v2, 10, 0x2000
	v_lshlrev_b32_e32 v13, 7, v13
	s_delay_alu instid0(VALU_DEP_2) | instskip(NEXT) | instid1(VALU_DEP_1)
	v_and_or_b32 v2, 0x8000, v14, v2
	v_and_or_b32 v2, 0x380, v13, v2
	s_delay_alu instid0(VALU_DEP_1)
	v_cvt_f32_f16_e32 v76, v2
.LBB356_3888:                           ;   in Loop: Header=BB356_2089 Depth=1
	s_or_b32 exec_lo, exec_lo, s23
.LBB356_3889:                           ;   in Loop: Header=BB356_2089 Depth=1
	s_delay_alu instid0(SALU_CYCLE_1)
	s_or_b32 exec_lo, exec_lo, s22
.LBB356_3890:                           ;   in Loop: Header=BB356_2089 Depth=1
	s_delay_alu instid0(SALU_CYCLE_1) | instskip(SKIP_2) | instid1(VALU_DEP_1)
	s_or_b32 exec_lo, exec_lo, s21
	v_lshrrev_b16 v2, 8, v11
	s_mov_b32 s21, exec_lo
	v_cmpx_ne_u16_e32 0, v2
	s_cbranch_execz .LBB356_3898
; %bb.3891:                             ;   in Loop: Header=BB356_2089 Depth=1
	v_bfrev_b32_e32 v77, 1
	s_mov_b32 s22, exec_lo
	v_cmpx_ne_u16_e32 0x80, v2
	s_cbranch_execz .LBB356_3897
; %bb.3892:                             ;   in Loop: Header=BB356_2089 Depth=1
	v_and_b32_e32 v78, 0xffff, v2
	v_mov_b32_e32 v77, 0x7fc02000
	s_mov_b32 s23, exec_lo
	s_delay_alu instid0(VALU_DEP_2) | instskip(NEXT) | instid1(VALU_DEP_1)
	v_and_b32_e32 v79, 0x7f, v78
	v_cmpx_ne_u32_e32 0x7f, v79
	s_cbranch_execz .LBB356_3896
; %bb.3893:                             ;   in Loop: Header=BB356_2089 Depth=1
	v_and_b32_e32 v2, 7, v78
	v_lshrrev_b32_e32 v77, 3, v79
	v_mov_b32_e32 v14, v3
	s_mov_b32 s24, exec_lo
	s_delay_alu instid0(VALU_DEP_3)
	v_mov_b32_e32 v13, v2
	v_cmpx_gt_u32_e32 8, v79
; %bb.3894:                             ;   in Loop: Header=BB356_2089 Depth=1
	v_clz_i32_u32_e32 v13, v2
	s_delay_alu instid0(VALU_DEP_1) | instskip(NEXT) | instid1(VALU_DEP_1)
	v_min_u32_e32 v77, 32, v13
	v_subrev_nc_u32_e32 v13, 28, v77
	v_sub_nc_u32_e32 v77, 29, v77
	s_delay_alu instid0(VALU_DEP_2) | instskip(NEXT) | instid1(VALU_DEP_1)
	v_lshlrev_b64 v[13:14], v13, v[2:3]
	v_and_b32_e32 v13, 7, v13
; %bb.3895:                             ;   in Loop: Header=BB356_2089 Depth=1
	s_or_b32 exec_lo, exec_lo, s24
	v_lshlrev_b32_e32 v2, 8, v78
	v_lshl_add_u32 v14, v77, 10, 0x2000
	s_delay_alu instid0(VALU_DEP_1) | instskip(NEXT) | instid1(VALU_DEP_1)
	v_and_or_b32 v2, 0x8000, v2, v14
	v_lshl_or_b32 v2, v13, 7, v2
	s_delay_alu instid0(VALU_DEP_1)
	v_cvt_f32_f16_e32 v77, v2
.LBB356_3896:                           ;   in Loop: Header=BB356_2089 Depth=1
	s_or_b32 exec_lo, exec_lo, s23
.LBB356_3897:                           ;   in Loop: Header=BB356_2089 Depth=1
	s_delay_alu instid0(SALU_CYCLE_1)
	s_or_b32 exec_lo, exec_lo, s22
.LBB356_3898:                           ;   in Loop: Header=BB356_2089 Depth=1
	s_delay_alu instid0(SALU_CYCLE_1) | instskip(SKIP_3) | instid1(VALU_DEP_2)
	s_or_b32 exec_lo, exec_lo, s21
	v_lshrrev_b32_e32 v88, 16, v11
	v_mov_b32_e32 v78, 0
	s_mov_b32 s21, exec_lo
	v_dual_mov_b32 v79, 0 :: v_dual_and_b32 v2, 0xff, v88
	s_delay_alu instid0(VALU_DEP_1)
	v_cmpx_ne_u16_e32 0, v2
	s_cbranch_execz .LBB356_3906
; %bb.3899:                             ;   in Loop: Header=BB356_2089 Depth=1
	v_bfrev_b32_e32 v78, 1
	s_mov_b32 s22, exec_lo
	v_cmpx_ne_u16_e32 0x80, v2
	s_cbranch_execz .LBB356_3905
; %bb.3900:                             ;   in Loop: Header=BB356_2089 Depth=1
	v_bfe_u32 v89, v11, 16, 7
	v_mov_b32_e32 v78, 0x7fc02000
	s_mov_b32 s23, exec_lo
	s_delay_alu instid0(VALU_DEP_2)
	v_cmpx_ne_u32_e32 0x7f, v89
	s_cbranch_execz .LBB356_3904
; %bb.3901:                             ;   in Loop: Header=BB356_2089 Depth=1
	v_and_b32_e32 v2, 7, v88
	v_lshrrev_b32_e32 v78, 3, v89
	v_mov_b32_e32 v14, v3
	s_mov_b32 s24, exec_lo
	s_delay_alu instid0(VALU_DEP_3)
	v_mov_b32_e32 v13, v2
	v_cmpx_gt_u32_e32 8, v89
; %bb.3902:                             ;   in Loop: Header=BB356_2089 Depth=1
	v_clz_i32_u32_e32 v13, v2
	s_delay_alu instid0(VALU_DEP_1) | instskip(NEXT) | instid1(VALU_DEP_1)
	v_min_u32_e32 v78, 32, v13
	v_subrev_nc_u32_e32 v13, 28, v78
	v_sub_nc_u32_e32 v78, 29, v78
	s_delay_alu instid0(VALU_DEP_2) | instskip(NEXT) | instid1(VALU_DEP_1)
	v_lshlrev_b64 v[13:14], v13, v[2:3]
	v_and_b32_e32 v13, 7, v13
; %bb.3903:                             ;   in Loop: Header=BB356_2089 Depth=1
	s_or_b32 exec_lo, exec_lo, s24
	v_lshlrev_b32_e32 v2, 8, v88
	v_lshl_add_u32 v14, v78, 10, 0x2000
	s_delay_alu instid0(VALU_DEP_1) | instskip(NEXT) | instid1(VALU_DEP_1)
	v_and_or_b32 v2, 0x8000, v2, v14
	v_lshl_or_b32 v2, v13, 7, v2
	s_delay_alu instid0(VALU_DEP_1)
	v_cvt_f32_f16_e32 v78, v2
.LBB356_3904:                           ;   in Loop: Header=BB356_2089 Depth=1
	s_or_b32 exec_lo, exec_lo, s23
.LBB356_3905:                           ;   in Loop: Header=BB356_2089 Depth=1
	s_delay_alu instid0(SALU_CYCLE_1)
	s_or_b32 exec_lo, exec_lo, s22
.LBB356_3906:                           ;   in Loop: Header=BB356_2089 Depth=1
	s_delay_alu instid0(SALU_CYCLE_1) | instskip(NEXT) | instid1(SALU_CYCLE_1)
	s_or_b32 exec_lo, exec_lo, s21
	s_mov_b32 s21, exec_lo
	v_cmpx_lt_u32_e32 0xffffff, v11
	s_cbranch_execz .LBB356_3914
; %bb.3907:                             ;   in Loop: Header=BB356_2089 Depth=1
	v_lshrrev_b32_e32 v88, 24, v11
	v_bfrev_b32_e32 v79, 1
	s_mov_b32 s22, exec_lo
	s_delay_alu instid0(VALU_DEP_2)
	v_cmpx_ne_u32_e32 0x80, v88
	s_cbranch_execz .LBB356_3913
; %bb.3908:                             ;   in Loop: Header=BB356_2089 Depth=1
	v_and_b32_e32 v89, 0x7f, v88
	v_mov_b32_e32 v79, 0x7fc02000
	s_mov_b32 s23, exec_lo
	s_delay_alu instid0(VALU_DEP_2)
	v_cmpx_ne_u32_e32 0x7f, v89
	s_cbranch_execz .LBB356_3912
; %bb.3909:                             ;   in Loop: Header=BB356_2089 Depth=1
	v_and_b32_e32 v2, 7, v88
	v_lshrrev_b32_e32 v79, 3, v89
	v_mov_b32_e32 v14, v3
	s_mov_b32 s24, exec_lo
	s_delay_alu instid0(VALU_DEP_3)
	v_mov_b32_e32 v13, v2
	v_cmpx_gt_u32_e32 8, v89
; %bb.3910:                             ;   in Loop: Header=BB356_2089 Depth=1
	v_clz_i32_u32_e32 v13, v2
	s_delay_alu instid0(VALU_DEP_1) | instskip(NEXT) | instid1(VALU_DEP_1)
	v_min_u32_e32 v79, 32, v13
	v_subrev_nc_u32_e32 v13, 28, v79
	v_sub_nc_u32_e32 v79, 29, v79
	s_delay_alu instid0(VALU_DEP_2) | instskip(NEXT) | instid1(VALU_DEP_1)
	v_lshlrev_b64 v[13:14], v13, v[2:3]
	v_and_b32_e32 v13, 7, v13
; %bb.3911:                             ;   in Loop: Header=BB356_2089 Depth=1
	s_or_b32 exec_lo, exec_lo, s24
	v_lshlrev_b32_e32 v2, 8, v88
	v_lshl_add_u32 v14, v79, 10, 0x2000
	s_delay_alu instid0(VALU_DEP_1) | instskip(NEXT) | instid1(VALU_DEP_1)
	v_and_or_b32 v2, 0x8000, v2, v14
	v_lshl_or_b32 v2, v13, 7, v2
	s_delay_alu instid0(VALU_DEP_1)
	v_cvt_f32_f16_e32 v79, v2
.LBB356_3912:                           ;   in Loop: Header=BB356_2089 Depth=1
	s_or_b32 exec_lo, exec_lo, s23
.LBB356_3913:                           ;   in Loop: Header=BB356_2089 Depth=1
	s_delay_alu instid0(SALU_CYCLE_1)
	s_or_b32 exec_lo, exec_lo, s22
.LBB356_3914:                           ;   in Loop: Header=BB356_2089 Depth=1
	s_delay_alu instid0(SALU_CYCLE_1) | instskip(SKIP_3) | instid1(VALU_DEP_2)
	s_or_b32 exec_lo, exec_lo, s21
	v_dual_mov_b32 v2, v12 :: v_dual_and_b32 v13, 0xff, v12
	v_dual_mov_b32 v89, 0 :: v_dual_mov_b32 v88, 0
	s_mov_b32 s21, exec_lo
	v_cmpx_ne_u16_e32 0, v13
	s_cbranch_execz .LBB356_3922
; %bb.3915:                             ;   in Loop: Header=BB356_2089 Depth=1
	v_bfrev_b32_e32 v88, 1
	s_mov_b32 s22, exec_lo
	v_cmpx_ne_u16_e32 0x80, v13
	s_cbranch_execz .LBB356_3921
; %bb.3916:                             ;   in Loop: Header=BB356_2089 Depth=1
	v_and_b32_e32 v90, 0x7f, v12
	v_mov_b32_e32 v88, 0x7fc02000
	s_mov_b32 s23, exec_lo
	s_delay_alu instid0(VALU_DEP_2)
	v_cmpx_ne_u32_e32 0x7f, v90
	s_cbranch_execz .LBB356_3920
; %bb.3917:                             ;   in Loop: Header=BB356_2089 Depth=1
	v_dual_mov_b32 v14, v3 :: v_dual_mov_b32 v13, v2
	v_lshrrev_b32_e32 v14, 3, v90
	s_mov_b32 s24, exec_lo
	v_cmpx_gt_u32_e32 8, v90
; %bb.3918:                             ;   in Loop: Header=BB356_2089 Depth=1
	v_and_b32_e32 v13, 7, v12
	s_delay_alu instid0(VALU_DEP_1) | instskip(NEXT) | instid1(VALU_DEP_1)
	v_clz_i32_u32_e32 v13, v13
	v_min_u32_e32 v88, 32, v13
	s_delay_alu instid0(VALU_DEP_1) | instskip(NEXT) | instid1(VALU_DEP_1)
	v_subrev_nc_u32_e32 v13, 28, v88
	v_lshlrev_b64 v[13:14], v13, v[2:3]
	v_sub_nc_u32_e32 v14, 29, v88
; %bb.3919:                             ;   in Loop: Header=BB356_2089 Depth=1
	s_or_b32 exec_lo, exec_lo, s24
	v_lshlrev_b32_e32 v88, 8, v12
	s_delay_alu instid0(VALU_DEP_2) | instskip(NEXT) | instid1(VALU_DEP_4)
	v_lshl_add_u32 v14, v14, 10, 0x2000
	v_lshlrev_b32_e32 v13, 7, v13
	s_delay_alu instid0(VALU_DEP_2) | instskip(NEXT) | instid1(VALU_DEP_1)
	v_and_or_b32 v14, 0x8000, v88, v14
	v_and_or_b32 v13, 0x380, v13, v14
	s_delay_alu instid0(VALU_DEP_1)
	v_cvt_f32_f16_e32 v88, v13
.LBB356_3920:                           ;   in Loop: Header=BB356_2089 Depth=1
	s_or_b32 exec_lo, exec_lo, s23
.LBB356_3921:                           ;   in Loop: Header=BB356_2089 Depth=1
	s_delay_alu instid0(SALU_CYCLE_1)
	s_or_b32 exec_lo, exec_lo, s22
.LBB356_3922:                           ;   in Loop: Header=BB356_2089 Depth=1
	s_delay_alu instid0(SALU_CYCLE_1) | instskip(SKIP_2) | instid1(VALU_DEP_1)
	s_or_b32 exec_lo, exec_lo, s21
	v_lshrrev_b16 v2, 8, v2
	s_mov_b32 s21, exec_lo
	v_cmpx_ne_u16_e32 0, v2
	s_cbranch_execz .LBB356_3930
; %bb.3923:                             ;   in Loop: Header=BB356_2089 Depth=1
	v_bfrev_b32_e32 v89, 1
	s_mov_b32 s22, exec_lo
	v_cmpx_ne_u16_e32 0x80, v2
	s_cbranch_execz .LBB356_3929
; %bb.3924:                             ;   in Loop: Header=BB356_2089 Depth=1
	v_and_b32_e32 v90, 0xffff, v2
	v_mov_b32_e32 v89, 0x7fc02000
	s_mov_b32 s23, exec_lo
	s_delay_alu instid0(VALU_DEP_2) | instskip(NEXT) | instid1(VALU_DEP_1)
	v_and_b32_e32 v91, 0x7f, v90
	v_cmpx_ne_u32_e32 0x7f, v91
	s_cbranch_execz .LBB356_3928
; %bb.3925:                             ;   in Loop: Header=BB356_2089 Depth=1
	v_and_b32_e32 v2, 7, v90
	v_lshrrev_b32_e32 v89, 3, v91
	v_mov_b32_e32 v14, v3
	s_mov_b32 s24, exec_lo
	s_delay_alu instid0(VALU_DEP_3)
	v_mov_b32_e32 v13, v2
	v_cmpx_gt_u32_e32 8, v91
; %bb.3926:                             ;   in Loop: Header=BB356_2089 Depth=1
	v_clz_i32_u32_e32 v13, v2
	s_delay_alu instid0(VALU_DEP_1) | instskip(NEXT) | instid1(VALU_DEP_1)
	v_min_u32_e32 v89, 32, v13
	v_subrev_nc_u32_e32 v13, 28, v89
	v_sub_nc_u32_e32 v89, 29, v89
	s_delay_alu instid0(VALU_DEP_2) | instskip(NEXT) | instid1(VALU_DEP_1)
	v_lshlrev_b64 v[13:14], v13, v[2:3]
	v_and_b32_e32 v13, 7, v13
; %bb.3927:                             ;   in Loop: Header=BB356_2089 Depth=1
	s_or_b32 exec_lo, exec_lo, s24
	v_lshlrev_b32_e32 v2, 8, v90
	v_lshl_add_u32 v14, v89, 10, 0x2000
	s_delay_alu instid0(VALU_DEP_1) | instskip(NEXT) | instid1(VALU_DEP_1)
	v_and_or_b32 v2, 0x8000, v2, v14
	v_lshl_or_b32 v2, v13, 7, v2
	s_delay_alu instid0(VALU_DEP_1)
	v_cvt_f32_f16_e32 v89, v2
.LBB356_3928:                           ;   in Loop: Header=BB356_2089 Depth=1
	s_or_b32 exec_lo, exec_lo, s23
.LBB356_3929:                           ;   in Loop: Header=BB356_2089 Depth=1
	s_delay_alu instid0(SALU_CYCLE_1)
	s_or_b32 exec_lo, exec_lo, s22
.LBB356_3930:                           ;   in Loop: Header=BB356_2089 Depth=1
	s_delay_alu instid0(SALU_CYCLE_1) | instskip(SKIP_3) | instid1(VALU_DEP_2)
	s_or_b32 exec_lo, exec_lo, s21
	v_lshrrev_b32_e32 v91, 16, v12
	v_mov_b32_e32 v90, 0
	s_mov_b32 s21, exec_lo
	v_dual_mov_b32 v13, 0 :: v_dual_and_b32 v2, 0xff, v91
	s_delay_alu instid0(VALU_DEP_1)
	v_cmpx_ne_u16_e32 0, v2
	s_cbranch_execz .LBB356_3938
; %bb.3931:                             ;   in Loop: Header=BB356_2089 Depth=1
	v_bfrev_b32_e32 v13, 1
	s_mov_b32 s22, exec_lo
	v_cmpx_ne_u16_e32 0x80, v2
	s_cbranch_execz .LBB356_3937
; %bb.3932:                             ;   in Loop: Header=BB356_2089 Depth=1
	v_bfe_u32 v93, v12, 16, 7
	v_mov_b32_e32 v13, 0x7fc02000
	s_mov_b32 s23, exec_lo
	s_delay_alu instid0(VALU_DEP_2)
	v_cmpx_ne_u32_e32 0x7f, v93
	s_cbranch_execz .LBB356_3936
; %bb.3933:                             ;   in Loop: Header=BB356_2089 Depth=1
	v_and_b32_e32 v2, 7, v91
	v_lshrrev_b32_e32 v92, 3, v93
	v_mov_b32_e32 v14, v3
	s_mov_b32 s24, exec_lo
	s_delay_alu instid0(VALU_DEP_3)
	v_mov_b32_e32 v13, v2
	v_cmpx_gt_u32_e32 8, v93
; %bb.3934:                             ;   in Loop: Header=BB356_2089 Depth=1
	v_clz_i32_u32_e32 v13, v2
	s_delay_alu instid0(VALU_DEP_1) | instskip(NEXT) | instid1(VALU_DEP_1)
	v_min_u32_e32 v92, 32, v13
	v_subrev_nc_u32_e32 v13, 28, v92
	v_sub_nc_u32_e32 v92, 29, v92
	s_delay_alu instid0(VALU_DEP_2) | instskip(NEXT) | instid1(VALU_DEP_1)
	v_lshlrev_b64 v[13:14], v13, v[2:3]
	v_and_b32_e32 v13, 7, v13
; %bb.3935:                             ;   in Loop: Header=BB356_2089 Depth=1
	s_or_b32 exec_lo, exec_lo, s24
	v_lshlrev_b32_e32 v2, 8, v91
	v_lshl_add_u32 v14, v92, 10, 0x2000
	s_delay_alu instid0(VALU_DEP_1) | instskip(NEXT) | instid1(VALU_DEP_1)
	v_and_or_b32 v2, 0x8000, v2, v14
	v_lshl_or_b32 v2, v13, 7, v2
	s_delay_alu instid0(VALU_DEP_1)
	v_cvt_f32_f16_e32 v13, v2
.LBB356_3936:                           ;   in Loop: Header=BB356_2089 Depth=1
	s_or_b32 exec_lo, exec_lo, s23
.LBB356_3937:                           ;   in Loop: Header=BB356_2089 Depth=1
	s_delay_alu instid0(SALU_CYCLE_1)
	s_or_b32 exec_lo, exec_lo, s22
.LBB356_3938:                           ;   in Loop: Header=BB356_2089 Depth=1
	s_delay_alu instid0(SALU_CYCLE_1) | instskip(NEXT) | instid1(SALU_CYCLE_1)
	s_or_b32 exec_lo, exec_lo, s21
	s_mov_b32 s21, exec_lo
	v_cmpx_lt_u64_e64 s[18:19], v[11:12]
	s_cbranch_execz .LBB356_3946
; %bb.3939:                             ;   in Loop: Header=BB356_2089 Depth=1
	v_lshrrev_b32_e32 v14, 24, v12
	v_bfrev_b32_e32 v90, 1
	s_mov_b32 s22, exec_lo
	s_delay_alu instid0(VALU_DEP_2)
	v_cmpx_ne_u32_e32 0x80, v14
	s_cbranch_execz .LBB356_3945
; %bb.3940:                             ;   in Loop: Header=BB356_2089 Depth=1
	v_and_b32_e32 v91, 0x7f, v14
	v_mov_b32_e32 v90, 0x7fc02000
	s_mov_b32 s23, exec_lo
	s_delay_alu instid0(VALU_DEP_2)
	v_cmpx_ne_u32_e32 0x7f, v91
	s_cbranch_execz .LBB356_3944
; %bb.3941:                             ;   in Loop: Header=BB356_2089 Depth=1
	v_and_b32_e32 v2, 7, v14
	v_lshrrev_b32_e32 v90, 3, v91
	v_mov_b32_e32 v12, v3
	s_mov_b32 s24, exec_lo
	s_delay_alu instid0(VALU_DEP_3)
	v_mov_b32_e32 v11, v2
	v_cmpx_gt_u32_e32 8, v91
; %bb.3942:                             ;   in Loop: Header=BB356_2089 Depth=1
	v_clz_i32_u32_e32 v11, v2
	s_delay_alu instid0(VALU_DEP_1) | instskip(NEXT) | instid1(VALU_DEP_1)
	v_min_u32_e32 v90, 32, v11
	v_subrev_nc_u32_e32 v11, 28, v90
	v_sub_nc_u32_e32 v90, 29, v90
	s_delay_alu instid0(VALU_DEP_2) | instskip(NEXT) | instid1(VALU_DEP_1)
	v_lshlrev_b64 v[11:12], v11, v[2:3]
	v_and_b32_e32 v11, 7, v11
; %bb.3943:                             ;   in Loop: Header=BB356_2089 Depth=1
	s_or_b32 exec_lo, exec_lo, s24
	v_lshlrev_b32_e32 v2, 8, v14
	v_lshl_add_u32 v12, v90, 10, 0x2000
	s_delay_alu instid0(VALU_DEP_1) | instskip(NEXT) | instid1(VALU_DEP_1)
	v_and_or_b32 v2, 0x8000, v2, v12
	v_lshl_or_b32 v2, v11, 7, v2
	s_delay_alu instid0(VALU_DEP_1)
	v_cvt_f32_f16_e32 v90, v2
.LBB356_3944:                           ;   in Loop: Header=BB356_2089 Depth=1
	s_or_b32 exec_lo, exec_lo, s23
.LBB356_3945:                           ;   in Loop: Header=BB356_2089 Depth=1
	s_delay_alu instid0(SALU_CYCLE_1)
	s_or_b32 exec_lo, exec_lo, s22
.LBB356_3946:                           ;   in Loop: Header=BB356_2089 Depth=1
	s_delay_alu instid0(SALU_CYCLE_1)
	s_or_b32 exec_lo, exec_lo, s21
	s_waitcnt vmcnt(0) lgkmcnt(0)
	v_fma_mixlo_f16 v2, v67, v79, 0
	v_fma_mixlo_f16 v11, v67, v78, 0
	;; [unrolled: 1-line block ×6, first 2 shown]
	v_lshlrev_b32_e32 v77, 16, v2
	v_and_b32_e32 v79, 0xffff, v11
	v_lshlrev_b32_e32 v91, 16, v76
	v_and_b32_e32 v92, 0xffff, v78
	v_cndmask_b32_e64 v11, 0, v11, s2
	v_cndmask_b32_e64 v2, 0, v2, s4
	;; [unrolled: 1-line block ×4, first 2 shown]
	v_lshlrev_b32_e32 v88, 16, v12
	v_and_b32_e32 v89, 0xffff, v14
	v_fma_mixlo_f16 v90, v67, v90, 0
	v_fma_mixlo_f16 v13, v67, v13, 0
	v_cndmask_b32_e32 v14, 0, v14, vcc_lo
	v_perm_b32 v2, v2, v11, 0x5040100
	v_perm_b32 v11, v76, v78, 0x5040100
	v_mov_b32_e32 v78, 0
	v_or_b32_e32 v67, v77, v79
	v_or_b32_e32 v79, v91, v92
	v_cndmask_b32_e64 v12, 0, v12, s0
	s_mov_b32 s21, exec_lo
	s_delay_alu instid0(VALU_DEP_3) | instskip(NEXT) | instid1(VALU_DEP_3)
	v_cndmask_b32_e64 v2, v67, v2, s1
	v_cndmask_b32_e64 v11, v79, v11, s1
	v_mov_b32_e32 v79, 0
	v_or_b32_e32 v77, v88, v89
	v_lshlrev_b32_e32 v88, 16, v90
	v_and_b32_e32 v89, 0xffff, v13
	v_cndmask_b32_e64 v13, 0, v13, s3
	v_cndmask_b32_e64 v90, 0, v90, s5
	v_perm_b32 v12, v12, v14, 0x5040100
	s_delay_alu instid0(VALU_DEP_4) | instskip(NEXT) | instid1(VALU_DEP_3)
	v_or_b32_e32 v88, v88, v89
	v_perm_b32 v13, v90, v13, 0x5040100
	s_delay_alu instid0(VALU_DEP_3)
	v_cndmask_b32_e64 v12, v77, v12, s1
	;;#ASMSTART
	v_pk_mul_f16 v12, v146, v12;

	;;#ASMEND
	;;#ASMSTART
	v_pk_mul_f16 v2, v145, v2;

	;;#ASMEND
	;; [unrolled: 4-line block ×3, first 2 shown]
	v_cndmask_b32_e64 v13, v88, v13, s1
	;;#ASMSTART
	v_pk_mul_f16 v13, v149, v13;

	;;#ASMEND
	;;#ASMSTART
	v_pk_add_f16 v2, v12, v2;

	;;#ASMEND
	;;#ASMSTART
	v_pk_add_f16 v2, v2, v11;

	;;#ASMEND
	v_add_co_u32 v11, s8, v9, v133
	s_delay_alu instid0(VALU_DEP_1)
	v_add_co_ci_u32_e64 v12, s8, 0, v10, s8
	;;#ASMSTART
	v_pk_add_f16 v2, v2, v13;

	;;#ASMEND
	v_lshrrev_b32_e32 v13, 16, v2
	v_and_b32_e32 v2, 0xffff, v2
	;;#ASMSTART
	v_cvt_f32_f16 v67, v2;
	;;#ASMEND
	;;#ASMSTART
	v_cvt_f32_f16 v76, v13;
	;;#ASMEND
	flat_load_b64 v[11:12], v[11:12]
	flat_load_b32 v77, v[26:27]
	s_waitcnt vmcnt(1) lgkmcnt(1)
	v_and_b32_e32 v2, 0xff, v11
	s_delay_alu instid0(VALU_DEP_1)
	v_cmpx_ne_u16_e32 0, v2
	s_cbranch_execz .LBB356_3954
; %bb.3947:                             ;   in Loop: Header=BB356_2089 Depth=1
	v_bfrev_b32_e32 v78, 1
	s_mov_b32 s22, exec_lo
	v_cmpx_ne_u16_e32 0x80, v2
	s_cbranch_execz .LBB356_3953
; %bb.3948:                             ;   in Loop: Header=BB356_2089 Depth=1
	v_and_b32_e32 v13, 0x7f, v11
	v_mov_b32_e32 v78, 0x7fc02000
	s_mov_b32 s23, exec_lo
	s_delay_alu instid0(VALU_DEP_2)
	v_cmpx_ne_u32_e32 0x7f, v13
	s_cbranch_execz .LBB356_3952
; %bb.3949:                             ;   in Loop: Header=BB356_2089 Depth=1
	v_lshrrev_b32_e32 v2, 3, v13
	v_cmp_gt_u32_e64 s8, 8, v13
	v_dual_mov_b32 v14, v12 :: v_dual_mov_b32 v13, v11
	s_delay_alu instid0(VALU_DEP_2)
	s_and_saveexec_b32 s24, s8
; %bb.3950:                             ;   in Loop: Header=BB356_2089 Depth=1
	v_and_b32_e32 v2, 7, v11
	s_delay_alu instid0(VALU_DEP_1) | instskip(NEXT) | instid1(VALU_DEP_1)
	v_clz_i32_u32_e32 v2, v2
	v_min_u32_e32 v2, 32, v2
	s_delay_alu instid0(VALU_DEP_1) | instskip(SKIP_1) | instid1(VALU_DEP_2)
	v_subrev_nc_u32_e32 v13, 28, v2
	v_sub_nc_u32_e32 v2, 29, v2
	v_lshlrev_b64 v[13:14], v13, v[11:12]
; %bb.3951:                             ;   in Loop: Header=BB356_2089 Depth=1
	s_or_b32 exec_lo, exec_lo, s24
	v_lshlrev_b32_e32 v14, 8, v11
	s_delay_alu instid0(VALU_DEP_3) | instskip(NEXT) | instid1(VALU_DEP_3)
	v_lshl_add_u32 v2, v2, 10, 0x2000
	v_lshlrev_b32_e32 v13, 7, v13
	s_delay_alu instid0(VALU_DEP_2) | instskip(NEXT) | instid1(VALU_DEP_1)
	v_and_or_b32 v2, 0x8000, v14, v2
	v_and_or_b32 v2, 0x380, v13, v2
	s_delay_alu instid0(VALU_DEP_1)
	v_cvt_f32_f16_e32 v78, v2
.LBB356_3952:                           ;   in Loop: Header=BB356_2089 Depth=1
	s_or_b32 exec_lo, exec_lo, s23
.LBB356_3953:                           ;   in Loop: Header=BB356_2089 Depth=1
	s_delay_alu instid0(SALU_CYCLE_1)
	s_or_b32 exec_lo, exec_lo, s22
.LBB356_3954:                           ;   in Loop: Header=BB356_2089 Depth=1
	s_delay_alu instid0(SALU_CYCLE_1) | instskip(SKIP_2) | instid1(VALU_DEP_1)
	s_or_b32 exec_lo, exec_lo, s21
	v_lshrrev_b16 v2, 8, v11
	s_mov_b32 s21, exec_lo
	v_cmpx_ne_u16_e32 0, v2
	s_cbranch_execz .LBB356_3962
; %bb.3955:                             ;   in Loop: Header=BB356_2089 Depth=1
	v_bfrev_b32_e32 v79, 1
	s_mov_b32 s22, exec_lo
	v_cmpx_ne_u16_e32 0x80, v2
	s_cbranch_execz .LBB356_3961
; %bb.3956:                             ;   in Loop: Header=BB356_2089 Depth=1
	v_and_b32_e32 v88, 0xffff, v2
	v_mov_b32_e32 v79, 0x7fc02000
	s_mov_b32 s23, exec_lo
	s_delay_alu instid0(VALU_DEP_2) | instskip(NEXT) | instid1(VALU_DEP_1)
	v_and_b32_e32 v89, 0x7f, v88
	v_cmpx_ne_u32_e32 0x7f, v89
	s_cbranch_execz .LBB356_3960
; %bb.3957:                             ;   in Loop: Header=BB356_2089 Depth=1
	v_and_b32_e32 v2, 7, v88
	v_lshrrev_b32_e32 v79, 3, v89
	v_mov_b32_e32 v14, v3
	s_mov_b32 s24, exec_lo
	s_delay_alu instid0(VALU_DEP_3)
	v_mov_b32_e32 v13, v2
	v_cmpx_gt_u32_e32 8, v89
; %bb.3958:                             ;   in Loop: Header=BB356_2089 Depth=1
	v_clz_i32_u32_e32 v13, v2
	s_delay_alu instid0(VALU_DEP_1) | instskip(NEXT) | instid1(VALU_DEP_1)
	v_min_u32_e32 v79, 32, v13
	v_subrev_nc_u32_e32 v13, 28, v79
	v_sub_nc_u32_e32 v79, 29, v79
	s_delay_alu instid0(VALU_DEP_2) | instskip(NEXT) | instid1(VALU_DEP_1)
	v_lshlrev_b64 v[13:14], v13, v[2:3]
	v_and_b32_e32 v13, 7, v13
; %bb.3959:                             ;   in Loop: Header=BB356_2089 Depth=1
	s_or_b32 exec_lo, exec_lo, s24
	v_lshlrev_b32_e32 v2, 8, v88
	v_lshl_add_u32 v14, v79, 10, 0x2000
	s_delay_alu instid0(VALU_DEP_1) | instskip(NEXT) | instid1(VALU_DEP_1)
	v_and_or_b32 v2, 0x8000, v2, v14
	v_lshl_or_b32 v2, v13, 7, v2
	s_delay_alu instid0(VALU_DEP_1)
	v_cvt_f32_f16_e32 v79, v2
.LBB356_3960:                           ;   in Loop: Header=BB356_2089 Depth=1
	s_or_b32 exec_lo, exec_lo, s23
.LBB356_3961:                           ;   in Loop: Header=BB356_2089 Depth=1
	s_delay_alu instid0(SALU_CYCLE_1)
	s_or_b32 exec_lo, exec_lo, s22
.LBB356_3962:                           ;   in Loop: Header=BB356_2089 Depth=1
	s_delay_alu instid0(SALU_CYCLE_1) | instskip(SKIP_3) | instid1(VALU_DEP_2)
	s_or_b32 exec_lo, exec_lo, s21
	v_lshrrev_b32_e32 v90, 16, v11
	v_mov_b32_e32 v88, 0
	s_mov_b32 s21, exec_lo
	v_dual_mov_b32 v89, 0 :: v_dual_and_b32 v2, 0xff, v90
	s_delay_alu instid0(VALU_DEP_1)
	v_cmpx_ne_u16_e32 0, v2
	s_cbranch_execz .LBB356_3970
; %bb.3963:                             ;   in Loop: Header=BB356_2089 Depth=1
	v_bfrev_b32_e32 v88, 1
	s_mov_b32 s22, exec_lo
	v_cmpx_ne_u16_e32 0x80, v2
	s_cbranch_execz .LBB356_3969
; %bb.3964:                             ;   in Loop: Header=BB356_2089 Depth=1
	v_bfe_u32 v91, v11, 16, 7
	v_mov_b32_e32 v88, 0x7fc02000
	s_mov_b32 s23, exec_lo
	s_delay_alu instid0(VALU_DEP_2)
	v_cmpx_ne_u32_e32 0x7f, v91
	s_cbranch_execz .LBB356_3968
; %bb.3965:                             ;   in Loop: Header=BB356_2089 Depth=1
	v_and_b32_e32 v2, 7, v90
	v_lshrrev_b32_e32 v88, 3, v91
	v_mov_b32_e32 v14, v3
	s_mov_b32 s24, exec_lo
	s_delay_alu instid0(VALU_DEP_3)
	v_mov_b32_e32 v13, v2
	v_cmpx_gt_u32_e32 8, v91
; %bb.3966:                             ;   in Loop: Header=BB356_2089 Depth=1
	v_clz_i32_u32_e32 v13, v2
	s_delay_alu instid0(VALU_DEP_1) | instskip(NEXT) | instid1(VALU_DEP_1)
	v_min_u32_e32 v88, 32, v13
	v_subrev_nc_u32_e32 v13, 28, v88
	v_sub_nc_u32_e32 v88, 29, v88
	s_delay_alu instid0(VALU_DEP_2) | instskip(NEXT) | instid1(VALU_DEP_1)
	v_lshlrev_b64 v[13:14], v13, v[2:3]
	v_and_b32_e32 v13, 7, v13
; %bb.3967:                             ;   in Loop: Header=BB356_2089 Depth=1
	s_or_b32 exec_lo, exec_lo, s24
	v_lshlrev_b32_e32 v2, 8, v90
	v_lshl_add_u32 v14, v88, 10, 0x2000
	s_delay_alu instid0(VALU_DEP_1) | instskip(NEXT) | instid1(VALU_DEP_1)
	v_and_or_b32 v2, 0x8000, v2, v14
	v_lshl_or_b32 v2, v13, 7, v2
	s_delay_alu instid0(VALU_DEP_1)
	v_cvt_f32_f16_e32 v88, v2
.LBB356_3968:                           ;   in Loop: Header=BB356_2089 Depth=1
	s_or_b32 exec_lo, exec_lo, s23
.LBB356_3969:                           ;   in Loop: Header=BB356_2089 Depth=1
	s_delay_alu instid0(SALU_CYCLE_1)
	s_or_b32 exec_lo, exec_lo, s22
.LBB356_3970:                           ;   in Loop: Header=BB356_2089 Depth=1
	s_delay_alu instid0(SALU_CYCLE_1) | instskip(NEXT) | instid1(SALU_CYCLE_1)
	s_or_b32 exec_lo, exec_lo, s21
	s_mov_b32 s21, exec_lo
	v_cmpx_lt_u32_e32 0xffffff, v11
	s_cbranch_execz .LBB356_3978
; %bb.3971:                             ;   in Loop: Header=BB356_2089 Depth=1
	v_lshrrev_b32_e32 v90, 24, v11
	v_bfrev_b32_e32 v89, 1
	s_mov_b32 s22, exec_lo
	s_delay_alu instid0(VALU_DEP_2)
	v_cmpx_ne_u32_e32 0x80, v90
	s_cbranch_execz .LBB356_3977
; %bb.3972:                             ;   in Loop: Header=BB356_2089 Depth=1
	v_and_b32_e32 v91, 0x7f, v90
	v_mov_b32_e32 v89, 0x7fc02000
	s_mov_b32 s23, exec_lo
	s_delay_alu instid0(VALU_DEP_2)
	v_cmpx_ne_u32_e32 0x7f, v91
	s_cbranch_execz .LBB356_3976
; %bb.3973:                             ;   in Loop: Header=BB356_2089 Depth=1
	v_and_b32_e32 v2, 7, v90
	v_lshrrev_b32_e32 v89, 3, v91
	v_mov_b32_e32 v14, v3
	s_mov_b32 s24, exec_lo
	s_delay_alu instid0(VALU_DEP_3)
	v_mov_b32_e32 v13, v2
	v_cmpx_gt_u32_e32 8, v91
; %bb.3974:                             ;   in Loop: Header=BB356_2089 Depth=1
	v_clz_i32_u32_e32 v13, v2
	s_delay_alu instid0(VALU_DEP_1) | instskip(NEXT) | instid1(VALU_DEP_1)
	v_min_u32_e32 v89, 32, v13
	v_subrev_nc_u32_e32 v13, 28, v89
	v_sub_nc_u32_e32 v89, 29, v89
	s_delay_alu instid0(VALU_DEP_2) | instskip(NEXT) | instid1(VALU_DEP_1)
	v_lshlrev_b64 v[13:14], v13, v[2:3]
	v_and_b32_e32 v13, 7, v13
; %bb.3975:                             ;   in Loop: Header=BB356_2089 Depth=1
	s_or_b32 exec_lo, exec_lo, s24
	v_lshlrev_b32_e32 v2, 8, v90
	v_lshl_add_u32 v14, v89, 10, 0x2000
	s_delay_alu instid0(VALU_DEP_1) | instskip(NEXT) | instid1(VALU_DEP_1)
	v_and_or_b32 v2, 0x8000, v2, v14
	v_lshl_or_b32 v2, v13, 7, v2
	s_delay_alu instid0(VALU_DEP_1)
	v_cvt_f32_f16_e32 v89, v2
.LBB356_3976:                           ;   in Loop: Header=BB356_2089 Depth=1
	s_or_b32 exec_lo, exec_lo, s23
.LBB356_3977:                           ;   in Loop: Header=BB356_2089 Depth=1
	s_delay_alu instid0(SALU_CYCLE_1)
	s_or_b32 exec_lo, exec_lo, s22
.LBB356_3978:                           ;   in Loop: Header=BB356_2089 Depth=1
	s_delay_alu instid0(SALU_CYCLE_1) | instskip(SKIP_3) | instid1(VALU_DEP_2)
	s_or_b32 exec_lo, exec_lo, s21
	v_dual_mov_b32 v2, v12 :: v_dual_and_b32 v13, 0xff, v12
	v_dual_mov_b32 v91, 0 :: v_dual_mov_b32 v90, 0
	s_mov_b32 s21, exec_lo
	v_cmpx_ne_u16_e32 0, v13
	s_cbranch_execz .LBB356_3986
; %bb.3979:                             ;   in Loop: Header=BB356_2089 Depth=1
	v_bfrev_b32_e32 v90, 1
	s_mov_b32 s22, exec_lo
	v_cmpx_ne_u16_e32 0x80, v13
	s_cbranch_execz .LBB356_3985
; %bb.3980:                             ;   in Loop: Header=BB356_2089 Depth=1
	v_and_b32_e32 v92, 0x7f, v12
	v_mov_b32_e32 v90, 0x7fc02000
	s_mov_b32 s23, exec_lo
	s_delay_alu instid0(VALU_DEP_2)
	v_cmpx_ne_u32_e32 0x7f, v92
	s_cbranch_execz .LBB356_3984
; %bb.3981:                             ;   in Loop: Header=BB356_2089 Depth=1
	v_dual_mov_b32 v14, v3 :: v_dual_mov_b32 v13, v2
	v_lshrrev_b32_e32 v14, 3, v92
	s_mov_b32 s24, exec_lo
	v_cmpx_gt_u32_e32 8, v92
; %bb.3982:                             ;   in Loop: Header=BB356_2089 Depth=1
	v_and_b32_e32 v13, 7, v12
	s_delay_alu instid0(VALU_DEP_1) | instskip(NEXT) | instid1(VALU_DEP_1)
	v_clz_i32_u32_e32 v13, v13
	v_min_u32_e32 v90, 32, v13
	s_delay_alu instid0(VALU_DEP_1) | instskip(NEXT) | instid1(VALU_DEP_1)
	v_subrev_nc_u32_e32 v13, 28, v90
	v_lshlrev_b64 v[13:14], v13, v[2:3]
	v_sub_nc_u32_e32 v14, 29, v90
; %bb.3983:                             ;   in Loop: Header=BB356_2089 Depth=1
	s_or_b32 exec_lo, exec_lo, s24
	v_lshlrev_b32_e32 v90, 8, v12
	s_delay_alu instid0(VALU_DEP_2) | instskip(NEXT) | instid1(VALU_DEP_4)
	v_lshl_add_u32 v14, v14, 10, 0x2000
	v_lshlrev_b32_e32 v13, 7, v13
	s_delay_alu instid0(VALU_DEP_2) | instskip(NEXT) | instid1(VALU_DEP_1)
	v_and_or_b32 v14, 0x8000, v90, v14
	v_and_or_b32 v13, 0x380, v13, v14
	s_delay_alu instid0(VALU_DEP_1)
	v_cvt_f32_f16_e32 v90, v13
.LBB356_3984:                           ;   in Loop: Header=BB356_2089 Depth=1
	s_or_b32 exec_lo, exec_lo, s23
.LBB356_3985:                           ;   in Loop: Header=BB356_2089 Depth=1
	s_delay_alu instid0(SALU_CYCLE_1)
	s_or_b32 exec_lo, exec_lo, s22
.LBB356_3986:                           ;   in Loop: Header=BB356_2089 Depth=1
	s_delay_alu instid0(SALU_CYCLE_1) | instskip(SKIP_2) | instid1(VALU_DEP_1)
	s_or_b32 exec_lo, exec_lo, s21
	v_lshrrev_b16 v2, 8, v2
	s_mov_b32 s21, exec_lo
	v_cmpx_ne_u16_e32 0, v2
	s_cbranch_execz .LBB356_3994
; %bb.3987:                             ;   in Loop: Header=BB356_2089 Depth=1
	v_bfrev_b32_e32 v91, 1
	s_mov_b32 s22, exec_lo
	v_cmpx_ne_u16_e32 0x80, v2
	s_cbranch_execz .LBB356_3993
; %bb.3988:                             ;   in Loop: Header=BB356_2089 Depth=1
	v_and_b32_e32 v92, 0xffff, v2
	v_mov_b32_e32 v91, 0x7fc02000
	s_mov_b32 s23, exec_lo
	s_delay_alu instid0(VALU_DEP_2) | instskip(NEXT) | instid1(VALU_DEP_1)
	v_and_b32_e32 v93, 0x7f, v92
	v_cmpx_ne_u32_e32 0x7f, v93
	s_cbranch_execz .LBB356_3992
; %bb.3989:                             ;   in Loop: Header=BB356_2089 Depth=1
	v_and_b32_e32 v2, 7, v92
	v_lshrrev_b32_e32 v91, 3, v93
	v_mov_b32_e32 v14, v3
	s_mov_b32 s24, exec_lo
	s_delay_alu instid0(VALU_DEP_3)
	v_mov_b32_e32 v13, v2
	v_cmpx_gt_u32_e32 8, v93
; %bb.3990:                             ;   in Loop: Header=BB356_2089 Depth=1
	v_clz_i32_u32_e32 v13, v2
	s_delay_alu instid0(VALU_DEP_1) | instskip(NEXT) | instid1(VALU_DEP_1)
	v_min_u32_e32 v91, 32, v13
	v_subrev_nc_u32_e32 v13, 28, v91
	v_sub_nc_u32_e32 v91, 29, v91
	s_delay_alu instid0(VALU_DEP_2) | instskip(NEXT) | instid1(VALU_DEP_1)
	v_lshlrev_b64 v[13:14], v13, v[2:3]
	v_and_b32_e32 v13, 7, v13
; %bb.3991:                             ;   in Loop: Header=BB356_2089 Depth=1
	s_or_b32 exec_lo, exec_lo, s24
	v_lshlrev_b32_e32 v2, 8, v92
	v_lshl_add_u32 v14, v91, 10, 0x2000
	s_delay_alu instid0(VALU_DEP_1) | instskip(NEXT) | instid1(VALU_DEP_1)
	v_and_or_b32 v2, 0x8000, v2, v14
	v_lshl_or_b32 v2, v13, 7, v2
	s_delay_alu instid0(VALU_DEP_1)
	v_cvt_f32_f16_e32 v91, v2
.LBB356_3992:                           ;   in Loop: Header=BB356_2089 Depth=1
	s_or_b32 exec_lo, exec_lo, s23
.LBB356_3993:                           ;   in Loop: Header=BB356_2089 Depth=1
	s_delay_alu instid0(SALU_CYCLE_1)
	s_or_b32 exec_lo, exec_lo, s22
.LBB356_3994:                           ;   in Loop: Header=BB356_2089 Depth=1
	s_delay_alu instid0(SALU_CYCLE_1) | instskip(SKIP_3) | instid1(VALU_DEP_2)
	s_or_b32 exec_lo, exec_lo, s21
	v_lshrrev_b32_e32 v93, 16, v12
	v_mov_b32_e32 v92, 0
	s_mov_b32 s21, exec_lo
	v_dual_mov_b32 v13, 0 :: v_dual_and_b32 v2, 0xff, v93
	s_delay_alu instid0(VALU_DEP_1)
	v_cmpx_ne_u16_e32 0, v2
	s_cbranch_execz .LBB356_4002
; %bb.3995:                             ;   in Loop: Header=BB356_2089 Depth=1
	v_bfrev_b32_e32 v13, 1
	s_mov_b32 s22, exec_lo
	v_cmpx_ne_u16_e32 0x80, v2
	s_cbranch_execz .LBB356_4001
; %bb.3996:                             ;   in Loop: Header=BB356_2089 Depth=1
	v_bfe_u32 v95, v12, 16, 7
	v_mov_b32_e32 v13, 0x7fc02000
	s_mov_b32 s23, exec_lo
	s_delay_alu instid0(VALU_DEP_2)
	v_cmpx_ne_u32_e32 0x7f, v95
	s_cbranch_execz .LBB356_4000
; %bb.3997:                             ;   in Loop: Header=BB356_2089 Depth=1
	v_and_b32_e32 v2, 7, v93
	v_lshrrev_b32_e32 v94, 3, v95
	v_mov_b32_e32 v14, v3
	s_mov_b32 s24, exec_lo
	s_delay_alu instid0(VALU_DEP_3)
	v_mov_b32_e32 v13, v2
	v_cmpx_gt_u32_e32 8, v95
; %bb.3998:                             ;   in Loop: Header=BB356_2089 Depth=1
	v_clz_i32_u32_e32 v13, v2
	s_delay_alu instid0(VALU_DEP_1) | instskip(NEXT) | instid1(VALU_DEP_1)
	v_min_u32_e32 v94, 32, v13
	v_subrev_nc_u32_e32 v13, 28, v94
	v_sub_nc_u32_e32 v94, 29, v94
	s_delay_alu instid0(VALU_DEP_2) | instskip(NEXT) | instid1(VALU_DEP_1)
	v_lshlrev_b64 v[13:14], v13, v[2:3]
	v_and_b32_e32 v13, 7, v13
; %bb.3999:                             ;   in Loop: Header=BB356_2089 Depth=1
	s_or_b32 exec_lo, exec_lo, s24
	v_lshlrev_b32_e32 v2, 8, v93
	v_lshl_add_u32 v14, v94, 10, 0x2000
	s_delay_alu instid0(VALU_DEP_1) | instskip(NEXT) | instid1(VALU_DEP_1)
	v_and_or_b32 v2, 0x8000, v2, v14
	v_lshl_or_b32 v2, v13, 7, v2
	s_delay_alu instid0(VALU_DEP_1)
	v_cvt_f32_f16_e32 v13, v2
.LBB356_4000:                           ;   in Loop: Header=BB356_2089 Depth=1
	s_or_b32 exec_lo, exec_lo, s23
.LBB356_4001:                           ;   in Loop: Header=BB356_2089 Depth=1
	s_delay_alu instid0(SALU_CYCLE_1)
	s_or_b32 exec_lo, exec_lo, s22
.LBB356_4002:                           ;   in Loop: Header=BB356_2089 Depth=1
	s_delay_alu instid0(SALU_CYCLE_1) | instskip(NEXT) | instid1(SALU_CYCLE_1)
	s_or_b32 exec_lo, exec_lo, s21
	s_mov_b32 s21, exec_lo
	v_cmpx_lt_u64_e64 s[18:19], v[11:12]
	s_cbranch_execz .LBB356_4010
; %bb.4003:                             ;   in Loop: Header=BB356_2089 Depth=1
	v_lshrrev_b32_e32 v14, 24, v12
	v_bfrev_b32_e32 v92, 1
	s_mov_b32 s22, exec_lo
	s_delay_alu instid0(VALU_DEP_2)
	v_cmpx_ne_u32_e32 0x80, v14
	s_cbranch_execz .LBB356_4009
; %bb.4004:                             ;   in Loop: Header=BB356_2089 Depth=1
	v_and_b32_e32 v93, 0x7f, v14
	v_mov_b32_e32 v92, 0x7fc02000
	s_mov_b32 s23, exec_lo
	s_delay_alu instid0(VALU_DEP_2)
	v_cmpx_ne_u32_e32 0x7f, v93
	s_cbranch_execz .LBB356_4008
; %bb.4005:                             ;   in Loop: Header=BB356_2089 Depth=1
	v_and_b32_e32 v2, 7, v14
	v_lshrrev_b32_e32 v92, 3, v93
	v_mov_b32_e32 v12, v3
	s_mov_b32 s24, exec_lo
	s_delay_alu instid0(VALU_DEP_3)
	v_mov_b32_e32 v11, v2
	v_cmpx_gt_u32_e32 8, v93
; %bb.4006:                             ;   in Loop: Header=BB356_2089 Depth=1
	v_clz_i32_u32_e32 v11, v2
	s_delay_alu instid0(VALU_DEP_1) | instskip(NEXT) | instid1(VALU_DEP_1)
	v_min_u32_e32 v92, 32, v11
	v_subrev_nc_u32_e32 v11, 28, v92
	v_sub_nc_u32_e32 v92, 29, v92
	s_delay_alu instid0(VALU_DEP_2) | instskip(NEXT) | instid1(VALU_DEP_1)
	v_lshlrev_b64 v[11:12], v11, v[2:3]
	v_and_b32_e32 v11, 7, v11
; %bb.4007:                             ;   in Loop: Header=BB356_2089 Depth=1
	s_or_b32 exec_lo, exec_lo, s24
	v_lshlrev_b32_e32 v2, 8, v14
	v_lshl_add_u32 v12, v92, 10, 0x2000
	s_delay_alu instid0(VALU_DEP_1) | instskip(NEXT) | instid1(VALU_DEP_1)
	v_and_or_b32 v2, 0x8000, v2, v12
	v_lshl_or_b32 v2, v11, 7, v2
	s_delay_alu instid0(VALU_DEP_1)
	v_cvt_f32_f16_e32 v92, v2
.LBB356_4008:                           ;   in Loop: Header=BB356_2089 Depth=1
	s_or_b32 exec_lo, exec_lo, s23
.LBB356_4009:                           ;   in Loop: Header=BB356_2089 Depth=1
	s_delay_alu instid0(SALU_CYCLE_1)
	s_or_b32 exec_lo, exec_lo, s22
.LBB356_4010:                           ;   in Loop: Header=BB356_2089 Depth=1
	s_delay_alu instid0(SALU_CYCLE_1)
	s_or_b32 exec_lo, exec_lo, s21
	s_waitcnt vmcnt(0) lgkmcnt(0)
	v_fma_mixlo_f16 v2, v77, v89, 0
	v_fma_mixlo_f16 v11, v77, v88, 0
	v_fma_mixlo_f16 v14, v77, v78, 0
	v_fma_mixlo_f16 v78, v77, v91, 0
	v_fma_mixlo_f16 v88, v77, v90, 0
	v_fma_mixlo_f16 v12, v77, v79, 0
	v_lshlrev_b32_e32 v79, 16, v2
	v_and_b32_e32 v89, 0xffff, v11
	v_lshlrev_b32_e32 v93, 16, v78
	v_and_b32_e32 v94, 0xffff, v88
	v_cndmask_b32_e64 v11, 0, v11, s2
	v_cndmask_b32_e64 v2, 0, v2, s4
	;; [unrolled: 1-line block ×4, first 2 shown]
	v_lshlrev_b32_e32 v90, 16, v12
	v_and_b32_e32 v91, 0xffff, v14
	v_fma_mixlo_f16 v92, v77, v92, 0
	v_fma_mixlo_f16 v13, v77, v13, 0
	v_cndmask_b32_e32 v14, 0, v14, vcc_lo
	v_perm_b32 v2, v2, v11, 0x5040100
	v_perm_b32 v11, v78, v88, 0x5040100
	v_mov_b32_e32 v88, 0
	v_or_b32_e32 v77, v79, v89
	v_or_b32_e32 v89, v93, v94
	v_cndmask_b32_e64 v12, 0, v12, s0
	s_mov_b32 s21, exec_lo
	s_delay_alu instid0(VALU_DEP_3) | instskip(NEXT) | instid1(VALU_DEP_3)
	v_cndmask_b32_e64 v2, v77, v2, s1
	v_cndmask_b32_e64 v11, v89, v11, s1
	v_mov_b32_e32 v89, 0
	v_or_b32_e32 v79, v90, v91
	v_lshlrev_b32_e32 v90, 16, v92
	v_and_b32_e32 v91, 0xffff, v13
	v_cndmask_b32_e64 v13, 0, v13, s3
	v_cndmask_b32_e64 v92, 0, v92, s5
	v_perm_b32 v12, v12, v14, 0x5040100
	s_delay_alu instid0(VALU_DEP_4) | instskip(NEXT) | instid1(VALU_DEP_3)
	v_or_b32_e32 v90, v90, v91
	v_perm_b32 v13, v92, v13, 0x5040100
	s_delay_alu instid0(VALU_DEP_3)
	v_cndmask_b32_e64 v12, v79, v12, s1
	;;#ASMSTART
	v_pk_mul_f16 v12, v146, v12;

	;;#ASMEND
	;;#ASMSTART
	v_pk_mul_f16 v2, v145, v2;

	;;#ASMEND
	;; [unrolled: 4-line block ×3, first 2 shown]
	v_cndmask_b32_e64 v13, v90, v13, s1
	;;#ASMSTART
	v_pk_mul_f16 v13, v149, v13;

	;;#ASMEND
	;;#ASMSTART
	v_pk_add_f16 v2, v12, v2;

	;;#ASMEND
	;;#ASMSTART
	v_pk_add_f16 v2, v2, v11;

	;;#ASMEND
	v_add_co_u32 v11, s8, v9, v134
	s_delay_alu instid0(VALU_DEP_1)
	v_add_co_ci_u32_e64 v12, s8, 0, v10, s8
	;;#ASMSTART
	v_pk_add_f16 v2, v2, v13;

	;;#ASMEND
	v_lshrrev_b32_e32 v13, 16, v2
	v_and_b32_e32 v2, 0xffff, v2
	;;#ASMSTART
	v_cvt_f32_f16 v77, v2;
	;;#ASMEND
	;;#ASMSTART
	v_cvt_f32_f16 v78, v13;
	;;#ASMEND
	flat_load_b64 v[11:12], v[11:12]
	flat_load_b32 v79, v[26:27]
	s_waitcnt vmcnt(1) lgkmcnt(1)
	v_and_b32_e32 v2, 0xff, v11
	s_delay_alu instid0(VALU_DEP_1)
	v_cmpx_ne_u16_e32 0, v2
	s_cbranch_execz .LBB356_4018
; %bb.4011:                             ;   in Loop: Header=BB356_2089 Depth=1
	v_bfrev_b32_e32 v88, 1
	s_mov_b32 s22, exec_lo
	v_cmpx_ne_u16_e32 0x80, v2
	s_cbranch_execz .LBB356_4017
; %bb.4012:                             ;   in Loop: Header=BB356_2089 Depth=1
	v_and_b32_e32 v13, 0x7f, v11
	v_mov_b32_e32 v88, 0x7fc02000
	s_mov_b32 s23, exec_lo
	s_delay_alu instid0(VALU_DEP_2)
	v_cmpx_ne_u32_e32 0x7f, v13
	s_cbranch_execz .LBB356_4016
; %bb.4013:                             ;   in Loop: Header=BB356_2089 Depth=1
	v_lshrrev_b32_e32 v2, 3, v13
	v_cmp_gt_u32_e64 s8, 8, v13
	v_dual_mov_b32 v14, v12 :: v_dual_mov_b32 v13, v11
	s_delay_alu instid0(VALU_DEP_2)
	s_and_saveexec_b32 s24, s8
; %bb.4014:                             ;   in Loop: Header=BB356_2089 Depth=1
	v_and_b32_e32 v2, 7, v11
	s_delay_alu instid0(VALU_DEP_1) | instskip(NEXT) | instid1(VALU_DEP_1)
	v_clz_i32_u32_e32 v2, v2
	v_min_u32_e32 v2, 32, v2
	s_delay_alu instid0(VALU_DEP_1) | instskip(SKIP_1) | instid1(VALU_DEP_2)
	v_subrev_nc_u32_e32 v13, 28, v2
	v_sub_nc_u32_e32 v2, 29, v2
	v_lshlrev_b64 v[13:14], v13, v[11:12]
; %bb.4015:                             ;   in Loop: Header=BB356_2089 Depth=1
	s_or_b32 exec_lo, exec_lo, s24
	v_lshlrev_b32_e32 v14, 8, v11
	s_delay_alu instid0(VALU_DEP_3) | instskip(NEXT) | instid1(VALU_DEP_3)
	v_lshl_add_u32 v2, v2, 10, 0x2000
	v_lshlrev_b32_e32 v13, 7, v13
	s_delay_alu instid0(VALU_DEP_2) | instskip(NEXT) | instid1(VALU_DEP_1)
	v_and_or_b32 v2, 0x8000, v14, v2
	v_and_or_b32 v2, 0x380, v13, v2
	s_delay_alu instid0(VALU_DEP_1)
	v_cvt_f32_f16_e32 v88, v2
.LBB356_4016:                           ;   in Loop: Header=BB356_2089 Depth=1
	s_or_b32 exec_lo, exec_lo, s23
.LBB356_4017:                           ;   in Loop: Header=BB356_2089 Depth=1
	s_delay_alu instid0(SALU_CYCLE_1)
	s_or_b32 exec_lo, exec_lo, s22
.LBB356_4018:                           ;   in Loop: Header=BB356_2089 Depth=1
	s_delay_alu instid0(SALU_CYCLE_1) | instskip(SKIP_2) | instid1(VALU_DEP_1)
	s_or_b32 exec_lo, exec_lo, s21
	v_lshrrev_b16 v2, 8, v11
	s_mov_b32 s21, exec_lo
	v_cmpx_ne_u16_e32 0, v2
	s_cbranch_execz .LBB356_4026
; %bb.4019:                             ;   in Loop: Header=BB356_2089 Depth=1
	v_bfrev_b32_e32 v89, 1
	s_mov_b32 s22, exec_lo
	v_cmpx_ne_u16_e32 0x80, v2
	s_cbranch_execz .LBB356_4025
; %bb.4020:                             ;   in Loop: Header=BB356_2089 Depth=1
	v_and_b32_e32 v90, 0xffff, v2
	v_mov_b32_e32 v89, 0x7fc02000
	s_mov_b32 s23, exec_lo
	s_delay_alu instid0(VALU_DEP_2) | instskip(NEXT) | instid1(VALU_DEP_1)
	v_and_b32_e32 v91, 0x7f, v90
	v_cmpx_ne_u32_e32 0x7f, v91
	s_cbranch_execz .LBB356_4024
; %bb.4021:                             ;   in Loop: Header=BB356_2089 Depth=1
	v_and_b32_e32 v2, 7, v90
	v_lshrrev_b32_e32 v89, 3, v91
	v_mov_b32_e32 v14, v3
	s_mov_b32 s24, exec_lo
	s_delay_alu instid0(VALU_DEP_3)
	v_mov_b32_e32 v13, v2
	v_cmpx_gt_u32_e32 8, v91
; %bb.4022:                             ;   in Loop: Header=BB356_2089 Depth=1
	v_clz_i32_u32_e32 v13, v2
	s_delay_alu instid0(VALU_DEP_1) | instskip(NEXT) | instid1(VALU_DEP_1)
	v_min_u32_e32 v89, 32, v13
	v_subrev_nc_u32_e32 v13, 28, v89
	v_sub_nc_u32_e32 v89, 29, v89
	s_delay_alu instid0(VALU_DEP_2) | instskip(NEXT) | instid1(VALU_DEP_1)
	v_lshlrev_b64 v[13:14], v13, v[2:3]
	v_and_b32_e32 v13, 7, v13
; %bb.4023:                             ;   in Loop: Header=BB356_2089 Depth=1
	s_or_b32 exec_lo, exec_lo, s24
	v_lshlrev_b32_e32 v2, 8, v90
	v_lshl_add_u32 v14, v89, 10, 0x2000
	s_delay_alu instid0(VALU_DEP_1) | instskip(NEXT) | instid1(VALU_DEP_1)
	v_and_or_b32 v2, 0x8000, v2, v14
	v_lshl_or_b32 v2, v13, 7, v2
	s_delay_alu instid0(VALU_DEP_1)
	v_cvt_f32_f16_e32 v89, v2
.LBB356_4024:                           ;   in Loop: Header=BB356_2089 Depth=1
	s_or_b32 exec_lo, exec_lo, s23
.LBB356_4025:                           ;   in Loop: Header=BB356_2089 Depth=1
	s_delay_alu instid0(SALU_CYCLE_1)
	s_or_b32 exec_lo, exec_lo, s22
.LBB356_4026:                           ;   in Loop: Header=BB356_2089 Depth=1
	s_delay_alu instid0(SALU_CYCLE_1) | instskip(SKIP_3) | instid1(VALU_DEP_2)
	s_or_b32 exec_lo, exec_lo, s21
	v_lshrrev_b32_e32 v92, 16, v11
	v_mov_b32_e32 v90, 0
	s_mov_b32 s21, exec_lo
	v_dual_mov_b32 v91, 0 :: v_dual_and_b32 v2, 0xff, v92
	s_delay_alu instid0(VALU_DEP_1)
	v_cmpx_ne_u16_e32 0, v2
	s_cbranch_execz .LBB356_4034
; %bb.4027:                             ;   in Loop: Header=BB356_2089 Depth=1
	v_bfrev_b32_e32 v90, 1
	s_mov_b32 s22, exec_lo
	v_cmpx_ne_u16_e32 0x80, v2
	s_cbranch_execz .LBB356_4033
; %bb.4028:                             ;   in Loop: Header=BB356_2089 Depth=1
	v_bfe_u32 v93, v11, 16, 7
	v_mov_b32_e32 v90, 0x7fc02000
	s_mov_b32 s23, exec_lo
	s_delay_alu instid0(VALU_DEP_2)
	v_cmpx_ne_u32_e32 0x7f, v93
	s_cbranch_execz .LBB356_4032
; %bb.4029:                             ;   in Loop: Header=BB356_2089 Depth=1
	v_and_b32_e32 v2, 7, v92
	v_lshrrev_b32_e32 v90, 3, v93
	v_mov_b32_e32 v14, v3
	s_mov_b32 s24, exec_lo
	s_delay_alu instid0(VALU_DEP_3)
	v_mov_b32_e32 v13, v2
	v_cmpx_gt_u32_e32 8, v93
; %bb.4030:                             ;   in Loop: Header=BB356_2089 Depth=1
	v_clz_i32_u32_e32 v13, v2
	s_delay_alu instid0(VALU_DEP_1) | instskip(NEXT) | instid1(VALU_DEP_1)
	v_min_u32_e32 v90, 32, v13
	v_subrev_nc_u32_e32 v13, 28, v90
	v_sub_nc_u32_e32 v90, 29, v90
	s_delay_alu instid0(VALU_DEP_2) | instskip(NEXT) | instid1(VALU_DEP_1)
	v_lshlrev_b64 v[13:14], v13, v[2:3]
	v_and_b32_e32 v13, 7, v13
; %bb.4031:                             ;   in Loop: Header=BB356_2089 Depth=1
	s_or_b32 exec_lo, exec_lo, s24
	v_lshlrev_b32_e32 v2, 8, v92
	v_lshl_add_u32 v14, v90, 10, 0x2000
	s_delay_alu instid0(VALU_DEP_1) | instskip(NEXT) | instid1(VALU_DEP_1)
	v_and_or_b32 v2, 0x8000, v2, v14
	v_lshl_or_b32 v2, v13, 7, v2
	s_delay_alu instid0(VALU_DEP_1)
	v_cvt_f32_f16_e32 v90, v2
.LBB356_4032:                           ;   in Loop: Header=BB356_2089 Depth=1
	s_or_b32 exec_lo, exec_lo, s23
.LBB356_4033:                           ;   in Loop: Header=BB356_2089 Depth=1
	s_delay_alu instid0(SALU_CYCLE_1)
	s_or_b32 exec_lo, exec_lo, s22
.LBB356_4034:                           ;   in Loop: Header=BB356_2089 Depth=1
	s_delay_alu instid0(SALU_CYCLE_1) | instskip(NEXT) | instid1(SALU_CYCLE_1)
	s_or_b32 exec_lo, exec_lo, s21
	s_mov_b32 s21, exec_lo
	v_cmpx_lt_u32_e32 0xffffff, v11
	s_cbranch_execz .LBB356_4042
; %bb.4035:                             ;   in Loop: Header=BB356_2089 Depth=1
	v_lshrrev_b32_e32 v92, 24, v11
	v_bfrev_b32_e32 v91, 1
	s_mov_b32 s22, exec_lo
	s_delay_alu instid0(VALU_DEP_2)
	v_cmpx_ne_u32_e32 0x80, v92
	s_cbranch_execz .LBB356_4041
; %bb.4036:                             ;   in Loop: Header=BB356_2089 Depth=1
	v_and_b32_e32 v93, 0x7f, v92
	v_mov_b32_e32 v91, 0x7fc02000
	s_mov_b32 s23, exec_lo
	s_delay_alu instid0(VALU_DEP_2)
	v_cmpx_ne_u32_e32 0x7f, v93
	s_cbranch_execz .LBB356_4040
; %bb.4037:                             ;   in Loop: Header=BB356_2089 Depth=1
	v_and_b32_e32 v2, 7, v92
	v_lshrrev_b32_e32 v91, 3, v93
	v_mov_b32_e32 v14, v3
	s_mov_b32 s24, exec_lo
	s_delay_alu instid0(VALU_DEP_3)
	v_mov_b32_e32 v13, v2
	v_cmpx_gt_u32_e32 8, v93
; %bb.4038:                             ;   in Loop: Header=BB356_2089 Depth=1
	v_clz_i32_u32_e32 v13, v2
	s_delay_alu instid0(VALU_DEP_1) | instskip(NEXT) | instid1(VALU_DEP_1)
	v_min_u32_e32 v91, 32, v13
	v_subrev_nc_u32_e32 v13, 28, v91
	v_sub_nc_u32_e32 v91, 29, v91
	s_delay_alu instid0(VALU_DEP_2) | instskip(NEXT) | instid1(VALU_DEP_1)
	v_lshlrev_b64 v[13:14], v13, v[2:3]
	v_and_b32_e32 v13, 7, v13
; %bb.4039:                             ;   in Loop: Header=BB356_2089 Depth=1
	s_or_b32 exec_lo, exec_lo, s24
	v_lshlrev_b32_e32 v2, 8, v92
	v_lshl_add_u32 v14, v91, 10, 0x2000
	s_delay_alu instid0(VALU_DEP_1) | instskip(NEXT) | instid1(VALU_DEP_1)
	v_and_or_b32 v2, 0x8000, v2, v14
	v_lshl_or_b32 v2, v13, 7, v2
	s_delay_alu instid0(VALU_DEP_1)
	v_cvt_f32_f16_e32 v91, v2
.LBB356_4040:                           ;   in Loop: Header=BB356_2089 Depth=1
	s_or_b32 exec_lo, exec_lo, s23
.LBB356_4041:                           ;   in Loop: Header=BB356_2089 Depth=1
	s_delay_alu instid0(SALU_CYCLE_1)
	s_or_b32 exec_lo, exec_lo, s22
.LBB356_4042:                           ;   in Loop: Header=BB356_2089 Depth=1
	s_delay_alu instid0(SALU_CYCLE_1) | instskip(SKIP_3) | instid1(VALU_DEP_2)
	s_or_b32 exec_lo, exec_lo, s21
	v_dual_mov_b32 v2, v12 :: v_dual_and_b32 v13, 0xff, v12
	v_dual_mov_b32 v93, 0 :: v_dual_mov_b32 v92, 0
	s_mov_b32 s21, exec_lo
	v_cmpx_ne_u16_e32 0, v13
	s_cbranch_execz .LBB356_4050
; %bb.4043:                             ;   in Loop: Header=BB356_2089 Depth=1
	v_bfrev_b32_e32 v92, 1
	s_mov_b32 s22, exec_lo
	v_cmpx_ne_u16_e32 0x80, v13
	s_cbranch_execz .LBB356_4049
; %bb.4044:                             ;   in Loop: Header=BB356_2089 Depth=1
	v_and_b32_e32 v94, 0x7f, v12
	v_mov_b32_e32 v92, 0x7fc02000
	s_mov_b32 s23, exec_lo
	s_delay_alu instid0(VALU_DEP_2)
	v_cmpx_ne_u32_e32 0x7f, v94
	s_cbranch_execz .LBB356_4048
; %bb.4045:                             ;   in Loop: Header=BB356_2089 Depth=1
	v_dual_mov_b32 v14, v3 :: v_dual_mov_b32 v13, v2
	v_lshrrev_b32_e32 v14, 3, v94
	s_mov_b32 s24, exec_lo
	v_cmpx_gt_u32_e32 8, v94
; %bb.4046:                             ;   in Loop: Header=BB356_2089 Depth=1
	v_and_b32_e32 v13, 7, v12
	s_delay_alu instid0(VALU_DEP_1) | instskip(NEXT) | instid1(VALU_DEP_1)
	v_clz_i32_u32_e32 v13, v13
	v_min_u32_e32 v92, 32, v13
	s_delay_alu instid0(VALU_DEP_1) | instskip(NEXT) | instid1(VALU_DEP_1)
	v_subrev_nc_u32_e32 v13, 28, v92
	v_lshlrev_b64 v[13:14], v13, v[2:3]
	v_sub_nc_u32_e32 v14, 29, v92
; %bb.4047:                             ;   in Loop: Header=BB356_2089 Depth=1
	s_or_b32 exec_lo, exec_lo, s24
	v_lshlrev_b32_e32 v92, 8, v12
	s_delay_alu instid0(VALU_DEP_2) | instskip(NEXT) | instid1(VALU_DEP_4)
	v_lshl_add_u32 v14, v14, 10, 0x2000
	v_lshlrev_b32_e32 v13, 7, v13
	s_delay_alu instid0(VALU_DEP_2) | instskip(NEXT) | instid1(VALU_DEP_1)
	v_and_or_b32 v14, 0x8000, v92, v14
	v_and_or_b32 v13, 0x380, v13, v14
	s_delay_alu instid0(VALU_DEP_1)
	v_cvt_f32_f16_e32 v92, v13
.LBB356_4048:                           ;   in Loop: Header=BB356_2089 Depth=1
	s_or_b32 exec_lo, exec_lo, s23
.LBB356_4049:                           ;   in Loop: Header=BB356_2089 Depth=1
	s_delay_alu instid0(SALU_CYCLE_1)
	s_or_b32 exec_lo, exec_lo, s22
.LBB356_4050:                           ;   in Loop: Header=BB356_2089 Depth=1
	s_delay_alu instid0(SALU_CYCLE_1) | instskip(SKIP_2) | instid1(VALU_DEP_1)
	s_or_b32 exec_lo, exec_lo, s21
	v_lshrrev_b16 v2, 8, v2
	s_mov_b32 s21, exec_lo
	v_cmpx_ne_u16_e32 0, v2
	s_cbranch_execz .LBB356_4058
; %bb.4051:                             ;   in Loop: Header=BB356_2089 Depth=1
	v_bfrev_b32_e32 v93, 1
	s_mov_b32 s22, exec_lo
	v_cmpx_ne_u16_e32 0x80, v2
	s_cbranch_execz .LBB356_4057
; %bb.4052:                             ;   in Loop: Header=BB356_2089 Depth=1
	v_and_b32_e32 v94, 0xffff, v2
	v_mov_b32_e32 v93, 0x7fc02000
	s_mov_b32 s23, exec_lo
	s_delay_alu instid0(VALU_DEP_2) | instskip(NEXT) | instid1(VALU_DEP_1)
	v_and_b32_e32 v95, 0x7f, v94
	v_cmpx_ne_u32_e32 0x7f, v95
	s_cbranch_execz .LBB356_4056
; %bb.4053:                             ;   in Loop: Header=BB356_2089 Depth=1
	v_and_b32_e32 v2, 7, v94
	v_lshrrev_b32_e32 v93, 3, v95
	v_mov_b32_e32 v14, v3
	s_mov_b32 s24, exec_lo
	s_delay_alu instid0(VALU_DEP_3)
	v_mov_b32_e32 v13, v2
	v_cmpx_gt_u32_e32 8, v95
; %bb.4054:                             ;   in Loop: Header=BB356_2089 Depth=1
	v_clz_i32_u32_e32 v13, v2
	s_delay_alu instid0(VALU_DEP_1) | instskip(NEXT) | instid1(VALU_DEP_1)
	v_min_u32_e32 v93, 32, v13
	v_subrev_nc_u32_e32 v13, 28, v93
	v_sub_nc_u32_e32 v93, 29, v93
	s_delay_alu instid0(VALU_DEP_2) | instskip(NEXT) | instid1(VALU_DEP_1)
	v_lshlrev_b64 v[13:14], v13, v[2:3]
	v_and_b32_e32 v13, 7, v13
; %bb.4055:                             ;   in Loop: Header=BB356_2089 Depth=1
	s_or_b32 exec_lo, exec_lo, s24
	v_lshlrev_b32_e32 v2, 8, v94
	v_lshl_add_u32 v14, v93, 10, 0x2000
	s_delay_alu instid0(VALU_DEP_1) | instskip(NEXT) | instid1(VALU_DEP_1)
	v_and_or_b32 v2, 0x8000, v2, v14
	v_lshl_or_b32 v2, v13, 7, v2
	s_delay_alu instid0(VALU_DEP_1)
	v_cvt_f32_f16_e32 v93, v2
.LBB356_4056:                           ;   in Loop: Header=BB356_2089 Depth=1
	s_or_b32 exec_lo, exec_lo, s23
.LBB356_4057:                           ;   in Loop: Header=BB356_2089 Depth=1
	s_delay_alu instid0(SALU_CYCLE_1)
	s_or_b32 exec_lo, exec_lo, s22
.LBB356_4058:                           ;   in Loop: Header=BB356_2089 Depth=1
	s_delay_alu instid0(SALU_CYCLE_1) | instskip(SKIP_3) | instid1(VALU_DEP_2)
	s_or_b32 exec_lo, exec_lo, s21
	v_lshrrev_b32_e32 v95, 16, v12
	v_mov_b32_e32 v94, 0
	s_mov_b32 s21, exec_lo
	v_dual_mov_b32 v13, 0 :: v_dual_and_b32 v2, 0xff, v95
	s_delay_alu instid0(VALU_DEP_1)
	v_cmpx_ne_u16_e32 0, v2
	s_cbranch_execz .LBB356_4066
; %bb.4059:                             ;   in Loop: Header=BB356_2089 Depth=1
	v_bfrev_b32_e32 v13, 1
	s_mov_b32 s22, exec_lo
	v_cmpx_ne_u16_e32 0x80, v2
	s_cbranch_execz .LBB356_4065
; %bb.4060:                             ;   in Loop: Header=BB356_2089 Depth=1
	v_bfe_u32 v105, v12, 16, 7
	v_mov_b32_e32 v13, 0x7fc02000
	s_mov_b32 s23, exec_lo
	s_delay_alu instid0(VALU_DEP_2)
	v_cmpx_ne_u32_e32 0x7f, v105
	s_cbranch_execz .LBB356_4064
; %bb.4061:                             ;   in Loop: Header=BB356_2089 Depth=1
	v_and_b32_e32 v2, 7, v95
	v_lshrrev_b32_e32 v104, 3, v105
	v_mov_b32_e32 v14, v3
	s_mov_b32 s24, exec_lo
	s_delay_alu instid0(VALU_DEP_3)
	v_mov_b32_e32 v13, v2
	v_cmpx_gt_u32_e32 8, v105
; %bb.4062:                             ;   in Loop: Header=BB356_2089 Depth=1
	v_clz_i32_u32_e32 v13, v2
	s_delay_alu instid0(VALU_DEP_1) | instskip(NEXT) | instid1(VALU_DEP_1)
	v_min_u32_e32 v104, 32, v13
	v_subrev_nc_u32_e32 v13, 28, v104
	v_sub_nc_u32_e32 v104, 29, v104
	s_delay_alu instid0(VALU_DEP_2) | instskip(NEXT) | instid1(VALU_DEP_1)
	v_lshlrev_b64 v[13:14], v13, v[2:3]
	v_and_b32_e32 v13, 7, v13
; %bb.4063:                             ;   in Loop: Header=BB356_2089 Depth=1
	s_or_b32 exec_lo, exec_lo, s24
	v_lshlrev_b32_e32 v2, 8, v95
	v_lshl_add_u32 v14, v104, 10, 0x2000
	s_delay_alu instid0(VALU_DEP_1) | instskip(NEXT) | instid1(VALU_DEP_1)
	v_and_or_b32 v2, 0x8000, v2, v14
	v_lshl_or_b32 v2, v13, 7, v2
	s_delay_alu instid0(VALU_DEP_1)
	v_cvt_f32_f16_e32 v13, v2
.LBB356_4064:                           ;   in Loop: Header=BB356_2089 Depth=1
	s_or_b32 exec_lo, exec_lo, s23
.LBB356_4065:                           ;   in Loop: Header=BB356_2089 Depth=1
	s_delay_alu instid0(SALU_CYCLE_1)
	s_or_b32 exec_lo, exec_lo, s22
.LBB356_4066:                           ;   in Loop: Header=BB356_2089 Depth=1
	s_delay_alu instid0(SALU_CYCLE_1) | instskip(NEXT) | instid1(SALU_CYCLE_1)
	s_or_b32 exec_lo, exec_lo, s21
	s_mov_b32 s21, exec_lo
	v_cmpx_lt_u64_e64 s[18:19], v[11:12]
	s_cbranch_execz .LBB356_4074
; %bb.4067:                             ;   in Loop: Header=BB356_2089 Depth=1
	v_lshrrev_b32_e32 v14, 24, v12
	v_bfrev_b32_e32 v94, 1
	s_mov_b32 s22, exec_lo
	s_delay_alu instid0(VALU_DEP_2)
	v_cmpx_ne_u32_e32 0x80, v14
	s_cbranch_execz .LBB356_4073
; %bb.4068:                             ;   in Loop: Header=BB356_2089 Depth=1
	v_and_b32_e32 v95, 0x7f, v14
	v_mov_b32_e32 v94, 0x7fc02000
	s_mov_b32 s23, exec_lo
	s_delay_alu instid0(VALU_DEP_2)
	v_cmpx_ne_u32_e32 0x7f, v95
	s_cbranch_execz .LBB356_4072
; %bb.4069:                             ;   in Loop: Header=BB356_2089 Depth=1
	v_and_b32_e32 v2, 7, v14
	v_lshrrev_b32_e32 v94, 3, v95
	v_mov_b32_e32 v12, v3
	s_mov_b32 s24, exec_lo
	s_delay_alu instid0(VALU_DEP_3)
	v_mov_b32_e32 v11, v2
	v_cmpx_gt_u32_e32 8, v95
; %bb.4070:                             ;   in Loop: Header=BB356_2089 Depth=1
	v_clz_i32_u32_e32 v11, v2
	s_delay_alu instid0(VALU_DEP_1) | instskip(NEXT) | instid1(VALU_DEP_1)
	v_min_u32_e32 v94, 32, v11
	v_subrev_nc_u32_e32 v11, 28, v94
	v_sub_nc_u32_e32 v94, 29, v94
	s_delay_alu instid0(VALU_DEP_2) | instskip(NEXT) | instid1(VALU_DEP_1)
	v_lshlrev_b64 v[11:12], v11, v[2:3]
	v_and_b32_e32 v11, 7, v11
; %bb.4071:                             ;   in Loop: Header=BB356_2089 Depth=1
	s_or_b32 exec_lo, exec_lo, s24
	v_lshlrev_b32_e32 v2, 8, v14
	v_lshl_add_u32 v12, v94, 10, 0x2000
	s_delay_alu instid0(VALU_DEP_1) | instskip(NEXT) | instid1(VALU_DEP_1)
	v_and_or_b32 v2, 0x8000, v2, v12
	v_lshl_or_b32 v2, v11, 7, v2
	s_delay_alu instid0(VALU_DEP_1)
	v_cvt_f32_f16_e32 v94, v2
.LBB356_4072:                           ;   in Loop: Header=BB356_2089 Depth=1
	s_or_b32 exec_lo, exec_lo, s23
.LBB356_4073:                           ;   in Loop: Header=BB356_2089 Depth=1
	s_delay_alu instid0(SALU_CYCLE_1)
	s_or_b32 exec_lo, exec_lo, s22
.LBB356_4074:                           ;   in Loop: Header=BB356_2089 Depth=1
	s_delay_alu instid0(SALU_CYCLE_1)
	s_or_b32 exec_lo, exec_lo, s21
	s_waitcnt vmcnt(0) lgkmcnt(0)
	v_fma_mixlo_f16 v2, v79, v91, 0
	v_fma_mixlo_f16 v11, v79, v90, 0
	;; [unrolled: 1-line block ×5, first 2 shown]
	v_lshlrev_b32_e32 v89, 16, v2
	v_fma_mixlo_f16 v90, v79, v92, 0
	v_and_b32_e32 v91, 0xffff, v11
	v_lshlrev_b32_e32 v92, 16, v12
	v_and_b32_e32 v93, 0xffff, v14
	v_cndmask_b32_e32 v14, 0, v14, vcc_lo
	v_cndmask_b32_e64 v12, 0, v12, s0
	v_cndmask_b32_e64 v11, 0, v11, s2
	v_cndmask_b32_e64 v2, 0, v2, s4
	v_fma_mixlo_f16 v94, v79, v94, 0
	v_fma_mixlo_f16 v13, v79, v13, 0
	v_perm_b32 v12, v12, v14, 0x5040100
	v_mov_b32_e32 v14, 0
	v_or_b32_e32 v79, v89, v91
	v_perm_b32 v2, v2, v11, 0x5040100
	v_lshlrev_b32_e32 v95, 16, v88
	v_and_b32_e32 v104, 0xffff, v90
	v_cndmask_b32_e64 v90, 0, v90, s6
	v_cndmask_b32_e64 v88, 0, v88, s7
	;; [unrolled: 1-line block ×3, first 2 shown]
	v_mov_b32_e32 v79, 0
	v_or_b32_e32 v89, v92, v93
	v_lshlrev_b32_e32 v92, 16, v94
	v_and_b32_e32 v93, 0xffff, v13
	v_cndmask_b32_e64 v13, 0, v13, s3
	v_cndmask_b32_e64 v94, 0, v94, s5
	v_or_b32_e32 v91, v95, v104
	v_perm_b32 v11, v88, v90, 0x5040100
	v_or_b32_e32 v92, v92, v93
	v_add_co_u32 v9, s8, v9, v65
	v_perm_b32 v13, v94, v13, 0x5040100
	v_cndmask_b32_e64 v12, v89, v12, s1
	v_add_co_ci_u32_e64 v10, s8, 0, v10, s8
	v_cndmask_b32_e64 v11, v91, v11, s1
	s_delay_alu instid0(VALU_DEP_4)
	v_cndmask_b32_e64 v13, v92, v13, s1
	;;#ASMSTART
	v_pk_mul_f16 v12, v146, v12;

	;;#ASMEND
	;;#ASMSTART
	v_pk_mul_f16 v2, v145, v2;

	;;#ASMEND
	;;#ASMSTART
	v_pk_mul_f16 v11, v144, v11;

	;;#ASMEND
	;;#ASMSTART
	v_pk_mul_f16 v13, v149, v13;

	;;#ASMEND
	;;#ASMSTART
	v_pk_add_f16 v2, v12, v2;

	;;#ASMEND
	;;#ASMSTART
	v_pk_add_f16 v2, v2, v11;

	;;#ASMEND
	;;#ASMSTART
	v_pk_add_f16 v2, v2, v13;

	;;#ASMEND
	v_lshrrev_b32_e32 v11, 16, v2
	v_and_b32_e32 v2, 0xffff, v2
	;;#ASMSTART
	v_cvt_f32_f16 v88, v2;
	;;#ASMEND
	;;#ASMSTART
	v_cvt_f32_f16 v89, v11;
	;;#ASMEND
	flat_load_b64 v[9:10], v[9:10]
	flat_load_b32 v13, v[26:27]
	s_mov_b32 s21, exec_lo
	s_waitcnt vmcnt(1) lgkmcnt(1)
	v_and_b32_e32 v2, 0xff, v9
	s_delay_alu instid0(VALU_DEP_1)
	v_cmpx_ne_u16_e32 0, v2
	s_cbranch_execz .LBB356_4082
; %bb.4075:                             ;   in Loop: Header=BB356_2089 Depth=1
	v_bfrev_b32_e32 v14, 1
	s_mov_b32 s22, exec_lo
	v_cmpx_ne_u16_e32 0x80, v2
	s_cbranch_execz .LBB356_4081
; %bb.4076:                             ;   in Loop: Header=BB356_2089 Depth=1
	v_and_b32_e32 v11, 0x7f, v9
	v_mov_b32_e32 v14, 0x7fc02000
	s_mov_b32 s23, exec_lo
	s_delay_alu instid0(VALU_DEP_2)
	v_cmpx_ne_u32_e32 0x7f, v11
	s_cbranch_execz .LBB356_4080
; %bb.4077:                             ;   in Loop: Header=BB356_2089 Depth=1
	v_lshrrev_b32_e32 v2, 3, v11
	v_cmp_gt_u32_e64 s8, 8, v11
	v_dual_mov_b32 v12, v10 :: v_dual_mov_b32 v11, v9
	s_delay_alu instid0(VALU_DEP_2)
	s_and_saveexec_b32 s24, s8
; %bb.4078:                             ;   in Loop: Header=BB356_2089 Depth=1
	v_and_b32_e32 v2, 7, v9
	s_delay_alu instid0(VALU_DEP_1) | instskip(NEXT) | instid1(VALU_DEP_1)
	v_clz_i32_u32_e32 v2, v2
	v_min_u32_e32 v2, 32, v2
	s_delay_alu instid0(VALU_DEP_1) | instskip(SKIP_1) | instid1(VALU_DEP_2)
	v_subrev_nc_u32_e32 v11, 28, v2
	v_sub_nc_u32_e32 v2, 29, v2
	v_lshlrev_b64 v[11:12], v11, v[9:10]
; %bb.4079:                             ;   in Loop: Header=BB356_2089 Depth=1
	s_or_b32 exec_lo, exec_lo, s24
	v_lshlrev_b32_e32 v12, 8, v9
	s_delay_alu instid0(VALU_DEP_3) | instskip(NEXT) | instid1(VALU_DEP_3)
	v_lshl_add_u32 v2, v2, 10, 0x2000
	v_lshlrev_b32_e32 v11, 7, v11
	s_delay_alu instid0(VALU_DEP_2) | instskip(NEXT) | instid1(VALU_DEP_1)
	v_and_or_b32 v2, 0x8000, v12, v2
	v_and_or_b32 v2, 0x380, v11, v2
	s_delay_alu instid0(VALU_DEP_1)
	v_cvt_f32_f16_e32 v14, v2
.LBB356_4080:                           ;   in Loop: Header=BB356_2089 Depth=1
	s_or_b32 exec_lo, exec_lo, s23
.LBB356_4081:                           ;   in Loop: Header=BB356_2089 Depth=1
	s_delay_alu instid0(SALU_CYCLE_1)
	s_or_b32 exec_lo, exec_lo, s22
.LBB356_4082:                           ;   in Loop: Header=BB356_2089 Depth=1
	s_delay_alu instid0(SALU_CYCLE_1) | instskip(SKIP_2) | instid1(VALU_DEP_1)
	s_or_b32 exec_lo, exec_lo, s21
	v_lshrrev_b16 v2, 8, v9
	s_mov_b32 s21, exec_lo
	v_cmpx_ne_u16_e32 0, v2
	s_cbranch_execz .LBB356_4090
; %bb.4083:                             ;   in Loop: Header=BB356_2089 Depth=1
	v_bfrev_b32_e32 v79, 1
	s_mov_b32 s22, exec_lo
	v_cmpx_ne_u16_e32 0x80, v2
	s_cbranch_execz .LBB356_4089
; %bb.4084:                             ;   in Loop: Header=BB356_2089 Depth=1
	v_and_b32_e32 v90, 0xffff, v2
	v_mov_b32_e32 v79, 0x7fc02000
	s_mov_b32 s23, exec_lo
	s_delay_alu instid0(VALU_DEP_2) | instskip(NEXT) | instid1(VALU_DEP_1)
	v_and_b32_e32 v91, 0x7f, v90
	v_cmpx_ne_u32_e32 0x7f, v91
	s_cbranch_execz .LBB356_4088
; %bb.4085:                             ;   in Loop: Header=BB356_2089 Depth=1
	v_and_b32_e32 v2, 7, v90
	v_lshrrev_b32_e32 v79, 3, v91
	v_mov_b32_e32 v12, v3
	s_mov_b32 s24, exec_lo
	s_delay_alu instid0(VALU_DEP_3)
	v_mov_b32_e32 v11, v2
	v_cmpx_gt_u32_e32 8, v91
; %bb.4086:                             ;   in Loop: Header=BB356_2089 Depth=1
	v_clz_i32_u32_e32 v11, v2
	s_delay_alu instid0(VALU_DEP_1) | instskip(NEXT) | instid1(VALU_DEP_1)
	v_min_u32_e32 v79, 32, v11
	v_subrev_nc_u32_e32 v11, 28, v79
	v_sub_nc_u32_e32 v79, 29, v79
	s_delay_alu instid0(VALU_DEP_2) | instskip(NEXT) | instid1(VALU_DEP_1)
	v_lshlrev_b64 v[11:12], v11, v[2:3]
	v_and_b32_e32 v11, 7, v11
; %bb.4087:                             ;   in Loop: Header=BB356_2089 Depth=1
	s_or_b32 exec_lo, exec_lo, s24
	v_lshlrev_b32_e32 v2, 8, v90
	v_lshl_add_u32 v12, v79, 10, 0x2000
	s_delay_alu instid0(VALU_DEP_1) | instskip(NEXT) | instid1(VALU_DEP_1)
	v_and_or_b32 v2, 0x8000, v2, v12
	v_lshl_or_b32 v2, v11, 7, v2
	s_delay_alu instid0(VALU_DEP_1)
	v_cvt_f32_f16_e32 v79, v2
.LBB356_4088:                           ;   in Loop: Header=BB356_2089 Depth=1
	s_or_b32 exec_lo, exec_lo, s23
.LBB356_4089:                           ;   in Loop: Header=BB356_2089 Depth=1
	s_delay_alu instid0(SALU_CYCLE_1)
	s_or_b32 exec_lo, exec_lo, s22
.LBB356_4090:                           ;   in Loop: Header=BB356_2089 Depth=1
	s_delay_alu instid0(SALU_CYCLE_1) | instskip(SKIP_3) | instid1(VALU_DEP_2)
	s_or_b32 exec_lo, exec_lo, s21
	v_lshrrev_b32_e32 v92, 16, v9
	v_mov_b32_e32 v90, 0
	s_mov_b32 s21, exec_lo
	v_dual_mov_b32 v91, 0 :: v_dual_and_b32 v2, 0xff, v92
	s_delay_alu instid0(VALU_DEP_1)
	v_cmpx_ne_u16_e32 0, v2
	s_cbranch_execz .LBB356_4098
; %bb.4091:                             ;   in Loop: Header=BB356_2089 Depth=1
	v_bfrev_b32_e32 v90, 1
	s_mov_b32 s22, exec_lo
	v_cmpx_ne_u16_e32 0x80, v2
	s_cbranch_execz .LBB356_4097
; %bb.4092:                             ;   in Loop: Header=BB356_2089 Depth=1
	v_bfe_u32 v93, v9, 16, 7
	v_mov_b32_e32 v90, 0x7fc02000
	s_mov_b32 s23, exec_lo
	s_delay_alu instid0(VALU_DEP_2)
	v_cmpx_ne_u32_e32 0x7f, v93
	s_cbranch_execz .LBB356_4096
; %bb.4093:                             ;   in Loop: Header=BB356_2089 Depth=1
	v_and_b32_e32 v2, 7, v92
	v_lshrrev_b32_e32 v90, 3, v93
	v_mov_b32_e32 v12, v3
	s_mov_b32 s24, exec_lo
	s_delay_alu instid0(VALU_DEP_3)
	v_mov_b32_e32 v11, v2
	v_cmpx_gt_u32_e32 8, v93
; %bb.4094:                             ;   in Loop: Header=BB356_2089 Depth=1
	v_clz_i32_u32_e32 v11, v2
	s_delay_alu instid0(VALU_DEP_1) | instskip(NEXT) | instid1(VALU_DEP_1)
	v_min_u32_e32 v90, 32, v11
	v_subrev_nc_u32_e32 v11, 28, v90
	v_sub_nc_u32_e32 v90, 29, v90
	s_delay_alu instid0(VALU_DEP_2) | instskip(NEXT) | instid1(VALU_DEP_1)
	v_lshlrev_b64 v[11:12], v11, v[2:3]
	v_and_b32_e32 v11, 7, v11
; %bb.4095:                             ;   in Loop: Header=BB356_2089 Depth=1
	s_or_b32 exec_lo, exec_lo, s24
	v_lshlrev_b32_e32 v2, 8, v92
	v_lshl_add_u32 v12, v90, 10, 0x2000
	s_delay_alu instid0(VALU_DEP_1) | instskip(NEXT) | instid1(VALU_DEP_1)
	v_and_or_b32 v2, 0x8000, v2, v12
	v_lshl_or_b32 v2, v11, 7, v2
	s_delay_alu instid0(VALU_DEP_1)
	v_cvt_f32_f16_e32 v90, v2
.LBB356_4096:                           ;   in Loop: Header=BB356_2089 Depth=1
	s_or_b32 exec_lo, exec_lo, s23
.LBB356_4097:                           ;   in Loop: Header=BB356_2089 Depth=1
	s_delay_alu instid0(SALU_CYCLE_1)
	s_or_b32 exec_lo, exec_lo, s22
.LBB356_4098:                           ;   in Loop: Header=BB356_2089 Depth=1
	s_delay_alu instid0(SALU_CYCLE_1) | instskip(NEXT) | instid1(SALU_CYCLE_1)
	s_or_b32 exec_lo, exec_lo, s21
	s_mov_b32 s21, exec_lo
	v_cmpx_lt_u32_e32 0xffffff, v9
	s_cbranch_execz .LBB356_4106
; %bb.4099:                             ;   in Loop: Header=BB356_2089 Depth=1
	v_lshrrev_b32_e32 v92, 24, v9
	v_bfrev_b32_e32 v91, 1
	s_mov_b32 s22, exec_lo
	s_delay_alu instid0(VALU_DEP_2)
	v_cmpx_ne_u32_e32 0x80, v92
	s_cbranch_execz .LBB356_4105
; %bb.4100:                             ;   in Loop: Header=BB356_2089 Depth=1
	v_and_b32_e32 v93, 0x7f, v92
	v_mov_b32_e32 v91, 0x7fc02000
	s_mov_b32 s23, exec_lo
	s_delay_alu instid0(VALU_DEP_2)
	v_cmpx_ne_u32_e32 0x7f, v93
	s_cbranch_execz .LBB356_4104
; %bb.4101:                             ;   in Loop: Header=BB356_2089 Depth=1
	v_and_b32_e32 v2, 7, v92
	v_lshrrev_b32_e32 v91, 3, v93
	v_mov_b32_e32 v12, v3
	s_mov_b32 s24, exec_lo
	s_delay_alu instid0(VALU_DEP_3)
	v_mov_b32_e32 v11, v2
	v_cmpx_gt_u32_e32 8, v93
; %bb.4102:                             ;   in Loop: Header=BB356_2089 Depth=1
	v_clz_i32_u32_e32 v11, v2
	s_delay_alu instid0(VALU_DEP_1) | instskip(NEXT) | instid1(VALU_DEP_1)
	v_min_u32_e32 v91, 32, v11
	v_subrev_nc_u32_e32 v11, 28, v91
	v_sub_nc_u32_e32 v91, 29, v91
	s_delay_alu instid0(VALU_DEP_2) | instskip(NEXT) | instid1(VALU_DEP_1)
	v_lshlrev_b64 v[11:12], v11, v[2:3]
	v_and_b32_e32 v11, 7, v11
; %bb.4103:                             ;   in Loop: Header=BB356_2089 Depth=1
	s_or_b32 exec_lo, exec_lo, s24
	v_lshlrev_b32_e32 v2, 8, v92
	v_lshl_add_u32 v12, v91, 10, 0x2000
	s_delay_alu instid0(VALU_DEP_1) | instskip(NEXT) | instid1(VALU_DEP_1)
	v_and_or_b32 v2, 0x8000, v2, v12
	v_lshl_or_b32 v2, v11, 7, v2
	s_delay_alu instid0(VALU_DEP_1)
	v_cvt_f32_f16_e32 v91, v2
.LBB356_4104:                           ;   in Loop: Header=BB356_2089 Depth=1
	s_or_b32 exec_lo, exec_lo, s23
.LBB356_4105:                           ;   in Loop: Header=BB356_2089 Depth=1
	s_delay_alu instid0(SALU_CYCLE_1)
	s_or_b32 exec_lo, exec_lo, s22
.LBB356_4106:                           ;   in Loop: Header=BB356_2089 Depth=1
	s_delay_alu instid0(SALU_CYCLE_1) | instskip(SKIP_3) | instid1(VALU_DEP_2)
	s_or_b32 exec_lo, exec_lo, s21
	v_dual_mov_b32 v2, v10 :: v_dual_and_b32 v11, 0xff, v10
	v_dual_mov_b32 v93, 0 :: v_dual_mov_b32 v92, 0
	s_mov_b32 s21, exec_lo
	v_cmpx_ne_u16_e32 0, v11
	s_cbranch_execz .LBB356_4114
; %bb.4107:                             ;   in Loop: Header=BB356_2089 Depth=1
	v_bfrev_b32_e32 v92, 1
	s_mov_b32 s22, exec_lo
	v_cmpx_ne_u16_e32 0x80, v11
	s_cbranch_execz .LBB356_4113
; %bb.4108:                             ;   in Loop: Header=BB356_2089 Depth=1
	v_and_b32_e32 v94, 0x7f, v10
	v_mov_b32_e32 v92, 0x7fc02000
	s_mov_b32 s23, exec_lo
	s_delay_alu instid0(VALU_DEP_2)
	v_cmpx_ne_u32_e32 0x7f, v94
	s_cbranch_execz .LBB356_4112
; %bb.4109:                             ;   in Loop: Header=BB356_2089 Depth=1
	v_dual_mov_b32 v12, v3 :: v_dual_mov_b32 v11, v2
	v_lshrrev_b32_e32 v12, 3, v94
	s_mov_b32 s24, exec_lo
	v_cmpx_gt_u32_e32 8, v94
; %bb.4110:                             ;   in Loop: Header=BB356_2089 Depth=1
	v_and_b32_e32 v11, 7, v10
	s_delay_alu instid0(VALU_DEP_1) | instskip(NEXT) | instid1(VALU_DEP_1)
	v_clz_i32_u32_e32 v11, v11
	v_min_u32_e32 v92, 32, v11
	s_delay_alu instid0(VALU_DEP_1) | instskip(NEXT) | instid1(VALU_DEP_1)
	v_subrev_nc_u32_e32 v11, 28, v92
	v_lshlrev_b64 v[11:12], v11, v[2:3]
	v_sub_nc_u32_e32 v12, 29, v92
; %bb.4111:                             ;   in Loop: Header=BB356_2089 Depth=1
	s_or_b32 exec_lo, exec_lo, s24
	v_lshlrev_b32_e32 v92, 8, v10
	s_delay_alu instid0(VALU_DEP_2) | instskip(NEXT) | instid1(VALU_DEP_4)
	v_lshl_add_u32 v12, v12, 10, 0x2000
	v_lshlrev_b32_e32 v11, 7, v11
	s_delay_alu instid0(VALU_DEP_2) | instskip(NEXT) | instid1(VALU_DEP_1)
	v_and_or_b32 v12, 0x8000, v92, v12
	v_and_or_b32 v11, 0x380, v11, v12
	s_delay_alu instid0(VALU_DEP_1)
	v_cvt_f32_f16_e32 v92, v11
.LBB356_4112:                           ;   in Loop: Header=BB356_2089 Depth=1
	s_or_b32 exec_lo, exec_lo, s23
.LBB356_4113:                           ;   in Loop: Header=BB356_2089 Depth=1
	s_delay_alu instid0(SALU_CYCLE_1)
	s_or_b32 exec_lo, exec_lo, s22
.LBB356_4114:                           ;   in Loop: Header=BB356_2089 Depth=1
	s_delay_alu instid0(SALU_CYCLE_1) | instskip(SKIP_2) | instid1(VALU_DEP_1)
	s_or_b32 exec_lo, exec_lo, s21
	v_lshrrev_b16 v2, 8, v2
	s_mov_b32 s21, exec_lo
	v_cmpx_ne_u16_e32 0, v2
	s_cbranch_execz .LBB356_4122
; %bb.4115:                             ;   in Loop: Header=BB356_2089 Depth=1
	v_bfrev_b32_e32 v93, 1
	s_mov_b32 s22, exec_lo
	v_cmpx_ne_u16_e32 0x80, v2
	s_cbranch_execz .LBB356_4121
; %bb.4116:                             ;   in Loop: Header=BB356_2089 Depth=1
	v_and_b32_e32 v94, 0xffff, v2
	v_mov_b32_e32 v93, 0x7fc02000
	s_mov_b32 s23, exec_lo
	s_delay_alu instid0(VALU_DEP_2) | instskip(NEXT) | instid1(VALU_DEP_1)
	v_and_b32_e32 v95, 0x7f, v94
	v_cmpx_ne_u32_e32 0x7f, v95
	s_cbranch_execz .LBB356_4120
; %bb.4117:                             ;   in Loop: Header=BB356_2089 Depth=1
	v_and_b32_e32 v2, 7, v94
	v_lshrrev_b32_e32 v93, 3, v95
	v_mov_b32_e32 v12, v3
	s_mov_b32 s24, exec_lo
	s_delay_alu instid0(VALU_DEP_3)
	v_mov_b32_e32 v11, v2
	v_cmpx_gt_u32_e32 8, v95
; %bb.4118:                             ;   in Loop: Header=BB356_2089 Depth=1
	v_clz_i32_u32_e32 v11, v2
	s_delay_alu instid0(VALU_DEP_1) | instskip(NEXT) | instid1(VALU_DEP_1)
	v_min_u32_e32 v93, 32, v11
	v_subrev_nc_u32_e32 v11, 28, v93
	v_sub_nc_u32_e32 v93, 29, v93
	s_delay_alu instid0(VALU_DEP_2) | instskip(NEXT) | instid1(VALU_DEP_1)
	v_lshlrev_b64 v[11:12], v11, v[2:3]
	v_and_b32_e32 v11, 7, v11
; %bb.4119:                             ;   in Loop: Header=BB356_2089 Depth=1
	s_or_b32 exec_lo, exec_lo, s24
	v_lshlrev_b32_e32 v2, 8, v94
	v_lshl_add_u32 v12, v93, 10, 0x2000
	s_delay_alu instid0(VALU_DEP_1) | instskip(NEXT) | instid1(VALU_DEP_1)
	v_and_or_b32 v2, 0x8000, v2, v12
	v_lshl_or_b32 v2, v11, 7, v2
	s_delay_alu instid0(VALU_DEP_1)
	v_cvt_f32_f16_e32 v93, v2
.LBB356_4120:                           ;   in Loop: Header=BB356_2089 Depth=1
	s_or_b32 exec_lo, exec_lo, s23
.LBB356_4121:                           ;   in Loop: Header=BB356_2089 Depth=1
	s_delay_alu instid0(SALU_CYCLE_1)
	s_or_b32 exec_lo, exec_lo, s22
.LBB356_4122:                           ;   in Loop: Header=BB356_2089 Depth=1
	s_delay_alu instid0(SALU_CYCLE_1) | instskip(SKIP_3) | instid1(VALU_DEP_2)
	s_or_b32 exec_lo, exec_lo, s21
	v_lshrrev_b32_e32 v95, 16, v10
	v_mov_b32_e32 v94, 0
	s_mov_b32 s21, exec_lo
	v_dual_mov_b32 v11, 0 :: v_dual_and_b32 v2, 0xff, v95
	s_delay_alu instid0(VALU_DEP_1)
	v_cmpx_ne_u16_e32 0, v2
	s_cbranch_execz .LBB356_4130
; %bb.4123:                             ;   in Loop: Header=BB356_2089 Depth=1
	v_bfrev_b32_e32 v11, 1
	s_mov_b32 s22, exec_lo
	v_cmpx_ne_u16_e32 0x80, v2
	s_cbranch_execz .LBB356_4129
; %bb.4124:                             ;   in Loop: Header=BB356_2089 Depth=1
	v_bfe_u32 v105, v10, 16, 7
	v_mov_b32_e32 v11, 0x7fc02000
	s_mov_b32 s23, exec_lo
	s_delay_alu instid0(VALU_DEP_2)
	v_cmpx_ne_u32_e32 0x7f, v105
	s_cbranch_execz .LBB356_4128
; %bb.4125:                             ;   in Loop: Header=BB356_2089 Depth=1
	v_and_b32_e32 v2, 7, v95
	v_lshrrev_b32_e32 v104, 3, v105
	v_mov_b32_e32 v12, v3
	s_mov_b32 s24, exec_lo
	s_delay_alu instid0(VALU_DEP_3)
	v_mov_b32_e32 v11, v2
	v_cmpx_gt_u32_e32 8, v105
; %bb.4126:                             ;   in Loop: Header=BB356_2089 Depth=1
	v_clz_i32_u32_e32 v11, v2
	s_delay_alu instid0(VALU_DEP_1) | instskip(NEXT) | instid1(VALU_DEP_1)
	v_min_u32_e32 v104, 32, v11
	v_subrev_nc_u32_e32 v11, 28, v104
	v_sub_nc_u32_e32 v104, 29, v104
	s_delay_alu instid0(VALU_DEP_2) | instskip(NEXT) | instid1(VALU_DEP_1)
	v_lshlrev_b64 v[11:12], v11, v[2:3]
	v_and_b32_e32 v11, 7, v11
; %bb.4127:                             ;   in Loop: Header=BB356_2089 Depth=1
	s_or_b32 exec_lo, exec_lo, s24
	v_lshlrev_b32_e32 v2, 8, v95
	v_lshl_add_u32 v12, v104, 10, 0x2000
	s_delay_alu instid0(VALU_DEP_1) | instskip(NEXT) | instid1(VALU_DEP_1)
	v_and_or_b32 v2, 0x8000, v2, v12
	v_lshl_or_b32 v2, v11, 7, v2
	s_delay_alu instid0(VALU_DEP_1)
	v_cvt_f32_f16_e32 v11, v2
.LBB356_4128:                           ;   in Loop: Header=BB356_2089 Depth=1
	s_or_b32 exec_lo, exec_lo, s23
.LBB356_4129:                           ;   in Loop: Header=BB356_2089 Depth=1
	s_delay_alu instid0(SALU_CYCLE_1)
	s_or_b32 exec_lo, exec_lo, s22
.LBB356_4130:                           ;   in Loop: Header=BB356_2089 Depth=1
	s_delay_alu instid0(SALU_CYCLE_1) | instskip(NEXT) | instid1(SALU_CYCLE_1)
	s_or_b32 exec_lo, exec_lo, s21
	s_mov_b32 s21, exec_lo
	v_cmpx_lt_u64_e64 s[18:19], v[9:10]
	s_cbranch_execz .LBB356_2087
; %bb.4131:                             ;   in Loop: Header=BB356_2089 Depth=1
	v_lshrrev_b32_e32 v12, 24, v10
	v_bfrev_b32_e32 v94, 1
	s_mov_b32 s22, exec_lo
	s_delay_alu instid0(VALU_DEP_2)
	v_cmpx_ne_u32_e32 0x80, v12
	s_cbranch_execz .LBB356_2086
; %bb.4132:                             ;   in Loop: Header=BB356_2089 Depth=1
	v_and_b32_e32 v95, 0x7f, v12
	v_mov_b32_e32 v94, 0x7fc02000
	s_mov_b32 s23, exec_lo
	s_delay_alu instid0(VALU_DEP_2)
	v_cmpx_ne_u32_e32 0x7f, v95
	s_cbranch_execz .LBB356_2085
; %bb.4133:                             ;   in Loop: Header=BB356_2089 Depth=1
	v_and_b32_e32 v2, 7, v12
	v_lshrrev_b32_e32 v94, 3, v95
	v_mov_b32_e32 v10, v3
	s_mov_b32 s24, exec_lo
	s_delay_alu instid0(VALU_DEP_3)
	v_mov_b32_e32 v9, v2
	v_cmpx_gt_u32_e32 8, v95
	s_cbranch_execz .LBB356_2084
; %bb.4134:                             ;   in Loop: Header=BB356_2089 Depth=1
	v_clz_i32_u32_e32 v9, v2
	s_delay_alu instid0(VALU_DEP_1) | instskip(NEXT) | instid1(VALU_DEP_1)
	v_min_u32_e32 v94, 32, v9
	v_subrev_nc_u32_e32 v9, 28, v94
	v_sub_nc_u32_e32 v94, 29, v94
	s_delay_alu instid0(VALU_DEP_2) | instskip(NEXT) | instid1(VALU_DEP_1)
	v_lshlrev_b64 v[9:10], v9, v[2:3]
	v_and_b32_e32 v9, 7, v9
	s_branch .LBB356_2084
.LBB356_4135:
	s_or_b32 exec_lo, exec_lo, s15
.LBB356_4136:
	s_delay_alu instid0(SALU_CYCLE_1)
	s_or_b32 exec_lo, exec_lo, s11
	ds_bpermute_b32 v0, v75, v100
	ds_bpermute_b32 v1, v75, v99
	ds_bpermute_b32 v2, v75, v98
	ds_bpermute_b32 v3, v75, v97
	ds_bpermute_b32 v7, v75, v96
	ds_bpermute_b32 v4, v75, v23
	ds_bpermute_b32 v5, v75, v24
	ds_bpermute_b32 v8, v75, v87
	ds_bpermute_b32 v9, v75, v86
	ds_bpermute_b32 v10, v75, v85
	ds_bpermute_b32 v11, v75, v83
	ds_bpermute_b32 v12, v75, v20
	ds_bpermute_b32 v13, v75, v82
	ds_bpermute_b32 v14, v75, v81
	ds_bpermute_b32 v15, v75, v80
	ds_bpermute_b32 v17, v75, v71
	ds_bpermute_b32 v18, v75, v70
	s_waitcnt lgkmcnt(0)
	s_waitcnt_vscnt null, 0x0
	s_barrier
	buffer_gl0_inv
	v_dual_add_f32 v0, v100, v0 :: v_dual_add_f32 v1, v99, v1
	v_dual_add_f32 v2, v98, v2 :: v_dual_add_f32 v3, v97, v3
	v_add_f32_e32 v19, v96, v7
	ds_bpermute_b32 v7, v16, v0
	ds_bpermute_b32 v22, v16, v1
	v_dual_add_f32 v4, v23, v4 :: v_dual_add_f32 v5, v24, v5
	ds_bpermute_b32 v25, v16, v3
	v_add_f32_e32 v23, v87, v8
	v_dual_add_f32 v9, v86, v9 :: v_dual_add_f32 v12, v20, v12
	v_add_f32_e32 v24, v85, v10
	ds_bpermute_b32 v26, v16, v4
	ds_bpermute_b32 v27, v16, v5
	;; [unrolled: 1-line block ×3, first 2 shown]
	v_dual_add_f32 v39, v83, v11 :: v_dual_add_f32 v48, v81, v14
	v_add_f32_e32 v20, v82, v13
	ds_bpermute_b32 v37, v16, v23
	ds_bpermute_b32 v10, v16, v2
	v_add_f32_e32 v49, v80, v15
	ds_bpermute_b32 v13, v16, v24
	ds_bpermute_b32 v14, v16, v39
	;; [unrolled: 1-line block ×3, first 2 shown]
	s_waitcnt lgkmcnt(9)
	v_dual_add_f32 v8, v1, v22 :: v_dual_add_f32 v11, v0, v7
	ds_bpermute_b32 v22, v16, v20
	s_waitcnt lgkmcnt(9)
	v_add_f32_e32 v7, v3, v25
	ds_bpermute_b32 v25, v75, v52
	ds_bpermute_b32 v30, v16, v19
	;; [unrolled: 1-line block ×4, first 2 shown]
	s_waitcnt lgkmcnt(11)
	v_dual_add_f32 v4, v4, v26 :: v_dual_add_f32 v3, v5, v27
	s_waitcnt lgkmcnt(10)
	v_add_f32_e32 v0, v9, v38
	ds_bpermute_b32 v26, v75, v66
	ds_bpermute_b32 v27, v75, v84
	v_dual_add_f32 v17, v71, v17 :: v_dual_add_f32 v18, v70, v18
	s_waitcnt lgkmcnt(11)
	v_add_f32_e32 v1, v23, v37
	ds_bpermute_b32 v23, v75, v68
	ds_bpermute_b32 v37, v75, v34
	;; [unrolled: 1-line block ×3, first 2 shown]
	s_waitcnt lgkmcnt(11)
	v_dual_add_f32 v15, v24, v13 :: v_dual_add_f32 v14, v39, v14
	s_waitcnt lgkmcnt(10)
	v_add_f32_e32 v13, v12, v50
	s_waitcnt lgkmcnt(9)
	v_add_f32_e32 v12, v20, v22
	ds_bpermute_b32 v22, v16, v18
	ds_bpermute_b32 v39, v75, v32
	s_waitcnt lgkmcnt(10)
	v_add_f32_e32 v25, v52, v25
	ds_bpermute_b32 v52, v75, v6
	v_add_f32_e32 v10, v2, v10
	s_waitcnt lgkmcnt(10)
	v_add_f32_e32 v2, v19, v30
	ds_bpermute_b32 v19, v75, v69
	s_waitcnt lgkmcnt(8)
	v_dual_add_f32 v9, v48, v51 :: v_dual_add_f32 v26, v66, v26
	v_add_f32_e32 v5, v49, v53
	ds_bpermute_b32 v24, v75, v36
	ds_bpermute_b32 v30, v75, v35
	s_waitcnt lgkmcnt(9)
	v_add_f32_e32 v48, v84, v27
	s_waitcnt lgkmcnt(8)
	v_add_f32_e32 v23, v68, v23
	ds_bpermute_b32 v27, v75, v31
	ds_bpermute_b32 v49, v75, v29
	;; [unrolled: 1-line block ×4, first 2 shown]
	s_waitcnt lgkmcnt(10)
	v_dual_add_f32 v34, v34, v37 :: v_dual_add_f32 v33, v33, v38
	ds_bpermute_b32 v20, v16, v17
	s_waitcnt lgkmcnt(9)
	v_add_f32_e32 v32, v32, v39
	ds_bpermute_b32 v64, v16, v26
	ds_bpermute_b32 v38, v16, v34
	;; [unrolled: 1-line block ×3, first 2 shown]
	s_waitcnt lgkmcnt(11)
	v_add_f32_e32 v6, v6, v52
	ds_bpermute_b32 v54, v16, v23
	s_waitcnt lgkmcnt(11)
	v_add_f32_e32 v19, v69, v19
	ds_bpermute_b32 v66, v16, v32
	s_load_b32 s0, s[12:13], 0x0
	s_waitcnt lgkmcnt(0)
	v_dual_add_f32 v24, v36, v24 :: v_dual_add_f32 v35, v35, v30
	ds_bpermute_b32 v53, v16, v19
	ds_bpermute_b32 v65, v16, v48
	v_add_f32_e32 v67, v31, v27
	v_dual_add_f32 v49, v29, v49 :: v_dual_add_f32 v50, v28, v50
	v_add_f32_e32 v51, v21, v51
	ds_bpermute_b32 v36, v16, v24
	ds_bpermute_b32 v37, v16, v35
	;; [unrolled: 1-line block ×4, first 2 shown]
	v_add_f32_e32 v26, v26, v64
	ds_bpermute_b32 v70, v16, v51
	ds_bpermute_b32 v71, v16, v6
	v_dual_add_f32 v31, v17, v20 :: v_dual_add_f32 v30, v18, v22
	v_add_f32_e32 v22, v34, v38
	ds_bpermute_b32 v55, v16, v25
	v_add_f32_e32 v28, v23, v54
	ds_bpermute_b32 v68, v16, v49
	s_clause 0x1
	scratch_load_b32 v16, off, s32 offset:1056
	scratch_load_b32 v34, off, s32 offset:1072
	v_add_f32_e32 v21, v33, v39
	scratch_load_b32 v33, off, s32 offset:1036 ; 4-byte Folded Reload
	s_waitcnt lgkmcnt(9)
	v_dual_add_f32 v29, v19, v53 :: v_dual_add_f32 v20, v32, v66
	s_mov_b32 s1, exec_lo
	s_waitcnt lgkmcnt(6)
	v_dual_add_f32 v24, v24, v36 :: v_dual_add_f32 v23, v35, v37
	s_waitcnt lgkmcnt(5)
	v_add_f32_e32 v19, v67, v52
	s_waitcnt lgkmcnt(4)
	v_add_f32_e32 v17, v50, v69
	;; [unrolled: 2-line block ×4, first 2 shown]
	s_waitcnt lgkmcnt(0)
	v_dual_add_f32 v25, v48, v65 :: v_dual_add_f32 v18, v49, v68
	s_waitcnt vmcnt(2)
	v_and_b32_e32 v32, 0x3c3, v16
	v_add_f32_e32 v16, v51, v70
	s_waitcnt vmcnt(1)
	v_lshl_add_u32 v34, v34, 10, s0
	s_waitcnt vmcnt(0)
	v_lshrrev_b32_e32 v33, 2, v33
	v_cmpx_eq_u32_e32 64, v32
	s_cbranch_execz .LBB356_4138
; %bb.4137:
	s_delay_alu instid0(VALU_DEP_2) | instskip(NEXT) | instid1(VALU_DEP_1)
	v_lshlrev_b32_e32 v35, 2, v33
	v_add3_u32 v35, v34, v35, 0xfffff800
	ds_store_2addr_b32 v35, v11, v8 offset1:8
	ds_store_2addr_b32 v35, v10, v7 offset0:16 offset1:24
	ds_store_2addr_b32 v35, v4, v3 offset0:32 offset1:40
	;; [unrolled: 1-line block ×15, first 2 shown]
.LBB356_4138:
	s_or_b32 exec_lo, exec_lo, s1
	v_cmp_eq_u32_e32 vcc_lo, 0, v32
	v_lshl_add_u32 v32, v33, 2, v34
	s_waitcnt lgkmcnt(0)
	s_barrier
	buffer_gl0_inv
	s_and_saveexec_b32 s1, vcc_lo
	s_cbranch_execz .LBB356_4140
; %bb.4139:
	ds_load_2addr_b32 v[34:35], v32 offset1:8
	ds_load_2addr_b32 v[36:37], v32 offset0:16 offset1:24
	ds_load_2addr_b32 v[38:39], v32 offset0:32 offset1:40
	;; [unrolled: 1-line block ×12, first 2 shown]
	s_waitcnt lgkmcnt(12)
	v_dual_add_f32 v11, v34, v11 :: v_dual_add_f32 v8, v35, v8
	s_waitcnt lgkmcnt(11)
	v_dual_add_f32 v10, v36, v10 :: v_dual_add_f32 v7, v37, v7
	;; [unrolled: 2-line block ×3, first 2 shown]
	ds_load_2addr_b32 v[34:35], v32 offset0:208 offset1:216
	ds_load_2addr_b32 v[36:37], v32 offset0:224 offset1:232
	;; [unrolled: 1-line block ×3, first 2 shown]
	s_waitcnt lgkmcnt(12)
	v_dual_add_f32 v2, v48, v2 :: v_dual_add_f32 v1, v49, v1
	s_waitcnt lgkmcnt(11)
	v_dual_add_f32 v0, v50, v0 :: v_dual_add_f32 v15, v51, v15
	;; [unrolled: 2-line block ×12, first 2 shown]
	v_dual_add_f32 v17, v37, v17 :: v_dual_add_f32 v6, v39, v6
.LBB356_4140:
	s_or_b32 exec_lo, exec_lo, s1
	scratch_load_b32 v34, off, s32 offset:1056 ; 4-byte Folded Reload
	s_mov_b32 s1, exec_lo
	s_waitcnt vmcnt(0)
	s_barrier
	buffer_gl0_inv
	v_and_b32_e32 v34, 0x3e3, v34
	s_delay_alu instid0(VALU_DEP_1)
	v_cmpx_eq_u32_e32 32, v34
	s_cbranch_execz .LBB356_4142
; %bb.4141:
	v_lshl_add_u32 v33, v33, 2, s0
	ds_store_2addr_b32 v33, v11, v8 offset1:8
	ds_store_2addr_b32 v33, v10, v7 offset0:16 offset1:24
	ds_store_2addr_b32 v33, v4, v3 offset0:32 offset1:40
	;; [unrolled: 1-line block ×15, first 2 shown]
.LBB356_4142:
	s_or_b32 exec_lo, exec_lo, s1
	v_cmp_eq_u32_e32 vcc_lo, 0, v34
	s_waitcnt lgkmcnt(0)
	s_barrier
	buffer_gl0_inv
	s_and_saveexec_b32 s0, vcc_lo
	s_cbranch_execz .LBB356_4144
; %bb.4143:
	ds_load_2addr_b32 v[33:34], v32 offset1:8
	ds_load_2addr_b32 v[35:36], v32 offset0:16 offset1:24
	ds_load_2addr_b32 v[37:38], v32 offset0:32 offset1:40
	;; [unrolled: 1-line block ×12, first 2 shown]
	s_waitcnt lgkmcnt(12)
	v_dual_add_f32 v11, v33, v11 :: v_dual_add_f32 v8, v34, v8
	s_waitcnt lgkmcnt(11)
	v_dual_add_f32 v10, v35, v10 :: v_dual_add_f32 v7, v36, v7
	;; [unrolled: 2-line block ×3, first 2 shown]
	ds_load_2addr_b32 v[33:34], v32 offset0:208 offset1:216
	ds_load_2addr_b32 v[35:36], v32 offset0:224 offset1:232
	;; [unrolled: 1-line block ×3, first 2 shown]
	s_waitcnt lgkmcnt(12)
	v_dual_add_f32 v2, v48, v2 :: v_dual_add_f32 v1, v49, v1
	s_waitcnt lgkmcnt(11)
	v_dual_add_f32 v0, v50, v0 :: v_dual_add_f32 v15, v51, v15
	;; [unrolled: 2-line block ×10, first 2 shown]
	v_dual_add_f32 v21, v83, v21 :: v_dual_add_f32 v20, v33, v20
	s_waitcnt lgkmcnt(0)
	v_dual_add_f32 v19, v34, v19 :: v_dual_add_f32 v16, v37, v16
	v_dual_add_f32 v17, v36, v17 :: v_dual_add_f32 v6, v38, v6
.LBB356_4144:
	s_or_b32 exec_lo, exec_lo, s0
	s_barrier
	buffer_gl0_inv
	s_and_b32 exec_lo, exec_lo, vcc_lo
	s_cbranch_execz .LBB356_4146
; %bb.4145:
	s_clause 0x2
	scratch_load_b32 v32, off, s32 offset:1056
	scratch_load_b32 v34, off, s32 offset:1076
	;; [unrolled: 1-line block ×3, first 2 shown]
	s_mul_i32 s2, s10, s9
	s_lshl_b32 s4, s14, 8
	s_lshl_b32 s0, s16, 8
	s_ashr_i32 s3, s2, 31
	s_ashr_i32 s5, s4, 31
	;; [unrolled: 1-line block ×3, first 2 shown]
	s_lshl_b64 s[2:3], s[2:3], 1
	s_lshl_b64 s[4:5], s[4:5], 1
	;; [unrolled: 1-line block ×3, first 2 shown]
	s_add_u32 s2, s4, s2
	s_addc_u32 s3, s5, s3
	s_add_u32 s0, s2, s0
	s_addc_u32 s1, s3, s1
	;;#ASMSTART
	v_cvt_f16_f32 v11, v11;

	;;#ASMEND
	s_waitcnt vmcnt(2)
	v_lshrrev_b32_e32 v32, 1, v32
	s_waitcnt vmcnt(0)
	v_add_co_u32 v33, vcc_lo, s0, v33
	v_add_co_ci_u32_e32 v34, vcc_lo, s1, v34, vcc_lo
	s_delay_alu instid0(VALU_DEP_2) | instskip(NEXT) | instid1(VALU_DEP_2)
	v_add_co_u32 v32, vcc_lo, v33, v32
	v_add_co_ci_u32_e32 v33, vcc_lo, 0, v34, vcc_lo
	flat_store_b16 v[32:33], v11
	;;#ASMSTART
	v_cvt_f16_f32 v8, v8;

	;;#ASMEND
	flat_store_b16 v[32:33], v8 offset:16
	;;#ASMSTART
	v_cvt_f16_f32 v8, v10;

	;;#ASMEND
	flat_store_b16 v[32:33], v8 offset:32
	;; [unrolled: 5-line block ×31, first 2 shown]
.LBB356_4146:
	s_or_b32 exec_lo, exec_lo, s20
	s_clause 0x1f
	scratch_load_b32 v191, off, s32 offset:8
	scratch_load_b32 v190, off, s32 offset:12
	;; [unrolled: 1-line block ×32, first 2 shown]
	s_clause 0x1f
	scratch_load_b32 v127, off, s32 offset:136
	scratch_load_b32 v126, off, s32 offset:140
	;; [unrolled: 1-line block ×32, first 2 shown]
	s_clause 0xf
	scratch_load_b32 v63, off, s32 offset:264
	scratch_load_b32 v62, off, s32 offset:268
	;; [unrolled: 1-line block ×16, first 2 shown]
	s_waitcnt vmcnt(0) lgkmcnt(0)
	s_setpc_b64 s[30:31]
.Lfunc_end356:
	.size	_ZN4vllm22paged_attention_kernelIthLi256ELi32ELi128ELNS_18Fp8KVCacheDataTypeE1ELb1ELi512EEEvPfS2_PT_PKS3_PKT0_S9_ifPKiSB_iPKfiiiSD_SD_iiiii, .Lfunc_end356-_ZN4vllm22paged_attention_kernelIthLi256ELi32ELi128ELNS_18Fp8KVCacheDataTypeE1ELb1ELi512EEEvPfS2_PT_PKS3_PKT0_S9_ifPKiSB_iPKfiiiSD_SD_iiiii
                                        ; -- End function
	.section	.AMDGPU.csdata,"",@progbits
; Function info:
; codeLenInByte = 163960
; NumSgprs: 35
; NumVgprs: 192
; ScratchSize: 1156
; MemoryBound: 0
	.section	.text._ZN4vllm25paged_attention_v2_kernelIthLi256ELi32ELi128ELNS_18Fp8KVCacheDataTypeE1ELb1ELi512EEEvPfS2_PT_PKS3_PKT0_S9_ifPKiSB_iPKfiiiSD_SD_iiiii,"axG",@progbits,_ZN4vllm25paged_attention_v2_kernelIthLi256ELi32ELi128ELNS_18Fp8KVCacheDataTypeE1ELb1ELi512EEEvPfS2_PT_PKS3_PKT0_S9_ifPKiSB_iPKfiiiSD_SD_iiiii,comdat
	.protected	_ZN4vllm25paged_attention_v2_kernelIthLi256ELi32ELi128ELNS_18Fp8KVCacheDataTypeE1ELb1ELi512EEEvPfS2_PT_PKS3_PKT0_S9_ifPKiSB_iPKfiiiSD_SD_iiiii ; -- Begin function _ZN4vllm25paged_attention_v2_kernelIthLi256ELi32ELi128ELNS_18Fp8KVCacheDataTypeE1ELb1ELi512EEEvPfS2_PT_PKS3_PKT0_S9_ifPKiSB_iPKfiiiSD_SD_iiiii
	.globl	_ZN4vllm25paged_attention_v2_kernelIthLi256ELi32ELi128ELNS_18Fp8KVCacheDataTypeE1ELb1ELi512EEEvPfS2_PT_PKS3_PKT0_S9_ifPKiSB_iPKfiiiSD_SD_iiiii
	.p2align	8
	.type	_ZN4vllm25paged_attention_v2_kernelIthLi256ELi32ELi128ELNS_18Fp8KVCacheDataTypeE1ELb1ELi512EEEvPfS2_PT_PKS3_PKT0_S9_ifPKiSB_iPKfiiiSD_SD_iiiii,@function
_ZN4vllm25paged_attention_v2_kernelIthLi256ELi32ELi128ELNS_18Fp8KVCacheDataTypeE1ELb1ELi512EEEvPfS2_PT_PKS3_PKT0_S9_ifPKiSB_iPKfiiiSD_SD_iiiii: ; @_ZN4vllm25paged_attention_v2_kernelIthLi256ELi32ELi128ELNS_18Fp8KVCacheDataTypeE1ELb1ELi512EEEvPfS2_PT_PKS3_PKT0_S9_ifPKiSB_iPKfiiiSD_SD_iiiii
; %bb.0:
	s_mov_b32 s12, s13
	s_clause 0x7
	s_load_b128 s[4:7], s[0:1], 0x78
	s_load_b32 s8, s[0:1], 0x88
	s_load_b256 s[24:31], s[0:1], 0x0
	s_load_b256 s[36:43], s[0:1], 0x20
	s_load_b64 s[2:3], s[0:1], 0x40
	s_load_b64 s[10:11], s[0:1], 0x50
	s_load_b32 s13, s[0:1], 0x48
	s_load_b256 s[16:23], s[0:1], 0x58
	s_mov_b32 s32, 0
	v_mov_b32_e32 v31, v0
	s_waitcnt lgkmcnt(0)
	v_dual_mov_b32 v1, s7 :: v_dual_mov_b32 v2, s8
	v_dual_mov_b32 v0, s24 :: v_dual_mov_b32 v3, s27
	;; [unrolled: 1-line block ×3, first 2 shown]
	v_mov_b32_e32 v6, s30
	scratch_store_b64 off, v[1:2], s32
	v_dual_mov_b32 v1, s25 :: v_dual_mov_b32 v2, s26
	v_dual_mov_b32 v7, s31 :: v_dual_mov_b32 v8, s36
	;; [unrolled: 1-line block ×13, first 2 shown]
	s_add_u32 s8, s0, 0x90
	s_addc_u32 s9, s1, 0
	s_mov_b32 s13, s14
	s_mov_b32 s14, s15
	s_movk_i32 s15, 0x68
	s_getpc_b64 s[0:1]
	s_add_u32 s0, s0, _ZN4vllm22paged_attention_kernelIthLi256ELi32ELi128ELNS_18Fp8KVCacheDataTypeE1ELb1ELi512EEEvPfS2_PT_PKS3_PKT0_S9_ifPKiSB_iPKfiiiSD_SD_iiiii@rel32@lo+4
	s_addc_u32 s1, s1, _ZN4vllm22paged_attention_kernelIthLi256ELi32ELi128ELNS_18Fp8KVCacheDataTypeE1ELb1ELi512EEEvPfS2_PT_PKS3_PKT0_S9_ifPKiSB_iPKfiiiSD_SD_iiiii@rel32@hi+12
	s_delay_alu instid0(SALU_CYCLE_1)
	s_swappc_b64 s[30:31], s[0:1]
	s_endpgm
	.section	.rodata,"a",@progbits
	.p2align	6, 0x0
	.amdhsa_kernel _ZN4vllm25paged_attention_v2_kernelIthLi256ELi32ELi128ELNS_18Fp8KVCacheDataTypeE1ELb1ELi512EEEvPfS2_PT_PKS3_PKT0_S9_ifPKiSB_iPKfiiiSD_SD_iiiii
		.amdhsa_group_segment_fixed_size 544
		.amdhsa_private_segment_fixed_size 1156
		.amdhsa_kernarg_size 400
		.amdhsa_user_sgpr_count 13
		.amdhsa_user_sgpr_dispatch_ptr 0
		.amdhsa_user_sgpr_queue_ptr 0
		.amdhsa_user_sgpr_kernarg_segment_ptr 1
		.amdhsa_user_sgpr_dispatch_id 0
		.amdhsa_user_sgpr_private_segment_size 0
		.amdhsa_wavefront_size32 1
		.amdhsa_uses_dynamic_stack 0
		.amdhsa_enable_private_segment 1
		.amdhsa_system_sgpr_workgroup_id_x 1
		.amdhsa_system_sgpr_workgroup_id_y 1
		.amdhsa_system_sgpr_workgroup_id_z 1
		.amdhsa_system_sgpr_workgroup_info 0
		.amdhsa_system_vgpr_workitem_id 0
		.amdhsa_next_free_vgpr 192
		.amdhsa_next_free_sgpr 44
		.amdhsa_reserve_vcc 1
		.amdhsa_float_round_mode_32 0
		.amdhsa_float_round_mode_16_64 0
		.amdhsa_float_denorm_mode_32 3
		.amdhsa_float_denorm_mode_16_64 3
		.amdhsa_dx10_clamp 1
		.amdhsa_ieee_mode 1
		.amdhsa_fp16_overflow 0
		.amdhsa_workgroup_processor_mode 1
		.amdhsa_memory_ordered 1
		.amdhsa_forward_progress 0
		.amdhsa_shared_vgpr_count 0
		.amdhsa_exception_fp_ieee_invalid_op 0
		.amdhsa_exception_fp_denorm_src 0
		.amdhsa_exception_fp_ieee_div_zero 0
		.amdhsa_exception_fp_ieee_overflow 0
		.amdhsa_exception_fp_ieee_underflow 0
		.amdhsa_exception_fp_ieee_inexact 0
		.amdhsa_exception_int_div_zero 0
	.end_amdhsa_kernel
	.section	.text._ZN4vllm25paged_attention_v2_kernelIthLi256ELi32ELi128ELNS_18Fp8KVCacheDataTypeE1ELb1ELi512EEEvPfS2_PT_PKS3_PKT0_S9_ifPKiSB_iPKfiiiSD_SD_iiiii,"axG",@progbits,_ZN4vllm25paged_attention_v2_kernelIthLi256ELi32ELi128ELNS_18Fp8KVCacheDataTypeE1ELb1ELi512EEEvPfS2_PT_PKS3_PKT0_S9_ifPKiSB_iPKfiiiSD_SD_iiiii,comdat
.Lfunc_end357:
	.size	_ZN4vllm25paged_attention_v2_kernelIthLi256ELi32ELi128ELNS_18Fp8KVCacheDataTypeE1ELb1ELi512EEEvPfS2_PT_PKS3_PKT0_S9_ifPKiSB_iPKfiiiSD_SD_iiiii, .Lfunc_end357-_ZN4vllm25paged_attention_v2_kernelIthLi256ELi32ELi128ELNS_18Fp8KVCacheDataTypeE1ELb1ELi512EEEvPfS2_PT_PKS3_PKT0_S9_ifPKiSB_iPKfiiiSD_SD_iiiii
                                        ; -- End function
	.section	.AMDGPU.csdata,"",@progbits
; Kernel info:
; codeLenInByte = 280
; NumSgprs: 46
; NumVgprs: 192
; ScratchSize: 1156
; MemoryBound: 0
; FloatMode: 240
; IeeeMode: 1
; LDSByteSize: 544 bytes/workgroup (compile time only)
; SGPRBlocks: 5
; VGPRBlocks: 23
; NumSGPRsForWavesPerEU: 46
; NumVGPRsForWavesPerEU: 192
; Occupancy: 8
; WaveLimiterHint : 1
; COMPUTE_PGM_RSRC2:SCRATCH_EN: 1
; COMPUTE_PGM_RSRC2:USER_SGPR: 13
; COMPUTE_PGM_RSRC2:TRAP_HANDLER: 0
; COMPUTE_PGM_RSRC2:TGID_X_EN: 1
; COMPUTE_PGM_RSRC2:TGID_Y_EN: 1
; COMPUTE_PGM_RSRC2:TGID_Z_EN: 1
; COMPUTE_PGM_RSRC2:TIDIG_COMP_CNT: 0
	.section	.text._ZN4vllm25paged_attention_v2_kernelIthLi32ELi32ELi128ELNS_18Fp8KVCacheDataTypeE1ELb0ELi512EEEvPfS2_PT_PKS3_PKT0_S9_ifPKiSB_iPKfiiiSD_SD_iiiii,"axG",@progbits,_ZN4vllm25paged_attention_v2_kernelIthLi32ELi32ELi128ELNS_18Fp8KVCacheDataTypeE1ELb0ELi512EEEvPfS2_PT_PKS3_PKT0_S9_ifPKiSB_iPKfiiiSD_SD_iiiii,comdat
	.protected	_ZN4vllm25paged_attention_v2_kernelIthLi32ELi32ELi128ELNS_18Fp8KVCacheDataTypeE1ELb0ELi512EEEvPfS2_PT_PKS3_PKT0_S9_ifPKiSB_iPKfiiiSD_SD_iiiii ; -- Begin function _ZN4vllm25paged_attention_v2_kernelIthLi32ELi32ELi128ELNS_18Fp8KVCacheDataTypeE1ELb0ELi512EEEvPfS2_PT_PKS3_PKT0_S9_ifPKiSB_iPKfiiiSD_SD_iiiii
	.globl	_ZN4vllm25paged_attention_v2_kernelIthLi32ELi32ELi128ELNS_18Fp8KVCacheDataTypeE1ELb0ELi512EEEvPfS2_PT_PKS3_PKT0_S9_ifPKiSB_iPKfiiiSD_SD_iiiii
	.p2align	8
	.type	_ZN4vllm25paged_attention_v2_kernelIthLi32ELi32ELi128ELNS_18Fp8KVCacheDataTypeE1ELb0ELi512EEEvPfS2_PT_PKS3_PKT0_S9_ifPKiSB_iPKfiiiSD_SD_iiiii,@function
_ZN4vllm25paged_attention_v2_kernelIthLi32ELi32ELi128ELNS_18Fp8KVCacheDataTypeE1ELb0ELi512EEEvPfS2_PT_PKS3_PKT0_S9_ifPKiSB_iPKfiiiSD_SD_iiiii: ; @_ZN4vllm25paged_attention_v2_kernelIthLi32ELi32ELi128ELNS_18Fp8KVCacheDataTypeE1ELb0ELi512EEEvPfS2_PT_PKS3_PKT0_S9_ifPKiSB_iPKfiiiSD_SD_iiiii
; %bb.0:
	s_load_b64 s[2:3], s[0:1], 0x40
	s_mov_b32 s12, s15
	s_ashr_i32 s15, s14, 31
	s_delay_alu instid0(SALU_CYCLE_1)
	s_lshl_b64 s[4:5], s[14:15], 2
	s_waitcnt lgkmcnt(0)
	s_add_u32 s2, s2, s4
	s_addc_u32 s3, s3, s5
	s_lshl_b32 s33, s12, 9
	s_load_b32 s15, s[2:3], 0x0
	s_waitcnt lgkmcnt(0)
	s_cmp_ge_i32 s33, s15
	s_cbranch_scc1 .LBB358_538
; %bb.1:
	s_mov_b32 s24, s13
	s_clause 0x1
	s_load_b32 s13, s[0:1], 0x90
	s_load_b64 s[2:3], s[0:1], 0x30
	s_mov_b32 s36, 0
	s_waitcnt lgkmcnt(0)
	s_abs_i32 s7, s13
	s_abs_i32 s4, s2
	s_xor_b32 s2, s13, s2
	v_cvt_f32_u32_e32 v1, s4
	s_sub_i32 s6, 0, s4
	s_ashr_i32 s2, s2, 31
	s_delay_alu instid0(VALU_DEP_1) | instskip(SKIP_2) | instid1(VALU_DEP_1)
	v_rcp_iflag_f32_e32 v1, v1
	s_waitcnt_depctr 0xfff
	v_mul_f32_e32 v1, 0x4f7ffffe, v1
	v_cvt_u32_f32_e32 v1, v1
	s_delay_alu instid0(VALU_DEP_1) | instskip(NEXT) | instid1(VALU_DEP_1)
	v_readfirstlane_b32 s5, v1
	s_mul_i32 s6, s6, s5
	s_delay_alu instid0(SALU_CYCLE_1) | instskip(NEXT) | instid1(SALU_CYCLE_1)
	s_mul_hi_u32 s6, s5, s6
	s_add_i32 s5, s5, s6
	s_delay_alu instid0(SALU_CYCLE_1) | instskip(NEXT) | instid1(SALU_CYCLE_1)
	s_mul_hi_u32 s5, s7, s5
	s_mul_i32 s6, s5, s4
	s_delay_alu instid0(SALU_CYCLE_1)
	s_sub_i32 s6, s7, s6
	s_add_i32 s7, s5, 1
	s_sub_i32 s8, s6, s4
	s_cmp_ge_u32 s6, s4
	s_cselect_b32 s5, s7, s5
	s_cselect_b32 s6, s8, s6
	s_add_i32 s7, s5, 1
	s_cmp_ge_u32 s6, s4
	s_cselect_b32 s4, s7, s5
	s_delay_alu instid0(SALU_CYCLE_1) | instskip(NEXT) | instid1(SALU_CYCLE_1)
	s_xor_b32 s4, s4, s2
	s_sub_i32 s16, s4, s2
	s_load_b64 s[4:5], s[0:1], 0x50
	s_abs_i32 s2, s16
	s_delay_alu instid0(SALU_CYCLE_1) | instskip(SKIP_1) | instid1(VALU_DEP_1)
	v_cvt_f32_u32_e32 v1, s2
	s_sub_i32 s7, 0, s2
	v_rcp_iflag_f32_e32 v1, v1
	s_waitcnt_depctr 0xfff
	v_mul_f32_e32 v1, 0x4f7ffffe, v1
	s_delay_alu instid0(VALU_DEP_1) | instskip(NEXT) | instid1(VALU_DEP_1)
	v_cvt_u32_f32_e32 v1, v1
	v_readfirstlane_b32 s6, v1
	s_delay_alu instid0(VALU_DEP_1) | instskip(NEXT) | instid1(SALU_CYCLE_1)
	s_mul_i32 s7, s7, s6
	s_mul_hi_u32 s8, s6, s7
	s_abs_i32 s7, s24
	s_add_i32 s6, s6, s8
	s_waitcnt lgkmcnt(0)
	s_cmp_eq_u64 s[4:5], 0
	s_mul_hi_u32 s6, s7, s6
	s_cbranch_scc1 .LBB358_3
; %bb.2:
	s_ashr_i32 s25, s24, 31
	s_delay_alu instid0(SALU_CYCLE_1) | instskip(NEXT) | instid1(SALU_CYCLE_1)
	s_lshl_b64 s[8:9], s[24:25], 2
	s_add_u32 s4, s4, s8
	s_addc_u32 s5, s5, s9
	s_load_b32 s36, s[4:5], 0x0
.LBB358_3:
	s_clause 0x1
	s_load_b64 s[26:27], s[0:1], 0x38
	s_load_b128 s[8:11], s[0:1], 0x58
	s_ashr_i32 s4, s24, 31
	s_ashr_i32 s5, s16, 31
	s_lshl_b32 s20, s24, 5
	s_waitcnt lgkmcnt(0)
	s_mov_b32 s11, exec_lo
	v_cmpx_gt_u32_e32 4, v0
	s_cbranch_execz .LBB358_5
; %bb.4:
	s_load_b64 s[16:17], s[0:1], 0x18
	s_mul_i32 s18, s14, s8
	v_lshlrev_b32_e32 v5, 4, v0
	s_ashr_i32 s19, s18, 31
	s_delay_alu instid0(SALU_CYCLE_1) | instskip(SKIP_4) | instid1(SALU_CYCLE_1)
	s_lshl_b64 s[18:19], s[18:19], 1
	s_waitcnt lgkmcnt(0)
	s_add_u32 s8, s16, s18
	s_addc_u32 s18, s17, s19
	s_ashr_i32 s21, s20, 31
	s_lshl_b64 s[16:17], s[20:21], 1
	s_delay_alu instid0(SALU_CYCLE_1)
	s_add_u32 s16, s8, s16
	s_addc_u32 s17, s18, s17
	global_load_b128 v[1:4], v5, s[16:17]
	s_waitcnt vmcnt(0)
	ds_store_b128 v5, v[1:4]
.LBB358_5:
	s_or_b32 exec_lo, exec_lo, s11
	s_add_i32 s8, s15, 31
	s_lshl_b32 s35, s12, 4
	s_ashr_i32 s11, s8, 31
	s_xor_b32 s30, s4, s5
	s_lshr_b32 s11, s11, 27
	s_mul_i32 s4, s6, s2
	s_add_i32 s8, s8, s11
	s_add_i32 s11, s35, 16
	s_ashr_i32 s25, s8, 5
	s_sub_i32 s4, s7, s4
	s_clause 0x1
	s_load_b128 s[16:19], s[0:1], 0x0
	s_load_b64 s[22:23], s[0:1], 0x10
	s_min_i32 s21, s11, s25
	s_clause 0x1
	s_load_b64 s[28:29], s[0:1], 0x28
	s_load_b32 s11, s[0:1], 0x48
	s_add_i32 s5, s6, 1
	s_sub_i32 s7, s4, s2
	s_cmp_ge_u32 s4, s2
	v_lshrrev_b32_e32 v13, 5, v0
	s_cselect_b32 s31, s5, s6
	s_cselect_b32 s34, s7, s4
	s_clause 0x1
	s_load_b32 s8, s[0:1], 0x98
	s_load_b128 s[4:7], s[0:1], 0x68
	s_add_i32 s37, s31, 1
	s_cmp_ge_u32 s34, s2
	v_add_nc_u32_e32 v1, s35, v13
	v_dual_mov_b32 v15, 0xff7fffff :: v_dual_and_b32 v14, 31, v0
	s_cselect_b32 s2, s37, s31
	v_lshlrev_b32_e32 v16, 5, v13
	s_xor_b32 s2, s2, s30
	v_ashrrev_i32_e32 v2, 31, v1
	s_sub_i32 s34, s2, s30
	v_cmp_gt_i32_e64 s2, s21, v1
	v_lshlrev_b32_e32 v17, 2, v14
	s_waitcnt lgkmcnt(0)
	s_mul_i32 s30, s14, s11
	s_mul_i32 s34, s34, s10
	s_ashr_i32 s31, s30, 31
	s_barrier
	buffer_gl0_inv
	s_and_saveexec_b32 s37, s2
	s_cbranch_execz .LBB358_249
; %bb.6:
	s_load_b64 s[0:1], s[0:1], 0x20
	s_ashr_i32 s38, s34, 31
	v_lshlrev_b64 v[7:8], 2, v[1:2]
	v_dual_mov_b32 v4, 0 :: v_dual_lshlrev_b32 v3, 4, v14
	v_lshl_or_b32 v5, v13, 7, v17
	v_cmp_neq_f32_e64 vcc_lo, s36, 0
	v_add3_u32 v18, s33, v16, v14
	v_dual_mov_b32 v15, 0xff7fffff :: v_dual_mov_b32 v20, v1
	s_delay_alu instid0(VALU_DEP_4)
	v_add_nc_u32_e32 v19, 0x60, v5
	s_mov_b32 s10, -1
	s_mov_b32 s11, 0xffffff
	s_waitcnt lgkmcnt(0)
	s_add_u32 s39, s0, s34
	s_addc_u32 s40, s1, s38
	s_lshl_b64 s[0:1], s[30:31], 2
	s_sub_i32 s38, 1, s15
	s_add_u32 s0, s26, s0
	v_add_co_u32 v5, s39, s39, v3
	s_addc_u32 s1, s27, s1
	v_add_co_u32 v7, s0, s0, v7
	v_add_co_ci_u32_e64 v6, null, s40, 0, s39
	v_add_co_ci_u32_e64 v8, s0, s1, v8, s0
	s_mov_b32 s40, s9
	s_mov_b32 s39, 0
	s_branch .LBB358_11
.LBB358_7:                              ;   in Loop: Header=BB358_11 Depth=1
	s_or_b32 exec_lo, exec_lo, s43
	v_lshlrev_b32_e32 v9, 8, v9
	v_lshl_add_u32 v10, v10, 10, 0x2000
	s_delay_alu instid0(VALU_DEP_1) | instskip(NEXT) | instid1(VALU_DEP_1)
	v_and_or_b32 v9, 0x8000, v9, v10
	v_lshl_or_b32 v3, v3, 7, v9
	s_delay_alu instid0(VALU_DEP_1)
	v_cvt_f32_f16_e32 v3, v3
.LBB358_8:                              ;   in Loop: Header=BB358_11 Depth=1
	s_or_b32 exec_lo, exec_lo, s42
.LBB358_9:                              ;   in Loop: Header=BB358_11 Depth=1
	s_delay_alu instid0(SALU_CYCLE_1)
	s_or_b32 exec_lo, exec_lo, s41
.LBB358_10:                             ;   in Loop: Header=BB358_11 Depth=1
	s_delay_alu instid0(SALU_CYCLE_1)
	s_or_b32 exec_lo, exec_lo, s1
	ds_load_b128 v[51:54], v4
	v_fma_mixlo_f16 v9, v21, v26, 0
	v_fma_mixlo_f16 v10, v21, v23, 0
	;; [unrolled: 1-line block ×8, first 2 shown]
	v_and_b32_e32 v22, 0xffff, v22
	v_and_b32_e32 v23, 0xffff, v23
	v_and_b32_e32 v25, 0xffff, v25
	v_fma_mixlo_f16 v29, v21, v29, 0
	v_fma_mixlo_f16 v33, v21, v33, 0
	;; [unrolled: 1-line block ×8, first 2 shown]
	s_waitcnt lgkmcnt(0)
	v_lshrrev_b32_e32 v28, 16, v51
	v_and_b32_e32 v30, 0xffff, v51
	v_lshrrev_b32_e32 v51, 16, v52
	v_and_b32_e32 v52, 0xffff, v52
	;;#ASMSTART
	v_cvt_f32_f16 v30, v30;
	;;#ASMEND
	;;#ASMSTART
	v_cvt_f32_f16 v28, v28;
	;;#ASMEND
	;; [unrolled: 3-line block ×3, first 2 shown]
	v_and_b32_e32 v10, 0xffff, v10
	;;#ASMSTART
	v_cvt_f32_f16 v57, v23;
	;;#ASMEND
	;;#ASMSTART
	v_cvt_f32_f16 v52, v52;
	;;#ASMEND
	;; [unrolled: 3-line block ×4, first 2 shown]
	v_and_b32_e32 v9, 0xffff, v9
	v_lshrrev_b32_e32 v55, 16, v53
	;;#ASMSTART
	v_cvt_f32_f16 v59, v9;
	;;#ASMEND
	v_and_b32_e32 v53, 0xffff, v53
	v_and_b32_e32 v9, 0xffff, v24
	v_lshrrev_b32_e32 v22, 16, v54
	v_and_b32_e32 v23, 0xffff, v26
	v_and_b32_e32 v24, 0xffff, v27
	;;#ASMSTART
	v_cvt_f32_f16 v53, v53;
	;;#ASMEND
	;;#ASMSTART
	v_cvt_f32_f16 v55, v55;
	;;#ASMEND
	;; [unrolled: 3-line block ×3, first 2 shown]
	v_and_b32_e32 v10, 0xffff, v54
	;;#ASMSTART
	v_cvt_f32_f16 v26, v9;
	;;#ASMEND
	;;#ASMSTART
	v_cvt_f32_f16 v27, v10;
	;;#ASMEND
	;; [unrolled: 3-line block ×5, first 2 shown]
	ds_load_b128 v[22:25], v4 offset:16
	v_fma_mixlo_f16 v9, v21, v34, 0
	v_and_b32_e32 v29, 0xffff, v29
	v_fma_mixlo_f16 v10, v21, v31, 0
	v_fma_mixlo_f16 v31, v21, v32, 0
	;; [unrolled: 1-line block ×5, first 2 shown]
	v_and_b32_e32 v10, 0xffff, v10
	v_and_b32_e32 v31, 0xffff, v31
	v_fma_mixlo_f16 v45, v21, v45, 0
	v_fma_mixlo_f16 v48, v21, v48, 0
	;; [unrolled: 1-line block ×7, first 2 shown]
	v_and_b32_e32 v12, 0xffff, v40
	v_cmp_gt_i32_e64 s0, s15, v18
	v_add_co_u32 v7, s1, v7, 16
	s_waitcnt lgkmcnt(0)
	v_and_b32_e32 v34, 0xffff, v22
	v_lshrrev_b32_e32 v22, 16, v22
	;;#ASMSTART
	v_cvt_f32_f16 v34, v34;
	;;#ASMEND
	;;#ASMSTART
	v_cvt_f32_f16 v63, v22;
	;;#ASMEND
	;; [unrolled: 3-line block ×3, first 2 shown]
	v_dual_mul_f32 v29, v34, v29 :: v_dual_and_b32 v38, 0xffff, v23
	v_lshrrev_b32_e32 v23, 16, v23
	;;#ASMSTART
	v_cvt_f32_f16 v31, v31;
	;;#ASMEND
	;;#ASMSTART
	v_cvt_f32_f16 v38, v38;
	;;#ASMEND
	;; [unrolled: 3-line block ×4, first 2 shown]
	v_fmac_f32_e32 v29, v30, v56
	v_mul_f32_e32 v30, v38, v10
	v_and_b32_e32 v22, 0xffff, v24
	v_lshrrev_b32_e32 v23, 16, v24
	v_and_b32_e32 v24, 0xffff, v33
	v_fma_mixlo_f16 v34, v21, v47, 0
	v_dual_fmac_f32 v30, v52, v58 :: v_dual_and_b32 v9, 0xffff, v9
	;;#ASMSTART
	v_cvt_f32_f16 v33, v9;
	;;#ASMEND
	v_and_b32_e32 v9, 0xffff, v32
	;;#ASMSTART
	v_cvt_f32_f16 v65, v22;
	;;#ASMEND
	;;#ASMSTART
	v_cvt_f32_f16 v66, v23;
	;;#ASMEND
	;; [unrolled: 3-line block ×4, first 2 shown]
	v_fma_mixlo_f16 v9, v21, v42, 0
	v_fma_mixlo_f16 v47, v21, v49, 0
	v_dual_mul_f32 v21, v63, v31 :: v_dual_mul_f32 v32, v66, v32
	v_lshrrev_b32_e32 v23, 16, v25
	v_and_b32_e32 v24, 0xffff, v35
	v_and_b32_e32 v9, 0xffff, v9
	s_delay_alu instid0(VALU_DEP_4) | instskip(SKIP_3) | instid1(VALU_DEP_3)
	v_fmac_f32_e32 v21, v28, v57
	v_dual_mul_f32 v28, v64, v33 :: v_dual_mul_f32 v33, v65, v67
	v_dual_fmac_f32 v32, v55, v26 :: v_dual_and_b32 v3, 0xffff, v3
	v_add_co_ci_u32_e64 v8, s1, 0, v8, s1
	v_dual_fmac_f32 v33, v53, v60 :: v_dual_and_b32 v22, 0xffff, v25
	v_and_b32_e32 v25, 0xffff, v36
	;;#ASMSTART
	v_cvt_f32_f16 v35, v22;
	;;#ASMEND
	;;#ASMSTART
	v_cvt_f32_f16 v36, v23;
	;;#ASMEND
	;; [unrolled: 3-line block ×4, first 2 shown]
	ds_load_b128 v[22:25], v4 offset:32
	v_mul_f32_e32 v36, v36, v69
	v_fmac_f32_e32 v28, v51, v59
	v_mul_f32_e32 v35, v35, v68
	v_add_nc_u32_e32 v20, 4, v20
	s_delay_alu instid0(VALU_DEP_2)
	v_dual_fmac_f32 v36, v54, v62 :: v_dual_fmac_f32 v35, v27, v61
	s_waitcnt lgkmcnt(0)
	v_and_b32_e32 v11, 0xffff, v22
	v_lshrrev_b32_e32 v10, 16, v22
	;;#ASMSTART
	v_cvt_f32_f16 v22, v11;
	;;#ASMEND
	v_and_b32_e32 v11, 0xffff, v37
	v_and_b32_e32 v31, 0xffff, v23
	v_lshrrev_b32_e32 v23, 16, v23
	;;#ASMSTART
	v_cvt_f32_f16 v37, v10;
	;;#ASMEND
	;;#ASMSTART
	v_cvt_f32_f16 v38, v11;
	;;#ASMEND
	;; [unrolled: 3-line block ×3, first 2 shown]
	v_and_b32_e32 v11, 0xffff, v24
	v_lshrrev_b32_e32 v12, 16, v24
	v_dual_fmac_f32 v21, v37, v40 :: v_dual_and_b32 v24, 0xffff, v41
	v_and_b32_e32 v10, 0xffff, v39
	;;#ASMSTART
	v_cvt_f32_f16 v31, v31;
	;;#ASMEND
	;;#ASMSTART
	v_cvt_f32_f16 v23, v23;
	;;#ASMEND
	;; [unrolled: 3-line block ×7, first 2 shown]
	v_and_b32_e32 v9, 0xffff, v44
	v_and_b32_e32 v10, 0xffff, v25
	v_lshrrev_b32_e32 v11, 16, v25
	v_and_b32_e32 v25, 0xffff, v45
	v_dual_fmac_f32 v33, v49, v24 :: v_dual_and_b32 v12, 0xffff, v43
	;;#ASMSTART
	v_cvt_f32_f16 v43, v9;
	;;#ASMEND
	;;#ASMSTART
	v_cvt_f32_f16 v44, v10;
	;;#ASMEND
	;; [unrolled: 3-line block ×5, first 2 shown]
	ds_load_b128 v[9:12], v4 offset:48
	v_dual_fmac_f32 v29, v22, v38 :: v_dual_fmac_f32 v28, v23, v41
	v_and_b32_e32 v23, 0xffff, v71
	v_and_b32_e32 v24, 0xffff, v46
	v_fmac_f32_e32 v30, v31, v39
	v_dual_fmac_f32 v36, v45, v25 :: v_dual_and_b32 v25, 0xffff, v48
	v_fmac_f32_e32 v32, v56, v43
	s_waitcnt lgkmcnt(0)
	v_dual_fmac_f32 v35, v44, v63 :: v_dual_and_b32 v22, 0xffff, v9
	v_lshrrev_b32_e32 v9, 16, v9
	;;#ASMSTART
	v_cvt_f32_f16 v22, v22;
	;;#ASMEND
	;;#ASMSTART
	v_cvt_f32_f16 v9, v9;
	;;#ASMEND
	;; [unrolled: 3-line block ×3, first 2 shown]
	v_dual_fmac_f32 v29, v22, v23 :: v_dual_add_nc_u32 v42, s38, v18
	;;#ASMSTART
	v_cvt_f32_f16 v24, v24;
	;;#ASMEND
	v_dual_fmac_f32 v21, v9, v24 :: v_dual_and_b32 v22, 0xffff, v10
	v_lshrrev_b32_e32 v10, 16, v10
	v_and_b32_e32 v23, 0xffff, v70
	;;#ASMSTART
	v_cvt_f32_f16 v9, v22;
	;;#ASMEND
	;;#ASMSTART
	v_cvt_f32_f16 v10, v10;
	;;#ASMEND
	;; [unrolled: 3-line block ×4, first 2 shown]
	v_fmac_f32_e32 v30, v9, v22
	v_fmac_f32_e32 v28, v10, v23
	v_and_b32_e32 v9, 0xffff, v11
	v_lshrrev_b32_e32 v10, 16, v11
	v_add_f32_e32 v11, v29, v21
	v_and_b32_e32 v21, 0xffff, v34
	;;#ASMSTART
	v_cvt_f32_f16 v9, v9;
	;;#ASMEND
	;;#ASMSTART
	v_cvt_f32_f16 v10, v10;
	;;#ASMEND
	;; [unrolled: 3-line block ×3, first 2 shown]
	v_add_f32_e32 v11, v11, v30
	v_dual_fmac_f32 v33, v9, v21 :: v_dual_and_b32 v22, 0xffff, v50
	;;#ASMSTART
	v_cvt_f32_f16 v22, v22;
	;;#ASMEND
	s_delay_alu instid0(VALU_DEP_1)
	v_dual_fmac_f32 v32, v10, v22 :: v_dual_add_f32 v11, v28, v11
	v_and_b32_e32 v9, 0xffff, v12
	v_lshrrev_b32_e32 v12, 16, v12
	;;#ASMSTART
	v_cvt_f32_f16 v9, v9;
	;;#ASMEND
	v_cvt_f32_i32_e32 v42, v42
	v_dual_add_f32 v10, v11, v33 :: v_dual_and_b32 v21, 0xffff, v47
	;;#ASMSTART
	v_cvt_f32_f16 v11, v12;
	;;#ASMEND
	;;#ASMSTART
	v_cvt_f32_f16 v12, v21;
	;;#ASMEND
	v_fmac_f32_e32 v35, v9, v12
	s_delay_alu instid0(VALU_DEP_2) | instskip(SKIP_3) | instid1(VALU_DEP_3)
	v_add_f32_e32 v9, v32, v10
	;;#ASMSTART
	v_cvt_f32_f16 v3, v3;
	;;#ASMEND
	v_mul_f32_e32 v10, s36, v42
	v_fmac_f32_e32 v36, v11, v3
	v_dual_add_f32 v3, v9, v35 :: v_dual_add_nc_u32 v18, 0x80, v18
	s_delay_alu instid0(VALU_DEP_3) | instskip(NEXT) | instid1(VALU_DEP_2)
	v_cndmask_b32_e32 v9, 0, v10, vcc_lo
	v_add_f32_e32 v3, v36, v3
	s_delay_alu instid0(VALU_DEP_1) | instskip(SKIP_1) | instid1(VALU_DEP_2)
	v_fmac_f32_e32 v9, s3, v3
	v_max_f32_e32 v3, v15, v15
	v_cndmask_b32_e64 v10, 0, v9, s0
	s_delay_alu instid0(VALU_DEP_2) | instskip(SKIP_4) | instid1(VALU_DEP_2)
	v_max_f32_e32 v3, v3, v9
	ds_store_b32 v19, v10
	v_cndmask_b32_e64 v15, v15, v3, s0
	v_cmp_le_i32_e64 s0, s21, v20
	v_add_nc_u32_e32 v19, 0x200, v19
	s_or_b32 s39, s0, s39
	s_delay_alu instid0(SALU_CYCLE_1)
	s_and_not1_b32 exec_lo, exec_lo, s39
	s_cbranch_execz .LBB358_248
.LBB358_11:                             ; =>This Inner Loop Header: Depth=1
	global_load_b32 v3, v[7:8], off
	s_mov_b32 s1, exec_lo
	v_mov_b32_e32 v22, 0
	s_waitcnt vmcnt(0)
	v_mad_i64_i32 v[9:10], null, v3, s40, v[5:6]
	global_load_b64 v[11:12], v[9:10], off
	global_load_b32 v21, v4, s[4:5]
	s_waitcnt vmcnt(1)
	v_and_b32_e32 v3, 0xff, v11
	s_delay_alu instid0(VALU_DEP_1)
	v_cmpx_ne_u16_e32 0, v3
	s_cbranch_execz .LBB358_17
; %bb.12:                               ;   in Loop: Header=BB358_11 Depth=1
	v_bfrev_b32_e32 v22, 1
	s_mov_b32 s41, exec_lo
	v_cmpx_ne_u16_e32 0x80, v3
	s_cbranch_execz .LBB358_16
; %bb.13:                               ;   in Loop: Header=BB358_11 Depth=1
	v_and_b32_e32 v3, 0x7f, v11
	v_mov_b32_e32 v22, 0x7fc02000
	s_mov_b32 s42, exec_lo
	s_delay_alu instid0(VALU_DEP_2)
	v_cmpx_ne_u32_e32 0x7f, v3
	s_cbranch_execz .LBB358_15
; %bb.14:                               ;   in Loop: Header=BB358_11 Depth=1
	v_and_b32_e32 v22, 7, v11
	v_cmp_gt_u32_e64 s0, 8, v3
	v_lshrrev_b32_e32 v23, 3, v3
	s_delay_alu instid0(VALU_DEP_3) | instskip(NEXT) | instid1(VALU_DEP_1)
	v_clz_i32_u32_e32 v22, v22
	v_min_u32_e32 v22, 32, v22
	s_delay_alu instid0(VALU_DEP_1) | instskip(SKIP_1) | instid1(VALU_DEP_2)
	v_subrev_nc_u32_e32 v24, 28, v22
	v_sub_nc_u32_e32 v22, 29, v22
	v_cndmask_b32_e64 v3, 0, v24, s0
	s_delay_alu instid0(VALU_DEP_2) | instskip(NEXT) | instid1(VALU_DEP_2)
	v_cndmask_b32_e64 v24, v23, v22, s0
	v_lshlrev_b64 v[22:23], v3, v[11:12]
	v_lshlrev_b32_e32 v3, 8, v11
	s_delay_alu instid0(VALU_DEP_3) | instskip(NEXT) | instid1(VALU_DEP_3)
	v_lshl_add_u32 v23, v24, 10, 0x2000
	v_lshlrev_b32_e32 v22, 7, v22
	s_delay_alu instid0(VALU_DEP_2) | instskip(NEXT) | instid1(VALU_DEP_1)
	v_and_or_b32 v3, 0x8000, v3, v23
	v_and_or_b32 v3, 0x380, v22, v3
	s_delay_alu instid0(VALU_DEP_1)
	v_cvt_f32_f16_e32 v22, v3
.LBB358_15:                             ;   in Loop: Header=BB358_11 Depth=1
	s_or_b32 exec_lo, exec_lo, s42
.LBB358_16:                             ;   in Loop: Header=BB358_11 Depth=1
	s_delay_alu instid0(SALU_CYCLE_1)
	s_or_b32 exec_lo, exec_lo, s41
.LBB358_17:                             ;   in Loop: Header=BB358_11 Depth=1
	s_delay_alu instid0(SALU_CYCLE_1) | instskip(SKIP_3) | instid1(VALU_DEP_2)
	s_or_b32 exec_lo, exec_lo, s1
	v_lshrrev_b16 v3, 8, v11
	v_dual_mov_b32 v23, 0 :: v_dual_mov_b32 v24, 0
	s_mov_b32 s1, exec_lo
	v_cmpx_ne_u16_e32 0, v3
	s_cbranch_execz .LBB358_25
; %bb.18:                               ;   in Loop: Header=BB358_11 Depth=1
	v_bfrev_b32_e32 v24, 1
	s_mov_b32 s41, exec_lo
	v_cmpx_ne_u16_e32 0x80, v3
	s_cbranch_execz .LBB358_24
; %bb.19:                               ;   in Loop: Header=BB358_11 Depth=1
	v_and_b32_e32 v25, 0xffff, v3
	v_mov_b32_e32 v24, 0x7fc02000
	s_mov_b32 s42, exec_lo
	s_delay_alu instid0(VALU_DEP_2) | instskip(NEXT) | instid1(VALU_DEP_1)
	v_and_b32_e32 v26, 0x7f, v25
	v_cmpx_ne_u32_e32 0x7f, v26
	s_cbranch_execz .LBB358_23
; %bb.20:                               ;   in Loop: Header=BB358_11 Depth=1
	v_and_b32_e32 v3, 7, v25
	v_lshrrev_b32_e32 v24, 3, v26
	s_mov_b32 s43, exec_lo
	v_cmpx_gt_u32_e32 8, v26
; %bb.21:                               ;   in Loop: Header=BB358_11 Depth=1
	s_delay_alu instid0(VALU_DEP_3) | instskip(NEXT) | instid1(VALU_DEP_1)
	v_clz_i32_u32_e32 v24, v3
	v_min_u32_e32 v24, 32, v24
	s_delay_alu instid0(VALU_DEP_1) | instskip(SKIP_1) | instid1(VALU_DEP_2)
	v_subrev_nc_u32_e32 v26, 28, v24
	v_sub_nc_u32_e32 v24, 29, v24
	v_lshlrev_b64 v[26:27], v26, v[3:4]
	s_delay_alu instid0(VALU_DEP_1)
	v_and_b32_e32 v3, 7, v26
; %bb.22:                               ;   in Loop: Header=BB358_11 Depth=1
	s_or_b32 exec_lo, exec_lo, s43
	v_lshlrev_b32_e32 v25, 8, v25
	v_lshl_add_u32 v24, v24, 10, 0x2000
	s_delay_alu instid0(VALU_DEP_1) | instskip(NEXT) | instid1(VALU_DEP_1)
	v_and_or_b32 v24, 0x8000, v25, v24
	v_lshl_or_b32 v3, v3, 7, v24
	s_delay_alu instid0(VALU_DEP_1)
	v_cvt_f32_f16_e32 v24, v3
.LBB358_23:                             ;   in Loop: Header=BB358_11 Depth=1
	s_or_b32 exec_lo, exec_lo, s42
.LBB358_24:                             ;   in Loop: Header=BB358_11 Depth=1
	s_delay_alu instid0(SALU_CYCLE_1)
	s_or_b32 exec_lo, exec_lo, s41
.LBB358_25:                             ;   in Loop: Header=BB358_11 Depth=1
	s_delay_alu instid0(SALU_CYCLE_1) | instskip(SKIP_2) | instid1(VALU_DEP_1)
	s_or_b32 exec_lo, exec_lo, s1
	v_lshrrev_b32_e32 v25, 16, v11
	s_mov_b32 s1, exec_lo
	v_and_b32_e32 v3, 0xff, v25
	s_delay_alu instid0(VALU_DEP_1)
	v_cmpx_ne_u16_e32 0, v3
	s_cbranch_execz .LBB358_33
; %bb.26:                               ;   in Loop: Header=BB358_11 Depth=1
	v_bfrev_b32_e32 v23, 1
	s_mov_b32 s41, exec_lo
	v_cmpx_ne_u16_e32 0x80, v3
	s_cbranch_execz .LBB358_32
; %bb.27:                               ;   in Loop: Header=BB358_11 Depth=1
	v_bfe_u32 v26, v11, 16, 7
	v_mov_b32_e32 v23, 0x7fc02000
	s_mov_b32 s42, exec_lo
	s_delay_alu instid0(VALU_DEP_2)
	v_cmpx_ne_u32_e32 0x7f, v26
	s_cbranch_execz .LBB358_31
; %bb.28:                               ;   in Loop: Header=BB358_11 Depth=1
	v_and_b32_e32 v3, 7, v25
	v_lshrrev_b32_e32 v23, 3, v26
	s_mov_b32 s43, exec_lo
	v_cmpx_gt_u32_e32 8, v26
; %bb.29:                               ;   in Loop: Header=BB358_11 Depth=1
	s_delay_alu instid0(VALU_DEP_3) | instskip(NEXT) | instid1(VALU_DEP_1)
	v_clz_i32_u32_e32 v23, v3
	v_min_u32_e32 v23, 32, v23
	s_delay_alu instid0(VALU_DEP_1) | instskip(SKIP_1) | instid1(VALU_DEP_2)
	v_subrev_nc_u32_e32 v26, 28, v23
	v_sub_nc_u32_e32 v23, 29, v23
	v_lshlrev_b64 v[26:27], v26, v[3:4]
	s_delay_alu instid0(VALU_DEP_1)
	v_and_b32_e32 v3, 7, v26
; %bb.30:                               ;   in Loop: Header=BB358_11 Depth=1
	s_or_b32 exec_lo, exec_lo, s43
	v_lshlrev_b32_e32 v25, 8, v25
	v_lshl_add_u32 v23, v23, 10, 0x2000
	s_delay_alu instid0(VALU_DEP_1) | instskip(NEXT) | instid1(VALU_DEP_1)
	v_and_or_b32 v23, 0x8000, v25, v23
	v_lshl_or_b32 v3, v3, 7, v23
	s_delay_alu instid0(VALU_DEP_1)
	v_cvt_f32_f16_e32 v23, v3
.LBB358_31:                             ;   in Loop: Header=BB358_11 Depth=1
	s_or_b32 exec_lo, exec_lo, s42
.LBB358_32:                             ;   in Loop: Header=BB358_11 Depth=1
	s_delay_alu instid0(SALU_CYCLE_1)
	s_or_b32 exec_lo, exec_lo, s41
.LBB358_33:                             ;   in Loop: Header=BB358_11 Depth=1
	s_delay_alu instid0(SALU_CYCLE_1)
	s_or_b32 exec_lo, exec_lo, s1
	v_dual_mov_b32 v25, 0 :: v_dual_mov_b32 v26, 0
	s_mov_b32 s1, exec_lo
	v_cmpx_lt_u32_e32 0xffffff, v11
	s_cbranch_execz .LBB358_41
; %bb.34:                               ;   in Loop: Header=BB358_11 Depth=1
	v_lshrrev_b32_e32 v27, 24, v11
	v_bfrev_b32_e32 v26, 1
	s_mov_b32 s41, exec_lo
	s_delay_alu instid0(VALU_DEP_2)
	v_cmpx_ne_u32_e32 0x80, v27
	s_cbranch_execz .LBB358_40
; %bb.35:                               ;   in Loop: Header=BB358_11 Depth=1
	v_and_b32_e32 v28, 0x7f, v27
	v_mov_b32_e32 v26, 0x7fc02000
	s_mov_b32 s42, exec_lo
	s_delay_alu instid0(VALU_DEP_2)
	v_cmpx_ne_u32_e32 0x7f, v28
	s_cbranch_execz .LBB358_39
; %bb.36:                               ;   in Loop: Header=BB358_11 Depth=1
	v_and_b32_e32 v3, 7, v27
	v_lshrrev_b32_e32 v26, 3, v28
	s_mov_b32 s43, exec_lo
	v_cmpx_gt_u32_e32 8, v28
; %bb.37:                               ;   in Loop: Header=BB358_11 Depth=1
	s_delay_alu instid0(VALU_DEP_3) | instskip(NEXT) | instid1(VALU_DEP_1)
	v_clz_i32_u32_e32 v26, v3
	v_min_u32_e32 v26, 32, v26
	s_delay_alu instid0(VALU_DEP_1) | instskip(SKIP_1) | instid1(VALU_DEP_2)
	v_subrev_nc_u32_e32 v28, 28, v26
	v_sub_nc_u32_e32 v26, 29, v26
	v_lshlrev_b64 v[28:29], v28, v[3:4]
	s_delay_alu instid0(VALU_DEP_1)
	v_and_b32_e32 v3, 7, v28
; %bb.38:                               ;   in Loop: Header=BB358_11 Depth=1
	s_or_b32 exec_lo, exec_lo, s43
	v_lshlrev_b32_e32 v27, 8, v27
	v_lshl_add_u32 v26, v26, 10, 0x2000
	s_delay_alu instid0(VALU_DEP_1) | instskip(NEXT) | instid1(VALU_DEP_1)
	v_and_or_b32 v26, 0x8000, v27, v26
	v_lshl_or_b32 v3, v3, 7, v26
	s_delay_alu instid0(VALU_DEP_1)
	v_cvt_f32_f16_e32 v26, v3
.LBB358_39:                             ;   in Loop: Header=BB358_11 Depth=1
	s_or_b32 exec_lo, exec_lo, s42
.LBB358_40:                             ;   in Loop: Header=BB358_11 Depth=1
	s_delay_alu instid0(SALU_CYCLE_1)
	s_or_b32 exec_lo, exec_lo, s41
.LBB358_41:                             ;   in Loop: Header=BB358_11 Depth=1
	s_delay_alu instid0(SALU_CYCLE_1) | instskip(SKIP_3) | instid1(VALU_DEP_2)
	s_or_b32 exec_lo, exec_lo, s1
	v_and_b32_e32 v27, 0xff, v12
	v_mov_b32_e32 v3, v12
	s_mov_b32 s1, exec_lo
	v_cmpx_ne_u16_e32 0, v27
	s_cbranch_execz .LBB358_47
; %bb.42:                               ;   in Loop: Header=BB358_11 Depth=1
	v_bfrev_b32_e32 v25, 1
	s_mov_b32 s41, exec_lo
	v_cmpx_ne_u16_e32 0x80, v27
	s_cbranch_execz .LBB358_46
; %bb.43:                               ;   in Loop: Header=BB358_11 Depth=1
	v_and_b32_e32 v27, 0x7f, v12
	v_mov_b32_e32 v25, 0x7fc02000
	s_mov_b32 s42, exec_lo
	s_delay_alu instid0(VALU_DEP_2)
	v_cmpx_ne_u32_e32 0x7f, v27
	s_cbranch_execz .LBB358_45
; %bb.44:                               ;   in Loop: Header=BB358_11 Depth=1
	v_and_b32_e32 v25, 7, v12
	v_cmp_gt_u32_e64 s0, 8, v27
	v_lshrrev_b32_e32 v28, 3, v27
	s_delay_alu instid0(VALU_DEP_3) | instskip(NEXT) | instid1(VALU_DEP_1)
	v_clz_i32_u32_e32 v25, v25
	v_min_u32_e32 v25, 32, v25
	s_delay_alu instid0(VALU_DEP_1) | instskip(SKIP_1) | instid1(VALU_DEP_2)
	v_subrev_nc_u32_e32 v29, 28, v25
	v_sub_nc_u32_e32 v25, 29, v25
	v_cndmask_b32_e64 v27, 0, v29, s0
	s_delay_alu instid0(VALU_DEP_2) | instskip(NEXT) | instid1(VALU_DEP_2)
	v_cndmask_b32_e64 v25, v28, v25, s0
	v_lshlrev_b64 v[27:28], v27, v[3:4]
	v_lshlrev_b32_e32 v28, 8, v12
	s_delay_alu instid0(VALU_DEP_3) | instskip(NEXT) | instid1(VALU_DEP_3)
	v_lshl_add_u32 v25, v25, 10, 0x2000
	v_lshlrev_b32_e32 v27, 7, v27
	s_delay_alu instid0(VALU_DEP_2) | instskip(NEXT) | instid1(VALU_DEP_1)
	v_and_or_b32 v25, 0x8000, v28, v25
	v_and_or_b32 v25, 0x380, v27, v25
	s_delay_alu instid0(VALU_DEP_1)
	v_cvt_f32_f16_e32 v25, v25
.LBB358_45:                             ;   in Loop: Header=BB358_11 Depth=1
	s_or_b32 exec_lo, exec_lo, s42
.LBB358_46:                             ;   in Loop: Header=BB358_11 Depth=1
	s_delay_alu instid0(SALU_CYCLE_1)
	s_or_b32 exec_lo, exec_lo, s41
.LBB358_47:                             ;   in Loop: Header=BB358_11 Depth=1
	s_delay_alu instid0(SALU_CYCLE_1) | instskip(SKIP_3) | instid1(VALU_DEP_2)
	s_or_b32 exec_lo, exec_lo, s1
	v_lshrrev_b16 v3, 8, v3
	v_dual_mov_b32 v27, 0 :: v_dual_mov_b32 v28, 0
	s_mov_b32 s1, exec_lo
	v_cmpx_ne_u16_e32 0, v3
	s_cbranch_execz .LBB358_55
; %bb.48:                               ;   in Loop: Header=BB358_11 Depth=1
	v_bfrev_b32_e32 v28, 1
	s_mov_b32 s41, exec_lo
	v_cmpx_ne_u16_e32 0x80, v3
	s_cbranch_execz .LBB358_54
; %bb.49:                               ;   in Loop: Header=BB358_11 Depth=1
	v_and_b32_e32 v29, 0xffff, v3
	v_mov_b32_e32 v28, 0x7fc02000
	s_mov_b32 s42, exec_lo
	s_delay_alu instid0(VALU_DEP_2) | instskip(NEXT) | instid1(VALU_DEP_1)
	v_and_b32_e32 v30, 0x7f, v29
	v_cmpx_ne_u32_e32 0x7f, v30
	s_cbranch_execz .LBB358_53
; %bb.50:                               ;   in Loop: Header=BB358_11 Depth=1
	v_and_b32_e32 v3, 7, v29
	v_lshrrev_b32_e32 v28, 3, v30
	s_mov_b32 s43, exec_lo
	v_cmpx_gt_u32_e32 8, v30
; %bb.51:                               ;   in Loop: Header=BB358_11 Depth=1
	s_delay_alu instid0(VALU_DEP_3) | instskip(NEXT) | instid1(VALU_DEP_1)
	v_clz_i32_u32_e32 v28, v3
	v_min_u32_e32 v28, 32, v28
	s_delay_alu instid0(VALU_DEP_1) | instskip(SKIP_1) | instid1(VALU_DEP_2)
	v_subrev_nc_u32_e32 v30, 28, v28
	v_sub_nc_u32_e32 v28, 29, v28
	v_lshlrev_b64 v[30:31], v30, v[3:4]
	s_delay_alu instid0(VALU_DEP_1)
	v_and_b32_e32 v3, 7, v30
; %bb.52:                               ;   in Loop: Header=BB358_11 Depth=1
	s_or_b32 exec_lo, exec_lo, s43
	v_lshlrev_b32_e32 v29, 8, v29
	v_lshl_add_u32 v28, v28, 10, 0x2000
	s_delay_alu instid0(VALU_DEP_1) | instskip(NEXT) | instid1(VALU_DEP_1)
	v_and_or_b32 v28, 0x8000, v29, v28
	v_lshl_or_b32 v3, v3, 7, v28
	s_delay_alu instid0(VALU_DEP_1)
	v_cvt_f32_f16_e32 v28, v3
.LBB358_53:                             ;   in Loop: Header=BB358_11 Depth=1
	s_or_b32 exec_lo, exec_lo, s42
.LBB358_54:                             ;   in Loop: Header=BB358_11 Depth=1
	s_delay_alu instid0(SALU_CYCLE_1)
	s_or_b32 exec_lo, exec_lo, s41
.LBB358_55:                             ;   in Loop: Header=BB358_11 Depth=1
	s_delay_alu instid0(SALU_CYCLE_1) | instskip(SKIP_2) | instid1(VALU_DEP_1)
	s_or_b32 exec_lo, exec_lo, s1
	v_lshrrev_b32_e32 v29, 16, v12
	s_mov_b32 s1, exec_lo
	v_and_b32_e32 v3, 0xff, v29
	s_delay_alu instid0(VALU_DEP_1)
	v_cmpx_ne_u16_e32 0, v3
	s_cbranch_execz .LBB358_63
; %bb.56:                               ;   in Loop: Header=BB358_11 Depth=1
	v_bfrev_b32_e32 v27, 1
	s_mov_b32 s41, exec_lo
	v_cmpx_ne_u16_e32 0x80, v3
	s_cbranch_execz .LBB358_62
; %bb.57:                               ;   in Loop: Header=BB358_11 Depth=1
	v_bfe_u32 v30, v12, 16, 7
	v_mov_b32_e32 v27, 0x7fc02000
	s_mov_b32 s42, exec_lo
	s_delay_alu instid0(VALU_DEP_2)
	v_cmpx_ne_u32_e32 0x7f, v30
	s_cbranch_execz .LBB358_61
; %bb.58:                               ;   in Loop: Header=BB358_11 Depth=1
	v_and_b32_e32 v3, 7, v29
	v_lshrrev_b32_e32 v27, 3, v30
	s_mov_b32 s43, exec_lo
	v_cmpx_gt_u32_e32 8, v30
; %bb.59:                               ;   in Loop: Header=BB358_11 Depth=1
	s_delay_alu instid0(VALU_DEP_3) | instskip(NEXT) | instid1(VALU_DEP_1)
	v_clz_i32_u32_e32 v27, v3
	v_min_u32_e32 v27, 32, v27
	s_delay_alu instid0(VALU_DEP_1) | instskip(SKIP_1) | instid1(VALU_DEP_2)
	v_subrev_nc_u32_e32 v30, 28, v27
	v_sub_nc_u32_e32 v27, 29, v27
	v_lshlrev_b64 v[30:31], v30, v[3:4]
	s_delay_alu instid0(VALU_DEP_1)
	v_and_b32_e32 v3, 7, v30
; %bb.60:                               ;   in Loop: Header=BB358_11 Depth=1
	s_or_b32 exec_lo, exec_lo, s43
	v_lshlrev_b32_e32 v29, 8, v29
	v_lshl_add_u32 v27, v27, 10, 0x2000
	s_delay_alu instid0(VALU_DEP_1) | instskip(NEXT) | instid1(VALU_DEP_1)
	v_and_or_b32 v27, 0x8000, v29, v27
	v_lshl_or_b32 v3, v3, 7, v27
	s_delay_alu instid0(VALU_DEP_1)
	v_cvt_f32_f16_e32 v27, v3
.LBB358_61:                             ;   in Loop: Header=BB358_11 Depth=1
	s_or_b32 exec_lo, exec_lo, s42
.LBB358_62:                             ;   in Loop: Header=BB358_11 Depth=1
	s_delay_alu instid0(SALU_CYCLE_1)
	s_or_b32 exec_lo, exec_lo, s41
.LBB358_63:                             ;   in Loop: Header=BB358_11 Depth=1
	s_delay_alu instid0(SALU_CYCLE_1)
	s_or_b32 exec_lo, exec_lo, s1
	v_dual_mov_b32 v29, 0 :: v_dual_mov_b32 v30, 0
	s_mov_b32 s1, exec_lo
	v_cmpx_lt_u64_e64 s[10:11], v[11:12]
	s_cbranch_execz .LBB358_71
; %bb.64:                               ;   in Loop: Header=BB358_11 Depth=1
	v_lshrrev_b32_e32 v11, 24, v12
	v_bfrev_b32_e32 v30, 1
	s_mov_b32 s41, exec_lo
	s_delay_alu instid0(VALU_DEP_2)
	v_cmpx_ne_u32_e32 0x80, v11
	s_cbranch_execz .LBB358_70
; %bb.65:                               ;   in Loop: Header=BB358_11 Depth=1
	v_and_b32_e32 v31, 0x7f, v11
	v_mov_b32_e32 v30, 0x7fc02000
	s_mov_b32 s42, exec_lo
	s_delay_alu instid0(VALU_DEP_2)
	v_cmpx_ne_u32_e32 0x7f, v31
	s_cbranch_execz .LBB358_69
; %bb.66:                               ;   in Loop: Header=BB358_11 Depth=1
	v_and_b32_e32 v3, 7, v11
	v_lshrrev_b32_e32 v12, 3, v31
	s_mov_b32 s43, exec_lo
	v_cmpx_gt_u32_e32 8, v31
; %bb.67:                               ;   in Loop: Header=BB358_11 Depth=1
	s_delay_alu instid0(VALU_DEP_3) | instskip(NEXT) | instid1(VALU_DEP_1)
	v_clz_i32_u32_e32 v12, v3
	v_min_u32_e32 v12, 32, v12
	s_delay_alu instid0(VALU_DEP_1) | instskip(SKIP_1) | instid1(VALU_DEP_2)
	v_subrev_nc_u32_e32 v30, 28, v12
	v_sub_nc_u32_e32 v12, 29, v12
	v_lshlrev_b64 v[30:31], v30, v[3:4]
	s_delay_alu instid0(VALU_DEP_1)
	v_and_b32_e32 v3, 7, v30
; %bb.68:                               ;   in Loop: Header=BB358_11 Depth=1
	s_or_b32 exec_lo, exec_lo, s43
	v_lshlrev_b32_e32 v11, 8, v11
	v_lshl_add_u32 v12, v12, 10, 0x2000
	s_delay_alu instid0(VALU_DEP_1) | instskip(NEXT) | instid1(VALU_DEP_1)
	v_and_or_b32 v11, 0x8000, v11, v12
	v_lshl_or_b32 v3, v3, 7, v11
	s_delay_alu instid0(VALU_DEP_1)
	v_cvt_f32_f16_e32 v30, v3
.LBB358_69:                             ;   in Loop: Header=BB358_11 Depth=1
	s_or_b32 exec_lo, exec_lo, s42
.LBB358_70:                             ;   in Loop: Header=BB358_11 Depth=1
	s_delay_alu instid0(SALU_CYCLE_1)
	s_or_b32 exec_lo, exec_lo, s41
.LBB358_71:                             ;   in Loop: Header=BB358_11 Depth=1
	s_delay_alu instid0(SALU_CYCLE_1) | instskip(SKIP_4) | instid1(VALU_DEP_1)
	s_or_b32 exec_lo, exec_lo, s1
	global_load_b64 v[11:12], v[9:10], off offset:8
	s_mov_b32 s1, exec_lo
	s_waitcnt vmcnt(0)
	v_and_b32_e32 v3, 0xff, v11
	v_cmpx_ne_u16_e32 0, v3
	s_cbranch_execz .LBB358_77
; %bb.72:                               ;   in Loop: Header=BB358_11 Depth=1
	v_bfrev_b32_e32 v29, 1
	s_mov_b32 s41, exec_lo
	v_cmpx_ne_u16_e32 0x80, v3
	s_cbranch_execz .LBB358_76
; %bb.73:                               ;   in Loop: Header=BB358_11 Depth=1
	v_and_b32_e32 v3, 0x7f, v11
	v_mov_b32_e32 v29, 0x7fc02000
	s_mov_b32 s42, exec_lo
	s_delay_alu instid0(VALU_DEP_2)
	v_cmpx_ne_u32_e32 0x7f, v3
	s_cbranch_execz .LBB358_75
; %bb.74:                               ;   in Loop: Header=BB358_11 Depth=1
	v_and_b32_e32 v29, 7, v11
	v_cmp_gt_u32_e64 s0, 8, v3
	v_lshrrev_b32_e32 v31, 3, v3
	s_delay_alu instid0(VALU_DEP_3) | instskip(NEXT) | instid1(VALU_DEP_1)
	v_clz_i32_u32_e32 v29, v29
	v_min_u32_e32 v29, 32, v29
	s_delay_alu instid0(VALU_DEP_1) | instskip(SKIP_1) | instid1(VALU_DEP_2)
	v_subrev_nc_u32_e32 v32, 28, v29
	v_sub_nc_u32_e32 v29, 29, v29
	v_cndmask_b32_e64 v3, 0, v32, s0
	s_delay_alu instid0(VALU_DEP_2) | instskip(NEXT) | instid1(VALU_DEP_2)
	v_cndmask_b32_e64 v29, v31, v29, s0
	v_lshlrev_b64 v[31:32], v3, v[11:12]
	v_lshlrev_b32_e32 v3, 8, v11
	s_delay_alu instid0(VALU_DEP_3) | instskip(NEXT) | instid1(VALU_DEP_3)
	v_lshl_add_u32 v29, v29, 10, 0x2000
	v_lshlrev_b32_e32 v31, 7, v31
	s_delay_alu instid0(VALU_DEP_2) | instskip(NEXT) | instid1(VALU_DEP_1)
	v_and_or_b32 v3, 0x8000, v3, v29
	v_and_or_b32 v3, 0x380, v31, v3
	s_delay_alu instid0(VALU_DEP_1)
	v_cvt_f32_f16_e32 v29, v3
.LBB358_75:                             ;   in Loop: Header=BB358_11 Depth=1
	s_or_b32 exec_lo, exec_lo, s42
.LBB358_76:                             ;   in Loop: Header=BB358_11 Depth=1
	s_delay_alu instid0(SALU_CYCLE_1)
	s_or_b32 exec_lo, exec_lo, s41
.LBB358_77:                             ;   in Loop: Header=BB358_11 Depth=1
	s_delay_alu instid0(SALU_CYCLE_1) | instskip(SKIP_3) | instid1(VALU_DEP_2)
	s_or_b32 exec_lo, exec_lo, s1
	v_lshrrev_b16 v3, 8, v11
	v_dual_mov_b32 v31, 0 :: v_dual_mov_b32 v32, 0
	s_mov_b32 s1, exec_lo
	v_cmpx_ne_u16_e32 0, v3
	s_cbranch_execz .LBB358_85
; %bb.78:                               ;   in Loop: Header=BB358_11 Depth=1
	v_bfrev_b32_e32 v32, 1
	s_mov_b32 s41, exec_lo
	v_cmpx_ne_u16_e32 0x80, v3
	s_cbranch_execz .LBB358_84
; %bb.79:                               ;   in Loop: Header=BB358_11 Depth=1
	v_and_b32_e32 v33, 0xffff, v3
	v_mov_b32_e32 v32, 0x7fc02000
	s_mov_b32 s42, exec_lo
	s_delay_alu instid0(VALU_DEP_2) | instskip(NEXT) | instid1(VALU_DEP_1)
	v_and_b32_e32 v34, 0x7f, v33
	v_cmpx_ne_u32_e32 0x7f, v34
	s_cbranch_execz .LBB358_83
; %bb.80:                               ;   in Loop: Header=BB358_11 Depth=1
	v_and_b32_e32 v3, 7, v33
	v_lshrrev_b32_e32 v32, 3, v34
	s_mov_b32 s43, exec_lo
	v_cmpx_gt_u32_e32 8, v34
; %bb.81:                               ;   in Loop: Header=BB358_11 Depth=1
	s_delay_alu instid0(VALU_DEP_3) | instskip(NEXT) | instid1(VALU_DEP_1)
	v_clz_i32_u32_e32 v32, v3
	v_min_u32_e32 v32, 32, v32
	s_delay_alu instid0(VALU_DEP_1) | instskip(SKIP_1) | instid1(VALU_DEP_2)
	v_subrev_nc_u32_e32 v34, 28, v32
	v_sub_nc_u32_e32 v32, 29, v32
	v_lshlrev_b64 v[34:35], v34, v[3:4]
	s_delay_alu instid0(VALU_DEP_1)
	v_and_b32_e32 v3, 7, v34
; %bb.82:                               ;   in Loop: Header=BB358_11 Depth=1
	s_or_b32 exec_lo, exec_lo, s43
	v_lshlrev_b32_e32 v33, 8, v33
	v_lshl_add_u32 v32, v32, 10, 0x2000
	s_delay_alu instid0(VALU_DEP_1) | instskip(NEXT) | instid1(VALU_DEP_1)
	v_and_or_b32 v32, 0x8000, v33, v32
	v_lshl_or_b32 v3, v3, 7, v32
	s_delay_alu instid0(VALU_DEP_1)
	v_cvt_f32_f16_e32 v32, v3
.LBB358_83:                             ;   in Loop: Header=BB358_11 Depth=1
	s_or_b32 exec_lo, exec_lo, s42
.LBB358_84:                             ;   in Loop: Header=BB358_11 Depth=1
	s_delay_alu instid0(SALU_CYCLE_1)
	s_or_b32 exec_lo, exec_lo, s41
.LBB358_85:                             ;   in Loop: Header=BB358_11 Depth=1
	s_delay_alu instid0(SALU_CYCLE_1) | instskip(SKIP_2) | instid1(VALU_DEP_1)
	s_or_b32 exec_lo, exec_lo, s1
	v_lshrrev_b32_e32 v33, 16, v11
	s_mov_b32 s1, exec_lo
	v_and_b32_e32 v3, 0xff, v33
	s_delay_alu instid0(VALU_DEP_1)
	v_cmpx_ne_u16_e32 0, v3
	s_cbranch_execz .LBB358_93
; %bb.86:                               ;   in Loop: Header=BB358_11 Depth=1
	v_bfrev_b32_e32 v31, 1
	s_mov_b32 s41, exec_lo
	v_cmpx_ne_u16_e32 0x80, v3
	s_cbranch_execz .LBB358_92
; %bb.87:                               ;   in Loop: Header=BB358_11 Depth=1
	v_bfe_u32 v34, v11, 16, 7
	v_mov_b32_e32 v31, 0x7fc02000
	s_mov_b32 s42, exec_lo
	s_delay_alu instid0(VALU_DEP_2)
	v_cmpx_ne_u32_e32 0x7f, v34
	s_cbranch_execz .LBB358_91
; %bb.88:                               ;   in Loop: Header=BB358_11 Depth=1
	v_and_b32_e32 v3, 7, v33
	v_lshrrev_b32_e32 v31, 3, v34
	s_mov_b32 s43, exec_lo
	v_cmpx_gt_u32_e32 8, v34
; %bb.89:                               ;   in Loop: Header=BB358_11 Depth=1
	s_delay_alu instid0(VALU_DEP_3) | instskip(NEXT) | instid1(VALU_DEP_1)
	v_clz_i32_u32_e32 v31, v3
	v_min_u32_e32 v31, 32, v31
	s_delay_alu instid0(VALU_DEP_1) | instskip(SKIP_1) | instid1(VALU_DEP_2)
	v_subrev_nc_u32_e32 v34, 28, v31
	v_sub_nc_u32_e32 v31, 29, v31
	v_lshlrev_b64 v[34:35], v34, v[3:4]
	s_delay_alu instid0(VALU_DEP_1)
	v_and_b32_e32 v3, 7, v34
; %bb.90:                               ;   in Loop: Header=BB358_11 Depth=1
	s_or_b32 exec_lo, exec_lo, s43
	v_lshlrev_b32_e32 v33, 8, v33
	v_lshl_add_u32 v31, v31, 10, 0x2000
	s_delay_alu instid0(VALU_DEP_1) | instskip(NEXT) | instid1(VALU_DEP_1)
	v_and_or_b32 v31, 0x8000, v33, v31
	v_lshl_or_b32 v3, v3, 7, v31
	s_delay_alu instid0(VALU_DEP_1)
	v_cvt_f32_f16_e32 v31, v3
.LBB358_91:                             ;   in Loop: Header=BB358_11 Depth=1
	s_or_b32 exec_lo, exec_lo, s42
.LBB358_92:                             ;   in Loop: Header=BB358_11 Depth=1
	s_delay_alu instid0(SALU_CYCLE_1)
	s_or_b32 exec_lo, exec_lo, s41
.LBB358_93:                             ;   in Loop: Header=BB358_11 Depth=1
	s_delay_alu instid0(SALU_CYCLE_1)
	s_or_b32 exec_lo, exec_lo, s1
	v_dual_mov_b32 v33, 0 :: v_dual_mov_b32 v34, 0
	s_mov_b32 s1, exec_lo
	v_cmpx_lt_u32_e32 0xffffff, v11
	s_cbranch_execz .LBB358_101
; %bb.94:                               ;   in Loop: Header=BB358_11 Depth=1
	v_lshrrev_b32_e32 v35, 24, v11
	v_bfrev_b32_e32 v34, 1
	s_mov_b32 s41, exec_lo
	s_delay_alu instid0(VALU_DEP_2)
	v_cmpx_ne_u32_e32 0x80, v35
	s_cbranch_execz .LBB358_100
; %bb.95:                               ;   in Loop: Header=BB358_11 Depth=1
	v_and_b32_e32 v36, 0x7f, v35
	v_mov_b32_e32 v34, 0x7fc02000
	s_mov_b32 s42, exec_lo
	s_delay_alu instid0(VALU_DEP_2)
	v_cmpx_ne_u32_e32 0x7f, v36
	s_cbranch_execz .LBB358_99
; %bb.96:                               ;   in Loop: Header=BB358_11 Depth=1
	v_and_b32_e32 v3, 7, v35
	v_lshrrev_b32_e32 v34, 3, v36
	s_mov_b32 s43, exec_lo
	v_cmpx_gt_u32_e32 8, v36
; %bb.97:                               ;   in Loop: Header=BB358_11 Depth=1
	s_delay_alu instid0(VALU_DEP_3) | instskip(NEXT) | instid1(VALU_DEP_1)
	v_clz_i32_u32_e32 v34, v3
	v_min_u32_e32 v34, 32, v34
	s_delay_alu instid0(VALU_DEP_1) | instskip(SKIP_1) | instid1(VALU_DEP_2)
	v_subrev_nc_u32_e32 v36, 28, v34
	v_sub_nc_u32_e32 v34, 29, v34
	v_lshlrev_b64 v[36:37], v36, v[3:4]
	s_delay_alu instid0(VALU_DEP_1)
	v_and_b32_e32 v3, 7, v36
; %bb.98:                               ;   in Loop: Header=BB358_11 Depth=1
	s_or_b32 exec_lo, exec_lo, s43
	v_lshlrev_b32_e32 v35, 8, v35
	v_lshl_add_u32 v34, v34, 10, 0x2000
	s_delay_alu instid0(VALU_DEP_1) | instskip(NEXT) | instid1(VALU_DEP_1)
	v_and_or_b32 v34, 0x8000, v35, v34
	v_lshl_or_b32 v3, v3, 7, v34
	s_delay_alu instid0(VALU_DEP_1)
	v_cvt_f32_f16_e32 v34, v3
.LBB358_99:                             ;   in Loop: Header=BB358_11 Depth=1
	s_or_b32 exec_lo, exec_lo, s42
.LBB358_100:                            ;   in Loop: Header=BB358_11 Depth=1
	s_delay_alu instid0(SALU_CYCLE_1)
	s_or_b32 exec_lo, exec_lo, s41
.LBB358_101:                            ;   in Loop: Header=BB358_11 Depth=1
	s_delay_alu instid0(SALU_CYCLE_1) | instskip(SKIP_3) | instid1(VALU_DEP_2)
	s_or_b32 exec_lo, exec_lo, s1
	v_and_b32_e32 v35, 0xff, v12
	v_mov_b32_e32 v3, v12
	s_mov_b32 s1, exec_lo
	v_cmpx_ne_u16_e32 0, v35
	s_cbranch_execz .LBB358_107
; %bb.102:                              ;   in Loop: Header=BB358_11 Depth=1
	v_bfrev_b32_e32 v33, 1
	s_mov_b32 s41, exec_lo
	v_cmpx_ne_u16_e32 0x80, v35
	s_cbranch_execz .LBB358_106
; %bb.103:                              ;   in Loop: Header=BB358_11 Depth=1
	v_and_b32_e32 v35, 0x7f, v12
	v_mov_b32_e32 v33, 0x7fc02000
	s_mov_b32 s42, exec_lo
	s_delay_alu instid0(VALU_DEP_2)
	v_cmpx_ne_u32_e32 0x7f, v35
	s_cbranch_execz .LBB358_105
; %bb.104:                              ;   in Loop: Header=BB358_11 Depth=1
	v_and_b32_e32 v33, 7, v12
	v_cmp_gt_u32_e64 s0, 8, v35
	v_lshrrev_b32_e32 v36, 3, v35
	s_delay_alu instid0(VALU_DEP_3) | instskip(NEXT) | instid1(VALU_DEP_1)
	v_clz_i32_u32_e32 v33, v33
	v_min_u32_e32 v33, 32, v33
	s_delay_alu instid0(VALU_DEP_1) | instskip(SKIP_1) | instid1(VALU_DEP_2)
	v_subrev_nc_u32_e32 v37, 28, v33
	v_sub_nc_u32_e32 v33, 29, v33
	v_cndmask_b32_e64 v35, 0, v37, s0
	s_delay_alu instid0(VALU_DEP_2) | instskip(NEXT) | instid1(VALU_DEP_2)
	v_cndmask_b32_e64 v33, v36, v33, s0
	v_lshlrev_b64 v[35:36], v35, v[3:4]
	v_lshlrev_b32_e32 v36, 8, v12
	s_delay_alu instid0(VALU_DEP_3) | instskip(NEXT) | instid1(VALU_DEP_3)
	v_lshl_add_u32 v33, v33, 10, 0x2000
	v_lshlrev_b32_e32 v35, 7, v35
	s_delay_alu instid0(VALU_DEP_2) | instskip(NEXT) | instid1(VALU_DEP_1)
	v_and_or_b32 v33, 0x8000, v36, v33
	v_and_or_b32 v33, 0x380, v35, v33
	s_delay_alu instid0(VALU_DEP_1)
	v_cvt_f32_f16_e32 v33, v33
.LBB358_105:                            ;   in Loop: Header=BB358_11 Depth=1
	s_or_b32 exec_lo, exec_lo, s42
.LBB358_106:                            ;   in Loop: Header=BB358_11 Depth=1
	s_delay_alu instid0(SALU_CYCLE_1)
	s_or_b32 exec_lo, exec_lo, s41
.LBB358_107:                            ;   in Loop: Header=BB358_11 Depth=1
	s_delay_alu instid0(SALU_CYCLE_1) | instskip(SKIP_3) | instid1(VALU_DEP_2)
	s_or_b32 exec_lo, exec_lo, s1
	v_lshrrev_b16 v3, 8, v3
	v_dual_mov_b32 v35, 0 :: v_dual_mov_b32 v36, 0
	s_mov_b32 s1, exec_lo
	v_cmpx_ne_u16_e32 0, v3
	s_cbranch_execz .LBB358_115
; %bb.108:                              ;   in Loop: Header=BB358_11 Depth=1
	v_bfrev_b32_e32 v36, 1
	s_mov_b32 s41, exec_lo
	v_cmpx_ne_u16_e32 0x80, v3
	s_cbranch_execz .LBB358_114
; %bb.109:                              ;   in Loop: Header=BB358_11 Depth=1
	v_and_b32_e32 v37, 0xffff, v3
	v_mov_b32_e32 v36, 0x7fc02000
	s_mov_b32 s42, exec_lo
	s_delay_alu instid0(VALU_DEP_2) | instskip(NEXT) | instid1(VALU_DEP_1)
	v_and_b32_e32 v38, 0x7f, v37
	v_cmpx_ne_u32_e32 0x7f, v38
	s_cbranch_execz .LBB358_113
; %bb.110:                              ;   in Loop: Header=BB358_11 Depth=1
	v_and_b32_e32 v3, 7, v37
	v_lshrrev_b32_e32 v36, 3, v38
	s_mov_b32 s43, exec_lo
	v_cmpx_gt_u32_e32 8, v38
; %bb.111:                              ;   in Loop: Header=BB358_11 Depth=1
	s_delay_alu instid0(VALU_DEP_3) | instskip(NEXT) | instid1(VALU_DEP_1)
	v_clz_i32_u32_e32 v36, v3
	v_min_u32_e32 v36, 32, v36
	s_delay_alu instid0(VALU_DEP_1) | instskip(SKIP_1) | instid1(VALU_DEP_2)
	v_subrev_nc_u32_e32 v38, 28, v36
	v_sub_nc_u32_e32 v36, 29, v36
	v_lshlrev_b64 v[38:39], v38, v[3:4]
	s_delay_alu instid0(VALU_DEP_1)
	v_and_b32_e32 v3, 7, v38
; %bb.112:                              ;   in Loop: Header=BB358_11 Depth=1
	s_or_b32 exec_lo, exec_lo, s43
	v_lshlrev_b32_e32 v37, 8, v37
	v_lshl_add_u32 v36, v36, 10, 0x2000
	s_delay_alu instid0(VALU_DEP_1) | instskip(NEXT) | instid1(VALU_DEP_1)
	v_and_or_b32 v36, 0x8000, v37, v36
	v_lshl_or_b32 v3, v3, 7, v36
	s_delay_alu instid0(VALU_DEP_1)
	v_cvt_f32_f16_e32 v36, v3
.LBB358_113:                            ;   in Loop: Header=BB358_11 Depth=1
	s_or_b32 exec_lo, exec_lo, s42
.LBB358_114:                            ;   in Loop: Header=BB358_11 Depth=1
	s_delay_alu instid0(SALU_CYCLE_1)
	s_or_b32 exec_lo, exec_lo, s41
.LBB358_115:                            ;   in Loop: Header=BB358_11 Depth=1
	s_delay_alu instid0(SALU_CYCLE_1) | instskip(SKIP_2) | instid1(VALU_DEP_1)
	s_or_b32 exec_lo, exec_lo, s1
	v_lshrrev_b32_e32 v37, 16, v12
	s_mov_b32 s1, exec_lo
	v_and_b32_e32 v3, 0xff, v37
	s_delay_alu instid0(VALU_DEP_1)
	v_cmpx_ne_u16_e32 0, v3
	s_cbranch_execz .LBB358_123
; %bb.116:                              ;   in Loop: Header=BB358_11 Depth=1
	v_bfrev_b32_e32 v35, 1
	s_mov_b32 s41, exec_lo
	v_cmpx_ne_u16_e32 0x80, v3
	s_cbranch_execz .LBB358_122
; %bb.117:                              ;   in Loop: Header=BB358_11 Depth=1
	v_bfe_u32 v38, v12, 16, 7
	v_mov_b32_e32 v35, 0x7fc02000
	s_mov_b32 s42, exec_lo
	s_delay_alu instid0(VALU_DEP_2)
	v_cmpx_ne_u32_e32 0x7f, v38
	s_cbranch_execz .LBB358_121
; %bb.118:                              ;   in Loop: Header=BB358_11 Depth=1
	v_and_b32_e32 v3, 7, v37
	v_lshrrev_b32_e32 v35, 3, v38
	s_mov_b32 s43, exec_lo
	v_cmpx_gt_u32_e32 8, v38
; %bb.119:                              ;   in Loop: Header=BB358_11 Depth=1
	s_delay_alu instid0(VALU_DEP_3) | instskip(NEXT) | instid1(VALU_DEP_1)
	v_clz_i32_u32_e32 v35, v3
	v_min_u32_e32 v35, 32, v35
	s_delay_alu instid0(VALU_DEP_1) | instskip(SKIP_1) | instid1(VALU_DEP_2)
	v_subrev_nc_u32_e32 v38, 28, v35
	v_sub_nc_u32_e32 v35, 29, v35
	v_lshlrev_b64 v[38:39], v38, v[3:4]
	s_delay_alu instid0(VALU_DEP_1)
	v_and_b32_e32 v3, 7, v38
; %bb.120:                              ;   in Loop: Header=BB358_11 Depth=1
	s_or_b32 exec_lo, exec_lo, s43
	v_lshlrev_b32_e32 v37, 8, v37
	v_lshl_add_u32 v35, v35, 10, 0x2000
	s_delay_alu instid0(VALU_DEP_1) | instskip(NEXT) | instid1(VALU_DEP_1)
	v_and_or_b32 v35, 0x8000, v37, v35
	v_lshl_or_b32 v3, v3, 7, v35
	s_delay_alu instid0(VALU_DEP_1)
	v_cvt_f32_f16_e32 v35, v3
.LBB358_121:                            ;   in Loop: Header=BB358_11 Depth=1
	s_or_b32 exec_lo, exec_lo, s42
.LBB358_122:                            ;   in Loop: Header=BB358_11 Depth=1
	s_delay_alu instid0(SALU_CYCLE_1)
	s_or_b32 exec_lo, exec_lo, s41
.LBB358_123:                            ;   in Loop: Header=BB358_11 Depth=1
	s_delay_alu instid0(SALU_CYCLE_1)
	s_or_b32 exec_lo, exec_lo, s1
	v_dual_mov_b32 v37, 0 :: v_dual_mov_b32 v38, 0
	s_mov_b32 s1, exec_lo
	v_cmpx_lt_u64_e64 s[10:11], v[11:12]
	s_cbranch_execz .LBB358_131
; %bb.124:                              ;   in Loop: Header=BB358_11 Depth=1
	v_lshrrev_b32_e32 v11, 24, v12
	v_bfrev_b32_e32 v38, 1
	s_mov_b32 s41, exec_lo
	s_delay_alu instid0(VALU_DEP_2)
	v_cmpx_ne_u32_e32 0x80, v11
	s_cbranch_execz .LBB358_130
; %bb.125:                              ;   in Loop: Header=BB358_11 Depth=1
	v_and_b32_e32 v39, 0x7f, v11
	v_mov_b32_e32 v38, 0x7fc02000
	s_mov_b32 s42, exec_lo
	s_delay_alu instid0(VALU_DEP_2)
	v_cmpx_ne_u32_e32 0x7f, v39
	s_cbranch_execz .LBB358_129
; %bb.126:                              ;   in Loop: Header=BB358_11 Depth=1
	v_and_b32_e32 v3, 7, v11
	v_lshrrev_b32_e32 v12, 3, v39
	s_mov_b32 s43, exec_lo
	v_cmpx_gt_u32_e32 8, v39
; %bb.127:                              ;   in Loop: Header=BB358_11 Depth=1
	s_delay_alu instid0(VALU_DEP_3) | instskip(NEXT) | instid1(VALU_DEP_1)
	v_clz_i32_u32_e32 v12, v3
	v_min_u32_e32 v12, 32, v12
	s_delay_alu instid0(VALU_DEP_1) | instskip(SKIP_1) | instid1(VALU_DEP_2)
	v_subrev_nc_u32_e32 v38, 28, v12
	v_sub_nc_u32_e32 v12, 29, v12
	v_lshlrev_b64 v[38:39], v38, v[3:4]
	s_delay_alu instid0(VALU_DEP_1)
	v_and_b32_e32 v3, 7, v38
; %bb.128:                              ;   in Loop: Header=BB358_11 Depth=1
	s_or_b32 exec_lo, exec_lo, s43
	v_lshlrev_b32_e32 v11, 8, v11
	v_lshl_add_u32 v12, v12, 10, 0x2000
	s_delay_alu instid0(VALU_DEP_1) | instskip(NEXT) | instid1(VALU_DEP_1)
	v_and_or_b32 v11, 0x8000, v11, v12
	v_lshl_or_b32 v3, v3, 7, v11
	s_delay_alu instid0(VALU_DEP_1)
	v_cvt_f32_f16_e32 v38, v3
.LBB358_129:                            ;   in Loop: Header=BB358_11 Depth=1
	s_or_b32 exec_lo, exec_lo, s42
.LBB358_130:                            ;   in Loop: Header=BB358_11 Depth=1
	s_delay_alu instid0(SALU_CYCLE_1)
	s_or_b32 exec_lo, exec_lo, s41
.LBB358_131:                            ;   in Loop: Header=BB358_11 Depth=1
	s_delay_alu instid0(SALU_CYCLE_1) | instskip(SKIP_4) | instid1(VALU_DEP_1)
	s_or_b32 exec_lo, exec_lo, s1
	global_load_b64 v[11:12], v[9:10], off offset:512
	s_mov_b32 s1, exec_lo
	s_waitcnt vmcnt(0)
	v_and_b32_e32 v3, 0xff, v11
	v_cmpx_ne_u16_e32 0, v3
	s_cbranch_execz .LBB358_137
; %bb.132:                              ;   in Loop: Header=BB358_11 Depth=1
	v_bfrev_b32_e32 v37, 1
	s_mov_b32 s41, exec_lo
	v_cmpx_ne_u16_e32 0x80, v3
	s_cbranch_execz .LBB358_136
; %bb.133:                              ;   in Loop: Header=BB358_11 Depth=1
	v_and_b32_e32 v3, 0x7f, v11
	v_mov_b32_e32 v37, 0x7fc02000
	s_mov_b32 s42, exec_lo
	s_delay_alu instid0(VALU_DEP_2)
	v_cmpx_ne_u32_e32 0x7f, v3
	s_cbranch_execz .LBB358_135
; %bb.134:                              ;   in Loop: Header=BB358_11 Depth=1
	v_and_b32_e32 v37, 7, v11
	v_cmp_gt_u32_e64 s0, 8, v3
	v_lshrrev_b32_e32 v39, 3, v3
	s_delay_alu instid0(VALU_DEP_3) | instskip(NEXT) | instid1(VALU_DEP_1)
	v_clz_i32_u32_e32 v37, v37
	v_min_u32_e32 v37, 32, v37
	s_delay_alu instid0(VALU_DEP_1) | instskip(SKIP_1) | instid1(VALU_DEP_2)
	v_subrev_nc_u32_e32 v40, 28, v37
	v_sub_nc_u32_e32 v37, 29, v37
	v_cndmask_b32_e64 v3, 0, v40, s0
	s_delay_alu instid0(VALU_DEP_2) | instskip(NEXT) | instid1(VALU_DEP_2)
	v_cndmask_b32_e64 v37, v39, v37, s0
	v_lshlrev_b64 v[39:40], v3, v[11:12]
	v_lshlrev_b32_e32 v3, 8, v11
	s_delay_alu instid0(VALU_DEP_3) | instskip(NEXT) | instid1(VALU_DEP_3)
	v_lshl_add_u32 v37, v37, 10, 0x2000
	v_lshlrev_b32_e32 v39, 7, v39
	s_delay_alu instid0(VALU_DEP_2) | instskip(NEXT) | instid1(VALU_DEP_1)
	v_and_or_b32 v3, 0x8000, v3, v37
	v_and_or_b32 v3, 0x380, v39, v3
	s_delay_alu instid0(VALU_DEP_1)
	v_cvt_f32_f16_e32 v37, v3
.LBB358_135:                            ;   in Loop: Header=BB358_11 Depth=1
	s_or_b32 exec_lo, exec_lo, s42
.LBB358_136:                            ;   in Loop: Header=BB358_11 Depth=1
	s_delay_alu instid0(SALU_CYCLE_1)
	s_or_b32 exec_lo, exec_lo, s41
.LBB358_137:                            ;   in Loop: Header=BB358_11 Depth=1
	s_delay_alu instid0(SALU_CYCLE_1) | instskip(SKIP_3) | instid1(VALU_DEP_2)
	s_or_b32 exec_lo, exec_lo, s1
	v_lshrrev_b16 v3, 8, v11
	v_dual_mov_b32 v39, 0 :: v_dual_mov_b32 v40, 0
	s_mov_b32 s1, exec_lo
	v_cmpx_ne_u16_e32 0, v3
	s_cbranch_execz .LBB358_145
; %bb.138:                              ;   in Loop: Header=BB358_11 Depth=1
	v_bfrev_b32_e32 v40, 1
	s_mov_b32 s41, exec_lo
	v_cmpx_ne_u16_e32 0x80, v3
	s_cbranch_execz .LBB358_144
; %bb.139:                              ;   in Loop: Header=BB358_11 Depth=1
	v_and_b32_e32 v41, 0xffff, v3
	v_mov_b32_e32 v40, 0x7fc02000
	s_mov_b32 s42, exec_lo
	s_delay_alu instid0(VALU_DEP_2) | instskip(NEXT) | instid1(VALU_DEP_1)
	v_and_b32_e32 v42, 0x7f, v41
	v_cmpx_ne_u32_e32 0x7f, v42
	s_cbranch_execz .LBB358_143
; %bb.140:                              ;   in Loop: Header=BB358_11 Depth=1
	v_and_b32_e32 v3, 7, v41
	v_lshrrev_b32_e32 v40, 3, v42
	s_mov_b32 s43, exec_lo
	v_cmpx_gt_u32_e32 8, v42
; %bb.141:                              ;   in Loop: Header=BB358_11 Depth=1
	s_delay_alu instid0(VALU_DEP_3) | instskip(NEXT) | instid1(VALU_DEP_1)
	v_clz_i32_u32_e32 v40, v3
	v_min_u32_e32 v40, 32, v40
	s_delay_alu instid0(VALU_DEP_1) | instskip(SKIP_1) | instid1(VALU_DEP_2)
	v_subrev_nc_u32_e32 v42, 28, v40
	v_sub_nc_u32_e32 v40, 29, v40
	v_lshlrev_b64 v[42:43], v42, v[3:4]
	s_delay_alu instid0(VALU_DEP_1)
	v_and_b32_e32 v3, 7, v42
; %bb.142:                              ;   in Loop: Header=BB358_11 Depth=1
	s_or_b32 exec_lo, exec_lo, s43
	v_lshlrev_b32_e32 v41, 8, v41
	v_lshl_add_u32 v40, v40, 10, 0x2000
	s_delay_alu instid0(VALU_DEP_1) | instskip(NEXT) | instid1(VALU_DEP_1)
	v_and_or_b32 v40, 0x8000, v41, v40
	v_lshl_or_b32 v3, v3, 7, v40
	s_delay_alu instid0(VALU_DEP_1)
	v_cvt_f32_f16_e32 v40, v3
.LBB358_143:                            ;   in Loop: Header=BB358_11 Depth=1
	s_or_b32 exec_lo, exec_lo, s42
.LBB358_144:                            ;   in Loop: Header=BB358_11 Depth=1
	s_delay_alu instid0(SALU_CYCLE_1)
	s_or_b32 exec_lo, exec_lo, s41
.LBB358_145:                            ;   in Loop: Header=BB358_11 Depth=1
	s_delay_alu instid0(SALU_CYCLE_1) | instskip(SKIP_2) | instid1(VALU_DEP_1)
	s_or_b32 exec_lo, exec_lo, s1
	v_lshrrev_b32_e32 v41, 16, v11
	s_mov_b32 s1, exec_lo
	v_and_b32_e32 v3, 0xff, v41
	s_delay_alu instid0(VALU_DEP_1)
	v_cmpx_ne_u16_e32 0, v3
	s_cbranch_execz .LBB358_153
; %bb.146:                              ;   in Loop: Header=BB358_11 Depth=1
	v_bfrev_b32_e32 v39, 1
	s_mov_b32 s41, exec_lo
	v_cmpx_ne_u16_e32 0x80, v3
	s_cbranch_execz .LBB358_152
; %bb.147:                              ;   in Loop: Header=BB358_11 Depth=1
	v_bfe_u32 v42, v11, 16, 7
	v_mov_b32_e32 v39, 0x7fc02000
	s_mov_b32 s42, exec_lo
	s_delay_alu instid0(VALU_DEP_2)
	v_cmpx_ne_u32_e32 0x7f, v42
	s_cbranch_execz .LBB358_151
; %bb.148:                              ;   in Loop: Header=BB358_11 Depth=1
	v_and_b32_e32 v3, 7, v41
	v_lshrrev_b32_e32 v39, 3, v42
	s_mov_b32 s43, exec_lo
	v_cmpx_gt_u32_e32 8, v42
; %bb.149:                              ;   in Loop: Header=BB358_11 Depth=1
	s_delay_alu instid0(VALU_DEP_3) | instskip(NEXT) | instid1(VALU_DEP_1)
	v_clz_i32_u32_e32 v39, v3
	v_min_u32_e32 v39, 32, v39
	s_delay_alu instid0(VALU_DEP_1) | instskip(SKIP_1) | instid1(VALU_DEP_2)
	v_subrev_nc_u32_e32 v42, 28, v39
	v_sub_nc_u32_e32 v39, 29, v39
	v_lshlrev_b64 v[42:43], v42, v[3:4]
	s_delay_alu instid0(VALU_DEP_1)
	v_and_b32_e32 v3, 7, v42
; %bb.150:                              ;   in Loop: Header=BB358_11 Depth=1
	s_or_b32 exec_lo, exec_lo, s43
	v_lshlrev_b32_e32 v41, 8, v41
	v_lshl_add_u32 v39, v39, 10, 0x2000
	s_delay_alu instid0(VALU_DEP_1) | instskip(NEXT) | instid1(VALU_DEP_1)
	v_and_or_b32 v39, 0x8000, v41, v39
	v_lshl_or_b32 v3, v3, 7, v39
	s_delay_alu instid0(VALU_DEP_1)
	v_cvt_f32_f16_e32 v39, v3
.LBB358_151:                            ;   in Loop: Header=BB358_11 Depth=1
	s_or_b32 exec_lo, exec_lo, s42
.LBB358_152:                            ;   in Loop: Header=BB358_11 Depth=1
	s_delay_alu instid0(SALU_CYCLE_1)
	s_or_b32 exec_lo, exec_lo, s41
.LBB358_153:                            ;   in Loop: Header=BB358_11 Depth=1
	s_delay_alu instid0(SALU_CYCLE_1)
	s_or_b32 exec_lo, exec_lo, s1
	v_dual_mov_b32 v41, 0 :: v_dual_mov_b32 v42, 0
	s_mov_b32 s1, exec_lo
	v_cmpx_lt_u32_e32 0xffffff, v11
	s_cbranch_execz .LBB358_161
; %bb.154:                              ;   in Loop: Header=BB358_11 Depth=1
	v_lshrrev_b32_e32 v43, 24, v11
	v_bfrev_b32_e32 v42, 1
	s_mov_b32 s41, exec_lo
	s_delay_alu instid0(VALU_DEP_2)
	v_cmpx_ne_u32_e32 0x80, v43
	s_cbranch_execz .LBB358_160
; %bb.155:                              ;   in Loop: Header=BB358_11 Depth=1
	v_and_b32_e32 v44, 0x7f, v43
	v_mov_b32_e32 v42, 0x7fc02000
	s_mov_b32 s42, exec_lo
	s_delay_alu instid0(VALU_DEP_2)
	v_cmpx_ne_u32_e32 0x7f, v44
	s_cbranch_execz .LBB358_159
; %bb.156:                              ;   in Loop: Header=BB358_11 Depth=1
	v_and_b32_e32 v3, 7, v43
	v_lshrrev_b32_e32 v42, 3, v44
	s_mov_b32 s43, exec_lo
	v_cmpx_gt_u32_e32 8, v44
; %bb.157:                              ;   in Loop: Header=BB358_11 Depth=1
	s_delay_alu instid0(VALU_DEP_3) | instskip(NEXT) | instid1(VALU_DEP_1)
	v_clz_i32_u32_e32 v42, v3
	v_min_u32_e32 v42, 32, v42
	s_delay_alu instid0(VALU_DEP_1) | instskip(SKIP_1) | instid1(VALU_DEP_2)
	v_subrev_nc_u32_e32 v44, 28, v42
	v_sub_nc_u32_e32 v42, 29, v42
	v_lshlrev_b64 v[44:45], v44, v[3:4]
	s_delay_alu instid0(VALU_DEP_1)
	v_and_b32_e32 v3, 7, v44
; %bb.158:                              ;   in Loop: Header=BB358_11 Depth=1
	s_or_b32 exec_lo, exec_lo, s43
	v_lshlrev_b32_e32 v43, 8, v43
	v_lshl_add_u32 v42, v42, 10, 0x2000
	s_delay_alu instid0(VALU_DEP_1) | instskip(NEXT) | instid1(VALU_DEP_1)
	v_and_or_b32 v42, 0x8000, v43, v42
	v_lshl_or_b32 v3, v3, 7, v42
	s_delay_alu instid0(VALU_DEP_1)
	v_cvt_f32_f16_e32 v42, v3
.LBB358_159:                            ;   in Loop: Header=BB358_11 Depth=1
	s_or_b32 exec_lo, exec_lo, s42
.LBB358_160:                            ;   in Loop: Header=BB358_11 Depth=1
	s_delay_alu instid0(SALU_CYCLE_1)
	s_or_b32 exec_lo, exec_lo, s41
.LBB358_161:                            ;   in Loop: Header=BB358_11 Depth=1
	s_delay_alu instid0(SALU_CYCLE_1) | instskip(SKIP_3) | instid1(VALU_DEP_2)
	s_or_b32 exec_lo, exec_lo, s1
	v_and_b32_e32 v43, 0xff, v12
	v_mov_b32_e32 v3, v12
	s_mov_b32 s1, exec_lo
	v_cmpx_ne_u16_e32 0, v43
	s_cbranch_execz .LBB358_167
; %bb.162:                              ;   in Loop: Header=BB358_11 Depth=1
	v_bfrev_b32_e32 v41, 1
	s_mov_b32 s41, exec_lo
	v_cmpx_ne_u16_e32 0x80, v43
	s_cbranch_execz .LBB358_166
; %bb.163:                              ;   in Loop: Header=BB358_11 Depth=1
	v_and_b32_e32 v43, 0x7f, v12
	v_mov_b32_e32 v41, 0x7fc02000
	s_mov_b32 s42, exec_lo
	s_delay_alu instid0(VALU_DEP_2)
	v_cmpx_ne_u32_e32 0x7f, v43
	s_cbranch_execz .LBB358_165
; %bb.164:                              ;   in Loop: Header=BB358_11 Depth=1
	v_and_b32_e32 v41, 7, v12
	v_cmp_gt_u32_e64 s0, 8, v43
	v_lshrrev_b32_e32 v44, 3, v43
	s_delay_alu instid0(VALU_DEP_3) | instskip(NEXT) | instid1(VALU_DEP_1)
	v_clz_i32_u32_e32 v41, v41
	v_min_u32_e32 v41, 32, v41
	s_delay_alu instid0(VALU_DEP_1) | instskip(SKIP_1) | instid1(VALU_DEP_2)
	v_subrev_nc_u32_e32 v45, 28, v41
	v_sub_nc_u32_e32 v41, 29, v41
	v_cndmask_b32_e64 v43, 0, v45, s0
	s_delay_alu instid0(VALU_DEP_2) | instskip(NEXT) | instid1(VALU_DEP_2)
	v_cndmask_b32_e64 v41, v44, v41, s0
	v_lshlrev_b64 v[43:44], v43, v[3:4]
	v_lshlrev_b32_e32 v44, 8, v12
	s_delay_alu instid0(VALU_DEP_3) | instskip(NEXT) | instid1(VALU_DEP_3)
	v_lshl_add_u32 v41, v41, 10, 0x2000
	v_lshlrev_b32_e32 v43, 7, v43
	s_delay_alu instid0(VALU_DEP_2) | instskip(NEXT) | instid1(VALU_DEP_1)
	v_and_or_b32 v41, 0x8000, v44, v41
	v_and_or_b32 v41, 0x380, v43, v41
	s_delay_alu instid0(VALU_DEP_1)
	v_cvt_f32_f16_e32 v41, v41
.LBB358_165:                            ;   in Loop: Header=BB358_11 Depth=1
	s_or_b32 exec_lo, exec_lo, s42
.LBB358_166:                            ;   in Loop: Header=BB358_11 Depth=1
	s_delay_alu instid0(SALU_CYCLE_1)
	s_or_b32 exec_lo, exec_lo, s41
.LBB358_167:                            ;   in Loop: Header=BB358_11 Depth=1
	s_delay_alu instid0(SALU_CYCLE_1) | instskip(SKIP_3) | instid1(VALU_DEP_2)
	s_or_b32 exec_lo, exec_lo, s1
	v_lshrrev_b16 v3, 8, v3
	v_dual_mov_b32 v43, 0 :: v_dual_mov_b32 v44, 0
	s_mov_b32 s1, exec_lo
	v_cmpx_ne_u16_e32 0, v3
	s_cbranch_execz .LBB358_175
; %bb.168:                              ;   in Loop: Header=BB358_11 Depth=1
	v_bfrev_b32_e32 v44, 1
	s_mov_b32 s41, exec_lo
	v_cmpx_ne_u16_e32 0x80, v3
	s_cbranch_execz .LBB358_174
; %bb.169:                              ;   in Loop: Header=BB358_11 Depth=1
	v_and_b32_e32 v45, 0xffff, v3
	v_mov_b32_e32 v44, 0x7fc02000
	s_mov_b32 s42, exec_lo
	s_delay_alu instid0(VALU_DEP_2) | instskip(NEXT) | instid1(VALU_DEP_1)
	v_and_b32_e32 v46, 0x7f, v45
	v_cmpx_ne_u32_e32 0x7f, v46
	s_cbranch_execz .LBB358_173
; %bb.170:                              ;   in Loop: Header=BB358_11 Depth=1
	v_and_b32_e32 v3, 7, v45
	v_lshrrev_b32_e32 v44, 3, v46
	s_mov_b32 s43, exec_lo
	v_cmpx_gt_u32_e32 8, v46
; %bb.171:                              ;   in Loop: Header=BB358_11 Depth=1
	s_delay_alu instid0(VALU_DEP_3) | instskip(NEXT) | instid1(VALU_DEP_1)
	v_clz_i32_u32_e32 v44, v3
	v_min_u32_e32 v44, 32, v44
	s_delay_alu instid0(VALU_DEP_1) | instskip(SKIP_1) | instid1(VALU_DEP_2)
	v_subrev_nc_u32_e32 v46, 28, v44
	v_sub_nc_u32_e32 v44, 29, v44
	v_lshlrev_b64 v[46:47], v46, v[3:4]
	s_delay_alu instid0(VALU_DEP_1)
	v_and_b32_e32 v3, 7, v46
; %bb.172:                              ;   in Loop: Header=BB358_11 Depth=1
	s_or_b32 exec_lo, exec_lo, s43
	v_lshlrev_b32_e32 v45, 8, v45
	v_lshl_add_u32 v44, v44, 10, 0x2000
	s_delay_alu instid0(VALU_DEP_1) | instskip(NEXT) | instid1(VALU_DEP_1)
	v_and_or_b32 v44, 0x8000, v45, v44
	v_lshl_or_b32 v3, v3, 7, v44
	s_delay_alu instid0(VALU_DEP_1)
	v_cvt_f32_f16_e32 v44, v3
.LBB358_173:                            ;   in Loop: Header=BB358_11 Depth=1
	s_or_b32 exec_lo, exec_lo, s42
.LBB358_174:                            ;   in Loop: Header=BB358_11 Depth=1
	s_delay_alu instid0(SALU_CYCLE_1)
	s_or_b32 exec_lo, exec_lo, s41
.LBB358_175:                            ;   in Loop: Header=BB358_11 Depth=1
	s_delay_alu instid0(SALU_CYCLE_1) | instskip(SKIP_2) | instid1(VALU_DEP_1)
	s_or_b32 exec_lo, exec_lo, s1
	v_lshrrev_b32_e32 v45, 16, v12
	s_mov_b32 s1, exec_lo
	v_and_b32_e32 v3, 0xff, v45
	s_delay_alu instid0(VALU_DEP_1)
	v_cmpx_ne_u16_e32 0, v3
	s_cbranch_execz .LBB358_183
; %bb.176:                              ;   in Loop: Header=BB358_11 Depth=1
	v_bfrev_b32_e32 v43, 1
	s_mov_b32 s41, exec_lo
	v_cmpx_ne_u16_e32 0x80, v3
	s_cbranch_execz .LBB358_182
; %bb.177:                              ;   in Loop: Header=BB358_11 Depth=1
	v_bfe_u32 v46, v12, 16, 7
	v_mov_b32_e32 v43, 0x7fc02000
	s_mov_b32 s42, exec_lo
	s_delay_alu instid0(VALU_DEP_2)
	v_cmpx_ne_u32_e32 0x7f, v46
	s_cbranch_execz .LBB358_181
; %bb.178:                              ;   in Loop: Header=BB358_11 Depth=1
	v_and_b32_e32 v3, 7, v45
	v_lshrrev_b32_e32 v43, 3, v46
	s_mov_b32 s43, exec_lo
	v_cmpx_gt_u32_e32 8, v46
; %bb.179:                              ;   in Loop: Header=BB358_11 Depth=1
	s_delay_alu instid0(VALU_DEP_3) | instskip(NEXT) | instid1(VALU_DEP_1)
	v_clz_i32_u32_e32 v43, v3
	v_min_u32_e32 v43, 32, v43
	s_delay_alu instid0(VALU_DEP_1) | instskip(SKIP_1) | instid1(VALU_DEP_2)
	v_subrev_nc_u32_e32 v46, 28, v43
	v_sub_nc_u32_e32 v43, 29, v43
	v_lshlrev_b64 v[46:47], v46, v[3:4]
	s_delay_alu instid0(VALU_DEP_1)
	v_and_b32_e32 v3, 7, v46
; %bb.180:                              ;   in Loop: Header=BB358_11 Depth=1
	s_or_b32 exec_lo, exec_lo, s43
	v_lshlrev_b32_e32 v45, 8, v45
	v_lshl_add_u32 v43, v43, 10, 0x2000
	s_delay_alu instid0(VALU_DEP_1) | instskip(NEXT) | instid1(VALU_DEP_1)
	v_and_or_b32 v43, 0x8000, v45, v43
	v_lshl_or_b32 v3, v3, 7, v43
	s_delay_alu instid0(VALU_DEP_1)
	v_cvt_f32_f16_e32 v43, v3
.LBB358_181:                            ;   in Loop: Header=BB358_11 Depth=1
	s_or_b32 exec_lo, exec_lo, s42
.LBB358_182:                            ;   in Loop: Header=BB358_11 Depth=1
	s_delay_alu instid0(SALU_CYCLE_1)
	s_or_b32 exec_lo, exec_lo, s41
.LBB358_183:                            ;   in Loop: Header=BB358_11 Depth=1
	s_delay_alu instid0(SALU_CYCLE_1) | instskip(SKIP_3) | instid1(VALU_DEP_3)
	s_or_b32 exec_lo, exec_lo, s1
	v_cmp_lt_u64_e64 s0, s[10:11], v[11:12]
	v_mov_b32_e32 v11, 0
	v_mov_b32_e32 v45, 0
	s_and_saveexec_b32 s1, s0
	s_cbranch_execz .LBB358_191
; %bb.184:                              ;   in Loop: Header=BB358_11 Depth=1
	v_lshrrev_b32_e32 v12, 24, v12
	v_bfrev_b32_e32 v45, 1
	s_mov_b32 s41, exec_lo
	s_delay_alu instid0(VALU_DEP_2)
	v_cmpx_ne_u32_e32 0x80, v12
	s_cbranch_execz .LBB358_190
; %bb.185:                              ;   in Loop: Header=BB358_11 Depth=1
	v_and_b32_e32 v46, 0x7f, v12
	v_mov_b32_e32 v45, 0x7fc02000
	s_mov_b32 s42, exec_lo
	s_delay_alu instid0(VALU_DEP_2)
	v_cmpx_ne_u32_e32 0x7f, v46
	s_cbranch_execz .LBB358_189
; %bb.186:                              ;   in Loop: Header=BB358_11 Depth=1
	v_and_b32_e32 v3, 7, v12
	v_lshrrev_b32_e32 v45, 3, v46
	s_mov_b32 s43, exec_lo
	v_cmpx_gt_u32_e32 8, v46
; %bb.187:                              ;   in Loop: Header=BB358_11 Depth=1
	s_delay_alu instid0(VALU_DEP_3) | instskip(NEXT) | instid1(VALU_DEP_1)
	v_clz_i32_u32_e32 v45, v3
	v_min_u32_e32 v45, 32, v45
	s_delay_alu instid0(VALU_DEP_1) | instskip(SKIP_1) | instid1(VALU_DEP_2)
	v_subrev_nc_u32_e32 v46, 28, v45
	v_sub_nc_u32_e32 v45, 29, v45
	v_lshlrev_b64 v[46:47], v46, v[3:4]
	s_delay_alu instid0(VALU_DEP_1)
	v_and_b32_e32 v3, 7, v46
; %bb.188:                              ;   in Loop: Header=BB358_11 Depth=1
	s_or_b32 exec_lo, exec_lo, s43
	v_lshlrev_b32_e32 v12, 8, v12
	v_lshl_add_u32 v45, v45, 10, 0x2000
	s_delay_alu instid0(VALU_DEP_1) | instskip(NEXT) | instid1(VALU_DEP_1)
	v_and_or_b32 v12, 0x8000, v12, v45
	v_lshl_or_b32 v3, v3, 7, v12
	s_delay_alu instid0(VALU_DEP_1)
	v_cvt_f32_f16_e32 v45, v3
.LBB358_189:                            ;   in Loop: Header=BB358_11 Depth=1
	s_or_b32 exec_lo, exec_lo, s42
.LBB358_190:                            ;   in Loop: Header=BB358_11 Depth=1
	s_delay_alu instid0(SALU_CYCLE_1)
	s_or_b32 exec_lo, exec_lo, s41
.LBB358_191:                            ;   in Loop: Header=BB358_11 Depth=1
	s_delay_alu instid0(SALU_CYCLE_1) | instskip(SKIP_4) | instid1(VALU_DEP_1)
	s_or_b32 exec_lo, exec_lo, s1
	global_load_b64 v[9:10], v[9:10], off offset:520
	s_mov_b32 s1, exec_lo
	s_waitcnt vmcnt(0)
	v_and_b32_e32 v3, 0xff, v9
	v_cmpx_ne_u16_e32 0, v3
	s_cbranch_execz .LBB358_197
; %bb.192:                              ;   in Loop: Header=BB358_11 Depth=1
	v_bfrev_b32_e32 v11, 1
	s_mov_b32 s41, exec_lo
	v_cmpx_ne_u16_e32 0x80, v3
	s_cbranch_execz .LBB358_196
; %bb.193:                              ;   in Loop: Header=BB358_11 Depth=1
	v_and_b32_e32 v3, 0x7f, v9
	v_mov_b32_e32 v11, 0x7fc02000
	s_mov_b32 s42, exec_lo
	s_delay_alu instid0(VALU_DEP_2)
	v_cmpx_ne_u32_e32 0x7f, v3
	s_cbranch_execz .LBB358_195
; %bb.194:                              ;   in Loop: Header=BB358_11 Depth=1
	v_and_b32_e32 v11, 7, v9
	v_cmp_gt_u32_e64 s0, 8, v3
	v_lshrrev_b32_e32 v12, 3, v3
	s_delay_alu instid0(VALU_DEP_3) | instskip(NEXT) | instid1(VALU_DEP_1)
	v_clz_i32_u32_e32 v11, v11
	v_min_u32_e32 v11, 32, v11
	s_delay_alu instid0(VALU_DEP_1) | instskip(SKIP_1) | instid1(VALU_DEP_2)
	v_subrev_nc_u32_e32 v46, 28, v11
	v_sub_nc_u32_e32 v11, 29, v11
	v_cndmask_b32_e64 v3, 0, v46, s0
	s_delay_alu instid0(VALU_DEP_2) | instskip(NEXT) | instid1(VALU_DEP_2)
	v_cndmask_b32_e64 v46, v12, v11, s0
	v_lshlrev_b64 v[11:12], v3, v[9:10]
	v_lshlrev_b32_e32 v3, 8, v9
	s_delay_alu instid0(VALU_DEP_3) | instskip(NEXT) | instid1(VALU_DEP_3)
	v_lshl_add_u32 v12, v46, 10, 0x2000
	v_lshlrev_b32_e32 v11, 7, v11
	s_delay_alu instid0(VALU_DEP_2) | instskip(NEXT) | instid1(VALU_DEP_1)
	v_and_or_b32 v3, 0x8000, v3, v12
	v_and_or_b32 v3, 0x380, v11, v3
	s_delay_alu instid0(VALU_DEP_1)
	v_cvt_f32_f16_e32 v11, v3
.LBB358_195:                            ;   in Loop: Header=BB358_11 Depth=1
	s_or_b32 exec_lo, exec_lo, s42
.LBB358_196:                            ;   in Loop: Header=BB358_11 Depth=1
	s_delay_alu instid0(SALU_CYCLE_1)
	s_or_b32 exec_lo, exec_lo, s41
.LBB358_197:                            ;   in Loop: Header=BB358_11 Depth=1
	s_delay_alu instid0(SALU_CYCLE_1) | instskip(SKIP_4) | instid1(VALU_DEP_3)
	s_or_b32 exec_lo, exec_lo, s1
	v_lshrrev_b16 v3, 8, v9
	v_mov_b32_e32 v12, 0
	v_mov_b32_e32 v46, 0
	s_mov_b32 s1, exec_lo
	v_cmpx_ne_u16_e32 0, v3
	s_cbranch_execz .LBB358_205
; %bb.198:                              ;   in Loop: Header=BB358_11 Depth=1
	v_bfrev_b32_e32 v46, 1
	s_mov_b32 s41, exec_lo
	v_cmpx_ne_u16_e32 0x80, v3
	s_cbranch_execz .LBB358_204
; %bb.199:                              ;   in Loop: Header=BB358_11 Depth=1
	v_and_b32_e32 v47, 0xffff, v3
	v_mov_b32_e32 v46, 0x7fc02000
	s_mov_b32 s42, exec_lo
	s_delay_alu instid0(VALU_DEP_2) | instskip(NEXT) | instid1(VALU_DEP_1)
	v_and_b32_e32 v48, 0x7f, v47
	v_cmpx_ne_u32_e32 0x7f, v48
	s_cbranch_execz .LBB358_203
; %bb.200:                              ;   in Loop: Header=BB358_11 Depth=1
	v_and_b32_e32 v3, 7, v47
	v_lshrrev_b32_e32 v46, 3, v48
	s_mov_b32 s43, exec_lo
	v_cmpx_gt_u32_e32 8, v48
; %bb.201:                              ;   in Loop: Header=BB358_11 Depth=1
	s_delay_alu instid0(VALU_DEP_3) | instskip(NEXT) | instid1(VALU_DEP_1)
	v_clz_i32_u32_e32 v46, v3
	v_min_u32_e32 v46, 32, v46
	s_delay_alu instid0(VALU_DEP_1) | instskip(SKIP_1) | instid1(VALU_DEP_2)
	v_subrev_nc_u32_e32 v48, 28, v46
	v_sub_nc_u32_e32 v46, 29, v46
	v_lshlrev_b64 v[48:49], v48, v[3:4]
	s_delay_alu instid0(VALU_DEP_1)
	v_and_b32_e32 v3, 7, v48
; %bb.202:                              ;   in Loop: Header=BB358_11 Depth=1
	s_or_b32 exec_lo, exec_lo, s43
	v_lshlrev_b32_e32 v47, 8, v47
	v_lshl_add_u32 v46, v46, 10, 0x2000
	s_delay_alu instid0(VALU_DEP_1) | instskip(NEXT) | instid1(VALU_DEP_1)
	v_and_or_b32 v46, 0x8000, v47, v46
	v_lshl_or_b32 v3, v3, 7, v46
	s_delay_alu instid0(VALU_DEP_1)
	v_cvt_f32_f16_e32 v46, v3
.LBB358_203:                            ;   in Loop: Header=BB358_11 Depth=1
	s_or_b32 exec_lo, exec_lo, s42
.LBB358_204:                            ;   in Loop: Header=BB358_11 Depth=1
	s_delay_alu instid0(SALU_CYCLE_1)
	s_or_b32 exec_lo, exec_lo, s41
.LBB358_205:                            ;   in Loop: Header=BB358_11 Depth=1
	s_delay_alu instid0(SALU_CYCLE_1) | instskip(SKIP_2) | instid1(VALU_DEP_1)
	s_or_b32 exec_lo, exec_lo, s1
	v_lshrrev_b32_e32 v47, 16, v9
	s_mov_b32 s1, exec_lo
	v_and_b32_e32 v3, 0xff, v47
	s_delay_alu instid0(VALU_DEP_1)
	v_cmpx_ne_u16_e32 0, v3
	s_cbranch_execz .LBB358_213
; %bb.206:                              ;   in Loop: Header=BB358_11 Depth=1
	v_bfrev_b32_e32 v12, 1
	s_mov_b32 s41, exec_lo
	v_cmpx_ne_u16_e32 0x80, v3
	s_cbranch_execz .LBB358_212
; %bb.207:                              ;   in Loop: Header=BB358_11 Depth=1
	v_bfe_u32 v48, v9, 16, 7
	v_mov_b32_e32 v12, 0x7fc02000
	s_mov_b32 s42, exec_lo
	s_delay_alu instid0(VALU_DEP_2)
	v_cmpx_ne_u32_e32 0x7f, v48
	s_cbranch_execz .LBB358_211
; %bb.208:                              ;   in Loop: Header=BB358_11 Depth=1
	v_and_b32_e32 v3, 7, v47
	v_lshrrev_b32_e32 v12, 3, v48
	s_mov_b32 s43, exec_lo
	v_cmpx_gt_u32_e32 8, v48
; %bb.209:                              ;   in Loop: Header=BB358_11 Depth=1
	s_delay_alu instid0(VALU_DEP_3) | instskip(NEXT) | instid1(VALU_DEP_1)
	v_clz_i32_u32_e32 v12, v3
	v_min_u32_e32 v12, 32, v12
	s_delay_alu instid0(VALU_DEP_1) | instskip(SKIP_1) | instid1(VALU_DEP_2)
	v_subrev_nc_u32_e32 v48, 28, v12
	v_sub_nc_u32_e32 v12, 29, v12
	v_lshlrev_b64 v[48:49], v48, v[3:4]
	s_delay_alu instid0(VALU_DEP_1)
	v_and_b32_e32 v3, 7, v48
; %bb.210:                              ;   in Loop: Header=BB358_11 Depth=1
	s_or_b32 exec_lo, exec_lo, s43
	v_lshlrev_b32_e32 v47, 8, v47
	v_lshl_add_u32 v12, v12, 10, 0x2000
	s_delay_alu instid0(VALU_DEP_1) | instskip(NEXT) | instid1(VALU_DEP_1)
	v_and_or_b32 v12, 0x8000, v47, v12
	v_lshl_or_b32 v3, v3, 7, v12
	s_delay_alu instid0(VALU_DEP_1)
	v_cvt_f32_f16_e32 v12, v3
.LBB358_211:                            ;   in Loop: Header=BB358_11 Depth=1
	s_or_b32 exec_lo, exec_lo, s42
.LBB358_212:                            ;   in Loop: Header=BB358_11 Depth=1
	s_delay_alu instid0(SALU_CYCLE_1)
	s_or_b32 exec_lo, exec_lo, s41
.LBB358_213:                            ;   in Loop: Header=BB358_11 Depth=1
	s_delay_alu instid0(SALU_CYCLE_1)
	s_or_b32 exec_lo, exec_lo, s1
	v_dual_mov_b32 v47, 0 :: v_dual_mov_b32 v48, 0
	s_mov_b32 s1, exec_lo
	v_cmpx_lt_u32_e32 0xffffff, v9
	s_cbranch_execz .LBB358_221
; %bb.214:                              ;   in Loop: Header=BB358_11 Depth=1
	v_lshrrev_b32_e32 v49, 24, v9
	v_bfrev_b32_e32 v48, 1
	s_mov_b32 s41, exec_lo
	s_delay_alu instid0(VALU_DEP_2)
	v_cmpx_ne_u32_e32 0x80, v49
	s_cbranch_execz .LBB358_220
; %bb.215:                              ;   in Loop: Header=BB358_11 Depth=1
	v_and_b32_e32 v50, 0x7f, v49
	v_mov_b32_e32 v48, 0x7fc02000
	s_mov_b32 s42, exec_lo
	s_delay_alu instid0(VALU_DEP_2)
	v_cmpx_ne_u32_e32 0x7f, v50
	s_cbranch_execz .LBB358_219
; %bb.216:                              ;   in Loop: Header=BB358_11 Depth=1
	v_and_b32_e32 v3, 7, v49
	v_lshrrev_b32_e32 v48, 3, v50
	s_mov_b32 s43, exec_lo
	v_cmpx_gt_u32_e32 8, v50
; %bb.217:                              ;   in Loop: Header=BB358_11 Depth=1
	s_delay_alu instid0(VALU_DEP_3) | instskip(NEXT) | instid1(VALU_DEP_1)
	v_clz_i32_u32_e32 v48, v3
	v_min_u32_e32 v48, 32, v48
	s_delay_alu instid0(VALU_DEP_1) | instskip(SKIP_1) | instid1(VALU_DEP_2)
	v_subrev_nc_u32_e32 v50, 28, v48
	v_sub_nc_u32_e32 v48, 29, v48
	v_lshlrev_b64 v[50:51], v50, v[3:4]
	s_delay_alu instid0(VALU_DEP_1)
	v_and_b32_e32 v3, 7, v50
; %bb.218:                              ;   in Loop: Header=BB358_11 Depth=1
	s_or_b32 exec_lo, exec_lo, s43
	v_lshlrev_b32_e32 v49, 8, v49
	v_lshl_add_u32 v48, v48, 10, 0x2000
	s_delay_alu instid0(VALU_DEP_1) | instskip(NEXT) | instid1(VALU_DEP_1)
	v_and_or_b32 v48, 0x8000, v49, v48
	v_lshl_or_b32 v3, v3, 7, v48
	s_delay_alu instid0(VALU_DEP_1)
	v_cvt_f32_f16_e32 v48, v3
.LBB358_219:                            ;   in Loop: Header=BB358_11 Depth=1
	s_or_b32 exec_lo, exec_lo, s42
.LBB358_220:                            ;   in Loop: Header=BB358_11 Depth=1
	s_delay_alu instid0(SALU_CYCLE_1)
	s_or_b32 exec_lo, exec_lo, s41
.LBB358_221:                            ;   in Loop: Header=BB358_11 Depth=1
	s_delay_alu instid0(SALU_CYCLE_1) | instskip(SKIP_3) | instid1(VALU_DEP_2)
	s_or_b32 exec_lo, exec_lo, s1
	v_and_b32_e32 v49, 0xff, v10
	v_mov_b32_e32 v3, v10
	s_mov_b32 s1, exec_lo
	v_cmpx_ne_u16_e32 0, v49
	s_cbranch_execz .LBB358_227
; %bb.222:                              ;   in Loop: Header=BB358_11 Depth=1
	v_bfrev_b32_e32 v47, 1
	s_mov_b32 s41, exec_lo
	v_cmpx_ne_u16_e32 0x80, v49
	s_cbranch_execz .LBB358_226
; %bb.223:                              ;   in Loop: Header=BB358_11 Depth=1
	v_and_b32_e32 v49, 0x7f, v10
	v_mov_b32_e32 v47, 0x7fc02000
	s_mov_b32 s42, exec_lo
	s_delay_alu instid0(VALU_DEP_2)
	v_cmpx_ne_u32_e32 0x7f, v49
	s_cbranch_execz .LBB358_225
; %bb.224:                              ;   in Loop: Header=BB358_11 Depth=1
	v_and_b32_e32 v47, 7, v10
	v_cmp_gt_u32_e64 s0, 8, v49
	v_lshrrev_b32_e32 v50, 3, v49
	s_delay_alu instid0(VALU_DEP_3) | instskip(NEXT) | instid1(VALU_DEP_1)
	v_clz_i32_u32_e32 v47, v47
	v_min_u32_e32 v47, 32, v47
	s_delay_alu instid0(VALU_DEP_1) | instskip(SKIP_1) | instid1(VALU_DEP_2)
	v_subrev_nc_u32_e32 v51, 28, v47
	v_sub_nc_u32_e32 v47, 29, v47
	v_cndmask_b32_e64 v49, 0, v51, s0
	s_delay_alu instid0(VALU_DEP_2) | instskip(NEXT) | instid1(VALU_DEP_2)
	v_cndmask_b32_e64 v47, v50, v47, s0
	v_lshlrev_b64 v[49:50], v49, v[3:4]
	v_lshlrev_b32_e32 v50, 8, v10
	s_delay_alu instid0(VALU_DEP_3) | instskip(NEXT) | instid1(VALU_DEP_3)
	v_lshl_add_u32 v47, v47, 10, 0x2000
	v_lshlrev_b32_e32 v49, 7, v49
	s_delay_alu instid0(VALU_DEP_2) | instskip(NEXT) | instid1(VALU_DEP_1)
	v_and_or_b32 v47, 0x8000, v50, v47
	v_and_or_b32 v47, 0x380, v49, v47
	s_delay_alu instid0(VALU_DEP_1)
	v_cvt_f32_f16_e32 v47, v47
.LBB358_225:                            ;   in Loop: Header=BB358_11 Depth=1
	s_or_b32 exec_lo, exec_lo, s42
.LBB358_226:                            ;   in Loop: Header=BB358_11 Depth=1
	s_delay_alu instid0(SALU_CYCLE_1)
	s_or_b32 exec_lo, exec_lo, s41
.LBB358_227:                            ;   in Loop: Header=BB358_11 Depth=1
	s_delay_alu instid0(SALU_CYCLE_1) | instskip(SKIP_3) | instid1(VALU_DEP_2)
	s_or_b32 exec_lo, exec_lo, s1
	v_lshrrev_b16 v3, 8, v3
	v_dual_mov_b32 v49, 0 :: v_dual_mov_b32 v50, 0
	s_mov_b32 s1, exec_lo
	v_cmpx_ne_u16_e32 0, v3
	s_cbranch_execz .LBB358_235
; %bb.228:                              ;   in Loop: Header=BB358_11 Depth=1
	v_bfrev_b32_e32 v50, 1
	s_mov_b32 s41, exec_lo
	v_cmpx_ne_u16_e32 0x80, v3
	s_cbranch_execz .LBB358_234
; %bb.229:                              ;   in Loop: Header=BB358_11 Depth=1
	v_and_b32_e32 v51, 0xffff, v3
	v_mov_b32_e32 v50, 0x7fc02000
	s_mov_b32 s42, exec_lo
	s_delay_alu instid0(VALU_DEP_2) | instskip(NEXT) | instid1(VALU_DEP_1)
	v_and_b32_e32 v52, 0x7f, v51
	v_cmpx_ne_u32_e32 0x7f, v52
	s_cbranch_execz .LBB358_233
; %bb.230:                              ;   in Loop: Header=BB358_11 Depth=1
	v_and_b32_e32 v3, 7, v51
	v_lshrrev_b32_e32 v50, 3, v52
	s_mov_b32 s43, exec_lo
	v_cmpx_gt_u32_e32 8, v52
; %bb.231:                              ;   in Loop: Header=BB358_11 Depth=1
	s_delay_alu instid0(VALU_DEP_3) | instskip(NEXT) | instid1(VALU_DEP_1)
	v_clz_i32_u32_e32 v50, v3
	v_min_u32_e32 v50, 32, v50
	s_delay_alu instid0(VALU_DEP_1) | instskip(SKIP_1) | instid1(VALU_DEP_2)
	v_subrev_nc_u32_e32 v52, 28, v50
	v_sub_nc_u32_e32 v50, 29, v50
	v_lshlrev_b64 v[52:53], v52, v[3:4]
	s_delay_alu instid0(VALU_DEP_1)
	v_and_b32_e32 v3, 7, v52
; %bb.232:                              ;   in Loop: Header=BB358_11 Depth=1
	s_or_b32 exec_lo, exec_lo, s43
	v_lshlrev_b32_e32 v51, 8, v51
	v_lshl_add_u32 v50, v50, 10, 0x2000
	s_delay_alu instid0(VALU_DEP_1) | instskip(NEXT) | instid1(VALU_DEP_1)
	v_and_or_b32 v50, 0x8000, v51, v50
	v_lshl_or_b32 v3, v3, 7, v50
	s_delay_alu instid0(VALU_DEP_1)
	v_cvt_f32_f16_e32 v50, v3
.LBB358_233:                            ;   in Loop: Header=BB358_11 Depth=1
	s_or_b32 exec_lo, exec_lo, s42
.LBB358_234:                            ;   in Loop: Header=BB358_11 Depth=1
	s_delay_alu instid0(SALU_CYCLE_1)
	s_or_b32 exec_lo, exec_lo, s41
.LBB358_235:                            ;   in Loop: Header=BB358_11 Depth=1
	s_delay_alu instid0(SALU_CYCLE_1) | instskip(SKIP_2) | instid1(VALU_DEP_1)
	s_or_b32 exec_lo, exec_lo, s1
	v_lshrrev_b32_e32 v51, 16, v10
	s_mov_b32 s1, exec_lo
	v_and_b32_e32 v3, 0xff, v51
	s_delay_alu instid0(VALU_DEP_1)
	v_cmpx_ne_u16_e32 0, v3
	s_cbranch_execz .LBB358_243
; %bb.236:                              ;   in Loop: Header=BB358_11 Depth=1
	v_bfrev_b32_e32 v49, 1
	s_mov_b32 s41, exec_lo
	v_cmpx_ne_u16_e32 0x80, v3
	s_cbranch_execz .LBB358_242
; %bb.237:                              ;   in Loop: Header=BB358_11 Depth=1
	v_bfe_u32 v52, v10, 16, 7
	v_mov_b32_e32 v49, 0x7fc02000
	s_mov_b32 s42, exec_lo
	s_delay_alu instid0(VALU_DEP_2)
	v_cmpx_ne_u32_e32 0x7f, v52
	s_cbranch_execz .LBB358_241
; %bb.238:                              ;   in Loop: Header=BB358_11 Depth=1
	v_and_b32_e32 v3, 7, v51
	v_lshrrev_b32_e32 v49, 3, v52
	s_mov_b32 s43, exec_lo
	v_cmpx_gt_u32_e32 8, v52
; %bb.239:                              ;   in Loop: Header=BB358_11 Depth=1
	s_delay_alu instid0(VALU_DEP_3) | instskip(NEXT) | instid1(VALU_DEP_1)
	v_clz_i32_u32_e32 v49, v3
	v_min_u32_e32 v49, 32, v49
	s_delay_alu instid0(VALU_DEP_1) | instskip(SKIP_1) | instid1(VALU_DEP_2)
	v_subrev_nc_u32_e32 v52, 28, v49
	v_sub_nc_u32_e32 v49, 29, v49
	v_lshlrev_b64 v[52:53], v52, v[3:4]
	s_delay_alu instid0(VALU_DEP_1)
	v_and_b32_e32 v3, 7, v52
; %bb.240:                              ;   in Loop: Header=BB358_11 Depth=1
	s_or_b32 exec_lo, exec_lo, s43
	v_lshlrev_b32_e32 v51, 8, v51
	v_lshl_add_u32 v49, v49, 10, 0x2000
	s_delay_alu instid0(VALU_DEP_1) | instskip(NEXT) | instid1(VALU_DEP_1)
	v_and_or_b32 v49, 0x8000, v51, v49
	v_lshl_or_b32 v3, v3, 7, v49
	s_delay_alu instid0(VALU_DEP_1)
	v_cvt_f32_f16_e32 v49, v3
.LBB358_241:                            ;   in Loop: Header=BB358_11 Depth=1
	s_or_b32 exec_lo, exec_lo, s42
.LBB358_242:                            ;   in Loop: Header=BB358_11 Depth=1
	s_delay_alu instid0(SALU_CYCLE_1)
	s_or_b32 exec_lo, exec_lo, s41
.LBB358_243:                            ;   in Loop: Header=BB358_11 Depth=1
	s_delay_alu instid0(SALU_CYCLE_1)
	s_or_b32 exec_lo, exec_lo, s1
	v_mov_b32_e32 v3, 0
	s_mov_b32 s1, exec_lo
	v_cmpx_lt_u64_e64 s[10:11], v[9:10]
	s_cbranch_execz .LBB358_10
; %bb.244:                              ;   in Loop: Header=BB358_11 Depth=1
	v_lshrrev_b32_e32 v9, 24, v10
	v_bfrev_b32_e32 v3, 1
	s_mov_b32 s41, exec_lo
	s_delay_alu instid0(VALU_DEP_2)
	v_cmpx_ne_u32_e32 0x80, v9
	s_cbranch_execz .LBB358_9
; %bb.245:                              ;   in Loop: Header=BB358_11 Depth=1
	v_and_b32_e32 v51, 0x7f, v9
	v_mov_b32_e32 v3, 0x7fc02000
	s_mov_b32 s42, exec_lo
	s_delay_alu instid0(VALU_DEP_2)
	v_cmpx_ne_u32_e32 0x7f, v51
	s_cbranch_execz .LBB358_8
; %bb.246:                              ;   in Loop: Header=BB358_11 Depth=1
	v_and_b32_e32 v3, 7, v9
	v_lshrrev_b32_e32 v10, 3, v51
	s_mov_b32 s43, exec_lo
	v_cmpx_gt_u32_e32 8, v51
	s_cbranch_execz .LBB358_7
; %bb.247:                              ;   in Loop: Header=BB358_11 Depth=1
	v_clz_i32_u32_e32 v10, v3
	s_delay_alu instid0(VALU_DEP_1) | instskip(NEXT) | instid1(VALU_DEP_1)
	v_min_u32_e32 v10, 32, v10
	v_subrev_nc_u32_e32 v51, 28, v10
	v_sub_nc_u32_e32 v10, 29, v10
	s_delay_alu instid0(VALU_DEP_2) | instskip(NEXT) | instid1(VALU_DEP_1)
	v_lshlrev_b64 v[51:52], v51, v[3:4]
	v_and_b32_e32 v3, 7, v51
	s_branch .LBB358_7
.LBB358_248:
	s_or_b32 exec_lo, exec_lo, s39
.LBB358_249:
	s_delay_alu instid0(SALU_CYCLE_1) | instskip(SKIP_2) | instid1(VALU_DEP_2)
	s_or_b32 exec_lo, exec_lo, s37
	v_mbcnt_lo_u32_b32 v3, -1, 0
	v_max_f32_e32 v7, v15, v15
	v_xor_b32_e32 v4, 16, v3
	v_xor_b32_e32 v6, 8, v3
	s_delay_alu instid0(VALU_DEP_2) | instskip(SKIP_1) | instid1(VALU_DEP_3)
	v_cmp_gt_i32_e32 vcc_lo, 32, v4
	v_cndmask_b32_e32 v4, v3, v4, vcc_lo
	v_cmp_gt_i32_e32 vcc_lo, 32, v6
	s_delay_alu instid0(VALU_DEP_2) | instskip(SKIP_4) | instid1(VALU_DEP_1)
	v_lshlrev_b32_e32 v4, 2, v4
	v_cndmask_b32_e32 v6, v3, v6, vcc_lo
	ds_bpermute_b32 v5, v4, v15
	s_waitcnt lgkmcnt(0)
	v_dual_max_f32 v8, v5, v5 :: v_dual_lshlrev_b32 v5, 2, v6
	v_max_f32_e32 v6, v7, v8
	v_xor_b32_e32 v8, 4, v3
	ds_bpermute_b32 v7, v5, v6
	v_cmp_gt_i32_e32 vcc_lo, 32, v8
	v_cndmask_b32_e32 v8, v3, v8, vcc_lo
	s_waitcnt lgkmcnt(0)
	v_max_f32_e32 v9, v7, v7
	s_delay_alu instid0(VALU_DEP_1)
	v_dual_max_f32 v6, v6, v9 :: v_dual_lshlrev_b32 v7, 2, v8
	v_xor_b32_e32 v9, 2, v3
	ds_bpermute_b32 v8, v7, v6
	v_cmp_gt_i32_e32 vcc_lo, 32, v9
	s_waitcnt lgkmcnt(0)
	v_dual_cndmask_b32 v9, v3, v9 :: v_dual_max_f32 v8, v8, v8
	s_delay_alu instid0(VALU_DEP_1) | instskip(NEXT) | instid1(VALU_DEP_2)
	v_max_f32_e32 v6, v6, v8
	v_lshlrev_b32_e32 v12, 2, v9
	v_xor_b32_e32 v9, 1, v3
	s_delay_alu instid0(VALU_DEP_1)
	v_cmp_gt_i32_e32 vcc_lo, 32, v9
	v_cndmask_b32_e32 v9, v3, v9, vcc_lo
	ds_bpermute_b32 v8, v12, v6
	v_cmp_eq_u32_e32 vcc_lo, 0, v14
	s_waitcnt lgkmcnt(0)
	v_dual_max_f32 v8, v8, v8 :: v_dual_lshlrev_b32 v15, 2, v9
	s_delay_alu instid0(VALU_DEP_1)
	v_dual_max_f32 v3, v6, v8 :: v_dual_lshlrev_b32 v8, 2, v13
	ds_bpermute_b32 v6, v15, v3
	s_and_saveexec_b32 s0, vcc_lo
	s_cbranch_execz .LBB358_251
; %bb.250:
	s_waitcnt lgkmcnt(0)
	v_dual_max_f32 v6, v6, v6 :: v_dual_max_f32 v3, v3, v3
	s_delay_alu instid0(VALU_DEP_1)
	v_max_f32_e32 v3, v3, v6
	ds_store_b32 v8, v3 offset:64
.LBB358_251:
	s_or_b32 exec_lo, exec_lo, s0
	v_cmp_gt_u32_e64 s0, 4, v14
	v_mov_b32_e32 v3, 0xff7fffff
	s_waitcnt lgkmcnt(0)
	s_barrier
	buffer_gl0_inv
	s_and_saveexec_b32 s1, s0
	s_cbranch_execz .LBB358_253
; %bb.252:
	ds_load_b32 v3, v17 offset:64
.LBB358_253:
	s_or_b32 exec_lo, exec_lo, s1
	s_waitcnt lgkmcnt(0)
	ds_bpermute_b32 v6, v12, v3
	v_max_f32_e32 v3, v3, v3
	s_sub_i32 s1, s21, s35
	v_mov_b32_e32 v9, 0
	s_lshl_b32 s1, s1, 5
	s_delay_alu instid0(SALU_CYCLE_1) | instskip(NEXT) | instid1(SALU_CYCLE_1)
	s_add_i32 s1, s1, s33
	s_min_i32 s1, s1, s15
	s_delay_alu instid0(SALU_CYCLE_1) | instskip(NEXT) | instid1(SALU_CYCLE_1)
	s_sub_i32 s4, s1, s33
	v_cmp_gt_i32_e64 s1, s4, v0
	s_waitcnt lgkmcnt(0)
	v_max_f32_e32 v6, v6, v6
	s_delay_alu instid0(VALU_DEP_1) | instskip(SKIP_3) | instid1(VALU_DEP_1)
	v_max_f32_e32 v3, v3, v6
	ds_bpermute_b32 v6, v15, v3
	s_waitcnt lgkmcnt(0)
	v_max_f32_e32 v6, v6, v6
	v_max_f32_e32 v3, v3, v6
	v_lshl_add_u32 v6, v0, 2, 0x60
	ds_bpermute_b32 v3, v9, v3
	s_and_saveexec_b32 s5, s1
	s_cbranch_execz .LBB358_257
; %bb.254:
	v_lshl_add_u32 v10, v0, 2, 0x60
	v_mov_b32_e32 v9, 0
	v_mov_b32_e32 v11, v0
	s_mov_b32 s10, 0
	.p2align	6
.LBB358_255:                            ; =>This Inner Loop Header: Depth=1
	ds_load_b32 v18, v10
	v_add_nc_u32_e32 v11, 0x80, v11
	s_delay_alu instid0(VALU_DEP_1) | instskip(NEXT) | instid1(VALU_DEP_1)
	v_cmp_le_i32_e64 s3, s4, v11
	s_or_b32 s10, s3, s10
	s_waitcnt lgkmcnt(0)
	v_sub_f32_e32 v18, v18, v3
	s_delay_alu instid0(VALU_DEP_1) | instskip(NEXT) | instid1(VALU_DEP_1)
	v_mul_f32_e32 v18, 0x3fb8aa3b, v18
	v_exp_f32_e32 v18, v18
	ds_store_b32 v10, v18
	v_add_f32_e32 v9, v9, v18
	v_add_nc_u32_e32 v10, 0x200, v10
	s_and_not1_b32 exec_lo, exec_lo, s10
	s_cbranch_execnz .LBB358_255
; %bb.256:
	s_or_b32 exec_lo, exec_lo, s10
.LBB358_257:
	s_delay_alu instid0(SALU_CYCLE_1)
	s_or_b32 exec_lo, exec_lo, s5
	ds_bpermute_b32 v4, v4, v9
	s_waitcnt lgkmcnt(0)
	v_add_f32_e32 v4, v9, v4
	ds_bpermute_b32 v5, v5, v4
	s_waitcnt lgkmcnt(0)
	v_add_f32_e32 v4, v4, v5
	;; [unrolled: 3-line block ×5, first 2 shown]
	s_and_saveexec_b32 s3, vcc_lo
	s_cbranch_execz .LBB358_259
; %bb.258:
	ds_store_b32 v8, v4 offset:80
.LBB358_259:
	s_or_b32 exec_lo, exec_lo, s3
	s_waitcnt lgkmcnt(0)
	s_barrier
	buffer_gl0_inv
	s_and_saveexec_b32 s3, s0
	s_cbranch_execz .LBB358_261
; %bb.260:
	ds_load_b32 v4, v17 offset:80
.LBB358_261:
	s_or_b32 exec_lo, exec_lo, s3
	s_waitcnt lgkmcnt(0)
	ds_bpermute_b32 v5, v12, v4
	s_waitcnt lgkmcnt(0)
	v_add_f32_e32 v4, v4, v5
	ds_bpermute_b32 v5, v15, v4
	s_waitcnt lgkmcnt(0)
	v_dual_add_f32 v4, v4, v5 :: v_dual_mov_b32 v5, 0
	ds_bpermute_b32 v4, v5, v4
	s_and_saveexec_b32 s0, s1
	s_cbranch_execz .LBB358_264
; %bb.262:
	s_waitcnt lgkmcnt(0)
	v_add_f32_e32 v5, 0x358637bd, v4
	s_mov_b32 s1, 0
	s_delay_alu instid0(VALU_DEP_1) | instskip(SKIP_1) | instid1(VALU_DEP_2)
	v_div_scale_f32 v7, null, v5, v5, 1.0
	v_div_scale_f32 v10, vcc_lo, 1.0, v5, 1.0
	v_rcp_f32_e32 v8, v7
	s_waitcnt_depctr 0xfff
	v_fma_f32 v9, -v7, v8, 1.0
	s_delay_alu instid0(VALU_DEP_1) | instskip(NEXT) | instid1(VALU_DEP_1)
	v_fmac_f32_e32 v8, v9, v8
	v_mul_f32_e32 v9, v10, v8
	s_delay_alu instid0(VALU_DEP_1) | instskip(NEXT) | instid1(VALU_DEP_1)
	v_fma_f32 v11, -v7, v9, v10
	v_fmac_f32_e32 v9, v11, v8
	s_delay_alu instid0(VALU_DEP_1) | instskip(NEXT) | instid1(VALU_DEP_1)
	v_fma_f32 v7, -v7, v9, v10
	v_div_fmas_f32 v7, v7, v8, v9
	s_delay_alu instid0(VALU_DEP_1)
	v_div_fixup_f32 v5, v7, v5, 1.0
	v_mov_b32_e32 v7, v0
.LBB358_263:                            ; =>This Inner Loop Header: Depth=1
	ds_load_b32 v8, v6
	s_waitcnt lgkmcnt(0)
	v_dual_mul_f32 v8, v5, v8 :: v_dual_add_nc_u32 v7, 0x80, v7
	s_delay_alu instid0(VALU_DEP_1) | instskip(SKIP_3) | instid1(SALU_CYCLE_1)
	v_cmp_le_i32_e32 vcc_lo, s4, v7
	ds_store_b32 v6, v8
	v_add_nc_u32_e32 v6, 0x200, v6
	s_or_b32 s1, vcc_lo, s1
	s_and_not1_b32 exec_lo, exec_lo, s1
	s_cbranch_execnz .LBB358_263
.LBB358_264:
	s_or_b32 exec_lo, exec_lo, s0
	s_mul_i32 s0, s8, s14
	s_waitcnt lgkmcnt(0)
	s_mul_i32 s4, s0, s13
	s_mov_b32 s0, exec_lo
	s_barrier
	buffer_gl0_inv
	v_cmpx_eq_u32_e32 0, v0
	s_cbranch_execz .LBB358_266
; %bb.265:
	s_ashr_i32 s5, s4, 31
	s_mul_i32 s36, s8, s24
	s_lshl_b64 s[10:11], s[4:5], 2
	v_mov_b32_e32 v5, 0
	s_add_u32 s1, s18, s10
	s_addc_u32 s3, s19, s11
	s_ashr_i32 s37, s36, 31
	s_delay_alu instid0(SALU_CYCLE_1) | instskip(NEXT) | instid1(SALU_CYCLE_1)
	s_lshl_b64 s[18:19], s[36:37], 2
	s_add_u32 s1, s1, s18
	s_addc_u32 s3, s3, s19
	s_ashr_i32 s13, s12, 31
	s_delay_alu instid0(SALU_CYCLE_1) | instskip(NEXT) | instid1(SALU_CYCLE_1)
	s_lshl_b64 s[36:37], s[12:13], 2
	s_add_u32 s38, s1, s36
	s_addc_u32 s39, s3, s37
	s_add_u32 s1, s16, s10
	s_addc_u32 s3, s17, s11
	;; [unrolled: 2-line block ×4, first 2 shown]
	s_clause 0x1
	global_store_b32 v5, v3, s[38:39]
	global_store_b32 v5, v4, s[10:11]
.LBB358_266:
	s_or_b32 exec_lo, exec_lo, s0
	v_dual_mov_b32 v19, 0 :: v_dual_mov_b32 v20, 0
	v_dual_mov_b32 v18, 0 :: v_dual_and_b32 v17, 3, v0
	v_mov_b32_e32 v21, 0
	s_mov_b32 s5, 0
	s_and_saveexec_b32 s1, s2
	s_cbranch_execz .LBB358_518
; %bb.267:
	v_dual_mov_b32 v18, 0 :: v_dual_lshlrev_b32 v3, 3, v0
	v_lshlrev_b32_e32 v4, 5, v17
	s_ashr_i32 s0, s34, 31
	s_add_u32 s10, s28, s34
	s_delay_alu instid0(VALU_DEP_2) | instskip(SKIP_4) | instid1(VALU_DEP_3)
	v_dual_mov_b32 v21, 0 :: v_dual_and_b32 v6, 24, v3
	v_dual_mov_b32 v20, 0 :: v_dual_and_b32 v5, 0xf8, v3
	s_addc_u32 s0, s29, s0
	v_mov_b32_e32 v3, 0
	v_lshl_or_b32 v8, v13, 7, v4
	v_add_co_u32 v4, s10, s10, v5
	v_add3_u32 v16, s33, v16, v6
	v_lshlrev_b64 v[6:7], 2, v[1:2]
	v_add_co_ci_u32_e64 v5, null, s0, 0, s10
	s_lshl_b64 s[10:11], s[30:31], 2
	s_add_i32 s25, s25, -1
	s_add_u32 s0, s26, s10
	s_addc_u32 s10, s27, s11
	v_add_co_u32 v6, vcc_lo, s0, v6
	v_dual_mov_b32 v19, 0 :: v_dual_add_nc_u32 v22, 0x60, v8
	v_add_co_ci_u32_e32 v7, vcc_lo, s10, v7, vcc_lo
	s_mov_b32 s2, -1
	s_mov_b32 s3, 0xffffff
	s_mov_b32 s10, s15
	s_branch .LBB358_269
.LBB358_268:                            ;   in Loop: Header=BB358_269 Depth=1
	s_or_b32 exec_lo, exec_lo, s0
	;;#ASMSTART
	v_pk_mul_f16 v23, v33, v39;

	;;#ASMEND
	;;#ASMSTART
	v_pk_mul_f16 v9, v32, v9;

	;;#ASMEND
	;;#ASMSTART
	v_pk_mul_f16 v2, v31, v2;

	;;#ASMEND
	;;#ASMSTART
	v_pk_mul_f16 v8, v30, v8;

	;;#ASMEND
	;;#ASMSTART
	v_pk_add_f16 v9, v23, v9;

	;;#ASMEND
	;;#ASMSTART
	v_pk_add_f16 v2, v9, v2;

	;;#ASMEND
	;;#ASMSTART
	v_pk_add_f16 v2, v2, v8;

	;;#ASMEND
	v_dual_add_f32 v9, v34, v35 :: v_dual_and_b32 v8, 0xffff, v2
	v_lshrrev_b32_e32 v2, 16, v2
	v_dual_add_f32 v23, v36, v37 :: v_dual_add_f32 v10, v10, v11
	v_add_nc_u32_e32 v1, 4, v1
	;;#ASMSTART
	v_cvt_f32_f16 v8, v8;
	;;#ASMEND
	;;#ASMSTART
	v_cvt_f32_f16 v2, v2;
	;;#ASMEND
	s_delay_alu instid0(VALU_DEP_2) | instskip(SKIP_3) | instid1(VALU_DEP_4)
	v_dual_add_f32 v2, v8, v2 :: v_dual_add_f32 v21, v21, v23
	v_add_f32_e32 v20, v20, v10
	v_cmp_le_i32_e32 vcc_lo, s21, v1
	v_add_co_u32 v6, s0, v6, 16
	v_dual_add_f32 v18, v18, v9 :: v_dual_add_f32 v19, v19, v2
	v_add_nc_u32_e32 v16, 0x80, v16
	v_add_nc_u32_e32 v22, 0x200, v22
	v_add_co_ci_u32_e64 v7, s0, 0, v7, s0
	s_or_b32 s5, vcc_lo, s5
	s_delay_alu instid0(SALU_CYCLE_1)
	s_and_not1_b32 exec_lo, exec_lo, s5
	s_cbranch_execz .LBB358_517
.LBB358_269:                            ; =>This Inner Loop Header: Depth=1
	global_load_b32 v2, v[6:7], off
	ds_load_2addr_b64 v[23:26], v22 offset1:1
	ds_load_2addr_b64 v[36:39], v22 offset0:2 offset1:3
	s_mov_b32 s0, exec_lo
	s_waitcnt lgkmcnt(1)
	;;#ASMSTART
	v_cvt_f16_f32 v30, v23;

	;;#ASMEND
	;;#ASMSTART
	v_cvt_f16_f32 v31, v24;

	;;#ASMEND
	;; [unrolled: 4-line block ×4, first 2 shown]
	s_waitcnt lgkmcnt(0)
	;;#ASMSTART
	v_cvt_f16_f32 v36, v36;

	;;#ASMEND
	;;#ASMSTART
	v_cvt_f16_f32 v34, v37;

	;;#ASMEND
	;; [unrolled: 4-line block ×4, first 2 shown]
	v_mov_b32_e32 v24, 0
	s_waitcnt vmcnt(0)
	v_mad_i64_i32 v[8:9], null, v2, s9, v[4:5]
	global_load_b64 v[10:11], v[8:9], off
	global_load_b32 v23, v3, s[6:7]
	s_waitcnt vmcnt(1)
	v_and_b32_e32 v2, 0xff, v10
	s_delay_alu instid0(VALU_DEP_1)
	v_cmpx_ne_u16_e32 0, v2
	s_cbranch_execz .LBB358_275
; %bb.270:                              ;   in Loop: Header=BB358_269 Depth=1
	v_bfrev_b32_e32 v24, 1
	s_mov_b32 s11, exec_lo
	v_cmpx_ne_u16_e32 0x80, v2
	s_cbranch_execz .LBB358_274
; %bb.271:                              ;   in Loop: Header=BB358_269 Depth=1
	v_and_b32_e32 v2, 0x7f, v10
	v_mov_b32_e32 v24, 0x7fc02000
	s_mov_b32 s13, exec_lo
	s_delay_alu instid0(VALU_DEP_2)
	v_cmpx_ne_u32_e32 0x7f, v2
	s_cbranch_execz .LBB358_273
; %bb.272:                              ;   in Loop: Header=BB358_269 Depth=1
	v_and_b32_e32 v24, 7, v10
	v_cmp_gt_u32_e32 vcc_lo, 8, v2
	v_lshrrev_b32_e32 v25, 3, v2
	s_delay_alu instid0(VALU_DEP_3) | instskip(NEXT) | instid1(VALU_DEP_1)
	v_clz_i32_u32_e32 v24, v24
	v_min_u32_e32 v24, 32, v24
	s_delay_alu instid0(VALU_DEP_1) | instskip(SKIP_1) | instid1(VALU_DEP_2)
	v_subrev_nc_u32_e32 v26, 28, v24
	v_sub_nc_u32_e32 v24, 29, v24
	v_cndmask_b32_e32 v2, 0, v26, vcc_lo
	s_delay_alu instid0(VALU_DEP_2) | instskip(NEXT) | instid1(VALU_DEP_2)
	v_cndmask_b32_e32 v26, v25, v24, vcc_lo
	v_lshlrev_b64 v[24:25], v2, v[10:11]
	v_lshlrev_b32_e32 v2, 8, v10
	s_delay_alu instid0(VALU_DEP_3) | instskip(NEXT) | instid1(VALU_DEP_3)
	v_lshl_add_u32 v25, v26, 10, 0x2000
	v_lshlrev_b32_e32 v24, 7, v24
	s_delay_alu instid0(VALU_DEP_2) | instskip(NEXT) | instid1(VALU_DEP_1)
	v_and_or_b32 v2, 0x8000, v2, v25
	v_and_or_b32 v2, 0x380, v24, v2
	s_delay_alu instid0(VALU_DEP_1)
	v_cvt_f32_f16_e32 v24, v2
.LBB358_273:                            ;   in Loop: Header=BB358_269 Depth=1
	s_or_b32 exec_lo, exec_lo, s13
.LBB358_274:                            ;   in Loop: Header=BB358_269 Depth=1
	s_delay_alu instid0(SALU_CYCLE_1)
	s_or_b32 exec_lo, exec_lo, s11
.LBB358_275:                            ;   in Loop: Header=BB358_269 Depth=1
	s_delay_alu instid0(SALU_CYCLE_1) | instskip(SKIP_3) | instid1(VALU_DEP_2)
	s_or_b32 exec_lo, exec_lo, s0
	v_lshrrev_b16 v2, 8, v10
	v_dual_mov_b32 v26, 0 :: v_dual_mov_b32 v25, 0
	s_mov_b32 s0, exec_lo
	v_cmpx_ne_u16_e32 0, v2
	s_cbranch_execz .LBB358_283
; %bb.276:                              ;   in Loop: Header=BB358_269 Depth=1
	v_bfrev_b32_e32 v25, 1
	s_mov_b32 s11, exec_lo
	v_cmpx_ne_u16_e32 0x80, v2
	s_cbranch_execz .LBB358_282
; %bb.277:                              ;   in Loop: Header=BB358_269 Depth=1
	v_and_b32_e32 v27, 0xffff, v2
	v_mov_b32_e32 v25, 0x7fc02000
	s_mov_b32 s13, exec_lo
	s_delay_alu instid0(VALU_DEP_2) | instskip(NEXT) | instid1(VALU_DEP_1)
	v_and_b32_e32 v28, 0x7f, v27
	v_cmpx_ne_u32_e32 0x7f, v28
	s_cbranch_execz .LBB358_281
; %bb.278:                              ;   in Loop: Header=BB358_269 Depth=1
	v_and_b32_e32 v2, 7, v27
	v_lshrrev_b32_e32 v25, 3, v28
	s_mov_b32 s14, exec_lo
	v_cmpx_gt_u32_e32 8, v28
; %bb.279:                              ;   in Loop: Header=BB358_269 Depth=1
	s_delay_alu instid0(VALU_DEP_3) | instskip(NEXT) | instid1(VALU_DEP_1)
	v_clz_i32_u32_e32 v25, v2
	v_min_u32_e32 v25, 32, v25
	s_delay_alu instid0(VALU_DEP_1) | instskip(SKIP_1) | instid1(VALU_DEP_2)
	v_subrev_nc_u32_e32 v28, 28, v25
	v_sub_nc_u32_e32 v25, 29, v25
	v_lshlrev_b64 v[28:29], v28, v[2:3]
	s_delay_alu instid0(VALU_DEP_1)
	v_and_b32_e32 v2, 7, v28
; %bb.280:                              ;   in Loop: Header=BB358_269 Depth=1
	s_or_b32 exec_lo, exec_lo, s14
	v_lshlrev_b32_e32 v27, 8, v27
	v_lshl_add_u32 v25, v25, 10, 0x2000
	s_delay_alu instid0(VALU_DEP_1) | instskip(NEXT) | instid1(VALU_DEP_1)
	v_and_or_b32 v25, 0x8000, v27, v25
	v_lshl_or_b32 v2, v2, 7, v25
	s_delay_alu instid0(VALU_DEP_1)
	v_cvt_f32_f16_e32 v25, v2
.LBB358_281:                            ;   in Loop: Header=BB358_269 Depth=1
	s_or_b32 exec_lo, exec_lo, s13
.LBB358_282:                            ;   in Loop: Header=BB358_269 Depth=1
	s_delay_alu instid0(SALU_CYCLE_1)
	s_or_b32 exec_lo, exec_lo, s11
.LBB358_283:                            ;   in Loop: Header=BB358_269 Depth=1
	s_delay_alu instid0(SALU_CYCLE_1) | instskip(SKIP_2) | instid1(VALU_DEP_1)
	s_or_b32 exec_lo, exec_lo, s0
	v_lshrrev_b32_e32 v27, 16, v10
	s_mov_b32 s0, exec_lo
	v_and_b32_e32 v2, 0xff, v27
	s_delay_alu instid0(VALU_DEP_1)
	v_cmpx_ne_u16_e32 0, v2
	s_cbranch_execz .LBB358_291
; %bb.284:                              ;   in Loop: Header=BB358_269 Depth=1
	v_bfrev_b32_e32 v26, 1
	s_mov_b32 s11, exec_lo
	v_cmpx_ne_u16_e32 0x80, v2
	s_cbranch_execz .LBB358_290
; %bb.285:                              ;   in Loop: Header=BB358_269 Depth=1
	v_bfe_u32 v28, v10, 16, 7
	v_mov_b32_e32 v26, 0x7fc02000
	s_mov_b32 s13, exec_lo
	s_delay_alu instid0(VALU_DEP_2)
	v_cmpx_ne_u32_e32 0x7f, v28
	s_cbranch_execz .LBB358_289
; %bb.286:                              ;   in Loop: Header=BB358_269 Depth=1
	v_and_b32_e32 v2, 7, v27
	v_lshrrev_b32_e32 v26, 3, v28
	s_mov_b32 s14, exec_lo
	v_cmpx_gt_u32_e32 8, v28
; %bb.287:                              ;   in Loop: Header=BB358_269 Depth=1
	s_delay_alu instid0(VALU_DEP_3) | instskip(NEXT) | instid1(VALU_DEP_1)
	v_clz_i32_u32_e32 v26, v2
	v_min_u32_e32 v26, 32, v26
	s_delay_alu instid0(VALU_DEP_1) | instskip(SKIP_1) | instid1(VALU_DEP_2)
	v_subrev_nc_u32_e32 v28, 28, v26
	v_sub_nc_u32_e32 v26, 29, v26
	v_lshlrev_b64 v[28:29], v28, v[2:3]
	s_delay_alu instid0(VALU_DEP_1)
	v_and_b32_e32 v2, 7, v28
; %bb.288:                              ;   in Loop: Header=BB358_269 Depth=1
	s_or_b32 exec_lo, exec_lo, s14
	v_lshlrev_b32_e32 v27, 8, v27
	v_lshl_add_u32 v26, v26, 10, 0x2000
	s_delay_alu instid0(VALU_DEP_1) | instskip(NEXT) | instid1(VALU_DEP_1)
	v_and_or_b32 v26, 0x8000, v27, v26
	v_lshl_or_b32 v2, v2, 7, v26
	s_delay_alu instid0(VALU_DEP_1)
	v_cvt_f32_f16_e32 v26, v2
.LBB358_289:                            ;   in Loop: Header=BB358_269 Depth=1
	s_or_b32 exec_lo, exec_lo, s13
.LBB358_290:                            ;   in Loop: Header=BB358_269 Depth=1
	s_delay_alu instid0(SALU_CYCLE_1)
	s_or_b32 exec_lo, exec_lo, s11
.LBB358_291:                            ;   in Loop: Header=BB358_269 Depth=1
	s_delay_alu instid0(SALU_CYCLE_1)
	s_or_b32 exec_lo, exec_lo, s0
	v_dual_mov_b32 v27, 0 :: v_dual_mov_b32 v28, 0
	s_mov_b32 s0, exec_lo
	v_cmpx_lt_u32_e32 0xffffff, v10
	s_cbranch_execz .LBB358_299
; %bb.292:                              ;   in Loop: Header=BB358_269 Depth=1
	v_lshrrev_b32_e32 v29, 24, v10
	v_bfrev_b32_e32 v28, 1
	s_mov_b32 s11, exec_lo
	s_delay_alu instid0(VALU_DEP_2)
	v_cmpx_ne_u32_e32 0x80, v29
	s_cbranch_execz .LBB358_298
; %bb.293:                              ;   in Loop: Header=BB358_269 Depth=1
	v_and_b32_e32 v38, 0x7f, v29
	v_mov_b32_e32 v28, 0x7fc02000
	s_mov_b32 s13, exec_lo
	s_delay_alu instid0(VALU_DEP_2)
	v_cmpx_ne_u32_e32 0x7f, v38
	s_cbranch_execz .LBB358_297
; %bb.294:                              ;   in Loop: Header=BB358_269 Depth=1
	v_and_b32_e32 v2, 7, v29
	v_lshrrev_b32_e32 v28, 3, v38
	s_mov_b32 s14, exec_lo
	v_cmpx_gt_u32_e32 8, v38
; %bb.295:                              ;   in Loop: Header=BB358_269 Depth=1
	s_delay_alu instid0(VALU_DEP_3) | instskip(NEXT) | instid1(VALU_DEP_1)
	v_clz_i32_u32_e32 v28, v2
	v_min_u32_e32 v28, 32, v28
	s_delay_alu instid0(VALU_DEP_1) | instskip(SKIP_1) | instid1(VALU_DEP_2)
	v_subrev_nc_u32_e32 v38, 28, v28
	v_sub_nc_u32_e32 v28, 29, v28
	v_lshlrev_b64 v[38:39], v38, v[2:3]
	s_delay_alu instid0(VALU_DEP_1)
	v_and_b32_e32 v2, 7, v38
; %bb.296:                              ;   in Loop: Header=BB358_269 Depth=1
	s_or_b32 exec_lo, exec_lo, s14
	v_lshlrev_b32_e32 v29, 8, v29
	v_lshl_add_u32 v28, v28, 10, 0x2000
	s_delay_alu instid0(VALU_DEP_1) | instskip(NEXT) | instid1(VALU_DEP_1)
	v_and_or_b32 v28, 0x8000, v29, v28
	v_lshl_or_b32 v2, v2, 7, v28
	s_delay_alu instid0(VALU_DEP_1)
	v_cvt_f32_f16_e32 v28, v2
.LBB358_297:                            ;   in Loop: Header=BB358_269 Depth=1
	s_or_b32 exec_lo, exec_lo, s13
.LBB358_298:                            ;   in Loop: Header=BB358_269 Depth=1
	s_delay_alu instid0(SALU_CYCLE_1)
	s_or_b32 exec_lo, exec_lo, s11
.LBB358_299:                            ;   in Loop: Header=BB358_269 Depth=1
	s_delay_alu instid0(SALU_CYCLE_1) | instskip(SKIP_2) | instid1(VALU_DEP_1)
	s_or_b32 exec_lo, exec_lo, s0
	v_dual_mov_b32 v2, v11 :: v_dual_and_b32 v29, 0xff, v11
	s_mov_b32 s0, exec_lo
	v_cmpx_ne_u16_e32 0, v29
	s_cbranch_execz .LBB358_305
; %bb.300:                              ;   in Loop: Header=BB358_269 Depth=1
	v_bfrev_b32_e32 v27, 1
	s_mov_b32 s11, exec_lo
	v_cmpx_ne_u16_e32 0x80, v29
	s_cbranch_execz .LBB358_304
; %bb.301:                              ;   in Loop: Header=BB358_269 Depth=1
	v_and_b32_e32 v29, 0x7f, v11
	v_mov_b32_e32 v27, 0x7fc02000
	s_mov_b32 s13, exec_lo
	s_delay_alu instid0(VALU_DEP_2)
	v_cmpx_ne_u32_e32 0x7f, v29
	s_cbranch_execz .LBB358_303
; %bb.302:                              ;   in Loop: Header=BB358_269 Depth=1
	v_and_b32_e32 v27, 7, v11
	v_cmp_gt_u32_e32 vcc_lo, 8, v29
	v_lshrrev_b32_e32 v38, 3, v29
	s_delay_alu instid0(VALU_DEP_3) | instskip(NEXT) | instid1(VALU_DEP_1)
	v_clz_i32_u32_e32 v27, v27
	v_min_u32_e32 v27, 32, v27
	s_delay_alu instid0(VALU_DEP_1) | instskip(SKIP_1) | instid1(VALU_DEP_2)
	v_subrev_nc_u32_e32 v39, 28, v27
	v_sub_nc_u32_e32 v27, 29, v27
	v_cndmask_b32_e32 v29, 0, v39, vcc_lo
	s_delay_alu instid0(VALU_DEP_2) | instskip(NEXT) | instid1(VALU_DEP_2)
	v_cndmask_b32_e32 v27, v38, v27, vcc_lo
	v_lshlrev_b64 v[38:39], v29, v[2:3]
	v_lshlrev_b32_e32 v29, 8, v11
	s_delay_alu instid0(VALU_DEP_3) | instskip(NEXT) | instid1(VALU_DEP_3)
	v_lshl_add_u32 v27, v27, 10, 0x2000
	v_lshlrev_b32_e32 v38, 7, v38
	s_delay_alu instid0(VALU_DEP_2) | instskip(NEXT) | instid1(VALU_DEP_1)
	v_and_or_b32 v27, 0x8000, v29, v27
	v_and_or_b32 v27, 0x380, v38, v27
	s_delay_alu instid0(VALU_DEP_1)
	v_cvt_f32_f16_e32 v27, v27
.LBB358_303:                            ;   in Loop: Header=BB358_269 Depth=1
	s_or_b32 exec_lo, exec_lo, s13
.LBB358_304:                            ;   in Loop: Header=BB358_269 Depth=1
	s_delay_alu instid0(SALU_CYCLE_1)
	s_or_b32 exec_lo, exec_lo, s11
.LBB358_305:                            ;   in Loop: Header=BB358_269 Depth=1
	s_delay_alu instid0(SALU_CYCLE_1) | instskip(SKIP_3) | instid1(VALU_DEP_2)
	s_or_b32 exec_lo, exec_lo, s0
	v_lshrrev_b16 v2, 8, v2
	v_dual_mov_b32 v29, 0 :: v_dual_mov_b32 v38, 0
	s_mov_b32 s0, exec_lo
	v_cmpx_ne_u16_e32 0, v2
	s_cbranch_execz .LBB358_313
; %bb.306:                              ;   in Loop: Header=BB358_269 Depth=1
	v_bfrev_b32_e32 v38, 1
	s_mov_b32 s11, exec_lo
	v_cmpx_ne_u16_e32 0x80, v2
	s_cbranch_execz .LBB358_312
; %bb.307:                              ;   in Loop: Header=BB358_269 Depth=1
	v_and_b32_e32 v39, 0xffff, v2
	v_mov_b32_e32 v38, 0x7fc02000
	s_mov_b32 s13, exec_lo
	s_delay_alu instid0(VALU_DEP_2) | instskip(NEXT) | instid1(VALU_DEP_1)
	v_and_b32_e32 v40, 0x7f, v39
	v_cmpx_ne_u32_e32 0x7f, v40
	s_cbranch_execz .LBB358_311
; %bb.308:                              ;   in Loop: Header=BB358_269 Depth=1
	v_and_b32_e32 v2, 7, v39
	v_lshrrev_b32_e32 v38, 3, v40
	s_mov_b32 s14, exec_lo
	v_cmpx_gt_u32_e32 8, v40
; %bb.309:                              ;   in Loop: Header=BB358_269 Depth=1
	s_delay_alu instid0(VALU_DEP_3) | instskip(NEXT) | instid1(VALU_DEP_1)
	v_clz_i32_u32_e32 v38, v2
	v_min_u32_e32 v38, 32, v38
	s_delay_alu instid0(VALU_DEP_1) | instskip(SKIP_1) | instid1(VALU_DEP_2)
	v_subrev_nc_u32_e32 v40, 28, v38
	v_sub_nc_u32_e32 v38, 29, v38
	v_lshlrev_b64 v[40:41], v40, v[2:3]
	s_delay_alu instid0(VALU_DEP_1)
	v_and_b32_e32 v2, 7, v40
; %bb.310:                              ;   in Loop: Header=BB358_269 Depth=1
	s_or_b32 exec_lo, exec_lo, s14
	v_lshlrev_b32_e32 v39, 8, v39
	v_lshl_add_u32 v38, v38, 10, 0x2000
	s_delay_alu instid0(VALU_DEP_1) | instskip(NEXT) | instid1(VALU_DEP_1)
	v_and_or_b32 v38, 0x8000, v39, v38
	v_lshl_or_b32 v2, v2, 7, v38
	s_delay_alu instid0(VALU_DEP_1)
	v_cvt_f32_f16_e32 v38, v2
.LBB358_311:                            ;   in Loop: Header=BB358_269 Depth=1
	s_or_b32 exec_lo, exec_lo, s13
.LBB358_312:                            ;   in Loop: Header=BB358_269 Depth=1
	s_delay_alu instid0(SALU_CYCLE_1)
	s_or_b32 exec_lo, exec_lo, s11
.LBB358_313:                            ;   in Loop: Header=BB358_269 Depth=1
	s_delay_alu instid0(SALU_CYCLE_1) | instskip(SKIP_2) | instid1(VALU_DEP_1)
	s_or_b32 exec_lo, exec_lo, s0
	v_lshrrev_b32_e32 v39, 16, v11
	s_mov_b32 s0, exec_lo
	v_and_b32_e32 v2, 0xff, v39
	s_delay_alu instid0(VALU_DEP_1)
	v_cmpx_ne_u16_e32 0, v2
	s_cbranch_execz .LBB358_321
; %bb.314:                              ;   in Loop: Header=BB358_269 Depth=1
	v_bfrev_b32_e32 v29, 1
	s_mov_b32 s11, exec_lo
	v_cmpx_ne_u16_e32 0x80, v2
	s_cbranch_execz .LBB358_320
; %bb.315:                              ;   in Loop: Header=BB358_269 Depth=1
	v_bfe_u32 v40, v11, 16, 7
	v_mov_b32_e32 v29, 0x7fc02000
	s_mov_b32 s13, exec_lo
	s_delay_alu instid0(VALU_DEP_2)
	v_cmpx_ne_u32_e32 0x7f, v40
	s_cbranch_execz .LBB358_319
; %bb.316:                              ;   in Loop: Header=BB358_269 Depth=1
	v_and_b32_e32 v2, 7, v39
	v_lshrrev_b32_e32 v29, 3, v40
	s_mov_b32 s14, exec_lo
	v_cmpx_gt_u32_e32 8, v40
; %bb.317:                              ;   in Loop: Header=BB358_269 Depth=1
	s_delay_alu instid0(VALU_DEP_3) | instskip(NEXT) | instid1(VALU_DEP_1)
	v_clz_i32_u32_e32 v29, v2
	v_min_u32_e32 v29, 32, v29
	s_delay_alu instid0(VALU_DEP_1) | instskip(SKIP_1) | instid1(VALU_DEP_2)
	v_subrev_nc_u32_e32 v40, 28, v29
	v_sub_nc_u32_e32 v29, 29, v29
	v_lshlrev_b64 v[40:41], v40, v[2:3]
	s_delay_alu instid0(VALU_DEP_1)
	v_and_b32_e32 v2, 7, v40
; %bb.318:                              ;   in Loop: Header=BB358_269 Depth=1
	s_or_b32 exec_lo, exec_lo, s14
	v_lshlrev_b32_e32 v39, 8, v39
	v_lshl_add_u32 v29, v29, 10, 0x2000
	s_delay_alu instid0(VALU_DEP_1) | instskip(NEXT) | instid1(VALU_DEP_1)
	v_and_or_b32 v29, 0x8000, v39, v29
	v_lshl_or_b32 v2, v2, 7, v29
	s_delay_alu instid0(VALU_DEP_1)
	v_cvt_f32_f16_e32 v29, v2
.LBB358_319:                            ;   in Loop: Header=BB358_269 Depth=1
	s_or_b32 exec_lo, exec_lo, s13
.LBB358_320:                            ;   in Loop: Header=BB358_269 Depth=1
	s_delay_alu instid0(SALU_CYCLE_1)
	s_or_b32 exec_lo, exec_lo, s11
.LBB358_321:                            ;   in Loop: Header=BB358_269 Depth=1
	s_delay_alu instid0(SALU_CYCLE_1)
	s_or_b32 exec_lo, exec_lo, s0
	v_mov_b32_e32 v2, 0
	s_mov_b32 s0, exec_lo
	v_cmpx_lt_u64_e64 s[2:3], v[10:11]
	s_cbranch_execz .LBB358_329
; %bb.322:                              ;   in Loop: Header=BB358_269 Depth=1
	v_lshrrev_b32_e32 v10, 24, v11
	v_bfrev_b32_e32 v2, 1
	s_mov_b32 s11, exec_lo
	s_delay_alu instid0(VALU_DEP_2)
	v_cmpx_ne_u32_e32 0x80, v10
	s_cbranch_execz .LBB358_328
; %bb.323:                              ;   in Loop: Header=BB358_269 Depth=1
	v_and_b32_e32 v39, 0x7f, v10
	v_mov_b32_e32 v2, 0x7fc02000
	s_mov_b32 s13, exec_lo
	s_delay_alu instid0(VALU_DEP_2)
	v_cmpx_ne_u32_e32 0x7f, v39
	s_cbranch_execz .LBB358_327
; %bb.324:                              ;   in Loop: Header=BB358_269 Depth=1
	v_and_b32_e32 v2, 7, v10
	v_lshrrev_b32_e32 v11, 3, v39
	s_mov_b32 s14, exec_lo
	v_cmpx_gt_u32_e32 8, v39
; %bb.325:                              ;   in Loop: Header=BB358_269 Depth=1
	s_delay_alu instid0(VALU_DEP_3) | instskip(NEXT) | instid1(VALU_DEP_1)
	v_clz_i32_u32_e32 v11, v2
	v_min_u32_e32 v11, 32, v11
	s_delay_alu instid0(VALU_DEP_1) | instskip(SKIP_1) | instid1(VALU_DEP_2)
	v_subrev_nc_u32_e32 v39, 28, v11
	v_sub_nc_u32_e32 v11, 29, v11
	v_lshlrev_b64 v[39:40], v39, v[2:3]
	s_delay_alu instid0(VALU_DEP_1)
	v_and_b32_e32 v2, 7, v39
; %bb.326:                              ;   in Loop: Header=BB358_269 Depth=1
	s_or_b32 exec_lo, exec_lo, s14
	v_lshlrev_b32_e32 v10, 8, v10
	v_lshl_add_u32 v11, v11, 10, 0x2000
	s_delay_alu instid0(VALU_DEP_1) | instskip(NEXT) | instid1(VALU_DEP_1)
	v_and_or_b32 v10, 0x8000, v10, v11
	v_lshl_or_b32 v2, v2, 7, v10
	s_delay_alu instid0(VALU_DEP_1)
	v_cvt_f32_f16_e32 v2, v2
.LBB358_327:                            ;   in Loop: Header=BB358_269 Depth=1
	s_or_b32 exec_lo, exec_lo, s13
.LBB358_328:                            ;   in Loop: Header=BB358_269 Depth=1
	s_delay_alu instid0(SALU_CYCLE_1)
	s_or_b32 exec_lo, exec_lo, s11
.LBB358_329:                            ;   in Loop: Header=BB358_269 Depth=1
	s_delay_alu instid0(SALU_CYCLE_1)
	s_or_b32 exec_lo, exec_lo, s0
	s_waitcnt vmcnt(0)
	v_fma_mixlo_f16 v10, v23, v28, 0
	v_fma_mixlo_f16 v11, v23, v26, 0
	v_fma_mixlo_f16 v25, v23, v25, 0
	v_fma_mixlo_f16 v24, v23, v24, 0
	v_fma_mixlo_f16 v26, v23, v38, 0
	v_fma_mixlo_f16 v27, v23, v27, 0
	v_fma_mixlo_f16 v2, v23, v2, 0
	v_fma_mixlo_f16 v38, v23, v29, 0
	v_lshlrev_b32_e32 v10, 16, v10
	v_and_b32_e32 v11, 0xffff, v11
	v_lshlrev_b32_e32 v25, 16, v25
	v_and_b32_e32 v23, 0xffff, v24
	;; [unrolled: 2-line block ×4, first 2 shown]
	v_cmp_eq_u32_e32 vcc_lo, s25, v1
	v_or_b32_e32 v11, v10, v11
	v_or_b32_e32 v39, v25, v23
	;; [unrolled: 1-line block ×4, first 2 shown]
	v_add_nc_u32_e32 v29, 1, v16
	v_or_b32_e32 v28, 3, v16
	v_or_b32_e32 v27, 2, v16
	;; [unrolled: 1-line block ×6, first 2 shown]
	s_and_saveexec_b32 s11, vcc_lo
	s_cbranch_execz .LBB358_331
; %bb.330:                              ;   in Loop: Header=BB358_269 Depth=1
	v_cmp_gt_i32_e64 s0, s15, v16
	v_lshrrev_b32_e32 v40, 16, v39
	v_lshrrev_b32_e32 v41, 16, v11
	;; [unrolled: 1-line block ×4, first 2 shown]
	v_cndmask_b32_e64 v39, 0, v39, s0
	v_cmp_gt_i32_e64 s0, s10, v29
	s_delay_alu instid0(VALU_DEP_1) | instskip(SKIP_1) | instid1(VALU_DEP_2)
	v_cndmask_b32_e64 v40, 0, v40, s0
	v_cmp_gt_i32_e64 s0, s10, v28
	v_perm_b32 v39, v40, v39, 0x5040100
	s_delay_alu instid0(VALU_DEP_2) | instskip(SKIP_1) | instid1(VALU_DEP_1)
	v_cndmask_b32_e64 v41, 0, v41, s0
	v_cmp_gt_i32_e64 s0, s15, v27
	v_cndmask_b32_e64 v11, 0, v11, s0
	v_cmp_gt_i32_e64 s0, s10, v26
	s_delay_alu instid0(VALU_DEP_2) | instskip(NEXT) | instid1(VALU_DEP_2)
	v_perm_b32 v11, v41, v11, 0x5040100
	v_cndmask_b32_e64 v42, 0, v42, s0
	v_cmp_gt_i32_e64 s0, s15, v25
	s_delay_alu instid0(VALU_DEP_1) | instskip(SKIP_1) | instid1(VALU_DEP_2)
	v_cndmask_b32_e64 v2, 0, v2, s0
	v_cmp_gt_i32_e64 s0, s10, v24
	v_perm_b32 v2, v42, v2, 0x5040100
	s_delay_alu instid0(VALU_DEP_2) | instskip(SKIP_1) | instid1(VALU_DEP_1)
	v_cndmask_b32_e64 v10, 0, v10, s0
	v_cmp_gt_i32_e64 s0, s15, v23
	v_cndmask_b32_e64 v38, 0, v38, s0
	s_delay_alu instid0(VALU_DEP_1)
	v_perm_b32 v10, v10, v38, 0x5040100
.LBB358_331:                            ;   in Loop: Header=BB358_269 Depth=1
	s_or_b32 exec_lo, exec_lo, s11
	v_and_b32_e32 v30, 0xffff, v30
	v_and_b32_e32 v38, 0xffff, v33
	;; [unrolled: 1-line block ×4, first 2 shown]
	s_mov_b32 s11, exec_lo
	v_lshl_or_b32 v33, v31, 16, v30
	v_lshl_or_b32 v32, v32, 16, v38
	v_mov_b32_e32 v38, 0
	v_lshl_or_b32 v31, v34, 16, v36
	;;#ASMSTART
	v_pk_mul_f16 v34, v33, v39;

	;;#ASMEND
	;;#ASMSTART
	v_pk_mul_f16 v11, v32, v11;

	;;#ASMEND
	;; [unrolled: 4-line block ×3, first 2 shown]
	v_lshl_or_b32 v30, v35, 16, v37
	;;#ASMSTART
	v_pk_mul_f16 v10, v30, v10;

	;;#ASMEND
	;;#ASMSTART
	v_pk_add_f16 v11, v34, v11;

	;;#ASMEND
	;;#ASMSTART
	v_pk_add_f16 v2, v11, v2;
	;; [unrolled: 4-line block ×3, first 2 shown]

	;;#ASMEND
	v_and_b32_e32 v10, 0xffff, v2
	v_lshrrev_b32_e32 v2, 16, v2
	;;#ASMSTART
	v_cvt_f32_f16 v34, v10;
	;;#ASMEND
	;;#ASMSTART
	v_cvt_f32_f16 v35, v2;
	;;#ASMEND
	global_load_b64 v[10:11], v[8:9], off offset:256
	global_load_b32 v36, v3, s[6:7]
	s_waitcnt vmcnt(1)
	v_dual_mov_b32 v37, 0 :: v_dual_and_b32 v2, 0xff, v10
	s_delay_alu instid0(VALU_DEP_1)
	v_cmpx_ne_u16_e32 0, v2
	s_cbranch_execz .LBB358_337
; %bb.332:                              ;   in Loop: Header=BB358_269 Depth=1
	v_bfrev_b32_e32 v37, 1
	s_mov_b32 s13, exec_lo
	v_cmpx_ne_u16_e32 0x80, v2
	s_cbranch_execz .LBB358_336
; %bb.333:                              ;   in Loop: Header=BB358_269 Depth=1
	v_and_b32_e32 v2, 0x7f, v10
	v_mov_b32_e32 v37, 0x7fc02000
	s_mov_b32 s14, exec_lo
	s_delay_alu instid0(VALU_DEP_2)
	v_cmpx_ne_u32_e32 0x7f, v2
	s_cbranch_execz .LBB358_335
; %bb.334:                              ;   in Loop: Header=BB358_269 Depth=1
	v_and_b32_e32 v37, 7, v10
	v_cmp_gt_u32_e64 s0, 8, v2
	v_lshrrev_b32_e32 v39, 3, v2
	s_delay_alu instid0(VALU_DEP_3) | instskip(NEXT) | instid1(VALU_DEP_1)
	v_clz_i32_u32_e32 v37, v37
	v_min_u32_e32 v37, 32, v37
	s_delay_alu instid0(VALU_DEP_1) | instskip(SKIP_1) | instid1(VALU_DEP_2)
	v_subrev_nc_u32_e32 v40, 28, v37
	v_sub_nc_u32_e32 v37, 29, v37
	v_cndmask_b32_e64 v2, 0, v40, s0
	s_delay_alu instid0(VALU_DEP_2) | instskip(NEXT) | instid1(VALU_DEP_2)
	v_cndmask_b32_e64 v37, v39, v37, s0
	v_lshlrev_b64 v[39:40], v2, v[10:11]
	v_lshlrev_b32_e32 v2, 8, v10
	s_delay_alu instid0(VALU_DEP_3) | instskip(NEXT) | instid1(VALU_DEP_3)
	v_lshl_add_u32 v37, v37, 10, 0x2000
	v_lshlrev_b32_e32 v39, 7, v39
	s_delay_alu instid0(VALU_DEP_2) | instskip(NEXT) | instid1(VALU_DEP_1)
	v_and_or_b32 v2, 0x8000, v2, v37
	v_and_or_b32 v2, 0x380, v39, v2
	s_delay_alu instid0(VALU_DEP_1)
	v_cvt_f32_f16_e32 v37, v2
.LBB358_335:                            ;   in Loop: Header=BB358_269 Depth=1
	s_or_b32 exec_lo, exec_lo, s14
.LBB358_336:                            ;   in Loop: Header=BB358_269 Depth=1
	s_delay_alu instid0(SALU_CYCLE_1)
	s_or_b32 exec_lo, exec_lo, s13
.LBB358_337:                            ;   in Loop: Header=BB358_269 Depth=1
	s_delay_alu instid0(SALU_CYCLE_1) | instskip(SKIP_2) | instid1(VALU_DEP_1)
	s_or_b32 exec_lo, exec_lo, s11
	v_lshrrev_b16 v2, 8, v10
	s_mov_b32 s11, exec_lo
	v_cmpx_ne_u16_e32 0, v2
	s_cbranch_execz .LBB358_345
; %bb.338:                              ;   in Loop: Header=BB358_269 Depth=1
	v_bfrev_b32_e32 v38, 1
	s_mov_b32 s13, exec_lo
	v_cmpx_ne_u16_e32 0x80, v2
	s_cbranch_execz .LBB358_344
; %bb.339:                              ;   in Loop: Header=BB358_269 Depth=1
	v_and_b32_e32 v39, 0xffff, v2
	v_mov_b32_e32 v38, 0x7fc02000
	s_mov_b32 s14, exec_lo
	s_delay_alu instid0(VALU_DEP_2) | instskip(NEXT) | instid1(VALU_DEP_1)
	v_and_b32_e32 v40, 0x7f, v39
	v_cmpx_ne_u32_e32 0x7f, v40
	s_cbranch_execz .LBB358_343
; %bb.340:                              ;   in Loop: Header=BB358_269 Depth=1
	v_and_b32_e32 v2, 7, v39
	v_lshrrev_b32_e32 v38, 3, v40
	s_mov_b32 s16, exec_lo
	v_cmpx_gt_u32_e32 8, v40
; %bb.341:                              ;   in Loop: Header=BB358_269 Depth=1
	s_delay_alu instid0(VALU_DEP_3) | instskip(NEXT) | instid1(VALU_DEP_1)
	v_clz_i32_u32_e32 v38, v2
	v_min_u32_e32 v38, 32, v38
	s_delay_alu instid0(VALU_DEP_1) | instskip(SKIP_1) | instid1(VALU_DEP_2)
	v_subrev_nc_u32_e32 v40, 28, v38
	v_sub_nc_u32_e32 v38, 29, v38
	v_lshlrev_b64 v[40:41], v40, v[2:3]
	s_delay_alu instid0(VALU_DEP_1)
	v_and_b32_e32 v2, 7, v40
; %bb.342:                              ;   in Loop: Header=BB358_269 Depth=1
	s_or_b32 exec_lo, exec_lo, s16
	v_lshlrev_b32_e32 v39, 8, v39
	v_lshl_add_u32 v38, v38, 10, 0x2000
	s_delay_alu instid0(VALU_DEP_1) | instskip(NEXT) | instid1(VALU_DEP_1)
	v_and_or_b32 v38, 0x8000, v39, v38
	v_lshl_or_b32 v2, v2, 7, v38
	s_delay_alu instid0(VALU_DEP_1)
	v_cvt_f32_f16_e32 v38, v2
.LBB358_343:                            ;   in Loop: Header=BB358_269 Depth=1
	s_or_b32 exec_lo, exec_lo, s14
.LBB358_344:                            ;   in Loop: Header=BB358_269 Depth=1
	s_delay_alu instid0(SALU_CYCLE_1)
	s_or_b32 exec_lo, exec_lo, s13
.LBB358_345:                            ;   in Loop: Header=BB358_269 Depth=1
	s_delay_alu instid0(SALU_CYCLE_1) | instskip(SKIP_3) | instid1(VALU_DEP_2)
	s_or_b32 exec_lo, exec_lo, s11
	v_lshrrev_b32_e32 v41, 16, v10
	v_mov_b32_e32 v40, 0
	s_mov_b32 s11, exec_lo
	v_dual_mov_b32 v39, 0 :: v_dual_and_b32 v2, 0xff, v41
	s_delay_alu instid0(VALU_DEP_1)
	v_cmpx_ne_u16_e32 0, v2
	s_cbranch_execz .LBB358_353
; %bb.346:                              ;   in Loop: Header=BB358_269 Depth=1
	v_bfrev_b32_e32 v39, 1
	s_mov_b32 s13, exec_lo
	v_cmpx_ne_u16_e32 0x80, v2
	s_cbranch_execz .LBB358_352
; %bb.347:                              ;   in Loop: Header=BB358_269 Depth=1
	v_bfe_u32 v42, v10, 16, 7
	v_mov_b32_e32 v39, 0x7fc02000
	s_mov_b32 s14, exec_lo
	s_delay_alu instid0(VALU_DEP_2)
	v_cmpx_ne_u32_e32 0x7f, v42
	s_cbranch_execz .LBB358_351
; %bb.348:                              ;   in Loop: Header=BB358_269 Depth=1
	v_and_b32_e32 v2, 7, v41
	v_lshrrev_b32_e32 v39, 3, v42
	s_mov_b32 s16, exec_lo
	v_cmpx_gt_u32_e32 8, v42
; %bb.349:                              ;   in Loop: Header=BB358_269 Depth=1
	s_delay_alu instid0(VALU_DEP_3) | instskip(NEXT) | instid1(VALU_DEP_1)
	v_clz_i32_u32_e32 v39, v2
	v_min_u32_e32 v39, 32, v39
	s_delay_alu instid0(VALU_DEP_1) | instskip(SKIP_1) | instid1(VALU_DEP_2)
	v_subrev_nc_u32_e32 v42, 28, v39
	v_sub_nc_u32_e32 v39, 29, v39
	v_lshlrev_b64 v[42:43], v42, v[2:3]
	s_delay_alu instid0(VALU_DEP_1)
	v_and_b32_e32 v2, 7, v42
; %bb.350:                              ;   in Loop: Header=BB358_269 Depth=1
	s_or_b32 exec_lo, exec_lo, s16
	v_lshlrev_b32_e32 v41, 8, v41
	v_lshl_add_u32 v39, v39, 10, 0x2000
	s_delay_alu instid0(VALU_DEP_1) | instskip(NEXT) | instid1(VALU_DEP_1)
	v_and_or_b32 v39, 0x8000, v41, v39
	v_lshl_or_b32 v2, v2, 7, v39
	s_delay_alu instid0(VALU_DEP_1)
	v_cvt_f32_f16_e32 v39, v2
.LBB358_351:                            ;   in Loop: Header=BB358_269 Depth=1
	s_or_b32 exec_lo, exec_lo, s14
.LBB358_352:                            ;   in Loop: Header=BB358_269 Depth=1
	s_delay_alu instid0(SALU_CYCLE_1)
	s_or_b32 exec_lo, exec_lo, s13
.LBB358_353:                            ;   in Loop: Header=BB358_269 Depth=1
	s_delay_alu instid0(SALU_CYCLE_1) | instskip(NEXT) | instid1(SALU_CYCLE_1)
	s_or_b32 exec_lo, exec_lo, s11
	s_mov_b32 s11, exec_lo
	v_cmpx_lt_u32_e32 0xffffff, v10
	s_cbranch_execz .LBB358_361
; %bb.354:                              ;   in Loop: Header=BB358_269 Depth=1
	v_lshrrev_b32_e32 v41, 24, v10
	v_bfrev_b32_e32 v40, 1
	s_mov_b32 s13, exec_lo
	s_delay_alu instid0(VALU_DEP_2)
	v_cmpx_ne_u32_e32 0x80, v41
	s_cbranch_execz .LBB358_360
; %bb.355:                              ;   in Loop: Header=BB358_269 Depth=1
	v_and_b32_e32 v42, 0x7f, v41
	v_mov_b32_e32 v40, 0x7fc02000
	s_mov_b32 s14, exec_lo
	s_delay_alu instid0(VALU_DEP_2)
	v_cmpx_ne_u32_e32 0x7f, v42
	s_cbranch_execz .LBB358_359
; %bb.356:                              ;   in Loop: Header=BB358_269 Depth=1
	v_and_b32_e32 v2, 7, v41
	v_lshrrev_b32_e32 v40, 3, v42
	s_mov_b32 s16, exec_lo
	v_cmpx_gt_u32_e32 8, v42
; %bb.357:                              ;   in Loop: Header=BB358_269 Depth=1
	s_delay_alu instid0(VALU_DEP_3) | instskip(NEXT) | instid1(VALU_DEP_1)
	v_clz_i32_u32_e32 v40, v2
	v_min_u32_e32 v40, 32, v40
	s_delay_alu instid0(VALU_DEP_1) | instskip(SKIP_1) | instid1(VALU_DEP_2)
	v_subrev_nc_u32_e32 v42, 28, v40
	v_sub_nc_u32_e32 v40, 29, v40
	v_lshlrev_b64 v[42:43], v42, v[2:3]
	s_delay_alu instid0(VALU_DEP_1)
	v_and_b32_e32 v2, 7, v42
; %bb.358:                              ;   in Loop: Header=BB358_269 Depth=1
	s_or_b32 exec_lo, exec_lo, s16
	v_lshlrev_b32_e32 v41, 8, v41
	v_lshl_add_u32 v40, v40, 10, 0x2000
	s_delay_alu instid0(VALU_DEP_1) | instskip(NEXT) | instid1(VALU_DEP_1)
	v_and_or_b32 v40, 0x8000, v41, v40
	v_lshl_or_b32 v2, v2, 7, v40
	s_delay_alu instid0(VALU_DEP_1)
	v_cvt_f32_f16_e32 v40, v2
.LBB358_359:                            ;   in Loop: Header=BB358_269 Depth=1
	s_or_b32 exec_lo, exec_lo, s14
.LBB358_360:                            ;   in Loop: Header=BB358_269 Depth=1
	s_delay_alu instid0(SALU_CYCLE_1)
	s_or_b32 exec_lo, exec_lo, s13
.LBB358_361:                            ;   in Loop: Header=BB358_269 Depth=1
	s_delay_alu instid0(SALU_CYCLE_1) | instskip(SKIP_3) | instid1(VALU_DEP_2)
	s_or_b32 exec_lo, exec_lo, s11
	v_dual_mov_b32 v2, v11 :: v_dual_and_b32 v43, 0xff, v11
	v_dual_mov_b32 v42, 0 :: v_dual_mov_b32 v41, 0
	s_mov_b32 s11, exec_lo
	v_cmpx_ne_u16_e32 0, v43
	s_cbranch_execz .LBB358_367
; %bb.362:                              ;   in Loop: Header=BB358_269 Depth=1
	v_bfrev_b32_e32 v41, 1
	s_mov_b32 s13, exec_lo
	v_cmpx_ne_u16_e32 0x80, v43
	s_cbranch_execz .LBB358_366
; %bb.363:                              ;   in Loop: Header=BB358_269 Depth=1
	v_and_b32_e32 v43, 0x7f, v11
	v_mov_b32_e32 v41, 0x7fc02000
	s_mov_b32 s14, exec_lo
	s_delay_alu instid0(VALU_DEP_2)
	v_cmpx_ne_u32_e32 0x7f, v43
	s_cbranch_execz .LBB358_365
; %bb.364:                              ;   in Loop: Header=BB358_269 Depth=1
	v_and_b32_e32 v41, 7, v11
	v_cmp_gt_u32_e64 s0, 8, v43
	v_lshrrev_b32_e32 v44, 3, v43
	s_delay_alu instid0(VALU_DEP_3) | instskip(NEXT) | instid1(VALU_DEP_1)
	v_clz_i32_u32_e32 v41, v41
	v_min_u32_e32 v41, 32, v41
	s_delay_alu instid0(VALU_DEP_1) | instskip(SKIP_1) | instid1(VALU_DEP_2)
	v_subrev_nc_u32_e32 v45, 28, v41
	v_sub_nc_u32_e32 v41, 29, v41
	v_cndmask_b32_e64 v43, 0, v45, s0
	s_delay_alu instid0(VALU_DEP_2) | instskip(NEXT) | instid1(VALU_DEP_2)
	v_cndmask_b32_e64 v41, v44, v41, s0
	v_lshlrev_b64 v[43:44], v43, v[2:3]
	v_lshlrev_b32_e32 v44, 8, v11
	s_delay_alu instid0(VALU_DEP_3) | instskip(NEXT) | instid1(VALU_DEP_3)
	v_lshl_add_u32 v41, v41, 10, 0x2000
	v_lshlrev_b32_e32 v43, 7, v43
	s_delay_alu instid0(VALU_DEP_2) | instskip(NEXT) | instid1(VALU_DEP_1)
	v_and_or_b32 v41, 0x8000, v44, v41
	v_and_or_b32 v41, 0x380, v43, v41
	s_delay_alu instid0(VALU_DEP_1)
	v_cvt_f32_f16_e32 v41, v41
.LBB358_365:                            ;   in Loop: Header=BB358_269 Depth=1
	s_or_b32 exec_lo, exec_lo, s14
.LBB358_366:                            ;   in Loop: Header=BB358_269 Depth=1
	s_delay_alu instid0(SALU_CYCLE_1)
	s_or_b32 exec_lo, exec_lo, s13
.LBB358_367:                            ;   in Loop: Header=BB358_269 Depth=1
	s_delay_alu instid0(SALU_CYCLE_1) | instskip(SKIP_2) | instid1(VALU_DEP_1)
	s_or_b32 exec_lo, exec_lo, s11
	v_lshrrev_b16 v2, 8, v2
	s_mov_b32 s11, exec_lo
	v_cmpx_ne_u16_e32 0, v2
	s_cbranch_execz .LBB358_375
; %bb.368:                              ;   in Loop: Header=BB358_269 Depth=1
	v_bfrev_b32_e32 v42, 1
	s_mov_b32 s13, exec_lo
	v_cmpx_ne_u16_e32 0x80, v2
	s_cbranch_execz .LBB358_374
; %bb.369:                              ;   in Loop: Header=BB358_269 Depth=1
	v_and_b32_e32 v43, 0xffff, v2
	v_mov_b32_e32 v42, 0x7fc02000
	s_mov_b32 s14, exec_lo
	s_delay_alu instid0(VALU_DEP_2) | instskip(NEXT) | instid1(VALU_DEP_1)
	v_and_b32_e32 v44, 0x7f, v43
	v_cmpx_ne_u32_e32 0x7f, v44
	s_cbranch_execz .LBB358_373
; %bb.370:                              ;   in Loop: Header=BB358_269 Depth=1
	v_and_b32_e32 v2, 7, v43
	v_lshrrev_b32_e32 v42, 3, v44
	s_mov_b32 s16, exec_lo
	v_cmpx_gt_u32_e32 8, v44
; %bb.371:                              ;   in Loop: Header=BB358_269 Depth=1
	s_delay_alu instid0(VALU_DEP_3) | instskip(NEXT) | instid1(VALU_DEP_1)
	v_clz_i32_u32_e32 v42, v2
	v_min_u32_e32 v42, 32, v42
	s_delay_alu instid0(VALU_DEP_1) | instskip(SKIP_1) | instid1(VALU_DEP_2)
	v_subrev_nc_u32_e32 v44, 28, v42
	v_sub_nc_u32_e32 v42, 29, v42
	v_lshlrev_b64 v[44:45], v44, v[2:3]
	s_delay_alu instid0(VALU_DEP_1)
	v_and_b32_e32 v2, 7, v44
; %bb.372:                              ;   in Loop: Header=BB358_269 Depth=1
	s_or_b32 exec_lo, exec_lo, s16
	v_lshlrev_b32_e32 v43, 8, v43
	v_lshl_add_u32 v42, v42, 10, 0x2000
	s_delay_alu instid0(VALU_DEP_1) | instskip(NEXT) | instid1(VALU_DEP_1)
	v_and_or_b32 v42, 0x8000, v43, v42
	v_lshl_or_b32 v2, v2, 7, v42
	s_delay_alu instid0(VALU_DEP_1)
	v_cvt_f32_f16_e32 v42, v2
.LBB358_373:                            ;   in Loop: Header=BB358_269 Depth=1
	s_or_b32 exec_lo, exec_lo, s14
.LBB358_374:                            ;   in Loop: Header=BB358_269 Depth=1
	s_delay_alu instid0(SALU_CYCLE_1)
	s_or_b32 exec_lo, exec_lo, s13
.LBB358_375:                            ;   in Loop: Header=BB358_269 Depth=1
	s_delay_alu instid0(SALU_CYCLE_1) | instskip(SKIP_3) | instid1(VALU_DEP_2)
	s_or_b32 exec_lo, exec_lo, s11
	v_lshrrev_b32_e32 v45, 16, v11
	v_mov_b32_e32 v44, 0
	s_mov_b32 s11, exec_lo
	v_dual_mov_b32 v43, 0 :: v_dual_and_b32 v2, 0xff, v45
	s_delay_alu instid0(VALU_DEP_1)
	v_cmpx_ne_u16_e32 0, v2
	s_cbranch_execz .LBB358_383
; %bb.376:                              ;   in Loop: Header=BB358_269 Depth=1
	v_bfrev_b32_e32 v43, 1
	s_mov_b32 s13, exec_lo
	v_cmpx_ne_u16_e32 0x80, v2
	s_cbranch_execz .LBB358_382
; %bb.377:                              ;   in Loop: Header=BB358_269 Depth=1
	v_bfe_u32 v46, v11, 16, 7
	v_mov_b32_e32 v43, 0x7fc02000
	s_mov_b32 s14, exec_lo
	s_delay_alu instid0(VALU_DEP_2)
	v_cmpx_ne_u32_e32 0x7f, v46
	s_cbranch_execz .LBB358_381
; %bb.378:                              ;   in Loop: Header=BB358_269 Depth=1
	v_and_b32_e32 v2, 7, v45
	v_lshrrev_b32_e32 v43, 3, v46
	s_mov_b32 s16, exec_lo
	v_cmpx_gt_u32_e32 8, v46
; %bb.379:                              ;   in Loop: Header=BB358_269 Depth=1
	s_delay_alu instid0(VALU_DEP_3) | instskip(NEXT) | instid1(VALU_DEP_1)
	v_clz_i32_u32_e32 v43, v2
	v_min_u32_e32 v43, 32, v43
	s_delay_alu instid0(VALU_DEP_1) | instskip(SKIP_1) | instid1(VALU_DEP_2)
	v_subrev_nc_u32_e32 v46, 28, v43
	v_sub_nc_u32_e32 v43, 29, v43
	v_lshlrev_b64 v[46:47], v46, v[2:3]
	s_delay_alu instid0(VALU_DEP_1)
	v_and_b32_e32 v2, 7, v46
; %bb.380:                              ;   in Loop: Header=BB358_269 Depth=1
	s_or_b32 exec_lo, exec_lo, s16
	v_lshlrev_b32_e32 v45, 8, v45
	v_lshl_add_u32 v43, v43, 10, 0x2000
	s_delay_alu instid0(VALU_DEP_1) | instskip(NEXT) | instid1(VALU_DEP_1)
	v_and_or_b32 v43, 0x8000, v45, v43
	v_lshl_or_b32 v2, v2, 7, v43
	s_delay_alu instid0(VALU_DEP_1)
	v_cvt_f32_f16_e32 v43, v2
.LBB358_381:                            ;   in Loop: Header=BB358_269 Depth=1
	s_or_b32 exec_lo, exec_lo, s14
.LBB358_382:                            ;   in Loop: Header=BB358_269 Depth=1
	s_delay_alu instid0(SALU_CYCLE_1)
	s_or_b32 exec_lo, exec_lo, s13
.LBB358_383:                            ;   in Loop: Header=BB358_269 Depth=1
	s_delay_alu instid0(SALU_CYCLE_1) | instskip(NEXT) | instid1(SALU_CYCLE_1)
	s_or_b32 exec_lo, exec_lo, s11
	s_mov_b32 s11, exec_lo
	v_cmpx_lt_u64_e64 s[2:3], v[10:11]
	s_cbranch_execz .LBB358_391
; %bb.384:                              ;   in Loop: Header=BB358_269 Depth=1
	v_lshrrev_b32_e32 v10, 24, v11
	v_bfrev_b32_e32 v44, 1
	s_mov_b32 s13, exec_lo
	s_delay_alu instid0(VALU_DEP_2)
	v_cmpx_ne_u32_e32 0x80, v10
	s_cbranch_execz .LBB358_390
; %bb.385:                              ;   in Loop: Header=BB358_269 Depth=1
	v_and_b32_e32 v45, 0x7f, v10
	v_mov_b32_e32 v44, 0x7fc02000
	s_mov_b32 s14, exec_lo
	s_delay_alu instid0(VALU_DEP_2)
	v_cmpx_ne_u32_e32 0x7f, v45
	s_cbranch_execz .LBB358_389
; %bb.386:                              ;   in Loop: Header=BB358_269 Depth=1
	v_and_b32_e32 v2, 7, v10
	v_lshrrev_b32_e32 v11, 3, v45
	s_mov_b32 s16, exec_lo
	v_cmpx_gt_u32_e32 8, v45
; %bb.387:                              ;   in Loop: Header=BB358_269 Depth=1
	s_delay_alu instid0(VALU_DEP_3) | instskip(NEXT) | instid1(VALU_DEP_1)
	v_clz_i32_u32_e32 v11, v2
	v_min_u32_e32 v11, 32, v11
	s_delay_alu instid0(VALU_DEP_1) | instskip(SKIP_1) | instid1(VALU_DEP_2)
	v_subrev_nc_u32_e32 v44, 28, v11
	v_sub_nc_u32_e32 v11, 29, v11
	v_lshlrev_b64 v[44:45], v44, v[2:3]
	s_delay_alu instid0(VALU_DEP_1)
	v_and_b32_e32 v2, 7, v44
; %bb.388:                              ;   in Loop: Header=BB358_269 Depth=1
	s_or_b32 exec_lo, exec_lo, s16
	v_lshlrev_b32_e32 v10, 8, v10
	v_lshl_add_u32 v11, v11, 10, 0x2000
	s_delay_alu instid0(VALU_DEP_1) | instskip(NEXT) | instid1(VALU_DEP_1)
	v_and_or_b32 v10, 0x8000, v10, v11
	v_lshl_or_b32 v2, v2, 7, v10
	s_delay_alu instid0(VALU_DEP_1)
	v_cvt_f32_f16_e32 v44, v2
.LBB358_389:                            ;   in Loop: Header=BB358_269 Depth=1
	s_or_b32 exec_lo, exec_lo, s14
.LBB358_390:                            ;   in Loop: Header=BB358_269 Depth=1
	s_delay_alu instid0(SALU_CYCLE_1)
	s_or_b32 exec_lo, exec_lo, s13
.LBB358_391:                            ;   in Loop: Header=BB358_269 Depth=1
	s_delay_alu instid0(SALU_CYCLE_1)
	s_or_b32 exec_lo, exec_lo, s11
	s_waitcnt vmcnt(0)
	v_fma_mixlo_f16 v11, v36, v38, 0
	v_fma_mixlo_f16 v2, v36, v40, 0
	;; [unrolled: 1-line block ×5, first 2 shown]
	v_lshlrev_b32_e32 v38, 16, v11
	v_fma_mixlo_f16 v40, v36, v41, 0
	v_fma_mixlo_f16 v41, v36, v44, 0
	;; [unrolled: 1-line block ×3, first 2 shown]
	v_lshlrev_b32_e32 v2, 16, v2
	v_and_b32_e32 v10, 0xffff, v10
	v_and_b32_e32 v37, 0xffff, v37
	v_lshlrev_b32_e32 v39, 16, v39
	v_and_b32_e32 v40, 0xffff, v40
	v_lshlrev_b32_e32 v41, 16, v41
	v_and_b32_e32 v42, 0xffff, v11
	v_or_b32_e32 v36, v2, v10
	v_or_b32_e32 v37, v38, v37
	;; [unrolled: 1-line block ×3, first 2 shown]
	s_delay_alu instid0(VALU_DEP_4)
	v_or_b32_e32 v10, v41, v42
	s_and_saveexec_b32 s11, vcc_lo
	s_cbranch_execz .LBB358_393
; %bb.392:                              ;   in Loop: Header=BB358_269 Depth=1
	v_cmp_gt_i32_e64 s0, s15, v16
	v_lshrrev_b32_e32 v38, 16, v37
	v_lshrrev_b32_e32 v39, 16, v36
	;; [unrolled: 1-line block ×4, first 2 shown]
	v_cndmask_b32_e64 v37, 0, v37, s0
	v_cmp_gt_i32_e64 s0, s10, v29
	s_delay_alu instid0(VALU_DEP_1) | instskip(SKIP_1) | instid1(VALU_DEP_2)
	v_cndmask_b32_e64 v38, 0, v38, s0
	v_cmp_gt_i32_e64 s0, s10, v28
	v_perm_b32 v37, v38, v37, 0x5040100
	s_delay_alu instid0(VALU_DEP_2) | instskip(SKIP_1) | instid1(VALU_DEP_1)
	v_cndmask_b32_e64 v39, 0, v39, s0
	v_cmp_gt_i32_e64 s0, s15, v27
	v_cndmask_b32_e64 v36, 0, v36, s0
	v_cmp_gt_i32_e64 s0, s10, v26
	s_delay_alu instid0(VALU_DEP_2) | instskip(NEXT) | instid1(VALU_DEP_2)
	v_perm_b32 v36, v39, v36, 0x5040100
	v_cndmask_b32_e64 v40, 0, v40, s0
	v_cmp_gt_i32_e64 s0, s15, v25
	s_delay_alu instid0(VALU_DEP_1) | instskip(SKIP_1) | instid1(VALU_DEP_2)
	v_cndmask_b32_e64 v2, 0, v2, s0
	v_cmp_gt_i32_e64 s0, s10, v24
	v_perm_b32 v2, v40, v2, 0x5040100
	s_delay_alu instid0(VALU_DEP_2) | instskip(SKIP_1) | instid1(VALU_DEP_1)
	v_cndmask_b32_e64 v10, 0, v10, s0
	v_cmp_gt_i32_e64 s0, s15, v23
	v_cndmask_b32_e64 v11, 0, v11, s0
	s_delay_alu instid0(VALU_DEP_1)
	v_perm_b32 v10, v10, v11, 0x5040100
.LBB358_393:                            ;   in Loop: Header=BB358_269 Depth=1
	s_or_b32 exec_lo, exec_lo, s11
	;;#ASMSTART
	v_pk_mul_f16 v11, v33, v37;

	;;#ASMEND
	;;#ASMSTART
	v_pk_mul_f16 v36, v32, v36;

	;;#ASMEND
	;; [unrolled: 4-line block ×4, first 2 shown]
	;;#ASMSTART
	v_pk_add_f16 v11, v11, v36;

	;;#ASMEND
	;;#ASMSTART
	v_pk_add_f16 v2, v11, v2;

	;;#ASMEND
	;; [unrolled: 4-line block ×3, first 2 shown]
	v_dual_mov_b32 v39, 0 :: v_dual_and_b32 v10, 0xffff, v2
	v_lshrrev_b32_e32 v2, 16, v2
	;;#ASMSTART
	v_cvt_f32_f16 v36, v10;
	;;#ASMEND
	;;#ASMSTART
	v_cvt_f32_f16 v37, v2;
	;;#ASMEND
	global_load_b64 v[10:11], v[8:9], off offset:512
	global_load_b32 v38, v3, s[6:7]
	v_mov_b32_e32 v40, 0
	s_mov_b32 s11, exec_lo
	s_waitcnt vmcnt(1)
	v_and_b32_e32 v2, 0xff, v10
	s_delay_alu instid0(VALU_DEP_1)
	v_cmpx_ne_u16_e32 0, v2
	s_cbranch_execz .LBB358_399
; %bb.394:                              ;   in Loop: Header=BB358_269 Depth=1
	v_bfrev_b32_e32 v39, 1
	s_mov_b32 s13, exec_lo
	v_cmpx_ne_u16_e32 0x80, v2
	s_cbranch_execz .LBB358_398
; %bb.395:                              ;   in Loop: Header=BB358_269 Depth=1
	v_and_b32_e32 v2, 0x7f, v10
	v_mov_b32_e32 v39, 0x7fc02000
	s_mov_b32 s14, exec_lo
	s_delay_alu instid0(VALU_DEP_2)
	v_cmpx_ne_u32_e32 0x7f, v2
	s_cbranch_execz .LBB358_397
; %bb.396:                              ;   in Loop: Header=BB358_269 Depth=1
	v_and_b32_e32 v39, 7, v10
	v_cmp_gt_u32_e64 s0, 8, v2
	v_lshrrev_b32_e32 v41, 3, v2
	s_delay_alu instid0(VALU_DEP_3) | instskip(NEXT) | instid1(VALU_DEP_1)
	v_clz_i32_u32_e32 v39, v39
	v_min_u32_e32 v39, 32, v39
	s_delay_alu instid0(VALU_DEP_1) | instskip(SKIP_1) | instid1(VALU_DEP_2)
	v_subrev_nc_u32_e32 v42, 28, v39
	v_sub_nc_u32_e32 v39, 29, v39
	v_cndmask_b32_e64 v2, 0, v42, s0
	s_delay_alu instid0(VALU_DEP_2) | instskip(NEXT) | instid1(VALU_DEP_2)
	v_cndmask_b32_e64 v39, v41, v39, s0
	v_lshlrev_b64 v[41:42], v2, v[10:11]
	v_lshlrev_b32_e32 v2, 8, v10
	s_delay_alu instid0(VALU_DEP_3) | instskip(NEXT) | instid1(VALU_DEP_3)
	v_lshl_add_u32 v39, v39, 10, 0x2000
	v_lshlrev_b32_e32 v41, 7, v41
	s_delay_alu instid0(VALU_DEP_2) | instskip(NEXT) | instid1(VALU_DEP_1)
	v_and_or_b32 v2, 0x8000, v2, v39
	v_and_or_b32 v2, 0x380, v41, v2
	s_delay_alu instid0(VALU_DEP_1)
	v_cvt_f32_f16_e32 v39, v2
.LBB358_397:                            ;   in Loop: Header=BB358_269 Depth=1
	s_or_b32 exec_lo, exec_lo, s14
.LBB358_398:                            ;   in Loop: Header=BB358_269 Depth=1
	s_delay_alu instid0(SALU_CYCLE_1)
	s_or_b32 exec_lo, exec_lo, s13
.LBB358_399:                            ;   in Loop: Header=BB358_269 Depth=1
	s_delay_alu instid0(SALU_CYCLE_1) | instskip(SKIP_2) | instid1(VALU_DEP_1)
	s_or_b32 exec_lo, exec_lo, s11
	v_lshrrev_b16 v2, 8, v10
	s_mov_b32 s11, exec_lo
	v_cmpx_ne_u16_e32 0, v2
	s_cbranch_execz .LBB358_407
; %bb.400:                              ;   in Loop: Header=BB358_269 Depth=1
	v_bfrev_b32_e32 v40, 1
	s_mov_b32 s13, exec_lo
	v_cmpx_ne_u16_e32 0x80, v2
	s_cbranch_execz .LBB358_406
; %bb.401:                              ;   in Loop: Header=BB358_269 Depth=1
	v_and_b32_e32 v41, 0xffff, v2
	v_mov_b32_e32 v40, 0x7fc02000
	s_mov_b32 s14, exec_lo
	s_delay_alu instid0(VALU_DEP_2) | instskip(NEXT) | instid1(VALU_DEP_1)
	v_and_b32_e32 v42, 0x7f, v41
	v_cmpx_ne_u32_e32 0x7f, v42
	s_cbranch_execz .LBB358_405
; %bb.402:                              ;   in Loop: Header=BB358_269 Depth=1
	v_and_b32_e32 v2, 7, v41
	v_lshrrev_b32_e32 v40, 3, v42
	s_mov_b32 s16, exec_lo
	v_cmpx_gt_u32_e32 8, v42
; %bb.403:                              ;   in Loop: Header=BB358_269 Depth=1
	s_delay_alu instid0(VALU_DEP_3) | instskip(NEXT) | instid1(VALU_DEP_1)
	v_clz_i32_u32_e32 v40, v2
	v_min_u32_e32 v40, 32, v40
	s_delay_alu instid0(VALU_DEP_1) | instskip(SKIP_1) | instid1(VALU_DEP_2)
	v_subrev_nc_u32_e32 v42, 28, v40
	v_sub_nc_u32_e32 v40, 29, v40
	v_lshlrev_b64 v[42:43], v42, v[2:3]
	s_delay_alu instid0(VALU_DEP_1)
	v_and_b32_e32 v2, 7, v42
; %bb.404:                              ;   in Loop: Header=BB358_269 Depth=1
	s_or_b32 exec_lo, exec_lo, s16
	v_lshlrev_b32_e32 v41, 8, v41
	v_lshl_add_u32 v40, v40, 10, 0x2000
	s_delay_alu instid0(VALU_DEP_1) | instskip(NEXT) | instid1(VALU_DEP_1)
	v_and_or_b32 v40, 0x8000, v41, v40
	v_lshl_or_b32 v2, v2, 7, v40
	s_delay_alu instid0(VALU_DEP_1)
	v_cvt_f32_f16_e32 v40, v2
.LBB358_405:                            ;   in Loop: Header=BB358_269 Depth=1
	s_or_b32 exec_lo, exec_lo, s14
.LBB358_406:                            ;   in Loop: Header=BB358_269 Depth=1
	s_delay_alu instid0(SALU_CYCLE_1)
	s_or_b32 exec_lo, exec_lo, s13
.LBB358_407:                            ;   in Loop: Header=BB358_269 Depth=1
	s_delay_alu instid0(SALU_CYCLE_1) | instskip(SKIP_3) | instid1(VALU_DEP_2)
	s_or_b32 exec_lo, exec_lo, s11
	v_lshrrev_b32_e32 v43, 16, v10
	v_mov_b32_e32 v42, 0
	s_mov_b32 s11, exec_lo
	v_dual_mov_b32 v41, 0 :: v_dual_and_b32 v2, 0xff, v43
	s_delay_alu instid0(VALU_DEP_1)
	v_cmpx_ne_u16_e32 0, v2
	s_cbranch_execz .LBB358_415
; %bb.408:                              ;   in Loop: Header=BB358_269 Depth=1
	v_bfrev_b32_e32 v41, 1
	s_mov_b32 s13, exec_lo
	v_cmpx_ne_u16_e32 0x80, v2
	s_cbranch_execz .LBB358_414
; %bb.409:                              ;   in Loop: Header=BB358_269 Depth=1
	v_bfe_u32 v44, v10, 16, 7
	v_mov_b32_e32 v41, 0x7fc02000
	s_mov_b32 s14, exec_lo
	s_delay_alu instid0(VALU_DEP_2)
	v_cmpx_ne_u32_e32 0x7f, v44
	s_cbranch_execz .LBB358_413
; %bb.410:                              ;   in Loop: Header=BB358_269 Depth=1
	v_and_b32_e32 v2, 7, v43
	v_lshrrev_b32_e32 v41, 3, v44
	s_mov_b32 s16, exec_lo
	v_cmpx_gt_u32_e32 8, v44
; %bb.411:                              ;   in Loop: Header=BB358_269 Depth=1
	s_delay_alu instid0(VALU_DEP_3) | instskip(NEXT) | instid1(VALU_DEP_1)
	v_clz_i32_u32_e32 v41, v2
	v_min_u32_e32 v41, 32, v41
	s_delay_alu instid0(VALU_DEP_1) | instskip(SKIP_1) | instid1(VALU_DEP_2)
	v_subrev_nc_u32_e32 v44, 28, v41
	v_sub_nc_u32_e32 v41, 29, v41
	v_lshlrev_b64 v[44:45], v44, v[2:3]
	s_delay_alu instid0(VALU_DEP_1)
	v_and_b32_e32 v2, 7, v44
; %bb.412:                              ;   in Loop: Header=BB358_269 Depth=1
	s_or_b32 exec_lo, exec_lo, s16
	v_lshlrev_b32_e32 v43, 8, v43
	v_lshl_add_u32 v41, v41, 10, 0x2000
	s_delay_alu instid0(VALU_DEP_1) | instskip(NEXT) | instid1(VALU_DEP_1)
	v_and_or_b32 v41, 0x8000, v43, v41
	v_lshl_or_b32 v2, v2, 7, v41
	s_delay_alu instid0(VALU_DEP_1)
	v_cvt_f32_f16_e32 v41, v2
.LBB358_413:                            ;   in Loop: Header=BB358_269 Depth=1
	s_or_b32 exec_lo, exec_lo, s14
.LBB358_414:                            ;   in Loop: Header=BB358_269 Depth=1
	s_delay_alu instid0(SALU_CYCLE_1)
	s_or_b32 exec_lo, exec_lo, s13
.LBB358_415:                            ;   in Loop: Header=BB358_269 Depth=1
	s_delay_alu instid0(SALU_CYCLE_1) | instskip(NEXT) | instid1(SALU_CYCLE_1)
	s_or_b32 exec_lo, exec_lo, s11
	s_mov_b32 s11, exec_lo
	v_cmpx_lt_u32_e32 0xffffff, v10
	s_cbranch_execz .LBB358_423
; %bb.416:                              ;   in Loop: Header=BB358_269 Depth=1
	v_lshrrev_b32_e32 v43, 24, v10
	v_bfrev_b32_e32 v42, 1
	s_mov_b32 s13, exec_lo
	s_delay_alu instid0(VALU_DEP_2)
	v_cmpx_ne_u32_e32 0x80, v43
	s_cbranch_execz .LBB358_422
; %bb.417:                              ;   in Loop: Header=BB358_269 Depth=1
	v_and_b32_e32 v44, 0x7f, v43
	v_mov_b32_e32 v42, 0x7fc02000
	s_mov_b32 s14, exec_lo
	s_delay_alu instid0(VALU_DEP_2)
	v_cmpx_ne_u32_e32 0x7f, v44
	s_cbranch_execz .LBB358_421
; %bb.418:                              ;   in Loop: Header=BB358_269 Depth=1
	v_and_b32_e32 v2, 7, v43
	v_lshrrev_b32_e32 v42, 3, v44
	s_mov_b32 s16, exec_lo
	v_cmpx_gt_u32_e32 8, v44
; %bb.419:                              ;   in Loop: Header=BB358_269 Depth=1
	s_delay_alu instid0(VALU_DEP_3) | instskip(NEXT) | instid1(VALU_DEP_1)
	v_clz_i32_u32_e32 v42, v2
	v_min_u32_e32 v42, 32, v42
	s_delay_alu instid0(VALU_DEP_1) | instskip(SKIP_1) | instid1(VALU_DEP_2)
	v_subrev_nc_u32_e32 v44, 28, v42
	v_sub_nc_u32_e32 v42, 29, v42
	v_lshlrev_b64 v[44:45], v44, v[2:3]
	s_delay_alu instid0(VALU_DEP_1)
	v_and_b32_e32 v2, 7, v44
; %bb.420:                              ;   in Loop: Header=BB358_269 Depth=1
	s_or_b32 exec_lo, exec_lo, s16
	v_lshlrev_b32_e32 v43, 8, v43
	v_lshl_add_u32 v42, v42, 10, 0x2000
	s_delay_alu instid0(VALU_DEP_1) | instskip(NEXT) | instid1(VALU_DEP_1)
	v_and_or_b32 v42, 0x8000, v43, v42
	v_lshl_or_b32 v2, v2, 7, v42
	s_delay_alu instid0(VALU_DEP_1)
	v_cvt_f32_f16_e32 v42, v2
.LBB358_421:                            ;   in Loop: Header=BB358_269 Depth=1
	s_or_b32 exec_lo, exec_lo, s14
.LBB358_422:                            ;   in Loop: Header=BB358_269 Depth=1
	s_delay_alu instid0(SALU_CYCLE_1)
	s_or_b32 exec_lo, exec_lo, s13
.LBB358_423:                            ;   in Loop: Header=BB358_269 Depth=1
	s_delay_alu instid0(SALU_CYCLE_1) | instskip(SKIP_3) | instid1(VALU_DEP_2)
	s_or_b32 exec_lo, exec_lo, s11
	v_dual_mov_b32 v2, v11 :: v_dual_and_b32 v45, 0xff, v11
	v_dual_mov_b32 v44, 0 :: v_dual_mov_b32 v43, 0
	s_mov_b32 s11, exec_lo
	v_cmpx_ne_u16_e32 0, v45
	s_cbranch_execz .LBB358_429
; %bb.424:                              ;   in Loop: Header=BB358_269 Depth=1
	v_bfrev_b32_e32 v43, 1
	s_mov_b32 s13, exec_lo
	v_cmpx_ne_u16_e32 0x80, v45
	s_cbranch_execz .LBB358_428
; %bb.425:                              ;   in Loop: Header=BB358_269 Depth=1
	v_and_b32_e32 v45, 0x7f, v11
	v_mov_b32_e32 v43, 0x7fc02000
	s_mov_b32 s14, exec_lo
	s_delay_alu instid0(VALU_DEP_2)
	v_cmpx_ne_u32_e32 0x7f, v45
	s_cbranch_execz .LBB358_427
; %bb.426:                              ;   in Loop: Header=BB358_269 Depth=1
	v_and_b32_e32 v43, 7, v11
	v_cmp_gt_u32_e64 s0, 8, v45
	v_lshrrev_b32_e32 v46, 3, v45
	s_delay_alu instid0(VALU_DEP_3) | instskip(NEXT) | instid1(VALU_DEP_1)
	v_clz_i32_u32_e32 v43, v43
	v_min_u32_e32 v43, 32, v43
	s_delay_alu instid0(VALU_DEP_1) | instskip(SKIP_1) | instid1(VALU_DEP_2)
	v_subrev_nc_u32_e32 v47, 28, v43
	v_sub_nc_u32_e32 v43, 29, v43
	v_cndmask_b32_e64 v45, 0, v47, s0
	s_delay_alu instid0(VALU_DEP_2) | instskip(NEXT) | instid1(VALU_DEP_2)
	v_cndmask_b32_e64 v43, v46, v43, s0
	v_lshlrev_b64 v[45:46], v45, v[2:3]
	v_lshlrev_b32_e32 v46, 8, v11
	s_delay_alu instid0(VALU_DEP_3) | instskip(NEXT) | instid1(VALU_DEP_3)
	v_lshl_add_u32 v43, v43, 10, 0x2000
	v_lshlrev_b32_e32 v45, 7, v45
	s_delay_alu instid0(VALU_DEP_2) | instskip(NEXT) | instid1(VALU_DEP_1)
	v_and_or_b32 v43, 0x8000, v46, v43
	v_and_or_b32 v43, 0x380, v45, v43
	s_delay_alu instid0(VALU_DEP_1)
	v_cvt_f32_f16_e32 v43, v43
.LBB358_427:                            ;   in Loop: Header=BB358_269 Depth=1
	s_or_b32 exec_lo, exec_lo, s14
.LBB358_428:                            ;   in Loop: Header=BB358_269 Depth=1
	s_delay_alu instid0(SALU_CYCLE_1)
	s_or_b32 exec_lo, exec_lo, s13
.LBB358_429:                            ;   in Loop: Header=BB358_269 Depth=1
	s_delay_alu instid0(SALU_CYCLE_1) | instskip(SKIP_2) | instid1(VALU_DEP_1)
	s_or_b32 exec_lo, exec_lo, s11
	v_lshrrev_b16 v2, 8, v2
	s_mov_b32 s11, exec_lo
	v_cmpx_ne_u16_e32 0, v2
	s_cbranch_execz .LBB358_437
; %bb.430:                              ;   in Loop: Header=BB358_269 Depth=1
	v_bfrev_b32_e32 v44, 1
	s_mov_b32 s13, exec_lo
	v_cmpx_ne_u16_e32 0x80, v2
	s_cbranch_execz .LBB358_436
; %bb.431:                              ;   in Loop: Header=BB358_269 Depth=1
	v_and_b32_e32 v45, 0xffff, v2
	v_mov_b32_e32 v44, 0x7fc02000
	s_mov_b32 s14, exec_lo
	s_delay_alu instid0(VALU_DEP_2) | instskip(NEXT) | instid1(VALU_DEP_1)
	v_and_b32_e32 v46, 0x7f, v45
	v_cmpx_ne_u32_e32 0x7f, v46
	s_cbranch_execz .LBB358_435
; %bb.432:                              ;   in Loop: Header=BB358_269 Depth=1
	v_and_b32_e32 v2, 7, v45
	v_lshrrev_b32_e32 v44, 3, v46
	s_mov_b32 s16, exec_lo
	v_cmpx_gt_u32_e32 8, v46
; %bb.433:                              ;   in Loop: Header=BB358_269 Depth=1
	s_delay_alu instid0(VALU_DEP_3) | instskip(NEXT) | instid1(VALU_DEP_1)
	v_clz_i32_u32_e32 v44, v2
	v_min_u32_e32 v44, 32, v44
	s_delay_alu instid0(VALU_DEP_1) | instskip(SKIP_1) | instid1(VALU_DEP_2)
	v_subrev_nc_u32_e32 v46, 28, v44
	v_sub_nc_u32_e32 v44, 29, v44
	v_lshlrev_b64 v[46:47], v46, v[2:3]
	s_delay_alu instid0(VALU_DEP_1)
	v_and_b32_e32 v2, 7, v46
; %bb.434:                              ;   in Loop: Header=BB358_269 Depth=1
	s_or_b32 exec_lo, exec_lo, s16
	v_lshlrev_b32_e32 v45, 8, v45
	v_lshl_add_u32 v44, v44, 10, 0x2000
	s_delay_alu instid0(VALU_DEP_1) | instskip(NEXT) | instid1(VALU_DEP_1)
	v_and_or_b32 v44, 0x8000, v45, v44
	v_lshl_or_b32 v2, v2, 7, v44
	s_delay_alu instid0(VALU_DEP_1)
	v_cvt_f32_f16_e32 v44, v2
.LBB358_435:                            ;   in Loop: Header=BB358_269 Depth=1
	s_or_b32 exec_lo, exec_lo, s14
.LBB358_436:                            ;   in Loop: Header=BB358_269 Depth=1
	s_delay_alu instid0(SALU_CYCLE_1)
	s_or_b32 exec_lo, exec_lo, s13
.LBB358_437:                            ;   in Loop: Header=BB358_269 Depth=1
	s_delay_alu instid0(SALU_CYCLE_1) | instskip(SKIP_3) | instid1(VALU_DEP_2)
	s_or_b32 exec_lo, exec_lo, s11
	v_lshrrev_b32_e32 v47, 16, v11
	v_mov_b32_e32 v46, 0
	s_mov_b32 s11, exec_lo
	v_dual_mov_b32 v45, 0 :: v_dual_and_b32 v2, 0xff, v47
	s_delay_alu instid0(VALU_DEP_1)
	v_cmpx_ne_u16_e32 0, v2
	s_cbranch_execz .LBB358_445
; %bb.438:                              ;   in Loop: Header=BB358_269 Depth=1
	v_bfrev_b32_e32 v45, 1
	s_mov_b32 s13, exec_lo
	v_cmpx_ne_u16_e32 0x80, v2
	s_cbranch_execz .LBB358_444
; %bb.439:                              ;   in Loop: Header=BB358_269 Depth=1
	v_bfe_u32 v48, v11, 16, 7
	v_mov_b32_e32 v45, 0x7fc02000
	s_mov_b32 s14, exec_lo
	s_delay_alu instid0(VALU_DEP_2)
	v_cmpx_ne_u32_e32 0x7f, v48
	s_cbranch_execz .LBB358_443
; %bb.440:                              ;   in Loop: Header=BB358_269 Depth=1
	v_and_b32_e32 v2, 7, v47
	v_lshrrev_b32_e32 v45, 3, v48
	s_mov_b32 s16, exec_lo
	v_cmpx_gt_u32_e32 8, v48
; %bb.441:                              ;   in Loop: Header=BB358_269 Depth=1
	s_delay_alu instid0(VALU_DEP_3) | instskip(NEXT) | instid1(VALU_DEP_1)
	v_clz_i32_u32_e32 v45, v2
	v_min_u32_e32 v45, 32, v45
	s_delay_alu instid0(VALU_DEP_1) | instskip(SKIP_1) | instid1(VALU_DEP_2)
	v_subrev_nc_u32_e32 v48, 28, v45
	v_sub_nc_u32_e32 v45, 29, v45
	v_lshlrev_b64 v[48:49], v48, v[2:3]
	s_delay_alu instid0(VALU_DEP_1)
	v_and_b32_e32 v2, 7, v48
; %bb.442:                              ;   in Loop: Header=BB358_269 Depth=1
	s_or_b32 exec_lo, exec_lo, s16
	v_lshlrev_b32_e32 v47, 8, v47
	v_lshl_add_u32 v45, v45, 10, 0x2000
	s_delay_alu instid0(VALU_DEP_1) | instskip(NEXT) | instid1(VALU_DEP_1)
	v_and_or_b32 v45, 0x8000, v47, v45
	v_lshl_or_b32 v2, v2, 7, v45
	s_delay_alu instid0(VALU_DEP_1)
	v_cvt_f32_f16_e32 v45, v2
.LBB358_443:                            ;   in Loop: Header=BB358_269 Depth=1
	s_or_b32 exec_lo, exec_lo, s14
.LBB358_444:                            ;   in Loop: Header=BB358_269 Depth=1
	s_delay_alu instid0(SALU_CYCLE_1)
	s_or_b32 exec_lo, exec_lo, s13
.LBB358_445:                            ;   in Loop: Header=BB358_269 Depth=1
	s_delay_alu instid0(SALU_CYCLE_1) | instskip(NEXT) | instid1(SALU_CYCLE_1)
	s_or_b32 exec_lo, exec_lo, s11
	s_mov_b32 s11, exec_lo
	v_cmpx_lt_u64_e64 s[2:3], v[10:11]
	s_cbranch_execz .LBB358_453
; %bb.446:                              ;   in Loop: Header=BB358_269 Depth=1
	v_lshrrev_b32_e32 v10, 24, v11
	v_bfrev_b32_e32 v46, 1
	s_mov_b32 s13, exec_lo
	s_delay_alu instid0(VALU_DEP_2)
	v_cmpx_ne_u32_e32 0x80, v10
	s_cbranch_execz .LBB358_452
; %bb.447:                              ;   in Loop: Header=BB358_269 Depth=1
	v_and_b32_e32 v47, 0x7f, v10
	v_mov_b32_e32 v46, 0x7fc02000
	s_mov_b32 s14, exec_lo
	s_delay_alu instid0(VALU_DEP_2)
	v_cmpx_ne_u32_e32 0x7f, v47
	s_cbranch_execz .LBB358_451
; %bb.448:                              ;   in Loop: Header=BB358_269 Depth=1
	v_and_b32_e32 v2, 7, v10
	v_lshrrev_b32_e32 v11, 3, v47
	s_mov_b32 s16, exec_lo
	v_cmpx_gt_u32_e32 8, v47
; %bb.449:                              ;   in Loop: Header=BB358_269 Depth=1
	s_delay_alu instid0(VALU_DEP_3) | instskip(NEXT) | instid1(VALU_DEP_1)
	v_clz_i32_u32_e32 v11, v2
	v_min_u32_e32 v11, 32, v11
	s_delay_alu instid0(VALU_DEP_1) | instskip(SKIP_1) | instid1(VALU_DEP_2)
	v_subrev_nc_u32_e32 v46, 28, v11
	v_sub_nc_u32_e32 v11, 29, v11
	v_lshlrev_b64 v[46:47], v46, v[2:3]
	s_delay_alu instid0(VALU_DEP_1)
	v_and_b32_e32 v2, 7, v46
; %bb.450:                              ;   in Loop: Header=BB358_269 Depth=1
	s_or_b32 exec_lo, exec_lo, s16
	v_lshlrev_b32_e32 v10, 8, v10
	v_lshl_add_u32 v11, v11, 10, 0x2000
	s_delay_alu instid0(VALU_DEP_1) | instskip(NEXT) | instid1(VALU_DEP_1)
	v_and_or_b32 v10, 0x8000, v10, v11
	v_lshl_or_b32 v2, v2, 7, v10
	s_delay_alu instid0(VALU_DEP_1)
	v_cvt_f32_f16_e32 v46, v2
.LBB358_451:                            ;   in Loop: Header=BB358_269 Depth=1
	s_or_b32 exec_lo, exec_lo, s14
.LBB358_452:                            ;   in Loop: Header=BB358_269 Depth=1
	s_delay_alu instid0(SALU_CYCLE_1)
	s_or_b32 exec_lo, exec_lo, s13
.LBB358_453:                            ;   in Loop: Header=BB358_269 Depth=1
	s_delay_alu instid0(SALU_CYCLE_1)
	s_or_b32 exec_lo, exec_lo, s11
	s_waitcnt vmcnt(0)
	v_fma_mixlo_f16 v11, v38, v40, 0
	v_fma_mixlo_f16 v2, v38, v42, 0
	v_fma_mixlo_f16 v10, v38, v41, 0
	v_fma_mixlo_f16 v39, v38, v39, 0
	v_fma_mixlo_f16 v41, v38, v44, 0
	v_lshlrev_b32_e32 v40, 16, v11
	v_fma_mixlo_f16 v42, v38, v43, 0
	v_fma_mixlo_f16 v43, v38, v46, 0
	;; [unrolled: 1-line block ×3, first 2 shown]
	v_lshlrev_b32_e32 v2, 16, v2
	v_and_b32_e32 v10, 0xffff, v10
	v_and_b32_e32 v39, 0xffff, v39
	v_lshlrev_b32_e32 v41, 16, v41
	v_and_b32_e32 v42, 0xffff, v42
	v_lshlrev_b32_e32 v43, 16, v43
	v_and_b32_e32 v44, 0xffff, v11
	v_or_b32_e32 v38, v2, v10
	v_or_b32_e32 v39, v40, v39
	v_or_b32_e32 v2, v41, v42
	s_delay_alu instid0(VALU_DEP_4)
	v_or_b32_e32 v10, v43, v44
	s_and_saveexec_b32 s11, vcc_lo
	s_cbranch_execz .LBB358_455
; %bb.454:                              ;   in Loop: Header=BB358_269 Depth=1
	v_cmp_gt_i32_e64 s0, s15, v16
	v_lshrrev_b32_e32 v40, 16, v39
	v_lshrrev_b32_e32 v41, 16, v38
	;; [unrolled: 1-line block ×4, first 2 shown]
	v_cndmask_b32_e64 v39, 0, v39, s0
	v_cmp_gt_i32_e64 s0, s10, v29
	s_delay_alu instid0(VALU_DEP_1) | instskip(SKIP_1) | instid1(VALU_DEP_2)
	v_cndmask_b32_e64 v40, 0, v40, s0
	v_cmp_gt_i32_e64 s0, s10, v28
	v_perm_b32 v39, v40, v39, 0x5040100
	s_delay_alu instid0(VALU_DEP_2) | instskip(SKIP_1) | instid1(VALU_DEP_1)
	v_cndmask_b32_e64 v41, 0, v41, s0
	v_cmp_gt_i32_e64 s0, s15, v27
	v_cndmask_b32_e64 v38, 0, v38, s0
	v_cmp_gt_i32_e64 s0, s10, v26
	s_delay_alu instid0(VALU_DEP_2) | instskip(NEXT) | instid1(VALU_DEP_2)
	v_perm_b32 v38, v41, v38, 0x5040100
	v_cndmask_b32_e64 v42, 0, v42, s0
	v_cmp_gt_i32_e64 s0, s15, v25
	s_delay_alu instid0(VALU_DEP_1) | instskip(SKIP_1) | instid1(VALU_DEP_2)
	v_cndmask_b32_e64 v2, 0, v2, s0
	v_cmp_gt_i32_e64 s0, s10, v24
	v_perm_b32 v2, v42, v2, 0x5040100
	s_delay_alu instid0(VALU_DEP_2) | instskip(SKIP_1) | instid1(VALU_DEP_1)
	v_cndmask_b32_e64 v10, 0, v10, s0
	v_cmp_gt_i32_e64 s0, s15, v23
	v_cndmask_b32_e64 v11, 0, v11, s0
	s_delay_alu instid0(VALU_DEP_1)
	v_perm_b32 v10, v10, v11, 0x5040100
.LBB358_455:                            ;   in Loop: Header=BB358_269 Depth=1
	s_or_b32 exec_lo, exec_lo, s11
	;;#ASMSTART
	v_pk_mul_f16 v11, v33, v39;

	;;#ASMEND
	;;#ASMSTART
	v_pk_mul_f16 v38, v32, v38;

	;;#ASMEND
	;; [unrolled: 4-line block ×4, first 2 shown]
	;;#ASMSTART
	v_pk_add_f16 v11, v11, v38;

	;;#ASMEND
	;;#ASMSTART
	v_pk_add_f16 v2, v11, v2;

	;;#ASMEND
	;;#ASMSTART
	v_pk_add_f16 v2, v2, v10;

	;;#ASMEND
	v_dual_mov_b32 v39, 0 :: v_dual_and_b32 v10, 0xffff, v2
	v_lshrrev_b32_e32 v2, 16, v2
	;;#ASMSTART
	v_cvt_f32_f16 v10, v10;
	;;#ASMEND
	;;#ASMSTART
	v_cvt_f32_f16 v11, v2;
	;;#ASMEND
	global_load_b64 v[8:9], v[8:9], off offset:768
	global_load_b32 v38, v3, s[6:7]
	v_mov_b32_e32 v40, 0
	s_mov_b32 s11, exec_lo
	s_waitcnt vmcnt(1)
	v_and_b32_e32 v2, 0xff, v8
	s_delay_alu instid0(VALU_DEP_1)
	v_cmpx_ne_u16_e32 0, v2
	s_cbranch_execz .LBB358_461
; %bb.456:                              ;   in Loop: Header=BB358_269 Depth=1
	v_bfrev_b32_e32 v39, 1
	s_mov_b32 s13, exec_lo
	v_cmpx_ne_u16_e32 0x80, v2
	s_cbranch_execz .LBB358_460
; %bb.457:                              ;   in Loop: Header=BB358_269 Depth=1
	v_and_b32_e32 v2, 0x7f, v8
	v_mov_b32_e32 v39, 0x7fc02000
	s_mov_b32 s14, exec_lo
	s_delay_alu instid0(VALU_DEP_2)
	v_cmpx_ne_u32_e32 0x7f, v2
	s_cbranch_execz .LBB358_459
; %bb.458:                              ;   in Loop: Header=BB358_269 Depth=1
	v_and_b32_e32 v39, 7, v8
	v_cmp_gt_u32_e64 s0, 8, v2
	v_lshrrev_b32_e32 v41, 3, v2
	s_delay_alu instid0(VALU_DEP_3) | instskip(NEXT) | instid1(VALU_DEP_1)
	v_clz_i32_u32_e32 v39, v39
	v_min_u32_e32 v39, 32, v39
	s_delay_alu instid0(VALU_DEP_1) | instskip(SKIP_1) | instid1(VALU_DEP_2)
	v_subrev_nc_u32_e32 v42, 28, v39
	v_sub_nc_u32_e32 v39, 29, v39
	v_cndmask_b32_e64 v2, 0, v42, s0
	s_delay_alu instid0(VALU_DEP_2) | instskip(NEXT) | instid1(VALU_DEP_2)
	v_cndmask_b32_e64 v39, v41, v39, s0
	v_lshlrev_b64 v[41:42], v2, v[8:9]
	v_lshlrev_b32_e32 v2, 8, v8
	s_delay_alu instid0(VALU_DEP_3) | instskip(NEXT) | instid1(VALU_DEP_3)
	v_lshl_add_u32 v39, v39, 10, 0x2000
	v_lshlrev_b32_e32 v41, 7, v41
	s_delay_alu instid0(VALU_DEP_2) | instskip(NEXT) | instid1(VALU_DEP_1)
	v_and_or_b32 v2, 0x8000, v2, v39
	v_and_or_b32 v2, 0x380, v41, v2
	s_delay_alu instid0(VALU_DEP_1)
	v_cvt_f32_f16_e32 v39, v2
.LBB358_459:                            ;   in Loop: Header=BB358_269 Depth=1
	s_or_b32 exec_lo, exec_lo, s14
.LBB358_460:                            ;   in Loop: Header=BB358_269 Depth=1
	s_delay_alu instid0(SALU_CYCLE_1)
	s_or_b32 exec_lo, exec_lo, s13
.LBB358_461:                            ;   in Loop: Header=BB358_269 Depth=1
	s_delay_alu instid0(SALU_CYCLE_1) | instskip(SKIP_2) | instid1(VALU_DEP_1)
	s_or_b32 exec_lo, exec_lo, s11
	v_lshrrev_b16 v2, 8, v8
	s_mov_b32 s11, exec_lo
	v_cmpx_ne_u16_e32 0, v2
	s_cbranch_execz .LBB358_469
; %bb.462:                              ;   in Loop: Header=BB358_269 Depth=1
	v_bfrev_b32_e32 v40, 1
	s_mov_b32 s13, exec_lo
	v_cmpx_ne_u16_e32 0x80, v2
	s_cbranch_execz .LBB358_468
; %bb.463:                              ;   in Loop: Header=BB358_269 Depth=1
	v_and_b32_e32 v41, 0xffff, v2
	v_mov_b32_e32 v40, 0x7fc02000
	s_mov_b32 s14, exec_lo
	s_delay_alu instid0(VALU_DEP_2) | instskip(NEXT) | instid1(VALU_DEP_1)
	v_and_b32_e32 v42, 0x7f, v41
	v_cmpx_ne_u32_e32 0x7f, v42
	s_cbranch_execz .LBB358_467
; %bb.464:                              ;   in Loop: Header=BB358_269 Depth=1
	v_and_b32_e32 v2, 7, v41
	v_lshrrev_b32_e32 v40, 3, v42
	s_mov_b32 s16, exec_lo
	v_cmpx_gt_u32_e32 8, v42
; %bb.465:                              ;   in Loop: Header=BB358_269 Depth=1
	s_delay_alu instid0(VALU_DEP_3) | instskip(NEXT) | instid1(VALU_DEP_1)
	v_clz_i32_u32_e32 v40, v2
	v_min_u32_e32 v40, 32, v40
	s_delay_alu instid0(VALU_DEP_1) | instskip(SKIP_1) | instid1(VALU_DEP_2)
	v_subrev_nc_u32_e32 v42, 28, v40
	v_sub_nc_u32_e32 v40, 29, v40
	v_lshlrev_b64 v[42:43], v42, v[2:3]
	s_delay_alu instid0(VALU_DEP_1)
	v_and_b32_e32 v2, 7, v42
; %bb.466:                              ;   in Loop: Header=BB358_269 Depth=1
	s_or_b32 exec_lo, exec_lo, s16
	v_lshlrev_b32_e32 v41, 8, v41
	v_lshl_add_u32 v40, v40, 10, 0x2000
	s_delay_alu instid0(VALU_DEP_1) | instskip(NEXT) | instid1(VALU_DEP_1)
	v_and_or_b32 v40, 0x8000, v41, v40
	v_lshl_or_b32 v2, v2, 7, v40
	s_delay_alu instid0(VALU_DEP_1)
	v_cvt_f32_f16_e32 v40, v2
.LBB358_467:                            ;   in Loop: Header=BB358_269 Depth=1
	s_or_b32 exec_lo, exec_lo, s14
.LBB358_468:                            ;   in Loop: Header=BB358_269 Depth=1
	s_delay_alu instid0(SALU_CYCLE_1)
	s_or_b32 exec_lo, exec_lo, s13
.LBB358_469:                            ;   in Loop: Header=BB358_269 Depth=1
	s_delay_alu instid0(SALU_CYCLE_1) | instskip(SKIP_3) | instid1(VALU_DEP_2)
	s_or_b32 exec_lo, exec_lo, s11
	v_lshrrev_b32_e32 v43, 16, v8
	v_mov_b32_e32 v42, 0
	s_mov_b32 s11, exec_lo
	v_dual_mov_b32 v41, 0 :: v_dual_and_b32 v2, 0xff, v43
	s_delay_alu instid0(VALU_DEP_1)
	v_cmpx_ne_u16_e32 0, v2
	s_cbranch_execz .LBB358_477
; %bb.470:                              ;   in Loop: Header=BB358_269 Depth=1
	v_bfrev_b32_e32 v41, 1
	s_mov_b32 s13, exec_lo
	v_cmpx_ne_u16_e32 0x80, v2
	s_cbranch_execz .LBB358_476
; %bb.471:                              ;   in Loop: Header=BB358_269 Depth=1
	v_bfe_u32 v44, v8, 16, 7
	v_mov_b32_e32 v41, 0x7fc02000
	s_mov_b32 s14, exec_lo
	s_delay_alu instid0(VALU_DEP_2)
	v_cmpx_ne_u32_e32 0x7f, v44
	s_cbranch_execz .LBB358_475
; %bb.472:                              ;   in Loop: Header=BB358_269 Depth=1
	v_and_b32_e32 v2, 7, v43
	v_lshrrev_b32_e32 v41, 3, v44
	s_mov_b32 s16, exec_lo
	v_cmpx_gt_u32_e32 8, v44
; %bb.473:                              ;   in Loop: Header=BB358_269 Depth=1
	s_delay_alu instid0(VALU_DEP_3) | instskip(NEXT) | instid1(VALU_DEP_1)
	v_clz_i32_u32_e32 v41, v2
	v_min_u32_e32 v41, 32, v41
	s_delay_alu instid0(VALU_DEP_1) | instskip(SKIP_1) | instid1(VALU_DEP_2)
	v_subrev_nc_u32_e32 v44, 28, v41
	v_sub_nc_u32_e32 v41, 29, v41
	v_lshlrev_b64 v[44:45], v44, v[2:3]
	s_delay_alu instid0(VALU_DEP_1)
	v_and_b32_e32 v2, 7, v44
; %bb.474:                              ;   in Loop: Header=BB358_269 Depth=1
	s_or_b32 exec_lo, exec_lo, s16
	v_lshlrev_b32_e32 v43, 8, v43
	v_lshl_add_u32 v41, v41, 10, 0x2000
	s_delay_alu instid0(VALU_DEP_1) | instskip(NEXT) | instid1(VALU_DEP_1)
	v_and_or_b32 v41, 0x8000, v43, v41
	v_lshl_or_b32 v2, v2, 7, v41
	s_delay_alu instid0(VALU_DEP_1)
	v_cvt_f32_f16_e32 v41, v2
.LBB358_475:                            ;   in Loop: Header=BB358_269 Depth=1
	s_or_b32 exec_lo, exec_lo, s14
.LBB358_476:                            ;   in Loop: Header=BB358_269 Depth=1
	s_delay_alu instid0(SALU_CYCLE_1)
	s_or_b32 exec_lo, exec_lo, s13
.LBB358_477:                            ;   in Loop: Header=BB358_269 Depth=1
	s_delay_alu instid0(SALU_CYCLE_1) | instskip(NEXT) | instid1(SALU_CYCLE_1)
	s_or_b32 exec_lo, exec_lo, s11
	s_mov_b32 s11, exec_lo
	v_cmpx_lt_u32_e32 0xffffff, v8
	s_cbranch_execz .LBB358_485
; %bb.478:                              ;   in Loop: Header=BB358_269 Depth=1
	v_lshrrev_b32_e32 v43, 24, v8
	v_bfrev_b32_e32 v42, 1
	s_mov_b32 s13, exec_lo
	s_delay_alu instid0(VALU_DEP_2)
	v_cmpx_ne_u32_e32 0x80, v43
	s_cbranch_execz .LBB358_484
; %bb.479:                              ;   in Loop: Header=BB358_269 Depth=1
	v_and_b32_e32 v44, 0x7f, v43
	v_mov_b32_e32 v42, 0x7fc02000
	s_mov_b32 s14, exec_lo
	s_delay_alu instid0(VALU_DEP_2)
	v_cmpx_ne_u32_e32 0x7f, v44
	s_cbranch_execz .LBB358_483
; %bb.480:                              ;   in Loop: Header=BB358_269 Depth=1
	v_and_b32_e32 v2, 7, v43
	v_lshrrev_b32_e32 v42, 3, v44
	s_mov_b32 s16, exec_lo
	v_cmpx_gt_u32_e32 8, v44
; %bb.481:                              ;   in Loop: Header=BB358_269 Depth=1
	s_delay_alu instid0(VALU_DEP_3) | instskip(NEXT) | instid1(VALU_DEP_1)
	v_clz_i32_u32_e32 v42, v2
	v_min_u32_e32 v42, 32, v42
	s_delay_alu instid0(VALU_DEP_1) | instskip(SKIP_1) | instid1(VALU_DEP_2)
	v_subrev_nc_u32_e32 v44, 28, v42
	v_sub_nc_u32_e32 v42, 29, v42
	v_lshlrev_b64 v[44:45], v44, v[2:3]
	s_delay_alu instid0(VALU_DEP_1)
	v_and_b32_e32 v2, 7, v44
; %bb.482:                              ;   in Loop: Header=BB358_269 Depth=1
	s_or_b32 exec_lo, exec_lo, s16
	v_lshlrev_b32_e32 v43, 8, v43
	v_lshl_add_u32 v42, v42, 10, 0x2000
	s_delay_alu instid0(VALU_DEP_1) | instskip(NEXT) | instid1(VALU_DEP_1)
	v_and_or_b32 v42, 0x8000, v43, v42
	v_lshl_or_b32 v2, v2, 7, v42
	s_delay_alu instid0(VALU_DEP_1)
	v_cvt_f32_f16_e32 v42, v2
.LBB358_483:                            ;   in Loop: Header=BB358_269 Depth=1
	s_or_b32 exec_lo, exec_lo, s14
.LBB358_484:                            ;   in Loop: Header=BB358_269 Depth=1
	s_delay_alu instid0(SALU_CYCLE_1)
	s_or_b32 exec_lo, exec_lo, s13
.LBB358_485:                            ;   in Loop: Header=BB358_269 Depth=1
	s_delay_alu instid0(SALU_CYCLE_1) | instskip(SKIP_3) | instid1(VALU_DEP_2)
	s_or_b32 exec_lo, exec_lo, s11
	v_dual_mov_b32 v2, v9 :: v_dual_and_b32 v45, 0xff, v9
	v_dual_mov_b32 v44, 0 :: v_dual_mov_b32 v43, 0
	s_mov_b32 s11, exec_lo
	v_cmpx_ne_u16_e32 0, v45
	s_cbranch_execz .LBB358_491
; %bb.486:                              ;   in Loop: Header=BB358_269 Depth=1
	v_bfrev_b32_e32 v43, 1
	s_mov_b32 s13, exec_lo
	v_cmpx_ne_u16_e32 0x80, v45
	s_cbranch_execz .LBB358_490
; %bb.487:                              ;   in Loop: Header=BB358_269 Depth=1
	v_and_b32_e32 v45, 0x7f, v9
	v_mov_b32_e32 v43, 0x7fc02000
	s_mov_b32 s14, exec_lo
	s_delay_alu instid0(VALU_DEP_2)
	v_cmpx_ne_u32_e32 0x7f, v45
	s_cbranch_execz .LBB358_489
; %bb.488:                              ;   in Loop: Header=BB358_269 Depth=1
	v_and_b32_e32 v43, 7, v9
	v_cmp_gt_u32_e64 s0, 8, v45
	v_lshrrev_b32_e32 v46, 3, v45
	s_delay_alu instid0(VALU_DEP_3) | instskip(NEXT) | instid1(VALU_DEP_1)
	v_clz_i32_u32_e32 v43, v43
	v_min_u32_e32 v43, 32, v43
	s_delay_alu instid0(VALU_DEP_1) | instskip(SKIP_1) | instid1(VALU_DEP_2)
	v_subrev_nc_u32_e32 v47, 28, v43
	v_sub_nc_u32_e32 v43, 29, v43
	v_cndmask_b32_e64 v45, 0, v47, s0
	s_delay_alu instid0(VALU_DEP_2) | instskip(NEXT) | instid1(VALU_DEP_2)
	v_cndmask_b32_e64 v43, v46, v43, s0
	v_lshlrev_b64 v[45:46], v45, v[2:3]
	v_lshlrev_b32_e32 v46, 8, v9
	s_delay_alu instid0(VALU_DEP_3) | instskip(NEXT) | instid1(VALU_DEP_3)
	v_lshl_add_u32 v43, v43, 10, 0x2000
	v_lshlrev_b32_e32 v45, 7, v45
	s_delay_alu instid0(VALU_DEP_2) | instskip(NEXT) | instid1(VALU_DEP_1)
	v_and_or_b32 v43, 0x8000, v46, v43
	v_and_or_b32 v43, 0x380, v45, v43
	s_delay_alu instid0(VALU_DEP_1)
	v_cvt_f32_f16_e32 v43, v43
.LBB358_489:                            ;   in Loop: Header=BB358_269 Depth=1
	s_or_b32 exec_lo, exec_lo, s14
.LBB358_490:                            ;   in Loop: Header=BB358_269 Depth=1
	s_delay_alu instid0(SALU_CYCLE_1)
	s_or_b32 exec_lo, exec_lo, s13
.LBB358_491:                            ;   in Loop: Header=BB358_269 Depth=1
	s_delay_alu instid0(SALU_CYCLE_1) | instskip(SKIP_2) | instid1(VALU_DEP_1)
	s_or_b32 exec_lo, exec_lo, s11
	v_lshrrev_b16 v2, 8, v2
	s_mov_b32 s11, exec_lo
	v_cmpx_ne_u16_e32 0, v2
	s_cbranch_execz .LBB358_499
; %bb.492:                              ;   in Loop: Header=BB358_269 Depth=1
	v_bfrev_b32_e32 v44, 1
	s_mov_b32 s13, exec_lo
	v_cmpx_ne_u16_e32 0x80, v2
	s_cbranch_execz .LBB358_498
; %bb.493:                              ;   in Loop: Header=BB358_269 Depth=1
	v_and_b32_e32 v45, 0xffff, v2
	v_mov_b32_e32 v44, 0x7fc02000
	s_mov_b32 s14, exec_lo
	s_delay_alu instid0(VALU_DEP_2) | instskip(NEXT) | instid1(VALU_DEP_1)
	v_and_b32_e32 v46, 0x7f, v45
	v_cmpx_ne_u32_e32 0x7f, v46
	s_cbranch_execz .LBB358_497
; %bb.494:                              ;   in Loop: Header=BB358_269 Depth=1
	v_and_b32_e32 v2, 7, v45
	v_lshrrev_b32_e32 v44, 3, v46
	s_mov_b32 s16, exec_lo
	v_cmpx_gt_u32_e32 8, v46
; %bb.495:                              ;   in Loop: Header=BB358_269 Depth=1
	s_delay_alu instid0(VALU_DEP_3) | instskip(NEXT) | instid1(VALU_DEP_1)
	v_clz_i32_u32_e32 v44, v2
	v_min_u32_e32 v44, 32, v44
	s_delay_alu instid0(VALU_DEP_1) | instskip(SKIP_1) | instid1(VALU_DEP_2)
	v_subrev_nc_u32_e32 v46, 28, v44
	v_sub_nc_u32_e32 v44, 29, v44
	v_lshlrev_b64 v[46:47], v46, v[2:3]
	s_delay_alu instid0(VALU_DEP_1)
	v_and_b32_e32 v2, 7, v46
; %bb.496:                              ;   in Loop: Header=BB358_269 Depth=1
	s_or_b32 exec_lo, exec_lo, s16
	v_lshlrev_b32_e32 v45, 8, v45
	v_lshl_add_u32 v44, v44, 10, 0x2000
	s_delay_alu instid0(VALU_DEP_1) | instskip(NEXT) | instid1(VALU_DEP_1)
	v_and_or_b32 v44, 0x8000, v45, v44
	v_lshl_or_b32 v2, v2, 7, v44
	s_delay_alu instid0(VALU_DEP_1)
	v_cvt_f32_f16_e32 v44, v2
.LBB358_497:                            ;   in Loop: Header=BB358_269 Depth=1
	s_or_b32 exec_lo, exec_lo, s14
.LBB358_498:                            ;   in Loop: Header=BB358_269 Depth=1
	s_delay_alu instid0(SALU_CYCLE_1)
	s_or_b32 exec_lo, exec_lo, s13
.LBB358_499:                            ;   in Loop: Header=BB358_269 Depth=1
	s_delay_alu instid0(SALU_CYCLE_1) | instskip(SKIP_3) | instid1(VALU_DEP_2)
	s_or_b32 exec_lo, exec_lo, s11
	v_lshrrev_b32_e32 v47, 16, v9
	v_mov_b32_e32 v46, 0
	s_mov_b32 s11, exec_lo
	v_dual_mov_b32 v45, 0 :: v_dual_and_b32 v2, 0xff, v47
	s_delay_alu instid0(VALU_DEP_1)
	v_cmpx_ne_u16_e32 0, v2
	s_cbranch_execz .LBB358_507
; %bb.500:                              ;   in Loop: Header=BB358_269 Depth=1
	v_bfrev_b32_e32 v45, 1
	s_mov_b32 s13, exec_lo
	v_cmpx_ne_u16_e32 0x80, v2
	s_cbranch_execz .LBB358_506
; %bb.501:                              ;   in Loop: Header=BB358_269 Depth=1
	v_bfe_u32 v48, v9, 16, 7
	v_mov_b32_e32 v45, 0x7fc02000
	s_mov_b32 s14, exec_lo
	s_delay_alu instid0(VALU_DEP_2)
	v_cmpx_ne_u32_e32 0x7f, v48
	s_cbranch_execz .LBB358_505
; %bb.502:                              ;   in Loop: Header=BB358_269 Depth=1
	v_and_b32_e32 v2, 7, v47
	v_lshrrev_b32_e32 v45, 3, v48
	s_mov_b32 s16, exec_lo
	v_cmpx_gt_u32_e32 8, v48
; %bb.503:                              ;   in Loop: Header=BB358_269 Depth=1
	s_delay_alu instid0(VALU_DEP_3) | instskip(NEXT) | instid1(VALU_DEP_1)
	v_clz_i32_u32_e32 v45, v2
	v_min_u32_e32 v45, 32, v45
	s_delay_alu instid0(VALU_DEP_1) | instskip(SKIP_1) | instid1(VALU_DEP_2)
	v_subrev_nc_u32_e32 v48, 28, v45
	v_sub_nc_u32_e32 v45, 29, v45
	v_lshlrev_b64 v[48:49], v48, v[2:3]
	s_delay_alu instid0(VALU_DEP_1)
	v_and_b32_e32 v2, 7, v48
; %bb.504:                              ;   in Loop: Header=BB358_269 Depth=1
	s_or_b32 exec_lo, exec_lo, s16
	v_lshlrev_b32_e32 v47, 8, v47
	v_lshl_add_u32 v45, v45, 10, 0x2000
	s_delay_alu instid0(VALU_DEP_1) | instskip(NEXT) | instid1(VALU_DEP_1)
	v_and_or_b32 v45, 0x8000, v47, v45
	v_lshl_or_b32 v2, v2, 7, v45
	s_delay_alu instid0(VALU_DEP_1)
	v_cvt_f32_f16_e32 v45, v2
.LBB358_505:                            ;   in Loop: Header=BB358_269 Depth=1
	s_or_b32 exec_lo, exec_lo, s14
.LBB358_506:                            ;   in Loop: Header=BB358_269 Depth=1
	s_delay_alu instid0(SALU_CYCLE_1)
	s_or_b32 exec_lo, exec_lo, s13
.LBB358_507:                            ;   in Loop: Header=BB358_269 Depth=1
	s_delay_alu instid0(SALU_CYCLE_1) | instskip(NEXT) | instid1(SALU_CYCLE_1)
	s_or_b32 exec_lo, exec_lo, s11
	s_mov_b32 s11, exec_lo
	v_cmpx_lt_u64_e64 s[2:3], v[8:9]
	s_cbranch_execz .LBB358_515
; %bb.508:                              ;   in Loop: Header=BB358_269 Depth=1
	v_lshrrev_b32_e32 v8, 24, v9
	v_bfrev_b32_e32 v46, 1
	s_mov_b32 s13, exec_lo
	s_delay_alu instid0(VALU_DEP_2)
	v_cmpx_ne_u32_e32 0x80, v8
	s_cbranch_execz .LBB358_514
; %bb.509:                              ;   in Loop: Header=BB358_269 Depth=1
	v_and_b32_e32 v47, 0x7f, v8
	v_mov_b32_e32 v46, 0x7fc02000
	s_mov_b32 s14, exec_lo
	s_delay_alu instid0(VALU_DEP_2)
	v_cmpx_ne_u32_e32 0x7f, v47
	s_cbranch_execz .LBB358_513
; %bb.510:                              ;   in Loop: Header=BB358_269 Depth=1
	v_and_b32_e32 v2, 7, v8
	v_lshrrev_b32_e32 v9, 3, v47
	s_mov_b32 s16, exec_lo
	v_cmpx_gt_u32_e32 8, v47
; %bb.511:                              ;   in Loop: Header=BB358_269 Depth=1
	s_delay_alu instid0(VALU_DEP_3) | instskip(NEXT) | instid1(VALU_DEP_1)
	v_clz_i32_u32_e32 v9, v2
	v_min_u32_e32 v9, 32, v9
	s_delay_alu instid0(VALU_DEP_1) | instskip(SKIP_1) | instid1(VALU_DEP_2)
	v_subrev_nc_u32_e32 v46, 28, v9
	v_sub_nc_u32_e32 v9, 29, v9
	v_lshlrev_b64 v[46:47], v46, v[2:3]
	s_delay_alu instid0(VALU_DEP_1)
	v_and_b32_e32 v2, 7, v46
; %bb.512:                              ;   in Loop: Header=BB358_269 Depth=1
	s_or_b32 exec_lo, exec_lo, s16
	v_lshlrev_b32_e32 v8, 8, v8
	v_lshl_add_u32 v9, v9, 10, 0x2000
	s_delay_alu instid0(VALU_DEP_1) | instskip(NEXT) | instid1(VALU_DEP_1)
	v_and_or_b32 v8, 0x8000, v8, v9
	v_lshl_or_b32 v2, v2, 7, v8
	s_delay_alu instid0(VALU_DEP_1)
	v_cvt_f32_f16_e32 v46, v2
.LBB358_513:                            ;   in Loop: Header=BB358_269 Depth=1
	s_or_b32 exec_lo, exec_lo, s14
.LBB358_514:                            ;   in Loop: Header=BB358_269 Depth=1
	s_delay_alu instid0(SALU_CYCLE_1)
	s_or_b32 exec_lo, exec_lo, s13
.LBB358_515:                            ;   in Loop: Header=BB358_269 Depth=1
	s_delay_alu instid0(SALU_CYCLE_1)
	s_or_b32 exec_lo, exec_lo, s11
	s_waitcnt vmcnt(0)
	v_fma_mixlo_f16 v9, v38, v40, 0
	v_fma_mixlo_f16 v2, v38, v42, 0
	;; [unrolled: 1-line block ×5, first 2 shown]
	v_lshlrev_b32_e32 v40, 16, v9
	v_fma_mixlo_f16 v9, v38, v39, 0
	v_fma_mixlo_f16 v39, v38, v44, 0
	;; [unrolled: 1-line block ×3, first 2 shown]
	v_lshlrev_b32_e32 v2, 16, v2
	v_and_b32_e32 v8, 0xffff, v8
	v_and_b32_e32 v43, 0xffff, v9
	v_lshlrev_b32_e32 v44, 16, v39
	v_and_b32_e32 v41, 0xffff, v41
	v_lshlrev_b32_e32 v42, 16, v42
	v_and_b32_e32 v45, 0xffff, v38
	v_or_b32_e32 v9, v2, v8
	v_or_b32_e32 v39, v40, v43
	;; [unrolled: 1-line block ×3, first 2 shown]
	s_delay_alu instid0(VALU_DEP_4)
	v_or_b32_e32 v8, v42, v45
	s_and_saveexec_b32 s0, vcc_lo
	s_cbranch_execz .LBB358_268
; %bb.516:                              ;   in Loop: Header=BB358_269 Depth=1
	v_cmp_gt_i32_e32 vcc_lo, s15, v16
	v_lshrrev_b32_e32 v40, 16, v39
	v_lshrrev_b32_e32 v41, 16, v9
	;; [unrolled: 1-line block ×3, first 2 shown]
	v_cndmask_b32_e32 v39, 0, v39, vcc_lo
	v_cmp_gt_i32_e32 vcc_lo, s10, v29
	v_cndmask_b32_e32 v29, 0, v40, vcc_lo
	v_cmp_gt_i32_e32 vcc_lo, s10, v28
	v_lshrrev_b32_e32 v40, 16, v2
	v_cndmask_b32_e32 v28, 0, v41, vcc_lo
	v_cmp_gt_i32_e32 vcc_lo, s15, v27
	v_cndmask_b32_e32 v9, 0, v9, vcc_lo
	v_cmp_gt_i32_e32 vcc_lo, s10, v26
	v_cndmask_b32_e32 v26, 0, v40, vcc_lo
	v_cmp_gt_i32_e32 vcc_lo, s15, v25
	s_delay_alu instid0(VALU_DEP_4) | instskip(SKIP_3) | instid1(VALU_DEP_3)
	v_perm_b32 v9, v28, v9, 0x5040100
	v_cndmask_b32_e32 v2, 0, v2, vcc_lo
	v_cmp_gt_i32_e32 vcc_lo, s10, v24
	v_perm_b32 v39, v29, v39, 0x5040100
	v_perm_b32 v2, v26, v2, 0x5040100
	v_cndmask_b32_e32 v8, 0, v8, vcc_lo
	v_cmp_gt_i32_e32 vcc_lo, s15, v23
	v_cndmask_b32_e32 v23, 0, v38, vcc_lo
	s_delay_alu instid0(VALU_DEP_1)
	v_perm_b32 v8, v8, v23, 0x5040100
	s_branch .LBB358_268
.LBB358_517:
	s_or_b32 exec_lo, exec_lo, s5
.LBB358_518:
	s_delay_alu instid0(SALU_CYCLE_1)
	s_or_b32 exec_lo, exec_lo, s1
	ds_bpermute_b32 v1, v12, v18
	ds_bpermute_b32 v2, v12, v21
	;; [unrolled: 1-line block ×4, first 2 shown]
	v_lshrrev_b32_e32 v5, 2, v14
	s_mov_b32 s0, exec_lo
	s_waitcnt lgkmcnt(0)
	s_waitcnt_vscnt null, 0x0
	s_barrier
	buffer_gl0_inv
	v_dual_add_f32 v1, v18, v1 :: v_dual_add_f32 v2, v21, v2
	v_dual_add_f32 v6, v20, v3 :: v_dual_add_f32 v7, v19, v4
	ds_bpermute_b32 v3, v15, v1
	ds_bpermute_b32 v8, v15, v2
	;; [unrolled: 1-line block ×4, first 2 shown]
	s_waitcnt lgkmcnt(3)
	v_dual_add_f32 v4, v1, v3 :: v_dual_and_b32 v11, 0x3c3, v0
	s_waitcnt lgkmcnt(2)
	v_add_f32_e32 v3, v2, v8
	s_waitcnt lgkmcnt(0)
	v_dual_add_f32 v2, v6, v9 :: v_dual_add_f32 v1, v7, v10
	v_cmpx_eq_u32_e32 64, v11
	s_cbranch_execz .LBB358_520
; %bb.519:
	v_lshl_add_u32 v6, v13, 7, 0x60
	v_lshlrev_b32_e32 v7, 2, v5
	s_delay_alu instid0(VALU_DEP_1)
	v_add3_u32 v6, v6, v7, 0xffffff00
	ds_store_2addr_b32 v6, v4, v3 offset1:8
	ds_store_2addr_b32 v6, v2, v1 offset0:16 offset1:24
.LBB358_520:
	s_or_b32 exec_lo, exec_lo, s0
	v_and_b32_e32 v6, 0x3e0, v0
	v_cmp_eq_u32_e32 vcc_lo, 0, v17
	s_mov_b32 s1, exec_lo
	s_waitcnt lgkmcnt(0)
	s_barrier
	v_lshl_add_u32 v6, v6, 2, 0x60
	buffer_gl0_inv
	v_cmpx_gt_u32_e32 64, v0
	s_cbranch_execz .LBB358_527
; %bb.521:
	s_and_saveexec_b32 s0, vcc_lo
	s_cbranch_execnz .LBB358_539
; %bb.522:
	s_or_b32 exec_lo, exec_lo, s0
	s_and_saveexec_b32 s0, vcc_lo
	s_cbranch_execnz .LBB358_540
.LBB358_523:
	s_or_b32 exec_lo, exec_lo, s0
	s_and_saveexec_b32 s0, vcc_lo
	s_cbranch_execnz .LBB358_541
.LBB358_524:
	s_or_b32 exec_lo, exec_lo, s0
	s_and_saveexec_b32 s0, vcc_lo
	s_cbranch_execz .LBB358_526
.LBB358_525:
	v_lshl_add_u32 v7, v5, 2, v6
	ds_load_b32 v7, v7 offset:96
	s_waitcnt lgkmcnt(0)
	v_add_f32_e32 v1, v1, v7
.LBB358_526:
	s_or_b32 exec_lo, exec_lo, s0
.LBB358_527:
	s_delay_alu instid0(SALU_CYCLE_1)
	s_or_b32 exec_lo, exec_lo, s1
	v_and_b32_e32 v7, 0x3e3, v0
	s_mov_b32 s1, exec_lo
	s_barrier
	buffer_gl0_inv
	v_cmpx_eq_u32_e32 32, v7
	s_cbranch_execz .LBB358_529
; %bb.528:
	v_lshl_add_u32 v8, v5, 2, 0x60
	ds_store_2addr_b32 v8, v4, v3 offset1:8
	ds_store_2addr_b32 v8, v2, v1 offset0:16 offset1:24
.LBB358_529:
	s_or_b32 exec_lo, exec_lo, s1
	s_delay_alu instid0(SALU_CYCLE_1)
	s_mov_b32 s1, exec_lo
	s_waitcnt lgkmcnt(0)
	s_barrier
	buffer_gl0_inv
	v_cmpx_gt_u32_e32 32, v0
	s_cbranch_execz .LBB358_536
; %bb.530:
	v_lshl_add_u32 v5, v5, 2, v6
	s_and_saveexec_b32 s0, vcc_lo
	s_cbranch_execnz .LBB358_542
; %bb.531:
	s_or_b32 exec_lo, exec_lo, s0
	s_and_saveexec_b32 s0, vcc_lo
	s_cbranch_execnz .LBB358_543
.LBB358_532:
	s_or_b32 exec_lo, exec_lo, s0
	s_and_saveexec_b32 s0, vcc_lo
	s_cbranch_execnz .LBB358_544
.LBB358_533:
	s_or_b32 exec_lo, exec_lo, s0
	s_and_saveexec_b32 s0, vcc_lo
	s_cbranch_execz .LBB358_535
.LBB358_534:
	ds_load_b32 v5, v5 offset:96
	s_waitcnt lgkmcnt(0)
	v_add_f32_e32 v1, v1, v5
.LBB358_535:
	s_or_b32 exec_lo, exec_lo, s0
.LBB358_536:
	s_delay_alu instid0(SALU_CYCLE_1)
	s_or_b32 exec_lo, exec_lo, s1
	s_barrier
	buffer_gl0_inv
	s_mov_b32 s0, exec_lo
	v_cmpx_eq_u32_e32 0, v7
	s_cbranch_execz .LBB358_538
; %bb.537:
	s_lshl_b32 s0, s4, 5
	s_mul_i32 s2, s8, s20
	s_ashr_i32 s1, s0, 31
	v_lshrrev_b32_e32 v0, 1, v0
	s_lshl_b64 s[0:1], s[0:1], 1
	;;#ASMSTART
	v_cvt_f16_f32 v4, v4;

	;;#ASMEND
	s_add_u32 s4, s22, s0
	s_addc_u32 s5, s23, s1
	s_ashr_i32 s3, s2, 31
	s_delay_alu instid0(SALU_CYCLE_1) | instskip(NEXT) | instid1(SALU_CYCLE_1)
	s_lshl_b64 s[0:1], s[2:3], 1
	s_add_u32 s2, s4, s0
	s_addc_u32 s3, s5, s1
	s_lshl_b32 s0, s12, 5
	s_delay_alu instid0(SALU_CYCLE_1) | instskip(NEXT) | instid1(SALU_CYCLE_1)
	s_ashr_i32 s1, s0, 31
	s_lshl_b64 s[0:1], s[0:1], 1
	s_delay_alu instid0(SALU_CYCLE_1)
	s_add_u32 s0, s2, s0
	s_addc_u32 s1, s3, s1
	global_store_b16 v0, v4, s[0:1]
	;;#ASMSTART
	v_cvt_f16_f32 v3, v3;

	;;#ASMEND
	global_store_b16 v0, v3, s[0:1] offset:16
	;;#ASMSTART
	v_cvt_f16_f32 v2, v2;

	;;#ASMEND
	global_store_b16 v0, v2, s[0:1] offset:32
	;;#ASMSTART
	v_cvt_f16_f32 v1, v1;

	;;#ASMEND
	global_store_b16 v0, v1, s[0:1] offset:48
.LBB358_538:
	s_nop 0
	s_sendmsg sendmsg(MSG_DEALLOC_VGPRS)
	s_endpgm
.LBB358_539:
	v_lshl_add_u32 v7, v5, 2, v6
	ds_load_b32 v7, v7
	s_waitcnt lgkmcnt(0)
	v_add_f32_e32 v4, v4, v7
	s_or_b32 exec_lo, exec_lo, s0
	s_and_saveexec_b32 s0, vcc_lo
	s_cbranch_execz .LBB358_523
.LBB358_540:
	v_lshl_add_u32 v7, v5, 2, v6
	ds_load_b32 v7, v7 offset:32
	s_waitcnt lgkmcnt(0)
	v_add_f32_e32 v3, v3, v7
	s_or_b32 exec_lo, exec_lo, s0
	s_and_saveexec_b32 s0, vcc_lo
	s_cbranch_execz .LBB358_524
.LBB358_541:
	v_lshl_add_u32 v7, v5, 2, v6
	ds_load_b32 v7, v7 offset:64
	s_waitcnt lgkmcnt(0)
	v_add_f32_e32 v2, v2, v7
	s_or_b32 exec_lo, exec_lo, s0
	s_and_saveexec_b32 s0, vcc_lo
	s_cbranch_execnz .LBB358_525
	s_branch .LBB358_526
.LBB358_542:
	ds_load_b32 v6, v5
	s_waitcnt lgkmcnt(0)
	v_add_f32_e32 v4, v4, v6
	s_or_b32 exec_lo, exec_lo, s0
	s_and_saveexec_b32 s0, vcc_lo
	s_cbranch_execz .LBB358_532
.LBB358_543:
	ds_load_b32 v6, v5 offset:32
	s_waitcnt lgkmcnt(0)
	v_add_f32_e32 v3, v3, v6
	s_or_b32 exec_lo, exec_lo, s0
	s_and_saveexec_b32 s0, vcc_lo
	s_cbranch_execz .LBB358_533
.LBB358_544:
	ds_load_b32 v6, v5 offset:64
	s_waitcnt lgkmcnt(0)
	v_add_f32_e32 v2, v2, v6
	s_or_b32 exec_lo, exec_lo, s0
	s_and_saveexec_b32 s0, vcc_lo
	s_cbranch_execnz .LBB358_534
	s_branch .LBB358_535
	.section	.rodata,"a",@progbits
	.p2align	6, 0x0
	.amdhsa_kernel _ZN4vllm25paged_attention_v2_kernelIthLi32ELi32ELi128ELNS_18Fp8KVCacheDataTypeE1ELb0ELi512EEEvPfS2_PT_PKS3_PKT0_S9_ifPKiSB_iPKfiiiSD_SD_iiiii
		.amdhsa_group_segment_fixed_size 96
		.amdhsa_private_segment_fixed_size 0
		.amdhsa_kernarg_size 400
		.amdhsa_user_sgpr_count 13
		.amdhsa_user_sgpr_dispatch_ptr 0
		.amdhsa_user_sgpr_queue_ptr 0
		.amdhsa_user_sgpr_kernarg_segment_ptr 1
		.amdhsa_user_sgpr_dispatch_id 0
		.amdhsa_user_sgpr_private_segment_size 0
		.amdhsa_wavefront_size32 1
		.amdhsa_uses_dynamic_stack 0
		.amdhsa_enable_private_segment 0
		.amdhsa_system_sgpr_workgroup_id_x 1
		.amdhsa_system_sgpr_workgroup_id_y 1
		.amdhsa_system_sgpr_workgroup_id_z 1
		.amdhsa_system_sgpr_workgroup_info 0
		.amdhsa_system_vgpr_workitem_id 0
		.amdhsa_next_free_vgpr 72
		.amdhsa_next_free_sgpr 44
		.amdhsa_reserve_vcc 1
		.amdhsa_float_round_mode_32 0
		.amdhsa_float_round_mode_16_64 0
		.amdhsa_float_denorm_mode_32 3
		.amdhsa_float_denorm_mode_16_64 3
		.amdhsa_dx10_clamp 1
		.amdhsa_ieee_mode 1
		.amdhsa_fp16_overflow 0
		.amdhsa_workgroup_processor_mode 1
		.amdhsa_memory_ordered 1
		.amdhsa_forward_progress 0
		.amdhsa_shared_vgpr_count 0
		.amdhsa_exception_fp_ieee_invalid_op 0
		.amdhsa_exception_fp_denorm_src 0
		.amdhsa_exception_fp_ieee_div_zero 0
		.amdhsa_exception_fp_ieee_overflow 0
		.amdhsa_exception_fp_ieee_underflow 0
		.amdhsa_exception_fp_ieee_inexact 0
		.amdhsa_exception_int_div_zero 0
	.end_amdhsa_kernel
	.section	.text._ZN4vllm25paged_attention_v2_kernelIthLi32ELi32ELi128ELNS_18Fp8KVCacheDataTypeE1ELb0ELi512EEEvPfS2_PT_PKS3_PKT0_S9_ifPKiSB_iPKfiiiSD_SD_iiiii,"axG",@progbits,_ZN4vllm25paged_attention_v2_kernelIthLi32ELi32ELi128ELNS_18Fp8KVCacheDataTypeE1ELb0ELi512EEEvPfS2_PT_PKS3_PKT0_S9_ifPKiSB_iPKfiiiSD_SD_iiiii,comdat
.Lfunc_end358:
	.size	_ZN4vllm25paged_attention_v2_kernelIthLi32ELi32ELi128ELNS_18Fp8KVCacheDataTypeE1ELb0ELi512EEEvPfS2_PT_PKS3_PKT0_S9_ifPKiSB_iPKfiiiSD_SD_iiiii, .Lfunc_end358-_ZN4vllm25paged_attention_v2_kernelIthLi32ELi32ELi128ELNS_18Fp8KVCacheDataTypeE1ELb0ELi512EEEvPfS2_PT_PKS3_PKT0_S9_ifPKiSB_iPKfiiiSD_SD_iiiii
                                        ; -- End function
	.section	.AMDGPU.csdata,"",@progbits
; Kernel info:
; codeLenInByte = 22076
; NumSgprs: 46
; NumVgprs: 72
; ScratchSize: 0
; MemoryBound: 0
; FloatMode: 240
; IeeeMode: 1
; LDSByteSize: 96 bytes/workgroup (compile time only)
; SGPRBlocks: 5
; VGPRBlocks: 8
; NumSGPRsForWavesPerEU: 46
; NumVGPRsForWavesPerEU: 72
; Occupancy: 16
; WaveLimiterHint : 1
; COMPUTE_PGM_RSRC2:SCRATCH_EN: 0
; COMPUTE_PGM_RSRC2:USER_SGPR: 13
; COMPUTE_PGM_RSRC2:TRAP_HANDLER: 0
; COMPUTE_PGM_RSRC2:TGID_X_EN: 1
; COMPUTE_PGM_RSRC2:TGID_Y_EN: 1
; COMPUTE_PGM_RSRC2:TGID_Z_EN: 1
; COMPUTE_PGM_RSRC2:TIDIG_COMP_CNT: 0
	.text
	.p2align	2                               ; -- Begin function _ZN4vllm22paged_attention_kernelIthLi64ELi32ELi128ELNS_18Fp8KVCacheDataTypeE1ELb0ELi512EEEvPfS2_PT_PKS3_PKT0_S9_ifPKiSB_iPKfiiiSD_SD_iiiii
	.type	_ZN4vllm22paged_attention_kernelIthLi64ELi32ELi128ELNS_18Fp8KVCacheDataTypeE1ELb0ELi512EEEvPfS2_PT_PKS3_PKT0_S9_ifPKiSB_iPKfiiiSD_SD_iiiii,@function
_ZN4vllm22paged_attention_kernelIthLi64ELi32ELi128ELNS_18Fp8KVCacheDataTypeE1ELb0ELi512EEEvPfS2_PT_PKS3_PKT0_S9_ifPKiSB_iPKfiiiSD_SD_iiiii: ; @_ZN4vllm22paged_attention_kernelIthLi64ELi32ELi128ELNS_18Fp8KVCacheDataTypeE1ELb0ELi512EEEvPfS2_PT_PKS3_PKT0_S9_ifPKiSB_iPKfiiiSD_SD_iiiii
; %bb.0:
	s_waitcnt vmcnt(0) expcnt(0) lgkmcnt(0)
	s_clause 0xa
	scratch_store_b32 off, v40, s32 offset:40
	; meta instruction
	scratch_store_b32 off, v41, s32 offset:36
	; meta instruction
	;; [unrolled: 2-line block ×10, first 2 shown]
	scratch_store_b32 off, v58, s32
	s_mov_b32 s10, s13
	s_ashr_i32 s11, s13, 31
	s_lshl_b32 s16, s14, 9
	s_lshl_b64 s[0:1], s[10:11], 2
	s_mov_b32 s11, exec_lo
	v_add_co_u32 v16, vcc_lo, v16, s0
	v_add_co_ci_u32_e32 v17, vcc_lo, s1, v17, vcc_lo
	flat_load_b32 v35, v[16:17]
	s_waitcnt vmcnt(0) lgkmcnt(0)
	v_cmpx_lt_i32_e64 s16, v35
	s_cbranch_execz .LBB359_1100
; %bb.1:
	v_sub_nc_u32_e32 v16, 0, v12
	s_clause 0x1
	s_load_b32 s0, s[8:9], 0x10
	s_load_b32 s1, s[8:9], 0x0
	s_mov_b32 s6, s15
	v_mov_b32_e32 v50, 0
	v_max_i32_e32 v16, v12, v16
	s_delay_alu instid0(VALU_DEP_1) | instskip(SKIP_1) | instid1(VALU_DEP_2)
	v_cvt_f32_u32_e32 v17, v16
	v_sub_nc_u32_e32 v28, 0, v16
	v_rcp_iflag_f32_e32 v17, v17
	s_waitcnt lgkmcnt(0)
	s_lshr_b32 s0, s0, 16
	s_delay_alu instid0(SALU_CYCLE_1) | instskip(SKIP_3) | instid1(SALU_CYCLE_1)
	s_cmp_lg_u32 s0, 0
	s_waitcnt_depctr 0xfff
	v_mul_f32_e32 v17, 0x4f7ffffe, v17
	s_cselect_b32 s0, -1, 0
	s_cmp_lg_u32 s0, 0
	s_delay_alu instid0(VALU_DEP_1)
	v_cvt_u32_f32_e32 v17, v17
	s_addc_u32 s15, s1, 0
	s_mov_b32 s1, exec_lo
	s_abs_i32 s0, s15
	v_xor_b32_e32 v12, s15, v12
	v_mul_lo_u32 v28, v28, v17
	s_delay_alu instid0(VALU_DEP_2) | instskip(NEXT) | instid1(VALU_DEP_2)
	v_ashrrev_i32_e32 v12, 31, v12
	v_mul_hi_u32 v28, v17, v28
	s_delay_alu instid0(VALU_DEP_1) | instskip(NEXT) | instid1(VALU_DEP_1)
	v_add_nc_u32_e32 v17, v17, v28
	v_mul_hi_u32 v17, s0, v17
	s_delay_alu instid0(VALU_DEP_1) | instskip(SKIP_1) | instid1(VALU_DEP_2)
	v_mul_lo_u32 v28, v17, v16
	v_add_nc_u32_e32 v29, 1, v17
	v_sub_nc_u32_e32 v28, s0, v28
	s_abs_i32 s0, s12
	s_delay_alu instid0(VALU_DEP_1) | instskip(SKIP_1) | instid1(VALU_DEP_2)
	v_sub_nc_u32_e32 v30, v28, v16
	v_cmp_ge_u32_e32 vcc_lo, v28, v16
	v_dual_cndmask_b32 v17, v17, v29 :: v_dual_cndmask_b32 v28, v28, v30
	s_delay_alu instid0(VALU_DEP_1) | instskip(NEXT) | instid1(VALU_DEP_2)
	v_add_nc_u32_e32 v29, 1, v17
	v_cmp_ge_u32_e32 vcc_lo, v28, v16
	s_delay_alu instid0(VALU_DEP_2) | instskip(NEXT) | instid1(VALU_DEP_1)
	v_cndmask_b32_e32 v16, v17, v29, vcc_lo
	v_xor_b32_e32 v16, v16, v12
	s_delay_alu instid0(VALU_DEP_1) | instskip(NEXT) | instid1(VALU_DEP_1)
	v_sub_nc_u32_e32 v28, v16, v12
	v_sub_nc_u32_e32 v12, 0, v28
	s_delay_alu instid0(VALU_DEP_1) | instskip(NEXT) | instid1(VALU_DEP_1)
	v_max_i32_e32 v12, v28, v12
	v_cvt_f32_u32_e32 v16, v12
	v_sub_nc_u32_e32 v17, 0, v12
	s_delay_alu instid0(VALU_DEP_2) | instskip(SKIP_2) | instid1(VALU_DEP_1)
	v_rcp_iflag_f32_e32 v16, v16
	s_waitcnt_depctr 0xfff
	v_mul_f32_e32 v16, 0x4f7ffffe, v16
	v_cvt_u32_f32_e32 v16, v16
	s_delay_alu instid0(VALU_DEP_1) | instskip(NEXT) | instid1(VALU_DEP_1)
	v_mul_lo_u32 v17, v17, v16
	v_mul_hi_u32 v17, v16, v17
	s_delay_alu instid0(VALU_DEP_1) | instskip(NEXT) | instid1(VALU_DEP_1)
	v_add_nc_u32_e32 v29, v16, v17
	v_mad_u64_u32 v[16:17], null, s0, v29, 0
	v_cmpx_ne_u64_e32 0, v[19:20]
	s_cbranch_execz .LBB359_3
; %bb.2:
	s_ashr_i32 s13, s12, 31
	s_delay_alu instid0(SALU_CYCLE_1) | instskip(NEXT) | instid1(SALU_CYCLE_1)
	s_lshl_b64 s[2:3], s[12:13], 2
	v_add_co_u32 v19, vcc_lo, v19, s2
	v_add_co_ci_u32_e32 v20, vcc_lo, s3, v20, vcc_lo
	flat_load_b32 v50, v[19:20]
.LBB359_3:
	s_or_b32 exec_lo, exec_lo, s1
	v_and_b32_e32 v34, 0x3ff, v31
	v_ashrrev_i32_e32 v16, 31, v28
	s_ashr_i32 s1, s12, 31
	s_lshl_b32 s4, s12, 6
	s_mov_b32 s2, exec_lo
	v_cmpx_gt_u32_e32 8, v34
	s_cbranch_execz .LBB359_5
; %bb.4:
	v_mul_lo_u32 v19, s10, v21
	s_ashr_i32 s5, s4, 31
	v_lshlrev_b32_e32 v21, 4, v34
	s_lshl_b64 s[18:19], s[4:5], 1
	s_delay_alu instid0(VALU_DEP_2) | instskip(NEXT) | instid1(VALU_DEP_1)
	v_ashrrev_i32_e32 v20, 31, v19
	v_lshlrev_b64 v[19:20], 1, v[19:20]
	s_delay_alu instid0(VALU_DEP_1) | instskip(NEXT) | instid1(VALU_DEP_2)
	v_add_co_u32 v6, vcc_lo, v6, v19
	v_add_co_ci_u32_e32 v7, vcc_lo, v7, v20, vcc_lo
	s_delay_alu instid0(VALU_DEP_2) | instskip(NEXT) | instid1(VALU_DEP_2)
	v_add_co_u32 v6, vcc_lo, v6, s18
	v_add_co_ci_u32_e32 v7, vcc_lo, s19, v7, vcc_lo
	s_delay_alu instid0(VALU_DEP_2) | instskip(NEXT) | instid1(VALU_DEP_2)
	v_add_co_u32 v6, vcc_lo, v6, v21
	v_add_co_ci_u32_e32 v7, vcc_lo, 0, v7, vcc_lo
	flat_load_b128 v[28:31], v[6:7]
	s_waitcnt vmcnt(0) lgkmcnt(0)
	ds_store_b128 v21, v[28:31]
.LBB359_5:
	s_or_b32 exec_lo, exec_lo, s2
	v_mul_lo_u32 v6, v17, v12
	s_clause 0x1
	s_load_b32 s13, s[8:9], 0x14
	s_load_b32 s5, s[8:9], 0x8
	s_lshl_b32 s8, s14, 4
	v_lshrrev_b32_e32 v36, 5, v34
	v_xor_b32_e32 v21, s1, v16
	v_mul_lo_u32 v16, s10, v18
	v_mov_b32_e32 v51, 0xff7fffff
	s_mov_b32 s9, exec_lo
	v_lshlrev_b32_e32 v38, 5, v36
	v_sub_nc_u32_e32 v6, s0, v6
	s_add_i32 s0, s8, 16
	s_waitcnt vmcnt(0) lgkmcnt(0)
	s_waitcnt_vscnt null, 0x0
	s_barrier
	buffer_gl0_inv
	v_sub_nc_u32_e32 v19, v6, v12
	v_cmp_ge_u32_e32 vcc_lo, v6, v12
	v_add_nc_u32_e32 v7, 1, v17
	s_delay_alu instid0(VALU_DEP_3) | instskip(NEXT) | instid1(VALU_DEP_2)
	v_dual_cndmask_b32 v6, v6, v19 :: v_dual_and_b32 v37, 31, v34
	v_cndmask_b32_e32 v7, v17, v7, vcc_lo
	v_add_nc_u32_e32 v17, 31, v35
	s_delay_alu instid0(VALU_DEP_3) | instskip(NEXT) | instid1(VALU_DEP_4)
	v_lshlrev_b32_e32 v49, 2, v37
	v_cmp_ge_u32_e32 vcc_lo, v6, v12
	s_delay_alu instid0(VALU_DEP_4) | instskip(NEXT) | instid1(VALU_DEP_4)
	v_add_nc_u32_e32 v19, 1, v7
	v_ashrrev_i32_e32 v20, 31, v17
	s_delay_alu instid0(VALU_DEP_2) | instskip(NEXT) | instid1(VALU_DEP_2)
	v_cndmask_b32_e32 v6, v7, v19, vcc_lo
	v_lshrrev_b32_e32 v7, 27, v20
	s_delay_alu instid0(VALU_DEP_2) | instskip(NEXT) | instid1(VALU_DEP_2)
	v_xor_b32_e32 v6, v6, v21
	v_add_nc_u32_e32 v7, v17, v7
	v_ashrrev_i32_e32 v17, 31, v16
	s_delay_alu instid0(VALU_DEP_3) | instskip(NEXT) | instid1(VALU_DEP_3)
	v_sub_nc_u32_e32 v18, v6, v21
	v_ashrrev_i32_e32 v12, 5, v7
	v_add_nc_u32_e32 v6, s8, v36
	s_delay_alu instid0(VALU_DEP_4) | instskip(NEXT) | instid1(VALU_DEP_4)
	v_lshlrev_b64 v[16:17], 2, v[16:17]
	v_mul_lo_u32 v39, v18, v23
	s_delay_alu instid0(VALU_DEP_4) | instskip(NEXT) | instid1(VALU_DEP_4)
	v_min_i32_e32 v23, s0, v12
	v_ashrrev_i32_e32 v7, 31, v6
	s_delay_alu instid0(VALU_DEP_2) | instskip(NEXT) | instid1(VALU_DEP_4)
	v_cmp_ge_i32_e64 s0, v6, v23
	v_ashrrev_i32_e32 v48, 31, v39
	v_cmpx_lt_i32_e64 v6, v23
	s_cbranch_execz .LBB359_521
; %bb.6:
	s_getpc_b64 s[2:3]
	s_add_u32 s2, s2, llvm.amdgcn.dynlds.offset.table@rel32@lo+4
	s_addc_u32 s3, s3, llvm.amdgcn.dynlds.offset.table@rel32@hi+12
	s_ashr_i32 s7, s6, 31
	v_lshlrev_b64 v[20:21], 2, v[6:7]
	s_lshl_b64 s[18:19], s[6:7], 2
	v_lshlrev_b32_e32 v18, 4, v37
	s_add_u32 s2, s18, s2
	s_addc_u32 s3, s19, s3
	v_add_co_u32 v8, vcc_lo, v8, v39
	s_load_b32 s2, s[2:3], 0x0
	v_add_co_ci_u32_e32 v19, vcc_lo, v9, v48, vcc_lo
	v_mov_b32_e32 v9, 0
	s_delay_alu instid0(VALU_DEP_3) | instskip(SKIP_1) | instid1(VALU_DEP_1)
	v_add_co_u32 v18, vcc_lo, v8, v18
	v_add_co_u32 v8, s1, v16, v20
	v_add_co_ci_u32_e64 v21, s1, v17, v21, s1
	v_lshl_or_b32 v28, v36, 7, v49
	s_delay_alu instid0(VALU_DEP_3)
	v_add_co_u32 v20, s1, v14, v8
	v_add_co_ci_u32_e32 v19, vcc_lo, 0, v19, vcc_lo
	v_cmp_neq_f32_e32 vcc_lo, 0, v50
	v_add_co_ci_u32_e64 v21, s1, v15, v21, s1
	v_sub_nc_u32_e32 v52, 1, v35
	v_add3_u32 v53, s16, v38, v37
	s_waitcnt lgkmcnt(0)
	v_dual_mov_b32 v51, 0xff7fffff :: v_dual_add_nc_u32 v54, s2, v28
	v_mov_b32_e32 v55, v6
	s_mov_b32 s2, -1
	s_mov_b32 s3, 0xffffff
	s_mov_b32 s7, 0
	s_branch .LBB359_11
.LBB359_7:                              ;   in Loop: Header=BB359_11 Depth=1
	s_or_b32 exec_lo, exec_lo, s20
	v_lshlrev_b32_e32 v29, 8, v29
	v_lshl_add_u32 v28, v28, 10, 0x2000
	s_delay_alu instid0(VALU_DEP_1) | instskip(NEXT) | instid1(VALU_DEP_1)
	v_and_or_b32 v28, 0x8000, v29, v28
	v_lshl_or_b32 v8, v8, 7, v28
	s_delay_alu instid0(VALU_DEP_1)
	v_cvt_f32_f16_e32 v28, v8
.LBB359_8:                              ;   in Loop: Header=BB359_11 Depth=1
	s_or_b32 exec_lo, exec_lo, s19
.LBB359_9:                              ;   in Loop: Header=BB359_11 Depth=1
	s_delay_alu instid0(SALU_CYCLE_1)
	s_or_b32 exec_lo, exec_lo, s18
.LBB359_10:                             ;   in Loop: Header=BB359_11 Depth=1
	s_delay_alu instid0(SALU_CYCLE_1)
	s_or_b32 exec_lo, exec_lo, s17
	v_fma_mixlo_f16 v167, v64, v163, 0
	v_fma_mixlo_f16 v163, v64, v177, 0
	;; [unrolled: 1-line block ×26, first 2 shown]
	ds_load_b128 v[67:70], v9
	v_fma_mixlo_f16 v41, v64, v65, 0
	v_fma_mixlo_f16 v176, v64, v161, 0
	;; [unrolled: 1-line block ×38, first 2 shown]
	s_waitcnt lgkmcnt(0)
	v_lshrrev_b32_e32 v64, 16, v67
	v_and_b32_e32 v67, 0xffff, v67
	;;#ASMSTART
	v_cvt_f32_f16 v67, v67;
	;;#ASMEND
	;;#ASMSTART
	v_cvt_f32_f16 v40, v64;
	;;#ASMEND
	v_and_b32_e32 v64, 0xffff, v41
	;;#ASMSTART
	v_cvt_f32_f16 v41, v64;
	;;#ASMEND
	v_and_b32_e32 v64, 0xffff, v96
	;;#ASMSTART
	v_cvt_f32_f16 v96, v64;
	;;#ASMEND
	v_lshrrev_b32_e32 v64, 16, v68
	v_and_b32_e32 v68, 0xffff, v68
	;;#ASMSTART
	v_cvt_f32_f16 v68, v68;
	;;#ASMEND
	;;#ASMSTART
	v_cvt_f32_f16 v44, v64;
	;;#ASMEND
	v_and_b32_e32 v64, 0xffff, v87
	;;#ASMSTART
	v_cvt_f32_f16 v87, v64;
	;;#ASMEND
	v_and_b32_e32 v64, 0xffff, v86
	;;#ASMSTART
	v_cvt_f32_f16 v86, v64;
	;;#ASMEND
	;; [unrolled: 16-line block ×4, first 2 shown]
	ds_load_b128 v[180:183], v9 offset:16
	v_and_b32_e32 v71, 0xffff, v103
	v_and_b32_e32 v80, 0xffff, v85
	;; [unrolled: 1-line block ×13, first 2 shown]
	v_cmp_lt_i32_e64 s1, v53, v35
	v_add_nc_u32_e32 v55, 4, v55
	s_waitcnt lgkmcnt(0)
	v_lshrrev_b32_e32 v64, 16, v180
	v_and_b32_e32 v69, 0xffff, v180
	;;#ASMSTART
	v_cvt_f32_f16 v69, v69;
	;;#ASMEND
	;;#ASMSTART
	v_cvt_f32_f16 v70, v64;
	;;#ASMEND
	v_and_b32_e32 v64, 0xffff, v112
	;;#ASMSTART
	v_cvt_f32_f16 v64, v64;
	;;#ASMEND
	;;#ASMSTART
	v_cvt_f32_f16 v71, v71;
	;;#ASMEND
	v_add_nc_u32_e32 v8, v52, v53
	s_delay_alu instid0(VALU_DEP_2) | instskip(SKIP_2) | instid1(VALU_DEP_3)
	v_mul_f32_e32 v64, v69, v64
	v_lshrrev_b32_e32 v69, 16, v181
	v_add_nc_u32_e32 v53, 0x80, v53
	v_dual_fmac_f32 v64, v67, v41 :: v_dual_mul_f32 v67, v70, v71
	v_cvt_f32_i32_e32 v8, v8
	v_and_b32_e32 v70, 0xffff, v181
	;;#ASMSTART
	v_cvt_f32_f16 v70, v70;
	;;#ASMEND
	;;#ASMSTART
	v_cvt_f32_f16 v71, v69;
	;;#ASMEND
	s_delay_alu instid0(VALU_DEP_2) | instskip(SKIP_1) | instid1(VALU_DEP_1)
	v_dual_mul_f32 v8, v50, v8 :: v_dual_and_b32 v69, 0xffff, v102
	;;#ASMSTART
	v_cvt_f32_f16 v69, v69;
	;;#ASMEND
	v_mul_f32_e32 v69, v70, v69
	;;#ASMSTART
	v_cvt_f32_f16 v80, v80;
	;;#ASMEND
	v_lshrrev_b32_e32 v70, 16, v182
	v_cndmask_b32_e32 v8, 0, v8, vcc_lo
	v_fmac_f32_e32 v67, v40, v96
	v_dual_fmac_f32 v69, v68, v87 :: v_dual_mul_f32 v68, v71, v80
	v_and_b32_e32 v71, 0xffff, v182
	;;#ASMSTART
	v_cvt_f32_f16 v71, v71;
	;;#ASMEND
	;;#ASMSTART
	v_cvt_f32_f16 v70, v70;
	;;#ASMEND
	v_and_b32_e32 v80, 0xffff, v84
	;;#ASMSTART
	v_cvt_f32_f16 v80, v80;
	;;#ASMEND
	;;#ASMSTART
	v_cvt_f32_f16 v83, v83;
	;;#ASMEND
	s_delay_alu instid0(VALU_DEP_1) | instskip(SKIP_3) | instid1(VALU_DEP_4)
	v_dual_mul_f32 v70, v70, v83 :: v_dual_mul_f32 v71, v71, v80
	v_lshrrev_b32_e32 v80, 16, v183
	v_fmac_f32_e32 v68, v44, v86
	v_and_b32_e32 v96, 0xffff, v119
	v_fmac_f32_e32 v70, v46, v47
	v_and_b32_e32 v83, 0xffff, v183
	;;#ASMSTART
	v_cvt_f32_f16 v83, v83;
	;;#ASMEND
	;;#ASMSTART
	v_cvt_f32_f16 v80, v80;
	;;#ASMEND
	;; [unrolled: 3-line block ×4, first 2 shown]
	v_dual_mul_f32 v81, v83, v82 :: v_dual_mul_f32 v80, v80, v84
	ds_load_b128 v[82:85], v9 offset:32
	v_fmac_f32_e32 v71, v45, v42
	v_dual_fmac_f32 v81, v56, v43 :: v_dual_fmac_f32 v80, v57, v58
	v_and_b32_e32 v87, 0xffff, v128
	s_waitcnt lgkmcnt(0)
	v_lshrrev_b32_e32 v86, 16, v82
	v_and_b32_e32 v82, 0xffff, v82
	;;#ASMSTART
	v_cvt_f32_f16 v82, v82;
	;;#ASMEND
	;;#ASMSTART
	v_cvt_f32_f16 v86, v86;
	;;#ASMEND
	;; [unrolled: 3-line block ×3, first 2 shown]
	s_delay_alu instid0(VALU_DEP_1)
	v_dual_fmac_f32 v64, v82, v87 :: v_dual_and_b32 v87, 0xffff, v101
	v_lshrrev_b32_e32 v82, 16, v83
	v_and_b32_e32 v83, 0xffff, v83
	;;#ASMSTART
	v_cvt_f32_f16 v96, v96;
	;;#ASMEND
	v_fmac_f32_e32 v67, v86, v96
	;;#ASMSTART
	v_cvt_f32_f16 v83, v83;
	;;#ASMEND
	;;#ASMSTART
	v_cvt_f32_f16 v82, v82;
	;;#ASMEND
	v_and_b32_e32 v86, 0xffff, v118
	;;#ASMSTART
	v_cvt_f32_f16 v86, v86;
	;;#ASMEND
	;;#ASMSTART
	v_cvt_f32_f16 v87, v87;
	;;#ASMEND
	s_delay_alu instid0(VALU_DEP_1)
	v_dual_fmac_f32 v69, v83, v86 :: v_dual_fmac_f32 v68, v82, v87
	v_and_b32_e32 v83, 0xffff, v84
	v_lshrrev_b32_e32 v82, 16, v84
	v_and_b32_e32 v84, 0xffff, v100
	;;#ASMSTART
	v_cvt_f32_f16 v83, v83;
	;;#ASMEND
	;;#ASMSTART
	v_cvt_f32_f16 v82, v82;
	;;#ASMEND
	;; [unrolled: 3-line block ×3, first 2 shown]
	v_and_b32_e32 v86, 0xffff, v99
	;;#ASMSTART
	v_cvt_f32_f16 v86, v86;
	;;#ASMEND
	s_delay_alu instid0(VALU_DEP_1)
	v_dual_fmac_f32 v71, v83, v84 :: v_dual_fmac_f32 v70, v82, v86
	v_lshrrev_b32_e32 v82, 16, v85
	v_and_b32_e32 v83, 0xffff, v85
	v_and_b32_e32 v84, 0xffff, v98
	v_and_b32_e32 v85, 0xffff, v97
	;;#ASMSTART
	v_cvt_f32_f16 v83, v83;
	;;#ASMEND
	;;#ASMSTART
	v_cvt_f32_f16 v82, v82;
	;;#ASMEND
	;; [unrolled: 3-line block ×4, first 2 shown]
	v_dual_fmac_f32 v81, v83, v84 :: v_dual_fmac_f32 v80, v82, v85
	ds_load_b128 v[82:85], v9 offset:48
	v_and_b32_e32 v87, 0xffff, v144
	v_and_b32_e32 v96, 0xffff, v135
	s_waitcnt lgkmcnt(0)
	v_lshrrev_b32_e32 v86, 16, v82
	v_and_b32_e32 v82, 0xffff, v82
	;;#ASMSTART
	v_cvt_f32_f16 v82, v82;
	;;#ASMEND
	;;#ASMSTART
	v_cvt_f32_f16 v86, v86;
	;;#ASMEND
	;;#ASMSTART
	v_cvt_f32_f16 v87, v87;
	;;#ASMEND
	s_delay_alu instid0(VALU_DEP_1)
	v_fmac_f32_e32 v64, v82, v87
	v_lshrrev_b32_e32 v82, 16, v83
	v_and_b32_e32 v83, 0xffff, v83
	;;#ASMSTART
	v_cvt_f32_f16 v96, v96;
	;;#ASMEND
	v_fmac_f32_e32 v67, v86, v96
	;;#ASMSTART
	v_cvt_f32_f16 v83, v83;
	;;#ASMEND
	;;#ASMSTART
	v_cvt_f32_f16 v82, v82;
	;;#ASMEND
	v_and_b32_e32 v86, 0xffff, v134
	v_and_b32_e32 v87, 0xffff, v117
	;;#ASMSTART
	v_cvt_f32_f16 v86, v86;
	;;#ASMEND
	;;#ASMSTART
	v_cvt_f32_f16 v87, v87;
	;;#ASMEND
	s_delay_alu instid0(VALU_DEP_1)
	v_dual_fmac_f32 v69, v83, v86 :: v_dual_fmac_f32 v68, v82, v87
	v_lshrrev_b32_e32 v82, 16, v84
	v_and_b32_e32 v83, 0xffff, v84
	v_and_b32_e32 v84, 0xffff, v116
	;;#ASMSTART
	v_cvt_f32_f16 v83, v83;
	;;#ASMEND
	;;#ASMSTART
	v_cvt_f32_f16 v82, v82;
	;;#ASMEND
	;; [unrolled: 3-line block ×3, first 2 shown]
	v_and_b32_e32 v86, 0xffff, v115
	;;#ASMSTART
	v_cvt_f32_f16 v86, v86;
	;;#ASMEND
	s_delay_alu instid0(VALU_DEP_1)
	v_dual_fmac_f32 v71, v83, v84 :: v_dual_fmac_f32 v70, v82, v86
	v_lshrrev_b32_e32 v82, 16, v85
	v_and_b32_e32 v83, 0xffff, v85
	v_and_b32_e32 v84, 0xffff, v114
	;; [unrolled: 1-line block ×3, first 2 shown]
	;;#ASMSTART
	v_cvt_f32_f16 v83, v83;
	;;#ASMEND
	;;#ASMSTART
	v_cvt_f32_f16 v82, v82;
	;;#ASMEND
	;; [unrolled: 3-line block ×4, first 2 shown]
	v_dual_fmac_f32 v81, v83, v84 :: v_dual_fmac_f32 v80, v82, v85
	ds_load_b128 v[82:85], v9 offset:64
	v_and_b32_e32 v87, 0xffff, v160
	v_and_b32_e32 v96, 0xffff, v151
	s_waitcnt lgkmcnt(0)
	v_lshrrev_b32_e32 v86, 16, v82
	v_and_b32_e32 v82, 0xffff, v82
	;;#ASMSTART
	v_cvt_f32_f16 v82, v82;
	;;#ASMEND
	;;#ASMSTART
	v_cvt_f32_f16 v86, v86;
	;;#ASMEND
	;; [unrolled: 3-line block ×3, first 2 shown]
	s_delay_alu instid0(VALU_DEP_1)
	v_fmac_f32_e32 v64, v82, v87
	v_lshrrev_b32_e32 v82, 16, v83
	v_and_b32_e32 v83, 0xffff, v83
	;;#ASMSTART
	v_cvt_f32_f16 v96, v96;
	;;#ASMEND
	v_fmac_f32_e32 v67, v86, v96
	;;#ASMSTART
	v_cvt_f32_f16 v83, v83;
	;;#ASMEND
	;;#ASMSTART
	v_cvt_f32_f16 v82, v82;
	;;#ASMEND
	v_and_b32_e32 v86, 0xffff, v150
	v_and_b32_e32 v87, 0xffff, v133
	;;#ASMSTART
	v_cvt_f32_f16 v86, v86;
	;;#ASMEND
	;;#ASMSTART
	v_cvt_f32_f16 v87, v87;
	;;#ASMEND
	s_delay_alu instid0(VALU_DEP_1)
	v_dual_fmac_f32 v69, v83, v86 :: v_dual_fmac_f32 v68, v82, v87
	v_lshrrev_b32_e32 v82, 16, v84
	v_and_b32_e32 v83, 0xffff, v84
	v_and_b32_e32 v84, 0xffff, v132
	;;#ASMSTART
	v_cvt_f32_f16 v83, v83;
	;;#ASMEND
	;;#ASMSTART
	v_cvt_f32_f16 v82, v82;
	;;#ASMEND
	;; [unrolled: 3-line block ×3, first 2 shown]
	v_and_b32_e32 v86, 0xffff, v131
	;;#ASMSTART
	v_cvt_f32_f16 v86, v86;
	;;#ASMEND
	s_delay_alu instid0(VALU_DEP_1)
	v_dual_fmac_f32 v71, v83, v84 :: v_dual_fmac_f32 v70, v82, v86
	v_lshrrev_b32_e32 v82, 16, v85
	v_and_b32_e32 v83, 0xffff, v85
	v_and_b32_e32 v84, 0xffff, v130
	;; [unrolled: 1-line block ×3, first 2 shown]
	;;#ASMSTART
	v_cvt_f32_f16 v83, v83;
	;;#ASMEND
	;;#ASMSTART
	v_cvt_f32_f16 v82, v82;
	;;#ASMEND
	;; [unrolled: 3-line block ×4, first 2 shown]
	v_dual_fmac_f32 v81, v83, v84 :: v_dual_fmac_f32 v80, v82, v85
	ds_load_b128 v[82:85], v9 offset:80
	v_and_b32_e32 v87, 0xffff, v179
	v_and_b32_e32 v96, 0xffff, v178
	s_waitcnt lgkmcnt(0)
	v_lshrrev_b32_e32 v86, 16, v82
	v_and_b32_e32 v82, 0xffff, v82
	;;#ASMSTART
	v_cvt_f32_f16 v82, v82;
	;;#ASMEND
	;;#ASMSTART
	v_cvt_f32_f16 v86, v86;
	;;#ASMEND
	;; [unrolled: 3-line block ×3, first 2 shown]
	s_delay_alu instid0(VALU_DEP_1)
	v_fmac_f32_e32 v64, v82, v87
	v_lshrrev_b32_e32 v82, 16, v83
	v_and_b32_e32 v83, 0xffff, v83
	;;#ASMSTART
	v_cvt_f32_f16 v96, v96;
	;;#ASMEND
	v_fmac_f32_e32 v67, v86, v96
	;;#ASMSTART
	v_cvt_f32_f16 v83, v83;
	;;#ASMEND
	;;#ASMSTART
	v_cvt_f32_f16 v82, v82;
	;;#ASMEND
	v_and_b32_e32 v86, 0xffff, v177
	v_and_b32_e32 v87, 0xffff, v149
	;;#ASMSTART
	v_cvt_f32_f16 v86, v86;
	;;#ASMEND
	;;#ASMSTART
	v_cvt_f32_f16 v87, v87;
	;;#ASMEND
	s_delay_alu instid0(VALU_DEP_1)
	v_dual_fmac_f32 v69, v83, v86 :: v_dual_fmac_f32 v68, v82, v87
	v_lshrrev_b32_e32 v82, 16, v84
	v_and_b32_e32 v83, 0xffff, v84
	v_and_b32_e32 v84, 0xffff, v148
	;;#ASMSTART
	v_cvt_f32_f16 v83, v83;
	;;#ASMEND
	;;#ASMSTART
	v_cvt_f32_f16 v82, v82;
	;;#ASMEND
	;; [unrolled: 3-line block ×3, first 2 shown]
	v_and_b32_e32 v86, 0xffff, v147
	;;#ASMSTART
	v_cvt_f32_f16 v86, v86;
	;;#ASMEND
	s_delay_alu instid0(VALU_DEP_1)
	v_dual_fmac_f32 v71, v83, v84 :: v_dual_fmac_f32 v70, v82, v86
	v_lshrrev_b32_e32 v82, 16, v85
	v_and_b32_e32 v83, 0xffff, v85
	v_and_b32_e32 v84, 0xffff, v146
	;; [unrolled: 1-line block ×3, first 2 shown]
	;;#ASMSTART
	v_cvt_f32_f16 v83, v83;
	;;#ASMEND
	;;#ASMSTART
	v_cvt_f32_f16 v82, v82;
	;;#ASMEND
	;; [unrolled: 3-line block ×4, first 2 shown]
	v_dual_fmac_f32 v81, v83, v84 :: v_dual_fmac_f32 v80, v82, v85
	ds_load_b128 v[82:85], v9 offset:96
	v_and_b32_e32 v87, 0xffff, v176
	v_and_b32_e32 v96, 0xffff, v167
	s_waitcnt lgkmcnt(0)
	v_lshrrev_b32_e32 v86, 16, v82
	v_and_b32_e32 v82, 0xffff, v82
	;;#ASMSTART
	v_cvt_f32_f16 v82, v82;
	;;#ASMEND
	;;#ASMSTART
	v_cvt_f32_f16 v86, v86;
	;;#ASMEND
	;; [unrolled: 3-line block ×3, first 2 shown]
	s_delay_alu instid0(VALU_DEP_1)
	v_fmac_f32_e32 v64, v82, v87
	v_lshrrev_b32_e32 v82, 16, v83
	v_and_b32_e32 v83, 0xffff, v83
	;;#ASMSTART
	v_cvt_f32_f16 v96, v96;
	;;#ASMEND
	v_fmac_f32_e32 v67, v86, v96
	;;#ASMSTART
	v_cvt_f32_f16 v83, v83;
	;;#ASMEND
	;;#ASMSTART
	v_cvt_f32_f16 v82, v82;
	;;#ASMEND
	v_and_b32_e32 v86, 0xffff, v166
	v_and_b32_e32 v87, 0xffff, v165
	;;#ASMSTART
	v_cvt_f32_f16 v86, v86;
	;;#ASMEND
	;;#ASMSTART
	v_cvt_f32_f16 v87, v87;
	;;#ASMEND
	s_delay_alu instid0(VALU_DEP_1)
	v_dual_fmac_f32 v69, v83, v86 :: v_dual_fmac_f32 v68, v82, v87
	v_lshrrev_b32_e32 v82, 16, v84
	v_and_b32_e32 v83, 0xffff, v84
	v_and_b32_e32 v84, 0xffff, v164
	;;#ASMSTART
	v_cvt_f32_f16 v83, v83;
	;;#ASMEND
	;;#ASMSTART
	v_cvt_f32_f16 v82, v82;
	;;#ASMEND
	;;#ASMSTART
	v_cvt_f32_f16 v84, v84;
	;;#ASMEND
	v_and_b32_e32 v86, 0xffff, v163
	;;#ASMSTART
	v_cvt_f32_f16 v86, v86;
	;;#ASMEND
	s_delay_alu instid0(VALU_DEP_1)
	v_dual_fmac_f32 v71, v83, v84 :: v_dual_fmac_f32 v70, v82, v86
	v_lshrrev_b32_e32 v82, 16, v85
	v_and_b32_e32 v83, 0xffff, v85
	v_and_b32_e32 v84, 0xffff, v162
	;; [unrolled: 1-line block ×3, first 2 shown]
	;;#ASMSTART
	v_cvt_f32_f16 v83, v83;
	;;#ASMEND
	;;#ASMSTART
	v_cvt_f32_f16 v82, v82;
	;;#ASMEND
	;; [unrolled: 3-line block ×4, first 2 shown]
	v_dual_fmac_f32 v81, v83, v84 :: v_dual_fmac_f32 v80, v82, v85
	ds_load_b128 v[82:85], v9 offset:112
	s_waitcnt lgkmcnt(0)
	v_lshrrev_b32_e32 v86, 16, v82
	v_and_b32_e32 v82, 0xffff, v82
	;;#ASMSTART
	v_cvt_f32_f16 v82, v82;
	;;#ASMEND
	;;#ASMSTART
	v_cvt_f32_f16 v86, v86;
	;;#ASMEND
	;; [unrolled: 3-line block ×4, first 2 shown]
	v_fmac_f32_e32 v64, v82, v66
	v_fmac_f32_e32 v67, v86, v65
	v_lshrrev_b32_e32 v65, 16, v83
	v_and_b32_e32 v66, 0xffff, v83
	;;#ASMSTART
	v_cvt_f32_f16 v66, v66;
	;;#ASMEND
	;;#ASMSTART
	v_cvt_f32_f16 v65, v65;
	;;#ASMEND
	;; [unrolled: 3-line block ×4, first 2 shown]
	v_dual_fmac_f32 v69, v66, v33 :: v_dual_fmac_f32 v68, v65, v32
	v_lshrrev_b32_e32 v32, 16, v84
	v_and_b32_e32 v33, 0xffff, v84
	;;#ASMSTART
	v_cvt_f32_f16 v33, v33;
	;;#ASMEND
	;;#ASMSTART
	v_cvt_f32_f16 v32, v32;
	;;#ASMEND
	;; [unrolled: 3-line block ×4, first 2 shown]
	v_dual_fmac_f32 v71, v33, v31 :: v_dual_fmac_f32 v70, v32, v30
	v_lshrrev_b32_e32 v30, 16, v85
	v_and_b32_e32 v31, 0xffff, v85
	;;#ASMSTART
	v_cvt_f32_f16 v31, v31;
	;;#ASMEND
	;;#ASMSTART
	v_cvt_f32_f16 v30, v30;
	;;#ASMEND
	;; [unrolled: 3-line block ×4, first 2 shown]
	v_fmac_f32_e32 v80, v30, v28
	v_dual_add_f32 v28, v64, v67 :: v_dual_fmac_f32 v81, v31, v29
	s_delay_alu instid0(VALU_DEP_1) | instskip(NEXT) | instid1(VALU_DEP_1)
	v_add_f32_e32 v28, v28, v69
	v_add_f32_e32 v28, v68, v28
	s_delay_alu instid0(VALU_DEP_1) | instskip(NEXT) | instid1(VALU_DEP_1)
	v_add_f32_e32 v28, v28, v71
	v_add_f32_e32 v28, v70, v28
	;; [unrolled: 3-line block ×3, first 2 shown]
	s_delay_alu instid0(VALU_DEP_1) | instskip(NEXT) | instid1(VALU_DEP_1)
	v_fmac_f32_e32 v8, v28, v13
	v_cndmask_b32_e64 v28, 0, v8, s1
	ds_store_b32 v54, v28
	v_max_f32_e32 v28, v51, v51
	v_add_nc_u32_e32 v54, 0x200, v54
	s_delay_alu instid0(VALU_DEP_2) | instskip(NEXT) | instid1(VALU_DEP_1)
	v_max_f32_e32 v8, v28, v8
	v_cndmask_b32_e64 v51, v51, v8, s1
	v_add_co_u32 v20, s1, v20, 16
	s_delay_alu instid0(VALU_DEP_1) | instskip(SKIP_1) | instid1(VALU_DEP_1)
	v_add_co_ci_u32_e64 v21, s1, 0, v21, s1
	v_cmp_ge_i32_e64 s1, v55, v23
	s_or_b32 s7, s1, s7
	s_delay_alu instid0(SALU_CYCLE_1)
	s_and_not1_b32 exec_lo, exec_lo, s7
	s_cbranch_execz .LBB359_520
.LBB359_11:                             ; =>This Inner Loop Header: Depth=1
	flat_load_b32 v8, v[20:21]
	s_mov_b32 s17, exec_lo
	v_mov_b32_e32 v65, 0
	s_waitcnt vmcnt(0) lgkmcnt(0)
	v_mad_i64_i32 v[28:29], null, v8, v22, v[18:19]
	flat_load_b64 v[30:31], v[28:29]
	flat_load_b32 v64, v[24:25]
	s_waitcnt vmcnt(1) lgkmcnt(1)
	v_and_b32_e32 v8, 0xff, v30
	s_delay_alu instid0(VALU_DEP_1)
	v_cmpx_ne_u16_e32 0, v8
	s_cbranch_execz .LBB359_19
; %bb.12:                               ;   in Loop: Header=BB359_11 Depth=1
	v_bfrev_b32_e32 v65, 1
	s_mov_b32 s18, exec_lo
	v_cmpx_ne_u16_e32 0x80, v8
	s_cbranch_execz .LBB359_18
; %bb.13:                               ;   in Loop: Header=BB359_11 Depth=1
	v_and_b32_e32 v32, 0x7f, v30
	v_mov_b32_e32 v65, 0x7fc02000
	s_mov_b32 s19, exec_lo
	s_delay_alu instid0(VALU_DEP_2)
	v_cmpx_ne_u32_e32 0x7f, v32
	s_cbranch_execz .LBB359_17
; %bb.14:                               ;   in Loop: Header=BB359_11 Depth=1
	v_lshrrev_b32_e32 v8, 3, v32
	v_cmp_gt_u32_e64 s1, 8, v32
	v_dual_mov_b32 v33, v31 :: v_dual_mov_b32 v32, v30
	s_delay_alu instid0(VALU_DEP_2)
	s_and_saveexec_b32 s20, s1
; %bb.15:                               ;   in Loop: Header=BB359_11 Depth=1
	v_and_b32_e32 v8, 7, v30
	s_delay_alu instid0(VALU_DEP_1) | instskip(NEXT) | instid1(VALU_DEP_1)
	v_clz_i32_u32_e32 v8, v8
	v_min_u32_e32 v8, 32, v8
	s_delay_alu instid0(VALU_DEP_1) | instskip(SKIP_1) | instid1(VALU_DEP_2)
	v_subrev_nc_u32_e32 v32, 28, v8
	v_sub_nc_u32_e32 v8, 29, v8
	v_lshlrev_b64 v[32:33], v32, v[30:31]
; %bb.16:                               ;   in Loop: Header=BB359_11 Depth=1
	s_or_b32 exec_lo, exec_lo, s20
	v_lshlrev_b32_e32 v33, 8, v30
	s_delay_alu instid0(VALU_DEP_3) | instskip(NEXT) | instid1(VALU_DEP_3)
	v_lshl_add_u32 v8, v8, 10, 0x2000
	v_lshlrev_b32_e32 v32, 7, v32
	s_delay_alu instid0(VALU_DEP_2) | instskip(NEXT) | instid1(VALU_DEP_1)
	v_and_or_b32 v8, 0x8000, v33, v8
	v_and_or_b32 v8, 0x380, v32, v8
	s_delay_alu instid0(VALU_DEP_1)
	v_cvt_f32_f16_e32 v65, v8
.LBB359_17:                             ;   in Loop: Header=BB359_11 Depth=1
	s_or_b32 exec_lo, exec_lo, s19
.LBB359_18:                             ;   in Loop: Header=BB359_11 Depth=1
	s_delay_alu instid0(SALU_CYCLE_1)
	s_or_b32 exec_lo, exec_lo, s18
.LBB359_19:                             ;   in Loop: Header=BB359_11 Depth=1
	s_delay_alu instid0(SALU_CYCLE_1) | instskip(SKIP_3) | instid1(VALU_DEP_2)
	s_or_b32 exec_lo, exec_lo, s17
	v_lshrrev_b16 v8, 8, v30
	v_dual_mov_b32 v66, 0 :: v_dual_mov_b32 v67, 0
	s_mov_b32 s17, exec_lo
	v_cmpx_ne_u16_e32 0, v8
	s_cbranch_execz .LBB359_27
; %bb.20:                               ;   in Loop: Header=BB359_11 Depth=1
	v_bfrev_b32_e32 v67, 1
	s_mov_b32 s18, exec_lo
	v_cmpx_ne_u16_e32 0x80, v8
	s_cbranch_execz .LBB359_26
; %bb.21:                               ;   in Loop: Header=BB359_11 Depth=1
	v_and_b32_e32 v32, 0xffff, v8
	v_mov_b32_e32 v67, 0x7fc02000
	s_mov_b32 s19, exec_lo
	s_delay_alu instid0(VALU_DEP_2) | instskip(NEXT) | instid1(VALU_DEP_1)
	v_and_b32_e32 v68, 0x7f, v32
	v_cmpx_ne_u32_e32 0x7f, v68
	s_cbranch_execz .LBB359_25
; %bb.22:                               ;   in Loop: Header=BB359_11 Depth=1
	v_and_b32_e32 v8, 7, v32
	v_lshrrev_b32_e32 v33, 3, v68
	s_mov_b32 s20, exec_lo
	v_cmpx_gt_u32_e32 8, v68
; %bb.23:                               ;   in Loop: Header=BB359_11 Depth=1
	s_delay_alu instid0(VALU_DEP_3) | instskip(NEXT) | instid1(VALU_DEP_1)
	v_clz_i32_u32_e32 v33, v8
	v_min_u32_e32 v33, 32, v33
	s_delay_alu instid0(VALU_DEP_1) | instskip(SKIP_1) | instid1(VALU_DEP_2)
	v_subrev_nc_u32_e32 v67, 28, v33
	v_sub_nc_u32_e32 v33, 29, v33
	v_lshlrev_b64 v[67:68], v67, v[8:9]
	s_delay_alu instid0(VALU_DEP_1)
	v_and_b32_e32 v8, 7, v67
; %bb.24:                               ;   in Loop: Header=BB359_11 Depth=1
	s_or_b32 exec_lo, exec_lo, s20
	v_lshlrev_b32_e32 v32, 8, v32
	v_lshl_add_u32 v33, v33, 10, 0x2000
	s_delay_alu instid0(VALU_DEP_1) | instskip(NEXT) | instid1(VALU_DEP_1)
	v_and_or_b32 v32, 0x8000, v32, v33
	v_lshl_or_b32 v8, v8, 7, v32
	s_delay_alu instid0(VALU_DEP_1)
	v_cvt_f32_f16_e32 v67, v8
.LBB359_25:                             ;   in Loop: Header=BB359_11 Depth=1
	s_or_b32 exec_lo, exec_lo, s19
.LBB359_26:                             ;   in Loop: Header=BB359_11 Depth=1
	s_delay_alu instid0(SALU_CYCLE_1)
	s_or_b32 exec_lo, exec_lo, s18
.LBB359_27:                             ;   in Loop: Header=BB359_11 Depth=1
	s_delay_alu instid0(SALU_CYCLE_1) | instskip(SKIP_2) | instid1(VALU_DEP_1)
	s_or_b32 exec_lo, exec_lo, s17
	v_lshrrev_b32_e32 v32, 16, v30
	s_mov_b32 s17, exec_lo
	v_and_b32_e32 v8, 0xff, v32
	s_delay_alu instid0(VALU_DEP_1)
	v_cmpx_ne_u16_e32 0, v8
	s_cbranch_execz .LBB359_35
; %bb.28:                               ;   in Loop: Header=BB359_11 Depth=1
	v_bfrev_b32_e32 v66, 1
	s_mov_b32 s18, exec_lo
	v_cmpx_ne_u16_e32 0x80, v8
	s_cbranch_execz .LBB359_34
; %bb.29:                               ;   in Loop: Header=BB359_11 Depth=1
	v_bfe_u32 v68, v30, 16, 7
	v_mov_b32_e32 v66, 0x7fc02000
	s_mov_b32 s19, exec_lo
	s_delay_alu instid0(VALU_DEP_2)
	v_cmpx_ne_u32_e32 0x7f, v68
	s_cbranch_execz .LBB359_33
; %bb.30:                               ;   in Loop: Header=BB359_11 Depth=1
	v_and_b32_e32 v8, 7, v32
	v_lshrrev_b32_e32 v33, 3, v68
	s_mov_b32 s20, exec_lo
	v_cmpx_gt_u32_e32 8, v68
; %bb.31:                               ;   in Loop: Header=BB359_11 Depth=1
	s_delay_alu instid0(VALU_DEP_3) | instskip(NEXT) | instid1(VALU_DEP_1)
	v_clz_i32_u32_e32 v33, v8
	v_min_u32_e32 v33, 32, v33
	s_delay_alu instid0(VALU_DEP_1) | instskip(SKIP_1) | instid1(VALU_DEP_2)
	v_subrev_nc_u32_e32 v66, 28, v33
	v_sub_nc_u32_e32 v33, 29, v33
	v_lshlrev_b64 v[68:69], v66, v[8:9]
	s_delay_alu instid0(VALU_DEP_1)
	v_and_b32_e32 v8, 7, v68
; %bb.32:                               ;   in Loop: Header=BB359_11 Depth=1
	s_or_b32 exec_lo, exec_lo, s20
	v_lshlrev_b32_e32 v32, 8, v32
	v_lshl_add_u32 v33, v33, 10, 0x2000
	s_delay_alu instid0(VALU_DEP_1) | instskip(NEXT) | instid1(VALU_DEP_1)
	v_and_or_b32 v32, 0x8000, v32, v33
	v_lshl_or_b32 v8, v8, 7, v32
	s_delay_alu instid0(VALU_DEP_1)
	v_cvt_f32_f16_e32 v66, v8
.LBB359_33:                             ;   in Loop: Header=BB359_11 Depth=1
	s_or_b32 exec_lo, exec_lo, s19
.LBB359_34:                             ;   in Loop: Header=BB359_11 Depth=1
	s_delay_alu instid0(SALU_CYCLE_1)
	s_or_b32 exec_lo, exec_lo, s18
.LBB359_35:                             ;   in Loop: Header=BB359_11 Depth=1
	s_delay_alu instid0(SALU_CYCLE_1)
	s_or_b32 exec_lo, exec_lo, s17
	v_dual_mov_b32 v68, 0 :: v_dual_mov_b32 v69, 0
	s_mov_b32 s17, exec_lo
	v_cmpx_lt_u32_e32 0xffffff, v30
	s_cbranch_execz .LBB359_43
; %bb.36:                               ;   in Loop: Header=BB359_11 Depth=1
	v_lshrrev_b32_e32 v32, 24, v30
	v_bfrev_b32_e32 v69, 1
	s_mov_b32 s18, exec_lo
	s_delay_alu instid0(VALU_DEP_2)
	v_cmpx_ne_u32_e32 0x80, v32
	s_cbranch_execz .LBB359_42
; %bb.37:                               ;   in Loop: Header=BB359_11 Depth=1
	v_and_b32_e32 v70, 0x7f, v32
	v_mov_b32_e32 v69, 0x7fc02000
	s_mov_b32 s19, exec_lo
	s_delay_alu instid0(VALU_DEP_2)
	v_cmpx_ne_u32_e32 0x7f, v70
	s_cbranch_execz .LBB359_41
; %bb.38:                               ;   in Loop: Header=BB359_11 Depth=1
	v_and_b32_e32 v8, 7, v32
	v_lshrrev_b32_e32 v33, 3, v70
	s_mov_b32 s20, exec_lo
	v_cmpx_gt_u32_e32 8, v70
; %bb.39:                               ;   in Loop: Header=BB359_11 Depth=1
	s_delay_alu instid0(VALU_DEP_3) | instskip(NEXT) | instid1(VALU_DEP_1)
	v_clz_i32_u32_e32 v33, v8
	v_min_u32_e32 v33, 32, v33
	s_delay_alu instid0(VALU_DEP_1) | instskip(SKIP_1) | instid1(VALU_DEP_2)
	v_subrev_nc_u32_e32 v69, 28, v33
	v_sub_nc_u32_e32 v33, 29, v33
	v_lshlrev_b64 v[69:70], v69, v[8:9]
	s_delay_alu instid0(VALU_DEP_1)
	v_and_b32_e32 v8, 7, v69
; %bb.40:                               ;   in Loop: Header=BB359_11 Depth=1
	s_or_b32 exec_lo, exec_lo, s20
	v_lshlrev_b32_e32 v32, 8, v32
	v_lshl_add_u32 v33, v33, 10, 0x2000
	s_delay_alu instid0(VALU_DEP_1) | instskip(NEXT) | instid1(VALU_DEP_1)
	v_and_or_b32 v32, 0x8000, v32, v33
	v_lshl_or_b32 v8, v8, 7, v32
	s_delay_alu instid0(VALU_DEP_1)
	v_cvt_f32_f16_e32 v69, v8
.LBB359_41:                             ;   in Loop: Header=BB359_11 Depth=1
	s_or_b32 exec_lo, exec_lo, s19
.LBB359_42:                             ;   in Loop: Header=BB359_11 Depth=1
	s_delay_alu instid0(SALU_CYCLE_1)
	s_or_b32 exec_lo, exec_lo, s18
.LBB359_43:                             ;   in Loop: Header=BB359_11 Depth=1
	s_delay_alu instid0(SALU_CYCLE_1) | instskip(SKIP_3) | instid1(VALU_DEP_2)
	s_or_b32 exec_lo, exec_lo, s17
	v_and_b32_e32 v32, 0xff, v31
	v_mov_b32_e32 v8, v31
	s_mov_b32 s17, exec_lo
	v_cmpx_ne_u16_e32 0, v32
	s_cbranch_execz .LBB359_51
; %bb.44:                               ;   in Loop: Header=BB359_11 Depth=1
	v_bfrev_b32_e32 v68, 1
	s_mov_b32 s18, exec_lo
	v_cmpx_ne_u16_e32 0x80, v32
	s_cbranch_execz .LBB359_50
; %bb.45:                               ;   in Loop: Header=BB359_11 Depth=1
	v_and_b32_e32 v32, 0x7f, v31
	v_mov_b32_e32 v68, 0x7fc02000
	s_mov_b32 s19, exec_lo
	s_delay_alu instid0(VALU_DEP_2)
	v_cmpx_ne_u32_e32 0x7f, v32
	s_cbranch_execz .LBB359_49
; %bb.46:                               ;   in Loop: Header=BB359_11 Depth=1
	v_lshrrev_b32_e32 v68, 3, v32
	v_cmp_gt_u32_e64 s1, 8, v32
	v_dual_mov_b32 v33, v9 :: v_dual_mov_b32 v32, v8
	s_delay_alu instid0(VALU_DEP_2)
	s_and_saveexec_b32 s20, s1
; %bb.47:                               ;   in Loop: Header=BB359_11 Depth=1
	v_and_b32_e32 v32, 7, v31
	s_delay_alu instid0(VALU_DEP_1) | instskip(NEXT) | instid1(VALU_DEP_1)
	v_clz_i32_u32_e32 v32, v32
	v_min_u32_e32 v68, 32, v32
	s_delay_alu instid0(VALU_DEP_1) | instskip(SKIP_1) | instid1(VALU_DEP_2)
	v_subrev_nc_u32_e32 v32, 28, v68
	v_sub_nc_u32_e32 v68, 29, v68
	v_lshlrev_b64 v[32:33], v32, v[8:9]
; %bb.48:                               ;   in Loop: Header=BB359_11 Depth=1
	s_or_b32 exec_lo, exec_lo, s20
	v_lshlrev_b32_e32 v33, 8, v31
	s_delay_alu instid0(VALU_DEP_3) | instskip(NEXT) | instid1(VALU_DEP_3)
	v_lshl_add_u32 v68, v68, 10, 0x2000
	v_lshlrev_b32_e32 v32, 7, v32
	s_delay_alu instid0(VALU_DEP_2) | instskip(NEXT) | instid1(VALU_DEP_1)
	v_and_or_b32 v33, 0x8000, v33, v68
	v_and_or_b32 v32, 0x380, v32, v33
	s_delay_alu instid0(VALU_DEP_1)
	v_cvt_f32_f16_e32 v68, v32
.LBB359_49:                             ;   in Loop: Header=BB359_11 Depth=1
	s_or_b32 exec_lo, exec_lo, s19
.LBB359_50:                             ;   in Loop: Header=BB359_11 Depth=1
	s_delay_alu instid0(SALU_CYCLE_1)
	s_or_b32 exec_lo, exec_lo, s18
.LBB359_51:                             ;   in Loop: Header=BB359_11 Depth=1
	s_delay_alu instid0(SALU_CYCLE_1) | instskip(SKIP_3) | instid1(VALU_DEP_2)
	s_or_b32 exec_lo, exec_lo, s17
	v_lshrrev_b16 v8, 8, v8
	v_dual_mov_b32 v70, 0 :: v_dual_mov_b32 v71, 0
	s_mov_b32 s17, exec_lo
	v_cmpx_ne_u16_e32 0, v8
	s_cbranch_execz .LBB359_59
; %bb.52:                               ;   in Loop: Header=BB359_11 Depth=1
	v_bfrev_b32_e32 v71, 1
	s_mov_b32 s18, exec_lo
	v_cmpx_ne_u16_e32 0x80, v8
	s_cbranch_execz .LBB359_58
; %bb.53:                               ;   in Loop: Header=BB359_11 Depth=1
	v_and_b32_e32 v32, 0xffff, v8
	v_mov_b32_e32 v71, 0x7fc02000
	s_mov_b32 s19, exec_lo
	s_delay_alu instid0(VALU_DEP_2) | instskip(NEXT) | instid1(VALU_DEP_1)
	v_and_b32_e32 v80, 0x7f, v32
	v_cmpx_ne_u32_e32 0x7f, v80
	s_cbranch_execz .LBB359_57
; %bb.54:                               ;   in Loop: Header=BB359_11 Depth=1
	v_and_b32_e32 v8, 7, v32
	v_lshrrev_b32_e32 v33, 3, v80
	s_mov_b32 s20, exec_lo
	v_cmpx_gt_u32_e32 8, v80
; %bb.55:                               ;   in Loop: Header=BB359_11 Depth=1
	s_delay_alu instid0(VALU_DEP_3) | instskip(NEXT) | instid1(VALU_DEP_1)
	v_clz_i32_u32_e32 v33, v8
	v_min_u32_e32 v33, 32, v33
	s_delay_alu instid0(VALU_DEP_1) | instskip(SKIP_1) | instid1(VALU_DEP_2)
	v_subrev_nc_u32_e32 v71, 28, v33
	v_sub_nc_u32_e32 v33, 29, v33
	v_lshlrev_b64 v[80:81], v71, v[8:9]
	s_delay_alu instid0(VALU_DEP_1)
	v_and_b32_e32 v8, 7, v80
; %bb.56:                               ;   in Loop: Header=BB359_11 Depth=1
	s_or_b32 exec_lo, exec_lo, s20
	v_lshlrev_b32_e32 v32, 8, v32
	v_lshl_add_u32 v33, v33, 10, 0x2000
	s_delay_alu instid0(VALU_DEP_1) | instskip(NEXT) | instid1(VALU_DEP_1)
	v_and_or_b32 v32, 0x8000, v32, v33
	v_lshl_or_b32 v8, v8, 7, v32
	s_delay_alu instid0(VALU_DEP_1)
	v_cvt_f32_f16_e32 v71, v8
.LBB359_57:                             ;   in Loop: Header=BB359_11 Depth=1
	s_or_b32 exec_lo, exec_lo, s19
.LBB359_58:                             ;   in Loop: Header=BB359_11 Depth=1
	s_delay_alu instid0(SALU_CYCLE_1)
	s_or_b32 exec_lo, exec_lo, s18
.LBB359_59:                             ;   in Loop: Header=BB359_11 Depth=1
	s_delay_alu instid0(SALU_CYCLE_1) | instskip(SKIP_2) | instid1(VALU_DEP_1)
	s_or_b32 exec_lo, exec_lo, s17
	v_lshrrev_b32_e32 v32, 16, v31
	s_mov_b32 s17, exec_lo
	v_and_b32_e32 v8, 0xff, v32
	s_delay_alu instid0(VALU_DEP_1)
	v_cmpx_ne_u16_e32 0, v8
	s_cbranch_execz .LBB359_67
; %bb.60:                               ;   in Loop: Header=BB359_11 Depth=1
	v_bfrev_b32_e32 v70, 1
	s_mov_b32 s18, exec_lo
	v_cmpx_ne_u16_e32 0x80, v8
	s_cbranch_execz .LBB359_66
; %bb.61:                               ;   in Loop: Header=BB359_11 Depth=1
	v_bfe_u32 v80, v31, 16, 7
	v_mov_b32_e32 v70, 0x7fc02000
	s_mov_b32 s19, exec_lo
	s_delay_alu instid0(VALU_DEP_2)
	v_cmpx_ne_u32_e32 0x7f, v80
	s_cbranch_execz .LBB359_65
; %bb.62:                               ;   in Loop: Header=BB359_11 Depth=1
	v_and_b32_e32 v8, 7, v32
	v_lshrrev_b32_e32 v33, 3, v80
	s_mov_b32 s20, exec_lo
	v_cmpx_gt_u32_e32 8, v80
; %bb.63:                               ;   in Loop: Header=BB359_11 Depth=1
	s_delay_alu instid0(VALU_DEP_3) | instskip(NEXT) | instid1(VALU_DEP_1)
	v_clz_i32_u32_e32 v33, v8
	v_min_u32_e32 v33, 32, v33
	s_delay_alu instid0(VALU_DEP_1) | instskip(SKIP_1) | instid1(VALU_DEP_2)
	v_subrev_nc_u32_e32 v70, 28, v33
	v_sub_nc_u32_e32 v33, 29, v33
	v_lshlrev_b64 v[80:81], v70, v[8:9]
	s_delay_alu instid0(VALU_DEP_1)
	v_and_b32_e32 v8, 7, v80
; %bb.64:                               ;   in Loop: Header=BB359_11 Depth=1
	s_or_b32 exec_lo, exec_lo, s20
	v_lshlrev_b32_e32 v32, 8, v32
	v_lshl_add_u32 v33, v33, 10, 0x2000
	s_delay_alu instid0(VALU_DEP_1) | instskip(NEXT) | instid1(VALU_DEP_1)
	v_and_or_b32 v32, 0x8000, v32, v33
	v_lshl_or_b32 v8, v8, 7, v32
	s_delay_alu instid0(VALU_DEP_1)
	v_cvt_f32_f16_e32 v70, v8
.LBB359_65:                             ;   in Loop: Header=BB359_11 Depth=1
	s_or_b32 exec_lo, exec_lo, s19
.LBB359_66:                             ;   in Loop: Header=BB359_11 Depth=1
	s_delay_alu instid0(SALU_CYCLE_1)
	s_or_b32 exec_lo, exec_lo, s18
.LBB359_67:                             ;   in Loop: Header=BB359_11 Depth=1
	s_delay_alu instid0(SALU_CYCLE_1)
	s_or_b32 exec_lo, exec_lo, s17
	v_dual_mov_b32 v81, 0 :: v_dual_mov_b32 v80, 0
	s_mov_b32 s17, exec_lo
	v_cmpx_lt_u64_e64 s[2:3], v[30:31]
	s_cbranch_execz .LBB359_75
; %bb.68:                               ;   in Loop: Header=BB359_11 Depth=1
	v_lshrrev_b32_e32 v30, 24, v31
	v_bfrev_b32_e32 v80, 1
	s_mov_b32 s18, exec_lo
	s_delay_alu instid0(VALU_DEP_2)
	v_cmpx_ne_u32_e32 0x80, v30
	s_cbranch_execz .LBB359_74
; %bb.69:                               ;   in Loop: Header=BB359_11 Depth=1
	v_and_b32_e32 v32, 0x7f, v30
	v_mov_b32_e32 v80, 0x7fc02000
	s_mov_b32 s19, exec_lo
	s_delay_alu instid0(VALU_DEP_2)
	v_cmpx_ne_u32_e32 0x7f, v32
	s_cbranch_execz .LBB359_73
; %bb.70:                               ;   in Loop: Header=BB359_11 Depth=1
	v_and_b32_e32 v8, 7, v30
	v_lshrrev_b32_e32 v31, 3, v32
	s_mov_b32 s20, exec_lo
	v_cmpx_gt_u32_e32 8, v32
; %bb.71:                               ;   in Loop: Header=BB359_11 Depth=1
	s_delay_alu instid0(VALU_DEP_3) | instskip(NEXT) | instid1(VALU_DEP_1)
	v_clz_i32_u32_e32 v31, v8
	v_min_u32_e32 v31, 32, v31
	s_delay_alu instid0(VALU_DEP_1) | instskip(SKIP_1) | instid1(VALU_DEP_2)
	v_subrev_nc_u32_e32 v32, 28, v31
	v_sub_nc_u32_e32 v31, 29, v31
	v_lshlrev_b64 v[32:33], v32, v[8:9]
	s_delay_alu instid0(VALU_DEP_1)
	v_and_b32_e32 v8, 7, v32
; %bb.72:                               ;   in Loop: Header=BB359_11 Depth=1
	s_or_b32 exec_lo, exec_lo, s20
	v_lshlrev_b32_e32 v30, 8, v30
	v_lshl_add_u32 v31, v31, 10, 0x2000
	s_delay_alu instid0(VALU_DEP_1) | instskip(NEXT) | instid1(VALU_DEP_1)
	v_and_or_b32 v30, 0x8000, v30, v31
	v_lshl_or_b32 v8, v8, 7, v30
	s_delay_alu instid0(VALU_DEP_1)
	v_cvt_f32_f16_e32 v80, v8
.LBB359_73:                             ;   in Loop: Header=BB359_11 Depth=1
	s_or_b32 exec_lo, exec_lo, s19
.LBB359_74:                             ;   in Loop: Header=BB359_11 Depth=1
	s_delay_alu instid0(SALU_CYCLE_1)
	s_or_b32 exec_lo, exec_lo, s18
.LBB359_75:                             ;   in Loop: Header=BB359_11 Depth=1
	s_delay_alu instid0(SALU_CYCLE_1) | instskip(SKIP_4) | instid1(VALU_DEP_1)
	s_or_b32 exec_lo, exec_lo, s17
	flat_load_b64 v[30:31], v[28:29] offset:8
	s_mov_b32 s17, exec_lo
	s_waitcnt vmcnt(0) lgkmcnt(0)
	v_and_b32_e32 v8, 0xff, v30
	v_cmpx_ne_u16_e32 0, v8
	s_cbranch_execz .LBB359_83
; %bb.76:                               ;   in Loop: Header=BB359_11 Depth=1
	v_bfrev_b32_e32 v81, 1
	s_mov_b32 s18, exec_lo
	v_cmpx_ne_u16_e32 0x80, v8
	s_cbranch_execz .LBB359_82
; %bb.77:                               ;   in Loop: Header=BB359_11 Depth=1
	v_and_b32_e32 v32, 0x7f, v30
	v_mov_b32_e32 v81, 0x7fc02000
	s_mov_b32 s19, exec_lo
	s_delay_alu instid0(VALU_DEP_2)
	v_cmpx_ne_u32_e32 0x7f, v32
	s_cbranch_execz .LBB359_81
; %bb.78:                               ;   in Loop: Header=BB359_11 Depth=1
	v_lshrrev_b32_e32 v8, 3, v32
	v_cmp_gt_u32_e64 s1, 8, v32
	v_dual_mov_b32 v33, v31 :: v_dual_mov_b32 v32, v30
	s_delay_alu instid0(VALU_DEP_2)
	s_and_saveexec_b32 s20, s1
; %bb.79:                               ;   in Loop: Header=BB359_11 Depth=1
	v_and_b32_e32 v8, 7, v30
	s_delay_alu instid0(VALU_DEP_1) | instskip(NEXT) | instid1(VALU_DEP_1)
	v_clz_i32_u32_e32 v8, v8
	v_min_u32_e32 v8, 32, v8
	s_delay_alu instid0(VALU_DEP_1) | instskip(SKIP_1) | instid1(VALU_DEP_2)
	v_subrev_nc_u32_e32 v32, 28, v8
	v_sub_nc_u32_e32 v8, 29, v8
	v_lshlrev_b64 v[32:33], v32, v[30:31]
; %bb.80:                               ;   in Loop: Header=BB359_11 Depth=1
	s_or_b32 exec_lo, exec_lo, s20
	v_lshlrev_b32_e32 v33, 8, v30
	s_delay_alu instid0(VALU_DEP_3) | instskip(NEXT) | instid1(VALU_DEP_3)
	v_lshl_add_u32 v8, v8, 10, 0x2000
	v_lshlrev_b32_e32 v32, 7, v32
	s_delay_alu instid0(VALU_DEP_2) | instskip(NEXT) | instid1(VALU_DEP_1)
	v_and_or_b32 v8, 0x8000, v33, v8
	v_and_or_b32 v8, 0x380, v32, v8
	s_delay_alu instid0(VALU_DEP_1)
	v_cvt_f32_f16_e32 v81, v8
.LBB359_81:                             ;   in Loop: Header=BB359_11 Depth=1
	s_or_b32 exec_lo, exec_lo, s19
.LBB359_82:                             ;   in Loop: Header=BB359_11 Depth=1
	s_delay_alu instid0(SALU_CYCLE_1)
	s_or_b32 exec_lo, exec_lo, s18
.LBB359_83:                             ;   in Loop: Header=BB359_11 Depth=1
	s_delay_alu instid0(SALU_CYCLE_1) | instskip(SKIP_3) | instid1(VALU_DEP_2)
	s_or_b32 exec_lo, exec_lo, s17
	v_lshrrev_b16 v8, 8, v30
	v_dual_mov_b32 v82, 0 :: v_dual_mov_b32 v83, 0
	s_mov_b32 s17, exec_lo
	v_cmpx_ne_u16_e32 0, v8
	s_cbranch_execz .LBB359_91
; %bb.84:                               ;   in Loop: Header=BB359_11 Depth=1
	v_bfrev_b32_e32 v83, 1
	s_mov_b32 s18, exec_lo
	v_cmpx_ne_u16_e32 0x80, v8
	s_cbranch_execz .LBB359_90
; %bb.85:                               ;   in Loop: Header=BB359_11 Depth=1
	v_and_b32_e32 v32, 0xffff, v8
	v_mov_b32_e32 v83, 0x7fc02000
	s_mov_b32 s19, exec_lo
	s_delay_alu instid0(VALU_DEP_2) | instskip(NEXT) | instid1(VALU_DEP_1)
	v_and_b32_e32 v84, 0x7f, v32
	v_cmpx_ne_u32_e32 0x7f, v84
	s_cbranch_execz .LBB359_89
; %bb.86:                               ;   in Loop: Header=BB359_11 Depth=1
	v_and_b32_e32 v8, 7, v32
	v_lshrrev_b32_e32 v33, 3, v84
	s_mov_b32 s20, exec_lo
	v_cmpx_gt_u32_e32 8, v84
; %bb.87:                               ;   in Loop: Header=BB359_11 Depth=1
	s_delay_alu instid0(VALU_DEP_3) | instskip(NEXT) | instid1(VALU_DEP_1)
	v_clz_i32_u32_e32 v33, v8
	v_min_u32_e32 v33, 32, v33
	s_delay_alu instid0(VALU_DEP_1) | instskip(SKIP_1) | instid1(VALU_DEP_2)
	v_subrev_nc_u32_e32 v83, 28, v33
	v_sub_nc_u32_e32 v33, 29, v33
	v_lshlrev_b64 v[83:84], v83, v[8:9]
	s_delay_alu instid0(VALU_DEP_1)
	v_and_b32_e32 v8, 7, v83
; %bb.88:                               ;   in Loop: Header=BB359_11 Depth=1
	s_or_b32 exec_lo, exec_lo, s20
	v_lshlrev_b32_e32 v32, 8, v32
	v_lshl_add_u32 v33, v33, 10, 0x2000
	s_delay_alu instid0(VALU_DEP_1) | instskip(NEXT) | instid1(VALU_DEP_1)
	v_and_or_b32 v32, 0x8000, v32, v33
	v_lshl_or_b32 v8, v8, 7, v32
	s_delay_alu instid0(VALU_DEP_1)
	v_cvt_f32_f16_e32 v83, v8
.LBB359_89:                             ;   in Loop: Header=BB359_11 Depth=1
	s_or_b32 exec_lo, exec_lo, s19
.LBB359_90:                             ;   in Loop: Header=BB359_11 Depth=1
	s_delay_alu instid0(SALU_CYCLE_1)
	s_or_b32 exec_lo, exec_lo, s18
.LBB359_91:                             ;   in Loop: Header=BB359_11 Depth=1
	s_delay_alu instid0(SALU_CYCLE_1) | instskip(SKIP_2) | instid1(VALU_DEP_1)
	s_or_b32 exec_lo, exec_lo, s17
	v_lshrrev_b32_e32 v32, 16, v30
	s_mov_b32 s17, exec_lo
	v_and_b32_e32 v8, 0xff, v32
	s_delay_alu instid0(VALU_DEP_1)
	v_cmpx_ne_u16_e32 0, v8
	s_cbranch_execz .LBB359_99
; %bb.92:                               ;   in Loop: Header=BB359_11 Depth=1
	v_bfrev_b32_e32 v82, 1
	s_mov_b32 s18, exec_lo
	v_cmpx_ne_u16_e32 0x80, v8
	s_cbranch_execz .LBB359_98
; %bb.93:                               ;   in Loop: Header=BB359_11 Depth=1
	v_bfe_u32 v84, v30, 16, 7
	v_mov_b32_e32 v82, 0x7fc02000
	s_mov_b32 s19, exec_lo
	s_delay_alu instid0(VALU_DEP_2)
	v_cmpx_ne_u32_e32 0x7f, v84
	s_cbranch_execz .LBB359_97
; %bb.94:                               ;   in Loop: Header=BB359_11 Depth=1
	v_and_b32_e32 v8, 7, v32
	v_lshrrev_b32_e32 v33, 3, v84
	s_mov_b32 s20, exec_lo
	v_cmpx_gt_u32_e32 8, v84
; %bb.95:                               ;   in Loop: Header=BB359_11 Depth=1
	s_delay_alu instid0(VALU_DEP_3) | instskip(NEXT) | instid1(VALU_DEP_1)
	v_clz_i32_u32_e32 v33, v8
	v_min_u32_e32 v33, 32, v33
	s_delay_alu instid0(VALU_DEP_1) | instskip(SKIP_1) | instid1(VALU_DEP_2)
	v_subrev_nc_u32_e32 v82, 28, v33
	v_sub_nc_u32_e32 v33, 29, v33
	v_lshlrev_b64 v[84:85], v82, v[8:9]
	s_delay_alu instid0(VALU_DEP_1)
	v_and_b32_e32 v8, 7, v84
; %bb.96:                               ;   in Loop: Header=BB359_11 Depth=1
	s_or_b32 exec_lo, exec_lo, s20
	v_lshlrev_b32_e32 v32, 8, v32
	v_lshl_add_u32 v33, v33, 10, 0x2000
	s_delay_alu instid0(VALU_DEP_1) | instskip(NEXT) | instid1(VALU_DEP_1)
	v_and_or_b32 v32, 0x8000, v32, v33
	v_lshl_or_b32 v8, v8, 7, v32
	s_delay_alu instid0(VALU_DEP_1)
	v_cvt_f32_f16_e32 v82, v8
.LBB359_97:                             ;   in Loop: Header=BB359_11 Depth=1
	s_or_b32 exec_lo, exec_lo, s19
.LBB359_98:                             ;   in Loop: Header=BB359_11 Depth=1
	s_delay_alu instid0(SALU_CYCLE_1)
	s_or_b32 exec_lo, exec_lo, s18
.LBB359_99:                             ;   in Loop: Header=BB359_11 Depth=1
	s_delay_alu instid0(SALU_CYCLE_1)
	s_or_b32 exec_lo, exec_lo, s17
	v_dual_mov_b32 v84, 0 :: v_dual_mov_b32 v85, 0
	s_mov_b32 s17, exec_lo
	v_cmpx_lt_u32_e32 0xffffff, v30
	s_cbranch_execz .LBB359_107
; %bb.100:                              ;   in Loop: Header=BB359_11 Depth=1
	v_lshrrev_b32_e32 v32, 24, v30
	v_bfrev_b32_e32 v85, 1
	s_mov_b32 s18, exec_lo
	s_delay_alu instid0(VALU_DEP_2)
	v_cmpx_ne_u32_e32 0x80, v32
	s_cbranch_execz .LBB359_106
; %bb.101:                              ;   in Loop: Header=BB359_11 Depth=1
	v_and_b32_e32 v86, 0x7f, v32
	v_mov_b32_e32 v85, 0x7fc02000
	s_mov_b32 s19, exec_lo
	s_delay_alu instid0(VALU_DEP_2)
	v_cmpx_ne_u32_e32 0x7f, v86
	s_cbranch_execz .LBB359_105
; %bb.102:                              ;   in Loop: Header=BB359_11 Depth=1
	v_and_b32_e32 v8, 7, v32
	v_lshrrev_b32_e32 v33, 3, v86
	s_mov_b32 s20, exec_lo
	v_cmpx_gt_u32_e32 8, v86
; %bb.103:                              ;   in Loop: Header=BB359_11 Depth=1
	s_delay_alu instid0(VALU_DEP_3) | instskip(NEXT) | instid1(VALU_DEP_1)
	v_clz_i32_u32_e32 v33, v8
	v_min_u32_e32 v33, 32, v33
	s_delay_alu instid0(VALU_DEP_1) | instskip(SKIP_1) | instid1(VALU_DEP_2)
	v_subrev_nc_u32_e32 v85, 28, v33
	v_sub_nc_u32_e32 v33, 29, v33
	v_lshlrev_b64 v[85:86], v85, v[8:9]
	s_delay_alu instid0(VALU_DEP_1)
	v_and_b32_e32 v8, 7, v85
; %bb.104:                              ;   in Loop: Header=BB359_11 Depth=1
	s_or_b32 exec_lo, exec_lo, s20
	v_lshlrev_b32_e32 v32, 8, v32
	v_lshl_add_u32 v33, v33, 10, 0x2000
	s_delay_alu instid0(VALU_DEP_1) | instskip(NEXT) | instid1(VALU_DEP_1)
	v_and_or_b32 v32, 0x8000, v32, v33
	v_lshl_or_b32 v8, v8, 7, v32
	s_delay_alu instid0(VALU_DEP_1)
	v_cvt_f32_f16_e32 v85, v8
.LBB359_105:                            ;   in Loop: Header=BB359_11 Depth=1
	s_or_b32 exec_lo, exec_lo, s19
.LBB359_106:                            ;   in Loop: Header=BB359_11 Depth=1
	s_delay_alu instid0(SALU_CYCLE_1)
	s_or_b32 exec_lo, exec_lo, s18
.LBB359_107:                            ;   in Loop: Header=BB359_11 Depth=1
	s_delay_alu instid0(SALU_CYCLE_1) | instskip(SKIP_3) | instid1(VALU_DEP_2)
	s_or_b32 exec_lo, exec_lo, s17
	v_and_b32_e32 v32, 0xff, v31
	v_mov_b32_e32 v8, v31
	s_mov_b32 s17, exec_lo
	v_cmpx_ne_u16_e32 0, v32
	s_cbranch_execz .LBB359_115
; %bb.108:                              ;   in Loop: Header=BB359_11 Depth=1
	v_bfrev_b32_e32 v84, 1
	s_mov_b32 s18, exec_lo
	v_cmpx_ne_u16_e32 0x80, v32
	s_cbranch_execz .LBB359_114
; %bb.109:                              ;   in Loop: Header=BB359_11 Depth=1
	v_and_b32_e32 v32, 0x7f, v31
	v_mov_b32_e32 v84, 0x7fc02000
	s_mov_b32 s19, exec_lo
	s_delay_alu instid0(VALU_DEP_2)
	v_cmpx_ne_u32_e32 0x7f, v32
	s_cbranch_execz .LBB359_113
; %bb.110:                              ;   in Loop: Header=BB359_11 Depth=1
	v_lshrrev_b32_e32 v84, 3, v32
	v_cmp_gt_u32_e64 s1, 8, v32
	v_dual_mov_b32 v33, v9 :: v_dual_mov_b32 v32, v8
	s_delay_alu instid0(VALU_DEP_2)
	s_and_saveexec_b32 s20, s1
; %bb.111:                              ;   in Loop: Header=BB359_11 Depth=1
	v_and_b32_e32 v32, 7, v31
	s_delay_alu instid0(VALU_DEP_1) | instskip(NEXT) | instid1(VALU_DEP_1)
	v_clz_i32_u32_e32 v32, v32
	v_min_u32_e32 v84, 32, v32
	s_delay_alu instid0(VALU_DEP_1) | instskip(SKIP_1) | instid1(VALU_DEP_2)
	v_subrev_nc_u32_e32 v32, 28, v84
	v_sub_nc_u32_e32 v84, 29, v84
	v_lshlrev_b64 v[32:33], v32, v[8:9]
; %bb.112:                              ;   in Loop: Header=BB359_11 Depth=1
	s_or_b32 exec_lo, exec_lo, s20
	v_lshlrev_b32_e32 v33, 8, v31
	s_delay_alu instid0(VALU_DEP_3) | instskip(NEXT) | instid1(VALU_DEP_3)
	v_lshl_add_u32 v84, v84, 10, 0x2000
	v_lshlrev_b32_e32 v32, 7, v32
	s_delay_alu instid0(VALU_DEP_2) | instskip(NEXT) | instid1(VALU_DEP_1)
	v_and_or_b32 v33, 0x8000, v33, v84
	v_and_or_b32 v32, 0x380, v32, v33
	s_delay_alu instid0(VALU_DEP_1)
	v_cvt_f32_f16_e32 v84, v32
.LBB359_113:                            ;   in Loop: Header=BB359_11 Depth=1
	s_or_b32 exec_lo, exec_lo, s19
.LBB359_114:                            ;   in Loop: Header=BB359_11 Depth=1
	s_delay_alu instid0(SALU_CYCLE_1)
	s_or_b32 exec_lo, exec_lo, s18
.LBB359_115:                            ;   in Loop: Header=BB359_11 Depth=1
	s_delay_alu instid0(SALU_CYCLE_1) | instskip(SKIP_3) | instid1(VALU_DEP_2)
	s_or_b32 exec_lo, exec_lo, s17
	v_lshrrev_b16 v8, 8, v8
	v_dual_mov_b32 v86, 0 :: v_dual_mov_b32 v87, 0
	s_mov_b32 s17, exec_lo
	v_cmpx_ne_u16_e32 0, v8
	s_cbranch_execz .LBB359_123
; %bb.116:                              ;   in Loop: Header=BB359_11 Depth=1
	v_bfrev_b32_e32 v87, 1
	s_mov_b32 s18, exec_lo
	v_cmpx_ne_u16_e32 0x80, v8
	s_cbranch_execz .LBB359_122
; %bb.117:                              ;   in Loop: Header=BB359_11 Depth=1
	v_and_b32_e32 v32, 0xffff, v8
	v_mov_b32_e32 v87, 0x7fc02000
	s_mov_b32 s19, exec_lo
	s_delay_alu instid0(VALU_DEP_2) | instskip(NEXT) | instid1(VALU_DEP_1)
	v_and_b32_e32 v96, 0x7f, v32
	v_cmpx_ne_u32_e32 0x7f, v96
	s_cbranch_execz .LBB359_121
; %bb.118:                              ;   in Loop: Header=BB359_11 Depth=1
	v_and_b32_e32 v8, 7, v32
	v_lshrrev_b32_e32 v33, 3, v96
	s_mov_b32 s20, exec_lo
	v_cmpx_gt_u32_e32 8, v96
; %bb.119:                              ;   in Loop: Header=BB359_11 Depth=1
	s_delay_alu instid0(VALU_DEP_3) | instskip(NEXT) | instid1(VALU_DEP_1)
	v_clz_i32_u32_e32 v33, v8
	v_min_u32_e32 v33, 32, v33
	s_delay_alu instid0(VALU_DEP_1) | instskip(SKIP_1) | instid1(VALU_DEP_2)
	v_subrev_nc_u32_e32 v87, 28, v33
	v_sub_nc_u32_e32 v33, 29, v33
	v_lshlrev_b64 v[96:97], v87, v[8:9]
	s_delay_alu instid0(VALU_DEP_1)
	v_and_b32_e32 v8, 7, v96
; %bb.120:                              ;   in Loop: Header=BB359_11 Depth=1
	s_or_b32 exec_lo, exec_lo, s20
	v_lshlrev_b32_e32 v32, 8, v32
	v_lshl_add_u32 v33, v33, 10, 0x2000
	s_delay_alu instid0(VALU_DEP_1) | instskip(NEXT) | instid1(VALU_DEP_1)
	v_and_or_b32 v32, 0x8000, v32, v33
	v_lshl_or_b32 v8, v8, 7, v32
	s_delay_alu instid0(VALU_DEP_1)
	v_cvt_f32_f16_e32 v87, v8
.LBB359_121:                            ;   in Loop: Header=BB359_11 Depth=1
	s_or_b32 exec_lo, exec_lo, s19
.LBB359_122:                            ;   in Loop: Header=BB359_11 Depth=1
	s_delay_alu instid0(SALU_CYCLE_1)
	s_or_b32 exec_lo, exec_lo, s18
.LBB359_123:                            ;   in Loop: Header=BB359_11 Depth=1
	s_delay_alu instid0(SALU_CYCLE_1) | instskip(SKIP_2) | instid1(VALU_DEP_1)
	s_or_b32 exec_lo, exec_lo, s17
	v_lshrrev_b32_e32 v32, 16, v31
	s_mov_b32 s17, exec_lo
	v_and_b32_e32 v8, 0xff, v32
	s_delay_alu instid0(VALU_DEP_1)
	v_cmpx_ne_u16_e32 0, v8
	s_cbranch_execz .LBB359_131
; %bb.124:                              ;   in Loop: Header=BB359_11 Depth=1
	v_bfrev_b32_e32 v86, 1
	s_mov_b32 s18, exec_lo
	v_cmpx_ne_u16_e32 0x80, v8
	s_cbranch_execz .LBB359_130
; %bb.125:                              ;   in Loop: Header=BB359_11 Depth=1
	v_bfe_u32 v96, v31, 16, 7
	v_mov_b32_e32 v86, 0x7fc02000
	s_mov_b32 s19, exec_lo
	s_delay_alu instid0(VALU_DEP_2)
	v_cmpx_ne_u32_e32 0x7f, v96
	s_cbranch_execz .LBB359_129
; %bb.126:                              ;   in Loop: Header=BB359_11 Depth=1
	v_and_b32_e32 v8, 7, v32
	v_lshrrev_b32_e32 v33, 3, v96
	s_mov_b32 s20, exec_lo
	v_cmpx_gt_u32_e32 8, v96
; %bb.127:                              ;   in Loop: Header=BB359_11 Depth=1
	s_delay_alu instid0(VALU_DEP_3) | instskip(NEXT) | instid1(VALU_DEP_1)
	v_clz_i32_u32_e32 v33, v8
	v_min_u32_e32 v33, 32, v33
	s_delay_alu instid0(VALU_DEP_1) | instskip(SKIP_1) | instid1(VALU_DEP_2)
	v_subrev_nc_u32_e32 v86, 28, v33
	v_sub_nc_u32_e32 v33, 29, v33
	v_lshlrev_b64 v[96:97], v86, v[8:9]
	s_delay_alu instid0(VALU_DEP_1)
	v_and_b32_e32 v8, 7, v96
; %bb.128:                              ;   in Loop: Header=BB359_11 Depth=1
	s_or_b32 exec_lo, exec_lo, s20
	v_lshlrev_b32_e32 v32, 8, v32
	v_lshl_add_u32 v33, v33, 10, 0x2000
	s_delay_alu instid0(VALU_DEP_1) | instskip(NEXT) | instid1(VALU_DEP_1)
	v_and_or_b32 v32, 0x8000, v32, v33
	v_lshl_or_b32 v8, v8, 7, v32
	s_delay_alu instid0(VALU_DEP_1)
	v_cvt_f32_f16_e32 v86, v8
.LBB359_129:                            ;   in Loop: Header=BB359_11 Depth=1
	s_or_b32 exec_lo, exec_lo, s19
.LBB359_130:                            ;   in Loop: Header=BB359_11 Depth=1
	s_delay_alu instid0(SALU_CYCLE_1)
	s_or_b32 exec_lo, exec_lo, s18
.LBB359_131:                            ;   in Loop: Header=BB359_11 Depth=1
	s_delay_alu instid0(SALU_CYCLE_1)
	s_or_b32 exec_lo, exec_lo, s17
	v_dual_mov_b32 v97, 0 :: v_dual_mov_b32 v96, 0
	s_mov_b32 s17, exec_lo
	v_cmpx_lt_u64_e64 s[2:3], v[30:31]
	s_cbranch_execz .LBB359_139
; %bb.132:                              ;   in Loop: Header=BB359_11 Depth=1
	v_lshrrev_b32_e32 v30, 24, v31
	v_bfrev_b32_e32 v96, 1
	s_mov_b32 s18, exec_lo
	s_delay_alu instid0(VALU_DEP_2)
	v_cmpx_ne_u32_e32 0x80, v30
	s_cbranch_execz .LBB359_138
; %bb.133:                              ;   in Loop: Header=BB359_11 Depth=1
	v_and_b32_e32 v32, 0x7f, v30
	v_mov_b32_e32 v96, 0x7fc02000
	s_mov_b32 s19, exec_lo
	s_delay_alu instid0(VALU_DEP_2)
	v_cmpx_ne_u32_e32 0x7f, v32
	s_cbranch_execz .LBB359_137
; %bb.134:                              ;   in Loop: Header=BB359_11 Depth=1
	v_and_b32_e32 v8, 7, v30
	v_lshrrev_b32_e32 v31, 3, v32
	s_mov_b32 s20, exec_lo
	v_cmpx_gt_u32_e32 8, v32
; %bb.135:                              ;   in Loop: Header=BB359_11 Depth=1
	s_delay_alu instid0(VALU_DEP_3) | instskip(NEXT) | instid1(VALU_DEP_1)
	v_clz_i32_u32_e32 v31, v8
	v_min_u32_e32 v31, 32, v31
	s_delay_alu instid0(VALU_DEP_1) | instskip(SKIP_1) | instid1(VALU_DEP_2)
	v_subrev_nc_u32_e32 v32, 28, v31
	v_sub_nc_u32_e32 v31, 29, v31
	v_lshlrev_b64 v[32:33], v32, v[8:9]
	s_delay_alu instid0(VALU_DEP_1)
	v_and_b32_e32 v8, 7, v32
; %bb.136:                              ;   in Loop: Header=BB359_11 Depth=1
	s_or_b32 exec_lo, exec_lo, s20
	v_lshlrev_b32_e32 v30, 8, v30
	v_lshl_add_u32 v31, v31, 10, 0x2000
	s_delay_alu instid0(VALU_DEP_1) | instskip(NEXT) | instid1(VALU_DEP_1)
	v_and_or_b32 v30, 0x8000, v30, v31
	v_lshl_or_b32 v8, v8, 7, v30
	s_delay_alu instid0(VALU_DEP_1)
	v_cvt_f32_f16_e32 v96, v8
.LBB359_137:                            ;   in Loop: Header=BB359_11 Depth=1
	s_or_b32 exec_lo, exec_lo, s19
.LBB359_138:                            ;   in Loop: Header=BB359_11 Depth=1
	s_delay_alu instid0(SALU_CYCLE_1)
	s_or_b32 exec_lo, exec_lo, s18
.LBB359_139:                            ;   in Loop: Header=BB359_11 Depth=1
	s_delay_alu instid0(SALU_CYCLE_1) | instskip(SKIP_4) | instid1(VALU_DEP_1)
	s_or_b32 exec_lo, exec_lo, s17
	flat_load_b64 v[30:31], v[28:29] offset:512
	s_mov_b32 s17, exec_lo
	s_waitcnt vmcnt(0) lgkmcnt(0)
	v_and_b32_e32 v8, 0xff, v30
	v_cmpx_ne_u16_e32 0, v8
	s_cbranch_execz .LBB359_147
; %bb.140:                              ;   in Loop: Header=BB359_11 Depth=1
	v_bfrev_b32_e32 v97, 1
	s_mov_b32 s18, exec_lo
	v_cmpx_ne_u16_e32 0x80, v8
	s_cbranch_execz .LBB359_146
; %bb.141:                              ;   in Loop: Header=BB359_11 Depth=1
	v_and_b32_e32 v32, 0x7f, v30
	v_mov_b32_e32 v97, 0x7fc02000
	s_mov_b32 s19, exec_lo
	s_delay_alu instid0(VALU_DEP_2)
	v_cmpx_ne_u32_e32 0x7f, v32
	s_cbranch_execz .LBB359_145
; %bb.142:                              ;   in Loop: Header=BB359_11 Depth=1
	v_lshrrev_b32_e32 v8, 3, v32
	v_cmp_gt_u32_e64 s1, 8, v32
	v_dual_mov_b32 v33, v31 :: v_dual_mov_b32 v32, v30
	s_delay_alu instid0(VALU_DEP_2)
	s_and_saveexec_b32 s20, s1
; %bb.143:                              ;   in Loop: Header=BB359_11 Depth=1
	v_and_b32_e32 v8, 7, v30
	s_delay_alu instid0(VALU_DEP_1) | instskip(NEXT) | instid1(VALU_DEP_1)
	v_clz_i32_u32_e32 v8, v8
	v_min_u32_e32 v8, 32, v8
	s_delay_alu instid0(VALU_DEP_1) | instskip(SKIP_1) | instid1(VALU_DEP_2)
	v_subrev_nc_u32_e32 v32, 28, v8
	v_sub_nc_u32_e32 v8, 29, v8
	v_lshlrev_b64 v[32:33], v32, v[30:31]
; %bb.144:                              ;   in Loop: Header=BB359_11 Depth=1
	s_or_b32 exec_lo, exec_lo, s20
	v_lshlrev_b32_e32 v33, 8, v30
	s_delay_alu instid0(VALU_DEP_3) | instskip(NEXT) | instid1(VALU_DEP_3)
	v_lshl_add_u32 v8, v8, 10, 0x2000
	v_lshlrev_b32_e32 v32, 7, v32
	s_delay_alu instid0(VALU_DEP_2) | instskip(NEXT) | instid1(VALU_DEP_1)
	v_and_or_b32 v8, 0x8000, v33, v8
	v_and_or_b32 v8, 0x380, v32, v8
	s_delay_alu instid0(VALU_DEP_1)
	v_cvt_f32_f16_e32 v97, v8
.LBB359_145:                            ;   in Loop: Header=BB359_11 Depth=1
	s_or_b32 exec_lo, exec_lo, s19
.LBB359_146:                            ;   in Loop: Header=BB359_11 Depth=1
	s_delay_alu instid0(SALU_CYCLE_1)
	s_or_b32 exec_lo, exec_lo, s18
.LBB359_147:                            ;   in Loop: Header=BB359_11 Depth=1
	s_delay_alu instid0(SALU_CYCLE_1) | instskip(SKIP_3) | instid1(VALU_DEP_2)
	s_or_b32 exec_lo, exec_lo, s17
	v_lshrrev_b16 v8, 8, v30
	v_dual_mov_b32 v98, 0 :: v_dual_mov_b32 v99, 0
	s_mov_b32 s17, exec_lo
	v_cmpx_ne_u16_e32 0, v8
	s_cbranch_execz .LBB359_155
; %bb.148:                              ;   in Loop: Header=BB359_11 Depth=1
	v_bfrev_b32_e32 v99, 1
	s_mov_b32 s18, exec_lo
	v_cmpx_ne_u16_e32 0x80, v8
	s_cbranch_execz .LBB359_154
; %bb.149:                              ;   in Loop: Header=BB359_11 Depth=1
	v_and_b32_e32 v32, 0xffff, v8
	v_mov_b32_e32 v99, 0x7fc02000
	s_mov_b32 s19, exec_lo
	s_delay_alu instid0(VALU_DEP_2) | instskip(NEXT) | instid1(VALU_DEP_1)
	v_and_b32_e32 v100, 0x7f, v32
	v_cmpx_ne_u32_e32 0x7f, v100
	s_cbranch_execz .LBB359_153
; %bb.150:                              ;   in Loop: Header=BB359_11 Depth=1
	v_and_b32_e32 v8, 7, v32
	v_lshrrev_b32_e32 v33, 3, v100
	s_mov_b32 s20, exec_lo
	v_cmpx_gt_u32_e32 8, v100
; %bb.151:                              ;   in Loop: Header=BB359_11 Depth=1
	s_delay_alu instid0(VALU_DEP_3) | instskip(NEXT) | instid1(VALU_DEP_1)
	v_clz_i32_u32_e32 v33, v8
	v_min_u32_e32 v33, 32, v33
	s_delay_alu instid0(VALU_DEP_1) | instskip(SKIP_1) | instid1(VALU_DEP_2)
	v_subrev_nc_u32_e32 v99, 28, v33
	v_sub_nc_u32_e32 v33, 29, v33
	v_lshlrev_b64 v[99:100], v99, v[8:9]
	s_delay_alu instid0(VALU_DEP_1)
	v_and_b32_e32 v8, 7, v99
; %bb.152:                              ;   in Loop: Header=BB359_11 Depth=1
	s_or_b32 exec_lo, exec_lo, s20
	v_lshlrev_b32_e32 v32, 8, v32
	v_lshl_add_u32 v33, v33, 10, 0x2000
	s_delay_alu instid0(VALU_DEP_1) | instskip(NEXT) | instid1(VALU_DEP_1)
	v_and_or_b32 v32, 0x8000, v32, v33
	v_lshl_or_b32 v8, v8, 7, v32
	s_delay_alu instid0(VALU_DEP_1)
	v_cvt_f32_f16_e32 v99, v8
.LBB359_153:                            ;   in Loop: Header=BB359_11 Depth=1
	s_or_b32 exec_lo, exec_lo, s19
.LBB359_154:                            ;   in Loop: Header=BB359_11 Depth=1
	s_delay_alu instid0(SALU_CYCLE_1)
	s_or_b32 exec_lo, exec_lo, s18
.LBB359_155:                            ;   in Loop: Header=BB359_11 Depth=1
	s_delay_alu instid0(SALU_CYCLE_1) | instskip(SKIP_2) | instid1(VALU_DEP_1)
	s_or_b32 exec_lo, exec_lo, s17
	v_lshrrev_b32_e32 v32, 16, v30
	s_mov_b32 s17, exec_lo
	v_and_b32_e32 v8, 0xff, v32
	s_delay_alu instid0(VALU_DEP_1)
	v_cmpx_ne_u16_e32 0, v8
	s_cbranch_execz .LBB359_163
; %bb.156:                              ;   in Loop: Header=BB359_11 Depth=1
	v_bfrev_b32_e32 v98, 1
	s_mov_b32 s18, exec_lo
	v_cmpx_ne_u16_e32 0x80, v8
	s_cbranch_execz .LBB359_162
; %bb.157:                              ;   in Loop: Header=BB359_11 Depth=1
	v_bfe_u32 v100, v30, 16, 7
	v_mov_b32_e32 v98, 0x7fc02000
	s_mov_b32 s19, exec_lo
	s_delay_alu instid0(VALU_DEP_2)
	v_cmpx_ne_u32_e32 0x7f, v100
	s_cbranch_execz .LBB359_161
; %bb.158:                              ;   in Loop: Header=BB359_11 Depth=1
	v_and_b32_e32 v8, 7, v32
	v_lshrrev_b32_e32 v33, 3, v100
	s_mov_b32 s20, exec_lo
	v_cmpx_gt_u32_e32 8, v100
; %bb.159:                              ;   in Loop: Header=BB359_11 Depth=1
	s_delay_alu instid0(VALU_DEP_3) | instskip(NEXT) | instid1(VALU_DEP_1)
	v_clz_i32_u32_e32 v33, v8
	v_min_u32_e32 v33, 32, v33
	s_delay_alu instid0(VALU_DEP_1) | instskip(SKIP_1) | instid1(VALU_DEP_2)
	v_subrev_nc_u32_e32 v98, 28, v33
	v_sub_nc_u32_e32 v33, 29, v33
	v_lshlrev_b64 v[100:101], v98, v[8:9]
	s_delay_alu instid0(VALU_DEP_1)
	v_and_b32_e32 v8, 7, v100
; %bb.160:                              ;   in Loop: Header=BB359_11 Depth=1
	s_or_b32 exec_lo, exec_lo, s20
	v_lshlrev_b32_e32 v32, 8, v32
	v_lshl_add_u32 v33, v33, 10, 0x2000
	s_delay_alu instid0(VALU_DEP_1) | instskip(NEXT) | instid1(VALU_DEP_1)
	v_and_or_b32 v32, 0x8000, v32, v33
	v_lshl_or_b32 v8, v8, 7, v32
	s_delay_alu instid0(VALU_DEP_1)
	v_cvt_f32_f16_e32 v98, v8
.LBB359_161:                            ;   in Loop: Header=BB359_11 Depth=1
	s_or_b32 exec_lo, exec_lo, s19
.LBB359_162:                            ;   in Loop: Header=BB359_11 Depth=1
	s_delay_alu instid0(SALU_CYCLE_1)
	s_or_b32 exec_lo, exec_lo, s18
.LBB359_163:                            ;   in Loop: Header=BB359_11 Depth=1
	s_delay_alu instid0(SALU_CYCLE_1)
	s_or_b32 exec_lo, exec_lo, s17
	v_dual_mov_b32 v100, 0 :: v_dual_mov_b32 v101, 0
	s_mov_b32 s17, exec_lo
	v_cmpx_lt_u32_e32 0xffffff, v30
	s_cbranch_execz .LBB359_171
; %bb.164:                              ;   in Loop: Header=BB359_11 Depth=1
	v_lshrrev_b32_e32 v32, 24, v30
	v_bfrev_b32_e32 v101, 1
	s_mov_b32 s18, exec_lo
	s_delay_alu instid0(VALU_DEP_2)
	v_cmpx_ne_u32_e32 0x80, v32
	s_cbranch_execz .LBB359_170
; %bb.165:                              ;   in Loop: Header=BB359_11 Depth=1
	v_and_b32_e32 v102, 0x7f, v32
	v_mov_b32_e32 v101, 0x7fc02000
	s_mov_b32 s19, exec_lo
	s_delay_alu instid0(VALU_DEP_2)
	v_cmpx_ne_u32_e32 0x7f, v102
	s_cbranch_execz .LBB359_169
; %bb.166:                              ;   in Loop: Header=BB359_11 Depth=1
	v_and_b32_e32 v8, 7, v32
	v_lshrrev_b32_e32 v33, 3, v102
	s_mov_b32 s20, exec_lo
	v_cmpx_gt_u32_e32 8, v102
; %bb.167:                              ;   in Loop: Header=BB359_11 Depth=1
	s_delay_alu instid0(VALU_DEP_3) | instskip(NEXT) | instid1(VALU_DEP_1)
	v_clz_i32_u32_e32 v33, v8
	v_min_u32_e32 v33, 32, v33
	s_delay_alu instid0(VALU_DEP_1) | instskip(SKIP_1) | instid1(VALU_DEP_2)
	v_subrev_nc_u32_e32 v101, 28, v33
	v_sub_nc_u32_e32 v33, 29, v33
	v_lshlrev_b64 v[101:102], v101, v[8:9]
	s_delay_alu instid0(VALU_DEP_1)
	v_and_b32_e32 v8, 7, v101
; %bb.168:                              ;   in Loop: Header=BB359_11 Depth=1
	s_or_b32 exec_lo, exec_lo, s20
	v_lshlrev_b32_e32 v32, 8, v32
	v_lshl_add_u32 v33, v33, 10, 0x2000
	s_delay_alu instid0(VALU_DEP_1) | instskip(NEXT) | instid1(VALU_DEP_1)
	v_and_or_b32 v32, 0x8000, v32, v33
	v_lshl_or_b32 v8, v8, 7, v32
	s_delay_alu instid0(VALU_DEP_1)
	v_cvt_f32_f16_e32 v101, v8
.LBB359_169:                            ;   in Loop: Header=BB359_11 Depth=1
	s_or_b32 exec_lo, exec_lo, s19
.LBB359_170:                            ;   in Loop: Header=BB359_11 Depth=1
	s_delay_alu instid0(SALU_CYCLE_1)
	s_or_b32 exec_lo, exec_lo, s18
.LBB359_171:                            ;   in Loop: Header=BB359_11 Depth=1
	s_delay_alu instid0(SALU_CYCLE_1) | instskip(SKIP_3) | instid1(VALU_DEP_2)
	s_or_b32 exec_lo, exec_lo, s17
	v_and_b32_e32 v32, 0xff, v31
	v_mov_b32_e32 v8, v31
	s_mov_b32 s17, exec_lo
	v_cmpx_ne_u16_e32 0, v32
	s_cbranch_execz .LBB359_179
; %bb.172:                              ;   in Loop: Header=BB359_11 Depth=1
	v_bfrev_b32_e32 v100, 1
	s_mov_b32 s18, exec_lo
	v_cmpx_ne_u16_e32 0x80, v32
	s_cbranch_execz .LBB359_178
; %bb.173:                              ;   in Loop: Header=BB359_11 Depth=1
	v_and_b32_e32 v32, 0x7f, v31
	v_mov_b32_e32 v100, 0x7fc02000
	s_mov_b32 s19, exec_lo
	s_delay_alu instid0(VALU_DEP_2)
	v_cmpx_ne_u32_e32 0x7f, v32
	s_cbranch_execz .LBB359_177
; %bb.174:                              ;   in Loop: Header=BB359_11 Depth=1
	v_lshrrev_b32_e32 v100, 3, v32
	v_cmp_gt_u32_e64 s1, 8, v32
	v_dual_mov_b32 v33, v9 :: v_dual_mov_b32 v32, v8
	s_delay_alu instid0(VALU_DEP_2)
	s_and_saveexec_b32 s20, s1
; %bb.175:                              ;   in Loop: Header=BB359_11 Depth=1
	v_and_b32_e32 v32, 7, v31
	s_delay_alu instid0(VALU_DEP_1) | instskip(NEXT) | instid1(VALU_DEP_1)
	v_clz_i32_u32_e32 v32, v32
	v_min_u32_e32 v100, 32, v32
	s_delay_alu instid0(VALU_DEP_1) | instskip(SKIP_1) | instid1(VALU_DEP_2)
	v_subrev_nc_u32_e32 v32, 28, v100
	v_sub_nc_u32_e32 v100, 29, v100
	v_lshlrev_b64 v[32:33], v32, v[8:9]
; %bb.176:                              ;   in Loop: Header=BB359_11 Depth=1
	s_or_b32 exec_lo, exec_lo, s20
	v_lshlrev_b32_e32 v33, 8, v31
	s_delay_alu instid0(VALU_DEP_3) | instskip(NEXT) | instid1(VALU_DEP_3)
	v_lshl_add_u32 v100, v100, 10, 0x2000
	v_lshlrev_b32_e32 v32, 7, v32
	s_delay_alu instid0(VALU_DEP_2) | instskip(NEXT) | instid1(VALU_DEP_1)
	v_and_or_b32 v33, 0x8000, v33, v100
	v_and_or_b32 v32, 0x380, v32, v33
	s_delay_alu instid0(VALU_DEP_1)
	v_cvt_f32_f16_e32 v100, v32
.LBB359_177:                            ;   in Loop: Header=BB359_11 Depth=1
	s_or_b32 exec_lo, exec_lo, s19
.LBB359_178:                            ;   in Loop: Header=BB359_11 Depth=1
	s_delay_alu instid0(SALU_CYCLE_1)
	s_or_b32 exec_lo, exec_lo, s18
.LBB359_179:                            ;   in Loop: Header=BB359_11 Depth=1
	s_delay_alu instid0(SALU_CYCLE_1) | instskip(SKIP_3) | instid1(VALU_DEP_2)
	s_or_b32 exec_lo, exec_lo, s17
	v_lshrrev_b16 v8, 8, v8
	v_dual_mov_b32 v102, 0 :: v_dual_mov_b32 v103, 0
	s_mov_b32 s17, exec_lo
	v_cmpx_ne_u16_e32 0, v8
	s_cbranch_execz .LBB359_187
; %bb.180:                              ;   in Loop: Header=BB359_11 Depth=1
	v_bfrev_b32_e32 v103, 1
	s_mov_b32 s18, exec_lo
	v_cmpx_ne_u16_e32 0x80, v8
	s_cbranch_execz .LBB359_186
; %bb.181:                              ;   in Loop: Header=BB359_11 Depth=1
	v_and_b32_e32 v32, 0xffff, v8
	v_mov_b32_e32 v103, 0x7fc02000
	s_mov_b32 s19, exec_lo
	s_delay_alu instid0(VALU_DEP_2) | instskip(NEXT) | instid1(VALU_DEP_1)
	v_and_b32_e32 v112, 0x7f, v32
	v_cmpx_ne_u32_e32 0x7f, v112
	s_cbranch_execz .LBB359_185
; %bb.182:                              ;   in Loop: Header=BB359_11 Depth=1
	v_and_b32_e32 v8, 7, v32
	v_lshrrev_b32_e32 v33, 3, v112
	s_mov_b32 s20, exec_lo
	v_cmpx_gt_u32_e32 8, v112
; %bb.183:                              ;   in Loop: Header=BB359_11 Depth=1
	s_delay_alu instid0(VALU_DEP_3) | instskip(NEXT) | instid1(VALU_DEP_1)
	v_clz_i32_u32_e32 v33, v8
	v_min_u32_e32 v33, 32, v33
	s_delay_alu instid0(VALU_DEP_1) | instskip(SKIP_1) | instid1(VALU_DEP_2)
	v_subrev_nc_u32_e32 v103, 28, v33
	v_sub_nc_u32_e32 v33, 29, v33
	v_lshlrev_b64 v[112:113], v103, v[8:9]
	s_delay_alu instid0(VALU_DEP_1)
	v_and_b32_e32 v8, 7, v112
; %bb.184:                              ;   in Loop: Header=BB359_11 Depth=1
	s_or_b32 exec_lo, exec_lo, s20
	v_lshlrev_b32_e32 v32, 8, v32
	v_lshl_add_u32 v33, v33, 10, 0x2000
	s_delay_alu instid0(VALU_DEP_1) | instskip(NEXT) | instid1(VALU_DEP_1)
	v_and_or_b32 v32, 0x8000, v32, v33
	v_lshl_or_b32 v8, v8, 7, v32
	s_delay_alu instid0(VALU_DEP_1)
	v_cvt_f32_f16_e32 v103, v8
.LBB359_185:                            ;   in Loop: Header=BB359_11 Depth=1
	s_or_b32 exec_lo, exec_lo, s19
.LBB359_186:                            ;   in Loop: Header=BB359_11 Depth=1
	s_delay_alu instid0(SALU_CYCLE_1)
	s_or_b32 exec_lo, exec_lo, s18
.LBB359_187:                            ;   in Loop: Header=BB359_11 Depth=1
	s_delay_alu instid0(SALU_CYCLE_1) | instskip(SKIP_2) | instid1(VALU_DEP_1)
	s_or_b32 exec_lo, exec_lo, s17
	v_lshrrev_b32_e32 v32, 16, v31
	s_mov_b32 s17, exec_lo
	v_and_b32_e32 v8, 0xff, v32
	s_delay_alu instid0(VALU_DEP_1)
	v_cmpx_ne_u16_e32 0, v8
	s_cbranch_execz .LBB359_195
; %bb.188:                              ;   in Loop: Header=BB359_11 Depth=1
	v_bfrev_b32_e32 v102, 1
	s_mov_b32 s18, exec_lo
	v_cmpx_ne_u16_e32 0x80, v8
	s_cbranch_execz .LBB359_194
; %bb.189:                              ;   in Loop: Header=BB359_11 Depth=1
	v_bfe_u32 v112, v31, 16, 7
	v_mov_b32_e32 v102, 0x7fc02000
	s_mov_b32 s19, exec_lo
	s_delay_alu instid0(VALU_DEP_2)
	v_cmpx_ne_u32_e32 0x7f, v112
	s_cbranch_execz .LBB359_193
; %bb.190:                              ;   in Loop: Header=BB359_11 Depth=1
	v_and_b32_e32 v8, 7, v32
	v_lshrrev_b32_e32 v33, 3, v112
	s_mov_b32 s20, exec_lo
	v_cmpx_gt_u32_e32 8, v112
; %bb.191:                              ;   in Loop: Header=BB359_11 Depth=1
	s_delay_alu instid0(VALU_DEP_3) | instskip(NEXT) | instid1(VALU_DEP_1)
	v_clz_i32_u32_e32 v33, v8
	v_min_u32_e32 v33, 32, v33
	s_delay_alu instid0(VALU_DEP_1) | instskip(SKIP_1) | instid1(VALU_DEP_2)
	v_subrev_nc_u32_e32 v102, 28, v33
	v_sub_nc_u32_e32 v33, 29, v33
	v_lshlrev_b64 v[112:113], v102, v[8:9]
	s_delay_alu instid0(VALU_DEP_1)
	v_and_b32_e32 v8, 7, v112
; %bb.192:                              ;   in Loop: Header=BB359_11 Depth=1
	s_or_b32 exec_lo, exec_lo, s20
	v_lshlrev_b32_e32 v32, 8, v32
	v_lshl_add_u32 v33, v33, 10, 0x2000
	s_delay_alu instid0(VALU_DEP_1) | instskip(NEXT) | instid1(VALU_DEP_1)
	v_and_or_b32 v32, 0x8000, v32, v33
	v_lshl_or_b32 v8, v8, 7, v32
	s_delay_alu instid0(VALU_DEP_1)
	v_cvt_f32_f16_e32 v102, v8
.LBB359_193:                            ;   in Loop: Header=BB359_11 Depth=1
	s_or_b32 exec_lo, exec_lo, s19
.LBB359_194:                            ;   in Loop: Header=BB359_11 Depth=1
	s_delay_alu instid0(SALU_CYCLE_1)
	s_or_b32 exec_lo, exec_lo, s18
.LBB359_195:                            ;   in Loop: Header=BB359_11 Depth=1
	s_delay_alu instid0(SALU_CYCLE_1)
	s_or_b32 exec_lo, exec_lo, s17
	v_dual_mov_b32 v113, 0 :: v_dual_mov_b32 v112, 0
	s_mov_b32 s17, exec_lo
	v_cmpx_lt_u64_e64 s[2:3], v[30:31]
	s_cbranch_execz .LBB359_203
; %bb.196:                              ;   in Loop: Header=BB359_11 Depth=1
	v_lshrrev_b32_e32 v30, 24, v31
	v_bfrev_b32_e32 v112, 1
	s_mov_b32 s18, exec_lo
	s_delay_alu instid0(VALU_DEP_2)
	v_cmpx_ne_u32_e32 0x80, v30
	s_cbranch_execz .LBB359_202
; %bb.197:                              ;   in Loop: Header=BB359_11 Depth=1
	v_and_b32_e32 v32, 0x7f, v30
	v_mov_b32_e32 v112, 0x7fc02000
	s_mov_b32 s19, exec_lo
	s_delay_alu instid0(VALU_DEP_2)
	v_cmpx_ne_u32_e32 0x7f, v32
	s_cbranch_execz .LBB359_201
; %bb.198:                              ;   in Loop: Header=BB359_11 Depth=1
	v_and_b32_e32 v8, 7, v30
	v_lshrrev_b32_e32 v31, 3, v32
	s_mov_b32 s20, exec_lo
	v_cmpx_gt_u32_e32 8, v32
; %bb.199:                              ;   in Loop: Header=BB359_11 Depth=1
	s_delay_alu instid0(VALU_DEP_3) | instskip(NEXT) | instid1(VALU_DEP_1)
	v_clz_i32_u32_e32 v31, v8
	v_min_u32_e32 v31, 32, v31
	s_delay_alu instid0(VALU_DEP_1) | instskip(SKIP_1) | instid1(VALU_DEP_2)
	v_subrev_nc_u32_e32 v32, 28, v31
	v_sub_nc_u32_e32 v31, 29, v31
	v_lshlrev_b64 v[32:33], v32, v[8:9]
	s_delay_alu instid0(VALU_DEP_1)
	v_and_b32_e32 v8, 7, v32
; %bb.200:                              ;   in Loop: Header=BB359_11 Depth=1
	s_or_b32 exec_lo, exec_lo, s20
	v_lshlrev_b32_e32 v30, 8, v30
	v_lshl_add_u32 v31, v31, 10, 0x2000
	s_delay_alu instid0(VALU_DEP_1) | instskip(NEXT) | instid1(VALU_DEP_1)
	v_and_or_b32 v30, 0x8000, v30, v31
	v_lshl_or_b32 v8, v8, 7, v30
	s_delay_alu instid0(VALU_DEP_1)
	v_cvt_f32_f16_e32 v112, v8
.LBB359_201:                            ;   in Loop: Header=BB359_11 Depth=1
	s_or_b32 exec_lo, exec_lo, s19
.LBB359_202:                            ;   in Loop: Header=BB359_11 Depth=1
	s_delay_alu instid0(SALU_CYCLE_1)
	s_or_b32 exec_lo, exec_lo, s18
.LBB359_203:                            ;   in Loop: Header=BB359_11 Depth=1
	s_delay_alu instid0(SALU_CYCLE_1) | instskip(SKIP_4) | instid1(VALU_DEP_1)
	s_or_b32 exec_lo, exec_lo, s17
	flat_load_b64 v[30:31], v[28:29] offset:520
	s_mov_b32 s17, exec_lo
	s_waitcnt vmcnt(0) lgkmcnt(0)
	v_and_b32_e32 v8, 0xff, v30
	v_cmpx_ne_u16_e32 0, v8
	s_cbranch_execz .LBB359_211
; %bb.204:                              ;   in Loop: Header=BB359_11 Depth=1
	v_bfrev_b32_e32 v113, 1
	s_mov_b32 s18, exec_lo
	v_cmpx_ne_u16_e32 0x80, v8
	s_cbranch_execz .LBB359_210
; %bb.205:                              ;   in Loop: Header=BB359_11 Depth=1
	v_and_b32_e32 v32, 0x7f, v30
	v_mov_b32_e32 v113, 0x7fc02000
	s_mov_b32 s19, exec_lo
	s_delay_alu instid0(VALU_DEP_2)
	v_cmpx_ne_u32_e32 0x7f, v32
	s_cbranch_execz .LBB359_209
; %bb.206:                              ;   in Loop: Header=BB359_11 Depth=1
	v_lshrrev_b32_e32 v8, 3, v32
	v_cmp_gt_u32_e64 s1, 8, v32
	v_dual_mov_b32 v33, v31 :: v_dual_mov_b32 v32, v30
	s_delay_alu instid0(VALU_DEP_2)
	s_and_saveexec_b32 s20, s1
; %bb.207:                              ;   in Loop: Header=BB359_11 Depth=1
	v_and_b32_e32 v8, 7, v30
	s_delay_alu instid0(VALU_DEP_1) | instskip(NEXT) | instid1(VALU_DEP_1)
	v_clz_i32_u32_e32 v8, v8
	v_min_u32_e32 v8, 32, v8
	s_delay_alu instid0(VALU_DEP_1) | instskip(SKIP_1) | instid1(VALU_DEP_2)
	v_subrev_nc_u32_e32 v32, 28, v8
	v_sub_nc_u32_e32 v8, 29, v8
	v_lshlrev_b64 v[32:33], v32, v[30:31]
; %bb.208:                              ;   in Loop: Header=BB359_11 Depth=1
	s_or_b32 exec_lo, exec_lo, s20
	v_lshlrev_b32_e32 v33, 8, v30
	s_delay_alu instid0(VALU_DEP_3) | instskip(NEXT) | instid1(VALU_DEP_3)
	v_lshl_add_u32 v8, v8, 10, 0x2000
	v_lshlrev_b32_e32 v32, 7, v32
	s_delay_alu instid0(VALU_DEP_2) | instskip(NEXT) | instid1(VALU_DEP_1)
	v_and_or_b32 v8, 0x8000, v33, v8
	v_and_or_b32 v8, 0x380, v32, v8
	s_delay_alu instid0(VALU_DEP_1)
	v_cvt_f32_f16_e32 v113, v8
.LBB359_209:                            ;   in Loop: Header=BB359_11 Depth=1
	s_or_b32 exec_lo, exec_lo, s19
.LBB359_210:                            ;   in Loop: Header=BB359_11 Depth=1
	s_delay_alu instid0(SALU_CYCLE_1)
	s_or_b32 exec_lo, exec_lo, s18
.LBB359_211:                            ;   in Loop: Header=BB359_11 Depth=1
	s_delay_alu instid0(SALU_CYCLE_1) | instskip(SKIP_3) | instid1(VALU_DEP_2)
	s_or_b32 exec_lo, exec_lo, s17
	v_lshrrev_b16 v8, 8, v30
	v_dual_mov_b32 v114, 0 :: v_dual_mov_b32 v115, 0
	s_mov_b32 s17, exec_lo
	v_cmpx_ne_u16_e32 0, v8
	s_cbranch_execz .LBB359_219
; %bb.212:                              ;   in Loop: Header=BB359_11 Depth=1
	v_bfrev_b32_e32 v115, 1
	s_mov_b32 s18, exec_lo
	v_cmpx_ne_u16_e32 0x80, v8
	s_cbranch_execz .LBB359_218
; %bb.213:                              ;   in Loop: Header=BB359_11 Depth=1
	v_and_b32_e32 v32, 0xffff, v8
	v_mov_b32_e32 v115, 0x7fc02000
	s_mov_b32 s19, exec_lo
	s_delay_alu instid0(VALU_DEP_2) | instskip(NEXT) | instid1(VALU_DEP_1)
	v_and_b32_e32 v116, 0x7f, v32
	v_cmpx_ne_u32_e32 0x7f, v116
	s_cbranch_execz .LBB359_217
; %bb.214:                              ;   in Loop: Header=BB359_11 Depth=1
	v_and_b32_e32 v8, 7, v32
	v_lshrrev_b32_e32 v33, 3, v116
	s_mov_b32 s20, exec_lo
	v_cmpx_gt_u32_e32 8, v116
; %bb.215:                              ;   in Loop: Header=BB359_11 Depth=1
	s_delay_alu instid0(VALU_DEP_3) | instskip(NEXT) | instid1(VALU_DEP_1)
	v_clz_i32_u32_e32 v33, v8
	v_min_u32_e32 v33, 32, v33
	s_delay_alu instid0(VALU_DEP_1) | instskip(SKIP_1) | instid1(VALU_DEP_2)
	v_subrev_nc_u32_e32 v115, 28, v33
	v_sub_nc_u32_e32 v33, 29, v33
	v_lshlrev_b64 v[115:116], v115, v[8:9]
	s_delay_alu instid0(VALU_DEP_1)
	v_and_b32_e32 v8, 7, v115
; %bb.216:                              ;   in Loop: Header=BB359_11 Depth=1
	s_or_b32 exec_lo, exec_lo, s20
	v_lshlrev_b32_e32 v32, 8, v32
	v_lshl_add_u32 v33, v33, 10, 0x2000
	s_delay_alu instid0(VALU_DEP_1) | instskip(NEXT) | instid1(VALU_DEP_1)
	v_and_or_b32 v32, 0x8000, v32, v33
	v_lshl_or_b32 v8, v8, 7, v32
	s_delay_alu instid0(VALU_DEP_1)
	v_cvt_f32_f16_e32 v115, v8
.LBB359_217:                            ;   in Loop: Header=BB359_11 Depth=1
	s_or_b32 exec_lo, exec_lo, s19
.LBB359_218:                            ;   in Loop: Header=BB359_11 Depth=1
	s_delay_alu instid0(SALU_CYCLE_1)
	s_or_b32 exec_lo, exec_lo, s18
.LBB359_219:                            ;   in Loop: Header=BB359_11 Depth=1
	s_delay_alu instid0(SALU_CYCLE_1) | instskip(SKIP_2) | instid1(VALU_DEP_1)
	s_or_b32 exec_lo, exec_lo, s17
	v_lshrrev_b32_e32 v32, 16, v30
	s_mov_b32 s17, exec_lo
	v_and_b32_e32 v8, 0xff, v32
	s_delay_alu instid0(VALU_DEP_1)
	v_cmpx_ne_u16_e32 0, v8
	s_cbranch_execz .LBB359_227
; %bb.220:                              ;   in Loop: Header=BB359_11 Depth=1
	v_bfrev_b32_e32 v114, 1
	s_mov_b32 s18, exec_lo
	v_cmpx_ne_u16_e32 0x80, v8
	s_cbranch_execz .LBB359_226
; %bb.221:                              ;   in Loop: Header=BB359_11 Depth=1
	v_bfe_u32 v116, v30, 16, 7
	v_mov_b32_e32 v114, 0x7fc02000
	s_mov_b32 s19, exec_lo
	s_delay_alu instid0(VALU_DEP_2)
	v_cmpx_ne_u32_e32 0x7f, v116
	s_cbranch_execz .LBB359_225
; %bb.222:                              ;   in Loop: Header=BB359_11 Depth=1
	v_and_b32_e32 v8, 7, v32
	v_lshrrev_b32_e32 v33, 3, v116
	s_mov_b32 s20, exec_lo
	v_cmpx_gt_u32_e32 8, v116
; %bb.223:                              ;   in Loop: Header=BB359_11 Depth=1
	s_delay_alu instid0(VALU_DEP_3) | instskip(NEXT) | instid1(VALU_DEP_1)
	v_clz_i32_u32_e32 v33, v8
	v_min_u32_e32 v33, 32, v33
	s_delay_alu instid0(VALU_DEP_1) | instskip(SKIP_1) | instid1(VALU_DEP_2)
	v_subrev_nc_u32_e32 v114, 28, v33
	v_sub_nc_u32_e32 v33, 29, v33
	v_lshlrev_b64 v[116:117], v114, v[8:9]
	s_delay_alu instid0(VALU_DEP_1)
	v_and_b32_e32 v8, 7, v116
; %bb.224:                              ;   in Loop: Header=BB359_11 Depth=1
	s_or_b32 exec_lo, exec_lo, s20
	v_lshlrev_b32_e32 v32, 8, v32
	v_lshl_add_u32 v33, v33, 10, 0x2000
	s_delay_alu instid0(VALU_DEP_1) | instskip(NEXT) | instid1(VALU_DEP_1)
	v_and_or_b32 v32, 0x8000, v32, v33
	v_lshl_or_b32 v8, v8, 7, v32
	s_delay_alu instid0(VALU_DEP_1)
	v_cvt_f32_f16_e32 v114, v8
.LBB359_225:                            ;   in Loop: Header=BB359_11 Depth=1
	s_or_b32 exec_lo, exec_lo, s19
.LBB359_226:                            ;   in Loop: Header=BB359_11 Depth=1
	s_delay_alu instid0(SALU_CYCLE_1)
	s_or_b32 exec_lo, exec_lo, s18
.LBB359_227:                            ;   in Loop: Header=BB359_11 Depth=1
	s_delay_alu instid0(SALU_CYCLE_1)
	s_or_b32 exec_lo, exec_lo, s17
	v_dual_mov_b32 v116, 0 :: v_dual_mov_b32 v117, 0
	s_mov_b32 s17, exec_lo
	v_cmpx_lt_u32_e32 0xffffff, v30
	s_cbranch_execz .LBB359_235
; %bb.228:                              ;   in Loop: Header=BB359_11 Depth=1
	v_lshrrev_b32_e32 v32, 24, v30
	v_bfrev_b32_e32 v117, 1
	s_mov_b32 s18, exec_lo
	s_delay_alu instid0(VALU_DEP_2)
	v_cmpx_ne_u32_e32 0x80, v32
	s_cbranch_execz .LBB359_234
; %bb.229:                              ;   in Loop: Header=BB359_11 Depth=1
	v_and_b32_e32 v118, 0x7f, v32
	v_mov_b32_e32 v117, 0x7fc02000
	s_mov_b32 s19, exec_lo
	s_delay_alu instid0(VALU_DEP_2)
	v_cmpx_ne_u32_e32 0x7f, v118
	s_cbranch_execz .LBB359_233
; %bb.230:                              ;   in Loop: Header=BB359_11 Depth=1
	v_and_b32_e32 v8, 7, v32
	v_lshrrev_b32_e32 v33, 3, v118
	s_mov_b32 s20, exec_lo
	v_cmpx_gt_u32_e32 8, v118
; %bb.231:                              ;   in Loop: Header=BB359_11 Depth=1
	s_delay_alu instid0(VALU_DEP_3) | instskip(NEXT) | instid1(VALU_DEP_1)
	v_clz_i32_u32_e32 v33, v8
	v_min_u32_e32 v33, 32, v33
	s_delay_alu instid0(VALU_DEP_1) | instskip(SKIP_1) | instid1(VALU_DEP_2)
	v_subrev_nc_u32_e32 v117, 28, v33
	v_sub_nc_u32_e32 v33, 29, v33
	v_lshlrev_b64 v[117:118], v117, v[8:9]
	s_delay_alu instid0(VALU_DEP_1)
	v_and_b32_e32 v8, 7, v117
; %bb.232:                              ;   in Loop: Header=BB359_11 Depth=1
	s_or_b32 exec_lo, exec_lo, s20
	v_lshlrev_b32_e32 v32, 8, v32
	v_lshl_add_u32 v33, v33, 10, 0x2000
	s_delay_alu instid0(VALU_DEP_1) | instskip(NEXT) | instid1(VALU_DEP_1)
	v_and_or_b32 v32, 0x8000, v32, v33
	v_lshl_or_b32 v8, v8, 7, v32
	s_delay_alu instid0(VALU_DEP_1)
	v_cvt_f32_f16_e32 v117, v8
.LBB359_233:                            ;   in Loop: Header=BB359_11 Depth=1
	s_or_b32 exec_lo, exec_lo, s19
.LBB359_234:                            ;   in Loop: Header=BB359_11 Depth=1
	s_delay_alu instid0(SALU_CYCLE_1)
	s_or_b32 exec_lo, exec_lo, s18
.LBB359_235:                            ;   in Loop: Header=BB359_11 Depth=1
	s_delay_alu instid0(SALU_CYCLE_1) | instskip(SKIP_3) | instid1(VALU_DEP_2)
	s_or_b32 exec_lo, exec_lo, s17
	v_and_b32_e32 v32, 0xff, v31
	v_mov_b32_e32 v8, v31
	s_mov_b32 s17, exec_lo
	v_cmpx_ne_u16_e32 0, v32
	s_cbranch_execz .LBB359_243
; %bb.236:                              ;   in Loop: Header=BB359_11 Depth=1
	v_bfrev_b32_e32 v116, 1
	s_mov_b32 s18, exec_lo
	v_cmpx_ne_u16_e32 0x80, v32
	s_cbranch_execz .LBB359_242
; %bb.237:                              ;   in Loop: Header=BB359_11 Depth=1
	v_and_b32_e32 v32, 0x7f, v31
	v_mov_b32_e32 v116, 0x7fc02000
	s_mov_b32 s19, exec_lo
	s_delay_alu instid0(VALU_DEP_2)
	v_cmpx_ne_u32_e32 0x7f, v32
	s_cbranch_execz .LBB359_241
; %bb.238:                              ;   in Loop: Header=BB359_11 Depth=1
	v_lshrrev_b32_e32 v116, 3, v32
	v_cmp_gt_u32_e64 s1, 8, v32
	v_dual_mov_b32 v33, v9 :: v_dual_mov_b32 v32, v8
	s_delay_alu instid0(VALU_DEP_2)
	s_and_saveexec_b32 s20, s1
; %bb.239:                              ;   in Loop: Header=BB359_11 Depth=1
	v_and_b32_e32 v32, 7, v31
	s_delay_alu instid0(VALU_DEP_1) | instskip(NEXT) | instid1(VALU_DEP_1)
	v_clz_i32_u32_e32 v32, v32
	v_min_u32_e32 v116, 32, v32
	s_delay_alu instid0(VALU_DEP_1) | instskip(SKIP_1) | instid1(VALU_DEP_2)
	v_subrev_nc_u32_e32 v32, 28, v116
	v_sub_nc_u32_e32 v116, 29, v116
	v_lshlrev_b64 v[32:33], v32, v[8:9]
; %bb.240:                              ;   in Loop: Header=BB359_11 Depth=1
	s_or_b32 exec_lo, exec_lo, s20
	v_lshlrev_b32_e32 v33, 8, v31
	s_delay_alu instid0(VALU_DEP_3) | instskip(NEXT) | instid1(VALU_DEP_3)
	v_lshl_add_u32 v116, v116, 10, 0x2000
	v_lshlrev_b32_e32 v32, 7, v32
	s_delay_alu instid0(VALU_DEP_2) | instskip(NEXT) | instid1(VALU_DEP_1)
	v_and_or_b32 v33, 0x8000, v33, v116
	v_and_or_b32 v32, 0x380, v32, v33
	s_delay_alu instid0(VALU_DEP_1)
	v_cvt_f32_f16_e32 v116, v32
.LBB359_241:                            ;   in Loop: Header=BB359_11 Depth=1
	s_or_b32 exec_lo, exec_lo, s19
.LBB359_242:                            ;   in Loop: Header=BB359_11 Depth=1
	s_delay_alu instid0(SALU_CYCLE_1)
	s_or_b32 exec_lo, exec_lo, s18
.LBB359_243:                            ;   in Loop: Header=BB359_11 Depth=1
	s_delay_alu instid0(SALU_CYCLE_1) | instskip(SKIP_3) | instid1(VALU_DEP_2)
	s_or_b32 exec_lo, exec_lo, s17
	v_lshrrev_b16 v8, 8, v8
	v_dual_mov_b32 v118, 0 :: v_dual_mov_b32 v119, 0
	s_mov_b32 s17, exec_lo
	v_cmpx_ne_u16_e32 0, v8
	s_cbranch_execz .LBB359_251
; %bb.244:                              ;   in Loop: Header=BB359_11 Depth=1
	v_bfrev_b32_e32 v119, 1
	s_mov_b32 s18, exec_lo
	v_cmpx_ne_u16_e32 0x80, v8
	s_cbranch_execz .LBB359_250
; %bb.245:                              ;   in Loop: Header=BB359_11 Depth=1
	v_and_b32_e32 v32, 0xffff, v8
	v_mov_b32_e32 v119, 0x7fc02000
	s_mov_b32 s19, exec_lo
	s_delay_alu instid0(VALU_DEP_2) | instskip(NEXT) | instid1(VALU_DEP_1)
	v_and_b32_e32 v128, 0x7f, v32
	v_cmpx_ne_u32_e32 0x7f, v128
	s_cbranch_execz .LBB359_249
; %bb.246:                              ;   in Loop: Header=BB359_11 Depth=1
	v_and_b32_e32 v8, 7, v32
	v_lshrrev_b32_e32 v33, 3, v128
	s_mov_b32 s20, exec_lo
	v_cmpx_gt_u32_e32 8, v128
; %bb.247:                              ;   in Loop: Header=BB359_11 Depth=1
	s_delay_alu instid0(VALU_DEP_3) | instskip(NEXT) | instid1(VALU_DEP_1)
	v_clz_i32_u32_e32 v33, v8
	v_min_u32_e32 v33, 32, v33
	s_delay_alu instid0(VALU_DEP_1) | instskip(SKIP_1) | instid1(VALU_DEP_2)
	v_subrev_nc_u32_e32 v119, 28, v33
	v_sub_nc_u32_e32 v33, 29, v33
	v_lshlrev_b64 v[128:129], v119, v[8:9]
	s_delay_alu instid0(VALU_DEP_1)
	v_and_b32_e32 v8, 7, v128
; %bb.248:                              ;   in Loop: Header=BB359_11 Depth=1
	s_or_b32 exec_lo, exec_lo, s20
	v_lshlrev_b32_e32 v32, 8, v32
	v_lshl_add_u32 v33, v33, 10, 0x2000
	s_delay_alu instid0(VALU_DEP_1) | instskip(NEXT) | instid1(VALU_DEP_1)
	v_and_or_b32 v32, 0x8000, v32, v33
	v_lshl_or_b32 v8, v8, 7, v32
	s_delay_alu instid0(VALU_DEP_1)
	v_cvt_f32_f16_e32 v119, v8
.LBB359_249:                            ;   in Loop: Header=BB359_11 Depth=1
	s_or_b32 exec_lo, exec_lo, s19
.LBB359_250:                            ;   in Loop: Header=BB359_11 Depth=1
	s_delay_alu instid0(SALU_CYCLE_1)
	s_or_b32 exec_lo, exec_lo, s18
.LBB359_251:                            ;   in Loop: Header=BB359_11 Depth=1
	s_delay_alu instid0(SALU_CYCLE_1) | instskip(SKIP_2) | instid1(VALU_DEP_1)
	s_or_b32 exec_lo, exec_lo, s17
	v_lshrrev_b32_e32 v32, 16, v31
	s_mov_b32 s17, exec_lo
	v_and_b32_e32 v8, 0xff, v32
	s_delay_alu instid0(VALU_DEP_1)
	v_cmpx_ne_u16_e32 0, v8
	s_cbranch_execz .LBB359_259
; %bb.252:                              ;   in Loop: Header=BB359_11 Depth=1
	v_bfrev_b32_e32 v118, 1
	s_mov_b32 s18, exec_lo
	v_cmpx_ne_u16_e32 0x80, v8
	s_cbranch_execz .LBB359_258
; %bb.253:                              ;   in Loop: Header=BB359_11 Depth=1
	v_bfe_u32 v128, v31, 16, 7
	v_mov_b32_e32 v118, 0x7fc02000
	s_mov_b32 s19, exec_lo
	s_delay_alu instid0(VALU_DEP_2)
	v_cmpx_ne_u32_e32 0x7f, v128
	s_cbranch_execz .LBB359_257
; %bb.254:                              ;   in Loop: Header=BB359_11 Depth=1
	v_and_b32_e32 v8, 7, v32
	v_lshrrev_b32_e32 v33, 3, v128
	s_mov_b32 s20, exec_lo
	v_cmpx_gt_u32_e32 8, v128
; %bb.255:                              ;   in Loop: Header=BB359_11 Depth=1
	s_delay_alu instid0(VALU_DEP_3) | instskip(NEXT) | instid1(VALU_DEP_1)
	v_clz_i32_u32_e32 v33, v8
	v_min_u32_e32 v33, 32, v33
	s_delay_alu instid0(VALU_DEP_1) | instskip(SKIP_1) | instid1(VALU_DEP_2)
	v_subrev_nc_u32_e32 v118, 28, v33
	v_sub_nc_u32_e32 v33, 29, v33
	v_lshlrev_b64 v[128:129], v118, v[8:9]
	s_delay_alu instid0(VALU_DEP_1)
	v_and_b32_e32 v8, 7, v128
; %bb.256:                              ;   in Loop: Header=BB359_11 Depth=1
	s_or_b32 exec_lo, exec_lo, s20
	v_lshlrev_b32_e32 v32, 8, v32
	v_lshl_add_u32 v33, v33, 10, 0x2000
	s_delay_alu instid0(VALU_DEP_1) | instskip(NEXT) | instid1(VALU_DEP_1)
	v_and_or_b32 v32, 0x8000, v32, v33
	v_lshl_or_b32 v8, v8, 7, v32
	s_delay_alu instid0(VALU_DEP_1)
	v_cvt_f32_f16_e32 v118, v8
.LBB359_257:                            ;   in Loop: Header=BB359_11 Depth=1
	s_or_b32 exec_lo, exec_lo, s19
.LBB359_258:                            ;   in Loop: Header=BB359_11 Depth=1
	s_delay_alu instid0(SALU_CYCLE_1)
	s_or_b32 exec_lo, exec_lo, s18
.LBB359_259:                            ;   in Loop: Header=BB359_11 Depth=1
	s_delay_alu instid0(SALU_CYCLE_1)
	s_or_b32 exec_lo, exec_lo, s17
	v_dual_mov_b32 v129, 0 :: v_dual_mov_b32 v128, 0
	s_mov_b32 s17, exec_lo
	v_cmpx_lt_u64_e64 s[2:3], v[30:31]
	s_cbranch_execz .LBB359_267
; %bb.260:                              ;   in Loop: Header=BB359_11 Depth=1
	v_lshrrev_b32_e32 v30, 24, v31
	v_bfrev_b32_e32 v128, 1
	s_mov_b32 s18, exec_lo
	s_delay_alu instid0(VALU_DEP_2)
	v_cmpx_ne_u32_e32 0x80, v30
	s_cbranch_execz .LBB359_266
; %bb.261:                              ;   in Loop: Header=BB359_11 Depth=1
	v_and_b32_e32 v32, 0x7f, v30
	v_mov_b32_e32 v128, 0x7fc02000
	s_mov_b32 s19, exec_lo
	s_delay_alu instid0(VALU_DEP_2)
	v_cmpx_ne_u32_e32 0x7f, v32
	s_cbranch_execz .LBB359_265
; %bb.262:                              ;   in Loop: Header=BB359_11 Depth=1
	v_and_b32_e32 v8, 7, v30
	v_lshrrev_b32_e32 v31, 3, v32
	s_mov_b32 s20, exec_lo
	v_cmpx_gt_u32_e32 8, v32
; %bb.263:                              ;   in Loop: Header=BB359_11 Depth=1
	s_delay_alu instid0(VALU_DEP_3) | instskip(NEXT) | instid1(VALU_DEP_1)
	v_clz_i32_u32_e32 v31, v8
	v_min_u32_e32 v31, 32, v31
	s_delay_alu instid0(VALU_DEP_1) | instskip(SKIP_1) | instid1(VALU_DEP_2)
	v_subrev_nc_u32_e32 v32, 28, v31
	v_sub_nc_u32_e32 v31, 29, v31
	v_lshlrev_b64 v[32:33], v32, v[8:9]
	s_delay_alu instid0(VALU_DEP_1)
	v_and_b32_e32 v8, 7, v32
; %bb.264:                              ;   in Loop: Header=BB359_11 Depth=1
	s_or_b32 exec_lo, exec_lo, s20
	v_lshlrev_b32_e32 v30, 8, v30
	v_lshl_add_u32 v31, v31, 10, 0x2000
	s_delay_alu instid0(VALU_DEP_1) | instskip(NEXT) | instid1(VALU_DEP_1)
	v_and_or_b32 v30, 0x8000, v30, v31
	v_lshl_or_b32 v8, v8, 7, v30
	s_delay_alu instid0(VALU_DEP_1)
	v_cvt_f32_f16_e64 v128, v8
.LBB359_265:                            ;   in Loop: Header=BB359_11 Depth=1
	s_or_b32 exec_lo, exec_lo, s19
.LBB359_266:                            ;   in Loop: Header=BB359_11 Depth=1
	s_delay_alu instid0(SALU_CYCLE_1)
	s_or_b32 exec_lo, exec_lo, s18
.LBB359_267:                            ;   in Loop: Header=BB359_11 Depth=1
	s_delay_alu instid0(SALU_CYCLE_1) | instskip(SKIP_4) | instid1(VALU_DEP_1)
	s_or_b32 exec_lo, exec_lo, s17
	flat_load_b64 v[30:31], v[28:29] offset:1024
	s_mov_b32 s17, exec_lo
	s_waitcnt vmcnt(0) lgkmcnt(0)
	v_and_b32_e32 v8, 0xff, v30
	v_cmpx_ne_u16_e32 0, v8
	s_cbranch_execz .LBB359_275
; %bb.268:                              ;   in Loop: Header=BB359_11 Depth=1
	v_bfrev_b32_e32 v129, 1
	s_mov_b32 s18, exec_lo
	v_cmpx_ne_u16_e32 0x80, v8
	s_cbranch_execz .LBB359_274
; %bb.269:                              ;   in Loop: Header=BB359_11 Depth=1
	v_and_b32_e32 v32, 0x7f, v30
	v_mov_b32_e32 v129, 0x7fc02000
	s_mov_b32 s19, exec_lo
	s_delay_alu instid0(VALU_DEP_2)
	v_cmpx_ne_u32_e32 0x7f, v32
	s_cbranch_execz .LBB359_273
; %bb.270:                              ;   in Loop: Header=BB359_11 Depth=1
	v_lshrrev_b32_e32 v8, 3, v32
	v_cmp_gt_u32_e64 s1, 8, v32
	v_dual_mov_b32 v33, v31 :: v_dual_mov_b32 v32, v30
	s_delay_alu instid0(VALU_DEP_2)
	s_and_saveexec_b32 s20, s1
; %bb.271:                              ;   in Loop: Header=BB359_11 Depth=1
	v_and_b32_e32 v8, 7, v30
	s_delay_alu instid0(VALU_DEP_1) | instskip(NEXT) | instid1(VALU_DEP_1)
	v_clz_i32_u32_e32 v8, v8
	v_min_u32_e32 v8, 32, v8
	s_delay_alu instid0(VALU_DEP_1) | instskip(SKIP_1) | instid1(VALU_DEP_2)
	v_subrev_nc_u32_e32 v32, 28, v8
	v_sub_nc_u32_e32 v8, 29, v8
	v_lshlrev_b64 v[32:33], v32, v[30:31]
; %bb.272:                              ;   in Loop: Header=BB359_11 Depth=1
	s_or_b32 exec_lo, exec_lo, s20
	v_lshlrev_b32_e32 v33, 8, v30
	s_delay_alu instid0(VALU_DEP_3) | instskip(NEXT) | instid1(VALU_DEP_3)
	v_lshl_add_u32 v8, v8, 10, 0x2000
	v_lshlrev_b32_e32 v32, 7, v32
	s_delay_alu instid0(VALU_DEP_2) | instskip(NEXT) | instid1(VALU_DEP_1)
	v_and_or_b32 v8, 0x8000, v33, v8
	v_and_or_b32 v8, 0x380, v32, v8
	s_delay_alu instid0(VALU_DEP_1)
	v_cvt_f32_f16_e64 v129, v8
.LBB359_273:                            ;   in Loop: Header=BB359_11 Depth=1
	s_or_b32 exec_lo, exec_lo, s19
.LBB359_274:                            ;   in Loop: Header=BB359_11 Depth=1
	s_delay_alu instid0(SALU_CYCLE_1)
	s_or_b32 exec_lo, exec_lo, s18
.LBB359_275:                            ;   in Loop: Header=BB359_11 Depth=1
	s_delay_alu instid0(SALU_CYCLE_1) | instskip(SKIP_3) | instid1(VALU_DEP_2)
	s_or_b32 exec_lo, exec_lo, s17
	v_lshrrev_b16 v8, 8, v30
	v_dual_mov_b32 v130, 0 :: v_dual_mov_b32 v131, 0
	s_mov_b32 s17, exec_lo
	v_cmpx_ne_u16_e32 0, v8
	s_cbranch_execz .LBB359_283
; %bb.276:                              ;   in Loop: Header=BB359_11 Depth=1
	v_bfrev_b32_e32 v131, 1
	s_mov_b32 s18, exec_lo
	v_cmpx_ne_u16_e32 0x80, v8
	s_cbranch_execz .LBB359_282
; %bb.277:                              ;   in Loop: Header=BB359_11 Depth=1
	v_and_b32_e32 v32, 0xffff, v8
	v_mov_b32_e32 v131, 0x7fc02000
	s_mov_b32 s19, exec_lo
	s_delay_alu instid0(VALU_DEP_2) | instskip(NEXT) | instid1(VALU_DEP_1)
	v_and_b32_e32 v132, 0x7f, v32
	v_cmpx_ne_u32_e32 0x7f, v132
	s_cbranch_execz .LBB359_281
; %bb.278:                              ;   in Loop: Header=BB359_11 Depth=1
	v_and_b32_e32 v8, 7, v32
	v_lshrrev_b32_e32 v33, 3, v132
	s_mov_b32 s20, exec_lo
	v_cmpx_gt_u32_e32 8, v132
; %bb.279:                              ;   in Loop: Header=BB359_11 Depth=1
	s_delay_alu instid0(VALU_DEP_3) | instskip(NEXT) | instid1(VALU_DEP_1)
	v_clz_i32_u32_e32 v33, v8
	v_min_u32_e32 v33, 32, v33
	s_delay_alu instid0(VALU_DEP_1) | instskip(SKIP_1) | instid1(VALU_DEP_2)
	v_subrev_nc_u32_e32 v131, 28, v33
	v_sub_nc_u32_e32 v33, 29, v33
	v_lshlrev_b64 v[131:132], v131, v[8:9]
	s_delay_alu instid0(VALU_DEP_1)
	v_and_b32_e32 v8, 7, v131
; %bb.280:                              ;   in Loop: Header=BB359_11 Depth=1
	s_or_b32 exec_lo, exec_lo, s20
	v_lshlrev_b32_e32 v32, 8, v32
	v_lshl_add_u32 v33, v33, 10, 0x2000
	s_delay_alu instid0(VALU_DEP_1) | instskip(NEXT) | instid1(VALU_DEP_1)
	v_and_or_b32 v32, 0x8000, v32, v33
	v_lshl_or_b32 v8, v8, 7, v32
	s_delay_alu instid0(VALU_DEP_1)
	v_cvt_f32_f16_e64 v131, v8
.LBB359_281:                            ;   in Loop: Header=BB359_11 Depth=1
	s_or_b32 exec_lo, exec_lo, s19
.LBB359_282:                            ;   in Loop: Header=BB359_11 Depth=1
	s_delay_alu instid0(SALU_CYCLE_1)
	s_or_b32 exec_lo, exec_lo, s18
.LBB359_283:                            ;   in Loop: Header=BB359_11 Depth=1
	s_delay_alu instid0(SALU_CYCLE_1) | instskip(SKIP_2) | instid1(VALU_DEP_1)
	s_or_b32 exec_lo, exec_lo, s17
	v_lshrrev_b32_e32 v32, 16, v30
	s_mov_b32 s17, exec_lo
	v_and_b32_e32 v8, 0xff, v32
	s_delay_alu instid0(VALU_DEP_1)
	v_cmpx_ne_u16_e32 0, v8
	s_cbranch_execz .LBB359_291
; %bb.284:                              ;   in Loop: Header=BB359_11 Depth=1
	v_bfrev_b32_e32 v130, 1
	s_mov_b32 s18, exec_lo
	v_cmpx_ne_u16_e32 0x80, v8
	s_cbranch_execz .LBB359_290
; %bb.285:                              ;   in Loop: Header=BB359_11 Depth=1
	v_bfe_u32 v132, v30, 16, 7
	v_mov_b32_e32 v130, 0x7fc02000
	s_mov_b32 s19, exec_lo
	s_delay_alu instid0(VALU_DEP_2)
	v_cmpx_ne_u32_e32 0x7f, v132
	s_cbranch_execz .LBB359_289
; %bb.286:                              ;   in Loop: Header=BB359_11 Depth=1
	v_and_b32_e32 v8, 7, v32
	v_lshrrev_b32_e32 v33, 3, v132
	s_mov_b32 s20, exec_lo
	v_cmpx_gt_u32_e32 8, v132
; %bb.287:                              ;   in Loop: Header=BB359_11 Depth=1
	s_delay_alu instid0(VALU_DEP_3) | instskip(NEXT) | instid1(VALU_DEP_1)
	v_clz_i32_u32_e32 v33, v8
	v_min_u32_e32 v33, 32, v33
	s_delay_alu instid0(VALU_DEP_1) | instskip(SKIP_1) | instid1(VALU_DEP_2)
	v_subrev_nc_u32_e32 v130, 28, v33
	v_sub_nc_u32_e32 v33, 29, v33
	v_lshlrev_b64 v[132:133], v130, v[8:9]
	s_delay_alu instid0(VALU_DEP_1)
	v_and_b32_e32 v8, 7, v132
; %bb.288:                              ;   in Loop: Header=BB359_11 Depth=1
	s_or_b32 exec_lo, exec_lo, s20
	v_lshlrev_b32_e32 v32, 8, v32
	v_lshl_add_u32 v33, v33, 10, 0x2000
	s_delay_alu instid0(VALU_DEP_1) | instskip(NEXT) | instid1(VALU_DEP_1)
	v_and_or_b32 v32, 0x8000, v32, v33
	v_lshl_or_b32 v8, v8, 7, v32
	s_delay_alu instid0(VALU_DEP_1)
	v_cvt_f32_f16_e64 v130, v8
.LBB359_289:                            ;   in Loop: Header=BB359_11 Depth=1
	s_or_b32 exec_lo, exec_lo, s19
.LBB359_290:                            ;   in Loop: Header=BB359_11 Depth=1
	s_delay_alu instid0(SALU_CYCLE_1)
	s_or_b32 exec_lo, exec_lo, s18
.LBB359_291:                            ;   in Loop: Header=BB359_11 Depth=1
	s_delay_alu instid0(SALU_CYCLE_1)
	s_or_b32 exec_lo, exec_lo, s17
	v_dual_mov_b32 v132, 0 :: v_dual_mov_b32 v133, 0
	s_mov_b32 s17, exec_lo
	v_cmpx_lt_u32_e32 0xffffff, v30
	s_cbranch_execz .LBB359_299
; %bb.292:                              ;   in Loop: Header=BB359_11 Depth=1
	v_lshrrev_b32_e32 v32, 24, v30
	v_bfrev_b32_e32 v133, 1
	s_mov_b32 s18, exec_lo
	s_delay_alu instid0(VALU_DEP_2)
	v_cmpx_ne_u32_e32 0x80, v32
	s_cbranch_execz .LBB359_298
; %bb.293:                              ;   in Loop: Header=BB359_11 Depth=1
	v_and_b32_e32 v134, 0x7f, v32
	v_mov_b32_e32 v133, 0x7fc02000
	s_mov_b32 s19, exec_lo
	s_delay_alu instid0(VALU_DEP_2)
	v_cmpx_ne_u32_e32 0x7f, v134
	s_cbranch_execz .LBB359_297
; %bb.294:                              ;   in Loop: Header=BB359_11 Depth=1
	v_and_b32_e32 v8, 7, v32
	v_lshrrev_b32_e32 v33, 3, v134
	s_mov_b32 s20, exec_lo
	v_cmpx_gt_u32_e32 8, v134
; %bb.295:                              ;   in Loop: Header=BB359_11 Depth=1
	s_delay_alu instid0(VALU_DEP_3) | instskip(NEXT) | instid1(VALU_DEP_1)
	v_clz_i32_u32_e32 v33, v8
	v_min_u32_e32 v33, 32, v33
	s_delay_alu instid0(VALU_DEP_1) | instskip(SKIP_1) | instid1(VALU_DEP_2)
	v_subrev_nc_u32_e32 v133, 28, v33
	v_sub_nc_u32_e32 v33, 29, v33
	v_lshlrev_b64 v[133:134], v133, v[8:9]
	s_delay_alu instid0(VALU_DEP_1)
	v_and_b32_e32 v8, 7, v133
; %bb.296:                              ;   in Loop: Header=BB359_11 Depth=1
	s_or_b32 exec_lo, exec_lo, s20
	v_lshlrev_b32_e32 v32, 8, v32
	v_lshl_add_u32 v33, v33, 10, 0x2000
	s_delay_alu instid0(VALU_DEP_1) | instskip(NEXT) | instid1(VALU_DEP_1)
	v_and_or_b32 v32, 0x8000, v32, v33
	v_lshl_or_b32 v8, v8, 7, v32
	s_delay_alu instid0(VALU_DEP_1)
	v_cvt_f32_f16_e64 v133, v8
.LBB359_297:                            ;   in Loop: Header=BB359_11 Depth=1
	s_or_b32 exec_lo, exec_lo, s19
.LBB359_298:                            ;   in Loop: Header=BB359_11 Depth=1
	s_delay_alu instid0(SALU_CYCLE_1)
	s_or_b32 exec_lo, exec_lo, s18
.LBB359_299:                            ;   in Loop: Header=BB359_11 Depth=1
	s_delay_alu instid0(SALU_CYCLE_1) | instskip(SKIP_3) | instid1(VALU_DEP_2)
	s_or_b32 exec_lo, exec_lo, s17
	v_and_b32_e32 v32, 0xff, v31
	v_mov_b32_e32 v8, v31
	s_mov_b32 s17, exec_lo
	v_cmpx_ne_u16_e32 0, v32
	s_cbranch_execz .LBB359_307
; %bb.300:                              ;   in Loop: Header=BB359_11 Depth=1
	v_bfrev_b32_e32 v132, 1
	s_mov_b32 s18, exec_lo
	v_cmpx_ne_u16_e32 0x80, v32
	s_cbranch_execz .LBB359_306
; %bb.301:                              ;   in Loop: Header=BB359_11 Depth=1
	v_and_b32_e32 v32, 0x7f, v31
	v_mov_b32_e32 v132, 0x7fc02000
	s_mov_b32 s19, exec_lo
	s_delay_alu instid0(VALU_DEP_2)
	v_cmpx_ne_u32_e32 0x7f, v32
	s_cbranch_execz .LBB359_305
; %bb.302:                              ;   in Loop: Header=BB359_11 Depth=1
	v_lshrrev_b32_e32 v132, 3, v32
	v_cmp_gt_u32_e64 s1, 8, v32
	v_dual_mov_b32 v33, v9 :: v_dual_mov_b32 v32, v8
	s_delay_alu instid0(VALU_DEP_2)
	s_and_saveexec_b32 s20, s1
; %bb.303:                              ;   in Loop: Header=BB359_11 Depth=1
	v_and_b32_e32 v32, 7, v31
	s_delay_alu instid0(VALU_DEP_1) | instskip(NEXT) | instid1(VALU_DEP_1)
	v_clz_i32_u32_e32 v32, v32
	v_min_u32_e32 v132, 32, v32
	s_delay_alu instid0(VALU_DEP_1) | instskip(SKIP_1) | instid1(VALU_DEP_2)
	v_subrev_nc_u32_e32 v32, 28, v132
	v_sub_nc_u32_e32 v132, 29, v132
	v_lshlrev_b64 v[32:33], v32, v[8:9]
; %bb.304:                              ;   in Loop: Header=BB359_11 Depth=1
	s_or_b32 exec_lo, exec_lo, s20
	v_lshlrev_b32_e32 v33, 8, v31
	s_delay_alu instid0(VALU_DEP_3) | instskip(NEXT) | instid1(VALU_DEP_3)
	v_lshl_add_u32 v132, v132, 10, 0x2000
	v_lshlrev_b32_e32 v32, 7, v32
	s_delay_alu instid0(VALU_DEP_2) | instskip(NEXT) | instid1(VALU_DEP_1)
	v_and_or_b32 v33, 0x8000, v33, v132
	v_and_or_b32 v32, 0x380, v32, v33
	s_delay_alu instid0(VALU_DEP_1)
	v_cvt_f32_f16_e64 v132, v32
.LBB359_305:                            ;   in Loop: Header=BB359_11 Depth=1
	s_or_b32 exec_lo, exec_lo, s19
.LBB359_306:                            ;   in Loop: Header=BB359_11 Depth=1
	s_delay_alu instid0(SALU_CYCLE_1)
	s_or_b32 exec_lo, exec_lo, s18
.LBB359_307:                            ;   in Loop: Header=BB359_11 Depth=1
	s_delay_alu instid0(SALU_CYCLE_1) | instskip(SKIP_3) | instid1(VALU_DEP_2)
	s_or_b32 exec_lo, exec_lo, s17
	v_lshrrev_b16 v8, 8, v8
	v_dual_mov_b32 v134, 0 :: v_dual_mov_b32 v135, 0
	s_mov_b32 s17, exec_lo
	v_cmpx_ne_u16_e32 0, v8
	s_cbranch_execz .LBB359_315
; %bb.308:                              ;   in Loop: Header=BB359_11 Depth=1
	v_bfrev_b32_e32 v135, 1
	s_mov_b32 s18, exec_lo
	v_cmpx_ne_u16_e32 0x80, v8
	s_cbranch_execz .LBB359_314
; %bb.309:                              ;   in Loop: Header=BB359_11 Depth=1
	v_and_b32_e32 v32, 0xffff, v8
	v_mov_b32_e32 v135, 0x7fc02000
	s_mov_b32 s19, exec_lo
	s_delay_alu instid0(VALU_DEP_2) | instskip(NEXT) | instid1(VALU_DEP_1)
	v_and_b32_e32 v144, 0x7f, v32
	v_cmpx_ne_u32_e32 0x7f, v144
	s_cbranch_execz .LBB359_313
; %bb.310:                              ;   in Loop: Header=BB359_11 Depth=1
	v_and_b32_e32 v8, 7, v32
	v_lshrrev_b32_e32 v33, 3, v144
	s_mov_b32 s20, exec_lo
	v_cmpx_gt_u32_e32 8, v144
; %bb.311:                              ;   in Loop: Header=BB359_11 Depth=1
	s_delay_alu instid0(VALU_DEP_3) | instskip(NEXT) | instid1(VALU_DEP_1)
	v_clz_i32_u32_e32 v33, v8
	v_min_u32_e32 v33, 32, v33
	s_delay_alu instid0(VALU_DEP_1) | instskip(SKIP_1) | instid1(VALU_DEP_2)
	v_subrev_nc_u32_e32 v135, 28, v33
	v_sub_nc_u32_e32 v33, 29, v33
	v_lshlrev_b64 v[144:145], v135, v[8:9]
	s_delay_alu instid0(VALU_DEP_1)
	v_and_b32_e32 v8, 7, v144
; %bb.312:                              ;   in Loop: Header=BB359_11 Depth=1
	s_or_b32 exec_lo, exec_lo, s20
	v_lshlrev_b32_e32 v32, 8, v32
	v_lshl_add_u32 v33, v33, 10, 0x2000
	s_delay_alu instid0(VALU_DEP_1) | instskip(NEXT) | instid1(VALU_DEP_1)
	v_and_or_b32 v32, 0x8000, v32, v33
	v_lshl_or_b32 v8, v8, 7, v32
	s_delay_alu instid0(VALU_DEP_1)
	v_cvt_f32_f16_e64 v135, v8
.LBB359_313:                            ;   in Loop: Header=BB359_11 Depth=1
	s_or_b32 exec_lo, exec_lo, s19
.LBB359_314:                            ;   in Loop: Header=BB359_11 Depth=1
	s_delay_alu instid0(SALU_CYCLE_1)
	s_or_b32 exec_lo, exec_lo, s18
.LBB359_315:                            ;   in Loop: Header=BB359_11 Depth=1
	s_delay_alu instid0(SALU_CYCLE_1) | instskip(SKIP_2) | instid1(VALU_DEP_1)
	s_or_b32 exec_lo, exec_lo, s17
	v_lshrrev_b32_e32 v32, 16, v31
	s_mov_b32 s17, exec_lo
	v_and_b32_e32 v8, 0xff, v32
	s_delay_alu instid0(VALU_DEP_1)
	v_cmpx_ne_u16_e32 0, v8
	s_cbranch_execz .LBB359_323
; %bb.316:                              ;   in Loop: Header=BB359_11 Depth=1
	v_bfrev_b32_e32 v134, 1
	s_mov_b32 s18, exec_lo
	v_cmpx_ne_u16_e32 0x80, v8
	s_cbranch_execz .LBB359_322
; %bb.317:                              ;   in Loop: Header=BB359_11 Depth=1
	v_bfe_u32 v144, v31, 16, 7
	v_mov_b32_e32 v134, 0x7fc02000
	s_mov_b32 s19, exec_lo
	s_delay_alu instid0(VALU_DEP_2)
	v_cmpx_ne_u32_e32 0x7f, v144
	s_cbranch_execz .LBB359_321
; %bb.318:                              ;   in Loop: Header=BB359_11 Depth=1
	v_and_b32_e32 v8, 7, v32
	v_lshrrev_b32_e32 v33, 3, v144
	s_mov_b32 s20, exec_lo
	v_cmpx_gt_u32_e32 8, v144
; %bb.319:                              ;   in Loop: Header=BB359_11 Depth=1
	s_delay_alu instid0(VALU_DEP_3) | instskip(NEXT) | instid1(VALU_DEP_1)
	v_clz_i32_u32_e32 v33, v8
	v_min_u32_e32 v33, 32, v33
	s_delay_alu instid0(VALU_DEP_1) | instskip(SKIP_1) | instid1(VALU_DEP_2)
	v_subrev_nc_u32_e32 v134, 28, v33
	v_sub_nc_u32_e32 v33, 29, v33
	v_lshlrev_b64 v[144:145], v134, v[8:9]
	s_delay_alu instid0(VALU_DEP_1)
	v_and_b32_e32 v8, 7, v144
; %bb.320:                              ;   in Loop: Header=BB359_11 Depth=1
	s_or_b32 exec_lo, exec_lo, s20
	v_lshlrev_b32_e32 v32, 8, v32
	v_lshl_add_u32 v33, v33, 10, 0x2000
	s_delay_alu instid0(VALU_DEP_1) | instskip(NEXT) | instid1(VALU_DEP_1)
	v_and_or_b32 v32, 0x8000, v32, v33
	v_lshl_or_b32 v8, v8, 7, v32
	s_delay_alu instid0(VALU_DEP_1)
	v_cvt_f32_f16_e64 v134, v8
.LBB359_321:                            ;   in Loop: Header=BB359_11 Depth=1
	s_or_b32 exec_lo, exec_lo, s19
.LBB359_322:                            ;   in Loop: Header=BB359_11 Depth=1
	s_delay_alu instid0(SALU_CYCLE_1)
	s_or_b32 exec_lo, exec_lo, s18
.LBB359_323:                            ;   in Loop: Header=BB359_11 Depth=1
	s_delay_alu instid0(SALU_CYCLE_1)
	s_or_b32 exec_lo, exec_lo, s17
	v_dual_mov_b32 v145, 0 :: v_dual_mov_b32 v144, 0
	s_mov_b32 s17, exec_lo
	v_cmpx_lt_u64_e64 s[2:3], v[30:31]
	s_cbranch_execz .LBB359_331
; %bb.324:                              ;   in Loop: Header=BB359_11 Depth=1
	v_lshrrev_b32_e32 v30, 24, v31
	v_bfrev_b32_e32 v144, 1
	s_mov_b32 s18, exec_lo
	s_delay_alu instid0(VALU_DEP_2)
	v_cmpx_ne_u32_e32 0x80, v30
	s_cbranch_execz .LBB359_330
; %bb.325:                              ;   in Loop: Header=BB359_11 Depth=1
	v_and_b32_e32 v32, 0x7f, v30
	v_mov_b32_e32 v144, 0x7fc02000
	s_mov_b32 s19, exec_lo
	s_delay_alu instid0(VALU_DEP_2)
	v_cmpx_ne_u32_e32 0x7f, v32
	s_cbranch_execz .LBB359_329
; %bb.326:                              ;   in Loop: Header=BB359_11 Depth=1
	v_and_b32_e32 v8, 7, v30
	v_lshrrev_b32_e32 v31, 3, v32
	s_mov_b32 s20, exec_lo
	v_cmpx_gt_u32_e32 8, v32
; %bb.327:                              ;   in Loop: Header=BB359_11 Depth=1
	s_delay_alu instid0(VALU_DEP_3) | instskip(NEXT) | instid1(VALU_DEP_1)
	v_clz_i32_u32_e32 v31, v8
	v_min_u32_e32 v31, 32, v31
	s_delay_alu instid0(VALU_DEP_1) | instskip(SKIP_1) | instid1(VALU_DEP_2)
	v_subrev_nc_u32_e32 v32, 28, v31
	v_sub_nc_u32_e32 v31, 29, v31
	v_lshlrev_b64 v[32:33], v32, v[8:9]
	s_delay_alu instid0(VALU_DEP_1)
	v_and_b32_e32 v8, 7, v32
; %bb.328:                              ;   in Loop: Header=BB359_11 Depth=1
	s_or_b32 exec_lo, exec_lo, s20
	v_lshlrev_b32_e32 v30, 8, v30
	v_lshl_add_u32 v31, v31, 10, 0x2000
	s_delay_alu instid0(VALU_DEP_1) | instskip(NEXT) | instid1(VALU_DEP_1)
	v_and_or_b32 v30, 0x8000, v30, v31
	v_lshl_or_b32 v8, v8, 7, v30
	s_delay_alu instid0(VALU_DEP_1)
	v_cvt_f32_f16_e64 v144, v8
.LBB359_329:                            ;   in Loop: Header=BB359_11 Depth=1
	s_or_b32 exec_lo, exec_lo, s19
.LBB359_330:                            ;   in Loop: Header=BB359_11 Depth=1
	s_delay_alu instid0(SALU_CYCLE_1)
	s_or_b32 exec_lo, exec_lo, s18
.LBB359_331:                            ;   in Loop: Header=BB359_11 Depth=1
	s_delay_alu instid0(SALU_CYCLE_1) | instskip(SKIP_4) | instid1(VALU_DEP_1)
	s_or_b32 exec_lo, exec_lo, s17
	flat_load_b64 v[30:31], v[28:29] offset:1032
	s_mov_b32 s17, exec_lo
	s_waitcnt vmcnt(0) lgkmcnt(0)
	v_and_b32_e32 v8, 0xff, v30
	v_cmpx_ne_u16_e32 0, v8
	s_cbranch_execz .LBB359_339
; %bb.332:                              ;   in Loop: Header=BB359_11 Depth=1
	v_bfrev_b32_e32 v145, 1
	s_mov_b32 s18, exec_lo
	v_cmpx_ne_u16_e32 0x80, v8
	s_cbranch_execz .LBB359_338
; %bb.333:                              ;   in Loop: Header=BB359_11 Depth=1
	v_and_b32_e32 v32, 0x7f, v30
	v_mov_b32_e32 v145, 0x7fc02000
	s_mov_b32 s19, exec_lo
	s_delay_alu instid0(VALU_DEP_2)
	v_cmpx_ne_u32_e32 0x7f, v32
	s_cbranch_execz .LBB359_337
; %bb.334:                              ;   in Loop: Header=BB359_11 Depth=1
	v_lshrrev_b32_e32 v8, 3, v32
	v_cmp_gt_u32_e64 s1, 8, v32
	v_dual_mov_b32 v33, v31 :: v_dual_mov_b32 v32, v30
	s_delay_alu instid0(VALU_DEP_2)
	s_and_saveexec_b32 s20, s1
; %bb.335:                              ;   in Loop: Header=BB359_11 Depth=1
	v_and_b32_e32 v8, 7, v30
	s_delay_alu instid0(VALU_DEP_1) | instskip(NEXT) | instid1(VALU_DEP_1)
	v_clz_i32_u32_e32 v8, v8
	v_min_u32_e32 v8, 32, v8
	s_delay_alu instid0(VALU_DEP_1) | instskip(SKIP_1) | instid1(VALU_DEP_2)
	v_subrev_nc_u32_e32 v32, 28, v8
	v_sub_nc_u32_e32 v8, 29, v8
	v_lshlrev_b64 v[32:33], v32, v[30:31]
; %bb.336:                              ;   in Loop: Header=BB359_11 Depth=1
	s_or_b32 exec_lo, exec_lo, s20
	v_lshlrev_b32_e32 v33, 8, v30
	s_delay_alu instid0(VALU_DEP_3) | instskip(NEXT) | instid1(VALU_DEP_3)
	v_lshl_add_u32 v8, v8, 10, 0x2000
	v_lshlrev_b32_e32 v32, 7, v32
	s_delay_alu instid0(VALU_DEP_2) | instskip(NEXT) | instid1(VALU_DEP_1)
	v_and_or_b32 v8, 0x8000, v33, v8
	v_and_or_b32 v8, 0x380, v32, v8
	s_delay_alu instid0(VALU_DEP_1)
	v_cvt_f32_f16_e64 v145, v8
.LBB359_337:                            ;   in Loop: Header=BB359_11 Depth=1
	s_or_b32 exec_lo, exec_lo, s19
.LBB359_338:                            ;   in Loop: Header=BB359_11 Depth=1
	s_delay_alu instid0(SALU_CYCLE_1)
	s_or_b32 exec_lo, exec_lo, s18
.LBB359_339:                            ;   in Loop: Header=BB359_11 Depth=1
	s_delay_alu instid0(SALU_CYCLE_1) | instskip(SKIP_3) | instid1(VALU_DEP_2)
	s_or_b32 exec_lo, exec_lo, s17
	v_lshrrev_b16 v8, 8, v30
	v_dual_mov_b32 v146, 0 :: v_dual_mov_b32 v147, 0
	s_mov_b32 s17, exec_lo
	v_cmpx_ne_u16_e32 0, v8
	s_cbranch_execz .LBB359_347
; %bb.340:                              ;   in Loop: Header=BB359_11 Depth=1
	v_bfrev_b32_e32 v147, 1
	s_mov_b32 s18, exec_lo
	v_cmpx_ne_u16_e32 0x80, v8
	s_cbranch_execz .LBB359_346
; %bb.341:                              ;   in Loop: Header=BB359_11 Depth=1
	v_and_b32_e32 v32, 0xffff, v8
	v_mov_b32_e32 v147, 0x7fc02000
	s_mov_b32 s19, exec_lo
	s_delay_alu instid0(VALU_DEP_2) | instskip(NEXT) | instid1(VALU_DEP_1)
	v_and_b32_e32 v148, 0x7f, v32
	v_cmpx_ne_u32_e32 0x7f, v148
	s_cbranch_execz .LBB359_345
; %bb.342:                              ;   in Loop: Header=BB359_11 Depth=1
	v_and_b32_e32 v8, 7, v32
	v_lshrrev_b32_e32 v33, 3, v148
	s_mov_b32 s20, exec_lo
	v_cmpx_gt_u32_e32 8, v148
; %bb.343:                              ;   in Loop: Header=BB359_11 Depth=1
	s_delay_alu instid0(VALU_DEP_3) | instskip(NEXT) | instid1(VALU_DEP_1)
	v_clz_i32_u32_e32 v33, v8
	v_min_u32_e32 v33, 32, v33
	s_delay_alu instid0(VALU_DEP_1) | instskip(SKIP_1) | instid1(VALU_DEP_2)
	v_subrev_nc_u32_e32 v147, 28, v33
	v_sub_nc_u32_e32 v33, 29, v33
	v_lshlrev_b64 v[147:148], v147, v[8:9]
	s_delay_alu instid0(VALU_DEP_1)
	v_and_b32_e32 v8, 7, v147
; %bb.344:                              ;   in Loop: Header=BB359_11 Depth=1
	s_or_b32 exec_lo, exec_lo, s20
	v_lshlrev_b32_e32 v32, 8, v32
	v_lshl_add_u32 v33, v33, 10, 0x2000
	s_delay_alu instid0(VALU_DEP_1) | instskip(NEXT) | instid1(VALU_DEP_1)
	v_and_or_b32 v32, 0x8000, v32, v33
	v_lshl_or_b32 v8, v8, 7, v32
	s_delay_alu instid0(VALU_DEP_1)
	v_cvt_f32_f16_e64 v147, v8
.LBB359_345:                            ;   in Loop: Header=BB359_11 Depth=1
	s_or_b32 exec_lo, exec_lo, s19
.LBB359_346:                            ;   in Loop: Header=BB359_11 Depth=1
	s_delay_alu instid0(SALU_CYCLE_1)
	s_or_b32 exec_lo, exec_lo, s18
.LBB359_347:                            ;   in Loop: Header=BB359_11 Depth=1
	s_delay_alu instid0(SALU_CYCLE_1) | instskip(SKIP_2) | instid1(VALU_DEP_1)
	s_or_b32 exec_lo, exec_lo, s17
	v_lshrrev_b32_e32 v32, 16, v30
	s_mov_b32 s17, exec_lo
	v_and_b32_e32 v8, 0xff, v32
	s_delay_alu instid0(VALU_DEP_1)
	v_cmpx_ne_u16_e32 0, v8
	s_cbranch_execz .LBB359_355
; %bb.348:                              ;   in Loop: Header=BB359_11 Depth=1
	v_bfrev_b32_e32 v146, 1
	s_mov_b32 s18, exec_lo
	v_cmpx_ne_u16_e32 0x80, v8
	s_cbranch_execz .LBB359_354
; %bb.349:                              ;   in Loop: Header=BB359_11 Depth=1
	v_bfe_u32 v148, v30, 16, 7
	v_mov_b32_e32 v146, 0x7fc02000
	s_mov_b32 s19, exec_lo
	s_delay_alu instid0(VALU_DEP_2)
	v_cmpx_ne_u32_e32 0x7f, v148
	s_cbranch_execz .LBB359_353
; %bb.350:                              ;   in Loop: Header=BB359_11 Depth=1
	v_and_b32_e32 v8, 7, v32
	v_lshrrev_b32_e32 v33, 3, v148
	s_mov_b32 s20, exec_lo
	v_cmpx_gt_u32_e32 8, v148
; %bb.351:                              ;   in Loop: Header=BB359_11 Depth=1
	s_delay_alu instid0(VALU_DEP_3) | instskip(NEXT) | instid1(VALU_DEP_1)
	v_clz_i32_u32_e32 v33, v8
	v_min_u32_e32 v33, 32, v33
	s_delay_alu instid0(VALU_DEP_1) | instskip(SKIP_1) | instid1(VALU_DEP_2)
	v_subrev_nc_u32_e32 v146, 28, v33
	v_sub_nc_u32_e32 v33, 29, v33
	v_lshlrev_b64 v[148:149], v146, v[8:9]
	s_delay_alu instid0(VALU_DEP_1)
	v_and_b32_e32 v8, 7, v148
; %bb.352:                              ;   in Loop: Header=BB359_11 Depth=1
	s_or_b32 exec_lo, exec_lo, s20
	v_lshlrev_b32_e32 v32, 8, v32
	v_lshl_add_u32 v33, v33, 10, 0x2000
	s_delay_alu instid0(VALU_DEP_1) | instskip(NEXT) | instid1(VALU_DEP_1)
	v_and_or_b32 v32, 0x8000, v32, v33
	v_lshl_or_b32 v8, v8, 7, v32
	s_delay_alu instid0(VALU_DEP_1)
	v_cvt_f32_f16_e64 v146, v8
.LBB359_353:                            ;   in Loop: Header=BB359_11 Depth=1
	s_or_b32 exec_lo, exec_lo, s19
.LBB359_354:                            ;   in Loop: Header=BB359_11 Depth=1
	s_delay_alu instid0(SALU_CYCLE_1)
	s_or_b32 exec_lo, exec_lo, s18
.LBB359_355:                            ;   in Loop: Header=BB359_11 Depth=1
	s_delay_alu instid0(SALU_CYCLE_1)
	s_or_b32 exec_lo, exec_lo, s17
	v_dual_mov_b32 v148, 0 :: v_dual_mov_b32 v149, 0
	s_mov_b32 s17, exec_lo
	v_cmpx_lt_u32_e32 0xffffff, v30
	s_cbranch_execz .LBB359_363
; %bb.356:                              ;   in Loop: Header=BB359_11 Depth=1
	v_lshrrev_b32_e32 v32, 24, v30
	v_bfrev_b32_e32 v149, 1
	s_mov_b32 s18, exec_lo
	s_delay_alu instid0(VALU_DEP_2)
	v_cmpx_ne_u32_e32 0x80, v32
	s_cbranch_execz .LBB359_362
; %bb.357:                              ;   in Loop: Header=BB359_11 Depth=1
	v_and_b32_e32 v150, 0x7f, v32
	v_mov_b32_e32 v149, 0x7fc02000
	s_mov_b32 s19, exec_lo
	s_delay_alu instid0(VALU_DEP_2)
	v_cmpx_ne_u32_e32 0x7f, v150
	s_cbranch_execz .LBB359_361
; %bb.358:                              ;   in Loop: Header=BB359_11 Depth=1
	v_and_b32_e32 v8, 7, v32
	v_lshrrev_b32_e32 v33, 3, v150
	s_mov_b32 s20, exec_lo
	v_cmpx_gt_u32_e32 8, v150
; %bb.359:                              ;   in Loop: Header=BB359_11 Depth=1
	s_delay_alu instid0(VALU_DEP_3) | instskip(NEXT) | instid1(VALU_DEP_1)
	v_clz_i32_u32_e32 v33, v8
	v_min_u32_e32 v33, 32, v33
	s_delay_alu instid0(VALU_DEP_1) | instskip(SKIP_1) | instid1(VALU_DEP_2)
	v_subrev_nc_u32_e32 v149, 28, v33
	v_sub_nc_u32_e32 v33, 29, v33
	v_lshlrev_b64 v[149:150], v149, v[8:9]
	s_delay_alu instid0(VALU_DEP_1)
	v_and_b32_e32 v8, 7, v149
; %bb.360:                              ;   in Loop: Header=BB359_11 Depth=1
	s_or_b32 exec_lo, exec_lo, s20
	v_lshlrev_b32_e32 v32, 8, v32
	v_lshl_add_u32 v33, v33, 10, 0x2000
	s_delay_alu instid0(VALU_DEP_1) | instskip(NEXT) | instid1(VALU_DEP_1)
	v_and_or_b32 v32, 0x8000, v32, v33
	v_lshl_or_b32 v8, v8, 7, v32
	s_delay_alu instid0(VALU_DEP_1)
	v_cvt_f32_f16_e64 v149, v8
.LBB359_361:                            ;   in Loop: Header=BB359_11 Depth=1
	s_or_b32 exec_lo, exec_lo, s19
.LBB359_362:                            ;   in Loop: Header=BB359_11 Depth=1
	s_delay_alu instid0(SALU_CYCLE_1)
	s_or_b32 exec_lo, exec_lo, s18
.LBB359_363:                            ;   in Loop: Header=BB359_11 Depth=1
	s_delay_alu instid0(SALU_CYCLE_1) | instskip(SKIP_3) | instid1(VALU_DEP_2)
	s_or_b32 exec_lo, exec_lo, s17
	v_and_b32_e32 v32, 0xff, v31
	v_mov_b32_e32 v8, v31
	s_mov_b32 s17, exec_lo
	v_cmpx_ne_u16_e32 0, v32
	s_cbranch_execz .LBB359_371
; %bb.364:                              ;   in Loop: Header=BB359_11 Depth=1
	v_bfrev_b32_e32 v148, 1
	s_mov_b32 s18, exec_lo
	v_cmpx_ne_u16_e32 0x80, v32
	s_cbranch_execz .LBB359_370
; %bb.365:                              ;   in Loop: Header=BB359_11 Depth=1
	v_and_b32_e32 v32, 0x7f, v31
	v_mov_b32_e32 v148, 0x7fc02000
	s_mov_b32 s19, exec_lo
	s_delay_alu instid0(VALU_DEP_2)
	v_cmpx_ne_u32_e32 0x7f, v32
	s_cbranch_execz .LBB359_369
; %bb.366:                              ;   in Loop: Header=BB359_11 Depth=1
	v_lshrrev_b32_e32 v148, 3, v32
	v_cmp_gt_u32_e64 s1, 8, v32
	v_dual_mov_b32 v33, v9 :: v_dual_mov_b32 v32, v8
	s_delay_alu instid0(VALU_DEP_2)
	s_and_saveexec_b32 s20, s1
; %bb.367:                              ;   in Loop: Header=BB359_11 Depth=1
	v_and_b32_e32 v32, 7, v31
	s_delay_alu instid0(VALU_DEP_1) | instskip(NEXT) | instid1(VALU_DEP_1)
	v_clz_i32_u32_e32 v32, v32
	v_min_u32_e32 v148, 32, v32
	s_delay_alu instid0(VALU_DEP_1) | instskip(SKIP_1) | instid1(VALU_DEP_2)
	v_subrev_nc_u32_e32 v32, 28, v148
	v_sub_nc_u32_e32 v148, 29, v148
	v_lshlrev_b64 v[32:33], v32, v[8:9]
; %bb.368:                              ;   in Loop: Header=BB359_11 Depth=1
	s_or_b32 exec_lo, exec_lo, s20
	v_lshlrev_b32_e32 v33, 8, v31
	s_delay_alu instid0(VALU_DEP_3) | instskip(NEXT) | instid1(VALU_DEP_3)
	v_lshl_add_u32 v148, v148, 10, 0x2000
	v_lshlrev_b32_e32 v32, 7, v32
	s_delay_alu instid0(VALU_DEP_2) | instskip(NEXT) | instid1(VALU_DEP_1)
	v_and_or_b32 v33, 0x8000, v33, v148
	v_and_or_b32 v32, 0x380, v32, v33
	s_delay_alu instid0(VALU_DEP_1)
	v_cvt_f32_f16_e64 v148, v32
.LBB359_369:                            ;   in Loop: Header=BB359_11 Depth=1
	s_or_b32 exec_lo, exec_lo, s19
.LBB359_370:                            ;   in Loop: Header=BB359_11 Depth=1
	s_delay_alu instid0(SALU_CYCLE_1)
	s_or_b32 exec_lo, exec_lo, s18
.LBB359_371:                            ;   in Loop: Header=BB359_11 Depth=1
	s_delay_alu instid0(SALU_CYCLE_1) | instskip(SKIP_3) | instid1(VALU_DEP_2)
	s_or_b32 exec_lo, exec_lo, s17
	v_lshrrev_b16 v8, 8, v8
	v_dual_mov_b32 v150, 0 :: v_dual_mov_b32 v151, 0
	s_mov_b32 s17, exec_lo
	v_cmpx_ne_u16_e32 0, v8
	s_cbranch_execz .LBB359_379
; %bb.372:                              ;   in Loop: Header=BB359_11 Depth=1
	v_bfrev_b32_e32 v151, 1
	s_mov_b32 s18, exec_lo
	v_cmpx_ne_u16_e32 0x80, v8
	s_cbranch_execz .LBB359_378
; %bb.373:                              ;   in Loop: Header=BB359_11 Depth=1
	v_and_b32_e32 v32, 0xffff, v8
	v_mov_b32_e32 v151, 0x7fc02000
	s_mov_b32 s19, exec_lo
	s_delay_alu instid0(VALU_DEP_2) | instskip(NEXT) | instid1(VALU_DEP_1)
	v_and_b32_e32 v160, 0x7f, v32
	v_cmpx_ne_u32_e32 0x7f, v160
	s_cbranch_execz .LBB359_377
; %bb.374:                              ;   in Loop: Header=BB359_11 Depth=1
	v_and_b32_e32 v8, 7, v32
	v_lshrrev_b32_e32 v33, 3, v160
	s_mov_b32 s20, exec_lo
	v_cmpx_gt_u32_e32 8, v160
; %bb.375:                              ;   in Loop: Header=BB359_11 Depth=1
	s_delay_alu instid0(VALU_DEP_3) | instskip(NEXT) | instid1(VALU_DEP_1)
	v_clz_i32_u32_e32 v33, v8
	v_min_u32_e32 v33, 32, v33
	s_delay_alu instid0(VALU_DEP_1) | instskip(SKIP_1) | instid1(VALU_DEP_2)
	v_subrev_nc_u32_e32 v151, 28, v33
	v_sub_nc_u32_e32 v33, 29, v33
	v_lshlrev_b64 v[160:161], v151, v[8:9]
	s_delay_alu instid0(VALU_DEP_1)
	v_and_b32_e32 v8, 7, v160
; %bb.376:                              ;   in Loop: Header=BB359_11 Depth=1
	s_or_b32 exec_lo, exec_lo, s20
	v_lshlrev_b32_e32 v32, 8, v32
	v_lshl_add_u32 v33, v33, 10, 0x2000
	s_delay_alu instid0(VALU_DEP_1) | instskip(NEXT) | instid1(VALU_DEP_1)
	v_and_or_b32 v32, 0x8000, v32, v33
	v_lshl_or_b32 v8, v8, 7, v32
	s_delay_alu instid0(VALU_DEP_1)
	v_cvt_f32_f16_e64 v151, v8
.LBB359_377:                            ;   in Loop: Header=BB359_11 Depth=1
	s_or_b32 exec_lo, exec_lo, s19
.LBB359_378:                            ;   in Loop: Header=BB359_11 Depth=1
	s_delay_alu instid0(SALU_CYCLE_1)
	s_or_b32 exec_lo, exec_lo, s18
.LBB359_379:                            ;   in Loop: Header=BB359_11 Depth=1
	s_delay_alu instid0(SALU_CYCLE_1) | instskip(SKIP_2) | instid1(VALU_DEP_1)
	s_or_b32 exec_lo, exec_lo, s17
	v_lshrrev_b32_e32 v32, 16, v31
	s_mov_b32 s17, exec_lo
	v_and_b32_e32 v8, 0xff, v32
	s_delay_alu instid0(VALU_DEP_1)
	v_cmpx_ne_u16_e32 0, v8
	s_cbranch_execz .LBB359_387
; %bb.380:                              ;   in Loop: Header=BB359_11 Depth=1
	v_bfrev_b32_e32 v150, 1
	s_mov_b32 s18, exec_lo
	v_cmpx_ne_u16_e32 0x80, v8
	s_cbranch_execz .LBB359_386
; %bb.381:                              ;   in Loop: Header=BB359_11 Depth=1
	v_bfe_u32 v160, v31, 16, 7
	v_mov_b32_e32 v150, 0x7fc02000
	s_mov_b32 s19, exec_lo
	s_delay_alu instid0(VALU_DEP_2)
	v_cmpx_ne_u32_e32 0x7f, v160
	s_cbranch_execz .LBB359_385
; %bb.382:                              ;   in Loop: Header=BB359_11 Depth=1
	v_and_b32_e32 v8, 7, v32
	v_lshrrev_b32_e32 v33, 3, v160
	s_mov_b32 s20, exec_lo
	v_cmpx_gt_u32_e32 8, v160
; %bb.383:                              ;   in Loop: Header=BB359_11 Depth=1
	s_delay_alu instid0(VALU_DEP_3) | instskip(NEXT) | instid1(VALU_DEP_1)
	v_clz_i32_u32_e32 v33, v8
	v_min_u32_e32 v33, 32, v33
	s_delay_alu instid0(VALU_DEP_1) | instskip(SKIP_1) | instid1(VALU_DEP_2)
	v_subrev_nc_u32_e32 v150, 28, v33
	v_sub_nc_u32_e32 v33, 29, v33
	v_lshlrev_b64 v[160:161], v150, v[8:9]
	s_delay_alu instid0(VALU_DEP_1)
	v_and_b32_e32 v8, 7, v160
; %bb.384:                              ;   in Loop: Header=BB359_11 Depth=1
	s_or_b32 exec_lo, exec_lo, s20
	v_lshlrev_b32_e32 v32, 8, v32
	v_lshl_add_u32 v33, v33, 10, 0x2000
	s_delay_alu instid0(VALU_DEP_1) | instskip(NEXT) | instid1(VALU_DEP_1)
	v_and_or_b32 v32, 0x8000, v32, v33
	v_lshl_or_b32 v8, v8, 7, v32
	s_delay_alu instid0(VALU_DEP_1)
	v_cvt_f32_f16_e64 v150, v8
.LBB359_385:                            ;   in Loop: Header=BB359_11 Depth=1
	s_or_b32 exec_lo, exec_lo, s19
.LBB359_386:                            ;   in Loop: Header=BB359_11 Depth=1
	s_delay_alu instid0(SALU_CYCLE_1)
	s_or_b32 exec_lo, exec_lo, s18
.LBB359_387:                            ;   in Loop: Header=BB359_11 Depth=1
	s_delay_alu instid0(SALU_CYCLE_1)
	s_or_b32 exec_lo, exec_lo, s17
	v_dual_mov_b32 v161, 0 :: v_dual_mov_b32 v160, 0
	s_mov_b32 s17, exec_lo
	v_cmpx_lt_u64_e64 s[2:3], v[30:31]
	s_cbranch_execz .LBB359_395
; %bb.388:                              ;   in Loop: Header=BB359_11 Depth=1
	v_lshrrev_b32_e32 v30, 24, v31
	v_bfrev_b32_e32 v160, 1
	s_mov_b32 s18, exec_lo
	s_delay_alu instid0(VALU_DEP_2)
	v_cmpx_ne_u32_e32 0x80, v30
	s_cbranch_execz .LBB359_394
; %bb.389:                              ;   in Loop: Header=BB359_11 Depth=1
	v_and_b32_e32 v32, 0x7f, v30
	v_mov_b32_e32 v160, 0x7fc02000
	s_mov_b32 s19, exec_lo
	s_delay_alu instid0(VALU_DEP_2)
	v_cmpx_ne_u32_e32 0x7f, v32
	s_cbranch_execz .LBB359_393
; %bb.390:                              ;   in Loop: Header=BB359_11 Depth=1
	v_and_b32_e32 v8, 7, v30
	v_lshrrev_b32_e32 v31, 3, v32
	s_mov_b32 s20, exec_lo
	v_cmpx_gt_u32_e32 8, v32
; %bb.391:                              ;   in Loop: Header=BB359_11 Depth=1
	s_delay_alu instid0(VALU_DEP_3) | instskip(NEXT) | instid1(VALU_DEP_1)
	v_clz_i32_u32_e32 v31, v8
	v_min_u32_e32 v31, 32, v31
	s_delay_alu instid0(VALU_DEP_1) | instskip(SKIP_1) | instid1(VALU_DEP_2)
	v_subrev_nc_u32_e32 v32, 28, v31
	v_sub_nc_u32_e32 v31, 29, v31
	v_lshlrev_b64 v[32:33], v32, v[8:9]
	s_delay_alu instid0(VALU_DEP_1)
	v_and_b32_e32 v8, 7, v32
; %bb.392:                              ;   in Loop: Header=BB359_11 Depth=1
	s_or_b32 exec_lo, exec_lo, s20
	v_lshlrev_b32_e32 v30, 8, v30
	v_lshl_add_u32 v31, v31, 10, 0x2000
	s_delay_alu instid0(VALU_DEP_1) | instskip(NEXT) | instid1(VALU_DEP_1)
	v_and_or_b32 v30, 0x8000, v30, v31
	v_lshl_or_b32 v8, v8, 7, v30
	s_delay_alu instid0(VALU_DEP_1)
	v_cvt_f32_f16_e64 v160, v8
.LBB359_393:                            ;   in Loop: Header=BB359_11 Depth=1
	s_or_b32 exec_lo, exec_lo, s19
.LBB359_394:                            ;   in Loop: Header=BB359_11 Depth=1
	s_delay_alu instid0(SALU_CYCLE_1)
	s_or_b32 exec_lo, exec_lo, s18
.LBB359_395:                            ;   in Loop: Header=BB359_11 Depth=1
	s_delay_alu instid0(SALU_CYCLE_1) | instskip(SKIP_4) | instid1(VALU_DEP_1)
	s_or_b32 exec_lo, exec_lo, s17
	flat_load_b64 v[30:31], v[28:29] offset:1536
	s_mov_b32 s17, exec_lo
	s_waitcnt vmcnt(0) lgkmcnt(0)
	v_and_b32_e32 v8, 0xff, v30
	v_cmpx_ne_u16_e32 0, v8
	s_cbranch_execz .LBB359_403
; %bb.396:                              ;   in Loop: Header=BB359_11 Depth=1
	v_bfrev_b32_e32 v161, 1
	s_mov_b32 s18, exec_lo
	v_cmpx_ne_u16_e32 0x80, v8
	s_cbranch_execz .LBB359_402
; %bb.397:                              ;   in Loop: Header=BB359_11 Depth=1
	v_and_b32_e32 v32, 0x7f, v30
	v_mov_b32_e32 v161, 0x7fc02000
	s_mov_b32 s19, exec_lo
	s_delay_alu instid0(VALU_DEP_2)
	v_cmpx_ne_u32_e32 0x7f, v32
	s_cbranch_execz .LBB359_401
; %bb.398:                              ;   in Loop: Header=BB359_11 Depth=1
	v_lshrrev_b32_e32 v8, 3, v32
	v_cmp_gt_u32_e64 s1, 8, v32
	v_dual_mov_b32 v33, v31 :: v_dual_mov_b32 v32, v30
	s_delay_alu instid0(VALU_DEP_2)
	s_and_saveexec_b32 s20, s1
; %bb.399:                              ;   in Loop: Header=BB359_11 Depth=1
	v_and_b32_e32 v8, 7, v30
	s_delay_alu instid0(VALU_DEP_1) | instskip(NEXT) | instid1(VALU_DEP_1)
	v_clz_i32_u32_e32 v8, v8
	v_min_u32_e32 v8, 32, v8
	s_delay_alu instid0(VALU_DEP_1) | instskip(SKIP_1) | instid1(VALU_DEP_2)
	v_subrev_nc_u32_e32 v32, 28, v8
	v_sub_nc_u32_e32 v8, 29, v8
	v_lshlrev_b64 v[32:33], v32, v[30:31]
; %bb.400:                              ;   in Loop: Header=BB359_11 Depth=1
	s_or_b32 exec_lo, exec_lo, s20
	v_lshlrev_b32_e32 v33, 8, v30
	s_delay_alu instid0(VALU_DEP_3) | instskip(NEXT) | instid1(VALU_DEP_3)
	v_lshl_add_u32 v8, v8, 10, 0x2000
	v_lshlrev_b32_e32 v32, 7, v32
	s_delay_alu instid0(VALU_DEP_2) | instskip(NEXT) | instid1(VALU_DEP_1)
	v_and_or_b32 v8, 0x8000, v33, v8
	v_and_or_b32 v8, 0x380, v32, v8
	s_delay_alu instid0(VALU_DEP_1)
	v_cvt_f32_f16_e64 v161, v8
.LBB359_401:                            ;   in Loop: Header=BB359_11 Depth=1
	s_or_b32 exec_lo, exec_lo, s19
.LBB359_402:                            ;   in Loop: Header=BB359_11 Depth=1
	s_delay_alu instid0(SALU_CYCLE_1)
	s_or_b32 exec_lo, exec_lo, s18
.LBB359_403:                            ;   in Loop: Header=BB359_11 Depth=1
	s_delay_alu instid0(SALU_CYCLE_1) | instskip(SKIP_3) | instid1(VALU_DEP_2)
	s_or_b32 exec_lo, exec_lo, s17
	v_lshrrev_b16 v8, 8, v30
	v_dual_mov_b32 v162, 0 :: v_dual_mov_b32 v163, 0
	s_mov_b32 s17, exec_lo
	v_cmpx_ne_u16_e32 0, v8
	s_cbranch_execz .LBB359_411
; %bb.404:                              ;   in Loop: Header=BB359_11 Depth=1
	v_bfrev_b32_e32 v163, 1
	s_mov_b32 s18, exec_lo
	v_cmpx_ne_u16_e32 0x80, v8
	s_cbranch_execz .LBB359_410
; %bb.405:                              ;   in Loop: Header=BB359_11 Depth=1
	v_and_b32_e32 v32, 0xffff, v8
	v_mov_b32_e32 v163, 0x7fc02000
	s_mov_b32 s19, exec_lo
	s_delay_alu instid0(VALU_DEP_2) | instskip(NEXT) | instid1(VALU_DEP_1)
	v_and_b32_e32 v164, 0x7f, v32
	v_cmpx_ne_u32_e32 0x7f, v164
	s_cbranch_execz .LBB359_409
; %bb.406:                              ;   in Loop: Header=BB359_11 Depth=1
	v_and_b32_e32 v8, 7, v32
	v_lshrrev_b32_e32 v33, 3, v164
	s_mov_b32 s20, exec_lo
	v_cmpx_gt_u32_e32 8, v164
; %bb.407:                              ;   in Loop: Header=BB359_11 Depth=1
	s_delay_alu instid0(VALU_DEP_3) | instskip(NEXT) | instid1(VALU_DEP_1)
	v_clz_i32_u32_e32 v33, v8
	v_min_u32_e32 v33, 32, v33
	s_delay_alu instid0(VALU_DEP_1) | instskip(SKIP_1) | instid1(VALU_DEP_2)
	v_subrev_nc_u32_e32 v163, 28, v33
	v_sub_nc_u32_e32 v33, 29, v33
	v_lshlrev_b64 v[163:164], v163, v[8:9]
	s_delay_alu instid0(VALU_DEP_1)
	v_and_b32_e32 v8, 7, v163
; %bb.408:                              ;   in Loop: Header=BB359_11 Depth=1
	s_or_b32 exec_lo, exec_lo, s20
	v_lshlrev_b32_e32 v32, 8, v32
	v_lshl_add_u32 v33, v33, 10, 0x2000
	s_delay_alu instid0(VALU_DEP_1) | instskip(NEXT) | instid1(VALU_DEP_1)
	v_and_or_b32 v32, 0x8000, v32, v33
	v_lshl_or_b32 v8, v8, 7, v32
	s_delay_alu instid0(VALU_DEP_1)
	v_cvt_f32_f16_e64 v163, v8
.LBB359_409:                            ;   in Loop: Header=BB359_11 Depth=1
	s_or_b32 exec_lo, exec_lo, s19
.LBB359_410:                            ;   in Loop: Header=BB359_11 Depth=1
	s_delay_alu instid0(SALU_CYCLE_1)
	s_or_b32 exec_lo, exec_lo, s18
.LBB359_411:                            ;   in Loop: Header=BB359_11 Depth=1
	s_delay_alu instid0(SALU_CYCLE_1) | instskip(SKIP_2) | instid1(VALU_DEP_1)
	s_or_b32 exec_lo, exec_lo, s17
	v_lshrrev_b32_e32 v32, 16, v30
	s_mov_b32 s17, exec_lo
	v_and_b32_e32 v8, 0xff, v32
	s_delay_alu instid0(VALU_DEP_1)
	v_cmpx_ne_u16_e32 0, v8
	s_cbranch_execz .LBB359_419
; %bb.412:                              ;   in Loop: Header=BB359_11 Depth=1
	v_bfrev_b32_e32 v162, 1
	s_mov_b32 s18, exec_lo
	v_cmpx_ne_u16_e32 0x80, v8
	s_cbranch_execz .LBB359_418
; %bb.413:                              ;   in Loop: Header=BB359_11 Depth=1
	v_bfe_u32 v164, v30, 16, 7
	v_mov_b32_e32 v162, 0x7fc02000
	s_mov_b32 s19, exec_lo
	s_delay_alu instid0(VALU_DEP_2)
	v_cmpx_ne_u32_e32 0x7f, v164
	s_cbranch_execz .LBB359_417
; %bb.414:                              ;   in Loop: Header=BB359_11 Depth=1
	v_and_b32_e32 v8, 7, v32
	v_lshrrev_b32_e32 v33, 3, v164
	s_mov_b32 s20, exec_lo
	v_cmpx_gt_u32_e32 8, v164
; %bb.415:                              ;   in Loop: Header=BB359_11 Depth=1
	s_delay_alu instid0(VALU_DEP_3) | instskip(NEXT) | instid1(VALU_DEP_1)
	v_clz_i32_u32_e32 v33, v8
	v_min_u32_e32 v33, 32, v33
	s_delay_alu instid0(VALU_DEP_1) | instskip(SKIP_1) | instid1(VALU_DEP_2)
	v_subrev_nc_u32_e32 v162, 28, v33
	v_sub_nc_u32_e32 v33, 29, v33
	v_lshlrev_b64 v[164:165], v162, v[8:9]
	s_delay_alu instid0(VALU_DEP_1)
	v_and_b32_e32 v8, 7, v164
; %bb.416:                              ;   in Loop: Header=BB359_11 Depth=1
	s_or_b32 exec_lo, exec_lo, s20
	v_lshlrev_b32_e32 v32, 8, v32
	v_lshl_add_u32 v33, v33, 10, 0x2000
	s_delay_alu instid0(VALU_DEP_1) | instskip(NEXT) | instid1(VALU_DEP_1)
	v_and_or_b32 v32, 0x8000, v32, v33
	v_lshl_or_b32 v8, v8, 7, v32
	s_delay_alu instid0(VALU_DEP_1)
	v_cvt_f32_f16_e64 v162, v8
.LBB359_417:                            ;   in Loop: Header=BB359_11 Depth=1
	s_or_b32 exec_lo, exec_lo, s19
.LBB359_418:                            ;   in Loop: Header=BB359_11 Depth=1
	s_delay_alu instid0(SALU_CYCLE_1)
	s_or_b32 exec_lo, exec_lo, s18
.LBB359_419:                            ;   in Loop: Header=BB359_11 Depth=1
	s_delay_alu instid0(SALU_CYCLE_1)
	s_or_b32 exec_lo, exec_lo, s17
	v_mov_b32_e32 v32, 0
	v_mov_b32_e32 v164, 0
	s_mov_b32 s17, exec_lo
	v_cmpx_lt_u32_e32 0xffffff, v30
	s_cbranch_execz .LBB359_427
; %bb.420:                              ;   in Loop: Header=BB359_11 Depth=1
	v_lshrrev_b32_e32 v33, 24, v30
	v_bfrev_b32_e32 v164, 1
	s_mov_b32 s18, exec_lo
	s_delay_alu instid0(VALU_DEP_2)
	v_cmpx_ne_u32_e32 0x80, v33
	s_cbranch_execz .LBB359_426
; %bb.421:                              ;   in Loop: Header=BB359_11 Depth=1
	v_and_b32_e32 v165, 0x7f, v33
	v_mov_b32_e32 v164, 0x7fc02000
	s_mov_b32 s19, exec_lo
	s_delay_alu instid0(VALU_DEP_2)
	v_cmpx_ne_u32_e32 0x7f, v165
	s_cbranch_execz .LBB359_425
; %bb.422:                              ;   in Loop: Header=BB359_11 Depth=1
	v_and_b32_e32 v8, 7, v33
	v_lshrrev_b32_e32 v164, 3, v165
	s_mov_b32 s20, exec_lo
	v_cmpx_gt_u32_e32 8, v165
; %bb.423:                              ;   in Loop: Header=BB359_11 Depth=1
	s_delay_alu instid0(VALU_DEP_3) | instskip(NEXT) | instid1(VALU_DEP_1)
	v_clz_i32_u32_e32 v164, v8
	v_min_u32_e32 v164, 32, v164
	s_delay_alu instid0(VALU_DEP_1) | instskip(SKIP_1) | instid1(VALU_DEP_2)
	v_subrev_nc_u32_e32 v165, 28, v164
	v_sub_nc_u32_e32 v164, 29, v164
	v_lshlrev_b64 v[165:166], v165, v[8:9]
	s_delay_alu instid0(VALU_DEP_1)
	v_and_b32_e32 v8, 7, v165
; %bb.424:                              ;   in Loop: Header=BB359_11 Depth=1
	s_or_b32 exec_lo, exec_lo, s20
	v_lshlrev_b32_e32 v33, 8, v33
	v_lshl_add_u32 v164, v164, 10, 0x2000
	s_delay_alu instid0(VALU_DEP_1) | instskip(NEXT) | instid1(VALU_DEP_1)
	v_and_or_b32 v33, 0x8000, v33, v164
	v_lshl_or_b32 v8, v8, 7, v33
	s_delay_alu instid0(VALU_DEP_1)
	v_cvt_f32_f16_e64 v164, v8
.LBB359_425:                            ;   in Loop: Header=BB359_11 Depth=1
	s_or_b32 exec_lo, exec_lo, s19
.LBB359_426:                            ;   in Loop: Header=BB359_11 Depth=1
	s_delay_alu instid0(SALU_CYCLE_1)
	s_or_b32 exec_lo, exec_lo, s18
.LBB359_427:                            ;   in Loop: Header=BB359_11 Depth=1
	s_delay_alu instid0(SALU_CYCLE_1) | instskip(SKIP_2) | instid1(VALU_DEP_1)
	s_or_b32 exec_lo, exec_lo, s17
	v_dual_mov_b32 v8, v31 :: v_dual_and_b32 v33, 0xff, v31
	s_mov_b32 s17, exec_lo
	v_cmpx_ne_u16_e32 0, v33
	s_cbranch_execz .LBB359_435
; %bb.428:                              ;   in Loop: Header=BB359_11 Depth=1
	v_bfrev_b32_e32 v32, 1
	s_mov_b32 s18, exec_lo
	v_cmpx_ne_u16_e32 0x80, v33
	s_cbranch_execz .LBB359_434
; %bb.429:                              ;   in Loop: Header=BB359_11 Depth=1
	v_and_b32_e32 v33, 0x7f, v31
	v_mov_b32_e32 v32, 0x7fc02000
	s_mov_b32 s19, exec_lo
	s_delay_alu instid0(VALU_DEP_2)
	v_cmpx_ne_u32_e32 0x7f, v33
	s_cbranch_execz .LBB359_433
; %bb.430:                              ;   in Loop: Header=BB359_11 Depth=1
	v_lshrrev_b32_e32 v165, 3, v33
	v_cmp_gt_u32_e64 s1, 8, v33
	v_dual_mov_b32 v33, v9 :: v_dual_mov_b32 v32, v8
	s_delay_alu instid0(VALU_DEP_2)
	s_and_saveexec_b32 s20, s1
; %bb.431:                              ;   in Loop: Header=BB359_11 Depth=1
	v_and_b32_e32 v32, 7, v31
	s_delay_alu instid0(VALU_DEP_1) | instskip(NEXT) | instid1(VALU_DEP_1)
	v_clz_i32_u32_e32 v32, v32
	v_min_u32_e32 v165, 32, v32
	s_delay_alu instid0(VALU_DEP_1) | instskip(SKIP_1) | instid1(VALU_DEP_2)
	v_subrev_nc_u32_e32 v32, 28, v165
	v_sub_nc_u32_e32 v165, 29, v165
	v_lshlrev_b64 v[32:33], v32, v[8:9]
; %bb.432:                              ;   in Loop: Header=BB359_11 Depth=1
	s_or_b32 exec_lo, exec_lo, s20
	v_lshlrev_b32_e32 v33, 8, v31
	s_delay_alu instid0(VALU_DEP_3) | instskip(NEXT) | instid1(VALU_DEP_3)
	v_lshl_add_u32 v165, v165, 10, 0x2000
	v_lshlrev_b32_e32 v32, 7, v32
	s_delay_alu instid0(VALU_DEP_2) | instskip(NEXT) | instid1(VALU_DEP_1)
	v_and_or_b32 v33, 0x8000, v33, v165
	v_and_or_b32 v32, 0x380, v32, v33
	s_delay_alu instid0(VALU_DEP_1)
	v_cvt_f32_f16_e32 v32, v32
.LBB359_433:                            ;   in Loop: Header=BB359_11 Depth=1
	s_or_b32 exec_lo, exec_lo, s19
.LBB359_434:                            ;   in Loop: Header=BB359_11 Depth=1
	s_delay_alu instid0(SALU_CYCLE_1)
	s_or_b32 exec_lo, exec_lo, s18
.LBB359_435:                            ;   in Loop: Header=BB359_11 Depth=1
	s_delay_alu instid0(SALU_CYCLE_1) | instskip(SKIP_4) | instid1(VALU_DEP_3)
	s_or_b32 exec_lo, exec_lo, s17
	v_lshrrev_b16 v8, 8, v8
	v_mov_b32_e32 v33, 0
	v_mov_b32_e32 v177, 0
	s_mov_b32 s17, exec_lo
	v_cmpx_ne_u16_e32 0, v8
	s_cbranch_execz .LBB359_443
; %bb.436:                              ;   in Loop: Header=BB359_11 Depth=1
	v_bfrev_b32_e32 v177, 1
	s_mov_b32 s18, exec_lo
	v_cmpx_ne_u16_e32 0x80, v8
	s_cbranch_execz .LBB359_442
; %bb.437:                              ;   in Loop: Header=BB359_11 Depth=1
	v_and_b32_e32 v165, 0xffff, v8
	v_mov_b32_e32 v177, 0x7fc02000
	s_mov_b32 s19, exec_lo
	s_delay_alu instid0(VALU_DEP_2) | instskip(NEXT) | instid1(VALU_DEP_1)
	v_and_b32_e32 v167, 0x7f, v165
	v_cmpx_ne_u32_e32 0x7f, v167
	s_cbranch_execz .LBB359_441
; %bb.438:                              ;   in Loop: Header=BB359_11 Depth=1
	v_and_b32_e32 v8, 7, v165
	v_lshrrev_b32_e32 v166, 3, v167
	s_mov_b32 s20, exec_lo
	v_cmpx_gt_u32_e32 8, v167
; %bb.439:                              ;   in Loop: Header=BB359_11 Depth=1
	s_delay_alu instid0(VALU_DEP_3) | instskip(NEXT) | instid1(VALU_DEP_1)
	v_clz_i32_u32_e32 v166, v8
	v_min_u32_e32 v166, 32, v166
	s_delay_alu instid0(VALU_DEP_1) | instskip(SKIP_1) | instid1(VALU_DEP_2)
	v_subrev_nc_u32_e32 v167, 28, v166
	v_sub_nc_u32_e32 v166, 29, v166
	v_lshlrev_b64 v[176:177], v167, v[8:9]
	s_delay_alu instid0(VALU_DEP_1)
	v_and_b32_e32 v8, 7, v176
; %bb.440:                              ;   in Loop: Header=BB359_11 Depth=1
	s_or_b32 exec_lo, exec_lo, s20
	v_lshlrev_b32_e32 v165, 8, v165
	v_lshl_add_u32 v166, v166, 10, 0x2000
	s_delay_alu instid0(VALU_DEP_1) | instskip(NEXT) | instid1(VALU_DEP_1)
	v_and_or_b32 v165, 0x8000, v165, v166
	v_lshl_or_b32 v8, v8, 7, v165
	s_delay_alu instid0(VALU_DEP_1)
	v_cvt_f32_f16_e64 v177, v8
.LBB359_441:                            ;   in Loop: Header=BB359_11 Depth=1
	s_or_b32 exec_lo, exec_lo, s19
.LBB359_442:                            ;   in Loop: Header=BB359_11 Depth=1
	s_delay_alu instid0(SALU_CYCLE_1)
	s_or_b32 exec_lo, exec_lo, s18
.LBB359_443:                            ;   in Loop: Header=BB359_11 Depth=1
	s_delay_alu instid0(SALU_CYCLE_1) | instskip(SKIP_2) | instid1(VALU_DEP_1)
	s_or_b32 exec_lo, exec_lo, s17
	v_lshrrev_b32_e32 v165, 16, v31
	s_mov_b32 s17, exec_lo
	v_and_b32_e32 v8, 0xff, v165
	s_delay_alu instid0(VALU_DEP_1)
	v_cmpx_ne_u16_e32 0, v8
	s_cbranch_execz .LBB359_451
; %bb.444:                              ;   in Loop: Header=BB359_11 Depth=1
	v_bfrev_b32_e32 v33, 1
	s_mov_b32 s18, exec_lo
	v_cmpx_ne_u16_e32 0x80, v8
	s_cbranch_execz .LBB359_450
; %bb.445:                              ;   in Loop: Header=BB359_11 Depth=1
	v_bfe_u32 v166, v31, 16, 7
	v_mov_b32_e32 v33, 0x7fc02000
	s_mov_b32 s19, exec_lo
	s_delay_alu instid0(VALU_DEP_2)
	v_cmpx_ne_u32_e32 0x7f, v166
	s_cbranch_execz .LBB359_449
; %bb.446:                              ;   in Loop: Header=BB359_11 Depth=1
	v_and_b32_e32 v8, 7, v165
	v_lshrrev_b32_e32 v33, 3, v166
	s_mov_b32 s20, exec_lo
	v_cmpx_gt_u32_e32 8, v166
; %bb.447:                              ;   in Loop: Header=BB359_11 Depth=1
	s_delay_alu instid0(VALU_DEP_3) | instskip(NEXT) | instid1(VALU_DEP_1)
	v_clz_i32_u32_e32 v33, v8
	v_min_u32_e32 v33, 32, v33
	s_delay_alu instid0(VALU_DEP_1) | instskip(SKIP_1) | instid1(VALU_DEP_2)
	v_subrev_nc_u32_e32 v166, 28, v33
	v_sub_nc_u32_e32 v33, 29, v33
	v_lshlrev_b64 v[166:167], v166, v[8:9]
	s_delay_alu instid0(VALU_DEP_1)
	v_and_b32_e32 v8, 7, v166
; %bb.448:                              ;   in Loop: Header=BB359_11 Depth=1
	s_or_b32 exec_lo, exec_lo, s20
	v_lshlrev_b32_e32 v165, 8, v165
	v_lshl_add_u32 v33, v33, 10, 0x2000
	s_delay_alu instid0(VALU_DEP_1) | instskip(NEXT) | instid1(VALU_DEP_1)
	v_and_or_b32 v33, 0x8000, v165, v33
	v_lshl_or_b32 v8, v8, 7, v33
	s_delay_alu instid0(VALU_DEP_1)
	v_cvt_f32_f16_e32 v33, v8
.LBB359_449:                            ;   in Loop: Header=BB359_11 Depth=1
	s_or_b32 exec_lo, exec_lo, s19
.LBB359_450:                            ;   in Loop: Header=BB359_11 Depth=1
	s_delay_alu instid0(SALU_CYCLE_1)
	s_or_b32 exec_lo, exec_lo, s18
.LBB359_451:                            ;   in Loop: Header=BB359_11 Depth=1
	s_delay_alu instid0(SALU_CYCLE_1)
	s_or_b32 exec_lo, exec_lo, s17
	v_mov_b32_e32 v180, 0
	v_mov_b32_e32 v178, 0
	s_mov_b32 s17, exec_lo
	v_cmpx_lt_u64_e64 s[2:3], v[30:31]
	s_cbranch_execz .LBB359_459
; %bb.452:                              ;   in Loop: Header=BB359_11 Depth=1
	v_lshrrev_b32_e32 v30, 24, v31
	v_bfrev_b32_e32 v178, 1
	s_mov_b32 s18, exec_lo
	s_delay_alu instid0(VALU_DEP_2)
	v_cmpx_ne_u32_e32 0x80, v30
	s_cbranch_execz .LBB359_458
; %bb.453:                              ;   in Loop: Header=BB359_11 Depth=1
	v_and_b32_e32 v165, 0x7f, v30
	v_mov_b32_e32 v178, 0x7fc02000
	s_mov_b32 s19, exec_lo
	s_delay_alu instid0(VALU_DEP_2)
	v_cmpx_ne_u32_e32 0x7f, v165
	s_cbranch_execz .LBB359_457
; %bb.454:                              ;   in Loop: Header=BB359_11 Depth=1
	v_and_b32_e32 v8, 7, v30
	v_lshrrev_b32_e32 v31, 3, v165
	s_mov_b32 s20, exec_lo
	v_cmpx_gt_u32_e32 8, v165
; %bb.455:                              ;   in Loop: Header=BB359_11 Depth=1
	s_delay_alu instid0(VALU_DEP_3) | instskip(NEXT) | instid1(VALU_DEP_1)
	v_clz_i32_u32_e32 v31, v8
	v_min_u32_e32 v31, 32, v31
	s_delay_alu instid0(VALU_DEP_1) | instskip(SKIP_1) | instid1(VALU_DEP_2)
	v_subrev_nc_u32_e32 v165, 28, v31
	v_sub_nc_u32_e32 v31, 29, v31
	v_lshlrev_b64 v[165:166], v165, v[8:9]
	s_delay_alu instid0(VALU_DEP_1)
	v_and_b32_e32 v8, 7, v165
; %bb.456:                              ;   in Loop: Header=BB359_11 Depth=1
	s_or_b32 exec_lo, exec_lo, s20
	v_lshlrev_b32_e32 v30, 8, v30
	v_lshl_add_u32 v31, v31, 10, 0x2000
	s_delay_alu instid0(VALU_DEP_1) | instskip(NEXT) | instid1(VALU_DEP_1)
	v_and_or_b32 v30, 0x8000, v30, v31
	v_lshl_or_b32 v8, v8, 7, v30
	s_delay_alu instid0(VALU_DEP_1)
	v_cvt_f32_f16_e64 v178, v8
.LBB359_457:                            ;   in Loop: Header=BB359_11 Depth=1
	s_or_b32 exec_lo, exec_lo, s19
.LBB359_458:                            ;   in Loop: Header=BB359_11 Depth=1
	s_delay_alu instid0(SALU_CYCLE_1)
	s_or_b32 exec_lo, exec_lo, s18
.LBB359_459:                            ;   in Loop: Header=BB359_11 Depth=1
	s_delay_alu instid0(SALU_CYCLE_1) | instskip(SKIP_4) | instid1(VALU_DEP_1)
	s_or_b32 exec_lo, exec_lo, s17
	flat_load_b64 v[28:29], v[28:29] offset:1544
	s_mov_b32 s17, exec_lo
	s_waitcnt vmcnt(0) lgkmcnt(0)
	v_and_b32_e32 v8, 0xff, v28
	v_cmpx_ne_u16_e32 0, v8
	s_cbranch_execz .LBB359_467
; %bb.460:                              ;   in Loop: Header=BB359_11 Depth=1
	v_bfrev_b32_e32 v180, 1
	s_mov_b32 s18, exec_lo
	v_cmpx_ne_u16_e32 0x80, v8
	s_cbranch_execz .LBB359_466
; %bb.461:                              ;   in Loop: Header=BB359_11 Depth=1
	v_and_b32_e32 v30, 0x7f, v28
	v_mov_b32_e32 v180, 0x7fc02000
	s_mov_b32 s19, exec_lo
	s_delay_alu instid0(VALU_DEP_2)
	v_cmpx_ne_u32_e32 0x7f, v30
	s_cbranch_execz .LBB359_465
; %bb.462:                              ;   in Loop: Header=BB359_11 Depth=1
	v_lshrrev_b32_e32 v8, 3, v30
	v_cmp_gt_u32_e64 s1, 8, v30
	v_dual_mov_b32 v31, v29 :: v_dual_mov_b32 v30, v28
	s_delay_alu instid0(VALU_DEP_2)
	s_and_saveexec_b32 s20, s1
; %bb.463:                              ;   in Loop: Header=BB359_11 Depth=1
	v_and_b32_e32 v8, 7, v28
	s_delay_alu instid0(VALU_DEP_1) | instskip(NEXT) | instid1(VALU_DEP_1)
	v_clz_i32_u32_e32 v8, v8
	v_min_u32_e32 v8, 32, v8
	s_delay_alu instid0(VALU_DEP_1) | instskip(SKIP_1) | instid1(VALU_DEP_2)
	v_subrev_nc_u32_e32 v30, 28, v8
	v_sub_nc_u32_e32 v8, 29, v8
	v_lshlrev_b64 v[30:31], v30, v[28:29]
; %bb.464:                              ;   in Loop: Header=BB359_11 Depth=1
	s_or_b32 exec_lo, exec_lo, s20
	v_lshlrev_b32_e32 v31, 8, v28
	s_delay_alu instid0(VALU_DEP_3) | instskip(NEXT) | instid1(VALU_DEP_3)
	v_lshl_add_u32 v8, v8, 10, 0x2000
	v_lshlrev_b32_e32 v30, 7, v30
	s_delay_alu instid0(VALU_DEP_2) | instskip(NEXT) | instid1(VALU_DEP_1)
	v_and_or_b32 v8, 0x8000, v31, v8
	v_and_or_b32 v8, 0x380, v30, v8
	s_delay_alu instid0(VALU_DEP_1)
	v_cvt_f32_f16_e64 v180, v8
.LBB359_465:                            ;   in Loop: Header=BB359_11 Depth=1
	s_or_b32 exec_lo, exec_lo, s19
.LBB359_466:                            ;   in Loop: Header=BB359_11 Depth=1
	s_delay_alu instid0(SALU_CYCLE_1)
	s_or_b32 exec_lo, exec_lo, s18
.LBB359_467:                            ;   in Loop: Header=BB359_11 Depth=1
	s_delay_alu instid0(SALU_CYCLE_1) | instskip(SKIP_3) | instid1(VALU_DEP_2)
	s_or_b32 exec_lo, exec_lo, s17
	v_lshrrev_b16 v8, 8, v28
	v_dual_mov_b32 v181, 0 :: v_dual_mov_b32 v182, 0
	s_mov_b32 s17, exec_lo
	v_cmpx_ne_u16_e32 0, v8
	s_cbranch_execz .LBB359_475
; %bb.468:                              ;   in Loop: Header=BB359_11 Depth=1
	v_bfrev_b32_e32 v182, 1
	s_mov_b32 s18, exec_lo
	v_cmpx_ne_u16_e32 0x80, v8
	s_cbranch_execz .LBB359_474
; %bb.469:                              ;   in Loop: Header=BB359_11 Depth=1
	v_and_b32_e32 v30, 0xffff, v8
	v_mov_b32_e32 v182, 0x7fc02000
	s_mov_b32 s19, exec_lo
	s_delay_alu instid0(VALU_DEP_2) | instskip(NEXT) | instid1(VALU_DEP_1)
	v_and_b32_e32 v165, 0x7f, v30
	v_cmpx_ne_u32_e32 0x7f, v165
	s_cbranch_execz .LBB359_473
; %bb.470:                              ;   in Loop: Header=BB359_11 Depth=1
	v_and_b32_e32 v8, 7, v30
	v_lshrrev_b32_e32 v31, 3, v165
	s_mov_b32 s20, exec_lo
	v_cmpx_gt_u32_e32 8, v165
; %bb.471:                              ;   in Loop: Header=BB359_11 Depth=1
	s_delay_alu instid0(VALU_DEP_3) | instskip(NEXT) | instid1(VALU_DEP_1)
	v_clz_i32_u32_e32 v31, v8
	v_min_u32_e32 v31, 32, v31
	s_delay_alu instid0(VALU_DEP_1) | instskip(SKIP_1) | instid1(VALU_DEP_2)
	v_subrev_nc_u32_e32 v165, 28, v31
	v_sub_nc_u32_e32 v31, 29, v31
	v_lshlrev_b64 v[165:166], v165, v[8:9]
	s_delay_alu instid0(VALU_DEP_1)
	v_and_b32_e32 v8, 7, v165
; %bb.472:                              ;   in Loop: Header=BB359_11 Depth=1
	s_or_b32 exec_lo, exec_lo, s20
	v_lshlrev_b32_e32 v30, 8, v30
	v_lshl_add_u32 v31, v31, 10, 0x2000
	s_delay_alu instid0(VALU_DEP_1) | instskip(NEXT) | instid1(VALU_DEP_1)
	v_and_or_b32 v30, 0x8000, v30, v31
	v_lshl_or_b32 v8, v8, 7, v30
	s_delay_alu instid0(VALU_DEP_1)
	v_cvt_f32_f16_e64 v182, v8
.LBB359_473:                            ;   in Loop: Header=BB359_11 Depth=1
	s_or_b32 exec_lo, exec_lo, s19
.LBB359_474:                            ;   in Loop: Header=BB359_11 Depth=1
	s_delay_alu instid0(SALU_CYCLE_1)
	s_or_b32 exec_lo, exec_lo, s18
.LBB359_475:                            ;   in Loop: Header=BB359_11 Depth=1
	s_delay_alu instid0(SALU_CYCLE_1) | instskip(SKIP_2) | instid1(VALU_DEP_1)
	s_or_b32 exec_lo, exec_lo, s17
	v_lshrrev_b32_e32 v30, 16, v28
	s_mov_b32 s17, exec_lo
	v_and_b32_e32 v8, 0xff, v30
	s_delay_alu instid0(VALU_DEP_1)
	v_cmpx_ne_u16_e32 0, v8
	s_cbranch_execz .LBB359_483
; %bb.476:                              ;   in Loop: Header=BB359_11 Depth=1
	v_bfrev_b32_e32 v181, 1
	s_mov_b32 s18, exec_lo
	v_cmpx_ne_u16_e32 0x80, v8
	s_cbranch_execz .LBB359_482
; %bb.477:                              ;   in Loop: Header=BB359_11 Depth=1
	v_bfe_u32 v165, v28, 16, 7
	v_mov_b32_e32 v181, 0x7fc02000
	s_mov_b32 s19, exec_lo
	s_delay_alu instid0(VALU_DEP_2)
	v_cmpx_ne_u32_e32 0x7f, v165
	s_cbranch_execz .LBB359_481
; %bb.478:                              ;   in Loop: Header=BB359_11 Depth=1
	v_and_b32_e32 v8, 7, v30
	v_lshrrev_b32_e32 v31, 3, v165
	s_mov_b32 s20, exec_lo
	v_cmpx_gt_u32_e32 8, v165
; %bb.479:                              ;   in Loop: Header=BB359_11 Depth=1
	s_delay_alu instid0(VALU_DEP_3) | instskip(NEXT) | instid1(VALU_DEP_1)
	v_clz_i32_u32_e32 v31, v8
	v_min_u32_e32 v31, 32, v31
	s_delay_alu instid0(VALU_DEP_1) | instskip(SKIP_1) | instid1(VALU_DEP_2)
	v_subrev_nc_u32_e32 v165, 28, v31
	v_sub_nc_u32_e32 v31, 29, v31
	v_lshlrev_b64 v[165:166], v165, v[8:9]
	s_delay_alu instid0(VALU_DEP_1)
	v_and_b32_e32 v8, 7, v165
; %bb.480:                              ;   in Loop: Header=BB359_11 Depth=1
	s_or_b32 exec_lo, exec_lo, s20
	v_lshlrev_b32_e32 v30, 8, v30
	v_lshl_add_u32 v31, v31, 10, 0x2000
	s_delay_alu instid0(VALU_DEP_1) | instskip(NEXT) | instid1(VALU_DEP_1)
	v_and_or_b32 v30, 0x8000, v30, v31
	v_lshl_or_b32 v8, v8, 7, v30
	s_delay_alu instid0(VALU_DEP_1)
	v_cvt_f32_f16_e64 v181, v8
.LBB359_481:                            ;   in Loop: Header=BB359_11 Depth=1
	s_or_b32 exec_lo, exec_lo, s19
.LBB359_482:                            ;   in Loop: Header=BB359_11 Depth=1
	s_delay_alu instid0(SALU_CYCLE_1)
	s_or_b32 exec_lo, exec_lo, s18
.LBB359_483:                            ;   in Loop: Header=BB359_11 Depth=1
	s_delay_alu instid0(SALU_CYCLE_1)
	s_or_b32 exec_lo, exec_lo, s17
	v_mov_b32_e32 v31, 0
	v_mov_b32_e32 v183, 0
	s_mov_b32 s17, exec_lo
	v_cmpx_lt_u32_e32 0xffffff, v28
	s_cbranch_execz .LBB359_491
; %bb.484:                              ;   in Loop: Header=BB359_11 Depth=1
	v_lshrrev_b32_e32 v30, 24, v28
	v_bfrev_b32_e32 v183, 1
	s_mov_b32 s18, exec_lo
	s_delay_alu instid0(VALU_DEP_2)
	v_cmpx_ne_u32_e32 0x80, v30
	s_cbranch_execz .LBB359_490
; %bb.485:                              ;   in Loop: Header=BB359_11 Depth=1
	v_and_b32_e32 v166, 0x7f, v30
	v_mov_b32_e32 v183, 0x7fc02000
	s_mov_b32 s19, exec_lo
	s_delay_alu instid0(VALU_DEP_2)
	v_cmpx_ne_u32_e32 0x7f, v166
	s_cbranch_execz .LBB359_489
; %bb.486:                              ;   in Loop: Header=BB359_11 Depth=1
	v_and_b32_e32 v8, 7, v30
	v_lshrrev_b32_e32 v165, 3, v166
	s_mov_b32 s20, exec_lo
	v_cmpx_gt_u32_e32 8, v166
; %bb.487:                              ;   in Loop: Header=BB359_11 Depth=1
	s_delay_alu instid0(VALU_DEP_3) | instskip(NEXT) | instid1(VALU_DEP_1)
	v_clz_i32_u32_e32 v165, v8
	v_min_u32_e32 v165, 32, v165
	s_delay_alu instid0(VALU_DEP_1) | instskip(SKIP_1) | instid1(VALU_DEP_2)
	v_subrev_nc_u32_e32 v166, 28, v165
	v_sub_nc_u32_e32 v165, 29, v165
	v_lshlrev_b64 v[166:167], v166, v[8:9]
	s_delay_alu instid0(VALU_DEP_1)
	v_and_b32_e32 v8, 7, v166
; %bb.488:                              ;   in Loop: Header=BB359_11 Depth=1
	s_or_b32 exec_lo, exec_lo, s20
	v_lshlrev_b32_e32 v30, 8, v30
	v_lshl_add_u32 v165, v165, 10, 0x2000
	s_delay_alu instid0(VALU_DEP_1) | instskip(NEXT) | instid1(VALU_DEP_1)
	v_and_or_b32 v30, 0x8000, v30, v165
	v_lshl_or_b32 v8, v8, 7, v30
	s_delay_alu instid0(VALU_DEP_1)
	v_cvt_f32_f16_e64 v183, v8
.LBB359_489:                            ;   in Loop: Header=BB359_11 Depth=1
	s_or_b32 exec_lo, exec_lo, s19
.LBB359_490:                            ;   in Loop: Header=BB359_11 Depth=1
	s_delay_alu instid0(SALU_CYCLE_1)
	s_or_b32 exec_lo, exec_lo, s18
.LBB359_491:                            ;   in Loop: Header=BB359_11 Depth=1
	s_delay_alu instid0(SALU_CYCLE_1) | instskip(SKIP_3) | instid1(VALU_DEP_2)
	s_or_b32 exec_lo, exec_lo, s17
	v_and_b32_e32 v30, 0xff, v29
	v_mov_b32_e32 v8, v29
	s_mov_b32 s17, exec_lo
	v_cmpx_ne_u16_e32 0, v30
	s_cbranch_execz .LBB359_499
; %bb.492:                              ;   in Loop: Header=BB359_11 Depth=1
	v_bfrev_b32_e32 v31, 1
	s_mov_b32 s18, exec_lo
	v_cmpx_ne_u16_e32 0x80, v30
	s_cbranch_execz .LBB359_498
; %bb.493:                              ;   in Loop: Header=BB359_11 Depth=1
	v_and_b32_e32 v30, 0x7f, v29
	v_mov_b32_e32 v31, 0x7fc02000
	s_mov_b32 s19, exec_lo
	s_delay_alu instid0(VALU_DEP_2)
	v_cmpx_ne_u32_e32 0x7f, v30
	s_cbranch_execz .LBB359_497
; %bb.494:                              ;   in Loop: Header=BB359_11 Depth=1
	v_lshrrev_b32_e32 v165, 3, v30
	v_cmp_gt_u32_e64 s1, 8, v30
	v_dual_mov_b32 v31, v9 :: v_dual_mov_b32 v30, v8
	s_delay_alu instid0(VALU_DEP_2)
	s_and_saveexec_b32 s20, s1
; %bb.495:                              ;   in Loop: Header=BB359_11 Depth=1
	v_and_b32_e32 v30, 7, v29
	s_delay_alu instid0(VALU_DEP_1) | instskip(NEXT) | instid1(VALU_DEP_1)
	v_clz_i32_u32_e32 v30, v30
	v_min_u32_e32 v165, 32, v30
	s_delay_alu instid0(VALU_DEP_1) | instskip(SKIP_1) | instid1(VALU_DEP_2)
	v_subrev_nc_u32_e32 v30, 28, v165
	v_sub_nc_u32_e32 v165, 29, v165
	v_lshlrev_b64 v[30:31], v30, v[8:9]
; %bb.496:                              ;   in Loop: Header=BB359_11 Depth=1
	s_or_b32 exec_lo, exec_lo, s20
	v_lshlrev_b32_e32 v31, 8, v29
	s_delay_alu instid0(VALU_DEP_3) | instskip(NEXT) | instid1(VALU_DEP_3)
	v_lshl_add_u32 v165, v165, 10, 0x2000
	v_lshlrev_b32_e32 v30, 7, v30
	s_delay_alu instid0(VALU_DEP_2) | instskip(NEXT) | instid1(VALU_DEP_1)
	v_and_or_b32 v31, 0x8000, v31, v165
	v_and_or_b32 v30, 0x380, v30, v31
	s_delay_alu instid0(VALU_DEP_1)
	v_cvt_f32_f16_e32 v31, v30
.LBB359_497:                            ;   in Loop: Header=BB359_11 Depth=1
	s_or_b32 exec_lo, exec_lo, s19
.LBB359_498:                            ;   in Loop: Header=BB359_11 Depth=1
	s_delay_alu instid0(SALU_CYCLE_1)
	s_or_b32 exec_lo, exec_lo, s18
.LBB359_499:                            ;   in Loop: Header=BB359_11 Depth=1
	s_delay_alu instid0(SALU_CYCLE_1) | instskip(SKIP_4) | instid1(VALU_DEP_3)
	s_or_b32 exec_lo, exec_lo, s17
	v_lshrrev_b16 v8, 8, v8
	v_mov_b32_e32 v40, 0
	v_mov_b32_e32 v30, 0
	s_mov_b32 s17, exec_lo
	v_cmpx_ne_u16_e32 0, v8
	s_cbranch_execz .LBB359_507
; %bb.500:                              ;   in Loop: Header=BB359_11 Depth=1
	v_bfrev_b32_e32 v30, 1
	s_mov_b32 s18, exec_lo
	v_cmpx_ne_u16_e32 0x80, v8
	s_cbranch_execz .LBB359_506
; %bb.501:                              ;   in Loop: Header=BB359_11 Depth=1
	v_and_b32_e32 v165, 0xffff, v8
	v_mov_b32_e32 v30, 0x7fc02000
	s_mov_b32 s19, exec_lo
	s_delay_alu instid0(VALU_DEP_2) | instskip(NEXT) | instid1(VALU_DEP_1)
	v_and_b32_e32 v166, 0x7f, v165
	v_cmpx_ne_u32_e32 0x7f, v166
	s_cbranch_execz .LBB359_505
; %bb.502:                              ;   in Loop: Header=BB359_11 Depth=1
	v_and_b32_e32 v8, 7, v165
	v_lshrrev_b32_e32 v30, 3, v166
	s_mov_b32 s20, exec_lo
	v_cmpx_gt_u32_e32 8, v166
; %bb.503:                              ;   in Loop: Header=BB359_11 Depth=1
	s_delay_alu instid0(VALU_DEP_3) | instskip(NEXT) | instid1(VALU_DEP_1)
	v_clz_i32_u32_e32 v30, v8
	v_min_u32_e32 v30, 32, v30
	s_delay_alu instid0(VALU_DEP_1) | instskip(SKIP_1) | instid1(VALU_DEP_2)
	v_subrev_nc_u32_e32 v166, 28, v30
	v_sub_nc_u32_e32 v30, 29, v30
	v_lshlrev_b64 v[166:167], v166, v[8:9]
	s_delay_alu instid0(VALU_DEP_1)
	v_and_b32_e32 v8, 7, v166
; %bb.504:                              ;   in Loop: Header=BB359_11 Depth=1
	s_or_b32 exec_lo, exec_lo, s20
	v_lshlrev_b32_e32 v165, 8, v165
	v_lshl_add_u32 v30, v30, 10, 0x2000
	s_delay_alu instid0(VALU_DEP_1) | instskip(NEXT) | instid1(VALU_DEP_1)
	v_and_or_b32 v30, 0x8000, v165, v30
	v_lshl_or_b32 v8, v8, 7, v30
	s_delay_alu instid0(VALU_DEP_1)
	v_cvt_f32_f16_e32 v30, v8
.LBB359_505:                            ;   in Loop: Header=BB359_11 Depth=1
	s_or_b32 exec_lo, exec_lo, s19
.LBB359_506:                            ;   in Loop: Header=BB359_11 Depth=1
	s_delay_alu instid0(SALU_CYCLE_1)
	s_or_b32 exec_lo, exec_lo, s18
.LBB359_507:                            ;   in Loop: Header=BB359_11 Depth=1
	s_delay_alu instid0(SALU_CYCLE_1) | instskip(SKIP_2) | instid1(VALU_DEP_1)
	s_or_b32 exec_lo, exec_lo, s17
	v_lshrrev_b32_e32 v165, 16, v29
	s_mov_b32 s17, exec_lo
	v_and_b32_e32 v8, 0xff, v165
	s_delay_alu instid0(VALU_DEP_1)
	v_cmpx_ne_u16_e32 0, v8
	s_cbranch_execz .LBB359_515
; %bb.508:                              ;   in Loop: Header=BB359_11 Depth=1
	v_bfrev_b32_e32 v40, 1
	s_mov_b32 s18, exec_lo
	v_cmpx_ne_u16_e32 0x80, v8
	s_cbranch_execz .LBB359_514
; %bb.509:                              ;   in Loop: Header=BB359_11 Depth=1
	v_bfe_u32 v167, v29, 16, 7
	v_mov_b32_e32 v40, 0x7fc02000
	s_mov_b32 s19, exec_lo
	s_delay_alu instid0(VALU_DEP_2)
	v_cmpx_ne_u32_e32 0x7f, v167
	s_cbranch_execz .LBB359_513
; %bb.510:                              ;   in Loop: Header=BB359_11 Depth=1
	v_and_b32_e32 v8, 7, v165
	v_lshrrev_b32_e32 v166, 3, v167
	s_mov_b32 s20, exec_lo
	v_cmpx_gt_u32_e32 8, v167
; %bb.511:                              ;   in Loop: Header=BB359_11 Depth=1
	s_delay_alu instid0(VALU_DEP_3) | instskip(NEXT) | instid1(VALU_DEP_1)
	v_clz_i32_u32_e32 v166, v8
	v_min_u32_e32 v166, 32, v166
	s_delay_alu instid0(VALU_DEP_1) | instskip(SKIP_1) | instid1(VALU_DEP_2)
	v_subrev_nc_u32_e32 v167, 28, v166
	v_sub_nc_u32_e32 v166, 29, v166
	v_lshlrev_b64 v[40:41], v167, v[8:9]
	s_delay_alu instid0(VALU_DEP_1)
	v_and_b32_e32 v8, 7, v40
; %bb.512:                              ;   in Loop: Header=BB359_11 Depth=1
	s_or_b32 exec_lo, exec_lo, s20
	v_lshlrev_b32_e32 v165, 8, v165
	v_lshl_add_u32 v166, v166, 10, 0x2000
	s_delay_alu instid0(VALU_DEP_1) | instskip(NEXT) | instid1(VALU_DEP_1)
	v_and_or_b32 v165, 0x8000, v165, v166
	v_lshl_or_b32 v8, v8, 7, v165
	s_delay_alu instid0(VALU_DEP_1)
	v_cvt_f32_f16_e32 v40, v8
.LBB359_513:                            ;   in Loop: Header=BB359_11 Depth=1
	s_or_b32 exec_lo, exec_lo, s19
.LBB359_514:                            ;   in Loop: Header=BB359_11 Depth=1
	s_delay_alu instid0(SALU_CYCLE_1)
	s_or_b32 exec_lo, exec_lo, s18
.LBB359_515:                            ;   in Loop: Header=BB359_11 Depth=1
	s_delay_alu instid0(SALU_CYCLE_1) | instskip(SKIP_2) | instid1(VALU_DEP_2)
	s_or_b32 exec_lo, exec_lo, s17
	v_cmp_lt_u64_e64 s1, s[2:3], v[28:29]
	v_mov_b32_e32 v28, 0
	s_and_saveexec_b32 s17, s1
	s_cbranch_execz .LBB359_10
; %bb.516:                              ;   in Loop: Header=BB359_11 Depth=1
	v_lshrrev_b32_e32 v29, 24, v29
	v_bfrev_b32_e32 v28, 1
	s_mov_b32 s18, exec_lo
	s_delay_alu instid0(VALU_DEP_2)
	v_cmpx_ne_u32_e32 0x80, v29
	s_cbranch_execz .LBB359_9
; %bb.517:                              ;   in Loop: Header=BB359_11 Depth=1
	v_and_b32_e32 v165, 0x7f, v29
	v_mov_b32_e32 v28, 0x7fc02000
	s_mov_b32 s19, exec_lo
	s_delay_alu instid0(VALU_DEP_2)
	v_cmpx_ne_u32_e32 0x7f, v165
	s_cbranch_execz .LBB359_8
; %bb.518:                              ;   in Loop: Header=BB359_11 Depth=1
	v_and_b32_e32 v8, 7, v29
	v_lshrrev_b32_e32 v28, 3, v165
	s_mov_b32 s20, exec_lo
	v_cmpx_gt_u32_e32 8, v165
	s_cbranch_execz .LBB359_7
; %bb.519:                              ;   in Loop: Header=BB359_11 Depth=1
	v_clz_i32_u32_e32 v28, v8
	s_delay_alu instid0(VALU_DEP_1) | instskip(NEXT) | instid1(VALU_DEP_1)
	v_min_u32_e32 v28, 32, v28
	v_subrev_nc_u32_e32 v165, 28, v28
	v_sub_nc_u32_e32 v28, 29, v28
	s_delay_alu instid0(VALU_DEP_2) | instskip(NEXT) | instid1(VALU_DEP_1)
	v_lshlrev_b64 v[165:166], v165, v[8:9]
	v_and_b32_e32 v8, 7, v165
	s_branch .LBB359_7
.LBB359_520:
	s_or_b32 exec_lo, exec_lo, s7
.LBB359_521:
	s_delay_alu instid0(SALU_CYCLE_1) | instskip(SKIP_2) | instid1(VALU_DEP_1)
	s_or_b32 exec_lo, exec_lo, s9
	v_mbcnt_lo_u32_b32 v8, -1, 0
	s_lshr_b32 s9, s13, 16
	v_xor_b32_e32 v9, 16, v8
	v_xor_b32_e32 v18, 8, v8
	;; [unrolled: 1-line block ×3, first 2 shown]
	s_delay_alu instid0(VALU_DEP_3) | instskip(SKIP_1) | instid1(VALU_DEP_4)
	v_cmp_gt_i32_e32 vcc_lo, 32, v9
	v_cndmask_b32_e32 v9, v8, v9, vcc_lo
	v_cmp_gt_i32_e32 vcc_lo, 32, v18
	v_dual_max_f32 v19, v51, v51 :: v_dual_cndmask_b32 v18, v8, v18
	s_delay_alu instid0(VALU_DEP_1) | instskip(NEXT) | instid1(VALU_DEP_4)
	v_lshlrev_b32_e32 v20, 2, v18
	v_lshlrev_b32_e32 v13, 2, v9
	ds_bpermute_b32 v9, v13, v51
	s_waitcnt lgkmcnt(0)
	v_max_f32_e32 v9, v9, v9
	s_delay_alu instid0(VALU_DEP_1) | instskip(SKIP_4) | instid1(VALU_DEP_1)
	v_max_f32_e32 v9, v19, v9
	v_xor_b32_e32 v19, 4, v8
	ds_bpermute_b32 v18, v20, v9
	v_cmp_gt_i32_e32 vcc_lo, 32, v19
	v_cndmask_b32_e32 v19, v8, v19, vcc_lo
	v_lshlrev_b32_e32 v21, 2, v19
	v_xor_b32_e32 v19, 2, v8
	s_delay_alu instid0(VALU_DEP_1) | instskip(SKIP_3) | instid1(VALU_DEP_2)
	v_cmp_gt_i32_e32 vcc_lo, 32, v19
	s_waitcnt lgkmcnt(0)
	v_dual_max_f32 v18, v18, v18 :: v_dual_cndmask_b32 v19, v8, v19
	v_cmp_gt_i32_e32 vcc_lo, 32, v24
	v_dual_cndmask_b32 v24, v8, v24 :: v_dual_lshlrev_b32 v19, 2, v19
	s_delay_alu instid0(VALU_DEP_3) | instskip(SKIP_4) | instid1(VALU_DEP_1)
	v_max_f32_e32 v9, v9, v18
	v_cmp_eq_u32_e32 vcc_lo, 0, v37
	ds_bpermute_b32 v18, v21, v9
	s_waitcnt lgkmcnt(0)
	v_max_f32_e32 v18, v18, v18
	v_max_f32_e32 v9, v9, v18
	ds_bpermute_b32 v18, v19, v9
	s_waitcnt lgkmcnt(0)
	v_max_f32_e32 v18, v18, v18
	s_delay_alu instid0(VALU_DEP_1)
	v_max_f32_e32 v8, v9, v18
	v_lshlrev_b32_e32 v18, 2, v24
	v_lshlrev_b32_e32 v24, 2, v36
	ds_bpermute_b32 v9, v18, v8
	s_and_saveexec_b32 s1, vcc_lo
	s_cbranch_execz .LBB359_523
; %bb.522:
	s_waitcnt lgkmcnt(0)
	v_dual_max_f32 v9, v9, v9 :: v_dual_max_f32 v8, v8, v8
	s_delay_alu instid0(VALU_DEP_1)
	v_max_f32_e32 v8, v8, v9
	ds_store_b32 v24, v8 offset:128
.LBB359_523:
	s_or_b32 exec_lo, exec_lo, s1
	v_cmp_gt_u32_e64 s1, 4, v37
	v_mov_b32_e32 v8, 0xff7fffff
	s_waitcnt lgkmcnt(0)
	s_barrier
	buffer_gl0_inv
	s_and_saveexec_b32 s2, s1
	s_cbranch_execz .LBB359_525
; %bb.524:
	ds_load_b32 v8, v49 offset:128
.LBB359_525:
	s_or_b32 exec_lo, exec_lo, s2
	s_waitcnt lgkmcnt(0)
	ds_bpermute_b32 v9, v19, v8
	v_max_f32_e32 v8, v8, v8
	v_subrev_nc_u32_e32 v28, s8, v23
	v_mov_b32_e32 v25, 0
	s_waitcnt lgkmcnt(0)
	v_max_f32_e32 v9, v9, v9
	s_delay_alu instid0(VALU_DEP_1) | instskip(SKIP_3) | instid1(VALU_DEP_1)
	v_max_f32_e32 v8, v8, v9
	ds_bpermute_b32 v9, v18, v8
	s_waitcnt lgkmcnt(0)
	v_max_f32_e32 v9, v9, v9
	v_max_f32_e32 v8, v8, v9
	v_lshl_add_u32 v9, v28, 5, s16
	ds_bpermute_b32 v8, v25, v8
	v_min_i32_e32 v9, v9, v35
	s_delay_alu instid0(VALU_DEP_1) | instskip(NEXT) | instid1(VALU_DEP_1)
	v_subrev_nc_u32_e32 v9, s16, v9
	v_cmp_lt_i32_e64 s2, v34, v9
	s_delay_alu instid0(VALU_DEP_1)
	s_and_saveexec_b32 s8, s2
	s_cbranch_execz .LBB359_529
; %bb.526:
	s_getpc_b64 s[18:19]
	s_add_u32 s18, s18, llvm.amdgcn.dynlds.offset.table@rel32@lo+4
	s_addc_u32 s19, s19, llvm.amdgcn.dynlds.offset.table@rel32@hi+12
	s_ashr_i32 s7, s6, 31
	v_mov_b32_e32 v25, 0
	s_lshl_b64 s[20:21], s[6:7], 2
	v_mov_b32_e32 v29, v34
	s_add_u32 s18, s20, s18
	s_addc_u32 s19, s21, s19
	s_mov_b32 s7, 0
	s_load_b32 s3, s[18:19], 0x0
	s_waitcnt lgkmcnt(0)
	v_lshl_add_u32 v28, v34, 2, s3
	.p2align	6
.LBB359_527:                            ; =>This Inner Loop Header: Depth=1
	ds_load_b32 v30, v28
	v_add_nc_u32_e32 v29, 0x80, v29
	s_delay_alu instid0(VALU_DEP_1) | instskip(NEXT) | instid1(VALU_DEP_1)
	v_cmp_ge_i32_e64 s3, v29, v9
	s_or_b32 s7, s3, s7
	s_waitcnt lgkmcnt(0)
	v_sub_f32_e32 v30, v30, v8
	s_delay_alu instid0(VALU_DEP_1) | instskip(NEXT) | instid1(VALU_DEP_1)
	v_mul_f32_e32 v30, 0x3fb8aa3b, v30
	v_exp_f32_e32 v30, v30
	ds_store_b32 v28, v30
	v_dual_add_f32 v25, v25, v30 :: v_dual_add_nc_u32 v28, 0x200, v28
	s_and_not1_b32 exec_lo, exec_lo, s7
	s_cbranch_execnz .LBB359_527
; %bb.528:
	s_or_b32 exec_lo, exec_lo, s7
.LBB359_529:
	s_delay_alu instid0(SALU_CYCLE_1)
	s_or_b32 exec_lo, exec_lo, s8
	ds_bpermute_b32 v13, v13, v25
	s_waitcnt lgkmcnt(0)
	v_add_f32_e32 v13, v25, v13
	ds_bpermute_b32 v20, v20, v13
	s_waitcnt lgkmcnt(0)
	v_add_f32_e32 v13, v13, v20
	;; [unrolled: 3-line block ×5, first 2 shown]
	s_and_saveexec_b32 s3, vcc_lo
	s_cbranch_execz .LBB359_531
; %bb.530:
	ds_store_b32 v24, v13 offset:144
.LBB359_531:
	s_or_b32 exec_lo, exec_lo, s3
	s_waitcnt lgkmcnt(0)
	s_barrier
	buffer_gl0_inv
	s_and_saveexec_b32 s3, s1
	s_cbranch_execz .LBB359_533
; %bb.532:
	ds_load_b32 v13, v49 offset:144
.LBB359_533:
	s_or_b32 exec_lo, exec_lo, s3
	s_waitcnt lgkmcnt(0)
	ds_bpermute_b32 v20, v19, v13
	s_waitcnt lgkmcnt(0)
	v_add_f32_e32 v13, v13, v20
	ds_bpermute_b32 v20, v18, v13
	s_waitcnt lgkmcnt(0)
	v_dual_add_f32 v13, v13, v20 :: v_dual_mov_b32 v20, 0
	ds_bpermute_b32 v13, v20, v13
	s_and_saveexec_b32 s1, s2
	s_cbranch_execz .LBB359_536
; %bb.534:
	s_waitcnt lgkmcnt(0)
	v_add_f32_e32 v21, 0x358637bd, v13
	s_getpc_b64 s[2:3]
	s_add_u32 s2, s2, llvm.amdgcn.dynlds.offset.table@rel32@lo+4
	s_addc_u32 s3, s3, llvm.amdgcn.dynlds.offset.table@rel32@hi+12
	s_ashr_i32 s7, s6, 31
	s_delay_alu instid0(SALU_CYCLE_1) | instskip(SKIP_4) | instid1(VALU_DEP_1)
	s_lshl_b64 s[18:19], s[6:7], 2
	v_div_scale_f32 v20, null, v21, v21, 1.0
	s_add_u32 s2, s18, s2
	s_addc_u32 s3, s19, s3
	s_load_b32 s2, s[2:3], 0x0
	v_rcp_f32_e32 v24, v20
	s_waitcnt_depctr 0xfff
	v_fma_f32 v25, -v20, v24, 1.0
	s_delay_alu instid0(VALU_DEP_1) | instskip(SKIP_1) | instid1(VALU_DEP_1)
	v_fmac_f32_e32 v24, v25, v24
	v_div_scale_f32 v28, vcc_lo, 1.0, v21, 1.0
	v_mul_f32_e32 v25, v28, v24
	s_delay_alu instid0(VALU_DEP_1) | instskip(NEXT) | instid1(VALU_DEP_1)
	v_fma_f32 v29, -v20, v25, v28
	v_fmac_f32_e32 v25, v29, v24
	s_delay_alu instid0(VALU_DEP_1) | instskip(NEXT) | instid1(VALU_DEP_1)
	v_fma_f32 v20, -v20, v25, v28
	v_div_fmas_f32 v24, v20, v24, v25
	s_waitcnt lgkmcnt(0)
	v_lshl_add_u32 v20, v34, 2, s2
	s_mov_b32 s2, 0
	s_delay_alu instid0(VALU_DEP_2)
	v_div_fixup_f32 v21, v24, v21, 1.0
	v_mov_b32_e32 v24, v34
.LBB359_535:                            ; =>This Inner Loop Header: Depth=1
	ds_load_b32 v25, v20
	s_waitcnt lgkmcnt(0)
	v_dual_mul_f32 v25, v21, v25 :: v_dual_add_nc_u32 v24, 0x80, v24
	s_delay_alu instid0(VALU_DEP_1) | instskip(SKIP_3) | instid1(SALU_CYCLE_1)
	v_cmp_ge_i32_e32 vcc_lo, v24, v9
	ds_store_b32 v20, v25
	v_add_nc_u32_e32 v20, 0x200, v20
	s_or_b32 s2, vcc_lo, s2
	s_and_not1_b32 exec_lo, exec_lo, s2
	s_cbranch_execnz .LBB359_535
.LBB359_536:
	s_or_b32 exec_lo, exec_lo, s1
	v_cmp_ne_u16_e64 s1, s9, 0
	s_waitcnt lgkmcnt(0)
	s_barrier
	buffer_gl0_inv
	s_cmp_lg_u32 s1, 0
	s_addc_u32 s1, s5, 0
	s_mov_b32 s5, exec_lo
	s_mul_i32 s2, s1, s10
	s_delay_alu instid0(SALU_CYCLE_1)
	s_mul_i32 s2, s2, s15
	v_cmpx_eq_u32_e32 0, v34
	s_cbranch_execz .LBB359_538
; %bb.537:
	s_mul_i32 s8, s1, s12
	s_ashr_i32 s15, s14, 31
	s_ashr_i32 s9, s8, 31
	;; [unrolled: 1-line block ×3, first 2 shown]
	s_lshl_b64 s[8:9], s[8:9], 2
	s_lshl_b64 s[12:13], s[14:15], 2
	;; [unrolled: 1-line block ×3, first 2 shown]
	s_add_u32 s3, s12, s8
	s_addc_u32 s7, s13, s9
	s_add_u32 s3, s3, s18
	s_addc_u32 s7, s7, s19
	v_add_co_u32 v2, vcc_lo, s3, v2
	v_add_co_ci_u32_e32 v3, vcc_lo, s7, v3, vcc_lo
	v_add_co_u32 v0, vcc_lo, s3, v0
	v_add_co_ci_u32_e32 v1, vcc_lo, s7, v1, vcc_lo
	flat_store_b32 v[2:3], v8
	flat_store_b32 v[0:1], v13
.LBB359_538:
	s_or_b32 exec_lo, exec_lo, s5
                                        ; implicit-def: $sgpr5
	s_and_saveexec_b32 s3, s0
	s_delay_alu instid0(SALU_CYCLE_1)
	s_xor_b32 s0, exec_lo, s3
; %bb.539:
	s_ashr_i32 s7, s6, 31
	s_mov_b32 s5, 0
                                        ; implicit-def: $vgpr35
                                        ; implicit-def: $vgpr12
                                        ; implicit-def: $vgpr23
                                        ; implicit-def: $vgpr6
                                        ; implicit-def: $vgpr10
                                        ; implicit-def: $vgpr11
                                        ; implicit-def: $vgpr14
                                        ; implicit-def: $vgpr15
                                        ; implicit-def: $vgpr22
                                        ; implicit-def: $vgpr26_vgpr27
                                        ; implicit-def: $vgpr39
                                        ; implicit-def: $vgpr48
                                        ; implicit-def: $vgpr16_vgpr17
                                        ; implicit-def: $vgpr38
; %bb.540:
	s_or_saveexec_b32 s3, s0
	v_dual_mov_b32 v21, s5 :: v_dual_mov_b32 v0, s6
	v_dual_mov_b32 v1, s7 :: v_dual_and_b32 v20, 3, v34
	v_dual_mov_b32 v25, s5 :: v_dual_mov_b32 v28, s5
	v_dual_mov_b32 v29, s5 :: v_dual_mov_b32 v30, s5
	;; [unrolled: 1-line block ×3, first 2 shown]
	v_mov_b32_e32 v24, s5
	s_xor_b32 exec_lo, exec_lo, s3
	s_cbranch_execz .LBB359_1072
; %bb.541:
	s_getpc_b64 s[8:9]
	s_add_u32 s8, s8, llvm.amdgcn.dynlds.offset.table@rel32@lo+4
	s_addc_u32 s9, s9, llvm.amdgcn.dynlds.offset.table@rel32@hi+12
	s_ashr_i32 s7, s6, 31
	v_dual_mov_b32 v1, 0 :: v_dual_lshlrev_b32 v0, 3, v34
	s_lshl_b64 s[12:13], s[6:7], 2
	v_add_co_u32 v2, vcc_lo, v10, v39
	s_add_u32 s8, s12, s8
	s_addc_u32 s9, s13, s9
	v_dual_mov_b32 v24, 0 :: v_dual_and_b32 v9, 24, v0
	s_load_b32 s0, s[8:9], 0x0
	v_dual_mov_b32 v39, v35 :: v_dual_and_b32 v0, 0xf8, v0
	v_add_co_ci_u32_e32 v3, vcc_lo, v11, v48, vcc_lo
	v_lshlrev_b64 v[7:8], 2, v[6:7]
	s_delay_alu instid0(VALU_DEP_3) | instskip(SKIP_1) | instid1(VALU_DEP_4)
	v_add_co_u32 v2, vcc_lo, v2, v0
	v_dual_mov_b32 v31, 0 :: v_dual_lshlrev_b32 v0, 5, v20
	v_add_co_ci_u32_e32 v3, vcc_lo, 0, v3, vcc_lo
	s_delay_alu instid0(VALU_DEP_4) | instskip(SKIP_1) | instid1(VALU_DEP_4)
	v_add_co_u32 v7, vcc_lo, v16, v7
	v_add_co_ci_u32_e32 v8, vcc_lo, v17, v8, vcc_lo
	v_lshl_or_b32 v0, v36, 7, v0
	s_delay_alu instid0(VALU_DEP_3) | instskip(SKIP_1) | instid1(VALU_DEP_4)
	v_add_co_u32 v7, vcc_lo, v14, v7
	v_dual_mov_b32 v32, 0 :: v_dual_add_nc_u32 v33, -1, v12
	v_add_co_ci_u32_e32 v8, vcc_lo, v15, v8, vcc_lo
	v_add3_u32 v15, s16, v38, v9
	s_waitcnt lgkmcnt(0)
	v_dual_mov_b32 v29, 0 :: v_dual_add_nc_u32 v16, s0, v0
	v_dual_mov_b32 v30, 0 :: v_dual_mov_b32 v25, 0
	v_dual_mov_b32 v28, 0 :: v_dual_mov_b32 v21, 0
	s_mov_b32 s8, -1
	s_mov_b32 s9, 0xffffff
	s_mov_b32 s5, 0
	s_branch .LBB359_543
.LBB359_542:                            ;   in Loop: Header=BB359_543 Depth=1
	s_or_b32 exec_lo, exec_lo, s0
	v_dual_add_f32 v11, v65, v66 :: v_dual_add_f32 v48, v71, v80
	v_dual_add_f32 v17, v67, v68 :: v_dual_add_f32 v38, v69, v70
	v_add_co_u32 v7, s0, v7, 16
	s_delay_alu instid0(VALU_DEP_3) | instskip(SKIP_1) | instid1(VALU_DEP_3)
	v_add_f32_e32 v24, v24, v11
	;;#ASMSTART
	v_pk_mul_f16 v11, v64, v12;

	;;#ASMEND
	v_add_f32_e32 v31, v31, v38
	;;#ASMSTART
	v_pk_mul_f16 v10, v55, v10;

	;;#ASMEND
	;;#ASMSTART
	v_pk_mul_f16 v0, v54, v0;

	;;#ASMEND
	;; [unrolled: 4-line block ×3, first 2 shown]
	;;#ASMSTART
	v_pk_add_f16 v10, v11, v10;

	;;#ASMEND
	;;#ASMSTART
	v_pk_add_f16 v0, v10, v0;

	;;#ASMEND
	;; [unrolled: 4-line block ×3, first 2 shown]
	v_dual_add_f32 v32, v32, v17 :: v_dual_and_b32 v9, 0xffff, v0
	v_lshrrev_b32_e32 v0, 16, v0
	v_dual_add_f32 v12, v13, v14 :: v_dual_add_nc_u32 v15, 0x80, v15
	v_add_nc_u32_e32 v6, 4, v6
	;;#ASMSTART
	v_cvt_f32_f16 v9, v9;
	;;#ASMEND
	;;#ASMSTART
	v_cvt_f32_f16 v0, v0;
	;;#ASMEND
	s_delay_alu instid0(VALU_DEP_2) | instskip(SKIP_3) | instid1(VALU_DEP_3)
	v_add_f32_e32 v25, v25, v12
	v_dual_add_f32 v10, v81, v82 :: v_dual_add_f32 v11, v83, v84
	v_add_f32_e32 v0, v9, v0
	v_cmp_ge_i32_e32 vcc_lo, v6, v23
	v_dual_add_f32 v30, v30, v48 :: v_dual_add_f32 v29, v29, v10
	s_delay_alu instid0(VALU_DEP_3) | instskip(SKIP_3) | instid1(SALU_CYCLE_1)
	v_dual_add_f32 v28, v28, v11 :: v_dual_add_f32 v21, v21, v0
	v_add_co_ci_u32_e64 v8, s0, 0, v8, s0
	v_add_nc_u32_e32 v16, 0x200, v16
	s_or_b32 s5, vcc_lo, s5
	s_and_not1_b32 exec_lo, exec_lo, s5
	s_cbranch_execz .LBB359_1071
.LBB359_543:                            ; =>This Inner Loop Header: Depth=1
	flat_load_b32 v0, v[7:8]
	ds_load_2addr_b64 v[10:13], v16 offset1:1
	ds_load_2addr_b64 v[48:51], v16 offset0:2 offset1:3
	v_mov_b32_e32 v38, 0
	s_mov_b32 s0, exec_lo
	s_waitcnt lgkmcnt(1)
	;;#ASMSTART
	v_cvt_f16_f32 v53, v10;

	;;#ASMEND
	;;#ASMSTART
	v_cvt_f16_f32 v54, v11;

	;;#ASMEND
	;; [unrolled: 4-line block ×4, first 2 shown]
	s_waitcnt lgkmcnt(0)
	;;#ASMSTART
	v_cvt_f16_f32 v67, v48;

	;;#ASMEND
	;;#ASMSTART
	v_cvt_f16_f32 v65, v49;

	;;#ASMEND
	;; [unrolled: 4-line block ×4, first 2 shown]
	s_waitcnt vmcnt(0)
	v_mad_i64_i32 v[9:10], null, v0, v22, v[2:3]
	flat_load_b64 v[11:12], v[9:10]
	flat_load_b32 v17, v[26:27]
	s_waitcnt vmcnt(1) lgkmcnt(1)
	v_and_b32_e32 v0, 0xff, v11
	s_delay_alu instid0(VALU_DEP_1)
	v_cmpx_ne_u16_e32 0, v0
	s_cbranch_execz .LBB359_551
; %bb.544:                              ;   in Loop: Header=BB359_543 Depth=1
	v_bfrev_b32_e32 v38, 1
	s_mov_b32 s10, exec_lo
	v_cmpx_ne_u16_e32 0x80, v0
	s_cbranch_execz .LBB359_550
; %bb.545:                              ;   in Loop: Header=BB359_543 Depth=1
	v_and_b32_e32 v13, 0x7f, v11
	v_mov_b32_e32 v38, 0x7fc02000
	s_mov_b32 s12, exec_lo
	s_delay_alu instid0(VALU_DEP_2)
	v_cmpx_ne_u32_e32 0x7f, v13
	s_cbranch_execz .LBB359_549
; %bb.546:                              ;   in Loop: Header=BB359_543 Depth=1
	v_lshrrev_b32_e32 v0, 3, v13
	v_cmp_gt_u32_e32 vcc_lo, 8, v13
	v_dual_mov_b32 v14, v12 :: v_dual_mov_b32 v13, v11
	s_and_saveexec_b32 s13, vcc_lo
; %bb.547:                              ;   in Loop: Header=BB359_543 Depth=1
	v_and_b32_e32 v0, 7, v11
	s_delay_alu instid0(VALU_DEP_1) | instskip(NEXT) | instid1(VALU_DEP_1)
	v_clz_i32_u32_e32 v0, v0
	v_min_u32_e32 v0, 32, v0
	s_delay_alu instid0(VALU_DEP_1) | instskip(SKIP_1) | instid1(VALU_DEP_2)
	v_subrev_nc_u32_e32 v13, 28, v0
	v_sub_nc_u32_e32 v0, 29, v0
	v_lshlrev_b64 v[13:14], v13, v[11:12]
; %bb.548:                              ;   in Loop: Header=BB359_543 Depth=1
	s_or_b32 exec_lo, exec_lo, s13
	v_lshlrev_b32_e32 v14, 8, v11
	s_delay_alu instid0(VALU_DEP_3) | instskip(NEXT) | instid1(VALU_DEP_3)
	v_lshl_add_u32 v0, v0, 10, 0x2000
	v_lshlrev_b32_e32 v13, 7, v13
	s_delay_alu instid0(VALU_DEP_2) | instskip(NEXT) | instid1(VALU_DEP_1)
	v_and_or_b32 v0, 0x8000, v14, v0
	v_and_or_b32 v0, 0x380, v13, v0
	s_delay_alu instid0(VALU_DEP_1)
	v_cvt_f32_f16_e32 v38, v0
.LBB359_549:                            ;   in Loop: Header=BB359_543 Depth=1
	s_or_b32 exec_lo, exec_lo, s12
.LBB359_550:                            ;   in Loop: Header=BB359_543 Depth=1
	s_delay_alu instid0(SALU_CYCLE_1)
	s_or_b32 exec_lo, exec_lo, s10
.LBB359_551:                            ;   in Loop: Header=BB359_543 Depth=1
	s_delay_alu instid0(SALU_CYCLE_1) | instskip(SKIP_3) | instid1(VALU_DEP_2)
	s_or_b32 exec_lo, exec_lo, s0
	v_lshrrev_b16 v0, 8, v11
	v_dual_mov_b32 v49, 0 :: v_dual_mov_b32 v48, 0
	s_mov_b32 s0, exec_lo
	v_cmpx_ne_u16_e32 0, v0
	s_cbranch_execz .LBB359_559
; %bb.552:                              ;   in Loop: Header=BB359_543 Depth=1
	v_bfrev_b32_e32 v48, 1
	s_mov_b32 s10, exec_lo
	v_cmpx_ne_u16_e32 0x80, v0
	s_cbranch_execz .LBB359_558
; %bb.553:                              ;   in Loop: Header=BB359_543 Depth=1
	v_and_b32_e32 v13, 0xffff, v0
	v_mov_b32_e32 v48, 0x7fc02000
	s_mov_b32 s12, exec_lo
	s_delay_alu instid0(VALU_DEP_2) | instskip(NEXT) | instid1(VALU_DEP_1)
	v_and_b32_e32 v50, 0x7f, v13
	v_cmpx_ne_u32_e32 0x7f, v50
	s_cbranch_execz .LBB359_557
; %bb.554:                              ;   in Loop: Header=BB359_543 Depth=1
	v_and_b32_e32 v0, 7, v13
	v_lshrrev_b32_e32 v14, 3, v50
	s_mov_b32 s13, exec_lo
	v_cmpx_gt_u32_e32 8, v50
; %bb.555:                              ;   in Loop: Header=BB359_543 Depth=1
	s_delay_alu instid0(VALU_DEP_3) | instskip(NEXT) | instid1(VALU_DEP_1)
	v_clz_i32_u32_e32 v14, v0
	v_min_u32_e32 v14, 32, v14
	s_delay_alu instid0(VALU_DEP_1) | instskip(SKIP_1) | instid1(VALU_DEP_2)
	v_subrev_nc_u32_e32 v48, 28, v14
	v_sub_nc_u32_e32 v14, 29, v14
	v_lshlrev_b64 v[50:51], v48, v[0:1]
	s_delay_alu instid0(VALU_DEP_1)
	v_and_b32_e32 v0, 7, v50
; %bb.556:                              ;   in Loop: Header=BB359_543 Depth=1
	s_or_b32 exec_lo, exec_lo, s13
	v_lshlrev_b32_e32 v13, 8, v13
	v_lshl_add_u32 v14, v14, 10, 0x2000
	s_delay_alu instid0(VALU_DEP_1) | instskip(NEXT) | instid1(VALU_DEP_1)
	v_and_or_b32 v13, 0x8000, v13, v14
	v_lshl_or_b32 v0, v0, 7, v13
	s_delay_alu instid0(VALU_DEP_1)
	v_cvt_f32_f16_e32 v48, v0
.LBB359_557:                            ;   in Loop: Header=BB359_543 Depth=1
	s_or_b32 exec_lo, exec_lo, s12
.LBB359_558:                            ;   in Loop: Header=BB359_543 Depth=1
	s_delay_alu instid0(SALU_CYCLE_1)
	s_or_b32 exec_lo, exec_lo, s10
.LBB359_559:                            ;   in Loop: Header=BB359_543 Depth=1
	s_delay_alu instid0(SALU_CYCLE_1) | instskip(SKIP_2) | instid1(VALU_DEP_1)
	s_or_b32 exec_lo, exec_lo, s0
	v_lshrrev_b32_e32 v13, 16, v11
	s_mov_b32 s0, exec_lo
	v_and_b32_e32 v0, 0xff, v13
	s_delay_alu instid0(VALU_DEP_1)
	v_cmpx_ne_u16_e32 0, v0
	s_cbranch_execz .LBB359_567
; %bb.560:                              ;   in Loop: Header=BB359_543 Depth=1
	v_bfrev_b32_e32 v49, 1
	s_mov_b32 s10, exec_lo
	v_cmpx_ne_u16_e32 0x80, v0
	s_cbranch_execz .LBB359_566
; %bb.561:                              ;   in Loop: Header=BB359_543 Depth=1
	v_bfe_u32 v50, v11, 16, 7
	v_mov_b32_e32 v49, 0x7fc02000
	s_mov_b32 s12, exec_lo
	s_delay_alu instid0(VALU_DEP_2)
	v_cmpx_ne_u32_e32 0x7f, v50
	s_cbranch_execz .LBB359_565
; %bb.562:                              ;   in Loop: Header=BB359_543 Depth=1
	v_and_b32_e32 v0, 7, v13
	v_lshrrev_b32_e32 v14, 3, v50
	s_mov_b32 s13, exec_lo
	v_cmpx_gt_u32_e32 8, v50
; %bb.563:                              ;   in Loop: Header=BB359_543 Depth=1
	s_delay_alu instid0(VALU_DEP_3) | instskip(NEXT) | instid1(VALU_DEP_1)
	v_clz_i32_u32_e32 v14, v0
	v_min_u32_e32 v14, 32, v14
	s_delay_alu instid0(VALU_DEP_1) | instskip(SKIP_1) | instid1(VALU_DEP_2)
	v_subrev_nc_u32_e32 v49, 28, v14
	v_sub_nc_u32_e32 v14, 29, v14
	v_lshlrev_b64 v[49:50], v49, v[0:1]
	s_delay_alu instid0(VALU_DEP_1)
	v_and_b32_e32 v0, 7, v49
; %bb.564:                              ;   in Loop: Header=BB359_543 Depth=1
	s_or_b32 exec_lo, exec_lo, s13
	v_lshlrev_b32_e32 v13, 8, v13
	v_lshl_add_u32 v14, v14, 10, 0x2000
	s_delay_alu instid0(VALU_DEP_1) | instskip(NEXT) | instid1(VALU_DEP_1)
	v_and_or_b32 v13, 0x8000, v13, v14
	v_lshl_or_b32 v0, v0, 7, v13
	s_delay_alu instid0(VALU_DEP_1)
	v_cvt_f32_f16_e32 v49, v0
.LBB359_565:                            ;   in Loop: Header=BB359_543 Depth=1
	s_or_b32 exec_lo, exec_lo, s12
.LBB359_566:                            ;   in Loop: Header=BB359_543 Depth=1
	s_delay_alu instid0(SALU_CYCLE_1)
	s_or_b32 exec_lo, exec_lo, s10
.LBB359_567:                            ;   in Loop: Header=BB359_543 Depth=1
	s_delay_alu instid0(SALU_CYCLE_1)
	s_or_b32 exec_lo, exec_lo, s0
	v_dual_mov_b32 v13, 0 :: v_dual_mov_b32 v50, 0
	s_mov_b32 s0, exec_lo
	v_cmpx_lt_u32_e32 0xffffff, v11
	s_cbranch_execz .LBB359_575
; %bb.568:                              ;   in Loop: Header=BB359_543 Depth=1
	v_lshrrev_b32_e32 v14, 24, v11
	v_bfrev_b32_e32 v50, 1
	s_mov_b32 s10, exec_lo
	s_delay_alu instid0(VALU_DEP_2)
	v_cmpx_ne_u32_e32 0x80, v14
	s_cbranch_execz .LBB359_574
; %bb.569:                              ;   in Loop: Header=BB359_543 Depth=1
	v_and_b32_e32 v51, 0x7f, v14
	v_mov_b32_e32 v50, 0x7fc02000
	s_mov_b32 s12, exec_lo
	s_delay_alu instid0(VALU_DEP_2)
	v_cmpx_ne_u32_e32 0x7f, v51
	s_cbranch_execz .LBB359_573
; %bb.570:                              ;   in Loop: Header=BB359_543 Depth=1
	v_and_b32_e32 v0, 7, v14
	v_lshrrev_b32_e32 v50, 3, v51
	s_mov_b32 s13, exec_lo
	v_cmpx_gt_u32_e32 8, v51
; %bb.571:                              ;   in Loop: Header=BB359_543 Depth=1
	s_delay_alu instid0(VALU_DEP_3) | instskip(NEXT) | instid1(VALU_DEP_1)
	v_clz_i32_u32_e32 v50, v0
	v_min_u32_e32 v50, 32, v50
	s_delay_alu instid0(VALU_DEP_1) | instskip(SKIP_1) | instid1(VALU_DEP_2)
	v_subrev_nc_u32_e32 v51, 28, v50
	v_sub_nc_u32_e32 v50, 29, v50
	v_lshlrev_b64 v[51:52], v51, v[0:1]
	s_delay_alu instid0(VALU_DEP_1)
	v_and_b32_e32 v0, 7, v51
; %bb.572:                              ;   in Loop: Header=BB359_543 Depth=1
	s_or_b32 exec_lo, exec_lo, s13
	v_lshlrev_b32_e32 v14, 8, v14
	v_lshl_add_u32 v50, v50, 10, 0x2000
	s_delay_alu instid0(VALU_DEP_1) | instskip(NEXT) | instid1(VALU_DEP_1)
	v_and_or_b32 v14, 0x8000, v14, v50
	v_lshl_or_b32 v0, v0, 7, v14
	s_delay_alu instid0(VALU_DEP_1)
	v_cvt_f32_f16_e32 v50, v0
.LBB359_573:                            ;   in Loop: Header=BB359_543 Depth=1
	s_or_b32 exec_lo, exec_lo, s12
.LBB359_574:                            ;   in Loop: Header=BB359_543 Depth=1
	s_delay_alu instid0(SALU_CYCLE_1)
	s_or_b32 exec_lo, exec_lo, s10
.LBB359_575:                            ;   in Loop: Header=BB359_543 Depth=1
	s_delay_alu instid0(SALU_CYCLE_1) | instskip(SKIP_3) | instid1(VALU_DEP_2)
	s_or_b32 exec_lo, exec_lo, s0
	v_and_b32_e32 v14, 0xff, v12
	v_mov_b32_e32 v0, v12
	s_mov_b32 s0, exec_lo
	v_cmpx_ne_u16_e32 0, v14
	s_cbranch_execz .LBB359_583
; %bb.576:                              ;   in Loop: Header=BB359_543 Depth=1
	v_bfrev_b32_e32 v13, 1
	s_mov_b32 s10, exec_lo
	v_cmpx_ne_u16_e32 0x80, v14
	s_cbranch_execz .LBB359_582
; %bb.577:                              ;   in Loop: Header=BB359_543 Depth=1
	v_and_b32_e32 v14, 0x7f, v12
	v_mov_b32_e32 v13, 0x7fc02000
	s_mov_b32 s12, exec_lo
	s_delay_alu instid0(VALU_DEP_2)
	v_cmpx_ne_u32_e32 0x7f, v14
	s_cbranch_execz .LBB359_581
; %bb.578:                              ;   in Loop: Header=BB359_543 Depth=1
	v_lshrrev_b32_e32 v51, 3, v14
	v_cmp_gt_u32_e32 vcc_lo, 8, v14
	v_dual_mov_b32 v14, v1 :: v_dual_mov_b32 v13, v0
	s_and_saveexec_b32 s13, vcc_lo
; %bb.579:                              ;   in Loop: Header=BB359_543 Depth=1
	v_and_b32_e32 v13, 7, v12
	s_delay_alu instid0(VALU_DEP_1) | instskip(NEXT) | instid1(VALU_DEP_1)
	v_clz_i32_u32_e32 v13, v13
	v_min_u32_e32 v51, 32, v13
	s_delay_alu instid0(VALU_DEP_1) | instskip(SKIP_1) | instid1(VALU_DEP_2)
	v_subrev_nc_u32_e32 v13, 28, v51
	v_sub_nc_u32_e32 v51, 29, v51
	v_lshlrev_b64 v[13:14], v13, v[0:1]
; %bb.580:                              ;   in Loop: Header=BB359_543 Depth=1
	s_or_b32 exec_lo, exec_lo, s13
	v_lshlrev_b32_e32 v14, 8, v12
	s_delay_alu instid0(VALU_DEP_3) | instskip(NEXT) | instid1(VALU_DEP_3)
	v_lshl_add_u32 v51, v51, 10, 0x2000
	v_lshlrev_b32_e32 v13, 7, v13
	s_delay_alu instid0(VALU_DEP_2) | instskip(NEXT) | instid1(VALU_DEP_1)
	v_and_or_b32 v14, 0x8000, v14, v51
	v_and_or_b32 v13, 0x380, v13, v14
	s_delay_alu instid0(VALU_DEP_1)
	v_cvt_f32_f16_e32 v13, v13
.LBB359_581:                            ;   in Loop: Header=BB359_543 Depth=1
	s_or_b32 exec_lo, exec_lo, s12
.LBB359_582:                            ;   in Loop: Header=BB359_543 Depth=1
	s_delay_alu instid0(SALU_CYCLE_1)
	s_or_b32 exec_lo, exec_lo, s10
.LBB359_583:                            ;   in Loop: Header=BB359_543 Depth=1
	s_delay_alu instid0(SALU_CYCLE_1) | instskip(SKIP_3) | instid1(VALU_DEP_2)
	s_or_b32 exec_lo, exec_lo, s0
	v_lshrrev_b16 v0, 8, v0
	v_dual_mov_b32 v14, 0 :: v_dual_mov_b32 v51, 0
	s_mov_b32 s0, exec_lo
	v_cmpx_ne_u16_e32 0, v0
	s_cbranch_execz .LBB359_591
; %bb.584:                              ;   in Loop: Header=BB359_543 Depth=1
	v_bfrev_b32_e32 v51, 1
	s_mov_b32 s10, exec_lo
	v_cmpx_ne_u16_e32 0x80, v0
	s_cbranch_execz .LBB359_590
; %bb.585:                              ;   in Loop: Header=BB359_543 Depth=1
	v_and_b32_e32 v52, 0xffff, v0
	v_mov_b32_e32 v51, 0x7fc02000
	s_mov_b32 s12, exec_lo
	s_delay_alu instid0(VALU_DEP_2) | instskip(NEXT) | instid1(VALU_DEP_1)
	v_and_b32_e32 v69, 0x7f, v52
	v_cmpx_ne_u32_e32 0x7f, v69
	s_cbranch_execz .LBB359_589
; %bb.586:                              ;   in Loop: Header=BB359_543 Depth=1
	v_and_b32_e32 v0, 7, v52
	v_lshrrev_b32_e32 v51, 3, v69
	s_mov_b32 s13, exec_lo
	v_cmpx_gt_u32_e32 8, v69
; %bb.587:                              ;   in Loop: Header=BB359_543 Depth=1
	s_delay_alu instid0(VALU_DEP_3) | instskip(NEXT) | instid1(VALU_DEP_1)
	v_clz_i32_u32_e32 v51, v0
	v_min_u32_e32 v51, 32, v51
	s_delay_alu instid0(VALU_DEP_1) | instskip(SKIP_1) | instid1(VALU_DEP_2)
	v_subrev_nc_u32_e32 v69, 28, v51
	v_sub_nc_u32_e32 v51, 29, v51
	v_lshlrev_b64 v[69:70], v69, v[0:1]
	s_delay_alu instid0(VALU_DEP_1)
	v_and_b32_e32 v0, 7, v69
; %bb.588:                              ;   in Loop: Header=BB359_543 Depth=1
	s_or_b32 exec_lo, exec_lo, s13
	v_lshlrev_b32_e32 v52, 8, v52
	v_lshl_add_u32 v51, v51, 10, 0x2000
	s_delay_alu instid0(VALU_DEP_1) | instskip(NEXT) | instid1(VALU_DEP_1)
	v_and_or_b32 v51, 0x8000, v52, v51
	v_lshl_or_b32 v0, v0, 7, v51
	s_delay_alu instid0(VALU_DEP_1)
	v_cvt_f32_f16_e32 v51, v0
.LBB359_589:                            ;   in Loop: Header=BB359_543 Depth=1
	s_or_b32 exec_lo, exec_lo, s12
.LBB359_590:                            ;   in Loop: Header=BB359_543 Depth=1
	s_delay_alu instid0(SALU_CYCLE_1)
	s_or_b32 exec_lo, exec_lo, s10
.LBB359_591:                            ;   in Loop: Header=BB359_543 Depth=1
	s_delay_alu instid0(SALU_CYCLE_1) | instskip(SKIP_2) | instid1(VALU_DEP_1)
	s_or_b32 exec_lo, exec_lo, s0
	v_lshrrev_b32_e32 v52, 16, v12
	s_mov_b32 s0, exec_lo
	v_and_b32_e32 v0, 0xff, v52
	s_delay_alu instid0(VALU_DEP_1)
	v_cmpx_ne_u16_e32 0, v0
	s_cbranch_execz .LBB359_599
; %bb.592:                              ;   in Loop: Header=BB359_543 Depth=1
	v_bfrev_b32_e32 v14, 1
	s_mov_b32 s10, exec_lo
	v_cmpx_ne_u16_e32 0x80, v0
	s_cbranch_execz .LBB359_598
; %bb.593:                              ;   in Loop: Header=BB359_543 Depth=1
	v_bfe_u32 v69, v12, 16, 7
	v_mov_b32_e32 v14, 0x7fc02000
	s_mov_b32 s12, exec_lo
	s_delay_alu instid0(VALU_DEP_2)
	v_cmpx_ne_u32_e32 0x7f, v69
	s_cbranch_execz .LBB359_597
; %bb.594:                              ;   in Loop: Header=BB359_543 Depth=1
	v_and_b32_e32 v0, 7, v52
	v_lshrrev_b32_e32 v14, 3, v69
	s_mov_b32 s13, exec_lo
	v_cmpx_gt_u32_e32 8, v69
; %bb.595:                              ;   in Loop: Header=BB359_543 Depth=1
	s_delay_alu instid0(VALU_DEP_3) | instskip(NEXT) | instid1(VALU_DEP_1)
	v_clz_i32_u32_e32 v14, v0
	v_min_u32_e32 v14, 32, v14
	s_delay_alu instid0(VALU_DEP_1) | instskip(SKIP_1) | instid1(VALU_DEP_2)
	v_subrev_nc_u32_e32 v69, 28, v14
	v_sub_nc_u32_e32 v14, 29, v14
	v_lshlrev_b64 v[69:70], v69, v[0:1]
	s_delay_alu instid0(VALU_DEP_1)
	v_and_b32_e32 v0, 7, v69
; %bb.596:                              ;   in Loop: Header=BB359_543 Depth=1
	s_or_b32 exec_lo, exec_lo, s13
	v_lshlrev_b32_e32 v52, 8, v52
	v_lshl_add_u32 v14, v14, 10, 0x2000
	s_delay_alu instid0(VALU_DEP_1) | instskip(NEXT) | instid1(VALU_DEP_1)
	v_and_or_b32 v14, 0x8000, v52, v14
	v_lshl_or_b32 v0, v0, 7, v14
	s_delay_alu instid0(VALU_DEP_1)
	v_cvt_f32_f16_e32 v14, v0
.LBB359_597:                            ;   in Loop: Header=BB359_543 Depth=1
	s_or_b32 exec_lo, exec_lo, s12
.LBB359_598:                            ;   in Loop: Header=BB359_543 Depth=1
	s_delay_alu instid0(SALU_CYCLE_1)
	s_or_b32 exec_lo, exec_lo, s10
.LBB359_599:                            ;   in Loop: Header=BB359_543 Depth=1
	s_delay_alu instid0(SALU_CYCLE_1)
	s_or_b32 exec_lo, exec_lo, s0
	v_mov_b32_e32 v0, 0
	s_mov_b32 s0, exec_lo
	v_cmpx_lt_u64_e64 s[8:9], v[11:12]
	s_cbranch_execz .LBB359_607
; %bb.600:                              ;   in Loop: Header=BB359_543 Depth=1
	v_lshrrev_b32_e32 v11, 24, v12
	v_bfrev_b32_e32 v0, 1
	s_mov_b32 s10, exec_lo
	s_delay_alu instid0(VALU_DEP_2)
	v_cmpx_ne_u32_e32 0x80, v11
	s_cbranch_execz .LBB359_606
; %bb.601:                              ;   in Loop: Header=BB359_543 Depth=1
	v_and_b32_e32 v52, 0x7f, v11
	v_mov_b32_e32 v0, 0x7fc02000
	s_mov_b32 s12, exec_lo
	s_delay_alu instid0(VALU_DEP_2)
	v_cmpx_ne_u32_e32 0x7f, v52
	s_cbranch_execz .LBB359_605
; %bb.602:                              ;   in Loop: Header=BB359_543 Depth=1
	v_and_b32_e32 v0, 7, v11
	v_lshrrev_b32_e32 v12, 3, v52
	s_mov_b32 s13, exec_lo
	v_cmpx_gt_u32_e32 8, v52
; %bb.603:                              ;   in Loop: Header=BB359_543 Depth=1
	s_delay_alu instid0(VALU_DEP_3) | instskip(NEXT) | instid1(VALU_DEP_1)
	v_clz_i32_u32_e32 v12, v0
	v_min_u32_e32 v12, 32, v12
	s_delay_alu instid0(VALU_DEP_1) | instskip(SKIP_1) | instid1(VALU_DEP_2)
	v_subrev_nc_u32_e32 v52, 28, v12
	v_sub_nc_u32_e32 v12, 29, v12
	v_lshlrev_b64 v[69:70], v52, v[0:1]
	s_delay_alu instid0(VALU_DEP_1)
	v_and_b32_e32 v0, 7, v69
; %bb.604:                              ;   in Loop: Header=BB359_543 Depth=1
	s_or_b32 exec_lo, exec_lo, s13
	v_lshlrev_b32_e32 v11, 8, v11
	v_lshl_add_u32 v12, v12, 10, 0x2000
	s_delay_alu instid0(VALU_DEP_1) | instskip(NEXT) | instid1(VALU_DEP_1)
	v_and_or_b32 v11, 0x8000, v11, v12
	v_lshl_or_b32 v0, v0, 7, v11
	s_delay_alu instid0(VALU_DEP_1)
	v_cvt_f32_f16_e32 v0, v0
.LBB359_605:                            ;   in Loop: Header=BB359_543 Depth=1
	s_or_b32 exec_lo, exec_lo, s12
.LBB359_606:                            ;   in Loop: Header=BB359_543 Depth=1
	s_delay_alu instid0(SALU_CYCLE_1)
	s_or_b32 exec_lo, exec_lo, s10
.LBB359_607:                            ;   in Loop: Header=BB359_543 Depth=1
	s_delay_alu instid0(SALU_CYCLE_1)
	s_or_b32 exec_lo, exec_lo, s0
	s_waitcnt vmcnt(0) lgkmcnt(0)
	v_fma_mixlo_f16 v11, v17, v50, 0
	v_fma_mixlo_f16 v12, v17, v49, 0
	;; [unrolled: 1-line block ×8, first 2 shown]
	v_lshlrev_b32_e32 v11, 16, v11
	v_and_b32_e32 v12, 0xffff, v12
	v_lshlrev_b32_e32 v48, 16, v48
	v_and_b32_e32 v14, 0xffff, v38
	;; [unrolled: 2-line block ×4, first 2 shown]
	v_cmp_eq_u32_e32 vcc_lo, v33, v6
	v_or_b32_e32 v12, v11, v12
	v_or_b32_e32 v14, v48, v14
	;; [unrolled: 1-line block ×4, first 2 shown]
	v_add_nc_u32_e32 v52, 1, v15
	v_or_b32_e32 v51, 3, v15
	v_or_b32_e32 v50, 2, v15
	;; [unrolled: 1-line block ×6, first 2 shown]
	s_and_saveexec_b32 s10, vcc_lo
	s_cbranch_execz .LBB359_609
; %bb.608:                              ;   in Loop: Header=BB359_543 Depth=1
	v_cmp_lt_i32_e64 s0, v15, v35
	v_lshrrev_b32_e32 v69, 16, v14
	v_lshrrev_b32_e32 v70, 16, v12
	;; [unrolled: 1-line block ×4, first 2 shown]
	v_cndmask_b32_e64 v14, 0, v14, s0
	v_cmp_lt_i32_e64 s0, v52, v39
	s_delay_alu instid0(VALU_DEP_1) | instskip(SKIP_1) | instid1(VALU_DEP_2)
	v_cndmask_b32_e64 v69, 0, v69, s0
	v_cmp_lt_i32_e64 s0, v51, v39
	v_perm_b32 v14, v69, v14, 0x5040100
	s_delay_alu instid0(VALU_DEP_2) | instskip(SKIP_1) | instid1(VALU_DEP_1)
	v_cndmask_b32_e64 v70, 0, v70, s0
	v_cmp_lt_i32_e64 s0, v50, v35
	v_cndmask_b32_e64 v12, 0, v12, s0
	v_cmp_lt_i32_e64 s0, v49, v39
	s_delay_alu instid0(VALU_DEP_2) | instskip(NEXT) | instid1(VALU_DEP_2)
	v_perm_b32 v12, v70, v12, 0x5040100
	v_cndmask_b32_e64 v71, 0, v71, s0
	v_cmp_lt_i32_e64 s0, v48, v35
	s_delay_alu instid0(VALU_DEP_1) | instskip(SKIP_1) | instid1(VALU_DEP_2)
	v_cndmask_b32_e64 v0, 0, v0, s0
	v_cmp_lt_i32_e64 s0, v38, v39
	v_perm_b32 v0, v71, v0, 0x5040100
	s_delay_alu instid0(VALU_DEP_2) | instskip(SKIP_1) | instid1(VALU_DEP_1)
	v_cndmask_b32_e64 v11, 0, v11, s0
	v_cmp_lt_i32_e64 s0, v17, v35
	v_cndmask_b32_e64 v13, 0, v13, s0
	s_delay_alu instid0(VALU_DEP_1)
	v_perm_b32 v11, v11, v13, 0x5040100
.LBB359_609:                            ;   in Loop: Header=BB359_543 Depth=1
	s_or_b32 exec_lo, exec_lo, s10
	v_and_b32_e32 v13, 0xffff, v53
	v_and_b32_e32 v53, 0xffff, v64
	;; [unrolled: 1-line block ×3, first 2 shown]
	v_dual_mov_b32 v69, 0 :: v_dual_and_b32 v68, 0xffff, v68
	s_mov_b32 s10, exec_lo
	s_delay_alu instid0(VALU_DEP_3) | instskip(NEXT) | instid1(VALU_DEP_2)
	v_lshl_or_b32 v55, v55, 16, v53
	v_lshl_or_b32 v53, v66, 16, v68
	v_mov_b32_e32 v68, 0
	v_lshl_or_b32 v64, v54, 16, v13
	v_lshl_or_b32 v54, v65, 16, v67
	;;#ASMSTART
	v_pk_mul_f16 v13, v64, v14;

	;;#ASMEND
	;;#ASMSTART
	v_pk_mul_f16 v12, v55, v12;

	;;#ASMEND
	;; [unrolled: 4-line block ×4, first 2 shown]
	;;#ASMSTART
	v_pk_add_f16 v12, v13, v12;

	;;#ASMEND
	;;#ASMSTART
	v_pk_add_f16 v0, v12, v0;

	;;#ASMEND
	;; [unrolled: 4-line block ×3, first 2 shown]
	v_and_b32_e32 v11, 0xffff, v0
	v_lshrrev_b32_e32 v0, 16, v0
	;;#ASMSTART
	v_cvt_f32_f16 v65, v11;
	;;#ASMEND
	;;#ASMSTART
	v_cvt_f32_f16 v66, v0;
	;;#ASMEND
	flat_load_b64 v[11:12], v[9:10] offset:256
	flat_load_b32 v67, v[26:27]
	s_waitcnt vmcnt(1) lgkmcnt(1)
	v_and_b32_e32 v0, 0xff, v11
	s_delay_alu instid0(VALU_DEP_1)
	v_cmpx_ne_u16_e32 0, v0
	s_cbranch_execz .LBB359_617
; %bb.610:                              ;   in Loop: Header=BB359_543 Depth=1
	v_bfrev_b32_e32 v68, 1
	s_mov_b32 s12, exec_lo
	v_cmpx_ne_u16_e32 0x80, v0
	s_cbranch_execz .LBB359_616
; %bb.611:                              ;   in Loop: Header=BB359_543 Depth=1
	v_and_b32_e32 v13, 0x7f, v11
	v_mov_b32_e32 v68, 0x7fc02000
	s_mov_b32 s13, exec_lo
	s_delay_alu instid0(VALU_DEP_2)
	v_cmpx_ne_u32_e32 0x7f, v13
	s_cbranch_execz .LBB359_615
; %bb.612:                              ;   in Loop: Header=BB359_543 Depth=1
	v_lshrrev_b32_e32 v0, 3, v13
	v_cmp_gt_u32_e64 s0, 8, v13
	v_dual_mov_b32 v14, v12 :: v_dual_mov_b32 v13, v11
	s_delay_alu instid0(VALU_DEP_2)
	s_and_saveexec_b32 s15, s0
; %bb.613:                              ;   in Loop: Header=BB359_543 Depth=1
	v_and_b32_e32 v0, 7, v11
	s_delay_alu instid0(VALU_DEP_1) | instskip(NEXT) | instid1(VALU_DEP_1)
	v_clz_i32_u32_e32 v0, v0
	v_min_u32_e32 v0, 32, v0
	s_delay_alu instid0(VALU_DEP_1) | instskip(SKIP_1) | instid1(VALU_DEP_2)
	v_subrev_nc_u32_e32 v13, 28, v0
	v_sub_nc_u32_e32 v0, 29, v0
	v_lshlrev_b64 v[13:14], v13, v[11:12]
; %bb.614:                              ;   in Loop: Header=BB359_543 Depth=1
	s_or_b32 exec_lo, exec_lo, s15
	v_lshlrev_b32_e32 v14, 8, v11
	s_delay_alu instid0(VALU_DEP_3) | instskip(NEXT) | instid1(VALU_DEP_3)
	v_lshl_add_u32 v0, v0, 10, 0x2000
	v_lshlrev_b32_e32 v13, 7, v13
	s_delay_alu instid0(VALU_DEP_2) | instskip(NEXT) | instid1(VALU_DEP_1)
	v_and_or_b32 v0, 0x8000, v14, v0
	v_and_or_b32 v0, 0x380, v13, v0
	s_delay_alu instid0(VALU_DEP_1)
	v_cvt_f32_f16_e32 v68, v0
.LBB359_615:                            ;   in Loop: Header=BB359_543 Depth=1
	s_or_b32 exec_lo, exec_lo, s13
.LBB359_616:                            ;   in Loop: Header=BB359_543 Depth=1
	s_delay_alu instid0(SALU_CYCLE_1)
	s_or_b32 exec_lo, exec_lo, s12
.LBB359_617:                            ;   in Loop: Header=BB359_543 Depth=1
	s_delay_alu instid0(SALU_CYCLE_1) | instskip(SKIP_2) | instid1(VALU_DEP_1)
	s_or_b32 exec_lo, exec_lo, s10
	v_lshrrev_b16 v0, 8, v11
	s_mov_b32 s10, exec_lo
	v_cmpx_ne_u16_e32 0, v0
	s_cbranch_execz .LBB359_625
; %bb.618:                              ;   in Loop: Header=BB359_543 Depth=1
	v_bfrev_b32_e32 v69, 1
	s_mov_b32 s12, exec_lo
	v_cmpx_ne_u16_e32 0x80, v0
	s_cbranch_execz .LBB359_624
; %bb.619:                              ;   in Loop: Header=BB359_543 Depth=1
	v_and_b32_e32 v13, 0xffff, v0
	v_mov_b32_e32 v69, 0x7fc02000
	s_mov_b32 s13, exec_lo
	s_delay_alu instid0(VALU_DEP_2) | instskip(NEXT) | instid1(VALU_DEP_1)
	v_and_b32_e32 v70, 0x7f, v13
	v_cmpx_ne_u32_e32 0x7f, v70
	s_cbranch_execz .LBB359_623
; %bb.620:                              ;   in Loop: Header=BB359_543 Depth=1
	v_and_b32_e32 v0, 7, v13
	v_lshrrev_b32_e32 v14, 3, v70
	s_mov_b32 s15, exec_lo
	v_cmpx_gt_u32_e32 8, v70
; %bb.621:                              ;   in Loop: Header=BB359_543 Depth=1
	s_delay_alu instid0(VALU_DEP_3) | instskip(NEXT) | instid1(VALU_DEP_1)
	v_clz_i32_u32_e32 v14, v0
	v_min_u32_e32 v14, 32, v14
	s_delay_alu instid0(VALU_DEP_1) | instskip(SKIP_1) | instid1(VALU_DEP_2)
	v_subrev_nc_u32_e32 v69, 28, v14
	v_sub_nc_u32_e32 v14, 29, v14
	v_lshlrev_b64 v[69:70], v69, v[0:1]
	s_delay_alu instid0(VALU_DEP_1)
	v_and_b32_e32 v0, 7, v69
; %bb.622:                              ;   in Loop: Header=BB359_543 Depth=1
	s_or_b32 exec_lo, exec_lo, s15
	v_lshlrev_b32_e32 v13, 8, v13
	v_lshl_add_u32 v14, v14, 10, 0x2000
	s_delay_alu instid0(VALU_DEP_1) | instskip(NEXT) | instid1(VALU_DEP_1)
	v_and_or_b32 v13, 0x8000, v13, v14
	v_lshl_or_b32 v0, v0, 7, v13
	s_delay_alu instid0(VALU_DEP_1)
	v_cvt_f32_f16_e32 v69, v0
.LBB359_623:                            ;   in Loop: Header=BB359_543 Depth=1
	s_or_b32 exec_lo, exec_lo, s13
.LBB359_624:                            ;   in Loop: Header=BB359_543 Depth=1
	s_delay_alu instid0(SALU_CYCLE_1)
	s_or_b32 exec_lo, exec_lo, s12
.LBB359_625:                            ;   in Loop: Header=BB359_543 Depth=1
	s_delay_alu instid0(SALU_CYCLE_1) | instskip(SKIP_3) | instid1(VALU_DEP_2)
	s_or_b32 exec_lo, exec_lo, s10
	v_lshrrev_b32_e32 v13, 16, v11
	v_mov_b32_e32 v70, 0
	s_mov_b32 s10, exec_lo
	v_dual_mov_b32 v71, 0 :: v_dual_and_b32 v0, 0xff, v13
	s_delay_alu instid0(VALU_DEP_1)
	v_cmpx_ne_u16_e32 0, v0
	s_cbranch_execz .LBB359_633
; %bb.626:                              ;   in Loop: Header=BB359_543 Depth=1
	v_bfrev_b32_e32 v70, 1
	s_mov_b32 s12, exec_lo
	v_cmpx_ne_u16_e32 0x80, v0
	s_cbranch_execz .LBB359_632
; %bb.627:                              ;   in Loop: Header=BB359_543 Depth=1
	v_bfe_u32 v80, v11, 16, 7
	v_mov_b32_e32 v70, 0x7fc02000
	s_mov_b32 s13, exec_lo
	s_delay_alu instid0(VALU_DEP_2)
	v_cmpx_ne_u32_e32 0x7f, v80
	s_cbranch_execz .LBB359_631
; %bb.628:                              ;   in Loop: Header=BB359_543 Depth=1
	v_and_b32_e32 v0, 7, v13
	v_lshrrev_b32_e32 v14, 3, v80
	s_mov_b32 s15, exec_lo
	v_cmpx_gt_u32_e32 8, v80
; %bb.629:                              ;   in Loop: Header=BB359_543 Depth=1
	s_delay_alu instid0(VALU_DEP_3) | instskip(NEXT) | instid1(VALU_DEP_1)
	v_clz_i32_u32_e32 v14, v0
	v_min_u32_e32 v14, 32, v14
	s_delay_alu instid0(VALU_DEP_1) | instskip(SKIP_1) | instid1(VALU_DEP_2)
	v_subrev_nc_u32_e32 v70, 28, v14
	v_sub_nc_u32_e32 v14, 29, v14
	v_lshlrev_b64 v[80:81], v70, v[0:1]
	s_delay_alu instid0(VALU_DEP_1)
	v_and_b32_e32 v0, 7, v80
; %bb.630:                              ;   in Loop: Header=BB359_543 Depth=1
	s_or_b32 exec_lo, exec_lo, s15
	v_lshlrev_b32_e32 v13, 8, v13
	v_lshl_add_u32 v14, v14, 10, 0x2000
	s_delay_alu instid0(VALU_DEP_1) | instskip(NEXT) | instid1(VALU_DEP_1)
	v_and_or_b32 v13, 0x8000, v13, v14
	v_lshl_or_b32 v0, v0, 7, v13
	s_delay_alu instid0(VALU_DEP_1)
	v_cvt_f32_f16_e32 v70, v0
.LBB359_631:                            ;   in Loop: Header=BB359_543 Depth=1
	s_or_b32 exec_lo, exec_lo, s13
.LBB359_632:                            ;   in Loop: Header=BB359_543 Depth=1
	s_delay_alu instid0(SALU_CYCLE_1)
	s_or_b32 exec_lo, exec_lo, s12
.LBB359_633:                            ;   in Loop: Header=BB359_543 Depth=1
	s_delay_alu instid0(SALU_CYCLE_1) | instskip(NEXT) | instid1(SALU_CYCLE_1)
	s_or_b32 exec_lo, exec_lo, s10
	s_mov_b32 s10, exec_lo
	v_cmpx_lt_u32_e32 0xffffff, v11
	s_cbranch_execz .LBB359_641
; %bb.634:                              ;   in Loop: Header=BB359_543 Depth=1
	v_lshrrev_b32_e32 v13, 24, v11
	v_bfrev_b32_e32 v71, 1
	s_mov_b32 s12, exec_lo
	s_delay_alu instid0(VALU_DEP_2)
	v_cmpx_ne_u32_e32 0x80, v13
	s_cbranch_execz .LBB359_640
; %bb.635:                              ;   in Loop: Header=BB359_543 Depth=1
	v_and_b32_e32 v80, 0x7f, v13
	v_mov_b32_e32 v71, 0x7fc02000
	s_mov_b32 s13, exec_lo
	s_delay_alu instid0(VALU_DEP_2)
	v_cmpx_ne_u32_e32 0x7f, v80
	s_cbranch_execz .LBB359_639
; %bb.636:                              ;   in Loop: Header=BB359_543 Depth=1
	v_and_b32_e32 v0, 7, v13
	v_lshrrev_b32_e32 v14, 3, v80
	s_mov_b32 s15, exec_lo
	v_cmpx_gt_u32_e32 8, v80
; %bb.637:                              ;   in Loop: Header=BB359_543 Depth=1
	s_delay_alu instid0(VALU_DEP_3) | instskip(NEXT) | instid1(VALU_DEP_1)
	v_clz_i32_u32_e32 v14, v0
	v_min_u32_e32 v14, 32, v14
	s_delay_alu instid0(VALU_DEP_1) | instskip(SKIP_1) | instid1(VALU_DEP_2)
	v_subrev_nc_u32_e32 v71, 28, v14
	v_sub_nc_u32_e32 v14, 29, v14
	v_lshlrev_b64 v[80:81], v71, v[0:1]
	s_delay_alu instid0(VALU_DEP_1)
	v_and_b32_e32 v0, 7, v80
; %bb.638:                              ;   in Loop: Header=BB359_543 Depth=1
	s_or_b32 exec_lo, exec_lo, s15
	v_lshlrev_b32_e32 v13, 8, v13
	v_lshl_add_u32 v14, v14, 10, 0x2000
	s_delay_alu instid0(VALU_DEP_1) | instskip(NEXT) | instid1(VALU_DEP_1)
	v_and_or_b32 v13, 0x8000, v13, v14
	v_lshl_or_b32 v0, v0, 7, v13
	s_delay_alu instid0(VALU_DEP_1)
	v_cvt_f32_f16_e32 v71, v0
.LBB359_639:                            ;   in Loop: Header=BB359_543 Depth=1
	s_or_b32 exec_lo, exec_lo, s13
.LBB359_640:                            ;   in Loop: Header=BB359_543 Depth=1
	s_delay_alu instid0(SALU_CYCLE_1)
	s_or_b32 exec_lo, exec_lo, s12
.LBB359_641:                            ;   in Loop: Header=BB359_543 Depth=1
	s_delay_alu instid0(SALU_CYCLE_1) | instskip(SKIP_4) | instid1(VALU_DEP_3)
	s_or_b32 exec_lo, exec_lo, s10
	v_dual_mov_b32 v13, 0 :: v_dual_and_b32 v14, 0xff, v12
	v_mov_b32_e32 v0, v12
	v_mov_b32_e32 v80, 0
	s_mov_b32 s10, exec_lo
	v_cmpx_ne_u16_e32 0, v14
	s_cbranch_execz .LBB359_649
; %bb.642:                              ;   in Loop: Header=BB359_543 Depth=1
	v_bfrev_b32_e32 v13, 1
	s_mov_b32 s12, exec_lo
	v_cmpx_ne_u16_e32 0x80, v14
	s_cbranch_execz .LBB359_648
; %bb.643:                              ;   in Loop: Header=BB359_543 Depth=1
	v_and_b32_e32 v14, 0x7f, v12
	v_mov_b32_e32 v13, 0x7fc02000
	s_mov_b32 s13, exec_lo
	s_delay_alu instid0(VALU_DEP_2)
	v_cmpx_ne_u32_e32 0x7f, v14
	s_cbranch_execz .LBB359_647
; %bb.644:                              ;   in Loop: Header=BB359_543 Depth=1
	v_lshrrev_b32_e32 v81, 3, v14
	v_cmp_gt_u32_e64 s0, 8, v14
	v_dual_mov_b32 v14, v1 :: v_dual_mov_b32 v13, v0
	s_delay_alu instid0(VALU_DEP_2)
	s_and_saveexec_b32 s15, s0
; %bb.645:                              ;   in Loop: Header=BB359_543 Depth=1
	v_and_b32_e32 v13, 7, v12
	s_delay_alu instid0(VALU_DEP_1) | instskip(NEXT) | instid1(VALU_DEP_1)
	v_clz_i32_u32_e32 v13, v13
	v_min_u32_e32 v81, 32, v13
	s_delay_alu instid0(VALU_DEP_1) | instskip(SKIP_1) | instid1(VALU_DEP_2)
	v_subrev_nc_u32_e32 v13, 28, v81
	v_sub_nc_u32_e32 v81, 29, v81
	v_lshlrev_b64 v[13:14], v13, v[0:1]
; %bb.646:                              ;   in Loop: Header=BB359_543 Depth=1
	s_or_b32 exec_lo, exec_lo, s15
	v_lshlrev_b32_e32 v14, 8, v12
	s_delay_alu instid0(VALU_DEP_3) | instskip(NEXT) | instid1(VALU_DEP_3)
	v_lshl_add_u32 v81, v81, 10, 0x2000
	v_lshlrev_b32_e32 v13, 7, v13
	s_delay_alu instid0(VALU_DEP_2) | instskip(NEXT) | instid1(VALU_DEP_1)
	v_and_or_b32 v14, 0x8000, v14, v81
	v_and_or_b32 v13, 0x380, v13, v14
	s_delay_alu instid0(VALU_DEP_1)
	v_cvt_f32_f16_e32 v13, v13
.LBB359_647:                            ;   in Loop: Header=BB359_543 Depth=1
	s_or_b32 exec_lo, exec_lo, s13
.LBB359_648:                            ;   in Loop: Header=BB359_543 Depth=1
	s_delay_alu instid0(SALU_CYCLE_1)
	s_or_b32 exec_lo, exec_lo, s12
.LBB359_649:                            ;   in Loop: Header=BB359_543 Depth=1
	s_delay_alu instid0(SALU_CYCLE_1) | instskip(SKIP_2) | instid1(VALU_DEP_1)
	s_or_b32 exec_lo, exec_lo, s10
	v_lshrrev_b16 v0, 8, v0
	s_mov_b32 s10, exec_lo
	v_cmpx_ne_u16_e32 0, v0
	s_cbranch_execz .LBB359_657
; %bb.650:                              ;   in Loop: Header=BB359_543 Depth=1
	v_bfrev_b32_e32 v80, 1
	s_mov_b32 s12, exec_lo
	v_cmpx_ne_u16_e32 0x80, v0
	s_cbranch_execz .LBB359_656
; %bb.651:                              ;   in Loop: Header=BB359_543 Depth=1
	v_and_b32_e32 v14, 0xffff, v0
	v_mov_b32_e32 v80, 0x7fc02000
	s_mov_b32 s13, exec_lo
	s_delay_alu instid0(VALU_DEP_2) | instskip(NEXT) | instid1(VALU_DEP_1)
	v_and_b32_e32 v81, 0x7f, v14
	v_cmpx_ne_u32_e32 0x7f, v81
	s_cbranch_execz .LBB359_655
; %bb.652:                              ;   in Loop: Header=BB359_543 Depth=1
	v_and_b32_e32 v0, 7, v14
	v_lshrrev_b32_e32 v80, 3, v81
	s_mov_b32 s15, exec_lo
	v_cmpx_gt_u32_e32 8, v81
; %bb.653:                              ;   in Loop: Header=BB359_543 Depth=1
	s_delay_alu instid0(VALU_DEP_3) | instskip(NEXT) | instid1(VALU_DEP_1)
	v_clz_i32_u32_e32 v80, v0
	v_min_u32_e32 v80, 32, v80
	s_delay_alu instid0(VALU_DEP_1) | instskip(SKIP_1) | instid1(VALU_DEP_2)
	v_subrev_nc_u32_e32 v81, 28, v80
	v_sub_nc_u32_e32 v80, 29, v80
	v_lshlrev_b64 v[81:82], v81, v[0:1]
	s_delay_alu instid0(VALU_DEP_1)
	v_and_b32_e32 v0, 7, v81
; %bb.654:                              ;   in Loop: Header=BB359_543 Depth=1
	s_or_b32 exec_lo, exec_lo, s15
	v_lshlrev_b32_e32 v14, 8, v14
	v_lshl_add_u32 v80, v80, 10, 0x2000
	s_delay_alu instid0(VALU_DEP_1) | instskip(NEXT) | instid1(VALU_DEP_1)
	v_and_or_b32 v14, 0x8000, v14, v80
	v_lshl_or_b32 v0, v0, 7, v14
	s_delay_alu instid0(VALU_DEP_1)
	v_cvt_f32_f16_e32 v80, v0
.LBB359_655:                            ;   in Loop: Header=BB359_543 Depth=1
	s_or_b32 exec_lo, exec_lo, s13
.LBB359_656:                            ;   in Loop: Header=BB359_543 Depth=1
	s_delay_alu instid0(SALU_CYCLE_1)
	s_or_b32 exec_lo, exec_lo, s12
.LBB359_657:                            ;   in Loop: Header=BB359_543 Depth=1
	s_delay_alu instid0(SALU_CYCLE_1) | instskip(SKIP_3) | instid1(VALU_DEP_2)
	s_or_b32 exec_lo, exec_lo, s10
	v_lshrrev_b32_e32 v82, 16, v12
	v_mov_b32_e32 v14, 0
	s_mov_b32 s10, exec_lo
	v_dual_mov_b32 v81, 0 :: v_dual_and_b32 v0, 0xff, v82
	s_delay_alu instid0(VALU_DEP_1)
	v_cmpx_ne_u16_e32 0, v0
	s_cbranch_execz .LBB359_665
; %bb.658:                              ;   in Loop: Header=BB359_543 Depth=1
	v_bfrev_b32_e32 v14, 1
	s_mov_b32 s12, exec_lo
	v_cmpx_ne_u16_e32 0x80, v0
	s_cbranch_execz .LBB359_664
; %bb.659:                              ;   in Loop: Header=BB359_543 Depth=1
	v_bfe_u32 v83, v12, 16, 7
	v_mov_b32_e32 v14, 0x7fc02000
	s_mov_b32 s13, exec_lo
	s_delay_alu instid0(VALU_DEP_2)
	v_cmpx_ne_u32_e32 0x7f, v83
	s_cbranch_execz .LBB359_663
; %bb.660:                              ;   in Loop: Header=BB359_543 Depth=1
	v_and_b32_e32 v0, 7, v82
	v_lshrrev_b32_e32 v14, 3, v83
	s_mov_b32 s15, exec_lo
	v_cmpx_gt_u32_e32 8, v83
; %bb.661:                              ;   in Loop: Header=BB359_543 Depth=1
	s_delay_alu instid0(VALU_DEP_3) | instskip(NEXT) | instid1(VALU_DEP_1)
	v_clz_i32_u32_e32 v14, v0
	v_min_u32_e32 v14, 32, v14
	s_delay_alu instid0(VALU_DEP_1) | instskip(SKIP_1) | instid1(VALU_DEP_2)
	v_subrev_nc_u32_e32 v83, 28, v14
	v_sub_nc_u32_e32 v14, 29, v14
	v_lshlrev_b64 v[83:84], v83, v[0:1]
	s_delay_alu instid0(VALU_DEP_1)
	v_and_b32_e32 v0, 7, v83
; %bb.662:                              ;   in Loop: Header=BB359_543 Depth=1
	s_or_b32 exec_lo, exec_lo, s15
	v_lshlrev_b32_e32 v82, 8, v82
	v_lshl_add_u32 v14, v14, 10, 0x2000
	s_delay_alu instid0(VALU_DEP_1) | instskip(NEXT) | instid1(VALU_DEP_1)
	v_and_or_b32 v14, 0x8000, v82, v14
	v_lshl_or_b32 v0, v0, 7, v14
	s_delay_alu instid0(VALU_DEP_1)
	v_cvt_f32_f16_e32 v14, v0
.LBB359_663:                            ;   in Loop: Header=BB359_543 Depth=1
	s_or_b32 exec_lo, exec_lo, s13
.LBB359_664:                            ;   in Loop: Header=BB359_543 Depth=1
	s_delay_alu instid0(SALU_CYCLE_1)
	s_or_b32 exec_lo, exec_lo, s12
.LBB359_665:                            ;   in Loop: Header=BB359_543 Depth=1
	s_delay_alu instid0(SALU_CYCLE_1) | instskip(NEXT) | instid1(SALU_CYCLE_1)
	s_or_b32 exec_lo, exec_lo, s10
	s_mov_b32 s10, exec_lo
	v_cmpx_lt_u64_e64 s[8:9], v[11:12]
	s_cbranch_execz .LBB359_673
; %bb.666:                              ;   in Loop: Header=BB359_543 Depth=1
	v_lshrrev_b32_e32 v11, 24, v12
	v_bfrev_b32_e32 v81, 1
	s_mov_b32 s12, exec_lo
	s_delay_alu instid0(VALU_DEP_2)
	v_cmpx_ne_u32_e32 0x80, v11
	s_cbranch_execz .LBB359_672
; %bb.667:                              ;   in Loop: Header=BB359_543 Depth=1
	v_and_b32_e32 v82, 0x7f, v11
	v_mov_b32_e32 v81, 0x7fc02000
	s_mov_b32 s13, exec_lo
	s_delay_alu instid0(VALU_DEP_2)
	v_cmpx_ne_u32_e32 0x7f, v82
	s_cbranch_execz .LBB359_671
; %bb.668:                              ;   in Loop: Header=BB359_543 Depth=1
	v_and_b32_e32 v0, 7, v11
	v_lshrrev_b32_e32 v12, 3, v82
	s_mov_b32 s15, exec_lo
	v_cmpx_gt_u32_e32 8, v82
; %bb.669:                              ;   in Loop: Header=BB359_543 Depth=1
	s_delay_alu instid0(VALU_DEP_3) | instskip(NEXT) | instid1(VALU_DEP_1)
	v_clz_i32_u32_e32 v12, v0
	v_min_u32_e32 v12, 32, v12
	s_delay_alu instid0(VALU_DEP_1) | instskip(SKIP_1) | instid1(VALU_DEP_2)
	v_subrev_nc_u32_e32 v81, 28, v12
	v_sub_nc_u32_e32 v12, 29, v12
	v_lshlrev_b64 v[81:82], v81, v[0:1]
	s_delay_alu instid0(VALU_DEP_1)
	v_and_b32_e32 v0, 7, v81
; %bb.670:                              ;   in Loop: Header=BB359_543 Depth=1
	s_or_b32 exec_lo, exec_lo, s15
	v_lshlrev_b32_e32 v11, 8, v11
	v_lshl_add_u32 v12, v12, 10, 0x2000
	s_delay_alu instid0(VALU_DEP_1) | instskip(NEXT) | instid1(VALU_DEP_1)
	v_and_or_b32 v11, 0x8000, v11, v12
	v_lshl_or_b32 v0, v0, 7, v11
	s_delay_alu instid0(VALU_DEP_1)
	v_cvt_f32_f16_e32 v81, v0
.LBB359_671:                            ;   in Loop: Header=BB359_543 Depth=1
	s_or_b32 exec_lo, exec_lo, s13
.LBB359_672:                            ;   in Loop: Header=BB359_543 Depth=1
	s_delay_alu instid0(SALU_CYCLE_1)
	s_or_b32 exec_lo, exec_lo, s12
.LBB359_673:                            ;   in Loop: Header=BB359_543 Depth=1
	s_delay_alu instid0(SALU_CYCLE_1)
	s_or_b32 exec_lo, exec_lo, s10
	s_waitcnt vmcnt(0) lgkmcnt(0)
	v_fma_mixlo_f16 v12, v67, v69, 0
	v_fma_mixlo_f16 v0, v67, v71, 0
	v_fma_mixlo_f16 v11, v67, v70, 0
	v_fma_mixlo_f16 v68, v67, v68, 0
	v_fma_mixlo_f16 v70, v67, v80, 0
	v_lshlrev_b32_e32 v69, 16, v12
	v_fma_mixlo_f16 v13, v67, v13, 0
	v_fma_mixlo_f16 v71, v67, v81, 0
	;; [unrolled: 1-line block ×3, first 2 shown]
	v_lshlrev_b32_e32 v0, 16, v0
	v_and_b32_e32 v11, 0xffff, v11
	v_and_b32_e32 v14, 0xffff, v68
	v_lshlrev_b32_e32 v67, 16, v70
	v_and_b32_e32 v68, 0xffff, v13
	v_lshlrev_b32_e32 v70, 16, v71
	v_and_b32_e32 v71, 0xffff, v12
	v_or_b32_e32 v13, v0, v11
	v_or_b32_e32 v14, v69, v14
	;; [unrolled: 1-line block ×3, first 2 shown]
	s_delay_alu instid0(VALU_DEP_4)
	v_or_b32_e32 v11, v70, v71
	s_and_saveexec_b32 s10, vcc_lo
	s_cbranch_execz .LBB359_675
; %bb.674:                              ;   in Loop: Header=BB359_543 Depth=1
	v_cmp_lt_i32_e64 s0, v15, v35
	v_lshrrev_b32_e32 v67, 16, v14
	v_lshrrev_b32_e32 v68, 16, v13
	;; [unrolled: 1-line block ×4, first 2 shown]
	v_cndmask_b32_e64 v14, 0, v14, s0
	v_cmp_lt_i32_e64 s0, v52, v39
	s_delay_alu instid0(VALU_DEP_1) | instskip(SKIP_1) | instid1(VALU_DEP_2)
	v_cndmask_b32_e64 v67, 0, v67, s0
	v_cmp_lt_i32_e64 s0, v51, v39
	v_perm_b32 v14, v67, v14, 0x5040100
	s_delay_alu instid0(VALU_DEP_2) | instskip(SKIP_1) | instid1(VALU_DEP_1)
	v_cndmask_b32_e64 v68, 0, v68, s0
	v_cmp_lt_i32_e64 s0, v50, v35
	v_cndmask_b32_e64 v13, 0, v13, s0
	v_cmp_lt_i32_e64 s0, v49, v39
	s_delay_alu instid0(VALU_DEP_2) | instskip(NEXT) | instid1(VALU_DEP_2)
	v_perm_b32 v13, v68, v13, 0x5040100
	v_cndmask_b32_e64 v69, 0, v69, s0
	v_cmp_lt_i32_e64 s0, v48, v35
	s_delay_alu instid0(VALU_DEP_1) | instskip(SKIP_1) | instid1(VALU_DEP_2)
	v_cndmask_b32_e64 v0, 0, v0, s0
	v_cmp_lt_i32_e64 s0, v38, v39
	v_perm_b32 v0, v69, v0, 0x5040100
	s_delay_alu instid0(VALU_DEP_2) | instskip(SKIP_1) | instid1(VALU_DEP_1)
	v_cndmask_b32_e64 v11, 0, v11, s0
	v_cmp_lt_i32_e64 s0, v17, v35
	v_cndmask_b32_e64 v12, 0, v12, s0
	s_delay_alu instid0(VALU_DEP_1)
	v_perm_b32 v11, v11, v12, 0x5040100
.LBB359_675:                            ;   in Loop: Header=BB359_543 Depth=1
	s_or_b32 exec_lo, exec_lo, s10
	;;#ASMSTART
	v_pk_mul_f16 v12, v64, v14;

	;;#ASMEND
	;;#ASMSTART
	v_pk_mul_f16 v13, v55, v13;

	;;#ASMEND
	;; [unrolled: 4-line block ×4, first 2 shown]
	;;#ASMSTART
	v_pk_add_f16 v12, v12, v13;

	;;#ASMEND
	;;#ASMSTART
	v_pk_add_f16 v0, v12, v0;

	;;#ASMEND
	;; [unrolled: 4-line block ×3, first 2 shown]
	v_dual_mov_b32 v70, 0 :: v_dual_and_b32 v11, 0xffff, v0
	v_lshrrev_b32_e32 v0, 16, v0
	;;#ASMSTART
	v_cvt_f32_f16 v67, v11;
	;;#ASMEND
	;;#ASMSTART
	v_cvt_f32_f16 v68, v0;
	;;#ASMEND
	flat_load_b64 v[11:12], v[9:10] offset:512
	flat_load_b32 v69, v[26:27]
	s_mov_b32 s10, exec_lo
	s_waitcnt vmcnt(1) lgkmcnt(1)
	v_dual_mov_b32 v71, 0 :: v_dual_and_b32 v0, 0xff, v11
	s_delay_alu instid0(VALU_DEP_1)
	v_cmpx_ne_u16_e32 0, v0
	s_cbranch_execz .LBB359_683
; %bb.676:                              ;   in Loop: Header=BB359_543 Depth=1
	v_bfrev_b32_e32 v70, 1
	s_mov_b32 s12, exec_lo
	v_cmpx_ne_u16_e32 0x80, v0
	s_cbranch_execz .LBB359_682
; %bb.677:                              ;   in Loop: Header=BB359_543 Depth=1
	v_and_b32_e32 v13, 0x7f, v11
	v_mov_b32_e32 v70, 0x7fc02000
	s_mov_b32 s13, exec_lo
	s_delay_alu instid0(VALU_DEP_2)
	v_cmpx_ne_u32_e32 0x7f, v13
	s_cbranch_execz .LBB359_681
; %bb.678:                              ;   in Loop: Header=BB359_543 Depth=1
	v_lshrrev_b32_e32 v0, 3, v13
	v_cmp_gt_u32_e64 s0, 8, v13
	v_dual_mov_b32 v14, v12 :: v_dual_mov_b32 v13, v11
	s_delay_alu instid0(VALU_DEP_2)
	s_and_saveexec_b32 s15, s0
; %bb.679:                              ;   in Loop: Header=BB359_543 Depth=1
	v_and_b32_e32 v0, 7, v11
	s_delay_alu instid0(VALU_DEP_1) | instskip(NEXT) | instid1(VALU_DEP_1)
	v_clz_i32_u32_e32 v0, v0
	v_min_u32_e32 v0, 32, v0
	s_delay_alu instid0(VALU_DEP_1) | instskip(SKIP_1) | instid1(VALU_DEP_2)
	v_subrev_nc_u32_e32 v13, 28, v0
	v_sub_nc_u32_e32 v0, 29, v0
	v_lshlrev_b64 v[13:14], v13, v[11:12]
; %bb.680:                              ;   in Loop: Header=BB359_543 Depth=1
	s_or_b32 exec_lo, exec_lo, s15
	v_lshlrev_b32_e32 v14, 8, v11
	s_delay_alu instid0(VALU_DEP_3) | instskip(NEXT) | instid1(VALU_DEP_3)
	v_lshl_add_u32 v0, v0, 10, 0x2000
	v_lshlrev_b32_e32 v13, 7, v13
	s_delay_alu instid0(VALU_DEP_2) | instskip(NEXT) | instid1(VALU_DEP_1)
	v_and_or_b32 v0, 0x8000, v14, v0
	v_and_or_b32 v0, 0x380, v13, v0
	s_delay_alu instid0(VALU_DEP_1)
	v_cvt_f32_f16_e32 v70, v0
.LBB359_681:                            ;   in Loop: Header=BB359_543 Depth=1
	s_or_b32 exec_lo, exec_lo, s13
.LBB359_682:                            ;   in Loop: Header=BB359_543 Depth=1
	s_delay_alu instid0(SALU_CYCLE_1)
	s_or_b32 exec_lo, exec_lo, s12
.LBB359_683:                            ;   in Loop: Header=BB359_543 Depth=1
	s_delay_alu instid0(SALU_CYCLE_1) | instskip(SKIP_2) | instid1(VALU_DEP_1)
	s_or_b32 exec_lo, exec_lo, s10
	v_lshrrev_b16 v0, 8, v11
	s_mov_b32 s10, exec_lo
	v_cmpx_ne_u16_e32 0, v0
	s_cbranch_execz .LBB359_691
; %bb.684:                              ;   in Loop: Header=BB359_543 Depth=1
	v_bfrev_b32_e32 v71, 1
	s_mov_b32 s12, exec_lo
	v_cmpx_ne_u16_e32 0x80, v0
	s_cbranch_execz .LBB359_690
; %bb.685:                              ;   in Loop: Header=BB359_543 Depth=1
	v_and_b32_e32 v13, 0xffff, v0
	v_mov_b32_e32 v71, 0x7fc02000
	s_mov_b32 s13, exec_lo
	s_delay_alu instid0(VALU_DEP_2) | instskip(NEXT) | instid1(VALU_DEP_1)
	v_and_b32_e32 v80, 0x7f, v13
	v_cmpx_ne_u32_e32 0x7f, v80
	s_cbranch_execz .LBB359_689
; %bb.686:                              ;   in Loop: Header=BB359_543 Depth=1
	v_and_b32_e32 v0, 7, v13
	v_lshrrev_b32_e32 v14, 3, v80
	s_mov_b32 s15, exec_lo
	v_cmpx_gt_u32_e32 8, v80
; %bb.687:                              ;   in Loop: Header=BB359_543 Depth=1
	s_delay_alu instid0(VALU_DEP_3) | instskip(NEXT) | instid1(VALU_DEP_1)
	v_clz_i32_u32_e32 v14, v0
	v_min_u32_e32 v14, 32, v14
	s_delay_alu instid0(VALU_DEP_1) | instskip(SKIP_1) | instid1(VALU_DEP_2)
	v_subrev_nc_u32_e32 v71, 28, v14
	v_sub_nc_u32_e32 v14, 29, v14
	v_lshlrev_b64 v[80:81], v71, v[0:1]
	s_delay_alu instid0(VALU_DEP_1)
	v_and_b32_e32 v0, 7, v80
; %bb.688:                              ;   in Loop: Header=BB359_543 Depth=1
	s_or_b32 exec_lo, exec_lo, s15
	v_lshlrev_b32_e32 v13, 8, v13
	v_lshl_add_u32 v14, v14, 10, 0x2000
	s_delay_alu instid0(VALU_DEP_1) | instskip(NEXT) | instid1(VALU_DEP_1)
	v_and_or_b32 v13, 0x8000, v13, v14
	v_lshl_or_b32 v0, v0, 7, v13
	s_delay_alu instid0(VALU_DEP_1)
	v_cvt_f32_f16_e32 v71, v0
.LBB359_689:                            ;   in Loop: Header=BB359_543 Depth=1
	s_or_b32 exec_lo, exec_lo, s13
.LBB359_690:                            ;   in Loop: Header=BB359_543 Depth=1
	s_delay_alu instid0(SALU_CYCLE_1)
	s_or_b32 exec_lo, exec_lo, s12
.LBB359_691:                            ;   in Loop: Header=BB359_543 Depth=1
	s_delay_alu instid0(SALU_CYCLE_1) | instskip(SKIP_3) | instid1(VALU_DEP_2)
	s_or_b32 exec_lo, exec_lo, s10
	v_lshrrev_b32_e32 v13, 16, v11
	v_mov_b32_e32 v80, 0
	s_mov_b32 s10, exec_lo
	v_dual_mov_b32 v81, 0 :: v_dual_and_b32 v0, 0xff, v13
	s_delay_alu instid0(VALU_DEP_1)
	v_cmpx_ne_u16_e32 0, v0
	s_cbranch_execz .LBB359_699
; %bb.692:                              ;   in Loop: Header=BB359_543 Depth=1
	v_bfrev_b32_e32 v80, 1
	s_mov_b32 s12, exec_lo
	v_cmpx_ne_u16_e32 0x80, v0
	s_cbranch_execz .LBB359_698
; %bb.693:                              ;   in Loop: Header=BB359_543 Depth=1
	v_bfe_u32 v82, v11, 16, 7
	v_mov_b32_e32 v80, 0x7fc02000
	s_mov_b32 s13, exec_lo
	s_delay_alu instid0(VALU_DEP_2)
	v_cmpx_ne_u32_e32 0x7f, v82
	s_cbranch_execz .LBB359_697
; %bb.694:                              ;   in Loop: Header=BB359_543 Depth=1
	v_and_b32_e32 v0, 7, v13
	v_lshrrev_b32_e32 v14, 3, v82
	s_mov_b32 s15, exec_lo
	v_cmpx_gt_u32_e32 8, v82
; %bb.695:                              ;   in Loop: Header=BB359_543 Depth=1
	s_delay_alu instid0(VALU_DEP_3) | instskip(NEXT) | instid1(VALU_DEP_1)
	v_clz_i32_u32_e32 v14, v0
	v_min_u32_e32 v14, 32, v14
	s_delay_alu instid0(VALU_DEP_1) | instskip(SKIP_1) | instid1(VALU_DEP_2)
	v_subrev_nc_u32_e32 v80, 28, v14
	v_sub_nc_u32_e32 v14, 29, v14
	v_lshlrev_b64 v[82:83], v80, v[0:1]
	s_delay_alu instid0(VALU_DEP_1)
	v_and_b32_e32 v0, 7, v82
; %bb.696:                              ;   in Loop: Header=BB359_543 Depth=1
	s_or_b32 exec_lo, exec_lo, s15
	v_lshlrev_b32_e32 v13, 8, v13
	v_lshl_add_u32 v14, v14, 10, 0x2000
	s_delay_alu instid0(VALU_DEP_1) | instskip(NEXT) | instid1(VALU_DEP_1)
	v_and_or_b32 v13, 0x8000, v13, v14
	v_lshl_or_b32 v0, v0, 7, v13
	s_delay_alu instid0(VALU_DEP_1)
	v_cvt_f32_f16_e32 v80, v0
.LBB359_697:                            ;   in Loop: Header=BB359_543 Depth=1
	s_or_b32 exec_lo, exec_lo, s13
.LBB359_698:                            ;   in Loop: Header=BB359_543 Depth=1
	s_delay_alu instid0(SALU_CYCLE_1)
	s_or_b32 exec_lo, exec_lo, s12
.LBB359_699:                            ;   in Loop: Header=BB359_543 Depth=1
	s_delay_alu instid0(SALU_CYCLE_1) | instskip(NEXT) | instid1(SALU_CYCLE_1)
	s_or_b32 exec_lo, exec_lo, s10
	s_mov_b32 s10, exec_lo
	v_cmpx_lt_u32_e32 0xffffff, v11
	s_cbranch_execz .LBB359_707
; %bb.700:                              ;   in Loop: Header=BB359_543 Depth=1
	v_lshrrev_b32_e32 v13, 24, v11
	v_bfrev_b32_e32 v81, 1
	s_mov_b32 s12, exec_lo
	s_delay_alu instid0(VALU_DEP_2)
	v_cmpx_ne_u32_e32 0x80, v13
	s_cbranch_execz .LBB359_706
; %bb.701:                              ;   in Loop: Header=BB359_543 Depth=1
	v_and_b32_e32 v82, 0x7f, v13
	v_mov_b32_e32 v81, 0x7fc02000
	s_mov_b32 s13, exec_lo
	s_delay_alu instid0(VALU_DEP_2)
	v_cmpx_ne_u32_e32 0x7f, v82
	s_cbranch_execz .LBB359_705
; %bb.702:                              ;   in Loop: Header=BB359_543 Depth=1
	v_and_b32_e32 v0, 7, v13
	v_lshrrev_b32_e32 v14, 3, v82
	s_mov_b32 s15, exec_lo
	v_cmpx_gt_u32_e32 8, v82
; %bb.703:                              ;   in Loop: Header=BB359_543 Depth=1
	s_delay_alu instid0(VALU_DEP_3) | instskip(NEXT) | instid1(VALU_DEP_1)
	v_clz_i32_u32_e32 v14, v0
	v_min_u32_e32 v14, 32, v14
	s_delay_alu instid0(VALU_DEP_1) | instskip(SKIP_1) | instid1(VALU_DEP_2)
	v_subrev_nc_u32_e32 v81, 28, v14
	v_sub_nc_u32_e32 v14, 29, v14
	v_lshlrev_b64 v[81:82], v81, v[0:1]
	s_delay_alu instid0(VALU_DEP_1)
	v_and_b32_e32 v0, 7, v81
; %bb.704:                              ;   in Loop: Header=BB359_543 Depth=1
	s_or_b32 exec_lo, exec_lo, s15
	v_lshlrev_b32_e32 v13, 8, v13
	v_lshl_add_u32 v14, v14, 10, 0x2000
	s_delay_alu instid0(VALU_DEP_1) | instskip(NEXT) | instid1(VALU_DEP_1)
	v_and_or_b32 v13, 0x8000, v13, v14
	v_lshl_or_b32 v0, v0, 7, v13
	s_delay_alu instid0(VALU_DEP_1)
	v_cvt_f32_f16_e32 v81, v0
.LBB359_705:                            ;   in Loop: Header=BB359_543 Depth=1
	s_or_b32 exec_lo, exec_lo, s13
.LBB359_706:                            ;   in Loop: Header=BB359_543 Depth=1
	s_delay_alu instid0(SALU_CYCLE_1)
	s_or_b32 exec_lo, exec_lo, s12
.LBB359_707:                            ;   in Loop: Header=BB359_543 Depth=1
	s_delay_alu instid0(SALU_CYCLE_1) | instskip(SKIP_4) | instid1(VALU_DEP_3)
	s_or_b32 exec_lo, exec_lo, s10
	v_dual_mov_b32 v13, 0 :: v_dual_and_b32 v14, 0xff, v12
	v_mov_b32_e32 v0, v12
	v_mov_b32_e32 v82, 0
	s_mov_b32 s10, exec_lo
	v_cmpx_ne_u16_e32 0, v14
	s_cbranch_execz .LBB359_715
; %bb.708:                              ;   in Loop: Header=BB359_543 Depth=1
	v_bfrev_b32_e32 v13, 1
	s_mov_b32 s12, exec_lo
	v_cmpx_ne_u16_e32 0x80, v14
	s_cbranch_execz .LBB359_714
; %bb.709:                              ;   in Loop: Header=BB359_543 Depth=1
	v_and_b32_e32 v14, 0x7f, v12
	v_mov_b32_e32 v13, 0x7fc02000
	s_mov_b32 s13, exec_lo
	s_delay_alu instid0(VALU_DEP_2)
	v_cmpx_ne_u32_e32 0x7f, v14
	s_cbranch_execz .LBB359_713
; %bb.710:                              ;   in Loop: Header=BB359_543 Depth=1
	v_lshrrev_b32_e32 v83, 3, v14
	v_cmp_gt_u32_e64 s0, 8, v14
	v_dual_mov_b32 v14, v1 :: v_dual_mov_b32 v13, v0
	s_delay_alu instid0(VALU_DEP_2)
	s_and_saveexec_b32 s15, s0
; %bb.711:                              ;   in Loop: Header=BB359_543 Depth=1
	v_and_b32_e32 v13, 7, v12
	s_delay_alu instid0(VALU_DEP_1) | instskip(NEXT) | instid1(VALU_DEP_1)
	v_clz_i32_u32_e32 v13, v13
	v_min_u32_e32 v83, 32, v13
	s_delay_alu instid0(VALU_DEP_1) | instskip(SKIP_1) | instid1(VALU_DEP_2)
	v_subrev_nc_u32_e32 v13, 28, v83
	v_sub_nc_u32_e32 v83, 29, v83
	v_lshlrev_b64 v[13:14], v13, v[0:1]
; %bb.712:                              ;   in Loop: Header=BB359_543 Depth=1
	s_or_b32 exec_lo, exec_lo, s15
	v_lshlrev_b32_e32 v14, 8, v12
	s_delay_alu instid0(VALU_DEP_3) | instskip(NEXT) | instid1(VALU_DEP_3)
	v_lshl_add_u32 v83, v83, 10, 0x2000
	v_lshlrev_b32_e32 v13, 7, v13
	s_delay_alu instid0(VALU_DEP_2) | instskip(NEXT) | instid1(VALU_DEP_1)
	v_and_or_b32 v14, 0x8000, v14, v83
	v_and_or_b32 v13, 0x380, v13, v14
	s_delay_alu instid0(VALU_DEP_1)
	v_cvt_f32_f16_e32 v13, v13
.LBB359_713:                            ;   in Loop: Header=BB359_543 Depth=1
	s_or_b32 exec_lo, exec_lo, s13
.LBB359_714:                            ;   in Loop: Header=BB359_543 Depth=1
	s_delay_alu instid0(SALU_CYCLE_1)
	s_or_b32 exec_lo, exec_lo, s12
.LBB359_715:                            ;   in Loop: Header=BB359_543 Depth=1
	s_delay_alu instid0(SALU_CYCLE_1) | instskip(SKIP_2) | instid1(VALU_DEP_1)
	s_or_b32 exec_lo, exec_lo, s10
	v_lshrrev_b16 v0, 8, v0
	s_mov_b32 s10, exec_lo
	v_cmpx_ne_u16_e32 0, v0
	s_cbranch_execz .LBB359_723
; %bb.716:                              ;   in Loop: Header=BB359_543 Depth=1
	v_bfrev_b32_e32 v82, 1
	s_mov_b32 s12, exec_lo
	v_cmpx_ne_u16_e32 0x80, v0
	s_cbranch_execz .LBB359_722
; %bb.717:                              ;   in Loop: Header=BB359_543 Depth=1
	v_and_b32_e32 v14, 0xffff, v0
	v_mov_b32_e32 v82, 0x7fc02000
	s_mov_b32 s13, exec_lo
	s_delay_alu instid0(VALU_DEP_2) | instskip(NEXT) | instid1(VALU_DEP_1)
	v_and_b32_e32 v83, 0x7f, v14
	v_cmpx_ne_u32_e32 0x7f, v83
	s_cbranch_execz .LBB359_721
; %bb.718:                              ;   in Loop: Header=BB359_543 Depth=1
	v_and_b32_e32 v0, 7, v14
	v_lshrrev_b32_e32 v82, 3, v83
	s_mov_b32 s15, exec_lo
	v_cmpx_gt_u32_e32 8, v83
; %bb.719:                              ;   in Loop: Header=BB359_543 Depth=1
	s_delay_alu instid0(VALU_DEP_3) | instskip(NEXT) | instid1(VALU_DEP_1)
	v_clz_i32_u32_e32 v82, v0
	v_min_u32_e32 v82, 32, v82
	s_delay_alu instid0(VALU_DEP_1) | instskip(SKIP_1) | instid1(VALU_DEP_2)
	v_subrev_nc_u32_e32 v83, 28, v82
	v_sub_nc_u32_e32 v82, 29, v82
	v_lshlrev_b64 v[83:84], v83, v[0:1]
	s_delay_alu instid0(VALU_DEP_1)
	v_and_b32_e32 v0, 7, v83
; %bb.720:                              ;   in Loop: Header=BB359_543 Depth=1
	s_or_b32 exec_lo, exec_lo, s15
	v_lshlrev_b32_e32 v14, 8, v14
	v_lshl_add_u32 v82, v82, 10, 0x2000
	s_delay_alu instid0(VALU_DEP_1) | instskip(NEXT) | instid1(VALU_DEP_1)
	v_and_or_b32 v14, 0x8000, v14, v82
	v_lshl_or_b32 v0, v0, 7, v14
	s_delay_alu instid0(VALU_DEP_1)
	v_cvt_f32_f16_e32 v82, v0
.LBB359_721:                            ;   in Loop: Header=BB359_543 Depth=1
	s_or_b32 exec_lo, exec_lo, s13
.LBB359_722:                            ;   in Loop: Header=BB359_543 Depth=1
	s_delay_alu instid0(SALU_CYCLE_1)
	s_or_b32 exec_lo, exec_lo, s12
.LBB359_723:                            ;   in Loop: Header=BB359_543 Depth=1
	s_delay_alu instid0(SALU_CYCLE_1) | instskip(SKIP_3) | instid1(VALU_DEP_2)
	s_or_b32 exec_lo, exec_lo, s10
	v_lshrrev_b32_e32 v84, 16, v12
	v_mov_b32_e32 v14, 0
	s_mov_b32 s10, exec_lo
	v_dual_mov_b32 v83, 0 :: v_dual_and_b32 v0, 0xff, v84
	s_delay_alu instid0(VALU_DEP_1)
	v_cmpx_ne_u16_e32 0, v0
	s_cbranch_execz .LBB359_731
; %bb.724:                              ;   in Loop: Header=BB359_543 Depth=1
	v_bfrev_b32_e32 v14, 1
	s_mov_b32 s12, exec_lo
	v_cmpx_ne_u16_e32 0x80, v0
	s_cbranch_execz .LBB359_730
; %bb.725:                              ;   in Loop: Header=BB359_543 Depth=1
	v_bfe_u32 v85, v12, 16, 7
	v_mov_b32_e32 v14, 0x7fc02000
	s_mov_b32 s13, exec_lo
	s_delay_alu instid0(VALU_DEP_2)
	v_cmpx_ne_u32_e32 0x7f, v85
	s_cbranch_execz .LBB359_729
; %bb.726:                              ;   in Loop: Header=BB359_543 Depth=1
	v_and_b32_e32 v0, 7, v84
	v_lshrrev_b32_e32 v14, 3, v85
	s_mov_b32 s15, exec_lo
	v_cmpx_gt_u32_e32 8, v85
; %bb.727:                              ;   in Loop: Header=BB359_543 Depth=1
	s_delay_alu instid0(VALU_DEP_3) | instskip(NEXT) | instid1(VALU_DEP_1)
	v_clz_i32_u32_e32 v14, v0
	v_min_u32_e32 v14, 32, v14
	s_delay_alu instid0(VALU_DEP_1) | instskip(SKIP_1) | instid1(VALU_DEP_2)
	v_subrev_nc_u32_e32 v85, 28, v14
	v_sub_nc_u32_e32 v14, 29, v14
	v_lshlrev_b64 v[85:86], v85, v[0:1]
	s_delay_alu instid0(VALU_DEP_1)
	v_and_b32_e32 v0, 7, v85
; %bb.728:                              ;   in Loop: Header=BB359_543 Depth=1
	s_or_b32 exec_lo, exec_lo, s15
	v_lshlrev_b32_e32 v84, 8, v84
	v_lshl_add_u32 v14, v14, 10, 0x2000
	s_delay_alu instid0(VALU_DEP_1) | instskip(NEXT) | instid1(VALU_DEP_1)
	v_and_or_b32 v14, 0x8000, v84, v14
	v_lshl_or_b32 v0, v0, 7, v14
	s_delay_alu instid0(VALU_DEP_1)
	v_cvt_f32_f16_e32 v14, v0
.LBB359_729:                            ;   in Loop: Header=BB359_543 Depth=1
	s_or_b32 exec_lo, exec_lo, s13
.LBB359_730:                            ;   in Loop: Header=BB359_543 Depth=1
	s_delay_alu instid0(SALU_CYCLE_1)
	s_or_b32 exec_lo, exec_lo, s12
.LBB359_731:                            ;   in Loop: Header=BB359_543 Depth=1
	s_delay_alu instid0(SALU_CYCLE_1) | instskip(NEXT) | instid1(SALU_CYCLE_1)
	s_or_b32 exec_lo, exec_lo, s10
	s_mov_b32 s10, exec_lo
	v_cmpx_lt_u64_e64 s[8:9], v[11:12]
	s_cbranch_execz .LBB359_739
; %bb.732:                              ;   in Loop: Header=BB359_543 Depth=1
	v_lshrrev_b32_e32 v11, 24, v12
	v_bfrev_b32_e32 v83, 1
	s_mov_b32 s12, exec_lo
	s_delay_alu instid0(VALU_DEP_2)
	v_cmpx_ne_u32_e32 0x80, v11
	s_cbranch_execz .LBB359_738
; %bb.733:                              ;   in Loop: Header=BB359_543 Depth=1
	v_and_b32_e32 v84, 0x7f, v11
	v_mov_b32_e32 v83, 0x7fc02000
	s_mov_b32 s13, exec_lo
	s_delay_alu instid0(VALU_DEP_2)
	v_cmpx_ne_u32_e32 0x7f, v84
	s_cbranch_execz .LBB359_737
; %bb.734:                              ;   in Loop: Header=BB359_543 Depth=1
	v_and_b32_e32 v0, 7, v11
	v_lshrrev_b32_e32 v12, 3, v84
	s_mov_b32 s15, exec_lo
	v_cmpx_gt_u32_e32 8, v84
; %bb.735:                              ;   in Loop: Header=BB359_543 Depth=1
	s_delay_alu instid0(VALU_DEP_3) | instskip(NEXT) | instid1(VALU_DEP_1)
	v_clz_i32_u32_e32 v12, v0
	v_min_u32_e32 v12, 32, v12
	s_delay_alu instid0(VALU_DEP_1) | instskip(SKIP_1) | instid1(VALU_DEP_2)
	v_subrev_nc_u32_e32 v83, 28, v12
	v_sub_nc_u32_e32 v12, 29, v12
	v_lshlrev_b64 v[83:84], v83, v[0:1]
	s_delay_alu instid0(VALU_DEP_1)
	v_and_b32_e32 v0, 7, v83
; %bb.736:                              ;   in Loop: Header=BB359_543 Depth=1
	s_or_b32 exec_lo, exec_lo, s15
	v_lshlrev_b32_e32 v11, 8, v11
	v_lshl_add_u32 v12, v12, 10, 0x2000
	s_delay_alu instid0(VALU_DEP_1) | instskip(NEXT) | instid1(VALU_DEP_1)
	v_and_or_b32 v11, 0x8000, v11, v12
	v_lshl_or_b32 v0, v0, 7, v11
	s_delay_alu instid0(VALU_DEP_1)
	v_cvt_f32_f16_e32 v83, v0
.LBB359_737:                            ;   in Loop: Header=BB359_543 Depth=1
	s_or_b32 exec_lo, exec_lo, s13
.LBB359_738:                            ;   in Loop: Header=BB359_543 Depth=1
	s_delay_alu instid0(SALU_CYCLE_1)
	s_or_b32 exec_lo, exec_lo, s12
.LBB359_739:                            ;   in Loop: Header=BB359_543 Depth=1
	s_delay_alu instid0(SALU_CYCLE_1)
	s_or_b32 exec_lo, exec_lo, s10
	s_waitcnt vmcnt(0) lgkmcnt(0)
	v_fma_mixlo_f16 v12, v69, v71, 0
	v_fma_mixlo_f16 v0, v69, v81, 0
	;; [unrolled: 1-line block ×5, first 2 shown]
	v_lshlrev_b32_e32 v71, 16, v12
	v_fma_mixlo_f16 v13, v69, v13, 0
	v_fma_mixlo_f16 v81, v69, v83, 0
	;; [unrolled: 1-line block ×3, first 2 shown]
	v_lshlrev_b32_e32 v0, 16, v0
	v_and_b32_e32 v11, 0xffff, v11
	v_and_b32_e32 v14, 0xffff, v70
	v_lshlrev_b32_e32 v69, 16, v80
	v_and_b32_e32 v70, 0xffff, v13
	v_lshlrev_b32_e32 v80, 16, v81
	v_and_b32_e32 v81, 0xffff, v12
	v_or_b32_e32 v13, v0, v11
	v_or_b32_e32 v14, v71, v14
	v_or_b32_e32 v0, v69, v70
	s_delay_alu instid0(VALU_DEP_4)
	v_or_b32_e32 v11, v80, v81
	s_and_saveexec_b32 s10, vcc_lo
	s_cbranch_execz .LBB359_741
; %bb.740:                              ;   in Loop: Header=BB359_543 Depth=1
	v_cmp_lt_i32_e64 s0, v15, v35
	v_lshrrev_b32_e32 v69, 16, v14
	v_lshrrev_b32_e32 v70, 16, v13
	;; [unrolled: 1-line block ×4, first 2 shown]
	v_cndmask_b32_e64 v14, 0, v14, s0
	v_cmp_lt_i32_e64 s0, v52, v39
	s_delay_alu instid0(VALU_DEP_1) | instskip(SKIP_1) | instid1(VALU_DEP_2)
	v_cndmask_b32_e64 v69, 0, v69, s0
	v_cmp_lt_i32_e64 s0, v51, v39
	v_perm_b32 v14, v69, v14, 0x5040100
	s_delay_alu instid0(VALU_DEP_2) | instskip(SKIP_1) | instid1(VALU_DEP_1)
	v_cndmask_b32_e64 v70, 0, v70, s0
	v_cmp_lt_i32_e64 s0, v50, v35
	v_cndmask_b32_e64 v13, 0, v13, s0
	v_cmp_lt_i32_e64 s0, v49, v39
	s_delay_alu instid0(VALU_DEP_2) | instskip(NEXT) | instid1(VALU_DEP_2)
	v_perm_b32 v13, v70, v13, 0x5040100
	v_cndmask_b32_e64 v71, 0, v71, s0
	v_cmp_lt_i32_e64 s0, v48, v35
	s_delay_alu instid0(VALU_DEP_1) | instskip(SKIP_1) | instid1(VALU_DEP_2)
	v_cndmask_b32_e64 v0, 0, v0, s0
	v_cmp_lt_i32_e64 s0, v38, v39
	v_perm_b32 v0, v71, v0, 0x5040100
	s_delay_alu instid0(VALU_DEP_2) | instskip(SKIP_1) | instid1(VALU_DEP_1)
	v_cndmask_b32_e64 v11, 0, v11, s0
	v_cmp_lt_i32_e64 s0, v17, v35
	v_cndmask_b32_e64 v12, 0, v12, s0
	s_delay_alu instid0(VALU_DEP_1)
	v_perm_b32 v11, v11, v12, 0x5040100
.LBB359_741:                            ;   in Loop: Header=BB359_543 Depth=1
	s_or_b32 exec_lo, exec_lo, s10
	;;#ASMSTART
	v_pk_mul_f16 v12, v64, v14;

	;;#ASMEND
	;;#ASMSTART
	v_pk_mul_f16 v13, v55, v13;

	;;#ASMEND
	;; [unrolled: 4-line block ×4, first 2 shown]
	;;#ASMSTART
	v_pk_add_f16 v12, v12, v13;

	;;#ASMEND
	;;#ASMSTART
	v_pk_add_f16 v0, v12, v0;

	;;#ASMEND
	;; [unrolled: 4-line block ×3, first 2 shown]
	v_dual_mov_b32 v80, 0 :: v_dual_and_b32 v11, 0xffff, v0
	v_lshrrev_b32_e32 v0, 16, v0
	;;#ASMSTART
	v_cvt_f32_f16 v69, v11;
	;;#ASMEND
	;;#ASMSTART
	v_cvt_f32_f16 v70, v0;
	;;#ASMEND
	flat_load_b64 v[11:12], v[9:10] offset:768
	flat_load_b32 v71, v[26:27]
	s_mov_b32 s10, exec_lo
	s_waitcnt vmcnt(1) lgkmcnt(1)
	v_dual_mov_b32 v81, 0 :: v_dual_and_b32 v0, 0xff, v11
	s_delay_alu instid0(VALU_DEP_1)
	v_cmpx_ne_u16_e32 0, v0
	s_cbranch_execz .LBB359_749
; %bb.742:                              ;   in Loop: Header=BB359_543 Depth=1
	v_bfrev_b32_e32 v80, 1
	s_mov_b32 s12, exec_lo
	v_cmpx_ne_u16_e32 0x80, v0
	s_cbranch_execz .LBB359_748
; %bb.743:                              ;   in Loop: Header=BB359_543 Depth=1
	v_and_b32_e32 v13, 0x7f, v11
	v_mov_b32_e32 v80, 0x7fc02000
	s_mov_b32 s13, exec_lo
	s_delay_alu instid0(VALU_DEP_2)
	v_cmpx_ne_u32_e32 0x7f, v13
	s_cbranch_execz .LBB359_747
; %bb.744:                              ;   in Loop: Header=BB359_543 Depth=1
	v_lshrrev_b32_e32 v0, 3, v13
	v_cmp_gt_u32_e64 s0, 8, v13
	v_dual_mov_b32 v14, v12 :: v_dual_mov_b32 v13, v11
	s_delay_alu instid0(VALU_DEP_2)
	s_and_saveexec_b32 s15, s0
; %bb.745:                              ;   in Loop: Header=BB359_543 Depth=1
	v_and_b32_e32 v0, 7, v11
	s_delay_alu instid0(VALU_DEP_1) | instskip(NEXT) | instid1(VALU_DEP_1)
	v_clz_i32_u32_e32 v0, v0
	v_min_u32_e32 v0, 32, v0
	s_delay_alu instid0(VALU_DEP_1) | instskip(SKIP_1) | instid1(VALU_DEP_2)
	v_subrev_nc_u32_e32 v13, 28, v0
	v_sub_nc_u32_e32 v0, 29, v0
	v_lshlrev_b64 v[13:14], v13, v[11:12]
; %bb.746:                              ;   in Loop: Header=BB359_543 Depth=1
	s_or_b32 exec_lo, exec_lo, s15
	v_lshlrev_b32_e32 v14, 8, v11
	s_delay_alu instid0(VALU_DEP_3) | instskip(NEXT) | instid1(VALU_DEP_3)
	v_lshl_add_u32 v0, v0, 10, 0x2000
	v_lshlrev_b32_e32 v13, 7, v13
	s_delay_alu instid0(VALU_DEP_2) | instskip(NEXT) | instid1(VALU_DEP_1)
	v_and_or_b32 v0, 0x8000, v14, v0
	v_and_or_b32 v0, 0x380, v13, v0
	s_delay_alu instid0(VALU_DEP_1)
	v_cvt_f32_f16_e32 v80, v0
.LBB359_747:                            ;   in Loop: Header=BB359_543 Depth=1
	s_or_b32 exec_lo, exec_lo, s13
.LBB359_748:                            ;   in Loop: Header=BB359_543 Depth=1
	s_delay_alu instid0(SALU_CYCLE_1)
	s_or_b32 exec_lo, exec_lo, s12
.LBB359_749:                            ;   in Loop: Header=BB359_543 Depth=1
	s_delay_alu instid0(SALU_CYCLE_1) | instskip(SKIP_2) | instid1(VALU_DEP_1)
	s_or_b32 exec_lo, exec_lo, s10
	v_lshrrev_b16 v0, 8, v11
	s_mov_b32 s10, exec_lo
	v_cmpx_ne_u16_e32 0, v0
	s_cbranch_execz .LBB359_757
; %bb.750:                              ;   in Loop: Header=BB359_543 Depth=1
	v_bfrev_b32_e32 v81, 1
	s_mov_b32 s12, exec_lo
	v_cmpx_ne_u16_e32 0x80, v0
	s_cbranch_execz .LBB359_756
; %bb.751:                              ;   in Loop: Header=BB359_543 Depth=1
	v_and_b32_e32 v13, 0xffff, v0
	v_mov_b32_e32 v81, 0x7fc02000
	s_mov_b32 s13, exec_lo
	s_delay_alu instid0(VALU_DEP_2) | instskip(NEXT) | instid1(VALU_DEP_1)
	v_and_b32_e32 v82, 0x7f, v13
	v_cmpx_ne_u32_e32 0x7f, v82
	s_cbranch_execz .LBB359_755
; %bb.752:                              ;   in Loop: Header=BB359_543 Depth=1
	v_and_b32_e32 v0, 7, v13
	v_lshrrev_b32_e32 v14, 3, v82
	s_mov_b32 s15, exec_lo
	v_cmpx_gt_u32_e32 8, v82
; %bb.753:                              ;   in Loop: Header=BB359_543 Depth=1
	s_delay_alu instid0(VALU_DEP_3) | instskip(NEXT) | instid1(VALU_DEP_1)
	v_clz_i32_u32_e32 v14, v0
	v_min_u32_e32 v14, 32, v14
	s_delay_alu instid0(VALU_DEP_1) | instskip(SKIP_1) | instid1(VALU_DEP_2)
	v_subrev_nc_u32_e32 v81, 28, v14
	v_sub_nc_u32_e32 v14, 29, v14
	v_lshlrev_b64 v[81:82], v81, v[0:1]
	s_delay_alu instid0(VALU_DEP_1)
	v_and_b32_e32 v0, 7, v81
; %bb.754:                              ;   in Loop: Header=BB359_543 Depth=1
	s_or_b32 exec_lo, exec_lo, s15
	v_lshlrev_b32_e32 v13, 8, v13
	v_lshl_add_u32 v14, v14, 10, 0x2000
	s_delay_alu instid0(VALU_DEP_1) | instskip(NEXT) | instid1(VALU_DEP_1)
	v_and_or_b32 v13, 0x8000, v13, v14
	v_lshl_or_b32 v0, v0, 7, v13
	s_delay_alu instid0(VALU_DEP_1)
	v_cvt_f32_f16_e32 v81, v0
.LBB359_755:                            ;   in Loop: Header=BB359_543 Depth=1
	s_or_b32 exec_lo, exec_lo, s13
.LBB359_756:                            ;   in Loop: Header=BB359_543 Depth=1
	s_delay_alu instid0(SALU_CYCLE_1)
	s_or_b32 exec_lo, exec_lo, s12
.LBB359_757:                            ;   in Loop: Header=BB359_543 Depth=1
	s_delay_alu instid0(SALU_CYCLE_1) | instskip(SKIP_3) | instid1(VALU_DEP_2)
	s_or_b32 exec_lo, exec_lo, s10
	v_lshrrev_b32_e32 v13, 16, v11
	v_mov_b32_e32 v82, 0
	s_mov_b32 s10, exec_lo
	v_dual_mov_b32 v83, 0 :: v_dual_and_b32 v0, 0xff, v13
	s_delay_alu instid0(VALU_DEP_1)
	v_cmpx_ne_u16_e32 0, v0
	s_cbranch_execz .LBB359_765
; %bb.758:                              ;   in Loop: Header=BB359_543 Depth=1
	v_bfrev_b32_e32 v82, 1
	s_mov_b32 s12, exec_lo
	v_cmpx_ne_u16_e32 0x80, v0
	s_cbranch_execz .LBB359_764
; %bb.759:                              ;   in Loop: Header=BB359_543 Depth=1
	v_bfe_u32 v84, v11, 16, 7
	v_mov_b32_e32 v82, 0x7fc02000
	s_mov_b32 s13, exec_lo
	s_delay_alu instid0(VALU_DEP_2)
	v_cmpx_ne_u32_e32 0x7f, v84
	s_cbranch_execz .LBB359_763
; %bb.760:                              ;   in Loop: Header=BB359_543 Depth=1
	v_and_b32_e32 v0, 7, v13
	v_lshrrev_b32_e32 v14, 3, v84
	s_mov_b32 s15, exec_lo
	v_cmpx_gt_u32_e32 8, v84
; %bb.761:                              ;   in Loop: Header=BB359_543 Depth=1
	s_delay_alu instid0(VALU_DEP_3) | instskip(NEXT) | instid1(VALU_DEP_1)
	v_clz_i32_u32_e32 v14, v0
	v_min_u32_e32 v14, 32, v14
	s_delay_alu instid0(VALU_DEP_1) | instskip(SKIP_1) | instid1(VALU_DEP_2)
	v_subrev_nc_u32_e32 v82, 28, v14
	v_sub_nc_u32_e32 v14, 29, v14
	v_lshlrev_b64 v[84:85], v82, v[0:1]
	s_delay_alu instid0(VALU_DEP_1)
	v_and_b32_e32 v0, 7, v84
; %bb.762:                              ;   in Loop: Header=BB359_543 Depth=1
	s_or_b32 exec_lo, exec_lo, s15
	v_lshlrev_b32_e32 v13, 8, v13
	v_lshl_add_u32 v14, v14, 10, 0x2000
	s_delay_alu instid0(VALU_DEP_1) | instskip(NEXT) | instid1(VALU_DEP_1)
	v_and_or_b32 v13, 0x8000, v13, v14
	v_lshl_or_b32 v0, v0, 7, v13
	s_delay_alu instid0(VALU_DEP_1)
	v_cvt_f32_f16_e32 v82, v0
.LBB359_763:                            ;   in Loop: Header=BB359_543 Depth=1
	s_or_b32 exec_lo, exec_lo, s13
.LBB359_764:                            ;   in Loop: Header=BB359_543 Depth=1
	s_delay_alu instid0(SALU_CYCLE_1)
	s_or_b32 exec_lo, exec_lo, s12
.LBB359_765:                            ;   in Loop: Header=BB359_543 Depth=1
	s_delay_alu instid0(SALU_CYCLE_1) | instskip(NEXT) | instid1(SALU_CYCLE_1)
	s_or_b32 exec_lo, exec_lo, s10
	s_mov_b32 s10, exec_lo
	v_cmpx_lt_u32_e32 0xffffff, v11
	s_cbranch_execz .LBB359_773
; %bb.766:                              ;   in Loop: Header=BB359_543 Depth=1
	v_lshrrev_b32_e32 v13, 24, v11
	v_bfrev_b32_e32 v83, 1
	s_mov_b32 s12, exec_lo
	s_delay_alu instid0(VALU_DEP_2)
	v_cmpx_ne_u32_e32 0x80, v13
	s_cbranch_execz .LBB359_772
; %bb.767:                              ;   in Loop: Header=BB359_543 Depth=1
	v_and_b32_e32 v84, 0x7f, v13
	v_mov_b32_e32 v83, 0x7fc02000
	s_mov_b32 s13, exec_lo
	s_delay_alu instid0(VALU_DEP_2)
	v_cmpx_ne_u32_e32 0x7f, v84
	s_cbranch_execz .LBB359_771
; %bb.768:                              ;   in Loop: Header=BB359_543 Depth=1
	v_and_b32_e32 v0, 7, v13
	v_lshrrev_b32_e32 v14, 3, v84
	s_mov_b32 s15, exec_lo
	v_cmpx_gt_u32_e32 8, v84
; %bb.769:                              ;   in Loop: Header=BB359_543 Depth=1
	s_delay_alu instid0(VALU_DEP_3) | instskip(NEXT) | instid1(VALU_DEP_1)
	v_clz_i32_u32_e32 v14, v0
	v_min_u32_e32 v14, 32, v14
	s_delay_alu instid0(VALU_DEP_1) | instskip(SKIP_1) | instid1(VALU_DEP_2)
	v_subrev_nc_u32_e32 v83, 28, v14
	v_sub_nc_u32_e32 v14, 29, v14
	v_lshlrev_b64 v[83:84], v83, v[0:1]
	s_delay_alu instid0(VALU_DEP_1)
	v_and_b32_e32 v0, 7, v83
; %bb.770:                              ;   in Loop: Header=BB359_543 Depth=1
	s_or_b32 exec_lo, exec_lo, s15
	v_lshlrev_b32_e32 v13, 8, v13
	v_lshl_add_u32 v14, v14, 10, 0x2000
	s_delay_alu instid0(VALU_DEP_1) | instskip(NEXT) | instid1(VALU_DEP_1)
	v_and_or_b32 v13, 0x8000, v13, v14
	v_lshl_or_b32 v0, v0, 7, v13
	s_delay_alu instid0(VALU_DEP_1)
	v_cvt_f32_f16_e32 v83, v0
.LBB359_771:                            ;   in Loop: Header=BB359_543 Depth=1
	s_or_b32 exec_lo, exec_lo, s13
.LBB359_772:                            ;   in Loop: Header=BB359_543 Depth=1
	s_delay_alu instid0(SALU_CYCLE_1)
	s_or_b32 exec_lo, exec_lo, s12
.LBB359_773:                            ;   in Loop: Header=BB359_543 Depth=1
	s_delay_alu instid0(SALU_CYCLE_1) | instskip(SKIP_4) | instid1(VALU_DEP_3)
	s_or_b32 exec_lo, exec_lo, s10
	v_dual_mov_b32 v13, 0 :: v_dual_and_b32 v14, 0xff, v12
	v_mov_b32_e32 v0, v12
	v_mov_b32_e32 v84, 0
	s_mov_b32 s10, exec_lo
	v_cmpx_ne_u16_e32 0, v14
	s_cbranch_execz .LBB359_781
; %bb.774:                              ;   in Loop: Header=BB359_543 Depth=1
	v_bfrev_b32_e32 v13, 1
	s_mov_b32 s12, exec_lo
	v_cmpx_ne_u16_e32 0x80, v14
	s_cbranch_execz .LBB359_780
; %bb.775:                              ;   in Loop: Header=BB359_543 Depth=1
	v_and_b32_e32 v14, 0x7f, v12
	v_mov_b32_e32 v13, 0x7fc02000
	s_mov_b32 s13, exec_lo
	s_delay_alu instid0(VALU_DEP_2)
	v_cmpx_ne_u32_e32 0x7f, v14
	s_cbranch_execz .LBB359_779
; %bb.776:                              ;   in Loop: Header=BB359_543 Depth=1
	v_lshrrev_b32_e32 v85, 3, v14
	v_cmp_gt_u32_e64 s0, 8, v14
	v_dual_mov_b32 v14, v1 :: v_dual_mov_b32 v13, v0
	s_delay_alu instid0(VALU_DEP_2)
	s_and_saveexec_b32 s15, s0
; %bb.777:                              ;   in Loop: Header=BB359_543 Depth=1
	v_and_b32_e32 v13, 7, v12
	s_delay_alu instid0(VALU_DEP_1) | instskip(NEXT) | instid1(VALU_DEP_1)
	v_clz_i32_u32_e32 v13, v13
	v_min_u32_e32 v85, 32, v13
	s_delay_alu instid0(VALU_DEP_1) | instskip(SKIP_1) | instid1(VALU_DEP_2)
	v_subrev_nc_u32_e32 v13, 28, v85
	v_sub_nc_u32_e32 v85, 29, v85
	v_lshlrev_b64 v[13:14], v13, v[0:1]
; %bb.778:                              ;   in Loop: Header=BB359_543 Depth=1
	s_or_b32 exec_lo, exec_lo, s15
	v_lshlrev_b32_e32 v14, 8, v12
	s_delay_alu instid0(VALU_DEP_3) | instskip(NEXT) | instid1(VALU_DEP_3)
	v_lshl_add_u32 v85, v85, 10, 0x2000
	v_lshlrev_b32_e32 v13, 7, v13
	s_delay_alu instid0(VALU_DEP_2) | instskip(NEXT) | instid1(VALU_DEP_1)
	v_and_or_b32 v14, 0x8000, v14, v85
	v_and_or_b32 v13, 0x380, v13, v14
	s_delay_alu instid0(VALU_DEP_1)
	v_cvt_f32_f16_e32 v13, v13
.LBB359_779:                            ;   in Loop: Header=BB359_543 Depth=1
	s_or_b32 exec_lo, exec_lo, s13
.LBB359_780:                            ;   in Loop: Header=BB359_543 Depth=1
	s_delay_alu instid0(SALU_CYCLE_1)
	s_or_b32 exec_lo, exec_lo, s12
.LBB359_781:                            ;   in Loop: Header=BB359_543 Depth=1
	s_delay_alu instid0(SALU_CYCLE_1) | instskip(SKIP_2) | instid1(VALU_DEP_1)
	s_or_b32 exec_lo, exec_lo, s10
	v_lshrrev_b16 v0, 8, v0
	s_mov_b32 s10, exec_lo
	v_cmpx_ne_u16_e32 0, v0
	s_cbranch_execz .LBB359_789
; %bb.782:                              ;   in Loop: Header=BB359_543 Depth=1
	v_bfrev_b32_e32 v84, 1
	s_mov_b32 s12, exec_lo
	v_cmpx_ne_u16_e32 0x80, v0
	s_cbranch_execz .LBB359_788
; %bb.783:                              ;   in Loop: Header=BB359_543 Depth=1
	v_and_b32_e32 v14, 0xffff, v0
	v_mov_b32_e32 v84, 0x7fc02000
	s_mov_b32 s13, exec_lo
	s_delay_alu instid0(VALU_DEP_2) | instskip(NEXT) | instid1(VALU_DEP_1)
	v_and_b32_e32 v85, 0x7f, v14
	v_cmpx_ne_u32_e32 0x7f, v85
	s_cbranch_execz .LBB359_787
; %bb.784:                              ;   in Loop: Header=BB359_543 Depth=1
	v_and_b32_e32 v0, 7, v14
	v_lshrrev_b32_e32 v84, 3, v85
	s_mov_b32 s15, exec_lo
	v_cmpx_gt_u32_e32 8, v85
; %bb.785:                              ;   in Loop: Header=BB359_543 Depth=1
	s_delay_alu instid0(VALU_DEP_3) | instskip(NEXT) | instid1(VALU_DEP_1)
	v_clz_i32_u32_e32 v84, v0
	v_min_u32_e32 v84, 32, v84
	s_delay_alu instid0(VALU_DEP_1) | instskip(SKIP_1) | instid1(VALU_DEP_2)
	v_subrev_nc_u32_e32 v85, 28, v84
	v_sub_nc_u32_e32 v84, 29, v84
	v_lshlrev_b64 v[85:86], v85, v[0:1]
	s_delay_alu instid0(VALU_DEP_1)
	v_and_b32_e32 v0, 7, v85
; %bb.786:                              ;   in Loop: Header=BB359_543 Depth=1
	s_or_b32 exec_lo, exec_lo, s15
	v_lshlrev_b32_e32 v14, 8, v14
	v_lshl_add_u32 v84, v84, 10, 0x2000
	s_delay_alu instid0(VALU_DEP_1) | instskip(NEXT) | instid1(VALU_DEP_1)
	v_and_or_b32 v14, 0x8000, v14, v84
	v_lshl_or_b32 v0, v0, 7, v14
	s_delay_alu instid0(VALU_DEP_1)
	v_cvt_f32_f16_e32 v84, v0
.LBB359_787:                            ;   in Loop: Header=BB359_543 Depth=1
	s_or_b32 exec_lo, exec_lo, s13
.LBB359_788:                            ;   in Loop: Header=BB359_543 Depth=1
	s_delay_alu instid0(SALU_CYCLE_1)
	s_or_b32 exec_lo, exec_lo, s12
.LBB359_789:                            ;   in Loop: Header=BB359_543 Depth=1
	s_delay_alu instid0(SALU_CYCLE_1) | instskip(SKIP_3) | instid1(VALU_DEP_2)
	s_or_b32 exec_lo, exec_lo, s10
	v_lshrrev_b32_e32 v86, 16, v12
	v_mov_b32_e32 v14, 0
	s_mov_b32 s10, exec_lo
	v_dual_mov_b32 v85, 0 :: v_dual_and_b32 v0, 0xff, v86
	s_delay_alu instid0(VALU_DEP_1)
	v_cmpx_ne_u16_e32 0, v0
	s_cbranch_execz .LBB359_797
; %bb.790:                              ;   in Loop: Header=BB359_543 Depth=1
	v_bfrev_b32_e32 v14, 1
	s_mov_b32 s12, exec_lo
	v_cmpx_ne_u16_e32 0x80, v0
	s_cbranch_execz .LBB359_796
; %bb.791:                              ;   in Loop: Header=BB359_543 Depth=1
	v_bfe_u32 v87, v12, 16, 7
	v_mov_b32_e32 v14, 0x7fc02000
	s_mov_b32 s13, exec_lo
	s_delay_alu instid0(VALU_DEP_2)
	v_cmpx_ne_u32_e32 0x7f, v87
	s_cbranch_execz .LBB359_795
; %bb.792:                              ;   in Loop: Header=BB359_543 Depth=1
	v_and_b32_e32 v0, 7, v86
	v_lshrrev_b32_e32 v14, 3, v87
	s_mov_b32 s15, exec_lo
	v_cmpx_gt_u32_e32 8, v87
; %bb.793:                              ;   in Loop: Header=BB359_543 Depth=1
	s_delay_alu instid0(VALU_DEP_3) | instskip(NEXT) | instid1(VALU_DEP_1)
	v_clz_i32_u32_e32 v14, v0
	v_min_u32_e32 v14, 32, v14
	s_delay_alu instid0(VALU_DEP_1) | instskip(SKIP_1) | instid1(VALU_DEP_2)
	v_subrev_nc_u32_e32 v87, 28, v14
	v_sub_nc_u32_e32 v14, 29, v14
	v_lshlrev_b64 v[96:97], v87, v[0:1]
	s_delay_alu instid0(VALU_DEP_1)
	v_and_b32_e32 v0, 7, v96
; %bb.794:                              ;   in Loop: Header=BB359_543 Depth=1
	s_or_b32 exec_lo, exec_lo, s15
	v_lshlrev_b32_e32 v86, 8, v86
	v_lshl_add_u32 v14, v14, 10, 0x2000
	s_delay_alu instid0(VALU_DEP_1) | instskip(NEXT) | instid1(VALU_DEP_1)
	v_and_or_b32 v14, 0x8000, v86, v14
	v_lshl_or_b32 v0, v0, 7, v14
	s_delay_alu instid0(VALU_DEP_1)
	v_cvt_f32_f16_e32 v14, v0
.LBB359_795:                            ;   in Loop: Header=BB359_543 Depth=1
	s_or_b32 exec_lo, exec_lo, s13
.LBB359_796:                            ;   in Loop: Header=BB359_543 Depth=1
	s_delay_alu instid0(SALU_CYCLE_1)
	s_or_b32 exec_lo, exec_lo, s12
.LBB359_797:                            ;   in Loop: Header=BB359_543 Depth=1
	s_delay_alu instid0(SALU_CYCLE_1) | instskip(NEXT) | instid1(SALU_CYCLE_1)
	s_or_b32 exec_lo, exec_lo, s10
	s_mov_b32 s10, exec_lo
	v_cmpx_lt_u64_e64 s[8:9], v[11:12]
	s_cbranch_execz .LBB359_805
; %bb.798:                              ;   in Loop: Header=BB359_543 Depth=1
	v_lshrrev_b32_e32 v11, 24, v12
	v_bfrev_b32_e32 v85, 1
	s_mov_b32 s12, exec_lo
	s_delay_alu instid0(VALU_DEP_2)
	v_cmpx_ne_u32_e32 0x80, v11
	s_cbranch_execz .LBB359_804
; %bb.799:                              ;   in Loop: Header=BB359_543 Depth=1
	v_and_b32_e32 v86, 0x7f, v11
	v_mov_b32_e32 v85, 0x7fc02000
	s_mov_b32 s13, exec_lo
	s_delay_alu instid0(VALU_DEP_2)
	v_cmpx_ne_u32_e32 0x7f, v86
	s_cbranch_execz .LBB359_803
; %bb.800:                              ;   in Loop: Header=BB359_543 Depth=1
	v_and_b32_e32 v0, 7, v11
	v_lshrrev_b32_e32 v12, 3, v86
	s_mov_b32 s15, exec_lo
	v_cmpx_gt_u32_e32 8, v86
; %bb.801:                              ;   in Loop: Header=BB359_543 Depth=1
	s_delay_alu instid0(VALU_DEP_3) | instskip(NEXT) | instid1(VALU_DEP_1)
	v_clz_i32_u32_e32 v12, v0
	v_min_u32_e32 v12, 32, v12
	s_delay_alu instid0(VALU_DEP_1) | instskip(SKIP_1) | instid1(VALU_DEP_2)
	v_subrev_nc_u32_e32 v85, 28, v12
	v_sub_nc_u32_e32 v12, 29, v12
	v_lshlrev_b64 v[85:86], v85, v[0:1]
	s_delay_alu instid0(VALU_DEP_1)
	v_and_b32_e32 v0, 7, v85
; %bb.802:                              ;   in Loop: Header=BB359_543 Depth=1
	s_or_b32 exec_lo, exec_lo, s15
	v_lshlrev_b32_e32 v11, 8, v11
	v_lshl_add_u32 v12, v12, 10, 0x2000
	s_delay_alu instid0(VALU_DEP_1) | instskip(NEXT) | instid1(VALU_DEP_1)
	v_and_or_b32 v11, 0x8000, v11, v12
	v_lshl_or_b32 v0, v0, 7, v11
	s_delay_alu instid0(VALU_DEP_1)
	v_cvt_f32_f16_e32 v85, v0
.LBB359_803:                            ;   in Loop: Header=BB359_543 Depth=1
	s_or_b32 exec_lo, exec_lo, s13
.LBB359_804:                            ;   in Loop: Header=BB359_543 Depth=1
	s_delay_alu instid0(SALU_CYCLE_1)
	s_or_b32 exec_lo, exec_lo, s12
.LBB359_805:                            ;   in Loop: Header=BB359_543 Depth=1
	s_delay_alu instid0(SALU_CYCLE_1)
	s_or_b32 exec_lo, exec_lo, s10
	s_waitcnt vmcnt(0) lgkmcnt(0)
	v_fma_mixlo_f16 v12, v71, v81, 0
	v_fma_mixlo_f16 v0, v71, v83, 0
	;; [unrolled: 1-line block ×5, first 2 shown]
	v_lshlrev_b32_e32 v81, 16, v12
	v_fma_mixlo_f16 v13, v71, v13, 0
	v_fma_mixlo_f16 v83, v71, v85, 0
	;; [unrolled: 1-line block ×3, first 2 shown]
	v_lshlrev_b32_e32 v0, 16, v0
	v_and_b32_e32 v11, 0xffff, v11
	v_and_b32_e32 v14, 0xffff, v80
	v_lshlrev_b32_e32 v71, 16, v82
	v_and_b32_e32 v80, 0xffff, v13
	v_lshlrev_b32_e32 v82, 16, v83
	v_and_b32_e32 v83, 0xffff, v12
	v_or_b32_e32 v13, v0, v11
	v_or_b32_e32 v14, v81, v14
	;; [unrolled: 1-line block ×3, first 2 shown]
	s_delay_alu instid0(VALU_DEP_4)
	v_or_b32_e32 v11, v82, v83
	s_and_saveexec_b32 s10, vcc_lo
	s_cbranch_execz .LBB359_807
; %bb.806:                              ;   in Loop: Header=BB359_543 Depth=1
	v_cmp_lt_i32_e64 s0, v15, v35
	v_lshrrev_b32_e32 v71, 16, v14
	v_lshrrev_b32_e32 v80, 16, v13
	;; [unrolled: 1-line block ×4, first 2 shown]
	v_cndmask_b32_e64 v14, 0, v14, s0
	v_cmp_lt_i32_e64 s0, v52, v39
	s_delay_alu instid0(VALU_DEP_1) | instskip(SKIP_1) | instid1(VALU_DEP_2)
	v_cndmask_b32_e64 v71, 0, v71, s0
	v_cmp_lt_i32_e64 s0, v51, v39
	v_perm_b32 v14, v71, v14, 0x5040100
	s_delay_alu instid0(VALU_DEP_2) | instskip(SKIP_1) | instid1(VALU_DEP_1)
	v_cndmask_b32_e64 v80, 0, v80, s0
	v_cmp_lt_i32_e64 s0, v50, v35
	v_cndmask_b32_e64 v13, 0, v13, s0
	v_cmp_lt_i32_e64 s0, v49, v39
	s_delay_alu instid0(VALU_DEP_2) | instskip(NEXT) | instid1(VALU_DEP_2)
	v_perm_b32 v13, v80, v13, 0x5040100
	v_cndmask_b32_e64 v81, 0, v81, s0
	v_cmp_lt_i32_e64 s0, v48, v35
	s_delay_alu instid0(VALU_DEP_1) | instskip(SKIP_1) | instid1(VALU_DEP_2)
	v_cndmask_b32_e64 v0, 0, v0, s0
	v_cmp_lt_i32_e64 s0, v38, v39
	v_perm_b32 v0, v81, v0, 0x5040100
	s_delay_alu instid0(VALU_DEP_2) | instskip(SKIP_1) | instid1(VALU_DEP_1)
	v_cndmask_b32_e64 v11, 0, v11, s0
	v_cmp_lt_i32_e64 s0, v17, v35
	v_cndmask_b32_e64 v12, 0, v12, s0
	s_delay_alu instid0(VALU_DEP_1)
	v_perm_b32 v11, v11, v12, 0x5040100
.LBB359_807:                            ;   in Loop: Header=BB359_543 Depth=1
	s_or_b32 exec_lo, exec_lo, s10
	;;#ASMSTART
	v_pk_mul_f16 v12, v64, v14;

	;;#ASMEND
	;;#ASMSTART
	v_pk_mul_f16 v13, v55, v13;

	;;#ASMEND
	;; [unrolled: 4-line block ×4, first 2 shown]
	;;#ASMSTART
	v_pk_add_f16 v12, v12, v13;

	;;#ASMEND
	;;#ASMSTART
	v_pk_add_f16 v0, v12, v0;

	;;#ASMEND
	;; [unrolled: 4-line block ×3, first 2 shown]
	v_dual_mov_b32 v82, 0 :: v_dual_and_b32 v11, 0xffff, v0
	v_lshrrev_b32_e32 v0, 16, v0
	;;#ASMSTART
	v_cvt_f32_f16 v71, v11;
	;;#ASMEND
	;;#ASMSTART
	v_cvt_f32_f16 v80, v0;
	;;#ASMEND
	flat_load_b64 v[11:12], v[9:10] offset:1024
	flat_load_b32 v81, v[26:27]
	s_mov_b32 s10, exec_lo
	s_waitcnt vmcnt(1) lgkmcnt(1)
	v_dual_mov_b32 v83, 0 :: v_dual_and_b32 v0, 0xff, v11
	s_delay_alu instid0(VALU_DEP_1)
	v_cmpx_ne_u16_e32 0, v0
	s_cbranch_execz .LBB359_815
; %bb.808:                              ;   in Loop: Header=BB359_543 Depth=1
	v_bfrev_b32_e32 v82, 1
	s_mov_b32 s12, exec_lo
	v_cmpx_ne_u16_e32 0x80, v0
	s_cbranch_execz .LBB359_814
; %bb.809:                              ;   in Loop: Header=BB359_543 Depth=1
	v_and_b32_e32 v13, 0x7f, v11
	v_mov_b32_e32 v82, 0x7fc02000
	s_mov_b32 s13, exec_lo
	s_delay_alu instid0(VALU_DEP_2)
	v_cmpx_ne_u32_e32 0x7f, v13
	s_cbranch_execz .LBB359_813
; %bb.810:                              ;   in Loop: Header=BB359_543 Depth=1
	v_lshrrev_b32_e32 v0, 3, v13
	v_cmp_gt_u32_e64 s0, 8, v13
	v_dual_mov_b32 v14, v12 :: v_dual_mov_b32 v13, v11
	s_delay_alu instid0(VALU_DEP_2)
	s_and_saveexec_b32 s15, s0
; %bb.811:                              ;   in Loop: Header=BB359_543 Depth=1
	v_and_b32_e32 v0, 7, v11
	s_delay_alu instid0(VALU_DEP_1) | instskip(NEXT) | instid1(VALU_DEP_1)
	v_clz_i32_u32_e32 v0, v0
	v_min_u32_e32 v0, 32, v0
	s_delay_alu instid0(VALU_DEP_1) | instskip(SKIP_1) | instid1(VALU_DEP_2)
	v_subrev_nc_u32_e32 v13, 28, v0
	v_sub_nc_u32_e32 v0, 29, v0
	v_lshlrev_b64 v[13:14], v13, v[11:12]
; %bb.812:                              ;   in Loop: Header=BB359_543 Depth=1
	s_or_b32 exec_lo, exec_lo, s15
	v_lshlrev_b32_e32 v14, 8, v11
	s_delay_alu instid0(VALU_DEP_3) | instskip(NEXT) | instid1(VALU_DEP_3)
	v_lshl_add_u32 v0, v0, 10, 0x2000
	v_lshlrev_b32_e32 v13, 7, v13
	s_delay_alu instid0(VALU_DEP_2) | instskip(NEXT) | instid1(VALU_DEP_1)
	v_and_or_b32 v0, 0x8000, v14, v0
	v_and_or_b32 v0, 0x380, v13, v0
	s_delay_alu instid0(VALU_DEP_1)
	v_cvt_f32_f16_e32 v82, v0
.LBB359_813:                            ;   in Loop: Header=BB359_543 Depth=1
	s_or_b32 exec_lo, exec_lo, s13
.LBB359_814:                            ;   in Loop: Header=BB359_543 Depth=1
	s_delay_alu instid0(SALU_CYCLE_1)
	s_or_b32 exec_lo, exec_lo, s12
.LBB359_815:                            ;   in Loop: Header=BB359_543 Depth=1
	s_delay_alu instid0(SALU_CYCLE_1) | instskip(SKIP_2) | instid1(VALU_DEP_1)
	s_or_b32 exec_lo, exec_lo, s10
	v_lshrrev_b16 v0, 8, v11
	s_mov_b32 s10, exec_lo
	v_cmpx_ne_u16_e32 0, v0
	s_cbranch_execz .LBB359_823
; %bb.816:                              ;   in Loop: Header=BB359_543 Depth=1
	v_bfrev_b32_e32 v83, 1
	s_mov_b32 s12, exec_lo
	v_cmpx_ne_u16_e32 0x80, v0
	s_cbranch_execz .LBB359_822
; %bb.817:                              ;   in Loop: Header=BB359_543 Depth=1
	v_and_b32_e32 v13, 0xffff, v0
	v_mov_b32_e32 v83, 0x7fc02000
	s_mov_b32 s13, exec_lo
	s_delay_alu instid0(VALU_DEP_2) | instskip(NEXT) | instid1(VALU_DEP_1)
	v_and_b32_e32 v84, 0x7f, v13
	v_cmpx_ne_u32_e32 0x7f, v84
	s_cbranch_execz .LBB359_821
; %bb.818:                              ;   in Loop: Header=BB359_543 Depth=1
	v_and_b32_e32 v0, 7, v13
	v_lshrrev_b32_e32 v14, 3, v84
	s_mov_b32 s15, exec_lo
	v_cmpx_gt_u32_e32 8, v84
; %bb.819:                              ;   in Loop: Header=BB359_543 Depth=1
	s_delay_alu instid0(VALU_DEP_3) | instskip(NEXT) | instid1(VALU_DEP_1)
	v_clz_i32_u32_e32 v14, v0
	v_min_u32_e32 v14, 32, v14
	s_delay_alu instid0(VALU_DEP_1) | instskip(SKIP_1) | instid1(VALU_DEP_2)
	v_subrev_nc_u32_e32 v83, 28, v14
	v_sub_nc_u32_e32 v14, 29, v14
	v_lshlrev_b64 v[83:84], v83, v[0:1]
	s_delay_alu instid0(VALU_DEP_1)
	v_and_b32_e32 v0, 7, v83
; %bb.820:                              ;   in Loop: Header=BB359_543 Depth=1
	s_or_b32 exec_lo, exec_lo, s15
	v_lshlrev_b32_e32 v13, 8, v13
	v_lshl_add_u32 v14, v14, 10, 0x2000
	s_delay_alu instid0(VALU_DEP_1) | instskip(NEXT) | instid1(VALU_DEP_1)
	v_and_or_b32 v13, 0x8000, v13, v14
	v_lshl_or_b32 v0, v0, 7, v13
	s_delay_alu instid0(VALU_DEP_1)
	v_cvt_f32_f16_e32 v83, v0
.LBB359_821:                            ;   in Loop: Header=BB359_543 Depth=1
	s_or_b32 exec_lo, exec_lo, s13
.LBB359_822:                            ;   in Loop: Header=BB359_543 Depth=1
	s_delay_alu instid0(SALU_CYCLE_1)
	s_or_b32 exec_lo, exec_lo, s12
.LBB359_823:                            ;   in Loop: Header=BB359_543 Depth=1
	s_delay_alu instid0(SALU_CYCLE_1) | instskip(SKIP_3) | instid1(VALU_DEP_2)
	s_or_b32 exec_lo, exec_lo, s10
	v_lshrrev_b32_e32 v13, 16, v11
	v_mov_b32_e32 v84, 0
	s_mov_b32 s10, exec_lo
	v_dual_mov_b32 v85, 0 :: v_dual_and_b32 v0, 0xff, v13
	s_delay_alu instid0(VALU_DEP_1)
	v_cmpx_ne_u16_e32 0, v0
	s_cbranch_execz .LBB359_831
; %bb.824:                              ;   in Loop: Header=BB359_543 Depth=1
	v_bfrev_b32_e32 v84, 1
	s_mov_b32 s12, exec_lo
	v_cmpx_ne_u16_e32 0x80, v0
	s_cbranch_execz .LBB359_830
; %bb.825:                              ;   in Loop: Header=BB359_543 Depth=1
	v_bfe_u32 v86, v11, 16, 7
	v_mov_b32_e32 v84, 0x7fc02000
	s_mov_b32 s13, exec_lo
	s_delay_alu instid0(VALU_DEP_2)
	v_cmpx_ne_u32_e32 0x7f, v86
	s_cbranch_execz .LBB359_829
; %bb.826:                              ;   in Loop: Header=BB359_543 Depth=1
	v_and_b32_e32 v0, 7, v13
	v_lshrrev_b32_e32 v14, 3, v86
	s_mov_b32 s15, exec_lo
	v_cmpx_gt_u32_e32 8, v86
; %bb.827:                              ;   in Loop: Header=BB359_543 Depth=1
	s_delay_alu instid0(VALU_DEP_3) | instskip(NEXT) | instid1(VALU_DEP_1)
	v_clz_i32_u32_e32 v14, v0
	v_min_u32_e32 v14, 32, v14
	s_delay_alu instid0(VALU_DEP_1) | instskip(SKIP_1) | instid1(VALU_DEP_2)
	v_subrev_nc_u32_e32 v84, 28, v14
	v_sub_nc_u32_e32 v14, 29, v14
	v_lshlrev_b64 v[86:87], v84, v[0:1]
	s_delay_alu instid0(VALU_DEP_1)
	v_and_b32_e32 v0, 7, v86
; %bb.828:                              ;   in Loop: Header=BB359_543 Depth=1
	s_or_b32 exec_lo, exec_lo, s15
	v_lshlrev_b32_e32 v13, 8, v13
	v_lshl_add_u32 v14, v14, 10, 0x2000
	s_delay_alu instid0(VALU_DEP_1) | instskip(NEXT) | instid1(VALU_DEP_1)
	v_and_or_b32 v13, 0x8000, v13, v14
	v_lshl_or_b32 v0, v0, 7, v13
	s_delay_alu instid0(VALU_DEP_1)
	v_cvt_f32_f16_e32 v84, v0
.LBB359_829:                            ;   in Loop: Header=BB359_543 Depth=1
	s_or_b32 exec_lo, exec_lo, s13
.LBB359_830:                            ;   in Loop: Header=BB359_543 Depth=1
	s_delay_alu instid0(SALU_CYCLE_1)
	s_or_b32 exec_lo, exec_lo, s12
.LBB359_831:                            ;   in Loop: Header=BB359_543 Depth=1
	s_delay_alu instid0(SALU_CYCLE_1) | instskip(NEXT) | instid1(SALU_CYCLE_1)
	s_or_b32 exec_lo, exec_lo, s10
	s_mov_b32 s10, exec_lo
	v_cmpx_lt_u32_e32 0xffffff, v11
	s_cbranch_execz .LBB359_839
; %bb.832:                              ;   in Loop: Header=BB359_543 Depth=1
	v_lshrrev_b32_e32 v13, 24, v11
	v_bfrev_b32_e32 v85, 1
	s_mov_b32 s12, exec_lo
	s_delay_alu instid0(VALU_DEP_2)
	v_cmpx_ne_u32_e32 0x80, v13
	s_cbranch_execz .LBB359_838
; %bb.833:                              ;   in Loop: Header=BB359_543 Depth=1
	v_and_b32_e32 v86, 0x7f, v13
	v_mov_b32_e32 v85, 0x7fc02000
	s_mov_b32 s13, exec_lo
	s_delay_alu instid0(VALU_DEP_2)
	v_cmpx_ne_u32_e32 0x7f, v86
	s_cbranch_execz .LBB359_837
; %bb.834:                              ;   in Loop: Header=BB359_543 Depth=1
	v_and_b32_e32 v0, 7, v13
	v_lshrrev_b32_e32 v14, 3, v86
	s_mov_b32 s15, exec_lo
	v_cmpx_gt_u32_e32 8, v86
; %bb.835:                              ;   in Loop: Header=BB359_543 Depth=1
	s_delay_alu instid0(VALU_DEP_3) | instskip(NEXT) | instid1(VALU_DEP_1)
	v_clz_i32_u32_e32 v14, v0
	v_min_u32_e32 v14, 32, v14
	s_delay_alu instid0(VALU_DEP_1) | instskip(SKIP_1) | instid1(VALU_DEP_2)
	v_subrev_nc_u32_e32 v85, 28, v14
	v_sub_nc_u32_e32 v14, 29, v14
	v_lshlrev_b64 v[85:86], v85, v[0:1]
	s_delay_alu instid0(VALU_DEP_1)
	v_and_b32_e32 v0, 7, v85
; %bb.836:                              ;   in Loop: Header=BB359_543 Depth=1
	s_or_b32 exec_lo, exec_lo, s15
	v_lshlrev_b32_e32 v13, 8, v13
	v_lshl_add_u32 v14, v14, 10, 0x2000
	s_delay_alu instid0(VALU_DEP_1) | instskip(NEXT) | instid1(VALU_DEP_1)
	v_and_or_b32 v13, 0x8000, v13, v14
	v_lshl_or_b32 v0, v0, 7, v13
	s_delay_alu instid0(VALU_DEP_1)
	v_cvt_f32_f16_e32 v85, v0
.LBB359_837:                            ;   in Loop: Header=BB359_543 Depth=1
	s_or_b32 exec_lo, exec_lo, s13
.LBB359_838:                            ;   in Loop: Header=BB359_543 Depth=1
	s_delay_alu instid0(SALU_CYCLE_1)
	s_or_b32 exec_lo, exec_lo, s12
.LBB359_839:                            ;   in Loop: Header=BB359_543 Depth=1
	s_delay_alu instid0(SALU_CYCLE_1) | instskip(SKIP_4) | instid1(VALU_DEP_3)
	s_or_b32 exec_lo, exec_lo, s10
	v_dual_mov_b32 v13, 0 :: v_dual_and_b32 v14, 0xff, v12
	v_mov_b32_e32 v0, v12
	v_mov_b32_e32 v86, 0
	s_mov_b32 s10, exec_lo
	v_cmpx_ne_u16_e32 0, v14
	s_cbranch_execz .LBB359_847
; %bb.840:                              ;   in Loop: Header=BB359_543 Depth=1
	v_bfrev_b32_e32 v13, 1
	s_mov_b32 s12, exec_lo
	v_cmpx_ne_u16_e32 0x80, v14
	s_cbranch_execz .LBB359_846
; %bb.841:                              ;   in Loop: Header=BB359_543 Depth=1
	v_and_b32_e32 v14, 0x7f, v12
	v_mov_b32_e32 v13, 0x7fc02000
	s_mov_b32 s13, exec_lo
	s_delay_alu instid0(VALU_DEP_2)
	v_cmpx_ne_u32_e32 0x7f, v14
	s_cbranch_execz .LBB359_845
; %bb.842:                              ;   in Loop: Header=BB359_543 Depth=1
	v_lshrrev_b32_e32 v87, 3, v14
	v_cmp_gt_u32_e64 s0, 8, v14
	v_dual_mov_b32 v14, v1 :: v_dual_mov_b32 v13, v0
	s_delay_alu instid0(VALU_DEP_2)
	s_and_saveexec_b32 s15, s0
; %bb.843:                              ;   in Loop: Header=BB359_543 Depth=1
	v_and_b32_e32 v13, 7, v12
	s_delay_alu instid0(VALU_DEP_1) | instskip(NEXT) | instid1(VALU_DEP_1)
	v_clz_i32_u32_e32 v13, v13
	v_min_u32_e32 v87, 32, v13
	s_delay_alu instid0(VALU_DEP_1) | instskip(SKIP_1) | instid1(VALU_DEP_2)
	v_subrev_nc_u32_e32 v13, 28, v87
	v_sub_nc_u32_e32 v87, 29, v87
	v_lshlrev_b64 v[13:14], v13, v[0:1]
; %bb.844:                              ;   in Loop: Header=BB359_543 Depth=1
	s_or_b32 exec_lo, exec_lo, s15
	v_lshlrev_b32_e32 v14, 8, v12
	s_delay_alu instid0(VALU_DEP_3) | instskip(NEXT) | instid1(VALU_DEP_3)
	v_lshl_add_u32 v87, v87, 10, 0x2000
	v_lshlrev_b32_e32 v13, 7, v13
	s_delay_alu instid0(VALU_DEP_2) | instskip(NEXT) | instid1(VALU_DEP_1)
	v_and_or_b32 v14, 0x8000, v14, v87
	v_and_or_b32 v13, 0x380, v13, v14
	s_delay_alu instid0(VALU_DEP_1)
	v_cvt_f32_f16_e32 v13, v13
.LBB359_845:                            ;   in Loop: Header=BB359_543 Depth=1
	s_or_b32 exec_lo, exec_lo, s13
.LBB359_846:                            ;   in Loop: Header=BB359_543 Depth=1
	s_delay_alu instid0(SALU_CYCLE_1)
	s_or_b32 exec_lo, exec_lo, s12
.LBB359_847:                            ;   in Loop: Header=BB359_543 Depth=1
	s_delay_alu instid0(SALU_CYCLE_1) | instskip(SKIP_2) | instid1(VALU_DEP_1)
	s_or_b32 exec_lo, exec_lo, s10
	v_lshrrev_b16 v0, 8, v0
	s_mov_b32 s10, exec_lo
	v_cmpx_ne_u16_e32 0, v0
	s_cbranch_execz .LBB359_855
; %bb.848:                              ;   in Loop: Header=BB359_543 Depth=1
	v_bfrev_b32_e32 v86, 1
	s_mov_b32 s12, exec_lo
	v_cmpx_ne_u16_e32 0x80, v0
	s_cbranch_execz .LBB359_854
; %bb.849:                              ;   in Loop: Header=BB359_543 Depth=1
	v_and_b32_e32 v14, 0xffff, v0
	v_mov_b32_e32 v86, 0x7fc02000
	s_mov_b32 s13, exec_lo
	s_delay_alu instid0(VALU_DEP_2) | instskip(NEXT) | instid1(VALU_DEP_1)
	v_and_b32_e32 v87, 0x7f, v14
	v_cmpx_ne_u32_e32 0x7f, v87
	s_cbranch_execz .LBB359_853
; %bb.850:                              ;   in Loop: Header=BB359_543 Depth=1
	v_and_b32_e32 v0, 7, v14
	v_lshrrev_b32_e32 v86, 3, v87
	s_mov_b32 s15, exec_lo
	v_cmpx_gt_u32_e32 8, v87
; %bb.851:                              ;   in Loop: Header=BB359_543 Depth=1
	s_delay_alu instid0(VALU_DEP_3) | instskip(NEXT) | instid1(VALU_DEP_1)
	v_clz_i32_u32_e32 v86, v0
	v_min_u32_e32 v86, 32, v86
	s_delay_alu instid0(VALU_DEP_1) | instskip(SKIP_1) | instid1(VALU_DEP_2)
	v_subrev_nc_u32_e32 v87, 28, v86
	v_sub_nc_u32_e32 v86, 29, v86
	v_lshlrev_b64 v[96:97], v87, v[0:1]
	s_delay_alu instid0(VALU_DEP_1)
	v_and_b32_e32 v0, 7, v96
; %bb.852:                              ;   in Loop: Header=BB359_543 Depth=1
	s_or_b32 exec_lo, exec_lo, s15
	v_lshlrev_b32_e32 v14, 8, v14
	v_lshl_add_u32 v86, v86, 10, 0x2000
	s_delay_alu instid0(VALU_DEP_1) | instskip(NEXT) | instid1(VALU_DEP_1)
	v_and_or_b32 v14, 0x8000, v14, v86
	v_lshl_or_b32 v0, v0, 7, v14
	s_delay_alu instid0(VALU_DEP_1)
	v_cvt_f32_f16_e32 v86, v0
.LBB359_853:                            ;   in Loop: Header=BB359_543 Depth=1
	s_or_b32 exec_lo, exec_lo, s13
.LBB359_854:                            ;   in Loop: Header=BB359_543 Depth=1
	s_delay_alu instid0(SALU_CYCLE_1)
	s_or_b32 exec_lo, exec_lo, s12
.LBB359_855:                            ;   in Loop: Header=BB359_543 Depth=1
	s_delay_alu instid0(SALU_CYCLE_1) | instskip(SKIP_3) | instid1(VALU_DEP_2)
	s_or_b32 exec_lo, exec_lo, s10
	v_lshrrev_b32_e32 v96, 16, v12
	v_mov_b32_e32 v14, 0
	s_mov_b32 s10, exec_lo
	v_dual_mov_b32 v87, 0 :: v_dual_and_b32 v0, 0xff, v96
	s_delay_alu instid0(VALU_DEP_1)
	v_cmpx_ne_u16_e32 0, v0
	s_cbranch_execz .LBB359_863
; %bb.856:                              ;   in Loop: Header=BB359_543 Depth=1
	v_bfrev_b32_e32 v14, 1
	s_mov_b32 s12, exec_lo
	v_cmpx_ne_u16_e32 0x80, v0
	s_cbranch_execz .LBB359_862
; %bb.857:                              ;   in Loop: Header=BB359_543 Depth=1
	v_bfe_u32 v97, v12, 16, 7
	v_mov_b32_e32 v14, 0x7fc02000
	s_mov_b32 s13, exec_lo
	s_delay_alu instid0(VALU_DEP_2)
	v_cmpx_ne_u32_e32 0x7f, v97
	s_cbranch_execz .LBB359_861
; %bb.858:                              ;   in Loop: Header=BB359_543 Depth=1
	v_and_b32_e32 v0, 7, v96
	v_lshrrev_b32_e32 v14, 3, v97
	s_mov_b32 s15, exec_lo
	v_cmpx_gt_u32_e32 8, v97
; %bb.859:                              ;   in Loop: Header=BB359_543 Depth=1
	s_delay_alu instid0(VALU_DEP_3) | instskip(NEXT) | instid1(VALU_DEP_1)
	v_clz_i32_u32_e32 v14, v0
	v_min_u32_e32 v14, 32, v14
	s_delay_alu instid0(VALU_DEP_1) | instskip(SKIP_1) | instid1(VALU_DEP_2)
	v_subrev_nc_u32_e32 v97, 28, v14
	v_sub_nc_u32_e32 v14, 29, v14
	v_lshlrev_b64 v[97:98], v97, v[0:1]
	s_delay_alu instid0(VALU_DEP_1)
	v_and_b32_e32 v0, 7, v97
; %bb.860:                              ;   in Loop: Header=BB359_543 Depth=1
	s_or_b32 exec_lo, exec_lo, s15
	v_lshlrev_b32_e32 v96, 8, v96
	v_lshl_add_u32 v14, v14, 10, 0x2000
	s_delay_alu instid0(VALU_DEP_1) | instskip(NEXT) | instid1(VALU_DEP_1)
	v_and_or_b32 v14, 0x8000, v96, v14
	v_lshl_or_b32 v0, v0, 7, v14
	s_delay_alu instid0(VALU_DEP_1)
	v_cvt_f32_f16_e32 v14, v0
.LBB359_861:                            ;   in Loop: Header=BB359_543 Depth=1
	s_or_b32 exec_lo, exec_lo, s13
.LBB359_862:                            ;   in Loop: Header=BB359_543 Depth=1
	s_delay_alu instid0(SALU_CYCLE_1)
	s_or_b32 exec_lo, exec_lo, s12
.LBB359_863:                            ;   in Loop: Header=BB359_543 Depth=1
	s_delay_alu instid0(SALU_CYCLE_1) | instskip(NEXT) | instid1(SALU_CYCLE_1)
	s_or_b32 exec_lo, exec_lo, s10
	s_mov_b32 s10, exec_lo
	v_cmpx_lt_u64_e64 s[8:9], v[11:12]
	s_cbranch_execz .LBB359_871
; %bb.864:                              ;   in Loop: Header=BB359_543 Depth=1
	v_lshrrev_b32_e32 v11, 24, v12
	v_bfrev_b32_e32 v87, 1
	s_mov_b32 s12, exec_lo
	s_delay_alu instid0(VALU_DEP_2)
	v_cmpx_ne_u32_e32 0x80, v11
	s_cbranch_execz .LBB359_870
; %bb.865:                              ;   in Loop: Header=BB359_543 Depth=1
	v_and_b32_e32 v96, 0x7f, v11
	v_mov_b32_e32 v87, 0x7fc02000
	s_mov_b32 s13, exec_lo
	s_delay_alu instid0(VALU_DEP_2)
	v_cmpx_ne_u32_e32 0x7f, v96
	s_cbranch_execz .LBB359_869
; %bb.866:                              ;   in Loop: Header=BB359_543 Depth=1
	v_and_b32_e32 v0, 7, v11
	v_lshrrev_b32_e32 v12, 3, v96
	s_mov_b32 s15, exec_lo
	v_cmpx_gt_u32_e32 8, v96
; %bb.867:                              ;   in Loop: Header=BB359_543 Depth=1
	s_delay_alu instid0(VALU_DEP_3) | instskip(NEXT) | instid1(VALU_DEP_1)
	v_clz_i32_u32_e32 v12, v0
	v_min_u32_e32 v12, 32, v12
	s_delay_alu instid0(VALU_DEP_1) | instskip(SKIP_1) | instid1(VALU_DEP_2)
	v_subrev_nc_u32_e32 v87, 28, v12
	v_sub_nc_u32_e32 v12, 29, v12
	v_lshlrev_b64 v[96:97], v87, v[0:1]
	s_delay_alu instid0(VALU_DEP_1)
	v_and_b32_e32 v0, 7, v96
; %bb.868:                              ;   in Loop: Header=BB359_543 Depth=1
	s_or_b32 exec_lo, exec_lo, s15
	v_lshlrev_b32_e32 v11, 8, v11
	v_lshl_add_u32 v12, v12, 10, 0x2000
	s_delay_alu instid0(VALU_DEP_1) | instskip(NEXT) | instid1(VALU_DEP_1)
	v_and_or_b32 v11, 0x8000, v11, v12
	v_lshl_or_b32 v0, v0, 7, v11
	s_delay_alu instid0(VALU_DEP_1)
	v_cvt_f32_f16_e32 v87, v0
.LBB359_869:                            ;   in Loop: Header=BB359_543 Depth=1
	s_or_b32 exec_lo, exec_lo, s13
.LBB359_870:                            ;   in Loop: Header=BB359_543 Depth=1
	s_delay_alu instid0(SALU_CYCLE_1)
	s_or_b32 exec_lo, exec_lo, s12
.LBB359_871:                            ;   in Loop: Header=BB359_543 Depth=1
	s_delay_alu instid0(SALU_CYCLE_1)
	s_or_b32 exec_lo, exec_lo, s10
	s_waitcnt vmcnt(0) lgkmcnt(0)
	v_fma_mixlo_f16 v12, v81, v83, 0
	v_fma_mixlo_f16 v0, v81, v85, 0
	v_fma_mixlo_f16 v11, v81, v84, 0
	v_fma_mixlo_f16 v82, v81, v82, 0
	v_fma_mixlo_f16 v84, v81, v86, 0
	v_lshlrev_b32_e32 v83, 16, v12
	v_fma_mixlo_f16 v13, v81, v13, 0
	v_fma_mixlo_f16 v85, v81, v87, 0
	;; [unrolled: 1-line block ×3, first 2 shown]
	v_lshlrev_b32_e32 v0, 16, v0
	v_and_b32_e32 v11, 0xffff, v11
	v_and_b32_e32 v14, 0xffff, v82
	v_lshlrev_b32_e32 v81, 16, v84
	v_and_b32_e32 v82, 0xffff, v13
	v_lshlrev_b32_e32 v84, 16, v85
	v_and_b32_e32 v85, 0xffff, v12
	v_or_b32_e32 v13, v0, v11
	v_or_b32_e32 v14, v83, v14
	;; [unrolled: 1-line block ×3, first 2 shown]
	s_delay_alu instid0(VALU_DEP_4)
	v_or_b32_e32 v11, v84, v85
	s_and_saveexec_b32 s10, vcc_lo
	s_cbranch_execz .LBB359_873
; %bb.872:                              ;   in Loop: Header=BB359_543 Depth=1
	v_cmp_lt_i32_e64 s0, v15, v35
	v_lshrrev_b32_e32 v81, 16, v14
	v_lshrrev_b32_e32 v82, 16, v13
	;; [unrolled: 1-line block ×4, first 2 shown]
	v_cndmask_b32_e64 v14, 0, v14, s0
	v_cmp_lt_i32_e64 s0, v52, v39
	s_delay_alu instid0(VALU_DEP_1) | instskip(SKIP_1) | instid1(VALU_DEP_2)
	v_cndmask_b32_e64 v81, 0, v81, s0
	v_cmp_lt_i32_e64 s0, v51, v39
	v_perm_b32 v14, v81, v14, 0x5040100
	s_delay_alu instid0(VALU_DEP_2) | instskip(SKIP_1) | instid1(VALU_DEP_1)
	v_cndmask_b32_e64 v82, 0, v82, s0
	v_cmp_lt_i32_e64 s0, v50, v35
	v_cndmask_b32_e64 v13, 0, v13, s0
	v_cmp_lt_i32_e64 s0, v49, v39
	s_delay_alu instid0(VALU_DEP_2) | instskip(NEXT) | instid1(VALU_DEP_2)
	v_perm_b32 v13, v82, v13, 0x5040100
	v_cndmask_b32_e64 v83, 0, v83, s0
	v_cmp_lt_i32_e64 s0, v48, v35
	s_delay_alu instid0(VALU_DEP_1) | instskip(SKIP_1) | instid1(VALU_DEP_2)
	v_cndmask_b32_e64 v0, 0, v0, s0
	v_cmp_lt_i32_e64 s0, v38, v39
	v_perm_b32 v0, v83, v0, 0x5040100
	s_delay_alu instid0(VALU_DEP_2) | instskip(SKIP_1) | instid1(VALU_DEP_1)
	v_cndmask_b32_e64 v11, 0, v11, s0
	v_cmp_lt_i32_e64 s0, v17, v35
	v_cndmask_b32_e64 v12, 0, v12, s0
	s_delay_alu instid0(VALU_DEP_1)
	v_perm_b32 v11, v11, v12, 0x5040100
.LBB359_873:                            ;   in Loop: Header=BB359_543 Depth=1
	s_or_b32 exec_lo, exec_lo, s10
	;;#ASMSTART
	v_pk_mul_f16 v12, v64, v14;

	;;#ASMEND
	;;#ASMSTART
	v_pk_mul_f16 v13, v55, v13;

	;;#ASMEND
	;; [unrolled: 4-line block ×4, first 2 shown]
	;;#ASMSTART
	v_pk_add_f16 v12, v12, v13;

	;;#ASMEND
	;;#ASMSTART
	v_pk_add_f16 v0, v12, v0;

	;;#ASMEND
	;; [unrolled: 4-line block ×3, first 2 shown]
	v_dual_mov_b32 v84, 0 :: v_dual_and_b32 v11, 0xffff, v0
	v_lshrrev_b32_e32 v0, 16, v0
	;;#ASMSTART
	v_cvt_f32_f16 v81, v11;
	;;#ASMEND
	;;#ASMSTART
	v_cvt_f32_f16 v82, v0;
	;;#ASMEND
	flat_load_b64 v[11:12], v[9:10] offset:1280
	flat_load_b32 v83, v[26:27]
	s_mov_b32 s10, exec_lo
	s_waitcnt vmcnt(1) lgkmcnt(1)
	v_dual_mov_b32 v85, 0 :: v_dual_and_b32 v0, 0xff, v11
	s_delay_alu instid0(VALU_DEP_1)
	v_cmpx_ne_u16_e32 0, v0
	s_cbranch_execz .LBB359_881
; %bb.874:                              ;   in Loop: Header=BB359_543 Depth=1
	v_bfrev_b32_e32 v84, 1
	s_mov_b32 s12, exec_lo
	v_cmpx_ne_u16_e32 0x80, v0
	s_cbranch_execz .LBB359_880
; %bb.875:                              ;   in Loop: Header=BB359_543 Depth=1
	v_and_b32_e32 v13, 0x7f, v11
	v_mov_b32_e32 v84, 0x7fc02000
	s_mov_b32 s13, exec_lo
	s_delay_alu instid0(VALU_DEP_2)
	v_cmpx_ne_u32_e32 0x7f, v13
	s_cbranch_execz .LBB359_879
; %bb.876:                              ;   in Loop: Header=BB359_543 Depth=1
	v_lshrrev_b32_e32 v0, 3, v13
	v_cmp_gt_u32_e64 s0, 8, v13
	v_dual_mov_b32 v14, v12 :: v_dual_mov_b32 v13, v11
	s_delay_alu instid0(VALU_DEP_2)
	s_and_saveexec_b32 s15, s0
; %bb.877:                              ;   in Loop: Header=BB359_543 Depth=1
	v_and_b32_e32 v0, 7, v11
	s_delay_alu instid0(VALU_DEP_1) | instskip(NEXT) | instid1(VALU_DEP_1)
	v_clz_i32_u32_e32 v0, v0
	v_min_u32_e32 v0, 32, v0
	s_delay_alu instid0(VALU_DEP_1) | instskip(SKIP_1) | instid1(VALU_DEP_2)
	v_subrev_nc_u32_e32 v13, 28, v0
	v_sub_nc_u32_e32 v0, 29, v0
	v_lshlrev_b64 v[13:14], v13, v[11:12]
; %bb.878:                              ;   in Loop: Header=BB359_543 Depth=1
	s_or_b32 exec_lo, exec_lo, s15
	v_lshlrev_b32_e32 v14, 8, v11
	s_delay_alu instid0(VALU_DEP_3) | instskip(NEXT) | instid1(VALU_DEP_3)
	v_lshl_add_u32 v0, v0, 10, 0x2000
	v_lshlrev_b32_e32 v13, 7, v13
	s_delay_alu instid0(VALU_DEP_2) | instskip(NEXT) | instid1(VALU_DEP_1)
	v_and_or_b32 v0, 0x8000, v14, v0
	v_and_or_b32 v0, 0x380, v13, v0
	s_delay_alu instid0(VALU_DEP_1)
	v_cvt_f32_f16_e32 v84, v0
.LBB359_879:                            ;   in Loop: Header=BB359_543 Depth=1
	s_or_b32 exec_lo, exec_lo, s13
.LBB359_880:                            ;   in Loop: Header=BB359_543 Depth=1
	s_delay_alu instid0(SALU_CYCLE_1)
	s_or_b32 exec_lo, exec_lo, s12
.LBB359_881:                            ;   in Loop: Header=BB359_543 Depth=1
	s_delay_alu instid0(SALU_CYCLE_1) | instskip(SKIP_2) | instid1(VALU_DEP_1)
	s_or_b32 exec_lo, exec_lo, s10
	v_lshrrev_b16 v0, 8, v11
	s_mov_b32 s10, exec_lo
	v_cmpx_ne_u16_e32 0, v0
	s_cbranch_execz .LBB359_889
; %bb.882:                              ;   in Loop: Header=BB359_543 Depth=1
	v_bfrev_b32_e32 v85, 1
	s_mov_b32 s12, exec_lo
	v_cmpx_ne_u16_e32 0x80, v0
	s_cbranch_execz .LBB359_888
; %bb.883:                              ;   in Loop: Header=BB359_543 Depth=1
	v_and_b32_e32 v13, 0xffff, v0
	v_mov_b32_e32 v85, 0x7fc02000
	s_mov_b32 s13, exec_lo
	s_delay_alu instid0(VALU_DEP_2) | instskip(NEXT) | instid1(VALU_DEP_1)
	v_and_b32_e32 v86, 0x7f, v13
	v_cmpx_ne_u32_e32 0x7f, v86
	s_cbranch_execz .LBB359_887
; %bb.884:                              ;   in Loop: Header=BB359_543 Depth=1
	v_and_b32_e32 v0, 7, v13
	v_lshrrev_b32_e32 v14, 3, v86
	s_mov_b32 s15, exec_lo
	v_cmpx_gt_u32_e32 8, v86
; %bb.885:                              ;   in Loop: Header=BB359_543 Depth=1
	s_delay_alu instid0(VALU_DEP_3) | instskip(NEXT) | instid1(VALU_DEP_1)
	v_clz_i32_u32_e32 v14, v0
	v_min_u32_e32 v14, 32, v14
	s_delay_alu instid0(VALU_DEP_1) | instskip(SKIP_1) | instid1(VALU_DEP_2)
	v_subrev_nc_u32_e32 v85, 28, v14
	v_sub_nc_u32_e32 v14, 29, v14
	v_lshlrev_b64 v[85:86], v85, v[0:1]
	s_delay_alu instid0(VALU_DEP_1)
	v_and_b32_e32 v0, 7, v85
; %bb.886:                              ;   in Loop: Header=BB359_543 Depth=1
	s_or_b32 exec_lo, exec_lo, s15
	v_lshlrev_b32_e32 v13, 8, v13
	v_lshl_add_u32 v14, v14, 10, 0x2000
	s_delay_alu instid0(VALU_DEP_1) | instskip(NEXT) | instid1(VALU_DEP_1)
	v_and_or_b32 v13, 0x8000, v13, v14
	v_lshl_or_b32 v0, v0, 7, v13
	s_delay_alu instid0(VALU_DEP_1)
	v_cvt_f32_f16_e32 v85, v0
.LBB359_887:                            ;   in Loop: Header=BB359_543 Depth=1
	s_or_b32 exec_lo, exec_lo, s13
.LBB359_888:                            ;   in Loop: Header=BB359_543 Depth=1
	s_delay_alu instid0(SALU_CYCLE_1)
	s_or_b32 exec_lo, exec_lo, s12
.LBB359_889:                            ;   in Loop: Header=BB359_543 Depth=1
	s_delay_alu instid0(SALU_CYCLE_1) | instskip(SKIP_3) | instid1(VALU_DEP_2)
	s_or_b32 exec_lo, exec_lo, s10
	v_lshrrev_b32_e32 v13, 16, v11
	v_mov_b32_e32 v86, 0
	s_mov_b32 s10, exec_lo
	v_dual_mov_b32 v87, 0 :: v_dual_and_b32 v0, 0xff, v13
	s_delay_alu instid0(VALU_DEP_1)
	v_cmpx_ne_u16_e32 0, v0
	s_cbranch_execz .LBB359_897
; %bb.890:                              ;   in Loop: Header=BB359_543 Depth=1
	v_bfrev_b32_e32 v86, 1
	s_mov_b32 s12, exec_lo
	v_cmpx_ne_u16_e32 0x80, v0
	s_cbranch_execz .LBB359_896
; %bb.891:                              ;   in Loop: Header=BB359_543 Depth=1
	v_bfe_u32 v96, v11, 16, 7
	v_mov_b32_e32 v86, 0x7fc02000
	s_mov_b32 s13, exec_lo
	s_delay_alu instid0(VALU_DEP_2)
	v_cmpx_ne_u32_e32 0x7f, v96
	s_cbranch_execz .LBB359_895
; %bb.892:                              ;   in Loop: Header=BB359_543 Depth=1
	v_and_b32_e32 v0, 7, v13
	v_lshrrev_b32_e32 v14, 3, v96
	s_mov_b32 s15, exec_lo
	v_cmpx_gt_u32_e32 8, v96
; %bb.893:                              ;   in Loop: Header=BB359_543 Depth=1
	s_delay_alu instid0(VALU_DEP_3) | instskip(NEXT) | instid1(VALU_DEP_1)
	v_clz_i32_u32_e32 v14, v0
	v_min_u32_e32 v14, 32, v14
	s_delay_alu instid0(VALU_DEP_1) | instskip(SKIP_1) | instid1(VALU_DEP_2)
	v_subrev_nc_u32_e32 v86, 28, v14
	v_sub_nc_u32_e32 v14, 29, v14
	v_lshlrev_b64 v[96:97], v86, v[0:1]
	s_delay_alu instid0(VALU_DEP_1)
	v_and_b32_e32 v0, 7, v96
; %bb.894:                              ;   in Loop: Header=BB359_543 Depth=1
	s_or_b32 exec_lo, exec_lo, s15
	v_lshlrev_b32_e32 v13, 8, v13
	v_lshl_add_u32 v14, v14, 10, 0x2000
	s_delay_alu instid0(VALU_DEP_1) | instskip(NEXT) | instid1(VALU_DEP_1)
	v_and_or_b32 v13, 0x8000, v13, v14
	v_lshl_or_b32 v0, v0, 7, v13
	s_delay_alu instid0(VALU_DEP_1)
	v_cvt_f32_f16_e32 v86, v0
.LBB359_895:                            ;   in Loop: Header=BB359_543 Depth=1
	s_or_b32 exec_lo, exec_lo, s13
.LBB359_896:                            ;   in Loop: Header=BB359_543 Depth=1
	s_delay_alu instid0(SALU_CYCLE_1)
	s_or_b32 exec_lo, exec_lo, s12
.LBB359_897:                            ;   in Loop: Header=BB359_543 Depth=1
	s_delay_alu instid0(SALU_CYCLE_1) | instskip(NEXT) | instid1(SALU_CYCLE_1)
	s_or_b32 exec_lo, exec_lo, s10
	s_mov_b32 s10, exec_lo
	v_cmpx_lt_u32_e32 0xffffff, v11
	s_cbranch_execz .LBB359_905
; %bb.898:                              ;   in Loop: Header=BB359_543 Depth=1
	v_lshrrev_b32_e32 v13, 24, v11
	v_bfrev_b32_e32 v87, 1
	s_mov_b32 s12, exec_lo
	s_delay_alu instid0(VALU_DEP_2)
	v_cmpx_ne_u32_e32 0x80, v13
	s_cbranch_execz .LBB359_904
; %bb.899:                              ;   in Loop: Header=BB359_543 Depth=1
	v_and_b32_e32 v96, 0x7f, v13
	v_mov_b32_e32 v87, 0x7fc02000
	s_mov_b32 s13, exec_lo
	s_delay_alu instid0(VALU_DEP_2)
	v_cmpx_ne_u32_e32 0x7f, v96
	s_cbranch_execz .LBB359_903
; %bb.900:                              ;   in Loop: Header=BB359_543 Depth=1
	v_and_b32_e32 v0, 7, v13
	v_lshrrev_b32_e32 v14, 3, v96
	s_mov_b32 s15, exec_lo
	v_cmpx_gt_u32_e32 8, v96
; %bb.901:                              ;   in Loop: Header=BB359_543 Depth=1
	s_delay_alu instid0(VALU_DEP_3) | instskip(NEXT) | instid1(VALU_DEP_1)
	v_clz_i32_u32_e32 v14, v0
	v_min_u32_e32 v14, 32, v14
	s_delay_alu instid0(VALU_DEP_1) | instskip(SKIP_1) | instid1(VALU_DEP_2)
	v_subrev_nc_u32_e32 v87, 28, v14
	v_sub_nc_u32_e32 v14, 29, v14
	v_lshlrev_b64 v[96:97], v87, v[0:1]
	s_delay_alu instid0(VALU_DEP_1)
	v_and_b32_e32 v0, 7, v96
; %bb.902:                              ;   in Loop: Header=BB359_543 Depth=1
	s_or_b32 exec_lo, exec_lo, s15
	v_lshlrev_b32_e32 v13, 8, v13
	v_lshl_add_u32 v14, v14, 10, 0x2000
	s_delay_alu instid0(VALU_DEP_1) | instskip(NEXT) | instid1(VALU_DEP_1)
	v_and_or_b32 v13, 0x8000, v13, v14
	v_lshl_or_b32 v0, v0, 7, v13
	s_delay_alu instid0(VALU_DEP_1)
	v_cvt_f32_f16_e32 v87, v0
.LBB359_903:                            ;   in Loop: Header=BB359_543 Depth=1
	s_or_b32 exec_lo, exec_lo, s13
.LBB359_904:                            ;   in Loop: Header=BB359_543 Depth=1
	s_delay_alu instid0(SALU_CYCLE_1)
	s_or_b32 exec_lo, exec_lo, s12
.LBB359_905:                            ;   in Loop: Header=BB359_543 Depth=1
	s_delay_alu instid0(SALU_CYCLE_1) | instskip(SKIP_4) | instid1(VALU_DEP_3)
	s_or_b32 exec_lo, exec_lo, s10
	v_dual_mov_b32 v13, 0 :: v_dual_and_b32 v14, 0xff, v12
	v_mov_b32_e32 v0, v12
	v_mov_b32_e32 v96, 0
	s_mov_b32 s10, exec_lo
	v_cmpx_ne_u16_e32 0, v14
	s_cbranch_execz .LBB359_913
; %bb.906:                              ;   in Loop: Header=BB359_543 Depth=1
	v_bfrev_b32_e32 v13, 1
	s_mov_b32 s12, exec_lo
	v_cmpx_ne_u16_e32 0x80, v14
	s_cbranch_execz .LBB359_912
; %bb.907:                              ;   in Loop: Header=BB359_543 Depth=1
	v_and_b32_e32 v14, 0x7f, v12
	v_mov_b32_e32 v13, 0x7fc02000
	s_mov_b32 s13, exec_lo
	s_delay_alu instid0(VALU_DEP_2)
	v_cmpx_ne_u32_e32 0x7f, v14
	s_cbranch_execz .LBB359_911
; %bb.908:                              ;   in Loop: Header=BB359_543 Depth=1
	v_lshrrev_b32_e32 v97, 3, v14
	v_cmp_gt_u32_e64 s0, 8, v14
	v_dual_mov_b32 v14, v1 :: v_dual_mov_b32 v13, v0
	s_delay_alu instid0(VALU_DEP_2)
	s_and_saveexec_b32 s15, s0
; %bb.909:                              ;   in Loop: Header=BB359_543 Depth=1
	v_and_b32_e32 v13, 7, v12
	s_delay_alu instid0(VALU_DEP_1) | instskip(NEXT) | instid1(VALU_DEP_1)
	v_clz_i32_u32_e32 v13, v13
	v_min_u32_e32 v97, 32, v13
	s_delay_alu instid0(VALU_DEP_1) | instskip(SKIP_1) | instid1(VALU_DEP_2)
	v_subrev_nc_u32_e32 v13, 28, v97
	v_sub_nc_u32_e32 v97, 29, v97
	v_lshlrev_b64 v[13:14], v13, v[0:1]
; %bb.910:                              ;   in Loop: Header=BB359_543 Depth=1
	s_or_b32 exec_lo, exec_lo, s15
	v_lshlrev_b32_e32 v14, 8, v12
	s_delay_alu instid0(VALU_DEP_3) | instskip(NEXT) | instid1(VALU_DEP_3)
	v_lshl_add_u32 v97, v97, 10, 0x2000
	v_lshlrev_b32_e32 v13, 7, v13
	s_delay_alu instid0(VALU_DEP_2) | instskip(NEXT) | instid1(VALU_DEP_1)
	v_and_or_b32 v14, 0x8000, v14, v97
	v_and_or_b32 v13, 0x380, v13, v14
	s_delay_alu instid0(VALU_DEP_1)
	v_cvt_f32_f16_e32 v13, v13
.LBB359_911:                            ;   in Loop: Header=BB359_543 Depth=1
	s_or_b32 exec_lo, exec_lo, s13
.LBB359_912:                            ;   in Loop: Header=BB359_543 Depth=1
	s_delay_alu instid0(SALU_CYCLE_1)
	s_or_b32 exec_lo, exec_lo, s12
.LBB359_913:                            ;   in Loop: Header=BB359_543 Depth=1
	s_delay_alu instid0(SALU_CYCLE_1) | instskip(SKIP_2) | instid1(VALU_DEP_1)
	s_or_b32 exec_lo, exec_lo, s10
	v_lshrrev_b16 v0, 8, v0
	s_mov_b32 s10, exec_lo
	v_cmpx_ne_u16_e32 0, v0
	s_cbranch_execz .LBB359_921
; %bb.914:                              ;   in Loop: Header=BB359_543 Depth=1
	v_bfrev_b32_e32 v96, 1
	s_mov_b32 s12, exec_lo
	v_cmpx_ne_u16_e32 0x80, v0
	s_cbranch_execz .LBB359_920
; %bb.915:                              ;   in Loop: Header=BB359_543 Depth=1
	v_and_b32_e32 v14, 0xffff, v0
	v_mov_b32_e32 v96, 0x7fc02000
	s_mov_b32 s13, exec_lo
	s_delay_alu instid0(VALU_DEP_2) | instskip(NEXT) | instid1(VALU_DEP_1)
	v_and_b32_e32 v97, 0x7f, v14
	v_cmpx_ne_u32_e32 0x7f, v97
	s_cbranch_execz .LBB359_919
; %bb.916:                              ;   in Loop: Header=BB359_543 Depth=1
	v_and_b32_e32 v0, 7, v14
	v_lshrrev_b32_e32 v96, 3, v97
	s_mov_b32 s15, exec_lo
	v_cmpx_gt_u32_e32 8, v97
; %bb.917:                              ;   in Loop: Header=BB359_543 Depth=1
	s_delay_alu instid0(VALU_DEP_3) | instskip(NEXT) | instid1(VALU_DEP_1)
	v_clz_i32_u32_e32 v96, v0
	v_min_u32_e32 v96, 32, v96
	s_delay_alu instid0(VALU_DEP_1) | instskip(SKIP_1) | instid1(VALU_DEP_2)
	v_subrev_nc_u32_e32 v97, 28, v96
	v_sub_nc_u32_e32 v96, 29, v96
	v_lshlrev_b64 v[97:98], v97, v[0:1]
	s_delay_alu instid0(VALU_DEP_1)
	v_and_b32_e32 v0, 7, v97
; %bb.918:                              ;   in Loop: Header=BB359_543 Depth=1
	s_or_b32 exec_lo, exec_lo, s15
	v_lshlrev_b32_e32 v14, 8, v14
	v_lshl_add_u32 v96, v96, 10, 0x2000
	s_delay_alu instid0(VALU_DEP_1) | instskip(NEXT) | instid1(VALU_DEP_1)
	v_and_or_b32 v14, 0x8000, v14, v96
	v_lshl_or_b32 v0, v0, 7, v14
	s_delay_alu instid0(VALU_DEP_1)
	v_cvt_f32_f16_e32 v96, v0
.LBB359_919:                            ;   in Loop: Header=BB359_543 Depth=1
	s_or_b32 exec_lo, exec_lo, s13
.LBB359_920:                            ;   in Loop: Header=BB359_543 Depth=1
	s_delay_alu instid0(SALU_CYCLE_1)
	s_or_b32 exec_lo, exec_lo, s12
.LBB359_921:                            ;   in Loop: Header=BB359_543 Depth=1
	s_delay_alu instid0(SALU_CYCLE_1) | instskip(SKIP_3) | instid1(VALU_DEP_2)
	s_or_b32 exec_lo, exec_lo, s10
	v_lshrrev_b32_e32 v98, 16, v12
	v_mov_b32_e32 v14, 0
	s_mov_b32 s10, exec_lo
	v_dual_mov_b32 v97, 0 :: v_dual_and_b32 v0, 0xff, v98
	s_delay_alu instid0(VALU_DEP_1)
	v_cmpx_ne_u16_e32 0, v0
	s_cbranch_execz .LBB359_929
; %bb.922:                              ;   in Loop: Header=BB359_543 Depth=1
	v_bfrev_b32_e32 v14, 1
	s_mov_b32 s12, exec_lo
	v_cmpx_ne_u16_e32 0x80, v0
	s_cbranch_execz .LBB359_928
; %bb.923:                              ;   in Loop: Header=BB359_543 Depth=1
	v_bfe_u32 v99, v12, 16, 7
	v_mov_b32_e32 v14, 0x7fc02000
	s_mov_b32 s13, exec_lo
	s_delay_alu instid0(VALU_DEP_2)
	v_cmpx_ne_u32_e32 0x7f, v99
	s_cbranch_execz .LBB359_927
; %bb.924:                              ;   in Loop: Header=BB359_543 Depth=1
	v_and_b32_e32 v0, 7, v98
	v_lshrrev_b32_e32 v14, 3, v99
	s_mov_b32 s15, exec_lo
	v_cmpx_gt_u32_e32 8, v99
; %bb.925:                              ;   in Loop: Header=BB359_543 Depth=1
	s_delay_alu instid0(VALU_DEP_3) | instskip(NEXT) | instid1(VALU_DEP_1)
	v_clz_i32_u32_e32 v14, v0
	v_min_u32_e32 v14, 32, v14
	s_delay_alu instid0(VALU_DEP_1) | instskip(SKIP_1) | instid1(VALU_DEP_2)
	v_subrev_nc_u32_e32 v99, 28, v14
	v_sub_nc_u32_e32 v14, 29, v14
	v_lshlrev_b64 v[99:100], v99, v[0:1]
	s_delay_alu instid0(VALU_DEP_1)
	v_and_b32_e32 v0, 7, v99
; %bb.926:                              ;   in Loop: Header=BB359_543 Depth=1
	s_or_b32 exec_lo, exec_lo, s15
	v_lshlrev_b32_e32 v98, 8, v98
	v_lshl_add_u32 v14, v14, 10, 0x2000
	s_delay_alu instid0(VALU_DEP_1) | instskip(NEXT) | instid1(VALU_DEP_1)
	v_and_or_b32 v14, 0x8000, v98, v14
	v_lshl_or_b32 v0, v0, 7, v14
	s_delay_alu instid0(VALU_DEP_1)
	v_cvt_f32_f16_e32 v14, v0
.LBB359_927:                            ;   in Loop: Header=BB359_543 Depth=1
	s_or_b32 exec_lo, exec_lo, s13
.LBB359_928:                            ;   in Loop: Header=BB359_543 Depth=1
	s_delay_alu instid0(SALU_CYCLE_1)
	s_or_b32 exec_lo, exec_lo, s12
.LBB359_929:                            ;   in Loop: Header=BB359_543 Depth=1
	s_delay_alu instid0(SALU_CYCLE_1) | instskip(NEXT) | instid1(SALU_CYCLE_1)
	s_or_b32 exec_lo, exec_lo, s10
	s_mov_b32 s10, exec_lo
	v_cmpx_lt_u64_e64 s[8:9], v[11:12]
	s_cbranch_execz .LBB359_937
; %bb.930:                              ;   in Loop: Header=BB359_543 Depth=1
	v_lshrrev_b32_e32 v11, 24, v12
	v_bfrev_b32_e32 v97, 1
	s_mov_b32 s12, exec_lo
	s_delay_alu instid0(VALU_DEP_2)
	v_cmpx_ne_u32_e32 0x80, v11
	s_cbranch_execz .LBB359_936
; %bb.931:                              ;   in Loop: Header=BB359_543 Depth=1
	v_and_b32_e32 v98, 0x7f, v11
	v_mov_b32_e32 v97, 0x7fc02000
	s_mov_b32 s13, exec_lo
	s_delay_alu instid0(VALU_DEP_2)
	v_cmpx_ne_u32_e32 0x7f, v98
	s_cbranch_execz .LBB359_935
; %bb.932:                              ;   in Loop: Header=BB359_543 Depth=1
	v_and_b32_e32 v0, 7, v11
	v_lshrrev_b32_e32 v12, 3, v98
	s_mov_b32 s15, exec_lo
	v_cmpx_gt_u32_e32 8, v98
; %bb.933:                              ;   in Loop: Header=BB359_543 Depth=1
	s_delay_alu instid0(VALU_DEP_3) | instskip(NEXT) | instid1(VALU_DEP_1)
	v_clz_i32_u32_e32 v12, v0
	v_min_u32_e32 v12, 32, v12
	s_delay_alu instid0(VALU_DEP_1) | instskip(SKIP_1) | instid1(VALU_DEP_2)
	v_subrev_nc_u32_e32 v97, 28, v12
	v_sub_nc_u32_e32 v12, 29, v12
	v_lshlrev_b64 v[97:98], v97, v[0:1]
	s_delay_alu instid0(VALU_DEP_1)
	v_and_b32_e32 v0, 7, v97
; %bb.934:                              ;   in Loop: Header=BB359_543 Depth=1
	s_or_b32 exec_lo, exec_lo, s15
	v_lshlrev_b32_e32 v11, 8, v11
	v_lshl_add_u32 v12, v12, 10, 0x2000
	s_delay_alu instid0(VALU_DEP_1) | instskip(NEXT) | instid1(VALU_DEP_1)
	v_and_or_b32 v11, 0x8000, v11, v12
	v_lshl_or_b32 v0, v0, 7, v11
	s_delay_alu instid0(VALU_DEP_1)
	v_cvt_f32_f16_e32 v97, v0
.LBB359_935:                            ;   in Loop: Header=BB359_543 Depth=1
	s_or_b32 exec_lo, exec_lo, s13
.LBB359_936:                            ;   in Loop: Header=BB359_543 Depth=1
	s_delay_alu instid0(SALU_CYCLE_1)
	s_or_b32 exec_lo, exec_lo, s12
.LBB359_937:                            ;   in Loop: Header=BB359_543 Depth=1
	s_delay_alu instid0(SALU_CYCLE_1)
	s_or_b32 exec_lo, exec_lo, s10
	s_waitcnt vmcnt(0) lgkmcnt(0)
	v_fma_mixlo_f16 v12, v83, v85, 0
	v_fma_mixlo_f16 v0, v83, v87, 0
	;; [unrolled: 1-line block ×5, first 2 shown]
	v_lshlrev_b32_e32 v85, 16, v12
	v_fma_mixlo_f16 v13, v83, v13, 0
	v_fma_mixlo_f16 v87, v83, v97, 0
	;; [unrolled: 1-line block ×3, first 2 shown]
	v_lshlrev_b32_e32 v0, 16, v0
	v_and_b32_e32 v11, 0xffff, v11
	v_and_b32_e32 v14, 0xffff, v84
	v_lshlrev_b32_e32 v83, 16, v86
	v_and_b32_e32 v84, 0xffff, v13
	v_lshlrev_b32_e32 v86, 16, v87
	v_and_b32_e32 v87, 0xffff, v12
	v_or_b32_e32 v13, v0, v11
	v_or_b32_e32 v14, v85, v14
	v_or_b32_e32 v0, v83, v84
	s_delay_alu instid0(VALU_DEP_4)
	v_or_b32_e32 v11, v86, v87
	s_and_saveexec_b32 s10, vcc_lo
	s_cbranch_execz .LBB359_939
; %bb.938:                              ;   in Loop: Header=BB359_543 Depth=1
	v_cmp_lt_i32_e64 s0, v15, v35
	v_lshrrev_b32_e32 v83, 16, v14
	v_lshrrev_b32_e32 v84, 16, v13
	;; [unrolled: 1-line block ×4, first 2 shown]
	v_cndmask_b32_e64 v14, 0, v14, s0
	v_cmp_lt_i32_e64 s0, v52, v39
	s_delay_alu instid0(VALU_DEP_1) | instskip(SKIP_1) | instid1(VALU_DEP_2)
	v_cndmask_b32_e64 v83, 0, v83, s0
	v_cmp_lt_i32_e64 s0, v51, v39
	v_perm_b32 v14, v83, v14, 0x5040100
	s_delay_alu instid0(VALU_DEP_2) | instskip(SKIP_1) | instid1(VALU_DEP_1)
	v_cndmask_b32_e64 v84, 0, v84, s0
	v_cmp_lt_i32_e64 s0, v50, v35
	v_cndmask_b32_e64 v13, 0, v13, s0
	v_cmp_lt_i32_e64 s0, v49, v39
	s_delay_alu instid0(VALU_DEP_2) | instskip(NEXT) | instid1(VALU_DEP_2)
	v_perm_b32 v13, v84, v13, 0x5040100
	v_cndmask_b32_e64 v85, 0, v85, s0
	v_cmp_lt_i32_e64 s0, v48, v35
	s_delay_alu instid0(VALU_DEP_1) | instskip(SKIP_1) | instid1(VALU_DEP_2)
	v_cndmask_b32_e64 v0, 0, v0, s0
	v_cmp_lt_i32_e64 s0, v38, v39
	v_perm_b32 v0, v85, v0, 0x5040100
	s_delay_alu instid0(VALU_DEP_2) | instskip(SKIP_1) | instid1(VALU_DEP_1)
	v_cndmask_b32_e64 v11, 0, v11, s0
	v_cmp_lt_i32_e64 s0, v17, v35
	v_cndmask_b32_e64 v12, 0, v12, s0
	s_delay_alu instid0(VALU_DEP_1)
	v_perm_b32 v11, v11, v12, 0x5040100
.LBB359_939:                            ;   in Loop: Header=BB359_543 Depth=1
	s_or_b32 exec_lo, exec_lo, s10
	;;#ASMSTART
	v_pk_mul_f16 v12, v64, v14;

	;;#ASMEND
	;;#ASMSTART
	v_pk_mul_f16 v13, v55, v13;

	;;#ASMEND
	;;#ASMSTART
	v_pk_mul_f16 v0, v54, v0;

	;;#ASMEND
	;;#ASMSTART
	v_pk_mul_f16 v11, v53, v11;

	;;#ASMEND
	;;#ASMSTART
	v_pk_add_f16 v12, v12, v13;

	;;#ASMEND
	;;#ASMSTART
	v_pk_add_f16 v0, v12, v0;

	;;#ASMEND
	;; [unrolled: 4-line block ×3, first 2 shown]
	v_dual_mov_b32 v86, 0 :: v_dual_and_b32 v11, 0xffff, v0
	v_lshrrev_b32_e32 v0, 16, v0
	;;#ASMSTART
	v_cvt_f32_f16 v83, v11;
	;;#ASMEND
	;;#ASMSTART
	v_cvt_f32_f16 v84, v0;
	;;#ASMEND
	flat_load_b64 v[11:12], v[9:10] offset:1536
	flat_load_b32 v85, v[26:27]
	s_mov_b32 s10, exec_lo
	s_waitcnt vmcnt(1) lgkmcnt(1)
	v_dual_mov_b32 v87, 0 :: v_dual_and_b32 v0, 0xff, v11
	s_delay_alu instid0(VALU_DEP_1)
	v_cmpx_ne_u16_e32 0, v0
	s_cbranch_execz .LBB359_947
; %bb.940:                              ;   in Loop: Header=BB359_543 Depth=1
	v_bfrev_b32_e32 v86, 1
	s_mov_b32 s12, exec_lo
	v_cmpx_ne_u16_e32 0x80, v0
	s_cbranch_execz .LBB359_946
; %bb.941:                              ;   in Loop: Header=BB359_543 Depth=1
	v_and_b32_e32 v13, 0x7f, v11
	v_mov_b32_e32 v86, 0x7fc02000
	s_mov_b32 s13, exec_lo
	s_delay_alu instid0(VALU_DEP_2)
	v_cmpx_ne_u32_e32 0x7f, v13
	s_cbranch_execz .LBB359_945
; %bb.942:                              ;   in Loop: Header=BB359_543 Depth=1
	v_lshrrev_b32_e32 v0, 3, v13
	v_cmp_gt_u32_e64 s0, 8, v13
	v_dual_mov_b32 v14, v12 :: v_dual_mov_b32 v13, v11
	s_delay_alu instid0(VALU_DEP_2)
	s_and_saveexec_b32 s15, s0
; %bb.943:                              ;   in Loop: Header=BB359_543 Depth=1
	v_and_b32_e32 v0, 7, v11
	s_delay_alu instid0(VALU_DEP_1) | instskip(NEXT) | instid1(VALU_DEP_1)
	v_clz_i32_u32_e32 v0, v0
	v_min_u32_e32 v0, 32, v0
	s_delay_alu instid0(VALU_DEP_1) | instskip(SKIP_1) | instid1(VALU_DEP_2)
	v_subrev_nc_u32_e32 v13, 28, v0
	v_sub_nc_u32_e32 v0, 29, v0
	v_lshlrev_b64 v[13:14], v13, v[11:12]
; %bb.944:                              ;   in Loop: Header=BB359_543 Depth=1
	s_or_b32 exec_lo, exec_lo, s15
	v_lshlrev_b32_e32 v14, 8, v11
	s_delay_alu instid0(VALU_DEP_3) | instskip(NEXT) | instid1(VALU_DEP_3)
	v_lshl_add_u32 v0, v0, 10, 0x2000
	v_lshlrev_b32_e32 v13, 7, v13
	s_delay_alu instid0(VALU_DEP_2) | instskip(NEXT) | instid1(VALU_DEP_1)
	v_and_or_b32 v0, 0x8000, v14, v0
	v_and_or_b32 v0, 0x380, v13, v0
	s_delay_alu instid0(VALU_DEP_1)
	v_cvt_f32_f16_e32 v86, v0
.LBB359_945:                            ;   in Loop: Header=BB359_543 Depth=1
	s_or_b32 exec_lo, exec_lo, s13
.LBB359_946:                            ;   in Loop: Header=BB359_543 Depth=1
	s_delay_alu instid0(SALU_CYCLE_1)
	s_or_b32 exec_lo, exec_lo, s12
.LBB359_947:                            ;   in Loop: Header=BB359_543 Depth=1
	s_delay_alu instid0(SALU_CYCLE_1) | instskip(SKIP_2) | instid1(VALU_DEP_1)
	s_or_b32 exec_lo, exec_lo, s10
	v_lshrrev_b16 v0, 8, v11
	s_mov_b32 s10, exec_lo
	v_cmpx_ne_u16_e32 0, v0
	s_cbranch_execz .LBB359_955
; %bb.948:                              ;   in Loop: Header=BB359_543 Depth=1
	v_bfrev_b32_e32 v87, 1
	s_mov_b32 s12, exec_lo
	v_cmpx_ne_u16_e32 0x80, v0
	s_cbranch_execz .LBB359_954
; %bb.949:                              ;   in Loop: Header=BB359_543 Depth=1
	v_and_b32_e32 v13, 0xffff, v0
	v_mov_b32_e32 v87, 0x7fc02000
	s_mov_b32 s13, exec_lo
	s_delay_alu instid0(VALU_DEP_2) | instskip(NEXT) | instid1(VALU_DEP_1)
	v_and_b32_e32 v96, 0x7f, v13
	v_cmpx_ne_u32_e32 0x7f, v96
	s_cbranch_execz .LBB359_953
; %bb.950:                              ;   in Loop: Header=BB359_543 Depth=1
	v_and_b32_e32 v0, 7, v13
	v_lshrrev_b32_e32 v14, 3, v96
	s_mov_b32 s15, exec_lo
	v_cmpx_gt_u32_e32 8, v96
; %bb.951:                              ;   in Loop: Header=BB359_543 Depth=1
	s_delay_alu instid0(VALU_DEP_3) | instskip(NEXT) | instid1(VALU_DEP_1)
	v_clz_i32_u32_e32 v14, v0
	v_min_u32_e32 v14, 32, v14
	s_delay_alu instid0(VALU_DEP_1) | instskip(SKIP_1) | instid1(VALU_DEP_2)
	v_subrev_nc_u32_e32 v87, 28, v14
	v_sub_nc_u32_e32 v14, 29, v14
	v_lshlrev_b64 v[96:97], v87, v[0:1]
	s_delay_alu instid0(VALU_DEP_1)
	v_and_b32_e32 v0, 7, v96
; %bb.952:                              ;   in Loop: Header=BB359_543 Depth=1
	s_or_b32 exec_lo, exec_lo, s15
	v_lshlrev_b32_e32 v13, 8, v13
	v_lshl_add_u32 v14, v14, 10, 0x2000
	s_delay_alu instid0(VALU_DEP_1) | instskip(NEXT) | instid1(VALU_DEP_1)
	v_and_or_b32 v13, 0x8000, v13, v14
	v_lshl_or_b32 v0, v0, 7, v13
	s_delay_alu instid0(VALU_DEP_1)
	v_cvt_f32_f16_e32 v87, v0
.LBB359_953:                            ;   in Loop: Header=BB359_543 Depth=1
	s_or_b32 exec_lo, exec_lo, s13
.LBB359_954:                            ;   in Loop: Header=BB359_543 Depth=1
	s_delay_alu instid0(SALU_CYCLE_1)
	s_or_b32 exec_lo, exec_lo, s12
.LBB359_955:                            ;   in Loop: Header=BB359_543 Depth=1
	s_delay_alu instid0(SALU_CYCLE_1) | instskip(SKIP_3) | instid1(VALU_DEP_2)
	s_or_b32 exec_lo, exec_lo, s10
	v_lshrrev_b32_e32 v13, 16, v11
	v_mov_b32_e32 v96, 0
	s_mov_b32 s10, exec_lo
	v_dual_mov_b32 v97, 0 :: v_dual_and_b32 v0, 0xff, v13
	s_delay_alu instid0(VALU_DEP_1)
	v_cmpx_ne_u16_e32 0, v0
	s_cbranch_execz .LBB359_963
; %bb.956:                              ;   in Loop: Header=BB359_543 Depth=1
	v_bfrev_b32_e32 v96, 1
	s_mov_b32 s12, exec_lo
	v_cmpx_ne_u16_e32 0x80, v0
	s_cbranch_execz .LBB359_962
; %bb.957:                              ;   in Loop: Header=BB359_543 Depth=1
	v_bfe_u32 v98, v11, 16, 7
	v_mov_b32_e32 v96, 0x7fc02000
	s_mov_b32 s13, exec_lo
	s_delay_alu instid0(VALU_DEP_2)
	v_cmpx_ne_u32_e32 0x7f, v98
	s_cbranch_execz .LBB359_961
; %bb.958:                              ;   in Loop: Header=BB359_543 Depth=1
	v_and_b32_e32 v0, 7, v13
	v_lshrrev_b32_e32 v14, 3, v98
	s_mov_b32 s15, exec_lo
	v_cmpx_gt_u32_e32 8, v98
; %bb.959:                              ;   in Loop: Header=BB359_543 Depth=1
	s_delay_alu instid0(VALU_DEP_3) | instskip(NEXT) | instid1(VALU_DEP_1)
	v_clz_i32_u32_e32 v14, v0
	v_min_u32_e32 v14, 32, v14
	s_delay_alu instid0(VALU_DEP_1) | instskip(SKIP_1) | instid1(VALU_DEP_2)
	v_subrev_nc_u32_e32 v96, 28, v14
	v_sub_nc_u32_e32 v14, 29, v14
	v_lshlrev_b64 v[98:99], v96, v[0:1]
	s_delay_alu instid0(VALU_DEP_1)
	v_and_b32_e32 v0, 7, v98
; %bb.960:                              ;   in Loop: Header=BB359_543 Depth=1
	s_or_b32 exec_lo, exec_lo, s15
	v_lshlrev_b32_e32 v13, 8, v13
	v_lshl_add_u32 v14, v14, 10, 0x2000
	s_delay_alu instid0(VALU_DEP_1) | instskip(NEXT) | instid1(VALU_DEP_1)
	v_and_or_b32 v13, 0x8000, v13, v14
	v_lshl_or_b32 v0, v0, 7, v13
	s_delay_alu instid0(VALU_DEP_1)
	v_cvt_f32_f16_e32 v96, v0
.LBB359_961:                            ;   in Loop: Header=BB359_543 Depth=1
	s_or_b32 exec_lo, exec_lo, s13
.LBB359_962:                            ;   in Loop: Header=BB359_543 Depth=1
	s_delay_alu instid0(SALU_CYCLE_1)
	s_or_b32 exec_lo, exec_lo, s12
.LBB359_963:                            ;   in Loop: Header=BB359_543 Depth=1
	s_delay_alu instid0(SALU_CYCLE_1) | instskip(NEXT) | instid1(SALU_CYCLE_1)
	s_or_b32 exec_lo, exec_lo, s10
	s_mov_b32 s10, exec_lo
	v_cmpx_lt_u32_e32 0xffffff, v11
	s_cbranch_execz .LBB359_971
; %bb.964:                              ;   in Loop: Header=BB359_543 Depth=1
	v_lshrrev_b32_e32 v13, 24, v11
	v_bfrev_b32_e32 v97, 1
	s_mov_b32 s12, exec_lo
	s_delay_alu instid0(VALU_DEP_2)
	v_cmpx_ne_u32_e32 0x80, v13
	s_cbranch_execz .LBB359_970
; %bb.965:                              ;   in Loop: Header=BB359_543 Depth=1
	v_and_b32_e32 v98, 0x7f, v13
	v_mov_b32_e32 v97, 0x7fc02000
	s_mov_b32 s13, exec_lo
	s_delay_alu instid0(VALU_DEP_2)
	v_cmpx_ne_u32_e32 0x7f, v98
	s_cbranch_execz .LBB359_969
; %bb.966:                              ;   in Loop: Header=BB359_543 Depth=1
	v_and_b32_e32 v0, 7, v13
	v_lshrrev_b32_e32 v14, 3, v98
	s_mov_b32 s15, exec_lo
	v_cmpx_gt_u32_e32 8, v98
; %bb.967:                              ;   in Loop: Header=BB359_543 Depth=1
	s_delay_alu instid0(VALU_DEP_3) | instskip(NEXT) | instid1(VALU_DEP_1)
	v_clz_i32_u32_e32 v14, v0
	v_min_u32_e32 v14, 32, v14
	s_delay_alu instid0(VALU_DEP_1) | instskip(SKIP_1) | instid1(VALU_DEP_2)
	v_subrev_nc_u32_e32 v97, 28, v14
	v_sub_nc_u32_e32 v14, 29, v14
	v_lshlrev_b64 v[97:98], v97, v[0:1]
	s_delay_alu instid0(VALU_DEP_1)
	v_and_b32_e32 v0, 7, v97
; %bb.968:                              ;   in Loop: Header=BB359_543 Depth=1
	s_or_b32 exec_lo, exec_lo, s15
	v_lshlrev_b32_e32 v13, 8, v13
	v_lshl_add_u32 v14, v14, 10, 0x2000
	s_delay_alu instid0(VALU_DEP_1) | instskip(NEXT) | instid1(VALU_DEP_1)
	v_and_or_b32 v13, 0x8000, v13, v14
	v_lshl_or_b32 v0, v0, 7, v13
	s_delay_alu instid0(VALU_DEP_1)
	v_cvt_f32_f16_e32 v97, v0
.LBB359_969:                            ;   in Loop: Header=BB359_543 Depth=1
	s_or_b32 exec_lo, exec_lo, s13
.LBB359_970:                            ;   in Loop: Header=BB359_543 Depth=1
	s_delay_alu instid0(SALU_CYCLE_1)
	s_or_b32 exec_lo, exec_lo, s12
.LBB359_971:                            ;   in Loop: Header=BB359_543 Depth=1
	s_delay_alu instid0(SALU_CYCLE_1) | instskip(SKIP_4) | instid1(VALU_DEP_3)
	s_or_b32 exec_lo, exec_lo, s10
	v_dual_mov_b32 v13, 0 :: v_dual_and_b32 v14, 0xff, v12
	v_mov_b32_e32 v0, v12
	v_mov_b32_e32 v98, 0
	s_mov_b32 s10, exec_lo
	v_cmpx_ne_u16_e32 0, v14
	s_cbranch_execz .LBB359_979
; %bb.972:                              ;   in Loop: Header=BB359_543 Depth=1
	v_bfrev_b32_e32 v13, 1
	s_mov_b32 s12, exec_lo
	v_cmpx_ne_u16_e32 0x80, v14
	s_cbranch_execz .LBB359_978
; %bb.973:                              ;   in Loop: Header=BB359_543 Depth=1
	v_and_b32_e32 v14, 0x7f, v12
	v_mov_b32_e32 v13, 0x7fc02000
	s_mov_b32 s13, exec_lo
	s_delay_alu instid0(VALU_DEP_2)
	v_cmpx_ne_u32_e32 0x7f, v14
	s_cbranch_execz .LBB359_977
; %bb.974:                              ;   in Loop: Header=BB359_543 Depth=1
	v_lshrrev_b32_e32 v99, 3, v14
	v_cmp_gt_u32_e64 s0, 8, v14
	v_dual_mov_b32 v14, v1 :: v_dual_mov_b32 v13, v0
	s_delay_alu instid0(VALU_DEP_2)
	s_and_saveexec_b32 s15, s0
; %bb.975:                              ;   in Loop: Header=BB359_543 Depth=1
	v_and_b32_e32 v13, 7, v12
	s_delay_alu instid0(VALU_DEP_1) | instskip(NEXT) | instid1(VALU_DEP_1)
	v_clz_i32_u32_e32 v13, v13
	v_min_u32_e32 v99, 32, v13
	s_delay_alu instid0(VALU_DEP_1) | instskip(SKIP_1) | instid1(VALU_DEP_2)
	v_subrev_nc_u32_e32 v13, 28, v99
	v_sub_nc_u32_e32 v99, 29, v99
	v_lshlrev_b64 v[13:14], v13, v[0:1]
; %bb.976:                              ;   in Loop: Header=BB359_543 Depth=1
	s_or_b32 exec_lo, exec_lo, s15
	v_lshlrev_b32_e32 v14, 8, v12
	s_delay_alu instid0(VALU_DEP_3) | instskip(NEXT) | instid1(VALU_DEP_3)
	v_lshl_add_u32 v99, v99, 10, 0x2000
	v_lshlrev_b32_e32 v13, 7, v13
	s_delay_alu instid0(VALU_DEP_2) | instskip(NEXT) | instid1(VALU_DEP_1)
	v_and_or_b32 v14, 0x8000, v14, v99
	v_and_or_b32 v13, 0x380, v13, v14
	s_delay_alu instid0(VALU_DEP_1)
	v_cvt_f32_f16_e32 v13, v13
.LBB359_977:                            ;   in Loop: Header=BB359_543 Depth=1
	s_or_b32 exec_lo, exec_lo, s13
.LBB359_978:                            ;   in Loop: Header=BB359_543 Depth=1
	s_delay_alu instid0(SALU_CYCLE_1)
	s_or_b32 exec_lo, exec_lo, s12
.LBB359_979:                            ;   in Loop: Header=BB359_543 Depth=1
	s_delay_alu instid0(SALU_CYCLE_1) | instskip(SKIP_2) | instid1(VALU_DEP_1)
	s_or_b32 exec_lo, exec_lo, s10
	v_lshrrev_b16 v0, 8, v0
	s_mov_b32 s10, exec_lo
	v_cmpx_ne_u16_e32 0, v0
	s_cbranch_execz .LBB359_987
; %bb.980:                              ;   in Loop: Header=BB359_543 Depth=1
	v_bfrev_b32_e32 v98, 1
	s_mov_b32 s12, exec_lo
	v_cmpx_ne_u16_e32 0x80, v0
	s_cbranch_execz .LBB359_986
; %bb.981:                              ;   in Loop: Header=BB359_543 Depth=1
	v_and_b32_e32 v14, 0xffff, v0
	v_mov_b32_e32 v98, 0x7fc02000
	s_mov_b32 s13, exec_lo
	s_delay_alu instid0(VALU_DEP_2) | instskip(NEXT) | instid1(VALU_DEP_1)
	v_and_b32_e32 v99, 0x7f, v14
	v_cmpx_ne_u32_e32 0x7f, v99
	s_cbranch_execz .LBB359_985
; %bb.982:                              ;   in Loop: Header=BB359_543 Depth=1
	v_and_b32_e32 v0, 7, v14
	v_lshrrev_b32_e32 v98, 3, v99
	s_mov_b32 s15, exec_lo
	v_cmpx_gt_u32_e32 8, v99
; %bb.983:                              ;   in Loop: Header=BB359_543 Depth=1
	s_delay_alu instid0(VALU_DEP_3) | instskip(NEXT) | instid1(VALU_DEP_1)
	v_clz_i32_u32_e32 v98, v0
	v_min_u32_e32 v98, 32, v98
	s_delay_alu instid0(VALU_DEP_1) | instskip(SKIP_1) | instid1(VALU_DEP_2)
	v_subrev_nc_u32_e32 v99, 28, v98
	v_sub_nc_u32_e32 v98, 29, v98
	v_lshlrev_b64 v[99:100], v99, v[0:1]
	s_delay_alu instid0(VALU_DEP_1)
	v_and_b32_e32 v0, 7, v99
; %bb.984:                              ;   in Loop: Header=BB359_543 Depth=1
	s_or_b32 exec_lo, exec_lo, s15
	v_lshlrev_b32_e32 v14, 8, v14
	v_lshl_add_u32 v98, v98, 10, 0x2000
	s_delay_alu instid0(VALU_DEP_1) | instskip(NEXT) | instid1(VALU_DEP_1)
	v_and_or_b32 v14, 0x8000, v14, v98
	v_lshl_or_b32 v0, v0, 7, v14
	s_delay_alu instid0(VALU_DEP_1)
	v_cvt_f32_f16_e32 v98, v0
.LBB359_985:                            ;   in Loop: Header=BB359_543 Depth=1
	s_or_b32 exec_lo, exec_lo, s13
.LBB359_986:                            ;   in Loop: Header=BB359_543 Depth=1
	s_delay_alu instid0(SALU_CYCLE_1)
	s_or_b32 exec_lo, exec_lo, s12
.LBB359_987:                            ;   in Loop: Header=BB359_543 Depth=1
	s_delay_alu instid0(SALU_CYCLE_1) | instskip(SKIP_3) | instid1(VALU_DEP_2)
	s_or_b32 exec_lo, exec_lo, s10
	v_lshrrev_b32_e32 v100, 16, v12
	v_mov_b32_e32 v14, 0
	s_mov_b32 s10, exec_lo
	v_dual_mov_b32 v99, 0 :: v_dual_and_b32 v0, 0xff, v100
	s_delay_alu instid0(VALU_DEP_1)
	v_cmpx_ne_u16_e32 0, v0
	s_cbranch_execz .LBB359_995
; %bb.988:                              ;   in Loop: Header=BB359_543 Depth=1
	v_bfrev_b32_e32 v14, 1
	s_mov_b32 s12, exec_lo
	v_cmpx_ne_u16_e32 0x80, v0
	s_cbranch_execz .LBB359_994
; %bb.989:                              ;   in Loop: Header=BB359_543 Depth=1
	v_bfe_u32 v101, v12, 16, 7
	v_mov_b32_e32 v14, 0x7fc02000
	s_mov_b32 s13, exec_lo
	s_delay_alu instid0(VALU_DEP_2)
	v_cmpx_ne_u32_e32 0x7f, v101
	s_cbranch_execz .LBB359_993
; %bb.990:                              ;   in Loop: Header=BB359_543 Depth=1
	v_and_b32_e32 v0, 7, v100
	v_lshrrev_b32_e32 v14, 3, v101
	s_mov_b32 s15, exec_lo
	v_cmpx_gt_u32_e32 8, v101
; %bb.991:                              ;   in Loop: Header=BB359_543 Depth=1
	s_delay_alu instid0(VALU_DEP_3) | instskip(NEXT) | instid1(VALU_DEP_1)
	v_clz_i32_u32_e32 v14, v0
	v_min_u32_e32 v14, 32, v14
	s_delay_alu instid0(VALU_DEP_1) | instskip(SKIP_1) | instid1(VALU_DEP_2)
	v_subrev_nc_u32_e32 v101, 28, v14
	v_sub_nc_u32_e32 v14, 29, v14
	v_lshlrev_b64 v[101:102], v101, v[0:1]
	s_delay_alu instid0(VALU_DEP_1)
	v_and_b32_e32 v0, 7, v101
; %bb.992:                              ;   in Loop: Header=BB359_543 Depth=1
	s_or_b32 exec_lo, exec_lo, s15
	v_lshlrev_b32_e32 v100, 8, v100
	v_lshl_add_u32 v14, v14, 10, 0x2000
	s_delay_alu instid0(VALU_DEP_1) | instskip(NEXT) | instid1(VALU_DEP_1)
	v_and_or_b32 v14, 0x8000, v100, v14
	v_lshl_or_b32 v0, v0, 7, v14
	s_delay_alu instid0(VALU_DEP_1)
	v_cvt_f32_f16_e32 v14, v0
.LBB359_993:                            ;   in Loop: Header=BB359_543 Depth=1
	s_or_b32 exec_lo, exec_lo, s13
.LBB359_994:                            ;   in Loop: Header=BB359_543 Depth=1
	s_delay_alu instid0(SALU_CYCLE_1)
	s_or_b32 exec_lo, exec_lo, s12
.LBB359_995:                            ;   in Loop: Header=BB359_543 Depth=1
	s_delay_alu instid0(SALU_CYCLE_1) | instskip(NEXT) | instid1(SALU_CYCLE_1)
	s_or_b32 exec_lo, exec_lo, s10
	s_mov_b32 s10, exec_lo
	v_cmpx_lt_u64_e64 s[8:9], v[11:12]
	s_cbranch_execz .LBB359_1003
; %bb.996:                              ;   in Loop: Header=BB359_543 Depth=1
	v_lshrrev_b32_e32 v11, 24, v12
	v_bfrev_b32_e32 v99, 1
	s_mov_b32 s12, exec_lo
	s_delay_alu instid0(VALU_DEP_2)
	v_cmpx_ne_u32_e32 0x80, v11
	s_cbranch_execz .LBB359_1002
; %bb.997:                              ;   in Loop: Header=BB359_543 Depth=1
	v_and_b32_e32 v100, 0x7f, v11
	v_mov_b32_e32 v99, 0x7fc02000
	s_mov_b32 s13, exec_lo
	s_delay_alu instid0(VALU_DEP_2)
	v_cmpx_ne_u32_e32 0x7f, v100
	s_cbranch_execz .LBB359_1001
; %bb.998:                              ;   in Loop: Header=BB359_543 Depth=1
	v_and_b32_e32 v0, 7, v11
	v_lshrrev_b32_e32 v12, 3, v100
	s_mov_b32 s15, exec_lo
	v_cmpx_gt_u32_e32 8, v100
; %bb.999:                              ;   in Loop: Header=BB359_543 Depth=1
	s_delay_alu instid0(VALU_DEP_3) | instskip(NEXT) | instid1(VALU_DEP_1)
	v_clz_i32_u32_e32 v12, v0
	v_min_u32_e32 v12, 32, v12
	s_delay_alu instid0(VALU_DEP_1) | instskip(SKIP_1) | instid1(VALU_DEP_2)
	v_subrev_nc_u32_e32 v99, 28, v12
	v_sub_nc_u32_e32 v12, 29, v12
	v_lshlrev_b64 v[99:100], v99, v[0:1]
	s_delay_alu instid0(VALU_DEP_1)
	v_and_b32_e32 v0, 7, v99
; %bb.1000:                             ;   in Loop: Header=BB359_543 Depth=1
	s_or_b32 exec_lo, exec_lo, s15
	v_lshlrev_b32_e32 v11, 8, v11
	v_lshl_add_u32 v12, v12, 10, 0x2000
	s_delay_alu instid0(VALU_DEP_1) | instskip(NEXT) | instid1(VALU_DEP_1)
	v_and_or_b32 v11, 0x8000, v11, v12
	v_lshl_or_b32 v0, v0, 7, v11
	s_delay_alu instid0(VALU_DEP_1)
	v_cvt_f32_f16_e32 v99, v0
.LBB359_1001:                           ;   in Loop: Header=BB359_543 Depth=1
	s_or_b32 exec_lo, exec_lo, s13
.LBB359_1002:                           ;   in Loop: Header=BB359_543 Depth=1
	s_delay_alu instid0(SALU_CYCLE_1)
	s_or_b32 exec_lo, exec_lo, s12
.LBB359_1003:                           ;   in Loop: Header=BB359_543 Depth=1
	s_delay_alu instid0(SALU_CYCLE_1)
	s_or_b32 exec_lo, exec_lo, s10
	s_waitcnt vmcnt(0) lgkmcnt(0)
	v_fma_mixlo_f16 v12, v85, v87, 0
	v_fma_mixlo_f16 v0, v85, v97, 0
	;; [unrolled: 1-line block ×5, first 2 shown]
	v_lshlrev_b32_e32 v87, 16, v12
	v_fma_mixlo_f16 v13, v85, v13, 0
	v_fma_mixlo_f16 v97, v85, v99, 0
	;; [unrolled: 1-line block ×3, first 2 shown]
	v_lshlrev_b32_e32 v0, 16, v0
	v_and_b32_e32 v11, 0xffff, v11
	v_and_b32_e32 v14, 0xffff, v86
	v_lshlrev_b32_e32 v85, 16, v96
	v_and_b32_e32 v86, 0xffff, v13
	v_lshlrev_b32_e32 v96, 16, v97
	v_and_b32_e32 v97, 0xffff, v12
	v_or_b32_e32 v13, v0, v11
	v_or_b32_e32 v14, v87, v14
	;; [unrolled: 1-line block ×3, first 2 shown]
	s_delay_alu instid0(VALU_DEP_4)
	v_or_b32_e32 v11, v96, v97
	s_and_saveexec_b32 s10, vcc_lo
	s_cbranch_execz .LBB359_1005
; %bb.1004:                             ;   in Loop: Header=BB359_543 Depth=1
	v_cmp_lt_i32_e64 s0, v15, v35
	v_lshrrev_b32_e32 v85, 16, v14
	v_lshrrev_b32_e32 v86, 16, v13
	;; [unrolled: 1-line block ×4, first 2 shown]
	v_cndmask_b32_e64 v14, 0, v14, s0
	v_cmp_lt_i32_e64 s0, v52, v39
	s_delay_alu instid0(VALU_DEP_1) | instskip(SKIP_1) | instid1(VALU_DEP_2)
	v_cndmask_b32_e64 v85, 0, v85, s0
	v_cmp_lt_i32_e64 s0, v51, v39
	v_perm_b32 v14, v85, v14, 0x5040100
	s_delay_alu instid0(VALU_DEP_2) | instskip(SKIP_1) | instid1(VALU_DEP_1)
	v_cndmask_b32_e64 v86, 0, v86, s0
	v_cmp_lt_i32_e64 s0, v50, v35
	v_cndmask_b32_e64 v13, 0, v13, s0
	v_cmp_lt_i32_e64 s0, v49, v39
	s_delay_alu instid0(VALU_DEP_2) | instskip(NEXT) | instid1(VALU_DEP_2)
	v_perm_b32 v13, v86, v13, 0x5040100
	v_cndmask_b32_e64 v87, 0, v87, s0
	v_cmp_lt_i32_e64 s0, v48, v35
	s_delay_alu instid0(VALU_DEP_1) | instskip(SKIP_1) | instid1(VALU_DEP_2)
	v_cndmask_b32_e64 v0, 0, v0, s0
	v_cmp_lt_i32_e64 s0, v38, v39
	v_perm_b32 v0, v87, v0, 0x5040100
	s_delay_alu instid0(VALU_DEP_2) | instskip(SKIP_1) | instid1(VALU_DEP_1)
	v_cndmask_b32_e64 v11, 0, v11, s0
	v_cmp_lt_i32_e64 s0, v17, v35
	v_cndmask_b32_e64 v12, 0, v12, s0
	s_delay_alu instid0(VALU_DEP_1)
	v_perm_b32 v11, v11, v12, 0x5040100
.LBB359_1005:                           ;   in Loop: Header=BB359_543 Depth=1
	s_or_b32 exec_lo, exec_lo, s10
	;;#ASMSTART
	v_pk_mul_f16 v12, v64, v14;

	;;#ASMEND
	;;#ASMSTART
	v_pk_mul_f16 v13, v55, v13;

	;;#ASMEND
	;; [unrolled: 4-line block ×4, first 2 shown]
	;;#ASMSTART
	v_pk_add_f16 v12, v12, v13;

	;;#ASMEND
	;;#ASMSTART
	v_pk_add_f16 v0, v12, v0;

	;;#ASMEND
	;; [unrolled: 4-line block ×3, first 2 shown]
	v_dual_mov_b32 v86, 0 :: v_dual_and_b32 v11, 0xffff, v0
	v_lshrrev_b32_e32 v0, 16, v0
	;;#ASMSTART
	v_cvt_f32_f16 v13, v11;
	;;#ASMEND
	;;#ASMSTART
	v_cvt_f32_f16 v14, v0;
	;;#ASMEND
	flat_load_b64 v[9:10], v[9:10] offset:1792
	flat_load_b32 v85, v[26:27]
	s_mov_b32 s10, exec_lo
	s_waitcnt vmcnt(1) lgkmcnt(1)
	v_dual_mov_b32 v87, 0 :: v_dual_and_b32 v0, 0xff, v9
	s_delay_alu instid0(VALU_DEP_1)
	v_cmpx_ne_u16_e32 0, v0
	s_cbranch_execz .LBB359_1013
; %bb.1006:                             ;   in Loop: Header=BB359_543 Depth=1
	v_bfrev_b32_e32 v86, 1
	s_mov_b32 s12, exec_lo
	v_cmpx_ne_u16_e32 0x80, v0
	s_cbranch_execz .LBB359_1012
; %bb.1007:                             ;   in Loop: Header=BB359_543 Depth=1
	v_and_b32_e32 v11, 0x7f, v9
	v_mov_b32_e32 v86, 0x7fc02000
	s_mov_b32 s13, exec_lo
	s_delay_alu instid0(VALU_DEP_2)
	v_cmpx_ne_u32_e32 0x7f, v11
	s_cbranch_execz .LBB359_1011
; %bb.1008:                             ;   in Loop: Header=BB359_543 Depth=1
	v_lshrrev_b32_e32 v0, 3, v11
	v_cmp_gt_u32_e64 s0, 8, v11
	v_dual_mov_b32 v12, v10 :: v_dual_mov_b32 v11, v9
	s_delay_alu instid0(VALU_DEP_2)
	s_and_saveexec_b32 s15, s0
; %bb.1009:                             ;   in Loop: Header=BB359_543 Depth=1
	v_and_b32_e32 v0, 7, v9
	s_delay_alu instid0(VALU_DEP_1) | instskip(NEXT) | instid1(VALU_DEP_1)
	v_clz_i32_u32_e32 v0, v0
	v_min_u32_e32 v0, 32, v0
	s_delay_alu instid0(VALU_DEP_1) | instskip(SKIP_1) | instid1(VALU_DEP_2)
	v_subrev_nc_u32_e32 v11, 28, v0
	v_sub_nc_u32_e32 v0, 29, v0
	v_lshlrev_b64 v[11:12], v11, v[9:10]
; %bb.1010:                             ;   in Loop: Header=BB359_543 Depth=1
	s_or_b32 exec_lo, exec_lo, s15
	v_lshlrev_b32_e32 v12, 8, v9
	s_delay_alu instid0(VALU_DEP_3) | instskip(NEXT) | instid1(VALU_DEP_3)
	v_lshl_add_u32 v0, v0, 10, 0x2000
	v_lshlrev_b32_e32 v11, 7, v11
	s_delay_alu instid0(VALU_DEP_2) | instskip(NEXT) | instid1(VALU_DEP_1)
	v_and_or_b32 v0, 0x8000, v12, v0
	v_and_or_b32 v0, 0x380, v11, v0
	s_delay_alu instid0(VALU_DEP_1)
	v_cvt_f32_f16_e32 v86, v0
.LBB359_1011:                           ;   in Loop: Header=BB359_543 Depth=1
	s_or_b32 exec_lo, exec_lo, s13
.LBB359_1012:                           ;   in Loop: Header=BB359_543 Depth=1
	s_delay_alu instid0(SALU_CYCLE_1)
	s_or_b32 exec_lo, exec_lo, s12
.LBB359_1013:                           ;   in Loop: Header=BB359_543 Depth=1
	s_delay_alu instid0(SALU_CYCLE_1) | instskip(SKIP_2) | instid1(VALU_DEP_1)
	s_or_b32 exec_lo, exec_lo, s10
	v_lshrrev_b16 v0, 8, v9
	s_mov_b32 s10, exec_lo
	v_cmpx_ne_u16_e32 0, v0
	s_cbranch_execz .LBB359_1021
; %bb.1014:                             ;   in Loop: Header=BB359_543 Depth=1
	v_bfrev_b32_e32 v87, 1
	s_mov_b32 s12, exec_lo
	v_cmpx_ne_u16_e32 0x80, v0
	s_cbranch_execz .LBB359_1020
; %bb.1015:                             ;   in Loop: Header=BB359_543 Depth=1
	v_and_b32_e32 v11, 0xffff, v0
	v_mov_b32_e32 v87, 0x7fc02000
	s_mov_b32 s13, exec_lo
	s_delay_alu instid0(VALU_DEP_2) | instskip(NEXT) | instid1(VALU_DEP_1)
	v_and_b32_e32 v96, 0x7f, v11
	v_cmpx_ne_u32_e32 0x7f, v96
	s_cbranch_execz .LBB359_1019
; %bb.1016:                             ;   in Loop: Header=BB359_543 Depth=1
	v_and_b32_e32 v0, 7, v11
	v_lshrrev_b32_e32 v12, 3, v96
	s_mov_b32 s15, exec_lo
	v_cmpx_gt_u32_e32 8, v96
; %bb.1017:                             ;   in Loop: Header=BB359_543 Depth=1
	s_delay_alu instid0(VALU_DEP_3) | instskip(NEXT) | instid1(VALU_DEP_1)
	v_clz_i32_u32_e32 v12, v0
	v_min_u32_e32 v12, 32, v12
	s_delay_alu instid0(VALU_DEP_1) | instskip(SKIP_1) | instid1(VALU_DEP_2)
	v_subrev_nc_u32_e32 v87, 28, v12
	v_sub_nc_u32_e32 v12, 29, v12
	v_lshlrev_b64 v[96:97], v87, v[0:1]
	s_delay_alu instid0(VALU_DEP_1)
	v_and_b32_e32 v0, 7, v96
; %bb.1018:                             ;   in Loop: Header=BB359_543 Depth=1
	s_or_b32 exec_lo, exec_lo, s15
	v_lshlrev_b32_e32 v11, 8, v11
	v_lshl_add_u32 v12, v12, 10, 0x2000
	s_delay_alu instid0(VALU_DEP_1) | instskip(NEXT) | instid1(VALU_DEP_1)
	v_and_or_b32 v11, 0x8000, v11, v12
	v_lshl_or_b32 v0, v0, 7, v11
	s_delay_alu instid0(VALU_DEP_1)
	v_cvt_f32_f16_e32 v87, v0
.LBB359_1019:                           ;   in Loop: Header=BB359_543 Depth=1
	s_or_b32 exec_lo, exec_lo, s13
.LBB359_1020:                           ;   in Loop: Header=BB359_543 Depth=1
	s_delay_alu instid0(SALU_CYCLE_1)
	s_or_b32 exec_lo, exec_lo, s12
.LBB359_1021:                           ;   in Loop: Header=BB359_543 Depth=1
	s_delay_alu instid0(SALU_CYCLE_1) | instskip(SKIP_3) | instid1(VALU_DEP_2)
	s_or_b32 exec_lo, exec_lo, s10
	v_lshrrev_b32_e32 v11, 16, v9
	v_mov_b32_e32 v96, 0
	s_mov_b32 s10, exec_lo
	v_dual_mov_b32 v97, 0 :: v_dual_and_b32 v0, 0xff, v11
	s_delay_alu instid0(VALU_DEP_1)
	v_cmpx_ne_u16_e32 0, v0
	s_cbranch_execz .LBB359_1029
; %bb.1022:                             ;   in Loop: Header=BB359_543 Depth=1
	v_bfrev_b32_e32 v96, 1
	s_mov_b32 s12, exec_lo
	v_cmpx_ne_u16_e32 0x80, v0
	s_cbranch_execz .LBB359_1028
; %bb.1023:                             ;   in Loop: Header=BB359_543 Depth=1
	v_bfe_u32 v98, v9, 16, 7
	v_mov_b32_e32 v96, 0x7fc02000
	s_mov_b32 s13, exec_lo
	s_delay_alu instid0(VALU_DEP_2)
	v_cmpx_ne_u32_e32 0x7f, v98
	s_cbranch_execz .LBB359_1027
; %bb.1024:                             ;   in Loop: Header=BB359_543 Depth=1
	v_and_b32_e32 v0, 7, v11
	v_lshrrev_b32_e32 v12, 3, v98
	s_mov_b32 s15, exec_lo
	v_cmpx_gt_u32_e32 8, v98
; %bb.1025:                             ;   in Loop: Header=BB359_543 Depth=1
	s_delay_alu instid0(VALU_DEP_3) | instskip(NEXT) | instid1(VALU_DEP_1)
	v_clz_i32_u32_e32 v12, v0
	v_min_u32_e32 v12, 32, v12
	s_delay_alu instid0(VALU_DEP_1) | instskip(SKIP_1) | instid1(VALU_DEP_2)
	v_subrev_nc_u32_e32 v96, 28, v12
	v_sub_nc_u32_e32 v12, 29, v12
	v_lshlrev_b64 v[98:99], v96, v[0:1]
	s_delay_alu instid0(VALU_DEP_1)
	v_and_b32_e32 v0, 7, v98
; %bb.1026:                             ;   in Loop: Header=BB359_543 Depth=1
	s_or_b32 exec_lo, exec_lo, s15
	v_lshlrev_b32_e32 v11, 8, v11
	v_lshl_add_u32 v12, v12, 10, 0x2000
	s_delay_alu instid0(VALU_DEP_1) | instskip(NEXT) | instid1(VALU_DEP_1)
	v_and_or_b32 v11, 0x8000, v11, v12
	v_lshl_or_b32 v0, v0, 7, v11
	s_delay_alu instid0(VALU_DEP_1)
	v_cvt_f32_f16_e32 v96, v0
.LBB359_1027:                           ;   in Loop: Header=BB359_543 Depth=1
	s_or_b32 exec_lo, exec_lo, s13
.LBB359_1028:                           ;   in Loop: Header=BB359_543 Depth=1
	s_delay_alu instid0(SALU_CYCLE_1)
	s_or_b32 exec_lo, exec_lo, s12
.LBB359_1029:                           ;   in Loop: Header=BB359_543 Depth=1
	s_delay_alu instid0(SALU_CYCLE_1) | instskip(NEXT) | instid1(SALU_CYCLE_1)
	s_or_b32 exec_lo, exec_lo, s10
	s_mov_b32 s10, exec_lo
	v_cmpx_lt_u32_e32 0xffffff, v9
	s_cbranch_execz .LBB359_1037
; %bb.1030:                             ;   in Loop: Header=BB359_543 Depth=1
	v_lshrrev_b32_e32 v11, 24, v9
	v_bfrev_b32_e32 v97, 1
	s_mov_b32 s12, exec_lo
	s_delay_alu instid0(VALU_DEP_2)
	v_cmpx_ne_u32_e32 0x80, v11
	s_cbranch_execz .LBB359_1036
; %bb.1031:                             ;   in Loop: Header=BB359_543 Depth=1
	v_and_b32_e32 v98, 0x7f, v11
	v_mov_b32_e32 v97, 0x7fc02000
	s_mov_b32 s13, exec_lo
	s_delay_alu instid0(VALU_DEP_2)
	v_cmpx_ne_u32_e32 0x7f, v98
	s_cbranch_execz .LBB359_1035
; %bb.1032:                             ;   in Loop: Header=BB359_543 Depth=1
	v_and_b32_e32 v0, 7, v11
	v_lshrrev_b32_e32 v12, 3, v98
	s_mov_b32 s15, exec_lo
	v_cmpx_gt_u32_e32 8, v98
; %bb.1033:                             ;   in Loop: Header=BB359_543 Depth=1
	s_delay_alu instid0(VALU_DEP_3) | instskip(NEXT) | instid1(VALU_DEP_1)
	v_clz_i32_u32_e32 v12, v0
	v_min_u32_e32 v12, 32, v12
	s_delay_alu instid0(VALU_DEP_1) | instskip(SKIP_1) | instid1(VALU_DEP_2)
	v_subrev_nc_u32_e32 v97, 28, v12
	v_sub_nc_u32_e32 v12, 29, v12
	v_lshlrev_b64 v[97:98], v97, v[0:1]
	s_delay_alu instid0(VALU_DEP_1)
	v_and_b32_e32 v0, 7, v97
; %bb.1034:                             ;   in Loop: Header=BB359_543 Depth=1
	s_or_b32 exec_lo, exec_lo, s15
	v_lshlrev_b32_e32 v11, 8, v11
	v_lshl_add_u32 v12, v12, 10, 0x2000
	s_delay_alu instid0(VALU_DEP_1) | instskip(NEXT) | instid1(VALU_DEP_1)
	v_and_or_b32 v11, 0x8000, v11, v12
	v_lshl_or_b32 v0, v0, 7, v11
	s_delay_alu instid0(VALU_DEP_1)
	v_cvt_f32_f16_e32 v97, v0
.LBB359_1035:                           ;   in Loop: Header=BB359_543 Depth=1
	s_or_b32 exec_lo, exec_lo, s13
.LBB359_1036:                           ;   in Loop: Header=BB359_543 Depth=1
	s_delay_alu instid0(SALU_CYCLE_1)
	s_or_b32 exec_lo, exec_lo, s12
.LBB359_1037:                           ;   in Loop: Header=BB359_543 Depth=1
	s_delay_alu instid0(SALU_CYCLE_1) | instskip(SKIP_4) | instid1(VALU_DEP_3)
	s_or_b32 exec_lo, exec_lo, s10
	v_dual_mov_b32 v11, 0 :: v_dual_and_b32 v12, 0xff, v10
	v_mov_b32_e32 v0, v10
	v_mov_b32_e32 v98, 0
	s_mov_b32 s10, exec_lo
	v_cmpx_ne_u16_e32 0, v12
	s_cbranch_execz .LBB359_1045
; %bb.1038:                             ;   in Loop: Header=BB359_543 Depth=1
	v_bfrev_b32_e32 v11, 1
	s_mov_b32 s12, exec_lo
	v_cmpx_ne_u16_e32 0x80, v12
	s_cbranch_execz .LBB359_1044
; %bb.1039:                             ;   in Loop: Header=BB359_543 Depth=1
	v_and_b32_e32 v12, 0x7f, v10
	v_mov_b32_e32 v11, 0x7fc02000
	s_mov_b32 s13, exec_lo
	s_delay_alu instid0(VALU_DEP_2)
	v_cmpx_ne_u32_e32 0x7f, v12
	s_cbranch_execz .LBB359_1043
; %bb.1040:                             ;   in Loop: Header=BB359_543 Depth=1
	v_lshrrev_b32_e32 v99, 3, v12
	v_cmp_gt_u32_e64 s0, 8, v12
	v_dual_mov_b32 v12, v1 :: v_dual_mov_b32 v11, v0
	s_delay_alu instid0(VALU_DEP_2)
	s_and_saveexec_b32 s15, s0
; %bb.1041:                             ;   in Loop: Header=BB359_543 Depth=1
	v_and_b32_e32 v11, 7, v10
	s_delay_alu instid0(VALU_DEP_1) | instskip(NEXT) | instid1(VALU_DEP_1)
	v_clz_i32_u32_e32 v11, v11
	v_min_u32_e32 v99, 32, v11
	s_delay_alu instid0(VALU_DEP_1) | instskip(SKIP_1) | instid1(VALU_DEP_2)
	v_subrev_nc_u32_e32 v11, 28, v99
	v_sub_nc_u32_e32 v99, 29, v99
	v_lshlrev_b64 v[11:12], v11, v[0:1]
; %bb.1042:                             ;   in Loop: Header=BB359_543 Depth=1
	s_or_b32 exec_lo, exec_lo, s15
	v_lshlrev_b32_e32 v12, 8, v10
	s_delay_alu instid0(VALU_DEP_3) | instskip(NEXT) | instid1(VALU_DEP_3)
	v_lshl_add_u32 v99, v99, 10, 0x2000
	v_lshlrev_b32_e32 v11, 7, v11
	s_delay_alu instid0(VALU_DEP_2) | instskip(NEXT) | instid1(VALU_DEP_1)
	v_and_or_b32 v12, 0x8000, v12, v99
	v_and_or_b32 v11, 0x380, v11, v12
	s_delay_alu instid0(VALU_DEP_1)
	v_cvt_f32_f16_e32 v11, v11
.LBB359_1043:                           ;   in Loop: Header=BB359_543 Depth=1
	s_or_b32 exec_lo, exec_lo, s13
.LBB359_1044:                           ;   in Loop: Header=BB359_543 Depth=1
	s_delay_alu instid0(SALU_CYCLE_1)
	s_or_b32 exec_lo, exec_lo, s12
.LBB359_1045:                           ;   in Loop: Header=BB359_543 Depth=1
	s_delay_alu instid0(SALU_CYCLE_1) | instskip(SKIP_2) | instid1(VALU_DEP_1)
	s_or_b32 exec_lo, exec_lo, s10
	v_lshrrev_b16 v0, 8, v0
	s_mov_b32 s10, exec_lo
	v_cmpx_ne_u16_e32 0, v0
	s_cbranch_execz .LBB359_1053
; %bb.1046:                             ;   in Loop: Header=BB359_543 Depth=1
	v_bfrev_b32_e32 v98, 1
	s_mov_b32 s12, exec_lo
	v_cmpx_ne_u16_e32 0x80, v0
	s_cbranch_execz .LBB359_1052
; %bb.1047:                             ;   in Loop: Header=BB359_543 Depth=1
	v_and_b32_e32 v12, 0xffff, v0
	v_mov_b32_e32 v98, 0x7fc02000
	s_mov_b32 s13, exec_lo
	s_delay_alu instid0(VALU_DEP_2) | instskip(NEXT) | instid1(VALU_DEP_1)
	v_and_b32_e32 v99, 0x7f, v12
	v_cmpx_ne_u32_e32 0x7f, v99
	s_cbranch_execz .LBB359_1051
; %bb.1048:                             ;   in Loop: Header=BB359_543 Depth=1
	v_and_b32_e32 v0, 7, v12
	v_lshrrev_b32_e32 v98, 3, v99
	s_mov_b32 s15, exec_lo
	v_cmpx_gt_u32_e32 8, v99
; %bb.1049:                             ;   in Loop: Header=BB359_543 Depth=1
	s_delay_alu instid0(VALU_DEP_3) | instskip(NEXT) | instid1(VALU_DEP_1)
	v_clz_i32_u32_e32 v98, v0
	v_min_u32_e32 v98, 32, v98
	s_delay_alu instid0(VALU_DEP_1) | instskip(SKIP_1) | instid1(VALU_DEP_2)
	v_subrev_nc_u32_e32 v99, 28, v98
	v_sub_nc_u32_e32 v98, 29, v98
	v_lshlrev_b64 v[99:100], v99, v[0:1]
	s_delay_alu instid0(VALU_DEP_1)
	v_and_b32_e32 v0, 7, v99
; %bb.1050:                             ;   in Loop: Header=BB359_543 Depth=1
	s_or_b32 exec_lo, exec_lo, s15
	v_lshlrev_b32_e32 v12, 8, v12
	v_lshl_add_u32 v98, v98, 10, 0x2000
	s_delay_alu instid0(VALU_DEP_1) | instskip(NEXT) | instid1(VALU_DEP_1)
	v_and_or_b32 v12, 0x8000, v12, v98
	v_lshl_or_b32 v0, v0, 7, v12
	s_delay_alu instid0(VALU_DEP_1)
	v_cvt_f32_f16_e32 v98, v0
.LBB359_1051:                           ;   in Loop: Header=BB359_543 Depth=1
	s_or_b32 exec_lo, exec_lo, s13
.LBB359_1052:                           ;   in Loop: Header=BB359_543 Depth=1
	s_delay_alu instid0(SALU_CYCLE_1)
	s_or_b32 exec_lo, exec_lo, s12
.LBB359_1053:                           ;   in Loop: Header=BB359_543 Depth=1
	s_delay_alu instid0(SALU_CYCLE_1) | instskip(SKIP_3) | instid1(VALU_DEP_2)
	s_or_b32 exec_lo, exec_lo, s10
	v_lshrrev_b32_e32 v100, 16, v10
	v_mov_b32_e32 v12, 0
	s_mov_b32 s10, exec_lo
	v_dual_mov_b32 v99, 0 :: v_dual_and_b32 v0, 0xff, v100
	s_delay_alu instid0(VALU_DEP_1)
	v_cmpx_ne_u16_e32 0, v0
	s_cbranch_execz .LBB359_1061
; %bb.1054:                             ;   in Loop: Header=BB359_543 Depth=1
	v_bfrev_b32_e32 v12, 1
	s_mov_b32 s12, exec_lo
	v_cmpx_ne_u16_e32 0x80, v0
	s_cbranch_execz .LBB359_1060
; %bb.1055:                             ;   in Loop: Header=BB359_543 Depth=1
	v_bfe_u32 v101, v10, 16, 7
	v_mov_b32_e32 v12, 0x7fc02000
	s_mov_b32 s13, exec_lo
	s_delay_alu instid0(VALU_DEP_2)
	v_cmpx_ne_u32_e32 0x7f, v101
	s_cbranch_execz .LBB359_1059
; %bb.1056:                             ;   in Loop: Header=BB359_543 Depth=1
	v_and_b32_e32 v0, 7, v100
	v_lshrrev_b32_e32 v12, 3, v101
	s_mov_b32 s15, exec_lo
	v_cmpx_gt_u32_e32 8, v101
; %bb.1057:                             ;   in Loop: Header=BB359_543 Depth=1
	s_delay_alu instid0(VALU_DEP_3) | instskip(NEXT) | instid1(VALU_DEP_1)
	v_clz_i32_u32_e32 v12, v0
	v_min_u32_e32 v12, 32, v12
	s_delay_alu instid0(VALU_DEP_1) | instskip(SKIP_1) | instid1(VALU_DEP_2)
	v_subrev_nc_u32_e32 v101, 28, v12
	v_sub_nc_u32_e32 v12, 29, v12
	v_lshlrev_b64 v[101:102], v101, v[0:1]
	s_delay_alu instid0(VALU_DEP_1)
	v_and_b32_e32 v0, 7, v101
; %bb.1058:                             ;   in Loop: Header=BB359_543 Depth=1
	s_or_b32 exec_lo, exec_lo, s15
	v_lshlrev_b32_e32 v100, 8, v100
	v_lshl_add_u32 v12, v12, 10, 0x2000
	s_delay_alu instid0(VALU_DEP_1) | instskip(NEXT) | instid1(VALU_DEP_1)
	v_and_or_b32 v12, 0x8000, v100, v12
	v_lshl_or_b32 v0, v0, 7, v12
	s_delay_alu instid0(VALU_DEP_1)
	v_cvt_f32_f16_e32 v12, v0
.LBB359_1059:                           ;   in Loop: Header=BB359_543 Depth=1
	s_or_b32 exec_lo, exec_lo, s13
.LBB359_1060:                           ;   in Loop: Header=BB359_543 Depth=1
	s_delay_alu instid0(SALU_CYCLE_1)
	s_or_b32 exec_lo, exec_lo, s12
.LBB359_1061:                           ;   in Loop: Header=BB359_543 Depth=1
	s_delay_alu instid0(SALU_CYCLE_1) | instskip(NEXT) | instid1(SALU_CYCLE_1)
	s_or_b32 exec_lo, exec_lo, s10
	s_mov_b32 s10, exec_lo
	v_cmpx_lt_u64_e64 s[8:9], v[9:10]
	s_cbranch_execz .LBB359_1069
; %bb.1062:                             ;   in Loop: Header=BB359_543 Depth=1
	v_lshrrev_b32_e32 v9, 24, v10
	v_bfrev_b32_e32 v99, 1
	s_mov_b32 s12, exec_lo
	s_delay_alu instid0(VALU_DEP_2)
	v_cmpx_ne_u32_e32 0x80, v9
	s_cbranch_execz .LBB359_1068
; %bb.1063:                             ;   in Loop: Header=BB359_543 Depth=1
	v_and_b32_e32 v100, 0x7f, v9
	v_mov_b32_e32 v99, 0x7fc02000
	s_mov_b32 s13, exec_lo
	s_delay_alu instid0(VALU_DEP_2)
	v_cmpx_ne_u32_e32 0x7f, v100
	s_cbranch_execz .LBB359_1067
; %bb.1064:                             ;   in Loop: Header=BB359_543 Depth=1
	v_and_b32_e32 v0, 7, v9
	v_lshrrev_b32_e32 v10, 3, v100
	s_mov_b32 s15, exec_lo
	v_cmpx_gt_u32_e32 8, v100
; %bb.1065:                             ;   in Loop: Header=BB359_543 Depth=1
	s_delay_alu instid0(VALU_DEP_3) | instskip(NEXT) | instid1(VALU_DEP_1)
	v_clz_i32_u32_e32 v10, v0
	v_min_u32_e32 v10, 32, v10
	s_delay_alu instid0(VALU_DEP_1) | instskip(SKIP_1) | instid1(VALU_DEP_2)
	v_subrev_nc_u32_e32 v99, 28, v10
	v_sub_nc_u32_e32 v10, 29, v10
	v_lshlrev_b64 v[99:100], v99, v[0:1]
	s_delay_alu instid0(VALU_DEP_1)
	v_and_b32_e32 v0, 7, v99
; %bb.1066:                             ;   in Loop: Header=BB359_543 Depth=1
	s_or_b32 exec_lo, exec_lo, s15
	v_lshlrev_b32_e32 v9, 8, v9
	v_lshl_add_u32 v10, v10, 10, 0x2000
	s_delay_alu instid0(VALU_DEP_1) | instskip(NEXT) | instid1(VALU_DEP_1)
	v_and_or_b32 v9, 0x8000, v9, v10
	v_lshl_or_b32 v0, v0, 7, v9
	s_delay_alu instid0(VALU_DEP_1)
	v_cvt_f32_f16_e32 v99, v0
.LBB359_1067:                           ;   in Loop: Header=BB359_543 Depth=1
	s_or_b32 exec_lo, exec_lo, s13
.LBB359_1068:                           ;   in Loop: Header=BB359_543 Depth=1
	s_delay_alu instid0(SALU_CYCLE_1)
	s_or_b32 exec_lo, exec_lo, s12
.LBB359_1069:                           ;   in Loop: Header=BB359_543 Depth=1
	s_delay_alu instid0(SALU_CYCLE_1)
	s_or_b32 exec_lo, exec_lo, s10
	s_waitcnt vmcnt(0) lgkmcnt(0)
	v_fma_mixlo_f16 v10, v85, v87, 0
	v_fma_mixlo_f16 v0, v85, v97, 0
	;; [unrolled: 1-line block ×5, first 2 shown]
	v_lshlrev_b32_e32 v87, 16, v10
	v_fma_mixlo_f16 v10, v85, v86, 0
	v_fma_mixlo_f16 v86, v85, v98, 0
	v_fma_mixlo_f16 v11, v85, v12, 0
	v_lshlrev_b32_e32 v0, 16, v0
	v_and_b32_e32 v9, 0xffff, v9
	v_and_b32_e32 v12, 0xffff, v10
	v_lshlrev_b32_e32 v85, 16, v86
	v_and_b32_e32 v86, 0xffff, v96
	v_lshlrev_b32_e32 v96, 16, v97
	v_and_b32_e32 v97, 0xffff, v11
	v_or_b32_e32 v10, v0, v9
	v_or_b32_e32 v12, v87, v12
	;; [unrolled: 1-line block ×3, first 2 shown]
	s_delay_alu instid0(VALU_DEP_4)
	v_or_b32_e32 v9, v96, v97
	s_and_saveexec_b32 s0, vcc_lo
	s_cbranch_execz .LBB359_542
; %bb.1070:                             ;   in Loop: Header=BB359_543 Depth=1
	v_cmp_lt_i32_e32 vcc_lo, v15, v35
	v_lshrrev_b32_e32 v85, 16, v12
	v_lshrrev_b32_e32 v86, 16, v10
	;; [unrolled: 1-line block ×3, first 2 shown]
	v_cndmask_b32_e32 v12, 0, v12, vcc_lo
	v_cmp_lt_i32_e32 vcc_lo, v52, v39
	v_cndmask_b32_e32 v52, 0, v85, vcc_lo
	v_cmp_lt_i32_e32 vcc_lo, v51, v39
	v_lshrrev_b32_e32 v85, 16, v0
	v_cndmask_b32_e32 v51, 0, v86, vcc_lo
	v_cmp_lt_i32_e32 vcc_lo, v50, v35
	v_cndmask_b32_e32 v10, 0, v10, vcc_lo
	v_cmp_lt_i32_e32 vcc_lo, v49, v39
	;; [unrolled: 2-line block ×3, first 2 shown]
	s_delay_alu instid0(VALU_DEP_4) | instskip(SKIP_4) | instid1(VALU_DEP_4)
	v_perm_b32 v10, v51, v10, 0x5040100
	v_cndmask_b32_e32 v0, 0, v0, vcc_lo
	v_cmp_lt_i32_e32 vcc_lo, v38, v39
	v_cndmask_b32_e32 v9, 0, v9, vcc_lo
	v_cmp_lt_i32_e32 vcc_lo, v17, v35
	v_perm_b32 v0, v49, v0, 0x5040100
	v_cndmask_b32_e32 v11, 0, v11, vcc_lo
	v_perm_b32 v12, v52, v12, 0x5040100
	s_delay_alu instid0(VALU_DEP_2)
	v_perm_b32 v9, v9, v11, 0x5040100
	s_branch .LBB359_542
.LBB359_1071:
	s_or_b32 exec_lo, exec_lo, s5
	v_dual_mov_b32 v0, s6 :: v_dual_mov_b32 v1, s7
.LBB359_1072:
	s_or_b32 exec_lo, exec_lo, s3
	s_delay_alu instid0(VALU_DEP_1)
	v_lshlrev_b64 v[0:1], 2, v[0:1]
	s_getpc_b64 s[6:7]
	s_add_u32 s6, s6, llvm.amdgcn.dynlds.offset.table@rel32@lo+4
	s_addc_u32 s7, s7, llvm.amdgcn.dynlds.offset.table@rel32@hi+12
	s_waitcnt lgkmcnt(0)
	s_waitcnt_vscnt null, 0x0
	s_barrier
	buffer_gl0_inv
	ds_bpermute_b32 v2, v19, v31
	v_add_co_u32 v0, vcc_lo, v0, s6
	v_add_co_ci_u32_e32 v1, vcc_lo, s7, v1, vcc_lo
	ds_bpermute_b32 v3, v19, v30
	ds_bpermute_b32 v6, v19, v29
	;; [unrolled: 1-line block ×3, first 2 shown]
	global_load_b32 v10, v[0:1], off
	ds_bpermute_b32 v0, v19, v24
	ds_bpermute_b32 v1, v19, v32
	;; [unrolled: 1-line block ×4, first 2 shown]
	v_lshrrev_b32_e32 v11, 2, v37
	s_mov_b32 s0, exec_lo
	v_and_b32_e32 v23, 0x3c3, v34
	s_waitcnt lgkmcnt(6)
	v_dual_add_f32 v2, v31, v2 :: v_dual_add_f32 v3, v30, v3
	s_waitcnt lgkmcnt(4)
	v_dual_add_f32 v12, v29, v6 :: v_dual_add_f32 v13, v28, v7
	ds_bpermute_b32 v16, v18, v2
	s_waitcnt lgkmcnt(4)
	v_add_f32_e32 v0, v24, v0
	s_waitcnt lgkmcnt(2)
	v_dual_add_f32 v1, v32, v1 :: v_dual_add_f32 v14, v25, v8
	s_waitcnt lgkmcnt(1)
	v_add_f32_e32 v15, v21, v9
	ds_bpermute_b32 v17, v18, v3
	ds_bpermute_b32 v6, v18, v0
	;; [unrolled: 1-line block ×7, first 2 shown]
	s_waitcnt lgkmcnt(4)
	v_dual_add_f32 v9, v0, v6 :: v_dual_add_f32 v8, v1, v7
	v_dual_add_f32 v7, v2, v16 :: v_dual_add_f32 v6, v3, v17
	s_waitcnt lgkmcnt(2)
	v_dual_add_f32 v3, v12, v19 :: v_dual_add_f32 v2, v13, v21
	s_waitcnt lgkmcnt(1)
	v_add_f32_e32 v1, v14, v22
	s_waitcnt lgkmcnt(0)
	v_add_f32_e32 v0, v15, v18
	s_waitcnt vmcnt(0)
	v_lshl_add_u32 v12, v36, 8, v10
	v_cmpx_eq_u32_e32 64, v23
	s_cbranch_execz .LBB359_1074
; %bb.1073:
	v_lshlrev_b32_e32 v13, 2, v11
	s_delay_alu instid0(VALU_DEP_1)
	v_add3_u32 v13, v12, v13, 0xfffffe00
	ds_store_2addr_b32 v13, v9, v8 offset1:8
	ds_store_2addr_b32 v13, v7, v6 offset0:16 offset1:24
	ds_store_2addr_b32 v13, v3, v2 offset0:32 offset1:40
	;; [unrolled: 1-line block ×3, first 2 shown]
.LBB359_1074:
	s_or_b32 exec_lo, exec_lo, s0
	v_cmp_eq_u32_e32 vcc_lo, 0, v20
	s_mov_b32 s3, exec_lo
	s_waitcnt lgkmcnt(0)
	s_barrier
	buffer_gl0_inv
	v_cmpx_gt_u32_e32 64, v34
	s_cbranch_execz .LBB359_1085
; %bb.1075:
	s_and_saveexec_b32 s0, vcc_lo
	s_cbranch_execnz .LBB359_1101
; %bb.1076:
	s_or_b32 exec_lo, exec_lo, s0
	s_and_saveexec_b32 s0, vcc_lo
	s_cbranch_execnz .LBB359_1102
.LBB359_1077:
	s_or_b32 exec_lo, exec_lo, s0
	s_and_saveexec_b32 s0, vcc_lo
	s_cbranch_execnz .LBB359_1103
.LBB359_1078:
	s_or_b32 exec_lo, exec_lo, s0
	s_and_saveexec_b32 s0, vcc_lo
	s_cbranch_execnz .LBB359_1104
.LBB359_1079:
	s_or_b32 exec_lo, exec_lo, s0
	s_and_saveexec_b32 s0, vcc_lo
	s_cbranch_execnz .LBB359_1105
.LBB359_1080:
	s_or_b32 exec_lo, exec_lo, s0
	s_and_saveexec_b32 s0, vcc_lo
	s_cbranch_execnz .LBB359_1106
.LBB359_1081:
	s_or_b32 exec_lo, exec_lo, s0
	s_and_saveexec_b32 s0, vcc_lo
	s_cbranch_execnz .LBB359_1107
.LBB359_1082:
	s_or_b32 exec_lo, exec_lo, s0
	s_and_saveexec_b32 s0, vcc_lo
	s_cbranch_execz .LBB359_1084
.LBB359_1083:
	v_lshl_add_u32 v13, v11, 2, v12
	ds_load_b32 v13, v13 offset:224
	s_waitcnt lgkmcnt(0)
	v_add_f32_e32 v0, v0, v13
.LBB359_1084:
	s_or_b32 exec_lo, exec_lo, s0
.LBB359_1085:
	s_delay_alu instid0(SALU_CYCLE_1)
	s_or_b32 exec_lo, exec_lo, s3
	v_and_b32_e32 v13, 0x3e3, v34
	s_mov_b32 s3, exec_lo
	s_barrier
	buffer_gl0_inv
	v_cmpx_eq_u32_e32 32, v13
	s_cbranch_execz .LBB359_1087
; %bb.1086:
	v_lshl_add_u32 v10, v11, 2, v10
	ds_store_2addr_b32 v10, v9, v8 offset1:8
	ds_store_2addr_b32 v10, v7, v6 offset0:16 offset1:24
	ds_store_2addr_b32 v10, v3, v2 offset0:32 offset1:40
	;; [unrolled: 1-line block ×3, first 2 shown]
.LBB359_1087:
	s_or_b32 exec_lo, exec_lo, s3
	s_delay_alu instid0(SALU_CYCLE_1)
	s_mov_b32 s3, exec_lo
	s_waitcnt lgkmcnt(0)
	s_barrier
	buffer_gl0_inv
	v_cmpx_gt_u32_e32 32, v34
	s_cbranch_execz .LBB359_1098
; %bb.1088:
	v_lshl_add_u32 v10, v11, 2, v12
	s_and_saveexec_b32 s0, vcc_lo
	s_cbranch_execnz .LBB359_1108
; %bb.1089:
	s_or_b32 exec_lo, exec_lo, s0
	s_and_saveexec_b32 s0, vcc_lo
	s_cbranch_execnz .LBB359_1109
.LBB359_1090:
	s_or_b32 exec_lo, exec_lo, s0
	s_and_saveexec_b32 s0, vcc_lo
	s_cbranch_execnz .LBB359_1110
.LBB359_1091:
	s_or_b32 exec_lo, exec_lo, s0
	s_and_saveexec_b32 s0, vcc_lo
	s_cbranch_execnz .LBB359_1111
.LBB359_1092:
	s_or_b32 exec_lo, exec_lo, s0
	s_and_saveexec_b32 s0, vcc_lo
	s_cbranch_execnz .LBB359_1112
.LBB359_1093:
	s_or_b32 exec_lo, exec_lo, s0
	s_and_saveexec_b32 s0, vcc_lo
	s_cbranch_execnz .LBB359_1113
.LBB359_1094:
	s_or_b32 exec_lo, exec_lo, s0
	s_and_saveexec_b32 s0, vcc_lo
	s_cbranch_execnz .LBB359_1114
.LBB359_1095:
	s_or_b32 exec_lo, exec_lo, s0
	s_and_saveexec_b32 s0, vcc_lo
	s_cbranch_execz .LBB359_1097
.LBB359_1096:
	ds_load_b32 v10, v10 offset:224
	s_waitcnt lgkmcnt(0)
	v_add_f32_e32 v0, v0, v10
.LBB359_1097:
	s_or_b32 exec_lo, exec_lo, s0
.LBB359_1098:
	s_delay_alu instid0(SALU_CYCLE_1)
	s_or_b32 exec_lo, exec_lo, s3
	v_cmp_eq_u32_e32 vcc_lo, 0, v13
	s_barrier
	buffer_gl0_inv
	s_and_b32 exec_lo, exec_lo, vcc_lo
	s_cbranch_execz .LBB359_1100
; %bb.1099:
	s_lshl_b32 s0, s2, 6
	s_mul_i32 s2, s4, s1
	s_lshl_b32 s4, s14, 6
	s_ashr_i32 s3, s2, 31
	s_ashr_i32 s5, s4, 31
	;; [unrolled: 1-line block ×3, first 2 shown]
	s_lshl_b64 s[2:3], s[2:3], 1
	s_lshl_b64 s[4:5], s[4:5], 1
	s_lshl_b64 s[0:1], s[0:1], 1
	s_add_u32 s2, s4, s2
	s_addc_u32 s3, s5, s3
	s_add_u32 s0, s2, s0
	s_addc_u32 s1, s3, s1
	v_lshrrev_b32_e32 v10, 1, v34
	v_add_co_u32 v4, vcc_lo, s0, v4
	v_add_co_ci_u32_e32 v5, vcc_lo, s1, v5, vcc_lo
	;;#ASMSTART
	v_cvt_f16_f32 v9, v9;

	;;#ASMEND
	s_delay_alu instid0(VALU_DEP_2) | instskip(NEXT) | instid1(VALU_DEP_2)
	v_add_co_u32 v4, vcc_lo, v4, v10
	v_add_co_ci_u32_e32 v5, vcc_lo, 0, v5, vcc_lo
	flat_store_b16 v[4:5], v9
	;;#ASMSTART
	v_cvt_f16_f32 v8, v8;

	;;#ASMEND
	flat_store_b16 v[4:5], v8 offset:16
	;;#ASMSTART
	v_cvt_f16_f32 v7, v7;

	;;#ASMEND
	flat_store_b16 v[4:5], v7 offset:32
	;; [unrolled: 5-line block ×7, first 2 shown]
.LBB359_1100:
	s_or_b32 exec_lo, exec_lo, s11
	s_clause 0xa
	scratch_load_b32 v58, off, s32
	scratch_load_b32 v57, off, s32 offset:4
	scratch_load_b32 v56, off, s32 offset:8
	;; [unrolled: 1-line block ×10, first 2 shown]
	s_waitcnt vmcnt(0) lgkmcnt(0)
	s_setpc_b64 s[30:31]
.LBB359_1101:
	v_lshl_add_u32 v13, v11, 2, v12
	ds_load_b32 v13, v13
	s_waitcnt lgkmcnt(0)
	v_add_f32_e32 v9, v9, v13
	s_or_b32 exec_lo, exec_lo, s0
	s_and_saveexec_b32 s0, vcc_lo
	s_cbranch_execz .LBB359_1077
.LBB359_1102:
	v_lshl_add_u32 v13, v11, 2, v12
	ds_load_b32 v13, v13 offset:32
	s_waitcnt lgkmcnt(0)
	v_add_f32_e32 v8, v8, v13
	s_or_b32 exec_lo, exec_lo, s0
	s_and_saveexec_b32 s0, vcc_lo
	s_cbranch_execz .LBB359_1078
.LBB359_1103:
	v_lshl_add_u32 v13, v11, 2, v12
	ds_load_b32 v13, v13 offset:64
	s_waitcnt lgkmcnt(0)
	v_add_f32_e32 v7, v7, v13
	s_or_b32 exec_lo, exec_lo, s0
	s_and_saveexec_b32 s0, vcc_lo
	s_cbranch_execz .LBB359_1079
.LBB359_1104:
	v_lshl_add_u32 v13, v11, 2, v12
	ds_load_b32 v13, v13 offset:96
	s_waitcnt lgkmcnt(0)
	v_add_f32_e32 v6, v6, v13
	s_or_b32 exec_lo, exec_lo, s0
	s_and_saveexec_b32 s0, vcc_lo
	s_cbranch_execz .LBB359_1080
.LBB359_1105:
	v_lshl_add_u32 v13, v11, 2, v12
	ds_load_b32 v13, v13 offset:128
	s_waitcnt lgkmcnt(0)
	v_add_f32_e32 v3, v3, v13
	s_or_b32 exec_lo, exec_lo, s0
	s_and_saveexec_b32 s0, vcc_lo
	s_cbranch_execz .LBB359_1081
.LBB359_1106:
	v_lshl_add_u32 v13, v11, 2, v12
	ds_load_b32 v13, v13 offset:160
	s_waitcnt lgkmcnt(0)
	v_add_f32_e32 v2, v2, v13
	s_or_b32 exec_lo, exec_lo, s0
	s_and_saveexec_b32 s0, vcc_lo
	s_cbranch_execz .LBB359_1082
.LBB359_1107:
	v_lshl_add_u32 v13, v11, 2, v12
	ds_load_b32 v13, v13 offset:192
	s_waitcnt lgkmcnt(0)
	v_add_f32_e32 v1, v1, v13
	s_or_b32 exec_lo, exec_lo, s0
	s_and_saveexec_b32 s0, vcc_lo
	s_cbranch_execnz .LBB359_1083
	s_branch .LBB359_1084
.LBB359_1108:
	ds_load_b32 v11, v10
	s_waitcnt lgkmcnt(0)
	v_add_f32_e32 v9, v9, v11
	s_or_b32 exec_lo, exec_lo, s0
	s_and_saveexec_b32 s0, vcc_lo
	s_cbranch_execz .LBB359_1090
.LBB359_1109:
	ds_load_b32 v11, v10 offset:32
	s_waitcnt lgkmcnt(0)
	v_add_f32_e32 v8, v8, v11
	s_or_b32 exec_lo, exec_lo, s0
	s_and_saveexec_b32 s0, vcc_lo
	s_cbranch_execz .LBB359_1091
.LBB359_1110:
	ds_load_b32 v11, v10 offset:64
	s_waitcnt lgkmcnt(0)
	v_add_f32_e32 v7, v7, v11
	s_or_b32 exec_lo, exec_lo, s0
	s_and_saveexec_b32 s0, vcc_lo
	s_cbranch_execz .LBB359_1092
.LBB359_1111:
	ds_load_b32 v11, v10 offset:96
	s_waitcnt lgkmcnt(0)
	v_add_f32_e32 v6, v6, v11
	s_or_b32 exec_lo, exec_lo, s0
	s_and_saveexec_b32 s0, vcc_lo
	s_cbranch_execz .LBB359_1093
.LBB359_1112:
	ds_load_b32 v11, v10 offset:128
	s_waitcnt lgkmcnt(0)
	v_add_f32_e32 v3, v3, v11
	s_or_b32 exec_lo, exec_lo, s0
	s_and_saveexec_b32 s0, vcc_lo
	s_cbranch_execz .LBB359_1094
.LBB359_1113:
	ds_load_b32 v11, v10 offset:160
	s_waitcnt lgkmcnt(0)
	v_add_f32_e32 v2, v2, v11
	s_or_b32 exec_lo, exec_lo, s0
	s_and_saveexec_b32 s0, vcc_lo
	s_cbranch_execz .LBB359_1095
.LBB359_1114:
	ds_load_b32 v11, v10 offset:192
	s_waitcnt lgkmcnt(0)
	v_add_f32_e32 v1, v1, v11
	s_or_b32 exec_lo, exec_lo, s0
	s_and_saveexec_b32 s0, vcc_lo
	s_cbranch_execnz .LBB359_1096
	s_branch .LBB359_1097
.Lfunc_end359:
	.size	_ZN4vllm22paged_attention_kernelIthLi64ELi32ELi128ELNS_18Fp8KVCacheDataTypeE1ELb0ELi512EEEvPfS2_PT_PKS3_PKT0_S9_ifPKiSB_iPKfiiiSD_SD_iiiii, .Lfunc_end359-_ZN4vllm22paged_attention_kernelIthLi64ELi32ELi128ELNS_18Fp8KVCacheDataTypeE1ELb0ELi512EEEvPfS2_PT_PKS3_PKT0_S9_ifPKiSB_iPKfiiiSD_SD_iiiii
                                        ; -- End function
	.section	.AMDGPU.csdata,"",@progbits
; Function info:
; codeLenInByte = 41988
; NumSgprs: 35
; NumVgprs: 184
; ScratchSize: 48
; MemoryBound: 0
	.section	.text._ZN4vllm25paged_attention_v2_kernelIthLi64ELi32ELi128ELNS_18Fp8KVCacheDataTypeE1ELb0ELi512EEEvPfS2_PT_PKS3_PKT0_S9_ifPKiSB_iPKfiiiSD_SD_iiiii,"axG",@progbits,_ZN4vllm25paged_attention_v2_kernelIthLi64ELi32ELi128ELNS_18Fp8KVCacheDataTypeE1ELb0ELi512EEEvPfS2_PT_PKS3_PKT0_S9_ifPKiSB_iPKfiiiSD_SD_iiiii,comdat
	.protected	_ZN4vllm25paged_attention_v2_kernelIthLi64ELi32ELi128ELNS_18Fp8KVCacheDataTypeE1ELb0ELi512EEEvPfS2_PT_PKS3_PKT0_S9_ifPKiSB_iPKfiiiSD_SD_iiiii ; -- Begin function _ZN4vllm25paged_attention_v2_kernelIthLi64ELi32ELi128ELNS_18Fp8KVCacheDataTypeE1ELb0ELi512EEEvPfS2_PT_PKS3_PKT0_S9_ifPKiSB_iPKfiiiSD_SD_iiiii
	.globl	_ZN4vllm25paged_attention_v2_kernelIthLi64ELi32ELi128ELNS_18Fp8KVCacheDataTypeE1ELb0ELi512EEEvPfS2_PT_PKS3_PKT0_S9_ifPKiSB_iPKfiiiSD_SD_iiiii
	.p2align	8
	.type	_ZN4vllm25paged_attention_v2_kernelIthLi64ELi32ELi128ELNS_18Fp8KVCacheDataTypeE1ELb0ELi512EEEvPfS2_PT_PKS3_PKT0_S9_ifPKiSB_iPKfiiiSD_SD_iiiii,@function
_ZN4vllm25paged_attention_v2_kernelIthLi64ELi32ELi128ELNS_18Fp8KVCacheDataTypeE1ELb0ELi512EEEvPfS2_PT_PKS3_PKT0_S9_ifPKiSB_iPKfiiiSD_SD_iiiii: ; @_ZN4vllm25paged_attention_v2_kernelIthLi64ELi32ELi128ELNS_18Fp8KVCacheDataTypeE1ELb0ELi512EEEvPfS2_PT_PKS3_PKT0_S9_ifPKiSB_iPKfiiiSD_SD_iiiii
; %bb.0:
	s_clause 0x5
	s_load_b256 s[24:31], s[0:1], 0x0
	s_load_b256 s[16:23], s[0:1], 0x20
	s_load_b64 s[2:3], s[0:1], 0x40
	s_load_b64 s[4:5], s[0:1], 0x50
	s_load_b32 s6, s[0:1], 0x48
	s_load_b256 s[36:43], s[0:1], 0x58
	v_mov_b32_e32 v31, v0
	s_add_u32 s8, s0, 0x90
	s_mov_b32 s12, s13
	s_addc_u32 s9, s1, 0
	s_mov_b32 s13, s14
	s_mov_b32 s14, s15
	s_movk_i32 s15, 0x6b
	s_mov_b32 s32, 0
	s_getpc_b64 s[0:1]
	s_add_u32 s0, s0, _ZN4vllm22paged_attention_kernelIthLi64ELi32ELi128ELNS_18Fp8KVCacheDataTypeE1ELb0ELi512EEEvPfS2_PT_PKS3_PKT0_S9_ifPKiSB_iPKfiiiSD_SD_iiiii@rel32@lo+4
	s_addc_u32 s1, s1, _ZN4vllm22paged_attention_kernelIthLi64ELi32ELi128ELNS_18Fp8KVCacheDataTypeE1ELb0ELi512EEEvPfS2_PT_PKS3_PKT0_S9_ifPKiSB_iPKfiiiSD_SD_iiiii@rel32@hi+12
	s_waitcnt lgkmcnt(0)
	v_dual_mov_b32 v0, s24 :: v_dual_mov_b32 v1, s25
	v_dual_mov_b32 v2, s26 :: v_dual_mov_b32 v3, s27
	;; [unrolled: 1-line block ×14, first 2 shown]
	s_swappc_b64 s[30:31], s[0:1]
	s_endpgm
	.section	.rodata,"a",@progbits
	.p2align	6, 0x0
	.amdhsa_kernel _ZN4vllm25paged_attention_v2_kernelIthLi64ELi32ELi128ELNS_18Fp8KVCacheDataTypeE1ELb0ELi512EEEvPfS2_PT_PKS3_PKT0_S9_ifPKiSB_iPKfiiiSD_SD_iiiii
		.amdhsa_group_segment_fixed_size 160
		.amdhsa_private_segment_fixed_size 48
		.amdhsa_kernarg_size 400
		.amdhsa_user_sgpr_count 13
		.amdhsa_user_sgpr_dispatch_ptr 0
		.amdhsa_user_sgpr_queue_ptr 0
		.amdhsa_user_sgpr_kernarg_segment_ptr 1
		.amdhsa_user_sgpr_dispatch_id 0
		.amdhsa_user_sgpr_private_segment_size 0
		.amdhsa_wavefront_size32 1
		.amdhsa_uses_dynamic_stack 0
		.amdhsa_enable_private_segment 1
		.amdhsa_system_sgpr_workgroup_id_x 1
		.amdhsa_system_sgpr_workgroup_id_y 1
		.amdhsa_system_sgpr_workgroup_id_z 1
		.amdhsa_system_sgpr_workgroup_info 0
		.amdhsa_system_vgpr_workitem_id 0
		.amdhsa_next_free_vgpr 184
		.amdhsa_next_free_sgpr 44
		.amdhsa_reserve_vcc 1
		.amdhsa_float_round_mode_32 0
		.amdhsa_float_round_mode_16_64 0
		.amdhsa_float_denorm_mode_32 3
		.amdhsa_float_denorm_mode_16_64 3
		.amdhsa_dx10_clamp 1
		.amdhsa_ieee_mode 1
		.amdhsa_fp16_overflow 0
		.amdhsa_workgroup_processor_mode 1
		.amdhsa_memory_ordered 1
		.amdhsa_forward_progress 0
		.amdhsa_shared_vgpr_count 0
		.amdhsa_exception_fp_ieee_invalid_op 0
		.amdhsa_exception_fp_denorm_src 0
		.amdhsa_exception_fp_ieee_div_zero 0
		.amdhsa_exception_fp_ieee_overflow 0
		.amdhsa_exception_fp_ieee_underflow 0
		.amdhsa_exception_fp_ieee_inexact 0
		.amdhsa_exception_int_div_zero 0
	.end_amdhsa_kernel
	.section	.text._ZN4vllm25paged_attention_v2_kernelIthLi64ELi32ELi128ELNS_18Fp8KVCacheDataTypeE1ELb0ELi512EEEvPfS2_PT_PKS3_PKT0_S9_ifPKiSB_iPKfiiiSD_SD_iiiii,"axG",@progbits,_ZN4vllm25paged_attention_v2_kernelIthLi64ELi32ELi128ELNS_18Fp8KVCacheDataTypeE1ELb0ELi512EEEvPfS2_PT_PKS3_PKT0_S9_ifPKiSB_iPKfiiiSD_SD_iiiii,comdat
.Lfunc_end360:
	.size	_ZN4vllm25paged_attention_v2_kernelIthLi64ELi32ELi128ELNS_18Fp8KVCacheDataTypeE1ELb0ELi512EEEvPfS2_PT_PKS3_PKT0_S9_ifPKiSB_iPKfiiiSD_SD_iiiii, .Lfunc_end360-_ZN4vllm25paged_attention_v2_kernelIthLi64ELi32ELi128ELNS_18Fp8KVCacheDataTypeE1ELb0ELi512EEEvPfS2_PT_PKS3_PKT0_S9_ifPKiSB_iPKfiiiSD_SD_iiiii
                                        ; -- End function
	.section	.AMDGPU.csdata,"",@progbits
; Kernel info:
; codeLenInByte = 232
; NumSgprs: 46
; NumVgprs: 184
; ScratchSize: 48
; MemoryBound: 0
; FloatMode: 240
; IeeeMode: 1
; LDSByteSize: 160 bytes/workgroup (compile time only)
; SGPRBlocks: 5
; VGPRBlocks: 22
; NumSGPRsForWavesPerEU: 46
; NumVGPRsForWavesPerEU: 184
; Occupancy: 8
; WaveLimiterHint : 1
; COMPUTE_PGM_RSRC2:SCRATCH_EN: 1
; COMPUTE_PGM_RSRC2:USER_SGPR: 13
; COMPUTE_PGM_RSRC2:TRAP_HANDLER: 0
; COMPUTE_PGM_RSRC2:TGID_X_EN: 1
; COMPUTE_PGM_RSRC2:TGID_Y_EN: 1
; COMPUTE_PGM_RSRC2:TGID_Z_EN: 1
; COMPUTE_PGM_RSRC2:TIDIG_COMP_CNT: 0
	.text
	.p2align	2                               ; -- Begin function _ZN4vllm22paged_attention_kernelIthLi80ELi32ELi128ELNS_18Fp8KVCacheDataTypeE1ELb0ELi512EEEvPfS2_PT_PKS3_PKT0_S9_ifPKiSB_iPKfiiiSD_SD_iiiii
	.type	_ZN4vllm22paged_attention_kernelIthLi80ELi32ELi128ELNS_18Fp8KVCacheDataTypeE1ELb0ELi512EEEvPfS2_PT_PKS3_PKT0_S9_ifPKiSB_iPKfiiiSD_SD_iiiii,@function
_ZN4vllm22paged_attention_kernelIthLi80ELi32ELi128ELNS_18Fp8KVCacheDataTypeE1ELb0ELi512EEEvPfS2_PT_PKS3_PKT0_S9_ifPKiSB_iPKfiiiSD_SD_iiiii: ; @_ZN4vllm22paged_attention_kernelIthLi80ELi32ELi128ELNS_18Fp8KVCacheDataTypeE1ELb0ELi512EEEvPfS2_PT_PKS3_PKT0_S9_ifPKiSB_iPKfiiiSD_SD_iiiii
; %bb.0:
	s_waitcnt vmcnt(0) expcnt(0) lgkmcnt(0)
	s_clause 0x1a
	scratch_store_b32 off, v40, s32 offset:104
	; meta instruction
	scratch_store_b32 off, v41, s32 offset:100
	; meta instruction
	;; [unrolled: 2-line block ×26, first 2 shown]
	scratch_store_b32 off, v90, s32
	s_mov_b32 s10, s13
	s_ashr_i32 s11, s13, 31
	s_lshl_b32 s16, s14, 9
	s_lshl_b64 s[0:1], s[10:11], 2
	s_mov_b32 s11, exec_lo
	v_add_co_u32 v16, vcc_lo, v16, s0
	v_add_co_ci_u32_e32 v17, vcc_lo, s1, v17, vcc_lo
	flat_load_b32 v35, v[16:17]
	s_waitcnt vmcnt(0) lgkmcnt(0)
	v_cmpx_lt_i32_e64 s16, v35
	s_cbranch_execz .LBB361_1364
; %bb.1:
	v_sub_nc_u32_e32 v16, 0, v12
	s_clause 0x1
	s_load_b32 s0, s[8:9], 0x10
	s_load_b32 s1, s[8:9], 0x0
	s_mov_b32 s6, s15
	v_mov_b32_e32 v50, 0
	v_max_i32_e32 v16, v12, v16
	s_delay_alu instid0(VALU_DEP_1) | instskip(SKIP_1) | instid1(VALU_DEP_2)
	v_cvt_f32_u32_e32 v17, v16
	v_sub_nc_u32_e32 v28, 0, v16
	v_rcp_iflag_f32_e32 v17, v17
	s_waitcnt lgkmcnt(0)
	s_lshr_b32 s0, s0, 16
	s_delay_alu instid0(SALU_CYCLE_1) | instskip(SKIP_3) | instid1(SALU_CYCLE_1)
	s_cmp_lg_u32 s0, 0
	s_waitcnt_depctr 0xfff
	v_mul_f32_e32 v17, 0x4f7ffffe, v17
	s_cselect_b32 s0, -1, 0
	s_cmp_lg_u32 s0, 0
	s_delay_alu instid0(VALU_DEP_1)
	v_cvt_u32_f32_e32 v17, v17
	s_addc_u32 s15, s1, 0
	s_mov_b32 s1, exec_lo
	s_abs_i32 s0, s15
	v_xor_b32_e32 v12, s15, v12
	v_mul_lo_u32 v28, v28, v17
	s_delay_alu instid0(VALU_DEP_2) | instskip(NEXT) | instid1(VALU_DEP_2)
	v_ashrrev_i32_e32 v12, 31, v12
	v_mul_hi_u32 v28, v17, v28
	s_delay_alu instid0(VALU_DEP_1) | instskip(NEXT) | instid1(VALU_DEP_1)
	v_add_nc_u32_e32 v17, v17, v28
	v_mul_hi_u32 v17, s0, v17
	s_delay_alu instid0(VALU_DEP_1) | instskip(SKIP_1) | instid1(VALU_DEP_2)
	v_mul_lo_u32 v28, v17, v16
	v_add_nc_u32_e32 v29, 1, v17
	v_sub_nc_u32_e32 v28, s0, v28
	s_abs_i32 s0, s12
	s_delay_alu instid0(VALU_DEP_1) | instskip(SKIP_1) | instid1(VALU_DEP_2)
	v_sub_nc_u32_e32 v30, v28, v16
	v_cmp_ge_u32_e32 vcc_lo, v28, v16
	v_dual_cndmask_b32 v17, v17, v29 :: v_dual_cndmask_b32 v28, v28, v30
	s_delay_alu instid0(VALU_DEP_1) | instskip(NEXT) | instid1(VALU_DEP_2)
	v_add_nc_u32_e32 v29, 1, v17
	v_cmp_ge_u32_e32 vcc_lo, v28, v16
	s_delay_alu instid0(VALU_DEP_2) | instskip(NEXT) | instid1(VALU_DEP_1)
	v_cndmask_b32_e32 v16, v17, v29, vcc_lo
	v_xor_b32_e32 v16, v16, v12
	s_delay_alu instid0(VALU_DEP_1) | instskip(NEXT) | instid1(VALU_DEP_1)
	v_sub_nc_u32_e32 v28, v16, v12
	v_sub_nc_u32_e32 v12, 0, v28
	s_delay_alu instid0(VALU_DEP_1) | instskip(NEXT) | instid1(VALU_DEP_1)
	v_max_i32_e32 v12, v28, v12
	v_cvt_f32_u32_e32 v16, v12
	v_sub_nc_u32_e32 v17, 0, v12
	s_delay_alu instid0(VALU_DEP_2) | instskip(SKIP_2) | instid1(VALU_DEP_1)
	v_rcp_iflag_f32_e32 v16, v16
	s_waitcnt_depctr 0xfff
	v_mul_f32_e32 v16, 0x4f7ffffe, v16
	v_cvt_u32_f32_e32 v16, v16
	s_delay_alu instid0(VALU_DEP_1) | instskip(NEXT) | instid1(VALU_DEP_1)
	v_mul_lo_u32 v17, v17, v16
	v_mul_hi_u32 v17, v16, v17
	s_delay_alu instid0(VALU_DEP_1) | instskip(NEXT) | instid1(VALU_DEP_1)
	v_add_nc_u32_e32 v29, v16, v17
	v_mad_u64_u32 v[16:17], null, s0, v29, 0
	v_cmpx_ne_u64_e32 0, v[19:20]
	s_cbranch_execz .LBB361_3
; %bb.2:
	s_ashr_i32 s13, s12, 31
	s_delay_alu instid0(SALU_CYCLE_1) | instskip(NEXT) | instid1(SALU_CYCLE_1)
	s_lshl_b64 s[2:3], s[12:13], 2
	v_add_co_u32 v19, vcc_lo, v19, s2
	v_add_co_ci_u32_e32 v20, vcc_lo, s3, v20, vcc_lo
	flat_load_b32 v50, v[19:20]
.LBB361_3:
	s_or_b32 exec_lo, exec_lo, s1
	v_and_b32_e32 v34, 0x3ff, v31
	v_ashrrev_i32_e32 v16, 31, v28
	s_ashr_i32 s1, s12, 31
	s_mul_i32 s4, s12, 0x50
	s_mov_b32 s2, exec_lo
	v_cmpx_gt_u32_e32 10, v34
	s_cbranch_execz .LBB361_5
; %bb.4:
	v_mul_lo_u32 v19, s10, v21
	s_ashr_i32 s5, s4, 31
	v_lshlrev_b32_e32 v21, 4, v34
	s_lshl_b64 s[18:19], s[4:5], 1
	s_delay_alu instid0(VALU_DEP_2) | instskip(NEXT) | instid1(VALU_DEP_1)
	v_ashrrev_i32_e32 v20, 31, v19
	v_lshlrev_b64 v[19:20], 1, v[19:20]
	s_delay_alu instid0(VALU_DEP_1) | instskip(NEXT) | instid1(VALU_DEP_2)
	v_add_co_u32 v6, vcc_lo, v6, v19
	v_add_co_ci_u32_e32 v7, vcc_lo, v7, v20, vcc_lo
	s_delay_alu instid0(VALU_DEP_2) | instskip(NEXT) | instid1(VALU_DEP_2)
	v_add_co_u32 v6, vcc_lo, v6, s18
	v_add_co_ci_u32_e32 v7, vcc_lo, s19, v7, vcc_lo
	s_delay_alu instid0(VALU_DEP_2) | instskip(NEXT) | instid1(VALU_DEP_2)
	v_add_co_u32 v6, vcc_lo, v6, v21
	v_add_co_ci_u32_e32 v7, vcc_lo, 0, v7, vcc_lo
	flat_load_b128 v[28:31], v[6:7]
	s_waitcnt vmcnt(0) lgkmcnt(0)
	ds_store_b128 v21, v[28:31]
.LBB361_5:
	s_or_b32 exec_lo, exec_lo, s2
	v_mul_lo_u32 v6, v17, v12
	s_clause 0x1
	s_load_b32 s13, s[8:9], 0x14
	s_load_b32 s5, s[8:9], 0x8
	s_lshl_b32 s8, s14, 4
	v_lshrrev_b32_e32 v36, 5, v34
	v_xor_b32_e32 v21, s1, v16
	v_mul_lo_u32 v16, s10, v18
	v_mov_b32_e32 v51, 0xff7fffff
	s_mov_b32 s9, exec_lo
	v_lshlrev_b32_e32 v38, 5, v36
	v_sub_nc_u32_e32 v6, s0, v6
	s_add_i32 s0, s8, 16
	s_waitcnt vmcnt(0) lgkmcnt(0)
	s_waitcnt_vscnt null, 0x0
	s_barrier
	buffer_gl0_inv
	v_sub_nc_u32_e32 v19, v6, v12
	v_cmp_ge_u32_e32 vcc_lo, v6, v12
	v_add_nc_u32_e32 v7, 1, v17
	s_delay_alu instid0(VALU_DEP_3) | instskip(NEXT) | instid1(VALU_DEP_2)
	v_dual_cndmask_b32 v6, v6, v19 :: v_dual_and_b32 v37, 31, v34
	v_cndmask_b32_e32 v7, v17, v7, vcc_lo
	v_add_nc_u32_e32 v17, 31, v35
	s_delay_alu instid0(VALU_DEP_3) | instskip(NEXT) | instid1(VALU_DEP_4)
	v_lshlrev_b32_e32 v49, 2, v37
	v_cmp_ge_u32_e32 vcc_lo, v6, v12
	s_delay_alu instid0(VALU_DEP_4) | instskip(NEXT) | instid1(VALU_DEP_4)
	v_add_nc_u32_e32 v19, 1, v7
	v_ashrrev_i32_e32 v20, 31, v17
	s_delay_alu instid0(VALU_DEP_2) | instskip(NEXT) | instid1(VALU_DEP_2)
	v_cndmask_b32_e32 v6, v7, v19, vcc_lo
	v_lshrrev_b32_e32 v7, 27, v20
	s_delay_alu instid0(VALU_DEP_2) | instskip(NEXT) | instid1(VALU_DEP_2)
	v_xor_b32_e32 v6, v6, v21
	v_add_nc_u32_e32 v7, v17, v7
	v_ashrrev_i32_e32 v17, 31, v16
	s_delay_alu instid0(VALU_DEP_3) | instskip(NEXT) | instid1(VALU_DEP_3)
	v_sub_nc_u32_e32 v18, v6, v21
	v_ashrrev_i32_e32 v12, 5, v7
	v_add_nc_u32_e32 v6, s8, v36
	s_delay_alu instid0(VALU_DEP_4) | instskip(NEXT) | instid1(VALU_DEP_4)
	v_lshlrev_b64 v[16:17], 2, v[16:17]
	v_mul_lo_u32 v39, v18, v23
	s_delay_alu instid0(VALU_DEP_4) | instskip(NEXT) | instid1(VALU_DEP_4)
	v_min_i32_e32 v23, s0, v12
	v_ashrrev_i32_e32 v7, 31, v6
	s_delay_alu instid0(VALU_DEP_2) | instskip(NEXT) | instid1(VALU_DEP_4)
	v_cmp_ge_i32_e64 s0, v6, v23
	v_ashrrev_i32_e32 v48, 31, v39
	v_cmpx_lt_i32_e64 v6, v23
	s_cbranch_execz .LBB361_649
; %bb.6:
	s_getpc_b64 s[2:3]
	s_add_u32 s2, s2, llvm.amdgcn.dynlds.offset.table@rel32@lo+4
	s_addc_u32 s3, s3, llvm.amdgcn.dynlds.offset.table@rel32@hi+12
	s_ashr_i32 s7, s6, 31
	v_lshlrev_b64 v[20:21], 2, v[6:7]
	s_lshl_b64 s[18:19], s[6:7], 2
	v_lshlrev_b32_e32 v18, 4, v37
	s_add_u32 s2, s18, s2
	s_addc_u32 s3, s19, s3
	v_add_co_u32 v8, vcc_lo, v8, v39
	s_load_b32 s2, s[2:3], 0x0
	v_add_co_ci_u32_e32 v19, vcc_lo, v9, v48, vcc_lo
	v_mov_b32_e32 v9, 0
	s_delay_alu instid0(VALU_DEP_3) | instskip(SKIP_1) | instid1(VALU_DEP_1)
	v_add_co_u32 v18, vcc_lo, v8, v18
	v_add_co_u32 v8, s1, v16, v20
	v_add_co_ci_u32_e64 v21, s1, v17, v21, s1
	v_lshl_or_b32 v28, v36, 7, v49
	s_delay_alu instid0(VALU_DEP_3)
	v_add_co_u32 v20, s1, v14, v8
	v_add_co_ci_u32_e32 v19, vcc_lo, 0, v19, vcc_lo
	v_cmp_neq_f32_e32 vcc_lo, 0, v50
	v_add_co_ci_u32_e64 v21, s1, v15, v21, s1
	v_sub_nc_u32_e32 v52, 1, v35
	v_add3_u32 v53, s16, v38, v37
	s_waitcnt lgkmcnt(0)
	v_dual_mov_b32 v51, 0xff7fffff :: v_dual_add_nc_u32 v54, s2, v28
	v_mov_b32_e32 v55, v6
	s_mov_b32 s2, -1
	s_mov_b32 s3, 0xffffff
	s_mov_b32 s7, 0
	s_branch .LBB361_11
.LBB361_7:                              ;   in Loop: Header=BB361_11 Depth=1
	s_or_b32 exec_lo, exec_lo, s20
	v_lshlrev_b32_e32 v8, 8, v30
	v_lshl_add_u32 v29, v31, 10, 0x2000
	s_delay_alu instid0(VALU_DEP_1) | instskip(NEXT) | instid1(VALU_DEP_1)
	v_and_or_b32 v8, 0x8000, v8, v29
	v_lshl_or_b32 v8, v28, 7, v8
	s_delay_alu instid0(VALU_DEP_1)
	v_cvt_f32_f16_e32 v28, v8
.LBB361_8:                              ;   in Loop: Header=BB361_11 Depth=1
	s_or_b32 exec_lo, exec_lo, s19
.LBB361_9:                              ;   in Loop: Header=BB361_11 Depth=1
	s_delay_alu instid0(SALU_CYCLE_1)
	s_or_b32 exec_lo, exec_lo, s18
.LBB361_10:                             ;   in Loop: Header=BB361_11 Depth=1
	s_delay_alu instid0(SALU_CYCLE_1)
	s_or_b32 exec_lo, exec_lo, s17
	v_fma_mixlo_f16 v43, v64, v181, 0
	v_fma_mixlo_f16 v181, v64, v56, 0
	;; [unrolled: 1-line block ×34, first 2 shown]
	ds_load_b128 v[67:70], v9
	v_fma_mixlo_f16 v74, v64, v65, 0
	v_fma_mixlo_f16 v44, v64, v182, 0
	;; [unrolled: 1-line block ×46, first 2 shown]
	s_waitcnt lgkmcnt(0)
	v_lshrrev_b32_e32 v64, 16, v67
	v_and_b32_e32 v67, 0xffff, v67
	;;#ASMSTART
	v_cvt_f32_f16 v67, v67;
	;;#ASMEND
	;;#ASMSTART
	v_cvt_f32_f16 v72, v64;
	;;#ASMEND
	v_and_b32_e32 v64, 0xffff, v74
	;;#ASMSTART
	v_cvt_f32_f16 v73, v64;
	;;#ASMEND
	v_and_b32_e32 v64, 0xffff, v96
	;;#ASMSTART
	v_cvt_f32_f16 v96, v64;
	;;#ASMEND
	v_lshrrev_b32_e32 v64, 16, v68
	v_and_b32_e32 v68, 0xffff, v68
	;;#ASMSTART
	v_cvt_f32_f16 v68, v68;
	;;#ASMEND
	;;#ASMSTART
	v_cvt_f32_f16 v74, v64;
	;;#ASMEND
	v_and_b32_e32 v64, 0xffff, v87
	;;#ASMSTART
	v_cvt_f32_f16 v87, v64;
	;;#ASMEND
	v_and_b32_e32 v64, 0xffff, v86
	;;#ASMSTART
	v_cvt_f32_f16 v86, v64;
	;;#ASMEND
	;; [unrolled: 16-line block ×4, first 2 shown]
	ds_load_b128 v[60:63], v9 offset:16
	v_and_b32_e32 v71, 0xffff, v103
	v_and_b32_e32 v80, 0xffff, v85
	;; [unrolled: 1-line block ×13, first 2 shown]
	v_cmp_lt_i32_e64 s1, v53, v35
	v_add_nc_u32_e32 v55, 4, v55
	s_waitcnt lgkmcnt(0)
	v_lshrrev_b32_e32 v64, 16, v60
	v_and_b32_e32 v69, 0xffff, v60
	;;#ASMSTART
	v_cvt_f32_f16 v69, v69;
	;;#ASMEND
	;;#ASMSTART
	v_cvt_f32_f16 v70, v64;
	;;#ASMEND
	v_and_b32_e32 v64, 0xffff, v112
	;;#ASMSTART
	v_cvt_f32_f16 v64, v64;
	;;#ASMEND
	;;#ASMSTART
	v_cvt_f32_f16 v71, v71;
	;;#ASMEND
	v_add_nc_u32_e32 v8, v52, v53
	s_delay_alu instid0(VALU_DEP_2) | instskip(SKIP_2) | instid1(VALU_DEP_3)
	v_mul_f32_e32 v64, v69, v64
	v_lshrrev_b32_e32 v69, 16, v61
	v_add_nc_u32_e32 v53, 0x80, v53
	v_dual_fmac_f32 v64, v67, v73 :: v_dual_mul_f32 v67, v70, v71
	v_cvt_f32_i32_e32 v8, v8
	v_and_b32_e32 v70, 0xffff, v61
	;;#ASMSTART
	v_cvt_f32_f16 v70, v70;
	;;#ASMEND
	;;#ASMSTART
	v_cvt_f32_f16 v71, v69;
	;;#ASMEND
	s_delay_alu instid0(VALU_DEP_2) | instskip(SKIP_1) | instid1(VALU_DEP_1)
	v_dual_mul_f32 v8, v50, v8 :: v_dual_and_b32 v69, 0xffff, v102
	;;#ASMSTART
	v_cvt_f32_f16 v69, v69;
	;;#ASMEND
	v_mul_f32_e32 v69, v70, v69
	;;#ASMSTART
	v_cvt_f32_f16 v80, v80;
	;;#ASMEND
	v_lshrrev_b32_e32 v70, 16, v62
	v_cndmask_b32_e32 v8, 0, v8, vcc_lo
	v_fmac_f32_e32 v67, v72, v96
	v_dual_fmac_f32 v69, v68, v87 :: v_dual_mul_f32 v68, v71, v80
	v_and_b32_e32 v71, 0xffff, v62
	;;#ASMSTART
	v_cvt_f32_f16 v71, v71;
	;;#ASMEND
	;;#ASMSTART
	v_cvt_f32_f16 v70, v70;
	;;#ASMEND
	v_and_b32_e32 v80, 0xffff, v84
	;;#ASMSTART
	v_cvt_f32_f16 v80, v80;
	;;#ASMEND
	;;#ASMSTART
	v_cvt_f32_f16 v83, v83;
	;;#ASMEND
	s_delay_alu instid0(VALU_DEP_1) | instskip(SKIP_3) | instid1(VALU_DEP_4)
	v_dual_mul_f32 v70, v70, v83 :: v_dual_mul_f32 v71, v71, v80
	v_lshrrev_b32_e32 v80, 16, v63
	v_fmac_f32_e32 v68, v74, v86
	v_and_b32_e32 v96, 0xffff, v119
	v_fmac_f32_e32 v70, v78, v79
	v_and_b32_e32 v83, 0xffff, v63
	;;#ASMSTART
	v_cvt_f32_f16 v83, v83;
	;;#ASMEND
	;;#ASMSTART
	v_cvt_f32_f16 v80, v80;
	;;#ASMEND
	;; [unrolled: 3-line block ×4, first 2 shown]
	v_dual_mul_f32 v81, v83, v82 :: v_dual_mul_f32 v80, v80, v84
	ds_load_b128 v[82:85], v9 offset:32
	v_fmac_f32_e32 v71, v77, v75
	v_dual_fmac_f32 v81, v88, v76 :: v_dual_fmac_f32 v80, v89, v90
	v_and_b32_e32 v87, 0xffff, v128
	s_waitcnt lgkmcnt(0)
	v_lshrrev_b32_e32 v86, 16, v82
	v_and_b32_e32 v82, 0xffff, v82
	;;#ASMSTART
	v_cvt_f32_f16 v82, v82;
	;;#ASMEND
	;;#ASMSTART
	v_cvt_f32_f16 v86, v86;
	;;#ASMEND
	;; [unrolled: 3-line block ×3, first 2 shown]
	s_delay_alu instid0(VALU_DEP_1)
	v_dual_fmac_f32 v64, v82, v87 :: v_dual_and_b32 v87, 0xffff, v101
	v_lshrrev_b32_e32 v82, 16, v83
	v_and_b32_e32 v83, 0xffff, v83
	;;#ASMSTART
	v_cvt_f32_f16 v96, v96;
	;;#ASMEND
	v_fmac_f32_e32 v67, v86, v96
	;;#ASMSTART
	v_cvt_f32_f16 v83, v83;
	;;#ASMEND
	;;#ASMSTART
	v_cvt_f32_f16 v82, v82;
	;;#ASMEND
	v_and_b32_e32 v86, 0xffff, v118
	;;#ASMSTART
	v_cvt_f32_f16 v86, v86;
	;;#ASMEND
	;;#ASMSTART
	v_cvt_f32_f16 v87, v87;
	;;#ASMEND
	s_delay_alu instid0(VALU_DEP_1)
	v_dual_fmac_f32 v69, v83, v86 :: v_dual_fmac_f32 v68, v82, v87
	v_and_b32_e32 v83, 0xffff, v84
	v_lshrrev_b32_e32 v82, 16, v84
	v_and_b32_e32 v84, 0xffff, v100
	;;#ASMSTART
	v_cvt_f32_f16 v83, v83;
	;;#ASMEND
	;;#ASMSTART
	v_cvt_f32_f16 v82, v82;
	;;#ASMEND
	;; [unrolled: 3-line block ×3, first 2 shown]
	v_and_b32_e32 v86, 0xffff, v99
	;;#ASMSTART
	v_cvt_f32_f16 v86, v86;
	;;#ASMEND
	s_delay_alu instid0(VALU_DEP_1)
	v_dual_fmac_f32 v71, v83, v84 :: v_dual_fmac_f32 v70, v82, v86
	v_lshrrev_b32_e32 v82, 16, v85
	v_and_b32_e32 v83, 0xffff, v85
	v_and_b32_e32 v84, 0xffff, v98
	;; [unrolled: 1-line block ×3, first 2 shown]
	;;#ASMSTART
	v_cvt_f32_f16 v83, v83;
	;;#ASMEND
	;;#ASMSTART
	v_cvt_f32_f16 v82, v82;
	;;#ASMEND
	;; [unrolled: 3-line block ×4, first 2 shown]
	v_dual_fmac_f32 v81, v83, v84 :: v_dual_fmac_f32 v80, v82, v85
	ds_load_b128 v[82:85], v9 offset:48
	v_and_b32_e32 v87, 0xffff, v144
	v_and_b32_e32 v96, 0xffff, v135
	s_waitcnt lgkmcnt(0)
	v_lshrrev_b32_e32 v86, 16, v82
	v_and_b32_e32 v82, 0xffff, v82
	;;#ASMSTART
	v_cvt_f32_f16 v82, v82;
	;;#ASMEND
	;;#ASMSTART
	v_cvt_f32_f16 v86, v86;
	;;#ASMEND
	;; [unrolled: 3-line block ×3, first 2 shown]
	s_delay_alu instid0(VALU_DEP_1)
	v_fmac_f32_e32 v64, v82, v87
	v_lshrrev_b32_e32 v82, 16, v83
	v_and_b32_e32 v83, 0xffff, v83
	;;#ASMSTART
	v_cvt_f32_f16 v96, v96;
	;;#ASMEND
	v_fmac_f32_e32 v67, v86, v96
	;;#ASMSTART
	v_cvt_f32_f16 v83, v83;
	;;#ASMEND
	;;#ASMSTART
	v_cvt_f32_f16 v82, v82;
	;;#ASMEND
	v_and_b32_e32 v86, 0xffff, v134
	v_and_b32_e32 v87, 0xffff, v117
	;;#ASMSTART
	v_cvt_f32_f16 v86, v86;
	;;#ASMEND
	;;#ASMSTART
	v_cvt_f32_f16 v87, v87;
	;;#ASMEND
	s_delay_alu instid0(VALU_DEP_1)
	v_dual_fmac_f32 v69, v83, v86 :: v_dual_fmac_f32 v68, v82, v87
	v_lshrrev_b32_e32 v82, 16, v84
	v_and_b32_e32 v83, 0xffff, v84
	v_and_b32_e32 v84, 0xffff, v116
	;;#ASMSTART
	v_cvt_f32_f16 v83, v83;
	;;#ASMEND
	;;#ASMSTART
	v_cvt_f32_f16 v82, v82;
	;;#ASMEND
	;; [unrolled: 3-line block ×3, first 2 shown]
	v_and_b32_e32 v86, 0xffff, v115
	;;#ASMSTART
	v_cvt_f32_f16 v86, v86;
	;;#ASMEND
	s_delay_alu instid0(VALU_DEP_1)
	v_dual_fmac_f32 v71, v83, v84 :: v_dual_fmac_f32 v70, v82, v86
	v_lshrrev_b32_e32 v82, 16, v85
	v_and_b32_e32 v83, 0xffff, v85
	v_and_b32_e32 v84, 0xffff, v114
	;; [unrolled: 1-line block ×3, first 2 shown]
	;;#ASMSTART
	v_cvt_f32_f16 v83, v83;
	;;#ASMEND
	;;#ASMSTART
	v_cvt_f32_f16 v82, v82;
	;;#ASMEND
	;; [unrolled: 3-line block ×4, first 2 shown]
	v_dual_fmac_f32 v81, v83, v84 :: v_dual_fmac_f32 v80, v82, v85
	ds_load_b128 v[82:85], v9 offset:64
	v_and_b32_e32 v87, 0xffff, v160
	v_and_b32_e32 v96, 0xffff, v151
	s_waitcnt lgkmcnt(0)
	v_lshrrev_b32_e32 v86, 16, v82
	v_and_b32_e32 v82, 0xffff, v82
	;;#ASMSTART
	v_cvt_f32_f16 v82, v82;
	;;#ASMEND
	;;#ASMSTART
	v_cvt_f32_f16 v86, v86;
	;;#ASMEND
	;;#ASMSTART
	v_cvt_f32_f16 v87, v87;
	;;#ASMEND
	s_delay_alu instid0(VALU_DEP_1)
	v_fmac_f32_e32 v64, v82, v87
	v_lshrrev_b32_e32 v82, 16, v83
	v_and_b32_e32 v83, 0xffff, v83
	;;#ASMSTART
	v_cvt_f32_f16 v96, v96;
	;;#ASMEND
	v_fmac_f32_e32 v67, v86, v96
	;;#ASMSTART
	v_cvt_f32_f16 v83, v83;
	;;#ASMEND
	;;#ASMSTART
	v_cvt_f32_f16 v82, v82;
	;;#ASMEND
	v_and_b32_e32 v86, 0xffff, v150
	v_and_b32_e32 v87, 0xffff, v133
	;;#ASMSTART
	v_cvt_f32_f16 v86, v86;
	;;#ASMEND
	;;#ASMSTART
	v_cvt_f32_f16 v87, v87;
	;;#ASMEND
	s_delay_alu instid0(VALU_DEP_1)
	v_dual_fmac_f32 v69, v83, v86 :: v_dual_fmac_f32 v68, v82, v87
	v_lshrrev_b32_e32 v82, 16, v84
	v_and_b32_e32 v83, 0xffff, v84
	v_and_b32_e32 v84, 0xffff, v132
	;;#ASMSTART
	v_cvt_f32_f16 v83, v83;
	;;#ASMEND
	;;#ASMSTART
	v_cvt_f32_f16 v82, v82;
	;;#ASMEND
	;; [unrolled: 3-line block ×3, first 2 shown]
	v_and_b32_e32 v86, 0xffff, v131
	;;#ASMSTART
	v_cvt_f32_f16 v86, v86;
	;;#ASMEND
	s_delay_alu instid0(VALU_DEP_1)
	v_dual_fmac_f32 v71, v83, v84 :: v_dual_fmac_f32 v70, v82, v86
	v_lshrrev_b32_e32 v82, 16, v85
	v_and_b32_e32 v83, 0xffff, v85
	v_and_b32_e32 v84, 0xffff, v130
	;; [unrolled: 1-line block ×3, first 2 shown]
	;;#ASMSTART
	v_cvt_f32_f16 v83, v83;
	;;#ASMEND
	;;#ASMSTART
	v_cvt_f32_f16 v82, v82;
	;;#ASMEND
	;; [unrolled: 3-line block ×4, first 2 shown]
	v_dual_fmac_f32 v81, v83, v84 :: v_dual_fmac_f32 v80, v82, v85
	ds_load_b128 v[82:85], v9 offset:80
	v_and_b32_e32 v87, 0xffff, v176
	v_and_b32_e32 v96, 0xffff, v167
	s_waitcnt lgkmcnt(0)
	v_lshrrev_b32_e32 v86, 16, v82
	v_and_b32_e32 v82, 0xffff, v82
	;;#ASMSTART
	v_cvt_f32_f16 v82, v82;
	;;#ASMEND
	;;#ASMSTART
	v_cvt_f32_f16 v86, v86;
	;;#ASMEND
	;;#ASMSTART
	v_cvt_f32_f16 v87, v87;
	;;#ASMEND
	s_delay_alu instid0(VALU_DEP_1)
	v_fmac_f32_e32 v64, v82, v87
	v_lshrrev_b32_e32 v82, 16, v83
	v_and_b32_e32 v83, 0xffff, v83
	;;#ASMSTART
	v_cvt_f32_f16 v96, v96;
	;;#ASMEND
	v_fmac_f32_e32 v67, v86, v96
	;;#ASMSTART
	v_cvt_f32_f16 v83, v83;
	;;#ASMEND
	;;#ASMSTART
	v_cvt_f32_f16 v82, v82;
	;;#ASMEND
	v_and_b32_e32 v86, 0xffff, v166
	v_and_b32_e32 v87, 0xffff, v149
	;;#ASMSTART
	v_cvt_f32_f16 v86, v86;
	;;#ASMEND
	;;#ASMSTART
	v_cvt_f32_f16 v87, v87;
	;;#ASMEND
	s_delay_alu instid0(VALU_DEP_1)
	v_dual_fmac_f32 v69, v83, v86 :: v_dual_fmac_f32 v68, v82, v87
	v_lshrrev_b32_e32 v82, 16, v84
	v_and_b32_e32 v83, 0xffff, v84
	v_and_b32_e32 v84, 0xffff, v148
	;;#ASMSTART
	v_cvt_f32_f16 v83, v83;
	;;#ASMEND
	;;#ASMSTART
	v_cvt_f32_f16 v82, v82;
	;;#ASMEND
	;; [unrolled: 3-line block ×3, first 2 shown]
	v_and_b32_e32 v86, 0xffff, v147
	;;#ASMSTART
	v_cvt_f32_f16 v86, v86;
	;;#ASMEND
	s_delay_alu instid0(VALU_DEP_1)
	v_dual_fmac_f32 v71, v83, v84 :: v_dual_fmac_f32 v70, v82, v86
	v_lshrrev_b32_e32 v82, 16, v85
	v_and_b32_e32 v83, 0xffff, v85
	v_and_b32_e32 v84, 0xffff, v146
	;; [unrolled: 1-line block ×3, first 2 shown]
	;;#ASMSTART
	v_cvt_f32_f16 v83, v83;
	;;#ASMEND
	;;#ASMSTART
	v_cvt_f32_f16 v82, v82;
	;;#ASMEND
	;; [unrolled: 3-line block ×4, first 2 shown]
	v_dual_fmac_f32 v81, v83, v84 :: v_dual_fmac_f32 v80, v82, v85
	ds_load_b128 v[82:85], v9 offset:96
	v_and_b32_e32 v87, 0xffff, v59
	v_and_b32_e32 v96, 0xffff, v47
	s_waitcnt lgkmcnt(0)
	v_lshrrev_b32_e32 v86, 16, v82
	v_and_b32_e32 v82, 0xffff, v82
	;;#ASMSTART
	v_cvt_f32_f16 v82, v82;
	;;#ASMEND
	;;#ASMSTART
	v_cvt_f32_f16 v86, v86;
	;;#ASMEND
	;; [unrolled: 3-line block ×3, first 2 shown]
	s_delay_alu instid0(VALU_DEP_1)
	v_fmac_f32_e32 v64, v82, v87
	v_lshrrev_b32_e32 v82, 16, v83
	v_and_b32_e32 v83, 0xffff, v83
	;;#ASMSTART
	v_cvt_f32_f16 v96, v96;
	;;#ASMEND
	v_fmac_f32_e32 v67, v86, v96
	;;#ASMSTART
	v_cvt_f32_f16 v83, v83;
	;;#ASMEND
	;;#ASMSTART
	v_cvt_f32_f16 v82, v82;
	;;#ASMEND
	v_and_b32_e32 v86, 0xffff, v46
	v_and_b32_e32 v87, 0xffff, v165
	;;#ASMSTART
	v_cvt_f32_f16 v86, v86;
	;;#ASMEND
	;;#ASMSTART
	v_cvt_f32_f16 v87, v87;
	;;#ASMEND
	s_delay_alu instid0(VALU_DEP_1)
	v_dual_fmac_f32 v69, v83, v86 :: v_dual_fmac_f32 v68, v82, v87
	v_lshrrev_b32_e32 v82, 16, v84
	v_and_b32_e32 v83, 0xffff, v84
	v_and_b32_e32 v84, 0xffff, v164
	;;#ASMSTART
	v_cvt_f32_f16 v83, v83;
	;;#ASMEND
	;;#ASMSTART
	v_cvt_f32_f16 v82, v82;
	;;#ASMEND
	;; [unrolled: 3-line block ×3, first 2 shown]
	v_and_b32_e32 v86, 0xffff, v163
	;;#ASMSTART
	v_cvt_f32_f16 v86, v86;
	;;#ASMEND
	s_delay_alu instid0(VALU_DEP_1)
	v_dual_fmac_f32 v71, v83, v84 :: v_dual_fmac_f32 v70, v82, v86
	v_lshrrev_b32_e32 v82, 16, v85
	v_and_b32_e32 v83, 0xffff, v85
	v_and_b32_e32 v84, 0xffff, v162
	;; [unrolled: 1-line block ×3, first 2 shown]
	;;#ASMSTART
	v_cvt_f32_f16 v83, v83;
	;;#ASMEND
	;;#ASMSTART
	v_cvt_f32_f16 v82, v82;
	;;#ASMEND
	;; [unrolled: 3-line block ×4, first 2 shown]
	v_dual_fmac_f32 v81, v83, v84 :: v_dual_fmac_f32 v80, v82, v85
	ds_load_b128 v[82:85], v9 offset:112
	v_and_b32_e32 v87, 0xffff, v58
	v_and_b32_e32 v96, 0xffff, v57
	s_waitcnt lgkmcnt(0)
	v_lshrrev_b32_e32 v86, 16, v82
	v_and_b32_e32 v82, 0xffff, v82
	;;#ASMSTART
	v_cvt_f32_f16 v82, v82;
	;;#ASMEND
	;;#ASMSTART
	v_cvt_f32_f16 v86, v86;
	;;#ASMEND
	;; [unrolled: 3-line block ×3, first 2 shown]
	s_delay_alu instid0(VALU_DEP_1)
	v_fmac_f32_e32 v64, v82, v87
	v_lshrrev_b32_e32 v82, 16, v83
	v_and_b32_e32 v83, 0xffff, v83
	;;#ASMSTART
	v_cvt_f32_f16 v96, v96;
	;;#ASMEND
	v_fmac_f32_e32 v67, v86, v96
	;;#ASMSTART
	v_cvt_f32_f16 v83, v83;
	;;#ASMEND
	;;#ASMSTART
	v_cvt_f32_f16 v82, v82;
	;;#ASMEND
	v_and_b32_e32 v86, 0xffff, v56
	v_and_b32_e32 v87, 0xffff, v42
	;;#ASMSTART
	v_cvt_f32_f16 v86, v86;
	;;#ASMEND
	;;#ASMSTART
	v_cvt_f32_f16 v87, v87;
	;;#ASMEND
	s_delay_alu instid0(VALU_DEP_1)
	v_dual_fmac_f32 v69, v83, v86 :: v_dual_fmac_f32 v68, v82, v87
	v_lshrrev_b32_e32 v82, 16, v84
	v_and_b32_e32 v83, 0xffff, v84
	v_and_b32_e32 v84, 0xffff, v40
	;;#ASMSTART
	v_cvt_f32_f16 v83, v83;
	;;#ASMEND
	;;#ASMSTART
	v_cvt_f32_f16 v82, v82;
	;;#ASMEND
	;; [unrolled: 3-line block ×3, first 2 shown]
	v_and_b32_e32 v86, 0xffff, v179
	;;#ASMSTART
	v_cvt_f32_f16 v86, v86;
	;;#ASMEND
	s_delay_alu instid0(VALU_DEP_1)
	v_dual_fmac_f32 v71, v83, v84 :: v_dual_fmac_f32 v70, v82, v86
	v_lshrrev_b32_e32 v82, 16, v85
	v_and_b32_e32 v83, 0xffff, v85
	v_and_b32_e32 v84, 0xffff, v178
	;; [unrolled: 1-line block ×3, first 2 shown]
	;;#ASMSTART
	v_cvt_f32_f16 v83, v83;
	;;#ASMEND
	;;#ASMSTART
	v_cvt_f32_f16 v82, v82;
	;;#ASMEND
	;; [unrolled: 3-line block ×4, first 2 shown]
	v_dual_fmac_f32 v81, v83, v84 :: v_dual_fmac_f32 v80, v82, v85
	ds_load_b128 v[82:85], v9 offset:128
	v_and_b32_e32 v87, 0xffff, v45
	v_and_b32_e32 v96, 0xffff, v44
	s_waitcnt lgkmcnt(0)
	v_lshrrev_b32_e32 v86, 16, v82
	v_and_b32_e32 v82, 0xffff, v82
	;;#ASMSTART
	v_cvt_f32_f16 v82, v82;
	;;#ASMEND
	;;#ASMSTART
	v_cvt_f32_f16 v86, v86;
	;;#ASMEND
	;; [unrolled: 3-line block ×3, first 2 shown]
	s_delay_alu instid0(VALU_DEP_1)
	v_fmac_f32_e32 v64, v82, v87
	v_lshrrev_b32_e32 v82, 16, v83
	v_and_b32_e32 v83, 0xffff, v83
	;;#ASMSTART
	v_cvt_f32_f16 v96, v96;
	;;#ASMEND
	v_fmac_f32_e32 v67, v86, v96
	;;#ASMSTART
	v_cvt_f32_f16 v83, v83;
	;;#ASMEND
	;;#ASMSTART
	v_cvt_f32_f16 v82, v82;
	;;#ASMEND
	v_and_b32_e32 v86, 0xffff, v43
	v_and_b32_e32 v87, 0xffff, v41
	;;#ASMSTART
	v_cvt_f32_f16 v86, v86;
	;;#ASMEND
	;;#ASMSTART
	v_cvt_f32_f16 v87, v87;
	;;#ASMEND
	s_delay_alu instid0(VALU_DEP_1)
	v_dual_fmac_f32 v69, v83, v86 :: v_dual_fmac_f32 v68, v82, v87
	v_lshrrev_b32_e32 v82, 16, v84
	v_and_b32_e32 v83, 0xffff, v84
	v_and_b32_e32 v84, 0xffff, v183
	;;#ASMSTART
	v_cvt_f32_f16 v83, v83;
	;;#ASMEND
	;;#ASMSTART
	v_cvt_f32_f16 v82, v82;
	;;#ASMEND
	;; [unrolled: 3-line block ×3, first 2 shown]
	v_and_b32_e32 v86, 0xffff, v182
	;;#ASMSTART
	v_cvt_f32_f16 v86, v86;
	;;#ASMEND
	s_delay_alu instid0(VALU_DEP_1)
	v_dual_fmac_f32 v71, v83, v84 :: v_dual_fmac_f32 v70, v82, v86
	v_lshrrev_b32_e32 v82, 16, v85
	v_and_b32_e32 v83, 0xffff, v85
	v_and_b32_e32 v84, 0xffff, v181
	;; [unrolled: 1-line block ×3, first 2 shown]
	;;#ASMSTART
	v_cvt_f32_f16 v83, v83;
	;;#ASMEND
	;;#ASMSTART
	v_cvt_f32_f16 v82, v82;
	;;#ASMEND
	;; [unrolled: 3-line block ×4, first 2 shown]
	v_dual_fmac_f32 v81, v83, v84 :: v_dual_fmac_f32 v80, v82, v85
	ds_load_b128 v[82:85], v9 offset:144
	s_waitcnt lgkmcnt(0)
	v_lshrrev_b32_e32 v86, 16, v82
	v_and_b32_e32 v82, 0xffff, v82
	;;#ASMSTART
	v_cvt_f32_f16 v82, v82;
	;;#ASMEND
	;;#ASMSTART
	v_cvt_f32_f16 v86, v86;
	;;#ASMEND
	;;#ASMSTART
	v_cvt_f32_f16 v66, v66;
	;;#ASMEND
	;;#ASMSTART
	v_cvt_f32_f16 v65, v65;
	;;#ASMEND
	v_fmac_f32_e32 v64, v82, v66
	v_fmac_f32_e32 v67, v86, v65
	v_lshrrev_b32_e32 v65, 16, v83
	v_and_b32_e32 v66, 0xffff, v83
	;;#ASMSTART
	v_cvt_f32_f16 v66, v66;
	;;#ASMEND
	;;#ASMSTART
	v_cvt_f32_f16 v65, v65;
	;;#ASMEND
	;; [unrolled: 3-line block ×4, first 2 shown]
	v_dual_fmac_f32 v69, v66, v33 :: v_dual_fmac_f32 v68, v65, v32
	v_lshrrev_b32_e32 v32, 16, v84
	v_and_b32_e32 v33, 0xffff, v84
	;;#ASMSTART
	v_cvt_f32_f16 v33, v33;
	;;#ASMEND
	;;#ASMSTART
	v_cvt_f32_f16 v32, v32;
	;;#ASMEND
	;; [unrolled: 3-line block ×4, first 2 shown]
	v_dual_fmac_f32 v71, v33, v31 :: v_dual_fmac_f32 v70, v32, v30
	v_lshrrev_b32_e32 v30, 16, v85
	v_and_b32_e32 v31, 0xffff, v85
	;;#ASMSTART
	v_cvt_f32_f16 v31, v31;
	;;#ASMEND
	;;#ASMSTART
	v_cvt_f32_f16 v30, v30;
	;;#ASMEND
	;; [unrolled: 3-line block ×4, first 2 shown]
	v_fmac_f32_e32 v80, v30, v28
	v_dual_add_f32 v28, v64, v67 :: v_dual_fmac_f32 v81, v31, v29
	s_delay_alu instid0(VALU_DEP_1) | instskip(NEXT) | instid1(VALU_DEP_1)
	v_add_f32_e32 v28, v28, v69
	v_add_f32_e32 v28, v68, v28
	s_delay_alu instid0(VALU_DEP_1) | instskip(NEXT) | instid1(VALU_DEP_1)
	v_add_f32_e32 v28, v28, v71
	v_add_f32_e32 v28, v70, v28
	s_delay_alu instid0(VALU_DEP_1) | instskip(NEXT) | instid1(VALU_DEP_1)
	v_add_f32_e32 v28, v28, v81
	v_add_f32_e32 v28, v80, v28
	s_delay_alu instid0(VALU_DEP_1) | instskip(NEXT) | instid1(VALU_DEP_1)
	v_fmac_f32_e32 v8, v28, v13
	v_cndmask_b32_e64 v28, 0, v8, s1
	ds_store_b32 v54, v28
	v_max_f32_e32 v28, v51, v51
	v_add_nc_u32_e32 v54, 0x200, v54
	s_delay_alu instid0(VALU_DEP_2) | instskip(NEXT) | instid1(VALU_DEP_1)
	v_max_f32_e32 v8, v28, v8
	v_cndmask_b32_e64 v51, v51, v8, s1
	v_add_co_u32 v20, s1, v20, 16
	s_delay_alu instid0(VALU_DEP_1) | instskip(SKIP_1) | instid1(VALU_DEP_1)
	v_add_co_ci_u32_e64 v21, s1, 0, v21, s1
	v_cmp_ge_i32_e64 s1, v55, v23
	s_or_b32 s7, s1, s7
	s_delay_alu instid0(SALU_CYCLE_1)
	s_and_not1_b32 exec_lo, exec_lo, s7
	s_cbranch_execz .LBB361_648
.LBB361_11:                             ; =>This Inner Loop Header: Depth=1
	flat_load_b32 v8, v[20:21]
	s_mov_b32 s17, exec_lo
	v_mov_b32_e32 v65, 0
	s_waitcnt vmcnt(0) lgkmcnt(0)
	v_mad_i64_i32 v[28:29], null, v8, v22, v[18:19]
	flat_load_b64 v[30:31], v[28:29]
	flat_load_b32 v64, v[24:25]
	s_waitcnt vmcnt(1) lgkmcnt(1)
	v_and_b32_e32 v8, 0xff, v30
	s_delay_alu instid0(VALU_DEP_1)
	v_cmpx_ne_u16_e32 0, v8
	s_cbranch_execz .LBB361_19
; %bb.12:                               ;   in Loop: Header=BB361_11 Depth=1
	v_bfrev_b32_e32 v65, 1
	s_mov_b32 s18, exec_lo
	v_cmpx_ne_u16_e32 0x80, v8
	s_cbranch_execz .LBB361_18
; %bb.13:                               ;   in Loop: Header=BB361_11 Depth=1
	v_and_b32_e32 v32, 0x7f, v30
	v_mov_b32_e32 v65, 0x7fc02000
	s_mov_b32 s19, exec_lo
	s_delay_alu instid0(VALU_DEP_2)
	v_cmpx_ne_u32_e32 0x7f, v32
	s_cbranch_execz .LBB361_17
; %bb.14:                               ;   in Loop: Header=BB361_11 Depth=1
	v_lshrrev_b32_e32 v8, 3, v32
	v_cmp_gt_u32_e64 s1, 8, v32
	v_dual_mov_b32 v33, v31 :: v_dual_mov_b32 v32, v30
	s_delay_alu instid0(VALU_DEP_2)
	s_and_saveexec_b32 s20, s1
; %bb.15:                               ;   in Loop: Header=BB361_11 Depth=1
	v_and_b32_e32 v8, 7, v30
	s_delay_alu instid0(VALU_DEP_1) | instskip(NEXT) | instid1(VALU_DEP_1)
	v_clz_i32_u32_e32 v8, v8
	v_min_u32_e32 v8, 32, v8
	s_delay_alu instid0(VALU_DEP_1) | instskip(SKIP_1) | instid1(VALU_DEP_2)
	v_subrev_nc_u32_e32 v32, 28, v8
	v_sub_nc_u32_e32 v8, 29, v8
	v_lshlrev_b64 v[32:33], v32, v[30:31]
; %bb.16:                               ;   in Loop: Header=BB361_11 Depth=1
	s_or_b32 exec_lo, exec_lo, s20
	v_lshlrev_b32_e32 v33, 8, v30
	s_delay_alu instid0(VALU_DEP_3) | instskip(NEXT) | instid1(VALU_DEP_3)
	v_lshl_add_u32 v8, v8, 10, 0x2000
	v_lshlrev_b32_e32 v32, 7, v32
	s_delay_alu instid0(VALU_DEP_2) | instskip(NEXT) | instid1(VALU_DEP_1)
	v_and_or_b32 v8, 0x8000, v33, v8
	v_and_or_b32 v8, 0x380, v32, v8
	s_delay_alu instid0(VALU_DEP_1)
	v_cvt_f32_f16_e32 v65, v8
.LBB361_17:                             ;   in Loop: Header=BB361_11 Depth=1
	s_or_b32 exec_lo, exec_lo, s19
.LBB361_18:                             ;   in Loop: Header=BB361_11 Depth=1
	s_delay_alu instid0(SALU_CYCLE_1)
	s_or_b32 exec_lo, exec_lo, s18
.LBB361_19:                             ;   in Loop: Header=BB361_11 Depth=1
	s_delay_alu instid0(SALU_CYCLE_1) | instskip(SKIP_3) | instid1(VALU_DEP_2)
	s_or_b32 exec_lo, exec_lo, s17
	v_lshrrev_b16 v8, 8, v30
	v_dual_mov_b32 v66, 0 :: v_dual_mov_b32 v67, 0
	s_mov_b32 s17, exec_lo
	v_cmpx_ne_u16_e32 0, v8
	s_cbranch_execz .LBB361_27
; %bb.20:                               ;   in Loop: Header=BB361_11 Depth=1
	v_bfrev_b32_e32 v67, 1
	s_mov_b32 s18, exec_lo
	v_cmpx_ne_u16_e32 0x80, v8
	s_cbranch_execz .LBB361_26
; %bb.21:                               ;   in Loop: Header=BB361_11 Depth=1
	v_and_b32_e32 v32, 0xffff, v8
	v_mov_b32_e32 v67, 0x7fc02000
	s_mov_b32 s19, exec_lo
	s_delay_alu instid0(VALU_DEP_2) | instskip(NEXT) | instid1(VALU_DEP_1)
	v_and_b32_e32 v68, 0x7f, v32
	v_cmpx_ne_u32_e32 0x7f, v68
	s_cbranch_execz .LBB361_25
; %bb.22:                               ;   in Loop: Header=BB361_11 Depth=1
	v_and_b32_e32 v8, 7, v32
	v_lshrrev_b32_e32 v33, 3, v68
	s_mov_b32 s20, exec_lo
	v_cmpx_gt_u32_e32 8, v68
; %bb.23:                               ;   in Loop: Header=BB361_11 Depth=1
	s_delay_alu instid0(VALU_DEP_3) | instskip(NEXT) | instid1(VALU_DEP_1)
	v_clz_i32_u32_e32 v33, v8
	v_min_u32_e32 v33, 32, v33
	s_delay_alu instid0(VALU_DEP_1) | instskip(SKIP_1) | instid1(VALU_DEP_2)
	v_subrev_nc_u32_e32 v67, 28, v33
	v_sub_nc_u32_e32 v33, 29, v33
	v_lshlrev_b64 v[67:68], v67, v[8:9]
	s_delay_alu instid0(VALU_DEP_1)
	v_and_b32_e32 v8, 7, v67
; %bb.24:                               ;   in Loop: Header=BB361_11 Depth=1
	s_or_b32 exec_lo, exec_lo, s20
	v_lshlrev_b32_e32 v32, 8, v32
	v_lshl_add_u32 v33, v33, 10, 0x2000
	s_delay_alu instid0(VALU_DEP_1) | instskip(NEXT) | instid1(VALU_DEP_1)
	v_and_or_b32 v32, 0x8000, v32, v33
	v_lshl_or_b32 v8, v8, 7, v32
	s_delay_alu instid0(VALU_DEP_1)
	v_cvt_f32_f16_e32 v67, v8
.LBB361_25:                             ;   in Loop: Header=BB361_11 Depth=1
	s_or_b32 exec_lo, exec_lo, s19
.LBB361_26:                             ;   in Loop: Header=BB361_11 Depth=1
	s_delay_alu instid0(SALU_CYCLE_1)
	s_or_b32 exec_lo, exec_lo, s18
.LBB361_27:                             ;   in Loop: Header=BB361_11 Depth=1
	s_delay_alu instid0(SALU_CYCLE_1) | instskip(SKIP_2) | instid1(VALU_DEP_1)
	s_or_b32 exec_lo, exec_lo, s17
	v_lshrrev_b32_e32 v32, 16, v30
	s_mov_b32 s17, exec_lo
	v_and_b32_e32 v8, 0xff, v32
	s_delay_alu instid0(VALU_DEP_1)
	v_cmpx_ne_u16_e32 0, v8
	s_cbranch_execz .LBB361_35
; %bb.28:                               ;   in Loop: Header=BB361_11 Depth=1
	v_bfrev_b32_e32 v66, 1
	s_mov_b32 s18, exec_lo
	v_cmpx_ne_u16_e32 0x80, v8
	s_cbranch_execz .LBB361_34
; %bb.29:                               ;   in Loop: Header=BB361_11 Depth=1
	v_bfe_u32 v68, v30, 16, 7
	v_mov_b32_e32 v66, 0x7fc02000
	s_mov_b32 s19, exec_lo
	s_delay_alu instid0(VALU_DEP_2)
	v_cmpx_ne_u32_e32 0x7f, v68
	s_cbranch_execz .LBB361_33
; %bb.30:                               ;   in Loop: Header=BB361_11 Depth=1
	v_and_b32_e32 v8, 7, v32
	v_lshrrev_b32_e32 v33, 3, v68
	s_mov_b32 s20, exec_lo
	v_cmpx_gt_u32_e32 8, v68
; %bb.31:                               ;   in Loop: Header=BB361_11 Depth=1
	s_delay_alu instid0(VALU_DEP_3) | instskip(NEXT) | instid1(VALU_DEP_1)
	v_clz_i32_u32_e32 v33, v8
	v_min_u32_e32 v33, 32, v33
	s_delay_alu instid0(VALU_DEP_1) | instskip(SKIP_1) | instid1(VALU_DEP_2)
	v_subrev_nc_u32_e32 v66, 28, v33
	v_sub_nc_u32_e32 v33, 29, v33
	v_lshlrev_b64 v[68:69], v66, v[8:9]
	s_delay_alu instid0(VALU_DEP_1)
	v_and_b32_e32 v8, 7, v68
; %bb.32:                               ;   in Loop: Header=BB361_11 Depth=1
	s_or_b32 exec_lo, exec_lo, s20
	v_lshlrev_b32_e32 v32, 8, v32
	v_lshl_add_u32 v33, v33, 10, 0x2000
	s_delay_alu instid0(VALU_DEP_1) | instskip(NEXT) | instid1(VALU_DEP_1)
	v_and_or_b32 v32, 0x8000, v32, v33
	v_lshl_or_b32 v8, v8, 7, v32
	s_delay_alu instid0(VALU_DEP_1)
	v_cvt_f32_f16_e32 v66, v8
.LBB361_33:                             ;   in Loop: Header=BB361_11 Depth=1
	s_or_b32 exec_lo, exec_lo, s19
.LBB361_34:                             ;   in Loop: Header=BB361_11 Depth=1
	s_delay_alu instid0(SALU_CYCLE_1)
	s_or_b32 exec_lo, exec_lo, s18
.LBB361_35:                             ;   in Loop: Header=BB361_11 Depth=1
	s_delay_alu instid0(SALU_CYCLE_1)
	s_or_b32 exec_lo, exec_lo, s17
	v_dual_mov_b32 v68, 0 :: v_dual_mov_b32 v69, 0
	s_mov_b32 s17, exec_lo
	v_cmpx_lt_u32_e32 0xffffff, v30
	s_cbranch_execz .LBB361_43
; %bb.36:                               ;   in Loop: Header=BB361_11 Depth=1
	v_lshrrev_b32_e32 v32, 24, v30
	v_bfrev_b32_e32 v69, 1
	s_mov_b32 s18, exec_lo
	s_delay_alu instid0(VALU_DEP_2)
	v_cmpx_ne_u32_e32 0x80, v32
	s_cbranch_execz .LBB361_42
; %bb.37:                               ;   in Loop: Header=BB361_11 Depth=1
	v_and_b32_e32 v70, 0x7f, v32
	v_mov_b32_e32 v69, 0x7fc02000
	s_mov_b32 s19, exec_lo
	s_delay_alu instid0(VALU_DEP_2)
	v_cmpx_ne_u32_e32 0x7f, v70
	s_cbranch_execz .LBB361_41
; %bb.38:                               ;   in Loop: Header=BB361_11 Depth=1
	v_and_b32_e32 v8, 7, v32
	v_lshrrev_b32_e32 v33, 3, v70
	s_mov_b32 s20, exec_lo
	v_cmpx_gt_u32_e32 8, v70
; %bb.39:                               ;   in Loop: Header=BB361_11 Depth=1
	s_delay_alu instid0(VALU_DEP_3) | instskip(NEXT) | instid1(VALU_DEP_1)
	v_clz_i32_u32_e32 v33, v8
	v_min_u32_e32 v33, 32, v33
	s_delay_alu instid0(VALU_DEP_1) | instskip(SKIP_1) | instid1(VALU_DEP_2)
	v_subrev_nc_u32_e32 v69, 28, v33
	v_sub_nc_u32_e32 v33, 29, v33
	v_lshlrev_b64 v[69:70], v69, v[8:9]
	s_delay_alu instid0(VALU_DEP_1)
	v_and_b32_e32 v8, 7, v69
; %bb.40:                               ;   in Loop: Header=BB361_11 Depth=1
	s_or_b32 exec_lo, exec_lo, s20
	v_lshlrev_b32_e32 v32, 8, v32
	v_lshl_add_u32 v33, v33, 10, 0x2000
	s_delay_alu instid0(VALU_DEP_1) | instskip(NEXT) | instid1(VALU_DEP_1)
	v_and_or_b32 v32, 0x8000, v32, v33
	v_lshl_or_b32 v8, v8, 7, v32
	s_delay_alu instid0(VALU_DEP_1)
	v_cvt_f32_f16_e32 v69, v8
.LBB361_41:                             ;   in Loop: Header=BB361_11 Depth=1
	s_or_b32 exec_lo, exec_lo, s19
.LBB361_42:                             ;   in Loop: Header=BB361_11 Depth=1
	s_delay_alu instid0(SALU_CYCLE_1)
	s_or_b32 exec_lo, exec_lo, s18
.LBB361_43:                             ;   in Loop: Header=BB361_11 Depth=1
	s_delay_alu instid0(SALU_CYCLE_1) | instskip(SKIP_3) | instid1(VALU_DEP_2)
	s_or_b32 exec_lo, exec_lo, s17
	v_and_b32_e32 v32, 0xff, v31
	v_mov_b32_e32 v8, v31
	s_mov_b32 s17, exec_lo
	v_cmpx_ne_u16_e32 0, v32
	s_cbranch_execz .LBB361_51
; %bb.44:                               ;   in Loop: Header=BB361_11 Depth=1
	v_bfrev_b32_e32 v68, 1
	s_mov_b32 s18, exec_lo
	v_cmpx_ne_u16_e32 0x80, v32
	s_cbranch_execz .LBB361_50
; %bb.45:                               ;   in Loop: Header=BB361_11 Depth=1
	v_and_b32_e32 v32, 0x7f, v31
	v_mov_b32_e32 v68, 0x7fc02000
	s_mov_b32 s19, exec_lo
	s_delay_alu instid0(VALU_DEP_2)
	v_cmpx_ne_u32_e32 0x7f, v32
	s_cbranch_execz .LBB361_49
; %bb.46:                               ;   in Loop: Header=BB361_11 Depth=1
	v_lshrrev_b32_e32 v68, 3, v32
	v_cmp_gt_u32_e64 s1, 8, v32
	v_dual_mov_b32 v33, v9 :: v_dual_mov_b32 v32, v8
	s_delay_alu instid0(VALU_DEP_2)
	s_and_saveexec_b32 s20, s1
; %bb.47:                               ;   in Loop: Header=BB361_11 Depth=1
	v_and_b32_e32 v32, 7, v31
	s_delay_alu instid0(VALU_DEP_1) | instskip(NEXT) | instid1(VALU_DEP_1)
	v_clz_i32_u32_e32 v32, v32
	v_min_u32_e32 v68, 32, v32
	s_delay_alu instid0(VALU_DEP_1) | instskip(SKIP_1) | instid1(VALU_DEP_2)
	v_subrev_nc_u32_e32 v32, 28, v68
	v_sub_nc_u32_e32 v68, 29, v68
	v_lshlrev_b64 v[32:33], v32, v[8:9]
; %bb.48:                               ;   in Loop: Header=BB361_11 Depth=1
	s_or_b32 exec_lo, exec_lo, s20
	v_lshlrev_b32_e32 v33, 8, v31
	s_delay_alu instid0(VALU_DEP_3) | instskip(NEXT) | instid1(VALU_DEP_3)
	v_lshl_add_u32 v68, v68, 10, 0x2000
	v_lshlrev_b32_e32 v32, 7, v32
	s_delay_alu instid0(VALU_DEP_2) | instskip(NEXT) | instid1(VALU_DEP_1)
	v_and_or_b32 v33, 0x8000, v33, v68
	v_and_or_b32 v32, 0x380, v32, v33
	s_delay_alu instid0(VALU_DEP_1)
	v_cvt_f32_f16_e32 v68, v32
.LBB361_49:                             ;   in Loop: Header=BB361_11 Depth=1
	s_or_b32 exec_lo, exec_lo, s19
.LBB361_50:                             ;   in Loop: Header=BB361_11 Depth=1
	s_delay_alu instid0(SALU_CYCLE_1)
	s_or_b32 exec_lo, exec_lo, s18
.LBB361_51:                             ;   in Loop: Header=BB361_11 Depth=1
	s_delay_alu instid0(SALU_CYCLE_1) | instskip(SKIP_3) | instid1(VALU_DEP_2)
	s_or_b32 exec_lo, exec_lo, s17
	v_lshrrev_b16 v8, 8, v8
	v_dual_mov_b32 v70, 0 :: v_dual_mov_b32 v71, 0
	s_mov_b32 s17, exec_lo
	v_cmpx_ne_u16_e32 0, v8
	s_cbranch_execz .LBB361_59
; %bb.52:                               ;   in Loop: Header=BB361_11 Depth=1
	v_bfrev_b32_e32 v71, 1
	s_mov_b32 s18, exec_lo
	v_cmpx_ne_u16_e32 0x80, v8
	s_cbranch_execz .LBB361_58
; %bb.53:                               ;   in Loop: Header=BB361_11 Depth=1
	v_and_b32_e32 v32, 0xffff, v8
	v_mov_b32_e32 v71, 0x7fc02000
	s_mov_b32 s19, exec_lo
	s_delay_alu instid0(VALU_DEP_2) | instskip(NEXT) | instid1(VALU_DEP_1)
	v_and_b32_e32 v80, 0x7f, v32
	v_cmpx_ne_u32_e32 0x7f, v80
	s_cbranch_execz .LBB361_57
; %bb.54:                               ;   in Loop: Header=BB361_11 Depth=1
	v_and_b32_e32 v8, 7, v32
	v_lshrrev_b32_e32 v33, 3, v80
	s_mov_b32 s20, exec_lo
	v_cmpx_gt_u32_e32 8, v80
; %bb.55:                               ;   in Loop: Header=BB361_11 Depth=1
	s_delay_alu instid0(VALU_DEP_3) | instskip(NEXT) | instid1(VALU_DEP_1)
	v_clz_i32_u32_e32 v33, v8
	v_min_u32_e32 v33, 32, v33
	s_delay_alu instid0(VALU_DEP_1) | instskip(SKIP_1) | instid1(VALU_DEP_2)
	v_subrev_nc_u32_e32 v71, 28, v33
	v_sub_nc_u32_e32 v33, 29, v33
	v_lshlrev_b64 v[80:81], v71, v[8:9]
	s_delay_alu instid0(VALU_DEP_1)
	v_and_b32_e32 v8, 7, v80
; %bb.56:                               ;   in Loop: Header=BB361_11 Depth=1
	s_or_b32 exec_lo, exec_lo, s20
	v_lshlrev_b32_e32 v32, 8, v32
	v_lshl_add_u32 v33, v33, 10, 0x2000
	s_delay_alu instid0(VALU_DEP_1) | instskip(NEXT) | instid1(VALU_DEP_1)
	v_and_or_b32 v32, 0x8000, v32, v33
	v_lshl_or_b32 v8, v8, 7, v32
	s_delay_alu instid0(VALU_DEP_1)
	v_cvt_f32_f16_e32 v71, v8
.LBB361_57:                             ;   in Loop: Header=BB361_11 Depth=1
	s_or_b32 exec_lo, exec_lo, s19
.LBB361_58:                             ;   in Loop: Header=BB361_11 Depth=1
	s_delay_alu instid0(SALU_CYCLE_1)
	s_or_b32 exec_lo, exec_lo, s18
.LBB361_59:                             ;   in Loop: Header=BB361_11 Depth=1
	s_delay_alu instid0(SALU_CYCLE_1) | instskip(SKIP_2) | instid1(VALU_DEP_1)
	s_or_b32 exec_lo, exec_lo, s17
	v_lshrrev_b32_e32 v32, 16, v31
	s_mov_b32 s17, exec_lo
	v_and_b32_e32 v8, 0xff, v32
	s_delay_alu instid0(VALU_DEP_1)
	v_cmpx_ne_u16_e32 0, v8
	s_cbranch_execz .LBB361_67
; %bb.60:                               ;   in Loop: Header=BB361_11 Depth=1
	v_bfrev_b32_e32 v70, 1
	s_mov_b32 s18, exec_lo
	v_cmpx_ne_u16_e32 0x80, v8
	s_cbranch_execz .LBB361_66
; %bb.61:                               ;   in Loop: Header=BB361_11 Depth=1
	v_bfe_u32 v80, v31, 16, 7
	v_mov_b32_e32 v70, 0x7fc02000
	s_mov_b32 s19, exec_lo
	s_delay_alu instid0(VALU_DEP_2)
	v_cmpx_ne_u32_e32 0x7f, v80
	s_cbranch_execz .LBB361_65
; %bb.62:                               ;   in Loop: Header=BB361_11 Depth=1
	v_and_b32_e32 v8, 7, v32
	v_lshrrev_b32_e32 v33, 3, v80
	s_mov_b32 s20, exec_lo
	v_cmpx_gt_u32_e32 8, v80
; %bb.63:                               ;   in Loop: Header=BB361_11 Depth=1
	s_delay_alu instid0(VALU_DEP_3) | instskip(NEXT) | instid1(VALU_DEP_1)
	v_clz_i32_u32_e32 v33, v8
	v_min_u32_e32 v33, 32, v33
	s_delay_alu instid0(VALU_DEP_1) | instskip(SKIP_1) | instid1(VALU_DEP_2)
	v_subrev_nc_u32_e32 v70, 28, v33
	v_sub_nc_u32_e32 v33, 29, v33
	v_lshlrev_b64 v[80:81], v70, v[8:9]
	s_delay_alu instid0(VALU_DEP_1)
	v_and_b32_e32 v8, 7, v80
; %bb.64:                               ;   in Loop: Header=BB361_11 Depth=1
	s_or_b32 exec_lo, exec_lo, s20
	v_lshlrev_b32_e32 v32, 8, v32
	v_lshl_add_u32 v33, v33, 10, 0x2000
	s_delay_alu instid0(VALU_DEP_1) | instskip(NEXT) | instid1(VALU_DEP_1)
	v_and_or_b32 v32, 0x8000, v32, v33
	v_lshl_or_b32 v8, v8, 7, v32
	s_delay_alu instid0(VALU_DEP_1)
	v_cvt_f32_f16_e32 v70, v8
.LBB361_65:                             ;   in Loop: Header=BB361_11 Depth=1
	s_or_b32 exec_lo, exec_lo, s19
.LBB361_66:                             ;   in Loop: Header=BB361_11 Depth=1
	s_delay_alu instid0(SALU_CYCLE_1)
	s_or_b32 exec_lo, exec_lo, s18
.LBB361_67:                             ;   in Loop: Header=BB361_11 Depth=1
	s_delay_alu instid0(SALU_CYCLE_1)
	s_or_b32 exec_lo, exec_lo, s17
	v_dual_mov_b32 v81, 0 :: v_dual_mov_b32 v80, 0
	s_mov_b32 s17, exec_lo
	v_cmpx_lt_u64_e64 s[2:3], v[30:31]
	s_cbranch_execz .LBB361_75
; %bb.68:                               ;   in Loop: Header=BB361_11 Depth=1
	v_lshrrev_b32_e32 v30, 24, v31
	v_bfrev_b32_e32 v80, 1
	s_mov_b32 s18, exec_lo
	s_delay_alu instid0(VALU_DEP_2)
	v_cmpx_ne_u32_e32 0x80, v30
	s_cbranch_execz .LBB361_74
; %bb.69:                               ;   in Loop: Header=BB361_11 Depth=1
	v_and_b32_e32 v32, 0x7f, v30
	v_mov_b32_e32 v80, 0x7fc02000
	s_mov_b32 s19, exec_lo
	s_delay_alu instid0(VALU_DEP_2)
	v_cmpx_ne_u32_e32 0x7f, v32
	s_cbranch_execz .LBB361_73
; %bb.70:                               ;   in Loop: Header=BB361_11 Depth=1
	v_and_b32_e32 v8, 7, v30
	v_lshrrev_b32_e32 v31, 3, v32
	s_mov_b32 s20, exec_lo
	v_cmpx_gt_u32_e32 8, v32
; %bb.71:                               ;   in Loop: Header=BB361_11 Depth=1
	s_delay_alu instid0(VALU_DEP_3) | instskip(NEXT) | instid1(VALU_DEP_1)
	v_clz_i32_u32_e32 v31, v8
	v_min_u32_e32 v31, 32, v31
	s_delay_alu instid0(VALU_DEP_1) | instskip(SKIP_1) | instid1(VALU_DEP_2)
	v_subrev_nc_u32_e32 v32, 28, v31
	v_sub_nc_u32_e32 v31, 29, v31
	v_lshlrev_b64 v[32:33], v32, v[8:9]
	s_delay_alu instid0(VALU_DEP_1)
	v_and_b32_e32 v8, 7, v32
; %bb.72:                               ;   in Loop: Header=BB361_11 Depth=1
	s_or_b32 exec_lo, exec_lo, s20
	v_lshlrev_b32_e32 v30, 8, v30
	v_lshl_add_u32 v31, v31, 10, 0x2000
	s_delay_alu instid0(VALU_DEP_1) | instskip(NEXT) | instid1(VALU_DEP_1)
	v_and_or_b32 v30, 0x8000, v30, v31
	v_lshl_or_b32 v8, v8, 7, v30
	s_delay_alu instid0(VALU_DEP_1)
	v_cvt_f32_f16_e32 v80, v8
.LBB361_73:                             ;   in Loop: Header=BB361_11 Depth=1
	s_or_b32 exec_lo, exec_lo, s19
.LBB361_74:                             ;   in Loop: Header=BB361_11 Depth=1
	s_delay_alu instid0(SALU_CYCLE_1)
	s_or_b32 exec_lo, exec_lo, s18
.LBB361_75:                             ;   in Loop: Header=BB361_11 Depth=1
	s_delay_alu instid0(SALU_CYCLE_1) | instskip(SKIP_4) | instid1(VALU_DEP_1)
	s_or_b32 exec_lo, exec_lo, s17
	flat_load_b64 v[30:31], v[28:29] offset:8
	s_mov_b32 s17, exec_lo
	s_waitcnt vmcnt(0) lgkmcnt(0)
	v_and_b32_e32 v8, 0xff, v30
	v_cmpx_ne_u16_e32 0, v8
	s_cbranch_execz .LBB361_83
; %bb.76:                               ;   in Loop: Header=BB361_11 Depth=1
	v_bfrev_b32_e32 v81, 1
	s_mov_b32 s18, exec_lo
	v_cmpx_ne_u16_e32 0x80, v8
	s_cbranch_execz .LBB361_82
; %bb.77:                               ;   in Loop: Header=BB361_11 Depth=1
	v_and_b32_e32 v32, 0x7f, v30
	v_mov_b32_e32 v81, 0x7fc02000
	s_mov_b32 s19, exec_lo
	s_delay_alu instid0(VALU_DEP_2)
	v_cmpx_ne_u32_e32 0x7f, v32
	s_cbranch_execz .LBB361_81
; %bb.78:                               ;   in Loop: Header=BB361_11 Depth=1
	v_lshrrev_b32_e32 v8, 3, v32
	v_cmp_gt_u32_e64 s1, 8, v32
	v_dual_mov_b32 v33, v31 :: v_dual_mov_b32 v32, v30
	s_delay_alu instid0(VALU_DEP_2)
	s_and_saveexec_b32 s20, s1
; %bb.79:                               ;   in Loop: Header=BB361_11 Depth=1
	v_and_b32_e32 v8, 7, v30
	s_delay_alu instid0(VALU_DEP_1) | instskip(NEXT) | instid1(VALU_DEP_1)
	v_clz_i32_u32_e32 v8, v8
	v_min_u32_e32 v8, 32, v8
	s_delay_alu instid0(VALU_DEP_1) | instskip(SKIP_1) | instid1(VALU_DEP_2)
	v_subrev_nc_u32_e32 v32, 28, v8
	v_sub_nc_u32_e32 v8, 29, v8
	v_lshlrev_b64 v[32:33], v32, v[30:31]
; %bb.80:                               ;   in Loop: Header=BB361_11 Depth=1
	s_or_b32 exec_lo, exec_lo, s20
	v_lshlrev_b32_e32 v33, 8, v30
	s_delay_alu instid0(VALU_DEP_3) | instskip(NEXT) | instid1(VALU_DEP_3)
	v_lshl_add_u32 v8, v8, 10, 0x2000
	v_lshlrev_b32_e32 v32, 7, v32
	s_delay_alu instid0(VALU_DEP_2) | instskip(NEXT) | instid1(VALU_DEP_1)
	v_and_or_b32 v8, 0x8000, v33, v8
	v_and_or_b32 v8, 0x380, v32, v8
	s_delay_alu instid0(VALU_DEP_1)
	v_cvt_f32_f16_e32 v81, v8
.LBB361_81:                             ;   in Loop: Header=BB361_11 Depth=1
	s_or_b32 exec_lo, exec_lo, s19
.LBB361_82:                             ;   in Loop: Header=BB361_11 Depth=1
	s_delay_alu instid0(SALU_CYCLE_1)
	s_or_b32 exec_lo, exec_lo, s18
.LBB361_83:                             ;   in Loop: Header=BB361_11 Depth=1
	s_delay_alu instid0(SALU_CYCLE_1) | instskip(SKIP_3) | instid1(VALU_DEP_2)
	s_or_b32 exec_lo, exec_lo, s17
	v_lshrrev_b16 v8, 8, v30
	v_dual_mov_b32 v82, 0 :: v_dual_mov_b32 v83, 0
	s_mov_b32 s17, exec_lo
	v_cmpx_ne_u16_e32 0, v8
	s_cbranch_execz .LBB361_91
; %bb.84:                               ;   in Loop: Header=BB361_11 Depth=1
	v_bfrev_b32_e32 v83, 1
	s_mov_b32 s18, exec_lo
	v_cmpx_ne_u16_e32 0x80, v8
	s_cbranch_execz .LBB361_90
; %bb.85:                               ;   in Loop: Header=BB361_11 Depth=1
	v_and_b32_e32 v32, 0xffff, v8
	v_mov_b32_e32 v83, 0x7fc02000
	s_mov_b32 s19, exec_lo
	s_delay_alu instid0(VALU_DEP_2) | instskip(NEXT) | instid1(VALU_DEP_1)
	v_and_b32_e32 v84, 0x7f, v32
	v_cmpx_ne_u32_e32 0x7f, v84
	s_cbranch_execz .LBB361_89
; %bb.86:                               ;   in Loop: Header=BB361_11 Depth=1
	v_and_b32_e32 v8, 7, v32
	v_lshrrev_b32_e32 v33, 3, v84
	s_mov_b32 s20, exec_lo
	v_cmpx_gt_u32_e32 8, v84
; %bb.87:                               ;   in Loop: Header=BB361_11 Depth=1
	s_delay_alu instid0(VALU_DEP_3) | instskip(NEXT) | instid1(VALU_DEP_1)
	v_clz_i32_u32_e32 v33, v8
	v_min_u32_e32 v33, 32, v33
	s_delay_alu instid0(VALU_DEP_1) | instskip(SKIP_1) | instid1(VALU_DEP_2)
	v_subrev_nc_u32_e32 v83, 28, v33
	v_sub_nc_u32_e32 v33, 29, v33
	v_lshlrev_b64 v[83:84], v83, v[8:9]
	s_delay_alu instid0(VALU_DEP_1)
	v_and_b32_e32 v8, 7, v83
; %bb.88:                               ;   in Loop: Header=BB361_11 Depth=1
	s_or_b32 exec_lo, exec_lo, s20
	v_lshlrev_b32_e32 v32, 8, v32
	v_lshl_add_u32 v33, v33, 10, 0x2000
	s_delay_alu instid0(VALU_DEP_1) | instskip(NEXT) | instid1(VALU_DEP_1)
	v_and_or_b32 v32, 0x8000, v32, v33
	v_lshl_or_b32 v8, v8, 7, v32
	s_delay_alu instid0(VALU_DEP_1)
	v_cvt_f32_f16_e32 v83, v8
.LBB361_89:                             ;   in Loop: Header=BB361_11 Depth=1
	s_or_b32 exec_lo, exec_lo, s19
.LBB361_90:                             ;   in Loop: Header=BB361_11 Depth=1
	s_delay_alu instid0(SALU_CYCLE_1)
	s_or_b32 exec_lo, exec_lo, s18
.LBB361_91:                             ;   in Loop: Header=BB361_11 Depth=1
	s_delay_alu instid0(SALU_CYCLE_1) | instskip(SKIP_2) | instid1(VALU_DEP_1)
	s_or_b32 exec_lo, exec_lo, s17
	v_lshrrev_b32_e32 v32, 16, v30
	s_mov_b32 s17, exec_lo
	v_and_b32_e32 v8, 0xff, v32
	s_delay_alu instid0(VALU_DEP_1)
	v_cmpx_ne_u16_e32 0, v8
	s_cbranch_execz .LBB361_99
; %bb.92:                               ;   in Loop: Header=BB361_11 Depth=1
	v_bfrev_b32_e32 v82, 1
	s_mov_b32 s18, exec_lo
	v_cmpx_ne_u16_e32 0x80, v8
	s_cbranch_execz .LBB361_98
; %bb.93:                               ;   in Loop: Header=BB361_11 Depth=1
	v_bfe_u32 v84, v30, 16, 7
	v_mov_b32_e32 v82, 0x7fc02000
	s_mov_b32 s19, exec_lo
	s_delay_alu instid0(VALU_DEP_2)
	v_cmpx_ne_u32_e32 0x7f, v84
	s_cbranch_execz .LBB361_97
; %bb.94:                               ;   in Loop: Header=BB361_11 Depth=1
	v_and_b32_e32 v8, 7, v32
	v_lshrrev_b32_e32 v33, 3, v84
	s_mov_b32 s20, exec_lo
	v_cmpx_gt_u32_e32 8, v84
; %bb.95:                               ;   in Loop: Header=BB361_11 Depth=1
	s_delay_alu instid0(VALU_DEP_3) | instskip(NEXT) | instid1(VALU_DEP_1)
	v_clz_i32_u32_e32 v33, v8
	v_min_u32_e32 v33, 32, v33
	s_delay_alu instid0(VALU_DEP_1) | instskip(SKIP_1) | instid1(VALU_DEP_2)
	v_subrev_nc_u32_e32 v82, 28, v33
	v_sub_nc_u32_e32 v33, 29, v33
	v_lshlrev_b64 v[84:85], v82, v[8:9]
	s_delay_alu instid0(VALU_DEP_1)
	v_and_b32_e32 v8, 7, v84
; %bb.96:                               ;   in Loop: Header=BB361_11 Depth=1
	s_or_b32 exec_lo, exec_lo, s20
	v_lshlrev_b32_e32 v32, 8, v32
	v_lshl_add_u32 v33, v33, 10, 0x2000
	s_delay_alu instid0(VALU_DEP_1) | instskip(NEXT) | instid1(VALU_DEP_1)
	v_and_or_b32 v32, 0x8000, v32, v33
	v_lshl_or_b32 v8, v8, 7, v32
	s_delay_alu instid0(VALU_DEP_1)
	v_cvt_f32_f16_e32 v82, v8
.LBB361_97:                             ;   in Loop: Header=BB361_11 Depth=1
	s_or_b32 exec_lo, exec_lo, s19
.LBB361_98:                             ;   in Loop: Header=BB361_11 Depth=1
	s_delay_alu instid0(SALU_CYCLE_1)
	s_or_b32 exec_lo, exec_lo, s18
.LBB361_99:                             ;   in Loop: Header=BB361_11 Depth=1
	s_delay_alu instid0(SALU_CYCLE_1)
	s_or_b32 exec_lo, exec_lo, s17
	v_dual_mov_b32 v84, 0 :: v_dual_mov_b32 v85, 0
	s_mov_b32 s17, exec_lo
	v_cmpx_lt_u32_e32 0xffffff, v30
	s_cbranch_execz .LBB361_107
; %bb.100:                              ;   in Loop: Header=BB361_11 Depth=1
	v_lshrrev_b32_e32 v32, 24, v30
	v_bfrev_b32_e32 v85, 1
	s_mov_b32 s18, exec_lo
	s_delay_alu instid0(VALU_DEP_2)
	v_cmpx_ne_u32_e32 0x80, v32
	s_cbranch_execz .LBB361_106
; %bb.101:                              ;   in Loop: Header=BB361_11 Depth=1
	v_and_b32_e32 v86, 0x7f, v32
	v_mov_b32_e32 v85, 0x7fc02000
	s_mov_b32 s19, exec_lo
	s_delay_alu instid0(VALU_DEP_2)
	v_cmpx_ne_u32_e32 0x7f, v86
	s_cbranch_execz .LBB361_105
; %bb.102:                              ;   in Loop: Header=BB361_11 Depth=1
	v_and_b32_e32 v8, 7, v32
	v_lshrrev_b32_e32 v33, 3, v86
	s_mov_b32 s20, exec_lo
	v_cmpx_gt_u32_e32 8, v86
; %bb.103:                              ;   in Loop: Header=BB361_11 Depth=1
	s_delay_alu instid0(VALU_DEP_3) | instskip(NEXT) | instid1(VALU_DEP_1)
	v_clz_i32_u32_e32 v33, v8
	v_min_u32_e32 v33, 32, v33
	s_delay_alu instid0(VALU_DEP_1) | instskip(SKIP_1) | instid1(VALU_DEP_2)
	v_subrev_nc_u32_e32 v85, 28, v33
	v_sub_nc_u32_e32 v33, 29, v33
	v_lshlrev_b64 v[85:86], v85, v[8:9]
	s_delay_alu instid0(VALU_DEP_1)
	v_and_b32_e32 v8, 7, v85
; %bb.104:                              ;   in Loop: Header=BB361_11 Depth=1
	s_or_b32 exec_lo, exec_lo, s20
	v_lshlrev_b32_e32 v32, 8, v32
	v_lshl_add_u32 v33, v33, 10, 0x2000
	s_delay_alu instid0(VALU_DEP_1) | instskip(NEXT) | instid1(VALU_DEP_1)
	v_and_or_b32 v32, 0x8000, v32, v33
	v_lshl_or_b32 v8, v8, 7, v32
	s_delay_alu instid0(VALU_DEP_1)
	v_cvt_f32_f16_e32 v85, v8
.LBB361_105:                            ;   in Loop: Header=BB361_11 Depth=1
	s_or_b32 exec_lo, exec_lo, s19
.LBB361_106:                            ;   in Loop: Header=BB361_11 Depth=1
	s_delay_alu instid0(SALU_CYCLE_1)
	s_or_b32 exec_lo, exec_lo, s18
.LBB361_107:                            ;   in Loop: Header=BB361_11 Depth=1
	s_delay_alu instid0(SALU_CYCLE_1) | instskip(SKIP_3) | instid1(VALU_DEP_2)
	s_or_b32 exec_lo, exec_lo, s17
	v_and_b32_e32 v32, 0xff, v31
	v_mov_b32_e32 v8, v31
	s_mov_b32 s17, exec_lo
	v_cmpx_ne_u16_e32 0, v32
	s_cbranch_execz .LBB361_115
; %bb.108:                              ;   in Loop: Header=BB361_11 Depth=1
	v_bfrev_b32_e32 v84, 1
	s_mov_b32 s18, exec_lo
	v_cmpx_ne_u16_e32 0x80, v32
	s_cbranch_execz .LBB361_114
; %bb.109:                              ;   in Loop: Header=BB361_11 Depth=1
	v_and_b32_e32 v32, 0x7f, v31
	v_mov_b32_e32 v84, 0x7fc02000
	s_mov_b32 s19, exec_lo
	s_delay_alu instid0(VALU_DEP_2)
	v_cmpx_ne_u32_e32 0x7f, v32
	s_cbranch_execz .LBB361_113
; %bb.110:                              ;   in Loop: Header=BB361_11 Depth=1
	v_lshrrev_b32_e32 v84, 3, v32
	v_cmp_gt_u32_e64 s1, 8, v32
	v_dual_mov_b32 v33, v9 :: v_dual_mov_b32 v32, v8
	s_delay_alu instid0(VALU_DEP_2)
	s_and_saveexec_b32 s20, s1
; %bb.111:                              ;   in Loop: Header=BB361_11 Depth=1
	v_and_b32_e32 v32, 7, v31
	s_delay_alu instid0(VALU_DEP_1) | instskip(NEXT) | instid1(VALU_DEP_1)
	v_clz_i32_u32_e32 v32, v32
	v_min_u32_e32 v84, 32, v32
	s_delay_alu instid0(VALU_DEP_1) | instskip(SKIP_1) | instid1(VALU_DEP_2)
	v_subrev_nc_u32_e32 v32, 28, v84
	v_sub_nc_u32_e32 v84, 29, v84
	v_lshlrev_b64 v[32:33], v32, v[8:9]
; %bb.112:                              ;   in Loop: Header=BB361_11 Depth=1
	s_or_b32 exec_lo, exec_lo, s20
	v_lshlrev_b32_e32 v33, 8, v31
	s_delay_alu instid0(VALU_DEP_3) | instskip(NEXT) | instid1(VALU_DEP_3)
	v_lshl_add_u32 v84, v84, 10, 0x2000
	v_lshlrev_b32_e32 v32, 7, v32
	s_delay_alu instid0(VALU_DEP_2) | instskip(NEXT) | instid1(VALU_DEP_1)
	v_and_or_b32 v33, 0x8000, v33, v84
	v_and_or_b32 v32, 0x380, v32, v33
	s_delay_alu instid0(VALU_DEP_1)
	v_cvt_f32_f16_e32 v84, v32
.LBB361_113:                            ;   in Loop: Header=BB361_11 Depth=1
	s_or_b32 exec_lo, exec_lo, s19
.LBB361_114:                            ;   in Loop: Header=BB361_11 Depth=1
	s_delay_alu instid0(SALU_CYCLE_1)
	s_or_b32 exec_lo, exec_lo, s18
.LBB361_115:                            ;   in Loop: Header=BB361_11 Depth=1
	s_delay_alu instid0(SALU_CYCLE_1) | instskip(SKIP_3) | instid1(VALU_DEP_2)
	s_or_b32 exec_lo, exec_lo, s17
	v_lshrrev_b16 v8, 8, v8
	v_dual_mov_b32 v86, 0 :: v_dual_mov_b32 v87, 0
	s_mov_b32 s17, exec_lo
	v_cmpx_ne_u16_e32 0, v8
	s_cbranch_execz .LBB361_123
; %bb.116:                              ;   in Loop: Header=BB361_11 Depth=1
	v_bfrev_b32_e32 v87, 1
	s_mov_b32 s18, exec_lo
	v_cmpx_ne_u16_e32 0x80, v8
	s_cbranch_execz .LBB361_122
; %bb.117:                              ;   in Loop: Header=BB361_11 Depth=1
	v_and_b32_e32 v32, 0xffff, v8
	v_mov_b32_e32 v87, 0x7fc02000
	s_mov_b32 s19, exec_lo
	s_delay_alu instid0(VALU_DEP_2) | instskip(NEXT) | instid1(VALU_DEP_1)
	v_and_b32_e32 v96, 0x7f, v32
	v_cmpx_ne_u32_e32 0x7f, v96
	s_cbranch_execz .LBB361_121
; %bb.118:                              ;   in Loop: Header=BB361_11 Depth=1
	v_and_b32_e32 v8, 7, v32
	v_lshrrev_b32_e32 v33, 3, v96
	s_mov_b32 s20, exec_lo
	v_cmpx_gt_u32_e32 8, v96
; %bb.119:                              ;   in Loop: Header=BB361_11 Depth=1
	s_delay_alu instid0(VALU_DEP_3) | instskip(NEXT) | instid1(VALU_DEP_1)
	v_clz_i32_u32_e32 v33, v8
	v_min_u32_e32 v33, 32, v33
	s_delay_alu instid0(VALU_DEP_1) | instskip(SKIP_1) | instid1(VALU_DEP_2)
	v_subrev_nc_u32_e32 v87, 28, v33
	v_sub_nc_u32_e32 v33, 29, v33
	v_lshlrev_b64 v[96:97], v87, v[8:9]
	s_delay_alu instid0(VALU_DEP_1)
	v_and_b32_e32 v8, 7, v96
; %bb.120:                              ;   in Loop: Header=BB361_11 Depth=1
	s_or_b32 exec_lo, exec_lo, s20
	v_lshlrev_b32_e32 v32, 8, v32
	v_lshl_add_u32 v33, v33, 10, 0x2000
	s_delay_alu instid0(VALU_DEP_1) | instskip(NEXT) | instid1(VALU_DEP_1)
	v_and_or_b32 v32, 0x8000, v32, v33
	v_lshl_or_b32 v8, v8, 7, v32
	s_delay_alu instid0(VALU_DEP_1)
	v_cvt_f32_f16_e32 v87, v8
.LBB361_121:                            ;   in Loop: Header=BB361_11 Depth=1
	s_or_b32 exec_lo, exec_lo, s19
.LBB361_122:                            ;   in Loop: Header=BB361_11 Depth=1
	s_delay_alu instid0(SALU_CYCLE_1)
	s_or_b32 exec_lo, exec_lo, s18
.LBB361_123:                            ;   in Loop: Header=BB361_11 Depth=1
	s_delay_alu instid0(SALU_CYCLE_1) | instskip(SKIP_2) | instid1(VALU_DEP_1)
	s_or_b32 exec_lo, exec_lo, s17
	v_lshrrev_b32_e32 v32, 16, v31
	s_mov_b32 s17, exec_lo
	v_and_b32_e32 v8, 0xff, v32
	s_delay_alu instid0(VALU_DEP_1)
	v_cmpx_ne_u16_e32 0, v8
	s_cbranch_execz .LBB361_131
; %bb.124:                              ;   in Loop: Header=BB361_11 Depth=1
	v_bfrev_b32_e32 v86, 1
	s_mov_b32 s18, exec_lo
	v_cmpx_ne_u16_e32 0x80, v8
	s_cbranch_execz .LBB361_130
; %bb.125:                              ;   in Loop: Header=BB361_11 Depth=1
	v_bfe_u32 v96, v31, 16, 7
	v_mov_b32_e32 v86, 0x7fc02000
	s_mov_b32 s19, exec_lo
	s_delay_alu instid0(VALU_DEP_2)
	v_cmpx_ne_u32_e32 0x7f, v96
	s_cbranch_execz .LBB361_129
; %bb.126:                              ;   in Loop: Header=BB361_11 Depth=1
	v_and_b32_e32 v8, 7, v32
	v_lshrrev_b32_e32 v33, 3, v96
	s_mov_b32 s20, exec_lo
	v_cmpx_gt_u32_e32 8, v96
; %bb.127:                              ;   in Loop: Header=BB361_11 Depth=1
	s_delay_alu instid0(VALU_DEP_3) | instskip(NEXT) | instid1(VALU_DEP_1)
	v_clz_i32_u32_e32 v33, v8
	v_min_u32_e32 v33, 32, v33
	s_delay_alu instid0(VALU_DEP_1) | instskip(SKIP_1) | instid1(VALU_DEP_2)
	v_subrev_nc_u32_e32 v86, 28, v33
	v_sub_nc_u32_e32 v33, 29, v33
	v_lshlrev_b64 v[96:97], v86, v[8:9]
	s_delay_alu instid0(VALU_DEP_1)
	v_and_b32_e32 v8, 7, v96
; %bb.128:                              ;   in Loop: Header=BB361_11 Depth=1
	s_or_b32 exec_lo, exec_lo, s20
	v_lshlrev_b32_e32 v32, 8, v32
	v_lshl_add_u32 v33, v33, 10, 0x2000
	s_delay_alu instid0(VALU_DEP_1) | instskip(NEXT) | instid1(VALU_DEP_1)
	v_and_or_b32 v32, 0x8000, v32, v33
	v_lshl_or_b32 v8, v8, 7, v32
	s_delay_alu instid0(VALU_DEP_1)
	v_cvt_f32_f16_e32 v86, v8
.LBB361_129:                            ;   in Loop: Header=BB361_11 Depth=1
	s_or_b32 exec_lo, exec_lo, s19
.LBB361_130:                            ;   in Loop: Header=BB361_11 Depth=1
	s_delay_alu instid0(SALU_CYCLE_1)
	s_or_b32 exec_lo, exec_lo, s18
.LBB361_131:                            ;   in Loop: Header=BB361_11 Depth=1
	s_delay_alu instid0(SALU_CYCLE_1)
	s_or_b32 exec_lo, exec_lo, s17
	v_dual_mov_b32 v97, 0 :: v_dual_mov_b32 v96, 0
	s_mov_b32 s17, exec_lo
	v_cmpx_lt_u64_e64 s[2:3], v[30:31]
	s_cbranch_execz .LBB361_139
; %bb.132:                              ;   in Loop: Header=BB361_11 Depth=1
	v_lshrrev_b32_e32 v30, 24, v31
	v_bfrev_b32_e32 v96, 1
	s_mov_b32 s18, exec_lo
	s_delay_alu instid0(VALU_DEP_2)
	v_cmpx_ne_u32_e32 0x80, v30
	s_cbranch_execz .LBB361_138
; %bb.133:                              ;   in Loop: Header=BB361_11 Depth=1
	v_and_b32_e32 v32, 0x7f, v30
	v_mov_b32_e32 v96, 0x7fc02000
	s_mov_b32 s19, exec_lo
	s_delay_alu instid0(VALU_DEP_2)
	v_cmpx_ne_u32_e32 0x7f, v32
	s_cbranch_execz .LBB361_137
; %bb.134:                              ;   in Loop: Header=BB361_11 Depth=1
	v_and_b32_e32 v8, 7, v30
	v_lshrrev_b32_e32 v31, 3, v32
	s_mov_b32 s20, exec_lo
	v_cmpx_gt_u32_e32 8, v32
; %bb.135:                              ;   in Loop: Header=BB361_11 Depth=1
	s_delay_alu instid0(VALU_DEP_3) | instskip(NEXT) | instid1(VALU_DEP_1)
	v_clz_i32_u32_e32 v31, v8
	v_min_u32_e32 v31, 32, v31
	s_delay_alu instid0(VALU_DEP_1) | instskip(SKIP_1) | instid1(VALU_DEP_2)
	v_subrev_nc_u32_e32 v32, 28, v31
	v_sub_nc_u32_e32 v31, 29, v31
	v_lshlrev_b64 v[32:33], v32, v[8:9]
	s_delay_alu instid0(VALU_DEP_1)
	v_and_b32_e32 v8, 7, v32
; %bb.136:                              ;   in Loop: Header=BB361_11 Depth=1
	s_or_b32 exec_lo, exec_lo, s20
	v_lshlrev_b32_e32 v30, 8, v30
	v_lshl_add_u32 v31, v31, 10, 0x2000
	s_delay_alu instid0(VALU_DEP_1) | instskip(NEXT) | instid1(VALU_DEP_1)
	v_and_or_b32 v30, 0x8000, v30, v31
	v_lshl_or_b32 v8, v8, 7, v30
	s_delay_alu instid0(VALU_DEP_1)
	v_cvt_f32_f16_e32 v96, v8
.LBB361_137:                            ;   in Loop: Header=BB361_11 Depth=1
	s_or_b32 exec_lo, exec_lo, s19
.LBB361_138:                            ;   in Loop: Header=BB361_11 Depth=1
	s_delay_alu instid0(SALU_CYCLE_1)
	s_or_b32 exec_lo, exec_lo, s18
.LBB361_139:                            ;   in Loop: Header=BB361_11 Depth=1
	s_delay_alu instid0(SALU_CYCLE_1) | instskip(SKIP_4) | instid1(VALU_DEP_1)
	s_or_b32 exec_lo, exec_lo, s17
	flat_load_b64 v[30:31], v[28:29] offset:512
	s_mov_b32 s17, exec_lo
	s_waitcnt vmcnt(0) lgkmcnt(0)
	v_and_b32_e32 v8, 0xff, v30
	v_cmpx_ne_u16_e32 0, v8
	s_cbranch_execz .LBB361_147
; %bb.140:                              ;   in Loop: Header=BB361_11 Depth=1
	v_bfrev_b32_e32 v97, 1
	s_mov_b32 s18, exec_lo
	v_cmpx_ne_u16_e32 0x80, v8
	s_cbranch_execz .LBB361_146
; %bb.141:                              ;   in Loop: Header=BB361_11 Depth=1
	v_and_b32_e32 v32, 0x7f, v30
	v_mov_b32_e32 v97, 0x7fc02000
	s_mov_b32 s19, exec_lo
	s_delay_alu instid0(VALU_DEP_2)
	v_cmpx_ne_u32_e32 0x7f, v32
	s_cbranch_execz .LBB361_145
; %bb.142:                              ;   in Loop: Header=BB361_11 Depth=1
	v_lshrrev_b32_e32 v8, 3, v32
	v_cmp_gt_u32_e64 s1, 8, v32
	v_dual_mov_b32 v33, v31 :: v_dual_mov_b32 v32, v30
	s_delay_alu instid0(VALU_DEP_2)
	s_and_saveexec_b32 s20, s1
; %bb.143:                              ;   in Loop: Header=BB361_11 Depth=1
	v_and_b32_e32 v8, 7, v30
	s_delay_alu instid0(VALU_DEP_1) | instskip(NEXT) | instid1(VALU_DEP_1)
	v_clz_i32_u32_e32 v8, v8
	v_min_u32_e32 v8, 32, v8
	s_delay_alu instid0(VALU_DEP_1) | instskip(SKIP_1) | instid1(VALU_DEP_2)
	v_subrev_nc_u32_e32 v32, 28, v8
	v_sub_nc_u32_e32 v8, 29, v8
	v_lshlrev_b64 v[32:33], v32, v[30:31]
; %bb.144:                              ;   in Loop: Header=BB361_11 Depth=1
	s_or_b32 exec_lo, exec_lo, s20
	v_lshlrev_b32_e32 v33, 8, v30
	s_delay_alu instid0(VALU_DEP_3) | instskip(NEXT) | instid1(VALU_DEP_3)
	v_lshl_add_u32 v8, v8, 10, 0x2000
	v_lshlrev_b32_e32 v32, 7, v32
	s_delay_alu instid0(VALU_DEP_2) | instskip(NEXT) | instid1(VALU_DEP_1)
	v_and_or_b32 v8, 0x8000, v33, v8
	v_and_or_b32 v8, 0x380, v32, v8
	s_delay_alu instid0(VALU_DEP_1)
	v_cvt_f32_f16_e32 v97, v8
.LBB361_145:                            ;   in Loop: Header=BB361_11 Depth=1
	s_or_b32 exec_lo, exec_lo, s19
.LBB361_146:                            ;   in Loop: Header=BB361_11 Depth=1
	s_delay_alu instid0(SALU_CYCLE_1)
	s_or_b32 exec_lo, exec_lo, s18
.LBB361_147:                            ;   in Loop: Header=BB361_11 Depth=1
	s_delay_alu instid0(SALU_CYCLE_1) | instskip(SKIP_3) | instid1(VALU_DEP_2)
	s_or_b32 exec_lo, exec_lo, s17
	v_lshrrev_b16 v8, 8, v30
	v_dual_mov_b32 v98, 0 :: v_dual_mov_b32 v99, 0
	s_mov_b32 s17, exec_lo
	v_cmpx_ne_u16_e32 0, v8
	s_cbranch_execz .LBB361_155
; %bb.148:                              ;   in Loop: Header=BB361_11 Depth=1
	v_bfrev_b32_e32 v99, 1
	s_mov_b32 s18, exec_lo
	v_cmpx_ne_u16_e32 0x80, v8
	s_cbranch_execz .LBB361_154
; %bb.149:                              ;   in Loop: Header=BB361_11 Depth=1
	v_and_b32_e32 v32, 0xffff, v8
	v_mov_b32_e32 v99, 0x7fc02000
	s_mov_b32 s19, exec_lo
	s_delay_alu instid0(VALU_DEP_2) | instskip(NEXT) | instid1(VALU_DEP_1)
	v_and_b32_e32 v100, 0x7f, v32
	v_cmpx_ne_u32_e32 0x7f, v100
	s_cbranch_execz .LBB361_153
; %bb.150:                              ;   in Loop: Header=BB361_11 Depth=1
	v_and_b32_e32 v8, 7, v32
	v_lshrrev_b32_e32 v33, 3, v100
	s_mov_b32 s20, exec_lo
	v_cmpx_gt_u32_e32 8, v100
; %bb.151:                              ;   in Loop: Header=BB361_11 Depth=1
	s_delay_alu instid0(VALU_DEP_3) | instskip(NEXT) | instid1(VALU_DEP_1)
	v_clz_i32_u32_e32 v33, v8
	v_min_u32_e32 v33, 32, v33
	s_delay_alu instid0(VALU_DEP_1) | instskip(SKIP_1) | instid1(VALU_DEP_2)
	v_subrev_nc_u32_e32 v99, 28, v33
	v_sub_nc_u32_e32 v33, 29, v33
	v_lshlrev_b64 v[99:100], v99, v[8:9]
	s_delay_alu instid0(VALU_DEP_1)
	v_and_b32_e32 v8, 7, v99
; %bb.152:                              ;   in Loop: Header=BB361_11 Depth=1
	s_or_b32 exec_lo, exec_lo, s20
	v_lshlrev_b32_e32 v32, 8, v32
	v_lshl_add_u32 v33, v33, 10, 0x2000
	s_delay_alu instid0(VALU_DEP_1) | instskip(NEXT) | instid1(VALU_DEP_1)
	v_and_or_b32 v32, 0x8000, v32, v33
	v_lshl_or_b32 v8, v8, 7, v32
	s_delay_alu instid0(VALU_DEP_1)
	v_cvt_f32_f16_e32 v99, v8
.LBB361_153:                            ;   in Loop: Header=BB361_11 Depth=1
	s_or_b32 exec_lo, exec_lo, s19
.LBB361_154:                            ;   in Loop: Header=BB361_11 Depth=1
	s_delay_alu instid0(SALU_CYCLE_1)
	s_or_b32 exec_lo, exec_lo, s18
.LBB361_155:                            ;   in Loop: Header=BB361_11 Depth=1
	s_delay_alu instid0(SALU_CYCLE_1) | instskip(SKIP_2) | instid1(VALU_DEP_1)
	s_or_b32 exec_lo, exec_lo, s17
	v_lshrrev_b32_e32 v32, 16, v30
	s_mov_b32 s17, exec_lo
	v_and_b32_e32 v8, 0xff, v32
	s_delay_alu instid0(VALU_DEP_1)
	v_cmpx_ne_u16_e32 0, v8
	s_cbranch_execz .LBB361_163
; %bb.156:                              ;   in Loop: Header=BB361_11 Depth=1
	v_bfrev_b32_e32 v98, 1
	s_mov_b32 s18, exec_lo
	v_cmpx_ne_u16_e32 0x80, v8
	s_cbranch_execz .LBB361_162
; %bb.157:                              ;   in Loop: Header=BB361_11 Depth=1
	v_bfe_u32 v100, v30, 16, 7
	v_mov_b32_e32 v98, 0x7fc02000
	s_mov_b32 s19, exec_lo
	s_delay_alu instid0(VALU_DEP_2)
	v_cmpx_ne_u32_e32 0x7f, v100
	s_cbranch_execz .LBB361_161
; %bb.158:                              ;   in Loop: Header=BB361_11 Depth=1
	v_and_b32_e32 v8, 7, v32
	v_lshrrev_b32_e32 v33, 3, v100
	s_mov_b32 s20, exec_lo
	v_cmpx_gt_u32_e32 8, v100
; %bb.159:                              ;   in Loop: Header=BB361_11 Depth=1
	s_delay_alu instid0(VALU_DEP_3) | instskip(NEXT) | instid1(VALU_DEP_1)
	v_clz_i32_u32_e32 v33, v8
	v_min_u32_e32 v33, 32, v33
	s_delay_alu instid0(VALU_DEP_1) | instskip(SKIP_1) | instid1(VALU_DEP_2)
	v_subrev_nc_u32_e32 v98, 28, v33
	v_sub_nc_u32_e32 v33, 29, v33
	v_lshlrev_b64 v[100:101], v98, v[8:9]
	s_delay_alu instid0(VALU_DEP_1)
	v_and_b32_e32 v8, 7, v100
; %bb.160:                              ;   in Loop: Header=BB361_11 Depth=1
	s_or_b32 exec_lo, exec_lo, s20
	v_lshlrev_b32_e32 v32, 8, v32
	v_lshl_add_u32 v33, v33, 10, 0x2000
	s_delay_alu instid0(VALU_DEP_1) | instskip(NEXT) | instid1(VALU_DEP_1)
	v_and_or_b32 v32, 0x8000, v32, v33
	v_lshl_or_b32 v8, v8, 7, v32
	s_delay_alu instid0(VALU_DEP_1)
	v_cvt_f32_f16_e32 v98, v8
.LBB361_161:                            ;   in Loop: Header=BB361_11 Depth=1
	s_or_b32 exec_lo, exec_lo, s19
.LBB361_162:                            ;   in Loop: Header=BB361_11 Depth=1
	s_delay_alu instid0(SALU_CYCLE_1)
	s_or_b32 exec_lo, exec_lo, s18
.LBB361_163:                            ;   in Loop: Header=BB361_11 Depth=1
	s_delay_alu instid0(SALU_CYCLE_1)
	s_or_b32 exec_lo, exec_lo, s17
	v_dual_mov_b32 v100, 0 :: v_dual_mov_b32 v101, 0
	s_mov_b32 s17, exec_lo
	v_cmpx_lt_u32_e32 0xffffff, v30
	s_cbranch_execz .LBB361_171
; %bb.164:                              ;   in Loop: Header=BB361_11 Depth=1
	v_lshrrev_b32_e32 v32, 24, v30
	v_bfrev_b32_e32 v101, 1
	s_mov_b32 s18, exec_lo
	s_delay_alu instid0(VALU_DEP_2)
	v_cmpx_ne_u32_e32 0x80, v32
	s_cbranch_execz .LBB361_170
; %bb.165:                              ;   in Loop: Header=BB361_11 Depth=1
	v_and_b32_e32 v102, 0x7f, v32
	v_mov_b32_e32 v101, 0x7fc02000
	s_mov_b32 s19, exec_lo
	s_delay_alu instid0(VALU_DEP_2)
	v_cmpx_ne_u32_e32 0x7f, v102
	s_cbranch_execz .LBB361_169
; %bb.166:                              ;   in Loop: Header=BB361_11 Depth=1
	v_and_b32_e32 v8, 7, v32
	v_lshrrev_b32_e32 v33, 3, v102
	s_mov_b32 s20, exec_lo
	v_cmpx_gt_u32_e32 8, v102
; %bb.167:                              ;   in Loop: Header=BB361_11 Depth=1
	s_delay_alu instid0(VALU_DEP_3) | instskip(NEXT) | instid1(VALU_DEP_1)
	v_clz_i32_u32_e32 v33, v8
	v_min_u32_e32 v33, 32, v33
	s_delay_alu instid0(VALU_DEP_1) | instskip(SKIP_1) | instid1(VALU_DEP_2)
	v_subrev_nc_u32_e32 v101, 28, v33
	v_sub_nc_u32_e32 v33, 29, v33
	v_lshlrev_b64 v[101:102], v101, v[8:9]
	s_delay_alu instid0(VALU_DEP_1)
	v_and_b32_e32 v8, 7, v101
; %bb.168:                              ;   in Loop: Header=BB361_11 Depth=1
	s_or_b32 exec_lo, exec_lo, s20
	v_lshlrev_b32_e32 v32, 8, v32
	v_lshl_add_u32 v33, v33, 10, 0x2000
	s_delay_alu instid0(VALU_DEP_1) | instskip(NEXT) | instid1(VALU_DEP_1)
	v_and_or_b32 v32, 0x8000, v32, v33
	v_lshl_or_b32 v8, v8, 7, v32
	s_delay_alu instid0(VALU_DEP_1)
	v_cvt_f32_f16_e32 v101, v8
.LBB361_169:                            ;   in Loop: Header=BB361_11 Depth=1
	s_or_b32 exec_lo, exec_lo, s19
.LBB361_170:                            ;   in Loop: Header=BB361_11 Depth=1
	s_delay_alu instid0(SALU_CYCLE_1)
	s_or_b32 exec_lo, exec_lo, s18
.LBB361_171:                            ;   in Loop: Header=BB361_11 Depth=1
	s_delay_alu instid0(SALU_CYCLE_1) | instskip(SKIP_3) | instid1(VALU_DEP_2)
	s_or_b32 exec_lo, exec_lo, s17
	v_and_b32_e32 v32, 0xff, v31
	v_mov_b32_e32 v8, v31
	s_mov_b32 s17, exec_lo
	v_cmpx_ne_u16_e32 0, v32
	s_cbranch_execz .LBB361_179
; %bb.172:                              ;   in Loop: Header=BB361_11 Depth=1
	v_bfrev_b32_e32 v100, 1
	s_mov_b32 s18, exec_lo
	v_cmpx_ne_u16_e32 0x80, v32
	s_cbranch_execz .LBB361_178
; %bb.173:                              ;   in Loop: Header=BB361_11 Depth=1
	v_and_b32_e32 v32, 0x7f, v31
	v_mov_b32_e32 v100, 0x7fc02000
	s_mov_b32 s19, exec_lo
	s_delay_alu instid0(VALU_DEP_2)
	v_cmpx_ne_u32_e32 0x7f, v32
	s_cbranch_execz .LBB361_177
; %bb.174:                              ;   in Loop: Header=BB361_11 Depth=1
	v_lshrrev_b32_e32 v100, 3, v32
	v_cmp_gt_u32_e64 s1, 8, v32
	v_dual_mov_b32 v33, v9 :: v_dual_mov_b32 v32, v8
	s_delay_alu instid0(VALU_DEP_2)
	s_and_saveexec_b32 s20, s1
; %bb.175:                              ;   in Loop: Header=BB361_11 Depth=1
	v_and_b32_e32 v32, 7, v31
	s_delay_alu instid0(VALU_DEP_1) | instskip(NEXT) | instid1(VALU_DEP_1)
	v_clz_i32_u32_e32 v32, v32
	v_min_u32_e32 v100, 32, v32
	s_delay_alu instid0(VALU_DEP_1) | instskip(SKIP_1) | instid1(VALU_DEP_2)
	v_subrev_nc_u32_e32 v32, 28, v100
	v_sub_nc_u32_e32 v100, 29, v100
	v_lshlrev_b64 v[32:33], v32, v[8:9]
; %bb.176:                              ;   in Loop: Header=BB361_11 Depth=1
	s_or_b32 exec_lo, exec_lo, s20
	v_lshlrev_b32_e32 v33, 8, v31
	s_delay_alu instid0(VALU_DEP_3) | instskip(NEXT) | instid1(VALU_DEP_3)
	v_lshl_add_u32 v100, v100, 10, 0x2000
	v_lshlrev_b32_e32 v32, 7, v32
	s_delay_alu instid0(VALU_DEP_2) | instskip(NEXT) | instid1(VALU_DEP_1)
	v_and_or_b32 v33, 0x8000, v33, v100
	v_and_or_b32 v32, 0x380, v32, v33
	s_delay_alu instid0(VALU_DEP_1)
	v_cvt_f32_f16_e32 v100, v32
.LBB361_177:                            ;   in Loop: Header=BB361_11 Depth=1
	s_or_b32 exec_lo, exec_lo, s19
.LBB361_178:                            ;   in Loop: Header=BB361_11 Depth=1
	s_delay_alu instid0(SALU_CYCLE_1)
	s_or_b32 exec_lo, exec_lo, s18
.LBB361_179:                            ;   in Loop: Header=BB361_11 Depth=1
	s_delay_alu instid0(SALU_CYCLE_1) | instskip(SKIP_3) | instid1(VALU_DEP_2)
	s_or_b32 exec_lo, exec_lo, s17
	v_lshrrev_b16 v8, 8, v8
	v_dual_mov_b32 v102, 0 :: v_dual_mov_b32 v103, 0
	s_mov_b32 s17, exec_lo
	v_cmpx_ne_u16_e32 0, v8
	s_cbranch_execz .LBB361_187
; %bb.180:                              ;   in Loop: Header=BB361_11 Depth=1
	v_bfrev_b32_e32 v103, 1
	s_mov_b32 s18, exec_lo
	v_cmpx_ne_u16_e32 0x80, v8
	s_cbranch_execz .LBB361_186
; %bb.181:                              ;   in Loop: Header=BB361_11 Depth=1
	v_and_b32_e32 v32, 0xffff, v8
	v_mov_b32_e32 v103, 0x7fc02000
	s_mov_b32 s19, exec_lo
	s_delay_alu instid0(VALU_DEP_2) | instskip(NEXT) | instid1(VALU_DEP_1)
	v_and_b32_e32 v112, 0x7f, v32
	v_cmpx_ne_u32_e32 0x7f, v112
	s_cbranch_execz .LBB361_185
; %bb.182:                              ;   in Loop: Header=BB361_11 Depth=1
	v_and_b32_e32 v8, 7, v32
	v_lshrrev_b32_e32 v33, 3, v112
	s_mov_b32 s20, exec_lo
	v_cmpx_gt_u32_e32 8, v112
; %bb.183:                              ;   in Loop: Header=BB361_11 Depth=1
	s_delay_alu instid0(VALU_DEP_3) | instskip(NEXT) | instid1(VALU_DEP_1)
	v_clz_i32_u32_e32 v33, v8
	v_min_u32_e32 v33, 32, v33
	s_delay_alu instid0(VALU_DEP_1) | instskip(SKIP_1) | instid1(VALU_DEP_2)
	v_subrev_nc_u32_e32 v103, 28, v33
	v_sub_nc_u32_e32 v33, 29, v33
	v_lshlrev_b64 v[112:113], v103, v[8:9]
	s_delay_alu instid0(VALU_DEP_1)
	v_and_b32_e32 v8, 7, v112
; %bb.184:                              ;   in Loop: Header=BB361_11 Depth=1
	s_or_b32 exec_lo, exec_lo, s20
	v_lshlrev_b32_e32 v32, 8, v32
	v_lshl_add_u32 v33, v33, 10, 0x2000
	s_delay_alu instid0(VALU_DEP_1) | instskip(NEXT) | instid1(VALU_DEP_1)
	v_and_or_b32 v32, 0x8000, v32, v33
	v_lshl_or_b32 v8, v8, 7, v32
	s_delay_alu instid0(VALU_DEP_1)
	v_cvt_f32_f16_e32 v103, v8
.LBB361_185:                            ;   in Loop: Header=BB361_11 Depth=1
	s_or_b32 exec_lo, exec_lo, s19
.LBB361_186:                            ;   in Loop: Header=BB361_11 Depth=1
	s_delay_alu instid0(SALU_CYCLE_1)
	s_or_b32 exec_lo, exec_lo, s18
.LBB361_187:                            ;   in Loop: Header=BB361_11 Depth=1
	s_delay_alu instid0(SALU_CYCLE_1) | instskip(SKIP_2) | instid1(VALU_DEP_1)
	s_or_b32 exec_lo, exec_lo, s17
	v_lshrrev_b32_e32 v32, 16, v31
	s_mov_b32 s17, exec_lo
	v_and_b32_e32 v8, 0xff, v32
	s_delay_alu instid0(VALU_DEP_1)
	v_cmpx_ne_u16_e32 0, v8
	s_cbranch_execz .LBB361_195
; %bb.188:                              ;   in Loop: Header=BB361_11 Depth=1
	v_bfrev_b32_e32 v102, 1
	s_mov_b32 s18, exec_lo
	v_cmpx_ne_u16_e32 0x80, v8
	s_cbranch_execz .LBB361_194
; %bb.189:                              ;   in Loop: Header=BB361_11 Depth=1
	v_bfe_u32 v112, v31, 16, 7
	v_mov_b32_e32 v102, 0x7fc02000
	s_mov_b32 s19, exec_lo
	s_delay_alu instid0(VALU_DEP_2)
	v_cmpx_ne_u32_e32 0x7f, v112
	s_cbranch_execz .LBB361_193
; %bb.190:                              ;   in Loop: Header=BB361_11 Depth=1
	v_and_b32_e32 v8, 7, v32
	v_lshrrev_b32_e32 v33, 3, v112
	s_mov_b32 s20, exec_lo
	v_cmpx_gt_u32_e32 8, v112
; %bb.191:                              ;   in Loop: Header=BB361_11 Depth=1
	s_delay_alu instid0(VALU_DEP_3) | instskip(NEXT) | instid1(VALU_DEP_1)
	v_clz_i32_u32_e32 v33, v8
	v_min_u32_e32 v33, 32, v33
	s_delay_alu instid0(VALU_DEP_1) | instskip(SKIP_1) | instid1(VALU_DEP_2)
	v_subrev_nc_u32_e32 v102, 28, v33
	v_sub_nc_u32_e32 v33, 29, v33
	v_lshlrev_b64 v[112:113], v102, v[8:9]
	s_delay_alu instid0(VALU_DEP_1)
	v_and_b32_e32 v8, 7, v112
; %bb.192:                              ;   in Loop: Header=BB361_11 Depth=1
	s_or_b32 exec_lo, exec_lo, s20
	v_lshlrev_b32_e32 v32, 8, v32
	v_lshl_add_u32 v33, v33, 10, 0x2000
	s_delay_alu instid0(VALU_DEP_1) | instskip(NEXT) | instid1(VALU_DEP_1)
	v_and_or_b32 v32, 0x8000, v32, v33
	v_lshl_or_b32 v8, v8, 7, v32
	s_delay_alu instid0(VALU_DEP_1)
	v_cvt_f32_f16_e32 v102, v8
.LBB361_193:                            ;   in Loop: Header=BB361_11 Depth=1
	s_or_b32 exec_lo, exec_lo, s19
.LBB361_194:                            ;   in Loop: Header=BB361_11 Depth=1
	s_delay_alu instid0(SALU_CYCLE_1)
	s_or_b32 exec_lo, exec_lo, s18
.LBB361_195:                            ;   in Loop: Header=BB361_11 Depth=1
	s_delay_alu instid0(SALU_CYCLE_1)
	s_or_b32 exec_lo, exec_lo, s17
	v_dual_mov_b32 v113, 0 :: v_dual_mov_b32 v112, 0
	s_mov_b32 s17, exec_lo
	v_cmpx_lt_u64_e64 s[2:3], v[30:31]
	s_cbranch_execz .LBB361_203
; %bb.196:                              ;   in Loop: Header=BB361_11 Depth=1
	v_lshrrev_b32_e32 v30, 24, v31
	v_bfrev_b32_e32 v112, 1
	s_mov_b32 s18, exec_lo
	s_delay_alu instid0(VALU_DEP_2)
	v_cmpx_ne_u32_e32 0x80, v30
	s_cbranch_execz .LBB361_202
; %bb.197:                              ;   in Loop: Header=BB361_11 Depth=1
	v_and_b32_e32 v32, 0x7f, v30
	v_mov_b32_e32 v112, 0x7fc02000
	s_mov_b32 s19, exec_lo
	s_delay_alu instid0(VALU_DEP_2)
	v_cmpx_ne_u32_e32 0x7f, v32
	s_cbranch_execz .LBB361_201
; %bb.198:                              ;   in Loop: Header=BB361_11 Depth=1
	v_and_b32_e32 v8, 7, v30
	v_lshrrev_b32_e32 v31, 3, v32
	s_mov_b32 s20, exec_lo
	v_cmpx_gt_u32_e32 8, v32
; %bb.199:                              ;   in Loop: Header=BB361_11 Depth=1
	s_delay_alu instid0(VALU_DEP_3) | instskip(NEXT) | instid1(VALU_DEP_1)
	v_clz_i32_u32_e32 v31, v8
	v_min_u32_e32 v31, 32, v31
	s_delay_alu instid0(VALU_DEP_1) | instskip(SKIP_1) | instid1(VALU_DEP_2)
	v_subrev_nc_u32_e32 v32, 28, v31
	v_sub_nc_u32_e32 v31, 29, v31
	v_lshlrev_b64 v[32:33], v32, v[8:9]
	s_delay_alu instid0(VALU_DEP_1)
	v_and_b32_e32 v8, 7, v32
; %bb.200:                              ;   in Loop: Header=BB361_11 Depth=1
	s_or_b32 exec_lo, exec_lo, s20
	v_lshlrev_b32_e32 v30, 8, v30
	v_lshl_add_u32 v31, v31, 10, 0x2000
	s_delay_alu instid0(VALU_DEP_1) | instskip(NEXT) | instid1(VALU_DEP_1)
	v_and_or_b32 v30, 0x8000, v30, v31
	v_lshl_or_b32 v8, v8, 7, v30
	s_delay_alu instid0(VALU_DEP_1)
	v_cvt_f32_f16_e32 v112, v8
.LBB361_201:                            ;   in Loop: Header=BB361_11 Depth=1
	s_or_b32 exec_lo, exec_lo, s19
.LBB361_202:                            ;   in Loop: Header=BB361_11 Depth=1
	s_delay_alu instid0(SALU_CYCLE_1)
	s_or_b32 exec_lo, exec_lo, s18
.LBB361_203:                            ;   in Loop: Header=BB361_11 Depth=1
	s_delay_alu instid0(SALU_CYCLE_1) | instskip(SKIP_4) | instid1(VALU_DEP_1)
	s_or_b32 exec_lo, exec_lo, s17
	flat_load_b64 v[30:31], v[28:29] offset:520
	s_mov_b32 s17, exec_lo
	s_waitcnt vmcnt(0) lgkmcnt(0)
	v_and_b32_e32 v8, 0xff, v30
	v_cmpx_ne_u16_e32 0, v8
	s_cbranch_execz .LBB361_211
; %bb.204:                              ;   in Loop: Header=BB361_11 Depth=1
	v_bfrev_b32_e32 v113, 1
	s_mov_b32 s18, exec_lo
	v_cmpx_ne_u16_e32 0x80, v8
	s_cbranch_execz .LBB361_210
; %bb.205:                              ;   in Loop: Header=BB361_11 Depth=1
	v_and_b32_e32 v32, 0x7f, v30
	v_mov_b32_e32 v113, 0x7fc02000
	s_mov_b32 s19, exec_lo
	s_delay_alu instid0(VALU_DEP_2)
	v_cmpx_ne_u32_e32 0x7f, v32
	s_cbranch_execz .LBB361_209
; %bb.206:                              ;   in Loop: Header=BB361_11 Depth=1
	v_lshrrev_b32_e32 v8, 3, v32
	v_cmp_gt_u32_e64 s1, 8, v32
	v_dual_mov_b32 v33, v31 :: v_dual_mov_b32 v32, v30
	s_delay_alu instid0(VALU_DEP_2)
	s_and_saveexec_b32 s20, s1
; %bb.207:                              ;   in Loop: Header=BB361_11 Depth=1
	v_and_b32_e32 v8, 7, v30
	s_delay_alu instid0(VALU_DEP_1) | instskip(NEXT) | instid1(VALU_DEP_1)
	v_clz_i32_u32_e32 v8, v8
	v_min_u32_e32 v8, 32, v8
	s_delay_alu instid0(VALU_DEP_1) | instskip(SKIP_1) | instid1(VALU_DEP_2)
	v_subrev_nc_u32_e32 v32, 28, v8
	v_sub_nc_u32_e32 v8, 29, v8
	v_lshlrev_b64 v[32:33], v32, v[30:31]
; %bb.208:                              ;   in Loop: Header=BB361_11 Depth=1
	s_or_b32 exec_lo, exec_lo, s20
	v_lshlrev_b32_e32 v33, 8, v30
	s_delay_alu instid0(VALU_DEP_3) | instskip(NEXT) | instid1(VALU_DEP_3)
	v_lshl_add_u32 v8, v8, 10, 0x2000
	v_lshlrev_b32_e32 v32, 7, v32
	s_delay_alu instid0(VALU_DEP_2) | instskip(NEXT) | instid1(VALU_DEP_1)
	v_and_or_b32 v8, 0x8000, v33, v8
	v_and_or_b32 v8, 0x380, v32, v8
	s_delay_alu instid0(VALU_DEP_1)
	v_cvt_f32_f16_e32 v113, v8
.LBB361_209:                            ;   in Loop: Header=BB361_11 Depth=1
	s_or_b32 exec_lo, exec_lo, s19
.LBB361_210:                            ;   in Loop: Header=BB361_11 Depth=1
	s_delay_alu instid0(SALU_CYCLE_1)
	s_or_b32 exec_lo, exec_lo, s18
.LBB361_211:                            ;   in Loop: Header=BB361_11 Depth=1
	s_delay_alu instid0(SALU_CYCLE_1) | instskip(SKIP_3) | instid1(VALU_DEP_2)
	s_or_b32 exec_lo, exec_lo, s17
	v_lshrrev_b16 v8, 8, v30
	v_dual_mov_b32 v114, 0 :: v_dual_mov_b32 v115, 0
	s_mov_b32 s17, exec_lo
	v_cmpx_ne_u16_e32 0, v8
	s_cbranch_execz .LBB361_219
; %bb.212:                              ;   in Loop: Header=BB361_11 Depth=1
	v_bfrev_b32_e32 v115, 1
	s_mov_b32 s18, exec_lo
	v_cmpx_ne_u16_e32 0x80, v8
	s_cbranch_execz .LBB361_218
; %bb.213:                              ;   in Loop: Header=BB361_11 Depth=1
	v_and_b32_e32 v32, 0xffff, v8
	v_mov_b32_e32 v115, 0x7fc02000
	s_mov_b32 s19, exec_lo
	s_delay_alu instid0(VALU_DEP_2) | instskip(NEXT) | instid1(VALU_DEP_1)
	v_and_b32_e32 v116, 0x7f, v32
	v_cmpx_ne_u32_e32 0x7f, v116
	s_cbranch_execz .LBB361_217
; %bb.214:                              ;   in Loop: Header=BB361_11 Depth=1
	v_and_b32_e32 v8, 7, v32
	v_lshrrev_b32_e32 v33, 3, v116
	s_mov_b32 s20, exec_lo
	v_cmpx_gt_u32_e32 8, v116
; %bb.215:                              ;   in Loop: Header=BB361_11 Depth=1
	s_delay_alu instid0(VALU_DEP_3) | instskip(NEXT) | instid1(VALU_DEP_1)
	v_clz_i32_u32_e32 v33, v8
	v_min_u32_e32 v33, 32, v33
	s_delay_alu instid0(VALU_DEP_1) | instskip(SKIP_1) | instid1(VALU_DEP_2)
	v_subrev_nc_u32_e32 v115, 28, v33
	v_sub_nc_u32_e32 v33, 29, v33
	v_lshlrev_b64 v[115:116], v115, v[8:9]
	s_delay_alu instid0(VALU_DEP_1)
	v_and_b32_e32 v8, 7, v115
; %bb.216:                              ;   in Loop: Header=BB361_11 Depth=1
	s_or_b32 exec_lo, exec_lo, s20
	v_lshlrev_b32_e32 v32, 8, v32
	v_lshl_add_u32 v33, v33, 10, 0x2000
	s_delay_alu instid0(VALU_DEP_1) | instskip(NEXT) | instid1(VALU_DEP_1)
	v_and_or_b32 v32, 0x8000, v32, v33
	v_lshl_or_b32 v8, v8, 7, v32
	s_delay_alu instid0(VALU_DEP_1)
	v_cvt_f32_f16_e32 v115, v8
.LBB361_217:                            ;   in Loop: Header=BB361_11 Depth=1
	s_or_b32 exec_lo, exec_lo, s19
.LBB361_218:                            ;   in Loop: Header=BB361_11 Depth=1
	s_delay_alu instid0(SALU_CYCLE_1)
	s_or_b32 exec_lo, exec_lo, s18
.LBB361_219:                            ;   in Loop: Header=BB361_11 Depth=1
	s_delay_alu instid0(SALU_CYCLE_1) | instskip(SKIP_2) | instid1(VALU_DEP_1)
	s_or_b32 exec_lo, exec_lo, s17
	v_lshrrev_b32_e32 v32, 16, v30
	s_mov_b32 s17, exec_lo
	v_and_b32_e32 v8, 0xff, v32
	s_delay_alu instid0(VALU_DEP_1)
	v_cmpx_ne_u16_e32 0, v8
	s_cbranch_execz .LBB361_227
; %bb.220:                              ;   in Loop: Header=BB361_11 Depth=1
	v_bfrev_b32_e32 v114, 1
	s_mov_b32 s18, exec_lo
	v_cmpx_ne_u16_e32 0x80, v8
	s_cbranch_execz .LBB361_226
; %bb.221:                              ;   in Loop: Header=BB361_11 Depth=1
	v_bfe_u32 v116, v30, 16, 7
	v_mov_b32_e32 v114, 0x7fc02000
	s_mov_b32 s19, exec_lo
	s_delay_alu instid0(VALU_DEP_2)
	v_cmpx_ne_u32_e32 0x7f, v116
	s_cbranch_execz .LBB361_225
; %bb.222:                              ;   in Loop: Header=BB361_11 Depth=1
	v_and_b32_e32 v8, 7, v32
	v_lshrrev_b32_e32 v33, 3, v116
	s_mov_b32 s20, exec_lo
	v_cmpx_gt_u32_e32 8, v116
; %bb.223:                              ;   in Loop: Header=BB361_11 Depth=1
	s_delay_alu instid0(VALU_DEP_3) | instskip(NEXT) | instid1(VALU_DEP_1)
	v_clz_i32_u32_e32 v33, v8
	v_min_u32_e32 v33, 32, v33
	s_delay_alu instid0(VALU_DEP_1) | instskip(SKIP_1) | instid1(VALU_DEP_2)
	v_subrev_nc_u32_e32 v114, 28, v33
	v_sub_nc_u32_e32 v33, 29, v33
	v_lshlrev_b64 v[116:117], v114, v[8:9]
	s_delay_alu instid0(VALU_DEP_1)
	v_and_b32_e32 v8, 7, v116
; %bb.224:                              ;   in Loop: Header=BB361_11 Depth=1
	s_or_b32 exec_lo, exec_lo, s20
	v_lshlrev_b32_e32 v32, 8, v32
	v_lshl_add_u32 v33, v33, 10, 0x2000
	s_delay_alu instid0(VALU_DEP_1) | instskip(NEXT) | instid1(VALU_DEP_1)
	v_and_or_b32 v32, 0x8000, v32, v33
	v_lshl_or_b32 v8, v8, 7, v32
	s_delay_alu instid0(VALU_DEP_1)
	v_cvt_f32_f16_e32 v114, v8
.LBB361_225:                            ;   in Loop: Header=BB361_11 Depth=1
	s_or_b32 exec_lo, exec_lo, s19
.LBB361_226:                            ;   in Loop: Header=BB361_11 Depth=1
	s_delay_alu instid0(SALU_CYCLE_1)
	s_or_b32 exec_lo, exec_lo, s18
.LBB361_227:                            ;   in Loop: Header=BB361_11 Depth=1
	s_delay_alu instid0(SALU_CYCLE_1)
	s_or_b32 exec_lo, exec_lo, s17
	v_dual_mov_b32 v116, 0 :: v_dual_mov_b32 v117, 0
	s_mov_b32 s17, exec_lo
	v_cmpx_lt_u32_e32 0xffffff, v30
	s_cbranch_execz .LBB361_235
; %bb.228:                              ;   in Loop: Header=BB361_11 Depth=1
	v_lshrrev_b32_e32 v32, 24, v30
	v_bfrev_b32_e32 v117, 1
	s_mov_b32 s18, exec_lo
	s_delay_alu instid0(VALU_DEP_2)
	v_cmpx_ne_u32_e32 0x80, v32
	s_cbranch_execz .LBB361_234
; %bb.229:                              ;   in Loop: Header=BB361_11 Depth=1
	v_and_b32_e32 v118, 0x7f, v32
	v_mov_b32_e32 v117, 0x7fc02000
	s_mov_b32 s19, exec_lo
	s_delay_alu instid0(VALU_DEP_2)
	v_cmpx_ne_u32_e32 0x7f, v118
	s_cbranch_execz .LBB361_233
; %bb.230:                              ;   in Loop: Header=BB361_11 Depth=1
	v_and_b32_e32 v8, 7, v32
	v_lshrrev_b32_e32 v33, 3, v118
	s_mov_b32 s20, exec_lo
	v_cmpx_gt_u32_e32 8, v118
; %bb.231:                              ;   in Loop: Header=BB361_11 Depth=1
	s_delay_alu instid0(VALU_DEP_3) | instskip(NEXT) | instid1(VALU_DEP_1)
	v_clz_i32_u32_e32 v33, v8
	v_min_u32_e32 v33, 32, v33
	s_delay_alu instid0(VALU_DEP_1) | instskip(SKIP_1) | instid1(VALU_DEP_2)
	v_subrev_nc_u32_e32 v117, 28, v33
	v_sub_nc_u32_e32 v33, 29, v33
	v_lshlrev_b64 v[117:118], v117, v[8:9]
	s_delay_alu instid0(VALU_DEP_1)
	v_and_b32_e32 v8, 7, v117
; %bb.232:                              ;   in Loop: Header=BB361_11 Depth=1
	s_or_b32 exec_lo, exec_lo, s20
	v_lshlrev_b32_e32 v32, 8, v32
	v_lshl_add_u32 v33, v33, 10, 0x2000
	s_delay_alu instid0(VALU_DEP_1) | instskip(NEXT) | instid1(VALU_DEP_1)
	v_and_or_b32 v32, 0x8000, v32, v33
	v_lshl_or_b32 v8, v8, 7, v32
	s_delay_alu instid0(VALU_DEP_1)
	v_cvt_f32_f16_e32 v117, v8
.LBB361_233:                            ;   in Loop: Header=BB361_11 Depth=1
	s_or_b32 exec_lo, exec_lo, s19
.LBB361_234:                            ;   in Loop: Header=BB361_11 Depth=1
	s_delay_alu instid0(SALU_CYCLE_1)
	s_or_b32 exec_lo, exec_lo, s18
.LBB361_235:                            ;   in Loop: Header=BB361_11 Depth=1
	s_delay_alu instid0(SALU_CYCLE_1) | instskip(SKIP_3) | instid1(VALU_DEP_2)
	s_or_b32 exec_lo, exec_lo, s17
	v_and_b32_e32 v32, 0xff, v31
	v_mov_b32_e32 v8, v31
	s_mov_b32 s17, exec_lo
	v_cmpx_ne_u16_e32 0, v32
	s_cbranch_execz .LBB361_243
; %bb.236:                              ;   in Loop: Header=BB361_11 Depth=1
	v_bfrev_b32_e32 v116, 1
	s_mov_b32 s18, exec_lo
	v_cmpx_ne_u16_e32 0x80, v32
	s_cbranch_execz .LBB361_242
; %bb.237:                              ;   in Loop: Header=BB361_11 Depth=1
	v_and_b32_e32 v32, 0x7f, v31
	v_mov_b32_e32 v116, 0x7fc02000
	s_mov_b32 s19, exec_lo
	s_delay_alu instid0(VALU_DEP_2)
	v_cmpx_ne_u32_e32 0x7f, v32
	s_cbranch_execz .LBB361_241
; %bb.238:                              ;   in Loop: Header=BB361_11 Depth=1
	v_lshrrev_b32_e32 v116, 3, v32
	v_cmp_gt_u32_e64 s1, 8, v32
	v_dual_mov_b32 v33, v9 :: v_dual_mov_b32 v32, v8
	s_delay_alu instid0(VALU_DEP_2)
	s_and_saveexec_b32 s20, s1
; %bb.239:                              ;   in Loop: Header=BB361_11 Depth=1
	v_and_b32_e32 v32, 7, v31
	s_delay_alu instid0(VALU_DEP_1) | instskip(NEXT) | instid1(VALU_DEP_1)
	v_clz_i32_u32_e32 v32, v32
	v_min_u32_e32 v116, 32, v32
	s_delay_alu instid0(VALU_DEP_1) | instskip(SKIP_1) | instid1(VALU_DEP_2)
	v_subrev_nc_u32_e32 v32, 28, v116
	v_sub_nc_u32_e32 v116, 29, v116
	v_lshlrev_b64 v[32:33], v32, v[8:9]
; %bb.240:                              ;   in Loop: Header=BB361_11 Depth=1
	s_or_b32 exec_lo, exec_lo, s20
	v_lshlrev_b32_e32 v33, 8, v31
	s_delay_alu instid0(VALU_DEP_3) | instskip(NEXT) | instid1(VALU_DEP_3)
	v_lshl_add_u32 v116, v116, 10, 0x2000
	v_lshlrev_b32_e32 v32, 7, v32
	s_delay_alu instid0(VALU_DEP_2) | instskip(NEXT) | instid1(VALU_DEP_1)
	v_and_or_b32 v33, 0x8000, v33, v116
	v_and_or_b32 v32, 0x380, v32, v33
	s_delay_alu instid0(VALU_DEP_1)
	v_cvt_f32_f16_e32 v116, v32
.LBB361_241:                            ;   in Loop: Header=BB361_11 Depth=1
	s_or_b32 exec_lo, exec_lo, s19
.LBB361_242:                            ;   in Loop: Header=BB361_11 Depth=1
	s_delay_alu instid0(SALU_CYCLE_1)
	s_or_b32 exec_lo, exec_lo, s18
.LBB361_243:                            ;   in Loop: Header=BB361_11 Depth=1
	s_delay_alu instid0(SALU_CYCLE_1) | instskip(SKIP_3) | instid1(VALU_DEP_2)
	s_or_b32 exec_lo, exec_lo, s17
	v_lshrrev_b16 v8, 8, v8
	v_dual_mov_b32 v118, 0 :: v_dual_mov_b32 v119, 0
	s_mov_b32 s17, exec_lo
	v_cmpx_ne_u16_e32 0, v8
	s_cbranch_execz .LBB361_251
; %bb.244:                              ;   in Loop: Header=BB361_11 Depth=1
	v_bfrev_b32_e32 v119, 1
	s_mov_b32 s18, exec_lo
	v_cmpx_ne_u16_e32 0x80, v8
	s_cbranch_execz .LBB361_250
; %bb.245:                              ;   in Loop: Header=BB361_11 Depth=1
	v_and_b32_e32 v32, 0xffff, v8
	v_mov_b32_e32 v119, 0x7fc02000
	s_mov_b32 s19, exec_lo
	s_delay_alu instid0(VALU_DEP_2) | instskip(NEXT) | instid1(VALU_DEP_1)
	v_and_b32_e32 v128, 0x7f, v32
	v_cmpx_ne_u32_e32 0x7f, v128
	s_cbranch_execz .LBB361_249
; %bb.246:                              ;   in Loop: Header=BB361_11 Depth=1
	v_and_b32_e32 v8, 7, v32
	v_lshrrev_b32_e32 v33, 3, v128
	s_mov_b32 s20, exec_lo
	v_cmpx_gt_u32_e32 8, v128
; %bb.247:                              ;   in Loop: Header=BB361_11 Depth=1
	s_delay_alu instid0(VALU_DEP_3) | instskip(NEXT) | instid1(VALU_DEP_1)
	v_clz_i32_u32_e32 v33, v8
	v_min_u32_e32 v33, 32, v33
	s_delay_alu instid0(VALU_DEP_1) | instskip(SKIP_1) | instid1(VALU_DEP_2)
	v_subrev_nc_u32_e32 v119, 28, v33
	v_sub_nc_u32_e32 v33, 29, v33
	v_lshlrev_b64 v[128:129], v119, v[8:9]
	s_delay_alu instid0(VALU_DEP_1)
	v_and_b32_e32 v8, 7, v128
; %bb.248:                              ;   in Loop: Header=BB361_11 Depth=1
	s_or_b32 exec_lo, exec_lo, s20
	v_lshlrev_b32_e32 v32, 8, v32
	v_lshl_add_u32 v33, v33, 10, 0x2000
	s_delay_alu instid0(VALU_DEP_1) | instskip(NEXT) | instid1(VALU_DEP_1)
	v_and_or_b32 v32, 0x8000, v32, v33
	v_lshl_or_b32 v8, v8, 7, v32
	s_delay_alu instid0(VALU_DEP_1)
	v_cvt_f32_f16_e32 v119, v8
.LBB361_249:                            ;   in Loop: Header=BB361_11 Depth=1
	s_or_b32 exec_lo, exec_lo, s19
.LBB361_250:                            ;   in Loop: Header=BB361_11 Depth=1
	s_delay_alu instid0(SALU_CYCLE_1)
	s_or_b32 exec_lo, exec_lo, s18
.LBB361_251:                            ;   in Loop: Header=BB361_11 Depth=1
	s_delay_alu instid0(SALU_CYCLE_1) | instskip(SKIP_2) | instid1(VALU_DEP_1)
	s_or_b32 exec_lo, exec_lo, s17
	v_lshrrev_b32_e32 v32, 16, v31
	s_mov_b32 s17, exec_lo
	v_and_b32_e32 v8, 0xff, v32
	s_delay_alu instid0(VALU_DEP_1)
	v_cmpx_ne_u16_e32 0, v8
	s_cbranch_execz .LBB361_259
; %bb.252:                              ;   in Loop: Header=BB361_11 Depth=1
	v_bfrev_b32_e32 v118, 1
	s_mov_b32 s18, exec_lo
	v_cmpx_ne_u16_e32 0x80, v8
	s_cbranch_execz .LBB361_258
; %bb.253:                              ;   in Loop: Header=BB361_11 Depth=1
	v_bfe_u32 v128, v31, 16, 7
	v_mov_b32_e32 v118, 0x7fc02000
	s_mov_b32 s19, exec_lo
	s_delay_alu instid0(VALU_DEP_2)
	v_cmpx_ne_u32_e32 0x7f, v128
	s_cbranch_execz .LBB361_257
; %bb.254:                              ;   in Loop: Header=BB361_11 Depth=1
	v_and_b32_e32 v8, 7, v32
	v_lshrrev_b32_e32 v33, 3, v128
	s_mov_b32 s20, exec_lo
	v_cmpx_gt_u32_e32 8, v128
; %bb.255:                              ;   in Loop: Header=BB361_11 Depth=1
	s_delay_alu instid0(VALU_DEP_3) | instskip(NEXT) | instid1(VALU_DEP_1)
	v_clz_i32_u32_e32 v33, v8
	v_min_u32_e32 v33, 32, v33
	s_delay_alu instid0(VALU_DEP_1) | instskip(SKIP_1) | instid1(VALU_DEP_2)
	v_subrev_nc_u32_e32 v118, 28, v33
	v_sub_nc_u32_e32 v33, 29, v33
	v_lshlrev_b64 v[128:129], v118, v[8:9]
	s_delay_alu instid0(VALU_DEP_1)
	v_and_b32_e32 v8, 7, v128
; %bb.256:                              ;   in Loop: Header=BB361_11 Depth=1
	s_or_b32 exec_lo, exec_lo, s20
	v_lshlrev_b32_e32 v32, 8, v32
	v_lshl_add_u32 v33, v33, 10, 0x2000
	s_delay_alu instid0(VALU_DEP_1) | instskip(NEXT) | instid1(VALU_DEP_1)
	v_and_or_b32 v32, 0x8000, v32, v33
	v_lshl_or_b32 v8, v8, 7, v32
	s_delay_alu instid0(VALU_DEP_1)
	v_cvt_f32_f16_e32 v118, v8
.LBB361_257:                            ;   in Loop: Header=BB361_11 Depth=1
	s_or_b32 exec_lo, exec_lo, s19
.LBB361_258:                            ;   in Loop: Header=BB361_11 Depth=1
	s_delay_alu instid0(SALU_CYCLE_1)
	s_or_b32 exec_lo, exec_lo, s18
.LBB361_259:                            ;   in Loop: Header=BB361_11 Depth=1
	s_delay_alu instid0(SALU_CYCLE_1)
	s_or_b32 exec_lo, exec_lo, s17
	v_dual_mov_b32 v129, 0 :: v_dual_mov_b32 v128, 0
	s_mov_b32 s17, exec_lo
	v_cmpx_lt_u64_e64 s[2:3], v[30:31]
	s_cbranch_execz .LBB361_267
; %bb.260:                              ;   in Loop: Header=BB361_11 Depth=1
	v_lshrrev_b32_e32 v30, 24, v31
	v_bfrev_b32_e32 v128, 1
	s_mov_b32 s18, exec_lo
	s_delay_alu instid0(VALU_DEP_2)
	v_cmpx_ne_u32_e32 0x80, v30
	s_cbranch_execz .LBB361_266
; %bb.261:                              ;   in Loop: Header=BB361_11 Depth=1
	v_and_b32_e32 v32, 0x7f, v30
	v_mov_b32_e32 v128, 0x7fc02000
	s_mov_b32 s19, exec_lo
	s_delay_alu instid0(VALU_DEP_2)
	v_cmpx_ne_u32_e32 0x7f, v32
	s_cbranch_execz .LBB361_265
; %bb.262:                              ;   in Loop: Header=BB361_11 Depth=1
	v_and_b32_e32 v8, 7, v30
	v_lshrrev_b32_e32 v31, 3, v32
	s_mov_b32 s20, exec_lo
	v_cmpx_gt_u32_e32 8, v32
; %bb.263:                              ;   in Loop: Header=BB361_11 Depth=1
	s_delay_alu instid0(VALU_DEP_3) | instskip(NEXT) | instid1(VALU_DEP_1)
	v_clz_i32_u32_e32 v31, v8
	v_min_u32_e32 v31, 32, v31
	s_delay_alu instid0(VALU_DEP_1) | instskip(SKIP_1) | instid1(VALU_DEP_2)
	v_subrev_nc_u32_e32 v32, 28, v31
	v_sub_nc_u32_e32 v31, 29, v31
	v_lshlrev_b64 v[32:33], v32, v[8:9]
	s_delay_alu instid0(VALU_DEP_1)
	v_and_b32_e32 v8, 7, v32
; %bb.264:                              ;   in Loop: Header=BB361_11 Depth=1
	s_or_b32 exec_lo, exec_lo, s20
	v_lshlrev_b32_e32 v30, 8, v30
	v_lshl_add_u32 v31, v31, 10, 0x2000
	s_delay_alu instid0(VALU_DEP_1) | instskip(NEXT) | instid1(VALU_DEP_1)
	v_and_or_b32 v30, 0x8000, v30, v31
	v_lshl_or_b32 v8, v8, 7, v30
	s_delay_alu instid0(VALU_DEP_1)
	v_cvt_f32_f16_e64 v128, v8
.LBB361_265:                            ;   in Loop: Header=BB361_11 Depth=1
	s_or_b32 exec_lo, exec_lo, s19
.LBB361_266:                            ;   in Loop: Header=BB361_11 Depth=1
	s_delay_alu instid0(SALU_CYCLE_1)
	s_or_b32 exec_lo, exec_lo, s18
.LBB361_267:                            ;   in Loop: Header=BB361_11 Depth=1
	s_delay_alu instid0(SALU_CYCLE_1) | instskip(SKIP_4) | instid1(VALU_DEP_1)
	s_or_b32 exec_lo, exec_lo, s17
	flat_load_b64 v[30:31], v[28:29] offset:1024
	s_mov_b32 s17, exec_lo
	s_waitcnt vmcnt(0) lgkmcnt(0)
	v_and_b32_e32 v8, 0xff, v30
	v_cmpx_ne_u16_e32 0, v8
	s_cbranch_execz .LBB361_275
; %bb.268:                              ;   in Loop: Header=BB361_11 Depth=1
	v_bfrev_b32_e32 v129, 1
	s_mov_b32 s18, exec_lo
	v_cmpx_ne_u16_e32 0x80, v8
	s_cbranch_execz .LBB361_274
; %bb.269:                              ;   in Loop: Header=BB361_11 Depth=1
	v_and_b32_e32 v32, 0x7f, v30
	v_mov_b32_e32 v129, 0x7fc02000
	s_mov_b32 s19, exec_lo
	s_delay_alu instid0(VALU_DEP_2)
	v_cmpx_ne_u32_e32 0x7f, v32
	s_cbranch_execz .LBB361_273
; %bb.270:                              ;   in Loop: Header=BB361_11 Depth=1
	v_lshrrev_b32_e32 v8, 3, v32
	v_cmp_gt_u32_e64 s1, 8, v32
	v_dual_mov_b32 v33, v31 :: v_dual_mov_b32 v32, v30
	s_delay_alu instid0(VALU_DEP_2)
	s_and_saveexec_b32 s20, s1
; %bb.271:                              ;   in Loop: Header=BB361_11 Depth=1
	v_and_b32_e32 v8, 7, v30
	s_delay_alu instid0(VALU_DEP_1) | instskip(NEXT) | instid1(VALU_DEP_1)
	v_clz_i32_u32_e32 v8, v8
	v_min_u32_e32 v8, 32, v8
	s_delay_alu instid0(VALU_DEP_1) | instskip(SKIP_1) | instid1(VALU_DEP_2)
	v_subrev_nc_u32_e32 v32, 28, v8
	v_sub_nc_u32_e32 v8, 29, v8
	v_lshlrev_b64 v[32:33], v32, v[30:31]
; %bb.272:                              ;   in Loop: Header=BB361_11 Depth=1
	s_or_b32 exec_lo, exec_lo, s20
	v_lshlrev_b32_e32 v33, 8, v30
	s_delay_alu instid0(VALU_DEP_3) | instskip(NEXT) | instid1(VALU_DEP_3)
	v_lshl_add_u32 v8, v8, 10, 0x2000
	v_lshlrev_b32_e32 v32, 7, v32
	s_delay_alu instid0(VALU_DEP_2) | instskip(NEXT) | instid1(VALU_DEP_1)
	v_and_or_b32 v8, 0x8000, v33, v8
	v_and_or_b32 v8, 0x380, v32, v8
	s_delay_alu instid0(VALU_DEP_1)
	v_cvt_f32_f16_e64 v129, v8
.LBB361_273:                            ;   in Loop: Header=BB361_11 Depth=1
	s_or_b32 exec_lo, exec_lo, s19
.LBB361_274:                            ;   in Loop: Header=BB361_11 Depth=1
	s_delay_alu instid0(SALU_CYCLE_1)
	s_or_b32 exec_lo, exec_lo, s18
.LBB361_275:                            ;   in Loop: Header=BB361_11 Depth=1
	s_delay_alu instid0(SALU_CYCLE_1) | instskip(SKIP_3) | instid1(VALU_DEP_2)
	s_or_b32 exec_lo, exec_lo, s17
	v_lshrrev_b16 v8, 8, v30
	v_dual_mov_b32 v130, 0 :: v_dual_mov_b32 v131, 0
	s_mov_b32 s17, exec_lo
	v_cmpx_ne_u16_e32 0, v8
	s_cbranch_execz .LBB361_283
; %bb.276:                              ;   in Loop: Header=BB361_11 Depth=1
	v_bfrev_b32_e32 v131, 1
	s_mov_b32 s18, exec_lo
	v_cmpx_ne_u16_e32 0x80, v8
	s_cbranch_execz .LBB361_282
; %bb.277:                              ;   in Loop: Header=BB361_11 Depth=1
	v_and_b32_e32 v32, 0xffff, v8
	v_mov_b32_e32 v131, 0x7fc02000
	s_mov_b32 s19, exec_lo
	s_delay_alu instid0(VALU_DEP_2) | instskip(NEXT) | instid1(VALU_DEP_1)
	v_and_b32_e32 v132, 0x7f, v32
	v_cmpx_ne_u32_e32 0x7f, v132
	s_cbranch_execz .LBB361_281
; %bb.278:                              ;   in Loop: Header=BB361_11 Depth=1
	v_and_b32_e32 v8, 7, v32
	v_lshrrev_b32_e32 v33, 3, v132
	s_mov_b32 s20, exec_lo
	v_cmpx_gt_u32_e32 8, v132
; %bb.279:                              ;   in Loop: Header=BB361_11 Depth=1
	s_delay_alu instid0(VALU_DEP_3) | instskip(NEXT) | instid1(VALU_DEP_1)
	v_clz_i32_u32_e32 v33, v8
	v_min_u32_e32 v33, 32, v33
	s_delay_alu instid0(VALU_DEP_1) | instskip(SKIP_1) | instid1(VALU_DEP_2)
	v_subrev_nc_u32_e32 v131, 28, v33
	v_sub_nc_u32_e32 v33, 29, v33
	v_lshlrev_b64 v[131:132], v131, v[8:9]
	s_delay_alu instid0(VALU_DEP_1)
	v_and_b32_e32 v8, 7, v131
; %bb.280:                              ;   in Loop: Header=BB361_11 Depth=1
	s_or_b32 exec_lo, exec_lo, s20
	v_lshlrev_b32_e32 v32, 8, v32
	v_lshl_add_u32 v33, v33, 10, 0x2000
	s_delay_alu instid0(VALU_DEP_1) | instskip(NEXT) | instid1(VALU_DEP_1)
	v_and_or_b32 v32, 0x8000, v32, v33
	v_lshl_or_b32 v8, v8, 7, v32
	s_delay_alu instid0(VALU_DEP_1)
	v_cvt_f32_f16_e64 v131, v8
.LBB361_281:                            ;   in Loop: Header=BB361_11 Depth=1
	s_or_b32 exec_lo, exec_lo, s19
.LBB361_282:                            ;   in Loop: Header=BB361_11 Depth=1
	s_delay_alu instid0(SALU_CYCLE_1)
	s_or_b32 exec_lo, exec_lo, s18
.LBB361_283:                            ;   in Loop: Header=BB361_11 Depth=1
	s_delay_alu instid0(SALU_CYCLE_1) | instskip(SKIP_2) | instid1(VALU_DEP_1)
	s_or_b32 exec_lo, exec_lo, s17
	v_lshrrev_b32_e32 v32, 16, v30
	s_mov_b32 s17, exec_lo
	v_and_b32_e32 v8, 0xff, v32
	s_delay_alu instid0(VALU_DEP_1)
	v_cmpx_ne_u16_e32 0, v8
	s_cbranch_execz .LBB361_291
; %bb.284:                              ;   in Loop: Header=BB361_11 Depth=1
	v_bfrev_b32_e32 v130, 1
	s_mov_b32 s18, exec_lo
	v_cmpx_ne_u16_e32 0x80, v8
	s_cbranch_execz .LBB361_290
; %bb.285:                              ;   in Loop: Header=BB361_11 Depth=1
	v_bfe_u32 v132, v30, 16, 7
	v_mov_b32_e32 v130, 0x7fc02000
	s_mov_b32 s19, exec_lo
	s_delay_alu instid0(VALU_DEP_2)
	v_cmpx_ne_u32_e32 0x7f, v132
	s_cbranch_execz .LBB361_289
; %bb.286:                              ;   in Loop: Header=BB361_11 Depth=1
	v_and_b32_e32 v8, 7, v32
	v_lshrrev_b32_e32 v33, 3, v132
	s_mov_b32 s20, exec_lo
	v_cmpx_gt_u32_e32 8, v132
; %bb.287:                              ;   in Loop: Header=BB361_11 Depth=1
	s_delay_alu instid0(VALU_DEP_3) | instskip(NEXT) | instid1(VALU_DEP_1)
	v_clz_i32_u32_e32 v33, v8
	v_min_u32_e32 v33, 32, v33
	s_delay_alu instid0(VALU_DEP_1) | instskip(SKIP_1) | instid1(VALU_DEP_2)
	v_subrev_nc_u32_e32 v130, 28, v33
	v_sub_nc_u32_e32 v33, 29, v33
	v_lshlrev_b64 v[132:133], v130, v[8:9]
	s_delay_alu instid0(VALU_DEP_1)
	v_and_b32_e32 v8, 7, v132
; %bb.288:                              ;   in Loop: Header=BB361_11 Depth=1
	s_or_b32 exec_lo, exec_lo, s20
	v_lshlrev_b32_e32 v32, 8, v32
	v_lshl_add_u32 v33, v33, 10, 0x2000
	s_delay_alu instid0(VALU_DEP_1) | instskip(NEXT) | instid1(VALU_DEP_1)
	v_and_or_b32 v32, 0x8000, v32, v33
	v_lshl_or_b32 v8, v8, 7, v32
	s_delay_alu instid0(VALU_DEP_1)
	v_cvt_f32_f16_e64 v130, v8
.LBB361_289:                            ;   in Loop: Header=BB361_11 Depth=1
	s_or_b32 exec_lo, exec_lo, s19
.LBB361_290:                            ;   in Loop: Header=BB361_11 Depth=1
	s_delay_alu instid0(SALU_CYCLE_1)
	s_or_b32 exec_lo, exec_lo, s18
.LBB361_291:                            ;   in Loop: Header=BB361_11 Depth=1
	s_delay_alu instid0(SALU_CYCLE_1)
	s_or_b32 exec_lo, exec_lo, s17
	v_dual_mov_b32 v132, 0 :: v_dual_mov_b32 v133, 0
	s_mov_b32 s17, exec_lo
	v_cmpx_lt_u32_e32 0xffffff, v30
	s_cbranch_execz .LBB361_299
; %bb.292:                              ;   in Loop: Header=BB361_11 Depth=1
	v_lshrrev_b32_e32 v32, 24, v30
	v_bfrev_b32_e32 v133, 1
	s_mov_b32 s18, exec_lo
	s_delay_alu instid0(VALU_DEP_2)
	v_cmpx_ne_u32_e32 0x80, v32
	s_cbranch_execz .LBB361_298
; %bb.293:                              ;   in Loop: Header=BB361_11 Depth=1
	v_and_b32_e32 v134, 0x7f, v32
	v_mov_b32_e32 v133, 0x7fc02000
	s_mov_b32 s19, exec_lo
	s_delay_alu instid0(VALU_DEP_2)
	v_cmpx_ne_u32_e32 0x7f, v134
	s_cbranch_execz .LBB361_297
; %bb.294:                              ;   in Loop: Header=BB361_11 Depth=1
	v_and_b32_e32 v8, 7, v32
	v_lshrrev_b32_e32 v33, 3, v134
	s_mov_b32 s20, exec_lo
	v_cmpx_gt_u32_e32 8, v134
; %bb.295:                              ;   in Loop: Header=BB361_11 Depth=1
	s_delay_alu instid0(VALU_DEP_3) | instskip(NEXT) | instid1(VALU_DEP_1)
	v_clz_i32_u32_e32 v33, v8
	v_min_u32_e32 v33, 32, v33
	s_delay_alu instid0(VALU_DEP_1) | instskip(SKIP_1) | instid1(VALU_DEP_2)
	v_subrev_nc_u32_e32 v133, 28, v33
	v_sub_nc_u32_e32 v33, 29, v33
	v_lshlrev_b64 v[133:134], v133, v[8:9]
	s_delay_alu instid0(VALU_DEP_1)
	v_and_b32_e32 v8, 7, v133
; %bb.296:                              ;   in Loop: Header=BB361_11 Depth=1
	s_or_b32 exec_lo, exec_lo, s20
	v_lshlrev_b32_e32 v32, 8, v32
	v_lshl_add_u32 v33, v33, 10, 0x2000
	s_delay_alu instid0(VALU_DEP_1) | instskip(NEXT) | instid1(VALU_DEP_1)
	v_and_or_b32 v32, 0x8000, v32, v33
	v_lshl_or_b32 v8, v8, 7, v32
	s_delay_alu instid0(VALU_DEP_1)
	v_cvt_f32_f16_e64 v133, v8
.LBB361_297:                            ;   in Loop: Header=BB361_11 Depth=1
	s_or_b32 exec_lo, exec_lo, s19
.LBB361_298:                            ;   in Loop: Header=BB361_11 Depth=1
	s_delay_alu instid0(SALU_CYCLE_1)
	s_or_b32 exec_lo, exec_lo, s18
.LBB361_299:                            ;   in Loop: Header=BB361_11 Depth=1
	s_delay_alu instid0(SALU_CYCLE_1) | instskip(SKIP_3) | instid1(VALU_DEP_2)
	s_or_b32 exec_lo, exec_lo, s17
	v_and_b32_e32 v32, 0xff, v31
	v_mov_b32_e32 v8, v31
	s_mov_b32 s17, exec_lo
	v_cmpx_ne_u16_e32 0, v32
	s_cbranch_execz .LBB361_307
; %bb.300:                              ;   in Loop: Header=BB361_11 Depth=1
	v_bfrev_b32_e32 v132, 1
	s_mov_b32 s18, exec_lo
	v_cmpx_ne_u16_e32 0x80, v32
	s_cbranch_execz .LBB361_306
; %bb.301:                              ;   in Loop: Header=BB361_11 Depth=1
	v_and_b32_e32 v32, 0x7f, v31
	v_mov_b32_e32 v132, 0x7fc02000
	s_mov_b32 s19, exec_lo
	s_delay_alu instid0(VALU_DEP_2)
	v_cmpx_ne_u32_e32 0x7f, v32
	s_cbranch_execz .LBB361_305
; %bb.302:                              ;   in Loop: Header=BB361_11 Depth=1
	v_lshrrev_b32_e32 v132, 3, v32
	v_cmp_gt_u32_e64 s1, 8, v32
	v_dual_mov_b32 v33, v9 :: v_dual_mov_b32 v32, v8
	s_delay_alu instid0(VALU_DEP_2)
	s_and_saveexec_b32 s20, s1
; %bb.303:                              ;   in Loop: Header=BB361_11 Depth=1
	v_and_b32_e32 v32, 7, v31
	s_delay_alu instid0(VALU_DEP_1) | instskip(NEXT) | instid1(VALU_DEP_1)
	v_clz_i32_u32_e32 v32, v32
	v_min_u32_e32 v132, 32, v32
	s_delay_alu instid0(VALU_DEP_1) | instskip(SKIP_1) | instid1(VALU_DEP_2)
	v_subrev_nc_u32_e32 v32, 28, v132
	v_sub_nc_u32_e32 v132, 29, v132
	v_lshlrev_b64 v[32:33], v32, v[8:9]
; %bb.304:                              ;   in Loop: Header=BB361_11 Depth=1
	s_or_b32 exec_lo, exec_lo, s20
	v_lshlrev_b32_e32 v33, 8, v31
	s_delay_alu instid0(VALU_DEP_3) | instskip(NEXT) | instid1(VALU_DEP_3)
	v_lshl_add_u32 v132, v132, 10, 0x2000
	v_lshlrev_b32_e32 v32, 7, v32
	s_delay_alu instid0(VALU_DEP_2) | instskip(NEXT) | instid1(VALU_DEP_1)
	v_and_or_b32 v33, 0x8000, v33, v132
	v_and_or_b32 v32, 0x380, v32, v33
	s_delay_alu instid0(VALU_DEP_1)
	v_cvt_f32_f16_e64 v132, v32
.LBB361_305:                            ;   in Loop: Header=BB361_11 Depth=1
	s_or_b32 exec_lo, exec_lo, s19
.LBB361_306:                            ;   in Loop: Header=BB361_11 Depth=1
	s_delay_alu instid0(SALU_CYCLE_1)
	s_or_b32 exec_lo, exec_lo, s18
.LBB361_307:                            ;   in Loop: Header=BB361_11 Depth=1
	s_delay_alu instid0(SALU_CYCLE_1) | instskip(SKIP_3) | instid1(VALU_DEP_2)
	s_or_b32 exec_lo, exec_lo, s17
	v_lshrrev_b16 v8, 8, v8
	v_dual_mov_b32 v134, 0 :: v_dual_mov_b32 v135, 0
	s_mov_b32 s17, exec_lo
	v_cmpx_ne_u16_e32 0, v8
	s_cbranch_execz .LBB361_315
; %bb.308:                              ;   in Loop: Header=BB361_11 Depth=1
	v_bfrev_b32_e32 v135, 1
	s_mov_b32 s18, exec_lo
	v_cmpx_ne_u16_e32 0x80, v8
	s_cbranch_execz .LBB361_314
; %bb.309:                              ;   in Loop: Header=BB361_11 Depth=1
	v_and_b32_e32 v32, 0xffff, v8
	v_mov_b32_e32 v135, 0x7fc02000
	s_mov_b32 s19, exec_lo
	s_delay_alu instid0(VALU_DEP_2) | instskip(NEXT) | instid1(VALU_DEP_1)
	v_and_b32_e32 v144, 0x7f, v32
	v_cmpx_ne_u32_e32 0x7f, v144
	s_cbranch_execz .LBB361_313
; %bb.310:                              ;   in Loop: Header=BB361_11 Depth=1
	v_and_b32_e32 v8, 7, v32
	v_lshrrev_b32_e32 v33, 3, v144
	s_mov_b32 s20, exec_lo
	v_cmpx_gt_u32_e32 8, v144
; %bb.311:                              ;   in Loop: Header=BB361_11 Depth=1
	s_delay_alu instid0(VALU_DEP_3) | instskip(NEXT) | instid1(VALU_DEP_1)
	v_clz_i32_u32_e32 v33, v8
	v_min_u32_e32 v33, 32, v33
	s_delay_alu instid0(VALU_DEP_1) | instskip(SKIP_1) | instid1(VALU_DEP_2)
	v_subrev_nc_u32_e32 v135, 28, v33
	v_sub_nc_u32_e32 v33, 29, v33
	v_lshlrev_b64 v[144:145], v135, v[8:9]
	s_delay_alu instid0(VALU_DEP_1)
	v_and_b32_e32 v8, 7, v144
; %bb.312:                              ;   in Loop: Header=BB361_11 Depth=1
	s_or_b32 exec_lo, exec_lo, s20
	v_lshlrev_b32_e32 v32, 8, v32
	v_lshl_add_u32 v33, v33, 10, 0x2000
	s_delay_alu instid0(VALU_DEP_1) | instskip(NEXT) | instid1(VALU_DEP_1)
	v_and_or_b32 v32, 0x8000, v32, v33
	v_lshl_or_b32 v8, v8, 7, v32
	s_delay_alu instid0(VALU_DEP_1)
	v_cvt_f32_f16_e64 v135, v8
.LBB361_313:                            ;   in Loop: Header=BB361_11 Depth=1
	s_or_b32 exec_lo, exec_lo, s19
.LBB361_314:                            ;   in Loop: Header=BB361_11 Depth=1
	s_delay_alu instid0(SALU_CYCLE_1)
	s_or_b32 exec_lo, exec_lo, s18
.LBB361_315:                            ;   in Loop: Header=BB361_11 Depth=1
	s_delay_alu instid0(SALU_CYCLE_1) | instskip(SKIP_2) | instid1(VALU_DEP_1)
	s_or_b32 exec_lo, exec_lo, s17
	v_lshrrev_b32_e32 v32, 16, v31
	s_mov_b32 s17, exec_lo
	v_and_b32_e32 v8, 0xff, v32
	s_delay_alu instid0(VALU_DEP_1)
	v_cmpx_ne_u16_e32 0, v8
	s_cbranch_execz .LBB361_323
; %bb.316:                              ;   in Loop: Header=BB361_11 Depth=1
	v_bfrev_b32_e32 v134, 1
	s_mov_b32 s18, exec_lo
	v_cmpx_ne_u16_e32 0x80, v8
	s_cbranch_execz .LBB361_322
; %bb.317:                              ;   in Loop: Header=BB361_11 Depth=1
	v_bfe_u32 v144, v31, 16, 7
	v_mov_b32_e32 v134, 0x7fc02000
	s_mov_b32 s19, exec_lo
	s_delay_alu instid0(VALU_DEP_2)
	v_cmpx_ne_u32_e32 0x7f, v144
	s_cbranch_execz .LBB361_321
; %bb.318:                              ;   in Loop: Header=BB361_11 Depth=1
	v_and_b32_e32 v8, 7, v32
	v_lshrrev_b32_e32 v33, 3, v144
	s_mov_b32 s20, exec_lo
	v_cmpx_gt_u32_e32 8, v144
; %bb.319:                              ;   in Loop: Header=BB361_11 Depth=1
	s_delay_alu instid0(VALU_DEP_3) | instskip(NEXT) | instid1(VALU_DEP_1)
	v_clz_i32_u32_e32 v33, v8
	v_min_u32_e32 v33, 32, v33
	s_delay_alu instid0(VALU_DEP_1) | instskip(SKIP_1) | instid1(VALU_DEP_2)
	v_subrev_nc_u32_e32 v134, 28, v33
	v_sub_nc_u32_e32 v33, 29, v33
	v_lshlrev_b64 v[144:145], v134, v[8:9]
	s_delay_alu instid0(VALU_DEP_1)
	v_and_b32_e32 v8, 7, v144
; %bb.320:                              ;   in Loop: Header=BB361_11 Depth=1
	s_or_b32 exec_lo, exec_lo, s20
	v_lshlrev_b32_e32 v32, 8, v32
	v_lshl_add_u32 v33, v33, 10, 0x2000
	s_delay_alu instid0(VALU_DEP_1) | instskip(NEXT) | instid1(VALU_DEP_1)
	v_and_or_b32 v32, 0x8000, v32, v33
	v_lshl_or_b32 v8, v8, 7, v32
	s_delay_alu instid0(VALU_DEP_1)
	v_cvt_f32_f16_e64 v134, v8
.LBB361_321:                            ;   in Loop: Header=BB361_11 Depth=1
	s_or_b32 exec_lo, exec_lo, s19
.LBB361_322:                            ;   in Loop: Header=BB361_11 Depth=1
	s_delay_alu instid0(SALU_CYCLE_1)
	s_or_b32 exec_lo, exec_lo, s18
.LBB361_323:                            ;   in Loop: Header=BB361_11 Depth=1
	s_delay_alu instid0(SALU_CYCLE_1)
	s_or_b32 exec_lo, exec_lo, s17
	v_dual_mov_b32 v145, 0 :: v_dual_mov_b32 v144, 0
	s_mov_b32 s17, exec_lo
	v_cmpx_lt_u64_e64 s[2:3], v[30:31]
	s_cbranch_execz .LBB361_331
; %bb.324:                              ;   in Loop: Header=BB361_11 Depth=1
	v_lshrrev_b32_e32 v30, 24, v31
	v_bfrev_b32_e32 v144, 1
	s_mov_b32 s18, exec_lo
	s_delay_alu instid0(VALU_DEP_2)
	v_cmpx_ne_u32_e32 0x80, v30
	s_cbranch_execz .LBB361_330
; %bb.325:                              ;   in Loop: Header=BB361_11 Depth=1
	v_and_b32_e32 v32, 0x7f, v30
	v_mov_b32_e32 v144, 0x7fc02000
	s_mov_b32 s19, exec_lo
	s_delay_alu instid0(VALU_DEP_2)
	v_cmpx_ne_u32_e32 0x7f, v32
	s_cbranch_execz .LBB361_329
; %bb.326:                              ;   in Loop: Header=BB361_11 Depth=1
	v_and_b32_e32 v8, 7, v30
	v_lshrrev_b32_e32 v31, 3, v32
	s_mov_b32 s20, exec_lo
	v_cmpx_gt_u32_e32 8, v32
; %bb.327:                              ;   in Loop: Header=BB361_11 Depth=1
	s_delay_alu instid0(VALU_DEP_3) | instskip(NEXT) | instid1(VALU_DEP_1)
	v_clz_i32_u32_e32 v31, v8
	v_min_u32_e32 v31, 32, v31
	s_delay_alu instid0(VALU_DEP_1) | instskip(SKIP_1) | instid1(VALU_DEP_2)
	v_subrev_nc_u32_e32 v32, 28, v31
	v_sub_nc_u32_e32 v31, 29, v31
	v_lshlrev_b64 v[32:33], v32, v[8:9]
	s_delay_alu instid0(VALU_DEP_1)
	v_and_b32_e32 v8, 7, v32
; %bb.328:                              ;   in Loop: Header=BB361_11 Depth=1
	s_or_b32 exec_lo, exec_lo, s20
	v_lshlrev_b32_e32 v30, 8, v30
	v_lshl_add_u32 v31, v31, 10, 0x2000
	s_delay_alu instid0(VALU_DEP_1) | instskip(NEXT) | instid1(VALU_DEP_1)
	v_and_or_b32 v30, 0x8000, v30, v31
	v_lshl_or_b32 v8, v8, 7, v30
	s_delay_alu instid0(VALU_DEP_1)
	v_cvt_f32_f16_e64 v144, v8
.LBB361_329:                            ;   in Loop: Header=BB361_11 Depth=1
	s_or_b32 exec_lo, exec_lo, s19
.LBB361_330:                            ;   in Loop: Header=BB361_11 Depth=1
	s_delay_alu instid0(SALU_CYCLE_1)
	s_or_b32 exec_lo, exec_lo, s18
.LBB361_331:                            ;   in Loop: Header=BB361_11 Depth=1
	s_delay_alu instid0(SALU_CYCLE_1) | instskip(SKIP_4) | instid1(VALU_DEP_1)
	s_or_b32 exec_lo, exec_lo, s17
	flat_load_b64 v[30:31], v[28:29] offset:1032
	s_mov_b32 s17, exec_lo
	s_waitcnt vmcnt(0) lgkmcnt(0)
	v_and_b32_e32 v8, 0xff, v30
	v_cmpx_ne_u16_e32 0, v8
	s_cbranch_execz .LBB361_339
; %bb.332:                              ;   in Loop: Header=BB361_11 Depth=1
	v_bfrev_b32_e32 v145, 1
	s_mov_b32 s18, exec_lo
	v_cmpx_ne_u16_e32 0x80, v8
	s_cbranch_execz .LBB361_338
; %bb.333:                              ;   in Loop: Header=BB361_11 Depth=1
	v_and_b32_e32 v32, 0x7f, v30
	v_mov_b32_e32 v145, 0x7fc02000
	s_mov_b32 s19, exec_lo
	s_delay_alu instid0(VALU_DEP_2)
	v_cmpx_ne_u32_e32 0x7f, v32
	s_cbranch_execz .LBB361_337
; %bb.334:                              ;   in Loop: Header=BB361_11 Depth=1
	v_lshrrev_b32_e32 v8, 3, v32
	v_cmp_gt_u32_e64 s1, 8, v32
	v_dual_mov_b32 v33, v31 :: v_dual_mov_b32 v32, v30
	s_delay_alu instid0(VALU_DEP_2)
	s_and_saveexec_b32 s20, s1
; %bb.335:                              ;   in Loop: Header=BB361_11 Depth=1
	v_and_b32_e32 v8, 7, v30
	s_delay_alu instid0(VALU_DEP_1) | instskip(NEXT) | instid1(VALU_DEP_1)
	v_clz_i32_u32_e32 v8, v8
	v_min_u32_e32 v8, 32, v8
	s_delay_alu instid0(VALU_DEP_1) | instskip(SKIP_1) | instid1(VALU_DEP_2)
	v_subrev_nc_u32_e32 v32, 28, v8
	v_sub_nc_u32_e32 v8, 29, v8
	v_lshlrev_b64 v[32:33], v32, v[30:31]
; %bb.336:                              ;   in Loop: Header=BB361_11 Depth=1
	s_or_b32 exec_lo, exec_lo, s20
	v_lshlrev_b32_e32 v33, 8, v30
	s_delay_alu instid0(VALU_DEP_3) | instskip(NEXT) | instid1(VALU_DEP_3)
	v_lshl_add_u32 v8, v8, 10, 0x2000
	v_lshlrev_b32_e32 v32, 7, v32
	s_delay_alu instid0(VALU_DEP_2) | instskip(NEXT) | instid1(VALU_DEP_1)
	v_and_or_b32 v8, 0x8000, v33, v8
	v_and_or_b32 v8, 0x380, v32, v8
	s_delay_alu instid0(VALU_DEP_1)
	v_cvt_f32_f16_e64 v145, v8
.LBB361_337:                            ;   in Loop: Header=BB361_11 Depth=1
	s_or_b32 exec_lo, exec_lo, s19
.LBB361_338:                            ;   in Loop: Header=BB361_11 Depth=1
	s_delay_alu instid0(SALU_CYCLE_1)
	s_or_b32 exec_lo, exec_lo, s18
.LBB361_339:                            ;   in Loop: Header=BB361_11 Depth=1
	s_delay_alu instid0(SALU_CYCLE_1) | instskip(SKIP_3) | instid1(VALU_DEP_2)
	s_or_b32 exec_lo, exec_lo, s17
	v_lshrrev_b16 v8, 8, v30
	v_dual_mov_b32 v146, 0 :: v_dual_mov_b32 v147, 0
	s_mov_b32 s17, exec_lo
	v_cmpx_ne_u16_e32 0, v8
	s_cbranch_execz .LBB361_347
; %bb.340:                              ;   in Loop: Header=BB361_11 Depth=1
	v_bfrev_b32_e32 v147, 1
	s_mov_b32 s18, exec_lo
	v_cmpx_ne_u16_e32 0x80, v8
	s_cbranch_execz .LBB361_346
; %bb.341:                              ;   in Loop: Header=BB361_11 Depth=1
	v_and_b32_e32 v32, 0xffff, v8
	v_mov_b32_e32 v147, 0x7fc02000
	s_mov_b32 s19, exec_lo
	s_delay_alu instid0(VALU_DEP_2) | instskip(NEXT) | instid1(VALU_DEP_1)
	v_and_b32_e32 v148, 0x7f, v32
	v_cmpx_ne_u32_e32 0x7f, v148
	s_cbranch_execz .LBB361_345
; %bb.342:                              ;   in Loop: Header=BB361_11 Depth=1
	v_and_b32_e32 v8, 7, v32
	v_lshrrev_b32_e32 v33, 3, v148
	s_mov_b32 s20, exec_lo
	v_cmpx_gt_u32_e32 8, v148
; %bb.343:                              ;   in Loop: Header=BB361_11 Depth=1
	s_delay_alu instid0(VALU_DEP_3) | instskip(NEXT) | instid1(VALU_DEP_1)
	v_clz_i32_u32_e32 v33, v8
	v_min_u32_e32 v33, 32, v33
	s_delay_alu instid0(VALU_DEP_1) | instskip(SKIP_1) | instid1(VALU_DEP_2)
	v_subrev_nc_u32_e32 v147, 28, v33
	v_sub_nc_u32_e32 v33, 29, v33
	v_lshlrev_b64 v[147:148], v147, v[8:9]
	s_delay_alu instid0(VALU_DEP_1)
	v_and_b32_e32 v8, 7, v147
; %bb.344:                              ;   in Loop: Header=BB361_11 Depth=1
	s_or_b32 exec_lo, exec_lo, s20
	v_lshlrev_b32_e32 v32, 8, v32
	v_lshl_add_u32 v33, v33, 10, 0x2000
	s_delay_alu instid0(VALU_DEP_1) | instskip(NEXT) | instid1(VALU_DEP_1)
	v_and_or_b32 v32, 0x8000, v32, v33
	v_lshl_or_b32 v8, v8, 7, v32
	s_delay_alu instid0(VALU_DEP_1)
	v_cvt_f32_f16_e64 v147, v8
.LBB361_345:                            ;   in Loop: Header=BB361_11 Depth=1
	s_or_b32 exec_lo, exec_lo, s19
.LBB361_346:                            ;   in Loop: Header=BB361_11 Depth=1
	s_delay_alu instid0(SALU_CYCLE_1)
	s_or_b32 exec_lo, exec_lo, s18
.LBB361_347:                            ;   in Loop: Header=BB361_11 Depth=1
	s_delay_alu instid0(SALU_CYCLE_1) | instskip(SKIP_2) | instid1(VALU_DEP_1)
	s_or_b32 exec_lo, exec_lo, s17
	v_lshrrev_b32_e32 v32, 16, v30
	s_mov_b32 s17, exec_lo
	v_and_b32_e32 v8, 0xff, v32
	s_delay_alu instid0(VALU_DEP_1)
	v_cmpx_ne_u16_e32 0, v8
	s_cbranch_execz .LBB361_355
; %bb.348:                              ;   in Loop: Header=BB361_11 Depth=1
	v_bfrev_b32_e32 v146, 1
	s_mov_b32 s18, exec_lo
	v_cmpx_ne_u16_e32 0x80, v8
	s_cbranch_execz .LBB361_354
; %bb.349:                              ;   in Loop: Header=BB361_11 Depth=1
	v_bfe_u32 v148, v30, 16, 7
	v_mov_b32_e32 v146, 0x7fc02000
	s_mov_b32 s19, exec_lo
	s_delay_alu instid0(VALU_DEP_2)
	v_cmpx_ne_u32_e32 0x7f, v148
	s_cbranch_execz .LBB361_353
; %bb.350:                              ;   in Loop: Header=BB361_11 Depth=1
	v_and_b32_e32 v8, 7, v32
	v_lshrrev_b32_e32 v33, 3, v148
	s_mov_b32 s20, exec_lo
	v_cmpx_gt_u32_e32 8, v148
; %bb.351:                              ;   in Loop: Header=BB361_11 Depth=1
	s_delay_alu instid0(VALU_DEP_3) | instskip(NEXT) | instid1(VALU_DEP_1)
	v_clz_i32_u32_e32 v33, v8
	v_min_u32_e32 v33, 32, v33
	s_delay_alu instid0(VALU_DEP_1) | instskip(SKIP_1) | instid1(VALU_DEP_2)
	v_subrev_nc_u32_e32 v146, 28, v33
	v_sub_nc_u32_e32 v33, 29, v33
	v_lshlrev_b64 v[148:149], v146, v[8:9]
	s_delay_alu instid0(VALU_DEP_1)
	v_and_b32_e32 v8, 7, v148
; %bb.352:                              ;   in Loop: Header=BB361_11 Depth=1
	s_or_b32 exec_lo, exec_lo, s20
	v_lshlrev_b32_e32 v32, 8, v32
	v_lshl_add_u32 v33, v33, 10, 0x2000
	s_delay_alu instid0(VALU_DEP_1) | instskip(NEXT) | instid1(VALU_DEP_1)
	v_and_or_b32 v32, 0x8000, v32, v33
	v_lshl_or_b32 v8, v8, 7, v32
	s_delay_alu instid0(VALU_DEP_1)
	v_cvt_f32_f16_e64 v146, v8
.LBB361_353:                            ;   in Loop: Header=BB361_11 Depth=1
	s_or_b32 exec_lo, exec_lo, s19
.LBB361_354:                            ;   in Loop: Header=BB361_11 Depth=1
	s_delay_alu instid0(SALU_CYCLE_1)
	s_or_b32 exec_lo, exec_lo, s18
.LBB361_355:                            ;   in Loop: Header=BB361_11 Depth=1
	s_delay_alu instid0(SALU_CYCLE_1)
	s_or_b32 exec_lo, exec_lo, s17
	v_dual_mov_b32 v148, 0 :: v_dual_mov_b32 v149, 0
	s_mov_b32 s17, exec_lo
	v_cmpx_lt_u32_e32 0xffffff, v30
	s_cbranch_execz .LBB361_363
; %bb.356:                              ;   in Loop: Header=BB361_11 Depth=1
	v_lshrrev_b32_e32 v32, 24, v30
	v_bfrev_b32_e32 v149, 1
	s_mov_b32 s18, exec_lo
	s_delay_alu instid0(VALU_DEP_2)
	v_cmpx_ne_u32_e32 0x80, v32
	s_cbranch_execz .LBB361_362
; %bb.357:                              ;   in Loop: Header=BB361_11 Depth=1
	v_and_b32_e32 v150, 0x7f, v32
	v_mov_b32_e32 v149, 0x7fc02000
	s_mov_b32 s19, exec_lo
	s_delay_alu instid0(VALU_DEP_2)
	v_cmpx_ne_u32_e32 0x7f, v150
	s_cbranch_execz .LBB361_361
; %bb.358:                              ;   in Loop: Header=BB361_11 Depth=1
	v_and_b32_e32 v8, 7, v32
	v_lshrrev_b32_e32 v33, 3, v150
	s_mov_b32 s20, exec_lo
	v_cmpx_gt_u32_e32 8, v150
; %bb.359:                              ;   in Loop: Header=BB361_11 Depth=1
	s_delay_alu instid0(VALU_DEP_3) | instskip(NEXT) | instid1(VALU_DEP_1)
	v_clz_i32_u32_e32 v33, v8
	v_min_u32_e32 v33, 32, v33
	s_delay_alu instid0(VALU_DEP_1) | instskip(SKIP_1) | instid1(VALU_DEP_2)
	v_subrev_nc_u32_e32 v149, 28, v33
	v_sub_nc_u32_e32 v33, 29, v33
	v_lshlrev_b64 v[149:150], v149, v[8:9]
	s_delay_alu instid0(VALU_DEP_1)
	v_and_b32_e32 v8, 7, v149
; %bb.360:                              ;   in Loop: Header=BB361_11 Depth=1
	s_or_b32 exec_lo, exec_lo, s20
	v_lshlrev_b32_e32 v32, 8, v32
	v_lshl_add_u32 v33, v33, 10, 0x2000
	s_delay_alu instid0(VALU_DEP_1) | instskip(NEXT) | instid1(VALU_DEP_1)
	v_and_or_b32 v32, 0x8000, v32, v33
	v_lshl_or_b32 v8, v8, 7, v32
	s_delay_alu instid0(VALU_DEP_1)
	v_cvt_f32_f16_e64 v149, v8
.LBB361_361:                            ;   in Loop: Header=BB361_11 Depth=1
	s_or_b32 exec_lo, exec_lo, s19
.LBB361_362:                            ;   in Loop: Header=BB361_11 Depth=1
	s_delay_alu instid0(SALU_CYCLE_1)
	s_or_b32 exec_lo, exec_lo, s18
.LBB361_363:                            ;   in Loop: Header=BB361_11 Depth=1
	s_delay_alu instid0(SALU_CYCLE_1) | instskip(SKIP_3) | instid1(VALU_DEP_2)
	s_or_b32 exec_lo, exec_lo, s17
	v_and_b32_e32 v32, 0xff, v31
	v_mov_b32_e32 v8, v31
	s_mov_b32 s17, exec_lo
	v_cmpx_ne_u16_e32 0, v32
	s_cbranch_execz .LBB361_371
; %bb.364:                              ;   in Loop: Header=BB361_11 Depth=1
	v_bfrev_b32_e32 v148, 1
	s_mov_b32 s18, exec_lo
	v_cmpx_ne_u16_e32 0x80, v32
	s_cbranch_execz .LBB361_370
; %bb.365:                              ;   in Loop: Header=BB361_11 Depth=1
	v_and_b32_e32 v32, 0x7f, v31
	v_mov_b32_e32 v148, 0x7fc02000
	s_mov_b32 s19, exec_lo
	s_delay_alu instid0(VALU_DEP_2)
	v_cmpx_ne_u32_e32 0x7f, v32
	s_cbranch_execz .LBB361_369
; %bb.366:                              ;   in Loop: Header=BB361_11 Depth=1
	v_lshrrev_b32_e32 v148, 3, v32
	v_cmp_gt_u32_e64 s1, 8, v32
	v_dual_mov_b32 v33, v9 :: v_dual_mov_b32 v32, v8
	s_delay_alu instid0(VALU_DEP_2)
	s_and_saveexec_b32 s20, s1
; %bb.367:                              ;   in Loop: Header=BB361_11 Depth=1
	v_and_b32_e32 v32, 7, v31
	s_delay_alu instid0(VALU_DEP_1) | instskip(NEXT) | instid1(VALU_DEP_1)
	v_clz_i32_u32_e32 v32, v32
	v_min_u32_e32 v148, 32, v32
	s_delay_alu instid0(VALU_DEP_1) | instskip(SKIP_1) | instid1(VALU_DEP_2)
	v_subrev_nc_u32_e32 v32, 28, v148
	v_sub_nc_u32_e32 v148, 29, v148
	v_lshlrev_b64 v[32:33], v32, v[8:9]
; %bb.368:                              ;   in Loop: Header=BB361_11 Depth=1
	s_or_b32 exec_lo, exec_lo, s20
	v_lshlrev_b32_e32 v33, 8, v31
	s_delay_alu instid0(VALU_DEP_3) | instskip(NEXT) | instid1(VALU_DEP_3)
	v_lshl_add_u32 v148, v148, 10, 0x2000
	v_lshlrev_b32_e32 v32, 7, v32
	s_delay_alu instid0(VALU_DEP_2) | instskip(NEXT) | instid1(VALU_DEP_1)
	v_and_or_b32 v33, 0x8000, v33, v148
	v_and_or_b32 v32, 0x380, v32, v33
	s_delay_alu instid0(VALU_DEP_1)
	v_cvt_f32_f16_e64 v148, v32
.LBB361_369:                            ;   in Loop: Header=BB361_11 Depth=1
	s_or_b32 exec_lo, exec_lo, s19
.LBB361_370:                            ;   in Loop: Header=BB361_11 Depth=1
	s_delay_alu instid0(SALU_CYCLE_1)
	s_or_b32 exec_lo, exec_lo, s18
.LBB361_371:                            ;   in Loop: Header=BB361_11 Depth=1
	s_delay_alu instid0(SALU_CYCLE_1) | instskip(SKIP_3) | instid1(VALU_DEP_2)
	s_or_b32 exec_lo, exec_lo, s17
	v_lshrrev_b16 v8, 8, v8
	v_dual_mov_b32 v150, 0 :: v_dual_mov_b32 v151, 0
	s_mov_b32 s17, exec_lo
	v_cmpx_ne_u16_e32 0, v8
	s_cbranch_execz .LBB361_379
; %bb.372:                              ;   in Loop: Header=BB361_11 Depth=1
	v_bfrev_b32_e32 v151, 1
	s_mov_b32 s18, exec_lo
	v_cmpx_ne_u16_e32 0x80, v8
	s_cbranch_execz .LBB361_378
; %bb.373:                              ;   in Loop: Header=BB361_11 Depth=1
	v_and_b32_e32 v32, 0xffff, v8
	v_mov_b32_e32 v151, 0x7fc02000
	s_mov_b32 s19, exec_lo
	s_delay_alu instid0(VALU_DEP_2) | instskip(NEXT) | instid1(VALU_DEP_1)
	v_and_b32_e32 v160, 0x7f, v32
	v_cmpx_ne_u32_e32 0x7f, v160
	s_cbranch_execz .LBB361_377
; %bb.374:                              ;   in Loop: Header=BB361_11 Depth=1
	v_and_b32_e32 v8, 7, v32
	v_lshrrev_b32_e32 v33, 3, v160
	s_mov_b32 s20, exec_lo
	v_cmpx_gt_u32_e32 8, v160
; %bb.375:                              ;   in Loop: Header=BB361_11 Depth=1
	s_delay_alu instid0(VALU_DEP_3) | instskip(NEXT) | instid1(VALU_DEP_1)
	v_clz_i32_u32_e32 v33, v8
	v_min_u32_e32 v33, 32, v33
	s_delay_alu instid0(VALU_DEP_1) | instskip(SKIP_1) | instid1(VALU_DEP_2)
	v_subrev_nc_u32_e32 v151, 28, v33
	v_sub_nc_u32_e32 v33, 29, v33
	v_lshlrev_b64 v[160:161], v151, v[8:9]
	s_delay_alu instid0(VALU_DEP_1)
	v_and_b32_e32 v8, 7, v160
; %bb.376:                              ;   in Loop: Header=BB361_11 Depth=1
	s_or_b32 exec_lo, exec_lo, s20
	v_lshlrev_b32_e32 v32, 8, v32
	v_lshl_add_u32 v33, v33, 10, 0x2000
	s_delay_alu instid0(VALU_DEP_1) | instskip(NEXT) | instid1(VALU_DEP_1)
	v_and_or_b32 v32, 0x8000, v32, v33
	v_lshl_or_b32 v8, v8, 7, v32
	s_delay_alu instid0(VALU_DEP_1)
	v_cvt_f32_f16_e64 v151, v8
.LBB361_377:                            ;   in Loop: Header=BB361_11 Depth=1
	s_or_b32 exec_lo, exec_lo, s19
.LBB361_378:                            ;   in Loop: Header=BB361_11 Depth=1
	s_delay_alu instid0(SALU_CYCLE_1)
	s_or_b32 exec_lo, exec_lo, s18
.LBB361_379:                            ;   in Loop: Header=BB361_11 Depth=1
	s_delay_alu instid0(SALU_CYCLE_1) | instskip(SKIP_2) | instid1(VALU_DEP_1)
	s_or_b32 exec_lo, exec_lo, s17
	v_lshrrev_b32_e32 v32, 16, v31
	s_mov_b32 s17, exec_lo
	v_and_b32_e32 v8, 0xff, v32
	s_delay_alu instid0(VALU_DEP_1)
	v_cmpx_ne_u16_e32 0, v8
	s_cbranch_execz .LBB361_387
; %bb.380:                              ;   in Loop: Header=BB361_11 Depth=1
	v_bfrev_b32_e32 v150, 1
	s_mov_b32 s18, exec_lo
	v_cmpx_ne_u16_e32 0x80, v8
	s_cbranch_execz .LBB361_386
; %bb.381:                              ;   in Loop: Header=BB361_11 Depth=1
	v_bfe_u32 v160, v31, 16, 7
	v_mov_b32_e32 v150, 0x7fc02000
	s_mov_b32 s19, exec_lo
	s_delay_alu instid0(VALU_DEP_2)
	v_cmpx_ne_u32_e32 0x7f, v160
	s_cbranch_execz .LBB361_385
; %bb.382:                              ;   in Loop: Header=BB361_11 Depth=1
	v_and_b32_e32 v8, 7, v32
	v_lshrrev_b32_e32 v33, 3, v160
	s_mov_b32 s20, exec_lo
	v_cmpx_gt_u32_e32 8, v160
; %bb.383:                              ;   in Loop: Header=BB361_11 Depth=1
	s_delay_alu instid0(VALU_DEP_3) | instskip(NEXT) | instid1(VALU_DEP_1)
	v_clz_i32_u32_e32 v33, v8
	v_min_u32_e32 v33, 32, v33
	s_delay_alu instid0(VALU_DEP_1) | instskip(SKIP_1) | instid1(VALU_DEP_2)
	v_subrev_nc_u32_e32 v150, 28, v33
	v_sub_nc_u32_e32 v33, 29, v33
	v_lshlrev_b64 v[160:161], v150, v[8:9]
	s_delay_alu instid0(VALU_DEP_1)
	v_and_b32_e32 v8, 7, v160
; %bb.384:                              ;   in Loop: Header=BB361_11 Depth=1
	s_or_b32 exec_lo, exec_lo, s20
	v_lshlrev_b32_e32 v32, 8, v32
	v_lshl_add_u32 v33, v33, 10, 0x2000
	s_delay_alu instid0(VALU_DEP_1) | instskip(NEXT) | instid1(VALU_DEP_1)
	v_and_or_b32 v32, 0x8000, v32, v33
	v_lshl_or_b32 v8, v8, 7, v32
	s_delay_alu instid0(VALU_DEP_1)
	v_cvt_f32_f16_e64 v150, v8
.LBB361_385:                            ;   in Loop: Header=BB361_11 Depth=1
	s_or_b32 exec_lo, exec_lo, s19
.LBB361_386:                            ;   in Loop: Header=BB361_11 Depth=1
	s_delay_alu instid0(SALU_CYCLE_1)
	s_or_b32 exec_lo, exec_lo, s18
.LBB361_387:                            ;   in Loop: Header=BB361_11 Depth=1
	s_delay_alu instid0(SALU_CYCLE_1)
	s_or_b32 exec_lo, exec_lo, s17
	v_dual_mov_b32 v161, 0 :: v_dual_mov_b32 v160, 0
	s_mov_b32 s17, exec_lo
	v_cmpx_lt_u64_e64 s[2:3], v[30:31]
	s_cbranch_execz .LBB361_395
; %bb.388:                              ;   in Loop: Header=BB361_11 Depth=1
	v_lshrrev_b32_e32 v30, 24, v31
	v_bfrev_b32_e32 v160, 1
	s_mov_b32 s18, exec_lo
	s_delay_alu instid0(VALU_DEP_2)
	v_cmpx_ne_u32_e32 0x80, v30
	s_cbranch_execz .LBB361_394
; %bb.389:                              ;   in Loop: Header=BB361_11 Depth=1
	v_and_b32_e32 v32, 0x7f, v30
	v_mov_b32_e32 v160, 0x7fc02000
	s_mov_b32 s19, exec_lo
	s_delay_alu instid0(VALU_DEP_2)
	v_cmpx_ne_u32_e32 0x7f, v32
	s_cbranch_execz .LBB361_393
; %bb.390:                              ;   in Loop: Header=BB361_11 Depth=1
	v_and_b32_e32 v8, 7, v30
	v_lshrrev_b32_e32 v31, 3, v32
	s_mov_b32 s20, exec_lo
	v_cmpx_gt_u32_e32 8, v32
; %bb.391:                              ;   in Loop: Header=BB361_11 Depth=1
	s_delay_alu instid0(VALU_DEP_3) | instskip(NEXT) | instid1(VALU_DEP_1)
	v_clz_i32_u32_e32 v31, v8
	v_min_u32_e32 v31, 32, v31
	s_delay_alu instid0(VALU_DEP_1) | instskip(SKIP_1) | instid1(VALU_DEP_2)
	v_subrev_nc_u32_e32 v32, 28, v31
	v_sub_nc_u32_e32 v31, 29, v31
	v_lshlrev_b64 v[32:33], v32, v[8:9]
	s_delay_alu instid0(VALU_DEP_1)
	v_and_b32_e32 v8, 7, v32
; %bb.392:                              ;   in Loop: Header=BB361_11 Depth=1
	s_or_b32 exec_lo, exec_lo, s20
	v_lshlrev_b32_e32 v30, 8, v30
	v_lshl_add_u32 v31, v31, 10, 0x2000
	s_delay_alu instid0(VALU_DEP_1) | instskip(NEXT) | instid1(VALU_DEP_1)
	v_and_or_b32 v30, 0x8000, v30, v31
	v_lshl_or_b32 v8, v8, 7, v30
	s_delay_alu instid0(VALU_DEP_1)
	v_cvt_f32_f16_e64 v160, v8
.LBB361_393:                            ;   in Loop: Header=BB361_11 Depth=1
	s_or_b32 exec_lo, exec_lo, s19
.LBB361_394:                            ;   in Loop: Header=BB361_11 Depth=1
	s_delay_alu instid0(SALU_CYCLE_1)
	s_or_b32 exec_lo, exec_lo, s18
.LBB361_395:                            ;   in Loop: Header=BB361_11 Depth=1
	s_delay_alu instid0(SALU_CYCLE_1) | instskip(SKIP_4) | instid1(VALU_DEP_1)
	s_or_b32 exec_lo, exec_lo, s17
	flat_load_b64 v[30:31], v[28:29] offset:1536
	s_mov_b32 s17, exec_lo
	s_waitcnt vmcnt(0) lgkmcnt(0)
	v_and_b32_e32 v8, 0xff, v30
	v_cmpx_ne_u16_e32 0, v8
	s_cbranch_execz .LBB361_403
; %bb.396:                              ;   in Loop: Header=BB361_11 Depth=1
	v_bfrev_b32_e32 v161, 1
	s_mov_b32 s18, exec_lo
	v_cmpx_ne_u16_e32 0x80, v8
	s_cbranch_execz .LBB361_402
; %bb.397:                              ;   in Loop: Header=BB361_11 Depth=1
	v_and_b32_e32 v32, 0x7f, v30
	v_mov_b32_e32 v161, 0x7fc02000
	s_mov_b32 s19, exec_lo
	s_delay_alu instid0(VALU_DEP_2)
	v_cmpx_ne_u32_e32 0x7f, v32
	s_cbranch_execz .LBB361_401
; %bb.398:                              ;   in Loop: Header=BB361_11 Depth=1
	v_lshrrev_b32_e32 v8, 3, v32
	v_cmp_gt_u32_e64 s1, 8, v32
	v_dual_mov_b32 v33, v31 :: v_dual_mov_b32 v32, v30
	s_delay_alu instid0(VALU_DEP_2)
	s_and_saveexec_b32 s20, s1
; %bb.399:                              ;   in Loop: Header=BB361_11 Depth=1
	v_and_b32_e32 v8, 7, v30
	s_delay_alu instid0(VALU_DEP_1) | instskip(NEXT) | instid1(VALU_DEP_1)
	v_clz_i32_u32_e32 v8, v8
	v_min_u32_e32 v8, 32, v8
	s_delay_alu instid0(VALU_DEP_1) | instskip(SKIP_1) | instid1(VALU_DEP_2)
	v_subrev_nc_u32_e32 v32, 28, v8
	v_sub_nc_u32_e32 v8, 29, v8
	v_lshlrev_b64 v[32:33], v32, v[30:31]
; %bb.400:                              ;   in Loop: Header=BB361_11 Depth=1
	s_or_b32 exec_lo, exec_lo, s20
	v_lshlrev_b32_e32 v33, 8, v30
	s_delay_alu instid0(VALU_DEP_3) | instskip(NEXT) | instid1(VALU_DEP_3)
	v_lshl_add_u32 v8, v8, 10, 0x2000
	v_lshlrev_b32_e32 v32, 7, v32
	s_delay_alu instid0(VALU_DEP_2) | instskip(NEXT) | instid1(VALU_DEP_1)
	v_and_or_b32 v8, 0x8000, v33, v8
	v_and_or_b32 v8, 0x380, v32, v8
	s_delay_alu instid0(VALU_DEP_1)
	v_cvt_f32_f16_e64 v161, v8
.LBB361_401:                            ;   in Loop: Header=BB361_11 Depth=1
	s_or_b32 exec_lo, exec_lo, s19
.LBB361_402:                            ;   in Loop: Header=BB361_11 Depth=1
	s_delay_alu instid0(SALU_CYCLE_1)
	s_or_b32 exec_lo, exec_lo, s18
.LBB361_403:                            ;   in Loop: Header=BB361_11 Depth=1
	s_delay_alu instid0(SALU_CYCLE_1) | instskip(SKIP_3) | instid1(VALU_DEP_2)
	s_or_b32 exec_lo, exec_lo, s17
	v_lshrrev_b16 v8, 8, v30
	v_dual_mov_b32 v162, 0 :: v_dual_mov_b32 v163, 0
	s_mov_b32 s17, exec_lo
	v_cmpx_ne_u16_e32 0, v8
	s_cbranch_execz .LBB361_411
; %bb.404:                              ;   in Loop: Header=BB361_11 Depth=1
	v_bfrev_b32_e32 v163, 1
	s_mov_b32 s18, exec_lo
	v_cmpx_ne_u16_e32 0x80, v8
	s_cbranch_execz .LBB361_410
; %bb.405:                              ;   in Loop: Header=BB361_11 Depth=1
	v_and_b32_e32 v32, 0xffff, v8
	v_mov_b32_e32 v163, 0x7fc02000
	s_mov_b32 s19, exec_lo
	s_delay_alu instid0(VALU_DEP_2) | instskip(NEXT) | instid1(VALU_DEP_1)
	v_and_b32_e32 v164, 0x7f, v32
	v_cmpx_ne_u32_e32 0x7f, v164
	s_cbranch_execz .LBB361_409
; %bb.406:                              ;   in Loop: Header=BB361_11 Depth=1
	v_and_b32_e32 v8, 7, v32
	v_lshrrev_b32_e32 v33, 3, v164
	s_mov_b32 s20, exec_lo
	v_cmpx_gt_u32_e32 8, v164
; %bb.407:                              ;   in Loop: Header=BB361_11 Depth=1
	s_delay_alu instid0(VALU_DEP_3) | instskip(NEXT) | instid1(VALU_DEP_1)
	v_clz_i32_u32_e32 v33, v8
	v_min_u32_e32 v33, 32, v33
	s_delay_alu instid0(VALU_DEP_1) | instskip(SKIP_1) | instid1(VALU_DEP_2)
	v_subrev_nc_u32_e32 v163, 28, v33
	v_sub_nc_u32_e32 v33, 29, v33
	v_lshlrev_b64 v[163:164], v163, v[8:9]
	s_delay_alu instid0(VALU_DEP_1)
	v_and_b32_e32 v8, 7, v163
; %bb.408:                              ;   in Loop: Header=BB361_11 Depth=1
	s_or_b32 exec_lo, exec_lo, s20
	v_lshlrev_b32_e32 v32, 8, v32
	v_lshl_add_u32 v33, v33, 10, 0x2000
	s_delay_alu instid0(VALU_DEP_1) | instskip(NEXT) | instid1(VALU_DEP_1)
	v_and_or_b32 v32, 0x8000, v32, v33
	v_lshl_or_b32 v8, v8, 7, v32
	s_delay_alu instid0(VALU_DEP_1)
	v_cvt_f32_f16_e64 v163, v8
.LBB361_409:                            ;   in Loop: Header=BB361_11 Depth=1
	s_or_b32 exec_lo, exec_lo, s19
.LBB361_410:                            ;   in Loop: Header=BB361_11 Depth=1
	s_delay_alu instid0(SALU_CYCLE_1)
	s_or_b32 exec_lo, exec_lo, s18
.LBB361_411:                            ;   in Loop: Header=BB361_11 Depth=1
	s_delay_alu instid0(SALU_CYCLE_1) | instskip(SKIP_2) | instid1(VALU_DEP_1)
	s_or_b32 exec_lo, exec_lo, s17
	v_lshrrev_b32_e32 v32, 16, v30
	s_mov_b32 s17, exec_lo
	v_and_b32_e32 v8, 0xff, v32
	s_delay_alu instid0(VALU_DEP_1)
	v_cmpx_ne_u16_e32 0, v8
	s_cbranch_execz .LBB361_419
; %bb.412:                              ;   in Loop: Header=BB361_11 Depth=1
	v_bfrev_b32_e32 v162, 1
	s_mov_b32 s18, exec_lo
	v_cmpx_ne_u16_e32 0x80, v8
	s_cbranch_execz .LBB361_418
; %bb.413:                              ;   in Loop: Header=BB361_11 Depth=1
	v_bfe_u32 v164, v30, 16, 7
	v_mov_b32_e32 v162, 0x7fc02000
	s_mov_b32 s19, exec_lo
	s_delay_alu instid0(VALU_DEP_2)
	v_cmpx_ne_u32_e32 0x7f, v164
	s_cbranch_execz .LBB361_417
; %bb.414:                              ;   in Loop: Header=BB361_11 Depth=1
	v_and_b32_e32 v8, 7, v32
	v_lshrrev_b32_e32 v33, 3, v164
	s_mov_b32 s20, exec_lo
	v_cmpx_gt_u32_e32 8, v164
; %bb.415:                              ;   in Loop: Header=BB361_11 Depth=1
	s_delay_alu instid0(VALU_DEP_3) | instskip(NEXT) | instid1(VALU_DEP_1)
	v_clz_i32_u32_e32 v33, v8
	v_min_u32_e32 v33, 32, v33
	s_delay_alu instid0(VALU_DEP_1) | instskip(SKIP_1) | instid1(VALU_DEP_2)
	v_subrev_nc_u32_e32 v162, 28, v33
	v_sub_nc_u32_e32 v33, 29, v33
	v_lshlrev_b64 v[164:165], v162, v[8:9]
	s_delay_alu instid0(VALU_DEP_1)
	v_and_b32_e32 v8, 7, v164
; %bb.416:                              ;   in Loop: Header=BB361_11 Depth=1
	s_or_b32 exec_lo, exec_lo, s20
	v_lshlrev_b32_e32 v32, 8, v32
	v_lshl_add_u32 v33, v33, 10, 0x2000
	s_delay_alu instid0(VALU_DEP_1) | instskip(NEXT) | instid1(VALU_DEP_1)
	v_and_or_b32 v32, 0x8000, v32, v33
	v_lshl_or_b32 v8, v8, 7, v32
	s_delay_alu instid0(VALU_DEP_1)
	v_cvt_f32_f16_e64 v162, v8
.LBB361_417:                            ;   in Loop: Header=BB361_11 Depth=1
	s_or_b32 exec_lo, exec_lo, s19
.LBB361_418:                            ;   in Loop: Header=BB361_11 Depth=1
	s_delay_alu instid0(SALU_CYCLE_1)
	s_or_b32 exec_lo, exec_lo, s18
.LBB361_419:                            ;   in Loop: Header=BB361_11 Depth=1
	s_delay_alu instid0(SALU_CYCLE_1)
	s_or_b32 exec_lo, exec_lo, s17
	v_dual_mov_b32 v164, 0 :: v_dual_mov_b32 v165, 0
	s_mov_b32 s17, exec_lo
	v_cmpx_lt_u32_e32 0xffffff, v30
	s_cbranch_execz .LBB361_427
; %bb.420:                              ;   in Loop: Header=BB361_11 Depth=1
	v_lshrrev_b32_e32 v32, 24, v30
	v_bfrev_b32_e32 v165, 1
	s_mov_b32 s18, exec_lo
	s_delay_alu instid0(VALU_DEP_2)
	v_cmpx_ne_u32_e32 0x80, v32
	s_cbranch_execz .LBB361_426
; %bb.421:                              ;   in Loop: Header=BB361_11 Depth=1
	v_and_b32_e32 v166, 0x7f, v32
	v_mov_b32_e32 v165, 0x7fc02000
	s_mov_b32 s19, exec_lo
	s_delay_alu instid0(VALU_DEP_2)
	v_cmpx_ne_u32_e32 0x7f, v166
	s_cbranch_execz .LBB361_425
; %bb.422:                              ;   in Loop: Header=BB361_11 Depth=1
	v_and_b32_e32 v8, 7, v32
	v_lshrrev_b32_e32 v33, 3, v166
	s_mov_b32 s20, exec_lo
	v_cmpx_gt_u32_e32 8, v166
; %bb.423:                              ;   in Loop: Header=BB361_11 Depth=1
	s_delay_alu instid0(VALU_DEP_3) | instskip(NEXT) | instid1(VALU_DEP_1)
	v_clz_i32_u32_e32 v33, v8
	v_min_u32_e32 v33, 32, v33
	s_delay_alu instid0(VALU_DEP_1) | instskip(SKIP_1) | instid1(VALU_DEP_2)
	v_subrev_nc_u32_e32 v165, 28, v33
	v_sub_nc_u32_e32 v33, 29, v33
	v_lshlrev_b64 v[165:166], v165, v[8:9]
	s_delay_alu instid0(VALU_DEP_1)
	v_and_b32_e32 v8, 7, v165
; %bb.424:                              ;   in Loop: Header=BB361_11 Depth=1
	s_or_b32 exec_lo, exec_lo, s20
	v_lshlrev_b32_e32 v32, 8, v32
	v_lshl_add_u32 v33, v33, 10, 0x2000
	s_delay_alu instid0(VALU_DEP_1) | instskip(NEXT) | instid1(VALU_DEP_1)
	v_and_or_b32 v32, 0x8000, v32, v33
	v_lshl_or_b32 v8, v8, 7, v32
	s_delay_alu instid0(VALU_DEP_1)
	v_cvt_f32_f16_e64 v165, v8
.LBB361_425:                            ;   in Loop: Header=BB361_11 Depth=1
	s_or_b32 exec_lo, exec_lo, s19
.LBB361_426:                            ;   in Loop: Header=BB361_11 Depth=1
	s_delay_alu instid0(SALU_CYCLE_1)
	s_or_b32 exec_lo, exec_lo, s18
.LBB361_427:                            ;   in Loop: Header=BB361_11 Depth=1
	s_delay_alu instid0(SALU_CYCLE_1) | instskip(SKIP_3) | instid1(VALU_DEP_2)
	s_or_b32 exec_lo, exec_lo, s17
	v_and_b32_e32 v32, 0xff, v31
	v_mov_b32_e32 v8, v31
	s_mov_b32 s17, exec_lo
	v_cmpx_ne_u16_e32 0, v32
	s_cbranch_execz .LBB361_435
; %bb.428:                              ;   in Loop: Header=BB361_11 Depth=1
	v_bfrev_b32_e32 v164, 1
	s_mov_b32 s18, exec_lo
	v_cmpx_ne_u16_e32 0x80, v32
	s_cbranch_execz .LBB361_434
; %bb.429:                              ;   in Loop: Header=BB361_11 Depth=1
	v_and_b32_e32 v32, 0x7f, v31
	v_mov_b32_e32 v164, 0x7fc02000
	s_mov_b32 s19, exec_lo
	s_delay_alu instid0(VALU_DEP_2)
	v_cmpx_ne_u32_e32 0x7f, v32
	s_cbranch_execz .LBB361_433
; %bb.430:                              ;   in Loop: Header=BB361_11 Depth=1
	v_lshrrev_b32_e32 v164, 3, v32
	v_cmp_gt_u32_e64 s1, 8, v32
	v_dual_mov_b32 v33, v9 :: v_dual_mov_b32 v32, v8
	s_delay_alu instid0(VALU_DEP_2)
	s_and_saveexec_b32 s20, s1
; %bb.431:                              ;   in Loop: Header=BB361_11 Depth=1
	v_and_b32_e32 v32, 7, v31
	s_delay_alu instid0(VALU_DEP_1) | instskip(NEXT) | instid1(VALU_DEP_1)
	v_clz_i32_u32_e32 v32, v32
	v_min_u32_e32 v164, 32, v32
	s_delay_alu instid0(VALU_DEP_1) | instskip(SKIP_1) | instid1(VALU_DEP_2)
	v_subrev_nc_u32_e32 v32, 28, v164
	v_sub_nc_u32_e32 v164, 29, v164
	v_lshlrev_b64 v[32:33], v32, v[8:9]
; %bb.432:                              ;   in Loop: Header=BB361_11 Depth=1
	s_or_b32 exec_lo, exec_lo, s20
	v_lshlrev_b32_e32 v33, 8, v31
	s_delay_alu instid0(VALU_DEP_3) | instskip(NEXT) | instid1(VALU_DEP_3)
	v_lshl_add_u32 v164, v164, 10, 0x2000
	v_lshlrev_b32_e32 v32, 7, v32
	s_delay_alu instid0(VALU_DEP_2) | instskip(NEXT) | instid1(VALU_DEP_1)
	v_and_or_b32 v33, 0x8000, v33, v164
	v_and_or_b32 v32, 0x380, v32, v33
	s_delay_alu instid0(VALU_DEP_1)
	v_cvt_f32_f16_e64 v164, v32
.LBB361_433:                            ;   in Loop: Header=BB361_11 Depth=1
	s_or_b32 exec_lo, exec_lo, s19
.LBB361_434:                            ;   in Loop: Header=BB361_11 Depth=1
	s_delay_alu instid0(SALU_CYCLE_1)
	s_or_b32 exec_lo, exec_lo, s18
.LBB361_435:                            ;   in Loop: Header=BB361_11 Depth=1
	s_delay_alu instid0(SALU_CYCLE_1) | instskip(SKIP_3) | instid1(VALU_DEP_2)
	s_or_b32 exec_lo, exec_lo, s17
	v_lshrrev_b16 v8, 8, v8
	v_dual_mov_b32 v166, 0 :: v_dual_mov_b32 v167, 0
	s_mov_b32 s17, exec_lo
	v_cmpx_ne_u16_e32 0, v8
	s_cbranch_execz .LBB361_443
; %bb.436:                              ;   in Loop: Header=BB361_11 Depth=1
	v_bfrev_b32_e32 v167, 1
	s_mov_b32 s18, exec_lo
	v_cmpx_ne_u16_e32 0x80, v8
	s_cbranch_execz .LBB361_442
; %bb.437:                              ;   in Loop: Header=BB361_11 Depth=1
	v_and_b32_e32 v32, 0xffff, v8
	v_mov_b32_e32 v167, 0x7fc02000
	s_mov_b32 s19, exec_lo
	s_delay_alu instid0(VALU_DEP_2) | instskip(NEXT) | instid1(VALU_DEP_1)
	v_and_b32_e32 v176, 0x7f, v32
	v_cmpx_ne_u32_e32 0x7f, v176
	s_cbranch_execz .LBB361_441
; %bb.438:                              ;   in Loop: Header=BB361_11 Depth=1
	v_and_b32_e32 v8, 7, v32
	v_lshrrev_b32_e32 v33, 3, v176
	s_mov_b32 s20, exec_lo
	v_cmpx_gt_u32_e32 8, v176
; %bb.439:                              ;   in Loop: Header=BB361_11 Depth=1
	s_delay_alu instid0(VALU_DEP_3) | instskip(NEXT) | instid1(VALU_DEP_1)
	v_clz_i32_u32_e32 v33, v8
	v_min_u32_e32 v33, 32, v33
	s_delay_alu instid0(VALU_DEP_1) | instskip(SKIP_1) | instid1(VALU_DEP_2)
	v_subrev_nc_u32_e32 v167, 28, v33
	v_sub_nc_u32_e32 v33, 29, v33
	v_lshlrev_b64 v[176:177], v167, v[8:9]
	s_delay_alu instid0(VALU_DEP_1)
	v_and_b32_e32 v8, 7, v176
; %bb.440:                              ;   in Loop: Header=BB361_11 Depth=1
	s_or_b32 exec_lo, exec_lo, s20
	v_lshlrev_b32_e32 v32, 8, v32
	v_lshl_add_u32 v33, v33, 10, 0x2000
	s_delay_alu instid0(VALU_DEP_1) | instskip(NEXT) | instid1(VALU_DEP_1)
	v_and_or_b32 v32, 0x8000, v32, v33
	v_lshl_or_b32 v8, v8, 7, v32
	s_delay_alu instid0(VALU_DEP_1)
	v_cvt_f32_f16_e64 v167, v8
.LBB361_441:                            ;   in Loop: Header=BB361_11 Depth=1
	s_or_b32 exec_lo, exec_lo, s19
.LBB361_442:                            ;   in Loop: Header=BB361_11 Depth=1
	s_delay_alu instid0(SALU_CYCLE_1)
	s_or_b32 exec_lo, exec_lo, s18
.LBB361_443:                            ;   in Loop: Header=BB361_11 Depth=1
	s_delay_alu instid0(SALU_CYCLE_1) | instskip(SKIP_2) | instid1(VALU_DEP_1)
	s_or_b32 exec_lo, exec_lo, s17
	v_lshrrev_b32_e32 v32, 16, v31
	s_mov_b32 s17, exec_lo
	v_and_b32_e32 v8, 0xff, v32
	s_delay_alu instid0(VALU_DEP_1)
	v_cmpx_ne_u16_e32 0, v8
	s_cbranch_execz .LBB361_451
; %bb.444:                              ;   in Loop: Header=BB361_11 Depth=1
	v_bfrev_b32_e32 v166, 1
	s_mov_b32 s18, exec_lo
	v_cmpx_ne_u16_e32 0x80, v8
	s_cbranch_execz .LBB361_450
; %bb.445:                              ;   in Loop: Header=BB361_11 Depth=1
	v_bfe_u32 v176, v31, 16, 7
	v_mov_b32_e32 v166, 0x7fc02000
	s_mov_b32 s19, exec_lo
	s_delay_alu instid0(VALU_DEP_2)
	v_cmpx_ne_u32_e32 0x7f, v176
	s_cbranch_execz .LBB361_449
; %bb.446:                              ;   in Loop: Header=BB361_11 Depth=1
	v_and_b32_e32 v8, 7, v32
	v_lshrrev_b32_e32 v33, 3, v176
	s_mov_b32 s20, exec_lo
	v_cmpx_gt_u32_e32 8, v176
; %bb.447:                              ;   in Loop: Header=BB361_11 Depth=1
	s_delay_alu instid0(VALU_DEP_3) | instskip(NEXT) | instid1(VALU_DEP_1)
	v_clz_i32_u32_e32 v33, v8
	v_min_u32_e32 v33, 32, v33
	s_delay_alu instid0(VALU_DEP_1) | instskip(SKIP_1) | instid1(VALU_DEP_2)
	v_subrev_nc_u32_e32 v166, 28, v33
	v_sub_nc_u32_e32 v33, 29, v33
	v_lshlrev_b64 v[176:177], v166, v[8:9]
	s_delay_alu instid0(VALU_DEP_1)
	v_and_b32_e32 v8, 7, v176
; %bb.448:                              ;   in Loop: Header=BB361_11 Depth=1
	s_or_b32 exec_lo, exec_lo, s20
	v_lshlrev_b32_e32 v32, 8, v32
	v_lshl_add_u32 v33, v33, 10, 0x2000
	s_delay_alu instid0(VALU_DEP_1) | instskip(NEXT) | instid1(VALU_DEP_1)
	v_and_or_b32 v32, 0x8000, v32, v33
	v_lshl_or_b32 v8, v8, 7, v32
	s_delay_alu instid0(VALU_DEP_1)
	v_cvt_f32_f16_e64 v166, v8
.LBB361_449:                            ;   in Loop: Header=BB361_11 Depth=1
	s_or_b32 exec_lo, exec_lo, s19
.LBB361_450:                            ;   in Loop: Header=BB361_11 Depth=1
	s_delay_alu instid0(SALU_CYCLE_1)
	s_or_b32 exec_lo, exec_lo, s18
.LBB361_451:                            ;   in Loop: Header=BB361_11 Depth=1
	s_delay_alu instid0(SALU_CYCLE_1)
	s_or_b32 exec_lo, exec_lo, s17
	v_dual_mov_b32 v177, 0 :: v_dual_mov_b32 v176, 0
	s_mov_b32 s17, exec_lo
	v_cmpx_lt_u64_e64 s[2:3], v[30:31]
	s_cbranch_execz .LBB361_459
; %bb.452:                              ;   in Loop: Header=BB361_11 Depth=1
	v_lshrrev_b32_e32 v30, 24, v31
	v_bfrev_b32_e32 v176, 1
	s_mov_b32 s18, exec_lo
	s_delay_alu instid0(VALU_DEP_2)
	v_cmpx_ne_u32_e32 0x80, v30
	s_cbranch_execz .LBB361_458
; %bb.453:                              ;   in Loop: Header=BB361_11 Depth=1
	v_and_b32_e32 v32, 0x7f, v30
	v_mov_b32_e32 v176, 0x7fc02000
	s_mov_b32 s19, exec_lo
	s_delay_alu instid0(VALU_DEP_2)
	v_cmpx_ne_u32_e32 0x7f, v32
	s_cbranch_execz .LBB361_457
; %bb.454:                              ;   in Loop: Header=BB361_11 Depth=1
	v_and_b32_e32 v8, 7, v30
	v_lshrrev_b32_e32 v31, 3, v32
	s_mov_b32 s20, exec_lo
	v_cmpx_gt_u32_e32 8, v32
; %bb.455:                              ;   in Loop: Header=BB361_11 Depth=1
	s_delay_alu instid0(VALU_DEP_3) | instskip(NEXT) | instid1(VALU_DEP_1)
	v_clz_i32_u32_e32 v31, v8
	v_min_u32_e32 v31, 32, v31
	s_delay_alu instid0(VALU_DEP_1) | instskip(SKIP_1) | instid1(VALU_DEP_2)
	v_subrev_nc_u32_e32 v32, 28, v31
	v_sub_nc_u32_e32 v31, 29, v31
	v_lshlrev_b64 v[32:33], v32, v[8:9]
	s_delay_alu instid0(VALU_DEP_1)
	v_and_b32_e32 v8, 7, v32
; %bb.456:                              ;   in Loop: Header=BB361_11 Depth=1
	s_or_b32 exec_lo, exec_lo, s20
	v_lshlrev_b32_e32 v30, 8, v30
	v_lshl_add_u32 v31, v31, 10, 0x2000
	s_delay_alu instid0(VALU_DEP_1) | instskip(NEXT) | instid1(VALU_DEP_1)
	v_and_or_b32 v30, 0x8000, v30, v31
	v_lshl_or_b32 v8, v8, 7, v30
	s_delay_alu instid0(VALU_DEP_1)
	v_cvt_f32_f16_e64 v176, v8
.LBB361_457:                            ;   in Loop: Header=BB361_11 Depth=1
	s_or_b32 exec_lo, exec_lo, s19
.LBB361_458:                            ;   in Loop: Header=BB361_11 Depth=1
	s_delay_alu instid0(SALU_CYCLE_1)
	s_or_b32 exec_lo, exec_lo, s18
.LBB361_459:                            ;   in Loop: Header=BB361_11 Depth=1
	s_delay_alu instid0(SALU_CYCLE_1) | instskip(SKIP_4) | instid1(VALU_DEP_1)
	s_or_b32 exec_lo, exec_lo, s17
	flat_load_b64 v[30:31], v[28:29] offset:1544
	s_mov_b32 s17, exec_lo
	s_waitcnt vmcnt(0) lgkmcnt(0)
	v_and_b32_e32 v8, 0xff, v30
	v_cmpx_ne_u16_e32 0, v8
	s_cbranch_execz .LBB361_467
; %bb.460:                              ;   in Loop: Header=BB361_11 Depth=1
	v_bfrev_b32_e32 v177, 1
	s_mov_b32 s18, exec_lo
	v_cmpx_ne_u16_e32 0x80, v8
	s_cbranch_execz .LBB361_466
; %bb.461:                              ;   in Loop: Header=BB361_11 Depth=1
	v_and_b32_e32 v32, 0x7f, v30
	v_mov_b32_e32 v177, 0x7fc02000
	s_mov_b32 s19, exec_lo
	s_delay_alu instid0(VALU_DEP_2)
	v_cmpx_ne_u32_e32 0x7f, v32
	s_cbranch_execz .LBB361_465
; %bb.462:                              ;   in Loop: Header=BB361_11 Depth=1
	v_lshrrev_b32_e32 v8, 3, v32
	v_cmp_gt_u32_e64 s1, 8, v32
	v_dual_mov_b32 v33, v31 :: v_dual_mov_b32 v32, v30
	s_delay_alu instid0(VALU_DEP_2)
	s_and_saveexec_b32 s20, s1
; %bb.463:                              ;   in Loop: Header=BB361_11 Depth=1
	v_and_b32_e32 v8, 7, v30
	s_delay_alu instid0(VALU_DEP_1) | instskip(NEXT) | instid1(VALU_DEP_1)
	v_clz_i32_u32_e32 v8, v8
	v_min_u32_e32 v8, 32, v8
	s_delay_alu instid0(VALU_DEP_1) | instskip(SKIP_1) | instid1(VALU_DEP_2)
	v_subrev_nc_u32_e32 v32, 28, v8
	v_sub_nc_u32_e32 v8, 29, v8
	v_lshlrev_b64 v[32:33], v32, v[30:31]
; %bb.464:                              ;   in Loop: Header=BB361_11 Depth=1
	s_or_b32 exec_lo, exec_lo, s20
	v_lshlrev_b32_e32 v33, 8, v30
	s_delay_alu instid0(VALU_DEP_3) | instskip(NEXT) | instid1(VALU_DEP_3)
	v_lshl_add_u32 v8, v8, 10, 0x2000
	v_lshlrev_b32_e32 v32, 7, v32
	s_delay_alu instid0(VALU_DEP_2) | instskip(NEXT) | instid1(VALU_DEP_1)
	v_and_or_b32 v8, 0x8000, v33, v8
	v_and_or_b32 v8, 0x380, v32, v8
	s_delay_alu instid0(VALU_DEP_1)
	v_cvt_f32_f16_e64 v177, v8
.LBB361_465:                            ;   in Loop: Header=BB361_11 Depth=1
	s_or_b32 exec_lo, exec_lo, s19
.LBB361_466:                            ;   in Loop: Header=BB361_11 Depth=1
	s_delay_alu instid0(SALU_CYCLE_1)
	s_or_b32 exec_lo, exec_lo, s18
.LBB361_467:                            ;   in Loop: Header=BB361_11 Depth=1
	s_delay_alu instid0(SALU_CYCLE_1) | instskip(SKIP_3) | instid1(VALU_DEP_2)
	s_or_b32 exec_lo, exec_lo, s17
	v_lshrrev_b16 v8, 8, v30
	v_dual_mov_b32 v178, 0 :: v_dual_mov_b32 v179, 0
	s_mov_b32 s17, exec_lo
	v_cmpx_ne_u16_e32 0, v8
	s_cbranch_execz .LBB361_475
; %bb.468:                              ;   in Loop: Header=BB361_11 Depth=1
	v_bfrev_b32_e32 v179, 1
	s_mov_b32 s18, exec_lo
	v_cmpx_ne_u16_e32 0x80, v8
	s_cbranch_execz .LBB361_474
; %bb.469:                              ;   in Loop: Header=BB361_11 Depth=1
	v_and_b32_e32 v32, 0xffff, v8
	v_mov_b32_e32 v179, 0x7fc02000
	s_mov_b32 s19, exec_lo
	s_delay_alu instid0(VALU_DEP_2) | instskip(NEXT) | instid1(VALU_DEP_1)
	v_and_b32_e32 v180, 0x7f, v32
	v_cmpx_ne_u32_e32 0x7f, v180
	s_cbranch_execz .LBB361_473
; %bb.470:                              ;   in Loop: Header=BB361_11 Depth=1
	v_and_b32_e32 v8, 7, v32
	v_lshrrev_b32_e32 v33, 3, v180
	s_mov_b32 s20, exec_lo
	v_cmpx_gt_u32_e32 8, v180
; %bb.471:                              ;   in Loop: Header=BB361_11 Depth=1
	s_delay_alu instid0(VALU_DEP_3) | instskip(NEXT) | instid1(VALU_DEP_1)
	v_clz_i32_u32_e32 v33, v8
	v_min_u32_e32 v33, 32, v33
	s_delay_alu instid0(VALU_DEP_1) | instskip(SKIP_1) | instid1(VALU_DEP_2)
	v_subrev_nc_u32_e32 v179, 28, v33
	v_sub_nc_u32_e32 v33, 29, v33
	v_lshlrev_b64 v[179:180], v179, v[8:9]
	s_delay_alu instid0(VALU_DEP_1)
	v_and_b32_e32 v8, 7, v179
; %bb.472:                              ;   in Loop: Header=BB361_11 Depth=1
	s_or_b32 exec_lo, exec_lo, s20
	v_lshlrev_b32_e32 v32, 8, v32
	v_lshl_add_u32 v33, v33, 10, 0x2000
	s_delay_alu instid0(VALU_DEP_1) | instskip(NEXT) | instid1(VALU_DEP_1)
	v_and_or_b32 v32, 0x8000, v32, v33
	v_lshl_or_b32 v8, v8, 7, v32
	s_delay_alu instid0(VALU_DEP_1)
	v_cvt_f32_f16_e64 v179, v8
.LBB361_473:                            ;   in Loop: Header=BB361_11 Depth=1
	s_or_b32 exec_lo, exec_lo, s19
.LBB361_474:                            ;   in Loop: Header=BB361_11 Depth=1
	s_delay_alu instid0(SALU_CYCLE_1)
	s_or_b32 exec_lo, exec_lo, s18
.LBB361_475:                            ;   in Loop: Header=BB361_11 Depth=1
	s_delay_alu instid0(SALU_CYCLE_1) | instskip(SKIP_2) | instid1(VALU_DEP_1)
	s_or_b32 exec_lo, exec_lo, s17
	v_lshrrev_b32_e32 v32, 16, v30
	s_mov_b32 s17, exec_lo
	v_and_b32_e32 v8, 0xff, v32
	s_delay_alu instid0(VALU_DEP_1)
	v_cmpx_ne_u16_e32 0, v8
	s_cbranch_execz .LBB361_483
; %bb.476:                              ;   in Loop: Header=BB361_11 Depth=1
	v_bfrev_b32_e32 v178, 1
	s_mov_b32 s18, exec_lo
	v_cmpx_ne_u16_e32 0x80, v8
	s_cbranch_execz .LBB361_482
; %bb.477:                              ;   in Loop: Header=BB361_11 Depth=1
	v_bfe_u32 v180, v30, 16, 7
	v_mov_b32_e32 v178, 0x7fc02000
	s_mov_b32 s19, exec_lo
	s_delay_alu instid0(VALU_DEP_2)
	v_cmpx_ne_u32_e32 0x7f, v180
	s_cbranch_execz .LBB361_481
; %bb.478:                              ;   in Loop: Header=BB361_11 Depth=1
	v_and_b32_e32 v8, 7, v32
	v_lshrrev_b32_e32 v33, 3, v180
	s_mov_b32 s20, exec_lo
	v_cmpx_gt_u32_e32 8, v180
; %bb.479:                              ;   in Loop: Header=BB361_11 Depth=1
	s_delay_alu instid0(VALU_DEP_3) | instskip(NEXT) | instid1(VALU_DEP_1)
	v_clz_i32_u32_e32 v33, v8
	v_min_u32_e32 v33, 32, v33
	s_delay_alu instid0(VALU_DEP_1) | instskip(SKIP_1) | instid1(VALU_DEP_2)
	v_subrev_nc_u32_e32 v178, 28, v33
	v_sub_nc_u32_e32 v33, 29, v33
	v_lshlrev_b64 v[180:181], v178, v[8:9]
	s_delay_alu instid0(VALU_DEP_1)
	v_and_b32_e32 v8, 7, v180
; %bb.480:                              ;   in Loop: Header=BB361_11 Depth=1
	s_or_b32 exec_lo, exec_lo, s20
	v_lshlrev_b32_e32 v32, 8, v32
	v_lshl_add_u32 v33, v33, 10, 0x2000
	s_delay_alu instid0(VALU_DEP_1) | instskip(NEXT) | instid1(VALU_DEP_1)
	v_and_or_b32 v32, 0x8000, v32, v33
	v_lshl_or_b32 v8, v8, 7, v32
	s_delay_alu instid0(VALU_DEP_1)
	v_cvt_f32_f16_e64 v178, v8
.LBB361_481:                            ;   in Loop: Header=BB361_11 Depth=1
	s_or_b32 exec_lo, exec_lo, s19
.LBB361_482:                            ;   in Loop: Header=BB361_11 Depth=1
	s_delay_alu instid0(SALU_CYCLE_1)
	s_or_b32 exec_lo, exec_lo, s18
.LBB361_483:                            ;   in Loop: Header=BB361_11 Depth=1
	s_delay_alu instid0(SALU_CYCLE_1)
	s_or_b32 exec_lo, exec_lo, s17
	v_mov_b32_e32 v40, 0
	v_mov_b32_e32 v42, 0
	s_mov_b32 s17, exec_lo
	v_cmpx_lt_u32_e32 0xffffff, v30
	s_cbranch_execz .LBB361_491
; %bb.484:                              ;   in Loop: Header=BB361_11 Depth=1
	v_lshrrev_b32_e32 v32, 24, v30
	v_bfrev_b32_e32 v42, 1
	s_mov_b32 s18, exec_lo
	s_delay_alu instid0(VALU_DEP_2)
	v_cmpx_ne_u32_e32 0x80, v32
	s_cbranch_execz .LBB361_490
; %bb.485:                              ;   in Loop: Header=BB361_11 Depth=1
	v_and_b32_e32 v180, 0x7f, v32
	v_mov_b32_e32 v42, 0x7fc02000
	s_mov_b32 s19, exec_lo
	s_delay_alu instid0(VALU_DEP_2)
	v_cmpx_ne_u32_e32 0x7f, v180
	s_cbranch_execz .LBB361_489
; %bb.486:                              ;   in Loop: Header=BB361_11 Depth=1
	v_and_b32_e32 v8, 7, v32
	v_lshrrev_b32_e32 v33, 3, v180
	s_mov_b32 s20, exec_lo
	v_cmpx_gt_u32_e32 8, v180
; %bb.487:                              ;   in Loop: Header=BB361_11 Depth=1
	s_delay_alu instid0(VALU_DEP_3) | instskip(NEXT) | instid1(VALU_DEP_1)
	v_clz_i32_u32_e32 v33, v8
	v_min_u32_e32 v33, 32, v33
	s_delay_alu instid0(VALU_DEP_1) | instskip(SKIP_1) | instid1(VALU_DEP_2)
	v_subrev_nc_u32_e32 v180, 28, v33
	v_sub_nc_u32_e32 v33, 29, v33
	v_lshlrev_b64 v[180:181], v180, v[8:9]
	s_delay_alu instid0(VALU_DEP_1)
	v_and_b32_e32 v8, 7, v180
; %bb.488:                              ;   in Loop: Header=BB361_11 Depth=1
	s_or_b32 exec_lo, exec_lo, s20
	v_lshlrev_b32_e32 v32, 8, v32
	v_lshl_add_u32 v33, v33, 10, 0x2000
	s_delay_alu instid0(VALU_DEP_1) | instskip(NEXT) | instid1(VALU_DEP_1)
	v_and_or_b32 v32, 0x8000, v32, v33
	v_lshl_or_b32 v8, v8, 7, v32
	s_delay_alu instid0(VALU_DEP_1)
	v_cvt_f32_f16_e32 v42, v8
.LBB361_489:                            ;   in Loop: Header=BB361_11 Depth=1
	s_or_b32 exec_lo, exec_lo, s19
.LBB361_490:                            ;   in Loop: Header=BB361_11 Depth=1
	s_delay_alu instid0(SALU_CYCLE_1)
	s_or_b32 exec_lo, exec_lo, s18
.LBB361_491:                            ;   in Loop: Header=BB361_11 Depth=1
	s_delay_alu instid0(SALU_CYCLE_1) | instskip(SKIP_3) | instid1(VALU_DEP_2)
	s_or_b32 exec_lo, exec_lo, s17
	v_and_b32_e32 v32, 0xff, v31
	v_mov_b32_e32 v8, v31
	s_mov_b32 s17, exec_lo
	v_cmpx_ne_u16_e32 0, v32
	s_cbranch_execz .LBB361_499
; %bb.492:                              ;   in Loop: Header=BB361_11 Depth=1
	v_bfrev_b32_e32 v40, 1
	s_mov_b32 s18, exec_lo
	v_cmpx_ne_u16_e32 0x80, v32
	s_cbranch_execz .LBB361_498
; %bb.493:                              ;   in Loop: Header=BB361_11 Depth=1
	v_and_b32_e32 v32, 0x7f, v31
	v_mov_b32_e32 v40, 0x7fc02000
	s_mov_b32 s19, exec_lo
	s_delay_alu instid0(VALU_DEP_2)
	v_cmpx_ne_u32_e32 0x7f, v32
	s_cbranch_execz .LBB361_497
; %bb.494:                              ;   in Loop: Header=BB361_11 Depth=1
	v_lshrrev_b32_e32 v180, 3, v32
	v_cmp_gt_u32_e64 s1, 8, v32
	v_dual_mov_b32 v33, v9 :: v_dual_mov_b32 v32, v8
	s_delay_alu instid0(VALU_DEP_2)
	s_and_saveexec_b32 s20, s1
; %bb.495:                              ;   in Loop: Header=BB361_11 Depth=1
	v_and_b32_e32 v32, 7, v31
	s_delay_alu instid0(VALU_DEP_1) | instskip(NEXT) | instid1(VALU_DEP_1)
	v_clz_i32_u32_e32 v32, v32
	v_min_u32_e32 v180, 32, v32
	s_delay_alu instid0(VALU_DEP_1) | instskip(SKIP_1) | instid1(VALU_DEP_2)
	v_subrev_nc_u32_e32 v32, 28, v180
	v_sub_nc_u32_e32 v180, 29, v180
	v_lshlrev_b64 v[32:33], v32, v[8:9]
; %bb.496:                              ;   in Loop: Header=BB361_11 Depth=1
	s_or_b32 exec_lo, exec_lo, s20
	v_lshlrev_b32_e32 v33, 8, v31
	s_delay_alu instid0(VALU_DEP_3) | instskip(NEXT) | instid1(VALU_DEP_3)
	v_lshl_add_u32 v180, v180, 10, 0x2000
	v_lshlrev_b32_e32 v32, 7, v32
	s_delay_alu instid0(VALU_DEP_2) | instskip(NEXT) | instid1(VALU_DEP_1)
	v_and_or_b32 v33, 0x8000, v33, v180
	v_and_or_b32 v32, 0x380, v32, v33
	s_delay_alu instid0(VALU_DEP_1)
	v_cvt_f32_f16_e32 v40, v32
.LBB361_497:                            ;   in Loop: Header=BB361_11 Depth=1
	s_or_b32 exec_lo, exec_lo, s19
.LBB361_498:                            ;   in Loop: Header=BB361_11 Depth=1
	s_delay_alu instid0(SALU_CYCLE_1)
	s_or_b32 exec_lo, exec_lo, s18
.LBB361_499:                            ;   in Loop: Header=BB361_11 Depth=1
	s_delay_alu instid0(SALU_CYCLE_1) | instskip(SKIP_3) | instid1(VALU_DEP_2)
	s_or_b32 exec_lo, exec_lo, s17
	v_lshrrev_b16 v8, 8, v8
	v_dual_mov_b32 v46, 0 :: v_dual_mov_b32 v47, 0
	s_mov_b32 s17, exec_lo
	v_cmpx_ne_u16_e32 0, v8
	s_cbranch_execz .LBB361_507
; %bb.500:                              ;   in Loop: Header=BB361_11 Depth=1
	v_bfrev_b32_e32 v47, 1
	s_mov_b32 s18, exec_lo
	v_cmpx_ne_u16_e32 0x80, v8
	s_cbranch_execz .LBB361_506
; %bb.501:                              ;   in Loop: Header=BB361_11 Depth=1
	v_and_b32_e32 v32, 0xffff, v8
	v_mov_b32_e32 v47, 0x7fc02000
	s_mov_b32 s19, exec_lo
	s_delay_alu instid0(VALU_DEP_2) | instskip(NEXT) | instid1(VALU_DEP_1)
	v_and_b32_e32 v180, 0x7f, v32
	v_cmpx_ne_u32_e32 0x7f, v180
	s_cbranch_execz .LBB361_505
; %bb.502:                              ;   in Loop: Header=BB361_11 Depth=1
	v_and_b32_e32 v8, 7, v32
	v_lshrrev_b32_e32 v33, 3, v180
	s_mov_b32 s20, exec_lo
	v_cmpx_gt_u32_e32 8, v180
; %bb.503:                              ;   in Loop: Header=BB361_11 Depth=1
	s_delay_alu instid0(VALU_DEP_3) | instskip(NEXT) | instid1(VALU_DEP_1)
	v_clz_i32_u32_e32 v33, v8
	v_min_u32_e32 v33, 32, v33
	s_delay_alu instid0(VALU_DEP_1) | instskip(SKIP_1) | instid1(VALU_DEP_2)
	v_subrev_nc_u32_e32 v180, 28, v33
	v_sub_nc_u32_e32 v33, 29, v33
	v_lshlrev_b64 v[180:181], v180, v[8:9]
	s_delay_alu instid0(VALU_DEP_1)
	v_and_b32_e32 v8, 7, v180
; %bb.504:                              ;   in Loop: Header=BB361_11 Depth=1
	s_or_b32 exec_lo, exec_lo, s20
	v_lshlrev_b32_e32 v32, 8, v32
	v_lshl_add_u32 v33, v33, 10, 0x2000
	s_delay_alu instid0(VALU_DEP_1) | instskip(NEXT) | instid1(VALU_DEP_1)
	v_and_or_b32 v32, 0x8000, v32, v33
	v_lshl_or_b32 v8, v8, 7, v32
	s_delay_alu instid0(VALU_DEP_1)
	v_cvt_f32_f16_e32 v47, v8
.LBB361_505:                            ;   in Loop: Header=BB361_11 Depth=1
	s_or_b32 exec_lo, exec_lo, s19
.LBB361_506:                            ;   in Loop: Header=BB361_11 Depth=1
	s_delay_alu instid0(SALU_CYCLE_1)
	s_or_b32 exec_lo, exec_lo, s18
.LBB361_507:                            ;   in Loop: Header=BB361_11 Depth=1
	s_delay_alu instid0(SALU_CYCLE_1) | instskip(SKIP_2) | instid1(VALU_DEP_1)
	s_or_b32 exec_lo, exec_lo, s17
	v_lshrrev_b32_e32 v32, 16, v31
	s_mov_b32 s17, exec_lo
	v_and_b32_e32 v8, 0xff, v32
	s_delay_alu instid0(VALU_DEP_1)
	v_cmpx_ne_u16_e32 0, v8
	s_cbranch_execz .LBB361_515
; %bb.508:                              ;   in Loop: Header=BB361_11 Depth=1
	v_bfrev_b32_e32 v46, 1
	s_mov_b32 s18, exec_lo
	v_cmpx_ne_u16_e32 0x80, v8
	s_cbranch_execz .LBB361_514
; %bb.509:                              ;   in Loop: Header=BB361_11 Depth=1
	v_bfe_u32 v180, v31, 16, 7
	v_mov_b32_e32 v46, 0x7fc02000
	s_mov_b32 s19, exec_lo
	s_delay_alu instid0(VALU_DEP_2)
	v_cmpx_ne_u32_e32 0x7f, v180
	s_cbranch_execz .LBB361_513
; %bb.510:                              ;   in Loop: Header=BB361_11 Depth=1
	v_and_b32_e32 v8, 7, v32
	v_lshrrev_b32_e32 v33, 3, v180
	s_mov_b32 s20, exec_lo
	v_cmpx_gt_u32_e32 8, v180
; %bb.511:                              ;   in Loop: Header=BB361_11 Depth=1
	s_delay_alu instid0(VALU_DEP_3) | instskip(NEXT) | instid1(VALU_DEP_1)
	v_clz_i32_u32_e32 v33, v8
	v_min_u32_e32 v33, 32, v33
	s_delay_alu instid0(VALU_DEP_1) | instskip(SKIP_1) | instid1(VALU_DEP_2)
	v_subrev_nc_u32_e32 v180, 28, v33
	v_sub_nc_u32_e32 v33, 29, v33
	v_lshlrev_b64 v[180:181], v180, v[8:9]
	s_delay_alu instid0(VALU_DEP_1)
	v_and_b32_e32 v8, 7, v180
; %bb.512:                              ;   in Loop: Header=BB361_11 Depth=1
	s_or_b32 exec_lo, exec_lo, s20
	v_lshlrev_b32_e32 v32, 8, v32
	v_lshl_add_u32 v33, v33, 10, 0x2000
	s_delay_alu instid0(VALU_DEP_1) | instskip(NEXT) | instid1(VALU_DEP_1)
	v_and_or_b32 v32, 0x8000, v32, v33
	v_lshl_or_b32 v8, v8, 7, v32
	s_delay_alu instid0(VALU_DEP_1)
	v_cvt_f32_f16_e32 v46, v8
.LBB361_513:                            ;   in Loop: Header=BB361_11 Depth=1
	s_or_b32 exec_lo, exec_lo, s19
.LBB361_514:                            ;   in Loop: Header=BB361_11 Depth=1
	s_delay_alu instid0(SALU_CYCLE_1)
	s_or_b32 exec_lo, exec_lo, s18
.LBB361_515:                            ;   in Loop: Header=BB361_11 Depth=1
	s_delay_alu instid0(SALU_CYCLE_1)
	s_or_b32 exec_lo, exec_lo, s17
	v_dual_mov_b32 v180, 0 :: v_dual_mov_b32 v59, 0
	s_mov_b32 s17, exec_lo
	v_cmpx_lt_u64_e64 s[2:3], v[30:31]
	s_cbranch_execz .LBB361_523
; %bb.516:                              ;   in Loop: Header=BB361_11 Depth=1
	v_lshrrev_b32_e32 v30, 24, v31
	v_bfrev_b32_e32 v59, 1
	s_mov_b32 s18, exec_lo
	s_delay_alu instid0(VALU_DEP_2)
	v_cmpx_ne_u32_e32 0x80, v30
	s_cbranch_execz .LBB361_522
; %bb.517:                              ;   in Loop: Header=BB361_11 Depth=1
	v_and_b32_e32 v32, 0x7f, v30
	v_mov_b32_e32 v59, 0x7fc02000
	s_mov_b32 s19, exec_lo
	s_delay_alu instid0(VALU_DEP_2)
	v_cmpx_ne_u32_e32 0x7f, v32
	s_cbranch_execz .LBB361_521
; %bb.518:                              ;   in Loop: Header=BB361_11 Depth=1
	v_and_b32_e32 v8, 7, v30
	v_lshrrev_b32_e32 v31, 3, v32
	s_mov_b32 s20, exec_lo
	v_cmpx_gt_u32_e32 8, v32
; %bb.519:                              ;   in Loop: Header=BB361_11 Depth=1
	s_delay_alu instid0(VALU_DEP_3) | instskip(NEXT) | instid1(VALU_DEP_1)
	v_clz_i32_u32_e32 v31, v8
	v_min_u32_e32 v31, 32, v31
	s_delay_alu instid0(VALU_DEP_1) | instskip(SKIP_1) | instid1(VALU_DEP_2)
	v_subrev_nc_u32_e32 v32, 28, v31
	v_sub_nc_u32_e32 v31, 29, v31
	v_lshlrev_b64 v[32:33], v32, v[8:9]
	s_delay_alu instid0(VALU_DEP_1)
	v_and_b32_e32 v8, 7, v32
; %bb.520:                              ;   in Loop: Header=BB361_11 Depth=1
	s_or_b32 exec_lo, exec_lo, s20
	v_lshlrev_b32_e32 v30, 8, v30
	v_lshl_add_u32 v31, v31, 10, 0x2000
	s_delay_alu instid0(VALU_DEP_1) | instskip(NEXT) | instid1(VALU_DEP_1)
	v_and_or_b32 v30, 0x8000, v30, v31
	v_lshl_or_b32 v8, v8, 7, v30
	s_delay_alu instid0(VALU_DEP_1)
	v_cvt_f32_f16_e32 v59, v8
.LBB361_521:                            ;   in Loop: Header=BB361_11 Depth=1
	s_or_b32 exec_lo, exec_lo, s19
.LBB361_522:                            ;   in Loop: Header=BB361_11 Depth=1
	s_delay_alu instid0(SALU_CYCLE_1)
	s_or_b32 exec_lo, exec_lo, s18
.LBB361_523:                            ;   in Loop: Header=BB361_11 Depth=1
	s_delay_alu instid0(SALU_CYCLE_1) | instskip(SKIP_4) | instid1(VALU_DEP_1)
	s_or_b32 exec_lo, exec_lo, s17
	flat_load_b64 v[30:31], v[28:29] offset:2048
	s_mov_b32 s17, exec_lo
	s_waitcnt vmcnt(0) lgkmcnt(0)
	v_and_b32_e32 v8, 0xff, v30
	v_cmpx_ne_u16_e32 0, v8
	s_cbranch_execz .LBB361_531
; %bb.524:                              ;   in Loop: Header=BB361_11 Depth=1
	v_bfrev_b32_e32 v180, 1
	s_mov_b32 s18, exec_lo
	v_cmpx_ne_u16_e32 0x80, v8
	s_cbranch_execz .LBB361_530
; %bb.525:                              ;   in Loop: Header=BB361_11 Depth=1
	v_and_b32_e32 v32, 0x7f, v30
	v_mov_b32_e32 v180, 0x7fc02000
	s_mov_b32 s19, exec_lo
	s_delay_alu instid0(VALU_DEP_2)
	v_cmpx_ne_u32_e32 0x7f, v32
	s_cbranch_execz .LBB361_529
; %bb.526:                              ;   in Loop: Header=BB361_11 Depth=1
	v_lshrrev_b32_e32 v8, 3, v32
	v_cmp_gt_u32_e64 s1, 8, v32
	v_dual_mov_b32 v33, v31 :: v_dual_mov_b32 v32, v30
	s_delay_alu instid0(VALU_DEP_2)
	s_and_saveexec_b32 s20, s1
; %bb.527:                              ;   in Loop: Header=BB361_11 Depth=1
	v_and_b32_e32 v8, 7, v30
	s_delay_alu instid0(VALU_DEP_1) | instskip(NEXT) | instid1(VALU_DEP_1)
	v_clz_i32_u32_e32 v8, v8
	v_min_u32_e32 v8, 32, v8
	s_delay_alu instid0(VALU_DEP_1) | instskip(SKIP_1) | instid1(VALU_DEP_2)
	v_subrev_nc_u32_e32 v32, 28, v8
	v_sub_nc_u32_e32 v8, 29, v8
	v_lshlrev_b64 v[32:33], v32, v[30:31]
; %bb.528:                              ;   in Loop: Header=BB361_11 Depth=1
	s_or_b32 exec_lo, exec_lo, s20
	v_lshlrev_b32_e32 v33, 8, v30
	s_delay_alu instid0(VALU_DEP_3) | instskip(NEXT) | instid1(VALU_DEP_3)
	v_lshl_add_u32 v8, v8, 10, 0x2000
	v_lshlrev_b32_e32 v32, 7, v32
	s_delay_alu instid0(VALU_DEP_2) | instskip(NEXT) | instid1(VALU_DEP_1)
	v_and_or_b32 v8, 0x8000, v33, v8
	v_and_or_b32 v8, 0x380, v32, v8
	s_delay_alu instid0(VALU_DEP_1)
	v_cvt_f32_f16_e64 v180, v8
.LBB361_529:                            ;   in Loop: Header=BB361_11 Depth=1
	s_or_b32 exec_lo, exec_lo, s19
.LBB361_530:                            ;   in Loop: Header=BB361_11 Depth=1
	s_delay_alu instid0(SALU_CYCLE_1)
	s_or_b32 exec_lo, exec_lo, s18
.LBB361_531:                            ;   in Loop: Header=BB361_11 Depth=1
	s_delay_alu instid0(SALU_CYCLE_1) | instskip(SKIP_3) | instid1(VALU_DEP_2)
	s_or_b32 exec_lo, exec_lo, s17
	v_lshrrev_b16 v8, 8, v30
	v_dual_mov_b32 v181, 0 :: v_dual_mov_b32 v182, 0
	s_mov_b32 s17, exec_lo
	v_cmpx_ne_u16_e32 0, v8
	s_cbranch_execz .LBB361_539
; %bb.532:                              ;   in Loop: Header=BB361_11 Depth=1
	v_bfrev_b32_e32 v182, 1
	s_mov_b32 s18, exec_lo
	v_cmpx_ne_u16_e32 0x80, v8
	s_cbranch_execz .LBB361_538
; %bb.533:                              ;   in Loop: Header=BB361_11 Depth=1
	v_and_b32_e32 v183, 0xffff, v8
	v_mov_b32_e32 v182, 0x7fc02000
	s_mov_b32 s19, exec_lo
	s_delay_alu instid0(VALU_DEP_2) | instskip(NEXT) | instid1(VALU_DEP_1)
	v_and_b32_e32 v32, 0x7f, v183
	v_cmpx_ne_u32_e32 0x7f, v32
	s_cbranch_execz .LBB361_537
; %bb.534:                              ;   in Loop: Header=BB361_11 Depth=1
	v_and_b32_e32 v8, 7, v183
	v_lshrrev_b32_e32 v182, 3, v32
	v_cmp_gt_u32_e64 s1, 8, v32
	s_delay_alu instid0(VALU_DEP_3) | instskip(NEXT) | instid1(VALU_DEP_2)
	v_dual_mov_b32 v33, v9 :: v_dual_mov_b32 v32, v8
	s_and_saveexec_b32 s20, s1
; %bb.535:                              ;   in Loop: Header=BB361_11 Depth=1
	v_clz_i32_u32_e32 v32, v8
	s_delay_alu instid0(VALU_DEP_1) | instskip(NEXT) | instid1(VALU_DEP_1)
	v_min_u32_e32 v182, 32, v32
	v_subrev_nc_u32_e32 v32, 28, v182
	v_sub_nc_u32_e32 v182, 29, v182
	s_delay_alu instid0(VALU_DEP_2) | instskip(NEXT) | instid1(VALU_DEP_1)
	v_lshlrev_b64 v[32:33], v32, v[8:9]
	v_and_b32_e32 v32, 7, v32
; %bb.536:                              ;   in Loop: Header=BB361_11 Depth=1
	s_or_b32 exec_lo, exec_lo, s20
	v_lshlrev_b32_e32 v8, 8, v183
	v_lshl_add_u32 v33, v182, 10, 0x2000
	s_delay_alu instid0(VALU_DEP_1) | instskip(NEXT) | instid1(VALU_DEP_1)
	v_and_or_b32 v8, 0x8000, v8, v33
	v_lshl_or_b32 v8, v32, 7, v8
	s_delay_alu instid0(VALU_DEP_1)
	v_cvt_f32_f16_e64 v182, v8
.LBB361_537:                            ;   in Loop: Header=BB361_11 Depth=1
	s_or_b32 exec_lo, exec_lo, s19
.LBB361_538:                            ;   in Loop: Header=BB361_11 Depth=1
	s_delay_alu instid0(SALU_CYCLE_1)
	s_or_b32 exec_lo, exec_lo, s18
.LBB361_539:                            ;   in Loop: Header=BB361_11 Depth=1
	s_delay_alu instid0(SALU_CYCLE_1) | instskip(SKIP_2) | instid1(VALU_DEP_1)
	s_or_b32 exec_lo, exec_lo, s17
	v_lshrrev_b32_e32 v183, 16, v30
	s_mov_b32 s17, exec_lo
	v_and_b32_e32 v8, 0xff, v183
	s_delay_alu instid0(VALU_DEP_1)
	v_cmpx_ne_u16_e32 0, v8
	s_cbranch_execz .LBB361_547
; %bb.540:                              ;   in Loop: Header=BB361_11 Depth=1
	v_bfrev_b32_e32 v181, 1
	s_mov_b32 s18, exec_lo
	v_cmpx_ne_u16_e32 0x80, v8
	s_cbranch_execz .LBB361_546
; %bb.541:                              ;   in Loop: Header=BB361_11 Depth=1
	v_bfe_u32 v32, v30, 16, 7
	v_mov_b32_e32 v181, 0x7fc02000
	s_mov_b32 s19, exec_lo
	s_delay_alu instid0(VALU_DEP_2)
	v_cmpx_ne_u32_e32 0x7f, v32
	s_cbranch_execz .LBB361_545
; %bb.542:                              ;   in Loop: Header=BB361_11 Depth=1
	v_and_b32_e32 v8, 7, v183
	v_lshrrev_b32_e32 v181, 3, v32
	v_cmp_gt_u32_e64 s1, 8, v32
	s_delay_alu instid0(VALU_DEP_3) | instskip(NEXT) | instid1(VALU_DEP_2)
	v_dual_mov_b32 v33, v9 :: v_dual_mov_b32 v32, v8
	s_and_saveexec_b32 s20, s1
; %bb.543:                              ;   in Loop: Header=BB361_11 Depth=1
	v_clz_i32_u32_e32 v32, v8
	s_delay_alu instid0(VALU_DEP_1) | instskip(NEXT) | instid1(VALU_DEP_1)
	v_min_u32_e32 v181, 32, v32
	v_subrev_nc_u32_e32 v32, 28, v181
	v_sub_nc_u32_e32 v181, 29, v181
	s_delay_alu instid0(VALU_DEP_2) | instskip(NEXT) | instid1(VALU_DEP_1)
	v_lshlrev_b64 v[32:33], v32, v[8:9]
	v_and_b32_e32 v32, 7, v32
; %bb.544:                              ;   in Loop: Header=BB361_11 Depth=1
	s_or_b32 exec_lo, exec_lo, s20
	v_lshlrev_b32_e32 v8, 8, v183
	v_lshl_add_u32 v33, v181, 10, 0x2000
	s_delay_alu instid0(VALU_DEP_1) | instskip(NEXT) | instid1(VALU_DEP_1)
	v_and_or_b32 v8, 0x8000, v8, v33
	v_lshl_or_b32 v8, v32, 7, v8
	s_delay_alu instid0(VALU_DEP_1)
	v_cvt_f32_f16_e64 v181, v8
.LBB361_545:                            ;   in Loop: Header=BB361_11 Depth=1
	s_or_b32 exec_lo, exec_lo, s19
.LBB361_546:                            ;   in Loop: Header=BB361_11 Depth=1
	s_delay_alu instid0(SALU_CYCLE_1)
	s_or_b32 exec_lo, exec_lo, s18
.LBB361_547:                            ;   in Loop: Header=BB361_11 Depth=1
	s_delay_alu instid0(SALU_CYCLE_1)
	s_or_b32 exec_lo, exec_lo, s17
	v_mov_b32_e32 v183, 0
	v_mov_b32_e32 v41, 0
	s_mov_b32 s17, exec_lo
	v_cmpx_lt_u32_e32 0xffffff, v30
	s_cbranch_execz .LBB361_555
; %bb.548:                              ;   in Loop: Header=BB361_11 Depth=1
	v_lshrrev_b32_e32 v43, 24, v30
	v_bfrev_b32_e32 v41, 1
	s_mov_b32 s18, exec_lo
	s_delay_alu instid0(VALU_DEP_2)
	v_cmpx_ne_u32_e32 0x80, v43
	s_cbranch_execz .LBB361_554
; %bb.549:                              ;   in Loop: Header=BB361_11 Depth=1
	v_and_b32_e32 v32, 0x7f, v43
	v_mov_b32_e32 v41, 0x7fc02000
	s_mov_b32 s19, exec_lo
	s_delay_alu instid0(VALU_DEP_2)
	v_cmpx_ne_u32_e32 0x7f, v32
	s_cbranch_execz .LBB361_553
; %bb.550:                              ;   in Loop: Header=BB361_11 Depth=1
	v_and_b32_e32 v8, 7, v43
	v_lshrrev_b32_e32 v41, 3, v32
	v_cmp_gt_u32_e64 s1, 8, v32
	s_delay_alu instid0(VALU_DEP_3) | instskip(NEXT) | instid1(VALU_DEP_2)
	v_dual_mov_b32 v33, v9 :: v_dual_mov_b32 v32, v8
	s_and_saveexec_b32 s20, s1
; %bb.551:                              ;   in Loop: Header=BB361_11 Depth=1
	v_clz_i32_u32_e32 v32, v8
	s_delay_alu instid0(VALU_DEP_1) | instskip(NEXT) | instid1(VALU_DEP_1)
	v_min_u32_e32 v41, 32, v32
	v_subrev_nc_u32_e32 v32, 28, v41
	v_sub_nc_u32_e32 v41, 29, v41
	s_delay_alu instid0(VALU_DEP_2) | instskip(NEXT) | instid1(VALU_DEP_1)
	v_lshlrev_b64 v[32:33], v32, v[8:9]
	v_and_b32_e32 v32, 7, v32
; %bb.552:                              ;   in Loop: Header=BB361_11 Depth=1
	s_or_b32 exec_lo, exec_lo, s20
	v_lshlrev_b32_e32 v8, 8, v43
	v_lshl_add_u32 v33, v41, 10, 0x2000
	s_delay_alu instid0(VALU_DEP_1) | instskip(NEXT) | instid1(VALU_DEP_1)
	v_and_or_b32 v8, 0x8000, v8, v33
	v_lshl_or_b32 v8, v32, 7, v8
	s_delay_alu instid0(VALU_DEP_1)
	v_cvt_f32_f16_e32 v41, v8
.LBB361_553:                            ;   in Loop: Header=BB361_11 Depth=1
	s_or_b32 exec_lo, exec_lo, s19
.LBB361_554:                            ;   in Loop: Header=BB361_11 Depth=1
	s_delay_alu instid0(SALU_CYCLE_1)
	s_or_b32 exec_lo, exec_lo, s18
.LBB361_555:                            ;   in Loop: Header=BB361_11 Depth=1
	s_delay_alu instid0(SALU_CYCLE_1) | instskip(SKIP_3) | instid1(VALU_DEP_2)
	s_or_b32 exec_lo, exec_lo, s17
	v_and_b32_e32 v32, 0xff, v31
	v_mov_b32_e32 v8, v31
	s_mov_b32 s17, exec_lo
	v_cmpx_ne_u16_e32 0, v32
	s_cbranch_execz .LBB361_563
; %bb.556:                              ;   in Loop: Header=BB361_11 Depth=1
	v_bfrev_b32_e32 v183, 1
	s_mov_b32 s18, exec_lo
	v_cmpx_ne_u16_e32 0x80, v32
	s_cbranch_execz .LBB361_562
; %bb.557:                              ;   in Loop: Header=BB361_11 Depth=1
	v_and_b32_e32 v32, 0x7f, v31
	v_mov_b32_e32 v183, 0x7fc02000
	s_mov_b32 s19, exec_lo
	s_delay_alu instid0(VALU_DEP_2)
	v_cmpx_ne_u32_e32 0x7f, v32
	s_cbranch_execz .LBB361_561
; %bb.558:                              ;   in Loop: Header=BB361_11 Depth=1
	v_lshrrev_b32_e32 v183, 3, v32
	v_cmp_gt_u32_e64 s1, 8, v32
	v_dual_mov_b32 v33, v9 :: v_dual_mov_b32 v32, v8
	s_delay_alu instid0(VALU_DEP_2)
	s_and_saveexec_b32 s20, s1
; %bb.559:                              ;   in Loop: Header=BB361_11 Depth=1
	v_and_b32_e32 v32, 7, v31
	s_delay_alu instid0(VALU_DEP_1) | instskip(NEXT) | instid1(VALU_DEP_1)
	v_clz_i32_u32_e32 v32, v32
	v_min_u32_e32 v183, 32, v32
	s_delay_alu instid0(VALU_DEP_1) | instskip(SKIP_1) | instid1(VALU_DEP_2)
	v_subrev_nc_u32_e32 v32, 28, v183
	v_sub_nc_u32_e32 v183, 29, v183
	v_lshlrev_b64 v[32:33], v32, v[8:9]
; %bb.560:                              ;   in Loop: Header=BB361_11 Depth=1
	s_or_b32 exec_lo, exec_lo, s20
	v_lshlrev_b32_e32 v33, 8, v31
	s_delay_alu instid0(VALU_DEP_3) | instskip(NEXT) | instid1(VALU_DEP_3)
	v_lshl_add_u32 v183, v183, 10, 0x2000
	v_lshlrev_b32_e32 v32, 7, v32
	s_delay_alu instid0(VALU_DEP_2) | instskip(NEXT) | instid1(VALU_DEP_1)
	v_and_or_b32 v33, 0x8000, v33, v183
	v_and_or_b32 v32, 0x380, v32, v33
	s_delay_alu instid0(VALU_DEP_1)
	v_cvt_f32_f16_e64 v183, v32
.LBB361_561:                            ;   in Loop: Header=BB361_11 Depth=1
	s_or_b32 exec_lo, exec_lo, s19
.LBB361_562:                            ;   in Loop: Header=BB361_11 Depth=1
	s_delay_alu instid0(SALU_CYCLE_1)
	s_or_b32 exec_lo, exec_lo, s18
.LBB361_563:                            ;   in Loop: Header=BB361_11 Depth=1
	s_delay_alu instid0(SALU_CYCLE_1) | instskip(SKIP_3) | instid1(VALU_DEP_2)
	s_or_b32 exec_lo, exec_lo, s17
	v_lshrrev_b16 v8, 8, v8
	v_dual_mov_b32 v56, 0 :: v_dual_mov_b32 v57, 0
	s_mov_b32 s17, exec_lo
	v_cmpx_ne_u16_e32 0, v8
	s_cbranch_execz .LBB361_571
; %bb.564:                              ;   in Loop: Header=BB361_11 Depth=1
	v_bfrev_b32_e32 v57, 1
	s_mov_b32 s18, exec_lo
	v_cmpx_ne_u16_e32 0x80, v8
	s_cbranch_execz .LBB361_570
; %bb.565:                              ;   in Loop: Header=BB361_11 Depth=1
	v_and_b32_e32 v43, 0xffff, v8
	v_mov_b32_e32 v57, 0x7fc02000
	s_mov_b32 s19, exec_lo
	s_delay_alu instid0(VALU_DEP_2) | instskip(NEXT) | instid1(VALU_DEP_1)
	v_and_b32_e32 v32, 0x7f, v43
	v_cmpx_ne_u32_e32 0x7f, v32
	s_cbranch_execz .LBB361_569
; %bb.566:                              ;   in Loop: Header=BB361_11 Depth=1
	v_and_b32_e32 v8, 7, v43
	v_lshrrev_b32_e32 v44, 3, v32
	v_cmp_gt_u32_e64 s1, 8, v32
	s_delay_alu instid0(VALU_DEP_3) | instskip(NEXT) | instid1(VALU_DEP_2)
	v_dual_mov_b32 v33, v9 :: v_dual_mov_b32 v32, v8
	s_and_saveexec_b32 s20, s1
; %bb.567:                              ;   in Loop: Header=BB361_11 Depth=1
	v_clz_i32_u32_e32 v32, v8
	s_delay_alu instid0(VALU_DEP_1) | instskip(NEXT) | instid1(VALU_DEP_1)
	v_min_u32_e32 v44, 32, v32
	v_subrev_nc_u32_e32 v32, 28, v44
	v_sub_nc_u32_e32 v44, 29, v44
	s_delay_alu instid0(VALU_DEP_2) | instskip(NEXT) | instid1(VALU_DEP_1)
	v_lshlrev_b64 v[32:33], v32, v[8:9]
	v_and_b32_e32 v32, 7, v32
; %bb.568:                              ;   in Loop: Header=BB361_11 Depth=1
	s_or_b32 exec_lo, exec_lo, s20
	v_lshlrev_b32_e32 v8, 8, v43
	v_lshl_add_u32 v33, v44, 10, 0x2000
	s_delay_alu instid0(VALU_DEP_1) | instskip(NEXT) | instid1(VALU_DEP_1)
	v_and_or_b32 v8, 0x8000, v8, v33
	v_lshl_or_b32 v8, v32, 7, v8
	s_delay_alu instid0(VALU_DEP_1)
	v_cvt_f32_f16_e32 v57, v8
.LBB361_569:                            ;   in Loop: Header=BB361_11 Depth=1
	s_or_b32 exec_lo, exec_lo, s19
.LBB361_570:                            ;   in Loop: Header=BB361_11 Depth=1
	s_delay_alu instid0(SALU_CYCLE_1)
	s_or_b32 exec_lo, exec_lo, s18
.LBB361_571:                            ;   in Loop: Header=BB361_11 Depth=1
	s_delay_alu instid0(SALU_CYCLE_1) | instskip(SKIP_2) | instid1(VALU_DEP_1)
	s_or_b32 exec_lo, exec_lo, s17
	v_lshrrev_b32_e32 v43, 16, v31
	s_mov_b32 s17, exec_lo
	v_and_b32_e32 v8, 0xff, v43
	s_delay_alu instid0(VALU_DEP_1)
	v_cmpx_ne_u16_e32 0, v8
	s_cbranch_execz .LBB361_579
; %bb.572:                              ;   in Loop: Header=BB361_11 Depth=1
	v_bfrev_b32_e32 v56, 1
	s_mov_b32 s18, exec_lo
	v_cmpx_ne_u16_e32 0x80, v8
	s_cbranch_execz .LBB361_578
; %bb.573:                              ;   in Loop: Header=BB361_11 Depth=1
	v_bfe_u32 v32, v31, 16, 7
	v_mov_b32_e32 v56, 0x7fc02000
	s_mov_b32 s19, exec_lo
	s_delay_alu instid0(VALU_DEP_2)
	v_cmpx_ne_u32_e32 0x7f, v32
	s_cbranch_execz .LBB361_577
; %bb.574:                              ;   in Loop: Header=BB361_11 Depth=1
	v_and_b32_e32 v8, 7, v43
	v_lshrrev_b32_e32 v44, 3, v32
	v_cmp_gt_u32_e64 s1, 8, v32
	s_delay_alu instid0(VALU_DEP_3) | instskip(NEXT) | instid1(VALU_DEP_2)
	v_dual_mov_b32 v33, v9 :: v_dual_mov_b32 v32, v8
	s_and_saveexec_b32 s20, s1
; %bb.575:                              ;   in Loop: Header=BB361_11 Depth=1
	v_clz_i32_u32_e32 v32, v8
	s_delay_alu instid0(VALU_DEP_1) | instskip(NEXT) | instid1(VALU_DEP_1)
	v_min_u32_e32 v44, 32, v32
	v_subrev_nc_u32_e32 v32, 28, v44
	v_sub_nc_u32_e32 v44, 29, v44
	s_delay_alu instid0(VALU_DEP_2) | instskip(NEXT) | instid1(VALU_DEP_1)
	v_lshlrev_b64 v[32:33], v32, v[8:9]
	v_and_b32_e32 v32, 7, v32
; %bb.576:                              ;   in Loop: Header=BB361_11 Depth=1
	s_or_b32 exec_lo, exec_lo, s20
	v_lshlrev_b32_e32 v8, 8, v43
	v_lshl_add_u32 v33, v44, 10, 0x2000
	s_delay_alu instid0(VALU_DEP_1) | instskip(NEXT) | instid1(VALU_DEP_1)
	v_and_or_b32 v8, 0x8000, v8, v33
	v_lshl_or_b32 v8, v32, 7, v8
	s_delay_alu instid0(VALU_DEP_1)
	v_cvt_f32_f16_e32 v56, v8
.LBB361_577:                            ;   in Loop: Header=BB361_11 Depth=1
	s_or_b32 exec_lo, exec_lo, s19
.LBB361_578:                            ;   in Loop: Header=BB361_11 Depth=1
	s_delay_alu instid0(SALU_CYCLE_1)
	s_or_b32 exec_lo, exec_lo, s18
.LBB361_579:                            ;   in Loop: Header=BB361_11 Depth=1
	s_delay_alu instid0(SALU_CYCLE_1)
	s_or_b32 exec_lo, exec_lo, s17
	v_mov_b32_e32 v60, 0
	v_mov_b32_e32 v32, 0
	s_mov_b32 s17, exec_lo
	v_cmpx_lt_u64_e64 s[2:3], v[30:31]
	s_cbranch_execz .LBB361_587
; %bb.580:                              ;   in Loop: Header=BB361_11 Depth=1
	v_lshrrev_b32_e32 v33, 24, v31
	v_bfrev_b32_e32 v32, 1
	s_mov_b32 s18, exec_lo
	s_delay_alu instid0(VALU_DEP_2)
	v_cmpx_ne_u32_e32 0x80, v33
	s_cbranch_execz .LBB361_586
; %bb.581:                              ;   in Loop: Header=BB361_11 Depth=1
	v_and_b32_e32 v30, 0x7f, v33
	v_mov_b32_e32 v32, 0x7fc02000
	s_mov_b32 s19, exec_lo
	s_delay_alu instid0(VALU_DEP_2)
	v_cmpx_ne_u32_e32 0x7f, v30
	s_cbranch_execz .LBB361_585
; %bb.582:                              ;   in Loop: Header=BB361_11 Depth=1
	v_and_b32_e32 v8, 7, v33
	v_lshrrev_b32_e32 v32, 3, v30
	v_cmp_gt_u32_e64 s1, 8, v30
	s_delay_alu instid0(VALU_DEP_3) | instskip(NEXT) | instid1(VALU_DEP_2)
	v_dual_mov_b32 v31, v9 :: v_dual_mov_b32 v30, v8
	s_and_saveexec_b32 s20, s1
; %bb.583:                              ;   in Loop: Header=BB361_11 Depth=1
	v_clz_i32_u32_e32 v30, v8
	s_delay_alu instid0(VALU_DEP_1) | instskip(NEXT) | instid1(VALU_DEP_1)
	v_min_u32_e32 v32, 32, v30
	v_subrev_nc_u32_e32 v30, 28, v32
	v_sub_nc_u32_e32 v32, 29, v32
	s_delay_alu instid0(VALU_DEP_2) | instskip(NEXT) | instid1(VALU_DEP_1)
	v_lshlrev_b64 v[30:31], v30, v[8:9]
	v_and_b32_e32 v30, 7, v30
; %bb.584:                              ;   in Loop: Header=BB361_11 Depth=1
	s_or_b32 exec_lo, exec_lo, s20
	v_lshlrev_b32_e32 v8, 8, v33
	v_lshl_add_u32 v31, v32, 10, 0x2000
	s_delay_alu instid0(VALU_DEP_1) | instskip(NEXT) | instid1(VALU_DEP_1)
	v_and_or_b32 v8, 0x8000, v8, v31
	v_lshl_or_b32 v8, v30, 7, v8
	s_delay_alu instid0(VALU_DEP_1)
	v_cvt_f32_f16_e32 v32, v8
.LBB361_585:                            ;   in Loop: Header=BB361_11 Depth=1
	s_or_b32 exec_lo, exec_lo, s19
.LBB361_586:                            ;   in Loop: Header=BB361_11 Depth=1
	s_delay_alu instid0(SALU_CYCLE_1)
	s_or_b32 exec_lo, exec_lo, s18
.LBB361_587:                            ;   in Loop: Header=BB361_11 Depth=1
	s_delay_alu instid0(SALU_CYCLE_1) | instskip(SKIP_4) | instid1(VALU_DEP_1)
	s_or_b32 exec_lo, exec_lo, s17
	flat_load_b64 v[28:29], v[28:29] offset:2056
	s_mov_b32 s17, exec_lo
	s_waitcnt vmcnt(0) lgkmcnt(0)
	v_and_b32_e32 v8, 0xff, v28
	v_cmpx_ne_u16_e32 0, v8
	s_cbranch_execz .LBB361_595
; %bb.588:                              ;   in Loop: Header=BB361_11 Depth=1
	v_bfrev_b32_e32 v60, 1
	s_mov_b32 s18, exec_lo
	v_cmpx_ne_u16_e32 0x80, v8
	s_cbranch_execz .LBB361_594
; %bb.589:                              ;   in Loop: Header=BB361_11 Depth=1
	v_and_b32_e32 v30, 0x7f, v28
	v_mov_b32_e32 v60, 0x7fc02000
	s_mov_b32 s19, exec_lo
	s_delay_alu instid0(VALU_DEP_2)
	v_cmpx_ne_u32_e32 0x7f, v30
	s_cbranch_execz .LBB361_593
; %bb.590:                              ;   in Loop: Header=BB361_11 Depth=1
	v_lshrrev_b32_e32 v8, 3, v30
	v_cmp_gt_u32_e64 s1, 8, v30
	v_dual_mov_b32 v31, v29 :: v_dual_mov_b32 v30, v28
	s_delay_alu instid0(VALU_DEP_2)
	s_and_saveexec_b32 s20, s1
; %bb.591:                              ;   in Loop: Header=BB361_11 Depth=1
	v_and_b32_e32 v8, 7, v28
	s_delay_alu instid0(VALU_DEP_1) | instskip(NEXT) | instid1(VALU_DEP_1)
	v_clz_i32_u32_e32 v8, v8
	v_min_u32_e32 v8, 32, v8
	s_delay_alu instid0(VALU_DEP_1) | instskip(SKIP_1) | instid1(VALU_DEP_2)
	v_subrev_nc_u32_e32 v30, 28, v8
	v_sub_nc_u32_e32 v8, 29, v8
	v_lshlrev_b64 v[30:31], v30, v[28:29]
; %bb.592:                              ;   in Loop: Header=BB361_11 Depth=1
	s_or_b32 exec_lo, exec_lo, s20
	v_lshlrev_b32_e32 v31, 8, v28
	s_delay_alu instid0(VALU_DEP_3) | instskip(NEXT) | instid1(VALU_DEP_3)
	v_lshl_add_u32 v8, v8, 10, 0x2000
	v_lshlrev_b32_e32 v30, 7, v30
	s_delay_alu instid0(VALU_DEP_2) | instskip(NEXT) | instid1(VALU_DEP_1)
	v_and_or_b32 v8, 0x8000, v31, v8
	v_and_or_b32 v8, 0x380, v30, v8
	s_delay_alu instid0(VALU_DEP_1)
	v_cvt_f32_f16_e32 v60, v8
.LBB361_593:                            ;   in Loop: Header=BB361_11 Depth=1
	s_or_b32 exec_lo, exec_lo, s19
.LBB361_594:                            ;   in Loop: Header=BB361_11 Depth=1
	s_delay_alu instid0(SALU_CYCLE_1)
	s_or_b32 exec_lo, exec_lo, s18
.LBB361_595:                            ;   in Loop: Header=BB361_11 Depth=1
	s_delay_alu instid0(SALU_CYCLE_1) | instskip(SKIP_4) | instid1(VALU_DEP_3)
	s_or_b32 exec_lo, exec_lo, s17
	v_lshrrev_b16 v8, 8, v28
	v_mov_b32_e32 v33, 0
	v_mov_b32_e32 v61, 0
	s_mov_b32 s17, exec_lo
	v_cmpx_ne_u16_e32 0, v8
	s_cbranch_execz .LBB361_603
; %bb.596:                              ;   in Loop: Header=BB361_11 Depth=1
	v_bfrev_b32_e32 v61, 1
	s_mov_b32 s18, exec_lo
	v_cmpx_ne_u16_e32 0x80, v8
	s_cbranch_execz .LBB361_602
; %bb.597:                              ;   in Loop: Header=BB361_11 Depth=1
	v_and_b32_e32 v43, 0xffff, v8
	v_mov_b32_e32 v61, 0x7fc02000
	s_mov_b32 s19, exec_lo
	s_delay_alu instid0(VALU_DEP_2) | instskip(NEXT) | instid1(VALU_DEP_1)
	v_and_b32_e32 v30, 0x7f, v43
	v_cmpx_ne_u32_e32 0x7f, v30
	s_cbranch_execz .LBB361_601
; %bb.598:                              ;   in Loop: Header=BB361_11 Depth=1
	v_and_b32_e32 v8, 7, v43
	v_lshrrev_b32_e32 v44, 3, v30
	v_cmp_gt_u32_e64 s1, 8, v30
	s_delay_alu instid0(VALU_DEP_3) | instskip(NEXT) | instid1(VALU_DEP_2)
	v_dual_mov_b32 v31, v9 :: v_dual_mov_b32 v30, v8
	s_and_saveexec_b32 s20, s1
; %bb.599:                              ;   in Loop: Header=BB361_11 Depth=1
	v_clz_i32_u32_e32 v30, v8
	s_delay_alu instid0(VALU_DEP_1) | instskip(NEXT) | instid1(VALU_DEP_1)
	v_min_u32_e32 v44, 32, v30
	v_subrev_nc_u32_e32 v30, 28, v44
	v_sub_nc_u32_e32 v44, 29, v44
	s_delay_alu instid0(VALU_DEP_2) | instskip(NEXT) | instid1(VALU_DEP_1)
	v_lshlrev_b64 v[30:31], v30, v[8:9]
	v_and_b32_e32 v30, 7, v30
; %bb.600:                              ;   in Loop: Header=BB361_11 Depth=1
	s_or_b32 exec_lo, exec_lo, s20
	v_lshlrev_b32_e32 v8, 8, v43
	v_lshl_add_u32 v31, v44, 10, 0x2000
	s_delay_alu instid0(VALU_DEP_1) | instskip(NEXT) | instid1(VALU_DEP_1)
	v_and_or_b32 v8, 0x8000, v8, v31
	v_lshl_or_b32 v8, v30, 7, v8
	s_delay_alu instid0(VALU_DEP_1)
	v_cvt_f32_f16_e32 v61, v8
.LBB361_601:                            ;   in Loop: Header=BB361_11 Depth=1
	s_or_b32 exec_lo, exec_lo, s19
.LBB361_602:                            ;   in Loop: Header=BB361_11 Depth=1
	s_delay_alu instid0(SALU_CYCLE_1)
	s_or_b32 exec_lo, exec_lo, s18
.LBB361_603:                            ;   in Loop: Header=BB361_11 Depth=1
	s_delay_alu instid0(SALU_CYCLE_1) | instskip(SKIP_2) | instid1(VALU_DEP_1)
	s_or_b32 exec_lo, exec_lo, s17
	v_lshrrev_b32_e32 v43, 16, v28
	s_mov_b32 s17, exec_lo
	v_and_b32_e32 v8, 0xff, v43
	s_delay_alu instid0(VALU_DEP_1)
	v_cmpx_ne_u16_e32 0, v8
	s_cbranch_execz .LBB361_611
; %bb.604:                              ;   in Loop: Header=BB361_11 Depth=1
	v_bfrev_b32_e32 v33, 1
	s_mov_b32 s18, exec_lo
	v_cmpx_ne_u16_e32 0x80, v8
	s_cbranch_execz .LBB361_610
; %bb.605:                              ;   in Loop: Header=BB361_11 Depth=1
	v_bfe_u32 v30, v28, 16, 7
	v_mov_b32_e32 v33, 0x7fc02000
	s_mov_b32 s19, exec_lo
	s_delay_alu instid0(VALU_DEP_2)
	v_cmpx_ne_u32_e32 0x7f, v30
	s_cbranch_execz .LBB361_609
; %bb.606:                              ;   in Loop: Header=BB361_11 Depth=1
	v_and_b32_e32 v8, 7, v43
	v_lshrrev_b32_e32 v33, 3, v30
	v_cmp_gt_u32_e64 s1, 8, v30
	s_delay_alu instid0(VALU_DEP_3) | instskip(NEXT) | instid1(VALU_DEP_2)
	v_dual_mov_b32 v31, v9 :: v_dual_mov_b32 v30, v8
	s_and_saveexec_b32 s20, s1
; %bb.607:                              ;   in Loop: Header=BB361_11 Depth=1
	v_clz_i32_u32_e32 v30, v8
	s_delay_alu instid0(VALU_DEP_1) | instskip(NEXT) | instid1(VALU_DEP_1)
	v_min_u32_e32 v33, 32, v30
	v_subrev_nc_u32_e32 v30, 28, v33
	v_sub_nc_u32_e32 v33, 29, v33
	s_delay_alu instid0(VALU_DEP_2) | instskip(NEXT) | instid1(VALU_DEP_1)
	v_lshlrev_b64 v[30:31], v30, v[8:9]
	v_and_b32_e32 v30, 7, v30
; %bb.608:                              ;   in Loop: Header=BB361_11 Depth=1
	s_or_b32 exec_lo, exec_lo, s20
	v_lshlrev_b32_e32 v8, 8, v43
	v_lshl_add_u32 v31, v33, 10, 0x2000
	s_delay_alu instid0(VALU_DEP_1) | instskip(NEXT) | instid1(VALU_DEP_1)
	v_and_or_b32 v8, 0x8000, v8, v31
	v_lshl_or_b32 v8, v30, 7, v8
	s_delay_alu instid0(VALU_DEP_1)
	v_cvt_f32_f16_e32 v33, v8
.LBB361_609:                            ;   in Loop: Header=BB361_11 Depth=1
	s_or_b32 exec_lo, exec_lo, s19
.LBB361_610:                            ;   in Loop: Header=BB361_11 Depth=1
	s_delay_alu instid0(SALU_CYCLE_1)
	s_or_b32 exec_lo, exec_lo, s18
.LBB361_611:                            ;   in Loop: Header=BB361_11 Depth=1
	s_delay_alu instid0(SALU_CYCLE_1)
	s_or_b32 exec_lo, exec_lo, s17
	v_dual_mov_b32 v62, 0 :: v_dual_mov_b32 v63, 0
	s_mov_b32 s17, exec_lo
	v_cmpx_lt_u32_e32 0xffffff, v28
	s_cbranch_execz .LBB361_619
; %bb.612:                              ;   in Loop: Header=BB361_11 Depth=1
	v_lshrrev_b32_e32 v43, 24, v28
	v_bfrev_b32_e32 v63, 1
	s_mov_b32 s18, exec_lo
	s_delay_alu instid0(VALU_DEP_2)
	v_cmpx_ne_u32_e32 0x80, v43
	s_cbranch_execz .LBB361_618
; %bb.613:                              ;   in Loop: Header=BB361_11 Depth=1
	v_and_b32_e32 v30, 0x7f, v43
	v_mov_b32_e32 v63, 0x7fc02000
	s_mov_b32 s19, exec_lo
	s_delay_alu instid0(VALU_DEP_2)
	v_cmpx_ne_u32_e32 0x7f, v30
	s_cbranch_execz .LBB361_617
; %bb.614:                              ;   in Loop: Header=BB361_11 Depth=1
	v_and_b32_e32 v8, 7, v43
	v_lshrrev_b32_e32 v44, 3, v30
	v_cmp_gt_u32_e64 s1, 8, v30
	s_delay_alu instid0(VALU_DEP_3) | instskip(NEXT) | instid1(VALU_DEP_2)
	v_dual_mov_b32 v31, v9 :: v_dual_mov_b32 v30, v8
	s_and_saveexec_b32 s20, s1
; %bb.615:                              ;   in Loop: Header=BB361_11 Depth=1
	v_clz_i32_u32_e32 v30, v8
	s_delay_alu instid0(VALU_DEP_1) | instskip(NEXT) | instid1(VALU_DEP_1)
	v_min_u32_e32 v44, 32, v30
	v_subrev_nc_u32_e32 v30, 28, v44
	v_sub_nc_u32_e32 v44, 29, v44
	s_delay_alu instid0(VALU_DEP_2) | instskip(NEXT) | instid1(VALU_DEP_1)
	v_lshlrev_b64 v[30:31], v30, v[8:9]
	v_and_b32_e32 v30, 7, v30
; %bb.616:                              ;   in Loop: Header=BB361_11 Depth=1
	s_or_b32 exec_lo, exec_lo, s20
	v_lshlrev_b32_e32 v8, 8, v43
	v_lshl_add_u32 v31, v44, 10, 0x2000
	s_delay_alu instid0(VALU_DEP_1) | instskip(NEXT) | instid1(VALU_DEP_1)
	v_and_or_b32 v8, 0x8000, v8, v31
	v_lshl_or_b32 v8, v30, 7, v8
	s_delay_alu instid0(VALU_DEP_1)
	v_cvt_f32_f16_e32 v63, v8
.LBB361_617:                            ;   in Loop: Header=BB361_11 Depth=1
	s_or_b32 exec_lo, exec_lo, s19
.LBB361_618:                            ;   in Loop: Header=BB361_11 Depth=1
	s_delay_alu instid0(SALU_CYCLE_1)
	s_or_b32 exec_lo, exec_lo, s18
.LBB361_619:                            ;   in Loop: Header=BB361_11 Depth=1
	s_delay_alu instid0(SALU_CYCLE_1) | instskip(SKIP_3) | instid1(VALU_DEP_2)
	s_or_b32 exec_lo, exec_lo, s17
	v_and_b32_e32 v30, 0xff, v29
	v_mov_b32_e32 v8, v29
	s_mov_b32 s17, exec_lo
	v_cmpx_ne_u16_e32 0, v30
	s_cbranch_execz .LBB361_627
; %bb.620:                              ;   in Loop: Header=BB361_11 Depth=1
	v_bfrev_b32_e32 v62, 1
	s_mov_b32 s18, exec_lo
	v_cmpx_ne_u16_e32 0x80, v30
	s_cbranch_execz .LBB361_626
; %bb.621:                              ;   in Loop: Header=BB361_11 Depth=1
	v_and_b32_e32 v30, 0x7f, v29
	v_mov_b32_e32 v62, 0x7fc02000
	s_mov_b32 s19, exec_lo
	s_delay_alu instid0(VALU_DEP_2)
	v_cmpx_ne_u32_e32 0x7f, v30
	s_cbranch_execz .LBB361_625
; %bb.622:                              ;   in Loop: Header=BB361_11 Depth=1
	v_lshrrev_b32_e32 v43, 3, v30
	v_cmp_gt_u32_e64 s1, 8, v30
	v_dual_mov_b32 v31, v9 :: v_dual_mov_b32 v30, v8
	s_delay_alu instid0(VALU_DEP_2)
	s_and_saveexec_b32 s20, s1
; %bb.623:                              ;   in Loop: Header=BB361_11 Depth=1
	v_and_b32_e32 v30, 7, v29
	s_delay_alu instid0(VALU_DEP_1) | instskip(NEXT) | instid1(VALU_DEP_1)
	v_clz_i32_u32_e32 v30, v30
	v_min_u32_e32 v43, 32, v30
	s_delay_alu instid0(VALU_DEP_1) | instskip(SKIP_1) | instid1(VALU_DEP_2)
	v_subrev_nc_u32_e32 v30, 28, v43
	v_sub_nc_u32_e32 v43, 29, v43
	v_lshlrev_b64 v[30:31], v30, v[8:9]
; %bb.624:                              ;   in Loop: Header=BB361_11 Depth=1
	s_or_b32 exec_lo, exec_lo, s20
	v_lshlrev_b32_e32 v31, 8, v29
	s_delay_alu instid0(VALU_DEP_3) | instskip(NEXT) | instid1(VALU_DEP_3)
	v_lshl_add_u32 v43, v43, 10, 0x2000
	v_lshlrev_b32_e32 v30, 7, v30
	s_delay_alu instid0(VALU_DEP_2) | instskip(NEXT) | instid1(VALU_DEP_1)
	v_and_or_b32 v31, 0x8000, v31, v43
	v_and_or_b32 v30, 0x380, v30, v31
	s_delay_alu instid0(VALU_DEP_1)
	v_cvt_f32_f16_e32 v62, v30
.LBB361_625:                            ;   in Loop: Header=BB361_11 Depth=1
	s_or_b32 exec_lo, exec_lo, s19
.LBB361_626:                            ;   in Loop: Header=BB361_11 Depth=1
	s_delay_alu instid0(SALU_CYCLE_1)
	s_or_b32 exec_lo, exec_lo, s18
.LBB361_627:                            ;   in Loop: Header=BB361_11 Depth=1
	s_delay_alu instid0(SALU_CYCLE_1) | instskip(SKIP_3) | instid1(VALU_DEP_2)
	s_or_b32 exec_lo, exec_lo, s17
	v_lshrrev_b16 v8, 8, v8
	v_dual_mov_b32 v72, 0 :: v_dual_mov_b32 v73, 0
	s_mov_b32 s17, exec_lo
	v_cmpx_ne_u16_e32 0, v8
	s_cbranch_execz .LBB361_635
; %bb.628:                              ;   in Loop: Header=BB361_11 Depth=1
	v_bfrev_b32_e32 v73, 1
	s_mov_b32 s18, exec_lo
	v_cmpx_ne_u16_e32 0x80, v8
	s_cbranch_execz .LBB361_634
; %bb.629:                              ;   in Loop: Header=BB361_11 Depth=1
	v_and_b32_e32 v43, 0xffff, v8
	v_mov_b32_e32 v73, 0x7fc02000
	s_mov_b32 s19, exec_lo
	s_delay_alu instid0(VALU_DEP_2) | instskip(NEXT) | instid1(VALU_DEP_1)
	v_and_b32_e32 v30, 0x7f, v43
	v_cmpx_ne_u32_e32 0x7f, v30
	s_cbranch_execz .LBB361_633
; %bb.630:                              ;   in Loop: Header=BB361_11 Depth=1
	v_and_b32_e32 v8, 7, v43
	v_lshrrev_b32_e32 v44, 3, v30
	v_cmp_gt_u32_e64 s1, 8, v30
	s_delay_alu instid0(VALU_DEP_3) | instskip(NEXT) | instid1(VALU_DEP_2)
	v_dual_mov_b32 v31, v9 :: v_dual_mov_b32 v30, v8
	s_and_saveexec_b32 s20, s1
; %bb.631:                              ;   in Loop: Header=BB361_11 Depth=1
	v_clz_i32_u32_e32 v30, v8
	s_delay_alu instid0(VALU_DEP_1) | instskip(NEXT) | instid1(VALU_DEP_1)
	v_min_u32_e32 v44, 32, v30
	v_subrev_nc_u32_e32 v30, 28, v44
	v_sub_nc_u32_e32 v44, 29, v44
	s_delay_alu instid0(VALU_DEP_2) | instskip(NEXT) | instid1(VALU_DEP_1)
	v_lshlrev_b64 v[30:31], v30, v[8:9]
	v_and_b32_e32 v30, 7, v30
; %bb.632:                              ;   in Loop: Header=BB361_11 Depth=1
	s_or_b32 exec_lo, exec_lo, s20
	v_lshlrev_b32_e32 v8, 8, v43
	v_lshl_add_u32 v31, v44, 10, 0x2000
	s_delay_alu instid0(VALU_DEP_1) | instskip(NEXT) | instid1(VALU_DEP_1)
	v_and_or_b32 v8, 0x8000, v8, v31
	v_lshl_or_b32 v8, v30, 7, v8
	s_delay_alu instid0(VALU_DEP_1)
	v_cvt_f32_f16_e32 v73, v8
.LBB361_633:                            ;   in Loop: Header=BB361_11 Depth=1
	s_or_b32 exec_lo, exec_lo, s19
.LBB361_634:                            ;   in Loop: Header=BB361_11 Depth=1
	s_delay_alu instid0(SALU_CYCLE_1)
	s_or_b32 exec_lo, exec_lo, s18
.LBB361_635:                            ;   in Loop: Header=BB361_11 Depth=1
	s_delay_alu instid0(SALU_CYCLE_1) | instskip(SKIP_2) | instid1(VALU_DEP_1)
	s_or_b32 exec_lo, exec_lo, s17
	v_lshrrev_b32_e32 v43, 16, v29
	s_mov_b32 s17, exec_lo
	v_and_b32_e32 v8, 0xff, v43
	s_delay_alu instid0(VALU_DEP_1)
	v_cmpx_ne_u16_e32 0, v8
	s_cbranch_execz .LBB361_643
; %bb.636:                              ;   in Loop: Header=BB361_11 Depth=1
	v_bfrev_b32_e32 v72, 1
	s_mov_b32 s18, exec_lo
	v_cmpx_ne_u16_e32 0x80, v8
	s_cbranch_execz .LBB361_642
; %bb.637:                              ;   in Loop: Header=BB361_11 Depth=1
	v_bfe_u32 v30, v29, 16, 7
	v_mov_b32_e32 v72, 0x7fc02000
	s_mov_b32 s19, exec_lo
	s_delay_alu instid0(VALU_DEP_2)
	v_cmpx_ne_u32_e32 0x7f, v30
	s_cbranch_execz .LBB361_641
; %bb.638:                              ;   in Loop: Header=BB361_11 Depth=1
	v_and_b32_e32 v8, 7, v43
	v_lshrrev_b32_e32 v44, 3, v30
	v_cmp_gt_u32_e64 s1, 8, v30
	s_delay_alu instid0(VALU_DEP_3) | instskip(NEXT) | instid1(VALU_DEP_2)
	v_dual_mov_b32 v31, v9 :: v_dual_mov_b32 v30, v8
	s_and_saveexec_b32 s20, s1
; %bb.639:                              ;   in Loop: Header=BB361_11 Depth=1
	v_clz_i32_u32_e32 v30, v8
	s_delay_alu instid0(VALU_DEP_1) | instskip(NEXT) | instid1(VALU_DEP_1)
	v_min_u32_e32 v44, 32, v30
	v_subrev_nc_u32_e32 v30, 28, v44
	v_sub_nc_u32_e32 v44, 29, v44
	s_delay_alu instid0(VALU_DEP_2) | instskip(NEXT) | instid1(VALU_DEP_1)
	v_lshlrev_b64 v[30:31], v30, v[8:9]
	v_and_b32_e32 v30, 7, v30
; %bb.640:                              ;   in Loop: Header=BB361_11 Depth=1
	s_or_b32 exec_lo, exec_lo, s20
	v_lshlrev_b32_e32 v8, 8, v43
	v_lshl_add_u32 v31, v44, 10, 0x2000
	s_delay_alu instid0(VALU_DEP_1) | instskip(NEXT) | instid1(VALU_DEP_1)
	v_and_or_b32 v8, 0x8000, v8, v31
	v_lshl_or_b32 v8, v30, 7, v8
	s_delay_alu instid0(VALU_DEP_1)
	v_cvt_f32_f16_e32 v72, v8
.LBB361_641:                            ;   in Loop: Header=BB361_11 Depth=1
	s_or_b32 exec_lo, exec_lo, s19
.LBB361_642:                            ;   in Loop: Header=BB361_11 Depth=1
	s_delay_alu instid0(SALU_CYCLE_1)
	s_or_b32 exec_lo, exec_lo, s18
.LBB361_643:                            ;   in Loop: Header=BB361_11 Depth=1
	s_delay_alu instid0(SALU_CYCLE_1) | instskip(SKIP_2) | instid1(VALU_DEP_2)
	s_or_b32 exec_lo, exec_lo, s17
	v_cmp_lt_u64_e64 s1, s[2:3], v[28:29]
	v_mov_b32_e32 v28, 0
	s_and_saveexec_b32 s17, s1
	s_cbranch_execz .LBB361_10
; %bb.644:                              ;   in Loop: Header=BB361_11 Depth=1
	v_lshrrev_b32_e32 v30, 24, v29
	v_bfrev_b32_e32 v28, 1
	s_mov_b32 s18, exec_lo
	s_delay_alu instid0(VALU_DEP_2)
	v_cmpx_ne_u32_e32 0x80, v30
	s_cbranch_execz .LBB361_9
; %bb.645:                              ;   in Loop: Header=BB361_11 Depth=1
	v_and_b32_e32 v29, 0x7f, v30
	v_mov_b32_e32 v28, 0x7fc02000
	s_mov_b32 s19, exec_lo
	s_delay_alu instid0(VALU_DEP_2)
	v_cmpx_ne_u32_e32 0x7f, v29
	s_cbranch_execz .LBB361_8
; %bb.646:                              ;   in Loop: Header=BB361_11 Depth=1
	v_and_b32_e32 v8, 7, v30
	v_lshrrev_b32_e32 v31, 3, v29
	v_cmp_gt_u32_e64 s1, 8, v29
	s_delay_alu instid0(VALU_DEP_3) | instskip(NEXT) | instid1(VALU_DEP_2)
	v_dual_mov_b32 v29, v9 :: v_dual_mov_b32 v28, v8
	s_and_saveexec_b32 s20, s1
	s_cbranch_execz .LBB361_7
; %bb.647:                              ;   in Loop: Header=BB361_11 Depth=1
	v_clz_i32_u32_e32 v28, v8
	s_delay_alu instid0(VALU_DEP_1) | instskip(NEXT) | instid1(VALU_DEP_1)
	v_min_u32_e32 v31, 32, v28
	v_subrev_nc_u32_e32 v28, 28, v31
	v_sub_nc_u32_e32 v31, 29, v31
	s_delay_alu instid0(VALU_DEP_2) | instskip(NEXT) | instid1(VALU_DEP_1)
	v_lshlrev_b64 v[28:29], v28, v[8:9]
	v_and_b32_e32 v28, 7, v28
	s_branch .LBB361_7
.LBB361_648:
	s_or_b32 exec_lo, exec_lo, s7
.LBB361_649:
	s_delay_alu instid0(SALU_CYCLE_1) | instskip(SKIP_2) | instid1(VALU_DEP_1)
	s_or_b32 exec_lo, exec_lo, s9
	v_mbcnt_lo_u32_b32 v8, -1, 0
	s_lshr_b32 s9, s13, 16
	v_xor_b32_e32 v9, 16, v8
	v_xor_b32_e32 v18, 8, v8
	;; [unrolled: 1-line block ×3, first 2 shown]
	s_delay_alu instid0(VALU_DEP_3) | instskip(SKIP_1) | instid1(VALU_DEP_4)
	v_cmp_gt_i32_e32 vcc_lo, 32, v9
	v_cndmask_b32_e32 v9, v8, v9, vcc_lo
	v_cmp_gt_i32_e32 vcc_lo, 32, v18
	v_dual_max_f32 v19, v51, v51 :: v_dual_cndmask_b32 v18, v8, v18
	s_delay_alu instid0(VALU_DEP_1) | instskip(NEXT) | instid1(VALU_DEP_4)
	v_lshlrev_b32_e32 v20, 2, v18
	v_lshlrev_b32_e32 v13, 2, v9
	ds_bpermute_b32 v9, v13, v51
	s_waitcnt lgkmcnt(0)
	v_max_f32_e32 v9, v9, v9
	s_delay_alu instid0(VALU_DEP_1) | instskip(SKIP_4) | instid1(VALU_DEP_1)
	v_max_f32_e32 v9, v19, v9
	v_xor_b32_e32 v19, 4, v8
	ds_bpermute_b32 v18, v20, v9
	v_cmp_gt_i32_e32 vcc_lo, 32, v19
	v_cndmask_b32_e32 v19, v8, v19, vcc_lo
	v_lshlrev_b32_e32 v21, 2, v19
	v_xor_b32_e32 v19, 2, v8
	s_delay_alu instid0(VALU_DEP_1) | instskip(SKIP_3) | instid1(VALU_DEP_2)
	v_cmp_gt_i32_e32 vcc_lo, 32, v19
	s_waitcnt lgkmcnt(0)
	v_dual_max_f32 v18, v18, v18 :: v_dual_cndmask_b32 v19, v8, v19
	v_cmp_gt_i32_e32 vcc_lo, 32, v24
	v_dual_cndmask_b32 v24, v8, v24 :: v_dual_lshlrev_b32 v19, 2, v19
	s_delay_alu instid0(VALU_DEP_3) | instskip(SKIP_4) | instid1(VALU_DEP_1)
	v_max_f32_e32 v9, v9, v18
	v_cmp_eq_u32_e32 vcc_lo, 0, v37
	ds_bpermute_b32 v18, v21, v9
	s_waitcnt lgkmcnt(0)
	v_max_f32_e32 v18, v18, v18
	v_max_f32_e32 v9, v9, v18
	ds_bpermute_b32 v18, v19, v9
	s_waitcnt lgkmcnt(0)
	v_max_f32_e32 v18, v18, v18
	s_delay_alu instid0(VALU_DEP_1)
	v_max_f32_e32 v8, v9, v18
	v_lshlrev_b32_e32 v18, 2, v24
	v_lshlrev_b32_e32 v24, 2, v36
	ds_bpermute_b32 v9, v18, v8
	s_and_saveexec_b32 s1, vcc_lo
	s_cbranch_execz .LBB361_651
; %bb.650:
	s_waitcnt lgkmcnt(0)
	v_dual_max_f32 v9, v9, v9 :: v_dual_max_f32 v8, v8, v8
	s_delay_alu instid0(VALU_DEP_1)
	v_max_f32_e32 v8, v8, v9
	ds_store_b32 v24, v8 offset:160
.LBB361_651:
	s_or_b32 exec_lo, exec_lo, s1
	v_cmp_gt_u32_e64 s1, 4, v37
	v_mov_b32_e32 v8, 0xff7fffff
	s_waitcnt lgkmcnt(0)
	s_barrier
	buffer_gl0_inv
	s_and_saveexec_b32 s2, s1
	s_cbranch_execz .LBB361_653
; %bb.652:
	ds_load_b32 v8, v49 offset:160
.LBB361_653:
	s_or_b32 exec_lo, exec_lo, s2
	s_waitcnt lgkmcnt(0)
	ds_bpermute_b32 v9, v19, v8
	v_max_f32_e32 v8, v8, v8
	v_subrev_nc_u32_e32 v28, s8, v23
	v_mov_b32_e32 v25, 0
	s_waitcnt lgkmcnt(0)
	v_max_f32_e32 v9, v9, v9
	s_delay_alu instid0(VALU_DEP_1) | instskip(SKIP_3) | instid1(VALU_DEP_1)
	v_max_f32_e32 v8, v8, v9
	ds_bpermute_b32 v9, v18, v8
	s_waitcnt lgkmcnt(0)
	v_max_f32_e32 v9, v9, v9
	v_max_f32_e32 v8, v8, v9
	v_lshl_add_u32 v9, v28, 5, s16
	ds_bpermute_b32 v8, v25, v8
	v_min_i32_e32 v9, v9, v35
	s_delay_alu instid0(VALU_DEP_1) | instskip(NEXT) | instid1(VALU_DEP_1)
	v_subrev_nc_u32_e32 v9, s16, v9
	v_cmp_lt_i32_e64 s2, v34, v9
	s_delay_alu instid0(VALU_DEP_1)
	s_and_saveexec_b32 s8, s2
	s_cbranch_execz .LBB361_657
; %bb.654:
	s_getpc_b64 s[18:19]
	s_add_u32 s18, s18, llvm.amdgcn.dynlds.offset.table@rel32@lo+4
	s_addc_u32 s19, s19, llvm.amdgcn.dynlds.offset.table@rel32@hi+12
	s_ashr_i32 s7, s6, 31
	v_mov_b32_e32 v25, 0
	s_lshl_b64 s[20:21], s[6:7], 2
	v_mov_b32_e32 v29, v34
	s_add_u32 s18, s20, s18
	s_addc_u32 s19, s21, s19
	s_mov_b32 s7, 0
	s_load_b32 s3, s[18:19], 0x0
	s_waitcnt lgkmcnt(0)
	v_lshl_add_u32 v28, v34, 2, s3
	.p2align	6
.LBB361_655:                            ; =>This Inner Loop Header: Depth=1
	ds_load_b32 v30, v28
	v_add_nc_u32_e32 v29, 0x80, v29
	s_delay_alu instid0(VALU_DEP_1) | instskip(NEXT) | instid1(VALU_DEP_1)
	v_cmp_ge_i32_e64 s3, v29, v9
	s_or_b32 s7, s3, s7
	s_waitcnt lgkmcnt(0)
	v_sub_f32_e32 v30, v30, v8
	s_delay_alu instid0(VALU_DEP_1) | instskip(NEXT) | instid1(VALU_DEP_1)
	v_mul_f32_e32 v30, 0x3fb8aa3b, v30
	v_exp_f32_e32 v30, v30
	ds_store_b32 v28, v30
	v_dual_add_f32 v25, v25, v30 :: v_dual_add_nc_u32 v28, 0x200, v28
	s_and_not1_b32 exec_lo, exec_lo, s7
	s_cbranch_execnz .LBB361_655
; %bb.656:
	s_or_b32 exec_lo, exec_lo, s7
.LBB361_657:
	s_delay_alu instid0(SALU_CYCLE_1)
	s_or_b32 exec_lo, exec_lo, s8
	ds_bpermute_b32 v13, v13, v25
	s_waitcnt lgkmcnt(0)
	v_add_f32_e32 v13, v25, v13
	ds_bpermute_b32 v20, v20, v13
	s_waitcnt lgkmcnt(0)
	v_add_f32_e32 v13, v13, v20
	;; [unrolled: 3-line block ×5, first 2 shown]
	s_and_saveexec_b32 s3, vcc_lo
	s_cbranch_execz .LBB361_659
; %bb.658:
	ds_store_b32 v24, v13 offset:176
.LBB361_659:
	s_or_b32 exec_lo, exec_lo, s3
	s_waitcnt lgkmcnt(0)
	s_barrier
	buffer_gl0_inv
	s_and_saveexec_b32 s3, s1
	s_cbranch_execz .LBB361_661
; %bb.660:
	ds_load_b32 v13, v49 offset:176
.LBB361_661:
	s_or_b32 exec_lo, exec_lo, s3
	s_waitcnt lgkmcnt(0)
	ds_bpermute_b32 v20, v19, v13
	s_waitcnt lgkmcnt(0)
	v_add_f32_e32 v13, v13, v20
	ds_bpermute_b32 v20, v18, v13
	s_waitcnt lgkmcnt(0)
	v_dual_add_f32 v13, v13, v20 :: v_dual_mov_b32 v20, 0
	ds_bpermute_b32 v13, v20, v13
	s_and_saveexec_b32 s1, s2
	s_cbranch_execz .LBB361_664
; %bb.662:
	s_waitcnt lgkmcnt(0)
	v_add_f32_e32 v21, 0x358637bd, v13
	s_getpc_b64 s[2:3]
	s_add_u32 s2, s2, llvm.amdgcn.dynlds.offset.table@rel32@lo+4
	s_addc_u32 s3, s3, llvm.amdgcn.dynlds.offset.table@rel32@hi+12
	s_ashr_i32 s7, s6, 31
	s_delay_alu instid0(SALU_CYCLE_1) | instskip(SKIP_4) | instid1(VALU_DEP_1)
	s_lshl_b64 s[18:19], s[6:7], 2
	v_div_scale_f32 v20, null, v21, v21, 1.0
	s_add_u32 s2, s18, s2
	s_addc_u32 s3, s19, s3
	s_load_b32 s2, s[2:3], 0x0
	v_rcp_f32_e32 v24, v20
	s_waitcnt_depctr 0xfff
	v_fma_f32 v25, -v20, v24, 1.0
	s_delay_alu instid0(VALU_DEP_1) | instskip(SKIP_1) | instid1(VALU_DEP_1)
	v_fmac_f32_e32 v24, v25, v24
	v_div_scale_f32 v28, vcc_lo, 1.0, v21, 1.0
	v_mul_f32_e32 v25, v28, v24
	s_delay_alu instid0(VALU_DEP_1) | instskip(NEXT) | instid1(VALU_DEP_1)
	v_fma_f32 v29, -v20, v25, v28
	v_fmac_f32_e32 v25, v29, v24
	s_delay_alu instid0(VALU_DEP_1) | instskip(NEXT) | instid1(VALU_DEP_1)
	v_fma_f32 v20, -v20, v25, v28
	v_div_fmas_f32 v24, v20, v24, v25
	s_waitcnt lgkmcnt(0)
	v_lshl_add_u32 v20, v34, 2, s2
	s_mov_b32 s2, 0
	s_delay_alu instid0(VALU_DEP_2)
	v_div_fixup_f32 v21, v24, v21, 1.0
	v_mov_b32_e32 v24, v34
.LBB361_663:                            ; =>This Inner Loop Header: Depth=1
	ds_load_b32 v25, v20
	s_waitcnt lgkmcnt(0)
	v_dual_mul_f32 v25, v21, v25 :: v_dual_add_nc_u32 v24, 0x80, v24
	s_delay_alu instid0(VALU_DEP_1) | instskip(SKIP_3) | instid1(SALU_CYCLE_1)
	v_cmp_ge_i32_e32 vcc_lo, v24, v9
	ds_store_b32 v20, v25
	v_add_nc_u32_e32 v20, 0x200, v20
	s_or_b32 s2, vcc_lo, s2
	s_and_not1_b32 exec_lo, exec_lo, s2
	s_cbranch_execnz .LBB361_663
.LBB361_664:
	s_or_b32 exec_lo, exec_lo, s1
	v_cmp_ne_u16_e64 s1, s9, 0
	s_waitcnt lgkmcnt(0)
	s_barrier
	buffer_gl0_inv
	s_cmp_lg_u32 s1, 0
	s_addc_u32 s1, s5, 0
	s_mov_b32 s5, exec_lo
	s_mul_i32 s2, s1, s10
	s_delay_alu instid0(SALU_CYCLE_1)
	s_mul_i32 s2, s2, s15
	v_cmpx_eq_u32_e32 0, v34
	s_cbranch_execz .LBB361_666
; %bb.665:
	s_mul_i32 s8, s1, s12
	s_ashr_i32 s15, s14, 31
	s_ashr_i32 s9, s8, 31
	;; [unrolled: 1-line block ×3, first 2 shown]
	s_lshl_b64 s[8:9], s[8:9], 2
	s_lshl_b64 s[12:13], s[14:15], 2
	;; [unrolled: 1-line block ×3, first 2 shown]
	s_add_u32 s3, s12, s8
	s_addc_u32 s7, s13, s9
	s_add_u32 s3, s3, s18
	s_addc_u32 s7, s7, s19
	v_add_co_u32 v2, vcc_lo, s3, v2
	v_add_co_ci_u32_e32 v3, vcc_lo, s7, v3, vcc_lo
	v_add_co_u32 v0, vcc_lo, s3, v0
	v_add_co_ci_u32_e32 v1, vcc_lo, s7, v1, vcc_lo
	flat_store_b32 v[2:3], v8
	flat_store_b32 v[0:1], v13
.LBB361_666:
	s_or_b32 exec_lo, exec_lo, s5
                                        ; implicit-def: $sgpr5
	s_and_saveexec_b32 s3, s0
	s_delay_alu instid0(SALU_CYCLE_1)
	s_xor_b32 s0, exec_lo, s3
; %bb.667:
	s_ashr_i32 s7, s6, 31
	s_mov_b32 s5, 0
                                        ; implicit-def: $vgpr35
                                        ; implicit-def: $vgpr12
                                        ; implicit-def: $vgpr23
                                        ; implicit-def: $vgpr6
                                        ; implicit-def: $vgpr10
                                        ; implicit-def: $vgpr11
                                        ; implicit-def: $vgpr14
                                        ; implicit-def: $vgpr15
                                        ; implicit-def: $vgpr22
                                        ; implicit-def: $vgpr26_vgpr27
                                        ; implicit-def: $vgpr39
                                        ; implicit-def: $vgpr48
                                        ; implicit-def: $vgpr16_vgpr17
                                        ; implicit-def: $vgpr38
; %bb.668:
	s_or_saveexec_b32 s3, s0
	v_dual_mov_b32 v31, s5 :: v_dual_mov_b32 v0, s6
	v_dual_mov_b32 v1, s7 :: v_dual_and_b32 v20, 3, v34
	v_dual_mov_b32 v49, s5 :: v_dual_mov_b32 v32, s5
	v_dual_mov_b32 v33, s5 :: v_dual_mov_b32 v30, s5
	;; [unrolled: 1-line block ×4, first 2 shown]
	v_mov_b32_e32 v21, s5
	s_xor_b32 exec_lo, exec_lo, s3
	s_cbranch_execz .LBB361_1332
; %bb.669:
	s_getpc_b64 s[8:9]
	s_add_u32 s8, s8, llvm.amdgcn.dynlds.offset.table@rel32@lo+4
	s_addc_u32 s9, s9, llvm.amdgcn.dynlds.offset.table@rel32@hi+12
	s_ashr_i32 s7, s6, 31
	v_dual_mov_b32 v1, 0 :: v_dual_lshlrev_b32 v0, 3, v34
	s_lshl_b64 s[12:13], s[6:7], 2
	v_add_co_u32 v2, vcc_lo, v10, v39
	s_add_u32 s8, s12, s8
	s_addc_u32 s9, s13, s9
	v_and_b32_e32 v9, 24, v0
	s_load_b32 s0, s[8:9], 0x0
	v_dual_mov_b32 v21, 0 :: v_dual_and_b32 v0, 0xf8, v0
	v_add_co_ci_u32_e32 v3, vcc_lo, v11, v48, vcc_lo
	v_lshlrev_b64 v[7:8], 2, v[6:7]
	s_delay_alu instid0(VALU_DEP_3) | instskip(SKIP_1) | instid1(VALU_DEP_4)
	v_add_co_u32 v2, vcc_lo, v2, v0
	v_dual_mov_b32 v25, 0 :: v_dual_lshlrev_b32 v0, 5, v20
	v_add_co_ci_u32_e32 v3, vcc_lo, 0, v3, vcc_lo
	s_delay_alu instid0(VALU_DEP_4) | instskip(SKIP_1) | instid1(VALU_DEP_4)
	v_add_co_u32 v7, vcc_lo, v16, v7
	v_add_co_ci_u32_e32 v8, vcc_lo, v17, v8, vcc_lo
	v_lshl_or_b32 v0, v36, 7, v0
	s_delay_alu instid0(VALU_DEP_3)
	v_add_co_u32 v7, vcc_lo, v14, v7
	v_dual_mov_b32 v24, 0 :: v_dual_add_nc_u32 v39, -1, v12
	v_mov_b32_e32 v48, v35
	v_add_co_ci_u32_e32 v8, vcc_lo, v15, v8, vcc_lo
	v_add3_u32 v15, s16, v38, v9
	s_waitcnt lgkmcnt(0)
	v_dual_mov_b32 v29, 0 :: v_dual_add_nc_u32 v16, s0, v0
	v_dual_mov_b32 v28, 0 :: v_dual_mov_b32 v33, 0
	v_dual_mov_b32 v30, 0 :: v_dual_mov_b32 v49, 0
	;; [unrolled: 1-line block ×3, first 2 shown]
	s_mov_b32 s8, -1
	s_mov_b32 s9, 0xffffff
	s_mov_b32 s5, 0
	s_branch .LBB361_671
.LBB361_670:                            ;   in Loop: Header=BB361_671 Depth=1
	s_or_b32 exec_lo, exec_lo, s0
	;;#ASMSTART
	v_pk_mul_f16 v11, v68, v11;

	;;#ASMEND
	;;#ASMSTART
	v_pk_mul_f16 v10, v66, v10;

	;;#ASMEND
	;; [unrolled: 4-line block ×4, first 2 shown]
	;;#ASMSTART
	v_pk_add_f16 v10, v11, v10;

	;;#ASMEND
	;;#ASMSTART
	v_pk_add_f16 v0, v10, v0;

	;;#ASMEND
	;; [unrolled: 4-line block ×3, first 2 shown]
	v_dual_add_f32 v12, v13, v14 :: v_dual_and_b32 v9, 0xffff, v0
	v_dual_add_f32 v13, v97, v98 :: v_dual_add_f32 v14, v87, v96
	v_lshrrev_b32_e32 v0, 16, v0
	s_delay_alu instid0(VALU_DEP_3) | instskip(SKIP_4) | instid1(VALU_DEP_2)
	v_add_f32_e32 v24, v24, v12
	v_dual_add_f32 v12, v81, v82 :: v_dual_add_nc_u32 v15, 0x80, v15
	;;#ASMSTART
	v_cvt_f32_f16 v9, v9;
	;;#ASMEND
	;;#ASMSTART
	v_cvt_f32_f16 v0, v0;
	;;#ASMEND
	v_dual_add_f32 v17, v85, v86 :: v_dual_add_f32 v38, v83, v84
	v_dual_add_f32 v32, v32, v12 :: v_dual_add_f32 v11, v69, v70
	v_add_f32_e32 v12, v65, v67
	v_add_nc_u32_e32 v6, 4, v6
	v_add_f32_e32 v10, v71, v80
	v_add_f32_e32 v0, v9, v0
	v_add_co_u32 v7, s0, v7, 16
	v_add_f32_e32 v31, v31, v12
	v_cmp_ge_i32_e32 vcc_lo, v6, v23
	v_dual_add_f32 v25, v25, v13 :: v_dual_add_f32 v28, v28, v14
	v_dual_add_f32 v29, v29, v17 :: v_dual_add_f32 v30, v30, v38
	v_add_f32_e32 v49, v49, v11
	v_dual_add_f32 v33, v33, v10 :: v_dual_add_nc_u32 v16, 0x200, v16
	v_add_f32_e32 v21, v21, v0
	v_add_co_ci_u32_e64 v8, s0, 0, v8, s0
	s_or_b32 s5, vcc_lo, s5
	s_delay_alu instid0(SALU_CYCLE_1)
	s_and_not1_b32 exec_lo, exec_lo, s5
	s_cbranch_execz .LBB361_1331
.LBB361_671:                            ; =>This Inner Loop Header: Depth=1
	flat_load_b32 v0, v[7:8]
	ds_load_2addr_b64 v[10:13], v16 offset1:1
	ds_load_2addr_b64 v[50:53], v16 offset0:2 offset1:3
	v_mov_b32_e32 v38, 0
	s_mov_b32 s0, exec_lo
	s_waitcnt lgkmcnt(1)
	;;#ASMSTART
	v_cvt_f16_f32 v55, v10;

	;;#ASMEND
	;;#ASMSTART
	v_cvt_f16_f32 v64, v11;

	;;#ASMEND
	;; [unrolled: 4-line block ×4, first 2 shown]
	s_waitcnt lgkmcnt(0)
	;;#ASMSTART
	v_cvt_f16_f32 v68, v50;

	;;#ASMEND
	;;#ASMSTART
	v_cvt_f16_f32 v67, v51;

	;;#ASMEND
	;; [unrolled: 4-line block ×4, first 2 shown]
	s_waitcnt vmcnt(0)
	v_mad_i64_i32 v[9:10], null, v0, v22, v[2:3]
	flat_load_b64 v[11:12], v[9:10]
	flat_load_b32 v17, v[26:27]
	s_waitcnt vmcnt(1) lgkmcnt(1)
	v_and_b32_e32 v0, 0xff, v11
	s_delay_alu instid0(VALU_DEP_1)
	v_cmpx_ne_u16_e32 0, v0
	s_cbranch_execz .LBB361_679
; %bb.672:                              ;   in Loop: Header=BB361_671 Depth=1
	v_bfrev_b32_e32 v38, 1
	s_mov_b32 s10, exec_lo
	v_cmpx_ne_u16_e32 0x80, v0
	s_cbranch_execz .LBB361_678
; %bb.673:                              ;   in Loop: Header=BB361_671 Depth=1
	v_and_b32_e32 v13, 0x7f, v11
	v_mov_b32_e32 v38, 0x7fc02000
	s_mov_b32 s12, exec_lo
	s_delay_alu instid0(VALU_DEP_2)
	v_cmpx_ne_u32_e32 0x7f, v13
	s_cbranch_execz .LBB361_677
; %bb.674:                              ;   in Loop: Header=BB361_671 Depth=1
	v_lshrrev_b32_e32 v0, 3, v13
	v_cmp_gt_u32_e32 vcc_lo, 8, v13
	v_dual_mov_b32 v14, v12 :: v_dual_mov_b32 v13, v11
	s_and_saveexec_b32 s13, vcc_lo
; %bb.675:                              ;   in Loop: Header=BB361_671 Depth=1
	v_and_b32_e32 v0, 7, v11
	s_delay_alu instid0(VALU_DEP_1) | instskip(NEXT) | instid1(VALU_DEP_1)
	v_clz_i32_u32_e32 v0, v0
	v_min_u32_e32 v0, 32, v0
	s_delay_alu instid0(VALU_DEP_1) | instskip(SKIP_1) | instid1(VALU_DEP_2)
	v_subrev_nc_u32_e32 v13, 28, v0
	v_sub_nc_u32_e32 v0, 29, v0
	v_lshlrev_b64 v[13:14], v13, v[11:12]
; %bb.676:                              ;   in Loop: Header=BB361_671 Depth=1
	s_or_b32 exec_lo, exec_lo, s13
	v_lshlrev_b32_e32 v14, 8, v11
	s_delay_alu instid0(VALU_DEP_3) | instskip(NEXT) | instid1(VALU_DEP_3)
	v_lshl_add_u32 v0, v0, 10, 0x2000
	v_lshlrev_b32_e32 v13, 7, v13
	s_delay_alu instid0(VALU_DEP_2) | instskip(NEXT) | instid1(VALU_DEP_1)
	v_and_or_b32 v0, 0x8000, v14, v0
	v_and_or_b32 v0, 0x380, v13, v0
	s_delay_alu instid0(VALU_DEP_1)
	v_cvt_f32_f16_e32 v38, v0
.LBB361_677:                            ;   in Loop: Header=BB361_671 Depth=1
	s_or_b32 exec_lo, exec_lo, s12
.LBB361_678:                            ;   in Loop: Header=BB361_671 Depth=1
	s_delay_alu instid0(SALU_CYCLE_1)
	s_or_b32 exec_lo, exec_lo, s10
.LBB361_679:                            ;   in Loop: Header=BB361_671 Depth=1
	s_delay_alu instid0(SALU_CYCLE_1) | instskip(SKIP_3) | instid1(VALU_DEP_2)
	s_or_b32 exec_lo, exec_lo, s0
	v_lshrrev_b16 v0, 8, v11
	v_dual_mov_b32 v51, 0 :: v_dual_mov_b32 v50, 0
	s_mov_b32 s0, exec_lo
	v_cmpx_ne_u16_e32 0, v0
	s_cbranch_execz .LBB361_687
; %bb.680:                              ;   in Loop: Header=BB361_671 Depth=1
	v_bfrev_b32_e32 v50, 1
	s_mov_b32 s10, exec_lo
	v_cmpx_ne_u16_e32 0x80, v0
	s_cbranch_execz .LBB361_686
; %bb.681:                              ;   in Loop: Header=BB361_671 Depth=1
	v_and_b32_e32 v13, 0xffff, v0
	v_mov_b32_e32 v50, 0x7fc02000
	s_mov_b32 s12, exec_lo
	s_delay_alu instid0(VALU_DEP_2) | instskip(NEXT) | instid1(VALU_DEP_1)
	v_and_b32_e32 v52, 0x7f, v13
	v_cmpx_ne_u32_e32 0x7f, v52
	s_cbranch_execz .LBB361_685
; %bb.682:                              ;   in Loop: Header=BB361_671 Depth=1
	v_and_b32_e32 v0, 7, v13
	v_lshrrev_b32_e32 v14, 3, v52
	s_mov_b32 s13, exec_lo
	v_cmpx_gt_u32_e32 8, v52
; %bb.683:                              ;   in Loop: Header=BB361_671 Depth=1
	s_delay_alu instid0(VALU_DEP_3) | instskip(NEXT) | instid1(VALU_DEP_1)
	v_clz_i32_u32_e32 v14, v0
	v_min_u32_e32 v14, 32, v14
	s_delay_alu instid0(VALU_DEP_1) | instskip(SKIP_1) | instid1(VALU_DEP_2)
	v_subrev_nc_u32_e32 v50, 28, v14
	v_sub_nc_u32_e32 v14, 29, v14
	v_lshlrev_b64 v[52:53], v50, v[0:1]
	s_delay_alu instid0(VALU_DEP_1)
	v_and_b32_e32 v0, 7, v52
; %bb.684:                              ;   in Loop: Header=BB361_671 Depth=1
	s_or_b32 exec_lo, exec_lo, s13
	v_lshlrev_b32_e32 v13, 8, v13
	v_lshl_add_u32 v14, v14, 10, 0x2000
	s_delay_alu instid0(VALU_DEP_1) | instskip(NEXT) | instid1(VALU_DEP_1)
	v_and_or_b32 v13, 0x8000, v13, v14
	v_lshl_or_b32 v0, v0, 7, v13
	s_delay_alu instid0(VALU_DEP_1)
	v_cvt_f32_f16_e32 v50, v0
.LBB361_685:                            ;   in Loop: Header=BB361_671 Depth=1
	s_or_b32 exec_lo, exec_lo, s12
.LBB361_686:                            ;   in Loop: Header=BB361_671 Depth=1
	s_delay_alu instid0(SALU_CYCLE_1)
	s_or_b32 exec_lo, exec_lo, s10
.LBB361_687:                            ;   in Loop: Header=BB361_671 Depth=1
	s_delay_alu instid0(SALU_CYCLE_1) | instskip(SKIP_2) | instid1(VALU_DEP_1)
	s_or_b32 exec_lo, exec_lo, s0
	v_lshrrev_b32_e32 v13, 16, v11
	s_mov_b32 s0, exec_lo
	v_and_b32_e32 v0, 0xff, v13
	s_delay_alu instid0(VALU_DEP_1)
	v_cmpx_ne_u16_e32 0, v0
	s_cbranch_execz .LBB361_695
; %bb.688:                              ;   in Loop: Header=BB361_671 Depth=1
	v_bfrev_b32_e32 v51, 1
	s_mov_b32 s10, exec_lo
	v_cmpx_ne_u16_e32 0x80, v0
	s_cbranch_execz .LBB361_694
; %bb.689:                              ;   in Loop: Header=BB361_671 Depth=1
	v_bfe_u32 v52, v11, 16, 7
	v_mov_b32_e32 v51, 0x7fc02000
	s_mov_b32 s12, exec_lo
	s_delay_alu instid0(VALU_DEP_2)
	v_cmpx_ne_u32_e32 0x7f, v52
	s_cbranch_execz .LBB361_693
; %bb.690:                              ;   in Loop: Header=BB361_671 Depth=1
	v_and_b32_e32 v0, 7, v13
	v_lshrrev_b32_e32 v14, 3, v52
	s_mov_b32 s13, exec_lo
	v_cmpx_gt_u32_e32 8, v52
; %bb.691:                              ;   in Loop: Header=BB361_671 Depth=1
	s_delay_alu instid0(VALU_DEP_3) | instskip(NEXT) | instid1(VALU_DEP_1)
	v_clz_i32_u32_e32 v14, v0
	v_min_u32_e32 v14, 32, v14
	s_delay_alu instid0(VALU_DEP_1) | instskip(SKIP_1) | instid1(VALU_DEP_2)
	v_subrev_nc_u32_e32 v51, 28, v14
	v_sub_nc_u32_e32 v14, 29, v14
	v_lshlrev_b64 v[51:52], v51, v[0:1]
	s_delay_alu instid0(VALU_DEP_1)
	v_and_b32_e32 v0, 7, v51
; %bb.692:                              ;   in Loop: Header=BB361_671 Depth=1
	s_or_b32 exec_lo, exec_lo, s13
	v_lshlrev_b32_e32 v13, 8, v13
	v_lshl_add_u32 v14, v14, 10, 0x2000
	s_delay_alu instid0(VALU_DEP_1) | instskip(NEXT) | instid1(VALU_DEP_1)
	v_and_or_b32 v13, 0x8000, v13, v14
	v_lshl_or_b32 v0, v0, 7, v13
	s_delay_alu instid0(VALU_DEP_1)
	v_cvt_f32_f16_e32 v51, v0
.LBB361_693:                            ;   in Loop: Header=BB361_671 Depth=1
	s_or_b32 exec_lo, exec_lo, s12
.LBB361_694:                            ;   in Loop: Header=BB361_671 Depth=1
	s_delay_alu instid0(SALU_CYCLE_1)
	s_or_b32 exec_lo, exec_lo, s10
.LBB361_695:                            ;   in Loop: Header=BB361_671 Depth=1
	s_delay_alu instid0(SALU_CYCLE_1)
	s_or_b32 exec_lo, exec_lo, s0
	v_dual_mov_b32 v13, 0 :: v_dual_mov_b32 v52, 0
	s_mov_b32 s0, exec_lo
	v_cmpx_lt_u32_e32 0xffffff, v11
	s_cbranch_execz .LBB361_703
; %bb.696:                              ;   in Loop: Header=BB361_671 Depth=1
	v_lshrrev_b32_e32 v14, 24, v11
	v_bfrev_b32_e32 v52, 1
	s_mov_b32 s10, exec_lo
	s_delay_alu instid0(VALU_DEP_2)
	v_cmpx_ne_u32_e32 0x80, v14
	s_cbranch_execz .LBB361_702
; %bb.697:                              ;   in Loop: Header=BB361_671 Depth=1
	v_and_b32_e32 v53, 0x7f, v14
	v_mov_b32_e32 v52, 0x7fc02000
	s_mov_b32 s12, exec_lo
	s_delay_alu instid0(VALU_DEP_2)
	v_cmpx_ne_u32_e32 0x7f, v53
	s_cbranch_execz .LBB361_701
; %bb.698:                              ;   in Loop: Header=BB361_671 Depth=1
	v_and_b32_e32 v0, 7, v14
	v_lshrrev_b32_e32 v52, 3, v53
	s_mov_b32 s13, exec_lo
	v_cmpx_gt_u32_e32 8, v53
; %bb.699:                              ;   in Loop: Header=BB361_671 Depth=1
	s_delay_alu instid0(VALU_DEP_3) | instskip(NEXT) | instid1(VALU_DEP_1)
	v_clz_i32_u32_e32 v52, v0
	v_min_u32_e32 v52, 32, v52
	s_delay_alu instid0(VALU_DEP_1) | instskip(SKIP_1) | instid1(VALU_DEP_2)
	v_subrev_nc_u32_e32 v53, 28, v52
	v_sub_nc_u32_e32 v52, 29, v52
	v_lshlrev_b64 v[53:54], v53, v[0:1]
	s_delay_alu instid0(VALU_DEP_1)
	v_and_b32_e32 v0, 7, v53
; %bb.700:                              ;   in Loop: Header=BB361_671 Depth=1
	s_or_b32 exec_lo, exec_lo, s13
	v_lshlrev_b32_e32 v14, 8, v14
	v_lshl_add_u32 v52, v52, 10, 0x2000
	s_delay_alu instid0(VALU_DEP_1) | instskip(NEXT) | instid1(VALU_DEP_1)
	v_and_or_b32 v14, 0x8000, v14, v52
	v_lshl_or_b32 v0, v0, 7, v14
	s_delay_alu instid0(VALU_DEP_1)
	v_cvt_f32_f16_e32 v52, v0
.LBB361_701:                            ;   in Loop: Header=BB361_671 Depth=1
	s_or_b32 exec_lo, exec_lo, s12
.LBB361_702:                            ;   in Loop: Header=BB361_671 Depth=1
	s_delay_alu instid0(SALU_CYCLE_1)
	s_or_b32 exec_lo, exec_lo, s10
.LBB361_703:                            ;   in Loop: Header=BB361_671 Depth=1
	s_delay_alu instid0(SALU_CYCLE_1) | instskip(SKIP_3) | instid1(VALU_DEP_2)
	s_or_b32 exec_lo, exec_lo, s0
	v_and_b32_e32 v14, 0xff, v12
	v_mov_b32_e32 v0, v12
	s_mov_b32 s0, exec_lo
	v_cmpx_ne_u16_e32 0, v14
	s_cbranch_execz .LBB361_711
; %bb.704:                              ;   in Loop: Header=BB361_671 Depth=1
	v_bfrev_b32_e32 v13, 1
	s_mov_b32 s10, exec_lo
	v_cmpx_ne_u16_e32 0x80, v14
	s_cbranch_execz .LBB361_710
; %bb.705:                              ;   in Loop: Header=BB361_671 Depth=1
	v_and_b32_e32 v14, 0x7f, v12
	v_mov_b32_e32 v13, 0x7fc02000
	s_mov_b32 s12, exec_lo
	s_delay_alu instid0(VALU_DEP_2)
	v_cmpx_ne_u32_e32 0x7f, v14
	s_cbranch_execz .LBB361_709
; %bb.706:                              ;   in Loop: Header=BB361_671 Depth=1
	v_lshrrev_b32_e32 v53, 3, v14
	v_cmp_gt_u32_e32 vcc_lo, 8, v14
	v_dual_mov_b32 v14, v1 :: v_dual_mov_b32 v13, v0
	s_and_saveexec_b32 s13, vcc_lo
; %bb.707:                              ;   in Loop: Header=BB361_671 Depth=1
	v_and_b32_e32 v13, 7, v12
	s_delay_alu instid0(VALU_DEP_1) | instskip(NEXT) | instid1(VALU_DEP_1)
	v_clz_i32_u32_e32 v13, v13
	v_min_u32_e32 v53, 32, v13
	s_delay_alu instid0(VALU_DEP_1) | instskip(SKIP_1) | instid1(VALU_DEP_2)
	v_subrev_nc_u32_e32 v13, 28, v53
	v_sub_nc_u32_e32 v53, 29, v53
	v_lshlrev_b64 v[13:14], v13, v[0:1]
; %bb.708:                              ;   in Loop: Header=BB361_671 Depth=1
	s_or_b32 exec_lo, exec_lo, s13
	v_lshlrev_b32_e32 v14, 8, v12
	s_delay_alu instid0(VALU_DEP_3) | instskip(NEXT) | instid1(VALU_DEP_3)
	v_lshl_add_u32 v53, v53, 10, 0x2000
	v_lshlrev_b32_e32 v13, 7, v13
	s_delay_alu instid0(VALU_DEP_2) | instskip(NEXT) | instid1(VALU_DEP_1)
	v_and_or_b32 v14, 0x8000, v14, v53
	v_and_or_b32 v13, 0x380, v13, v14
	s_delay_alu instid0(VALU_DEP_1)
	v_cvt_f32_f16_e32 v13, v13
.LBB361_709:                            ;   in Loop: Header=BB361_671 Depth=1
	s_or_b32 exec_lo, exec_lo, s12
.LBB361_710:                            ;   in Loop: Header=BB361_671 Depth=1
	s_delay_alu instid0(SALU_CYCLE_1)
	s_or_b32 exec_lo, exec_lo, s10
.LBB361_711:                            ;   in Loop: Header=BB361_671 Depth=1
	s_delay_alu instid0(SALU_CYCLE_1) | instskip(SKIP_3) | instid1(VALU_DEP_2)
	s_or_b32 exec_lo, exec_lo, s0
	v_lshrrev_b16 v0, 8, v0
	v_dual_mov_b32 v14, 0 :: v_dual_mov_b32 v53, 0
	s_mov_b32 s0, exec_lo
	v_cmpx_ne_u16_e32 0, v0
	s_cbranch_execz .LBB361_719
; %bb.712:                              ;   in Loop: Header=BB361_671 Depth=1
	v_bfrev_b32_e32 v53, 1
	s_mov_b32 s10, exec_lo
	v_cmpx_ne_u16_e32 0x80, v0
	s_cbranch_execz .LBB361_718
; %bb.713:                              ;   in Loop: Header=BB361_671 Depth=1
	v_and_b32_e32 v54, 0xffff, v0
	v_mov_b32_e32 v53, 0x7fc02000
	s_mov_b32 s12, exec_lo
	s_delay_alu instid0(VALU_DEP_2) | instskip(NEXT) | instid1(VALU_DEP_1)
	v_and_b32_e32 v71, 0x7f, v54
	v_cmpx_ne_u32_e32 0x7f, v71
	s_cbranch_execz .LBB361_717
; %bb.714:                              ;   in Loop: Header=BB361_671 Depth=1
	v_and_b32_e32 v0, 7, v54
	v_lshrrev_b32_e32 v53, 3, v71
	s_mov_b32 s13, exec_lo
	v_cmpx_gt_u32_e32 8, v71
; %bb.715:                              ;   in Loop: Header=BB361_671 Depth=1
	s_delay_alu instid0(VALU_DEP_3) | instskip(NEXT) | instid1(VALU_DEP_1)
	v_clz_i32_u32_e32 v53, v0
	v_min_u32_e32 v53, 32, v53
	s_delay_alu instid0(VALU_DEP_1) | instskip(SKIP_1) | instid1(VALU_DEP_2)
	v_subrev_nc_u32_e32 v71, 28, v53
	v_sub_nc_u32_e32 v53, 29, v53
	v_lshlrev_b64 v[80:81], v71, v[0:1]
	s_delay_alu instid0(VALU_DEP_1)
	v_and_b32_e32 v0, 7, v80
; %bb.716:                              ;   in Loop: Header=BB361_671 Depth=1
	s_or_b32 exec_lo, exec_lo, s13
	v_lshlrev_b32_e32 v54, 8, v54
	v_lshl_add_u32 v53, v53, 10, 0x2000
	s_delay_alu instid0(VALU_DEP_1) | instskip(NEXT) | instid1(VALU_DEP_1)
	v_and_or_b32 v53, 0x8000, v54, v53
	v_lshl_or_b32 v0, v0, 7, v53
	s_delay_alu instid0(VALU_DEP_1)
	v_cvt_f32_f16_e32 v53, v0
.LBB361_717:                            ;   in Loop: Header=BB361_671 Depth=1
	s_or_b32 exec_lo, exec_lo, s12
.LBB361_718:                            ;   in Loop: Header=BB361_671 Depth=1
	s_delay_alu instid0(SALU_CYCLE_1)
	s_or_b32 exec_lo, exec_lo, s10
.LBB361_719:                            ;   in Loop: Header=BB361_671 Depth=1
	s_delay_alu instid0(SALU_CYCLE_1) | instskip(SKIP_2) | instid1(VALU_DEP_1)
	s_or_b32 exec_lo, exec_lo, s0
	v_lshrrev_b32_e32 v54, 16, v12
	s_mov_b32 s0, exec_lo
	v_and_b32_e32 v0, 0xff, v54
	s_delay_alu instid0(VALU_DEP_1)
	v_cmpx_ne_u16_e32 0, v0
	s_cbranch_execz .LBB361_727
; %bb.720:                              ;   in Loop: Header=BB361_671 Depth=1
	v_bfrev_b32_e32 v14, 1
	s_mov_b32 s10, exec_lo
	v_cmpx_ne_u16_e32 0x80, v0
	s_cbranch_execz .LBB361_726
; %bb.721:                              ;   in Loop: Header=BB361_671 Depth=1
	v_bfe_u32 v71, v12, 16, 7
	v_mov_b32_e32 v14, 0x7fc02000
	s_mov_b32 s12, exec_lo
	s_delay_alu instid0(VALU_DEP_2)
	v_cmpx_ne_u32_e32 0x7f, v71
	s_cbranch_execz .LBB361_725
; %bb.722:                              ;   in Loop: Header=BB361_671 Depth=1
	v_and_b32_e32 v0, 7, v54
	v_lshrrev_b32_e32 v14, 3, v71
	s_mov_b32 s13, exec_lo
	v_cmpx_gt_u32_e32 8, v71
; %bb.723:                              ;   in Loop: Header=BB361_671 Depth=1
	s_delay_alu instid0(VALU_DEP_3) | instskip(NEXT) | instid1(VALU_DEP_1)
	v_clz_i32_u32_e32 v14, v0
	v_min_u32_e32 v14, 32, v14
	s_delay_alu instid0(VALU_DEP_1) | instskip(SKIP_1) | instid1(VALU_DEP_2)
	v_subrev_nc_u32_e32 v71, 28, v14
	v_sub_nc_u32_e32 v14, 29, v14
	v_lshlrev_b64 v[80:81], v71, v[0:1]
	s_delay_alu instid0(VALU_DEP_1)
	v_and_b32_e32 v0, 7, v80
; %bb.724:                              ;   in Loop: Header=BB361_671 Depth=1
	s_or_b32 exec_lo, exec_lo, s13
	v_lshlrev_b32_e32 v54, 8, v54
	v_lshl_add_u32 v14, v14, 10, 0x2000
	s_delay_alu instid0(VALU_DEP_1) | instskip(NEXT) | instid1(VALU_DEP_1)
	v_and_or_b32 v14, 0x8000, v54, v14
	v_lshl_or_b32 v0, v0, 7, v14
	s_delay_alu instid0(VALU_DEP_1)
	v_cvt_f32_f16_e32 v14, v0
.LBB361_725:                            ;   in Loop: Header=BB361_671 Depth=1
	s_or_b32 exec_lo, exec_lo, s12
.LBB361_726:                            ;   in Loop: Header=BB361_671 Depth=1
	s_delay_alu instid0(SALU_CYCLE_1)
	s_or_b32 exec_lo, exec_lo, s10
.LBB361_727:                            ;   in Loop: Header=BB361_671 Depth=1
	s_delay_alu instid0(SALU_CYCLE_1)
	s_or_b32 exec_lo, exec_lo, s0
	v_mov_b32_e32 v0, 0
	s_mov_b32 s0, exec_lo
	v_cmpx_lt_u64_e64 s[8:9], v[11:12]
	s_cbranch_execz .LBB361_735
; %bb.728:                              ;   in Loop: Header=BB361_671 Depth=1
	v_lshrrev_b32_e32 v11, 24, v12
	v_bfrev_b32_e32 v0, 1
	s_mov_b32 s10, exec_lo
	s_delay_alu instid0(VALU_DEP_2)
	v_cmpx_ne_u32_e32 0x80, v11
	s_cbranch_execz .LBB361_734
; %bb.729:                              ;   in Loop: Header=BB361_671 Depth=1
	v_and_b32_e32 v54, 0x7f, v11
	v_mov_b32_e32 v0, 0x7fc02000
	s_mov_b32 s12, exec_lo
	s_delay_alu instid0(VALU_DEP_2)
	v_cmpx_ne_u32_e32 0x7f, v54
	s_cbranch_execz .LBB361_733
; %bb.730:                              ;   in Loop: Header=BB361_671 Depth=1
	v_and_b32_e32 v0, 7, v11
	v_lshrrev_b32_e32 v12, 3, v54
	s_mov_b32 s13, exec_lo
	v_cmpx_gt_u32_e32 8, v54
; %bb.731:                              ;   in Loop: Header=BB361_671 Depth=1
	s_delay_alu instid0(VALU_DEP_3) | instskip(NEXT) | instid1(VALU_DEP_1)
	v_clz_i32_u32_e32 v12, v0
	v_min_u32_e32 v12, 32, v12
	s_delay_alu instid0(VALU_DEP_1) | instskip(SKIP_1) | instid1(VALU_DEP_2)
	v_subrev_nc_u32_e32 v54, 28, v12
	v_sub_nc_u32_e32 v12, 29, v12
	v_lshlrev_b64 v[80:81], v54, v[0:1]
	s_delay_alu instid0(VALU_DEP_1)
	v_and_b32_e32 v0, 7, v80
; %bb.732:                              ;   in Loop: Header=BB361_671 Depth=1
	s_or_b32 exec_lo, exec_lo, s13
	v_lshlrev_b32_e32 v11, 8, v11
	v_lshl_add_u32 v12, v12, 10, 0x2000
	s_delay_alu instid0(VALU_DEP_1) | instskip(NEXT) | instid1(VALU_DEP_1)
	v_and_or_b32 v11, 0x8000, v11, v12
	v_lshl_or_b32 v0, v0, 7, v11
	s_delay_alu instid0(VALU_DEP_1)
	v_cvt_f32_f16_e32 v0, v0
.LBB361_733:                            ;   in Loop: Header=BB361_671 Depth=1
	s_or_b32 exec_lo, exec_lo, s12
.LBB361_734:                            ;   in Loop: Header=BB361_671 Depth=1
	s_delay_alu instid0(SALU_CYCLE_1)
	s_or_b32 exec_lo, exec_lo, s10
.LBB361_735:                            ;   in Loop: Header=BB361_671 Depth=1
	s_delay_alu instid0(SALU_CYCLE_1)
	s_or_b32 exec_lo, exec_lo, s0
	s_waitcnt vmcnt(0) lgkmcnt(0)
	v_fma_mixlo_f16 v11, v17, v52, 0
	v_fma_mixlo_f16 v12, v17, v51, 0
	;; [unrolled: 1-line block ×8, first 2 shown]
	v_lshlrev_b32_e32 v11, 16, v11
	v_and_b32_e32 v12, 0xffff, v12
	v_lshlrev_b32_e32 v50, 16, v50
	v_and_b32_e32 v14, 0xffff, v38
	;; [unrolled: 2-line block ×4, first 2 shown]
	v_cmp_eq_u32_e32 vcc_lo, v39, v6
	v_or_b32_e32 v12, v11, v12
	v_or_b32_e32 v14, v50, v14
	;; [unrolled: 1-line block ×4, first 2 shown]
	v_add_nc_u32_e32 v54, 1, v15
	v_or_b32_e32 v53, 3, v15
	v_or_b32_e32 v52, 2, v15
	;; [unrolled: 1-line block ×6, first 2 shown]
	s_and_saveexec_b32 s10, vcc_lo
	s_cbranch_execz .LBB361_737
; %bb.736:                              ;   in Loop: Header=BB361_671 Depth=1
	v_cmp_lt_i32_e64 s0, v15, v35
	v_lshrrev_b32_e32 v71, 16, v14
	v_lshrrev_b32_e32 v80, 16, v12
	;; [unrolled: 1-line block ×4, first 2 shown]
	v_cndmask_b32_e64 v14, 0, v14, s0
	v_cmp_lt_i32_e64 s0, v54, v48
	s_delay_alu instid0(VALU_DEP_1) | instskip(SKIP_1) | instid1(VALU_DEP_2)
	v_cndmask_b32_e64 v71, 0, v71, s0
	v_cmp_lt_i32_e64 s0, v53, v48
	v_perm_b32 v14, v71, v14, 0x5040100
	s_delay_alu instid0(VALU_DEP_2) | instskip(SKIP_1) | instid1(VALU_DEP_1)
	v_cndmask_b32_e64 v80, 0, v80, s0
	v_cmp_lt_i32_e64 s0, v52, v35
	v_cndmask_b32_e64 v12, 0, v12, s0
	v_cmp_lt_i32_e64 s0, v51, v48
	s_delay_alu instid0(VALU_DEP_2) | instskip(NEXT) | instid1(VALU_DEP_2)
	v_perm_b32 v12, v80, v12, 0x5040100
	v_cndmask_b32_e64 v81, 0, v81, s0
	v_cmp_lt_i32_e64 s0, v50, v35
	s_delay_alu instid0(VALU_DEP_1) | instskip(SKIP_1) | instid1(VALU_DEP_2)
	v_cndmask_b32_e64 v0, 0, v0, s0
	v_cmp_lt_i32_e64 s0, v38, v48
	v_perm_b32 v0, v81, v0, 0x5040100
	s_delay_alu instid0(VALU_DEP_2) | instskip(SKIP_1) | instid1(VALU_DEP_1)
	v_cndmask_b32_e64 v11, 0, v11, s0
	v_cmp_lt_i32_e64 s0, v17, v35
	v_cndmask_b32_e64 v13, 0, v13, s0
	s_delay_alu instid0(VALU_DEP_1)
	v_perm_b32 v11, v11, v13, 0x5040100
.LBB361_737:                            ;   in Loop: Header=BB361_671 Depth=1
	s_or_b32 exec_lo, exec_lo, s10
	v_and_b32_e32 v13, 0xffff, v55
	v_and_b32_e32 v55, 0xffff, v66
	;; [unrolled: 1-line block ×4, first 2 shown]
	s_mov_b32 s10, exec_lo
	s_delay_alu instid0(VALU_DEP_3) | instskip(NEXT) | instid1(VALU_DEP_2)
	v_lshl_or_b32 v66, v65, 16, v55
	v_lshl_or_b32 v55, v69, 16, v70
	v_mov_b32_e32 v70, 0
	v_lshl_or_b32 v68, v64, 16, v13
	v_lshl_or_b32 v64, v67, 16, v71
	v_mov_b32_e32 v71, 0
	;;#ASMSTART
	v_pk_mul_f16 v13, v68, v14;

	;;#ASMEND
	;;#ASMSTART
	v_pk_mul_f16 v12, v66, v12;

	;;#ASMEND
	;; [unrolled: 4-line block ×4, first 2 shown]
	;;#ASMSTART
	v_pk_add_f16 v12, v13, v12;

	;;#ASMEND
	;;#ASMSTART
	v_pk_add_f16 v0, v12, v0;

	;;#ASMEND
	;; [unrolled: 4-line block ×3, first 2 shown]
	v_and_b32_e32 v11, 0xffff, v0
	v_lshrrev_b32_e32 v0, 16, v0
	;;#ASMSTART
	v_cvt_f32_f16 v65, v11;
	;;#ASMEND
	;;#ASMSTART
	v_cvt_f32_f16 v67, v0;
	;;#ASMEND
	flat_load_b64 v[11:12], v[9:10] offset:256
	flat_load_b32 v69, v[26:27]
	s_waitcnt vmcnt(1) lgkmcnt(1)
	v_and_b32_e32 v0, 0xff, v11
	s_delay_alu instid0(VALU_DEP_1)
	v_cmpx_ne_u16_e32 0, v0
	s_cbranch_execz .LBB361_745
; %bb.738:                              ;   in Loop: Header=BB361_671 Depth=1
	v_bfrev_b32_e32 v70, 1
	s_mov_b32 s12, exec_lo
	v_cmpx_ne_u16_e32 0x80, v0
	s_cbranch_execz .LBB361_744
; %bb.739:                              ;   in Loop: Header=BB361_671 Depth=1
	v_and_b32_e32 v13, 0x7f, v11
	v_mov_b32_e32 v70, 0x7fc02000
	s_mov_b32 s13, exec_lo
	s_delay_alu instid0(VALU_DEP_2)
	v_cmpx_ne_u32_e32 0x7f, v13
	s_cbranch_execz .LBB361_743
; %bb.740:                              ;   in Loop: Header=BB361_671 Depth=1
	v_lshrrev_b32_e32 v0, 3, v13
	v_cmp_gt_u32_e64 s0, 8, v13
	v_dual_mov_b32 v14, v12 :: v_dual_mov_b32 v13, v11
	s_delay_alu instid0(VALU_DEP_2)
	s_and_saveexec_b32 s15, s0
; %bb.741:                              ;   in Loop: Header=BB361_671 Depth=1
	v_and_b32_e32 v0, 7, v11
	s_delay_alu instid0(VALU_DEP_1) | instskip(NEXT) | instid1(VALU_DEP_1)
	v_clz_i32_u32_e32 v0, v0
	v_min_u32_e32 v0, 32, v0
	s_delay_alu instid0(VALU_DEP_1) | instskip(SKIP_1) | instid1(VALU_DEP_2)
	v_subrev_nc_u32_e32 v13, 28, v0
	v_sub_nc_u32_e32 v0, 29, v0
	v_lshlrev_b64 v[13:14], v13, v[11:12]
; %bb.742:                              ;   in Loop: Header=BB361_671 Depth=1
	s_or_b32 exec_lo, exec_lo, s15
	v_lshlrev_b32_e32 v14, 8, v11
	s_delay_alu instid0(VALU_DEP_3) | instskip(NEXT) | instid1(VALU_DEP_3)
	v_lshl_add_u32 v0, v0, 10, 0x2000
	v_lshlrev_b32_e32 v13, 7, v13
	s_delay_alu instid0(VALU_DEP_2) | instskip(NEXT) | instid1(VALU_DEP_1)
	v_and_or_b32 v0, 0x8000, v14, v0
	v_and_or_b32 v0, 0x380, v13, v0
	s_delay_alu instid0(VALU_DEP_1)
	v_cvt_f32_f16_e32 v70, v0
.LBB361_743:                            ;   in Loop: Header=BB361_671 Depth=1
	s_or_b32 exec_lo, exec_lo, s13
.LBB361_744:                            ;   in Loop: Header=BB361_671 Depth=1
	s_delay_alu instid0(SALU_CYCLE_1)
	s_or_b32 exec_lo, exec_lo, s12
.LBB361_745:                            ;   in Loop: Header=BB361_671 Depth=1
	s_delay_alu instid0(SALU_CYCLE_1) | instskip(SKIP_2) | instid1(VALU_DEP_1)
	s_or_b32 exec_lo, exec_lo, s10
	v_lshrrev_b16 v0, 8, v11
	s_mov_b32 s10, exec_lo
	v_cmpx_ne_u16_e32 0, v0
	s_cbranch_execz .LBB361_753
; %bb.746:                              ;   in Loop: Header=BB361_671 Depth=1
	v_bfrev_b32_e32 v71, 1
	s_mov_b32 s12, exec_lo
	v_cmpx_ne_u16_e32 0x80, v0
	s_cbranch_execz .LBB361_752
; %bb.747:                              ;   in Loop: Header=BB361_671 Depth=1
	v_and_b32_e32 v13, 0xffff, v0
	v_mov_b32_e32 v71, 0x7fc02000
	s_mov_b32 s13, exec_lo
	s_delay_alu instid0(VALU_DEP_2) | instskip(NEXT) | instid1(VALU_DEP_1)
	v_and_b32_e32 v80, 0x7f, v13
	v_cmpx_ne_u32_e32 0x7f, v80
	s_cbranch_execz .LBB361_751
; %bb.748:                              ;   in Loop: Header=BB361_671 Depth=1
	v_and_b32_e32 v0, 7, v13
	v_lshrrev_b32_e32 v14, 3, v80
	s_mov_b32 s15, exec_lo
	v_cmpx_gt_u32_e32 8, v80
; %bb.749:                              ;   in Loop: Header=BB361_671 Depth=1
	s_delay_alu instid0(VALU_DEP_3) | instskip(NEXT) | instid1(VALU_DEP_1)
	v_clz_i32_u32_e32 v14, v0
	v_min_u32_e32 v14, 32, v14
	s_delay_alu instid0(VALU_DEP_1) | instskip(SKIP_1) | instid1(VALU_DEP_2)
	v_subrev_nc_u32_e32 v71, 28, v14
	v_sub_nc_u32_e32 v14, 29, v14
	v_lshlrev_b64 v[80:81], v71, v[0:1]
	s_delay_alu instid0(VALU_DEP_1)
	v_and_b32_e32 v0, 7, v80
; %bb.750:                              ;   in Loop: Header=BB361_671 Depth=1
	s_or_b32 exec_lo, exec_lo, s15
	v_lshlrev_b32_e32 v13, 8, v13
	v_lshl_add_u32 v14, v14, 10, 0x2000
	s_delay_alu instid0(VALU_DEP_1) | instskip(NEXT) | instid1(VALU_DEP_1)
	v_and_or_b32 v13, 0x8000, v13, v14
	v_lshl_or_b32 v0, v0, 7, v13
	s_delay_alu instid0(VALU_DEP_1)
	v_cvt_f32_f16_e32 v71, v0
.LBB361_751:                            ;   in Loop: Header=BB361_671 Depth=1
	s_or_b32 exec_lo, exec_lo, s13
.LBB361_752:                            ;   in Loop: Header=BB361_671 Depth=1
	s_delay_alu instid0(SALU_CYCLE_1)
	s_or_b32 exec_lo, exec_lo, s12
.LBB361_753:                            ;   in Loop: Header=BB361_671 Depth=1
	s_delay_alu instid0(SALU_CYCLE_1) | instskip(SKIP_3) | instid1(VALU_DEP_2)
	s_or_b32 exec_lo, exec_lo, s10
	v_lshrrev_b32_e32 v13, 16, v11
	v_mov_b32_e32 v80, 0
	s_mov_b32 s10, exec_lo
	v_dual_mov_b32 v81, 0 :: v_dual_and_b32 v0, 0xff, v13
	s_delay_alu instid0(VALU_DEP_1)
	v_cmpx_ne_u16_e32 0, v0
	s_cbranch_execz .LBB361_761
; %bb.754:                              ;   in Loop: Header=BB361_671 Depth=1
	v_bfrev_b32_e32 v80, 1
	s_mov_b32 s12, exec_lo
	v_cmpx_ne_u16_e32 0x80, v0
	s_cbranch_execz .LBB361_760
; %bb.755:                              ;   in Loop: Header=BB361_671 Depth=1
	v_bfe_u32 v82, v11, 16, 7
	v_mov_b32_e32 v80, 0x7fc02000
	s_mov_b32 s13, exec_lo
	s_delay_alu instid0(VALU_DEP_2)
	v_cmpx_ne_u32_e32 0x7f, v82
	s_cbranch_execz .LBB361_759
; %bb.756:                              ;   in Loop: Header=BB361_671 Depth=1
	v_and_b32_e32 v0, 7, v13
	v_lshrrev_b32_e32 v14, 3, v82
	s_mov_b32 s15, exec_lo
	v_cmpx_gt_u32_e32 8, v82
; %bb.757:                              ;   in Loop: Header=BB361_671 Depth=1
	s_delay_alu instid0(VALU_DEP_3) | instskip(NEXT) | instid1(VALU_DEP_1)
	v_clz_i32_u32_e32 v14, v0
	v_min_u32_e32 v14, 32, v14
	s_delay_alu instid0(VALU_DEP_1) | instskip(SKIP_1) | instid1(VALU_DEP_2)
	v_subrev_nc_u32_e32 v80, 28, v14
	v_sub_nc_u32_e32 v14, 29, v14
	v_lshlrev_b64 v[82:83], v80, v[0:1]
	s_delay_alu instid0(VALU_DEP_1)
	v_and_b32_e32 v0, 7, v82
; %bb.758:                              ;   in Loop: Header=BB361_671 Depth=1
	s_or_b32 exec_lo, exec_lo, s15
	v_lshlrev_b32_e32 v13, 8, v13
	v_lshl_add_u32 v14, v14, 10, 0x2000
	s_delay_alu instid0(VALU_DEP_1) | instskip(NEXT) | instid1(VALU_DEP_1)
	v_and_or_b32 v13, 0x8000, v13, v14
	v_lshl_or_b32 v0, v0, 7, v13
	s_delay_alu instid0(VALU_DEP_1)
	v_cvt_f32_f16_e32 v80, v0
.LBB361_759:                            ;   in Loop: Header=BB361_671 Depth=1
	s_or_b32 exec_lo, exec_lo, s13
.LBB361_760:                            ;   in Loop: Header=BB361_671 Depth=1
	s_delay_alu instid0(SALU_CYCLE_1)
	s_or_b32 exec_lo, exec_lo, s12
.LBB361_761:                            ;   in Loop: Header=BB361_671 Depth=1
	s_delay_alu instid0(SALU_CYCLE_1) | instskip(NEXT) | instid1(SALU_CYCLE_1)
	s_or_b32 exec_lo, exec_lo, s10
	s_mov_b32 s10, exec_lo
	v_cmpx_lt_u32_e32 0xffffff, v11
	s_cbranch_execz .LBB361_769
; %bb.762:                              ;   in Loop: Header=BB361_671 Depth=1
	v_lshrrev_b32_e32 v13, 24, v11
	v_bfrev_b32_e32 v81, 1
	s_mov_b32 s12, exec_lo
	s_delay_alu instid0(VALU_DEP_2)
	v_cmpx_ne_u32_e32 0x80, v13
	s_cbranch_execz .LBB361_768
; %bb.763:                              ;   in Loop: Header=BB361_671 Depth=1
	v_and_b32_e32 v82, 0x7f, v13
	v_mov_b32_e32 v81, 0x7fc02000
	s_mov_b32 s13, exec_lo
	s_delay_alu instid0(VALU_DEP_2)
	v_cmpx_ne_u32_e32 0x7f, v82
	s_cbranch_execz .LBB361_767
; %bb.764:                              ;   in Loop: Header=BB361_671 Depth=1
	v_and_b32_e32 v0, 7, v13
	v_lshrrev_b32_e32 v14, 3, v82
	s_mov_b32 s15, exec_lo
	v_cmpx_gt_u32_e32 8, v82
; %bb.765:                              ;   in Loop: Header=BB361_671 Depth=1
	s_delay_alu instid0(VALU_DEP_3) | instskip(NEXT) | instid1(VALU_DEP_1)
	v_clz_i32_u32_e32 v14, v0
	v_min_u32_e32 v14, 32, v14
	s_delay_alu instid0(VALU_DEP_1) | instskip(SKIP_1) | instid1(VALU_DEP_2)
	v_subrev_nc_u32_e32 v81, 28, v14
	v_sub_nc_u32_e32 v14, 29, v14
	v_lshlrev_b64 v[81:82], v81, v[0:1]
	s_delay_alu instid0(VALU_DEP_1)
	v_and_b32_e32 v0, 7, v81
; %bb.766:                              ;   in Loop: Header=BB361_671 Depth=1
	s_or_b32 exec_lo, exec_lo, s15
	v_lshlrev_b32_e32 v13, 8, v13
	v_lshl_add_u32 v14, v14, 10, 0x2000
	s_delay_alu instid0(VALU_DEP_1) | instskip(NEXT) | instid1(VALU_DEP_1)
	v_and_or_b32 v13, 0x8000, v13, v14
	v_lshl_or_b32 v0, v0, 7, v13
	s_delay_alu instid0(VALU_DEP_1)
	v_cvt_f32_f16_e32 v81, v0
.LBB361_767:                            ;   in Loop: Header=BB361_671 Depth=1
	s_or_b32 exec_lo, exec_lo, s13
.LBB361_768:                            ;   in Loop: Header=BB361_671 Depth=1
	s_delay_alu instid0(SALU_CYCLE_1)
	s_or_b32 exec_lo, exec_lo, s12
.LBB361_769:                            ;   in Loop: Header=BB361_671 Depth=1
	s_delay_alu instid0(SALU_CYCLE_1) | instskip(SKIP_4) | instid1(VALU_DEP_3)
	s_or_b32 exec_lo, exec_lo, s10
	v_dual_mov_b32 v13, 0 :: v_dual_and_b32 v14, 0xff, v12
	v_mov_b32_e32 v0, v12
	v_mov_b32_e32 v82, 0
	s_mov_b32 s10, exec_lo
	v_cmpx_ne_u16_e32 0, v14
	s_cbranch_execz .LBB361_777
; %bb.770:                              ;   in Loop: Header=BB361_671 Depth=1
	v_bfrev_b32_e32 v13, 1
	s_mov_b32 s12, exec_lo
	v_cmpx_ne_u16_e32 0x80, v14
	s_cbranch_execz .LBB361_776
; %bb.771:                              ;   in Loop: Header=BB361_671 Depth=1
	v_and_b32_e32 v14, 0x7f, v12
	v_mov_b32_e32 v13, 0x7fc02000
	s_mov_b32 s13, exec_lo
	s_delay_alu instid0(VALU_DEP_2)
	v_cmpx_ne_u32_e32 0x7f, v14
	s_cbranch_execz .LBB361_775
; %bb.772:                              ;   in Loop: Header=BB361_671 Depth=1
	v_lshrrev_b32_e32 v83, 3, v14
	v_cmp_gt_u32_e64 s0, 8, v14
	v_dual_mov_b32 v14, v1 :: v_dual_mov_b32 v13, v0
	s_delay_alu instid0(VALU_DEP_2)
	s_and_saveexec_b32 s15, s0
; %bb.773:                              ;   in Loop: Header=BB361_671 Depth=1
	v_and_b32_e32 v13, 7, v12
	s_delay_alu instid0(VALU_DEP_1) | instskip(NEXT) | instid1(VALU_DEP_1)
	v_clz_i32_u32_e32 v13, v13
	v_min_u32_e32 v83, 32, v13
	s_delay_alu instid0(VALU_DEP_1) | instskip(SKIP_1) | instid1(VALU_DEP_2)
	v_subrev_nc_u32_e32 v13, 28, v83
	v_sub_nc_u32_e32 v83, 29, v83
	v_lshlrev_b64 v[13:14], v13, v[0:1]
; %bb.774:                              ;   in Loop: Header=BB361_671 Depth=1
	s_or_b32 exec_lo, exec_lo, s15
	v_lshlrev_b32_e32 v14, 8, v12
	s_delay_alu instid0(VALU_DEP_3) | instskip(NEXT) | instid1(VALU_DEP_3)
	v_lshl_add_u32 v83, v83, 10, 0x2000
	v_lshlrev_b32_e32 v13, 7, v13
	s_delay_alu instid0(VALU_DEP_2) | instskip(NEXT) | instid1(VALU_DEP_1)
	v_and_or_b32 v14, 0x8000, v14, v83
	v_and_or_b32 v13, 0x380, v13, v14
	s_delay_alu instid0(VALU_DEP_1)
	v_cvt_f32_f16_e32 v13, v13
.LBB361_775:                            ;   in Loop: Header=BB361_671 Depth=1
	s_or_b32 exec_lo, exec_lo, s13
.LBB361_776:                            ;   in Loop: Header=BB361_671 Depth=1
	s_delay_alu instid0(SALU_CYCLE_1)
	s_or_b32 exec_lo, exec_lo, s12
.LBB361_777:                            ;   in Loop: Header=BB361_671 Depth=1
	s_delay_alu instid0(SALU_CYCLE_1) | instskip(SKIP_2) | instid1(VALU_DEP_1)
	s_or_b32 exec_lo, exec_lo, s10
	v_lshrrev_b16 v0, 8, v0
	s_mov_b32 s10, exec_lo
	v_cmpx_ne_u16_e32 0, v0
	s_cbranch_execz .LBB361_785
; %bb.778:                              ;   in Loop: Header=BB361_671 Depth=1
	v_bfrev_b32_e32 v82, 1
	s_mov_b32 s12, exec_lo
	v_cmpx_ne_u16_e32 0x80, v0
	s_cbranch_execz .LBB361_784
; %bb.779:                              ;   in Loop: Header=BB361_671 Depth=1
	v_and_b32_e32 v14, 0xffff, v0
	v_mov_b32_e32 v82, 0x7fc02000
	s_mov_b32 s13, exec_lo
	s_delay_alu instid0(VALU_DEP_2) | instskip(NEXT) | instid1(VALU_DEP_1)
	v_and_b32_e32 v83, 0x7f, v14
	v_cmpx_ne_u32_e32 0x7f, v83
	s_cbranch_execz .LBB361_783
; %bb.780:                              ;   in Loop: Header=BB361_671 Depth=1
	v_and_b32_e32 v0, 7, v14
	v_lshrrev_b32_e32 v82, 3, v83
	s_mov_b32 s15, exec_lo
	v_cmpx_gt_u32_e32 8, v83
; %bb.781:                              ;   in Loop: Header=BB361_671 Depth=1
	s_delay_alu instid0(VALU_DEP_3) | instskip(NEXT) | instid1(VALU_DEP_1)
	v_clz_i32_u32_e32 v82, v0
	v_min_u32_e32 v82, 32, v82
	s_delay_alu instid0(VALU_DEP_1) | instskip(SKIP_1) | instid1(VALU_DEP_2)
	v_subrev_nc_u32_e32 v83, 28, v82
	v_sub_nc_u32_e32 v82, 29, v82
	v_lshlrev_b64 v[83:84], v83, v[0:1]
	s_delay_alu instid0(VALU_DEP_1)
	v_and_b32_e32 v0, 7, v83
; %bb.782:                              ;   in Loop: Header=BB361_671 Depth=1
	s_or_b32 exec_lo, exec_lo, s15
	v_lshlrev_b32_e32 v14, 8, v14
	v_lshl_add_u32 v82, v82, 10, 0x2000
	s_delay_alu instid0(VALU_DEP_1) | instskip(NEXT) | instid1(VALU_DEP_1)
	v_and_or_b32 v14, 0x8000, v14, v82
	v_lshl_or_b32 v0, v0, 7, v14
	s_delay_alu instid0(VALU_DEP_1)
	v_cvt_f32_f16_e32 v82, v0
.LBB361_783:                            ;   in Loop: Header=BB361_671 Depth=1
	s_or_b32 exec_lo, exec_lo, s13
.LBB361_784:                            ;   in Loop: Header=BB361_671 Depth=1
	s_delay_alu instid0(SALU_CYCLE_1)
	s_or_b32 exec_lo, exec_lo, s12
.LBB361_785:                            ;   in Loop: Header=BB361_671 Depth=1
	s_delay_alu instid0(SALU_CYCLE_1) | instskip(SKIP_3) | instid1(VALU_DEP_2)
	s_or_b32 exec_lo, exec_lo, s10
	v_lshrrev_b32_e32 v84, 16, v12
	v_mov_b32_e32 v14, 0
	s_mov_b32 s10, exec_lo
	v_dual_mov_b32 v83, 0 :: v_dual_and_b32 v0, 0xff, v84
	s_delay_alu instid0(VALU_DEP_1)
	v_cmpx_ne_u16_e32 0, v0
	s_cbranch_execz .LBB361_793
; %bb.786:                              ;   in Loop: Header=BB361_671 Depth=1
	v_bfrev_b32_e32 v14, 1
	s_mov_b32 s12, exec_lo
	v_cmpx_ne_u16_e32 0x80, v0
	s_cbranch_execz .LBB361_792
; %bb.787:                              ;   in Loop: Header=BB361_671 Depth=1
	v_bfe_u32 v85, v12, 16, 7
	v_mov_b32_e32 v14, 0x7fc02000
	s_mov_b32 s13, exec_lo
	s_delay_alu instid0(VALU_DEP_2)
	v_cmpx_ne_u32_e32 0x7f, v85
	s_cbranch_execz .LBB361_791
; %bb.788:                              ;   in Loop: Header=BB361_671 Depth=1
	v_and_b32_e32 v0, 7, v84
	v_lshrrev_b32_e32 v14, 3, v85
	s_mov_b32 s15, exec_lo
	v_cmpx_gt_u32_e32 8, v85
; %bb.789:                              ;   in Loop: Header=BB361_671 Depth=1
	s_delay_alu instid0(VALU_DEP_3) | instskip(NEXT) | instid1(VALU_DEP_1)
	v_clz_i32_u32_e32 v14, v0
	v_min_u32_e32 v14, 32, v14
	s_delay_alu instid0(VALU_DEP_1) | instskip(SKIP_1) | instid1(VALU_DEP_2)
	v_subrev_nc_u32_e32 v85, 28, v14
	v_sub_nc_u32_e32 v14, 29, v14
	v_lshlrev_b64 v[85:86], v85, v[0:1]
	s_delay_alu instid0(VALU_DEP_1)
	v_and_b32_e32 v0, 7, v85
; %bb.790:                              ;   in Loop: Header=BB361_671 Depth=1
	s_or_b32 exec_lo, exec_lo, s15
	v_lshlrev_b32_e32 v84, 8, v84
	v_lshl_add_u32 v14, v14, 10, 0x2000
	s_delay_alu instid0(VALU_DEP_1) | instskip(NEXT) | instid1(VALU_DEP_1)
	v_and_or_b32 v14, 0x8000, v84, v14
	v_lshl_or_b32 v0, v0, 7, v14
	s_delay_alu instid0(VALU_DEP_1)
	v_cvt_f32_f16_e32 v14, v0
.LBB361_791:                            ;   in Loop: Header=BB361_671 Depth=1
	s_or_b32 exec_lo, exec_lo, s13
.LBB361_792:                            ;   in Loop: Header=BB361_671 Depth=1
	s_delay_alu instid0(SALU_CYCLE_1)
	s_or_b32 exec_lo, exec_lo, s12
.LBB361_793:                            ;   in Loop: Header=BB361_671 Depth=1
	s_delay_alu instid0(SALU_CYCLE_1) | instskip(NEXT) | instid1(SALU_CYCLE_1)
	s_or_b32 exec_lo, exec_lo, s10
	s_mov_b32 s10, exec_lo
	v_cmpx_lt_u64_e64 s[8:9], v[11:12]
	s_cbranch_execz .LBB361_801
; %bb.794:                              ;   in Loop: Header=BB361_671 Depth=1
	v_lshrrev_b32_e32 v11, 24, v12
	v_bfrev_b32_e32 v83, 1
	s_mov_b32 s12, exec_lo
	s_delay_alu instid0(VALU_DEP_2)
	v_cmpx_ne_u32_e32 0x80, v11
	s_cbranch_execz .LBB361_800
; %bb.795:                              ;   in Loop: Header=BB361_671 Depth=1
	v_and_b32_e32 v84, 0x7f, v11
	v_mov_b32_e32 v83, 0x7fc02000
	s_mov_b32 s13, exec_lo
	s_delay_alu instid0(VALU_DEP_2)
	v_cmpx_ne_u32_e32 0x7f, v84
	s_cbranch_execz .LBB361_799
; %bb.796:                              ;   in Loop: Header=BB361_671 Depth=1
	v_and_b32_e32 v0, 7, v11
	v_lshrrev_b32_e32 v12, 3, v84
	s_mov_b32 s15, exec_lo
	v_cmpx_gt_u32_e32 8, v84
; %bb.797:                              ;   in Loop: Header=BB361_671 Depth=1
	s_delay_alu instid0(VALU_DEP_3) | instskip(NEXT) | instid1(VALU_DEP_1)
	v_clz_i32_u32_e32 v12, v0
	v_min_u32_e32 v12, 32, v12
	s_delay_alu instid0(VALU_DEP_1) | instskip(SKIP_1) | instid1(VALU_DEP_2)
	v_subrev_nc_u32_e32 v83, 28, v12
	v_sub_nc_u32_e32 v12, 29, v12
	v_lshlrev_b64 v[83:84], v83, v[0:1]
	s_delay_alu instid0(VALU_DEP_1)
	v_and_b32_e32 v0, 7, v83
; %bb.798:                              ;   in Loop: Header=BB361_671 Depth=1
	s_or_b32 exec_lo, exec_lo, s15
	v_lshlrev_b32_e32 v11, 8, v11
	v_lshl_add_u32 v12, v12, 10, 0x2000
	s_delay_alu instid0(VALU_DEP_1) | instskip(NEXT) | instid1(VALU_DEP_1)
	v_and_or_b32 v11, 0x8000, v11, v12
	v_lshl_or_b32 v0, v0, 7, v11
	s_delay_alu instid0(VALU_DEP_1)
	v_cvt_f32_f16_e32 v83, v0
.LBB361_799:                            ;   in Loop: Header=BB361_671 Depth=1
	s_or_b32 exec_lo, exec_lo, s13
.LBB361_800:                            ;   in Loop: Header=BB361_671 Depth=1
	s_delay_alu instid0(SALU_CYCLE_1)
	s_or_b32 exec_lo, exec_lo, s12
.LBB361_801:                            ;   in Loop: Header=BB361_671 Depth=1
	s_delay_alu instid0(SALU_CYCLE_1)
	s_or_b32 exec_lo, exec_lo, s10
	s_waitcnt vmcnt(0) lgkmcnt(0)
	v_fma_mixlo_f16 v12, v69, v71, 0
	v_fma_mixlo_f16 v0, v69, v81, 0
	v_fma_mixlo_f16 v11, v69, v80, 0
	v_fma_mixlo_f16 v70, v69, v70, 0
	v_fma_mixlo_f16 v80, v69, v82, 0
	v_lshlrev_b32_e32 v71, 16, v12
	v_fma_mixlo_f16 v13, v69, v13, 0
	v_fma_mixlo_f16 v81, v69, v83, 0
	v_fma_mixlo_f16 v12, v69, v14, 0
	v_lshlrev_b32_e32 v0, 16, v0
	v_and_b32_e32 v11, 0xffff, v11
	v_and_b32_e32 v14, 0xffff, v70
	v_lshlrev_b32_e32 v69, 16, v80
	v_and_b32_e32 v70, 0xffff, v13
	v_lshlrev_b32_e32 v80, 16, v81
	v_and_b32_e32 v81, 0xffff, v12
	v_or_b32_e32 v13, v0, v11
	v_or_b32_e32 v14, v71, v14
	;; [unrolled: 1-line block ×3, first 2 shown]
	s_delay_alu instid0(VALU_DEP_4)
	v_or_b32_e32 v11, v80, v81
	s_and_saveexec_b32 s10, vcc_lo
	s_cbranch_execz .LBB361_803
; %bb.802:                              ;   in Loop: Header=BB361_671 Depth=1
	v_cmp_lt_i32_e64 s0, v15, v35
	v_lshrrev_b32_e32 v69, 16, v14
	v_lshrrev_b32_e32 v70, 16, v13
	;; [unrolled: 1-line block ×4, first 2 shown]
	v_cndmask_b32_e64 v14, 0, v14, s0
	v_cmp_lt_i32_e64 s0, v54, v48
	s_delay_alu instid0(VALU_DEP_1) | instskip(SKIP_1) | instid1(VALU_DEP_2)
	v_cndmask_b32_e64 v69, 0, v69, s0
	v_cmp_lt_i32_e64 s0, v53, v48
	v_perm_b32 v14, v69, v14, 0x5040100
	s_delay_alu instid0(VALU_DEP_2) | instskip(SKIP_1) | instid1(VALU_DEP_1)
	v_cndmask_b32_e64 v70, 0, v70, s0
	v_cmp_lt_i32_e64 s0, v52, v35
	v_cndmask_b32_e64 v13, 0, v13, s0
	v_cmp_lt_i32_e64 s0, v51, v48
	s_delay_alu instid0(VALU_DEP_2) | instskip(NEXT) | instid1(VALU_DEP_2)
	v_perm_b32 v13, v70, v13, 0x5040100
	v_cndmask_b32_e64 v71, 0, v71, s0
	v_cmp_lt_i32_e64 s0, v50, v35
	s_delay_alu instid0(VALU_DEP_1) | instskip(SKIP_1) | instid1(VALU_DEP_2)
	v_cndmask_b32_e64 v0, 0, v0, s0
	v_cmp_lt_i32_e64 s0, v38, v48
	v_perm_b32 v0, v71, v0, 0x5040100
	s_delay_alu instid0(VALU_DEP_2) | instskip(SKIP_1) | instid1(VALU_DEP_1)
	v_cndmask_b32_e64 v11, 0, v11, s0
	v_cmp_lt_i32_e64 s0, v17, v35
	v_cndmask_b32_e64 v12, 0, v12, s0
	s_delay_alu instid0(VALU_DEP_1)
	v_perm_b32 v11, v11, v12, 0x5040100
.LBB361_803:                            ;   in Loop: Header=BB361_671 Depth=1
	s_or_b32 exec_lo, exec_lo, s10
	;;#ASMSTART
	v_pk_mul_f16 v12, v68, v14;

	;;#ASMEND
	;;#ASMSTART
	v_pk_mul_f16 v13, v66, v13;

	;;#ASMEND
	;; [unrolled: 4-line block ×4, first 2 shown]
	;;#ASMSTART
	v_pk_add_f16 v12, v12, v13;

	;;#ASMEND
	;;#ASMSTART
	v_pk_add_f16 v0, v12, v0;

	;;#ASMEND
	;; [unrolled: 4-line block ×3, first 2 shown]
	v_dual_mov_b32 v80, 0 :: v_dual_and_b32 v11, 0xffff, v0
	v_lshrrev_b32_e32 v0, 16, v0
	;;#ASMSTART
	v_cvt_f32_f16 v69, v11;
	;;#ASMEND
	;;#ASMSTART
	v_cvt_f32_f16 v70, v0;
	;;#ASMEND
	flat_load_b64 v[11:12], v[9:10] offset:512
	flat_load_b32 v71, v[26:27]
	s_mov_b32 s10, exec_lo
	s_waitcnt vmcnt(1) lgkmcnt(1)
	v_dual_mov_b32 v81, 0 :: v_dual_and_b32 v0, 0xff, v11
	s_delay_alu instid0(VALU_DEP_1)
	v_cmpx_ne_u16_e32 0, v0
	s_cbranch_execz .LBB361_811
; %bb.804:                              ;   in Loop: Header=BB361_671 Depth=1
	v_bfrev_b32_e32 v80, 1
	s_mov_b32 s12, exec_lo
	v_cmpx_ne_u16_e32 0x80, v0
	s_cbranch_execz .LBB361_810
; %bb.805:                              ;   in Loop: Header=BB361_671 Depth=1
	v_and_b32_e32 v13, 0x7f, v11
	v_mov_b32_e32 v80, 0x7fc02000
	s_mov_b32 s13, exec_lo
	s_delay_alu instid0(VALU_DEP_2)
	v_cmpx_ne_u32_e32 0x7f, v13
	s_cbranch_execz .LBB361_809
; %bb.806:                              ;   in Loop: Header=BB361_671 Depth=1
	v_lshrrev_b32_e32 v0, 3, v13
	v_cmp_gt_u32_e64 s0, 8, v13
	v_dual_mov_b32 v14, v12 :: v_dual_mov_b32 v13, v11
	s_delay_alu instid0(VALU_DEP_2)
	s_and_saveexec_b32 s15, s0
; %bb.807:                              ;   in Loop: Header=BB361_671 Depth=1
	v_and_b32_e32 v0, 7, v11
	s_delay_alu instid0(VALU_DEP_1) | instskip(NEXT) | instid1(VALU_DEP_1)
	v_clz_i32_u32_e32 v0, v0
	v_min_u32_e32 v0, 32, v0
	s_delay_alu instid0(VALU_DEP_1) | instskip(SKIP_1) | instid1(VALU_DEP_2)
	v_subrev_nc_u32_e32 v13, 28, v0
	v_sub_nc_u32_e32 v0, 29, v0
	v_lshlrev_b64 v[13:14], v13, v[11:12]
; %bb.808:                              ;   in Loop: Header=BB361_671 Depth=1
	s_or_b32 exec_lo, exec_lo, s15
	v_lshlrev_b32_e32 v14, 8, v11
	s_delay_alu instid0(VALU_DEP_3) | instskip(NEXT) | instid1(VALU_DEP_3)
	v_lshl_add_u32 v0, v0, 10, 0x2000
	v_lshlrev_b32_e32 v13, 7, v13
	s_delay_alu instid0(VALU_DEP_2) | instskip(NEXT) | instid1(VALU_DEP_1)
	v_and_or_b32 v0, 0x8000, v14, v0
	v_and_or_b32 v0, 0x380, v13, v0
	s_delay_alu instid0(VALU_DEP_1)
	v_cvt_f32_f16_e32 v80, v0
.LBB361_809:                            ;   in Loop: Header=BB361_671 Depth=1
	s_or_b32 exec_lo, exec_lo, s13
.LBB361_810:                            ;   in Loop: Header=BB361_671 Depth=1
	s_delay_alu instid0(SALU_CYCLE_1)
	s_or_b32 exec_lo, exec_lo, s12
.LBB361_811:                            ;   in Loop: Header=BB361_671 Depth=1
	s_delay_alu instid0(SALU_CYCLE_1) | instskip(SKIP_2) | instid1(VALU_DEP_1)
	s_or_b32 exec_lo, exec_lo, s10
	v_lshrrev_b16 v0, 8, v11
	s_mov_b32 s10, exec_lo
	v_cmpx_ne_u16_e32 0, v0
	s_cbranch_execz .LBB361_819
; %bb.812:                              ;   in Loop: Header=BB361_671 Depth=1
	v_bfrev_b32_e32 v81, 1
	s_mov_b32 s12, exec_lo
	v_cmpx_ne_u16_e32 0x80, v0
	s_cbranch_execz .LBB361_818
; %bb.813:                              ;   in Loop: Header=BB361_671 Depth=1
	v_and_b32_e32 v13, 0xffff, v0
	v_mov_b32_e32 v81, 0x7fc02000
	s_mov_b32 s13, exec_lo
	s_delay_alu instid0(VALU_DEP_2) | instskip(NEXT) | instid1(VALU_DEP_1)
	v_and_b32_e32 v82, 0x7f, v13
	v_cmpx_ne_u32_e32 0x7f, v82
	s_cbranch_execz .LBB361_817
; %bb.814:                              ;   in Loop: Header=BB361_671 Depth=1
	v_and_b32_e32 v0, 7, v13
	v_lshrrev_b32_e32 v14, 3, v82
	s_mov_b32 s15, exec_lo
	v_cmpx_gt_u32_e32 8, v82
; %bb.815:                              ;   in Loop: Header=BB361_671 Depth=1
	s_delay_alu instid0(VALU_DEP_3) | instskip(NEXT) | instid1(VALU_DEP_1)
	v_clz_i32_u32_e32 v14, v0
	v_min_u32_e32 v14, 32, v14
	s_delay_alu instid0(VALU_DEP_1) | instskip(SKIP_1) | instid1(VALU_DEP_2)
	v_subrev_nc_u32_e32 v81, 28, v14
	v_sub_nc_u32_e32 v14, 29, v14
	v_lshlrev_b64 v[81:82], v81, v[0:1]
	s_delay_alu instid0(VALU_DEP_1)
	v_and_b32_e32 v0, 7, v81
; %bb.816:                              ;   in Loop: Header=BB361_671 Depth=1
	s_or_b32 exec_lo, exec_lo, s15
	v_lshlrev_b32_e32 v13, 8, v13
	v_lshl_add_u32 v14, v14, 10, 0x2000
	s_delay_alu instid0(VALU_DEP_1) | instskip(NEXT) | instid1(VALU_DEP_1)
	v_and_or_b32 v13, 0x8000, v13, v14
	v_lshl_or_b32 v0, v0, 7, v13
	s_delay_alu instid0(VALU_DEP_1)
	v_cvt_f32_f16_e32 v81, v0
.LBB361_817:                            ;   in Loop: Header=BB361_671 Depth=1
	s_or_b32 exec_lo, exec_lo, s13
.LBB361_818:                            ;   in Loop: Header=BB361_671 Depth=1
	s_delay_alu instid0(SALU_CYCLE_1)
	s_or_b32 exec_lo, exec_lo, s12
.LBB361_819:                            ;   in Loop: Header=BB361_671 Depth=1
	s_delay_alu instid0(SALU_CYCLE_1) | instskip(SKIP_3) | instid1(VALU_DEP_2)
	s_or_b32 exec_lo, exec_lo, s10
	v_lshrrev_b32_e32 v13, 16, v11
	v_mov_b32_e32 v82, 0
	s_mov_b32 s10, exec_lo
	v_dual_mov_b32 v83, 0 :: v_dual_and_b32 v0, 0xff, v13
	s_delay_alu instid0(VALU_DEP_1)
	v_cmpx_ne_u16_e32 0, v0
	s_cbranch_execz .LBB361_827
; %bb.820:                              ;   in Loop: Header=BB361_671 Depth=1
	v_bfrev_b32_e32 v82, 1
	s_mov_b32 s12, exec_lo
	v_cmpx_ne_u16_e32 0x80, v0
	s_cbranch_execz .LBB361_826
; %bb.821:                              ;   in Loop: Header=BB361_671 Depth=1
	v_bfe_u32 v84, v11, 16, 7
	v_mov_b32_e32 v82, 0x7fc02000
	s_mov_b32 s13, exec_lo
	s_delay_alu instid0(VALU_DEP_2)
	v_cmpx_ne_u32_e32 0x7f, v84
	s_cbranch_execz .LBB361_825
; %bb.822:                              ;   in Loop: Header=BB361_671 Depth=1
	v_and_b32_e32 v0, 7, v13
	v_lshrrev_b32_e32 v14, 3, v84
	s_mov_b32 s15, exec_lo
	v_cmpx_gt_u32_e32 8, v84
; %bb.823:                              ;   in Loop: Header=BB361_671 Depth=1
	s_delay_alu instid0(VALU_DEP_3) | instskip(NEXT) | instid1(VALU_DEP_1)
	v_clz_i32_u32_e32 v14, v0
	v_min_u32_e32 v14, 32, v14
	s_delay_alu instid0(VALU_DEP_1) | instskip(SKIP_1) | instid1(VALU_DEP_2)
	v_subrev_nc_u32_e32 v82, 28, v14
	v_sub_nc_u32_e32 v14, 29, v14
	v_lshlrev_b64 v[84:85], v82, v[0:1]
	s_delay_alu instid0(VALU_DEP_1)
	v_and_b32_e32 v0, 7, v84
; %bb.824:                              ;   in Loop: Header=BB361_671 Depth=1
	s_or_b32 exec_lo, exec_lo, s15
	v_lshlrev_b32_e32 v13, 8, v13
	v_lshl_add_u32 v14, v14, 10, 0x2000
	s_delay_alu instid0(VALU_DEP_1) | instskip(NEXT) | instid1(VALU_DEP_1)
	v_and_or_b32 v13, 0x8000, v13, v14
	v_lshl_or_b32 v0, v0, 7, v13
	s_delay_alu instid0(VALU_DEP_1)
	v_cvt_f32_f16_e32 v82, v0
.LBB361_825:                            ;   in Loop: Header=BB361_671 Depth=1
	s_or_b32 exec_lo, exec_lo, s13
.LBB361_826:                            ;   in Loop: Header=BB361_671 Depth=1
	s_delay_alu instid0(SALU_CYCLE_1)
	s_or_b32 exec_lo, exec_lo, s12
.LBB361_827:                            ;   in Loop: Header=BB361_671 Depth=1
	s_delay_alu instid0(SALU_CYCLE_1) | instskip(NEXT) | instid1(SALU_CYCLE_1)
	s_or_b32 exec_lo, exec_lo, s10
	s_mov_b32 s10, exec_lo
	v_cmpx_lt_u32_e32 0xffffff, v11
	s_cbranch_execz .LBB361_835
; %bb.828:                              ;   in Loop: Header=BB361_671 Depth=1
	v_lshrrev_b32_e32 v13, 24, v11
	v_bfrev_b32_e32 v83, 1
	s_mov_b32 s12, exec_lo
	s_delay_alu instid0(VALU_DEP_2)
	v_cmpx_ne_u32_e32 0x80, v13
	s_cbranch_execz .LBB361_834
; %bb.829:                              ;   in Loop: Header=BB361_671 Depth=1
	v_and_b32_e32 v84, 0x7f, v13
	v_mov_b32_e32 v83, 0x7fc02000
	s_mov_b32 s13, exec_lo
	s_delay_alu instid0(VALU_DEP_2)
	v_cmpx_ne_u32_e32 0x7f, v84
	s_cbranch_execz .LBB361_833
; %bb.830:                              ;   in Loop: Header=BB361_671 Depth=1
	v_and_b32_e32 v0, 7, v13
	v_lshrrev_b32_e32 v14, 3, v84
	s_mov_b32 s15, exec_lo
	v_cmpx_gt_u32_e32 8, v84
; %bb.831:                              ;   in Loop: Header=BB361_671 Depth=1
	s_delay_alu instid0(VALU_DEP_3) | instskip(NEXT) | instid1(VALU_DEP_1)
	v_clz_i32_u32_e32 v14, v0
	v_min_u32_e32 v14, 32, v14
	s_delay_alu instid0(VALU_DEP_1) | instskip(SKIP_1) | instid1(VALU_DEP_2)
	v_subrev_nc_u32_e32 v83, 28, v14
	v_sub_nc_u32_e32 v14, 29, v14
	v_lshlrev_b64 v[83:84], v83, v[0:1]
	s_delay_alu instid0(VALU_DEP_1)
	v_and_b32_e32 v0, 7, v83
; %bb.832:                              ;   in Loop: Header=BB361_671 Depth=1
	s_or_b32 exec_lo, exec_lo, s15
	v_lshlrev_b32_e32 v13, 8, v13
	v_lshl_add_u32 v14, v14, 10, 0x2000
	s_delay_alu instid0(VALU_DEP_1) | instskip(NEXT) | instid1(VALU_DEP_1)
	v_and_or_b32 v13, 0x8000, v13, v14
	v_lshl_or_b32 v0, v0, 7, v13
	s_delay_alu instid0(VALU_DEP_1)
	v_cvt_f32_f16_e32 v83, v0
.LBB361_833:                            ;   in Loop: Header=BB361_671 Depth=1
	s_or_b32 exec_lo, exec_lo, s13
.LBB361_834:                            ;   in Loop: Header=BB361_671 Depth=1
	s_delay_alu instid0(SALU_CYCLE_1)
	s_or_b32 exec_lo, exec_lo, s12
.LBB361_835:                            ;   in Loop: Header=BB361_671 Depth=1
	s_delay_alu instid0(SALU_CYCLE_1) | instskip(SKIP_4) | instid1(VALU_DEP_3)
	s_or_b32 exec_lo, exec_lo, s10
	v_dual_mov_b32 v13, 0 :: v_dual_and_b32 v14, 0xff, v12
	v_mov_b32_e32 v0, v12
	v_mov_b32_e32 v84, 0
	s_mov_b32 s10, exec_lo
	v_cmpx_ne_u16_e32 0, v14
	s_cbranch_execz .LBB361_843
; %bb.836:                              ;   in Loop: Header=BB361_671 Depth=1
	v_bfrev_b32_e32 v13, 1
	s_mov_b32 s12, exec_lo
	v_cmpx_ne_u16_e32 0x80, v14
	s_cbranch_execz .LBB361_842
; %bb.837:                              ;   in Loop: Header=BB361_671 Depth=1
	v_and_b32_e32 v14, 0x7f, v12
	v_mov_b32_e32 v13, 0x7fc02000
	s_mov_b32 s13, exec_lo
	s_delay_alu instid0(VALU_DEP_2)
	v_cmpx_ne_u32_e32 0x7f, v14
	s_cbranch_execz .LBB361_841
; %bb.838:                              ;   in Loop: Header=BB361_671 Depth=1
	v_lshrrev_b32_e32 v85, 3, v14
	v_cmp_gt_u32_e64 s0, 8, v14
	v_dual_mov_b32 v14, v1 :: v_dual_mov_b32 v13, v0
	s_delay_alu instid0(VALU_DEP_2)
	s_and_saveexec_b32 s15, s0
; %bb.839:                              ;   in Loop: Header=BB361_671 Depth=1
	v_and_b32_e32 v13, 7, v12
	s_delay_alu instid0(VALU_DEP_1) | instskip(NEXT) | instid1(VALU_DEP_1)
	v_clz_i32_u32_e32 v13, v13
	v_min_u32_e32 v85, 32, v13
	s_delay_alu instid0(VALU_DEP_1) | instskip(SKIP_1) | instid1(VALU_DEP_2)
	v_subrev_nc_u32_e32 v13, 28, v85
	v_sub_nc_u32_e32 v85, 29, v85
	v_lshlrev_b64 v[13:14], v13, v[0:1]
; %bb.840:                              ;   in Loop: Header=BB361_671 Depth=1
	s_or_b32 exec_lo, exec_lo, s15
	v_lshlrev_b32_e32 v14, 8, v12
	s_delay_alu instid0(VALU_DEP_3) | instskip(NEXT) | instid1(VALU_DEP_3)
	v_lshl_add_u32 v85, v85, 10, 0x2000
	v_lshlrev_b32_e32 v13, 7, v13
	s_delay_alu instid0(VALU_DEP_2) | instskip(NEXT) | instid1(VALU_DEP_1)
	v_and_or_b32 v14, 0x8000, v14, v85
	v_and_or_b32 v13, 0x380, v13, v14
	s_delay_alu instid0(VALU_DEP_1)
	v_cvt_f32_f16_e32 v13, v13
.LBB361_841:                            ;   in Loop: Header=BB361_671 Depth=1
	s_or_b32 exec_lo, exec_lo, s13
.LBB361_842:                            ;   in Loop: Header=BB361_671 Depth=1
	s_delay_alu instid0(SALU_CYCLE_1)
	s_or_b32 exec_lo, exec_lo, s12
.LBB361_843:                            ;   in Loop: Header=BB361_671 Depth=1
	s_delay_alu instid0(SALU_CYCLE_1) | instskip(SKIP_2) | instid1(VALU_DEP_1)
	s_or_b32 exec_lo, exec_lo, s10
	v_lshrrev_b16 v0, 8, v0
	s_mov_b32 s10, exec_lo
	v_cmpx_ne_u16_e32 0, v0
	s_cbranch_execz .LBB361_851
; %bb.844:                              ;   in Loop: Header=BB361_671 Depth=1
	v_bfrev_b32_e32 v84, 1
	s_mov_b32 s12, exec_lo
	v_cmpx_ne_u16_e32 0x80, v0
	s_cbranch_execz .LBB361_850
; %bb.845:                              ;   in Loop: Header=BB361_671 Depth=1
	v_and_b32_e32 v14, 0xffff, v0
	v_mov_b32_e32 v84, 0x7fc02000
	s_mov_b32 s13, exec_lo
	s_delay_alu instid0(VALU_DEP_2) | instskip(NEXT) | instid1(VALU_DEP_1)
	v_and_b32_e32 v85, 0x7f, v14
	v_cmpx_ne_u32_e32 0x7f, v85
	s_cbranch_execz .LBB361_849
; %bb.846:                              ;   in Loop: Header=BB361_671 Depth=1
	v_and_b32_e32 v0, 7, v14
	v_lshrrev_b32_e32 v84, 3, v85
	s_mov_b32 s15, exec_lo
	v_cmpx_gt_u32_e32 8, v85
; %bb.847:                              ;   in Loop: Header=BB361_671 Depth=1
	s_delay_alu instid0(VALU_DEP_3) | instskip(NEXT) | instid1(VALU_DEP_1)
	v_clz_i32_u32_e32 v84, v0
	v_min_u32_e32 v84, 32, v84
	s_delay_alu instid0(VALU_DEP_1) | instskip(SKIP_1) | instid1(VALU_DEP_2)
	v_subrev_nc_u32_e32 v85, 28, v84
	v_sub_nc_u32_e32 v84, 29, v84
	v_lshlrev_b64 v[85:86], v85, v[0:1]
	s_delay_alu instid0(VALU_DEP_1)
	v_and_b32_e32 v0, 7, v85
; %bb.848:                              ;   in Loop: Header=BB361_671 Depth=1
	s_or_b32 exec_lo, exec_lo, s15
	v_lshlrev_b32_e32 v14, 8, v14
	v_lshl_add_u32 v84, v84, 10, 0x2000
	s_delay_alu instid0(VALU_DEP_1) | instskip(NEXT) | instid1(VALU_DEP_1)
	v_and_or_b32 v14, 0x8000, v14, v84
	v_lshl_or_b32 v0, v0, 7, v14
	s_delay_alu instid0(VALU_DEP_1)
	v_cvt_f32_f16_e32 v84, v0
.LBB361_849:                            ;   in Loop: Header=BB361_671 Depth=1
	s_or_b32 exec_lo, exec_lo, s13
.LBB361_850:                            ;   in Loop: Header=BB361_671 Depth=1
	s_delay_alu instid0(SALU_CYCLE_1)
	s_or_b32 exec_lo, exec_lo, s12
.LBB361_851:                            ;   in Loop: Header=BB361_671 Depth=1
	s_delay_alu instid0(SALU_CYCLE_1) | instskip(SKIP_3) | instid1(VALU_DEP_2)
	s_or_b32 exec_lo, exec_lo, s10
	v_lshrrev_b32_e32 v86, 16, v12
	v_mov_b32_e32 v14, 0
	s_mov_b32 s10, exec_lo
	v_dual_mov_b32 v85, 0 :: v_dual_and_b32 v0, 0xff, v86
	s_delay_alu instid0(VALU_DEP_1)
	v_cmpx_ne_u16_e32 0, v0
	s_cbranch_execz .LBB361_859
; %bb.852:                              ;   in Loop: Header=BB361_671 Depth=1
	v_bfrev_b32_e32 v14, 1
	s_mov_b32 s12, exec_lo
	v_cmpx_ne_u16_e32 0x80, v0
	s_cbranch_execz .LBB361_858
; %bb.853:                              ;   in Loop: Header=BB361_671 Depth=1
	v_bfe_u32 v87, v12, 16, 7
	v_mov_b32_e32 v14, 0x7fc02000
	s_mov_b32 s13, exec_lo
	s_delay_alu instid0(VALU_DEP_2)
	v_cmpx_ne_u32_e32 0x7f, v87
	s_cbranch_execz .LBB361_857
; %bb.854:                              ;   in Loop: Header=BB361_671 Depth=1
	v_and_b32_e32 v0, 7, v86
	v_lshrrev_b32_e32 v14, 3, v87
	s_mov_b32 s15, exec_lo
	v_cmpx_gt_u32_e32 8, v87
; %bb.855:                              ;   in Loop: Header=BB361_671 Depth=1
	s_delay_alu instid0(VALU_DEP_3) | instskip(NEXT) | instid1(VALU_DEP_1)
	v_clz_i32_u32_e32 v14, v0
	v_min_u32_e32 v14, 32, v14
	s_delay_alu instid0(VALU_DEP_1) | instskip(SKIP_1) | instid1(VALU_DEP_2)
	v_subrev_nc_u32_e32 v87, 28, v14
	v_sub_nc_u32_e32 v14, 29, v14
	v_lshlrev_b64 v[96:97], v87, v[0:1]
	s_delay_alu instid0(VALU_DEP_1)
	v_and_b32_e32 v0, 7, v96
; %bb.856:                              ;   in Loop: Header=BB361_671 Depth=1
	s_or_b32 exec_lo, exec_lo, s15
	v_lshlrev_b32_e32 v86, 8, v86
	v_lshl_add_u32 v14, v14, 10, 0x2000
	s_delay_alu instid0(VALU_DEP_1) | instskip(NEXT) | instid1(VALU_DEP_1)
	v_and_or_b32 v14, 0x8000, v86, v14
	v_lshl_or_b32 v0, v0, 7, v14
	s_delay_alu instid0(VALU_DEP_1)
	v_cvt_f32_f16_e32 v14, v0
.LBB361_857:                            ;   in Loop: Header=BB361_671 Depth=1
	s_or_b32 exec_lo, exec_lo, s13
.LBB361_858:                            ;   in Loop: Header=BB361_671 Depth=1
	s_delay_alu instid0(SALU_CYCLE_1)
	s_or_b32 exec_lo, exec_lo, s12
.LBB361_859:                            ;   in Loop: Header=BB361_671 Depth=1
	s_delay_alu instid0(SALU_CYCLE_1) | instskip(NEXT) | instid1(SALU_CYCLE_1)
	s_or_b32 exec_lo, exec_lo, s10
	s_mov_b32 s10, exec_lo
	v_cmpx_lt_u64_e64 s[8:9], v[11:12]
	s_cbranch_execz .LBB361_867
; %bb.860:                              ;   in Loop: Header=BB361_671 Depth=1
	v_lshrrev_b32_e32 v11, 24, v12
	v_bfrev_b32_e32 v85, 1
	s_mov_b32 s12, exec_lo
	s_delay_alu instid0(VALU_DEP_2)
	v_cmpx_ne_u32_e32 0x80, v11
	s_cbranch_execz .LBB361_866
; %bb.861:                              ;   in Loop: Header=BB361_671 Depth=1
	v_and_b32_e32 v86, 0x7f, v11
	v_mov_b32_e32 v85, 0x7fc02000
	s_mov_b32 s13, exec_lo
	s_delay_alu instid0(VALU_DEP_2)
	v_cmpx_ne_u32_e32 0x7f, v86
	s_cbranch_execz .LBB361_865
; %bb.862:                              ;   in Loop: Header=BB361_671 Depth=1
	v_and_b32_e32 v0, 7, v11
	v_lshrrev_b32_e32 v12, 3, v86
	s_mov_b32 s15, exec_lo
	v_cmpx_gt_u32_e32 8, v86
; %bb.863:                              ;   in Loop: Header=BB361_671 Depth=1
	s_delay_alu instid0(VALU_DEP_3) | instskip(NEXT) | instid1(VALU_DEP_1)
	v_clz_i32_u32_e32 v12, v0
	v_min_u32_e32 v12, 32, v12
	s_delay_alu instid0(VALU_DEP_1) | instskip(SKIP_1) | instid1(VALU_DEP_2)
	v_subrev_nc_u32_e32 v85, 28, v12
	v_sub_nc_u32_e32 v12, 29, v12
	v_lshlrev_b64 v[85:86], v85, v[0:1]
	s_delay_alu instid0(VALU_DEP_1)
	v_and_b32_e32 v0, 7, v85
; %bb.864:                              ;   in Loop: Header=BB361_671 Depth=1
	s_or_b32 exec_lo, exec_lo, s15
	v_lshlrev_b32_e32 v11, 8, v11
	v_lshl_add_u32 v12, v12, 10, 0x2000
	s_delay_alu instid0(VALU_DEP_1) | instskip(NEXT) | instid1(VALU_DEP_1)
	v_and_or_b32 v11, 0x8000, v11, v12
	v_lshl_or_b32 v0, v0, 7, v11
	s_delay_alu instid0(VALU_DEP_1)
	v_cvt_f32_f16_e32 v85, v0
.LBB361_865:                            ;   in Loop: Header=BB361_671 Depth=1
	s_or_b32 exec_lo, exec_lo, s13
.LBB361_866:                            ;   in Loop: Header=BB361_671 Depth=1
	s_delay_alu instid0(SALU_CYCLE_1)
	s_or_b32 exec_lo, exec_lo, s12
.LBB361_867:                            ;   in Loop: Header=BB361_671 Depth=1
	s_delay_alu instid0(SALU_CYCLE_1)
	s_or_b32 exec_lo, exec_lo, s10
	s_waitcnt vmcnt(0) lgkmcnt(0)
	v_fma_mixlo_f16 v12, v71, v81, 0
	v_fma_mixlo_f16 v0, v71, v83, 0
	v_fma_mixlo_f16 v11, v71, v82, 0
	v_fma_mixlo_f16 v80, v71, v80, 0
	v_fma_mixlo_f16 v82, v71, v84, 0
	v_lshlrev_b32_e32 v81, 16, v12
	v_fma_mixlo_f16 v13, v71, v13, 0
	v_fma_mixlo_f16 v83, v71, v85, 0
	;; [unrolled: 1-line block ×3, first 2 shown]
	v_lshlrev_b32_e32 v0, 16, v0
	v_and_b32_e32 v11, 0xffff, v11
	v_and_b32_e32 v14, 0xffff, v80
	v_lshlrev_b32_e32 v71, 16, v82
	v_and_b32_e32 v80, 0xffff, v13
	v_lshlrev_b32_e32 v82, 16, v83
	v_and_b32_e32 v83, 0xffff, v12
	v_or_b32_e32 v13, v0, v11
	v_or_b32_e32 v14, v81, v14
	;; [unrolled: 1-line block ×3, first 2 shown]
	s_delay_alu instid0(VALU_DEP_4)
	v_or_b32_e32 v11, v82, v83
	s_and_saveexec_b32 s10, vcc_lo
	s_cbranch_execz .LBB361_869
; %bb.868:                              ;   in Loop: Header=BB361_671 Depth=1
	v_cmp_lt_i32_e64 s0, v15, v35
	v_lshrrev_b32_e32 v71, 16, v14
	v_lshrrev_b32_e32 v80, 16, v13
	;; [unrolled: 1-line block ×4, first 2 shown]
	v_cndmask_b32_e64 v14, 0, v14, s0
	v_cmp_lt_i32_e64 s0, v54, v48
	s_delay_alu instid0(VALU_DEP_1) | instskip(SKIP_1) | instid1(VALU_DEP_2)
	v_cndmask_b32_e64 v71, 0, v71, s0
	v_cmp_lt_i32_e64 s0, v53, v48
	v_perm_b32 v14, v71, v14, 0x5040100
	s_delay_alu instid0(VALU_DEP_2) | instskip(SKIP_1) | instid1(VALU_DEP_1)
	v_cndmask_b32_e64 v80, 0, v80, s0
	v_cmp_lt_i32_e64 s0, v52, v35
	v_cndmask_b32_e64 v13, 0, v13, s0
	v_cmp_lt_i32_e64 s0, v51, v48
	s_delay_alu instid0(VALU_DEP_2) | instskip(NEXT) | instid1(VALU_DEP_2)
	v_perm_b32 v13, v80, v13, 0x5040100
	v_cndmask_b32_e64 v81, 0, v81, s0
	v_cmp_lt_i32_e64 s0, v50, v35
	s_delay_alu instid0(VALU_DEP_1) | instskip(SKIP_1) | instid1(VALU_DEP_2)
	v_cndmask_b32_e64 v0, 0, v0, s0
	v_cmp_lt_i32_e64 s0, v38, v48
	v_perm_b32 v0, v81, v0, 0x5040100
	s_delay_alu instid0(VALU_DEP_2) | instskip(SKIP_1) | instid1(VALU_DEP_1)
	v_cndmask_b32_e64 v11, 0, v11, s0
	v_cmp_lt_i32_e64 s0, v17, v35
	v_cndmask_b32_e64 v12, 0, v12, s0
	s_delay_alu instid0(VALU_DEP_1)
	v_perm_b32 v11, v11, v12, 0x5040100
.LBB361_869:                            ;   in Loop: Header=BB361_671 Depth=1
	s_or_b32 exec_lo, exec_lo, s10
	;;#ASMSTART
	v_pk_mul_f16 v12, v68, v14;

	;;#ASMEND
	;;#ASMSTART
	v_pk_mul_f16 v13, v66, v13;

	;;#ASMEND
	;; [unrolled: 4-line block ×4, first 2 shown]
	;;#ASMSTART
	v_pk_add_f16 v12, v12, v13;

	;;#ASMEND
	;;#ASMSTART
	v_pk_add_f16 v0, v12, v0;

	;;#ASMEND
	;; [unrolled: 4-line block ×3, first 2 shown]
	v_dual_mov_b32 v82, 0 :: v_dual_and_b32 v11, 0xffff, v0
	v_lshrrev_b32_e32 v0, 16, v0
	;;#ASMSTART
	v_cvt_f32_f16 v71, v11;
	;;#ASMEND
	;;#ASMSTART
	v_cvt_f32_f16 v80, v0;
	;;#ASMEND
	flat_load_b64 v[11:12], v[9:10] offset:768
	flat_load_b32 v81, v[26:27]
	s_mov_b32 s10, exec_lo
	s_waitcnt vmcnt(1) lgkmcnt(1)
	v_dual_mov_b32 v83, 0 :: v_dual_and_b32 v0, 0xff, v11
	s_delay_alu instid0(VALU_DEP_1)
	v_cmpx_ne_u16_e32 0, v0
	s_cbranch_execz .LBB361_877
; %bb.870:                              ;   in Loop: Header=BB361_671 Depth=1
	v_bfrev_b32_e32 v82, 1
	s_mov_b32 s12, exec_lo
	v_cmpx_ne_u16_e32 0x80, v0
	s_cbranch_execz .LBB361_876
; %bb.871:                              ;   in Loop: Header=BB361_671 Depth=1
	v_and_b32_e32 v13, 0x7f, v11
	v_mov_b32_e32 v82, 0x7fc02000
	s_mov_b32 s13, exec_lo
	s_delay_alu instid0(VALU_DEP_2)
	v_cmpx_ne_u32_e32 0x7f, v13
	s_cbranch_execz .LBB361_875
; %bb.872:                              ;   in Loop: Header=BB361_671 Depth=1
	v_lshrrev_b32_e32 v0, 3, v13
	v_cmp_gt_u32_e64 s0, 8, v13
	v_dual_mov_b32 v14, v12 :: v_dual_mov_b32 v13, v11
	s_delay_alu instid0(VALU_DEP_2)
	s_and_saveexec_b32 s15, s0
; %bb.873:                              ;   in Loop: Header=BB361_671 Depth=1
	v_and_b32_e32 v0, 7, v11
	s_delay_alu instid0(VALU_DEP_1) | instskip(NEXT) | instid1(VALU_DEP_1)
	v_clz_i32_u32_e32 v0, v0
	v_min_u32_e32 v0, 32, v0
	s_delay_alu instid0(VALU_DEP_1) | instskip(SKIP_1) | instid1(VALU_DEP_2)
	v_subrev_nc_u32_e32 v13, 28, v0
	v_sub_nc_u32_e32 v0, 29, v0
	v_lshlrev_b64 v[13:14], v13, v[11:12]
; %bb.874:                              ;   in Loop: Header=BB361_671 Depth=1
	s_or_b32 exec_lo, exec_lo, s15
	v_lshlrev_b32_e32 v14, 8, v11
	s_delay_alu instid0(VALU_DEP_3) | instskip(NEXT) | instid1(VALU_DEP_3)
	v_lshl_add_u32 v0, v0, 10, 0x2000
	v_lshlrev_b32_e32 v13, 7, v13
	s_delay_alu instid0(VALU_DEP_2) | instskip(NEXT) | instid1(VALU_DEP_1)
	v_and_or_b32 v0, 0x8000, v14, v0
	v_and_or_b32 v0, 0x380, v13, v0
	s_delay_alu instid0(VALU_DEP_1)
	v_cvt_f32_f16_e32 v82, v0
.LBB361_875:                            ;   in Loop: Header=BB361_671 Depth=1
	s_or_b32 exec_lo, exec_lo, s13
.LBB361_876:                            ;   in Loop: Header=BB361_671 Depth=1
	s_delay_alu instid0(SALU_CYCLE_1)
	s_or_b32 exec_lo, exec_lo, s12
.LBB361_877:                            ;   in Loop: Header=BB361_671 Depth=1
	s_delay_alu instid0(SALU_CYCLE_1) | instskip(SKIP_2) | instid1(VALU_DEP_1)
	s_or_b32 exec_lo, exec_lo, s10
	v_lshrrev_b16 v0, 8, v11
	s_mov_b32 s10, exec_lo
	v_cmpx_ne_u16_e32 0, v0
	s_cbranch_execz .LBB361_885
; %bb.878:                              ;   in Loop: Header=BB361_671 Depth=1
	v_bfrev_b32_e32 v83, 1
	s_mov_b32 s12, exec_lo
	v_cmpx_ne_u16_e32 0x80, v0
	s_cbranch_execz .LBB361_884
; %bb.879:                              ;   in Loop: Header=BB361_671 Depth=1
	v_and_b32_e32 v13, 0xffff, v0
	v_mov_b32_e32 v83, 0x7fc02000
	s_mov_b32 s13, exec_lo
	s_delay_alu instid0(VALU_DEP_2) | instskip(NEXT) | instid1(VALU_DEP_1)
	v_and_b32_e32 v84, 0x7f, v13
	v_cmpx_ne_u32_e32 0x7f, v84
	s_cbranch_execz .LBB361_883
; %bb.880:                              ;   in Loop: Header=BB361_671 Depth=1
	v_and_b32_e32 v0, 7, v13
	v_lshrrev_b32_e32 v14, 3, v84
	s_mov_b32 s15, exec_lo
	v_cmpx_gt_u32_e32 8, v84
; %bb.881:                              ;   in Loop: Header=BB361_671 Depth=1
	s_delay_alu instid0(VALU_DEP_3) | instskip(NEXT) | instid1(VALU_DEP_1)
	v_clz_i32_u32_e32 v14, v0
	v_min_u32_e32 v14, 32, v14
	s_delay_alu instid0(VALU_DEP_1) | instskip(SKIP_1) | instid1(VALU_DEP_2)
	v_subrev_nc_u32_e32 v83, 28, v14
	v_sub_nc_u32_e32 v14, 29, v14
	v_lshlrev_b64 v[83:84], v83, v[0:1]
	s_delay_alu instid0(VALU_DEP_1)
	v_and_b32_e32 v0, 7, v83
; %bb.882:                              ;   in Loop: Header=BB361_671 Depth=1
	s_or_b32 exec_lo, exec_lo, s15
	v_lshlrev_b32_e32 v13, 8, v13
	v_lshl_add_u32 v14, v14, 10, 0x2000
	s_delay_alu instid0(VALU_DEP_1) | instskip(NEXT) | instid1(VALU_DEP_1)
	v_and_or_b32 v13, 0x8000, v13, v14
	v_lshl_or_b32 v0, v0, 7, v13
	s_delay_alu instid0(VALU_DEP_1)
	v_cvt_f32_f16_e32 v83, v0
.LBB361_883:                            ;   in Loop: Header=BB361_671 Depth=1
	s_or_b32 exec_lo, exec_lo, s13
.LBB361_884:                            ;   in Loop: Header=BB361_671 Depth=1
	s_delay_alu instid0(SALU_CYCLE_1)
	s_or_b32 exec_lo, exec_lo, s12
.LBB361_885:                            ;   in Loop: Header=BB361_671 Depth=1
	s_delay_alu instid0(SALU_CYCLE_1) | instskip(SKIP_3) | instid1(VALU_DEP_2)
	s_or_b32 exec_lo, exec_lo, s10
	v_lshrrev_b32_e32 v13, 16, v11
	v_mov_b32_e32 v84, 0
	s_mov_b32 s10, exec_lo
	v_dual_mov_b32 v85, 0 :: v_dual_and_b32 v0, 0xff, v13
	s_delay_alu instid0(VALU_DEP_1)
	v_cmpx_ne_u16_e32 0, v0
	s_cbranch_execz .LBB361_893
; %bb.886:                              ;   in Loop: Header=BB361_671 Depth=1
	v_bfrev_b32_e32 v84, 1
	s_mov_b32 s12, exec_lo
	v_cmpx_ne_u16_e32 0x80, v0
	s_cbranch_execz .LBB361_892
; %bb.887:                              ;   in Loop: Header=BB361_671 Depth=1
	v_bfe_u32 v86, v11, 16, 7
	v_mov_b32_e32 v84, 0x7fc02000
	s_mov_b32 s13, exec_lo
	s_delay_alu instid0(VALU_DEP_2)
	v_cmpx_ne_u32_e32 0x7f, v86
	s_cbranch_execz .LBB361_891
; %bb.888:                              ;   in Loop: Header=BB361_671 Depth=1
	v_and_b32_e32 v0, 7, v13
	v_lshrrev_b32_e32 v14, 3, v86
	s_mov_b32 s15, exec_lo
	v_cmpx_gt_u32_e32 8, v86
; %bb.889:                              ;   in Loop: Header=BB361_671 Depth=1
	s_delay_alu instid0(VALU_DEP_3) | instskip(NEXT) | instid1(VALU_DEP_1)
	v_clz_i32_u32_e32 v14, v0
	v_min_u32_e32 v14, 32, v14
	s_delay_alu instid0(VALU_DEP_1) | instskip(SKIP_1) | instid1(VALU_DEP_2)
	v_subrev_nc_u32_e32 v84, 28, v14
	v_sub_nc_u32_e32 v14, 29, v14
	v_lshlrev_b64 v[86:87], v84, v[0:1]
	s_delay_alu instid0(VALU_DEP_1)
	v_and_b32_e32 v0, 7, v86
; %bb.890:                              ;   in Loop: Header=BB361_671 Depth=1
	s_or_b32 exec_lo, exec_lo, s15
	v_lshlrev_b32_e32 v13, 8, v13
	v_lshl_add_u32 v14, v14, 10, 0x2000
	s_delay_alu instid0(VALU_DEP_1) | instskip(NEXT) | instid1(VALU_DEP_1)
	v_and_or_b32 v13, 0x8000, v13, v14
	v_lshl_or_b32 v0, v0, 7, v13
	s_delay_alu instid0(VALU_DEP_1)
	v_cvt_f32_f16_e32 v84, v0
.LBB361_891:                            ;   in Loop: Header=BB361_671 Depth=1
	s_or_b32 exec_lo, exec_lo, s13
.LBB361_892:                            ;   in Loop: Header=BB361_671 Depth=1
	s_delay_alu instid0(SALU_CYCLE_1)
	s_or_b32 exec_lo, exec_lo, s12
.LBB361_893:                            ;   in Loop: Header=BB361_671 Depth=1
	s_delay_alu instid0(SALU_CYCLE_1) | instskip(NEXT) | instid1(SALU_CYCLE_1)
	s_or_b32 exec_lo, exec_lo, s10
	s_mov_b32 s10, exec_lo
	v_cmpx_lt_u32_e32 0xffffff, v11
	s_cbranch_execz .LBB361_901
; %bb.894:                              ;   in Loop: Header=BB361_671 Depth=1
	v_lshrrev_b32_e32 v13, 24, v11
	v_bfrev_b32_e32 v85, 1
	s_mov_b32 s12, exec_lo
	s_delay_alu instid0(VALU_DEP_2)
	v_cmpx_ne_u32_e32 0x80, v13
	s_cbranch_execz .LBB361_900
; %bb.895:                              ;   in Loop: Header=BB361_671 Depth=1
	v_and_b32_e32 v86, 0x7f, v13
	v_mov_b32_e32 v85, 0x7fc02000
	s_mov_b32 s13, exec_lo
	s_delay_alu instid0(VALU_DEP_2)
	v_cmpx_ne_u32_e32 0x7f, v86
	s_cbranch_execz .LBB361_899
; %bb.896:                              ;   in Loop: Header=BB361_671 Depth=1
	v_and_b32_e32 v0, 7, v13
	v_lshrrev_b32_e32 v14, 3, v86
	s_mov_b32 s15, exec_lo
	v_cmpx_gt_u32_e32 8, v86
; %bb.897:                              ;   in Loop: Header=BB361_671 Depth=1
	s_delay_alu instid0(VALU_DEP_3) | instskip(NEXT) | instid1(VALU_DEP_1)
	v_clz_i32_u32_e32 v14, v0
	v_min_u32_e32 v14, 32, v14
	s_delay_alu instid0(VALU_DEP_1) | instskip(SKIP_1) | instid1(VALU_DEP_2)
	v_subrev_nc_u32_e32 v85, 28, v14
	v_sub_nc_u32_e32 v14, 29, v14
	v_lshlrev_b64 v[85:86], v85, v[0:1]
	s_delay_alu instid0(VALU_DEP_1)
	v_and_b32_e32 v0, 7, v85
; %bb.898:                              ;   in Loop: Header=BB361_671 Depth=1
	s_or_b32 exec_lo, exec_lo, s15
	v_lshlrev_b32_e32 v13, 8, v13
	v_lshl_add_u32 v14, v14, 10, 0x2000
	s_delay_alu instid0(VALU_DEP_1) | instskip(NEXT) | instid1(VALU_DEP_1)
	v_and_or_b32 v13, 0x8000, v13, v14
	v_lshl_or_b32 v0, v0, 7, v13
	s_delay_alu instid0(VALU_DEP_1)
	v_cvt_f32_f16_e32 v85, v0
.LBB361_899:                            ;   in Loop: Header=BB361_671 Depth=1
	s_or_b32 exec_lo, exec_lo, s13
.LBB361_900:                            ;   in Loop: Header=BB361_671 Depth=1
	s_delay_alu instid0(SALU_CYCLE_1)
	s_or_b32 exec_lo, exec_lo, s12
.LBB361_901:                            ;   in Loop: Header=BB361_671 Depth=1
	s_delay_alu instid0(SALU_CYCLE_1) | instskip(SKIP_4) | instid1(VALU_DEP_3)
	s_or_b32 exec_lo, exec_lo, s10
	v_dual_mov_b32 v13, 0 :: v_dual_and_b32 v14, 0xff, v12
	v_mov_b32_e32 v0, v12
	v_mov_b32_e32 v86, 0
	s_mov_b32 s10, exec_lo
	v_cmpx_ne_u16_e32 0, v14
	s_cbranch_execz .LBB361_909
; %bb.902:                              ;   in Loop: Header=BB361_671 Depth=1
	v_bfrev_b32_e32 v13, 1
	s_mov_b32 s12, exec_lo
	v_cmpx_ne_u16_e32 0x80, v14
	s_cbranch_execz .LBB361_908
; %bb.903:                              ;   in Loop: Header=BB361_671 Depth=1
	v_and_b32_e32 v14, 0x7f, v12
	v_mov_b32_e32 v13, 0x7fc02000
	s_mov_b32 s13, exec_lo
	s_delay_alu instid0(VALU_DEP_2)
	v_cmpx_ne_u32_e32 0x7f, v14
	s_cbranch_execz .LBB361_907
; %bb.904:                              ;   in Loop: Header=BB361_671 Depth=1
	v_lshrrev_b32_e32 v87, 3, v14
	v_cmp_gt_u32_e64 s0, 8, v14
	v_dual_mov_b32 v14, v1 :: v_dual_mov_b32 v13, v0
	s_delay_alu instid0(VALU_DEP_2)
	s_and_saveexec_b32 s15, s0
; %bb.905:                              ;   in Loop: Header=BB361_671 Depth=1
	v_and_b32_e32 v13, 7, v12
	s_delay_alu instid0(VALU_DEP_1) | instskip(NEXT) | instid1(VALU_DEP_1)
	v_clz_i32_u32_e32 v13, v13
	v_min_u32_e32 v87, 32, v13
	s_delay_alu instid0(VALU_DEP_1) | instskip(SKIP_1) | instid1(VALU_DEP_2)
	v_subrev_nc_u32_e32 v13, 28, v87
	v_sub_nc_u32_e32 v87, 29, v87
	v_lshlrev_b64 v[13:14], v13, v[0:1]
; %bb.906:                              ;   in Loop: Header=BB361_671 Depth=1
	s_or_b32 exec_lo, exec_lo, s15
	v_lshlrev_b32_e32 v14, 8, v12
	s_delay_alu instid0(VALU_DEP_3) | instskip(NEXT) | instid1(VALU_DEP_3)
	v_lshl_add_u32 v87, v87, 10, 0x2000
	v_lshlrev_b32_e32 v13, 7, v13
	s_delay_alu instid0(VALU_DEP_2) | instskip(NEXT) | instid1(VALU_DEP_1)
	v_and_or_b32 v14, 0x8000, v14, v87
	v_and_or_b32 v13, 0x380, v13, v14
	s_delay_alu instid0(VALU_DEP_1)
	v_cvt_f32_f16_e32 v13, v13
.LBB361_907:                            ;   in Loop: Header=BB361_671 Depth=1
	s_or_b32 exec_lo, exec_lo, s13
.LBB361_908:                            ;   in Loop: Header=BB361_671 Depth=1
	s_delay_alu instid0(SALU_CYCLE_1)
	s_or_b32 exec_lo, exec_lo, s12
.LBB361_909:                            ;   in Loop: Header=BB361_671 Depth=1
	s_delay_alu instid0(SALU_CYCLE_1) | instskip(SKIP_2) | instid1(VALU_DEP_1)
	s_or_b32 exec_lo, exec_lo, s10
	v_lshrrev_b16 v0, 8, v0
	s_mov_b32 s10, exec_lo
	v_cmpx_ne_u16_e32 0, v0
	s_cbranch_execz .LBB361_917
; %bb.910:                              ;   in Loop: Header=BB361_671 Depth=1
	v_bfrev_b32_e32 v86, 1
	s_mov_b32 s12, exec_lo
	v_cmpx_ne_u16_e32 0x80, v0
	s_cbranch_execz .LBB361_916
; %bb.911:                              ;   in Loop: Header=BB361_671 Depth=1
	v_and_b32_e32 v14, 0xffff, v0
	v_mov_b32_e32 v86, 0x7fc02000
	s_mov_b32 s13, exec_lo
	s_delay_alu instid0(VALU_DEP_2) | instskip(NEXT) | instid1(VALU_DEP_1)
	v_and_b32_e32 v87, 0x7f, v14
	v_cmpx_ne_u32_e32 0x7f, v87
	s_cbranch_execz .LBB361_915
; %bb.912:                              ;   in Loop: Header=BB361_671 Depth=1
	v_and_b32_e32 v0, 7, v14
	v_lshrrev_b32_e32 v86, 3, v87
	s_mov_b32 s15, exec_lo
	v_cmpx_gt_u32_e32 8, v87
; %bb.913:                              ;   in Loop: Header=BB361_671 Depth=1
	s_delay_alu instid0(VALU_DEP_3) | instskip(NEXT) | instid1(VALU_DEP_1)
	v_clz_i32_u32_e32 v86, v0
	v_min_u32_e32 v86, 32, v86
	s_delay_alu instid0(VALU_DEP_1) | instskip(SKIP_1) | instid1(VALU_DEP_2)
	v_subrev_nc_u32_e32 v87, 28, v86
	v_sub_nc_u32_e32 v86, 29, v86
	v_lshlrev_b64 v[96:97], v87, v[0:1]
	s_delay_alu instid0(VALU_DEP_1)
	v_and_b32_e32 v0, 7, v96
; %bb.914:                              ;   in Loop: Header=BB361_671 Depth=1
	s_or_b32 exec_lo, exec_lo, s15
	v_lshlrev_b32_e32 v14, 8, v14
	v_lshl_add_u32 v86, v86, 10, 0x2000
	s_delay_alu instid0(VALU_DEP_1) | instskip(NEXT) | instid1(VALU_DEP_1)
	v_and_or_b32 v14, 0x8000, v14, v86
	v_lshl_or_b32 v0, v0, 7, v14
	s_delay_alu instid0(VALU_DEP_1)
	v_cvt_f32_f16_e32 v86, v0
.LBB361_915:                            ;   in Loop: Header=BB361_671 Depth=1
	s_or_b32 exec_lo, exec_lo, s13
.LBB361_916:                            ;   in Loop: Header=BB361_671 Depth=1
	s_delay_alu instid0(SALU_CYCLE_1)
	s_or_b32 exec_lo, exec_lo, s12
.LBB361_917:                            ;   in Loop: Header=BB361_671 Depth=1
	s_delay_alu instid0(SALU_CYCLE_1) | instskip(SKIP_3) | instid1(VALU_DEP_2)
	s_or_b32 exec_lo, exec_lo, s10
	v_lshrrev_b32_e32 v96, 16, v12
	v_mov_b32_e32 v14, 0
	s_mov_b32 s10, exec_lo
	v_dual_mov_b32 v87, 0 :: v_dual_and_b32 v0, 0xff, v96
	s_delay_alu instid0(VALU_DEP_1)
	v_cmpx_ne_u16_e32 0, v0
	s_cbranch_execz .LBB361_925
; %bb.918:                              ;   in Loop: Header=BB361_671 Depth=1
	v_bfrev_b32_e32 v14, 1
	s_mov_b32 s12, exec_lo
	v_cmpx_ne_u16_e32 0x80, v0
	s_cbranch_execz .LBB361_924
; %bb.919:                              ;   in Loop: Header=BB361_671 Depth=1
	v_bfe_u32 v97, v12, 16, 7
	v_mov_b32_e32 v14, 0x7fc02000
	s_mov_b32 s13, exec_lo
	s_delay_alu instid0(VALU_DEP_2)
	v_cmpx_ne_u32_e32 0x7f, v97
	s_cbranch_execz .LBB361_923
; %bb.920:                              ;   in Loop: Header=BB361_671 Depth=1
	v_and_b32_e32 v0, 7, v96
	v_lshrrev_b32_e32 v14, 3, v97
	s_mov_b32 s15, exec_lo
	v_cmpx_gt_u32_e32 8, v97
; %bb.921:                              ;   in Loop: Header=BB361_671 Depth=1
	s_delay_alu instid0(VALU_DEP_3) | instskip(NEXT) | instid1(VALU_DEP_1)
	v_clz_i32_u32_e32 v14, v0
	v_min_u32_e32 v14, 32, v14
	s_delay_alu instid0(VALU_DEP_1) | instskip(SKIP_1) | instid1(VALU_DEP_2)
	v_subrev_nc_u32_e32 v97, 28, v14
	v_sub_nc_u32_e32 v14, 29, v14
	v_lshlrev_b64 v[97:98], v97, v[0:1]
	s_delay_alu instid0(VALU_DEP_1)
	v_and_b32_e32 v0, 7, v97
; %bb.922:                              ;   in Loop: Header=BB361_671 Depth=1
	s_or_b32 exec_lo, exec_lo, s15
	v_lshlrev_b32_e32 v96, 8, v96
	v_lshl_add_u32 v14, v14, 10, 0x2000
	s_delay_alu instid0(VALU_DEP_1) | instskip(NEXT) | instid1(VALU_DEP_1)
	v_and_or_b32 v14, 0x8000, v96, v14
	v_lshl_or_b32 v0, v0, 7, v14
	s_delay_alu instid0(VALU_DEP_1)
	v_cvt_f32_f16_e32 v14, v0
.LBB361_923:                            ;   in Loop: Header=BB361_671 Depth=1
	s_or_b32 exec_lo, exec_lo, s13
.LBB361_924:                            ;   in Loop: Header=BB361_671 Depth=1
	s_delay_alu instid0(SALU_CYCLE_1)
	s_or_b32 exec_lo, exec_lo, s12
.LBB361_925:                            ;   in Loop: Header=BB361_671 Depth=1
	s_delay_alu instid0(SALU_CYCLE_1) | instskip(NEXT) | instid1(SALU_CYCLE_1)
	s_or_b32 exec_lo, exec_lo, s10
	s_mov_b32 s10, exec_lo
	v_cmpx_lt_u64_e64 s[8:9], v[11:12]
	s_cbranch_execz .LBB361_933
; %bb.926:                              ;   in Loop: Header=BB361_671 Depth=1
	v_lshrrev_b32_e32 v11, 24, v12
	v_bfrev_b32_e32 v87, 1
	s_mov_b32 s12, exec_lo
	s_delay_alu instid0(VALU_DEP_2)
	v_cmpx_ne_u32_e32 0x80, v11
	s_cbranch_execz .LBB361_932
; %bb.927:                              ;   in Loop: Header=BB361_671 Depth=1
	v_and_b32_e32 v96, 0x7f, v11
	v_mov_b32_e32 v87, 0x7fc02000
	s_mov_b32 s13, exec_lo
	s_delay_alu instid0(VALU_DEP_2)
	v_cmpx_ne_u32_e32 0x7f, v96
	s_cbranch_execz .LBB361_931
; %bb.928:                              ;   in Loop: Header=BB361_671 Depth=1
	v_and_b32_e32 v0, 7, v11
	v_lshrrev_b32_e32 v12, 3, v96
	s_mov_b32 s15, exec_lo
	v_cmpx_gt_u32_e32 8, v96
; %bb.929:                              ;   in Loop: Header=BB361_671 Depth=1
	s_delay_alu instid0(VALU_DEP_3) | instskip(NEXT) | instid1(VALU_DEP_1)
	v_clz_i32_u32_e32 v12, v0
	v_min_u32_e32 v12, 32, v12
	s_delay_alu instid0(VALU_DEP_1) | instskip(SKIP_1) | instid1(VALU_DEP_2)
	v_subrev_nc_u32_e32 v87, 28, v12
	v_sub_nc_u32_e32 v12, 29, v12
	v_lshlrev_b64 v[96:97], v87, v[0:1]
	s_delay_alu instid0(VALU_DEP_1)
	v_and_b32_e32 v0, 7, v96
; %bb.930:                              ;   in Loop: Header=BB361_671 Depth=1
	s_or_b32 exec_lo, exec_lo, s15
	v_lshlrev_b32_e32 v11, 8, v11
	v_lshl_add_u32 v12, v12, 10, 0x2000
	s_delay_alu instid0(VALU_DEP_1) | instskip(NEXT) | instid1(VALU_DEP_1)
	v_and_or_b32 v11, 0x8000, v11, v12
	v_lshl_or_b32 v0, v0, 7, v11
	s_delay_alu instid0(VALU_DEP_1)
	v_cvt_f32_f16_e32 v87, v0
.LBB361_931:                            ;   in Loop: Header=BB361_671 Depth=1
	s_or_b32 exec_lo, exec_lo, s13
.LBB361_932:                            ;   in Loop: Header=BB361_671 Depth=1
	s_delay_alu instid0(SALU_CYCLE_1)
	s_or_b32 exec_lo, exec_lo, s12
.LBB361_933:                            ;   in Loop: Header=BB361_671 Depth=1
	s_delay_alu instid0(SALU_CYCLE_1)
	s_or_b32 exec_lo, exec_lo, s10
	s_waitcnt vmcnt(0) lgkmcnt(0)
	v_fma_mixlo_f16 v12, v81, v83, 0
	v_fma_mixlo_f16 v0, v81, v85, 0
	;; [unrolled: 1-line block ×5, first 2 shown]
	v_lshlrev_b32_e32 v83, 16, v12
	v_fma_mixlo_f16 v13, v81, v13, 0
	v_fma_mixlo_f16 v85, v81, v87, 0
	v_fma_mixlo_f16 v12, v81, v14, 0
	v_lshlrev_b32_e32 v0, 16, v0
	v_and_b32_e32 v11, 0xffff, v11
	v_and_b32_e32 v14, 0xffff, v82
	v_lshlrev_b32_e32 v81, 16, v84
	v_and_b32_e32 v82, 0xffff, v13
	v_lshlrev_b32_e32 v84, 16, v85
	v_and_b32_e32 v85, 0xffff, v12
	v_or_b32_e32 v13, v0, v11
	v_or_b32_e32 v14, v83, v14
	;; [unrolled: 1-line block ×3, first 2 shown]
	s_delay_alu instid0(VALU_DEP_4)
	v_or_b32_e32 v11, v84, v85
	s_and_saveexec_b32 s10, vcc_lo
	s_cbranch_execz .LBB361_935
; %bb.934:                              ;   in Loop: Header=BB361_671 Depth=1
	v_cmp_lt_i32_e64 s0, v15, v35
	v_lshrrev_b32_e32 v81, 16, v14
	v_lshrrev_b32_e32 v82, 16, v13
	;; [unrolled: 1-line block ×4, first 2 shown]
	v_cndmask_b32_e64 v14, 0, v14, s0
	v_cmp_lt_i32_e64 s0, v54, v48
	s_delay_alu instid0(VALU_DEP_1) | instskip(SKIP_1) | instid1(VALU_DEP_2)
	v_cndmask_b32_e64 v81, 0, v81, s0
	v_cmp_lt_i32_e64 s0, v53, v48
	v_perm_b32 v14, v81, v14, 0x5040100
	s_delay_alu instid0(VALU_DEP_2) | instskip(SKIP_1) | instid1(VALU_DEP_1)
	v_cndmask_b32_e64 v82, 0, v82, s0
	v_cmp_lt_i32_e64 s0, v52, v35
	v_cndmask_b32_e64 v13, 0, v13, s0
	v_cmp_lt_i32_e64 s0, v51, v48
	s_delay_alu instid0(VALU_DEP_2) | instskip(NEXT) | instid1(VALU_DEP_2)
	v_perm_b32 v13, v82, v13, 0x5040100
	v_cndmask_b32_e64 v83, 0, v83, s0
	v_cmp_lt_i32_e64 s0, v50, v35
	s_delay_alu instid0(VALU_DEP_1) | instskip(SKIP_1) | instid1(VALU_DEP_2)
	v_cndmask_b32_e64 v0, 0, v0, s0
	v_cmp_lt_i32_e64 s0, v38, v48
	v_perm_b32 v0, v83, v0, 0x5040100
	s_delay_alu instid0(VALU_DEP_2) | instskip(SKIP_1) | instid1(VALU_DEP_1)
	v_cndmask_b32_e64 v11, 0, v11, s0
	v_cmp_lt_i32_e64 s0, v17, v35
	v_cndmask_b32_e64 v12, 0, v12, s0
	s_delay_alu instid0(VALU_DEP_1)
	v_perm_b32 v11, v11, v12, 0x5040100
.LBB361_935:                            ;   in Loop: Header=BB361_671 Depth=1
	s_or_b32 exec_lo, exec_lo, s10
	;;#ASMSTART
	v_pk_mul_f16 v12, v68, v14;

	;;#ASMEND
	;;#ASMSTART
	v_pk_mul_f16 v13, v66, v13;

	;;#ASMEND
	;; [unrolled: 4-line block ×4, first 2 shown]
	;;#ASMSTART
	v_pk_add_f16 v12, v12, v13;

	;;#ASMEND
	;;#ASMSTART
	v_pk_add_f16 v0, v12, v0;

	;;#ASMEND
	;; [unrolled: 4-line block ×3, first 2 shown]
	v_dual_mov_b32 v84, 0 :: v_dual_and_b32 v11, 0xffff, v0
	v_lshrrev_b32_e32 v0, 16, v0
	;;#ASMSTART
	v_cvt_f32_f16 v81, v11;
	;;#ASMEND
	;;#ASMSTART
	v_cvt_f32_f16 v82, v0;
	;;#ASMEND
	flat_load_b64 v[11:12], v[9:10] offset:1024
	flat_load_b32 v83, v[26:27]
	s_mov_b32 s10, exec_lo
	s_waitcnt vmcnt(1) lgkmcnt(1)
	v_dual_mov_b32 v85, 0 :: v_dual_and_b32 v0, 0xff, v11
	s_delay_alu instid0(VALU_DEP_1)
	v_cmpx_ne_u16_e32 0, v0
	s_cbranch_execz .LBB361_943
; %bb.936:                              ;   in Loop: Header=BB361_671 Depth=1
	v_bfrev_b32_e32 v84, 1
	s_mov_b32 s12, exec_lo
	v_cmpx_ne_u16_e32 0x80, v0
	s_cbranch_execz .LBB361_942
; %bb.937:                              ;   in Loop: Header=BB361_671 Depth=1
	v_and_b32_e32 v13, 0x7f, v11
	v_mov_b32_e32 v84, 0x7fc02000
	s_mov_b32 s13, exec_lo
	s_delay_alu instid0(VALU_DEP_2)
	v_cmpx_ne_u32_e32 0x7f, v13
	s_cbranch_execz .LBB361_941
; %bb.938:                              ;   in Loop: Header=BB361_671 Depth=1
	v_lshrrev_b32_e32 v0, 3, v13
	v_cmp_gt_u32_e64 s0, 8, v13
	v_dual_mov_b32 v14, v12 :: v_dual_mov_b32 v13, v11
	s_delay_alu instid0(VALU_DEP_2)
	s_and_saveexec_b32 s15, s0
; %bb.939:                              ;   in Loop: Header=BB361_671 Depth=1
	v_and_b32_e32 v0, 7, v11
	s_delay_alu instid0(VALU_DEP_1) | instskip(NEXT) | instid1(VALU_DEP_1)
	v_clz_i32_u32_e32 v0, v0
	v_min_u32_e32 v0, 32, v0
	s_delay_alu instid0(VALU_DEP_1) | instskip(SKIP_1) | instid1(VALU_DEP_2)
	v_subrev_nc_u32_e32 v13, 28, v0
	v_sub_nc_u32_e32 v0, 29, v0
	v_lshlrev_b64 v[13:14], v13, v[11:12]
; %bb.940:                              ;   in Loop: Header=BB361_671 Depth=1
	s_or_b32 exec_lo, exec_lo, s15
	v_lshlrev_b32_e32 v14, 8, v11
	s_delay_alu instid0(VALU_DEP_3) | instskip(NEXT) | instid1(VALU_DEP_3)
	v_lshl_add_u32 v0, v0, 10, 0x2000
	v_lshlrev_b32_e32 v13, 7, v13
	s_delay_alu instid0(VALU_DEP_2) | instskip(NEXT) | instid1(VALU_DEP_1)
	v_and_or_b32 v0, 0x8000, v14, v0
	v_and_or_b32 v0, 0x380, v13, v0
	s_delay_alu instid0(VALU_DEP_1)
	v_cvt_f32_f16_e32 v84, v0
.LBB361_941:                            ;   in Loop: Header=BB361_671 Depth=1
	s_or_b32 exec_lo, exec_lo, s13
.LBB361_942:                            ;   in Loop: Header=BB361_671 Depth=1
	s_delay_alu instid0(SALU_CYCLE_1)
	s_or_b32 exec_lo, exec_lo, s12
.LBB361_943:                            ;   in Loop: Header=BB361_671 Depth=1
	s_delay_alu instid0(SALU_CYCLE_1) | instskip(SKIP_2) | instid1(VALU_DEP_1)
	s_or_b32 exec_lo, exec_lo, s10
	v_lshrrev_b16 v0, 8, v11
	s_mov_b32 s10, exec_lo
	v_cmpx_ne_u16_e32 0, v0
	s_cbranch_execz .LBB361_951
; %bb.944:                              ;   in Loop: Header=BB361_671 Depth=1
	v_bfrev_b32_e32 v85, 1
	s_mov_b32 s12, exec_lo
	v_cmpx_ne_u16_e32 0x80, v0
	s_cbranch_execz .LBB361_950
; %bb.945:                              ;   in Loop: Header=BB361_671 Depth=1
	v_and_b32_e32 v13, 0xffff, v0
	v_mov_b32_e32 v85, 0x7fc02000
	s_mov_b32 s13, exec_lo
	s_delay_alu instid0(VALU_DEP_2) | instskip(NEXT) | instid1(VALU_DEP_1)
	v_and_b32_e32 v86, 0x7f, v13
	v_cmpx_ne_u32_e32 0x7f, v86
	s_cbranch_execz .LBB361_949
; %bb.946:                              ;   in Loop: Header=BB361_671 Depth=1
	v_and_b32_e32 v0, 7, v13
	v_lshrrev_b32_e32 v14, 3, v86
	s_mov_b32 s15, exec_lo
	v_cmpx_gt_u32_e32 8, v86
; %bb.947:                              ;   in Loop: Header=BB361_671 Depth=1
	s_delay_alu instid0(VALU_DEP_3) | instskip(NEXT) | instid1(VALU_DEP_1)
	v_clz_i32_u32_e32 v14, v0
	v_min_u32_e32 v14, 32, v14
	s_delay_alu instid0(VALU_DEP_1) | instskip(SKIP_1) | instid1(VALU_DEP_2)
	v_subrev_nc_u32_e32 v85, 28, v14
	v_sub_nc_u32_e32 v14, 29, v14
	v_lshlrev_b64 v[85:86], v85, v[0:1]
	s_delay_alu instid0(VALU_DEP_1)
	v_and_b32_e32 v0, 7, v85
; %bb.948:                              ;   in Loop: Header=BB361_671 Depth=1
	s_or_b32 exec_lo, exec_lo, s15
	v_lshlrev_b32_e32 v13, 8, v13
	v_lshl_add_u32 v14, v14, 10, 0x2000
	s_delay_alu instid0(VALU_DEP_1) | instskip(NEXT) | instid1(VALU_DEP_1)
	v_and_or_b32 v13, 0x8000, v13, v14
	v_lshl_or_b32 v0, v0, 7, v13
	s_delay_alu instid0(VALU_DEP_1)
	v_cvt_f32_f16_e32 v85, v0
.LBB361_949:                            ;   in Loop: Header=BB361_671 Depth=1
	s_or_b32 exec_lo, exec_lo, s13
.LBB361_950:                            ;   in Loop: Header=BB361_671 Depth=1
	s_delay_alu instid0(SALU_CYCLE_1)
	s_or_b32 exec_lo, exec_lo, s12
.LBB361_951:                            ;   in Loop: Header=BB361_671 Depth=1
	s_delay_alu instid0(SALU_CYCLE_1) | instskip(SKIP_3) | instid1(VALU_DEP_2)
	s_or_b32 exec_lo, exec_lo, s10
	v_lshrrev_b32_e32 v13, 16, v11
	v_mov_b32_e32 v86, 0
	s_mov_b32 s10, exec_lo
	v_dual_mov_b32 v87, 0 :: v_dual_and_b32 v0, 0xff, v13
	s_delay_alu instid0(VALU_DEP_1)
	v_cmpx_ne_u16_e32 0, v0
	s_cbranch_execz .LBB361_959
; %bb.952:                              ;   in Loop: Header=BB361_671 Depth=1
	v_bfrev_b32_e32 v86, 1
	s_mov_b32 s12, exec_lo
	v_cmpx_ne_u16_e32 0x80, v0
	s_cbranch_execz .LBB361_958
; %bb.953:                              ;   in Loop: Header=BB361_671 Depth=1
	v_bfe_u32 v96, v11, 16, 7
	v_mov_b32_e32 v86, 0x7fc02000
	s_mov_b32 s13, exec_lo
	s_delay_alu instid0(VALU_DEP_2)
	v_cmpx_ne_u32_e32 0x7f, v96
	s_cbranch_execz .LBB361_957
; %bb.954:                              ;   in Loop: Header=BB361_671 Depth=1
	v_and_b32_e32 v0, 7, v13
	v_lshrrev_b32_e32 v14, 3, v96
	s_mov_b32 s15, exec_lo
	v_cmpx_gt_u32_e32 8, v96
; %bb.955:                              ;   in Loop: Header=BB361_671 Depth=1
	s_delay_alu instid0(VALU_DEP_3) | instskip(NEXT) | instid1(VALU_DEP_1)
	v_clz_i32_u32_e32 v14, v0
	v_min_u32_e32 v14, 32, v14
	s_delay_alu instid0(VALU_DEP_1) | instskip(SKIP_1) | instid1(VALU_DEP_2)
	v_subrev_nc_u32_e32 v86, 28, v14
	v_sub_nc_u32_e32 v14, 29, v14
	v_lshlrev_b64 v[96:97], v86, v[0:1]
	s_delay_alu instid0(VALU_DEP_1)
	v_and_b32_e32 v0, 7, v96
; %bb.956:                              ;   in Loop: Header=BB361_671 Depth=1
	s_or_b32 exec_lo, exec_lo, s15
	v_lshlrev_b32_e32 v13, 8, v13
	v_lshl_add_u32 v14, v14, 10, 0x2000
	s_delay_alu instid0(VALU_DEP_1) | instskip(NEXT) | instid1(VALU_DEP_1)
	v_and_or_b32 v13, 0x8000, v13, v14
	v_lshl_or_b32 v0, v0, 7, v13
	s_delay_alu instid0(VALU_DEP_1)
	v_cvt_f32_f16_e32 v86, v0
.LBB361_957:                            ;   in Loop: Header=BB361_671 Depth=1
	s_or_b32 exec_lo, exec_lo, s13
.LBB361_958:                            ;   in Loop: Header=BB361_671 Depth=1
	s_delay_alu instid0(SALU_CYCLE_1)
	s_or_b32 exec_lo, exec_lo, s12
.LBB361_959:                            ;   in Loop: Header=BB361_671 Depth=1
	s_delay_alu instid0(SALU_CYCLE_1) | instskip(NEXT) | instid1(SALU_CYCLE_1)
	s_or_b32 exec_lo, exec_lo, s10
	s_mov_b32 s10, exec_lo
	v_cmpx_lt_u32_e32 0xffffff, v11
	s_cbranch_execz .LBB361_967
; %bb.960:                              ;   in Loop: Header=BB361_671 Depth=1
	v_lshrrev_b32_e32 v13, 24, v11
	v_bfrev_b32_e32 v87, 1
	s_mov_b32 s12, exec_lo
	s_delay_alu instid0(VALU_DEP_2)
	v_cmpx_ne_u32_e32 0x80, v13
	s_cbranch_execz .LBB361_966
; %bb.961:                              ;   in Loop: Header=BB361_671 Depth=1
	v_and_b32_e32 v96, 0x7f, v13
	v_mov_b32_e32 v87, 0x7fc02000
	s_mov_b32 s13, exec_lo
	s_delay_alu instid0(VALU_DEP_2)
	v_cmpx_ne_u32_e32 0x7f, v96
	s_cbranch_execz .LBB361_965
; %bb.962:                              ;   in Loop: Header=BB361_671 Depth=1
	v_and_b32_e32 v0, 7, v13
	v_lshrrev_b32_e32 v14, 3, v96
	s_mov_b32 s15, exec_lo
	v_cmpx_gt_u32_e32 8, v96
; %bb.963:                              ;   in Loop: Header=BB361_671 Depth=1
	s_delay_alu instid0(VALU_DEP_3) | instskip(NEXT) | instid1(VALU_DEP_1)
	v_clz_i32_u32_e32 v14, v0
	v_min_u32_e32 v14, 32, v14
	s_delay_alu instid0(VALU_DEP_1) | instskip(SKIP_1) | instid1(VALU_DEP_2)
	v_subrev_nc_u32_e32 v87, 28, v14
	v_sub_nc_u32_e32 v14, 29, v14
	v_lshlrev_b64 v[96:97], v87, v[0:1]
	s_delay_alu instid0(VALU_DEP_1)
	v_and_b32_e32 v0, 7, v96
; %bb.964:                              ;   in Loop: Header=BB361_671 Depth=1
	s_or_b32 exec_lo, exec_lo, s15
	v_lshlrev_b32_e32 v13, 8, v13
	v_lshl_add_u32 v14, v14, 10, 0x2000
	s_delay_alu instid0(VALU_DEP_1) | instskip(NEXT) | instid1(VALU_DEP_1)
	v_and_or_b32 v13, 0x8000, v13, v14
	v_lshl_or_b32 v0, v0, 7, v13
	s_delay_alu instid0(VALU_DEP_1)
	v_cvt_f32_f16_e32 v87, v0
.LBB361_965:                            ;   in Loop: Header=BB361_671 Depth=1
	s_or_b32 exec_lo, exec_lo, s13
.LBB361_966:                            ;   in Loop: Header=BB361_671 Depth=1
	s_delay_alu instid0(SALU_CYCLE_1)
	s_or_b32 exec_lo, exec_lo, s12
.LBB361_967:                            ;   in Loop: Header=BB361_671 Depth=1
	s_delay_alu instid0(SALU_CYCLE_1) | instskip(SKIP_4) | instid1(VALU_DEP_3)
	s_or_b32 exec_lo, exec_lo, s10
	v_dual_mov_b32 v13, 0 :: v_dual_and_b32 v14, 0xff, v12
	v_mov_b32_e32 v0, v12
	v_mov_b32_e32 v96, 0
	s_mov_b32 s10, exec_lo
	v_cmpx_ne_u16_e32 0, v14
	s_cbranch_execz .LBB361_975
; %bb.968:                              ;   in Loop: Header=BB361_671 Depth=1
	v_bfrev_b32_e32 v13, 1
	s_mov_b32 s12, exec_lo
	v_cmpx_ne_u16_e32 0x80, v14
	s_cbranch_execz .LBB361_974
; %bb.969:                              ;   in Loop: Header=BB361_671 Depth=1
	v_and_b32_e32 v14, 0x7f, v12
	v_mov_b32_e32 v13, 0x7fc02000
	s_mov_b32 s13, exec_lo
	s_delay_alu instid0(VALU_DEP_2)
	v_cmpx_ne_u32_e32 0x7f, v14
	s_cbranch_execz .LBB361_973
; %bb.970:                              ;   in Loop: Header=BB361_671 Depth=1
	v_lshrrev_b32_e32 v97, 3, v14
	v_cmp_gt_u32_e64 s0, 8, v14
	v_dual_mov_b32 v14, v1 :: v_dual_mov_b32 v13, v0
	s_delay_alu instid0(VALU_DEP_2)
	s_and_saveexec_b32 s15, s0
; %bb.971:                              ;   in Loop: Header=BB361_671 Depth=1
	v_and_b32_e32 v13, 7, v12
	s_delay_alu instid0(VALU_DEP_1) | instskip(NEXT) | instid1(VALU_DEP_1)
	v_clz_i32_u32_e32 v13, v13
	v_min_u32_e32 v97, 32, v13
	s_delay_alu instid0(VALU_DEP_1) | instskip(SKIP_1) | instid1(VALU_DEP_2)
	v_subrev_nc_u32_e32 v13, 28, v97
	v_sub_nc_u32_e32 v97, 29, v97
	v_lshlrev_b64 v[13:14], v13, v[0:1]
; %bb.972:                              ;   in Loop: Header=BB361_671 Depth=1
	s_or_b32 exec_lo, exec_lo, s15
	v_lshlrev_b32_e32 v14, 8, v12
	s_delay_alu instid0(VALU_DEP_3) | instskip(NEXT) | instid1(VALU_DEP_3)
	v_lshl_add_u32 v97, v97, 10, 0x2000
	v_lshlrev_b32_e32 v13, 7, v13
	s_delay_alu instid0(VALU_DEP_2) | instskip(NEXT) | instid1(VALU_DEP_1)
	v_and_or_b32 v14, 0x8000, v14, v97
	v_and_or_b32 v13, 0x380, v13, v14
	s_delay_alu instid0(VALU_DEP_1)
	v_cvt_f32_f16_e32 v13, v13
.LBB361_973:                            ;   in Loop: Header=BB361_671 Depth=1
	s_or_b32 exec_lo, exec_lo, s13
.LBB361_974:                            ;   in Loop: Header=BB361_671 Depth=1
	s_delay_alu instid0(SALU_CYCLE_1)
	s_or_b32 exec_lo, exec_lo, s12
.LBB361_975:                            ;   in Loop: Header=BB361_671 Depth=1
	s_delay_alu instid0(SALU_CYCLE_1) | instskip(SKIP_2) | instid1(VALU_DEP_1)
	s_or_b32 exec_lo, exec_lo, s10
	v_lshrrev_b16 v0, 8, v0
	s_mov_b32 s10, exec_lo
	v_cmpx_ne_u16_e32 0, v0
	s_cbranch_execz .LBB361_983
; %bb.976:                              ;   in Loop: Header=BB361_671 Depth=1
	v_bfrev_b32_e32 v96, 1
	s_mov_b32 s12, exec_lo
	v_cmpx_ne_u16_e32 0x80, v0
	s_cbranch_execz .LBB361_982
; %bb.977:                              ;   in Loop: Header=BB361_671 Depth=1
	v_and_b32_e32 v14, 0xffff, v0
	v_mov_b32_e32 v96, 0x7fc02000
	s_mov_b32 s13, exec_lo
	s_delay_alu instid0(VALU_DEP_2) | instskip(NEXT) | instid1(VALU_DEP_1)
	v_and_b32_e32 v97, 0x7f, v14
	v_cmpx_ne_u32_e32 0x7f, v97
	s_cbranch_execz .LBB361_981
; %bb.978:                              ;   in Loop: Header=BB361_671 Depth=1
	v_and_b32_e32 v0, 7, v14
	v_lshrrev_b32_e32 v96, 3, v97
	s_mov_b32 s15, exec_lo
	v_cmpx_gt_u32_e32 8, v97
; %bb.979:                              ;   in Loop: Header=BB361_671 Depth=1
	s_delay_alu instid0(VALU_DEP_3) | instskip(NEXT) | instid1(VALU_DEP_1)
	v_clz_i32_u32_e32 v96, v0
	v_min_u32_e32 v96, 32, v96
	s_delay_alu instid0(VALU_DEP_1) | instskip(SKIP_1) | instid1(VALU_DEP_2)
	v_subrev_nc_u32_e32 v97, 28, v96
	v_sub_nc_u32_e32 v96, 29, v96
	v_lshlrev_b64 v[97:98], v97, v[0:1]
	s_delay_alu instid0(VALU_DEP_1)
	v_and_b32_e32 v0, 7, v97
; %bb.980:                              ;   in Loop: Header=BB361_671 Depth=1
	s_or_b32 exec_lo, exec_lo, s15
	v_lshlrev_b32_e32 v14, 8, v14
	v_lshl_add_u32 v96, v96, 10, 0x2000
	s_delay_alu instid0(VALU_DEP_1) | instskip(NEXT) | instid1(VALU_DEP_1)
	v_and_or_b32 v14, 0x8000, v14, v96
	v_lshl_or_b32 v0, v0, 7, v14
	s_delay_alu instid0(VALU_DEP_1)
	v_cvt_f32_f16_e32 v96, v0
.LBB361_981:                            ;   in Loop: Header=BB361_671 Depth=1
	s_or_b32 exec_lo, exec_lo, s13
.LBB361_982:                            ;   in Loop: Header=BB361_671 Depth=1
	s_delay_alu instid0(SALU_CYCLE_1)
	s_or_b32 exec_lo, exec_lo, s12
.LBB361_983:                            ;   in Loop: Header=BB361_671 Depth=1
	s_delay_alu instid0(SALU_CYCLE_1) | instskip(SKIP_3) | instid1(VALU_DEP_2)
	s_or_b32 exec_lo, exec_lo, s10
	v_lshrrev_b32_e32 v98, 16, v12
	v_mov_b32_e32 v14, 0
	s_mov_b32 s10, exec_lo
	v_dual_mov_b32 v97, 0 :: v_dual_and_b32 v0, 0xff, v98
	s_delay_alu instid0(VALU_DEP_1)
	v_cmpx_ne_u16_e32 0, v0
	s_cbranch_execz .LBB361_991
; %bb.984:                              ;   in Loop: Header=BB361_671 Depth=1
	v_bfrev_b32_e32 v14, 1
	s_mov_b32 s12, exec_lo
	v_cmpx_ne_u16_e32 0x80, v0
	s_cbranch_execz .LBB361_990
; %bb.985:                              ;   in Loop: Header=BB361_671 Depth=1
	v_bfe_u32 v99, v12, 16, 7
	v_mov_b32_e32 v14, 0x7fc02000
	s_mov_b32 s13, exec_lo
	s_delay_alu instid0(VALU_DEP_2)
	v_cmpx_ne_u32_e32 0x7f, v99
	s_cbranch_execz .LBB361_989
; %bb.986:                              ;   in Loop: Header=BB361_671 Depth=1
	v_and_b32_e32 v0, 7, v98
	v_lshrrev_b32_e32 v14, 3, v99
	s_mov_b32 s15, exec_lo
	v_cmpx_gt_u32_e32 8, v99
; %bb.987:                              ;   in Loop: Header=BB361_671 Depth=1
	s_delay_alu instid0(VALU_DEP_3) | instskip(NEXT) | instid1(VALU_DEP_1)
	v_clz_i32_u32_e32 v14, v0
	v_min_u32_e32 v14, 32, v14
	s_delay_alu instid0(VALU_DEP_1) | instskip(SKIP_1) | instid1(VALU_DEP_2)
	v_subrev_nc_u32_e32 v99, 28, v14
	v_sub_nc_u32_e32 v14, 29, v14
	v_lshlrev_b64 v[99:100], v99, v[0:1]
	s_delay_alu instid0(VALU_DEP_1)
	v_and_b32_e32 v0, 7, v99
; %bb.988:                              ;   in Loop: Header=BB361_671 Depth=1
	s_or_b32 exec_lo, exec_lo, s15
	v_lshlrev_b32_e32 v98, 8, v98
	v_lshl_add_u32 v14, v14, 10, 0x2000
	s_delay_alu instid0(VALU_DEP_1) | instskip(NEXT) | instid1(VALU_DEP_1)
	v_and_or_b32 v14, 0x8000, v98, v14
	v_lshl_or_b32 v0, v0, 7, v14
	s_delay_alu instid0(VALU_DEP_1)
	v_cvt_f32_f16_e32 v14, v0
.LBB361_989:                            ;   in Loop: Header=BB361_671 Depth=1
	s_or_b32 exec_lo, exec_lo, s13
.LBB361_990:                            ;   in Loop: Header=BB361_671 Depth=1
	s_delay_alu instid0(SALU_CYCLE_1)
	s_or_b32 exec_lo, exec_lo, s12
.LBB361_991:                            ;   in Loop: Header=BB361_671 Depth=1
	s_delay_alu instid0(SALU_CYCLE_1) | instskip(NEXT) | instid1(SALU_CYCLE_1)
	s_or_b32 exec_lo, exec_lo, s10
	s_mov_b32 s10, exec_lo
	v_cmpx_lt_u64_e64 s[8:9], v[11:12]
	s_cbranch_execz .LBB361_999
; %bb.992:                              ;   in Loop: Header=BB361_671 Depth=1
	v_lshrrev_b32_e32 v11, 24, v12
	v_bfrev_b32_e32 v97, 1
	s_mov_b32 s12, exec_lo
	s_delay_alu instid0(VALU_DEP_2)
	v_cmpx_ne_u32_e32 0x80, v11
	s_cbranch_execz .LBB361_998
; %bb.993:                              ;   in Loop: Header=BB361_671 Depth=1
	v_and_b32_e32 v98, 0x7f, v11
	v_mov_b32_e32 v97, 0x7fc02000
	s_mov_b32 s13, exec_lo
	s_delay_alu instid0(VALU_DEP_2)
	v_cmpx_ne_u32_e32 0x7f, v98
	s_cbranch_execz .LBB361_997
; %bb.994:                              ;   in Loop: Header=BB361_671 Depth=1
	v_and_b32_e32 v0, 7, v11
	v_lshrrev_b32_e32 v12, 3, v98
	s_mov_b32 s15, exec_lo
	v_cmpx_gt_u32_e32 8, v98
; %bb.995:                              ;   in Loop: Header=BB361_671 Depth=1
	s_delay_alu instid0(VALU_DEP_3) | instskip(NEXT) | instid1(VALU_DEP_1)
	v_clz_i32_u32_e32 v12, v0
	v_min_u32_e32 v12, 32, v12
	s_delay_alu instid0(VALU_DEP_1) | instskip(SKIP_1) | instid1(VALU_DEP_2)
	v_subrev_nc_u32_e32 v97, 28, v12
	v_sub_nc_u32_e32 v12, 29, v12
	v_lshlrev_b64 v[97:98], v97, v[0:1]
	s_delay_alu instid0(VALU_DEP_1)
	v_and_b32_e32 v0, 7, v97
; %bb.996:                              ;   in Loop: Header=BB361_671 Depth=1
	s_or_b32 exec_lo, exec_lo, s15
	v_lshlrev_b32_e32 v11, 8, v11
	v_lshl_add_u32 v12, v12, 10, 0x2000
	s_delay_alu instid0(VALU_DEP_1) | instskip(NEXT) | instid1(VALU_DEP_1)
	v_and_or_b32 v11, 0x8000, v11, v12
	v_lshl_or_b32 v0, v0, 7, v11
	s_delay_alu instid0(VALU_DEP_1)
	v_cvt_f32_f16_e32 v97, v0
.LBB361_997:                            ;   in Loop: Header=BB361_671 Depth=1
	s_or_b32 exec_lo, exec_lo, s13
.LBB361_998:                            ;   in Loop: Header=BB361_671 Depth=1
	s_delay_alu instid0(SALU_CYCLE_1)
	s_or_b32 exec_lo, exec_lo, s12
.LBB361_999:                            ;   in Loop: Header=BB361_671 Depth=1
	s_delay_alu instid0(SALU_CYCLE_1)
	s_or_b32 exec_lo, exec_lo, s10
	s_waitcnt vmcnt(0) lgkmcnt(0)
	v_fma_mixlo_f16 v12, v83, v85, 0
	v_fma_mixlo_f16 v0, v83, v87, 0
	;; [unrolled: 1-line block ×5, first 2 shown]
	v_lshlrev_b32_e32 v85, 16, v12
	v_fma_mixlo_f16 v13, v83, v13, 0
	v_fma_mixlo_f16 v87, v83, v97, 0
	v_fma_mixlo_f16 v12, v83, v14, 0
	v_lshlrev_b32_e32 v0, 16, v0
	v_and_b32_e32 v11, 0xffff, v11
	v_and_b32_e32 v14, 0xffff, v84
	v_lshlrev_b32_e32 v83, 16, v86
	v_and_b32_e32 v84, 0xffff, v13
	v_lshlrev_b32_e32 v86, 16, v87
	v_and_b32_e32 v87, 0xffff, v12
	v_or_b32_e32 v13, v0, v11
	v_or_b32_e32 v14, v85, v14
	;; [unrolled: 1-line block ×3, first 2 shown]
	s_delay_alu instid0(VALU_DEP_4)
	v_or_b32_e32 v11, v86, v87
	s_and_saveexec_b32 s10, vcc_lo
	s_cbranch_execz .LBB361_1001
; %bb.1000:                             ;   in Loop: Header=BB361_671 Depth=1
	v_cmp_lt_i32_e64 s0, v15, v35
	v_lshrrev_b32_e32 v83, 16, v14
	v_lshrrev_b32_e32 v84, 16, v13
	;; [unrolled: 1-line block ×4, first 2 shown]
	v_cndmask_b32_e64 v14, 0, v14, s0
	v_cmp_lt_i32_e64 s0, v54, v48
	s_delay_alu instid0(VALU_DEP_1) | instskip(SKIP_1) | instid1(VALU_DEP_2)
	v_cndmask_b32_e64 v83, 0, v83, s0
	v_cmp_lt_i32_e64 s0, v53, v48
	v_perm_b32 v14, v83, v14, 0x5040100
	s_delay_alu instid0(VALU_DEP_2) | instskip(SKIP_1) | instid1(VALU_DEP_1)
	v_cndmask_b32_e64 v84, 0, v84, s0
	v_cmp_lt_i32_e64 s0, v52, v35
	v_cndmask_b32_e64 v13, 0, v13, s0
	v_cmp_lt_i32_e64 s0, v51, v48
	s_delay_alu instid0(VALU_DEP_2) | instskip(NEXT) | instid1(VALU_DEP_2)
	v_perm_b32 v13, v84, v13, 0x5040100
	v_cndmask_b32_e64 v85, 0, v85, s0
	v_cmp_lt_i32_e64 s0, v50, v35
	s_delay_alu instid0(VALU_DEP_1) | instskip(SKIP_1) | instid1(VALU_DEP_2)
	v_cndmask_b32_e64 v0, 0, v0, s0
	v_cmp_lt_i32_e64 s0, v38, v48
	v_perm_b32 v0, v85, v0, 0x5040100
	s_delay_alu instid0(VALU_DEP_2) | instskip(SKIP_1) | instid1(VALU_DEP_1)
	v_cndmask_b32_e64 v11, 0, v11, s0
	v_cmp_lt_i32_e64 s0, v17, v35
	v_cndmask_b32_e64 v12, 0, v12, s0
	s_delay_alu instid0(VALU_DEP_1)
	v_perm_b32 v11, v11, v12, 0x5040100
.LBB361_1001:                           ;   in Loop: Header=BB361_671 Depth=1
	s_or_b32 exec_lo, exec_lo, s10
	;;#ASMSTART
	v_pk_mul_f16 v12, v68, v14;

	;;#ASMEND
	;;#ASMSTART
	v_pk_mul_f16 v13, v66, v13;

	;;#ASMEND
	;;#ASMSTART
	v_pk_mul_f16 v0, v64, v0;

	;;#ASMEND
	;;#ASMSTART
	v_pk_mul_f16 v11, v55, v11;

	;;#ASMEND
	;;#ASMSTART
	v_pk_add_f16 v12, v12, v13;

	;;#ASMEND
	;;#ASMSTART
	v_pk_add_f16 v0, v12, v0;

	;;#ASMEND
	;; [unrolled: 4-line block ×3, first 2 shown]
	v_dual_mov_b32 v86, 0 :: v_dual_and_b32 v11, 0xffff, v0
	v_lshrrev_b32_e32 v0, 16, v0
	;;#ASMSTART
	v_cvt_f32_f16 v83, v11;
	;;#ASMEND
	;;#ASMSTART
	v_cvt_f32_f16 v84, v0;
	;;#ASMEND
	flat_load_b64 v[11:12], v[9:10] offset:1280
	flat_load_b32 v85, v[26:27]
	s_mov_b32 s10, exec_lo
	s_waitcnt vmcnt(1) lgkmcnt(1)
	v_dual_mov_b32 v87, 0 :: v_dual_and_b32 v0, 0xff, v11
	s_delay_alu instid0(VALU_DEP_1)
	v_cmpx_ne_u16_e32 0, v0
	s_cbranch_execz .LBB361_1009
; %bb.1002:                             ;   in Loop: Header=BB361_671 Depth=1
	v_bfrev_b32_e32 v86, 1
	s_mov_b32 s12, exec_lo
	v_cmpx_ne_u16_e32 0x80, v0
	s_cbranch_execz .LBB361_1008
; %bb.1003:                             ;   in Loop: Header=BB361_671 Depth=1
	v_and_b32_e32 v13, 0x7f, v11
	v_mov_b32_e32 v86, 0x7fc02000
	s_mov_b32 s13, exec_lo
	s_delay_alu instid0(VALU_DEP_2)
	v_cmpx_ne_u32_e32 0x7f, v13
	s_cbranch_execz .LBB361_1007
; %bb.1004:                             ;   in Loop: Header=BB361_671 Depth=1
	v_lshrrev_b32_e32 v0, 3, v13
	v_cmp_gt_u32_e64 s0, 8, v13
	v_dual_mov_b32 v14, v12 :: v_dual_mov_b32 v13, v11
	s_delay_alu instid0(VALU_DEP_2)
	s_and_saveexec_b32 s15, s0
; %bb.1005:                             ;   in Loop: Header=BB361_671 Depth=1
	v_and_b32_e32 v0, 7, v11
	s_delay_alu instid0(VALU_DEP_1) | instskip(NEXT) | instid1(VALU_DEP_1)
	v_clz_i32_u32_e32 v0, v0
	v_min_u32_e32 v0, 32, v0
	s_delay_alu instid0(VALU_DEP_1) | instskip(SKIP_1) | instid1(VALU_DEP_2)
	v_subrev_nc_u32_e32 v13, 28, v0
	v_sub_nc_u32_e32 v0, 29, v0
	v_lshlrev_b64 v[13:14], v13, v[11:12]
; %bb.1006:                             ;   in Loop: Header=BB361_671 Depth=1
	s_or_b32 exec_lo, exec_lo, s15
	v_lshlrev_b32_e32 v14, 8, v11
	s_delay_alu instid0(VALU_DEP_3) | instskip(NEXT) | instid1(VALU_DEP_3)
	v_lshl_add_u32 v0, v0, 10, 0x2000
	v_lshlrev_b32_e32 v13, 7, v13
	s_delay_alu instid0(VALU_DEP_2) | instskip(NEXT) | instid1(VALU_DEP_1)
	v_and_or_b32 v0, 0x8000, v14, v0
	v_and_or_b32 v0, 0x380, v13, v0
	s_delay_alu instid0(VALU_DEP_1)
	v_cvt_f32_f16_e32 v86, v0
.LBB361_1007:                           ;   in Loop: Header=BB361_671 Depth=1
	s_or_b32 exec_lo, exec_lo, s13
.LBB361_1008:                           ;   in Loop: Header=BB361_671 Depth=1
	s_delay_alu instid0(SALU_CYCLE_1)
	s_or_b32 exec_lo, exec_lo, s12
.LBB361_1009:                           ;   in Loop: Header=BB361_671 Depth=1
	s_delay_alu instid0(SALU_CYCLE_1) | instskip(SKIP_2) | instid1(VALU_DEP_1)
	s_or_b32 exec_lo, exec_lo, s10
	v_lshrrev_b16 v0, 8, v11
	s_mov_b32 s10, exec_lo
	v_cmpx_ne_u16_e32 0, v0
	s_cbranch_execz .LBB361_1017
; %bb.1010:                             ;   in Loop: Header=BB361_671 Depth=1
	v_bfrev_b32_e32 v87, 1
	s_mov_b32 s12, exec_lo
	v_cmpx_ne_u16_e32 0x80, v0
	s_cbranch_execz .LBB361_1016
; %bb.1011:                             ;   in Loop: Header=BB361_671 Depth=1
	v_and_b32_e32 v13, 0xffff, v0
	v_mov_b32_e32 v87, 0x7fc02000
	s_mov_b32 s13, exec_lo
	s_delay_alu instid0(VALU_DEP_2) | instskip(NEXT) | instid1(VALU_DEP_1)
	v_and_b32_e32 v96, 0x7f, v13
	v_cmpx_ne_u32_e32 0x7f, v96
	s_cbranch_execz .LBB361_1015
; %bb.1012:                             ;   in Loop: Header=BB361_671 Depth=1
	v_and_b32_e32 v0, 7, v13
	v_lshrrev_b32_e32 v14, 3, v96
	s_mov_b32 s15, exec_lo
	v_cmpx_gt_u32_e32 8, v96
; %bb.1013:                             ;   in Loop: Header=BB361_671 Depth=1
	s_delay_alu instid0(VALU_DEP_3) | instskip(NEXT) | instid1(VALU_DEP_1)
	v_clz_i32_u32_e32 v14, v0
	v_min_u32_e32 v14, 32, v14
	s_delay_alu instid0(VALU_DEP_1) | instskip(SKIP_1) | instid1(VALU_DEP_2)
	v_subrev_nc_u32_e32 v87, 28, v14
	v_sub_nc_u32_e32 v14, 29, v14
	v_lshlrev_b64 v[96:97], v87, v[0:1]
	s_delay_alu instid0(VALU_DEP_1)
	v_and_b32_e32 v0, 7, v96
; %bb.1014:                             ;   in Loop: Header=BB361_671 Depth=1
	s_or_b32 exec_lo, exec_lo, s15
	v_lshlrev_b32_e32 v13, 8, v13
	v_lshl_add_u32 v14, v14, 10, 0x2000
	s_delay_alu instid0(VALU_DEP_1) | instskip(NEXT) | instid1(VALU_DEP_1)
	v_and_or_b32 v13, 0x8000, v13, v14
	v_lshl_or_b32 v0, v0, 7, v13
	s_delay_alu instid0(VALU_DEP_1)
	v_cvt_f32_f16_e32 v87, v0
.LBB361_1015:                           ;   in Loop: Header=BB361_671 Depth=1
	s_or_b32 exec_lo, exec_lo, s13
.LBB361_1016:                           ;   in Loop: Header=BB361_671 Depth=1
	s_delay_alu instid0(SALU_CYCLE_1)
	s_or_b32 exec_lo, exec_lo, s12
.LBB361_1017:                           ;   in Loop: Header=BB361_671 Depth=1
	s_delay_alu instid0(SALU_CYCLE_1) | instskip(SKIP_3) | instid1(VALU_DEP_2)
	s_or_b32 exec_lo, exec_lo, s10
	v_lshrrev_b32_e32 v13, 16, v11
	v_mov_b32_e32 v96, 0
	s_mov_b32 s10, exec_lo
	v_dual_mov_b32 v97, 0 :: v_dual_and_b32 v0, 0xff, v13
	s_delay_alu instid0(VALU_DEP_1)
	v_cmpx_ne_u16_e32 0, v0
	s_cbranch_execz .LBB361_1025
; %bb.1018:                             ;   in Loop: Header=BB361_671 Depth=1
	v_bfrev_b32_e32 v96, 1
	s_mov_b32 s12, exec_lo
	v_cmpx_ne_u16_e32 0x80, v0
	s_cbranch_execz .LBB361_1024
; %bb.1019:                             ;   in Loop: Header=BB361_671 Depth=1
	v_bfe_u32 v98, v11, 16, 7
	v_mov_b32_e32 v96, 0x7fc02000
	s_mov_b32 s13, exec_lo
	s_delay_alu instid0(VALU_DEP_2)
	v_cmpx_ne_u32_e32 0x7f, v98
	s_cbranch_execz .LBB361_1023
; %bb.1020:                             ;   in Loop: Header=BB361_671 Depth=1
	v_and_b32_e32 v0, 7, v13
	v_lshrrev_b32_e32 v14, 3, v98
	s_mov_b32 s15, exec_lo
	v_cmpx_gt_u32_e32 8, v98
; %bb.1021:                             ;   in Loop: Header=BB361_671 Depth=1
	s_delay_alu instid0(VALU_DEP_3) | instskip(NEXT) | instid1(VALU_DEP_1)
	v_clz_i32_u32_e32 v14, v0
	v_min_u32_e32 v14, 32, v14
	s_delay_alu instid0(VALU_DEP_1) | instskip(SKIP_1) | instid1(VALU_DEP_2)
	v_subrev_nc_u32_e32 v96, 28, v14
	v_sub_nc_u32_e32 v14, 29, v14
	v_lshlrev_b64 v[98:99], v96, v[0:1]
	s_delay_alu instid0(VALU_DEP_1)
	v_and_b32_e32 v0, 7, v98
; %bb.1022:                             ;   in Loop: Header=BB361_671 Depth=1
	s_or_b32 exec_lo, exec_lo, s15
	v_lshlrev_b32_e32 v13, 8, v13
	v_lshl_add_u32 v14, v14, 10, 0x2000
	s_delay_alu instid0(VALU_DEP_1) | instskip(NEXT) | instid1(VALU_DEP_1)
	v_and_or_b32 v13, 0x8000, v13, v14
	v_lshl_or_b32 v0, v0, 7, v13
	s_delay_alu instid0(VALU_DEP_1)
	v_cvt_f32_f16_e32 v96, v0
.LBB361_1023:                           ;   in Loop: Header=BB361_671 Depth=1
	s_or_b32 exec_lo, exec_lo, s13
.LBB361_1024:                           ;   in Loop: Header=BB361_671 Depth=1
	s_delay_alu instid0(SALU_CYCLE_1)
	s_or_b32 exec_lo, exec_lo, s12
.LBB361_1025:                           ;   in Loop: Header=BB361_671 Depth=1
	s_delay_alu instid0(SALU_CYCLE_1) | instskip(NEXT) | instid1(SALU_CYCLE_1)
	s_or_b32 exec_lo, exec_lo, s10
	s_mov_b32 s10, exec_lo
	v_cmpx_lt_u32_e32 0xffffff, v11
	s_cbranch_execz .LBB361_1033
; %bb.1026:                             ;   in Loop: Header=BB361_671 Depth=1
	v_lshrrev_b32_e32 v13, 24, v11
	v_bfrev_b32_e32 v97, 1
	s_mov_b32 s12, exec_lo
	s_delay_alu instid0(VALU_DEP_2)
	v_cmpx_ne_u32_e32 0x80, v13
	s_cbranch_execz .LBB361_1032
; %bb.1027:                             ;   in Loop: Header=BB361_671 Depth=1
	v_and_b32_e32 v98, 0x7f, v13
	v_mov_b32_e32 v97, 0x7fc02000
	s_mov_b32 s13, exec_lo
	s_delay_alu instid0(VALU_DEP_2)
	v_cmpx_ne_u32_e32 0x7f, v98
	s_cbranch_execz .LBB361_1031
; %bb.1028:                             ;   in Loop: Header=BB361_671 Depth=1
	v_and_b32_e32 v0, 7, v13
	v_lshrrev_b32_e32 v14, 3, v98
	s_mov_b32 s15, exec_lo
	v_cmpx_gt_u32_e32 8, v98
; %bb.1029:                             ;   in Loop: Header=BB361_671 Depth=1
	s_delay_alu instid0(VALU_DEP_3) | instskip(NEXT) | instid1(VALU_DEP_1)
	v_clz_i32_u32_e32 v14, v0
	v_min_u32_e32 v14, 32, v14
	s_delay_alu instid0(VALU_DEP_1) | instskip(SKIP_1) | instid1(VALU_DEP_2)
	v_subrev_nc_u32_e32 v97, 28, v14
	v_sub_nc_u32_e32 v14, 29, v14
	v_lshlrev_b64 v[97:98], v97, v[0:1]
	s_delay_alu instid0(VALU_DEP_1)
	v_and_b32_e32 v0, 7, v97
; %bb.1030:                             ;   in Loop: Header=BB361_671 Depth=1
	s_or_b32 exec_lo, exec_lo, s15
	v_lshlrev_b32_e32 v13, 8, v13
	v_lshl_add_u32 v14, v14, 10, 0x2000
	s_delay_alu instid0(VALU_DEP_1) | instskip(NEXT) | instid1(VALU_DEP_1)
	v_and_or_b32 v13, 0x8000, v13, v14
	v_lshl_or_b32 v0, v0, 7, v13
	s_delay_alu instid0(VALU_DEP_1)
	v_cvt_f32_f16_e32 v97, v0
.LBB361_1031:                           ;   in Loop: Header=BB361_671 Depth=1
	s_or_b32 exec_lo, exec_lo, s13
.LBB361_1032:                           ;   in Loop: Header=BB361_671 Depth=1
	s_delay_alu instid0(SALU_CYCLE_1)
	s_or_b32 exec_lo, exec_lo, s12
.LBB361_1033:                           ;   in Loop: Header=BB361_671 Depth=1
	s_delay_alu instid0(SALU_CYCLE_1) | instskip(SKIP_4) | instid1(VALU_DEP_3)
	s_or_b32 exec_lo, exec_lo, s10
	v_dual_mov_b32 v13, 0 :: v_dual_and_b32 v14, 0xff, v12
	v_mov_b32_e32 v0, v12
	v_mov_b32_e32 v98, 0
	s_mov_b32 s10, exec_lo
	v_cmpx_ne_u16_e32 0, v14
	s_cbranch_execz .LBB361_1041
; %bb.1034:                             ;   in Loop: Header=BB361_671 Depth=1
	v_bfrev_b32_e32 v13, 1
	s_mov_b32 s12, exec_lo
	v_cmpx_ne_u16_e32 0x80, v14
	s_cbranch_execz .LBB361_1040
; %bb.1035:                             ;   in Loop: Header=BB361_671 Depth=1
	v_and_b32_e32 v14, 0x7f, v12
	v_mov_b32_e32 v13, 0x7fc02000
	s_mov_b32 s13, exec_lo
	s_delay_alu instid0(VALU_DEP_2)
	v_cmpx_ne_u32_e32 0x7f, v14
	s_cbranch_execz .LBB361_1039
; %bb.1036:                             ;   in Loop: Header=BB361_671 Depth=1
	v_lshrrev_b32_e32 v99, 3, v14
	v_cmp_gt_u32_e64 s0, 8, v14
	v_dual_mov_b32 v14, v1 :: v_dual_mov_b32 v13, v0
	s_delay_alu instid0(VALU_DEP_2)
	s_and_saveexec_b32 s15, s0
; %bb.1037:                             ;   in Loop: Header=BB361_671 Depth=1
	v_and_b32_e32 v13, 7, v12
	s_delay_alu instid0(VALU_DEP_1) | instskip(NEXT) | instid1(VALU_DEP_1)
	v_clz_i32_u32_e32 v13, v13
	v_min_u32_e32 v99, 32, v13
	s_delay_alu instid0(VALU_DEP_1) | instskip(SKIP_1) | instid1(VALU_DEP_2)
	v_subrev_nc_u32_e32 v13, 28, v99
	v_sub_nc_u32_e32 v99, 29, v99
	v_lshlrev_b64 v[13:14], v13, v[0:1]
; %bb.1038:                             ;   in Loop: Header=BB361_671 Depth=1
	s_or_b32 exec_lo, exec_lo, s15
	v_lshlrev_b32_e32 v14, 8, v12
	s_delay_alu instid0(VALU_DEP_3) | instskip(NEXT) | instid1(VALU_DEP_3)
	v_lshl_add_u32 v99, v99, 10, 0x2000
	v_lshlrev_b32_e32 v13, 7, v13
	s_delay_alu instid0(VALU_DEP_2) | instskip(NEXT) | instid1(VALU_DEP_1)
	v_and_or_b32 v14, 0x8000, v14, v99
	v_and_or_b32 v13, 0x380, v13, v14
	s_delay_alu instid0(VALU_DEP_1)
	v_cvt_f32_f16_e32 v13, v13
.LBB361_1039:                           ;   in Loop: Header=BB361_671 Depth=1
	s_or_b32 exec_lo, exec_lo, s13
.LBB361_1040:                           ;   in Loop: Header=BB361_671 Depth=1
	s_delay_alu instid0(SALU_CYCLE_1)
	s_or_b32 exec_lo, exec_lo, s12
.LBB361_1041:                           ;   in Loop: Header=BB361_671 Depth=1
	s_delay_alu instid0(SALU_CYCLE_1) | instskip(SKIP_2) | instid1(VALU_DEP_1)
	s_or_b32 exec_lo, exec_lo, s10
	v_lshrrev_b16 v0, 8, v0
	s_mov_b32 s10, exec_lo
	v_cmpx_ne_u16_e32 0, v0
	s_cbranch_execz .LBB361_1049
; %bb.1042:                             ;   in Loop: Header=BB361_671 Depth=1
	v_bfrev_b32_e32 v98, 1
	s_mov_b32 s12, exec_lo
	v_cmpx_ne_u16_e32 0x80, v0
	s_cbranch_execz .LBB361_1048
; %bb.1043:                             ;   in Loop: Header=BB361_671 Depth=1
	v_and_b32_e32 v14, 0xffff, v0
	v_mov_b32_e32 v98, 0x7fc02000
	s_mov_b32 s13, exec_lo
	s_delay_alu instid0(VALU_DEP_2) | instskip(NEXT) | instid1(VALU_DEP_1)
	v_and_b32_e32 v99, 0x7f, v14
	v_cmpx_ne_u32_e32 0x7f, v99
	s_cbranch_execz .LBB361_1047
; %bb.1044:                             ;   in Loop: Header=BB361_671 Depth=1
	v_and_b32_e32 v0, 7, v14
	v_lshrrev_b32_e32 v98, 3, v99
	s_mov_b32 s15, exec_lo
	v_cmpx_gt_u32_e32 8, v99
; %bb.1045:                             ;   in Loop: Header=BB361_671 Depth=1
	s_delay_alu instid0(VALU_DEP_3) | instskip(NEXT) | instid1(VALU_DEP_1)
	v_clz_i32_u32_e32 v98, v0
	v_min_u32_e32 v98, 32, v98
	s_delay_alu instid0(VALU_DEP_1) | instskip(SKIP_1) | instid1(VALU_DEP_2)
	v_subrev_nc_u32_e32 v99, 28, v98
	v_sub_nc_u32_e32 v98, 29, v98
	v_lshlrev_b64 v[99:100], v99, v[0:1]
	s_delay_alu instid0(VALU_DEP_1)
	v_and_b32_e32 v0, 7, v99
; %bb.1046:                             ;   in Loop: Header=BB361_671 Depth=1
	s_or_b32 exec_lo, exec_lo, s15
	v_lshlrev_b32_e32 v14, 8, v14
	v_lshl_add_u32 v98, v98, 10, 0x2000
	s_delay_alu instid0(VALU_DEP_1) | instskip(NEXT) | instid1(VALU_DEP_1)
	v_and_or_b32 v14, 0x8000, v14, v98
	v_lshl_or_b32 v0, v0, 7, v14
	s_delay_alu instid0(VALU_DEP_1)
	v_cvt_f32_f16_e32 v98, v0
.LBB361_1047:                           ;   in Loop: Header=BB361_671 Depth=1
	s_or_b32 exec_lo, exec_lo, s13
.LBB361_1048:                           ;   in Loop: Header=BB361_671 Depth=1
	s_delay_alu instid0(SALU_CYCLE_1)
	s_or_b32 exec_lo, exec_lo, s12
.LBB361_1049:                           ;   in Loop: Header=BB361_671 Depth=1
	s_delay_alu instid0(SALU_CYCLE_1) | instskip(SKIP_3) | instid1(VALU_DEP_2)
	s_or_b32 exec_lo, exec_lo, s10
	v_lshrrev_b32_e32 v100, 16, v12
	v_mov_b32_e32 v14, 0
	s_mov_b32 s10, exec_lo
	v_dual_mov_b32 v99, 0 :: v_dual_and_b32 v0, 0xff, v100
	s_delay_alu instid0(VALU_DEP_1)
	v_cmpx_ne_u16_e32 0, v0
	s_cbranch_execz .LBB361_1057
; %bb.1050:                             ;   in Loop: Header=BB361_671 Depth=1
	v_bfrev_b32_e32 v14, 1
	s_mov_b32 s12, exec_lo
	v_cmpx_ne_u16_e32 0x80, v0
	s_cbranch_execz .LBB361_1056
; %bb.1051:                             ;   in Loop: Header=BB361_671 Depth=1
	v_bfe_u32 v101, v12, 16, 7
	v_mov_b32_e32 v14, 0x7fc02000
	s_mov_b32 s13, exec_lo
	s_delay_alu instid0(VALU_DEP_2)
	v_cmpx_ne_u32_e32 0x7f, v101
	s_cbranch_execz .LBB361_1055
; %bb.1052:                             ;   in Loop: Header=BB361_671 Depth=1
	v_and_b32_e32 v0, 7, v100
	v_lshrrev_b32_e32 v14, 3, v101
	s_mov_b32 s15, exec_lo
	v_cmpx_gt_u32_e32 8, v101
; %bb.1053:                             ;   in Loop: Header=BB361_671 Depth=1
	s_delay_alu instid0(VALU_DEP_3) | instskip(NEXT) | instid1(VALU_DEP_1)
	v_clz_i32_u32_e32 v14, v0
	v_min_u32_e32 v14, 32, v14
	s_delay_alu instid0(VALU_DEP_1) | instskip(SKIP_1) | instid1(VALU_DEP_2)
	v_subrev_nc_u32_e32 v101, 28, v14
	v_sub_nc_u32_e32 v14, 29, v14
	v_lshlrev_b64 v[101:102], v101, v[0:1]
	s_delay_alu instid0(VALU_DEP_1)
	v_and_b32_e32 v0, 7, v101
; %bb.1054:                             ;   in Loop: Header=BB361_671 Depth=1
	s_or_b32 exec_lo, exec_lo, s15
	v_lshlrev_b32_e32 v100, 8, v100
	v_lshl_add_u32 v14, v14, 10, 0x2000
	s_delay_alu instid0(VALU_DEP_1) | instskip(NEXT) | instid1(VALU_DEP_1)
	v_and_or_b32 v14, 0x8000, v100, v14
	v_lshl_or_b32 v0, v0, 7, v14
	s_delay_alu instid0(VALU_DEP_1)
	v_cvt_f32_f16_e32 v14, v0
.LBB361_1055:                           ;   in Loop: Header=BB361_671 Depth=1
	s_or_b32 exec_lo, exec_lo, s13
.LBB361_1056:                           ;   in Loop: Header=BB361_671 Depth=1
	s_delay_alu instid0(SALU_CYCLE_1)
	s_or_b32 exec_lo, exec_lo, s12
.LBB361_1057:                           ;   in Loop: Header=BB361_671 Depth=1
	s_delay_alu instid0(SALU_CYCLE_1) | instskip(NEXT) | instid1(SALU_CYCLE_1)
	s_or_b32 exec_lo, exec_lo, s10
	s_mov_b32 s10, exec_lo
	v_cmpx_lt_u64_e64 s[8:9], v[11:12]
	s_cbranch_execz .LBB361_1065
; %bb.1058:                             ;   in Loop: Header=BB361_671 Depth=1
	v_lshrrev_b32_e32 v11, 24, v12
	v_bfrev_b32_e32 v99, 1
	s_mov_b32 s12, exec_lo
	s_delay_alu instid0(VALU_DEP_2)
	v_cmpx_ne_u32_e32 0x80, v11
	s_cbranch_execz .LBB361_1064
; %bb.1059:                             ;   in Loop: Header=BB361_671 Depth=1
	v_and_b32_e32 v100, 0x7f, v11
	v_mov_b32_e32 v99, 0x7fc02000
	s_mov_b32 s13, exec_lo
	s_delay_alu instid0(VALU_DEP_2)
	v_cmpx_ne_u32_e32 0x7f, v100
	s_cbranch_execz .LBB361_1063
; %bb.1060:                             ;   in Loop: Header=BB361_671 Depth=1
	v_and_b32_e32 v0, 7, v11
	v_lshrrev_b32_e32 v12, 3, v100
	s_mov_b32 s15, exec_lo
	v_cmpx_gt_u32_e32 8, v100
; %bb.1061:                             ;   in Loop: Header=BB361_671 Depth=1
	s_delay_alu instid0(VALU_DEP_3) | instskip(NEXT) | instid1(VALU_DEP_1)
	v_clz_i32_u32_e32 v12, v0
	v_min_u32_e32 v12, 32, v12
	s_delay_alu instid0(VALU_DEP_1) | instskip(SKIP_1) | instid1(VALU_DEP_2)
	v_subrev_nc_u32_e32 v99, 28, v12
	v_sub_nc_u32_e32 v12, 29, v12
	v_lshlrev_b64 v[99:100], v99, v[0:1]
	s_delay_alu instid0(VALU_DEP_1)
	v_and_b32_e32 v0, 7, v99
; %bb.1062:                             ;   in Loop: Header=BB361_671 Depth=1
	s_or_b32 exec_lo, exec_lo, s15
	v_lshlrev_b32_e32 v11, 8, v11
	v_lshl_add_u32 v12, v12, 10, 0x2000
	s_delay_alu instid0(VALU_DEP_1) | instskip(NEXT) | instid1(VALU_DEP_1)
	v_and_or_b32 v11, 0x8000, v11, v12
	v_lshl_or_b32 v0, v0, 7, v11
	s_delay_alu instid0(VALU_DEP_1)
	v_cvt_f32_f16_e32 v99, v0
.LBB361_1063:                           ;   in Loop: Header=BB361_671 Depth=1
	s_or_b32 exec_lo, exec_lo, s13
.LBB361_1064:                           ;   in Loop: Header=BB361_671 Depth=1
	s_delay_alu instid0(SALU_CYCLE_1)
	s_or_b32 exec_lo, exec_lo, s12
.LBB361_1065:                           ;   in Loop: Header=BB361_671 Depth=1
	s_delay_alu instid0(SALU_CYCLE_1)
	s_or_b32 exec_lo, exec_lo, s10
	s_waitcnt vmcnt(0) lgkmcnt(0)
	v_fma_mixlo_f16 v12, v85, v87, 0
	v_fma_mixlo_f16 v0, v85, v97, 0
	;; [unrolled: 1-line block ×5, first 2 shown]
	v_lshlrev_b32_e32 v87, 16, v12
	v_fma_mixlo_f16 v13, v85, v13, 0
	v_fma_mixlo_f16 v97, v85, v99, 0
	;; [unrolled: 1-line block ×3, first 2 shown]
	v_lshlrev_b32_e32 v0, 16, v0
	v_and_b32_e32 v11, 0xffff, v11
	v_and_b32_e32 v14, 0xffff, v86
	v_lshlrev_b32_e32 v85, 16, v96
	v_and_b32_e32 v86, 0xffff, v13
	v_lshlrev_b32_e32 v96, 16, v97
	v_and_b32_e32 v97, 0xffff, v12
	v_or_b32_e32 v13, v0, v11
	v_or_b32_e32 v14, v87, v14
	;; [unrolled: 1-line block ×3, first 2 shown]
	s_delay_alu instid0(VALU_DEP_4)
	v_or_b32_e32 v11, v96, v97
	s_and_saveexec_b32 s10, vcc_lo
	s_cbranch_execz .LBB361_1067
; %bb.1066:                             ;   in Loop: Header=BB361_671 Depth=1
	v_cmp_lt_i32_e64 s0, v15, v35
	v_lshrrev_b32_e32 v85, 16, v14
	v_lshrrev_b32_e32 v86, 16, v13
	;; [unrolled: 1-line block ×4, first 2 shown]
	v_cndmask_b32_e64 v14, 0, v14, s0
	v_cmp_lt_i32_e64 s0, v54, v48
	s_delay_alu instid0(VALU_DEP_1) | instskip(SKIP_1) | instid1(VALU_DEP_2)
	v_cndmask_b32_e64 v85, 0, v85, s0
	v_cmp_lt_i32_e64 s0, v53, v48
	v_perm_b32 v14, v85, v14, 0x5040100
	s_delay_alu instid0(VALU_DEP_2) | instskip(SKIP_1) | instid1(VALU_DEP_1)
	v_cndmask_b32_e64 v86, 0, v86, s0
	v_cmp_lt_i32_e64 s0, v52, v35
	v_cndmask_b32_e64 v13, 0, v13, s0
	v_cmp_lt_i32_e64 s0, v51, v48
	s_delay_alu instid0(VALU_DEP_2) | instskip(NEXT) | instid1(VALU_DEP_2)
	v_perm_b32 v13, v86, v13, 0x5040100
	v_cndmask_b32_e64 v87, 0, v87, s0
	v_cmp_lt_i32_e64 s0, v50, v35
	s_delay_alu instid0(VALU_DEP_1) | instskip(SKIP_1) | instid1(VALU_DEP_2)
	v_cndmask_b32_e64 v0, 0, v0, s0
	v_cmp_lt_i32_e64 s0, v38, v48
	v_perm_b32 v0, v87, v0, 0x5040100
	s_delay_alu instid0(VALU_DEP_2) | instskip(SKIP_1) | instid1(VALU_DEP_1)
	v_cndmask_b32_e64 v11, 0, v11, s0
	v_cmp_lt_i32_e64 s0, v17, v35
	v_cndmask_b32_e64 v12, 0, v12, s0
	s_delay_alu instid0(VALU_DEP_1)
	v_perm_b32 v11, v11, v12, 0x5040100
.LBB361_1067:                           ;   in Loop: Header=BB361_671 Depth=1
	s_or_b32 exec_lo, exec_lo, s10
	;;#ASMSTART
	v_pk_mul_f16 v12, v68, v14;

	;;#ASMEND
	;;#ASMSTART
	v_pk_mul_f16 v13, v66, v13;

	;;#ASMEND
	;; [unrolled: 4-line block ×4, first 2 shown]
	;;#ASMSTART
	v_pk_add_f16 v12, v12, v13;

	;;#ASMEND
	;;#ASMSTART
	v_pk_add_f16 v0, v12, v0;

	;;#ASMEND
	;; [unrolled: 4-line block ×3, first 2 shown]
	v_dual_mov_b32 v96, 0 :: v_dual_and_b32 v11, 0xffff, v0
	v_lshrrev_b32_e32 v0, 16, v0
	;;#ASMSTART
	v_cvt_f32_f16 v85, v11;
	;;#ASMEND
	;;#ASMSTART
	v_cvt_f32_f16 v86, v0;
	;;#ASMEND
	flat_load_b64 v[11:12], v[9:10] offset:1536
	flat_load_b32 v87, v[26:27]
	s_mov_b32 s10, exec_lo
	s_waitcnt vmcnt(1) lgkmcnt(1)
	v_dual_mov_b32 v97, 0 :: v_dual_and_b32 v0, 0xff, v11
	s_delay_alu instid0(VALU_DEP_1)
	v_cmpx_ne_u16_e32 0, v0
	s_cbranch_execz .LBB361_1075
; %bb.1068:                             ;   in Loop: Header=BB361_671 Depth=1
	v_bfrev_b32_e32 v96, 1
	s_mov_b32 s12, exec_lo
	v_cmpx_ne_u16_e32 0x80, v0
	s_cbranch_execz .LBB361_1074
; %bb.1069:                             ;   in Loop: Header=BB361_671 Depth=1
	v_and_b32_e32 v13, 0x7f, v11
	v_mov_b32_e32 v96, 0x7fc02000
	s_mov_b32 s13, exec_lo
	s_delay_alu instid0(VALU_DEP_2)
	v_cmpx_ne_u32_e32 0x7f, v13
	s_cbranch_execz .LBB361_1073
; %bb.1070:                             ;   in Loop: Header=BB361_671 Depth=1
	v_lshrrev_b32_e32 v0, 3, v13
	v_cmp_gt_u32_e64 s0, 8, v13
	v_dual_mov_b32 v14, v12 :: v_dual_mov_b32 v13, v11
	s_delay_alu instid0(VALU_DEP_2)
	s_and_saveexec_b32 s15, s0
; %bb.1071:                             ;   in Loop: Header=BB361_671 Depth=1
	v_and_b32_e32 v0, 7, v11
	s_delay_alu instid0(VALU_DEP_1) | instskip(NEXT) | instid1(VALU_DEP_1)
	v_clz_i32_u32_e32 v0, v0
	v_min_u32_e32 v0, 32, v0
	s_delay_alu instid0(VALU_DEP_1) | instskip(SKIP_1) | instid1(VALU_DEP_2)
	v_subrev_nc_u32_e32 v13, 28, v0
	v_sub_nc_u32_e32 v0, 29, v0
	v_lshlrev_b64 v[13:14], v13, v[11:12]
; %bb.1072:                             ;   in Loop: Header=BB361_671 Depth=1
	s_or_b32 exec_lo, exec_lo, s15
	v_lshlrev_b32_e32 v14, 8, v11
	s_delay_alu instid0(VALU_DEP_3) | instskip(NEXT) | instid1(VALU_DEP_3)
	v_lshl_add_u32 v0, v0, 10, 0x2000
	v_lshlrev_b32_e32 v13, 7, v13
	s_delay_alu instid0(VALU_DEP_2) | instskip(NEXT) | instid1(VALU_DEP_1)
	v_and_or_b32 v0, 0x8000, v14, v0
	v_and_or_b32 v0, 0x380, v13, v0
	s_delay_alu instid0(VALU_DEP_1)
	v_cvt_f32_f16_e32 v96, v0
.LBB361_1073:                           ;   in Loop: Header=BB361_671 Depth=1
	s_or_b32 exec_lo, exec_lo, s13
.LBB361_1074:                           ;   in Loop: Header=BB361_671 Depth=1
	s_delay_alu instid0(SALU_CYCLE_1)
	s_or_b32 exec_lo, exec_lo, s12
.LBB361_1075:                           ;   in Loop: Header=BB361_671 Depth=1
	s_delay_alu instid0(SALU_CYCLE_1) | instskip(SKIP_2) | instid1(VALU_DEP_1)
	s_or_b32 exec_lo, exec_lo, s10
	v_lshrrev_b16 v0, 8, v11
	s_mov_b32 s10, exec_lo
	v_cmpx_ne_u16_e32 0, v0
	s_cbranch_execz .LBB361_1083
; %bb.1076:                             ;   in Loop: Header=BB361_671 Depth=1
	v_bfrev_b32_e32 v97, 1
	s_mov_b32 s12, exec_lo
	v_cmpx_ne_u16_e32 0x80, v0
	s_cbranch_execz .LBB361_1082
; %bb.1077:                             ;   in Loop: Header=BB361_671 Depth=1
	v_and_b32_e32 v13, 0xffff, v0
	v_mov_b32_e32 v97, 0x7fc02000
	s_mov_b32 s13, exec_lo
	s_delay_alu instid0(VALU_DEP_2) | instskip(NEXT) | instid1(VALU_DEP_1)
	v_and_b32_e32 v98, 0x7f, v13
	v_cmpx_ne_u32_e32 0x7f, v98
	s_cbranch_execz .LBB361_1081
; %bb.1078:                             ;   in Loop: Header=BB361_671 Depth=1
	v_and_b32_e32 v0, 7, v13
	v_lshrrev_b32_e32 v14, 3, v98
	s_mov_b32 s15, exec_lo
	v_cmpx_gt_u32_e32 8, v98
; %bb.1079:                             ;   in Loop: Header=BB361_671 Depth=1
	s_delay_alu instid0(VALU_DEP_3) | instskip(NEXT) | instid1(VALU_DEP_1)
	v_clz_i32_u32_e32 v14, v0
	v_min_u32_e32 v14, 32, v14
	s_delay_alu instid0(VALU_DEP_1) | instskip(SKIP_1) | instid1(VALU_DEP_2)
	v_subrev_nc_u32_e32 v97, 28, v14
	v_sub_nc_u32_e32 v14, 29, v14
	v_lshlrev_b64 v[97:98], v97, v[0:1]
	s_delay_alu instid0(VALU_DEP_1)
	v_and_b32_e32 v0, 7, v97
; %bb.1080:                             ;   in Loop: Header=BB361_671 Depth=1
	s_or_b32 exec_lo, exec_lo, s15
	v_lshlrev_b32_e32 v13, 8, v13
	v_lshl_add_u32 v14, v14, 10, 0x2000
	s_delay_alu instid0(VALU_DEP_1) | instskip(NEXT) | instid1(VALU_DEP_1)
	v_and_or_b32 v13, 0x8000, v13, v14
	v_lshl_or_b32 v0, v0, 7, v13
	s_delay_alu instid0(VALU_DEP_1)
	v_cvt_f32_f16_e32 v97, v0
.LBB361_1081:                           ;   in Loop: Header=BB361_671 Depth=1
	s_or_b32 exec_lo, exec_lo, s13
.LBB361_1082:                           ;   in Loop: Header=BB361_671 Depth=1
	s_delay_alu instid0(SALU_CYCLE_1)
	s_or_b32 exec_lo, exec_lo, s12
.LBB361_1083:                           ;   in Loop: Header=BB361_671 Depth=1
	s_delay_alu instid0(SALU_CYCLE_1) | instskip(SKIP_3) | instid1(VALU_DEP_2)
	s_or_b32 exec_lo, exec_lo, s10
	v_lshrrev_b32_e32 v13, 16, v11
	v_mov_b32_e32 v98, 0
	s_mov_b32 s10, exec_lo
	v_dual_mov_b32 v99, 0 :: v_dual_and_b32 v0, 0xff, v13
	s_delay_alu instid0(VALU_DEP_1)
	v_cmpx_ne_u16_e32 0, v0
	s_cbranch_execz .LBB361_1091
; %bb.1084:                             ;   in Loop: Header=BB361_671 Depth=1
	v_bfrev_b32_e32 v98, 1
	s_mov_b32 s12, exec_lo
	v_cmpx_ne_u16_e32 0x80, v0
	s_cbranch_execz .LBB361_1090
; %bb.1085:                             ;   in Loop: Header=BB361_671 Depth=1
	v_bfe_u32 v100, v11, 16, 7
	v_mov_b32_e32 v98, 0x7fc02000
	s_mov_b32 s13, exec_lo
	s_delay_alu instid0(VALU_DEP_2)
	v_cmpx_ne_u32_e32 0x7f, v100
	s_cbranch_execz .LBB361_1089
; %bb.1086:                             ;   in Loop: Header=BB361_671 Depth=1
	v_and_b32_e32 v0, 7, v13
	v_lshrrev_b32_e32 v14, 3, v100
	s_mov_b32 s15, exec_lo
	v_cmpx_gt_u32_e32 8, v100
; %bb.1087:                             ;   in Loop: Header=BB361_671 Depth=1
	s_delay_alu instid0(VALU_DEP_3) | instskip(NEXT) | instid1(VALU_DEP_1)
	v_clz_i32_u32_e32 v14, v0
	v_min_u32_e32 v14, 32, v14
	s_delay_alu instid0(VALU_DEP_1) | instskip(SKIP_1) | instid1(VALU_DEP_2)
	v_subrev_nc_u32_e32 v98, 28, v14
	v_sub_nc_u32_e32 v14, 29, v14
	v_lshlrev_b64 v[100:101], v98, v[0:1]
	s_delay_alu instid0(VALU_DEP_1)
	v_and_b32_e32 v0, 7, v100
; %bb.1088:                             ;   in Loop: Header=BB361_671 Depth=1
	s_or_b32 exec_lo, exec_lo, s15
	v_lshlrev_b32_e32 v13, 8, v13
	v_lshl_add_u32 v14, v14, 10, 0x2000
	s_delay_alu instid0(VALU_DEP_1) | instskip(NEXT) | instid1(VALU_DEP_1)
	v_and_or_b32 v13, 0x8000, v13, v14
	v_lshl_or_b32 v0, v0, 7, v13
	s_delay_alu instid0(VALU_DEP_1)
	v_cvt_f32_f16_e32 v98, v0
.LBB361_1089:                           ;   in Loop: Header=BB361_671 Depth=1
	s_or_b32 exec_lo, exec_lo, s13
.LBB361_1090:                           ;   in Loop: Header=BB361_671 Depth=1
	s_delay_alu instid0(SALU_CYCLE_1)
	s_or_b32 exec_lo, exec_lo, s12
.LBB361_1091:                           ;   in Loop: Header=BB361_671 Depth=1
	s_delay_alu instid0(SALU_CYCLE_1) | instskip(NEXT) | instid1(SALU_CYCLE_1)
	s_or_b32 exec_lo, exec_lo, s10
	s_mov_b32 s10, exec_lo
	v_cmpx_lt_u32_e32 0xffffff, v11
	s_cbranch_execz .LBB361_1099
; %bb.1092:                             ;   in Loop: Header=BB361_671 Depth=1
	v_lshrrev_b32_e32 v13, 24, v11
	v_bfrev_b32_e32 v99, 1
	s_mov_b32 s12, exec_lo
	s_delay_alu instid0(VALU_DEP_2)
	v_cmpx_ne_u32_e32 0x80, v13
	s_cbranch_execz .LBB361_1098
; %bb.1093:                             ;   in Loop: Header=BB361_671 Depth=1
	v_and_b32_e32 v100, 0x7f, v13
	v_mov_b32_e32 v99, 0x7fc02000
	s_mov_b32 s13, exec_lo
	s_delay_alu instid0(VALU_DEP_2)
	v_cmpx_ne_u32_e32 0x7f, v100
	s_cbranch_execz .LBB361_1097
; %bb.1094:                             ;   in Loop: Header=BB361_671 Depth=1
	v_and_b32_e32 v0, 7, v13
	v_lshrrev_b32_e32 v14, 3, v100
	s_mov_b32 s15, exec_lo
	v_cmpx_gt_u32_e32 8, v100
; %bb.1095:                             ;   in Loop: Header=BB361_671 Depth=1
	s_delay_alu instid0(VALU_DEP_3) | instskip(NEXT) | instid1(VALU_DEP_1)
	v_clz_i32_u32_e32 v14, v0
	v_min_u32_e32 v14, 32, v14
	s_delay_alu instid0(VALU_DEP_1) | instskip(SKIP_1) | instid1(VALU_DEP_2)
	v_subrev_nc_u32_e32 v99, 28, v14
	v_sub_nc_u32_e32 v14, 29, v14
	v_lshlrev_b64 v[99:100], v99, v[0:1]
	s_delay_alu instid0(VALU_DEP_1)
	v_and_b32_e32 v0, 7, v99
; %bb.1096:                             ;   in Loop: Header=BB361_671 Depth=1
	s_or_b32 exec_lo, exec_lo, s15
	v_lshlrev_b32_e32 v13, 8, v13
	v_lshl_add_u32 v14, v14, 10, 0x2000
	s_delay_alu instid0(VALU_DEP_1) | instskip(NEXT) | instid1(VALU_DEP_1)
	v_and_or_b32 v13, 0x8000, v13, v14
	v_lshl_or_b32 v0, v0, 7, v13
	s_delay_alu instid0(VALU_DEP_1)
	v_cvt_f32_f16_e32 v99, v0
.LBB361_1097:                           ;   in Loop: Header=BB361_671 Depth=1
	s_or_b32 exec_lo, exec_lo, s13
.LBB361_1098:                           ;   in Loop: Header=BB361_671 Depth=1
	s_delay_alu instid0(SALU_CYCLE_1)
	s_or_b32 exec_lo, exec_lo, s12
.LBB361_1099:                           ;   in Loop: Header=BB361_671 Depth=1
	s_delay_alu instid0(SALU_CYCLE_1) | instskip(SKIP_4) | instid1(VALU_DEP_3)
	s_or_b32 exec_lo, exec_lo, s10
	v_dual_mov_b32 v13, 0 :: v_dual_and_b32 v14, 0xff, v12
	v_mov_b32_e32 v0, v12
	v_mov_b32_e32 v100, 0
	s_mov_b32 s10, exec_lo
	v_cmpx_ne_u16_e32 0, v14
	s_cbranch_execz .LBB361_1107
; %bb.1100:                             ;   in Loop: Header=BB361_671 Depth=1
	v_bfrev_b32_e32 v13, 1
	s_mov_b32 s12, exec_lo
	v_cmpx_ne_u16_e32 0x80, v14
	s_cbranch_execz .LBB361_1106
; %bb.1101:                             ;   in Loop: Header=BB361_671 Depth=1
	v_and_b32_e32 v14, 0x7f, v12
	v_mov_b32_e32 v13, 0x7fc02000
	s_mov_b32 s13, exec_lo
	s_delay_alu instid0(VALU_DEP_2)
	v_cmpx_ne_u32_e32 0x7f, v14
	s_cbranch_execz .LBB361_1105
; %bb.1102:                             ;   in Loop: Header=BB361_671 Depth=1
	v_lshrrev_b32_e32 v101, 3, v14
	v_cmp_gt_u32_e64 s0, 8, v14
	v_dual_mov_b32 v14, v1 :: v_dual_mov_b32 v13, v0
	s_delay_alu instid0(VALU_DEP_2)
	s_and_saveexec_b32 s15, s0
; %bb.1103:                             ;   in Loop: Header=BB361_671 Depth=1
	v_and_b32_e32 v13, 7, v12
	s_delay_alu instid0(VALU_DEP_1) | instskip(NEXT) | instid1(VALU_DEP_1)
	v_clz_i32_u32_e32 v13, v13
	v_min_u32_e32 v101, 32, v13
	s_delay_alu instid0(VALU_DEP_1) | instskip(SKIP_1) | instid1(VALU_DEP_2)
	v_subrev_nc_u32_e32 v13, 28, v101
	v_sub_nc_u32_e32 v101, 29, v101
	v_lshlrev_b64 v[13:14], v13, v[0:1]
; %bb.1104:                             ;   in Loop: Header=BB361_671 Depth=1
	s_or_b32 exec_lo, exec_lo, s15
	v_lshlrev_b32_e32 v14, 8, v12
	s_delay_alu instid0(VALU_DEP_3) | instskip(NEXT) | instid1(VALU_DEP_3)
	v_lshl_add_u32 v101, v101, 10, 0x2000
	v_lshlrev_b32_e32 v13, 7, v13
	s_delay_alu instid0(VALU_DEP_2) | instskip(NEXT) | instid1(VALU_DEP_1)
	v_and_or_b32 v14, 0x8000, v14, v101
	v_and_or_b32 v13, 0x380, v13, v14
	s_delay_alu instid0(VALU_DEP_1)
	v_cvt_f32_f16_e32 v13, v13
.LBB361_1105:                           ;   in Loop: Header=BB361_671 Depth=1
	s_or_b32 exec_lo, exec_lo, s13
.LBB361_1106:                           ;   in Loop: Header=BB361_671 Depth=1
	s_delay_alu instid0(SALU_CYCLE_1)
	s_or_b32 exec_lo, exec_lo, s12
.LBB361_1107:                           ;   in Loop: Header=BB361_671 Depth=1
	s_delay_alu instid0(SALU_CYCLE_1) | instskip(SKIP_2) | instid1(VALU_DEP_1)
	s_or_b32 exec_lo, exec_lo, s10
	v_lshrrev_b16 v0, 8, v0
	s_mov_b32 s10, exec_lo
	v_cmpx_ne_u16_e32 0, v0
	s_cbranch_execz .LBB361_1115
; %bb.1108:                             ;   in Loop: Header=BB361_671 Depth=1
	v_bfrev_b32_e32 v100, 1
	s_mov_b32 s12, exec_lo
	v_cmpx_ne_u16_e32 0x80, v0
	s_cbranch_execz .LBB361_1114
; %bb.1109:                             ;   in Loop: Header=BB361_671 Depth=1
	v_and_b32_e32 v14, 0xffff, v0
	v_mov_b32_e32 v100, 0x7fc02000
	s_mov_b32 s13, exec_lo
	s_delay_alu instid0(VALU_DEP_2) | instskip(NEXT) | instid1(VALU_DEP_1)
	v_and_b32_e32 v101, 0x7f, v14
	v_cmpx_ne_u32_e32 0x7f, v101
	s_cbranch_execz .LBB361_1113
; %bb.1110:                             ;   in Loop: Header=BB361_671 Depth=1
	v_and_b32_e32 v0, 7, v14
	v_lshrrev_b32_e32 v100, 3, v101
	s_mov_b32 s15, exec_lo
	v_cmpx_gt_u32_e32 8, v101
; %bb.1111:                             ;   in Loop: Header=BB361_671 Depth=1
	s_delay_alu instid0(VALU_DEP_3) | instskip(NEXT) | instid1(VALU_DEP_1)
	v_clz_i32_u32_e32 v100, v0
	v_min_u32_e32 v100, 32, v100
	s_delay_alu instid0(VALU_DEP_1) | instskip(SKIP_1) | instid1(VALU_DEP_2)
	v_subrev_nc_u32_e32 v101, 28, v100
	v_sub_nc_u32_e32 v100, 29, v100
	v_lshlrev_b64 v[101:102], v101, v[0:1]
	s_delay_alu instid0(VALU_DEP_1)
	v_and_b32_e32 v0, 7, v101
; %bb.1112:                             ;   in Loop: Header=BB361_671 Depth=1
	s_or_b32 exec_lo, exec_lo, s15
	v_lshlrev_b32_e32 v14, 8, v14
	v_lshl_add_u32 v100, v100, 10, 0x2000
	s_delay_alu instid0(VALU_DEP_1) | instskip(NEXT) | instid1(VALU_DEP_1)
	v_and_or_b32 v14, 0x8000, v14, v100
	v_lshl_or_b32 v0, v0, 7, v14
	s_delay_alu instid0(VALU_DEP_1)
	v_cvt_f32_f16_e32 v100, v0
.LBB361_1113:                           ;   in Loop: Header=BB361_671 Depth=1
	s_or_b32 exec_lo, exec_lo, s13
.LBB361_1114:                           ;   in Loop: Header=BB361_671 Depth=1
	s_delay_alu instid0(SALU_CYCLE_1)
	s_or_b32 exec_lo, exec_lo, s12
.LBB361_1115:                           ;   in Loop: Header=BB361_671 Depth=1
	s_delay_alu instid0(SALU_CYCLE_1) | instskip(SKIP_3) | instid1(VALU_DEP_2)
	s_or_b32 exec_lo, exec_lo, s10
	v_lshrrev_b32_e32 v102, 16, v12
	v_mov_b32_e32 v14, 0
	s_mov_b32 s10, exec_lo
	v_dual_mov_b32 v101, 0 :: v_dual_and_b32 v0, 0xff, v102
	s_delay_alu instid0(VALU_DEP_1)
	v_cmpx_ne_u16_e32 0, v0
	s_cbranch_execz .LBB361_1123
; %bb.1116:                             ;   in Loop: Header=BB361_671 Depth=1
	v_bfrev_b32_e32 v14, 1
	s_mov_b32 s12, exec_lo
	v_cmpx_ne_u16_e32 0x80, v0
	s_cbranch_execz .LBB361_1122
; %bb.1117:                             ;   in Loop: Header=BB361_671 Depth=1
	v_bfe_u32 v103, v12, 16, 7
	v_mov_b32_e32 v14, 0x7fc02000
	s_mov_b32 s13, exec_lo
	s_delay_alu instid0(VALU_DEP_2)
	v_cmpx_ne_u32_e32 0x7f, v103
	s_cbranch_execz .LBB361_1121
; %bb.1118:                             ;   in Loop: Header=BB361_671 Depth=1
	v_and_b32_e32 v0, 7, v102
	v_lshrrev_b32_e32 v14, 3, v103
	s_mov_b32 s15, exec_lo
	v_cmpx_gt_u32_e32 8, v103
; %bb.1119:                             ;   in Loop: Header=BB361_671 Depth=1
	s_delay_alu instid0(VALU_DEP_3) | instskip(NEXT) | instid1(VALU_DEP_1)
	v_clz_i32_u32_e32 v14, v0
	v_min_u32_e32 v14, 32, v14
	s_delay_alu instid0(VALU_DEP_1) | instskip(SKIP_1) | instid1(VALU_DEP_2)
	v_subrev_nc_u32_e32 v103, 28, v14
	v_sub_nc_u32_e32 v14, 29, v14
	v_lshlrev_b64 v[112:113], v103, v[0:1]
	s_delay_alu instid0(VALU_DEP_1)
	v_and_b32_e32 v0, 7, v112
; %bb.1120:                             ;   in Loop: Header=BB361_671 Depth=1
	s_or_b32 exec_lo, exec_lo, s15
	v_lshlrev_b32_e32 v102, 8, v102
	v_lshl_add_u32 v14, v14, 10, 0x2000
	s_delay_alu instid0(VALU_DEP_1) | instskip(NEXT) | instid1(VALU_DEP_1)
	v_and_or_b32 v14, 0x8000, v102, v14
	v_lshl_or_b32 v0, v0, 7, v14
	s_delay_alu instid0(VALU_DEP_1)
	v_cvt_f32_f16_e32 v14, v0
.LBB361_1121:                           ;   in Loop: Header=BB361_671 Depth=1
	s_or_b32 exec_lo, exec_lo, s13
.LBB361_1122:                           ;   in Loop: Header=BB361_671 Depth=1
	s_delay_alu instid0(SALU_CYCLE_1)
	s_or_b32 exec_lo, exec_lo, s12
.LBB361_1123:                           ;   in Loop: Header=BB361_671 Depth=1
	s_delay_alu instid0(SALU_CYCLE_1) | instskip(NEXT) | instid1(SALU_CYCLE_1)
	s_or_b32 exec_lo, exec_lo, s10
	s_mov_b32 s10, exec_lo
	v_cmpx_lt_u64_e64 s[8:9], v[11:12]
	s_cbranch_execz .LBB361_1131
; %bb.1124:                             ;   in Loop: Header=BB361_671 Depth=1
	v_lshrrev_b32_e32 v11, 24, v12
	v_bfrev_b32_e32 v101, 1
	s_mov_b32 s12, exec_lo
	s_delay_alu instid0(VALU_DEP_2)
	v_cmpx_ne_u32_e32 0x80, v11
	s_cbranch_execz .LBB361_1130
; %bb.1125:                             ;   in Loop: Header=BB361_671 Depth=1
	v_and_b32_e32 v102, 0x7f, v11
	v_mov_b32_e32 v101, 0x7fc02000
	s_mov_b32 s13, exec_lo
	s_delay_alu instid0(VALU_DEP_2)
	v_cmpx_ne_u32_e32 0x7f, v102
	s_cbranch_execz .LBB361_1129
; %bb.1126:                             ;   in Loop: Header=BB361_671 Depth=1
	v_and_b32_e32 v0, 7, v11
	v_lshrrev_b32_e32 v12, 3, v102
	s_mov_b32 s15, exec_lo
	v_cmpx_gt_u32_e32 8, v102
; %bb.1127:                             ;   in Loop: Header=BB361_671 Depth=1
	s_delay_alu instid0(VALU_DEP_3) | instskip(NEXT) | instid1(VALU_DEP_1)
	v_clz_i32_u32_e32 v12, v0
	v_min_u32_e32 v12, 32, v12
	s_delay_alu instid0(VALU_DEP_1) | instskip(SKIP_1) | instid1(VALU_DEP_2)
	v_subrev_nc_u32_e32 v101, 28, v12
	v_sub_nc_u32_e32 v12, 29, v12
	v_lshlrev_b64 v[101:102], v101, v[0:1]
	s_delay_alu instid0(VALU_DEP_1)
	v_and_b32_e32 v0, 7, v101
; %bb.1128:                             ;   in Loop: Header=BB361_671 Depth=1
	s_or_b32 exec_lo, exec_lo, s15
	v_lshlrev_b32_e32 v11, 8, v11
	v_lshl_add_u32 v12, v12, 10, 0x2000
	s_delay_alu instid0(VALU_DEP_1) | instskip(NEXT) | instid1(VALU_DEP_1)
	v_and_or_b32 v11, 0x8000, v11, v12
	v_lshl_or_b32 v0, v0, 7, v11
	s_delay_alu instid0(VALU_DEP_1)
	v_cvt_f32_f16_e32 v101, v0
.LBB361_1129:                           ;   in Loop: Header=BB361_671 Depth=1
	s_or_b32 exec_lo, exec_lo, s13
.LBB361_1130:                           ;   in Loop: Header=BB361_671 Depth=1
	s_delay_alu instid0(SALU_CYCLE_1)
	s_or_b32 exec_lo, exec_lo, s12
.LBB361_1131:                           ;   in Loop: Header=BB361_671 Depth=1
	s_delay_alu instid0(SALU_CYCLE_1)
	s_or_b32 exec_lo, exec_lo, s10
	s_waitcnt vmcnt(0) lgkmcnt(0)
	v_fma_mixlo_f16 v12, v87, v97, 0
	v_fma_mixlo_f16 v0, v87, v99, 0
	v_fma_mixlo_f16 v11, v87, v98, 0
	v_fma_mixlo_f16 v96, v87, v96, 0
	v_fma_mixlo_f16 v98, v87, v100, 0
	v_lshlrev_b32_e32 v97, 16, v12
	v_fma_mixlo_f16 v13, v87, v13, 0
	v_fma_mixlo_f16 v99, v87, v101, 0
	;; [unrolled: 1-line block ×3, first 2 shown]
	v_lshlrev_b32_e32 v0, 16, v0
	v_and_b32_e32 v11, 0xffff, v11
	v_and_b32_e32 v14, 0xffff, v96
	v_lshlrev_b32_e32 v87, 16, v98
	v_and_b32_e32 v96, 0xffff, v13
	v_lshlrev_b32_e32 v98, 16, v99
	v_and_b32_e32 v99, 0xffff, v12
	v_or_b32_e32 v13, v0, v11
	v_or_b32_e32 v14, v97, v14
	;; [unrolled: 1-line block ×3, first 2 shown]
	s_delay_alu instid0(VALU_DEP_4)
	v_or_b32_e32 v11, v98, v99
	s_and_saveexec_b32 s10, vcc_lo
	s_cbranch_execz .LBB361_1133
; %bb.1132:                             ;   in Loop: Header=BB361_671 Depth=1
	v_cmp_lt_i32_e64 s0, v15, v35
	v_lshrrev_b32_e32 v87, 16, v14
	v_lshrrev_b32_e32 v96, 16, v13
	;; [unrolled: 1-line block ×4, first 2 shown]
	v_cndmask_b32_e64 v14, 0, v14, s0
	v_cmp_lt_i32_e64 s0, v54, v48
	s_delay_alu instid0(VALU_DEP_1) | instskip(SKIP_1) | instid1(VALU_DEP_2)
	v_cndmask_b32_e64 v87, 0, v87, s0
	v_cmp_lt_i32_e64 s0, v53, v48
	v_perm_b32 v14, v87, v14, 0x5040100
	s_delay_alu instid0(VALU_DEP_2) | instskip(SKIP_1) | instid1(VALU_DEP_1)
	v_cndmask_b32_e64 v96, 0, v96, s0
	v_cmp_lt_i32_e64 s0, v52, v35
	v_cndmask_b32_e64 v13, 0, v13, s0
	v_cmp_lt_i32_e64 s0, v51, v48
	s_delay_alu instid0(VALU_DEP_2) | instskip(NEXT) | instid1(VALU_DEP_2)
	v_perm_b32 v13, v96, v13, 0x5040100
	v_cndmask_b32_e64 v97, 0, v97, s0
	v_cmp_lt_i32_e64 s0, v50, v35
	s_delay_alu instid0(VALU_DEP_1) | instskip(SKIP_1) | instid1(VALU_DEP_2)
	v_cndmask_b32_e64 v0, 0, v0, s0
	v_cmp_lt_i32_e64 s0, v38, v48
	v_perm_b32 v0, v97, v0, 0x5040100
	s_delay_alu instid0(VALU_DEP_2) | instskip(SKIP_1) | instid1(VALU_DEP_1)
	v_cndmask_b32_e64 v11, 0, v11, s0
	v_cmp_lt_i32_e64 s0, v17, v35
	v_cndmask_b32_e64 v12, 0, v12, s0
	s_delay_alu instid0(VALU_DEP_1)
	v_perm_b32 v11, v11, v12, 0x5040100
.LBB361_1133:                           ;   in Loop: Header=BB361_671 Depth=1
	s_or_b32 exec_lo, exec_lo, s10
	;;#ASMSTART
	v_pk_mul_f16 v12, v68, v14;

	;;#ASMEND
	;;#ASMSTART
	v_pk_mul_f16 v13, v66, v13;

	;;#ASMEND
	;; [unrolled: 4-line block ×4, first 2 shown]
	;;#ASMSTART
	v_pk_add_f16 v12, v12, v13;

	;;#ASMEND
	;;#ASMSTART
	v_pk_add_f16 v0, v12, v0;

	;;#ASMEND
	;; [unrolled: 4-line block ×3, first 2 shown]
	v_dual_mov_b32 v98, 0 :: v_dual_and_b32 v11, 0xffff, v0
	v_lshrrev_b32_e32 v0, 16, v0
	;;#ASMSTART
	v_cvt_f32_f16 v87, v11;
	;;#ASMEND
	;;#ASMSTART
	v_cvt_f32_f16 v96, v0;
	;;#ASMEND
	flat_load_b64 v[11:12], v[9:10] offset:1792
	flat_load_b32 v97, v[26:27]
	s_mov_b32 s10, exec_lo
	s_waitcnt vmcnt(1) lgkmcnt(1)
	v_dual_mov_b32 v99, 0 :: v_dual_and_b32 v0, 0xff, v11
	s_delay_alu instid0(VALU_DEP_1)
	v_cmpx_ne_u16_e32 0, v0
	s_cbranch_execz .LBB361_1141
; %bb.1134:                             ;   in Loop: Header=BB361_671 Depth=1
	v_bfrev_b32_e32 v98, 1
	s_mov_b32 s12, exec_lo
	v_cmpx_ne_u16_e32 0x80, v0
	s_cbranch_execz .LBB361_1140
; %bb.1135:                             ;   in Loop: Header=BB361_671 Depth=1
	v_and_b32_e32 v13, 0x7f, v11
	v_mov_b32_e32 v98, 0x7fc02000
	s_mov_b32 s13, exec_lo
	s_delay_alu instid0(VALU_DEP_2)
	v_cmpx_ne_u32_e32 0x7f, v13
	s_cbranch_execz .LBB361_1139
; %bb.1136:                             ;   in Loop: Header=BB361_671 Depth=1
	v_lshrrev_b32_e32 v0, 3, v13
	v_cmp_gt_u32_e64 s0, 8, v13
	v_dual_mov_b32 v14, v12 :: v_dual_mov_b32 v13, v11
	s_delay_alu instid0(VALU_DEP_2)
	s_and_saveexec_b32 s15, s0
; %bb.1137:                             ;   in Loop: Header=BB361_671 Depth=1
	v_and_b32_e32 v0, 7, v11
	s_delay_alu instid0(VALU_DEP_1) | instskip(NEXT) | instid1(VALU_DEP_1)
	v_clz_i32_u32_e32 v0, v0
	v_min_u32_e32 v0, 32, v0
	s_delay_alu instid0(VALU_DEP_1) | instskip(SKIP_1) | instid1(VALU_DEP_2)
	v_subrev_nc_u32_e32 v13, 28, v0
	v_sub_nc_u32_e32 v0, 29, v0
	v_lshlrev_b64 v[13:14], v13, v[11:12]
; %bb.1138:                             ;   in Loop: Header=BB361_671 Depth=1
	s_or_b32 exec_lo, exec_lo, s15
	v_lshlrev_b32_e32 v14, 8, v11
	s_delay_alu instid0(VALU_DEP_3) | instskip(NEXT) | instid1(VALU_DEP_3)
	v_lshl_add_u32 v0, v0, 10, 0x2000
	v_lshlrev_b32_e32 v13, 7, v13
	s_delay_alu instid0(VALU_DEP_2) | instskip(NEXT) | instid1(VALU_DEP_1)
	v_and_or_b32 v0, 0x8000, v14, v0
	v_and_or_b32 v0, 0x380, v13, v0
	s_delay_alu instid0(VALU_DEP_1)
	v_cvt_f32_f16_e32 v98, v0
.LBB361_1139:                           ;   in Loop: Header=BB361_671 Depth=1
	s_or_b32 exec_lo, exec_lo, s13
.LBB361_1140:                           ;   in Loop: Header=BB361_671 Depth=1
	s_delay_alu instid0(SALU_CYCLE_1)
	s_or_b32 exec_lo, exec_lo, s12
.LBB361_1141:                           ;   in Loop: Header=BB361_671 Depth=1
	s_delay_alu instid0(SALU_CYCLE_1) | instskip(SKIP_2) | instid1(VALU_DEP_1)
	s_or_b32 exec_lo, exec_lo, s10
	v_lshrrev_b16 v0, 8, v11
	s_mov_b32 s10, exec_lo
	v_cmpx_ne_u16_e32 0, v0
	s_cbranch_execz .LBB361_1149
; %bb.1142:                             ;   in Loop: Header=BB361_671 Depth=1
	v_bfrev_b32_e32 v99, 1
	s_mov_b32 s12, exec_lo
	v_cmpx_ne_u16_e32 0x80, v0
	s_cbranch_execz .LBB361_1148
; %bb.1143:                             ;   in Loop: Header=BB361_671 Depth=1
	v_and_b32_e32 v13, 0xffff, v0
	v_mov_b32_e32 v99, 0x7fc02000
	s_mov_b32 s13, exec_lo
	s_delay_alu instid0(VALU_DEP_2) | instskip(NEXT) | instid1(VALU_DEP_1)
	v_and_b32_e32 v100, 0x7f, v13
	v_cmpx_ne_u32_e32 0x7f, v100
	s_cbranch_execz .LBB361_1147
; %bb.1144:                             ;   in Loop: Header=BB361_671 Depth=1
	v_and_b32_e32 v0, 7, v13
	v_lshrrev_b32_e32 v14, 3, v100
	s_mov_b32 s15, exec_lo
	v_cmpx_gt_u32_e32 8, v100
; %bb.1145:                             ;   in Loop: Header=BB361_671 Depth=1
	s_delay_alu instid0(VALU_DEP_3) | instskip(NEXT) | instid1(VALU_DEP_1)
	v_clz_i32_u32_e32 v14, v0
	v_min_u32_e32 v14, 32, v14
	s_delay_alu instid0(VALU_DEP_1) | instskip(SKIP_1) | instid1(VALU_DEP_2)
	v_subrev_nc_u32_e32 v99, 28, v14
	v_sub_nc_u32_e32 v14, 29, v14
	v_lshlrev_b64 v[99:100], v99, v[0:1]
	s_delay_alu instid0(VALU_DEP_1)
	v_and_b32_e32 v0, 7, v99
; %bb.1146:                             ;   in Loop: Header=BB361_671 Depth=1
	s_or_b32 exec_lo, exec_lo, s15
	v_lshlrev_b32_e32 v13, 8, v13
	v_lshl_add_u32 v14, v14, 10, 0x2000
	s_delay_alu instid0(VALU_DEP_1) | instskip(NEXT) | instid1(VALU_DEP_1)
	v_and_or_b32 v13, 0x8000, v13, v14
	v_lshl_or_b32 v0, v0, 7, v13
	s_delay_alu instid0(VALU_DEP_1)
	v_cvt_f32_f16_e32 v99, v0
.LBB361_1147:                           ;   in Loop: Header=BB361_671 Depth=1
	s_or_b32 exec_lo, exec_lo, s13
.LBB361_1148:                           ;   in Loop: Header=BB361_671 Depth=1
	s_delay_alu instid0(SALU_CYCLE_1)
	s_or_b32 exec_lo, exec_lo, s12
.LBB361_1149:                           ;   in Loop: Header=BB361_671 Depth=1
	s_delay_alu instid0(SALU_CYCLE_1) | instskip(SKIP_3) | instid1(VALU_DEP_2)
	s_or_b32 exec_lo, exec_lo, s10
	v_lshrrev_b32_e32 v13, 16, v11
	v_mov_b32_e32 v100, 0
	s_mov_b32 s10, exec_lo
	v_dual_mov_b32 v101, 0 :: v_dual_and_b32 v0, 0xff, v13
	s_delay_alu instid0(VALU_DEP_1)
	v_cmpx_ne_u16_e32 0, v0
	s_cbranch_execz .LBB361_1157
; %bb.1150:                             ;   in Loop: Header=BB361_671 Depth=1
	v_bfrev_b32_e32 v100, 1
	s_mov_b32 s12, exec_lo
	v_cmpx_ne_u16_e32 0x80, v0
	s_cbranch_execz .LBB361_1156
; %bb.1151:                             ;   in Loop: Header=BB361_671 Depth=1
	v_bfe_u32 v102, v11, 16, 7
	v_mov_b32_e32 v100, 0x7fc02000
	s_mov_b32 s13, exec_lo
	s_delay_alu instid0(VALU_DEP_2)
	v_cmpx_ne_u32_e32 0x7f, v102
	s_cbranch_execz .LBB361_1155
; %bb.1152:                             ;   in Loop: Header=BB361_671 Depth=1
	v_and_b32_e32 v0, 7, v13
	v_lshrrev_b32_e32 v14, 3, v102
	s_mov_b32 s15, exec_lo
	v_cmpx_gt_u32_e32 8, v102
; %bb.1153:                             ;   in Loop: Header=BB361_671 Depth=1
	s_delay_alu instid0(VALU_DEP_3) | instskip(NEXT) | instid1(VALU_DEP_1)
	v_clz_i32_u32_e32 v14, v0
	v_min_u32_e32 v14, 32, v14
	s_delay_alu instid0(VALU_DEP_1) | instskip(SKIP_1) | instid1(VALU_DEP_2)
	v_subrev_nc_u32_e32 v100, 28, v14
	v_sub_nc_u32_e32 v14, 29, v14
	v_lshlrev_b64 v[102:103], v100, v[0:1]
	s_delay_alu instid0(VALU_DEP_1)
	v_and_b32_e32 v0, 7, v102
; %bb.1154:                             ;   in Loop: Header=BB361_671 Depth=1
	s_or_b32 exec_lo, exec_lo, s15
	v_lshlrev_b32_e32 v13, 8, v13
	v_lshl_add_u32 v14, v14, 10, 0x2000
	s_delay_alu instid0(VALU_DEP_1) | instskip(NEXT) | instid1(VALU_DEP_1)
	v_and_or_b32 v13, 0x8000, v13, v14
	v_lshl_or_b32 v0, v0, 7, v13
	s_delay_alu instid0(VALU_DEP_1)
	v_cvt_f32_f16_e32 v100, v0
.LBB361_1155:                           ;   in Loop: Header=BB361_671 Depth=1
	s_or_b32 exec_lo, exec_lo, s13
.LBB361_1156:                           ;   in Loop: Header=BB361_671 Depth=1
	s_delay_alu instid0(SALU_CYCLE_1)
	s_or_b32 exec_lo, exec_lo, s12
.LBB361_1157:                           ;   in Loop: Header=BB361_671 Depth=1
	s_delay_alu instid0(SALU_CYCLE_1) | instskip(NEXT) | instid1(SALU_CYCLE_1)
	s_or_b32 exec_lo, exec_lo, s10
	s_mov_b32 s10, exec_lo
	v_cmpx_lt_u32_e32 0xffffff, v11
	s_cbranch_execz .LBB361_1165
; %bb.1158:                             ;   in Loop: Header=BB361_671 Depth=1
	v_lshrrev_b32_e32 v13, 24, v11
	v_bfrev_b32_e32 v101, 1
	s_mov_b32 s12, exec_lo
	s_delay_alu instid0(VALU_DEP_2)
	v_cmpx_ne_u32_e32 0x80, v13
	s_cbranch_execz .LBB361_1164
; %bb.1159:                             ;   in Loop: Header=BB361_671 Depth=1
	v_and_b32_e32 v102, 0x7f, v13
	v_mov_b32_e32 v101, 0x7fc02000
	s_mov_b32 s13, exec_lo
	s_delay_alu instid0(VALU_DEP_2)
	v_cmpx_ne_u32_e32 0x7f, v102
	s_cbranch_execz .LBB361_1163
; %bb.1160:                             ;   in Loop: Header=BB361_671 Depth=1
	v_and_b32_e32 v0, 7, v13
	v_lshrrev_b32_e32 v14, 3, v102
	s_mov_b32 s15, exec_lo
	v_cmpx_gt_u32_e32 8, v102
; %bb.1161:                             ;   in Loop: Header=BB361_671 Depth=1
	s_delay_alu instid0(VALU_DEP_3) | instskip(NEXT) | instid1(VALU_DEP_1)
	v_clz_i32_u32_e32 v14, v0
	v_min_u32_e32 v14, 32, v14
	s_delay_alu instid0(VALU_DEP_1) | instskip(SKIP_1) | instid1(VALU_DEP_2)
	v_subrev_nc_u32_e32 v101, 28, v14
	v_sub_nc_u32_e32 v14, 29, v14
	v_lshlrev_b64 v[101:102], v101, v[0:1]
	s_delay_alu instid0(VALU_DEP_1)
	v_and_b32_e32 v0, 7, v101
; %bb.1162:                             ;   in Loop: Header=BB361_671 Depth=1
	s_or_b32 exec_lo, exec_lo, s15
	v_lshlrev_b32_e32 v13, 8, v13
	v_lshl_add_u32 v14, v14, 10, 0x2000
	s_delay_alu instid0(VALU_DEP_1) | instskip(NEXT) | instid1(VALU_DEP_1)
	v_and_or_b32 v13, 0x8000, v13, v14
	v_lshl_or_b32 v0, v0, 7, v13
	s_delay_alu instid0(VALU_DEP_1)
	v_cvt_f32_f16_e32 v101, v0
.LBB361_1163:                           ;   in Loop: Header=BB361_671 Depth=1
	s_or_b32 exec_lo, exec_lo, s13
.LBB361_1164:                           ;   in Loop: Header=BB361_671 Depth=1
	s_delay_alu instid0(SALU_CYCLE_1)
	s_or_b32 exec_lo, exec_lo, s12
.LBB361_1165:                           ;   in Loop: Header=BB361_671 Depth=1
	s_delay_alu instid0(SALU_CYCLE_1) | instskip(SKIP_4) | instid1(VALU_DEP_3)
	s_or_b32 exec_lo, exec_lo, s10
	v_dual_mov_b32 v13, 0 :: v_dual_and_b32 v14, 0xff, v12
	v_mov_b32_e32 v0, v12
	v_mov_b32_e32 v102, 0
	s_mov_b32 s10, exec_lo
	v_cmpx_ne_u16_e32 0, v14
	s_cbranch_execz .LBB361_1173
; %bb.1166:                             ;   in Loop: Header=BB361_671 Depth=1
	v_bfrev_b32_e32 v13, 1
	s_mov_b32 s12, exec_lo
	v_cmpx_ne_u16_e32 0x80, v14
	s_cbranch_execz .LBB361_1172
; %bb.1167:                             ;   in Loop: Header=BB361_671 Depth=1
	v_and_b32_e32 v14, 0x7f, v12
	v_mov_b32_e32 v13, 0x7fc02000
	s_mov_b32 s13, exec_lo
	s_delay_alu instid0(VALU_DEP_2)
	v_cmpx_ne_u32_e32 0x7f, v14
	s_cbranch_execz .LBB361_1171
; %bb.1168:                             ;   in Loop: Header=BB361_671 Depth=1
	v_lshrrev_b32_e32 v103, 3, v14
	v_cmp_gt_u32_e64 s0, 8, v14
	v_dual_mov_b32 v14, v1 :: v_dual_mov_b32 v13, v0
	s_delay_alu instid0(VALU_DEP_2)
	s_and_saveexec_b32 s15, s0
; %bb.1169:                             ;   in Loop: Header=BB361_671 Depth=1
	v_and_b32_e32 v13, 7, v12
	s_delay_alu instid0(VALU_DEP_1) | instskip(NEXT) | instid1(VALU_DEP_1)
	v_clz_i32_u32_e32 v13, v13
	v_min_u32_e32 v103, 32, v13
	s_delay_alu instid0(VALU_DEP_1) | instskip(SKIP_1) | instid1(VALU_DEP_2)
	v_subrev_nc_u32_e32 v13, 28, v103
	v_sub_nc_u32_e32 v103, 29, v103
	v_lshlrev_b64 v[13:14], v13, v[0:1]
; %bb.1170:                             ;   in Loop: Header=BB361_671 Depth=1
	s_or_b32 exec_lo, exec_lo, s15
	v_lshlrev_b32_e32 v14, 8, v12
	s_delay_alu instid0(VALU_DEP_3) | instskip(NEXT) | instid1(VALU_DEP_3)
	v_lshl_add_u32 v103, v103, 10, 0x2000
	v_lshlrev_b32_e32 v13, 7, v13
	s_delay_alu instid0(VALU_DEP_2) | instskip(NEXT) | instid1(VALU_DEP_1)
	v_and_or_b32 v14, 0x8000, v14, v103
	v_and_or_b32 v13, 0x380, v13, v14
	s_delay_alu instid0(VALU_DEP_1)
	v_cvt_f32_f16_e32 v13, v13
.LBB361_1171:                           ;   in Loop: Header=BB361_671 Depth=1
	s_or_b32 exec_lo, exec_lo, s13
.LBB361_1172:                           ;   in Loop: Header=BB361_671 Depth=1
	s_delay_alu instid0(SALU_CYCLE_1)
	s_or_b32 exec_lo, exec_lo, s12
.LBB361_1173:                           ;   in Loop: Header=BB361_671 Depth=1
	s_delay_alu instid0(SALU_CYCLE_1) | instskip(SKIP_2) | instid1(VALU_DEP_1)
	s_or_b32 exec_lo, exec_lo, s10
	v_lshrrev_b16 v0, 8, v0
	s_mov_b32 s10, exec_lo
	v_cmpx_ne_u16_e32 0, v0
	s_cbranch_execz .LBB361_1181
; %bb.1174:                             ;   in Loop: Header=BB361_671 Depth=1
	v_bfrev_b32_e32 v102, 1
	s_mov_b32 s12, exec_lo
	v_cmpx_ne_u16_e32 0x80, v0
	s_cbranch_execz .LBB361_1180
; %bb.1175:                             ;   in Loop: Header=BB361_671 Depth=1
	v_and_b32_e32 v14, 0xffff, v0
	v_mov_b32_e32 v102, 0x7fc02000
	s_mov_b32 s13, exec_lo
	s_delay_alu instid0(VALU_DEP_2) | instskip(NEXT) | instid1(VALU_DEP_1)
	v_and_b32_e32 v103, 0x7f, v14
	v_cmpx_ne_u32_e32 0x7f, v103
	s_cbranch_execz .LBB361_1179
; %bb.1176:                             ;   in Loop: Header=BB361_671 Depth=1
	v_and_b32_e32 v0, 7, v14
	v_lshrrev_b32_e32 v102, 3, v103
	s_mov_b32 s15, exec_lo
	v_cmpx_gt_u32_e32 8, v103
; %bb.1177:                             ;   in Loop: Header=BB361_671 Depth=1
	s_delay_alu instid0(VALU_DEP_3) | instskip(NEXT) | instid1(VALU_DEP_1)
	v_clz_i32_u32_e32 v102, v0
	v_min_u32_e32 v102, 32, v102
	s_delay_alu instid0(VALU_DEP_1) | instskip(SKIP_1) | instid1(VALU_DEP_2)
	v_subrev_nc_u32_e32 v103, 28, v102
	v_sub_nc_u32_e32 v102, 29, v102
	v_lshlrev_b64 v[112:113], v103, v[0:1]
	s_delay_alu instid0(VALU_DEP_1)
	v_and_b32_e32 v0, 7, v112
; %bb.1178:                             ;   in Loop: Header=BB361_671 Depth=1
	s_or_b32 exec_lo, exec_lo, s15
	v_lshlrev_b32_e32 v14, 8, v14
	v_lshl_add_u32 v102, v102, 10, 0x2000
	s_delay_alu instid0(VALU_DEP_1) | instskip(NEXT) | instid1(VALU_DEP_1)
	v_and_or_b32 v14, 0x8000, v14, v102
	v_lshl_or_b32 v0, v0, 7, v14
	s_delay_alu instid0(VALU_DEP_1)
	v_cvt_f32_f16_e32 v102, v0
.LBB361_1179:                           ;   in Loop: Header=BB361_671 Depth=1
	s_or_b32 exec_lo, exec_lo, s13
.LBB361_1180:                           ;   in Loop: Header=BB361_671 Depth=1
	s_delay_alu instid0(SALU_CYCLE_1)
	s_or_b32 exec_lo, exec_lo, s12
.LBB361_1181:                           ;   in Loop: Header=BB361_671 Depth=1
	s_delay_alu instid0(SALU_CYCLE_1) | instskip(SKIP_3) | instid1(VALU_DEP_2)
	s_or_b32 exec_lo, exec_lo, s10
	v_lshrrev_b32_e32 v112, 16, v12
	v_mov_b32_e32 v14, 0
	s_mov_b32 s10, exec_lo
	v_dual_mov_b32 v103, 0 :: v_dual_and_b32 v0, 0xff, v112
	s_delay_alu instid0(VALU_DEP_1)
	v_cmpx_ne_u16_e32 0, v0
	s_cbranch_execz .LBB361_1189
; %bb.1182:                             ;   in Loop: Header=BB361_671 Depth=1
	v_bfrev_b32_e32 v14, 1
	s_mov_b32 s12, exec_lo
	v_cmpx_ne_u16_e32 0x80, v0
	s_cbranch_execz .LBB361_1188
; %bb.1183:                             ;   in Loop: Header=BB361_671 Depth=1
	v_bfe_u32 v113, v12, 16, 7
	v_mov_b32_e32 v14, 0x7fc02000
	s_mov_b32 s13, exec_lo
	s_delay_alu instid0(VALU_DEP_2)
	v_cmpx_ne_u32_e32 0x7f, v113
	s_cbranch_execz .LBB361_1187
; %bb.1184:                             ;   in Loop: Header=BB361_671 Depth=1
	v_and_b32_e32 v0, 7, v112
	v_lshrrev_b32_e32 v14, 3, v113
	s_mov_b32 s15, exec_lo
	v_cmpx_gt_u32_e32 8, v113
; %bb.1185:                             ;   in Loop: Header=BB361_671 Depth=1
	s_delay_alu instid0(VALU_DEP_3) | instskip(NEXT) | instid1(VALU_DEP_1)
	v_clz_i32_u32_e32 v14, v0
	v_min_u32_e32 v14, 32, v14
	s_delay_alu instid0(VALU_DEP_1) | instskip(SKIP_1) | instid1(VALU_DEP_2)
	v_subrev_nc_u32_e32 v113, 28, v14
	v_sub_nc_u32_e32 v14, 29, v14
	v_lshlrev_b64 v[113:114], v113, v[0:1]
	s_delay_alu instid0(VALU_DEP_1)
	v_and_b32_e32 v0, 7, v113
; %bb.1186:                             ;   in Loop: Header=BB361_671 Depth=1
	s_or_b32 exec_lo, exec_lo, s15
	v_lshlrev_b32_e32 v112, 8, v112
	v_lshl_add_u32 v14, v14, 10, 0x2000
	s_delay_alu instid0(VALU_DEP_1) | instskip(NEXT) | instid1(VALU_DEP_1)
	v_and_or_b32 v14, 0x8000, v112, v14
	v_lshl_or_b32 v0, v0, 7, v14
	s_delay_alu instid0(VALU_DEP_1)
	v_cvt_f32_f16_e32 v14, v0
.LBB361_1187:                           ;   in Loop: Header=BB361_671 Depth=1
	s_or_b32 exec_lo, exec_lo, s13
.LBB361_1188:                           ;   in Loop: Header=BB361_671 Depth=1
	s_delay_alu instid0(SALU_CYCLE_1)
	s_or_b32 exec_lo, exec_lo, s12
.LBB361_1189:                           ;   in Loop: Header=BB361_671 Depth=1
	s_delay_alu instid0(SALU_CYCLE_1) | instskip(NEXT) | instid1(SALU_CYCLE_1)
	s_or_b32 exec_lo, exec_lo, s10
	s_mov_b32 s10, exec_lo
	v_cmpx_lt_u64_e64 s[8:9], v[11:12]
	s_cbranch_execz .LBB361_1197
; %bb.1190:                             ;   in Loop: Header=BB361_671 Depth=1
	v_lshrrev_b32_e32 v11, 24, v12
	v_bfrev_b32_e32 v103, 1
	s_mov_b32 s12, exec_lo
	s_delay_alu instid0(VALU_DEP_2)
	v_cmpx_ne_u32_e32 0x80, v11
	s_cbranch_execz .LBB361_1196
; %bb.1191:                             ;   in Loop: Header=BB361_671 Depth=1
	v_and_b32_e32 v112, 0x7f, v11
	v_mov_b32_e32 v103, 0x7fc02000
	s_mov_b32 s13, exec_lo
	s_delay_alu instid0(VALU_DEP_2)
	v_cmpx_ne_u32_e32 0x7f, v112
	s_cbranch_execz .LBB361_1195
; %bb.1192:                             ;   in Loop: Header=BB361_671 Depth=1
	v_and_b32_e32 v0, 7, v11
	v_lshrrev_b32_e32 v12, 3, v112
	s_mov_b32 s15, exec_lo
	v_cmpx_gt_u32_e32 8, v112
; %bb.1193:                             ;   in Loop: Header=BB361_671 Depth=1
	s_delay_alu instid0(VALU_DEP_3) | instskip(NEXT) | instid1(VALU_DEP_1)
	v_clz_i32_u32_e32 v12, v0
	v_min_u32_e32 v12, 32, v12
	s_delay_alu instid0(VALU_DEP_1) | instskip(SKIP_1) | instid1(VALU_DEP_2)
	v_subrev_nc_u32_e32 v103, 28, v12
	v_sub_nc_u32_e32 v12, 29, v12
	v_lshlrev_b64 v[112:113], v103, v[0:1]
	s_delay_alu instid0(VALU_DEP_1)
	v_and_b32_e32 v0, 7, v112
; %bb.1194:                             ;   in Loop: Header=BB361_671 Depth=1
	s_or_b32 exec_lo, exec_lo, s15
	v_lshlrev_b32_e32 v11, 8, v11
	v_lshl_add_u32 v12, v12, 10, 0x2000
	s_delay_alu instid0(VALU_DEP_1) | instskip(NEXT) | instid1(VALU_DEP_1)
	v_and_or_b32 v11, 0x8000, v11, v12
	v_lshl_or_b32 v0, v0, 7, v11
	s_delay_alu instid0(VALU_DEP_1)
	v_cvt_f32_f16_e32 v103, v0
.LBB361_1195:                           ;   in Loop: Header=BB361_671 Depth=1
	s_or_b32 exec_lo, exec_lo, s13
.LBB361_1196:                           ;   in Loop: Header=BB361_671 Depth=1
	s_delay_alu instid0(SALU_CYCLE_1)
	s_or_b32 exec_lo, exec_lo, s12
.LBB361_1197:                           ;   in Loop: Header=BB361_671 Depth=1
	s_delay_alu instid0(SALU_CYCLE_1)
	s_or_b32 exec_lo, exec_lo, s10
	s_waitcnt vmcnt(0) lgkmcnt(0)
	v_fma_mixlo_f16 v12, v97, v99, 0
	v_fma_mixlo_f16 v0, v97, v101, 0
	v_fma_mixlo_f16 v11, v97, v100, 0
	v_fma_mixlo_f16 v98, v97, v98, 0
	v_fma_mixlo_f16 v100, v97, v102, 0
	v_lshlrev_b32_e32 v99, 16, v12
	v_fma_mixlo_f16 v13, v97, v13, 0
	v_fma_mixlo_f16 v101, v97, v103, 0
	;; [unrolled: 1-line block ×3, first 2 shown]
	v_lshlrev_b32_e32 v0, 16, v0
	v_and_b32_e32 v11, 0xffff, v11
	v_and_b32_e32 v14, 0xffff, v98
	v_lshlrev_b32_e32 v97, 16, v100
	v_and_b32_e32 v98, 0xffff, v13
	v_lshlrev_b32_e32 v100, 16, v101
	v_and_b32_e32 v101, 0xffff, v12
	v_or_b32_e32 v13, v0, v11
	v_or_b32_e32 v14, v99, v14
	;; [unrolled: 1-line block ×3, first 2 shown]
	s_delay_alu instid0(VALU_DEP_4)
	v_or_b32_e32 v11, v100, v101
	s_and_saveexec_b32 s10, vcc_lo
	s_cbranch_execz .LBB361_1199
; %bb.1198:                             ;   in Loop: Header=BB361_671 Depth=1
	v_cmp_lt_i32_e64 s0, v15, v35
	v_lshrrev_b32_e32 v97, 16, v14
	v_lshrrev_b32_e32 v98, 16, v13
	;; [unrolled: 1-line block ×4, first 2 shown]
	v_cndmask_b32_e64 v14, 0, v14, s0
	v_cmp_lt_i32_e64 s0, v54, v48
	s_delay_alu instid0(VALU_DEP_1) | instskip(SKIP_1) | instid1(VALU_DEP_2)
	v_cndmask_b32_e64 v97, 0, v97, s0
	v_cmp_lt_i32_e64 s0, v53, v48
	v_perm_b32 v14, v97, v14, 0x5040100
	s_delay_alu instid0(VALU_DEP_2) | instskip(SKIP_1) | instid1(VALU_DEP_1)
	v_cndmask_b32_e64 v98, 0, v98, s0
	v_cmp_lt_i32_e64 s0, v52, v35
	v_cndmask_b32_e64 v13, 0, v13, s0
	v_cmp_lt_i32_e64 s0, v51, v48
	s_delay_alu instid0(VALU_DEP_2) | instskip(NEXT) | instid1(VALU_DEP_2)
	v_perm_b32 v13, v98, v13, 0x5040100
	v_cndmask_b32_e64 v99, 0, v99, s0
	v_cmp_lt_i32_e64 s0, v50, v35
	s_delay_alu instid0(VALU_DEP_1) | instskip(SKIP_1) | instid1(VALU_DEP_2)
	v_cndmask_b32_e64 v0, 0, v0, s0
	v_cmp_lt_i32_e64 s0, v38, v48
	v_perm_b32 v0, v99, v0, 0x5040100
	s_delay_alu instid0(VALU_DEP_2) | instskip(SKIP_1) | instid1(VALU_DEP_1)
	v_cndmask_b32_e64 v11, 0, v11, s0
	v_cmp_lt_i32_e64 s0, v17, v35
	v_cndmask_b32_e64 v12, 0, v12, s0
	s_delay_alu instid0(VALU_DEP_1)
	v_perm_b32 v11, v11, v12, 0x5040100
.LBB361_1199:                           ;   in Loop: Header=BB361_671 Depth=1
	s_or_b32 exec_lo, exec_lo, s10
	;;#ASMSTART
	v_pk_mul_f16 v12, v68, v14;

	;;#ASMEND
	;;#ASMSTART
	v_pk_mul_f16 v13, v66, v13;

	;;#ASMEND
	;; [unrolled: 4-line block ×4, first 2 shown]
	;;#ASMSTART
	v_pk_add_f16 v12, v12, v13;

	;;#ASMEND
	;;#ASMSTART
	v_pk_add_f16 v0, v12, v0;

	;;#ASMEND
	;; [unrolled: 4-line block ×3, first 2 shown]
	v_dual_mov_b32 v100, 0 :: v_dual_and_b32 v11, 0xffff, v0
	v_lshrrev_b32_e32 v0, 16, v0
	;;#ASMSTART
	v_cvt_f32_f16 v97, v11;
	;;#ASMEND
	;;#ASMSTART
	v_cvt_f32_f16 v98, v0;
	;;#ASMEND
	flat_load_b64 v[11:12], v[9:10] offset:2048
	flat_load_b32 v99, v[26:27]
	s_mov_b32 s10, exec_lo
	s_waitcnt vmcnt(1) lgkmcnt(1)
	v_dual_mov_b32 v101, 0 :: v_dual_and_b32 v0, 0xff, v11
	s_delay_alu instid0(VALU_DEP_1)
	v_cmpx_ne_u16_e32 0, v0
	s_cbranch_execz .LBB361_1207
; %bb.1200:                             ;   in Loop: Header=BB361_671 Depth=1
	v_bfrev_b32_e32 v100, 1
	s_mov_b32 s12, exec_lo
	v_cmpx_ne_u16_e32 0x80, v0
	s_cbranch_execz .LBB361_1206
; %bb.1201:                             ;   in Loop: Header=BB361_671 Depth=1
	v_and_b32_e32 v13, 0x7f, v11
	v_mov_b32_e32 v100, 0x7fc02000
	s_mov_b32 s13, exec_lo
	s_delay_alu instid0(VALU_DEP_2)
	v_cmpx_ne_u32_e32 0x7f, v13
	s_cbranch_execz .LBB361_1205
; %bb.1202:                             ;   in Loop: Header=BB361_671 Depth=1
	v_lshrrev_b32_e32 v0, 3, v13
	v_cmp_gt_u32_e64 s0, 8, v13
	v_dual_mov_b32 v14, v12 :: v_dual_mov_b32 v13, v11
	s_delay_alu instid0(VALU_DEP_2)
	s_and_saveexec_b32 s15, s0
; %bb.1203:                             ;   in Loop: Header=BB361_671 Depth=1
	v_and_b32_e32 v0, 7, v11
	s_delay_alu instid0(VALU_DEP_1) | instskip(NEXT) | instid1(VALU_DEP_1)
	v_clz_i32_u32_e32 v0, v0
	v_min_u32_e32 v0, 32, v0
	s_delay_alu instid0(VALU_DEP_1) | instskip(SKIP_1) | instid1(VALU_DEP_2)
	v_subrev_nc_u32_e32 v13, 28, v0
	v_sub_nc_u32_e32 v0, 29, v0
	v_lshlrev_b64 v[13:14], v13, v[11:12]
; %bb.1204:                             ;   in Loop: Header=BB361_671 Depth=1
	s_or_b32 exec_lo, exec_lo, s15
	v_lshlrev_b32_e32 v14, 8, v11
	s_delay_alu instid0(VALU_DEP_3) | instskip(NEXT) | instid1(VALU_DEP_3)
	v_lshl_add_u32 v0, v0, 10, 0x2000
	v_lshlrev_b32_e32 v13, 7, v13
	s_delay_alu instid0(VALU_DEP_2) | instskip(NEXT) | instid1(VALU_DEP_1)
	v_and_or_b32 v0, 0x8000, v14, v0
	v_and_or_b32 v0, 0x380, v13, v0
	s_delay_alu instid0(VALU_DEP_1)
	v_cvt_f32_f16_e32 v100, v0
.LBB361_1205:                           ;   in Loop: Header=BB361_671 Depth=1
	s_or_b32 exec_lo, exec_lo, s13
.LBB361_1206:                           ;   in Loop: Header=BB361_671 Depth=1
	s_delay_alu instid0(SALU_CYCLE_1)
	s_or_b32 exec_lo, exec_lo, s12
.LBB361_1207:                           ;   in Loop: Header=BB361_671 Depth=1
	s_delay_alu instid0(SALU_CYCLE_1) | instskip(SKIP_2) | instid1(VALU_DEP_1)
	s_or_b32 exec_lo, exec_lo, s10
	v_lshrrev_b16 v0, 8, v11
	s_mov_b32 s10, exec_lo
	v_cmpx_ne_u16_e32 0, v0
	s_cbranch_execz .LBB361_1215
; %bb.1208:                             ;   in Loop: Header=BB361_671 Depth=1
	v_bfrev_b32_e32 v101, 1
	s_mov_b32 s12, exec_lo
	v_cmpx_ne_u16_e32 0x80, v0
	s_cbranch_execz .LBB361_1214
; %bb.1209:                             ;   in Loop: Header=BB361_671 Depth=1
	v_and_b32_e32 v102, 0xffff, v0
	v_mov_b32_e32 v101, 0x7fc02000
	s_mov_b32 s13, exec_lo
	s_delay_alu instid0(VALU_DEP_2) | instskip(NEXT) | instid1(VALU_DEP_1)
	v_and_b32_e32 v13, 0x7f, v102
	v_cmpx_ne_u32_e32 0x7f, v13
	s_cbranch_execz .LBB361_1213
; %bb.1210:                             ;   in Loop: Header=BB361_671 Depth=1
	v_and_b32_e32 v0, 7, v102
	v_lshrrev_b32_e32 v101, 3, v13
	v_cmp_gt_u32_e64 s0, 8, v13
	s_delay_alu instid0(VALU_DEP_3) | instskip(NEXT) | instid1(VALU_DEP_2)
	v_dual_mov_b32 v14, v1 :: v_dual_mov_b32 v13, v0
	s_and_saveexec_b32 s15, s0
; %bb.1211:                             ;   in Loop: Header=BB361_671 Depth=1
	v_clz_i32_u32_e32 v13, v0
	s_delay_alu instid0(VALU_DEP_1) | instskip(NEXT) | instid1(VALU_DEP_1)
	v_min_u32_e32 v101, 32, v13
	v_subrev_nc_u32_e32 v13, 28, v101
	v_sub_nc_u32_e32 v101, 29, v101
	s_delay_alu instid0(VALU_DEP_2) | instskip(NEXT) | instid1(VALU_DEP_1)
	v_lshlrev_b64 v[13:14], v13, v[0:1]
	v_and_b32_e32 v13, 7, v13
; %bb.1212:                             ;   in Loop: Header=BB361_671 Depth=1
	s_or_b32 exec_lo, exec_lo, s15
	v_lshlrev_b32_e32 v0, 8, v102
	v_lshl_add_u32 v14, v101, 10, 0x2000
	s_delay_alu instid0(VALU_DEP_1) | instskip(NEXT) | instid1(VALU_DEP_1)
	v_and_or_b32 v0, 0x8000, v0, v14
	v_lshl_or_b32 v0, v13, 7, v0
	s_delay_alu instid0(VALU_DEP_1)
	v_cvt_f32_f16_e32 v101, v0
.LBB361_1213:                           ;   in Loop: Header=BB361_671 Depth=1
	s_or_b32 exec_lo, exec_lo, s13
.LBB361_1214:                           ;   in Loop: Header=BB361_671 Depth=1
	s_delay_alu instid0(SALU_CYCLE_1)
	s_or_b32 exec_lo, exec_lo, s12
.LBB361_1215:                           ;   in Loop: Header=BB361_671 Depth=1
	s_delay_alu instid0(SALU_CYCLE_1) | instskip(SKIP_3) | instid1(VALU_DEP_2)
	s_or_b32 exec_lo, exec_lo, s10
	v_lshrrev_b32_e32 v112, 16, v11
	v_mov_b32_e32 v102, 0
	s_mov_b32 s10, exec_lo
	v_dual_mov_b32 v103, 0 :: v_dual_and_b32 v0, 0xff, v112
	s_delay_alu instid0(VALU_DEP_1)
	v_cmpx_ne_u16_e32 0, v0
	s_cbranch_execz .LBB361_1223
; %bb.1216:                             ;   in Loop: Header=BB361_671 Depth=1
	v_bfrev_b32_e32 v102, 1
	s_mov_b32 s12, exec_lo
	v_cmpx_ne_u16_e32 0x80, v0
	s_cbranch_execz .LBB361_1222
; %bb.1217:                             ;   in Loop: Header=BB361_671 Depth=1
	v_bfe_u32 v13, v11, 16, 7
	v_mov_b32_e32 v102, 0x7fc02000
	s_mov_b32 s13, exec_lo
	s_delay_alu instid0(VALU_DEP_2)
	v_cmpx_ne_u32_e32 0x7f, v13
	s_cbranch_execz .LBB361_1221
; %bb.1218:                             ;   in Loop: Header=BB361_671 Depth=1
	v_and_b32_e32 v0, 7, v112
	v_lshrrev_b32_e32 v102, 3, v13
	v_cmp_gt_u32_e64 s0, 8, v13
	s_delay_alu instid0(VALU_DEP_3) | instskip(NEXT) | instid1(VALU_DEP_2)
	v_dual_mov_b32 v14, v1 :: v_dual_mov_b32 v13, v0
	s_and_saveexec_b32 s15, s0
; %bb.1219:                             ;   in Loop: Header=BB361_671 Depth=1
	v_clz_i32_u32_e32 v13, v0
	s_delay_alu instid0(VALU_DEP_1) | instskip(NEXT) | instid1(VALU_DEP_1)
	v_min_u32_e32 v102, 32, v13
	v_subrev_nc_u32_e32 v13, 28, v102
	v_sub_nc_u32_e32 v102, 29, v102
	s_delay_alu instid0(VALU_DEP_2) | instskip(NEXT) | instid1(VALU_DEP_1)
	v_lshlrev_b64 v[13:14], v13, v[0:1]
	v_and_b32_e32 v13, 7, v13
; %bb.1220:                             ;   in Loop: Header=BB361_671 Depth=1
	s_or_b32 exec_lo, exec_lo, s15
	v_lshlrev_b32_e32 v0, 8, v112
	v_lshl_add_u32 v14, v102, 10, 0x2000
	s_delay_alu instid0(VALU_DEP_1) | instskip(NEXT) | instid1(VALU_DEP_1)
	v_and_or_b32 v0, 0x8000, v0, v14
	v_lshl_or_b32 v0, v13, 7, v0
	s_delay_alu instid0(VALU_DEP_1)
	v_cvt_f32_f16_e32 v102, v0
.LBB361_1221:                           ;   in Loop: Header=BB361_671 Depth=1
	s_or_b32 exec_lo, exec_lo, s13
.LBB361_1222:                           ;   in Loop: Header=BB361_671 Depth=1
	s_delay_alu instid0(SALU_CYCLE_1)
	s_or_b32 exec_lo, exec_lo, s12
.LBB361_1223:                           ;   in Loop: Header=BB361_671 Depth=1
	s_delay_alu instid0(SALU_CYCLE_1) | instskip(NEXT) | instid1(SALU_CYCLE_1)
	s_or_b32 exec_lo, exec_lo, s10
	s_mov_b32 s10, exec_lo
	v_cmpx_lt_u32_e32 0xffffff, v11
	s_cbranch_execz .LBB361_1231
; %bb.1224:                             ;   in Loop: Header=BB361_671 Depth=1
	v_lshrrev_b32_e32 v112, 24, v11
	v_bfrev_b32_e32 v103, 1
	s_mov_b32 s12, exec_lo
	s_delay_alu instid0(VALU_DEP_2)
	v_cmpx_ne_u32_e32 0x80, v112
	s_cbranch_execz .LBB361_1230
; %bb.1225:                             ;   in Loop: Header=BB361_671 Depth=1
	v_and_b32_e32 v13, 0x7f, v112
	v_mov_b32_e32 v103, 0x7fc02000
	s_mov_b32 s13, exec_lo
	s_delay_alu instid0(VALU_DEP_2)
	v_cmpx_ne_u32_e32 0x7f, v13
	s_cbranch_execz .LBB361_1229
; %bb.1226:                             ;   in Loop: Header=BB361_671 Depth=1
	v_and_b32_e32 v0, 7, v112
	v_lshrrev_b32_e32 v103, 3, v13
	v_cmp_gt_u32_e64 s0, 8, v13
	s_delay_alu instid0(VALU_DEP_3) | instskip(NEXT) | instid1(VALU_DEP_2)
	v_dual_mov_b32 v14, v1 :: v_dual_mov_b32 v13, v0
	s_and_saveexec_b32 s15, s0
; %bb.1227:                             ;   in Loop: Header=BB361_671 Depth=1
	v_clz_i32_u32_e32 v13, v0
	s_delay_alu instid0(VALU_DEP_1) | instskip(NEXT) | instid1(VALU_DEP_1)
	v_min_u32_e32 v103, 32, v13
	v_subrev_nc_u32_e32 v13, 28, v103
	v_sub_nc_u32_e32 v103, 29, v103
	s_delay_alu instid0(VALU_DEP_2) | instskip(NEXT) | instid1(VALU_DEP_1)
	v_lshlrev_b64 v[13:14], v13, v[0:1]
	v_and_b32_e32 v13, 7, v13
; %bb.1228:                             ;   in Loop: Header=BB361_671 Depth=1
	s_or_b32 exec_lo, exec_lo, s15
	v_lshlrev_b32_e32 v0, 8, v112
	v_lshl_add_u32 v14, v103, 10, 0x2000
	s_delay_alu instid0(VALU_DEP_1) | instskip(NEXT) | instid1(VALU_DEP_1)
	v_and_or_b32 v0, 0x8000, v0, v14
	v_lshl_or_b32 v0, v13, 7, v0
	s_delay_alu instid0(VALU_DEP_1)
	v_cvt_f32_f16_e32 v103, v0
.LBB361_1229:                           ;   in Loop: Header=BB361_671 Depth=1
	s_or_b32 exec_lo, exec_lo, s13
.LBB361_1230:                           ;   in Loop: Header=BB361_671 Depth=1
	s_delay_alu instid0(SALU_CYCLE_1)
	s_or_b32 exec_lo, exec_lo, s12
.LBB361_1231:                           ;   in Loop: Header=BB361_671 Depth=1
	s_delay_alu instid0(SALU_CYCLE_1) | instskip(SKIP_3) | instid1(VALU_DEP_2)
	s_or_b32 exec_lo, exec_lo, s10
	v_dual_mov_b32 v0, v12 :: v_dual_and_b32 v13, 0xff, v12
	v_dual_mov_b32 v113, 0 :: v_dual_mov_b32 v112, 0
	s_mov_b32 s10, exec_lo
	v_cmpx_ne_u16_e32 0, v13
	s_cbranch_execz .LBB361_1239
; %bb.1232:                             ;   in Loop: Header=BB361_671 Depth=1
	v_bfrev_b32_e32 v112, 1
	s_mov_b32 s12, exec_lo
	v_cmpx_ne_u16_e32 0x80, v13
	s_cbranch_execz .LBB361_1238
; %bb.1233:                             ;   in Loop: Header=BB361_671 Depth=1
	v_and_b32_e32 v13, 0x7f, v12
	v_mov_b32_e32 v112, 0x7fc02000
	s_mov_b32 s13, exec_lo
	s_delay_alu instid0(VALU_DEP_2)
	v_cmpx_ne_u32_e32 0x7f, v13
	s_cbranch_execz .LBB361_1237
; %bb.1234:                             ;   in Loop: Header=BB361_671 Depth=1
	v_lshrrev_b32_e32 v112, 3, v13
	v_cmp_gt_u32_e64 s0, 8, v13
	v_dual_mov_b32 v14, v1 :: v_dual_mov_b32 v13, v0
	s_delay_alu instid0(VALU_DEP_2)
	s_and_saveexec_b32 s15, s0
; %bb.1235:                             ;   in Loop: Header=BB361_671 Depth=1
	v_and_b32_e32 v13, 7, v12
	s_delay_alu instid0(VALU_DEP_1) | instskip(NEXT) | instid1(VALU_DEP_1)
	v_clz_i32_u32_e32 v13, v13
	v_min_u32_e32 v112, 32, v13
	s_delay_alu instid0(VALU_DEP_1) | instskip(SKIP_1) | instid1(VALU_DEP_2)
	v_subrev_nc_u32_e32 v13, 28, v112
	v_sub_nc_u32_e32 v112, 29, v112
	v_lshlrev_b64 v[13:14], v13, v[0:1]
; %bb.1236:                             ;   in Loop: Header=BB361_671 Depth=1
	s_or_b32 exec_lo, exec_lo, s15
	v_lshlrev_b32_e32 v14, 8, v12
	s_delay_alu instid0(VALU_DEP_3) | instskip(NEXT) | instid1(VALU_DEP_3)
	v_lshl_add_u32 v112, v112, 10, 0x2000
	v_lshlrev_b32_e32 v13, 7, v13
	s_delay_alu instid0(VALU_DEP_2) | instskip(NEXT) | instid1(VALU_DEP_1)
	v_and_or_b32 v14, 0x8000, v14, v112
	v_and_or_b32 v13, 0x380, v13, v14
	s_delay_alu instid0(VALU_DEP_1)
	v_cvt_f32_f16_e32 v112, v13
.LBB361_1237:                           ;   in Loop: Header=BB361_671 Depth=1
	s_or_b32 exec_lo, exec_lo, s13
.LBB361_1238:                           ;   in Loop: Header=BB361_671 Depth=1
	s_delay_alu instid0(SALU_CYCLE_1)
	s_or_b32 exec_lo, exec_lo, s12
.LBB361_1239:                           ;   in Loop: Header=BB361_671 Depth=1
	s_delay_alu instid0(SALU_CYCLE_1) | instskip(SKIP_2) | instid1(VALU_DEP_1)
	s_or_b32 exec_lo, exec_lo, s10
	v_lshrrev_b16 v0, 8, v0
	s_mov_b32 s10, exec_lo
	v_cmpx_ne_u16_e32 0, v0
	s_cbranch_execz .LBB361_1247
; %bb.1240:                             ;   in Loop: Header=BB361_671 Depth=1
	v_bfrev_b32_e32 v113, 1
	s_mov_b32 s12, exec_lo
	v_cmpx_ne_u16_e32 0x80, v0
	s_cbranch_execz .LBB361_1246
; %bb.1241:                             ;   in Loop: Header=BB361_671 Depth=1
	v_and_b32_e32 v114, 0xffff, v0
	v_mov_b32_e32 v113, 0x7fc02000
	s_mov_b32 s13, exec_lo
	s_delay_alu instid0(VALU_DEP_2) | instskip(NEXT) | instid1(VALU_DEP_1)
	v_and_b32_e32 v13, 0x7f, v114
	v_cmpx_ne_u32_e32 0x7f, v13
	s_cbranch_execz .LBB361_1245
; %bb.1242:                             ;   in Loop: Header=BB361_671 Depth=1
	v_and_b32_e32 v0, 7, v114
	v_lshrrev_b32_e32 v113, 3, v13
	v_cmp_gt_u32_e64 s0, 8, v13
	s_delay_alu instid0(VALU_DEP_3) | instskip(NEXT) | instid1(VALU_DEP_2)
	v_dual_mov_b32 v14, v1 :: v_dual_mov_b32 v13, v0
	s_and_saveexec_b32 s15, s0
; %bb.1243:                             ;   in Loop: Header=BB361_671 Depth=1
	v_clz_i32_u32_e32 v13, v0
	s_delay_alu instid0(VALU_DEP_1) | instskip(NEXT) | instid1(VALU_DEP_1)
	v_min_u32_e32 v113, 32, v13
	v_subrev_nc_u32_e32 v13, 28, v113
	v_sub_nc_u32_e32 v113, 29, v113
	s_delay_alu instid0(VALU_DEP_2) | instskip(NEXT) | instid1(VALU_DEP_1)
	v_lshlrev_b64 v[13:14], v13, v[0:1]
	v_and_b32_e32 v13, 7, v13
; %bb.1244:                             ;   in Loop: Header=BB361_671 Depth=1
	s_or_b32 exec_lo, exec_lo, s15
	v_lshlrev_b32_e32 v0, 8, v114
	v_lshl_add_u32 v14, v113, 10, 0x2000
	s_delay_alu instid0(VALU_DEP_1) | instskip(NEXT) | instid1(VALU_DEP_1)
	v_and_or_b32 v0, 0x8000, v0, v14
	v_lshl_or_b32 v0, v13, 7, v0
	s_delay_alu instid0(VALU_DEP_1)
	v_cvt_f32_f16_e32 v113, v0
.LBB361_1245:                           ;   in Loop: Header=BB361_671 Depth=1
	s_or_b32 exec_lo, exec_lo, s13
.LBB361_1246:                           ;   in Loop: Header=BB361_671 Depth=1
	s_delay_alu instid0(SALU_CYCLE_1)
	s_or_b32 exec_lo, exec_lo, s12
.LBB361_1247:                           ;   in Loop: Header=BB361_671 Depth=1
	s_delay_alu instid0(SALU_CYCLE_1) | instskip(SKIP_3) | instid1(VALU_DEP_2)
	s_or_b32 exec_lo, exec_lo, s10
	v_lshrrev_b32_e32 v115, 16, v12
	v_mov_b32_e32 v114, 0
	s_mov_b32 s10, exec_lo
	v_dual_mov_b32 v13, 0 :: v_dual_and_b32 v0, 0xff, v115
	s_delay_alu instid0(VALU_DEP_1)
	v_cmpx_ne_u16_e32 0, v0
	s_cbranch_execz .LBB361_1255
; %bb.1248:                             ;   in Loop: Header=BB361_671 Depth=1
	v_bfrev_b32_e32 v13, 1
	s_mov_b32 s12, exec_lo
	v_cmpx_ne_u16_e32 0x80, v0
	s_cbranch_execz .LBB361_1254
; %bb.1249:                             ;   in Loop: Header=BB361_671 Depth=1
	v_bfe_u32 v14, v12, 16, 7
	v_mov_b32_e32 v13, 0x7fc02000
	s_mov_b32 s13, exec_lo
	s_delay_alu instid0(VALU_DEP_2)
	v_cmpx_ne_u32_e32 0x7f, v14
	s_cbranch_execz .LBB361_1253
; %bb.1250:                             ;   in Loop: Header=BB361_671 Depth=1
	v_and_b32_e32 v0, 7, v115
	v_lshrrev_b32_e32 v116, 3, v14
	v_cmp_gt_u32_e64 s0, 8, v14
	s_delay_alu instid0(VALU_DEP_3) | instskip(NEXT) | instid1(VALU_DEP_2)
	v_dual_mov_b32 v14, v1 :: v_dual_mov_b32 v13, v0
	s_and_saveexec_b32 s15, s0
; %bb.1251:                             ;   in Loop: Header=BB361_671 Depth=1
	v_clz_i32_u32_e32 v13, v0
	s_delay_alu instid0(VALU_DEP_1) | instskip(NEXT) | instid1(VALU_DEP_1)
	v_min_u32_e32 v116, 32, v13
	v_subrev_nc_u32_e32 v13, 28, v116
	v_sub_nc_u32_e32 v116, 29, v116
	s_delay_alu instid0(VALU_DEP_2) | instskip(NEXT) | instid1(VALU_DEP_1)
	v_lshlrev_b64 v[13:14], v13, v[0:1]
	v_and_b32_e32 v13, 7, v13
; %bb.1252:                             ;   in Loop: Header=BB361_671 Depth=1
	s_or_b32 exec_lo, exec_lo, s15
	v_lshlrev_b32_e32 v0, 8, v115
	v_lshl_add_u32 v14, v116, 10, 0x2000
	s_delay_alu instid0(VALU_DEP_1) | instskip(NEXT) | instid1(VALU_DEP_1)
	v_and_or_b32 v0, 0x8000, v0, v14
	v_lshl_or_b32 v0, v13, 7, v0
	s_delay_alu instid0(VALU_DEP_1)
	v_cvt_f32_f16_e32 v13, v0
.LBB361_1253:                           ;   in Loop: Header=BB361_671 Depth=1
	s_or_b32 exec_lo, exec_lo, s13
.LBB361_1254:                           ;   in Loop: Header=BB361_671 Depth=1
	s_delay_alu instid0(SALU_CYCLE_1)
	s_or_b32 exec_lo, exec_lo, s12
.LBB361_1255:                           ;   in Loop: Header=BB361_671 Depth=1
	s_delay_alu instid0(SALU_CYCLE_1) | instskip(NEXT) | instid1(SALU_CYCLE_1)
	s_or_b32 exec_lo, exec_lo, s10
	s_mov_b32 s10, exec_lo
	v_cmpx_lt_u64_e64 s[8:9], v[11:12]
	s_cbranch_execz .LBB361_1263
; %bb.1256:                             ;   in Loop: Header=BB361_671 Depth=1
	v_lshrrev_b32_e32 v14, 24, v12
	v_bfrev_b32_e32 v114, 1
	s_mov_b32 s12, exec_lo
	s_delay_alu instid0(VALU_DEP_2)
	v_cmpx_ne_u32_e32 0x80, v14
	s_cbranch_execz .LBB361_1262
; %bb.1257:                             ;   in Loop: Header=BB361_671 Depth=1
	v_and_b32_e32 v11, 0x7f, v14
	v_mov_b32_e32 v114, 0x7fc02000
	s_mov_b32 s13, exec_lo
	s_delay_alu instid0(VALU_DEP_2)
	v_cmpx_ne_u32_e32 0x7f, v11
	s_cbranch_execz .LBB361_1261
; %bb.1258:                             ;   in Loop: Header=BB361_671 Depth=1
	v_and_b32_e32 v0, 7, v14
	v_lshrrev_b32_e32 v114, 3, v11
	v_cmp_gt_u32_e64 s0, 8, v11
	s_delay_alu instid0(VALU_DEP_3) | instskip(NEXT) | instid1(VALU_DEP_2)
	v_dual_mov_b32 v12, v1 :: v_dual_mov_b32 v11, v0
	s_and_saveexec_b32 s15, s0
; %bb.1259:                             ;   in Loop: Header=BB361_671 Depth=1
	v_clz_i32_u32_e32 v11, v0
	s_delay_alu instid0(VALU_DEP_1) | instskip(NEXT) | instid1(VALU_DEP_1)
	v_min_u32_e32 v114, 32, v11
	v_subrev_nc_u32_e32 v11, 28, v114
	v_sub_nc_u32_e32 v114, 29, v114
	s_delay_alu instid0(VALU_DEP_2) | instskip(NEXT) | instid1(VALU_DEP_1)
	v_lshlrev_b64 v[11:12], v11, v[0:1]
	v_and_b32_e32 v11, 7, v11
; %bb.1260:                             ;   in Loop: Header=BB361_671 Depth=1
	s_or_b32 exec_lo, exec_lo, s15
	v_lshlrev_b32_e32 v0, 8, v14
	v_lshl_add_u32 v12, v114, 10, 0x2000
	s_delay_alu instid0(VALU_DEP_1) | instskip(NEXT) | instid1(VALU_DEP_1)
	v_and_or_b32 v0, 0x8000, v0, v12
	v_lshl_or_b32 v0, v11, 7, v0
	s_delay_alu instid0(VALU_DEP_1)
	v_cvt_f32_f16_e32 v114, v0
.LBB361_1261:                           ;   in Loop: Header=BB361_671 Depth=1
	s_or_b32 exec_lo, exec_lo, s13
.LBB361_1262:                           ;   in Loop: Header=BB361_671 Depth=1
	s_delay_alu instid0(SALU_CYCLE_1)
	s_or_b32 exec_lo, exec_lo, s12
.LBB361_1263:                           ;   in Loop: Header=BB361_671 Depth=1
	s_delay_alu instid0(SALU_CYCLE_1)
	s_or_b32 exec_lo, exec_lo, s10
	s_waitcnt vmcnt(0) lgkmcnt(0)
	v_fma_mixlo_f16 v12, v99, v101, 0
	v_fma_mixlo_f16 v0, v99, v103, 0
	;; [unrolled: 1-line block ×5, first 2 shown]
	v_lshlrev_b32_e32 v14, 16, v12
	v_fma_mixlo_f16 v102, v99, v112, 0
	v_fma_mixlo_f16 v103, v99, v114, 0
	;; [unrolled: 1-line block ×3, first 2 shown]
	v_lshlrev_b32_e32 v0, 16, v0
	v_and_b32_e32 v11, 0xffff, v11
	v_and_b32_e32 v99, 0xffff, v100
	v_lshlrev_b32_e32 v100, 16, v101
	v_and_b32_e32 v101, 0xffff, v102
	v_lshlrev_b32_e32 v102, 16, v103
	v_and_b32_e32 v103, 0xffff, v12
	v_or_b32_e32 v13, v0, v11
	v_or_b32_e32 v14, v14, v99
	;; [unrolled: 1-line block ×3, first 2 shown]
	s_delay_alu instid0(VALU_DEP_4)
	v_or_b32_e32 v11, v102, v103
	s_and_saveexec_b32 s10, vcc_lo
	s_cbranch_execz .LBB361_1265
; %bb.1264:                             ;   in Loop: Header=BB361_671 Depth=1
	v_cmp_lt_i32_e64 s0, v15, v35
	v_lshrrev_b32_e32 v99, 16, v14
	v_lshrrev_b32_e32 v100, 16, v13
	;; [unrolled: 1-line block ×4, first 2 shown]
	v_cndmask_b32_e64 v14, 0, v14, s0
	v_cmp_lt_i32_e64 s0, v54, v48
	s_delay_alu instid0(VALU_DEP_1) | instskip(SKIP_1) | instid1(VALU_DEP_2)
	v_cndmask_b32_e64 v99, 0, v99, s0
	v_cmp_lt_i32_e64 s0, v53, v48
	v_perm_b32 v14, v99, v14, 0x5040100
	s_delay_alu instid0(VALU_DEP_2) | instskip(SKIP_1) | instid1(VALU_DEP_1)
	v_cndmask_b32_e64 v100, 0, v100, s0
	v_cmp_lt_i32_e64 s0, v52, v35
	v_cndmask_b32_e64 v13, 0, v13, s0
	v_cmp_lt_i32_e64 s0, v51, v48
	s_delay_alu instid0(VALU_DEP_2) | instskip(NEXT) | instid1(VALU_DEP_2)
	v_perm_b32 v13, v100, v13, 0x5040100
	v_cndmask_b32_e64 v101, 0, v101, s0
	v_cmp_lt_i32_e64 s0, v50, v35
	s_delay_alu instid0(VALU_DEP_1) | instskip(SKIP_1) | instid1(VALU_DEP_2)
	v_cndmask_b32_e64 v0, 0, v0, s0
	v_cmp_lt_i32_e64 s0, v38, v48
	v_perm_b32 v0, v101, v0, 0x5040100
	s_delay_alu instid0(VALU_DEP_2) | instskip(SKIP_1) | instid1(VALU_DEP_1)
	v_cndmask_b32_e64 v11, 0, v11, s0
	v_cmp_lt_i32_e64 s0, v17, v35
	v_cndmask_b32_e64 v12, 0, v12, s0
	s_delay_alu instid0(VALU_DEP_1)
	v_perm_b32 v11, v11, v12, 0x5040100
.LBB361_1265:                           ;   in Loop: Header=BB361_671 Depth=1
	s_or_b32 exec_lo, exec_lo, s10
	;;#ASMSTART
	v_pk_mul_f16 v12, v68, v14;

	;;#ASMEND
	;;#ASMSTART
	v_pk_mul_f16 v13, v66, v13;

	;;#ASMEND
	;; [unrolled: 4-line block ×4, first 2 shown]
	;;#ASMSTART
	v_pk_add_f16 v12, v12, v13;

	;;#ASMEND
	;;#ASMSTART
	v_pk_add_f16 v0, v12, v0;

	;;#ASMEND
	;; [unrolled: 4-line block ×3, first 2 shown]
	v_dual_mov_b32 v100, 0 :: v_dual_and_b32 v11, 0xffff, v0
	v_lshrrev_b32_e32 v0, 16, v0
	;;#ASMSTART
	v_cvt_f32_f16 v13, v11;
	;;#ASMEND
	;;#ASMSTART
	v_cvt_f32_f16 v14, v0;
	;;#ASMEND
	flat_load_b64 v[9:10], v[9:10] offset:2304
	flat_load_b32 v99, v[26:27]
	s_mov_b32 s10, exec_lo
	s_waitcnt vmcnt(1) lgkmcnt(1)
	v_dual_mov_b32 v101, 0 :: v_dual_and_b32 v0, 0xff, v9
	s_delay_alu instid0(VALU_DEP_1)
	v_cmpx_ne_u16_e32 0, v0
	s_cbranch_execz .LBB361_1273
; %bb.1266:                             ;   in Loop: Header=BB361_671 Depth=1
	v_bfrev_b32_e32 v100, 1
	s_mov_b32 s12, exec_lo
	v_cmpx_ne_u16_e32 0x80, v0
	s_cbranch_execz .LBB361_1272
; %bb.1267:                             ;   in Loop: Header=BB361_671 Depth=1
	v_and_b32_e32 v11, 0x7f, v9
	v_mov_b32_e32 v100, 0x7fc02000
	s_mov_b32 s13, exec_lo
	s_delay_alu instid0(VALU_DEP_2)
	v_cmpx_ne_u32_e32 0x7f, v11
	s_cbranch_execz .LBB361_1271
; %bb.1268:                             ;   in Loop: Header=BB361_671 Depth=1
	v_lshrrev_b32_e32 v0, 3, v11
	v_cmp_gt_u32_e64 s0, 8, v11
	v_dual_mov_b32 v12, v10 :: v_dual_mov_b32 v11, v9
	s_delay_alu instid0(VALU_DEP_2)
	s_and_saveexec_b32 s15, s0
; %bb.1269:                             ;   in Loop: Header=BB361_671 Depth=1
	v_and_b32_e32 v0, 7, v9
	s_delay_alu instid0(VALU_DEP_1) | instskip(NEXT) | instid1(VALU_DEP_1)
	v_clz_i32_u32_e32 v0, v0
	v_min_u32_e32 v0, 32, v0
	s_delay_alu instid0(VALU_DEP_1) | instskip(SKIP_1) | instid1(VALU_DEP_2)
	v_subrev_nc_u32_e32 v11, 28, v0
	v_sub_nc_u32_e32 v0, 29, v0
	v_lshlrev_b64 v[11:12], v11, v[9:10]
; %bb.1270:                             ;   in Loop: Header=BB361_671 Depth=1
	s_or_b32 exec_lo, exec_lo, s15
	v_lshlrev_b32_e32 v12, 8, v9
	s_delay_alu instid0(VALU_DEP_3) | instskip(NEXT) | instid1(VALU_DEP_3)
	v_lshl_add_u32 v0, v0, 10, 0x2000
	v_lshlrev_b32_e32 v11, 7, v11
	s_delay_alu instid0(VALU_DEP_2) | instskip(NEXT) | instid1(VALU_DEP_1)
	v_and_or_b32 v0, 0x8000, v12, v0
	v_and_or_b32 v0, 0x380, v11, v0
	s_delay_alu instid0(VALU_DEP_1)
	v_cvt_f32_f16_e32 v100, v0
.LBB361_1271:                           ;   in Loop: Header=BB361_671 Depth=1
	s_or_b32 exec_lo, exec_lo, s13
.LBB361_1272:                           ;   in Loop: Header=BB361_671 Depth=1
	s_delay_alu instid0(SALU_CYCLE_1)
	s_or_b32 exec_lo, exec_lo, s12
.LBB361_1273:                           ;   in Loop: Header=BB361_671 Depth=1
	s_delay_alu instid0(SALU_CYCLE_1) | instskip(SKIP_2) | instid1(VALU_DEP_1)
	s_or_b32 exec_lo, exec_lo, s10
	v_lshrrev_b16 v0, 8, v9
	s_mov_b32 s10, exec_lo
	v_cmpx_ne_u16_e32 0, v0
	s_cbranch_execz .LBB361_1281
; %bb.1274:                             ;   in Loop: Header=BB361_671 Depth=1
	v_bfrev_b32_e32 v101, 1
	s_mov_b32 s12, exec_lo
	v_cmpx_ne_u16_e32 0x80, v0
	s_cbranch_execz .LBB361_1280
; %bb.1275:                             ;   in Loop: Header=BB361_671 Depth=1
	v_and_b32_e32 v102, 0xffff, v0
	v_mov_b32_e32 v101, 0x7fc02000
	s_mov_b32 s13, exec_lo
	s_delay_alu instid0(VALU_DEP_2) | instskip(NEXT) | instid1(VALU_DEP_1)
	v_and_b32_e32 v11, 0x7f, v102
	v_cmpx_ne_u32_e32 0x7f, v11
	s_cbranch_execz .LBB361_1279
; %bb.1276:                             ;   in Loop: Header=BB361_671 Depth=1
	v_and_b32_e32 v0, 7, v102
	v_lshrrev_b32_e32 v101, 3, v11
	v_cmp_gt_u32_e64 s0, 8, v11
	s_delay_alu instid0(VALU_DEP_3) | instskip(NEXT) | instid1(VALU_DEP_2)
	v_dual_mov_b32 v12, v1 :: v_dual_mov_b32 v11, v0
	s_and_saveexec_b32 s15, s0
; %bb.1277:                             ;   in Loop: Header=BB361_671 Depth=1
	v_clz_i32_u32_e32 v11, v0
	s_delay_alu instid0(VALU_DEP_1) | instskip(NEXT) | instid1(VALU_DEP_1)
	v_min_u32_e32 v101, 32, v11
	v_subrev_nc_u32_e32 v11, 28, v101
	v_sub_nc_u32_e32 v101, 29, v101
	s_delay_alu instid0(VALU_DEP_2) | instskip(NEXT) | instid1(VALU_DEP_1)
	v_lshlrev_b64 v[11:12], v11, v[0:1]
	v_and_b32_e32 v11, 7, v11
; %bb.1278:                             ;   in Loop: Header=BB361_671 Depth=1
	s_or_b32 exec_lo, exec_lo, s15
	v_lshlrev_b32_e32 v0, 8, v102
	v_lshl_add_u32 v12, v101, 10, 0x2000
	s_delay_alu instid0(VALU_DEP_1) | instskip(NEXT) | instid1(VALU_DEP_1)
	v_and_or_b32 v0, 0x8000, v0, v12
	v_lshl_or_b32 v0, v11, 7, v0
	s_delay_alu instid0(VALU_DEP_1)
	v_cvt_f32_f16_e32 v101, v0
.LBB361_1279:                           ;   in Loop: Header=BB361_671 Depth=1
	s_or_b32 exec_lo, exec_lo, s13
.LBB361_1280:                           ;   in Loop: Header=BB361_671 Depth=1
	s_delay_alu instid0(SALU_CYCLE_1)
	s_or_b32 exec_lo, exec_lo, s12
.LBB361_1281:                           ;   in Loop: Header=BB361_671 Depth=1
	s_delay_alu instid0(SALU_CYCLE_1) | instskip(SKIP_3) | instid1(VALU_DEP_2)
	s_or_b32 exec_lo, exec_lo, s10
	v_lshrrev_b32_e32 v112, 16, v9
	v_mov_b32_e32 v102, 0
	s_mov_b32 s10, exec_lo
	v_dual_mov_b32 v103, 0 :: v_dual_and_b32 v0, 0xff, v112
	s_delay_alu instid0(VALU_DEP_1)
	v_cmpx_ne_u16_e32 0, v0
	s_cbranch_execz .LBB361_1289
; %bb.1282:                             ;   in Loop: Header=BB361_671 Depth=1
	v_bfrev_b32_e32 v102, 1
	s_mov_b32 s12, exec_lo
	v_cmpx_ne_u16_e32 0x80, v0
	s_cbranch_execz .LBB361_1288
; %bb.1283:                             ;   in Loop: Header=BB361_671 Depth=1
	v_bfe_u32 v11, v9, 16, 7
	v_mov_b32_e32 v102, 0x7fc02000
	s_mov_b32 s13, exec_lo
	s_delay_alu instid0(VALU_DEP_2)
	v_cmpx_ne_u32_e32 0x7f, v11
	s_cbranch_execz .LBB361_1287
; %bb.1284:                             ;   in Loop: Header=BB361_671 Depth=1
	v_and_b32_e32 v0, 7, v112
	v_lshrrev_b32_e32 v102, 3, v11
	v_cmp_gt_u32_e64 s0, 8, v11
	s_delay_alu instid0(VALU_DEP_3) | instskip(NEXT) | instid1(VALU_DEP_2)
	v_dual_mov_b32 v12, v1 :: v_dual_mov_b32 v11, v0
	s_and_saveexec_b32 s15, s0
; %bb.1285:                             ;   in Loop: Header=BB361_671 Depth=1
	v_clz_i32_u32_e32 v11, v0
	s_delay_alu instid0(VALU_DEP_1) | instskip(NEXT) | instid1(VALU_DEP_1)
	v_min_u32_e32 v102, 32, v11
	v_subrev_nc_u32_e32 v11, 28, v102
	v_sub_nc_u32_e32 v102, 29, v102
	s_delay_alu instid0(VALU_DEP_2) | instskip(NEXT) | instid1(VALU_DEP_1)
	v_lshlrev_b64 v[11:12], v11, v[0:1]
	v_and_b32_e32 v11, 7, v11
; %bb.1286:                             ;   in Loop: Header=BB361_671 Depth=1
	s_or_b32 exec_lo, exec_lo, s15
	v_lshlrev_b32_e32 v0, 8, v112
	v_lshl_add_u32 v12, v102, 10, 0x2000
	s_delay_alu instid0(VALU_DEP_1) | instskip(NEXT) | instid1(VALU_DEP_1)
	v_and_or_b32 v0, 0x8000, v0, v12
	v_lshl_or_b32 v0, v11, 7, v0
	s_delay_alu instid0(VALU_DEP_1)
	v_cvt_f32_f16_e32 v102, v0
.LBB361_1287:                           ;   in Loop: Header=BB361_671 Depth=1
	s_or_b32 exec_lo, exec_lo, s13
.LBB361_1288:                           ;   in Loop: Header=BB361_671 Depth=1
	s_delay_alu instid0(SALU_CYCLE_1)
	s_or_b32 exec_lo, exec_lo, s12
.LBB361_1289:                           ;   in Loop: Header=BB361_671 Depth=1
	s_delay_alu instid0(SALU_CYCLE_1) | instskip(NEXT) | instid1(SALU_CYCLE_1)
	s_or_b32 exec_lo, exec_lo, s10
	s_mov_b32 s10, exec_lo
	v_cmpx_lt_u32_e32 0xffffff, v9
	s_cbranch_execz .LBB361_1297
; %bb.1290:                             ;   in Loop: Header=BB361_671 Depth=1
	v_lshrrev_b32_e32 v112, 24, v9
	v_bfrev_b32_e32 v103, 1
	s_mov_b32 s12, exec_lo
	s_delay_alu instid0(VALU_DEP_2)
	v_cmpx_ne_u32_e32 0x80, v112
	s_cbranch_execz .LBB361_1296
; %bb.1291:                             ;   in Loop: Header=BB361_671 Depth=1
	v_and_b32_e32 v11, 0x7f, v112
	v_mov_b32_e32 v103, 0x7fc02000
	s_mov_b32 s13, exec_lo
	s_delay_alu instid0(VALU_DEP_2)
	v_cmpx_ne_u32_e32 0x7f, v11
	s_cbranch_execz .LBB361_1295
; %bb.1292:                             ;   in Loop: Header=BB361_671 Depth=1
	v_and_b32_e32 v0, 7, v112
	v_lshrrev_b32_e32 v103, 3, v11
	v_cmp_gt_u32_e64 s0, 8, v11
	s_delay_alu instid0(VALU_DEP_3) | instskip(NEXT) | instid1(VALU_DEP_2)
	v_dual_mov_b32 v12, v1 :: v_dual_mov_b32 v11, v0
	s_and_saveexec_b32 s15, s0
; %bb.1293:                             ;   in Loop: Header=BB361_671 Depth=1
	v_clz_i32_u32_e32 v11, v0
	s_delay_alu instid0(VALU_DEP_1) | instskip(NEXT) | instid1(VALU_DEP_1)
	v_min_u32_e32 v103, 32, v11
	v_subrev_nc_u32_e32 v11, 28, v103
	v_sub_nc_u32_e32 v103, 29, v103
	s_delay_alu instid0(VALU_DEP_2) | instskip(NEXT) | instid1(VALU_DEP_1)
	v_lshlrev_b64 v[11:12], v11, v[0:1]
	v_and_b32_e32 v11, 7, v11
; %bb.1294:                             ;   in Loop: Header=BB361_671 Depth=1
	s_or_b32 exec_lo, exec_lo, s15
	v_lshlrev_b32_e32 v0, 8, v112
	v_lshl_add_u32 v12, v103, 10, 0x2000
	s_delay_alu instid0(VALU_DEP_1) | instskip(NEXT) | instid1(VALU_DEP_1)
	v_and_or_b32 v0, 0x8000, v0, v12
	v_lshl_or_b32 v0, v11, 7, v0
	s_delay_alu instid0(VALU_DEP_1)
	v_cvt_f32_f16_e32 v103, v0
.LBB361_1295:                           ;   in Loop: Header=BB361_671 Depth=1
	s_or_b32 exec_lo, exec_lo, s13
.LBB361_1296:                           ;   in Loop: Header=BB361_671 Depth=1
	s_delay_alu instid0(SALU_CYCLE_1)
	s_or_b32 exec_lo, exec_lo, s12
.LBB361_1297:                           ;   in Loop: Header=BB361_671 Depth=1
	s_delay_alu instid0(SALU_CYCLE_1) | instskip(SKIP_3) | instid1(VALU_DEP_2)
	s_or_b32 exec_lo, exec_lo, s10
	v_dual_mov_b32 v0, v10 :: v_dual_and_b32 v11, 0xff, v10
	v_dual_mov_b32 v113, 0 :: v_dual_mov_b32 v112, 0
	s_mov_b32 s10, exec_lo
	v_cmpx_ne_u16_e32 0, v11
	s_cbranch_execz .LBB361_1305
; %bb.1298:                             ;   in Loop: Header=BB361_671 Depth=1
	v_bfrev_b32_e32 v112, 1
	s_mov_b32 s12, exec_lo
	v_cmpx_ne_u16_e32 0x80, v11
	s_cbranch_execz .LBB361_1304
; %bb.1299:                             ;   in Loop: Header=BB361_671 Depth=1
	v_and_b32_e32 v11, 0x7f, v10
	v_mov_b32_e32 v112, 0x7fc02000
	s_mov_b32 s13, exec_lo
	s_delay_alu instid0(VALU_DEP_2)
	v_cmpx_ne_u32_e32 0x7f, v11
	s_cbranch_execz .LBB361_1303
; %bb.1300:                             ;   in Loop: Header=BB361_671 Depth=1
	v_lshrrev_b32_e32 v112, 3, v11
	v_cmp_gt_u32_e64 s0, 8, v11
	v_dual_mov_b32 v12, v1 :: v_dual_mov_b32 v11, v0
	s_delay_alu instid0(VALU_DEP_2)
	s_and_saveexec_b32 s15, s0
; %bb.1301:                             ;   in Loop: Header=BB361_671 Depth=1
	v_and_b32_e32 v11, 7, v10
	s_delay_alu instid0(VALU_DEP_1) | instskip(NEXT) | instid1(VALU_DEP_1)
	v_clz_i32_u32_e32 v11, v11
	v_min_u32_e32 v112, 32, v11
	s_delay_alu instid0(VALU_DEP_1) | instskip(SKIP_1) | instid1(VALU_DEP_2)
	v_subrev_nc_u32_e32 v11, 28, v112
	v_sub_nc_u32_e32 v112, 29, v112
	v_lshlrev_b64 v[11:12], v11, v[0:1]
; %bb.1302:                             ;   in Loop: Header=BB361_671 Depth=1
	s_or_b32 exec_lo, exec_lo, s15
	v_lshlrev_b32_e32 v12, 8, v10
	s_delay_alu instid0(VALU_DEP_3) | instskip(NEXT) | instid1(VALU_DEP_3)
	v_lshl_add_u32 v112, v112, 10, 0x2000
	v_lshlrev_b32_e32 v11, 7, v11
	s_delay_alu instid0(VALU_DEP_2) | instskip(NEXT) | instid1(VALU_DEP_1)
	v_and_or_b32 v12, 0x8000, v12, v112
	v_and_or_b32 v11, 0x380, v11, v12
	s_delay_alu instid0(VALU_DEP_1)
	v_cvt_f32_f16_e32 v112, v11
.LBB361_1303:                           ;   in Loop: Header=BB361_671 Depth=1
	s_or_b32 exec_lo, exec_lo, s13
.LBB361_1304:                           ;   in Loop: Header=BB361_671 Depth=1
	s_delay_alu instid0(SALU_CYCLE_1)
	s_or_b32 exec_lo, exec_lo, s12
.LBB361_1305:                           ;   in Loop: Header=BB361_671 Depth=1
	s_delay_alu instid0(SALU_CYCLE_1) | instskip(SKIP_2) | instid1(VALU_DEP_1)
	s_or_b32 exec_lo, exec_lo, s10
	v_lshrrev_b16 v0, 8, v0
	s_mov_b32 s10, exec_lo
	v_cmpx_ne_u16_e32 0, v0
	s_cbranch_execz .LBB361_1313
; %bb.1306:                             ;   in Loop: Header=BB361_671 Depth=1
	v_bfrev_b32_e32 v113, 1
	s_mov_b32 s12, exec_lo
	v_cmpx_ne_u16_e32 0x80, v0
	s_cbranch_execz .LBB361_1312
; %bb.1307:                             ;   in Loop: Header=BB361_671 Depth=1
	v_and_b32_e32 v114, 0xffff, v0
	v_mov_b32_e32 v113, 0x7fc02000
	s_mov_b32 s13, exec_lo
	s_delay_alu instid0(VALU_DEP_2) | instskip(NEXT) | instid1(VALU_DEP_1)
	v_and_b32_e32 v11, 0x7f, v114
	v_cmpx_ne_u32_e32 0x7f, v11
	s_cbranch_execz .LBB361_1311
; %bb.1308:                             ;   in Loop: Header=BB361_671 Depth=1
	v_and_b32_e32 v0, 7, v114
	v_lshrrev_b32_e32 v113, 3, v11
	v_cmp_gt_u32_e64 s0, 8, v11
	s_delay_alu instid0(VALU_DEP_3) | instskip(NEXT) | instid1(VALU_DEP_2)
	v_dual_mov_b32 v12, v1 :: v_dual_mov_b32 v11, v0
	s_and_saveexec_b32 s15, s0
; %bb.1309:                             ;   in Loop: Header=BB361_671 Depth=1
	v_clz_i32_u32_e32 v11, v0
	s_delay_alu instid0(VALU_DEP_1) | instskip(NEXT) | instid1(VALU_DEP_1)
	v_min_u32_e32 v113, 32, v11
	v_subrev_nc_u32_e32 v11, 28, v113
	v_sub_nc_u32_e32 v113, 29, v113
	s_delay_alu instid0(VALU_DEP_2) | instskip(NEXT) | instid1(VALU_DEP_1)
	v_lshlrev_b64 v[11:12], v11, v[0:1]
	v_and_b32_e32 v11, 7, v11
; %bb.1310:                             ;   in Loop: Header=BB361_671 Depth=1
	s_or_b32 exec_lo, exec_lo, s15
	v_lshlrev_b32_e32 v0, 8, v114
	v_lshl_add_u32 v12, v113, 10, 0x2000
	s_delay_alu instid0(VALU_DEP_1) | instskip(NEXT) | instid1(VALU_DEP_1)
	v_and_or_b32 v0, 0x8000, v0, v12
	v_lshl_or_b32 v0, v11, 7, v0
	s_delay_alu instid0(VALU_DEP_1)
	v_cvt_f32_f16_e32 v113, v0
.LBB361_1311:                           ;   in Loop: Header=BB361_671 Depth=1
	s_or_b32 exec_lo, exec_lo, s13
.LBB361_1312:                           ;   in Loop: Header=BB361_671 Depth=1
	s_delay_alu instid0(SALU_CYCLE_1)
	s_or_b32 exec_lo, exec_lo, s12
.LBB361_1313:                           ;   in Loop: Header=BB361_671 Depth=1
	s_delay_alu instid0(SALU_CYCLE_1) | instskip(SKIP_3) | instid1(VALU_DEP_2)
	s_or_b32 exec_lo, exec_lo, s10
	v_lshrrev_b32_e32 v115, 16, v10
	v_mov_b32_e32 v114, 0
	s_mov_b32 s10, exec_lo
	v_dual_mov_b32 v11, 0 :: v_dual_and_b32 v0, 0xff, v115
	s_delay_alu instid0(VALU_DEP_1)
	v_cmpx_ne_u16_e32 0, v0
	s_cbranch_execz .LBB361_1321
; %bb.1314:                             ;   in Loop: Header=BB361_671 Depth=1
	v_bfrev_b32_e32 v11, 1
	s_mov_b32 s12, exec_lo
	v_cmpx_ne_u16_e32 0x80, v0
	s_cbranch_execz .LBB361_1320
; %bb.1315:                             ;   in Loop: Header=BB361_671 Depth=1
	v_bfe_u32 v12, v10, 16, 7
	v_mov_b32_e32 v11, 0x7fc02000
	s_mov_b32 s13, exec_lo
	s_delay_alu instid0(VALU_DEP_2)
	v_cmpx_ne_u32_e32 0x7f, v12
	s_cbranch_execz .LBB361_1319
; %bb.1316:                             ;   in Loop: Header=BB361_671 Depth=1
	v_and_b32_e32 v0, 7, v115
	v_lshrrev_b32_e32 v116, 3, v12
	v_cmp_gt_u32_e64 s0, 8, v12
	s_delay_alu instid0(VALU_DEP_3) | instskip(NEXT) | instid1(VALU_DEP_2)
	v_dual_mov_b32 v12, v1 :: v_dual_mov_b32 v11, v0
	s_and_saveexec_b32 s15, s0
; %bb.1317:                             ;   in Loop: Header=BB361_671 Depth=1
	v_clz_i32_u32_e32 v11, v0
	s_delay_alu instid0(VALU_DEP_1) | instskip(NEXT) | instid1(VALU_DEP_1)
	v_min_u32_e32 v116, 32, v11
	v_subrev_nc_u32_e32 v11, 28, v116
	v_sub_nc_u32_e32 v116, 29, v116
	s_delay_alu instid0(VALU_DEP_2) | instskip(NEXT) | instid1(VALU_DEP_1)
	v_lshlrev_b64 v[11:12], v11, v[0:1]
	v_and_b32_e32 v11, 7, v11
; %bb.1318:                             ;   in Loop: Header=BB361_671 Depth=1
	s_or_b32 exec_lo, exec_lo, s15
	v_lshlrev_b32_e32 v0, 8, v115
	v_lshl_add_u32 v12, v116, 10, 0x2000
	s_delay_alu instid0(VALU_DEP_1) | instskip(NEXT) | instid1(VALU_DEP_1)
	v_and_or_b32 v0, 0x8000, v0, v12
	v_lshl_or_b32 v0, v11, 7, v0
	s_delay_alu instid0(VALU_DEP_1)
	v_cvt_f32_f16_e32 v11, v0
.LBB361_1319:                           ;   in Loop: Header=BB361_671 Depth=1
	s_or_b32 exec_lo, exec_lo, s13
.LBB361_1320:                           ;   in Loop: Header=BB361_671 Depth=1
	s_delay_alu instid0(SALU_CYCLE_1)
	s_or_b32 exec_lo, exec_lo, s12
.LBB361_1321:                           ;   in Loop: Header=BB361_671 Depth=1
	s_delay_alu instid0(SALU_CYCLE_1) | instskip(NEXT) | instid1(SALU_CYCLE_1)
	s_or_b32 exec_lo, exec_lo, s10
	s_mov_b32 s10, exec_lo
	v_cmpx_lt_u64_e64 s[8:9], v[9:10]
	s_cbranch_execz .LBB361_1329
; %bb.1322:                             ;   in Loop: Header=BB361_671 Depth=1
	v_lshrrev_b32_e32 v12, 24, v10
	v_bfrev_b32_e32 v114, 1
	s_mov_b32 s12, exec_lo
	s_delay_alu instid0(VALU_DEP_2)
	v_cmpx_ne_u32_e32 0x80, v12
	s_cbranch_execz .LBB361_1328
; %bb.1323:                             ;   in Loop: Header=BB361_671 Depth=1
	v_and_b32_e32 v9, 0x7f, v12
	v_mov_b32_e32 v114, 0x7fc02000
	s_mov_b32 s13, exec_lo
	s_delay_alu instid0(VALU_DEP_2)
	v_cmpx_ne_u32_e32 0x7f, v9
	s_cbranch_execz .LBB361_1327
; %bb.1324:                             ;   in Loop: Header=BB361_671 Depth=1
	v_and_b32_e32 v0, 7, v12
	v_lshrrev_b32_e32 v114, 3, v9
	v_cmp_gt_u32_e64 s0, 8, v9
	s_delay_alu instid0(VALU_DEP_3) | instskip(NEXT) | instid1(VALU_DEP_2)
	v_dual_mov_b32 v10, v1 :: v_dual_mov_b32 v9, v0
	s_and_saveexec_b32 s15, s0
; %bb.1325:                             ;   in Loop: Header=BB361_671 Depth=1
	v_clz_i32_u32_e32 v9, v0
	s_delay_alu instid0(VALU_DEP_1) | instskip(NEXT) | instid1(VALU_DEP_1)
	v_min_u32_e32 v114, 32, v9
	v_subrev_nc_u32_e32 v9, 28, v114
	v_sub_nc_u32_e32 v114, 29, v114
	s_delay_alu instid0(VALU_DEP_2) | instskip(NEXT) | instid1(VALU_DEP_1)
	v_lshlrev_b64 v[9:10], v9, v[0:1]
	v_and_b32_e32 v9, 7, v9
; %bb.1326:                             ;   in Loop: Header=BB361_671 Depth=1
	s_or_b32 exec_lo, exec_lo, s15
	v_lshlrev_b32_e32 v0, 8, v12
	v_lshl_add_u32 v10, v114, 10, 0x2000
	s_delay_alu instid0(VALU_DEP_1) | instskip(NEXT) | instid1(VALU_DEP_1)
	v_and_or_b32 v0, 0x8000, v0, v10
	v_lshl_or_b32 v0, v9, 7, v0
	s_delay_alu instid0(VALU_DEP_1)
	v_cvt_f32_f16_e32 v114, v0
.LBB361_1327:                           ;   in Loop: Header=BB361_671 Depth=1
	s_or_b32 exec_lo, exec_lo, s13
.LBB361_1328:                           ;   in Loop: Header=BB361_671 Depth=1
	s_delay_alu instid0(SALU_CYCLE_1)
	s_or_b32 exec_lo, exec_lo, s12
.LBB361_1329:                           ;   in Loop: Header=BB361_671 Depth=1
	s_delay_alu instid0(SALU_CYCLE_1)
	s_or_b32 exec_lo, exec_lo, s10
	s_waitcnt vmcnt(0) lgkmcnt(0)
	v_fma_mixlo_f16 v10, v99, v101, 0
	v_fma_mixlo_f16 v0, v99, v103, 0
	;; [unrolled: 1-line block ×5, first 2 shown]
	v_lshlrev_b32_e32 v101, 16, v10
	v_fma_mixlo_f16 v10, v99, v100, 0
	v_fma_mixlo_f16 v100, v99, v113, 0
	;; [unrolled: 1-line block ×3, first 2 shown]
	v_lshlrev_b32_e32 v0, 16, v0
	v_and_b32_e32 v9, 0xffff, v9
	v_and_b32_e32 v11, 0xffff, v10
	v_lshlrev_b32_e32 v99, 16, v100
	v_and_b32_e32 v100, 0xffff, v102
	v_lshlrev_b32_e32 v102, 16, v103
	v_and_b32_e32 v103, 0xffff, v12
	v_or_b32_e32 v10, v0, v9
	v_or_b32_e32 v11, v101, v11
	;; [unrolled: 1-line block ×3, first 2 shown]
	s_delay_alu instid0(VALU_DEP_4)
	v_or_b32_e32 v9, v102, v103
	s_and_saveexec_b32 s0, vcc_lo
	s_cbranch_execz .LBB361_670
; %bb.1330:                             ;   in Loop: Header=BB361_671 Depth=1
	v_cmp_lt_i32_e32 vcc_lo, v15, v35
	v_lshrrev_b32_e32 v99, 16, v11
	v_lshrrev_b32_e32 v100, 16, v10
	;; [unrolled: 1-line block ×3, first 2 shown]
	v_cndmask_b32_e32 v11, 0, v11, vcc_lo
	v_cmp_lt_i32_e32 vcc_lo, v54, v48
	v_cndmask_b32_e32 v54, 0, v99, vcc_lo
	v_cmp_lt_i32_e32 vcc_lo, v53, v48
	v_lshrrev_b32_e32 v99, 16, v0
	v_cndmask_b32_e32 v53, 0, v100, vcc_lo
	v_cmp_lt_i32_e32 vcc_lo, v52, v35
	v_cndmask_b32_e32 v10, 0, v10, vcc_lo
	v_cmp_lt_i32_e32 vcc_lo, v51, v48
	v_perm_b32 v11, v54, v11, 0x5040100
	s_delay_alu instid0(VALU_DEP_3) | instskip(SKIP_4) | instid1(VALU_DEP_2)
	v_perm_b32 v10, v53, v10, 0x5040100
	v_cndmask_b32_e32 v51, 0, v99, vcc_lo
	v_cmp_lt_i32_e32 vcc_lo, v50, v35
	v_cndmask_b32_e32 v0, 0, v0, vcc_lo
	v_cmp_lt_i32_e32 vcc_lo, v38, v48
	v_perm_b32 v0, v51, v0, 0x5040100
	v_cndmask_b32_e32 v9, 0, v9, vcc_lo
	v_cmp_lt_i32_e32 vcc_lo, v17, v35
	v_cndmask_b32_e32 v12, 0, v12, vcc_lo
	s_delay_alu instid0(VALU_DEP_1)
	v_perm_b32 v9, v9, v12, 0x5040100
	s_branch .LBB361_670
.LBB361_1331:
	s_or_b32 exec_lo, exec_lo, s5
	v_dual_mov_b32 v0, s6 :: v_dual_mov_b32 v1, s7
.LBB361_1332:
	s_or_b32 exec_lo, exec_lo, s3
	s_delay_alu instid0(VALU_DEP_1)
	v_lshlrev_b64 v[0:1], 2, v[0:1]
	s_getpc_b64 s[6:7]
	s_add_u32 s6, s6, llvm.amdgcn.dynlds.offset.table@rel32@lo+4
	s_addc_u32 s7, s7, llvm.amdgcn.dynlds.offset.table@rel32@hi+12
	s_waitcnt lgkmcnt(0)
	s_waitcnt_vscnt null, 0x0
	s_barrier
	buffer_gl0_inv
	ds_bpermute_b32 v7, v19, v29
	v_add_co_u32 v0, vcc_lo, v0, s6
	v_add_co_ci_u32_e32 v1, vcc_lo, s7, v1, vcc_lo
	ds_bpermute_b32 v2, v19, v33
	ds_bpermute_b32 v3, v19, v32
	;; [unrolled: 1-line block ×3, first 2 shown]
	global_load_b32 v13, v[0:1], off
	ds_bpermute_b32 v0, v19, v31
	ds_bpermute_b32 v1, v19, v49
	;; [unrolled: 1-line block ×6, first 2 shown]
	v_lshrrev_b32_e32 v12, 2, v37
	s_waitcnt lgkmcnt(9)
	v_add_f32_e32 v14, v29, v7
	s_waitcnt lgkmcnt(7)
	v_dual_add_f32 v2, v33, v2 :: v_dual_add_f32 v3, v32, v3
	s_waitcnt lgkmcnt(6)
	v_add_f32_e32 v6, v30, v6
	s_waitcnt lgkmcnt(4)
	v_dual_add_f32 v0, v31, v0 :: v_dual_add_f32 v1, v49, v1
	s_waitcnt lgkmcnt(3)
	v_add_f32_e32 v15, v28, v8
	ds_bpermute_b32 v22, v18, v6
	s_waitcnt lgkmcnt(2)
	v_add_f32_e32 v17, v24, v10
	ds_bpermute_b32 v7, v18, v0
	v_add_f32_e32 v16, v25, v9
	s_waitcnt lgkmcnt(2)
	v_dual_add_f32 v19, v21, v11 :: v_dual_and_b32 v10, 0x3c3, v34
	ds_bpermute_b32 v8, v18, v1
	ds_bpermute_b32 v9, v18, v2
	;; [unrolled: 1-line block ×6, first 2 shown]
	v_cmp_eq_u32_e32 vcc_lo, 64, v10
	s_waitcnt lgkmcnt(6)
	v_add_f32_e32 v11, v0, v7
	ds_bpermute_b32 v25, v18, v16
	ds_bpermute_b32 v18, v18, v19
	s_waitcnt lgkmcnt(7)
	v_dual_add_f32 v7, v6, v22 :: v_dual_add_f32 v10, v1, v8
	s_waitcnt lgkmcnt(6)
	v_add_f32_e32 v9, v2, v9
	s_waitcnt lgkmcnt(5)
	v_add_f32_e32 v8, v3, v21
	s_waitcnt lgkmcnt(3)
	v_dual_add_f32 v6, v14, v23 :: v_dual_add_f32 v3, v15, v24
	s_waitcnt lgkmcnt(2)
	v_dual_add_f32 v1, v17, v26 :: v_dual_lshlrev_b32 v14, 2, v12
	s_waitcnt lgkmcnt(1)
	v_add_f32_e32 v2, v16, v25
	s_waitcnt lgkmcnt(0)
	v_add_f32_e32 v0, v19, v18
	s_waitcnt vmcnt(0)
	v_mad_u32_u24 v13, 0x140, v36, v13
	s_and_saveexec_b32 s0, vcc_lo
	s_cbranch_execz .LBB361_1334
; %bb.1333:
	s_delay_alu instid0(VALU_DEP_1)
	v_add3_u32 v15, v13, v14, 0xfffffd80
	ds_store_2addr_b32 v15, v11, v10 offset1:8
	ds_store_2addr_b32 v15, v9, v8 offset0:16 offset1:24
	ds_store_2addr_b32 v15, v7, v6 offset0:32 offset1:40
	;; [unrolled: 1-line block ×4, first 2 shown]
.LBB361_1334:
	s_or_b32 exec_lo, exec_lo, s0
	v_cmp_eq_u32_e32 vcc_lo, 0, v20
	s_mov_b32 s3, exec_lo
	s_waitcnt lgkmcnt(0)
	s_barrier
	buffer_gl0_inv
	v_cmpx_gt_u32_e32 64, v34
	s_cbranch_execz .LBB361_1347
; %bb.1335:
	s_and_saveexec_b32 s0, vcc_lo
	s_cbranch_execnz .LBB361_1365
; %bb.1336:
	s_or_b32 exec_lo, exec_lo, s0
	s_and_saveexec_b32 s0, vcc_lo
	s_cbranch_execnz .LBB361_1366
.LBB361_1337:
	s_or_b32 exec_lo, exec_lo, s0
	s_and_saveexec_b32 s0, vcc_lo
	s_cbranch_execnz .LBB361_1367
.LBB361_1338:
	s_or_b32 exec_lo, exec_lo, s0
	s_and_saveexec_b32 s0, vcc_lo
	s_cbranch_execnz .LBB361_1368
.LBB361_1339:
	s_or_b32 exec_lo, exec_lo, s0
	s_and_saveexec_b32 s0, vcc_lo
	s_cbranch_execnz .LBB361_1369
.LBB361_1340:
	s_or_b32 exec_lo, exec_lo, s0
	s_and_saveexec_b32 s0, vcc_lo
	s_cbranch_execnz .LBB361_1370
.LBB361_1341:
	s_or_b32 exec_lo, exec_lo, s0
	s_and_saveexec_b32 s0, vcc_lo
	s_cbranch_execnz .LBB361_1371
.LBB361_1342:
	s_or_b32 exec_lo, exec_lo, s0
	s_and_saveexec_b32 s0, vcc_lo
	s_cbranch_execnz .LBB361_1372
.LBB361_1343:
	s_or_b32 exec_lo, exec_lo, s0
	s_and_saveexec_b32 s0, vcc_lo
	s_cbranch_execnz .LBB361_1373
.LBB361_1344:
	s_or_b32 exec_lo, exec_lo, s0
	s_and_saveexec_b32 s0, vcc_lo
	s_cbranch_execz .LBB361_1346
.LBB361_1345:
	v_lshl_add_u32 v15, v12, 2, v13
	ds_load_b32 v15, v15 offset:288
	s_waitcnt lgkmcnt(0)
	v_add_f32_e32 v0, v15, v0
.LBB361_1346:
	s_or_b32 exec_lo, exec_lo, s0
.LBB361_1347:
	s_delay_alu instid0(SALU_CYCLE_1)
	s_or_b32 exec_lo, exec_lo, s3
	v_and_b32_e32 v15, 0x3e3, v34
	s_mov_b32 s3, exec_lo
	s_barrier
	buffer_gl0_inv
	v_cmpx_eq_u32_e32 32, v15
	s_cbranch_execz .LBB361_1349
; %bb.1348:
	v_add3_u32 v14, v13, v14, 0xfffffec0
	ds_store_2addr_b32 v14, v11, v10 offset1:8
	ds_store_2addr_b32 v14, v9, v8 offset0:16 offset1:24
	ds_store_2addr_b32 v14, v7, v6 offset0:32 offset1:40
	;; [unrolled: 1-line block ×4, first 2 shown]
.LBB361_1349:
	s_or_b32 exec_lo, exec_lo, s3
	s_delay_alu instid0(SALU_CYCLE_1)
	s_mov_b32 s3, exec_lo
	s_waitcnt lgkmcnt(0)
	s_barrier
	buffer_gl0_inv
	v_cmpx_gt_u32_e32 32, v34
	s_cbranch_execz .LBB361_1362
; %bb.1350:
	v_lshl_add_u32 v12, v12, 2, v13
	s_and_saveexec_b32 s0, vcc_lo
	s_cbranch_execnz .LBB361_1374
; %bb.1351:
	s_or_b32 exec_lo, exec_lo, s0
	s_and_saveexec_b32 s0, vcc_lo
	s_cbranch_execnz .LBB361_1375
.LBB361_1352:
	s_or_b32 exec_lo, exec_lo, s0
	s_and_saveexec_b32 s0, vcc_lo
	s_cbranch_execnz .LBB361_1376
.LBB361_1353:
	s_or_b32 exec_lo, exec_lo, s0
	s_and_saveexec_b32 s0, vcc_lo
	s_cbranch_execnz .LBB361_1377
.LBB361_1354:
	s_or_b32 exec_lo, exec_lo, s0
	s_and_saveexec_b32 s0, vcc_lo
	s_cbranch_execnz .LBB361_1378
.LBB361_1355:
	s_or_b32 exec_lo, exec_lo, s0
	s_and_saveexec_b32 s0, vcc_lo
	s_cbranch_execnz .LBB361_1379
.LBB361_1356:
	s_or_b32 exec_lo, exec_lo, s0
	s_and_saveexec_b32 s0, vcc_lo
	s_cbranch_execnz .LBB361_1380
.LBB361_1357:
	s_or_b32 exec_lo, exec_lo, s0
	s_and_saveexec_b32 s0, vcc_lo
	s_cbranch_execnz .LBB361_1381
.LBB361_1358:
	s_or_b32 exec_lo, exec_lo, s0
	s_and_saveexec_b32 s0, vcc_lo
	s_cbranch_execnz .LBB361_1382
.LBB361_1359:
	s_or_b32 exec_lo, exec_lo, s0
	s_and_saveexec_b32 s0, vcc_lo
	s_cbranch_execz .LBB361_1361
.LBB361_1360:
	ds_load_b32 v12, v12 offset:288
	s_waitcnt lgkmcnt(0)
	v_add_f32_e32 v0, v12, v0
.LBB361_1361:
	s_or_b32 exec_lo, exec_lo, s0
.LBB361_1362:
	s_delay_alu instid0(SALU_CYCLE_1)
	s_or_b32 exec_lo, exec_lo, s3
	v_cmp_eq_u32_e32 vcc_lo, 0, v15
	s_barrier
	buffer_gl0_inv
	s_and_b32 exec_lo, exec_lo, vcc_lo
	s_cbranch_execz .LBB361_1364
; %bb.1363:
	s_mul_i32 s0, s2, 0x50
	s_mul_i32 s2, s4, s1
	;; [unrolled: 1-line block ×3, first 2 shown]
	s_ashr_i32 s3, s2, 31
	s_ashr_i32 s5, s4, 31
	;; [unrolled: 1-line block ×3, first 2 shown]
	s_lshl_b64 s[2:3], s[2:3], 1
	s_lshl_b64 s[4:5], s[4:5], 1
	;; [unrolled: 1-line block ×3, first 2 shown]
	s_add_u32 s2, s4, s2
	s_addc_u32 s3, s5, s3
	s_add_u32 s0, s2, s0
	s_addc_u32 s1, s3, s1
	v_lshrrev_b32_e32 v12, 1, v34
	v_add_co_u32 v4, vcc_lo, s0, v4
	v_add_co_ci_u32_e32 v5, vcc_lo, s1, v5, vcc_lo
	;;#ASMSTART
	v_cvt_f16_f32 v11, v11;

	;;#ASMEND
	s_delay_alu instid0(VALU_DEP_2) | instskip(NEXT) | instid1(VALU_DEP_2)
	v_add_co_u32 v4, vcc_lo, v4, v12
	v_add_co_ci_u32_e32 v5, vcc_lo, 0, v5, vcc_lo
	flat_store_b16 v[4:5], v11
	;;#ASMSTART
	v_cvt_f16_f32 v10, v10;

	;;#ASMEND
	flat_store_b16 v[4:5], v10 offset:16
	;;#ASMSTART
	v_cvt_f16_f32 v9, v9;

	;;#ASMEND
	flat_store_b16 v[4:5], v9 offset:32
	;; [unrolled: 5-line block ×9, first 2 shown]
.LBB361_1364:
	s_or_b32 exec_lo, exec_lo, s11
	s_clause 0x1a
	scratch_load_b32 v90, off, s32
	scratch_load_b32 v89, off, s32 offset:4
	scratch_load_b32 v88, off, s32 offset:8
	;; [unrolled: 1-line block ×26, first 2 shown]
	s_waitcnt vmcnt(0) lgkmcnt(0)
	s_setpc_b64 s[30:31]
.LBB361_1365:
	v_lshl_add_u32 v15, v12, 2, v13
	ds_load_b32 v15, v15
	s_waitcnt lgkmcnt(0)
	v_add_f32_e32 v11, v15, v11
	s_or_b32 exec_lo, exec_lo, s0
	s_and_saveexec_b32 s0, vcc_lo
	s_cbranch_execz .LBB361_1337
.LBB361_1366:
	v_lshl_add_u32 v15, v12, 2, v13
	ds_load_b32 v15, v15 offset:32
	s_waitcnt lgkmcnt(0)
	v_add_f32_e32 v10, v15, v10
	s_or_b32 exec_lo, exec_lo, s0
	s_and_saveexec_b32 s0, vcc_lo
	s_cbranch_execz .LBB361_1338
.LBB361_1367:
	v_lshl_add_u32 v15, v12, 2, v13
	ds_load_b32 v15, v15 offset:64
	s_waitcnt lgkmcnt(0)
	v_add_f32_e32 v9, v15, v9
	s_or_b32 exec_lo, exec_lo, s0
	s_and_saveexec_b32 s0, vcc_lo
	s_cbranch_execz .LBB361_1339
.LBB361_1368:
	v_lshl_add_u32 v15, v12, 2, v13
	ds_load_b32 v15, v15 offset:96
	s_waitcnt lgkmcnt(0)
	v_add_f32_e32 v8, v15, v8
	s_or_b32 exec_lo, exec_lo, s0
	s_and_saveexec_b32 s0, vcc_lo
	s_cbranch_execz .LBB361_1340
.LBB361_1369:
	v_lshl_add_u32 v15, v12, 2, v13
	ds_load_b32 v15, v15 offset:128
	s_waitcnt lgkmcnt(0)
	v_add_f32_e32 v7, v15, v7
	s_or_b32 exec_lo, exec_lo, s0
	s_and_saveexec_b32 s0, vcc_lo
	s_cbranch_execz .LBB361_1341
.LBB361_1370:
	v_lshl_add_u32 v15, v12, 2, v13
	ds_load_b32 v15, v15 offset:160
	s_waitcnt lgkmcnt(0)
	v_add_f32_e32 v6, v15, v6
	s_or_b32 exec_lo, exec_lo, s0
	s_and_saveexec_b32 s0, vcc_lo
	s_cbranch_execz .LBB361_1342
.LBB361_1371:
	v_lshl_add_u32 v15, v12, 2, v13
	ds_load_b32 v15, v15 offset:192
	s_waitcnt lgkmcnt(0)
	v_add_f32_e32 v3, v15, v3
	s_or_b32 exec_lo, exec_lo, s0
	s_and_saveexec_b32 s0, vcc_lo
	s_cbranch_execz .LBB361_1343
.LBB361_1372:
	v_lshl_add_u32 v15, v12, 2, v13
	ds_load_b32 v15, v15 offset:224
	s_waitcnt lgkmcnt(0)
	v_add_f32_e32 v2, v15, v2
	s_or_b32 exec_lo, exec_lo, s0
	s_and_saveexec_b32 s0, vcc_lo
	s_cbranch_execz .LBB361_1344
.LBB361_1373:
	v_lshl_add_u32 v15, v12, 2, v13
	ds_load_b32 v15, v15 offset:256
	s_waitcnt lgkmcnt(0)
	v_add_f32_e32 v1, v15, v1
	s_or_b32 exec_lo, exec_lo, s0
	s_and_saveexec_b32 s0, vcc_lo
	s_cbranch_execnz .LBB361_1345
	s_branch .LBB361_1346
.LBB361_1374:
	ds_load_b32 v13, v12
	s_waitcnt lgkmcnt(0)
	v_add_f32_e32 v11, v13, v11
	s_or_b32 exec_lo, exec_lo, s0
	s_and_saveexec_b32 s0, vcc_lo
	s_cbranch_execz .LBB361_1352
.LBB361_1375:
	ds_load_b32 v13, v12 offset:32
	s_waitcnt lgkmcnt(0)
	v_add_f32_e32 v10, v13, v10
	s_or_b32 exec_lo, exec_lo, s0
	s_and_saveexec_b32 s0, vcc_lo
	s_cbranch_execz .LBB361_1353
.LBB361_1376:
	ds_load_b32 v13, v12 offset:64
	s_waitcnt lgkmcnt(0)
	v_add_f32_e32 v9, v13, v9
	s_or_b32 exec_lo, exec_lo, s0
	s_and_saveexec_b32 s0, vcc_lo
	s_cbranch_execz .LBB361_1354
.LBB361_1377:
	ds_load_b32 v13, v12 offset:96
	s_waitcnt lgkmcnt(0)
	v_add_f32_e32 v8, v13, v8
	s_or_b32 exec_lo, exec_lo, s0
	s_and_saveexec_b32 s0, vcc_lo
	s_cbranch_execz .LBB361_1355
.LBB361_1378:
	ds_load_b32 v13, v12 offset:128
	s_waitcnt lgkmcnt(0)
	v_add_f32_e32 v7, v13, v7
	s_or_b32 exec_lo, exec_lo, s0
	s_and_saveexec_b32 s0, vcc_lo
	s_cbranch_execz .LBB361_1356
.LBB361_1379:
	ds_load_b32 v13, v12 offset:160
	s_waitcnt lgkmcnt(0)
	v_add_f32_e32 v6, v13, v6
	s_or_b32 exec_lo, exec_lo, s0
	s_and_saveexec_b32 s0, vcc_lo
	s_cbranch_execz .LBB361_1357
.LBB361_1380:
	ds_load_b32 v13, v12 offset:192
	s_waitcnt lgkmcnt(0)
	v_add_f32_e32 v3, v13, v3
	s_or_b32 exec_lo, exec_lo, s0
	s_and_saveexec_b32 s0, vcc_lo
	s_cbranch_execz .LBB361_1358
.LBB361_1381:
	ds_load_b32 v13, v12 offset:224
	s_waitcnt lgkmcnt(0)
	v_add_f32_e32 v2, v13, v2
	s_or_b32 exec_lo, exec_lo, s0
	s_and_saveexec_b32 s0, vcc_lo
	s_cbranch_execz .LBB361_1359
.LBB361_1382:
	ds_load_b32 v13, v12 offset:256
	s_waitcnt lgkmcnt(0)
	v_add_f32_e32 v1, v13, v1
	s_or_b32 exec_lo, exec_lo, s0
	s_and_saveexec_b32 s0, vcc_lo
	s_cbranch_execnz .LBB361_1360
	s_branch .LBB361_1361
.Lfunc_end361:
	.size	_ZN4vllm22paged_attention_kernelIthLi80ELi32ELi128ELNS_18Fp8KVCacheDataTypeE1ELb0ELi512EEEvPfS2_PT_PKS3_PKT0_S9_ifPKiSB_iPKfiiiSD_SD_iiiii, .Lfunc_end361-_ZN4vllm22paged_attention_kernelIthLi80ELi32ELi128ELNS_18Fp8KVCacheDataTypeE1ELb0ELi512EEEvPfS2_PT_PKS3_PKT0_S9_ifPKiSB_iPKfiiiSD_SD_iiiii
                                        ; -- End function
	.section	.AMDGPU.csdata,"",@progbits
; Function info:
; codeLenInByte = 52204
; NumSgprs: 35
; NumVgprs: 184
; ScratchSize: 112
; MemoryBound: 0
	.section	.text._ZN4vllm25paged_attention_v2_kernelIthLi80ELi32ELi128ELNS_18Fp8KVCacheDataTypeE1ELb0ELi512EEEvPfS2_PT_PKS3_PKT0_S9_ifPKiSB_iPKfiiiSD_SD_iiiii,"axG",@progbits,_ZN4vllm25paged_attention_v2_kernelIthLi80ELi32ELi128ELNS_18Fp8KVCacheDataTypeE1ELb0ELi512EEEvPfS2_PT_PKS3_PKT0_S9_ifPKiSB_iPKfiiiSD_SD_iiiii,comdat
	.protected	_ZN4vllm25paged_attention_v2_kernelIthLi80ELi32ELi128ELNS_18Fp8KVCacheDataTypeE1ELb0ELi512EEEvPfS2_PT_PKS3_PKT0_S9_ifPKiSB_iPKfiiiSD_SD_iiiii ; -- Begin function _ZN4vllm25paged_attention_v2_kernelIthLi80ELi32ELi128ELNS_18Fp8KVCacheDataTypeE1ELb0ELi512EEEvPfS2_PT_PKS3_PKT0_S9_ifPKiSB_iPKfiiiSD_SD_iiiii
	.globl	_ZN4vllm25paged_attention_v2_kernelIthLi80ELi32ELi128ELNS_18Fp8KVCacheDataTypeE1ELb0ELi512EEEvPfS2_PT_PKS3_PKT0_S9_ifPKiSB_iPKfiiiSD_SD_iiiii
	.p2align	8
	.type	_ZN4vllm25paged_attention_v2_kernelIthLi80ELi32ELi128ELNS_18Fp8KVCacheDataTypeE1ELb0ELi512EEEvPfS2_PT_PKS3_PKT0_S9_ifPKiSB_iPKfiiiSD_SD_iiiii,@function
_ZN4vllm25paged_attention_v2_kernelIthLi80ELi32ELi128ELNS_18Fp8KVCacheDataTypeE1ELb0ELi512EEEvPfS2_PT_PKS3_PKT0_S9_ifPKiSB_iPKfiiiSD_SD_iiiii: ; @_ZN4vllm25paged_attention_v2_kernelIthLi80ELi32ELi128ELNS_18Fp8KVCacheDataTypeE1ELb0ELi512EEEvPfS2_PT_PKS3_PKT0_S9_ifPKiSB_iPKfiiiSD_SD_iiiii
; %bb.0:
	s_clause 0x5
	s_load_b256 s[24:31], s[0:1], 0x0
	s_load_b256 s[16:23], s[0:1], 0x20
	s_load_b64 s[2:3], s[0:1], 0x40
	s_load_b64 s[4:5], s[0:1], 0x50
	s_load_b32 s6, s[0:1], 0x48
	s_load_b256 s[36:43], s[0:1], 0x58
	v_mov_b32_e32 v31, v0
	s_add_u32 s8, s0, 0x90
	s_mov_b32 s12, s13
	s_addc_u32 s9, s1, 0
	s_mov_b32 s13, s14
	s_mov_b32 s14, s15
	s_movk_i32 s15, 0x6d
	s_mov_b32 s32, 0
	s_getpc_b64 s[0:1]
	s_add_u32 s0, s0, _ZN4vllm22paged_attention_kernelIthLi80ELi32ELi128ELNS_18Fp8KVCacheDataTypeE1ELb0ELi512EEEvPfS2_PT_PKS3_PKT0_S9_ifPKiSB_iPKfiiiSD_SD_iiiii@rel32@lo+4
	s_addc_u32 s1, s1, _ZN4vllm22paged_attention_kernelIthLi80ELi32ELi128ELNS_18Fp8KVCacheDataTypeE1ELb0ELi512EEEvPfS2_PT_PKS3_PKT0_S9_ifPKiSB_iPKfiiiSD_SD_iiiii@rel32@hi+12
	s_waitcnt lgkmcnt(0)
	v_dual_mov_b32 v0, s24 :: v_dual_mov_b32 v1, s25
	v_dual_mov_b32 v2, s26 :: v_dual_mov_b32 v3, s27
	;; [unrolled: 1-line block ×14, first 2 shown]
	s_swappc_b64 s[30:31], s[0:1]
	s_endpgm
	.section	.rodata,"a",@progbits
	.p2align	6, 0x0
	.amdhsa_kernel _ZN4vllm25paged_attention_v2_kernelIthLi80ELi32ELi128ELNS_18Fp8KVCacheDataTypeE1ELb0ELi512EEEvPfS2_PT_PKS3_PKT0_S9_ifPKiSB_iPKfiiiSD_SD_iiiii
		.amdhsa_group_segment_fixed_size 192
		.amdhsa_private_segment_fixed_size 112
		.amdhsa_kernarg_size 400
		.amdhsa_user_sgpr_count 13
		.amdhsa_user_sgpr_dispatch_ptr 0
		.amdhsa_user_sgpr_queue_ptr 0
		.amdhsa_user_sgpr_kernarg_segment_ptr 1
		.amdhsa_user_sgpr_dispatch_id 0
		.amdhsa_user_sgpr_private_segment_size 0
		.amdhsa_wavefront_size32 1
		.amdhsa_uses_dynamic_stack 0
		.amdhsa_enable_private_segment 1
		.amdhsa_system_sgpr_workgroup_id_x 1
		.amdhsa_system_sgpr_workgroup_id_y 1
		.amdhsa_system_sgpr_workgroup_id_z 1
		.amdhsa_system_sgpr_workgroup_info 0
		.amdhsa_system_vgpr_workitem_id 0
		.amdhsa_next_free_vgpr 184
		.amdhsa_next_free_sgpr 44
		.amdhsa_reserve_vcc 1
		.amdhsa_float_round_mode_32 0
		.amdhsa_float_round_mode_16_64 0
		.amdhsa_float_denorm_mode_32 3
		.amdhsa_float_denorm_mode_16_64 3
		.amdhsa_dx10_clamp 1
		.amdhsa_ieee_mode 1
		.amdhsa_fp16_overflow 0
		.amdhsa_workgroup_processor_mode 1
		.amdhsa_memory_ordered 1
		.amdhsa_forward_progress 0
		.amdhsa_shared_vgpr_count 0
		.amdhsa_exception_fp_ieee_invalid_op 0
		.amdhsa_exception_fp_denorm_src 0
		.amdhsa_exception_fp_ieee_div_zero 0
		.amdhsa_exception_fp_ieee_overflow 0
		.amdhsa_exception_fp_ieee_underflow 0
		.amdhsa_exception_fp_ieee_inexact 0
		.amdhsa_exception_int_div_zero 0
	.end_amdhsa_kernel
	.section	.text._ZN4vllm25paged_attention_v2_kernelIthLi80ELi32ELi128ELNS_18Fp8KVCacheDataTypeE1ELb0ELi512EEEvPfS2_PT_PKS3_PKT0_S9_ifPKiSB_iPKfiiiSD_SD_iiiii,"axG",@progbits,_ZN4vllm25paged_attention_v2_kernelIthLi80ELi32ELi128ELNS_18Fp8KVCacheDataTypeE1ELb0ELi512EEEvPfS2_PT_PKS3_PKT0_S9_ifPKiSB_iPKfiiiSD_SD_iiiii,comdat
.Lfunc_end362:
	.size	_ZN4vllm25paged_attention_v2_kernelIthLi80ELi32ELi128ELNS_18Fp8KVCacheDataTypeE1ELb0ELi512EEEvPfS2_PT_PKS3_PKT0_S9_ifPKiSB_iPKfiiiSD_SD_iiiii, .Lfunc_end362-_ZN4vllm25paged_attention_v2_kernelIthLi80ELi32ELi128ELNS_18Fp8KVCacheDataTypeE1ELb0ELi512EEEvPfS2_PT_PKS3_PKT0_S9_ifPKiSB_iPKfiiiSD_SD_iiiii
                                        ; -- End function
	.section	.AMDGPU.csdata,"",@progbits
; Kernel info:
; codeLenInByte = 232
; NumSgprs: 46
; NumVgprs: 184
; ScratchSize: 112
; MemoryBound: 0
; FloatMode: 240
; IeeeMode: 1
; LDSByteSize: 192 bytes/workgroup (compile time only)
; SGPRBlocks: 5
; VGPRBlocks: 22
; NumSGPRsForWavesPerEU: 46
; NumVGPRsForWavesPerEU: 184
; Occupancy: 8
; WaveLimiterHint : 1
; COMPUTE_PGM_RSRC2:SCRATCH_EN: 1
; COMPUTE_PGM_RSRC2:USER_SGPR: 13
; COMPUTE_PGM_RSRC2:TRAP_HANDLER: 0
; COMPUTE_PGM_RSRC2:TGID_X_EN: 1
; COMPUTE_PGM_RSRC2:TGID_Y_EN: 1
; COMPUTE_PGM_RSRC2:TGID_Z_EN: 1
; COMPUTE_PGM_RSRC2:TIDIG_COMP_CNT: 0
	.text
	.p2align	2                               ; -- Begin function _ZN4vllm22paged_attention_kernelIthLi96ELi32ELi128ELNS_18Fp8KVCacheDataTypeE1ELb0ELi512EEEvPfS2_PT_PKS3_PKT0_S9_ifPKiSB_iPKfiiiSD_SD_iiiii
	.type	_ZN4vllm22paged_attention_kernelIthLi96ELi32ELi128ELNS_18Fp8KVCacheDataTypeE1ELb0ELi512EEEvPfS2_PT_PKS3_PKT0_S9_ifPKiSB_iPKfiiiSD_SD_iiiii,@function
_ZN4vllm22paged_attention_kernelIthLi96ELi32ELi128ELNS_18Fp8KVCacheDataTypeE1ELb0ELi512EEEvPfS2_PT_PKS3_PKT0_S9_ifPKiSB_iPKfiiiSD_SD_iiiii: ; @_ZN4vllm22paged_attention_kernelIthLi96ELi32ELi128ELNS_18Fp8KVCacheDataTypeE1ELb0ELi512EEEvPfS2_PT_PKS3_PKT0_S9_ifPKiSB_iPKfiiiSD_SD_iiiii
; %bb.0:
	s_waitcnt vmcnt(0) expcnt(0) lgkmcnt(0)
	s_clause 0x1f
	scratch_store_b32 off, v40, s32 offset:240
	; meta instruction
	scratch_store_b32 off, v41, s32 offset:236
	; meta instruction
	;; [unrolled: 2-line block ×31, first 2 shown]
	scratch_store_b32 off, v95, s32 offset:116
	s_clause 0x1c
	scratch_store_b32 off, v104, s32 offset:112
	; meta instruction
	scratch_store_b32 off, v105, s32 offset:108
	; meta instruction
	;; [unrolled: 2-line block ×28, first 2 shown]
	scratch_store_b32 off, v156, s32
	s_mov_b32 s10, s13
	s_ashr_i32 s11, s13, 31
	s_lshl_b32 s16, s14, 9
	s_lshl_b64 s[0:1], s[10:11], 2
	s_mov_b32 s11, exec_lo
	v_add_co_u32 v16, vcc_lo, v16, s0
	v_add_co_ci_u32_e32 v17, vcc_lo, s1, v17, vcc_lo
	flat_load_b32 v35, v[16:17]
	s_waitcnt vmcnt(0) lgkmcnt(0)
	v_cmpx_lt_i32_e64 s16, v35
	s_cbranch_execz .LBB363_1628
; %bb.1:
	v_sub_nc_u32_e32 v16, 0, v12
	s_clause 0x1
	s_load_b32 s0, s[8:9], 0x10
	s_load_b32 s1, s[8:9], 0x0
	s_mov_b32 s6, s15
	v_mov_b32_e32 v50, 0
	v_max_i32_e32 v16, v12, v16
	s_delay_alu instid0(VALU_DEP_1) | instskip(SKIP_1) | instid1(VALU_DEP_2)
	v_cvt_f32_u32_e32 v17, v16
	v_sub_nc_u32_e32 v28, 0, v16
	v_rcp_iflag_f32_e32 v17, v17
	s_waitcnt lgkmcnt(0)
	s_lshr_b32 s0, s0, 16
	s_delay_alu instid0(SALU_CYCLE_1) | instskip(SKIP_3) | instid1(SALU_CYCLE_1)
	s_cmp_lg_u32 s0, 0
	s_waitcnt_depctr 0xfff
	v_mul_f32_e32 v17, 0x4f7ffffe, v17
	s_cselect_b32 s0, -1, 0
	s_cmp_lg_u32 s0, 0
	s_delay_alu instid0(VALU_DEP_1)
	v_cvt_u32_f32_e32 v17, v17
	s_addc_u32 s15, s1, 0
	s_mov_b32 s1, exec_lo
	s_abs_i32 s0, s15
	v_xor_b32_e32 v12, s15, v12
	v_mul_lo_u32 v28, v28, v17
	s_delay_alu instid0(VALU_DEP_2) | instskip(NEXT) | instid1(VALU_DEP_2)
	v_ashrrev_i32_e32 v12, 31, v12
	v_mul_hi_u32 v28, v17, v28
	s_delay_alu instid0(VALU_DEP_1) | instskip(NEXT) | instid1(VALU_DEP_1)
	v_add_nc_u32_e32 v17, v17, v28
	v_mul_hi_u32 v17, s0, v17
	s_delay_alu instid0(VALU_DEP_1) | instskip(SKIP_1) | instid1(VALU_DEP_2)
	v_mul_lo_u32 v28, v17, v16
	v_add_nc_u32_e32 v29, 1, v17
	v_sub_nc_u32_e32 v28, s0, v28
	s_abs_i32 s0, s12
	s_delay_alu instid0(VALU_DEP_1) | instskip(SKIP_1) | instid1(VALU_DEP_2)
	v_sub_nc_u32_e32 v30, v28, v16
	v_cmp_ge_u32_e32 vcc_lo, v28, v16
	v_dual_cndmask_b32 v17, v17, v29 :: v_dual_cndmask_b32 v28, v28, v30
	s_delay_alu instid0(VALU_DEP_1) | instskip(NEXT) | instid1(VALU_DEP_2)
	v_add_nc_u32_e32 v29, 1, v17
	v_cmp_ge_u32_e32 vcc_lo, v28, v16
	s_delay_alu instid0(VALU_DEP_2) | instskip(NEXT) | instid1(VALU_DEP_1)
	v_cndmask_b32_e32 v16, v17, v29, vcc_lo
	v_xor_b32_e32 v16, v16, v12
	s_delay_alu instid0(VALU_DEP_1) | instskip(NEXT) | instid1(VALU_DEP_1)
	v_sub_nc_u32_e32 v28, v16, v12
	v_sub_nc_u32_e32 v12, 0, v28
	s_delay_alu instid0(VALU_DEP_1) | instskip(NEXT) | instid1(VALU_DEP_1)
	v_max_i32_e32 v12, v28, v12
	v_cvt_f32_u32_e32 v16, v12
	v_sub_nc_u32_e32 v17, 0, v12
	s_delay_alu instid0(VALU_DEP_2) | instskip(SKIP_2) | instid1(VALU_DEP_1)
	v_rcp_iflag_f32_e32 v16, v16
	s_waitcnt_depctr 0xfff
	v_mul_f32_e32 v16, 0x4f7ffffe, v16
	v_cvt_u32_f32_e32 v16, v16
	s_delay_alu instid0(VALU_DEP_1) | instskip(NEXT) | instid1(VALU_DEP_1)
	v_mul_lo_u32 v17, v17, v16
	v_mul_hi_u32 v17, v16, v17
	s_delay_alu instid0(VALU_DEP_1) | instskip(NEXT) | instid1(VALU_DEP_1)
	v_add_nc_u32_e32 v29, v16, v17
	v_mad_u64_u32 v[16:17], null, s0, v29, 0
	v_cmpx_ne_u64_e32 0, v[19:20]
	s_cbranch_execz .LBB363_3
; %bb.2:
	s_ashr_i32 s13, s12, 31
	s_delay_alu instid0(SALU_CYCLE_1) | instskip(NEXT) | instid1(SALU_CYCLE_1)
	s_lshl_b64 s[2:3], s[12:13], 2
	v_add_co_u32 v19, vcc_lo, v19, s2
	v_add_co_ci_u32_e32 v20, vcc_lo, s3, v20, vcc_lo
	flat_load_b32 v50, v[19:20]
.LBB363_3:
	s_or_b32 exec_lo, exec_lo, s1
	v_and_b32_e32 v34, 0x3ff, v31
	v_ashrrev_i32_e32 v16, 31, v28
	s_ashr_i32 s1, s12, 31
	s_mul_i32 s4, s12, 0x60
	s_mov_b32 s2, exec_lo
	v_cmpx_gt_u32_e32 12, v34
	s_cbranch_execz .LBB363_5
; %bb.4:
	v_mul_lo_u32 v19, s10, v21
	s_ashr_i32 s5, s4, 31
	v_lshlrev_b32_e32 v21, 4, v34
	s_lshl_b64 s[18:19], s[4:5], 1
	s_delay_alu instid0(VALU_DEP_2) | instskip(NEXT) | instid1(VALU_DEP_1)
	v_ashrrev_i32_e32 v20, 31, v19
	v_lshlrev_b64 v[19:20], 1, v[19:20]
	s_delay_alu instid0(VALU_DEP_1) | instskip(NEXT) | instid1(VALU_DEP_2)
	v_add_co_u32 v6, vcc_lo, v6, v19
	v_add_co_ci_u32_e32 v7, vcc_lo, v7, v20, vcc_lo
	s_delay_alu instid0(VALU_DEP_2) | instskip(NEXT) | instid1(VALU_DEP_2)
	v_add_co_u32 v6, vcc_lo, v6, s18
	v_add_co_ci_u32_e32 v7, vcc_lo, s19, v7, vcc_lo
	s_delay_alu instid0(VALU_DEP_2) | instskip(NEXT) | instid1(VALU_DEP_2)
	v_add_co_u32 v6, vcc_lo, v6, v21
	v_add_co_ci_u32_e32 v7, vcc_lo, 0, v7, vcc_lo
	flat_load_b128 v[28:31], v[6:7]
	s_waitcnt vmcnt(0) lgkmcnt(0)
	ds_store_b128 v21, v[28:31]
.LBB363_5:
	s_or_b32 exec_lo, exec_lo, s2
	v_mul_lo_u32 v6, v17, v12
	s_lshl_b32 s3, s14, 4
	v_lshrrev_b32_e32 v36, 5, v34
	v_xor_b32_e32 v21, s1, v16
	s_clause 0x1
	s_load_b32 s13, s[8:9], 0x14
	s_load_b32 s5, s[8:9], 0x8
	v_mul_lo_u32 v16, s10, v18
	v_dual_mov_b32 v51, 0xff7fffff :: v_dual_lshlrev_b32 v38, 5, v36
	v_sub_nc_u32_e32 v6, s0, v6
	s_add_i32 s0, s3, 16
	s_mov_b32 s17, exec_lo
	s_waitcnt vmcnt(0) lgkmcnt(0)
	s_waitcnt_vscnt null, 0x0
	s_barrier
	v_sub_nc_u32_e32 v19, v6, v12
	v_cmp_ge_u32_e32 vcc_lo, v6, v12
	v_add_nc_u32_e32 v7, 1, v17
	buffer_gl0_inv
	v_dual_cndmask_b32 v6, v6, v19 :: v_dual_and_b32 v37, 31, v34
	v_cndmask_b32_e32 v7, v17, v7, vcc_lo
	v_add_nc_u32_e32 v17, 31, v35
	s_delay_alu instid0(VALU_DEP_3) | instskip(NEXT) | instid1(VALU_DEP_4)
	v_lshlrev_b32_e32 v49, 2, v37
	v_cmp_ge_u32_e32 vcc_lo, v6, v12
	s_delay_alu instid0(VALU_DEP_4) | instskip(NEXT) | instid1(VALU_DEP_4)
	v_add_nc_u32_e32 v19, 1, v7
	v_ashrrev_i32_e32 v20, 31, v17
	s_delay_alu instid0(VALU_DEP_2) | instskip(NEXT) | instid1(VALU_DEP_2)
	v_cndmask_b32_e32 v6, v7, v19, vcc_lo
	v_lshrrev_b32_e32 v7, 27, v20
	s_delay_alu instid0(VALU_DEP_2) | instskip(NEXT) | instid1(VALU_DEP_2)
	v_xor_b32_e32 v6, v6, v21
	v_add_nc_u32_e32 v7, v17, v7
	v_ashrrev_i32_e32 v17, 31, v16
	s_delay_alu instid0(VALU_DEP_3) | instskip(NEXT) | instid1(VALU_DEP_3)
	v_sub_nc_u32_e32 v18, v6, v21
	v_ashrrev_i32_e32 v12, 5, v7
	v_add_nc_u32_e32 v6, s3, v36
	s_delay_alu instid0(VALU_DEP_4) | instskip(NEXT) | instid1(VALU_DEP_4)
	v_lshlrev_b64 v[16:17], 2, v[16:17]
	v_mul_lo_u32 v39, v18, v23
	s_delay_alu instid0(VALU_DEP_4) | instskip(NEXT) | instid1(VALU_DEP_4)
	v_min_i32_e32 v23, s0, v12
	v_ashrrev_i32_e32 v7, 31, v6
	s_delay_alu instid0(VALU_DEP_2) | instskip(NEXT) | instid1(VALU_DEP_4)
	v_cmp_ge_i32_e64 s0, v6, v23
	v_ashrrev_i32_e32 v48, 31, v39
	v_cmpx_lt_i32_e64 v6, v23
	s_cbranch_execz .LBB363_777
; %bb.6:
	s_getpc_b64 s[8:9]
	s_add_u32 s8, s8, llvm.amdgcn.dynlds.offset.table@rel32@lo+4
	s_addc_u32 s9, s9, llvm.amdgcn.dynlds.offset.table@rel32@hi+12
	s_ashr_i32 s7, s6, 31
	v_lshlrev_b64 v[20:21], 2, v[6:7]
	s_lshl_b64 s[18:19], s[6:7], 2
	v_lshlrev_b32_e32 v18, 4, v37
	s_add_u32 s8, s18, s8
	s_addc_u32 s9, s19, s9
	v_add_co_u32 v8, vcc_lo, v8, v39
	s_load_b32 s2, s[8:9], 0x0
	v_add_co_ci_u32_e32 v19, vcc_lo, v9, v48, vcc_lo
	v_mov_b32_e32 v9, 0
	s_delay_alu instid0(VALU_DEP_3) | instskip(SKIP_1) | instid1(VALU_DEP_1)
	v_add_co_u32 v18, vcc_lo, v8, v18
	v_add_co_u32 v8, s1, v16, v20
	v_add_co_ci_u32_e64 v21, s1, v17, v21, s1
	v_lshl_or_b32 v28, v36, 7, v49
	s_delay_alu instid0(VALU_DEP_3)
	v_add_co_u32 v20, s1, v14, v8
	v_add_co_ci_u32_e32 v19, vcc_lo, 0, v19, vcc_lo
	v_cmp_neq_f32_e32 vcc_lo, 0, v50
	v_add_co_ci_u32_e64 v21, s1, v15, v21, s1
	v_sub_nc_u32_e32 v52, 1, v35
	v_add3_u32 v53, s16, v38, v37
	s_waitcnt lgkmcnt(0)
	v_dual_mov_b32 v51, 0xff7fffff :: v_dual_add_nc_u32 v54, s2, v28
	v_mov_b32_e32 v55, v6
	s_mov_b32 s8, -1
	s_mov_b32 s9, 0xffffff
	s_mov_b32 s7, 0
	s_branch .LBB363_11
.LBB363_7:                              ;   in Loop: Header=BB363_11 Depth=1
	s_or_b32 exec_lo, exec_lo, s20
	v_lshlrev_b32_e32 v8, 8, v30
	v_lshl_add_u32 v29, v31, 10, 0x2000
	s_delay_alu instid0(VALU_DEP_1) | instskip(NEXT) | instid1(VALU_DEP_1)
	v_and_or_b32 v8, 0x8000, v8, v29
	v_lshl_or_b32 v8, v28, 7, v8
	s_delay_alu instid0(VALU_DEP_1)
	v_cvt_f32_f16_e32 v8, v8
.LBB363_8:                              ;   in Loop: Header=BB363_11 Depth=1
	s_or_b32 exec_lo, exec_lo, s19
.LBB363_9:                              ;   in Loop: Header=BB363_11 Depth=1
	s_delay_alu instid0(SALU_CYCLE_1)
	s_or_b32 exec_lo, exec_lo, s18
.LBB363_10:                             ;   in Loop: Header=BB363_11 Depth=1
	s_delay_alu instid0(SALU_CYCLE_1)
	s_or_b32 exec_lo, exec_lo, s2
	ds_load_b128 v[28:31], v9
	v_fma_mixlo_f16 v65, v64, v65, 0
	v_fma_mixlo_f16 v67, v64, v67, 0
	;; [unrolled: 1-line block ×8, first 2 shown]
	v_and_b32_e32 v65, 0xffff, v65
	v_and_b32_e32 v104, 0xffff, v68
	;; [unrolled: 1-line block ×4, first 2 shown]
	v_fma_mixlo_f16 v80, v64, v80, 0
	v_fma_mixlo_f16 v84, v64, v84, 0
	;; [unrolled: 1-line block ×7, first 2 shown]
	s_waitcnt lgkmcnt(0)
	v_lshrrev_b32_e32 v68, 16, v28
	v_and_b32_e32 v28, 0xffff, v28
	;;#ASMSTART
	v_cvt_f32_f16 v107, v28;
	;;#ASMEND
	;;#ASMSTART
	v_cvt_f32_f16 v108, v68;
	;;#ASMEND
	;; [unrolled: 3-line block ×3, first 2 shown]
	v_and_b32_e32 v67, 0xffff, v67
	v_lshrrev_b32_e32 v71, 16, v29
	v_lshrrev_b32_e32 v105, 16, v30
	v_and_b32_e32 v30, 0xffff, v30
	;;#ASMSTART
	v_cvt_f32_f16 v67, v67;
	;;#ASMEND
	v_and_b32_e32 v29, 0xffff, v29
	;;#ASMSTART
	v_cvt_f32_f16 v109, v29;
	;;#ASMEND
	;;#ASMSTART
	v_cvt_f32_f16 v81, v71;
	;;#ASMEND
	;; [unrolled: 3-line block ×5, first 2 shown]
	v_and_b32_e32 v28, 0xffff, v94
	v_and_b32_e32 v29, 0xffff, v31
	v_lshrrev_b32_e32 v30, 16, v31
	v_and_b32_e32 v31, 0xffff, v70
	;;#ASMSTART
	v_cvt_f32_f16 v71, v105;
	;;#ASMEND
	;;#ASMSTART
	v_cvt_f32_f16 v125, v104;
	;;#ASMEND
	;; [unrolled: 3-line block ×3, first 2 shown]
	v_and_b32_e32 v69, 0xffff, v95
	;;#ASMSTART
	v_cvt_f32_f16 v139, v29;
	;;#ASMEND
	;;#ASMSTART
	v_cvt_f32_f16 v104, v30;
	;;#ASMEND
	;; [unrolled: 3-line block ×4, first 2 shown]
	ds_load_b128 v[28:31], v9 offset:16
	v_fma_mixlo_f16 v70, v64, v82, 0
	v_fma_mixlo_f16 v82, v64, v83, 0
	;; [unrolled: 1-line block ×5, first 2 shown]
	v_and_b32_e32 v80, 0xffff, v80
	v_and_b32_e32 v82, 0xffff, v82
	;; [unrolled: 1-line block ×3, first 2 shown]
	v_fma_mixlo_f16 v103, v64, v103, 0
	v_fma_mixlo_f16 v164, v64, v164, 0
	;; [unrolled: 1-line block ×6, first 2 shown]
	v_and_b32_e32 v164, 0xffff, v164
	v_fma_mixlo_f16 v182, v64, v182, 0
	v_fma_mixlo_f16 v41, v64, v41, 0
	;; [unrolled: 1-line block ×3, first 2 shown]
	v_and_b32_e32 v176, 0xffff, v176
	s_waitcnt lgkmcnt(0)
	v_and_b32_e32 v85, 0xffff, v28
	v_lshrrev_b32_e32 v28, 16, v28
	;;#ASMSTART
	v_cvt_f32_f16 v97, v85;
	;;#ASMEND
	v_and_b32_e32 v85, 0xffff, v29
	v_lshrrev_b32_e32 v29, 16, v29
	;;#ASMSTART
	v_cvt_f32_f16 v94, v28;
	;;#ASMEND
	;;#ASMSTART
	v_cvt_f32_f16 v28, v80;
	;;#ASMEND
	;; [unrolled: 3-line block ×5, first 2 shown]
	v_and_b32_e32 v29, 0xffff, v70
	;;#ASMSTART
	v_cvt_f32_f16 v29, v29;
	;;#ASMEND
	s_delay_alu instid0(VALU_DEP_1)
	v_dual_mul_f32 v29, v95, v29 :: v_dual_and_b32 v70, 0xffff, v30
	v_lshrrev_b32_e32 v30, 16, v30
	v_and_b32_e32 v82, 0xffff, v84
	;;#ASMSTART
	v_cvt_f32_f16 v69, v69;
	;;#ASMEND
	;;#ASMSTART
	v_cvt_f32_f16 v70, v70;
	;;#ASMEND
	;;#ASMSTART
	v_cvt_f32_f16 v110, v30;
	;;#ASMEND
	;;#ASMSTART
	v_cvt_f32_f16 v111, v82;
	;;#ASMEND
	v_and_b32_e32 v82, 0xffff, v31
	v_lshrrev_b32_e32 v31, 16, v31
	v_dual_fmac_f32 v29, v109, v66 :: v_dual_and_b32 v84, 0xffff, v87
	v_and_b32_e32 v30, 0xffff, v83
	v_and_b32_e32 v83, 0xffff, v86
	;;#ASMSTART
	v_cvt_f32_f16 v86, v30;
	;;#ASMEND
	;;#ASMSTART
	v_cvt_f32_f16 v87, v82;
	;;#ASMEND
	;; [unrolled: 3-line block ×5, first 2 shown]
	ds_load_b128 v[82:85], v9 offset:32
	v_mul_f32_e32 v30, v94, v80
	v_mul_f32_e32 v66, v110, v86
	;; [unrolled: 1-line block ×3, first 2 shown]
	v_fma_mixlo_f16 v97, v64, v100, 0
	v_fma_mixlo_f16 v100, v64, v102, 0
	v_fmac_f32_e32 v30, v108, v67
	v_mul_f32_e32 v67, v70, v111
	v_fma_mixlo_f16 v102, v64, v113, 0
	v_fmac_f32_e32 v66, v71, v138
	v_fmac_f32_e32 v28, v107, v65
	v_mul_f32_e32 v31, v87, v31
	v_dual_fmac_f32 v67, v68, v125 :: v_dual_and_b32 v80, 0xffff, v96
	v_fma_mixlo_f16 v125, v64, v161, 0
	v_and_b32_e32 v179, 0xffff, v179
	s_delay_alu instid0(VALU_DEP_4)
	v_fmac_f32_e32 v31, v139, v140
	v_and_b32_e32 v180, 0xffff, v180
	v_fma_mixlo_f16 v45, v64, v45, 0
	v_fma_mixlo_f16 v43, v64, v43, 0
	s_waitcnt lgkmcnt(0)
	v_and_b32_e32 v113, 0xffff, v82
	v_lshrrev_b32_e32 v65, 16, v82
	v_and_b32_e32 v82, 0xffff, v99
	v_and_b32_e32 v96, 0xffff, v83
	v_lshrrev_b32_e32 v83, 16, v83
	;;#ASMSTART
	v_cvt_f32_f16 v143, v113;
	;;#ASMEND
	;;#ASMSTART
	v_cvt_f32_f16 v152, v65;
	;;#ASMEND
	;; [unrolled: 3-line block ×6, first 2 shown]
	v_and_b32_e32 v82, 0xffff, v84
	v_lshrrev_b32_e32 v83, 16, v84
	v_and_b32_e32 v84, 0xffff, v97
	v_fmac_f32_e32 v30, v152, v154
	v_and_b32_e32 v65, 0xffff, v98
	;;#ASMSTART
	v_cvt_f32_f16 v156, v65;
	;;#ASMEND
	v_dual_fmac_f32 v29, v155, v156 :: v_dual_and_b32 v80, 0xffff, v101
	;;#ASMSTART
	v_cvt_f32_f16 v126, v80;
	;;#ASMEND
	;;#ASMSTART
	v_cvt_f32_f16 v121, v82;
	;;#ASMEND
	;; [unrolled: 3-line block ×4, first 2 shown]
	v_and_b32_e32 v65, 0xffff, v103
	v_and_b32_e32 v80, 0xffff, v85
	v_lshrrev_b32_e32 v82, 16, v85
	v_and_b32_e32 v84, 0xffff, v102
	;;#ASMSTART
	v_cvt_f32_f16 v127, v65;
	;;#ASMEND
	;;#ASMSTART
	v_cvt_f32_f16 v136, v80;
	;;#ASMEND
	;; [unrolled: 3-line block ×3, first 2 shown]
	v_dual_fmac_f32 v66, v122, v127 :: v_dual_and_b32 v83, 0xffff, v100
	;;#ASMSTART
	v_cvt_f32_f16 v137, v83;
	;;#ASMEND
	;;#ASMSTART
	v_cvt_f32_f16 v95, v84;
	;;#ASMEND
	ds_load_b128 v[96:99], v9 offset:48
	v_fma_mixlo_f16 v84, v64, v112, 0
	v_fma_mixlo_f16 v80, v64, v117, 0
	;; [unrolled: 1-line block ×8, first 2 shown]
	v_mul_f32_e32 v65, v105, v69
	v_and_b32_e32 v83, 0xffff, v83
	v_fma_mixlo_f16 v118, v64, v135, 0
	v_fma_mixlo_f16 v119, v64, v134, 0
	;; [unrolled: 1-line block ×3, first 2 shown]
	v_fmac_f32_e32 v65, v81, v124
	v_fma_mixlo_f16 v144, v64, v151, 0
	v_dual_fmac_f32 v28, v143, v153 :: v_dual_fmac_f32 v67, v121, v123
	s_delay_alu instid0(VALU_DEP_4) | instskip(NEXT) | instid1(VALU_DEP_4)
	v_and_b32_e32 v135, 0xffff, v135
	v_fmac_f32_e32 v65, v120, v126
	s_waitcnt lgkmcnt(0)
	v_and_b32_e32 v69, 0xffff, v96
	v_lshrrev_b32_e32 v70, 16, v96
	;;#ASMSTART
	v_cvt_f32_f16 v105, v69;
	;;#ASMEND
	v_and_b32_e32 v69, 0xffff, v84
	v_lshrrev_b32_e32 v85, 16, v97
	;;#ASMSTART
	v_cvt_f32_f16 v107, v70;
	;;#ASMEND
	;;#ASMSTART
	v_cvt_f32_f16 v108, v69;
	;;#ASMEND
	v_and_b32_e32 v69, 0xffff, v82
	v_and_b32_e32 v70, 0xffff, v80
	;; [unrolled: 1-line block ×3, first 2 shown]
	;;#ASMSTART
	v_cvt_f32_f16 v109, v83;
	;;#ASMEND
	;;#ASMSTART
	v_cvt_f32_f16 v110, v84;
	;;#ASMEND
	;; [unrolled: 3-line block ×3, first 2 shown]
	v_and_b32_e32 v80, 0xffff, v98
	v_lshrrev_b32_e32 v82, 16, v98
	v_and_b32_e32 v83, 0xffff, v101
	;;#ASMSTART
	v_cvt_f32_f16 v111, v69;
	;;#ASMEND
	;;#ASMSTART
	v_cvt_f32_f16 v101, v70;
	;;#ASMEND
	v_and_b32_e32 v69, 0xffff, v100
	v_and_b32_e32 v70, 0xffff, v99
	;;#ASMSTART
	v_cvt_f32_f16 v86, v80;
	;;#ASMEND
	;;#ASMSTART
	v_cvt_f32_f16 v87, v82;
	;;#ASMEND
	;; [unrolled: 3-line block ×3, first 2 shown]
	v_lshrrev_b32_e32 v80, 16, v99
	v_and_b32_e32 v82, 0xffff, v102
	v_and_b32_e32 v83, 0xffff, v103
	;;#ASMSTART
	v_cvt_f32_f16 v103, v69;
	;;#ASMEND
	;;#ASMSTART
	v_cvt_f32_f16 v112, v70;
	;;#ASMEND
	;; [unrolled: 3-line block ×5, first 2 shown]
	ds_load_b128 v[114:117], v9 offset:64
	v_fma_mixlo_f16 v98, v64, v130, 0
	v_fma_mixlo_f16 v80, v64, v131, 0
	;; [unrolled: 1-line block ×9, first 2 shown]
	v_dual_fmac_f32 v31, v136, v137 :: v_dual_fmac_f32 v28, v105, v108
	v_fmac_f32_e32 v30, v107, v109
	s_delay_alu instid0(VALU_DEP_4)
	v_and_b32_e32 v133, 0xffff, v133
	v_fma_mixlo_f16 v40, v64, v40, 0
	v_fma_mixlo_f16 v44, v64, v44, 0
	;; [unrolled: 1-line block ×6, first 2 shown]
	s_waitcnt lgkmcnt(0)
	v_and_b32_e32 v81, 0xffff, v114
	v_lshrrev_b32_e32 v68, 16, v114
	;;#ASMSTART
	v_cvt_f32_f16 v71, v81;
	;;#ASMEND
	v_and_b32_e32 v81, 0xffff, v82
	v_and_b32_e32 v82, 0xffff, v80
	;; [unrolled: 1-line block ×3, first 2 shown]
	v_lshrrev_b32_e32 v84, 16, v115
	;;#ASMSTART
	v_cvt_f32_f16 v80, v68;
	;;#ASMEND
	v_and_b32_e32 v68, 0xffff, v98
	;;#ASMSTART
	v_cvt_f32_f16 v81, v81;
	;;#ASMEND
	;;#ASMSTART
	v_cvt_f32_f16 v82, v82;
	;;#ASMEND
	;;#ASMSTART
	v_cvt_f32_f16 v83, v83;
	;;#ASMEND
	;;#ASMSTART
	v_cvt_f32_f16 v84, v84;
	;;#ASMEND
	v_and_b32_e32 v98, 0xffff, v97
	v_and_b32_e32 v100, 0xffff, v116
	v_lshrrev_b32_e32 v102, 16, v116
	v_and_b32_e32 v114, 0xffff, v99
	;;#ASMSTART
	v_cvt_f32_f16 v97, v68;
	;;#ASMEND
	v_and_b32_e32 v68, 0xffff, v118
	v_and_b32_e32 v115, 0xffff, v117
	v_lshrrev_b32_e32 v116, 16, v117
	v_and_b32_e32 v117, 0xffff, v119
	v_and_b32_e32 v118, 0xffff, v128
	;;#ASMSTART
	v_cvt_f32_f16 v98, v98;
	;;#ASMEND
	;;#ASMSTART
	v_cvt_f32_f16 v99, v100;
	;;#ASMEND
	;; [unrolled: 3-line block ×9, first 2 shown]
	ds_load_b128 v[128:131], v9 offset:80
	v_fma_mixlo_f16 v119, v64, v149, 0
	v_mul_f32_e32 v68, v141, v142
	v_fma_mixlo_f16 v149, v64, v150, 0
	v_fmac_f32_e32 v65, v85, v101
	v_fmac_f32_e32 v67, v86, v96
	s_delay_alu instid0(VALU_DEP_4) | instskip(SKIP_2) | instid1(VALU_DEP_3)
	v_dual_fmac_f32 v68, v104, v106 :: v_dual_and_b32 v119, 0xffff, v119
	v_dual_fmac_f32 v66, v87, v103 :: v_dual_fmac_f32 v31, v112, v113
	v_and_b32_e32 v96, 0xffff, v43
	v_dual_fmac_f32 v68, v94, v95 :: v_dual_and_b32 v113, 0xffff, v45
	v_fma_mixlo_f16 v59, v64, v59, 0
	v_fma_mixlo_f16 v57, v64, v57, 0
	;; [unrolled: 1-line block ×3, first 2 shown]
	v_fmac_f32_e32 v29, v110, v111
	v_fma_mixlo_f16 v58, v64, v58, 0
	v_fma_mixlo_f16 v63, v64, v63, 0
	;; [unrolled: 1-line block ×3, first 2 shown]
	s_waitcnt lgkmcnt(0)
	v_and_b32_e32 v134, 0xffff, v128
	v_lshrrev_b32_e32 v128, 16, v128
	v_and_b32_e32 v150, 0xffff, v129
	v_lshrrev_b32_e32 v129, 16, v129
	;;#ASMSTART
	v_cvt_f32_f16 v134, v134;
	;;#ASMEND
	;;#ASMSTART
	v_cvt_f32_f16 v146, v128;
	;;#ASMEND
	;;#ASMSTART
	v_cvt_f32_f16 v147, v135;
	;;#ASMEND
	;;#ASMSTART
	v_cvt_f32_f16 v148, v133;
	;;#ASMEND
	;;#ASMSTART
	v_cvt_f32_f16 v150, v150;
	;;#ASMEND
	;;#ASMSTART
	v_cvt_f32_f16 v135, v129;
	;;#ASMEND
	v_and_b32_e32 v128, 0xffff, v132
	v_and_b32_e32 v129, 0xffff, v130
	v_lshrrev_b32_e32 v130, 16, v130
	;;#ASMSTART
	v_cvt_f32_f16 v124, v128;
	;;#ASMEND
	;;#ASMSTART
	v_cvt_f32_f16 v151, v119;
	;;#ASMEND
	;;#ASMSTART
	v_cvt_f32_f16 v161, v129;
	;;#ASMEND
	v_and_b32_e32 v119, 0xffff, v144
	v_and_b32_e32 v128, 0xffff, v131
	v_lshrrev_b32_e32 v129, 16, v131
	v_and_b32_e32 v131, 0xffff, v125
	v_and_b32_e32 v132, 0xffff, v145
	;;#ASMSTART
	v_cvt_f32_f16 v104, v130;
	;;#ASMEND
	;;#ASMSTART
	v_cvt_f32_f16 v106, v132;
	;;#ASMEND
	v_and_b32_e32 v130, 0xffff, v149
	;;#ASMSTART
	v_cvt_f32_f16 v125, v119;
	;;#ASMEND
	;;#ASMSTART
	v_cvt_f32_f16 v119, v128;
	;;#ASMEND
	;; [unrolled: 3-line block ×5, first 2 shown]
	ds_load_b128 v[138:141], v9 offset:96
	v_fma_mixlo_f16 v133, v64, v163, 0
	v_fma_mixlo_f16 v144, v64, v160, 0
	v_fma_mixlo_f16 v130, v64, v165, 0
	v_fma_mixlo_f16 v132, v64, v162, 0
	v_fma_mixlo_f16 v149, v64, v167, 0
	v_fma_mixlo_f16 v167, v64, v166, 0
	v_and_b32_e32 v144, 0xffff, v144
	v_and_b32_e32 v133, 0xffff, v133
	;; [unrolled: 1-line block ×4, first 2 shown]
	v_fma_mixlo_f16 v62, v64, v62, 0
	v_fma_mixlo_f16 v72, v64, v72, 0
	v_fmac_f32_e32 v68, v69, v70
	v_fmac_f32_e32 v28, v71, v81
	v_fma_mixlo_f16 v73, v64, v73, 0
	v_fma_mixlo_f16 v110, v64, v33, 0
	;; [unrolled: 1-line block ×5, first 2 shown]
	s_waitcnt lgkmcnt(0)
	v_and_b32_e32 v145, 0xffff, v138
	v_lshrrev_b32_e32 v160, 16, v138
	;;#ASMSTART
	v_cvt_f32_f16 v145, v145;
	;;#ASMEND
	v_and_b32_e32 v165, 0xffff, v139
	v_lshrrev_b32_e32 v166, 16, v139
	;;#ASMSTART
	v_cvt_f32_f16 v160, v160;
	;;#ASMEND
	;;#ASMSTART
	v_cvt_f32_f16 v162, v144;
	;;#ASMEND
	;; [unrolled: 3-line block ×3, first 2 shown]
	v_and_b32_e32 v133, 0xffff, v140
	v_lshrrev_b32_e32 v144, 16, v140
	;;#ASMSTART
	v_cvt_f32_f16 v165, v165;
	;;#ASMEND
	;;#ASMSTART
	v_cvt_f32_f16 v166, v166;
	;;#ASMEND
	;; [unrolled: 3-line block ×7, first 2 shown]
	v_and_b32_e32 v130, 0xffff, v149
	v_and_b32_e32 v132, 0xffff, v141
	v_lshrrev_b32_e32 v133, 16, v141
	v_and_b32_e32 v144, 0xffff, v167
	v_and_b32_e32 v149, 0xffff, v177
	;;#ASMSTART
	v_cvt_f32_f16 v127, v130;
	;;#ASMEND
	;;#ASMSTART
	v_cvt_f32_f16 v136, v132;
	;;#ASMEND
	;; [unrolled: 3-line block ×5, first 2 shown]
	ds_load_b128 v[140:143], v9 offset:112
	v_fma_mixlo_f16 v130, v64, v181, 0
	v_fma_mixlo_f16 v181, v64, v178, 0
	;; [unrolled: 1-line block ×9, first 2 shown]
	v_and_b32_e32 v130, 0xffff, v130
	v_fma_mixlo_f16 v32, v64, v92, 0
	v_fma_mixlo_f16 v8, v64, v8, 0
	v_fmac_f32_e32 v30, v80, v82
	v_and_b32_e32 v70, 0xffff, v57
	v_and_b32_e32 v71, 0xffff, v59
	v_fmac_f32_e32 v29, v83, v97
	v_fmac_f32_e32 v65, v84, v98
	;; [unrolled: 1-line block ×4, first 2 shown]
	s_waitcnt lgkmcnt(0)
	v_and_b32_e32 v178, 0xffff, v140
	v_lshrrev_b32_e32 v74, 16, v140
	;;#ASMSTART
	v_cvt_f32_f16 v178, v178;
	;;#ASMEND
	v_and_b32_e32 v75, 0xffff, v141
	v_lshrrev_b32_e32 v76, 16, v141
	;;#ASMSTART
	v_cvt_f32_f16 v74, v74;
	;;#ASMEND
	;;#ASMSTART
	v_cvt_f32_f16 v77, v176;
	;;#ASMEND
	;; [unrolled: 3-line block ×3, first 2 shown]
	v_and_b32_e32 v176, 0xffff, v181
	v_and_b32_e32 v179, 0xffff, v142
	v_lshrrev_b32_e32 v181, 16, v142
	;;#ASMSTART
	v_cvt_f32_f16 v75, v75;
	;;#ASMEND
	;;#ASMSTART
	v_cvt_f32_f16 v76, v76;
	;;#ASMEND
	;; [unrolled: 3-line block ×7, first 2 shown]
	v_lshrrev_b32_e32 v179, 16, v143
	v_and_b32_e32 v180, 0xffff, v182
	v_and_b32_e32 v181, 0xffff, v41
	;; [unrolled: 1-line block ×4, first 2 shown]
	;;#ASMSTART
	v_cvt_f32_f16 v183, v130;
	;;#ASMEND
	;;#ASMSTART
	v_cvt_f32_f16 v41, v176;
	;;#ASMEND
	;; [unrolled: 3-line block ×5, first 2 shown]
	ds_load_b128 v[179:182], v9 offset:128
	v_fma_mixlo_f16 v176, v64, v91, 0
	v_dual_fmac_f32 v31, v115, v117 :: v_dual_and_b32 v98, 0xffff, v60
	v_dual_fmac_f32 v68, v116, v118 :: v_dual_and_b32 v115, 0xffff, v72
	v_fmac_f32_e32 v28, v134, v147
	v_fmac_f32_e32 v30, v146, v148
	;; [unrolled: 1-line block ×4, first 2 shown]
	s_delay_alu instid0(VALU_DEP_4) | instskip(NEXT) | instid1(VALU_DEP_3)
	v_dual_fmac_f32 v31, v119, v129 :: v_dual_fmac_f32 v28, v145, v162
	v_dual_fmac_f32 v30, v160, v163 :: v_dual_fmac_f32 v29, v165, v120
	s_delay_alu instid0(VALU_DEP_3) | instskip(NEXT) | instid1(VALU_DEP_3)
	v_dual_fmac_f32 v65, v166, v121 :: v_dual_fmac_f32 v68, v128, v131
	v_fmac_f32_e32 v28, v178, v77
	s_delay_alu instid0(VALU_DEP_3) | instskip(NEXT) | instid1(VALU_DEP_3)
	v_dual_fmac_f32 v30, v74, v78 :: v_dual_fmac_f32 v29, v75, v79
	v_fmac_f32_e32 v65, v76, v89
	s_waitcnt lgkmcnt(0)
	v_and_b32_e32 v85, 0xffff, v179
	v_lshrrev_b32_e32 v86, 16, v179
	;;#ASMSTART
	v_cvt_f32_f16 v87, v85;
	;;#ASMEND
	v_and_b32_e32 v85, 0xffff, v40
	v_and_b32_e32 v101, 0xffff, v180
	v_lshrrev_b32_e32 v103, 16, v180
	v_and_b32_e32 v179, 0xffff, v181
	v_lshrrev_b32_e32 v180, 16, v181
	v_and_b32_e32 v181, 0xffff, v44
	;;#ASMSTART
	v_cvt_f32_f16 v86, v86;
	;;#ASMEND
	;;#ASMSTART
	v_cvt_f32_f16 v112, v85;
	;;#ASMEND
	;; [unrolled: 3-line block ×5, first 2 shown]
	v_and_b32_e32 v85, 0xffff, v42
	;;#ASMSTART
	v_cvt_f32_f16 v40, v85;
	;;#ASMEND
	;;#ASMSTART
	v_cvt_f32_f16 v113, v113;
	;;#ASMEND
	;; [unrolled: 3-line block ×5, first 2 shown]
	v_and_b32_e32 v179, 0xffff, v182
	v_lshrrev_b32_e32 v180, 16, v182
	v_and_b32_e32 v181, 0xffff, v46
	v_and_b32_e32 v182, 0xffff, v56
	;; [unrolled: 1-line block ×3, first 2 shown]
	;;#ASMSTART
	v_cvt_f32_f16 v45, v85;
	;;#ASMEND
	;;#ASMSTART
	v_cvt_f32_f16 v46, v179;
	;;#ASMEND
	;; [unrolled: 3-line block ×5, first 2 shown]
	ds_load_b128 v[179:182], v9 offset:144
	v_fma_mixlo_f16 v85, v64, v90, 0
	v_fmac_f32_e32 v28, v87, v112
	v_fmac_f32_e32 v30, v86, v96
	v_dual_fmac_f32 v29, v101, v40 :: v_dual_and_b32 v96, 0xffff, v177
	v_fmac_f32_e32 v65, v103, v113
	v_and_b32_e32 v119, 0xffff, v149
	v_dual_fmac_f32 v67, v161, v106 :: v_dual_and_b32 v132, 0xffff, v132
	v_fmac_f32_e32 v66, v104, v125
	v_dual_fmac_f32 v31, v136, v138 :: v_dual_fmac_f32 v68, v137, v139
	s_delay_alu instid0(VALU_DEP_3) | instskip(NEXT) | instid1(VALU_DEP_2)
	v_dual_fmac_f32 v67, v122, v126 :: v_dual_add_nc_u32 v130, v52, v53
	v_dual_fmac_f32 v66, v123, v127 :: v_dual_fmac_f32 v31, v41, v108
	s_delay_alu instid0(VALU_DEP_3)
	v_fmac_f32_e32 v68, v107, v109
	v_and_b32_e32 v33, 0xffff, v33
	s_waitcnt lgkmcnt(0)
	v_dual_fmac_f32 v67, v94, v105 :: v_dual_and_b32 v64, 0xffff, v179
	v_lshrrev_b32_e32 v69, 16, v179
	v_and_b32_e32 v80, 0xffff, v180
	v_lshrrev_b32_e32 v81, 16, v180
	;;#ASMSTART
	v_cvt_f32_f16 v64, v64;
	;;#ASMEND
	;;#ASMSTART
	v_cvt_f32_f16 v69, v69;
	;;#ASMEND
	;; [unrolled: 3-line block ×6, first 2 shown]
	v_and_b32_e32 v80, 0xffff, v58
	v_and_b32_e32 v81, 0xffff, v61
	;; [unrolled: 1-line block ×3, first 2 shown]
	v_lshrrev_b32_e32 v83, 16, v181
	;;#ASMSTART
	v_cvt_f32_f16 v99, v80;
	;;#ASMEND
	;;#ASMSTART
	v_cvt_f32_f16 v100, v81;
	;;#ASMEND
	;; [unrolled: 3-line block ×4, first 2 shown]
	v_and_b32_e32 v80, 0xffff, v63
	v_and_b32_e32 v81, 0xffff, v182
	v_lshrrev_b32_e32 v82, 16, v182
	v_and_b32_e32 v83, 0xffff, v62
	;;#ASMSTART
	v_cvt_f32_f16 v98, v98;
	;;#ASMEND
	;;#ASMSTART
	v_cvt_f32_f16 v116, v80;
	;;#ASMEND
	;; [unrolled: 3-line block ×6, first 2 shown]
	ds_load_b128 v[80:83], v9 offset:160
	v_fmac_f32_e32 v28, v64, v70
	v_fmac_f32_e32 v30, v69, v71
	;; [unrolled: 1-line block ×3, first 2 shown]
	v_and_b32_e32 v70, 0xffff, v111
	v_dual_fmac_f32 v66, v95, v183 :: v_dual_and_b32 v71, 0xffff, v88
	v_fmac_f32_e32 v67, v42, v44
	v_fmac_f32_e32 v65, v97, v100
	v_dual_fmac_f32 v31, v46, v56 :: v_dual_fmac_f32 v68, v47, v91
	s_delay_alu instid0(VALU_DEP_3) | instskip(NEXT) | instid1(VALU_DEP_2)
	v_dual_fmac_f32 v66, v43, v45 :: v_dual_fmac_f32 v67, v102, v98
	v_dual_fmac_f32 v31, v117, v134 :: v_dual_and_b32 v32, 0xffff, v32
	s_delay_alu instid0(VALU_DEP_3) | instskip(NEXT) | instid1(VALU_DEP_3)
	v_fmac_f32_e32 v68, v118, v115
	v_fmac_f32_e32 v66, v114, v116
	v_cvt_f32_i32_e32 v130, v130
	v_and_b32_e32 v8, 0xffff, v8
	v_cmp_lt_i32_e64 s1, v53, v35
	s_waitcnt lgkmcnt(0)
	v_and_b32_e32 v87, 0xffff, v80
	v_lshrrev_b32_e32 v80, 16, v80
	;;#ASMSTART
	v_cvt_f32_f16 v86, v87;
	;;#ASMEND
	v_and_b32_e32 v87, 0xffff, v73
	v_and_b32_e32 v101, 0xffff, v81
	v_lshrrev_b32_e32 v81, 16, v81
	;;#ASMSTART
	v_cvt_f32_f16 v103, v80;
	;;#ASMEND
	;;#ASMSTART
	v_cvt_f32_f16 v87, v87;
	;;#ASMEND
	;; [unrolled: 3-line block ×5, first 2 shown]
	v_and_b32_e32 v80, 0xffff, v167
	v_and_b32_e32 v81, 0xffff, v164
	;; [unrolled: 1-line block ×3, first 2 shown]
	v_lshrrev_b32_e32 v82, 16, v82
	;;#ASMSTART
	v_cvt_f32_f16 v128, v80;
	;;#ASMEND
	;;#ASMSTART
	v_cvt_f32_f16 v129, v81;
	;;#ASMEND
	;;#ASMSTART
	v_cvt_f32_f16 v113, v113;
	;;#ASMEND
	;;#ASMSTART
	v_cvt_f32_f16 v131, v82;
	;;#ASMEND
	v_and_b32_e32 v80, 0xffff, v144
	v_and_b32_e32 v81, 0xffff, v83
	v_lshrrev_b32_e32 v82, 16, v83
	v_and_b32_e32 v83, 0xffff, v133
	;;#ASMSTART
	v_cvt_f32_f16 v119, v119;
	;;#ASMEND
	;;#ASMSTART
	v_cvt_f32_f16 v133, v80;
	;;#ASMEND
	;;#ASMSTART
	v_cvt_f32_f16 v135, v81;
	;;#ASMEND
	;;#ASMSTART
	v_cvt_f32_f16 v144, v82;
	;;#ASMEND
	;;#ASMSTART
	v_cvt_f32_f16 v145, v83;
	;;#ASMEND
	;;#ASMSTART
	v_cvt_f32_f16 v132, v132;
	;;#ASMEND
	ds_load_b128 v[80:83], v9 offset:176
	v_fmac_f32_e32 v28, v86, v87
	v_fmac_f32_e32 v30, v103, v96
	;; [unrolled: 1-line block ×4, first 2 shown]
	v_dual_fmac_f32 v67, v113, v119 :: v_dual_fmac_f32 v66, v131, v133
	v_dual_fmac_f32 v31, v135, v145 :: v_dual_fmac_f32 v68, v144, v132
	v_add_nc_u32_e32 v55, 4, v55
	v_add_nc_u32_e32 v53, 0x80, v53
	s_delay_alu instid0(VALU_DEP_2) | instskip(NEXT) | instid1(VALU_DEP_1)
	v_cmp_ge_i32_e64 s2, v55, v23
	s_or_b32 s7, s2, s7
	s_waitcnt lgkmcnt(0)
	v_and_b32_e32 v64, 0xffff, v80
	v_lshrrev_b32_e32 v69, 16, v80
	;;#ASMSTART
	v_cvt_f32_f16 v64, v64;
	;;#ASMEND
	;;#ASMSTART
	v_cvt_f32_f16 v69, v69;
	;;#ASMEND
	;; [unrolled: 3-line block ×4, first 2 shown]
	v_fmac_f32_e32 v28, v64, v70
	v_fmac_f32_e32 v30, v69, v71
	v_and_b32_e32 v64, 0xffff, v81
	v_lshrrev_b32_e32 v70, 16, v81
	v_and_b32_e32 v80, 0xffff, v110
	;;#ASMSTART
	v_cvt_f32_f16 v64, v64;
	;;#ASMEND
	;;#ASMSTART
	v_cvt_f32_f16 v69, v70;
	;;#ASMEND
	;; [unrolled: 3-line block ×3, first 2 shown]
	v_fmac_f32_e32 v29, v64, v70
	v_dual_add_f32 v28, v28, v30 :: v_dual_and_b32 v81, 0xffff, v176
	;;#ASMSTART
	v_cvt_f32_f16 v71, v81;
	;;#ASMEND
	v_dual_fmac_f32 v65, v69, v71 :: v_dual_and_b32 v64, 0xffff, v82
	s_delay_alu instid0(VALU_DEP_2)
	v_add_f32_e32 v28, v28, v29
	v_lshrrev_b32_e32 v69, 16, v82
	v_and_b32_e32 v30, 0xffff, v85
	;;#ASMSTART
	v_cvt_f32_f16 v64, v64;
	;;#ASMEND
	;;#ASMSTART
	v_cvt_f32_f16 v69, v69;
	;;#ASMEND
	;; [unrolled: 3-line block ×3, first 2 shown]
	v_dual_fmac_f32 v67, v64, v29 :: v_dual_add_f32 v28, v65, v28
	;;#ASMSTART
	v_cvt_f32_f16 v30, v33;
	;;#ASMEND
	v_dual_fmac_f32 v66, v69, v30 :: v_dual_and_b32 v29, 0xffff, v83
	v_lshrrev_b32_e32 v33, 16, v83
	s_delay_alu instid0(VALU_DEP_3)
	v_add_f32_e32 v28, v28, v67
	;;#ASMSTART
	v_cvt_f32_f16 v29, v29;
	;;#ASMEND
	;;#ASMSTART
	v_cvt_f32_f16 v30, v33;
	;;#ASMEND
	;; [unrolled: 3-line block ×3, first 2 shown]
	v_fmac_f32_e32 v31, v29, v32
	v_add_f32_e32 v28, v66, v28
	;;#ASMSTART
	v_cvt_f32_f16 v8, v8;
	;;#ASMEND
	v_mul_f32_e32 v29, v50, v130
	v_fmac_f32_e32 v68, v30, v8
	s_delay_alu instid0(VALU_DEP_3) | instskip(NEXT) | instid1(VALU_DEP_3)
	v_add_f32_e32 v8, v28, v31
	v_cndmask_b32_e32 v28, 0, v29, vcc_lo
	s_delay_alu instid0(VALU_DEP_2) | instskip(NEXT) | instid1(VALU_DEP_1)
	v_add_f32_e32 v8, v68, v8
	v_fmac_f32_e32 v28, v8, v13
	v_max_f32_e32 v8, v51, v51
	s_delay_alu instid0(VALU_DEP_2) | instskip(NEXT) | instid1(VALU_DEP_2)
	v_cndmask_b32_e64 v29, 0, v28, s1
	v_max_f32_e32 v8, v8, v28
	ds_store_b32 v54, v29
	v_cndmask_b32_e64 v51, v51, v8, s1
	v_add_co_u32 v20, s1, v20, 16
	s_delay_alu instid0(VALU_DEP_1)
	v_add_co_ci_u32_e64 v21, s1, 0, v21, s1
	v_add_nc_u32_e32 v54, 0x200, v54
	s_and_not1_b32 exec_lo, exec_lo, s7
	s_cbranch_execz .LBB363_776
.LBB363_11:                             ; =>This Inner Loop Header: Depth=1
	flat_load_b32 v8, v[20:21]
	s_mov_b32 s2, exec_lo
	v_mov_b32_e32 v65, 0
	s_waitcnt vmcnt(0) lgkmcnt(0)
	v_mad_i64_i32 v[28:29], null, v8, v22, v[18:19]
	flat_load_b64 v[30:31], v[28:29]
	flat_load_b32 v64, v[24:25]
	s_waitcnt vmcnt(1) lgkmcnt(1)
	v_and_b32_e32 v8, 0xff, v30
	s_delay_alu instid0(VALU_DEP_1)
	v_cmpx_ne_u16_e32 0, v8
	s_cbranch_execz .LBB363_19
; %bb.12:                               ;   in Loop: Header=BB363_11 Depth=1
	v_bfrev_b32_e32 v65, 1
	s_mov_b32 s18, exec_lo
	v_cmpx_ne_u16_e32 0x80, v8
	s_cbranch_execz .LBB363_18
; %bb.13:                               ;   in Loop: Header=BB363_11 Depth=1
	v_and_b32_e32 v32, 0x7f, v30
	v_mov_b32_e32 v65, 0x7fc02000
	s_mov_b32 s19, exec_lo
	s_delay_alu instid0(VALU_DEP_2)
	v_cmpx_ne_u32_e32 0x7f, v32
	s_cbranch_execz .LBB363_17
; %bb.14:                               ;   in Loop: Header=BB363_11 Depth=1
	v_lshrrev_b32_e32 v8, 3, v32
	v_cmp_gt_u32_e64 s1, 8, v32
	v_dual_mov_b32 v33, v31 :: v_dual_mov_b32 v32, v30
	s_delay_alu instid0(VALU_DEP_2)
	s_and_saveexec_b32 s20, s1
; %bb.15:                               ;   in Loop: Header=BB363_11 Depth=1
	v_and_b32_e32 v8, 7, v30
	s_delay_alu instid0(VALU_DEP_1) | instskip(NEXT) | instid1(VALU_DEP_1)
	v_clz_i32_u32_e32 v8, v8
	v_min_u32_e32 v8, 32, v8
	s_delay_alu instid0(VALU_DEP_1) | instskip(SKIP_1) | instid1(VALU_DEP_2)
	v_subrev_nc_u32_e32 v32, 28, v8
	v_sub_nc_u32_e32 v8, 29, v8
	v_lshlrev_b64 v[32:33], v32, v[30:31]
; %bb.16:                               ;   in Loop: Header=BB363_11 Depth=1
	s_or_b32 exec_lo, exec_lo, s20
	v_lshlrev_b32_e32 v33, 8, v30
	s_delay_alu instid0(VALU_DEP_3) | instskip(NEXT) | instid1(VALU_DEP_3)
	v_lshl_add_u32 v8, v8, 10, 0x2000
	v_lshlrev_b32_e32 v32, 7, v32
	s_delay_alu instid0(VALU_DEP_2) | instskip(NEXT) | instid1(VALU_DEP_1)
	v_and_or_b32 v8, 0x8000, v33, v8
	v_and_or_b32 v8, 0x380, v32, v8
	s_delay_alu instid0(VALU_DEP_1)
	v_cvt_f32_f16_e32 v65, v8
.LBB363_17:                             ;   in Loop: Header=BB363_11 Depth=1
	s_or_b32 exec_lo, exec_lo, s19
.LBB363_18:                             ;   in Loop: Header=BB363_11 Depth=1
	s_delay_alu instid0(SALU_CYCLE_1)
	s_or_b32 exec_lo, exec_lo, s18
.LBB363_19:                             ;   in Loop: Header=BB363_11 Depth=1
	s_delay_alu instid0(SALU_CYCLE_1) | instskip(SKIP_3) | instid1(VALU_DEP_2)
	s_or_b32 exec_lo, exec_lo, s2
	v_lshrrev_b16 v8, 8, v30
	v_dual_mov_b32 v66, 0 :: v_dual_mov_b32 v67, 0
	s_mov_b32 s2, exec_lo
	v_cmpx_ne_u16_e32 0, v8
	s_cbranch_execz .LBB363_27
; %bb.20:                               ;   in Loop: Header=BB363_11 Depth=1
	v_bfrev_b32_e32 v67, 1
	s_mov_b32 s18, exec_lo
	v_cmpx_ne_u16_e32 0x80, v8
	s_cbranch_execz .LBB363_26
; %bb.21:                               ;   in Loop: Header=BB363_11 Depth=1
	v_and_b32_e32 v32, 0xffff, v8
	v_mov_b32_e32 v67, 0x7fc02000
	s_mov_b32 s19, exec_lo
	s_delay_alu instid0(VALU_DEP_2) | instskip(NEXT) | instid1(VALU_DEP_1)
	v_and_b32_e32 v68, 0x7f, v32
	v_cmpx_ne_u32_e32 0x7f, v68
	s_cbranch_execz .LBB363_25
; %bb.22:                               ;   in Loop: Header=BB363_11 Depth=1
	v_and_b32_e32 v8, 7, v32
	v_lshrrev_b32_e32 v33, 3, v68
	s_mov_b32 s20, exec_lo
	v_cmpx_gt_u32_e32 8, v68
; %bb.23:                               ;   in Loop: Header=BB363_11 Depth=1
	s_delay_alu instid0(VALU_DEP_3) | instskip(NEXT) | instid1(VALU_DEP_1)
	v_clz_i32_u32_e32 v33, v8
	v_min_u32_e32 v33, 32, v33
	s_delay_alu instid0(VALU_DEP_1) | instskip(SKIP_1) | instid1(VALU_DEP_2)
	v_subrev_nc_u32_e32 v67, 28, v33
	v_sub_nc_u32_e32 v33, 29, v33
	v_lshlrev_b64 v[67:68], v67, v[8:9]
	s_delay_alu instid0(VALU_DEP_1)
	v_and_b32_e32 v8, 7, v67
; %bb.24:                               ;   in Loop: Header=BB363_11 Depth=1
	s_or_b32 exec_lo, exec_lo, s20
	v_lshlrev_b32_e32 v32, 8, v32
	v_lshl_add_u32 v33, v33, 10, 0x2000
	s_delay_alu instid0(VALU_DEP_1) | instskip(NEXT) | instid1(VALU_DEP_1)
	v_and_or_b32 v32, 0x8000, v32, v33
	v_lshl_or_b32 v8, v8, 7, v32
	s_delay_alu instid0(VALU_DEP_1)
	v_cvt_f32_f16_e32 v67, v8
.LBB363_25:                             ;   in Loop: Header=BB363_11 Depth=1
	s_or_b32 exec_lo, exec_lo, s19
.LBB363_26:                             ;   in Loop: Header=BB363_11 Depth=1
	s_delay_alu instid0(SALU_CYCLE_1)
	s_or_b32 exec_lo, exec_lo, s18
.LBB363_27:                             ;   in Loop: Header=BB363_11 Depth=1
	s_delay_alu instid0(SALU_CYCLE_1) | instskip(SKIP_2) | instid1(VALU_DEP_1)
	s_or_b32 exec_lo, exec_lo, s2
	v_lshrrev_b32_e32 v32, 16, v30
	s_mov_b32 s2, exec_lo
	v_and_b32_e32 v8, 0xff, v32
	s_delay_alu instid0(VALU_DEP_1)
	v_cmpx_ne_u16_e32 0, v8
	s_cbranch_execz .LBB363_35
; %bb.28:                               ;   in Loop: Header=BB363_11 Depth=1
	v_bfrev_b32_e32 v66, 1
	s_mov_b32 s18, exec_lo
	v_cmpx_ne_u16_e32 0x80, v8
	s_cbranch_execz .LBB363_34
; %bb.29:                               ;   in Loop: Header=BB363_11 Depth=1
	v_bfe_u32 v68, v30, 16, 7
	v_mov_b32_e32 v66, 0x7fc02000
	s_mov_b32 s19, exec_lo
	s_delay_alu instid0(VALU_DEP_2)
	v_cmpx_ne_u32_e32 0x7f, v68
	s_cbranch_execz .LBB363_33
; %bb.30:                               ;   in Loop: Header=BB363_11 Depth=1
	v_and_b32_e32 v8, 7, v32
	v_lshrrev_b32_e32 v33, 3, v68
	s_mov_b32 s20, exec_lo
	v_cmpx_gt_u32_e32 8, v68
; %bb.31:                               ;   in Loop: Header=BB363_11 Depth=1
	s_delay_alu instid0(VALU_DEP_3) | instskip(NEXT) | instid1(VALU_DEP_1)
	v_clz_i32_u32_e32 v33, v8
	v_min_u32_e32 v33, 32, v33
	s_delay_alu instid0(VALU_DEP_1) | instskip(SKIP_1) | instid1(VALU_DEP_2)
	v_subrev_nc_u32_e32 v66, 28, v33
	v_sub_nc_u32_e32 v33, 29, v33
	v_lshlrev_b64 v[68:69], v66, v[8:9]
	s_delay_alu instid0(VALU_DEP_1)
	v_and_b32_e32 v8, 7, v68
; %bb.32:                               ;   in Loop: Header=BB363_11 Depth=1
	s_or_b32 exec_lo, exec_lo, s20
	v_lshlrev_b32_e32 v32, 8, v32
	v_lshl_add_u32 v33, v33, 10, 0x2000
	s_delay_alu instid0(VALU_DEP_1) | instskip(NEXT) | instid1(VALU_DEP_1)
	v_and_or_b32 v32, 0x8000, v32, v33
	v_lshl_or_b32 v8, v8, 7, v32
	s_delay_alu instid0(VALU_DEP_1)
	v_cvt_f32_f16_e32 v66, v8
.LBB363_33:                             ;   in Loop: Header=BB363_11 Depth=1
	s_or_b32 exec_lo, exec_lo, s19
.LBB363_34:                             ;   in Loop: Header=BB363_11 Depth=1
	s_delay_alu instid0(SALU_CYCLE_1)
	s_or_b32 exec_lo, exec_lo, s18
.LBB363_35:                             ;   in Loop: Header=BB363_11 Depth=1
	s_delay_alu instid0(SALU_CYCLE_1)
	s_or_b32 exec_lo, exec_lo, s2
	v_dual_mov_b32 v68, 0 :: v_dual_mov_b32 v69, 0
	s_mov_b32 s2, exec_lo
	v_cmpx_lt_u32_e32 0xffffff, v30
	s_cbranch_execz .LBB363_43
; %bb.36:                               ;   in Loop: Header=BB363_11 Depth=1
	v_lshrrev_b32_e32 v32, 24, v30
	v_bfrev_b32_e32 v69, 1
	s_mov_b32 s18, exec_lo
	s_delay_alu instid0(VALU_DEP_2)
	v_cmpx_ne_u32_e32 0x80, v32
	s_cbranch_execz .LBB363_42
; %bb.37:                               ;   in Loop: Header=BB363_11 Depth=1
	v_and_b32_e32 v70, 0x7f, v32
	v_mov_b32_e32 v69, 0x7fc02000
	s_mov_b32 s19, exec_lo
	s_delay_alu instid0(VALU_DEP_2)
	v_cmpx_ne_u32_e32 0x7f, v70
	s_cbranch_execz .LBB363_41
; %bb.38:                               ;   in Loop: Header=BB363_11 Depth=1
	v_and_b32_e32 v8, 7, v32
	v_lshrrev_b32_e32 v33, 3, v70
	s_mov_b32 s20, exec_lo
	v_cmpx_gt_u32_e32 8, v70
; %bb.39:                               ;   in Loop: Header=BB363_11 Depth=1
	s_delay_alu instid0(VALU_DEP_3) | instskip(NEXT) | instid1(VALU_DEP_1)
	v_clz_i32_u32_e32 v33, v8
	v_min_u32_e32 v33, 32, v33
	s_delay_alu instid0(VALU_DEP_1) | instskip(SKIP_1) | instid1(VALU_DEP_2)
	v_subrev_nc_u32_e32 v69, 28, v33
	v_sub_nc_u32_e32 v33, 29, v33
	v_lshlrev_b64 v[69:70], v69, v[8:9]
	s_delay_alu instid0(VALU_DEP_1)
	v_and_b32_e32 v8, 7, v69
; %bb.40:                               ;   in Loop: Header=BB363_11 Depth=1
	s_or_b32 exec_lo, exec_lo, s20
	v_lshlrev_b32_e32 v32, 8, v32
	v_lshl_add_u32 v33, v33, 10, 0x2000
	s_delay_alu instid0(VALU_DEP_1) | instskip(NEXT) | instid1(VALU_DEP_1)
	v_and_or_b32 v32, 0x8000, v32, v33
	v_lshl_or_b32 v8, v8, 7, v32
	s_delay_alu instid0(VALU_DEP_1)
	v_cvt_f32_f16_e32 v69, v8
.LBB363_41:                             ;   in Loop: Header=BB363_11 Depth=1
	s_or_b32 exec_lo, exec_lo, s19
.LBB363_42:                             ;   in Loop: Header=BB363_11 Depth=1
	s_delay_alu instid0(SALU_CYCLE_1)
	s_or_b32 exec_lo, exec_lo, s18
.LBB363_43:                             ;   in Loop: Header=BB363_11 Depth=1
	s_delay_alu instid0(SALU_CYCLE_1) | instskip(SKIP_3) | instid1(VALU_DEP_2)
	s_or_b32 exec_lo, exec_lo, s2
	v_and_b32_e32 v32, 0xff, v31
	v_mov_b32_e32 v8, v31
	s_mov_b32 s2, exec_lo
	v_cmpx_ne_u16_e32 0, v32
	s_cbranch_execz .LBB363_51
; %bb.44:                               ;   in Loop: Header=BB363_11 Depth=1
	v_bfrev_b32_e32 v68, 1
	s_mov_b32 s18, exec_lo
	v_cmpx_ne_u16_e32 0x80, v32
	s_cbranch_execz .LBB363_50
; %bb.45:                               ;   in Loop: Header=BB363_11 Depth=1
	v_and_b32_e32 v32, 0x7f, v31
	v_mov_b32_e32 v68, 0x7fc02000
	s_mov_b32 s19, exec_lo
	s_delay_alu instid0(VALU_DEP_2)
	v_cmpx_ne_u32_e32 0x7f, v32
	s_cbranch_execz .LBB363_49
; %bb.46:                               ;   in Loop: Header=BB363_11 Depth=1
	v_lshrrev_b32_e32 v68, 3, v32
	v_cmp_gt_u32_e64 s1, 8, v32
	v_dual_mov_b32 v33, v9 :: v_dual_mov_b32 v32, v8
	s_delay_alu instid0(VALU_DEP_2)
	s_and_saveexec_b32 s20, s1
; %bb.47:                               ;   in Loop: Header=BB363_11 Depth=1
	v_and_b32_e32 v32, 7, v31
	s_delay_alu instid0(VALU_DEP_1) | instskip(NEXT) | instid1(VALU_DEP_1)
	v_clz_i32_u32_e32 v32, v32
	v_min_u32_e32 v68, 32, v32
	s_delay_alu instid0(VALU_DEP_1) | instskip(SKIP_1) | instid1(VALU_DEP_2)
	v_subrev_nc_u32_e32 v32, 28, v68
	v_sub_nc_u32_e32 v68, 29, v68
	v_lshlrev_b64 v[32:33], v32, v[8:9]
; %bb.48:                               ;   in Loop: Header=BB363_11 Depth=1
	s_or_b32 exec_lo, exec_lo, s20
	v_lshlrev_b32_e32 v33, 8, v31
	s_delay_alu instid0(VALU_DEP_3) | instskip(NEXT) | instid1(VALU_DEP_3)
	v_lshl_add_u32 v68, v68, 10, 0x2000
	v_lshlrev_b32_e32 v32, 7, v32
	s_delay_alu instid0(VALU_DEP_2) | instskip(NEXT) | instid1(VALU_DEP_1)
	v_and_or_b32 v33, 0x8000, v33, v68
	v_and_or_b32 v32, 0x380, v32, v33
	s_delay_alu instid0(VALU_DEP_1)
	v_cvt_f32_f16_e32 v68, v32
.LBB363_49:                             ;   in Loop: Header=BB363_11 Depth=1
	s_or_b32 exec_lo, exec_lo, s19
.LBB363_50:                             ;   in Loop: Header=BB363_11 Depth=1
	s_delay_alu instid0(SALU_CYCLE_1)
	s_or_b32 exec_lo, exec_lo, s18
.LBB363_51:                             ;   in Loop: Header=BB363_11 Depth=1
	s_delay_alu instid0(SALU_CYCLE_1) | instskip(SKIP_3) | instid1(VALU_DEP_2)
	s_or_b32 exec_lo, exec_lo, s2
	v_lshrrev_b16 v8, 8, v8
	v_dual_mov_b32 v70, 0 :: v_dual_mov_b32 v71, 0
	s_mov_b32 s2, exec_lo
	v_cmpx_ne_u16_e32 0, v8
	s_cbranch_execz .LBB363_59
; %bb.52:                               ;   in Loop: Header=BB363_11 Depth=1
	v_bfrev_b32_e32 v71, 1
	s_mov_b32 s18, exec_lo
	v_cmpx_ne_u16_e32 0x80, v8
	s_cbranch_execz .LBB363_58
; %bb.53:                               ;   in Loop: Header=BB363_11 Depth=1
	v_and_b32_e32 v32, 0xffff, v8
	v_mov_b32_e32 v71, 0x7fc02000
	s_mov_b32 s19, exec_lo
	s_delay_alu instid0(VALU_DEP_2) | instskip(NEXT) | instid1(VALU_DEP_1)
	v_and_b32_e32 v80, 0x7f, v32
	v_cmpx_ne_u32_e32 0x7f, v80
	s_cbranch_execz .LBB363_57
; %bb.54:                               ;   in Loop: Header=BB363_11 Depth=1
	v_and_b32_e32 v8, 7, v32
	v_lshrrev_b32_e32 v33, 3, v80
	s_mov_b32 s20, exec_lo
	v_cmpx_gt_u32_e32 8, v80
; %bb.55:                               ;   in Loop: Header=BB363_11 Depth=1
	s_delay_alu instid0(VALU_DEP_3) | instskip(NEXT) | instid1(VALU_DEP_1)
	v_clz_i32_u32_e32 v33, v8
	v_min_u32_e32 v33, 32, v33
	s_delay_alu instid0(VALU_DEP_1) | instskip(SKIP_1) | instid1(VALU_DEP_2)
	v_subrev_nc_u32_e32 v71, 28, v33
	v_sub_nc_u32_e32 v33, 29, v33
	v_lshlrev_b64 v[80:81], v71, v[8:9]
	s_delay_alu instid0(VALU_DEP_1)
	v_and_b32_e32 v8, 7, v80
; %bb.56:                               ;   in Loop: Header=BB363_11 Depth=1
	s_or_b32 exec_lo, exec_lo, s20
	v_lshlrev_b32_e32 v32, 8, v32
	v_lshl_add_u32 v33, v33, 10, 0x2000
	s_delay_alu instid0(VALU_DEP_1) | instskip(NEXT) | instid1(VALU_DEP_1)
	v_and_or_b32 v32, 0x8000, v32, v33
	v_lshl_or_b32 v8, v8, 7, v32
	s_delay_alu instid0(VALU_DEP_1)
	v_cvt_f32_f16_e32 v71, v8
.LBB363_57:                             ;   in Loop: Header=BB363_11 Depth=1
	s_or_b32 exec_lo, exec_lo, s19
.LBB363_58:                             ;   in Loop: Header=BB363_11 Depth=1
	s_delay_alu instid0(SALU_CYCLE_1)
	s_or_b32 exec_lo, exec_lo, s18
.LBB363_59:                             ;   in Loop: Header=BB363_11 Depth=1
	s_delay_alu instid0(SALU_CYCLE_1) | instskip(SKIP_2) | instid1(VALU_DEP_1)
	s_or_b32 exec_lo, exec_lo, s2
	v_lshrrev_b32_e32 v32, 16, v31
	s_mov_b32 s2, exec_lo
	v_and_b32_e32 v8, 0xff, v32
	s_delay_alu instid0(VALU_DEP_1)
	v_cmpx_ne_u16_e32 0, v8
	s_cbranch_execz .LBB363_67
; %bb.60:                               ;   in Loop: Header=BB363_11 Depth=1
	v_bfrev_b32_e32 v70, 1
	s_mov_b32 s18, exec_lo
	v_cmpx_ne_u16_e32 0x80, v8
	s_cbranch_execz .LBB363_66
; %bb.61:                               ;   in Loop: Header=BB363_11 Depth=1
	v_bfe_u32 v80, v31, 16, 7
	v_mov_b32_e32 v70, 0x7fc02000
	s_mov_b32 s19, exec_lo
	s_delay_alu instid0(VALU_DEP_2)
	v_cmpx_ne_u32_e32 0x7f, v80
	s_cbranch_execz .LBB363_65
; %bb.62:                               ;   in Loop: Header=BB363_11 Depth=1
	v_and_b32_e32 v8, 7, v32
	v_lshrrev_b32_e32 v33, 3, v80
	s_mov_b32 s20, exec_lo
	v_cmpx_gt_u32_e32 8, v80
; %bb.63:                               ;   in Loop: Header=BB363_11 Depth=1
	s_delay_alu instid0(VALU_DEP_3) | instskip(NEXT) | instid1(VALU_DEP_1)
	v_clz_i32_u32_e32 v33, v8
	v_min_u32_e32 v33, 32, v33
	s_delay_alu instid0(VALU_DEP_1) | instskip(SKIP_1) | instid1(VALU_DEP_2)
	v_subrev_nc_u32_e32 v70, 28, v33
	v_sub_nc_u32_e32 v33, 29, v33
	v_lshlrev_b64 v[80:81], v70, v[8:9]
	s_delay_alu instid0(VALU_DEP_1)
	v_and_b32_e32 v8, 7, v80
; %bb.64:                               ;   in Loop: Header=BB363_11 Depth=1
	s_or_b32 exec_lo, exec_lo, s20
	v_lshlrev_b32_e32 v32, 8, v32
	v_lshl_add_u32 v33, v33, 10, 0x2000
	s_delay_alu instid0(VALU_DEP_1) | instskip(NEXT) | instid1(VALU_DEP_1)
	v_and_or_b32 v32, 0x8000, v32, v33
	v_lshl_or_b32 v8, v8, 7, v32
	s_delay_alu instid0(VALU_DEP_1)
	v_cvt_f32_f16_e32 v70, v8
.LBB363_65:                             ;   in Loop: Header=BB363_11 Depth=1
	s_or_b32 exec_lo, exec_lo, s19
.LBB363_66:                             ;   in Loop: Header=BB363_11 Depth=1
	s_delay_alu instid0(SALU_CYCLE_1)
	s_or_b32 exec_lo, exec_lo, s18
.LBB363_67:                             ;   in Loop: Header=BB363_11 Depth=1
	s_delay_alu instid0(SALU_CYCLE_1)
	s_or_b32 exec_lo, exec_lo, s2
	v_dual_mov_b32 v80, 0 :: v_dual_mov_b32 v81, 0
	s_mov_b32 s2, exec_lo
	v_cmpx_lt_u64_e64 s[8:9], v[30:31]
	s_cbranch_execz .LBB363_75
; %bb.68:                               ;   in Loop: Header=BB363_11 Depth=1
	v_lshrrev_b32_e32 v30, 24, v31
	v_bfrev_b32_e32 v81, 1
	s_mov_b32 s18, exec_lo
	s_delay_alu instid0(VALU_DEP_2)
	v_cmpx_ne_u32_e32 0x80, v30
	s_cbranch_execz .LBB363_74
; %bb.69:                               ;   in Loop: Header=BB363_11 Depth=1
	v_and_b32_e32 v32, 0x7f, v30
	v_mov_b32_e32 v81, 0x7fc02000
	s_mov_b32 s19, exec_lo
	s_delay_alu instid0(VALU_DEP_2)
	v_cmpx_ne_u32_e32 0x7f, v32
	s_cbranch_execz .LBB363_73
; %bb.70:                               ;   in Loop: Header=BB363_11 Depth=1
	v_and_b32_e32 v8, 7, v30
	v_lshrrev_b32_e32 v31, 3, v32
	s_mov_b32 s20, exec_lo
	v_cmpx_gt_u32_e32 8, v32
; %bb.71:                               ;   in Loop: Header=BB363_11 Depth=1
	s_delay_alu instid0(VALU_DEP_3) | instskip(NEXT) | instid1(VALU_DEP_1)
	v_clz_i32_u32_e32 v31, v8
	v_min_u32_e32 v31, 32, v31
	s_delay_alu instid0(VALU_DEP_1) | instskip(SKIP_1) | instid1(VALU_DEP_2)
	v_subrev_nc_u32_e32 v32, 28, v31
	v_sub_nc_u32_e32 v31, 29, v31
	v_lshlrev_b64 v[32:33], v32, v[8:9]
	s_delay_alu instid0(VALU_DEP_1)
	v_and_b32_e32 v8, 7, v32
; %bb.72:                               ;   in Loop: Header=BB363_11 Depth=1
	s_or_b32 exec_lo, exec_lo, s20
	v_lshlrev_b32_e32 v30, 8, v30
	v_lshl_add_u32 v31, v31, 10, 0x2000
	s_delay_alu instid0(VALU_DEP_1) | instskip(NEXT) | instid1(VALU_DEP_1)
	v_and_or_b32 v30, 0x8000, v30, v31
	v_lshl_or_b32 v8, v8, 7, v30
	s_delay_alu instid0(VALU_DEP_1)
	v_cvt_f32_f16_e32 v81, v8
.LBB363_73:                             ;   in Loop: Header=BB363_11 Depth=1
	s_or_b32 exec_lo, exec_lo, s19
.LBB363_74:                             ;   in Loop: Header=BB363_11 Depth=1
	s_delay_alu instid0(SALU_CYCLE_1)
	s_or_b32 exec_lo, exec_lo, s18
.LBB363_75:                             ;   in Loop: Header=BB363_11 Depth=1
	s_delay_alu instid0(SALU_CYCLE_1) | instskip(SKIP_4) | instid1(VALU_DEP_1)
	s_or_b32 exec_lo, exec_lo, s2
	flat_load_b64 v[30:31], v[28:29] offset:8
	s_mov_b32 s2, exec_lo
	s_waitcnt vmcnt(0) lgkmcnt(0)
	v_and_b32_e32 v8, 0xff, v30
	v_cmpx_ne_u16_e32 0, v8
	s_cbranch_execz .LBB363_83
; %bb.76:                               ;   in Loop: Header=BB363_11 Depth=1
	v_bfrev_b32_e32 v80, 1
	s_mov_b32 s18, exec_lo
	v_cmpx_ne_u16_e32 0x80, v8
	s_cbranch_execz .LBB363_82
; %bb.77:                               ;   in Loop: Header=BB363_11 Depth=1
	v_and_b32_e32 v32, 0x7f, v30
	v_mov_b32_e32 v80, 0x7fc02000
	s_mov_b32 s19, exec_lo
	s_delay_alu instid0(VALU_DEP_2)
	v_cmpx_ne_u32_e32 0x7f, v32
	s_cbranch_execz .LBB363_81
; %bb.78:                               ;   in Loop: Header=BB363_11 Depth=1
	v_lshrrev_b32_e32 v8, 3, v32
	v_cmp_gt_u32_e64 s1, 8, v32
	v_dual_mov_b32 v33, v31 :: v_dual_mov_b32 v32, v30
	s_delay_alu instid0(VALU_DEP_2)
	s_and_saveexec_b32 s20, s1
; %bb.79:                               ;   in Loop: Header=BB363_11 Depth=1
	v_and_b32_e32 v8, 7, v30
	s_delay_alu instid0(VALU_DEP_1) | instskip(NEXT) | instid1(VALU_DEP_1)
	v_clz_i32_u32_e32 v8, v8
	v_min_u32_e32 v8, 32, v8
	s_delay_alu instid0(VALU_DEP_1) | instskip(SKIP_1) | instid1(VALU_DEP_2)
	v_subrev_nc_u32_e32 v32, 28, v8
	v_sub_nc_u32_e32 v8, 29, v8
	v_lshlrev_b64 v[32:33], v32, v[30:31]
; %bb.80:                               ;   in Loop: Header=BB363_11 Depth=1
	s_or_b32 exec_lo, exec_lo, s20
	v_lshlrev_b32_e32 v33, 8, v30
	s_delay_alu instid0(VALU_DEP_3) | instskip(NEXT) | instid1(VALU_DEP_3)
	v_lshl_add_u32 v8, v8, 10, 0x2000
	v_lshlrev_b32_e32 v32, 7, v32
	s_delay_alu instid0(VALU_DEP_2) | instskip(NEXT) | instid1(VALU_DEP_1)
	v_and_or_b32 v8, 0x8000, v33, v8
	v_and_or_b32 v8, 0x380, v32, v8
	s_delay_alu instid0(VALU_DEP_1)
	v_cvt_f32_f16_e32 v80, v8
.LBB363_81:                             ;   in Loop: Header=BB363_11 Depth=1
	s_or_b32 exec_lo, exec_lo, s19
.LBB363_82:                             ;   in Loop: Header=BB363_11 Depth=1
	s_delay_alu instid0(SALU_CYCLE_1)
	s_or_b32 exec_lo, exec_lo, s18
.LBB363_83:                             ;   in Loop: Header=BB363_11 Depth=1
	s_delay_alu instid0(SALU_CYCLE_1) | instskip(SKIP_3) | instid1(VALU_DEP_2)
	s_or_b32 exec_lo, exec_lo, s2
	v_lshrrev_b16 v8, 8, v30
	v_dual_mov_b32 v82, 0 :: v_dual_mov_b32 v83, 0
	s_mov_b32 s2, exec_lo
	v_cmpx_ne_u16_e32 0, v8
	s_cbranch_execz .LBB363_91
; %bb.84:                               ;   in Loop: Header=BB363_11 Depth=1
	v_bfrev_b32_e32 v83, 1
	s_mov_b32 s18, exec_lo
	v_cmpx_ne_u16_e32 0x80, v8
	s_cbranch_execz .LBB363_90
; %bb.85:                               ;   in Loop: Header=BB363_11 Depth=1
	v_and_b32_e32 v32, 0xffff, v8
	v_mov_b32_e32 v83, 0x7fc02000
	s_mov_b32 s19, exec_lo
	s_delay_alu instid0(VALU_DEP_2) | instskip(NEXT) | instid1(VALU_DEP_1)
	v_and_b32_e32 v84, 0x7f, v32
	v_cmpx_ne_u32_e32 0x7f, v84
	s_cbranch_execz .LBB363_89
; %bb.86:                               ;   in Loop: Header=BB363_11 Depth=1
	v_and_b32_e32 v8, 7, v32
	v_lshrrev_b32_e32 v33, 3, v84
	s_mov_b32 s20, exec_lo
	v_cmpx_gt_u32_e32 8, v84
; %bb.87:                               ;   in Loop: Header=BB363_11 Depth=1
	s_delay_alu instid0(VALU_DEP_3) | instskip(NEXT) | instid1(VALU_DEP_1)
	v_clz_i32_u32_e32 v33, v8
	v_min_u32_e32 v33, 32, v33
	s_delay_alu instid0(VALU_DEP_1) | instskip(SKIP_1) | instid1(VALU_DEP_2)
	v_subrev_nc_u32_e32 v83, 28, v33
	v_sub_nc_u32_e32 v33, 29, v33
	v_lshlrev_b64 v[83:84], v83, v[8:9]
	s_delay_alu instid0(VALU_DEP_1)
	v_and_b32_e32 v8, 7, v83
; %bb.88:                               ;   in Loop: Header=BB363_11 Depth=1
	s_or_b32 exec_lo, exec_lo, s20
	v_lshlrev_b32_e32 v32, 8, v32
	v_lshl_add_u32 v33, v33, 10, 0x2000
	s_delay_alu instid0(VALU_DEP_1) | instskip(NEXT) | instid1(VALU_DEP_1)
	v_and_or_b32 v32, 0x8000, v32, v33
	v_lshl_or_b32 v8, v8, 7, v32
	s_delay_alu instid0(VALU_DEP_1)
	v_cvt_f32_f16_e32 v83, v8
.LBB363_89:                             ;   in Loop: Header=BB363_11 Depth=1
	s_or_b32 exec_lo, exec_lo, s19
.LBB363_90:                             ;   in Loop: Header=BB363_11 Depth=1
	s_delay_alu instid0(SALU_CYCLE_1)
	s_or_b32 exec_lo, exec_lo, s18
.LBB363_91:                             ;   in Loop: Header=BB363_11 Depth=1
	s_delay_alu instid0(SALU_CYCLE_1) | instskip(SKIP_2) | instid1(VALU_DEP_1)
	s_or_b32 exec_lo, exec_lo, s2
	v_lshrrev_b32_e32 v32, 16, v30
	s_mov_b32 s2, exec_lo
	v_and_b32_e32 v8, 0xff, v32
	s_delay_alu instid0(VALU_DEP_1)
	v_cmpx_ne_u16_e32 0, v8
	s_cbranch_execz .LBB363_99
; %bb.92:                               ;   in Loop: Header=BB363_11 Depth=1
	v_bfrev_b32_e32 v82, 1
	s_mov_b32 s18, exec_lo
	v_cmpx_ne_u16_e32 0x80, v8
	s_cbranch_execz .LBB363_98
; %bb.93:                               ;   in Loop: Header=BB363_11 Depth=1
	v_bfe_u32 v84, v30, 16, 7
	v_mov_b32_e32 v82, 0x7fc02000
	s_mov_b32 s19, exec_lo
	s_delay_alu instid0(VALU_DEP_2)
	v_cmpx_ne_u32_e32 0x7f, v84
	s_cbranch_execz .LBB363_97
; %bb.94:                               ;   in Loop: Header=BB363_11 Depth=1
	v_and_b32_e32 v8, 7, v32
	v_lshrrev_b32_e32 v33, 3, v84
	s_mov_b32 s20, exec_lo
	v_cmpx_gt_u32_e32 8, v84
; %bb.95:                               ;   in Loop: Header=BB363_11 Depth=1
	s_delay_alu instid0(VALU_DEP_3) | instskip(NEXT) | instid1(VALU_DEP_1)
	v_clz_i32_u32_e32 v33, v8
	v_min_u32_e32 v33, 32, v33
	s_delay_alu instid0(VALU_DEP_1) | instskip(SKIP_1) | instid1(VALU_DEP_2)
	v_subrev_nc_u32_e32 v82, 28, v33
	v_sub_nc_u32_e32 v33, 29, v33
	v_lshlrev_b64 v[84:85], v82, v[8:9]
	s_delay_alu instid0(VALU_DEP_1)
	v_and_b32_e32 v8, 7, v84
; %bb.96:                               ;   in Loop: Header=BB363_11 Depth=1
	s_or_b32 exec_lo, exec_lo, s20
	v_lshlrev_b32_e32 v32, 8, v32
	v_lshl_add_u32 v33, v33, 10, 0x2000
	s_delay_alu instid0(VALU_DEP_1) | instskip(NEXT) | instid1(VALU_DEP_1)
	v_and_or_b32 v32, 0x8000, v32, v33
	v_lshl_or_b32 v8, v8, 7, v32
	s_delay_alu instid0(VALU_DEP_1)
	v_cvt_f32_f16_e32 v82, v8
.LBB363_97:                             ;   in Loop: Header=BB363_11 Depth=1
	s_or_b32 exec_lo, exec_lo, s19
.LBB363_98:                             ;   in Loop: Header=BB363_11 Depth=1
	s_delay_alu instid0(SALU_CYCLE_1)
	s_or_b32 exec_lo, exec_lo, s18
.LBB363_99:                             ;   in Loop: Header=BB363_11 Depth=1
	s_delay_alu instid0(SALU_CYCLE_1)
	s_or_b32 exec_lo, exec_lo, s2
	v_dual_mov_b32 v84, 0 :: v_dual_mov_b32 v85, 0
	s_mov_b32 s2, exec_lo
	v_cmpx_lt_u32_e32 0xffffff, v30
	s_cbranch_execz .LBB363_107
; %bb.100:                              ;   in Loop: Header=BB363_11 Depth=1
	v_lshrrev_b32_e32 v32, 24, v30
	v_bfrev_b32_e32 v85, 1
	s_mov_b32 s18, exec_lo
	s_delay_alu instid0(VALU_DEP_2)
	v_cmpx_ne_u32_e32 0x80, v32
	s_cbranch_execz .LBB363_106
; %bb.101:                              ;   in Loop: Header=BB363_11 Depth=1
	v_and_b32_e32 v86, 0x7f, v32
	v_mov_b32_e32 v85, 0x7fc02000
	s_mov_b32 s19, exec_lo
	s_delay_alu instid0(VALU_DEP_2)
	v_cmpx_ne_u32_e32 0x7f, v86
	s_cbranch_execz .LBB363_105
; %bb.102:                              ;   in Loop: Header=BB363_11 Depth=1
	v_and_b32_e32 v8, 7, v32
	v_lshrrev_b32_e32 v33, 3, v86
	s_mov_b32 s20, exec_lo
	v_cmpx_gt_u32_e32 8, v86
; %bb.103:                              ;   in Loop: Header=BB363_11 Depth=1
	s_delay_alu instid0(VALU_DEP_3) | instskip(NEXT) | instid1(VALU_DEP_1)
	v_clz_i32_u32_e32 v33, v8
	v_min_u32_e32 v33, 32, v33
	s_delay_alu instid0(VALU_DEP_1) | instskip(SKIP_1) | instid1(VALU_DEP_2)
	v_subrev_nc_u32_e32 v85, 28, v33
	v_sub_nc_u32_e32 v33, 29, v33
	v_lshlrev_b64 v[85:86], v85, v[8:9]
	s_delay_alu instid0(VALU_DEP_1)
	v_and_b32_e32 v8, 7, v85
; %bb.104:                              ;   in Loop: Header=BB363_11 Depth=1
	s_or_b32 exec_lo, exec_lo, s20
	v_lshlrev_b32_e32 v32, 8, v32
	v_lshl_add_u32 v33, v33, 10, 0x2000
	s_delay_alu instid0(VALU_DEP_1) | instskip(NEXT) | instid1(VALU_DEP_1)
	v_and_or_b32 v32, 0x8000, v32, v33
	v_lshl_or_b32 v8, v8, 7, v32
	s_delay_alu instid0(VALU_DEP_1)
	v_cvt_f32_f16_e32 v85, v8
.LBB363_105:                            ;   in Loop: Header=BB363_11 Depth=1
	s_or_b32 exec_lo, exec_lo, s19
.LBB363_106:                            ;   in Loop: Header=BB363_11 Depth=1
	s_delay_alu instid0(SALU_CYCLE_1)
	s_or_b32 exec_lo, exec_lo, s18
.LBB363_107:                            ;   in Loop: Header=BB363_11 Depth=1
	s_delay_alu instid0(SALU_CYCLE_1) | instskip(SKIP_3) | instid1(VALU_DEP_2)
	s_or_b32 exec_lo, exec_lo, s2
	v_and_b32_e32 v32, 0xff, v31
	v_mov_b32_e32 v8, v31
	s_mov_b32 s2, exec_lo
	v_cmpx_ne_u16_e32 0, v32
	s_cbranch_execz .LBB363_115
; %bb.108:                              ;   in Loop: Header=BB363_11 Depth=1
	v_bfrev_b32_e32 v84, 1
	s_mov_b32 s18, exec_lo
	v_cmpx_ne_u16_e32 0x80, v32
	s_cbranch_execz .LBB363_114
; %bb.109:                              ;   in Loop: Header=BB363_11 Depth=1
	v_and_b32_e32 v32, 0x7f, v31
	v_mov_b32_e32 v84, 0x7fc02000
	s_mov_b32 s19, exec_lo
	s_delay_alu instid0(VALU_DEP_2)
	v_cmpx_ne_u32_e32 0x7f, v32
	s_cbranch_execz .LBB363_113
; %bb.110:                              ;   in Loop: Header=BB363_11 Depth=1
	v_lshrrev_b32_e32 v84, 3, v32
	v_cmp_gt_u32_e64 s1, 8, v32
	v_dual_mov_b32 v33, v9 :: v_dual_mov_b32 v32, v8
	s_delay_alu instid0(VALU_DEP_2)
	s_and_saveexec_b32 s20, s1
; %bb.111:                              ;   in Loop: Header=BB363_11 Depth=1
	v_and_b32_e32 v32, 7, v31
	s_delay_alu instid0(VALU_DEP_1) | instskip(NEXT) | instid1(VALU_DEP_1)
	v_clz_i32_u32_e32 v32, v32
	v_min_u32_e32 v84, 32, v32
	s_delay_alu instid0(VALU_DEP_1) | instskip(SKIP_1) | instid1(VALU_DEP_2)
	v_subrev_nc_u32_e32 v32, 28, v84
	v_sub_nc_u32_e32 v84, 29, v84
	v_lshlrev_b64 v[32:33], v32, v[8:9]
; %bb.112:                              ;   in Loop: Header=BB363_11 Depth=1
	s_or_b32 exec_lo, exec_lo, s20
	v_lshlrev_b32_e32 v33, 8, v31
	s_delay_alu instid0(VALU_DEP_3) | instskip(NEXT) | instid1(VALU_DEP_3)
	v_lshl_add_u32 v84, v84, 10, 0x2000
	v_lshlrev_b32_e32 v32, 7, v32
	s_delay_alu instid0(VALU_DEP_2) | instskip(NEXT) | instid1(VALU_DEP_1)
	v_and_or_b32 v33, 0x8000, v33, v84
	v_and_or_b32 v32, 0x380, v32, v33
	s_delay_alu instid0(VALU_DEP_1)
	v_cvt_f32_f16_e32 v84, v32
.LBB363_113:                            ;   in Loop: Header=BB363_11 Depth=1
	s_or_b32 exec_lo, exec_lo, s19
.LBB363_114:                            ;   in Loop: Header=BB363_11 Depth=1
	s_delay_alu instid0(SALU_CYCLE_1)
	s_or_b32 exec_lo, exec_lo, s18
.LBB363_115:                            ;   in Loop: Header=BB363_11 Depth=1
	s_delay_alu instid0(SALU_CYCLE_1) | instskip(SKIP_3) | instid1(VALU_DEP_2)
	s_or_b32 exec_lo, exec_lo, s2
	v_lshrrev_b16 v8, 8, v8
	v_dual_mov_b32 v86, 0 :: v_dual_mov_b32 v87, 0
	s_mov_b32 s2, exec_lo
	v_cmpx_ne_u16_e32 0, v8
	s_cbranch_execz .LBB363_123
; %bb.116:                              ;   in Loop: Header=BB363_11 Depth=1
	v_bfrev_b32_e32 v87, 1
	s_mov_b32 s18, exec_lo
	v_cmpx_ne_u16_e32 0x80, v8
	s_cbranch_execz .LBB363_122
; %bb.117:                              ;   in Loop: Header=BB363_11 Depth=1
	v_and_b32_e32 v32, 0xffff, v8
	v_mov_b32_e32 v87, 0x7fc02000
	s_mov_b32 s19, exec_lo
	s_delay_alu instid0(VALU_DEP_2) | instskip(NEXT) | instid1(VALU_DEP_1)
	v_and_b32_e32 v96, 0x7f, v32
	v_cmpx_ne_u32_e32 0x7f, v96
	s_cbranch_execz .LBB363_121
; %bb.118:                              ;   in Loop: Header=BB363_11 Depth=1
	v_and_b32_e32 v8, 7, v32
	v_lshrrev_b32_e32 v33, 3, v96
	s_mov_b32 s20, exec_lo
	v_cmpx_gt_u32_e32 8, v96
; %bb.119:                              ;   in Loop: Header=BB363_11 Depth=1
	s_delay_alu instid0(VALU_DEP_3) | instskip(NEXT) | instid1(VALU_DEP_1)
	v_clz_i32_u32_e32 v33, v8
	v_min_u32_e32 v33, 32, v33
	s_delay_alu instid0(VALU_DEP_1) | instskip(SKIP_1) | instid1(VALU_DEP_2)
	v_subrev_nc_u32_e32 v87, 28, v33
	v_sub_nc_u32_e32 v33, 29, v33
	v_lshlrev_b64 v[96:97], v87, v[8:9]
	s_delay_alu instid0(VALU_DEP_1)
	v_and_b32_e32 v8, 7, v96
; %bb.120:                              ;   in Loop: Header=BB363_11 Depth=1
	s_or_b32 exec_lo, exec_lo, s20
	v_lshlrev_b32_e32 v32, 8, v32
	v_lshl_add_u32 v33, v33, 10, 0x2000
	s_delay_alu instid0(VALU_DEP_1) | instskip(NEXT) | instid1(VALU_DEP_1)
	v_and_or_b32 v32, 0x8000, v32, v33
	v_lshl_or_b32 v8, v8, 7, v32
	s_delay_alu instid0(VALU_DEP_1)
	v_cvt_f32_f16_e32 v87, v8
.LBB363_121:                            ;   in Loop: Header=BB363_11 Depth=1
	s_or_b32 exec_lo, exec_lo, s19
.LBB363_122:                            ;   in Loop: Header=BB363_11 Depth=1
	s_delay_alu instid0(SALU_CYCLE_1)
	s_or_b32 exec_lo, exec_lo, s18
.LBB363_123:                            ;   in Loop: Header=BB363_11 Depth=1
	s_delay_alu instid0(SALU_CYCLE_1) | instskip(SKIP_2) | instid1(VALU_DEP_1)
	s_or_b32 exec_lo, exec_lo, s2
	v_lshrrev_b32_e32 v32, 16, v31
	s_mov_b32 s2, exec_lo
	v_and_b32_e32 v8, 0xff, v32
	s_delay_alu instid0(VALU_DEP_1)
	v_cmpx_ne_u16_e32 0, v8
	s_cbranch_execz .LBB363_131
; %bb.124:                              ;   in Loop: Header=BB363_11 Depth=1
	v_bfrev_b32_e32 v86, 1
	s_mov_b32 s18, exec_lo
	v_cmpx_ne_u16_e32 0x80, v8
	s_cbranch_execz .LBB363_130
; %bb.125:                              ;   in Loop: Header=BB363_11 Depth=1
	v_bfe_u32 v96, v31, 16, 7
	v_mov_b32_e32 v86, 0x7fc02000
	s_mov_b32 s19, exec_lo
	s_delay_alu instid0(VALU_DEP_2)
	v_cmpx_ne_u32_e32 0x7f, v96
	s_cbranch_execz .LBB363_129
; %bb.126:                              ;   in Loop: Header=BB363_11 Depth=1
	v_and_b32_e32 v8, 7, v32
	v_lshrrev_b32_e32 v33, 3, v96
	s_mov_b32 s20, exec_lo
	v_cmpx_gt_u32_e32 8, v96
; %bb.127:                              ;   in Loop: Header=BB363_11 Depth=1
	s_delay_alu instid0(VALU_DEP_3) | instskip(NEXT) | instid1(VALU_DEP_1)
	v_clz_i32_u32_e32 v33, v8
	v_min_u32_e32 v33, 32, v33
	s_delay_alu instid0(VALU_DEP_1) | instskip(SKIP_1) | instid1(VALU_DEP_2)
	v_subrev_nc_u32_e32 v86, 28, v33
	v_sub_nc_u32_e32 v33, 29, v33
	v_lshlrev_b64 v[96:97], v86, v[8:9]
	s_delay_alu instid0(VALU_DEP_1)
	v_and_b32_e32 v8, 7, v96
; %bb.128:                              ;   in Loop: Header=BB363_11 Depth=1
	s_or_b32 exec_lo, exec_lo, s20
	v_lshlrev_b32_e32 v32, 8, v32
	v_lshl_add_u32 v33, v33, 10, 0x2000
	s_delay_alu instid0(VALU_DEP_1) | instskip(NEXT) | instid1(VALU_DEP_1)
	v_and_or_b32 v32, 0x8000, v32, v33
	v_lshl_or_b32 v8, v8, 7, v32
	s_delay_alu instid0(VALU_DEP_1)
	v_cvt_f32_f16_e32 v86, v8
.LBB363_129:                            ;   in Loop: Header=BB363_11 Depth=1
	s_or_b32 exec_lo, exec_lo, s19
.LBB363_130:                            ;   in Loop: Header=BB363_11 Depth=1
	s_delay_alu instid0(SALU_CYCLE_1)
	s_or_b32 exec_lo, exec_lo, s18
.LBB363_131:                            ;   in Loop: Header=BB363_11 Depth=1
	s_delay_alu instid0(SALU_CYCLE_1)
	s_or_b32 exec_lo, exec_lo, s2
	v_dual_mov_b32 v96, 0 :: v_dual_mov_b32 v97, 0
	s_mov_b32 s2, exec_lo
	v_cmpx_lt_u64_e64 s[8:9], v[30:31]
	s_cbranch_execz .LBB363_139
; %bb.132:                              ;   in Loop: Header=BB363_11 Depth=1
	v_lshrrev_b32_e32 v30, 24, v31
	v_bfrev_b32_e32 v97, 1
	s_mov_b32 s18, exec_lo
	s_delay_alu instid0(VALU_DEP_2)
	v_cmpx_ne_u32_e32 0x80, v30
	s_cbranch_execz .LBB363_138
; %bb.133:                              ;   in Loop: Header=BB363_11 Depth=1
	v_and_b32_e32 v32, 0x7f, v30
	v_mov_b32_e32 v97, 0x7fc02000
	s_mov_b32 s19, exec_lo
	s_delay_alu instid0(VALU_DEP_2)
	v_cmpx_ne_u32_e32 0x7f, v32
	s_cbranch_execz .LBB363_137
; %bb.134:                              ;   in Loop: Header=BB363_11 Depth=1
	v_and_b32_e32 v8, 7, v30
	v_lshrrev_b32_e32 v31, 3, v32
	s_mov_b32 s20, exec_lo
	v_cmpx_gt_u32_e32 8, v32
; %bb.135:                              ;   in Loop: Header=BB363_11 Depth=1
	s_delay_alu instid0(VALU_DEP_3) | instskip(NEXT) | instid1(VALU_DEP_1)
	v_clz_i32_u32_e32 v31, v8
	v_min_u32_e32 v31, 32, v31
	s_delay_alu instid0(VALU_DEP_1) | instskip(SKIP_1) | instid1(VALU_DEP_2)
	v_subrev_nc_u32_e32 v32, 28, v31
	v_sub_nc_u32_e32 v31, 29, v31
	v_lshlrev_b64 v[32:33], v32, v[8:9]
	s_delay_alu instid0(VALU_DEP_1)
	v_and_b32_e32 v8, 7, v32
; %bb.136:                              ;   in Loop: Header=BB363_11 Depth=1
	s_or_b32 exec_lo, exec_lo, s20
	v_lshlrev_b32_e32 v30, 8, v30
	v_lshl_add_u32 v31, v31, 10, 0x2000
	s_delay_alu instid0(VALU_DEP_1) | instskip(NEXT) | instid1(VALU_DEP_1)
	v_and_or_b32 v30, 0x8000, v30, v31
	v_lshl_or_b32 v8, v8, 7, v30
	s_delay_alu instid0(VALU_DEP_1)
	v_cvt_f32_f16_e32 v97, v8
.LBB363_137:                            ;   in Loop: Header=BB363_11 Depth=1
	s_or_b32 exec_lo, exec_lo, s19
.LBB363_138:                            ;   in Loop: Header=BB363_11 Depth=1
	s_delay_alu instid0(SALU_CYCLE_1)
	s_or_b32 exec_lo, exec_lo, s18
.LBB363_139:                            ;   in Loop: Header=BB363_11 Depth=1
	s_delay_alu instid0(SALU_CYCLE_1) | instskip(SKIP_4) | instid1(VALU_DEP_1)
	s_or_b32 exec_lo, exec_lo, s2
	flat_load_b64 v[30:31], v[28:29] offset:512
	s_mov_b32 s2, exec_lo
	s_waitcnt vmcnt(0) lgkmcnt(0)
	v_and_b32_e32 v8, 0xff, v30
	v_cmpx_ne_u16_e32 0, v8
	s_cbranch_execz .LBB363_147
; %bb.140:                              ;   in Loop: Header=BB363_11 Depth=1
	v_bfrev_b32_e32 v96, 1
	s_mov_b32 s18, exec_lo
	v_cmpx_ne_u16_e32 0x80, v8
	s_cbranch_execz .LBB363_146
; %bb.141:                              ;   in Loop: Header=BB363_11 Depth=1
	v_and_b32_e32 v32, 0x7f, v30
	v_mov_b32_e32 v96, 0x7fc02000
	s_mov_b32 s19, exec_lo
	s_delay_alu instid0(VALU_DEP_2)
	v_cmpx_ne_u32_e32 0x7f, v32
	s_cbranch_execz .LBB363_145
; %bb.142:                              ;   in Loop: Header=BB363_11 Depth=1
	v_lshrrev_b32_e32 v8, 3, v32
	v_cmp_gt_u32_e64 s1, 8, v32
	v_dual_mov_b32 v33, v31 :: v_dual_mov_b32 v32, v30
	s_delay_alu instid0(VALU_DEP_2)
	s_and_saveexec_b32 s20, s1
; %bb.143:                              ;   in Loop: Header=BB363_11 Depth=1
	v_and_b32_e32 v8, 7, v30
	s_delay_alu instid0(VALU_DEP_1) | instskip(NEXT) | instid1(VALU_DEP_1)
	v_clz_i32_u32_e32 v8, v8
	v_min_u32_e32 v8, 32, v8
	s_delay_alu instid0(VALU_DEP_1) | instskip(SKIP_1) | instid1(VALU_DEP_2)
	v_subrev_nc_u32_e32 v32, 28, v8
	v_sub_nc_u32_e32 v8, 29, v8
	v_lshlrev_b64 v[32:33], v32, v[30:31]
; %bb.144:                              ;   in Loop: Header=BB363_11 Depth=1
	s_or_b32 exec_lo, exec_lo, s20
	v_lshlrev_b32_e32 v33, 8, v30
	s_delay_alu instid0(VALU_DEP_3) | instskip(NEXT) | instid1(VALU_DEP_3)
	v_lshl_add_u32 v8, v8, 10, 0x2000
	v_lshlrev_b32_e32 v32, 7, v32
	s_delay_alu instid0(VALU_DEP_2) | instskip(NEXT) | instid1(VALU_DEP_1)
	v_and_or_b32 v8, 0x8000, v33, v8
	v_and_or_b32 v8, 0x380, v32, v8
	s_delay_alu instid0(VALU_DEP_1)
	v_cvt_f32_f16_e32 v96, v8
.LBB363_145:                            ;   in Loop: Header=BB363_11 Depth=1
	s_or_b32 exec_lo, exec_lo, s19
.LBB363_146:                            ;   in Loop: Header=BB363_11 Depth=1
	s_delay_alu instid0(SALU_CYCLE_1)
	s_or_b32 exec_lo, exec_lo, s18
.LBB363_147:                            ;   in Loop: Header=BB363_11 Depth=1
	s_delay_alu instid0(SALU_CYCLE_1) | instskip(SKIP_3) | instid1(VALU_DEP_2)
	s_or_b32 exec_lo, exec_lo, s2
	v_lshrrev_b16 v8, 8, v30
	v_dual_mov_b32 v98, 0 :: v_dual_mov_b32 v99, 0
	s_mov_b32 s2, exec_lo
	v_cmpx_ne_u16_e32 0, v8
	s_cbranch_execz .LBB363_155
; %bb.148:                              ;   in Loop: Header=BB363_11 Depth=1
	v_bfrev_b32_e32 v99, 1
	s_mov_b32 s18, exec_lo
	v_cmpx_ne_u16_e32 0x80, v8
	s_cbranch_execz .LBB363_154
; %bb.149:                              ;   in Loop: Header=BB363_11 Depth=1
	v_and_b32_e32 v32, 0xffff, v8
	v_mov_b32_e32 v99, 0x7fc02000
	s_mov_b32 s19, exec_lo
	s_delay_alu instid0(VALU_DEP_2) | instskip(NEXT) | instid1(VALU_DEP_1)
	v_and_b32_e32 v100, 0x7f, v32
	v_cmpx_ne_u32_e32 0x7f, v100
	s_cbranch_execz .LBB363_153
; %bb.150:                              ;   in Loop: Header=BB363_11 Depth=1
	v_and_b32_e32 v8, 7, v32
	v_lshrrev_b32_e32 v33, 3, v100
	s_mov_b32 s20, exec_lo
	v_cmpx_gt_u32_e32 8, v100
; %bb.151:                              ;   in Loop: Header=BB363_11 Depth=1
	s_delay_alu instid0(VALU_DEP_3) | instskip(NEXT) | instid1(VALU_DEP_1)
	v_clz_i32_u32_e32 v33, v8
	v_min_u32_e32 v33, 32, v33
	s_delay_alu instid0(VALU_DEP_1) | instskip(SKIP_1) | instid1(VALU_DEP_2)
	v_subrev_nc_u32_e32 v99, 28, v33
	v_sub_nc_u32_e32 v33, 29, v33
	v_lshlrev_b64 v[99:100], v99, v[8:9]
	s_delay_alu instid0(VALU_DEP_1)
	v_and_b32_e32 v8, 7, v99
; %bb.152:                              ;   in Loop: Header=BB363_11 Depth=1
	s_or_b32 exec_lo, exec_lo, s20
	v_lshlrev_b32_e32 v32, 8, v32
	v_lshl_add_u32 v33, v33, 10, 0x2000
	s_delay_alu instid0(VALU_DEP_1) | instskip(NEXT) | instid1(VALU_DEP_1)
	v_and_or_b32 v32, 0x8000, v32, v33
	v_lshl_or_b32 v8, v8, 7, v32
	s_delay_alu instid0(VALU_DEP_1)
	v_cvt_f32_f16_e32 v99, v8
.LBB363_153:                            ;   in Loop: Header=BB363_11 Depth=1
	s_or_b32 exec_lo, exec_lo, s19
.LBB363_154:                            ;   in Loop: Header=BB363_11 Depth=1
	s_delay_alu instid0(SALU_CYCLE_1)
	s_or_b32 exec_lo, exec_lo, s18
.LBB363_155:                            ;   in Loop: Header=BB363_11 Depth=1
	s_delay_alu instid0(SALU_CYCLE_1) | instskip(SKIP_2) | instid1(VALU_DEP_1)
	s_or_b32 exec_lo, exec_lo, s2
	v_lshrrev_b32_e32 v32, 16, v30
	s_mov_b32 s2, exec_lo
	v_and_b32_e32 v8, 0xff, v32
	s_delay_alu instid0(VALU_DEP_1)
	v_cmpx_ne_u16_e32 0, v8
	s_cbranch_execz .LBB363_163
; %bb.156:                              ;   in Loop: Header=BB363_11 Depth=1
	v_bfrev_b32_e32 v98, 1
	s_mov_b32 s18, exec_lo
	v_cmpx_ne_u16_e32 0x80, v8
	s_cbranch_execz .LBB363_162
; %bb.157:                              ;   in Loop: Header=BB363_11 Depth=1
	v_bfe_u32 v100, v30, 16, 7
	v_mov_b32_e32 v98, 0x7fc02000
	s_mov_b32 s19, exec_lo
	s_delay_alu instid0(VALU_DEP_2)
	v_cmpx_ne_u32_e32 0x7f, v100
	s_cbranch_execz .LBB363_161
; %bb.158:                              ;   in Loop: Header=BB363_11 Depth=1
	v_and_b32_e32 v8, 7, v32
	v_lshrrev_b32_e32 v33, 3, v100
	s_mov_b32 s20, exec_lo
	v_cmpx_gt_u32_e32 8, v100
; %bb.159:                              ;   in Loop: Header=BB363_11 Depth=1
	s_delay_alu instid0(VALU_DEP_3) | instskip(NEXT) | instid1(VALU_DEP_1)
	v_clz_i32_u32_e32 v33, v8
	v_min_u32_e32 v33, 32, v33
	s_delay_alu instid0(VALU_DEP_1) | instskip(SKIP_1) | instid1(VALU_DEP_2)
	v_subrev_nc_u32_e32 v98, 28, v33
	v_sub_nc_u32_e32 v33, 29, v33
	v_lshlrev_b64 v[100:101], v98, v[8:9]
	s_delay_alu instid0(VALU_DEP_1)
	v_and_b32_e32 v8, 7, v100
; %bb.160:                              ;   in Loop: Header=BB363_11 Depth=1
	s_or_b32 exec_lo, exec_lo, s20
	v_lshlrev_b32_e32 v32, 8, v32
	v_lshl_add_u32 v33, v33, 10, 0x2000
	s_delay_alu instid0(VALU_DEP_1) | instskip(NEXT) | instid1(VALU_DEP_1)
	v_and_or_b32 v32, 0x8000, v32, v33
	v_lshl_or_b32 v8, v8, 7, v32
	s_delay_alu instid0(VALU_DEP_1)
	v_cvt_f32_f16_e32 v98, v8
.LBB363_161:                            ;   in Loop: Header=BB363_11 Depth=1
	s_or_b32 exec_lo, exec_lo, s19
.LBB363_162:                            ;   in Loop: Header=BB363_11 Depth=1
	s_delay_alu instid0(SALU_CYCLE_1)
	s_or_b32 exec_lo, exec_lo, s18
.LBB363_163:                            ;   in Loop: Header=BB363_11 Depth=1
	s_delay_alu instid0(SALU_CYCLE_1)
	s_or_b32 exec_lo, exec_lo, s2
	v_dual_mov_b32 v100, 0 :: v_dual_mov_b32 v101, 0
	s_mov_b32 s2, exec_lo
	v_cmpx_lt_u32_e32 0xffffff, v30
	s_cbranch_execz .LBB363_171
; %bb.164:                              ;   in Loop: Header=BB363_11 Depth=1
	v_lshrrev_b32_e32 v102, 24, v30
	v_bfrev_b32_e32 v101, 1
	s_mov_b32 s18, exec_lo
	s_delay_alu instid0(VALU_DEP_2)
	v_cmpx_ne_u32_e32 0x80, v102
	s_cbranch_execz .LBB363_170
; %bb.165:                              ;   in Loop: Header=BB363_11 Depth=1
	v_and_b32_e32 v32, 0x7f, v102
	v_mov_b32_e32 v101, 0x7fc02000
	s_mov_b32 s19, exec_lo
	s_delay_alu instid0(VALU_DEP_2)
	v_cmpx_ne_u32_e32 0x7f, v32
	s_cbranch_execz .LBB363_169
; %bb.166:                              ;   in Loop: Header=BB363_11 Depth=1
	v_and_b32_e32 v8, 7, v102
	v_lshrrev_b32_e32 v101, 3, v32
	v_cmp_gt_u32_e64 s1, 8, v32
	s_delay_alu instid0(VALU_DEP_3) | instskip(NEXT) | instid1(VALU_DEP_2)
	v_dual_mov_b32 v33, v9 :: v_dual_mov_b32 v32, v8
	s_and_saveexec_b32 s20, s1
; %bb.167:                              ;   in Loop: Header=BB363_11 Depth=1
	v_clz_i32_u32_e32 v32, v8
	s_delay_alu instid0(VALU_DEP_1) | instskip(NEXT) | instid1(VALU_DEP_1)
	v_min_u32_e32 v101, 32, v32
	v_subrev_nc_u32_e32 v32, 28, v101
	v_sub_nc_u32_e32 v101, 29, v101
	s_delay_alu instid0(VALU_DEP_2) | instskip(NEXT) | instid1(VALU_DEP_1)
	v_lshlrev_b64 v[32:33], v32, v[8:9]
	v_and_b32_e32 v32, 7, v32
; %bb.168:                              ;   in Loop: Header=BB363_11 Depth=1
	s_or_b32 exec_lo, exec_lo, s20
	v_lshlrev_b32_e32 v8, 8, v102
	v_lshl_add_u32 v33, v101, 10, 0x2000
	s_delay_alu instid0(VALU_DEP_1) | instskip(NEXT) | instid1(VALU_DEP_1)
	v_and_or_b32 v8, 0x8000, v8, v33
	v_lshl_or_b32 v8, v32, 7, v8
	s_delay_alu instid0(VALU_DEP_1)
	v_cvt_f32_f16_e32 v101, v8
.LBB363_169:                            ;   in Loop: Header=BB363_11 Depth=1
	s_or_b32 exec_lo, exec_lo, s19
.LBB363_170:                            ;   in Loop: Header=BB363_11 Depth=1
	s_delay_alu instid0(SALU_CYCLE_1)
	s_or_b32 exec_lo, exec_lo, s18
.LBB363_171:                            ;   in Loop: Header=BB363_11 Depth=1
	s_delay_alu instid0(SALU_CYCLE_1) | instskip(SKIP_3) | instid1(VALU_DEP_2)
	s_or_b32 exec_lo, exec_lo, s2
	v_and_b32_e32 v32, 0xff, v31
	v_mov_b32_e32 v8, v31
	s_mov_b32 s2, exec_lo
	v_cmpx_ne_u16_e32 0, v32
	s_cbranch_execz .LBB363_179
; %bb.172:                              ;   in Loop: Header=BB363_11 Depth=1
	v_bfrev_b32_e32 v100, 1
	s_mov_b32 s18, exec_lo
	v_cmpx_ne_u16_e32 0x80, v32
	s_cbranch_execz .LBB363_178
; %bb.173:                              ;   in Loop: Header=BB363_11 Depth=1
	v_and_b32_e32 v32, 0x7f, v31
	v_mov_b32_e32 v100, 0x7fc02000
	s_mov_b32 s19, exec_lo
	s_delay_alu instid0(VALU_DEP_2)
	v_cmpx_ne_u32_e32 0x7f, v32
	s_cbranch_execz .LBB363_177
; %bb.174:                              ;   in Loop: Header=BB363_11 Depth=1
	v_lshrrev_b32_e32 v100, 3, v32
	v_cmp_gt_u32_e64 s1, 8, v32
	v_dual_mov_b32 v33, v9 :: v_dual_mov_b32 v32, v8
	s_delay_alu instid0(VALU_DEP_2)
	s_and_saveexec_b32 s20, s1
; %bb.175:                              ;   in Loop: Header=BB363_11 Depth=1
	v_and_b32_e32 v32, 7, v31
	s_delay_alu instid0(VALU_DEP_1) | instskip(NEXT) | instid1(VALU_DEP_1)
	v_clz_i32_u32_e32 v32, v32
	v_min_u32_e32 v100, 32, v32
	s_delay_alu instid0(VALU_DEP_1) | instskip(SKIP_1) | instid1(VALU_DEP_2)
	v_subrev_nc_u32_e32 v32, 28, v100
	v_sub_nc_u32_e32 v100, 29, v100
	v_lshlrev_b64 v[32:33], v32, v[8:9]
; %bb.176:                              ;   in Loop: Header=BB363_11 Depth=1
	s_or_b32 exec_lo, exec_lo, s20
	v_lshlrev_b32_e32 v33, 8, v31
	s_delay_alu instid0(VALU_DEP_3) | instskip(NEXT) | instid1(VALU_DEP_3)
	v_lshl_add_u32 v100, v100, 10, 0x2000
	v_lshlrev_b32_e32 v32, 7, v32
	s_delay_alu instid0(VALU_DEP_2) | instskip(NEXT) | instid1(VALU_DEP_1)
	v_and_or_b32 v33, 0x8000, v33, v100
	v_and_or_b32 v32, 0x380, v32, v33
	s_delay_alu instid0(VALU_DEP_1)
	v_cvt_f32_f16_e32 v100, v32
.LBB363_177:                            ;   in Loop: Header=BB363_11 Depth=1
	s_or_b32 exec_lo, exec_lo, s19
.LBB363_178:                            ;   in Loop: Header=BB363_11 Depth=1
	s_delay_alu instid0(SALU_CYCLE_1)
	s_or_b32 exec_lo, exec_lo, s18
.LBB363_179:                            ;   in Loop: Header=BB363_11 Depth=1
	s_delay_alu instid0(SALU_CYCLE_1) | instskip(SKIP_3) | instid1(VALU_DEP_2)
	s_or_b32 exec_lo, exec_lo, s2
	v_lshrrev_b16 v8, 8, v8
	v_dual_mov_b32 v102, 0 :: v_dual_mov_b32 v103, 0
	s_mov_b32 s2, exec_lo
	v_cmpx_ne_u16_e32 0, v8
	s_cbranch_execz .LBB363_187
; %bb.180:                              ;   in Loop: Header=BB363_11 Depth=1
	v_bfrev_b32_e32 v103, 1
	s_mov_b32 s18, exec_lo
	v_cmpx_ne_u16_e32 0x80, v8
	s_cbranch_execz .LBB363_186
; %bb.181:                              ;   in Loop: Header=BB363_11 Depth=1
	v_and_b32_e32 v112, 0xffff, v8
	v_mov_b32_e32 v103, 0x7fc02000
	s_mov_b32 s19, exec_lo
	s_delay_alu instid0(VALU_DEP_2) | instskip(NEXT) | instid1(VALU_DEP_1)
	v_and_b32_e32 v32, 0x7f, v112
	v_cmpx_ne_u32_e32 0x7f, v32
	s_cbranch_execz .LBB363_185
; %bb.182:                              ;   in Loop: Header=BB363_11 Depth=1
	v_and_b32_e32 v8, 7, v112
	v_lshrrev_b32_e32 v103, 3, v32
	v_cmp_gt_u32_e64 s1, 8, v32
	s_delay_alu instid0(VALU_DEP_3) | instskip(NEXT) | instid1(VALU_DEP_2)
	v_dual_mov_b32 v33, v9 :: v_dual_mov_b32 v32, v8
	s_and_saveexec_b32 s20, s1
; %bb.183:                              ;   in Loop: Header=BB363_11 Depth=1
	v_clz_i32_u32_e32 v32, v8
	s_delay_alu instid0(VALU_DEP_1) | instskip(NEXT) | instid1(VALU_DEP_1)
	v_min_u32_e32 v103, 32, v32
	v_subrev_nc_u32_e32 v32, 28, v103
	v_sub_nc_u32_e32 v103, 29, v103
	s_delay_alu instid0(VALU_DEP_2) | instskip(NEXT) | instid1(VALU_DEP_1)
	v_lshlrev_b64 v[32:33], v32, v[8:9]
	v_and_b32_e32 v32, 7, v32
; %bb.184:                              ;   in Loop: Header=BB363_11 Depth=1
	s_or_b32 exec_lo, exec_lo, s20
	v_lshlrev_b32_e32 v8, 8, v112
	v_lshl_add_u32 v33, v103, 10, 0x2000
	s_delay_alu instid0(VALU_DEP_1) | instskip(NEXT) | instid1(VALU_DEP_1)
	v_and_or_b32 v8, 0x8000, v8, v33
	v_lshl_or_b32 v8, v32, 7, v8
	s_delay_alu instid0(VALU_DEP_1)
	v_cvt_f32_f16_e32 v103, v8
.LBB363_185:                            ;   in Loop: Header=BB363_11 Depth=1
	s_or_b32 exec_lo, exec_lo, s19
.LBB363_186:                            ;   in Loop: Header=BB363_11 Depth=1
	s_delay_alu instid0(SALU_CYCLE_1)
	s_or_b32 exec_lo, exec_lo, s18
.LBB363_187:                            ;   in Loop: Header=BB363_11 Depth=1
	s_delay_alu instid0(SALU_CYCLE_1) | instskip(SKIP_2) | instid1(VALU_DEP_1)
	s_or_b32 exec_lo, exec_lo, s2
	v_lshrrev_b32_e32 v112, 16, v31
	s_mov_b32 s2, exec_lo
	v_and_b32_e32 v8, 0xff, v112
	s_delay_alu instid0(VALU_DEP_1)
	v_cmpx_ne_u16_e32 0, v8
	s_cbranch_execz .LBB363_195
; %bb.188:                              ;   in Loop: Header=BB363_11 Depth=1
	v_bfrev_b32_e32 v102, 1
	s_mov_b32 s18, exec_lo
	v_cmpx_ne_u16_e32 0x80, v8
	s_cbranch_execz .LBB363_194
; %bb.189:                              ;   in Loop: Header=BB363_11 Depth=1
	v_bfe_u32 v32, v31, 16, 7
	v_mov_b32_e32 v102, 0x7fc02000
	s_mov_b32 s19, exec_lo
	s_delay_alu instid0(VALU_DEP_2)
	v_cmpx_ne_u32_e32 0x7f, v32
	s_cbranch_execz .LBB363_193
; %bb.190:                              ;   in Loop: Header=BB363_11 Depth=1
	v_and_b32_e32 v8, 7, v112
	v_lshrrev_b32_e32 v102, 3, v32
	v_cmp_gt_u32_e64 s1, 8, v32
	s_delay_alu instid0(VALU_DEP_3) | instskip(NEXT) | instid1(VALU_DEP_2)
	v_dual_mov_b32 v33, v9 :: v_dual_mov_b32 v32, v8
	s_and_saveexec_b32 s20, s1
; %bb.191:                              ;   in Loop: Header=BB363_11 Depth=1
	v_clz_i32_u32_e32 v32, v8
	s_delay_alu instid0(VALU_DEP_1) | instskip(NEXT) | instid1(VALU_DEP_1)
	v_min_u32_e32 v102, 32, v32
	v_subrev_nc_u32_e32 v32, 28, v102
	v_sub_nc_u32_e32 v102, 29, v102
	s_delay_alu instid0(VALU_DEP_2) | instskip(NEXT) | instid1(VALU_DEP_1)
	v_lshlrev_b64 v[32:33], v32, v[8:9]
	v_and_b32_e32 v32, 7, v32
; %bb.192:                              ;   in Loop: Header=BB363_11 Depth=1
	s_or_b32 exec_lo, exec_lo, s20
	v_lshlrev_b32_e32 v8, 8, v112
	v_lshl_add_u32 v33, v102, 10, 0x2000
	s_delay_alu instid0(VALU_DEP_1) | instskip(NEXT) | instid1(VALU_DEP_1)
	v_and_or_b32 v8, 0x8000, v8, v33
	v_lshl_or_b32 v8, v32, 7, v8
	s_delay_alu instid0(VALU_DEP_1)
	v_cvt_f32_f16_e32 v102, v8
.LBB363_193:                            ;   in Loop: Header=BB363_11 Depth=1
	s_or_b32 exec_lo, exec_lo, s19
.LBB363_194:                            ;   in Loop: Header=BB363_11 Depth=1
	s_delay_alu instid0(SALU_CYCLE_1)
	s_or_b32 exec_lo, exec_lo, s18
.LBB363_195:                            ;   in Loop: Header=BB363_11 Depth=1
	s_delay_alu instid0(SALU_CYCLE_1)
	s_or_b32 exec_lo, exec_lo, s2
	v_dual_mov_b32 v112, 0 :: v_dual_mov_b32 v113, 0
	s_mov_b32 s2, exec_lo
	v_cmpx_lt_u64_e64 s[8:9], v[30:31]
	s_cbranch_execz .LBB363_203
; %bb.196:                              ;   in Loop: Header=BB363_11 Depth=1
	v_lshrrev_b32_e32 v32, 24, v31
	v_bfrev_b32_e32 v113, 1
	s_mov_b32 s18, exec_lo
	s_delay_alu instid0(VALU_DEP_2)
	v_cmpx_ne_u32_e32 0x80, v32
	s_cbranch_execz .LBB363_202
; %bb.197:                              ;   in Loop: Header=BB363_11 Depth=1
	v_and_b32_e32 v30, 0x7f, v32
	v_mov_b32_e32 v113, 0x7fc02000
	s_mov_b32 s19, exec_lo
	s_delay_alu instid0(VALU_DEP_2)
	v_cmpx_ne_u32_e32 0x7f, v30
	s_cbranch_execz .LBB363_201
; %bb.198:                              ;   in Loop: Header=BB363_11 Depth=1
	v_and_b32_e32 v8, 7, v32
	v_lshrrev_b32_e32 v33, 3, v30
	v_cmp_gt_u32_e64 s1, 8, v30
	s_delay_alu instid0(VALU_DEP_3) | instskip(NEXT) | instid1(VALU_DEP_2)
	v_dual_mov_b32 v31, v9 :: v_dual_mov_b32 v30, v8
	s_and_saveexec_b32 s20, s1
; %bb.199:                              ;   in Loop: Header=BB363_11 Depth=1
	v_clz_i32_u32_e32 v30, v8
	s_delay_alu instid0(VALU_DEP_1) | instskip(NEXT) | instid1(VALU_DEP_1)
	v_min_u32_e32 v33, 32, v30
	v_subrev_nc_u32_e32 v30, 28, v33
	v_sub_nc_u32_e32 v33, 29, v33
	s_delay_alu instid0(VALU_DEP_2) | instskip(NEXT) | instid1(VALU_DEP_1)
	v_lshlrev_b64 v[30:31], v30, v[8:9]
	v_and_b32_e32 v30, 7, v30
; %bb.200:                              ;   in Loop: Header=BB363_11 Depth=1
	s_or_b32 exec_lo, exec_lo, s20
	v_lshlrev_b32_e32 v8, 8, v32
	v_lshl_add_u32 v31, v33, 10, 0x2000
	s_delay_alu instid0(VALU_DEP_1) | instskip(NEXT) | instid1(VALU_DEP_1)
	v_and_or_b32 v8, 0x8000, v8, v31
	v_lshl_or_b32 v8, v30, 7, v8
	s_delay_alu instid0(VALU_DEP_1)
	v_cvt_f32_f16_e32 v113, v8
.LBB363_201:                            ;   in Loop: Header=BB363_11 Depth=1
	s_or_b32 exec_lo, exec_lo, s19
.LBB363_202:                            ;   in Loop: Header=BB363_11 Depth=1
	s_delay_alu instid0(SALU_CYCLE_1)
	s_or_b32 exec_lo, exec_lo, s18
.LBB363_203:                            ;   in Loop: Header=BB363_11 Depth=1
	s_delay_alu instid0(SALU_CYCLE_1) | instskip(SKIP_4) | instid1(VALU_DEP_1)
	s_or_b32 exec_lo, exec_lo, s2
	flat_load_b64 v[30:31], v[28:29] offset:520
	s_mov_b32 s2, exec_lo
	s_waitcnt vmcnt(0) lgkmcnt(0)
	v_and_b32_e32 v8, 0xff, v30
	v_cmpx_ne_u16_e32 0, v8
	s_cbranch_execz .LBB363_211
; %bb.204:                              ;   in Loop: Header=BB363_11 Depth=1
	v_bfrev_b32_e32 v112, 1
	s_mov_b32 s18, exec_lo
	v_cmpx_ne_u16_e32 0x80, v8
	s_cbranch_execz .LBB363_210
; %bb.205:                              ;   in Loop: Header=BB363_11 Depth=1
	v_and_b32_e32 v32, 0x7f, v30
	v_mov_b32_e32 v112, 0x7fc02000
	s_mov_b32 s19, exec_lo
	s_delay_alu instid0(VALU_DEP_2)
	v_cmpx_ne_u32_e32 0x7f, v32
	s_cbranch_execz .LBB363_209
; %bb.206:                              ;   in Loop: Header=BB363_11 Depth=1
	v_lshrrev_b32_e32 v8, 3, v32
	v_cmp_gt_u32_e64 s1, 8, v32
	v_dual_mov_b32 v33, v31 :: v_dual_mov_b32 v32, v30
	s_delay_alu instid0(VALU_DEP_2)
	s_and_saveexec_b32 s20, s1
; %bb.207:                              ;   in Loop: Header=BB363_11 Depth=1
	v_and_b32_e32 v8, 7, v30
	s_delay_alu instid0(VALU_DEP_1) | instskip(NEXT) | instid1(VALU_DEP_1)
	v_clz_i32_u32_e32 v8, v8
	v_min_u32_e32 v8, 32, v8
	s_delay_alu instid0(VALU_DEP_1) | instskip(SKIP_1) | instid1(VALU_DEP_2)
	v_subrev_nc_u32_e32 v32, 28, v8
	v_sub_nc_u32_e32 v8, 29, v8
	v_lshlrev_b64 v[32:33], v32, v[30:31]
; %bb.208:                              ;   in Loop: Header=BB363_11 Depth=1
	s_or_b32 exec_lo, exec_lo, s20
	v_lshlrev_b32_e32 v33, 8, v30
	s_delay_alu instid0(VALU_DEP_3) | instskip(NEXT) | instid1(VALU_DEP_3)
	v_lshl_add_u32 v8, v8, 10, 0x2000
	v_lshlrev_b32_e32 v32, 7, v32
	s_delay_alu instid0(VALU_DEP_2) | instskip(NEXT) | instid1(VALU_DEP_1)
	v_and_or_b32 v8, 0x8000, v33, v8
	v_and_or_b32 v8, 0x380, v32, v8
	s_delay_alu instid0(VALU_DEP_1)
	v_cvt_f32_f16_e32 v112, v8
.LBB363_209:                            ;   in Loop: Header=BB363_11 Depth=1
	s_or_b32 exec_lo, exec_lo, s19
.LBB363_210:                            ;   in Loop: Header=BB363_11 Depth=1
	s_delay_alu instid0(SALU_CYCLE_1)
	s_or_b32 exec_lo, exec_lo, s18
.LBB363_211:                            ;   in Loop: Header=BB363_11 Depth=1
	s_delay_alu instid0(SALU_CYCLE_1) | instskip(SKIP_3) | instid1(VALU_DEP_2)
	s_or_b32 exec_lo, exec_lo, s2
	v_lshrrev_b16 v8, 8, v30
	v_dual_mov_b32 v114, 0 :: v_dual_mov_b32 v115, 0
	s_mov_b32 s2, exec_lo
	v_cmpx_ne_u16_e32 0, v8
	s_cbranch_execz .LBB363_219
; %bb.212:                              ;   in Loop: Header=BB363_11 Depth=1
	v_bfrev_b32_e32 v115, 1
	s_mov_b32 s18, exec_lo
	v_cmpx_ne_u16_e32 0x80, v8
	s_cbranch_execz .LBB363_218
; %bb.213:                              ;   in Loop: Header=BB363_11 Depth=1
	v_and_b32_e32 v116, 0xffff, v8
	v_mov_b32_e32 v115, 0x7fc02000
	s_mov_b32 s19, exec_lo
	s_delay_alu instid0(VALU_DEP_2) | instskip(NEXT) | instid1(VALU_DEP_1)
	v_and_b32_e32 v32, 0x7f, v116
	v_cmpx_ne_u32_e32 0x7f, v32
	s_cbranch_execz .LBB363_217
; %bb.214:                              ;   in Loop: Header=BB363_11 Depth=1
	v_and_b32_e32 v8, 7, v116
	v_lshrrev_b32_e32 v115, 3, v32
	v_cmp_gt_u32_e64 s1, 8, v32
	s_delay_alu instid0(VALU_DEP_3) | instskip(NEXT) | instid1(VALU_DEP_2)
	v_dual_mov_b32 v33, v9 :: v_dual_mov_b32 v32, v8
	s_and_saveexec_b32 s20, s1
; %bb.215:                              ;   in Loop: Header=BB363_11 Depth=1
	v_clz_i32_u32_e32 v32, v8
	s_delay_alu instid0(VALU_DEP_1) | instskip(NEXT) | instid1(VALU_DEP_1)
	v_min_u32_e32 v115, 32, v32
	v_subrev_nc_u32_e32 v32, 28, v115
	v_sub_nc_u32_e32 v115, 29, v115
	s_delay_alu instid0(VALU_DEP_2) | instskip(NEXT) | instid1(VALU_DEP_1)
	v_lshlrev_b64 v[32:33], v32, v[8:9]
	v_and_b32_e32 v32, 7, v32
; %bb.216:                              ;   in Loop: Header=BB363_11 Depth=1
	s_or_b32 exec_lo, exec_lo, s20
	v_lshlrev_b32_e32 v8, 8, v116
	v_lshl_add_u32 v33, v115, 10, 0x2000
	s_delay_alu instid0(VALU_DEP_1) | instskip(NEXT) | instid1(VALU_DEP_1)
	v_and_or_b32 v8, 0x8000, v8, v33
	v_lshl_or_b32 v8, v32, 7, v8
	s_delay_alu instid0(VALU_DEP_1)
	v_cvt_f32_f16_e32 v115, v8
.LBB363_217:                            ;   in Loop: Header=BB363_11 Depth=1
	s_or_b32 exec_lo, exec_lo, s19
.LBB363_218:                            ;   in Loop: Header=BB363_11 Depth=1
	s_delay_alu instid0(SALU_CYCLE_1)
	s_or_b32 exec_lo, exec_lo, s18
.LBB363_219:                            ;   in Loop: Header=BB363_11 Depth=1
	s_delay_alu instid0(SALU_CYCLE_1) | instskip(SKIP_2) | instid1(VALU_DEP_1)
	s_or_b32 exec_lo, exec_lo, s2
	v_lshrrev_b32_e32 v116, 16, v30
	s_mov_b32 s2, exec_lo
	v_and_b32_e32 v8, 0xff, v116
	s_delay_alu instid0(VALU_DEP_1)
	v_cmpx_ne_u16_e32 0, v8
	s_cbranch_execz .LBB363_227
; %bb.220:                              ;   in Loop: Header=BB363_11 Depth=1
	v_bfrev_b32_e32 v114, 1
	s_mov_b32 s18, exec_lo
	v_cmpx_ne_u16_e32 0x80, v8
	s_cbranch_execz .LBB363_226
; %bb.221:                              ;   in Loop: Header=BB363_11 Depth=1
	v_bfe_u32 v32, v30, 16, 7
	v_mov_b32_e32 v114, 0x7fc02000
	s_mov_b32 s19, exec_lo
	s_delay_alu instid0(VALU_DEP_2)
	v_cmpx_ne_u32_e32 0x7f, v32
	s_cbranch_execz .LBB363_225
; %bb.222:                              ;   in Loop: Header=BB363_11 Depth=1
	v_and_b32_e32 v8, 7, v116
	v_lshrrev_b32_e32 v114, 3, v32
	v_cmp_gt_u32_e64 s1, 8, v32
	s_delay_alu instid0(VALU_DEP_3) | instskip(NEXT) | instid1(VALU_DEP_2)
	v_dual_mov_b32 v33, v9 :: v_dual_mov_b32 v32, v8
	s_and_saveexec_b32 s20, s1
; %bb.223:                              ;   in Loop: Header=BB363_11 Depth=1
	v_clz_i32_u32_e32 v32, v8
	s_delay_alu instid0(VALU_DEP_1) | instskip(NEXT) | instid1(VALU_DEP_1)
	v_min_u32_e32 v114, 32, v32
	v_subrev_nc_u32_e32 v32, 28, v114
	v_sub_nc_u32_e32 v114, 29, v114
	s_delay_alu instid0(VALU_DEP_2) | instskip(NEXT) | instid1(VALU_DEP_1)
	v_lshlrev_b64 v[32:33], v32, v[8:9]
	v_and_b32_e32 v32, 7, v32
; %bb.224:                              ;   in Loop: Header=BB363_11 Depth=1
	s_or_b32 exec_lo, exec_lo, s20
	v_lshlrev_b32_e32 v8, 8, v116
	v_lshl_add_u32 v33, v114, 10, 0x2000
	s_delay_alu instid0(VALU_DEP_1) | instskip(NEXT) | instid1(VALU_DEP_1)
	v_and_or_b32 v8, 0x8000, v8, v33
	v_lshl_or_b32 v8, v32, 7, v8
	s_delay_alu instid0(VALU_DEP_1)
	v_cvt_f32_f16_e32 v114, v8
.LBB363_225:                            ;   in Loop: Header=BB363_11 Depth=1
	s_or_b32 exec_lo, exec_lo, s19
.LBB363_226:                            ;   in Loop: Header=BB363_11 Depth=1
	s_delay_alu instid0(SALU_CYCLE_1)
	s_or_b32 exec_lo, exec_lo, s18
.LBB363_227:                            ;   in Loop: Header=BB363_11 Depth=1
	s_delay_alu instid0(SALU_CYCLE_1)
	s_or_b32 exec_lo, exec_lo, s2
	v_dual_mov_b32 v116, 0 :: v_dual_mov_b32 v117, 0
	s_mov_b32 s2, exec_lo
	v_cmpx_lt_u32_e32 0xffffff, v30
	s_cbranch_execz .LBB363_235
; %bb.228:                              ;   in Loop: Header=BB363_11 Depth=1
	v_lshrrev_b32_e32 v118, 24, v30
	v_bfrev_b32_e32 v117, 1
	s_mov_b32 s18, exec_lo
	s_delay_alu instid0(VALU_DEP_2)
	v_cmpx_ne_u32_e32 0x80, v118
	s_cbranch_execz .LBB363_234
; %bb.229:                              ;   in Loop: Header=BB363_11 Depth=1
	v_and_b32_e32 v32, 0x7f, v118
	v_mov_b32_e32 v117, 0x7fc02000
	s_mov_b32 s19, exec_lo
	s_delay_alu instid0(VALU_DEP_2)
	v_cmpx_ne_u32_e32 0x7f, v32
	s_cbranch_execz .LBB363_233
; %bb.230:                              ;   in Loop: Header=BB363_11 Depth=1
	v_and_b32_e32 v8, 7, v118
	v_lshrrev_b32_e32 v117, 3, v32
	v_cmp_gt_u32_e64 s1, 8, v32
	s_delay_alu instid0(VALU_DEP_3) | instskip(NEXT) | instid1(VALU_DEP_2)
	v_dual_mov_b32 v33, v9 :: v_dual_mov_b32 v32, v8
	s_and_saveexec_b32 s20, s1
; %bb.231:                              ;   in Loop: Header=BB363_11 Depth=1
	v_clz_i32_u32_e32 v32, v8
	s_delay_alu instid0(VALU_DEP_1) | instskip(NEXT) | instid1(VALU_DEP_1)
	v_min_u32_e32 v117, 32, v32
	v_subrev_nc_u32_e32 v32, 28, v117
	v_sub_nc_u32_e32 v117, 29, v117
	s_delay_alu instid0(VALU_DEP_2) | instskip(NEXT) | instid1(VALU_DEP_1)
	v_lshlrev_b64 v[32:33], v32, v[8:9]
	v_and_b32_e32 v32, 7, v32
; %bb.232:                              ;   in Loop: Header=BB363_11 Depth=1
	s_or_b32 exec_lo, exec_lo, s20
	v_lshlrev_b32_e32 v8, 8, v118
	v_lshl_add_u32 v33, v117, 10, 0x2000
	s_delay_alu instid0(VALU_DEP_1) | instskip(NEXT) | instid1(VALU_DEP_1)
	v_and_or_b32 v8, 0x8000, v8, v33
	v_lshl_or_b32 v8, v32, 7, v8
	s_delay_alu instid0(VALU_DEP_1)
	v_cvt_f32_f16_e32 v117, v8
.LBB363_233:                            ;   in Loop: Header=BB363_11 Depth=1
	s_or_b32 exec_lo, exec_lo, s19
.LBB363_234:                            ;   in Loop: Header=BB363_11 Depth=1
	s_delay_alu instid0(SALU_CYCLE_1)
	s_or_b32 exec_lo, exec_lo, s18
.LBB363_235:                            ;   in Loop: Header=BB363_11 Depth=1
	s_delay_alu instid0(SALU_CYCLE_1) | instskip(SKIP_3) | instid1(VALU_DEP_2)
	s_or_b32 exec_lo, exec_lo, s2
	v_and_b32_e32 v32, 0xff, v31
	v_mov_b32_e32 v8, v31
	s_mov_b32 s2, exec_lo
	v_cmpx_ne_u16_e32 0, v32
	s_cbranch_execz .LBB363_243
; %bb.236:                              ;   in Loop: Header=BB363_11 Depth=1
	v_bfrev_b32_e32 v116, 1
	s_mov_b32 s18, exec_lo
	v_cmpx_ne_u16_e32 0x80, v32
	s_cbranch_execz .LBB363_242
; %bb.237:                              ;   in Loop: Header=BB363_11 Depth=1
	v_and_b32_e32 v32, 0x7f, v31
	v_mov_b32_e32 v116, 0x7fc02000
	s_mov_b32 s19, exec_lo
	s_delay_alu instid0(VALU_DEP_2)
	v_cmpx_ne_u32_e32 0x7f, v32
	s_cbranch_execz .LBB363_241
; %bb.238:                              ;   in Loop: Header=BB363_11 Depth=1
	v_lshrrev_b32_e32 v116, 3, v32
	v_cmp_gt_u32_e64 s1, 8, v32
	v_dual_mov_b32 v33, v9 :: v_dual_mov_b32 v32, v8
	s_delay_alu instid0(VALU_DEP_2)
	s_and_saveexec_b32 s20, s1
; %bb.239:                              ;   in Loop: Header=BB363_11 Depth=1
	v_and_b32_e32 v32, 7, v31
	s_delay_alu instid0(VALU_DEP_1) | instskip(NEXT) | instid1(VALU_DEP_1)
	v_clz_i32_u32_e32 v32, v32
	v_min_u32_e32 v116, 32, v32
	s_delay_alu instid0(VALU_DEP_1) | instskip(SKIP_1) | instid1(VALU_DEP_2)
	v_subrev_nc_u32_e32 v32, 28, v116
	v_sub_nc_u32_e32 v116, 29, v116
	v_lshlrev_b64 v[32:33], v32, v[8:9]
; %bb.240:                              ;   in Loop: Header=BB363_11 Depth=1
	s_or_b32 exec_lo, exec_lo, s20
	v_lshlrev_b32_e32 v33, 8, v31
	s_delay_alu instid0(VALU_DEP_3) | instskip(NEXT) | instid1(VALU_DEP_3)
	v_lshl_add_u32 v116, v116, 10, 0x2000
	v_lshlrev_b32_e32 v32, 7, v32
	s_delay_alu instid0(VALU_DEP_2) | instskip(NEXT) | instid1(VALU_DEP_1)
	v_and_or_b32 v33, 0x8000, v33, v116
	v_and_or_b32 v32, 0x380, v32, v33
	s_delay_alu instid0(VALU_DEP_1)
	v_cvt_f32_f16_e32 v116, v32
.LBB363_241:                            ;   in Loop: Header=BB363_11 Depth=1
	s_or_b32 exec_lo, exec_lo, s19
.LBB363_242:                            ;   in Loop: Header=BB363_11 Depth=1
	s_delay_alu instid0(SALU_CYCLE_1)
	s_or_b32 exec_lo, exec_lo, s18
.LBB363_243:                            ;   in Loop: Header=BB363_11 Depth=1
	s_delay_alu instid0(SALU_CYCLE_1) | instskip(SKIP_3) | instid1(VALU_DEP_2)
	s_or_b32 exec_lo, exec_lo, s2
	v_lshrrev_b16 v8, 8, v8
	v_dual_mov_b32 v118, 0 :: v_dual_mov_b32 v119, 0
	s_mov_b32 s2, exec_lo
	v_cmpx_ne_u16_e32 0, v8
	s_cbranch_execz .LBB363_251
; %bb.244:                              ;   in Loop: Header=BB363_11 Depth=1
	v_bfrev_b32_e32 v119, 1
	s_mov_b32 s18, exec_lo
	v_cmpx_ne_u16_e32 0x80, v8
	s_cbranch_execz .LBB363_250
; %bb.245:                              ;   in Loop: Header=BB363_11 Depth=1
	v_and_b32_e32 v128, 0xffff, v8
	v_mov_b32_e32 v119, 0x7fc02000
	s_mov_b32 s19, exec_lo
	s_delay_alu instid0(VALU_DEP_2) | instskip(NEXT) | instid1(VALU_DEP_1)
	v_and_b32_e32 v32, 0x7f, v128
	v_cmpx_ne_u32_e32 0x7f, v32
	s_cbranch_execz .LBB363_249
; %bb.246:                              ;   in Loop: Header=BB363_11 Depth=1
	v_and_b32_e32 v8, 7, v128
	v_lshrrev_b32_e32 v119, 3, v32
	v_cmp_gt_u32_e64 s1, 8, v32
	s_delay_alu instid0(VALU_DEP_3) | instskip(NEXT) | instid1(VALU_DEP_2)
	v_dual_mov_b32 v33, v9 :: v_dual_mov_b32 v32, v8
	s_and_saveexec_b32 s20, s1
; %bb.247:                              ;   in Loop: Header=BB363_11 Depth=1
	v_clz_i32_u32_e32 v32, v8
	s_delay_alu instid0(VALU_DEP_1) | instskip(NEXT) | instid1(VALU_DEP_1)
	v_min_u32_e32 v119, 32, v32
	v_subrev_nc_u32_e32 v32, 28, v119
	v_sub_nc_u32_e32 v119, 29, v119
	s_delay_alu instid0(VALU_DEP_2) | instskip(NEXT) | instid1(VALU_DEP_1)
	v_lshlrev_b64 v[32:33], v32, v[8:9]
	v_and_b32_e32 v32, 7, v32
; %bb.248:                              ;   in Loop: Header=BB363_11 Depth=1
	s_or_b32 exec_lo, exec_lo, s20
	v_lshlrev_b32_e32 v8, 8, v128
	v_lshl_add_u32 v33, v119, 10, 0x2000
	s_delay_alu instid0(VALU_DEP_1) | instskip(NEXT) | instid1(VALU_DEP_1)
	v_and_or_b32 v8, 0x8000, v8, v33
	v_lshl_or_b32 v8, v32, 7, v8
	s_delay_alu instid0(VALU_DEP_1)
	v_cvt_f32_f16_e32 v119, v8
.LBB363_249:                            ;   in Loop: Header=BB363_11 Depth=1
	s_or_b32 exec_lo, exec_lo, s19
.LBB363_250:                            ;   in Loop: Header=BB363_11 Depth=1
	s_delay_alu instid0(SALU_CYCLE_1)
	s_or_b32 exec_lo, exec_lo, s18
.LBB363_251:                            ;   in Loop: Header=BB363_11 Depth=1
	s_delay_alu instid0(SALU_CYCLE_1) | instskip(SKIP_2) | instid1(VALU_DEP_1)
	s_or_b32 exec_lo, exec_lo, s2
	v_lshrrev_b32_e32 v128, 16, v31
	s_mov_b32 s2, exec_lo
	v_and_b32_e32 v8, 0xff, v128
	s_delay_alu instid0(VALU_DEP_1)
	v_cmpx_ne_u16_e32 0, v8
	s_cbranch_execz .LBB363_259
; %bb.252:                              ;   in Loop: Header=BB363_11 Depth=1
	v_bfrev_b32_e32 v118, 1
	s_mov_b32 s18, exec_lo
	v_cmpx_ne_u16_e32 0x80, v8
	s_cbranch_execz .LBB363_258
; %bb.253:                              ;   in Loop: Header=BB363_11 Depth=1
	v_bfe_u32 v32, v31, 16, 7
	v_mov_b32_e32 v118, 0x7fc02000
	s_mov_b32 s19, exec_lo
	s_delay_alu instid0(VALU_DEP_2)
	v_cmpx_ne_u32_e32 0x7f, v32
	s_cbranch_execz .LBB363_257
; %bb.254:                              ;   in Loop: Header=BB363_11 Depth=1
	v_and_b32_e32 v8, 7, v128
	v_lshrrev_b32_e32 v118, 3, v32
	v_cmp_gt_u32_e64 s1, 8, v32
	s_delay_alu instid0(VALU_DEP_3) | instskip(NEXT) | instid1(VALU_DEP_2)
	v_dual_mov_b32 v33, v9 :: v_dual_mov_b32 v32, v8
	s_and_saveexec_b32 s20, s1
; %bb.255:                              ;   in Loop: Header=BB363_11 Depth=1
	v_clz_i32_u32_e32 v32, v8
	s_delay_alu instid0(VALU_DEP_1) | instskip(NEXT) | instid1(VALU_DEP_1)
	v_min_u32_e32 v118, 32, v32
	v_subrev_nc_u32_e32 v32, 28, v118
	v_sub_nc_u32_e32 v118, 29, v118
	s_delay_alu instid0(VALU_DEP_2) | instskip(NEXT) | instid1(VALU_DEP_1)
	v_lshlrev_b64 v[32:33], v32, v[8:9]
	v_and_b32_e32 v32, 7, v32
; %bb.256:                              ;   in Loop: Header=BB363_11 Depth=1
	s_or_b32 exec_lo, exec_lo, s20
	v_lshlrev_b32_e32 v8, 8, v128
	v_lshl_add_u32 v33, v118, 10, 0x2000
	s_delay_alu instid0(VALU_DEP_1) | instskip(NEXT) | instid1(VALU_DEP_1)
	v_and_or_b32 v8, 0x8000, v8, v33
	v_lshl_or_b32 v8, v32, 7, v8
	s_delay_alu instid0(VALU_DEP_1)
	v_cvt_f32_f16_e32 v118, v8
.LBB363_257:                            ;   in Loop: Header=BB363_11 Depth=1
	s_or_b32 exec_lo, exec_lo, s19
.LBB363_258:                            ;   in Loop: Header=BB363_11 Depth=1
	s_delay_alu instid0(SALU_CYCLE_1)
	s_or_b32 exec_lo, exec_lo, s18
.LBB363_259:                            ;   in Loop: Header=BB363_11 Depth=1
	s_delay_alu instid0(SALU_CYCLE_1)
	s_or_b32 exec_lo, exec_lo, s2
	v_dual_mov_b32 v128, 0 :: v_dual_mov_b32 v129, 0
	s_mov_b32 s2, exec_lo
	v_cmpx_lt_u64_e64 s[8:9], v[30:31]
	s_cbranch_execz .LBB363_267
; %bb.260:                              ;   in Loop: Header=BB363_11 Depth=1
	v_lshrrev_b32_e32 v32, 24, v31
	v_bfrev_b32_e32 v129, 1
	s_mov_b32 s18, exec_lo
	s_delay_alu instid0(VALU_DEP_2)
	v_cmpx_ne_u32_e32 0x80, v32
	s_cbranch_execz .LBB363_266
; %bb.261:                              ;   in Loop: Header=BB363_11 Depth=1
	v_and_b32_e32 v30, 0x7f, v32
	v_mov_b32_e32 v129, 0x7fc02000
	s_mov_b32 s19, exec_lo
	s_delay_alu instid0(VALU_DEP_2)
	v_cmpx_ne_u32_e32 0x7f, v30
	s_cbranch_execz .LBB363_265
; %bb.262:                              ;   in Loop: Header=BB363_11 Depth=1
	v_and_b32_e32 v8, 7, v32
	v_lshrrev_b32_e32 v33, 3, v30
	v_cmp_gt_u32_e64 s1, 8, v30
	s_delay_alu instid0(VALU_DEP_3) | instskip(NEXT) | instid1(VALU_DEP_2)
	v_dual_mov_b32 v31, v9 :: v_dual_mov_b32 v30, v8
	s_and_saveexec_b32 s20, s1
; %bb.263:                              ;   in Loop: Header=BB363_11 Depth=1
	v_clz_i32_u32_e32 v30, v8
	s_delay_alu instid0(VALU_DEP_1) | instskip(NEXT) | instid1(VALU_DEP_1)
	v_min_u32_e32 v33, 32, v30
	v_subrev_nc_u32_e32 v30, 28, v33
	v_sub_nc_u32_e32 v33, 29, v33
	s_delay_alu instid0(VALU_DEP_2) | instskip(NEXT) | instid1(VALU_DEP_1)
	v_lshlrev_b64 v[30:31], v30, v[8:9]
	v_and_b32_e32 v30, 7, v30
; %bb.264:                              ;   in Loop: Header=BB363_11 Depth=1
	s_or_b32 exec_lo, exec_lo, s20
	v_lshlrev_b32_e32 v8, 8, v32
	v_lshl_add_u32 v31, v33, 10, 0x2000
	s_delay_alu instid0(VALU_DEP_1) | instskip(NEXT) | instid1(VALU_DEP_1)
	v_and_or_b32 v8, 0x8000, v8, v31
	v_lshl_or_b32 v8, v30, 7, v8
	s_delay_alu instid0(VALU_DEP_1)
	v_cvt_f32_f16_e64 v129, v8
.LBB363_265:                            ;   in Loop: Header=BB363_11 Depth=1
	s_or_b32 exec_lo, exec_lo, s19
.LBB363_266:                            ;   in Loop: Header=BB363_11 Depth=1
	s_delay_alu instid0(SALU_CYCLE_1)
	s_or_b32 exec_lo, exec_lo, s18
.LBB363_267:                            ;   in Loop: Header=BB363_11 Depth=1
	s_delay_alu instid0(SALU_CYCLE_1) | instskip(SKIP_4) | instid1(VALU_DEP_1)
	s_or_b32 exec_lo, exec_lo, s2
	flat_load_b64 v[30:31], v[28:29] offset:1024
	s_mov_b32 s2, exec_lo
	s_waitcnt vmcnt(0) lgkmcnt(0)
	v_and_b32_e32 v8, 0xff, v30
	v_cmpx_ne_u16_e32 0, v8
	s_cbranch_execz .LBB363_275
; %bb.268:                              ;   in Loop: Header=BB363_11 Depth=1
	v_bfrev_b32_e32 v128, 1
	s_mov_b32 s18, exec_lo
	v_cmpx_ne_u16_e32 0x80, v8
	s_cbranch_execz .LBB363_274
; %bb.269:                              ;   in Loop: Header=BB363_11 Depth=1
	v_and_b32_e32 v32, 0x7f, v30
	v_mov_b32_e32 v128, 0x7fc02000
	s_mov_b32 s19, exec_lo
	s_delay_alu instid0(VALU_DEP_2)
	v_cmpx_ne_u32_e32 0x7f, v32
	s_cbranch_execz .LBB363_273
; %bb.270:                              ;   in Loop: Header=BB363_11 Depth=1
	v_lshrrev_b32_e32 v8, 3, v32
	v_cmp_gt_u32_e64 s1, 8, v32
	v_dual_mov_b32 v33, v31 :: v_dual_mov_b32 v32, v30
	s_delay_alu instid0(VALU_DEP_2)
	s_and_saveexec_b32 s20, s1
; %bb.271:                              ;   in Loop: Header=BB363_11 Depth=1
	v_and_b32_e32 v8, 7, v30
	s_delay_alu instid0(VALU_DEP_1) | instskip(NEXT) | instid1(VALU_DEP_1)
	v_clz_i32_u32_e32 v8, v8
	v_min_u32_e32 v8, 32, v8
	s_delay_alu instid0(VALU_DEP_1) | instskip(SKIP_1) | instid1(VALU_DEP_2)
	v_subrev_nc_u32_e32 v32, 28, v8
	v_sub_nc_u32_e32 v8, 29, v8
	v_lshlrev_b64 v[32:33], v32, v[30:31]
; %bb.272:                              ;   in Loop: Header=BB363_11 Depth=1
	s_or_b32 exec_lo, exec_lo, s20
	v_lshlrev_b32_e32 v33, 8, v30
	s_delay_alu instid0(VALU_DEP_3) | instskip(NEXT) | instid1(VALU_DEP_3)
	v_lshl_add_u32 v8, v8, 10, 0x2000
	v_lshlrev_b32_e32 v32, 7, v32
	s_delay_alu instid0(VALU_DEP_2) | instskip(NEXT) | instid1(VALU_DEP_1)
	v_and_or_b32 v8, 0x8000, v33, v8
	v_and_or_b32 v8, 0x380, v32, v8
	s_delay_alu instid0(VALU_DEP_1)
	v_cvt_f32_f16_e64 v128, v8
.LBB363_273:                            ;   in Loop: Header=BB363_11 Depth=1
	s_or_b32 exec_lo, exec_lo, s19
.LBB363_274:                            ;   in Loop: Header=BB363_11 Depth=1
	s_delay_alu instid0(SALU_CYCLE_1)
	s_or_b32 exec_lo, exec_lo, s18
.LBB363_275:                            ;   in Loop: Header=BB363_11 Depth=1
	s_delay_alu instid0(SALU_CYCLE_1) | instskip(SKIP_3) | instid1(VALU_DEP_2)
	s_or_b32 exec_lo, exec_lo, s2
	v_lshrrev_b16 v8, 8, v30
	v_dual_mov_b32 v130, 0 :: v_dual_mov_b32 v131, 0
	s_mov_b32 s2, exec_lo
	v_cmpx_ne_u16_e32 0, v8
	s_cbranch_execz .LBB363_283
; %bb.276:                              ;   in Loop: Header=BB363_11 Depth=1
	v_bfrev_b32_e32 v131, 1
	s_mov_b32 s18, exec_lo
	v_cmpx_ne_u16_e32 0x80, v8
	s_cbranch_execz .LBB363_282
; %bb.277:                              ;   in Loop: Header=BB363_11 Depth=1
	v_and_b32_e32 v132, 0xffff, v8
	v_mov_b32_e32 v131, 0x7fc02000
	s_mov_b32 s19, exec_lo
	s_delay_alu instid0(VALU_DEP_2) | instskip(NEXT) | instid1(VALU_DEP_1)
	v_and_b32_e32 v32, 0x7f, v132
	v_cmpx_ne_u32_e32 0x7f, v32
	s_cbranch_execz .LBB363_281
; %bb.278:                              ;   in Loop: Header=BB363_11 Depth=1
	v_and_b32_e32 v8, 7, v132
	v_lshrrev_b32_e32 v131, 3, v32
	v_cmp_gt_u32_e64 s1, 8, v32
	s_delay_alu instid0(VALU_DEP_3) | instskip(NEXT) | instid1(VALU_DEP_2)
	v_dual_mov_b32 v33, v9 :: v_dual_mov_b32 v32, v8
	s_and_saveexec_b32 s20, s1
; %bb.279:                              ;   in Loop: Header=BB363_11 Depth=1
	v_clz_i32_u32_e32 v32, v8
	s_delay_alu instid0(VALU_DEP_1) | instskip(NEXT) | instid1(VALU_DEP_1)
	v_min_u32_e32 v131, 32, v32
	v_subrev_nc_u32_e32 v32, 28, v131
	v_sub_nc_u32_e32 v131, 29, v131
	s_delay_alu instid0(VALU_DEP_2) | instskip(NEXT) | instid1(VALU_DEP_1)
	v_lshlrev_b64 v[32:33], v32, v[8:9]
	v_and_b32_e32 v32, 7, v32
; %bb.280:                              ;   in Loop: Header=BB363_11 Depth=1
	s_or_b32 exec_lo, exec_lo, s20
	v_lshlrev_b32_e32 v8, 8, v132
	v_lshl_add_u32 v33, v131, 10, 0x2000
	s_delay_alu instid0(VALU_DEP_1) | instskip(NEXT) | instid1(VALU_DEP_1)
	v_and_or_b32 v8, 0x8000, v8, v33
	v_lshl_or_b32 v8, v32, 7, v8
	s_delay_alu instid0(VALU_DEP_1)
	v_cvt_f32_f16_e64 v131, v8
.LBB363_281:                            ;   in Loop: Header=BB363_11 Depth=1
	s_or_b32 exec_lo, exec_lo, s19
.LBB363_282:                            ;   in Loop: Header=BB363_11 Depth=1
	s_delay_alu instid0(SALU_CYCLE_1)
	s_or_b32 exec_lo, exec_lo, s18
.LBB363_283:                            ;   in Loop: Header=BB363_11 Depth=1
	s_delay_alu instid0(SALU_CYCLE_1) | instskip(SKIP_2) | instid1(VALU_DEP_1)
	s_or_b32 exec_lo, exec_lo, s2
	v_lshrrev_b32_e32 v132, 16, v30
	s_mov_b32 s2, exec_lo
	v_and_b32_e32 v8, 0xff, v132
	s_delay_alu instid0(VALU_DEP_1)
	v_cmpx_ne_u16_e32 0, v8
	s_cbranch_execz .LBB363_291
; %bb.284:                              ;   in Loop: Header=BB363_11 Depth=1
	v_bfrev_b32_e32 v130, 1
	s_mov_b32 s18, exec_lo
	v_cmpx_ne_u16_e32 0x80, v8
	s_cbranch_execz .LBB363_290
; %bb.285:                              ;   in Loop: Header=BB363_11 Depth=1
	v_bfe_u32 v32, v30, 16, 7
	v_mov_b32_e32 v130, 0x7fc02000
	s_mov_b32 s19, exec_lo
	s_delay_alu instid0(VALU_DEP_2)
	v_cmpx_ne_u32_e32 0x7f, v32
	s_cbranch_execz .LBB363_289
; %bb.286:                              ;   in Loop: Header=BB363_11 Depth=1
	v_and_b32_e32 v8, 7, v132
	v_lshrrev_b32_e32 v130, 3, v32
	v_cmp_gt_u32_e64 s1, 8, v32
	s_delay_alu instid0(VALU_DEP_3) | instskip(NEXT) | instid1(VALU_DEP_2)
	v_dual_mov_b32 v33, v9 :: v_dual_mov_b32 v32, v8
	s_and_saveexec_b32 s20, s1
; %bb.287:                              ;   in Loop: Header=BB363_11 Depth=1
	v_clz_i32_u32_e32 v32, v8
	s_delay_alu instid0(VALU_DEP_1) | instskip(NEXT) | instid1(VALU_DEP_1)
	v_min_u32_e32 v130, 32, v32
	v_subrev_nc_u32_e32 v32, 28, v130
	v_sub_nc_u32_e32 v130, 29, v130
	s_delay_alu instid0(VALU_DEP_2) | instskip(NEXT) | instid1(VALU_DEP_1)
	v_lshlrev_b64 v[32:33], v32, v[8:9]
	v_and_b32_e32 v32, 7, v32
; %bb.288:                              ;   in Loop: Header=BB363_11 Depth=1
	s_or_b32 exec_lo, exec_lo, s20
	v_lshlrev_b32_e32 v8, 8, v132
	v_lshl_add_u32 v33, v130, 10, 0x2000
	s_delay_alu instid0(VALU_DEP_1) | instskip(NEXT) | instid1(VALU_DEP_1)
	v_and_or_b32 v8, 0x8000, v8, v33
	v_lshl_or_b32 v8, v32, 7, v8
	s_delay_alu instid0(VALU_DEP_1)
	v_cvt_f32_f16_e64 v130, v8
.LBB363_289:                            ;   in Loop: Header=BB363_11 Depth=1
	s_or_b32 exec_lo, exec_lo, s19
.LBB363_290:                            ;   in Loop: Header=BB363_11 Depth=1
	s_delay_alu instid0(SALU_CYCLE_1)
	s_or_b32 exec_lo, exec_lo, s18
.LBB363_291:                            ;   in Loop: Header=BB363_11 Depth=1
	s_delay_alu instid0(SALU_CYCLE_1)
	s_or_b32 exec_lo, exec_lo, s2
	v_dual_mov_b32 v132, 0 :: v_dual_mov_b32 v133, 0
	s_mov_b32 s2, exec_lo
	v_cmpx_lt_u32_e32 0xffffff, v30
	s_cbranch_execz .LBB363_299
; %bb.292:                              ;   in Loop: Header=BB363_11 Depth=1
	v_lshrrev_b32_e32 v134, 24, v30
	v_bfrev_b32_e32 v133, 1
	s_mov_b32 s18, exec_lo
	s_delay_alu instid0(VALU_DEP_2)
	v_cmpx_ne_u32_e32 0x80, v134
	s_cbranch_execz .LBB363_298
; %bb.293:                              ;   in Loop: Header=BB363_11 Depth=1
	v_and_b32_e32 v32, 0x7f, v134
	v_mov_b32_e32 v133, 0x7fc02000
	s_mov_b32 s19, exec_lo
	s_delay_alu instid0(VALU_DEP_2)
	v_cmpx_ne_u32_e32 0x7f, v32
	s_cbranch_execz .LBB363_297
; %bb.294:                              ;   in Loop: Header=BB363_11 Depth=1
	v_and_b32_e32 v8, 7, v134
	v_lshrrev_b32_e32 v133, 3, v32
	v_cmp_gt_u32_e64 s1, 8, v32
	s_delay_alu instid0(VALU_DEP_3) | instskip(NEXT) | instid1(VALU_DEP_2)
	v_dual_mov_b32 v33, v9 :: v_dual_mov_b32 v32, v8
	s_and_saveexec_b32 s20, s1
; %bb.295:                              ;   in Loop: Header=BB363_11 Depth=1
	v_clz_i32_u32_e32 v32, v8
	s_delay_alu instid0(VALU_DEP_1) | instskip(NEXT) | instid1(VALU_DEP_1)
	v_min_u32_e32 v133, 32, v32
	v_subrev_nc_u32_e32 v32, 28, v133
	v_sub_nc_u32_e32 v133, 29, v133
	s_delay_alu instid0(VALU_DEP_2) | instskip(NEXT) | instid1(VALU_DEP_1)
	v_lshlrev_b64 v[32:33], v32, v[8:9]
	v_and_b32_e32 v32, 7, v32
; %bb.296:                              ;   in Loop: Header=BB363_11 Depth=1
	s_or_b32 exec_lo, exec_lo, s20
	v_lshlrev_b32_e32 v8, 8, v134
	v_lshl_add_u32 v33, v133, 10, 0x2000
	s_delay_alu instid0(VALU_DEP_1) | instskip(NEXT) | instid1(VALU_DEP_1)
	v_and_or_b32 v8, 0x8000, v8, v33
	v_lshl_or_b32 v8, v32, 7, v8
	s_delay_alu instid0(VALU_DEP_1)
	v_cvt_f32_f16_e64 v133, v8
.LBB363_297:                            ;   in Loop: Header=BB363_11 Depth=1
	s_or_b32 exec_lo, exec_lo, s19
.LBB363_298:                            ;   in Loop: Header=BB363_11 Depth=1
	s_delay_alu instid0(SALU_CYCLE_1)
	s_or_b32 exec_lo, exec_lo, s18
.LBB363_299:                            ;   in Loop: Header=BB363_11 Depth=1
	s_delay_alu instid0(SALU_CYCLE_1) | instskip(SKIP_3) | instid1(VALU_DEP_2)
	s_or_b32 exec_lo, exec_lo, s2
	v_and_b32_e32 v32, 0xff, v31
	v_mov_b32_e32 v8, v31
	s_mov_b32 s2, exec_lo
	v_cmpx_ne_u16_e32 0, v32
	s_cbranch_execz .LBB363_307
; %bb.300:                              ;   in Loop: Header=BB363_11 Depth=1
	v_bfrev_b32_e32 v132, 1
	s_mov_b32 s18, exec_lo
	v_cmpx_ne_u16_e32 0x80, v32
	s_cbranch_execz .LBB363_306
; %bb.301:                              ;   in Loop: Header=BB363_11 Depth=1
	v_and_b32_e32 v32, 0x7f, v31
	v_mov_b32_e32 v132, 0x7fc02000
	s_mov_b32 s19, exec_lo
	s_delay_alu instid0(VALU_DEP_2)
	v_cmpx_ne_u32_e32 0x7f, v32
	s_cbranch_execz .LBB363_305
; %bb.302:                              ;   in Loop: Header=BB363_11 Depth=1
	v_lshrrev_b32_e32 v132, 3, v32
	v_cmp_gt_u32_e64 s1, 8, v32
	v_dual_mov_b32 v33, v9 :: v_dual_mov_b32 v32, v8
	s_delay_alu instid0(VALU_DEP_2)
	s_and_saveexec_b32 s20, s1
; %bb.303:                              ;   in Loop: Header=BB363_11 Depth=1
	v_and_b32_e32 v32, 7, v31
	s_delay_alu instid0(VALU_DEP_1) | instskip(NEXT) | instid1(VALU_DEP_1)
	v_clz_i32_u32_e32 v32, v32
	v_min_u32_e32 v132, 32, v32
	s_delay_alu instid0(VALU_DEP_1) | instskip(SKIP_1) | instid1(VALU_DEP_2)
	v_subrev_nc_u32_e32 v32, 28, v132
	v_sub_nc_u32_e32 v132, 29, v132
	v_lshlrev_b64 v[32:33], v32, v[8:9]
; %bb.304:                              ;   in Loop: Header=BB363_11 Depth=1
	s_or_b32 exec_lo, exec_lo, s20
	v_lshlrev_b32_e32 v33, 8, v31
	s_delay_alu instid0(VALU_DEP_3) | instskip(NEXT) | instid1(VALU_DEP_3)
	v_lshl_add_u32 v132, v132, 10, 0x2000
	v_lshlrev_b32_e32 v32, 7, v32
	s_delay_alu instid0(VALU_DEP_2) | instskip(NEXT) | instid1(VALU_DEP_1)
	v_and_or_b32 v33, 0x8000, v33, v132
	v_and_or_b32 v32, 0x380, v32, v33
	s_delay_alu instid0(VALU_DEP_1)
	v_cvt_f32_f16_e64 v132, v32
.LBB363_305:                            ;   in Loop: Header=BB363_11 Depth=1
	s_or_b32 exec_lo, exec_lo, s19
.LBB363_306:                            ;   in Loop: Header=BB363_11 Depth=1
	s_delay_alu instid0(SALU_CYCLE_1)
	s_or_b32 exec_lo, exec_lo, s18
.LBB363_307:                            ;   in Loop: Header=BB363_11 Depth=1
	s_delay_alu instid0(SALU_CYCLE_1) | instskip(SKIP_3) | instid1(VALU_DEP_2)
	s_or_b32 exec_lo, exec_lo, s2
	v_lshrrev_b16 v8, 8, v8
	v_dual_mov_b32 v134, 0 :: v_dual_mov_b32 v135, 0
	s_mov_b32 s2, exec_lo
	v_cmpx_ne_u16_e32 0, v8
	s_cbranch_execz .LBB363_315
; %bb.308:                              ;   in Loop: Header=BB363_11 Depth=1
	v_bfrev_b32_e32 v135, 1
	s_mov_b32 s18, exec_lo
	v_cmpx_ne_u16_e32 0x80, v8
	s_cbranch_execz .LBB363_314
; %bb.309:                              ;   in Loop: Header=BB363_11 Depth=1
	v_and_b32_e32 v144, 0xffff, v8
	v_mov_b32_e32 v135, 0x7fc02000
	s_mov_b32 s19, exec_lo
	s_delay_alu instid0(VALU_DEP_2) | instskip(NEXT) | instid1(VALU_DEP_1)
	v_and_b32_e32 v32, 0x7f, v144
	v_cmpx_ne_u32_e32 0x7f, v32
	s_cbranch_execz .LBB363_313
; %bb.310:                              ;   in Loop: Header=BB363_11 Depth=1
	v_and_b32_e32 v8, 7, v144
	v_lshrrev_b32_e32 v135, 3, v32
	v_cmp_gt_u32_e64 s1, 8, v32
	s_delay_alu instid0(VALU_DEP_3) | instskip(NEXT) | instid1(VALU_DEP_2)
	v_dual_mov_b32 v33, v9 :: v_dual_mov_b32 v32, v8
	s_and_saveexec_b32 s20, s1
; %bb.311:                              ;   in Loop: Header=BB363_11 Depth=1
	v_clz_i32_u32_e32 v32, v8
	s_delay_alu instid0(VALU_DEP_1) | instskip(NEXT) | instid1(VALU_DEP_1)
	v_min_u32_e32 v135, 32, v32
	v_subrev_nc_u32_e32 v32, 28, v135
	v_sub_nc_u32_e32 v135, 29, v135
	s_delay_alu instid0(VALU_DEP_2) | instskip(NEXT) | instid1(VALU_DEP_1)
	v_lshlrev_b64 v[32:33], v32, v[8:9]
	v_and_b32_e32 v32, 7, v32
; %bb.312:                              ;   in Loop: Header=BB363_11 Depth=1
	s_or_b32 exec_lo, exec_lo, s20
	v_lshlrev_b32_e32 v8, 8, v144
	v_lshl_add_u32 v33, v135, 10, 0x2000
	s_delay_alu instid0(VALU_DEP_1) | instskip(NEXT) | instid1(VALU_DEP_1)
	v_and_or_b32 v8, 0x8000, v8, v33
	v_lshl_or_b32 v8, v32, 7, v8
	s_delay_alu instid0(VALU_DEP_1)
	v_cvt_f32_f16_e64 v135, v8
.LBB363_313:                            ;   in Loop: Header=BB363_11 Depth=1
	s_or_b32 exec_lo, exec_lo, s19
.LBB363_314:                            ;   in Loop: Header=BB363_11 Depth=1
	s_delay_alu instid0(SALU_CYCLE_1)
	s_or_b32 exec_lo, exec_lo, s18
.LBB363_315:                            ;   in Loop: Header=BB363_11 Depth=1
	s_delay_alu instid0(SALU_CYCLE_1) | instskip(SKIP_2) | instid1(VALU_DEP_1)
	s_or_b32 exec_lo, exec_lo, s2
	v_lshrrev_b32_e32 v144, 16, v31
	s_mov_b32 s2, exec_lo
	v_and_b32_e32 v8, 0xff, v144
	s_delay_alu instid0(VALU_DEP_1)
	v_cmpx_ne_u16_e32 0, v8
	s_cbranch_execz .LBB363_323
; %bb.316:                              ;   in Loop: Header=BB363_11 Depth=1
	v_bfrev_b32_e32 v134, 1
	s_mov_b32 s18, exec_lo
	v_cmpx_ne_u16_e32 0x80, v8
	s_cbranch_execz .LBB363_322
; %bb.317:                              ;   in Loop: Header=BB363_11 Depth=1
	v_bfe_u32 v32, v31, 16, 7
	v_mov_b32_e32 v134, 0x7fc02000
	s_mov_b32 s19, exec_lo
	s_delay_alu instid0(VALU_DEP_2)
	v_cmpx_ne_u32_e32 0x7f, v32
	s_cbranch_execz .LBB363_321
; %bb.318:                              ;   in Loop: Header=BB363_11 Depth=1
	v_and_b32_e32 v8, 7, v144
	v_lshrrev_b32_e32 v134, 3, v32
	v_cmp_gt_u32_e64 s1, 8, v32
	s_delay_alu instid0(VALU_DEP_3) | instskip(NEXT) | instid1(VALU_DEP_2)
	v_dual_mov_b32 v33, v9 :: v_dual_mov_b32 v32, v8
	s_and_saveexec_b32 s20, s1
; %bb.319:                              ;   in Loop: Header=BB363_11 Depth=1
	v_clz_i32_u32_e32 v32, v8
	s_delay_alu instid0(VALU_DEP_1) | instskip(NEXT) | instid1(VALU_DEP_1)
	v_min_u32_e32 v134, 32, v32
	v_subrev_nc_u32_e32 v32, 28, v134
	v_sub_nc_u32_e32 v134, 29, v134
	s_delay_alu instid0(VALU_DEP_2) | instskip(NEXT) | instid1(VALU_DEP_1)
	v_lshlrev_b64 v[32:33], v32, v[8:9]
	v_and_b32_e32 v32, 7, v32
; %bb.320:                              ;   in Loop: Header=BB363_11 Depth=1
	s_or_b32 exec_lo, exec_lo, s20
	v_lshlrev_b32_e32 v8, 8, v144
	v_lshl_add_u32 v33, v134, 10, 0x2000
	s_delay_alu instid0(VALU_DEP_1) | instskip(NEXT) | instid1(VALU_DEP_1)
	v_and_or_b32 v8, 0x8000, v8, v33
	v_lshl_or_b32 v8, v32, 7, v8
	s_delay_alu instid0(VALU_DEP_1)
	v_cvt_f32_f16_e64 v134, v8
.LBB363_321:                            ;   in Loop: Header=BB363_11 Depth=1
	s_or_b32 exec_lo, exec_lo, s19
.LBB363_322:                            ;   in Loop: Header=BB363_11 Depth=1
	s_delay_alu instid0(SALU_CYCLE_1)
	s_or_b32 exec_lo, exec_lo, s18
.LBB363_323:                            ;   in Loop: Header=BB363_11 Depth=1
	s_delay_alu instid0(SALU_CYCLE_1)
	s_or_b32 exec_lo, exec_lo, s2
	v_dual_mov_b32 v144, 0 :: v_dual_mov_b32 v145, 0
	s_mov_b32 s2, exec_lo
	v_cmpx_lt_u64_e64 s[8:9], v[30:31]
	s_cbranch_execz .LBB363_331
; %bb.324:                              ;   in Loop: Header=BB363_11 Depth=1
	v_lshrrev_b32_e32 v32, 24, v31
	v_bfrev_b32_e32 v145, 1
	s_mov_b32 s18, exec_lo
	s_delay_alu instid0(VALU_DEP_2)
	v_cmpx_ne_u32_e32 0x80, v32
	s_cbranch_execz .LBB363_330
; %bb.325:                              ;   in Loop: Header=BB363_11 Depth=1
	v_and_b32_e32 v30, 0x7f, v32
	v_mov_b32_e32 v145, 0x7fc02000
	s_mov_b32 s19, exec_lo
	s_delay_alu instid0(VALU_DEP_2)
	v_cmpx_ne_u32_e32 0x7f, v30
	s_cbranch_execz .LBB363_329
; %bb.326:                              ;   in Loop: Header=BB363_11 Depth=1
	v_and_b32_e32 v8, 7, v32
	v_lshrrev_b32_e32 v33, 3, v30
	v_cmp_gt_u32_e64 s1, 8, v30
	s_delay_alu instid0(VALU_DEP_3) | instskip(NEXT) | instid1(VALU_DEP_2)
	v_dual_mov_b32 v31, v9 :: v_dual_mov_b32 v30, v8
	s_and_saveexec_b32 s20, s1
; %bb.327:                              ;   in Loop: Header=BB363_11 Depth=1
	v_clz_i32_u32_e32 v30, v8
	s_delay_alu instid0(VALU_DEP_1) | instskip(NEXT) | instid1(VALU_DEP_1)
	v_min_u32_e32 v33, 32, v30
	v_subrev_nc_u32_e32 v30, 28, v33
	v_sub_nc_u32_e32 v33, 29, v33
	s_delay_alu instid0(VALU_DEP_2) | instskip(NEXT) | instid1(VALU_DEP_1)
	v_lshlrev_b64 v[30:31], v30, v[8:9]
	v_and_b32_e32 v30, 7, v30
; %bb.328:                              ;   in Loop: Header=BB363_11 Depth=1
	s_or_b32 exec_lo, exec_lo, s20
	v_lshlrev_b32_e32 v8, 8, v32
	v_lshl_add_u32 v31, v33, 10, 0x2000
	s_delay_alu instid0(VALU_DEP_1) | instskip(NEXT) | instid1(VALU_DEP_1)
	v_and_or_b32 v8, 0x8000, v8, v31
	v_lshl_or_b32 v8, v30, 7, v8
	s_delay_alu instid0(VALU_DEP_1)
	v_cvt_f32_f16_e64 v145, v8
.LBB363_329:                            ;   in Loop: Header=BB363_11 Depth=1
	s_or_b32 exec_lo, exec_lo, s19
.LBB363_330:                            ;   in Loop: Header=BB363_11 Depth=1
	s_delay_alu instid0(SALU_CYCLE_1)
	s_or_b32 exec_lo, exec_lo, s18
.LBB363_331:                            ;   in Loop: Header=BB363_11 Depth=1
	s_delay_alu instid0(SALU_CYCLE_1) | instskip(SKIP_4) | instid1(VALU_DEP_1)
	s_or_b32 exec_lo, exec_lo, s2
	flat_load_b64 v[30:31], v[28:29] offset:1032
	s_mov_b32 s2, exec_lo
	s_waitcnt vmcnt(0) lgkmcnt(0)
	v_and_b32_e32 v8, 0xff, v30
	v_cmpx_ne_u16_e32 0, v8
	s_cbranch_execz .LBB363_339
; %bb.332:                              ;   in Loop: Header=BB363_11 Depth=1
	v_bfrev_b32_e32 v144, 1
	s_mov_b32 s18, exec_lo
	v_cmpx_ne_u16_e32 0x80, v8
	s_cbranch_execz .LBB363_338
; %bb.333:                              ;   in Loop: Header=BB363_11 Depth=1
	v_and_b32_e32 v32, 0x7f, v30
	v_mov_b32_e32 v144, 0x7fc02000
	s_mov_b32 s19, exec_lo
	s_delay_alu instid0(VALU_DEP_2)
	v_cmpx_ne_u32_e32 0x7f, v32
	s_cbranch_execz .LBB363_337
; %bb.334:                              ;   in Loop: Header=BB363_11 Depth=1
	v_lshrrev_b32_e32 v8, 3, v32
	v_cmp_gt_u32_e64 s1, 8, v32
	v_dual_mov_b32 v33, v31 :: v_dual_mov_b32 v32, v30
	s_delay_alu instid0(VALU_DEP_2)
	s_and_saveexec_b32 s20, s1
; %bb.335:                              ;   in Loop: Header=BB363_11 Depth=1
	v_and_b32_e32 v8, 7, v30
	s_delay_alu instid0(VALU_DEP_1) | instskip(NEXT) | instid1(VALU_DEP_1)
	v_clz_i32_u32_e32 v8, v8
	v_min_u32_e32 v8, 32, v8
	s_delay_alu instid0(VALU_DEP_1) | instskip(SKIP_1) | instid1(VALU_DEP_2)
	v_subrev_nc_u32_e32 v32, 28, v8
	v_sub_nc_u32_e32 v8, 29, v8
	v_lshlrev_b64 v[32:33], v32, v[30:31]
; %bb.336:                              ;   in Loop: Header=BB363_11 Depth=1
	s_or_b32 exec_lo, exec_lo, s20
	v_lshlrev_b32_e32 v33, 8, v30
	s_delay_alu instid0(VALU_DEP_3) | instskip(NEXT) | instid1(VALU_DEP_3)
	v_lshl_add_u32 v8, v8, 10, 0x2000
	v_lshlrev_b32_e32 v32, 7, v32
	s_delay_alu instid0(VALU_DEP_2) | instskip(NEXT) | instid1(VALU_DEP_1)
	v_and_or_b32 v8, 0x8000, v33, v8
	v_and_or_b32 v8, 0x380, v32, v8
	s_delay_alu instid0(VALU_DEP_1)
	v_cvt_f32_f16_e64 v144, v8
.LBB363_337:                            ;   in Loop: Header=BB363_11 Depth=1
	s_or_b32 exec_lo, exec_lo, s19
.LBB363_338:                            ;   in Loop: Header=BB363_11 Depth=1
	s_delay_alu instid0(SALU_CYCLE_1)
	s_or_b32 exec_lo, exec_lo, s18
.LBB363_339:                            ;   in Loop: Header=BB363_11 Depth=1
	s_delay_alu instid0(SALU_CYCLE_1) | instskip(SKIP_3) | instid1(VALU_DEP_2)
	s_or_b32 exec_lo, exec_lo, s2
	v_lshrrev_b16 v8, 8, v30
	v_dual_mov_b32 v146, 0 :: v_dual_mov_b32 v147, 0
	s_mov_b32 s2, exec_lo
	v_cmpx_ne_u16_e32 0, v8
	s_cbranch_execz .LBB363_347
; %bb.340:                              ;   in Loop: Header=BB363_11 Depth=1
	v_bfrev_b32_e32 v147, 1
	s_mov_b32 s18, exec_lo
	v_cmpx_ne_u16_e32 0x80, v8
	s_cbranch_execz .LBB363_346
; %bb.341:                              ;   in Loop: Header=BB363_11 Depth=1
	v_and_b32_e32 v148, 0xffff, v8
	v_mov_b32_e32 v147, 0x7fc02000
	s_mov_b32 s19, exec_lo
	s_delay_alu instid0(VALU_DEP_2) | instskip(NEXT) | instid1(VALU_DEP_1)
	v_and_b32_e32 v32, 0x7f, v148
	v_cmpx_ne_u32_e32 0x7f, v32
	s_cbranch_execz .LBB363_345
; %bb.342:                              ;   in Loop: Header=BB363_11 Depth=1
	v_and_b32_e32 v8, 7, v148
	v_lshrrev_b32_e32 v147, 3, v32
	v_cmp_gt_u32_e64 s1, 8, v32
	s_delay_alu instid0(VALU_DEP_3) | instskip(NEXT) | instid1(VALU_DEP_2)
	v_dual_mov_b32 v33, v9 :: v_dual_mov_b32 v32, v8
	s_and_saveexec_b32 s20, s1
; %bb.343:                              ;   in Loop: Header=BB363_11 Depth=1
	v_clz_i32_u32_e32 v32, v8
	s_delay_alu instid0(VALU_DEP_1) | instskip(NEXT) | instid1(VALU_DEP_1)
	v_min_u32_e32 v147, 32, v32
	v_subrev_nc_u32_e32 v32, 28, v147
	v_sub_nc_u32_e32 v147, 29, v147
	s_delay_alu instid0(VALU_DEP_2) | instskip(NEXT) | instid1(VALU_DEP_1)
	v_lshlrev_b64 v[32:33], v32, v[8:9]
	v_and_b32_e32 v32, 7, v32
; %bb.344:                              ;   in Loop: Header=BB363_11 Depth=1
	s_or_b32 exec_lo, exec_lo, s20
	v_lshlrev_b32_e32 v8, 8, v148
	v_lshl_add_u32 v33, v147, 10, 0x2000
	s_delay_alu instid0(VALU_DEP_1) | instskip(NEXT) | instid1(VALU_DEP_1)
	v_and_or_b32 v8, 0x8000, v8, v33
	v_lshl_or_b32 v8, v32, 7, v8
	s_delay_alu instid0(VALU_DEP_1)
	v_cvt_f32_f16_e64 v147, v8
.LBB363_345:                            ;   in Loop: Header=BB363_11 Depth=1
	s_or_b32 exec_lo, exec_lo, s19
.LBB363_346:                            ;   in Loop: Header=BB363_11 Depth=1
	s_delay_alu instid0(SALU_CYCLE_1)
	s_or_b32 exec_lo, exec_lo, s18
.LBB363_347:                            ;   in Loop: Header=BB363_11 Depth=1
	s_delay_alu instid0(SALU_CYCLE_1) | instskip(SKIP_2) | instid1(VALU_DEP_1)
	s_or_b32 exec_lo, exec_lo, s2
	v_lshrrev_b32_e32 v148, 16, v30
	s_mov_b32 s2, exec_lo
	v_and_b32_e32 v8, 0xff, v148
	s_delay_alu instid0(VALU_DEP_1)
	v_cmpx_ne_u16_e32 0, v8
	s_cbranch_execz .LBB363_355
; %bb.348:                              ;   in Loop: Header=BB363_11 Depth=1
	v_bfrev_b32_e32 v146, 1
	s_mov_b32 s18, exec_lo
	v_cmpx_ne_u16_e32 0x80, v8
	s_cbranch_execz .LBB363_354
; %bb.349:                              ;   in Loop: Header=BB363_11 Depth=1
	v_bfe_u32 v32, v30, 16, 7
	v_mov_b32_e32 v146, 0x7fc02000
	s_mov_b32 s19, exec_lo
	s_delay_alu instid0(VALU_DEP_2)
	v_cmpx_ne_u32_e32 0x7f, v32
	s_cbranch_execz .LBB363_353
; %bb.350:                              ;   in Loop: Header=BB363_11 Depth=1
	v_and_b32_e32 v8, 7, v148
	v_lshrrev_b32_e32 v146, 3, v32
	v_cmp_gt_u32_e64 s1, 8, v32
	s_delay_alu instid0(VALU_DEP_3) | instskip(NEXT) | instid1(VALU_DEP_2)
	v_dual_mov_b32 v33, v9 :: v_dual_mov_b32 v32, v8
	s_and_saveexec_b32 s20, s1
; %bb.351:                              ;   in Loop: Header=BB363_11 Depth=1
	v_clz_i32_u32_e32 v32, v8
	s_delay_alu instid0(VALU_DEP_1) | instskip(NEXT) | instid1(VALU_DEP_1)
	v_min_u32_e32 v146, 32, v32
	v_subrev_nc_u32_e32 v32, 28, v146
	v_sub_nc_u32_e32 v146, 29, v146
	s_delay_alu instid0(VALU_DEP_2) | instskip(NEXT) | instid1(VALU_DEP_1)
	v_lshlrev_b64 v[32:33], v32, v[8:9]
	v_and_b32_e32 v32, 7, v32
; %bb.352:                              ;   in Loop: Header=BB363_11 Depth=1
	s_or_b32 exec_lo, exec_lo, s20
	v_lshlrev_b32_e32 v8, 8, v148
	v_lshl_add_u32 v33, v146, 10, 0x2000
	s_delay_alu instid0(VALU_DEP_1) | instskip(NEXT) | instid1(VALU_DEP_1)
	v_and_or_b32 v8, 0x8000, v8, v33
	v_lshl_or_b32 v8, v32, 7, v8
	s_delay_alu instid0(VALU_DEP_1)
	v_cvt_f32_f16_e64 v146, v8
.LBB363_353:                            ;   in Loop: Header=BB363_11 Depth=1
	s_or_b32 exec_lo, exec_lo, s19
.LBB363_354:                            ;   in Loop: Header=BB363_11 Depth=1
	s_delay_alu instid0(SALU_CYCLE_1)
	s_or_b32 exec_lo, exec_lo, s18
.LBB363_355:                            ;   in Loop: Header=BB363_11 Depth=1
	s_delay_alu instid0(SALU_CYCLE_1)
	s_or_b32 exec_lo, exec_lo, s2
	v_dual_mov_b32 v148, 0 :: v_dual_mov_b32 v149, 0
	s_mov_b32 s2, exec_lo
	v_cmpx_lt_u32_e32 0xffffff, v30
	s_cbranch_execz .LBB363_363
; %bb.356:                              ;   in Loop: Header=BB363_11 Depth=1
	v_lshrrev_b32_e32 v150, 24, v30
	v_bfrev_b32_e32 v149, 1
	s_mov_b32 s18, exec_lo
	s_delay_alu instid0(VALU_DEP_2)
	v_cmpx_ne_u32_e32 0x80, v150
	s_cbranch_execz .LBB363_362
; %bb.357:                              ;   in Loop: Header=BB363_11 Depth=1
	v_and_b32_e32 v32, 0x7f, v150
	v_mov_b32_e32 v149, 0x7fc02000
	s_mov_b32 s19, exec_lo
	s_delay_alu instid0(VALU_DEP_2)
	v_cmpx_ne_u32_e32 0x7f, v32
	s_cbranch_execz .LBB363_361
; %bb.358:                              ;   in Loop: Header=BB363_11 Depth=1
	v_and_b32_e32 v8, 7, v150
	v_lshrrev_b32_e32 v149, 3, v32
	v_cmp_gt_u32_e64 s1, 8, v32
	s_delay_alu instid0(VALU_DEP_3) | instskip(NEXT) | instid1(VALU_DEP_2)
	v_dual_mov_b32 v33, v9 :: v_dual_mov_b32 v32, v8
	s_and_saveexec_b32 s20, s1
; %bb.359:                              ;   in Loop: Header=BB363_11 Depth=1
	v_clz_i32_u32_e32 v32, v8
	s_delay_alu instid0(VALU_DEP_1) | instskip(NEXT) | instid1(VALU_DEP_1)
	v_min_u32_e32 v149, 32, v32
	v_subrev_nc_u32_e32 v32, 28, v149
	v_sub_nc_u32_e32 v149, 29, v149
	s_delay_alu instid0(VALU_DEP_2) | instskip(NEXT) | instid1(VALU_DEP_1)
	v_lshlrev_b64 v[32:33], v32, v[8:9]
	v_and_b32_e32 v32, 7, v32
; %bb.360:                              ;   in Loop: Header=BB363_11 Depth=1
	s_or_b32 exec_lo, exec_lo, s20
	v_lshlrev_b32_e32 v8, 8, v150
	v_lshl_add_u32 v33, v149, 10, 0x2000
	s_delay_alu instid0(VALU_DEP_1) | instskip(NEXT) | instid1(VALU_DEP_1)
	v_and_or_b32 v8, 0x8000, v8, v33
	v_lshl_or_b32 v8, v32, 7, v8
	s_delay_alu instid0(VALU_DEP_1)
	v_cvt_f32_f16_e64 v149, v8
.LBB363_361:                            ;   in Loop: Header=BB363_11 Depth=1
	s_or_b32 exec_lo, exec_lo, s19
.LBB363_362:                            ;   in Loop: Header=BB363_11 Depth=1
	s_delay_alu instid0(SALU_CYCLE_1)
	s_or_b32 exec_lo, exec_lo, s18
.LBB363_363:                            ;   in Loop: Header=BB363_11 Depth=1
	s_delay_alu instid0(SALU_CYCLE_1) | instskip(SKIP_3) | instid1(VALU_DEP_2)
	s_or_b32 exec_lo, exec_lo, s2
	v_and_b32_e32 v32, 0xff, v31
	v_mov_b32_e32 v8, v31
	s_mov_b32 s2, exec_lo
	v_cmpx_ne_u16_e32 0, v32
	s_cbranch_execz .LBB363_371
; %bb.364:                              ;   in Loop: Header=BB363_11 Depth=1
	v_bfrev_b32_e32 v148, 1
	s_mov_b32 s18, exec_lo
	v_cmpx_ne_u16_e32 0x80, v32
	s_cbranch_execz .LBB363_370
; %bb.365:                              ;   in Loop: Header=BB363_11 Depth=1
	v_and_b32_e32 v32, 0x7f, v31
	v_mov_b32_e32 v148, 0x7fc02000
	s_mov_b32 s19, exec_lo
	s_delay_alu instid0(VALU_DEP_2)
	v_cmpx_ne_u32_e32 0x7f, v32
	s_cbranch_execz .LBB363_369
; %bb.366:                              ;   in Loop: Header=BB363_11 Depth=1
	v_lshrrev_b32_e32 v148, 3, v32
	v_cmp_gt_u32_e64 s1, 8, v32
	v_dual_mov_b32 v33, v9 :: v_dual_mov_b32 v32, v8
	s_delay_alu instid0(VALU_DEP_2)
	s_and_saveexec_b32 s20, s1
; %bb.367:                              ;   in Loop: Header=BB363_11 Depth=1
	v_and_b32_e32 v32, 7, v31
	s_delay_alu instid0(VALU_DEP_1) | instskip(NEXT) | instid1(VALU_DEP_1)
	v_clz_i32_u32_e32 v32, v32
	v_min_u32_e32 v148, 32, v32
	s_delay_alu instid0(VALU_DEP_1) | instskip(SKIP_1) | instid1(VALU_DEP_2)
	v_subrev_nc_u32_e32 v32, 28, v148
	v_sub_nc_u32_e32 v148, 29, v148
	v_lshlrev_b64 v[32:33], v32, v[8:9]
; %bb.368:                              ;   in Loop: Header=BB363_11 Depth=1
	s_or_b32 exec_lo, exec_lo, s20
	v_lshlrev_b32_e32 v33, 8, v31
	s_delay_alu instid0(VALU_DEP_3) | instskip(NEXT) | instid1(VALU_DEP_3)
	v_lshl_add_u32 v148, v148, 10, 0x2000
	v_lshlrev_b32_e32 v32, 7, v32
	s_delay_alu instid0(VALU_DEP_2) | instskip(NEXT) | instid1(VALU_DEP_1)
	v_and_or_b32 v33, 0x8000, v33, v148
	v_and_or_b32 v32, 0x380, v32, v33
	s_delay_alu instid0(VALU_DEP_1)
	v_cvt_f32_f16_e64 v148, v32
.LBB363_369:                            ;   in Loop: Header=BB363_11 Depth=1
	s_or_b32 exec_lo, exec_lo, s19
.LBB363_370:                            ;   in Loop: Header=BB363_11 Depth=1
	s_delay_alu instid0(SALU_CYCLE_1)
	s_or_b32 exec_lo, exec_lo, s18
.LBB363_371:                            ;   in Loop: Header=BB363_11 Depth=1
	s_delay_alu instid0(SALU_CYCLE_1) | instskip(SKIP_3) | instid1(VALU_DEP_2)
	s_or_b32 exec_lo, exec_lo, s2
	v_lshrrev_b16 v8, 8, v8
	v_dual_mov_b32 v150, 0 :: v_dual_mov_b32 v151, 0
	s_mov_b32 s2, exec_lo
	v_cmpx_ne_u16_e32 0, v8
	s_cbranch_execz .LBB363_379
; %bb.372:                              ;   in Loop: Header=BB363_11 Depth=1
	v_bfrev_b32_e32 v151, 1
	s_mov_b32 s18, exec_lo
	v_cmpx_ne_u16_e32 0x80, v8
	s_cbranch_execz .LBB363_378
; %bb.373:                              ;   in Loop: Header=BB363_11 Depth=1
	v_and_b32_e32 v160, 0xffff, v8
	v_mov_b32_e32 v151, 0x7fc02000
	s_mov_b32 s19, exec_lo
	s_delay_alu instid0(VALU_DEP_2) | instskip(NEXT) | instid1(VALU_DEP_1)
	v_and_b32_e32 v32, 0x7f, v160
	v_cmpx_ne_u32_e32 0x7f, v32
	s_cbranch_execz .LBB363_377
; %bb.374:                              ;   in Loop: Header=BB363_11 Depth=1
	v_and_b32_e32 v8, 7, v160
	v_lshrrev_b32_e32 v151, 3, v32
	v_cmp_gt_u32_e64 s1, 8, v32
	s_delay_alu instid0(VALU_DEP_3) | instskip(NEXT) | instid1(VALU_DEP_2)
	v_dual_mov_b32 v33, v9 :: v_dual_mov_b32 v32, v8
	s_and_saveexec_b32 s20, s1
; %bb.375:                              ;   in Loop: Header=BB363_11 Depth=1
	v_clz_i32_u32_e32 v32, v8
	s_delay_alu instid0(VALU_DEP_1) | instskip(NEXT) | instid1(VALU_DEP_1)
	v_min_u32_e32 v151, 32, v32
	v_subrev_nc_u32_e32 v32, 28, v151
	v_sub_nc_u32_e32 v151, 29, v151
	s_delay_alu instid0(VALU_DEP_2) | instskip(NEXT) | instid1(VALU_DEP_1)
	v_lshlrev_b64 v[32:33], v32, v[8:9]
	v_and_b32_e32 v32, 7, v32
; %bb.376:                              ;   in Loop: Header=BB363_11 Depth=1
	s_or_b32 exec_lo, exec_lo, s20
	v_lshlrev_b32_e32 v8, 8, v160
	v_lshl_add_u32 v33, v151, 10, 0x2000
	s_delay_alu instid0(VALU_DEP_1) | instskip(NEXT) | instid1(VALU_DEP_1)
	v_and_or_b32 v8, 0x8000, v8, v33
	v_lshl_or_b32 v8, v32, 7, v8
	s_delay_alu instid0(VALU_DEP_1)
	v_cvt_f32_f16_e64 v151, v8
.LBB363_377:                            ;   in Loop: Header=BB363_11 Depth=1
	s_or_b32 exec_lo, exec_lo, s19
.LBB363_378:                            ;   in Loop: Header=BB363_11 Depth=1
	s_delay_alu instid0(SALU_CYCLE_1)
	s_or_b32 exec_lo, exec_lo, s18
.LBB363_379:                            ;   in Loop: Header=BB363_11 Depth=1
	s_delay_alu instid0(SALU_CYCLE_1) | instskip(SKIP_2) | instid1(VALU_DEP_1)
	s_or_b32 exec_lo, exec_lo, s2
	v_lshrrev_b32_e32 v160, 16, v31
	s_mov_b32 s2, exec_lo
	v_and_b32_e32 v8, 0xff, v160
	s_delay_alu instid0(VALU_DEP_1)
	v_cmpx_ne_u16_e32 0, v8
	s_cbranch_execz .LBB363_387
; %bb.380:                              ;   in Loop: Header=BB363_11 Depth=1
	v_bfrev_b32_e32 v150, 1
	s_mov_b32 s18, exec_lo
	v_cmpx_ne_u16_e32 0x80, v8
	s_cbranch_execz .LBB363_386
; %bb.381:                              ;   in Loop: Header=BB363_11 Depth=1
	v_bfe_u32 v32, v31, 16, 7
	v_mov_b32_e32 v150, 0x7fc02000
	s_mov_b32 s19, exec_lo
	s_delay_alu instid0(VALU_DEP_2)
	v_cmpx_ne_u32_e32 0x7f, v32
	s_cbranch_execz .LBB363_385
; %bb.382:                              ;   in Loop: Header=BB363_11 Depth=1
	v_and_b32_e32 v8, 7, v160
	v_lshrrev_b32_e32 v150, 3, v32
	v_cmp_gt_u32_e64 s1, 8, v32
	s_delay_alu instid0(VALU_DEP_3) | instskip(NEXT) | instid1(VALU_DEP_2)
	v_dual_mov_b32 v33, v9 :: v_dual_mov_b32 v32, v8
	s_and_saveexec_b32 s20, s1
; %bb.383:                              ;   in Loop: Header=BB363_11 Depth=1
	v_clz_i32_u32_e32 v32, v8
	s_delay_alu instid0(VALU_DEP_1) | instskip(NEXT) | instid1(VALU_DEP_1)
	v_min_u32_e32 v150, 32, v32
	v_subrev_nc_u32_e32 v32, 28, v150
	v_sub_nc_u32_e32 v150, 29, v150
	s_delay_alu instid0(VALU_DEP_2) | instskip(NEXT) | instid1(VALU_DEP_1)
	v_lshlrev_b64 v[32:33], v32, v[8:9]
	v_and_b32_e32 v32, 7, v32
; %bb.384:                              ;   in Loop: Header=BB363_11 Depth=1
	s_or_b32 exec_lo, exec_lo, s20
	v_lshlrev_b32_e32 v8, 8, v160
	v_lshl_add_u32 v33, v150, 10, 0x2000
	s_delay_alu instid0(VALU_DEP_1) | instskip(NEXT) | instid1(VALU_DEP_1)
	v_and_or_b32 v8, 0x8000, v8, v33
	v_lshl_or_b32 v8, v32, 7, v8
	s_delay_alu instid0(VALU_DEP_1)
	v_cvt_f32_f16_e64 v150, v8
.LBB363_385:                            ;   in Loop: Header=BB363_11 Depth=1
	s_or_b32 exec_lo, exec_lo, s19
.LBB363_386:                            ;   in Loop: Header=BB363_11 Depth=1
	s_delay_alu instid0(SALU_CYCLE_1)
	s_or_b32 exec_lo, exec_lo, s18
.LBB363_387:                            ;   in Loop: Header=BB363_11 Depth=1
	s_delay_alu instid0(SALU_CYCLE_1)
	s_or_b32 exec_lo, exec_lo, s2
	v_dual_mov_b32 v160, 0 :: v_dual_mov_b32 v161, 0
	s_mov_b32 s2, exec_lo
	v_cmpx_lt_u64_e64 s[8:9], v[30:31]
	s_cbranch_execz .LBB363_395
; %bb.388:                              ;   in Loop: Header=BB363_11 Depth=1
	v_lshrrev_b32_e32 v32, 24, v31
	v_bfrev_b32_e32 v161, 1
	s_mov_b32 s18, exec_lo
	s_delay_alu instid0(VALU_DEP_2)
	v_cmpx_ne_u32_e32 0x80, v32
	s_cbranch_execz .LBB363_394
; %bb.389:                              ;   in Loop: Header=BB363_11 Depth=1
	v_and_b32_e32 v30, 0x7f, v32
	v_mov_b32_e32 v161, 0x7fc02000
	s_mov_b32 s19, exec_lo
	s_delay_alu instid0(VALU_DEP_2)
	v_cmpx_ne_u32_e32 0x7f, v30
	s_cbranch_execz .LBB363_393
; %bb.390:                              ;   in Loop: Header=BB363_11 Depth=1
	v_and_b32_e32 v8, 7, v32
	v_lshrrev_b32_e32 v33, 3, v30
	v_cmp_gt_u32_e64 s1, 8, v30
	s_delay_alu instid0(VALU_DEP_3) | instskip(NEXT) | instid1(VALU_DEP_2)
	v_dual_mov_b32 v31, v9 :: v_dual_mov_b32 v30, v8
	s_and_saveexec_b32 s20, s1
; %bb.391:                              ;   in Loop: Header=BB363_11 Depth=1
	v_clz_i32_u32_e32 v30, v8
	s_delay_alu instid0(VALU_DEP_1) | instskip(NEXT) | instid1(VALU_DEP_1)
	v_min_u32_e32 v33, 32, v30
	v_subrev_nc_u32_e32 v30, 28, v33
	v_sub_nc_u32_e32 v33, 29, v33
	s_delay_alu instid0(VALU_DEP_2) | instskip(NEXT) | instid1(VALU_DEP_1)
	v_lshlrev_b64 v[30:31], v30, v[8:9]
	v_and_b32_e32 v30, 7, v30
; %bb.392:                              ;   in Loop: Header=BB363_11 Depth=1
	s_or_b32 exec_lo, exec_lo, s20
	v_lshlrev_b32_e32 v8, 8, v32
	v_lshl_add_u32 v31, v33, 10, 0x2000
	s_delay_alu instid0(VALU_DEP_1) | instskip(NEXT) | instid1(VALU_DEP_1)
	v_and_or_b32 v8, 0x8000, v8, v31
	v_lshl_or_b32 v8, v30, 7, v8
	s_delay_alu instid0(VALU_DEP_1)
	v_cvt_f32_f16_e64 v161, v8
.LBB363_393:                            ;   in Loop: Header=BB363_11 Depth=1
	s_or_b32 exec_lo, exec_lo, s19
.LBB363_394:                            ;   in Loop: Header=BB363_11 Depth=1
	s_delay_alu instid0(SALU_CYCLE_1)
	s_or_b32 exec_lo, exec_lo, s18
.LBB363_395:                            ;   in Loop: Header=BB363_11 Depth=1
	s_delay_alu instid0(SALU_CYCLE_1) | instskip(SKIP_4) | instid1(VALU_DEP_1)
	s_or_b32 exec_lo, exec_lo, s2
	flat_load_b64 v[30:31], v[28:29] offset:1536
	s_mov_b32 s2, exec_lo
	s_waitcnt vmcnt(0) lgkmcnt(0)
	v_and_b32_e32 v8, 0xff, v30
	v_cmpx_ne_u16_e32 0, v8
	s_cbranch_execz .LBB363_403
; %bb.396:                              ;   in Loop: Header=BB363_11 Depth=1
	v_bfrev_b32_e32 v160, 1
	s_mov_b32 s18, exec_lo
	v_cmpx_ne_u16_e32 0x80, v8
	s_cbranch_execz .LBB363_402
; %bb.397:                              ;   in Loop: Header=BB363_11 Depth=1
	v_and_b32_e32 v32, 0x7f, v30
	v_mov_b32_e32 v160, 0x7fc02000
	s_mov_b32 s19, exec_lo
	s_delay_alu instid0(VALU_DEP_2)
	v_cmpx_ne_u32_e32 0x7f, v32
	s_cbranch_execz .LBB363_401
; %bb.398:                              ;   in Loop: Header=BB363_11 Depth=1
	v_lshrrev_b32_e32 v8, 3, v32
	v_cmp_gt_u32_e64 s1, 8, v32
	v_dual_mov_b32 v33, v31 :: v_dual_mov_b32 v32, v30
	s_delay_alu instid0(VALU_DEP_2)
	s_and_saveexec_b32 s20, s1
; %bb.399:                              ;   in Loop: Header=BB363_11 Depth=1
	v_and_b32_e32 v8, 7, v30
	s_delay_alu instid0(VALU_DEP_1) | instskip(NEXT) | instid1(VALU_DEP_1)
	v_clz_i32_u32_e32 v8, v8
	v_min_u32_e32 v8, 32, v8
	s_delay_alu instid0(VALU_DEP_1) | instskip(SKIP_1) | instid1(VALU_DEP_2)
	v_subrev_nc_u32_e32 v32, 28, v8
	v_sub_nc_u32_e32 v8, 29, v8
	v_lshlrev_b64 v[32:33], v32, v[30:31]
; %bb.400:                              ;   in Loop: Header=BB363_11 Depth=1
	s_or_b32 exec_lo, exec_lo, s20
	v_lshlrev_b32_e32 v33, 8, v30
	s_delay_alu instid0(VALU_DEP_3) | instskip(NEXT) | instid1(VALU_DEP_3)
	v_lshl_add_u32 v8, v8, 10, 0x2000
	v_lshlrev_b32_e32 v32, 7, v32
	s_delay_alu instid0(VALU_DEP_2) | instskip(NEXT) | instid1(VALU_DEP_1)
	v_and_or_b32 v8, 0x8000, v33, v8
	v_and_or_b32 v8, 0x380, v32, v8
	s_delay_alu instid0(VALU_DEP_1)
	v_cvt_f32_f16_e64 v160, v8
.LBB363_401:                            ;   in Loop: Header=BB363_11 Depth=1
	s_or_b32 exec_lo, exec_lo, s19
.LBB363_402:                            ;   in Loop: Header=BB363_11 Depth=1
	s_delay_alu instid0(SALU_CYCLE_1)
	s_or_b32 exec_lo, exec_lo, s18
.LBB363_403:                            ;   in Loop: Header=BB363_11 Depth=1
	s_delay_alu instid0(SALU_CYCLE_1) | instskip(SKIP_3) | instid1(VALU_DEP_2)
	s_or_b32 exec_lo, exec_lo, s2
	v_lshrrev_b16 v8, 8, v30
	v_dual_mov_b32 v162, 0 :: v_dual_mov_b32 v163, 0
	s_mov_b32 s2, exec_lo
	v_cmpx_ne_u16_e32 0, v8
	s_cbranch_execz .LBB363_411
; %bb.404:                              ;   in Loop: Header=BB363_11 Depth=1
	v_bfrev_b32_e32 v163, 1
	s_mov_b32 s18, exec_lo
	v_cmpx_ne_u16_e32 0x80, v8
	s_cbranch_execz .LBB363_410
; %bb.405:                              ;   in Loop: Header=BB363_11 Depth=1
	v_and_b32_e32 v164, 0xffff, v8
	v_mov_b32_e32 v163, 0x7fc02000
	s_mov_b32 s19, exec_lo
	s_delay_alu instid0(VALU_DEP_2) | instskip(NEXT) | instid1(VALU_DEP_1)
	v_and_b32_e32 v32, 0x7f, v164
	v_cmpx_ne_u32_e32 0x7f, v32
	s_cbranch_execz .LBB363_409
; %bb.406:                              ;   in Loop: Header=BB363_11 Depth=1
	v_and_b32_e32 v8, 7, v164
	v_lshrrev_b32_e32 v163, 3, v32
	v_cmp_gt_u32_e64 s1, 8, v32
	s_delay_alu instid0(VALU_DEP_3) | instskip(NEXT) | instid1(VALU_DEP_2)
	v_dual_mov_b32 v33, v9 :: v_dual_mov_b32 v32, v8
	s_and_saveexec_b32 s20, s1
; %bb.407:                              ;   in Loop: Header=BB363_11 Depth=1
	v_clz_i32_u32_e32 v32, v8
	s_delay_alu instid0(VALU_DEP_1) | instskip(NEXT) | instid1(VALU_DEP_1)
	v_min_u32_e32 v163, 32, v32
	v_subrev_nc_u32_e32 v32, 28, v163
	v_sub_nc_u32_e32 v163, 29, v163
	s_delay_alu instid0(VALU_DEP_2) | instskip(NEXT) | instid1(VALU_DEP_1)
	v_lshlrev_b64 v[32:33], v32, v[8:9]
	v_and_b32_e32 v32, 7, v32
; %bb.408:                              ;   in Loop: Header=BB363_11 Depth=1
	s_or_b32 exec_lo, exec_lo, s20
	v_lshlrev_b32_e32 v8, 8, v164
	v_lshl_add_u32 v33, v163, 10, 0x2000
	s_delay_alu instid0(VALU_DEP_1) | instskip(NEXT) | instid1(VALU_DEP_1)
	v_and_or_b32 v8, 0x8000, v8, v33
	v_lshl_or_b32 v8, v32, 7, v8
	s_delay_alu instid0(VALU_DEP_1)
	v_cvt_f32_f16_e64 v163, v8
.LBB363_409:                            ;   in Loop: Header=BB363_11 Depth=1
	s_or_b32 exec_lo, exec_lo, s19
.LBB363_410:                            ;   in Loop: Header=BB363_11 Depth=1
	s_delay_alu instid0(SALU_CYCLE_1)
	s_or_b32 exec_lo, exec_lo, s18
.LBB363_411:                            ;   in Loop: Header=BB363_11 Depth=1
	s_delay_alu instid0(SALU_CYCLE_1) | instskip(SKIP_2) | instid1(VALU_DEP_1)
	s_or_b32 exec_lo, exec_lo, s2
	v_lshrrev_b32_e32 v164, 16, v30
	s_mov_b32 s2, exec_lo
	v_and_b32_e32 v8, 0xff, v164
	s_delay_alu instid0(VALU_DEP_1)
	v_cmpx_ne_u16_e32 0, v8
	s_cbranch_execz .LBB363_419
; %bb.412:                              ;   in Loop: Header=BB363_11 Depth=1
	v_bfrev_b32_e32 v162, 1
	s_mov_b32 s18, exec_lo
	v_cmpx_ne_u16_e32 0x80, v8
	s_cbranch_execz .LBB363_418
; %bb.413:                              ;   in Loop: Header=BB363_11 Depth=1
	v_bfe_u32 v32, v30, 16, 7
	v_mov_b32_e32 v162, 0x7fc02000
	s_mov_b32 s19, exec_lo
	s_delay_alu instid0(VALU_DEP_2)
	v_cmpx_ne_u32_e32 0x7f, v32
	s_cbranch_execz .LBB363_417
; %bb.414:                              ;   in Loop: Header=BB363_11 Depth=1
	v_and_b32_e32 v8, 7, v164
	v_lshrrev_b32_e32 v162, 3, v32
	v_cmp_gt_u32_e64 s1, 8, v32
	s_delay_alu instid0(VALU_DEP_3) | instskip(NEXT) | instid1(VALU_DEP_2)
	v_dual_mov_b32 v33, v9 :: v_dual_mov_b32 v32, v8
	s_and_saveexec_b32 s20, s1
; %bb.415:                              ;   in Loop: Header=BB363_11 Depth=1
	v_clz_i32_u32_e32 v32, v8
	s_delay_alu instid0(VALU_DEP_1) | instskip(NEXT) | instid1(VALU_DEP_1)
	v_min_u32_e32 v162, 32, v32
	v_subrev_nc_u32_e32 v32, 28, v162
	v_sub_nc_u32_e32 v162, 29, v162
	s_delay_alu instid0(VALU_DEP_2) | instskip(NEXT) | instid1(VALU_DEP_1)
	v_lshlrev_b64 v[32:33], v32, v[8:9]
	v_and_b32_e32 v32, 7, v32
; %bb.416:                              ;   in Loop: Header=BB363_11 Depth=1
	s_or_b32 exec_lo, exec_lo, s20
	v_lshlrev_b32_e32 v8, 8, v164
	v_lshl_add_u32 v33, v162, 10, 0x2000
	s_delay_alu instid0(VALU_DEP_1) | instskip(NEXT) | instid1(VALU_DEP_1)
	v_and_or_b32 v8, 0x8000, v8, v33
	v_lshl_or_b32 v8, v32, 7, v8
	s_delay_alu instid0(VALU_DEP_1)
	v_cvt_f32_f16_e64 v162, v8
.LBB363_417:                            ;   in Loop: Header=BB363_11 Depth=1
	s_or_b32 exec_lo, exec_lo, s19
.LBB363_418:                            ;   in Loop: Header=BB363_11 Depth=1
	s_delay_alu instid0(SALU_CYCLE_1)
	s_or_b32 exec_lo, exec_lo, s18
.LBB363_419:                            ;   in Loop: Header=BB363_11 Depth=1
	s_delay_alu instid0(SALU_CYCLE_1)
	s_or_b32 exec_lo, exec_lo, s2
	v_dual_mov_b32 v164, 0 :: v_dual_mov_b32 v165, 0
	s_mov_b32 s2, exec_lo
	v_cmpx_lt_u32_e32 0xffffff, v30
	s_cbranch_execz .LBB363_427
; %bb.420:                              ;   in Loop: Header=BB363_11 Depth=1
	v_lshrrev_b32_e32 v166, 24, v30
	v_bfrev_b32_e32 v165, 1
	s_mov_b32 s18, exec_lo
	s_delay_alu instid0(VALU_DEP_2)
	v_cmpx_ne_u32_e32 0x80, v166
	s_cbranch_execz .LBB363_426
; %bb.421:                              ;   in Loop: Header=BB363_11 Depth=1
	v_and_b32_e32 v32, 0x7f, v166
	v_mov_b32_e32 v165, 0x7fc02000
	s_mov_b32 s19, exec_lo
	s_delay_alu instid0(VALU_DEP_2)
	v_cmpx_ne_u32_e32 0x7f, v32
	s_cbranch_execz .LBB363_425
; %bb.422:                              ;   in Loop: Header=BB363_11 Depth=1
	v_and_b32_e32 v8, 7, v166
	v_lshrrev_b32_e32 v165, 3, v32
	v_cmp_gt_u32_e64 s1, 8, v32
	s_delay_alu instid0(VALU_DEP_3) | instskip(NEXT) | instid1(VALU_DEP_2)
	v_dual_mov_b32 v33, v9 :: v_dual_mov_b32 v32, v8
	s_and_saveexec_b32 s20, s1
; %bb.423:                              ;   in Loop: Header=BB363_11 Depth=1
	v_clz_i32_u32_e32 v32, v8
	s_delay_alu instid0(VALU_DEP_1) | instskip(NEXT) | instid1(VALU_DEP_1)
	v_min_u32_e32 v165, 32, v32
	v_subrev_nc_u32_e32 v32, 28, v165
	v_sub_nc_u32_e32 v165, 29, v165
	s_delay_alu instid0(VALU_DEP_2) | instskip(NEXT) | instid1(VALU_DEP_1)
	v_lshlrev_b64 v[32:33], v32, v[8:9]
	v_and_b32_e32 v32, 7, v32
; %bb.424:                              ;   in Loop: Header=BB363_11 Depth=1
	s_or_b32 exec_lo, exec_lo, s20
	v_lshlrev_b32_e32 v8, 8, v166
	v_lshl_add_u32 v33, v165, 10, 0x2000
	s_delay_alu instid0(VALU_DEP_1) | instskip(NEXT) | instid1(VALU_DEP_1)
	v_and_or_b32 v8, 0x8000, v8, v33
	v_lshl_or_b32 v8, v32, 7, v8
	s_delay_alu instid0(VALU_DEP_1)
	v_cvt_f32_f16_e64 v165, v8
.LBB363_425:                            ;   in Loop: Header=BB363_11 Depth=1
	s_or_b32 exec_lo, exec_lo, s19
.LBB363_426:                            ;   in Loop: Header=BB363_11 Depth=1
	s_delay_alu instid0(SALU_CYCLE_1)
	s_or_b32 exec_lo, exec_lo, s18
.LBB363_427:                            ;   in Loop: Header=BB363_11 Depth=1
	s_delay_alu instid0(SALU_CYCLE_1) | instskip(SKIP_3) | instid1(VALU_DEP_2)
	s_or_b32 exec_lo, exec_lo, s2
	v_and_b32_e32 v32, 0xff, v31
	v_mov_b32_e32 v8, v31
	s_mov_b32 s2, exec_lo
	v_cmpx_ne_u16_e32 0, v32
	s_cbranch_execz .LBB363_435
; %bb.428:                              ;   in Loop: Header=BB363_11 Depth=1
	v_bfrev_b32_e32 v164, 1
	s_mov_b32 s18, exec_lo
	v_cmpx_ne_u16_e32 0x80, v32
	s_cbranch_execz .LBB363_434
; %bb.429:                              ;   in Loop: Header=BB363_11 Depth=1
	v_and_b32_e32 v32, 0x7f, v31
	v_mov_b32_e32 v164, 0x7fc02000
	s_mov_b32 s19, exec_lo
	s_delay_alu instid0(VALU_DEP_2)
	v_cmpx_ne_u32_e32 0x7f, v32
	s_cbranch_execz .LBB363_433
; %bb.430:                              ;   in Loop: Header=BB363_11 Depth=1
	v_lshrrev_b32_e32 v164, 3, v32
	v_cmp_gt_u32_e64 s1, 8, v32
	v_dual_mov_b32 v33, v9 :: v_dual_mov_b32 v32, v8
	s_delay_alu instid0(VALU_DEP_2)
	s_and_saveexec_b32 s20, s1
; %bb.431:                              ;   in Loop: Header=BB363_11 Depth=1
	v_and_b32_e32 v32, 7, v31
	s_delay_alu instid0(VALU_DEP_1) | instskip(NEXT) | instid1(VALU_DEP_1)
	v_clz_i32_u32_e32 v32, v32
	v_min_u32_e32 v164, 32, v32
	s_delay_alu instid0(VALU_DEP_1) | instskip(SKIP_1) | instid1(VALU_DEP_2)
	v_subrev_nc_u32_e32 v32, 28, v164
	v_sub_nc_u32_e32 v164, 29, v164
	v_lshlrev_b64 v[32:33], v32, v[8:9]
; %bb.432:                              ;   in Loop: Header=BB363_11 Depth=1
	s_or_b32 exec_lo, exec_lo, s20
	v_lshlrev_b32_e32 v33, 8, v31
	s_delay_alu instid0(VALU_DEP_3) | instskip(NEXT) | instid1(VALU_DEP_3)
	v_lshl_add_u32 v164, v164, 10, 0x2000
	v_lshlrev_b32_e32 v32, 7, v32
	s_delay_alu instid0(VALU_DEP_2) | instskip(NEXT) | instid1(VALU_DEP_1)
	v_and_or_b32 v33, 0x8000, v33, v164
	v_and_or_b32 v32, 0x380, v32, v33
	s_delay_alu instid0(VALU_DEP_1)
	v_cvt_f32_f16_e64 v164, v32
.LBB363_433:                            ;   in Loop: Header=BB363_11 Depth=1
	s_or_b32 exec_lo, exec_lo, s19
.LBB363_434:                            ;   in Loop: Header=BB363_11 Depth=1
	s_delay_alu instid0(SALU_CYCLE_1)
	s_or_b32 exec_lo, exec_lo, s18
.LBB363_435:                            ;   in Loop: Header=BB363_11 Depth=1
	s_delay_alu instid0(SALU_CYCLE_1) | instskip(SKIP_3) | instid1(VALU_DEP_2)
	s_or_b32 exec_lo, exec_lo, s2
	v_lshrrev_b16 v8, 8, v8
	v_dual_mov_b32 v166, 0 :: v_dual_mov_b32 v167, 0
	s_mov_b32 s2, exec_lo
	v_cmpx_ne_u16_e32 0, v8
	s_cbranch_execz .LBB363_443
; %bb.436:                              ;   in Loop: Header=BB363_11 Depth=1
	v_bfrev_b32_e32 v167, 1
	s_mov_b32 s18, exec_lo
	v_cmpx_ne_u16_e32 0x80, v8
	s_cbranch_execz .LBB363_442
; %bb.437:                              ;   in Loop: Header=BB363_11 Depth=1
	v_and_b32_e32 v176, 0xffff, v8
	v_mov_b32_e32 v167, 0x7fc02000
	s_mov_b32 s19, exec_lo
	s_delay_alu instid0(VALU_DEP_2) | instskip(NEXT) | instid1(VALU_DEP_1)
	v_and_b32_e32 v32, 0x7f, v176
	v_cmpx_ne_u32_e32 0x7f, v32
	s_cbranch_execz .LBB363_441
; %bb.438:                              ;   in Loop: Header=BB363_11 Depth=1
	v_and_b32_e32 v8, 7, v176
	v_lshrrev_b32_e32 v167, 3, v32
	v_cmp_gt_u32_e64 s1, 8, v32
	s_delay_alu instid0(VALU_DEP_3) | instskip(NEXT) | instid1(VALU_DEP_2)
	v_dual_mov_b32 v33, v9 :: v_dual_mov_b32 v32, v8
	s_and_saveexec_b32 s20, s1
; %bb.439:                              ;   in Loop: Header=BB363_11 Depth=1
	v_clz_i32_u32_e32 v32, v8
	s_delay_alu instid0(VALU_DEP_1) | instskip(NEXT) | instid1(VALU_DEP_1)
	v_min_u32_e32 v167, 32, v32
	v_subrev_nc_u32_e32 v32, 28, v167
	v_sub_nc_u32_e32 v167, 29, v167
	s_delay_alu instid0(VALU_DEP_2) | instskip(NEXT) | instid1(VALU_DEP_1)
	v_lshlrev_b64 v[32:33], v32, v[8:9]
	v_and_b32_e32 v32, 7, v32
; %bb.440:                              ;   in Loop: Header=BB363_11 Depth=1
	s_or_b32 exec_lo, exec_lo, s20
	v_lshlrev_b32_e32 v8, 8, v176
	v_lshl_add_u32 v33, v167, 10, 0x2000
	s_delay_alu instid0(VALU_DEP_1) | instskip(NEXT) | instid1(VALU_DEP_1)
	v_and_or_b32 v8, 0x8000, v8, v33
	v_lshl_or_b32 v8, v32, 7, v8
	s_delay_alu instid0(VALU_DEP_1)
	v_cvt_f32_f16_e64 v167, v8
.LBB363_441:                            ;   in Loop: Header=BB363_11 Depth=1
	s_or_b32 exec_lo, exec_lo, s19
.LBB363_442:                            ;   in Loop: Header=BB363_11 Depth=1
	s_delay_alu instid0(SALU_CYCLE_1)
	s_or_b32 exec_lo, exec_lo, s18
.LBB363_443:                            ;   in Loop: Header=BB363_11 Depth=1
	s_delay_alu instid0(SALU_CYCLE_1) | instskip(SKIP_2) | instid1(VALU_DEP_1)
	s_or_b32 exec_lo, exec_lo, s2
	v_lshrrev_b32_e32 v176, 16, v31
	s_mov_b32 s2, exec_lo
	v_and_b32_e32 v8, 0xff, v176
	s_delay_alu instid0(VALU_DEP_1)
	v_cmpx_ne_u16_e32 0, v8
	s_cbranch_execz .LBB363_451
; %bb.444:                              ;   in Loop: Header=BB363_11 Depth=1
	v_bfrev_b32_e32 v166, 1
	s_mov_b32 s18, exec_lo
	v_cmpx_ne_u16_e32 0x80, v8
	s_cbranch_execz .LBB363_450
; %bb.445:                              ;   in Loop: Header=BB363_11 Depth=1
	v_bfe_u32 v32, v31, 16, 7
	v_mov_b32_e32 v166, 0x7fc02000
	s_mov_b32 s19, exec_lo
	s_delay_alu instid0(VALU_DEP_2)
	v_cmpx_ne_u32_e32 0x7f, v32
	s_cbranch_execz .LBB363_449
; %bb.446:                              ;   in Loop: Header=BB363_11 Depth=1
	v_and_b32_e32 v8, 7, v176
	v_lshrrev_b32_e32 v166, 3, v32
	v_cmp_gt_u32_e64 s1, 8, v32
	s_delay_alu instid0(VALU_DEP_3) | instskip(NEXT) | instid1(VALU_DEP_2)
	v_dual_mov_b32 v33, v9 :: v_dual_mov_b32 v32, v8
	s_and_saveexec_b32 s20, s1
; %bb.447:                              ;   in Loop: Header=BB363_11 Depth=1
	v_clz_i32_u32_e32 v32, v8
	s_delay_alu instid0(VALU_DEP_1) | instskip(NEXT) | instid1(VALU_DEP_1)
	v_min_u32_e32 v166, 32, v32
	v_subrev_nc_u32_e32 v32, 28, v166
	v_sub_nc_u32_e32 v166, 29, v166
	s_delay_alu instid0(VALU_DEP_2) | instskip(NEXT) | instid1(VALU_DEP_1)
	v_lshlrev_b64 v[32:33], v32, v[8:9]
	v_and_b32_e32 v32, 7, v32
; %bb.448:                              ;   in Loop: Header=BB363_11 Depth=1
	s_or_b32 exec_lo, exec_lo, s20
	v_lshlrev_b32_e32 v8, 8, v176
	v_lshl_add_u32 v33, v166, 10, 0x2000
	s_delay_alu instid0(VALU_DEP_1) | instskip(NEXT) | instid1(VALU_DEP_1)
	v_and_or_b32 v8, 0x8000, v8, v33
	v_lshl_or_b32 v8, v32, 7, v8
	s_delay_alu instid0(VALU_DEP_1)
	v_cvt_f32_f16_e64 v166, v8
.LBB363_449:                            ;   in Loop: Header=BB363_11 Depth=1
	s_or_b32 exec_lo, exec_lo, s19
.LBB363_450:                            ;   in Loop: Header=BB363_11 Depth=1
	s_delay_alu instid0(SALU_CYCLE_1)
	s_or_b32 exec_lo, exec_lo, s18
.LBB363_451:                            ;   in Loop: Header=BB363_11 Depth=1
	s_delay_alu instid0(SALU_CYCLE_1)
	s_or_b32 exec_lo, exec_lo, s2
	v_dual_mov_b32 v176, 0 :: v_dual_mov_b32 v177, 0
	s_mov_b32 s2, exec_lo
	v_cmpx_lt_u64_e64 s[8:9], v[30:31]
	s_cbranch_execz .LBB363_459
; %bb.452:                              ;   in Loop: Header=BB363_11 Depth=1
	v_lshrrev_b32_e32 v32, 24, v31
	v_bfrev_b32_e32 v177, 1
	s_mov_b32 s18, exec_lo
	s_delay_alu instid0(VALU_DEP_2)
	v_cmpx_ne_u32_e32 0x80, v32
	s_cbranch_execz .LBB363_458
; %bb.453:                              ;   in Loop: Header=BB363_11 Depth=1
	v_and_b32_e32 v30, 0x7f, v32
	v_mov_b32_e32 v177, 0x7fc02000
	s_mov_b32 s19, exec_lo
	s_delay_alu instid0(VALU_DEP_2)
	v_cmpx_ne_u32_e32 0x7f, v30
	s_cbranch_execz .LBB363_457
; %bb.454:                              ;   in Loop: Header=BB363_11 Depth=1
	v_and_b32_e32 v8, 7, v32
	v_lshrrev_b32_e32 v33, 3, v30
	v_cmp_gt_u32_e64 s1, 8, v30
	s_delay_alu instid0(VALU_DEP_3) | instskip(NEXT) | instid1(VALU_DEP_2)
	v_dual_mov_b32 v31, v9 :: v_dual_mov_b32 v30, v8
	s_and_saveexec_b32 s20, s1
; %bb.455:                              ;   in Loop: Header=BB363_11 Depth=1
	v_clz_i32_u32_e32 v30, v8
	s_delay_alu instid0(VALU_DEP_1) | instskip(NEXT) | instid1(VALU_DEP_1)
	v_min_u32_e32 v33, 32, v30
	v_subrev_nc_u32_e32 v30, 28, v33
	v_sub_nc_u32_e32 v33, 29, v33
	s_delay_alu instid0(VALU_DEP_2) | instskip(NEXT) | instid1(VALU_DEP_1)
	v_lshlrev_b64 v[30:31], v30, v[8:9]
	v_and_b32_e32 v30, 7, v30
; %bb.456:                              ;   in Loop: Header=BB363_11 Depth=1
	s_or_b32 exec_lo, exec_lo, s20
	v_lshlrev_b32_e32 v8, 8, v32
	v_lshl_add_u32 v31, v33, 10, 0x2000
	s_delay_alu instid0(VALU_DEP_1) | instskip(NEXT) | instid1(VALU_DEP_1)
	v_and_or_b32 v8, 0x8000, v8, v31
	v_lshl_or_b32 v8, v30, 7, v8
	s_delay_alu instid0(VALU_DEP_1)
	v_cvt_f32_f16_e64 v177, v8
.LBB363_457:                            ;   in Loop: Header=BB363_11 Depth=1
	s_or_b32 exec_lo, exec_lo, s19
.LBB363_458:                            ;   in Loop: Header=BB363_11 Depth=1
	s_delay_alu instid0(SALU_CYCLE_1)
	s_or_b32 exec_lo, exec_lo, s18
.LBB363_459:                            ;   in Loop: Header=BB363_11 Depth=1
	s_delay_alu instid0(SALU_CYCLE_1) | instskip(SKIP_4) | instid1(VALU_DEP_1)
	s_or_b32 exec_lo, exec_lo, s2
	flat_load_b64 v[30:31], v[28:29] offset:1544
	s_mov_b32 s2, exec_lo
	s_waitcnt vmcnt(0) lgkmcnt(0)
	v_and_b32_e32 v8, 0xff, v30
	v_cmpx_ne_u16_e32 0, v8
	s_cbranch_execz .LBB363_467
; %bb.460:                              ;   in Loop: Header=BB363_11 Depth=1
	v_bfrev_b32_e32 v176, 1
	s_mov_b32 s18, exec_lo
	v_cmpx_ne_u16_e32 0x80, v8
	s_cbranch_execz .LBB363_466
; %bb.461:                              ;   in Loop: Header=BB363_11 Depth=1
	v_and_b32_e32 v32, 0x7f, v30
	v_mov_b32_e32 v176, 0x7fc02000
	s_mov_b32 s19, exec_lo
	s_delay_alu instid0(VALU_DEP_2)
	v_cmpx_ne_u32_e32 0x7f, v32
	s_cbranch_execz .LBB363_465
; %bb.462:                              ;   in Loop: Header=BB363_11 Depth=1
	v_lshrrev_b32_e32 v8, 3, v32
	v_cmp_gt_u32_e64 s1, 8, v32
	v_dual_mov_b32 v33, v31 :: v_dual_mov_b32 v32, v30
	s_delay_alu instid0(VALU_DEP_2)
	s_and_saveexec_b32 s20, s1
; %bb.463:                              ;   in Loop: Header=BB363_11 Depth=1
	v_and_b32_e32 v8, 7, v30
	s_delay_alu instid0(VALU_DEP_1) | instskip(NEXT) | instid1(VALU_DEP_1)
	v_clz_i32_u32_e32 v8, v8
	v_min_u32_e32 v8, 32, v8
	s_delay_alu instid0(VALU_DEP_1) | instskip(SKIP_1) | instid1(VALU_DEP_2)
	v_subrev_nc_u32_e32 v32, 28, v8
	v_sub_nc_u32_e32 v8, 29, v8
	v_lshlrev_b64 v[32:33], v32, v[30:31]
; %bb.464:                              ;   in Loop: Header=BB363_11 Depth=1
	s_or_b32 exec_lo, exec_lo, s20
	v_lshlrev_b32_e32 v33, 8, v30
	s_delay_alu instid0(VALU_DEP_3) | instskip(NEXT) | instid1(VALU_DEP_3)
	v_lshl_add_u32 v8, v8, 10, 0x2000
	v_lshlrev_b32_e32 v32, 7, v32
	s_delay_alu instid0(VALU_DEP_2) | instskip(NEXT) | instid1(VALU_DEP_1)
	v_and_or_b32 v8, 0x8000, v33, v8
	v_and_or_b32 v8, 0x380, v32, v8
	s_delay_alu instid0(VALU_DEP_1)
	v_cvt_f32_f16_e64 v176, v8
.LBB363_465:                            ;   in Loop: Header=BB363_11 Depth=1
	s_or_b32 exec_lo, exec_lo, s19
.LBB363_466:                            ;   in Loop: Header=BB363_11 Depth=1
	s_delay_alu instid0(SALU_CYCLE_1)
	s_or_b32 exec_lo, exec_lo, s18
.LBB363_467:                            ;   in Loop: Header=BB363_11 Depth=1
	s_delay_alu instid0(SALU_CYCLE_1) | instskip(SKIP_3) | instid1(VALU_DEP_2)
	s_or_b32 exec_lo, exec_lo, s2
	v_lshrrev_b16 v8, 8, v30
	v_dual_mov_b32 v178, 0 :: v_dual_mov_b32 v179, 0
	s_mov_b32 s2, exec_lo
	v_cmpx_ne_u16_e32 0, v8
	s_cbranch_execz .LBB363_475
; %bb.468:                              ;   in Loop: Header=BB363_11 Depth=1
	v_bfrev_b32_e32 v179, 1
	s_mov_b32 s18, exec_lo
	v_cmpx_ne_u16_e32 0x80, v8
	s_cbranch_execz .LBB363_474
; %bb.469:                              ;   in Loop: Header=BB363_11 Depth=1
	v_and_b32_e32 v180, 0xffff, v8
	v_mov_b32_e32 v179, 0x7fc02000
	s_mov_b32 s19, exec_lo
	s_delay_alu instid0(VALU_DEP_2) | instskip(NEXT) | instid1(VALU_DEP_1)
	v_and_b32_e32 v32, 0x7f, v180
	v_cmpx_ne_u32_e32 0x7f, v32
	s_cbranch_execz .LBB363_473
; %bb.470:                              ;   in Loop: Header=BB363_11 Depth=1
	v_and_b32_e32 v8, 7, v180
	v_lshrrev_b32_e32 v179, 3, v32
	v_cmp_gt_u32_e64 s1, 8, v32
	s_delay_alu instid0(VALU_DEP_3) | instskip(NEXT) | instid1(VALU_DEP_2)
	v_dual_mov_b32 v33, v9 :: v_dual_mov_b32 v32, v8
	s_and_saveexec_b32 s20, s1
; %bb.471:                              ;   in Loop: Header=BB363_11 Depth=1
	v_clz_i32_u32_e32 v32, v8
	s_delay_alu instid0(VALU_DEP_1) | instskip(NEXT) | instid1(VALU_DEP_1)
	v_min_u32_e32 v179, 32, v32
	v_subrev_nc_u32_e32 v32, 28, v179
	v_sub_nc_u32_e32 v179, 29, v179
	s_delay_alu instid0(VALU_DEP_2) | instskip(NEXT) | instid1(VALU_DEP_1)
	v_lshlrev_b64 v[32:33], v32, v[8:9]
	v_and_b32_e32 v32, 7, v32
; %bb.472:                              ;   in Loop: Header=BB363_11 Depth=1
	s_or_b32 exec_lo, exec_lo, s20
	v_lshlrev_b32_e32 v8, 8, v180
	v_lshl_add_u32 v33, v179, 10, 0x2000
	s_delay_alu instid0(VALU_DEP_1) | instskip(NEXT) | instid1(VALU_DEP_1)
	v_and_or_b32 v8, 0x8000, v8, v33
	v_lshl_or_b32 v8, v32, 7, v8
	s_delay_alu instid0(VALU_DEP_1)
	v_cvt_f32_f16_e64 v179, v8
.LBB363_473:                            ;   in Loop: Header=BB363_11 Depth=1
	s_or_b32 exec_lo, exec_lo, s19
.LBB363_474:                            ;   in Loop: Header=BB363_11 Depth=1
	s_delay_alu instid0(SALU_CYCLE_1)
	s_or_b32 exec_lo, exec_lo, s18
.LBB363_475:                            ;   in Loop: Header=BB363_11 Depth=1
	s_delay_alu instid0(SALU_CYCLE_1) | instskip(SKIP_2) | instid1(VALU_DEP_1)
	s_or_b32 exec_lo, exec_lo, s2
	v_lshrrev_b32_e32 v180, 16, v30
	s_mov_b32 s2, exec_lo
	v_and_b32_e32 v8, 0xff, v180
	s_delay_alu instid0(VALU_DEP_1)
	v_cmpx_ne_u16_e32 0, v8
	s_cbranch_execz .LBB363_483
; %bb.476:                              ;   in Loop: Header=BB363_11 Depth=1
	v_bfrev_b32_e32 v178, 1
	s_mov_b32 s18, exec_lo
	v_cmpx_ne_u16_e32 0x80, v8
	s_cbranch_execz .LBB363_482
; %bb.477:                              ;   in Loop: Header=BB363_11 Depth=1
	v_bfe_u32 v32, v30, 16, 7
	v_mov_b32_e32 v178, 0x7fc02000
	s_mov_b32 s19, exec_lo
	s_delay_alu instid0(VALU_DEP_2)
	v_cmpx_ne_u32_e32 0x7f, v32
	s_cbranch_execz .LBB363_481
; %bb.478:                              ;   in Loop: Header=BB363_11 Depth=1
	v_and_b32_e32 v8, 7, v180
	v_lshrrev_b32_e32 v178, 3, v32
	v_cmp_gt_u32_e64 s1, 8, v32
	s_delay_alu instid0(VALU_DEP_3) | instskip(NEXT) | instid1(VALU_DEP_2)
	v_dual_mov_b32 v33, v9 :: v_dual_mov_b32 v32, v8
	s_and_saveexec_b32 s20, s1
; %bb.479:                              ;   in Loop: Header=BB363_11 Depth=1
	v_clz_i32_u32_e32 v32, v8
	s_delay_alu instid0(VALU_DEP_1) | instskip(NEXT) | instid1(VALU_DEP_1)
	v_min_u32_e32 v178, 32, v32
	v_subrev_nc_u32_e32 v32, 28, v178
	v_sub_nc_u32_e32 v178, 29, v178
	s_delay_alu instid0(VALU_DEP_2) | instskip(NEXT) | instid1(VALU_DEP_1)
	v_lshlrev_b64 v[32:33], v32, v[8:9]
	v_and_b32_e32 v32, 7, v32
; %bb.480:                              ;   in Loop: Header=BB363_11 Depth=1
	s_or_b32 exec_lo, exec_lo, s20
	v_lshlrev_b32_e32 v8, 8, v180
	v_lshl_add_u32 v33, v178, 10, 0x2000
	s_delay_alu instid0(VALU_DEP_1) | instskip(NEXT) | instid1(VALU_DEP_1)
	v_and_or_b32 v8, 0x8000, v8, v33
	v_lshl_or_b32 v8, v32, 7, v8
	s_delay_alu instid0(VALU_DEP_1)
	v_cvt_f32_f16_e64 v178, v8
.LBB363_481:                            ;   in Loop: Header=BB363_11 Depth=1
	s_or_b32 exec_lo, exec_lo, s19
.LBB363_482:                            ;   in Loop: Header=BB363_11 Depth=1
	s_delay_alu instid0(SALU_CYCLE_1)
	s_or_b32 exec_lo, exec_lo, s18
.LBB363_483:                            ;   in Loop: Header=BB363_11 Depth=1
	s_delay_alu instid0(SALU_CYCLE_1)
	s_or_b32 exec_lo, exec_lo, s2
	v_dual_mov_b32 v180, 0 :: v_dual_mov_b32 v181, 0
	s_mov_b32 s2, exec_lo
	v_cmpx_lt_u32_e32 0xffffff, v30
	s_cbranch_execz .LBB363_491
; %bb.484:                              ;   in Loop: Header=BB363_11 Depth=1
	v_lshrrev_b32_e32 v182, 24, v30
	v_bfrev_b32_e32 v181, 1
	s_mov_b32 s18, exec_lo
	s_delay_alu instid0(VALU_DEP_2)
	v_cmpx_ne_u32_e32 0x80, v182
	s_cbranch_execz .LBB363_490
; %bb.485:                              ;   in Loop: Header=BB363_11 Depth=1
	v_and_b32_e32 v32, 0x7f, v182
	v_mov_b32_e32 v181, 0x7fc02000
	s_mov_b32 s19, exec_lo
	s_delay_alu instid0(VALU_DEP_2)
	v_cmpx_ne_u32_e32 0x7f, v32
	s_cbranch_execz .LBB363_489
; %bb.486:                              ;   in Loop: Header=BB363_11 Depth=1
	v_and_b32_e32 v8, 7, v182
	v_lshrrev_b32_e32 v181, 3, v32
	v_cmp_gt_u32_e64 s1, 8, v32
	s_delay_alu instid0(VALU_DEP_3) | instskip(NEXT) | instid1(VALU_DEP_2)
	v_dual_mov_b32 v33, v9 :: v_dual_mov_b32 v32, v8
	s_and_saveexec_b32 s20, s1
; %bb.487:                              ;   in Loop: Header=BB363_11 Depth=1
	v_clz_i32_u32_e32 v32, v8
	s_delay_alu instid0(VALU_DEP_1) | instskip(NEXT) | instid1(VALU_DEP_1)
	v_min_u32_e32 v181, 32, v32
	v_subrev_nc_u32_e32 v32, 28, v181
	v_sub_nc_u32_e32 v181, 29, v181
	s_delay_alu instid0(VALU_DEP_2) | instskip(NEXT) | instid1(VALU_DEP_1)
	v_lshlrev_b64 v[32:33], v32, v[8:9]
	v_and_b32_e32 v32, 7, v32
; %bb.488:                              ;   in Loop: Header=BB363_11 Depth=1
	s_or_b32 exec_lo, exec_lo, s20
	v_lshlrev_b32_e32 v8, 8, v182
	v_lshl_add_u32 v33, v181, 10, 0x2000
	s_delay_alu instid0(VALU_DEP_1) | instskip(NEXT) | instid1(VALU_DEP_1)
	v_and_or_b32 v8, 0x8000, v8, v33
	v_lshl_or_b32 v8, v32, 7, v8
	s_delay_alu instid0(VALU_DEP_1)
	v_cvt_f32_f16_e64 v181, v8
.LBB363_489:                            ;   in Loop: Header=BB363_11 Depth=1
	s_or_b32 exec_lo, exec_lo, s19
.LBB363_490:                            ;   in Loop: Header=BB363_11 Depth=1
	s_delay_alu instid0(SALU_CYCLE_1)
	s_or_b32 exec_lo, exec_lo, s18
.LBB363_491:                            ;   in Loop: Header=BB363_11 Depth=1
	s_delay_alu instid0(SALU_CYCLE_1) | instskip(SKIP_3) | instid1(VALU_DEP_2)
	s_or_b32 exec_lo, exec_lo, s2
	v_and_b32_e32 v32, 0xff, v31
	v_mov_b32_e32 v8, v31
	s_mov_b32 s2, exec_lo
	v_cmpx_ne_u16_e32 0, v32
	s_cbranch_execz .LBB363_499
; %bb.492:                              ;   in Loop: Header=BB363_11 Depth=1
	v_bfrev_b32_e32 v180, 1
	s_mov_b32 s18, exec_lo
	v_cmpx_ne_u16_e32 0x80, v32
	s_cbranch_execz .LBB363_498
; %bb.493:                              ;   in Loop: Header=BB363_11 Depth=1
	v_and_b32_e32 v32, 0x7f, v31
	v_mov_b32_e32 v180, 0x7fc02000
	s_mov_b32 s19, exec_lo
	s_delay_alu instid0(VALU_DEP_2)
	v_cmpx_ne_u32_e32 0x7f, v32
	s_cbranch_execz .LBB363_497
; %bb.494:                              ;   in Loop: Header=BB363_11 Depth=1
	v_lshrrev_b32_e32 v180, 3, v32
	v_cmp_gt_u32_e64 s1, 8, v32
	v_dual_mov_b32 v33, v9 :: v_dual_mov_b32 v32, v8
	s_delay_alu instid0(VALU_DEP_2)
	s_and_saveexec_b32 s20, s1
; %bb.495:                              ;   in Loop: Header=BB363_11 Depth=1
	v_and_b32_e32 v32, 7, v31
	s_delay_alu instid0(VALU_DEP_1) | instskip(NEXT) | instid1(VALU_DEP_1)
	v_clz_i32_u32_e32 v32, v32
	v_min_u32_e32 v180, 32, v32
	s_delay_alu instid0(VALU_DEP_1) | instskip(SKIP_1) | instid1(VALU_DEP_2)
	v_subrev_nc_u32_e32 v32, 28, v180
	v_sub_nc_u32_e32 v180, 29, v180
	v_lshlrev_b64 v[32:33], v32, v[8:9]
; %bb.496:                              ;   in Loop: Header=BB363_11 Depth=1
	s_or_b32 exec_lo, exec_lo, s20
	v_lshlrev_b32_e32 v33, 8, v31
	s_delay_alu instid0(VALU_DEP_3) | instskip(NEXT) | instid1(VALU_DEP_3)
	v_lshl_add_u32 v180, v180, 10, 0x2000
	v_lshlrev_b32_e32 v32, 7, v32
	s_delay_alu instid0(VALU_DEP_2) | instskip(NEXT) | instid1(VALU_DEP_1)
	v_and_or_b32 v33, 0x8000, v33, v180
	v_and_or_b32 v32, 0x380, v32, v33
	s_delay_alu instid0(VALU_DEP_1)
	v_cvt_f32_f16_e64 v180, v32
.LBB363_497:                            ;   in Loop: Header=BB363_11 Depth=1
	s_or_b32 exec_lo, exec_lo, s19
.LBB363_498:                            ;   in Loop: Header=BB363_11 Depth=1
	s_delay_alu instid0(SALU_CYCLE_1)
	s_or_b32 exec_lo, exec_lo, s18
.LBB363_499:                            ;   in Loop: Header=BB363_11 Depth=1
	s_delay_alu instid0(SALU_CYCLE_1) | instskip(SKIP_3) | instid1(VALU_DEP_2)
	s_or_b32 exec_lo, exec_lo, s2
	v_lshrrev_b16 v8, 8, v8
	v_dual_mov_b32 v182, 0 :: v_dual_mov_b32 v183, 0
	s_mov_b32 s2, exec_lo
	v_cmpx_ne_u16_e32 0, v8
	s_cbranch_execz .LBB363_507
; %bb.500:                              ;   in Loop: Header=BB363_11 Depth=1
	v_bfrev_b32_e32 v183, 1
	s_mov_b32 s18, exec_lo
	v_cmpx_ne_u16_e32 0x80, v8
	s_cbranch_execz .LBB363_506
; %bb.501:                              ;   in Loop: Header=BB363_11 Depth=1
	v_and_b32_e32 v40, 0xffff, v8
	v_mov_b32_e32 v183, 0x7fc02000
	s_mov_b32 s19, exec_lo
	s_delay_alu instid0(VALU_DEP_2) | instskip(NEXT) | instid1(VALU_DEP_1)
	v_and_b32_e32 v32, 0x7f, v40
	v_cmpx_ne_u32_e32 0x7f, v32
	s_cbranch_execz .LBB363_505
; %bb.502:                              ;   in Loop: Header=BB363_11 Depth=1
	v_and_b32_e32 v8, 7, v40
	v_lshrrev_b32_e32 v183, 3, v32
	v_cmp_gt_u32_e64 s1, 8, v32
	s_delay_alu instid0(VALU_DEP_3) | instskip(NEXT) | instid1(VALU_DEP_2)
	v_dual_mov_b32 v33, v9 :: v_dual_mov_b32 v32, v8
	s_and_saveexec_b32 s20, s1
; %bb.503:                              ;   in Loop: Header=BB363_11 Depth=1
	v_clz_i32_u32_e32 v32, v8
	s_delay_alu instid0(VALU_DEP_1) | instskip(NEXT) | instid1(VALU_DEP_1)
	v_min_u32_e32 v183, 32, v32
	v_subrev_nc_u32_e32 v32, 28, v183
	v_sub_nc_u32_e32 v183, 29, v183
	s_delay_alu instid0(VALU_DEP_2) | instskip(NEXT) | instid1(VALU_DEP_1)
	v_lshlrev_b64 v[32:33], v32, v[8:9]
	v_and_b32_e32 v32, 7, v32
; %bb.504:                              ;   in Loop: Header=BB363_11 Depth=1
	s_or_b32 exec_lo, exec_lo, s20
	v_lshlrev_b32_e32 v8, 8, v40
	v_lshl_add_u32 v33, v183, 10, 0x2000
	s_delay_alu instid0(VALU_DEP_1) | instskip(NEXT) | instid1(VALU_DEP_1)
	v_and_or_b32 v8, 0x8000, v8, v33
	v_lshl_or_b32 v8, v32, 7, v8
	s_delay_alu instid0(VALU_DEP_1)
	v_cvt_f32_f16_e64 v183, v8
.LBB363_505:                            ;   in Loop: Header=BB363_11 Depth=1
	s_or_b32 exec_lo, exec_lo, s19
.LBB363_506:                            ;   in Loop: Header=BB363_11 Depth=1
	s_delay_alu instid0(SALU_CYCLE_1)
	s_or_b32 exec_lo, exec_lo, s18
.LBB363_507:                            ;   in Loop: Header=BB363_11 Depth=1
	s_delay_alu instid0(SALU_CYCLE_1) | instskip(SKIP_2) | instid1(VALU_DEP_1)
	s_or_b32 exec_lo, exec_lo, s2
	v_lshrrev_b32_e32 v40, 16, v31
	s_mov_b32 s2, exec_lo
	v_and_b32_e32 v8, 0xff, v40
	s_delay_alu instid0(VALU_DEP_1)
	v_cmpx_ne_u16_e32 0, v8
	s_cbranch_execz .LBB363_515
; %bb.508:                              ;   in Loop: Header=BB363_11 Depth=1
	v_bfrev_b32_e32 v182, 1
	s_mov_b32 s18, exec_lo
	v_cmpx_ne_u16_e32 0x80, v8
	s_cbranch_execz .LBB363_514
; %bb.509:                              ;   in Loop: Header=BB363_11 Depth=1
	v_bfe_u32 v32, v31, 16, 7
	v_mov_b32_e32 v182, 0x7fc02000
	s_mov_b32 s19, exec_lo
	s_delay_alu instid0(VALU_DEP_2)
	v_cmpx_ne_u32_e32 0x7f, v32
	s_cbranch_execz .LBB363_513
; %bb.510:                              ;   in Loop: Header=BB363_11 Depth=1
	v_and_b32_e32 v8, 7, v40
	v_lshrrev_b32_e32 v182, 3, v32
	v_cmp_gt_u32_e64 s1, 8, v32
	s_delay_alu instid0(VALU_DEP_3) | instskip(NEXT) | instid1(VALU_DEP_2)
	v_dual_mov_b32 v33, v9 :: v_dual_mov_b32 v32, v8
	s_and_saveexec_b32 s20, s1
; %bb.511:                              ;   in Loop: Header=BB363_11 Depth=1
	v_clz_i32_u32_e32 v32, v8
	s_delay_alu instid0(VALU_DEP_1) | instskip(NEXT) | instid1(VALU_DEP_1)
	v_min_u32_e32 v182, 32, v32
	v_subrev_nc_u32_e32 v32, 28, v182
	v_sub_nc_u32_e32 v182, 29, v182
	s_delay_alu instid0(VALU_DEP_2) | instskip(NEXT) | instid1(VALU_DEP_1)
	v_lshlrev_b64 v[32:33], v32, v[8:9]
	v_and_b32_e32 v32, 7, v32
; %bb.512:                              ;   in Loop: Header=BB363_11 Depth=1
	s_or_b32 exec_lo, exec_lo, s20
	v_lshlrev_b32_e32 v8, 8, v40
	v_lshl_add_u32 v33, v182, 10, 0x2000
	s_delay_alu instid0(VALU_DEP_1) | instskip(NEXT) | instid1(VALU_DEP_1)
	v_and_or_b32 v8, 0x8000, v8, v33
	v_lshl_or_b32 v8, v32, 7, v8
	s_delay_alu instid0(VALU_DEP_1)
	v_cvt_f32_f16_e64 v182, v8
.LBB363_513:                            ;   in Loop: Header=BB363_11 Depth=1
	s_or_b32 exec_lo, exec_lo, s19
.LBB363_514:                            ;   in Loop: Header=BB363_11 Depth=1
	s_delay_alu instid0(SALU_CYCLE_1)
	s_or_b32 exec_lo, exec_lo, s18
.LBB363_515:                            ;   in Loop: Header=BB363_11 Depth=1
	s_delay_alu instid0(SALU_CYCLE_1)
	s_or_b32 exec_lo, exec_lo, s2
	v_dual_mov_b32 v40, 0 :: v_dual_mov_b32 v41, 0
	s_mov_b32 s2, exec_lo
	v_cmpx_lt_u64_e64 s[8:9], v[30:31]
	s_cbranch_execz .LBB363_523
; %bb.516:                              ;   in Loop: Header=BB363_11 Depth=1
	v_lshrrev_b32_e32 v32, 24, v31
	v_bfrev_b32_e32 v41, 1
	s_mov_b32 s18, exec_lo
	s_delay_alu instid0(VALU_DEP_2)
	v_cmpx_ne_u32_e32 0x80, v32
	s_cbranch_execz .LBB363_522
; %bb.517:                              ;   in Loop: Header=BB363_11 Depth=1
	v_and_b32_e32 v30, 0x7f, v32
	v_mov_b32_e32 v41, 0x7fc02000
	s_mov_b32 s19, exec_lo
	s_delay_alu instid0(VALU_DEP_2)
	v_cmpx_ne_u32_e32 0x7f, v30
	s_cbranch_execz .LBB363_521
; %bb.518:                              ;   in Loop: Header=BB363_11 Depth=1
	v_and_b32_e32 v8, 7, v32
	v_lshrrev_b32_e32 v33, 3, v30
	v_cmp_gt_u32_e64 s1, 8, v30
	s_delay_alu instid0(VALU_DEP_3) | instskip(NEXT) | instid1(VALU_DEP_2)
	v_dual_mov_b32 v31, v9 :: v_dual_mov_b32 v30, v8
	s_and_saveexec_b32 s20, s1
; %bb.519:                              ;   in Loop: Header=BB363_11 Depth=1
	v_clz_i32_u32_e32 v30, v8
	s_delay_alu instid0(VALU_DEP_1) | instskip(NEXT) | instid1(VALU_DEP_1)
	v_min_u32_e32 v33, 32, v30
	v_subrev_nc_u32_e32 v30, 28, v33
	v_sub_nc_u32_e32 v33, 29, v33
	s_delay_alu instid0(VALU_DEP_2) | instskip(NEXT) | instid1(VALU_DEP_1)
	v_lshlrev_b64 v[30:31], v30, v[8:9]
	v_and_b32_e32 v30, 7, v30
; %bb.520:                              ;   in Loop: Header=BB363_11 Depth=1
	s_or_b32 exec_lo, exec_lo, s20
	v_lshlrev_b32_e32 v8, 8, v32
	v_lshl_add_u32 v31, v33, 10, 0x2000
	s_delay_alu instid0(VALU_DEP_1) | instskip(NEXT) | instid1(VALU_DEP_1)
	v_and_or_b32 v8, 0x8000, v8, v31
	v_lshl_or_b32 v8, v30, 7, v8
	s_delay_alu instid0(VALU_DEP_1)
	v_cvt_f32_f16_e32 v41, v8
.LBB363_521:                            ;   in Loop: Header=BB363_11 Depth=1
	s_or_b32 exec_lo, exec_lo, s19
.LBB363_522:                            ;   in Loop: Header=BB363_11 Depth=1
	s_delay_alu instid0(SALU_CYCLE_1)
	s_or_b32 exec_lo, exec_lo, s18
.LBB363_523:                            ;   in Loop: Header=BB363_11 Depth=1
	s_delay_alu instid0(SALU_CYCLE_1) | instskip(SKIP_4) | instid1(VALU_DEP_1)
	s_or_b32 exec_lo, exec_lo, s2
	flat_load_b64 v[30:31], v[28:29] offset:2048
	s_mov_b32 s2, exec_lo
	s_waitcnt vmcnt(0) lgkmcnt(0)
	v_and_b32_e32 v8, 0xff, v30
	v_cmpx_ne_u16_e32 0, v8
	s_cbranch_execz .LBB363_531
; %bb.524:                              ;   in Loop: Header=BB363_11 Depth=1
	v_bfrev_b32_e32 v40, 1
	s_mov_b32 s18, exec_lo
	v_cmpx_ne_u16_e32 0x80, v8
	s_cbranch_execz .LBB363_530
; %bb.525:                              ;   in Loop: Header=BB363_11 Depth=1
	v_and_b32_e32 v32, 0x7f, v30
	v_mov_b32_e32 v40, 0x7fc02000
	s_mov_b32 s19, exec_lo
	s_delay_alu instid0(VALU_DEP_2)
	v_cmpx_ne_u32_e32 0x7f, v32
	s_cbranch_execz .LBB363_529
; %bb.526:                              ;   in Loop: Header=BB363_11 Depth=1
	v_lshrrev_b32_e32 v8, 3, v32
	v_cmp_gt_u32_e64 s1, 8, v32
	v_dual_mov_b32 v33, v31 :: v_dual_mov_b32 v32, v30
	s_delay_alu instid0(VALU_DEP_2)
	s_and_saveexec_b32 s20, s1
; %bb.527:                              ;   in Loop: Header=BB363_11 Depth=1
	v_and_b32_e32 v8, 7, v30
	s_delay_alu instid0(VALU_DEP_1) | instskip(NEXT) | instid1(VALU_DEP_1)
	v_clz_i32_u32_e32 v8, v8
	v_min_u32_e32 v8, 32, v8
	s_delay_alu instid0(VALU_DEP_1) | instskip(SKIP_1) | instid1(VALU_DEP_2)
	v_subrev_nc_u32_e32 v32, 28, v8
	v_sub_nc_u32_e32 v8, 29, v8
	v_lshlrev_b64 v[32:33], v32, v[30:31]
; %bb.528:                              ;   in Loop: Header=BB363_11 Depth=1
	s_or_b32 exec_lo, exec_lo, s20
	v_lshlrev_b32_e32 v33, 8, v30
	s_delay_alu instid0(VALU_DEP_3) | instskip(NEXT) | instid1(VALU_DEP_3)
	v_lshl_add_u32 v8, v8, 10, 0x2000
	v_lshlrev_b32_e32 v32, 7, v32
	s_delay_alu instid0(VALU_DEP_2) | instskip(NEXT) | instid1(VALU_DEP_1)
	v_and_or_b32 v8, 0x8000, v33, v8
	v_and_or_b32 v8, 0x380, v32, v8
	s_delay_alu instid0(VALU_DEP_1)
	v_cvt_f32_f16_e32 v40, v8
.LBB363_529:                            ;   in Loop: Header=BB363_11 Depth=1
	s_or_b32 exec_lo, exec_lo, s19
.LBB363_530:                            ;   in Loop: Header=BB363_11 Depth=1
	s_delay_alu instid0(SALU_CYCLE_1)
	s_or_b32 exec_lo, exec_lo, s18
.LBB363_531:                            ;   in Loop: Header=BB363_11 Depth=1
	s_delay_alu instid0(SALU_CYCLE_1) | instskip(SKIP_3) | instid1(VALU_DEP_2)
	s_or_b32 exec_lo, exec_lo, s2
	v_lshrrev_b16 v8, 8, v30
	v_dual_mov_b32 v42, 0 :: v_dual_mov_b32 v43, 0
	s_mov_b32 s2, exec_lo
	v_cmpx_ne_u16_e32 0, v8
	s_cbranch_execz .LBB363_539
; %bb.532:                              ;   in Loop: Header=BB363_11 Depth=1
	v_bfrev_b32_e32 v43, 1
	s_mov_b32 s18, exec_lo
	v_cmpx_ne_u16_e32 0x80, v8
	s_cbranch_execz .LBB363_538
; %bb.533:                              ;   in Loop: Header=BB363_11 Depth=1
	v_and_b32_e32 v44, 0xffff, v8
	v_mov_b32_e32 v43, 0x7fc02000
	s_mov_b32 s19, exec_lo
	s_delay_alu instid0(VALU_DEP_2) | instskip(NEXT) | instid1(VALU_DEP_1)
	v_and_b32_e32 v32, 0x7f, v44
	v_cmpx_ne_u32_e32 0x7f, v32
	s_cbranch_execz .LBB363_537
; %bb.534:                              ;   in Loop: Header=BB363_11 Depth=1
	v_and_b32_e32 v8, 7, v44
	v_lshrrev_b32_e32 v43, 3, v32
	v_cmp_gt_u32_e64 s1, 8, v32
	s_delay_alu instid0(VALU_DEP_3) | instskip(NEXT) | instid1(VALU_DEP_2)
	v_dual_mov_b32 v33, v9 :: v_dual_mov_b32 v32, v8
	s_and_saveexec_b32 s20, s1
; %bb.535:                              ;   in Loop: Header=BB363_11 Depth=1
	v_clz_i32_u32_e32 v32, v8
	s_delay_alu instid0(VALU_DEP_1) | instskip(NEXT) | instid1(VALU_DEP_1)
	v_min_u32_e32 v43, 32, v32
	v_subrev_nc_u32_e32 v32, 28, v43
	v_sub_nc_u32_e32 v43, 29, v43
	s_delay_alu instid0(VALU_DEP_2) | instskip(NEXT) | instid1(VALU_DEP_1)
	v_lshlrev_b64 v[32:33], v32, v[8:9]
	v_and_b32_e32 v32, 7, v32
; %bb.536:                              ;   in Loop: Header=BB363_11 Depth=1
	s_or_b32 exec_lo, exec_lo, s20
	v_lshlrev_b32_e32 v8, 8, v44
	v_lshl_add_u32 v33, v43, 10, 0x2000
	s_delay_alu instid0(VALU_DEP_1) | instskip(NEXT) | instid1(VALU_DEP_1)
	v_and_or_b32 v8, 0x8000, v8, v33
	v_lshl_or_b32 v8, v32, 7, v8
	s_delay_alu instid0(VALU_DEP_1)
	v_cvt_f32_f16_e32 v43, v8
.LBB363_537:                            ;   in Loop: Header=BB363_11 Depth=1
	s_or_b32 exec_lo, exec_lo, s19
.LBB363_538:                            ;   in Loop: Header=BB363_11 Depth=1
	s_delay_alu instid0(SALU_CYCLE_1)
	s_or_b32 exec_lo, exec_lo, s18
.LBB363_539:                            ;   in Loop: Header=BB363_11 Depth=1
	s_delay_alu instid0(SALU_CYCLE_1) | instskip(SKIP_2) | instid1(VALU_DEP_1)
	s_or_b32 exec_lo, exec_lo, s2
	v_lshrrev_b32_e32 v44, 16, v30
	s_mov_b32 s2, exec_lo
	v_and_b32_e32 v8, 0xff, v44
	s_delay_alu instid0(VALU_DEP_1)
	v_cmpx_ne_u16_e32 0, v8
	s_cbranch_execz .LBB363_547
; %bb.540:                              ;   in Loop: Header=BB363_11 Depth=1
	v_bfrev_b32_e32 v42, 1
	s_mov_b32 s18, exec_lo
	v_cmpx_ne_u16_e32 0x80, v8
	s_cbranch_execz .LBB363_546
; %bb.541:                              ;   in Loop: Header=BB363_11 Depth=1
	v_bfe_u32 v32, v30, 16, 7
	v_mov_b32_e32 v42, 0x7fc02000
	s_mov_b32 s19, exec_lo
	s_delay_alu instid0(VALU_DEP_2)
	v_cmpx_ne_u32_e32 0x7f, v32
	s_cbranch_execz .LBB363_545
; %bb.542:                              ;   in Loop: Header=BB363_11 Depth=1
	v_and_b32_e32 v8, 7, v44
	v_lshrrev_b32_e32 v42, 3, v32
	v_cmp_gt_u32_e64 s1, 8, v32
	s_delay_alu instid0(VALU_DEP_3) | instskip(NEXT) | instid1(VALU_DEP_2)
	v_dual_mov_b32 v33, v9 :: v_dual_mov_b32 v32, v8
	s_and_saveexec_b32 s20, s1
; %bb.543:                              ;   in Loop: Header=BB363_11 Depth=1
	v_clz_i32_u32_e32 v32, v8
	s_delay_alu instid0(VALU_DEP_1) | instskip(NEXT) | instid1(VALU_DEP_1)
	v_min_u32_e32 v42, 32, v32
	v_subrev_nc_u32_e32 v32, 28, v42
	v_sub_nc_u32_e32 v42, 29, v42
	s_delay_alu instid0(VALU_DEP_2) | instskip(NEXT) | instid1(VALU_DEP_1)
	v_lshlrev_b64 v[32:33], v32, v[8:9]
	v_and_b32_e32 v32, 7, v32
; %bb.544:                              ;   in Loop: Header=BB363_11 Depth=1
	s_or_b32 exec_lo, exec_lo, s20
	v_lshlrev_b32_e32 v8, 8, v44
	v_lshl_add_u32 v33, v42, 10, 0x2000
	s_delay_alu instid0(VALU_DEP_1) | instskip(NEXT) | instid1(VALU_DEP_1)
	v_and_or_b32 v8, 0x8000, v8, v33
	v_lshl_or_b32 v8, v32, 7, v8
	s_delay_alu instid0(VALU_DEP_1)
	v_cvt_f32_f16_e32 v42, v8
.LBB363_545:                            ;   in Loop: Header=BB363_11 Depth=1
	s_or_b32 exec_lo, exec_lo, s19
.LBB363_546:                            ;   in Loop: Header=BB363_11 Depth=1
	s_delay_alu instid0(SALU_CYCLE_1)
	s_or_b32 exec_lo, exec_lo, s18
.LBB363_547:                            ;   in Loop: Header=BB363_11 Depth=1
	s_delay_alu instid0(SALU_CYCLE_1)
	s_or_b32 exec_lo, exec_lo, s2
	v_dual_mov_b32 v44, 0 :: v_dual_mov_b32 v45, 0
	s_mov_b32 s2, exec_lo
	v_cmpx_lt_u32_e32 0xffffff, v30
	s_cbranch_execz .LBB363_555
; %bb.548:                              ;   in Loop: Header=BB363_11 Depth=1
	v_lshrrev_b32_e32 v46, 24, v30
	v_bfrev_b32_e32 v45, 1
	s_mov_b32 s18, exec_lo
	s_delay_alu instid0(VALU_DEP_2)
	v_cmpx_ne_u32_e32 0x80, v46
	s_cbranch_execz .LBB363_554
; %bb.549:                              ;   in Loop: Header=BB363_11 Depth=1
	v_and_b32_e32 v32, 0x7f, v46
	v_mov_b32_e32 v45, 0x7fc02000
	s_mov_b32 s19, exec_lo
	s_delay_alu instid0(VALU_DEP_2)
	v_cmpx_ne_u32_e32 0x7f, v32
	s_cbranch_execz .LBB363_553
; %bb.550:                              ;   in Loop: Header=BB363_11 Depth=1
	v_and_b32_e32 v8, 7, v46
	v_lshrrev_b32_e32 v45, 3, v32
	v_cmp_gt_u32_e64 s1, 8, v32
	s_delay_alu instid0(VALU_DEP_3) | instskip(NEXT) | instid1(VALU_DEP_2)
	v_dual_mov_b32 v33, v9 :: v_dual_mov_b32 v32, v8
	s_and_saveexec_b32 s20, s1
; %bb.551:                              ;   in Loop: Header=BB363_11 Depth=1
	v_clz_i32_u32_e32 v32, v8
	s_delay_alu instid0(VALU_DEP_1) | instskip(NEXT) | instid1(VALU_DEP_1)
	v_min_u32_e32 v45, 32, v32
	v_subrev_nc_u32_e32 v32, 28, v45
	v_sub_nc_u32_e32 v45, 29, v45
	s_delay_alu instid0(VALU_DEP_2) | instskip(NEXT) | instid1(VALU_DEP_1)
	v_lshlrev_b64 v[32:33], v32, v[8:9]
	v_and_b32_e32 v32, 7, v32
; %bb.552:                              ;   in Loop: Header=BB363_11 Depth=1
	s_or_b32 exec_lo, exec_lo, s20
	v_lshlrev_b32_e32 v8, 8, v46
	v_lshl_add_u32 v33, v45, 10, 0x2000
	s_delay_alu instid0(VALU_DEP_1) | instskip(NEXT) | instid1(VALU_DEP_1)
	v_and_or_b32 v8, 0x8000, v8, v33
	v_lshl_or_b32 v8, v32, 7, v8
	s_delay_alu instid0(VALU_DEP_1)
	v_cvt_f32_f16_e32 v45, v8
.LBB363_553:                            ;   in Loop: Header=BB363_11 Depth=1
	s_or_b32 exec_lo, exec_lo, s19
.LBB363_554:                            ;   in Loop: Header=BB363_11 Depth=1
	s_delay_alu instid0(SALU_CYCLE_1)
	s_or_b32 exec_lo, exec_lo, s18
.LBB363_555:                            ;   in Loop: Header=BB363_11 Depth=1
	s_delay_alu instid0(SALU_CYCLE_1) | instskip(SKIP_3) | instid1(VALU_DEP_2)
	s_or_b32 exec_lo, exec_lo, s2
	v_and_b32_e32 v32, 0xff, v31
	v_mov_b32_e32 v8, v31
	s_mov_b32 s2, exec_lo
	v_cmpx_ne_u16_e32 0, v32
	s_cbranch_execz .LBB363_563
; %bb.556:                              ;   in Loop: Header=BB363_11 Depth=1
	v_bfrev_b32_e32 v44, 1
	s_mov_b32 s18, exec_lo
	v_cmpx_ne_u16_e32 0x80, v32
	s_cbranch_execz .LBB363_562
; %bb.557:                              ;   in Loop: Header=BB363_11 Depth=1
	v_and_b32_e32 v32, 0x7f, v31
	v_mov_b32_e32 v44, 0x7fc02000
	s_mov_b32 s19, exec_lo
	s_delay_alu instid0(VALU_DEP_2)
	v_cmpx_ne_u32_e32 0x7f, v32
	s_cbranch_execz .LBB363_561
; %bb.558:                              ;   in Loop: Header=BB363_11 Depth=1
	v_lshrrev_b32_e32 v44, 3, v32
	v_cmp_gt_u32_e64 s1, 8, v32
	v_dual_mov_b32 v33, v9 :: v_dual_mov_b32 v32, v8
	s_delay_alu instid0(VALU_DEP_2)
	s_and_saveexec_b32 s20, s1
; %bb.559:                              ;   in Loop: Header=BB363_11 Depth=1
	v_and_b32_e32 v32, 7, v31
	s_delay_alu instid0(VALU_DEP_1) | instskip(NEXT) | instid1(VALU_DEP_1)
	v_clz_i32_u32_e32 v32, v32
	v_min_u32_e32 v44, 32, v32
	s_delay_alu instid0(VALU_DEP_1) | instskip(SKIP_1) | instid1(VALU_DEP_2)
	v_subrev_nc_u32_e32 v32, 28, v44
	v_sub_nc_u32_e32 v44, 29, v44
	v_lshlrev_b64 v[32:33], v32, v[8:9]
; %bb.560:                              ;   in Loop: Header=BB363_11 Depth=1
	s_or_b32 exec_lo, exec_lo, s20
	v_lshlrev_b32_e32 v33, 8, v31
	s_delay_alu instid0(VALU_DEP_3) | instskip(NEXT) | instid1(VALU_DEP_3)
	v_lshl_add_u32 v44, v44, 10, 0x2000
	v_lshlrev_b32_e32 v32, 7, v32
	s_delay_alu instid0(VALU_DEP_2) | instskip(NEXT) | instid1(VALU_DEP_1)
	v_and_or_b32 v33, 0x8000, v33, v44
	v_and_or_b32 v32, 0x380, v32, v33
	s_delay_alu instid0(VALU_DEP_1)
	v_cvt_f32_f16_e32 v44, v32
.LBB363_561:                            ;   in Loop: Header=BB363_11 Depth=1
	s_or_b32 exec_lo, exec_lo, s19
.LBB363_562:                            ;   in Loop: Header=BB363_11 Depth=1
	s_delay_alu instid0(SALU_CYCLE_1)
	s_or_b32 exec_lo, exec_lo, s18
.LBB363_563:                            ;   in Loop: Header=BB363_11 Depth=1
	s_delay_alu instid0(SALU_CYCLE_1) | instskip(SKIP_3) | instid1(VALU_DEP_2)
	s_or_b32 exec_lo, exec_lo, s2
	v_lshrrev_b16 v8, 8, v8
	v_dual_mov_b32 v46, 0 :: v_dual_mov_b32 v47, 0
	s_mov_b32 s2, exec_lo
	v_cmpx_ne_u16_e32 0, v8
	s_cbranch_execz .LBB363_571
; %bb.564:                              ;   in Loop: Header=BB363_11 Depth=1
	v_bfrev_b32_e32 v47, 1
	s_mov_b32 s18, exec_lo
	v_cmpx_ne_u16_e32 0x80, v8
	s_cbranch_execz .LBB363_570
; %bb.565:                              ;   in Loop: Header=BB363_11 Depth=1
	v_and_b32_e32 v56, 0xffff, v8
	v_mov_b32_e32 v47, 0x7fc02000
	s_mov_b32 s19, exec_lo
	s_delay_alu instid0(VALU_DEP_2) | instskip(NEXT) | instid1(VALU_DEP_1)
	v_and_b32_e32 v32, 0x7f, v56
	v_cmpx_ne_u32_e32 0x7f, v32
	s_cbranch_execz .LBB363_569
; %bb.566:                              ;   in Loop: Header=BB363_11 Depth=1
	v_and_b32_e32 v8, 7, v56
	v_lshrrev_b32_e32 v47, 3, v32
	v_cmp_gt_u32_e64 s1, 8, v32
	s_delay_alu instid0(VALU_DEP_3) | instskip(NEXT) | instid1(VALU_DEP_2)
	v_dual_mov_b32 v33, v9 :: v_dual_mov_b32 v32, v8
	s_and_saveexec_b32 s20, s1
; %bb.567:                              ;   in Loop: Header=BB363_11 Depth=1
	v_clz_i32_u32_e32 v32, v8
	s_delay_alu instid0(VALU_DEP_1) | instskip(NEXT) | instid1(VALU_DEP_1)
	v_min_u32_e32 v47, 32, v32
	v_subrev_nc_u32_e32 v32, 28, v47
	v_sub_nc_u32_e32 v47, 29, v47
	s_delay_alu instid0(VALU_DEP_2) | instskip(NEXT) | instid1(VALU_DEP_1)
	v_lshlrev_b64 v[32:33], v32, v[8:9]
	v_and_b32_e32 v32, 7, v32
; %bb.568:                              ;   in Loop: Header=BB363_11 Depth=1
	s_or_b32 exec_lo, exec_lo, s20
	v_lshlrev_b32_e32 v8, 8, v56
	v_lshl_add_u32 v33, v47, 10, 0x2000
	s_delay_alu instid0(VALU_DEP_1) | instskip(NEXT) | instid1(VALU_DEP_1)
	v_and_or_b32 v8, 0x8000, v8, v33
	v_lshl_or_b32 v8, v32, 7, v8
	s_delay_alu instid0(VALU_DEP_1)
	v_cvt_f32_f16_e32 v47, v8
.LBB363_569:                            ;   in Loop: Header=BB363_11 Depth=1
	s_or_b32 exec_lo, exec_lo, s19
.LBB363_570:                            ;   in Loop: Header=BB363_11 Depth=1
	s_delay_alu instid0(SALU_CYCLE_1)
	s_or_b32 exec_lo, exec_lo, s18
.LBB363_571:                            ;   in Loop: Header=BB363_11 Depth=1
	s_delay_alu instid0(SALU_CYCLE_1) | instskip(SKIP_2) | instid1(VALU_DEP_1)
	s_or_b32 exec_lo, exec_lo, s2
	v_lshrrev_b32_e32 v56, 16, v31
	s_mov_b32 s2, exec_lo
	v_and_b32_e32 v8, 0xff, v56
	s_delay_alu instid0(VALU_DEP_1)
	v_cmpx_ne_u16_e32 0, v8
	s_cbranch_execz .LBB363_579
; %bb.572:                              ;   in Loop: Header=BB363_11 Depth=1
	v_bfrev_b32_e32 v46, 1
	s_mov_b32 s18, exec_lo
	v_cmpx_ne_u16_e32 0x80, v8
	s_cbranch_execz .LBB363_578
; %bb.573:                              ;   in Loop: Header=BB363_11 Depth=1
	v_bfe_u32 v32, v31, 16, 7
	v_mov_b32_e32 v46, 0x7fc02000
	s_mov_b32 s19, exec_lo
	s_delay_alu instid0(VALU_DEP_2)
	v_cmpx_ne_u32_e32 0x7f, v32
	s_cbranch_execz .LBB363_577
; %bb.574:                              ;   in Loop: Header=BB363_11 Depth=1
	v_and_b32_e32 v8, 7, v56
	v_lshrrev_b32_e32 v46, 3, v32
	v_cmp_gt_u32_e64 s1, 8, v32
	s_delay_alu instid0(VALU_DEP_3) | instskip(NEXT) | instid1(VALU_DEP_2)
	v_dual_mov_b32 v33, v9 :: v_dual_mov_b32 v32, v8
	s_and_saveexec_b32 s20, s1
; %bb.575:                              ;   in Loop: Header=BB363_11 Depth=1
	v_clz_i32_u32_e32 v32, v8
	s_delay_alu instid0(VALU_DEP_1) | instskip(NEXT) | instid1(VALU_DEP_1)
	v_min_u32_e32 v46, 32, v32
	v_subrev_nc_u32_e32 v32, 28, v46
	v_sub_nc_u32_e32 v46, 29, v46
	s_delay_alu instid0(VALU_DEP_2) | instskip(NEXT) | instid1(VALU_DEP_1)
	v_lshlrev_b64 v[32:33], v32, v[8:9]
	v_and_b32_e32 v32, 7, v32
; %bb.576:                              ;   in Loop: Header=BB363_11 Depth=1
	s_or_b32 exec_lo, exec_lo, s20
	v_lshlrev_b32_e32 v8, 8, v56
	v_lshl_add_u32 v33, v46, 10, 0x2000
	s_delay_alu instid0(VALU_DEP_1) | instskip(NEXT) | instid1(VALU_DEP_1)
	v_and_or_b32 v8, 0x8000, v8, v33
	v_lshl_or_b32 v8, v32, 7, v8
	s_delay_alu instid0(VALU_DEP_1)
	v_cvt_f32_f16_e32 v46, v8
.LBB363_577:                            ;   in Loop: Header=BB363_11 Depth=1
	s_or_b32 exec_lo, exec_lo, s19
.LBB363_578:                            ;   in Loop: Header=BB363_11 Depth=1
	s_delay_alu instid0(SALU_CYCLE_1)
	s_or_b32 exec_lo, exec_lo, s18
.LBB363_579:                            ;   in Loop: Header=BB363_11 Depth=1
	s_delay_alu instid0(SALU_CYCLE_1)
	s_or_b32 exec_lo, exec_lo, s2
	v_dual_mov_b32 v57, 0 :: v_dual_mov_b32 v56, 0
	s_mov_b32 s2, exec_lo
	v_cmpx_lt_u64_e64 s[8:9], v[30:31]
	s_cbranch_execz .LBB363_587
; %bb.580:                              ;   in Loop: Header=BB363_11 Depth=1
	v_lshrrev_b32_e32 v32, 24, v31
	v_bfrev_b32_e32 v56, 1
	s_mov_b32 s18, exec_lo
	s_delay_alu instid0(VALU_DEP_2)
	v_cmpx_ne_u32_e32 0x80, v32
	s_cbranch_execz .LBB363_586
; %bb.581:                              ;   in Loop: Header=BB363_11 Depth=1
	v_and_b32_e32 v30, 0x7f, v32
	v_mov_b32_e32 v56, 0x7fc02000
	s_mov_b32 s19, exec_lo
	s_delay_alu instid0(VALU_DEP_2)
	v_cmpx_ne_u32_e32 0x7f, v30
	s_cbranch_execz .LBB363_585
; %bb.582:                              ;   in Loop: Header=BB363_11 Depth=1
	v_and_b32_e32 v8, 7, v32
	v_lshrrev_b32_e32 v33, 3, v30
	v_cmp_gt_u32_e64 s1, 8, v30
	s_delay_alu instid0(VALU_DEP_3) | instskip(NEXT) | instid1(VALU_DEP_2)
	v_dual_mov_b32 v31, v9 :: v_dual_mov_b32 v30, v8
	s_and_saveexec_b32 s20, s1
; %bb.583:                              ;   in Loop: Header=BB363_11 Depth=1
	v_clz_i32_u32_e32 v30, v8
	s_delay_alu instid0(VALU_DEP_1) | instskip(NEXT) | instid1(VALU_DEP_1)
	v_min_u32_e32 v33, 32, v30
	v_subrev_nc_u32_e32 v30, 28, v33
	v_sub_nc_u32_e32 v33, 29, v33
	s_delay_alu instid0(VALU_DEP_2) | instskip(NEXT) | instid1(VALU_DEP_1)
	v_lshlrev_b64 v[30:31], v30, v[8:9]
	v_and_b32_e32 v30, 7, v30
; %bb.584:                              ;   in Loop: Header=BB363_11 Depth=1
	s_or_b32 exec_lo, exec_lo, s20
	v_lshlrev_b32_e32 v8, 8, v32
	v_lshl_add_u32 v31, v33, 10, 0x2000
	s_delay_alu instid0(VALU_DEP_1) | instskip(NEXT) | instid1(VALU_DEP_1)
	v_and_or_b32 v8, 0x8000, v8, v31
	v_lshl_or_b32 v8, v30, 7, v8
	s_delay_alu instid0(VALU_DEP_1)
	v_cvt_f32_f16_e32 v56, v8
.LBB363_585:                            ;   in Loop: Header=BB363_11 Depth=1
	s_or_b32 exec_lo, exec_lo, s19
.LBB363_586:                            ;   in Loop: Header=BB363_11 Depth=1
	s_delay_alu instid0(SALU_CYCLE_1)
	s_or_b32 exec_lo, exec_lo, s18
.LBB363_587:                            ;   in Loop: Header=BB363_11 Depth=1
	s_delay_alu instid0(SALU_CYCLE_1) | instskip(SKIP_4) | instid1(VALU_DEP_1)
	s_or_b32 exec_lo, exec_lo, s2
	flat_load_b64 v[30:31], v[28:29] offset:2056
	s_mov_b32 s2, exec_lo
	s_waitcnt vmcnt(0) lgkmcnt(0)
	v_and_b32_e32 v8, 0xff, v30
	v_cmpx_ne_u16_e32 0, v8
	s_cbranch_execz .LBB363_595
; %bb.588:                              ;   in Loop: Header=BB363_11 Depth=1
	v_bfrev_b32_e32 v57, 1
	s_mov_b32 s18, exec_lo
	v_cmpx_ne_u16_e32 0x80, v8
	s_cbranch_execz .LBB363_594
; %bb.589:                              ;   in Loop: Header=BB363_11 Depth=1
	v_and_b32_e32 v32, 0x7f, v30
	v_mov_b32_e32 v57, 0x7fc02000
	s_mov_b32 s19, exec_lo
	s_delay_alu instid0(VALU_DEP_2)
	v_cmpx_ne_u32_e32 0x7f, v32
	s_cbranch_execz .LBB363_593
; %bb.590:                              ;   in Loop: Header=BB363_11 Depth=1
	v_lshrrev_b32_e32 v8, 3, v32
	v_cmp_gt_u32_e64 s1, 8, v32
	v_dual_mov_b32 v33, v31 :: v_dual_mov_b32 v32, v30
	s_delay_alu instid0(VALU_DEP_2)
	s_and_saveexec_b32 s20, s1
; %bb.591:                              ;   in Loop: Header=BB363_11 Depth=1
	v_and_b32_e32 v8, 7, v30
	s_delay_alu instid0(VALU_DEP_1) | instskip(NEXT) | instid1(VALU_DEP_1)
	v_clz_i32_u32_e32 v8, v8
	v_min_u32_e32 v8, 32, v8
	s_delay_alu instid0(VALU_DEP_1) | instskip(SKIP_1) | instid1(VALU_DEP_2)
	v_subrev_nc_u32_e32 v32, 28, v8
	v_sub_nc_u32_e32 v8, 29, v8
	v_lshlrev_b64 v[32:33], v32, v[30:31]
; %bb.592:                              ;   in Loop: Header=BB363_11 Depth=1
	s_or_b32 exec_lo, exec_lo, s20
	v_lshlrev_b32_e32 v33, 8, v30
	s_delay_alu instid0(VALU_DEP_3) | instskip(NEXT) | instid1(VALU_DEP_3)
	v_lshl_add_u32 v8, v8, 10, 0x2000
	v_lshlrev_b32_e32 v32, 7, v32
	s_delay_alu instid0(VALU_DEP_2) | instskip(NEXT) | instid1(VALU_DEP_1)
	v_and_or_b32 v8, 0x8000, v33, v8
	v_and_or_b32 v8, 0x380, v32, v8
	s_delay_alu instid0(VALU_DEP_1)
	v_cvt_f32_f16_e32 v57, v8
.LBB363_593:                            ;   in Loop: Header=BB363_11 Depth=1
	s_or_b32 exec_lo, exec_lo, s19
.LBB363_594:                            ;   in Loop: Header=BB363_11 Depth=1
	s_delay_alu instid0(SALU_CYCLE_1)
	s_or_b32 exec_lo, exec_lo, s18
.LBB363_595:                            ;   in Loop: Header=BB363_11 Depth=1
	s_delay_alu instid0(SALU_CYCLE_1) | instskip(SKIP_3) | instid1(VALU_DEP_2)
	s_or_b32 exec_lo, exec_lo, s2
	v_lshrrev_b16 v8, 8, v30
	v_dual_mov_b32 v58, 0 :: v_dual_mov_b32 v59, 0
	s_mov_b32 s2, exec_lo
	v_cmpx_ne_u16_e32 0, v8
	s_cbranch_execz .LBB363_603
; %bb.596:                              ;   in Loop: Header=BB363_11 Depth=1
	v_bfrev_b32_e32 v59, 1
	s_mov_b32 s18, exec_lo
	v_cmpx_ne_u16_e32 0x80, v8
	s_cbranch_execz .LBB363_602
; %bb.597:                              ;   in Loop: Header=BB363_11 Depth=1
	v_and_b32_e32 v60, 0xffff, v8
	v_mov_b32_e32 v59, 0x7fc02000
	s_mov_b32 s19, exec_lo
	s_delay_alu instid0(VALU_DEP_2) | instskip(NEXT) | instid1(VALU_DEP_1)
	v_and_b32_e32 v32, 0x7f, v60
	v_cmpx_ne_u32_e32 0x7f, v32
	s_cbranch_execz .LBB363_601
; %bb.598:                              ;   in Loop: Header=BB363_11 Depth=1
	v_and_b32_e32 v8, 7, v60
	v_lshrrev_b32_e32 v59, 3, v32
	v_cmp_gt_u32_e64 s1, 8, v32
	s_delay_alu instid0(VALU_DEP_3) | instskip(NEXT) | instid1(VALU_DEP_2)
	v_dual_mov_b32 v33, v9 :: v_dual_mov_b32 v32, v8
	s_and_saveexec_b32 s20, s1
; %bb.599:                              ;   in Loop: Header=BB363_11 Depth=1
	v_clz_i32_u32_e32 v32, v8
	s_delay_alu instid0(VALU_DEP_1) | instskip(NEXT) | instid1(VALU_DEP_1)
	v_min_u32_e32 v59, 32, v32
	v_subrev_nc_u32_e32 v32, 28, v59
	v_sub_nc_u32_e32 v59, 29, v59
	s_delay_alu instid0(VALU_DEP_2) | instskip(NEXT) | instid1(VALU_DEP_1)
	v_lshlrev_b64 v[32:33], v32, v[8:9]
	v_and_b32_e32 v32, 7, v32
; %bb.600:                              ;   in Loop: Header=BB363_11 Depth=1
	s_or_b32 exec_lo, exec_lo, s20
	v_lshlrev_b32_e32 v8, 8, v60
	v_lshl_add_u32 v33, v59, 10, 0x2000
	s_delay_alu instid0(VALU_DEP_1) | instskip(NEXT) | instid1(VALU_DEP_1)
	v_and_or_b32 v8, 0x8000, v8, v33
	v_lshl_or_b32 v8, v32, 7, v8
	s_delay_alu instid0(VALU_DEP_1)
	v_cvt_f32_f16_e32 v59, v8
.LBB363_601:                            ;   in Loop: Header=BB363_11 Depth=1
	s_or_b32 exec_lo, exec_lo, s19
.LBB363_602:                            ;   in Loop: Header=BB363_11 Depth=1
	s_delay_alu instid0(SALU_CYCLE_1)
	s_or_b32 exec_lo, exec_lo, s18
.LBB363_603:                            ;   in Loop: Header=BB363_11 Depth=1
	s_delay_alu instid0(SALU_CYCLE_1) | instskip(SKIP_2) | instid1(VALU_DEP_1)
	s_or_b32 exec_lo, exec_lo, s2
	v_lshrrev_b32_e32 v60, 16, v30
	s_mov_b32 s2, exec_lo
	v_and_b32_e32 v8, 0xff, v60
	s_delay_alu instid0(VALU_DEP_1)
	v_cmpx_ne_u16_e32 0, v8
	s_cbranch_execz .LBB363_611
; %bb.604:                              ;   in Loop: Header=BB363_11 Depth=1
	v_bfrev_b32_e32 v58, 1
	s_mov_b32 s18, exec_lo
	v_cmpx_ne_u16_e32 0x80, v8
	s_cbranch_execz .LBB363_610
; %bb.605:                              ;   in Loop: Header=BB363_11 Depth=1
	v_bfe_u32 v32, v30, 16, 7
	v_mov_b32_e32 v58, 0x7fc02000
	s_mov_b32 s19, exec_lo
	s_delay_alu instid0(VALU_DEP_2)
	v_cmpx_ne_u32_e32 0x7f, v32
	s_cbranch_execz .LBB363_609
; %bb.606:                              ;   in Loop: Header=BB363_11 Depth=1
	v_and_b32_e32 v8, 7, v60
	v_lshrrev_b32_e32 v58, 3, v32
	v_cmp_gt_u32_e64 s1, 8, v32
	s_delay_alu instid0(VALU_DEP_3) | instskip(NEXT) | instid1(VALU_DEP_2)
	v_dual_mov_b32 v33, v9 :: v_dual_mov_b32 v32, v8
	s_and_saveexec_b32 s20, s1
; %bb.607:                              ;   in Loop: Header=BB363_11 Depth=1
	v_clz_i32_u32_e32 v32, v8
	s_delay_alu instid0(VALU_DEP_1) | instskip(NEXT) | instid1(VALU_DEP_1)
	v_min_u32_e32 v58, 32, v32
	v_subrev_nc_u32_e32 v32, 28, v58
	v_sub_nc_u32_e32 v58, 29, v58
	s_delay_alu instid0(VALU_DEP_2) | instskip(NEXT) | instid1(VALU_DEP_1)
	v_lshlrev_b64 v[32:33], v32, v[8:9]
	v_and_b32_e32 v32, 7, v32
; %bb.608:                              ;   in Loop: Header=BB363_11 Depth=1
	s_or_b32 exec_lo, exec_lo, s20
	v_lshlrev_b32_e32 v8, 8, v60
	v_lshl_add_u32 v33, v58, 10, 0x2000
	s_delay_alu instid0(VALU_DEP_1) | instskip(NEXT) | instid1(VALU_DEP_1)
	v_and_or_b32 v8, 0x8000, v8, v33
	v_lshl_or_b32 v8, v32, 7, v8
	s_delay_alu instid0(VALU_DEP_1)
	v_cvt_f32_f16_e32 v58, v8
.LBB363_609:                            ;   in Loop: Header=BB363_11 Depth=1
	s_or_b32 exec_lo, exec_lo, s19
.LBB363_610:                            ;   in Loop: Header=BB363_11 Depth=1
	s_delay_alu instid0(SALU_CYCLE_1)
	s_or_b32 exec_lo, exec_lo, s18
.LBB363_611:                            ;   in Loop: Header=BB363_11 Depth=1
	s_delay_alu instid0(SALU_CYCLE_1)
	s_or_b32 exec_lo, exec_lo, s2
	v_dual_mov_b32 v60, 0 :: v_dual_mov_b32 v61, 0
	s_mov_b32 s2, exec_lo
	v_cmpx_lt_u32_e32 0xffffff, v30
	s_cbranch_execz .LBB363_619
; %bb.612:                              ;   in Loop: Header=BB363_11 Depth=1
	v_lshrrev_b32_e32 v62, 24, v30
	v_bfrev_b32_e32 v61, 1
	s_mov_b32 s18, exec_lo
	s_delay_alu instid0(VALU_DEP_2)
	v_cmpx_ne_u32_e32 0x80, v62
	s_cbranch_execz .LBB363_618
; %bb.613:                              ;   in Loop: Header=BB363_11 Depth=1
	v_and_b32_e32 v32, 0x7f, v62
	v_mov_b32_e32 v61, 0x7fc02000
	s_mov_b32 s19, exec_lo
	s_delay_alu instid0(VALU_DEP_2)
	v_cmpx_ne_u32_e32 0x7f, v32
	s_cbranch_execz .LBB363_617
; %bb.614:                              ;   in Loop: Header=BB363_11 Depth=1
	v_and_b32_e32 v8, 7, v62
	v_lshrrev_b32_e32 v61, 3, v32
	v_cmp_gt_u32_e64 s1, 8, v32
	s_delay_alu instid0(VALU_DEP_3) | instskip(NEXT) | instid1(VALU_DEP_2)
	v_dual_mov_b32 v33, v9 :: v_dual_mov_b32 v32, v8
	s_and_saveexec_b32 s20, s1
; %bb.615:                              ;   in Loop: Header=BB363_11 Depth=1
	v_clz_i32_u32_e32 v32, v8
	s_delay_alu instid0(VALU_DEP_1) | instskip(NEXT) | instid1(VALU_DEP_1)
	v_min_u32_e32 v61, 32, v32
	v_subrev_nc_u32_e32 v32, 28, v61
	v_sub_nc_u32_e32 v61, 29, v61
	s_delay_alu instid0(VALU_DEP_2) | instskip(NEXT) | instid1(VALU_DEP_1)
	v_lshlrev_b64 v[32:33], v32, v[8:9]
	v_and_b32_e32 v32, 7, v32
; %bb.616:                              ;   in Loop: Header=BB363_11 Depth=1
	s_or_b32 exec_lo, exec_lo, s20
	v_lshlrev_b32_e32 v8, 8, v62
	v_lshl_add_u32 v33, v61, 10, 0x2000
	s_delay_alu instid0(VALU_DEP_1) | instskip(NEXT) | instid1(VALU_DEP_1)
	v_and_or_b32 v8, 0x8000, v8, v33
	v_lshl_or_b32 v8, v32, 7, v8
	s_delay_alu instid0(VALU_DEP_1)
	v_cvt_f32_f16_e32 v61, v8
.LBB363_617:                            ;   in Loop: Header=BB363_11 Depth=1
	s_or_b32 exec_lo, exec_lo, s19
.LBB363_618:                            ;   in Loop: Header=BB363_11 Depth=1
	s_delay_alu instid0(SALU_CYCLE_1)
	s_or_b32 exec_lo, exec_lo, s18
.LBB363_619:                            ;   in Loop: Header=BB363_11 Depth=1
	s_delay_alu instid0(SALU_CYCLE_1) | instskip(SKIP_3) | instid1(VALU_DEP_2)
	s_or_b32 exec_lo, exec_lo, s2
	v_and_b32_e32 v32, 0xff, v31
	v_mov_b32_e32 v8, v31
	s_mov_b32 s2, exec_lo
	v_cmpx_ne_u16_e32 0, v32
	s_cbranch_execz .LBB363_627
; %bb.620:                              ;   in Loop: Header=BB363_11 Depth=1
	v_bfrev_b32_e32 v60, 1
	s_mov_b32 s18, exec_lo
	v_cmpx_ne_u16_e32 0x80, v32
	s_cbranch_execz .LBB363_626
; %bb.621:                              ;   in Loop: Header=BB363_11 Depth=1
	v_and_b32_e32 v32, 0x7f, v31
	v_mov_b32_e32 v60, 0x7fc02000
	s_mov_b32 s19, exec_lo
	s_delay_alu instid0(VALU_DEP_2)
	v_cmpx_ne_u32_e32 0x7f, v32
	s_cbranch_execz .LBB363_625
; %bb.622:                              ;   in Loop: Header=BB363_11 Depth=1
	v_lshrrev_b32_e32 v60, 3, v32
	v_cmp_gt_u32_e64 s1, 8, v32
	v_dual_mov_b32 v33, v9 :: v_dual_mov_b32 v32, v8
	s_delay_alu instid0(VALU_DEP_2)
	s_and_saveexec_b32 s20, s1
; %bb.623:                              ;   in Loop: Header=BB363_11 Depth=1
	v_and_b32_e32 v32, 7, v31
	s_delay_alu instid0(VALU_DEP_1) | instskip(NEXT) | instid1(VALU_DEP_1)
	v_clz_i32_u32_e32 v32, v32
	v_min_u32_e32 v60, 32, v32
	s_delay_alu instid0(VALU_DEP_1) | instskip(SKIP_1) | instid1(VALU_DEP_2)
	v_subrev_nc_u32_e32 v32, 28, v60
	v_sub_nc_u32_e32 v60, 29, v60
	v_lshlrev_b64 v[32:33], v32, v[8:9]
; %bb.624:                              ;   in Loop: Header=BB363_11 Depth=1
	s_or_b32 exec_lo, exec_lo, s20
	v_lshlrev_b32_e32 v33, 8, v31
	s_delay_alu instid0(VALU_DEP_3) | instskip(NEXT) | instid1(VALU_DEP_3)
	v_lshl_add_u32 v60, v60, 10, 0x2000
	v_lshlrev_b32_e32 v32, 7, v32
	s_delay_alu instid0(VALU_DEP_2) | instskip(NEXT) | instid1(VALU_DEP_1)
	v_and_or_b32 v33, 0x8000, v33, v60
	v_and_or_b32 v32, 0x380, v32, v33
	s_delay_alu instid0(VALU_DEP_1)
	v_cvt_f32_f16_e32 v60, v32
.LBB363_625:                            ;   in Loop: Header=BB363_11 Depth=1
	s_or_b32 exec_lo, exec_lo, s19
.LBB363_626:                            ;   in Loop: Header=BB363_11 Depth=1
	s_delay_alu instid0(SALU_CYCLE_1)
	s_or_b32 exec_lo, exec_lo, s18
.LBB363_627:                            ;   in Loop: Header=BB363_11 Depth=1
	s_delay_alu instid0(SALU_CYCLE_1) | instskip(SKIP_3) | instid1(VALU_DEP_2)
	s_or_b32 exec_lo, exec_lo, s2
	v_lshrrev_b16 v8, 8, v8
	v_dual_mov_b32 v62, 0 :: v_dual_mov_b32 v63, 0
	s_mov_b32 s2, exec_lo
	v_cmpx_ne_u16_e32 0, v8
	s_cbranch_execz .LBB363_635
; %bb.628:                              ;   in Loop: Header=BB363_11 Depth=1
	v_bfrev_b32_e32 v63, 1
	s_mov_b32 s18, exec_lo
	v_cmpx_ne_u16_e32 0x80, v8
	s_cbranch_execz .LBB363_634
; %bb.629:                              ;   in Loop: Header=BB363_11 Depth=1
	v_and_b32_e32 v72, 0xffff, v8
	v_mov_b32_e32 v63, 0x7fc02000
	s_mov_b32 s19, exec_lo
	s_delay_alu instid0(VALU_DEP_2) | instskip(NEXT) | instid1(VALU_DEP_1)
	v_and_b32_e32 v32, 0x7f, v72
	v_cmpx_ne_u32_e32 0x7f, v32
	s_cbranch_execz .LBB363_633
; %bb.630:                              ;   in Loop: Header=BB363_11 Depth=1
	v_and_b32_e32 v8, 7, v72
	v_lshrrev_b32_e32 v63, 3, v32
	v_cmp_gt_u32_e64 s1, 8, v32
	s_delay_alu instid0(VALU_DEP_3) | instskip(NEXT) | instid1(VALU_DEP_2)
	v_dual_mov_b32 v33, v9 :: v_dual_mov_b32 v32, v8
	s_and_saveexec_b32 s20, s1
; %bb.631:                              ;   in Loop: Header=BB363_11 Depth=1
	v_clz_i32_u32_e32 v32, v8
	s_delay_alu instid0(VALU_DEP_1) | instskip(NEXT) | instid1(VALU_DEP_1)
	v_min_u32_e32 v63, 32, v32
	v_subrev_nc_u32_e32 v32, 28, v63
	v_sub_nc_u32_e32 v63, 29, v63
	s_delay_alu instid0(VALU_DEP_2) | instskip(NEXT) | instid1(VALU_DEP_1)
	v_lshlrev_b64 v[32:33], v32, v[8:9]
	v_and_b32_e32 v32, 7, v32
; %bb.632:                              ;   in Loop: Header=BB363_11 Depth=1
	s_or_b32 exec_lo, exec_lo, s20
	v_lshlrev_b32_e32 v8, 8, v72
	v_lshl_add_u32 v33, v63, 10, 0x2000
	s_delay_alu instid0(VALU_DEP_1) | instskip(NEXT) | instid1(VALU_DEP_1)
	v_and_or_b32 v8, 0x8000, v8, v33
	v_lshl_or_b32 v8, v32, 7, v8
	s_delay_alu instid0(VALU_DEP_1)
	v_cvt_f32_f16_e32 v63, v8
.LBB363_633:                            ;   in Loop: Header=BB363_11 Depth=1
	s_or_b32 exec_lo, exec_lo, s19
.LBB363_634:                            ;   in Loop: Header=BB363_11 Depth=1
	s_delay_alu instid0(SALU_CYCLE_1)
	s_or_b32 exec_lo, exec_lo, s18
.LBB363_635:                            ;   in Loop: Header=BB363_11 Depth=1
	s_delay_alu instid0(SALU_CYCLE_1) | instskip(SKIP_2) | instid1(VALU_DEP_1)
	s_or_b32 exec_lo, exec_lo, s2
	v_lshrrev_b32_e32 v72, 16, v31
	s_mov_b32 s2, exec_lo
	v_and_b32_e32 v8, 0xff, v72
	s_delay_alu instid0(VALU_DEP_1)
	v_cmpx_ne_u16_e32 0, v8
	s_cbranch_execz .LBB363_643
; %bb.636:                              ;   in Loop: Header=BB363_11 Depth=1
	v_bfrev_b32_e32 v62, 1
	s_mov_b32 s18, exec_lo
	v_cmpx_ne_u16_e32 0x80, v8
	s_cbranch_execz .LBB363_642
; %bb.637:                              ;   in Loop: Header=BB363_11 Depth=1
	v_bfe_u32 v32, v31, 16, 7
	v_mov_b32_e32 v62, 0x7fc02000
	s_mov_b32 s19, exec_lo
	s_delay_alu instid0(VALU_DEP_2)
	v_cmpx_ne_u32_e32 0x7f, v32
	s_cbranch_execz .LBB363_641
; %bb.638:                              ;   in Loop: Header=BB363_11 Depth=1
	v_and_b32_e32 v8, 7, v72
	v_lshrrev_b32_e32 v62, 3, v32
	v_cmp_gt_u32_e64 s1, 8, v32
	s_delay_alu instid0(VALU_DEP_3) | instskip(NEXT) | instid1(VALU_DEP_2)
	v_dual_mov_b32 v33, v9 :: v_dual_mov_b32 v32, v8
	s_and_saveexec_b32 s20, s1
; %bb.639:                              ;   in Loop: Header=BB363_11 Depth=1
	v_clz_i32_u32_e32 v32, v8
	s_delay_alu instid0(VALU_DEP_1) | instskip(NEXT) | instid1(VALU_DEP_1)
	v_min_u32_e32 v62, 32, v32
	v_subrev_nc_u32_e32 v32, 28, v62
	v_sub_nc_u32_e32 v62, 29, v62
	s_delay_alu instid0(VALU_DEP_2) | instskip(NEXT) | instid1(VALU_DEP_1)
	v_lshlrev_b64 v[32:33], v32, v[8:9]
	v_and_b32_e32 v32, 7, v32
; %bb.640:                              ;   in Loop: Header=BB363_11 Depth=1
	s_or_b32 exec_lo, exec_lo, s20
	v_lshlrev_b32_e32 v8, 8, v72
	v_lshl_add_u32 v33, v62, 10, 0x2000
	s_delay_alu instid0(VALU_DEP_1) | instskip(NEXT) | instid1(VALU_DEP_1)
	v_and_or_b32 v8, 0x8000, v8, v33
	v_lshl_or_b32 v8, v32, 7, v8
	s_delay_alu instid0(VALU_DEP_1)
	v_cvt_f32_f16_e32 v62, v8
.LBB363_641:                            ;   in Loop: Header=BB363_11 Depth=1
	s_or_b32 exec_lo, exec_lo, s19
.LBB363_642:                            ;   in Loop: Header=BB363_11 Depth=1
	s_delay_alu instid0(SALU_CYCLE_1)
	s_or_b32 exec_lo, exec_lo, s18
.LBB363_643:                            ;   in Loop: Header=BB363_11 Depth=1
	s_delay_alu instid0(SALU_CYCLE_1)
	s_or_b32 exec_lo, exec_lo, s2
	v_dual_mov_b32 v73, 0 :: v_dual_mov_b32 v72, 0
	s_mov_b32 s2, exec_lo
	v_cmpx_lt_u64_e64 s[8:9], v[30:31]
	s_cbranch_execz .LBB363_651
; %bb.644:                              ;   in Loop: Header=BB363_11 Depth=1
	v_lshrrev_b32_e32 v32, 24, v31
	v_bfrev_b32_e32 v72, 1
	s_mov_b32 s18, exec_lo
	s_delay_alu instid0(VALU_DEP_2)
	v_cmpx_ne_u32_e32 0x80, v32
	s_cbranch_execz .LBB363_650
; %bb.645:                              ;   in Loop: Header=BB363_11 Depth=1
	v_and_b32_e32 v30, 0x7f, v32
	v_mov_b32_e32 v72, 0x7fc02000
	s_mov_b32 s19, exec_lo
	s_delay_alu instid0(VALU_DEP_2)
	v_cmpx_ne_u32_e32 0x7f, v30
	s_cbranch_execz .LBB363_649
; %bb.646:                              ;   in Loop: Header=BB363_11 Depth=1
	v_and_b32_e32 v8, 7, v32
	v_lshrrev_b32_e32 v33, 3, v30
	v_cmp_gt_u32_e64 s1, 8, v30
	s_delay_alu instid0(VALU_DEP_3) | instskip(NEXT) | instid1(VALU_DEP_2)
	v_dual_mov_b32 v31, v9 :: v_dual_mov_b32 v30, v8
	s_and_saveexec_b32 s20, s1
; %bb.647:                              ;   in Loop: Header=BB363_11 Depth=1
	v_clz_i32_u32_e32 v30, v8
	s_delay_alu instid0(VALU_DEP_1) | instskip(NEXT) | instid1(VALU_DEP_1)
	v_min_u32_e32 v33, 32, v30
	v_subrev_nc_u32_e32 v30, 28, v33
	v_sub_nc_u32_e32 v33, 29, v33
	s_delay_alu instid0(VALU_DEP_2) | instskip(NEXT) | instid1(VALU_DEP_1)
	v_lshlrev_b64 v[30:31], v30, v[8:9]
	v_and_b32_e32 v30, 7, v30
; %bb.648:                              ;   in Loop: Header=BB363_11 Depth=1
	s_or_b32 exec_lo, exec_lo, s20
	v_lshlrev_b32_e32 v8, 8, v32
	v_lshl_add_u32 v31, v33, 10, 0x2000
	s_delay_alu instid0(VALU_DEP_1) | instskip(NEXT) | instid1(VALU_DEP_1)
	v_and_or_b32 v8, 0x8000, v8, v31
	v_lshl_or_b32 v8, v30, 7, v8
	s_delay_alu instid0(VALU_DEP_1)
	v_cvt_f32_f16_e32 v72, v8
.LBB363_649:                            ;   in Loop: Header=BB363_11 Depth=1
	s_or_b32 exec_lo, exec_lo, s19
.LBB363_650:                            ;   in Loop: Header=BB363_11 Depth=1
	s_delay_alu instid0(SALU_CYCLE_1)
	s_or_b32 exec_lo, exec_lo, s18
.LBB363_651:                            ;   in Loop: Header=BB363_11 Depth=1
	s_delay_alu instid0(SALU_CYCLE_1) | instskip(SKIP_4) | instid1(VALU_DEP_1)
	s_or_b32 exec_lo, exec_lo, s2
	flat_load_b64 v[30:31], v[28:29] offset:2560
	s_mov_b32 s2, exec_lo
	s_waitcnt vmcnt(0) lgkmcnt(0)
	v_and_b32_e32 v8, 0xff, v30
	v_cmpx_ne_u16_e32 0, v8
	s_cbranch_execz .LBB363_659
; %bb.652:                              ;   in Loop: Header=BB363_11 Depth=1
	v_bfrev_b32_e32 v73, 1
	s_mov_b32 s18, exec_lo
	v_cmpx_ne_u16_e32 0x80, v8
	s_cbranch_execz .LBB363_658
; %bb.653:                              ;   in Loop: Header=BB363_11 Depth=1
	v_and_b32_e32 v32, 0x7f, v30
	v_mov_b32_e32 v73, 0x7fc02000
	s_mov_b32 s19, exec_lo
	s_delay_alu instid0(VALU_DEP_2)
	v_cmpx_ne_u32_e32 0x7f, v32
	s_cbranch_execz .LBB363_657
; %bb.654:                              ;   in Loop: Header=BB363_11 Depth=1
	v_lshrrev_b32_e32 v8, 3, v32
	v_cmp_gt_u32_e64 s1, 8, v32
	v_dual_mov_b32 v33, v31 :: v_dual_mov_b32 v32, v30
	s_delay_alu instid0(VALU_DEP_2)
	s_and_saveexec_b32 s20, s1
; %bb.655:                              ;   in Loop: Header=BB363_11 Depth=1
	v_and_b32_e32 v8, 7, v30
	s_delay_alu instid0(VALU_DEP_1) | instskip(NEXT) | instid1(VALU_DEP_1)
	v_clz_i32_u32_e32 v8, v8
	v_min_u32_e32 v8, 32, v8
	s_delay_alu instid0(VALU_DEP_1) | instskip(SKIP_1) | instid1(VALU_DEP_2)
	v_subrev_nc_u32_e32 v32, 28, v8
	v_sub_nc_u32_e32 v8, 29, v8
	v_lshlrev_b64 v[32:33], v32, v[30:31]
; %bb.656:                              ;   in Loop: Header=BB363_11 Depth=1
	s_or_b32 exec_lo, exec_lo, s20
	v_lshlrev_b32_e32 v33, 8, v30
	s_delay_alu instid0(VALU_DEP_3) | instskip(NEXT) | instid1(VALU_DEP_3)
	v_lshl_add_u32 v8, v8, 10, 0x2000
	v_lshlrev_b32_e32 v32, 7, v32
	s_delay_alu instid0(VALU_DEP_2) | instskip(NEXT) | instid1(VALU_DEP_1)
	v_and_or_b32 v8, 0x8000, v33, v8
	v_and_or_b32 v8, 0x380, v32, v8
	s_delay_alu instid0(VALU_DEP_1)
	v_cvt_f32_f16_e32 v73, v8
.LBB363_657:                            ;   in Loop: Header=BB363_11 Depth=1
	s_or_b32 exec_lo, exec_lo, s19
.LBB363_658:                            ;   in Loop: Header=BB363_11 Depth=1
	s_delay_alu instid0(SALU_CYCLE_1)
	s_or_b32 exec_lo, exec_lo, s18
.LBB363_659:                            ;   in Loop: Header=BB363_11 Depth=1
	s_delay_alu instid0(SALU_CYCLE_1) | instskip(SKIP_3) | instid1(VALU_DEP_2)
	s_or_b32 exec_lo, exec_lo, s2
	v_lshrrev_b16 v8, 8, v30
	v_dual_mov_b32 v74, 0 :: v_dual_mov_b32 v75, 0
	s_mov_b32 s2, exec_lo
	v_cmpx_ne_u16_e32 0, v8
	s_cbranch_execz .LBB363_667
; %bb.660:                              ;   in Loop: Header=BB363_11 Depth=1
	v_bfrev_b32_e32 v75, 1
	s_mov_b32 s18, exec_lo
	v_cmpx_ne_u16_e32 0x80, v8
	s_cbranch_execz .LBB363_666
; %bb.661:                              ;   in Loop: Header=BB363_11 Depth=1
	v_and_b32_e32 v76, 0xffff, v8
	v_mov_b32_e32 v75, 0x7fc02000
	s_mov_b32 s19, exec_lo
	s_delay_alu instid0(VALU_DEP_2) | instskip(NEXT) | instid1(VALU_DEP_1)
	v_and_b32_e32 v32, 0x7f, v76
	v_cmpx_ne_u32_e32 0x7f, v32
	s_cbranch_execz .LBB363_665
; %bb.662:                              ;   in Loop: Header=BB363_11 Depth=1
	v_and_b32_e32 v8, 7, v76
	v_lshrrev_b32_e32 v75, 3, v32
	v_cmp_gt_u32_e64 s1, 8, v32
	s_delay_alu instid0(VALU_DEP_3) | instskip(NEXT) | instid1(VALU_DEP_2)
	v_dual_mov_b32 v33, v9 :: v_dual_mov_b32 v32, v8
	s_and_saveexec_b32 s20, s1
; %bb.663:                              ;   in Loop: Header=BB363_11 Depth=1
	v_clz_i32_u32_e32 v32, v8
	s_delay_alu instid0(VALU_DEP_1) | instskip(NEXT) | instid1(VALU_DEP_1)
	v_min_u32_e32 v75, 32, v32
	v_subrev_nc_u32_e32 v32, 28, v75
	v_sub_nc_u32_e32 v75, 29, v75
	s_delay_alu instid0(VALU_DEP_2) | instskip(NEXT) | instid1(VALU_DEP_1)
	v_lshlrev_b64 v[32:33], v32, v[8:9]
	v_and_b32_e32 v32, 7, v32
; %bb.664:                              ;   in Loop: Header=BB363_11 Depth=1
	s_or_b32 exec_lo, exec_lo, s20
	v_lshlrev_b32_e32 v8, 8, v76
	v_lshl_add_u32 v33, v75, 10, 0x2000
	s_delay_alu instid0(VALU_DEP_1) | instskip(NEXT) | instid1(VALU_DEP_1)
	v_and_or_b32 v8, 0x8000, v8, v33
	v_lshl_or_b32 v8, v32, 7, v8
	s_delay_alu instid0(VALU_DEP_1)
	v_cvt_f32_f16_e32 v75, v8
.LBB363_665:                            ;   in Loop: Header=BB363_11 Depth=1
	s_or_b32 exec_lo, exec_lo, s19
.LBB363_666:                            ;   in Loop: Header=BB363_11 Depth=1
	s_delay_alu instid0(SALU_CYCLE_1)
	s_or_b32 exec_lo, exec_lo, s18
.LBB363_667:                            ;   in Loop: Header=BB363_11 Depth=1
	s_delay_alu instid0(SALU_CYCLE_1) | instskip(SKIP_2) | instid1(VALU_DEP_1)
	s_or_b32 exec_lo, exec_lo, s2
	v_lshrrev_b32_e32 v76, 16, v30
	s_mov_b32 s2, exec_lo
	v_and_b32_e32 v8, 0xff, v76
	s_delay_alu instid0(VALU_DEP_1)
	v_cmpx_ne_u16_e32 0, v8
	s_cbranch_execz .LBB363_675
; %bb.668:                              ;   in Loop: Header=BB363_11 Depth=1
	v_bfrev_b32_e32 v74, 1
	s_mov_b32 s18, exec_lo
	v_cmpx_ne_u16_e32 0x80, v8
	s_cbranch_execz .LBB363_674
; %bb.669:                              ;   in Loop: Header=BB363_11 Depth=1
	v_bfe_u32 v32, v30, 16, 7
	v_mov_b32_e32 v74, 0x7fc02000
	s_mov_b32 s19, exec_lo
	s_delay_alu instid0(VALU_DEP_2)
	v_cmpx_ne_u32_e32 0x7f, v32
	s_cbranch_execz .LBB363_673
; %bb.670:                              ;   in Loop: Header=BB363_11 Depth=1
	v_and_b32_e32 v8, 7, v76
	v_lshrrev_b32_e32 v74, 3, v32
	v_cmp_gt_u32_e64 s1, 8, v32
	s_delay_alu instid0(VALU_DEP_3) | instskip(NEXT) | instid1(VALU_DEP_2)
	v_dual_mov_b32 v33, v9 :: v_dual_mov_b32 v32, v8
	s_and_saveexec_b32 s20, s1
; %bb.671:                              ;   in Loop: Header=BB363_11 Depth=1
	v_clz_i32_u32_e32 v32, v8
	s_delay_alu instid0(VALU_DEP_1) | instskip(NEXT) | instid1(VALU_DEP_1)
	v_min_u32_e32 v74, 32, v32
	v_subrev_nc_u32_e32 v32, 28, v74
	v_sub_nc_u32_e32 v74, 29, v74
	s_delay_alu instid0(VALU_DEP_2) | instskip(NEXT) | instid1(VALU_DEP_1)
	v_lshlrev_b64 v[32:33], v32, v[8:9]
	v_and_b32_e32 v32, 7, v32
; %bb.672:                              ;   in Loop: Header=BB363_11 Depth=1
	s_or_b32 exec_lo, exec_lo, s20
	v_lshlrev_b32_e32 v8, 8, v76
	v_lshl_add_u32 v33, v74, 10, 0x2000
	s_delay_alu instid0(VALU_DEP_1) | instskip(NEXT) | instid1(VALU_DEP_1)
	v_and_or_b32 v8, 0x8000, v8, v33
	v_lshl_or_b32 v8, v32, 7, v8
	s_delay_alu instid0(VALU_DEP_1)
	v_cvt_f32_f16_e32 v74, v8
.LBB363_673:                            ;   in Loop: Header=BB363_11 Depth=1
	s_or_b32 exec_lo, exec_lo, s19
.LBB363_674:                            ;   in Loop: Header=BB363_11 Depth=1
	s_delay_alu instid0(SALU_CYCLE_1)
	s_or_b32 exec_lo, exec_lo, s18
.LBB363_675:                            ;   in Loop: Header=BB363_11 Depth=1
	s_delay_alu instid0(SALU_CYCLE_1)
	s_or_b32 exec_lo, exec_lo, s2
	v_dual_mov_b32 v76, 0 :: v_dual_mov_b32 v77, 0
	s_mov_b32 s2, exec_lo
	v_cmpx_lt_u32_e32 0xffffff, v30
	s_cbranch_execz .LBB363_683
; %bb.676:                              ;   in Loop: Header=BB363_11 Depth=1
	v_lshrrev_b32_e32 v78, 24, v30
	v_bfrev_b32_e32 v77, 1
	s_mov_b32 s18, exec_lo
	s_delay_alu instid0(VALU_DEP_2)
	v_cmpx_ne_u32_e32 0x80, v78
	s_cbranch_execz .LBB363_682
; %bb.677:                              ;   in Loop: Header=BB363_11 Depth=1
	v_and_b32_e32 v32, 0x7f, v78
	v_mov_b32_e32 v77, 0x7fc02000
	s_mov_b32 s19, exec_lo
	s_delay_alu instid0(VALU_DEP_2)
	v_cmpx_ne_u32_e32 0x7f, v32
	s_cbranch_execz .LBB363_681
; %bb.678:                              ;   in Loop: Header=BB363_11 Depth=1
	v_and_b32_e32 v8, 7, v78
	v_lshrrev_b32_e32 v77, 3, v32
	v_cmp_gt_u32_e64 s1, 8, v32
	s_delay_alu instid0(VALU_DEP_3) | instskip(NEXT) | instid1(VALU_DEP_2)
	v_dual_mov_b32 v33, v9 :: v_dual_mov_b32 v32, v8
	s_and_saveexec_b32 s20, s1
; %bb.679:                              ;   in Loop: Header=BB363_11 Depth=1
	v_clz_i32_u32_e32 v32, v8
	s_delay_alu instid0(VALU_DEP_1) | instskip(NEXT) | instid1(VALU_DEP_1)
	v_min_u32_e32 v77, 32, v32
	v_subrev_nc_u32_e32 v32, 28, v77
	v_sub_nc_u32_e32 v77, 29, v77
	s_delay_alu instid0(VALU_DEP_2) | instskip(NEXT) | instid1(VALU_DEP_1)
	v_lshlrev_b64 v[32:33], v32, v[8:9]
	v_and_b32_e32 v32, 7, v32
; %bb.680:                              ;   in Loop: Header=BB363_11 Depth=1
	s_or_b32 exec_lo, exec_lo, s20
	v_lshlrev_b32_e32 v8, 8, v78
	v_lshl_add_u32 v33, v77, 10, 0x2000
	s_delay_alu instid0(VALU_DEP_1) | instskip(NEXT) | instid1(VALU_DEP_1)
	v_and_or_b32 v8, 0x8000, v8, v33
	v_lshl_or_b32 v8, v32, 7, v8
	s_delay_alu instid0(VALU_DEP_1)
	v_cvt_f32_f16_e32 v77, v8
.LBB363_681:                            ;   in Loop: Header=BB363_11 Depth=1
	s_or_b32 exec_lo, exec_lo, s19
.LBB363_682:                            ;   in Loop: Header=BB363_11 Depth=1
	s_delay_alu instid0(SALU_CYCLE_1)
	s_or_b32 exec_lo, exec_lo, s18
.LBB363_683:                            ;   in Loop: Header=BB363_11 Depth=1
	s_delay_alu instid0(SALU_CYCLE_1) | instskip(SKIP_3) | instid1(VALU_DEP_2)
	s_or_b32 exec_lo, exec_lo, s2
	v_and_b32_e32 v32, 0xff, v31
	v_mov_b32_e32 v8, v31
	s_mov_b32 s2, exec_lo
	v_cmpx_ne_u16_e32 0, v32
	s_cbranch_execz .LBB363_691
; %bb.684:                              ;   in Loop: Header=BB363_11 Depth=1
	v_bfrev_b32_e32 v76, 1
	s_mov_b32 s18, exec_lo
	v_cmpx_ne_u16_e32 0x80, v32
	s_cbranch_execz .LBB363_690
; %bb.685:                              ;   in Loop: Header=BB363_11 Depth=1
	v_and_b32_e32 v32, 0x7f, v31
	v_mov_b32_e32 v76, 0x7fc02000
	s_mov_b32 s19, exec_lo
	s_delay_alu instid0(VALU_DEP_2)
	v_cmpx_ne_u32_e32 0x7f, v32
	s_cbranch_execz .LBB363_689
; %bb.686:                              ;   in Loop: Header=BB363_11 Depth=1
	v_lshrrev_b32_e32 v76, 3, v32
	v_cmp_gt_u32_e64 s1, 8, v32
	v_dual_mov_b32 v33, v9 :: v_dual_mov_b32 v32, v8
	s_delay_alu instid0(VALU_DEP_2)
	s_and_saveexec_b32 s20, s1
; %bb.687:                              ;   in Loop: Header=BB363_11 Depth=1
	v_and_b32_e32 v32, 7, v31
	s_delay_alu instid0(VALU_DEP_1) | instskip(NEXT) | instid1(VALU_DEP_1)
	v_clz_i32_u32_e32 v32, v32
	v_min_u32_e32 v76, 32, v32
	s_delay_alu instid0(VALU_DEP_1) | instskip(SKIP_1) | instid1(VALU_DEP_2)
	v_subrev_nc_u32_e32 v32, 28, v76
	v_sub_nc_u32_e32 v76, 29, v76
	v_lshlrev_b64 v[32:33], v32, v[8:9]
; %bb.688:                              ;   in Loop: Header=BB363_11 Depth=1
	s_or_b32 exec_lo, exec_lo, s20
	v_lshlrev_b32_e32 v33, 8, v31
	s_delay_alu instid0(VALU_DEP_3) | instskip(NEXT) | instid1(VALU_DEP_3)
	v_lshl_add_u32 v76, v76, 10, 0x2000
	v_lshlrev_b32_e32 v32, 7, v32
	s_delay_alu instid0(VALU_DEP_2) | instskip(NEXT) | instid1(VALU_DEP_1)
	v_and_or_b32 v33, 0x8000, v33, v76
	v_and_or_b32 v32, 0x380, v32, v33
	s_delay_alu instid0(VALU_DEP_1)
	v_cvt_f32_f16_e32 v76, v32
.LBB363_689:                            ;   in Loop: Header=BB363_11 Depth=1
	s_or_b32 exec_lo, exec_lo, s19
.LBB363_690:                            ;   in Loop: Header=BB363_11 Depth=1
	s_delay_alu instid0(SALU_CYCLE_1)
	s_or_b32 exec_lo, exec_lo, s18
.LBB363_691:                            ;   in Loop: Header=BB363_11 Depth=1
	s_delay_alu instid0(SALU_CYCLE_1) | instskip(SKIP_3) | instid1(VALU_DEP_2)
	s_or_b32 exec_lo, exec_lo, s2
	v_lshrrev_b16 v8, 8, v8
	v_dual_mov_b32 v78, 0 :: v_dual_mov_b32 v79, 0
	s_mov_b32 s2, exec_lo
	v_cmpx_ne_u16_e32 0, v8
	s_cbranch_execz .LBB363_699
; %bb.692:                              ;   in Loop: Header=BB363_11 Depth=1
	v_bfrev_b32_e32 v79, 1
	s_mov_b32 s18, exec_lo
	v_cmpx_ne_u16_e32 0x80, v8
	s_cbranch_execz .LBB363_698
; %bb.693:                              ;   in Loop: Header=BB363_11 Depth=1
	v_and_b32_e32 v88, 0xffff, v8
	v_mov_b32_e32 v79, 0x7fc02000
	s_mov_b32 s19, exec_lo
	s_delay_alu instid0(VALU_DEP_2) | instskip(NEXT) | instid1(VALU_DEP_1)
	v_and_b32_e32 v32, 0x7f, v88
	v_cmpx_ne_u32_e32 0x7f, v32
	s_cbranch_execz .LBB363_697
; %bb.694:                              ;   in Loop: Header=BB363_11 Depth=1
	v_and_b32_e32 v8, 7, v88
	v_lshrrev_b32_e32 v79, 3, v32
	v_cmp_gt_u32_e64 s1, 8, v32
	s_delay_alu instid0(VALU_DEP_3) | instskip(NEXT) | instid1(VALU_DEP_2)
	v_dual_mov_b32 v33, v9 :: v_dual_mov_b32 v32, v8
	s_and_saveexec_b32 s20, s1
; %bb.695:                              ;   in Loop: Header=BB363_11 Depth=1
	v_clz_i32_u32_e32 v32, v8
	s_delay_alu instid0(VALU_DEP_1) | instskip(NEXT) | instid1(VALU_DEP_1)
	v_min_u32_e32 v79, 32, v32
	v_subrev_nc_u32_e32 v32, 28, v79
	v_sub_nc_u32_e32 v79, 29, v79
	s_delay_alu instid0(VALU_DEP_2) | instskip(NEXT) | instid1(VALU_DEP_1)
	v_lshlrev_b64 v[32:33], v32, v[8:9]
	v_and_b32_e32 v32, 7, v32
; %bb.696:                              ;   in Loop: Header=BB363_11 Depth=1
	s_or_b32 exec_lo, exec_lo, s20
	v_lshlrev_b32_e32 v8, 8, v88
	v_lshl_add_u32 v33, v79, 10, 0x2000
	s_delay_alu instid0(VALU_DEP_1) | instskip(NEXT) | instid1(VALU_DEP_1)
	v_and_or_b32 v8, 0x8000, v8, v33
	v_lshl_or_b32 v8, v32, 7, v8
	s_delay_alu instid0(VALU_DEP_1)
	v_cvt_f32_f16_e32 v79, v8
.LBB363_697:                            ;   in Loop: Header=BB363_11 Depth=1
	s_or_b32 exec_lo, exec_lo, s19
.LBB363_698:                            ;   in Loop: Header=BB363_11 Depth=1
	s_delay_alu instid0(SALU_CYCLE_1)
	s_or_b32 exec_lo, exec_lo, s18
.LBB363_699:                            ;   in Loop: Header=BB363_11 Depth=1
	s_delay_alu instid0(SALU_CYCLE_1) | instskip(SKIP_2) | instid1(VALU_DEP_1)
	s_or_b32 exec_lo, exec_lo, s2
	v_lshrrev_b32_e32 v88, 16, v31
	s_mov_b32 s2, exec_lo
	v_and_b32_e32 v8, 0xff, v88
	s_delay_alu instid0(VALU_DEP_1)
	v_cmpx_ne_u16_e32 0, v8
	s_cbranch_execz .LBB363_707
; %bb.700:                              ;   in Loop: Header=BB363_11 Depth=1
	v_bfrev_b32_e32 v78, 1
	s_mov_b32 s18, exec_lo
	v_cmpx_ne_u16_e32 0x80, v8
	s_cbranch_execz .LBB363_706
; %bb.701:                              ;   in Loop: Header=BB363_11 Depth=1
	v_bfe_u32 v32, v31, 16, 7
	v_mov_b32_e32 v78, 0x7fc02000
	s_mov_b32 s19, exec_lo
	s_delay_alu instid0(VALU_DEP_2)
	v_cmpx_ne_u32_e32 0x7f, v32
	s_cbranch_execz .LBB363_705
; %bb.702:                              ;   in Loop: Header=BB363_11 Depth=1
	v_and_b32_e32 v8, 7, v88
	v_lshrrev_b32_e32 v78, 3, v32
	v_cmp_gt_u32_e64 s1, 8, v32
	s_delay_alu instid0(VALU_DEP_3) | instskip(NEXT) | instid1(VALU_DEP_2)
	v_dual_mov_b32 v33, v9 :: v_dual_mov_b32 v32, v8
	s_and_saveexec_b32 s20, s1
; %bb.703:                              ;   in Loop: Header=BB363_11 Depth=1
	v_clz_i32_u32_e32 v32, v8
	s_delay_alu instid0(VALU_DEP_1) | instskip(NEXT) | instid1(VALU_DEP_1)
	v_min_u32_e32 v78, 32, v32
	v_subrev_nc_u32_e32 v32, 28, v78
	v_sub_nc_u32_e32 v78, 29, v78
	s_delay_alu instid0(VALU_DEP_2) | instskip(NEXT) | instid1(VALU_DEP_1)
	v_lshlrev_b64 v[32:33], v32, v[8:9]
	v_and_b32_e32 v32, 7, v32
; %bb.704:                              ;   in Loop: Header=BB363_11 Depth=1
	s_or_b32 exec_lo, exec_lo, s20
	v_lshlrev_b32_e32 v8, 8, v88
	v_lshl_add_u32 v33, v78, 10, 0x2000
	s_delay_alu instid0(VALU_DEP_1) | instskip(NEXT) | instid1(VALU_DEP_1)
	v_and_or_b32 v8, 0x8000, v8, v33
	v_lshl_or_b32 v8, v32, 7, v8
	s_delay_alu instid0(VALU_DEP_1)
	v_cvt_f32_f16_e32 v78, v8
.LBB363_705:                            ;   in Loop: Header=BB363_11 Depth=1
	s_or_b32 exec_lo, exec_lo, s19
.LBB363_706:                            ;   in Loop: Header=BB363_11 Depth=1
	s_delay_alu instid0(SALU_CYCLE_1)
	s_or_b32 exec_lo, exec_lo, s18
.LBB363_707:                            ;   in Loop: Header=BB363_11 Depth=1
	s_delay_alu instid0(SALU_CYCLE_1)
	s_or_b32 exec_lo, exec_lo, s2
	v_dual_mov_b32 v32, 0 :: v_dual_mov_b32 v89, 0
	s_mov_b32 s2, exec_lo
	v_cmpx_lt_u64_e64 s[8:9], v[30:31]
	s_cbranch_execz .LBB363_715
; %bb.708:                              ;   in Loop: Header=BB363_11 Depth=1
	v_lshrrev_b32_e32 v33, 24, v31
	v_bfrev_b32_e32 v89, 1
	s_mov_b32 s18, exec_lo
	s_delay_alu instid0(VALU_DEP_2)
	v_cmpx_ne_u32_e32 0x80, v33
	s_cbranch_execz .LBB363_714
; %bb.709:                              ;   in Loop: Header=BB363_11 Depth=1
	v_and_b32_e32 v30, 0x7f, v33
	v_mov_b32_e32 v89, 0x7fc02000
	s_mov_b32 s19, exec_lo
	s_delay_alu instid0(VALU_DEP_2)
	v_cmpx_ne_u32_e32 0x7f, v30
	s_cbranch_execz .LBB363_713
; %bb.710:                              ;   in Loop: Header=BB363_11 Depth=1
	v_and_b32_e32 v8, 7, v33
	v_lshrrev_b32_e32 v88, 3, v30
	v_cmp_gt_u32_e64 s1, 8, v30
	s_delay_alu instid0(VALU_DEP_3) | instskip(NEXT) | instid1(VALU_DEP_2)
	v_dual_mov_b32 v31, v9 :: v_dual_mov_b32 v30, v8
	s_and_saveexec_b32 s20, s1
; %bb.711:                              ;   in Loop: Header=BB363_11 Depth=1
	v_clz_i32_u32_e32 v30, v8
	s_delay_alu instid0(VALU_DEP_1) | instskip(NEXT) | instid1(VALU_DEP_1)
	v_min_u32_e32 v88, 32, v30
	v_subrev_nc_u32_e32 v30, 28, v88
	v_sub_nc_u32_e32 v88, 29, v88
	s_delay_alu instid0(VALU_DEP_2) | instskip(NEXT) | instid1(VALU_DEP_1)
	v_lshlrev_b64 v[30:31], v30, v[8:9]
	v_and_b32_e32 v30, 7, v30
; %bb.712:                              ;   in Loop: Header=BB363_11 Depth=1
	s_or_b32 exec_lo, exec_lo, s20
	v_lshlrev_b32_e32 v8, 8, v33
	v_lshl_add_u32 v31, v88, 10, 0x2000
	s_delay_alu instid0(VALU_DEP_1) | instskip(NEXT) | instid1(VALU_DEP_1)
	v_and_or_b32 v8, 0x8000, v8, v31
	v_lshl_or_b32 v8, v30, 7, v8
	s_delay_alu instid0(VALU_DEP_1)
	v_cvt_f32_f16_e32 v89, v8
.LBB363_713:                            ;   in Loop: Header=BB363_11 Depth=1
	s_or_b32 exec_lo, exec_lo, s19
.LBB363_714:                            ;   in Loop: Header=BB363_11 Depth=1
	s_delay_alu instid0(SALU_CYCLE_1)
	s_or_b32 exec_lo, exec_lo, s18
.LBB363_715:                            ;   in Loop: Header=BB363_11 Depth=1
	s_delay_alu instid0(SALU_CYCLE_1) | instskip(SKIP_4) | instid1(VALU_DEP_1)
	s_or_b32 exec_lo, exec_lo, s2
	flat_load_b64 v[28:29], v[28:29] offset:2568
	s_mov_b32 s2, exec_lo
	s_waitcnt vmcnt(0) lgkmcnt(0)
	v_and_b32_e32 v8, 0xff, v28
	v_cmpx_ne_u16_e32 0, v8
	s_cbranch_execz .LBB363_723
; %bb.716:                              ;   in Loop: Header=BB363_11 Depth=1
	v_bfrev_b32_e32 v32, 1
	s_mov_b32 s18, exec_lo
	v_cmpx_ne_u16_e32 0x80, v8
	s_cbranch_execz .LBB363_722
; %bb.717:                              ;   in Loop: Header=BB363_11 Depth=1
	v_and_b32_e32 v30, 0x7f, v28
	v_mov_b32_e32 v32, 0x7fc02000
	s_mov_b32 s19, exec_lo
	s_delay_alu instid0(VALU_DEP_2)
	v_cmpx_ne_u32_e32 0x7f, v30
	s_cbranch_execz .LBB363_721
; %bb.718:                              ;   in Loop: Header=BB363_11 Depth=1
	v_lshrrev_b32_e32 v8, 3, v30
	v_cmp_gt_u32_e64 s1, 8, v30
	v_dual_mov_b32 v31, v29 :: v_dual_mov_b32 v30, v28
	s_delay_alu instid0(VALU_DEP_2)
	s_and_saveexec_b32 s20, s1
; %bb.719:                              ;   in Loop: Header=BB363_11 Depth=1
	v_and_b32_e32 v8, 7, v28
	s_delay_alu instid0(VALU_DEP_1) | instskip(NEXT) | instid1(VALU_DEP_1)
	v_clz_i32_u32_e32 v8, v8
	v_min_u32_e32 v8, 32, v8
	s_delay_alu instid0(VALU_DEP_1) | instskip(SKIP_1) | instid1(VALU_DEP_2)
	v_subrev_nc_u32_e32 v30, 28, v8
	v_sub_nc_u32_e32 v8, 29, v8
	v_lshlrev_b64 v[30:31], v30, v[28:29]
; %bb.720:                              ;   in Loop: Header=BB363_11 Depth=1
	s_or_b32 exec_lo, exec_lo, s20
	v_lshlrev_b32_e32 v31, 8, v28
	s_delay_alu instid0(VALU_DEP_3) | instskip(NEXT) | instid1(VALU_DEP_3)
	v_lshl_add_u32 v8, v8, 10, 0x2000
	v_lshlrev_b32_e32 v30, 7, v30
	s_delay_alu instid0(VALU_DEP_2) | instskip(NEXT) | instid1(VALU_DEP_1)
	v_and_or_b32 v8, 0x8000, v31, v8
	v_and_or_b32 v8, 0x380, v30, v8
	s_delay_alu instid0(VALU_DEP_1)
	v_cvt_f32_f16_e32 v32, v8
.LBB363_721:                            ;   in Loop: Header=BB363_11 Depth=1
	s_or_b32 exec_lo, exec_lo, s19
.LBB363_722:                            ;   in Loop: Header=BB363_11 Depth=1
	s_delay_alu instid0(SALU_CYCLE_1)
	s_or_b32 exec_lo, exec_lo, s18
.LBB363_723:                            ;   in Loop: Header=BB363_11 Depth=1
	s_delay_alu instid0(SALU_CYCLE_1) | instskip(SKIP_3) | instid1(VALU_DEP_2)
	s_or_b32 exec_lo, exec_lo, s2
	v_lshrrev_b16 v8, 8, v28
	v_dual_mov_b32 v33, 0 :: v_dual_mov_b32 v88, 0
	s_mov_b32 s2, exec_lo
	v_cmpx_ne_u16_e32 0, v8
	s_cbranch_execz .LBB363_731
; %bb.724:                              ;   in Loop: Header=BB363_11 Depth=1
	v_bfrev_b32_e32 v88, 1
	s_mov_b32 s18, exec_lo
	v_cmpx_ne_u16_e32 0x80, v8
	s_cbranch_execz .LBB363_730
; %bb.725:                              ;   in Loop: Header=BB363_11 Depth=1
	v_and_b32_e32 v90, 0xffff, v8
	v_mov_b32_e32 v88, 0x7fc02000
	s_mov_b32 s19, exec_lo
	s_delay_alu instid0(VALU_DEP_2) | instskip(NEXT) | instid1(VALU_DEP_1)
	v_and_b32_e32 v30, 0x7f, v90
	v_cmpx_ne_u32_e32 0x7f, v30
	s_cbranch_execz .LBB363_729
; %bb.726:                              ;   in Loop: Header=BB363_11 Depth=1
	v_and_b32_e32 v8, 7, v90
	v_lshrrev_b32_e32 v88, 3, v30
	v_cmp_gt_u32_e64 s1, 8, v30
	s_delay_alu instid0(VALU_DEP_3) | instskip(NEXT) | instid1(VALU_DEP_2)
	v_dual_mov_b32 v31, v9 :: v_dual_mov_b32 v30, v8
	s_and_saveexec_b32 s20, s1
; %bb.727:                              ;   in Loop: Header=BB363_11 Depth=1
	v_clz_i32_u32_e32 v30, v8
	s_delay_alu instid0(VALU_DEP_1) | instskip(NEXT) | instid1(VALU_DEP_1)
	v_min_u32_e32 v88, 32, v30
	v_subrev_nc_u32_e32 v30, 28, v88
	v_sub_nc_u32_e32 v88, 29, v88
	s_delay_alu instid0(VALU_DEP_2) | instskip(NEXT) | instid1(VALU_DEP_1)
	v_lshlrev_b64 v[30:31], v30, v[8:9]
	v_and_b32_e32 v30, 7, v30
; %bb.728:                              ;   in Loop: Header=BB363_11 Depth=1
	s_or_b32 exec_lo, exec_lo, s20
	v_lshlrev_b32_e32 v8, 8, v90
	v_lshl_add_u32 v31, v88, 10, 0x2000
	s_delay_alu instid0(VALU_DEP_1) | instskip(NEXT) | instid1(VALU_DEP_1)
	v_and_or_b32 v8, 0x8000, v8, v31
	v_lshl_or_b32 v8, v30, 7, v8
	s_delay_alu instid0(VALU_DEP_1)
	v_cvt_f32_f16_e32 v88, v8
.LBB363_729:                            ;   in Loop: Header=BB363_11 Depth=1
	s_or_b32 exec_lo, exec_lo, s19
.LBB363_730:                            ;   in Loop: Header=BB363_11 Depth=1
	s_delay_alu instid0(SALU_CYCLE_1)
	s_or_b32 exec_lo, exec_lo, s18
.LBB363_731:                            ;   in Loop: Header=BB363_11 Depth=1
	s_delay_alu instid0(SALU_CYCLE_1) | instskip(SKIP_2) | instid1(VALU_DEP_1)
	s_or_b32 exec_lo, exec_lo, s2
	v_lshrrev_b32_e32 v90, 16, v28
	s_mov_b32 s2, exec_lo
	v_and_b32_e32 v8, 0xff, v90
	s_delay_alu instid0(VALU_DEP_1)
	v_cmpx_ne_u16_e32 0, v8
	s_cbranch_execz .LBB363_739
; %bb.732:                              ;   in Loop: Header=BB363_11 Depth=1
	v_bfrev_b32_e32 v33, 1
	s_mov_b32 s18, exec_lo
	v_cmpx_ne_u16_e32 0x80, v8
	s_cbranch_execz .LBB363_738
; %bb.733:                              ;   in Loop: Header=BB363_11 Depth=1
	v_bfe_u32 v30, v28, 16, 7
	v_mov_b32_e32 v33, 0x7fc02000
	s_mov_b32 s19, exec_lo
	s_delay_alu instid0(VALU_DEP_2)
	v_cmpx_ne_u32_e32 0x7f, v30
	s_cbranch_execz .LBB363_737
; %bb.734:                              ;   in Loop: Header=BB363_11 Depth=1
	v_and_b32_e32 v8, 7, v90
	v_lshrrev_b32_e32 v33, 3, v30
	v_cmp_gt_u32_e64 s1, 8, v30
	s_delay_alu instid0(VALU_DEP_3) | instskip(NEXT) | instid1(VALU_DEP_2)
	v_dual_mov_b32 v31, v9 :: v_dual_mov_b32 v30, v8
	s_and_saveexec_b32 s20, s1
; %bb.735:                              ;   in Loop: Header=BB363_11 Depth=1
	v_clz_i32_u32_e32 v30, v8
	s_delay_alu instid0(VALU_DEP_1) | instskip(NEXT) | instid1(VALU_DEP_1)
	v_min_u32_e32 v33, 32, v30
	v_subrev_nc_u32_e32 v30, 28, v33
	v_sub_nc_u32_e32 v33, 29, v33
	s_delay_alu instid0(VALU_DEP_2) | instskip(NEXT) | instid1(VALU_DEP_1)
	v_lshlrev_b64 v[30:31], v30, v[8:9]
	v_and_b32_e32 v30, 7, v30
; %bb.736:                              ;   in Loop: Header=BB363_11 Depth=1
	s_or_b32 exec_lo, exec_lo, s20
	v_lshlrev_b32_e32 v8, 8, v90
	v_lshl_add_u32 v31, v33, 10, 0x2000
	s_delay_alu instid0(VALU_DEP_1) | instskip(NEXT) | instid1(VALU_DEP_1)
	v_and_or_b32 v8, 0x8000, v8, v31
	v_lshl_or_b32 v8, v30, 7, v8
	s_delay_alu instid0(VALU_DEP_1)
	v_cvt_f32_f16_e32 v33, v8
.LBB363_737:                            ;   in Loop: Header=BB363_11 Depth=1
	s_or_b32 exec_lo, exec_lo, s19
.LBB363_738:                            ;   in Loop: Header=BB363_11 Depth=1
	s_delay_alu instid0(SALU_CYCLE_1)
	s_or_b32 exec_lo, exec_lo, s18
.LBB363_739:                            ;   in Loop: Header=BB363_11 Depth=1
	s_delay_alu instid0(SALU_CYCLE_1)
	s_or_b32 exec_lo, exec_lo, s2
	v_dual_mov_b32 v90, 0 :: v_dual_mov_b32 v91, 0
	s_mov_b32 s2, exec_lo
	v_cmpx_lt_u32_e32 0xffffff, v28
	s_cbranch_execz .LBB363_747
; %bb.740:                              ;   in Loop: Header=BB363_11 Depth=1
	v_lshrrev_b32_e32 v92, 24, v28
	v_bfrev_b32_e32 v91, 1
	s_mov_b32 s18, exec_lo
	s_delay_alu instid0(VALU_DEP_2)
	v_cmpx_ne_u32_e32 0x80, v92
	s_cbranch_execz .LBB363_746
; %bb.741:                              ;   in Loop: Header=BB363_11 Depth=1
	v_and_b32_e32 v30, 0x7f, v92
	v_mov_b32_e32 v91, 0x7fc02000
	s_mov_b32 s19, exec_lo
	s_delay_alu instid0(VALU_DEP_2)
	v_cmpx_ne_u32_e32 0x7f, v30
	s_cbranch_execz .LBB363_745
; %bb.742:                              ;   in Loop: Header=BB363_11 Depth=1
	v_and_b32_e32 v8, 7, v92
	v_lshrrev_b32_e32 v91, 3, v30
	v_cmp_gt_u32_e64 s1, 8, v30
	s_delay_alu instid0(VALU_DEP_3) | instskip(NEXT) | instid1(VALU_DEP_2)
	v_dual_mov_b32 v31, v9 :: v_dual_mov_b32 v30, v8
	s_and_saveexec_b32 s20, s1
; %bb.743:                              ;   in Loop: Header=BB363_11 Depth=1
	v_clz_i32_u32_e32 v30, v8
	s_delay_alu instid0(VALU_DEP_1) | instskip(NEXT) | instid1(VALU_DEP_1)
	v_min_u32_e32 v91, 32, v30
	v_subrev_nc_u32_e32 v30, 28, v91
	v_sub_nc_u32_e32 v91, 29, v91
	s_delay_alu instid0(VALU_DEP_2) | instskip(NEXT) | instid1(VALU_DEP_1)
	v_lshlrev_b64 v[30:31], v30, v[8:9]
	v_and_b32_e32 v30, 7, v30
; %bb.744:                              ;   in Loop: Header=BB363_11 Depth=1
	s_or_b32 exec_lo, exec_lo, s20
	v_lshlrev_b32_e32 v8, 8, v92
	v_lshl_add_u32 v31, v91, 10, 0x2000
	s_delay_alu instid0(VALU_DEP_1) | instskip(NEXT) | instid1(VALU_DEP_1)
	v_and_or_b32 v8, 0x8000, v8, v31
	v_lshl_or_b32 v8, v30, 7, v8
	s_delay_alu instid0(VALU_DEP_1)
	v_cvt_f32_f16_e32 v91, v8
.LBB363_745:                            ;   in Loop: Header=BB363_11 Depth=1
	s_or_b32 exec_lo, exec_lo, s19
.LBB363_746:                            ;   in Loop: Header=BB363_11 Depth=1
	s_delay_alu instid0(SALU_CYCLE_1)
	s_or_b32 exec_lo, exec_lo, s18
.LBB363_747:                            ;   in Loop: Header=BB363_11 Depth=1
	s_delay_alu instid0(SALU_CYCLE_1) | instskip(SKIP_3) | instid1(VALU_DEP_2)
	s_or_b32 exec_lo, exec_lo, s2
	v_and_b32_e32 v30, 0xff, v29
	v_mov_b32_e32 v8, v29
	s_mov_b32 s2, exec_lo
	v_cmpx_ne_u16_e32 0, v30
	s_cbranch_execz .LBB363_755
; %bb.748:                              ;   in Loop: Header=BB363_11 Depth=1
	v_bfrev_b32_e32 v90, 1
	s_mov_b32 s18, exec_lo
	v_cmpx_ne_u16_e32 0x80, v30
	s_cbranch_execz .LBB363_754
; %bb.749:                              ;   in Loop: Header=BB363_11 Depth=1
	v_and_b32_e32 v30, 0x7f, v29
	v_mov_b32_e32 v90, 0x7fc02000
	s_mov_b32 s19, exec_lo
	s_delay_alu instid0(VALU_DEP_2)
	v_cmpx_ne_u32_e32 0x7f, v30
	s_cbranch_execz .LBB363_753
; %bb.750:                              ;   in Loop: Header=BB363_11 Depth=1
	v_lshrrev_b32_e32 v90, 3, v30
	v_cmp_gt_u32_e64 s1, 8, v30
	v_dual_mov_b32 v31, v9 :: v_dual_mov_b32 v30, v8
	s_delay_alu instid0(VALU_DEP_2)
	s_and_saveexec_b32 s20, s1
; %bb.751:                              ;   in Loop: Header=BB363_11 Depth=1
	v_and_b32_e32 v30, 7, v29
	s_delay_alu instid0(VALU_DEP_1) | instskip(NEXT) | instid1(VALU_DEP_1)
	v_clz_i32_u32_e32 v30, v30
	v_min_u32_e32 v90, 32, v30
	s_delay_alu instid0(VALU_DEP_1) | instskip(SKIP_1) | instid1(VALU_DEP_2)
	v_subrev_nc_u32_e32 v30, 28, v90
	v_sub_nc_u32_e32 v90, 29, v90
	v_lshlrev_b64 v[30:31], v30, v[8:9]
; %bb.752:                              ;   in Loop: Header=BB363_11 Depth=1
	s_or_b32 exec_lo, exec_lo, s20
	v_lshlrev_b32_e32 v31, 8, v29
	s_delay_alu instid0(VALU_DEP_3) | instskip(NEXT) | instid1(VALU_DEP_3)
	v_lshl_add_u32 v90, v90, 10, 0x2000
	v_lshlrev_b32_e32 v30, 7, v30
	s_delay_alu instid0(VALU_DEP_2) | instskip(NEXT) | instid1(VALU_DEP_1)
	v_and_or_b32 v31, 0x8000, v31, v90
	v_and_or_b32 v30, 0x380, v30, v31
	s_delay_alu instid0(VALU_DEP_1)
	v_cvt_f32_f16_e32 v90, v30
.LBB363_753:                            ;   in Loop: Header=BB363_11 Depth=1
	s_or_b32 exec_lo, exec_lo, s19
.LBB363_754:                            ;   in Loop: Header=BB363_11 Depth=1
	s_delay_alu instid0(SALU_CYCLE_1)
	s_or_b32 exec_lo, exec_lo, s18
.LBB363_755:                            ;   in Loop: Header=BB363_11 Depth=1
	s_delay_alu instid0(SALU_CYCLE_1) | instskip(SKIP_3) | instid1(VALU_DEP_2)
	s_or_b32 exec_lo, exec_lo, s2
	v_lshrrev_b16 v8, 8, v8
	v_dual_mov_b32 v92, 0 :: v_dual_mov_b32 v93, 0
	s_mov_b32 s2, exec_lo
	v_cmpx_ne_u16_e32 0, v8
	s_cbranch_execz .LBB363_763
; %bb.756:                              ;   in Loop: Header=BB363_11 Depth=1
	v_bfrev_b32_e32 v93, 1
	s_mov_b32 s18, exec_lo
	v_cmpx_ne_u16_e32 0x80, v8
	s_cbranch_execz .LBB363_762
; %bb.757:                              ;   in Loop: Header=BB363_11 Depth=1
	v_and_b32_e32 v94, 0xffff, v8
	v_mov_b32_e32 v93, 0x7fc02000
	s_mov_b32 s19, exec_lo
	s_delay_alu instid0(VALU_DEP_2) | instskip(NEXT) | instid1(VALU_DEP_1)
	v_and_b32_e32 v30, 0x7f, v94
	v_cmpx_ne_u32_e32 0x7f, v30
	s_cbranch_execz .LBB363_761
; %bb.758:                              ;   in Loop: Header=BB363_11 Depth=1
	v_and_b32_e32 v8, 7, v94
	v_lshrrev_b32_e32 v93, 3, v30
	v_cmp_gt_u32_e64 s1, 8, v30
	s_delay_alu instid0(VALU_DEP_3) | instskip(NEXT) | instid1(VALU_DEP_2)
	v_dual_mov_b32 v31, v9 :: v_dual_mov_b32 v30, v8
	s_and_saveexec_b32 s20, s1
; %bb.759:                              ;   in Loop: Header=BB363_11 Depth=1
	v_clz_i32_u32_e32 v30, v8
	s_delay_alu instid0(VALU_DEP_1) | instskip(NEXT) | instid1(VALU_DEP_1)
	v_min_u32_e32 v93, 32, v30
	v_subrev_nc_u32_e32 v30, 28, v93
	v_sub_nc_u32_e32 v93, 29, v93
	s_delay_alu instid0(VALU_DEP_2) | instskip(NEXT) | instid1(VALU_DEP_1)
	v_lshlrev_b64 v[30:31], v30, v[8:9]
	v_and_b32_e32 v30, 7, v30
; %bb.760:                              ;   in Loop: Header=BB363_11 Depth=1
	s_or_b32 exec_lo, exec_lo, s20
	v_lshlrev_b32_e32 v8, 8, v94
	v_lshl_add_u32 v31, v93, 10, 0x2000
	s_delay_alu instid0(VALU_DEP_1) | instskip(NEXT) | instid1(VALU_DEP_1)
	v_and_or_b32 v8, 0x8000, v8, v31
	v_lshl_or_b32 v8, v30, 7, v8
	s_delay_alu instid0(VALU_DEP_1)
	v_cvt_f32_f16_e32 v93, v8
.LBB363_761:                            ;   in Loop: Header=BB363_11 Depth=1
	s_or_b32 exec_lo, exec_lo, s19
.LBB363_762:                            ;   in Loop: Header=BB363_11 Depth=1
	s_delay_alu instid0(SALU_CYCLE_1)
	s_or_b32 exec_lo, exec_lo, s18
.LBB363_763:                            ;   in Loop: Header=BB363_11 Depth=1
	s_delay_alu instid0(SALU_CYCLE_1) | instskip(SKIP_2) | instid1(VALU_DEP_1)
	s_or_b32 exec_lo, exec_lo, s2
	v_lshrrev_b32_e32 v94, 16, v29
	s_mov_b32 s2, exec_lo
	v_and_b32_e32 v8, 0xff, v94
	s_delay_alu instid0(VALU_DEP_1)
	v_cmpx_ne_u16_e32 0, v8
	s_cbranch_execz .LBB363_771
; %bb.764:                              ;   in Loop: Header=BB363_11 Depth=1
	v_bfrev_b32_e32 v92, 1
	s_mov_b32 s18, exec_lo
	v_cmpx_ne_u16_e32 0x80, v8
	s_cbranch_execz .LBB363_770
; %bb.765:                              ;   in Loop: Header=BB363_11 Depth=1
	v_bfe_u32 v30, v29, 16, 7
	v_mov_b32_e32 v92, 0x7fc02000
	s_mov_b32 s19, exec_lo
	s_delay_alu instid0(VALU_DEP_2)
	v_cmpx_ne_u32_e32 0x7f, v30
	s_cbranch_execz .LBB363_769
; %bb.766:                              ;   in Loop: Header=BB363_11 Depth=1
	v_and_b32_e32 v8, 7, v94
	v_lshrrev_b32_e32 v92, 3, v30
	v_cmp_gt_u32_e64 s1, 8, v30
	s_delay_alu instid0(VALU_DEP_3) | instskip(NEXT) | instid1(VALU_DEP_2)
	v_dual_mov_b32 v31, v9 :: v_dual_mov_b32 v30, v8
	s_and_saveexec_b32 s20, s1
; %bb.767:                              ;   in Loop: Header=BB363_11 Depth=1
	v_clz_i32_u32_e32 v30, v8
	s_delay_alu instid0(VALU_DEP_1) | instskip(NEXT) | instid1(VALU_DEP_1)
	v_min_u32_e32 v92, 32, v30
	v_subrev_nc_u32_e32 v30, 28, v92
	v_sub_nc_u32_e32 v92, 29, v92
	s_delay_alu instid0(VALU_DEP_2) | instskip(NEXT) | instid1(VALU_DEP_1)
	v_lshlrev_b64 v[30:31], v30, v[8:9]
	v_and_b32_e32 v30, 7, v30
; %bb.768:                              ;   in Loop: Header=BB363_11 Depth=1
	s_or_b32 exec_lo, exec_lo, s20
	v_lshlrev_b32_e32 v8, 8, v94
	v_lshl_add_u32 v31, v92, 10, 0x2000
	s_delay_alu instid0(VALU_DEP_1) | instskip(NEXT) | instid1(VALU_DEP_1)
	v_and_or_b32 v8, 0x8000, v8, v31
	v_lshl_or_b32 v8, v30, 7, v8
	s_delay_alu instid0(VALU_DEP_1)
	v_cvt_f32_f16_e32 v92, v8
.LBB363_769:                            ;   in Loop: Header=BB363_11 Depth=1
	s_or_b32 exec_lo, exec_lo, s19
.LBB363_770:                            ;   in Loop: Header=BB363_11 Depth=1
	s_delay_alu instid0(SALU_CYCLE_1)
	s_or_b32 exec_lo, exec_lo, s18
.LBB363_771:                            ;   in Loop: Header=BB363_11 Depth=1
	s_delay_alu instid0(SALU_CYCLE_1)
	s_or_b32 exec_lo, exec_lo, s2
	v_mov_b32_e32 v8, 0
	s_mov_b32 s2, exec_lo
	v_cmpx_lt_u64_e64 s[8:9], v[28:29]
	s_cbranch_execz .LBB363_10
; %bb.772:                              ;   in Loop: Header=BB363_11 Depth=1
	v_lshrrev_b32_e32 v30, 24, v29
	v_bfrev_b32_e32 v8, 1
	s_mov_b32 s18, exec_lo
	s_delay_alu instid0(VALU_DEP_2)
	v_cmpx_ne_u32_e32 0x80, v30
	s_cbranch_execz .LBB363_9
; %bb.773:                              ;   in Loop: Header=BB363_11 Depth=1
	v_and_b32_e32 v28, 0x7f, v30
	v_mov_b32_e32 v8, 0x7fc02000
	s_mov_b32 s19, exec_lo
	s_delay_alu instid0(VALU_DEP_2)
	v_cmpx_ne_u32_e32 0x7f, v28
	s_cbranch_execz .LBB363_8
; %bb.774:                              ;   in Loop: Header=BB363_11 Depth=1
	v_and_b32_e32 v8, 7, v30
	v_lshrrev_b32_e32 v31, 3, v28
	v_cmp_gt_u32_e64 s1, 8, v28
	s_delay_alu instid0(VALU_DEP_3) | instskip(NEXT) | instid1(VALU_DEP_2)
	v_dual_mov_b32 v29, v9 :: v_dual_mov_b32 v28, v8
	s_and_saveexec_b32 s20, s1
	s_cbranch_execz .LBB363_7
; %bb.775:                              ;   in Loop: Header=BB363_11 Depth=1
	v_clz_i32_u32_e32 v28, v8
	s_delay_alu instid0(VALU_DEP_1) | instskip(NEXT) | instid1(VALU_DEP_1)
	v_min_u32_e32 v31, 32, v28
	v_subrev_nc_u32_e32 v28, 28, v31
	v_sub_nc_u32_e32 v31, 29, v31
	s_delay_alu instid0(VALU_DEP_2) | instskip(NEXT) | instid1(VALU_DEP_1)
	v_lshlrev_b64 v[28:29], v28, v[8:9]
	v_and_b32_e32 v28, 7, v28
	s_branch .LBB363_7
.LBB363_776:
	s_or_b32 exec_lo, exec_lo, s7
.LBB363_777:
	s_delay_alu instid0(SALU_CYCLE_1) | instskip(SKIP_2) | instid1(VALU_DEP_1)
	s_or_b32 exec_lo, exec_lo, s17
	v_mbcnt_lo_u32_b32 v8, -1, 0
	s_lshr_b32 s8, s13, 16
	v_xor_b32_e32 v9, 16, v8
	v_xor_b32_e32 v18, 8, v8
	;; [unrolled: 1-line block ×3, first 2 shown]
	s_delay_alu instid0(VALU_DEP_3) | instskip(SKIP_1) | instid1(VALU_DEP_4)
	v_cmp_gt_i32_e32 vcc_lo, 32, v9
	v_cndmask_b32_e32 v9, v8, v9, vcc_lo
	v_cmp_gt_i32_e32 vcc_lo, 32, v18
	v_dual_max_f32 v19, v51, v51 :: v_dual_cndmask_b32 v18, v8, v18
	s_delay_alu instid0(VALU_DEP_1) | instskip(NEXT) | instid1(VALU_DEP_4)
	v_lshlrev_b32_e32 v20, 2, v18
	v_lshlrev_b32_e32 v13, 2, v9
	ds_bpermute_b32 v9, v13, v51
	s_waitcnt lgkmcnt(0)
	v_max_f32_e32 v9, v9, v9
	s_delay_alu instid0(VALU_DEP_1) | instskip(SKIP_4) | instid1(VALU_DEP_1)
	v_max_f32_e32 v9, v19, v9
	v_xor_b32_e32 v19, 4, v8
	ds_bpermute_b32 v18, v20, v9
	v_cmp_gt_i32_e32 vcc_lo, 32, v19
	v_cndmask_b32_e32 v19, v8, v19, vcc_lo
	v_lshlrev_b32_e32 v21, 2, v19
	v_xor_b32_e32 v19, 2, v8
	s_delay_alu instid0(VALU_DEP_1) | instskip(SKIP_3) | instid1(VALU_DEP_2)
	v_cmp_gt_i32_e32 vcc_lo, 32, v19
	s_waitcnt lgkmcnt(0)
	v_dual_max_f32 v18, v18, v18 :: v_dual_cndmask_b32 v19, v8, v19
	v_cmp_gt_i32_e32 vcc_lo, 32, v24
	v_dual_cndmask_b32 v24, v8, v24 :: v_dual_lshlrev_b32 v19, 2, v19
	s_delay_alu instid0(VALU_DEP_3) | instskip(SKIP_4) | instid1(VALU_DEP_1)
	v_max_f32_e32 v9, v9, v18
	v_cmp_eq_u32_e32 vcc_lo, 0, v37
	ds_bpermute_b32 v18, v21, v9
	s_waitcnt lgkmcnt(0)
	v_max_f32_e32 v18, v18, v18
	v_max_f32_e32 v9, v9, v18
	ds_bpermute_b32 v18, v19, v9
	s_waitcnt lgkmcnt(0)
	v_max_f32_e32 v18, v18, v18
	s_delay_alu instid0(VALU_DEP_1)
	v_max_f32_e32 v8, v9, v18
	v_lshlrev_b32_e32 v18, 2, v24
	v_lshlrev_b32_e32 v24, 2, v36
	ds_bpermute_b32 v9, v18, v8
	s_and_saveexec_b32 s1, vcc_lo
	s_cbranch_execz .LBB363_779
; %bb.778:
	s_waitcnt lgkmcnt(0)
	v_dual_max_f32 v9, v9, v9 :: v_dual_max_f32 v8, v8, v8
	s_delay_alu instid0(VALU_DEP_1)
	v_max_f32_e32 v8, v8, v9
	ds_store_b32 v24, v8 offset:192
.LBB363_779:
	s_or_b32 exec_lo, exec_lo, s1
	v_cmp_gt_u32_e64 s1, 4, v37
	v_mov_b32_e32 v8, 0xff7fffff
	s_waitcnt lgkmcnt(0)
	s_barrier
	buffer_gl0_inv
	s_and_saveexec_b32 s2, s1
	s_cbranch_execz .LBB363_781
; %bb.780:
	ds_load_b32 v8, v49 offset:192
.LBB363_781:
	s_or_b32 exec_lo, exec_lo, s2
	s_waitcnt lgkmcnt(0)
	ds_bpermute_b32 v9, v19, v8
	v_max_f32_e32 v8, v8, v8
	v_subrev_nc_u32_e32 v28, s3, v23
	v_mov_b32_e32 v25, 0
	s_waitcnt lgkmcnt(0)
	v_max_f32_e32 v9, v9, v9
	s_delay_alu instid0(VALU_DEP_1) | instskip(SKIP_3) | instid1(VALU_DEP_1)
	v_max_f32_e32 v8, v8, v9
	ds_bpermute_b32 v9, v18, v8
	s_waitcnt lgkmcnt(0)
	v_max_f32_e32 v9, v9, v9
	v_max_f32_e32 v8, v8, v9
	v_lshl_add_u32 v9, v28, 5, s16
	ds_bpermute_b32 v8, v25, v8
	v_min_i32_e32 v9, v9, v35
	s_delay_alu instid0(VALU_DEP_1) | instskip(NEXT) | instid1(VALU_DEP_1)
	v_subrev_nc_u32_e32 v9, s16, v9
	v_cmp_lt_i32_e64 s2, v34, v9
	s_delay_alu instid0(VALU_DEP_1)
	s_and_saveexec_b32 s9, s2
	s_cbranch_execz .LBB363_785
; %bb.782:
	s_getpc_b64 s[18:19]
	s_add_u32 s18, s18, llvm.amdgcn.dynlds.offset.table@rel32@lo+4
	s_addc_u32 s19, s19, llvm.amdgcn.dynlds.offset.table@rel32@hi+12
	s_ashr_i32 s7, s6, 31
	v_mov_b32_e32 v25, 0
	s_lshl_b64 s[20:21], s[6:7], 2
	v_mov_b32_e32 v29, v34
	s_add_u32 s18, s20, s18
	s_addc_u32 s19, s21, s19
	s_mov_b32 s7, 0
	s_load_b32 s3, s[18:19], 0x0
	s_waitcnt lgkmcnt(0)
	v_lshl_add_u32 v28, v34, 2, s3
	.p2align	6
.LBB363_783:                            ; =>This Inner Loop Header: Depth=1
	ds_load_b32 v30, v28
	v_add_nc_u32_e32 v29, 0x80, v29
	s_delay_alu instid0(VALU_DEP_1) | instskip(NEXT) | instid1(VALU_DEP_1)
	v_cmp_ge_i32_e64 s3, v29, v9
	s_or_b32 s7, s3, s7
	s_waitcnt lgkmcnt(0)
	v_sub_f32_e32 v30, v30, v8
	s_delay_alu instid0(VALU_DEP_1) | instskip(NEXT) | instid1(VALU_DEP_1)
	v_mul_f32_e32 v30, 0x3fb8aa3b, v30
	v_exp_f32_e32 v30, v30
	ds_store_b32 v28, v30
	v_dual_add_f32 v25, v25, v30 :: v_dual_add_nc_u32 v28, 0x200, v28
	s_and_not1_b32 exec_lo, exec_lo, s7
	s_cbranch_execnz .LBB363_783
; %bb.784:
	s_or_b32 exec_lo, exec_lo, s7
.LBB363_785:
	s_delay_alu instid0(SALU_CYCLE_1)
	s_or_b32 exec_lo, exec_lo, s9
	ds_bpermute_b32 v13, v13, v25
	s_waitcnt lgkmcnt(0)
	v_add_f32_e32 v13, v25, v13
	ds_bpermute_b32 v20, v20, v13
	s_waitcnt lgkmcnt(0)
	v_add_f32_e32 v13, v13, v20
	;; [unrolled: 3-line block ×5, first 2 shown]
	s_and_saveexec_b32 s3, vcc_lo
	s_cbranch_execz .LBB363_787
; %bb.786:
	ds_store_b32 v24, v13 offset:208
.LBB363_787:
	s_or_b32 exec_lo, exec_lo, s3
	s_waitcnt lgkmcnt(0)
	s_barrier
	buffer_gl0_inv
	s_and_saveexec_b32 s3, s1
	s_cbranch_execz .LBB363_789
; %bb.788:
	ds_load_b32 v13, v49 offset:208
.LBB363_789:
	s_or_b32 exec_lo, exec_lo, s3
	s_waitcnt lgkmcnt(0)
	ds_bpermute_b32 v20, v19, v13
	s_waitcnt lgkmcnt(0)
	v_add_f32_e32 v13, v13, v20
	ds_bpermute_b32 v20, v18, v13
	s_waitcnt lgkmcnt(0)
	v_dual_add_f32 v13, v13, v20 :: v_dual_mov_b32 v20, 0
	ds_bpermute_b32 v13, v20, v13
	s_and_saveexec_b32 s1, s2
	s_cbranch_execz .LBB363_792
; %bb.790:
	s_waitcnt lgkmcnt(0)
	v_add_f32_e32 v21, 0x358637bd, v13
	s_getpc_b64 s[2:3]
	s_add_u32 s2, s2, llvm.amdgcn.dynlds.offset.table@rel32@lo+4
	s_addc_u32 s3, s3, llvm.amdgcn.dynlds.offset.table@rel32@hi+12
	s_ashr_i32 s7, s6, 31
	s_delay_alu instid0(SALU_CYCLE_1) | instskip(SKIP_4) | instid1(VALU_DEP_1)
	s_lshl_b64 s[18:19], s[6:7], 2
	v_div_scale_f32 v20, null, v21, v21, 1.0
	s_add_u32 s2, s18, s2
	s_addc_u32 s3, s19, s3
	s_load_b32 s2, s[2:3], 0x0
	v_rcp_f32_e32 v24, v20
	s_waitcnt_depctr 0xfff
	v_fma_f32 v25, -v20, v24, 1.0
	s_delay_alu instid0(VALU_DEP_1) | instskip(SKIP_1) | instid1(VALU_DEP_1)
	v_fmac_f32_e32 v24, v25, v24
	v_div_scale_f32 v28, vcc_lo, 1.0, v21, 1.0
	v_mul_f32_e32 v25, v28, v24
	s_delay_alu instid0(VALU_DEP_1) | instskip(NEXT) | instid1(VALU_DEP_1)
	v_fma_f32 v29, -v20, v25, v28
	v_fmac_f32_e32 v25, v29, v24
	s_delay_alu instid0(VALU_DEP_1) | instskip(NEXT) | instid1(VALU_DEP_1)
	v_fma_f32 v20, -v20, v25, v28
	v_div_fmas_f32 v24, v20, v24, v25
	s_waitcnt lgkmcnt(0)
	v_lshl_add_u32 v20, v34, 2, s2
	s_mov_b32 s2, 0
	s_delay_alu instid0(VALU_DEP_2)
	v_div_fixup_f32 v21, v24, v21, 1.0
	v_mov_b32_e32 v24, v34
.LBB363_791:                            ; =>This Inner Loop Header: Depth=1
	ds_load_b32 v25, v20
	s_waitcnt lgkmcnt(0)
	v_dual_mul_f32 v25, v21, v25 :: v_dual_add_nc_u32 v24, 0x80, v24
	s_delay_alu instid0(VALU_DEP_1) | instskip(SKIP_3) | instid1(SALU_CYCLE_1)
	v_cmp_ge_i32_e32 vcc_lo, v24, v9
	ds_store_b32 v20, v25
	v_add_nc_u32_e32 v20, 0x200, v20
	s_or_b32 s2, vcc_lo, s2
	s_and_not1_b32 exec_lo, exec_lo, s2
	s_cbranch_execnz .LBB363_791
.LBB363_792:
	s_or_b32 exec_lo, exec_lo, s1
	v_cmp_ne_u16_e64 s1, s8, 0
	s_waitcnt lgkmcnt(0)
	s_barrier
	buffer_gl0_inv
	s_cmp_lg_u32 s1, 0
	s_addc_u32 s1, s5, 0
	s_mov_b32 s5, exec_lo
	s_mul_i32 s2, s1, s10
	s_delay_alu instid0(SALU_CYCLE_1)
	s_mul_i32 s2, s2, s15
	v_cmpx_eq_u32_e32 0, v34
	s_cbranch_execz .LBB363_794
; %bb.793:
	s_mul_i32 s8, s1, s12
	s_ashr_i32 s15, s14, 31
	s_ashr_i32 s9, s8, 31
	;; [unrolled: 1-line block ×3, first 2 shown]
	s_lshl_b64 s[8:9], s[8:9], 2
	s_lshl_b64 s[12:13], s[14:15], 2
	s_lshl_b64 s[18:19], s[2:3], 2
	s_add_u32 s3, s12, s8
	s_addc_u32 s7, s13, s9
	s_add_u32 s3, s3, s18
	s_addc_u32 s7, s7, s19
	v_add_co_u32 v2, vcc_lo, s3, v2
	v_add_co_ci_u32_e32 v3, vcc_lo, s7, v3, vcc_lo
	v_add_co_u32 v0, vcc_lo, s3, v0
	v_add_co_ci_u32_e32 v1, vcc_lo, s7, v1, vcc_lo
	flat_store_b32 v[2:3], v8
	flat_store_b32 v[0:1], v13
.LBB363_794:
	s_or_b32 exec_lo, exec_lo, s5
                                        ; implicit-def: $sgpr5
	s_and_saveexec_b32 s3, s0
	s_delay_alu instid0(SALU_CYCLE_1)
	s_xor_b32 s0, exec_lo, s3
; %bb.795:
	s_ashr_i32 s7, s6, 31
	s_mov_b32 s5, 0
                                        ; implicit-def: $vgpr35
                                        ; implicit-def: $vgpr12
                                        ; implicit-def: $vgpr23
                                        ; implicit-def: $vgpr6
                                        ; implicit-def: $vgpr10
                                        ; implicit-def: $vgpr11
                                        ; implicit-def: $vgpr14
                                        ; implicit-def: $vgpr15
                                        ; implicit-def: $vgpr22
                                        ; implicit-def: $vgpr26_vgpr27
                                        ; implicit-def: $vgpr39
                                        ; implicit-def: $vgpr48
                                        ; implicit-def: $vgpr16_vgpr17
                                        ; implicit-def: $vgpr38
; %bb.796:
	s_or_saveexec_b32 s3, s0
	v_dual_mov_b32 v33, s5 :: v_dual_mov_b32 v0, s6
	v_dual_mov_b32 v1, s7 :: v_dual_and_b32 v20, 3, v34
	v_dual_mov_b32 v51, s5 :: v_dual_mov_b32 v50, s5
	v_dual_mov_b32 v49, s5 :: v_dual_mov_b32 v32, s5
	;; [unrolled: 1-line block ×5, first 2 shown]
	v_mov_b32_e32 v21, s5
	s_xor_b32 exec_lo, exec_lo, s3
	s_cbranch_execz .LBB363_1592
; %bb.797:
	s_getpc_b64 s[8:9]
	s_add_u32 s8, s8, llvm.amdgcn.dynlds.offset.table@rel32@lo+4
	s_addc_u32 s9, s9, llvm.amdgcn.dynlds.offset.table@rel32@hi+12
	s_ashr_i32 s7, s6, 31
	v_dual_mov_b32 v1, 0 :: v_dual_lshlrev_b32 v0, 3, v34
	s_lshl_b64 s[12:13], s[6:7], 2
	v_add_co_u32 v2, vcc_lo, v10, v39
	s_add_u32 s8, s12, s8
	s_addc_u32 s9, s13, s9
	v_and_b32_e32 v9, 24, v0
	s_load_b32 s0, s[8:9], 0x0
	v_dual_mov_b32 v21, 0 :: v_dual_and_b32 v0, 0xf8, v0
	v_add_co_ci_u32_e32 v3, vcc_lo, v11, v48, vcc_lo
	v_lshlrev_b64 v[7:8], 2, v[6:7]
	s_delay_alu instid0(VALU_DEP_3) | instskip(SKIP_1) | instid1(VALU_DEP_4)
	v_add_co_u32 v2, vcc_lo, v2, v0
	v_dual_mov_b32 v25, 0 :: v_dual_lshlrev_b32 v0, 5, v20
	v_add_co_ci_u32_e32 v3, vcc_lo, 0, v3, vcc_lo
	s_delay_alu instid0(VALU_DEP_4) | instskip(SKIP_1) | instid1(VALU_DEP_4)
	v_add_co_u32 v7, vcc_lo, v16, v7
	v_add_co_ci_u32_e32 v8, vcc_lo, v17, v8, vcc_lo
	v_lshl_or_b32 v0, v36, 7, v0
	s_delay_alu instid0(VALU_DEP_3)
	v_add_co_u32 v7, vcc_lo, v14, v7
	v_dual_mov_b32 v24, 0 :: v_dual_add_nc_u32 v39, -1, v12
	v_mov_b32_e32 v48, v35
	v_add_co_ci_u32_e32 v8, vcc_lo, v15, v8, vcc_lo
	v_add3_u32 v15, s16, v38, v9
	s_waitcnt lgkmcnt(0)
	v_dual_mov_b32 v29, 0 :: v_dual_add_nc_u32 v16, s0, v0
	v_dual_mov_b32 v28, 0 :: v_dual_mov_b32 v31, 0
	v_dual_mov_b32 v30, 0 :: v_dual_mov_b32 v49, 0
	;; [unrolled: 1-line block ×4, first 2 shown]
	s_mov_b32 s8, -1
	s_mov_b32 s9, 0xffffff
	s_mov_b32 s5, 0
	s_branch .LBB363_799
.LBB363_798:                            ;   in Loop: Header=BB363_799 Depth=1
	s_or_b32 exec_lo, exec_lo, s0
	v_dual_add_f32 v12, v13, v14 :: v_dual_add_f32 v13, v103, v112
	;;#ASMSTART
	v_pk_mul_f16 v11, v70, v11;

	;;#ASMEND
	;;#ASMSTART
	v_pk_mul_f16 v10, v68, v10;

	;;#ASMEND
	;; [unrolled: 4-line block ×4, first 2 shown]
	;;#ASMSTART
	v_pk_add_f16 v10, v11, v10;

	;;#ASMEND
	;;#ASMSTART
	v_pk_add_f16 v0, v10, v0;

	;;#ASMEND
	;; [unrolled: 4-line block ×3, first 2 shown]
	v_dual_add_f32 v14, v101, v102 :: v_dual_and_b32 v9, 0xffff, v0
	v_lshrrev_b32_e32 v0, 16, v0
	;;#ASMSTART
	v_cvt_f32_f16 v9, v9;
	;;#ASMEND
	;;#ASMSTART
	v_cvt_f32_f16 v0, v0;
	;;#ASMEND
	v_dual_add_f32 v24, v24, v12 :: v_dual_add_f32 v25, v25, v13
	v_dual_add_f32 v12, v99, v100 :: v_dual_add_f32 v13, v97, v98
	;; [unrolled: 1-line block ×3, first 2 shown]
	v_add_f32_e32 v0, v9, v0
	s_delay_alu instid0(VALU_DEP_3) | instskip(SKIP_1) | instid1(VALU_DEP_4)
	v_dual_add_f32 v28, v28, v14 :: v_dual_add_f32 v29, v29, v12
	v_dual_add_f32 v14, v87, v96 :: v_dual_add_f32 v17, v85, v86
	v_add_f32_e32 v51, v51, v11
	s_delay_alu instid0(VALU_DEP_4) | instskip(SKIP_2) | instid1(VALU_DEP_3)
	v_dual_add_f32 v12, v67, v69 :: v_dual_add_f32 v21, v21, v0
	v_add_nc_u32_e32 v6, 4, v6
	v_dual_add_f32 v38, v83, v84 :: v_dual_add_nc_u32 v15, 0x80, v15
	v_add_f32_e32 v33, v33, v12
	v_add_co_u32 v7, s0, v7, 16
	s_delay_alu instid0(VALU_DEP_4)
	v_cmp_ge_i32_e32 vcc_lo, v6, v23
	v_dual_add_f32 v30, v30, v13 :: v_dual_add_f32 v31, v31, v14
	v_dual_add_f32 v32, v32, v17 :: v_dual_add_f32 v49, v49, v38
	v_add_f32_e32 v50, v50, v10
	v_add_co_ci_u32_e64 v8, s0, 0, v8, s0
	v_add_nc_u32_e32 v16, 0x200, v16
	s_or_b32 s5, vcc_lo, s5
	s_delay_alu instid0(SALU_CYCLE_1)
	s_and_not1_b32 exec_lo, exec_lo, s5
	s_cbranch_execz .LBB363_1591
.LBB363_799:                            ; =>This Inner Loop Header: Depth=1
	flat_load_b32 v0, v[7:8]
	ds_load_2addr_b64 v[10:13], v16 offset1:1
	ds_load_2addr_b64 v[52:55], v16 offset0:2 offset1:3
	v_mov_b32_e32 v38, 0
	s_mov_b32 s0, exec_lo
	s_waitcnt lgkmcnt(1)
	;;#ASMSTART
	v_cvt_f16_f32 v65, v10;

	;;#ASMEND
	;;#ASMSTART
	v_cvt_f16_f32 v66, v11;

	;;#ASMEND
	;; [unrolled: 4-line block ×4, first 2 shown]
	s_waitcnt lgkmcnt(0)
	;;#ASMSTART
	v_cvt_f16_f32 v70, v52;

	;;#ASMEND
	;;#ASMSTART
	v_cvt_f16_f32 v69, v53;

	;;#ASMEND
	;; [unrolled: 4-line block ×4, first 2 shown]
	s_waitcnt vmcnt(0)
	v_mad_i64_i32 v[9:10], null, v0, v22, v[2:3]
	flat_load_b64 v[11:12], v[9:10]
	flat_load_b32 v17, v[26:27]
	s_waitcnt vmcnt(1) lgkmcnt(1)
	v_and_b32_e32 v0, 0xff, v11
	s_delay_alu instid0(VALU_DEP_1)
	v_cmpx_ne_u16_e32 0, v0
	s_cbranch_execz .LBB363_807
; %bb.800:                              ;   in Loop: Header=BB363_799 Depth=1
	v_bfrev_b32_e32 v38, 1
	s_mov_b32 s10, exec_lo
	v_cmpx_ne_u16_e32 0x80, v0
	s_cbranch_execz .LBB363_806
; %bb.801:                              ;   in Loop: Header=BB363_799 Depth=1
	v_and_b32_e32 v13, 0x7f, v11
	v_mov_b32_e32 v38, 0x7fc02000
	s_mov_b32 s12, exec_lo
	s_delay_alu instid0(VALU_DEP_2)
	v_cmpx_ne_u32_e32 0x7f, v13
	s_cbranch_execz .LBB363_805
; %bb.802:                              ;   in Loop: Header=BB363_799 Depth=1
	v_lshrrev_b32_e32 v0, 3, v13
	v_cmp_gt_u32_e32 vcc_lo, 8, v13
	v_dual_mov_b32 v14, v12 :: v_dual_mov_b32 v13, v11
	s_and_saveexec_b32 s13, vcc_lo
; %bb.803:                              ;   in Loop: Header=BB363_799 Depth=1
	v_and_b32_e32 v0, 7, v11
	s_delay_alu instid0(VALU_DEP_1) | instskip(NEXT) | instid1(VALU_DEP_1)
	v_clz_i32_u32_e32 v0, v0
	v_min_u32_e32 v0, 32, v0
	s_delay_alu instid0(VALU_DEP_1) | instskip(SKIP_1) | instid1(VALU_DEP_2)
	v_subrev_nc_u32_e32 v13, 28, v0
	v_sub_nc_u32_e32 v0, 29, v0
	v_lshlrev_b64 v[13:14], v13, v[11:12]
; %bb.804:                              ;   in Loop: Header=BB363_799 Depth=1
	s_or_b32 exec_lo, exec_lo, s13
	v_lshlrev_b32_e32 v14, 8, v11
	s_delay_alu instid0(VALU_DEP_3) | instskip(NEXT) | instid1(VALU_DEP_3)
	v_lshl_add_u32 v0, v0, 10, 0x2000
	v_lshlrev_b32_e32 v13, 7, v13
	s_delay_alu instid0(VALU_DEP_2) | instskip(NEXT) | instid1(VALU_DEP_1)
	v_and_or_b32 v0, 0x8000, v14, v0
	v_and_or_b32 v0, 0x380, v13, v0
	s_delay_alu instid0(VALU_DEP_1)
	v_cvt_f32_f16_e32 v38, v0
.LBB363_805:                            ;   in Loop: Header=BB363_799 Depth=1
	s_or_b32 exec_lo, exec_lo, s12
.LBB363_806:                            ;   in Loop: Header=BB363_799 Depth=1
	s_delay_alu instid0(SALU_CYCLE_1)
	s_or_b32 exec_lo, exec_lo, s10
.LBB363_807:                            ;   in Loop: Header=BB363_799 Depth=1
	s_delay_alu instid0(SALU_CYCLE_1) | instskip(SKIP_3) | instid1(VALU_DEP_2)
	s_or_b32 exec_lo, exec_lo, s0
	v_lshrrev_b16 v0, 8, v11
	v_dual_mov_b32 v53, 0 :: v_dual_mov_b32 v52, 0
	s_mov_b32 s0, exec_lo
	v_cmpx_ne_u16_e32 0, v0
	s_cbranch_execz .LBB363_815
; %bb.808:                              ;   in Loop: Header=BB363_799 Depth=1
	v_bfrev_b32_e32 v52, 1
	s_mov_b32 s10, exec_lo
	v_cmpx_ne_u16_e32 0x80, v0
	s_cbranch_execz .LBB363_814
; %bb.809:                              ;   in Loop: Header=BB363_799 Depth=1
	v_and_b32_e32 v13, 0xffff, v0
	v_mov_b32_e32 v52, 0x7fc02000
	s_mov_b32 s12, exec_lo
	s_delay_alu instid0(VALU_DEP_2) | instskip(NEXT) | instid1(VALU_DEP_1)
	v_and_b32_e32 v54, 0x7f, v13
	v_cmpx_ne_u32_e32 0x7f, v54
	s_cbranch_execz .LBB363_813
; %bb.810:                              ;   in Loop: Header=BB363_799 Depth=1
	v_and_b32_e32 v0, 7, v13
	v_lshrrev_b32_e32 v14, 3, v54
	s_mov_b32 s13, exec_lo
	v_cmpx_gt_u32_e32 8, v54
; %bb.811:                              ;   in Loop: Header=BB363_799 Depth=1
	s_delay_alu instid0(VALU_DEP_3) | instskip(NEXT) | instid1(VALU_DEP_1)
	v_clz_i32_u32_e32 v14, v0
	v_min_u32_e32 v14, 32, v14
	s_delay_alu instid0(VALU_DEP_1) | instskip(SKIP_1) | instid1(VALU_DEP_2)
	v_subrev_nc_u32_e32 v52, 28, v14
	v_sub_nc_u32_e32 v14, 29, v14
	v_lshlrev_b64 v[54:55], v52, v[0:1]
	s_delay_alu instid0(VALU_DEP_1)
	v_and_b32_e32 v0, 7, v54
; %bb.812:                              ;   in Loop: Header=BB363_799 Depth=1
	s_or_b32 exec_lo, exec_lo, s13
	v_lshlrev_b32_e32 v13, 8, v13
	v_lshl_add_u32 v14, v14, 10, 0x2000
	s_delay_alu instid0(VALU_DEP_1) | instskip(NEXT) | instid1(VALU_DEP_1)
	v_and_or_b32 v13, 0x8000, v13, v14
	v_lshl_or_b32 v0, v0, 7, v13
	s_delay_alu instid0(VALU_DEP_1)
	v_cvt_f32_f16_e32 v52, v0
.LBB363_813:                            ;   in Loop: Header=BB363_799 Depth=1
	s_or_b32 exec_lo, exec_lo, s12
.LBB363_814:                            ;   in Loop: Header=BB363_799 Depth=1
	s_delay_alu instid0(SALU_CYCLE_1)
	s_or_b32 exec_lo, exec_lo, s10
.LBB363_815:                            ;   in Loop: Header=BB363_799 Depth=1
	s_delay_alu instid0(SALU_CYCLE_1) | instskip(SKIP_2) | instid1(VALU_DEP_1)
	s_or_b32 exec_lo, exec_lo, s0
	v_lshrrev_b32_e32 v13, 16, v11
	s_mov_b32 s0, exec_lo
	v_and_b32_e32 v0, 0xff, v13
	s_delay_alu instid0(VALU_DEP_1)
	v_cmpx_ne_u16_e32 0, v0
	s_cbranch_execz .LBB363_823
; %bb.816:                              ;   in Loop: Header=BB363_799 Depth=1
	v_bfrev_b32_e32 v53, 1
	s_mov_b32 s10, exec_lo
	v_cmpx_ne_u16_e32 0x80, v0
	s_cbranch_execz .LBB363_822
; %bb.817:                              ;   in Loop: Header=BB363_799 Depth=1
	v_bfe_u32 v54, v11, 16, 7
	v_mov_b32_e32 v53, 0x7fc02000
	s_mov_b32 s12, exec_lo
	s_delay_alu instid0(VALU_DEP_2)
	v_cmpx_ne_u32_e32 0x7f, v54
	s_cbranch_execz .LBB363_821
; %bb.818:                              ;   in Loop: Header=BB363_799 Depth=1
	v_and_b32_e32 v0, 7, v13
	v_lshrrev_b32_e32 v14, 3, v54
	s_mov_b32 s13, exec_lo
	v_cmpx_gt_u32_e32 8, v54
; %bb.819:                              ;   in Loop: Header=BB363_799 Depth=1
	s_delay_alu instid0(VALU_DEP_3) | instskip(NEXT) | instid1(VALU_DEP_1)
	v_clz_i32_u32_e32 v14, v0
	v_min_u32_e32 v14, 32, v14
	s_delay_alu instid0(VALU_DEP_1) | instskip(SKIP_1) | instid1(VALU_DEP_2)
	v_subrev_nc_u32_e32 v53, 28, v14
	v_sub_nc_u32_e32 v14, 29, v14
	v_lshlrev_b64 v[53:54], v53, v[0:1]
	s_delay_alu instid0(VALU_DEP_1)
	v_and_b32_e32 v0, 7, v53
; %bb.820:                              ;   in Loop: Header=BB363_799 Depth=1
	s_or_b32 exec_lo, exec_lo, s13
	v_lshlrev_b32_e32 v13, 8, v13
	v_lshl_add_u32 v14, v14, 10, 0x2000
	s_delay_alu instid0(VALU_DEP_1) | instskip(NEXT) | instid1(VALU_DEP_1)
	v_and_or_b32 v13, 0x8000, v13, v14
	v_lshl_or_b32 v0, v0, 7, v13
	s_delay_alu instid0(VALU_DEP_1)
	v_cvt_f32_f16_e32 v53, v0
.LBB363_821:                            ;   in Loop: Header=BB363_799 Depth=1
	s_or_b32 exec_lo, exec_lo, s12
.LBB363_822:                            ;   in Loop: Header=BB363_799 Depth=1
	s_delay_alu instid0(SALU_CYCLE_1)
	s_or_b32 exec_lo, exec_lo, s10
.LBB363_823:                            ;   in Loop: Header=BB363_799 Depth=1
	s_delay_alu instid0(SALU_CYCLE_1)
	s_or_b32 exec_lo, exec_lo, s0
	v_dual_mov_b32 v13, 0 :: v_dual_mov_b32 v54, 0
	s_mov_b32 s0, exec_lo
	v_cmpx_lt_u32_e32 0xffffff, v11
	s_cbranch_execz .LBB363_831
; %bb.824:                              ;   in Loop: Header=BB363_799 Depth=1
	v_lshrrev_b32_e32 v14, 24, v11
	v_bfrev_b32_e32 v54, 1
	s_mov_b32 s10, exec_lo
	s_delay_alu instid0(VALU_DEP_2)
	v_cmpx_ne_u32_e32 0x80, v14
	s_cbranch_execz .LBB363_830
; %bb.825:                              ;   in Loop: Header=BB363_799 Depth=1
	v_and_b32_e32 v55, 0x7f, v14
	v_mov_b32_e32 v54, 0x7fc02000
	s_mov_b32 s12, exec_lo
	s_delay_alu instid0(VALU_DEP_2)
	v_cmpx_ne_u32_e32 0x7f, v55
	s_cbranch_execz .LBB363_829
; %bb.826:                              ;   in Loop: Header=BB363_799 Depth=1
	v_and_b32_e32 v0, 7, v14
	v_lshrrev_b32_e32 v54, 3, v55
	s_mov_b32 s13, exec_lo
	v_cmpx_gt_u32_e32 8, v55
; %bb.827:                              ;   in Loop: Header=BB363_799 Depth=1
	s_delay_alu instid0(VALU_DEP_3) | instskip(NEXT) | instid1(VALU_DEP_1)
	v_clz_i32_u32_e32 v54, v0
	v_min_u32_e32 v54, 32, v54
	s_delay_alu instid0(VALU_DEP_1) | instskip(SKIP_1) | instid1(VALU_DEP_2)
	v_subrev_nc_u32_e32 v55, 28, v54
	v_sub_nc_u32_e32 v54, 29, v54
	v_lshlrev_b64 v[81:82], v55, v[0:1]
	s_delay_alu instid0(VALU_DEP_1)
	v_and_b32_e32 v0, 7, v81
; %bb.828:                              ;   in Loop: Header=BB363_799 Depth=1
	s_or_b32 exec_lo, exec_lo, s13
	v_lshlrev_b32_e32 v14, 8, v14
	v_lshl_add_u32 v54, v54, 10, 0x2000
	s_delay_alu instid0(VALU_DEP_1) | instskip(NEXT) | instid1(VALU_DEP_1)
	v_and_or_b32 v14, 0x8000, v14, v54
	v_lshl_or_b32 v0, v0, 7, v14
	s_delay_alu instid0(VALU_DEP_1)
	v_cvt_f32_f16_e32 v54, v0
.LBB363_829:                            ;   in Loop: Header=BB363_799 Depth=1
	s_or_b32 exec_lo, exec_lo, s12
.LBB363_830:                            ;   in Loop: Header=BB363_799 Depth=1
	s_delay_alu instid0(SALU_CYCLE_1)
	s_or_b32 exec_lo, exec_lo, s10
.LBB363_831:                            ;   in Loop: Header=BB363_799 Depth=1
	s_delay_alu instid0(SALU_CYCLE_1) | instskip(SKIP_3) | instid1(VALU_DEP_2)
	s_or_b32 exec_lo, exec_lo, s0
	v_and_b32_e32 v14, 0xff, v12
	v_mov_b32_e32 v0, v12
	s_mov_b32 s0, exec_lo
	v_cmpx_ne_u16_e32 0, v14
	s_cbranch_execz .LBB363_839
; %bb.832:                              ;   in Loop: Header=BB363_799 Depth=1
	v_bfrev_b32_e32 v13, 1
	s_mov_b32 s10, exec_lo
	v_cmpx_ne_u16_e32 0x80, v14
	s_cbranch_execz .LBB363_838
; %bb.833:                              ;   in Loop: Header=BB363_799 Depth=1
	v_and_b32_e32 v14, 0x7f, v12
	v_mov_b32_e32 v13, 0x7fc02000
	s_mov_b32 s12, exec_lo
	s_delay_alu instid0(VALU_DEP_2)
	v_cmpx_ne_u32_e32 0x7f, v14
	s_cbranch_execz .LBB363_837
; %bb.834:                              ;   in Loop: Header=BB363_799 Depth=1
	v_lshrrev_b32_e32 v55, 3, v14
	v_cmp_gt_u32_e32 vcc_lo, 8, v14
	v_dual_mov_b32 v14, v1 :: v_dual_mov_b32 v13, v0
	s_and_saveexec_b32 s13, vcc_lo
; %bb.835:                              ;   in Loop: Header=BB363_799 Depth=1
	v_and_b32_e32 v13, 7, v12
	s_delay_alu instid0(VALU_DEP_1) | instskip(NEXT) | instid1(VALU_DEP_1)
	v_clz_i32_u32_e32 v13, v13
	v_min_u32_e32 v55, 32, v13
	s_delay_alu instid0(VALU_DEP_1) | instskip(SKIP_1) | instid1(VALU_DEP_2)
	v_subrev_nc_u32_e32 v13, 28, v55
	v_sub_nc_u32_e32 v55, 29, v55
	v_lshlrev_b64 v[13:14], v13, v[0:1]
; %bb.836:                              ;   in Loop: Header=BB363_799 Depth=1
	s_or_b32 exec_lo, exec_lo, s13
	v_lshlrev_b32_e32 v14, 8, v12
	s_delay_alu instid0(VALU_DEP_3) | instskip(NEXT) | instid1(VALU_DEP_3)
	v_lshl_add_u32 v55, v55, 10, 0x2000
	v_lshlrev_b32_e32 v13, 7, v13
	s_delay_alu instid0(VALU_DEP_2) | instskip(NEXT) | instid1(VALU_DEP_1)
	v_and_or_b32 v14, 0x8000, v14, v55
	v_and_or_b32 v13, 0x380, v13, v14
	s_delay_alu instid0(VALU_DEP_1)
	v_cvt_f32_f16_e32 v13, v13
.LBB363_837:                            ;   in Loop: Header=BB363_799 Depth=1
	s_or_b32 exec_lo, exec_lo, s12
.LBB363_838:                            ;   in Loop: Header=BB363_799 Depth=1
	s_delay_alu instid0(SALU_CYCLE_1)
	s_or_b32 exec_lo, exec_lo, s10
.LBB363_839:                            ;   in Loop: Header=BB363_799 Depth=1
	s_delay_alu instid0(SALU_CYCLE_1) | instskip(SKIP_3) | instid1(VALU_DEP_2)
	s_or_b32 exec_lo, exec_lo, s0
	v_lshrrev_b16 v0, 8, v0
	v_dual_mov_b32 v14, 0 :: v_dual_mov_b32 v55, 0
	s_mov_b32 s0, exec_lo
	v_cmpx_ne_u16_e32 0, v0
	s_cbranch_execz .LBB363_847
; %bb.840:                              ;   in Loop: Header=BB363_799 Depth=1
	v_bfrev_b32_e32 v55, 1
	s_mov_b32 s10, exec_lo
	v_cmpx_ne_u16_e32 0x80, v0
	s_cbranch_execz .LBB363_846
; %bb.841:                              ;   in Loop: Header=BB363_799 Depth=1
	v_and_b32_e32 v64, 0xffff, v0
	v_mov_b32_e32 v55, 0x7fc02000
	s_mov_b32 s12, exec_lo
	s_delay_alu instid0(VALU_DEP_2) | instskip(NEXT) | instid1(VALU_DEP_1)
	v_and_b32_e32 v81, 0x7f, v64
	v_cmpx_ne_u32_e32 0x7f, v81
	s_cbranch_execz .LBB363_845
; %bb.842:                              ;   in Loop: Header=BB363_799 Depth=1
	v_and_b32_e32 v0, 7, v64
	v_lshrrev_b32_e32 v55, 3, v81
	s_mov_b32 s13, exec_lo
	v_cmpx_gt_u32_e32 8, v81
; %bb.843:                              ;   in Loop: Header=BB363_799 Depth=1
	s_delay_alu instid0(VALU_DEP_3) | instskip(NEXT) | instid1(VALU_DEP_1)
	v_clz_i32_u32_e32 v55, v0
	v_min_u32_e32 v55, 32, v55
	s_delay_alu instid0(VALU_DEP_1) | instskip(SKIP_1) | instid1(VALU_DEP_2)
	v_subrev_nc_u32_e32 v81, 28, v55
	v_sub_nc_u32_e32 v55, 29, v55
	v_lshlrev_b64 v[81:82], v81, v[0:1]
	s_delay_alu instid0(VALU_DEP_1)
	v_and_b32_e32 v0, 7, v81
; %bb.844:                              ;   in Loop: Header=BB363_799 Depth=1
	s_or_b32 exec_lo, exec_lo, s13
	v_lshlrev_b32_e32 v64, 8, v64
	v_lshl_add_u32 v55, v55, 10, 0x2000
	s_delay_alu instid0(VALU_DEP_1) | instskip(NEXT) | instid1(VALU_DEP_1)
	v_and_or_b32 v55, 0x8000, v64, v55
	v_lshl_or_b32 v0, v0, 7, v55
	s_delay_alu instid0(VALU_DEP_1)
	v_cvt_f32_f16_e32 v55, v0
.LBB363_845:                            ;   in Loop: Header=BB363_799 Depth=1
	s_or_b32 exec_lo, exec_lo, s12
.LBB363_846:                            ;   in Loop: Header=BB363_799 Depth=1
	s_delay_alu instid0(SALU_CYCLE_1)
	s_or_b32 exec_lo, exec_lo, s10
.LBB363_847:                            ;   in Loop: Header=BB363_799 Depth=1
	s_delay_alu instid0(SALU_CYCLE_1) | instskip(SKIP_2) | instid1(VALU_DEP_1)
	s_or_b32 exec_lo, exec_lo, s0
	v_lshrrev_b32_e32 v64, 16, v12
	s_mov_b32 s0, exec_lo
	v_and_b32_e32 v0, 0xff, v64
	s_delay_alu instid0(VALU_DEP_1)
	v_cmpx_ne_u16_e32 0, v0
	s_cbranch_execz .LBB363_855
; %bb.848:                              ;   in Loop: Header=BB363_799 Depth=1
	v_bfrev_b32_e32 v14, 1
	s_mov_b32 s10, exec_lo
	v_cmpx_ne_u16_e32 0x80, v0
	s_cbranch_execz .LBB363_854
; %bb.849:                              ;   in Loop: Header=BB363_799 Depth=1
	v_bfe_u32 v81, v12, 16, 7
	v_mov_b32_e32 v14, 0x7fc02000
	s_mov_b32 s12, exec_lo
	s_delay_alu instid0(VALU_DEP_2)
	v_cmpx_ne_u32_e32 0x7f, v81
	s_cbranch_execz .LBB363_853
; %bb.850:                              ;   in Loop: Header=BB363_799 Depth=1
	v_and_b32_e32 v0, 7, v64
	v_lshrrev_b32_e32 v14, 3, v81
	s_mov_b32 s13, exec_lo
	v_cmpx_gt_u32_e32 8, v81
; %bb.851:                              ;   in Loop: Header=BB363_799 Depth=1
	s_delay_alu instid0(VALU_DEP_3) | instskip(NEXT) | instid1(VALU_DEP_1)
	v_clz_i32_u32_e32 v14, v0
	v_min_u32_e32 v14, 32, v14
	s_delay_alu instid0(VALU_DEP_1) | instskip(SKIP_1) | instid1(VALU_DEP_2)
	v_subrev_nc_u32_e32 v81, 28, v14
	v_sub_nc_u32_e32 v14, 29, v14
	v_lshlrev_b64 v[81:82], v81, v[0:1]
	s_delay_alu instid0(VALU_DEP_1)
	v_and_b32_e32 v0, 7, v81
; %bb.852:                              ;   in Loop: Header=BB363_799 Depth=1
	s_or_b32 exec_lo, exec_lo, s13
	v_lshlrev_b32_e32 v64, 8, v64
	v_lshl_add_u32 v14, v14, 10, 0x2000
	s_delay_alu instid0(VALU_DEP_1) | instskip(NEXT) | instid1(VALU_DEP_1)
	v_and_or_b32 v14, 0x8000, v64, v14
	v_lshl_or_b32 v0, v0, 7, v14
	s_delay_alu instid0(VALU_DEP_1)
	v_cvt_f32_f16_e32 v14, v0
.LBB363_853:                            ;   in Loop: Header=BB363_799 Depth=1
	s_or_b32 exec_lo, exec_lo, s12
.LBB363_854:                            ;   in Loop: Header=BB363_799 Depth=1
	s_delay_alu instid0(SALU_CYCLE_1)
	s_or_b32 exec_lo, exec_lo, s10
.LBB363_855:                            ;   in Loop: Header=BB363_799 Depth=1
	s_delay_alu instid0(SALU_CYCLE_1)
	s_or_b32 exec_lo, exec_lo, s0
	v_mov_b32_e32 v0, 0
	s_mov_b32 s0, exec_lo
	v_cmpx_lt_u64_e64 s[8:9], v[11:12]
	s_cbranch_execz .LBB363_863
; %bb.856:                              ;   in Loop: Header=BB363_799 Depth=1
	v_lshrrev_b32_e32 v11, 24, v12
	v_bfrev_b32_e32 v0, 1
	s_mov_b32 s10, exec_lo
	s_delay_alu instid0(VALU_DEP_2)
	v_cmpx_ne_u32_e32 0x80, v11
	s_cbranch_execz .LBB363_862
; %bb.857:                              ;   in Loop: Header=BB363_799 Depth=1
	v_and_b32_e32 v64, 0x7f, v11
	v_mov_b32_e32 v0, 0x7fc02000
	s_mov_b32 s12, exec_lo
	s_delay_alu instid0(VALU_DEP_2)
	v_cmpx_ne_u32_e32 0x7f, v64
	s_cbranch_execz .LBB363_861
; %bb.858:                              ;   in Loop: Header=BB363_799 Depth=1
	v_and_b32_e32 v0, 7, v11
	v_lshrrev_b32_e32 v12, 3, v64
	s_mov_b32 s13, exec_lo
	v_cmpx_gt_u32_e32 8, v64
; %bb.859:                              ;   in Loop: Header=BB363_799 Depth=1
	s_delay_alu instid0(VALU_DEP_3) | instskip(NEXT) | instid1(VALU_DEP_1)
	v_clz_i32_u32_e32 v12, v0
	v_min_u32_e32 v12, 32, v12
	s_delay_alu instid0(VALU_DEP_1) | instskip(SKIP_1) | instid1(VALU_DEP_2)
	v_subrev_nc_u32_e32 v64, 28, v12
	v_sub_nc_u32_e32 v12, 29, v12
	v_lshlrev_b64 v[81:82], v64, v[0:1]
	s_delay_alu instid0(VALU_DEP_1)
	v_and_b32_e32 v0, 7, v81
; %bb.860:                              ;   in Loop: Header=BB363_799 Depth=1
	s_or_b32 exec_lo, exec_lo, s13
	v_lshlrev_b32_e32 v11, 8, v11
	v_lshl_add_u32 v12, v12, 10, 0x2000
	s_delay_alu instid0(VALU_DEP_1) | instskip(NEXT) | instid1(VALU_DEP_1)
	v_and_or_b32 v11, 0x8000, v11, v12
	v_lshl_or_b32 v0, v0, 7, v11
	s_delay_alu instid0(VALU_DEP_1)
	v_cvt_f32_f16_e32 v0, v0
.LBB363_861:                            ;   in Loop: Header=BB363_799 Depth=1
	s_or_b32 exec_lo, exec_lo, s12
.LBB363_862:                            ;   in Loop: Header=BB363_799 Depth=1
	s_delay_alu instid0(SALU_CYCLE_1)
	s_or_b32 exec_lo, exec_lo, s10
.LBB363_863:                            ;   in Loop: Header=BB363_799 Depth=1
	s_delay_alu instid0(SALU_CYCLE_1)
	s_or_b32 exec_lo, exec_lo, s0
	s_waitcnt vmcnt(0) lgkmcnt(0)
	v_fma_mixlo_f16 v11, v17, v54, 0
	v_fma_mixlo_f16 v12, v17, v53, 0
	;; [unrolled: 1-line block ×8, first 2 shown]
	v_lshlrev_b32_e32 v11, 16, v11
	v_and_b32_e32 v12, 0xffff, v12
	v_lshlrev_b32_e32 v52, 16, v52
	v_and_b32_e32 v14, 0xffff, v38
	;; [unrolled: 2-line block ×4, first 2 shown]
	v_cmp_eq_u32_e32 vcc_lo, v39, v6
	v_or_b32_e32 v12, v11, v12
	v_or_b32_e32 v14, v52, v14
	;; [unrolled: 1-line block ×4, first 2 shown]
	v_add_nc_u32_e32 v64, 1, v15
	v_or_b32_e32 v55, 3, v15
	v_or_b32_e32 v54, 2, v15
	;; [unrolled: 1-line block ×6, first 2 shown]
	s_and_saveexec_b32 s10, vcc_lo
	s_cbranch_execz .LBB363_865
; %bb.864:                              ;   in Loop: Header=BB363_799 Depth=1
	v_cmp_lt_i32_e64 s0, v15, v35
	v_lshrrev_b32_e32 v81, 16, v14
	v_lshrrev_b32_e32 v82, 16, v12
	;; [unrolled: 1-line block ×4, first 2 shown]
	v_cndmask_b32_e64 v14, 0, v14, s0
	v_cmp_lt_i32_e64 s0, v64, v48
	s_delay_alu instid0(VALU_DEP_1) | instskip(SKIP_1) | instid1(VALU_DEP_2)
	v_cndmask_b32_e64 v81, 0, v81, s0
	v_cmp_lt_i32_e64 s0, v55, v48
	v_perm_b32 v14, v81, v14, 0x5040100
	s_delay_alu instid0(VALU_DEP_2) | instskip(SKIP_1) | instid1(VALU_DEP_1)
	v_cndmask_b32_e64 v82, 0, v82, s0
	v_cmp_lt_i32_e64 s0, v54, v35
	v_cndmask_b32_e64 v12, 0, v12, s0
	v_cmp_lt_i32_e64 s0, v53, v48
	s_delay_alu instid0(VALU_DEP_2) | instskip(NEXT) | instid1(VALU_DEP_2)
	v_perm_b32 v12, v82, v12, 0x5040100
	v_cndmask_b32_e64 v83, 0, v83, s0
	v_cmp_lt_i32_e64 s0, v52, v35
	s_delay_alu instid0(VALU_DEP_1) | instskip(SKIP_1) | instid1(VALU_DEP_2)
	v_cndmask_b32_e64 v0, 0, v0, s0
	v_cmp_lt_i32_e64 s0, v38, v48
	v_perm_b32 v0, v83, v0, 0x5040100
	s_delay_alu instid0(VALU_DEP_2) | instskip(SKIP_1) | instid1(VALU_DEP_1)
	v_cndmask_b32_e64 v11, 0, v11, s0
	v_cmp_lt_i32_e64 s0, v17, v35
	v_cndmask_b32_e64 v13, 0, v13, s0
	s_delay_alu instid0(VALU_DEP_1)
	v_perm_b32 v11, v11, v13, 0x5040100
.LBB363_865:                            ;   in Loop: Header=BB363_799 Depth=1
	s_or_b32 exec_lo, exec_lo, s10
	v_and_b32_e32 v13, 0xffff, v65
	v_and_b32_e32 v65, 0xffff, v68
	;; [unrolled: 1-line block ×4, first 2 shown]
	s_mov_b32 s10, exec_lo
	s_delay_alu instid0(VALU_DEP_3) | instskip(NEXT) | instid1(VALU_DEP_2)
	v_lshl_or_b32 v68, v67, 16, v65
	v_lshl_or_b32 v65, v71, 16, v80
	v_mov_b32_e32 v80, 0
	v_lshl_or_b32 v70, v66, 16, v13
	v_lshl_or_b32 v66, v69, 16, v81
	v_mov_b32_e32 v81, 0
	;;#ASMSTART
	v_pk_mul_f16 v13, v70, v14;

	;;#ASMEND
	;;#ASMSTART
	v_pk_mul_f16 v12, v68, v12;

	;;#ASMEND
	;; [unrolled: 4-line block ×4, first 2 shown]
	;;#ASMSTART
	v_pk_add_f16 v12, v13, v12;

	;;#ASMEND
	;;#ASMSTART
	v_pk_add_f16 v0, v12, v0;

	;;#ASMEND
	;; [unrolled: 4-line block ×3, first 2 shown]
	v_and_b32_e32 v11, 0xffff, v0
	v_lshrrev_b32_e32 v0, 16, v0
	;;#ASMSTART
	v_cvt_f32_f16 v67, v11;
	;;#ASMEND
	;;#ASMSTART
	v_cvt_f32_f16 v69, v0;
	;;#ASMEND
	flat_load_b64 v[11:12], v[9:10] offset:256
	flat_load_b32 v71, v[26:27]
	s_waitcnt vmcnt(1) lgkmcnt(1)
	v_and_b32_e32 v0, 0xff, v11
	s_delay_alu instid0(VALU_DEP_1)
	v_cmpx_ne_u16_e32 0, v0
	s_cbranch_execz .LBB363_873
; %bb.866:                              ;   in Loop: Header=BB363_799 Depth=1
	v_bfrev_b32_e32 v80, 1
	s_mov_b32 s12, exec_lo
	v_cmpx_ne_u16_e32 0x80, v0
	s_cbranch_execz .LBB363_872
; %bb.867:                              ;   in Loop: Header=BB363_799 Depth=1
	v_and_b32_e32 v13, 0x7f, v11
	v_mov_b32_e32 v80, 0x7fc02000
	s_mov_b32 s13, exec_lo
	s_delay_alu instid0(VALU_DEP_2)
	v_cmpx_ne_u32_e32 0x7f, v13
	s_cbranch_execz .LBB363_871
; %bb.868:                              ;   in Loop: Header=BB363_799 Depth=1
	v_lshrrev_b32_e32 v0, 3, v13
	v_cmp_gt_u32_e64 s0, 8, v13
	v_dual_mov_b32 v14, v12 :: v_dual_mov_b32 v13, v11
	s_delay_alu instid0(VALU_DEP_2)
	s_and_saveexec_b32 s15, s0
; %bb.869:                              ;   in Loop: Header=BB363_799 Depth=1
	v_and_b32_e32 v0, 7, v11
	s_delay_alu instid0(VALU_DEP_1) | instskip(NEXT) | instid1(VALU_DEP_1)
	v_clz_i32_u32_e32 v0, v0
	v_min_u32_e32 v0, 32, v0
	s_delay_alu instid0(VALU_DEP_1) | instskip(SKIP_1) | instid1(VALU_DEP_2)
	v_subrev_nc_u32_e32 v13, 28, v0
	v_sub_nc_u32_e32 v0, 29, v0
	v_lshlrev_b64 v[13:14], v13, v[11:12]
; %bb.870:                              ;   in Loop: Header=BB363_799 Depth=1
	s_or_b32 exec_lo, exec_lo, s15
	v_lshlrev_b32_e32 v14, 8, v11
	s_delay_alu instid0(VALU_DEP_3) | instskip(NEXT) | instid1(VALU_DEP_3)
	v_lshl_add_u32 v0, v0, 10, 0x2000
	v_lshlrev_b32_e32 v13, 7, v13
	s_delay_alu instid0(VALU_DEP_2) | instskip(NEXT) | instid1(VALU_DEP_1)
	v_and_or_b32 v0, 0x8000, v14, v0
	v_and_or_b32 v0, 0x380, v13, v0
	s_delay_alu instid0(VALU_DEP_1)
	v_cvt_f32_f16_e32 v80, v0
.LBB363_871:                            ;   in Loop: Header=BB363_799 Depth=1
	s_or_b32 exec_lo, exec_lo, s13
.LBB363_872:                            ;   in Loop: Header=BB363_799 Depth=1
	s_delay_alu instid0(SALU_CYCLE_1)
	s_or_b32 exec_lo, exec_lo, s12
.LBB363_873:                            ;   in Loop: Header=BB363_799 Depth=1
	s_delay_alu instid0(SALU_CYCLE_1) | instskip(SKIP_2) | instid1(VALU_DEP_1)
	s_or_b32 exec_lo, exec_lo, s10
	v_lshrrev_b16 v0, 8, v11
	s_mov_b32 s10, exec_lo
	v_cmpx_ne_u16_e32 0, v0
	s_cbranch_execz .LBB363_881
; %bb.874:                              ;   in Loop: Header=BB363_799 Depth=1
	v_bfrev_b32_e32 v81, 1
	s_mov_b32 s12, exec_lo
	v_cmpx_ne_u16_e32 0x80, v0
	s_cbranch_execz .LBB363_880
; %bb.875:                              ;   in Loop: Header=BB363_799 Depth=1
	v_and_b32_e32 v13, 0xffff, v0
	v_mov_b32_e32 v81, 0x7fc02000
	s_mov_b32 s13, exec_lo
	s_delay_alu instid0(VALU_DEP_2) | instskip(NEXT) | instid1(VALU_DEP_1)
	v_and_b32_e32 v82, 0x7f, v13
	v_cmpx_ne_u32_e32 0x7f, v82
	s_cbranch_execz .LBB363_879
; %bb.876:                              ;   in Loop: Header=BB363_799 Depth=1
	v_and_b32_e32 v0, 7, v13
	v_lshrrev_b32_e32 v14, 3, v82
	s_mov_b32 s15, exec_lo
	v_cmpx_gt_u32_e32 8, v82
; %bb.877:                              ;   in Loop: Header=BB363_799 Depth=1
	s_delay_alu instid0(VALU_DEP_3) | instskip(NEXT) | instid1(VALU_DEP_1)
	v_clz_i32_u32_e32 v14, v0
	v_min_u32_e32 v14, 32, v14
	s_delay_alu instid0(VALU_DEP_1) | instskip(SKIP_1) | instid1(VALU_DEP_2)
	v_subrev_nc_u32_e32 v81, 28, v14
	v_sub_nc_u32_e32 v14, 29, v14
	v_lshlrev_b64 v[81:82], v81, v[0:1]
	s_delay_alu instid0(VALU_DEP_1)
	v_and_b32_e32 v0, 7, v81
; %bb.878:                              ;   in Loop: Header=BB363_799 Depth=1
	s_or_b32 exec_lo, exec_lo, s15
	v_lshlrev_b32_e32 v13, 8, v13
	v_lshl_add_u32 v14, v14, 10, 0x2000
	s_delay_alu instid0(VALU_DEP_1) | instskip(NEXT) | instid1(VALU_DEP_1)
	v_and_or_b32 v13, 0x8000, v13, v14
	v_lshl_or_b32 v0, v0, 7, v13
	s_delay_alu instid0(VALU_DEP_1)
	v_cvt_f32_f16_e32 v81, v0
.LBB363_879:                            ;   in Loop: Header=BB363_799 Depth=1
	s_or_b32 exec_lo, exec_lo, s13
.LBB363_880:                            ;   in Loop: Header=BB363_799 Depth=1
	s_delay_alu instid0(SALU_CYCLE_1)
	s_or_b32 exec_lo, exec_lo, s12
.LBB363_881:                            ;   in Loop: Header=BB363_799 Depth=1
	s_delay_alu instid0(SALU_CYCLE_1) | instskip(SKIP_3) | instid1(VALU_DEP_2)
	s_or_b32 exec_lo, exec_lo, s10
	v_lshrrev_b32_e32 v13, 16, v11
	v_mov_b32_e32 v82, 0
	s_mov_b32 s10, exec_lo
	v_dual_mov_b32 v83, 0 :: v_dual_and_b32 v0, 0xff, v13
	s_delay_alu instid0(VALU_DEP_1)
	v_cmpx_ne_u16_e32 0, v0
	s_cbranch_execz .LBB363_889
; %bb.882:                              ;   in Loop: Header=BB363_799 Depth=1
	v_bfrev_b32_e32 v82, 1
	s_mov_b32 s12, exec_lo
	v_cmpx_ne_u16_e32 0x80, v0
	s_cbranch_execz .LBB363_888
; %bb.883:                              ;   in Loop: Header=BB363_799 Depth=1
	v_bfe_u32 v84, v11, 16, 7
	v_mov_b32_e32 v82, 0x7fc02000
	s_mov_b32 s13, exec_lo
	s_delay_alu instid0(VALU_DEP_2)
	v_cmpx_ne_u32_e32 0x7f, v84
	s_cbranch_execz .LBB363_887
; %bb.884:                              ;   in Loop: Header=BB363_799 Depth=1
	v_and_b32_e32 v0, 7, v13
	v_lshrrev_b32_e32 v14, 3, v84
	s_mov_b32 s15, exec_lo
	v_cmpx_gt_u32_e32 8, v84
; %bb.885:                              ;   in Loop: Header=BB363_799 Depth=1
	s_delay_alu instid0(VALU_DEP_3) | instskip(NEXT) | instid1(VALU_DEP_1)
	v_clz_i32_u32_e32 v14, v0
	v_min_u32_e32 v14, 32, v14
	s_delay_alu instid0(VALU_DEP_1) | instskip(SKIP_1) | instid1(VALU_DEP_2)
	v_subrev_nc_u32_e32 v82, 28, v14
	v_sub_nc_u32_e32 v14, 29, v14
	v_lshlrev_b64 v[84:85], v82, v[0:1]
	s_delay_alu instid0(VALU_DEP_1)
	v_and_b32_e32 v0, 7, v84
; %bb.886:                              ;   in Loop: Header=BB363_799 Depth=1
	s_or_b32 exec_lo, exec_lo, s15
	v_lshlrev_b32_e32 v13, 8, v13
	v_lshl_add_u32 v14, v14, 10, 0x2000
	s_delay_alu instid0(VALU_DEP_1) | instskip(NEXT) | instid1(VALU_DEP_1)
	v_and_or_b32 v13, 0x8000, v13, v14
	v_lshl_or_b32 v0, v0, 7, v13
	s_delay_alu instid0(VALU_DEP_1)
	v_cvt_f32_f16_e32 v82, v0
.LBB363_887:                            ;   in Loop: Header=BB363_799 Depth=1
	s_or_b32 exec_lo, exec_lo, s13
.LBB363_888:                            ;   in Loop: Header=BB363_799 Depth=1
	s_delay_alu instid0(SALU_CYCLE_1)
	s_or_b32 exec_lo, exec_lo, s12
.LBB363_889:                            ;   in Loop: Header=BB363_799 Depth=1
	s_delay_alu instid0(SALU_CYCLE_1) | instskip(NEXT) | instid1(SALU_CYCLE_1)
	s_or_b32 exec_lo, exec_lo, s10
	s_mov_b32 s10, exec_lo
	v_cmpx_lt_u32_e32 0xffffff, v11
	s_cbranch_execz .LBB363_897
; %bb.890:                              ;   in Loop: Header=BB363_799 Depth=1
	v_lshrrev_b32_e32 v13, 24, v11
	v_bfrev_b32_e32 v83, 1
	s_mov_b32 s12, exec_lo
	s_delay_alu instid0(VALU_DEP_2)
	v_cmpx_ne_u32_e32 0x80, v13
	s_cbranch_execz .LBB363_896
; %bb.891:                              ;   in Loop: Header=BB363_799 Depth=1
	v_and_b32_e32 v84, 0x7f, v13
	v_mov_b32_e32 v83, 0x7fc02000
	s_mov_b32 s13, exec_lo
	s_delay_alu instid0(VALU_DEP_2)
	v_cmpx_ne_u32_e32 0x7f, v84
	s_cbranch_execz .LBB363_895
; %bb.892:                              ;   in Loop: Header=BB363_799 Depth=1
	v_and_b32_e32 v0, 7, v13
	v_lshrrev_b32_e32 v14, 3, v84
	s_mov_b32 s15, exec_lo
	v_cmpx_gt_u32_e32 8, v84
; %bb.893:                              ;   in Loop: Header=BB363_799 Depth=1
	s_delay_alu instid0(VALU_DEP_3) | instskip(NEXT) | instid1(VALU_DEP_1)
	v_clz_i32_u32_e32 v14, v0
	v_min_u32_e32 v14, 32, v14
	s_delay_alu instid0(VALU_DEP_1) | instskip(SKIP_1) | instid1(VALU_DEP_2)
	v_subrev_nc_u32_e32 v83, 28, v14
	v_sub_nc_u32_e32 v14, 29, v14
	v_lshlrev_b64 v[83:84], v83, v[0:1]
	s_delay_alu instid0(VALU_DEP_1)
	v_and_b32_e32 v0, 7, v83
; %bb.894:                              ;   in Loop: Header=BB363_799 Depth=1
	s_or_b32 exec_lo, exec_lo, s15
	v_lshlrev_b32_e32 v13, 8, v13
	v_lshl_add_u32 v14, v14, 10, 0x2000
	s_delay_alu instid0(VALU_DEP_1) | instskip(NEXT) | instid1(VALU_DEP_1)
	v_and_or_b32 v13, 0x8000, v13, v14
	v_lshl_or_b32 v0, v0, 7, v13
	s_delay_alu instid0(VALU_DEP_1)
	v_cvt_f32_f16_e32 v83, v0
.LBB363_895:                            ;   in Loop: Header=BB363_799 Depth=1
	s_or_b32 exec_lo, exec_lo, s13
.LBB363_896:                            ;   in Loop: Header=BB363_799 Depth=1
	s_delay_alu instid0(SALU_CYCLE_1)
	s_or_b32 exec_lo, exec_lo, s12
.LBB363_897:                            ;   in Loop: Header=BB363_799 Depth=1
	s_delay_alu instid0(SALU_CYCLE_1) | instskip(SKIP_4) | instid1(VALU_DEP_3)
	s_or_b32 exec_lo, exec_lo, s10
	v_dual_mov_b32 v13, 0 :: v_dual_and_b32 v14, 0xff, v12
	v_mov_b32_e32 v0, v12
	v_mov_b32_e32 v84, 0
	s_mov_b32 s10, exec_lo
	v_cmpx_ne_u16_e32 0, v14
	s_cbranch_execz .LBB363_905
; %bb.898:                              ;   in Loop: Header=BB363_799 Depth=1
	v_bfrev_b32_e32 v13, 1
	s_mov_b32 s12, exec_lo
	v_cmpx_ne_u16_e32 0x80, v14
	s_cbranch_execz .LBB363_904
; %bb.899:                              ;   in Loop: Header=BB363_799 Depth=1
	v_and_b32_e32 v14, 0x7f, v12
	v_mov_b32_e32 v13, 0x7fc02000
	s_mov_b32 s13, exec_lo
	s_delay_alu instid0(VALU_DEP_2)
	v_cmpx_ne_u32_e32 0x7f, v14
	s_cbranch_execz .LBB363_903
; %bb.900:                              ;   in Loop: Header=BB363_799 Depth=1
	v_lshrrev_b32_e32 v85, 3, v14
	v_cmp_gt_u32_e64 s0, 8, v14
	v_dual_mov_b32 v14, v1 :: v_dual_mov_b32 v13, v0
	s_delay_alu instid0(VALU_DEP_2)
	s_and_saveexec_b32 s15, s0
; %bb.901:                              ;   in Loop: Header=BB363_799 Depth=1
	v_and_b32_e32 v13, 7, v12
	s_delay_alu instid0(VALU_DEP_1) | instskip(NEXT) | instid1(VALU_DEP_1)
	v_clz_i32_u32_e32 v13, v13
	v_min_u32_e32 v85, 32, v13
	s_delay_alu instid0(VALU_DEP_1) | instskip(SKIP_1) | instid1(VALU_DEP_2)
	v_subrev_nc_u32_e32 v13, 28, v85
	v_sub_nc_u32_e32 v85, 29, v85
	v_lshlrev_b64 v[13:14], v13, v[0:1]
; %bb.902:                              ;   in Loop: Header=BB363_799 Depth=1
	s_or_b32 exec_lo, exec_lo, s15
	v_lshlrev_b32_e32 v14, 8, v12
	s_delay_alu instid0(VALU_DEP_3) | instskip(NEXT) | instid1(VALU_DEP_3)
	v_lshl_add_u32 v85, v85, 10, 0x2000
	v_lshlrev_b32_e32 v13, 7, v13
	s_delay_alu instid0(VALU_DEP_2) | instskip(NEXT) | instid1(VALU_DEP_1)
	v_and_or_b32 v14, 0x8000, v14, v85
	v_and_or_b32 v13, 0x380, v13, v14
	s_delay_alu instid0(VALU_DEP_1)
	v_cvt_f32_f16_e32 v13, v13
.LBB363_903:                            ;   in Loop: Header=BB363_799 Depth=1
	s_or_b32 exec_lo, exec_lo, s13
.LBB363_904:                            ;   in Loop: Header=BB363_799 Depth=1
	s_delay_alu instid0(SALU_CYCLE_1)
	s_or_b32 exec_lo, exec_lo, s12
.LBB363_905:                            ;   in Loop: Header=BB363_799 Depth=1
	s_delay_alu instid0(SALU_CYCLE_1) | instskip(SKIP_2) | instid1(VALU_DEP_1)
	s_or_b32 exec_lo, exec_lo, s10
	v_lshrrev_b16 v0, 8, v0
	s_mov_b32 s10, exec_lo
	v_cmpx_ne_u16_e32 0, v0
	s_cbranch_execz .LBB363_913
; %bb.906:                              ;   in Loop: Header=BB363_799 Depth=1
	v_bfrev_b32_e32 v84, 1
	s_mov_b32 s12, exec_lo
	v_cmpx_ne_u16_e32 0x80, v0
	s_cbranch_execz .LBB363_912
; %bb.907:                              ;   in Loop: Header=BB363_799 Depth=1
	v_and_b32_e32 v14, 0xffff, v0
	v_mov_b32_e32 v84, 0x7fc02000
	s_mov_b32 s13, exec_lo
	s_delay_alu instid0(VALU_DEP_2) | instskip(NEXT) | instid1(VALU_DEP_1)
	v_and_b32_e32 v85, 0x7f, v14
	v_cmpx_ne_u32_e32 0x7f, v85
	s_cbranch_execz .LBB363_911
; %bb.908:                              ;   in Loop: Header=BB363_799 Depth=1
	v_and_b32_e32 v0, 7, v14
	v_lshrrev_b32_e32 v84, 3, v85
	s_mov_b32 s15, exec_lo
	v_cmpx_gt_u32_e32 8, v85
; %bb.909:                              ;   in Loop: Header=BB363_799 Depth=1
	s_delay_alu instid0(VALU_DEP_3) | instskip(NEXT) | instid1(VALU_DEP_1)
	v_clz_i32_u32_e32 v84, v0
	v_min_u32_e32 v84, 32, v84
	s_delay_alu instid0(VALU_DEP_1) | instskip(SKIP_1) | instid1(VALU_DEP_2)
	v_subrev_nc_u32_e32 v85, 28, v84
	v_sub_nc_u32_e32 v84, 29, v84
	v_lshlrev_b64 v[85:86], v85, v[0:1]
	s_delay_alu instid0(VALU_DEP_1)
	v_and_b32_e32 v0, 7, v85
; %bb.910:                              ;   in Loop: Header=BB363_799 Depth=1
	s_or_b32 exec_lo, exec_lo, s15
	v_lshlrev_b32_e32 v14, 8, v14
	v_lshl_add_u32 v84, v84, 10, 0x2000
	s_delay_alu instid0(VALU_DEP_1) | instskip(NEXT) | instid1(VALU_DEP_1)
	v_and_or_b32 v14, 0x8000, v14, v84
	v_lshl_or_b32 v0, v0, 7, v14
	s_delay_alu instid0(VALU_DEP_1)
	v_cvt_f32_f16_e32 v84, v0
.LBB363_911:                            ;   in Loop: Header=BB363_799 Depth=1
	s_or_b32 exec_lo, exec_lo, s13
.LBB363_912:                            ;   in Loop: Header=BB363_799 Depth=1
	s_delay_alu instid0(SALU_CYCLE_1)
	s_or_b32 exec_lo, exec_lo, s12
.LBB363_913:                            ;   in Loop: Header=BB363_799 Depth=1
	s_delay_alu instid0(SALU_CYCLE_1) | instskip(SKIP_3) | instid1(VALU_DEP_2)
	s_or_b32 exec_lo, exec_lo, s10
	v_lshrrev_b32_e32 v86, 16, v12
	v_mov_b32_e32 v14, 0
	s_mov_b32 s10, exec_lo
	v_dual_mov_b32 v85, 0 :: v_dual_and_b32 v0, 0xff, v86
	s_delay_alu instid0(VALU_DEP_1)
	v_cmpx_ne_u16_e32 0, v0
	s_cbranch_execz .LBB363_921
; %bb.914:                              ;   in Loop: Header=BB363_799 Depth=1
	v_bfrev_b32_e32 v14, 1
	s_mov_b32 s12, exec_lo
	v_cmpx_ne_u16_e32 0x80, v0
	s_cbranch_execz .LBB363_920
; %bb.915:                              ;   in Loop: Header=BB363_799 Depth=1
	v_bfe_u32 v87, v12, 16, 7
	v_mov_b32_e32 v14, 0x7fc02000
	s_mov_b32 s13, exec_lo
	s_delay_alu instid0(VALU_DEP_2)
	v_cmpx_ne_u32_e32 0x7f, v87
	s_cbranch_execz .LBB363_919
; %bb.916:                              ;   in Loop: Header=BB363_799 Depth=1
	v_and_b32_e32 v0, 7, v86
	v_lshrrev_b32_e32 v14, 3, v87
	s_mov_b32 s15, exec_lo
	v_cmpx_gt_u32_e32 8, v87
; %bb.917:                              ;   in Loop: Header=BB363_799 Depth=1
	s_delay_alu instid0(VALU_DEP_3) | instskip(NEXT) | instid1(VALU_DEP_1)
	v_clz_i32_u32_e32 v14, v0
	v_min_u32_e32 v14, 32, v14
	s_delay_alu instid0(VALU_DEP_1) | instskip(SKIP_1) | instid1(VALU_DEP_2)
	v_subrev_nc_u32_e32 v87, 28, v14
	v_sub_nc_u32_e32 v14, 29, v14
	v_lshlrev_b64 v[96:97], v87, v[0:1]
	s_delay_alu instid0(VALU_DEP_1)
	v_and_b32_e32 v0, 7, v96
; %bb.918:                              ;   in Loop: Header=BB363_799 Depth=1
	s_or_b32 exec_lo, exec_lo, s15
	v_lshlrev_b32_e32 v86, 8, v86
	v_lshl_add_u32 v14, v14, 10, 0x2000
	s_delay_alu instid0(VALU_DEP_1) | instskip(NEXT) | instid1(VALU_DEP_1)
	v_and_or_b32 v14, 0x8000, v86, v14
	v_lshl_or_b32 v0, v0, 7, v14
	s_delay_alu instid0(VALU_DEP_1)
	v_cvt_f32_f16_e32 v14, v0
.LBB363_919:                            ;   in Loop: Header=BB363_799 Depth=1
	s_or_b32 exec_lo, exec_lo, s13
.LBB363_920:                            ;   in Loop: Header=BB363_799 Depth=1
	s_delay_alu instid0(SALU_CYCLE_1)
	s_or_b32 exec_lo, exec_lo, s12
.LBB363_921:                            ;   in Loop: Header=BB363_799 Depth=1
	s_delay_alu instid0(SALU_CYCLE_1) | instskip(NEXT) | instid1(SALU_CYCLE_1)
	s_or_b32 exec_lo, exec_lo, s10
	s_mov_b32 s10, exec_lo
	v_cmpx_lt_u64_e64 s[8:9], v[11:12]
	s_cbranch_execz .LBB363_929
; %bb.922:                              ;   in Loop: Header=BB363_799 Depth=1
	v_lshrrev_b32_e32 v11, 24, v12
	v_bfrev_b32_e32 v85, 1
	s_mov_b32 s12, exec_lo
	s_delay_alu instid0(VALU_DEP_2)
	v_cmpx_ne_u32_e32 0x80, v11
	s_cbranch_execz .LBB363_928
; %bb.923:                              ;   in Loop: Header=BB363_799 Depth=1
	v_and_b32_e32 v86, 0x7f, v11
	v_mov_b32_e32 v85, 0x7fc02000
	s_mov_b32 s13, exec_lo
	s_delay_alu instid0(VALU_DEP_2)
	v_cmpx_ne_u32_e32 0x7f, v86
	s_cbranch_execz .LBB363_927
; %bb.924:                              ;   in Loop: Header=BB363_799 Depth=1
	v_and_b32_e32 v0, 7, v11
	v_lshrrev_b32_e32 v12, 3, v86
	s_mov_b32 s15, exec_lo
	v_cmpx_gt_u32_e32 8, v86
; %bb.925:                              ;   in Loop: Header=BB363_799 Depth=1
	s_delay_alu instid0(VALU_DEP_3) | instskip(NEXT) | instid1(VALU_DEP_1)
	v_clz_i32_u32_e32 v12, v0
	v_min_u32_e32 v12, 32, v12
	s_delay_alu instid0(VALU_DEP_1) | instskip(SKIP_1) | instid1(VALU_DEP_2)
	v_subrev_nc_u32_e32 v85, 28, v12
	v_sub_nc_u32_e32 v12, 29, v12
	v_lshlrev_b64 v[85:86], v85, v[0:1]
	s_delay_alu instid0(VALU_DEP_1)
	v_and_b32_e32 v0, 7, v85
; %bb.926:                              ;   in Loop: Header=BB363_799 Depth=1
	s_or_b32 exec_lo, exec_lo, s15
	v_lshlrev_b32_e32 v11, 8, v11
	v_lshl_add_u32 v12, v12, 10, 0x2000
	s_delay_alu instid0(VALU_DEP_1) | instskip(NEXT) | instid1(VALU_DEP_1)
	v_and_or_b32 v11, 0x8000, v11, v12
	v_lshl_or_b32 v0, v0, 7, v11
	s_delay_alu instid0(VALU_DEP_1)
	v_cvt_f32_f16_e32 v85, v0
.LBB363_927:                            ;   in Loop: Header=BB363_799 Depth=1
	s_or_b32 exec_lo, exec_lo, s13
.LBB363_928:                            ;   in Loop: Header=BB363_799 Depth=1
	s_delay_alu instid0(SALU_CYCLE_1)
	s_or_b32 exec_lo, exec_lo, s12
.LBB363_929:                            ;   in Loop: Header=BB363_799 Depth=1
	s_delay_alu instid0(SALU_CYCLE_1)
	s_or_b32 exec_lo, exec_lo, s10
	s_waitcnt vmcnt(0) lgkmcnt(0)
	v_fma_mixlo_f16 v12, v71, v81, 0
	v_fma_mixlo_f16 v0, v71, v83, 0
	;; [unrolled: 1-line block ×5, first 2 shown]
	v_lshlrev_b32_e32 v81, 16, v12
	v_fma_mixlo_f16 v13, v71, v13, 0
	v_fma_mixlo_f16 v83, v71, v85, 0
	;; [unrolled: 1-line block ×3, first 2 shown]
	v_lshlrev_b32_e32 v0, 16, v0
	v_and_b32_e32 v11, 0xffff, v11
	v_and_b32_e32 v14, 0xffff, v80
	v_lshlrev_b32_e32 v71, 16, v82
	v_and_b32_e32 v80, 0xffff, v13
	v_lshlrev_b32_e32 v82, 16, v83
	v_and_b32_e32 v83, 0xffff, v12
	v_or_b32_e32 v13, v0, v11
	v_or_b32_e32 v14, v81, v14
	;; [unrolled: 1-line block ×3, first 2 shown]
	s_delay_alu instid0(VALU_DEP_4)
	v_or_b32_e32 v11, v82, v83
	s_and_saveexec_b32 s10, vcc_lo
	s_cbranch_execz .LBB363_931
; %bb.930:                              ;   in Loop: Header=BB363_799 Depth=1
	v_cmp_lt_i32_e64 s0, v15, v35
	v_lshrrev_b32_e32 v71, 16, v14
	v_lshrrev_b32_e32 v80, 16, v13
	;; [unrolled: 1-line block ×4, first 2 shown]
	v_cndmask_b32_e64 v14, 0, v14, s0
	v_cmp_lt_i32_e64 s0, v64, v48
	s_delay_alu instid0(VALU_DEP_1) | instskip(SKIP_1) | instid1(VALU_DEP_2)
	v_cndmask_b32_e64 v71, 0, v71, s0
	v_cmp_lt_i32_e64 s0, v55, v48
	v_perm_b32 v14, v71, v14, 0x5040100
	s_delay_alu instid0(VALU_DEP_2) | instskip(SKIP_1) | instid1(VALU_DEP_1)
	v_cndmask_b32_e64 v80, 0, v80, s0
	v_cmp_lt_i32_e64 s0, v54, v35
	v_cndmask_b32_e64 v13, 0, v13, s0
	v_cmp_lt_i32_e64 s0, v53, v48
	s_delay_alu instid0(VALU_DEP_2) | instskip(NEXT) | instid1(VALU_DEP_2)
	v_perm_b32 v13, v80, v13, 0x5040100
	v_cndmask_b32_e64 v81, 0, v81, s0
	v_cmp_lt_i32_e64 s0, v52, v35
	s_delay_alu instid0(VALU_DEP_1) | instskip(SKIP_1) | instid1(VALU_DEP_2)
	v_cndmask_b32_e64 v0, 0, v0, s0
	v_cmp_lt_i32_e64 s0, v38, v48
	v_perm_b32 v0, v81, v0, 0x5040100
	s_delay_alu instid0(VALU_DEP_2) | instskip(SKIP_1) | instid1(VALU_DEP_1)
	v_cndmask_b32_e64 v11, 0, v11, s0
	v_cmp_lt_i32_e64 s0, v17, v35
	v_cndmask_b32_e64 v12, 0, v12, s0
	s_delay_alu instid0(VALU_DEP_1)
	v_perm_b32 v11, v11, v12, 0x5040100
.LBB363_931:                            ;   in Loop: Header=BB363_799 Depth=1
	s_or_b32 exec_lo, exec_lo, s10
	;;#ASMSTART
	v_pk_mul_f16 v12, v70, v14;

	;;#ASMEND
	;;#ASMSTART
	v_pk_mul_f16 v13, v68, v13;

	;;#ASMEND
	;; [unrolled: 4-line block ×4, first 2 shown]
	;;#ASMSTART
	v_pk_add_f16 v12, v12, v13;

	;;#ASMEND
	;;#ASMSTART
	v_pk_add_f16 v0, v12, v0;

	;;#ASMEND
	;; [unrolled: 4-line block ×3, first 2 shown]
	v_dual_mov_b32 v82, 0 :: v_dual_and_b32 v11, 0xffff, v0
	v_lshrrev_b32_e32 v0, 16, v0
	;;#ASMSTART
	v_cvt_f32_f16 v71, v11;
	;;#ASMEND
	;;#ASMSTART
	v_cvt_f32_f16 v80, v0;
	;;#ASMEND
	flat_load_b64 v[11:12], v[9:10] offset:512
	flat_load_b32 v81, v[26:27]
	s_mov_b32 s10, exec_lo
	s_waitcnt vmcnt(1) lgkmcnt(1)
	v_dual_mov_b32 v83, 0 :: v_dual_and_b32 v0, 0xff, v11
	s_delay_alu instid0(VALU_DEP_1)
	v_cmpx_ne_u16_e32 0, v0
	s_cbranch_execz .LBB363_939
; %bb.932:                              ;   in Loop: Header=BB363_799 Depth=1
	v_bfrev_b32_e32 v82, 1
	s_mov_b32 s12, exec_lo
	v_cmpx_ne_u16_e32 0x80, v0
	s_cbranch_execz .LBB363_938
; %bb.933:                              ;   in Loop: Header=BB363_799 Depth=1
	v_and_b32_e32 v13, 0x7f, v11
	v_mov_b32_e32 v82, 0x7fc02000
	s_mov_b32 s13, exec_lo
	s_delay_alu instid0(VALU_DEP_2)
	v_cmpx_ne_u32_e32 0x7f, v13
	s_cbranch_execz .LBB363_937
; %bb.934:                              ;   in Loop: Header=BB363_799 Depth=1
	v_lshrrev_b32_e32 v0, 3, v13
	v_cmp_gt_u32_e64 s0, 8, v13
	v_dual_mov_b32 v14, v12 :: v_dual_mov_b32 v13, v11
	s_delay_alu instid0(VALU_DEP_2)
	s_and_saveexec_b32 s15, s0
; %bb.935:                              ;   in Loop: Header=BB363_799 Depth=1
	v_and_b32_e32 v0, 7, v11
	s_delay_alu instid0(VALU_DEP_1) | instskip(NEXT) | instid1(VALU_DEP_1)
	v_clz_i32_u32_e32 v0, v0
	v_min_u32_e32 v0, 32, v0
	s_delay_alu instid0(VALU_DEP_1) | instskip(SKIP_1) | instid1(VALU_DEP_2)
	v_subrev_nc_u32_e32 v13, 28, v0
	v_sub_nc_u32_e32 v0, 29, v0
	v_lshlrev_b64 v[13:14], v13, v[11:12]
; %bb.936:                              ;   in Loop: Header=BB363_799 Depth=1
	s_or_b32 exec_lo, exec_lo, s15
	v_lshlrev_b32_e32 v14, 8, v11
	s_delay_alu instid0(VALU_DEP_3) | instskip(NEXT) | instid1(VALU_DEP_3)
	v_lshl_add_u32 v0, v0, 10, 0x2000
	v_lshlrev_b32_e32 v13, 7, v13
	s_delay_alu instid0(VALU_DEP_2) | instskip(NEXT) | instid1(VALU_DEP_1)
	v_and_or_b32 v0, 0x8000, v14, v0
	v_and_or_b32 v0, 0x380, v13, v0
	s_delay_alu instid0(VALU_DEP_1)
	v_cvt_f32_f16_e32 v82, v0
.LBB363_937:                            ;   in Loop: Header=BB363_799 Depth=1
	s_or_b32 exec_lo, exec_lo, s13
.LBB363_938:                            ;   in Loop: Header=BB363_799 Depth=1
	s_delay_alu instid0(SALU_CYCLE_1)
	s_or_b32 exec_lo, exec_lo, s12
.LBB363_939:                            ;   in Loop: Header=BB363_799 Depth=1
	s_delay_alu instid0(SALU_CYCLE_1) | instskip(SKIP_2) | instid1(VALU_DEP_1)
	s_or_b32 exec_lo, exec_lo, s10
	v_lshrrev_b16 v0, 8, v11
	s_mov_b32 s10, exec_lo
	v_cmpx_ne_u16_e32 0, v0
	s_cbranch_execz .LBB363_947
; %bb.940:                              ;   in Loop: Header=BB363_799 Depth=1
	v_bfrev_b32_e32 v83, 1
	s_mov_b32 s12, exec_lo
	v_cmpx_ne_u16_e32 0x80, v0
	s_cbranch_execz .LBB363_946
; %bb.941:                              ;   in Loop: Header=BB363_799 Depth=1
	v_and_b32_e32 v13, 0xffff, v0
	v_mov_b32_e32 v83, 0x7fc02000
	s_mov_b32 s13, exec_lo
	s_delay_alu instid0(VALU_DEP_2) | instskip(NEXT) | instid1(VALU_DEP_1)
	v_and_b32_e32 v84, 0x7f, v13
	v_cmpx_ne_u32_e32 0x7f, v84
	s_cbranch_execz .LBB363_945
; %bb.942:                              ;   in Loop: Header=BB363_799 Depth=1
	v_and_b32_e32 v0, 7, v13
	v_lshrrev_b32_e32 v14, 3, v84
	s_mov_b32 s15, exec_lo
	v_cmpx_gt_u32_e32 8, v84
; %bb.943:                              ;   in Loop: Header=BB363_799 Depth=1
	s_delay_alu instid0(VALU_DEP_3) | instskip(NEXT) | instid1(VALU_DEP_1)
	v_clz_i32_u32_e32 v14, v0
	v_min_u32_e32 v14, 32, v14
	s_delay_alu instid0(VALU_DEP_1) | instskip(SKIP_1) | instid1(VALU_DEP_2)
	v_subrev_nc_u32_e32 v83, 28, v14
	v_sub_nc_u32_e32 v14, 29, v14
	v_lshlrev_b64 v[83:84], v83, v[0:1]
	s_delay_alu instid0(VALU_DEP_1)
	v_and_b32_e32 v0, 7, v83
; %bb.944:                              ;   in Loop: Header=BB363_799 Depth=1
	s_or_b32 exec_lo, exec_lo, s15
	v_lshlrev_b32_e32 v13, 8, v13
	v_lshl_add_u32 v14, v14, 10, 0x2000
	s_delay_alu instid0(VALU_DEP_1) | instskip(NEXT) | instid1(VALU_DEP_1)
	v_and_or_b32 v13, 0x8000, v13, v14
	v_lshl_or_b32 v0, v0, 7, v13
	s_delay_alu instid0(VALU_DEP_1)
	v_cvt_f32_f16_e32 v83, v0
.LBB363_945:                            ;   in Loop: Header=BB363_799 Depth=1
	s_or_b32 exec_lo, exec_lo, s13
.LBB363_946:                            ;   in Loop: Header=BB363_799 Depth=1
	s_delay_alu instid0(SALU_CYCLE_1)
	s_or_b32 exec_lo, exec_lo, s12
.LBB363_947:                            ;   in Loop: Header=BB363_799 Depth=1
	s_delay_alu instid0(SALU_CYCLE_1) | instskip(SKIP_3) | instid1(VALU_DEP_2)
	s_or_b32 exec_lo, exec_lo, s10
	v_lshrrev_b32_e32 v13, 16, v11
	v_mov_b32_e32 v84, 0
	s_mov_b32 s10, exec_lo
	v_dual_mov_b32 v85, 0 :: v_dual_and_b32 v0, 0xff, v13
	s_delay_alu instid0(VALU_DEP_1)
	v_cmpx_ne_u16_e32 0, v0
	s_cbranch_execz .LBB363_955
; %bb.948:                              ;   in Loop: Header=BB363_799 Depth=1
	v_bfrev_b32_e32 v84, 1
	s_mov_b32 s12, exec_lo
	v_cmpx_ne_u16_e32 0x80, v0
	s_cbranch_execz .LBB363_954
; %bb.949:                              ;   in Loop: Header=BB363_799 Depth=1
	v_bfe_u32 v86, v11, 16, 7
	v_mov_b32_e32 v84, 0x7fc02000
	s_mov_b32 s13, exec_lo
	s_delay_alu instid0(VALU_DEP_2)
	v_cmpx_ne_u32_e32 0x7f, v86
	s_cbranch_execz .LBB363_953
; %bb.950:                              ;   in Loop: Header=BB363_799 Depth=1
	v_and_b32_e32 v0, 7, v13
	v_lshrrev_b32_e32 v14, 3, v86
	s_mov_b32 s15, exec_lo
	v_cmpx_gt_u32_e32 8, v86
; %bb.951:                              ;   in Loop: Header=BB363_799 Depth=1
	s_delay_alu instid0(VALU_DEP_3) | instskip(NEXT) | instid1(VALU_DEP_1)
	v_clz_i32_u32_e32 v14, v0
	v_min_u32_e32 v14, 32, v14
	s_delay_alu instid0(VALU_DEP_1) | instskip(SKIP_1) | instid1(VALU_DEP_2)
	v_subrev_nc_u32_e32 v84, 28, v14
	v_sub_nc_u32_e32 v14, 29, v14
	v_lshlrev_b64 v[86:87], v84, v[0:1]
	s_delay_alu instid0(VALU_DEP_1)
	v_and_b32_e32 v0, 7, v86
; %bb.952:                              ;   in Loop: Header=BB363_799 Depth=1
	s_or_b32 exec_lo, exec_lo, s15
	v_lshlrev_b32_e32 v13, 8, v13
	v_lshl_add_u32 v14, v14, 10, 0x2000
	s_delay_alu instid0(VALU_DEP_1) | instskip(NEXT) | instid1(VALU_DEP_1)
	v_and_or_b32 v13, 0x8000, v13, v14
	v_lshl_or_b32 v0, v0, 7, v13
	s_delay_alu instid0(VALU_DEP_1)
	v_cvt_f32_f16_e32 v84, v0
.LBB363_953:                            ;   in Loop: Header=BB363_799 Depth=1
	s_or_b32 exec_lo, exec_lo, s13
.LBB363_954:                            ;   in Loop: Header=BB363_799 Depth=1
	s_delay_alu instid0(SALU_CYCLE_1)
	s_or_b32 exec_lo, exec_lo, s12
.LBB363_955:                            ;   in Loop: Header=BB363_799 Depth=1
	s_delay_alu instid0(SALU_CYCLE_1) | instskip(NEXT) | instid1(SALU_CYCLE_1)
	s_or_b32 exec_lo, exec_lo, s10
	s_mov_b32 s10, exec_lo
	v_cmpx_lt_u32_e32 0xffffff, v11
	s_cbranch_execz .LBB363_963
; %bb.956:                              ;   in Loop: Header=BB363_799 Depth=1
	v_lshrrev_b32_e32 v86, 24, v11
	v_bfrev_b32_e32 v85, 1
	s_mov_b32 s12, exec_lo
	s_delay_alu instid0(VALU_DEP_2)
	v_cmpx_ne_u32_e32 0x80, v86
	s_cbranch_execz .LBB363_962
; %bb.957:                              ;   in Loop: Header=BB363_799 Depth=1
	v_and_b32_e32 v13, 0x7f, v86
	v_mov_b32_e32 v85, 0x7fc02000
	s_mov_b32 s13, exec_lo
	s_delay_alu instid0(VALU_DEP_2)
	v_cmpx_ne_u32_e32 0x7f, v13
	s_cbranch_execz .LBB363_961
; %bb.958:                              ;   in Loop: Header=BB363_799 Depth=1
	v_and_b32_e32 v0, 7, v86
	v_lshrrev_b32_e32 v85, 3, v13
	v_cmp_gt_u32_e64 s0, 8, v13
	s_delay_alu instid0(VALU_DEP_3) | instskip(NEXT) | instid1(VALU_DEP_2)
	v_dual_mov_b32 v14, v1 :: v_dual_mov_b32 v13, v0
	s_and_saveexec_b32 s15, s0
; %bb.959:                              ;   in Loop: Header=BB363_799 Depth=1
	v_clz_i32_u32_e32 v13, v0
	s_delay_alu instid0(VALU_DEP_1) | instskip(NEXT) | instid1(VALU_DEP_1)
	v_min_u32_e32 v85, 32, v13
	v_subrev_nc_u32_e32 v13, 28, v85
	v_sub_nc_u32_e32 v85, 29, v85
	s_delay_alu instid0(VALU_DEP_2) | instskip(NEXT) | instid1(VALU_DEP_1)
	v_lshlrev_b64 v[13:14], v13, v[0:1]
	v_and_b32_e32 v13, 7, v13
; %bb.960:                              ;   in Loop: Header=BB363_799 Depth=1
	s_or_b32 exec_lo, exec_lo, s15
	v_lshlrev_b32_e32 v0, 8, v86
	v_lshl_add_u32 v14, v85, 10, 0x2000
	s_delay_alu instid0(VALU_DEP_1) | instskip(NEXT) | instid1(VALU_DEP_1)
	v_and_or_b32 v0, 0x8000, v0, v14
	v_lshl_or_b32 v0, v13, 7, v0
	s_delay_alu instid0(VALU_DEP_1)
	v_cvt_f32_f16_e32 v85, v0
.LBB363_961:                            ;   in Loop: Header=BB363_799 Depth=1
	s_or_b32 exec_lo, exec_lo, s13
.LBB363_962:                            ;   in Loop: Header=BB363_799 Depth=1
	s_delay_alu instid0(SALU_CYCLE_1)
	s_or_b32 exec_lo, exec_lo, s12
.LBB363_963:                            ;   in Loop: Header=BB363_799 Depth=1
	s_delay_alu instid0(SALU_CYCLE_1) | instskip(SKIP_3) | instid1(VALU_DEP_2)
	s_or_b32 exec_lo, exec_lo, s10
	v_dual_mov_b32 v0, v12 :: v_dual_and_b32 v13, 0xff, v12
	v_dual_mov_b32 v87, 0 :: v_dual_mov_b32 v86, 0
	s_mov_b32 s10, exec_lo
	v_cmpx_ne_u16_e32 0, v13
	s_cbranch_execz .LBB363_971
; %bb.964:                              ;   in Loop: Header=BB363_799 Depth=1
	v_bfrev_b32_e32 v86, 1
	s_mov_b32 s12, exec_lo
	v_cmpx_ne_u16_e32 0x80, v13
	s_cbranch_execz .LBB363_970
; %bb.965:                              ;   in Loop: Header=BB363_799 Depth=1
	v_and_b32_e32 v13, 0x7f, v12
	v_mov_b32_e32 v86, 0x7fc02000
	s_mov_b32 s13, exec_lo
	s_delay_alu instid0(VALU_DEP_2)
	v_cmpx_ne_u32_e32 0x7f, v13
	s_cbranch_execz .LBB363_969
; %bb.966:                              ;   in Loop: Header=BB363_799 Depth=1
	v_lshrrev_b32_e32 v86, 3, v13
	v_cmp_gt_u32_e64 s0, 8, v13
	v_dual_mov_b32 v14, v1 :: v_dual_mov_b32 v13, v0
	s_delay_alu instid0(VALU_DEP_2)
	s_and_saveexec_b32 s15, s0
; %bb.967:                              ;   in Loop: Header=BB363_799 Depth=1
	v_and_b32_e32 v13, 7, v12
	s_delay_alu instid0(VALU_DEP_1) | instskip(NEXT) | instid1(VALU_DEP_1)
	v_clz_i32_u32_e32 v13, v13
	v_min_u32_e32 v86, 32, v13
	s_delay_alu instid0(VALU_DEP_1) | instskip(SKIP_1) | instid1(VALU_DEP_2)
	v_subrev_nc_u32_e32 v13, 28, v86
	v_sub_nc_u32_e32 v86, 29, v86
	v_lshlrev_b64 v[13:14], v13, v[0:1]
; %bb.968:                              ;   in Loop: Header=BB363_799 Depth=1
	s_or_b32 exec_lo, exec_lo, s15
	v_lshlrev_b32_e32 v14, 8, v12
	s_delay_alu instid0(VALU_DEP_3) | instskip(NEXT) | instid1(VALU_DEP_3)
	v_lshl_add_u32 v86, v86, 10, 0x2000
	v_lshlrev_b32_e32 v13, 7, v13
	s_delay_alu instid0(VALU_DEP_2) | instskip(NEXT) | instid1(VALU_DEP_1)
	v_and_or_b32 v14, 0x8000, v14, v86
	v_and_or_b32 v13, 0x380, v13, v14
	s_delay_alu instid0(VALU_DEP_1)
	v_cvt_f32_f16_e32 v86, v13
.LBB363_969:                            ;   in Loop: Header=BB363_799 Depth=1
	s_or_b32 exec_lo, exec_lo, s13
.LBB363_970:                            ;   in Loop: Header=BB363_799 Depth=1
	s_delay_alu instid0(SALU_CYCLE_1)
	s_or_b32 exec_lo, exec_lo, s12
.LBB363_971:                            ;   in Loop: Header=BB363_799 Depth=1
	s_delay_alu instid0(SALU_CYCLE_1) | instskip(SKIP_2) | instid1(VALU_DEP_1)
	s_or_b32 exec_lo, exec_lo, s10
	v_lshrrev_b16 v0, 8, v0
	s_mov_b32 s10, exec_lo
	v_cmpx_ne_u16_e32 0, v0
	s_cbranch_execz .LBB363_979
; %bb.972:                              ;   in Loop: Header=BB363_799 Depth=1
	v_bfrev_b32_e32 v87, 1
	s_mov_b32 s12, exec_lo
	v_cmpx_ne_u16_e32 0x80, v0
	s_cbranch_execz .LBB363_978
; %bb.973:                              ;   in Loop: Header=BB363_799 Depth=1
	v_and_b32_e32 v96, 0xffff, v0
	v_mov_b32_e32 v87, 0x7fc02000
	s_mov_b32 s13, exec_lo
	s_delay_alu instid0(VALU_DEP_2) | instskip(NEXT) | instid1(VALU_DEP_1)
	v_and_b32_e32 v13, 0x7f, v96
	v_cmpx_ne_u32_e32 0x7f, v13
	s_cbranch_execz .LBB363_977
; %bb.974:                              ;   in Loop: Header=BB363_799 Depth=1
	v_and_b32_e32 v0, 7, v96
	v_lshrrev_b32_e32 v87, 3, v13
	v_cmp_gt_u32_e64 s0, 8, v13
	s_delay_alu instid0(VALU_DEP_3) | instskip(NEXT) | instid1(VALU_DEP_2)
	v_dual_mov_b32 v14, v1 :: v_dual_mov_b32 v13, v0
	s_and_saveexec_b32 s15, s0
; %bb.975:                              ;   in Loop: Header=BB363_799 Depth=1
	v_clz_i32_u32_e32 v13, v0
	s_delay_alu instid0(VALU_DEP_1) | instskip(NEXT) | instid1(VALU_DEP_1)
	v_min_u32_e32 v87, 32, v13
	v_subrev_nc_u32_e32 v13, 28, v87
	v_sub_nc_u32_e32 v87, 29, v87
	s_delay_alu instid0(VALU_DEP_2) | instskip(NEXT) | instid1(VALU_DEP_1)
	v_lshlrev_b64 v[13:14], v13, v[0:1]
	v_and_b32_e32 v13, 7, v13
; %bb.976:                              ;   in Loop: Header=BB363_799 Depth=1
	s_or_b32 exec_lo, exec_lo, s15
	v_lshlrev_b32_e32 v0, 8, v96
	v_lshl_add_u32 v14, v87, 10, 0x2000
	s_delay_alu instid0(VALU_DEP_1) | instskip(NEXT) | instid1(VALU_DEP_1)
	v_and_or_b32 v0, 0x8000, v0, v14
	v_lshl_or_b32 v0, v13, 7, v0
	s_delay_alu instid0(VALU_DEP_1)
	v_cvt_f32_f16_e32 v87, v0
.LBB363_977:                            ;   in Loop: Header=BB363_799 Depth=1
	s_or_b32 exec_lo, exec_lo, s13
.LBB363_978:                            ;   in Loop: Header=BB363_799 Depth=1
	s_delay_alu instid0(SALU_CYCLE_1)
	s_or_b32 exec_lo, exec_lo, s12
.LBB363_979:                            ;   in Loop: Header=BB363_799 Depth=1
	s_delay_alu instid0(SALU_CYCLE_1) | instskip(SKIP_3) | instid1(VALU_DEP_2)
	s_or_b32 exec_lo, exec_lo, s10
	v_lshrrev_b32_e32 v97, 16, v12
	v_mov_b32_e32 v96, 0
	s_mov_b32 s10, exec_lo
	v_dual_mov_b32 v13, 0 :: v_dual_and_b32 v0, 0xff, v97
	s_delay_alu instid0(VALU_DEP_1)
	v_cmpx_ne_u16_e32 0, v0
	s_cbranch_execz .LBB363_987
; %bb.980:                              ;   in Loop: Header=BB363_799 Depth=1
	v_bfrev_b32_e32 v13, 1
	s_mov_b32 s12, exec_lo
	v_cmpx_ne_u16_e32 0x80, v0
	s_cbranch_execz .LBB363_986
; %bb.981:                              ;   in Loop: Header=BB363_799 Depth=1
	v_bfe_u32 v14, v12, 16, 7
	v_mov_b32_e32 v13, 0x7fc02000
	s_mov_b32 s13, exec_lo
	s_delay_alu instid0(VALU_DEP_2)
	v_cmpx_ne_u32_e32 0x7f, v14
	s_cbranch_execz .LBB363_985
; %bb.982:                              ;   in Loop: Header=BB363_799 Depth=1
	v_and_b32_e32 v0, 7, v97
	v_lshrrev_b32_e32 v98, 3, v14
	v_cmp_gt_u32_e64 s0, 8, v14
	s_delay_alu instid0(VALU_DEP_3) | instskip(NEXT) | instid1(VALU_DEP_2)
	v_dual_mov_b32 v14, v1 :: v_dual_mov_b32 v13, v0
	s_and_saveexec_b32 s15, s0
; %bb.983:                              ;   in Loop: Header=BB363_799 Depth=1
	v_clz_i32_u32_e32 v13, v0
	s_delay_alu instid0(VALU_DEP_1) | instskip(NEXT) | instid1(VALU_DEP_1)
	v_min_u32_e32 v98, 32, v13
	v_subrev_nc_u32_e32 v13, 28, v98
	v_sub_nc_u32_e32 v98, 29, v98
	s_delay_alu instid0(VALU_DEP_2) | instskip(NEXT) | instid1(VALU_DEP_1)
	v_lshlrev_b64 v[13:14], v13, v[0:1]
	v_and_b32_e32 v13, 7, v13
; %bb.984:                              ;   in Loop: Header=BB363_799 Depth=1
	s_or_b32 exec_lo, exec_lo, s15
	v_lshlrev_b32_e32 v0, 8, v97
	v_lshl_add_u32 v14, v98, 10, 0x2000
	s_delay_alu instid0(VALU_DEP_1) | instskip(NEXT) | instid1(VALU_DEP_1)
	v_and_or_b32 v0, 0x8000, v0, v14
	v_lshl_or_b32 v0, v13, 7, v0
	s_delay_alu instid0(VALU_DEP_1)
	v_cvt_f32_f16_e32 v13, v0
.LBB363_985:                            ;   in Loop: Header=BB363_799 Depth=1
	s_or_b32 exec_lo, exec_lo, s13
.LBB363_986:                            ;   in Loop: Header=BB363_799 Depth=1
	s_delay_alu instid0(SALU_CYCLE_1)
	s_or_b32 exec_lo, exec_lo, s12
.LBB363_987:                            ;   in Loop: Header=BB363_799 Depth=1
	s_delay_alu instid0(SALU_CYCLE_1) | instskip(NEXT) | instid1(SALU_CYCLE_1)
	s_or_b32 exec_lo, exec_lo, s10
	s_mov_b32 s10, exec_lo
	v_cmpx_lt_u64_e64 s[8:9], v[11:12]
	s_cbranch_execz .LBB363_995
; %bb.988:                              ;   in Loop: Header=BB363_799 Depth=1
	v_lshrrev_b32_e32 v14, 24, v12
	v_bfrev_b32_e32 v96, 1
	s_mov_b32 s12, exec_lo
	s_delay_alu instid0(VALU_DEP_2)
	v_cmpx_ne_u32_e32 0x80, v14
	s_cbranch_execz .LBB363_994
; %bb.989:                              ;   in Loop: Header=BB363_799 Depth=1
	v_and_b32_e32 v11, 0x7f, v14
	v_mov_b32_e32 v96, 0x7fc02000
	s_mov_b32 s13, exec_lo
	s_delay_alu instid0(VALU_DEP_2)
	v_cmpx_ne_u32_e32 0x7f, v11
	s_cbranch_execz .LBB363_993
; %bb.990:                              ;   in Loop: Header=BB363_799 Depth=1
	v_and_b32_e32 v0, 7, v14
	v_lshrrev_b32_e32 v96, 3, v11
	v_cmp_gt_u32_e64 s0, 8, v11
	s_delay_alu instid0(VALU_DEP_3) | instskip(NEXT) | instid1(VALU_DEP_2)
	v_dual_mov_b32 v12, v1 :: v_dual_mov_b32 v11, v0
	s_and_saveexec_b32 s15, s0
; %bb.991:                              ;   in Loop: Header=BB363_799 Depth=1
	v_clz_i32_u32_e32 v11, v0
	s_delay_alu instid0(VALU_DEP_1) | instskip(NEXT) | instid1(VALU_DEP_1)
	v_min_u32_e32 v96, 32, v11
	v_subrev_nc_u32_e32 v11, 28, v96
	v_sub_nc_u32_e32 v96, 29, v96
	s_delay_alu instid0(VALU_DEP_2) | instskip(NEXT) | instid1(VALU_DEP_1)
	v_lshlrev_b64 v[11:12], v11, v[0:1]
	v_and_b32_e32 v11, 7, v11
; %bb.992:                              ;   in Loop: Header=BB363_799 Depth=1
	s_or_b32 exec_lo, exec_lo, s15
	v_lshlrev_b32_e32 v0, 8, v14
	v_lshl_add_u32 v12, v96, 10, 0x2000
	s_delay_alu instid0(VALU_DEP_1) | instskip(NEXT) | instid1(VALU_DEP_1)
	v_and_or_b32 v0, 0x8000, v0, v12
	v_lshl_or_b32 v0, v11, 7, v0
	s_delay_alu instid0(VALU_DEP_1)
	v_cvt_f32_f16_e32 v96, v0
.LBB363_993:                            ;   in Loop: Header=BB363_799 Depth=1
	s_or_b32 exec_lo, exec_lo, s13
.LBB363_994:                            ;   in Loop: Header=BB363_799 Depth=1
	s_delay_alu instid0(SALU_CYCLE_1)
	s_or_b32 exec_lo, exec_lo, s12
.LBB363_995:                            ;   in Loop: Header=BB363_799 Depth=1
	s_delay_alu instid0(SALU_CYCLE_1)
	s_or_b32 exec_lo, exec_lo, s10
	s_waitcnt vmcnt(0) lgkmcnt(0)
	v_fma_mixlo_f16 v12, v81, v83, 0
	v_fma_mixlo_f16 v0, v81, v85, 0
	;; [unrolled: 1-line block ×5, first 2 shown]
	v_lshlrev_b32_e32 v14, 16, v12
	v_fma_mixlo_f16 v84, v81, v86, 0
	v_fma_mixlo_f16 v85, v81, v96, 0
	;; [unrolled: 1-line block ×3, first 2 shown]
	v_lshlrev_b32_e32 v0, 16, v0
	v_and_b32_e32 v11, 0xffff, v11
	v_and_b32_e32 v81, 0xffff, v82
	v_lshlrev_b32_e32 v82, 16, v83
	v_and_b32_e32 v83, 0xffff, v84
	v_lshlrev_b32_e32 v84, 16, v85
	v_and_b32_e32 v85, 0xffff, v12
	v_or_b32_e32 v13, v0, v11
	v_or_b32_e32 v14, v14, v81
	;; [unrolled: 1-line block ×3, first 2 shown]
	s_delay_alu instid0(VALU_DEP_4)
	v_or_b32_e32 v11, v84, v85
	s_and_saveexec_b32 s10, vcc_lo
	s_cbranch_execz .LBB363_997
; %bb.996:                              ;   in Loop: Header=BB363_799 Depth=1
	v_cmp_lt_i32_e64 s0, v15, v35
	v_lshrrev_b32_e32 v81, 16, v14
	v_lshrrev_b32_e32 v82, 16, v13
	;; [unrolled: 1-line block ×4, first 2 shown]
	v_cndmask_b32_e64 v14, 0, v14, s0
	v_cmp_lt_i32_e64 s0, v64, v48
	s_delay_alu instid0(VALU_DEP_1) | instskip(SKIP_1) | instid1(VALU_DEP_2)
	v_cndmask_b32_e64 v81, 0, v81, s0
	v_cmp_lt_i32_e64 s0, v55, v48
	v_perm_b32 v14, v81, v14, 0x5040100
	s_delay_alu instid0(VALU_DEP_2) | instskip(SKIP_1) | instid1(VALU_DEP_1)
	v_cndmask_b32_e64 v82, 0, v82, s0
	v_cmp_lt_i32_e64 s0, v54, v35
	v_cndmask_b32_e64 v13, 0, v13, s0
	v_cmp_lt_i32_e64 s0, v53, v48
	s_delay_alu instid0(VALU_DEP_2) | instskip(NEXT) | instid1(VALU_DEP_2)
	v_perm_b32 v13, v82, v13, 0x5040100
	v_cndmask_b32_e64 v83, 0, v83, s0
	v_cmp_lt_i32_e64 s0, v52, v35
	s_delay_alu instid0(VALU_DEP_1) | instskip(SKIP_1) | instid1(VALU_DEP_2)
	v_cndmask_b32_e64 v0, 0, v0, s0
	v_cmp_lt_i32_e64 s0, v38, v48
	v_perm_b32 v0, v83, v0, 0x5040100
	s_delay_alu instid0(VALU_DEP_2) | instskip(SKIP_1) | instid1(VALU_DEP_1)
	v_cndmask_b32_e64 v11, 0, v11, s0
	v_cmp_lt_i32_e64 s0, v17, v35
	v_cndmask_b32_e64 v12, 0, v12, s0
	s_delay_alu instid0(VALU_DEP_1)
	v_perm_b32 v11, v11, v12, 0x5040100
.LBB363_997:                            ;   in Loop: Header=BB363_799 Depth=1
	s_or_b32 exec_lo, exec_lo, s10
	;;#ASMSTART
	v_pk_mul_f16 v12, v70, v14;

	;;#ASMEND
	;;#ASMSTART
	v_pk_mul_f16 v13, v68, v13;

	;;#ASMEND
	;; [unrolled: 4-line block ×4, first 2 shown]
	;;#ASMSTART
	v_pk_add_f16 v12, v12, v13;

	;;#ASMEND
	;;#ASMSTART
	v_pk_add_f16 v0, v12, v0;

	;;#ASMEND
	;; [unrolled: 4-line block ×3, first 2 shown]
	v_dual_mov_b32 v84, 0 :: v_dual_and_b32 v11, 0xffff, v0
	v_lshrrev_b32_e32 v0, 16, v0
	;;#ASMSTART
	v_cvt_f32_f16 v81, v11;
	;;#ASMEND
	;;#ASMSTART
	v_cvt_f32_f16 v82, v0;
	;;#ASMEND
	flat_load_b64 v[11:12], v[9:10] offset:768
	flat_load_b32 v83, v[26:27]
	s_mov_b32 s10, exec_lo
	s_waitcnt vmcnt(1) lgkmcnt(1)
	v_dual_mov_b32 v85, 0 :: v_dual_and_b32 v0, 0xff, v11
	s_delay_alu instid0(VALU_DEP_1)
	v_cmpx_ne_u16_e32 0, v0
	s_cbranch_execz .LBB363_1005
; %bb.998:                              ;   in Loop: Header=BB363_799 Depth=1
	v_bfrev_b32_e32 v84, 1
	s_mov_b32 s12, exec_lo
	v_cmpx_ne_u16_e32 0x80, v0
	s_cbranch_execz .LBB363_1004
; %bb.999:                              ;   in Loop: Header=BB363_799 Depth=1
	v_and_b32_e32 v13, 0x7f, v11
	v_mov_b32_e32 v84, 0x7fc02000
	s_mov_b32 s13, exec_lo
	s_delay_alu instid0(VALU_DEP_2)
	v_cmpx_ne_u32_e32 0x7f, v13
	s_cbranch_execz .LBB363_1003
; %bb.1000:                             ;   in Loop: Header=BB363_799 Depth=1
	v_lshrrev_b32_e32 v0, 3, v13
	v_cmp_gt_u32_e64 s0, 8, v13
	v_dual_mov_b32 v14, v12 :: v_dual_mov_b32 v13, v11
	s_delay_alu instid0(VALU_DEP_2)
	s_and_saveexec_b32 s15, s0
; %bb.1001:                             ;   in Loop: Header=BB363_799 Depth=1
	v_and_b32_e32 v0, 7, v11
	s_delay_alu instid0(VALU_DEP_1) | instskip(NEXT) | instid1(VALU_DEP_1)
	v_clz_i32_u32_e32 v0, v0
	v_min_u32_e32 v0, 32, v0
	s_delay_alu instid0(VALU_DEP_1) | instskip(SKIP_1) | instid1(VALU_DEP_2)
	v_subrev_nc_u32_e32 v13, 28, v0
	v_sub_nc_u32_e32 v0, 29, v0
	v_lshlrev_b64 v[13:14], v13, v[11:12]
; %bb.1002:                             ;   in Loop: Header=BB363_799 Depth=1
	s_or_b32 exec_lo, exec_lo, s15
	v_lshlrev_b32_e32 v14, 8, v11
	s_delay_alu instid0(VALU_DEP_3) | instskip(NEXT) | instid1(VALU_DEP_3)
	v_lshl_add_u32 v0, v0, 10, 0x2000
	v_lshlrev_b32_e32 v13, 7, v13
	s_delay_alu instid0(VALU_DEP_2) | instskip(NEXT) | instid1(VALU_DEP_1)
	v_and_or_b32 v0, 0x8000, v14, v0
	v_and_or_b32 v0, 0x380, v13, v0
	s_delay_alu instid0(VALU_DEP_1)
	v_cvt_f32_f16_e32 v84, v0
.LBB363_1003:                           ;   in Loop: Header=BB363_799 Depth=1
	s_or_b32 exec_lo, exec_lo, s13
.LBB363_1004:                           ;   in Loop: Header=BB363_799 Depth=1
	s_delay_alu instid0(SALU_CYCLE_1)
	s_or_b32 exec_lo, exec_lo, s12
.LBB363_1005:                           ;   in Loop: Header=BB363_799 Depth=1
	s_delay_alu instid0(SALU_CYCLE_1) | instskip(SKIP_2) | instid1(VALU_DEP_1)
	s_or_b32 exec_lo, exec_lo, s10
	v_lshrrev_b16 v0, 8, v11
	s_mov_b32 s10, exec_lo
	v_cmpx_ne_u16_e32 0, v0
	s_cbranch_execz .LBB363_1013
; %bb.1006:                             ;   in Loop: Header=BB363_799 Depth=1
	v_bfrev_b32_e32 v85, 1
	s_mov_b32 s12, exec_lo
	v_cmpx_ne_u16_e32 0x80, v0
	s_cbranch_execz .LBB363_1012
; %bb.1007:                             ;   in Loop: Header=BB363_799 Depth=1
	v_and_b32_e32 v86, 0xffff, v0
	v_mov_b32_e32 v85, 0x7fc02000
	s_mov_b32 s13, exec_lo
	s_delay_alu instid0(VALU_DEP_2) | instskip(NEXT) | instid1(VALU_DEP_1)
	v_and_b32_e32 v13, 0x7f, v86
	v_cmpx_ne_u32_e32 0x7f, v13
	s_cbranch_execz .LBB363_1011
; %bb.1008:                             ;   in Loop: Header=BB363_799 Depth=1
	v_and_b32_e32 v0, 7, v86
	v_lshrrev_b32_e32 v85, 3, v13
	v_cmp_gt_u32_e64 s0, 8, v13
	s_delay_alu instid0(VALU_DEP_3) | instskip(NEXT) | instid1(VALU_DEP_2)
	v_dual_mov_b32 v14, v1 :: v_dual_mov_b32 v13, v0
	s_and_saveexec_b32 s15, s0
; %bb.1009:                             ;   in Loop: Header=BB363_799 Depth=1
	v_clz_i32_u32_e32 v13, v0
	s_delay_alu instid0(VALU_DEP_1) | instskip(NEXT) | instid1(VALU_DEP_1)
	v_min_u32_e32 v85, 32, v13
	v_subrev_nc_u32_e32 v13, 28, v85
	v_sub_nc_u32_e32 v85, 29, v85
	s_delay_alu instid0(VALU_DEP_2) | instskip(NEXT) | instid1(VALU_DEP_1)
	v_lshlrev_b64 v[13:14], v13, v[0:1]
	v_and_b32_e32 v13, 7, v13
; %bb.1010:                             ;   in Loop: Header=BB363_799 Depth=1
	s_or_b32 exec_lo, exec_lo, s15
	v_lshlrev_b32_e32 v0, 8, v86
	v_lshl_add_u32 v14, v85, 10, 0x2000
	s_delay_alu instid0(VALU_DEP_1) | instskip(NEXT) | instid1(VALU_DEP_1)
	v_and_or_b32 v0, 0x8000, v0, v14
	v_lshl_or_b32 v0, v13, 7, v0
	s_delay_alu instid0(VALU_DEP_1)
	v_cvt_f32_f16_e32 v85, v0
.LBB363_1011:                           ;   in Loop: Header=BB363_799 Depth=1
	s_or_b32 exec_lo, exec_lo, s13
.LBB363_1012:                           ;   in Loop: Header=BB363_799 Depth=1
	s_delay_alu instid0(SALU_CYCLE_1)
	s_or_b32 exec_lo, exec_lo, s12
.LBB363_1013:                           ;   in Loop: Header=BB363_799 Depth=1
	s_delay_alu instid0(SALU_CYCLE_1) | instskip(SKIP_3) | instid1(VALU_DEP_2)
	s_or_b32 exec_lo, exec_lo, s10
	v_lshrrev_b32_e32 v96, 16, v11
	v_mov_b32_e32 v86, 0
	s_mov_b32 s10, exec_lo
	v_dual_mov_b32 v87, 0 :: v_dual_and_b32 v0, 0xff, v96
	s_delay_alu instid0(VALU_DEP_1)
	v_cmpx_ne_u16_e32 0, v0
	s_cbranch_execz .LBB363_1021
; %bb.1014:                             ;   in Loop: Header=BB363_799 Depth=1
	v_bfrev_b32_e32 v86, 1
	s_mov_b32 s12, exec_lo
	v_cmpx_ne_u16_e32 0x80, v0
	s_cbranch_execz .LBB363_1020
; %bb.1015:                             ;   in Loop: Header=BB363_799 Depth=1
	v_bfe_u32 v13, v11, 16, 7
	v_mov_b32_e32 v86, 0x7fc02000
	s_mov_b32 s13, exec_lo
	s_delay_alu instid0(VALU_DEP_2)
	v_cmpx_ne_u32_e32 0x7f, v13
	s_cbranch_execz .LBB363_1019
; %bb.1016:                             ;   in Loop: Header=BB363_799 Depth=1
	v_and_b32_e32 v0, 7, v96
	v_lshrrev_b32_e32 v86, 3, v13
	v_cmp_gt_u32_e64 s0, 8, v13
	s_delay_alu instid0(VALU_DEP_3) | instskip(NEXT) | instid1(VALU_DEP_2)
	v_dual_mov_b32 v14, v1 :: v_dual_mov_b32 v13, v0
	s_and_saveexec_b32 s15, s0
; %bb.1017:                             ;   in Loop: Header=BB363_799 Depth=1
	v_clz_i32_u32_e32 v13, v0
	s_delay_alu instid0(VALU_DEP_1) | instskip(NEXT) | instid1(VALU_DEP_1)
	v_min_u32_e32 v86, 32, v13
	v_subrev_nc_u32_e32 v13, 28, v86
	v_sub_nc_u32_e32 v86, 29, v86
	s_delay_alu instid0(VALU_DEP_2) | instskip(NEXT) | instid1(VALU_DEP_1)
	v_lshlrev_b64 v[13:14], v13, v[0:1]
	v_and_b32_e32 v13, 7, v13
; %bb.1018:                             ;   in Loop: Header=BB363_799 Depth=1
	s_or_b32 exec_lo, exec_lo, s15
	v_lshlrev_b32_e32 v0, 8, v96
	v_lshl_add_u32 v14, v86, 10, 0x2000
	s_delay_alu instid0(VALU_DEP_1) | instskip(NEXT) | instid1(VALU_DEP_1)
	v_and_or_b32 v0, 0x8000, v0, v14
	v_lshl_or_b32 v0, v13, 7, v0
	s_delay_alu instid0(VALU_DEP_1)
	v_cvt_f32_f16_e32 v86, v0
.LBB363_1019:                           ;   in Loop: Header=BB363_799 Depth=1
	s_or_b32 exec_lo, exec_lo, s13
.LBB363_1020:                           ;   in Loop: Header=BB363_799 Depth=1
	s_delay_alu instid0(SALU_CYCLE_1)
	s_or_b32 exec_lo, exec_lo, s12
.LBB363_1021:                           ;   in Loop: Header=BB363_799 Depth=1
	s_delay_alu instid0(SALU_CYCLE_1) | instskip(NEXT) | instid1(SALU_CYCLE_1)
	s_or_b32 exec_lo, exec_lo, s10
	s_mov_b32 s10, exec_lo
	v_cmpx_lt_u32_e32 0xffffff, v11
	s_cbranch_execz .LBB363_1029
; %bb.1022:                             ;   in Loop: Header=BB363_799 Depth=1
	v_lshrrev_b32_e32 v96, 24, v11
	v_bfrev_b32_e32 v87, 1
	s_mov_b32 s12, exec_lo
	s_delay_alu instid0(VALU_DEP_2)
	v_cmpx_ne_u32_e32 0x80, v96
	s_cbranch_execz .LBB363_1028
; %bb.1023:                             ;   in Loop: Header=BB363_799 Depth=1
	v_and_b32_e32 v13, 0x7f, v96
	v_mov_b32_e32 v87, 0x7fc02000
	s_mov_b32 s13, exec_lo
	s_delay_alu instid0(VALU_DEP_2)
	v_cmpx_ne_u32_e32 0x7f, v13
	s_cbranch_execz .LBB363_1027
; %bb.1024:                             ;   in Loop: Header=BB363_799 Depth=1
	v_and_b32_e32 v0, 7, v96
	v_lshrrev_b32_e32 v87, 3, v13
	v_cmp_gt_u32_e64 s0, 8, v13
	s_delay_alu instid0(VALU_DEP_3) | instskip(NEXT) | instid1(VALU_DEP_2)
	v_dual_mov_b32 v14, v1 :: v_dual_mov_b32 v13, v0
	s_and_saveexec_b32 s15, s0
; %bb.1025:                             ;   in Loop: Header=BB363_799 Depth=1
	v_clz_i32_u32_e32 v13, v0
	s_delay_alu instid0(VALU_DEP_1) | instskip(NEXT) | instid1(VALU_DEP_1)
	v_min_u32_e32 v87, 32, v13
	v_subrev_nc_u32_e32 v13, 28, v87
	v_sub_nc_u32_e32 v87, 29, v87
	s_delay_alu instid0(VALU_DEP_2) | instskip(NEXT) | instid1(VALU_DEP_1)
	v_lshlrev_b64 v[13:14], v13, v[0:1]
	v_and_b32_e32 v13, 7, v13
; %bb.1026:                             ;   in Loop: Header=BB363_799 Depth=1
	s_or_b32 exec_lo, exec_lo, s15
	v_lshlrev_b32_e32 v0, 8, v96
	v_lshl_add_u32 v14, v87, 10, 0x2000
	s_delay_alu instid0(VALU_DEP_1) | instskip(NEXT) | instid1(VALU_DEP_1)
	v_and_or_b32 v0, 0x8000, v0, v14
	v_lshl_or_b32 v0, v13, 7, v0
	s_delay_alu instid0(VALU_DEP_1)
	v_cvt_f32_f16_e32 v87, v0
.LBB363_1027:                           ;   in Loop: Header=BB363_799 Depth=1
	s_or_b32 exec_lo, exec_lo, s13
.LBB363_1028:                           ;   in Loop: Header=BB363_799 Depth=1
	s_delay_alu instid0(SALU_CYCLE_1)
	s_or_b32 exec_lo, exec_lo, s12
.LBB363_1029:                           ;   in Loop: Header=BB363_799 Depth=1
	s_delay_alu instid0(SALU_CYCLE_1) | instskip(SKIP_3) | instid1(VALU_DEP_2)
	s_or_b32 exec_lo, exec_lo, s10
	v_dual_mov_b32 v0, v12 :: v_dual_and_b32 v13, 0xff, v12
	v_dual_mov_b32 v97, 0 :: v_dual_mov_b32 v96, 0
	s_mov_b32 s10, exec_lo
	v_cmpx_ne_u16_e32 0, v13
	s_cbranch_execz .LBB363_1037
; %bb.1030:                             ;   in Loop: Header=BB363_799 Depth=1
	v_bfrev_b32_e32 v96, 1
	s_mov_b32 s12, exec_lo
	v_cmpx_ne_u16_e32 0x80, v13
	s_cbranch_execz .LBB363_1036
; %bb.1031:                             ;   in Loop: Header=BB363_799 Depth=1
	v_and_b32_e32 v13, 0x7f, v12
	v_mov_b32_e32 v96, 0x7fc02000
	s_mov_b32 s13, exec_lo
	s_delay_alu instid0(VALU_DEP_2)
	v_cmpx_ne_u32_e32 0x7f, v13
	s_cbranch_execz .LBB363_1035
; %bb.1032:                             ;   in Loop: Header=BB363_799 Depth=1
	v_lshrrev_b32_e32 v96, 3, v13
	v_cmp_gt_u32_e64 s0, 8, v13
	v_dual_mov_b32 v14, v1 :: v_dual_mov_b32 v13, v0
	s_delay_alu instid0(VALU_DEP_2)
	s_and_saveexec_b32 s15, s0
; %bb.1033:                             ;   in Loop: Header=BB363_799 Depth=1
	v_and_b32_e32 v13, 7, v12
	s_delay_alu instid0(VALU_DEP_1) | instskip(NEXT) | instid1(VALU_DEP_1)
	v_clz_i32_u32_e32 v13, v13
	v_min_u32_e32 v96, 32, v13
	s_delay_alu instid0(VALU_DEP_1) | instskip(SKIP_1) | instid1(VALU_DEP_2)
	v_subrev_nc_u32_e32 v13, 28, v96
	v_sub_nc_u32_e32 v96, 29, v96
	v_lshlrev_b64 v[13:14], v13, v[0:1]
; %bb.1034:                             ;   in Loop: Header=BB363_799 Depth=1
	s_or_b32 exec_lo, exec_lo, s15
	v_lshlrev_b32_e32 v14, 8, v12
	s_delay_alu instid0(VALU_DEP_3) | instskip(NEXT) | instid1(VALU_DEP_3)
	v_lshl_add_u32 v96, v96, 10, 0x2000
	v_lshlrev_b32_e32 v13, 7, v13
	s_delay_alu instid0(VALU_DEP_2) | instskip(NEXT) | instid1(VALU_DEP_1)
	v_and_or_b32 v14, 0x8000, v14, v96
	v_and_or_b32 v13, 0x380, v13, v14
	s_delay_alu instid0(VALU_DEP_1)
	v_cvt_f32_f16_e32 v96, v13
.LBB363_1035:                           ;   in Loop: Header=BB363_799 Depth=1
	s_or_b32 exec_lo, exec_lo, s13
.LBB363_1036:                           ;   in Loop: Header=BB363_799 Depth=1
	s_delay_alu instid0(SALU_CYCLE_1)
	s_or_b32 exec_lo, exec_lo, s12
.LBB363_1037:                           ;   in Loop: Header=BB363_799 Depth=1
	s_delay_alu instid0(SALU_CYCLE_1) | instskip(SKIP_2) | instid1(VALU_DEP_1)
	s_or_b32 exec_lo, exec_lo, s10
	v_lshrrev_b16 v0, 8, v0
	s_mov_b32 s10, exec_lo
	v_cmpx_ne_u16_e32 0, v0
	s_cbranch_execz .LBB363_1045
; %bb.1038:                             ;   in Loop: Header=BB363_799 Depth=1
	v_bfrev_b32_e32 v97, 1
	s_mov_b32 s12, exec_lo
	v_cmpx_ne_u16_e32 0x80, v0
	s_cbranch_execz .LBB363_1044
; %bb.1039:                             ;   in Loop: Header=BB363_799 Depth=1
	v_and_b32_e32 v98, 0xffff, v0
	v_mov_b32_e32 v97, 0x7fc02000
	s_mov_b32 s13, exec_lo
	s_delay_alu instid0(VALU_DEP_2) | instskip(NEXT) | instid1(VALU_DEP_1)
	v_and_b32_e32 v13, 0x7f, v98
	v_cmpx_ne_u32_e32 0x7f, v13
	s_cbranch_execz .LBB363_1043
; %bb.1040:                             ;   in Loop: Header=BB363_799 Depth=1
	v_and_b32_e32 v0, 7, v98
	v_lshrrev_b32_e32 v97, 3, v13
	v_cmp_gt_u32_e64 s0, 8, v13
	s_delay_alu instid0(VALU_DEP_3) | instskip(NEXT) | instid1(VALU_DEP_2)
	v_dual_mov_b32 v14, v1 :: v_dual_mov_b32 v13, v0
	s_and_saveexec_b32 s15, s0
; %bb.1041:                             ;   in Loop: Header=BB363_799 Depth=1
	v_clz_i32_u32_e32 v13, v0
	s_delay_alu instid0(VALU_DEP_1) | instskip(NEXT) | instid1(VALU_DEP_1)
	v_min_u32_e32 v97, 32, v13
	v_subrev_nc_u32_e32 v13, 28, v97
	v_sub_nc_u32_e32 v97, 29, v97
	s_delay_alu instid0(VALU_DEP_2) | instskip(NEXT) | instid1(VALU_DEP_1)
	v_lshlrev_b64 v[13:14], v13, v[0:1]
	v_and_b32_e32 v13, 7, v13
; %bb.1042:                             ;   in Loop: Header=BB363_799 Depth=1
	s_or_b32 exec_lo, exec_lo, s15
	v_lshlrev_b32_e32 v0, 8, v98
	v_lshl_add_u32 v14, v97, 10, 0x2000
	s_delay_alu instid0(VALU_DEP_1) | instskip(NEXT) | instid1(VALU_DEP_1)
	v_and_or_b32 v0, 0x8000, v0, v14
	v_lshl_or_b32 v0, v13, 7, v0
	s_delay_alu instid0(VALU_DEP_1)
	v_cvt_f32_f16_e32 v97, v0
.LBB363_1043:                           ;   in Loop: Header=BB363_799 Depth=1
	s_or_b32 exec_lo, exec_lo, s13
.LBB363_1044:                           ;   in Loop: Header=BB363_799 Depth=1
	s_delay_alu instid0(SALU_CYCLE_1)
	s_or_b32 exec_lo, exec_lo, s12
.LBB363_1045:                           ;   in Loop: Header=BB363_799 Depth=1
	s_delay_alu instid0(SALU_CYCLE_1) | instskip(SKIP_3) | instid1(VALU_DEP_2)
	s_or_b32 exec_lo, exec_lo, s10
	v_lshrrev_b32_e32 v99, 16, v12
	v_mov_b32_e32 v98, 0
	s_mov_b32 s10, exec_lo
	v_dual_mov_b32 v13, 0 :: v_dual_and_b32 v0, 0xff, v99
	s_delay_alu instid0(VALU_DEP_1)
	v_cmpx_ne_u16_e32 0, v0
	s_cbranch_execz .LBB363_1053
; %bb.1046:                             ;   in Loop: Header=BB363_799 Depth=1
	v_bfrev_b32_e32 v13, 1
	s_mov_b32 s12, exec_lo
	v_cmpx_ne_u16_e32 0x80, v0
	s_cbranch_execz .LBB363_1052
; %bb.1047:                             ;   in Loop: Header=BB363_799 Depth=1
	v_bfe_u32 v14, v12, 16, 7
	v_mov_b32_e32 v13, 0x7fc02000
	s_mov_b32 s13, exec_lo
	s_delay_alu instid0(VALU_DEP_2)
	v_cmpx_ne_u32_e32 0x7f, v14
	s_cbranch_execz .LBB363_1051
; %bb.1048:                             ;   in Loop: Header=BB363_799 Depth=1
	v_and_b32_e32 v0, 7, v99
	v_lshrrev_b32_e32 v100, 3, v14
	v_cmp_gt_u32_e64 s0, 8, v14
	s_delay_alu instid0(VALU_DEP_3) | instskip(NEXT) | instid1(VALU_DEP_2)
	v_dual_mov_b32 v14, v1 :: v_dual_mov_b32 v13, v0
	s_and_saveexec_b32 s15, s0
; %bb.1049:                             ;   in Loop: Header=BB363_799 Depth=1
	v_clz_i32_u32_e32 v13, v0
	s_delay_alu instid0(VALU_DEP_1) | instskip(NEXT) | instid1(VALU_DEP_1)
	v_min_u32_e32 v100, 32, v13
	v_subrev_nc_u32_e32 v13, 28, v100
	v_sub_nc_u32_e32 v100, 29, v100
	s_delay_alu instid0(VALU_DEP_2) | instskip(NEXT) | instid1(VALU_DEP_1)
	v_lshlrev_b64 v[13:14], v13, v[0:1]
	v_and_b32_e32 v13, 7, v13
; %bb.1050:                             ;   in Loop: Header=BB363_799 Depth=1
	s_or_b32 exec_lo, exec_lo, s15
	v_lshlrev_b32_e32 v0, 8, v99
	v_lshl_add_u32 v14, v100, 10, 0x2000
	s_delay_alu instid0(VALU_DEP_1) | instskip(NEXT) | instid1(VALU_DEP_1)
	v_and_or_b32 v0, 0x8000, v0, v14
	v_lshl_or_b32 v0, v13, 7, v0
	s_delay_alu instid0(VALU_DEP_1)
	v_cvt_f32_f16_e32 v13, v0
.LBB363_1051:                           ;   in Loop: Header=BB363_799 Depth=1
	s_or_b32 exec_lo, exec_lo, s13
.LBB363_1052:                           ;   in Loop: Header=BB363_799 Depth=1
	s_delay_alu instid0(SALU_CYCLE_1)
	s_or_b32 exec_lo, exec_lo, s12
.LBB363_1053:                           ;   in Loop: Header=BB363_799 Depth=1
	s_delay_alu instid0(SALU_CYCLE_1) | instskip(NEXT) | instid1(SALU_CYCLE_1)
	s_or_b32 exec_lo, exec_lo, s10
	s_mov_b32 s10, exec_lo
	v_cmpx_lt_u64_e64 s[8:9], v[11:12]
	s_cbranch_execz .LBB363_1061
; %bb.1054:                             ;   in Loop: Header=BB363_799 Depth=1
	v_lshrrev_b32_e32 v14, 24, v12
	v_bfrev_b32_e32 v98, 1
	s_mov_b32 s12, exec_lo
	s_delay_alu instid0(VALU_DEP_2)
	v_cmpx_ne_u32_e32 0x80, v14
	s_cbranch_execz .LBB363_1060
; %bb.1055:                             ;   in Loop: Header=BB363_799 Depth=1
	v_and_b32_e32 v11, 0x7f, v14
	v_mov_b32_e32 v98, 0x7fc02000
	s_mov_b32 s13, exec_lo
	s_delay_alu instid0(VALU_DEP_2)
	v_cmpx_ne_u32_e32 0x7f, v11
	s_cbranch_execz .LBB363_1059
; %bb.1056:                             ;   in Loop: Header=BB363_799 Depth=1
	v_and_b32_e32 v0, 7, v14
	v_lshrrev_b32_e32 v98, 3, v11
	v_cmp_gt_u32_e64 s0, 8, v11
	s_delay_alu instid0(VALU_DEP_3) | instskip(NEXT) | instid1(VALU_DEP_2)
	v_dual_mov_b32 v12, v1 :: v_dual_mov_b32 v11, v0
	s_and_saveexec_b32 s15, s0
; %bb.1057:                             ;   in Loop: Header=BB363_799 Depth=1
	v_clz_i32_u32_e32 v11, v0
	s_delay_alu instid0(VALU_DEP_1) | instskip(NEXT) | instid1(VALU_DEP_1)
	v_min_u32_e32 v98, 32, v11
	v_subrev_nc_u32_e32 v11, 28, v98
	v_sub_nc_u32_e32 v98, 29, v98
	s_delay_alu instid0(VALU_DEP_2) | instskip(NEXT) | instid1(VALU_DEP_1)
	v_lshlrev_b64 v[11:12], v11, v[0:1]
	v_and_b32_e32 v11, 7, v11
; %bb.1058:                             ;   in Loop: Header=BB363_799 Depth=1
	s_or_b32 exec_lo, exec_lo, s15
	v_lshlrev_b32_e32 v0, 8, v14
	v_lshl_add_u32 v12, v98, 10, 0x2000
	s_delay_alu instid0(VALU_DEP_1) | instskip(NEXT) | instid1(VALU_DEP_1)
	v_and_or_b32 v0, 0x8000, v0, v12
	v_lshl_or_b32 v0, v11, 7, v0
	s_delay_alu instid0(VALU_DEP_1)
	v_cvt_f32_f16_e32 v98, v0
.LBB363_1059:                           ;   in Loop: Header=BB363_799 Depth=1
	s_or_b32 exec_lo, exec_lo, s13
.LBB363_1060:                           ;   in Loop: Header=BB363_799 Depth=1
	s_delay_alu instid0(SALU_CYCLE_1)
	s_or_b32 exec_lo, exec_lo, s12
.LBB363_1061:                           ;   in Loop: Header=BB363_799 Depth=1
	s_delay_alu instid0(SALU_CYCLE_1)
	s_or_b32 exec_lo, exec_lo, s10
	s_waitcnt vmcnt(0) lgkmcnt(0)
	v_fma_mixlo_f16 v12, v83, v85, 0
	v_fma_mixlo_f16 v0, v83, v87, 0
	;; [unrolled: 1-line block ×5, first 2 shown]
	v_lshlrev_b32_e32 v14, 16, v12
	v_fma_mixlo_f16 v86, v83, v96, 0
	v_fma_mixlo_f16 v87, v83, v98, 0
	;; [unrolled: 1-line block ×3, first 2 shown]
	v_lshlrev_b32_e32 v0, 16, v0
	v_and_b32_e32 v11, 0xffff, v11
	v_and_b32_e32 v83, 0xffff, v84
	v_lshlrev_b32_e32 v84, 16, v85
	v_and_b32_e32 v85, 0xffff, v86
	v_lshlrev_b32_e32 v86, 16, v87
	v_and_b32_e32 v87, 0xffff, v12
	v_or_b32_e32 v13, v0, v11
	v_or_b32_e32 v14, v14, v83
	;; [unrolled: 1-line block ×3, first 2 shown]
	s_delay_alu instid0(VALU_DEP_4)
	v_or_b32_e32 v11, v86, v87
	s_and_saveexec_b32 s10, vcc_lo
	s_cbranch_execz .LBB363_1063
; %bb.1062:                             ;   in Loop: Header=BB363_799 Depth=1
	v_cmp_lt_i32_e64 s0, v15, v35
	v_lshrrev_b32_e32 v83, 16, v14
	v_lshrrev_b32_e32 v84, 16, v13
	;; [unrolled: 1-line block ×4, first 2 shown]
	v_cndmask_b32_e64 v14, 0, v14, s0
	v_cmp_lt_i32_e64 s0, v64, v48
	s_delay_alu instid0(VALU_DEP_1) | instskip(SKIP_1) | instid1(VALU_DEP_2)
	v_cndmask_b32_e64 v83, 0, v83, s0
	v_cmp_lt_i32_e64 s0, v55, v48
	v_perm_b32 v14, v83, v14, 0x5040100
	s_delay_alu instid0(VALU_DEP_2) | instskip(SKIP_1) | instid1(VALU_DEP_1)
	v_cndmask_b32_e64 v84, 0, v84, s0
	v_cmp_lt_i32_e64 s0, v54, v35
	v_cndmask_b32_e64 v13, 0, v13, s0
	v_cmp_lt_i32_e64 s0, v53, v48
	s_delay_alu instid0(VALU_DEP_2) | instskip(NEXT) | instid1(VALU_DEP_2)
	v_perm_b32 v13, v84, v13, 0x5040100
	v_cndmask_b32_e64 v85, 0, v85, s0
	v_cmp_lt_i32_e64 s0, v52, v35
	s_delay_alu instid0(VALU_DEP_1) | instskip(SKIP_1) | instid1(VALU_DEP_2)
	v_cndmask_b32_e64 v0, 0, v0, s0
	v_cmp_lt_i32_e64 s0, v38, v48
	v_perm_b32 v0, v85, v0, 0x5040100
	s_delay_alu instid0(VALU_DEP_2) | instskip(SKIP_1) | instid1(VALU_DEP_1)
	v_cndmask_b32_e64 v11, 0, v11, s0
	v_cmp_lt_i32_e64 s0, v17, v35
	v_cndmask_b32_e64 v12, 0, v12, s0
	s_delay_alu instid0(VALU_DEP_1)
	v_perm_b32 v11, v11, v12, 0x5040100
.LBB363_1063:                           ;   in Loop: Header=BB363_799 Depth=1
	s_or_b32 exec_lo, exec_lo, s10
	;;#ASMSTART
	v_pk_mul_f16 v12, v70, v14;

	;;#ASMEND
	;;#ASMSTART
	v_pk_mul_f16 v13, v68, v13;

	;;#ASMEND
	;; [unrolled: 4-line block ×4, first 2 shown]
	;;#ASMSTART
	v_pk_add_f16 v12, v12, v13;

	;;#ASMEND
	;;#ASMSTART
	v_pk_add_f16 v0, v12, v0;

	;;#ASMEND
	;;#ASMSTART
	v_pk_add_f16 v0, v0, v11;

	;;#ASMEND
	v_dual_mov_b32 v86, 0 :: v_dual_and_b32 v11, 0xffff, v0
	v_lshrrev_b32_e32 v0, 16, v0
	;;#ASMSTART
	v_cvt_f32_f16 v83, v11;
	;;#ASMEND
	;;#ASMSTART
	v_cvt_f32_f16 v84, v0;
	;;#ASMEND
	flat_load_b64 v[11:12], v[9:10] offset:1024
	flat_load_b32 v85, v[26:27]
	s_mov_b32 s10, exec_lo
	s_waitcnt vmcnt(1) lgkmcnt(1)
	v_dual_mov_b32 v87, 0 :: v_dual_and_b32 v0, 0xff, v11
	s_delay_alu instid0(VALU_DEP_1)
	v_cmpx_ne_u16_e32 0, v0
	s_cbranch_execz .LBB363_1071
; %bb.1064:                             ;   in Loop: Header=BB363_799 Depth=1
	v_bfrev_b32_e32 v86, 1
	s_mov_b32 s12, exec_lo
	v_cmpx_ne_u16_e32 0x80, v0
	s_cbranch_execz .LBB363_1070
; %bb.1065:                             ;   in Loop: Header=BB363_799 Depth=1
	v_and_b32_e32 v13, 0x7f, v11
	v_mov_b32_e32 v86, 0x7fc02000
	s_mov_b32 s13, exec_lo
	s_delay_alu instid0(VALU_DEP_2)
	v_cmpx_ne_u32_e32 0x7f, v13
	s_cbranch_execz .LBB363_1069
; %bb.1066:                             ;   in Loop: Header=BB363_799 Depth=1
	v_lshrrev_b32_e32 v0, 3, v13
	v_cmp_gt_u32_e64 s0, 8, v13
	v_dual_mov_b32 v14, v12 :: v_dual_mov_b32 v13, v11
	s_delay_alu instid0(VALU_DEP_2)
	s_and_saveexec_b32 s15, s0
; %bb.1067:                             ;   in Loop: Header=BB363_799 Depth=1
	v_and_b32_e32 v0, 7, v11
	s_delay_alu instid0(VALU_DEP_1) | instskip(NEXT) | instid1(VALU_DEP_1)
	v_clz_i32_u32_e32 v0, v0
	v_min_u32_e32 v0, 32, v0
	s_delay_alu instid0(VALU_DEP_1) | instskip(SKIP_1) | instid1(VALU_DEP_2)
	v_subrev_nc_u32_e32 v13, 28, v0
	v_sub_nc_u32_e32 v0, 29, v0
	v_lshlrev_b64 v[13:14], v13, v[11:12]
; %bb.1068:                             ;   in Loop: Header=BB363_799 Depth=1
	s_or_b32 exec_lo, exec_lo, s15
	v_lshlrev_b32_e32 v14, 8, v11
	s_delay_alu instid0(VALU_DEP_3) | instskip(NEXT) | instid1(VALU_DEP_3)
	v_lshl_add_u32 v0, v0, 10, 0x2000
	v_lshlrev_b32_e32 v13, 7, v13
	s_delay_alu instid0(VALU_DEP_2) | instskip(NEXT) | instid1(VALU_DEP_1)
	v_and_or_b32 v0, 0x8000, v14, v0
	v_and_or_b32 v0, 0x380, v13, v0
	s_delay_alu instid0(VALU_DEP_1)
	v_cvt_f32_f16_e32 v86, v0
.LBB363_1069:                           ;   in Loop: Header=BB363_799 Depth=1
	s_or_b32 exec_lo, exec_lo, s13
.LBB363_1070:                           ;   in Loop: Header=BB363_799 Depth=1
	s_delay_alu instid0(SALU_CYCLE_1)
	s_or_b32 exec_lo, exec_lo, s12
.LBB363_1071:                           ;   in Loop: Header=BB363_799 Depth=1
	s_delay_alu instid0(SALU_CYCLE_1) | instskip(SKIP_2) | instid1(VALU_DEP_1)
	s_or_b32 exec_lo, exec_lo, s10
	v_lshrrev_b16 v0, 8, v11
	s_mov_b32 s10, exec_lo
	v_cmpx_ne_u16_e32 0, v0
	s_cbranch_execz .LBB363_1079
; %bb.1072:                             ;   in Loop: Header=BB363_799 Depth=1
	v_bfrev_b32_e32 v87, 1
	s_mov_b32 s12, exec_lo
	v_cmpx_ne_u16_e32 0x80, v0
	s_cbranch_execz .LBB363_1078
; %bb.1073:                             ;   in Loop: Header=BB363_799 Depth=1
	v_and_b32_e32 v96, 0xffff, v0
	v_mov_b32_e32 v87, 0x7fc02000
	s_mov_b32 s13, exec_lo
	s_delay_alu instid0(VALU_DEP_2) | instskip(NEXT) | instid1(VALU_DEP_1)
	v_and_b32_e32 v13, 0x7f, v96
	v_cmpx_ne_u32_e32 0x7f, v13
	s_cbranch_execz .LBB363_1077
; %bb.1074:                             ;   in Loop: Header=BB363_799 Depth=1
	v_and_b32_e32 v0, 7, v96
	v_lshrrev_b32_e32 v87, 3, v13
	v_cmp_gt_u32_e64 s0, 8, v13
	s_delay_alu instid0(VALU_DEP_3) | instskip(NEXT) | instid1(VALU_DEP_2)
	v_dual_mov_b32 v14, v1 :: v_dual_mov_b32 v13, v0
	s_and_saveexec_b32 s15, s0
; %bb.1075:                             ;   in Loop: Header=BB363_799 Depth=1
	v_clz_i32_u32_e32 v13, v0
	s_delay_alu instid0(VALU_DEP_1) | instskip(NEXT) | instid1(VALU_DEP_1)
	v_min_u32_e32 v87, 32, v13
	v_subrev_nc_u32_e32 v13, 28, v87
	v_sub_nc_u32_e32 v87, 29, v87
	s_delay_alu instid0(VALU_DEP_2) | instskip(NEXT) | instid1(VALU_DEP_1)
	v_lshlrev_b64 v[13:14], v13, v[0:1]
	v_and_b32_e32 v13, 7, v13
; %bb.1076:                             ;   in Loop: Header=BB363_799 Depth=1
	s_or_b32 exec_lo, exec_lo, s15
	v_lshlrev_b32_e32 v0, 8, v96
	v_lshl_add_u32 v14, v87, 10, 0x2000
	s_delay_alu instid0(VALU_DEP_1) | instskip(NEXT) | instid1(VALU_DEP_1)
	v_and_or_b32 v0, 0x8000, v0, v14
	v_lshl_or_b32 v0, v13, 7, v0
	s_delay_alu instid0(VALU_DEP_1)
	v_cvt_f32_f16_e32 v87, v0
.LBB363_1077:                           ;   in Loop: Header=BB363_799 Depth=1
	s_or_b32 exec_lo, exec_lo, s13
.LBB363_1078:                           ;   in Loop: Header=BB363_799 Depth=1
	s_delay_alu instid0(SALU_CYCLE_1)
	s_or_b32 exec_lo, exec_lo, s12
.LBB363_1079:                           ;   in Loop: Header=BB363_799 Depth=1
	s_delay_alu instid0(SALU_CYCLE_1) | instskip(SKIP_3) | instid1(VALU_DEP_2)
	s_or_b32 exec_lo, exec_lo, s10
	v_lshrrev_b32_e32 v98, 16, v11
	v_mov_b32_e32 v96, 0
	s_mov_b32 s10, exec_lo
	v_dual_mov_b32 v97, 0 :: v_dual_and_b32 v0, 0xff, v98
	s_delay_alu instid0(VALU_DEP_1)
	v_cmpx_ne_u16_e32 0, v0
	s_cbranch_execz .LBB363_1087
; %bb.1080:                             ;   in Loop: Header=BB363_799 Depth=1
	v_bfrev_b32_e32 v96, 1
	s_mov_b32 s12, exec_lo
	v_cmpx_ne_u16_e32 0x80, v0
	s_cbranch_execz .LBB363_1086
; %bb.1081:                             ;   in Loop: Header=BB363_799 Depth=1
	v_bfe_u32 v13, v11, 16, 7
	v_mov_b32_e32 v96, 0x7fc02000
	s_mov_b32 s13, exec_lo
	s_delay_alu instid0(VALU_DEP_2)
	v_cmpx_ne_u32_e32 0x7f, v13
	s_cbranch_execz .LBB363_1085
; %bb.1082:                             ;   in Loop: Header=BB363_799 Depth=1
	v_and_b32_e32 v0, 7, v98
	v_lshrrev_b32_e32 v96, 3, v13
	v_cmp_gt_u32_e64 s0, 8, v13
	s_delay_alu instid0(VALU_DEP_3) | instskip(NEXT) | instid1(VALU_DEP_2)
	v_dual_mov_b32 v14, v1 :: v_dual_mov_b32 v13, v0
	s_and_saveexec_b32 s15, s0
; %bb.1083:                             ;   in Loop: Header=BB363_799 Depth=1
	v_clz_i32_u32_e32 v13, v0
	s_delay_alu instid0(VALU_DEP_1) | instskip(NEXT) | instid1(VALU_DEP_1)
	v_min_u32_e32 v96, 32, v13
	v_subrev_nc_u32_e32 v13, 28, v96
	v_sub_nc_u32_e32 v96, 29, v96
	s_delay_alu instid0(VALU_DEP_2) | instskip(NEXT) | instid1(VALU_DEP_1)
	v_lshlrev_b64 v[13:14], v13, v[0:1]
	v_and_b32_e32 v13, 7, v13
; %bb.1084:                             ;   in Loop: Header=BB363_799 Depth=1
	s_or_b32 exec_lo, exec_lo, s15
	v_lshlrev_b32_e32 v0, 8, v98
	v_lshl_add_u32 v14, v96, 10, 0x2000
	s_delay_alu instid0(VALU_DEP_1) | instskip(NEXT) | instid1(VALU_DEP_1)
	v_and_or_b32 v0, 0x8000, v0, v14
	v_lshl_or_b32 v0, v13, 7, v0
	s_delay_alu instid0(VALU_DEP_1)
	v_cvt_f32_f16_e32 v96, v0
.LBB363_1085:                           ;   in Loop: Header=BB363_799 Depth=1
	s_or_b32 exec_lo, exec_lo, s13
.LBB363_1086:                           ;   in Loop: Header=BB363_799 Depth=1
	s_delay_alu instid0(SALU_CYCLE_1)
	s_or_b32 exec_lo, exec_lo, s12
.LBB363_1087:                           ;   in Loop: Header=BB363_799 Depth=1
	s_delay_alu instid0(SALU_CYCLE_1) | instskip(NEXT) | instid1(SALU_CYCLE_1)
	s_or_b32 exec_lo, exec_lo, s10
	s_mov_b32 s10, exec_lo
	v_cmpx_lt_u32_e32 0xffffff, v11
	s_cbranch_execz .LBB363_1095
; %bb.1088:                             ;   in Loop: Header=BB363_799 Depth=1
	v_lshrrev_b32_e32 v98, 24, v11
	v_bfrev_b32_e32 v97, 1
	s_mov_b32 s12, exec_lo
	s_delay_alu instid0(VALU_DEP_2)
	v_cmpx_ne_u32_e32 0x80, v98
	s_cbranch_execz .LBB363_1094
; %bb.1089:                             ;   in Loop: Header=BB363_799 Depth=1
	v_and_b32_e32 v13, 0x7f, v98
	v_mov_b32_e32 v97, 0x7fc02000
	s_mov_b32 s13, exec_lo
	s_delay_alu instid0(VALU_DEP_2)
	v_cmpx_ne_u32_e32 0x7f, v13
	s_cbranch_execz .LBB363_1093
; %bb.1090:                             ;   in Loop: Header=BB363_799 Depth=1
	v_and_b32_e32 v0, 7, v98
	v_lshrrev_b32_e32 v97, 3, v13
	v_cmp_gt_u32_e64 s0, 8, v13
	s_delay_alu instid0(VALU_DEP_3) | instskip(NEXT) | instid1(VALU_DEP_2)
	v_dual_mov_b32 v14, v1 :: v_dual_mov_b32 v13, v0
	s_and_saveexec_b32 s15, s0
; %bb.1091:                             ;   in Loop: Header=BB363_799 Depth=1
	v_clz_i32_u32_e32 v13, v0
	s_delay_alu instid0(VALU_DEP_1) | instskip(NEXT) | instid1(VALU_DEP_1)
	v_min_u32_e32 v97, 32, v13
	v_subrev_nc_u32_e32 v13, 28, v97
	v_sub_nc_u32_e32 v97, 29, v97
	s_delay_alu instid0(VALU_DEP_2) | instskip(NEXT) | instid1(VALU_DEP_1)
	v_lshlrev_b64 v[13:14], v13, v[0:1]
	v_and_b32_e32 v13, 7, v13
; %bb.1092:                             ;   in Loop: Header=BB363_799 Depth=1
	s_or_b32 exec_lo, exec_lo, s15
	v_lshlrev_b32_e32 v0, 8, v98
	v_lshl_add_u32 v14, v97, 10, 0x2000
	s_delay_alu instid0(VALU_DEP_1) | instskip(NEXT) | instid1(VALU_DEP_1)
	v_and_or_b32 v0, 0x8000, v0, v14
	v_lshl_or_b32 v0, v13, 7, v0
	s_delay_alu instid0(VALU_DEP_1)
	v_cvt_f32_f16_e32 v97, v0
.LBB363_1093:                           ;   in Loop: Header=BB363_799 Depth=1
	s_or_b32 exec_lo, exec_lo, s13
.LBB363_1094:                           ;   in Loop: Header=BB363_799 Depth=1
	s_delay_alu instid0(SALU_CYCLE_1)
	s_or_b32 exec_lo, exec_lo, s12
.LBB363_1095:                           ;   in Loop: Header=BB363_799 Depth=1
	s_delay_alu instid0(SALU_CYCLE_1) | instskip(SKIP_3) | instid1(VALU_DEP_2)
	s_or_b32 exec_lo, exec_lo, s10
	v_dual_mov_b32 v0, v12 :: v_dual_and_b32 v13, 0xff, v12
	v_dual_mov_b32 v99, 0 :: v_dual_mov_b32 v98, 0
	s_mov_b32 s10, exec_lo
	v_cmpx_ne_u16_e32 0, v13
	s_cbranch_execz .LBB363_1103
; %bb.1096:                             ;   in Loop: Header=BB363_799 Depth=1
	v_bfrev_b32_e32 v98, 1
	s_mov_b32 s12, exec_lo
	v_cmpx_ne_u16_e32 0x80, v13
	s_cbranch_execz .LBB363_1102
; %bb.1097:                             ;   in Loop: Header=BB363_799 Depth=1
	v_and_b32_e32 v13, 0x7f, v12
	v_mov_b32_e32 v98, 0x7fc02000
	s_mov_b32 s13, exec_lo
	s_delay_alu instid0(VALU_DEP_2)
	v_cmpx_ne_u32_e32 0x7f, v13
	s_cbranch_execz .LBB363_1101
; %bb.1098:                             ;   in Loop: Header=BB363_799 Depth=1
	v_lshrrev_b32_e32 v98, 3, v13
	v_cmp_gt_u32_e64 s0, 8, v13
	v_dual_mov_b32 v14, v1 :: v_dual_mov_b32 v13, v0
	s_delay_alu instid0(VALU_DEP_2)
	s_and_saveexec_b32 s15, s0
; %bb.1099:                             ;   in Loop: Header=BB363_799 Depth=1
	v_and_b32_e32 v13, 7, v12
	s_delay_alu instid0(VALU_DEP_1) | instskip(NEXT) | instid1(VALU_DEP_1)
	v_clz_i32_u32_e32 v13, v13
	v_min_u32_e32 v98, 32, v13
	s_delay_alu instid0(VALU_DEP_1) | instskip(SKIP_1) | instid1(VALU_DEP_2)
	v_subrev_nc_u32_e32 v13, 28, v98
	v_sub_nc_u32_e32 v98, 29, v98
	v_lshlrev_b64 v[13:14], v13, v[0:1]
; %bb.1100:                             ;   in Loop: Header=BB363_799 Depth=1
	s_or_b32 exec_lo, exec_lo, s15
	v_lshlrev_b32_e32 v14, 8, v12
	s_delay_alu instid0(VALU_DEP_3) | instskip(NEXT) | instid1(VALU_DEP_3)
	v_lshl_add_u32 v98, v98, 10, 0x2000
	v_lshlrev_b32_e32 v13, 7, v13
	s_delay_alu instid0(VALU_DEP_2) | instskip(NEXT) | instid1(VALU_DEP_1)
	v_and_or_b32 v14, 0x8000, v14, v98
	v_and_or_b32 v13, 0x380, v13, v14
	s_delay_alu instid0(VALU_DEP_1)
	v_cvt_f32_f16_e32 v98, v13
.LBB363_1101:                           ;   in Loop: Header=BB363_799 Depth=1
	s_or_b32 exec_lo, exec_lo, s13
.LBB363_1102:                           ;   in Loop: Header=BB363_799 Depth=1
	s_delay_alu instid0(SALU_CYCLE_1)
	s_or_b32 exec_lo, exec_lo, s12
.LBB363_1103:                           ;   in Loop: Header=BB363_799 Depth=1
	s_delay_alu instid0(SALU_CYCLE_1) | instskip(SKIP_2) | instid1(VALU_DEP_1)
	s_or_b32 exec_lo, exec_lo, s10
	v_lshrrev_b16 v0, 8, v0
	s_mov_b32 s10, exec_lo
	v_cmpx_ne_u16_e32 0, v0
	s_cbranch_execz .LBB363_1111
; %bb.1104:                             ;   in Loop: Header=BB363_799 Depth=1
	v_bfrev_b32_e32 v99, 1
	s_mov_b32 s12, exec_lo
	v_cmpx_ne_u16_e32 0x80, v0
	s_cbranch_execz .LBB363_1110
; %bb.1105:                             ;   in Loop: Header=BB363_799 Depth=1
	v_and_b32_e32 v100, 0xffff, v0
	v_mov_b32_e32 v99, 0x7fc02000
	s_mov_b32 s13, exec_lo
	s_delay_alu instid0(VALU_DEP_2) | instskip(NEXT) | instid1(VALU_DEP_1)
	v_and_b32_e32 v13, 0x7f, v100
	v_cmpx_ne_u32_e32 0x7f, v13
	s_cbranch_execz .LBB363_1109
; %bb.1106:                             ;   in Loop: Header=BB363_799 Depth=1
	v_and_b32_e32 v0, 7, v100
	v_lshrrev_b32_e32 v99, 3, v13
	v_cmp_gt_u32_e64 s0, 8, v13
	s_delay_alu instid0(VALU_DEP_3) | instskip(NEXT) | instid1(VALU_DEP_2)
	v_dual_mov_b32 v14, v1 :: v_dual_mov_b32 v13, v0
	s_and_saveexec_b32 s15, s0
; %bb.1107:                             ;   in Loop: Header=BB363_799 Depth=1
	v_clz_i32_u32_e32 v13, v0
	s_delay_alu instid0(VALU_DEP_1) | instskip(NEXT) | instid1(VALU_DEP_1)
	v_min_u32_e32 v99, 32, v13
	v_subrev_nc_u32_e32 v13, 28, v99
	v_sub_nc_u32_e32 v99, 29, v99
	s_delay_alu instid0(VALU_DEP_2) | instskip(NEXT) | instid1(VALU_DEP_1)
	v_lshlrev_b64 v[13:14], v13, v[0:1]
	v_and_b32_e32 v13, 7, v13
; %bb.1108:                             ;   in Loop: Header=BB363_799 Depth=1
	s_or_b32 exec_lo, exec_lo, s15
	v_lshlrev_b32_e32 v0, 8, v100
	v_lshl_add_u32 v14, v99, 10, 0x2000
	s_delay_alu instid0(VALU_DEP_1) | instskip(NEXT) | instid1(VALU_DEP_1)
	v_and_or_b32 v0, 0x8000, v0, v14
	v_lshl_or_b32 v0, v13, 7, v0
	s_delay_alu instid0(VALU_DEP_1)
	v_cvt_f32_f16_e32 v99, v0
.LBB363_1109:                           ;   in Loop: Header=BB363_799 Depth=1
	s_or_b32 exec_lo, exec_lo, s13
.LBB363_1110:                           ;   in Loop: Header=BB363_799 Depth=1
	s_delay_alu instid0(SALU_CYCLE_1)
	s_or_b32 exec_lo, exec_lo, s12
.LBB363_1111:                           ;   in Loop: Header=BB363_799 Depth=1
	s_delay_alu instid0(SALU_CYCLE_1) | instskip(SKIP_3) | instid1(VALU_DEP_2)
	s_or_b32 exec_lo, exec_lo, s10
	v_lshrrev_b32_e32 v101, 16, v12
	v_mov_b32_e32 v100, 0
	s_mov_b32 s10, exec_lo
	v_dual_mov_b32 v13, 0 :: v_dual_and_b32 v0, 0xff, v101
	s_delay_alu instid0(VALU_DEP_1)
	v_cmpx_ne_u16_e32 0, v0
	s_cbranch_execz .LBB363_1119
; %bb.1112:                             ;   in Loop: Header=BB363_799 Depth=1
	v_bfrev_b32_e32 v13, 1
	s_mov_b32 s12, exec_lo
	v_cmpx_ne_u16_e32 0x80, v0
	s_cbranch_execz .LBB363_1118
; %bb.1113:                             ;   in Loop: Header=BB363_799 Depth=1
	v_bfe_u32 v14, v12, 16, 7
	v_mov_b32_e32 v13, 0x7fc02000
	s_mov_b32 s13, exec_lo
	s_delay_alu instid0(VALU_DEP_2)
	v_cmpx_ne_u32_e32 0x7f, v14
	s_cbranch_execz .LBB363_1117
; %bb.1114:                             ;   in Loop: Header=BB363_799 Depth=1
	v_and_b32_e32 v0, 7, v101
	v_lshrrev_b32_e32 v102, 3, v14
	v_cmp_gt_u32_e64 s0, 8, v14
	s_delay_alu instid0(VALU_DEP_3) | instskip(NEXT) | instid1(VALU_DEP_2)
	v_dual_mov_b32 v14, v1 :: v_dual_mov_b32 v13, v0
	s_and_saveexec_b32 s15, s0
; %bb.1115:                             ;   in Loop: Header=BB363_799 Depth=1
	v_clz_i32_u32_e32 v13, v0
	s_delay_alu instid0(VALU_DEP_1) | instskip(NEXT) | instid1(VALU_DEP_1)
	v_min_u32_e32 v102, 32, v13
	v_subrev_nc_u32_e32 v13, 28, v102
	v_sub_nc_u32_e32 v102, 29, v102
	s_delay_alu instid0(VALU_DEP_2) | instskip(NEXT) | instid1(VALU_DEP_1)
	v_lshlrev_b64 v[13:14], v13, v[0:1]
	v_and_b32_e32 v13, 7, v13
; %bb.1116:                             ;   in Loop: Header=BB363_799 Depth=1
	s_or_b32 exec_lo, exec_lo, s15
	v_lshlrev_b32_e32 v0, 8, v101
	v_lshl_add_u32 v14, v102, 10, 0x2000
	s_delay_alu instid0(VALU_DEP_1) | instskip(NEXT) | instid1(VALU_DEP_1)
	v_and_or_b32 v0, 0x8000, v0, v14
	v_lshl_or_b32 v0, v13, 7, v0
	s_delay_alu instid0(VALU_DEP_1)
	v_cvt_f32_f16_e32 v13, v0
.LBB363_1117:                           ;   in Loop: Header=BB363_799 Depth=1
	s_or_b32 exec_lo, exec_lo, s13
.LBB363_1118:                           ;   in Loop: Header=BB363_799 Depth=1
	s_delay_alu instid0(SALU_CYCLE_1)
	s_or_b32 exec_lo, exec_lo, s12
.LBB363_1119:                           ;   in Loop: Header=BB363_799 Depth=1
	s_delay_alu instid0(SALU_CYCLE_1) | instskip(NEXT) | instid1(SALU_CYCLE_1)
	s_or_b32 exec_lo, exec_lo, s10
	s_mov_b32 s10, exec_lo
	v_cmpx_lt_u64_e64 s[8:9], v[11:12]
	s_cbranch_execz .LBB363_1127
; %bb.1120:                             ;   in Loop: Header=BB363_799 Depth=1
	v_lshrrev_b32_e32 v14, 24, v12
	v_bfrev_b32_e32 v100, 1
	s_mov_b32 s12, exec_lo
	s_delay_alu instid0(VALU_DEP_2)
	v_cmpx_ne_u32_e32 0x80, v14
	s_cbranch_execz .LBB363_1126
; %bb.1121:                             ;   in Loop: Header=BB363_799 Depth=1
	v_and_b32_e32 v11, 0x7f, v14
	v_mov_b32_e32 v100, 0x7fc02000
	s_mov_b32 s13, exec_lo
	s_delay_alu instid0(VALU_DEP_2)
	v_cmpx_ne_u32_e32 0x7f, v11
	s_cbranch_execz .LBB363_1125
; %bb.1122:                             ;   in Loop: Header=BB363_799 Depth=1
	v_and_b32_e32 v0, 7, v14
	v_lshrrev_b32_e32 v100, 3, v11
	v_cmp_gt_u32_e64 s0, 8, v11
	s_delay_alu instid0(VALU_DEP_3) | instskip(NEXT) | instid1(VALU_DEP_2)
	v_dual_mov_b32 v12, v1 :: v_dual_mov_b32 v11, v0
	s_and_saveexec_b32 s15, s0
; %bb.1123:                             ;   in Loop: Header=BB363_799 Depth=1
	v_clz_i32_u32_e32 v11, v0
	s_delay_alu instid0(VALU_DEP_1) | instskip(NEXT) | instid1(VALU_DEP_1)
	v_min_u32_e32 v100, 32, v11
	v_subrev_nc_u32_e32 v11, 28, v100
	v_sub_nc_u32_e32 v100, 29, v100
	s_delay_alu instid0(VALU_DEP_2) | instskip(NEXT) | instid1(VALU_DEP_1)
	v_lshlrev_b64 v[11:12], v11, v[0:1]
	v_and_b32_e32 v11, 7, v11
; %bb.1124:                             ;   in Loop: Header=BB363_799 Depth=1
	s_or_b32 exec_lo, exec_lo, s15
	v_lshlrev_b32_e32 v0, 8, v14
	v_lshl_add_u32 v12, v100, 10, 0x2000
	s_delay_alu instid0(VALU_DEP_1) | instskip(NEXT) | instid1(VALU_DEP_1)
	v_and_or_b32 v0, 0x8000, v0, v12
	v_lshl_or_b32 v0, v11, 7, v0
	s_delay_alu instid0(VALU_DEP_1)
	v_cvt_f32_f16_e32 v100, v0
.LBB363_1125:                           ;   in Loop: Header=BB363_799 Depth=1
	s_or_b32 exec_lo, exec_lo, s13
.LBB363_1126:                           ;   in Loop: Header=BB363_799 Depth=1
	s_delay_alu instid0(SALU_CYCLE_1)
	s_or_b32 exec_lo, exec_lo, s12
.LBB363_1127:                           ;   in Loop: Header=BB363_799 Depth=1
	s_delay_alu instid0(SALU_CYCLE_1)
	s_or_b32 exec_lo, exec_lo, s10
	s_waitcnt vmcnt(0) lgkmcnt(0)
	v_fma_mixlo_f16 v12, v85, v87, 0
	v_fma_mixlo_f16 v0, v85, v97, 0
	;; [unrolled: 1-line block ×5, first 2 shown]
	v_lshlrev_b32_e32 v14, 16, v12
	v_fma_mixlo_f16 v96, v85, v98, 0
	v_fma_mixlo_f16 v97, v85, v100, 0
	;; [unrolled: 1-line block ×3, first 2 shown]
	v_lshlrev_b32_e32 v0, 16, v0
	v_and_b32_e32 v11, 0xffff, v11
	v_and_b32_e32 v85, 0xffff, v86
	v_lshlrev_b32_e32 v86, 16, v87
	v_and_b32_e32 v87, 0xffff, v96
	v_lshlrev_b32_e32 v96, 16, v97
	v_and_b32_e32 v97, 0xffff, v12
	v_or_b32_e32 v13, v0, v11
	v_or_b32_e32 v14, v14, v85
	v_or_b32_e32 v0, v86, v87
	s_delay_alu instid0(VALU_DEP_4)
	v_or_b32_e32 v11, v96, v97
	s_and_saveexec_b32 s10, vcc_lo
	s_cbranch_execz .LBB363_1129
; %bb.1128:                             ;   in Loop: Header=BB363_799 Depth=1
	v_cmp_lt_i32_e64 s0, v15, v35
	v_lshrrev_b32_e32 v85, 16, v14
	v_lshrrev_b32_e32 v86, 16, v13
	;; [unrolled: 1-line block ×4, first 2 shown]
	v_cndmask_b32_e64 v14, 0, v14, s0
	v_cmp_lt_i32_e64 s0, v64, v48
	s_delay_alu instid0(VALU_DEP_1) | instskip(SKIP_1) | instid1(VALU_DEP_2)
	v_cndmask_b32_e64 v85, 0, v85, s0
	v_cmp_lt_i32_e64 s0, v55, v48
	v_perm_b32 v14, v85, v14, 0x5040100
	s_delay_alu instid0(VALU_DEP_2) | instskip(SKIP_1) | instid1(VALU_DEP_1)
	v_cndmask_b32_e64 v86, 0, v86, s0
	v_cmp_lt_i32_e64 s0, v54, v35
	v_cndmask_b32_e64 v13, 0, v13, s0
	v_cmp_lt_i32_e64 s0, v53, v48
	s_delay_alu instid0(VALU_DEP_2) | instskip(NEXT) | instid1(VALU_DEP_2)
	v_perm_b32 v13, v86, v13, 0x5040100
	v_cndmask_b32_e64 v87, 0, v87, s0
	v_cmp_lt_i32_e64 s0, v52, v35
	s_delay_alu instid0(VALU_DEP_1) | instskip(SKIP_1) | instid1(VALU_DEP_2)
	v_cndmask_b32_e64 v0, 0, v0, s0
	v_cmp_lt_i32_e64 s0, v38, v48
	v_perm_b32 v0, v87, v0, 0x5040100
	s_delay_alu instid0(VALU_DEP_2) | instskip(SKIP_1) | instid1(VALU_DEP_1)
	v_cndmask_b32_e64 v11, 0, v11, s0
	v_cmp_lt_i32_e64 s0, v17, v35
	v_cndmask_b32_e64 v12, 0, v12, s0
	s_delay_alu instid0(VALU_DEP_1)
	v_perm_b32 v11, v11, v12, 0x5040100
.LBB363_1129:                           ;   in Loop: Header=BB363_799 Depth=1
	s_or_b32 exec_lo, exec_lo, s10
	;;#ASMSTART
	v_pk_mul_f16 v12, v70, v14;

	;;#ASMEND
	;;#ASMSTART
	v_pk_mul_f16 v13, v68, v13;

	;;#ASMEND
	;; [unrolled: 4-line block ×4, first 2 shown]
	;;#ASMSTART
	v_pk_add_f16 v12, v12, v13;

	;;#ASMEND
	;;#ASMSTART
	v_pk_add_f16 v0, v12, v0;

	;;#ASMEND
	;; [unrolled: 4-line block ×3, first 2 shown]
	v_dual_mov_b32 v96, 0 :: v_dual_and_b32 v11, 0xffff, v0
	v_lshrrev_b32_e32 v0, 16, v0
	;;#ASMSTART
	v_cvt_f32_f16 v85, v11;
	;;#ASMEND
	;;#ASMSTART
	v_cvt_f32_f16 v86, v0;
	;;#ASMEND
	flat_load_b64 v[11:12], v[9:10] offset:1280
	flat_load_b32 v87, v[26:27]
	s_mov_b32 s10, exec_lo
	s_waitcnt vmcnt(1) lgkmcnt(1)
	v_dual_mov_b32 v97, 0 :: v_dual_and_b32 v0, 0xff, v11
	s_delay_alu instid0(VALU_DEP_1)
	v_cmpx_ne_u16_e32 0, v0
	s_cbranch_execz .LBB363_1137
; %bb.1130:                             ;   in Loop: Header=BB363_799 Depth=1
	v_bfrev_b32_e32 v96, 1
	s_mov_b32 s12, exec_lo
	v_cmpx_ne_u16_e32 0x80, v0
	s_cbranch_execz .LBB363_1136
; %bb.1131:                             ;   in Loop: Header=BB363_799 Depth=1
	v_and_b32_e32 v13, 0x7f, v11
	v_mov_b32_e32 v96, 0x7fc02000
	s_mov_b32 s13, exec_lo
	s_delay_alu instid0(VALU_DEP_2)
	v_cmpx_ne_u32_e32 0x7f, v13
	s_cbranch_execz .LBB363_1135
; %bb.1132:                             ;   in Loop: Header=BB363_799 Depth=1
	v_lshrrev_b32_e32 v0, 3, v13
	v_cmp_gt_u32_e64 s0, 8, v13
	v_dual_mov_b32 v14, v12 :: v_dual_mov_b32 v13, v11
	s_delay_alu instid0(VALU_DEP_2)
	s_and_saveexec_b32 s15, s0
; %bb.1133:                             ;   in Loop: Header=BB363_799 Depth=1
	v_and_b32_e32 v0, 7, v11
	s_delay_alu instid0(VALU_DEP_1) | instskip(NEXT) | instid1(VALU_DEP_1)
	v_clz_i32_u32_e32 v0, v0
	v_min_u32_e32 v0, 32, v0
	s_delay_alu instid0(VALU_DEP_1) | instskip(SKIP_1) | instid1(VALU_DEP_2)
	v_subrev_nc_u32_e32 v13, 28, v0
	v_sub_nc_u32_e32 v0, 29, v0
	v_lshlrev_b64 v[13:14], v13, v[11:12]
; %bb.1134:                             ;   in Loop: Header=BB363_799 Depth=1
	s_or_b32 exec_lo, exec_lo, s15
	v_lshlrev_b32_e32 v14, 8, v11
	s_delay_alu instid0(VALU_DEP_3) | instskip(NEXT) | instid1(VALU_DEP_3)
	v_lshl_add_u32 v0, v0, 10, 0x2000
	v_lshlrev_b32_e32 v13, 7, v13
	s_delay_alu instid0(VALU_DEP_2) | instskip(NEXT) | instid1(VALU_DEP_1)
	v_and_or_b32 v0, 0x8000, v14, v0
	v_and_or_b32 v0, 0x380, v13, v0
	s_delay_alu instid0(VALU_DEP_1)
	v_cvt_f32_f16_e32 v96, v0
.LBB363_1135:                           ;   in Loop: Header=BB363_799 Depth=1
	s_or_b32 exec_lo, exec_lo, s13
.LBB363_1136:                           ;   in Loop: Header=BB363_799 Depth=1
	s_delay_alu instid0(SALU_CYCLE_1)
	s_or_b32 exec_lo, exec_lo, s12
.LBB363_1137:                           ;   in Loop: Header=BB363_799 Depth=1
	s_delay_alu instid0(SALU_CYCLE_1) | instskip(SKIP_2) | instid1(VALU_DEP_1)
	s_or_b32 exec_lo, exec_lo, s10
	v_lshrrev_b16 v0, 8, v11
	s_mov_b32 s10, exec_lo
	v_cmpx_ne_u16_e32 0, v0
	s_cbranch_execz .LBB363_1145
; %bb.1138:                             ;   in Loop: Header=BB363_799 Depth=1
	v_bfrev_b32_e32 v97, 1
	s_mov_b32 s12, exec_lo
	v_cmpx_ne_u16_e32 0x80, v0
	s_cbranch_execz .LBB363_1144
; %bb.1139:                             ;   in Loop: Header=BB363_799 Depth=1
	v_and_b32_e32 v98, 0xffff, v0
	v_mov_b32_e32 v97, 0x7fc02000
	s_mov_b32 s13, exec_lo
	s_delay_alu instid0(VALU_DEP_2) | instskip(NEXT) | instid1(VALU_DEP_1)
	v_and_b32_e32 v13, 0x7f, v98
	v_cmpx_ne_u32_e32 0x7f, v13
	s_cbranch_execz .LBB363_1143
; %bb.1140:                             ;   in Loop: Header=BB363_799 Depth=1
	v_and_b32_e32 v0, 7, v98
	v_lshrrev_b32_e32 v97, 3, v13
	v_cmp_gt_u32_e64 s0, 8, v13
	s_delay_alu instid0(VALU_DEP_3) | instskip(NEXT) | instid1(VALU_DEP_2)
	v_dual_mov_b32 v14, v1 :: v_dual_mov_b32 v13, v0
	s_and_saveexec_b32 s15, s0
; %bb.1141:                             ;   in Loop: Header=BB363_799 Depth=1
	v_clz_i32_u32_e32 v13, v0
	s_delay_alu instid0(VALU_DEP_1) | instskip(NEXT) | instid1(VALU_DEP_1)
	v_min_u32_e32 v97, 32, v13
	v_subrev_nc_u32_e32 v13, 28, v97
	v_sub_nc_u32_e32 v97, 29, v97
	s_delay_alu instid0(VALU_DEP_2) | instskip(NEXT) | instid1(VALU_DEP_1)
	v_lshlrev_b64 v[13:14], v13, v[0:1]
	v_and_b32_e32 v13, 7, v13
; %bb.1142:                             ;   in Loop: Header=BB363_799 Depth=1
	s_or_b32 exec_lo, exec_lo, s15
	v_lshlrev_b32_e32 v0, 8, v98
	v_lshl_add_u32 v14, v97, 10, 0x2000
	s_delay_alu instid0(VALU_DEP_1) | instskip(NEXT) | instid1(VALU_DEP_1)
	v_and_or_b32 v0, 0x8000, v0, v14
	v_lshl_or_b32 v0, v13, 7, v0
	s_delay_alu instid0(VALU_DEP_1)
	v_cvt_f32_f16_e32 v97, v0
.LBB363_1143:                           ;   in Loop: Header=BB363_799 Depth=1
	s_or_b32 exec_lo, exec_lo, s13
.LBB363_1144:                           ;   in Loop: Header=BB363_799 Depth=1
	s_delay_alu instid0(SALU_CYCLE_1)
	s_or_b32 exec_lo, exec_lo, s12
.LBB363_1145:                           ;   in Loop: Header=BB363_799 Depth=1
	s_delay_alu instid0(SALU_CYCLE_1) | instskip(SKIP_3) | instid1(VALU_DEP_2)
	s_or_b32 exec_lo, exec_lo, s10
	v_lshrrev_b32_e32 v100, 16, v11
	v_mov_b32_e32 v98, 0
	s_mov_b32 s10, exec_lo
	v_dual_mov_b32 v99, 0 :: v_dual_and_b32 v0, 0xff, v100
	s_delay_alu instid0(VALU_DEP_1)
	v_cmpx_ne_u16_e32 0, v0
	s_cbranch_execz .LBB363_1153
; %bb.1146:                             ;   in Loop: Header=BB363_799 Depth=1
	v_bfrev_b32_e32 v98, 1
	s_mov_b32 s12, exec_lo
	v_cmpx_ne_u16_e32 0x80, v0
	s_cbranch_execz .LBB363_1152
; %bb.1147:                             ;   in Loop: Header=BB363_799 Depth=1
	v_bfe_u32 v13, v11, 16, 7
	v_mov_b32_e32 v98, 0x7fc02000
	s_mov_b32 s13, exec_lo
	s_delay_alu instid0(VALU_DEP_2)
	v_cmpx_ne_u32_e32 0x7f, v13
	s_cbranch_execz .LBB363_1151
; %bb.1148:                             ;   in Loop: Header=BB363_799 Depth=1
	v_and_b32_e32 v0, 7, v100
	v_lshrrev_b32_e32 v98, 3, v13
	v_cmp_gt_u32_e64 s0, 8, v13
	s_delay_alu instid0(VALU_DEP_3) | instskip(NEXT) | instid1(VALU_DEP_2)
	v_dual_mov_b32 v14, v1 :: v_dual_mov_b32 v13, v0
	s_and_saveexec_b32 s15, s0
; %bb.1149:                             ;   in Loop: Header=BB363_799 Depth=1
	v_clz_i32_u32_e32 v13, v0
	s_delay_alu instid0(VALU_DEP_1) | instskip(NEXT) | instid1(VALU_DEP_1)
	v_min_u32_e32 v98, 32, v13
	v_subrev_nc_u32_e32 v13, 28, v98
	v_sub_nc_u32_e32 v98, 29, v98
	s_delay_alu instid0(VALU_DEP_2) | instskip(NEXT) | instid1(VALU_DEP_1)
	v_lshlrev_b64 v[13:14], v13, v[0:1]
	v_and_b32_e32 v13, 7, v13
; %bb.1150:                             ;   in Loop: Header=BB363_799 Depth=1
	s_or_b32 exec_lo, exec_lo, s15
	v_lshlrev_b32_e32 v0, 8, v100
	v_lshl_add_u32 v14, v98, 10, 0x2000
	s_delay_alu instid0(VALU_DEP_1) | instskip(NEXT) | instid1(VALU_DEP_1)
	v_and_or_b32 v0, 0x8000, v0, v14
	v_lshl_or_b32 v0, v13, 7, v0
	s_delay_alu instid0(VALU_DEP_1)
	v_cvt_f32_f16_e32 v98, v0
.LBB363_1151:                           ;   in Loop: Header=BB363_799 Depth=1
	s_or_b32 exec_lo, exec_lo, s13
.LBB363_1152:                           ;   in Loop: Header=BB363_799 Depth=1
	s_delay_alu instid0(SALU_CYCLE_1)
	s_or_b32 exec_lo, exec_lo, s12
.LBB363_1153:                           ;   in Loop: Header=BB363_799 Depth=1
	s_delay_alu instid0(SALU_CYCLE_1) | instskip(NEXT) | instid1(SALU_CYCLE_1)
	s_or_b32 exec_lo, exec_lo, s10
	s_mov_b32 s10, exec_lo
	v_cmpx_lt_u32_e32 0xffffff, v11
	s_cbranch_execz .LBB363_1161
; %bb.1154:                             ;   in Loop: Header=BB363_799 Depth=1
	v_lshrrev_b32_e32 v100, 24, v11
	v_bfrev_b32_e32 v99, 1
	s_mov_b32 s12, exec_lo
	s_delay_alu instid0(VALU_DEP_2)
	v_cmpx_ne_u32_e32 0x80, v100
	s_cbranch_execz .LBB363_1160
; %bb.1155:                             ;   in Loop: Header=BB363_799 Depth=1
	v_and_b32_e32 v13, 0x7f, v100
	v_mov_b32_e32 v99, 0x7fc02000
	s_mov_b32 s13, exec_lo
	s_delay_alu instid0(VALU_DEP_2)
	v_cmpx_ne_u32_e32 0x7f, v13
	s_cbranch_execz .LBB363_1159
; %bb.1156:                             ;   in Loop: Header=BB363_799 Depth=1
	v_and_b32_e32 v0, 7, v100
	v_lshrrev_b32_e32 v99, 3, v13
	v_cmp_gt_u32_e64 s0, 8, v13
	s_delay_alu instid0(VALU_DEP_3) | instskip(NEXT) | instid1(VALU_DEP_2)
	v_dual_mov_b32 v14, v1 :: v_dual_mov_b32 v13, v0
	s_and_saveexec_b32 s15, s0
; %bb.1157:                             ;   in Loop: Header=BB363_799 Depth=1
	v_clz_i32_u32_e32 v13, v0
	s_delay_alu instid0(VALU_DEP_1) | instskip(NEXT) | instid1(VALU_DEP_1)
	v_min_u32_e32 v99, 32, v13
	v_subrev_nc_u32_e32 v13, 28, v99
	v_sub_nc_u32_e32 v99, 29, v99
	s_delay_alu instid0(VALU_DEP_2) | instskip(NEXT) | instid1(VALU_DEP_1)
	v_lshlrev_b64 v[13:14], v13, v[0:1]
	v_and_b32_e32 v13, 7, v13
; %bb.1158:                             ;   in Loop: Header=BB363_799 Depth=1
	s_or_b32 exec_lo, exec_lo, s15
	v_lshlrev_b32_e32 v0, 8, v100
	v_lshl_add_u32 v14, v99, 10, 0x2000
	s_delay_alu instid0(VALU_DEP_1) | instskip(NEXT) | instid1(VALU_DEP_1)
	v_and_or_b32 v0, 0x8000, v0, v14
	v_lshl_or_b32 v0, v13, 7, v0
	s_delay_alu instid0(VALU_DEP_1)
	v_cvt_f32_f16_e32 v99, v0
.LBB363_1159:                           ;   in Loop: Header=BB363_799 Depth=1
	s_or_b32 exec_lo, exec_lo, s13
.LBB363_1160:                           ;   in Loop: Header=BB363_799 Depth=1
	s_delay_alu instid0(SALU_CYCLE_1)
	s_or_b32 exec_lo, exec_lo, s12
.LBB363_1161:                           ;   in Loop: Header=BB363_799 Depth=1
	s_delay_alu instid0(SALU_CYCLE_1) | instskip(SKIP_3) | instid1(VALU_DEP_2)
	s_or_b32 exec_lo, exec_lo, s10
	v_dual_mov_b32 v0, v12 :: v_dual_and_b32 v13, 0xff, v12
	v_dual_mov_b32 v101, 0 :: v_dual_mov_b32 v100, 0
	s_mov_b32 s10, exec_lo
	v_cmpx_ne_u16_e32 0, v13
	s_cbranch_execz .LBB363_1169
; %bb.1162:                             ;   in Loop: Header=BB363_799 Depth=1
	v_bfrev_b32_e32 v100, 1
	s_mov_b32 s12, exec_lo
	v_cmpx_ne_u16_e32 0x80, v13
	s_cbranch_execz .LBB363_1168
; %bb.1163:                             ;   in Loop: Header=BB363_799 Depth=1
	v_and_b32_e32 v13, 0x7f, v12
	v_mov_b32_e32 v100, 0x7fc02000
	s_mov_b32 s13, exec_lo
	s_delay_alu instid0(VALU_DEP_2)
	v_cmpx_ne_u32_e32 0x7f, v13
	s_cbranch_execz .LBB363_1167
; %bb.1164:                             ;   in Loop: Header=BB363_799 Depth=1
	v_lshrrev_b32_e32 v100, 3, v13
	v_cmp_gt_u32_e64 s0, 8, v13
	v_dual_mov_b32 v14, v1 :: v_dual_mov_b32 v13, v0
	s_delay_alu instid0(VALU_DEP_2)
	s_and_saveexec_b32 s15, s0
; %bb.1165:                             ;   in Loop: Header=BB363_799 Depth=1
	v_and_b32_e32 v13, 7, v12
	s_delay_alu instid0(VALU_DEP_1) | instskip(NEXT) | instid1(VALU_DEP_1)
	v_clz_i32_u32_e32 v13, v13
	v_min_u32_e32 v100, 32, v13
	s_delay_alu instid0(VALU_DEP_1) | instskip(SKIP_1) | instid1(VALU_DEP_2)
	v_subrev_nc_u32_e32 v13, 28, v100
	v_sub_nc_u32_e32 v100, 29, v100
	v_lshlrev_b64 v[13:14], v13, v[0:1]
; %bb.1166:                             ;   in Loop: Header=BB363_799 Depth=1
	s_or_b32 exec_lo, exec_lo, s15
	v_lshlrev_b32_e32 v14, 8, v12
	s_delay_alu instid0(VALU_DEP_3) | instskip(NEXT) | instid1(VALU_DEP_3)
	v_lshl_add_u32 v100, v100, 10, 0x2000
	v_lshlrev_b32_e32 v13, 7, v13
	s_delay_alu instid0(VALU_DEP_2) | instskip(NEXT) | instid1(VALU_DEP_1)
	v_and_or_b32 v14, 0x8000, v14, v100
	v_and_or_b32 v13, 0x380, v13, v14
	s_delay_alu instid0(VALU_DEP_1)
	v_cvt_f32_f16_e32 v100, v13
.LBB363_1167:                           ;   in Loop: Header=BB363_799 Depth=1
	s_or_b32 exec_lo, exec_lo, s13
.LBB363_1168:                           ;   in Loop: Header=BB363_799 Depth=1
	s_delay_alu instid0(SALU_CYCLE_1)
	s_or_b32 exec_lo, exec_lo, s12
.LBB363_1169:                           ;   in Loop: Header=BB363_799 Depth=1
	s_delay_alu instid0(SALU_CYCLE_1) | instskip(SKIP_2) | instid1(VALU_DEP_1)
	s_or_b32 exec_lo, exec_lo, s10
	v_lshrrev_b16 v0, 8, v0
	s_mov_b32 s10, exec_lo
	v_cmpx_ne_u16_e32 0, v0
	s_cbranch_execz .LBB363_1177
; %bb.1170:                             ;   in Loop: Header=BB363_799 Depth=1
	v_bfrev_b32_e32 v101, 1
	s_mov_b32 s12, exec_lo
	v_cmpx_ne_u16_e32 0x80, v0
	s_cbranch_execz .LBB363_1176
; %bb.1171:                             ;   in Loop: Header=BB363_799 Depth=1
	v_and_b32_e32 v102, 0xffff, v0
	v_mov_b32_e32 v101, 0x7fc02000
	s_mov_b32 s13, exec_lo
	s_delay_alu instid0(VALU_DEP_2) | instskip(NEXT) | instid1(VALU_DEP_1)
	v_and_b32_e32 v13, 0x7f, v102
	v_cmpx_ne_u32_e32 0x7f, v13
	s_cbranch_execz .LBB363_1175
; %bb.1172:                             ;   in Loop: Header=BB363_799 Depth=1
	v_and_b32_e32 v0, 7, v102
	v_lshrrev_b32_e32 v101, 3, v13
	v_cmp_gt_u32_e64 s0, 8, v13
	s_delay_alu instid0(VALU_DEP_3) | instskip(NEXT) | instid1(VALU_DEP_2)
	v_dual_mov_b32 v14, v1 :: v_dual_mov_b32 v13, v0
	s_and_saveexec_b32 s15, s0
; %bb.1173:                             ;   in Loop: Header=BB363_799 Depth=1
	v_clz_i32_u32_e32 v13, v0
	s_delay_alu instid0(VALU_DEP_1) | instskip(NEXT) | instid1(VALU_DEP_1)
	v_min_u32_e32 v101, 32, v13
	v_subrev_nc_u32_e32 v13, 28, v101
	v_sub_nc_u32_e32 v101, 29, v101
	s_delay_alu instid0(VALU_DEP_2) | instskip(NEXT) | instid1(VALU_DEP_1)
	v_lshlrev_b64 v[13:14], v13, v[0:1]
	v_and_b32_e32 v13, 7, v13
; %bb.1174:                             ;   in Loop: Header=BB363_799 Depth=1
	s_or_b32 exec_lo, exec_lo, s15
	v_lshlrev_b32_e32 v0, 8, v102
	v_lshl_add_u32 v14, v101, 10, 0x2000
	s_delay_alu instid0(VALU_DEP_1) | instskip(NEXT) | instid1(VALU_DEP_1)
	v_and_or_b32 v0, 0x8000, v0, v14
	v_lshl_or_b32 v0, v13, 7, v0
	s_delay_alu instid0(VALU_DEP_1)
	v_cvt_f32_f16_e32 v101, v0
.LBB363_1175:                           ;   in Loop: Header=BB363_799 Depth=1
	s_or_b32 exec_lo, exec_lo, s13
.LBB363_1176:                           ;   in Loop: Header=BB363_799 Depth=1
	s_delay_alu instid0(SALU_CYCLE_1)
	s_or_b32 exec_lo, exec_lo, s12
.LBB363_1177:                           ;   in Loop: Header=BB363_799 Depth=1
	s_delay_alu instid0(SALU_CYCLE_1) | instskip(SKIP_3) | instid1(VALU_DEP_2)
	s_or_b32 exec_lo, exec_lo, s10
	v_lshrrev_b32_e32 v103, 16, v12
	v_mov_b32_e32 v102, 0
	s_mov_b32 s10, exec_lo
	v_dual_mov_b32 v13, 0 :: v_dual_and_b32 v0, 0xff, v103
	s_delay_alu instid0(VALU_DEP_1)
	v_cmpx_ne_u16_e32 0, v0
	s_cbranch_execz .LBB363_1185
; %bb.1178:                             ;   in Loop: Header=BB363_799 Depth=1
	v_bfrev_b32_e32 v13, 1
	s_mov_b32 s12, exec_lo
	v_cmpx_ne_u16_e32 0x80, v0
	s_cbranch_execz .LBB363_1184
; %bb.1179:                             ;   in Loop: Header=BB363_799 Depth=1
	v_bfe_u32 v14, v12, 16, 7
	v_mov_b32_e32 v13, 0x7fc02000
	s_mov_b32 s13, exec_lo
	s_delay_alu instid0(VALU_DEP_2)
	v_cmpx_ne_u32_e32 0x7f, v14
	s_cbranch_execz .LBB363_1183
; %bb.1180:                             ;   in Loop: Header=BB363_799 Depth=1
	v_and_b32_e32 v0, 7, v103
	v_lshrrev_b32_e32 v112, 3, v14
	v_cmp_gt_u32_e64 s0, 8, v14
	s_delay_alu instid0(VALU_DEP_3) | instskip(NEXT) | instid1(VALU_DEP_2)
	v_dual_mov_b32 v14, v1 :: v_dual_mov_b32 v13, v0
	s_and_saveexec_b32 s15, s0
; %bb.1181:                             ;   in Loop: Header=BB363_799 Depth=1
	v_clz_i32_u32_e32 v13, v0
	s_delay_alu instid0(VALU_DEP_1) | instskip(NEXT) | instid1(VALU_DEP_1)
	v_min_u32_e32 v112, 32, v13
	v_subrev_nc_u32_e32 v13, 28, v112
	v_sub_nc_u32_e32 v112, 29, v112
	s_delay_alu instid0(VALU_DEP_2) | instskip(NEXT) | instid1(VALU_DEP_1)
	v_lshlrev_b64 v[13:14], v13, v[0:1]
	v_and_b32_e32 v13, 7, v13
; %bb.1182:                             ;   in Loop: Header=BB363_799 Depth=1
	s_or_b32 exec_lo, exec_lo, s15
	v_lshlrev_b32_e32 v0, 8, v103
	v_lshl_add_u32 v14, v112, 10, 0x2000
	s_delay_alu instid0(VALU_DEP_1) | instskip(NEXT) | instid1(VALU_DEP_1)
	v_and_or_b32 v0, 0x8000, v0, v14
	v_lshl_or_b32 v0, v13, 7, v0
	s_delay_alu instid0(VALU_DEP_1)
	v_cvt_f32_f16_e32 v13, v0
.LBB363_1183:                           ;   in Loop: Header=BB363_799 Depth=1
	s_or_b32 exec_lo, exec_lo, s13
.LBB363_1184:                           ;   in Loop: Header=BB363_799 Depth=1
	s_delay_alu instid0(SALU_CYCLE_1)
	s_or_b32 exec_lo, exec_lo, s12
.LBB363_1185:                           ;   in Loop: Header=BB363_799 Depth=1
	s_delay_alu instid0(SALU_CYCLE_1) | instskip(NEXT) | instid1(SALU_CYCLE_1)
	s_or_b32 exec_lo, exec_lo, s10
	s_mov_b32 s10, exec_lo
	v_cmpx_lt_u64_e64 s[8:9], v[11:12]
	s_cbranch_execz .LBB363_1193
; %bb.1186:                             ;   in Loop: Header=BB363_799 Depth=1
	v_lshrrev_b32_e32 v14, 24, v12
	v_bfrev_b32_e32 v102, 1
	s_mov_b32 s12, exec_lo
	s_delay_alu instid0(VALU_DEP_2)
	v_cmpx_ne_u32_e32 0x80, v14
	s_cbranch_execz .LBB363_1192
; %bb.1187:                             ;   in Loop: Header=BB363_799 Depth=1
	v_and_b32_e32 v11, 0x7f, v14
	v_mov_b32_e32 v102, 0x7fc02000
	s_mov_b32 s13, exec_lo
	s_delay_alu instid0(VALU_DEP_2)
	v_cmpx_ne_u32_e32 0x7f, v11
	s_cbranch_execz .LBB363_1191
; %bb.1188:                             ;   in Loop: Header=BB363_799 Depth=1
	v_and_b32_e32 v0, 7, v14
	v_lshrrev_b32_e32 v102, 3, v11
	v_cmp_gt_u32_e64 s0, 8, v11
	s_delay_alu instid0(VALU_DEP_3) | instskip(NEXT) | instid1(VALU_DEP_2)
	v_dual_mov_b32 v12, v1 :: v_dual_mov_b32 v11, v0
	s_and_saveexec_b32 s15, s0
; %bb.1189:                             ;   in Loop: Header=BB363_799 Depth=1
	v_clz_i32_u32_e32 v11, v0
	s_delay_alu instid0(VALU_DEP_1) | instskip(NEXT) | instid1(VALU_DEP_1)
	v_min_u32_e32 v102, 32, v11
	v_subrev_nc_u32_e32 v11, 28, v102
	v_sub_nc_u32_e32 v102, 29, v102
	s_delay_alu instid0(VALU_DEP_2) | instskip(NEXT) | instid1(VALU_DEP_1)
	v_lshlrev_b64 v[11:12], v11, v[0:1]
	v_and_b32_e32 v11, 7, v11
; %bb.1190:                             ;   in Loop: Header=BB363_799 Depth=1
	s_or_b32 exec_lo, exec_lo, s15
	v_lshlrev_b32_e32 v0, 8, v14
	v_lshl_add_u32 v12, v102, 10, 0x2000
	s_delay_alu instid0(VALU_DEP_1) | instskip(NEXT) | instid1(VALU_DEP_1)
	v_and_or_b32 v0, 0x8000, v0, v12
	v_lshl_or_b32 v0, v11, 7, v0
	s_delay_alu instid0(VALU_DEP_1)
	v_cvt_f32_f16_e32 v102, v0
.LBB363_1191:                           ;   in Loop: Header=BB363_799 Depth=1
	s_or_b32 exec_lo, exec_lo, s13
.LBB363_1192:                           ;   in Loop: Header=BB363_799 Depth=1
	s_delay_alu instid0(SALU_CYCLE_1)
	s_or_b32 exec_lo, exec_lo, s12
.LBB363_1193:                           ;   in Loop: Header=BB363_799 Depth=1
	s_delay_alu instid0(SALU_CYCLE_1)
	s_or_b32 exec_lo, exec_lo, s10
	s_waitcnt vmcnt(0) lgkmcnt(0)
	v_fma_mixlo_f16 v12, v87, v97, 0
	v_fma_mixlo_f16 v0, v87, v99, 0
	;; [unrolled: 1-line block ×5, first 2 shown]
	v_lshlrev_b32_e32 v14, 16, v12
	v_fma_mixlo_f16 v98, v87, v100, 0
	v_fma_mixlo_f16 v99, v87, v102, 0
	;; [unrolled: 1-line block ×3, first 2 shown]
	v_lshlrev_b32_e32 v0, 16, v0
	v_and_b32_e32 v11, 0xffff, v11
	v_and_b32_e32 v87, 0xffff, v96
	v_lshlrev_b32_e32 v96, 16, v97
	v_and_b32_e32 v97, 0xffff, v98
	v_lshlrev_b32_e32 v98, 16, v99
	v_and_b32_e32 v99, 0xffff, v12
	v_or_b32_e32 v13, v0, v11
	v_or_b32_e32 v14, v14, v87
	;; [unrolled: 1-line block ×3, first 2 shown]
	s_delay_alu instid0(VALU_DEP_4)
	v_or_b32_e32 v11, v98, v99
	s_and_saveexec_b32 s10, vcc_lo
	s_cbranch_execz .LBB363_1195
; %bb.1194:                             ;   in Loop: Header=BB363_799 Depth=1
	v_cmp_lt_i32_e64 s0, v15, v35
	v_lshrrev_b32_e32 v87, 16, v14
	v_lshrrev_b32_e32 v96, 16, v13
	;; [unrolled: 1-line block ×4, first 2 shown]
	v_cndmask_b32_e64 v14, 0, v14, s0
	v_cmp_lt_i32_e64 s0, v64, v48
	s_delay_alu instid0(VALU_DEP_1) | instskip(SKIP_1) | instid1(VALU_DEP_2)
	v_cndmask_b32_e64 v87, 0, v87, s0
	v_cmp_lt_i32_e64 s0, v55, v48
	v_perm_b32 v14, v87, v14, 0x5040100
	s_delay_alu instid0(VALU_DEP_2) | instskip(SKIP_1) | instid1(VALU_DEP_1)
	v_cndmask_b32_e64 v96, 0, v96, s0
	v_cmp_lt_i32_e64 s0, v54, v35
	v_cndmask_b32_e64 v13, 0, v13, s0
	v_cmp_lt_i32_e64 s0, v53, v48
	s_delay_alu instid0(VALU_DEP_2) | instskip(NEXT) | instid1(VALU_DEP_2)
	v_perm_b32 v13, v96, v13, 0x5040100
	v_cndmask_b32_e64 v97, 0, v97, s0
	v_cmp_lt_i32_e64 s0, v52, v35
	s_delay_alu instid0(VALU_DEP_1) | instskip(SKIP_1) | instid1(VALU_DEP_2)
	v_cndmask_b32_e64 v0, 0, v0, s0
	v_cmp_lt_i32_e64 s0, v38, v48
	v_perm_b32 v0, v97, v0, 0x5040100
	s_delay_alu instid0(VALU_DEP_2) | instskip(SKIP_1) | instid1(VALU_DEP_1)
	v_cndmask_b32_e64 v11, 0, v11, s0
	v_cmp_lt_i32_e64 s0, v17, v35
	v_cndmask_b32_e64 v12, 0, v12, s0
	s_delay_alu instid0(VALU_DEP_1)
	v_perm_b32 v11, v11, v12, 0x5040100
.LBB363_1195:                           ;   in Loop: Header=BB363_799 Depth=1
	s_or_b32 exec_lo, exec_lo, s10
	;;#ASMSTART
	v_pk_mul_f16 v12, v70, v14;

	;;#ASMEND
	;;#ASMSTART
	v_pk_mul_f16 v13, v68, v13;

	;;#ASMEND
	;; [unrolled: 4-line block ×4, first 2 shown]
	;;#ASMSTART
	v_pk_add_f16 v12, v12, v13;

	;;#ASMEND
	;;#ASMSTART
	v_pk_add_f16 v0, v12, v0;

	;;#ASMEND
	;; [unrolled: 4-line block ×3, first 2 shown]
	v_dual_mov_b32 v98, 0 :: v_dual_and_b32 v11, 0xffff, v0
	v_lshrrev_b32_e32 v0, 16, v0
	;;#ASMSTART
	v_cvt_f32_f16 v87, v11;
	;;#ASMEND
	;;#ASMSTART
	v_cvt_f32_f16 v96, v0;
	;;#ASMEND
	flat_load_b64 v[11:12], v[9:10] offset:1536
	flat_load_b32 v97, v[26:27]
	s_mov_b32 s10, exec_lo
	s_waitcnt vmcnt(1) lgkmcnt(1)
	v_dual_mov_b32 v99, 0 :: v_dual_and_b32 v0, 0xff, v11
	s_delay_alu instid0(VALU_DEP_1)
	v_cmpx_ne_u16_e32 0, v0
	s_cbranch_execz .LBB363_1203
; %bb.1196:                             ;   in Loop: Header=BB363_799 Depth=1
	v_bfrev_b32_e32 v98, 1
	s_mov_b32 s12, exec_lo
	v_cmpx_ne_u16_e32 0x80, v0
	s_cbranch_execz .LBB363_1202
; %bb.1197:                             ;   in Loop: Header=BB363_799 Depth=1
	v_and_b32_e32 v13, 0x7f, v11
	v_mov_b32_e32 v98, 0x7fc02000
	s_mov_b32 s13, exec_lo
	s_delay_alu instid0(VALU_DEP_2)
	v_cmpx_ne_u32_e32 0x7f, v13
	s_cbranch_execz .LBB363_1201
; %bb.1198:                             ;   in Loop: Header=BB363_799 Depth=1
	v_lshrrev_b32_e32 v0, 3, v13
	v_cmp_gt_u32_e64 s0, 8, v13
	v_dual_mov_b32 v14, v12 :: v_dual_mov_b32 v13, v11
	s_delay_alu instid0(VALU_DEP_2)
	s_and_saveexec_b32 s15, s0
; %bb.1199:                             ;   in Loop: Header=BB363_799 Depth=1
	v_and_b32_e32 v0, 7, v11
	s_delay_alu instid0(VALU_DEP_1) | instskip(NEXT) | instid1(VALU_DEP_1)
	v_clz_i32_u32_e32 v0, v0
	v_min_u32_e32 v0, 32, v0
	s_delay_alu instid0(VALU_DEP_1) | instskip(SKIP_1) | instid1(VALU_DEP_2)
	v_subrev_nc_u32_e32 v13, 28, v0
	v_sub_nc_u32_e32 v0, 29, v0
	v_lshlrev_b64 v[13:14], v13, v[11:12]
; %bb.1200:                             ;   in Loop: Header=BB363_799 Depth=1
	s_or_b32 exec_lo, exec_lo, s15
	v_lshlrev_b32_e32 v14, 8, v11
	s_delay_alu instid0(VALU_DEP_3) | instskip(NEXT) | instid1(VALU_DEP_3)
	v_lshl_add_u32 v0, v0, 10, 0x2000
	v_lshlrev_b32_e32 v13, 7, v13
	s_delay_alu instid0(VALU_DEP_2) | instskip(NEXT) | instid1(VALU_DEP_1)
	v_and_or_b32 v0, 0x8000, v14, v0
	v_and_or_b32 v0, 0x380, v13, v0
	s_delay_alu instid0(VALU_DEP_1)
	v_cvt_f32_f16_e32 v98, v0
.LBB363_1201:                           ;   in Loop: Header=BB363_799 Depth=1
	s_or_b32 exec_lo, exec_lo, s13
.LBB363_1202:                           ;   in Loop: Header=BB363_799 Depth=1
	s_delay_alu instid0(SALU_CYCLE_1)
	s_or_b32 exec_lo, exec_lo, s12
.LBB363_1203:                           ;   in Loop: Header=BB363_799 Depth=1
	s_delay_alu instid0(SALU_CYCLE_1) | instskip(SKIP_2) | instid1(VALU_DEP_1)
	s_or_b32 exec_lo, exec_lo, s10
	v_lshrrev_b16 v0, 8, v11
	s_mov_b32 s10, exec_lo
	v_cmpx_ne_u16_e32 0, v0
	s_cbranch_execz .LBB363_1211
; %bb.1204:                             ;   in Loop: Header=BB363_799 Depth=1
	v_bfrev_b32_e32 v99, 1
	s_mov_b32 s12, exec_lo
	v_cmpx_ne_u16_e32 0x80, v0
	s_cbranch_execz .LBB363_1210
; %bb.1205:                             ;   in Loop: Header=BB363_799 Depth=1
	v_and_b32_e32 v100, 0xffff, v0
	v_mov_b32_e32 v99, 0x7fc02000
	s_mov_b32 s13, exec_lo
	s_delay_alu instid0(VALU_DEP_2) | instskip(NEXT) | instid1(VALU_DEP_1)
	v_and_b32_e32 v13, 0x7f, v100
	v_cmpx_ne_u32_e32 0x7f, v13
	s_cbranch_execz .LBB363_1209
; %bb.1206:                             ;   in Loop: Header=BB363_799 Depth=1
	v_and_b32_e32 v0, 7, v100
	v_lshrrev_b32_e32 v99, 3, v13
	v_cmp_gt_u32_e64 s0, 8, v13
	s_delay_alu instid0(VALU_DEP_3) | instskip(NEXT) | instid1(VALU_DEP_2)
	v_dual_mov_b32 v14, v1 :: v_dual_mov_b32 v13, v0
	s_and_saveexec_b32 s15, s0
; %bb.1207:                             ;   in Loop: Header=BB363_799 Depth=1
	v_clz_i32_u32_e32 v13, v0
	s_delay_alu instid0(VALU_DEP_1) | instskip(NEXT) | instid1(VALU_DEP_1)
	v_min_u32_e32 v99, 32, v13
	v_subrev_nc_u32_e32 v13, 28, v99
	v_sub_nc_u32_e32 v99, 29, v99
	s_delay_alu instid0(VALU_DEP_2) | instskip(NEXT) | instid1(VALU_DEP_1)
	v_lshlrev_b64 v[13:14], v13, v[0:1]
	v_and_b32_e32 v13, 7, v13
; %bb.1208:                             ;   in Loop: Header=BB363_799 Depth=1
	s_or_b32 exec_lo, exec_lo, s15
	v_lshlrev_b32_e32 v0, 8, v100
	v_lshl_add_u32 v14, v99, 10, 0x2000
	s_delay_alu instid0(VALU_DEP_1) | instskip(NEXT) | instid1(VALU_DEP_1)
	v_and_or_b32 v0, 0x8000, v0, v14
	v_lshl_or_b32 v0, v13, 7, v0
	s_delay_alu instid0(VALU_DEP_1)
	v_cvt_f32_f16_e32 v99, v0
.LBB363_1209:                           ;   in Loop: Header=BB363_799 Depth=1
	s_or_b32 exec_lo, exec_lo, s13
.LBB363_1210:                           ;   in Loop: Header=BB363_799 Depth=1
	s_delay_alu instid0(SALU_CYCLE_1)
	s_or_b32 exec_lo, exec_lo, s12
.LBB363_1211:                           ;   in Loop: Header=BB363_799 Depth=1
	s_delay_alu instid0(SALU_CYCLE_1) | instskip(SKIP_3) | instid1(VALU_DEP_2)
	s_or_b32 exec_lo, exec_lo, s10
	v_lshrrev_b32_e32 v102, 16, v11
	v_mov_b32_e32 v100, 0
	s_mov_b32 s10, exec_lo
	v_dual_mov_b32 v101, 0 :: v_dual_and_b32 v0, 0xff, v102
	s_delay_alu instid0(VALU_DEP_1)
	v_cmpx_ne_u16_e32 0, v0
	s_cbranch_execz .LBB363_1219
; %bb.1212:                             ;   in Loop: Header=BB363_799 Depth=1
	v_bfrev_b32_e32 v100, 1
	s_mov_b32 s12, exec_lo
	v_cmpx_ne_u16_e32 0x80, v0
	s_cbranch_execz .LBB363_1218
; %bb.1213:                             ;   in Loop: Header=BB363_799 Depth=1
	v_bfe_u32 v13, v11, 16, 7
	v_mov_b32_e32 v100, 0x7fc02000
	s_mov_b32 s13, exec_lo
	s_delay_alu instid0(VALU_DEP_2)
	v_cmpx_ne_u32_e32 0x7f, v13
	s_cbranch_execz .LBB363_1217
; %bb.1214:                             ;   in Loop: Header=BB363_799 Depth=1
	v_and_b32_e32 v0, 7, v102
	v_lshrrev_b32_e32 v100, 3, v13
	v_cmp_gt_u32_e64 s0, 8, v13
	s_delay_alu instid0(VALU_DEP_3) | instskip(NEXT) | instid1(VALU_DEP_2)
	v_dual_mov_b32 v14, v1 :: v_dual_mov_b32 v13, v0
	s_and_saveexec_b32 s15, s0
; %bb.1215:                             ;   in Loop: Header=BB363_799 Depth=1
	v_clz_i32_u32_e32 v13, v0
	s_delay_alu instid0(VALU_DEP_1) | instskip(NEXT) | instid1(VALU_DEP_1)
	v_min_u32_e32 v100, 32, v13
	v_subrev_nc_u32_e32 v13, 28, v100
	v_sub_nc_u32_e32 v100, 29, v100
	s_delay_alu instid0(VALU_DEP_2) | instskip(NEXT) | instid1(VALU_DEP_1)
	v_lshlrev_b64 v[13:14], v13, v[0:1]
	v_and_b32_e32 v13, 7, v13
; %bb.1216:                             ;   in Loop: Header=BB363_799 Depth=1
	s_or_b32 exec_lo, exec_lo, s15
	v_lshlrev_b32_e32 v0, 8, v102
	v_lshl_add_u32 v14, v100, 10, 0x2000
	s_delay_alu instid0(VALU_DEP_1) | instskip(NEXT) | instid1(VALU_DEP_1)
	v_and_or_b32 v0, 0x8000, v0, v14
	v_lshl_or_b32 v0, v13, 7, v0
	s_delay_alu instid0(VALU_DEP_1)
	v_cvt_f32_f16_e32 v100, v0
.LBB363_1217:                           ;   in Loop: Header=BB363_799 Depth=1
	s_or_b32 exec_lo, exec_lo, s13
.LBB363_1218:                           ;   in Loop: Header=BB363_799 Depth=1
	s_delay_alu instid0(SALU_CYCLE_1)
	s_or_b32 exec_lo, exec_lo, s12
.LBB363_1219:                           ;   in Loop: Header=BB363_799 Depth=1
	s_delay_alu instid0(SALU_CYCLE_1) | instskip(NEXT) | instid1(SALU_CYCLE_1)
	s_or_b32 exec_lo, exec_lo, s10
	s_mov_b32 s10, exec_lo
	v_cmpx_lt_u32_e32 0xffffff, v11
	s_cbranch_execz .LBB363_1227
; %bb.1220:                             ;   in Loop: Header=BB363_799 Depth=1
	v_lshrrev_b32_e32 v102, 24, v11
	v_bfrev_b32_e32 v101, 1
	s_mov_b32 s12, exec_lo
	s_delay_alu instid0(VALU_DEP_2)
	v_cmpx_ne_u32_e32 0x80, v102
	s_cbranch_execz .LBB363_1226
; %bb.1221:                             ;   in Loop: Header=BB363_799 Depth=1
	v_and_b32_e32 v13, 0x7f, v102
	v_mov_b32_e32 v101, 0x7fc02000
	s_mov_b32 s13, exec_lo
	s_delay_alu instid0(VALU_DEP_2)
	v_cmpx_ne_u32_e32 0x7f, v13
	s_cbranch_execz .LBB363_1225
; %bb.1222:                             ;   in Loop: Header=BB363_799 Depth=1
	v_and_b32_e32 v0, 7, v102
	v_lshrrev_b32_e32 v101, 3, v13
	v_cmp_gt_u32_e64 s0, 8, v13
	s_delay_alu instid0(VALU_DEP_3) | instskip(NEXT) | instid1(VALU_DEP_2)
	v_dual_mov_b32 v14, v1 :: v_dual_mov_b32 v13, v0
	s_and_saveexec_b32 s15, s0
; %bb.1223:                             ;   in Loop: Header=BB363_799 Depth=1
	v_clz_i32_u32_e32 v13, v0
	s_delay_alu instid0(VALU_DEP_1) | instskip(NEXT) | instid1(VALU_DEP_1)
	v_min_u32_e32 v101, 32, v13
	v_subrev_nc_u32_e32 v13, 28, v101
	v_sub_nc_u32_e32 v101, 29, v101
	s_delay_alu instid0(VALU_DEP_2) | instskip(NEXT) | instid1(VALU_DEP_1)
	v_lshlrev_b64 v[13:14], v13, v[0:1]
	v_and_b32_e32 v13, 7, v13
; %bb.1224:                             ;   in Loop: Header=BB363_799 Depth=1
	s_or_b32 exec_lo, exec_lo, s15
	v_lshlrev_b32_e32 v0, 8, v102
	v_lshl_add_u32 v14, v101, 10, 0x2000
	s_delay_alu instid0(VALU_DEP_1) | instskip(NEXT) | instid1(VALU_DEP_1)
	v_and_or_b32 v0, 0x8000, v0, v14
	v_lshl_or_b32 v0, v13, 7, v0
	s_delay_alu instid0(VALU_DEP_1)
	v_cvt_f32_f16_e32 v101, v0
.LBB363_1225:                           ;   in Loop: Header=BB363_799 Depth=1
	s_or_b32 exec_lo, exec_lo, s13
.LBB363_1226:                           ;   in Loop: Header=BB363_799 Depth=1
	s_delay_alu instid0(SALU_CYCLE_1)
	s_or_b32 exec_lo, exec_lo, s12
.LBB363_1227:                           ;   in Loop: Header=BB363_799 Depth=1
	s_delay_alu instid0(SALU_CYCLE_1) | instskip(SKIP_3) | instid1(VALU_DEP_2)
	s_or_b32 exec_lo, exec_lo, s10
	v_dual_mov_b32 v0, v12 :: v_dual_and_b32 v13, 0xff, v12
	v_dual_mov_b32 v103, 0 :: v_dual_mov_b32 v102, 0
	s_mov_b32 s10, exec_lo
	v_cmpx_ne_u16_e32 0, v13
	s_cbranch_execz .LBB363_1235
; %bb.1228:                             ;   in Loop: Header=BB363_799 Depth=1
	v_bfrev_b32_e32 v102, 1
	s_mov_b32 s12, exec_lo
	v_cmpx_ne_u16_e32 0x80, v13
	s_cbranch_execz .LBB363_1234
; %bb.1229:                             ;   in Loop: Header=BB363_799 Depth=1
	v_and_b32_e32 v13, 0x7f, v12
	v_mov_b32_e32 v102, 0x7fc02000
	s_mov_b32 s13, exec_lo
	s_delay_alu instid0(VALU_DEP_2)
	v_cmpx_ne_u32_e32 0x7f, v13
	s_cbranch_execz .LBB363_1233
; %bb.1230:                             ;   in Loop: Header=BB363_799 Depth=1
	v_lshrrev_b32_e32 v102, 3, v13
	v_cmp_gt_u32_e64 s0, 8, v13
	v_dual_mov_b32 v14, v1 :: v_dual_mov_b32 v13, v0
	s_delay_alu instid0(VALU_DEP_2)
	s_and_saveexec_b32 s15, s0
; %bb.1231:                             ;   in Loop: Header=BB363_799 Depth=1
	v_and_b32_e32 v13, 7, v12
	s_delay_alu instid0(VALU_DEP_1) | instskip(NEXT) | instid1(VALU_DEP_1)
	v_clz_i32_u32_e32 v13, v13
	v_min_u32_e32 v102, 32, v13
	s_delay_alu instid0(VALU_DEP_1) | instskip(SKIP_1) | instid1(VALU_DEP_2)
	v_subrev_nc_u32_e32 v13, 28, v102
	v_sub_nc_u32_e32 v102, 29, v102
	v_lshlrev_b64 v[13:14], v13, v[0:1]
; %bb.1232:                             ;   in Loop: Header=BB363_799 Depth=1
	s_or_b32 exec_lo, exec_lo, s15
	v_lshlrev_b32_e32 v14, 8, v12
	s_delay_alu instid0(VALU_DEP_3) | instskip(NEXT) | instid1(VALU_DEP_3)
	v_lshl_add_u32 v102, v102, 10, 0x2000
	v_lshlrev_b32_e32 v13, 7, v13
	s_delay_alu instid0(VALU_DEP_2) | instskip(NEXT) | instid1(VALU_DEP_1)
	v_and_or_b32 v14, 0x8000, v14, v102
	v_and_or_b32 v13, 0x380, v13, v14
	s_delay_alu instid0(VALU_DEP_1)
	v_cvt_f32_f16_e32 v102, v13
.LBB363_1233:                           ;   in Loop: Header=BB363_799 Depth=1
	s_or_b32 exec_lo, exec_lo, s13
.LBB363_1234:                           ;   in Loop: Header=BB363_799 Depth=1
	s_delay_alu instid0(SALU_CYCLE_1)
	s_or_b32 exec_lo, exec_lo, s12
.LBB363_1235:                           ;   in Loop: Header=BB363_799 Depth=1
	s_delay_alu instid0(SALU_CYCLE_1) | instskip(SKIP_2) | instid1(VALU_DEP_1)
	s_or_b32 exec_lo, exec_lo, s10
	v_lshrrev_b16 v0, 8, v0
	s_mov_b32 s10, exec_lo
	v_cmpx_ne_u16_e32 0, v0
	s_cbranch_execz .LBB363_1243
; %bb.1236:                             ;   in Loop: Header=BB363_799 Depth=1
	v_bfrev_b32_e32 v103, 1
	s_mov_b32 s12, exec_lo
	v_cmpx_ne_u16_e32 0x80, v0
	s_cbranch_execz .LBB363_1242
; %bb.1237:                             ;   in Loop: Header=BB363_799 Depth=1
	v_and_b32_e32 v112, 0xffff, v0
	v_mov_b32_e32 v103, 0x7fc02000
	s_mov_b32 s13, exec_lo
	s_delay_alu instid0(VALU_DEP_2) | instskip(NEXT) | instid1(VALU_DEP_1)
	v_and_b32_e32 v13, 0x7f, v112
	v_cmpx_ne_u32_e32 0x7f, v13
	s_cbranch_execz .LBB363_1241
; %bb.1238:                             ;   in Loop: Header=BB363_799 Depth=1
	v_and_b32_e32 v0, 7, v112
	v_lshrrev_b32_e32 v103, 3, v13
	v_cmp_gt_u32_e64 s0, 8, v13
	s_delay_alu instid0(VALU_DEP_3) | instskip(NEXT) | instid1(VALU_DEP_2)
	v_dual_mov_b32 v14, v1 :: v_dual_mov_b32 v13, v0
	s_and_saveexec_b32 s15, s0
; %bb.1239:                             ;   in Loop: Header=BB363_799 Depth=1
	v_clz_i32_u32_e32 v13, v0
	s_delay_alu instid0(VALU_DEP_1) | instskip(NEXT) | instid1(VALU_DEP_1)
	v_min_u32_e32 v103, 32, v13
	v_subrev_nc_u32_e32 v13, 28, v103
	v_sub_nc_u32_e32 v103, 29, v103
	s_delay_alu instid0(VALU_DEP_2) | instskip(NEXT) | instid1(VALU_DEP_1)
	v_lshlrev_b64 v[13:14], v13, v[0:1]
	v_and_b32_e32 v13, 7, v13
; %bb.1240:                             ;   in Loop: Header=BB363_799 Depth=1
	s_or_b32 exec_lo, exec_lo, s15
	v_lshlrev_b32_e32 v0, 8, v112
	v_lshl_add_u32 v14, v103, 10, 0x2000
	s_delay_alu instid0(VALU_DEP_1) | instskip(NEXT) | instid1(VALU_DEP_1)
	v_and_or_b32 v0, 0x8000, v0, v14
	v_lshl_or_b32 v0, v13, 7, v0
	s_delay_alu instid0(VALU_DEP_1)
	v_cvt_f32_f16_e32 v103, v0
.LBB363_1241:                           ;   in Loop: Header=BB363_799 Depth=1
	s_or_b32 exec_lo, exec_lo, s13
.LBB363_1242:                           ;   in Loop: Header=BB363_799 Depth=1
	s_delay_alu instid0(SALU_CYCLE_1)
	s_or_b32 exec_lo, exec_lo, s12
.LBB363_1243:                           ;   in Loop: Header=BB363_799 Depth=1
	s_delay_alu instid0(SALU_CYCLE_1) | instskip(SKIP_3) | instid1(VALU_DEP_2)
	s_or_b32 exec_lo, exec_lo, s10
	v_lshrrev_b32_e32 v113, 16, v12
	v_mov_b32_e32 v112, 0
	s_mov_b32 s10, exec_lo
	v_dual_mov_b32 v13, 0 :: v_dual_and_b32 v0, 0xff, v113
	s_delay_alu instid0(VALU_DEP_1)
	v_cmpx_ne_u16_e32 0, v0
	s_cbranch_execz .LBB363_1251
; %bb.1244:                             ;   in Loop: Header=BB363_799 Depth=1
	v_bfrev_b32_e32 v13, 1
	s_mov_b32 s12, exec_lo
	v_cmpx_ne_u16_e32 0x80, v0
	s_cbranch_execz .LBB363_1250
; %bb.1245:                             ;   in Loop: Header=BB363_799 Depth=1
	v_bfe_u32 v14, v12, 16, 7
	v_mov_b32_e32 v13, 0x7fc02000
	s_mov_b32 s13, exec_lo
	s_delay_alu instid0(VALU_DEP_2)
	v_cmpx_ne_u32_e32 0x7f, v14
	s_cbranch_execz .LBB363_1249
; %bb.1246:                             ;   in Loop: Header=BB363_799 Depth=1
	v_and_b32_e32 v0, 7, v113
	v_lshrrev_b32_e32 v114, 3, v14
	v_cmp_gt_u32_e64 s0, 8, v14
	s_delay_alu instid0(VALU_DEP_3) | instskip(NEXT) | instid1(VALU_DEP_2)
	v_dual_mov_b32 v14, v1 :: v_dual_mov_b32 v13, v0
	s_and_saveexec_b32 s15, s0
; %bb.1247:                             ;   in Loop: Header=BB363_799 Depth=1
	v_clz_i32_u32_e32 v13, v0
	s_delay_alu instid0(VALU_DEP_1) | instskip(NEXT) | instid1(VALU_DEP_1)
	v_min_u32_e32 v114, 32, v13
	v_subrev_nc_u32_e32 v13, 28, v114
	v_sub_nc_u32_e32 v114, 29, v114
	s_delay_alu instid0(VALU_DEP_2) | instskip(NEXT) | instid1(VALU_DEP_1)
	v_lshlrev_b64 v[13:14], v13, v[0:1]
	v_and_b32_e32 v13, 7, v13
; %bb.1248:                             ;   in Loop: Header=BB363_799 Depth=1
	s_or_b32 exec_lo, exec_lo, s15
	v_lshlrev_b32_e32 v0, 8, v113
	v_lshl_add_u32 v14, v114, 10, 0x2000
	s_delay_alu instid0(VALU_DEP_1) | instskip(NEXT) | instid1(VALU_DEP_1)
	v_and_or_b32 v0, 0x8000, v0, v14
	v_lshl_or_b32 v0, v13, 7, v0
	s_delay_alu instid0(VALU_DEP_1)
	v_cvt_f32_f16_e32 v13, v0
.LBB363_1249:                           ;   in Loop: Header=BB363_799 Depth=1
	s_or_b32 exec_lo, exec_lo, s13
.LBB363_1250:                           ;   in Loop: Header=BB363_799 Depth=1
	s_delay_alu instid0(SALU_CYCLE_1)
	s_or_b32 exec_lo, exec_lo, s12
.LBB363_1251:                           ;   in Loop: Header=BB363_799 Depth=1
	s_delay_alu instid0(SALU_CYCLE_1) | instskip(NEXT) | instid1(SALU_CYCLE_1)
	s_or_b32 exec_lo, exec_lo, s10
	s_mov_b32 s10, exec_lo
	v_cmpx_lt_u64_e64 s[8:9], v[11:12]
	s_cbranch_execz .LBB363_1259
; %bb.1252:                             ;   in Loop: Header=BB363_799 Depth=1
	v_lshrrev_b32_e32 v14, 24, v12
	v_bfrev_b32_e32 v112, 1
	s_mov_b32 s12, exec_lo
	s_delay_alu instid0(VALU_DEP_2)
	v_cmpx_ne_u32_e32 0x80, v14
	s_cbranch_execz .LBB363_1258
; %bb.1253:                             ;   in Loop: Header=BB363_799 Depth=1
	v_and_b32_e32 v11, 0x7f, v14
	v_mov_b32_e32 v112, 0x7fc02000
	s_mov_b32 s13, exec_lo
	s_delay_alu instid0(VALU_DEP_2)
	v_cmpx_ne_u32_e32 0x7f, v11
	s_cbranch_execz .LBB363_1257
; %bb.1254:                             ;   in Loop: Header=BB363_799 Depth=1
	v_and_b32_e32 v0, 7, v14
	v_lshrrev_b32_e32 v112, 3, v11
	v_cmp_gt_u32_e64 s0, 8, v11
	s_delay_alu instid0(VALU_DEP_3) | instskip(NEXT) | instid1(VALU_DEP_2)
	v_dual_mov_b32 v12, v1 :: v_dual_mov_b32 v11, v0
	s_and_saveexec_b32 s15, s0
; %bb.1255:                             ;   in Loop: Header=BB363_799 Depth=1
	v_clz_i32_u32_e32 v11, v0
	s_delay_alu instid0(VALU_DEP_1) | instskip(NEXT) | instid1(VALU_DEP_1)
	v_min_u32_e32 v112, 32, v11
	v_subrev_nc_u32_e32 v11, 28, v112
	v_sub_nc_u32_e32 v112, 29, v112
	s_delay_alu instid0(VALU_DEP_2) | instskip(NEXT) | instid1(VALU_DEP_1)
	v_lshlrev_b64 v[11:12], v11, v[0:1]
	v_and_b32_e32 v11, 7, v11
; %bb.1256:                             ;   in Loop: Header=BB363_799 Depth=1
	s_or_b32 exec_lo, exec_lo, s15
	v_lshlrev_b32_e32 v0, 8, v14
	v_lshl_add_u32 v12, v112, 10, 0x2000
	s_delay_alu instid0(VALU_DEP_1) | instskip(NEXT) | instid1(VALU_DEP_1)
	v_and_or_b32 v0, 0x8000, v0, v12
	v_lshl_or_b32 v0, v11, 7, v0
	s_delay_alu instid0(VALU_DEP_1)
	v_cvt_f32_f16_e32 v112, v0
.LBB363_1257:                           ;   in Loop: Header=BB363_799 Depth=1
	s_or_b32 exec_lo, exec_lo, s13
.LBB363_1258:                           ;   in Loop: Header=BB363_799 Depth=1
	s_delay_alu instid0(SALU_CYCLE_1)
	s_or_b32 exec_lo, exec_lo, s12
.LBB363_1259:                           ;   in Loop: Header=BB363_799 Depth=1
	s_delay_alu instid0(SALU_CYCLE_1)
	s_or_b32 exec_lo, exec_lo, s10
	s_waitcnt vmcnt(0) lgkmcnt(0)
	v_fma_mixlo_f16 v12, v97, v99, 0
	v_fma_mixlo_f16 v0, v97, v101, 0
	;; [unrolled: 1-line block ×5, first 2 shown]
	v_lshlrev_b32_e32 v14, 16, v12
	v_fma_mixlo_f16 v100, v97, v102, 0
	v_fma_mixlo_f16 v101, v97, v112, 0
	;; [unrolled: 1-line block ×3, first 2 shown]
	v_lshlrev_b32_e32 v0, 16, v0
	v_and_b32_e32 v11, 0xffff, v11
	v_and_b32_e32 v97, 0xffff, v98
	v_lshlrev_b32_e32 v98, 16, v99
	v_and_b32_e32 v99, 0xffff, v100
	v_lshlrev_b32_e32 v100, 16, v101
	v_and_b32_e32 v101, 0xffff, v12
	v_or_b32_e32 v13, v0, v11
	v_or_b32_e32 v14, v14, v97
	;; [unrolled: 1-line block ×3, first 2 shown]
	s_delay_alu instid0(VALU_DEP_4)
	v_or_b32_e32 v11, v100, v101
	s_and_saveexec_b32 s10, vcc_lo
	s_cbranch_execz .LBB363_1261
; %bb.1260:                             ;   in Loop: Header=BB363_799 Depth=1
	v_cmp_lt_i32_e64 s0, v15, v35
	v_lshrrev_b32_e32 v97, 16, v14
	v_lshrrev_b32_e32 v98, 16, v13
	;; [unrolled: 1-line block ×4, first 2 shown]
	v_cndmask_b32_e64 v14, 0, v14, s0
	v_cmp_lt_i32_e64 s0, v64, v48
	s_delay_alu instid0(VALU_DEP_1) | instskip(SKIP_1) | instid1(VALU_DEP_2)
	v_cndmask_b32_e64 v97, 0, v97, s0
	v_cmp_lt_i32_e64 s0, v55, v48
	v_perm_b32 v14, v97, v14, 0x5040100
	s_delay_alu instid0(VALU_DEP_2) | instskip(SKIP_1) | instid1(VALU_DEP_1)
	v_cndmask_b32_e64 v98, 0, v98, s0
	v_cmp_lt_i32_e64 s0, v54, v35
	v_cndmask_b32_e64 v13, 0, v13, s0
	v_cmp_lt_i32_e64 s0, v53, v48
	s_delay_alu instid0(VALU_DEP_2) | instskip(NEXT) | instid1(VALU_DEP_2)
	v_perm_b32 v13, v98, v13, 0x5040100
	v_cndmask_b32_e64 v99, 0, v99, s0
	v_cmp_lt_i32_e64 s0, v52, v35
	s_delay_alu instid0(VALU_DEP_1) | instskip(SKIP_1) | instid1(VALU_DEP_2)
	v_cndmask_b32_e64 v0, 0, v0, s0
	v_cmp_lt_i32_e64 s0, v38, v48
	v_perm_b32 v0, v99, v0, 0x5040100
	s_delay_alu instid0(VALU_DEP_2) | instskip(SKIP_1) | instid1(VALU_DEP_1)
	v_cndmask_b32_e64 v11, 0, v11, s0
	v_cmp_lt_i32_e64 s0, v17, v35
	v_cndmask_b32_e64 v12, 0, v12, s0
	s_delay_alu instid0(VALU_DEP_1)
	v_perm_b32 v11, v11, v12, 0x5040100
.LBB363_1261:                           ;   in Loop: Header=BB363_799 Depth=1
	s_or_b32 exec_lo, exec_lo, s10
	;;#ASMSTART
	v_pk_mul_f16 v12, v70, v14;

	;;#ASMEND
	;;#ASMSTART
	v_pk_mul_f16 v13, v68, v13;

	;;#ASMEND
	;; [unrolled: 4-line block ×4, first 2 shown]
	;;#ASMSTART
	v_pk_add_f16 v12, v12, v13;

	;;#ASMEND
	;;#ASMSTART
	v_pk_add_f16 v0, v12, v0;

	;;#ASMEND
	;; [unrolled: 4-line block ×3, first 2 shown]
	v_dual_mov_b32 v100, 0 :: v_dual_and_b32 v11, 0xffff, v0
	v_lshrrev_b32_e32 v0, 16, v0
	;;#ASMSTART
	v_cvt_f32_f16 v97, v11;
	;;#ASMEND
	;;#ASMSTART
	v_cvt_f32_f16 v98, v0;
	;;#ASMEND
	flat_load_b64 v[11:12], v[9:10] offset:1792
	flat_load_b32 v99, v[26:27]
	s_mov_b32 s10, exec_lo
	s_waitcnt vmcnt(1) lgkmcnt(1)
	v_dual_mov_b32 v101, 0 :: v_dual_and_b32 v0, 0xff, v11
	s_delay_alu instid0(VALU_DEP_1)
	v_cmpx_ne_u16_e32 0, v0
	s_cbranch_execz .LBB363_1269
; %bb.1262:                             ;   in Loop: Header=BB363_799 Depth=1
	v_bfrev_b32_e32 v100, 1
	s_mov_b32 s12, exec_lo
	v_cmpx_ne_u16_e32 0x80, v0
	s_cbranch_execz .LBB363_1268
; %bb.1263:                             ;   in Loop: Header=BB363_799 Depth=1
	v_and_b32_e32 v13, 0x7f, v11
	v_mov_b32_e32 v100, 0x7fc02000
	s_mov_b32 s13, exec_lo
	s_delay_alu instid0(VALU_DEP_2)
	v_cmpx_ne_u32_e32 0x7f, v13
	s_cbranch_execz .LBB363_1267
; %bb.1264:                             ;   in Loop: Header=BB363_799 Depth=1
	v_lshrrev_b32_e32 v0, 3, v13
	v_cmp_gt_u32_e64 s0, 8, v13
	v_dual_mov_b32 v14, v12 :: v_dual_mov_b32 v13, v11
	s_delay_alu instid0(VALU_DEP_2)
	s_and_saveexec_b32 s15, s0
; %bb.1265:                             ;   in Loop: Header=BB363_799 Depth=1
	v_and_b32_e32 v0, 7, v11
	s_delay_alu instid0(VALU_DEP_1) | instskip(NEXT) | instid1(VALU_DEP_1)
	v_clz_i32_u32_e32 v0, v0
	v_min_u32_e32 v0, 32, v0
	s_delay_alu instid0(VALU_DEP_1) | instskip(SKIP_1) | instid1(VALU_DEP_2)
	v_subrev_nc_u32_e32 v13, 28, v0
	v_sub_nc_u32_e32 v0, 29, v0
	v_lshlrev_b64 v[13:14], v13, v[11:12]
; %bb.1266:                             ;   in Loop: Header=BB363_799 Depth=1
	s_or_b32 exec_lo, exec_lo, s15
	v_lshlrev_b32_e32 v14, 8, v11
	s_delay_alu instid0(VALU_DEP_3) | instskip(NEXT) | instid1(VALU_DEP_3)
	v_lshl_add_u32 v0, v0, 10, 0x2000
	v_lshlrev_b32_e32 v13, 7, v13
	s_delay_alu instid0(VALU_DEP_2) | instskip(NEXT) | instid1(VALU_DEP_1)
	v_and_or_b32 v0, 0x8000, v14, v0
	v_and_or_b32 v0, 0x380, v13, v0
	s_delay_alu instid0(VALU_DEP_1)
	v_cvt_f32_f16_e32 v100, v0
.LBB363_1267:                           ;   in Loop: Header=BB363_799 Depth=1
	s_or_b32 exec_lo, exec_lo, s13
.LBB363_1268:                           ;   in Loop: Header=BB363_799 Depth=1
	s_delay_alu instid0(SALU_CYCLE_1)
	s_or_b32 exec_lo, exec_lo, s12
.LBB363_1269:                           ;   in Loop: Header=BB363_799 Depth=1
	s_delay_alu instid0(SALU_CYCLE_1) | instskip(SKIP_2) | instid1(VALU_DEP_1)
	s_or_b32 exec_lo, exec_lo, s10
	v_lshrrev_b16 v0, 8, v11
	s_mov_b32 s10, exec_lo
	v_cmpx_ne_u16_e32 0, v0
	s_cbranch_execz .LBB363_1277
; %bb.1270:                             ;   in Loop: Header=BB363_799 Depth=1
	v_bfrev_b32_e32 v101, 1
	s_mov_b32 s12, exec_lo
	v_cmpx_ne_u16_e32 0x80, v0
	s_cbranch_execz .LBB363_1276
; %bb.1271:                             ;   in Loop: Header=BB363_799 Depth=1
	v_and_b32_e32 v102, 0xffff, v0
	v_mov_b32_e32 v101, 0x7fc02000
	s_mov_b32 s13, exec_lo
	s_delay_alu instid0(VALU_DEP_2) | instskip(NEXT) | instid1(VALU_DEP_1)
	v_and_b32_e32 v13, 0x7f, v102
	v_cmpx_ne_u32_e32 0x7f, v13
	s_cbranch_execz .LBB363_1275
; %bb.1272:                             ;   in Loop: Header=BB363_799 Depth=1
	v_and_b32_e32 v0, 7, v102
	v_lshrrev_b32_e32 v101, 3, v13
	v_cmp_gt_u32_e64 s0, 8, v13
	s_delay_alu instid0(VALU_DEP_3) | instskip(NEXT) | instid1(VALU_DEP_2)
	v_dual_mov_b32 v14, v1 :: v_dual_mov_b32 v13, v0
	s_and_saveexec_b32 s15, s0
; %bb.1273:                             ;   in Loop: Header=BB363_799 Depth=1
	v_clz_i32_u32_e32 v13, v0
	s_delay_alu instid0(VALU_DEP_1) | instskip(NEXT) | instid1(VALU_DEP_1)
	v_min_u32_e32 v101, 32, v13
	v_subrev_nc_u32_e32 v13, 28, v101
	v_sub_nc_u32_e32 v101, 29, v101
	s_delay_alu instid0(VALU_DEP_2) | instskip(NEXT) | instid1(VALU_DEP_1)
	v_lshlrev_b64 v[13:14], v13, v[0:1]
	v_and_b32_e32 v13, 7, v13
; %bb.1274:                             ;   in Loop: Header=BB363_799 Depth=1
	s_or_b32 exec_lo, exec_lo, s15
	v_lshlrev_b32_e32 v0, 8, v102
	v_lshl_add_u32 v14, v101, 10, 0x2000
	s_delay_alu instid0(VALU_DEP_1) | instskip(NEXT) | instid1(VALU_DEP_1)
	v_and_or_b32 v0, 0x8000, v0, v14
	v_lshl_or_b32 v0, v13, 7, v0
	s_delay_alu instid0(VALU_DEP_1)
	v_cvt_f32_f16_e32 v101, v0
.LBB363_1275:                           ;   in Loop: Header=BB363_799 Depth=1
	s_or_b32 exec_lo, exec_lo, s13
.LBB363_1276:                           ;   in Loop: Header=BB363_799 Depth=1
	s_delay_alu instid0(SALU_CYCLE_1)
	s_or_b32 exec_lo, exec_lo, s12
.LBB363_1277:                           ;   in Loop: Header=BB363_799 Depth=1
	s_delay_alu instid0(SALU_CYCLE_1) | instskip(SKIP_3) | instid1(VALU_DEP_2)
	s_or_b32 exec_lo, exec_lo, s10
	v_lshrrev_b32_e32 v112, 16, v11
	v_mov_b32_e32 v102, 0
	s_mov_b32 s10, exec_lo
	v_dual_mov_b32 v103, 0 :: v_dual_and_b32 v0, 0xff, v112
	s_delay_alu instid0(VALU_DEP_1)
	v_cmpx_ne_u16_e32 0, v0
	s_cbranch_execz .LBB363_1285
; %bb.1278:                             ;   in Loop: Header=BB363_799 Depth=1
	v_bfrev_b32_e32 v102, 1
	s_mov_b32 s12, exec_lo
	v_cmpx_ne_u16_e32 0x80, v0
	s_cbranch_execz .LBB363_1284
; %bb.1279:                             ;   in Loop: Header=BB363_799 Depth=1
	v_bfe_u32 v13, v11, 16, 7
	v_mov_b32_e32 v102, 0x7fc02000
	s_mov_b32 s13, exec_lo
	s_delay_alu instid0(VALU_DEP_2)
	v_cmpx_ne_u32_e32 0x7f, v13
	s_cbranch_execz .LBB363_1283
; %bb.1280:                             ;   in Loop: Header=BB363_799 Depth=1
	v_and_b32_e32 v0, 7, v112
	v_lshrrev_b32_e32 v102, 3, v13
	v_cmp_gt_u32_e64 s0, 8, v13
	s_delay_alu instid0(VALU_DEP_3) | instskip(NEXT) | instid1(VALU_DEP_2)
	v_dual_mov_b32 v14, v1 :: v_dual_mov_b32 v13, v0
	s_and_saveexec_b32 s15, s0
; %bb.1281:                             ;   in Loop: Header=BB363_799 Depth=1
	v_clz_i32_u32_e32 v13, v0
	s_delay_alu instid0(VALU_DEP_1) | instskip(NEXT) | instid1(VALU_DEP_1)
	v_min_u32_e32 v102, 32, v13
	v_subrev_nc_u32_e32 v13, 28, v102
	v_sub_nc_u32_e32 v102, 29, v102
	s_delay_alu instid0(VALU_DEP_2) | instskip(NEXT) | instid1(VALU_DEP_1)
	v_lshlrev_b64 v[13:14], v13, v[0:1]
	v_and_b32_e32 v13, 7, v13
; %bb.1282:                             ;   in Loop: Header=BB363_799 Depth=1
	s_or_b32 exec_lo, exec_lo, s15
	v_lshlrev_b32_e32 v0, 8, v112
	v_lshl_add_u32 v14, v102, 10, 0x2000
	s_delay_alu instid0(VALU_DEP_1) | instskip(NEXT) | instid1(VALU_DEP_1)
	v_and_or_b32 v0, 0x8000, v0, v14
	v_lshl_or_b32 v0, v13, 7, v0
	s_delay_alu instid0(VALU_DEP_1)
	v_cvt_f32_f16_e32 v102, v0
.LBB363_1283:                           ;   in Loop: Header=BB363_799 Depth=1
	s_or_b32 exec_lo, exec_lo, s13
.LBB363_1284:                           ;   in Loop: Header=BB363_799 Depth=1
	s_delay_alu instid0(SALU_CYCLE_1)
	s_or_b32 exec_lo, exec_lo, s12
.LBB363_1285:                           ;   in Loop: Header=BB363_799 Depth=1
	s_delay_alu instid0(SALU_CYCLE_1) | instskip(NEXT) | instid1(SALU_CYCLE_1)
	s_or_b32 exec_lo, exec_lo, s10
	s_mov_b32 s10, exec_lo
	v_cmpx_lt_u32_e32 0xffffff, v11
	s_cbranch_execz .LBB363_1293
; %bb.1286:                             ;   in Loop: Header=BB363_799 Depth=1
	v_lshrrev_b32_e32 v112, 24, v11
	v_bfrev_b32_e32 v103, 1
	s_mov_b32 s12, exec_lo
	s_delay_alu instid0(VALU_DEP_2)
	v_cmpx_ne_u32_e32 0x80, v112
	s_cbranch_execz .LBB363_1292
; %bb.1287:                             ;   in Loop: Header=BB363_799 Depth=1
	v_and_b32_e32 v13, 0x7f, v112
	v_mov_b32_e32 v103, 0x7fc02000
	s_mov_b32 s13, exec_lo
	s_delay_alu instid0(VALU_DEP_2)
	v_cmpx_ne_u32_e32 0x7f, v13
	s_cbranch_execz .LBB363_1291
; %bb.1288:                             ;   in Loop: Header=BB363_799 Depth=1
	v_and_b32_e32 v0, 7, v112
	v_lshrrev_b32_e32 v103, 3, v13
	v_cmp_gt_u32_e64 s0, 8, v13
	s_delay_alu instid0(VALU_DEP_3) | instskip(NEXT) | instid1(VALU_DEP_2)
	v_dual_mov_b32 v14, v1 :: v_dual_mov_b32 v13, v0
	s_and_saveexec_b32 s15, s0
; %bb.1289:                             ;   in Loop: Header=BB363_799 Depth=1
	v_clz_i32_u32_e32 v13, v0
	s_delay_alu instid0(VALU_DEP_1) | instskip(NEXT) | instid1(VALU_DEP_1)
	v_min_u32_e32 v103, 32, v13
	v_subrev_nc_u32_e32 v13, 28, v103
	v_sub_nc_u32_e32 v103, 29, v103
	s_delay_alu instid0(VALU_DEP_2) | instskip(NEXT) | instid1(VALU_DEP_1)
	v_lshlrev_b64 v[13:14], v13, v[0:1]
	v_and_b32_e32 v13, 7, v13
; %bb.1290:                             ;   in Loop: Header=BB363_799 Depth=1
	s_or_b32 exec_lo, exec_lo, s15
	v_lshlrev_b32_e32 v0, 8, v112
	v_lshl_add_u32 v14, v103, 10, 0x2000
	s_delay_alu instid0(VALU_DEP_1) | instskip(NEXT) | instid1(VALU_DEP_1)
	v_and_or_b32 v0, 0x8000, v0, v14
	v_lshl_or_b32 v0, v13, 7, v0
	s_delay_alu instid0(VALU_DEP_1)
	v_cvt_f32_f16_e32 v103, v0
.LBB363_1291:                           ;   in Loop: Header=BB363_799 Depth=1
	s_or_b32 exec_lo, exec_lo, s13
.LBB363_1292:                           ;   in Loop: Header=BB363_799 Depth=1
	s_delay_alu instid0(SALU_CYCLE_1)
	s_or_b32 exec_lo, exec_lo, s12
.LBB363_1293:                           ;   in Loop: Header=BB363_799 Depth=1
	s_delay_alu instid0(SALU_CYCLE_1) | instskip(SKIP_3) | instid1(VALU_DEP_2)
	s_or_b32 exec_lo, exec_lo, s10
	v_dual_mov_b32 v0, v12 :: v_dual_and_b32 v13, 0xff, v12
	v_dual_mov_b32 v113, 0 :: v_dual_mov_b32 v112, 0
	s_mov_b32 s10, exec_lo
	v_cmpx_ne_u16_e32 0, v13
	s_cbranch_execz .LBB363_1301
; %bb.1294:                             ;   in Loop: Header=BB363_799 Depth=1
	v_bfrev_b32_e32 v112, 1
	s_mov_b32 s12, exec_lo
	v_cmpx_ne_u16_e32 0x80, v13
	s_cbranch_execz .LBB363_1300
; %bb.1295:                             ;   in Loop: Header=BB363_799 Depth=1
	v_and_b32_e32 v13, 0x7f, v12
	v_mov_b32_e32 v112, 0x7fc02000
	s_mov_b32 s13, exec_lo
	s_delay_alu instid0(VALU_DEP_2)
	v_cmpx_ne_u32_e32 0x7f, v13
	s_cbranch_execz .LBB363_1299
; %bb.1296:                             ;   in Loop: Header=BB363_799 Depth=1
	v_lshrrev_b32_e32 v112, 3, v13
	v_cmp_gt_u32_e64 s0, 8, v13
	v_dual_mov_b32 v14, v1 :: v_dual_mov_b32 v13, v0
	s_delay_alu instid0(VALU_DEP_2)
	s_and_saveexec_b32 s15, s0
; %bb.1297:                             ;   in Loop: Header=BB363_799 Depth=1
	v_and_b32_e32 v13, 7, v12
	s_delay_alu instid0(VALU_DEP_1) | instskip(NEXT) | instid1(VALU_DEP_1)
	v_clz_i32_u32_e32 v13, v13
	v_min_u32_e32 v112, 32, v13
	s_delay_alu instid0(VALU_DEP_1) | instskip(SKIP_1) | instid1(VALU_DEP_2)
	v_subrev_nc_u32_e32 v13, 28, v112
	v_sub_nc_u32_e32 v112, 29, v112
	v_lshlrev_b64 v[13:14], v13, v[0:1]
; %bb.1298:                             ;   in Loop: Header=BB363_799 Depth=1
	s_or_b32 exec_lo, exec_lo, s15
	v_lshlrev_b32_e32 v14, 8, v12
	s_delay_alu instid0(VALU_DEP_3) | instskip(NEXT) | instid1(VALU_DEP_3)
	v_lshl_add_u32 v112, v112, 10, 0x2000
	v_lshlrev_b32_e32 v13, 7, v13
	s_delay_alu instid0(VALU_DEP_2) | instskip(NEXT) | instid1(VALU_DEP_1)
	v_and_or_b32 v14, 0x8000, v14, v112
	v_and_or_b32 v13, 0x380, v13, v14
	s_delay_alu instid0(VALU_DEP_1)
	v_cvt_f32_f16_e32 v112, v13
.LBB363_1299:                           ;   in Loop: Header=BB363_799 Depth=1
	s_or_b32 exec_lo, exec_lo, s13
.LBB363_1300:                           ;   in Loop: Header=BB363_799 Depth=1
	s_delay_alu instid0(SALU_CYCLE_1)
	s_or_b32 exec_lo, exec_lo, s12
.LBB363_1301:                           ;   in Loop: Header=BB363_799 Depth=1
	s_delay_alu instid0(SALU_CYCLE_1) | instskip(SKIP_2) | instid1(VALU_DEP_1)
	s_or_b32 exec_lo, exec_lo, s10
	v_lshrrev_b16 v0, 8, v0
	s_mov_b32 s10, exec_lo
	v_cmpx_ne_u16_e32 0, v0
	s_cbranch_execz .LBB363_1309
; %bb.1302:                             ;   in Loop: Header=BB363_799 Depth=1
	v_bfrev_b32_e32 v113, 1
	s_mov_b32 s12, exec_lo
	v_cmpx_ne_u16_e32 0x80, v0
	s_cbranch_execz .LBB363_1308
; %bb.1303:                             ;   in Loop: Header=BB363_799 Depth=1
	v_and_b32_e32 v114, 0xffff, v0
	v_mov_b32_e32 v113, 0x7fc02000
	s_mov_b32 s13, exec_lo
	s_delay_alu instid0(VALU_DEP_2) | instskip(NEXT) | instid1(VALU_DEP_1)
	v_and_b32_e32 v13, 0x7f, v114
	v_cmpx_ne_u32_e32 0x7f, v13
	s_cbranch_execz .LBB363_1307
; %bb.1304:                             ;   in Loop: Header=BB363_799 Depth=1
	v_and_b32_e32 v0, 7, v114
	v_lshrrev_b32_e32 v113, 3, v13
	v_cmp_gt_u32_e64 s0, 8, v13
	s_delay_alu instid0(VALU_DEP_3) | instskip(NEXT) | instid1(VALU_DEP_2)
	v_dual_mov_b32 v14, v1 :: v_dual_mov_b32 v13, v0
	s_and_saveexec_b32 s15, s0
; %bb.1305:                             ;   in Loop: Header=BB363_799 Depth=1
	v_clz_i32_u32_e32 v13, v0
	s_delay_alu instid0(VALU_DEP_1) | instskip(NEXT) | instid1(VALU_DEP_1)
	v_min_u32_e32 v113, 32, v13
	v_subrev_nc_u32_e32 v13, 28, v113
	v_sub_nc_u32_e32 v113, 29, v113
	s_delay_alu instid0(VALU_DEP_2) | instskip(NEXT) | instid1(VALU_DEP_1)
	v_lshlrev_b64 v[13:14], v13, v[0:1]
	v_and_b32_e32 v13, 7, v13
; %bb.1306:                             ;   in Loop: Header=BB363_799 Depth=1
	s_or_b32 exec_lo, exec_lo, s15
	v_lshlrev_b32_e32 v0, 8, v114
	v_lshl_add_u32 v14, v113, 10, 0x2000
	s_delay_alu instid0(VALU_DEP_1) | instskip(NEXT) | instid1(VALU_DEP_1)
	v_and_or_b32 v0, 0x8000, v0, v14
	v_lshl_or_b32 v0, v13, 7, v0
	s_delay_alu instid0(VALU_DEP_1)
	v_cvt_f32_f16_e32 v113, v0
.LBB363_1307:                           ;   in Loop: Header=BB363_799 Depth=1
	s_or_b32 exec_lo, exec_lo, s13
.LBB363_1308:                           ;   in Loop: Header=BB363_799 Depth=1
	s_delay_alu instid0(SALU_CYCLE_1)
	s_or_b32 exec_lo, exec_lo, s12
.LBB363_1309:                           ;   in Loop: Header=BB363_799 Depth=1
	s_delay_alu instid0(SALU_CYCLE_1) | instskip(SKIP_3) | instid1(VALU_DEP_2)
	s_or_b32 exec_lo, exec_lo, s10
	v_lshrrev_b32_e32 v115, 16, v12
	v_mov_b32_e32 v114, 0
	s_mov_b32 s10, exec_lo
	v_dual_mov_b32 v13, 0 :: v_dual_and_b32 v0, 0xff, v115
	s_delay_alu instid0(VALU_DEP_1)
	v_cmpx_ne_u16_e32 0, v0
	s_cbranch_execz .LBB363_1317
; %bb.1310:                             ;   in Loop: Header=BB363_799 Depth=1
	v_bfrev_b32_e32 v13, 1
	s_mov_b32 s12, exec_lo
	v_cmpx_ne_u16_e32 0x80, v0
	s_cbranch_execz .LBB363_1316
; %bb.1311:                             ;   in Loop: Header=BB363_799 Depth=1
	v_bfe_u32 v14, v12, 16, 7
	v_mov_b32_e32 v13, 0x7fc02000
	s_mov_b32 s13, exec_lo
	s_delay_alu instid0(VALU_DEP_2)
	v_cmpx_ne_u32_e32 0x7f, v14
	s_cbranch_execz .LBB363_1315
; %bb.1312:                             ;   in Loop: Header=BB363_799 Depth=1
	v_and_b32_e32 v0, 7, v115
	v_lshrrev_b32_e32 v116, 3, v14
	v_cmp_gt_u32_e64 s0, 8, v14
	s_delay_alu instid0(VALU_DEP_3) | instskip(NEXT) | instid1(VALU_DEP_2)
	v_dual_mov_b32 v14, v1 :: v_dual_mov_b32 v13, v0
	s_and_saveexec_b32 s15, s0
; %bb.1313:                             ;   in Loop: Header=BB363_799 Depth=1
	v_clz_i32_u32_e32 v13, v0
	s_delay_alu instid0(VALU_DEP_1) | instskip(NEXT) | instid1(VALU_DEP_1)
	v_min_u32_e32 v116, 32, v13
	v_subrev_nc_u32_e32 v13, 28, v116
	v_sub_nc_u32_e32 v116, 29, v116
	s_delay_alu instid0(VALU_DEP_2) | instskip(NEXT) | instid1(VALU_DEP_1)
	v_lshlrev_b64 v[13:14], v13, v[0:1]
	v_and_b32_e32 v13, 7, v13
; %bb.1314:                             ;   in Loop: Header=BB363_799 Depth=1
	s_or_b32 exec_lo, exec_lo, s15
	v_lshlrev_b32_e32 v0, 8, v115
	v_lshl_add_u32 v14, v116, 10, 0x2000
	s_delay_alu instid0(VALU_DEP_1) | instskip(NEXT) | instid1(VALU_DEP_1)
	v_and_or_b32 v0, 0x8000, v0, v14
	v_lshl_or_b32 v0, v13, 7, v0
	s_delay_alu instid0(VALU_DEP_1)
	v_cvt_f32_f16_e32 v13, v0
.LBB363_1315:                           ;   in Loop: Header=BB363_799 Depth=1
	s_or_b32 exec_lo, exec_lo, s13
.LBB363_1316:                           ;   in Loop: Header=BB363_799 Depth=1
	s_delay_alu instid0(SALU_CYCLE_1)
	s_or_b32 exec_lo, exec_lo, s12
.LBB363_1317:                           ;   in Loop: Header=BB363_799 Depth=1
	s_delay_alu instid0(SALU_CYCLE_1) | instskip(NEXT) | instid1(SALU_CYCLE_1)
	s_or_b32 exec_lo, exec_lo, s10
	s_mov_b32 s10, exec_lo
	v_cmpx_lt_u64_e64 s[8:9], v[11:12]
	s_cbranch_execz .LBB363_1325
; %bb.1318:                             ;   in Loop: Header=BB363_799 Depth=1
	v_lshrrev_b32_e32 v14, 24, v12
	v_bfrev_b32_e32 v114, 1
	s_mov_b32 s12, exec_lo
	s_delay_alu instid0(VALU_DEP_2)
	v_cmpx_ne_u32_e32 0x80, v14
	s_cbranch_execz .LBB363_1324
; %bb.1319:                             ;   in Loop: Header=BB363_799 Depth=1
	v_and_b32_e32 v11, 0x7f, v14
	v_mov_b32_e32 v114, 0x7fc02000
	s_mov_b32 s13, exec_lo
	s_delay_alu instid0(VALU_DEP_2)
	v_cmpx_ne_u32_e32 0x7f, v11
	s_cbranch_execz .LBB363_1323
; %bb.1320:                             ;   in Loop: Header=BB363_799 Depth=1
	v_and_b32_e32 v0, 7, v14
	v_lshrrev_b32_e32 v114, 3, v11
	v_cmp_gt_u32_e64 s0, 8, v11
	s_delay_alu instid0(VALU_DEP_3) | instskip(NEXT) | instid1(VALU_DEP_2)
	v_dual_mov_b32 v12, v1 :: v_dual_mov_b32 v11, v0
	s_and_saveexec_b32 s15, s0
; %bb.1321:                             ;   in Loop: Header=BB363_799 Depth=1
	v_clz_i32_u32_e32 v11, v0
	s_delay_alu instid0(VALU_DEP_1) | instskip(NEXT) | instid1(VALU_DEP_1)
	v_min_u32_e32 v114, 32, v11
	v_subrev_nc_u32_e32 v11, 28, v114
	v_sub_nc_u32_e32 v114, 29, v114
	s_delay_alu instid0(VALU_DEP_2) | instskip(NEXT) | instid1(VALU_DEP_1)
	v_lshlrev_b64 v[11:12], v11, v[0:1]
	v_and_b32_e32 v11, 7, v11
; %bb.1322:                             ;   in Loop: Header=BB363_799 Depth=1
	s_or_b32 exec_lo, exec_lo, s15
	v_lshlrev_b32_e32 v0, 8, v14
	v_lshl_add_u32 v12, v114, 10, 0x2000
	s_delay_alu instid0(VALU_DEP_1) | instskip(NEXT) | instid1(VALU_DEP_1)
	v_and_or_b32 v0, 0x8000, v0, v12
	v_lshl_or_b32 v0, v11, 7, v0
	s_delay_alu instid0(VALU_DEP_1)
	v_cvt_f32_f16_e32 v114, v0
.LBB363_1323:                           ;   in Loop: Header=BB363_799 Depth=1
	s_or_b32 exec_lo, exec_lo, s13
.LBB363_1324:                           ;   in Loop: Header=BB363_799 Depth=1
	s_delay_alu instid0(SALU_CYCLE_1)
	s_or_b32 exec_lo, exec_lo, s12
.LBB363_1325:                           ;   in Loop: Header=BB363_799 Depth=1
	s_delay_alu instid0(SALU_CYCLE_1)
	s_or_b32 exec_lo, exec_lo, s10
	s_waitcnt vmcnt(0) lgkmcnt(0)
	v_fma_mixlo_f16 v12, v99, v101, 0
	v_fma_mixlo_f16 v0, v99, v103, 0
	;; [unrolled: 1-line block ×5, first 2 shown]
	v_lshlrev_b32_e32 v14, 16, v12
	v_fma_mixlo_f16 v102, v99, v112, 0
	v_fma_mixlo_f16 v103, v99, v114, 0
	;; [unrolled: 1-line block ×3, first 2 shown]
	v_lshlrev_b32_e32 v0, 16, v0
	v_and_b32_e32 v11, 0xffff, v11
	v_and_b32_e32 v99, 0xffff, v100
	v_lshlrev_b32_e32 v100, 16, v101
	v_and_b32_e32 v101, 0xffff, v102
	v_lshlrev_b32_e32 v102, 16, v103
	v_and_b32_e32 v103, 0xffff, v12
	v_or_b32_e32 v13, v0, v11
	v_or_b32_e32 v14, v14, v99
	;; [unrolled: 1-line block ×3, first 2 shown]
	s_delay_alu instid0(VALU_DEP_4)
	v_or_b32_e32 v11, v102, v103
	s_and_saveexec_b32 s10, vcc_lo
	s_cbranch_execz .LBB363_1327
; %bb.1326:                             ;   in Loop: Header=BB363_799 Depth=1
	v_cmp_lt_i32_e64 s0, v15, v35
	v_lshrrev_b32_e32 v99, 16, v14
	v_lshrrev_b32_e32 v100, 16, v13
	;; [unrolled: 1-line block ×4, first 2 shown]
	v_cndmask_b32_e64 v14, 0, v14, s0
	v_cmp_lt_i32_e64 s0, v64, v48
	s_delay_alu instid0(VALU_DEP_1) | instskip(SKIP_1) | instid1(VALU_DEP_2)
	v_cndmask_b32_e64 v99, 0, v99, s0
	v_cmp_lt_i32_e64 s0, v55, v48
	v_perm_b32 v14, v99, v14, 0x5040100
	s_delay_alu instid0(VALU_DEP_2) | instskip(SKIP_1) | instid1(VALU_DEP_1)
	v_cndmask_b32_e64 v100, 0, v100, s0
	v_cmp_lt_i32_e64 s0, v54, v35
	v_cndmask_b32_e64 v13, 0, v13, s0
	v_cmp_lt_i32_e64 s0, v53, v48
	s_delay_alu instid0(VALU_DEP_2) | instskip(NEXT) | instid1(VALU_DEP_2)
	v_perm_b32 v13, v100, v13, 0x5040100
	v_cndmask_b32_e64 v101, 0, v101, s0
	v_cmp_lt_i32_e64 s0, v52, v35
	s_delay_alu instid0(VALU_DEP_1) | instskip(SKIP_1) | instid1(VALU_DEP_2)
	v_cndmask_b32_e64 v0, 0, v0, s0
	v_cmp_lt_i32_e64 s0, v38, v48
	v_perm_b32 v0, v101, v0, 0x5040100
	s_delay_alu instid0(VALU_DEP_2) | instskip(SKIP_1) | instid1(VALU_DEP_1)
	v_cndmask_b32_e64 v11, 0, v11, s0
	v_cmp_lt_i32_e64 s0, v17, v35
	v_cndmask_b32_e64 v12, 0, v12, s0
	s_delay_alu instid0(VALU_DEP_1)
	v_perm_b32 v11, v11, v12, 0x5040100
.LBB363_1327:                           ;   in Loop: Header=BB363_799 Depth=1
	s_or_b32 exec_lo, exec_lo, s10
	;;#ASMSTART
	v_pk_mul_f16 v12, v70, v14;

	;;#ASMEND
	;;#ASMSTART
	v_pk_mul_f16 v13, v68, v13;

	;;#ASMEND
	;; [unrolled: 4-line block ×4, first 2 shown]
	;;#ASMSTART
	v_pk_add_f16 v12, v12, v13;

	;;#ASMEND
	;;#ASMSTART
	v_pk_add_f16 v0, v12, v0;

	;;#ASMEND
	;; [unrolled: 4-line block ×3, first 2 shown]
	v_dual_mov_b32 v102, 0 :: v_dual_and_b32 v11, 0xffff, v0
	v_lshrrev_b32_e32 v0, 16, v0
	;;#ASMSTART
	v_cvt_f32_f16 v99, v11;
	;;#ASMEND
	;;#ASMSTART
	v_cvt_f32_f16 v100, v0;
	;;#ASMEND
	flat_load_b64 v[11:12], v[9:10] offset:2048
	flat_load_b32 v101, v[26:27]
	s_mov_b32 s10, exec_lo
	s_waitcnt vmcnt(1) lgkmcnt(1)
	v_dual_mov_b32 v103, 0 :: v_dual_and_b32 v0, 0xff, v11
	s_delay_alu instid0(VALU_DEP_1)
	v_cmpx_ne_u16_e32 0, v0
	s_cbranch_execz .LBB363_1335
; %bb.1328:                             ;   in Loop: Header=BB363_799 Depth=1
	v_bfrev_b32_e32 v102, 1
	s_mov_b32 s12, exec_lo
	v_cmpx_ne_u16_e32 0x80, v0
	s_cbranch_execz .LBB363_1334
; %bb.1329:                             ;   in Loop: Header=BB363_799 Depth=1
	v_and_b32_e32 v13, 0x7f, v11
	v_mov_b32_e32 v102, 0x7fc02000
	s_mov_b32 s13, exec_lo
	s_delay_alu instid0(VALU_DEP_2)
	v_cmpx_ne_u32_e32 0x7f, v13
	s_cbranch_execz .LBB363_1333
; %bb.1330:                             ;   in Loop: Header=BB363_799 Depth=1
	v_lshrrev_b32_e32 v0, 3, v13
	v_cmp_gt_u32_e64 s0, 8, v13
	v_dual_mov_b32 v14, v12 :: v_dual_mov_b32 v13, v11
	s_delay_alu instid0(VALU_DEP_2)
	s_and_saveexec_b32 s15, s0
; %bb.1331:                             ;   in Loop: Header=BB363_799 Depth=1
	v_and_b32_e32 v0, 7, v11
	s_delay_alu instid0(VALU_DEP_1) | instskip(NEXT) | instid1(VALU_DEP_1)
	v_clz_i32_u32_e32 v0, v0
	v_min_u32_e32 v0, 32, v0
	s_delay_alu instid0(VALU_DEP_1) | instskip(SKIP_1) | instid1(VALU_DEP_2)
	v_subrev_nc_u32_e32 v13, 28, v0
	v_sub_nc_u32_e32 v0, 29, v0
	v_lshlrev_b64 v[13:14], v13, v[11:12]
; %bb.1332:                             ;   in Loop: Header=BB363_799 Depth=1
	s_or_b32 exec_lo, exec_lo, s15
	v_lshlrev_b32_e32 v14, 8, v11
	s_delay_alu instid0(VALU_DEP_3) | instskip(NEXT) | instid1(VALU_DEP_3)
	v_lshl_add_u32 v0, v0, 10, 0x2000
	v_lshlrev_b32_e32 v13, 7, v13
	s_delay_alu instid0(VALU_DEP_2) | instskip(NEXT) | instid1(VALU_DEP_1)
	v_and_or_b32 v0, 0x8000, v14, v0
	v_and_or_b32 v0, 0x380, v13, v0
	s_delay_alu instid0(VALU_DEP_1)
	v_cvt_f32_f16_e32 v102, v0
.LBB363_1333:                           ;   in Loop: Header=BB363_799 Depth=1
	s_or_b32 exec_lo, exec_lo, s13
.LBB363_1334:                           ;   in Loop: Header=BB363_799 Depth=1
	s_delay_alu instid0(SALU_CYCLE_1)
	s_or_b32 exec_lo, exec_lo, s12
.LBB363_1335:                           ;   in Loop: Header=BB363_799 Depth=1
	s_delay_alu instid0(SALU_CYCLE_1) | instskip(SKIP_2) | instid1(VALU_DEP_1)
	s_or_b32 exec_lo, exec_lo, s10
	v_lshrrev_b16 v0, 8, v11
	s_mov_b32 s10, exec_lo
	v_cmpx_ne_u16_e32 0, v0
	s_cbranch_execz .LBB363_1343
; %bb.1336:                             ;   in Loop: Header=BB363_799 Depth=1
	v_bfrev_b32_e32 v103, 1
	s_mov_b32 s12, exec_lo
	v_cmpx_ne_u16_e32 0x80, v0
	s_cbranch_execz .LBB363_1342
; %bb.1337:                             ;   in Loop: Header=BB363_799 Depth=1
	v_and_b32_e32 v112, 0xffff, v0
	v_mov_b32_e32 v103, 0x7fc02000
	s_mov_b32 s13, exec_lo
	s_delay_alu instid0(VALU_DEP_2) | instskip(NEXT) | instid1(VALU_DEP_1)
	v_and_b32_e32 v13, 0x7f, v112
	v_cmpx_ne_u32_e32 0x7f, v13
	s_cbranch_execz .LBB363_1341
; %bb.1338:                             ;   in Loop: Header=BB363_799 Depth=1
	v_and_b32_e32 v0, 7, v112
	v_lshrrev_b32_e32 v103, 3, v13
	v_cmp_gt_u32_e64 s0, 8, v13
	s_delay_alu instid0(VALU_DEP_3) | instskip(NEXT) | instid1(VALU_DEP_2)
	v_dual_mov_b32 v14, v1 :: v_dual_mov_b32 v13, v0
	s_and_saveexec_b32 s15, s0
; %bb.1339:                             ;   in Loop: Header=BB363_799 Depth=1
	v_clz_i32_u32_e32 v13, v0
	s_delay_alu instid0(VALU_DEP_1) | instskip(NEXT) | instid1(VALU_DEP_1)
	v_min_u32_e32 v103, 32, v13
	v_subrev_nc_u32_e32 v13, 28, v103
	v_sub_nc_u32_e32 v103, 29, v103
	s_delay_alu instid0(VALU_DEP_2) | instskip(NEXT) | instid1(VALU_DEP_1)
	v_lshlrev_b64 v[13:14], v13, v[0:1]
	v_and_b32_e32 v13, 7, v13
; %bb.1340:                             ;   in Loop: Header=BB363_799 Depth=1
	s_or_b32 exec_lo, exec_lo, s15
	v_lshlrev_b32_e32 v0, 8, v112
	v_lshl_add_u32 v14, v103, 10, 0x2000
	s_delay_alu instid0(VALU_DEP_1) | instskip(NEXT) | instid1(VALU_DEP_1)
	v_and_or_b32 v0, 0x8000, v0, v14
	v_lshl_or_b32 v0, v13, 7, v0
	s_delay_alu instid0(VALU_DEP_1)
	v_cvt_f32_f16_e32 v103, v0
.LBB363_1341:                           ;   in Loop: Header=BB363_799 Depth=1
	s_or_b32 exec_lo, exec_lo, s13
.LBB363_1342:                           ;   in Loop: Header=BB363_799 Depth=1
	s_delay_alu instid0(SALU_CYCLE_1)
	s_or_b32 exec_lo, exec_lo, s12
.LBB363_1343:                           ;   in Loop: Header=BB363_799 Depth=1
	s_delay_alu instid0(SALU_CYCLE_1) | instskip(SKIP_3) | instid1(VALU_DEP_2)
	s_or_b32 exec_lo, exec_lo, s10
	v_lshrrev_b32_e32 v114, 16, v11
	v_mov_b32_e32 v112, 0
	s_mov_b32 s10, exec_lo
	v_dual_mov_b32 v113, 0 :: v_dual_and_b32 v0, 0xff, v114
	s_delay_alu instid0(VALU_DEP_1)
	v_cmpx_ne_u16_e32 0, v0
	s_cbranch_execz .LBB363_1351
; %bb.1344:                             ;   in Loop: Header=BB363_799 Depth=1
	v_bfrev_b32_e32 v112, 1
	s_mov_b32 s12, exec_lo
	v_cmpx_ne_u16_e32 0x80, v0
	s_cbranch_execz .LBB363_1350
; %bb.1345:                             ;   in Loop: Header=BB363_799 Depth=1
	v_bfe_u32 v13, v11, 16, 7
	v_mov_b32_e32 v112, 0x7fc02000
	s_mov_b32 s13, exec_lo
	s_delay_alu instid0(VALU_DEP_2)
	v_cmpx_ne_u32_e32 0x7f, v13
	s_cbranch_execz .LBB363_1349
; %bb.1346:                             ;   in Loop: Header=BB363_799 Depth=1
	v_and_b32_e32 v0, 7, v114
	v_lshrrev_b32_e32 v112, 3, v13
	v_cmp_gt_u32_e64 s0, 8, v13
	s_delay_alu instid0(VALU_DEP_3) | instskip(NEXT) | instid1(VALU_DEP_2)
	v_dual_mov_b32 v14, v1 :: v_dual_mov_b32 v13, v0
	s_and_saveexec_b32 s15, s0
; %bb.1347:                             ;   in Loop: Header=BB363_799 Depth=1
	v_clz_i32_u32_e32 v13, v0
	s_delay_alu instid0(VALU_DEP_1) | instskip(NEXT) | instid1(VALU_DEP_1)
	v_min_u32_e32 v112, 32, v13
	v_subrev_nc_u32_e32 v13, 28, v112
	v_sub_nc_u32_e32 v112, 29, v112
	s_delay_alu instid0(VALU_DEP_2) | instskip(NEXT) | instid1(VALU_DEP_1)
	v_lshlrev_b64 v[13:14], v13, v[0:1]
	v_and_b32_e32 v13, 7, v13
; %bb.1348:                             ;   in Loop: Header=BB363_799 Depth=1
	s_or_b32 exec_lo, exec_lo, s15
	v_lshlrev_b32_e32 v0, 8, v114
	v_lshl_add_u32 v14, v112, 10, 0x2000
	s_delay_alu instid0(VALU_DEP_1) | instskip(NEXT) | instid1(VALU_DEP_1)
	v_and_or_b32 v0, 0x8000, v0, v14
	v_lshl_or_b32 v0, v13, 7, v0
	s_delay_alu instid0(VALU_DEP_1)
	v_cvt_f32_f16_e32 v112, v0
.LBB363_1349:                           ;   in Loop: Header=BB363_799 Depth=1
	s_or_b32 exec_lo, exec_lo, s13
.LBB363_1350:                           ;   in Loop: Header=BB363_799 Depth=1
	s_delay_alu instid0(SALU_CYCLE_1)
	s_or_b32 exec_lo, exec_lo, s12
.LBB363_1351:                           ;   in Loop: Header=BB363_799 Depth=1
	s_delay_alu instid0(SALU_CYCLE_1) | instskip(NEXT) | instid1(SALU_CYCLE_1)
	s_or_b32 exec_lo, exec_lo, s10
	s_mov_b32 s10, exec_lo
	v_cmpx_lt_u32_e32 0xffffff, v11
	s_cbranch_execz .LBB363_1359
; %bb.1352:                             ;   in Loop: Header=BB363_799 Depth=1
	v_lshrrev_b32_e32 v114, 24, v11
	v_bfrev_b32_e32 v113, 1
	s_mov_b32 s12, exec_lo
	s_delay_alu instid0(VALU_DEP_2)
	v_cmpx_ne_u32_e32 0x80, v114
	s_cbranch_execz .LBB363_1358
; %bb.1353:                             ;   in Loop: Header=BB363_799 Depth=1
	v_and_b32_e32 v13, 0x7f, v114
	v_mov_b32_e32 v113, 0x7fc02000
	s_mov_b32 s13, exec_lo
	s_delay_alu instid0(VALU_DEP_2)
	v_cmpx_ne_u32_e32 0x7f, v13
	s_cbranch_execz .LBB363_1357
; %bb.1354:                             ;   in Loop: Header=BB363_799 Depth=1
	v_and_b32_e32 v0, 7, v114
	v_lshrrev_b32_e32 v113, 3, v13
	v_cmp_gt_u32_e64 s0, 8, v13
	s_delay_alu instid0(VALU_DEP_3) | instskip(NEXT) | instid1(VALU_DEP_2)
	v_dual_mov_b32 v14, v1 :: v_dual_mov_b32 v13, v0
	s_and_saveexec_b32 s15, s0
; %bb.1355:                             ;   in Loop: Header=BB363_799 Depth=1
	v_clz_i32_u32_e32 v13, v0
	s_delay_alu instid0(VALU_DEP_1) | instskip(NEXT) | instid1(VALU_DEP_1)
	v_min_u32_e32 v113, 32, v13
	v_subrev_nc_u32_e32 v13, 28, v113
	v_sub_nc_u32_e32 v113, 29, v113
	s_delay_alu instid0(VALU_DEP_2) | instskip(NEXT) | instid1(VALU_DEP_1)
	v_lshlrev_b64 v[13:14], v13, v[0:1]
	v_and_b32_e32 v13, 7, v13
; %bb.1356:                             ;   in Loop: Header=BB363_799 Depth=1
	s_or_b32 exec_lo, exec_lo, s15
	v_lshlrev_b32_e32 v0, 8, v114
	v_lshl_add_u32 v14, v113, 10, 0x2000
	s_delay_alu instid0(VALU_DEP_1) | instskip(NEXT) | instid1(VALU_DEP_1)
	v_and_or_b32 v0, 0x8000, v0, v14
	v_lshl_or_b32 v0, v13, 7, v0
	s_delay_alu instid0(VALU_DEP_1)
	v_cvt_f32_f16_e32 v113, v0
.LBB363_1357:                           ;   in Loop: Header=BB363_799 Depth=1
	s_or_b32 exec_lo, exec_lo, s13
.LBB363_1358:                           ;   in Loop: Header=BB363_799 Depth=1
	s_delay_alu instid0(SALU_CYCLE_1)
	s_or_b32 exec_lo, exec_lo, s12
.LBB363_1359:                           ;   in Loop: Header=BB363_799 Depth=1
	s_delay_alu instid0(SALU_CYCLE_1) | instskip(SKIP_3) | instid1(VALU_DEP_2)
	s_or_b32 exec_lo, exec_lo, s10
	v_dual_mov_b32 v0, v12 :: v_dual_and_b32 v13, 0xff, v12
	v_dual_mov_b32 v115, 0 :: v_dual_mov_b32 v114, 0
	s_mov_b32 s10, exec_lo
	v_cmpx_ne_u16_e32 0, v13
	s_cbranch_execz .LBB363_1367
; %bb.1360:                             ;   in Loop: Header=BB363_799 Depth=1
	v_bfrev_b32_e32 v114, 1
	s_mov_b32 s12, exec_lo
	v_cmpx_ne_u16_e32 0x80, v13
	s_cbranch_execz .LBB363_1366
; %bb.1361:                             ;   in Loop: Header=BB363_799 Depth=1
	v_and_b32_e32 v13, 0x7f, v12
	v_mov_b32_e32 v114, 0x7fc02000
	s_mov_b32 s13, exec_lo
	s_delay_alu instid0(VALU_DEP_2)
	v_cmpx_ne_u32_e32 0x7f, v13
	s_cbranch_execz .LBB363_1365
; %bb.1362:                             ;   in Loop: Header=BB363_799 Depth=1
	v_lshrrev_b32_e32 v114, 3, v13
	v_cmp_gt_u32_e64 s0, 8, v13
	v_dual_mov_b32 v14, v1 :: v_dual_mov_b32 v13, v0
	s_delay_alu instid0(VALU_DEP_2)
	s_and_saveexec_b32 s15, s0
; %bb.1363:                             ;   in Loop: Header=BB363_799 Depth=1
	v_and_b32_e32 v13, 7, v12
	s_delay_alu instid0(VALU_DEP_1) | instskip(NEXT) | instid1(VALU_DEP_1)
	v_clz_i32_u32_e32 v13, v13
	v_min_u32_e32 v114, 32, v13
	s_delay_alu instid0(VALU_DEP_1) | instskip(SKIP_1) | instid1(VALU_DEP_2)
	v_subrev_nc_u32_e32 v13, 28, v114
	v_sub_nc_u32_e32 v114, 29, v114
	v_lshlrev_b64 v[13:14], v13, v[0:1]
; %bb.1364:                             ;   in Loop: Header=BB363_799 Depth=1
	s_or_b32 exec_lo, exec_lo, s15
	v_lshlrev_b32_e32 v14, 8, v12
	s_delay_alu instid0(VALU_DEP_3) | instskip(NEXT) | instid1(VALU_DEP_3)
	v_lshl_add_u32 v114, v114, 10, 0x2000
	v_lshlrev_b32_e32 v13, 7, v13
	s_delay_alu instid0(VALU_DEP_2) | instskip(NEXT) | instid1(VALU_DEP_1)
	v_and_or_b32 v14, 0x8000, v14, v114
	v_and_or_b32 v13, 0x380, v13, v14
	s_delay_alu instid0(VALU_DEP_1)
	v_cvt_f32_f16_e32 v114, v13
.LBB363_1365:                           ;   in Loop: Header=BB363_799 Depth=1
	s_or_b32 exec_lo, exec_lo, s13
.LBB363_1366:                           ;   in Loop: Header=BB363_799 Depth=1
	s_delay_alu instid0(SALU_CYCLE_1)
	s_or_b32 exec_lo, exec_lo, s12
.LBB363_1367:                           ;   in Loop: Header=BB363_799 Depth=1
	s_delay_alu instid0(SALU_CYCLE_1) | instskip(SKIP_2) | instid1(VALU_DEP_1)
	s_or_b32 exec_lo, exec_lo, s10
	v_lshrrev_b16 v0, 8, v0
	s_mov_b32 s10, exec_lo
	v_cmpx_ne_u16_e32 0, v0
	s_cbranch_execz .LBB363_1375
; %bb.1368:                             ;   in Loop: Header=BB363_799 Depth=1
	v_bfrev_b32_e32 v115, 1
	s_mov_b32 s12, exec_lo
	v_cmpx_ne_u16_e32 0x80, v0
	s_cbranch_execz .LBB363_1374
; %bb.1369:                             ;   in Loop: Header=BB363_799 Depth=1
	v_and_b32_e32 v116, 0xffff, v0
	v_mov_b32_e32 v115, 0x7fc02000
	s_mov_b32 s13, exec_lo
	s_delay_alu instid0(VALU_DEP_2) | instskip(NEXT) | instid1(VALU_DEP_1)
	v_and_b32_e32 v13, 0x7f, v116
	v_cmpx_ne_u32_e32 0x7f, v13
	s_cbranch_execz .LBB363_1373
; %bb.1370:                             ;   in Loop: Header=BB363_799 Depth=1
	v_and_b32_e32 v0, 7, v116
	v_lshrrev_b32_e32 v115, 3, v13
	v_cmp_gt_u32_e64 s0, 8, v13
	s_delay_alu instid0(VALU_DEP_3) | instskip(NEXT) | instid1(VALU_DEP_2)
	v_dual_mov_b32 v14, v1 :: v_dual_mov_b32 v13, v0
	s_and_saveexec_b32 s15, s0
; %bb.1371:                             ;   in Loop: Header=BB363_799 Depth=1
	v_clz_i32_u32_e32 v13, v0
	s_delay_alu instid0(VALU_DEP_1) | instskip(NEXT) | instid1(VALU_DEP_1)
	v_min_u32_e32 v115, 32, v13
	v_subrev_nc_u32_e32 v13, 28, v115
	v_sub_nc_u32_e32 v115, 29, v115
	s_delay_alu instid0(VALU_DEP_2) | instskip(NEXT) | instid1(VALU_DEP_1)
	v_lshlrev_b64 v[13:14], v13, v[0:1]
	v_and_b32_e32 v13, 7, v13
; %bb.1372:                             ;   in Loop: Header=BB363_799 Depth=1
	s_or_b32 exec_lo, exec_lo, s15
	v_lshlrev_b32_e32 v0, 8, v116
	v_lshl_add_u32 v14, v115, 10, 0x2000
	s_delay_alu instid0(VALU_DEP_1) | instskip(NEXT) | instid1(VALU_DEP_1)
	v_and_or_b32 v0, 0x8000, v0, v14
	v_lshl_or_b32 v0, v13, 7, v0
	s_delay_alu instid0(VALU_DEP_1)
	v_cvt_f32_f16_e32 v115, v0
.LBB363_1373:                           ;   in Loop: Header=BB363_799 Depth=1
	s_or_b32 exec_lo, exec_lo, s13
.LBB363_1374:                           ;   in Loop: Header=BB363_799 Depth=1
	s_delay_alu instid0(SALU_CYCLE_1)
	s_or_b32 exec_lo, exec_lo, s12
.LBB363_1375:                           ;   in Loop: Header=BB363_799 Depth=1
	s_delay_alu instid0(SALU_CYCLE_1) | instskip(SKIP_3) | instid1(VALU_DEP_2)
	s_or_b32 exec_lo, exec_lo, s10
	v_lshrrev_b32_e32 v117, 16, v12
	v_mov_b32_e32 v116, 0
	s_mov_b32 s10, exec_lo
	v_dual_mov_b32 v13, 0 :: v_dual_and_b32 v0, 0xff, v117
	s_delay_alu instid0(VALU_DEP_1)
	v_cmpx_ne_u16_e32 0, v0
	s_cbranch_execz .LBB363_1383
; %bb.1376:                             ;   in Loop: Header=BB363_799 Depth=1
	v_bfrev_b32_e32 v13, 1
	s_mov_b32 s12, exec_lo
	v_cmpx_ne_u16_e32 0x80, v0
	s_cbranch_execz .LBB363_1382
; %bb.1377:                             ;   in Loop: Header=BB363_799 Depth=1
	v_bfe_u32 v14, v12, 16, 7
	v_mov_b32_e32 v13, 0x7fc02000
	s_mov_b32 s13, exec_lo
	s_delay_alu instid0(VALU_DEP_2)
	v_cmpx_ne_u32_e32 0x7f, v14
	s_cbranch_execz .LBB363_1381
; %bb.1378:                             ;   in Loop: Header=BB363_799 Depth=1
	v_and_b32_e32 v0, 7, v117
	v_lshrrev_b32_e32 v118, 3, v14
	v_cmp_gt_u32_e64 s0, 8, v14
	s_delay_alu instid0(VALU_DEP_3) | instskip(NEXT) | instid1(VALU_DEP_2)
	v_dual_mov_b32 v14, v1 :: v_dual_mov_b32 v13, v0
	s_and_saveexec_b32 s15, s0
; %bb.1379:                             ;   in Loop: Header=BB363_799 Depth=1
	v_clz_i32_u32_e32 v13, v0
	s_delay_alu instid0(VALU_DEP_1) | instskip(NEXT) | instid1(VALU_DEP_1)
	v_min_u32_e32 v118, 32, v13
	v_subrev_nc_u32_e32 v13, 28, v118
	v_sub_nc_u32_e32 v118, 29, v118
	s_delay_alu instid0(VALU_DEP_2) | instskip(NEXT) | instid1(VALU_DEP_1)
	v_lshlrev_b64 v[13:14], v13, v[0:1]
	v_and_b32_e32 v13, 7, v13
; %bb.1380:                             ;   in Loop: Header=BB363_799 Depth=1
	s_or_b32 exec_lo, exec_lo, s15
	v_lshlrev_b32_e32 v0, 8, v117
	v_lshl_add_u32 v14, v118, 10, 0x2000
	s_delay_alu instid0(VALU_DEP_1) | instskip(NEXT) | instid1(VALU_DEP_1)
	v_and_or_b32 v0, 0x8000, v0, v14
	v_lshl_or_b32 v0, v13, 7, v0
	s_delay_alu instid0(VALU_DEP_1)
	v_cvt_f32_f16_e32 v13, v0
.LBB363_1381:                           ;   in Loop: Header=BB363_799 Depth=1
	s_or_b32 exec_lo, exec_lo, s13
.LBB363_1382:                           ;   in Loop: Header=BB363_799 Depth=1
	s_delay_alu instid0(SALU_CYCLE_1)
	s_or_b32 exec_lo, exec_lo, s12
.LBB363_1383:                           ;   in Loop: Header=BB363_799 Depth=1
	s_delay_alu instid0(SALU_CYCLE_1) | instskip(NEXT) | instid1(SALU_CYCLE_1)
	s_or_b32 exec_lo, exec_lo, s10
	s_mov_b32 s10, exec_lo
	v_cmpx_lt_u64_e64 s[8:9], v[11:12]
	s_cbranch_execz .LBB363_1391
; %bb.1384:                             ;   in Loop: Header=BB363_799 Depth=1
	v_lshrrev_b32_e32 v14, 24, v12
	v_bfrev_b32_e32 v116, 1
	s_mov_b32 s12, exec_lo
	s_delay_alu instid0(VALU_DEP_2)
	v_cmpx_ne_u32_e32 0x80, v14
	s_cbranch_execz .LBB363_1390
; %bb.1385:                             ;   in Loop: Header=BB363_799 Depth=1
	v_and_b32_e32 v11, 0x7f, v14
	v_mov_b32_e32 v116, 0x7fc02000
	s_mov_b32 s13, exec_lo
	s_delay_alu instid0(VALU_DEP_2)
	v_cmpx_ne_u32_e32 0x7f, v11
	s_cbranch_execz .LBB363_1389
; %bb.1386:                             ;   in Loop: Header=BB363_799 Depth=1
	v_and_b32_e32 v0, 7, v14
	v_lshrrev_b32_e32 v116, 3, v11
	v_cmp_gt_u32_e64 s0, 8, v11
	s_delay_alu instid0(VALU_DEP_3) | instskip(NEXT) | instid1(VALU_DEP_2)
	v_dual_mov_b32 v12, v1 :: v_dual_mov_b32 v11, v0
	s_and_saveexec_b32 s15, s0
; %bb.1387:                             ;   in Loop: Header=BB363_799 Depth=1
	v_clz_i32_u32_e32 v11, v0
	s_delay_alu instid0(VALU_DEP_1) | instskip(NEXT) | instid1(VALU_DEP_1)
	v_min_u32_e32 v116, 32, v11
	v_subrev_nc_u32_e32 v11, 28, v116
	v_sub_nc_u32_e32 v116, 29, v116
	s_delay_alu instid0(VALU_DEP_2) | instskip(NEXT) | instid1(VALU_DEP_1)
	v_lshlrev_b64 v[11:12], v11, v[0:1]
	v_and_b32_e32 v11, 7, v11
; %bb.1388:                             ;   in Loop: Header=BB363_799 Depth=1
	s_or_b32 exec_lo, exec_lo, s15
	v_lshlrev_b32_e32 v0, 8, v14
	v_lshl_add_u32 v12, v116, 10, 0x2000
	s_delay_alu instid0(VALU_DEP_1) | instskip(NEXT) | instid1(VALU_DEP_1)
	v_and_or_b32 v0, 0x8000, v0, v12
	v_lshl_or_b32 v0, v11, 7, v0
	s_delay_alu instid0(VALU_DEP_1)
	v_cvt_f32_f16_e32 v116, v0
.LBB363_1389:                           ;   in Loop: Header=BB363_799 Depth=1
	s_or_b32 exec_lo, exec_lo, s13
.LBB363_1390:                           ;   in Loop: Header=BB363_799 Depth=1
	s_delay_alu instid0(SALU_CYCLE_1)
	s_or_b32 exec_lo, exec_lo, s12
.LBB363_1391:                           ;   in Loop: Header=BB363_799 Depth=1
	s_delay_alu instid0(SALU_CYCLE_1)
	s_or_b32 exec_lo, exec_lo, s10
	s_waitcnt vmcnt(0) lgkmcnt(0)
	v_fma_mixlo_f16 v12, v101, v103, 0
	v_fma_mixlo_f16 v0, v101, v113, 0
	;; [unrolled: 1-line block ×5, first 2 shown]
	v_lshlrev_b32_e32 v14, 16, v12
	v_fma_mixlo_f16 v112, v101, v114, 0
	v_fma_mixlo_f16 v113, v101, v116, 0
	;; [unrolled: 1-line block ×3, first 2 shown]
	v_lshlrev_b32_e32 v0, 16, v0
	v_and_b32_e32 v11, 0xffff, v11
	v_and_b32_e32 v101, 0xffff, v102
	v_lshlrev_b32_e32 v102, 16, v103
	v_and_b32_e32 v103, 0xffff, v112
	v_lshlrev_b32_e32 v112, 16, v113
	v_and_b32_e32 v113, 0xffff, v12
	v_or_b32_e32 v13, v0, v11
	v_or_b32_e32 v14, v14, v101
	;; [unrolled: 1-line block ×3, first 2 shown]
	s_delay_alu instid0(VALU_DEP_4)
	v_or_b32_e32 v11, v112, v113
	s_and_saveexec_b32 s10, vcc_lo
	s_cbranch_execz .LBB363_1393
; %bb.1392:                             ;   in Loop: Header=BB363_799 Depth=1
	v_cmp_lt_i32_e64 s0, v15, v35
	v_lshrrev_b32_e32 v101, 16, v14
	v_lshrrev_b32_e32 v102, 16, v13
	;; [unrolled: 1-line block ×4, first 2 shown]
	v_cndmask_b32_e64 v14, 0, v14, s0
	v_cmp_lt_i32_e64 s0, v64, v48
	s_delay_alu instid0(VALU_DEP_1) | instskip(SKIP_1) | instid1(VALU_DEP_2)
	v_cndmask_b32_e64 v101, 0, v101, s0
	v_cmp_lt_i32_e64 s0, v55, v48
	v_perm_b32 v14, v101, v14, 0x5040100
	s_delay_alu instid0(VALU_DEP_2) | instskip(SKIP_1) | instid1(VALU_DEP_1)
	v_cndmask_b32_e64 v102, 0, v102, s0
	v_cmp_lt_i32_e64 s0, v54, v35
	v_cndmask_b32_e64 v13, 0, v13, s0
	v_cmp_lt_i32_e64 s0, v53, v48
	s_delay_alu instid0(VALU_DEP_2) | instskip(NEXT) | instid1(VALU_DEP_2)
	v_perm_b32 v13, v102, v13, 0x5040100
	v_cndmask_b32_e64 v103, 0, v103, s0
	v_cmp_lt_i32_e64 s0, v52, v35
	s_delay_alu instid0(VALU_DEP_1) | instskip(SKIP_1) | instid1(VALU_DEP_2)
	v_cndmask_b32_e64 v0, 0, v0, s0
	v_cmp_lt_i32_e64 s0, v38, v48
	v_perm_b32 v0, v103, v0, 0x5040100
	s_delay_alu instid0(VALU_DEP_2) | instskip(SKIP_1) | instid1(VALU_DEP_1)
	v_cndmask_b32_e64 v11, 0, v11, s0
	v_cmp_lt_i32_e64 s0, v17, v35
	v_cndmask_b32_e64 v12, 0, v12, s0
	s_delay_alu instid0(VALU_DEP_1)
	v_perm_b32 v11, v11, v12, 0x5040100
.LBB363_1393:                           ;   in Loop: Header=BB363_799 Depth=1
	s_or_b32 exec_lo, exec_lo, s10
	;;#ASMSTART
	v_pk_mul_f16 v12, v70, v14;

	;;#ASMEND
	;;#ASMSTART
	v_pk_mul_f16 v13, v68, v13;

	;;#ASMEND
	;; [unrolled: 4-line block ×4, first 2 shown]
	;;#ASMSTART
	v_pk_add_f16 v12, v12, v13;

	;;#ASMEND
	;;#ASMSTART
	v_pk_add_f16 v0, v12, v0;

	;;#ASMEND
	;; [unrolled: 4-line block ×3, first 2 shown]
	v_dual_mov_b32 v112, 0 :: v_dual_and_b32 v11, 0xffff, v0
	v_lshrrev_b32_e32 v0, 16, v0
	;;#ASMSTART
	v_cvt_f32_f16 v101, v11;
	;;#ASMEND
	;;#ASMSTART
	v_cvt_f32_f16 v102, v0;
	;;#ASMEND
	flat_load_b64 v[11:12], v[9:10] offset:2304
	flat_load_b32 v103, v[26:27]
	s_mov_b32 s10, exec_lo
	s_waitcnt vmcnt(1) lgkmcnt(1)
	v_dual_mov_b32 v113, 0 :: v_dual_and_b32 v0, 0xff, v11
	s_delay_alu instid0(VALU_DEP_1)
	v_cmpx_ne_u16_e32 0, v0
	s_cbranch_execz .LBB363_1401
; %bb.1394:                             ;   in Loop: Header=BB363_799 Depth=1
	v_bfrev_b32_e32 v112, 1
	s_mov_b32 s12, exec_lo
	v_cmpx_ne_u16_e32 0x80, v0
	s_cbranch_execz .LBB363_1400
; %bb.1395:                             ;   in Loop: Header=BB363_799 Depth=1
	v_and_b32_e32 v13, 0x7f, v11
	v_mov_b32_e32 v112, 0x7fc02000
	s_mov_b32 s13, exec_lo
	s_delay_alu instid0(VALU_DEP_2)
	v_cmpx_ne_u32_e32 0x7f, v13
	s_cbranch_execz .LBB363_1399
; %bb.1396:                             ;   in Loop: Header=BB363_799 Depth=1
	v_lshrrev_b32_e32 v0, 3, v13
	v_cmp_gt_u32_e64 s0, 8, v13
	v_dual_mov_b32 v14, v12 :: v_dual_mov_b32 v13, v11
	s_delay_alu instid0(VALU_DEP_2)
	s_and_saveexec_b32 s15, s0
; %bb.1397:                             ;   in Loop: Header=BB363_799 Depth=1
	v_and_b32_e32 v0, 7, v11
	s_delay_alu instid0(VALU_DEP_1) | instskip(NEXT) | instid1(VALU_DEP_1)
	v_clz_i32_u32_e32 v0, v0
	v_min_u32_e32 v0, 32, v0
	s_delay_alu instid0(VALU_DEP_1) | instskip(SKIP_1) | instid1(VALU_DEP_2)
	v_subrev_nc_u32_e32 v13, 28, v0
	v_sub_nc_u32_e32 v0, 29, v0
	v_lshlrev_b64 v[13:14], v13, v[11:12]
; %bb.1398:                             ;   in Loop: Header=BB363_799 Depth=1
	s_or_b32 exec_lo, exec_lo, s15
	v_lshlrev_b32_e32 v14, 8, v11
	s_delay_alu instid0(VALU_DEP_3) | instskip(NEXT) | instid1(VALU_DEP_3)
	v_lshl_add_u32 v0, v0, 10, 0x2000
	v_lshlrev_b32_e32 v13, 7, v13
	s_delay_alu instid0(VALU_DEP_2) | instskip(NEXT) | instid1(VALU_DEP_1)
	v_and_or_b32 v0, 0x8000, v14, v0
	v_and_or_b32 v0, 0x380, v13, v0
	s_delay_alu instid0(VALU_DEP_1)
	v_cvt_f32_f16_e32 v112, v0
.LBB363_1399:                           ;   in Loop: Header=BB363_799 Depth=1
	s_or_b32 exec_lo, exec_lo, s13
.LBB363_1400:                           ;   in Loop: Header=BB363_799 Depth=1
	s_delay_alu instid0(SALU_CYCLE_1)
	s_or_b32 exec_lo, exec_lo, s12
.LBB363_1401:                           ;   in Loop: Header=BB363_799 Depth=1
	s_delay_alu instid0(SALU_CYCLE_1) | instskip(SKIP_2) | instid1(VALU_DEP_1)
	s_or_b32 exec_lo, exec_lo, s10
	v_lshrrev_b16 v0, 8, v11
	s_mov_b32 s10, exec_lo
	v_cmpx_ne_u16_e32 0, v0
	s_cbranch_execz .LBB363_1409
; %bb.1402:                             ;   in Loop: Header=BB363_799 Depth=1
	v_bfrev_b32_e32 v113, 1
	s_mov_b32 s12, exec_lo
	v_cmpx_ne_u16_e32 0x80, v0
	s_cbranch_execz .LBB363_1408
; %bb.1403:                             ;   in Loop: Header=BB363_799 Depth=1
	v_and_b32_e32 v114, 0xffff, v0
	v_mov_b32_e32 v113, 0x7fc02000
	s_mov_b32 s13, exec_lo
	s_delay_alu instid0(VALU_DEP_2) | instskip(NEXT) | instid1(VALU_DEP_1)
	v_and_b32_e32 v13, 0x7f, v114
	v_cmpx_ne_u32_e32 0x7f, v13
	s_cbranch_execz .LBB363_1407
; %bb.1404:                             ;   in Loop: Header=BB363_799 Depth=1
	v_and_b32_e32 v0, 7, v114
	v_lshrrev_b32_e32 v113, 3, v13
	v_cmp_gt_u32_e64 s0, 8, v13
	s_delay_alu instid0(VALU_DEP_3) | instskip(NEXT) | instid1(VALU_DEP_2)
	v_dual_mov_b32 v14, v1 :: v_dual_mov_b32 v13, v0
	s_and_saveexec_b32 s15, s0
; %bb.1405:                             ;   in Loop: Header=BB363_799 Depth=1
	v_clz_i32_u32_e32 v13, v0
	s_delay_alu instid0(VALU_DEP_1) | instskip(NEXT) | instid1(VALU_DEP_1)
	v_min_u32_e32 v113, 32, v13
	v_subrev_nc_u32_e32 v13, 28, v113
	v_sub_nc_u32_e32 v113, 29, v113
	s_delay_alu instid0(VALU_DEP_2) | instskip(NEXT) | instid1(VALU_DEP_1)
	v_lshlrev_b64 v[13:14], v13, v[0:1]
	v_and_b32_e32 v13, 7, v13
; %bb.1406:                             ;   in Loop: Header=BB363_799 Depth=1
	s_or_b32 exec_lo, exec_lo, s15
	v_lshlrev_b32_e32 v0, 8, v114
	v_lshl_add_u32 v14, v113, 10, 0x2000
	s_delay_alu instid0(VALU_DEP_1) | instskip(NEXT) | instid1(VALU_DEP_1)
	v_and_or_b32 v0, 0x8000, v0, v14
	v_lshl_or_b32 v0, v13, 7, v0
	s_delay_alu instid0(VALU_DEP_1)
	v_cvt_f32_f16_e32 v113, v0
.LBB363_1407:                           ;   in Loop: Header=BB363_799 Depth=1
	s_or_b32 exec_lo, exec_lo, s13
.LBB363_1408:                           ;   in Loop: Header=BB363_799 Depth=1
	s_delay_alu instid0(SALU_CYCLE_1)
	s_or_b32 exec_lo, exec_lo, s12
.LBB363_1409:                           ;   in Loop: Header=BB363_799 Depth=1
	s_delay_alu instid0(SALU_CYCLE_1) | instskip(SKIP_3) | instid1(VALU_DEP_2)
	s_or_b32 exec_lo, exec_lo, s10
	v_lshrrev_b32_e32 v116, 16, v11
	v_mov_b32_e32 v114, 0
	s_mov_b32 s10, exec_lo
	v_dual_mov_b32 v115, 0 :: v_dual_and_b32 v0, 0xff, v116
	s_delay_alu instid0(VALU_DEP_1)
	v_cmpx_ne_u16_e32 0, v0
	s_cbranch_execz .LBB363_1417
; %bb.1410:                             ;   in Loop: Header=BB363_799 Depth=1
	v_bfrev_b32_e32 v114, 1
	s_mov_b32 s12, exec_lo
	v_cmpx_ne_u16_e32 0x80, v0
	s_cbranch_execz .LBB363_1416
; %bb.1411:                             ;   in Loop: Header=BB363_799 Depth=1
	v_bfe_u32 v13, v11, 16, 7
	v_mov_b32_e32 v114, 0x7fc02000
	s_mov_b32 s13, exec_lo
	s_delay_alu instid0(VALU_DEP_2)
	v_cmpx_ne_u32_e32 0x7f, v13
	s_cbranch_execz .LBB363_1415
; %bb.1412:                             ;   in Loop: Header=BB363_799 Depth=1
	v_and_b32_e32 v0, 7, v116
	v_lshrrev_b32_e32 v114, 3, v13
	v_cmp_gt_u32_e64 s0, 8, v13
	s_delay_alu instid0(VALU_DEP_3) | instskip(NEXT) | instid1(VALU_DEP_2)
	v_dual_mov_b32 v14, v1 :: v_dual_mov_b32 v13, v0
	s_and_saveexec_b32 s15, s0
; %bb.1413:                             ;   in Loop: Header=BB363_799 Depth=1
	v_clz_i32_u32_e32 v13, v0
	s_delay_alu instid0(VALU_DEP_1) | instskip(NEXT) | instid1(VALU_DEP_1)
	v_min_u32_e32 v114, 32, v13
	v_subrev_nc_u32_e32 v13, 28, v114
	v_sub_nc_u32_e32 v114, 29, v114
	s_delay_alu instid0(VALU_DEP_2) | instskip(NEXT) | instid1(VALU_DEP_1)
	v_lshlrev_b64 v[13:14], v13, v[0:1]
	v_and_b32_e32 v13, 7, v13
; %bb.1414:                             ;   in Loop: Header=BB363_799 Depth=1
	s_or_b32 exec_lo, exec_lo, s15
	v_lshlrev_b32_e32 v0, 8, v116
	v_lshl_add_u32 v14, v114, 10, 0x2000
	s_delay_alu instid0(VALU_DEP_1) | instskip(NEXT) | instid1(VALU_DEP_1)
	v_and_or_b32 v0, 0x8000, v0, v14
	v_lshl_or_b32 v0, v13, 7, v0
	s_delay_alu instid0(VALU_DEP_1)
	v_cvt_f32_f16_e32 v114, v0
.LBB363_1415:                           ;   in Loop: Header=BB363_799 Depth=1
	s_or_b32 exec_lo, exec_lo, s13
.LBB363_1416:                           ;   in Loop: Header=BB363_799 Depth=1
	s_delay_alu instid0(SALU_CYCLE_1)
	s_or_b32 exec_lo, exec_lo, s12
.LBB363_1417:                           ;   in Loop: Header=BB363_799 Depth=1
	s_delay_alu instid0(SALU_CYCLE_1) | instskip(NEXT) | instid1(SALU_CYCLE_1)
	s_or_b32 exec_lo, exec_lo, s10
	s_mov_b32 s10, exec_lo
	v_cmpx_lt_u32_e32 0xffffff, v11
	s_cbranch_execz .LBB363_1425
; %bb.1418:                             ;   in Loop: Header=BB363_799 Depth=1
	v_lshrrev_b32_e32 v116, 24, v11
	v_bfrev_b32_e32 v115, 1
	s_mov_b32 s12, exec_lo
	s_delay_alu instid0(VALU_DEP_2)
	v_cmpx_ne_u32_e32 0x80, v116
	s_cbranch_execz .LBB363_1424
; %bb.1419:                             ;   in Loop: Header=BB363_799 Depth=1
	v_and_b32_e32 v13, 0x7f, v116
	v_mov_b32_e32 v115, 0x7fc02000
	s_mov_b32 s13, exec_lo
	s_delay_alu instid0(VALU_DEP_2)
	v_cmpx_ne_u32_e32 0x7f, v13
	s_cbranch_execz .LBB363_1423
; %bb.1420:                             ;   in Loop: Header=BB363_799 Depth=1
	v_and_b32_e32 v0, 7, v116
	v_lshrrev_b32_e32 v115, 3, v13
	v_cmp_gt_u32_e64 s0, 8, v13
	s_delay_alu instid0(VALU_DEP_3) | instskip(NEXT) | instid1(VALU_DEP_2)
	v_dual_mov_b32 v14, v1 :: v_dual_mov_b32 v13, v0
	s_and_saveexec_b32 s15, s0
; %bb.1421:                             ;   in Loop: Header=BB363_799 Depth=1
	v_clz_i32_u32_e32 v13, v0
	s_delay_alu instid0(VALU_DEP_1) | instskip(NEXT) | instid1(VALU_DEP_1)
	v_min_u32_e32 v115, 32, v13
	v_subrev_nc_u32_e32 v13, 28, v115
	v_sub_nc_u32_e32 v115, 29, v115
	s_delay_alu instid0(VALU_DEP_2) | instskip(NEXT) | instid1(VALU_DEP_1)
	v_lshlrev_b64 v[13:14], v13, v[0:1]
	v_and_b32_e32 v13, 7, v13
; %bb.1422:                             ;   in Loop: Header=BB363_799 Depth=1
	s_or_b32 exec_lo, exec_lo, s15
	v_lshlrev_b32_e32 v0, 8, v116
	v_lshl_add_u32 v14, v115, 10, 0x2000
	s_delay_alu instid0(VALU_DEP_1) | instskip(NEXT) | instid1(VALU_DEP_1)
	v_and_or_b32 v0, 0x8000, v0, v14
	v_lshl_or_b32 v0, v13, 7, v0
	s_delay_alu instid0(VALU_DEP_1)
	v_cvt_f32_f16_e32 v115, v0
.LBB363_1423:                           ;   in Loop: Header=BB363_799 Depth=1
	s_or_b32 exec_lo, exec_lo, s13
.LBB363_1424:                           ;   in Loop: Header=BB363_799 Depth=1
	s_delay_alu instid0(SALU_CYCLE_1)
	s_or_b32 exec_lo, exec_lo, s12
.LBB363_1425:                           ;   in Loop: Header=BB363_799 Depth=1
	s_delay_alu instid0(SALU_CYCLE_1) | instskip(SKIP_3) | instid1(VALU_DEP_2)
	s_or_b32 exec_lo, exec_lo, s10
	v_dual_mov_b32 v0, v12 :: v_dual_and_b32 v13, 0xff, v12
	v_dual_mov_b32 v117, 0 :: v_dual_mov_b32 v116, 0
	s_mov_b32 s10, exec_lo
	v_cmpx_ne_u16_e32 0, v13
	s_cbranch_execz .LBB363_1433
; %bb.1426:                             ;   in Loop: Header=BB363_799 Depth=1
	v_bfrev_b32_e32 v116, 1
	s_mov_b32 s12, exec_lo
	v_cmpx_ne_u16_e32 0x80, v13
	s_cbranch_execz .LBB363_1432
; %bb.1427:                             ;   in Loop: Header=BB363_799 Depth=1
	v_and_b32_e32 v13, 0x7f, v12
	v_mov_b32_e32 v116, 0x7fc02000
	s_mov_b32 s13, exec_lo
	s_delay_alu instid0(VALU_DEP_2)
	v_cmpx_ne_u32_e32 0x7f, v13
	s_cbranch_execz .LBB363_1431
; %bb.1428:                             ;   in Loop: Header=BB363_799 Depth=1
	v_lshrrev_b32_e32 v116, 3, v13
	v_cmp_gt_u32_e64 s0, 8, v13
	v_dual_mov_b32 v14, v1 :: v_dual_mov_b32 v13, v0
	s_delay_alu instid0(VALU_DEP_2)
	s_and_saveexec_b32 s15, s0
; %bb.1429:                             ;   in Loop: Header=BB363_799 Depth=1
	v_and_b32_e32 v13, 7, v12
	s_delay_alu instid0(VALU_DEP_1) | instskip(NEXT) | instid1(VALU_DEP_1)
	v_clz_i32_u32_e32 v13, v13
	v_min_u32_e32 v116, 32, v13
	s_delay_alu instid0(VALU_DEP_1) | instskip(SKIP_1) | instid1(VALU_DEP_2)
	v_subrev_nc_u32_e32 v13, 28, v116
	v_sub_nc_u32_e32 v116, 29, v116
	v_lshlrev_b64 v[13:14], v13, v[0:1]
; %bb.1430:                             ;   in Loop: Header=BB363_799 Depth=1
	s_or_b32 exec_lo, exec_lo, s15
	v_lshlrev_b32_e32 v14, 8, v12
	s_delay_alu instid0(VALU_DEP_3) | instskip(NEXT) | instid1(VALU_DEP_3)
	v_lshl_add_u32 v116, v116, 10, 0x2000
	v_lshlrev_b32_e32 v13, 7, v13
	s_delay_alu instid0(VALU_DEP_2) | instskip(NEXT) | instid1(VALU_DEP_1)
	v_and_or_b32 v14, 0x8000, v14, v116
	v_and_or_b32 v13, 0x380, v13, v14
	s_delay_alu instid0(VALU_DEP_1)
	v_cvt_f32_f16_e32 v116, v13
.LBB363_1431:                           ;   in Loop: Header=BB363_799 Depth=1
	s_or_b32 exec_lo, exec_lo, s13
.LBB363_1432:                           ;   in Loop: Header=BB363_799 Depth=1
	s_delay_alu instid0(SALU_CYCLE_1)
	s_or_b32 exec_lo, exec_lo, s12
.LBB363_1433:                           ;   in Loop: Header=BB363_799 Depth=1
	s_delay_alu instid0(SALU_CYCLE_1) | instskip(SKIP_2) | instid1(VALU_DEP_1)
	s_or_b32 exec_lo, exec_lo, s10
	v_lshrrev_b16 v0, 8, v0
	s_mov_b32 s10, exec_lo
	v_cmpx_ne_u16_e32 0, v0
	s_cbranch_execz .LBB363_1441
; %bb.1434:                             ;   in Loop: Header=BB363_799 Depth=1
	v_bfrev_b32_e32 v117, 1
	s_mov_b32 s12, exec_lo
	v_cmpx_ne_u16_e32 0x80, v0
	s_cbranch_execz .LBB363_1440
; %bb.1435:                             ;   in Loop: Header=BB363_799 Depth=1
	v_and_b32_e32 v118, 0xffff, v0
	v_mov_b32_e32 v117, 0x7fc02000
	s_mov_b32 s13, exec_lo
	s_delay_alu instid0(VALU_DEP_2) | instskip(NEXT) | instid1(VALU_DEP_1)
	v_and_b32_e32 v13, 0x7f, v118
	v_cmpx_ne_u32_e32 0x7f, v13
	s_cbranch_execz .LBB363_1439
; %bb.1436:                             ;   in Loop: Header=BB363_799 Depth=1
	v_and_b32_e32 v0, 7, v118
	v_lshrrev_b32_e32 v117, 3, v13
	v_cmp_gt_u32_e64 s0, 8, v13
	s_delay_alu instid0(VALU_DEP_3) | instskip(NEXT) | instid1(VALU_DEP_2)
	v_dual_mov_b32 v14, v1 :: v_dual_mov_b32 v13, v0
	s_and_saveexec_b32 s15, s0
; %bb.1437:                             ;   in Loop: Header=BB363_799 Depth=1
	v_clz_i32_u32_e32 v13, v0
	s_delay_alu instid0(VALU_DEP_1) | instskip(NEXT) | instid1(VALU_DEP_1)
	v_min_u32_e32 v117, 32, v13
	v_subrev_nc_u32_e32 v13, 28, v117
	v_sub_nc_u32_e32 v117, 29, v117
	s_delay_alu instid0(VALU_DEP_2) | instskip(NEXT) | instid1(VALU_DEP_1)
	v_lshlrev_b64 v[13:14], v13, v[0:1]
	v_and_b32_e32 v13, 7, v13
; %bb.1438:                             ;   in Loop: Header=BB363_799 Depth=1
	s_or_b32 exec_lo, exec_lo, s15
	v_lshlrev_b32_e32 v0, 8, v118
	v_lshl_add_u32 v14, v117, 10, 0x2000
	s_delay_alu instid0(VALU_DEP_1) | instskip(NEXT) | instid1(VALU_DEP_1)
	v_and_or_b32 v0, 0x8000, v0, v14
	v_lshl_or_b32 v0, v13, 7, v0
	s_delay_alu instid0(VALU_DEP_1)
	v_cvt_f32_f16_e32 v117, v0
.LBB363_1439:                           ;   in Loop: Header=BB363_799 Depth=1
	s_or_b32 exec_lo, exec_lo, s13
.LBB363_1440:                           ;   in Loop: Header=BB363_799 Depth=1
	s_delay_alu instid0(SALU_CYCLE_1)
	s_or_b32 exec_lo, exec_lo, s12
.LBB363_1441:                           ;   in Loop: Header=BB363_799 Depth=1
	s_delay_alu instid0(SALU_CYCLE_1) | instskip(SKIP_3) | instid1(VALU_DEP_2)
	s_or_b32 exec_lo, exec_lo, s10
	v_lshrrev_b32_e32 v119, 16, v12
	v_mov_b32_e32 v118, 0
	s_mov_b32 s10, exec_lo
	v_dual_mov_b32 v13, 0 :: v_dual_and_b32 v0, 0xff, v119
	s_delay_alu instid0(VALU_DEP_1)
	v_cmpx_ne_u16_e32 0, v0
	s_cbranch_execz .LBB363_1449
; %bb.1442:                             ;   in Loop: Header=BB363_799 Depth=1
	v_bfrev_b32_e32 v13, 1
	s_mov_b32 s12, exec_lo
	v_cmpx_ne_u16_e32 0x80, v0
	s_cbranch_execz .LBB363_1448
; %bb.1443:                             ;   in Loop: Header=BB363_799 Depth=1
	v_bfe_u32 v14, v12, 16, 7
	v_mov_b32_e32 v13, 0x7fc02000
	s_mov_b32 s13, exec_lo
	s_delay_alu instid0(VALU_DEP_2)
	v_cmpx_ne_u32_e32 0x7f, v14
	s_cbranch_execz .LBB363_1447
; %bb.1444:                             ;   in Loop: Header=BB363_799 Depth=1
	v_and_b32_e32 v0, 7, v119
	v_lshrrev_b32_e32 v128, 3, v14
	v_cmp_gt_u32_e64 s0, 8, v14
	s_delay_alu instid0(VALU_DEP_3) | instskip(NEXT) | instid1(VALU_DEP_2)
	v_dual_mov_b32 v14, v1 :: v_dual_mov_b32 v13, v0
	s_and_saveexec_b32 s15, s0
; %bb.1445:                             ;   in Loop: Header=BB363_799 Depth=1
	v_clz_i32_u32_e32 v13, v0
	s_delay_alu instid0(VALU_DEP_1) | instskip(NEXT) | instid1(VALU_DEP_1)
	v_min_u32_e32 v128, 32, v13
	v_subrev_nc_u32_e32 v13, 28, v128
	v_sub_nc_u32_e32 v128, 29, v128
	s_delay_alu instid0(VALU_DEP_2) | instskip(NEXT) | instid1(VALU_DEP_1)
	v_lshlrev_b64 v[13:14], v13, v[0:1]
	v_and_b32_e32 v13, 7, v13
; %bb.1446:                             ;   in Loop: Header=BB363_799 Depth=1
	s_or_b32 exec_lo, exec_lo, s15
	v_lshlrev_b32_e32 v0, 8, v119
	v_lshl_add_u32 v14, v128, 10, 0x2000
	s_delay_alu instid0(VALU_DEP_1) | instskip(NEXT) | instid1(VALU_DEP_1)
	v_and_or_b32 v0, 0x8000, v0, v14
	v_lshl_or_b32 v0, v13, 7, v0
	s_delay_alu instid0(VALU_DEP_1)
	v_cvt_f32_f16_e32 v13, v0
.LBB363_1447:                           ;   in Loop: Header=BB363_799 Depth=1
	s_or_b32 exec_lo, exec_lo, s13
.LBB363_1448:                           ;   in Loop: Header=BB363_799 Depth=1
	s_delay_alu instid0(SALU_CYCLE_1)
	s_or_b32 exec_lo, exec_lo, s12
.LBB363_1449:                           ;   in Loop: Header=BB363_799 Depth=1
	s_delay_alu instid0(SALU_CYCLE_1) | instskip(NEXT) | instid1(SALU_CYCLE_1)
	s_or_b32 exec_lo, exec_lo, s10
	s_mov_b32 s10, exec_lo
	v_cmpx_lt_u64_e64 s[8:9], v[11:12]
	s_cbranch_execz .LBB363_1457
; %bb.1450:                             ;   in Loop: Header=BB363_799 Depth=1
	v_lshrrev_b32_e32 v14, 24, v12
	v_bfrev_b32_e32 v118, 1
	s_mov_b32 s12, exec_lo
	s_delay_alu instid0(VALU_DEP_2)
	v_cmpx_ne_u32_e32 0x80, v14
	s_cbranch_execz .LBB363_1456
; %bb.1451:                             ;   in Loop: Header=BB363_799 Depth=1
	v_and_b32_e32 v11, 0x7f, v14
	v_mov_b32_e32 v118, 0x7fc02000
	s_mov_b32 s13, exec_lo
	s_delay_alu instid0(VALU_DEP_2)
	v_cmpx_ne_u32_e32 0x7f, v11
	s_cbranch_execz .LBB363_1455
; %bb.1452:                             ;   in Loop: Header=BB363_799 Depth=1
	v_and_b32_e32 v0, 7, v14
	v_lshrrev_b32_e32 v118, 3, v11
	v_cmp_gt_u32_e64 s0, 8, v11
	s_delay_alu instid0(VALU_DEP_3) | instskip(NEXT) | instid1(VALU_DEP_2)
	v_dual_mov_b32 v12, v1 :: v_dual_mov_b32 v11, v0
	s_and_saveexec_b32 s15, s0
; %bb.1453:                             ;   in Loop: Header=BB363_799 Depth=1
	v_clz_i32_u32_e32 v11, v0
	s_delay_alu instid0(VALU_DEP_1) | instskip(NEXT) | instid1(VALU_DEP_1)
	v_min_u32_e32 v118, 32, v11
	v_subrev_nc_u32_e32 v11, 28, v118
	v_sub_nc_u32_e32 v118, 29, v118
	s_delay_alu instid0(VALU_DEP_2) | instskip(NEXT) | instid1(VALU_DEP_1)
	v_lshlrev_b64 v[11:12], v11, v[0:1]
	v_and_b32_e32 v11, 7, v11
; %bb.1454:                             ;   in Loop: Header=BB363_799 Depth=1
	s_or_b32 exec_lo, exec_lo, s15
	v_lshlrev_b32_e32 v0, 8, v14
	v_lshl_add_u32 v12, v118, 10, 0x2000
	s_delay_alu instid0(VALU_DEP_1) | instskip(NEXT) | instid1(VALU_DEP_1)
	v_and_or_b32 v0, 0x8000, v0, v12
	v_lshl_or_b32 v0, v11, 7, v0
	s_delay_alu instid0(VALU_DEP_1)
	v_cvt_f32_f16_e32 v118, v0
.LBB363_1455:                           ;   in Loop: Header=BB363_799 Depth=1
	s_or_b32 exec_lo, exec_lo, s13
.LBB363_1456:                           ;   in Loop: Header=BB363_799 Depth=1
	s_delay_alu instid0(SALU_CYCLE_1)
	s_or_b32 exec_lo, exec_lo, s12
.LBB363_1457:                           ;   in Loop: Header=BB363_799 Depth=1
	s_delay_alu instid0(SALU_CYCLE_1)
	s_or_b32 exec_lo, exec_lo, s10
	s_waitcnt vmcnt(0) lgkmcnt(0)
	v_fma_mixlo_f16 v12, v103, v113, 0
	v_fma_mixlo_f16 v0, v103, v115, 0
	v_fma_mixlo_f16 v11, v103, v114, 0
	v_fma_mixlo_f16 v112, v103, v112, 0
	v_fma_mixlo_f16 v113, v103, v117, 0
	v_lshlrev_b32_e32 v14, 16, v12
	v_fma_mixlo_f16 v114, v103, v116, 0
	v_fma_mixlo_f16 v115, v103, v118, 0
	;; [unrolled: 1-line block ×3, first 2 shown]
	v_lshlrev_b32_e32 v0, 16, v0
	v_and_b32_e32 v11, 0xffff, v11
	v_and_b32_e32 v103, 0xffff, v112
	v_lshlrev_b32_e32 v112, 16, v113
	v_and_b32_e32 v113, 0xffff, v114
	v_lshlrev_b32_e32 v114, 16, v115
	v_and_b32_e32 v115, 0xffff, v12
	v_or_b32_e32 v13, v0, v11
	v_or_b32_e32 v14, v14, v103
	;; [unrolled: 1-line block ×3, first 2 shown]
	s_delay_alu instid0(VALU_DEP_4)
	v_or_b32_e32 v11, v114, v115
	s_and_saveexec_b32 s10, vcc_lo
	s_cbranch_execz .LBB363_1459
; %bb.1458:                             ;   in Loop: Header=BB363_799 Depth=1
	v_cmp_lt_i32_e64 s0, v15, v35
	v_lshrrev_b32_e32 v103, 16, v14
	v_lshrrev_b32_e32 v112, 16, v13
	;; [unrolled: 1-line block ×4, first 2 shown]
	v_cndmask_b32_e64 v14, 0, v14, s0
	v_cmp_lt_i32_e64 s0, v64, v48
	s_delay_alu instid0(VALU_DEP_1) | instskip(SKIP_1) | instid1(VALU_DEP_2)
	v_cndmask_b32_e64 v103, 0, v103, s0
	v_cmp_lt_i32_e64 s0, v55, v48
	v_perm_b32 v14, v103, v14, 0x5040100
	s_delay_alu instid0(VALU_DEP_2) | instskip(SKIP_1) | instid1(VALU_DEP_1)
	v_cndmask_b32_e64 v112, 0, v112, s0
	v_cmp_lt_i32_e64 s0, v54, v35
	v_cndmask_b32_e64 v13, 0, v13, s0
	v_cmp_lt_i32_e64 s0, v53, v48
	s_delay_alu instid0(VALU_DEP_2) | instskip(NEXT) | instid1(VALU_DEP_2)
	v_perm_b32 v13, v112, v13, 0x5040100
	v_cndmask_b32_e64 v113, 0, v113, s0
	v_cmp_lt_i32_e64 s0, v52, v35
	s_delay_alu instid0(VALU_DEP_1) | instskip(SKIP_1) | instid1(VALU_DEP_2)
	v_cndmask_b32_e64 v0, 0, v0, s0
	v_cmp_lt_i32_e64 s0, v38, v48
	v_perm_b32 v0, v113, v0, 0x5040100
	s_delay_alu instid0(VALU_DEP_2) | instskip(SKIP_1) | instid1(VALU_DEP_1)
	v_cndmask_b32_e64 v11, 0, v11, s0
	v_cmp_lt_i32_e64 s0, v17, v35
	v_cndmask_b32_e64 v12, 0, v12, s0
	s_delay_alu instid0(VALU_DEP_1)
	v_perm_b32 v11, v11, v12, 0x5040100
.LBB363_1459:                           ;   in Loop: Header=BB363_799 Depth=1
	s_or_b32 exec_lo, exec_lo, s10
	;;#ASMSTART
	v_pk_mul_f16 v12, v70, v14;

	;;#ASMEND
	;;#ASMSTART
	v_pk_mul_f16 v13, v68, v13;

	;;#ASMEND
	;;#ASMSTART
	v_pk_mul_f16 v0, v66, v0;

	;;#ASMEND
	;;#ASMSTART
	v_pk_mul_f16 v11, v65, v11;

	;;#ASMEND
	;;#ASMSTART
	v_pk_add_f16 v12, v12, v13;

	;;#ASMEND
	;;#ASMSTART
	v_pk_add_f16 v0, v12, v0;

	;;#ASMEND
	;; [unrolled: 4-line block ×3, first 2 shown]
	v_dual_mov_b32 v114, 0 :: v_dual_and_b32 v11, 0xffff, v0
	v_lshrrev_b32_e32 v0, 16, v0
	;;#ASMSTART
	v_cvt_f32_f16 v103, v11;
	;;#ASMEND
	;;#ASMSTART
	v_cvt_f32_f16 v112, v0;
	;;#ASMEND
	flat_load_b64 v[11:12], v[9:10] offset:2560
	flat_load_b32 v113, v[26:27]
	s_mov_b32 s10, exec_lo
	s_waitcnt vmcnt(1) lgkmcnt(1)
	v_dual_mov_b32 v115, 0 :: v_dual_and_b32 v0, 0xff, v11
	s_delay_alu instid0(VALU_DEP_1)
	v_cmpx_ne_u16_e32 0, v0
	s_cbranch_execz .LBB363_1467
; %bb.1460:                             ;   in Loop: Header=BB363_799 Depth=1
	v_bfrev_b32_e32 v114, 1
	s_mov_b32 s12, exec_lo
	v_cmpx_ne_u16_e32 0x80, v0
	s_cbranch_execz .LBB363_1466
; %bb.1461:                             ;   in Loop: Header=BB363_799 Depth=1
	v_and_b32_e32 v13, 0x7f, v11
	v_mov_b32_e32 v114, 0x7fc02000
	s_mov_b32 s13, exec_lo
	s_delay_alu instid0(VALU_DEP_2)
	v_cmpx_ne_u32_e32 0x7f, v13
	s_cbranch_execz .LBB363_1465
; %bb.1462:                             ;   in Loop: Header=BB363_799 Depth=1
	v_lshrrev_b32_e32 v0, 3, v13
	v_cmp_gt_u32_e64 s0, 8, v13
	v_dual_mov_b32 v14, v12 :: v_dual_mov_b32 v13, v11
	s_delay_alu instid0(VALU_DEP_2)
	s_and_saveexec_b32 s15, s0
; %bb.1463:                             ;   in Loop: Header=BB363_799 Depth=1
	v_and_b32_e32 v0, 7, v11
	s_delay_alu instid0(VALU_DEP_1) | instskip(NEXT) | instid1(VALU_DEP_1)
	v_clz_i32_u32_e32 v0, v0
	v_min_u32_e32 v0, 32, v0
	s_delay_alu instid0(VALU_DEP_1) | instskip(SKIP_1) | instid1(VALU_DEP_2)
	v_subrev_nc_u32_e32 v13, 28, v0
	v_sub_nc_u32_e32 v0, 29, v0
	v_lshlrev_b64 v[13:14], v13, v[11:12]
; %bb.1464:                             ;   in Loop: Header=BB363_799 Depth=1
	s_or_b32 exec_lo, exec_lo, s15
	v_lshlrev_b32_e32 v14, 8, v11
	s_delay_alu instid0(VALU_DEP_3) | instskip(NEXT) | instid1(VALU_DEP_3)
	v_lshl_add_u32 v0, v0, 10, 0x2000
	v_lshlrev_b32_e32 v13, 7, v13
	s_delay_alu instid0(VALU_DEP_2) | instskip(NEXT) | instid1(VALU_DEP_1)
	v_and_or_b32 v0, 0x8000, v14, v0
	v_and_or_b32 v0, 0x380, v13, v0
	s_delay_alu instid0(VALU_DEP_1)
	v_cvt_f32_f16_e32 v114, v0
.LBB363_1465:                           ;   in Loop: Header=BB363_799 Depth=1
	s_or_b32 exec_lo, exec_lo, s13
.LBB363_1466:                           ;   in Loop: Header=BB363_799 Depth=1
	s_delay_alu instid0(SALU_CYCLE_1)
	s_or_b32 exec_lo, exec_lo, s12
.LBB363_1467:                           ;   in Loop: Header=BB363_799 Depth=1
	s_delay_alu instid0(SALU_CYCLE_1) | instskip(SKIP_2) | instid1(VALU_DEP_1)
	s_or_b32 exec_lo, exec_lo, s10
	v_lshrrev_b16 v0, 8, v11
	s_mov_b32 s10, exec_lo
	v_cmpx_ne_u16_e32 0, v0
	s_cbranch_execz .LBB363_1475
; %bb.1468:                             ;   in Loop: Header=BB363_799 Depth=1
	v_bfrev_b32_e32 v115, 1
	s_mov_b32 s12, exec_lo
	v_cmpx_ne_u16_e32 0x80, v0
	s_cbranch_execz .LBB363_1474
; %bb.1469:                             ;   in Loop: Header=BB363_799 Depth=1
	v_and_b32_e32 v116, 0xffff, v0
	v_mov_b32_e32 v115, 0x7fc02000
	s_mov_b32 s13, exec_lo
	s_delay_alu instid0(VALU_DEP_2) | instskip(NEXT) | instid1(VALU_DEP_1)
	v_and_b32_e32 v13, 0x7f, v116
	v_cmpx_ne_u32_e32 0x7f, v13
	s_cbranch_execz .LBB363_1473
; %bb.1470:                             ;   in Loop: Header=BB363_799 Depth=1
	v_and_b32_e32 v0, 7, v116
	v_lshrrev_b32_e32 v115, 3, v13
	v_cmp_gt_u32_e64 s0, 8, v13
	s_delay_alu instid0(VALU_DEP_3) | instskip(NEXT) | instid1(VALU_DEP_2)
	v_dual_mov_b32 v14, v1 :: v_dual_mov_b32 v13, v0
	s_and_saveexec_b32 s15, s0
; %bb.1471:                             ;   in Loop: Header=BB363_799 Depth=1
	v_clz_i32_u32_e32 v13, v0
	s_delay_alu instid0(VALU_DEP_1) | instskip(NEXT) | instid1(VALU_DEP_1)
	v_min_u32_e32 v115, 32, v13
	v_subrev_nc_u32_e32 v13, 28, v115
	v_sub_nc_u32_e32 v115, 29, v115
	s_delay_alu instid0(VALU_DEP_2) | instskip(NEXT) | instid1(VALU_DEP_1)
	v_lshlrev_b64 v[13:14], v13, v[0:1]
	v_and_b32_e32 v13, 7, v13
; %bb.1472:                             ;   in Loop: Header=BB363_799 Depth=1
	s_or_b32 exec_lo, exec_lo, s15
	v_lshlrev_b32_e32 v0, 8, v116
	v_lshl_add_u32 v14, v115, 10, 0x2000
	s_delay_alu instid0(VALU_DEP_1) | instskip(NEXT) | instid1(VALU_DEP_1)
	v_and_or_b32 v0, 0x8000, v0, v14
	v_lshl_or_b32 v0, v13, 7, v0
	s_delay_alu instid0(VALU_DEP_1)
	v_cvt_f32_f16_e32 v115, v0
.LBB363_1473:                           ;   in Loop: Header=BB363_799 Depth=1
	s_or_b32 exec_lo, exec_lo, s13
.LBB363_1474:                           ;   in Loop: Header=BB363_799 Depth=1
	s_delay_alu instid0(SALU_CYCLE_1)
	s_or_b32 exec_lo, exec_lo, s12
.LBB363_1475:                           ;   in Loop: Header=BB363_799 Depth=1
	s_delay_alu instid0(SALU_CYCLE_1) | instskip(SKIP_3) | instid1(VALU_DEP_2)
	s_or_b32 exec_lo, exec_lo, s10
	v_lshrrev_b32_e32 v118, 16, v11
	v_mov_b32_e32 v116, 0
	s_mov_b32 s10, exec_lo
	v_dual_mov_b32 v117, 0 :: v_dual_and_b32 v0, 0xff, v118
	s_delay_alu instid0(VALU_DEP_1)
	v_cmpx_ne_u16_e32 0, v0
	s_cbranch_execz .LBB363_1483
; %bb.1476:                             ;   in Loop: Header=BB363_799 Depth=1
	v_bfrev_b32_e32 v116, 1
	s_mov_b32 s12, exec_lo
	v_cmpx_ne_u16_e32 0x80, v0
	s_cbranch_execz .LBB363_1482
; %bb.1477:                             ;   in Loop: Header=BB363_799 Depth=1
	v_bfe_u32 v13, v11, 16, 7
	v_mov_b32_e32 v116, 0x7fc02000
	s_mov_b32 s13, exec_lo
	s_delay_alu instid0(VALU_DEP_2)
	v_cmpx_ne_u32_e32 0x7f, v13
	s_cbranch_execz .LBB363_1481
; %bb.1478:                             ;   in Loop: Header=BB363_799 Depth=1
	v_and_b32_e32 v0, 7, v118
	v_lshrrev_b32_e32 v116, 3, v13
	v_cmp_gt_u32_e64 s0, 8, v13
	s_delay_alu instid0(VALU_DEP_3) | instskip(NEXT) | instid1(VALU_DEP_2)
	v_dual_mov_b32 v14, v1 :: v_dual_mov_b32 v13, v0
	s_and_saveexec_b32 s15, s0
; %bb.1479:                             ;   in Loop: Header=BB363_799 Depth=1
	v_clz_i32_u32_e32 v13, v0
	s_delay_alu instid0(VALU_DEP_1) | instskip(NEXT) | instid1(VALU_DEP_1)
	v_min_u32_e32 v116, 32, v13
	v_subrev_nc_u32_e32 v13, 28, v116
	v_sub_nc_u32_e32 v116, 29, v116
	s_delay_alu instid0(VALU_DEP_2) | instskip(NEXT) | instid1(VALU_DEP_1)
	v_lshlrev_b64 v[13:14], v13, v[0:1]
	v_and_b32_e32 v13, 7, v13
; %bb.1480:                             ;   in Loop: Header=BB363_799 Depth=1
	s_or_b32 exec_lo, exec_lo, s15
	v_lshlrev_b32_e32 v0, 8, v118
	v_lshl_add_u32 v14, v116, 10, 0x2000
	s_delay_alu instid0(VALU_DEP_1) | instskip(NEXT) | instid1(VALU_DEP_1)
	v_and_or_b32 v0, 0x8000, v0, v14
	v_lshl_or_b32 v0, v13, 7, v0
	s_delay_alu instid0(VALU_DEP_1)
	v_cvt_f32_f16_e32 v116, v0
.LBB363_1481:                           ;   in Loop: Header=BB363_799 Depth=1
	s_or_b32 exec_lo, exec_lo, s13
.LBB363_1482:                           ;   in Loop: Header=BB363_799 Depth=1
	s_delay_alu instid0(SALU_CYCLE_1)
	s_or_b32 exec_lo, exec_lo, s12
.LBB363_1483:                           ;   in Loop: Header=BB363_799 Depth=1
	s_delay_alu instid0(SALU_CYCLE_1) | instskip(NEXT) | instid1(SALU_CYCLE_1)
	s_or_b32 exec_lo, exec_lo, s10
	s_mov_b32 s10, exec_lo
	v_cmpx_lt_u32_e32 0xffffff, v11
	s_cbranch_execz .LBB363_1491
; %bb.1484:                             ;   in Loop: Header=BB363_799 Depth=1
	v_lshrrev_b32_e32 v118, 24, v11
	v_bfrev_b32_e32 v117, 1
	s_mov_b32 s12, exec_lo
	s_delay_alu instid0(VALU_DEP_2)
	v_cmpx_ne_u32_e32 0x80, v118
	s_cbranch_execz .LBB363_1490
; %bb.1485:                             ;   in Loop: Header=BB363_799 Depth=1
	v_and_b32_e32 v13, 0x7f, v118
	v_mov_b32_e32 v117, 0x7fc02000
	s_mov_b32 s13, exec_lo
	s_delay_alu instid0(VALU_DEP_2)
	v_cmpx_ne_u32_e32 0x7f, v13
	s_cbranch_execz .LBB363_1489
; %bb.1486:                             ;   in Loop: Header=BB363_799 Depth=1
	v_and_b32_e32 v0, 7, v118
	v_lshrrev_b32_e32 v117, 3, v13
	v_cmp_gt_u32_e64 s0, 8, v13
	s_delay_alu instid0(VALU_DEP_3) | instskip(NEXT) | instid1(VALU_DEP_2)
	v_dual_mov_b32 v14, v1 :: v_dual_mov_b32 v13, v0
	s_and_saveexec_b32 s15, s0
; %bb.1487:                             ;   in Loop: Header=BB363_799 Depth=1
	v_clz_i32_u32_e32 v13, v0
	s_delay_alu instid0(VALU_DEP_1) | instskip(NEXT) | instid1(VALU_DEP_1)
	v_min_u32_e32 v117, 32, v13
	v_subrev_nc_u32_e32 v13, 28, v117
	v_sub_nc_u32_e32 v117, 29, v117
	s_delay_alu instid0(VALU_DEP_2) | instskip(NEXT) | instid1(VALU_DEP_1)
	v_lshlrev_b64 v[13:14], v13, v[0:1]
	v_and_b32_e32 v13, 7, v13
; %bb.1488:                             ;   in Loop: Header=BB363_799 Depth=1
	s_or_b32 exec_lo, exec_lo, s15
	v_lshlrev_b32_e32 v0, 8, v118
	v_lshl_add_u32 v14, v117, 10, 0x2000
	s_delay_alu instid0(VALU_DEP_1) | instskip(NEXT) | instid1(VALU_DEP_1)
	v_and_or_b32 v0, 0x8000, v0, v14
	v_lshl_or_b32 v0, v13, 7, v0
	s_delay_alu instid0(VALU_DEP_1)
	v_cvt_f32_f16_e32 v117, v0
.LBB363_1489:                           ;   in Loop: Header=BB363_799 Depth=1
	s_or_b32 exec_lo, exec_lo, s13
.LBB363_1490:                           ;   in Loop: Header=BB363_799 Depth=1
	s_delay_alu instid0(SALU_CYCLE_1)
	s_or_b32 exec_lo, exec_lo, s12
.LBB363_1491:                           ;   in Loop: Header=BB363_799 Depth=1
	s_delay_alu instid0(SALU_CYCLE_1) | instskip(SKIP_3) | instid1(VALU_DEP_2)
	s_or_b32 exec_lo, exec_lo, s10
	v_dual_mov_b32 v0, v12 :: v_dual_and_b32 v13, 0xff, v12
	v_dual_mov_b32 v119, 0 :: v_dual_mov_b32 v118, 0
	s_mov_b32 s10, exec_lo
	v_cmpx_ne_u16_e32 0, v13
	s_cbranch_execz .LBB363_1499
; %bb.1492:                             ;   in Loop: Header=BB363_799 Depth=1
	v_bfrev_b32_e32 v118, 1
	s_mov_b32 s12, exec_lo
	v_cmpx_ne_u16_e32 0x80, v13
	s_cbranch_execz .LBB363_1498
; %bb.1493:                             ;   in Loop: Header=BB363_799 Depth=1
	v_and_b32_e32 v13, 0x7f, v12
	v_mov_b32_e32 v118, 0x7fc02000
	s_mov_b32 s13, exec_lo
	s_delay_alu instid0(VALU_DEP_2)
	v_cmpx_ne_u32_e32 0x7f, v13
	s_cbranch_execz .LBB363_1497
; %bb.1494:                             ;   in Loop: Header=BB363_799 Depth=1
	v_lshrrev_b32_e32 v118, 3, v13
	v_cmp_gt_u32_e64 s0, 8, v13
	v_dual_mov_b32 v14, v1 :: v_dual_mov_b32 v13, v0
	s_delay_alu instid0(VALU_DEP_2)
	s_and_saveexec_b32 s15, s0
; %bb.1495:                             ;   in Loop: Header=BB363_799 Depth=1
	v_and_b32_e32 v13, 7, v12
	s_delay_alu instid0(VALU_DEP_1) | instskip(NEXT) | instid1(VALU_DEP_1)
	v_clz_i32_u32_e32 v13, v13
	v_min_u32_e32 v118, 32, v13
	s_delay_alu instid0(VALU_DEP_1) | instskip(SKIP_1) | instid1(VALU_DEP_2)
	v_subrev_nc_u32_e32 v13, 28, v118
	v_sub_nc_u32_e32 v118, 29, v118
	v_lshlrev_b64 v[13:14], v13, v[0:1]
; %bb.1496:                             ;   in Loop: Header=BB363_799 Depth=1
	s_or_b32 exec_lo, exec_lo, s15
	v_lshlrev_b32_e32 v14, 8, v12
	s_delay_alu instid0(VALU_DEP_3) | instskip(NEXT) | instid1(VALU_DEP_3)
	v_lshl_add_u32 v118, v118, 10, 0x2000
	v_lshlrev_b32_e32 v13, 7, v13
	s_delay_alu instid0(VALU_DEP_2) | instskip(NEXT) | instid1(VALU_DEP_1)
	v_and_or_b32 v14, 0x8000, v14, v118
	v_and_or_b32 v13, 0x380, v13, v14
	s_delay_alu instid0(VALU_DEP_1)
	v_cvt_f32_f16_e32 v118, v13
.LBB363_1497:                           ;   in Loop: Header=BB363_799 Depth=1
	s_or_b32 exec_lo, exec_lo, s13
.LBB363_1498:                           ;   in Loop: Header=BB363_799 Depth=1
	s_delay_alu instid0(SALU_CYCLE_1)
	s_or_b32 exec_lo, exec_lo, s12
.LBB363_1499:                           ;   in Loop: Header=BB363_799 Depth=1
	s_delay_alu instid0(SALU_CYCLE_1) | instskip(SKIP_2) | instid1(VALU_DEP_1)
	s_or_b32 exec_lo, exec_lo, s10
	v_lshrrev_b16 v0, 8, v0
	s_mov_b32 s10, exec_lo
	v_cmpx_ne_u16_e32 0, v0
	s_cbranch_execz .LBB363_1507
; %bb.1500:                             ;   in Loop: Header=BB363_799 Depth=1
	v_bfrev_b32_e32 v119, 1
	s_mov_b32 s12, exec_lo
	v_cmpx_ne_u16_e32 0x80, v0
	s_cbranch_execz .LBB363_1506
; %bb.1501:                             ;   in Loop: Header=BB363_799 Depth=1
	v_and_b32_e32 v128, 0xffff, v0
	v_mov_b32_e32 v119, 0x7fc02000
	s_mov_b32 s13, exec_lo
	s_delay_alu instid0(VALU_DEP_2) | instskip(NEXT) | instid1(VALU_DEP_1)
	v_and_b32_e32 v13, 0x7f, v128
	v_cmpx_ne_u32_e32 0x7f, v13
	s_cbranch_execz .LBB363_1505
; %bb.1502:                             ;   in Loop: Header=BB363_799 Depth=1
	v_and_b32_e32 v0, 7, v128
	v_lshrrev_b32_e32 v119, 3, v13
	v_cmp_gt_u32_e64 s0, 8, v13
	s_delay_alu instid0(VALU_DEP_3) | instskip(NEXT) | instid1(VALU_DEP_2)
	v_dual_mov_b32 v14, v1 :: v_dual_mov_b32 v13, v0
	s_and_saveexec_b32 s15, s0
; %bb.1503:                             ;   in Loop: Header=BB363_799 Depth=1
	v_clz_i32_u32_e32 v13, v0
	s_delay_alu instid0(VALU_DEP_1) | instskip(NEXT) | instid1(VALU_DEP_1)
	v_min_u32_e32 v119, 32, v13
	v_subrev_nc_u32_e32 v13, 28, v119
	v_sub_nc_u32_e32 v119, 29, v119
	s_delay_alu instid0(VALU_DEP_2) | instskip(NEXT) | instid1(VALU_DEP_1)
	v_lshlrev_b64 v[13:14], v13, v[0:1]
	v_and_b32_e32 v13, 7, v13
; %bb.1504:                             ;   in Loop: Header=BB363_799 Depth=1
	s_or_b32 exec_lo, exec_lo, s15
	v_lshlrev_b32_e32 v0, 8, v128
	v_lshl_add_u32 v14, v119, 10, 0x2000
	s_delay_alu instid0(VALU_DEP_1) | instskip(NEXT) | instid1(VALU_DEP_1)
	v_and_or_b32 v0, 0x8000, v0, v14
	v_lshl_or_b32 v0, v13, 7, v0
	s_delay_alu instid0(VALU_DEP_1)
	v_cvt_f32_f16_e32 v119, v0
.LBB363_1505:                           ;   in Loop: Header=BB363_799 Depth=1
	s_or_b32 exec_lo, exec_lo, s13
.LBB363_1506:                           ;   in Loop: Header=BB363_799 Depth=1
	s_delay_alu instid0(SALU_CYCLE_1)
	s_or_b32 exec_lo, exec_lo, s12
.LBB363_1507:                           ;   in Loop: Header=BB363_799 Depth=1
	s_delay_alu instid0(SALU_CYCLE_1) | instskip(SKIP_3) | instid1(VALU_DEP_2)
	s_or_b32 exec_lo, exec_lo, s10
	v_lshrrev_b32_e32 v129, 16, v12
	v_mov_b32_e32 v128, 0
	s_mov_b32 s10, exec_lo
	v_dual_mov_b32 v13, 0 :: v_dual_and_b32 v0, 0xff, v129
	s_delay_alu instid0(VALU_DEP_1)
	v_cmpx_ne_u16_e32 0, v0
	s_cbranch_execz .LBB363_1515
; %bb.1508:                             ;   in Loop: Header=BB363_799 Depth=1
	v_bfrev_b32_e32 v13, 1
	s_mov_b32 s12, exec_lo
	v_cmpx_ne_u16_e32 0x80, v0
	s_cbranch_execz .LBB363_1514
; %bb.1509:                             ;   in Loop: Header=BB363_799 Depth=1
	v_bfe_u32 v14, v12, 16, 7
	v_mov_b32_e32 v13, 0x7fc02000
	s_mov_b32 s13, exec_lo
	s_delay_alu instid0(VALU_DEP_2)
	v_cmpx_ne_u32_e32 0x7f, v14
	s_cbranch_execz .LBB363_1513
; %bb.1510:                             ;   in Loop: Header=BB363_799 Depth=1
	v_and_b32_e32 v0, 7, v129
	v_lshrrev_b32_e32 v130, 3, v14
	v_cmp_gt_u32_e64 s0, 8, v14
	s_delay_alu instid0(VALU_DEP_3) | instskip(NEXT) | instid1(VALU_DEP_2)
	v_dual_mov_b32 v14, v1 :: v_dual_mov_b32 v13, v0
	s_and_saveexec_b32 s15, s0
; %bb.1511:                             ;   in Loop: Header=BB363_799 Depth=1
	v_clz_i32_u32_e32 v13, v0
	s_delay_alu instid0(VALU_DEP_1) | instskip(NEXT) | instid1(VALU_DEP_1)
	v_min_u32_e32 v130, 32, v13
	v_subrev_nc_u32_e32 v13, 28, v130
	v_sub_nc_u32_e32 v130, 29, v130
	s_delay_alu instid0(VALU_DEP_2) | instskip(NEXT) | instid1(VALU_DEP_1)
	v_lshlrev_b64 v[13:14], v13, v[0:1]
	v_and_b32_e32 v13, 7, v13
; %bb.1512:                             ;   in Loop: Header=BB363_799 Depth=1
	s_or_b32 exec_lo, exec_lo, s15
	v_lshlrev_b32_e32 v0, 8, v129
	v_lshl_add_u32 v14, v130, 10, 0x2000
	s_delay_alu instid0(VALU_DEP_1) | instskip(NEXT) | instid1(VALU_DEP_1)
	v_and_or_b32 v0, 0x8000, v0, v14
	v_lshl_or_b32 v0, v13, 7, v0
	s_delay_alu instid0(VALU_DEP_1)
	v_cvt_f32_f16_e32 v13, v0
.LBB363_1513:                           ;   in Loop: Header=BB363_799 Depth=1
	s_or_b32 exec_lo, exec_lo, s13
.LBB363_1514:                           ;   in Loop: Header=BB363_799 Depth=1
	s_delay_alu instid0(SALU_CYCLE_1)
	s_or_b32 exec_lo, exec_lo, s12
.LBB363_1515:                           ;   in Loop: Header=BB363_799 Depth=1
	s_delay_alu instid0(SALU_CYCLE_1) | instskip(NEXT) | instid1(SALU_CYCLE_1)
	s_or_b32 exec_lo, exec_lo, s10
	s_mov_b32 s10, exec_lo
	v_cmpx_lt_u64_e64 s[8:9], v[11:12]
	s_cbranch_execz .LBB363_1523
; %bb.1516:                             ;   in Loop: Header=BB363_799 Depth=1
	v_lshrrev_b32_e32 v14, 24, v12
	v_bfrev_b32_e32 v128, 1
	s_mov_b32 s12, exec_lo
	s_delay_alu instid0(VALU_DEP_2)
	v_cmpx_ne_u32_e32 0x80, v14
	s_cbranch_execz .LBB363_1522
; %bb.1517:                             ;   in Loop: Header=BB363_799 Depth=1
	v_and_b32_e32 v11, 0x7f, v14
	v_mov_b32_e32 v128, 0x7fc02000
	s_mov_b32 s13, exec_lo
	s_delay_alu instid0(VALU_DEP_2)
	v_cmpx_ne_u32_e32 0x7f, v11
	s_cbranch_execz .LBB363_1521
; %bb.1518:                             ;   in Loop: Header=BB363_799 Depth=1
	v_and_b32_e32 v0, 7, v14
	v_lshrrev_b32_e32 v128, 3, v11
	v_cmp_gt_u32_e64 s0, 8, v11
	s_delay_alu instid0(VALU_DEP_3) | instskip(NEXT) | instid1(VALU_DEP_2)
	v_dual_mov_b32 v12, v1 :: v_dual_mov_b32 v11, v0
	s_and_saveexec_b32 s15, s0
; %bb.1519:                             ;   in Loop: Header=BB363_799 Depth=1
	v_clz_i32_u32_e32 v11, v0
	s_delay_alu instid0(VALU_DEP_1) | instskip(NEXT) | instid1(VALU_DEP_1)
	v_min_u32_e32 v128, 32, v11
	v_subrev_nc_u32_e32 v11, 28, v128
	v_sub_nc_u32_e32 v128, 29, v128
	s_delay_alu instid0(VALU_DEP_2) | instskip(NEXT) | instid1(VALU_DEP_1)
	v_lshlrev_b64 v[11:12], v11, v[0:1]
	v_and_b32_e32 v11, 7, v11
; %bb.1520:                             ;   in Loop: Header=BB363_799 Depth=1
	s_or_b32 exec_lo, exec_lo, s15
	v_lshlrev_b32_e32 v0, 8, v14
	v_lshl_add_u32 v12, v128, 10, 0x2000
	s_delay_alu instid0(VALU_DEP_1) | instskip(NEXT) | instid1(VALU_DEP_1)
	v_and_or_b32 v0, 0x8000, v0, v12
	v_lshl_or_b32 v0, v11, 7, v0
	s_delay_alu instid0(VALU_DEP_1)
	v_cvt_f32_f16_e64 v128, v0
.LBB363_1521:                           ;   in Loop: Header=BB363_799 Depth=1
	s_or_b32 exec_lo, exec_lo, s13
.LBB363_1522:                           ;   in Loop: Header=BB363_799 Depth=1
	s_delay_alu instid0(SALU_CYCLE_1)
	s_or_b32 exec_lo, exec_lo, s12
.LBB363_1523:                           ;   in Loop: Header=BB363_799 Depth=1
	s_delay_alu instid0(SALU_CYCLE_1)
	s_or_b32 exec_lo, exec_lo, s10
	s_waitcnt vmcnt(0) lgkmcnt(0)
	v_fma_mixlo_f16 v12, v113, v115, 0
	v_fma_mixlo_f16 v0, v113, v117, 0
	v_fma_mixlo_f16 v11, v113, v116, 0
	v_fma_mixlo_f16 v114, v113, v114, 0
	v_fma_mixlo_f16 v115, v113, v119, 0
	v_lshlrev_b32_e32 v14, 16, v12
	v_fma_mixlo_f16 v116, v113, v118, 0
	v_fma_mixlo_f16 v117, v113, v128, 0
	;; [unrolled: 1-line block ×3, first 2 shown]
	v_lshlrev_b32_e32 v0, 16, v0
	v_and_b32_e32 v11, 0xffff, v11
	v_and_b32_e32 v113, 0xffff, v114
	v_lshlrev_b32_e32 v114, 16, v115
	v_and_b32_e32 v115, 0xffff, v116
	v_lshlrev_b32_e32 v116, 16, v117
	v_and_b32_e32 v117, 0xffff, v12
	v_or_b32_e32 v13, v0, v11
	v_or_b32_e32 v14, v14, v113
	;; [unrolled: 1-line block ×3, first 2 shown]
	s_delay_alu instid0(VALU_DEP_4)
	v_or_b32_e32 v11, v116, v117
	s_and_saveexec_b32 s10, vcc_lo
	s_cbranch_execz .LBB363_1525
; %bb.1524:                             ;   in Loop: Header=BB363_799 Depth=1
	v_cmp_lt_i32_e64 s0, v15, v35
	v_lshrrev_b32_e32 v113, 16, v14
	v_lshrrev_b32_e32 v114, 16, v13
	;; [unrolled: 1-line block ×4, first 2 shown]
	v_cndmask_b32_e64 v14, 0, v14, s0
	v_cmp_lt_i32_e64 s0, v64, v48
	s_delay_alu instid0(VALU_DEP_1) | instskip(SKIP_1) | instid1(VALU_DEP_2)
	v_cndmask_b32_e64 v113, 0, v113, s0
	v_cmp_lt_i32_e64 s0, v55, v48
	v_perm_b32 v14, v113, v14, 0x5040100
	s_delay_alu instid0(VALU_DEP_2) | instskip(SKIP_1) | instid1(VALU_DEP_1)
	v_cndmask_b32_e64 v114, 0, v114, s0
	v_cmp_lt_i32_e64 s0, v54, v35
	v_cndmask_b32_e64 v13, 0, v13, s0
	v_cmp_lt_i32_e64 s0, v53, v48
	s_delay_alu instid0(VALU_DEP_2) | instskip(NEXT) | instid1(VALU_DEP_2)
	v_perm_b32 v13, v114, v13, 0x5040100
	v_cndmask_b32_e64 v115, 0, v115, s0
	v_cmp_lt_i32_e64 s0, v52, v35
	s_delay_alu instid0(VALU_DEP_1) | instskip(SKIP_1) | instid1(VALU_DEP_2)
	v_cndmask_b32_e64 v0, 0, v0, s0
	v_cmp_lt_i32_e64 s0, v38, v48
	v_perm_b32 v0, v115, v0, 0x5040100
	s_delay_alu instid0(VALU_DEP_2) | instskip(SKIP_1) | instid1(VALU_DEP_1)
	v_cndmask_b32_e64 v11, 0, v11, s0
	v_cmp_lt_i32_e64 s0, v17, v35
	v_cndmask_b32_e64 v12, 0, v12, s0
	s_delay_alu instid0(VALU_DEP_1)
	v_perm_b32 v11, v11, v12, 0x5040100
.LBB363_1525:                           ;   in Loop: Header=BB363_799 Depth=1
	s_or_b32 exec_lo, exec_lo, s10
	;;#ASMSTART
	v_pk_mul_f16 v12, v70, v14;

	;;#ASMEND
	;;#ASMSTART
	v_pk_mul_f16 v13, v68, v13;

	;;#ASMEND
	;; [unrolled: 4-line block ×4, first 2 shown]
	;;#ASMSTART
	v_pk_add_f16 v12, v12, v13;

	;;#ASMEND
	;;#ASMSTART
	v_pk_add_f16 v0, v12, v0;

	;;#ASMEND
	;; [unrolled: 4-line block ×3, first 2 shown]
	v_dual_mov_b32 v114, 0 :: v_dual_and_b32 v11, 0xffff, v0
	v_lshrrev_b32_e32 v0, 16, v0
	;;#ASMSTART
	v_cvt_f32_f16 v13, v11;
	;;#ASMEND
	;;#ASMSTART
	v_cvt_f32_f16 v14, v0;
	;;#ASMEND
	flat_load_b64 v[9:10], v[9:10] offset:2816
	flat_load_b32 v113, v[26:27]
	s_mov_b32 s10, exec_lo
	s_waitcnt vmcnt(1) lgkmcnt(1)
	v_dual_mov_b32 v115, 0 :: v_dual_and_b32 v0, 0xff, v9
	s_delay_alu instid0(VALU_DEP_1)
	v_cmpx_ne_u16_e32 0, v0
	s_cbranch_execz .LBB363_1533
; %bb.1526:                             ;   in Loop: Header=BB363_799 Depth=1
	v_bfrev_b32_e32 v114, 1
	s_mov_b32 s12, exec_lo
	v_cmpx_ne_u16_e32 0x80, v0
	s_cbranch_execz .LBB363_1532
; %bb.1527:                             ;   in Loop: Header=BB363_799 Depth=1
	v_and_b32_e32 v11, 0x7f, v9
	v_mov_b32_e32 v114, 0x7fc02000
	s_mov_b32 s13, exec_lo
	s_delay_alu instid0(VALU_DEP_2)
	v_cmpx_ne_u32_e32 0x7f, v11
	s_cbranch_execz .LBB363_1531
; %bb.1528:                             ;   in Loop: Header=BB363_799 Depth=1
	v_lshrrev_b32_e32 v0, 3, v11
	v_cmp_gt_u32_e64 s0, 8, v11
	v_dual_mov_b32 v12, v10 :: v_dual_mov_b32 v11, v9
	s_delay_alu instid0(VALU_DEP_2)
	s_and_saveexec_b32 s15, s0
; %bb.1529:                             ;   in Loop: Header=BB363_799 Depth=1
	v_and_b32_e32 v0, 7, v9
	s_delay_alu instid0(VALU_DEP_1) | instskip(NEXT) | instid1(VALU_DEP_1)
	v_clz_i32_u32_e32 v0, v0
	v_min_u32_e32 v0, 32, v0
	s_delay_alu instid0(VALU_DEP_1) | instskip(SKIP_1) | instid1(VALU_DEP_2)
	v_subrev_nc_u32_e32 v11, 28, v0
	v_sub_nc_u32_e32 v0, 29, v0
	v_lshlrev_b64 v[11:12], v11, v[9:10]
; %bb.1530:                             ;   in Loop: Header=BB363_799 Depth=1
	s_or_b32 exec_lo, exec_lo, s15
	v_lshlrev_b32_e32 v12, 8, v9
	s_delay_alu instid0(VALU_DEP_3) | instskip(NEXT) | instid1(VALU_DEP_3)
	v_lshl_add_u32 v0, v0, 10, 0x2000
	v_lshlrev_b32_e32 v11, 7, v11
	s_delay_alu instid0(VALU_DEP_2) | instskip(NEXT) | instid1(VALU_DEP_1)
	v_and_or_b32 v0, 0x8000, v12, v0
	v_and_or_b32 v0, 0x380, v11, v0
	s_delay_alu instid0(VALU_DEP_1)
	v_cvt_f32_f16_e32 v114, v0
.LBB363_1531:                           ;   in Loop: Header=BB363_799 Depth=1
	s_or_b32 exec_lo, exec_lo, s13
.LBB363_1532:                           ;   in Loop: Header=BB363_799 Depth=1
	s_delay_alu instid0(SALU_CYCLE_1)
	s_or_b32 exec_lo, exec_lo, s12
.LBB363_1533:                           ;   in Loop: Header=BB363_799 Depth=1
	s_delay_alu instid0(SALU_CYCLE_1) | instskip(SKIP_2) | instid1(VALU_DEP_1)
	s_or_b32 exec_lo, exec_lo, s10
	v_lshrrev_b16 v0, 8, v9
	s_mov_b32 s10, exec_lo
	v_cmpx_ne_u16_e32 0, v0
	s_cbranch_execz .LBB363_1541
; %bb.1534:                             ;   in Loop: Header=BB363_799 Depth=1
	v_bfrev_b32_e32 v115, 1
	s_mov_b32 s12, exec_lo
	v_cmpx_ne_u16_e32 0x80, v0
	s_cbranch_execz .LBB363_1540
; %bb.1535:                             ;   in Loop: Header=BB363_799 Depth=1
	v_and_b32_e32 v116, 0xffff, v0
	v_mov_b32_e32 v115, 0x7fc02000
	s_mov_b32 s13, exec_lo
	s_delay_alu instid0(VALU_DEP_2) | instskip(NEXT) | instid1(VALU_DEP_1)
	v_and_b32_e32 v11, 0x7f, v116
	v_cmpx_ne_u32_e32 0x7f, v11
	s_cbranch_execz .LBB363_1539
; %bb.1536:                             ;   in Loop: Header=BB363_799 Depth=1
	v_and_b32_e32 v0, 7, v116
	v_lshrrev_b32_e32 v115, 3, v11
	v_cmp_gt_u32_e64 s0, 8, v11
	s_delay_alu instid0(VALU_DEP_3) | instskip(NEXT) | instid1(VALU_DEP_2)
	v_dual_mov_b32 v12, v1 :: v_dual_mov_b32 v11, v0
	s_and_saveexec_b32 s15, s0
; %bb.1537:                             ;   in Loop: Header=BB363_799 Depth=1
	v_clz_i32_u32_e32 v11, v0
	s_delay_alu instid0(VALU_DEP_1) | instskip(NEXT) | instid1(VALU_DEP_1)
	v_min_u32_e32 v115, 32, v11
	v_subrev_nc_u32_e32 v11, 28, v115
	v_sub_nc_u32_e32 v115, 29, v115
	s_delay_alu instid0(VALU_DEP_2) | instskip(NEXT) | instid1(VALU_DEP_1)
	v_lshlrev_b64 v[11:12], v11, v[0:1]
	v_and_b32_e32 v11, 7, v11
; %bb.1538:                             ;   in Loop: Header=BB363_799 Depth=1
	s_or_b32 exec_lo, exec_lo, s15
	v_lshlrev_b32_e32 v0, 8, v116
	v_lshl_add_u32 v12, v115, 10, 0x2000
	s_delay_alu instid0(VALU_DEP_1) | instskip(NEXT) | instid1(VALU_DEP_1)
	v_and_or_b32 v0, 0x8000, v0, v12
	v_lshl_or_b32 v0, v11, 7, v0
	s_delay_alu instid0(VALU_DEP_1)
	v_cvt_f32_f16_e32 v115, v0
.LBB363_1539:                           ;   in Loop: Header=BB363_799 Depth=1
	s_or_b32 exec_lo, exec_lo, s13
.LBB363_1540:                           ;   in Loop: Header=BB363_799 Depth=1
	s_delay_alu instid0(SALU_CYCLE_1)
	s_or_b32 exec_lo, exec_lo, s12
.LBB363_1541:                           ;   in Loop: Header=BB363_799 Depth=1
	s_delay_alu instid0(SALU_CYCLE_1) | instskip(SKIP_3) | instid1(VALU_DEP_2)
	s_or_b32 exec_lo, exec_lo, s10
	v_lshrrev_b32_e32 v118, 16, v9
	v_mov_b32_e32 v116, 0
	s_mov_b32 s10, exec_lo
	v_dual_mov_b32 v117, 0 :: v_dual_and_b32 v0, 0xff, v118
	s_delay_alu instid0(VALU_DEP_1)
	v_cmpx_ne_u16_e32 0, v0
	s_cbranch_execz .LBB363_1549
; %bb.1542:                             ;   in Loop: Header=BB363_799 Depth=1
	v_bfrev_b32_e32 v116, 1
	s_mov_b32 s12, exec_lo
	v_cmpx_ne_u16_e32 0x80, v0
	s_cbranch_execz .LBB363_1548
; %bb.1543:                             ;   in Loop: Header=BB363_799 Depth=1
	v_bfe_u32 v11, v9, 16, 7
	v_mov_b32_e32 v116, 0x7fc02000
	s_mov_b32 s13, exec_lo
	s_delay_alu instid0(VALU_DEP_2)
	v_cmpx_ne_u32_e32 0x7f, v11
	s_cbranch_execz .LBB363_1547
; %bb.1544:                             ;   in Loop: Header=BB363_799 Depth=1
	v_and_b32_e32 v0, 7, v118
	v_lshrrev_b32_e32 v116, 3, v11
	v_cmp_gt_u32_e64 s0, 8, v11
	s_delay_alu instid0(VALU_DEP_3) | instskip(NEXT) | instid1(VALU_DEP_2)
	v_dual_mov_b32 v12, v1 :: v_dual_mov_b32 v11, v0
	s_and_saveexec_b32 s15, s0
; %bb.1545:                             ;   in Loop: Header=BB363_799 Depth=1
	v_clz_i32_u32_e32 v11, v0
	s_delay_alu instid0(VALU_DEP_1) | instskip(NEXT) | instid1(VALU_DEP_1)
	v_min_u32_e32 v116, 32, v11
	v_subrev_nc_u32_e32 v11, 28, v116
	v_sub_nc_u32_e32 v116, 29, v116
	s_delay_alu instid0(VALU_DEP_2) | instskip(NEXT) | instid1(VALU_DEP_1)
	v_lshlrev_b64 v[11:12], v11, v[0:1]
	v_and_b32_e32 v11, 7, v11
; %bb.1546:                             ;   in Loop: Header=BB363_799 Depth=1
	s_or_b32 exec_lo, exec_lo, s15
	v_lshlrev_b32_e32 v0, 8, v118
	v_lshl_add_u32 v12, v116, 10, 0x2000
	s_delay_alu instid0(VALU_DEP_1) | instskip(NEXT) | instid1(VALU_DEP_1)
	v_and_or_b32 v0, 0x8000, v0, v12
	v_lshl_or_b32 v0, v11, 7, v0
	s_delay_alu instid0(VALU_DEP_1)
	v_cvt_f32_f16_e32 v116, v0
.LBB363_1547:                           ;   in Loop: Header=BB363_799 Depth=1
	s_or_b32 exec_lo, exec_lo, s13
.LBB363_1548:                           ;   in Loop: Header=BB363_799 Depth=1
	s_delay_alu instid0(SALU_CYCLE_1)
	s_or_b32 exec_lo, exec_lo, s12
.LBB363_1549:                           ;   in Loop: Header=BB363_799 Depth=1
	s_delay_alu instid0(SALU_CYCLE_1) | instskip(NEXT) | instid1(SALU_CYCLE_1)
	s_or_b32 exec_lo, exec_lo, s10
	s_mov_b32 s10, exec_lo
	v_cmpx_lt_u32_e32 0xffffff, v9
	s_cbranch_execz .LBB363_1557
; %bb.1550:                             ;   in Loop: Header=BB363_799 Depth=1
	v_lshrrev_b32_e32 v118, 24, v9
	v_bfrev_b32_e32 v117, 1
	s_mov_b32 s12, exec_lo
	s_delay_alu instid0(VALU_DEP_2)
	v_cmpx_ne_u32_e32 0x80, v118
	s_cbranch_execz .LBB363_1556
; %bb.1551:                             ;   in Loop: Header=BB363_799 Depth=1
	v_and_b32_e32 v11, 0x7f, v118
	v_mov_b32_e32 v117, 0x7fc02000
	s_mov_b32 s13, exec_lo
	s_delay_alu instid0(VALU_DEP_2)
	v_cmpx_ne_u32_e32 0x7f, v11
	s_cbranch_execz .LBB363_1555
; %bb.1552:                             ;   in Loop: Header=BB363_799 Depth=1
	v_and_b32_e32 v0, 7, v118
	v_lshrrev_b32_e32 v117, 3, v11
	v_cmp_gt_u32_e64 s0, 8, v11
	s_delay_alu instid0(VALU_DEP_3) | instskip(NEXT) | instid1(VALU_DEP_2)
	v_dual_mov_b32 v12, v1 :: v_dual_mov_b32 v11, v0
	s_and_saveexec_b32 s15, s0
; %bb.1553:                             ;   in Loop: Header=BB363_799 Depth=1
	v_clz_i32_u32_e32 v11, v0
	s_delay_alu instid0(VALU_DEP_1) | instskip(NEXT) | instid1(VALU_DEP_1)
	v_min_u32_e32 v117, 32, v11
	v_subrev_nc_u32_e32 v11, 28, v117
	v_sub_nc_u32_e32 v117, 29, v117
	s_delay_alu instid0(VALU_DEP_2) | instskip(NEXT) | instid1(VALU_DEP_1)
	v_lshlrev_b64 v[11:12], v11, v[0:1]
	v_and_b32_e32 v11, 7, v11
; %bb.1554:                             ;   in Loop: Header=BB363_799 Depth=1
	s_or_b32 exec_lo, exec_lo, s15
	v_lshlrev_b32_e32 v0, 8, v118
	v_lshl_add_u32 v12, v117, 10, 0x2000
	s_delay_alu instid0(VALU_DEP_1) | instskip(NEXT) | instid1(VALU_DEP_1)
	v_and_or_b32 v0, 0x8000, v0, v12
	v_lshl_or_b32 v0, v11, 7, v0
	s_delay_alu instid0(VALU_DEP_1)
	v_cvt_f32_f16_e32 v117, v0
.LBB363_1555:                           ;   in Loop: Header=BB363_799 Depth=1
	s_or_b32 exec_lo, exec_lo, s13
.LBB363_1556:                           ;   in Loop: Header=BB363_799 Depth=1
	s_delay_alu instid0(SALU_CYCLE_1)
	s_or_b32 exec_lo, exec_lo, s12
.LBB363_1557:                           ;   in Loop: Header=BB363_799 Depth=1
	s_delay_alu instid0(SALU_CYCLE_1) | instskip(SKIP_3) | instid1(VALU_DEP_2)
	s_or_b32 exec_lo, exec_lo, s10
	v_dual_mov_b32 v0, v10 :: v_dual_and_b32 v11, 0xff, v10
	v_dual_mov_b32 v119, 0 :: v_dual_mov_b32 v118, 0
	s_mov_b32 s10, exec_lo
	v_cmpx_ne_u16_e32 0, v11
	s_cbranch_execz .LBB363_1565
; %bb.1558:                             ;   in Loop: Header=BB363_799 Depth=1
	v_bfrev_b32_e32 v118, 1
	s_mov_b32 s12, exec_lo
	v_cmpx_ne_u16_e32 0x80, v11
	s_cbranch_execz .LBB363_1564
; %bb.1559:                             ;   in Loop: Header=BB363_799 Depth=1
	v_and_b32_e32 v11, 0x7f, v10
	v_mov_b32_e32 v118, 0x7fc02000
	s_mov_b32 s13, exec_lo
	s_delay_alu instid0(VALU_DEP_2)
	v_cmpx_ne_u32_e32 0x7f, v11
	s_cbranch_execz .LBB363_1563
; %bb.1560:                             ;   in Loop: Header=BB363_799 Depth=1
	v_lshrrev_b32_e32 v118, 3, v11
	v_cmp_gt_u32_e64 s0, 8, v11
	v_dual_mov_b32 v12, v1 :: v_dual_mov_b32 v11, v0
	s_delay_alu instid0(VALU_DEP_2)
	s_and_saveexec_b32 s15, s0
; %bb.1561:                             ;   in Loop: Header=BB363_799 Depth=1
	v_and_b32_e32 v11, 7, v10
	s_delay_alu instid0(VALU_DEP_1) | instskip(NEXT) | instid1(VALU_DEP_1)
	v_clz_i32_u32_e32 v11, v11
	v_min_u32_e32 v118, 32, v11
	s_delay_alu instid0(VALU_DEP_1) | instskip(SKIP_1) | instid1(VALU_DEP_2)
	v_subrev_nc_u32_e32 v11, 28, v118
	v_sub_nc_u32_e32 v118, 29, v118
	v_lshlrev_b64 v[11:12], v11, v[0:1]
; %bb.1562:                             ;   in Loop: Header=BB363_799 Depth=1
	s_or_b32 exec_lo, exec_lo, s15
	v_lshlrev_b32_e32 v12, 8, v10
	s_delay_alu instid0(VALU_DEP_3) | instskip(NEXT) | instid1(VALU_DEP_3)
	v_lshl_add_u32 v118, v118, 10, 0x2000
	v_lshlrev_b32_e32 v11, 7, v11
	s_delay_alu instid0(VALU_DEP_2) | instskip(NEXT) | instid1(VALU_DEP_1)
	v_and_or_b32 v12, 0x8000, v12, v118
	v_and_or_b32 v11, 0x380, v11, v12
	s_delay_alu instid0(VALU_DEP_1)
	v_cvt_f32_f16_e32 v118, v11
.LBB363_1563:                           ;   in Loop: Header=BB363_799 Depth=1
	s_or_b32 exec_lo, exec_lo, s13
.LBB363_1564:                           ;   in Loop: Header=BB363_799 Depth=1
	s_delay_alu instid0(SALU_CYCLE_1)
	s_or_b32 exec_lo, exec_lo, s12
.LBB363_1565:                           ;   in Loop: Header=BB363_799 Depth=1
	s_delay_alu instid0(SALU_CYCLE_1) | instskip(SKIP_2) | instid1(VALU_DEP_1)
	s_or_b32 exec_lo, exec_lo, s10
	v_lshrrev_b16 v0, 8, v0
	s_mov_b32 s10, exec_lo
	v_cmpx_ne_u16_e32 0, v0
	s_cbranch_execz .LBB363_1573
; %bb.1566:                             ;   in Loop: Header=BB363_799 Depth=1
	v_bfrev_b32_e32 v119, 1
	s_mov_b32 s12, exec_lo
	v_cmpx_ne_u16_e32 0x80, v0
	s_cbranch_execz .LBB363_1572
; %bb.1567:                             ;   in Loop: Header=BB363_799 Depth=1
	v_and_b32_e32 v128, 0xffff, v0
	v_mov_b32_e32 v119, 0x7fc02000
	s_mov_b32 s13, exec_lo
	s_delay_alu instid0(VALU_DEP_2) | instskip(NEXT) | instid1(VALU_DEP_1)
	v_and_b32_e32 v11, 0x7f, v128
	v_cmpx_ne_u32_e32 0x7f, v11
	s_cbranch_execz .LBB363_1571
; %bb.1568:                             ;   in Loop: Header=BB363_799 Depth=1
	v_and_b32_e32 v0, 7, v128
	v_lshrrev_b32_e32 v119, 3, v11
	v_cmp_gt_u32_e64 s0, 8, v11
	s_delay_alu instid0(VALU_DEP_3) | instskip(NEXT) | instid1(VALU_DEP_2)
	v_dual_mov_b32 v12, v1 :: v_dual_mov_b32 v11, v0
	s_and_saveexec_b32 s15, s0
; %bb.1569:                             ;   in Loop: Header=BB363_799 Depth=1
	v_clz_i32_u32_e32 v11, v0
	s_delay_alu instid0(VALU_DEP_1) | instskip(NEXT) | instid1(VALU_DEP_1)
	v_min_u32_e32 v119, 32, v11
	v_subrev_nc_u32_e32 v11, 28, v119
	v_sub_nc_u32_e32 v119, 29, v119
	s_delay_alu instid0(VALU_DEP_2) | instskip(NEXT) | instid1(VALU_DEP_1)
	v_lshlrev_b64 v[11:12], v11, v[0:1]
	v_and_b32_e32 v11, 7, v11
; %bb.1570:                             ;   in Loop: Header=BB363_799 Depth=1
	s_or_b32 exec_lo, exec_lo, s15
	v_lshlrev_b32_e32 v0, 8, v128
	v_lshl_add_u32 v12, v119, 10, 0x2000
	s_delay_alu instid0(VALU_DEP_1) | instskip(NEXT) | instid1(VALU_DEP_1)
	v_and_or_b32 v0, 0x8000, v0, v12
	v_lshl_or_b32 v0, v11, 7, v0
	s_delay_alu instid0(VALU_DEP_1)
	v_cvt_f32_f16_e32 v119, v0
.LBB363_1571:                           ;   in Loop: Header=BB363_799 Depth=1
	s_or_b32 exec_lo, exec_lo, s13
.LBB363_1572:                           ;   in Loop: Header=BB363_799 Depth=1
	s_delay_alu instid0(SALU_CYCLE_1)
	s_or_b32 exec_lo, exec_lo, s12
.LBB363_1573:                           ;   in Loop: Header=BB363_799 Depth=1
	s_delay_alu instid0(SALU_CYCLE_1) | instskip(SKIP_3) | instid1(VALU_DEP_2)
	s_or_b32 exec_lo, exec_lo, s10
	v_lshrrev_b32_e32 v129, 16, v10
	v_mov_b32_e32 v128, 0
	s_mov_b32 s10, exec_lo
	v_dual_mov_b32 v11, 0 :: v_dual_and_b32 v0, 0xff, v129
	s_delay_alu instid0(VALU_DEP_1)
	v_cmpx_ne_u16_e32 0, v0
	s_cbranch_execz .LBB363_1581
; %bb.1574:                             ;   in Loop: Header=BB363_799 Depth=1
	v_bfrev_b32_e32 v11, 1
	s_mov_b32 s12, exec_lo
	v_cmpx_ne_u16_e32 0x80, v0
	s_cbranch_execz .LBB363_1580
; %bb.1575:                             ;   in Loop: Header=BB363_799 Depth=1
	v_bfe_u32 v12, v10, 16, 7
	v_mov_b32_e32 v11, 0x7fc02000
	s_mov_b32 s13, exec_lo
	s_delay_alu instid0(VALU_DEP_2)
	v_cmpx_ne_u32_e32 0x7f, v12
	s_cbranch_execz .LBB363_1579
; %bb.1576:                             ;   in Loop: Header=BB363_799 Depth=1
	v_and_b32_e32 v0, 7, v129
	v_lshrrev_b32_e32 v130, 3, v12
	v_cmp_gt_u32_e64 s0, 8, v12
	s_delay_alu instid0(VALU_DEP_3) | instskip(NEXT) | instid1(VALU_DEP_2)
	v_dual_mov_b32 v12, v1 :: v_dual_mov_b32 v11, v0
	s_and_saveexec_b32 s15, s0
; %bb.1577:                             ;   in Loop: Header=BB363_799 Depth=1
	v_clz_i32_u32_e32 v11, v0
	s_delay_alu instid0(VALU_DEP_1) | instskip(NEXT) | instid1(VALU_DEP_1)
	v_min_u32_e32 v130, 32, v11
	v_subrev_nc_u32_e32 v11, 28, v130
	v_sub_nc_u32_e32 v130, 29, v130
	s_delay_alu instid0(VALU_DEP_2) | instskip(NEXT) | instid1(VALU_DEP_1)
	v_lshlrev_b64 v[11:12], v11, v[0:1]
	v_and_b32_e32 v11, 7, v11
; %bb.1578:                             ;   in Loop: Header=BB363_799 Depth=1
	s_or_b32 exec_lo, exec_lo, s15
	v_lshlrev_b32_e32 v0, 8, v129
	v_lshl_add_u32 v12, v130, 10, 0x2000
	s_delay_alu instid0(VALU_DEP_1) | instskip(NEXT) | instid1(VALU_DEP_1)
	v_and_or_b32 v0, 0x8000, v0, v12
	v_lshl_or_b32 v0, v11, 7, v0
	s_delay_alu instid0(VALU_DEP_1)
	v_cvt_f32_f16_e32 v11, v0
.LBB363_1579:                           ;   in Loop: Header=BB363_799 Depth=1
	s_or_b32 exec_lo, exec_lo, s13
.LBB363_1580:                           ;   in Loop: Header=BB363_799 Depth=1
	s_delay_alu instid0(SALU_CYCLE_1)
	s_or_b32 exec_lo, exec_lo, s12
.LBB363_1581:                           ;   in Loop: Header=BB363_799 Depth=1
	s_delay_alu instid0(SALU_CYCLE_1) | instskip(NEXT) | instid1(SALU_CYCLE_1)
	s_or_b32 exec_lo, exec_lo, s10
	s_mov_b32 s10, exec_lo
	v_cmpx_lt_u64_e64 s[8:9], v[9:10]
	s_cbranch_execz .LBB363_1589
; %bb.1582:                             ;   in Loop: Header=BB363_799 Depth=1
	v_lshrrev_b32_e32 v12, 24, v10
	v_bfrev_b32_e32 v128, 1
	s_mov_b32 s12, exec_lo
	s_delay_alu instid0(VALU_DEP_2)
	v_cmpx_ne_u32_e32 0x80, v12
	s_cbranch_execz .LBB363_1588
; %bb.1583:                             ;   in Loop: Header=BB363_799 Depth=1
	v_and_b32_e32 v9, 0x7f, v12
	v_mov_b32_e32 v128, 0x7fc02000
	s_mov_b32 s13, exec_lo
	s_delay_alu instid0(VALU_DEP_2)
	v_cmpx_ne_u32_e32 0x7f, v9
	s_cbranch_execz .LBB363_1587
; %bb.1584:                             ;   in Loop: Header=BB363_799 Depth=1
	v_and_b32_e32 v0, 7, v12
	v_lshrrev_b32_e32 v128, 3, v9
	v_cmp_gt_u32_e64 s0, 8, v9
	s_delay_alu instid0(VALU_DEP_3) | instskip(NEXT) | instid1(VALU_DEP_2)
	v_dual_mov_b32 v10, v1 :: v_dual_mov_b32 v9, v0
	s_and_saveexec_b32 s15, s0
; %bb.1585:                             ;   in Loop: Header=BB363_799 Depth=1
	v_clz_i32_u32_e32 v9, v0
	s_delay_alu instid0(VALU_DEP_1) | instskip(NEXT) | instid1(VALU_DEP_1)
	v_min_u32_e32 v128, 32, v9
	v_subrev_nc_u32_e32 v9, 28, v128
	v_sub_nc_u32_e32 v128, 29, v128
	s_delay_alu instid0(VALU_DEP_2) | instskip(NEXT) | instid1(VALU_DEP_1)
	v_lshlrev_b64 v[9:10], v9, v[0:1]
	v_and_b32_e32 v9, 7, v9
; %bb.1586:                             ;   in Loop: Header=BB363_799 Depth=1
	s_or_b32 exec_lo, exec_lo, s15
	v_lshlrev_b32_e32 v0, 8, v12
	v_lshl_add_u32 v10, v128, 10, 0x2000
	s_delay_alu instid0(VALU_DEP_1) | instskip(NEXT) | instid1(VALU_DEP_1)
	v_and_or_b32 v0, 0x8000, v0, v10
	v_lshl_or_b32 v0, v9, 7, v0
	s_delay_alu instid0(VALU_DEP_1)
	v_cvt_f32_f16_e64 v128, v0
.LBB363_1587:                           ;   in Loop: Header=BB363_799 Depth=1
	s_or_b32 exec_lo, exec_lo, s13
.LBB363_1588:                           ;   in Loop: Header=BB363_799 Depth=1
	s_delay_alu instid0(SALU_CYCLE_1)
	s_or_b32 exec_lo, exec_lo, s12
.LBB363_1589:                           ;   in Loop: Header=BB363_799 Depth=1
	s_delay_alu instid0(SALU_CYCLE_1)
	s_or_b32 exec_lo, exec_lo, s10
	s_waitcnt vmcnt(0) lgkmcnt(0)
	v_fma_mixlo_f16 v10, v113, v115, 0
	v_fma_mixlo_f16 v0, v113, v117, 0
	v_fma_mixlo_f16 v9, v113, v116, 0
	v_fma_mixlo_f16 v116, v113, v118, 0
	v_fma_mixlo_f16 v117, v113, v128, 0
	v_lshlrev_b32_e32 v115, 16, v10
	v_fma_mixlo_f16 v10, v113, v114, 0
	v_fma_mixlo_f16 v114, v113, v119, 0
	;; [unrolled: 1-line block ×3, first 2 shown]
	v_lshlrev_b32_e32 v0, 16, v0
	v_and_b32_e32 v9, 0xffff, v9
	v_and_b32_e32 v11, 0xffff, v10
	v_lshlrev_b32_e32 v113, 16, v114
	v_and_b32_e32 v114, 0xffff, v116
	v_lshlrev_b32_e32 v116, 16, v117
	v_and_b32_e32 v117, 0xffff, v12
	v_or_b32_e32 v10, v0, v9
	v_or_b32_e32 v11, v115, v11
	;; [unrolled: 1-line block ×3, first 2 shown]
	s_delay_alu instid0(VALU_DEP_4)
	v_or_b32_e32 v9, v116, v117
	s_and_saveexec_b32 s0, vcc_lo
	s_cbranch_execz .LBB363_798
; %bb.1590:                             ;   in Loop: Header=BB363_799 Depth=1
	v_cmp_lt_i32_e32 vcc_lo, v15, v35
	v_lshrrev_b32_e32 v113, 16, v11
	v_lshrrev_b32_e32 v114, 16, v10
	;; [unrolled: 1-line block ×3, first 2 shown]
	v_cndmask_b32_e32 v11, 0, v11, vcc_lo
	v_cmp_lt_i32_e32 vcc_lo, v64, v48
	v_cndmask_b32_e32 v64, 0, v113, vcc_lo
	v_cmp_lt_i32_e32 vcc_lo, v55, v48
	v_lshrrev_b32_e32 v113, 16, v0
	s_delay_alu instid0(VALU_DEP_3)
	v_perm_b32 v11, v64, v11, 0x5040100
	v_cndmask_b32_e32 v55, 0, v114, vcc_lo
	v_cmp_lt_i32_e32 vcc_lo, v54, v35
	v_cndmask_b32_e32 v10, 0, v10, vcc_lo
	v_cmp_lt_i32_e32 vcc_lo, v53, v48
	;; [unrolled: 2-line block ×4, first 2 shown]
	v_perm_b32 v10, v55, v10, 0x5040100
	s_delay_alu instid0(VALU_DEP_3) | instskip(SKIP_3) | instid1(VALU_DEP_1)
	v_perm_b32 v0, v53, v0, 0x5040100
	v_cndmask_b32_e32 v9, 0, v9, vcc_lo
	v_cmp_lt_i32_e32 vcc_lo, v17, v35
	v_cndmask_b32_e32 v12, 0, v12, vcc_lo
	v_perm_b32 v9, v9, v12, 0x5040100
	s_branch .LBB363_798
.LBB363_1591:
	s_or_b32 exec_lo, exec_lo, s5
	v_dual_mov_b32 v0, s6 :: v_dual_mov_b32 v1, s7
.LBB363_1592:
	s_or_b32 exec_lo, exec_lo, s3
	s_delay_alu instid0(VALU_DEP_1)
	v_lshlrev_b64 v[0:1], 2, v[0:1]
	s_getpc_b64 s[6:7]
	s_add_u32 s6, s6, llvm.amdgcn.dynlds.offset.table@rel32@lo+4
	s_addc_u32 s7, s7, llvm.amdgcn.dynlds.offset.table@rel32@hi+12
	s_waitcnt lgkmcnt(0)
	s_waitcnt_vscnt null, 0x0
	s_barrier
	buffer_gl0_inv
	ds_bpermute_b32 v2, v19, v50
	v_add_co_u32 v0, vcc_lo, v0, s6
	v_add_co_ci_u32_e32 v1, vcc_lo, s7, v1, vcc_lo
	ds_bpermute_b32 v3, v19, v49
	ds_bpermute_b32 v6, v19, v32
	;; [unrolled: 1-line block ×3, first 2 shown]
	global_load_b32 v15, v[0:1], off
	ds_bpermute_b32 v0, v19, v33
	ds_bpermute_b32 v1, v19, v51
	;; [unrolled: 1-line block ×8, first 2 shown]
	v_lshrrev_b32_e32 v14, 2, v37
	s_waitcnt lgkmcnt(10)
	v_dual_add_f32 v2, v50, v2 :: v_dual_add_f32 v3, v49, v3
	s_waitcnt lgkmcnt(9)
	v_add_f32_e32 v6, v32, v6
	s_waitcnt lgkmcnt(8)
	v_add_f32_e32 v16, v30, v8
	s_waitcnt lgkmcnt(6)
	v_dual_add_f32 v0, v33, v0 :: v_dual_add_f32 v1, v51, v1
	s_waitcnt lgkmcnt(5)
	v_add_f32_e32 v17, v29, v9
	s_waitcnt lgkmcnt(4)
	v_add_f32_e32 v7, v31, v7
	s_waitcnt lgkmcnt(2)
	v_dual_add_f32 v19, v28, v10 :: v_dual_add_f32 v22, v25, v11
	ds_bpermute_b32 v9, v18, v1
	s_waitcnt lgkmcnt(2)
	v_add_f32_e32 v23, v24, v12
	ds_bpermute_b32 v10, v18, v2
	ds_bpermute_b32 v24, v18, v3
	;; [unrolled: 1-line block ×4, first 2 shown]
	s_waitcnt lgkmcnt(5)
	v_add_f32_e32 v21, v21, v13
	v_and_b32_e32 v11, 0x3c3, v34
	ds_bpermute_b32 v8, v18, v0
	ds_bpermute_b32 v26, v18, v7
	;; [unrolled: 1-line block ×5, first 2 shown]
	s_waitcnt lgkmcnt(9)
	v_add_f32_e32 v12, v1, v9
	ds_bpermute_b32 v31, v18, v23
	s_waitcnt lgkmcnt(6)
	v_dual_add_f32 v9, v6, v25 :: v_dual_add_f32 v6, v17, v28
	v_cmp_eq_u32_e32 vcc_lo, 64, v11
	v_dual_add_f32 v11, v2, v10 :: v_dual_add_f32 v10, v3, v24
	ds_bpermute_b32 v18, v18, v21
	s_waitcnt lgkmcnt(5)
	v_dual_add_f32 v13, v0, v8 :: v_dual_add_f32 v8, v7, v26
	s_waitcnt lgkmcnt(2)
	v_dual_add_f32 v7, v16, v27 :: v_dual_add_f32 v2, v22, v30
	v_dual_add_f32 v3, v19, v29 :: v_dual_lshlrev_b32 v16, 2, v14
	s_waitcnt lgkmcnt(0)
	v_dual_add_f32 v1, v23, v31 :: v_dual_add_f32 v0, v21, v18
	s_waitcnt vmcnt(0)
	v_mad_u32_u24 v15, 0x180, v36, v15
	s_and_saveexec_b32 s0, vcc_lo
	s_cbranch_execz .LBB363_1594
; %bb.1593:
	s_delay_alu instid0(VALU_DEP_1)
	v_add3_u32 v17, v15, v16, 0xfffffd00
	ds_store_2addr_b32 v17, v13, v12 offset1:8
	ds_store_2addr_b32 v17, v11, v10 offset0:16 offset1:24
	ds_store_2addr_b32 v17, v9, v8 offset0:32 offset1:40
	;; [unrolled: 1-line block ×5, first 2 shown]
.LBB363_1594:
	s_or_b32 exec_lo, exec_lo, s0
	v_cmp_eq_u32_e32 vcc_lo, 0, v20
	s_mov_b32 s3, exec_lo
	s_waitcnt lgkmcnt(0)
	s_barrier
	buffer_gl0_inv
	v_cmpx_gt_u32_e32 64, v34
	s_cbranch_execz .LBB363_1609
; %bb.1595:
	s_and_saveexec_b32 s0, vcc_lo
	s_cbranch_execnz .LBB363_1629
; %bb.1596:
	s_or_b32 exec_lo, exec_lo, s0
	s_and_saveexec_b32 s0, vcc_lo
	s_cbranch_execnz .LBB363_1630
.LBB363_1597:
	s_or_b32 exec_lo, exec_lo, s0
	s_and_saveexec_b32 s0, vcc_lo
	s_cbranch_execnz .LBB363_1631
.LBB363_1598:
	s_or_b32 exec_lo, exec_lo, s0
	s_and_saveexec_b32 s0, vcc_lo
	s_cbranch_execnz .LBB363_1632
.LBB363_1599:
	s_or_b32 exec_lo, exec_lo, s0
	s_and_saveexec_b32 s0, vcc_lo
	s_cbranch_execnz .LBB363_1633
.LBB363_1600:
	s_or_b32 exec_lo, exec_lo, s0
	s_and_saveexec_b32 s0, vcc_lo
	s_cbranch_execnz .LBB363_1634
.LBB363_1601:
	s_or_b32 exec_lo, exec_lo, s0
	s_and_saveexec_b32 s0, vcc_lo
	s_cbranch_execnz .LBB363_1635
.LBB363_1602:
	s_or_b32 exec_lo, exec_lo, s0
	s_and_saveexec_b32 s0, vcc_lo
	s_cbranch_execnz .LBB363_1636
.LBB363_1603:
	s_or_b32 exec_lo, exec_lo, s0
	s_and_saveexec_b32 s0, vcc_lo
	s_cbranch_execnz .LBB363_1637
.LBB363_1604:
	s_or_b32 exec_lo, exec_lo, s0
	s_and_saveexec_b32 s0, vcc_lo
	s_cbranch_execnz .LBB363_1638
.LBB363_1605:
	s_or_b32 exec_lo, exec_lo, s0
	s_and_saveexec_b32 s0, vcc_lo
	s_cbranch_execnz .LBB363_1639
.LBB363_1606:
	s_or_b32 exec_lo, exec_lo, s0
	s_and_saveexec_b32 s0, vcc_lo
	s_cbranch_execz .LBB363_1608
.LBB363_1607:
	v_lshl_add_u32 v17, v14, 2, v15
	ds_load_b32 v17, v17 offset:352
	s_waitcnt lgkmcnt(0)
	v_add_f32_e32 v0, v17, v0
.LBB363_1608:
	s_or_b32 exec_lo, exec_lo, s0
.LBB363_1609:
	s_delay_alu instid0(SALU_CYCLE_1)
	s_or_b32 exec_lo, exec_lo, s3
	v_and_b32_e32 v17, 0x3e3, v34
	s_mov_b32 s3, exec_lo
	s_barrier
	buffer_gl0_inv
	v_cmpx_eq_u32_e32 32, v17
	s_cbranch_execz .LBB363_1611
; %bb.1610:
	v_add3_u32 v16, v15, v16, 0xfffffe80
	ds_store_2addr_b32 v16, v13, v12 offset1:8
	ds_store_2addr_b32 v16, v11, v10 offset0:16 offset1:24
	ds_store_2addr_b32 v16, v9, v8 offset0:32 offset1:40
	;; [unrolled: 1-line block ×5, first 2 shown]
.LBB363_1611:
	s_or_b32 exec_lo, exec_lo, s3
	s_delay_alu instid0(SALU_CYCLE_1)
	s_mov_b32 s3, exec_lo
	s_waitcnt lgkmcnt(0)
	s_barrier
	buffer_gl0_inv
	v_cmpx_gt_u32_e32 32, v34
	s_cbranch_execz .LBB363_1626
; %bb.1612:
	v_lshl_add_u32 v14, v14, 2, v15
	s_and_saveexec_b32 s0, vcc_lo
	s_cbranch_execnz .LBB363_1640
; %bb.1613:
	s_or_b32 exec_lo, exec_lo, s0
	s_and_saveexec_b32 s0, vcc_lo
	s_cbranch_execnz .LBB363_1641
.LBB363_1614:
	s_or_b32 exec_lo, exec_lo, s0
	s_and_saveexec_b32 s0, vcc_lo
	s_cbranch_execnz .LBB363_1642
.LBB363_1615:
	s_or_b32 exec_lo, exec_lo, s0
	s_and_saveexec_b32 s0, vcc_lo
	s_cbranch_execnz .LBB363_1643
.LBB363_1616:
	s_or_b32 exec_lo, exec_lo, s0
	s_and_saveexec_b32 s0, vcc_lo
	s_cbranch_execnz .LBB363_1644
.LBB363_1617:
	s_or_b32 exec_lo, exec_lo, s0
	s_and_saveexec_b32 s0, vcc_lo
	s_cbranch_execnz .LBB363_1645
.LBB363_1618:
	s_or_b32 exec_lo, exec_lo, s0
	s_and_saveexec_b32 s0, vcc_lo
	s_cbranch_execnz .LBB363_1646
.LBB363_1619:
	s_or_b32 exec_lo, exec_lo, s0
	s_and_saveexec_b32 s0, vcc_lo
	s_cbranch_execnz .LBB363_1647
.LBB363_1620:
	s_or_b32 exec_lo, exec_lo, s0
	s_and_saveexec_b32 s0, vcc_lo
	s_cbranch_execnz .LBB363_1648
.LBB363_1621:
	s_or_b32 exec_lo, exec_lo, s0
	s_and_saveexec_b32 s0, vcc_lo
	s_cbranch_execnz .LBB363_1649
.LBB363_1622:
	s_or_b32 exec_lo, exec_lo, s0
	s_and_saveexec_b32 s0, vcc_lo
	s_cbranch_execnz .LBB363_1650
.LBB363_1623:
	s_or_b32 exec_lo, exec_lo, s0
	s_and_saveexec_b32 s0, vcc_lo
	s_cbranch_execz .LBB363_1625
.LBB363_1624:
	ds_load_b32 v14, v14 offset:352
	s_waitcnt lgkmcnt(0)
	v_add_f32_e32 v0, v14, v0
.LBB363_1625:
	s_or_b32 exec_lo, exec_lo, s0
.LBB363_1626:
	s_delay_alu instid0(SALU_CYCLE_1)
	s_or_b32 exec_lo, exec_lo, s3
	v_cmp_eq_u32_e32 vcc_lo, 0, v17
	s_barrier
	buffer_gl0_inv
	s_and_b32 exec_lo, exec_lo, vcc_lo
	s_cbranch_execz .LBB363_1628
; %bb.1627:
	s_mul_i32 s0, s2, 0x60
	s_mul_i32 s2, s4, s1
	;; [unrolled: 1-line block ×3, first 2 shown]
	s_ashr_i32 s3, s2, 31
	s_ashr_i32 s5, s4, 31
	;; [unrolled: 1-line block ×3, first 2 shown]
	s_lshl_b64 s[2:3], s[2:3], 1
	s_lshl_b64 s[4:5], s[4:5], 1
	;; [unrolled: 1-line block ×3, first 2 shown]
	s_add_u32 s2, s4, s2
	s_addc_u32 s3, s5, s3
	s_add_u32 s0, s2, s0
	s_addc_u32 s1, s3, s1
	v_lshrrev_b32_e32 v14, 1, v34
	v_add_co_u32 v4, vcc_lo, s0, v4
	v_add_co_ci_u32_e32 v5, vcc_lo, s1, v5, vcc_lo
	;;#ASMSTART
	v_cvt_f16_f32 v13, v13;

	;;#ASMEND
	s_delay_alu instid0(VALU_DEP_2) | instskip(NEXT) | instid1(VALU_DEP_2)
	v_add_co_u32 v4, vcc_lo, v4, v14
	v_add_co_ci_u32_e32 v5, vcc_lo, 0, v5, vcc_lo
	flat_store_b16 v[4:5], v13
	;;#ASMSTART
	v_cvt_f16_f32 v12, v12;

	;;#ASMEND
	flat_store_b16 v[4:5], v12 offset:16
	;;#ASMSTART
	v_cvt_f16_f32 v11, v11;

	;;#ASMEND
	flat_store_b16 v[4:5], v11 offset:32
	;; [unrolled: 5-line block ×11, first 2 shown]
.LBB363_1628:
	s_or_b32 exec_lo, exec_lo, s11
	s_clause 0x1f
	scratch_load_b32 v156, off, s32
	scratch_load_b32 v155, off, s32 offset:4
	scratch_load_b32 v154, off, s32 offset:8
	;; [unrolled: 1-line block ×31, first 2 shown]
	s_clause 0x1c
	scratch_load_b32 v92, off, s32 offset:128
	scratch_load_b32 v91, off, s32 offset:132
	;; [unrolled: 1-line block ×29, first 2 shown]
	s_waitcnt vmcnt(0) lgkmcnt(0)
	s_setpc_b64 s[30:31]
.LBB363_1629:
	v_lshl_add_u32 v17, v14, 2, v15
	ds_load_b32 v17, v17
	s_waitcnt lgkmcnt(0)
	v_add_f32_e32 v13, v17, v13
	s_or_b32 exec_lo, exec_lo, s0
	s_and_saveexec_b32 s0, vcc_lo
	s_cbranch_execz .LBB363_1597
.LBB363_1630:
	v_lshl_add_u32 v17, v14, 2, v15
	ds_load_b32 v17, v17 offset:32
	s_waitcnt lgkmcnt(0)
	v_add_f32_e32 v12, v17, v12
	s_or_b32 exec_lo, exec_lo, s0
	s_and_saveexec_b32 s0, vcc_lo
	s_cbranch_execz .LBB363_1598
.LBB363_1631:
	v_lshl_add_u32 v17, v14, 2, v15
	ds_load_b32 v17, v17 offset:64
	s_waitcnt lgkmcnt(0)
	v_add_f32_e32 v11, v17, v11
	s_or_b32 exec_lo, exec_lo, s0
	s_and_saveexec_b32 s0, vcc_lo
	s_cbranch_execz .LBB363_1599
.LBB363_1632:
	v_lshl_add_u32 v17, v14, 2, v15
	ds_load_b32 v17, v17 offset:96
	s_waitcnt lgkmcnt(0)
	v_add_f32_e32 v10, v17, v10
	s_or_b32 exec_lo, exec_lo, s0
	s_and_saveexec_b32 s0, vcc_lo
	s_cbranch_execz .LBB363_1600
.LBB363_1633:
	v_lshl_add_u32 v17, v14, 2, v15
	ds_load_b32 v17, v17 offset:128
	s_waitcnt lgkmcnt(0)
	v_add_f32_e32 v9, v17, v9
	s_or_b32 exec_lo, exec_lo, s0
	s_and_saveexec_b32 s0, vcc_lo
	s_cbranch_execz .LBB363_1601
.LBB363_1634:
	v_lshl_add_u32 v17, v14, 2, v15
	ds_load_b32 v17, v17 offset:160
	s_waitcnt lgkmcnt(0)
	v_add_f32_e32 v8, v17, v8
	s_or_b32 exec_lo, exec_lo, s0
	s_and_saveexec_b32 s0, vcc_lo
	s_cbranch_execz .LBB363_1602
.LBB363_1635:
	v_lshl_add_u32 v17, v14, 2, v15
	ds_load_b32 v17, v17 offset:192
	s_waitcnt lgkmcnt(0)
	v_add_f32_e32 v7, v17, v7
	s_or_b32 exec_lo, exec_lo, s0
	s_and_saveexec_b32 s0, vcc_lo
	s_cbranch_execz .LBB363_1603
.LBB363_1636:
	v_lshl_add_u32 v17, v14, 2, v15
	ds_load_b32 v17, v17 offset:224
	s_waitcnt lgkmcnt(0)
	v_add_f32_e32 v6, v17, v6
	s_or_b32 exec_lo, exec_lo, s0
	s_and_saveexec_b32 s0, vcc_lo
	s_cbranch_execz .LBB363_1604
.LBB363_1637:
	v_lshl_add_u32 v17, v14, 2, v15
	ds_load_b32 v17, v17 offset:256
	s_waitcnt lgkmcnt(0)
	v_add_f32_e32 v3, v17, v3
	s_or_b32 exec_lo, exec_lo, s0
	s_and_saveexec_b32 s0, vcc_lo
	s_cbranch_execz .LBB363_1605
.LBB363_1638:
	v_lshl_add_u32 v17, v14, 2, v15
	ds_load_b32 v17, v17 offset:288
	s_waitcnt lgkmcnt(0)
	v_add_f32_e32 v2, v17, v2
	s_or_b32 exec_lo, exec_lo, s0
	s_and_saveexec_b32 s0, vcc_lo
	s_cbranch_execz .LBB363_1606
.LBB363_1639:
	v_lshl_add_u32 v17, v14, 2, v15
	ds_load_b32 v17, v17 offset:320
	s_waitcnt lgkmcnt(0)
	v_add_f32_e32 v1, v17, v1
	s_or_b32 exec_lo, exec_lo, s0
	s_and_saveexec_b32 s0, vcc_lo
	s_cbranch_execnz .LBB363_1607
	s_branch .LBB363_1608
.LBB363_1640:
	ds_load_b32 v15, v14
	s_waitcnt lgkmcnt(0)
	v_add_f32_e32 v13, v15, v13
	s_or_b32 exec_lo, exec_lo, s0
	s_and_saveexec_b32 s0, vcc_lo
	s_cbranch_execz .LBB363_1614
.LBB363_1641:
	ds_load_b32 v15, v14 offset:32
	s_waitcnt lgkmcnt(0)
	v_add_f32_e32 v12, v15, v12
	s_or_b32 exec_lo, exec_lo, s0
	s_and_saveexec_b32 s0, vcc_lo
	s_cbranch_execz .LBB363_1615
.LBB363_1642:
	ds_load_b32 v15, v14 offset:64
	s_waitcnt lgkmcnt(0)
	v_add_f32_e32 v11, v15, v11
	s_or_b32 exec_lo, exec_lo, s0
	s_and_saveexec_b32 s0, vcc_lo
	s_cbranch_execz .LBB363_1616
.LBB363_1643:
	ds_load_b32 v15, v14 offset:96
	s_waitcnt lgkmcnt(0)
	v_add_f32_e32 v10, v15, v10
	s_or_b32 exec_lo, exec_lo, s0
	s_and_saveexec_b32 s0, vcc_lo
	s_cbranch_execz .LBB363_1617
.LBB363_1644:
	ds_load_b32 v15, v14 offset:128
	s_waitcnt lgkmcnt(0)
	v_add_f32_e32 v9, v15, v9
	s_or_b32 exec_lo, exec_lo, s0
	s_and_saveexec_b32 s0, vcc_lo
	s_cbranch_execz .LBB363_1618
.LBB363_1645:
	ds_load_b32 v15, v14 offset:160
	s_waitcnt lgkmcnt(0)
	v_add_f32_e32 v8, v15, v8
	s_or_b32 exec_lo, exec_lo, s0
	s_and_saveexec_b32 s0, vcc_lo
	s_cbranch_execz .LBB363_1619
.LBB363_1646:
	ds_load_b32 v15, v14 offset:192
	s_waitcnt lgkmcnt(0)
	v_add_f32_e32 v7, v15, v7
	s_or_b32 exec_lo, exec_lo, s0
	s_and_saveexec_b32 s0, vcc_lo
	s_cbranch_execz .LBB363_1620
.LBB363_1647:
	ds_load_b32 v15, v14 offset:224
	s_waitcnt lgkmcnt(0)
	v_add_f32_e32 v6, v15, v6
	s_or_b32 exec_lo, exec_lo, s0
	s_and_saveexec_b32 s0, vcc_lo
	s_cbranch_execz .LBB363_1621
.LBB363_1648:
	ds_load_b32 v15, v14 offset:256
	s_waitcnt lgkmcnt(0)
	v_add_f32_e32 v3, v15, v3
	s_or_b32 exec_lo, exec_lo, s0
	s_and_saveexec_b32 s0, vcc_lo
	s_cbranch_execz .LBB363_1622
.LBB363_1649:
	ds_load_b32 v15, v14 offset:288
	s_waitcnt lgkmcnt(0)
	v_add_f32_e32 v2, v15, v2
	s_or_b32 exec_lo, exec_lo, s0
	s_and_saveexec_b32 s0, vcc_lo
	s_cbranch_execz .LBB363_1623
.LBB363_1650:
	ds_load_b32 v15, v14 offset:320
	s_waitcnt lgkmcnt(0)
	v_add_f32_e32 v1, v15, v1
	s_or_b32 exec_lo, exec_lo, s0
	s_and_saveexec_b32 s0, vcc_lo
	s_cbranch_execnz .LBB363_1624
	s_branch .LBB363_1625
.Lfunc_end363:
	.size	_ZN4vllm22paged_attention_kernelIthLi96ELi32ELi128ELNS_18Fp8KVCacheDataTypeE1ELb0ELi512EEEvPfS2_PT_PKS3_PKT0_S9_ifPKiSB_iPKfiiiSD_SD_iiiii, .Lfunc_end363-_ZN4vllm22paged_attention_kernelIthLi96ELi32ELi128ELNS_18Fp8KVCacheDataTypeE1ELb0ELi512EEEvPfS2_PT_PKS3_PKT0_S9_ifPKiSB_iPKfiiiSD_SD_iiiii
                                        ; -- End function
	.section	.AMDGPU.csdata,"",@progbits
; Function info:
; codeLenInByte = 63404
; NumSgprs: 35
; NumVgprs: 184
; ScratchSize: 248
; MemoryBound: 0
	.section	.text._ZN4vllm25paged_attention_v2_kernelIthLi96ELi32ELi128ELNS_18Fp8KVCacheDataTypeE1ELb0ELi512EEEvPfS2_PT_PKS3_PKT0_S9_ifPKiSB_iPKfiiiSD_SD_iiiii,"axG",@progbits,_ZN4vllm25paged_attention_v2_kernelIthLi96ELi32ELi128ELNS_18Fp8KVCacheDataTypeE1ELb0ELi512EEEvPfS2_PT_PKS3_PKT0_S9_ifPKiSB_iPKfiiiSD_SD_iiiii,comdat
	.protected	_ZN4vllm25paged_attention_v2_kernelIthLi96ELi32ELi128ELNS_18Fp8KVCacheDataTypeE1ELb0ELi512EEEvPfS2_PT_PKS3_PKT0_S9_ifPKiSB_iPKfiiiSD_SD_iiiii ; -- Begin function _ZN4vllm25paged_attention_v2_kernelIthLi96ELi32ELi128ELNS_18Fp8KVCacheDataTypeE1ELb0ELi512EEEvPfS2_PT_PKS3_PKT0_S9_ifPKiSB_iPKfiiiSD_SD_iiiii
	.globl	_ZN4vllm25paged_attention_v2_kernelIthLi96ELi32ELi128ELNS_18Fp8KVCacheDataTypeE1ELb0ELi512EEEvPfS2_PT_PKS3_PKT0_S9_ifPKiSB_iPKfiiiSD_SD_iiiii
	.p2align	8
	.type	_ZN4vllm25paged_attention_v2_kernelIthLi96ELi32ELi128ELNS_18Fp8KVCacheDataTypeE1ELb0ELi512EEEvPfS2_PT_PKS3_PKT0_S9_ifPKiSB_iPKfiiiSD_SD_iiiii,@function
_ZN4vllm25paged_attention_v2_kernelIthLi96ELi32ELi128ELNS_18Fp8KVCacheDataTypeE1ELb0ELi512EEEvPfS2_PT_PKS3_PKT0_S9_ifPKiSB_iPKfiiiSD_SD_iiiii: ; @_ZN4vllm25paged_attention_v2_kernelIthLi96ELi32ELi128ELNS_18Fp8KVCacheDataTypeE1ELb0ELi512EEEvPfS2_PT_PKS3_PKT0_S9_ifPKiSB_iPKfiiiSD_SD_iiiii
; %bb.0:
	s_clause 0x5
	s_load_b256 s[24:31], s[0:1], 0x0
	s_load_b256 s[16:23], s[0:1], 0x20
	s_load_b64 s[2:3], s[0:1], 0x40
	s_load_b64 s[4:5], s[0:1], 0x50
	s_load_b32 s6, s[0:1], 0x48
	s_load_b256 s[36:43], s[0:1], 0x58
	v_mov_b32_e32 v31, v0
	s_add_u32 s8, s0, 0x90
	s_mov_b32 s12, s13
	s_addc_u32 s9, s1, 0
	s_mov_b32 s13, s14
	s_mov_b32 s14, s15
	s_movk_i32 s15, 0x71
	s_mov_b32 s32, 0
	s_getpc_b64 s[0:1]
	s_add_u32 s0, s0, _ZN4vllm22paged_attention_kernelIthLi96ELi32ELi128ELNS_18Fp8KVCacheDataTypeE1ELb0ELi512EEEvPfS2_PT_PKS3_PKT0_S9_ifPKiSB_iPKfiiiSD_SD_iiiii@rel32@lo+4
	s_addc_u32 s1, s1, _ZN4vllm22paged_attention_kernelIthLi96ELi32ELi128ELNS_18Fp8KVCacheDataTypeE1ELb0ELi512EEEvPfS2_PT_PKS3_PKT0_S9_ifPKiSB_iPKfiiiSD_SD_iiiii@rel32@hi+12
	s_waitcnt lgkmcnt(0)
	v_dual_mov_b32 v0, s24 :: v_dual_mov_b32 v1, s25
	v_dual_mov_b32 v2, s26 :: v_dual_mov_b32 v3, s27
	;; [unrolled: 1-line block ×14, first 2 shown]
	s_swappc_b64 s[30:31], s[0:1]
	s_endpgm
	.section	.rodata,"a",@progbits
	.p2align	6, 0x0
	.amdhsa_kernel _ZN4vllm25paged_attention_v2_kernelIthLi96ELi32ELi128ELNS_18Fp8KVCacheDataTypeE1ELb0ELi512EEEvPfS2_PT_PKS3_PKT0_S9_ifPKiSB_iPKfiiiSD_SD_iiiii
		.amdhsa_group_segment_fixed_size 224
		.amdhsa_private_segment_fixed_size 248
		.amdhsa_kernarg_size 400
		.amdhsa_user_sgpr_count 13
		.amdhsa_user_sgpr_dispatch_ptr 0
		.amdhsa_user_sgpr_queue_ptr 0
		.amdhsa_user_sgpr_kernarg_segment_ptr 1
		.amdhsa_user_sgpr_dispatch_id 0
		.amdhsa_user_sgpr_private_segment_size 0
		.amdhsa_wavefront_size32 1
		.amdhsa_uses_dynamic_stack 0
		.amdhsa_enable_private_segment 1
		.amdhsa_system_sgpr_workgroup_id_x 1
		.amdhsa_system_sgpr_workgroup_id_y 1
		.amdhsa_system_sgpr_workgroup_id_z 1
		.amdhsa_system_sgpr_workgroup_info 0
		.amdhsa_system_vgpr_workitem_id 0
		.amdhsa_next_free_vgpr 184
		.amdhsa_next_free_sgpr 44
		.amdhsa_reserve_vcc 1
		.amdhsa_float_round_mode_32 0
		.amdhsa_float_round_mode_16_64 0
		.amdhsa_float_denorm_mode_32 3
		.amdhsa_float_denorm_mode_16_64 3
		.amdhsa_dx10_clamp 1
		.amdhsa_ieee_mode 1
		.amdhsa_fp16_overflow 0
		.amdhsa_workgroup_processor_mode 1
		.amdhsa_memory_ordered 1
		.amdhsa_forward_progress 0
		.amdhsa_shared_vgpr_count 0
		.amdhsa_exception_fp_ieee_invalid_op 0
		.amdhsa_exception_fp_denorm_src 0
		.amdhsa_exception_fp_ieee_div_zero 0
		.amdhsa_exception_fp_ieee_overflow 0
		.amdhsa_exception_fp_ieee_underflow 0
		.amdhsa_exception_fp_ieee_inexact 0
		.amdhsa_exception_int_div_zero 0
	.end_amdhsa_kernel
	.section	.text._ZN4vllm25paged_attention_v2_kernelIthLi96ELi32ELi128ELNS_18Fp8KVCacheDataTypeE1ELb0ELi512EEEvPfS2_PT_PKS3_PKT0_S9_ifPKiSB_iPKfiiiSD_SD_iiiii,"axG",@progbits,_ZN4vllm25paged_attention_v2_kernelIthLi96ELi32ELi128ELNS_18Fp8KVCacheDataTypeE1ELb0ELi512EEEvPfS2_PT_PKS3_PKT0_S9_ifPKiSB_iPKfiiiSD_SD_iiiii,comdat
.Lfunc_end364:
	.size	_ZN4vllm25paged_attention_v2_kernelIthLi96ELi32ELi128ELNS_18Fp8KVCacheDataTypeE1ELb0ELi512EEEvPfS2_PT_PKS3_PKT0_S9_ifPKiSB_iPKfiiiSD_SD_iiiii, .Lfunc_end364-_ZN4vllm25paged_attention_v2_kernelIthLi96ELi32ELi128ELNS_18Fp8KVCacheDataTypeE1ELb0ELi512EEEvPfS2_PT_PKS3_PKT0_S9_ifPKiSB_iPKfiiiSD_SD_iiiii
                                        ; -- End function
	.section	.AMDGPU.csdata,"",@progbits
; Kernel info:
; codeLenInByte = 232
; NumSgprs: 46
; NumVgprs: 184
; ScratchSize: 248
; MemoryBound: 0
; FloatMode: 240
; IeeeMode: 1
; LDSByteSize: 224 bytes/workgroup (compile time only)
; SGPRBlocks: 5
; VGPRBlocks: 22
; NumSGPRsForWavesPerEU: 46
; NumVGPRsForWavesPerEU: 184
; Occupancy: 8
; WaveLimiterHint : 1
; COMPUTE_PGM_RSRC2:SCRATCH_EN: 1
; COMPUTE_PGM_RSRC2:USER_SGPR: 13
; COMPUTE_PGM_RSRC2:TRAP_HANDLER: 0
; COMPUTE_PGM_RSRC2:TGID_X_EN: 1
; COMPUTE_PGM_RSRC2:TGID_Y_EN: 1
; COMPUTE_PGM_RSRC2:TGID_Z_EN: 1
; COMPUTE_PGM_RSRC2:TIDIG_COMP_CNT: 0
	.text
	.p2align	2                               ; -- Begin function _ZN4vllm22paged_attention_kernelIthLi112ELi32ELi128ELNS_18Fp8KVCacheDataTypeE1ELb0ELi512EEEvPfS2_PT_PKS3_PKT0_S9_ifPKiSB_iPKfiiiSD_SD_iiiii
	.type	_ZN4vllm22paged_attention_kernelIthLi112ELi32ELi128ELNS_18Fp8KVCacheDataTypeE1ELb0ELi512EEEvPfS2_PT_PKS3_PKT0_S9_ifPKiSB_iPKfiiiSD_SD_iiiii,@function
_ZN4vllm22paged_attention_kernelIthLi112ELi32ELi128ELNS_18Fp8KVCacheDataTypeE1ELb0ELi512EEEvPfS2_PT_PKS3_PKT0_S9_ifPKiSB_iPKfiiiSD_SD_iiiii: ; @_ZN4vllm22paged_attention_kernelIthLi112ELi32ELi128ELNS_18Fp8KVCacheDataTypeE1ELb0ELi512EEEvPfS2_PT_PKS3_PKT0_S9_ifPKiSB_iPKfiiiSD_SD_iiiii
; %bb.0:
	s_waitcnt vmcnt(0) expcnt(0) lgkmcnt(0)
	s_clause 0x1f
	scratch_store_b32 off, v40, s32 offset:228
	; meta instruction
	scratch_store_b32 off, v41, s32 offset:224
	; meta instruction
	;; [unrolled: 2-line block ×31, first 2 shown]
	scratch_store_b32 off, v95, s32 offset:104
	s_clause 0x19
	scratch_store_b32 off, v104, s32 offset:100
	; meta instruction
	scratch_store_b32 off, v105, s32 offset:96
	; meta instruction
	;; [unrolled: 2-line block ×25, first 2 shown]
	scratch_store_b32 off, v153, s32
	s_mov_b32 s10, s13
	s_ashr_i32 s11, s13, 31
	s_lshl_b32 s16, s14, 9
	s_lshl_b64 s[0:1], s[10:11], 2
	s_mov_b32 s11, exec_lo
	v_add_co_u32 v16, vcc_lo, v16, s0
	v_add_co_ci_u32_e32 v17, vcc_lo, s1, v17, vcc_lo
	flat_load_b32 v35, v[16:17]
	s_waitcnt vmcnt(0) lgkmcnt(0)
	v_cmpx_lt_i32_e64 s16, v35
	s_cbranch_execz .LBB365_1892
; %bb.1:
	v_sub_nc_u32_e32 v16, 0, v12
	s_clause 0x1
	s_load_b32 s0, s[8:9], 0x10
	s_load_b32 s1, s[8:9], 0x0
	s_mov_b32 s6, s15
	v_mov_b32_e32 v50, 0
	v_max_i32_e32 v16, v12, v16
	s_delay_alu instid0(VALU_DEP_1) | instskip(SKIP_1) | instid1(VALU_DEP_2)
	v_cvt_f32_u32_e32 v17, v16
	v_sub_nc_u32_e32 v28, 0, v16
	v_rcp_iflag_f32_e32 v17, v17
	s_waitcnt lgkmcnt(0)
	s_lshr_b32 s0, s0, 16
	s_delay_alu instid0(SALU_CYCLE_1) | instskip(SKIP_3) | instid1(SALU_CYCLE_1)
	s_cmp_lg_u32 s0, 0
	s_waitcnt_depctr 0xfff
	v_mul_f32_e32 v17, 0x4f7ffffe, v17
	s_cselect_b32 s0, -1, 0
	s_cmp_lg_u32 s0, 0
	s_delay_alu instid0(VALU_DEP_1)
	v_cvt_u32_f32_e32 v17, v17
	s_addc_u32 s15, s1, 0
	s_mov_b32 s1, exec_lo
	s_abs_i32 s0, s15
	v_xor_b32_e32 v12, s15, v12
	v_mul_lo_u32 v28, v28, v17
	s_delay_alu instid0(VALU_DEP_2) | instskip(NEXT) | instid1(VALU_DEP_2)
	v_ashrrev_i32_e32 v12, 31, v12
	v_mul_hi_u32 v28, v17, v28
	s_delay_alu instid0(VALU_DEP_1) | instskip(NEXT) | instid1(VALU_DEP_1)
	v_add_nc_u32_e32 v17, v17, v28
	v_mul_hi_u32 v17, s0, v17
	s_delay_alu instid0(VALU_DEP_1) | instskip(SKIP_1) | instid1(VALU_DEP_2)
	v_mul_lo_u32 v28, v17, v16
	v_add_nc_u32_e32 v29, 1, v17
	v_sub_nc_u32_e32 v28, s0, v28
	s_abs_i32 s0, s12
	s_delay_alu instid0(VALU_DEP_1) | instskip(SKIP_1) | instid1(VALU_DEP_2)
	v_sub_nc_u32_e32 v30, v28, v16
	v_cmp_ge_u32_e32 vcc_lo, v28, v16
	v_dual_cndmask_b32 v17, v17, v29 :: v_dual_cndmask_b32 v28, v28, v30
	s_delay_alu instid0(VALU_DEP_1) | instskip(NEXT) | instid1(VALU_DEP_2)
	v_add_nc_u32_e32 v29, 1, v17
	v_cmp_ge_u32_e32 vcc_lo, v28, v16
	s_delay_alu instid0(VALU_DEP_2) | instskip(NEXT) | instid1(VALU_DEP_1)
	v_cndmask_b32_e32 v16, v17, v29, vcc_lo
	v_xor_b32_e32 v16, v16, v12
	s_delay_alu instid0(VALU_DEP_1) | instskip(NEXT) | instid1(VALU_DEP_1)
	v_sub_nc_u32_e32 v28, v16, v12
	v_sub_nc_u32_e32 v12, 0, v28
	s_delay_alu instid0(VALU_DEP_1) | instskip(NEXT) | instid1(VALU_DEP_1)
	v_max_i32_e32 v12, v28, v12
	v_cvt_f32_u32_e32 v16, v12
	v_sub_nc_u32_e32 v17, 0, v12
	s_delay_alu instid0(VALU_DEP_2) | instskip(SKIP_2) | instid1(VALU_DEP_1)
	v_rcp_iflag_f32_e32 v16, v16
	s_waitcnt_depctr 0xfff
	v_mul_f32_e32 v16, 0x4f7ffffe, v16
	v_cvt_u32_f32_e32 v16, v16
	s_delay_alu instid0(VALU_DEP_1) | instskip(NEXT) | instid1(VALU_DEP_1)
	v_mul_lo_u32 v17, v17, v16
	v_mul_hi_u32 v17, v16, v17
	s_delay_alu instid0(VALU_DEP_1) | instskip(NEXT) | instid1(VALU_DEP_1)
	v_add_nc_u32_e32 v29, v16, v17
	v_mad_u64_u32 v[16:17], null, s0, v29, 0
	v_cmpx_ne_u64_e32 0, v[19:20]
	s_cbranch_execz .LBB365_3
; %bb.2:
	s_ashr_i32 s13, s12, 31
	s_delay_alu instid0(SALU_CYCLE_1) | instskip(NEXT) | instid1(SALU_CYCLE_1)
	s_lshl_b64 s[2:3], s[12:13], 2
	v_add_co_u32 v19, vcc_lo, v19, s2
	v_add_co_ci_u32_e32 v20, vcc_lo, s3, v20, vcc_lo
	flat_load_b32 v50, v[19:20]
.LBB365_3:
	s_or_b32 exec_lo, exec_lo, s1
	v_and_b32_e32 v34, 0x3ff, v31
	v_ashrrev_i32_e32 v16, 31, v28
	s_ashr_i32 s1, s12, 31
	s_mul_i32 s4, s12, 0x70
	s_mov_b32 s2, exec_lo
	v_cmpx_gt_u32_e32 14, v34
	s_cbranch_execz .LBB365_5
; %bb.4:
	v_mul_lo_u32 v19, s10, v21
	s_ashr_i32 s5, s4, 31
	v_lshlrev_b32_e32 v21, 4, v34
	s_lshl_b64 s[18:19], s[4:5], 1
	s_delay_alu instid0(VALU_DEP_2) | instskip(NEXT) | instid1(VALU_DEP_1)
	v_ashrrev_i32_e32 v20, 31, v19
	v_lshlrev_b64 v[19:20], 1, v[19:20]
	s_delay_alu instid0(VALU_DEP_1) | instskip(NEXT) | instid1(VALU_DEP_2)
	v_add_co_u32 v6, vcc_lo, v6, v19
	v_add_co_ci_u32_e32 v7, vcc_lo, v7, v20, vcc_lo
	s_delay_alu instid0(VALU_DEP_2) | instskip(NEXT) | instid1(VALU_DEP_2)
	v_add_co_u32 v6, vcc_lo, v6, s18
	v_add_co_ci_u32_e32 v7, vcc_lo, s19, v7, vcc_lo
	s_delay_alu instid0(VALU_DEP_2) | instskip(NEXT) | instid1(VALU_DEP_2)
	v_add_co_u32 v6, vcc_lo, v6, v21
	v_add_co_ci_u32_e32 v7, vcc_lo, 0, v7, vcc_lo
	flat_load_b128 v[28:31], v[6:7]
	s_waitcnt vmcnt(0) lgkmcnt(0)
	ds_store_b128 v21, v[28:31]
.LBB365_5:
	s_or_b32 exec_lo, exec_lo, s2
	v_mul_lo_u32 v6, v17, v12
	s_clause 0x1
	s_load_b32 s13, s[8:9], 0x14
	s_load_b32 s5, s[8:9], 0x8
	s_lshl_b32 s8, s14, 4
	v_lshrrev_b32_e32 v36, 5, v34
	v_xor_b32_e32 v21, s1, v16
	v_mul_lo_u32 v16, s10, v18
	v_mov_b32_e32 v51, 0xff7fffff
	s_mov_b32 s9, exec_lo
	v_lshlrev_b32_e32 v38, 5, v36
	v_sub_nc_u32_e32 v6, s0, v6
	s_add_i32 s0, s8, 16
	s_waitcnt vmcnt(0) lgkmcnt(0)
	s_waitcnt_vscnt null, 0x0
	s_barrier
	buffer_gl0_inv
	v_sub_nc_u32_e32 v19, v6, v12
	v_cmp_ge_u32_e32 vcc_lo, v6, v12
	v_add_nc_u32_e32 v7, 1, v17
	s_delay_alu instid0(VALU_DEP_3) | instskip(NEXT) | instid1(VALU_DEP_2)
	v_dual_cndmask_b32 v6, v6, v19 :: v_dual_and_b32 v37, 31, v34
	v_cndmask_b32_e32 v7, v17, v7, vcc_lo
	v_add_nc_u32_e32 v17, 31, v35
	s_delay_alu instid0(VALU_DEP_3) | instskip(NEXT) | instid1(VALU_DEP_4)
	v_lshlrev_b32_e32 v49, 2, v37
	v_cmp_ge_u32_e32 vcc_lo, v6, v12
	s_delay_alu instid0(VALU_DEP_4) | instskip(NEXT) | instid1(VALU_DEP_4)
	v_add_nc_u32_e32 v19, 1, v7
	v_ashrrev_i32_e32 v20, 31, v17
	s_delay_alu instid0(VALU_DEP_2) | instskip(NEXT) | instid1(VALU_DEP_2)
	v_cndmask_b32_e32 v6, v7, v19, vcc_lo
	v_lshrrev_b32_e32 v7, 27, v20
	s_delay_alu instid0(VALU_DEP_2) | instskip(NEXT) | instid1(VALU_DEP_2)
	v_xor_b32_e32 v6, v6, v21
	v_add_nc_u32_e32 v7, v17, v7
	v_ashrrev_i32_e32 v17, 31, v16
	s_delay_alu instid0(VALU_DEP_3) | instskip(NEXT) | instid1(VALU_DEP_3)
	v_sub_nc_u32_e32 v18, v6, v21
	v_ashrrev_i32_e32 v12, 5, v7
	v_add_nc_u32_e32 v6, s8, v36
	s_delay_alu instid0(VALU_DEP_4) | instskip(NEXT) | instid1(VALU_DEP_4)
	v_lshlrev_b64 v[16:17], 2, v[16:17]
	v_mul_lo_u32 v39, v18, v23
	s_delay_alu instid0(VALU_DEP_4) | instskip(NEXT) | instid1(VALU_DEP_4)
	v_min_i32_e32 v23, s0, v12
	v_ashrrev_i32_e32 v7, 31, v6
	s_delay_alu instid0(VALU_DEP_2) | instskip(NEXT) | instid1(VALU_DEP_4)
	v_cmp_ge_i32_e64 s0, v6, v23
	v_ashrrev_i32_e32 v48, 31, v39
	v_cmpx_lt_i32_e64 v6, v23
	s_cbranch_execz .LBB365_905
; %bb.6:
	s_getpc_b64 s[2:3]
	s_add_u32 s2, s2, llvm.amdgcn.dynlds.offset.table@rel32@lo+4
	s_addc_u32 s3, s3, llvm.amdgcn.dynlds.offset.table@rel32@hi+12
	s_ashr_i32 s7, s6, 31
	v_lshlrev_b64 v[20:21], 2, v[6:7]
	s_lshl_b64 s[18:19], s[6:7], 2
	v_lshlrev_b32_e32 v18, 4, v37
	s_add_u32 s2, s18, s2
	s_addc_u32 s3, s19, s3
	v_add_co_u32 v8, vcc_lo, v8, v39
	s_load_b32 s2, s[2:3], 0x0
	v_add_co_ci_u32_e32 v19, vcc_lo, v9, v48, vcc_lo
	v_mov_b32_e32 v9, 0
	s_delay_alu instid0(VALU_DEP_3) | instskip(SKIP_1) | instid1(VALU_DEP_1)
	v_add_co_u32 v18, vcc_lo, v8, v18
	v_add_co_u32 v8, s1, v16, v20
	v_add_co_ci_u32_e64 v21, s1, v17, v21, s1
	v_lshl_or_b32 v28, v36, 7, v49
	s_delay_alu instid0(VALU_DEP_3)
	v_add_co_u32 v20, s1, v14, v8
	v_add_co_ci_u32_e32 v19, vcc_lo, 0, v19, vcc_lo
	v_cmp_neq_f32_e32 vcc_lo, 0, v50
	v_add_co_ci_u32_e64 v21, s1, v15, v21, s1
	v_sub_nc_u32_e32 v52, 1, v35
	v_add3_u32 v53, s16, v38, v37
	s_waitcnt lgkmcnt(0)
	v_dual_mov_b32 v51, 0xff7fffff :: v_dual_add_nc_u32 v54, s2, v28
	v_mov_b32_e32 v55, v6
	s_mov_b32 s2, -1
	s_mov_b32 s3, 0xffffff
	s_mov_b32 s7, 0
	s_branch .LBB365_11
.LBB365_7:                              ;   in Loop: Header=BB365_11 Depth=1
	s_or_b32 exec_lo, exec_lo, s20
	v_lshlrev_b32_e32 v8, 8, v30
	v_lshl_add_u32 v29, v31, 10, 0x2000
	s_delay_alu instid0(VALU_DEP_1) | instskip(NEXT) | instid1(VALU_DEP_1)
	v_and_or_b32 v8, 0x8000, v8, v29
	v_lshl_or_b32 v8, v28, 7, v8
	s_delay_alu instid0(VALU_DEP_1)
	v_cvt_f32_f16_e32 v28, v8
.LBB365_8:                              ;   in Loop: Header=BB365_11 Depth=1
	s_or_b32 exec_lo, exec_lo, s19
.LBB365_9:                              ;   in Loop: Header=BB365_11 Depth=1
	s_delay_alu instid0(SALU_CYCLE_1)
	s_or_b32 exec_lo, exec_lo, s18
.LBB365_10:                             ;   in Loop: Header=BB365_11 Depth=1
	s_delay_alu instid0(SALU_CYCLE_1)
	s_or_b32 exec_lo, exec_lo, s17
	v_fma_mixlo_f16 v61, v64, v57, 0
	v_fma_mixlo_f16 v57, v64, v79, 0
	;; [unrolled: 1-line block ×54, first 2 shown]
	ds_load_b128 v[122:125], v9
	v_fma_mixlo_f16 v138, v64, v65, 0
	v_fma_mixlo_f16 v59, v64, v59, 0
	;; [unrolled: 1-line block ×58, first 2 shown]
	s_waitcnt lgkmcnt(0)
	v_lshrrev_b32_e32 v64, 16, v122
	v_and_b32_e32 v80, 0xffff, v122
	;;#ASMSTART
	v_cvt_f32_f16 v80, v80;
	;;#ASMEND
	;;#ASMSTART
	v_cvt_f32_f16 v126, v64;
	;;#ASMEND
	v_and_b32_e32 v64, 0xffff, v138
	;;#ASMSTART
	v_cvt_f32_f16 v127, v64;
	;;#ASMEND
	v_and_b32_e32 v64, 0xffff, v137
	;;#ASMSTART
	v_cvt_f32_f16 v136, v64;
	;;#ASMEND
	v_lshrrev_b32_e32 v64, 16, v123
	v_and_b32_e32 v122, 0xffff, v123
	;;#ASMSTART
	v_cvt_f32_f16 v137, v122;
	;;#ASMEND
	;;#ASMSTART
	v_cvt_f32_f16 v138, v64;
	;;#ASMEND
	v_and_b32_e32 v64, 0xffff, v96
	;;#ASMSTART
	v_cvt_f32_f16 v96, v64;
	;;#ASMEND
	v_and_b32_e32 v64, 0xffff, v87
	;;#ASMSTART
	v_cvt_f32_f16 v87, v64;
	;;#ASMEND
	;; [unrolled: 16-line block ×4, first 2 shown]
	ds_load_b128 v[122:125], v9 offset:16
	v_and_b32_e32 v71, 0xffff, v103
	v_and_b32_e32 v85, 0xffff, v85
	;; [unrolled: 1-line block ×16, first 2 shown]
	v_cmp_lt_i32_e64 s1, v53, v35
	v_add_nc_u32_e32 v55, 4, v55
	s_waitcnt lgkmcnt(0)
	v_lshrrev_b32_e32 v64, 16, v122
	v_and_b32_e32 v69, 0xffff, v122
	;;#ASMSTART
	v_cvt_f32_f16 v69, v69;
	;;#ASMEND
	;;#ASMSTART
	v_cvt_f32_f16 v70, v64;
	;;#ASMEND
	v_and_b32_e32 v64, 0xffff, v112
	;;#ASMSTART
	v_cvt_f32_f16 v64, v64;
	;;#ASMEND
	;;#ASMSTART
	v_cvt_f32_f16 v71, v71;
	;;#ASMEND
	v_add_nc_u32_e32 v8, v52, v53
	s_delay_alu instid0(VALU_DEP_2) | instskip(SKIP_2) | instid1(VALU_DEP_4)
	v_dual_mul_f32 v64, v69, v64 :: v_dual_mul_f32 v69, v70, v71
	v_lshrrev_b32_e32 v70, 16, v123
	v_and_b32_e32 v71, 0xffff, v123
	v_cvt_f32_i32_e32 v8, v8
	s_delay_alu instid0(VALU_DEP_4)
	v_fmac_f32_e32 v64, v80, v127
	;;#ASMSTART
	v_cvt_f32_f16 v71, v71;
	;;#ASMEND
	;;#ASMSTART
	v_cvt_f32_f16 v70, v70;
	;;#ASMEND
	v_and_b32_e32 v80, 0xffff, v102
	v_mul_f32_e32 v8, v50, v8
	;;#ASMSTART
	v_cvt_f32_f16 v80, v80;
	;;#ASMEND
	;;#ASMSTART
	v_cvt_f32_f16 v85, v85;
	;;#ASMEND
	s_delay_alu instid0(VALU_DEP_2) | instskip(NEXT) | instid1(VALU_DEP_2)
	v_dual_mul_f32 v70, v70, v85 :: v_dual_mul_f32 v71, v71, v80
	v_cndmask_b32_e32 v8, 0, v8, vcc_lo
	v_lshrrev_b32_e32 v80, 16, v124
	s_delay_alu instid0(VALU_DEP_3)
	v_dual_fmac_f32 v70, v138, v87 :: v_dual_and_b32 v85, 0xffff, v124
	;;#ASMSTART
	v_cvt_f32_f16 v85, v85;
	;;#ASMEND
	;;#ASMSTART
	v_cvt_f32_f16 v80, v80;
	;;#ASMEND
	;; [unrolled: 3-line block ×3, first 2 shown]
	v_and_b32_e32 v81, 0xffff, v81
	;;#ASMSTART
	v_cvt_f32_f16 v87, v81;
	;;#ASMEND
	v_dual_mul_f32 v80, v80, v87 :: v_dual_mul_f32 v81, v85, v84
	v_lshrrev_b32_e32 v84, 16, v125
	v_and_b32_e32 v85, 0xffff, v125
	;;#ASMSTART
	v_cvt_f32_f16 v85, v85;
	;;#ASMEND
	s_delay_alu instid0(VALU_DEP_3)
	v_fmac_f32_e32 v80, v140, v141
	;;#ASMSTART
	v_cvt_f32_f16 v84, v84;
	;;#ASMEND
	;;#ASMSTART
	v_cvt_f32_f16 v83, v83;
	;;#ASMEND
	;; [unrolled: 3-line block ×3, first 2 shown]
	v_fmac_f32_e32 v81, v139, v86
	v_dual_mul_f32 v83, v85, v83 :: v_dual_mul_f32 v82, v84, v82
	ds_load_b128 v[84:87], v9 offset:32
	v_fmac_f32_e32 v69, v126, v136
	v_fmac_f32_e32 v71, v137, v96
	v_and_b32_e32 v102, 0xffff, v128
	v_dual_fmac_f32 v82, v143, v153 :: v_dual_fmac_f32 v83, v142, v152
	v_and_b32_e32 v101, 0xffff, v101
	v_add_nc_u32_e32 v53, 0x80, v53
	s_waitcnt lgkmcnt(0)
	v_lshrrev_b32_e32 v96, 16, v84
	v_and_b32_e32 v84, 0xffff, v84
	;;#ASMSTART
	v_cvt_f32_f16 v84, v84;
	;;#ASMEND
	;;#ASMSTART
	v_cvt_f32_f16 v96, v96;
	;;#ASMEND
	;; [unrolled: 3-line block ×3, first 2 shown]
	s_delay_alu instid0(VALU_DEP_1)
	v_fmac_f32_e32 v64, v84, v102
	v_lshrrev_b32_e32 v84, 16, v85
	v_and_b32_e32 v85, 0xffff, v85
	;;#ASMSTART
	v_cvt_f32_f16 v103, v103;
	;;#ASMEND
	v_fmac_f32_e32 v69, v96, v103
	;;#ASMSTART
	v_cvt_f32_f16 v85, v85;
	;;#ASMEND
	;;#ASMSTART
	v_cvt_f32_f16 v84, v84;
	;;#ASMEND
	v_and_b32_e32 v96, 0xffff, v118
	;;#ASMSTART
	v_cvt_f32_f16 v96, v96;
	;;#ASMEND
	;;#ASMSTART
	v_cvt_f32_f16 v101, v101;
	;;#ASMEND
	s_delay_alu instid0(VALU_DEP_1)
	v_dual_fmac_f32 v71, v85, v96 :: v_dual_fmac_f32 v70, v84, v101
	v_and_b32_e32 v85, 0xffff, v86
	v_lshrrev_b32_e32 v84, 16, v86
	v_and_b32_e32 v86, 0xffff, v100
	;;#ASMSTART
	v_cvt_f32_f16 v85, v85;
	;;#ASMEND
	;;#ASMSTART
	v_cvt_f32_f16 v84, v84;
	;;#ASMEND
	;; [unrolled: 3-line block ×3, first 2 shown]
	v_and_b32_e32 v96, 0xffff, v99
	;;#ASMSTART
	v_cvt_f32_f16 v96, v96;
	;;#ASMEND
	s_delay_alu instid0(VALU_DEP_1)
	v_dual_fmac_f32 v81, v85, v86 :: v_dual_fmac_f32 v80, v84, v96
	v_lshrrev_b32_e32 v84, 16, v87
	v_and_b32_e32 v85, 0xffff, v87
	v_and_b32_e32 v86, 0xffff, v98
	;; [unrolled: 1-line block ×3, first 2 shown]
	;;#ASMSTART
	v_cvt_f32_f16 v85, v85;
	;;#ASMEND
	;;#ASMSTART
	v_cvt_f32_f16 v84, v84;
	;;#ASMEND
	;; [unrolled: 3-line block ×4, first 2 shown]
	v_dual_fmac_f32 v83, v85, v86 :: v_dual_fmac_f32 v82, v84, v87
	v_and_b32_e32 v97, 0xffff, v144
	ds_load_b128 v[84:87], v9 offset:48
	v_and_b32_e32 v98, 0xffff, v135
	s_waitcnt lgkmcnt(0)
	v_lshrrev_b32_e32 v96, 16, v84
	v_and_b32_e32 v84, 0xffff, v84
	;;#ASMSTART
	v_cvt_f32_f16 v84, v84;
	;;#ASMEND
	;;#ASMSTART
	v_cvt_f32_f16 v96, v96;
	;;#ASMEND
	;; [unrolled: 3-line block ×3, first 2 shown]
	s_delay_alu instid0(VALU_DEP_1)
	v_fmac_f32_e32 v64, v84, v97
	v_lshrrev_b32_e32 v84, 16, v85
	v_and_b32_e32 v85, 0xffff, v85
	;;#ASMSTART
	v_cvt_f32_f16 v98, v98;
	;;#ASMEND
	v_fmac_f32_e32 v69, v96, v98
	;;#ASMSTART
	v_cvt_f32_f16 v85, v85;
	;;#ASMEND
	;;#ASMSTART
	v_cvt_f32_f16 v84, v84;
	;;#ASMEND
	v_and_b32_e32 v96, 0xffff, v134
	v_and_b32_e32 v97, 0xffff, v117
	;;#ASMSTART
	v_cvt_f32_f16 v96, v96;
	;;#ASMEND
	;;#ASMSTART
	v_cvt_f32_f16 v97, v97;
	;;#ASMEND
	s_delay_alu instid0(VALU_DEP_1)
	v_dual_fmac_f32 v71, v85, v96 :: v_dual_fmac_f32 v70, v84, v97
	v_and_b32_e32 v85, 0xffff, v86
	v_lshrrev_b32_e32 v84, 16, v86
	v_and_b32_e32 v86, 0xffff, v116
	;;#ASMSTART
	v_cvt_f32_f16 v85, v85;
	;;#ASMEND
	;;#ASMSTART
	v_cvt_f32_f16 v84, v84;
	;;#ASMEND
	;; [unrolled: 3-line block ×3, first 2 shown]
	v_and_b32_e32 v96, 0xffff, v115
	;;#ASMSTART
	v_cvt_f32_f16 v96, v96;
	;;#ASMEND
	s_delay_alu instid0(VALU_DEP_1)
	v_dual_fmac_f32 v81, v85, v86 :: v_dual_fmac_f32 v80, v84, v96
	v_lshrrev_b32_e32 v84, 16, v87
	v_and_b32_e32 v85, 0xffff, v87
	v_and_b32_e32 v86, 0xffff, v114
	;; [unrolled: 1-line block ×3, first 2 shown]
	;;#ASMSTART
	v_cvt_f32_f16 v85, v85;
	;;#ASMEND
	;;#ASMSTART
	v_cvt_f32_f16 v84, v84;
	;;#ASMEND
	;;#ASMSTART
	v_cvt_f32_f16 v86, v86;
	;;#ASMEND
	;;#ASMSTART
	v_cvt_f32_f16 v87, v87;
	;;#ASMEND
	v_dual_fmac_f32 v83, v85, v86 :: v_dual_fmac_f32 v82, v84, v87
	ds_load_b128 v[84:87], v9 offset:64
	v_and_b32_e32 v97, 0xffff, v160
	v_and_b32_e32 v98, 0xffff, v151
	s_waitcnt lgkmcnt(0)
	v_lshrrev_b32_e32 v96, 16, v84
	v_and_b32_e32 v84, 0xffff, v84
	;;#ASMSTART
	v_cvt_f32_f16 v84, v84;
	;;#ASMEND
	;;#ASMSTART
	v_cvt_f32_f16 v96, v96;
	;;#ASMEND
	;; [unrolled: 3-line block ×3, first 2 shown]
	s_delay_alu instid0(VALU_DEP_1)
	v_fmac_f32_e32 v64, v84, v97
	v_lshrrev_b32_e32 v84, 16, v85
	v_and_b32_e32 v85, 0xffff, v85
	;;#ASMSTART
	v_cvt_f32_f16 v98, v98;
	;;#ASMEND
	v_fmac_f32_e32 v69, v96, v98
	;;#ASMSTART
	v_cvt_f32_f16 v85, v85;
	;;#ASMEND
	;;#ASMSTART
	v_cvt_f32_f16 v84, v84;
	;;#ASMEND
	v_and_b32_e32 v96, 0xffff, v150
	v_and_b32_e32 v97, 0xffff, v133
	;;#ASMSTART
	v_cvt_f32_f16 v96, v96;
	;;#ASMEND
	;;#ASMSTART
	v_cvt_f32_f16 v97, v97;
	;;#ASMEND
	s_delay_alu instid0(VALU_DEP_1)
	v_dual_fmac_f32 v71, v85, v96 :: v_dual_fmac_f32 v70, v84, v97
	v_and_b32_e32 v85, 0xffff, v86
	v_lshrrev_b32_e32 v84, 16, v86
	v_and_b32_e32 v86, 0xffff, v132
	;;#ASMSTART
	v_cvt_f32_f16 v85, v85;
	;;#ASMEND
	;;#ASMSTART
	v_cvt_f32_f16 v84, v84;
	;;#ASMEND
	;;#ASMSTART
	v_cvt_f32_f16 v86, v86;
	;;#ASMEND
	v_and_b32_e32 v96, 0xffff, v131
	;;#ASMSTART
	v_cvt_f32_f16 v96, v96;
	;;#ASMEND
	s_delay_alu instid0(VALU_DEP_1)
	v_dual_fmac_f32 v81, v85, v86 :: v_dual_fmac_f32 v80, v84, v96
	v_lshrrev_b32_e32 v84, 16, v87
	v_and_b32_e32 v85, 0xffff, v87
	v_and_b32_e32 v86, 0xffff, v130
	;; [unrolled: 1-line block ×3, first 2 shown]
	;;#ASMSTART
	v_cvt_f32_f16 v85, v85;
	;;#ASMEND
	;;#ASMSTART
	v_cvt_f32_f16 v84, v84;
	;;#ASMEND
	;; [unrolled: 3-line block ×4, first 2 shown]
	v_dual_fmac_f32 v83, v85, v86 :: v_dual_fmac_f32 v82, v84, v87
	ds_load_b128 v[84:87], v9 offset:80
	v_and_b32_e32 v97, 0xffff, v176
	v_and_b32_e32 v98, 0xffff, v167
	s_waitcnt lgkmcnt(0)
	v_lshrrev_b32_e32 v96, 16, v84
	v_and_b32_e32 v84, 0xffff, v84
	;;#ASMSTART
	v_cvt_f32_f16 v84, v84;
	;;#ASMEND
	;;#ASMSTART
	v_cvt_f32_f16 v96, v96;
	;;#ASMEND
	;;#ASMSTART
	v_cvt_f32_f16 v97, v97;
	;;#ASMEND
	s_delay_alu instid0(VALU_DEP_1)
	v_fmac_f32_e32 v64, v84, v97
	v_lshrrev_b32_e32 v84, 16, v85
	v_and_b32_e32 v85, 0xffff, v85
	;;#ASMSTART
	v_cvt_f32_f16 v98, v98;
	;;#ASMEND
	v_fmac_f32_e32 v69, v96, v98
	;;#ASMSTART
	v_cvt_f32_f16 v85, v85;
	;;#ASMEND
	;;#ASMSTART
	v_cvt_f32_f16 v84, v84;
	;;#ASMEND
	v_and_b32_e32 v96, 0xffff, v166
	v_and_b32_e32 v97, 0xffff, v149
	;;#ASMSTART
	v_cvt_f32_f16 v96, v96;
	;;#ASMEND
	;;#ASMSTART
	v_cvt_f32_f16 v97, v97;
	;;#ASMEND
	s_delay_alu instid0(VALU_DEP_1)
	v_dual_fmac_f32 v71, v85, v96 :: v_dual_fmac_f32 v70, v84, v97
	v_and_b32_e32 v85, 0xffff, v86
	v_lshrrev_b32_e32 v84, 16, v86
	v_and_b32_e32 v86, 0xffff, v148
	;;#ASMSTART
	v_cvt_f32_f16 v85, v85;
	;;#ASMEND
	;;#ASMSTART
	v_cvt_f32_f16 v84, v84;
	;;#ASMEND
	;; [unrolled: 3-line block ×3, first 2 shown]
	v_and_b32_e32 v96, 0xffff, v147
	;;#ASMSTART
	v_cvt_f32_f16 v96, v96;
	;;#ASMEND
	s_delay_alu instid0(VALU_DEP_1)
	v_dual_fmac_f32 v81, v85, v86 :: v_dual_fmac_f32 v80, v84, v96
	v_lshrrev_b32_e32 v84, 16, v87
	v_and_b32_e32 v85, 0xffff, v87
	v_and_b32_e32 v86, 0xffff, v146
	;; [unrolled: 1-line block ×3, first 2 shown]
	;;#ASMSTART
	v_cvt_f32_f16 v85, v85;
	;;#ASMEND
	;;#ASMSTART
	v_cvt_f32_f16 v84, v84;
	;;#ASMEND
	;; [unrolled: 3-line block ×4, first 2 shown]
	v_dual_fmac_f32 v83, v85, v86 :: v_dual_fmac_f32 v82, v84, v87
	ds_load_b128 v[84:87], v9 offset:96
	v_and_b32_e32 v97, 0xffff, v40
	v_and_b32_e32 v98, 0xffff, v183
	s_waitcnt lgkmcnt(0)
	v_lshrrev_b32_e32 v96, 16, v84
	v_and_b32_e32 v84, 0xffff, v84
	;;#ASMSTART
	v_cvt_f32_f16 v84, v84;
	;;#ASMEND
	;;#ASMSTART
	v_cvt_f32_f16 v96, v96;
	;;#ASMEND
	;; [unrolled: 3-line block ×3, first 2 shown]
	s_delay_alu instid0(VALU_DEP_1)
	v_fmac_f32_e32 v64, v84, v97
	v_lshrrev_b32_e32 v84, 16, v85
	v_and_b32_e32 v85, 0xffff, v85
	;;#ASMSTART
	v_cvt_f32_f16 v98, v98;
	;;#ASMEND
	v_fmac_f32_e32 v69, v96, v98
	;;#ASMSTART
	v_cvt_f32_f16 v85, v85;
	;;#ASMEND
	;;#ASMSTART
	v_cvt_f32_f16 v84, v84;
	;;#ASMEND
	v_and_b32_e32 v96, 0xffff, v182
	v_and_b32_e32 v97, 0xffff, v165
	;;#ASMSTART
	v_cvt_f32_f16 v96, v96;
	;;#ASMEND
	;;#ASMSTART
	v_cvt_f32_f16 v97, v97;
	;;#ASMEND
	s_delay_alu instid0(VALU_DEP_1)
	v_dual_fmac_f32 v71, v85, v96 :: v_dual_fmac_f32 v70, v84, v97
	v_and_b32_e32 v85, 0xffff, v86
	v_lshrrev_b32_e32 v84, 16, v86
	v_and_b32_e32 v86, 0xffff, v164
	;;#ASMSTART
	v_cvt_f32_f16 v85, v85;
	;;#ASMEND
	;;#ASMSTART
	v_cvt_f32_f16 v84, v84;
	;;#ASMEND
	;; [unrolled: 3-line block ×3, first 2 shown]
	v_and_b32_e32 v96, 0xffff, v163
	;;#ASMSTART
	v_cvt_f32_f16 v96, v96;
	;;#ASMEND
	s_delay_alu instid0(VALU_DEP_1)
	v_dual_fmac_f32 v81, v85, v86 :: v_dual_fmac_f32 v80, v84, v96
	v_lshrrev_b32_e32 v84, 16, v87
	v_and_b32_e32 v85, 0xffff, v87
	v_and_b32_e32 v86, 0xffff, v162
	;; [unrolled: 1-line block ×3, first 2 shown]
	;;#ASMSTART
	v_cvt_f32_f16 v85, v85;
	;;#ASMEND
	;;#ASMSTART
	v_cvt_f32_f16 v84, v84;
	;;#ASMEND
	;; [unrolled: 3-line block ×4, first 2 shown]
	v_dual_fmac_f32 v83, v85, v86 :: v_dual_fmac_f32 v82, v84, v87
	ds_load_b128 v[84:87], v9 offset:112
	v_and_b32_e32 v97, 0xffff, v58
	v_and_b32_e32 v98, 0xffff, v47
	s_waitcnt lgkmcnt(0)
	v_lshrrev_b32_e32 v96, 16, v84
	v_and_b32_e32 v84, 0xffff, v84
	;;#ASMSTART
	v_cvt_f32_f16 v84, v84;
	;;#ASMEND
	;;#ASMSTART
	v_cvt_f32_f16 v96, v96;
	;;#ASMEND
	;; [unrolled: 3-line block ×3, first 2 shown]
	s_delay_alu instid0(VALU_DEP_1)
	v_fmac_f32_e32 v64, v84, v97
	v_lshrrev_b32_e32 v84, 16, v85
	v_and_b32_e32 v85, 0xffff, v85
	;;#ASMSTART
	v_cvt_f32_f16 v98, v98;
	;;#ASMEND
	v_fmac_f32_e32 v69, v96, v98
	;;#ASMSTART
	v_cvt_f32_f16 v85, v85;
	;;#ASMEND
	;;#ASMSTART
	v_cvt_f32_f16 v84, v84;
	;;#ASMEND
	v_and_b32_e32 v96, 0xffff, v46
	v_and_b32_e32 v97, 0xffff, v181
	;;#ASMSTART
	v_cvt_f32_f16 v96, v96;
	;;#ASMEND
	;;#ASMSTART
	v_cvt_f32_f16 v97, v97;
	;;#ASMEND
	s_delay_alu instid0(VALU_DEP_1)
	v_dual_fmac_f32 v71, v85, v96 :: v_dual_fmac_f32 v70, v84, v97
	v_and_b32_e32 v85, 0xffff, v86
	v_lshrrev_b32_e32 v84, 16, v86
	v_and_b32_e32 v86, 0xffff, v180
	;;#ASMSTART
	v_cvt_f32_f16 v85, v85;
	;;#ASMEND
	;;#ASMSTART
	v_cvt_f32_f16 v84, v84;
	;;#ASMEND
	;; [unrolled: 3-line block ×3, first 2 shown]
	v_and_b32_e32 v96, 0xffff, v179
	;;#ASMSTART
	v_cvt_f32_f16 v96, v96;
	;;#ASMEND
	s_delay_alu instid0(VALU_DEP_1)
	v_dual_fmac_f32 v81, v85, v86 :: v_dual_fmac_f32 v80, v84, v96
	v_lshrrev_b32_e32 v84, 16, v87
	v_and_b32_e32 v85, 0xffff, v87
	v_and_b32_e32 v86, 0xffff, v178
	v_and_b32_e32 v87, 0xffff, v177
	;;#ASMSTART
	v_cvt_f32_f16 v85, v85;
	;;#ASMEND
	;;#ASMSTART
	v_cvt_f32_f16 v84, v84;
	;;#ASMEND
	;; [unrolled: 3-line block ×4, first 2 shown]
	v_dual_fmac_f32 v83, v85, v86 :: v_dual_fmac_f32 v82, v84, v87
	ds_load_b128 v[84:87], v9 offset:128
	v_and_b32_e32 v97, 0xffff, v110
	v_and_b32_e32 v98, 0xffff, v106
	s_waitcnt lgkmcnt(0)
	v_lshrrev_b32_e32 v96, 16, v84
	v_and_b32_e32 v84, 0xffff, v84
	;;#ASMSTART
	v_cvt_f32_f16 v84, v84;
	;;#ASMEND
	;;#ASMSTART
	v_cvt_f32_f16 v96, v96;
	;;#ASMEND
	;; [unrolled: 3-line block ×3, first 2 shown]
	s_delay_alu instid0(VALU_DEP_1)
	v_fmac_f32_e32 v64, v84, v97
	v_lshrrev_b32_e32 v84, 16, v85
	v_and_b32_e32 v85, 0xffff, v85
	;;#ASMSTART
	v_cvt_f32_f16 v98, v98;
	;;#ASMEND
	v_fmac_f32_e32 v69, v96, v98
	;;#ASMSTART
	v_cvt_f32_f16 v85, v85;
	;;#ASMEND
	;;#ASMSTART
	v_cvt_f32_f16 v84, v84;
	;;#ASMEND
	v_and_b32_e32 v96, 0xffff, v104
	v_and_b32_e32 v97, 0xffff, v45
	;;#ASMSTART
	v_cvt_f32_f16 v96, v96;
	;;#ASMEND
	;;#ASMSTART
	v_cvt_f32_f16 v97, v97;
	;;#ASMEND
	s_delay_alu instid0(VALU_DEP_1)
	v_dual_fmac_f32 v71, v85, v96 :: v_dual_fmac_f32 v70, v84, v97
	v_and_b32_e32 v85, 0xffff, v86
	v_lshrrev_b32_e32 v84, 16, v86
	v_and_b32_e32 v86, 0xffff, v44
	;;#ASMSTART
	v_cvt_f32_f16 v85, v85;
	;;#ASMEND
	;;#ASMSTART
	v_cvt_f32_f16 v84, v84;
	;;#ASMEND
	;; [unrolled: 3-line block ×3, first 2 shown]
	v_and_b32_e32 v96, 0xffff, v43
	;;#ASMSTART
	v_cvt_f32_f16 v96, v96;
	;;#ASMEND
	s_delay_alu instid0(VALU_DEP_1)
	v_dual_fmac_f32 v81, v85, v86 :: v_dual_fmac_f32 v80, v84, v96
	v_lshrrev_b32_e32 v84, 16, v87
	v_and_b32_e32 v85, 0xffff, v87
	v_and_b32_e32 v86, 0xffff, v42
	;; [unrolled: 1-line block ×3, first 2 shown]
	;;#ASMSTART
	v_cvt_f32_f16 v85, v85;
	;;#ASMEND
	;;#ASMSTART
	v_cvt_f32_f16 v84, v84;
	;;#ASMEND
	;; [unrolled: 3-line block ×4, first 2 shown]
	v_dual_fmac_f32 v83, v85, v86 :: v_dual_fmac_f32 v82, v84, v87
	ds_load_b128 v[84:87], v9 offset:144
	v_and_b32_e32 v97, 0xffff, v121
	v_and_b32_e32 v98, 0xffff, v120
	s_waitcnt lgkmcnt(0)
	v_lshrrev_b32_e32 v96, 16, v84
	v_and_b32_e32 v84, 0xffff, v84
	;;#ASMSTART
	v_cvt_f32_f16 v84, v84;
	;;#ASMEND
	;;#ASMSTART
	v_cvt_f32_f16 v96, v96;
	;;#ASMEND
	;; [unrolled: 3-line block ×3, first 2 shown]
	s_delay_alu instid0(VALU_DEP_1)
	v_fmac_f32_e32 v64, v84, v97
	v_lshrrev_b32_e32 v84, 16, v85
	v_and_b32_e32 v85, 0xffff, v85
	;;#ASMSTART
	v_cvt_f32_f16 v98, v98;
	;;#ASMEND
	v_fmac_f32_e32 v69, v96, v98
	;;#ASMSTART
	v_cvt_f32_f16 v85, v85;
	;;#ASMEND
	;;#ASMSTART
	v_cvt_f32_f16 v84, v84;
	;;#ASMEND
	v_and_b32_e32 v96, 0xffff, v111
	v_and_b32_e32 v97, 0xffff, v91
	;;#ASMSTART
	v_cvt_f32_f16 v96, v96;
	;;#ASMEND
	;;#ASMSTART
	v_cvt_f32_f16 v97, v97;
	;;#ASMEND
	s_delay_alu instid0(VALU_DEP_1)
	v_dual_fmac_f32 v71, v85, v96 :: v_dual_fmac_f32 v70, v84, v97
	v_and_b32_e32 v85, 0xffff, v86
	v_lshrrev_b32_e32 v84, 16, v86
	v_and_b32_e32 v86, 0xffff, v90
	;;#ASMSTART
	v_cvt_f32_f16 v85, v85;
	;;#ASMEND
	;;#ASMSTART
	v_cvt_f32_f16 v84, v84;
	;;#ASMEND
	;; [unrolled: 3-line block ×3, first 2 shown]
	v_and_b32_e32 v96, 0xffff, v75
	;;#ASMSTART
	v_cvt_f32_f16 v96, v96;
	;;#ASMEND
	s_delay_alu instid0(VALU_DEP_1)
	v_dual_fmac_f32 v81, v85, v86 :: v_dual_fmac_f32 v80, v84, v96
	v_lshrrev_b32_e32 v84, 16, v87
	v_and_b32_e32 v85, 0xffff, v87
	v_and_b32_e32 v86, 0xffff, v74
	;; [unrolled: 1-line block ×3, first 2 shown]
	;;#ASMSTART
	v_cvt_f32_f16 v85, v85;
	;;#ASMEND
	;;#ASMSTART
	v_cvt_f32_f16 v84, v84;
	;;#ASMEND
	;; [unrolled: 3-line block ×4, first 2 shown]
	v_dual_fmac_f32 v83, v85, v86 :: v_dual_fmac_f32 v82, v84, v87
	ds_load_b128 v[84:87], v9 offset:160
	v_and_b32_e32 v97, 0xffff, v109
	v_and_b32_e32 v98, 0xffff, v108
	s_waitcnt lgkmcnt(0)
	v_lshrrev_b32_e32 v96, 16, v84
	v_and_b32_e32 v84, 0xffff, v84
	;;#ASMSTART
	v_cvt_f32_f16 v84, v84;
	;;#ASMEND
	;;#ASMSTART
	v_cvt_f32_f16 v96, v96;
	;;#ASMEND
	;; [unrolled: 3-line block ×3, first 2 shown]
	s_delay_alu instid0(VALU_DEP_1)
	v_fmac_f32_e32 v64, v84, v97
	v_lshrrev_b32_e32 v84, 16, v85
	v_and_b32_e32 v85, 0xffff, v85
	;;#ASMSTART
	v_cvt_f32_f16 v98, v98;
	;;#ASMEND
	v_fmac_f32_e32 v69, v96, v98
	;;#ASMSTART
	v_cvt_f32_f16 v85, v85;
	;;#ASMEND
	;;#ASMSTART
	v_cvt_f32_f16 v84, v84;
	;;#ASMEND
	v_and_b32_e32 v96, 0xffff, v107
	v_and_b32_e32 v97, 0xffff, v105
	;;#ASMSTART
	v_cvt_f32_f16 v96, v96;
	;;#ASMEND
	;;#ASMSTART
	v_cvt_f32_f16 v97, v97;
	;;#ASMEND
	s_delay_alu instid0(VALU_DEP_1)
	v_dual_fmac_f32 v71, v85, v96 :: v_dual_fmac_f32 v70, v84, v97
	v_lshrrev_b32_e32 v84, 16, v86
	v_and_b32_e32 v85, 0xffff, v86
	v_and_b32_e32 v86, 0xffff, v95
	;;#ASMSTART
	v_cvt_f32_f16 v85, v85;
	;;#ASMEND
	;;#ASMSTART
	v_cvt_f32_f16 v84, v84;
	;;#ASMEND
	;; [unrolled: 3-line block ×3, first 2 shown]
	v_and_b32_e32 v96, 0xffff, v94
	;;#ASMSTART
	v_cvt_f32_f16 v96, v96;
	;;#ASMEND
	s_delay_alu instid0(VALU_DEP_1)
	v_dual_fmac_f32 v81, v85, v86 :: v_dual_fmac_f32 v80, v84, v96
	v_lshrrev_b32_e32 v84, 16, v87
	v_and_b32_e32 v85, 0xffff, v87
	v_and_b32_e32 v86, 0xffff, v93
	;; [unrolled: 1-line block ×3, first 2 shown]
	;;#ASMSTART
	v_cvt_f32_f16 v85, v85;
	;;#ASMEND
	;;#ASMSTART
	v_cvt_f32_f16 v84, v84;
	;;#ASMEND
	;; [unrolled: 3-line block ×4, first 2 shown]
	v_dual_fmac_f32 v83, v85, v86 :: v_dual_fmac_f32 v82, v84, v87
	ds_load_b128 v[84:87], v9 offset:176
	v_and_b32_e32 v97, 0xffff, v89
	v_and_b32_e32 v98, 0xffff, v88
	s_waitcnt lgkmcnt(0)
	v_lshrrev_b32_e32 v96, 16, v84
	v_and_b32_e32 v84, 0xffff, v84
	;;#ASMSTART
	v_cvt_f32_f16 v84, v84;
	;;#ASMEND
	;;#ASMSTART
	v_cvt_f32_f16 v96, v96;
	;;#ASMEND
	;; [unrolled: 3-line block ×3, first 2 shown]
	s_delay_alu instid0(VALU_DEP_1)
	v_fmac_f32_e32 v64, v84, v97
	v_lshrrev_b32_e32 v84, 16, v85
	v_and_b32_e32 v85, 0xffff, v85
	;;#ASMSTART
	v_cvt_f32_f16 v98, v98;
	;;#ASMEND
	v_fmac_f32_e32 v69, v96, v98
	;;#ASMSTART
	v_cvt_f32_f16 v85, v85;
	;;#ASMEND
	;;#ASMSTART
	v_cvt_f32_f16 v84, v84;
	;;#ASMEND
	v_and_b32_e32 v96, 0xffff, v79
	v_and_b32_e32 v97, 0xffff, v78
	;;#ASMSTART
	v_cvt_f32_f16 v96, v96;
	;;#ASMEND
	;;#ASMSTART
	v_cvt_f32_f16 v97, v97;
	;;#ASMEND
	s_delay_alu instid0(VALU_DEP_1)
	v_dual_fmac_f32 v71, v85, v96 :: v_dual_fmac_f32 v70, v84, v97
	v_lshrrev_b32_e32 v84, 16, v86
	v_and_b32_e32 v85, 0xffff, v86
	v_and_b32_e32 v86, 0xffff, v77
	;;#ASMSTART
	v_cvt_f32_f16 v85, v85;
	;;#ASMEND
	;;#ASMSTART
	v_cvt_f32_f16 v84, v84;
	;;#ASMEND
	;; [unrolled: 3-line block ×3, first 2 shown]
	v_and_b32_e32 v96, 0xffff, v76
	;;#ASMSTART
	v_cvt_f32_f16 v96, v96;
	;;#ASMEND
	s_delay_alu instid0(VALU_DEP_1)
	v_dual_fmac_f32 v81, v85, v86 :: v_dual_fmac_f32 v80, v84, v96
	v_lshrrev_b32_e32 v84, 16, v87
	v_and_b32_e32 v85, 0xffff, v87
	v_and_b32_e32 v86, 0xffff, v73
	;; [unrolled: 1-line block ×3, first 2 shown]
	;;#ASMSTART
	v_cvt_f32_f16 v85, v85;
	;;#ASMEND
	;;#ASMSTART
	v_cvt_f32_f16 v84, v84;
	;;#ASMEND
	;; [unrolled: 3-line block ×4, first 2 shown]
	v_dual_fmac_f32 v83, v85, v86 :: v_dual_fmac_f32 v82, v84, v87
	ds_load_b128 v[84:87], v9 offset:192
	v_and_b32_e32 v97, 0xffff, v63
	v_and_b32_e32 v98, 0xffff, v62
	s_waitcnt lgkmcnt(0)
	v_lshrrev_b32_e32 v96, 16, v84
	v_and_b32_e32 v84, 0xffff, v84
	;;#ASMSTART
	v_cvt_f32_f16 v84, v84;
	;;#ASMEND
	;;#ASMSTART
	v_cvt_f32_f16 v96, v96;
	;;#ASMEND
	;; [unrolled: 3-line block ×3, first 2 shown]
	s_delay_alu instid0(VALU_DEP_1)
	v_fmac_f32_e32 v64, v84, v97
	v_lshrrev_b32_e32 v84, 16, v85
	v_and_b32_e32 v85, 0xffff, v85
	;;#ASMSTART
	v_cvt_f32_f16 v98, v98;
	;;#ASMEND
	v_fmac_f32_e32 v69, v96, v98
	;;#ASMSTART
	v_cvt_f32_f16 v85, v85;
	;;#ASMEND
	;;#ASMSTART
	v_cvt_f32_f16 v84, v84;
	;;#ASMEND
	v_and_b32_e32 v96, 0xffff, v61
	v_and_b32_e32 v97, 0xffff, v59
	;;#ASMSTART
	v_cvt_f32_f16 v96, v96;
	;;#ASMEND
	;;#ASMSTART
	v_cvt_f32_f16 v97, v97;
	;;#ASMEND
	s_delay_alu instid0(VALU_DEP_1)
	v_dual_fmac_f32 v71, v85, v96 :: v_dual_fmac_f32 v70, v84, v97
	v_lshrrev_b32_e32 v84, 16, v86
	v_and_b32_e32 v85, 0xffff, v86
	;;#ASMSTART
	v_cvt_f32_f16 v85, v85;
	;;#ASMEND
	;;#ASMSTART
	v_cvt_f32_f16 v84, v84;
	;;#ASMEND
	v_and_b32_e32 v86, 0xffff, v57
	v_and_b32_e32 v96, 0xffff, v56
	;;#ASMSTART
	v_cvt_f32_f16 v86, v86;
	;;#ASMEND
	;;#ASMSTART
	v_cvt_f32_f16 v96, v96;
	;;#ASMEND
	s_delay_alu instid0(VALU_DEP_1)
	v_dual_fmac_f32 v81, v85, v86 :: v_dual_fmac_f32 v80, v84, v96
	v_lshrrev_b32_e32 v84, 16, v87
	v_and_b32_e32 v85, 0xffff, v87
	;;#ASMSTART
	v_cvt_f32_f16 v85, v85;
	;;#ASMEND
	;;#ASMSTART
	v_cvt_f32_f16 v84, v84;
	;;#ASMEND
	;; [unrolled: 3-line block ×4, first 2 shown]
	v_dual_fmac_f32 v83, v85, v33 :: v_dual_fmac_f32 v82, v84, v32
	ds_load_b128 v[84:87], v9 offset:208
	s_waitcnt lgkmcnt(0)
	v_lshrrev_b32_e32 v32, 16, v84
	v_and_b32_e32 v33, 0xffff, v84
	;;#ASMSTART
	v_cvt_f32_f16 v33, v33;
	;;#ASMEND
	;;#ASMSTART
	v_cvt_f32_f16 v32, v32;
	;;#ASMEND
	;;#ASMSTART
	v_cvt_f32_f16 v68, v68;
	;;#ASMEND
	;;#ASMSTART
	v_cvt_f32_f16 v67, v67;
	;;#ASMEND
	v_dual_fmac_f32 v64, v33, v68 :: v_dual_fmac_f32 v69, v32, v67
	v_lshrrev_b32_e32 v32, 16, v85
	v_and_b32_e32 v33, 0xffff, v85
	;;#ASMSTART
	v_cvt_f32_f16 v33, v33;
	;;#ASMEND
	;;#ASMSTART
	v_cvt_f32_f16 v32, v32;
	;;#ASMEND
	;;#ASMSTART
	v_cvt_f32_f16 v66, v66;
	;;#ASMEND
	;;#ASMSTART
	v_cvt_f32_f16 v65, v65;
	;;#ASMEND
	v_dual_fmac_f32 v71, v33, v66 :: v_dual_fmac_f32 v70, v32, v65
	v_lshrrev_b32_e32 v32, 16, v86
	v_and_b32_e32 v33, 0xffff, v86
	;;#ASMSTART
	v_cvt_f32_f16 v33, v33;
	;;#ASMEND
	;;#ASMSTART
	v_cvt_f32_f16 v32, v32;
	;;#ASMEND
	;;#ASMSTART
	v_cvt_f32_f16 v31, v31;
	;;#ASMEND
	;;#ASMSTART
	v_cvt_f32_f16 v30, v30;
	;;#ASMEND
	v_dual_fmac_f32 v81, v33, v31 :: v_dual_fmac_f32 v80, v32, v30
	v_lshrrev_b32_e32 v30, 16, v87
	v_and_b32_e32 v31, 0xffff, v87
	;;#ASMSTART
	v_cvt_f32_f16 v31, v31;
	;;#ASMEND
	;;#ASMSTART
	v_cvt_f32_f16 v30, v30;
	;;#ASMEND
	;; [unrolled: 3-line block ×4, first 2 shown]
	v_fmac_f32_e32 v82, v30, v28
	v_add_f32_e32 v28, v64, v69
	s_delay_alu instid0(VALU_DEP_1) | instskip(NEXT) | instid1(VALU_DEP_1)
	v_dual_fmac_f32 v83, v31, v29 :: v_dual_add_f32 v28, v28, v71
	v_add_f32_e32 v28, v70, v28
	s_delay_alu instid0(VALU_DEP_1) | instskip(NEXT) | instid1(VALU_DEP_1)
	v_add_f32_e32 v28, v28, v81
	v_add_f32_e32 v28, v80, v28
	s_delay_alu instid0(VALU_DEP_1) | instskip(NEXT) | instid1(VALU_DEP_1)
	v_add_f32_e32 v28, v28, v83
	v_add_f32_e32 v28, v82, v28
	s_delay_alu instid0(VALU_DEP_1) | instskip(NEXT) | instid1(VALU_DEP_1)
	v_fmac_f32_e32 v8, v28, v13
	v_cndmask_b32_e64 v28, 0, v8, s1
	ds_store_b32 v54, v28
	v_max_f32_e32 v28, v51, v51
	v_add_nc_u32_e32 v54, 0x200, v54
	s_delay_alu instid0(VALU_DEP_2) | instskip(NEXT) | instid1(VALU_DEP_1)
	v_max_f32_e32 v8, v28, v8
	v_cndmask_b32_e64 v51, v51, v8, s1
	v_add_co_u32 v20, s1, v20, 16
	s_delay_alu instid0(VALU_DEP_1) | instskip(SKIP_1) | instid1(VALU_DEP_1)
	v_add_co_ci_u32_e64 v21, s1, 0, v21, s1
	v_cmp_ge_i32_e64 s1, v55, v23
	s_or_b32 s7, s1, s7
	s_delay_alu instid0(SALU_CYCLE_1)
	s_and_not1_b32 exec_lo, exec_lo, s7
	s_cbranch_execz .LBB365_904
.LBB365_11:                             ; =>This Inner Loop Header: Depth=1
	flat_load_b32 v8, v[20:21]
	s_mov_b32 s17, exec_lo
	v_mov_b32_e32 v65, 0
	s_waitcnt vmcnt(0) lgkmcnt(0)
	v_mad_i64_i32 v[28:29], null, v8, v22, v[18:19]
	flat_load_b64 v[30:31], v[28:29]
	flat_load_b32 v64, v[24:25]
	s_waitcnt vmcnt(1) lgkmcnt(1)
	v_and_b32_e32 v8, 0xff, v30
	s_delay_alu instid0(VALU_DEP_1)
	v_cmpx_ne_u16_e32 0, v8
	s_cbranch_execz .LBB365_19
; %bb.12:                               ;   in Loop: Header=BB365_11 Depth=1
	v_bfrev_b32_e32 v65, 1
	s_mov_b32 s18, exec_lo
	v_cmpx_ne_u16_e32 0x80, v8
	s_cbranch_execz .LBB365_18
; %bb.13:                               ;   in Loop: Header=BB365_11 Depth=1
	v_and_b32_e32 v32, 0x7f, v30
	v_mov_b32_e32 v65, 0x7fc02000
	s_mov_b32 s19, exec_lo
	s_delay_alu instid0(VALU_DEP_2)
	v_cmpx_ne_u32_e32 0x7f, v32
	s_cbranch_execz .LBB365_17
; %bb.14:                               ;   in Loop: Header=BB365_11 Depth=1
	v_lshrrev_b32_e32 v8, 3, v32
	v_cmp_gt_u32_e64 s1, 8, v32
	v_dual_mov_b32 v33, v31 :: v_dual_mov_b32 v32, v30
	s_delay_alu instid0(VALU_DEP_2)
	s_and_saveexec_b32 s20, s1
; %bb.15:                               ;   in Loop: Header=BB365_11 Depth=1
	v_and_b32_e32 v8, 7, v30
	s_delay_alu instid0(VALU_DEP_1) | instskip(NEXT) | instid1(VALU_DEP_1)
	v_clz_i32_u32_e32 v8, v8
	v_min_u32_e32 v8, 32, v8
	s_delay_alu instid0(VALU_DEP_1) | instskip(SKIP_1) | instid1(VALU_DEP_2)
	v_subrev_nc_u32_e32 v32, 28, v8
	v_sub_nc_u32_e32 v8, 29, v8
	v_lshlrev_b64 v[32:33], v32, v[30:31]
; %bb.16:                               ;   in Loop: Header=BB365_11 Depth=1
	s_or_b32 exec_lo, exec_lo, s20
	v_lshlrev_b32_e32 v33, 8, v30
	s_delay_alu instid0(VALU_DEP_3) | instskip(NEXT) | instid1(VALU_DEP_3)
	v_lshl_add_u32 v8, v8, 10, 0x2000
	v_lshlrev_b32_e32 v32, 7, v32
	s_delay_alu instid0(VALU_DEP_2) | instskip(NEXT) | instid1(VALU_DEP_1)
	v_and_or_b32 v8, 0x8000, v33, v8
	v_and_or_b32 v8, 0x380, v32, v8
	s_delay_alu instid0(VALU_DEP_1)
	v_cvt_f32_f16_e32 v65, v8
.LBB365_17:                             ;   in Loop: Header=BB365_11 Depth=1
	s_or_b32 exec_lo, exec_lo, s19
.LBB365_18:                             ;   in Loop: Header=BB365_11 Depth=1
	s_delay_alu instid0(SALU_CYCLE_1)
	s_or_b32 exec_lo, exec_lo, s18
.LBB365_19:                             ;   in Loop: Header=BB365_11 Depth=1
	s_delay_alu instid0(SALU_CYCLE_1) | instskip(SKIP_3) | instid1(VALU_DEP_2)
	s_or_b32 exec_lo, exec_lo, s17
	v_lshrrev_b16 v8, 8, v30
	v_dual_mov_b32 v66, 0 :: v_dual_mov_b32 v67, 0
	s_mov_b32 s17, exec_lo
	v_cmpx_ne_u16_e32 0, v8
	s_cbranch_execz .LBB365_27
; %bb.20:                               ;   in Loop: Header=BB365_11 Depth=1
	v_bfrev_b32_e32 v67, 1
	s_mov_b32 s18, exec_lo
	v_cmpx_ne_u16_e32 0x80, v8
	s_cbranch_execz .LBB365_26
; %bb.21:                               ;   in Loop: Header=BB365_11 Depth=1
	v_and_b32_e32 v68, 0xffff, v8
	v_mov_b32_e32 v67, 0x7fc02000
	s_mov_b32 s19, exec_lo
	s_delay_alu instid0(VALU_DEP_2) | instskip(NEXT) | instid1(VALU_DEP_1)
	v_and_b32_e32 v32, 0x7f, v68
	v_cmpx_ne_u32_e32 0x7f, v32
	s_cbranch_execz .LBB365_25
; %bb.22:                               ;   in Loop: Header=BB365_11 Depth=1
	v_and_b32_e32 v8, 7, v68
	v_lshrrev_b32_e32 v67, 3, v32
	v_cmp_gt_u32_e64 s1, 8, v32
	s_delay_alu instid0(VALU_DEP_3) | instskip(NEXT) | instid1(VALU_DEP_2)
	v_dual_mov_b32 v33, v9 :: v_dual_mov_b32 v32, v8
	s_and_saveexec_b32 s20, s1
; %bb.23:                               ;   in Loop: Header=BB365_11 Depth=1
	v_clz_i32_u32_e32 v32, v8
	s_delay_alu instid0(VALU_DEP_1) | instskip(NEXT) | instid1(VALU_DEP_1)
	v_min_u32_e32 v67, 32, v32
	v_subrev_nc_u32_e32 v32, 28, v67
	v_sub_nc_u32_e32 v67, 29, v67
	s_delay_alu instid0(VALU_DEP_2) | instskip(NEXT) | instid1(VALU_DEP_1)
	v_lshlrev_b64 v[32:33], v32, v[8:9]
	v_and_b32_e32 v32, 7, v32
; %bb.24:                               ;   in Loop: Header=BB365_11 Depth=1
	s_or_b32 exec_lo, exec_lo, s20
	v_lshlrev_b32_e32 v8, 8, v68
	v_lshl_add_u32 v33, v67, 10, 0x2000
	s_delay_alu instid0(VALU_DEP_1) | instskip(NEXT) | instid1(VALU_DEP_1)
	v_and_or_b32 v8, 0x8000, v8, v33
	v_lshl_or_b32 v8, v32, 7, v8
	s_delay_alu instid0(VALU_DEP_1)
	v_cvt_f32_f16_e32 v67, v8
.LBB365_25:                             ;   in Loop: Header=BB365_11 Depth=1
	s_or_b32 exec_lo, exec_lo, s19
.LBB365_26:                             ;   in Loop: Header=BB365_11 Depth=1
	s_delay_alu instid0(SALU_CYCLE_1)
	s_or_b32 exec_lo, exec_lo, s18
.LBB365_27:                             ;   in Loop: Header=BB365_11 Depth=1
	s_delay_alu instid0(SALU_CYCLE_1) | instskip(SKIP_2) | instid1(VALU_DEP_1)
	s_or_b32 exec_lo, exec_lo, s17
	v_lshrrev_b32_e32 v68, 16, v30
	s_mov_b32 s17, exec_lo
	v_and_b32_e32 v8, 0xff, v68
	s_delay_alu instid0(VALU_DEP_1)
	v_cmpx_ne_u16_e32 0, v8
	s_cbranch_execz .LBB365_35
; %bb.28:                               ;   in Loop: Header=BB365_11 Depth=1
	v_bfrev_b32_e32 v66, 1
	s_mov_b32 s18, exec_lo
	v_cmpx_ne_u16_e32 0x80, v8
	s_cbranch_execz .LBB365_34
; %bb.29:                               ;   in Loop: Header=BB365_11 Depth=1
	v_bfe_u32 v32, v30, 16, 7
	v_mov_b32_e32 v66, 0x7fc02000
	s_mov_b32 s19, exec_lo
	s_delay_alu instid0(VALU_DEP_2)
	v_cmpx_ne_u32_e32 0x7f, v32
	s_cbranch_execz .LBB365_33
; %bb.30:                               ;   in Loop: Header=BB365_11 Depth=1
	v_and_b32_e32 v8, 7, v68
	v_lshrrev_b32_e32 v66, 3, v32
	v_cmp_gt_u32_e64 s1, 8, v32
	s_delay_alu instid0(VALU_DEP_3) | instskip(NEXT) | instid1(VALU_DEP_2)
	v_dual_mov_b32 v33, v9 :: v_dual_mov_b32 v32, v8
	s_and_saveexec_b32 s20, s1
; %bb.31:                               ;   in Loop: Header=BB365_11 Depth=1
	v_clz_i32_u32_e32 v32, v8
	s_delay_alu instid0(VALU_DEP_1) | instskip(NEXT) | instid1(VALU_DEP_1)
	v_min_u32_e32 v66, 32, v32
	v_subrev_nc_u32_e32 v32, 28, v66
	v_sub_nc_u32_e32 v66, 29, v66
	s_delay_alu instid0(VALU_DEP_2) | instskip(NEXT) | instid1(VALU_DEP_1)
	v_lshlrev_b64 v[32:33], v32, v[8:9]
	v_and_b32_e32 v32, 7, v32
; %bb.32:                               ;   in Loop: Header=BB365_11 Depth=1
	s_or_b32 exec_lo, exec_lo, s20
	v_lshlrev_b32_e32 v8, 8, v68
	v_lshl_add_u32 v33, v66, 10, 0x2000
	s_delay_alu instid0(VALU_DEP_1) | instskip(NEXT) | instid1(VALU_DEP_1)
	v_and_or_b32 v8, 0x8000, v8, v33
	v_lshl_or_b32 v8, v32, 7, v8
	s_delay_alu instid0(VALU_DEP_1)
	v_cvt_f32_f16_e32 v66, v8
.LBB365_33:                             ;   in Loop: Header=BB365_11 Depth=1
	s_or_b32 exec_lo, exec_lo, s19
.LBB365_34:                             ;   in Loop: Header=BB365_11 Depth=1
	s_delay_alu instid0(SALU_CYCLE_1)
	s_or_b32 exec_lo, exec_lo, s18
.LBB365_35:                             ;   in Loop: Header=BB365_11 Depth=1
	s_delay_alu instid0(SALU_CYCLE_1)
	s_or_b32 exec_lo, exec_lo, s17
	v_dual_mov_b32 v68, 0 :: v_dual_mov_b32 v69, 0
	s_mov_b32 s17, exec_lo
	v_cmpx_lt_u32_e32 0xffffff, v30
	s_cbranch_execz .LBB365_43
; %bb.36:                               ;   in Loop: Header=BB365_11 Depth=1
	v_lshrrev_b32_e32 v70, 24, v30
	v_bfrev_b32_e32 v69, 1
	s_mov_b32 s18, exec_lo
	s_delay_alu instid0(VALU_DEP_2)
	v_cmpx_ne_u32_e32 0x80, v70
	s_cbranch_execz .LBB365_42
; %bb.37:                               ;   in Loop: Header=BB365_11 Depth=1
	v_and_b32_e32 v32, 0x7f, v70
	v_mov_b32_e32 v69, 0x7fc02000
	s_mov_b32 s19, exec_lo
	s_delay_alu instid0(VALU_DEP_2)
	v_cmpx_ne_u32_e32 0x7f, v32
	s_cbranch_execz .LBB365_41
; %bb.38:                               ;   in Loop: Header=BB365_11 Depth=1
	v_and_b32_e32 v8, 7, v70
	v_lshrrev_b32_e32 v69, 3, v32
	v_cmp_gt_u32_e64 s1, 8, v32
	s_delay_alu instid0(VALU_DEP_3) | instskip(NEXT) | instid1(VALU_DEP_2)
	v_dual_mov_b32 v33, v9 :: v_dual_mov_b32 v32, v8
	s_and_saveexec_b32 s20, s1
; %bb.39:                               ;   in Loop: Header=BB365_11 Depth=1
	v_clz_i32_u32_e32 v32, v8
	s_delay_alu instid0(VALU_DEP_1) | instskip(NEXT) | instid1(VALU_DEP_1)
	v_min_u32_e32 v69, 32, v32
	v_subrev_nc_u32_e32 v32, 28, v69
	v_sub_nc_u32_e32 v69, 29, v69
	s_delay_alu instid0(VALU_DEP_2) | instskip(NEXT) | instid1(VALU_DEP_1)
	v_lshlrev_b64 v[32:33], v32, v[8:9]
	v_and_b32_e32 v32, 7, v32
; %bb.40:                               ;   in Loop: Header=BB365_11 Depth=1
	s_or_b32 exec_lo, exec_lo, s20
	v_lshlrev_b32_e32 v8, 8, v70
	v_lshl_add_u32 v33, v69, 10, 0x2000
	s_delay_alu instid0(VALU_DEP_1) | instskip(NEXT) | instid1(VALU_DEP_1)
	v_and_or_b32 v8, 0x8000, v8, v33
	v_lshl_or_b32 v8, v32, 7, v8
	s_delay_alu instid0(VALU_DEP_1)
	v_cvt_f32_f16_e32 v69, v8
.LBB365_41:                             ;   in Loop: Header=BB365_11 Depth=1
	s_or_b32 exec_lo, exec_lo, s19
.LBB365_42:                             ;   in Loop: Header=BB365_11 Depth=1
	s_delay_alu instid0(SALU_CYCLE_1)
	s_or_b32 exec_lo, exec_lo, s18
.LBB365_43:                             ;   in Loop: Header=BB365_11 Depth=1
	s_delay_alu instid0(SALU_CYCLE_1) | instskip(SKIP_3) | instid1(VALU_DEP_2)
	s_or_b32 exec_lo, exec_lo, s17
	v_and_b32_e32 v32, 0xff, v31
	v_mov_b32_e32 v8, v31
	s_mov_b32 s17, exec_lo
	v_cmpx_ne_u16_e32 0, v32
	s_cbranch_execz .LBB365_51
; %bb.44:                               ;   in Loop: Header=BB365_11 Depth=1
	v_bfrev_b32_e32 v68, 1
	s_mov_b32 s18, exec_lo
	v_cmpx_ne_u16_e32 0x80, v32
	s_cbranch_execz .LBB365_50
; %bb.45:                               ;   in Loop: Header=BB365_11 Depth=1
	v_and_b32_e32 v32, 0x7f, v31
	v_mov_b32_e32 v68, 0x7fc02000
	s_mov_b32 s19, exec_lo
	s_delay_alu instid0(VALU_DEP_2)
	v_cmpx_ne_u32_e32 0x7f, v32
	s_cbranch_execz .LBB365_49
; %bb.46:                               ;   in Loop: Header=BB365_11 Depth=1
	v_lshrrev_b32_e32 v68, 3, v32
	v_cmp_gt_u32_e64 s1, 8, v32
	v_dual_mov_b32 v33, v9 :: v_dual_mov_b32 v32, v8
	s_delay_alu instid0(VALU_DEP_2)
	s_and_saveexec_b32 s20, s1
; %bb.47:                               ;   in Loop: Header=BB365_11 Depth=1
	v_and_b32_e32 v32, 7, v31
	s_delay_alu instid0(VALU_DEP_1) | instskip(NEXT) | instid1(VALU_DEP_1)
	v_clz_i32_u32_e32 v32, v32
	v_min_u32_e32 v68, 32, v32
	s_delay_alu instid0(VALU_DEP_1) | instskip(SKIP_1) | instid1(VALU_DEP_2)
	v_subrev_nc_u32_e32 v32, 28, v68
	v_sub_nc_u32_e32 v68, 29, v68
	v_lshlrev_b64 v[32:33], v32, v[8:9]
; %bb.48:                               ;   in Loop: Header=BB365_11 Depth=1
	s_or_b32 exec_lo, exec_lo, s20
	v_lshlrev_b32_e32 v33, 8, v31
	s_delay_alu instid0(VALU_DEP_3) | instskip(NEXT) | instid1(VALU_DEP_3)
	v_lshl_add_u32 v68, v68, 10, 0x2000
	v_lshlrev_b32_e32 v32, 7, v32
	s_delay_alu instid0(VALU_DEP_2) | instskip(NEXT) | instid1(VALU_DEP_1)
	v_and_or_b32 v33, 0x8000, v33, v68
	v_and_or_b32 v32, 0x380, v32, v33
	s_delay_alu instid0(VALU_DEP_1)
	v_cvt_f32_f16_e32 v68, v32
.LBB365_49:                             ;   in Loop: Header=BB365_11 Depth=1
	s_or_b32 exec_lo, exec_lo, s19
.LBB365_50:                             ;   in Loop: Header=BB365_11 Depth=1
	s_delay_alu instid0(SALU_CYCLE_1)
	s_or_b32 exec_lo, exec_lo, s18
.LBB365_51:                             ;   in Loop: Header=BB365_11 Depth=1
	s_delay_alu instid0(SALU_CYCLE_1) | instskip(SKIP_3) | instid1(VALU_DEP_2)
	s_or_b32 exec_lo, exec_lo, s17
	v_lshrrev_b16 v8, 8, v8
	v_dual_mov_b32 v70, 0 :: v_dual_mov_b32 v71, 0
	s_mov_b32 s17, exec_lo
	v_cmpx_ne_u16_e32 0, v8
	s_cbranch_execz .LBB365_59
; %bb.52:                               ;   in Loop: Header=BB365_11 Depth=1
	v_bfrev_b32_e32 v71, 1
	s_mov_b32 s18, exec_lo
	v_cmpx_ne_u16_e32 0x80, v8
	s_cbranch_execz .LBB365_58
; %bb.53:                               ;   in Loop: Header=BB365_11 Depth=1
	v_and_b32_e32 v80, 0xffff, v8
	v_mov_b32_e32 v71, 0x7fc02000
	s_mov_b32 s19, exec_lo
	s_delay_alu instid0(VALU_DEP_2) | instskip(NEXT) | instid1(VALU_DEP_1)
	v_and_b32_e32 v32, 0x7f, v80
	v_cmpx_ne_u32_e32 0x7f, v32
	s_cbranch_execz .LBB365_57
; %bb.54:                               ;   in Loop: Header=BB365_11 Depth=1
	v_and_b32_e32 v8, 7, v80
	v_lshrrev_b32_e32 v71, 3, v32
	v_cmp_gt_u32_e64 s1, 8, v32
	s_delay_alu instid0(VALU_DEP_3) | instskip(NEXT) | instid1(VALU_DEP_2)
	v_dual_mov_b32 v33, v9 :: v_dual_mov_b32 v32, v8
	s_and_saveexec_b32 s20, s1
; %bb.55:                               ;   in Loop: Header=BB365_11 Depth=1
	v_clz_i32_u32_e32 v32, v8
	s_delay_alu instid0(VALU_DEP_1) | instskip(NEXT) | instid1(VALU_DEP_1)
	v_min_u32_e32 v71, 32, v32
	v_subrev_nc_u32_e32 v32, 28, v71
	v_sub_nc_u32_e32 v71, 29, v71
	s_delay_alu instid0(VALU_DEP_2) | instskip(NEXT) | instid1(VALU_DEP_1)
	v_lshlrev_b64 v[32:33], v32, v[8:9]
	v_and_b32_e32 v32, 7, v32
; %bb.56:                               ;   in Loop: Header=BB365_11 Depth=1
	s_or_b32 exec_lo, exec_lo, s20
	v_lshlrev_b32_e32 v8, 8, v80
	v_lshl_add_u32 v33, v71, 10, 0x2000
	s_delay_alu instid0(VALU_DEP_1) | instskip(NEXT) | instid1(VALU_DEP_1)
	v_and_or_b32 v8, 0x8000, v8, v33
	v_lshl_or_b32 v8, v32, 7, v8
	s_delay_alu instid0(VALU_DEP_1)
	v_cvt_f32_f16_e32 v71, v8
.LBB365_57:                             ;   in Loop: Header=BB365_11 Depth=1
	s_or_b32 exec_lo, exec_lo, s19
.LBB365_58:                             ;   in Loop: Header=BB365_11 Depth=1
	s_delay_alu instid0(SALU_CYCLE_1)
	s_or_b32 exec_lo, exec_lo, s18
.LBB365_59:                             ;   in Loop: Header=BB365_11 Depth=1
	s_delay_alu instid0(SALU_CYCLE_1) | instskip(SKIP_2) | instid1(VALU_DEP_1)
	s_or_b32 exec_lo, exec_lo, s17
	v_lshrrev_b32_e32 v80, 16, v31
	s_mov_b32 s17, exec_lo
	v_and_b32_e32 v8, 0xff, v80
	s_delay_alu instid0(VALU_DEP_1)
	v_cmpx_ne_u16_e32 0, v8
	s_cbranch_execz .LBB365_67
; %bb.60:                               ;   in Loop: Header=BB365_11 Depth=1
	v_bfrev_b32_e32 v70, 1
	s_mov_b32 s18, exec_lo
	v_cmpx_ne_u16_e32 0x80, v8
	s_cbranch_execz .LBB365_66
; %bb.61:                               ;   in Loop: Header=BB365_11 Depth=1
	v_bfe_u32 v32, v31, 16, 7
	v_mov_b32_e32 v70, 0x7fc02000
	s_mov_b32 s19, exec_lo
	s_delay_alu instid0(VALU_DEP_2)
	v_cmpx_ne_u32_e32 0x7f, v32
	s_cbranch_execz .LBB365_65
; %bb.62:                               ;   in Loop: Header=BB365_11 Depth=1
	v_and_b32_e32 v8, 7, v80
	v_lshrrev_b32_e32 v70, 3, v32
	v_cmp_gt_u32_e64 s1, 8, v32
	s_delay_alu instid0(VALU_DEP_3) | instskip(NEXT) | instid1(VALU_DEP_2)
	v_dual_mov_b32 v33, v9 :: v_dual_mov_b32 v32, v8
	s_and_saveexec_b32 s20, s1
; %bb.63:                               ;   in Loop: Header=BB365_11 Depth=1
	v_clz_i32_u32_e32 v32, v8
	s_delay_alu instid0(VALU_DEP_1) | instskip(NEXT) | instid1(VALU_DEP_1)
	v_min_u32_e32 v70, 32, v32
	v_subrev_nc_u32_e32 v32, 28, v70
	v_sub_nc_u32_e32 v70, 29, v70
	s_delay_alu instid0(VALU_DEP_2) | instskip(NEXT) | instid1(VALU_DEP_1)
	v_lshlrev_b64 v[32:33], v32, v[8:9]
	v_and_b32_e32 v32, 7, v32
; %bb.64:                               ;   in Loop: Header=BB365_11 Depth=1
	s_or_b32 exec_lo, exec_lo, s20
	v_lshlrev_b32_e32 v8, 8, v80
	v_lshl_add_u32 v33, v70, 10, 0x2000
	s_delay_alu instid0(VALU_DEP_1) | instskip(NEXT) | instid1(VALU_DEP_1)
	v_and_or_b32 v8, 0x8000, v8, v33
	v_lshl_or_b32 v8, v32, 7, v8
	s_delay_alu instid0(VALU_DEP_1)
	v_cvt_f32_f16_e32 v70, v8
.LBB365_65:                             ;   in Loop: Header=BB365_11 Depth=1
	s_or_b32 exec_lo, exec_lo, s19
.LBB365_66:                             ;   in Loop: Header=BB365_11 Depth=1
	s_delay_alu instid0(SALU_CYCLE_1)
	s_or_b32 exec_lo, exec_lo, s18
.LBB365_67:                             ;   in Loop: Header=BB365_11 Depth=1
	s_delay_alu instid0(SALU_CYCLE_1)
	s_or_b32 exec_lo, exec_lo, s17
	v_dual_mov_b32 v81, 0 :: v_dual_mov_b32 v80, 0
	s_mov_b32 s17, exec_lo
	v_cmpx_lt_u64_e64 s[2:3], v[30:31]
	s_cbranch_execz .LBB365_75
; %bb.68:                               ;   in Loop: Header=BB365_11 Depth=1
	v_lshrrev_b32_e32 v32, 24, v31
	v_bfrev_b32_e32 v80, 1
	s_mov_b32 s18, exec_lo
	s_delay_alu instid0(VALU_DEP_2)
	v_cmpx_ne_u32_e32 0x80, v32
	s_cbranch_execz .LBB365_74
; %bb.69:                               ;   in Loop: Header=BB365_11 Depth=1
	v_and_b32_e32 v30, 0x7f, v32
	v_mov_b32_e32 v80, 0x7fc02000
	s_mov_b32 s19, exec_lo
	s_delay_alu instid0(VALU_DEP_2)
	v_cmpx_ne_u32_e32 0x7f, v30
	s_cbranch_execz .LBB365_73
; %bb.70:                               ;   in Loop: Header=BB365_11 Depth=1
	v_and_b32_e32 v8, 7, v32
	v_lshrrev_b32_e32 v33, 3, v30
	v_cmp_gt_u32_e64 s1, 8, v30
	s_delay_alu instid0(VALU_DEP_3) | instskip(NEXT) | instid1(VALU_DEP_2)
	v_dual_mov_b32 v31, v9 :: v_dual_mov_b32 v30, v8
	s_and_saveexec_b32 s20, s1
; %bb.71:                               ;   in Loop: Header=BB365_11 Depth=1
	v_clz_i32_u32_e32 v30, v8
	s_delay_alu instid0(VALU_DEP_1) | instskip(NEXT) | instid1(VALU_DEP_1)
	v_min_u32_e32 v33, 32, v30
	v_subrev_nc_u32_e32 v30, 28, v33
	v_sub_nc_u32_e32 v33, 29, v33
	s_delay_alu instid0(VALU_DEP_2) | instskip(NEXT) | instid1(VALU_DEP_1)
	v_lshlrev_b64 v[30:31], v30, v[8:9]
	v_and_b32_e32 v30, 7, v30
; %bb.72:                               ;   in Loop: Header=BB365_11 Depth=1
	s_or_b32 exec_lo, exec_lo, s20
	v_lshlrev_b32_e32 v8, 8, v32
	v_lshl_add_u32 v31, v33, 10, 0x2000
	s_delay_alu instid0(VALU_DEP_1) | instskip(NEXT) | instid1(VALU_DEP_1)
	v_and_or_b32 v8, 0x8000, v8, v31
	v_lshl_or_b32 v8, v30, 7, v8
	s_delay_alu instid0(VALU_DEP_1)
	v_cvt_f32_f16_e32 v80, v8
.LBB365_73:                             ;   in Loop: Header=BB365_11 Depth=1
	s_or_b32 exec_lo, exec_lo, s19
.LBB365_74:                             ;   in Loop: Header=BB365_11 Depth=1
	s_delay_alu instid0(SALU_CYCLE_1)
	s_or_b32 exec_lo, exec_lo, s18
.LBB365_75:                             ;   in Loop: Header=BB365_11 Depth=1
	s_delay_alu instid0(SALU_CYCLE_1) | instskip(SKIP_4) | instid1(VALU_DEP_1)
	s_or_b32 exec_lo, exec_lo, s17
	flat_load_b64 v[30:31], v[28:29] offset:8
	s_mov_b32 s17, exec_lo
	s_waitcnt vmcnt(0) lgkmcnt(0)
	v_and_b32_e32 v8, 0xff, v30
	v_cmpx_ne_u16_e32 0, v8
	s_cbranch_execz .LBB365_83
; %bb.76:                               ;   in Loop: Header=BB365_11 Depth=1
	v_bfrev_b32_e32 v81, 1
	s_mov_b32 s18, exec_lo
	v_cmpx_ne_u16_e32 0x80, v8
	s_cbranch_execz .LBB365_82
; %bb.77:                               ;   in Loop: Header=BB365_11 Depth=1
	v_and_b32_e32 v32, 0x7f, v30
	v_mov_b32_e32 v81, 0x7fc02000
	s_mov_b32 s19, exec_lo
	s_delay_alu instid0(VALU_DEP_2)
	v_cmpx_ne_u32_e32 0x7f, v32
	s_cbranch_execz .LBB365_81
; %bb.78:                               ;   in Loop: Header=BB365_11 Depth=1
	v_lshrrev_b32_e32 v8, 3, v32
	v_cmp_gt_u32_e64 s1, 8, v32
	v_dual_mov_b32 v33, v31 :: v_dual_mov_b32 v32, v30
	s_delay_alu instid0(VALU_DEP_2)
	s_and_saveexec_b32 s20, s1
; %bb.79:                               ;   in Loop: Header=BB365_11 Depth=1
	v_and_b32_e32 v8, 7, v30
	s_delay_alu instid0(VALU_DEP_1) | instskip(NEXT) | instid1(VALU_DEP_1)
	v_clz_i32_u32_e32 v8, v8
	v_min_u32_e32 v8, 32, v8
	s_delay_alu instid0(VALU_DEP_1) | instskip(SKIP_1) | instid1(VALU_DEP_2)
	v_subrev_nc_u32_e32 v32, 28, v8
	v_sub_nc_u32_e32 v8, 29, v8
	v_lshlrev_b64 v[32:33], v32, v[30:31]
; %bb.80:                               ;   in Loop: Header=BB365_11 Depth=1
	s_or_b32 exec_lo, exec_lo, s20
	v_lshlrev_b32_e32 v33, 8, v30
	s_delay_alu instid0(VALU_DEP_3) | instskip(NEXT) | instid1(VALU_DEP_3)
	v_lshl_add_u32 v8, v8, 10, 0x2000
	v_lshlrev_b32_e32 v32, 7, v32
	s_delay_alu instid0(VALU_DEP_2) | instskip(NEXT) | instid1(VALU_DEP_1)
	v_and_or_b32 v8, 0x8000, v33, v8
	v_and_or_b32 v8, 0x380, v32, v8
	s_delay_alu instid0(VALU_DEP_1)
	v_cvt_f32_f16_e32 v81, v8
.LBB365_81:                             ;   in Loop: Header=BB365_11 Depth=1
	s_or_b32 exec_lo, exec_lo, s19
.LBB365_82:                             ;   in Loop: Header=BB365_11 Depth=1
	s_delay_alu instid0(SALU_CYCLE_1)
	s_or_b32 exec_lo, exec_lo, s18
.LBB365_83:                             ;   in Loop: Header=BB365_11 Depth=1
	s_delay_alu instid0(SALU_CYCLE_1) | instskip(SKIP_3) | instid1(VALU_DEP_2)
	s_or_b32 exec_lo, exec_lo, s17
	v_lshrrev_b16 v8, 8, v30
	v_dual_mov_b32 v82, 0 :: v_dual_mov_b32 v83, 0
	s_mov_b32 s17, exec_lo
	v_cmpx_ne_u16_e32 0, v8
	s_cbranch_execz .LBB365_91
; %bb.84:                               ;   in Loop: Header=BB365_11 Depth=1
	v_bfrev_b32_e32 v83, 1
	s_mov_b32 s18, exec_lo
	v_cmpx_ne_u16_e32 0x80, v8
	s_cbranch_execz .LBB365_90
; %bb.85:                               ;   in Loop: Header=BB365_11 Depth=1
	v_and_b32_e32 v84, 0xffff, v8
	v_mov_b32_e32 v83, 0x7fc02000
	s_mov_b32 s19, exec_lo
	s_delay_alu instid0(VALU_DEP_2) | instskip(NEXT) | instid1(VALU_DEP_1)
	v_and_b32_e32 v32, 0x7f, v84
	v_cmpx_ne_u32_e32 0x7f, v32
	s_cbranch_execz .LBB365_89
; %bb.86:                               ;   in Loop: Header=BB365_11 Depth=1
	v_and_b32_e32 v8, 7, v84
	v_lshrrev_b32_e32 v83, 3, v32
	v_cmp_gt_u32_e64 s1, 8, v32
	s_delay_alu instid0(VALU_DEP_3) | instskip(NEXT) | instid1(VALU_DEP_2)
	v_dual_mov_b32 v33, v9 :: v_dual_mov_b32 v32, v8
	s_and_saveexec_b32 s20, s1
; %bb.87:                               ;   in Loop: Header=BB365_11 Depth=1
	v_clz_i32_u32_e32 v32, v8
	s_delay_alu instid0(VALU_DEP_1) | instskip(NEXT) | instid1(VALU_DEP_1)
	v_min_u32_e32 v83, 32, v32
	v_subrev_nc_u32_e32 v32, 28, v83
	v_sub_nc_u32_e32 v83, 29, v83
	s_delay_alu instid0(VALU_DEP_2) | instskip(NEXT) | instid1(VALU_DEP_1)
	v_lshlrev_b64 v[32:33], v32, v[8:9]
	v_and_b32_e32 v32, 7, v32
; %bb.88:                               ;   in Loop: Header=BB365_11 Depth=1
	s_or_b32 exec_lo, exec_lo, s20
	v_lshlrev_b32_e32 v8, 8, v84
	v_lshl_add_u32 v33, v83, 10, 0x2000
	s_delay_alu instid0(VALU_DEP_1) | instskip(NEXT) | instid1(VALU_DEP_1)
	v_and_or_b32 v8, 0x8000, v8, v33
	v_lshl_or_b32 v8, v32, 7, v8
	s_delay_alu instid0(VALU_DEP_1)
	v_cvt_f32_f16_e32 v83, v8
.LBB365_89:                             ;   in Loop: Header=BB365_11 Depth=1
	s_or_b32 exec_lo, exec_lo, s19
.LBB365_90:                             ;   in Loop: Header=BB365_11 Depth=1
	s_delay_alu instid0(SALU_CYCLE_1)
	s_or_b32 exec_lo, exec_lo, s18
.LBB365_91:                             ;   in Loop: Header=BB365_11 Depth=1
	s_delay_alu instid0(SALU_CYCLE_1) | instskip(SKIP_2) | instid1(VALU_DEP_1)
	s_or_b32 exec_lo, exec_lo, s17
	v_lshrrev_b32_e32 v84, 16, v30
	s_mov_b32 s17, exec_lo
	v_and_b32_e32 v8, 0xff, v84
	s_delay_alu instid0(VALU_DEP_1)
	v_cmpx_ne_u16_e32 0, v8
	s_cbranch_execz .LBB365_99
; %bb.92:                               ;   in Loop: Header=BB365_11 Depth=1
	v_bfrev_b32_e32 v82, 1
	s_mov_b32 s18, exec_lo
	v_cmpx_ne_u16_e32 0x80, v8
	s_cbranch_execz .LBB365_98
; %bb.93:                               ;   in Loop: Header=BB365_11 Depth=1
	v_bfe_u32 v32, v30, 16, 7
	v_mov_b32_e32 v82, 0x7fc02000
	s_mov_b32 s19, exec_lo
	s_delay_alu instid0(VALU_DEP_2)
	v_cmpx_ne_u32_e32 0x7f, v32
	s_cbranch_execz .LBB365_97
; %bb.94:                               ;   in Loop: Header=BB365_11 Depth=1
	v_and_b32_e32 v8, 7, v84
	v_lshrrev_b32_e32 v82, 3, v32
	v_cmp_gt_u32_e64 s1, 8, v32
	s_delay_alu instid0(VALU_DEP_3) | instskip(NEXT) | instid1(VALU_DEP_2)
	v_dual_mov_b32 v33, v9 :: v_dual_mov_b32 v32, v8
	s_and_saveexec_b32 s20, s1
; %bb.95:                               ;   in Loop: Header=BB365_11 Depth=1
	v_clz_i32_u32_e32 v32, v8
	s_delay_alu instid0(VALU_DEP_1) | instskip(NEXT) | instid1(VALU_DEP_1)
	v_min_u32_e32 v82, 32, v32
	v_subrev_nc_u32_e32 v32, 28, v82
	v_sub_nc_u32_e32 v82, 29, v82
	s_delay_alu instid0(VALU_DEP_2) | instskip(NEXT) | instid1(VALU_DEP_1)
	v_lshlrev_b64 v[32:33], v32, v[8:9]
	v_and_b32_e32 v32, 7, v32
; %bb.96:                               ;   in Loop: Header=BB365_11 Depth=1
	s_or_b32 exec_lo, exec_lo, s20
	v_lshlrev_b32_e32 v8, 8, v84
	v_lshl_add_u32 v33, v82, 10, 0x2000
	s_delay_alu instid0(VALU_DEP_1) | instskip(NEXT) | instid1(VALU_DEP_1)
	v_and_or_b32 v8, 0x8000, v8, v33
	v_lshl_or_b32 v8, v32, 7, v8
	s_delay_alu instid0(VALU_DEP_1)
	v_cvt_f32_f16_e32 v82, v8
.LBB365_97:                             ;   in Loop: Header=BB365_11 Depth=1
	s_or_b32 exec_lo, exec_lo, s19
.LBB365_98:                             ;   in Loop: Header=BB365_11 Depth=1
	s_delay_alu instid0(SALU_CYCLE_1)
	s_or_b32 exec_lo, exec_lo, s18
.LBB365_99:                             ;   in Loop: Header=BB365_11 Depth=1
	s_delay_alu instid0(SALU_CYCLE_1)
	s_or_b32 exec_lo, exec_lo, s17
	v_dual_mov_b32 v84, 0 :: v_dual_mov_b32 v85, 0
	s_mov_b32 s17, exec_lo
	v_cmpx_lt_u32_e32 0xffffff, v30
	s_cbranch_execz .LBB365_107
; %bb.100:                              ;   in Loop: Header=BB365_11 Depth=1
	v_lshrrev_b32_e32 v86, 24, v30
	v_bfrev_b32_e32 v85, 1
	s_mov_b32 s18, exec_lo
	s_delay_alu instid0(VALU_DEP_2)
	v_cmpx_ne_u32_e32 0x80, v86
	s_cbranch_execz .LBB365_106
; %bb.101:                              ;   in Loop: Header=BB365_11 Depth=1
	v_and_b32_e32 v32, 0x7f, v86
	v_mov_b32_e32 v85, 0x7fc02000
	s_mov_b32 s19, exec_lo
	s_delay_alu instid0(VALU_DEP_2)
	v_cmpx_ne_u32_e32 0x7f, v32
	s_cbranch_execz .LBB365_105
; %bb.102:                              ;   in Loop: Header=BB365_11 Depth=1
	v_and_b32_e32 v8, 7, v86
	v_lshrrev_b32_e32 v85, 3, v32
	v_cmp_gt_u32_e64 s1, 8, v32
	s_delay_alu instid0(VALU_DEP_3) | instskip(NEXT) | instid1(VALU_DEP_2)
	v_dual_mov_b32 v33, v9 :: v_dual_mov_b32 v32, v8
	s_and_saveexec_b32 s20, s1
; %bb.103:                              ;   in Loop: Header=BB365_11 Depth=1
	v_clz_i32_u32_e32 v32, v8
	s_delay_alu instid0(VALU_DEP_1) | instskip(NEXT) | instid1(VALU_DEP_1)
	v_min_u32_e32 v85, 32, v32
	v_subrev_nc_u32_e32 v32, 28, v85
	v_sub_nc_u32_e32 v85, 29, v85
	s_delay_alu instid0(VALU_DEP_2) | instskip(NEXT) | instid1(VALU_DEP_1)
	v_lshlrev_b64 v[32:33], v32, v[8:9]
	v_and_b32_e32 v32, 7, v32
; %bb.104:                              ;   in Loop: Header=BB365_11 Depth=1
	s_or_b32 exec_lo, exec_lo, s20
	v_lshlrev_b32_e32 v8, 8, v86
	v_lshl_add_u32 v33, v85, 10, 0x2000
	s_delay_alu instid0(VALU_DEP_1) | instskip(NEXT) | instid1(VALU_DEP_1)
	v_and_or_b32 v8, 0x8000, v8, v33
	v_lshl_or_b32 v8, v32, 7, v8
	s_delay_alu instid0(VALU_DEP_1)
	v_cvt_f32_f16_e32 v85, v8
.LBB365_105:                            ;   in Loop: Header=BB365_11 Depth=1
	s_or_b32 exec_lo, exec_lo, s19
.LBB365_106:                            ;   in Loop: Header=BB365_11 Depth=1
	s_delay_alu instid0(SALU_CYCLE_1)
	s_or_b32 exec_lo, exec_lo, s18
.LBB365_107:                            ;   in Loop: Header=BB365_11 Depth=1
	s_delay_alu instid0(SALU_CYCLE_1) | instskip(SKIP_3) | instid1(VALU_DEP_2)
	s_or_b32 exec_lo, exec_lo, s17
	v_and_b32_e32 v32, 0xff, v31
	v_mov_b32_e32 v8, v31
	s_mov_b32 s17, exec_lo
	v_cmpx_ne_u16_e32 0, v32
	s_cbranch_execz .LBB365_115
; %bb.108:                              ;   in Loop: Header=BB365_11 Depth=1
	v_bfrev_b32_e32 v84, 1
	s_mov_b32 s18, exec_lo
	v_cmpx_ne_u16_e32 0x80, v32
	s_cbranch_execz .LBB365_114
; %bb.109:                              ;   in Loop: Header=BB365_11 Depth=1
	v_and_b32_e32 v32, 0x7f, v31
	v_mov_b32_e32 v84, 0x7fc02000
	s_mov_b32 s19, exec_lo
	s_delay_alu instid0(VALU_DEP_2)
	v_cmpx_ne_u32_e32 0x7f, v32
	s_cbranch_execz .LBB365_113
; %bb.110:                              ;   in Loop: Header=BB365_11 Depth=1
	v_lshrrev_b32_e32 v84, 3, v32
	v_cmp_gt_u32_e64 s1, 8, v32
	v_dual_mov_b32 v33, v9 :: v_dual_mov_b32 v32, v8
	s_delay_alu instid0(VALU_DEP_2)
	s_and_saveexec_b32 s20, s1
; %bb.111:                              ;   in Loop: Header=BB365_11 Depth=1
	v_and_b32_e32 v32, 7, v31
	s_delay_alu instid0(VALU_DEP_1) | instskip(NEXT) | instid1(VALU_DEP_1)
	v_clz_i32_u32_e32 v32, v32
	v_min_u32_e32 v84, 32, v32
	s_delay_alu instid0(VALU_DEP_1) | instskip(SKIP_1) | instid1(VALU_DEP_2)
	v_subrev_nc_u32_e32 v32, 28, v84
	v_sub_nc_u32_e32 v84, 29, v84
	v_lshlrev_b64 v[32:33], v32, v[8:9]
; %bb.112:                              ;   in Loop: Header=BB365_11 Depth=1
	s_or_b32 exec_lo, exec_lo, s20
	v_lshlrev_b32_e32 v33, 8, v31
	s_delay_alu instid0(VALU_DEP_3) | instskip(NEXT) | instid1(VALU_DEP_3)
	v_lshl_add_u32 v84, v84, 10, 0x2000
	v_lshlrev_b32_e32 v32, 7, v32
	s_delay_alu instid0(VALU_DEP_2) | instskip(NEXT) | instid1(VALU_DEP_1)
	v_and_or_b32 v33, 0x8000, v33, v84
	v_and_or_b32 v32, 0x380, v32, v33
	s_delay_alu instid0(VALU_DEP_1)
	v_cvt_f32_f16_e32 v84, v32
.LBB365_113:                            ;   in Loop: Header=BB365_11 Depth=1
	s_or_b32 exec_lo, exec_lo, s19
.LBB365_114:                            ;   in Loop: Header=BB365_11 Depth=1
	s_delay_alu instid0(SALU_CYCLE_1)
	s_or_b32 exec_lo, exec_lo, s18
.LBB365_115:                            ;   in Loop: Header=BB365_11 Depth=1
	s_delay_alu instid0(SALU_CYCLE_1) | instskip(SKIP_3) | instid1(VALU_DEP_2)
	s_or_b32 exec_lo, exec_lo, s17
	v_lshrrev_b16 v8, 8, v8
	v_dual_mov_b32 v86, 0 :: v_dual_mov_b32 v87, 0
	s_mov_b32 s17, exec_lo
	v_cmpx_ne_u16_e32 0, v8
	s_cbranch_execz .LBB365_123
; %bb.116:                              ;   in Loop: Header=BB365_11 Depth=1
	v_bfrev_b32_e32 v87, 1
	s_mov_b32 s18, exec_lo
	v_cmpx_ne_u16_e32 0x80, v8
	s_cbranch_execz .LBB365_122
; %bb.117:                              ;   in Loop: Header=BB365_11 Depth=1
	v_and_b32_e32 v96, 0xffff, v8
	v_mov_b32_e32 v87, 0x7fc02000
	s_mov_b32 s19, exec_lo
	s_delay_alu instid0(VALU_DEP_2) | instskip(NEXT) | instid1(VALU_DEP_1)
	v_and_b32_e32 v32, 0x7f, v96
	v_cmpx_ne_u32_e32 0x7f, v32
	s_cbranch_execz .LBB365_121
; %bb.118:                              ;   in Loop: Header=BB365_11 Depth=1
	v_and_b32_e32 v8, 7, v96
	v_lshrrev_b32_e32 v87, 3, v32
	v_cmp_gt_u32_e64 s1, 8, v32
	s_delay_alu instid0(VALU_DEP_3) | instskip(NEXT) | instid1(VALU_DEP_2)
	v_dual_mov_b32 v33, v9 :: v_dual_mov_b32 v32, v8
	s_and_saveexec_b32 s20, s1
; %bb.119:                              ;   in Loop: Header=BB365_11 Depth=1
	v_clz_i32_u32_e32 v32, v8
	s_delay_alu instid0(VALU_DEP_1) | instskip(NEXT) | instid1(VALU_DEP_1)
	v_min_u32_e32 v87, 32, v32
	v_subrev_nc_u32_e32 v32, 28, v87
	v_sub_nc_u32_e32 v87, 29, v87
	s_delay_alu instid0(VALU_DEP_2) | instskip(NEXT) | instid1(VALU_DEP_1)
	v_lshlrev_b64 v[32:33], v32, v[8:9]
	v_and_b32_e32 v32, 7, v32
; %bb.120:                              ;   in Loop: Header=BB365_11 Depth=1
	s_or_b32 exec_lo, exec_lo, s20
	v_lshlrev_b32_e32 v8, 8, v96
	v_lshl_add_u32 v33, v87, 10, 0x2000
	s_delay_alu instid0(VALU_DEP_1) | instskip(NEXT) | instid1(VALU_DEP_1)
	v_and_or_b32 v8, 0x8000, v8, v33
	v_lshl_or_b32 v8, v32, 7, v8
	s_delay_alu instid0(VALU_DEP_1)
	v_cvt_f32_f16_e32 v87, v8
.LBB365_121:                            ;   in Loop: Header=BB365_11 Depth=1
	s_or_b32 exec_lo, exec_lo, s19
.LBB365_122:                            ;   in Loop: Header=BB365_11 Depth=1
	s_delay_alu instid0(SALU_CYCLE_1)
	s_or_b32 exec_lo, exec_lo, s18
.LBB365_123:                            ;   in Loop: Header=BB365_11 Depth=1
	s_delay_alu instid0(SALU_CYCLE_1) | instskip(SKIP_2) | instid1(VALU_DEP_1)
	s_or_b32 exec_lo, exec_lo, s17
	v_lshrrev_b32_e32 v96, 16, v31
	s_mov_b32 s17, exec_lo
	v_and_b32_e32 v8, 0xff, v96
	s_delay_alu instid0(VALU_DEP_1)
	v_cmpx_ne_u16_e32 0, v8
	s_cbranch_execz .LBB365_131
; %bb.124:                              ;   in Loop: Header=BB365_11 Depth=1
	v_bfrev_b32_e32 v86, 1
	s_mov_b32 s18, exec_lo
	v_cmpx_ne_u16_e32 0x80, v8
	s_cbranch_execz .LBB365_130
; %bb.125:                              ;   in Loop: Header=BB365_11 Depth=1
	v_bfe_u32 v32, v31, 16, 7
	v_mov_b32_e32 v86, 0x7fc02000
	s_mov_b32 s19, exec_lo
	s_delay_alu instid0(VALU_DEP_2)
	v_cmpx_ne_u32_e32 0x7f, v32
	s_cbranch_execz .LBB365_129
; %bb.126:                              ;   in Loop: Header=BB365_11 Depth=1
	v_and_b32_e32 v8, 7, v96
	v_lshrrev_b32_e32 v86, 3, v32
	v_cmp_gt_u32_e64 s1, 8, v32
	s_delay_alu instid0(VALU_DEP_3) | instskip(NEXT) | instid1(VALU_DEP_2)
	v_dual_mov_b32 v33, v9 :: v_dual_mov_b32 v32, v8
	s_and_saveexec_b32 s20, s1
; %bb.127:                              ;   in Loop: Header=BB365_11 Depth=1
	v_clz_i32_u32_e32 v32, v8
	s_delay_alu instid0(VALU_DEP_1) | instskip(NEXT) | instid1(VALU_DEP_1)
	v_min_u32_e32 v86, 32, v32
	v_subrev_nc_u32_e32 v32, 28, v86
	v_sub_nc_u32_e32 v86, 29, v86
	s_delay_alu instid0(VALU_DEP_2) | instskip(NEXT) | instid1(VALU_DEP_1)
	v_lshlrev_b64 v[32:33], v32, v[8:9]
	v_and_b32_e32 v32, 7, v32
; %bb.128:                              ;   in Loop: Header=BB365_11 Depth=1
	s_or_b32 exec_lo, exec_lo, s20
	v_lshlrev_b32_e32 v8, 8, v96
	v_lshl_add_u32 v33, v86, 10, 0x2000
	s_delay_alu instid0(VALU_DEP_1) | instskip(NEXT) | instid1(VALU_DEP_1)
	v_and_or_b32 v8, 0x8000, v8, v33
	v_lshl_or_b32 v8, v32, 7, v8
	s_delay_alu instid0(VALU_DEP_1)
	v_cvt_f32_f16_e32 v86, v8
.LBB365_129:                            ;   in Loop: Header=BB365_11 Depth=1
	s_or_b32 exec_lo, exec_lo, s19
.LBB365_130:                            ;   in Loop: Header=BB365_11 Depth=1
	s_delay_alu instid0(SALU_CYCLE_1)
	s_or_b32 exec_lo, exec_lo, s18
.LBB365_131:                            ;   in Loop: Header=BB365_11 Depth=1
	s_delay_alu instid0(SALU_CYCLE_1)
	s_or_b32 exec_lo, exec_lo, s17
	v_dual_mov_b32 v97, 0 :: v_dual_mov_b32 v96, 0
	s_mov_b32 s17, exec_lo
	v_cmpx_lt_u64_e64 s[2:3], v[30:31]
	s_cbranch_execz .LBB365_139
; %bb.132:                              ;   in Loop: Header=BB365_11 Depth=1
	v_lshrrev_b32_e32 v32, 24, v31
	v_bfrev_b32_e32 v96, 1
	s_mov_b32 s18, exec_lo
	s_delay_alu instid0(VALU_DEP_2)
	v_cmpx_ne_u32_e32 0x80, v32
	s_cbranch_execz .LBB365_138
; %bb.133:                              ;   in Loop: Header=BB365_11 Depth=1
	v_and_b32_e32 v30, 0x7f, v32
	v_mov_b32_e32 v96, 0x7fc02000
	s_mov_b32 s19, exec_lo
	s_delay_alu instid0(VALU_DEP_2)
	v_cmpx_ne_u32_e32 0x7f, v30
	s_cbranch_execz .LBB365_137
; %bb.134:                              ;   in Loop: Header=BB365_11 Depth=1
	v_and_b32_e32 v8, 7, v32
	v_lshrrev_b32_e32 v33, 3, v30
	v_cmp_gt_u32_e64 s1, 8, v30
	s_delay_alu instid0(VALU_DEP_3) | instskip(NEXT) | instid1(VALU_DEP_2)
	v_dual_mov_b32 v31, v9 :: v_dual_mov_b32 v30, v8
	s_and_saveexec_b32 s20, s1
; %bb.135:                              ;   in Loop: Header=BB365_11 Depth=1
	v_clz_i32_u32_e32 v30, v8
	s_delay_alu instid0(VALU_DEP_1) | instskip(NEXT) | instid1(VALU_DEP_1)
	v_min_u32_e32 v33, 32, v30
	v_subrev_nc_u32_e32 v30, 28, v33
	v_sub_nc_u32_e32 v33, 29, v33
	s_delay_alu instid0(VALU_DEP_2) | instskip(NEXT) | instid1(VALU_DEP_1)
	v_lshlrev_b64 v[30:31], v30, v[8:9]
	v_and_b32_e32 v30, 7, v30
; %bb.136:                              ;   in Loop: Header=BB365_11 Depth=1
	s_or_b32 exec_lo, exec_lo, s20
	v_lshlrev_b32_e32 v8, 8, v32
	v_lshl_add_u32 v31, v33, 10, 0x2000
	s_delay_alu instid0(VALU_DEP_1) | instskip(NEXT) | instid1(VALU_DEP_1)
	v_and_or_b32 v8, 0x8000, v8, v31
	v_lshl_or_b32 v8, v30, 7, v8
	s_delay_alu instid0(VALU_DEP_1)
	v_cvt_f32_f16_e32 v96, v8
.LBB365_137:                            ;   in Loop: Header=BB365_11 Depth=1
	s_or_b32 exec_lo, exec_lo, s19
.LBB365_138:                            ;   in Loop: Header=BB365_11 Depth=1
	s_delay_alu instid0(SALU_CYCLE_1)
	s_or_b32 exec_lo, exec_lo, s18
.LBB365_139:                            ;   in Loop: Header=BB365_11 Depth=1
	s_delay_alu instid0(SALU_CYCLE_1) | instskip(SKIP_4) | instid1(VALU_DEP_1)
	s_or_b32 exec_lo, exec_lo, s17
	flat_load_b64 v[30:31], v[28:29] offset:512
	s_mov_b32 s17, exec_lo
	s_waitcnt vmcnt(0) lgkmcnt(0)
	v_and_b32_e32 v8, 0xff, v30
	v_cmpx_ne_u16_e32 0, v8
	s_cbranch_execz .LBB365_147
; %bb.140:                              ;   in Loop: Header=BB365_11 Depth=1
	v_bfrev_b32_e32 v97, 1
	s_mov_b32 s18, exec_lo
	v_cmpx_ne_u16_e32 0x80, v8
	s_cbranch_execz .LBB365_146
; %bb.141:                              ;   in Loop: Header=BB365_11 Depth=1
	v_and_b32_e32 v32, 0x7f, v30
	v_mov_b32_e32 v97, 0x7fc02000
	s_mov_b32 s19, exec_lo
	s_delay_alu instid0(VALU_DEP_2)
	v_cmpx_ne_u32_e32 0x7f, v32
	s_cbranch_execz .LBB365_145
; %bb.142:                              ;   in Loop: Header=BB365_11 Depth=1
	v_lshrrev_b32_e32 v8, 3, v32
	v_cmp_gt_u32_e64 s1, 8, v32
	v_dual_mov_b32 v33, v31 :: v_dual_mov_b32 v32, v30
	s_delay_alu instid0(VALU_DEP_2)
	s_and_saveexec_b32 s20, s1
; %bb.143:                              ;   in Loop: Header=BB365_11 Depth=1
	v_and_b32_e32 v8, 7, v30
	s_delay_alu instid0(VALU_DEP_1) | instskip(NEXT) | instid1(VALU_DEP_1)
	v_clz_i32_u32_e32 v8, v8
	v_min_u32_e32 v8, 32, v8
	s_delay_alu instid0(VALU_DEP_1) | instskip(SKIP_1) | instid1(VALU_DEP_2)
	v_subrev_nc_u32_e32 v32, 28, v8
	v_sub_nc_u32_e32 v8, 29, v8
	v_lshlrev_b64 v[32:33], v32, v[30:31]
; %bb.144:                              ;   in Loop: Header=BB365_11 Depth=1
	s_or_b32 exec_lo, exec_lo, s20
	v_lshlrev_b32_e32 v33, 8, v30
	s_delay_alu instid0(VALU_DEP_3) | instskip(NEXT) | instid1(VALU_DEP_3)
	v_lshl_add_u32 v8, v8, 10, 0x2000
	v_lshlrev_b32_e32 v32, 7, v32
	s_delay_alu instid0(VALU_DEP_2) | instskip(NEXT) | instid1(VALU_DEP_1)
	v_and_or_b32 v8, 0x8000, v33, v8
	v_and_or_b32 v8, 0x380, v32, v8
	s_delay_alu instid0(VALU_DEP_1)
	v_cvt_f32_f16_e32 v97, v8
.LBB365_145:                            ;   in Loop: Header=BB365_11 Depth=1
	s_or_b32 exec_lo, exec_lo, s19
.LBB365_146:                            ;   in Loop: Header=BB365_11 Depth=1
	s_delay_alu instid0(SALU_CYCLE_1)
	s_or_b32 exec_lo, exec_lo, s18
.LBB365_147:                            ;   in Loop: Header=BB365_11 Depth=1
	s_delay_alu instid0(SALU_CYCLE_1) | instskip(SKIP_3) | instid1(VALU_DEP_2)
	s_or_b32 exec_lo, exec_lo, s17
	v_lshrrev_b16 v8, 8, v30
	v_dual_mov_b32 v98, 0 :: v_dual_mov_b32 v99, 0
	s_mov_b32 s17, exec_lo
	v_cmpx_ne_u16_e32 0, v8
	s_cbranch_execz .LBB365_155
; %bb.148:                              ;   in Loop: Header=BB365_11 Depth=1
	v_bfrev_b32_e32 v99, 1
	s_mov_b32 s18, exec_lo
	v_cmpx_ne_u16_e32 0x80, v8
	s_cbranch_execz .LBB365_154
; %bb.149:                              ;   in Loop: Header=BB365_11 Depth=1
	v_and_b32_e32 v100, 0xffff, v8
	v_mov_b32_e32 v99, 0x7fc02000
	s_mov_b32 s19, exec_lo
	s_delay_alu instid0(VALU_DEP_2) | instskip(NEXT) | instid1(VALU_DEP_1)
	v_and_b32_e32 v32, 0x7f, v100
	v_cmpx_ne_u32_e32 0x7f, v32
	s_cbranch_execz .LBB365_153
; %bb.150:                              ;   in Loop: Header=BB365_11 Depth=1
	v_and_b32_e32 v8, 7, v100
	v_lshrrev_b32_e32 v99, 3, v32
	v_cmp_gt_u32_e64 s1, 8, v32
	s_delay_alu instid0(VALU_DEP_3) | instskip(NEXT) | instid1(VALU_DEP_2)
	v_dual_mov_b32 v33, v9 :: v_dual_mov_b32 v32, v8
	s_and_saveexec_b32 s20, s1
; %bb.151:                              ;   in Loop: Header=BB365_11 Depth=1
	v_clz_i32_u32_e32 v32, v8
	s_delay_alu instid0(VALU_DEP_1) | instskip(NEXT) | instid1(VALU_DEP_1)
	v_min_u32_e32 v99, 32, v32
	v_subrev_nc_u32_e32 v32, 28, v99
	v_sub_nc_u32_e32 v99, 29, v99
	s_delay_alu instid0(VALU_DEP_2) | instskip(NEXT) | instid1(VALU_DEP_1)
	v_lshlrev_b64 v[32:33], v32, v[8:9]
	v_and_b32_e32 v32, 7, v32
; %bb.152:                              ;   in Loop: Header=BB365_11 Depth=1
	s_or_b32 exec_lo, exec_lo, s20
	v_lshlrev_b32_e32 v8, 8, v100
	v_lshl_add_u32 v33, v99, 10, 0x2000
	s_delay_alu instid0(VALU_DEP_1) | instskip(NEXT) | instid1(VALU_DEP_1)
	v_and_or_b32 v8, 0x8000, v8, v33
	v_lshl_or_b32 v8, v32, 7, v8
	s_delay_alu instid0(VALU_DEP_1)
	v_cvt_f32_f16_e32 v99, v8
.LBB365_153:                            ;   in Loop: Header=BB365_11 Depth=1
	s_or_b32 exec_lo, exec_lo, s19
.LBB365_154:                            ;   in Loop: Header=BB365_11 Depth=1
	s_delay_alu instid0(SALU_CYCLE_1)
	s_or_b32 exec_lo, exec_lo, s18
.LBB365_155:                            ;   in Loop: Header=BB365_11 Depth=1
	s_delay_alu instid0(SALU_CYCLE_1) | instskip(SKIP_2) | instid1(VALU_DEP_1)
	s_or_b32 exec_lo, exec_lo, s17
	v_lshrrev_b32_e32 v100, 16, v30
	s_mov_b32 s17, exec_lo
	v_and_b32_e32 v8, 0xff, v100
	s_delay_alu instid0(VALU_DEP_1)
	v_cmpx_ne_u16_e32 0, v8
	s_cbranch_execz .LBB365_163
; %bb.156:                              ;   in Loop: Header=BB365_11 Depth=1
	v_bfrev_b32_e32 v98, 1
	s_mov_b32 s18, exec_lo
	v_cmpx_ne_u16_e32 0x80, v8
	s_cbranch_execz .LBB365_162
; %bb.157:                              ;   in Loop: Header=BB365_11 Depth=1
	v_bfe_u32 v32, v30, 16, 7
	v_mov_b32_e32 v98, 0x7fc02000
	s_mov_b32 s19, exec_lo
	s_delay_alu instid0(VALU_DEP_2)
	v_cmpx_ne_u32_e32 0x7f, v32
	s_cbranch_execz .LBB365_161
; %bb.158:                              ;   in Loop: Header=BB365_11 Depth=1
	v_and_b32_e32 v8, 7, v100
	v_lshrrev_b32_e32 v98, 3, v32
	v_cmp_gt_u32_e64 s1, 8, v32
	s_delay_alu instid0(VALU_DEP_3) | instskip(NEXT) | instid1(VALU_DEP_2)
	v_dual_mov_b32 v33, v9 :: v_dual_mov_b32 v32, v8
	s_and_saveexec_b32 s20, s1
; %bb.159:                              ;   in Loop: Header=BB365_11 Depth=1
	v_clz_i32_u32_e32 v32, v8
	s_delay_alu instid0(VALU_DEP_1) | instskip(NEXT) | instid1(VALU_DEP_1)
	v_min_u32_e32 v98, 32, v32
	v_subrev_nc_u32_e32 v32, 28, v98
	v_sub_nc_u32_e32 v98, 29, v98
	s_delay_alu instid0(VALU_DEP_2) | instskip(NEXT) | instid1(VALU_DEP_1)
	v_lshlrev_b64 v[32:33], v32, v[8:9]
	v_and_b32_e32 v32, 7, v32
; %bb.160:                              ;   in Loop: Header=BB365_11 Depth=1
	s_or_b32 exec_lo, exec_lo, s20
	v_lshlrev_b32_e32 v8, 8, v100
	v_lshl_add_u32 v33, v98, 10, 0x2000
	s_delay_alu instid0(VALU_DEP_1) | instskip(NEXT) | instid1(VALU_DEP_1)
	v_and_or_b32 v8, 0x8000, v8, v33
	v_lshl_or_b32 v8, v32, 7, v8
	s_delay_alu instid0(VALU_DEP_1)
	v_cvt_f32_f16_e32 v98, v8
.LBB365_161:                            ;   in Loop: Header=BB365_11 Depth=1
	s_or_b32 exec_lo, exec_lo, s19
.LBB365_162:                            ;   in Loop: Header=BB365_11 Depth=1
	s_delay_alu instid0(SALU_CYCLE_1)
	s_or_b32 exec_lo, exec_lo, s18
.LBB365_163:                            ;   in Loop: Header=BB365_11 Depth=1
	s_delay_alu instid0(SALU_CYCLE_1)
	s_or_b32 exec_lo, exec_lo, s17
	v_dual_mov_b32 v100, 0 :: v_dual_mov_b32 v101, 0
	s_mov_b32 s17, exec_lo
	v_cmpx_lt_u32_e32 0xffffff, v30
	s_cbranch_execz .LBB365_171
; %bb.164:                              ;   in Loop: Header=BB365_11 Depth=1
	v_lshrrev_b32_e32 v102, 24, v30
	v_bfrev_b32_e32 v101, 1
	s_mov_b32 s18, exec_lo
	s_delay_alu instid0(VALU_DEP_2)
	v_cmpx_ne_u32_e32 0x80, v102
	s_cbranch_execz .LBB365_170
; %bb.165:                              ;   in Loop: Header=BB365_11 Depth=1
	v_and_b32_e32 v32, 0x7f, v102
	v_mov_b32_e32 v101, 0x7fc02000
	s_mov_b32 s19, exec_lo
	s_delay_alu instid0(VALU_DEP_2)
	v_cmpx_ne_u32_e32 0x7f, v32
	s_cbranch_execz .LBB365_169
; %bb.166:                              ;   in Loop: Header=BB365_11 Depth=1
	v_and_b32_e32 v8, 7, v102
	v_lshrrev_b32_e32 v101, 3, v32
	v_cmp_gt_u32_e64 s1, 8, v32
	s_delay_alu instid0(VALU_DEP_3) | instskip(NEXT) | instid1(VALU_DEP_2)
	v_dual_mov_b32 v33, v9 :: v_dual_mov_b32 v32, v8
	s_and_saveexec_b32 s20, s1
; %bb.167:                              ;   in Loop: Header=BB365_11 Depth=1
	v_clz_i32_u32_e32 v32, v8
	s_delay_alu instid0(VALU_DEP_1) | instskip(NEXT) | instid1(VALU_DEP_1)
	v_min_u32_e32 v101, 32, v32
	v_subrev_nc_u32_e32 v32, 28, v101
	v_sub_nc_u32_e32 v101, 29, v101
	s_delay_alu instid0(VALU_DEP_2) | instskip(NEXT) | instid1(VALU_DEP_1)
	v_lshlrev_b64 v[32:33], v32, v[8:9]
	v_and_b32_e32 v32, 7, v32
; %bb.168:                              ;   in Loop: Header=BB365_11 Depth=1
	s_or_b32 exec_lo, exec_lo, s20
	v_lshlrev_b32_e32 v8, 8, v102
	v_lshl_add_u32 v33, v101, 10, 0x2000
	s_delay_alu instid0(VALU_DEP_1) | instskip(NEXT) | instid1(VALU_DEP_1)
	v_and_or_b32 v8, 0x8000, v8, v33
	v_lshl_or_b32 v8, v32, 7, v8
	s_delay_alu instid0(VALU_DEP_1)
	v_cvt_f32_f16_e32 v101, v8
.LBB365_169:                            ;   in Loop: Header=BB365_11 Depth=1
	s_or_b32 exec_lo, exec_lo, s19
.LBB365_170:                            ;   in Loop: Header=BB365_11 Depth=1
	s_delay_alu instid0(SALU_CYCLE_1)
	s_or_b32 exec_lo, exec_lo, s18
.LBB365_171:                            ;   in Loop: Header=BB365_11 Depth=1
	s_delay_alu instid0(SALU_CYCLE_1) | instskip(SKIP_3) | instid1(VALU_DEP_2)
	s_or_b32 exec_lo, exec_lo, s17
	v_and_b32_e32 v32, 0xff, v31
	v_mov_b32_e32 v8, v31
	s_mov_b32 s17, exec_lo
	v_cmpx_ne_u16_e32 0, v32
	s_cbranch_execz .LBB365_179
; %bb.172:                              ;   in Loop: Header=BB365_11 Depth=1
	v_bfrev_b32_e32 v100, 1
	s_mov_b32 s18, exec_lo
	v_cmpx_ne_u16_e32 0x80, v32
	s_cbranch_execz .LBB365_178
; %bb.173:                              ;   in Loop: Header=BB365_11 Depth=1
	v_and_b32_e32 v32, 0x7f, v31
	v_mov_b32_e32 v100, 0x7fc02000
	s_mov_b32 s19, exec_lo
	s_delay_alu instid0(VALU_DEP_2)
	v_cmpx_ne_u32_e32 0x7f, v32
	s_cbranch_execz .LBB365_177
; %bb.174:                              ;   in Loop: Header=BB365_11 Depth=1
	v_lshrrev_b32_e32 v100, 3, v32
	v_cmp_gt_u32_e64 s1, 8, v32
	v_dual_mov_b32 v33, v9 :: v_dual_mov_b32 v32, v8
	s_delay_alu instid0(VALU_DEP_2)
	s_and_saveexec_b32 s20, s1
; %bb.175:                              ;   in Loop: Header=BB365_11 Depth=1
	v_and_b32_e32 v32, 7, v31
	s_delay_alu instid0(VALU_DEP_1) | instskip(NEXT) | instid1(VALU_DEP_1)
	v_clz_i32_u32_e32 v32, v32
	v_min_u32_e32 v100, 32, v32
	s_delay_alu instid0(VALU_DEP_1) | instskip(SKIP_1) | instid1(VALU_DEP_2)
	v_subrev_nc_u32_e32 v32, 28, v100
	v_sub_nc_u32_e32 v100, 29, v100
	v_lshlrev_b64 v[32:33], v32, v[8:9]
; %bb.176:                              ;   in Loop: Header=BB365_11 Depth=1
	s_or_b32 exec_lo, exec_lo, s20
	v_lshlrev_b32_e32 v33, 8, v31
	s_delay_alu instid0(VALU_DEP_3) | instskip(NEXT) | instid1(VALU_DEP_3)
	v_lshl_add_u32 v100, v100, 10, 0x2000
	v_lshlrev_b32_e32 v32, 7, v32
	s_delay_alu instid0(VALU_DEP_2) | instskip(NEXT) | instid1(VALU_DEP_1)
	v_and_or_b32 v33, 0x8000, v33, v100
	v_and_or_b32 v32, 0x380, v32, v33
	s_delay_alu instid0(VALU_DEP_1)
	v_cvt_f32_f16_e32 v100, v32
.LBB365_177:                            ;   in Loop: Header=BB365_11 Depth=1
	s_or_b32 exec_lo, exec_lo, s19
.LBB365_178:                            ;   in Loop: Header=BB365_11 Depth=1
	s_delay_alu instid0(SALU_CYCLE_1)
	s_or_b32 exec_lo, exec_lo, s18
.LBB365_179:                            ;   in Loop: Header=BB365_11 Depth=1
	s_delay_alu instid0(SALU_CYCLE_1) | instskip(SKIP_3) | instid1(VALU_DEP_2)
	s_or_b32 exec_lo, exec_lo, s17
	v_lshrrev_b16 v8, 8, v8
	v_dual_mov_b32 v102, 0 :: v_dual_mov_b32 v103, 0
	s_mov_b32 s17, exec_lo
	v_cmpx_ne_u16_e32 0, v8
	s_cbranch_execz .LBB365_187
; %bb.180:                              ;   in Loop: Header=BB365_11 Depth=1
	v_bfrev_b32_e32 v103, 1
	s_mov_b32 s18, exec_lo
	v_cmpx_ne_u16_e32 0x80, v8
	s_cbranch_execz .LBB365_186
; %bb.181:                              ;   in Loop: Header=BB365_11 Depth=1
	v_and_b32_e32 v112, 0xffff, v8
	v_mov_b32_e32 v103, 0x7fc02000
	s_mov_b32 s19, exec_lo
	s_delay_alu instid0(VALU_DEP_2) | instskip(NEXT) | instid1(VALU_DEP_1)
	v_and_b32_e32 v32, 0x7f, v112
	v_cmpx_ne_u32_e32 0x7f, v32
	s_cbranch_execz .LBB365_185
; %bb.182:                              ;   in Loop: Header=BB365_11 Depth=1
	v_and_b32_e32 v8, 7, v112
	v_lshrrev_b32_e32 v103, 3, v32
	v_cmp_gt_u32_e64 s1, 8, v32
	s_delay_alu instid0(VALU_DEP_3) | instskip(NEXT) | instid1(VALU_DEP_2)
	v_dual_mov_b32 v33, v9 :: v_dual_mov_b32 v32, v8
	s_and_saveexec_b32 s20, s1
; %bb.183:                              ;   in Loop: Header=BB365_11 Depth=1
	v_clz_i32_u32_e32 v32, v8
	s_delay_alu instid0(VALU_DEP_1) | instskip(NEXT) | instid1(VALU_DEP_1)
	v_min_u32_e32 v103, 32, v32
	v_subrev_nc_u32_e32 v32, 28, v103
	v_sub_nc_u32_e32 v103, 29, v103
	s_delay_alu instid0(VALU_DEP_2) | instskip(NEXT) | instid1(VALU_DEP_1)
	v_lshlrev_b64 v[32:33], v32, v[8:9]
	v_and_b32_e32 v32, 7, v32
; %bb.184:                              ;   in Loop: Header=BB365_11 Depth=1
	s_or_b32 exec_lo, exec_lo, s20
	v_lshlrev_b32_e32 v8, 8, v112
	v_lshl_add_u32 v33, v103, 10, 0x2000
	s_delay_alu instid0(VALU_DEP_1) | instskip(NEXT) | instid1(VALU_DEP_1)
	v_and_or_b32 v8, 0x8000, v8, v33
	v_lshl_or_b32 v8, v32, 7, v8
	s_delay_alu instid0(VALU_DEP_1)
	v_cvt_f32_f16_e32 v103, v8
.LBB365_185:                            ;   in Loop: Header=BB365_11 Depth=1
	s_or_b32 exec_lo, exec_lo, s19
.LBB365_186:                            ;   in Loop: Header=BB365_11 Depth=1
	s_delay_alu instid0(SALU_CYCLE_1)
	s_or_b32 exec_lo, exec_lo, s18
.LBB365_187:                            ;   in Loop: Header=BB365_11 Depth=1
	s_delay_alu instid0(SALU_CYCLE_1) | instskip(SKIP_2) | instid1(VALU_DEP_1)
	s_or_b32 exec_lo, exec_lo, s17
	v_lshrrev_b32_e32 v112, 16, v31
	s_mov_b32 s17, exec_lo
	v_and_b32_e32 v8, 0xff, v112
	s_delay_alu instid0(VALU_DEP_1)
	v_cmpx_ne_u16_e32 0, v8
	s_cbranch_execz .LBB365_195
; %bb.188:                              ;   in Loop: Header=BB365_11 Depth=1
	v_bfrev_b32_e32 v102, 1
	s_mov_b32 s18, exec_lo
	v_cmpx_ne_u16_e32 0x80, v8
	s_cbranch_execz .LBB365_194
; %bb.189:                              ;   in Loop: Header=BB365_11 Depth=1
	v_bfe_u32 v32, v31, 16, 7
	v_mov_b32_e32 v102, 0x7fc02000
	s_mov_b32 s19, exec_lo
	s_delay_alu instid0(VALU_DEP_2)
	v_cmpx_ne_u32_e32 0x7f, v32
	s_cbranch_execz .LBB365_193
; %bb.190:                              ;   in Loop: Header=BB365_11 Depth=1
	v_and_b32_e32 v8, 7, v112
	v_lshrrev_b32_e32 v102, 3, v32
	v_cmp_gt_u32_e64 s1, 8, v32
	s_delay_alu instid0(VALU_DEP_3) | instskip(NEXT) | instid1(VALU_DEP_2)
	v_dual_mov_b32 v33, v9 :: v_dual_mov_b32 v32, v8
	s_and_saveexec_b32 s20, s1
; %bb.191:                              ;   in Loop: Header=BB365_11 Depth=1
	v_clz_i32_u32_e32 v32, v8
	s_delay_alu instid0(VALU_DEP_1) | instskip(NEXT) | instid1(VALU_DEP_1)
	v_min_u32_e32 v102, 32, v32
	v_subrev_nc_u32_e32 v32, 28, v102
	v_sub_nc_u32_e32 v102, 29, v102
	s_delay_alu instid0(VALU_DEP_2) | instskip(NEXT) | instid1(VALU_DEP_1)
	v_lshlrev_b64 v[32:33], v32, v[8:9]
	v_and_b32_e32 v32, 7, v32
; %bb.192:                              ;   in Loop: Header=BB365_11 Depth=1
	s_or_b32 exec_lo, exec_lo, s20
	v_lshlrev_b32_e32 v8, 8, v112
	v_lshl_add_u32 v33, v102, 10, 0x2000
	s_delay_alu instid0(VALU_DEP_1) | instskip(NEXT) | instid1(VALU_DEP_1)
	v_and_or_b32 v8, 0x8000, v8, v33
	v_lshl_or_b32 v8, v32, 7, v8
	s_delay_alu instid0(VALU_DEP_1)
	v_cvt_f32_f16_e32 v102, v8
.LBB365_193:                            ;   in Loop: Header=BB365_11 Depth=1
	s_or_b32 exec_lo, exec_lo, s19
.LBB365_194:                            ;   in Loop: Header=BB365_11 Depth=1
	s_delay_alu instid0(SALU_CYCLE_1)
	s_or_b32 exec_lo, exec_lo, s18
.LBB365_195:                            ;   in Loop: Header=BB365_11 Depth=1
	s_delay_alu instid0(SALU_CYCLE_1)
	s_or_b32 exec_lo, exec_lo, s17
	v_dual_mov_b32 v113, 0 :: v_dual_mov_b32 v112, 0
	s_mov_b32 s17, exec_lo
	v_cmpx_lt_u64_e64 s[2:3], v[30:31]
	s_cbranch_execz .LBB365_203
; %bb.196:                              ;   in Loop: Header=BB365_11 Depth=1
	v_lshrrev_b32_e32 v32, 24, v31
	v_bfrev_b32_e32 v112, 1
	s_mov_b32 s18, exec_lo
	s_delay_alu instid0(VALU_DEP_2)
	v_cmpx_ne_u32_e32 0x80, v32
	s_cbranch_execz .LBB365_202
; %bb.197:                              ;   in Loop: Header=BB365_11 Depth=1
	v_and_b32_e32 v30, 0x7f, v32
	v_mov_b32_e32 v112, 0x7fc02000
	s_mov_b32 s19, exec_lo
	s_delay_alu instid0(VALU_DEP_2)
	v_cmpx_ne_u32_e32 0x7f, v30
	s_cbranch_execz .LBB365_201
; %bb.198:                              ;   in Loop: Header=BB365_11 Depth=1
	v_and_b32_e32 v8, 7, v32
	v_lshrrev_b32_e32 v33, 3, v30
	v_cmp_gt_u32_e64 s1, 8, v30
	s_delay_alu instid0(VALU_DEP_3) | instskip(NEXT) | instid1(VALU_DEP_2)
	v_dual_mov_b32 v31, v9 :: v_dual_mov_b32 v30, v8
	s_and_saveexec_b32 s20, s1
; %bb.199:                              ;   in Loop: Header=BB365_11 Depth=1
	v_clz_i32_u32_e32 v30, v8
	s_delay_alu instid0(VALU_DEP_1) | instskip(NEXT) | instid1(VALU_DEP_1)
	v_min_u32_e32 v33, 32, v30
	v_subrev_nc_u32_e32 v30, 28, v33
	v_sub_nc_u32_e32 v33, 29, v33
	s_delay_alu instid0(VALU_DEP_2) | instskip(NEXT) | instid1(VALU_DEP_1)
	v_lshlrev_b64 v[30:31], v30, v[8:9]
	v_and_b32_e32 v30, 7, v30
; %bb.200:                              ;   in Loop: Header=BB365_11 Depth=1
	s_or_b32 exec_lo, exec_lo, s20
	v_lshlrev_b32_e32 v8, 8, v32
	v_lshl_add_u32 v31, v33, 10, 0x2000
	s_delay_alu instid0(VALU_DEP_1) | instskip(NEXT) | instid1(VALU_DEP_1)
	v_and_or_b32 v8, 0x8000, v8, v31
	v_lshl_or_b32 v8, v30, 7, v8
	s_delay_alu instid0(VALU_DEP_1)
	v_cvt_f32_f16_e32 v112, v8
.LBB365_201:                            ;   in Loop: Header=BB365_11 Depth=1
	s_or_b32 exec_lo, exec_lo, s19
.LBB365_202:                            ;   in Loop: Header=BB365_11 Depth=1
	s_delay_alu instid0(SALU_CYCLE_1)
	s_or_b32 exec_lo, exec_lo, s18
.LBB365_203:                            ;   in Loop: Header=BB365_11 Depth=1
	s_delay_alu instid0(SALU_CYCLE_1) | instskip(SKIP_4) | instid1(VALU_DEP_1)
	s_or_b32 exec_lo, exec_lo, s17
	flat_load_b64 v[30:31], v[28:29] offset:520
	s_mov_b32 s17, exec_lo
	s_waitcnt vmcnt(0) lgkmcnt(0)
	v_and_b32_e32 v8, 0xff, v30
	v_cmpx_ne_u16_e32 0, v8
	s_cbranch_execz .LBB365_211
; %bb.204:                              ;   in Loop: Header=BB365_11 Depth=1
	v_bfrev_b32_e32 v113, 1
	s_mov_b32 s18, exec_lo
	v_cmpx_ne_u16_e32 0x80, v8
	s_cbranch_execz .LBB365_210
; %bb.205:                              ;   in Loop: Header=BB365_11 Depth=1
	v_and_b32_e32 v32, 0x7f, v30
	v_mov_b32_e32 v113, 0x7fc02000
	s_mov_b32 s19, exec_lo
	s_delay_alu instid0(VALU_DEP_2)
	v_cmpx_ne_u32_e32 0x7f, v32
	s_cbranch_execz .LBB365_209
; %bb.206:                              ;   in Loop: Header=BB365_11 Depth=1
	v_lshrrev_b32_e32 v8, 3, v32
	v_cmp_gt_u32_e64 s1, 8, v32
	v_dual_mov_b32 v33, v31 :: v_dual_mov_b32 v32, v30
	s_delay_alu instid0(VALU_DEP_2)
	s_and_saveexec_b32 s20, s1
; %bb.207:                              ;   in Loop: Header=BB365_11 Depth=1
	v_and_b32_e32 v8, 7, v30
	s_delay_alu instid0(VALU_DEP_1) | instskip(NEXT) | instid1(VALU_DEP_1)
	v_clz_i32_u32_e32 v8, v8
	v_min_u32_e32 v8, 32, v8
	s_delay_alu instid0(VALU_DEP_1) | instskip(SKIP_1) | instid1(VALU_DEP_2)
	v_subrev_nc_u32_e32 v32, 28, v8
	v_sub_nc_u32_e32 v8, 29, v8
	v_lshlrev_b64 v[32:33], v32, v[30:31]
; %bb.208:                              ;   in Loop: Header=BB365_11 Depth=1
	s_or_b32 exec_lo, exec_lo, s20
	v_lshlrev_b32_e32 v33, 8, v30
	s_delay_alu instid0(VALU_DEP_3) | instskip(NEXT) | instid1(VALU_DEP_3)
	v_lshl_add_u32 v8, v8, 10, 0x2000
	v_lshlrev_b32_e32 v32, 7, v32
	s_delay_alu instid0(VALU_DEP_2) | instskip(NEXT) | instid1(VALU_DEP_1)
	v_and_or_b32 v8, 0x8000, v33, v8
	v_and_or_b32 v8, 0x380, v32, v8
	s_delay_alu instid0(VALU_DEP_1)
	v_cvt_f32_f16_e32 v113, v8
.LBB365_209:                            ;   in Loop: Header=BB365_11 Depth=1
	s_or_b32 exec_lo, exec_lo, s19
.LBB365_210:                            ;   in Loop: Header=BB365_11 Depth=1
	s_delay_alu instid0(SALU_CYCLE_1)
	s_or_b32 exec_lo, exec_lo, s18
.LBB365_211:                            ;   in Loop: Header=BB365_11 Depth=1
	s_delay_alu instid0(SALU_CYCLE_1) | instskip(SKIP_3) | instid1(VALU_DEP_2)
	s_or_b32 exec_lo, exec_lo, s17
	v_lshrrev_b16 v8, 8, v30
	v_dual_mov_b32 v114, 0 :: v_dual_mov_b32 v115, 0
	s_mov_b32 s17, exec_lo
	v_cmpx_ne_u16_e32 0, v8
	s_cbranch_execz .LBB365_219
; %bb.212:                              ;   in Loop: Header=BB365_11 Depth=1
	v_bfrev_b32_e32 v115, 1
	s_mov_b32 s18, exec_lo
	v_cmpx_ne_u16_e32 0x80, v8
	s_cbranch_execz .LBB365_218
; %bb.213:                              ;   in Loop: Header=BB365_11 Depth=1
	v_and_b32_e32 v116, 0xffff, v8
	v_mov_b32_e32 v115, 0x7fc02000
	s_mov_b32 s19, exec_lo
	s_delay_alu instid0(VALU_DEP_2) | instskip(NEXT) | instid1(VALU_DEP_1)
	v_and_b32_e32 v32, 0x7f, v116
	v_cmpx_ne_u32_e32 0x7f, v32
	s_cbranch_execz .LBB365_217
; %bb.214:                              ;   in Loop: Header=BB365_11 Depth=1
	v_and_b32_e32 v8, 7, v116
	v_lshrrev_b32_e32 v115, 3, v32
	v_cmp_gt_u32_e64 s1, 8, v32
	s_delay_alu instid0(VALU_DEP_3) | instskip(NEXT) | instid1(VALU_DEP_2)
	v_dual_mov_b32 v33, v9 :: v_dual_mov_b32 v32, v8
	s_and_saveexec_b32 s20, s1
; %bb.215:                              ;   in Loop: Header=BB365_11 Depth=1
	v_clz_i32_u32_e32 v32, v8
	s_delay_alu instid0(VALU_DEP_1) | instskip(NEXT) | instid1(VALU_DEP_1)
	v_min_u32_e32 v115, 32, v32
	v_subrev_nc_u32_e32 v32, 28, v115
	v_sub_nc_u32_e32 v115, 29, v115
	s_delay_alu instid0(VALU_DEP_2) | instskip(NEXT) | instid1(VALU_DEP_1)
	v_lshlrev_b64 v[32:33], v32, v[8:9]
	v_and_b32_e32 v32, 7, v32
; %bb.216:                              ;   in Loop: Header=BB365_11 Depth=1
	s_or_b32 exec_lo, exec_lo, s20
	v_lshlrev_b32_e32 v8, 8, v116
	v_lshl_add_u32 v33, v115, 10, 0x2000
	s_delay_alu instid0(VALU_DEP_1) | instskip(NEXT) | instid1(VALU_DEP_1)
	v_and_or_b32 v8, 0x8000, v8, v33
	v_lshl_or_b32 v8, v32, 7, v8
	s_delay_alu instid0(VALU_DEP_1)
	v_cvt_f32_f16_e32 v115, v8
.LBB365_217:                            ;   in Loop: Header=BB365_11 Depth=1
	s_or_b32 exec_lo, exec_lo, s19
.LBB365_218:                            ;   in Loop: Header=BB365_11 Depth=1
	s_delay_alu instid0(SALU_CYCLE_1)
	s_or_b32 exec_lo, exec_lo, s18
.LBB365_219:                            ;   in Loop: Header=BB365_11 Depth=1
	s_delay_alu instid0(SALU_CYCLE_1) | instskip(SKIP_2) | instid1(VALU_DEP_1)
	s_or_b32 exec_lo, exec_lo, s17
	v_lshrrev_b32_e32 v116, 16, v30
	s_mov_b32 s17, exec_lo
	v_and_b32_e32 v8, 0xff, v116
	s_delay_alu instid0(VALU_DEP_1)
	v_cmpx_ne_u16_e32 0, v8
	s_cbranch_execz .LBB365_227
; %bb.220:                              ;   in Loop: Header=BB365_11 Depth=1
	v_bfrev_b32_e32 v114, 1
	s_mov_b32 s18, exec_lo
	v_cmpx_ne_u16_e32 0x80, v8
	s_cbranch_execz .LBB365_226
; %bb.221:                              ;   in Loop: Header=BB365_11 Depth=1
	v_bfe_u32 v32, v30, 16, 7
	v_mov_b32_e32 v114, 0x7fc02000
	s_mov_b32 s19, exec_lo
	s_delay_alu instid0(VALU_DEP_2)
	v_cmpx_ne_u32_e32 0x7f, v32
	s_cbranch_execz .LBB365_225
; %bb.222:                              ;   in Loop: Header=BB365_11 Depth=1
	v_and_b32_e32 v8, 7, v116
	v_lshrrev_b32_e32 v114, 3, v32
	v_cmp_gt_u32_e64 s1, 8, v32
	s_delay_alu instid0(VALU_DEP_3) | instskip(NEXT) | instid1(VALU_DEP_2)
	v_dual_mov_b32 v33, v9 :: v_dual_mov_b32 v32, v8
	s_and_saveexec_b32 s20, s1
; %bb.223:                              ;   in Loop: Header=BB365_11 Depth=1
	v_clz_i32_u32_e32 v32, v8
	s_delay_alu instid0(VALU_DEP_1) | instskip(NEXT) | instid1(VALU_DEP_1)
	v_min_u32_e32 v114, 32, v32
	v_subrev_nc_u32_e32 v32, 28, v114
	v_sub_nc_u32_e32 v114, 29, v114
	s_delay_alu instid0(VALU_DEP_2) | instskip(NEXT) | instid1(VALU_DEP_1)
	v_lshlrev_b64 v[32:33], v32, v[8:9]
	v_and_b32_e32 v32, 7, v32
; %bb.224:                              ;   in Loop: Header=BB365_11 Depth=1
	s_or_b32 exec_lo, exec_lo, s20
	v_lshlrev_b32_e32 v8, 8, v116
	v_lshl_add_u32 v33, v114, 10, 0x2000
	s_delay_alu instid0(VALU_DEP_1) | instskip(NEXT) | instid1(VALU_DEP_1)
	v_and_or_b32 v8, 0x8000, v8, v33
	v_lshl_or_b32 v8, v32, 7, v8
	s_delay_alu instid0(VALU_DEP_1)
	v_cvt_f32_f16_e32 v114, v8
.LBB365_225:                            ;   in Loop: Header=BB365_11 Depth=1
	s_or_b32 exec_lo, exec_lo, s19
.LBB365_226:                            ;   in Loop: Header=BB365_11 Depth=1
	s_delay_alu instid0(SALU_CYCLE_1)
	s_or_b32 exec_lo, exec_lo, s18
.LBB365_227:                            ;   in Loop: Header=BB365_11 Depth=1
	s_delay_alu instid0(SALU_CYCLE_1)
	s_or_b32 exec_lo, exec_lo, s17
	v_dual_mov_b32 v116, 0 :: v_dual_mov_b32 v117, 0
	s_mov_b32 s17, exec_lo
	v_cmpx_lt_u32_e32 0xffffff, v30
	s_cbranch_execz .LBB365_235
; %bb.228:                              ;   in Loop: Header=BB365_11 Depth=1
	v_lshrrev_b32_e32 v118, 24, v30
	v_bfrev_b32_e32 v117, 1
	s_mov_b32 s18, exec_lo
	s_delay_alu instid0(VALU_DEP_2)
	v_cmpx_ne_u32_e32 0x80, v118
	s_cbranch_execz .LBB365_234
; %bb.229:                              ;   in Loop: Header=BB365_11 Depth=1
	v_and_b32_e32 v32, 0x7f, v118
	v_mov_b32_e32 v117, 0x7fc02000
	s_mov_b32 s19, exec_lo
	s_delay_alu instid0(VALU_DEP_2)
	v_cmpx_ne_u32_e32 0x7f, v32
	s_cbranch_execz .LBB365_233
; %bb.230:                              ;   in Loop: Header=BB365_11 Depth=1
	v_and_b32_e32 v8, 7, v118
	v_lshrrev_b32_e32 v117, 3, v32
	v_cmp_gt_u32_e64 s1, 8, v32
	s_delay_alu instid0(VALU_DEP_3) | instskip(NEXT) | instid1(VALU_DEP_2)
	v_dual_mov_b32 v33, v9 :: v_dual_mov_b32 v32, v8
	s_and_saveexec_b32 s20, s1
; %bb.231:                              ;   in Loop: Header=BB365_11 Depth=1
	v_clz_i32_u32_e32 v32, v8
	s_delay_alu instid0(VALU_DEP_1) | instskip(NEXT) | instid1(VALU_DEP_1)
	v_min_u32_e32 v117, 32, v32
	v_subrev_nc_u32_e32 v32, 28, v117
	v_sub_nc_u32_e32 v117, 29, v117
	s_delay_alu instid0(VALU_DEP_2) | instskip(NEXT) | instid1(VALU_DEP_1)
	v_lshlrev_b64 v[32:33], v32, v[8:9]
	v_and_b32_e32 v32, 7, v32
; %bb.232:                              ;   in Loop: Header=BB365_11 Depth=1
	s_or_b32 exec_lo, exec_lo, s20
	v_lshlrev_b32_e32 v8, 8, v118
	v_lshl_add_u32 v33, v117, 10, 0x2000
	s_delay_alu instid0(VALU_DEP_1) | instskip(NEXT) | instid1(VALU_DEP_1)
	v_and_or_b32 v8, 0x8000, v8, v33
	v_lshl_or_b32 v8, v32, 7, v8
	s_delay_alu instid0(VALU_DEP_1)
	v_cvt_f32_f16_e32 v117, v8
.LBB365_233:                            ;   in Loop: Header=BB365_11 Depth=1
	s_or_b32 exec_lo, exec_lo, s19
.LBB365_234:                            ;   in Loop: Header=BB365_11 Depth=1
	s_delay_alu instid0(SALU_CYCLE_1)
	s_or_b32 exec_lo, exec_lo, s18
.LBB365_235:                            ;   in Loop: Header=BB365_11 Depth=1
	s_delay_alu instid0(SALU_CYCLE_1) | instskip(SKIP_3) | instid1(VALU_DEP_2)
	s_or_b32 exec_lo, exec_lo, s17
	v_and_b32_e32 v32, 0xff, v31
	v_mov_b32_e32 v8, v31
	s_mov_b32 s17, exec_lo
	v_cmpx_ne_u16_e32 0, v32
	s_cbranch_execz .LBB365_243
; %bb.236:                              ;   in Loop: Header=BB365_11 Depth=1
	v_bfrev_b32_e32 v116, 1
	s_mov_b32 s18, exec_lo
	v_cmpx_ne_u16_e32 0x80, v32
	s_cbranch_execz .LBB365_242
; %bb.237:                              ;   in Loop: Header=BB365_11 Depth=1
	v_and_b32_e32 v32, 0x7f, v31
	v_mov_b32_e32 v116, 0x7fc02000
	s_mov_b32 s19, exec_lo
	s_delay_alu instid0(VALU_DEP_2)
	v_cmpx_ne_u32_e32 0x7f, v32
	s_cbranch_execz .LBB365_241
; %bb.238:                              ;   in Loop: Header=BB365_11 Depth=1
	v_lshrrev_b32_e32 v116, 3, v32
	v_cmp_gt_u32_e64 s1, 8, v32
	v_dual_mov_b32 v33, v9 :: v_dual_mov_b32 v32, v8
	s_delay_alu instid0(VALU_DEP_2)
	s_and_saveexec_b32 s20, s1
; %bb.239:                              ;   in Loop: Header=BB365_11 Depth=1
	v_and_b32_e32 v32, 7, v31
	s_delay_alu instid0(VALU_DEP_1) | instskip(NEXT) | instid1(VALU_DEP_1)
	v_clz_i32_u32_e32 v32, v32
	v_min_u32_e32 v116, 32, v32
	s_delay_alu instid0(VALU_DEP_1) | instskip(SKIP_1) | instid1(VALU_DEP_2)
	v_subrev_nc_u32_e32 v32, 28, v116
	v_sub_nc_u32_e32 v116, 29, v116
	v_lshlrev_b64 v[32:33], v32, v[8:9]
; %bb.240:                              ;   in Loop: Header=BB365_11 Depth=1
	s_or_b32 exec_lo, exec_lo, s20
	v_lshlrev_b32_e32 v33, 8, v31
	s_delay_alu instid0(VALU_DEP_3) | instskip(NEXT) | instid1(VALU_DEP_3)
	v_lshl_add_u32 v116, v116, 10, 0x2000
	v_lshlrev_b32_e32 v32, 7, v32
	s_delay_alu instid0(VALU_DEP_2) | instskip(NEXT) | instid1(VALU_DEP_1)
	v_and_or_b32 v33, 0x8000, v33, v116
	v_and_or_b32 v32, 0x380, v32, v33
	s_delay_alu instid0(VALU_DEP_1)
	v_cvt_f32_f16_e32 v116, v32
.LBB365_241:                            ;   in Loop: Header=BB365_11 Depth=1
	s_or_b32 exec_lo, exec_lo, s19
.LBB365_242:                            ;   in Loop: Header=BB365_11 Depth=1
	s_delay_alu instid0(SALU_CYCLE_1)
	s_or_b32 exec_lo, exec_lo, s18
.LBB365_243:                            ;   in Loop: Header=BB365_11 Depth=1
	s_delay_alu instid0(SALU_CYCLE_1) | instskip(SKIP_3) | instid1(VALU_DEP_2)
	s_or_b32 exec_lo, exec_lo, s17
	v_lshrrev_b16 v8, 8, v8
	v_dual_mov_b32 v118, 0 :: v_dual_mov_b32 v119, 0
	s_mov_b32 s17, exec_lo
	v_cmpx_ne_u16_e32 0, v8
	s_cbranch_execz .LBB365_251
; %bb.244:                              ;   in Loop: Header=BB365_11 Depth=1
	v_bfrev_b32_e32 v119, 1
	s_mov_b32 s18, exec_lo
	v_cmpx_ne_u16_e32 0x80, v8
	s_cbranch_execz .LBB365_250
; %bb.245:                              ;   in Loop: Header=BB365_11 Depth=1
	v_and_b32_e32 v128, 0xffff, v8
	v_mov_b32_e32 v119, 0x7fc02000
	s_mov_b32 s19, exec_lo
	s_delay_alu instid0(VALU_DEP_2) | instskip(NEXT) | instid1(VALU_DEP_1)
	v_and_b32_e32 v32, 0x7f, v128
	v_cmpx_ne_u32_e32 0x7f, v32
	s_cbranch_execz .LBB365_249
; %bb.246:                              ;   in Loop: Header=BB365_11 Depth=1
	v_and_b32_e32 v8, 7, v128
	v_lshrrev_b32_e32 v119, 3, v32
	v_cmp_gt_u32_e64 s1, 8, v32
	s_delay_alu instid0(VALU_DEP_3) | instskip(NEXT) | instid1(VALU_DEP_2)
	v_dual_mov_b32 v33, v9 :: v_dual_mov_b32 v32, v8
	s_and_saveexec_b32 s20, s1
; %bb.247:                              ;   in Loop: Header=BB365_11 Depth=1
	v_clz_i32_u32_e32 v32, v8
	s_delay_alu instid0(VALU_DEP_1) | instskip(NEXT) | instid1(VALU_DEP_1)
	v_min_u32_e32 v119, 32, v32
	v_subrev_nc_u32_e32 v32, 28, v119
	v_sub_nc_u32_e32 v119, 29, v119
	s_delay_alu instid0(VALU_DEP_2) | instskip(NEXT) | instid1(VALU_DEP_1)
	v_lshlrev_b64 v[32:33], v32, v[8:9]
	v_and_b32_e32 v32, 7, v32
; %bb.248:                              ;   in Loop: Header=BB365_11 Depth=1
	s_or_b32 exec_lo, exec_lo, s20
	v_lshlrev_b32_e32 v8, 8, v128
	v_lshl_add_u32 v33, v119, 10, 0x2000
	s_delay_alu instid0(VALU_DEP_1) | instskip(NEXT) | instid1(VALU_DEP_1)
	v_and_or_b32 v8, 0x8000, v8, v33
	v_lshl_or_b32 v8, v32, 7, v8
	s_delay_alu instid0(VALU_DEP_1)
	v_cvt_f32_f16_e32 v119, v8
.LBB365_249:                            ;   in Loop: Header=BB365_11 Depth=1
	s_or_b32 exec_lo, exec_lo, s19
.LBB365_250:                            ;   in Loop: Header=BB365_11 Depth=1
	s_delay_alu instid0(SALU_CYCLE_1)
	s_or_b32 exec_lo, exec_lo, s18
.LBB365_251:                            ;   in Loop: Header=BB365_11 Depth=1
	s_delay_alu instid0(SALU_CYCLE_1) | instskip(SKIP_2) | instid1(VALU_DEP_1)
	s_or_b32 exec_lo, exec_lo, s17
	v_lshrrev_b32_e32 v128, 16, v31
	s_mov_b32 s17, exec_lo
	v_and_b32_e32 v8, 0xff, v128
	s_delay_alu instid0(VALU_DEP_1)
	v_cmpx_ne_u16_e32 0, v8
	s_cbranch_execz .LBB365_259
; %bb.252:                              ;   in Loop: Header=BB365_11 Depth=1
	v_bfrev_b32_e32 v118, 1
	s_mov_b32 s18, exec_lo
	v_cmpx_ne_u16_e32 0x80, v8
	s_cbranch_execz .LBB365_258
; %bb.253:                              ;   in Loop: Header=BB365_11 Depth=1
	v_bfe_u32 v32, v31, 16, 7
	v_mov_b32_e32 v118, 0x7fc02000
	s_mov_b32 s19, exec_lo
	s_delay_alu instid0(VALU_DEP_2)
	v_cmpx_ne_u32_e32 0x7f, v32
	s_cbranch_execz .LBB365_257
; %bb.254:                              ;   in Loop: Header=BB365_11 Depth=1
	v_and_b32_e32 v8, 7, v128
	v_lshrrev_b32_e32 v118, 3, v32
	v_cmp_gt_u32_e64 s1, 8, v32
	s_delay_alu instid0(VALU_DEP_3) | instskip(NEXT) | instid1(VALU_DEP_2)
	v_dual_mov_b32 v33, v9 :: v_dual_mov_b32 v32, v8
	s_and_saveexec_b32 s20, s1
; %bb.255:                              ;   in Loop: Header=BB365_11 Depth=1
	v_clz_i32_u32_e32 v32, v8
	s_delay_alu instid0(VALU_DEP_1) | instskip(NEXT) | instid1(VALU_DEP_1)
	v_min_u32_e32 v118, 32, v32
	v_subrev_nc_u32_e32 v32, 28, v118
	v_sub_nc_u32_e32 v118, 29, v118
	s_delay_alu instid0(VALU_DEP_2) | instskip(NEXT) | instid1(VALU_DEP_1)
	v_lshlrev_b64 v[32:33], v32, v[8:9]
	v_and_b32_e32 v32, 7, v32
; %bb.256:                              ;   in Loop: Header=BB365_11 Depth=1
	s_or_b32 exec_lo, exec_lo, s20
	v_lshlrev_b32_e32 v8, 8, v128
	v_lshl_add_u32 v33, v118, 10, 0x2000
	s_delay_alu instid0(VALU_DEP_1) | instskip(NEXT) | instid1(VALU_DEP_1)
	v_and_or_b32 v8, 0x8000, v8, v33
	v_lshl_or_b32 v8, v32, 7, v8
	s_delay_alu instid0(VALU_DEP_1)
	v_cvt_f32_f16_e32 v118, v8
.LBB365_257:                            ;   in Loop: Header=BB365_11 Depth=1
	s_or_b32 exec_lo, exec_lo, s19
.LBB365_258:                            ;   in Loop: Header=BB365_11 Depth=1
	s_delay_alu instid0(SALU_CYCLE_1)
	s_or_b32 exec_lo, exec_lo, s18
.LBB365_259:                            ;   in Loop: Header=BB365_11 Depth=1
	s_delay_alu instid0(SALU_CYCLE_1)
	s_or_b32 exec_lo, exec_lo, s17
	v_dual_mov_b32 v129, 0 :: v_dual_mov_b32 v128, 0
	s_mov_b32 s17, exec_lo
	v_cmpx_lt_u64_e64 s[2:3], v[30:31]
	s_cbranch_execz .LBB365_267
; %bb.260:                              ;   in Loop: Header=BB365_11 Depth=1
	v_lshrrev_b32_e32 v32, 24, v31
	v_bfrev_b32_e32 v128, 1
	s_mov_b32 s18, exec_lo
	s_delay_alu instid0(VALU_DEP_2)
	v_cmpx_ne_u32_e32 0x80, v32
	s_cbranch_execz .LBB365_266
; %bb.261:                              ;   in Loop: Header=BB365_11 Depth=1
	v_and_b32_e32 v30, 0x7f, v32
	v_mov_b32_e32 v128, 0x7fc02000
	s_mov_b32 s19, exec_lo
	s_delay_alu instid0(VALU_DEP_2)
	v_cmpx_ne_u32_e32 0x7f, v30
	s_cbranch_execz .LBB365_265
; %bb.262:                              ;   in Loop: Header=BB365_11 Depth=1
	v_and_b32_e32 v8, 7, v32
	v_lshrrev_b32_e32 v33, 3, v30
	v_cmp_gt_u32_e64 s1, 8, v30
	s_delay_alu instid0(VALU_DEP_3) | instskip(NEXT) | instid1(VALU_DEP_2)
	v_dual_mov_b32 v31, v9 :: v_dual_mov_b32 v30, v8
	s_and_saveexec_b32 s20, s1
; %bb.263:                              ;   in Loop: Header=BB365_11 Depth=1
	v_clz_i32_u32_e32 v30, v8
	s_delay_alu instid0(VALU_DEP_1) | instskip(NEXT) | instid1(VALU_DEP_1)
	v_min_u32_e32 v33, 32, v30
	v_subrev_nc_u32_e32 v30, 28, v33
	v_sub_nc_u32_e32 v33, 29, v33
	s_delay_alu instid0(VALU_DEP_2) | instskip(NEXT) | instid1(VALU_DEP_1)
	v_lshlrev_b64 v[30:31], v30, v[8:9]
	v_and_b32_e32 v30, 7, v30
; %bb.264:                              ;   in Loop: Header=BB365_11 Depth=1
	s_or_b32 exec_lo, exec_lo, s20
	v_lshlrev_b32_e32 v8, 8, v32
	v_lshl_add_u32 v31, v33, 10, 0x2000
	s_delay_alu instid0(VALU_DEP_1) | instskip(NEXT) | instid1(VALU_DEP_1)
	v_and_or_b32 v8, 0x8000, v8, v31
	v_lshl_or_b32 v8, v30, 7, v8
	s_delay_alu instid0(VALU_DEP_1)
	v_cvt_f32_f16_e64 v128, v8
.LBB365_265:                            ;   in Loop: Header=BB365_11 Depth=1
	s_or_b32 exec_lo, exec_lo, s19
.LBB365_266:                            ;   in Loop: Header=BB365_11 Depth=1
	s_delay_alu instid0(SALU_CYCLE_1)
	s_or_b32 exec_lo, exec_lo, s18
.LBB365_267:                            ;   in Loop: Header=BB365_11 Depth=1
	s_delay_alu instid0(SALU_CYCLE_1) | instskip(SKIP_4) | instid1(VALU_DEP_1)
	s_or_b32 exec_lo, exec_lo, s17
	flat_load_b64 v[30:31], v[28:29] offset:1024
	s_mov_b32 s17, exec_lo
	s_waitcnt vmcnt(0) lgkmcnt(0)
	v_and_b32_e32 v8, 0xff, v30
	v_cmpx_ne_u16_e32 0, v8
	s_cbranch_execz .LBB365_275
; %bb.268:                              ;   in Loop: Header=BB365_11 Depth=1
	v_bfrev_b32_e32 v129, 1
	s_mov_b32 s18, exec_lo
	v_cmpx_ne_u16_e32 0x80, v8
	s_cbranch_execz .LBB365_274
; %bb.269:                              ;   in Loop: Header=BB365_11 Depth=1
	v_and_b32_e32 v32, 0x7f, v30
	v_mov_b32_e32 v129, 0x7fc02000
	s_mov_b32 s19, exec_lo
	s_delay_alu instid0(VALU_DEP_2)
	v_cmpx_ne_u32_e32 0x7f, v32
	s_cbranch_execz .LBB365_273
; %bb.270:                              ;   in Loop: Header=BB365_11 Depth=1
	v_lshrrev_b32_e32 v8, 3, v32
	v_cmp_gt_u32_e64 s1, 8, v32
	v_dual_mov_b32 v33, v31 :: v_dual_mov_b32 v32, v30
	s_delay_alu instid0(VALU_DEP_2)
	s_and_saveexec_b32 s20, s1
; %bb.271:                              ;   in Loop: Header=BB365_11 Depth=1
	v_and_b32_e32 v8, 7, v30
	s_delay_alu instid0(VALU_DEP_1) | instskip(NEXT) | instid1(VALU_DEP_1)
	v_clz_i32_u32_e32 v8, v8
	v_min_u32_e32 v8, 32, v8
	s_delay_alu instid0(VALU_DEP_1) | instskip(SKIP_1) | instid1(VALU_DEP_2)
	v_subrev_nc_u32_e32 v32, 28, v8
	v_sub_nc_u32_e32 v8, 29, v8
	v_lshlrev_b64 v[32:33], v32, v[30:31]
; %bb.272:                              ;   in Loop: Header=BB365_11 Depth=1
	s_or_b32 exec_lo, exec_lo, s20
	v_lshlrev_b32_e32 v33, 8, v30
	s_delay_alu instid0(VALU_DEP_3) | instskip(NEXT) | instid1(VALU_DEP_3)
	v_lshl_add_u32 v8, v8, 10, 0x2000
	v_lshlrev_b32_e32 v32, 7, v32
	s_delay_alu instid0(VALU_DEP_2) | instskip(NEXT) | instid1(VALU_DEP_1)
	v_and_or_b32 v8, 0x8000, v33, v8
	v_and_or_b32 v8, 0x380, v32, v8
	s_delay_alu instid0(VALU_DEP_1)
	v_cvt_f32_f16_e64 v129, v8
.LBB365_273:                            ;   in Loop: Header=BB365_11 Depth=1
	s_or_b32 exec_lo, exec_lo, s19
.LBB365_274:                            ;   in Loop: Header=BB365_11 Depth=1
	s_delay_alu instid0(SALU_CYCLE_1)
	s_or_b32 exec_lo, exec_lo, s18
.LBB365_275:                            ;   in Loop: Header=BB365_11 Depth=1
	s_delay_alu instid0(SALU_CYCLE_1) | instskip(SKIP_3) | instid1(VALU_DEP_2)
	s_or_b32 exec_lo, exec_lo, s17
	v_lshrrev_b16 v8, 8, v30
	v_dual_mov_b32 v130, 0 :: v_dual_mov_b32 v131, 0
	s_mov_b32 s17, exec_lo
	v_cmpx_ne_u16_e32 0, v8
	s_cbranch_execz .LBB365_283
; %bb.276:                              ;   in Loop: Header=BB365_11 Depth=1
	v_bfrev_b32_e32 v131, 1
	s_mov_b32 s18, exec_lo
	v_cmpx_ne_u16_e32 0x80, v8
	s_cbranch_execz .LBB365_282
; %bb.277:                              ;   in Loop: Header=BB365_11 Depth=1
	v_and_b32_e32 v132, 0xffff, v8
	v_mov_b32_e32 v131, 0x7fc02000
	s_mov_b32 s19, exec_lo
	s_delay_alu instid0(VALU_DEP_2) | instskip(NEXT) | instid1(VALU_DEP_1)
	v_and_b32_e32 v32, 0x7f, v132
	v_cmpx_ne_u32_e32 0x7f, v32
	s_cbranch_execz .LBB365_281
; %bb.278:                              ;   in Loop: Header=BB365_11 Depth=1
	v_and_b32_e32 v8, 7, v132
	v_lshrrev_b32_e32 v131, 3, v32
	v_cmp_gt_u32_e64 s1, 8, v32
	s_delay_alu instid0(VALU_DEP_3) | instskip(NEXT) | instid1(VALU_DEP_2)
	v_dual_mov_b32 v33, v9 :: v_dual_mov_b32 v32, v8
	s_and_saveexec_b32 s20, s1
; %bb.279:                              ;   in Loop: Header=BB365_11 Depth=1
	v_clz_i32_u32_e32 v32, v8
	s_delay_alu instid0(VALU_DEP_1) | instskip(NEXT) | instid1(VALU_DEP_1)
	v_min_u32_e32 v131, 32, v32
	v_subrev_nc_u32_e32 v32, 28, v131
	v_sub_nc_u32_e32 v131, 29, v131
	s_delay_alu instid0(VALU_DEP_2) | instskip(NEXT) | instid1(VALU_DEP_1)
	v_lshlrev_b64 v[32:33], v32, v[8:9]
	v_and_b32_e32 v32, 7, v32
; %bb.280:                              ;   in Loop: Header=BB365_11 Depth=1
	s_or_b32 exec_lo, exec_lo, s20
	v_lshlrev_b32_e32 v8, 8, v132
	v_lshl_add_u32 v33, v131, 10, 0x2000
	s_delay_alu instid0(VALU_DEP_1) | instskip(NEXT) | instid1(VALU_DEP_1)
	v_and_or_b32 v8, 0x8000, v8, v33
	v_lshl_or_b32 v8, v32, 7, v8
	s_delay_alu instid0(VALU_DEP_1)
	v_cvt_f32_f16_e64 v131, v8
.LBB365_281:                            ;   in Loop: Header=BB365_11 Depth=1
	s_or_b32 exec_lo, exec_lo, s19
.LBB365_282:                            ;   in Loop: Header=BB365_11 Depth=1
	s_delay_alu instid0(SALU_CYCLE_1)
	s_or_b32 exec_lo, exec_lo, s18
.LBB365_283:                            ;   in Loop: Header=BB365_11 Depth=1
	s_delay_alu instid0(SALU_CYCLE_1) | instskip(SKIP_2) | instid1(VALU_DEP_1)
	s_or_b32 exec_lo, exec_lo, s17
	v_lshrrev_b32_e32 v132, 16, v30
	s_mov_b32 s17, exec_lo
	v_and_b32_e32 v8, 0xff, v132
	s_delay_alu instid0(VALU_DEP_1)
	v_cmpx_ne_u16_e32 0, v8
	s_cbranch_execz .LBB365_291
; %bb.284:                              ;   in Loop: Header=BB365_11 Depth=1
	v_bfrev_b32_e32 v130, 1
	s_mov_b32 s18, exec_lo
	v_cmpx_ne_u16_e32 0x80, v8
	s_cbranch_execz .LBB365_290
; %bb.285:                              ;   in Loop: Header=BB365_11 Depth=1
	v_bfe_u32 v32, v30, 16, 7
	v_mov_b32_e32 v130, 0x7fc02000
	s_mov_b32 s19, exec_lo
	s_delay_alu instid0(VALU_DEP_2)
	v_cmpx_ne_u32_e32 0x7f, v32
	s_cbranch_execz .LBB365_289
; %bb.286:                              ;   in Loop: Header=BB365_11 Depth=1
	v_and_b32_e32 v8, 7, v132
	v_lshrrev_b32_e32 v130, 3, v32
	v_cmp_gt_u32_e64 s1, 8, v32
	s_delay_alu instid0(VALU_DEP_3) | instskip(NEXT) | instid1(VALU_DEP_2)
	v_dual_mov_b32 v33, v9 :: v_dual_mov_b32 v32, v8
	s_and_saveexec_b32 s20, s1
; %bb.287:                              ;   in Loop: Header=BB365_11 Depth=1
	v_clz_i32_u32_e32 v32, v8
	s_delay_alu instid0(VALU_DEP_1) | instskip(NEXT) | instid1(VALU_DEP_1)
	v_min_u32_e32 v130, 32, v32
	v_subrev_nc_u32_e32 v32, 28, v130
	v_sub_nc_u32_e32 v130, 29, v130
	s_delay_alu instid0(VALU_DEP_2) | instskip(NEXT) | instid1(VALU_DEP_1)
	v_lshlrev_b64 v[32:33], v32, v[8:9]
	v_and_b32_e32 v32, 7, v32
; %bb.288:                              ;   in Loop: Header=BB365_11 Depth=1
	s_or_b32 exec_lo, exec_lo, s20
	v_lshlrev_b32_e32 v8, 8, v132
	v_lshl_add_u32 v33, v130, 10, 0x2000
	s_delay_alu instid0(VALU_DEP_1) | instskip(NEXT) | instid1(VALU_DEP_1)
	v_and_or_b32 v8, 0x8000, v8, v33
	v_lshl_or_b32 v8, v32, 7, v8
	s_delay_alu instid0(VALU_DEP_1)
	v_cvt_f32_f16_e64 v130, v8
.LBB365_289:                            ;   in Loop: Header=BB365_11 Depth=1
	s_or_b32 exec_lo, exec_lo, s19
.LBB365_290:                            ;   in Loop: Header=BB365_11 Depth=1
	s_delay_alu instid0(SALU_CYCLE_1)
	s_or_b32 exec_lo, exec_lo, s18
.LBB365_291:                            ;   in Loop: Header=BB365_11 Depth=1
	s_delay_alu instid0(SALU_CYCLE_1)
	s_or_b32 exec_lo, exec_lo, s17
	v_dual_mov_b32 v132, 0 :: v_dual_mov_b32 v133, 0
	s_mov_b32 s17, exec_lo
	v_cmpx_lt_u32_e32 0xffffff, v30
	s_cbranch_execz .LBB365_299
; %bb.292:                              ;   in Loop: Header=BB365_11 Depth=1
	v_lshrrev_b32_e32 v134, 24, v30
	v_bfrev_b32_e32 v133, 1
	s_mov_b32 s18, exec_lo
	s_delay_alu instid0(VALU_DEP_2)
	v_cmpx_ne_u32_e32 0x80, v134
	s_cbranch_execz .LBB365_298
; %bb.293:                              ;   in Loop: Header=BB365_11 Depth=1
	v_and_b32_e32 v32, 0x7f, v134
	v_mov_b32_e32 v133, 0x7fc02000
	s_mov_b32 s19, exec_lo
	s_delay_alu instid0(VALU_DEP_2)
	v_cmpx_ne_u32_e32 0x7f, v32
	s_cbranch_execz .LBB365_297
; %bb.294:                              ;   in Loop: Header=BB365_11 Depth=1
	v_and_b32_e32 v8, 7, v134
	v_lshrrev_b32_e32 v133, 3, v32
	v_cmp_gt_u32_e64 s1, 8, v32
	s_delay_alu instid0(VALU_DEP_3) | instskip(NEXT) | instid1(VALU_DEP_2)
	v_dual_mov_b32 v33, v9 :: v_dual_mov_b32 v32, v8
	s_and_saveexec_b32 s20, s1
; %bb.295:                              ;   in Loop: Header=BB365_11 Depth=1
	v_clz_i32_u32_e32 v32, v8
	s_delay_alu instid0(VALU_DEP_1) | instskip(NEXT) | instid1(VALU_DEP_1)
	v_min_u32_e32 v133, 32, v32
	v_subrev_nc_u32_e32 v32, 28, v133
	v_sub_nc_u32_e32 v133, 29, v133
	s_delay_alu instid0(VALU_DEP_2) | instskip(NEXT) | instid1(VALU_DEP_1)
	v_lshlrev_b64 v[32:33], v32, v[8:9]
	v_and_b32_e32 v32, 7, v32
; %bb.296:                              ;   in Loop: Header=BB365_11 Depth=1
	s_or_b32 exec_lo, exec_lo, s20
	v_lshlrev_b32_e32 v8, 8, v134
	v_lshl_add_u32 v33, v133, 10, 0x2000
	s_delay_alu instid0(VALU_DEP_1) | instskip(NEXT) | instid1(VALU_DEP_1)
	v_and_or_b32 v8, 0x8000, v8, v33
	v_lshl_or_b32 v8, v32, 7, v8
	s_delay_alu instid0(VALU_DEP_1)
	v_cvt_f32_f16_e64 v133, v8
.LBB365_297:                            ;   in Loop: Header=BB365_11 Depth=1
	s_or_b32 exec_lo, exec_lo, s19
.LBB365_298:                            ;   in Loop: Header=BB365_11 Depth=1
	s_delay_alu instid0(SALU_CYCLE_1)
	s_or_b32 exec_lo, exec_lo, s18
.LBB365_299:                            ;   in Loop: Header=BB365_11 Depth=1
	s_delay_alu instid0(SALU_CYCLE_1) | instskip(SKIP_3) | instid1(VALU_DEP_2)
	s_or_b32 exec_lo, exec_lo, s17
	v_and_b32_e32 v32, 0xff, v31
	v_mov_b32_e32 v8, v31
	s_mov_b32 s17, exec_lo
	v_cmpx_ne_u16_e32 0, v32
	s_cbranch_execz .LBB365_307
; %bb.300:                              ;   in Loop: Header=BB365_11 Depth=1
	v_bfrev_b32_e32 v132, 1
	s_mov_b32 s18, exec_lo
	v_cmpx_ne_u16_e32 0x80, v32
	s_cbranch_execz .LBB365_306
; %bb.301:                              ;   in Loop: Header=BB365_11 Depth=1
	v_and_b32_e32 v32, 0x7f, v31
	v_mov_b32_e32 v132, 0x7fc02000
	s_mov_b32 s19, exec_lo
	s_delay_alu instid0(VALU_DEP_2)
	v_cmpx_ne_u32_e32 0x7f, v32
	s_cbranch_execz .LBB365_305
; %bb.302:                              ;   in Loop: Header=BB365_11 Depth=1
	v_lshrrev_b32_e32 v132, 3, v32
	v_cmp_gt_u32_e64 s1, 8, v32
	v_dual_mov_b32 v33, v9 :: v_dual_mov_b32 v32, v8
	s_delay_alu instid0(VALU_DEP_2)
	s_and_saveexec_b32 s20, s1
; %bb.303:                              ;   in Loop: Header=BB365_11 Depth=1
	v_and_b32_e32 v32, 7, v31
	s_delay_alu instid0(VALU_DEP_1) | instskip(NEXT) | instid1(VALU_DEP_1)
	v_clz_i32_u32_e32 v32, v32
	v_min_u32_e32 v132, 32, v32
	s_delay_alu instid0(VALU_DEP_1) | instskip(SKIP_1) | instid1(VALU_DEP_2)
	v_subrev_nc_u32_e32 v32, 28, v132
	v_sub_nc_u32_e32 v132, 29, v132
	v_lshlrev_b64 v[32:33], v32, v[8:9]
; %bb.304:                              ;   in Loop: Header=BB365_11 Depth=1
	s_or_b32 exec_lo, exec_lo, s20
	v_lshlrev_b32_e32 v33, 8, v31
	s_delay_alu instid0(VALU_DEP_3) | instskip(NEXT) | instid1(VALU_DEP_3)
	v_lshl_add_u32 v132, v132, 10, 0x2000
	v_lshlrev_b32_e32 v32, 7, v32
	s_delay_alu instid0(VALU_DEP_2) | instskip(NEXT) | instid1(VALU_DEP_1)
	v_and_or_b32 v33, 0x8000, v33, v132
	v_and_or_b32 v32, 0x380, v32, v33
	s_delay_alu instid0(VALU_DEP_1)
	v_cvt_f32_f16_e64 v132, v32
.LBB365_305:                            ;   in Loop: Header=BB365_11 Depth=1
	s_or_b32 exec_lo, exec_lo, s19
.LBB365_306:                            ;   in Loop: Header=BB365_11 Depth=1
	s_delay_alu instid0(SALU_CYCLE_1)
	s_or_b32 exec_lo, exec_lo, s18
.LBB365_307:                            ;   in Loop: Header=BB365_11 Depth=1
	s_delay_alu instid0(SALU_CYCLE_1) | instskip(SKIP_3) | instid1(VALU_DEP_2)
	s_or_b32 exec_lo, exec_lo, s17
	v_lshrrev_b16 v8, 8, v8
	v_dual_mov_b32 v134, 0 :: v_dual_mov_b32 v135, 0
	s_mov_b32 s17, exec_lo
	v_cmpx_ne_u16_e32 0, v8
	s_cbranch_execz .LBB365_315
; %bb.308:                              ;   in Loop: Header=BB365_11 Depth=1
	v_bfrev_b32_e32 v135, 1
	s_mov_b32 s18, exec_lo
	v_cmpx_ne_u16_e32 0x80, v8
	s_cbranch_execz .LBB365_314
; %bb.309:                              ;   in Loop: Header=BB365_11 Depth=1
	v_and_b32_e32 v144, 0xffff, v8
	v_mov_b32_e32 v135, 0x7fc02000
	s_mov_b32 s19, exec_lo
	s_delay_alu instid0(VALU_DEP_2) | instskip(NEXT) | instid1(VALU_DEP_1)
	v_and_b32_e32 v32, 0x7f, v144
	v_cmpx_ne_u32_e32 0x7f, v32
	s_cbranch_execz .LBB365_313
; %bb.310:                              ;   in Loop: Header=BB365_11 Depth=1
	v_and_b32_e32 v8, 7, v144
	v_lshrrev_b32_e32 v135, 3, v32
	v_cmp_gt_u32_e64 s1, 8, v32
	s_delay_alu instid0(VALU_DEP_3) | instskip(NEXT) | instid1(VALU_DEP_2)
	v_dual_mov_b32 v33, v9 :: v_dual_mov_b32 v32, v8
	s_and_saveexec_b32 s20, s1
; %bb.311:                              ;   in Loop: Header=BB365_11 Depth=1
	v_clz_i32_u32_e32 v32, v8
	s_delay_alu instid0(VALU_DEP_1) | instskip(NEXT) | instid1(VALU_DEP_1)
	v_min_u32_e32 v135, 32, v32
	v_subrev_nc_u32_e32 v32, 28, v135
	v_sub_nc_u32_e32 v135, 29, v135
	s_delay_alu instid0(VALU_DEP_2) | instskip(NEXT) | instid1(VALU_DEP_1)
	v_lshlrev_b64 v[32:33], v32, v[8:9]
	v_and_b32_e32 v32, 7, v32
; %bb.312:                              ;   in Loop: Header=BB365_11 Depth=1
	s_or_b32 exec_lo, exec_lo, s20
	v_lshlrev_b32_e32 v8, 8, v144
	v_lshl_add_u32 v33, v135, 10, 0x2000
	s_delay_alu instid0(VALU_DEP_1) | instskip(NEXT) | instid1(VALU_DEP_1)
	v_and_or_b32 v8, 0x8000, v8, v33
	v_lshl_or_b32 v8, v32, 7, v8
	s_delay_alu instid0(VALU_DEP_1)
	v_cvt_f32_f16_e64 v135, v8
.LBB365_313:                            ;   in Loop: Header=BB365_11 Depth=1
	s_or_b32 exec_lo, exec_lo, s19
.LBB365_314:                            ;   in Loop: Header=BB365_11 Depth=1
	s_delay_alu instid0(SALU_CYCLE_1)
	s_or_b32 exec_lo, exec_lo, s18
.LBB365_315:                            ;   in Loop: Header=BB365_11 Depth=1
	s_delay_alu instid0(SALU_CYCLE_1) | instskip(SKIP_2) | instid1(VALU_DEP_1)
	s_or_b32 exec_lo, exec_lo, s17
	v_lshrrev_b32_e32 v144, 16, v31
	s_mov_b32 s17, exec_lo
	v_and_b32_e32 v8, 0xff, v144
	s_delay_alu instid0(VALU_DEP_1)
	v_cmpx_ne_u16_e32 0, v8
	s_cbranch_execz .LBB365_323
; %bb.316:                              ;   in Loop: Header=BB365_11 Depth=1
	v_bfrev_b32_e32 v134, 1
	s_mov_b32 s18, exec_lo
	v_cmpx_ne_u16_e32 0x80, v8
	s_cbranch_execz .LBB365_322
; %bb.317:                              ;   in Loop: Header=BB365_11 Depth=1
	v_bfe_u32 v32, v31, 16, 7
	v_mov_b32_e32 v134, 0x7fc02000
	s_mov_b32 s19, exec_lo
	s_delay_alu instid0(VALU_DEP_2)
	v_cmpx_ne_u32_e32 0x7f, v32
	s_cbranch_execz .LBB365_321
; %bb.318:                              ;   in Loop: Header=BB365_11 Depth=1
	v_and_b32_e32 v8, 7, v144
	v_lshrrev_b32_e32 v134, 3, v32
	v_cmp_gt_u32_e64 s1, 8, v32
	s_delay_alu instid0(VALU_DEP_3) | instskip(NEXT) | instid1(VALU_DEP_2)
	v_dual_mov_b32 v33, v9 :: v_dual_mov_b32 v32, v8
	s_and_saveexec_b32 s20, s1
; %bb.319:                              ;   in Loop: Header=BB365_11 Depth=1
	v_clz_i32_u32_e32 v32, v8
	s_delay_alu instid0(VALU_DEP_1) | instskip(NEXT) | instid1(VALU_DEP_1)
	v_min_u32_e32 v134, 32, v32
	v_subrev_nc_u32_e32 v32, 28, v134
	v_sub_nc_u32_e32 v134, 29, v134
	s_delay_alu instid0(VALU_DEP_2) | instskip(NEXT) | instid1(VALU_DEP_1)
	v_lshlrev_b64 v[32:33], v32, v[8:9]
	v_and_b32_e32 v32, 7, v32
; %bb.320:                              ;   in Loop: Header=BB365_11 Depth=1
	s_or_b32 exec_lo, exec_lo, s20
	v_lshlrev_b32_e32 v8, 8, v144
	v_lshl_add_u32 v33, v134, 10, 0x2000
	s_delay_alu instid0(VALU_DEP_1) | instskip(NEXT) | instid1(VALU_DEP_1)
	v_and_or_b32 v8, 0x8000, v8, v33
	v_lshl_or_b32 v8, v32, 7, v8
	s_delay_alu instid0(VALU_DEP_1)
	v_cvt_f32_f16_e64 v134, v8
.LBB365_321:                            ;   in Loop: Header=BB365_11 Depth=1
	s_or_b32 exec_lo, exec_lo, s19
.LBB365_322:                            ;   in Loop: Header=BB365_11 Depth=1
	s_delay_alu instid0(SALU_CYCLE_1)
	s_or_b32 exec_lo, exec_lo, s18
.LBB365_323:                            ;   in Loop: Header=BB365_11 Depth=1
	s_delay_alu instid0(SALU_CYCLE_1)
	s_or_b32 exec_lo, exec_lo, s17
	v_dual_mov_b32 v145, 0 :: v_dual_mov_b32 v144, 0
	s_mov_b32 s17, exec_lo
	v_cmpx_lt_u64_e64 s[2:3], v[30:31]
	s_cbranch_execz .LBB365_331
; %bb.324:                              ;   in Loop: Header=BB365_11 Depth=1
	v_lshrrev_b32_e32 v32, 24, v31
	v_bfrev_b32_e32 v144, 1
	s_mov_b32 s18, exec_lo
	s_delay_alu instid0(VALU_DEP_2)
	v_cmpx_ne_u32_e32 0x80, v32
	s_cbranch_execz .LBB365_330
; %bb.325:                              ;   in Loop: Header=BB365_11 Depth=1
	v_and_b32_e32 v30, 0x7f, v32
	v_mov_b32_e32 v144, 0x7fc02000
	s_mov_b32 s19, exec_lo
	s_delay_alu instid0(VALU_DEP_2)
	v_cmpx_ne_u32_e32 0x7f, v30
	s_cbranch_execz .LBB365_329
; %bb.326:                              ;   in Loop: Header=BB365_11 Depth=1
	v_and_b32_e32 v8, 7, v32
	v_lshrrev_b32_e32 v33, 3, v30
	v_cmp_gt_u32_e64 s1, 8, v30
	s_delay_alu instid0(VALU_DEP_3) | instskip(NEXT) | instid1(VALU_DEP_2)
	v_dual_mov_b32 v31, v9 :: v_dual_mov_b32 v30, v8
	s_and_saveexec_b32 s20, s1
; %bb.327:                              ;   in Loop: Header=BB365_11 Depth=1
	v_clz_i32_u32_e32 v30, v8
	s_delay_alu instid0(VALU_DEP_1) | instskip(NEXT) | instid1(VALU_DEP_1)
	v_min_u32_e32 v33, 32, v30
	v_subrev_nc_u32_e32 v30, 28, v33
	v_sub_nc_u32_e32 v33, 29, v33
	s_delay_alu instid0(VALU_DEP_2) | instskip(NEXT) | instid1(VALU_DEP_1)
	v_lshlrev_b64 v[30:31], v30, v[8:9]
	v_and_b32_e32 v30, 7, v30
; %bb.328:                              ;   in Loop: Header=BB365_11 Depth=1
	s_or_b32 exec_lo, exec_lo, s20
	v_lshlrev_b32_e32 v8, 8, v32
	v_lshl_add_u32 v31, v33, 10, 0x2000
	s_delay_alu instid0(VALU_DEP_1) | instskip(NEXT) | instid1(VALU_DEP_1)
	v_and_or_b32 v8, 0x8000, v8, v31
	v_lshl_or_b32 v8, v30, 7, v8
	s_delay_alu instid0(VALU_DEP_1)
	v_cvt_f32_f16_e64 v144, v8
.LBB365_329:                            ;   in Loop: Header=BB365_11 Depth=1
	s_or_b32 exec_lo, exec_lo, s19
.LBB365_330:                            ;   in Loop: Header=BB365_11 Depth=1
	s_delay_alu instid0(SALU_CYCLE_1)
	s_or_b32 exec_lo, exec_lo, s18
.LBB365_331:                            ;   in Loop: Header=BB365_11 Depth=1
	s_delay_alu instid0(SALU_CYCLE_1) | instskip(SKIP_4) | instid1(VALU_DEP_1)
	s_or_b32 exec_lo, exec_lo, s17
	flat_load_b64 v[30:31], v[28:29] offset:1032
	s_mov_b32 s17, exec_lo
	s_waitcnt vmcnt(0) lgkmcnt(0)
	v_and_b32_e32 v8, 0xff, v30
	v_cmpx_ne_u16_e32 0, v8
	s_cbranch_execz .LBB365_339
; %bb.332:                              ;   in Loop: Header=BB365_11 Depth=1
	v_bfrev_b32_e32 v145, 1
	s_mov_b32 s18, exec_lo
	v_cmpx_ne_u16_e32 0x80, v8
	s_cbranch_execz .LBB365_338
; %bb.333:                              ;   in Loop: Header=BB365_11 Depth=1
	v_and_b32_e32 v32, 0x7f, v30
	v_mov_b32_e32 v145, 0x7fc02000
	s_mov_b32 s19, exec_lo
	s_delay_alu instid0(VALU_DEP_2)
	v_cmpx_ne_u32_e32 0x7f, v32
	s_cbranch_execz .LBB365_337
; %bb.334:                              ;   in Loop: Header=BB365_11 Depth=1
	v_lshrrev_b32_e32 v8, 3, v32
	v_cmp_gt_u32_e64 s1, 8, v32
	v_dual_mov_b32 v33, v31 :: v_dual_mov_b32 v32, v30
	s_delay_alu instid0(VALU_DEP_2)
	s_and_saveexec_b32 s20, s1
; %bb.335:                              ;   in Loop: Header=BB365_11 Depth=1
	v_and_b32_e32 v8, 7, v30
	s_delay_alu instid0(VALU_DEP_1) | instskip(NEXT) | instid1(VALU_DEP_1)
	v_clz_i32_u32_e32 v8, v8
	v_min_u32_e32 v8, 32, v8
	s_delay_alu instid0(VALU_DEP_1) | instskip(SKIP_1) | instid1(VALU_DEP_2)
	v_subrev_nc_u32_e32 v32, 28, v8
	v_sub_nc_u32_e32 v8, 29, v8
	v_lshlrev_b64 v[32:33], v32, v[30:31]
; %bb.336:                              ;   in Loop: Header=BB365_11 Depth=1
	s_or_b32 exec_lo, exec_lo, s20
	v_lshlrev_b32_e32 v33, 8, v30
	s_delay_alu instid0(VALU_DEP_3) | instskip(NEXT) | instid1(VALU_DEP_3)
	v_lshl_add_u32 v8, v8, 10, 0x2000
	v_lshlrev_b32_e32 v32, 7, v32
	s_delay_alu instid0(VALU_DEP_2) | instskip(NEXT) | instid1(VALU_DEP_1)
	v_and_or_b32 v8, 0x8000, v33, v8
	v_and_or_b32 v8, 0x380, v32, v8
	s_delay_alu instid0(VALU_DEP_1)
	v_cvt_f32_f16_e64 v145, v8
.LBB365_337:                            ;   in Loop: Header=BB365_11 Depth=1
	s_or_b32 exec_lo, exec_lo, s19
.LBB365_338:                            ;   in Loop: Header=BB365_11 Depth=1
	s_delay_alu instid0(SALU_CYCLE_1)
	s_or_b32 exec_lo, exec_lo, s18
.LBB365_339:                            ;   in Loop: Header=BB365_11 Depth=1
	s_delay_alu instid0(SALU_CYCLE_1) | instskip(SKIP_3) | instid1(VALU_DEP_2)
	s_or_b32 exec_lo, exec_lo, s17
	v_lshrrev_b16 v8, 8, v30
	v_dual_mov_b32 v146, 0 :: v_dual_mov_b32 v147, 0
	s_mov_b32 s17, exec_lo
	v_cmpx_ne_u16_e32 0, v8
	s_cbranch_execz .LBB365_347
; %bb.340:                              ;   in Loop: Header=BB365_11 Depth=1
	v_bfrev_b32_e32 v147, 1
	s_mov_b32 s18, exec_lo
	v_cmpx_ne_u16_e32 0x80, v8
	s_cbranch_execz .LBB365_346
; %bb.341:                              ;   in Loop: Header=BB365_11 Depth=1
	v_and_b32_e32 v148, 0xffff, v8
	v_mov_b32_e32 v147, 0x7fc02000
	s_mov_b32 s19, exec_lo
	s_delay_alu instid0(VALU_DEP_2) | instskip(NEXT) | instid1(VALU_DEP_1)
	v_and_b32_e32 v32, 0x7f, v148
	v_cmpx_ne_u32_e32 0x7f, v32
	s_cbranch_execz .LBB365_345
; %bb.342:                              ;   in Loop: Header=BB365_11 Depth=1
	v_and_b32_e32 v8, 7, v148
	v_lshrrev_b32_e32 v147, 3, v32
	v_cmp_gt_u32_e64 s1, 8, v32
	s_delay_alu instid0(VALU_DEP_3) | instskip(NEXT) | instid1(VALU_DEP_2)
	v_dual_mov_b32 v33, v9 :: v_dual_mov_b32 v32, v8
	s_and_saveexec_b32 s20, s1
; %bb.343:                              ;   in Loop: Header=BB365_11 Depth=1
	v_clz_i32_u32_e32 v32, v8
	s_delay_alu instid0(VALU_DEP_1) | instskip(NEXT) | instid1(VALU_DEP_1)
	v_min_u32_e32 v147, 32, v32
	v_subrev_nc_u32_e32 v32, 28, v147
	v_sub_nc_u32_e32 v147, 29, v147
	s_delay_alu instid0(VALU_DEP_2) | instskip(NEXT) | instid1(VALU_DEP_1)
	v_lshlrev_b64 v[32:33], v32, v[8:9]
	v_and_b32_e32 v32, 7, v32
; %bb.344:                              ;   in Loop: Header=BB365_11 Depth=1
	s_or_b32 exec_lo, exec_lo, s20
	v_lshlrev_b32_e32 v8, 8, v148
	v_lshl_add_u32 v33, v147, 10, 0x2000
	s_delay_alu instid0(VALU_DEP_1) | instskip(NEXT) | instid1(VALU_DEP_1)
	v_and_or_b32 v8, 0x8000, v8, v33
	v_lshl_or_b32 v8, v32, 7, v8
	s_delay_alu instid0(VALU_DEP_1)
	v_cvt_f32_f16_e64 v147, v8
.LBB365_345:                            ;   in Loop: Header=BB365_11 Depth=1
	s_or_b32 exec_lo, exec_lo, s19
.LBB365_346:                            ;   in Loop: Header=BB365_11 Depth=1
	s_delay_alu instid0(SALU_CYCLE_1)
	s_or_b32 exec_lo, exec_lo, s18
.LBB365_347:                            ;   in Loop: Header=BB365_11 Depth=1
	s_delay_alu instid0(SALU_CYCLE_1) | instskip(SKIP_2) | instid1(VALU_DEP_1)
	s_or_b32 exec_lo, exec_lo, s17
	v_lshrrev_b32_e32 v148, 16, v30
	s_mov_b32 s17, exec_lo
	v_and_b32_e32 v8, 0xff, v148
	s_delay_alu instid0(VALU_DEP_1)
	v_cmpx_ne_u16_e32 0, v8
	s_cbranch_execz .LBB365_355
; %bb.348:                              ;   in Loop: Header=BB365_11 Depth=1
	v_bfrev_b32_e32 v146, 1
	s_mov_b32 s18, exec_lo
	v_cmpx_ne_u16_e32 0x80, v8
	s_cbranch_execz .LBB365_354
; %bb.349:                              ;   in Loop: Header=BB365_11 Depth=1
	v_bfe_u32 v32, v30, 16, 7
	v_mov_b32_e32 v146, 0x7fc02000
	s_mov_b32 s19, exec_lo
	s_delay_alu instid0(VALU_DEP_2)
	v_cmpx_ne_u32_e32 0x7f, v32
	s_cbranch_execz .LBB365_353
; %bb.350:                              ;   in Loop: Header=BB365_11 Depth=1
	v_and_b32_e32 v8, 7, v148
	v_lshrrev_b32_e32 v146, 3, v32
	v_cmp_gt_u32_e64 s1, 8, v32
	s_delay_alu instid0(VALU_DEP_3) | instskip(NEXT) | instid1(VALU_DEP_2)
	v_dual_mov_b32 v33, v9 :: v_dual_mov_b32 v32, v8
	s_and_saveexec_b32 s20, s1
; %bb.351:                              ;   in Loop: Header=BB365_11 Depth=1
	v_clz_i32_u32_e32 v32, v8
	s_delay_alu instid0(VALU_DEP_1) | instskip(NEXT) | instid1(VALU_DEP_1)
	v_min_u32_e32 v146, 32, v32
	v_subrev_nc_u32_e32 v32, 28, v146
	v_sub_nc_u32_e32 v146, 29, v146
	s_delay_alu instid0(VALU_DEP_2) | instskip(NEXT) | instid1(VALU_DEP_1)
	v_lshlrev_b64 v[32:33], v32, v[8:9]
	v_and_b32_e32 v32, 7, v32
; %bb.352:                              ;   in Loop: Header=BB365_11 Depth=1
	s_or_b32 exec_lo, exec_lo, s20
	v_lshlrev_b32_e32 v8, 8, v148
	v_lshl_add_u32 v33, v146, 10, 0x2000
	s_delay_alu instid0(VALU_DEP_1) | instskip(NEXT) | instid1(VALU_DEP_1)
	v_and_or_b32 v8, 0x8000, v8, v33
	v_lshl_or_b32 v8, v32, 7, v8
	s_delay_alu instid0(VALU_DEP_1)
	v_cvt_f32_f16_e64 v146, v8
.LBB365_353:                            ;   in Loop: Header=BB365_11 Depth=1
	s_or_b32 exec_lo, exec_lo, s19
.LBB365_354:                            ;   in Loop: Header=BB365_11 Depth=1
	s_delay_alu instid0(SALU_CYCLE_1)
	s_or_b32 exec_lo, exec_lo, s18
.LBB365_355:                            ;   in Loop: Header=BB365_11 Depth=1
	s_delay_alu instid0(SALU_CYCLE_1)
	s_or_b32 exec_lo, exec_lo, s17
	v_dual_mov_b32 v148, 0 :: v_dual_mov_b32 v149, 0
	s_mov_b32 s17, exec_lo
	v_cmpx_lt_u32_e32 0xffffff, v30
	s_cbranch_execz .LBB365_363
; %bb.356:                              ;   in Loop: Header=BB365_11 Depth=1
	v_lshrrev_b32_e32 v150, 24, v30
	v_bfrev_b32_e32 v149, 1
	s_mov_b32 s18, exec_lo
	s_delay_alu instid0(VALU_DEP_2)
	v_cmpx_ne_u32_e32 0x80, v150
	s_cbranch_execz .LBB365_362
; %bb.357:                              ;   in Loop: Header=BB365_11 Depth=1
	v_and_b32_e32 v32, 0x7f, v150
	v_mov_b32_e32 v149, 0x7fc02000
	s_mov_b32 s19, exec_lo
	s_delay_alu instid0(VALU_DEP_2)
	v_cmpx_ne_u32_e32 0x7f, v32
	s_cbranch_execz .LBB365_361
; %bb.358:                              ;   in Loop: Header=BB365_11 Depth=1
	v_and_b32_e32 v8, 7, v150
	v_lshrrev_b32_e32 v149, 3, v32
	v_cmp_gt_u32_e64 s1, 8, v32
	s_delay_alu instid0(VALU_DEP_3) | instskip(NEXT) | instid1(VALU_DEP_2)
	v_dual_mov_b32 v33, v9 :: v_dual_mov_b32 v32, v8
	s_and_saveexec_b32 s20, s1
; %bb.359:                              ;   in Loop: Header=BB365_11 Depth=1
	v_clz_i32_u32_e32 v32, v8
	s_delay_alu instid0(VALU_DEP_1) | instskip(NEXT) | instid1(VALU_DEP_1)
	v_min_u32_e32 v149, 32, v32
	v_subrev_nc_u32_e32 v32, 28, v149
	v_sub_nc_u32_e32 v149, 29, v149
	s_delay_alu instid0(VALU_DEP_2) | instskip(NEXT) | instid1(VALU_DEP_1)
	v_lshlrev_b64 v[32:33], v32, v[8:9]
	v_and_b32_e32 v32, 7, v32
; %bb.360:                              ;   in Loop: Header=BB365_11 Depth=1
	s_or_b32 exec_lo, exec_lo, s20
	v_lshlrev_b32_e32 v8, 8, v150
	v_lshl_add_u32 v33, v149, 10, 0x2000
	s_delay_alu instid0(VALU_DEP_1) | instskip(NEXT) | instid1(VALU_DEP_1)
	v_and_or_b32 v8, 0x8000, v8, v33
	v_lshl_or_b32 v8, v32, 7, v8
	s_delay_alu instid0(VALU_DEP_1)
	v_cvt_f32_f16_e64 v149, v8
.LBB365_361:                            ;   in Loop: Header=BB365_11 Depth=1
	s_or_b32 exec_lo, exec_lo, s19
.LBB365_362:                            ;   in Loop: Header=BB365_11 Depth=1
	s_delay_alu instid0(SALU_CYCLE_1)
	s_or_b32 exec_lo, exec_lo, s18
.LBB365_363:                            ;   in Loop: Header=BB365_11 Depth=1
	s_delay_alu instid0(SALU_CYCLE_1) | instskip(SKIP_3) | instid1(VALU_DEP_2)
	s_or_b32 exec_lo, exec_lo, s17
	v_and_b32_e32 v32, 0xff, v31
	v_mov_b32_e32 v8, v31
	s_mov_b32 s17, exec_lo
	v_cmpx_ne_u16_e32 0, v32
	s_cbranch_execz .LBB365_371
; %bb.364:                              ;   in Loop: Header=BB365_11 Depth=1
	v_bfrev_b32_e32 v148, 1
	s_mov_b32 s18, exec_lo
	v_cmpx_ne_u16_e32 0x80, v32
	s_cbranch_execz .LBB365_370
; %bb.365:                              ;   in Loop: Header=BB365_11 Depth=1
	v_and_b32_e32 v32, 0x7f, v31
	v_mov_b32_e32 v148, 0x7fc02000
	s_mov_b32 s19, exec_lo
	s_delay_alu instid0(VALU_DEP_2)
	v_cmpx_ne_u32_e32 0x7f, v32
	s_cbranch_execz .LBB365_369
; %bb.366:                              ;   in Loop: Header=BB365_11 Depth=1
	v_lshrrev_b32_e32 v148, 3, v32
	v_cmp_gt_u32_e64 s1, 8, v32
	v_dual_mov_b32 v33, v9 :: v_dual_mov_b32 v32, v8
	s_delay_alu instid0(VALU_DEP_2)
	s_and_saveexec_b32 s20, s1
; %bb.367:                              ;   in Loop: Header=BB365_11 Depth=1
	v_and_b32_e32 v32, 7, v31
	s_delay_alu instid0(VALU_DEP_1) | instskip(NEXT) | instid1(VALU_DEP_1)
	v_clz_i32_u32_e32 v32, v32
	v_min_u32_e32 v148, 32, v32
	s_delay_alu instid0(VALU_DEP_1) | instskip(SKIP_1) | instid1(VALU_DEP_2)
	v_subrev_nc_u32_e32 v32, 28, v148
	v_sub_nc_u32_e32 v148, 29, v148
	v_lshlrev_b64 v[32:33], v32, v[8:9]
; %bb.368:                              ;   in Loop: Header=BB365_11 Depth=1
	s_or_b32 exec_lo, exec_lo, s20
	v_lshlrev_b32_e32 v33, 8, v31
	s_delay_alu instid0(VALU_DEP_3) | instskip(NEXT) | instid1(VALU_DEP_3)
	v_lshl_add_u32 v148, v148, 10, 0x2000
	v_lshlrev_b32_e32 v32, 7, v32
	s_delay_alu instid0(VALU_DEP_2) | instskip(NEXT) | instid1(VALU_DEP_1)
	v_and_or_b32 v33, 0x8000, v33, v148
	v_and_or_b32 v32, 0x380, v32, v33
	s_delay_alu instid0(VALU_DEP_1)
	v_cvt_f32_f16_e64 v148, v32
.LBB365_369:                            ;   in Loop: Header=BB365_11 Depth=1
	s_or_b32 exec_lo, exec_lo, s19
.LBB365_370:                            ;   in Loop: Header=BB365_11 Depth=1
	s_delay_alu instid0(SALU_CYCLE_1)
	s_or_b32 exec_lo, exec_lo, s18
.LBB365_371:                            ;   in Loop: Header=BB365_11 Depth=1
	s_delay_alu instid0(SALU_CYCLE_1) | instskip(SKIP_3) | instid1(VALU_DEP_2)
	s_or_b32 exec_lo, exec_lo, s17
	v_lshrrev_b16 v8, 8, v8
	v_dual_mov_b32 v150, 0 :: v_dual_mov_b32 v151, 0
	s_mov_b32 s17, exec_lo
	v_cmpx_ne_u16_e32 0, v8
	s_cbranch_execz .LBB365_379
; %bb.372:                              ;   in Loop: Header=BB365_11 Depth=1
	v_bfrev_b32_e32 v151, 1
	s_mov_b32 s18, exec_lo
	v_cmpx_ne_u16_e32 0x80, v8
	s_cbranch_execz .LBB365_378
; %bb.373:                              ;   in Loop: Header=BB365_11 Depth=1
	v_and_b32_e32 v160, 0xffff, v8
	v_mov_b32_e32 v151, 0x7fc02000
	s_mov_b32 s19, exec_lo
	s_delay_alu instid0(VALU_DEP_2) | instskip(NEXT) | instid1(VALU_DEP_1)
	v_and_b32_e32 v32, 0x7f, v160
	v_cmpx_ne_u32_e32 0x7f, v32
	s_cbranch_execz .LBB365_377
; %bb.374:                              ;   in Loop: Header=BB365_11 Depth=1
	v_and_b32_e32 v8, 7, v160
	v_lshrrev_b32_e32 v151, 3, v32
	v_cmp_gt_u32_e64 s1, 8, v32
	s_delay_alu instid0(VALU_DEP_3) | instskip(NEXT) | instid1(VALU_DEP_2)
	v_dual_mov_b32 v33, v9 :: v_dual_mov_b32 v32, v8
	s_and_saveexec_b32 s20, s1
; %bb.375:                              ;   in Loop: Header=BB365_11 Depth=1
	v_clz_i32_u32_e32 v32, v8
	s_delay_alu instid0(VALU_DEP_1) | instskip(NEXT) | instid1(VALU_DEP_1)
	v_min_u32_e32 v151, 32, v32
	v_subrev_nc_u32_e32 v32, 28, v151
	v_sub_nc_u32_e32 v151, 29, v151
	s_delay_alu instid0(VALU_DEP_2) | instskip(NEXT) | instid1(VALU_DEP_1)
	v_lshlrev_b64 v[32:33], v32, v[8:9]
	v_and_b32_e32 v32, 7, v32
; %bb.376:                              ;   in Loop: Header=BB365_11 Depth=1
	s_or_b32 exec_lo, exec_lo, s20
	v_lshlrev_b32_e32 v8, 8, v160
	v_lshl_add_u32 v33, v151, 10, 0x2000
	s_delay_alu instid0(VALU_DEP_1) | instskip(NEXT) | instid1(VALU_DEP_1)
	v_and_or_b32 v8, 0x8000, v8, v33
	v_lshl_or_b32 v8, v32, 7, v8
	s_delay_alu instid0(VALU_DEP_1)
	v_cvt_f32_f16_e64 v151, v8
.LBB365_377:                            ;   in Loop: Header=BB365_11 Depth=1
	s_or_b32 exec_lo, exec_lo, s19
.LBB365_378:                            ;   in Loop: Header=BB365_11 Depth=1
	s_delay_alu instid0(SALU_CYCLE_1)
	s_or_b32 exec_lo, exec_lo, s18
.LBB365_379:                            ;   in Loop: Header=BB365_11 Depth=1
	s_delay_alu instid0(SALU_CYCLE_1) | instskip(SKIP_2) | instid1(VALU_DEP_1)
	s_or_b32 exec_lo, exec_lo, s17
	v_lshrrev_b32_e32 v160, 16, v31
	s_mov_b32 s17, exec_lo
	v_and_b32_e32 v8, 0xff, v160
	s_delay_alu instid0(VALU_DEP_1)
	v_cmpx_ne_u16_e32 0, v8
	s_cbranch_execz .LBB365_387
; %bb.380:                              ;   in Loop: Header=BB365_11 Depth=1
	v_bfrev_b32_e32 v150, 1
	s_mov_b32 s18, exec_lo
	v_cmpx_ne_u16_e32 0x80, v8
	s_cbranch_execz .LBB365_386
; %bb.381:                              ;   in Loop: Header=BB365_11 Depth=1
	v_bfe_u32 v32, v31, 16, 7
	v_mov_b32_e32 v150, 0x7fc02000
	s_mov_b32 s19, exec_lo
	s_delay_alu instid0(VALU_DEP_2)
	v_cmpx_ne_u32_e32 0x7f, v32
	s_cbranch_execz .LBB365_385
; %bb.382:                              ;   in Loop: Header=BB365_11 Depth=1
	v_and_b32_e32 v8, 7, v160
	v_lshrrev_b32_e32 v150, 3, v32
	v_cmp_gt_u32_e64 s1, 8, v32
	s_delay_alu instid0(VALU_DEP_3) | instskip(NEXT) | instid1(VALU_DEP_2)
	v_dual_mov_b32 v33, v9 :: v_dual_mov_b32 v32, v8
	s_and_saveexec_b32 s20, s1
; %bb.383:                              ;   in Loop: Header=BB365_11 Depth=1
	v_clz_i32_u32_e32 v32, v8
	s_delay_alu instid0(VALU_DEP_1) | instskip(NEXT) | instid1(VALU_DEP_1)
	v_min_u32_e32 v150, 32, v32
	v_subrev_nc_u32_e32 v32, 28, v150
	v_sub_nc_u32_e32 v150, 29, v150
	s_delay_alu instid0(VALU_DEP_2) | instskip(NEXT) | instid1(VALU_DEP_1)
	v_lshlrev_b64 v[32:33], v32, v[8:9]
	v_and_b32_e32 v32, 7, v32
; %bb.384:                              ;   in Loop: Header=BB365_11 Depth=1
	s_or_b32 exec_lo, exec_lo, s20
	v_lshlrev_b32_e32 v8, 8, v160
	v_lshl_add_u32 v33, v150, 10, 0x2000
	s_delay_alu instid0(VALU_DEP_1) | instskip(NEXT) | instid1(VALU_DEP_1)
	v_and_or_b32 v8, 0x8000, v8, v33
	v_lshl_or_b32 v8, v32, 7, v8
	s_delay_alu instid0(VALU_DEP_1)
	v_cvt_f32_f16_e64 v150, v8
.LBB365_385:                            ;   in Loop: Header=BB365_11 Depth=1
	s_or_b32 exec_lo, exec_lo, s19
.LBB365_386:                            ;   in Loop: Header=BB365_11 Depth=1
	s_delay_alu instid0(SALU_CYCLE_1)
	s_or_b32 exec_lo, exec_lo, s18
.LBB365_387:                            ;   in Loop: Header=BB365_11 Depth=1
	s_delay_alu instid0(SALU_CYCLE_1)
	s_or_b32 exec_lo, exec_lo, s17
	v_dual_mov_b32 v161, 0 :: v_dual_mov_b32 v160, 0
	s_mov_b32 s17, exec_lo
	v_cmpx_lt_u64_e64 s[2:3], v[30:31]
	s_cbranch_execz .LBB365_395
; %bb.388:                              ;   in Loop: Header=BB365_11 Depth=1
	v_lshrrev_b32_e32 v32, 24, v31
	v_bfrev_b32_e32 v160, 1
	s_mov_b32 s18, exec_lo
	s_delay_alu instid0(VALU_DEP_2)
	v_cmpx_ne_u32_e32 0x80, v32
	s_cbranch_execz .LBB365_394
; %bb.389:                              ;   in Loop: Header=BB365_11 Depth=1
	v_and_b32_e32 v30, 0x7f, v32
	v_mov_b32_e32 v160, 0x7fc02000
	s_mov_b32 s19, exec_lo
	s_delay_alu instid0(VALU_DEP_2)
	v_cmpx_ne_u32_e32 0x7f, v30
	s_cbranch_execz .LBB365_393
; %bb.390:                              ;   in Loop: Header=BB365_11 Depth=1
	v_and_b32_e32 v8, 7, v32
	v_lshrrev_b32_e32 v33, 3, v30
	v_cmp_gt_u32_e64 s1, 8, v30
	s_delay_alu instid0(VALU_DEP_3) | instskip(NEXT) | instid1(VALU_DEP_2)
	v_dual_mov_b32 v31, v9 :: v_dual_mov_b32 v30, v8
	s_and_saveexec_b32 s20, s1
; %bb.391:                              ;   in Loop: Header=BB365_11 Depth=1
	v_clz_i32_u32_e32 v30, v8
	s_delay_alu instid0(VALU_DEP_1) | instskip(NEXT) | instid1(VALU_DEP_1)
	v_min_u32_e32 v33, 32, v30
	v_subrev_nc_u32_e32 v30, 28, v33
	v_sub_nc_u32_e32 v33, 29, v33
	s_delay_alu instid0(VALU_DEP_2) | instskip(NEXT) | instid1(VALU_DEP_1)
	v_lshlrev_b64 v[30:31], v30, v[8:9]
	v_and_b32_e32 v30, 7, v30
; %bb.392:                              ;   in Loop: Header=BB365_11 Depth=1
	s_or_b32 exec_lo, exec_lo, s20
	v_lshlrev_b32_e32 v8, 8, v32
	v_lshl_add_u32 v31, v33, 10, 0x2000
	s_delay_alu instid0(VALU_DEP_1) | instskip(NEXT) | instid1(VALU_DEP_1)
	v_and_or_b32 v8, 0x8000, v8, v31
	v_lshl_or_b32 v8, v30, 7, v8
	s_delay_alu instid0(VALU_DEP_1)
	v_cvt_f32_f16_e64 v160, v8
.LBB365_393:                            ;   in Loop: Header=BB365_11 Depth=1
	s_or_b32 exec_lo, exec_lo, s19
.LBB365_394:                            ;   in Loop: Header=BB365_11 Depth=1
	s_delay_alu instid0(SALU_CYCLE_1)
	s_or_b32 exec_lo, exec_lo, s18
.LBB365_395:                            ;   in Loop: Header=BB365_11 Depth=1
	s_delay_alu instid0(SALU_CYCLE_1) | instskip(SKIP_4) | instid1(VALU_DEP_1)
	s_or_b32 exec_lo, exec_lo, s17
	flat_load_b64 v[30:31], v[28:29] offset:1536
	s_mov_b32 s17, exec_lo
	s_waitcnt vmcnt(0) lgkmcnt(0)
	v_and_b32_e32 v8, 0xff, v30
	v_cmpx_ne_u16_e32 0, v8
	s_cbranch_execz .LBB365_403
; %bb.396:                              ;   in Loop: Header=BB365_11 Depth=1
	v_bfrev_b32_e32 v161, 1
	s_mov_b32 s18, exec_lo
	v_cmpx_ne_u16_e32 0x80, v8
	s_cbranch_execz .LBB365_402
; %bb.397:                              ;   in Loop: Header=BB365_11 Depth=1
	v_and_b32_e32 v32, 0x7f, v30
	v_mov_b32_e32 v161, 0x7fc02000
	s_mov_b32 s19, exec_lo
	s_delay_alu instid0(VALU_DEP_2)
	v_cmpx_ne_u32_e32 0x7f, v32
	s_cbranch_execz .LBB365_401
; %bb.398:                              ;   in Loop: Header=BB365_11 Depth=1
	v_lshrrev_b32_e32 v8, 3, v32
	v_cmp_gt_u32_e64 s1, 8, v32
	v_dual_mov_b32 v33, v31 :: v_dual_mov_b32 v32, v30
	s_delay_alu instid0(VALU_DEP_2)
	s_and_saveexec_b32 s20, s1
; %bb.399:                              ;   in Loop: Header=BB365_11 Depth=1
	v_and_b32_e32 v8, 7, v30
	s_delay_alu instid0(VALU_DEP_1) | instskip(NEXT) | instid1(VALU_DEP_1)
	v_clz_i32_u32_e32 v8, v8
	v_min_u32_e32 v8, 32, v8
	s_delay_alu instid0(VALU_DEP_1) | instskip(SKIP_1) | instid1(VALU_DEP_2)
	v_subrev_nc_u32_e32 v32, 28, v8
	v_sub_nc_u32_e32 v8, 29, v8
	v_lshlrev_b64 v[32:33], v32, v[30:31]
; %bb.400:                              ;   in Loop: Header=BB365_11 Depth=1
	s_or_b32 exec_lo, exec_lo, s20
	v_lshlrev_b32_e32 v33, 8, v30
	s_delay_alu instid0(VALU_DEP_3) | instskip(NEXT) | instid1(VALU_DEP_3)
	v_lshl_add_u32 v8, v8, 10, 0x2000
	v_lshlrev_b32_e32 v32, 7, v32
	s_delay_alu instid0(VALU_DEP_2) | instskip(NEXT) | instid1(VALU_DEP_1)
	v_and_or_b32 v8, 0x8000, v33, v8
	v_and_or_b32 v8, 0x380, v32, v8
	s_delay_alu instid0(VALU_DEP_1)
	v_cvt_f32_f16_e64 v161, v8
.LBB365_401:                            ;   in Loop: Header=BB365_11 Depth=1
	s_or_b32 exec_lo, exec_lo, s19
.LBB365_402:                            ;   in Loop: Header=BB365_11 Depth=1
	s_delay_alu instid0(SALU_CYCLE_1)
	s_or_b32 exec_lo, exec_lo, s18
.LBB365_403:                            ;   in Loop: Header=BB365_11 Depth=1
	s_delay_alu instid0(SALU_CYCLE_1) | instskip(SKIP_3) | instid1(VALU_DEP_2)
	s_or_b32 exec_lo, exec_lo, s17
	v_lshrrev_b16 v8, 8, v30
	v_dual_mov_b32 v162, 0 :: v_dual_mov_b32 v163, 0
	s_mov_b32 s17, exec_lo
	v_cmpx_ne_u16_e32 0, v8
	s_cbranch_execz .LBB365_411
; %bb.404:                              ;   in Loop: Header=BB365_11 Depth=1
	v_bfrev_b32_e32 v163, 1
	s_mov_b32 s18, exec_lo
	v_cmpx_ne_u16_e32 0x80, v8
	s_cbranch_execz .LBB365_410
; %bb.405:                              ;   in Loop: Header=BB365_11 Depth=1
	v_and_b32_e32 v164, 0xffff, v8
	v_mov_b32_e32 v163, 0x7fc02000
	s_mov_b32 s19, exec_lo
	s_delay_alu instid0(VALU_DEP_2) | instskip(NEXT) | instid1(VALU_DEP_1)
	v_and_b32_e32 v32, 0x7f, v164
	v_cmpx_ne_u32_e32 0x7f, v32
	s_cbranch_execz .LBB365_409
; %bb.406:                              ;   in Loop: Header=BB365_11 Depth=1
	v_and_b32_e32 v8, 7, v164
	v_lshrrev_b32_e32 v163, 3, v32
	v_cmp_gt_u32_e64 s1, 8, v32
	s_delay_alu instid0(VALU_DEP_3) | instskip(NEXT) | instid1(VALU_DEP_2)
	v_dual_mov_b32 v33, v9 :: v_dual_mov_b32 v32, v8
	s_and_saveexec_b32 s20, s1
; %bb.407:                              ;   in Loop: Header=BB365_11 Depth=1
	v_clz_i32_u32_e32 v32, v8
	s_delay_alu instid0(VALU_DEP_1) | instskip(NEXT) | instid1(VALU_DEP_1)
	v_min_u32_e32 v163, 32, v32
	v_subrev_nc_u32_e32 v32, 28, v163
	v_sub_nc_u32_e32 v163, 29, v163
	s_delay_alu instid0(VALU_DEP_2) | instskip(NEXT) | instid1(VALU_DEP_1)
	v_lshlrev_b64 v[32:33], v32, v[8:9]
	v_and_b32_e32 v32, 7, v32
; %bb.408:                              ;   in Loop: Header=BB365_11 Depth=1
	s_or_b32 exec_lo, exec_lo, s20
	v_lshlrev_b32_e32 v8, 8, v164
	v_lshl_add_u32 v33, v163, 10, 0x2000
	s_delay_alu instid0(VALU_DEP_1) | instskip(NEXT) | instid1(VALU_DEP_1)
	v_and_or_b32 v8, 0x8000, v8, v33
	v_lshl_or_b32 v8, v32, 7, v8
	s_delay_alu instid0(VALU_DEP_1)
	v_cvt_f32_f16_e64 v163, v8
.LBB365_409:                            ;   in Loop: Header=BB365_11 Depth=1
	s_or_b32 exec_lo, exec_lo, s19
.LBB365_410:                            ;   in Loop: Header=BB365_11 Depth=1
	s_delay_alu instid0(SALU_CYCLE_1)
	s_or_b32 exec_lo, exec_lo, s18
.LBB365_411:                            ;   in Loop: Header=BB365_11 Depth=1
	s_delay_alu instid0(SALU_CYCLE_1) | instskip(SKIP_2) | instid1(VALU_DEP_1)
	s_or_b32 exec_lo, exec_lo, s17
	v_lshrrev_b32_e32 v164, 16, v30
	s_mov_b32 s17, exec_lo
	v_and_b32_e32 v8, 0xff, v164
	s_delay_alu instid0(VALU_DEP_1)
	v_cmpx_ne_u16_e32 0, v8
	s_cbranch_execz .LBB365_419
; %bb.412:                              ;   in Loop: Header=BB365_11 Depth=1
	v_bfrev_b32_e32 v162, 1
	s_mov_b32 s18, exec_lo
	v_cmpx_ne_u16_e32 0x80, v8
	s_cbranch_execz .LBB365_418
; %bb.413:                              ;   in Loop: Header=BB365_11 Depth=1
	v_bfe_u32 v32, v30, 16, 7
	v_mov_b32_e32 v162, 0x7fc02000
	s_mov_b32 s19, exec_lo
	s_delay_alu instid0(VALU_DEP_2)
	v_cmpx_ne_u32_e32 0x7f, v32
	s_cbranch_execz .LBB365_417
; %bb.414:                              ;   in Loop: Header=BB365_11 Depth=1
	v_and_b32_e32 v8, 7, v164
	v_lshrrev_b32_e32 v162, 3, v32
	v_cmp_gt_u32_e64 s1, 8, v32
	s_delay_alu instid0(VALU_DEP_3) | instskip(NEXT) | instid1(VALU_DEP_2)
	v_dual_mov_b32 v33, v9 :: v_dual_mov_b32 v32, v8
	s_and_saveexec_b32 s20, s1
; %bb.415:                              ;   in Loop: Header=BB365_11 Depth=1
	v_clz_i32_u32_e32 v32, v8
	s_delay_alu instid0(VALU_DEP_1) | instskip(NEXT) | instid1(VALU_DEP_1)
	v_min_u32_e32 v162, 32, v32
	v_subrev_nc_u32_e32 v32, 28, v162
	v_sub_nc_u32_e32 v162, 29, v162
	s_delay_alu instid0(VALU_DEP_2) | instskip(NEXT) | instid1(VALU_DEP_1)
	v_lshlrev_b64 v[32:33], v32, v[8:9]
	v_and_b32_e32 v32, 7, v32
; %bb.416:                              ;   in Loop: Header=BB365_11 Depth=1
	s_or_b32 exec_lo, exec_lo, s20
	v_lshlrev_b32_e32 v8, 8, v164
	v_lshl_add_u32 v33, v162, 10, 0x2000
	s_delay_alu instid0(VALU_DEP_1) | instskip(NEXT) | instid1(VALU_DEP_1)
	v_and_or_b32 v8, 0x8000, v8, v33
	v_lshl_or_b32 v8, v32, 7, v8
	s_delay_alu instid0(VALU_DEP_1)
	v_cvt_f32_f16_e64 v162, v8
.LBB365_417:                            ;   in Loop: Header=BB365_11 Depth=1
	s_or_b32 exec_lo, exec_lo, s19
.LBB365_418:                            ;   in Loop: Header=BB365_11 Depth=1
	s_delay_alu instid0(SALU_CYCLE_1)
	s_or_b32 exec_lo, exec_lo, s18
.LBB365_419:                            ;   in Loop: Header=BB365_11 Depth=1
	s_delay_alu instid0(SALU_CYCLE_1)
	s_or_b32 exec_lo, exec_lo, s17
	v_dual_mov_b32 v164, 0 :: v_dual_mov_b32 v165, 0
	s_mov_b32 s17, exec_lo
	v_cmpx_lt_u32_e32 0xffffff, v30
	s_cbranch_execz .LBB365_427
; %bb.420:                              ;   in Loop: Header=BB365_11 Depth=1
	v_lshrrev_b32_e32 v166, 24, v30
	v_bfrev_b32_e32 v165, 1
	s_mov_b32 s18, exec_lo
	s_delay_alu instid0(VALU_DEP_2)
	v_cmpx_ne_u32_e32 0x80, v166
	s_cbranch_execz .LBB365_426
; %bb.421:                              ;   in Loop: Header=BB365_11 Depth=1
	v_and_b32_e32 v32, 0x7f, v166
	v_mov_b32_e32 v165, 0x7fc02000
	s_mov_b32 s19, exec_lo
	s_delay_alu instid0(VALU_DEP_2)
	v_cmpx_ne_u32_e32 0x7f, v32
	s_cbranch_execz .LBB365_425
; %bb.422:                              ;   in Loop: Header=BB365_11 Depth=1
	v_and_b32_e32 v8, 7, v166
	v_lshrrev_b32_e32 v165, 3, v32
	v_cmp_gt_u32_e64 s1, 8, v32
	s_delay_alu instid0(VALU_DEP_3) | instskip(NEXT) | instid1(VALU_DEP_2)
	v_dual_mov_b32 v33, v9 :: v_dual_mov_b32 v32, v8
	s_and_saveexec_b32 s20, s1
; %bb.423:                              ;   in Loop: Header=BB365_11 Depth=1
	v_clz_i32_u32_e32 v32, v8
	s_delay_alu instid0(VALU_DEP_1) | instskip(NEXT) | instid1(VALU_DEP_1)
	v_min_u32_e32 v165, 32, v32
	v_subrev_nc_u32_e32 v32, 28, v165
	v_sub_nc_u32_e32 v165, 29, v165
	s_delay_alu instid0(VALU_DEP_2) | instskip(NEXT) | instid1(VALU_DEP_1)
	v_lshlrev_b64 v[32:33], v32, v[8:9]
	v_and_b32_e32 v32, 7, v32
; %bb.424:                              ;   in Loop: Header=BB365_11 Depth=1
	s_or_b32 exec_lo, exec_lo, s20
	v_lshlrev_b32_e32 v8, 8, v166
	v_lshl_add_u32 v33, v165, 10, 0x2000
	s_delay_alu instid0(VALU_DEP_1) | instskip(NEXT) | instid1(VALU_DEP_1)
	v_and_or_b32 v8, 0x8000, v8, v33
	v_lshl_or_b32 v8, v32, 7, v8
	s_delay_alu instid0(VALU_DEP_1)
	v_cvt_f32_f16_e64 v165, v8
.LBB365_425:                            ;   in Loop: Header=BB365_11 Depth=1
	s_or_b32 exec_lo, exec_lo, s19
.LBB365_426:                            ;   in Loop: Header=BB365_11 Depth=1
	s_delay_alu instid0(SALU_CYCLE_1)
	s_or_b32 exec_lo, exec_lo, s18
.LBB365_427:                            ;   in Loop: Header=BB365_11 Depth=1
	s_delay_alu instid0(SALU_CYCLE_1) | instskip(SKIP_3) | instid1(VALU_DEP_2)
	s_or_b32 exec_lo, exec_lo, s17
	v_and_b32_e32 v32, 0xff, v31
	v_mov_b32_e32 v8, v31
	s_mov_b32 s17, exec_lo
	v_cmpx_ne_u16_e32 0, v32
	s_cbranch_execz .LBB365_435
; %bb.428:                              ;   in Loop: Header=BB365_11 Depth=1
	v_bfrev_b32_e32 v164, 1
	s_mov_b32 s18, exec_lo
	v_cmpx_ne_u16_e32 0x80, v32
	s_cbranch_execz .LBB365_434
; %bb.429:                              ;   in Loop: Header=BB365_11 Depth=1
	v_and_b32_e32 v32, 0x7f, v31
	v_mov_b32_e32 v164, 0x7fc02000
	s_mov_b32 s19, exec_lo
	s_delay_alu instid0(VALU_DEP_2)
	v_cmpx_ne_u32_e32 0x7f, v32
	s_cbranch_execz .LBB365_433
; %bb.430:                              ;   in Loop: Header=BB365_11 Depth=1
	v_lshrrev_b32_e32 v164, 3, v32
	v_cmp_gt_u32_e64 s1, 8, v32
	v_dual_mov_b32 v33, v9 :: v_dual_mov_b32 v32, v8
	s_delay_alu instid0(VALU_DEP_2)
	s_and_saveexec_b32 s20, s1
; %bb.431:                              ;   in Loop: Header=BB365_11 Depth=1
	v_and_b32_e32 v32, 7, v31
	s_delay_alu instid0(VALU_DEP_1) | instskip(NEXT) | instid1(VALU_DEP_1)
	v_clz_i32_u32_e32 v32, v32
	v_min_u32_e32 v164, 32, v32
	s_delay_alu instid0(VALU_DEP_1) | instskip(SKIP_1) | instid1(VALU_DEP_2)
	v_subrev_nc_u32_e32 v32, 28, v164
	v_sub_nc_u32_e32 v164, 29, v164
	v_lshlrev_b64 v[32:33], v32, v[8:9]
; %bb.432:                              ;   in Loop: Header=BB365_11 Depth=1
	s_or_b32 exec_lo, exec_lo, s20
	v_lshlrev_b32_e32 v33, 8, v31
	s_delay_alu instid0(VALU_DEP_3) | instskip(NEXT) | instid1(VALU_DEP_3)
	v_lshl_add_u32 v164, v164, 10, 0x2000
	v_lshlrev_b32_e32 v32, 7, v32
	s_delay_alu instid0(VALU_DEP_2) | instskip(NEXT) | instid1(VALU_DEP_1)
	v_and_or_b32 v33, 0x8000, v33, v164
	v_and_or_b32 v32, 0x380, v32, v33
	s_delay_alu instid0(VALU_DEP_1)
	v_cvt_f32_f16_e64 v164, v32
.LBB365_433:                            ;   in Loop: Header=BB365_11 Depth=1
	s_or_b32 exec_lo, exec_lo, s19
.LBB365_434:                            ;   in Loop: Header=BB365_11 Depth=1
	s_delay_alu instid0(SALU_CYCLE_1)
	s_or_b32 exec_lo, exec_lo, s18
.LBB365_435:                            ;   in Loop: Header=BB365_11 Depth=1
	s_delay_alu instid0(SALU_CYCLE_1) | instskip(SKIP_3) | instid1(VALU_DEP_2)
	s_or_b32 exec_lo, exec_lo, s17
	v_lshrrev_b16 v8, 8, v8
	v_dual_mov_b32 v166, 0 :: v_dual_mov_b32 v167, 0
	s_mov_b32 s17, exec_lo
	v_cmpx_ne_u16_e32 0, v8
	s_cbranch_execz .LBB365_443
; %bb.436:                              ;   in Loop: Header=BB365_11 Depth=1
	v_bfrev_b32_e32 v167, 1
	s_mov_b32 s18, exec_lo
	v_cmpx_ne_u16_e32 0x80, v8
	s_cbranch_execz .LBB365_442
; %bb.437:                              ;   in Loop: Header=BB365_11 Depth=1
	v_and_b32_e32 v176, 0xffff, v8
	v_mov_b32_e32 v167, 0x7fc02000
	s_mov_b32 s19, exec_lo
	s_delay_alu instid0(VALU_DEP_2) | instskip(NEXT) | instid1(VALU_DEP_1)
	v_and_b32_e32 v32, 0x7f, v176
	v_cmpx_ne_u32_e32 0x7f, v32
	s_cbranch_execz .LBB365_441
; %bb.438:                              ;   in Loop: Header=BB365_11 Depth=1
	v_and_b32_e32 v8, 7, v176
	v_lshrrev_b32_e32 v167, 3, v32
	v_cmp_gt_u32_e64 s1, 8, v32
	s_delay_alu instid0(VALU_DEP_3) | instskip(NEXT) | instid1(VALU_DEP_2)
	v_dual_mov_b32 v33, v9 :: v_dual_mov_b32 v32, v8
	s_and_saveexec_b32 s20, s1
; %bb.439:                              ;   in Loop: Header=BB365_11 Depth=1
	v_clz_i32_u32_e32 v32, v8
	s_delay_alu instid0(VALU_DEP_1) | instskip(NEXT) | instid1(VALU_DEP_1)
	v_min_u32_e32 v167, 32, v32
	v_subrev_nc_u32_e32 v32, 28, v167
	v_sub_nc_u32_e32 v167, 29, v167
	s_delay_alu instid0(VALU_DEP_2) | instskip(NEXT) | instid1(VALU_DEP_1)
	v_lshlrev_b64 v[32:33], v32, v[8:9]
	v_and_b32_e32 v32, 7, v32
; %bb.440:                              ;   in Loop: Header=BB365_11 Depth=1
	s_or_b32 exec_lo, exec_lo, s20
	v_lshlrev_b32_e32 v8, 8, v176
	v_lshl_add_u32 v33, v167, 10, 0x2000
	s_delay_alu instid0(VALU_DEP_1) | instskip(NEXT) | instid1(VALU_DEP_1)
	v_and_or_b32 v8, 0x8000, v8, v33
	v_lshl_or_b32 v8, v32, 7, v8
	s_delay_alu instid0(VALU_DEP_1)
	v_cvt_f32_f16_e64 v167, v8
.LBB365_441:                            ;   in Loop: Header=BB365_11 Depth=1
	s_or_b32 exec_lo, exec_lo, s19
.LBB365_442:                            ;   in Loop: Header=BB365_11 Depth=1
	s_delay_alu instid0(SALU_CYCLE_1)
	s_or_b32 exec_lo, exec_lo, s18
.LBB365_443:                            ;   in Loop: Header=BB365_11 Depth=1
	s_delay_alu instid0(SALU_CYCLE_1) | instskip(SKIP_2) | instid1(VALU_DEP_1)
	s_or_b32 exec_lo, exec_lo, s17
	v_lshrrev_b32_e32 v176, 16, v31
	s_mov_b32 s17, exec_lo
	v_and_b32_e32 v8, 0xff, v176
	s_delay_alu instid0(VALU_DEP_1)
	v_cmpx_ne_u16_e32 0, v8
	s_cbranch_execz .LBB365_451
; %bb.444:                              ;   in Loop: Header=BB365_11 Depth=1
	v_bfrev_b32_e32 v166, 1
	s_mov_b32 s18, exec_lo
	v_cmpx_ne_u16_e32 0x80, v8
	s_cbranch_execz .LBB365_450
; %bb.445:                              ;   in Loop: Header=BB365_11 Depth=1
	v_bfe_u32 v32, v31, 16, 7
	v_mov_b32_e32 v166, 0x7fc02000
	s_mov_b32 s19, exec_lo
	s_delay_alu instid0(VALU_DEP_2)
	v_cmpx_ne_u32_e32 0x7f, v32
	s_cbranch_execz .LBB365_449
; %bb.446:                              ;   in Loop: Header=BB365_11 Depth=1
	v_and_b32_e32 v8, 7, v176
	v_lshrrev_b32_e32 v166, 3, v32
	v_cmp_gt_u32_e64 s1, 8, v32
	s_delay_alu instid0(VALU_DEP_3) | instskip(NEXT) | instid1(VALU_DEP_2)
	v_dual_mov_b32 v33, v9 :: v_dual_mov_b32 v32, v8
	s_and_saveexec_b32 s20, s1
; %bb.447:                              ;   in Loop: Header=BB365_11 Depth=1
	v_clz_i32_u32_e32 v32, v8
	s_delay_alu instid0(VALU_DEP_1) | instskip(NEXT) | instid1(VALU_DEP_1)
	v_min_u32_e32 v166, 32, v32
	v_subrev_nc_u32_e32 v32, 28, v166
	v_sub_nc_u32_e32 v166, 29, v166
	s_delay_alu instid0(VALU_DEP_2) | instskip(NEXT) | instid1(VALU_DEP_1)
	v_lshlrev_b64 v[32:33], v32, v[8:9]
	v_and_b32_e32 v32, 7, v32
; %bb.448:                              ;   in Loop: Header=BB365_11 Depth=1
	s_or_b32 exec_lo, exec_lo, s20
	v_lshlrev_b32_e32 v8, 8, v176
	v_lshl_add_u32 v33, v166, 10, 0x2000
	s_delay_alu instid0(VALU_DEP_1) | instskip(NEXT) | instid1(VALU_DEP_1)
	v_and_or_b32 v8, 0x8000, v8, v33
	v_lshl_or_b32 v8, v32, 7, v8
	s_delay_alu instid0(VALU_DEP_1)
	v_cvt_f32_f16_e64 v166, v8
.LBB365_449:                            ;   in Loop: Header=BB365_11 Depth=1
	s_or_b32 exec_lo, exec_lo, s19
.LBB365_450:                            ;   in Loop: Header=BB365_11 Depth=1
	s_delay_alu instid0(SALU_CYCLE_1)
	s_or_b32 exec_lo, exec_lo, s18
.LBB365_451:                            ;   in Loop: Header=BB365_11 Depth=1
	s_delay_alu instid0(SALU_CYCLE_1)
	s_or_b32 exec_lo, exec_lo, s17
	v_dual_mov_b32 v177, 0 :: v_dual_mov_b32 v176, 0
	s_mov_b32 s17, exec_lo
	v_cmpx_lt_u64_e64 s[2:3], v[30:31]
	s_cbranch_execz .LBB365_459
; %bb.452:                              ;   in Loop: Header=BB365_11 Depth=1
	v_lshrrev_b32_e32 v32, 24, v31
	v_bfrev_b32_e32 v176, 1
	s_mov_b32 s18, exec_lo
	s_delay_alu instid0(VALU_DEP_2)
	v_cmpx_ne_u32_e32 0x80, v32
	s_cbranch_execz .LBB365_458
; %bb.453:                              ;   in Loop: Header=BB365_11 Depth=1
	v_and_b32_e32 v30, 0x7f, v32
	v_mov_b32_e32 v176, 0x7fc02000
	s_mov_b32 s19, exec_lo
	s_delay_alu instid0(VALU_DEP_2)
	v_cmpx_ne_u32_e32 0x7f, v30
	s_cbranch_execz .LBB365_457
; %bb.454:                              ;   in Loop: Header=BB365_11 Depth=1
	v_and_b32_e32 v8, 7, v32
	v_lshrrev_b32_e32 v33, 3, v30
	v_cmp_gt_u32_e64 s1, 8, v30
	s_delay_alu instid0(VALU_DEP_3) | instskip(NEXT) | instid1(VALU_DEP_2)
	v_dual_mov_b32 v31, v9 :: v_dual_mov_b32 v30, v8
	s_and_saveexec_b32 s20, s1
; %bb.455:                              ;   in Loop: Header=BB365_11 Depth=1
	v_clz_i32_u32_e32 v30, v8
	s_delay_alu instid0(VALU_DEP_1) | instskip(NEXT) | instid1(VALU_DEP_1)
	v_min_u32_e32 v33, 32, v30
	v_subrev_nc_u32_e32 v30, 28, v33
	v_sub_nc_u32_e32 v33, 29, v33
	s_delay_alu instid0(VALU_DEP_2) | instskip(NEXT) | instid1(VALU_DEP_1)
	v_lshlrev_b64 v[30:31], v30, v[8:9]
	v_and_b32_e32 v30, 7, v30
; %bb.456:                              ;   in Loop: Header=BB365_11 Depth=1
	s_or_b32 exec_lo, exec_lo, s20
	v_lshlrev_b32_e32 v8, 8, v32
	v_lshl_add_u32 v31, v33, 10, 0x2000
	s_delay_alu instid0(VALU_DEP_1) | instskip(NEXT) | instid1(VALU_DEP_1)
	v_and_or_b32 v8, 0x8000, v8, v31
	v_lshl_or_b32 v8, v30, 7, v8
	s_delay_alu instid0(VALU_DEP_1)
	v_cvt_f32_f16_e64 v176, v8
.LBB365_457:                            ;   in Loop: Header=BB365_11 Depth=1
	s_or_b32 exec_lo, exec_lo, s19
.LBB365_458:                            ;   in Loop: Header=BB365_11 Depth=1
	s_delay_alu instid0(SALU_CYCLE_1)
	s_or_b32 exec_lo, exec_lo, s18
.LBB365_459:                            ;   in Loop: Header=BB365_11 Depth=1
	s_delay_alu instid0(SALU_CYCLE_1) | instskip(SKIP_4) | instid1(VALU_DEP_1)
	s_or_b32 exec_lo, exec_lo, s17
	flat_load_b64 v[30:31], v[28:29] offset:1544
	s_mov_b32 s17, exec_lo
	s_waitcnt vmcnt(0) lgkmcnt(0)
	v_and_b32_e32 v8, 0xff, v30
	v_cmpx_ne_u16_e32 0, v8
	s_cbranch_execz .LBB365_467
; %bb.460:                              ;   in Loop: Header=BB365_11 Depth=1
	v_bfrev_b32_e32 v177, 1
	s_mov_b32 s18, exec_lo
	v_cmpx_ne_u16_e32 0x80, v8
	s_cbranch_execz .LBB365_466
; %bb.461:                              ;   in Loop: Header=BB365_11 Depth=1
	v_and_b32_e32 v32, 0x7f, v30
	v_mov_b32_e32 v177, 0x7fc02000
	s_mov_b32 s19, exec_lo
	s_delay_alu instid0(VALU_DEP_2)
	v_cmpx_ne_u32_e32 0x7f, v32
	s_cbranch_execz .LBB365_465
; %bb.462:                              ;   in Loop: Header=BB365_11 Depth=1
	v_lshrrev_b32_e32 v8, 3, v32
	v_cmp_gt_u32_e64 s1, 8, v32
	v_dual_mov_b32 v33, v31 :: v_dual_mov_b32 v32, v30
	s_delay_alu instid0(VALU_DEP_2)
	s_and_saveexec_b32 s20, s1
; %bb.463:                              ;   in Loop: Header=BB365_11 Depth=1
	v_and_b32_e32 v8, 7, v30
	s_delay_alu instid0(VALU_DEP_1) | instskip(NEXT) | instid1(VALU_DEP_1)
	v_clz_i32_u32_e32 v8, v8
	v_min_u32_e32 v8, 32, v8
	s_delay_alu instid0(VALU_DEP_1) | instskip(SKIP_1) | instid1(VALU_DEP_2)
	v_subrev_nc_u32_e32 v32, 28, v8
	v_sub_nc_u32_e32 v8, 29, v8
	v_lshlrev_b64 v[32:33], v32, v[30:31]
; %bb.464:                              ;   in Loop: Header=BB365_11 Depth=1
	s_or_b32 exec_lo, exec_lo, s20
	v_lshlrev_b32_e32 v33, 8, v30
	s_delay_alu instid0(VALU_DEP_3) | instskip(NEXT) | instid1(VALU_DEP_3)
	v_lshl_add_u32 v8, v8, 10, 0x2000
	v_lshlrev_b32_e32 v32, 7, v32
	s_delay_alu instid0(VALU_DEP_2) | instskip(NEXT) | instid1(VALU_DEP_1)
	v_and_or_b32 v8, 0x8000, v33, v8
	v_and_or_b32 v8, 0x380, v32, v8
	s_delay_alu instid0(VALU_DEP_1)
	v_cvt_f32_f16_e64 v177, v8
.LBB365_465:                            ;   in Loop: Header=BB365_11 Depth=1
	s_or_b32 exec_lo, exec_lo, s19
.LBB365_466:                            ;   in Loop: Header=BB365_11 Depth=1
	s_delay_alu instid0(SALU_CYCLE_1)
	s_or_b32 exec_lo, exec_lo, s18
.LBB365_467:                            ;   in Loop: Header=BB365_11 Depth=1
	s_delay_alu instid0(SALU_CYCLE_1) | instskip(SKIP_3) | instid1(VALU_DEP_2)
	s_or_b32 exec_lo, exec_lo, s17
	v_lshrrev_b16 v8, 8, v30
	v_dual_mov_b32 v178, 0 :: v_dual_mov_b32 v179, 0
	s_mov_b32 s17, exec_lo
	v_cmpx_ne_u16_e32 0, v8
	s_cbranch_execz .LBB365_475
; %bb.468:                              ;   in Loop: Header=BB365_11 Depth=1
	v_bfrev_b32_e32 v179, 1
	s_mov_b32 s18, exec_lo
	v_cmpx_ne_u16_e32 0x80, v8
	s_cbranch_execz .LBB365_474
; %bb.469:                              ;   in Loop: Header=BB365_11 Depth=1
	v_and_b32_e32 v180, 0xffff, v8
	v_mov_b32_e32 v179, 0x7fc02000
	s_mov_b32 s19, exec_lo
	s_delay_alu instid0(VALU_DEP_2) | instskip(NEXT) | instid1(VALU_DEP_1)
	v_and_b32_e32 v32, 0x7f, v180
	v_cmpx_ne_u32_e32 0x7f, v32
	s_cbranch_execz .LBB365_473
; %bb.470:                              ;   in Loop: Header=BB365_11 Depth=1
	v_and_b32_e32 v8, 7, v180
	v_lshrrev_b32_e32 v179, 3, v32
	v_cmp_gt_u32_e64 s1, 8, v32
	s_delay_alu instid0(VALU_DEP_3) | instskip(NEXT) | instid1(VALU_DEP_2)
	v_dual_mov_b32 v33, v9 :: v_dual_mov_b32 v32, v8
	s_and_saveexec_b32 s20, s1
; %bb.471:                              ;   in Loop: Header=BB365_11 Depth=1
	v_clz_i32_u32_e32 v32, v8
	s_delay_alu instid0(VALU_DEP_1) | instskip(NEXT) | instid1(VALU_DEP_1)
	v_min_u32_e32 v179, 32, v32
	v_subrev_nc_u32_e32 v32, 28, v179
	v_sub_nc_u32_e32 v179, 29, v179
	s_delay_alu instid0(VALU_DEP_2) | instskip(NEXT) | instid1(VALU_DEP_1)
	v_lshlrev_b64 v[32:33], v32, v[8:9]
	v_and_b32_e32 v32, 7, v32
; %bb.472:                              ;   in Loop: Header=BB365_11 Depth=1
	s_or_b32 exec_lo, exec_lo, s20
	v_lshlrev_b32_e32 v8, 8, v180
	v_lshl_add_u32 v33, v179, 10, 0x2000
	s_delay_alu instid0(VALU_DEP_1) | instskip(NEXT) | instid1(VALU_DEP_1)
	v_and_or_b32 v8, 0x8000, v8, v33
	v_lshl_or_b32 v8, v32, 7, v8
	s_delay_alu instid0(VALU_DEP_1)
	v_cvt_f32_f16_e64 v179, v8
.LBB365_473:                            ;   in Loop: Header=BB365_11 Depth=1
	s_or_b32 exec_lo, exec_lo, s19
.LBB365_474:                            ;   in Loop: Header=BB365_11 Depth=1
	s_delay_alu instid0(SALU_CYCLE_1)
	s_or_b32 exec_lo, exec_lo, s18
.LBB365_475:                            ;   in Loop: Header=BB365_11 Depth=1
	s_delay_alu instid0(SALU_CYCLE_1) | instskip(SKIP_2) | instid1(VALU_DEP_1)
	s_or_b32 exec_lo, exec_lo, s17
	v_lshrrev_b32_e32 v180, 16, v30
	s_mov_b32 s17, exec_lo
	v_and_b32_e32 v8, 0xff, v180
	s_delay_alu instid0(VALU_DEP_1)
	v_cmpx_ne_u16_e32 0, v8
	s_cbranch_execz .LBB365_483
; %bb.476:                              ;   in Loop: Header=BB365_11 Depth=1
	v_bfrev_b32_e32 v178, 1
	s_mov_b32 s18, exec_lo
	v_cmpx_ne_u16_e32 0x80, v8
	s_cbranch_execz .LBB365_482
; %bb.477:                              ;   in Loop: Header=BB365_11 Depth=1
	v_bfe_u32 v32, v30, 16, 7
	v_mov_b32_e32 v178, 0x7fc02000
	s_mov_b32 s19, exec_lo
	s_delay_alu instid0(VALU_DEP_2)
	v_cmpx_ne_u32_e32 0x7f, v32
	s_cbranch_execz .LBB365_481
; %bb.478:                              ;   in Loop: Header=BB365_11 Depth=1
	v_and_b32_e32 v8, 7, v180
	v_lshrrev_b32_e32 v178, 3, v32
	v_cmp_gt_u32_e64 s1, 8, v32
	s_delay_alu instid0(VALU_DEP_3) | instskip(NEXT) | instid1(VALU_DEP_2)
	v_dual_mov_b32 v33, v9 :: v_dual_mov_b32 v32, v8
	s_and_saveexec_b32 s20, s1
; %bb.479:                              ;   in Loop: Header=BB365_11 Depth=1
	v_clz_i32_u32_e32 v32, v8
	s_delay_alu instid0(VALU_DEP_1) | instskip(NEXT) | instid1(VALU_DEP_1)
	v_min_u32_e32 v178, 32, v32
	v_subrev_nc_u32_e32 v32, 28, v178
	v_sub_nc_u32_e32 v178, 29, v178
	s_delay_alu instid0(VALU_DEP_2) | instskip(NEXT) | instid1(VALU_DEP_1)
	v_lshlrev_b64 v[32:33], v32, v[8:9]
	v_and_b32_e32 v32, 7, v32
; %bb.480:                              ;   in Loop: Header=BB365_11 Depth=1
	s_or_b32 exec_lo, exec_lo, s20
	v_lshlrev_b32_e32 v8, 8, v180
	v_lshl_add_u32 v33, v178, 10, 0x2000
	s_delay_alu instid0(VALU_DEP_1) | instskip(NEXT) | instid1(VALU_DEP_1)
	v_and_or_b32 v8, 0x8000, v8, v33
	v_lshl_or_b32 v8, v32, 7, v8
	s_delay_alu instid0(VALU_DEP_1)
	v_cvt_f32_f16_e64 v178, v8
.LBB365_481:                            ;   in Loop: Header=BB365_11 Depth=1
	s_or_b32 exec_lo, exec_lo, s19
.LBB365_482:                            ;   in Loop: Header=BB365_11 Depth=1
	s_delay_alu instid0(SALU_CYCLE_1)
	s_or_b32 exec_lo, exec_lo, s18
.LBB365_483:                            ;   in Loop: Header=BB365_11 Depth=1
	s_delay_alu instid0(SALU_CYCLE_1)
	s_or_b32 exec_lo, exec_lo, s17
	v_dual_mov_b32 v180, 0 :: v_dual_mov_b32 v181, 0
	s_mov_b32 s17, exec_lo
	v_cmpx_lt_u32_e32 0xffffff, v30
	s_cbranch_execz .LBB365_491
; %bb.484:                              ;   in Loop: Header=BB365_11 Depth=1
	v_lshrrev_b32_e32 v182, 24, v30
	v_bfrev_b32_e32 v181, 1
	s_mov_b32 s18, exec_lo
	s_delay_alu instid0(VALU_DEP_2)
	v_cmpx_ne_u32_e32 0x80, v182
	s_cbranch_execz .LBB365_490
; %bb.485:                              ;   in Loop: Header=BB365_11 Depth=1
	v_and_b32_e32 v32, 0x7f, v182
	v_mov_b32_e32 v181, 0x7fc02000
	s_mov_b32 s19, exec_lo
	s_delay_alu instid0(VALU_DEP_2)
	v_cmpx_ne_u32_e32 0x7f, v32
	s_cbranch_execz .LBB365_489
; %bb.486:                              ;   in Loop: Header=BB365_11 Depth=1
	v_and_b32_e32 v8, 7, v182
	v_lshrrev_b32_e32 v181, 3, v32
	v_cmp_gt_u32_e64 s1, 8, v32
	s_delay_alu instid0(VALU_DEP_3) | instskip(NEXT) | instid1(VALU_DEP_2)
	v_dual_mov_b32 v33, v9 :: v_dual_mov_b32 v32, v8
	s_and_saveexec_b32 s20, s1
; %bb.487:                              ;   in Loop: Header=BB365_11 Depth=1
	v_clz_i32_u32_e32 v32, v8
	s_delay_alu instid0(VALU_DEP_1) | instskip(NEXT) | instid1(VALU_DEP_1)
	v_min_u32_e32 v181, 32, v32
	v_subrev_nc_u32_e32 v32, 28, v181
	v_sub_nc_u32_e32 v181, 29, v181
	s_delay_alu instid0(VALU_DEP_2) | instskip(NEXT) | instid1(VALU_DEP_1)
	v_lshlrev_b64 v[32:33], v32, v[8:9]
	v_and_b32_e32 v32, 7, v32
; %bb.488:                              ;   in Loop: Header=BB365_11 Depth=1
	s_or_b32 exec_lo, exec_lo, s20
	v_lshlrev_b32_e32 v8, 8, v182
	v_lshl_add_u32 v33, v181, 10, 0x2000
	s_delay_alu instid0(VALU_DEP_1) | instskip(NEXT) | instid1(VALU_DEP_1)
	v_and_or_b32 v8, 0x8000, v8, v33
	v_lshl_or_b32 v8, v32, 7, v8
	s_delay_alu instid0(VALU_DEP_1)
	v_cvt_f32_f16_e64 v181, v8
.LBB365_489:                            ;   in Loop: Header=BB365_11 Depth=1
	s_or_b32 exec_lo, exec_lo, s19
.LBB365_490:                            ;   in Loop: Header=BB365_11 Depth=1
	s_delay_alu instid0(SALU_CYCLE_1)
	s_or_b32 exec_lo, exec_lo, s18
.LBB365_491:                            ;   in Loop: Header=BB365_11 Depth=1
	s_delay_alu instid0(SALU_CYCLE_1) | instskip(SKIP_3) | instid1(VALU_DEP_2)
	s_or_b32 exec_lo, exec_lo, s17
	v_and_b32_e32 v32, 0xff, v31
	v_mov_b32_e32 v8, v31
	s_mov_b32 s17, exec_lo
	v_cmpx_ne_u16_e32 0, v32
	s_cbranch_execz .LBB365_499
; %bb.492:                              ;   in Loop: Header=BB365_11 Depth=1
	v_bfrev_b32_e32 v180, 1
	s_mov_b32 s18, exec_lo
	v_cmpx_ne_u16_e32 0x80, v32
	s_cbranch_execz .LBB365_498
; %bb.493:                              ;   in Loop: Header=BB365_11 Depth=1
	v_and_b32_e32 v32, 0x7f, v31
	v_mov_b32_e32 v180, 0x7fc02000
	s_mov_b32 s19, exec_lo
	s_delay_alu instid0(VALU_DEP_2)
	v_cmpx_ne_u32_e32 0x7f, v32
	s_cbranch_execz .LBB365_497
; %bb.494:                              ;   in Loop: Header=BB365_11 Depth=1
	v_lshrrev_b32_e32 v180, 3, v32
	v_cmp_gt_u32_e64 s1, 8, v32
	v_dual_mov_b32 v33, v9 :: v_dual_mov_b32 v32, v8
	s_delay_alu instid0(VALU_DEP_2)
	s_and_saveexec_b32 s20, s1
; %bb.495:                              ;   in Loop: Header=BB365_11 Depth=1
	v_and_b32_e32 v32, 7, v31
	s_delay_alu instid0(VALU_DEP_1) | instskip(NEXT) | instid1(VALU_DEP_1)
	v_clz_i32_u32_e32 v32, v32
	v_min_u32_e32 v180, 32, v32
	s_delay_alu instid0(VALU_DEP_1) | instskip(SKIP_1) | instid1(VALU_DEP_2)
	v_subrev_nc_u32_e32 v32, 28, v180
	v_sub_nc_u32_e32 v180, 29, v180
	v_lshlrev_b64 v[32:33], v32, v[8:9]
; %bb.496:                              ;   in Loop: Header=BB365_11 Depth=1
	s_or_b32 exec_lo, exec_lo, s20
	v_lshlrev_b32_e32 v33, 8, v31
	s_delay_alu instid0(VALU_DEP_3) | instskip(NEXT) | instid1(VALU_DEP_3)
	v_lshl_add_u32 v180, v180, 10, 0x2000
	v_lshlrev_b32_e32 v32, 7, v32
	s_delay_alu instid0(VALU_DEP_2) | instskip(NEXT) | instid1(VALU_DEP_1)
	v_and_or_b32 v33, 0x8000, v33, v180
	v_and_or_b32 v32, 0x380, v32, v33
	s_delay_alu instid0(VALU_DEP_1)
	v_cvt_f32_f16_e64 v180, v32
.LBB365_497:                            ;   in Loop: Header=BB365_11 Depth=1
	s_or_b32 exec_lo, exec_lo, s19
.LBB365_498:                            ;   in Loop: Header=BB365_11 Depth=1
	s_delay_alu instid0(SALU_CYCLE_1)
	s_or_b32 exec_lo, exec_lo, s18
.LBB365_499:                            ;   in Loop: Header=BB365_11 Depth=1
	s_delay_alu instid0(SALU_CYCLE_1) | instskip(SKIP_3) | instid1(VALU_DEP_2)
	s_or_b32 exec_lo, exec_lo, s17
	v_lshrrev_b16 v8, 8, v8
	v_dual_mov_b32 v182, 0 :: v_dual_mov_b32 v183, 0
	s_mov_b32 s17, exec_lo
	v_cmpx_ne_u16_e32 0, v8
	s_cbranch_execz .LBB365_507
; %bb.500:                              ;   in Loop: Header=BB365_11 Depth=1
	v_bfrev_b32_e32 v183, 1
	s_mov_b32 s18, exec_lo
	v_cmpx_ne_u16_e32 0x80, v8
	s_cbranch_execz .LBB365_506
; %bb.501:                              ;   in Loop: Header=BB365_11 Depth=1
	v_and_b32_e32 v40, 0xffff, v8
	v_mov_b32_e32 v183, 0x7fc02000
	s_mov_b32 s19, exec_lo
	s_delay_alu instid0(VALU_DEP_2) | instskip(NEXT) | instid1(VALU_DEP_1)
	v_and_b32_e32 v32, 0x7f, v40
	v_cmpx_ne_u32_e32 0x7f, v32
	s_cbranch_execz .LBB365_505
; %bb.502:                              ;   in Loop: Header=BB365_11 Depth=1
	v_and_b32_e32 v8, 7, v40
	v_lshrrev_b32_e32 v183, 3, v32
	v_cmp_gt_u32_e64 s1, 8, v32
	s_delay_alu instid0(VALU_DEP_3) | instskip(NEXT) | instid1(VALU_DEP_2)
	v_dual_mov_b32 v33, v9 :: v_dual_mov_b32 v32, v8
	s_and_saveexec_b32 s20, s1
; %bb.503:                              ;   in Loop: Header=BB365_11 Depth=1
	v_clz_i32_u32_e32 v32, v8
	s_delay_alu instid0(VALU_DEP_1) | instskip(NEXT) | instid1(VALU_DEP_1)
	v_min_u32_e32 v183, 32, v32
	v_subrev_nc_u32_e32 v32, 28, v183
	v_sub_nc_u32_e32 v183, 29, v183
	s_delay_alu instid0(VALU_DEP_2) | instskip(NEXT) | instid1(VALU_DEP_1)
	v_lshlrev_b64 v[32:33], v32, v[8:9]
	v_and_b32_e32 v32, 7, v32
; %bb.504:                              ;   in Loop: Header=BB365_11 Depth=1
	s_or_b32 exec_lo, exec_lo, s20
	v_lshlrev_b32_e32 v8, 8, v40
	v_lshl_add_u32 v33, v183, 10, 0x2000
	s_delay_alu instid0(VALU_DEP_1) | instskip(NEXT) | instid1(VALU_DEP_1)
	v_and_or_b32 v8, 0x8000, v8, v33
	v_lshl_or_b32 v8, v32, 7, v8
	s_delay_alu instid0(VALU_DEP_1)
	v_cvt_f32_f16_e64 v183, v8
.LBB365_505:                            ;   in Loop: Header=BB365_11 Depth=1
	s_or_b32 exec_lo, exec_lo, s19
.LBB365_506:                            ;   in Loop: Header=BB365_11 Depth=1
	s_delay_alu instid0(SALU_CYCLE_1)
	s_or_b32 exec_lo, exec_lo, s18
.LBB365_507:                            ;   in Loop: Header=BB365_11 Depth=1
	s_delay_alu instid0(SALU_CYCLE_1) | instskip(SKIP_2) | instid1(VALU_DEP_1)
	s_or_b32 exec_lo, exec_lo, s17
	v_lshrrev_b32_e32 v40, 16, v31
	s_mov_b32 s17, exec_lo
	v_and_b32_e32 v8, 0xff, v40
	s_delay_alu instid0(VALU_DEP_1)
	v_cmpx_ne_u16_e32 0, v8
	s_cbranch_execz .LBB365_515
; %bb.508:                              ;   in Loop: Header=BB365_11 Depth=1
	v_bfrev_b32_e32 v182, 1
	s_mov_b32 s18, exec_lo
	v_cmpx_ne_u16_e32 0x80, v8
	s_cbranch_execz .LBB365_514
; %bb.509:                              ;   in Loop: Header=BB365_11 Depth=1
	v_bfe_u32 v32, v31, 16, 7
	v_mov_b32_e32 v182, 0x7fc02000
	s_mov_b32 s19, exec_lo
	s_delay_alu instid0(VALU_DEP_2)
	v_cmpx_ne_u32_e32 0x7f, v32
	s_cbranch_execz .LBB365_513
; %bb.510:                              ;   in Loop: Header=BB365_11 Depth=1
	v_and_b32_e32 v8, 7, v40
	v_lshrrev_b32_e32 v182, 3, v32
	v_cmp_gt_u32_e64 s1, 8, v32
	s_delay_alu instid0(VALU_DEP_3) | instskip(NEXT) | instid1(VALU_DEP_2)
	v_dual_mov_b32 v33, v9 :: v_dual_mov_b32 v32, v8
	s_and_saveexec_b32 s20, s1
; %bb.511:                              ;   in Loop: Header=BB365_11 Depth=1
	v_clz_i32_u32_e32 v32, v8
	s_delay_alu instid0(VALU_DEP_1) | instskip(NEXT) | instid1(VALU_DEP_1)
	v_min_u32_e32 v182, 32, v32
	v_subrev_nc_u32_e32 v32, 28, v182
	v_sub_nc_u32_e32 v182, 29, v182
	s_delay_alu instid0(VALU_DEP_2) | instskip(NEXT) | instid1(VALU_DEP_1)
	v_lshlrev_b64 v[32:33], v32, v[8:9]
	v_and_b32_e32 v32, 7, v32
; %bb.512:                              ;   in Loop: Header=BB365_11 Depth=1
	s_or_b32 exec_lo, exec_lo, s20
	v_lshlrev_b32_e32 v8, 8, v40
	v_lshl_add_u32 v33, v182, 10, 0x2000
	s_delay_alu instid0(VALU_DEP_1) | instskip(NEXT) | instid1(VALU_DEP_1)
	v_and_or_b32 v8, 0x8000, v8, v33
	v_lshl_or_b32 v8, v32, 7, v8
	s_delay_alu instid0(VALU_DEP_1)
	v_cvt_f32_f16_e64 v182, v8
.LBB365_513:                            ;   in Loop: Header=BB365_11 Depth=1
	s_or_b32 exec_lo, exec_lo, s19
.LBB365_514:                            ;   in Loop: Header=BB365_11 Depth=1
	s_delay_alu instid0(SALU_CYCLE_1)
	s_or_b32 exec_lo, exec_lo, s18
.LBB365_515:                            ;   in Loop: Header=BB365_11 Depth=1
	s_delay_alu instid0(SALU_CYCLE_1)
	s_or_b32 exec_lo, exec_lo, s17
	v_dual_mov_b32 v41, 0 :: v_dual_mov_b32 v40, 0
	s_mov_b32 s17, exec_lo
	v_cmpx_lt_u64_e64 s[2:3], v[30:31]
	s_cbranch_execz .LBB365_523
; %bb.516:                              ;   in Loop: Header=BB365_11 Depth=1
	v_lshrrev_b32_e32 v32, 24, v31
	v_bfrev_b32_e32 v40, 1
	s_mov_b32 s18, exec_lo
	s_delay_alu instid0(VALU_DEP_2)
	v_cmpx_ne_u32_e32 0x80, v32
	s_cbranch_execz .LBB365_522
; %bb.517:                              ;   in Loop: Header=BB365_11 Depth=1
	v_and_b32_e32 v30, 0x7f, v32
	v_mov_b32_e32 v40, 0x7fc02000
	s_mov_b32 s19, exec_lo
	s_delay_alu instid0(VALU_DEP_2)
	v_cmpx_ne_u32_e32 0x7f, v30
	s_cbranch_execz .LBB365_521
; %bb.518:                              ;   in Loop: Header=BB365_11 Depth=1
	v_and_b32_e32 v8, 7, v32
	v_lshrrev_b32_e32 v33, 3, v30
	v_cmp_gt_u32_e64 s1, 8, v30
	s_delay_alu instid0(VALU_DEP_3) | instskip(NEXT) | instid1(VALU_DEP_2)
	v_dual_mov_b32 v31, v9 :: v_dual_mov_b32 v30, v8
	s_and_saveexec_b32 s20, s1
; %bb.519:                              ;   in Loop: Header=BB365_11 Depth=1
	v_clz_i32_u32_e32 v30, v8
	s_delay_alu instid0(VALU_DEP_1) | instskip(NEXT) | instid1(VALU_DEP_1)
	v_min_u32_e32 v33, 32, v30
	v_subrev_nc_u32_e32 v30, 28, v33
	v_sub_nc_u32_e32 v33, 29, v33
	s_delay_alu instid0(VALU_DEP_2) | instskip(NEXT) | instid1(VALU_DEP_1)
	v_lshlrev_b64 v[30:31], v30, v[8:9]
	v_and_b32_e32 v30, 7, v30
; %bb.520:                              ;   in Loop: Header=BB365_11 Depth=1
	s_or_b32 exec_lo, exec_lo, s20
	v_lshlrev_b32_e32 v8, 8, v32
	v_lshl_add_u32 v31, v33, 10, 0x2000
	s_delay_alu instid0(VALU_DEP_1) | instskip(NEXT) | instid1(VALU_DEP_1)
	v_and_or_b32 v8, 0x8000, v8, v31
	v_lshl_or_b32 v8, v30, 7, v8
	s_delay_alu instid0(VALU_DEP_1)
	v_cvt_f32_f16_e32 v40, v8
.LBB365_521:                            ;   in Loop: Header=BB365_11 Depth=1
	s_or_b32 exec_lo, exec_lo, s19
.LBB365_522:                            ;   in Loop: Header=BB365_11 Depth=1
	s_delay_alu instid0(SALU_CYCLE_1)
	s_or_b32 exec_lo, exec_lo, s18
.LBB365_523:                            ;   in Loop: Header=BB365_11 Depth=1
	s_delay_alu instid0(SALU_CYCLE_1) | instskip(SKIP_4) | instid1(VALU_DEP_1)
	s_or_b32 exec_lo, exec_lo, s17
	flat_load_b64 v[30:31], v[28:29] offset:2048
	s_mov_b32 s17, exec_lo
	s_waitcnt vmcnt(0) lgkmcnt(0)
	v_and_b32_e32 v8, 0xff, v30
	v_cmpx_ne_u16_e32 0, v8
	s_cbranch_execz .LBB365_531
; %bb.524:                              ;   in Loop: Header=BB365_11 Depth=1
	v_bfrev_b32_e32 v41, 1
	s_mov_b32 s18, exec_lo
	v_cmpx_ne_u16_e32 0x80, v8
	s_cbranch_execz .LBB365_530
; %bb.525:                              ;   in Loop: Header=BB365_11 Depth=1
	v_and_b32_e32 v32, 0x7f, v30
	v_mov_b32_e32 v41, 0x7fc02000
	s_mov_b32 s19, exec_lo
	s_delay_alu instid0(VALU_DEP_2)
	v_cmpx_ne_u32_e32 0x7f, v32
	s_cbranch_execz .LBB365_529
; %bb.526:                              ;   in Loop: Header=BB365_11 Depth=1
	v_lshrrev_b32_e32 v8, 3, v32
	v_cmp_gt_u32_e64 s1, 8, v32
	v_dual_mov_b32 v33, v31 :: v_dual_mov_b32 v32, v30
	s_delay_alu instid0(VALU_DEP_2)
	s_and_saveexec_b32 s20, s1
; %bb.527:                              ;   in Loop: Header=BB365_11 Depth=1
	v_and_b32_e32 v8, 7, v30
	s_delay_alu instid0(VALU_DEP_1) | instskip(NEXT) | instid1(VALU_DEP_1)
	v_clz_i32_u32_e32 v8, v8
	v_min_u32_e32 v8, 32, v8
	s_delay_alu instid0(VALU_DEP_1) | instskip(SKIP_1) | instid1(VALU_DEP_2)
	v_subrev_nc_u32_e32 v32, 28, v8
	v_sub_nc_u32_e32 v8, 29, v8
	v_lshlrev_b64 v[32:33], v32, v[30:31]
; %bb.528:                              ;   in Loop: Header=BB365_11 Depth=1
	s_or_b32 exec_lo, exec_lo, s20
	v_lshlrev_b32_e32 v33, 8, v30
	s_delay_alu instid0(VALU_DEP_3) | instskip(NEXT) | instid1(VALU_DEP_3)
	v_lshl_add_u32 v8, v8, 10, 0x2000
	v_lshlrev_b32_e32 v32, 7, v32
	s_delay_alu instid0(VALU_DEP_2) | instskip(NEXT) | instid1(VALU_DEP_1)
	v_and_or_b32 v8, 0x8000, v33, v8
	v_and_or_b32 v8, 0x380, v32, v8
	s_delay_alu instid0(VALU_DEP_1)
	v_cvt_f32_f16_e32 v41, v8
.LBB365_529:                            ;   in Loop: Header=BB365_11 Depth=1
	s_or_b32 exec_lo, exec_lo, s19
.LBB365_530:                            ;   in Loop: Header=BB365_11 Depth=1
	s_delay_alu instid0(SALU_CYCLE_1)
	s_or_b32 exec_lo, exec_lo, s18
.LBB365_531:                            ;   in Loop: Header=BB365_11 Depth=1
	s_delay_alu instid0(SALU_CYCLE_1) | instskip(SKIP_3) | instid1(VALU_DEP_2)
	s_or_b32 exec_lo, exec_lo, s17
	v_lshrrev_b16 v8, 8, v30
	v_dual_mov_b32 v42, 0 :: v_dual_mov_b32 v43, 0
	s_mov_b32 s17, exec_lo
	v_cmpx_ne_u16_e32 0, v8
	s_cbranch_execz .LBB365_539
; %bb.532:                              ;   in Loop: Header=BB365_11 Depth=1
	v_bfrev_b32_e32 v43, 1
	s_mov_b32 s18, exec_lo
	v_cmpx_ne_u16_e32 0x80, v8
	s_cbranch_execz .LBB365_538
; %bb.533:                              ;   in Loop: Header=BB365_11 Depth=1
	v_and_b32_e32 v44, 0xffff, v8
	v_mov_b32_e32 v43, 0x7fc02000
	s_mov_b32 s19, exec_lo
	s_delay_alu instid0(VALU_DEP_2) | instskip(NEXT) | instid1(VALU_DEP_1)
	v_and_b32_e32 v32, 0x7f, v44
	v_cmpx_ne_u32_e32 0x7f, v32
	s_cbranch_execz .LBB365_537
; %bb.534:                              ;   in Loop: Header=BB365_11 Depth=1
	v_and_b32_e32 v8, 7, v44
	v_lshrrev_b32_e32 v43, 3, v32
	v_cmp_gt_u32_e64 s1, 8, v32
	s_delay_alu instid0(VALU_DEP_3) | instskip(NEXT) | instid1(VALU_DEP_2)
	v_dual_mov_b32 v33, v9 :: v_dual_mov_b32 v32, v8
	s_and_saveexec_b32 s20, s1
; %bb.535:                              ;   in Loop: Header=BB365_11 Depth=1
	v_clz_i32_u32_e32 v32, v8
	s_delay_alu instid0(VALU_DEP_1) | instskip(NEXT) | instid1(VALU_DEP_1)
	v_min_u32_e32 v43, 32, v32
	v_subrev_nc_u32_e32 v32, 28, v43
	v_sub_nc_u32_e32 v43, 29, v43
	s_delay_alu instid0(VALU_DEP_2) | instskip(NEXT) | instid1(VALU_DEP_1)
	v_lshlrev_b64 v[32:33], v32, v[8:9]
	v_and_b32_e32 v32, 7, v32
; %bb.536:                              ;   in Loop: Header=BB365_11 Depth=1
	s_or_b32 exec_lo, exec_lo, s20
	v_lshlrev_b32_e32 v8, 8, v44
	v_lshl_add_u32 v33, v43, 10, 0x2000
	s_delay_alu instid0(VALU_DEP_1) | instskip(NEXT) | instid1(VALU_DEP_1)
	v_and_or_b32 v8, 0x8000, v8, v33
	v_lshl_or_b32 v8, v32, 7, v8
	s_delay_alu instid0(VALU_DEP_1)
	v_cvt_f32_f16_e32 v43, v8
.LBB365_537:                            ;   in Loop: Header=BB365_11 Depth=1
	s_or_b32 exec_lo, exec_lo, s19
.LBB365_538:                            ;   in Loop: Header=BB365_11 Depth=1
	s_delay_alu instid0(SALU_CYCLE_1)
	s_or_b32 exec_lo, exec_lo, s18
.LBB365_539:                            ;   in Loop: Header=BB365_11 Depth=1
	s_delay_alu instid0(SALU_CYCLE_1) | instskip(SKIP_2) | instid1(VALU_DEP_1)
	s_or_b32 exec_lo, exec_lo, s17
	v_lshrrev_b32_e32 v44, 16, v30
	s_mov_b32 s17, exec_lo
	v_and_b32_e32 v8, 0xff, v44
	s_delay_alu instid0(VALU_DEP_1)
	v_cmpx_ne_u16_e32 0, v8
	s_cbranch_execz .LBB365_547
; %bb.540:                              ;   in Loop: Header=BB365_11 Depth=1
	v_bfrev_b32_e32 v42, 1
	s_mov_b32 s18, exec_lo
	v_cmpx_ne_u16_e32 0x80, v8
	s_cbranch_execz .LBB365_546
; %bb.541:                              ;   in Loop: Header=BB365_11 Depth=1
	v_bfe_u32 v32, v30, 16, 7
	v_mov_b32_e32 v42, 0x7fc02000
	s_mov_b32 s19, exec_lo
	s_delay_alu instid0(VALU_DEP_2)
	v_cmpx_ne_u32_e32 0x7f, v32
	s_cbranch_execz .LBB365_545
; %bb.542:                              ;   in Loop: Header=BB365_11 Depth=1
	v_and_b32_e32 v8, 7, v44
	v_lshrrev_b32_e32 v42, 3, v32
	v_cmp_gt_u32_e64 s1, 8, v32
	s_delay_alu instid0(VALU_DEP_3) | instskip(NEXT) | instid1(VALU_DEP_2)
	v_dual_mov_b32 v33, v9 :: v_dual_mov_b32 v32, v8
	s_and_saveexec_b32 s20, s1
; %bb.543:                              ;   in Loop: Header=BB365_11 Depth=1
	v_clz_i32_u32_e32 v32, v8
	s_delay_alu instid0(VALU_DEP_1) | instskip(NEXT) | instid1(VALU_DEP_1)
	v_min_u32_e32 v42, 32, v32
	v_subrev_nc_u32_e32 v32, 28, v42
	v_sub_nc_u32_e32 v42, 29, v42
	s_delay_alu instid0(VALU_DEP_2) | instskip(NEXT) | instid1(VALU_DEP_1)
	v_lshlrev_b64 v[32:33], v32, v[8:9]
	v_and_b32_e32 v32, 7, v32
; %bb.544:                              ;   in Loop: Header=BB365_11 Depth=1
	s_or_b32 exec_lo, exec_lo, s20
	v_lshlrev_b32_e32 v8, 8, v44
	v_lshl_add_u32 v33, v42, 10, 0x2000
	s_delay_alu instid0(VALU_DEP_1) | instskip(NEXT) | instid1(VALU_DEP_1)
	v_and_or_b32 v8, 0x8000, v8, v33
	v_lshl_or_b32 v8, v32, 7, v8
	s_delay_alu instid0(VALU_DEP_1)
	v_cvt_f32_f16_e32 v42, v8
.LBB365_545:                            ;   in Loop: Header=BB365_11 Depth=1
	s_or_b32 exec_lo, exec_lo, s19
.LBB365_546:                            ;   in Loop: Header=BB365_11 Depth=1
	s_delay_alu instid0(SALU_CYCLE_1)
	s_or_b32 exec_lo, exec_lo, s18
.LBB365_547:                            ;   in Loop: Header=BB365_11 Depth=1
	s_delay_alu instid0(SALU_CYCLE_1)
	s_or_b32 exec_lo, exec_lo, s17
	v_dual_mov_b32 v44, 0 :: v_dual_mov_b32 v45, 0
	s_mov_b32 s17, exec_lo
	v_cmpx_lt_u32_e32 0xffffff, v30
	s_cbranch_execz .LBB365_555
; %bb.548:                              ;   in Loop: Header=BB365_11 Depth=1
	v_lshrrev_b32_e32 v46, 24, v30
	v_bfrev_b32_e32 v45, 1
	s_mov_b32 s18, exec_lo
	s_delay_alu instid0(VALU_DEP_2)
	v_cmpx_ne_u32_e32 0x80, v46
	s_cbranch_execz .LBB365_554
; %bb.549:                              ;   in Loop: Header=BB365_11 Depth=1
	v_and_b32_e32 v32, 0x7f, v46
	v_mov_b32_e32 v45, 0x7fc02000
	s_mov_b32 s19, exec_lo
	s_delay_alu instid0(VALU_DEP_2)
	v_cmpx_ne_u32_e32 0x7f, v32
	s_cbranch_execz .LBB365_553
; %bb.550:                              ;   in Loop: Header=BB365_11 Depth=1
	v_and_b32_e32 v8, 7, v46
	v_lshrrev_b32_e32 v45, 3, v32
	v_cmp_gt_u32_e64 s1, 8, v32
	s_delay_alu instid0(VALU_DEP_3) | instskip(NEXT) | instid1(VALU_DEP_2)
	v_dual_mov_b32 v33, v9 :: v_dual_mov_b32 v32, v8
	s_and_saveexec_b32 s20, s1
; %bb.551:                              ;   in Loop: Header=BB365_11 Depth=1
	v_clz_i32_u32_e32 v32, v8
	s_delay_alu instid0(VALU_DEP_1) | instskip(NEXT) | instid1(VALU_DEP_1)
	v_min_u32_e32 v45, 32, v32
	v_subrev_nc_u32_e32 v32, 28, v45
	v_sub_nc_u32_e32 v45, 29, v45
	s_delay_alu instid0(VALU_DEP_2) | instskip(NEXT) | instid1(VALU_DEP_1)
	v_lshlrev_b64 v[32:33], v32, v[8:9]
	v_and_b32_e32 v32, 7, v32
; %bb.552:                              ;   in Loop: Header=BB365_11 Depth=1
	s_or_b32 exec_lo, exec_lo, s20
	v_lshlrev_b32_e32 v8, 8, v46
	v_lshl_add_u32 v33, v45, 10, 0x2000
	s_delay_alu instid0(VALU_DEP_1) | instskip(NEXT) | instid1(VALU_DEP_1)
	v_and_or_b32 v8, 0x8000, v8, v33
	v_lshl_or_b32 v8, v32, 7, v8
	s_delay_alu instid0(VALU_DEP_1)
	v_cvt_f32_f16_e32 v45, v8
.LBB365_553:                            ;   in Loop: Header=BB365_11 Depth=1
	s_or_b32 exec_lo, exec_lo, s19
.LBB365_554:                            ;   in Loop: Header=BB365_11 Depth=1
	s_delay_alu instid0(SALU_CYCLE_1)
	s_or_b32 exec_lo, exec_lo, s18
.LBB365_555:                            ;   in Loop: Header=BB365_11 Depth=1
	s_delay_alu instid0(SALU_CYCLE_1) | instskip(SKIP_3) | instid1(VALU_DEP_2)
	s_or_b32 exec_lo, exec_lo, s17
	v_and_b32_e32 v32, 0xff, v31
	v_mov_b32_e32 v8, v31
	s_mov_b32 s17, exec_lo
	v_cmpx_ne_u16_e32 0, v32
	s_cbranch_execz .LBB365_563
; %bb.556:                              ;   in Loop: Header=BB365_11 Depth=1
	v_bfrev_b32_e32 v44, 1
	s_mov_b32 s18, exec_lo
	v_cmpx_ne_u16_e32 0x80, v32
	s_cbranch_execz .LBB365_562
; %bb.557:                              ;   in Loop: Header=BB365_11 Depth=1
	v_and_b32_e32 v32, 0x7f, v31
	v_mov_b32_e32 v44, 0x7fc02000
	s_mov_b32 s19, exec_lo
	s_delay_alu instid0(VALU_DEP_2)
	v_cmpx_ne_u32_e32 0x7f, v32
	s_cbranch_execz .LBB365_561
; %bb.558:                              ;   in Loop: Header=BB365_11 Depth=1
	v_lshrrev_b32_e32 v44, 3, v32
	v_cmp_gt_u32_e64 s1, 8, v32
	v_dual_mov_b32 v33, v9 :: v_dual_mov_b32 v32, v8
	s_delay_alu instid0(VALU_DEP_2)
	s_and_saveexec_b32 s20, s1
; %bb.559:                              ;   in Loop: Header=BB365_11 Depth=1
	v_and_b32_e32 v32, 7, v31
	s_delay_alu instid0(VALU_DEP_1) | instskip(NEXT) | instid1(VALU_DEP_1)
	v_clz_i32_u32_e32 v32, v32
	v_min_u32_e32 v44, 32, v32
	s_delay_alu instid0(VALU_DEP_1) | instskip(SKIP_1) | instid1(VALU_DEP_2)
	v_subrev_nc_u32_e32 v32, 28, v44
	v_sub_nc_u32_e32 v44, 29, v44
	v_lshlrev_b64 v[32:33], v32, v[8:9]
; %bb.560:                              ;   in Loop: Header=BB365_11 Depth=1
	s_or_b32 exec_lo, exec_lo, s20
	v_lshlrev_b32_e32 v33, 8, v31
	s_delay_alu instid0(VALU_DEP_3) | instskip(NEXT) | instid1(VALU_DEP_3)
	v_lshl_add_u32 v44, v44, 10, 0x2000
	v_lshlrev_b32_e32 v32, 7, v32
	s_delay_alu instid0(VALU_DEP_2) | instskip(NEXT) | instid1(VALU_DEP_1)
	v_and_or_b32 v33, 0x8000, v33, v44
	v_and_or_b32 v32, 0x380, v32, v33
	s_delay_alu instid0(VALU_DEP_1)
	v_cvt_f32_f16_e32 v44, v32
.LBB365_561:                            ;   in Loop: Header=BB365_11 Depth=1
	s_or_b32 exec_lo, exec_lo, s19
.LBB365_562:                            ;   in Loop: Header=BB365_11 Depth=1
	s_delay_alu instid0(SALU_CYCLE_1)
	s_or_b32 exec_lo, exec_lo, s18
.LBB365_563:                            ;   in Loop: Header=BB365_11 Depth=1
	s_delay_alu instid0(SALU_CYCLE_1) | instskip(SKIP_3) | instid1(VALU_DEP_2)
	s_or_b32 exec_lo, exec_lo, s17
	v_lshrrev_b16 v8, 8, v8
	v_dual_mov_b32 v46, 0 :: v_dual_mov_b32 v47, 0
	s_mov_b32 s17, exec_lo
	v_cmpx_ne_u16_e32 0, v8
	s_cbranch_execz .LBB365_571
; %bb.564:                              ;   in Loop: Header=BB365_11 Depth=1
	v_bfrev_b32_e32 v47, 1
	s_mov_b32 s18, exec_lo
	v_cmpx_ne_u16_e32 0x80, v8
	s_cbranch_execz .LBB365_570
; %bb.565:                              ;   in Loop: Header=BB365_11 Depth=1
	v_and_b32_e32 v56, 0xffff, v8
	v_mov_b32_e32 v47, 0x7fc02000
	s_mov_b32 s19, exec_lo
	s_delay_alu instid0(VALU_DEP_2) | instskip(NEXT) | instid1(VALU_DEP_1)
	v_and_b32_e32 v32, 0x7f, v56
	v_cmpx_ne_u32_e32 0x7f, v32
	s_cbranch_execz .LBB365_569
; %bb.566:                              ;   in Loop: Header=BB365_11 Depth=1
	v_and_b32_e32 v8, 7, v56
	v_lshrrev_b32_e32 v47, 3, v32
	v_cmp_gt_u32_e64 s1, 8, v32
	s_delay_alu instid0(VALU_DEP_3) | instskip(NEXT) | instid1(VALU_DEP_2)
	v_dual_mov_b32 v33, v9 :: v_dual_mov_b32 v32, v8
	s_and_saveexec_b32 s20, s1
; %bb.567:                              ;   in Loop: Header=BB365_11 Depth=1
	v_clz_i32_u32_e32 v32, v8
	s_delay_alu instid0(VALU_DEP_1) | instskip(NEXT) | instid1(VALU_DEP_1)
	v_min_u32_e32 v47, 32, v32
	v_subrev_nc_u32_e32 v32, 28, v47
	v_sub_nc_u32_e32 v47, 29, v47
	s_delay_alu instid0(VALU_DEP_2) | instskip(NEXT) | instid1(VALU_DEP_1)
	v_lshlrev_b64 v[32:33], v32, v[8:9]
	v_and_b32_e32 v32, 7, v32
; %bb.568:                              ;   in Loop: Header=BB365_11 Depth=1
	s_or_b32 exec_lo, exec_lo, s20
	v_lshlrev_b32_e32 v8, 8, v56
	v_lshl_add_u32 v33, v47, 10, 0x2000
	s_delay_alu instid0(VALU_DEP_1) | instskip(NEXT) | instid1(VALU_DEP_1)
	v_and_or_b32 v8, 0x8000, v8, v33
	v_lshl_or_b32 v8, v32, 7, v8
	s_delay_alu instid0(VALU_DEP_1)
	v_cvt_f32_f16_e32 v47, v8
.LBB365_569:                            ;   in Loop: Header=BB365_11 Depth=1
	s_or_b32 exec_lo, exec_lo, s19
.LBB365_570:                            ;   in Loop: Header=BB365_11 Depth=1
	s_delay_alu instid0(SALU_CYCLE_1)
	s_or_b32 exec_lo, exec_lo, s18
.LBB365_571:                            ;   in Loop: Header=BB365_11 Depth=1
	s_delay_alu instid0(SALU_CYCLE_1) | instskip(SKIP_2) | instid1(VALU_DEP_1)
	s_or_b32 exec_lo, exec_lo, s17
	v_lshrrev_b32_e32 v56, 16, v31
	s_mov_b32 s17, exec_lo
	v_and_b32_e32 v8, 0xff, v56
	s_delay_alu instid0(VALU_DEP_1)
	v_cmpx_ne_u16_e32 0, v8
	s_cbranch_execz .LBB365_579
; %bb.572:                              ;   in Loop: Header=BB365_11 Depth=1
	v_bfrev_b32_e32 v46, 1
	s_mov_b32 s18, exec_lo
	v_cmpx_ne_u16_e32 0x80, v8
	s_cbranch_execz .LBB365_578
; %bb.573:                              ;   in Loop: Header=BB365_11 Depth=1
	v_bfe_u32 v32, v31, 16, 7
	v_mov_b32_e32 v46, 0x7fc02000
	s_mov_b32 s19, exec_lo
	s_delay_alu instid0(VALU_DEP_2)
	v_cmpx_ne_u32_e32 0x7f, v32
	s_cbranch_execz .LBB365_577
; %bb.574:                              ;   in Loop: Header=BB365_11 Depth=1
	v_and_b32_e32 v8, 7, v56
	v_lshrrev_b32_e32 v46, 3, v32
	v_cmp_gt_u32_e64 s1, 8, v32
	s_delay_alu instid0(VALU_DEP_3) | instskip(NEXT) | instid1(VALU_DEP_2)
	v_dual_mov_b32 v33, v9 :: v_dual_mov_b32 v32, v8
	s_and_saveexec_b32 s20, s1
; %bb.575:                              ;   in Loop: Header=BB365_11 Depth=1
	v_clz_i32_u32_e32 v32, v8
	s_delay_alu instid0(VALU_DEP_1) | instskip(NEXT) | instid1(VALU_DEP_1)
	v_min_u32_e32 v46, 32, v32
	v_subrev_nc_u32_e32 v32, 28, v46
	v_sub_nc_u32_e32 v46, 29, v46
	s_delay_alu instid0(VALU_DEP_2) | instskip(NEXT) | instid1(VALU_DEP_1)
	v_lshlrev_b64 v[32:33], v32, v[8:9]
	v_and_b32_e32 v32, 7, v32
; %bb.576:                              ;   in Loop: Header=BB365_11 Depth=1
	s_or_b32 exec_lo, exec_lo, s20
	v_lshlrev_b32_e32 v8, 8, v56
	v_lshl_add_u32 v33, v46, 10, 0x2000
	s_delay_alu instid0(VALU_DEP_1) | instskip(NEXT) | instid1(VALU_DEP_1)
	v_and_or_b32 v8, 0x8000, v8, v33
	v_lshl_or_b32 v8, v32, 7, v8
	s_delay_alu instid0(VALU_DEP_1)
	v_cvt_f32_f16_e32 v46, v8
.LBB365_577:                            ;   in Loop: Header=BB365_11 Depth=1
	s_or_b32 exec_lo, exec_lo, s19
.LBB365_578:                            ;   in Loop: Header=BB365_11 Depth=1
	s_delay_alu instid0(SALU_CYCLE_1)
	s_or_b32 exec_lo, exec_lo, s18
.LBB365_579:                            ;   in Loop: Header=BB365_11 Depth=1
	s_delay_alu instid0(SALU_CYCLE_1)
	s_or_b32 exec_lo, exec_lo, s17
	v_mov_b32_e32 v60, 0
	v_mov_b32_e32 v58, 0
	s_mov_b32 s17, exec_lo
	v_cmpx_lt_u64_e64 s[2:3], v[30:31]
	s_cbranch_execz .LBB365_587
; %bb.580:                              ;   in Loop: Header=BB365_11 Depth=1
	v_lshrrev_b32_e32 v32, 24, v31
	v_bfrev_b32_e32 v58, 1
	s_mov_b32 s18, exec_lo
	s_delay_alu instid0(VALU_DEP_2)
	v_cmpx_ne_u32_e32 0x80, v32
	s_cbranch_execz .LBB365_586
; %bb.581:                              ;   in Loop: Header=BB365_11 Depth=1
	v_and_b32_e32 v30, 0x7f, v32
	v_mov_b32_e32 v58, 0x7fc02000
	s_mov_b32 s19, exec_lo
	s_delay_alu instid0(VALU_DEP_2)
	v_cmpx_ne_u32_e32 0x7f, v30
	s_cbranch_execz .LBB365_585
; %bb.582:                              ;   in Loop: Header=BB365_11 Depth=1
	v_and_b32_e32 v8, 7, v32
	v_lshrrev_b32_e32 v33, 3, v30
	v_cmp_gt_u32_e64 s1, 8, v30
	s_delay_alu instid0(VALU_DEP_3) | instskip(NEXT) | instid1(VALU_DEP_2)
	v_dual_mov_b32 v31, v9 :: v_dual_mov_b32 v30, v8
	s_and_saveexec_b32 s20, s1
; %bb.583:                              ;   in Loop: Header=BB365_11 Depth=1
	v_clz_i32_u32_e32 v30, v8
	s_delay_alu instid0(VALU_DEP_1) | instskip(NEXT) | instid1(VALU_DEP_1)
	v_min_u32_e32 v33, 32, v30
	v_subrev_nc_u32_e32 v30, 28, v33
	v_sub_nc_u32_e32 v33, 29, v33
	s_delay_alu instid0(VALU_DEP_2) | instskip(NEXT) | instid1(VALU_DEP_1)
	v_lshlrev_b64 v[30:31], v30, v[8:9]
	v_and_b32_e32 v30, 7, v30
; %bb.584:                              ;   in Loop: Header=BB365_11 Depth=1
	s_or_b32 exec_lo, exec_lo, s20
	v_lshlrev_b32_e32 v8, 8, v32
	v_lshl_add_u32 v31, v33, 10, 0x2000
	s_delay_alu instid0(VALU_DEP_1) | instskip(NEXT) | instid1(VALU_DEP_1)
	v_and_or_b32 v8, 0x8000, v8, v31
	v_lshl_or_b32 v8, v30, 7, v8
	s_delay_alu instid0(VALU_DEP_1)
	v_cvt_f32_f16_e32 v58, v8
.LBB365_585:                            ;   in Loop: Header=BB365_11 Depth=1
	s_or_b32 exec_lo, exec_lo, s19
.LBB365_586:                            ;   in Loop: Header=BB365_11 Depth=1
	s_delay_alu instid0(SALU_CYCLE_1)
	s_or_b32 exec_lo, exec_lo, s18
.LBB365_587:                            ;   in Loop: Header=BB365_11 Depth=1
	s_delay_alu instid0(SALU_CYCLE_1) | instskip(SKIP_4) | instid1(VALU_DEP_1)
	s_or_b32 exec_lo, exec_lo, s17
	flat_load_b64 v[30:31], v[28:29] offset:2056
	s_mov_b32 s17, exec_lo
	s_waitcnt vmcnt(0) lgkmcnt(0)
	v_and_b32_e32 v8, 0xff, v30
	v_cmpx_ne_u16_e32 0, v8
	s_cbranch_execz .LBB365_595
; %bb.588:                              ;   in Loop: Header=BB365_11 Depth=1
	v_bfrev_b32_e32 v60, 1
	s_mov_b32 s18, exec_lo
	v_cmpx_ne_u16_e32 0x80, v8
	s_cbranch_execz .LBB365_594
; %bb.589:                              ;   in Loop: Header=BB365_11 Depth=1
	v_and_b32_e32 v32, 0x7f, v30
	v_mov_b32_e32 v60, 0x7fc02000
	s_mov_b32 s19, exec_lo
	s_delay_alu instid0(VALU_DEP_2)
	v_cmpx_ne_u32_e32 0x7f, v32
	s_cbranch_execz .LBB365_593
; %bb.590:                              ;   in Loop: Header=BB365_11 Depth=1
	v_lshrrev_b32_e32 v8, 3, v32
	v_cmp_gt_u32_e64 s1, 8, v32
	v_dual_mov_b32 v33, v31 :: v_dual_mov_b32 v32, v30
	s_delay_alu instid0(VALU_DEP_2)
	s_and_saveexec_b32 s20, s1
; %bb.591:                              ;   in Loop: Header=BB365_11 Depth=1
	v_and_b32_e32 v8, 7, v30
	s_delay_alu instid0(VALU_DEP_1) | instskip(NEXT) | instid1(VALU_DEP_1)
	v_clz_i32_u32_e32 v8, v8
	v_min_u32_e32 v8, 32, v8
	s_delay_alu instid0(VALU_DEP_1) | instskip(SKIP_1) | instid1(VALU_DEP_2)
	v_subrev_nc_u32_e32 v32, 28, v8
	v_sub_nc_u32_e32 v8, 29, v8
	v_lshlrev_b64 v[32:33], v32, v[30:31]
; %bb.592:                              ;   in Loop: Header=BB365_11 Depth=1
	s_or_b32 exec_lo, exec_lo, s20
	v_lshlrev_b32_e32 v33, 8, v30
	s_delay_alu instid0(VALU_DEP_3) | instskip(NEXT) | instid1(VALU_DEP_3)
	v_lshl_add_u32 v8, v8, 10, 0x2000
	v_lshlrev_b32_e32 v32, 7, v32
	s_delay_alu instid0(VALU_DEP_2) | instskip(NEXT) | instid1(VALU_DEP_1)
	v_and_or_b32 v8, 0x8000, v33, v8
	v_and_or_b32 v8, 0x380, v32, v8
	s_delay_alu instid0(VALU_DEP_1)
	v_cvt_f32_f16_e32 v60, v8
.LBB365_593:                            ;   in Loop: Header=BB365_11 Depth=1
	s_or_b32 exec_lo, exec_lo, s19
.LBB365_594:                            ;   in Loop: Header=BB365_11 Depth=1
	s_delay_alu instid0(SALU_CYCLE_1)
	s_or_b32 exec_lo, exec_lo, s18
.LBB365_595:                            ;   in Loop: Header=BB365_11 Depth=1
	s_delay_alu instid0(SALU_CYCLE_1) | instskip(SKIP_3) | instid1(VALU_DEP_2)
	s_or_b32 exec_lo, exec_lo, s17
	v_lshrrev_b16 v8, 8, v30
	v_dual_mov_b32 v74, 0 :: v_dual_mov_b32 v75, 0
	s_mov_b32 s17, exec_lo
	v_cmpx_ne_u16_e32 0, v8
	s_cbranch_execz .LBB365_603
; %bb.596:                              ;   in Loop: Header=BB365_11 Depth=1
	v_bfrev_b32_e32 v75, 1
	s_mov_b32 s18, exec_lo
	v_cmpx_ne_u16_e32 0x80, v8
	s_cbranch_execz .LBB365_602
; %bb.597:                              ;   in Loop: Header=BB365_11 Depth=1
	v_and_b32_e32 v56, 0xffff, v8
	v_mov_b32_e32 v75, 0x7fc02000
	s_mov_b32 s19, exec_lo
	s_delay_alu instid0(VALU_DEP_2) | instskip(NEXT) | instid1(VALU_DEP_1)
	v_and_b32_e32 v32, 0x7f, v56
	v_cmpx_ne_u32_e32 0x7f, v32
	s_cbranch_execz .LBB365_601
; %bb.598:                              ;   in Loop: Header=BB365_11 Depth=1
	v_and_b32_e32 v8, 7, v56
	v_lshrrev_b32_e32 v57, 3, v32
	v_cmp_gt_u32_e64 s1, 8, v32
	s_delay_alu instid0(VALU_DEP_3) | instskip(NEXT) | instid1(VALU_DEP_2)
	v_dual_mov_b32 v33, v9 :: v_dual_mov_b32 v32, v8
	s_and_saveexec_b32 s20, s1
; %bb.599:                              ;   in Loop: Header=BB365_11 Depth=1
	v_clz_i32_u32_e32 v32, v8
	s_delay_alu instid0(VALU_DEP_1) | instskip(NEXT) | instid1(VALU_DEP_1)
	v_min_u32_e32 v57, 32, v32
	v_subrev_nc_u32_e32 v32, 28, v57
	v_sub_nc_u32_e32 v57, 29, v57
	s_delay_alu instid0(VALU_DEP_2) | instskip(NEXT) | instid1(VALU_DEP_1)
	v_lshlrev_b64 v[32:33], v32, v[8:9]
	v_and_b32_e32 v32, 7, v32
; %bb.600:                              ;   in Loop: Header=BB365_11 Depth=1
	s_or_b32 exec_lo, exec_lo, s20
	v_lshlrev_b32_e32 v8, 8, v56
	v_lshl_add_u32 v33, v57, 10, 0x2000
	s_delay_alu instid0(VALU_DEP_1) | instskip(NEXT) | instid1(VALU_DEP_1)
	v_and_or_b32 v8, 0x8000, v8, v33
	v_lshl_or_b32 v8, v32, 7, v8
	s_delay_alu instid0(VALU_DEP_1)
	v_cvt_f32_f16_e32 v75, v8
.LBB365_601:                            ;   in Loop: Header=BB365_11 Depth=1
	s_or_b32 exec_lo, exec_lo, s19
.LBB365_602:                            ;   in Loop: Header=BB365_11 Depth=1
	s_delay_alu instid0(SALU_CYCLE_1)
	s_or_b32 exec_lo, exec_lo, s18
.LBB365_603:                            ;   in Loop: Header=BB365_11 Depth=1
	s_delay_alu instid0(SALU_CYCLE_1) | instskip(SKIP_2) | instid1(VALU_DEP_1)
	s_or_b32 exec_lo, exec_lo, s17
	v_lshrrev_b32_e32 v56, 16, v30
	s_mov_b32 s17, exec_lo
	v_and_b32_e32 v8, 0xff, v56
	s_delay_alu instid0(VALU_DEP_1)
	v_cmpx_ne_u16_e32 0, v8
	s_cbranch_execz .LBB365_611
; %bb.604:                              ;   in Loop: Header=BB365_11 Depth=1
	v_bfrev_b32_e32 v74, 1
	s_mov_b32 s18, exec_lo
	v_cmpx_ne_u16_e32 0x80, v8
	s_cbranch_execz .LBB365_610
; %bb.605:                              ;   in Loop: Header=BB365_11 Depth=1
	v_bfe_u32 v32, v30, 16, 7
	v_mov_b32_e32 v74, 0x7fc02000
	s_mov_b32 s19, exec_lo
	s_delay_alu instid0(VALU_DEP_2)
	v_cmpx_ne_u32_e32 0x7f, v32
	s_cbranch_execz .LBB365_609
; %bb.606:                              ;   in Loop: Header=BB365_11 Depth=1
	v_and_b32_e32 v8, 7, v56
	v_lshrrev_b32_e32 v57, 3, v32
	v_cmp_gt_u32_e64 s1, 8, v32
	s_delay_alu instid0(VALU_DEP_3) | instskip(NEXT) | instid1(VALU_DEP_2)
	v_dual_mov_b32 v33, v9 :: v_dual_mov_b32 v32, v8
	s_and_saveexec_b32 s20, s1
; %bb.607:                              ;   in Loop: Header=BB365_11 Depth=1
	v_clz_i32_u32_e32 v32, v8
	s_delay_alu instid0(VALU_DEP_1) | instskip(NEXT) | instid1(VALU_DEP_1)
	v_min_u32_e32 v57, 32, v32
	v_subrev_nc_u32_e32 v32, 28, v57
	v_sub_nc_u32_e32 v57, 29, v57
	s_delay_alu instid0(VALU_DEP_2) | instskip(NEXT) | instid1(VALU_DEP_1)
	v_lshlrev_b64 v[32:33], v32, v[8:9]
	v_and_b32_e32 v32, 7, v32
; %bb.608:                              ;   in Loop: Header=BB365_11 Depth=1
	s_or_b32 exec_lo, exec_lo, s20
	v_lshlrev_b32_e32 v8, 8, v56
	v_lshl_add_u32 v33, v57, 10, 0x2000
	s_delay_alu instid0(VALU_DEP_1) | instskip(NEXT) | instid1(VALU_DEP_1)
	v_and_or_b32 v8, 0x8000, v8, v33
	v_lshl_or_b32 v8, v32, 7, v8
	s_delay_alu instid0(VALU_DEP_1)
	v_cvt_f32_f16_e32 v74, v8
.LBB365_609:                            ;   in Loop: Header=BB365_11 Depth=1
	s_or_b32 exec_lo, exec_lo, s19
.LBB365_610:                            ;   in Loop: Header=BB365_11 Depth=1
	s_delay_alu instid0(SALU_CYCLE_1)
	s_or_b32 exec_lo, exec_lo, s18
.LBB365_611:                            ;   in Loop: Header=BB365_11 Depth=1
	s_delay_alu instid0(SALU_CYCLE_1)
	s_or_b32 exec_lo, exec_lo, s17
	v_dual_mov_b32 v90, 0 :: v_dual_mov_b32 v91, 0
	s_mov_b32 s17, exec_lo
	v_cmpx_lt_u32_e32 0xffffff, v30
	s_cbranch_execz .LBB365_619
; %bb.612:                              ;   in Loop: Header=BB365_11 Depth=1
	v_lshrrev_b32_e32 v56, 24, v30
	v_bfrev_b32_e32 v91, 1
	s_mov_b32 s18, exec_lo
	s_delay_alu instid0(VALU_DEP_2)
	v_cmpx_ne_u32_e32 0x80, v56
	s_cbranch_execz .LBB365_618
; %bb.613:                              ;   in Loop: Header=BB365_11 Depth=1
	v_and_b32_e32 v32, 0x7f, v56
	v_mov_b32_e32 v91, 0x7fc02000
	s_mov_b32 s19, exec_lo
	s_delay_alu instid0(VALU_DEP_2)
	v_cmpx_ne_u32_e32 0x7f, v32
	s_cbranch_execz .LBB365_617
; %bb.614:                              ;   in Loop: Header=BB365_11 Depth=1
	v_and_b32_e32 v8, 7, v56
	v_lshrrev_b32_e32 v57, 3, v32
	v_cmp_gt_u32_e64 s1, 8, v32
	s_delay_alu instid0(VALU_DEP_3) | instskip(NEXT) | instid1(VALU_DEP_2)
	v_dual_mov_b32 v33, v9 :: v_dual_mov_b32 v32, v8
	s_and_saveexec_b32 s20, s1
; %bb.615:                              ;   in Loop: Header=BB365_11 Depth=1
	v_clz_i32_u32_e32 v32, v8
	s_delay_alu instid0(VALU_DEP_1) | instskip(NEXT) | instid1(VALU_DEP_1)
	v_min_u32_e32 v57, 32, v32
	v_subrev_nc_u32_e32 v32, 28, v57
	v_sub_nc_u32_e32 v57, 29, v57
	s_delay_alu instid0(VALU_DEP_2) | instskip(NEXT) | instid1(VALU_DEP_1)
	v_lshlrev_b64 v[32:33], v32, v[8:9]
	v_and_b32_e32 v32, 7, v32
; %bb.616:                              ;   in Loop: Header=BB365_11 Depth=1
	s_or_b32 exec_lo, exec_lo, s20
	v_lshlrev_b32_e32 v8, 8, v56
	v_lshl_add_u32 v33, v57, 10, 0x2000
	s_delay_alu instid0(VALU_DEP_1) | instskip(NEXT) | instid1(VALU_DEP_1)
	v_and_or_b32 v8, 0x8000, v8, v33
	v_lshl_or_b32 v8, v32, 7, v8
	s_delay_alu instid0(VALU_DEP_1)
	v_cvt_f32_f16_e32 v91, v8
.LBB365_617:                            ;   in Loop: Header=BB365_11 Depth=1
	s_or_b32 exec_lo, exec_lo, s19
.LBB365_618:                            ;   in Loop: Header=BB365_11 Depth=1
	s_delay_alu instid0(SALU_CYCLE_1)
	s_or_b32 exec_lo, exec_lo, s18
.LBB365_619:                            ;   in Loop: Header=BB365_11 Depth=1
	s_delay_alu instid0(SALU_CYCLE_1) | instskip(SKIP_3) | instid1(VALU_DEP_2)
	s_or_b32 exec_lo, exec_lo, s17
	v_and_b32_e32 v32, 0xff, v31
	v_mov_b32_e32 v8, v31
	s_mov_b32 s17, exec_lo
	v_cmpx_ne_u16_e32 0, v32
	s_cbranch_execz .LBB365_627
; %bb.620:                              ;   in Loop: Header=BB365_11 Depth=1
	v_bfrev_b32_e32 v90, 1
	s_mov_b32 s18, exec_lo
	v_cmpx_ne_u16_e32 0x80, v32
	s_cbranch_execz .LBB365_626
; %bb.621:                              ;   in Loop: Header=BB365_11 Depth=1
	v_and_b32_e32 v32, 0x7f, v31
	v_mov_b32_e32 v90, 0x7fc02000
	s_mov_b32 s19, exec_lo
	s_delay_alu instid0(VALU_DEP_2)
	v_cmpx_ne_u32_e32 0x7f, v32
	s_cbranch_execz .LBB365_625
; %bb.622:                              ;   in Loop: Header=BB365_11 Depth=1
	v_lshrrev_b32_e32 v56, 3, v32
	v_cmp_gt_u32_e64 s1, 8, v32
	v_dual_mov_b32 v33, v9 :: v_dual_mov_b32 v32, v8
	s_delay_alu instid0(VALU_DEP_2)
	s_and_saveexec_b32 s20, s1
; %bb.623:                              ;   in Loop: Header=BB365_11 Depth=1
	v_and_b32_e32 v32, 7, v31
	s_delay_alu instid0(VALU_DEP_1) | instskip(NEXT) | instid1(VALU_DEP_1)
	v_clz_i32_u32_e32 v32, v32
	v_min_u32_e32 v56, 32, v32
	s_delay_alu instid0(VALU_DEP_1) | instskip(SKIP_1) | instid1(VALU_DEP_2)
	v_subrev_nc_u32_e32 v32, 28, v56
	v_sub_nc_u32_e32 v56, 29, v56
	v_lshlrev_b64 v[32:33], v32, v[8:9]
; %bb.624:                              ;   in Loop: Header=BB365_11 Depth=1
	s_or_b32 exec_lo, exec_lo, s20
	v_lshlrev_b32_e32 v33, 8, v31
	s_delay_alu instid0(VALU_DEP_3) | instskip(NEXT) | instid1(VALU_DEP_3)
	v_lshl_add_u32 v56, v56, 10, 0x2000
	v_lshlrev_b32_e32 v32, 7, v32
	s_delay_alu instid0(VALU_DEP_2) | instskip(NEXT) | instid1(VALU_DEP_1)
	v_and_or_b32 v33, 0x8000, v33, v56
	v_and_or_b32 v32, 0x380, v32, v33
	s_delay_alu instid0(VALU_DEP_1)
	v_cvt_f32_f16_e32 v90, v32
.LBB365_625:                            ;   in Loop: Header=BB365_11 Depth=1
	s_or_b32 exec_lo, exec_lo, s19
.LBB365_626:                            ;   in Loop: Header=BB365_11 Depth=1
	s_delay_alu instid0(SALU_CYCLE_1)
	s_or_b32 exec_lo, exec_lo, s18
.LBB365_627:                            ;   in Loop: Header=BB365_11 Depth=1
	s_delay_alu instid0(SALU_CYCLE_1) | instskip(SKIP_4) | instid1(VALU_DEP_3)
	s_or_b32 exec_lo, exec_lo, s17
	v_lshrrev_b16 v8, 8, v8
	v_mov_b32_e32 v104, 0
	v_mov_b32_e32 v106, 0
	s_mov_b32 s17, exec_lo
	v_cmpx_ne_u16_e32 0, v8
	s_cbranch_execz .LBB365_635
; %bb.628:                              ;   in Loop: Header=BB365_11 Depth=1
	v_bfrev_b32_e32 v106, 1
	s_mov_b32 s18, exec_lo
	v_cmpx_ne_u16_e32 0x80, v8
	s_cbranch_execz .LBB365_634
; %bb.629:                              ;   in Loop: Header=BB365_11 Depth=1
	v_and_b32_e32 v56, 0xffff, v8
	v_mov_b32_e32 v106, 0x7fc02000
	s_mov_b32 s19, exec_lo
	s_delay_alu instid0(VALU_DEP_2) | instskip(NEXT) | instid1(VALU_DEP_1)
	v_and_b32_e32 v32, 0x7f, v56
	v_cmpx_ne_u32_e32 0x7f, v32
	s_cbranch_execz .LBB365_633
; %bb.630:                              ;   in Loop: Header=BB365_11 Depth=1
	v_and_b32_e32 v8, 7, v56
	v_lshrrev_b32_e32 v57, 3, v32
	v_cmp_gt_u32_e64 s1, 8, v32
	s_delay_alu instid0(VALU_DEP_3) | instskip(NEXT) | instid1(VALU_DEP_2)
	v_dual_mov_b32 v33, v9 :: v_dual_mov_b32 v32, v8
	s_and_saveexec_b32 s20, s1
; %bb.631:                              ;   in Loop: Header=BB365_11 Depth=1
	v_clz_i32_u32_e32 v32, v8
	s_delay_alu instid0(VALU_DEP_1) | instskip(NEXT) | instid1(VALU_DEP_1)
	v_min_u32_e32 v57, 32, v32
	v_subrev_nc_u32_e32 v32, 28, v57
	v_sub_nc_u32_e32 v57, 29, v57
	s_delay_alu instid0(VALU_DEP_2) | instskip(NEXT) | instid1(VALU_DEP_1)
	v_lshlrev_b64 v[32:33], v32, v[8:9]
	v_and_b32_e32 v32, 7, v32
; %bb.632:                              ;   in Loop: Header=BB365_11 Depth=1
	s_or_b32 exec_lo, exec_lo, s20
	v_lshlrev_b32_e32 v8, 8, v56
	v_lshl_add_u32 v33, v57, 10, 0x2000
	s_delay_alu instid0(VALU_DEP_1) | instskip(NEXT) | instid1(VALU_DEP_1)
	v_and_or_b32 v8, 0x8000, v8, v33
	v_lshl_or_b32 v8, v32, 7, v8
	s_delay_alu instid0(VALU_DEP_1)
	v_cvt_f32_f16_e32 v106, v8
.LBB365_633:                            ;   in Loop: Header=BB365_11 Depth=1
	s_or_b32 exec_lo, exec_lo, s19
.LBB365_634:                            ;   in Loop: Header=BB365_11 Depth=1
	s_delay_alu instid0(SALU_CYCLE_1)
	s_or_b32 exec_lo, exec_lo, s18
.LBB365_635:                            ;   in Loop: Header=BB365_11 Depth=1
	s_delay_alu instid0(SALU_CYCLE_1) | instskip(SKIP_2) | instid1(VALU_DEP_1)
	s_or_b32 exec_lo, exec_lo, s17
	v_lshrrev_b32_e32 v56, 16, v31
	s_mov_b32 s17, exec_lo
	v_and_b32_e32 v8, 0xff, v56
	s_delay_alu instid0(VALU_DEP_1)
	v_cmpx_ne_u16_e32 0, v8
	s_cbranch_execz .LBB365_643
; %bb.636:                              ;   in Loop: Header=BB365_11 Depth=1
	v_bfrev_b32_e32 v104, 1
	s_mov_b32 s18, exec_lo
	v_cmpx_ne_u16_e32 0x80, v8
	s_cbranch_execz .LBB365_642
; %bb.637:                              ;   in Loop: Header=BB365_11 Depth=1
	v_bfe_u32 v32, v31, 16, 7
	v_mov_b32_e32 v104, 0x7fc02000
	s_mov_b32 s19, exec_lo
	s_delay_alu instid0(VALU_DEP_2)
	v_cmpx_ne_u32_e32 0x7f, v32
	s_cbranch_execz .LBB365_641
; %bb.638:                              ;   in Loop: Header=BB365_11 Depth=1
	v_and_b32_e32 v8, 7, v56
	v_lshrrev_b32_e32 v57, 3, v32
	v_cmp_gt_u32_e64 s1, 8, v32
	s_delay_alu instid0(VALU_DEP_3) | instskip(NEXT) | instid1(VALU_DEP_2)
	v_dual_mov_b32 v33, v9 :: v_dual_mov_b32 v32, v8
	s_and_saveexec_b32 s20, s1
; %bb.639:                              ;   in Loop: Header=BB365_11 Depth=1
	v_clz_i32_u32_e32 v32, v8
	s_delay_alu instid0(VALU_DEP_1) | instskip(NEXT) | instid1(VALU_DEP_1)
	v_min_u32_e32 v57, 32, v32
	v_subrev_nc_u32_e32 v32, 28, v57
	v_sub_nc_u32_e32 v57, 29, v57
	s_delay_alu instid0(VALU_DEP_2) | instskip(NEXT) | instid1(VALU_DEP_1)
	v_lshlrev_b64 v[32:33], v32, v[8:9]
	v_and_b32_e32 v32, 7, v32
; %bb.640:                              ;   in Loop: Header=BB365_11 Depth=1
	s_or_b32 exec_lo, exec_lo, s20
	v_lshlrev_b32_e32 v8, 8, v56
	v_lshl_add_u32 v33, v57, 10, 0x2000
	s_delay_alu instid0(VALU_DEP_1) | instskip(NEXT) | instid1(VALU_DEP_1)
	v_and_or_b32 v8, 0x8000, v8, v33
	v_lshl_or_b32 v8, v32, 7, v8
	s_delay_alu instid0(VALU_DEP_1)
	v_cvt_f32_f16_e32 v104, v8
.LBB365_641:                            ;   in Loop: Header=BB365_11 Depth=1
	s_or_b32 exec_lo, exec_lo, s19
.LBB365_642:                            ;   in Loop: Header=BB365_11 Depth=1
	s_delay_alu instid0(SALU_CYCLE_1)
	s_or_b32 exec_lo, exec_lo, s18
.LBB365_643:                            ;   in Loop: Header=BB365_11 Depth=1
	s_delay_alu instid0(SALU_CYCLE_1)
	s_or_b32 exec_lo, exec_lo, s17
	v_mov_b32_e32 v92, 0
	v_mov_b32_e32 v110, 0
	s_mov_b32 s17, exec_lo
	v_cmpx_lt_u64_e64 s[2:3], v[30:31]
	s_cbranch_execz .LBB365_651
; %bb.644:                              ;   in Loop: Header=BB365_11 Depth=1
	v_lshrrev_b32_e32 v32, 24, v31
	v_bfrev_b32_e32 v110, 1
	s_mov_b32 s18, exec_lo
	s_delay_alu instid0(VALU_DEP_2)
	v_cmpx_ne_u32_e32 0x80, v32
	s_cbranch_execz .LBB365_650
; %bb.645:                              ;   in Loop: Header=BB365_11 Depth=1
	v_and_b32_e32 v30, 0x7f, v32
	v_mov_b32_e32 v110, 0x7fc02000
	s_mov_b32 s19, exec_lo
	s_delay_alu instid0(VALU_DEP_2)
	v_cmpx_ne_u32_e32 0x7f, v30
	s_cbranch_execz .LBB365_649
; %bb.646:                              ;   in Loop: Header=BB365_11 Depth=1
	v_and_b32_e32 v8, 7, v32
	v_lshrrev_b32_e32 v33, 3, v30
	v_cmp_gt_u32_e64 s1, 8, v30
	s_delay_alu instid0(VALU_DEP_3) | instskip(NEXT) | instid1(VALU_DEP_2)
	v_dual_mov_b32 v31, v9 :: v_dual_mov_b32 v30, v8
	s_and_saveexec_b32 s20, s1
; %bb.647:                              ;   in Loop: Header=BB365_11 Depth=1
	v_clz_i32_u32_e32 v30, v8
	s_delay_alu instid0(VALU_DEP_1) | instskip(NEXT) | instid1(VALU_DEP_1)
	v_min_u32_e32 v33, 32, v30
	v_subrev_nc_u32_e32 v30, 28, v33
	v_sub_nc_u32_e32 v33, 29, v33
	s_delay_alu instid0(VALU_DEP_2) | instskip(NEXT) | instid1(VALU_DEP_1)
	v_lshlrev_b64 v[30:31], v30, v[8:9]
	v_and_b32_e32 v30, 7, v30
; %bb.648:                              ;   in Loop: Header=BB365_11 Depth=1
	s_or_b32 exec_lo, exec_lo, s20
	v_lshlrev_b32_e32 v8, 8, v32
	v_lshl_add_u32 v31, v33, 10, 0x2000
	s_delay_alu instid0(VALU_DEP_1) | instskip(NEXT) | instid1(VALU_DEP_1)
	v_and_or_b32 v8, 0x8000, v8, v31
	v_lshl_or_b32 v8, v30, 7, v8
	s_delay_alu instid0(VALU_DEP_1)
	v_cvt_f32_f16_e32 v110, v8
.LBB365_649:                            ;   in Loop: Header=BB365_11 Depth=1
	s_or_b32 exec_lo, exec_lo, s19
.LBB365_650:                            ;   in Loop: Header=BB365_11 Depth=1
	s_delay_alu instid0(SALU_CYCLE_1)
	s_or_b32 exec_lo, exec_lo, s18
.LBB365_651:                            ;   in Loop: Header=BB365_11 Depth=1
	s_delay_alu instid0(SALU_CYCLE_1) | instskip(SKIP_4) | instid1(VALU_DEP_1)
	s_or_b32 exec_lo, exec_lo, s17
	flat_load_b64 v[30:31], v[28:29] offset:2560
	s_mov_b32 s17, exec_lo
	s_waitcnt vmcnt(0) lgkmcnt(0)
	v_and_b32_e32 v8, 0xff, v30
	v_cmpx_ne_u16_e32 0, v8
	s_cbranch_execz .LBB365_659
; %bb.652:                              ;   in Loop: Header=BB365_11 Depth=1
	v_bfrev_b32_e32 v92, 1
	s_mov_b32 s18, exec_lo
	v_cmpx_ne_u16_e32 0x80, v8
	s_cbranch_execz .LBB365_658
; %bb.653:                              ;   in Loop: Header=BB365_11 Depth=1
	v_and_b32_e32 v32, 0x7f, v30
	v_mov_b32_e32 v92, 0x7fc02000
	s_mov_b32 s19, exec_lo
	s_delay_alu instid0(VALU_DEP_2)
	v_cmpx_ne_u32_e32 0x7f, v32
	s_cbranch_execz .LBB365_657
; %bb.654:                              ;   in Loop: Header=BB365_11 Depth=1
	v_lshrrev_b32_e32 v8, 3, v32
	v_cmp_gt_u32_e64 s1, 8, v32
	v_dual_mov_b32 v33, v31 :: v_dual_mov_b32 v32, v30
	s_delay_alu instid0(VALU_DEP_2)
	s_and_saveexec_b32 s20, s1
; %bb.655:                              ;   in Loop: Header=BB365_11 Depth=1
	v_and_b32_e32 v8, 7, v30
	s_delay_alu instid0(VALU_DEP_1) | instskip(NEXT) | instid1(VALU_DEP_1)
	v_clz_i32_u32_e32 v8, v8
	v_min_u32_e32 v8, 32, v8
	s_delay_alu instid0(VALU_DEP_1) | instskip(SKIP_1) | instid1(VALU_DEP_2)
	v_subrev_nc_u32_e32 v32, 28, v8
	v_sub_nc_u32_e32 v8, 29, v8
	v_lshlrev_b64 v[32:33], v32, v[30:31]
; %bb.656:                              ;   in Loop: Header=BB365_11 Depth=1
	s_or_b32 exec_lo, exec_lo, s20
	v_lshlrev_b32_e32 v33, 8, v30
	s_delay_alu instid0(VALU_DEP_3) | instskip(NEXT) | instid1(VALU_DEP_3)
	v_lshl_add_u32 v8, v8, 10, 0x2000
	v_lshlrev_b32_e32 v32, 7, v32
	s_delay_alu instid0(VALU_DEP_2) | instskip(NEXT) | instid1(VALU_DEP_1)
	v_and_or_b32 v8, 0x8000, v33, v8
	v_and_or_b32 v8, 0x380, v32, v8
	s_delay_alu instid0(VALU_DEP_1)
	v_cvt_f32_f16_e32 v92, v8
.LBB365_657:                            ;   in Loop: Header=BB365_11 Depth=1
	s_or_b32 exec_lo, exec_lo, s19
.LBB365_658:                            ;   in Loop: Header=BB365_11 Depth=1
	s_delay_alu instid0(SALU_CYCLE_1)
	s_or_b32 exec_lo, exec_lo, s18
.LBB365_659:                            ;   in Loop: Header=BB365_11 Depth=1
	s_delay_alu instid0(SALU_CYCLE_1) | instskip(SKIP_3) | instid1(VALU_DEP_2)
	s_or_b32 exec_lo, exec_lo, s17
	v_lshrrev_b16 v8, 8, v30
	v_dual_mov_b32 v93, 0 :: v_dual_mov_b32 v94, 0
	s_mov_b32 s17, exec_lo
	v_cmpx_ne_u16_e32 0, v8
	s_cbranch_execz .LBB365_667
; %bb.660:                              ;   in Loop: Header=BB365_11 Depth=1
	v_bfrev_b32_e32 v94, 1
	s_mov_b32 s18, exec_lo
	v_cmpx_ne_u16_e32 0x80, v8
	s_cbranch_execz .LBB365_666
; %bb.661:                              ;   in Loop: Header=BB365_11 Depth=1
	v_and_b32_e32 v56, 0xffff, v8
	v_mov_b32_e32 v94, 0x7fc02000
	s_mov_b32 s19, exec_lo
	s_delay_alu instid0(VALU_DEP_2) | instskip(NEXT) | instid1(VALU_DEP_1)
	v_and_b32_e32 v32, 0x7f, v56
	v_cmpx_ne_u32_e32 0x7f, v32
	s_cbranch_execz .LBB365_665
; %bb.662:                              ;   in Loop: Header=BB365_11 Depth=1
	v_and_b32_e32 v8, 7, v56
	v_lshrrev_b32_e32 v57, 3, v32
	v_cmp_gt_u32_e64 s1, 8, v32
	s_delay_alu instid0(VALU_DEP_3) | instskip(NEXT) | instid1(VALU_DEP_2)
	v_dual_mov_b32 v33, v9 :: v_dual_mov_b32 v32, v8
	s_and_saveexec_b32 s20, s1
; %bb.663:                              ;   in Loop: Header=BB365_11 Depth=1
	v_clz_i32_u32_e32 v32, v8
	s_delay_alu instid0(VALU_DEP_1) | instskip(NEXT) | instid1(VALU_DEP_1)
	v_min_u32_e32 v57, 32, v32
	v_subrev_nc_u32_e32 v32, 28, v57
	v_sub_nc_u32_e32 v57, 29, v57
	s_delay_alu instid0(VALU_DEP_2) | instskip(NEXT) | instid1(VALU_DEP_1)
	v_lshlrev_b64 v[32:33], v32, v[8:9]
	v_and_b32_e32 v32, 7, v32
; %bb.664:                              ;   in Loop: Header=BB365_11 Depth=1
	s_or_b32 exec_lo, exec_lo, s20
	v_lshlrev_b32_e32 v8, 8, v56
	v_lshl_add_u32 v33, v57, 10, 0x2000
	s_delay_alu instid0(VALU_DEP_1) | instskip(NEXT) | instid1(VALU_DEP_1)
	v_and_or_b32 v8, 0x8000, v8, v33
	v_lshl_or_b32 v8, v32, 7, v8
	s_delay_alu instid0(VALU_DEP_1)
	v_cvt_f32_f16_e32 v94, v8
.LBB365_665:                            ;   in Loop: Header=BB365_11 Depth=1
	s_or_b32 exec_lo, exec_lo, s19
.LBB365_666:                            ;   in Loop: Header=BB365_11 Depth=1
	s_delay_alu instid0(SALU_CYCLE_1)
	s_or_b32 exec_lo, exec_lo, s18
.LBB365_667:                            ;   in Loop: Header=BB365_11 Depth=1
	s_delay_alu instid0(SALU_CYCLE_1) | instskip(SKIP_2) | instid1(VALU_DEP_1)
	s_or_b32 exec_lo, exec_lo, s17
	v_lshrrev_b32_e32 v56, 16, v30
	s_mov_b32 s17, exec_lo
	v_and_b32_e32 v8, 0xff, v56
	s_delay_alu instid0(VALU_DEP_1)
	v_cmpx_ne_u16_e32 0, v8
	s_cbranch_execz .LBB365_675
; %bb.668:                              ;   in Loop: Header=BB365_11 Depth=1
	v_bfrev_b32_e32 v93, 1
	s_mov_b32 s18, exec_lo
	v_cmpx_ne_u16_e32 0x80, v8
	s_cbranch_execz .LBB365_674
; %bb.669:                              ;   in Loop: Header=BB365_11 Depth=1
	v_bfe_u32 v32, v30, 16, 7
	v_mov_b32_e32 v93, 0x7fc02000
	s_mov_b32 s19, exec_lo
	s_delay_alu instid0(VALU_DEP_2)
	v_cmpx_ne_u32_e32 0x7f, v32
	s_cbranch_execz .LBB365_673
; %bb.670:                              ;   in Loop: Header=BB365_11 Depth=1
	v_and_b32_e32 v8, 7, v56
	v_lshrrev_b32_e32 v57, 3, v32
	v_cmp_gt_u32_e64 s1, 8, v32
	s_delay_alu instid0(VALU_DEP_3) | instskip(NEXT) | instid1(VALU_DEP_2)
	v_dual_mov_b32 v33, v9 :: v_dual_mov_b32 v32, v8
	s_and_saveexec_b32 s20, s1
; %bb.671:                              ;   in Loop: Header=BB365_11 Depth=1
	v_clz_i32_u32_e32 v32, v8
	s_delay_alu instid0(VALU_DEP_1) | instskip(NEXT) | instid1(VALU_DEP_1)
	v_min_u32_e32 v57, 32, v32
	v_subrev_nc_u32_e32 v32, 28, v57
	v_sub_nc_u32_e32 v57, 29, v57
	s_delay_alu instid0(VALU_DEP_2) | instskip(NEXT) | instid1(VALU_DEP_1)
	v_lshlrev_b64 v[32:33], v32, v[8:9]
	v_and_b32_e32 v32, 7, v32
; %bb.672:                              ;   in Loop: Header=BB365_11 Depth=1
	s_or_b32 exec_lo, exec_lo, s20
	v_lshlrev_b32_e32 v8, 8, v56
	v_lshl_add_u32 v33, v57, 10, 0x2000
	s_delay_alu instid0(VALU_DEP_1) | instskip(NEXT) | instid1(VALU_DEP_1)
	v_and_or_b32 v8, 0x8000, v8, v33
	v_lshl_or_b32 v8, v32, 7, v8
	s_delay_alu instid0(VALU_DEP_1)
	v_cvt_f32_f16_e32 v93, v8
.LBB365_673:                            ;   in Loop: Header=BB365_11 Depth=1
	s_or_b32 exec_lo, exec_lo, s19
.LBB365_674:                            ;   in Loop: Header=BB365_11 Depth=1
	s_delay_alu instid0(SALU_CYCLE_1)
	s_or_b32 exec_lo, exec_lo, s18
.LBB365_675:                            ;   in Loop: Header=BB365_11 Depth=1
	s_delay_alu instid0(SALU_CYCLE_1)
	s_or_b32 exec_lo, exec_lo, s17
	v_mov_b32_e32 v95, 0
	v_mov_b32_e32 v105, 0
	s_mov_b32 s17, exec_lo
	v_cmpx_lt_u32_e32 0xffffff, v30
	s_cbranch_execz .LBB365_683
; %bb.676:                              ;   in Loop: Header=BB365_11 Depth=1
	v_lshrrev_b32_e32 v56, 24, v30
	v_bfrev_b32_e32 v105, 1
	s_mov_b32 s18, exec_lo
	s_delay_alu instid0(VALU_DEP_2)
	v_cmpx_ne_u32_e32 0x80, v56
	s_cbranch_execz .LBB365_682
; %bb.677:                              ;   in Loop: Header=BB365_11 Depth=1
	v_and_b32_e32 v32, 0x7f, v56
	v_mov_b32_e32 v105, 0x7fc02000
	s_mov_b32 s19, exec_lo
	s_delay_alu instid0(VALU_DEP_2)
	v_cmpx_ne_u32_e32 0x7f, v32
	s_cbranch_execz .LBB365_681
; %bb.678:                              ;   in Loop: Header=BB365_11 Depth=1
	v_and_b32_e32 v8, 7, v56
	v_lshrrev_b32_e32 v57, 3, v32
	v_cmp_gt_u32_e64 s1, 8, v32
	s_delay_alu instid0(VALU_DEP_3) | instskip(NEXT) | instid1(VALU_DEP_2)
	v_dual_mov_b32 v33, v9 :: v_dual_mov_b32 v32, v8
	s_and_saveexec_b32 s20, s1
; %bb.679:                              ;   in Loop: Header=BB365_11 Depth=1
	v_clz_i32_u32_e32 v32, v8
	s_delay_alu instid0(VALU_DEP_1) | instskip(NEXT) | instid1(VALU_DEP_1)
	v_min_u32_e32 v57, 32, v32
	v_subrev_nc_u32_e32 v32, 28, v57
	v_sub_nc_u32_e32 v57, 29, v57
	s_delay_alu instid0(VALU_DEP_2) | instskip(NEXT) | instid1(VALU_DEP_1)
	v_lshlrev_b64 v[32:33], v32, v[8:9]
	v_and_b32_e32 v32, 7, v32
; %bb.680:                              ;   in Loop: Header=BB365_11 Depth=1
	s_or_b32 exec_lo, exec_lo, s20
	v_lshlrev_b32_e32 v8, 8, v56
	v_lshl_add_u32 v33, v57, 10, 0x2000
	s_delay_alu instid0(VALU_DEP_1) | instskip(NEXT) | instid1(VALU_DEP_1)
	v_and_or_b32 v8, 0x8000, v8, v33
	v_lshl_or_b32 v8, v32, 7, v8
	s_delay_alu instid0(VALU_DEP_1)
	v_cvt_f32_f16_e32 v105, v8
.LBB365_681:                            ;   in Loop: Header=BB365_11 Depth=1
	s_or_b32 exec_lo, exec_lo, s19
.LBB365_682:                            ;   in Loop: Header=BB365_11 Depth=1
	s_delay_alu instid0(SALU_CYCLE_1)
	s_or_b32 exec_lo, exec_lo, s18
.LBB365_683:                            ;   in Loop: Header=BB365_11 Depth=1
	s_delay_alu instid0(SALU_CYCLE_1) | instskip(SKIP_3) | instid1(VALU_DEP_2)
	s_or_b32 exec_lo, exec_lo, s17
	v_and_b32_e32 v32, 0xff, v31
	v_mov_b32_e32 v8, v31
	s_mov_b32 s17, exec_lo
	v_cmpx_ne_u16_e32 0, v32
	s_cbranch_execz .LBB365_691
; %bb.684:                              ;   in Loop: Header=BB365_11 Depth=1
	v_bfrev_b32_e32 v95, 1
	s_mov_b32 s18, exec_lo
	v_cmpx_ne_u16_e32 0x80, v32
	s_cbranch_execz .LBB365_690
; %bb.685:                              ;   in Loop: Header=BB365_11 Depth=1
	v_and_b32_e32 v32, 0x7f, v31
	v_mov_b32_e32 v95, 0x7fc02000
	s_mov_b32 s19, exec_lo
	s_delay_alu instid0(VALU_DEP_2)
	v_cmpx_ne_u32_e32 0x7f, v32
	s_cbranch_execz .LBB365_689
; %bb.686:                              ;   in Loop: Header=BB365_11 Depth=1
	v_lshrrev_b32_e32 v56, 3, v32
	v_cmp_gt_u32_e64 s1, 8, v32
	v_dual_mov_b32 v33, v9 :: v_dual_mov_b32 v32, v8
	s_delay_alu instid0(VALU_DEP_2)
	s_and_saveexec_b32 s20, s1
; %bb.687:                              ;   in Loop: Header=BB365_11 Depth=1
	v_and_b32_e32 v32, 7, v31
	s_delay_alu instid0(VALU_DEP_1) | instskip(NEXT) | instid1(VALU_DEP_1)
	v_clz_i32_u32_e32 v32, v32
	v_min_u32_e32 v56, 32, v32
	s_delay_alu instid0(VALU_DEP_1) | instskip(SKIP_1) | instid1(VALU_DEP_2)
	v_subrev_nc_u32_e32 v32, 28, v56
	v_sub_nc_u32_e32 v56, 29, v56
	v_lshlrev_b64 v[32:33], v32, v[8:9]
; %bb.688:                              ;   in Loop: Header=BB365_11 Depth=1
	s_or_b32 exec_lo, exec_lo, s20
	v_lshlrev_b32_e32 v33, 8, v31
	s_delay_alu instid0(VALU_DEP_3) | instskip(NEXT) | instid1(VALU_DEP_3)
	v_lshl_add_u32 v56, v56, 10, 0x2000
	v_lshlrev_b32_e32 v32, 7, v32
	s_delay_alu instid0(VALU_DEP_2) | instskip(NEXT) | instid1(VALU_DEP_1)
	v_and_or_b32 v33, 0x8000, v33, v56
	v_and_or_b32 v32, 0x380, v32, v33
	s_delay_alu instid0(VALU_DEP_1)
	v_cvt_f32_f16_e32 v95, v32
.LBB365_689:                            ;   in Loop: Header=BB365_11 Depth=1
	s_or_b32 exec_lo, exec_lo, s19
.LBB365_690:                            ;   in Loop: Header=BB365_11 Depth=1
	s_delay_alu instid0(SALU_CYCLE_1)
	s_or_b32 exec_lo, exec_lo, s18
.LBB365_691:                            ;   in Loop: Header=BB365_11 Depth=1
	s_delay_alu instid0(SALU_CYCLE_1) | instskip(SKIP_3) | instid1(VALU_DEP_2)
	s_or_b32 exec_lo, exec_lo, s17
	v_lshrrev_b16 v8, 8, v8
	v_dual_mov_b32 v111, 0 :: v_dual_mov_b32 v120, 0
	s_mov_b32 s17, exec_lo
	v_cmpx_ne_u16_e32 0, v8
	s_cbranch_execz .LBB365_699
; %bb.692:                              ;   in Loop: Header=BB365_11 Depth=1
	v_bfrev_b32_e32 v120, 1
	s_mov_b32 s18, exec_lo
	v_cmpx_ne_u16_e32 0x80, v8
	s_cbranch_execz .LBB365_698
; %bb.693:                              ;   in Loop: Header=BB365_11 Depth=1
	v_and_b32_e32 v56, 0xffff, v8
	v_mov_b32_e32 v120, 0x7fc02000
	s_mov_b32 s19, exec_lo
	s_delay_alu instid0(VALU_DEP_2) | instskip(NEXT) | instid1(VALU_DEP_1)
	v_and_b32_e32 v32, 0x7f, v56
	v_cmpx_ne_u32_e32 0x7f, v32
	s_cbranch_execz .LBB365_697
; %bb.694:                              ;   in Loop: Header=BB365_11 Depth=1
	v_and_b32_e32 v8, 7, v56
	v_lshrrev_b32_e32 v57, 3, v32
	v_cmp_gt_u32_e64 s1, 8, v32
	s_delay_alu instid0(VALU_DEP_3) | instskip(NEXT) | instid1(VALU_DEP_2)
	v_dual_mov_b32 v33, v9 :: v_dual_mov_b32 v32, v8
	s_and_saveexec_b32 s20, s1
; %bb.695:                              ;   in Loop: Header=BB365_11 Depth=1
	v_clz_i32_u32_e32 v32, v8
	s_delay_alu instid0(VALU_DEP_1) | instskip(NEXT) | instid1(VALU_DEP_1)
	v_min_u32_e32 v57, 32, v32
	v_subrev_nc_u32_e32 v32, 28, v57
	v_sub_nc_u32_e32 v57, 29, v57
	s_delay_alu instid0(VALU_DEP_2) | instskip(NEXT) | instid1(VALU_DEP_1)
	v_lshlrev_b64 v[32:33], v32, v[8:9]
	v_and_b32_e32 v32, 7, v32
; %bb.696:                              ;   in Loop: Header=BB365_11 Depth=1
	s_or_b32 exec_lo, exec_lo, s20
	v_lshlrev_b32_e32 v8, 8, v56
	v_lshl_add_u32 v33, v57, 10, 0x2000
	s_delay_alu instid0(VALU_DEP_1) | instskip(NEXT) | instid1(VALU_DEP_1)
	v_and_or_b32 v8, 0x8000, v8, v33
	v_lshl_or_b32 v8, v32, 7, v8
	s_delay_alu instid0(VALU_DEP_1)
	v_cvt_f32_f16_e32 v120, v8
.LBB365_697:                            ;   in Loop: Header=BB365_11 Depth=1
	s_or_b32 exec_lo, exec_lo, s19
.LBB365_698:                            ;   in Loop: Header=BB365_11 Depth=1
	s_delay_alu instid0(SALU_CYCLE_1)
	s_or_b32 exec_lo, exec_lo, s18
.LBB365_699:                            ;   in Loop: Header=BB365_11 Depth=1
	s_delay_alu instid0(SALU_CYCLE_1) | instskip(SKIP_2) | instid1(VALU_DEP_1)
	s_or_b32 exec_lo, exec_lo, s17
	v_lshrrev_b32_e32 v56, 16, v31
	s_mov_b32 s17, exec_lo
	v_and_b32_e32 v8, 0xff, v56
	s_delay_alu instid0(VALU_DEP_1)
	v_cmpx_ne_u16_e32 0, v8
	s_cbranch_execz .LBB365_707
; %bb.700:                              ;   in Loop: Header=BB365_11 Depth=1
	v_bfrev_b32_e32 v111, 1
	s_mov_b32 s18, exec_lo
	v_cmpx_ne_u16_e32 0x80, v8
	s_cbranch_execz .LBB365_706
; %bb.701:                              ;   in Loop: Header=BB365_11 Depth=1
	v_bfe_u32 v32, v31, 16, 7
	v_mov_b32_e32 v111, 0x7fc02000
	s_mov_b32 s19, exec_lo
	s_delay_alu instid0(VALU_DEP_2)
	v_cmpx_ne_u32_e32 0x7f, v32
	s_cbranch_execz .LBB365_705
; %bb.702:                              ;   in Loop: Header=BB365_11 Depth=1
	v_and_b32_e32 v8, 7, v56
	v_lshrrev_b32_e32 v57, 3, v32
	v_cmp_gt_u32_e64 s1, 8, v32
	s_delay_alu instid0(VALU_DEP_3) | instskip(NEXT) | instid1(VALU_DEP_2)
	v_dual_mov_b32 v33, v9 :: v_dual_mov_b32 v32, v8
	s_and_saveexec_b32 s20, s1
; %bb.703:                              ;   in Loop: Header=BB365_11 Depth=1
	v_clz_i32_u32_e32 v32, v8
	s_delay_alu instid0(VALU_DEP_1) | instskip(NEXT) | instid1(VALU_DEP_1)
	v_min_u32_e32 v57, 32, v32
	v_subrev_nc_u32_e32 v32, 28, v57
	v_sub_nc_u32_e32 v57, 29, v57
	s_delay_alu instid0(VALU_DEP_2) | instskip(NEXT) | instid1(VALU_DEP_1)
	v_lshlrev_b64 v[32:33], v32, v[8:9]
	v_and_b32_e32 v32, 7, v32
; %bb.704:                              ;   in Loop: Header=BB365_11 Depth=1
	s_or_b32 exec_lo, exec_lo, s20
	v_lshlrev_b32_e32 v8, 8, v56
	v_lshl_add_u32 v33, v57, 10, 0x2000
	s_delay_alu instid0(VALU_DEP_1) | instskip(NEXT) | instid1(VALU_DEP_1)
	v_and_or_b32 v8, 0x8000, v8, v33
	v_lshl_or_b32 v8, v32, 7, v8
	s_delay_alu instid0(VALU_DEP_1)
	v_cvt_f32_f16_e32 v111, v8
.LBB365_705:                            ;   in Loop: Header=BB365_11 Depth=1
	s_or_b32 exec_lo, exec_lo, s19
.LBB365_706:                            ;   in Loop: Header=BB365_11 Depth=1
	s_delay_alu instid0(SALU_CYCLE_1)
	s_or_b32 exec_lo, exec_lo, s18
.LBB365_707:                            ;   in Loop: Header=BB365_11 Depth=1
	s_delay_alu instid0(SALU_CYCLE_1)
	s_or_b32 exec_lo, exec_lo, s17
	v_dual_mov_b32 v72, 0 :: v_dual_mov_b32 v121, 0
	s_mov_b32 s17, exec_lo
	v_cmpx_lt_u64_e64 s[2:3], v[30:31]
	s_cbranch_execz .LBB365_715
; %bb.708:                              ;   in Loop: Header=BB365_11 Depth=1
	v_lshrrev_b32_e32 v32, 24, v31
	v_bfrev_b32_e32 v121, 1
	s_mov_b32 s18, exec_lo
	s_delay_alu instid0(VALU_DEP_2)
	v_cmpx_ne_u32_e32 0x80, v32
	s_cbranch_execz .LBB365_714
; %bb.709:                              ;   in Loop: Header=BB365_11 Depth=1
	v_and_b32_e32 v30, 0x7f, v32
	v_mov_b32_e32 v121, 0x7fc02000
	s_mov_b32 s19, exec_lo
	s_delay_alu instid0(VALU_DEP_2)
	v_cmpx_ne_u32_e32 0x7f, v30
	s_cbranch_execz .LBB365_713
; %bb.710:                              ;   in Loop: Header=BB365_11 Depth=1
	v_and_b32_e32 v8, 7, v32
	v_lshrrev_b32_e32 v33, 3, v30
	v_cmp_gt_u32_e64 s1, 8, v30
	s_delay_alu instid0(VALU_DEP_3) | instskip(NEXT) | instid1(VALU_DEP_2)
	v_dual_mov_b32 v31, v9 :: v_dual_mov_b32 v30, v8
	s_and_saveexec_b32 s20, s1
; %bb.711:                              ;   in Loop: Header=BB365_11 Depth=1
	v_clz_i32_u32_e32 v30, v8
	s_delay_alu instid0(VALU_DEP_1) | instskip(NEXT) | instid1(VALU_DEP_1)
	v_min_u32_e32 v33, 32, v30
	v_subrev_nc_u32_e32 v30, 28, v33
	v_sub_nc_u32_e32 v33, 29, v33
	s_delay_alu instid0(VALU_DEP_2) | instskip(NEXT) | instid1(VALU_DEP_1)
	v_lshlrev_b64 v[30:31], v30, v[8:9]
	v_and_b32_e32 v30, 7, v30
; %bb.712:                              ;   in Loop: Header=BB365_11 Depth=1
	s_or_b32 exec_lo, exec_lo, s20
	v_lshlrev_b32_e32 v8, 8, v32
	v_lshl_add_u32 v31, v33, 10, 0x2000
	s_delay_alu instid0(VALU_DEP_1) | instskip(NEXT) | instid1(VALU_DEP_1)
	v_and_or_b32 v8, 0x8000, v8, v31
	v_lshl_or_b32 v8, v30, 7, v8
	s_delay_alu instid0(VALU_DEP_1)
	v_cvt_f32_f16_e32 v121, v8
.LBB365_713:                            ;   in Loop: Header=BB365_11 Depth=1
	s_or_b32 exec_lo, exec_lo, s19
.LBB365_714:                            ;   in Loop: Header=BB365_11 Depth=1
	s_delay_alu instid0(SALU_CYCLE_1)
	s_or_b32 exec_lo, exec_lo, s18
.LBB365_715:                            ;   in Loop: Header=BB365_11 Depth=1
	s_delay_alu instid0(SALU_CYCLE_1) | instskip(SKIP_4) | instid1(VALU_DEP_1)
	s_or_b32 exec_lo, exec_lo, s17
	flat_load_b64 v[30:31], v[28:29] offset:2568
	s_mov_b32 s17, exec_lo
	s_waitcnt vmcnt(0) lgkmcnt(0)
	v_and_b32_e32 v8, 0xff, v30
	v_cmpx_ne_u16_e32 0, v8
	s_cbranch_execz .LBB365_723
; %bb.716:                              ;   in Loop: Header=BB365_11 Depth=1
	v_bfrev_b32_e32 v72, 1
	s_mov_b32 s18, exec_lo
	v_cmpx_ne_u16_e32 0x80, v8
	s_cbranch_execz .LBB365_722
; %bb.717:                              ;   in Loop: Header=BB365_11 Depth=1
	v_and_b32_e32 v32, 0x7f, v30
	v_mov_b32_e32 v72, 0x7fc02000
	s_mov_b32 s19, exec_lo
	s_delay_alu instid0(VALU_DEP_2)
	v_cmpx_ne_u32_e32 0x7f, v32
	s_cbranch_execz .LBB365_721
; %bb.718:                              ;   in Loop: Header=BB365_11 Depth=1
	v_lshrrev_b32_e32 v8, 3, v32
	v_cmp_gt_u32_e64 s1, 8, v32
	v_dual_mov_b32 v33, v31 :: v_dual_mov_b32 v32, v30
	s_delay_alu instid0(VALU_DEP_2)
	s_and_saveexec_b32 s20, s1
; %bb.719:                              ;   in Loop: Header=BB365_11 Depth=1
	v_and_b32_e32 v8, 7, v30
	s_delay_alu instid0(VALU_DEP_1) | instskip(NEXT) | instid1(VALU_DEP_1)
	v_clz_i32_u32_e32 v8, v8
	v_min_u32_e32 v8, 32, v8
	s_delay_alu instid0(VALU_DEP_1) | instskip(SKIP_1) | instid1(VALU_DEP_2)
	v_subrev_nc_u32_e32 v32, 28, v8
	v_sub_nc_u32_e32 v8, 29, v8
	v_lshlrev_b64 v[32:33], v32, v[30:31]
; %bb.720:                              ;   in Loop: Header=BB365_11 Depth=1
	s_or_b32 exec_lo, exec_lo, s20
	v_lshlrev_b32_e32 v33, 8, v30
	s_delay_alu instid0(VALU_DEP_3) | instskip(NEXT) | instid1(VALU_DEP_3)
	v_lshl_add_u32 v8, v8, 10, 0x2000
	v_lshlrev_b32_e32 v32, 7, v32
	s_delay_alu instid0(VALU_DEP_2) | instskip(NEXT) | instid1(VALU_DEP_1)
	v_and_or_b32 v8, 0x8000, v33, v8
	v_and_or_b32 v8, 0x380, v32, v8
	s_delay_alu instid0(VALU_DEP_1)
	v_cvt_f32_f16_e32 v72, v8
.LBB365_721:                            ;   in Loop: Header=BB365_11 Depth=1
	s_or_b32 exec_lo, exec_lo, s19
.LBB365_722:                            ;   in Loop: Header=BB365_11 Depth=1
	s_delay_alu instid0(SALU_CYCLE_1)
	s_or_b32 exec_lo, exec_lo, s18
.LBB365_723:                            ;   in Loop: Header=BB365_11 Depth=1
	s_delay_alu instid0(SALU_CYCLE_1) | instskip(SKIP_3) | instid1(VALU_DEP_2)
	s_or_b32 exec_lo, exec_lo, s17
	v_lshrrev_b16 v8, 8, v30
	v_dual_mov_b32 v73, 0 :: v_dual_mov_b32 v76, 0
	s_mov_b32 s17, exec_lo
	v_cmpx_ne_u16_e32 0, v8
	s_cbranch_execz .LBB365_731
; %bb.724:                              ;   in Loop: Header=BB365_11 Depth=1
	v_bfrev_b32_e32 v76, 1
	s_mov_b32 s18, exec_lo
	v_cmpx_ne_u16_e32 0x80, v8
	s_cbranch_execz .LBB365_730
; %bb.725:                              ;   in Loop: Header=BB365_11 Depth=1
	v_and_b32_e32 v56, 0xffff, v8
	v_mov_b32_e32 v76, 0x7fc02000
	s_mov_b32 s19, exec_lo
	s_delay_alu instid0(VALU_DEP_2) | instskip(NEXT) | instid1(VALU_DEP_1)
	v_and_b32_e32 v32, 0x7f, v56
	v_cmpx_ne_u32_e32 0x7f, v32
	s_cbranch_execz .LBB365_729
; %bb.726:                              ;   in Loop: Header=BB365_11 Depth=1
	v_and_b32_e32 v8, 7, v56
	v_lshrrev_b32_e32 v57, 3, v32
	v_cmp_gt_u32_e64 s1, 8, v32
	s_delay_alu instid0(VALU_DEP_3) | instskip(NEXT) | instid1(VALU_DEP_2)
	v_dual_mov_b32 v33, v9 :: v_dual_mov_b32 v32, v8
	s_and_saveexec_b32 s20, s1
; %bb.727:                              ;   in Loop: Header=BB365_11 Depth=1
	v_clz_i32_u32_e32 v32, v8
	s_delay_alu instid0(VALU_DEP_1) | instskip(NEXT) | instid1(VALU_DEP_1)
	v_min_u32_e32 v57, 32, v32
	v_subrev_nc_u32_e32 v32, 28, v57
	v_sub_nc_u32_e32 v57, 29, v57
	s_delay_alu instid0(VALU_DEP_2) | instskip(NEXT) | instid1(VALU_DEP_1)
	v_lshlrev_b64 v[32:33], v32, v[8:9]
	v_and_b32_e32 v32, 7, v32
; %bb.728:                              ;   in Loop: Header=BB365_11 Depth=1
	s_or_b32 exec_lo, exec_lo, s20
	v_lshlrev_b32_e32 v8, 8, v56
	v_lshl_add_u32 v33, v57, 10, 0x2000
	s_delay_alu instid0(VALU_DEP_1) | instskip(NEXT) | instid1(VALU_DEP_1)
	v_and_or_b32 v8, 0x8000, v8, v33
	v_lshl_or_b32 v8, v32, 7, v8
	s_delay_alu instid0(VALU_DEP_1)
	v_cvt_f32_f16_e32 v76, v8
.LBB365_729:                            ;   in Loop: Header=BB365_11 Depth=1
	s_or_b32 exec_lo, exec_lo, s19
.LBB365_730:                            ;   in Loop: Header=BB365_11 Depth=1
	s_delay_alu instid0(SALU_CYCLE_1)
	s_or_b32 exec_lo, exec_lo, s18
.LBB365_731:                            ;   in Loop: Header=BB365_11 Depth=1
	s_delay_alu instid0(SALU_CYCLE_1) | instskip(SKIP_2) | instid1(VALU_DEP_1)
	s_or_b32 exec_lo, exec_lo, s17
	v_lshrrev_b32_e32 v56, 16, v30
	s_mov_b32 s17, exec_lo
	v_and_b32_e32 v8, 0xff, v56
	s_delay_alu instid0(VALU_DEP_1)
	v_cmpx_ne_u16_e32 0, v8
	s_cbranch_execz .LBB365_739
; %bb.732:                              ;   in Loop: Header=BB365_11 Depth=1
	v_bfrev_b32_e32 v73, 1
	s_mov_b32 s18, exec_lo
	v_cmpx_ne_u16_e32 0x80, v8
	s_cbranch_execz .LBB365_738
; %bb.733:                              ;   in Loop: Header=BB365_11 Depth=1
	v_bfe_u32 v32, v30, 16, 7
	v_mov_b32_e32 v73, 0x7fc02000
	s_mov_b32 s19, exec_lo
	s_delay_alu instid0(VALU_DEP_2)
	v_cmpx_ne_u32_e32 0x7f, v32
	s_cbranch_execz .LBB365_737
; %bb.734:                              ;   in Loop: Header=BB365_11 Depth=1
	v_and_b32_e32 v8, 7, v56
	v_lshrrev_b32_e32 v57, 3, v32
	v_cmp_gt_u32_e64 s1, 8, v32
	s_delay_alu instid0(VALU_DEP_3) | instskip(NEXT) | instid1(VALU_DEP_2)
	v_dual_mov_b32 v33, v9 :: v_dual_mov_b32 v32, v8
	s_and_saveexec_b32 s20, s1
; %bb.735:                              ;   in Loop: Header=BB365_11 Depth=1
	v_clz_i32_u32_e32 v32, v8
	s_delay_alu instid0(VALU_DEP_1) | instskip(NEXT) | instid1(VALU_DEP_1)
	v_min_u32_e32 v57, 32, v32
	v_subrev_nc_u32_e32 v32, 28, v57
	v_sub_nc_u32_e32 v57, 29, v57
	s_delay_alu instid0(VALU_DEP_2) | instskip(NEXT) | instid1(VALU_DEP_1)
	v_lshlrev_b64 v[32:33], v32, v[8:9]
	v_and_b32_e32 v32, 7, v32
; %bb.736:                              ;   in Loop: Header=BB365_11 Depth=1
	s_or_b32 exec_lo, exec_lo, s20
	v_lshlrev_b32_e32 v8, 8, v56
	v_lshl_add_u32 v33, v57, 10, 0x2000
	s_delay_alu instid0(VALU_DEP_1) | instskip(NEXT) | instid1(VALU_DEP_1)
	v_and_or_b32 v8, 0x8000, v8, v33
	v_lshl_or_b32 v8, v32, 7, v8
	s_delay_alu instid0(VALU_DEP_1)
	v_cvt_f32_f16_e32 v73, v8
.LBB365_737:                            ;   in Loop: Header=BB365_11 Depth=1
	s_or_b32 exec_lo, exec_lo, s19
.LBB365_738:                            ;   in Loop: Header=BB365_11 Depth=1
	s_delay_alu instid0(SALU_CYCLE_1)
	s_or_b32 exec_lo, exec_lo, s18
.LBB365_739:                            ;   in Loop: Header=BB365_11 Depth=1
	s_delay_alu instid0(SALU_CYCLE_1)
	s_or_b32 exec_lo, exec_lo, s17
	v_dual_mov_b32 v77, 0 :: v_dual_mov_b32 v78, 0
	s_mov_b32 s17, exec_lo
	v_cmpx_lt_u32_e32 0xffffff, v30
	s_cbranch_execz .LBB365_747
; %bb.740:                              ;   in Loop: Header=BB365_11 Depth=1
	v_lshrrev_b32_e32 v56, 24, v30
	v_bfrev_b32_e32 v78, 1
	s_mov_b32 s18, exec_lo
	s_delay_alu instid0(VALU_DEP_2)
	v_cmpx_ne_u32_e32 0x80, v56
	s_cbranch_execz .LBB365_746
; %bb.741:                              ;   in Loop: Header=BB365_11 Depth=1
	v_and_b32_e32 v32, 0x7f, v56
	v_mov_b32_e32 v78, 0x7fc02000
	s_mov_b32 s19, exec_lo
	s_delay_alu instid0(VALU_DEP_2)
	v_cmpx_ne_u32_e32 0x7f, v32
	s_cbranch_execz .LBB365_745
; %bb.742:                              ;   in Loop: Header=BB365_11 Depth=1
	v_and_b32_e32 v8, 7, v56
	v_lshrrev_b32_e32 v57, 3, v32
	v_cmp_gt_u32_e64 s1, 8, v32
	s_delay_alu instid0(VALU_DEP_3) | instskip(NEXT) | instid1(VALU_DEP_2)
	v_dual_mov_b32 v33, v9 :: v_dual_mov_b32 v32, v8
	s_and_saveexec_b32 s20, s1
; %bb.743:                              ;   in Loop: Header=BB365_11 Depth=1
	v_clz_i32_u32_e32 v32, v8
	s_delay_alu instid0(VALU_DEP_1) | instskip(NEXT) | instid1(VALU_DEP_1)
	v_min_u32_e32 v57, 32, v32
	v_subrev_nc_u32_e32 v32, 28, v57
	v_sub_nc_u32_e32 v57, 29, v57
	s_delay_alu instid0(VALU_DEP_2) | instskip(NEXT) | instid1(VALU_DEP_1)
	v_lshlrev_b64 v[32:33], v32, v[8:9]
	v_and_b32_e32 v32, 7, v32
; %bb.744:                              ;   in Loop: Header=BB365_11 Depth=1
	s_or_b32 exec_lo, exec_lo, s20
	v_lshlrev_b32_e32 v8, 8, v56
	v_lshl_add_u32 v33, v57, 10, 0x2000
	s_delay_alu instid0(VALU_DEP_1) | instskip(NEXT) | instid1(VALU_DEP_1)
	v_and_or_b32 v8, 0x8000, v8, v33
	v_lshl_or_b32 v8, v32, 7, v8
	s_delay_alu instid0(VALU_DEP_1)
	v_cvt_f32_f16_e32 v78, v8
.LBB365_745:                            ;   in Loop: Header=BB365_11 Depth=1
	s_or_b32 exec_lo, exec_lo, s19
.LBB365_746:                            ;   in Loop: Header=BB365_11 Depth=1
	s_delay_alu instid0(SALU_CYCLE_1)
	s_or_b32 exec_lo, exec_lo, s18
.LBB365_747:                            ;   in Loop: Header=BB365_11 Depth=1
	s_delay_alu instid0(SALU_CYCLE_1) | instskip(SKIP_3) | instid1(VALU_DEP_2)
	s_or_b32 exec_lo, exec_lo, s17
	v_and_b32_e32 v32, 0xff, v31
	v_mov_b32_e32 v8, v31
	s_mov_b32 s17, exec_lo
	v_cmpx_ne_u16_e32 0, v32
	s_cbranch_execz .LBB365_755
; %bb.748:                              ;   in Loop: Header=BB365_11 Depth=1
	v_bfrev_b32_e32 v77, 1
	s_mov_b32 s18, exec_lo
	v_cmpx_ne_u16_e32 0x80, v32
	s_cbranch_execz .LBB365_754
; %bb.749:                              ;   in Loop: Header=BB365_11 Depth=1
	v_and_b32_e32 v32, 0x7f, v31
	v_mov_b32_e32 v77, 0x7fc02000
	s_mov_b32 s19, exec_lo
	s_delay_alu instid0(VALU_DEP_2)
	v_cmpx_ne_u32_e32 0x7f, v32
	s_cbranch_execz .LBB365_753
; %bb.750:                              ;   in Loop: Header=BB365_11 Depth=1
	v_lshrrev_b32_e32 v56, 3, v32
	v_cmp_gt_u32_e64 s1, 8, v32
	v_dual_mov_b32 v33, v9 :: v_dual_mov_b32 v32, v8
	s_delay_alu instid0(VALU_DEP_2)
	s_and_saveexec_b32 s20, s1
; %bb.751:                              ;   in Loop: Header=BB365_11 Depth=1
	v_and_b32_e32 v32, 7, v31
	s_delay_alu instid0(VALU_DEP_1) | instskip(NEXT) | instid1(VALU_DEP_1)
	v_clz_i32_u32_e32 v32, v32
	v_min_u32_e32 v56, 32, v32
	s_delay_alu instid0(VALU_DEP_1) | instskip(SKIP_1) | instid1(VALU_DEP_2)
	v_subrev_nc_u32_e32 v32, 28, v56
	v_sub_nc_u32_e32 v56, 29, v56
	v_lshlrev_b64 v[32:33], v32, v[8:9]
; %bb.752:                              ;   in Loop: Header=BB365_11 Depth=1
	s_or_b32 exec_lo, exec_lo, s20
	v_lshlrev_b32_e32 v33, 8, v31
	s_delay_alu instid0(VALU_DEP_3) | instskip(NEXT) | instid1(VALU_DEP_3)
	v_lshl_add_u32 v56, v56, 10, 0x2000
	v_lshlrev_b32_e32 v32, 7, v32
	s_delay_alu instid0(VALU_DEP_2) | instskip(NEXT) | instid1(VALU_DEP_1)
	v_and_or_b32 v33, 0x8000, v33, v56
	v_and_or_b32 v32, 0x380, v32, v33
	s_delay_alu instid0(VALU_DEP_1)
	v_cvt_f32_f16_e32 v77, v32
.LBB365_753:                            ;   in Loop: Header=BB365_11 Depth=1
	s_or_b32 exec_lo, exec_lo, s19
.LBB365_754:                            ;   in Loop: Header=BB365_11 Depth=1
	s_delay_alu instid0(SALU_CYCLE_1)
	s_or_b32 exec_lo, exec_lo, s18
.LBB365_755:                            ;   in Loop: Header=BB365_11 Depth=1
	s_delay_alu instid0(SALU_CYCLE_1) | instskip(SKIP_3) | instid1(VALU_DEP_2)
	s_or_b32 exec_lo, exec_lo, s17
	v_lshrrev_b16 v8, 8, v8
	v_dual_mov_b32 v107, 0 :: v_dual_mov_b32 v108, 0
	s_mov_b32 s17, exec_lo
	v_cmpx_ne_u16_e32 0, v8
	s_cbranch_execz .LBB365_763
; %bb.756:                              ;   in Loop: Header=BB365_11 Depth=1
	v_bfrev_b32_e32 v108, 1
	s_mov_b32 s18, exec_lo
	v_cmpx_ne_u16_e32 0x80, v8
	s_cbranch_execz .LBB365_762
; %bb.757:                              ;   in Loop: Header=BB365_11 Depth=1
	v_and_b32_e32 v56, 0xffff, v8
	v_mov_b32_e32 v108, 0x7fc02000
	s_mov_b32 s19, exec_lo
	s_delay_alu instid0(VALU_DEP_2) | instskip(NEXT) | instid1(VALU_DEP_1)
	v_and_b32_e32 v32, 0x7f, v56
	v_cmpx_ne_u32_e32 0x7f, v32
	s_cbranch_execz .LBB365_761
; %bb.758:                              ;   in Loop: Header=BB365_11 Depth=1
	v_and_b32_e32 v8, 7, v56
	v_lshrrev_b32_e32 v57, 3, v32
	v_cmp_gt_u32_e64 s1, 8, v32
	s_delay_alu instid0(VALU_DEP_3) | instskip(NEXT) | instid1(VALU_DEP_2)
	v_dual_mov_b32 v33, v9 :: v_dual_mov_b32 v32, v8
	s_and_saveexec_b32 s20, s1
; %bb.759:                              ;   in Loop: Header=BB365_11 Depth=1
	v_clz_i32_u32_e32 v32, v8
	s_delay_alu instid0(VALU_DEP_1) | instskip(NEXT) | instid1(VALU_DEP_1)
	v_min_u32_e32 v57, 32, v32
	v_subrev_nc_u32_e32 v32, 28, v57
	v_sub_nc_u32_e32 v57, 29, v57
	s_delay_alu instid0(VALU_DEP_2) | instskip(NEXT) | instid1(VALU_DEP_1)
	v_lshlrev_b64 v[32:33], v32, v[8:9]
	v_and_b32_e32 v32, 7, v32
; %bb.760:                              ;   in Loop: Header=BB365_11 Depth=1
	s_or_b32 exec_lo, exec_lo, s20
	v_lshlrev_b32_e32 v8, 8, v56
	v_lshl_add_u32 v33, v57, 10, 0x2000
	s_delay_alu instid0(VALU_DEP_1) | instskip(NEXT) | instid1(VALU_DEP_1)
	v_and_or_b32 v8, 0x8000, v8, v33
	v_lshl_or_b32 v8, v32, 7, v8
	s_delay_alu instid0(VALU_DEP_1)
	v_cvt_f32_f16_e32 v108, v8
.LBB365_761:                            ;   in Loop: Header=BB365_11 Depth=1
	s_or_b32 exec_lo, exec_lo, s19
.LBB365_762:                            ;   in Loop: Header=BB365_11 Depth=1
	s_delay_alu instid0(SALU_CYCLE_1)
	s_or_b32 exec_lo, exec_lo, s18
.LBB365_763:                            ;   in Loop: Header=BB365_11 Depth=1
	s_delay_alu instid0(SALU_CYCLE_1) | instskip(SKIP_2) | instid1(VALU_DEP_1)
	s_or_b32 exec_lo, exec_lo, s17
	v_lshrrev_b32_e32 v56, 16, v31
	s_mov_b32 s17, exec_lo
	v_and_b32_e32 v8, 0xff, v56
	s_delay_alu instid0(VALU_DEP_1)
	v_cmpx_ne_u16_e32 0, v8
	s_cbranch_execz .LBB365_771
; %bb.764:                              ;   in Loop: Header=BB365_11 Depth=1
	v_bfrev_b32_e32 v107, 1
	s_mov_b32 s18, exec_lo
	v_cmpx_ne_u16_e32 0x80, v8
	s_cbranch_execz .LBB365_770
; %bb.765:                              ;   in Loop: Header=BB365_11 Depth=1
	v_bfe_u32 v32, v31, 16, 7
	v_mov_b32_e32 v107, 0x7fc02000
	s_mov_b32 s19, exec_lo
	s_delay_alu instid0(VALU_DEP_2)
	v_cmpx_ne_u32_e32 0x7f, v32
	s_cbranch_execz .LBB365_769
; %bb.766:                              ;   in Loop: Header=BB365_11 Depth=1
	v_and_b32_e32 v8, 7, v56
	v_lshrrev_b32_e32 v57, 3, v32
	v_cmp_gt_u32_e64 s1, 8, v32
	s_delay_alu instid0(VALU_DEP_3) | instskip(NEXT) | instid1(VALU_DEP_2)
	v_dual_mov_b32 v33, v9 :: v_dual_mov_b32 v32, v8
	s_and_saveexec_b32 s20, s1
; %bb.767:                              ;   in Loop: Header=BB365_11 Depth=1
	v_clz_i32_u32_e32 v32, v8
	s_delay_alu instid0(VALU_DEP_1) | instskip(NEXT) | instid1(VALU_DEP_1)
	v_min_u32_e32 v57, 32, v32
	v_subrev_nc_u32_e32 v32, 28, v57
	v_sub_nc_u32_e32 v57, 29, v57
	s_delay_alu instid0(VALU_DEP_2) | instskip(NEXT) | instid1(VALU_DEP_1)
	v_lshlrev_b64 v[32:33], v32, v[8:9]
	v_and_b32_e32 v32, 7, v32
; %bb.768:                              ;   in Loop: Header=BB365_11 Depth=1
	s_or_b32 exec_lo, exec_lo, s20
	v_lshlrev_b32_e32 v8, 8, v56
	v_lshl_add_u32 v33, v57, 10, 0x2000
	s_delay_alu instid0(VALU_DEP_1) | instskip(NEXT) | instid1(VALU_DEP_1)
	v_and_or_b32 v8, 0x8000, v8, v33
	v_lshl_or_b32 v8, v32, 7, v8
	s_delay_alu instid0(VALU_DEP_1)
	v_cvt_f32_f16_e32 v107, v8
.LBB365_769:                            ;   in Loop: Header=BB365_11 Depth=1
	s_or_b32 exec_lo, exec_lo, s19
.LBB365_770:                            ;   in Loop: Header=BB365_11 Depth=1
	s_delay_alu instid0(SALU_CYCLE_1)
	s_or_b32 exec_lo, exec_lo, s18
.LBB365_771:                            ;   in Loop: Header=BB365_11 Depth=1
	s_delay_alu instid0(SALU_CYCLE_1)
	s_or_b32 exec_lo, exec_lo, s17
	v_dual_mov_b32 v56, 0 :: v_dual_mov_b32 v109, 0
	s_mov_b32 s17, exec_lo
	v_cmpx_lt_u64_e64 s[2:3], v[30:31]
	s_cbranch_execz .LBB365_779
; %bb.772:                              ;   in Loop: Header=BB365_11 Depth=1
	v_lshrrev_b32_e32 v32, 24, v31
	v_bfrev_b32_e32 v109, 1
	s_mov_b32 s18, exec_lo
	s_delay_alu instid0(VALU_DEP_2)
	v_cmpx_ne_u32_e32 0x80, v32
	s_cbranch_execz .LBB365_778
; %bb.773:                              ;   in Loop: Header=BB365_11 Depth=1
	v_and_b32_e32 v30, 0x7f, v32
	v_mov_b32_e32 v109, 0x7fc02000
	s_mov_b32 s19, exec_lo
	s_delay_alu instid0(VALU_DEP_2)
	v_cmpx_ne_u32_e32 0x7f, v30
	s_cbranch_execz .LBB365_777
; %bb.774:                              ;   in Loop: Header=BB365_11 Depth=1
	v_and_b32_e32 v8, 7, v32
	v_lshrrev_b32_e32 v33, 3, v30
	v_cmp_gt_u32_e64 s1, 8, v30
	s_delay_alu instid0(VALU_DEP_3) | instskip(NEXT) | instid1(VALU_DEP_2)
	v_dual_mov_b32 v31, v9 :: v_dual_mov_b32 v30, v8
	s_and_saveexec_b32 s20, s1
; %bb.775:                              ;   in Loop: Header=BB365_11 Depth=1
	v_clz_i32_u32_e32 v30, v8
	s_delay_alu instid0(VALU_DEP_1) | instskip(NEXT) | instid1(VALU_DEP_1)
	v_min_u32_e32 v33, 32, v30
	v_subrev_nc_u32_e32 v30, 28, v33
	v_sub_nc_u32_e32 v33, 29, v33
	s_delay_alu instid0(VALU_DEP_2) | instskip(NEXT) | instid1(VALU_DEP_1)
	v_lshlrev_b64 v[30:31], v30, v[8:9]
	v_and_b32_e32 v30, 7, v30
; %bb.776:                              ;   in Loop: Header=BB365_11 Depth=1
	s_or_b32 exec_lo, exec_lo, s20
	v_lshlrev_b32_e32 v8, 8, v32
	v_lshl_add_u32 v31, v33, 10, 0x2000
	s_delay_alu instid0(VALU_DEP_1) | instskip(NEXT) | instid1(VALU_DEP_1)
	v_and_or_b32 v8, 0x8000, v8, v31
	v_lshl_or_b32 v8, v30, 7, v8
	s_delay_alu instid0(VALU_DEP_1)
	v_cvt_f32_f16_e32 v109, v8
.LBB365_777:                            ;   in Loop: Header=BB365_11 Depth=1
	s_or_b32 exec_lo, exec_lo, s19
.LBB365_778:                            ;   in Loop: Header=BB365_11 Depth=1
	s_delay_alu instid0(SALU_CYCLE_1)
	s_or_b32 exec_lo, exec_lo, s18
.LBB365_779:                            ;   in Loop: Header=BB365_11 Depth=1
	s_delay_alu instid0(SALU_CYCLE_1) | instskip(SKIP_4) | instid1(VALU_DEP_1)
	s_or_b32 exec_lo, exec_lo, s17
	flat_load_b64 v[30:31], v[28:29] offset:3072
	s_mov_b32 s17, exec_lo
	s_waitcnt vmcnt(0) lgkmcnt(0)
	v_and_b32_e32 v8, 0xff, v30
	v_cmpx_ne_u16_e32 0, v8
	s_cbranch_execz .LBB365_787
; %bb.780:                              ;   in Loop: Header=BB365_11 Depth=1
	v_bfrev_b32_e32 v56, 1
	s_mov_b32 s18, exec_lo
	v_cmpx_ne_u16_e32 0x80, v8
	s_cbranch_execz .LBB365_786
; %bb.781:                              ;   in Loop: Header=BB365_11 Depth=1
	v_and_b32_e32 v32, 0x7f, v30
	v_mov_b32_e32 v56, 0x7fc02000
	s_mov_b32 s19, exec_lo
	s_delay_alu instid0(VALU_DEP_2)
	v_cmpx_ne_u32_e32 0x7f, v32
	s_cbranch_execz .LBB365_785
; %bb.782:                              ;   in Loop: Header=BB365_11 Depth=1
	v_lshrrev_b32_e32 v8, 3, v32
	v_cmp_gt_u32_e64 s1, 8, v32
	v_dual_mov_b32 v33, v31 :: v_dual_mov_b32 v32, v30
	s_delay_alu instid0(VALU_DEP_2)
	s_and_saveexec_b32 s20, s1
; %bb.783:                              ;   in Loop: Header=BB365_11 Depth=1
	v_and_b32_e32 v8, 7, v30
	s_delay_alu instid0(VALU_DEP_1) | instskip(NEXT) | instid1(VALU_DEP_1)
	v_clz_i32_u32_e32 v8, v8
	v_min_u32_e32 v8, 32, v8
	s_delay_alu instid0(VALU_DEP_1) | instskip(SKIP_1) | instid1(VALU_DEP_2)
	v_subrev_nc_u32_e32 v32, 28, v8
	v_sub_nc_u32_e32 v8, 29, v8
	v_lshlrev_b64 v[32:33], v32, v[30:31]
; %bb.784:                              ;   in Loop: Header=BB365_11 Depth=1
	s_or_b32 exec_lo, exec_lo, s20
	v_lshlrev_b32_e32 v33, 8, v30
	s_delay_alu instid0(VALU_DEP_3) | instskip(NEXT) | instid1(VALU_DEP_3)
	v_lshl_add_u32 v8, v8, 10, 0x2000
	v_lshlrev_b32_e32 v32, 7, v32
	s_delay_alu instid0(VALU_DEP_2) | instskip(NEXT) | instid1(VALU_DEP_1)
	v_and_or_b32 v8, 0x8000, v33, v8
	v_and_or_b32 v8, 0x380, v32, v8
	s_delay_alu instid0(VALU_DEP_1)
	v_cvt_f32_f16_e32 v56, v8
.LBB365_785:                            ;   in Loop: Header=BB365_11 Depth=1
	s_or_b32 exec_lo, exec_lo, s19
.LBB365_786:                            ;   in Loop: Header=BB365_11 Depth=1
	s_delay_alu instid0(SALU_CYCLE_1)
	s_or_b32 exec_lo, exec_lo, s18
.LBB365_787:                            ;   in Loop: Header=BB365_11 Depth=1
	s_delay_alu instid0(SALU_CYCLE_1) | instskip(SKIP_3) | instid1(VALU_DEP_2)
	s_or_b32 exec_lo, exec_lo, s17
	v_lshrrev_b16 v8, 8, v30
	v_dual_mov_b32 v57, 0 :: v_dual_mov_b32 v62, 0
	s_mov_b32 s17, exec_lo
	v_cmpx_ne_u16_e32 0, v8
	s_cbranch_execz .LBB365_795
; %bb.788:                              ;   in Loop: Header=BB365_11 Depth=1
	v_bfrev_b32_e32 v62, 1
	s_mov_b32 s18, exec_lo
	v_cmpx_ne_u16_e32 0x80, v8
	s_cbranch_execz .LBB365_794
; %bb.789:                              ;   in Loop: Header=BB365_11 Depth=1
	v_and_b32_e32 v59, 0xffff, v8
	v_mov_b32_e32 v62, 0x7fc02000
	s_mov_b32 s19, exec_lo
	s_delay_alu instid0(VALU_DEP_2) | instskip(NEXT) | instid1(VALU_DEP_1)
	v_and_b32_e32 v32, 0x7f, v59
	v_cmpx_ne_u32_e32 0x7f, v32
	s_cbranch_execz .LBB365_793
; %bb.790:                              ;   in Loop: Header=BB365_11 Depth=1
	v_and_b32_e32 v8, 7, v59
	v_lshrrev_b32_e32 v61, 3, v32
	v_cmp_gt_u32_e64 s1, 8, v32
	s_delay_alu instid0(VALU_DEP_3) | instskip(NEXT) | instid1(VALU_DEP_2)
	v_dual_mov_b32 v33, v9 :: v_dual_mov_b32 v32, v8
	s_and_saveexec_b32 s20, s1
; %bb.791:                              ;   in Loop: Header=BB365_11 Depth=1
	v_clz_i32_u32_e32 v32, v8
	s_delay_alu instid0(VALU_DEP_1) | instskip(NEXT) | instid1(VALU_DEP_1)
	v_min_u32_e32 v61, 32, v32
	v_subrev_nc_u32_e32 v32, 28, v61
	v_sub_nc_u32_e32 v61, 29, v61
	s_delay_alu instid0(VALU_DEP_2) | instskip(NEXT) | instid1(VALU_DEP_1)
	v_lshlrev_b64 v[32:33], v32, v[8:9]
	v_and_b32_e32 v32, 7, v32
; %bb.792:                              ;   in Loop: Header=BB365_11 Depth=1
	s_or_b32 exec_lo, exec_lo, s20
	v_lshlrev_b32_e32 v8, 8, v59
	v_lshl_add_u32 v33, v61, 10, 0x2000
	s_delay_alu instid0(VALU_DEP_1) | instskip(NEXT) | instid1(VALU_DEP_1)
	v_and_or_b32 v8, 0x8000, v8, v33
	v_lshl_or_b32 v8, v32, 7, v8
	s_delay_alu instid0(VALU_DEP_1)
	v_cvt_f32_f16_e32 v62, v8
.LBB365_793:                            ;   in Loop: Header=BB365_11 Depth=1
	s_or_b32 exec_lo, exec_lo, s19
.LBB365_794:                            ;   in Loop: Header=BB365_11 Depth=1
	s_delay_alu instid0(SALU_CYCLE_1)
	s_or_b32 exec_lo, exec_lo, s18
.LBB365_795:                            ;   in Loop: Header=BB365_11 Depth=1
	s_delay_alu instid0(SALU_CYCLE_1) | instskip(SKIP_2) | instid1(VALU_DEP_1)
	s_or_b32 exec_lo, exec_lo, s17
	v_lshrrev_b32_e32 v59, 16, v30
	s_mov_b32 s17, exec_lo
	v_and_b32_e32 v8, 0xff, v59
	s_delay_alu instid0(VALU_DEP_1)
	v_cmpx_ne_u16_e32 0, v8
	s_cbranch_execz .LBB365_803
; %bb.796:                              ;   in Loop: Header=BB365_11 Depth=1
	v_bfrev_b32_e32 v57, 1
	s_mov_b32 s18, exec_lo
	v_cmpx_ne_u16_e32 0x80, v8
	s_cbranch_execz .LBB365_802
; %bb.797:                              ;   in Loop: Header=BB365_11 Depth=1
	v_bfe_u32 v32, v30, 16, 7
	v_mov_b32_e32 v57, 0x7fc02000
	s_mov_b32 s19, exec_lo
	s_delay_alu instid0(VALU_DEP_2)
	v_cmpx_ne_u32_e32 0x7f, v32
	s_cbranch_execz .LBB365_801
; %bb.798:                              ;   in Loop: Header=BB365_11 Depth=1
	v_and_b32_e32 v8, 7, v59
	v_lshrrev_b32_e32 v57, 3, v32
	v_cmp_gt_u32_e64 s1, 8, v32
	s_delay_alu instid0(VALU_DEP_3) | instskip(NEXT) | instid1(VALU_DEP_2)
	v_dual_mov_b32 v33, v9 :: v_dual_mov_b32 v32, v8
	s_and_saveexec_b32 s20, s1
; %bb.799:                              ;   in Loop: Header=BB365_11 Depth=1
	v_clz_i32_u32_e32 v32, v8
	s_delay_alu instid0(VALU_DEP_1) | instskip(NEXT) | instid1(VALU_DEP_1)
	v_min_u32_e32 v57, 32, v32
	v_subrev_nc_u32_e32 v32, 28, v57
	v_sub_nc_u32_e32 v57, 29, v57
	s_delay_alu instid0(VALU_DEP_2) | instskip(NEXT) | instid1(VALU_DEP_1)
	v_lshlrev_b64 v[32:33], v32, v[8:9]
	v_and_b32_e32 v32, 7, v32
; %bb.800:                              ;   in Loop: Header=BB365_11 Depth=1
	s_or_b32 exec_lo, exec_lo, s20
	v_lshlrev_b32_e32 v8, 8, v59
	v_lshl_add_u32 v33, v57, 10, 0x2000
	s_delay_alu instid0(VALU_DEP_1) | instskip(NEXT) | instid1(VALU_DEP_1)
	v_and_or_b32 v8, 0x8000, v8, v33
	v_lshl_or_b32 v8, v32, 7, v8
	s_delay_alu instid0(VALU_DEP_1)
	v_cvt_f32_f16_e32 v57, v8
.LBB365_801:                            ;   in Loop: Header=BB365_11 Depth=1
	s_or_b32 exec_lo, exec_lo, s19
.LBB365_802:                            ;   in Loop: Header=BB365_11 Depth=1
	s_delay_alu instid0(SALU_CYCLE_1)
	s_or_b32 exec_lo, exec_lo, s18
.LBB365_803:                            ;   in Loop: Header=BB365_11 Depth=1
	s_delay_alu instid0(SALU_CYCLE_1)
	s_or_b32 exec_lo, exec_lo, s17
	v_mov_b32_e32 v79, 0
	v_mov_b32_e32 v59, 0
	s_mov_b32 s17, exec_lo
	v_cmpx_lt_u32_e32 0xffffff, v30
	s_cbranch_execz .LBB365_811
; %bb.804:                              ;   in Loop: Header=BB365_11 Depth=1
	v_lshrrev_b32_e32 v61, 24, v30
	v_bfrev_b32_e32 v59, 1
	s_mov_b32 s18, exec_lo
	s_delay_alu instid0(VALU_DEP_2)
	v_cmpx_ne_u32_e32 0x80, v61
	s_cbranch_execz .LBB365_810
; %bb.805:                              ;   in Loop: Header=BB365_11 Depth=1
	v_and_b32_e32 v32, 0x7f, v61
	v_mov_b32_e32 v59, 0x7fc02000
	s_mov_b32 s19, exec_lo
	s_delay_alu instid0(VALU_DEP_2)
	v_cmpx_ne_u32_e32 0x7f, v32
	s_cbranch_execz .LBB365_809
; %bb.806:                              ;   in Loop: Header=BB365_11 Depth=1
	v_and_b32_e32 v8, 7, v61
	v_lshrrev_b32_e32 v59, 3, v32
	v_cmp_gt_u32_e64 s1, 8, v32
	s_delay_alu instid0(VALU_DEP_3) | instskip(NEXT) | instid1(VALU_DEP_2)
	v_dual_mov_b32 v33, v9 :: v_dual_mov_b32 v32, v8
	s_and_saveexec_b32 s20, s1
; %bb.807:                              ;   in Loop: Header=BB365_11 Depth=1
	v_clz_i32_u32_e32 v32, v8
	s_delay_alu instid0(VALU_DEP_1) | instskip(NEXT) | instid1(VALU_DEP_1)
	v_min_u32_e32 v59, 32, v32
	v_subrev_nc_u32_e32 v32, 28, v59
	v_sub_nc_u32_e32 v59, 29, v59
	s_delay_alu instid0(VALU_DEP_2) | instskip(NEXT) | instid1(VALU_DEP_1)
	v_lshlrev_b64 v[32:33], v32, v[8:9]
	v_and_b32_e32 v32, 7, v32
; %bb.808:                              ;   in Loop: Header=BB365_11 Depth=1
	s_or_b32 exec_lo, exec_lo, s20
	v_lshlrev_b32_e32 v8, 8, v61
	v_lshl_add_u32 v33, v59, 10, 0x2000
	s_delay_alu instid0(VALU_DEP_1) | instskip(NEXT) | instid1(VALU_DEP_1)
	v_and_or_b32 v8, 0x8000, v8, v33
	v_lshl_or_b32 v8, v32, 7, v8
	s_delay_alu instid0(VALU_DEP_1)
	v_cvt_f32_f16_e32 v59, v8
.LBB365_809:                            ;   in Loop: Header=BB365_11 Depth=1
	s_or_b32 exec_lo, exec_lo, s19
.LBB365_810:                            ;   in Loop: Header=BB365_11 Depth=1
	s_delay_alu instid0(SALU_CYCLE_1)
	s_or_b32 exec_lo, exec_lo, s18
.LBB365_811:                            ;   in Loop: Header=BB365_11 Depth=1
	s_delay_alu instid0(SALU_CYCLE_1) | instskip(SKIP_3) | instid1(VALU_DEP_2)
	s_or_b32 exec_lo, exec_lo, s17
	v_and_b32_e32 v32, 0xff, v31
	v_mov_b32_e32 v8, v31
	s_mov_b32 s17, exec_lo
	v_cmpx_ne_u16_e32 0, v32
	s_cbranch_execz .LBB365_819
; %bb.812:                              ;   in Loop: Header=BB365_11 Depth=1
	v_bfrev_b32_e32 v79, 1
	s_mov_b32 s18, exec_lo
	v_cmpx_ne_u16_e32 0x80, v32
	s_cbranch_execz .LBB365_818
; %bb.813:                              ;   in Loop: Header=BB365_11 Depth=1
	v_and_b32_e32 v32, 0x7f, v31
	v_mov_b32_e32 v79, 0x7fc02000
	s_mov_b32 s19, exec_lo
	s_delay_alu instid0(VALU_DEP_2)
	v_cmpx_ne_u32_e32 0x7f, v32
	s_cbranch_execz .LBB365_817
; %bb.814:                              ;   in Loop: Header=BB365_11 Depth=1
	v_lshrrev_b32_e32 v61, 3, v32
	v_cmp_gt_u32_e64 s1, 8, v32
	v_dual_mov_b32 v33, v9 :: v_dual_mov_b32 v32, v8
	s_delay_alu instid0(VALU_DEP_2)
	s_and_saveexec_b32 s20, s1
; %bb.815:                              ;   in Loop: Header=BB365_11 Depth=1
	v_and_b32_e32 v32, 7, v31
	s_delay_alu instid0(VALU_DEP_1) | instskip(NEXT) | instid1(VALU_DEP_1)
	v_clz_i32_u32_e32 v32, v32
	v_min_u32_e32 v61, 32, v32
	s_delay_alu instid0(VALU_DEP_1) | instskip(SKIP_1) | instid1(VALU_DEP_2)
	v_subrev_nc_u32_e32 v32, 28, v61
	v_sub_nc_u32_e32 v61, 29, v61
	v_lshlrev_b64 v[32:33], v32, v[8:9]
; %bb.816:                              ;   in Loop: Header=BB365_11 Depth=1
	s_or_b32 exec_lo, exec_lo, s20
	v_lshlrev_b32_e32 v33, 8, v31
	s_delay_alu instid0(VALU_DEP_3) | instskip(NEXT) | instid1(VALU_DEP_3)
	v_lshl_add_u32 v61, v61, 10, 0x2000
	v_lshlrev_b32_e32 v32, 7, v32
	s_delay_alu instid0(VALU_DEP_2) | instskip(NEXT) | instid1(VALU_DEP_1)
	v_and_or_b32 v33, 0x8000, v33, v61
	v_and_or_b32 v32, 0x380, v32, v33
	s_delay_alu instid0(VALU_DEP_1)
	v_cvt_f32_f16_e32 v79, v32
.LBB365_817:                            ;   in Loop: Header=BB365_11 Depth=1
	s_or_b32 exec_lo, exec_lo, s19
.LBB365_818:                            ;   in Loop: Header=BB365_11 Depth=1
	s_delay_alu instid0(SALU_CYCLE_1)
	s_or_b32 exec_lo, exec_lo, s18
.LBB365_819:                            ;   in Loop: Header=BB365_11 Depth=1
	s_delay_alu instid0(SALU_CYCLE_1) | instskip(SKIP_3) | instid1(VALU_DEP_2)
	s_or_b32 exec_lo, exec_lo, s17
	v_lshrrev_b16 v8, 8, v8
	v_dual_mov_b32 v88, 0 :: v_dual_mov_b32 v89, 0
	s_mov_b32 s17, exec_lo
	v_cmpx_ne_u16_e32 0, v8
	s_cbranch_execz .LBB365_827
; %bb.820:                              ;   in Loop: Header=BB365_11 Depth=1
	v_bfrev_b32_e32 v89, 1
	s_mov_b32 s18, exec_lo
	v_cmpx_ne_u16_e32 0x80, v8
	s_cbranch_execz .LBB365_826
; %bb.821:                              ;   in Loop: Header=BB365_11 Depth=1
	v_and_b32_e32 v61, 0xffff, v8
	v_mov_b32_e32 v89, 0x7fc02000
	s_mov_b32 s19, exec_lo
	s_delay_alu instid0(VALU_DEP_2) | instskip(NEXT) | instid1(VALU_DEP_1)
	v_and_b32_e32 v32, 0x7f, v61
	v_cmpx_ne_u32_e32 0x7f, v32
	s_cbranch_execz .LBB365_825
; %bb.822:                              ;   in Loop: Header=BB365_11 Depth=1
	v_and_b32_e32 v8, 7, v61
	v_lshrrev_b32_e32 v63, 3, v32
	v_cmp_gt_u32_e64 s1, 8, v32
	s_delay_alu instid0(VALU_DEP_3) | instskip(NEXT) | instid1(VALU_DEP_2)
	v_dual_mov_b32 v33, v9 :: v_dual_mov_b32 v32, v8
	s_and_saveexec_b32 s20, s1
; %bb.823:                              ;   in Loop: Header=BB365_11 Depth=1
	v_clz_i32_u32_e32 v32, v8
	s_delay_alu instid0(VALU_DEP_1) | instskip(NEXT) | instid1(VALU_DEP_1)
	v_min_u32_e32 v63, 32, v32
	v_subrev_nc_u32_e32 v32, 28, v63
	v_sub_nc_u32_e32 v63, 29, v63
	s_delay_alu instid0(VALU_DEP_2) | instskip(NEXT) | instid1(VALU_DEP_1)
	v_lshlrev_b64 v[32:33], v32, v[8:9]
	v_and_b32_e32 v32, 7, v32
; %bb.824:                              ;   in Loop: Header=BB365_11 Depth=1
	s_or_b32 exec_lo, exec_lo, s20
	v_lshlrev_b32_e32 v8, 8, v61
	v_lshl_add_u32 v33, v63, 10, 0x2000
	s_delay_alu instid0(VALU_DEP_1) | instskip(NEXT) | instid1(VALU_DEP_1)
	v_and_or_b32 v8, 0x8000, v8, v33
	v_lshl_or_b32 v8, v32, 7, v8
	s_delay_alu instid0(VALU_DEP_1)
	v_cvt_f32_f16_e32 v89, v8
.LBB365_825:                            ;   in Loop: Header=BB365_11 Depth=1
	s_or_b32 exec_lo, exec_lo, s19
.LBB365_826:                            ;   in Loop: Header=BB365_11 Depth=1
	s_delay_alu instid0(SALU_CYCLE_1)
	s_or_b32 exec_lo, exec_lo, s18
.LBB365_827:                            ;   in Loop: Header=BB365_11 Depth=1
	s_delay_alu instid0(SALU_CYCLE_1) | instskip(SKIP_2) | instid1(VALU_DEP_1)
	s_or_b32 exec_lo, exec_lo, s17
	v_lshrrev_b32_e32 v61, 16, v31
	s_mov_b32 s17, exec_lo
	v_and_b32_e32 v8, 0xff, v61
	s_delay_alu instid0(VALU_DEP_1)
	v_cmpx_ne_u16_e32 0, v8
	s_cbranch_execz .LBB365_835
; %bb.828:                              ;   in Loop: Header=BB365_11 Depth=1
	v_bfrev_b32_e32 v88, 1
	s_mov_b32 s18, exec_lo
	v_cmpx_ne_u16_e32 0x80, v8
	s_cbranch_execz .LBB365_834
; %bb.829:                              ;   in Loop: Header=BB365_11 Depth=1
	v_bfe_u32 v32, v31, 16, 7
	v_mov_b32_e32 v88, 0x7fc02000
	s_mov_b32 s19, exec_lo
	s_delay_alu instid0(VALU_DEP_2)
	v_cmpx_ne_u32_e32 0x7f, v32
	s_cbranch_execz .LBB365_833
; %bb.830:                              ;   in Loop: Header=BB365_11 Depth=1
	v_and_b32_e32 v8, 7, v61
	v_lshrrev_b32_e32 v63, 3, v32
	v_cmp_gt_u32_e64 s1, 8, v32
	s_delay_alu instid0(VALU_DEP_3) | instskip(NEXT) | instid1(VALU_DEP_2)
	v_dual_mov_b32 v33, v9 :: v_dual_mov_b32 v32, v8
	s_and_saveexec_b32 s20, s1
; %bb.831:                              ;   in Loop: Header=BB365_11 Depth=1
	v_clz_i32_u32_e32 v32, v8
	s_delay_alu instid0(VALU_DEP_1) | instskip(NEXT) | instid1(VALU_DEP_1)
	v_min_u32_e32 v63, 32, v32
	v_subrev_nc_u32_e32 v32, 28, v63
	v_sub_nc_u32_e32 v63, 29, v63
	s_delay_alu instid0(VALU_DEP_2) | instskip(NEXT) | instid1(VALU_DEP_1)
	v_lshlrev_b64 v[32:33], v32, v[8:9]
	v_and_b32_e32 v32, 7, v32
; %bb.832:                              ;   in Loop: Header=BB365_11 Depth=1
	s_or_b32 exec_lo, exec_lo, s20
	v_lshlrev_b32_e32 v8, 8, v61
	v_lshl_add_u32 v33, v63, 10, 0x2000
	s_delay_alu instid0(VALU_DEP_1) | instskip(NEXT) | instid1(VALU_DEP_1)
	v_and_or_b32 v8, 0x8000, v8, v33
	v_lshl_or_b32 v8, v32, 7, v8
	s_delay_alu instid0(VALU_DEP_1)
	v_cvt_f32_f16_e32 v88, v8
.LBB365_833:                            ;   in Loop: Header=BB365_11 Depth=1
	s_or_b32 exec_lo, exec_lo, s19
.LBB365_834:                            ;   in Loop: Header=BB365_11 Depth=1
	s_delay_alu instid0(SALU_CYCLE_1)
	s_or_b32 exec_lo, exec_lo, s18
.LBB365_835:                            ;   in Loop: Header=BB365_11 Depth=1
	s_delay_alu instid0(SALU_CYCLE_1)
	s_or_b32 exec_lo, exec_lo, s17
	v_mov_b32_e32 v122, 0
	v_mov_b32_e32 v32, 0
	s_mov_b32 s17, exec_lo
	v_cmpx_lt_u64_e64 s[2:3], v[30:31]
	s_cbranch_execz .LBB365_843
; %bb.836:                              ;   in Loop: Header=BB365_11 Depth=1
	v_lshrrev_b32_e32 v33, 24, v31
	v_bfrev_b32_e32 v32, 1
	s_mov_b32 s18, exec_lo
	s_delay_alu instid0(VALU_DEP_2)
	v_cmpx_ne_u32_e32 0x80, v33
	s_cbranch_execz .LBB365_842
; %bb.837:                              ;   in Loop: Header=BB365_11 Depth=1
	v_and_b32_e32 v61, 0x7f, v33
	v_mov_b32_e32 v32, 0x7fc02000
	s_mov_b32 s19, exec_lo
	s_delay_alu instid0(VALU_DEP_2)
	v_cmpx_ne_u32_e32 0x7f, v61
	s_cbranch_execz .LBB365_841
; %bb.838:                              ;   in Loop: Header=BB365_11 Depth=1
	v_and_b32_e32 v8, 7, v33
	v_lshrrev_b32_e32 v32, 3, v61
	v_mov_b32_e32 v31, v9
	s_mov_b32 s20, exec_lo
	s_delay_alu instid0(VALU_DEP_3)
	v_mov_b32_e32 v30, v8
	v_cmpx_gt_u32_e32 8, v61
; %bb.839:                              ;   in Loop: Header=BB365_11 Depth=1
	v_clz_i32_u32_e32 v30, v8
	s_delay_alu instid0(VALU_DEP_1) | instskip(NEXT) | instid1(VALU_DEP_1)
	v_min_u32_e32 v32, 32, v30
	v_subrev_nc_u32_e32 v30, 28, v32
	v_sub_nc_u32_e32 v32, 29, v32
	s_delay_alu instid0(VALU_DEP_2) | instskip(NEXT) | instid1(VALU_DEP_1)
	v_lshlrev_b64 v[30:31], v30, v[8:9]
	v_and_b32_e32 v30, 7, v30
; %bb.840:                              ;   in Loop: Header=BB365_11 Depth=1
	s_or_b32 exec_lo, exec_lo, s20
	v_lshlrev_b32_e32 v8, 8, v33
	v_lshl_add_u32 v31, v32, 10, 0x2000
	s_delay_alu instid0(VALU_DEP_1) | instskip(NEXT) | instid1(VALU_DEP_1)
	v_and_or_b32 v8, 0x8000, v8, v31
	v_lshl_or_b32 v8, v30, 7, v8
	s_delay_alu instid0(VALU_DEP_1)
	v_cvt_f32_f16_e32 v32, v8
.LBB365_841:                            ;   in Loop: Header=BB365_11 Depth=1
	s_or_b32 exec_lo, exec_lo, s19
.LBB365_842:                            ;   in Loop: Header=BB365_11 Depth=1
	s_delay_alu instid0(SALU_CYCLE_1)
	s_or_b32 exec_lo, exec_lo, s18
.LBB365_843:                            ;   in Loop: Header=BB365_11 Depth=1
	s_delay_alu instid0(SALU_CYCLE_1) | instskip(SKIP_4) | instid1(VALU_DEP_1)
	s_or_b32 exec_lo, exec_lo, s17
	flat_load_b64 v[28:29], v[28:29] offset:3080
	s_mov_b32 s17, exec_lo
	s_waitcnt vmcnt(0) lgkmcnt(0)
	v_and_b32_e32 v8, 0xff, v28
	v_cmpx_ne_u16_e32 0, v8
	s_cbranch_execz .LBB365_851
; %bb.844:                              ;   in Loop: Header=BB365_11 Depth=1
	v_bfrev_b32_e32 v122, 1
	s_mov_b32 s18, exec_lo
	v_cmpx_ne_u16_e32 0x80, v8
	s_cbranch_execz .LBB365_850
; %bb.845:                              ;   in Loop: Header=BB365_11 Depth=1
	v_and_b32_e32 v30, 0x7f, v28
	v_mov_b32_e32 v122, 0x7fc02000
	s_mov_b32 s19, exec_lo
	s_delay_alu instid0(VALU_DEP_2)
	v_cmpx_ne_u32_e32 0x7f, v30
	s_cbranch_execz .LBB365_849
; %bb.846:                              ;   in Loop: Header=BB365_11 Depth=1
	v_lshrrev_b32_e32 v8, 3, v30
	v_cmp_gt_u32_e64 s1, 8, v30
	v_dual_mov_b32 v31, v29 :: v_dual_mov_b32 v30, v28
	s_delay_alu instid0(VALU_DEP_2)
	s_and_saveexec_b32 s20, s1
; %bb.847:                              ;   in Loop: Header=BB365_11 Depth=1
	v_and_b32_e32 v8, 7, v28
	s_delay_alu instid0(VALU_DEP_1) | instskip(NEXT) | instid1(VALU_DEP_1)
	v_clz_i32_u32_e32 v8, v8
	v_min_u32_e32 v8, 32, v8
	s_delay_alu instid0(VALU_DEP_1) | instskip(SKIP_1) | instid1(VALU_DEP_2)
	v_subrev_nc_u32_e32 v30, 28, v8
	v_sub_nc_u32_e32 v8, 29, v8
	v_lshlrev_b64 v[30:31], v30, v[28:29]
; %bb.848:                              ;   in Loop: Header=BB365_11 Depth=1
	s_or_b32 exec_lo, exec_lo, s20
	v_lshlrev_b32_e32 v31, 8, v28
	s_delay_alu instid0(VALU_DEP_3) | instskip(NEXT) | instid1(VALU_DEP_3)
	v_lshl_add_u32 v8, v8, 10, 0x2000
	v_lshlrev_b32_e32 v30, 7, v30
	s_delay_alu instid0(VALU_DEP_2) | instskip(NEXT) | instid1(VALU_DEP_1)
	v_and_or_b32 v8, 0x8000, v31, v8
	v_and_or_b32 v8, 0x380, v30, v8
	s_delay_alu instid0(VALU_DEP_1)
	v_cvt_f32_f16_e32 v122, v8
.LBB365_849:                            ;   in Loop: Header=BB365_11 Depth=1
	s_or_b32 exec_lo, exec_lo, s19
.LBB365_850:                            ;   in Loop: Header=BB365_11 Depth=1
	s_delay_alu instid0(SALU_CYCLE_1)
	s_or_b32 exec_lo, exec_lo, s18
.LBB365_851:                            ;   in Loop: Header=BB365_11 Depth=1
	s_delay_alu instid0(SALU_CYCLE_1) | instskip(SKIP_3) | instid1(VALU_DEP_2)
	s_or_b32 exec_lo, exec_lo, s17
	v_lshrrev_b16 v8, 8, v28
	v_dual_mov_b32 v123, 0 :: v_dual_mov_b32 v124, 0
	s_mov_b32 s17, exec_lo
	v_cmpx_ne_u16_e32 0, v8
	s_cbranch_execz .LBB365_859
; %bb.852:                              ;   in Loop: Header=BB365_11 Depth=1
	v_bfrev_b32_e32 v124, 1
	s_mov_b32 s18, exec_lo
	v_cmpx_ne_u16_e32 0x80, v8
	s_cbranch_execz .LBB365_858
; %bb.853:                              ;   in Loop: Header=BB365_11 Depth=1
	v_and_b32_e32 v33, 0xffff, v8
	v_mov_b32_e32 v124, 0x7fc02000
	s_mov_b32 s19, exec_lo
	s_delay_alu instid0(VALU_DEP_2) | instskip(NEXT) | instid1(VALU_DEP_1)
	v_and_b32_e32 v63, 0x7f, v33
	v_cmpx_ne_u32_e32 0x7f, v63
	s_cbranch_execz .LBB365_857
; %bb.854:                              ;   in Loop: Header=BB365_11 Depth=1
	v_and_b32_e32 v8, 7, v33
	v_lshrrev_b32_e32 v61, 3, v63
	v_mov_b32_e32 v31, v9
	s_mov_b32 s20, exec_lo
	s_delay_alu instid0(VALU_DEP_3)
	v_mov_b32_e32 v30, v8
	v_cmpx_gt_u32_e32 8, v63
; %bb.855:                              ;   in Loop: Header=BB365_11 Depth=1
	v_clz_i32_u32_e32 v30, v8
	s_delay_alu instid0(VALU_DEP_1) | instskip(NEXT) | instid1(VALU_DEP_1)
	v_min_u32_e32 v61, 32, v30
	v_subrev_nc_u32_e32 v30, 28, v61
	v_sub_nc_u32_e32 v61, 29, v61
	s_delay_alu instid0(VALU_DEP_2) | instskip(NEXT) | instid1(VALU_DEP_1)
	v_lshlrev_b64 v[30:31], v30, v[8:9]
	v_and_b32_e32 v30, 7, v30
; %bb.856:                              ;   in Loop: Header=BB365_11 Depth=1
	s_or_b32 exec_lo, exec_lo, s20
	v_lshlrev_b32_e32 v8, 8, v33
	v_lshl_add_u32 v31, v61, 10, 0x2000
	s_delay_alu instid0(VALU_DEP_1) | instskip(NEXT) | instid1(VALU_DEP_1)
	v_and_or_b32 v8, 0x8000, v8, v31
	v_lshl_or_b32 v8, v30, 7, v8
	s_delay_alu instid0(VALU_DEP_1)
	v_cvt_f32_f16_e32 v124, v8
.LBB365_857:                            ;   in Loop: Header=BB365_11 Depth=1
	s_or_b32 exec_lo, exec_lo, s19
.LBB365_858:                            ;   in Loop: Header=BB365_11 Depth=1
	s_delay_alu instid0(SALU_CYCLE_1)
	s_or_b32 exec_lo, exec_lo, s18
.LBB365_859:                            ;   in Loop: Header=BB365_11 Depth=1
	s_delay_alu instid0(SALU_CYCLE_1) | instskip(SKIP_2) | instid1(VALU_DEP_1)
	s_or_b32 exec_lo, exec_lo, s17
	v_lshrrev_b32_e32 v33, 16, v28
	s_mov_b32 s17, exec_lo
	v_and_b32_e32 v8, 0xff, v33
	s_delay_alu instid0(VALU_DEP_1)
	v_cmpx_ne_u16_e32 0, v8
	s_cbranch_execz .LBB365_867
; %bb.860:                              ;   in Loop: Header=BB365_11 Depth=1
	v_bfrev_b32_e32 v123, 1
	s_mov_b32 s18, exec_lo
	v_cmpx_ne_u16_e32 0x80, v8
	s_cbranch_execz .LBB365_866
; %bb.861:                              ;   in Loop: Header=BB365_11 Depth=1
	v_bfe_u32 v63, v28, 16, 7
	v_mov_b32_e32 v123, 0x7fc02000
	s_mov_b32 s19, exec_lo
	s_delay_alu instid0(VALU_DEP_2)
	v_cmpx_ne_u32_e32 0x7f, v63
	s_cbranch_execz .LBB365_865
; %bb.862:                              ;   in Loop: Header=BB365_11 Depth=1
	v_and_b32_e32 v8, 7, v33
	v_lshrrev_b32_e32 v61, 3, v63
	v_mov_b32_e32 v31, v9
	s_mov_b32 s20, exec_lo
	s_delay_alu instid0(VALU_DEP_3)
	v_mov_b32_e32 v30, v8
	v_cmpx_gt_u32_e32 8, v63
; %bb.863:                              ;   in Loop: Header=BB365_11 Depth=1
	v_clz_i32_u32_e32 v30, v8
	s_delay_alu instid0(VALU_DEP_1) | instskip(NEXT) | instid1(VALU_DEP_1)
	v_min_u32_e32 v61, 32, v30
	v_subrev_nc_u32_e32 v30, 28, v61
	v_sub_nc_u32_e32 v61, 29, v61
	s_delay_alu instid0(VALU_DEP_2) | instskip(NEXT) | instid1(VALU_DEP_1)
	v_lshlrev_b64 v[30:31], v30, v[8:9]
	v_and_b32_e32 v30, 7, v30
; %bb.864:                              ;   in Loop: Header=BB365_11 Depth=1
	s_or_b32 exec_lo, exec_lo, s20
	v_lshlrev_b32_e32 v8, 8, v33
	v_lshl_add_u32 v31, v61, 10, 0x2000
	s_delay_alu instid0(VALU_DEP_1) | instskip(NEXT) | instid1(VALU_DEP_1)
	v_and_or_b32 v8, 0x8000, v8, v31
	v_lshl_or_b32 v8, v30, 7, v8
	s_delay_alu instid0(VALU_DEP_1)
	v_cvt_f32_f16_e32 v123, v8
.LBB365_865:                            ;   in Loop: Header=BB365_11 Depth=1
	s_or_b32 exec_lo, exec_lo, s19
.LBB365_866:                            ;   in Loop: Header=BB365_11 Depth=1
	s_delay_alu instid0(SALU_CYCLE_1)
	s_or_b32 exec_lo, exec_lo, s18
.LBB365_867:                            ;   in Loop: Header=BB365_11 Depth=1
	s_delay_alu instid0(SALU_CYCLE_1)
	s_or_b32 exec_lo, exec_lo, s17
	v_dual_mov_b32 v125, 0 :: v_dual_mov_b32 v126, 0
	s_mov_b32 s17, exec_lo
	v_cmpx_lt_u32_e32 0xffffff, v28
	s_cbranch_execz .LBB365_875
; %bb.868:                              ;   in Loop: Header=BB365_11 Depth=1
	v_lshrrev_b32_e32 v33, 24, v28
	v_bfrev_b32_e32 v126, 1
	s_mov_b32 s18, exec_lo
	s_delay_alu instid0(VALU_DEP_2)
	v_cmpx_ne_u32_e32 0x80, v33
	s_cbranch_execz .LBB365_874
; %bb.869:                              ;   in Loop: Header=BB365_11 Depth=1
	v_and_b32_e32 v63, 0x7f, v33
	v_mov_b32_e32 v126, 0x7fc02000
	s_mov_b32 s19, exec_lo
	s_delay_alu instid0(VALU_DEP_2)
	v_cmpx_ne_u32_e32 0x7f, v63
	s_cbranch_execz .LBB365_873
; %bb.870:                              ;   in Loop: Header=BB365_11 Depth=1
	v_and_b32_e32 v8, 7, v33
	v_lshrrev_b32_e32 v61, 3, v63
	v_mov_b32_e32 v31, v9
	s_mov_b32 s20, exec_lo
	s_delay_alu instid0(VALU_DEP_3)
	v_mov_b32_e32 v30, v8
	v_cmpx_gt_u32_e32 8, v63
; %bb.871:                              ;   in Loop: Header=BB365_11 Depth=1
	v_clz_i32_u32_e32 v30, v8
	s_delay_alu instid0(VALU_DEP_1) | instskip(NEXT) | instid1(VALU_DEP_1)
	v_min_u32_e32 v61, 32, v30
	v_subrev_nc_u32_e32 v30, 28, v61
	v_sub_nc_u32_e32 v61, 29, v61
	s_delay_alu instid0(VALU_DEP_2) | instskip(NEXT) | instid1(VALU_DEP_1)
	v_lshlrev_b64 v[30:31], v30, v[8:9]
	v_and_b32_e32 v30, 7, v30
; %bb.872:                              ;   in Loop: Header=BB365_11 Depth=1
	s_or_b32 exec_lo, exec_lo, s20
	v_lshlrev_b32_e32 v8, 8, v33
	v_lshl_add_u32 v31, v61, 10, 0x2000
	s_delay_alu instid0(VALU_DEP_1) | instskip(NEXT) | instid1(VALU_DEP_1)
	v_and_or_b32 v8, 0x8000, v8, v31
	v_lshl_or_b32 v8, v30, 7, v8
	s_delay_alu instid0(VALU_DEP_1)
	v_cvt_f32_f16_e32 v126, v8
.LBB365_873:                            ;   in Loop: Header=BB365_11 Depth=1
	s_or_b32 exec_lo, exec_lo, s19
.LBB365_874:                            ;   in Loop: Header=BB365_11 Depth=1
	s_delay_alu instid0(SALU_CYCLE_1)
	s_or_b32 exec_lo, exec_lo, s18
.LBB365_875:                            ;   in Loop: Header=BB365_11 Depth=1
	s_delay_alu instid0(SALU_CYCLE_1) | instskip(SKIP_3) | instid1(VALU_DEP_2)
	s_or_b32 exec_lo, exec_lo, s17
	v_and_b32_e32 v30, 0xff, v29
	v_mov_b32_e32 v8, v29
	s_mov_b32 s17, exec_lo
	v_cmpx_ne_u16_e32 0, v30
	s_cbranch_execz .LBB365_883
; %bb.876:                              ;   in Loop: Header=BB365_11 Depth=1
	v_bfrev_b32_e32 v125, 1
	s_mov_b32 s18, exec_lo
	v_cmpx_ne_u16_e32 0x80, v30
	s_cbranch_execz .LBB365_882
; %bb.877:                              ;   in Loop: Header=BB365_11 Depth=1
	v_and_b32_e32 v33, 0x7f, v29
	v_mov_b32_e32 v125, 0x7fc02000
	s_mov_b32 s19, exec_lo
	s_delay_alu instid0(VALU_DEP_2)
	v_cmpx_ne_u32_e32 0x7f, v33
	s_cbranch_execz .LBB365_881
; %bb.878:                              ;   in Loop: Header=BB365_11 Depth=1
	v_dual_mov_b32 v31, v9 :: v_dual_mov_b32 v30, v8
	v_lshrrev_b32_e32 v31, 3, v33
	s_mov_b32 s20, exec_lo
	v_cmpx_gt_u32_e32 8, v33
; %bb.879:                              ;   in Loop: Header=BB365_11 Depth=1
	v_and_b32_e32 v30, 7, v29
	s_delay_alu instid0(VALU_DEP_1) | instskip(NEXT) | instid1(VALU_DEP_1)
	v_clz_i32_u32_e32 v30, v30
	v_min_u32_e32 v33, 32, v30
	s_delay_alu instid0(VALU_DEP_1) | instskip(NEXT) | instid1(VALU_DEP_1)
	v_subrev_nc_u32_e32 v30, 28, v33
	v_lshlrev_b64 v[30:31], v30, v[8:9]
	v_sub_nc_u32_e32 v31, 29, v33
; %bb.880:                              ;   in Loop: Header=BB365_11 Depth=1
	s_or_b32 exec_lo, exec_lo, s20
	v_lshlrev_b32_e32 v33, 8, v29
	s_delay_alu instid0(VALU_DEP_2) | instskip(NEXT) | instid1(VALU_DEP_4)
	v_lshl_add_u32 v31, v31, 10, 0x2000
	v_lshlrev_b32_e32 v30, 7, v30
	s_delay_alu instid0(VALU_DEP_2) | instskip(NEXT) | instid1(VALU_DEP_1)
	v_and_or_b32 v31, 0x8000, v33, v31
	v_and_or_b32 v30, 0x380, v30, v31
	s_delay_alu instid0(VALU_DEP_1)
	v_cvt_f32_f16_e32 v125, v30
.LBB365_881:                            ;   in Loop: Header=BB365_11 Depth=1
	s_or_b32 exec_lo, exec_lo, s19
.LBB365_882:                            ;   in Loop: Header=BB365_11 Depth=1
	s_delay_alu instid0(SALU_CYCLE_1)
	s_or_b32 exec_lo, exec_lo, s18
.LBB365_883:                            ;   in Loop: Header=BB365_11 Depth=1
	s_delay_alu instid0(SALU_CYCLE_1) | instskip(SKIP_3) | instid1(VALU_DEP_2)
	s_or_b32 exec_lo, exec_lo, s17
	v_lshrrev_b16 v8, 8, v8
	v_dual_mov_b32 v127, 0 :: v_dual_mov_b32 v136, 0
	s_mov_b32 s17, exec_lo
	v_cmpx_ne_u16_e32 0, v8
	s_cbranch_execz .LBB365_891
; %bb.884:                              ;   in Loop: Header=BB365_11 Depth=1
	v_bfrev_b32_e32 v136, 1
	s_mov_b32 s18, exec_lo
	v_cmpx_ne_u16_e32 0x80, v8
	s_cbranch_execz .LBB365_890
; %bb.885:                              ;   in Loop: Header=BB365_11 Depth=1
	v_and_b32_e32 v33, 0xffff, v8
	v_mov_b32_e32 v136, 0x7fc02000
	s_mov_b32 s19, exec_lo
	s_delay_alu instid0(VALU_DEP_2) | instskip(NEXT) | instid1(VALU_DEP_1)
	v_and_b32_e32 v63, 0x7f, v33
	v_cmpx_ne_u32_e32 0x7f, v63
	s_cbranch_execz .LBB365_889
; %bb.886:                              ;   in Loop: Header=BB365_11 Depth=1
	v_and_b32_e32 v8, 7, v33
	v_lshrrev_b32_e32 v61, 3, v63
	v_mov_b32_e32 v31, v9
	s_mov_b32 s20, exec_lo
	s_delay_alu instid0(VALU_DEP_3)
	v_mov_b32_e32 v30, v8
	v_cmpx_gt_u32_e32 8, v63
; %bb.887:                              ;   in Loop: Header=BB365_11 Depth=1
	v_clz_i32_u32_e32 v30, v8
	s_delay_alu instid0(VALU_DEP_1) | instskip(NEXT) | instid1(VALU_DEP_1)
	v_min_u32_e32 v61, 32, v30
	v_subrev_nc_u32_e32 v30, 28, v61
	v_sub_nc_u32_e32 v61, 29, v61
	s_delay_alu instid0(VALU_DEP_2) | instskip(NEXT) | instid1(VALU_DEP_1)
	v_lshlrev_b64 v[30:31], v30, v[8:9]
	v_and_b32_e32 v30, 7, v30
; %bb.888:                              ;   in Loop: Header=BB365_11 Depth=1
	s_or_b32 exec_lo, exec_lo, s20
	v_lshlrev_b32_e32 v8, 8, v33
	v_lshl_add_u32 v31, v61, 10, 0x2000
	s_delay_alu instid0(VALU_DEP_1) | instskip(NEXT) | instid1(VALU_DEP_1)
	v_and_or_b32 v8, 0x8000, v8, v31
	v_lshl_or_b32 v8, v30, 7, v8
	s_delay_alu instid0(VALU_DEP_1)
	v_cvt_f32_f16_e64 v136, v8
.LBB365_889:                            ;   in Loop: Header=BB365_11 Depth=1
	s_or_b32 exec_lo, exec_lo, s19
.LBB365_890:                            ;   in Loop: Header=BB365_11 Depth=1
	s_delay_alu instid0(SALU_CYCLE_1)
	s_or_b32 exec_lo, exec_lo, s18
.LBB365_891:                            ;   in Loop: Header=BB365_11 Depth=1
	s_delay_alu instid0(SALU_CYCLE_1) | instskip(SKIP_2) | instid1(VALU_DEP_1)
	s_or_b32 exec_lo, exec_lo, s17
	v_lshrrev_b32_e32 v33, 16, v29
	s_mov_b32 s17, exec_lo
	v_and_b32_e32 v8, 0xff, v33
	s_delay_alu instid0(VALU_DEP_1)
	v_cmpx_ne_u16_e32 0, v8
	s_cbranch_execz .LBB365_899
; %bb.892:                              ;   in Loop: Header=BB365_11 Depth=1
	v_bfrev_b32_e32 v127, 1
	s_mov_b32 s18, exec_lo
	v_cmpx_ne_u16_e32 0x80, v8
	s_cbranch_execz .LBB365_898
; %bb.893:                              ;   in Loop: Header=BB365_11 Depth=1
	v_bfe_u32 v63, v29, 16, 7
	v_mov_b32_e32 v127, 0x7fc02000
	s_mov_b32 s19, exec_lo
	s_delay_alu instid0(VALU_DEP_2)
	v_cmpx_ne_u32_e32 0x7f, v63
	s_cbranch_execz .LBB365_897
; %bb.894:                              ;   in Loop: Header=BB365_11 Depth=1
	v_and_b32_e32 v8, 7, v33
	v_lshrrev_b32_e32 v61, 3, v63
	v_mov_b32_e32 v31, v9
	s_mov_b32 s20, exec_lo
	s_delay_alu instid0(VALU_DEP_3)
	v_mov_b32_e32 v30, v8
	v_cmpx_gt_u32_e32 8, v63
; %bb.895:                              ;   in Loop: Header=BB365_11 Depth=1
	v_clz_i32_u32_e32 v30, v8
	s_delay_alu instid0(VALU_DEP_1) | instskip(NEXT) | instid1(VALU_DEP_1)
	v_min_u32_e32 v61, 32, v30
	v_subrev_nc_u32_e32 v30, 28, v61
	v_sub_nc_u32_e32 v61, 29, v61
	s_delay_alu instid0(VALU_DEP_2) | instskip(NEXT) | instid1(VALU_DEP_1)
	v_lshlrev_b64 v[30:31], v30, v[8:9]
	v_and_b32_e32 v30, 7, v30
; %bb.896:                              ;   in Loop: Header=BB365_11 Depth=1
	s_or_b32 exec_lo, exec_lo, s20
	v_lshlrev_b32_e32 v8, 8, v33
	v_lshl_add_u32 v31, v61, 10, 0x2000
	s_delay_alu instid0(VALU_DEP_1) | instskip(NEXT) | instid1(VALU_DEP_1)
	v_and_or_b32 v8, 0x8000, v8, v31
	v_lshl_or_b32 v8, v30, 7, v8
	s_delay_alu instid0(VALU_DEP_1)
	v_cvt_f32_f16_e32 v127, v8
.LBB365_897:                            ;   in Loop: Header=BB365_11 Depth=1
	s_or_b32 exec_lo, exec_lo, s19
.LBB365_898:                            ;   in Loop: Header=BB365_11 Depth=1
	s_delay_alu instid0(SALU_CYCLE_1)
	s_or_b32 exec_lo, exec_lo, s18
.LBB365_899:                            ;   in Loop: Header=BB365_11 Depth=1
	s_delay_alu instid0(SALU_CYCLE_1) | instskip(SKIP_2) | instid1(VALU_DEP_2)
	s_or_b32 exec_lo, exec_lo, s17
	v_cmp_lt_u64_e64 s1, s[2:3], v[28:29]
	v_mov_b32_e32 v28, 0
	s_and_saveexec_b32 s17, s1
	s_cbranch_execz .LBB365_10
; %bb.900:                              ;   in Loop: Header=BB365_11 Depth=1
	v_lshrrev_b32_e32 v30, 24, v29
	v_bfrev_b32_e32 v28, 1
	s_mov_b32 s18, exec_lo
	s_delay_alu instid0(VALU_DEP_2)
	v_cmpx_ne_u32_e32 0x80, v30
	s_cbranch_execz .LBB365_9
; %bb.901:                              ;   in Loop: Header=BB365_11 Depth=1
	v_and_b32_e32 v33, 0x7f, v30
	v_mov_b32_e32 v28, 0x7fc02000
	s_mov_b32 s19, exec_lo
	s_delay_alu instid0(VALU_DEP_2)
	v_cmpx_ne_u32_e32 0x7f, v33
	s_cbranch_execz .LBB365_8
; %bb.902:                              ;   in Loop: Header=BB365_11 Depth=1
	v_and_b32_e32 v8, 7, v30
	v_lshrrev_b32_e32 v31, 3, v33
	v_mov_b32_e32 v29, v9
	s_mov_b32 s20, exec_lo
	s_delay_alu instid0(VALU_DEP_3)
	v_mov_b32_e32 v28, v8
	v_cmpx_gt_u32_e32 8, v33
	s_cbranch_execz .LBB365_7
; %bb.903:                              ;   in Loop: Header=BB365_11 Depth=1
	v_clz_i32_u32_e32 v28, v8
	s_delay_alu instid0(VALU_DEP_1) | instskip(NEXT) | instid1(VALU_DEP_1)
	v_min_u32_e32 v31, 32, v28
	v_subrev_nc_u32_e32 v28, 28, v31
	v_sub_nc_u32_e32 v31, 29, v31
	s_delay_alu instid0(VALU_DEP_2) | instskip(NEXT) | instid1(VALU_DEP_1)
	v_lshlrev_b64 v[28:29], v28, v[8:9]
	v_and_b32_e32 v28, 7, v28
	s_branch .LBB365_7
.LBB365_904:
	s_or_b32 exec_lo, exec_lo, s7
.LBB365_905:
	s_delay_alu instid0(SALU_CYCLE_1) | instskip(SKIP_2) | instid1(VALU_DEP_1)
	s_or_b32 exec_lo, exec_lo, s9
	v_mbcnt_lo_u32_b32 v8, -1, 0
	s_lshr_b32 s9, s13, 16
	v_xor_b32_e32 v9, 16, v8
	v_xor_b32_e32 v18, 8, v8
	;; [unrolled: 1-line block ×3, first 2 shown]
	s_delay_alu instid0(VALU_DEP_3) | instskip(SKIP_1) | instid1(VALU_DEP_4)
	v_cmp_gt_i32_e32 vcc_lo, 32, v9
	v_cndmask_b32_e32 v9, v8, v9, vcc_lo
	v_cmp_gt_i32_e32 vcc_lo, 32, v18
	v_dual_max_f32 v19, v51, v51 :: v_dual_cndmask_b32 v18, v8, v18
	s_delay_alu instid0(VALU_DEP_1) | instskip(NEXT) | instid1(VALU_DEP_4)
	v_lshlrev_b32_e32 v20, 2, v18
	v_lshlrev_b32_e32 v13, 2, v9
	ds_bpermute_b32 v9, v13, v51
	s_waitcnt lgkmcnt(0)
	v_max_f32_e32 v9, v9, v9
	s_delay_alu instid0(VALU_DEP_1) | instskip(SKIP_4) | instid1(VALU_DEP_1)
	v_max_f32_e32 v9, v19, v9
	v_xor_b32_e32 v19, 4, v8
	ds_bpermute_b32 v18, v20, v9
	v_cmp_gt_i32_e32 vcc_lo, 32, v19
	v_cndmask_b32_e32 v19, v8, v19, vcc_lo
	v_lshlrev_b32_e32 v21, 2, v19
	v_xor_b32_e32 v19, 2, v8
	s_delay_alu instid0(VALU_DEP_1) | instskip(SKIP_3) | instid1(VALU_DEP_2)
	v_cmp_gt_i32_e32 vcc_lo, 32, v19
	s_waitcnt lgkmcnt(0)
	v_dual_max_f32 v18, v18, v18 :: v_dual_cndmask_b32 v19, v8, v19
	v_cmp_gt_i32_e32 vcc_lo, 32, v24
	v_dual_cndmask_b32 v24, v8, v24 :: v_dual_lshlrev_b32 v19, 2, v19
	s_delay_alu instid0(VALU_DEP_3) | instskip(SKIP_4) | instid1(VALU_DEP_1)
	v_max_f32_e32 v9, v9, v18
	v_cmp_eq_u32_e32 vcc_lo, 0, v37
	ds_bpermute_b32 v18, v21, v9
	s_waitcnt lgkmcnt(0)
	v_max_f32_e32 v18, v18, v18
	v_max_f32_e32 v9, v9, v18
	ds_bpermute_b32 v18, v19, v9
	s_waitcnt lgkmcnt(0)
	v_max_f32_e32 v18, v18, v18
	s_delay_alu instid0(VALU_DEP_1)
	v_max_f32_e32 v8, v9, v18
	v_lshlrev_b32_e32 v18, 2, v24
	v_lshlrev_b32_e32 v24, 2, v36
	ds_bpermute_b32 v9, v18, v8
	s_and_saveexec_b32 s1, vcc_lo
	s_cbranch_execz .LBB365_907
; %bb.906:
	s_waitcnt lgkmcnt(0)
	v_dual_max_f32 v9, v9, v9 :: v_dual_max_f32 v8, v8, v8
	s_delay_alu instid0(VALU_DEP_1)
	v_max_f32_e32 v8, v8, v9
	ds_store_b32 v24, v8 offset:224
.LBB365_907:
	s_or_b32 exec_lo, exec_lo, s1
	v_cmp_gt_u32_e64 s1, 4, v37
	v_mov_b32_e32 v8, 0xff7fffff
	s_waitcnt lgkmcnt(0)
	s_barrier
	buffer_gl0_inv
	s_and_saveexec_b32 s2, s1
	s_cbranch_execz .LBB365_909
; %bb.908:
	ds_load_b32 v8, v49 offset:224
.LBB365_909:
	s_or_b32 exec_lo, exec_lo, s2
	s_waitcnt lgkmcnt(0)
	ds_bpermute_b32 v9, v19, v8
	v_max_f32_e32 v8, v8, v8
	v_subrev_nc_u32_e32 v28, s8, v23
	v_mov_b32_e32 v25, 0
	s_waitcnt lgkmcnt(0)
	v_max_f32_e32 v9, v9, v9
	s_delay_alu instid0(VALU_DEP_1) | instskip(SKIP_3) | instid1(VALU_DEP_1)
	v_max_f32_e32 v8, v8, v9
	ds_bpermute_b32 v9, v18, v8
	s_waitcnt lgkmcnt(0)
	v_max_f32_e32 v9, v9, v9
	v_max_f32_e32 v8, v8, v9
	v_lshl_add_u32 v9, v28, 5, s16
	ds_bpermute_b32 v8, v25, v8
	v_min_i32_e32 v9, v9, v35
	s_delay_alu instid0(VALU_DEP_1) | instskip(NEXT) | instid1(VALU_DEP_1)
	v_subrev_nc_u32_e32 v9, s16, v9
	v_cmp_lt_i32_e64 s2, v34, v9
	s_delay_alu instid0(VALU_DEP_1)
	s_and_saveexec_b32 s8, s2
	s_cbranch_execz .LBB365_913
; %bb.910:
	s_getpc_b64 s[18:19]
	s_add_u32 s18, s18, llvm.amdgcn.dynlds.offset.table@rel32@lo+4
	s_addc_u32 s19, s19, llvm.amdgcn.dynlds.offset.table@rel32@hi+12
	s_ashr_i32 s7, s6, 31
	v_mov_b32_e32 v25, 0
	s_lshl_b64 s[20:21], s[6:7], 2
	v_mov_b32_e32 v29, v34
	s_add_u32 s18, s20, s18
	s_addc_u32 s19, s21, s19
	s_mov_b32 s7, 0
	s_load_b32 s3, s[18:19], 0x0
	s_waitcnt lgkmcnt(0)
	v_lshl_add_u32 v28, v34, 2, s3
	.p2align	6
.LBB365_911:                            ; =>This Inner Loop Header: Depth=1
	ds_load_b32 v30, v28
	v_add_nc_u32_e32 v29, 0x80, v29
	s_delay_alu instid0(VALU_DEP_1) | instskip(NEXT) | instid1(VALU_DEP_1)
	v_cmp_ge_i32_e64 s3, v29, v9
	s_or_b32 s7, s3, s7
	s_waitcnt lgkmcnt(0)
	v_sub_f32_e32 v30, v30, v8
	s_delay_alu instid0(VALU_DEP_1) | instskip(NEXT) | instid1(VALU_DEP_1)
	v_mul_f32_e32 v30, 0x3fb8aa3b, v30
	v_exp_f32_e32 v30, v30
	ds_store_b32 v28, v30
	v_dual_add_f32 v25, v25, v30 :: v_dual_add_nc_u32 v28, 0x200, v28
	s_and_not1_b32 exec_lo, exec_lo, s7
	s_cbranch_execnz .LBB365_911
; %bb.912:
	s_or_b32 exec_lo, exec_lo, s7
.LBB365_913:
	s_delay_alu instid0(SALU_CYCLE_1)
	s_or_b32 exec_lo, exec_lo, s8
	ds_bpermute_b32 v13, v13, v25
	s_waitcnt lgkmcnt(0)
	v_add_f32_e32 v13, v25, v13
	ds_bpermute_b32 v20, v20, v13
	s_waitcnt lgkmcnt(0)
	v_add_f32_e32 v13, v13, v20
	;; [unrolled: 3-line block ×5, first 2 shown]
	s_and_saveexec_b32 s3, vcc_lo
	s_cbranch_execz .LBB365_915
; %bb.914:
	ds_store_b32 v24, v13 offset:240
.LBB365_915:
	s_or_b32 exec_lo, exec_lo, s3
	s_waitcnt lgkmcnt(0)
	s_barrier
	buffer_gl0_inv
	s_and_saveexec_b32 s3, s1
	s_cbranch_execz .LBB365_917
; %bb.916:
	ds_load_b32 v13, v49 offset:240
.LBB365_917:
	s_or_b32 exec_lo, exec_lo, s3
	s_waitcnt lgkmcnt(0)
	ds_bpermute_b32 v20, v19, v13
	s_waitcnt lgkmcnt(0)
	v_add_f32_e32 v13, v13, v20
	ds_bpermute_b32 v20, v18, v13
	s_waitcnt lgkmcnt(0)
	v_dual_add_f32 v13, v13, v20 :: v_dual_mov_b32 v20, 0
	ds_bpermute_b32 v13, v20, v13
	s_and_saveexec_b32 s1, s2
	s_cbranch_execz .LBB365_920
; %bb.918:
	s_waitcnt lgkmcnt(0)
	v_add_f32_e32 v21, 0x358637bd, v13
	s_getpc_b64 s[2:3]
	s_add_u32 s2, s2, llvm.amdgcn.dynlds.offset.table@rel32@lo+4
	s_addc_u32 s3, s3, llvm.amdgcn.dynlds.offset.table@rel32@hi+12
	s_ashr_i32 s7, s6, 31
	s_delay_alu instid0(SALU_CYCLE_1) | instskip(SKIP_4) | instid1(VALU_DEP_1)
	s_lshl_b64 s[18:19], s[6:7], 2
	v_div_scale_f32 v20, null, v21, v21, 1.0
	s_add_u32 s2, s18, s2
	s_addc_u32 s3, s19, s3
	s_load_b32 s2, s[2:3], 0x0
	v_rcp_f32_e32 v24, v20
	s_waitcnt_depctr 0xfff
	v_fma_f32 v25, -v20, v24, 1.0
	s_delay_alu instid0(VALU_DEP_1) | instskip(SKIP_1) | instid1(VALU_DEP_1)
	v_fmac_f32_e32 v24, v25, v24
	v_div_scale_f32 v28, vcc_lo, 1.0, v21, 1.0
	v_mul_f32_e32 v25, v28, v24
	s_delay_alu instid0(VALU_DEP_1) | instskip(NEXT) | instid1(VALU_DEP_1)
	v_fma_f32 v29, -v20, v25, v28
	v_fmac_f32_e32 v25, v29, v24
	s_delay_alu instid0(VALU_DEP_1) | instskip(NEXT) | instid1(VALU_DEP_1)
	v_fma_f32 v20, -v20, v25, v28
	v_div_fmas_f32 v24, v20, v24, v25
	s_waitcnt lgkmcnt(0)
	v_lshl_add_u32 v20, v34, 2, s2
	s_mov_b32 s2, 0
	s_delay_alu instid0(VALU_DEP_2)
	v_div_fixup_f32 v21, v24, v21, 1.0
	v_mov_b32_e32 v24, v34
.LBB365_919:                            ; =>This Inner Loop Header: Depth=1
	ds_load_b32 v25, v20
	s_waitcnt lgkmcnt(0)
	v_dual_mul_f32 v25, v21, v25 :: v_dual_add_nc_u32 v24, 0x80, v24
	s_delay_alu instid0(VALU_DEP_1) | instskip(SKIP_3) | instid1(SALU_CYCLE_1)
	v_cmp_ge_i32_e32 vcc_lo, v24, v9
	ds_store_b32 v20, v25
	v_add_nc_u32_e32 v20, 0x200, v20
	s_or_b32 s2, vcc_lo, s2
	s_and_not1_b32 exec_lo, exec_lo, s2
	s_cbranch_execnz .LBB365_919
.LBB365_920:
	s_or_b32 exec_lo, exec_lo, s1
	v_cmp_ne_u16_e64 s1, s9, 0
	s_waitcnt lgkmcnt(0)
	s_barrier
	buffer_gl0_inv
	s_cmp_lg_u32 s1, 0
	s_addc_u32 s1, s5, 0
	s_mov_b32 s5, exec_lo
	s_mul_i32 s2, s1, s10
	s_delay_alu instid0(SALU_CYCLE_1)
	s_mul_i32 s2, s2, s15
	v_cmpx_eq_u32_e32 0, v34
	s_cbranch_execz .LBB365_922
; %bb.921:
	s_mul_i32 s8, s1, s12
	s_ashr_i32 s15, s14, 31
	s_ashr_i32 s9, s8, 31
	;; [unrolled: 1-line block ×3, first 2 shown]
	s_lshl_b64 s[8:9], s[8:9], 2
	s_lshl_b64 s[12:13], s[14:15], 2
	;; [unrolled: 1-line block ×3, first 2 shown]
	s_add_u32 s3, s12, s8
	s_addc_u32 s7, s13, s9
	s_add_u32 s3, s3, s18
	s_addc_u32 s7, s7, s19
	v_add_co_u32 v2, vcc_lo, s3, v2
	v_add_co_ci_u32_e32 v3, vcc_lo, s7, v3, vcc_lo
	v_add_co_u32 v0, vcc_lo, s3, v0
	v_add_co_ci_u32_e32 v1, vcc_lo, s7, v1, vcc_lo
	flat_store_b32 v[2:3], v8
	flat_store_b32 v[0:1], v13
.LBB365_922:
	s_or_b32 exec_lo, exec_lo, s5
                                        ; implicit-def: $sgpr5
	s_and_saveexec_b32 s3, s0
	s_delay_alu instid0(SALU_CYCLE_1)
	s_xor_b32 s0, exec_lo, s3
; %bb.923:
	s_ashr_i32 s7, s6, 31
	s_mov_b32 s5, 0
                                        ; implicit-def: $vgpr35
                                        ; implicit-def: $vgpr12
                                        ; implicit-def: $vgpr23
                                        ; implicit-def: $vgpr6
                                        ; implicit-def: $vgpr10
                                        ; implicit-def: $vgpr11
                                        ; implicit-def: $vgpr14
                                        ; implicit-def: $vgpr15
                                        ; implicit-def: $vgpr22
                                        ; implicit-def: $vgpr26_vgpr27
                                        ; implicit-def: $vgpr39
                                        ; implicit-def: $vgpr48
                                        ; implicit-def: $vgpr16_vgpr17
                                        ; implicit-def: $vgpr38
; %bb.924:
	s_or_saveexec_b32 s3, s0
	v_dual_mov_b32 v0, s6 :: v_dual_mov_b32 v53, s5
	v_dual_mov_b32 v50, s5 :: v_dual_mov_b32 v1, s7
	v_dual_mov_b32 v51, s5 :: v_dual_and_b32 v20, 3, v34
	v_dual_mov_b32 v52, s5 :: v_dual_mov_b32 v49, s5
	v_dual_mov_b32 v33, s5 :: v_dual_mov_b32 v32, s5
	;; [unrolled: 1-line block ×5, first 2 shown]
	v_mov_b32_e32 v21, s5
	s_xor_b32 exec_lo, exec_lo, s3
	s_cbranch_execz .LBB365_1852
; %bb.925:
	s_getpc_b64 s[8:9]
	s_add_u32 s8, s8, llvm.amdgcn.dynlds.offset.table@rel32@lo+4
	s_addc_u32 s9, s9, llvm.amdgcn.dynlds.offset.table@rel32@hi+12
	s_ashr_i32 s7, s6, 31
	v_dual_mov_b32 v1, 0 :: v_dual_lshlrev_b32 v0, 3, v34
	s_lshl_b64 s[12:13], s[6:7], 2
	v_add_co_u32 v2, vcc_lo, v10, v39
	s_add_u32 s8, s12, s8
	s_addc_u32 s9, s13, s9
	v_and_b32_e32 v9, 24, v0
	s_load_b32 s0, s[8:9], 0x0
	v_dual_mov_b32 v21, 0 :: v_dual_and_b32 v0, 0xf8, v0
	v_add_co_ci_u32_e32 v3, vcc_lo, v11, v48, vcc_lo
	v_lshlrev_b64 v[7:8], 2, v[6:7]
	s_delay_alu instid0(VALU_DEP_3) | instskip(SKIP_1) | instid1(VALU_DEP_4)
	v_add_co_u32 v2, vcc_lo, v2, v0
	v_dual_mov_b32 v25, 0 :: v_dual_lshlrev_b32 v0, 5, v20
	v_add_co_ci_u32_e32 v3, vcc_lo, 0, v3, vcc_lo
	s_delay_alu instid0(VALU_DEP_4) | instskip(SKIP_1) | instid1(VALU_DEP_4)
	v_add_co_u32 v7, vcc_lo, v16, v7
	v_add_co_ci_u32_e32 v8, vcc_lo, v17, v8, vcc_lo
	v_lshl_or_b32 v0, v36, 7, v0
	s_delay_alu instid0(VALU_DEP_3)
	v_add_co_u32 v7, vcc_lo, v14, v7
	v_dual_mov_b32 v24, 0 :: v_dual_add_nc_u32 v39, -1, v12
	v_mov_b32_e32 v48, v35
	v_add_co_ci_u32_e32 v8, vcc_lo, v15, v8, vcc_lo
	v_add3_u32 v15, s16, v38, v9
	s_waitcnt lgkmcnt(0)
	v_dual_mov_b32 v29, 0 :: v_dual_add_nc_u32 v16, s0, v0
	v_dual_mov_b32 v28, 0 :: v_dual_mov_b32 v31, 0
	v_dual_mov_b32 v30, 0 :: v_dual_mov_b32 v33, 0
	;; [unrolled: 1-line block ×5, first 2 shown]
	s_mov_b32 s8, -1
	s_mov_b32 s9, 0xffffff
	s_mov_b32 s5, 0
	s_branch .LBB365_927
.LBB365_926:                            ;   in Loop: Header=BB365_927 Depth=1
	s_or_b32 exec_lo, exec_lo, s0
	v_dual_add_f32 v17, v113, v114 :: v_dual_add_f32 v38, v103, v112
	v_add_f32_e32 v12, v13, v14
	v_dual_add_f32 v13, v117, v118 :: v_dual_add_f32 v14, v115, v116
	;;#ASMSTART
	v_pk_mul_f16 v11, v71, v11;

	;;#ASMEND
	s_delay_alu instid0(VALU_DEP_3)
	v_add_f32_e32 v30, v30, v38
	v_dual_add_f32 v38, v85, v86 :: v_dual_add_nc_u32 v15, 0x80, v15
	;;#ASMSTART
	v_pk_mul_f16 v10, v68, v10;

	;;#ASMEND
	;;#ASMSTART
	v_pk_mul_f16 v0, v66, v0;

	;;#ASMEND
	;; [unrolled: 4-line block ×3, first 2 shown]
	;;#ASMSTART
	v_pk_add_f16 v10, v11, v10;

	;;#ASMEND
	;;#ASMSTART
	v_pk_add_f16 v0, v10, v0;

	;;#ASMEND
	v_dual_add_f32 v25, v25, v13 :: v_dual_add_f32 v28, v28, v14
	v_add_f32_e32 v29, v29, v17
	v_add_f32_e32 v13, v99, v100
	;; [unrolled: 1-line block ×4, first 2 shown]
	;;#ASMSTART
	v_pk_add_f16 v0, v0, v9;

	;;#ASMEND
	v_dual_add_f32 v12, v101, v102 :: v_dual_and_b32 v9, 0xffff, v0
	v_lshrrev_b32_e32 v0, 16, v0
	;;#ASMSTART
	v_cvt_f32_f16 v9, v9;
	;;#ASMEND
	;;#ASMSTART
	v_cvt_f32_f16 v0, v0;
	;;#ASMEND
	s_delay_alu instid0(VALU_DEP_1)
	v_dual_add_f32 v51, v51, v38 :: v_dual_add_f32 v0, v9, v0
	v_add_nc_u32_e32 v6, 4, v6
	v_dual_add_f32 v14, v97, v98 :: v_dual_add_f32 v31, v31, v12
	v_dual_add_f32 v49, v49, v17 :: v_dual_add_f32 v10, v83, v84
	v_add_f32_e32 v12, v67, v70
	v_add_f32_e32 v11, v81, v82
	;; [unrolled: 1-line block ×3, first 2 shown]
	v_cmp_ge_i32_e32 vcc_lo, v6, v23
	v_add_co_u32 v7, s0, v7, 16
	v_add_f32_e32 v50, v50, v12
	v_dual_add_f32 v32, v32, v13 :: v_dual_add_f32 v33, v33, v14
	v_dual_add_f32 v52, v52, v10 :: v_dual_add_f32 v53, v53, v11
	v_add_co_ci_u32_e64 v8, s0, 0, v8, s0
	v_add_nc_u32_e32 v16, 0x200, v16
	s_or_b32 s5, vcc_lo, s5
	s_delay_alu instid0(SALU_CYCLE_1)
	s_and_not1_b32 exec_lo, exec_lo, s5
	s_cbranch_execz .LBB365_1851
.LBB365_927:                            ; =>This Inner Loop Header: Depth=1
	flat_load_b32 v0, v[7:8]
	ds_load_2addr_b64 v[10:13], v16 offset1:1
	ds_load_2addr_b64 v[80:83], v16 offset0:2 offset1:3
	v_mov_b32_e32 v38, 0
	s_mov_b32 s0, exec_lo
	s_waitcnt lgkmcnt(1)
	;;#ASMSTART
	v_cvt_f16_f32 v65, v10;

	;;#ASMEND
	;;#ASMSTART
	v_cvt_f16_f32 v66, v11;

	;;#ASMEND
	;; [unrolled: 4-line block ×4, first 2 shown]
	s_waitcnt lgkmcnt(0)
	;;#ASMSTART
	v_cvt_f16_f32 v71, v80;

	;;#ASMEND
	;;#ASMSTART
	v_cvt_f16_f32 v70, v81;

	;;#ASMEND
	;;#ASMSTART
	v_cvt_f16_f32 v82, v82;

	;;#ASMEND
	;;#ASMSTART
	v_cvt_f16_f32 v81, v83;

	;;#ASMEND
	s_waitcnt vmcnt(0)
	v_mad_i64_i32 v[9:10], null, v0, v22, v[2:3]
	flat_load_b64 v[11:12], v[9:10]
	flat_load_b32 v17, v[26:27]
	s_waitcnt vmcnt(1) lgkmcnt(1)
	v_and_b32_e32 v0, 0xff, v11
	s_delay_alu instid0(VALU_DEP_1)
	v_cmpx_ne_u16_e32 0, v0
	s_cbranch_execz .LBB365_935
; %bb.928:                              ;   in Loop: Header=BB365_927 Depth=1
	v_bfrev_b32_e32 v38, 1
	s_mov_b32 s10, exec_lo
	v_cmpx_ne_u16_e32 0x80, v0
	s_cbranch_execz .LBB365_934
; %bb.929:                              ;   in Loop: Header=BB365_927 Depth=1
	v_and_b32_e32 v13, 0x7f, v11
	v_mov_b32_e32 v38, 0x7fc02000
	s_mov_b32 s12, exec_lo
	s_delay_alu instid0(VALU_DEP_2)
	v_cmpx_ne_u32_e32 0x7f, v13
	s_cbranch_execz .LBB365_933
; %bb.930:                              ;   in Loop: Header=BB365_927 Depth=1
	v_lshrrev_b32_e32 v0, 3, v13
	v_cmp_gt_u32_e32 vcc_lo, 8, v13
	v_dual_mov_b32 v14, v12 :: v_dual_mov_b32 v13, v11
	s_and_saveexec_b32 s13, vcc_lo
; %bb.931:                              ;   in Loop: Header=BB365_927 Depth=1
	v_and_b32_e32 v0, 7, v11
	s_delay_alu instid0(VALU_DEP_1) | instskip(NEXT) | instid1(VALU_DEP_1)
	v_clz_i32_u32_e32 v0, v0
	v_min_u32_e32 v0, 32, v0
	s_delay_alu instid0(VALU_DEP_1) | instskip(SKIP_1) | instid1(VALU_DEP_2)
	v_subrev_nc_u32_e32 v13, 28, v0
	v_sub_nc_u32_e32 v0, 29, v0
	v_lshlrev_b64 v[13:14], v13, v[11:12]
; %bb.932:                              ;   in Loop: Header=BB365_927 Depth=1
	s_or_b32 exec_lo, exec_lo, s13
	v_lshlrev_b32_e32 v14, 8, v11
	s_delay_alu instid0(VALU_DEP_3) | instskip(NEXT) | instid1(VALU_DEP_3)
	v_lshl_add_u32 v0, v0, 10, 0x2000
	v_lshlrev_b32_e32 v13, 7, v13
	s_delay_alu instid0(VALU_DEP_2) | instskip(NEXT) | instid1(VALU_DEP_1)
	v_and_or_b32 v0, 0x8000, v14, v0
	v_and_or_b32 v0, 0x380, v13, v0
	s_delay_alu instid0(VALU_DEP_1)
	v_cvt_f32_f16_e32 v38, v0
.LBB365_933:                            ;   in Loop: Header=BB365_927 Depth=1
	s_or_b32 exec_lo, exec_lo, s12
.LBB365_934:                            ;   in Loop: Header=BB365_927 Depth=1
	s_delay_alu instid0(SALU_CYCLE_1)
	s_or_b32 exec_lo, exec_lo, s10
.LBB365_935:                            ;   in Loop: Header=BB365_927 Depth=1
	s_delay_alu instid0(SALU_CYCLE_1) | instskip(SKIP_3) | instid1(VALU_DEP_2)
	s_or_b32 exec_lo, exec_lo, s0
	v_lshrrev_b16 v0, 8, v11
	v_dual_mov_b32 v55, 0 :: v_dual_mov_b32 v54, 0
	s_mov_b32 s0, exec_lo
	v_cmpx_ne_u16_e32 0, v0
	s_cbranch_execz .LBB365_943
; %bb.936:                              ;   in Loop: Header=BB365_927 Depth=1
	v_bfrev_b32_e32 v54, 1
	s_mov_b32 s10, exec_lo
	v_cmpx_ne_u16_e32 0x80, v0
	s_cbranch_execz .LBB365_942
; %bb.937:                              ;   in Loop: Header=BB365_927 Depth=1
	v_and_b32_e32 v64, 0xffff, v0
	v_mov_b32_e32 v54, 0x7fc02000
	s_mov_b32 s12, exec_lo
	s_delay_alu instid0(VALU_DEP_2) | instskip(NEXT) | instid1(VALU_DEP_1)
	v_and_b32_e32 v13, 0x7f, v64
	v_cmpx_ne_u32_e32 0x7f, v13
	s_cbranch_execz .LBB365_941
; %bb.938:                              ;   in Loop: Header=BB365_927 Depth=1
	v_and_b32_e32 v0, 7, v64
	v_lshrrev_b32_e32 v54, 3, v13
	v_cmp_gt_u32_e32 vcc_lo, 8, v13
	s_delay_alu instid0(VALU_DEP_3)
	v_dual_mov_b32 v14, v1 :: v_dual_mov_b32 v13, v0
	s_and_saveexec_b32 s13, vcc_lo
; %bb.939:                              ;   in Loop: Header=BB365_927 Depth=1
	v_clz_i32_u32_e32 v13, v0
	s_delay_alu instid0(VALU_DEP_1) | instskip(NEXT) | instid1(VALU_DEP_1)
	v_min_u32_e32 v54, 32, v13
	v_subrev_nc_u32_e32 v13, 28, v54
	v_sub_nc_u32_e32 v54, 29, v54
	s_delay_alu instid0(VALU_DEP_2) | instskip(NEXT) | instid1(VALU_DEP_1)
	v_lshlrev_b64 v[13:14], v13, v[0:1]
	v_and_b32_e32 v13, 7, v13
; %bb.940:                              ;   in Loop: Header=BB365_927 Depth=1
	s_or_b32 exec_lo, exec_lo, s13
	v_lshlrev_b32_e32 v0, 8, v64
	v_lshl_add_u32 v14, v54, 10, 0x2000
	s_delay_alu instid0(VALU_DEP_1) | instskip(NEXT) | instid1(VALU_DEP_1)
	v_and_or_b32 v0, 0x8000, v0, v14
	v_lshl_or_b32 v0, v13, 7, v0
	s_delay_alu instid0(VALU_DEP_1)
	v_cvt_f32_f16_e32 v54, v0
.LBB365_941:                            ;   in Loop: Header=BB365_927 Depth=1
	s_or_b32 exec_lo, exec_lo, s12
.LBB365_942:                            ;   in Loop: Header=BB365_927 Depth=1
	s_delay_alu instid0(SALU_CYCLE_1)
	s_or_b32 exec_lo, exec_lo, s10
.LBB365_943:                            ;   in Loop: Header=BB365_927 Depth=1
	s_delay_alu instid0(SALU_CYCLE_1) | instskip(SKIP_2) | instid1(VALU_DEP_1)
	s_or_b32 exec_lo, exec_lo, s0
	v_lshrrev_b32_e32 v64, 16, v11
	s_mov_b32 s0, exec_lo
	v_and_b32_e32 v0, 0xff, v64
	s_delay_alu instid0(VALU_DEP_1)
	v_cmpx_ne_u16_e32 0, v0
	s_cbranch_execz .LBB365_951
; %bb.944:                              ;   in Loop: Header=BB365_927 Depth=1
	v_bfrev_b32_e32 v55, 1
	s_mov_b32 s10, exec_lo
	v_cmpx_ne_u16_e32 0x80, v0
	s_cbranch_execz .LBB365_950
; %bb.945:                              ;   in Loop: Header=BB365_927 Depth=1
	v_bfe_u32 v13, v11, 16, 7
	v_mov_b32_e32 v55, 0x7fc02000
	s_mov_b32 s12, exec_lo
	s_delay_alu instid0(VALU_DEP_2)
	v_cmpx_ne_u32_e32 0x7f, v13
	s_cbranch_execz .LBB365_949
; %bb.946:                              ;   in Loop: Header=BB365_927 Depth=1
	v_and_b32_e32 v0, 7, v64
	v_lshrrev_b32_e32 v55, 3, v13
	v_cmp_gt_u32_e32 vcc_lo, 8, v13
	s_delay_alu instid0(VALU_DEP_3)
	v_dual_mov_b32 v14, v1 :: v_dual_mov_b32 v13, v0
	s_and_saveexec_b32 s13, vcc_lo
; %bb.947:                              ;   in Loop: Header=BB365_927 Depth=1
	v_clz_i32_u32_e32 v13, v0
	s_delay_alu instid0(VALU_DEP_1) | instskip(NEXT) | instid1(VALU_DEP_1)
	v_min_u32_e32 v55, 32, v13
	v_subrev_nc_u32_e32 v13, 28, v55
	v_sub_nc_u32_e32 v55, 29, v55
	s_delay_alu instid0(VALU_DEP_2) | instskip(NEXT) | instid1(VALU_DEP_1)
	v_lshlrev_b64 v[13:14], v13, v[0:1]
	v_and_b32_e32 v13, 7, v13
; %bb.948:                              ;   in Loop: Header=BB365_927 Depth=1
	s_or_b32 exec_lo, exec_lo, s13
	v_lshlrev_b32_e32 v0, 8, v64
	v_lshl_add_u32 v14, v55, 10, 0x2000
	s_delay_alu instid0(VALU_DEP_1) | instskip(NEXT) | instid1(VALU_DEP_1)
	v_and_or_b32 v0, 0x8000, v0, v14
	v_lshl_or_b32 v0, v13, 7, v0
	s_delay_alu instid0(VALU_DEP_1)
	v_cvt_f32_f16_e32 v55, v0
.LBB365_949:                            ;   in Loop: Header=BB365_927 Depth=1
	s_or_b32 exec_lo, exec_lo, s12
.LBB365_950:                            ;   in Loop: Header=BB365_927 Depth=1
	s_delay_alu instid0(SALU_CYCLE_1)
	s_or_b32 exec_lo, exec_lo, s10
.LBB365_951:                            ;   in Loop: Header=BB365_927 Depth=1
	s_delay_alu instid0(SALU_CYCLE_1)
	s_or_b32 exec_lo, exec_lo, s0
	v_dual_mov_b32 v64, 0 :: v_dual_mov_b32 v69, 0
	s_mov_b32 s0, exec_lo
	v_cmpx_lt_u32_e32 0xffffff, v11
	s_cbranch_execz .LBB365_959
; %bb.952:                              ;   in Loop: Header=BB365_927 Depth=1
	v_lshrrev_b32_e32 v80, 24, v11
	v_bfrev_b32_e32 v69, 1
	s_mov_b32 s10, exec_lo
	s_delay_alu instid0(VALU_DEP_2)
	v_cmpx_ne_u32_e32 0x80, v80
	s_cbranch_execz .LBB365_958
; %bb.953:                              ;   in Loop: Header=BB365_927 Depth=1
	v_and_b32_e32 v13, 0x7f, v80
	v_mov_b32_e32 v69, 0x7fc02000
	s_mov_b32 s12, exec_lo
	s_delay_alu instid0(VALU_DEP_2)
	v_cmpx_ne_u32_e32 0x7f, v13
	s_cbranch_execz .LBB365_957
; %bb.954:                              ;   in Loop: Header=BB365_927 Depth=1
	v_and_b32_e32 v0, 7, v80
	v_lshrrev_b32_e32 v69, 3, v13
	v_cmp_gt_u32_e32 vcc_lo, 8, v13
	s_delay_alu instid0(VALU_DEP_3)
	v_dual_mov_b32 v14, v1 :: v_dual_mov_b32 v13, v0
	s_and_saveexec_b32 s13, vcc_lo
; %bb.955:                              ;   in Loop: Header=BB365_927 Depth=1
	v_clz_i32_u32_e32 v13, v0
	s_delay_alu instid0(VALU_DEP_1) | instskip(NEXT) | instid1(VALU_DEP_1)
	v_min_u32_e32 v69, 32, v13
	v_subrev_nc_u32_e32 v13, 28, v69
	v_sub_nc_u32_e32 v69, 29, v69
	s_delay_alu instid0(VALU_DEP_2) | instskip(NEXT) | instid1(VALU_DEP_1)
	v_lshlrev_b64 v[13:14], v13, v[0:1]
	v_and_b32_e32 v13, 7, v13
; %bb.956:                              ;   in Loop: Header=BB365_927 Depth=1
	s_or_b32 exec_lo, exec_lo, s13
	v_lshlrev_b32_e32 v0, 8, v80
	v_lshl_add_u32 v14, v69, 10, 0x2000
	s_delay_alu instid0(VALU_DEP_1) | instskip(NEXT) | instid1(VALU_DEP_1)
	v_and_or_b32 v0, 0x8000, v0, v14
	v_lshl_or_b32 v0, v13, 7, v0
	s_delay_alu instid0(VALU_DEP_1)
	v_cvt_f32_f16_e32 v69, v0
.LBB365_957:                            ;   in Loop: Header=BB365_927 Depth=1
	s_or_b32 exec_lo, exec_lo, s12
.LBB365_958:                            ;   in Loop: Header=BB365_927 Depth=1
	s_delay_alu instid0(SALU_CYCLE_1)
	s_or_b32 exec_lo, exec_lo, s10
.LBB365_959:                            ;   in Loop: Header=BB365_927 Depth=1
	s_delay_alu instid0(SALU_CYCLE_1) | instskip(SKIP_2) | instid1(VALU_DEP_1)
	s_or_b32 exec_lo, exec_lo, s0
	v_dual_mov_b32 v0, v12 :: v_dual_and_b32 v13, 0xff, v12
	s_mov_b32 s0, exec_lo
	v_cmpx_ne_u16_e32 0, v13
	s_cbranch_execz .LBB365_967
; %bb.960:                              ;   in Loop: Header=BB365_927 Depth=1
	v_bfrev_b32_e32 v64, 1
	s_mov_b32 s10, exec_lo
	v_cmpx_ne_u16_e32 0x80, v13
	s_cbranch_execz .LBB365_966
; %bb.961:                              ;   in Loop: Header=BB365_927 Depth=1
	v_and_b32_e32 v13, 0x7f, v12
	v_mov_b32_e32 v64, 0x7fc02000
	s_mov_b32 s12, exec_lo
	s_delay_alu instid0(VALU_DEP_2)
	v_cmpx_ne_u32_e32 0x7f, v13
	s_cbranch_execz .LBB365_965
; %bb.962:                              ;   in Loop: Header=BB365_927 Depth=1
	v_lshrrev_b32_e32 v64, 3, v13
	v_cmp_gt_u32_e32 vcc_lo, 8, v13
	v_dual_mov_b32 v14, v1 :: v_dual_mov_b32 v13, v0
	s_and_saveexec_b32 s13, vcc_lo
; %bb.963:                              ;   in Loop: Header=BB365_927 Depth=1
	v_and_b32_e32 v13, 7, v12
	s_delay_alu instid0(VALU_DEP_1) | instskip(NEXT) | instid1(VALU_DEP_1)
	v_clz_i32_u32_e32 v13, v13
	v_min_u32_e32 v64, 32, v13
	s_delay_alu instid0(VALU_DEP_1) | instskip(SKIP_1) | instid1(VALU_DEP_2)
	v_subrev_nc_u32_e32 v13, 28, v64
	v_sub_nc_u32_e32 v64, 29, v64
	v_lshlrev_b64 v[13:14], v13, v[0:1]
; %bb.964:                              ;   in Loop: Header=BB365_927 Depth=1
	s_or_b32 exec_lo, exec_lo, s13
	v_lshlrev_b32_e32 v14, 8, v12
	s_delay_alu instid0(VALU_DEP_3) | instskip(NEXT) | instid1(VALU_DEP_3)
	v_lshl_add_u32 v64, v64, 10, 0x2000
	v_lshlrev_b32_e32 v13, 7, v13
	s_delay_alu instid0(VALU_DEP_2) | instskip(NEXT) | instid1(VALU_DEP_1)
	v_and_or_b32 v14, 0x8000, v14, v64
	v_and_or_b32 v13, 0x380, v13, v14
	s_delay_alu instid0(VALU_DEP_1)
	v_cvt_f32_f16_e32 v64, v13
.LBB365_965:                            ;   in Loop: Header=BB365_927 Depth=1
	s_or_b32 exec_lo, exec_lo, s12
.LBB365_966:                            ;   in Loop: Header=BB365_927 Depth=1
	s_delay_alu instid0(SALU_CYCLE_1)
	s_or_b32 exec_lo, exec_lo, s10
.LBB365_967:                            ;   in Loop: Header=BB365_927 Depth=1
	s_delay_alu instid0(SALU_CYCLE_1) | instskip(SKIP_3) | instid1(VALU_DEP_2)
	s_or_b32 exec_lo, exec_lo, s0
	v_lshrrev_b16 v0, 8, v0
	v_dual_mov_b32 v80, 0 :: v_dual_mov_b32 v83, 0
	s_mov_b32 s0, exec_lo
	v_cmpx_ne_u16_e32 0, v0
	s_cbranch_execz .LBB365_975
; %bb.968:                              ;   in Loop: Header=BB365_927 Depth=1
	v_bfrev_b32_e32 v83, 1
	s_mov_b32 s10, exec_lo
	v_cmpx_ne_u16_e32 0x80, v0
	s_cbranch_execz .LBB365_974
; %bb.969:                              ;   in Loop: Header=BB365_927 Depth=1
	v_and_b32_e32 v84, 0xffff, v0
	v_mov_b32_e32 v83, 0x7fc02000
	s_mov_b32 s12, exec_lo
	s_delay_alu instid0(VALU_DEP_2) | instskip(NEXT) | instid1(VALU_DEP_1)
	v_and_b32_e32 v13, 0x7f, v84
	v_cmpx_ne_u32_e32 0x7f, v13
	s_cbranch_execz .LBB365_973
; %bb.970:                              ;   in Loop: Header=BB365_927 Depth=1
	v_and_b32_e32 v0, 7, v84
	v_lshrrev_b32_e32 v83, 3, v13
	v_cmp_gt_u32_e32 vcc_lo, 8, v13
	s_delay_alu instid0(VALU_DEP_3)
	v_dual_mov_b32 v14, v1 :: v_dual_mov_b32 v13, v0
	s_and_saveexec_b32 s13, vcc_lo
; %bb.971:                              ;   in Loop: Header=BB365_927 Depth=1
	v_clz_i32_u32_e32 v13, v0
	s_delay_alu instid0(VALU_DEP_1) | instskip(NEXT) | instid1(VALU_DEP_1)
	v_min_u32_e32 v83, 32, v13
	v_subrev_nc_u32_e32 v13, 28, v83
	v_sub_nc_u32_e32 v83, 29, v83
	s_delay_alu instid0(VALU_DEP_2) | instskip(NEXT) | instid1(VALU_DEP_1)
	v_lshlrev_b64 v[13:14], v13, v[0:1]
	v_and_b32_e32 v13, 7, v13
; %bb.972:                              ;   in Loop: Header=BB365_927 Depth=1
	s_or_b32 exec_lo, exec_lo, s13
	v_lshlrev_b32_e32 v0, 8, v84
	v_lshl_add_u32 v14, v83, 10, 0x2000
	s_delay_alu instid0(VALU_DEP_1) | instskip(NEXT) | instid1(VALU_DEP_1)
	v_and_or_b32 v0, 0x8000, v0, v14
	v_lshl_or_b32 v0, v13, 7, v0
	s_delay_alu instid0(VALU_DEP_1)
	v_cvt_f32_f16_e32 v83, v0
.LBB365_973:                            ;   in Loop: Header=BB365_927 Depth=1
	s_or_b32 exec_lo, exec_lo, s12
.LBB365_974:                            ;   in Loop: Header=BB365_927 Depth=1
	s_delay_alu instid0(SALU_CYCLE_1)
	s_or_b32 exec_lo, exec_lo, s10
.LBB365_975:                            ;   in Loop: Header=BB365_927 Depth=1
	s_delay_alu instid0(SALU_CYCLE_1) | instskip(SKIP_2) | instid1(VALU_DEP_1)
	s_or_b32 exec_lo, exec_lo, s0
	v_lshrrev_b32_e32 v84, 16, v12
	s_mov_b32 s0, exec_lo
	v_and_b32_e32 v0, 0xff, v84
	s_delay_alu instid0(VALU_DEP_1)
	v_cmpx_ne_u16_e32 0, v0
	s_cbranch_execz .LBB365_983
; %bb.976:                              ;   in Loop: Header=BB365_927 Depth=1
	v_bfrev_b32_e32 v80, 1
	s_mov_b32 s10, exec_lo
	v_cmpx_ne_u16_e32 0x80, v0
	s_cbranch_execz .LBB365_982
; %bb.977:                              ;   in Loop: Header=BB365_927 Depth=1
	v_bfe_u32 v13, v12, 16, 7
	v_mov_b32_e32 v80, 0x7fc02000
	s_mov_b32 s12, exec_lo
	s_delay_alu instid0(VALU_DEP_2)
	v_cmpx_ne_u32_e32 0x7f, v13
	s_cbranch_execz .LBB365_981
; %bb.978:                              ;   in Loop: Header=BB365_927 Depth=1
	v_and_b32_e32 v0, 7, v84
	v_lshrrev_b32_e32 v80, 3, v13
	v_cmp_gt_u32_e32 vcc_lo, 8, v13
	s_delay_alu instid0(VALU_DEP_3)
	v_dual_mov_b32 v14, v1 :: v_dual_mov_b32 v13, v0
	s_and_saveexec_b32 s13, vcc_lo
; %bb.979:                              ;   in Loop: Header=BB365_927 Depth=1
	v_clz_i32_u32_e32 v13, v0
	s_delay_alu instid0(VALU_DEP_1) | instskip(NEXT) | instid1(VALU_DEP_1)
	v_min_u32_e32 v80, 32, v13
	v_subrev_nc_u32_e32 v13, 28, v80
	v_sub_nc_u32_e32 v80, 29, v80
	s_delay_alu instid0(VALU_DEP_2) | instskip(NEXT) | instid1(VALU_DEP_1)
	v_lshlrev_b64 v[13:14], v13, v[0:1]
	v_and_b32_e32 v13, 7, v13
; %bb.980:                              ;   in Loop: Header=BB365_927 Depth=1
	s_or_b32 exec_lo, exec_lo, s13
	v_lshlrev_b32_e32 v0, 8, v84
	v_lshl_add_u32 v14, v80, 10, 0x2000
	s_delay_alu instid0(VALU_DEP_1) | instskip(NEXT) | instid1(VALU_DEP_1)
	v_and_or_b32 v0, 0x8000, v0, v14
	v_lshl_or_b32 v0, v13, 7, v0
	s_delay_alu instid0(VALU_DEP_1)
	v_cvt_f32_f16_e32 v80, v0
.LBB365_981:                            ;   in Loop: Header=BB365_927 Depth=1
	s_or_b32 exec_lo, exec_lo, s12
.LBB365_982:                            ;   in Loop: Header=BB365_927 Depth=1
	s_delay_alu instid0(SALU_CYCLE_1)
	s_or_b32 exec_lo, exec_lo, s10
.LBB365_983:                            ;   in Loop: Header=BB365_927 Depth=1
	s_delay_alu instid0(SALU_CYCLE_1)
	s_or_b32 exec_lo, exec_lo, s0
	v_mov_b32_e32 v0, 0
	s_mov_b32 s0, exec_lo
	v_cmpx_lt_u64_e64 s[8:9], v[11:12]
	s_cbranch_execz .LBB365_991
; %bb.984:                              ;   in Loop: Header=BB365_927 Depth=1
	v_lshrrev_b32_e32 v13, 24, v12
	v_bfrev_b32_e32 v0, 1
	s_mov_b32 s10, exec_lo
	s_delay_alu instid0(VALU_DEP_2)
	v_cmpx_ne_u32_e32 0x80, v13
	s_cbranch_execz .LBB365_990
; %bb.985:                              ;   in Loop: Header=BB365_927 Depth=1
	v_and_b32_e32 v11, 0x7f, v13
	v_mov_b32_e32 v0, 0x7fc02000
	s_mov_b32 s12, exec_lo
	s_delay_alu instid0(VALU_DEP_2)
	v_cmpx_ne_u32_e32 0x7f, v11
	s_cbranch_execz .LBB365_989
; %bb.986:                              ;   in Loop: Header=BB365_927 Depth=1
	v_and_b32_e32 v0, 7, v13
	v_lshrrev_b32_e32 v14, 3, v11
	v_cmp_gt_u32_e32 vcc_lo, 8, v11
	s_delay_alu instid0(VALU_DEP_3)
	v_dual_mov_b32 v12, v1 :: v_dual_mov_b32 v11, v0
	s_and_saveexec_b32 s13, vcc_lo
; %bb.987:                              ;   in Loop: Header=BB365_927 Depth=1
	v_clz_i32_u32_e32 v11, v0
	s_delay_alu instid0(VALU_DEP_1) | instskip(NEXT) | instid1(VALU_DEP_1)
	v_min_u32_e32 v14, 32, v11
	v_subrev_nc_u32_e32 v11, 28, v14
	v_sub_nc_u32_e32 v14, 29, v14
	s_delay_alu instid0(VALU_DEP_2) | instskip(NEXT) | instid1(VALU_DEP_1)
	v_lshlrev_b64 v[11:12], v11, v[0:1]
	v_and_b32_e32 v11, 7, v11
; %bb.988:                              ;   in Loop: Header=BB365_927 Depth=1
	s_or_b32 exec_lo, exec_lo, s13
	v_lshlrev_b32_e32 v0, 8, v13
	v_lshl_add_u32 v12, v14, 10, 0x2000
	s_delay_alu instid0(VALU_DEP_1) | instskip(NEXT) | instid1(VALU_DEP_1)
	v_and_or_b32 v0, 0x8000, v0, v12
	v_lshl_or_b32 v0, v11, 7, v0
	s_delay_alu instid0(VALU_DEP_1)
	v_cvt_f32_f16_e32 v0, v0
.LBB365_989:                            ;   in Loop: Header=BB365_927 Depth=1
	s_or_b32 exec_lo, exec_lo, s12
.LBB365_990:                            ;   in Loop: Header=BB365_927 Depth=1
	s_delay_alu instid0(SALU_CYCLE_1)
	s_or_b32 exec_lo, exec_lo, s10
.LBB365_991:                            ;   in Loop: Header=BB365_927 Depth=1
	s_delay_alu instid0(SALU_CYCLE_1)
	s_or_b32 exec_lo, exec_lo, s0
	s_waitcnt vmcnt(0) lgkmcnt(0)
	v_fma_mixlo_f16 v13, v17, v54, 0
	v_fma_mixlo_f16 v11, v17, v69, 0
	;; [unrolled: 1-line block ×5, first 2 shown]
	v_lshlrev_b32_e32 v14, 16, v13
	v_fma_mixlo_f16 v55, v17, v64, 0
	v_fma_mixlo_f16 v0, v17, v0, 0
	;; [unrolled: 1-line block ×3, first 2 shown]
	v_lshlrev_b32_e32 v11, 16, v11
	v_and_b32_e32 v12, 0xffff, v12
	v_and_b32_e32 v17, 0xffff, v38
	v_lshlrev_b32_e32 v38, 16, v54
	v_and_b32_e32 v54, 0xffff, v55
	v_lshlrev_b32_e32 v55, 16, v0
	v_and_b32_e32 v64, 0xffff, v13
	v_cmp_eq_u32_e32 vcc_lo, v39, v6
	v_or_b32_e32 v12, v11, v12
	v_or_b32_e32 v14, v14, v17
	;; [unrolled: 1-line block ×4, first 2 shown]
	v_add_nc_u32_e32 v80, 1, v15
	v_or_b32_e32 v69, 3, v15
	v_or_b32_e32 v64, 2, v15
	;; [unrolled: 1-line block ×6, first 2 shown]
	s_and_saveexec_b32 s10, vcc_lo
	s_cbranch_execz .LBB365_993
; %bb.992:                              ;   in Loop: Header=BB365_927 Depth=1
	v_cmp_lt_i32_e64 s0, v15, v35
	v_lshrrev_b32_e32 v83, 16, v14
	v_lshrrev_b32_e32 v84, 16, v12
	;; [unrolled: 1-line block ×4, first 2 shown]
	v_cndmask_b32_e64 v14, 0, v14, s0
	v_cmp_lt_i32_e64 s0, v80, v48
	s_delay_alu instid0(VALU_DEP_1) | instskip(SKIP_1) | instid1(VALU_DEP_2)
	v_cndmask_b32_e64 v83, 0, v83, s0
	v_cmp_lt_i32_e64 s0, v69, v48
	v_perm_b32 v14, v83, v14, 0x5040100
	s_delay_alu instid0(VALU_DEP_2) | instskip(SKIP_1) | instid1(VALU_DEP_1)
	v_cndmask_b32_e64 v84, 0, v84, s0
	v_cmp_lt_i32_e64 s0, v64, v35
	v_cndmask_b32_e64 v12, 0, v12, s0
	v_cmp_lt_i32_e64 s0, v55, v48
	s_delay_alu instid0(VALU_DEP_2) | instskip(NEXT) | instid1(VALU_DEP_2)
	v_perm_b32 v12, v84, v12, 0x5040100
	v_cndmask_b32_e64 v85, 0, v85, s0
	v_cmp_lt_i32_e64 s0, v54, v35
	s_delay_alu instid0(VALU_DEP_1) | instskip(SKIP_1) | instid1(VALU_DEP_2)
	v_cndmask_b32_e64 v0, 0, v0, s0
	v_cmp_lt_i32_e64 s0, v38, v48
	v_perm_b32 v0, v85, v0, 0x5040100
	s_delay_alu instid0(VALU_DEP_2) | instskip(SKIP_1) | instid1(VALU_DEP_1)
	v_cndmask_b32_e64 v11, 0, v11, s0
	v_cmp_lt_i32_e64 s0, v17, v35
	v_cndmask_b32_e64 v13, 0, v13, s0
	s_delay_alu instid0(VALU_DEP_1)
	v_perm_b32 v11, v11, v13, 0x5040100
.LBB365_993:                            ;   in Loop: Header=BB365_927 Depth=1
	s_or_b32 exec_lo, exec_lo, s10
	v_and_b32_e32 v13, 0xffff, v65
	v_and_b32_e32 v65, 0xffff, v68
	;; [unrolled: 1-line block ×4, first 2 shown]
	s_mov_b32 s10, exec_lo
	s_delay_alu instid0(VALU_DEP_3) | instskip(NEXT) | instid1(VALU_DEP_2)
	v_lshl_or_b32 v68, v67, 16, v65
	v_lshl_or_b32 v65, v81, 16, v82
	v_mov_b32_e32 v82, 0
	v_lshl_or_b32 v71, v66, 16, v13
	v_lshl_or_b32 v66, v70, 16, v83
	v_mov_b32_e32 v83, 0
	;;#ASMSTART
	v_pk_mul_f16 v13, v71, v14;

	;;#ASMEND
	;;#ASMSTART
	v_pk_mul_f16 v12, v68, v12;

	;;#ASMEND
	;; [unrolled: 4-line block ×4, first 2 shown]
	;;#ASMSTART
	v_pk_add_f16 v12, v13, v12;

	;;#ASMEND
	;;#ASMSTART
	v_pk_add_f16 v0, v12, v0;

	;;#ASMEND
	;; [unrolled: 4-line block ×3, first 2 shown]
	v_and_b32_e32 v11, 0xffff, v0
	v_lshrrev_b32_e32 v0, 16, v0
	;;#ASMSTART
	v_cvt_f32_f16 v67, v11;
	;;#ASMEND
	;;#ASMSTART
	v_cvt_f32_f16 v70, v0;
	;;#ASMEND
	flat_load_b64 v[11:12], v[9:10] offset:256
	flat_load_b32 v81, v[26:27]
	s_waitcnt vmcnt(1) lgkmcnt(1)
	v_and_b32_e32 v0, 0xff, v11
	s_delay_alu instid0(VALU_DEP_1)
	v_cmpx_ne_u16_e32 0, v0
	s_cbranch_execz .LBB365_1001
; %bb.994:                              ;   in Loop: Header=BB365_927 Depth=1
	v_bfrev_b32_e32 v82, 1
	s_mov_b32 s12, exec_lo
	v_cmpx_ne_u16_e32 0x80, v0
	s_cbranch_execz .LBB365_1000
; %bb.995:                              ;   in Loop: Header=BB365_927 Depth=1
	v_and_b32_e32 v13, 0x7f, v11
	v_mov_b32_e32 v82, 0x7fc02000
	s_mov_b32 s13, exec_lo
	s_delay_alu instid0(VALU_DEP_2)
	v_cmpx_ne_u32_e32 0x7f, v13
	s_cbranch_execz .LBB365_999
; %bb.996:                              ;   in Loop: Header=BB365_927 Depth=1
	v_lshrrev_b32_e32 v0, 3, v13
	v_cmp_gt_u32_e64 s0, 8, v13
	v_dual_mov_b32 v14, v12 :: v_dual_mov_b32 v13, v11
	s_delay_alu instid0(VALU_DEP_2)
	s_and_saveexec_b32 s15, s0
; %bb.997:                              ;   in Loop: Header=BB365_927 Depth=1
	v_and_b32_e32 v0, 7, v11
	s_delay_alu instid0(VALU_DEP_1) | instskip(NEXT) | instid1(VALU_DEP_1)
	v_clz_i32_u32_e32 v0, v0
	v_min_u32_e32 v0, 32, v0
	s_delay_alu instid0(VALU_DEP_1) | instskip(SKIP_1) | instid1(VALU_DEP_2)
	v_subrev_nc_u32_e32 v13, 28, v0
	v_sub_nc_u32_e32 v0, 29, v0
	v_lshlrev_b64 v[13:14], v13, v[11:12]
; %bb.998:                              ;   in Loop: Header=BB365_927 Depth=1
	s_or_b32 exec_lo, exec_lo, s15
	v_lshlrev_b32_e32 v14, 8, v11
	s_delay_alu instid0(VALU_DEP_3) | instskip(NEXT) | instid1(VALU_DEP_3)
	v_lshl_add_u32 v0, v0, 10, 0x2000
	v_lshlrev_b32_e32 v13, 7, v13
	s_delay_alu instid0(VALU_DEP_2) | instskip(NEXT) | instid1(VALU_DEP_1)
	v_and_or_b32 v0, 0x8000, v14, v0
	v_and_or_b32 v0, 0x380, v13, v0
	s_delay_alu instid0(VALU_DEP_1)
	v_cvt_f32_f16_e32 v82, v0
.LBB365_999:                            ;   in Loop: Header=BB365_927 Depth=1
	s_or_b32 exec_lo, exec_lo, s13
.LBB365_1000:                           ;   in Loop: Header=BB365_927 Depth=1
	s_delay_alu instid0(SALU_CYCLE_1)
	s_or_b32 exec_lo, exec_lo, s12
.LBB365_1001:                           ;   in Loop: Header=BB365_927 Depth=1
	s_delay_alu instid0(SALU_CYCLE_1) | instskip(SKIP_2) | instid1(VALU_DEP_1)
	s_or_b32 exec_lo, exec_lo, s10
	v_lshrrev_b16 v0, 8, v11
	s_mov_b32 s10, exec_lo
	v_cmpx_ne_u16_e32 0, v0
	s_cbranch_execz .LBB365_1009
; %bb.1002:                             ;   in Loop: Header=BB365_927 Depth=1
	v_bfrev_b32_e32 v83, 1
	s_mov_b32 s12, exec_lo
	v_cmpx_ne_u16_e32 0x80, v0
	s_cbranch_execz .LBB365_1008
; %bb.1003:                             ;   in Loop: Header=BB365_927 Depth=1
	v_and_b32_e32 v84, 0xffff, v0
	v_mov_b32_e32 v83, 0x7fc02000
	s_mov_b32 s13, exec_lo
	s_delay_alu instid0(VALU_DEP_2) | instskip(NEXT) | instid1(VALU_DEP_1)
	v_and_b32_e32 v13, 0x7f, v84
	v_cmpx_ne_u32_e32 0x7f, v13
	s_cbranch_execz .LBB365_1007
; %bb.1004:                             ;   in Loop: Header=BB365_927 Depth=1
	v_and_b32_e32 v0, 7, v84
	v_lshrrev_b32_e32 v83, 3, v13
	v_cmp_gt_u32_e64 s0, 8, v13
	s_delay_alu instid0(VALU_DEP_3) | instskip(NEXT) | instid1(VALU_DEP_2)
	v_dual_mov_b32 v14, v1 :: v_dual_mov_b32 v13, v0
	s_and_saveexec_b32 s15, s0
; %bb.1005:                             ;   in Loop: Header=BB365_927 Depth=1
	v_clz_i32_u32_e32 v13, v0
	s_delay_alu instid0(VALU_DEP_1) | instskip(NEXT) | instid1(VALU_DEP_1)
	v_min_u32_e32 v83, 32, v13
	v_subrev_nc_u32_e32 v13, 28, v83
	v_sub_nc_u32_e32 v83, 29, v83
	s_delay_alu instid0(VALU_DEP_2) | instskip(NEXT) | instid1(VALU_DEP_1)
	v_lshlrev_b64 v[13:14], v13, v[0:1]
	v_and_b32_e32 v13, 7, v13
; %bb.1006:                             ;   in Loop: Header=BB365_927 Depth=1
	s_or_b32 exec_lo, exec_lo, s15
	v_lshlrev_b32_e32 v0, 8, v84
	v_lshl_add_u32 v14, v83, 10, 0x2000
	s_delay_alu instid0(VALU_DEP_1) | instskip(NEXT) | instid1(VALU_DEP_1)
	v_and_or_b32 v0, 0x8000, v0, v14
	v_lshl_or_b32 v0, v13, 7, v0
	s_delay_alu instid0(VALU_DEP_1)
	v_cvt_f32_f16_e32 v83, v0
.LBB365_1007:                           ;   in Loop: Header=BB365_927 Depth=1
	s_or_b32 exec_lo, exec_lo, s13
.LBB365_1008:                           ;   in Loop: Header=BB365_927 Depth=1
	s_delay_alu instid0(SALU_CYCLE_1)
	s_or_b32 exec_lo, exec_lo, s12
.LBB365_1009:                           ;   in Loop: Header=BB365_927 Depth=1
	s_delay_alu instid0(SALU_CYCLE_1) | instskip(SKIP_3) | instid1(VALU_DEP_2)
	s_or_b32 exec_lo, exec_lo, s10
	v_lshrrev_b32_e32 v86, 16, v11
	v_mov_b32_e32 v84, 0
	s_mov_b32 s10, exec_lo
	v_dual_mov_b32 v85, 0 :: v_dual_and_b32 v0, 0xff, v86
	s_delay_alu instid0(VALU_DEP_1)
	v_cmpx_ne_u16_e32 0, v0
	s_cbranch_execz .LBB365_1017
; %bb.1010:                             ;   in Loop: Header=BB365_927 Depth=1
	v_bfrev_b32_e32 v84, 1
	s_mov_b32 s12, exec_lo
	v_cmpx_ne_u16_e32 0x80, v0
	s_cbranch_execz .LBB365_1016
; %bb.1011:                             ;   in Loop: Header=BB365_927 Depth=1
	v_bfe_u32 v13, v11, 16, 7
	v_mov_b32_e32 v84, 0x7fc02000
	s_mov_b32 s13, exec_lo
	s_delay_alu instid0(VALU_DEP_2)
	v_cmpx_ne_u32_e32 0x7f, v13
	s_cbranch_execz .LBB365_1015
; %bb.1012:                             ;   in Loop: Header=BB365_927 Depth=1
	v_and_b32_e32 v0, 7, v86
	v_lshrrev_b32_e32 v84, 3, v13
	v_cmp_gt_u32_e64 s0, 8, v13
	s_delay_alu instid0(VALU_DEP_3) | instskip(NEXT) | instid1(VALU_DEP_2)
	v_dual_mov_b32 v14, v1 :: v_dual_mov_b32 v13, v0
	s_and_saveexec_b32 s15, s0
; %bb.1013:                             ;   in Loop: Header=BB365_927 Depth=1
	v_clz_i32_u32_e32 v13, v0
	s_delay_alu instid0(VALU_DEP_1) | instskip(NEXT) | instid1(VALU_DEP_1)
	v_min_u32_e32 v84, 32, v13
	v_subrev_nc_u32_e32 v13, 28, v84
	v_sub_nc_u32_e32 v84, 29, v84
	s_delay_alu instid0(VALU_DEP_2) | instskip(NEXT) | instid1(VALU_DEP_1)
	v_lshlrev_b64 v[13:14], v13, v[0:1]
	v_and_b32_e32 v13, 7, v13
; %bb.1014:                             ;   in Loop: Header=BB365_927 Depth=1
	s_or_b32 exec_lo, exec_lo, s15
	v_lshlrev_b32_e32 v0, 8, v86
	v_lshl_add_u32 v14, v84, 10, 0x2000
	s_delay_alu instid0(VALU_DEP_1) | instskip(NEXT) | instid1(VALU_DEP_1)
	v_and_or_b32 v0, 0x8000, v0, v14
	v_lshl_or_b32 v0, v13, 7, v0
	s_delay_alu instid0(VALU_DEP_1)
	v_cvt_f32_f16_e32 v84, v0
.LBB365_1015:                           ;   in Loop: Header=BB365_927 Depth=1
	s_or_b32 exec_lo, exec_lo, s13
.LBB365_1016:                           ;   in Loop: Header=BB365_927 Depth=1
	s_delay_alu instid0(SALU_CYCLE_1)
	s_or_b32 exec_lo, exec_lo, s12
.LBB365_1017:                           ;   in Loop: Header=BB365_927 Depth=1
	s_delay_alu instid0(SALU_CYCLE_1) | instskip(NEXT) | instid1(SALU_CYCLE_1)
	s_or_b32 exec_lo, exec_lo, s10
	s_mov_b32 s10, exec_lo
	v_cmpx_lt_u32_e32 0xffffff, v11
	s_cbranch_execz .LBB365_1025
; %bb.1018:                             ;   in Loop: Header=BB365_927 Depth=1
	v_lshrrev_b32_e32 v86, 24, v11
	v_bfrev_b32_e32 v85, 1
	s_mov_b32 s12, exec_lo
	s_delay_alu instid0(VALU_DEP_2)
	v_cmpx_ne_u32_e32 0x80, v86
	s_cbranch_execz .LBB365_1024
; %bb.1019:                             ;   in Loop: Header=BB365_927 Depth=1
	v_and_b32_e32 v13, 0x7f, v86
	v_mov_b32_e32 v85, 0x7fc02000
	s_mov_b32 s13, exec_lo
	s_delay_alu instid0(VALU_DEP_2)
	v_cmpx_ne_u32_e32 0x7f, v13
	s_cbranch_execz .LBB365_1023
; %bb.1020:                             ;   in Loop: Header=BB365_927 Depth=1
	v_and_b32_e32 v0, 7, v86
	v_lshrrev_b32_e32 v85, 3, v13
	v_cmp_gt_u32_e64 s0, 8, v13
	s_delay_alu instid0(VALU_DEP_3) | instskip(NEXT) | instid1(VALU_DEP_2)
	v_dual_mov_b32 v14, v1 :: v_dual_mov_b32 v13, v0
	s_and_saveexec_b32 s15, s0
; %bb.1021:                             ;   in Loop: Header=BB365_927 Depth=1
	v_clz_i32_u32_e32 v13, v0
	s_delay_alu instid0(VALU_DEP_1) | instskip(NEXT) | instid1(VALU_DEP_1)
	v_min_u32_e32 v85, 32, v13
	v_subrev_nc_u32_e32 v13, 28, v85
	v_sub_nc_u32_e32 v85, 29, v85
	s_delay_alu instid0(VALU_DEP_2) | instskip(NEXT) | instid1(VALU_DEP_1)
	v_lshlrev_b64 v[13:14], v13, v[0:1]
	v_and_b32_e32 v13, 7, v13
; %bb.1022:                             ;   in Loop: Header=BB365_927 Depth=1
	s_or_b32 exec_lo, exec_lo, s15
	v_lshlrev_b32_e32 v0, 8, v86
	v_lshl_add_u32 v14, v85, 10, 0x2000
	s_delay_alu instid0(VALU_DEP_1) | instskip(NEXT) | instid1(VALU_DEP_1)
	v_and_or_b32 v0, 0x8000, v0, v14
	v_lshl_or_b32 v0, v13, 7, v0
	s_delay_alu instid0(VALU_DEP_1)
	v_cvt_f32_f16_e32 v85, v0
.LBB365_1023:                           ;   in Loop: Header=BB365_927 Depth=1
	s_or_b32 exec_lo, exec_lo, s13
.LBB365_1024:                           ;   in Loop: Header=BB365_927 Depth=1
	s_delay_alu instid0(SALU_CYCLE_1)
	s_or_b32 exec_lo, exec_lo, s12
.LBB365_1025:                           ;   in Loop: Header=BB365_927 Depth=1
	s_delay_alu instid0(SALU_CYCLE_1) | instskip(SKIP_3) | instid1(VALU_DEP_2)
	s_or_b32 exec_lo, exec_lo, s10
	v_dual_mov_b32 v0, v12 :: v_dual_and_b32 v13, 0xff, v12
	v_dual_mov_b32 v87, 0 :: v_dual_mov_b32 v86, 0
	s_mov_b32 s10, exec_lo
	v_cmpx_ne_u16_e32 0, v13
	s_cbranch_execz .LBB365_1033
; %bb.1026:                             ;   in Loop: Header=BB365_927 Depth=1
	v_bfrev_b32_e32 v86, 1
	s_mov_b32 s12, exec_lo
	v_cmpx_ne_u16_e32 0x80, v13
	s_cbranch_execz .LBB365_1032
; %bb.1027:                             ;   in Loop: Header=BB365_927 Depth=1
	v_and_b32_e32 v13, 0x7f, v12
	v_mov_b32_e32 v86, 0x7fc02000
	s_mov_b32 s13, exec_lo
	s_delay_alu instid0(VALU_DEP_2)
	v_cmpx_ne_u32_e32 0x7f, v13
	s_cbranch_execz .LBB365_1031
; %bb.1028:                             ;   in Loop: Header=BB365_927 Depth=1
	v_lshrrev_b32_e32 v86, 3, v13
	v_cmp_gt_u32_e64 s0, 8, v13
	v_dual_mov_b32 v14, v1 :: v_dual_mov_b32 v13, v0
	s_delay_alu instid0(VALU_DEP_2)
	s_and_saveexec_b32 s15, s0
; %bb.1029:                             ;   in Loop: Header=BB365_927 Depth=1
	v_and_b32_e32 v13, 7, v12
	s_delay_alu instid0(VALU_DEP_1) | instskip(NEXT) | instid1(VALU_DEP_1)
	v_clz_i32_u32_e32 v13, v13
	v_min_u32_e32 v86, 32, v13
	s_delay_alu instid0(VALU_DEP_1) | instskip(SKIP_1) | instid1(VALU_DEP_2)
	v_subrev_nc_u32_e32 v13, 28, v86
	v_sub_nc_u32_e32 v86, 29, v86
	v_lshlrev_b64 v[13:14], v13, v[0:1]
; %bb.1030:                             ;   in Loop: Header=BB365_927 Depth=1
	s_or_b32 exec_lo, exec_lo, s15
	v_lshlrev_b32_e32 v14, 8, v12
	s_delay_alu instid0(VALU_DEP_3) | instskip(NEXT) | instid1(VALU_DEP_3)
	v_lshl_add_u32 v86, v86, 10, 0x2000
	v_lshlrev_b32_e32 v13, 7, v13
	s_delay_alu instid0(VALU_DEP_2) | instskip(NEXT) | instid1(VALU_DEP_1)
	v_and_or_b32 v14, 0x8000, v14, v86
	v_and_or_b32 v13, 0x380, v13, v14
	s_delay_alu instid0(VALU_DEP_1)
	v_cvt_f32_f16_e32 v86, v13
.LBB365_1031:                           ;   in Loop: Header=BB365_927 Depth=1
	s_or_b32 exec_lo, exec_lo, s13
.LBB365_1032:                           ;   in Loop: Header=BB365_927 Depth=1
	s_delay_alu instid0(SALU_CYCLE_1)
	s_or_b32 exec_lo, exec_lo, s12
.LBB365_1033:                           ;   in Loop: Header=BB365_927 Depth=1
	s_delay_alu instid0(SALU_CYCLE_1) | instskip(SKIP_2) | instid1(VALU_DEP_1)
	s_or_b32 exec_lo, exec_lo, s10
	v_lshrrev_b16 v0, 8, v0
	s_mov_b32 s10, exec_lo
	v_cmpx_ne_u16_e32 0, v0
	s_cbranch_execz .LBB365_1041
; %bb.1034:                             ;   in Loop: Header=BB365_927 Depth=1
	v_bfrev_b32_e32 v87, 1
	s_mov_b32 s12, exec_lo
	v_cmpx_ne_u16_e32 0x80, v0
	s_cbranch_execz .LBB365_1040
; %bb.1035:                             ;   in Loop: Header=BB365_927 Depth=1
	v_and_b32_e32 v96, 0xffff, v0
	v_mov_b32_e32 v87, 0x7fc02000
	s_mov_b32 s13, exec_lo
	s_delay_alu instid0(VALU_DEP_2) | instskip(NEXT) | instid1(VALU_DEP_1)
	v_and_b32_e32 v13, 0x7f, v96
	v_cmpx_ne_u32_e32 0x7f, v13
	s_cbranch_execz .LBB365_1039
; %bb.1036:                             ;   in Loop: Header=BB365_927 Depth=1
	v_and_b32_e32 v0, 7, v96
	v_lshrrev_b32_e32 v87, 3, v13
	v_cmp_gt_u32_e64 s0, 8, v13
	s_delay_alu instid0(VALU_DEP_3) | instskip(NEXT) | instid1(VALU_DEP_2)
	v_dual_mov_b32 v14, v1 :: v_dual_mov_b32 v13, v0
	s_and_saveexec_b32 s15, s0
; %bb.1037:                             ;   in Loop: Header=BB365_927 Depth=1
	v_clz_i32_u32_e32 v13, v0
	s_delay_alu instid0(VALU_DEP_1) | instskip(NEXT) | instid1(VALU_DEP_1)
	v_min_u32_e32 v87, 32, v13
	v_subrev_nc_u32_e32 v13, 28, v87
	v_sub_nc_u32_e32 v87, 29, v87
	s_delay_alu instid0(VALU_DEP_2) | instskip(NEXT) | instid1(VALU_DEP_1)
	v_lshlrev_b64 v[13:14], v13, v[0:1]
	v_and_b32_e32 v13, 7, v13
; %bb.1038:                             ;   in Loop: Header=BB365_927 Depth=1
	s_or_b32 exec_lo, exec_lo, s15
	v_lshlrev_b32_e32 v0, 8, v96
	v_lshl_add_u32 v14, v87, 10, 0x2000
	s_delay_alu instid0(VALU_DEP_1) | instskip(NEXT) | instid1(VALU_DEP_1)
	v_and_or_b32 v0, 0x8000, v0, v14
	v_lshl_or_b32 v0, v13, 7, v0
	s_delay_alu instid0(VALU_DEP_1)
	v_cvt_f32_f16_e32 v87, v0
.LBB365_1039:                           ;   in Loop: Header=BB365_927 Depth=1
	s_or_b32 exec_lo, exec_lo, s13
.LBB365_1040:                           ;   in Loop: Header=BB365_927 Depth=1
	s_delay_alu instid0(SALU_CYCLE_1)
	s_or_b32 exec_lo, exec_lo, s12
.LBB365_1041:                           ;   in Loop: Header=BB365_927 Depth=1
	s_delay_alu instid0(SALU_CYCLE_1) | instskip(SKIP_3) | instid1(VALU_DEP_2)
	s_or_b32 exec_lo, exec_lo, s10
	v_lshrrev_b32_e32 v97, 16, v12
	v_mov_b32_e32 v96, 0
	s_mov_b32 s10, exec_lo
	v_dual_mov_b32 v13, 0 :: v_dual_and_b32 v0, 0xff, v97
	s_delay_alu instid0(VALU_DEP_1)
	v_cmpx_ne_u16_e32 0, v0
	s_cbranch_execz .LBB365_1049
; %bb.1042:                             ;   in Loop: Header=BB365_927 Depth=1
	v_bfrev_b32_e32 v13, 1
	s_mov_b32 s12, exec_lo
	v_cmpx_ne_u16_e32 0x80, v0
	s_cbranch_execz .LBB365_1048
; %bb.1043:                             ;   in Loop: Header=BB365_927 Depth=1
	v_bfe_u32 v14, v12, 16, 7
	v_mov_b32_e32 v13, 0x7fc02000
	s_mov_b32 s13, exec_lo
	s_delay_alu instid0(VALU_DEP_2)
	v_cmpx_ne_u32_e32 0x7f, v14
	s_cbranch_execz .LBB365_1047
; %bb.1044:                             ;   in Loop: Header=BB365_927 Depth=1
	v_and_b32_e32 v0, 7, v97
	v_lshrrev_b32_e32 v98, 3, v14
	v_cmp_gt_u32_e64 s0, 8, v14
	s_delay_alu instid0(VALU_DEP_3) | instskip(NEXT) | instid1(VALU_DEP_2)
	v_dual_mov_b32 v14, v1 :: v_dual_mov_b32 v13, v0
	s_and_saveexec_b32 s15, s0
; %bb.1045:                             ;   in Loop: Header=BB365_927 Depth=1
	v_clz_i32_u32_e32 v13, v0
	s_delay_alu instid0(VALU_DEP_1) | instskip(NEXT) | instid1(VALU_DEP_1)
	v_min_u32_e32 v98, 32, v13
	v_subrev_nc_u32_e32 v13, 28, v98
	v_sub_nc_u32_e32 v98, 29, v98
	s_delay_alu instid0(VALU_DEP_2) | instskip(NEXT) | instid1(VALU_DEP_1)
	v_lshlrev_b64 v[13:14], v13, v[0:1]
	v_and_b32_e32 v13, 7, v13
; %bb.1046:                             ;   in Loop: Header=BB365_927 Depth=1
	s_or_b32 exec_lo, exec_lo, s15
	v_lshlrev_b32_e32 v0, 8, v97
	v_lshl_add_u32 v14, v98, 10, 0x2000
	s_delay_alu instid0(VALU_DEP_1) | instskip(NEXT) | instid1(VALU_DEP_1)
	v_and_or_b32 v0, 0x8000, v0, v14
	v_lshl_or_b32 v0, v13, 7, v0
	s_delay_alu instid0(VALU_DEP_1)
	v_cvt_f32_f16_e32 v13, v0
.LBB365_1047:                           ;   in Loop: Header=BB365_927 Depth=1
	s_or_b32 exec_lo, exec_lo, s13
.LBB365_1048:                           ;   in Loop: Header=BB365_927 Depth=1
	s_delay_alu instid0(SALU_CYCLE_1)
	s_or_b32 exec_lo, exec_lo, s12
.LBB365_1049:                           ;   in Loop: Header=BB365_927 Depth=1
	s_delay_alu instid0(SALU_CYCLE_1) | instskip(NEXT) | instid1(SALU_CYCLE_1)
	s_or_b32 exec_lo, exec_lo, s10
	s_mov_b32 s10, exec_lo
	v_cmpx_lt_u64_e64 s[8:9], v[11:12]
	s_cbranch_execz .LBB365_1057
; %bb.1050:                             ;   in Loop: Header=BB365_927 Depth=1
	v_lshrrev_b32_e32 v14, 24, v12
	v_bfrev_b32_e32 v96, 1
	s_mov_b32 s12, exec_lo
	s_delay_alu instid0(VALU_DEP_2)
	v_cmpx_ne_u32_e32 0x80, v14
	s_cbranch_execz .LBB365_1056
; %bb.1051:                             ;   in Loop: Header=BB365_927 Depth=1
	v_and_b32_e32 v11, 0x7f, v14
	v_mov_b32_e32 v96, 0x7fc02000
	s_mov_b32 s13, exec_lo
	s_delay_alu instid0(VALU_DEP_2)
	v_cmpx_ne_u32_e32 0x7f, v11
	s_cbranch_execz .LBB365_1055
; %bb.1052:                             ;   in Loop: Header=BB365_927 Depth=1
	v_and_b32_e32 v0, 7, v14
	v_lshrrev_b32_e32 v96, 3, v11
	v_cmp_gt_u32_e64 s0, 8, v11
	s_delay_alu instid0(VALU_DEP_3) | instskip(NEXT) | instid1(VALU_DEP_2)
	v_dual_mov_b32 v12, v1 :: v_dual_mov_b32 v11, v0
	s_and_saveexec_b32 s15, s0
; %bb.1053:                             ;   in Loop: Header=BB365_927 Depth=1
	v_clz_i32_u32_e32 v11, v0
	s_delay_alu instid0(VALU_DEP_1) | instskip(NEXT) | instid1(VALU_DEP_1)
	v_min_u32_e32 v96, 32, v11
	v_subrev_nc_u32_e32 v11, 28, v96
	v_sub_nc_u32_e32 v96, 29, v96
	s_delay_alu instid0(VALU_DEP_2) | instskip(NEXT) | instid1(VALU_DEP_1)
	v_lshlrev_b64 v[11:12], v11, v[0:1]
	v_and_b32_e32 v11, 7, v11
; %bb.1054:                             ;   in Loop: Header=BB365_927 Depth=1
	s_or_b32 exec_lo, exec_lo, s15
	v_lshlrev_b32_e32 v0, 8, v14
	v_lshl_add_u32 v12, v96, 10, 0x2000
	s_delay_alu instid0(VALU_DEP_1) | instskip(NEXT) | instid1(VALU_DEP_1)
	v_and_or_b32 v0, 0x8000, v0, v12
	v_lshl_or_b32 v0, v11, 7, v0
	s_delay_alu instid0(VALU_DEP_1)
	v_cvt_f32_f16_e32 v96, v0
.LBB365_1055:                           ;   in Loop: Header=BB365_927 Depth=1
	s_or_b32 exec_lo, exec_lo, s13
.LBB365_1056:                           ;   in Loop: Header=BB365_927 Depth=1
	s_delay_alu instid0(SALU_CYCLE_1)
	s_or_b32 exec_lo, exec_lo, s12
.LBB365_1057:                           ;   in Loop: Header=BB365_927 Depth=1
	s_delay_alu instid0(SALU_CYCLE_1)
	s_or_b32 exec_lo, exec_lo, s10
	s_waitcnt vmcnt(0) lgkmcnt(0)
	v_fma_mixlo_f16 v12, v81, v83, 0
	v_fma_mixlo_f16 v0, v81, v85, 0
	;; [unrolled: 1-line block ×5, first 2 shown]
	v_lshlrev_b32_e32 v14, 16, v12
	v_fma_mixlo_f16 v84, v81, v86, 0
	v_fma_mixlo_f16 v85, v81, v96, 0
	v_fma_mixlo_f16 v12, v81, v13, 0
	v_lshlrev_b32_e32 v0, 16, v0
	v_and_b32_e32 v11, 0xffff, v11
	v_and_b32_e32 v81, 0xffff, v82
	v_lshlrev_b32_e32 v82, 16, v83
	v_and_b32_e32 v83, 0xffff, v84
	v_lshlrev_b32_e32 v84, 16, v85
	v_and_b32_e32 v85, 0xffff, v12
	v_or_b32_e32 v13, v0, v11
	v_or_b32_e32 v14, v14, v81
	;; [unrolled: 1-line block ×3, first 2 shown]
	s_delay_alu instid0(VALU_DEP_4)
	v_or_b32_e32 v11, v84, v85
	s_and_saveexec_b32 s10, vcc_lo
	s_cbranch_execz .LBB365_1059
; %bb.1058:                             ;   in Loop: Header=BB365_927 Depth=1
	v_cmp_lt_i32_e64 s0, v15, v35
	v_lshrrev_b32_e32 v81, 16, v14
	v_lshrrev_b32_e32 v82, 16, v13
	;; [unrolled: 1-line block ×4, first 2 shown]
	v_cndmask_b32_e64 v14, 0, v14, s0
	v_cmp_lt_i32_e64 s0, v80, v48
	s_delay_alu instid0(VALU_DEP_1) | instskip(SKIP_1) | instid1(VALU_DEP_2)
	v_cndmask_b32_e64 v81, 0, v81, s0
	v_cmp_lt_i32_e64 s0, v69, v48
	v_perm_b32 v14, v81, v14, 0x5040100
	s_delay_alu instid0(VALU_DEP_2) | instskip(SKIP_1) | instid1(VALU_DEP_1)
	v_cndmask_b32_e64 v82, 0, v82, s0
	v_cmp_lt_i32_e64 s0, v64, v35
	v_cndmask_b32_e64 v13, 0, v13, s0
	v_cmp_lt_i32_e64 s0, v55, v48
	s_delay_alu instid0(VALU_DEP_2) | instskip(NEXT) | instid1(VALU_DEP_2)
	v_perm_b32 v13, v82, v13, 0x5040100
	v_cndmask_b32_e64 v83, 0, v83, s0
	v_cmp_lt_i32_e64 s0, v54, v35
	s_delay_alu instid0(VALU_DEP_1) | instskip(SKIP_1) | instid1(VALU_DEP_2)
	v_cndmask_b32_e64 v0, 0, v0, s0
	v_cmp_lt_i32_e64 s0, v38, v48
	v_perm_b32 v0, v83, v0, 0x5040100
	s_delay_alu instid0(VALU_DEP_2) | instskip(SKIP_1) | instid1(VALU_DEP_1)
	v_cndmask_b32_e64 v11, 0, v11, s0
	v_cmp_lt_i32_e64 s0, v17, v35
	v_cndmask_b32_e64 v12, 0, v12, s0
	s_delay_alu instid0(VALU_DEP_1)
	v_perm_b32 v11, v11, v12, 0x5040100
.LBB365_1059:                           ;   in Loop: Header=BB365_927 Depth=1
	s_or_b32 exec_lo, exec_lo, s10
	;;#ASMSTART
	v_pk_mul_f16 v12, v71, v14;

	;;#ASMEND
	;;#ASMSTART
	v_pk_mul_f16 v13, v68, v13;

	;;#ASMEND
	;; [unrolled: 4-line block ×4, first 2 shown]
	;;#ASMSTART
	v_pk_add_f16 v12, v12, v13;

	;;#ASMEND
	;;#ASMSTART
	v_pk_add_f16 v0, v12, v0;

	;;#ASMEND
	;; [unrolled: 4-line block ×3, first 2 shown]
	v_dual_mov_b32 v84, 0 :: v_dual_and_b32 v11, 0xffff, v0
	v_lshrrev_b32_e32 v0, 16, v0
	;;#ASMSTART
	v_cvt_f32_f16 v81, v11;
	;;#ASMEND
	;;#ASMSTART
	v_cvt_f32_f16 v82, v0;
	;;#ASMEND
	flat_load_b64 v[11:12], v[9:10] offset:512
	flat_load_b32 v83, v[26:27]
	s_mov_b32 s10, exec_lo
	s_waitcnt vmcnt(1) lgkmcnt(1)
	v_dual_mov_b32 v85, 0 :: v_dual_and_b32 v0, 0xff, v11
	s_delay_alu instid0(VALU_DEP_1)
	v_cmpx_ne_u16_e32 0, v0
	s_cbranch_execz .LBB365_1067
; %bb.1060:                             ;   in Loop: Header=BB365_927 Depth=1
	v_bfrev_b32_e32 v84, 1
	s_mov_b32 s12, exec_lo
	v_cmpx_ne_u16_e32 0x80, v0
	s_cbranch_execz .LBB365_1066
; %bb.1061:                             ;   in Loop: Header=BB365_927 Depth=1
	v_and_b32_e32 v13, 0x7f, v11
	v_mov_b32_e32 v84, 0x7fc02000
	s_mov_b32 s13, exec_lo
	s_delay_alu instid0(VALU_DEP_2)
	v_cmpx_ne_u32_e32 0x7f, v13
	s_cbranch_execz .LBB365_1065
; %bb.1062:                             ;   in Loop: Header=BB365_927 Depth=1
	v_lshrrev_b32_e32 v0, 3, v13
	v_cmp_gt_u32_e64 s0, 8, v13
	v_dual_mov_b32 v14, v12 :: v_dual_mov_b32 v13, v11
	s_delay_alu instid0(VALU_DEP_2)
	s_and_saveexec_b32 s15, s0
; %bb.1063:                             ;   in Loop: Header=BB365_927 Depth=1
	v_and_b32_e32 v0, 7, v11
	s_delay_alu instid0(VALU_DEP_1) | instskip(NEXT) | instid1(VALU_DEP_1)
	v_clz_i32_u32_e32 v0, v0
	v_min_u32_e32 v0, 32, v0
	s_delay_alu instid0(VALU_DEP_1) | instskip(SKIP_1) | instid1(VALU_DEP_2)
	v_subrev_nc_u32_e32 v13, 28, v0
	v_sub_nc_u32_e32 v0, 29, v0
	v_lshlrev_b64 v[13:14], v13, v[11:12]
; %bb.1064:                             ;   in Loop: Header=BB365_927 Depth=1
	s_or_b32 exec_lo, exec_lo, s15
	v_lshlrev_b32_e32 v14, 8, v11
	s_delay_alu instid0(VALU_DEP_3) | instskip(NEXT) | instid1(VALU_DEP_3)
	v_lshl_add_u32 v0, v0, 10, 0x2000
	v_lshlrev_b32_e32 v13, 7, v13
	s_delay_alu instid0(VALU_DEP_2) | instskip(NEXT) | instid1(VALU_DEP_1)
	v_and_or_b32 v0, 0x8000, v14, v0
	v_and_or_b32 v0, 0x380, v13, v0
	s_delay_alu instid0(VALU_DEP_1)
	v_cvt_f32_f16_e32 v84, v0
.LBB365_1065:                           ;   in Loop: Header=BB365_927 Depth=1
	s_or_b32 exec_lo, exec_lo, s13
.LBB365_1066:                           ;   in Loop: Header=BB365_927 Depth=1
	s_delay_alu instid0(SALU_CYCLE_1)
	s_or_b32 exec_lo, exec_lo, s12
.LBB365_1067:                           ;   in Loop: Header=BB365_927 Depth=1
	s_delay_alu instid0(SALU_CYCLE_1) | instskip(SKIP_2) | instid1(VALU_DEP_1)
	s_or_b32 exec_lo, exec_lo, s10
	v_lshrrev_b16 v0, 8, v11
	s_mov_b32 s10, exec_lo
	v_cmpx_ne_u16_e32 0, v0
	s_cbranch_execz .LBB365_1075
; %bb.1068:                             ;   in Loop: Header=BB365_927 Depth=1
	v_bfrev_b32_e32 v85, 1
	s_mov_b32 s12, exec_lo
	v_cmpx_ne_u16_e32 0x80, v0
	s_cbranch_execz .LBB365_1074
; %bb.1069:                             ;   in Loop: Header=BB365_927 Depth=1
	v_and_b32_e32 v86, 0xffff, v0
	v_mov_b32_e32 v85, 0x7fc02000
	s_mov_b32 s13, exec_lo
	s_delay_alu instid0(VALU_DEP_2) | instskip(NEXT) | instid1(VALU_DEP_1)
	v_and_b32_e32 v13, 0x7f, v86
	v_cmpx_ne_u32_e32 0x7f, v13
	s_cbranch_execz .LBB365_1073
; %bb.1070:                             ;   in Loop: Header=BB365_927 Depth=1
	v_and_b32_e32 v0, 7, v86
	v_lshrrev_b32_e32 v85, 3, v13
	v_cmp_gt_u32_e64 s0, 8, v13
	s_delay_alu instid0(VALU_DEP_3) | instskip(NEXT) | instid1(VALU_DEP_2)
	v_dual_mov_b32 v14, v1 :: v_dual_mov_b32 v13, v0
	s_and_saveexec_b32 s15, s0
; %bb.1071:                             ;   in Loop: Header=BB365_927 Depth=1
	v_clz_i32_u32_e32 v13, v0
	s_delay_alu instid0(VALU_DEP_1) | instskip(NEXT) | instid1(VALU_DEP_1)
	v_min_u32_e32 v85, 32, v13
	v_subrev_nc_u32_e32 v13, 28, v85
	v_sub_nc_u32_e32 v85, 29, v85
	s_delay_alu instid0(VALU_DEP_2) | instskip(NEXT) | instid1(VALU_DEP_1)
	v_lshlrev_b64 v[13:14], v13, v[0:1]
	v_and_b32_e32 v13, 7, v13
; %bb.1072:                             ;   in Loop: Header=BB365_927 Depth=1
	s_or_b32 exec_lo, exec_lo, s15
	v_lshlrev_b32_e32 v0, 8, v86
	v_lshl_add_u32 v14, v85, 10, 0x2000
	s_delay_alu instid0(VALU_DEP_1) | instskip(NEXT) | instid1(VALU_DEP_1)
	v_and_or_b32 v0, 0x8000, v0, v14
	v_lshl_or_b32 v0, v13, 7, v0
	s_delay_alu instid0(VALU_DEP_1)
	v_cvt_f32_f16_e32 v85, v0
.LBB365_1073:                           ;   in Loop: Header=BB365_927 Depth=1
	s_or_b32 exec_lo, exec_lo, s13
.LBB365_1074:                           ;   in Loop: Header=BB365_927 Depth=1
	s_delay_alu instid0(SALU_CYCLE_1)
	s_or_b32 exec_lo, exec_lo, s12
.LBB365_1075:                           ;   in Loop: Header=BB365_927 Depth=1
	s_delay_alu instid0(SALU_CYCLE_1) | instskip(SKIP_3) | instid1(VALU_DEP_2)
	s_or_b32 exec_lo, exec_lo, s10
	v_lshrrev_b32_e32 v96, 16, v11
	v_mov_b32_e32 v86, 0
	s_mov_b32 s10, exec_lo
	v_dual_mov_b32 v87, 0 :: v_dual_and_b32 v0, 0xff, v96
	s_delay_alu instid0(VALU_DEP_1)
	v_cmpx_ne_u16_e32 0, v0
	s_cbranch_execz .LBB365_1083
; %bb.1076:                             ;   in Loop: Header=BB365_927 Depth=1
	v_bfrev_b32_e32 v86, 1
	s_mov_b32 s12, exec_lo
	v_cmpx_ne_u16_e32 0x80, v0
	s_cbranch_execz .LBB365_1082
; %bb.1077:                             ;   in Loop: Header=BB365_927 Depth=1
	v_bfe_u32 v13, v11, 16, 7
	v_mov_b32_e32 v86, 0x7fc02000
	s_mov_b32 s13, exec_lo
	s_delay_alu instid0(VALU_DEP_2)
	v_cmpx_ne_u32_e32 0x7f, v13
	s_cbranch_execz .LBB365_1081
; %bb.1078:                             ;   in Loop: Header=BB365_927 Depth=1
	v_and_b32_e32 v0, 7, v96
	v_lshrrev_b32_e32 v86, 3, v13
	v_cmp_gt_u32_e64 s0, 8, v13
	s_delay_alu instid0(VALU_DEP_3) | instskip(NEXT) | instid1(VALU_DEP_2)
	v_dual_mov_b32 v14, v1 :: v_dual_mov_b32 v13, v0
	s_and_saveexec_b32 s15, s0
; %bb.1079:                             ;   in Loop: Header=BB365_927 Depth=1
	v_clz_i32_u32_e32 v13, v0
	s_delay_alu instid0(VALU_DEP_1) | instskip(NEXT) | instid1(VALU_DEP_1)
	v_min_u32_e32 v86, 32, v13
	v_subrev_nc_u32_e32 v13, 28, v86
	v_sub_nc_u32_e32 v86, 29, v86
	s_delay_alu instid0(VALU_DEP_2) | instskip(NEXT) | instid1(VALU_DEP_1)
	v_lshlrev_b64 v[13:14], v13, v[0:1]
	v_and_b32_e32 v13, 7, v13
; %bb.1080:                             ;   in Loop: Header=BB365_927 Depth=1
	s_or_b32 exec_lo, exec_lo, s15
	v_lshlrev_b32_e32 v0, 8, v96
	v_lshl_add_u32 v14, v86, 10, 0x2000
	s_delay_alu instid0(VALU_DEP_1) | instskip(NEXT) | instid1(VALU_DEP_1)
	v_and_or_b32 v0, 0x8000, v0, v14
	v_lshl_or_b32 v0, v13, 7, v0
	s_delay_alu instid0(VALU_DEP_1)
	v_cvt_f32_f16_e32 v86, v0
.LBB365_1081:                           ;   in Loop: Header=BB365_927 Depth=1
	s_or_b32 exec_lo, exec_lo, s13
.LBB365_1082:                           ;   in Loop: Header=BB365_927 Depth=1
	s_delay_alu instid0(SALU_CYCLE_1)
	s_or_b32 exec_lo, exec_lo, s12
.LBB365_1083:                           ;   in Loop: Header=BB365_927 Depth=1
	s_delay_alu instid0(SALU_CYCLE_1) | instskip(NEXT) | instid1(SALU_CYCLE_1)
	s_or_b32 exec_lo, exec_lo, s10
	s_mov_b32 s10, exec_lo
	v_cmpx_lt_u32_e32 0xffffff, v11
	s_cbranch_execz .LBB365_1091
; %bb.1084:                             ;   in Loop: Header=BB365_927 Depth=1
	v_lshrrev_b32_e32 v96, 24, v11
	v_bfrev_b32_e32 v87, 1
	s_mov_b32 s12, exec_lo
	s_delay_alu instid0(VALU_DEP_2)
	v_cmpx_ne_u32_e32 0x80, v96
	s_cbranch_execz .LBB365_1090
; %bb.1085:                             ;   in Loop: Header=BB365_927 Depth=1
	v_and_b32_e32 v13, 0x7f, v96
	v_mov_b32_e32 v87, 0x7fc02000
	s_mov_b32 s13, exec_lo
	s_delay_alu instid0(VALU_DEP_2)
	v_cmpx_ne_u32_e32 0x7f, v13
	s_cbranch_execz .LBB365_1089
; %bb.1086:                             ;   in Loop: Header=BB365_927 Depth=1
	v_and_b32_e32 v0, 7, v96
	v_lshrrev_b32_e32 v87, 3, v13
	v_cmp_gt_u32_e64 s0, 8, v13
	s_delay_alu instid0(VALU_DEP_3) | instskip(NEXT) | instid1(VALU_DEP_2)
	v_dual_mov_b32 v14, v1 :: v_dual_mov_b32 v13, v0
	s_and_saveexec_b32 s15, s0
; %bb.1087:                             ;   in Loop: Header=BB365_927 Depth=1
	v_clz_i32_u32_e32 v13, v0
	s_delay_alu instid0(VALU_DEP_1) | instskip(NEXT) | instid1(VALU_DEP_1)
	v_min_u32_e32 v87, 32, v13
	v_subrev_nc_u32_e32 v13, 28, v87
	v_sub_nc_u32_e32 v87, 29, v87
	s_delay_alu instid0(VALU_DEP_2) | instskip(NEXT) | instid1(VALU_DEP_1)
	v_lshlrev_b64 v[13:14], v13, v[0:1]
	v_and_b32_e32 v13, 7, v13
; %bb.1088:                             ;   in Loop: Header=BB365_927 Depth=1
	s_or_b32 exec_lo, exec_lo, s15
	v_lshlrev_b32_e32 v0, 8, v96
	v_lshl_add_u32 v14, v87, 10, 0x2000
	s_delay_alu instid0(VALU_DEP_1) | instskip(NEXT) | instid1(VALU_DEP_1)
	v_and_or_b32 v0, 0x8000, v0, v14
	v_lshl_or_b32 v0, v13, 7, v0
	s_delay_alu instid0(VALU_DEP_1)
	v_cvt_f32_f16_e32 v87, v0
.LBB365_1089:                           ;   in Loop: Header=BB365_927 Depth=1
	s_or_b32 exec_lo, exec_lo, s13
.LBB365_1090:                           ;   in Loop: Header=BB365_927 Depth=1
	s_delay_alu instid0(SALU_CYCLE_1)
	s_or_b32 exec_lo, exec_lo, s12
.LBB365_1091:                           ;   in Loop: Header=BB365_927 Depth=1
	s_delay_alu instid0(SALU_CYCLE_1) | instskip(SKIP_3) | instid1(VALU_DEP_2)
	s_or_b32 exec_lo, exec_lo, s10
	v_dual_mov_b32 v0, v12 :: v_dual_and_b32 v13, 0xff, v12
	v_dual_mov_b32 v97, 0 :: v_dual_mov_b32 v96, 0
	s_mov_b32 s10, exec_lo
	v_cmpx_ne_u16_e32 0, v13
	s_cbranch_execz .LBB365_1099
; %bb.1092:                             ;   in Loop: Header=BB365_927 Depth=1
	v_bfrev_b32_e32 v96, 1
	s_mov_b32 s12, exec_lo
	v_cmpx_ne_u16_e32 0x80, v13
	s_cbranch_execz .LBB365_1098
; %bb.1093:                             ;   in Loop: Header=BB365_927 Depth=1
	v_and_b32_e32 v13, 0x7f, v12
	v_mov_b32_e32 v96, 0x7fc02000
	s_mov_b32 s13, exec_lo
	s_delay_alu instid0(VALU_DEP_2)
	v_cmpx_ne_u32_e32 0x7f, v13
	s_cbranch_execz .LBB365_1097
; %bb.1094:                             ;   in Loop: Header=BB365_927 Depth=1
	v_lshrrev_b32_e32 v96, 3, v13
	v_cmp_gt_u32_e64 s0, 8, v13
	v_dual_mov_b32 v14, v1 :: v_dual_mov_b32 v13, v0
	s_delay_alu instid0(VALU_DEP_2)
	s_and_saveexec_b32 s15, s0
; %bb.1095:                             ;   in Loop: Header=BB365_927 Depth=1
	v_and_b32_e32 v13, 7, v12
	s_delay_alu instid0(VALU_DEP_1) | instskip(NEXT) | instid1(VALU_DEP_1)
	v_clz_i32_u32_e32 v13, v13
	v_min_u32_e32 v96, 32, v13
	s_delay_alu instid0(VALU_DEP_1) | instskip(SKIP_1) | instid1(VALU_DEP_2)
	v_subrev_nc_u32_e32 v13, 28, v96
	v_sub_nc_u32_e32 v96, 29, v96
	v_lshlrev_b64 v[13:14], v13, v[0:1]
; %bb.1096:                             ;   in Loop: Header=BB365_927 Depth=1
	s_or_b32 exec_lo, exec_lo, s15
	v_lshlrev_b32_e32 v14, 8, v12
	s_delay_alu instid0(VALU_DEP_3) | instskip(NEXT) | instid1(VALU_DEP_3)
	v_lshl_add_u32 v96, v96, 10, 0x2000
	v_lshlrev_b32_e32 v13, 7, v13
	s_delay_alu instid0(VALU_DEP_2) | instskip(NEXT) | instid1(VALU_DEP_1)
	v_and_or_b32 v14, 0x8000, v14, v96
	v_and_or_b32 v13, 0x380, v13, v14
	s_delay_alu instid0(VALU_DEP_1)
	v_cvt_f32_f16_e32 v96, v13
.LBB365_1097:                           ;   in Loop: Header=BB365_927 Depth=1
	s_or_b32 exec_lo, exec_lo, s13
.LBB365_1098:                           ;   in Loop: Header=BB365_927 Depth=1
	s_delay_alu instid0(SALU_CYCLE_1)
	s_or_b32 exec_lo, exec_lo, s12
.LBB365_1099:                           ;   in Loop: Header=BB365_927 Depth=1
	s_delay_alu instid0(SALU_CYCLE_1) | instskip(SKIP_2) | instid1(VALU_DEP_1)
	s_or_b32 exec_lo, exec_lo, s10
	v_lshrrev_b16 v0, 8, v0
	s_mov_b32 s10, exec_lo
	v_cmpx_ne_u16_e32 0, v0
	s_cbranch_execz .LBB365_1107
; %bb.1100:                             ;   in Loop: Header=BB365_927 Depth=1
	v_bfrev_b32_e32 v97, 1
	s_mov_b32 s12, exec_lo
	v_cmpx_ne_u16_e32 0x80, v0
	s_cbranch_execz .LBB365_1106
; %bb.1101:                             ;   in Loop: Header=BB365_927 Depth=1
	v_and_b32_e32 v98, 0xffff, v0
	v_mov_b32_e32 v97, 0x7fc02000
	s_mov_b32 s13, exec_lo
	s_delay_alu instid0(VALU_DEP_2) | instskip(NEXT) | instid1(VALU_DEP_1)
	v_and_b32_e32 v13, 0x7f, v98
	v_cmpx_ne_u32_e32 0x7f, v13
	s_cbranch_execz .LBB365_1105
; %bb.1102:                             ;   in Loop: Header=BB365_927 Depth=1
	v_and_b32_e32 v0, 7, v98
	v_lshrrev_b32_e32 v97, 3, v13
	v_cmp_gt_u32_e64 s0, 8, v13
	s_delay_alu instid0(VALU_DEP_3) | instskip(NEXT) | instid1(VALU_DEP_2)
	v_dual_mov_b32 v14, v1 :: v_dual_mov_b32 v13, v0
	s_and_saveexec_b32 s15, s0
; %bb.1103:                             ;   in Loop: Header=BB365_927 Depth=1
	v_clz_i32_u32_e32 v13, v0
	s_delay_alu instid0(VALU_DEP_1) | instskip(NEXT) | instid1(VALU_DEP_1)
	v_min_u32_e32 v97, 32, v13
	v_subrev_nc_u32_e32 v13, 28, v97
	v_sub_nc_u32_e32 v97, 29, v97
	s_delay_alu instid0(VALU_DEP_2) | instskip(NEXT) | instid1(VALU_DEP_1)
	v_lshlrev_b64 v[13:14], v13, v[0:1]
	v_and_b32_e32 v13, 7, v13
; %bb.1104:                             ;   in Loop: Header=BB365_927 Depth=1
	s_or_b32 exec_lo, exec_lo, s15
	v_lshlrev_b32_e32 v0, 8, v98
	v_lshl_add_u32 v14, v97, 10, 0x2000
	s_delay_alu instid0(VALU_DEP_1) | instskip(NEXT) | instid1(VALU_DEP_1)
	v_and_or_b32 v0, 0x8000, v0, v14
	v_lshl_or_b32 v0, v13, 7, v0
	s_delay_alu instid0(VALU_DEP_1)
	v_cvt_f32_f16_e32 v97, v0
.LBB365_1105:                           ;   in Loop: Header=BB365_927 Depth=1
	s_or_b32 exec_lo, exec_lo, s13
.LBB365_1106:                           ;   in Loop: Header=BB365_927 Depth=1
	s_delay_alu instid0(SALU_CYCLE_1)
	s_or_b32 exec_lo, exec_lo, s12
.LBB365_1107:                           ;   in Loop: Header=BB365_927 Depth=1
	s_delay_alu instid0(SALU_CYCLE_1) | instskip(SKIP_3) | instid1(VALU_DEP_2)
	s_or_b32 exec_lo, exec_lo, s10
	v_lshrrev_b32_e32 v99, 16, v12
	v_mov_b32_e32 v98, 0
	s_mov_b32 s10, exec_lo
	v_dual_mov_b32 v13, 0 :: v_dual_and_b32 v0, 0xff, v99
	s_delay_alu instid0(VALU_DEP_1)
	v_cmpx_ne_u16_e32 0, v0
	s_cbranch_execz .LBB365_1115
; %bb.1108:                             ;   in Loop: Header=BB365_927 Depth=1
	v_bfrev_b32_e32 v13, 1
	s_mov_b32 s12, exec_lo
	v_cmpx_ne_u16_e32 0x80, v0
	s_cbranch_execz .LBB365_1114
; %bb.1109:                             ;   in Loop: Header=BB365_927 Depth=1
	v_bfe_u32 v14, v12, 16, 7
	v_mov_b32_e32 v13, 0x7fc02000
	s_mov_b32 s13, exec_lo
	s_delay_alu instid0(VALU_DEP_2)
	v_cmpx_ne_u32_e32 0x7f, v14
	s_cbranch_execz .LBB365_1113
; %bb.1110:                             ;   in Loop: Header=BB365_927 Depth=1
	v_and_b32_e32 v0, 7, v99
	v_lshrrev_b32_e32 v100, 3, v14
	v_cmp_gt_u32_e64 s0, 8, v14
	s_delay_alu instid0(VALU_DEP_3) | instskip(NEXT) | instid1(VALU_DEP_2)
	v_dual_mov_b32 v14, v1 :: v_dual_mov_b32 v13, v0
	s_and_saveexec_b32 s15, s0
; %bb.1111:                             ;   in Loop: Header=BB365_927 Depth=1
	v_clz_i32_u32_e32 v13, v0
	s_delay_alu instid0(VALU_DEP_1) | instskip(NEXT) | instid1(VALU_DEP_1)
	v_min_u32_e32 v100, 32, v13
	v_subrev_nc_u32_e32 v13, 28, v100
	v_sub_nc_u32_e32 v100, 29, v100
	s_delay_alu instid0(VALU_DEP_2) | instskip(NEXT) | instid1(VALU_DEP_1)
	v_lshlrev_b64 v[13:14], v13, v[0:1]
	v_and_b32_e32 v13, 7, v13
; %bb.1112:                             ;   in Loop: Header=BB365_927 Depth=1
	s_or_b32 exec_lo, exec_lo, s15
	v_lshlrev_b32_e32 v0, 8, v99
	v_lshl_add_u32 v14, v100, 10, 0x2000
	s_delay_alu instid0(VALU_DEP_1) | instskip(NEXT) | instid1(VALU_DEP_1)
	v_and_or_b32 v0, 0x8000, v0, v14
	v_lshl_or_b32 v0, v13, 7, v0
	s_delay_alu instid0(VALU_DEP_1)
	v_cvt_f32_f16_e32 v13, v0
.LBB365_1113:                           ;   in Loop: Header=BB365_927 Depth=1
	s_or_b32 exec_lo, exec_lo, s13
.LBB365_1114:                           ;   in Loop: Header=BB365_927 Depth=1
	s_delay_alu instid0(SALU_CYCLE_1)
	s_or_b32 exec_lo, exec_lo, s12
.LBB365_1115:                           ;   in Loop: Header=BB365_927 Depth=1
	s_delay_alu instid0(SALU_CYCLE_1) | instskip(NEXT) | instid1(SALU_CYCLE_1)
	s_or_b32 exec_lo, exec_lo, s10
	s_mov_b32 s10, exec_lo
	v_cmpx_lt_u64_e64 s[8:9], v[11:12]
	s_cbranch_execz .LBB365_1123
; %bb.1116:                             ;   in Loop: Header=BB365_927 Depth=1
	v_lshrrev_b32_e32 v14, 24, v12
	v_bfrev_b32_e32 v98, 1
	s_mov_b32 s12, exec_lo
	s_delay_alu instid0(VALU_DEP_2)
	v_cmpx_ne_u32_e32 0x80, v14
	s_cbranch_execz .LBB365_1122
; %bb.1117:                             ;   in Loop: Header=BB365_927 Depth=1
	v_and_b32_e32 v11, 0x7f, v14
	v_mov_b32_e32 v98, 0x7fc02000
	s_mov_b32 s13, exec_lo
	s_delay_alu instid0(VALU_DEP_2)
	v_cmpx_ne_u32_e32 0x7f, v11
	s_cbranch_execz .LBB365_1121
; %bb.1118:                             ;   in Loop: Header=BB365_927 Depth=1
	v_and_b32_e32 v0, 7, v14
	v_lshrrev_b32_e32 v98, 3, v11
	v_cmp_gt_u32_e64 s0, 8, v11
	s_delay_alu instid0(VALU_DEP_3) | instskip(NEXT) | instid1(VALU_DEP_2)
	v_dual_mov_b32 v12, v1 :: v_dual_mov_b32 v11, v0
	s_and_saveexec_b32 s15, s0
; %bb.1119:                             ;   in Loop: Header=BB365_927 Depth=1
	v_clz_i32_u32_e32 v11, v0
	s_delay_alu instid0(VALU_DEP_1) | instskip(NEXT) | instid1(VALU_DEP_1)
	v_min_u32_e32 v98, 32, v11
	v_subrev_nc_u32_e32 v11, 28, v98
	v_sub_nc_u32_e32 v98, 29, v98
	s_delay_alu instid0(VALU_DEP_2) | instskip(NEXT) | instid1(VALU_DEP_1)
	v_lshlrev_b64 v[11:12], v11, v[0:1]
	v_and_b32_e32 v11, 7, v11
; %bb.1120:                             ;   in Loop: Header=BB365_927 Depth=1
	s_or_b32 exec_lo, exec_lo, s15
	v_lshlrev_b32_e32 v0, 8, v14
	v_lshl_add_u32 v12, v98, 10, 0x2000
	s_delay_alu instid0(VALU_DEP_1) | instskip(NEXT) | instid1(VALU_DEP_1)
	v_and_or_b32 v0, 0x8000, v0, v12
	v_lshl_or_b32 v0, v11, 7, v0
	s_delay_alu instid0(VALU_DEP_1)
	v_cvt_f32_f16_e32 v98, v0
.LBB365_1121:                           ;   in Loop: Header=BB365_927 Depth=1
	s_or_b32 exec_lo, exec_lo, s13
.LBB365_1122:                           ;   in Loop: Header=BB365_927 Depth=1
	s_delay_alu instid0(SALU_CYCLE_1)
	s_or_b32 exec_lo, exec_lo, s12
.LBB365_1123:                           ;   in Loop: Header=BB365_927 Depth=1
	s_delay_alu instid0(SALU_CYCLE_1)
	s_or_b32 exec_lo, exec_lo, s10
	s_waitcnt vmcnt(0) lgkmcnt(0)
	v_fma_mixlo_f16 v12, v83, v85, 0
	v_fma_mixlo_f16 v0, v83, v87, 0
	;; [unrolled: 1-line block ×5, first 2 shown]
	v_lshlrev_b32_e32 v14, 16, v12
	v_fma_mixlo_f16 v86, v83, v96, 0
	v_fma_mixlo_f16 v87, v83, v98, 0
	;; [unrolled: 1-line block ×3, first 2 shown]
	v_lshlrev_b32_e32 v0, 16, v0
	v_and_b32_e32 v11, 0xffff, v11
	v_and_b32_e32 v83, 0xffff, v84
	v_lshlrev_b32_e32 v84, 16, v85
	v_and_b32_e32 v85, 0xffff, v86
	v_lshlrev_b32_e32 v86, 16, v87
	v_and_b32_e32 v87, 0xffff, v12
	v_or_b32_e32 v13, v0, v11
	v_or_b32_e32 v14, v14, v83
	;; [unrolled: 1-line block ×3, first 2 shown]
	s_delay_alu instid0(VALU_DEP_4)
	v_or_b32_e32 v11, v86, v87
	s_and_saveexec_b32 s10, vcc_lo
	s_cbranch_execz .LBB365_1125
; %bb.1124:                             ;   in Loop: Header=BB365_927 Depth=1
	v_cmp_lt_i32_e64 s0, v15, v35
	v_lshrrev_b32_e32 v83, 16, v14
	v_lshrrev_b32_e32 v84, 16, v13
	;; [unrolled: 1-line block ×4, first 2 shown]
	v_cndmask_b32_e64 v14, 0, v14, s0
	v_cmp_lt_i32_e64 s0, v80, v48
	s_delay_alu instid0(VALU_DEP_1) | instskip(SKIP_1) | instid1(VALU_DEP_2)
	v_cndmask_b32_e64 v83, 0, v83, s0
	v_cmp_lt_i32_e64 s0, v69, v48
	v_perm_b32 v14, v83, v14, 0x5040100
	s_delay_alu instid0(VALU_DEP_2) | instskip(SKIP_1) | instid1(VALU_DEP_1)
	v_cndmask_b32_e64 v84, 0, v84, s0
	v_cmp_lt_i32_e64 s0, v64, v35
	v_cndmask_b32_e64 v13, 0, v13, s0
	v_cmp_lt_i32_e64 s0, v55, v48
	s_delay_alu instid0(VALU_DEP_2) | instskip(NEXT) | instid1(VALU_DEP_2)
	v_perm_b32 v13, v84, v13, 0x5040100
	v_cndmask_b32_e64 v85, 0, v85, s0
	v_cmp_lt_i32_e64 s0, v54, v35
	s_delay_alu instid0(VALU_DEP_1) | instskip(SKIP_1) | instid1(VALU_DEP_2)
	v_cndmask_b32_e64 v0, 0, v0, s0
	v_cmp_lt_i32_e64 s0, v38, v48
	v_perm_b32 v0, v85, v0, 0x5040100
	s_delay_alu instid0(VALU_DEP_2) | instskip(SKIP_1) | instid1(VALU_DEP_1)
	v_cndmask_b32_e64 v11, 0, v11, s0
	v_cmp_lt_i32_e64 s0, v17, v35
	v_cndmask_b32_e64 v12, 0, v12, s0
	s_delay_alu instid0(VALU_DEP_1)
	v_perm_b32 v11, v11, v12, 0x5040100
.LBB365_1125:                           ;   in Loop: Header=BB365_927 Depth=1
	s_or_b32 exec_lo, exec_lo, s10
	;;#ASMSTART
	v_pk_mul_f16 v12, v71, v14;

	;;#ASMEND
	;;#ASMSTART
	v_pk_mul_f16 v13, v68, v13;

	;;#ASMEND
	;; [unrolled: 4-line block ×4, first 2 shown]
	;;#ASMSTART
	v_pk_add_f16 v12, v12, v13;

	;;#ASMEND
	;;#ASMSTART
	v_pk_add_f16 v0, v12, v0;

	;;#ASMEND
	;; [unrolled: 4-line block ×3, first 2 shown]
	v_dual_mov_b32 v86, 0 :: v_dual_and_b32 v11, 0xffff, v0
	v_lshrrev_b32_e32 v0, 16, v0
	;;#ASMSTART
	v_cvt_f32_f16 v83, v11;
	;;#ASMEND
	;;#ASMSTART
	v_cvt_f32_f16 v84, v0;
	;;#ASMEND
	flat_load_b64 v[11:12], v[9:10] offset:768
	flat_load_b32 v85, v[26:27]
	s_mov_b32 s10, exec_lo
	s_waitcnt vmcnt(1) lgkmcnt(1)
	v_dual_mov_b32 v87, 0 :: v_dual_and_b32 v0, 0xff, v11
	s_delay_alu instid0(VALU_DEP_1)
	v_cmpx_ne_u16_e32 0, v0
	s_cbranch_execz .LBB365_1133
; %bb.1126:                             ;   in Loop: Header=BB365_927 Depth=1
	v_bfrev_b32_e32 v86, 1
	s_mov_b32 s12, exec_lo
	v_cmpx_ne_u16_e32 0x80, v0
	s_cbranch_execz .LBB365_1132
; %bb.1127:                             ;   in Loop: Header=BB365_927 Depth=1
	v_and_b32_e32 v13, 0x7f, v11
	v_mov_b32_e32 v86, 0x7fc02000
	s_mov_b32 s13, exec_lo
	s_delay_alu instid0(VALU_DEP_2)
	v_cmpx_ne_u32_e32 0x7f, v13
	s_cbranch_execz .LBB365_1131
; %bb.1128:                             ;   in Loop: Header=BB365_927 Depth=1
	v_lshrrev_b32_e32 v0, 3, v13
	v_cmp_gt_u32_e64 s0, 8, v13
	v_dual_mov_b32 v14, v12 :: v_dual_mov_b32 v13, v11
	s_delay_alu instid0(VALU_DEP_2)
	s_and_saveexec_b32 s15, s0
; %bb.1129:                             ;   in Loop: Header=BB365_927 Depth=1
	v_and_b32_e32 v0, 7, v11
	s_delay_alu instid0(VALU_DEP_1) | instskip(NEXT) | instid1(VALU_DEP_1)
	v_clz_i32_u32_e32 v0, v0
	v_min_u32_e32 v0, 32, v0
	s_delay_alu instid0(VALU_DEP_1) | instskip(SKIP_1) | instid1(VALU_DEP_2)
	v_subrev_nc_u32_e32 v13, 28, v0
	v_sub_nc_u32_e32 v0, 29, v0
	v_lshlrev_b64 v[13:14], v13, v[11:12]
; %bb.1130:                             ;   in Loop: Header=BB365_927 Depth=1
	s_or_b32 exec_lo, exec_lo, s15
	v_lshlrev_b32_e32 v14, 8, v11
	s_delay_alu instid0(VALU_DEP_3) | instskip(NEXT) | instid1(VALU_DEP_3)
	v_lshl_add_u32 v0, v0, 10, 0x2000
	v_lshlrev_b32_e32 v13, 7, v13
	s_delay_alu instid0(VALU_DEP_2) | instskip(NEXT) | instid1(VALU_DEP_1)
	v_and_or_b32 v0, 0x8000, v14, v0
	v_and_or_b32 v0, 0x380, v13, v0
	s_delay_alu instid0(VALU_DEP_1)
	v_cvt_f32_f16_e32 v86, v0
.LBB365_1131:                           ;   in Loop: Header=BB365_927 Depth=1
	s_or_b32 exec_lo, exec_lo, s13
.LBB365_1132:                           ;   in Loop: Header=BB365_927 Depth=1
	s_delay_alu instid0(SALU_CYCLE_1)
	s_or_b32 exec_lo, exec_lo, s12
.LBB365_1133:                           ;   in Loop: Header=BB365_927 Depth=1
	s_delay_alu instid0(SALU_CYCLE_1) | instskip(SKIP_2) | instid1(VALU_DEP_1)
	s_or_b32 exec_lo, exec_lo, s10
	v_lshrrev_b16 v0, 8, v11
	s_mov_b32 s10, exec_lo
	v_cmpx_ne_u16_e32 0, v0
	s_cbranch_execz .LBB365_1141
; %bb.1134:                             ;   in Loop: Header=BB365_927 Depth=1
	v_bfrev_b32_e32 v87, 1
	s_mov_b32 s12, exec_lo
	v_cmpx_ne_u16_e32 0x80, v0
	s_cbranch_execz .LBB365_1140
; %bb.1135:                             ;   in Loop: Header=BB365_927 Depth=1
	v_and_b32_e32 v96, 0xffff, v0
	v_mov_b32_e32 v87, 0x7fc02000
	s_mov_b32 s13, exec_lo
	s_delay_alu instid0(VALU_DEP_2) | instskip(NEXT) | instid1(VALU_DEP_1)
	v_and_b32_e32 v13, 0x7f, v96
	v_cmpx_ne_u32_e32 0x7f, v13
	s_cbranch_execz .LBB365_1139
; %bb.1136:                             ;   in Loop: Header=BB365_927 Depth=1
	v_and_b32_e32 v0, 7, v96
	v_lshrrev_b32_e32 v87, 3, v13
	v_cmp_gt_u32_e64 s0, 8, v13
	s_delay_alu instid0(VALU_DEP_3) | instskip(NEXT) | instid1(VALU_DEP_2)
	v_dual_mov_b32 v14, v1 :: v_dual_mov_b32 v13, v0
	s_and_saveexec_b32 s15, s0
; %bb.1137:                             ;   in Loop: Header=BB365_927 Depth=1
	v_clz_i32_u32_e32 v13, v0
	s_delay_alu instid0(VALU_DEP_1) | instskip(NEXT) | instid1(VALU_DEP_1)
	v_min_u32_e32 v87, 32, v13
	v_subrev_nc_u32_e32 v13, 28, v87
	v_sub_nc_u32_e32 v87, 29, v87
	s_delay_alu instid0(VALU_DEP_2) | instskip(NEXT) | instid1(VALU_DEP_1)
	v_lshlrev_b64 v[13:14], v13, v[0:1]
	v_and_b32_e32 v13, 7, v13
; %bb.1138:                             ;   in Loop: Header=BB365_927 Depth=1
	s_or_b32 exec_lo, exec_lo, s15
	v_lshlrev_b32_e32 v0, 8, v96
	v_lshl_add_u32 v14, v87, 10, 0x2000
	s_delay_alu instid0(VALU_DEP_1) | instskip(NEXT) | instid1(VALU_DEP_1)
	v_and_or_b32 v0, 0x8000, v0, v14
	v_lshl_or_b32 v0, v13, 7, v0
	s_delay_alu instid0(VALU_DEP_1)
	v_cvt_f32_f16_e32 v87, v0
.LBB365_1139:                           ;   in Loop: Header=BB365_927 Depth=1
	s_or_b32 exec_lo, exec_lo, s13
.LBB365_1140:                           ;   in Loop: Header=BB365_927 Depth=1
	s_delay_alu instid0(SALU_CYCLE_1)
	s_or_b32 exec_lo, exec_lo, s12
.LBB365_1141:                           ;   in Loop: Header=BB365_927 Depth=1
	s_delay_alu instid0(SALU_CYCLE_1) | instskip(SKIP_3) | instid1(VALU_DEP_2)
	s_or_b32 exec_lo, exec_lo, s10
	v_lshrrev_b32_e32 v98, 16, v11
	v_mov_b32_e32 v96, 0
	s_mov_b32 s10, exec_lo
	v_dual_mov_b32 v97, 0 :: v_dual_and_b32 v0, 0xff, v98
	s_delay_alu instid0(VALU_DEP_1)
	v_cmpx_ne_u16_e32 0, v0
	s_cbranch_execz .LBB365_1149
; %bb.1142:                             ;   in Loop: Header=BB365_927 Depth=1
	v_bfrev_b32_e32 v96, 1
	s_mov_b32 s12, exec_lo
	v_cmpx_ne_u16_e32 0x80, v0
	s_cbranch_execz .LBB365_1148
; %bb.1143:                             ;   in Loop: Header=BB365_927 Depth=1
	v_bfe_u32 v13, v11, 16, 7
	v_mov_b32_e32 v96, 0x7fc02000
	s_mov_b32 s13, exec_lo
	s_delay_alu instid0(VALU_DEP_2)
	v_cmpx_ne_u32_e32 0x7f, v13
	s_cbranch_execz .LBB365_1147
; %bb.1144:                             ;   in Loop: Header=BB365_927 Depth=1
	v_and_b32_e32 v0, 7, v98
	v_lshrrev_b32_e32 v96, 3, v13
	v_cmp_gt_u32_e64 s0, 8, v13
	s_delay_alu instid0(VALU_DEP_3) | instskip(NEXT) | instid1(VALU_DEP_2)
	v_dual_mov_b32 v14, v1 :: v_dual_mov_b32 v13, v0
	s_and_saveexec_b32 s15, s0
; %bb.1145:                             ;   in Loop: Header=BB365_927 Depth=1
	v_clz_i32_u32_e32 v13, v0
	s_delay_alu instid0(VALU_DEP_1) | instskip(NEXT) | instid1(VALU_DEP_1)
	v_min_u32_e32 v96, 32, v13
	v_subrev_nc_u32_e32 v13, 28, v96
	v_sub_nc_u32_e32 v96, 29, v96
	s_delay_alu instid0(VALU_DEP_2) | instskip(NEXT) | instid1(VALU_DEP_1)
	v_lshlrev_b64 v[13:14], v13, v[0:1]
	v_and_b32_e32 v13, 7, v13
; %bb.1146:                             ;   in Loop: Header=BB365_927 Depth=1
	s_or_b32 exec_lo, exec_lo, s15
	v_lshlrev_b32_e32 v0, 8, v98
	v_lshl_add_u32 v14, v96, 10, 0x2000
	s_delay_alu instid0(VALU_DEP_1) | instskip(NEXT) | instid1(VALU_DEP_1)
	v_and_or_b32 v0, 0x8000, v0, v14
	v_lshl_or_b32 v0, v13, 7, v0
	s_delay_alu instid0(VALU_DEP_1)
	v_cvt_f32_f16_e32 v96, v0
.LBB365_1147:                           ;   in Loop: Header=BB365_927 Depth=1
	s_or_b32 exec_lo, exec_lo, s13
.LBB365_1148:                           ;   in Loop: Header=BB365_927 Depth=1
	s_delay_alu instid0(SALU_CYCLE_1)
	s_or_b32 exec_lo, exec_lo, s12
.LBB365_1149:                           ;   in Loop: Header=BB365_927 Depth=1
	s_delay_alu instid0(SALU_CYCLE_1) | instskip(NEXT) | instid1(SALU_CYCLE_1)
	s_or_b32 exec_lo, exec_lo, s10
	s_mov_b32 s10, exec_lo
	v_cmpx_lt_u32_e32 0xffffff, v11
	s_cbranch_execz .LBB365_1157
; %bb.1150:                             ;   in Loop: Header=BB365_927 Depth=1
	v_lshrrev_b32_e32 v98, 24, v11
	v_bfrev_b32_e32 v97, 1
	s_mov_b32 s12, exec_lo
	s_delay_alu instid0(VALU_DEP_2)
	v_cmpx_ne_u32_e32 0x80, v98
	s_cbranch_execz .LBB365_1156
; %bb.1151:                             ;   in Loop: Header=BB365_927 Depth=1
	v_and_b32_e32 v13, 0x7f, v98
	v_mov_b32_e32 v97, 0x7fc02000
	s_mov_b32 s13, exec_lo
	s_delay_alu instid0(VALU_DEP_2)
	v_cmpx_ne_u32_e32 0x7f, v13
	s_cbranch_execz .LBB365_1155
; %bb.1152:                             ;   in Loop: Header=BB365_927 Depth=1
	v_and_b32_e32 v0, 7, v98
	v_lshrrev_b32_e32 v97, 3, v13
	v_cmp_gt_u32_e64 s0, 8, v13
	s_delay_alu instid0(VALU_DEP_3) | instskip(NEXT) | instid1(VALU_DEP_2)
	v_dual_mov_b32 v14, v1 :: v_dual_mov_b32 v13, v0
	s_and_saveexec_b32 s15, s0
; %bb.1153:                             ;   in Loop: Header=BB365_927 Depth=1
	v_clz_i32_u32_e32 v13, v0
	s_delay_alu instid0(VALU_DEP_1) | instskip(NEXT) | instid1(VALU_DEP_1)
	v_min_u32_e32 v97, 32, v13
	v_subrev_nc_u32_e32 v13, 28, v97
	v_sub_nc_u32_e32 v97, 29, v97
	s_delay_alu instid0(VALU_DEP_2) | instskip(NEXT) | instid1(VALU_DEP_1)
	v_lshlrev_b64 v[13:14], v13, v[0:1]
	v_and_b32_e32 v13, 7, v13
; %bb.1154:                             ;   in Loop: Header=BB365_927 Depth=1
	s_or_b32 exec_lo, exec_lo, s15
	v_lshlrev_b32_e32 v0, 8, v98
	v_lshl_add_u32 v14, v97, 10, 0x2000
	s_delay_alu instid0(VALU_DEP_1) | instskip(NEXT) | instid1(VALU_DEP_1)
	v_and_or_b32 v0, 0x8000, v0, v14
	v_lshl_or_b32 v0, v13, 7, v0
	s_delay_alu instid0(VALU_DEP_1)
	v_cvt_f32_f16_e32 v97, v0
.LBB365_1155:                           ;   in Loop: Header=BB365_927 Depth=1
	s_or_b32 exec_lo, exec_lo, s13
.LBB365_1156:                           ;   in Loop: Header=BB365_927 Depth=1
	s_delay_alu instid0(SALU_CYCLE_1)
	s_or_b32 exec_lo, exec_lo, s12
.LBB365_1157:                           ;   in Loop: Header=BB365_927 Depth=1
	s_delay_alu instid0(SALU_CYCLE_1) | instskip(SKIP_3) | instid1(VALU_DEP_2)
	s_or_b32 exec_lo, exec_lo, s10
	v_dual_mov_b32 v0, v12 :: v_dual_and_b32 v13, 0xff, v12
	v_dual_mov_b32 v99, 0 :: v_dual_mov_b32 v98, 0
	s_mov_b32 s10, exec_lo
	v_cmpx_ne_u16_e32 0, v13
	s_cbranch_execz .LBB365_1165
; %bb.1158:                             ;   in Loop: Header=BB365_927 Depth=1
	v_bfrev_b32_e32 v98, 1
	s_mov_b32 s12, exec_lo
	v_cmpx_ne_u16_e32 0x80, v13
	s_cbranch_execz .LBB365_1164
; %bb.1159:                             ;   in Loop: Header=BB365_927 Depth=1
	v_and_b32_e32 v13, 0x7f, v12
	v_mov_b32_e32 v98, 0x7fc02000
	s_mov_b32 s13, exec_lo
	s_delay_alu instid0(VALU_DEP_2)
	v_cmpx_ne_u32_e32 0x7f, v13
	s_cbranch_execz .LBB365_1163
; %bb.1160:                             ;   in Loop: Header=BB365_927 Depth=1
	v_lshrrev_b32_e32 v98, 3, v13
	v_cmp_gt_u32_e64 s0, 8, v13
	v_dual_mov_b32 v14, v1 :: v_dual_mov_b32 v13, v0
	s_delay_alu instid0(VALU_DEP_2)
	s_and_saveexec_b32 s15, s0
; %bb.1161:                             ;   in Loop: Header=BB365_927 Depth=1
	v_and_b32_e32 v13, 7, v12
	s_delay_alu instid0(VALU_DEP_1) | instskip(NEXT) | instid1(VALU_DEP_1)
	v_clz_i32_u32_e32 v13, v13
	v_min_u32_e32 v98, 32, v13
	s_delay_alu instid0(VALU_DEP_1) | instskip(SKIP_1) | instid1(VALU_DEP_2)
	v_subrev_nc_u32_e32 v13, 28, v98
	v_sub_nc_u32_e32 v98, 29, v98
	v_lshlrev_b64 v[13:14], v13, v[0:1]
; %bb.1162:                             ;   in Loop: Header=BB365_927 Depth=1
	s_or_b32 exec_lo, exec_lo, s15
	v_lshlrev_b32_e32 v14, 8, v12
	s_delay_alu instid0(VALU_DEP_3) | instskip(NEXT) | instid1(VALU_DEP_3)
	v_lshl_add_u32 v98, v98, 10, 0x2000
	v_lshlrev_b32_e32 v13, 7, v13
	s_delay_alu instid0(VALU_DEP_2) | instskip(NEXT) | instid1(VALU_DEP_1)
	v_and_or_b32 v14, 0x8000, v14, v98
	v_and_or_b32 v13, 0x380, v13, v14
	s_delay_alu instid0(VALU_DEP_1)
	v_cvt_f32_f16_e32 v98, v13
.LBB365_1163:                           ;   in Loop: Header=BB365_927 Depth=1
	s_or_b32 exec_lo, exec_lo, s13
.LBB365_1164:                           ;   in Loop: Header=BB365_927 Depth=1
	s_delay_alu instid0(SALU_CYCLE_1)
	s_or_b32 exec_lo, exec_lo, s12
.LBB365_1165:                           ;   in Loop: Header=BB365_927 Depth=1
	s_delay_alu instid0(SALU_CYCLE_1) | instskip(SKIP_2) | instid1(VALU_DEP_1)
	s_or_b32 exec_lo, exec_lo, s10
	v_lshrrev_b16 v0, 8, v0
	s_mov_b32 s10, exec_lo
	v_cmpx_ne_u16_e32 0, v0
	s_cbranch_execz .LBB365_1173
; %bb.1166:                             ;   in Loop: Header=BB365_927 Depth=1
	v_bfrev_b32_e32 v99, 1
	s_mov_b32 s12, exec_lo
	v_cmpx_ne_u16_e32 0x80, v0
	s_cbranch_execz .LBB365_1172
; %bb.1167:                             ;   in Loop: Header=BB365_927 Depth=1
	v_and_b32_e32 v100, 0xffff, v0
	v_mov_b32_e32 v99, 0x7fc02000
	s_mov_b32 s13, exec_lo
	s_delay_alu instid0(VALU_DEP_2) | instskip(NEXT) | instid1(VALU_DEP_1)
	v_and_b32_e32 v13, 0x7f, v100
	v_cmpx_ne_u32_e32 0x7f, v13
	s_cbranch_execz .LBB365_1171
; %bb.1168:                             ;   in Loop: Header=BB365_927 Depth=1
	v_and_b32_e32 v0, 7, v100
	v_lshrrev_b32_e32 v99, 3, v13
	v_cmp_gt_u32_e64 s0, 8, v13
	s_delay_alu instid0(VALU_DEP_3) | instskip(NEXT) | instid1(VALU_DEP_2)
	v_dual_mov_b32 v14, v1 :: v_dual_mov_b32 v13, v0
	s_and_saveexec_b32 s15, s0
; %bb.1169:                             ;   in Loop: Header=BB365_927 Depth=1
	v_clz_i32_u32_e32 v13, v0
	s_delay_alu instid0(VALU_DEP_1) | instskip(NEXT) | instid1(VALU_DEP_1)
	v_min_u32_e32 v99, 32, v13
	v_subrev_nc_u32_e32 v13, 28, v99
	v_sub_nc_u32_e32 v99, 29, v99
	s_delay_alu instid0(VALU_DEP_2) | instskip(NEXT) | instid1(VALU_DEP_1)
	v_lshlrev_b64 v[13:14], v13, v[0:1]
	v_and_b32_e32 v13, 7, v13
; %bb.1170:                             ;   in Loop: Header=BB365_927 Depth=1
	s_or_b32 exec_lo, exec_lo, s15
	v_lshlrev_b32_e32 v0, 8, v100
	v_lshl_add_u32 v14, v99, 10, 0x2000
	s_delay_alu instid0(VALU_DEP_1) | instskip(NEXT) | instid1(VALU_DEP_1)
	v_and_or_b32 v0, 0x8000, v0, v14
	v_lshl_or_b32 v0, v13, 7, v0
	s_delay_alu instid0(VALU_DEP_1)
	v_cvt_f32_f16_e32 v99, v0
.LBB365_1171:                           ;   in Loop: Header=BB365_927 Depth=1
	s_or_b32 exec_lo, exec_lo, s13
.LBB365_1172:                           ;   in Loop: Header=BB365_927 Depth=1
	s_delay_alu instid0(SALU_CYCLE_1)
	s_or_b32 exec_lo, exec_lo, s12
.LBB365_1173:                           ;   in Loop: Header=BB365_927 Depth=1
	s_delay_alu instid0(SALU_CYCLE_1) | instskip(SKIP_3) | instid1(VALU_DEP_2)
	s_or_b32 exec_lo, exec_lo, s10
	v_lshrrev_b32_e32 v101, 16, v12
	v_mov_b32_e32 v100, 0
	s_mov_b32 s10, exec_lo
	v_dual_mov_b32 v13, 0 :: v_dual_and_b32 v0, 0xff, v101
	s_delay_alu instid0(VALU_DEP_1)
	v_cmpx_ne_u16_e32 0, v0
	s_cbranch_execz .LBB365_1181
; %bb.1174:                             ;   in Loop: Header=BB365_927 Depth=1
	v_bfrev_b32_e32 v13, 1
	s_mov_b32 s12, exec_lo
	v_cmpx_ne_u16_e32 0x80, v0
	s_cbranch_execz .LBB365_1180
; %bb.1175:                             ;   in Loop: Header=BB365_927 Depth=1
	v_bfe_u32 v14, v12, 16, 7
	v_mov_b32_e32 v13, 0x7fc02000
	s_mov_b32 s13, exec_lo
	s_delay_alu instid0(VALU_DEP_2)
	v_cmpx_ne_u32_e32 0x7f, v14
	s_cbranch_execz .LBB365_1179
; %bb.1176:                             ;   in Loop: Header=BB365_927 Depth=1
	v_and_b32_e32 v0, 7, v101
	v_lshrrev_b32_e32 v102, 3, v14
	v_cmp_gt_u32_e64 s0, 8, v14
	s_delay_alu instid0(VALU_DEP_3) | instskip(NEXT) | instid1(VALU_DEP_2)
	v_dual_mov_b32 v14, v1 :: v_dual_mov_b32 v13, v0
	s_and_saveexec_b32 s15, s0
; %bb.1177:                             ;   in Loop: Header=BB365_927 Depth=1
	v_clz_i32_u32_e32 v13, v0
	s_delay_alu instid0(VALU_DEP_1) | instskip(NEXT) | instid1(VALU_DEP_1)
	v_min_u32_e32 v102, 32, v13
	v_subrev_nc_u32_e32 v13, 28, v102
	v_sub_nc_u32_e32 v102, 29, v102
	s_delay_alu instid0(VALU_DEP_2) | instskip(NEXT) | instid1(VALU_DEP_1)
	v_lshlrev_b64 v[13:14], v13, v[0:1]
	v_and_b32_e32 v13, 7, v13
; %bb.1178:                             ;   in Loop: Header=BB365_927 Depth=1
	s_or_b32 exec_lo, exec_lo, s15
	v_lshlrev_b32_e32 v0, 8, v101
	v_lshl_add_u32 v14, v102, 10, 0x2000
	s_delay_alu instid0(VALU_DEP_1) | instskip(NEXT) | instid1(VALU_DEP_1)
	v_and_or_b32 v0, 0x8000, v0, v14
	v_lshl_or_b32 v0, v13, 7, v0
	s_delay_alu instid0(VALU_DEP_1)
	v_cvt_f32_f16_e32 v13, v0
.LBB365_1179:                           ;   in Loop: Header=BB365_927 Depth=1
	s_or_b32 exec_lo, exec_lo, s13
.LBB365_1180:                           ;   in Loop: Header=BB365_927 Depth=1
	s_delay_alu instid0(SALU_CYCLE_1)
	s_or_b32 exec_lo, exec_lo, s12
.LBB365_1181:                           ;   in Loop: Header=BB365_927 Depth=1
	s_delay_alu instid0(SALU_CYCLE_1) | instskip(NEXT) | instid1(SALU_CYCLE_1)
	s_or_b32 exec_lo, exec_lo, s10
	s_mov_b32 s10, exec_lo
	v_cmpx_lt_u64_e64 s[8:9], v[11:12]
	s_cbranch_execz .LBB365_1189
; %bb.1182:                             ;   in Loop: Header=BB365_927 Depth=1
	v_lshrrev_b32_e32 v14, 24, v12
	v_bfrev_b32_e32 v100, 1
	s_mov_b32 s12, exec_lo
	s_delay_alu instid0(VALU_DEP_2)
	v_cmpx_ne_u32_e32 0x80, v14
	s_cbranch_execz .LBB365_1188
; %bb.1183:                             ;   in Loop: Header=BB365_927 Depth=1
	v_and_b32_e32 v11, 0x7f, v14
	v_mov_b32_e32 v100, 0x7fc02000
	s_mov_b32 s13, exec_lo
	s_delay_alu instid0(VALU_DEP_2)
	v_cmpx_ne_u32_e32 0x7f, v11
	s_cbranch_execz .LBB365_1187
; %bb.1184:                             ;   in Loop: Header=BB365_927 Depth=1
	v_and_b32_e32 v0, 7, v14
	v_lshrrev_b32_e32 v100, 3, v11
	v_cmp_gt_u32_e64 s0, 8, v11
	s_delay_alu instid0(VALU_DEP_3) | instskip(NEXT) | instid1(VALU_DEP_2)
	v_dual_mov_b32 v12, v1 :: v_dual_mov_b32 v11, v0
	s_and_saveexec_b32 s15, s0
; %bb.1185:                             ;   in Loop: Header=BB365_927 Depth=1
	v_clz_i32_u32_e32 v11, v0
	s_delay_alu instid0(VALU_DEP_1) | instskip(NEXT) | instid1(VALU_DEP_1)
	v_min_u32_e32 v100, 32, v11
	v_subrev_nc_u32_e32 v11, 28, v100
	v_sub_nc_u32_e32 v100, 29, v100
	s_delay_alu instid0(VALU_DEP_2) | instskip(NEXT) | instid1(VALU_DEP_1)
	v_lshlrev_b64 v[11:12], v11, v[0:1]
	v_and_b32_e32 v11, 7, v11
; %bb.1186:                             ;   in Loop: Header=BB365_927 Depth=1
	s_or_b32 exec_lo, exec_lo, s15
	v_lshlrev_b32_e32 v0, 8, v14
	v_lshl_add_u32 v12, v100, 10, 0x2000
	s_delay_alu instid0(VALU_DEP_1) | instskip(NEXT) | instid1(VALU_DEP_1)
	v_and_or_b32 v0, 0x8000, v0, v12
	v_lshl_or_b32 v0, v11, 7, v0
	s_delay_alu instid0(VALU_DEP_1)
	v_cvt_f32_f16_e32 v100, v0
.LBB365_1187:                           ;   in Loop: Header=BB365_927 Depth=1
	s_or_b32 exec_lo, exec_lo, s13
.LBB365_1188:                           ;   in Loop: Header=BB365_927 Depth=1
	s_delay_alu instid0(SALU_CYCLE_1)
	s_or_b32 exec_lo, exec_lo, s12
.LBB365_1189:                           ;   in Loop: Header=BB365_927 Depth=1
	s_delay_alu instid0(SALU_CYCLE_1)
	s_or_b32 exec_lo, exec_lo, s10
	s_waitcnt vmcnt(0) lgkmcnt(0)
	v_fma_mixlo_f16 v12, v85, v87, 0
	v_fma_mixlo_f16 v0, v85, v97, 0
	;; [unrolled: 1-line block ×5, first 2 shown]
	v_lshlrev_b32_e32 v14, 16, v12
	v_fma_mixlo_f16 v96, v85, v98, 0
	v_fma_mixlo_f16 v97, v85, v100, 0
	;; [unrolled: 1-line block ×3, first 2 shown]
	v_lshlrev_b32_e32 v0, 16, v0
	v_and_b32_e32 v11, 0xffff, v11
	v_and_b32_e32 v85, 0xffff, v86
	v_lshlrev_b32_e32 v86, 16, v87
	v_and_b32_e32 v87, 0xffff, v96
	v_lshlrev_b32_e32 v96, 16, v97
	v_and_b32_e32 v97, 0xffff, v12
	v_or_b32_e32 v13, v0, v11
	v_or_b32_e32 v14, v14, v85
	;; [unrolled: 1-line block ×3, first 2 shown]
	s_delay_alu instid0(VALU_DEP_4)
	v_or_b32_e32 v11, v96, v97
	s_and_saveexec_b32 s10, vcc_lo
	s_cbranch_execz .LBB365_1191
; %bb.1190:                             ;   in Loop: Header=BB365_927 Depth=1
	v_cmp_lt_i32_e64 s0, v15, v35
	v_lshrrev_b32_e32 v85, 16, v14
	v_lshrrev_b32_e32 v86, 16, v13
	;; [unrolled: 1-line block ×4, first 2 shown]
	v_cndmask_b32_e64 v14, 0, v14, s0
	v_cmp_lt_i32_e64 s0, v80, v48
	s_delay_alu instid0(VALU_DEP_1) | instskip(SKIP_1) | instid1(VALU_DEP_2)
	v_cndmask_b32_e64 v85, 0, v85, s0
	v_cmp_lt_i32_e64 s0, v69, v48
	v_perm_b32 v14, v85, v14, 0x5040100
	s_delay_alu instid0(VALU_DEP_2) | instskip(SKIP_1) | instid1(VALU_DEP_1)
	v_cndmask_b32_e64 v86, 0, v86, s0
	v_cmp_lt_i32_e64 s0, v64, v35
	v_cndmask_b32_e64 v13, 0, v13, s0
	v_cmp_lt_i32_e64 s0, v55, v48
	s_delay_alu instid0(VALU_DEP_2) | instskip(NEXT) | instid1(VALU_DEP_2)
	v_perm_b32 v13, v86, v13, 0x5040100
	v_cndmask_b32_e64 v87, 0, v87, s0
	v_cmp_lt_i32_e64 s0, v54, v35
	s_delay_alu instid0(VALU_DEP_1) | instskip(SKIP_1) | instid1(VALU_DEP_2)
	v_cndmask_b32_e64 v0, 0, v0, s0
	v_cmp_lt_i32_e64 s0, v38, v48
	v_perm_b32 v0, v87, v0, 0x5040100
	s_delay_alu instid0(VALU_DEP_2) | instskip(SKIP_1) | instid1(VALU_DEP_1)
	v_cndmask_b32_e64 v11, 0, v11, s0
	v_cmp_lt_i32_e64 s0, v17, v35
	v_cndmask_b32_e64 v12, 0, v12, s0
	s_delay_alu instid0(VALU_DEP_1)
	v_perm_b32 v11, v11, v12, 0x5040100
.LBB365_1191:                           ;   in Loop: Header=BB365_927 Depth=1
	s_or_b32 exec_lo, exec_lo, s10
	;;#ASMSTART
	v_pk_mul_f16 v12, v71, v14;

	;;#ASMEND
	;;#ASMSTART
	v_pk_mul_f16 v13, v68, v13;

	;;#ASMEND
	;; [unrolled: 4-line block ×4, first 2 shown]
	;;#ASMSTART
	v_pk_add_f16 v12, v12, v13;

	;;#ASMEND
	;;#ASMSTART
	v_pk_add_f16 v0, v12, v0;

	;;#ASMEND
	;; [unrolled: 4-line block ×3, first 2 shown]
	v_dual_mov_b32 v96, 0 :: v_dual_and_b32 v11, 0xffff, v0
	v_lshrrev_b32_e32 v0, 16, v0
	;;#ASMSTART
	v_cvt_f32_f16 v85, v11;
	;;#ASMEND
	;;#ASMSTART
	v_cvt_f32_f16 v86, v0;
	;;#ASMEND
	flat_load_b64 v[11:12], v[9:10] offset:1024
	flat_load_b32 v87, v[26:27]
	s_mov_b32 s10, exec_lo
	s_waitcnt vmcnt(1) lgkmcnt(1)
	v_dual_mov_b32 v97, 0 :: v_dual_and_b32 v0, 0xff, v11
	s_delay_alu instid0(VALU_DEP_1)
	v_cmpx_ne_u16_e32 0, v0
	s_cbranch_execz .LBB365_1199
; %bb.1192:                             ;   in Loop: Header=BB365_927 Depth=1
	v_bfrev_b32_e32 v96, 1
	s_mov_b32 s12, exec_lo
	v_cmpx_ne_u16_e32 0x80, v0
	s_cbranch_execz .LBB365_1198
; %bb.1193:                             ;   in Loop: Header=BB365_927 Depth=1
	v_and_b32_e32 v13, 0x7f, v11
	v_mov_b32_e32 v96, 0x7fc02000
	s_mov_b32 s13, exec_lo
	s_delay_alu instid0(VALU_DEP_2)
	v_cmpx_ne_u32_e32 0x7f, v13
	s_cbranch_execz .LBB365_1197
; %bb.1194:                             ;   in Loop: Header=BB365_927 Depth=1
	v_lshrrev_b32_e32 v0, 3, v13
	v_cmp_gt_u32_e64 s0, 8, v13
	v_dual_mov_b32 v14, v12 :: v_dual_mov_b32 v13, v11
	s_delay_alu instid0(VALU_DEP_2)
	s_and_saveexec_b32 s15, s0
; %bb.1195:                             ;   in Loop: Header=BB365_927 Depth=1
	v_and_b32_e32 v0, 7, v11
	s_delay_alu instid0(VALU_DEP_1) | instskip(NEXT) | instid1(VALU_DEP_1)
	v_clz_i32_u32_e32 v0, v0
	v_min_u32_e32 v0, 32, v0
	s_delay_alu instid0(VALU_DEP_1) | instskip(SKIP_1) | instid1(VALU_DEP_2)
	v_subrev_nc_u32_e32 v13, 28, v0
	v_sub_nc_u32_e32 v0, 29, v0
	v_lshlrev_b64 v[13:14], v13, v[11:12]
; %bb.1196:                             ;   in Loop: Header=BB365_927 Depth=1
	s_or_b32 exec_lo, exec_lo, s15
	v_lshlrev_b32_e32 v14, 8, v11
	s_delay_alu instid0(VALU_DEP_3) | instskip(NEXT) | instid1(VALU_DEP_3)
	v_lshl_add_u32 v0, v0, 10, 0x2000
	v_lshlrev_b32_e32 v13, 7, v13
	s_delay_alu instid0(VALU_DEP_2) | instskip(NEXT) | instid1(VALU_DEP_1)
	v_and_or_b32 v0, 0x8000, v14, v0
	v_and_or_b32 v0, 0x380, v13, v0
	s_delay_alu instid0(VALU_DEP_1)
	v_cvt_f32_f16_e32 v96, v0
.LBB365_1197:                           ;   in Loop: Header=BB365_927 Depth=1
	s_or_b32 exec_lo, exec_lo, s13
.LBB365_1198:                           ;   in Loop: Header=BB365_927 Depth=1
	s_delay_alu instid0(SALU_CYCLE_1)
	s_or_b32 exec_lo, exec_lo, s12
.LBB365_1199:                           ;   in Loop: Header=BB365_927 Depth=1
	s_delay_alu instid0(SALU_CYCLE_1) | instskip(SKIP_2) | instid1(VALU_DEP_1)
	s_or_b32 exec_lo, exec_lo, s10
	v_lshrrev_b16 v0, 8, v11
	s_mov_b32 s10, exec_lo
	v_cmpx_ne_u16_e32 0, v0
	s_cbranch_execz .LBB365_1207
; %bb.1200:                             ;   in Loop: Header=BB365_927 Depth=1
	v_bfrev_b32_e32 v97, 1
	s_mov_b32 s12, exec_lo
	v_cmpx_ne_u16_e32 0x80, v0
	s_cbranch_execz .LBB365_1206
; %bb.1201:                             ;   in Loop: Header=BB365_927 Depth=1
	v_and_b32_e32 v98, 0xffff, v0
	v_mov_b32_e32 v97, 0x7fc02000
	s_mov_b32 s13, exec_lo
	s_delay_alu instid0(VALU_DEP_2) | instskip(NEXT) | instid1(VALU_DEP_1)
	v_and_b32_e32 v13, 0x7f, v98
	v_cmpx_ne_u32_e32 0x7f, v13
	s_cbranch_execz .LBB365_1205
; %bb.1202:                             ;   in Loop: Header=BB365_927 Depth=1
	v_and_b32_e32 v0, 7, v98
	v_lshrrev_b32_e32 v97, 3, v13
	v_cmp_gt_u32_e64 s0, 8, v13
	s_delay_alu instid0(VALU_DEP_3) | instskip(NEXT) | instid1(VALU_DEP_2)
	v_dual_mov_b32 v14, v1 :: v_dual_mov_b32 v13, v0
	s_and_saveexec_b32 s15, s0
; %bb.1203:                             ;   in Loop: Header=BB365_927 Depth=1
	v_clz_i32_u32_e32 v13, v0
	s_delay_alu instid0(VALU_DEP_1) | instskip(NEXT) | instid1(VALU_DEP_1)
	v_min_u32_e32 v97, 32, v13
	v_subrev_nc_u32_e32 v13, 28, v97
	v_sub_nc_u32_e32 v97, 29, v97
	s_delay_alu instid0(VALU_DEP_2) | instskip(NEXT) | instid1(VALU_DEP_1)
	v_lshlrev_b64 v[13:14], v13, v[0:1]
	v_and_b32_e32 v13, 7, v13
; %bb.1204:                             ;   in Loop: Header=BB365_927 Depth=1
	s_or_b32 exec_lo, exec_lo, s15
	v_lshlrev_b32_e32 v0, 8, v98
	v_lshl_add_u32 v14, v97, 10, 0x2000
	s_delay_alu instid0(VALU_DEP_1) | instskip(NEXT) | instid1(VALU_DEP_1)
	v_and_or_b32 v0, 0x8000, v0, v14
	v_lshl_or_b32 v0, v13, 7, v0
	s_delay_alu instid0(VALU_DEP_1)
	v_cvt_f32_f16_e32 v97, v0
.LBB365_1205:                           ;   in Loop: Header=BB365_927 Depth=1
	s_or_b32 exec_lo, exec_lo, s13
.LBB365_1206:                           ;   in Loop: Header=BB365_927 Depth=1
	s_delay_alu instid0(SALU_CYCLE_1)
	s_or_b32 exec_lo, exec_lo, s12
.LBB365_1207:                           ;   in Loop: Header=BB365_927 Depth=1
	s_delay_alu instid0(SALU_CYCLE_1) | instskip(SKIP_3) | instid1(VALU_DEP_2)
	s_or_b32 exec_lo, exec_lo, s10
	v_lshrrev_b32_e32 v100, 16, v11
	v_mov_b32_e32 v98, 0
	s_mov_b32 s10, exec_lo
	v_dual_mov_b32 v99, 0 :: v_dual_and_b32 v0, 0xff, v100
	s_delay_alu instid0(VALU_DEP_1)
	v_cmpx_ne_u16_e32 0, v0
	s_cbranch_execz .LBB365_1215
; %bb.1208:                             ;   in Loop: Header=BB365_927 Depth=1
	v_bfrev_b32_e32 v98, 1
	s_mov_b32 s12, exec_lo
	v_cmpx_ne_u16_e32 0x80, v0
	s_cbranch_execz .LBB365_1214
; %bb.1209:                             ;   in Loop: Header=BB365_927 Depth=1
	v_bfe_u32 v13, v11, 16, 7
	v_mov_b32_e32 v98, 0x7fc02000
	s_mov_b32 s13, exec_lo
	s_delay_alu instid0(VALU_DEP_2)
	v_cmpx_ne_u32_e32 0x7f, v13
	s_cbranch_execz .LBB365_1213
; %bb.1210:                             ;   in Loop: Header=BB365_927 Depth=1
	v_and_b32_e32 v0, 7, v100
	v_lshrrev_b32_e32 v98, 3, v13
	v_cmp_gt_u32_e64 s0, 8, v13
	s_delay_alu instid0(VALU_DEP_3) | instskip(NEXT) | instid1(VALU_DEP_2)
	v_dual_mov_b32 v14, v1 :: v_dual_mov_b32 v13, v0
	s_and_saveexec_b32 s15, s0
; %bb.1211:                             ;   in Loop: Header=BB365_927 Depth=1
	v_clz_i32_u32_e32 v13, v0
	s_delay_alu instid0(VALU_DEP_1) | instskip(NEXT) | instid1(VALU_DEP_1)
	v_min_u32_e32 v98, 32, v13
	v_subrev_nc_u32_e32 v13, 28, v98
	v_sub_nc_u32_e32 v98, 29, v98
	s_delay_alu instid0(VALU_DEP_2) | instskip(NEXT) | instid1(VALU_DEP_1)
	v_lshlrev_b64 v[13:14], v13, v[0:1]
	v_and_b32_e32 v13, 7, v13
; %bb.1212:                             ;   in Loop: Header=BB365_927 Depth=1
	s_or_b32 exec_lo, exec_lo, s15
	v_lshlrev_b32_e32 v0, 8, v100
	v_lshl_add_u32 v14, v98, 10, 0x2000
	s_delay_alu instid0(VALU_DEP_1) | instskip(NEXT) | instid1(VALU_DEP_1)
	v_and_or_b32 v0, 0x8000, v0, v14
	v_lshl_or_b32 v0, v13, 7, v0
	s_delay_alu instid0(VALU_DEP_1)
	v_cvt_f32_f16_e32 v98, v0
.LBB365_1213:                           ;   in Loop: Header=BB365_927 Depth=1
	s_or_b32 exec_lo, exec_lo, s13
.LBB365_1214:                           ;   in Loop: Header=BB365_927 Depth=1
	s_delay_alu instid0(SALU_CYCLE_1)
	s_or_b32 exec_lo, exec_lo, s12
.LBB365_1215:                           ;   in Loop: Header=BB365_927 Depth=1
	s_delay_alu instid0(SALU_CYCLE_1) | instskip(NEXT) | instid1(SALU_CYCLE_1)
	s_or_b32 exec_lo, exec_lo, s10
	s_mov_b32 s10, exec_lo
	v_cmpx_lt_u32_e32 0xffffff, v11
	s_cbranch_execz .LBB365_1223
; %bb.1216:                             ;   in Loop: Header=BB365_927 Depth=1
	v_lshrrev_b32_e32 v100, 24, v11
	v_bfrev_b32_e32 v99, 1
	s_mov_b32 s12, exec_lo
	s_delay_alu instid0(VALU_DEP_2)
	v_cmpx_ne_u32_e32 0x80, v100
	s_cbranch_execz .LBB365_1222
; %bb.1217:                             ;   in Loop: Header=BB365_927 Depth=1
	v_and_b32_e32 v13, 0x7f, v100
	v_mov_b32_e32 v99, 0x7fc02000
	s_mov_b32 s13, exec_lo
	s_delay_alu instid0(VALU_DEP_2)
	v_cmpx_ne_u32_e32 0x7f, v13
	s_cbranch_execz .LBB365_1221
; %bb.1218:                             ;   in Loop: Header=BB365_927 Depth=1
	v_and_b32_e32 v0, 7, v100
	v_lshrrev_b32_e32 v99, 3, v13
	v_cmp_gt_u32_e64 s0, 8, v13
	s_delay_alu instid0(VALU_DEP_3) | instskip(NEXT) | instid1(VALU_DEP_2)
	v_dual_mov_b32 v14, v1 :: v_dual_mov_b32 v13, v0
	s_and_saveexec_b32 s15, s0
; %bb.1219:                             ;   in Loop: Header=BB365_927 Depth=1
	v_clz_i32_u32_e32 v13, v0
	s_delay_alu instid0(VALU_DEP_1) | instskip(NEXT) | instid1(VALU_DEP_1)
	v_min_u32_e32 v99, 32, v13
	v_subrev_nc_u32_e32 v13, 28, v99
	v_sub_nc_u32_e32 v99, 29, v99
	s_delay_alu instid0(VALU_DEP_2) | instskip(NEXT) | instid1(VALU_DEP_1)
	v_lshlrev_b64 v[13:14], v13, v[0:1]
	v_and_b32_e32 v13, 7, v13
; %bb.1220:                             ;   in Loop: Header=BB365_927 Depth=1
	s_or_b32 exec_lo, exec_lo, s15
	v_lshlrev_b32_e32 v0, 8, v100
	v_lshl_add_u32 v14, v99, 10, 0x2000
	s_delay_alu instid0(VALU_DEP_1) | instskip(NEXT) | instid1(VALU_DEP_1)
	v_and_or_b32 v0, 0x8000, v0, v14
	v_lshl_or_b32 v0, v13, 7, v0
	s_delay_alu instid0(VALU_DEP_1)
	v_cvt_f32_f16_e32 v99, v0
.LBB365_1221:                           ;   in Loop: Header=BB365_927 Depth=1
	s_or_b32 exec_lo, exec_lo, s13
.LBB365_1222:                           ;   in Loop: Header=BB365_927 Depth=1
	s_delay_alu instid0(SALU_CYCLE_1)
	s_or_b32 exec_lo, exec_lo, s12
.LBB365_1223:                           ;   in Loop: Header=BB365_927 Depth=1
	s_delay_alu instid0(SALU_CYCLE_1) | instskip(SKIP_3) | instid1(VALU_DEP_2)
	s_or_b32 exec_lo, exec_lo, s10
	v_dual_mov_b32 v0, v12 :: v_dual_and_b32 v13, 0xff, v12
	v_dual_mov_b32 v101, 0 :: v_dual_mov_b32 v100, 0
	s_mov_b32 s10, exec_lo
	v_cmpx_ne_u16_e32 0, v13
	s_cbranch_execz .LBB365_1231
; %bb.1224:                             ;   in Loop: Header=BB365_927 Depth=1
	v_bfrev_b32_e32 v100, 1
	s_mov_b32 s12, exec_lo
	v_cmpx_ne_u16_e32 0x80, v13
	s_cbranch_execz .LBB365_1230
; %bb.1225:                             ;   in Loop: Header=BB365_927 Depth=1
	v_and_b32_e32 v13, 0x7f, v12
	v_mov_b32_e32 v100, 0x7fc02000
	s_mov_b32 s13, exec_lo
	s_delay_alu instid0(VALU_DEP_2)
	v_cmpx_ne_u32_e32 0x7f, v13
	s_cbranch_execz .LBB365_1229
; %bb.1226:                             ;   in Loop: Header=BB365_927 Depth=1
	v_lshrrev_b32_e32 v100, 3, v13
	v_cmp_gt_u32_e64 s0, 8, v13
	v_dual_mov_b32 v14, v1 :: v_dual_mov_b32 v13, v0
	s_delay_alu instid0(VALU_DEP_2)
	s_and_saveexec_b32 s15, s0
; %bb.1227:                             ;   in Loop: Header=BB365_927 Depth=1
	v_and_b32_e32 v13, 7, v12
	s_delay_alu instid0(VALU_DEP_1) | instskip(NEXT) | instid1(VALU_DEP_1)
	v_clz_i32_u32_e32 v13, v13
	v_min_u32_e32 v100, 32, v13
	s_delay_alu instid0(VALU_DEP_1) | instskip(SKIP_1) | instid1(VALU_DEP_2)
	v_subrev_nc_u32_e32 v13, 28, v100
	v_sub_nc_u32_e32 v100, 29, v100
	v_lshlrev_b64 v[13:14], v13, v[0:1]
; %bb.1228:                             ;   in Loop: Header=BB365_927 Depth=1
	s_or_b32 exec_lo, exec_lo, s15
	v_lshlrev_b32_e32 v14, 8, v12
	s_delay_alu instid0(VALU_DEP_3) | instskip(NEXT) | instid1(VALU_DEP_3)
	v_lshl_add_u32 v100, v100, 10, 0x2000
	v_lshlrev_b32_e32 v13, 7, v13
	s_delay_alu instid0(VALU_DEP_2) | instskip(NEXT) | instid1(VALU_DEP_1)
	v_and_or_b32 v14, 0x8000, v14, v100
	v_and_or_b32 v13, 0x380, v13, v14
	s_delay_alu instid0(VALU_DEP_1)
	v_cvt_f32_f16_e32 v100, v13
.LBB365_1229:                           ;   in Loop: Header=BB365_927 Depth=1
	s_or_b32 exec_lo, exec_lo, s13
.LBB365_1230:                           ;   in Loop: Header=BB365_927 Depth=1
	s_delay_alu instid0(SALU_CYCLE_1)
	s_or_b32 exec_lo, exec_lo, s12
.LBB365_1231:                           ;   in Loop: Header=BB365_927 Depth=1
	s_delay_alu instid0(SALU_CYCLE_1) | instskip(SKIP_2) | instid1(VALU_DEP_1)
	s_or_b32 exec_lo, exec_lo, s10
	v_lshrrev_b16 v0, 8, v0
	s_mov_b32 s10, exec_lo
	v_cmpx_ne_u16_e32 0, v0
	s_cbranch_execz .LBB365_1239
; %bb.1232:                             ;   in Loop: Header=BB365_927 Depth=1
	v_bfrev_b32_e32 v101, 1
	s_mov_b32 s12, exec_lo
	v_cmpx_ne_u16_e32 0x80, v0
	s_cbranch_execz .LBB365_1238
; %bb.1233:                             ;   in Loop: Header=BB365_927 Depth=1
	v_and_b32_e32 v102, 0xffff, v0
	v_mov_b32_e32 v101, 0x7fc02000
	s_mov_b32 s13, exec_lo
	s_delay_alu instid0(VALU_DEP_2) | instskip(NEXT) | instid1(VALU_DEP_1)
	v_and_b32_e32 v13, 0x7f, v102
	v_cmpx_ne_u32_e32 0x7f, v13
	s_cbranch_execz .LBB365_1237
; %bb.1234:                             ;   in Loop: Header=BB365_927 Depth=1
	v_and_b32_e32 v0, 7, v102
	v_lshrrev_b32_e32 v101, 3, v13
	v_cmp_gt_u32_e64 s0, 8, v13
	s_delay_alu instid0(VALU_DEP_3) | instskip(NEXT) | instid1(VALU_DEP_2)
	v_dual_mov_b32 v14, v1 :: v_dual_mov_b32 v13, v0
	s_and_saveexec_b32 s15, s0
; %bb.1235:                             ;   in Loop: Header=BB365_927 Depth=1
	v_clz_i32_u32_e32 v13, v0
	s_delay_alu instid0(VALU_DEP_1) | instskip(NEXT) | instid1(VALU_DEP_1)
	v_min_u32_e32 v101, 32, v13
	v_subrev_nc_u32_e32 v13, 28, v101
	v_sub_nc_u32_e32 v101, 29, v101
	s_delay_alu instid0(VALU_DEP_2) | instskip(NEXT) | instid1(VALU_DEP_1)
	v_lshlrev_b64 v[13:14], v13, v[0:1]
	v_and_b32_e32 v13, 7, v13
; %bb.1236:                             ;   in Loop: Header=BB365_927 Depth=1
	s_or_b32 exec_lo, exec_lo, s15
	v_lshlrev_b32_e32 v0, 8, v102
	v_lshl_add_u32 v14, v101, 10, 0x2000
	s_delay_alu instid0(VALU_DEP_1) | instskip(NEXT) | instid1(VALU_DEP_1)
	v_and_or_b32 v0, 0x8000, v0, v14
	v_lshl_or_b32 v0, v13, 7, v0
	s_delay_alu instid0(VALU_DEP_1)
	v_cvt_f32_f16_e32 v101, v0
.LBB365_1237:                           ;   in Loop: Header=BB365_927 Depth=1
	s_or_b32 exec_lo, exec_lo, s13
.LBB365_1238:                           ;   in Loop: Header=BB365_927 Depth=1
	s_delay_alu instid0(SALU_CYCLE_1)
	s_or_b32 exec_lo, exec_lo, s12
.LBB365_1239:                           ;   in Loop: Header=BB365_927 Depth=1
	s_delay_alu instid0(SALU_CYCLE_1) | instskip(SKIP_3) | instid1(VALU_DEP_2)
	s_or_b32 exec_lo, exec_lo, s10
	v_lshrrev_b32_e32 v103, 16, v12
	v_mov_b32_e32 v102, 0
	s_mov_b32 s10, exec_lo
	v_dual_mov_b32 v13, 0 :: v_dual_and_b32 v0, 0xff, v103
	s_delay_alu instid0(VALU_DEP_1)
	v_cmpx_ne_u16_e32 0, v0
	s_cbranch_execz .LBB365_1247
; %bb.1240:                             ;   in Loop: Header=BB365_927 Depth=1
	v_bfrev_b32_e32 v13, 1
	s_mov_b32 s12, exec_lo
	v_cmpx_ne_u16_e32 0x80, v0
	s_cbranch_execz .LBB365_1246
; %bb.1241:                             ;   in Loop: Header=BB365_927 Depth=1
	v_bfe_u32 v14, v12, 16, 7
	v_mov_b32_e32 v13, 0x7fc02000
	s_mov_b32 s13, exec_lo
	s_delay_alu instid0(VALU_DEP_2)
	v_cmpx_ne_u32_e32 0x7f, v14
	s_cbranch_execz .LBB365_1245
; %bb.1242:                             ;   in Loop: Header=BB365_927 Depth=1
	v_and_b32_e32 v0, 7, v103
	v_lshrrev_b32_e32 v112, 3, v14
	v_cmp_gt_u32_e64 s0, 8, v14
	s_delay_alu instid0(VALU_DEP_3) | instskip(NEXT) | instid1(VALU_DEP_2)
	v_dual_mov_b32 v14, v1 :: v_dual_mov_b32 v13, v0
	s_and_saveexec_b32 s15, s0
; %bb.1243:                             ;   in Loop: Header=BB365_927 Depth=1
	v_clz_i32_u32_e32 v13, v0
	s_delay_alu instid0(VALU_DEP_1) | instskip(NEXT) | instid1(VALU_DEP_1)
	v_min_u32_e32 v112, 32, v13
	v_subrev_nc_u32_e32 v13, 28, v112
	v_sub_nc_u32_e32 v112, 29, v112
	s_delay_alu instid0(VALU_DEP_2) | instskip(NEXT) | instid1(VALU_DEP_1)
	v_lshlrev_b64 v[13:14], v13, v[0:1]
	v_and_b32_e32 v13, 7, v13
; %bb.1244:                             ;   in Loop: Header=BB365_927 Depth=1
	s_or_b32 exec_lo, exec_lo, s15
	v_lshlrev_b32_e32 v0, 8, v103
	v_lshl_add_u32 v14, v112, 10, 0x2000
	s_delay_alu instid0(VALU_DEP_1) | instskip(NEXT) | instid1(VALU_DEP_1)
	v_and_or_b32 v0, 0x8000, v0, v14
	v_lshl_or_b32 v0, v13, 7, v0
	s_delay_alu instid0(VALU_DEP_1)
	v_cvt_f32_f16_e32 v13, v0
.LBB365_1245:                           ;   in Loop: Header=BB365_927 Depth=1
	s_or_b32 exec_lo, exec_lo, s13
.LBB365_1246:                           ;   in Loop: Header=BB365_927 Depth=1
	s_delay_alu instid0(SALU_CYCLE_1)
	s_or_b32 exec_lo, exec_lo, s12
.LBB365_1247:                           ;   in Loop: Header=BB365_927 Depth=1
	s_delay_alu instid0(SALU_CYCLE_1) | instskip(NEXT) | instid1(SALU_CYCLE_1)
	s_or_b32 exec_lo, exec_lo, s10
	s_mov_b32 s10, exec_lo
	v_cmpx_lt_u64_e64 s[8:9], v[11:12]
	s_cbranch_execz .LBB365_1255
; %bb.1248:                             ;   in Loop: Header=BB365_927 Depth=1
	v_lshrrev_b32_e32 v14, 24, v12
	v_bfrev_b32_e32 v102, 1
	s_mov_b32 s12, exec_lo
	s_delay_alu instid0(VALU_DEP_2)
	v_cmpx_ne_u32_e32 0x80, v14
	s_cbranch_execz .LBB365_1254
; %bb.1249:                             ;   in Loop: Header=BB365_927 Depth=1
	v_and_b32_e32 v11, 0x7f, v14
	v_mov_b32_e32 v102, 0x7fc02000
	s_mov_b32 s13, exec_lo
	s_delay_alu instid0(VALU_DEP_2)
	v_cmpx_ne_u32_e32 0x7f, v11
	s_cbranch_execz .LBB365_1253
; %bb.1250:                             ;   in Loop: Header=BB365_927 Depth=1
	v_and_b32_e32 v0, 7, v14
	v_lshrrev_b32_e32 v102, 3, v11
	v_cmp_gt_u32_e64 s0, 8, v11
	s_delay_alu instid0(VALU_DEP_3) | instskip(NEXT) | instid1(VALU_DEP_2)
	v_dual_mov_b32 v12, v1 :: v_dual_mov_b32 v11, v0
	s_and_saveexec_b32 s15, s0
; %bb.1251:                             ;   in Loop: Header=BB365_927 Depth=1
	v_clz_i32_u32_e32 v11, v0
	s_delay_alu instid0(VALU_DEP_1) | instskip(NEXT) | instid1(VALU_DEP_1)
	v_min_u32_e32 v102, 32, v11
	v_subrev_nc_u32_e32 v11, 28, v102
	v_sub_nc_u32_e32 v102, 29, v102
	s_delay_alu instid0(VALU_DEP_2) | instskip(NEXT) | instid1(VALU_DEP_1)
	v_lshlrev_b64 v[11:12], v11, v[0:1]
	v_and_b32_e32 v11, 7, v11
; %bb.1252:                             ;   in Loop: Header=BB365_927 Depth=1
	s_or_b32 exec_lo, exec_lo, s15
	v_lshlrev_b32_e32 v0, 8, v14
	v_lshl_add_u32 v12, v102, 10, 0x2000
	s_delay_alu instid0(VALU_DEP_1) | instskip(NEXT) | instid1(VALU_DEP_1)
	v_and_or_b32 v0, 0x8000, v0, v12
	v_lshl_or_b32 v0, v11, 7, v0
	s_delay_alu instid0(VALU_DEP_1)
	v_cvt_f32_f16_e32 v102, v0
.LBB365_1253:                           ;   in Loop: Header=BB365_927 Depth=1
	s_or_b32 exec_lo, exec_lo, s13
.LBB365_1254:                           ;   in Loop: Header=BB365_927 Depth=1
	s_delay_alu instid0(SALU_CYCLE_1)
	s_or_b32 exec_lo, exec_lo, s12
.LBB365_1255:                           ;   in Loop: Header=BB365_927 Depth=1
	s_delay_alu instid0(SALU_CYCLE_1)
	s_or_b32 exec_lo, exec_lo, s10
	s_waitcnt vmcnt(0) lgkmcnt(0)
	v_fma_mixlo_f16 v12, v87, v97, 0
	v_fma_mixlo_f16 v0, v87, v99, 0
	;; [unrolled: 1-line block ×5, first 2 shown]
	v_lshlrev_b32_e32 v14, 16, v12
	v_fma_mixlo_f16 v98, v87, v100, 0
	v_fma_mixlo_f16 v99, v87, v102, 0
	;; [unrolled: 1-line block ×3, first 2 shown]
	v_lshlrev_b32_e32 v0, 16, v0
	v_and_b32_e32 v11, 0xffff, v11
	v_and_b32_e32 v87, 0xffff, v96
	v_lshlrev_b32_e32 v96, 16, v97
	v_and_b32_e32 v97, 0xffff, v98
	v_lshlrev_b32_e32 v98, 16, v99
	v_and_b32_e32 v99, 0xffff, v12
	v_or_b32_e32 v13, v0, v11
	v_or_b32_e32 v14, v14, v87
	v_or_b32_e32 v0, v96, v97
	s_delay_alu instid0(VALU_DEP_4)
	v_or_b32_e32 v11, v98, v99
	s_and_saveexec_b32 s10, vcc_lo
	s_cbranch_execz .LBB365_1257
; %bb.1256:                             ;   in Loop: Header=BB365_927 Depth=1
	v_cmp_lt_i32_e64 s0, v15, v35
	v_lshrrev_b32_e32 v87, 16, v14
	v_lshrrev_b32_e32 v96, 16, v13
	;; [unrolled: 1-line block ×4, first 2 shown]
	v_cndmask_b32_e64 v14, 0, v14, s0
	v_cmp_lt_i32_e64 s0, v80, v48
	s_delay_alu instid0(VALU_DEP_1) | instskip(SKIP_1) | instid1(VALU_DEP_2)
	v_cndmask_b32_e64 v87, 0, v87, s0
	v_cmp_lt_i32_e64 s0, v69, v48
	v_perm_b32 v14, v87, v14, 0x5040100
	s_delay_alu instid0(VALU_DEP_2) | instskip(SKIP_1) | instid1(VALU_DEP_1)
	v_cndmask_b32_e64 v96, 0, v96, s0
	v_cmp_lt_i32_e64 s0, v64, v35
	v_cndmask_b32_e64 v13, 0, v13, s0
	v_cmp_lt_i32_e64 s0, v55, v48
	s_delay_alu instid0(VALU_DEP_2) | instskip(NEXT) | instid1(VALU_DEP_2)
	v_perm_b32 v13, v96, v13, 0x5040100
	v_cndmask_b32_e64 v97, 0, v97, s0
	v_cmp_lt_i32_e64 s0, v54, v35
	s_delay_alu instid0(VALU_DEP_1) | instskip(SKIP_1) | instid1(VALU_DEP_2)
	v_cndmask_b32_e64 v0, 0, v0, s0
	v_cmp_lt_i32_e64 s0, v38, v48
	v_perm_b32 v0, v97, v0, 0x5040100
	s_delay_alu instid0(VALU_DEP_2) | instskip(SKIP_1) | instid1(VALU_DEP_1)
	v_cndmask_b32_e64 v11, 0, v11, s0
	v_cmp_lt_i32_e64 s0, v17, v35
	v_cndmask_b32_e64 v12, 0, v12, s0
	s_delay_alu instid0(VALU_DEP_1)
	v_perm_b32 v11, v11, v12, 0x5040100
.LBB365_1257:                           ;   in Loop: Header=BB365_927 Depth=1
	s_or_b32 exec_lo, exec_lo, s10
	;;#ASMSTART
	v_pk_mul_f16 v12, v71, v14;

	;;#ASMEND
	;;#ASMSTART
	v_pk_mul_f16 v13, v68, v13;

	;;#ASMEND
	;; [unrolled: 4-line block ×4, first 2 shown]
	;;#ASMSTART
	v_pk_add_f16 v12, v12, v13;

	;;#ASMEND
	;;#ASMSTART
	v_pk_add_f16 v0, v12, v0;

	;;#ASMEND
	;; [unrolled: 4-line block ×3, first 2 shown]
	v_dual_mov_b32 v98, 0 :: v_dual_and_b32 v11, 0xffff, v0
	v_lshrrev_b32_e32 v0, 16, v0
	;;#ASMSTART
	v_cvt_f32_f16 v87, v11;
	;;#ASMEND
	;;#ASMSTART
	v_cvt_f32_f16 v96, v0;
	;;#ASMEND
	flat_load_b64 v[11:12], v[9:10] offset:1280
	flat_load_b32 v97, v[26:27]
	s_mov_b32 s10, exec_lo
	s_waitcnt vmcnt(1) lgkmcnt(1)
	v_dual_mov_b32 v99, 0 :: v_dual_and_b32 v0, 0xff, v11
	s_delay_alu instid0(VALU_DEP_1)
	v_cmpx_ne_u16_e32 0, v0
	s_cbranch_execz .LBB365_1265
; %bb.1258:                             ;   in Loop: Header=BB365_927 Depth=1
	v_bfrev_b32_e32 v98, 1
	s_mov_b32 s12, exec_lo
	v_cmpx_ne_u16_e32 0x80, v0
	s_cbranch_execz .LBB365_1264
; %bb.1259:                             ;   in Loop: Header=BB365_927 Depth=1
	v_and_b32_e32 v13, 0x7f, v11
	v_mov_b32_e32 v98, 0x7fc02000
	s_mov_b32 s13, exec_lo
	s_delay_alu instid0(VALU_DEP_2)
	v_cmpx_ne_u32_e32 0x7f, v13
	s_cbranch_execz .LBB365_1263
; %bb.1260:                             ;   in Loop: Header=BB365_927 Depth=1
	v_lshrrev_b32_e32 v0, 3, v13
	v_cmp_gt_u32_e64 s0, 8, v13
	v_dual_mov_b32 v14, v12 :: v_dual_mov_b32 v13, v11
	s_delay_alu instid0(VALU_DEP_2)
	s_and_saveexec_b32 s15, s0
; %bb.1261:                             ;   in Loop: Header=BB365_927 Depth=1
	v_and_b32_e32 v0, 7, v11
	s_delay_alu instid0(VALU_DEP_1) | instskip(NEXT) | instid1(VALU_DEP_1)
	v_clz_i32_u32_e32 v0, v0
	v_min_u32_e32 v0, 32, v0
	s_delay_alu instid0(VALU_DEP_1) | instskip(SKIP_1) | instid1(VALU_DEP_2)
	v_subrev_nc_u32_e32 v13, 28, v0
	v_sub_nc_u32_e32 v0, 29, v0
	v_lshlrev_b64 v[13:14], v13, v[11:12]
; %bb.1262:                             ;   in Loop: Header=BB365_927 Depth=1
	s_or_b32 exec_lo, exec_lo, s15
	v_lshlrev_b32_e32 v14, 8, v11
	s_delay_alu instid0(VALU_DEP_3) | instskip(NEXT) | instid1(VALU_DEP_3)
	v_lshl_add_u32 v0, v0, 10, 0x2000
	v_lshlrev_b32_e32 v13, 7, v13
	s_delay_alu instid0(VALU_DEP_2) | instskip(NEXT) | instid1(VALU_DEP_1)
	v_and_or_b32 v0, 0x8000, v14, v0
	v_and_or_b32 v0, 0x380, v13, v0
	s_delay_alu instid0(VALU_DEP_1)
	v_cvt_f32_f16_e32 v98, v0
.LBB365_1263:                           ;   in Loop: Header=BB365_927 Depth=1
	s_or_b32 exec_lo, exec_lo, s13
.LBB365_1264:                           ;   in Loop: Header=BB365_927 Depth=1
	s_delay_alu instid0(SALU_CYCLE_1)
	s_or_b32 exec_lo, exec_lo, s12
.LBB365_1265:                           ;   in Loop: Header=BB365_927 Depth=1
	s_delay_alu instid0(SALU_CYCLE_1) | instskip(SKIP_2) | instid1(VALU_DEP_1)
	s_or_b32 exec_lo, exec_lo, s10
	v_lshrrev_b16 v0, 8, v11
	s_mov_b32 s10, exec_lo
	v_cmpx_ne_u16_e32 0, v0
	s_cbranch_execz .LBB365_1273
; %bb.1266:                             ;   in Loop: Header=BB365_927 Depth=1
	v_bfrev_b32_e32 v99, 1
	s_mov_b32 s12, exec_lo
	v_cmpx_ne_u16_e32 0x80, v0
	s_cbranch_execz .LBB365_1272
; %bb.1267:                             ;   in Loop: Header=BB365_927 Depth=1
	v_and_b32_e32 v100, 0xffff, v0
	v_mov_b32_e32 v99, 0x7fc02000
	s_mov_b32 s13, exec_lo
	s_delay_alu instid0(VALU_DEP_2) | instskip(NEXT) | instid1(VALU_DEP_1)
	v_and_b32_e32 v13, 0x7f, v100
	v_cmpx_ne_u32_e32 0x7f, v13
	s_cbranch_execz .LBB365_1271
; %bb.1268:                             ;   in Loop: Header=BB365_927 Depth=1
	v_and_b32_e32 v0, 7, v100
	v_lshrrev_b32_e32 v99, 3, v13
	v_cmp_gt_u32_e64 s0, 8, v13
	s_delay_alu instid0(VALU_DEP_3) | instskip(NEXT) | instid1(VALU_DEP_2)
	v_dual_mov_b32 v14, v1 :: v_dual_mov_b32 v13, v0
	s_and_saveexec_b32 s15, s0
; %bb.1269:                             ;   in Loop: Header=BB365_927 Depth=1
	v_clz_i32_u32_e32 v13, v0
	s_delay_alu instid0(VALU_DEP_1) | instskip(NEXT) | instid1(VALU_DEP_1)
	v_min_u32_e32 v99, 32, v13
	v_subrev_nc_u32_e32 v13, 28, v99
	v_sub_nc_u32_e32 v99, 29, v99
	s_delay_alu instid0(VALU_DEP_2) | instskip(NEXT) | instid1(VALU_DEP_1)
	v_lshlrev_b64 v[13:14], v13, v[0:1]
	v_and_b32_e32 v13, 7, v13
; %bb.1270:                             ;   in Loop: Header=BB365_927 Depth=1
	s_or_b32 exec_lo, exec_lo, s15
	v_lshlrev_b32_e32 v0, 8, v100
	v_lshl_add_u32 v14, v99, 10, 0x2000
	s_delay_alu instid0(VALU_DEP_1) | instskip(NEXT) | instid1(VALU_DEP_1)
	v_and_or_b32 v0, 0x8000, v0, v14
	v_lshl_or_b32 v0, v13, 7, v0
	s_delay_alu instid0(VALU_DEP_1)
	v_cvt_f32_f16_e32 v99, v0
.LBB365_1271:                           ;   in Loop: Header=BB365_927 Depth=1
	s_or_b32 exec_lo, exec_lo, s13
.LBB365_1272:                           ;   in Loop: Header=BB365_927 Depth=1
	s_delay_alu instid0(SALU_CYCLE_1)
	s_or_b32 exec_lo, exec_lo, s12
.LBB365_1273:                           ;   in Loop: Header=BB365_927 Depth=1
	s_delay_alu instid0(SALU_CYCLE_1) | instskip(SKIP_3) | instid1(VALU_DEP_2)
	s_or_b32 exec_lo, exec_lo, s10
	v_lshrrev_b32_e32 v102, 16, v11
	v_mov_b32_e32 v100, 0
	s_mov_b32 s10, exec_lo
	v_dual_mov_b32 v101, 0 :: v_dual_and_b32 v0, 0xff, v102
	s_delay_alu instid0(VALU_DEP_1)
	v_cmpx_ne_u16_e32 0, v0
	s_cbranch_execz .LBB365_1281
; %bb.1274:                             ;   in Loop: Header=BB365_927 Depth=1
	v_bfrev_b32_e32 v100, 1
	s_mov_b32 s12, exec_lo
	v_cmpx_ne_u16_e32 0x80, v0
	s_cbranch_execz .LBB365_1280
; %bb.1275:                             ;   in Loop: Header=BB365_927 Depth=1
	v_bfe_u32 v13, v11, 16, 7
	v_mov_b32_e32 v100, 0x7fc02000
	s_mov_b32 s13, exec_lo
	s_delay_alu instid0(VALU_DEP_2)
	v_cmpx_ne_u32_e32 0x7f, v13
	s_cbranch_execz .LBB365_1279
; %bb.1276:                             ;   in Loop: Header=BB365_927 Depth=1
	v_and_b32_e32 v0, 7, v102
	v_lshrrev_b32_e32 v100, 3, v13
	v_cmp_gt_u32_e64 s0, 8, v13
	s_delay_alu instid0(VALU_DEP_3) | instskip(NEXT) | instid1(VALU_DEP_2)
	v_dual_mov_b32 v14, v1 :: v_dual_mov_b32 v13, v0
	s_and_saveexec_b32 s15, s0
; %bb.1277:                             ;   in Loop: Header=BB365_927 Depth=1
	v_clz_i32_u32_e32 v13, v0
	s_delay_alu instid0(VALU_DEP_1) | instskip(NEXT) | instid1(VALU_DEP_1)
	v_min_u32_e32 v100, 32, v13
	v_subrev_nc_u32_e32 v13, 28, v100
	v_sub_nc_u32_e32 v100, 29, v100
	s_delay_alu instid0(VALU_DEP_2) | instskip(NEXT) | instid1(VALU_DEP_1)
	v_lshlrev_b64 v[13:14], v13, v[0:1]
	v_and_b32_e32 v13, 7, v13
; %bb.1278:                             ;   in Loop: Header=BB365_927 Depth=1
	s_or_b32 exec_lo, exec_lo, s15
	v_lshlrev_b32_e32 v0, 8, v102
	v_lshl_add_u32 v14, v100, 10, 0x2000
	s_delay_alu instid0(VALU_DEP_1) | instskip(NEXT) | instid1(VALU_DEP_1)
	v_and_or_b32 v0, 0x8000, v0, v14
	v_lshl_or_b32 v0, v13, 7, v0
	s_delay_alu instid0(VALU_DEP_1)
	v_cvt_f32_f16_e32 v100, v0
.LBB365_1279:                           ;   in Loop: Header=BB365_927 Depth=1
	s_or_b32 exec_lo, exec_lo, s13
.LBB365_1280:                           ;   in Loop: Header=BB365_927 Depth=1
	s_delay_alu instid0(SALU_CYCLE_1)
	s_or_b32 exec_lo, exec_lo, s12
.LBB365_1281:                           ;   in Loop: Header=BB365_927 Depth=1
	s_delay_alu instid0(SALU_CYCLE_1) | instskip(NEXT) | instid1(SALU_CYCLE_1)
	s_or_b32 exec_lo, exec_lo, s10
	s_mov_b32 s10, exec_lo
	v_cmpx_lt_u32_e32 0xffffff, v11
	s_cbranch_execz .LBB365_1289
; %bb.1282:                             ;   in Loop: Header=BB365_927 Depth=1
	v_lshrrev_b32_e32 v102, 24, v11
	v_bfrev_b32_e32 v101, 1
	s_mov_b32 s12, exec_lo
	s_delay_alu instid0(VALU_DEP_2)
	v_cmpx_ne_u32_e32 0x80, v102
	s_cbranch_execz .LBB365_1288
; %bb.1283:                             ;   in Loop: Header=BB365_927 Depth=1
	v_and_b32_e32 v13, 0x7f, v102
	v_mov_b32_e32 v101, 0x7fc02000
	s_mov_b32 s13, exec_lo
	s_delay_alu instid0(VALU_DEP_2)
	v_cmpx_ne_u32_e32 0x7f, v13
	s_cbranch_execz .LBB365_1287
; %bb.1284:                             ;   in Loop: Header=BB365_927 Depth=1
	v_and_b32_e32 v0, 7, v102
	v_lshrrev_b32_e32 v101, 3, v13
	v_cmp_gt_u32_e64 s0, 8, v13
	s_delay_alu instid0(VALU_DEP_3) | instskip(NEXT) | instid1(VALU_DEP_2)
	v_dual_mov_b32 v14, v1 :: v_dual_mov_b32 v13, v0
	s_and_saveexec_b32 s15, s0
; %bb.1285:                             ;   in Loop: Header=BB365_927 Depth=1
	v_clz_i32_u32_e32 v13, v0
	s_delay_alu instid0(VALU_DEP_1) | instskip(NEXT) | instid1(VALU_DEP_1)
	v_min_u32_e32 v101, 32, v13
	v_subrev_nc_u32_e32 v13, 28, v101
	v_sub_nc_u32_e32 v101, 29, v101
	s_delay_alu instid0(VALU_DEP_2) | instskip(NEXT) | instid1(VALU_DEP_1)
	v_lshlrev_b64 v[13:14], v13, v[0:1]
	v_and_b32_e32 v13, 7, v13
; %bb.1286:                             ;   in Loop: Header=BB365_927 Depth=1
	s_or_b32 exec_lo, exec_lo, s15
	v_lshlrev_b32_e32 v0, 8, v102
	v_lshl_add_u32 v14, v101, 10, 0x2000
	s_delay_alu instid0(VALU_DEP_1) | instskip(NEXT) | instid1(VALU_DEP_1)
	v_and_or_b32 v0, 0x8000, v0, v14
	v_lshl_or_b32 v0, v13, 7, v0
	s_delay_alu instid0(VALU_DEP_1)
	v_cvt_f32_f16_e32 v101, v0
.LBB365_1287:                           ;   in Loop: Header=BB365_927 Depth=1
	s_or_b32 exec_lo, exec_lo, s13
.LBB365_1288:                           ;   in Loop: Header=BB365_927 Depth=1
	s_delay_alu instid0(SALU_CYCLE_1)
	s_or_b32 exec_lo, exec_lo, s12
.LBB365_1289:                           ;   in Loop: Header=BB365_927 Depth=1
	s_delay_alu instid0(SALU_CYCLE_1) | instskip(SKIP_3) | instid1(VALU_DEP_2)
	s_or_b32 exec_lo, exec_lo, s10
	v_dual_mov_b32 v0, v12 :: v_dual_and_b32 v13, 0xff, v12
	v_dual_mov_b32 v103, 0 :: v_dual_mov_b32 v102, 0
	s_mov_b32 s10, exec_lo
	v_cmpx_ne_u16_e32 0, v13
	s_cbranch_execz .LBB365_1297
; %bb.1290:                             ;   in Loop: Header=BB365_927 Depth=1
	v_bfrev_b32_e32 v102, 1
	s_mov_b32 s12, exec_lo
	v_cmpx_ne_u16_e32 0x80, v13
	s_cbranch_execz .LBB365_1296
; %bb.1291:                             ;   in Loop: Header=BB365_927 Depth=1
	v_and_b32_e32 v13, 0x7f, v12
	v_mov_b32_e32 v102, 0x7fc02000
	s_mov_b32 s13, exec_lo
	s_delay_alu instid0(VALU_DEP_2)
	v_cmpx_ne_u32_e32 0x7f, v13
	s_cbranch_execz .LBB365_1295
; %bb.1292:                             ;   in Loop: Header=BB365_927 Depth=1
	v_lshrrev_b32_e32 v102, 3, v13
	v_cmp_gt_u32_e64 s0, 8, v13
	v_dual_mov_b32 v14, v1 :: v_dual_mov_b32 v13, v0
	s_delay_alu instid0(VALU_DEP_2)
	s_and_saveexec_b32 s15, s0
; %bb.1293:                             ;   in Loop: Header=BB365_927 Depth=1
	v_and_b32_e32 v13, 7, v12
	s_delay_alu instid0(VALU_DEP_1) | instskip(NEXT) | instid1(VALU_DEP_1)
	v_clz_i32_u32_e32 v13, v13
	v_min_u32_e32 v102, 32, v13
	s_delay_alu instid0(VALU_DEP_1) | instskip(SKIP_1) | instid1(VALU_DEP_2)
	v_subrev_nc_u32_e32 v13, 28, v102
	v_sub_nc_u32_e32 v102, 29, v102
	v_lshlrev_b64 v[13:14], v13, v[0:1]
; %bb.1294:                             ;   in Loop: Header=BB365_927 Depth=1
	s_or_b32 exec_lo, exec_lo, s15
	v_lshlrev_b32_e32 v14, 8, v12
	s_delay_alu instid0(VALU_DEP_3) | instskip(NEXT) | instid1(VALU_DEP_3)
	v_lshl_add_u32 v102, v102, 10, 0x2000
	v_lshlrev_b32_e32 v13, 7, v13
	s_delay_alu instid0(VALU_DEP_2) | instskip(NEXT) | instid1(VALU_DEP_1)
	v_and_or_b32 v14, 0x8000, v14, v102
	v_and_or_b32 v13, 0x380, v13, v14
	s_delay_alu instid0(VALU_DEP_1)
	v_cvt_f32_f16_e32 v102, v13
.LBB365_1295:                           ;   in Loop: Header=BB365_927 Depth=1
	s_or_b32 exec_lo, exec_lo, s13
.LBB365_1296:                           ;   in Loop: Header=BB365_927 Depth=1
	s_delay_alu instid0(SALU_CYCLE_1)
	s_or_b32 exec_lo, exec_lo, s12
.LBB365_1297:                           ;   in Loop: Header=BB365_927 Depth=1
	s_delay_alu instid0(SALU_CYCLE_1) | instskip(SKIP_2) | instid1(VALU_DEP_1)
	s_or_b32 exec_lo, exec_lo, s10
	v_lshrrev_b16 v0, 8, v0
	s_mov_b32 s10, exec_lo
	v_cmpx_ne_u16_e32 0, v0
	s_cbranch_execz .LBB365_1305
; %bb.1298:                             ;   in Loop: Header=BB365_927 Depth=1
	v_bfrev_b32_e32 v103, 1
	s_mov_b32 s12, exec_lo
	v_cmpx_ne_u16_e32 0x80, v0
	s_cbranch_execz .LBB365_1304
; %bb.1299:                             ;   in Loop: Header=BB365_927 Depth=1
	v_and_b32_e32 v112, 0xffff, v0
	v_mov_b32_e32 v103, 0x7fc02000
	s_mov_b32 s13, exec_lo
	s_delay_alu instid0(VALU_DEP_2) | instskip(NEXT) | instid1(VALU_DEP_1)
	v_and_b32_e32 v13, 0x7f, v112
	v_cmpx_ne_u32_e32 0x7f, v13
	s_cbranch_execz .LBB365_1303
; %bb.1300:                             ;   in Loop: Header=BB365_927 Depth=1
	v_and_b32_e32 v0, 7, v112
	v_lshrrev_b32_e32 v103, 3, v13
	v_cmp_gt_u32_e64 s0, 8, v13
	s_delay_alu instid0(VALU_DEP_3) | instskip(NEXT) | instid1(VALU_DEP_2)
	v_dual_mov_b32 v14, v1 :: v_dual_mov_b32 v13, v0
	s_and_saveexec_b32 s15, s0
; %bb.1301:                             ;   in Loop: Header=BB365_927 Depth=1
	v_clz_i32_u32_e32 v13, v0
	s_delay_alu instid0(VALU_DEP_1) | instskip(NEXT) | instid1(VALU_DEP_1)
	v_min_u32_e32 v103, 32, v13
	v_subrev_nc_u32_e32 v13, 28, v103
	v_sub_nc_u32_e32 v103, 29, v103
	s_delay_alu instid0(VALU_DEP_2) | instskip(NEXT) | instid1(VALU_DEP_1)
	v_lshlrev_b64 v[13:14], v13, v[0:1]
	v_and_b32_e32 v13, 7, v13
; %bb.1302:                             ;   in Loop: Header=BB365_927 Depth=1
	s_or_b32 exec_lo, exec_lo, s15
	v_lshlrev_b32_e32 v0, 8, v112
	v_lshl_add_u32 v14, v103, 10, 0x2000
	s_delay_alu instid0(VALU_DEP_1) | instskip(NEXT) | instid1(VALU_DEP_1)
	v_and_or_b32 v0, 0x8000, v0, v14
	v_lshl_or_b32 v0, v13, 7, v0
	s_delay_alu instid0(VALU_DEP_1)
	v_cvt_f32_f16_e32 v103, v0
.LBB365_1303:                           ;   in Loop: Header=BB365_927 Depth=1
	s_or_b32 exec_lo, exec_lo, s13
.LBB365_1304:                           ;   in Loop: Header=BB365_927 Depth=1
	s_delay_alu instid0(SALU_CYCLE_1)
	s_or_b32 exec_lo, exec_lo, s12
.LBB365_1305:                           ;   in Loop: Header=BB365_927 Depth=1
	s_delay_alu instid0(SALU_CYCLE_1) | instskip(SKIP_3) | instid1(VALU_DEP_2)
	s_or_b32 exec_lo, exec_lo, s10
	v_lshrrev_b32_e32 v113, 16, v12
	v_mov_b32_e32 v112, 0
	s_mov_b32 s10, exec_lo
	v_dual_mov_b32 v13, 0 :: v_dual_and_b32 v0, 0xff, v113
	s_delay_alu instid0(VALU_DEP_1)
	v_cmpx_ne_u16_e32 0, v0
	s_cbranch_execz .LBB365_1313
; %bb.1306:                             ;   in Loop: Header=BB365_927 Depth=1
	v_bfrev_b32_e32 v13, 1
	s_mov_b32 s12, exec_lo
	v_cmpx_ne_u16_e32 0x80, v0
	s_cbranch_execz .LBB365_1312
; %bb.1307:                             ;   in Loop: Header=BB365_927 Depth=1
	v_bfe_u32 v14, v12, 16, 7
	v_mov_b32_e32 v13, 0x7fc02000
	s_mov_b32 s13, exec_lo
	s_delay_alu instid0(VALU_DEP_2)
	v_cmpx_ne_u32_e32 0x7f, v14
	s_cbranch_execz .LBB365_1311
; %bb.1308:                             ;   in Loop: Header=BB365_927 Depth=1
	v_and_b32_e32 v0, 7, v113
	v_lshrrev_b32_e32 v114, 3, v14
	v_cmp_gt_u32_e64 s0, 8, v14
	s_delay_alu instid0(VALU_DEP_3) | instskip(NEXT) | instid1(VALU_DEP_2)
	v_dual_mov_b32 v14, v1 :: v_dual_mov_b32 v13, v0
	s_and_saveexec_b32 s15, s0
; %bb.1309:                             ;   in Loop: Header=BB365_927 Depth=1
	v_clz_i32_u32_e32 v13, v0
	s_delay_alu instid0(VALU_DEP_1) | instskip(NEXT) | instid1(VALU_DEP_1)
	v_min_u32_e32 v114, 32, v13
	v_subrev_nc_u32_e32 v13, 28, v114
	v_sub_nc_u32_e32 v114, 29, v114
	s_delay_alu instid0(VALU_DEP_2) | instskip(NEXT) | instid1(VALU_DEP_1)
	v_lshlrev_b64 v[13:14], v13, v[0:1]
	v_and_b32_e32 v13, 7, v13
; %bb.1310:                             ;   in Loop: Header=BB365_927 Depth=1
	s_or_b32 exec_lo, exec_lo, s15
	v_lshlrev_b32_e32 v0, 8, v113
	v_lshl_add_u32 v14, v114, 10, 0x2000
	s_delay_alu instid0(VALU_DEP_1) | instskip(NEXT) | instid1(VALU_DEP_1)
	v_and_or_b32 v0, 0x8000, v0, v14
	v_lshl_or_b32 v0, v13, 7, v0
	s_delay_alu instid0(VALU_DEP_1)
	v_cvt_f32_f16_e32 v13, v0
.LBB365_1311:                           ;   in Loop: Header=BB365_927 Depth=1
	s_or_b32 exec_lo, exec_lo, s13
.LBB365_1312:                           ;   in Loop: Header=BB365_927 Depth=1
	s_delay_alu instid0(SALU_CYCLE_1)
	s_or_b32 exec_lo, exec_lo, s12
.LBB365_1313:                           ;   in Loop: Header=BB365_927 Depth=1
	s_delay_alu instid0(SALU_CYCLE_1) | instskip(NEXT) | instid1(SALU_CYCLE_1)
	s_or_b32 exec_lo, exec_lo, s10
	s_mov_b32 s10, exec_lo
	v_cmpx_lt_u64_e64 s[8:9], v[11:12]
	s_cbranch_execz .LBB365_1321
; %bb.1314:                             ;   in Loop: Header=BB365_927 Depth=1
	v_lshrrev_b32_e32 v14, 24, v12
	v_bfrev_b32_e32 v112, 1
	s_mov_b32 s12, exec_lo
	s_delay_alu instid0(VALU_DEP_2)
	v_cmpx_ne_u32_e32 0x80, v14
	s_cbranch_execz .LBB365_1320
; %bb.1315:                             ;   in Loop: Header=BB365_927 Depth=1
	v_and_b32_e32 v11, 0x7f, v14
	v_mov_b32_e32 v112, 0x7fc02000
	s_mov_b32 s13, exec_lo
	s_delay_alu instid0(VALU_DEP_2)
	v_cmpx_ne_u32_e32 0x7f, v11
	s_cbranch_execz .LBB365_1319
; %bb.1316:                             ;   in Loop: Header=BB365_927 Depth=1
	v_and_b32_e32 v0, 7, v14
	v_lshrrev_b32_e32 v112, 3, v11
	v_cmp_gt_u32_e64 s0, 8, v11
	s_delay_alu instid0(VALU_DEP_3) | instskip(NEXT) | instid1(VALU_DEP_2)
	v_dual_mov_b32 v12, v1 :: v_dual_mov_b32 v11, v0
	s_and_saveexec_b32 s15, s0
; %bb.1317:                             ;   in Loop: Header=BB365_927 Depth=1
	v_clz_i32_u32_e32 v11, v0
	s_delay_alu instid0(VALU_DEP_1) | instskip(NEXT) | instid1(VALU_DEP_1)
	v_min_u32_e32 v112, 32, v11
	v_subrev_nc_u32_e32 v11, 28, v112
	v_sub_nc_u32_e32 v112, 29, v112
	s_delay_alu instid0(VALU_DEP_2) | instskip(NEXT) | instid1(VALU_DEP_1)
	v_lshlrev_b64 v[11:12], v11, v[0:1]
	v_and_b32_e32 v11, 7, v11
; %bb.1318:                             ;   in Loop: Header=BB365_927 Depth=1
	s_or_b32 exec_lo, exec_lo, s15
	v_lshlrev_b32_e32 v0, 8, v14
	v_lshl_add_u32 v12, v112, 10, 0x2000
	s_delay_alu instid0(VALU_DEP_1) | instskip(NEXT) | instid1(VALU_DEP_1)
	v_and_or_b32 v0, 0x8000, v0, v12
	v_lshl_or_b32 v0, v11, 7, v0
	s_delay_alu instid0(VALU_DEP_1)
	v_cvt_f32_f16_e32 v112, v0
.LBB365_1319:                           ;   in Loop: Header=BB365_927 Depth=1
	s_or_b32 exec_lo, exec_lo, s13
.LBB365_1320:                           ;   in Loop: Header=BB365_927 Depth=1
	s_delay_alu instid0(SALU_CYCLE_1)
	s_or_b32 exec_lo, exec_lo, s12
.LBB365_1321:                           ;   in Loop: Header=BB365_927 Depth=1
	s_delay_alu instid0(SALU_CYCLE_1)
	s_or_b32 exec_lo, exec_lo, s10
	s_waitcnt vmcnt(0) lgkmcnt(0)
	v_fma_mixlo_f16 v12, v97, v99, 0
	v_fma_mixlo_f16 v0, v97, v101, 0
	v_fma_mixlo_f16 v11, v97, v100, 0
	v_fma_mixlo_f16 v98, v97, v98, 0
	v_fma_mixlo_f16 v99, v97, v103, 0
	v_lshlrev_b32_e32 v14, 16, v12
	v_fma_mixlo_f16 v100, v97, v102, 0
	v_fma_mixlo_f16 v101, v97, v112, 0
	;; [unrolled: 1-line block ×3, first 2 shown]
	v_lshlrev_b32_e32 v0, 16, v0
	v_and_b32_e32 v11, 0xffff, v11
	v_and_b32_e32 v97, 0xffff, v98
	v_lshlrev_b32_e32 v98, 16, v99
	v_and_b32_e32 v99, 0xffff, v100
	v_lshlrev_b32_e32 v100, 16, v101
	v_and_b32_e32 v101, 0xffff, v12
	v_or_b32_e32 v13, v0, v11
	v_or_b32_e32 v14, v14, v97
	;; [unrolled: 1-line block ×3, first 2 shown]
	s_delay_alu instid0(VALU_DEP_4)
	v_or_b32_e32 v11, v100, v101
	s_and_saveexec_b32 s10, vcc_lo
	s_cbranch_execz .LBB365_1323
; %bb.1322:                             ;   in Loop: Header=BB365_927 Depth=1
	v_cmp_lt_i32_e64 s0, v15, v35
	v_lshrrev_b32_e32 v97, 16, v14
	v_lshrrev_b32_e32 v98, 16, v13
	;; [unrolled: 1-line block ×4, first 2 shown]
	v_cndmask_b32_e64 v14, 0, v14, s0
	v_cmp_lt_i32_e64 s0, v80, v48
	s_delay_alu instid0(VALU_DEP_1) | instskip(SKIP_1) | instid1(VALU_DEP_2)
	v_cndmask_b32_e64 v97, 0, v97, s0
	v_cmp_lt_i32_e64 s0, v69, v48
	v_perm_b32 v14, v97, v14, 0x5040100
	s_delay_alu instid0(VALU_DEP_2) | instskip(SKIP_1) | instid1(VALU_DEP_1)
	v_cndmask_b32_e64 v98, 0, v98, s0
	v_cmp_lt_i32_e64 s0, v64, v35
	v_cndmask_b32_e64 v13, 0, v13, s0
	v_cmp_lt_i32_e64 s0, v55, v48
	s_delay_alu instid0(VALU_DEP_2) | instskip(NEXT) | instid1(VALU_DEP_2)
	v_perm_b32 v13, v98, v13, 0x5040100
	v_cndmask_b32_e64 v99, 0, v99, s0
	v_cmp_lt_i32_e64 s0, v54, v35
	s_delay_alu instid0(VALU_DEP_1) | instskip(SKIP_1) | instid1(VALU_DEP_2)
	v_cndmask_b32_e64 v0, 0, v0, s0
	v_cmp_lt_i32_e64 s0, v38, v48
	v_perm_b32 v0, v99, v0, 0x5040100
	s_delay_alu instid0(VALU_DEP_2) | instskip(SKIP_1) | instid1(VALU_DEP_1)
	v_cndmask_b32_e64 v11, 0, v11, s0
	v_cmp_lt_i32_e64 s0, v17, v35
	v_cndmask_b32_e64 v12, 0, v12, s0
	s_delay_alu instid0(VALU_DEP_1)
	v_perm_b32 v11, v11, v12, 0x5040100
.LBB365_1323:                           ;   in Loop: Header=BB365_927 Depth=1
	s_or_b32 exec_lo, exec_lo, s10
	;;#ASMSTART
	v_pk_mul_f16 v12, v71, v14;

	;;#ASMEND
	;;#ASMSTART
	v_pk_mul_f16 v13, v68, v13;

	;;#ASMEND
	;; [unrolled: 4-line block ×4, first 2 shown]
	;;#ASMSTART
	v_pk_add_f16 v12, v12, v13;

	;;#ASMEND
	;;#ASMSTART
	v_pk_add_f16 v0, v12, v0;

	;;#ASMEND
	;; [unrolled: 4-line block ×3, first 2 shown]
	v_dual_mov_b32 v100, 0 :: v_dual_and_b32 v11, 0xffff, v0
	v_lshrrev_b32_e32 v0, 16, v0
	;;#ASMSTART
	v_cvt_f32_f16 v97, v11;
	;;#ASMEND
	;;#ASMSTART
	v_cvt_f32_f16 v98, v0;
	;;#ASMEND
	flat_load_b64 v[11:12], v[9:10] offset:1536
	flat_load_b32 v99, v[26:27]
	s_mov_b32 s10, exec_lo
	s_waitcnt vmcnt(1) lgkmcnt(1)
	v_dual_mov_b32 v101, 0 :: v_dual_and_b32 v0, 0xff, v11
	s_delay_alu instid0(VALU_DEP_1)
	v_cmpx_ne_u16_e32 0, v0
	s_cbranch_execz .LBB365_1331
; %bb.1324:                             ;   in Loop: Header=BB365_927 Depth=1
	v_bfrev_b32_e32 v100, 1
	s_mov_b32 s12, exec_lo
	v_cmpx_ne_u16_e32 0x80, v0
	s_cbranch_execz .LBB365_1330
; %bb.1325:                             ;   in Loop: Header=BB365_927 Depth=1
	v_and_b32_e32 v13, 0x7f, v11
	v_mov_b32_e32 v100, 0x7fc02000
	s_mov_b32 s13, exec_lo
	s_delay_alu instid0(VALU_DEP_2)
	v_cmpx_ne_u32_e32 0x7f, v13
	s_cbranch_execz .LBB365_1329
; %bb.1326:                             ;   in Loop: Header=BB365_927 Depth=1
	v_lshrrev_b32_e32 v0, 3, v13
	v_cmp_gt_u32_e64 s0, 8, v13
	v_dual_mov_b32 v14, v12 :: v_dual_mov_b32 v13, v11
	s_delay_alu instid0(VALU_DEP_2)
	s_and_saveexec_b32 s15, s0
; %bb.1327:                             ;   in Loop: Header=BB365_927 Depth=1
	v_and_b32_e32 v0, 7, v11
	s_delay_alu instid0(VALU_DEP_1) | instskip(NEXT) | instid1(VALU_DEP_1)
	v_clz_i32_u32_e32 v0, v0
	v_min_u32_e32 v0, 32, v0
	s_delay_alu instid0(VALU_DEP_1) | instskip(SKIP_1) | instid1(VALU_DEP_2)
	v_subrev_nc_u32_e32 v13, 28, v0
	v_sub_nc_u32_e32 v0, 29, v0
	v_lshlrev_b64 v[13:14], v13, v[11:12]
; %bb.1328:                             ;   in Loop: Header=BB365_927 Depth=1
	s_or_b32 exec_lo, exec_lo, s15
	v_lshlrev_b32_e32 v14, 8, v11
	s_delay_alu instid0(VALU_DEP_3) | instskip(NEXT) | instid1(VALU_DEP_3)
	v_lshl_add_u32 v0, v0, 10, 0x2000
	v_lshlrev_b32_e32 v13, 7, v13
	s_delay_alu instid0(VALU_DEP_2) | instskip(NEXT) | instid1(VALU_DEP_1)
	v_and_or_b32 v0, 0x8000, v14, v0
	v_and_or_b32 v0, 0x380, v13, v0
	s_delay_alu instid0(VALU_DEP_1)
	v_cvt_f32_f16_e32 v100, v0
.LBB365_1329:                           ;   in Loop: Header=BB365_927 Depth=1
	s_or_b32 exec_lo, exec_lo, s13
.LBB365_1330:                           ;   in Loop: Header=BB365_927 Depth=1
	s_delay_alu instid0(SALU_CYCLE_1)
	s_or_b32 exec_lo, exec_lo, s12
.LBB365_1331:                           ;   in Loop: Header=BB365_927 Depth=1
	s_delay_alu instid0(SALU_CYCLE_1) | instskip(SKIP_2) | instid1(VALU_DEP_1)
	s_or_b32 exec_lo, exec_lo, s10
	v_lshrrev_b16 v0, 8, v11
	s_mov_b32 s10, exec_lo
	v_cmpx_ne_u16_e32 0, v0
	s_cbranch_execz .LBB365_1339
; %bb.1332:                             ;   in Loop: Header=BB365_927 Depth=1
	v_bfrev_b32_e32 v101, 1
	s_mov_b32 s12, exec_lo
	v_cmpx_ne_u16_e32 0x80, v0
	s_cbranch_execz .LBB365_1338
; %bb.1333:                             ;   in Loop: Header=BB365_927 Depth=1
	v_and_b32_e32 v102, 0xffff, v0
	v_mov_b32_e32 v101, 0x7fc02000
	s_mov_b32 s13, exec_lo
	s_delay_alu instid0(VALU_DEP_2) | instskip(NEXT) | instid1(VALU_DEP_1)
	v_and_b32_e32 v13, 0x7f, v102
	v_cmpx_ne_u32_e32 0x7f, v13
	s_cbranch_execz .LBB365_1337
; %bb.1334:                             ;   in Loop: Header=BB365_927 Depth=1
	v_and_b32_e32 v0, 7, v102
	v_lshrrev_b32_e32 v101, 3, v13
	v_cmp_gt_u32_e64 s0, 8, v13
	s_delay_alu instid0(VALU_DEP_3) | instskip(NEXT) | instid1(VALU_DEP_2)
	v_dual_mov_b32 v14, v1 :: v_dual_mov_b32 v13, v0
	s_and_saveexec_b32 s15, s0
; %bb.1335:                             ;   in Loop: Header=BB365_927 Depth=1
	v_clz_i32_u32_e32 v13, v0
	s_delay_alu instid0(VALU_DEP_1) | instskip(NEXT) | instid1(VALU_DEP_1)
	v_min_u32_e32 v101, 32, v13
	v_subrev_nc_u32_e32 v13, 28, v101
	v_sub_nc_u32_e32 v101, 29, v101
	s_delay_alu instid0(VALU_DEP_2) | instskip(NEXT) | instid1(VALU_DEP_1)
	v_lshlrev_b64 v[13:14], v13, v[0:1]
	v_and_b32_e32 v13, 7, v13
; %bb.1336:                             ;   in Loop: Header=BB365_927 Depth=1
	s_or_b32 exec_lo, exec_lo, s15
	v_lshlrev_b32_e32 v0, 8, v102
	v_lshl_add_u32 v14, v101, 10, 0x2000
	s_delay_alu instid0(VALU_DEP_1) | instskip(NEXT) | instid1(VALU_DEP_1)
	v_and_or_b32 v0, 0x8000, v0, v14
	v_lshl_or_b32 v0, v13, 7, v0
	s_delay_alu instid0(VALU_DEP_1)
	v_cvt_f32_f16_e32 v101, v0
.LBB365_1337:                           ;   in Loop: Header=BB365_927 Depth=1
	s_or_b32 exec_lo, exec_lo, s13
.LBB365_1338:                           ;   in Loop: Header=BB365_927 Depth=1
	s_delay_alu instid0(SALU_CYCLE_1)
	s_or_b32 exec_lo, exec_lo, s12
.LBB365_1339:                           ;   in Loop: Header=BB365_927 Depth=1
	s_delay_alu instid0(SALU_CYCLE_1) | instskip(SKIP_3) | instid1(VALU_DEP_2)
	s_or_b32 exec_lo, exec_lo, s10
	v_lshrrev_b32_e32 v112, 16, v11
	v_mov_b32_e32 v102, 0
	s_mov_b32 s10, exec_lo
	v_dual_mov_b32 v103, 0 :: v_dual_and_b32 v0, 0xff, v112
	s_delay_alu instid0(VALU_DEP_1)
	v_cmpx_ne_u16_e32 0, v0
	s_cbranch_execz .LBB365_1347
; %bb.1340:                             ;   in Loop: Header=BB365_927 Depth=1
	v_bfrev_b32_e32 v102, 1
	s_mov_b32 s12, exec_lo
	v_cmpx_ne_u16_e32 0x80, v0
	s_cbranch_execz .LBB365_1346
; %bb.1341:                             ;   in Loop: Header=BB365_927 Depth=1
	v_bfe_u32 v13, v11, 16, 7
	v_mov_b32_e32 v102, 0x7fc02000
	s_mov_b32 s13, exec_lo
	s_delay_alu instid0(VALU_DEP_2)
	v_cmpx_ne_u32_e32 0x7f, v13
	s_cbranch_execz .LBB365_1345
; %bb.1342:                             ;   in Loop: Header=BB365_927 Depth=1
	v_and_b32_e32 v0, 7, v112
	v_lshrrev_b32_e32 v102, 3, v13
	v_cmp_gt_u32_e64 s0, 8, v13
	s_delay_alu instid0(VALU_DEP_3) | instskip(NEXT) | instid1(VALU_DEP_2)
	v_dual_mov_b32 v14, v1 :: v_dual_mov_b32 v13, v0
	s_and_saveexec_b32 s15, s0
; %bb.1343:                             ;   in Loop: Header=BB365_927 Depth=1
	v_clz_i32_u32_e32 v13, v0
	s_delay_alu instid0(VALU_DEP_1) | instskip(NEXT) | instid1(VALU_DEP_1)
	v_min_u32_e32 v102, 32, v13
	v_subrev_nc_u32_e32 v13, 28, v102
	v_sub_nc_u32_e32 v102, 29, v102
	s_delay_alu instid0(VALU_DEP_2) | instskip(NEXT) | instid1(VALU_DEP_1)
	v_lshlrev_b64 v[13:14], v13, v[0:1]
	v_and_b32_e32 v13, 7, v13
; %bb.1344:                             ;   in Loop: Header=BB365_927 Depth=1
	s_or_b32 exec_lo, exec_lo, s15
	v_lshlrev_b32_e32 v0, 8, v112
	v_lshl_add_u32 v14, v102, 10, 0x2000
	s_delay_alu instid0(VALU_DEP_1) | instskip(NEXT) | instid1(VALU_DEP_1)
	v_and_or_b32 v0, 0x8000, v0, v14
	v_lshl_or_b32 v0, v13, 7, v0
	s_delay_alu instid0(VALU_DEP_1)
	v_cvt_f32_f16_e32 v102, v0
.LBB365_1345:                           ;   in Loop: Header=BB365_927 Depth=1
	s_or_b32 exec_lo, exec_lo, s13
.LBB365_1346:                           ;   in Loop: Header=BB365_927 Depth=1
	s_delay_alu instid0(SALU_CYCLE_1)
	s_or_b32 exec_lo, exec_lo, s12
.LBB365_1347:                           ;   in Loop: Header=BB365_927 Depth=1
	s_delay_alu instid0(SALU_CYCLE_1) | instskip(NEXT) | instid1(SALU_CYCLE_1)
	s_or_b32 exec_lo, exec_lo, s10
	s_mov_b32 s10, exec_lo
	v_cmpx_lt_u32_e32 0xffffff, v11
	s_cbranch_execz .LBB365_1355
; %bb.1348:                             ;   in Loop: Header=BB365_927 Depth=1
	v_lshrrev_b32_e32 v112, 24, v11
	v_bfrev_b32_e32 v103, 1
	s_mov_b32 s12, exec_lo
	s_delay_alu instid0(VALU_DEP_2)
	v_cmpx_ne_u32_e32 0x80, v112
	s_cbranch_execz .LBB365_1354
; %bb.1349:                             ;   in Loop: Header=BB365_927 Depth=1
	v_and_b32_e32 v13, 0x7f, v112
	v_mov_b32_e32 v103, 0x7fc02000
	s_mov_b32 s13, exec_lo
	s_delay_alu instid0(VALU_DEP_2)
	v_cmpx_ne_u32_e32 0x7f, v13
	s_cbranch_execz .LBB365_1353
; %bb.1350:                             ;   in Loop: Header=BB365_927 Depth=1
	v_and_b32_e32 v0, 7, v112
	v_lshrrev_b32_e32 v103, 3, v13
	v_cmp_gt_u32_e64 s0, 8, v13
	s_delay_alu instid0(VALU_DEP_3) | instskip(NEXT) | instid1(VALU_DEP_2)
	v_dual_mov_b32 v14, v1 :: v_dual_mov_b32 v13, v0
	s_and_saveexec_b32 s15, s0
; %bb.1351:                             ;   in Loop: Header=BB365_927 Depth=1
	v_clz_i32_u32_e32 v13, v0
	s_delay_alu instid0(VALU_DEP_1) | instskip(NEXT) | instid1(VALU_DEP_1)
	v_min_u32_e32 v103, 32, v13
	v_subrev_nc_u32_e32 v13, 28, v103
	v_sub_nc_u32_e32 v103, 29, v103
	s_delay_alu instid0(VALU_DEP_2) | instskip(NEXT) | instid1(VALU_DEP_1)
	v_lshlrev_b64 v[13:14], v13, v[0:1]
	v_and_b32_e32 v13, 7, v13
; %bb.1352:                             ;   in Loop: Header=BB365_927 Depth=1
	s_or_b32 exec_lo, exec_lo, s15
	v_lshlrev_b32_e32 v0, 8, v112
	v_lshl_add_u32 v14, v103, 10, 0x2000
	s_delay_alu instid0(VALU_DEP_1) | instskip(NEXT) | instid1(VALU_DEP_1)
	v_and_or_b32 v0, 0x8000, v0, v14
	v_lshl_or_b32 v0, v13, 7, v0
	s_delay_alu instid0(VALU_DEP_1)
	v_cvt_f32_f16_e32 v103, v0
.LBB365_1353:                           ;   in Loop: Header=BB365_927 Depth=1
	s_or_b32 exec_lo, exec_lo, s13
.LBB365_1354:                           ;   in Loop: Header=BB365_927 Depth=1
	s_delay_alu instid0(SALU_CYCLE_1)
	s_or_b32 exec_lo, exec_lo, s12
.LBB365_1355:                           ;   in Loop: Header=BB365_927 Depth=1
	s_delay_alu instid0(SALU_CYCLE_1) | instskip(SKIP_3) | instid1(VALU_DEP_2)
	s_or_b32 exec_lo, exec_lo, s10
	v_dual_mov_b32 v0, v12 :: v_dual_and_b32 v13, 0xff, v12
	v_dual_mov_b32 v113, 0 :: v_dual_mov_b32 v112, 0
	s_mov_b32 s10, exec_lo
	v_cmpx_ne_u16_e32 0, v13
	s_cbranch_execz .LBB365_1363
; %bb.1356:                             ;   in Loop: Header=BB365_927 Depth=1
	v_bfrev_b32_e32 v112, 1
	s_mov_b32 s12, exec_lo
	v_cmpx_ne_u16_e32 0x80, v13
	s_cbranch_execz .LBB365_1362
; %bb.1357:                             ;   in Loop: Header=BB365_927 Depth=1
	v_and_b32_e32 v13, 0x7f, v12
	v_mov_b32_e32 v112, 0x7fc02000
	s_mov_b32 s13, exec_lo
	s_delay_alu instid0(VALU_DEP_2)
	v_cmpx_ne_u32_e32 0x7f, v13
	s_cbranch_execz .LBB365_1361
; %bb.1358:                             ;   in Loop: Header=BB365_927 Depth=1
	v_lshrrev_b32_e32 v112, 3, v13
	v_cmp_gt_u32_e64 s0, 8, v13
	v_dual_mov_b32 v14, v1 :: v_dual_mov_b32 v13, v0
	s_delay_alu instid0(VALU_DEP_2)
	s_and_saveexec_b32 s15, s0
; %bb.1359:                             ;   in Loop: Header=BB365_927 Depth=1
	v_and_b32_e32 v13, 7, v12
	s_delay_alu instid0(VALU_DEP_1) | instskip(NEXT) | instid1(VALU_DEP_1)
	v_clz_i32_u32_e32 v13, v13
	v_min_u32_e32 v112, 32, v13
	s_delay_alu instid0(VALU_DEP_1) | instskip(SKIP_1) | instid1(VALU_DEP_2)
	v_subrev_nc_u32_e32 v13, 28, v112
	v_sub_nc_u32_e32 v112, 29, v112
	v_lshlrev_b64 v[13:14], v13, v[0:1]
; %bb.1360:                             ;   in Loop: Header=BB365_927 Depth=1
	s_or_b32 exec_lo, exec_lo, s15
	v_lshlrev_b32_e32 v14, 8, v12
	s_delay_alu instid0(VALU_DEP_3) | instskip(NEXT) | instid1(VALU_DEP_3)
	v_lshl_add_u32 v112, v112, 10, 0x2000
	v_lshlrev_b32_e32 v13, 7, v13
	s_delay_alu instid0(VALU_DEP_2) | instskip(NEXT) | instid1(VALU_DEP_1)
	v_and_or_b32 v14, 0x8000, v14, v112
	v_and_or_b32 v13, 0x380, v13, v14
	s_delay_alu instid0(VALU_DEP_1)
	v_cvt_f32_f16_e32 v112, v13
.LBB365_1361:                           ;   in Loop: Header=BB365_927 Depth=1
	s_or_b32 exec_lo, exec_lo, s13
.LBB365_1362:                           ;   in Loop: Header=BB365_927 Depth=1
	s_delay_alu instid0(SALU_CYCLE_1)
	s_or_b32 exec_lo, exec_lo, s12
.LBB365_1363:                           ;   in Loop: Header=BB365_927 Depth=1
	s_delay_alu instid0(SALU_CYCLE_1) | instskip(SKIP_2) | instid1(VALU_DEP_1)
	s_or_b32 exec_lo, exec_lo, s10
	v_lshrrev_b16 v0, 8, v0
	s_mov_b32 s10, exec_lo
	v_cmpx_ne_u16_e32 0, v0
	s_cbranch_execz .LBB365_1371
; %bb.1364:                             ;   in Loop: Header=BB365_927 Depth=1
	v_bfrev_b32_e32 v113, 1
	s_mov_b32 s12, exec_lo
	v_cmpx_ne_u16_e32 0x80, v0
	s_cbranch_execz .LBB365_1370
; %bb.1365:                             ;   in Loop: Header=BB365_927 Depth=1
	v_and_b32_e32 v114, 0xffff, v0
	v_mov_b32_e32 v113, 0x7fc02000
	s_mov_b32 s13, exec_lo
	s_delay_alu instid0(VALU_DEP_2) | instskip(NEXT) | instid1(VALU_DEP_1)
	v_and_b32_e32 v13, 0x7f, v114
	v_cmpx_ne_u32_e32 0x7f, v13
	s_cbranch_execz .LBB365_1369
; %bb.1366:                             ;   in Loop: Header=BB365_927 Depth=1
	v_and_b32_e32 v0, 7, v114
	v_lshrrev_b32_e32 v113, 3, v13
	v_cmp_gt_u32_e64 s0, 8, v13
	s_delay_alu instid0(VALU_DEP_3) | instskip(NEXT) | instid1(VALU_DEP_2)
	v_dual_mov_b32 v14, v1 :: v_dual_mov_b32 v13, v0
	s_and_saveexec_b32 s15, s0
; %bb.1367:                             ;   in Loop: Header=BB365_927 Depth=1
	v_clz_i32_u32_e32 v13, v0
	s_delay_alu instid0(VALU_DEP_1) | instskip(NEXT) | instid1(VALU_DEP_1)
	v_min_u32_e32 v113, 32, v13
	v_subrev_nc_u32_e32 v13, 28, v113
	v_sub_nc_u32_e32 v113, 29, v113
	s_delay_alu instid0(VALU_DEP_2) | instskip(NEXT) | instid1(VALU_DEP_1)
	v_lshlrev_b64 v[13:14], v13, v[0:1]
	v_and_b32_e32 v13, 7, v13
; %bb.1368:                             ;   in Loop: Header=BB365_927 Depth=1
	s_or_b32 exec_lo, exec_lo, s15
	v_lshlrev_b32_e32 v0, 8, v114
	v_lshl_add_u32 v14, v113, 10, 0x2000
	s_delay_alu instid0(VALU_DEP_1) | instskip(NEXT) | instid1(VALU_DEP_1)
	v_and_or_b32 v0, 0x8000, v0, v14
	v_lshl_or_b32 v0, v13, 7, v0
	s_delay_alu instid0(VALU_DEP_1)
	v_cvt_f32_f16_e32 v113, v0
.LBB365_1369:                           ;   in Loop: Header=BB365_927 Depth=1
	s_or_b32 exec_lo, exec_lo, s13
.LBB365_1370:                           ;   in Loop: Header=BB365_927 Depth=1
	s_delay_alu instid0(SALU_CYCLE_1)
	s_or_b32 exec_lo, exec_lo, s12
.LBB365_1371:                           ;   in Loop: Header=BB365_927 Depth=1
	s_delay_alu instid0(SALU_CYCLE_1) | instskip(SKIP_3) | instid1(VALU_DEP_2)
	s_or_b32 exec_lo, exec_lo, s10
	v_lshrrev_b32_e32 v115, 16, v12
	v_mov_b32_e32 v114, 0
	s_mov_b32 s10, exec_lo
	v_dual_mov_b32 v13, 0 :: v_dual_and_b32 v0, 0xff, v115
	s_delay_alu instid0(VALU_DEP_1)
	v_cmpx_ne_u16_e32 0, v0
	s_cbranch_execz .LBB365_1379
; %bb.1372:                             ;   in Loop: Header=BB365_927 Depth=1
	v_bfrev_b32_e32 v13, 1
	s_mov_b32 s12, exec_lo
	v_cmpx_ne_u16_e32 0x80, v0
	s_cbranch_execz .LBB365_1378
; %bb.1373:                             ;   in Loop: Header=BB365_927 Depth=1
	v_bfe_u32 v14, v12, 16, 7
	v_mov_b32_e32 v13, 0x7fc02000
	s_mov_b32 s13, exec_lo
	s_delay_alu instid0(VALU_DEP_2)
	v_cmpx_ne_u32_e32 0x7f, v14
	s_cbranch_execz .LBB365_1377
; %bb.1374:                             ;   in Loop: Header=BB365_927 Depth=1
	v_and_b32_e32 v0, 7, v115
	v_lshrrev_b32_e32 v116, 3, v14
	v_cmp_gt_u32_e64 s0, 8, v14
	s_delay_alu instid0(VALU_DEP_3) | instskip(NEXT) | instid1(VALU_DEP_2)
	v_dual_mov_b32 v14, v1 :: v_dual_mov_b32 v13, v0
	s_and_saveexec_b32 s15, s0
; %bb.1375:                             ;   in Loop: Header=BB365_927 Depth=1
	v_clz_i32_u32_e32 v13, v0
	s_delay_alu instid0(VALU_DEP_1) | instskip(NEXT) | instid1(VALU_DEP_1)
	v_min_u32_e32 v116, 32, v13
	v_subrev_nc_u32_e32 v13, 28, v116
	v_sub_nc_u32_e32 v116, 29, v116
	s_delay_alu instid0(VALU_DEP_2) | instskip(NEXT) | instid1(VALU_DEP_1)
	v_lshlrev_b64 v[13:14], v13, v[0:1]
	v_and_b32_e32 v13, 7, v13
; %bb.1376:                             ;   in Loop: Header=BB365_927 Depth=1
	s_or_b32 exec_lo, exec_lo, s15
	v_lshlrev_b32_e32 v0, 8, v115
	v_lshl_add_u32 v14, v116, 10, 0x2000
	s_delay_alu instid0(VALU_DEP_1) | instskip(NEXT) | instid1(VALU_DEP_1)
	v_and_or_b32 v0, 0x8000, v0, v14
	v_lshl_or_b32 v0, v13, 7, v0
	s_delay_alu instid0(VALU_DEP_1)
	v_cvt_f32_f16_e32 v13, v0
.LBB365_1377:                           ;   in Loop: Header=BB365_927 Depth=1
	s_or_b32 exec_lo, exec_lo, s13
.LBB365_1378:                           ;   in Loop: Header=BB365_927 Depth=1
	s_delay_alu instid0(SALU_CYCLE_1)
	s_or_b32 exec_lo, exec_lo, s12
.LBB365_1379:                           ;   in Loop: Header=BB365_927 Depth=1
	s_delay_alu instid0(SALU_CYCLE_1) | instskip(NEXT) | instid1(SALU_CYCLE_1)
	s_or_b32 exec_lo, exec_lo, s10
	s_mov_b32 s10, exec_lo
	v_cmpx_lt_u64_e64 s[8:9], v[11:12]
	s_cbranch_execz .LBB365_1387
; %bb.1380:                             ;   in Loop: Header=BB365_927 Depth=1
	v_lshrrev_b32_e32 v14, 24, v12
	v_bfrev_b32_e32 v114, 1
	s_mov_b32 s12, exec_lo
	s_delay_alu instid0(VALU_DEP_2)
	v_cmpx_ne_u32_e32 0x80, v14
	s_cbranch_execz .LBB365_1386
; %bb.1381:                             ;   in Loop: Header=BB365_927 Depth=1
	v_and_b32_e32 v11, 0x7f, v14
	v_mov_b32_e32 v114, 0x7fc02000
	s_mov_b32 s13, exec_lo
	s_delay_alu instid0(VALU_DEP_2)
	v_cmpx_ne_u32_e32 0x7f, v11
	s_cbranch_execz .LBB365_1385
; %bb.1382:                             ;   in Loop: Header=BB365_927 Depth=1
	v_and_b32_e32 v0, 7, v14
	v_lshrrev_b32_e32 v114, 3, v11
	v_cmp_gt_u32_e64 s0, 8, v11
	s_delay_alu instid0(VALU_DEP_3) | instskip(NEXT) | instid1(VALU_DEP_2)
	v_dual_mov_b32 v12, v1 :: v_dual_mov_b32 v11, v0
	s_and_saveexec_b32 s15, s0
; %bb.1383:                             ;   in Loop: Header=BB365_927 Depth=1
	v_clz_i32_u32_e32 v11, v0
	s_delay_alu instid0(VALU_DEP_1) | instskip(NEXT) | instid1(VALU_DEP_1)
	v_min_u32_e32 v114, 32, v11
	v_subrev_nc_u32_e32 v11, 28, v114
	v_sub_nc_u32_e32 v114, 29, v114
	s_delay_alu instid0(VALU_DEP_2) | instskip(NEXT) | instid1(VALU_DEP_1)
	v_lshlrev_b64 v[11:12], v11, v[0:1]
	v_and_b32_e32 v11, 7, v11
; %bb.1384:                             ;   in Loop: Header=BB365_927 Depth=1
	s_or_b32 exec_lo, exec_lo, s15
	v_lshlrev_b32_e32 v0, 8, v14
	v_lshl_add_u32 v12, v114, 10, 0x2000
	s_delay_alu instid0(VALU_DEP_1) | instskip(NEXT) | instid1(VALU_DEP_1)
	v_and_or_b32 v0, 0x8000, v0, v12
	v_lshl_or_b32 v0, v11, 7, v0
	s_delay_alu instid0(VALU_DEP_1)
	v_cvt_f32_f16_e32 v114, v0
.LBB365_1385:                           ;   in Loop: Header=BB365_927 Depth=1
	s_or_b32 exec_lo, exec_lo, s13
.LBB365_1386:                           ;   in Loop: Header=BB365_927 Depth=1
	s_delay_alu instid0(SALU_CYCLE_1)
	s_or_b32 exec_lo, exec_lo, s12
.LBB365_1387:                           ;   in Loop: Header=BB365_927 Depth=1
	s_delay_alu instid0(SALU_CYCLE_1)
	s_or_b32 exec_lo, exec_lo, s10
	s_waitcnt vmcnt(0) lgkmcnt(0)
	v_fma_mixlo_f16 v12, v99, v101, 0
	v_fma_mixlo_f16 v0, v99, v103, 0
	;; [unrolled: 1-line block ×5, first 2 shown]
	v_lshlrev_b32_e32 v14, 16, v12
	v_fma_mixlo_f16 v102, v99, v112, 0
	v_fma_mixlo_f16 v103, v99, v114, 0
	;; [unrolled: 1-line block ×3, first 2 shown]
	v_lshlrev_b32_e32 v0, 16, v0
	v_and_b32_e32 v11, 0xffff, v11
	v_and_b32_e32 v99, 0xffff, v100
	v_lshlrev_b32_e32 v100, 16, v101
	v_and_b32_e32 v101, 0xffff, v102
	v_lshlrev_b32_e32 v102, 16, v103
	v_and_b32_e32 v103, 0xffff, v12
	v_or_b32_e32 v13, v0, v11
	v_or_b32_e32 v14, v14, v99
	v_or_b32_e32 v0, v100, v101
	s_delay_alu instid0(VALU_DEP_4)
	v_or_b32_e32 v11, v102, v103
	s_and_saveexec_b32 s10, vcc_lo
	s_cbranch_execz .LBB365_1389
; %bb.1388:                             ;   in Loop: Header=BB365_927 Depth=1
	v_cmp_lt_i32_e64 s0, v15, v35
	v_lshrrev_b32_e32 v99, 16, v14
	v_lshrrev_b32_e32 v100, 16, v13
	;; [unrolled: 1-line block ×4, first 2 shown]
	v_cndmask_b32_e64 v14, 0, v14, s0
	v_cmp_lt_i32_e64 s0, v80, v48
	s_delay_alu instid0(VALU_DEP_1) | instskip(SKIP_1) | instid1(VALU_DEP_2)
	v_cndmask_b32_e64 v99, 0, v99, s0
	v_cmp_lt_i32_e64 s0, v69, v48
	v_perm_b32 v14, v99, v14, 0x5040100
	s_delay_alu instid0(VALU_DEP_2) | instskip(SKIP_1) | instid1(VALU_DEP_1)
	v_cndmask_b32_e64 v100, 0, v100, s0
	v_cmp_lt_i32_e64 s0, v64, v35
	v_cndmask_b32_e64 v13, 0, v13, s0
	v_cmp_lt_i32_e64 s0, v55, v48
	s_delay_alu instid0(VALU_DEP_2) | instskip(NEXT) | instid1(VALU_DEP_2)
	v_perm_b32 v13, v100, v13, 0x5040100
	v_cndmask_b32_e64 v101, 0, v101, s0
	v_cmp_lt_i32_e64 s0, v54, v35
	s_delay_alu instid0(VALU_DEP_1) | instskip(SKIP_1) | instid1(VALU_DEP_2)
	v_cndmask_b32_e64 v0, 0, v0, s0
	v_cmp_lt_i32_e64 s0, v38, v48
	v_perm_b32 v0, v101, v0, 0x5040100
	s_delay_alu instid0(VALU_DEP_2) | instskip(SKIP_1) | instid1(VALU_DEP_1)
	v_cndmask_b32_e64 v11, 0, v11, s0
	v_cmp_lt_i32_e64 s0, v17, v35
	v_cndmask_b32_e64 v12, 0, v12, s0
	s_delay_alu instid0(VALU_DEP_1)
	v_perm_b32 v11, v11, v12, 0x5040100
.LBB365_1389:                           ;   in Loop: Header=BB365_927 Depth=1
	s_or_b32 exec_lo, exec_lo, s10
	;;#ASMSTART
	v_pk_mul_f16 v12, v71, v14;

	;;#ASMEND
	;;#ASMSTART
	v_pk_mul_f16 v13, v68, v13;

	;;#ASMEND
	;; [unrolled: 4-line block ×4, first 2 shown]
	;;#ASMSTART
	v_pk_add_f16 v12, v12, v13;

	;;#ASMEND
	;;#ASMSTART
	v_pk_add_f16 v0, v12, v0;

	;;#ASMEND
	;; [unrolled: 4-line block ×3, first 2 shown]
	v_dual_mov_b32 v102, 0 :: v_dual_and_b32 v11, 0xffff, v0
	v_lshrrev_b32_e32 v0, 16, v0
	;;#ASMSTART
	v_cvt_f32_f16 v99, v11;
	;;#ASMEND
	;;#ASMSTART
	v_cvt_f32_f16 v100, v0;
	;;#ASMEND
	flat_load_b64 v[11:12], v[9:10] offset:1792
	flat_load_b32 v101, v[26:27]
	s_mov_b32 s10, exec_lo
	s_waitcnt vmcnt(1) lgkmcnt(1)
	v_dual_mov_b32 v103, 0 :: v_dual_and_b32 v0, 0xff, v11
	s_delay_alu instid0(VALU_DEP_1)
	v_cmpx_ne_u16_e32 0, v0
	s_cbranch_execz .LBB365_1397
; %bb.1390:                             ;   in Loop: Header=BB365_927 Depth=1
	v_bfrev_b32_e32 v102, 1
	s_mov_b32 s12, exec_lo
	v_cmpx_ne_u16_e32 0x80, v0
	s_cbranch_execz .LBB365_1396
; %bb.1391:                             ;   in Loop: Header=BB365_927 Depth=1
	v_and_b32_e32 v13, 0x7f, v11
	v_mov_b32_e32 v102, 0x7fc02000
	s_mov_b32 s13, exec_lo
	s_delay_alu instid0(VALU_DEP_2)
	v_cmpx_ne_u32_e32 0x7f, v13
	s_cbranch_execz .LBB365_1395
; %bb.1392:                             ;   in Loop: Header=BB365_927 Depth=1
	v_lshrrev_b32_e32 v0, 3, v13
	v_cmp_gt_u32_e64 s0, 8, v13
	v_dual_mov_b32 v14, v12 :: v_dual_mov_b32 v13, v11
	s_delay_alu instid0(VALU_DEP_2)
	s_and_saveexec_b32 s15, s0
; %bb.1393:                             ;   in Loop: Header=BB365_927 Depth=1
	v_and_b32_e32 v0, 7, v11
	s_delay_alu instid0(VALU_DEP_1) | instskip(NEXT) | instid1(VALU_DEP_1)
	v_clz_i32_u32_e32 v0, v0
	v_min_u32_e32 v0, 32, v0
	s_delay_alu instid0(VALU_DEP_1) | instskip(SKIP_1) | instid1(VALU_DEP_2)
	v_subrev_nc_u32_e32 v13, 28, v0
	v_sub_nc_u32_e32 v0, 29, v0
	v_lshlrev_b64 v[13:14], v13, v[11:12]
; %bb.1394:                             ;   in Loop: Header=BB365_927 Depth=1
	s_or_b32 exec_lo, exec_lo, s15
	v_lshlrev_b32_e32 v14, 8, v11
	s_delay_alu instid0(VALU_DEP_3) | instskip(NEXT) | instid1(VALU_DEP_3)
	v_lshl_add_u32 v0, v0, 10, 0x2000
	v_lshlrev_b32_e32 v13, 7, v13
	s_delay_alu instid0(VALU_DEP_2) | instskip(NEXT) | instid1(VALU_DEP_1)
	v_and_or_b32 v0, 0x8000, v14, v0
	v_and_or_b32 v0, 0x380, v13, v0
	s_delay_alu instid0(VALU_DEP_1)
	v_cvt_f32_f16_e32 v102, v0
.LBB365_1395:                           ;   in Loop: Header=BB365_927 Depth=1
	s_or_b32 exec_lo, exec_lo, s13
.LBB365_1396:                           ;   in Loop: Header=BB365_927 Depth=1
	s_delay_alu instid0(SALU_CYCLE_1)
	s_or_b32 exec_lo, exec_lo, s12
.LBB365_1397:                           ;   in Loop: Header=BB365_927 Depth=1
	s_delay_alu instid0(SALU_CYCLE_1) | instskip(SKIP_2) | instid1(VALU_DEP_1)
	s_or_b32 exec_lo, exec_lo, s10
	v_lshrrev_b16 v0, 8, v11
	s_mov_b32 s10, exec_lo
	v_cmpx_ne_u16_e32 0, v0
	s_cbranch_execz .LBB365_1405
; %bb.1398:                             ;   in Loop: Header=BB365_927 Depth=1
	v_bfrev_b32_e32 v103, 1
	s_mov_b32 s12, exec_lo
	v_cmpx_ne_u16_e32 0x80, v0
	s_cbranch_execz .LBB365_1404
; %bb.1399:                             ;   in Loop: Header=BB365_927 Depth=1
	v_and_b32_e32 v112, 0xffff, v0
	v_mov_b32_e32 v103, 0x7fc02000
	s_mov_b32 s13, exec_lo
	s_delay_alu instid0(VALU_DEP_2) | instskip(NEXT) | instid1(VALU_DEP_1)
	v_and_b32_e32 v13, 0x7f, v112
	v_cmpx_ne_u32_e32 0x7f, v13
	s_cbranch_execz .LBB365_1403
; %bb.1400:                             ;   in Loop: Header=BB365_927 Depth=1
	v_and_b32_e32 v0, 7, v112
	v_lshrrev_b32_e32 v103, 3, v13
	v_cmp_gt_u32_e64 s0, 8, v13
	s_delay_alu instid0(VALU_DEP_3) | instskip(NEXT) | instid1(VALU_DEP_2)
	v_dual_mov_b32 v14, v1 :: v_dual_mov_b32 v13, v0
	s_and_saveexec_b32 s15, s0
; %bb.1401:                             ;   in Loop: Header=BB365_927 Depth=1
	v_clz_i32_u32_e32 v13, v0
	s_delay_alu instid0(VALU_DEP_1) | instskip(NEXT) | instid1(VALU_DEP_1)
	v_min_u32_e32 v103, 32, v13
	v_subrev_nc_u32_e32 v13, 28, v103
	v_sub_nc_u32_e32 v103, 29, v103
	s_delay_alu instid0(VALU_DEP_2) | instskip(NEXT) | instid1(VALU_DEP_1)
	v_lshlrev_b64 v[13:14], v13, v[0:1]
	v_and_b32_e32 v13, 7, v13
; %bb.1402:                             ;   in Loop: Header=BB365_927 Depth=1
	s_or_b32 exec_lo, exec_lo, s15
	v_lshlrev_b32_e32 v0, 8, v112
	v_lshl_add_u32 v14, v103, 10, 0x2000
	s_delay_alu instid0(VALU_DEP_1) | instskip(NEXT) | instid1(VALU_DEP_1)
	v_and_or_b32 v0, 0x8000, v0, v14
	v_lshl_or_b32 v0, v13, 7, v0
	s_delay_alu instid0(VALU_DEP_1)
	v_cvt_f32_f16_e32 v103, v0
.LBB365_1403:                           ;   in Loop: Header=BB365_927 Depth=1
	s_or_b32 exec_lo, exec_lo, s13
.LBB365_1404:                           ;   in Loop: Header=BB365_927 Depth=1
	s_delay_alu instid0(SALU_CYCLE_1)
	s_or_b32 exec_lo, exec_lo, s12
.LBB365_1405:                           ;   in Loop: Header=BB365_927 Depth=1
	s_delay_alu instid0(SALU_CYCLE_1) | instskip(SKIP_3) | instid1(VALU_DEP_2)
	s_or_b32 exec_lo, exec_lo, s10
	v_lshrrev_b32_e32 v114, 16, v11
	v_mov_b32_e32 v112, 0
	s_mov_b32 s10, exec_lo
	v_dual_mov_b32 v113, 0 :: v_dual_and_b32 v0, 0xff, v114
	s_delay_alu instid0(VALU_DEP_1)
	v_cmpx_ne_u16_e32 0, v0
	s_cbranch_execz .LBB365_1413
; %bb.1406:                             ;   in Loop: Header=BB365_927 Depth=1
	v_bfrev_b32_e32 v112, 1
	s_mov_b32 s12, exec_lo
	v_cmpx_ne_u16_e32 0x80, v0
	s_cbranch_execz .LBB365_1412
; %bb.1407:                             ;   in Loop: Header=BB365_927 Depth=1
	v_bfe_u32 v13, v11, 16, 7
	v_mov_b32_e32 v112, 0x7fc02000
	s_mov_b32 s13, exec_lo
	s_delay_alu instid0(VALU_DEP_2)
	v_cmpx_ne_u32_e32 0x7f, v13
	s_cbranch_execz .LBB365_1411
; %bb.1408:                             ;   in Loop: Header=BB365_927 Depth=1
	v_and_b32_e32 v0, 7, v114
	v_lshrrev_b32_e32 v112, 3, v13
	v_cmp_gt_u32_e64 s0, 8, v13
	s_delay_alu instid0(VALU_DEP_3) | instskip(NEXT) | instid1(VALU_DEP_2)
	v_dual_mov_b32 v14, v1 :: v_dual_mov_b32 v13, v0
	s_and_saveexec_b32 s15, s0
; %bb.1409:                             ;   in Loop: Header=BB365_927 Depth=1
	v_clz_i32_u32_e32 v13, v0
	s_delay_alu instid0(VALU_DEP_1) | instskip(NEXT) | instid1(VALU_DEP_1)
	v_min_u32_e32 v112, 32, v13
	v_subrev_nc_u32_e32 v13, 28, v112
	v_sub_nc_u32_e32 v112, 29, v112
	s_delay_alu instid0(VALU_DEP_2) | instskip(NEXT) | instid1(VALU_DEP_1)
	v_lshlrev_b64 v[13:14], v13, v[0:1]
	v_and_b32_e32 v13, 7, v13
; %bb.1410:                             ;   in Loop: Header=BB365_927 Depth=1
	s_or_b32 exec_lo, exec_lo, s15
	v_lshlrev_b32_e32 v0, 8, v114
	v_lshl_add_u32 v14, v112, 10, 0x2000
	s_delay_alu instid0(VALU_DEP_1) | instskip(NEXT) | instid1(VALU_DEP_1)
	v_and_or_b32 v0, 0x8000, v0, v14
	v_lshl_or_b32 v0, v13, 7, v0
	s_delay_alu instid0(VALU_DEP_1)
	v_cvt_f32_f16_e32 v112, v0
.LBB365_1411:                           ;   in Loop: Header=BB365_927 Depth=1
	s_or_b32 exec_lo, exec_lo, s13
.LBB365_1412:                           ;   in Loop: Header=BB365_927 Depth=1
	s_delay_alu instid0(SALU_CYCLE_1)
	s_or_b32 exec_lo, exec_lo, s12
.LBB365_1413:                           ;   in Loop: Header=BB365_927 Depth=1
	s_delay_alu instid0(SALU_CYCLE_1) | instskip(NEXT) | instid1(SALU_CYCLE_1)
	s_or_b32 exec_lo, exec_lo, s10
	s_mov_b32 s10, exec_lo
	v_cmpx_lt_u32_e32 0xffffff, v11
	s_cbranch_execz .LBB365_1421
; %bb.1414:                             ;   in Loop: Header=BB365_927 Depth=1
	v_lshrrev_b32_e32 v114, 24, v11
	v_bfrev_b32_e32 v113, 1
	s_mov_b32 s12, exec_lo
	s_delay_alu instid0(VALU_DEP_2)
	v_cmpx_ne_u32_e32 0x80, v114
	s_cbranch_execz .LBB365_1420
; %bb.1415:                             ;   in Loop: Header=BB365_927 Depth=1
	v_and_b32_e32 v13, 0x7f, v114
	v_mov_b32_e32 v113, 0x7fc02000
	s_mov_b32 s13, exec_lo
	s_delay_alu instid0(VALU_DEP_2)
	v_cmpx_ne_u32_e32 0x7f, v13
	s_cbranch_execz .LBB365_1419
; %bb.1416:                             ;   in Loop: Header=BB365_927 Depth=1
	v_and_b32_e32 v0, 7, v114
	v_lshrrev_b32_e32 v113, 3, v13
	v_cmp_gt_u32_e64 s0, 8, v13
	s_delay_alu instid0(VALU_DEP_3) | instskip(NEXT) | instid1(VALU_DEP_2)
	v_dual_mov_b32 v14, v1 :: v_dual_mov_b32 v13, v0
	s_and_saveexec_b32 s15, s0
; %bb.1417:                             ;   in Loop: Header=BB365_927 Depth=1
	v_clz_i32_u32_e32 v13, v0
	s_delay_alu instid0(VALU_DEP_1) | instskip(NEXT) | instid1(VALU_DEP_1)
	v_min_u32_e32 v113, 32, v13
	v_subrev_nc_u32_e32 v13, 28, v113
	v_sub_nc_u32_e32 v113, 29, v113
	s_delay_alu instid0(VALU_DEP_2) | instskip(NEXT) | instid1(VALU_DEP_1)
	v_lshlrev_b64 v[13:14], v13, v[0:1]
	v_and_b32_e32 v13, 7, v13
; %bb.1418:                             ;   in Loop: Header=BB365_927 Depth=1
	s_or_b32 exec_lo, exec_lo, s15
	v_lshlrev_b32_e32 v0, 8, v114
	v_lshl_add_u32 v14, v113, 10, 0x2000
	s_delay_alu instid0(VALU_DEP_1) | instskip(NEXT) | instid1(VALU_DEP_1)
	v_and_or_b32 v0, 0x8000, v0, v14
	v_lshl_or_b32 v0, v13, 7, v0
	s_delay_alu instid0(VALU_DEP_1)
	v_cvt_f32_f16_e32 v113, v0
.LBB365_1419:                           ;   in Loop: Header=BB365_927 Depth=1
	s_or_b32 exec_lo, exec_lo, s13
.LBB365_1420:                           ;   in Loop: Header=BB365_927 Depth=1
	s_delay_alu instid0(SALU_CYCLE_1)
	s_or_b32 exec_lo, exec_lo, s12
.LBB365_1421:                           ;   in Loop: Header=BB365_927 Depth=1
	s_delay_alu instid0(SALU_CYCLE_1) | instskip(SKIP_3) | instid1(VALU_DEP_2)
	s_or_b32 exec_lo, exec_lo, s10
	v_dual_mov_b32 v0, v12 :: v_dual_and_b32 v13, 0xff, v12
	v_dual_mov_b32 v115, 0 :: v_dual_mov_b32 v114, 0
	s_mov_b32 s10, exec_lo
	v_cmpx_ne_u16_e32 0, v13
	s_cbranch_execz .LBB365_1429
; %bb.1422:                             ;   in Loop: Header=BB365_927 Depth=1
	v_bfrev_b32_e32 v114, 1
	s_mov_b32 s12, exec_lo
	v_cmpx_ne_u16_e32 0x80, v13
	s_cbranch_execz .LBB365_1428
; %bb.1423:                             ;   in Loop: Header=BB365_927 Depth=1
	v_and_b32_e32 v13, 0x7f, v12
	v_mov_b32_e32 v114, 0x7fc02000
	s_mov_b32 s13, exec_lo
	s_delay_alu instid0(VALU_DEP_2)
	v_cmpx_ne_u32_e32 0x7f, v13
	s_cbranch_execz .LBB365_1427
; %bb.1424:                             ;   in Loop: Header=BB365_927 Depth=1
	v_lshrrev_b32_e32 v114, 3, v13
	v_cmp_gt_u32_e64 s0, 8, v13
	v_dual_mov_b32 v14, v1 :: v_dual_mov_b32 v13, v0
	s_delay_alu instid0(VALU_DEP_2)
	s_and_saveexec_b32 s15, s0
; %bb.1425:                             ;   in Loop: Header=BB365_927 Depth=1
	v_and_b32_e32 v13, 7, v12
	s_delay_alu instid0(VALU_DEP_1) | instskip(NEXT) | instid1(VALU_DEP_1)
	v_clz_i32_u32_e32 v13, v13
	v_min_u32_e32 v114, 32, v13
	s_delay_alu instid0(VALU_DEP_1) | instskip(SKIP_1) | instid1(VALU_DEP_2)
	v_subrev_nc_u32_e32 v13, 28, v114
	v_sub_nc_u32_e32 v114, 29, v114
	v_lshlrev_b64 v[13:14], v13, v[0:1]
; %bb.1426:                             ;   in Loop: Header=BB365_927 Depth=1
	s_or_b32 exec_lo, exec_lo, s15
	v_lshlrev_b32_e32 v14, 8, v12
	s_delay_alu instid0(VALU_DEP_3) | instskip(NEXT) | instid1(VALU_DEP_3)
	v_lshl_add_u32 v114, v114, 10, 0x2000
	v_lshlrev_b32_e32 v13, 7, v13
	s_delay_alu instid0(VALU_DEP_2) | instskip(NEXT) | instid1(VALU_DEP_1)
	v_and_or_b32 v14, 0x8000, v14, v114
	v_and_or_b32 v13, 0x380, v13, v14
	s_delay_alu instid0(VALU_DEP_1)
	v_cvt_f32_f16_e32 v114, v13
.LBB365_1427:                           ;   in Loop: Header=BB365_927 Depth=1
	s_or_b32 exec_lo, exec_lo, s13
.LBB365_1428:                           ;   in Loop: Header=BB365_927 Depth=1
	s_delay_alu instid0(SALU_CYCLE_1)
	s_or_b32 exec_lo, exec_lo, s12
.LBB365_1429:                           ;   in Loop: Header=BB365_927 Depth=1
	s_delay_alu instid0(SALU_CYCLE_1) | instskip(SKIP_2) | instid1(VALU_DEP_1)
	s_or_b32 exec_lo, exec_lo, s10
	v_lshrrev_b16 v0, 8, v0
	s_mov_b32 s10, exec_lo
	v_cmpx_ne_u16_e32 0, v0
	s_cbranch_execz .LBB365_1437
; %bb.1430:                             ;   in Loop: Header=BB365_927 Depth=1
	v_bfrev_b32_e32 v115, 1
	s_mov_b32 s12, exec_lo
	v_cmpx_ne_u16_e32 0x80, v0
	s_cbranch_execz .LBB365_1436
; %bb.1431:                             ;   in Loop: Header=BB365_927 Depth=1
	v_and_b32_e32 v116, 0xffff, v0
	v_mov_b32_e32 v115, 0x7fc02000
	s_mov_b32 s13, exec_lo
	s_delay_alu instid0(VALU_DEP_2) | instskip(NEXT) | instid1(VALU_DEP_1)
	v_and_b32_e32 v13, 0x7f, v116
	v_cmpx_ne_u32_e32 0x7f, v13
	s_cbranch_execz .LBB365_1435
; %bb.1432:                             ;   in Loop: Header=BB365_927 Depth=1
	v_and_b32_e32 v0, 7, v116
	v_lshrrev_b32_e32 v115, 3, v13
	v_cmp_gt_u32_e64 s0, 8, v13
	s_delay_alu instid0(VALU_DEP_3) | instskip(NEXT) | instid1(VALU_DEP_2)
	v_dual_mov_b32 v14, v1 :: v_dual_mov_b32 v13, v0
	s_and_saveexec_b32 s15, s0
; %bb.1433:                             ;   in Loop: Header=BB365_927 Depth=1
	v_clz_i32_u32_e32 v13, v0
	s_delay_alu instid0(VALU_DEP_1) | instskip(NEXT) | instid1(VALU_DEP_1)
	v_min_u32_e32 v115, 32, v13
	v_subrev_nc_u32_e32 v13, 28, v115
	v_sub_nc_u32_e32 v115, 29, v115
	s_delay_alu instid0(VALU_DEP_2) | instskip(NEXT) | instid1(VALU_DEP_1)
	v_lshlrev_b64 v[13:14], v13, v[0:1]
	v_and_b32_e32 v13, 7, v13
; %bb.1434:                             ;   in Loop: Header=BB365_927 Depth=1
	s_or_b32 exec_lo, exec_lo, s15
	v_lshlrev_b32_e32 v0, 8, v116
	v_lshl_add_u32 v14, v115, 10, 0x2000
	s_delay_alu instid0(VALU_DEP_1) | instskip(NEXT) | instid1(VALU_DEP_1)
	v_and_or_b32 v0, 0x8000, v0, v14
	v_lshl_or_b32 v0, v13, 7, v0
	s_delay_alu instid0(VALU_DEP_1)
	v_cvt_f32_f16_e32 v115, v0
.LBB365_1435:                           ;   in Loop: Header=BB365_927 Depth=1
	s_or_b32 exec_lo, exec_lo, s13
.LBB365_1436:                           ;   in Loop: Header=BB365_927 Depth=1
	s_delay_alu instid0(SALU_CYCLE_1)
	s_or_b32 exec_lo, exec_lo, s12
.LBB365_1437:                           ;   in Loop: Header=BB365_927 Depth=1
	s_delay_alu instid0(SALU_CYCLE_1) | instskip(SKIP_3) | instid1(VALU_DEP_2)
	s_or_b32 exec_lo, exec_lo, s10
	v_lshrrev_b32_e32 v117, 16, v12
	v_mov_b32_e32 v116, 0
	s_mov_b32 s10, exec_lo
	v_dual_mov_b32 v13, 0 :: v_dual_and_b32 v0, 0xff, v117
	s_delay_alu instid0(VALU_DEP_1)
	v_cmpx_ne_u16_e32 0, v0
	s_cbranch_execz .LBB365_1445
; %bb.1438:                             ;   in Loop: Header=BB365_927 Depth=1
	v_bfrev_b32_e32 v13, 1
	s_mov_b32 s12, exec_lo
	v_cmpx_ne_u16_e32 0x80, v0
	s_cbranch_execz .LBB365_1444
; %bb.1439:                             ;   in Loop: Header=BB365_927 Depth=1
	v_bfe_u32 v14, v12, 16, 7
	v_mov_b32_e32 v13, 0x7fc02000
	s_mov_b32 s13, exec_lo
	s_delay_alu instid0(VALU_DEP_2)
	v_cmpx_ne_u32_e32 0x7f, v14
	s_cbranch_execz .LBB365_1443
; %bb.1440:                             ;   in Loop: Header=BB365_927 Depth=1
	v_and_b32_e32 v0, 7, v117
	v_lshrrev_b32_e32 v118, 3, v14
	v_cmp_gt_u32_e64 s0, 8, v14
	s_delay_alu instid0(VALU_DEP_3) | instskip(NEXT) | instid1(VALU_DEP_2)
	v_dual_mov_b32 v14, v1 :: v_dual_mov_b32 v13, v0
	s_and_saveexec_b32 s15, s0
; %bb.1441:                             ;   in Loop: Header=BB365_927 Depth=1
	v_clz_i32_u32_e32 v13, v0
	s_delay_alu instid0(VALU_DEP_1) | instskip(NEXT) | instid1(VALU_DEP_1)
	v_min_u32_e32 v118, 32, v13
	v_subrev_nc_u32_e32 v13, 28, v118
	v_sub_nc_u32_e32 v118, 29, v118
	s_delay_alu instid0(VALU_DEP_2) | instskip(NEXT) | instid1(VALU_DEP_1)
	v_lshlrev_b64 v[13:14], v13, v[0:1]
	v_and_b32_e32 v13, 7, v13
; %bb.1442:                             ;   in Loop: Header=BB365_927 Depth=1
	s_or_b32 exec_lo, exec_lo, s15
	v_lshlrev_b32_e32 v0, 8, v117
	v_lshl_add_u32 v14, v118, 10, 0x2000
	s_delay_alu instid0(VALU_DEP_1) | instskip(NEXT) | instid1(VALU_DEP_1)
	v_and_or_b32 v0, 0x8000, v0, v14
	v_lshl_or_b32 v0, v13, 7, v0
	s_delay_alu instid0(VALU_DEP_1)
	v_cvt_f32_f16_e32 v13, v0
.LBB365_1443:                           ;   in Loop: Header=BB365_927 Depth=1
	s_or_b32 exec_lo, exec_lo, s13
.LBB365_1444:                           ;   in Loop: Header=BB365_927 Depth=1
	s_delay_alu instid0(SALU_CYCLE_1)
	s_or_b32 exec_lo, exec_lo, s12
.LBB365_1445:                           ;   in Loop: Header=BB365_927 Depth=1
	s_delay_alu instid0(SALU_CYCLE_1) | instskip(NEXT) | instid1(SALU_CYCLE_1)
	s_or_b32 exec_lo, exec_lo, s10
	s_mov_b32 s10, exec_lo
	v_cmpx_lt_u64_e64 s[8:9], v[11:12]
	s_cbranch_execz .LBB365_1453
; %bb.1446:                             ;   in Loop: Header=BB365_927 Depth=1
	v_lshrrev_b32_e32 v14, 24, v12
	v_bfrev_b32_e32 v116, 1
	s_mov_b32 s12, exec_lo
	s_delay_alu instid0(VALU_DEP_2)
	v_cmpx_ne_u32_e32 0x80, v14
	s_cbranch_execz .LBB365_1452
; %bb.1447:                             ;   in Loop: Header=BB365_927 Depth=1
	v_and_b32_e32 v11, 0x7f, v14
	v_mov_b32_e32 v116, 0x7fc02000
	s_mov_b32 s13, exec_lo
	s_delay_alu instid0(VALU_DEP_2)
	v_cmpx_ne_u32_e32 0x7f, v11
	s_cbranch_execz .LBB365_1451
; %bb.1448:                             ;   in Loop: Header=BB365_927 Depth=1
	v_and_b32_e32 v0, 7, v14
	v_lshrrev_b32_e32 v116, 3, v11
	v_cmp_gt_u32_e64 s0, 8, v11
	s_delay_alu instid0(VALU_DEP_3) | instskip(NEXT) | instid1(VALU_DEP_2)
	v_dual_mov_b32 v12, v1 :: v_dual_mov_b32 v11, v0
	s_and_saveexec_b32 s15, s0
; %bb.1449:                             ;   in Loop: Header=BB365_927 Depth=1
	v_clz_i32_u32_e32 v11, v0
	s_delay_alu instid0(VALU_DEP_1) | instskip(NEXT) | instid1(VALU_DEP_1)
	v_min_u32_e32 v116, 32, v11
	v_subrev_nc_u32_e32 v11, 28, v116
	v_sub_nc_u32_e32 v116, 29, v116
	s_delay_alu instid0(VALU_DEP_2) | instskip(NEXT) | instid1(VALU_DEP_1)
	v_lshlrev_b64 v[11:12], v11, v[0:1]
	v_and_b32_e32 v11, 7, v11
; %bb.1450:                             ;   in Loop: Header=BB365_927 Depth=1
	s_or_b32 exec_lo, exec_lo, s15
	v_lshlrev_b32_e32 v0, 8, v14
	v_lshl_add_u32 v12, v116, 10, 0x2000
	s_delay_alu instid0(VALU_DEP_1) | instskip(NEXT) | instid1(VALU_DEP_1)
	v_and_or_b32 v0, 0x8000, v0, v12
	v_lshl_or_b32 v0, v11, 7, v0
	s_delay_alu instid0(VALU_DEP_1)
	v_cvt_f32_f16_e32 v116, v0
.LBB365_1451:                           ;   in Loop: Header=BB365_927 Depth=1
	s_or_b32 exec_lo, exec_lo, s13
.LBB365_1452:                           ;   in Loop: Header=BB365_927 Depth=1
	s_delay_alu instid0(SALU_CYCLE_1)
	s_or_b32 exec_lo, exec_lo, s12
.LBB365_1453:                           ;   in Loop: Header=BB365_927 Depth=1
	s_delay_alu instid0(SALU_CYCLE_1)
	s_or_b32 exec_lo, exec_lo, s10
	s_waitcnt vmcnt(0) lgkmcnt(0)
	v_fma_mixlo_f16 v12, v101, v103, 0
	v_fma_mixlo_f16 v0, v101, v113, 0
	;; [unrolled: 1-line block ×5, first 2 shown]
	v_lshlrev_b32_e32 v14, 16, v12
	v_fma_mixlo_f16 v112, v101, v114, 0
	v_fma_mixlo_f16 v113, v101, v116, 0
	;; [unrolled: 1-line block ×3, first 2 shown]
	v_lshlrev_b32_e32 v0, 16, v0
	v_and_b32_e32 v11, 0xffff, v11
	v_and_b32_e32 v101, 0xffff, v102
	v_lshlrev_b32_e32 v102, 16, v103
	v_and_b32_e32 v103, 0xffff, v112
	v_lshlrev_b32_e32 v112, 16, v113
	v_and_b32_e32 v113, 0xffff, v12
	v_or_b32_e32 v13, v0, v11
	v_or_b32_e32 v14, v14, v101
	;; [unrolled: 1-line block ×3, first 2 shown]
	s_delay_alu instid0(VALU_DEP_4)
	v_or_b32_e32 v11, v112, v113
	s_and_saveexec_b32 s10, vcc_lo
	s_cbranch_execz .LBB365_1455
; %bb.1454:                             ;   in Loop: Header=BB365_927 Depth=1
	v_cmp_lt_i32_e64 s0, v15, v35
	v_lshrrev_b32_e32 v101, 16, v14
	v_lshrrev_b32_e32 v102, 16, v13
	;; [unrolled: 1-line block ×4, first 2 shown]
	v_cndmask_b32_e64 v14, 0, v14, s0
	v_cmp_lt_i32_e64 s0, v80, v48
	s_delay_alu instid0(VALU_DEP_1) | instskip(SKIP_1) | instid1(VALU_DEP_2)
	v_cndmask_b32_e64 v101, 0, v101, s0
	v_cmp_lt_i32_e64 s0, v69, v48
	v_perm_b32 v14, v101, v14, 0x5040100
	s_delay_alu instid0(VALU_DEP_2) | instskip(SKIP_1) | instid1(VALU_DEP_1)
	v_cndmask_b32_e64 v102, 0, v102, s0
	v_cmp_lt_i32_e64 s0, v64, v35
	v_cndmask_b32_e64 v13, 0, v13, s0
	v_cmp_lt_i32_e64 s0, v55, v48
	s_delay_alu instid0(VALU_DEP_2) | instskip(NEXT) | instid1(VALU_DEP_2)
	v_perm_b32 v13, v102, v13, 0x5040100
	v_cndmask_b32_e64 v103, 0, v103, s0
	v_cmp_lt_i32_e64 s0, v54, v35
	s_delay_alu instid0(VALU_DEP_1) | instskip(SKIP_1) | instid1(VALU_DEP_2)
	v_cndmask_b32_e64 v0, 0, v0, s0
	v_cmp_lt_i32_e64 s0, v38, v48
	v_perm_b32 v0, v103, v0, 0x5040100
	s_delay_alu instid0(VALU_DEP_2) | instskip(SKIP_1) | instid1(VALU_DEP_1)
	v_cndmask_b32_e64 v11, 0, v11, s0
	v_cmp_lt_i32_e64 s0, v17, v35
	v_cndmask_b32_e64 v12, 0, v12, s0
	s_delay_alu instid0(VALU_DEP_1)
	v_perm_b32 v11, v11, v12, 0x5040100
.LBB365_1455:                           ;   in Loop: Header=BB365_927 Depth=1
	s_or_b32 exec_lo, exec_lo, s10
	;;#ASMSTART
	v_pk_mul_f16 v12, v71, v14;

	;;#ASMEND
	;;#ASMSTART
	v_pk_mul_f16 v13, v68, v13;

	;;#ASMEND
	;; [unrolled: 4-line block ×4, first 2 shown]
	;;#ASMSTART
	v_pk_add_f16 v12, v12, v13;

	;;#ASMEND
	;;#ASMSTART
	v_pk_add_f16 v0, v12, v0;

	;;#ASMEND
	;; [unrolled: 4-line block ×3, first 2 shown]
	v_dual_mov_b32 v112, 0 :: v_dual_and_b32 v11, 0xffff, v0
	v_lshrrev_b32_e32 v0, 16, v0
	;;#ASMSTART
	v_cvt_f32_f16 v101, v11;
	;;#ASMEND
	;;#ASMSTART
	v_cvt_f32_f16 v102, v0;
	;;#ASMEND
	flat_load_b64 v[11:12], v[9:10] offset:2048
	flat_load_b32 v103, v[26:27]
	s_mov_b32 s10, exec_lo
	s_waitcnt vmcnt(1) lgkmcnt(1)
	v_dual_mov_b32 v113, 0 :: v_dual_and_b32 v0, 0xff, v11
	s_delay_alu instid0(VALU_DEP_1)
	v_cmpx_ne_u16_e32 0, v0
	s_cbranch_execz .LBB365_1463
; %bb.1456:                             ;   in Loop: Header=BB365_927 Depth=1
	v_bfrev_b32_e32 v112, 1
	s_mov_b32 s12, exec_lo
	v_cmpx_ne_u16_e32 0x80, v0
	s_cbranch_execz .LBB365_1462
; %bb.1457:                             ;   in Loop: Header=BB365_927 Depth=1
	v_and_b32_e32 v13, 0x7f, v11
	v_mov_b32_e32 v112, 0x7fc02000
	s_mov_b32 s13, exec_lo
	s_delay_alu instid0(VALU_DEP_2)
	v_cmpx_ne_u32_e32 0x7f, v13
	s_cbranch_execz .LBB365_1461
; %bb.1458:                             ;   in Loop: Header=BB365_927 Depth=1
	v_lshrrev_b32_e32 v0, 3, v13
	v_cmp_gt_u32_e64 s0, 8, v13
	v_dual_mov_b32 v14, v12 :: v_dual_mov_b32 v13, v11
	s_delay_alu instid0(VALU_DEP_2)
	s_and_saveexec_b32 s15, s0
; %bb.1459:                             ;   in Loop: Header=BB365_927 Depth=1
	v_and_b32_e32 v0, 7, v11
	s_delay_alu instid0(VALU_DEP_1) | instskip(NEXT) | instid1(VALU_DEP_1)
	v_clz_i32_u32_e32 v0, v0
	v_min_u32_e32 v0, 32, v0
	s_delay_alu instid0(VALU_DEP_1) | instskip(SKIP_1) | instid1(VALU_DEP_2)
	v_subrev_nc_u32_e32 v13, 28, v0
	v_sub_nc_u32_e32 v0, 29, v0
	v_lshlrev_b64 v[13:14], v13, v[11:12]
; %bb.1460:                             ;   in Loop: Header=BB365_927 Depth=1
	s_or_b32 exec_lo, exec_lo, s15
	v_lshlrev_b32_e32 v14, 8, v11
	s_delay_alu instid0(VALU_DEP_3) | instskip(NEXT) | instid1(VALU_DEP_3)
	v_lshl_add_u32 v0, v0, 10, 0x2000
	v_lshlrev_b32_e32 v13, 7, v13
	s_delay_alu instid0(VALU_DEP_2) | instskip(NEXT) | instid1(VALU_DEP_1)
	v_and_or_b32 v0, 0x8000, v14, v0
	v_and_or_b32 v0, 0x380, v13, v0
	s_delay_alu instid0(VALU_DEP_1)
	v_cvt_f32_f16_e32 v112, v0
.LBB365_1461:                           ;   in Loop: Header=BB365_927 Depth=1
	s_or_b32 exec_lo, exec_lo, s13
.LBB365_1462:                           ;   in Loop: Header=BB365_927 Depth=1
	s_delay_alu instid0(SALU_CYCLE_1)
	s_or_b32 exec_lo, exec_lo, s12
.LBB365_1463:                           ;   in Loop: Header=BB365_927 Depth=1
	s_delay_alu instid0(SALU_CYCLE_1) | instskip(SKIP_2) | instid1(VALU_DEP_1)
	s_or_b32 exec_lo, exec_lo, s10
	v_lshrrev_b16 v0, 8, v11
	s_mov_b32 s10, exec_lo
	v_cmpx_ne_u16_e32 0, v0
	s_cbranch_execz .LBB365_1471
; %bb.1464:                             ;   in Loop: Header=BB365_927 Depth=1
	v_bfrev_b32_e32 v113, 1
	s_mov_b32 s12, exec_lo
	v_cmpx_ne_u16_e32 0x80, v0
	s_cbranch_execz .LBB365_1470
; %bb.1465:                             ;   in Loop: Header=BB365_927 Depth=1
	v_and_b32_e32 v114, 0xffff, v0
	v_mov_b32_e32 v113, 0x7fc02000
	s_mov_b32 s13, exec_lo
	s_delay_alu instid0(VALU_DEP_2) | instskip(NEXT) | instid1(VALU_DEP_1)
	v_and_b32_e32 v13, 0x7f, v114
	v_cmpx_ne_u32_e32 0x7f, v13
	s_cbranch_execz .LBB365_1469
; %bb.1466:                             ;   in Loop: Header=BB365_927 Depth=1
	v_and_b32_e32 v0, 7, v114
	v_lshrrev_b32_e32 v113, 3, v13
	v_cmp_gt_u32_e64 s0, 8, v13
	s_delay_alu instid0(VALU_DEP_3) | instskip(NEXT) | instid1(VALU_DEP_2)
	v_dual_mov_b32 v14, v1 :: v_dual_mov_b32 v13, v0
	s_and_saveexec_b32 s15, s0
; %bb.1467:                             ;   in Loop: Header=BB365_927 Depth=1
	v_clz_i32_u32_e32 v13, v0
	s_delay_alu instid0(VALU_DEP_1) | instskip(NEXT) | instid1(VALU_DEP_1)
	v_min_u32_e32 v113, 32, v13
	v_subrev_nc_u32_e32 v13, 28, v113
	v_sub_nc_u32_e32 v113, 29, v113
	s_delay_alu instid0(VALU_DEP_2) | instskip(NEXT) | instid1(VALU_DEP_1)
	v_lshlrev_b64 v[13:14], v13, v[0:1]
	v_and_b32_e32 v13, 7, v13
; %bb.1468:                             ;   in Loop: Header=BB365_927 Depth=1
	s_or_b32 exec_lo, exec_lo, s15
	v_lshlrev_b32_e32 v0, 8, v114
	v_lshl_add_u32 v14, v113, 10, 0x2000
	s_delay_alu instid0(VALU_DEP_1) | instskip(NEXT) | instid1(VALU_DEP_1)
	v_and_or_b32 v0, 0x8000, v0, v14
	v_lshl_or_b32 v0, v13, 7, v0
	s_delay_alu instid0(VALU_DEP_1)
	v_cvt_f32_f16_e32 v113, v0
.LBB365_1469:                           ;   in Loop: Header=BB365_927 Depth=1
	s_or_b32 exec_lo, exec_lo, s13
.LBB365_1470:                           ;   in Loop: Header=BB365_927 Depth=1
	s_delay_alu instid0(SALU_CYCLE_1)
	s_or_b32 exec_lo, exec_lo, s12
.LBB365_1471:                           ;   in Loop: Header=BB365_927 Depth=1
	s_delay_alu instid0(SALU_CYCLE_1) | instskip(SKIP_3) | instid1(VALU_DEP_2)
	s_or_b32 exec_lo, exec_lo, s10
	v_lshrrev_b32_e32 v116, 16, v11
	v_mov_b32_e32 v114, 0
	s_mov_b32 s10, exec_lo
	v_dual_mov_b32 v115, 0 :: v_dual_and_b32 v0, 0xff, v116
	s_delay_alu instid0(VALU_DEP_1)
	v_cmpx_ne_u16_e32 0, v0
	s_cbranch_execz .LBB365_1479
; %bb.1472:                             ;   in Loop: Header=BB365_927 Depth=1
	v_bfrev_b32_e32 v114, 1
	s_mov_b32 s12, exec_lo
	v_cmpx_ne_u16_e32 0x80, v0
	s_cbranch_execz .LBB365_1478
; %bb.1473:                             ;   in Loop: Header=BB365_927 Depth=1
	v_bfe_u32 v13, v11, 16, 7
	v_mov_b32_e32 v114, 0x7fc02000
	s_mov_b32 s13, exec_lo
	s_delay_alu instid0(VALU_DEP_2)
	v_cmpx_ne_u32_e32 0x7f, v13
	s_cbranch_execz .LBB365_1477
; %bb.1474:                             ;   in Loop: Header=BB365_927 Depth=1
	v_and_b32_e32 v0, 7, v116
	v_lshrrev_b32_e32 v114, 3, v13
	v_cmp_gt_u32_e64 s0, 8, v13
	s_delay_alu instid0(VALU_DEP_3) | instskip(NEXT) | instid1(VALU_DEP_2)
	v_dual_mov_b32 v14, v1 :: v_dual_mov_b32 v13, v0
	s_and_saveexec_b32 s15, s0
; %bb.1475:                             ;   in Loop: Header=BB365_927 Depth=1
	v_clz_i32_u32_e32 v13, v0
	s_delay_alu instid0(VALU_DEP_1) | instskip(NEXT) | instid1(VALU_DEP_1)
	v_min_u32_e32 v114, 32, v13
	v_subrev_nc_u32_e32 v13, 28, v114
	v_sub_nc_u32_e32 v114, 29, v114
	s_delay_alu instid0(VALU_DEP_2) | instskip(NEXT) | instid1(VALU_DEP_1)
	v_lshlrev_b64 v[13:14], v13, v[0:1]
	v_and_b32_e32 v13, 7, v13
; %bb.1476:                             ;   in Loop: Header=BB365_927 Depth=1
	s_or_b32 exec_lo, exec_lo, s15
	v_lshlrev_b32_e32 v0, 8, v116
	v_lshl_add_u32 v14, v114, 10, 0x2000
	s_delay_alu instid0(VALU_DEP_1) | instskip(NEXT) | instid1(VALU_DEP_1)
	v_and_or_b32 v0, 0x8000, v0, v14
	v_lshl_or_b32 v0, v13, 7, v0
	s_delay_alu instid0(VALU_DEP_1)
	v_cvt_f32_f16_e32 v114, v0
.LBB365_1477:                           ;   in Loop: Header=BB365_927 Depth=1
	s_or_b32 exec_lo, exec_lo, s13
.LBB365_1478:                           ;   in Loop: Header=BB365_927 Depth=1
	s_delay_alu instid0(SALU_CYCLE_1)
	s_or_b32 exec_lo, exec_lo, s12
.LBB365_1479:                           ;   in Loop: Header=BB365_927 Depth=1
	s_delay_alu instid0(SALU_CYCLE_1) | instskip(NEXT) | instid1(SALU_CYCLE_1)
	s_or_b32 exec_lo, exec_lo, s10
	s_mov_b32 s10, exec_lo
	v_cmpx_lt_u32_e32 0xffffff, v11
	s_cbranch_execz .LBB365_1487
; %bb.1480:                             ;   in Loop: Header=BB365_927 Depth=1
	v_lshrrev_b32_e32 v116, 24, v11
	v_bfrev_b32_e32 v115, 1
	s_mov_b32 s12, exec_lo
	s_delay_alu instid0(VALU_DEP_2)
	v_cmpx_ne_u32_e32 0x80, v116
	s_cbranch_execz .LBB365_1486
; %bb.1481:                             ;   in Loop: Header=BB365_927 Depth=1
	v_and_b32_e32 v13, 0x7f, v116
	v_mov_b32_e32 v115, 0x7fc02000
	s_mov_b32 s13, exec_lo
	s_delay_alu instid0(VALU_DEP_2)
	v_cmpx_ne_u32_e32 0x7f, v13
	s_cbranch_execz .LBB365_1485
; %bb.1482:                             ;   in Loop: Header=BB365_927 Depth=1
	v_and_b32_e32 v0, 7, v116
	v_lshrrev_b32_e32 v115, 3, v13
	v_cmp_gt_u32_e64 s0, 8, v13
	s_delay_alu instid0(VALU_DEP_3) | instskip(NEXT) | instid1(VALU_DEP_2)
	v_dual_mov_b32 v14, v1 :: v_dual_mov_b32 v13, v0
	s_and_saveexec_b32 s15, s0
; %bb.1483:                             ;   in Loop: Header=BB365_927 Depth=1
	v_clz_i32_u32_e32 v13, v0
	s_delay_alu instid0(VALU_DEP_1) | instskip(NEXT) | instid1(VALU_DEP_1)
	v_min_u32_e32 v115, 32, v13
	v_subrev_nc_u32_e32 v13, 28, v115
	v_sub_nc_u32_e32 v115, 29, v115
	s_delay_alu instid0(VALU_DEP_2) | instskip(NEXT) | instid1(VALU_DEP_1)
	v_lshlrev_b64 v[13:14], v13, v[0:1]
	v_and_b32_e32 v13, 7, v13
; %bb.1484:                             ;   in Loop: Header=BB365_927 Depth=1
	s_or_b32 exec_lo, exec_lo, s15
	v_lshlrev_b32_e32 v0, 8, v116
	v_lshl_add_u32 v14, v115, 10, 0x2000
	s_delay_alu instid0(VALU_DEP_1) | instskip(NEXT) | instid1(VALU_DEP_1)
	v_and_or_b32 v0, 0x8000, v0, v14
	v_lshl_or_b32 v0, v13, 7, v0
	s_delay_alu instid0(VALU_DEP_1)
	v_cvt_f32_f16_e32 v115, v0
.LBB365_1485:                           ;   in Loop: Header=BB365_927 Depth=1
	s_or_b32 exec_lo, exec_lo, s13
.LBB365_1486:                           ;   in Loop: Header=BB365_927 Depth=1
	s_delay_alu instid0(SALU_CYCLE_1)
	s_or_b32 exec_lo, exec_lo, s12
.LBB365_1487:                           ;   in Loop: Header=BB365_927 Depth=1
	s_delay_alu instid0(SALU_CYCLE_1) | instskip(SKIP_3) | instid1(VALU_DEP_2)
	s_or_b32 exec_lo, exec_lo, s10
	v_dual_mov_b32 v0, v12 :: v_dual_and_b32 v13, 0xff, v12
	v_dual_mov_b32 v117, 0 :: v_dual_mov_b32 v116, 0
	s_mov_b32 s10, exec_lo
	v_cmpx_ne_u16_e32 0, v13
	s_cbranch_execz .LBB365_1495
; %bb.1488:                             ;   in Loop: Header=BB365_927 Depth=1
	v_bfrev_b32_e32 v116, 1
	s_mov_b32 s12, exec_lo
	v_cmpx_ne_u16_e32 0x80, v13
	s_cbranch_execz .LBB365_1494
; %bb.1489:                             ;   in Loop: Header=BB365_927 Depth=1
	v_and_b32_e32 v13, 0x7f, v12
	v_mov_b32_e32 v116, 0x7fc02000
	s_mov_b32 s13, exec_lo
	s_delay_alu instid0(VALU_DEP_2)
	v_cmpx_ne_u32_e32 0x7f, v13
	s_cbranch_execz .LBB365_1493
; %bb.1490:                             ;   in Loop: Header=BB365_927 Depth=1
	v_lshrrev_b32_e32 v116, 3, v13
	v_cmp_gt_u32_e64 s0, 8, v13
	v_dual_mov_b32 v14, v1 :: v_dual_mov_b32 v13, v0
	s_delay_alu instid0(VALU_DEP_2)
	s_and_saveexec_b32 s15, s0
; %bb.1491:                             ;   in Loop: Header=BB365_927 Depth=1
	v_and_b32_e32 v13, 7, v12
	s_delay_alu instid0(VALU_DEP_1) | instskip(NEXT) | instid1(VALU_DEP_1)
	v_clz_i32_u32_e32 v13, v13
	v_min_u32_e32 v116, 32, v13
	s_delay_alu instid0(VALU_DEP_1) | instskip(SKIP_1) | instid1(VALU_DEP_2)
	v_subrev_nc_u32_e32 v13, 28, v116
	v_sub_nc_u32_e32 v116, 29, v116
	v_lshlrev_b64 v[13:14], v13, v[0:1]
; %bb.1492:                             ;   in Loop: Header=BB365_927 Depth=1
	s_or_b32 exec_lo, exec_lo, s15
	v_lshlrev_b32_e32 v14, 8, v12
	s_delay_alu instid0(VALU_DEP_3) | instskip(NEXT) | instid1(VALU_DEP_3)
	v_lshl_add_u32 v116, v116, 10, 0x2000
	v_lshlrev_b32_e32 v13, 7, v13
	s_delay_alu instid0(VALU_DEP_2) | instskip(NEXT) | instid1(VALU_DEP_1)
	v_and_or_b32 v14, 0x8000, v14, v116
	v_and_or_b32 v13, 0x380, v13, v14
	s_delay_alu instid0(VALU_DEP_1)
	v_cvt_f32_f16_e32 v116, v13
.LBB365_1493:                           ;   in Loop: Header=BB365_927 Depth=1
	s_or_b32 exec_lo, exec_lo, s13
.LBB365_1494:                           ;   in Loop: Header=BB365_927 Depth=1
	s_delay_alu instid0(SALU_CYCLE_1)
	s_or_b32 exec_lo, exec_lo, s12
.LBB365_1495:                           ;   in Loop: Header=BB365_927 Depth=1
	s_delay_alu instid0(SALU_CYCLE_1) | instskip(SKIP_2) | instid1(VALU_DEP_1)
	s_or_b32 exec_lo, exec_lo, s10
	v_lshrrev_b16 v0, 8, v0
	s_mov_b32 s10, exec_lo
	v_cmpx_ne_u16_e32 0, v0
	s_cbranch_execz .LBB365_1503
; %bb.1496:                             ;   in Loop: Header=BB365_927 Depth=1
	v_bfrev_b32_e32 v117, 1
	s_mov_b32 s12, exec_lo
	v_cmpx_ne_u16_e32 0x80, v0
	s_cbranch_execz .LBB365_1502
; %bb.1497:                             ;   in Loop: Header=BB365_927 Depth=1
	v_and_b32_e32 v118, 0xffff, v0
	v_mov_b32_e32 v117, 0x7fc02000
	s_mov_b32 s13, exec_lo
	s_delay_alu instid0(VALU_DEP_2) | instskip(NEXT) | instid1(VALU_DEP_1)
	v_and_b32_e32 v13, 0x7f, v118
	v_cmpx_ne_u32_e32 0x7f, v13
	s_cbranch_execz .LBB365_1501
; %bb.1498:                             ;   in Loop: Header=BB365_927 Depth=1
	v_and_b32_e32 v0, 7, v118
	v_lshrrev_b32_e32 v117, 3, v13
	v_cmp_gt_u32_e64 s0, 8, v13
	s_delay_alu instid0(VALU_DEP_3) | instskip(NEXT) | instid1(VALU_DEP_2)
	v_dual_mov_b32 v14, v1 :: v_dual_mov_b32 v13, v0
	s_and_saveexec_b32 s15, s0
; %bb.1499:                             ;   in Loop: Header=BB365_927 Depth=1
	v_clz_i32_u32_e32 v13, v0
	s_delay_alu instid0(VALU_DEP_1) | instskip(NEXT) | instid1(VALU_DEP_1)
	v_min_u32_e32 v117, 32, v13
	v_subrev_nc_u32_e32 v13, 28, v117
	v_sub_nc_u32_e32 v117, 29, v117
	s_delay_alu instid0(VALU_DEP_2) | instskip(NEXT) | instid1(VALU_DEP_1)
	v_lshlrev_b64 v[13:14], v13, v[0:1]
	v_and_b32_e32 v13, 7, v13
; %bb.1500:                             ;   in Loop: Header=BB365_927 Depth=1
	s_or_b32 exec_lo, exec_lo, s15
	v_lshlrev_b32_e32 v0, 8, v118
	v_lshl_add_u32 v14, v117, 10, 0x2000
	s_delay_alu instid0(VALU_DEP_1) | instskip(NEXT) | instid1(VALU_DEP_1)
	v_and_or_b32 v0, 0x8000, v0, v14
	v_lshl_or_b32 v0, v13, 7, v0
	s_delay_alu instid0(VALU_DEP_1)
	v_cvt_f32_f16_e32 v117, v0
.LBB365_1501:                           ;   in Loop: Header=BB365_927 Depth=1
	s_or_b32 exec_lo, exec_lo, s13
.LBB365_1502:                           ;   in Loop: Header=BB365_927 Depth=1
	s_delay_alu instid0(SALU_CYCLE_1)
	s_or_b32 exec_lo, exec_lo, s12
.LBB365_1503:                           ;   in Loop: Header=BB365_927 Depth=1
	s_delay_alu instid0(SALU_CYCLE_1) | instskip(SKIP_3) | instid1(VALU_DEP_2)
	s_or_b32 exec_lo, exec_lo, s10
	v_lshrrev_b32_e32 v119, 16, v12
	v_mov_b32_e32 v118, 0
	s_mov_b32 s10, exec_lo
	v_dual_mov_b32 v13, 0 :: v_dual_and_b32 v0, 0xff, v119
	s_delay_alu instid0(VALU_DEP_1)
	v_cmpx_ne_u16_e32 0, v0
	s_cbranch_execz .LBB365_1511
; %bb.1504:                             ;   in Loop: Header=BB365_927 Depth=1
	v_bfrev_b32_e32 v13, 1
	s_mov_b32 s12, exec_lo
	v_cmpx_ne_u16_e32 0x80, v0
	s_cbranch_execz .LBB365_1510
; %bb.1505:                             ;   in Loop: Header=BB365_927 Depth=1
	v_bfe_u32 v14, v12, 16, 7
	v_mov_b32_e32 v13, 0x7fc02000
	s_mov_b32 s13, exec_lo
	s_delay_alu instid0(VALU_DEP_2)
	v_cmpx_ne_u32_e32 0x7f, v14
	s_cbranch_execz .LBB365_1509
; %bb.1506:                             ;   in Loop: Header=BB365_927 Depth=1
	v_and_b32_e32 v0, 7, v119
	v_lshrrev_b32_e32 v128, 3, v14
	v_cmp_gt_u32_e64 s0, 8, v14
	s_delay_alu instid0(VALU_DEP_3) | instskip(NEXT) | instid1(VALU_DEP_2)
	v_dual_mov_b32 v14, v1 :: v_dual_mov_b32 v13, v0
	s_and_saveexec_b32 s15, s0
; %bb.1507:                             ;   in Loop: Header=BB365_927 Depth=1
	v_clz_i32_u32_e32 v13, v0
	s_delay_alu instid0(VALU_DEP_1) | instskip(NEXT) | instid1(VALU_DEP_1)
	v_min_u32_e32 v128, 32, v13
	v_subrev_nc_u32_e32 v13, 28, v128
	v_sub_nc_u32_e32 v128, 29, v128
	s_delay_alu instid0(VALU_DEP_2) | instskip(NEXT) | instid1(VALU_DEP_1)
	v_lshlrev_b64 v[13:14], v13, v[0:1]
	v_and_b32_e32 v13, 7, v13
; %bb.1508:                             ;   in Loop: Header=BB365_927 Depth=1
	s_or_b32 exec_lo, exec_lo, s15
	v_lshlrev_b32_e32 v0, 8, v119
	v_lshl_add_u32 v14, v128, 10, 0x2000
	s_delay_alu instid0(VALU_DEP_1) | instskip(NEXT) | instid1(VALU_DEP_1)
	v_and_or_b32 v0, 0x8000, v0, v14
	v_lshl_or_b32 v0, v13, 7, v0
	s_delay_alu instid0(VALU_DEP_1)
	v_cvt_f32_f16_e32 v13, v0
.LBB365_1509:                           ;   in Loop: Header=BB365_927 Depth=1
	s_or_b32 exec_lo, exec_lo, s13
.LBB365_1510:                           ;   in Loop: Header=BB365_927 Depth=1
	s_delay_alu instid0(SALU_CYCLE_1)
	s_or_b32 exec_lo, exec_lo, s12
.LBB365_1511:                           ;   in Loop: Header=BB365_927 Depth=1
	s_delay_alu instid0(SALU_CYCLE_1) | instskip(NEXT) | instid1(SALU_CYCLE_1)
	s_or_b32 exec_lo, exec_lo, s10
	s_mov_b32 s10, exec_lo
	v_cmpx_lt_u64_e64 s[8:9], v[11:12]
	s_cbranch_execz .LBB365_1519
; %bb.1512:                             ;   in Loop: Header=BB365_927 Depth=1
	v_lshrrev_b32_e32 v14, 24, v12
	v_bfrev_b32_e32 v118, 1
	s_mov_b32 s12, exec_lo
	s_delay_alu instid0(VALU_DEP_2)
	v_cmpx_ne_u32_e32 0x80, v14
	s_cbranch_execz .LBB365_1518
; %bb.1513:                             ;   in Loop: Header=BB365_927 Depth=1
	v_and_b32_e32 v11, 0x7f, v14
	v_mov_b32_e32 v118, 0x7fc02000
	s_mov_b32 s13, exec_lo
	s_delay_alu instid0(VALU_DEP_2)
	v_cmpx_ne_u32_e32 0x7f, v11
	s_cbranch_execz .LBB365_1517
; %bb.1514:                             ;   in Loop: Header=BB365_927 Depth=1
	v_and_b32_e32 v0, 7, v14
	v_lshrrev_b32_e32 v118, 3, v11
	v_cmp_gt_u32_e64 s0, 8, v11
	s_delay_alu instid0(VALU_DEP_3) | instskip(NEXT) | instid1(VALU_DEP_2)
	v_dual_mov_b32 v12, v1 :: v_dual_mov_b32 v11, v0
	s_and_saveexec_b32 s15, s0
; %bb.1515:                             ;   in Loop: Header=BB365_927 Depth=1
	v_clz_i32_u32_e32 v11, v0
	s_delay_alu instid0(VALU_DEP_1) | instskip(NEXT) | instid1(VALU_DEP_1)
	v_min_u32_e32 v118, 32, v11
	v_subrev_nc_u32_e32 v11, 28, v118
	v_sub_nc_u32_e32 v118, 29, v118
	s_delay_alu instid0(VALU_DEP_2) | instskip(NEXT) | instid1(VALU_DEP_1)
	v_lshlrev_b64 v[11:12], v11, v[0:1]
	v_and_b32_e32 v11, 7, v11
; %bb.1516:                             ;   in Loop: Header=BB365_927 Depth=1
	s_or_b32 exec_lo, exec_lo, s15
	v_lshlrev_b32_e32 v0, 8, v14
	v_lshl_add_u32 v12, v118, 10, 0x2000
	s_delay_alu instid0(VALU_DEP_1) | instskip(NEXT) | instid1(VALU_DEP_1)
	v_and_or_b32 v0, 0x8000, v0, v12
	v_lshl_or_b32 v0, v11, 7, v0
	s_delay_alu instid0(VALU_DEP_1)
	v_cvt_f32_f16_e32 v118, v0
.LBB365_1517:                           ;   in Loop: Header=BB365_927 Depth=1
	s_or_b32 exec_lo, exec_lo, s13
.LBB365_1518:                           ;   in Loop: Header=BB365_927 Depth=1
	s_delay_alu instid0(SALU_CYCLE_1)
	s_or_b32 exec_lo, exec_lo, s12
.LBB365_1519:                           ;   in Loop: Header=BB365_927 Depth=1
	s_delay_alu instid0(SALU_CYCLE_1)
	s_or_b32 exec_lo, exec_lo, s10
	s_waitcnt vmcnt(0) lgkmcnt(0)
	v_fma_mixlo_f16 v12, v103, v113, 0
	v_fma_mixlo_f16 v0, v103, v115, 0
	;; [unrolled: 1-line block ×5, first 2 shown]
	v_lshlrev_b32_e32 v14, 16, v12
	v_fma_mixlo_f16 v114, v103, v116, 0
	v_fma_mixlo_f16 v115, v103, v118, 0
	;; [unrolled: 1-line block ×3, first 2 shown]
	v_lshlrev_b32_e32 v0, 16, v0
	v_and_b32_e32 v11, 0xffff, v11
	v_and_b32_e32 v103, 0xffff, v112
	v_lshlrev_b32_e32 v112, 16, v113
	v_and_b32_e32 v113, 0xffff, v114
	v_lshlrev_b32_e32 v114, 16, v115
	v_and_b32_e32 v115, 0xffff, v12
	v_or_b32_e32 v13, v0, v11
	v_or_b32_e32 v14, v14, v103
	;; [unrolled: 1-line block ×3, first 2 shown]
	s_delay_alu instid0(VALU_DEP_4)
	v_or_b32_e32 v11, v114, v115
	s_and_saveexec_b32 s10, vcc_lo
	s_cbranch_execz .LBB365_1521
; %bb.1520:                             ;   in Loop: Header=BB365_927 Depth=1
	v_cmp_lt_i32_e64 s0, v15, v35
	v_lshrrev_b32_e32 v103, 16, v14
	v_lshrrev_b32_e32 v112, 16, v13
	;; [unrolled: 1-line block ×4, first 2 shown]
	v_cndmask_b32_e64 v14, 0, v14, s0
	v_cmp_lt_i32_e64 s0, v80, v48
	s_delay_alu instid0(VALU_DEP_1) | instskip(SKIP_1) | instid1(VALU_DEP_2)
	v_cndmask_b32_e64 v103, 0, v103, s0
	v_cmp_lt_i32_e64 s0, v69, v48
	v_perm_b32 v14, v103, v14, 0x5040100
	s_delay_alu instid0(VALU_DEP_2) | instskip(SKIP_1) | instid1(VALU_DEP_1)
	v_cndmask_b32_e64 v112, 0, v112, s0
	v_cmp_lt_i32_e64 s0, v64, v35
	v_cndmask_b32_e64 v13, 0, v13, s0
	v_cmp_lt_i32_e64 s0, v55, v48
	s_delay_alu instid0(VALU_DEP_2) | instskip(NEXT) | instid1(VALU_DEP_2)
	v_perm_b32 v13, v112, v13, 0x5040100
	v_cndmask_b32_e64 v113, 0, v113, s0
	v_cmp_lt_i32_e64 s0, v54, v35
	s_delay_alu instid0(VALU_DEP_1) | instskip(SKIP_1) | instid1(VALU_DEP_2)
	v_cndmask_b32_e64 v0, 0, v0, s0
	v_cmp_lt_i32_e64 s0, v38, v48
	v_perm_b32 v0, v113, v0, 0x5040100
	s_delay_alu instid0(VALU_DEP_2) | instskip(SKIP_1) | instid1(VALU_DEP_1)
	v_cndmask_b32_e64 v11, 0, v11, s0
	v_cmp_lt_i32_e64 s0, v17, v35
	v_cndmask_b32_e64 v12, 0, v12, s0
	s_delay_alu instid0(VALU_DEP_1)
	v_perm_b32 v11, v11, v12, 0x5040100
.LBB365_1521:                           ;   in Loop: Header=BB365_927 Depth=1
	s_or_b32 exec_lo, exec_lo, s10
	;;#ASMSTART
	v_pk_mul_f16 v12, v71, v14;

	;;#ASMEND
	;;#ASMSTART
	v_pk_mul_f16 v13, v68, v13;

	;;#ASMEND
	;; [unrolled: 4-line block ×4, first 2 shown]
	;;#ASMSTART
	v_pk_add_f16 v12, v12, v13;

	;;#ASMEND
	;;#ASMSTART
	v_pk_add_f16 v0, v12, v0;

	;;#ASMEND
	;; [unrolled: 4-line block ×3, first 2 shown]
	v_dual_mov_b32 v114, 0 :: v_dual_and_b32 v11, 0xffff, v0
	v_lshrrev_b32_e32 v0, 16, v0
	;;#ASMSTART
	v_cvt_f32_f16 v103, v11;
	;;#ASMEND
	;;#ASMSTART
	v_cvt_f32_f16 v112, v0;
	;;#ASMEND
	flat_load_b64 v[11:12], v[9:10] offset:2304
	flat_load_b32 v113, v[26:27]
	s_mov_b32 s10, exec_lo
	s_waitcnt vmcnt(1) lgkmcnt(1)
	v_dual_mov_b32 v115, 0 :: v_dual_and_b32 v0, 0xff, v11
	s_delay_alu instid0(VALU_DEP_1)
	v_cmpx_ne_u16_e32 0, v0
	s_cbranch_execz .LBB365_1529
; %bb.1522:                             ;   in Loop: Header=BB365_927 Depth=1
	v_bfrev_b32_e32 v114, 1
	s_mov_b32 s12, exec_lo
	v_cmpx_ne_u16_e32 0x80, v0
	s_cbranch_execz .LBB365_1528
; %bb.1523:                             ;   in Loop: Header=BB365_927 Depth=1
	v_and_b32_e32 v13, 0x7f, v11
	v_mov_b32_e32 v114, 0x7fc02000
	s_mov_b32 s13, exec_lo
	s_delay_alu instid0(VALU_DEP_2)
	v_cmpx_ne_u32_e32 0x7f, v13
	s_cbranch_execz .LBB365_1527
; %bb.1524:                             ;   in Loop: Header=BB365_927 Depth=1
	v_lshrrev_b32_e32 v0, 3, v13
	v_cmp_gt_u32_e64 s0, 8, v13
	v_dual_mov_b32 v14, v12 :: v_dual_mov_b32 v13, v11
	s_delay_alu instid0(VALU_DEP_2)
	s_and_saveexec_b32 s15, s0
; %bb.1525:                             ;   in Loop: Header=BB365_927 Depth=1
	v_and_b32_e32 v0, 7, v11
	s_delay_alu instid0(VALU_DEP_1) | instskip(NEXT) | instid1(VALU_DEP_1)
	v_clz_i32_u32_e32 v0, v0
	v_min_u32_e32 v0, 32, v0
	s_delay_alu instid0(VALU_DEP_1) | instskip(SKIP_1) | instid1(VALU_DEP_2)
	v_subrev_nc_u32_e32 v13, 28, v0
	v_sub_nc_u32_e32 v0, 29, v0
	v_lshlrev_b64 v[13:14], v13, v[11:12]
; %bb.1526:                             ;   in Loop: Header=BB365_927 Depth=1
	s_or_b32 exec_lo, exec_lo, s15
	v_lshlrev_b32_e32 v14, 8, v11
	s_delay_alu instid0(VALU_DEP_3) | instskip(NEXT) | instid1(VALU_DEP_3)
	v_lshl_add_u32 v0, v0, 10, 0x2000
	v_lshlrev_b32_e32 v13, 7, v13
	s_delay_alu instid0(VALU_DEP_2) | instskip(NEXT) | instid1(VALU_DEP_1)
	v_and_or_b32 v0, 0x8000, v14, v0
	v_and_or_b32 v0, 0x380, v13, v0
	s_delay_alu instid0(VALU_DEP_1)
	v_cvt_f32_f16_e32 v114, v0
.LBB365_1527:                           ;   in Loop: Header=BB365_927 Depth=1
	s_or_b32 exec_lo, exec_lo, s13
.LBB365_1528:                           ;   in Loop: Header=BB365_927 Depth=1
	s_delay_alu instid0(SALU_CYCLE_1)
	s_or_b32 exec_lo, exec_lo, s12
.LBB365_1529:                           ;   in Loop: Header=BB365_927 Depth=1
	s_delay_alu instid0(SALU_CYCLE_1) | instskip(SKIP_2) | instid1(VALU_DEP_1)
	s_or_b32 exec_lo, exec_lo, s10
	v_lshrrev_b16 v0, 8, v11
	s_mov_b32 s10, exec_lo
	v_cmpx_ne_u16_e32 0, v0
	s_cbranch_execz .LBB365_1537
; %bb.1530:                             ;   in Loop: Header=BB365_927 Depth=1
	v_bfrev_b32_e32 v115, 1
	s_mov_b32 s12, exec_lo
	v_cmpx_ne_u16_e32 0x80, v0
	s_cbranch_execz .LBB365_1536
; %bb.1531:                             ;   in Loop: Header=BB365_927 Depth=1
	v_and_b32_e32 v116, 0xffff, v0
	v_mov_b32_e32 v115, 0x7fc02000
	s_mov_b32 s13, exec_lo
	s_delay_alu instid0(VALU_DEP_2) | instskip(NEXT) | instid1(VALU_DEP_1)
	v_and_b32_e32 v13, 0x7f, v116
	v_cmpx_ne_u32_e32 0x7f, v13
	s_cbranch_execz .LBB365_1535
; %bb.1532:                             ;   in Loop: Header=BB365_927 Depth=1
	v_and_b32_e32 v0, 7, v116
	v_lshrrev_b32_e32 v115, 3, v13
	v_cmp_gt_u32_e64 s0, 8, v13
	s_delay_alu instid0(VALU_DEP_3) | instskip(NEXT) | instid1(VALU_DEP_2)
	v_dual_mov_b32 v14, v1 :: v_dual_mov_b32 v13, v0
	s_and_saveexec_b32 s15, s0
; %bb.1533:                             ;   in Loop: Header=BB365_927 Depth=1
	v_clz_i32_u32_e32 v13, v0
	s_delay_alu instid0(VALU_DEP_1) | instskip(NEXT) | instid1(VALU_DEP_1)
	v_min_u32_e32 v115, 32, v13
	v_subrev_nc_u32_e32 v13, 28, v115
	v_sub_nc_u32_e32 v115, 29, v115
	s_delay_alu instid0(VALU_DEP_2) | instskip(NEXT) | instid1(VALU_DEP_1)
	v_lshlrev_b64 v[13:14], v13, v[0:1]
	v_and_b32_e32 v13, 7, v13
; %bb.1534:                             ;   in Loop: Header=BB365_927 Depth=1
	s_or_b32 exec_lo, exec_lo, s15
	v_lshlrev_b32_e32 v0, 8, v116
	v_lshl_add_u32 v14, v115, 10, 0x2000
	s_delay_alu instid0(VALU_DEP_1) | instskip(NEXT) | instid1(VALU_DEP_1)
	v_and_or_b32 v0, 0x8000, v0, v14
	v_lshl_or_b32 v0, v13, 7, v0
	s_delay_alu instid0(VALU_DEP_1)
	v_cvt_f32_f16_e32 v115, v0
.LBB365_1535:                           ;   in Loop: Header=BB365_927 Depth=1
	s_or_b32 exec_lo, exec_lo, s13
.LBB365_1536:                           ;   in Loop: Header=BB365_927 Depth=1
	s_delay_alu instid0(SALU_CYCLE_1)
	s_or_b32 exec_lo, exec_lo, s12
.LBB365_1537:                           ;   in Loop: Header=BB365_927 Depth=1
	s_delay_alu instid0(SALU_CYCLE_1) | instskip(SKIP_3) | instid1(VALU_DEP_2)
	s_or_b32 exec_lo, exec_lo, s10
	v_lshrrev_b32_e32 v118, 16, v11
	v_mov_b32_e32 v116, 0
	s_mov_b32 s10, exec_lo
	v_dual_mov_b32 v117, 0 :: v_dual_and_b32 v0, 0xff, v118
	s_delay_alu instid0(VALU_DEP_1)
	v_cmpx_ne_u16_e32 0, v0
	s_cbranch_execz .LBB365_1545
; %bb.1538:                             ;   in Loop: Header=BB365_927 Depth=1
	v_bfrev_b32_e32 v116, 1
	s_mov_b32 s12, exec_lo
	v_cmpx_ne_u16_e32 0x80, v0
	s_cbranch_execz .LBB365_1544
; %bb.1539:                             ;   in Loop: Header=BB365_927 Depth=1
	v_bfe_u32 v13, v11, 16, 7
	v_mov_b32_e32 v116, 0x7fc02000
	s_mov_b32 s13, exec_lo
	s_delay_alu instid0(VALU_DEP_2)
	v_cmpx_ne_u32_e32 0x7f, v13
	s_cbranch_execz .LBB365_1543
; %bb.1540:                             ;   in Loop: Header=BB365_927 Depth=1
	v_and_b32_e32 v0, 7, v118
	v_lshrrev_b32_e32 v116, 3, v13
	v_cmp_gt_u32_e64 s0, 8, v13
	s_delay_alu instid0(VALU_DEP_3) | instskip(NEXT) | instid1(VALU_DEP_2)
	v_dual_mov_b32 v14, v1 :: v_dual_mov_b32 v13, v0
	s_and_saveexec_b32 s15, s0
; %bb.1541:                             ;   in Loop: Header=BB365_927 Depth=1
	v_clz_i32_u32_e32 v13, v0
	s_delay_alu instid0(VALU_DEP_1) | instskip(NEXT) | instid1(VALU_DEP_1)
	v_min_u32_e32 v116, 32, v13
	v_subrev_nc_u32_e32 v13, 28, v116
	v_sub_nc_u32_e32 v116, 29, v116
	s_delay_alu instid0(VALU_DEP_2) | instskip(NEXT) | instid1(VALU_DEP_1)
	v_lshlrev_b64 v[13:14], v13, v[0:1]
	v_and_b32_e32 v13, 7, v13
; %bb.1542:                             ;   in Loop: Header=BB365_927 Depth=1
	s_or_b32 exec_lo, exec_lo, s15
	v_lshlrev_b32_e32 v0, 8, v118
	v_lshl_add_u32 v14, v116, 10, 0x2000
	s_delay_alu instid0(VALU_DEP_1) | instskip(NEXT) | instid1(VALU_DEP_1)
	v_and_or_b32 v0, 0x8000, v0, v14
	v_lshl_or_b32 v0, v13, 7, v0
	s_delay_alu instid0(VALU_DEP_1)
	v_cvt_f32_f16_e32 v116, v0
.LBB365_1543:                           ;   in Loop: Header=BB365_927 Depth=1
	s_or_b32 exec_lo, exec_lo, s13
.LBB365_1544:                           ;   in Loop: Header=BB365_927 Depth=1
	s_delay_alu instid0(SALU_CYCLE_1)
	s_or_b32 exec_lo, exec_lo, s12
.LBB365_1545:                           ;   in Loop: Header=BB365_927 Depth=1
	s_delay_alu instid0(SALU_CYCLE_1) | instskip(NEXT) | instid1(SALU_CYCLE_1)
	s_or_b32 exec_lo, exec_lo, s10
	s_mov_b32 s10, exec_lo
	v_cmpx_lt_u32_e32 0xffffff, v11
	s_cbranch_execz .LBB365_1553
; %bb.1546:                             ;   in Loop: Header=BB365_927 Depth=1
	v_lshrrev_b32_e32 v118, 24, v11
	v_bfrev_b32_e32 v117, 1
	s_mov_b32 s12, exec_lo
	s_delay_alu instid0(VALU_DEP_2)
	v_cmpx_ne_u32_e32 0x80, v118
	s_cbranch_execz .LBB365_1552
; %bb.1547:                             ;   in Loop: Header=BB365_927 Depth=1
	v_and_b32_e32 v13, 0x7f, v118
	v_mov_b32_e32 v117, 0x7fc02000
	s_mov_b32 s13, exec_lo
	s_delay_alu instid0(VALU_DEP_2)
	v_cmpx_ne_u32_e32 0x7f, v13
	s_cbranch_execz .LBB365_1551
; %bb.1548:                             ;   in Loop: Header=BB365_927 Depth=1
	v_and_b32_e32 v0, 7, v118
	v_lshrrev_b32_e32 v117, 3, v13
	v_cmp_gt_u32_e64 s0, 8, v13
	s_delay_alu instid0(VALU_DEP_3) | instskip(NEXT) | instid1(VALU_DEP_2)
	v_dual_mov_b32 v14, v1 :: v_dual_mov_b32 v13, v0
	s_and_saveexec_b32 s15, s0
; %bb.1549:                             ;   in Loop: Header=BB365_927 Depth=1
	v_clz_i32_u32_e32 v13, v0
	s_delay_alu instid0(VALU_DEP_1) | instskip(NEXT) | instid1(VALU_DEP_1)
	v_min_u32_e32 v117, 32, v13
	v_subrev_nc_u32_e32 v13, 28, v117
	v_sub_nc_u32_e32 v117, 29, v117
	s_delay_alu instid0(VALU_DEP_2) | instskip(NEXT) | instid1(VALU_DEP_1)
	v_lshlrev_b64 v[13:14], v13, v[0:1]
	v_and_b32_e32 v13, 7, v13
; %bb.1550:                             ;   in Loop: Header=BB365_927 Depth=1
	s_or_b32 exec_lo, exec_lo, s15
	v_lshlrev_b32_e32 v0, 8, v118
	v_lshl_add_u32 v14, v117, 10, 0x2000
	s_delay_alu instid0(VALU_DEP_1) | instskip(NEXT) | instid1(VALU_DEP_1)
	v_and_or_b32 v0, 0x8000, v0, v14
	v_lshl_or_b32 v0, v13, 7, v0
	s_delay_alu instid0(VALU_DEP_1)
	v_cvt_f32_f16_e32 v117, v0
.LBB365_1551:                           ;   in Loop: Header=BB365_927 Depth=1
	s_or_b32 exec_lo, exec_lo, s13
.LBB365_1552:                           ;   in Loop: Header=BB365_927 Depth=1
	s_delay_alu instid0(SALU_CYCLE_1)
	s_or_b32 exec_lo, exec_lo, s12
.LBB365_1553:                           ;   in Loop: Header=BB365_927 Depth=1
	s_delay_alu instid0(SALU_CYCLE_1) | instskip(SKIP_3) | instid1(VALU_DEP_2)
	s_or_b32 exec_lo, exec_lo, s10
	v_dual_mov_b32 v0, v12 :: v_dual_and_b32 v13, 0xff, v12
	v_dual_mov_b32 v119, 0 :: v_dual_mov_b32 v118, 0
	s_mov_b32 s10, exec_lo
	v_cmpx_ne_u16_e32 0, v13
	s_cbranch_execz .LBB365_1561
; %bb.1554:                             ;   in Loop: Header=BB365_927 Depth=1
	v_bfrev_b32_e32 v118, 1
	s_mov_b32 s12, exec_lo
	v_cmpx_ne_u16_e32 0x80, v13
	s_cbranch_execz .LBB365_1560
; %bb.1555:                             ;   in Loop: Header=BB365_927 Depth=1
	v_and_b32_e32 v13, 0x7f, v12
	v_mov_b32_e32 v118, 0x7fc02000
	s_mov_b32 s13, exec_lo
	s_delay_alu instid0(VALU_DEP_2)
	v_cmpx_ne_u32_e32 0x7f, v13
	s_cbranch_execz .LBB365_1559
; %bb.1556:                             ;   in Loop: Header=BB365_927 Depth=1
	v_lshrrev_b32_e32 v118, 3, v13
	v_cmp_gt_u32_e64 s0, 8, v13
	v_dual_mov_b32 v14, v1 :: v_dual_mov_b32 v13, v0
	s_delay_alu instid0(VALU_DEP_2)
	s_and_saveexec_b32 s15, s0
; %bb.1557:                             ;   in Loop: Header=BB365_927 Depth=1
	v_and_b32_e32 v13, 7, v12
	s_delay_alu instid0(VALU_DEP_1) | instskip(NEXT) | instid1(VALU_DEP_1)
	v_clz_i32_u32_e32 v13, v13
	v_min_u32_e32 v118, 32, v13
	s_delay_alu instid0(VALU_DEP_1) | instskip(SKIP_1) | instid1(VALU_DEP_2)
	v_subrev_nc_u32_e32 v13, 28, v118
	v_sub_nc_u32_e32 v118, 29, v118
	v_lshlrev_b64 v[13:14], v13, v[0:1]
; %bb.1558:                             ;   in Loop: Header=BB365_927 Depth=1
	s_or_b32 exec_lo, exec_lo, s15
	v_lshlrev_b32_e32 v14, 8, v12
	s_delay_alu instid0(VALU_DEP_3) | instskip(NEXT) | instid1(VALU_DEP_3)
	v_lshl_add_u32 v118, v118, 10, 0x2000
	v_lshlrev_b32_e32 v13, 7, v13
	s_delay_alu instid0(VALU_DEP_2) | instskip(NEXT) | instid1(VALU_DEP_1)
	v_and_or_b32 v14, 0x8000, v14, v118
	v_and_or_b32 v13, 0x380, v13, v14
	s_delay_alu instid0(VALU_DEP_1)
	v_cvt_f32_f16_e32 v118, v13
.LBB365_1559:                           ;   in Loop: Header=BB365_927 Depth=1
	s_or_b32 exec_lo, exec_lo, s13
.LBB365_1560:                           ;   in Loop: Header=BB365_927 Depth=1
	s_delay_alu instid0(SALU_CYCLE_1)
	s_or_b32 exec_lo, exec_lo, s12
.LBB365_1561:                           ;   in Loop: Header=BB365_927 Depth=1
	s_delay_alu instid0(SALU_CYCLE_1) | instskip(SKIP_2) | instid1(VALU_DEP_1)
	s_or_b32 exec_lo, exec_lo, s10
	v_lshrrev_b16 v0, 8, v0
	s_mov_b32 s10, exec_lo
	v_cmpx_ne_u16_e32 0, v0
	s_cbranch_execz .LBB365_1569
; %bb.1562:                             ;   in Loop: Header=BB365_927 Depth=1
	v_bfrev_b32_e32 v119, 1
	s_mov_b32 s12, exec_lo
	v_cmpx_ne_u16_e32 0x80, v0
	s_cbranch_execz .LBB365_1568
; %bb.1563:                             ;   in Loop: Header=BB365_927 Depth=1
	v_and_b32_e32 v128, 0xffff, v0
	v_mov_b32_e32 v119, 0x7fc02000
	s_mov_b32 s13, exec_lo
	s_delay_alu instid0(VALU_DEP_2) | instskip(NEXT) | instid1(VALU_DEP_1)
	v_and_b32_e32 v13, 0x7f, v128
	v_cmpx_ne_u32_e32 0x7f, v13
	s_cbranch_execz .LBB365_1567
; %bb.1564:                             ;   in Loop: Header=BB365_927 Depth=1
	v_and_b32_e32 v0, 7, v128
	v_lshrrev_b32_e32 v119, 3, v13
	v_cmp_gt_u32_e64 s0, 8, v13
	s_delay_alu instid0(VALU_DEP_3) | instskip(NEXT) | instid1(VALU_DEP_2)
	v_dual_mov_b32 v14, v1 :: v_dual_mov_b32 v13, v0
	s_and_saveexec_b32 s15, s0
; %bb.1565:                             ;   in Loop: Header=BB365_927 Depth=1
	v_clz_i32_u32_e32 v13, v0
	s_delay_alu instid0(VALU_DEP_1) | instskip(NEXT) | instid1(VALU_DEP_1)
	v_min_u32_e32 v119, 32, v13
	v_subrev_nc_u32_e32 v13, 28, v119
	v_sub_nc_u32_e32 v119, 29, v119
	s_delay_alu instid0(VALU_DEP_2) | instskip(NEXT) | instid1(VALU_DEP_1)
	v_lshlrev_b64 v[13:14], v13, v[0:1]
	v_and_b32_e32 v13, 7, v13
; %bb.1566:                             ;   in Loop: Header=BB365_927 Depth=1
	s_or_b32 exec_lo, exec_lo, s15
	v_lshlrev_b32_e32 v0, 8, v128
	v_lshl_add_u32 v14, v119, 10, 0x2000
	s_delay_alu instid0(VALU_DEP_1) | instskip(NEXT) | instid1(VALU_DEP_1)
	v_and_or_b32 v0, 0x8000, v0, v14
	v_lshl_or_b32 v0, v13, 7, v0
	s_delay_alu instid0(VALU_DEP_1)
	v_cvt_f32_f16_e32 v119, v0
.LBB365_1567:                           ;   in Loop: Header=BB365_927 Depth=1
	s_or_b32 exec_lo, exec_lo, s13
.LBB365_1568:                           ;   in Loop: Header=BB365_927 Depth=1
	s_delay_alu instid0(SALU_CYCLE_1)
	s_or_b32 exec_lo, exec_lo, s12
.LBB365_1569:                           ;   in Loop: Header=BB365_927 Depth=1
	s_delay_alu instid0(SALU_CYCLE_1) | instskip(SKIP_3) | instid1(VALU_DEP_2)
	s_or_b32 exec_lo, exec_lo, s10
	v_lshrrev_b32_e32 v129, 16, v12
	v_mov_b32_e32 v128, 0
	s_mov_b32 s10, exec_lo
	v_dual_mov_b32 v13, 0 :: v_dual_and_b32 v0, 0xff, v129
	s_delay_alu instid0(VALU_DEP_1)
	v_cmpx_ne_u16_e32 0, v0
	s_cbranch_execz .LBB365_1577
; %bb.1570:                             ;   in Loop: Header=BB365_927 Depth=1
	v_bfrev_b32_e32 v13, 1
	s_mov_b32 s12, exec_lo
	v_cmpx_ne_u16_e32 0x80, v0
	s_cbranch_execz .LBB365_1576
; %bb.1571:                             ;   in Loop: Header=BB365_927 Depth=1
	v_bfe_u32 v14, v12, 16, 7
	v_mov_b32_e32 v13, 0x7fc02000
	s_mov_b32 s13, exec_lo
	s_delay_alu instid0(VALU_DEP_2)
	v_cmpx_ne_u32_e32 0x7f, v14
	s_cbranch_execz .LBB365_1575
; %bb.1572:                             ;   in Loop: Header=BB365_927 Depth=1
	v_and_b32_e32 v0, 7, v129
	v_lshrrev_b32_e32 v130, 3, v14
	v_cmp_gt_u32_e64 s0, 8, v14
	s_delay_alu instid0(VALU_DEP_3) | instskip(NEXT) | instid1(VALU_DEP_2)
	v_dual_mov_b32 v14, v1 :: v_dual_mov_b32 v13, v0
	s_and_saveexec_b32 s15, s0
; %bb.1573:                             ;   in Loop: Header=BB365_927 Depth=1
	v_clz_i32_u32_e32 v13, v0
	s_delay_alu instid0(VALU_DEP_1) | instskip(NEXT) | instid1(VALU_DEP_1)
	v_min_u32_e32 v130, 32, v13
	v_subrev_nc_u32_e32 v13, 28, v130
	v_sub_nc_u32_e32 v130, 29, v130
	s_delay_alu instid0(VALU_DEP_2) | instskip(NEXT) | instid1(VALU_DEP_1)
	v_lshlrev_b64 v[13:14], v13, v[0:1]
	v_and_b32_e32 v13, 7, v13
; %bb.1574:                             ;   in Loop: Header=BB365_927 Depth=1
	s_or_b32 exec_lo, exec_lo, s15
	v_lshlrev_b32_e32 v0, 8, v129
	v_lshl_add_u32 v14, v130, 10, 0x2000
	s_delay_alu instid0(VALU_DEP_1) | instskip(NEXT) | instid1(VALU_DEP_1)
	v_and_or_b32 v0, 0x8000, v0, v14
	v_lshl_or_b32 v0, v13, 7, v0
	s_delay_alu instid0(VALU_DEP_1)
	v_cvt_f32_f16_e32 v13, v0
.LBB365_1575:                           ;   in Loop: Header=BB365_927 Depth=1
	s_or_b32 exec_lo, exec_lo, s13
.LBB365_1576:                           ;   in Loop: Header=BB365_927 Depth=1
	s_delay_alu instid0(SALU_CYCLE_1)
	s_or_b32 exec_lo, exec_lo, s12
.LBB365_1577:                           ;   in Loop: Header=BB365_927 Depth=1
	s_delay_alu instid0(SALU_CYCLE_1) | instskip(NEXT) | instid1(SALU_CYCLE_1)
	s_or_b32 exec_lo, exec_lo, s10
	s_mov_b32 s10, exec_lo
	v_cmpx_lt_u64_e64 s[8:9], v[11:12]
	s_cbranch_execz .LBB365_1585
; %bb.1578:                             ;   in Loop: Header=BB365_927 Depth=1
	v_lshrrev_b32_e32 v14, 24, v12
	v_bfrev_b32_e32 v128, 1
	s_mov_b32 s12, exec_lo
	s_delay_alu instid0(VALU_DEP_2)
	v_cmpx_ne_u32_e32 0x80, v14
	s_cbranch_execz .LBB365_1584
; %bb.1579:                             ;   in Loop: Header=BB365_927 Depth=1
	v_and_b32_e32 v11, 0x7f, v14
	v_mov_b32_e32 v128, 0x7fc02000
	s_mov_b32 s13, exec_lo
	s_delay_alu instid0(VALU_DEP_2)
	v_cmpx_ne_u32_e32 0x7f, v11
	s_cbranch_execz .LBB365_1583
; %bb.1580:                             ;   in Loop: Header=BB365_927 Depth=1
	v_and_b32_e32 v0, 7, v14
	v_lshrrev_b32_e32 v128, 3, v11
	v_cmp_gt_u32_e64 s0, 8, v11
	s_delay_alu instid0(VALU_DEP_3) | instskip(NEXT) | instid1(VALU_DEP_2)
	v_dual_mov_b32 v12, v1 :: v_dual_mov_b32 v11, v0
	s_and_saveexec_b32 s15, s0
; %bb.1581:                             ;   in Loop: Header=BB365_927 Depth=1
	v_clz_i32_u32_e32 v11, v0
	s_delay_alu instid0(VALU_DEP_1) | instskip(NEXT) | instid1(VALU_DEP_1)
	v_min_u32_e32 v128, 32, v11
	v_subrev_nc_u32_e32 v11, 28, v128
	v_sub_nc_u32_e32 v128, 29, v128
	s_delay_alu instid0(VALU_DEP_2) | instskip(NEXT) | instid1(VALU_DEP_1)
	v_lshlrev_b64 v[11:12], v11, v[0:1]
	v_and_b32_e32 v11, 7, v11
; %bb.1582:                             ;   in Loop: Header=BB365_927 Depth=1
	s_or_b32 exec_lo, exec_lo, s15
	v_lshlrev_b32_e32 v0, 8, v14
	v_lshl_add_u32 v12, v128, 10, 0x2000
	s_delay_alu instid0(VALU_DEP_1) | instskip(NEXT) | instid1(VALU_DEP_1)
	v_and_or_b32 v0, 0x8000, v0, v12
	v_lshl_or_b32 v0, v11, 7, v0
	s_delay_alu instid0(VALU_DEP_1)
	v_cvt_f32_f16_e64 v128, v0
.LBB365_1583:                           ;   in Loop: Header=BB365_927 Depth=1
	s_or_b32 exec_lo, exec_lo, s13
.LBB365_1584:                           ;   in Loop: Header=BB365_927 Depth=1
	s_delay_alu instid0(SALU_CYCLE_1)
	s_or_b32 exec_lo, exec_lo, s12
.LBB365_1585:                           ;   in Loop: Header=BB365_927 Depth=1
	s_delay_alu instid0(SALU_CYCLE_1)
	s_or_b32 exec_lo, exec_lo, s10
	s_waitcnt vmcnt(0) lgkmcnt(0)
	v_fma_mixlo_f16 v12, v113, v115, 0
	v_fma_mixlo_f16 v0, v113, v117, 0
	;; [unrolled: 1-line block ×5, first 2 shown]
	v_lshlrev_b32_e32 v14, 16, v12
	v_fma_mixlo_f16 v116, v113, v118, 0
	v_fma_mixlo_f16 v117, v113, v128, 0
	;; [unrolled: 1-line block ×3, first 2 shown]
	v_lshlrev_b32_e32 v0, 16, v0
	v_and_b32_e32 v11, 0xffff, v11
	v_and_b32_e32 v113, 0xffff, v114
	v_lshlrev_b32_e32 v114, 16, v115
	v_and_b32_e32 v115, 0xffff, v116
	v_lshlrev_b32_e32 v116, 16, v117
	v_and_b32_e32 v117, 0xffff, v12
	v_or_b32_e32 v13, v0, v11
	v_or_b32_e32 v14, v14, v113
	;; [unrolled: 1-line block ×3, first 2 shown]
	s_delay_alu instid0(VALU_DEP_4)
	v_or_b32_e32 v11, v116, v117
	s_and_saveexec_b32 s10, vcc_lo
	s_cbranch_execz .LBB365_1587
; %bb.1586:                             ;   in Loop: Header=BB365_927 Depth=1
	v_cmp_lt_i32_e64 s0, v15, v35
	v_lshrrev_b32_e32 v113, 16, v14
	v_lshrrev_b32_e32 v114, 16, v13
	;; [unrolled: 1-line block ×4, first 2 shown]
	v_cndmask_b32_e64 v14, 0, v14, s0
	v_cmp_lt_i32_e64 s0, v80, v48
	s_delay_alu instid0(VALU_DEP_1) | instskip(SKIP_1) | instid1(VALU_DEP_2)
	v_cndmask_b32_e64 v113, 0, v113, s0
	v_cmp_lt_i32_e64 s0, v69, v48
	v_perm_b32 v14, v113, v14, 0x5040100
	s_delay_alu instid0(VALU_DEP_2) | instskip(SKIP_1) | instid1(VALU_DEP_1)
	v_cndmask_b32_e64 v114, 0, v114, s0
	v_cmp_lt_i32_e64 s0, v64, v35
	v_cndmask_b32_e64 v13, 0, v13, s0
	v_cmp_lt_i32_e64 s0, v55, v48
	s_delay_alu instid0(VALU_DEP_2) | instskip(NEXT) | instid1(VALU_DEP_2)
	v_perm_b32 v13, v114, v13, 0x5040100
	v_cndmask_b32_e64 v115, 0, v115, s0
	v_cmp_lt_i32_e64 s0, v54, v35
	s_delay_alu instid0(VALU_DEP_1) | instskip(SKIP_1) | instid1(VALU_DEP_2)
	v_cndmask_b32_e64 v0, 0, v0, s0
	v_cmp_lt_i32_e64 s0, v38, v48
	v_perm_b32 v0, v115, v0, 0x5040100
	s_delay_alu instid0(VALU_DEP_2) | instskip(SKIP_1) | instid1(VALU_DEP_1)
	v_cndmask_b32_e64 v11, 0, v11, s0
	v_cmp_lt_i32_e64 s0, v17, v35
	v_cndmask_b32_e64 v12, 0, v12, s0
	s_delay_alu instid0(VALU_DEP_1)
	v_perm_b32 v11, v11, v12, 0x5040100
.LBB365_1587:                           ;   in Loop: Header=BB365_927 Depth=1
	s_or_b32 exec_lo, exec_lo, s10
	;;#ASMSTART
	v_pk_mul_f16 v12, v71, v14;

	;;#ASMEND
	;;#ASMSTART
	v_pk_mul_f16 v13, v68, v13;

	;;#ASMEND
	;; [unrolled: 4-line block ×4, first 2 shown]
	;;#ASMSTART
	v_pk_add_f16 v12, v12, v13;

	;;#ASMEND
	;;#ASMSTART
	v_pk_add_f16 v0, v12, v0;

	;;#ASMEND
	;; [unrolled: 4-line block ×3, first 2 shown]
	v_dual_mov_b32 v116, 0 :: v_dual_and_b32 v11, 0xffff, v0
	v_lshrrev_b32_e32 v0, 16, v0
	;;#ASMSTART
	v_cvt_f32_f16 v113, v11;
	;;#ASMEND
	;;#ASMSTART
	v_cvt_f32_f16 v114, v0;
	;;#ASMEND
	flat_load_b64 v[11:12], v[9:10] offset:2560
	flat_load_b32 v115, v[26:27]
	s_mov_b32 s10, exec_lo
	s_waitcnt vmcnt(1) lgkmcnt(1)
	v_dual_mov_b32 v117, 0 :: v_dual_and_b32 v0, 0xff, v11
	s_delay_alu instid0(VALU_DEP_1)
	v_cmpx_ne_u16_e32 0, v0
	s_cbranch_execz .LBB365_1595
; %bb.1588:                             ;   in Loop: Header=BB365_927 Depth=1
	v_bfrev_b32_e32 v116, 1
	s_mov_b32 s12, exec_lo
	v_cmpx_ne_u16_e32 0x80, v0
	s_cbranch_execz .LBB365_1594
; %bb.1589:                             ;   in Loop: Header=BB365_927 Depth=1
	v_and_b32_e32 v13, 0x7f, v11
	v_mov_b32_e32 v116, 0x7fc02000
	s_mov_b32 s13, exec_lo
	s_delay_alu instid0(VALU_DEP_2)
	v_cmpx_ne_u32_e32 0x7f, v13
	s_cbranch_execz .LBB365_1593
; %bb.1590:                             ;   in Loop: Header=BB365_927 Depth=1
	v_lshrrev_b32_e32 v0, 3, v13
	v_cmp_gt_u32_e64 s0, 8, v13
	v_dual_mov_b32 v14, v12 :: v_dual_mov_b32 v13, v11
	s_delay_alu instid0(VALU_DEP_2)
	s_and_saveexec_b32 s15, s0
; %bb.1591:                             ;   in Loop: Header=BB365_927 Depth=1
	v_and_b32_e32 v0, 7, v11
	s_delay_alu instid0(VALU_DEP_1) | instskip(NEXT) | instid1(VALU_DEP_1)
	v_clz_i32_u32_e32 v0, v0
	v_min_u32_e32 v0, 32, v0
	s_delay_alu instid0(VALU_DEP_1) | instskip(SKIP_1) | instid1(VALU_DEP_2)
	v_subrev_nc_u32_e32 v13, 28, v0
	v_sub_nc_u32_e32 v0, 29, v0
	v_lshlrev_b64 v[13:14], v13, v[11:12]
; %bb.1592:                             ;   in Loop: Header=BB365_927 Depth=1
	s_or_b32 exec_lo, exec_lo, s15
	v_lshlrev_b32_e32 v14, 8, v11
	s_delay_alu instid0(VALU_DEP_3) | instskip(NEXT) | instid1(VALU_DEP_3)
	v_lshl_add_u32 v0, v0, 10, 0x2000
	v_lshlrev_b32_e32 v13, 7, v13
	s_delay_alu instid0(VALU_DEP_2) | instskip(NEXT) | instid1(VALU_DEP_1)
	v_and_or_b32 v0, 0x8000, v14, v0
	v_and_or_b32 v0, 0x380, v13, v0
	s_delay_alu instid0(VALU_DEP_1)
	v_cvt_f32_f16_e32 v116, v0
.LBB365_1593:                           ;   in Loop: Header=BB365_927 Depth=1
	s_or_b32 exec_lo, exec_lo, s13
.LBB365_1594:                           ;   in Loop: Header=BB365_927 Depth=1
	s_delay_alu instid0(SALU_CYCLE_1)
	s_or_b32 exec_lo, exec_lo, s12
.LBB365_1595:                           ;   in Loop: Header=BB365_927 Depth=1
	s_delay_alu instid0(SALU_CYCLE_1) | instskip(SKIP_2) | instid1(VALU_DEP_1)
	s_or_b32 exec_lo, exec_lo, s10
	v_lshrrev_b16 v0, 8, v11
	s_mov_b32 s10, exec_lo
	v_cmpx_ne_u16_e32 0, v0
	s_cbranch_execz .LBB365_1603
; %bb.1596:                             ;   in Loop: Header=BB365_927 Depth=1
	v_bfrev_b32_e32 v117, 1
	s_mov_b32 s12, exec_lo
	v_cmpx_ne_u16_e32 0x80, v0
	s_cbranch_execz .LBB365_1602
; %bb.1597:                             ;   in Loop: Header=BB365_927 Depth=1
	v_and_b32_e32 v118, 0xffff, v0
	v_mov_b32_e32 v117, 0x7fc02000
	s_mov_b32 s13, exec_lo
	s_delay_alu instid0(VALU_DEP_2) | instskip(NEXT) | instid1(VALU_DEP_1)
	v_and_b32_e32 v13, 0x7f, v118
	v_cmpx_ne_u32_e32 0x7f, v13
	s_cbranch_execz .LBB365_1601
; %bb.1598:                             ;   in Loop: Header=BB365_927 Depth=1
	v_and_b32_e32 v0, 7, v118
	v_lshrrev_b32_e32 v117, 3, v13
	v_cmp_gt_u32_e64 s0, 8, v13
	s_delay_alu instid0(VALU_DEP_3) | instskip(NEXT) | instid1(VALU_DEP_2)
	v_dual_mov_b32 v14, v1 :: v_dual_mov_b32 v13, v0
	s_and_saveexec_b32 s15, s0
; %bb.1599:                             ;   in Loop: Header=BB365_927 Depth=1
	v_clz_i32_u32_e32 v13, v0
	s_delay_alu instid0(VALU_DEP_1) | instskip(NEXT) | instid1(VALU_DEP_1)
	v_min_u32_e32 v117, 32, v13
	v_subrev_nc_u32_e32 v13, 28, v117
	v_sub_nc_u32_e32 v117, 29, v117
	s_delay_alu instid0(VALU_DEP_2) | instskip(NEXT) | instid1(VALU_DEP_1)
	v_lshlrev_b64 v[13:14], v13, v[0:1]
	v_and_b32_e32 v13, 7, v13
; %bb.1600:                             ;   in Loop: Header=BB365_927 Depth=1
	s_or_b32 exec_lo, exec_lo, s15
	v_lshlrev_b32_e32 v0, 8, v118
	v_lshl_add_u32 v14, v117, 10, 0x2000
	s_delay_alu instid0(VALU_DEP_1) | instskip(NEXT) | instid1(VALU_DEP_1)
	v_and_or_b32 v0, 0x8000, v0, v14
	v_lshl_or_b32 v0, v13, 7, v0
	s_delay_alu instid0(VALU_DEP_1)
	v_cvt_f32_f16_e32 v117, v0
.LBB365_1601:                           ;   in Loop: Header=BB365_927 Depth=1
	s_or_b32 exec_lo, exec_lo, s13
.LBB365_1602:                           ;   in Loop: Header=BB365_927 Depth=1
	s_delay_alu instid0(SALU_CYCLE_1)
	s_or_b32 exec_lo, exec_lo, s12
.LBB365_1603:                           ;   in Loop: Header=BB365_927 Depth=1
	s_delay_alu instid0(SALU_CYCLE_1) | instskip(SKIP_3) | instid1(VALU_DEP_2)
	s_or_b32 exec_lo, exec_lo, s10
	v_lshrrev_b32_e32 v128, 16, v11
	v_mov_b32_e32 v118, 0
	s_mov_b32 s10, exec_lo
	v_dual_mov_b32 v119, 0 :: v_dual_and_b32 v0, 0xff, v128
	s_delay_alu instid0(VALU_DEP_1)
	v_cmpx_ne_u16_e32 0, v0
	s_cbranch_execz .LBB365_1611
; %bb.1604:                             ;   in Loop: Header=BB365_927 Depth=1
	v_bfrev_b32_e32 v118, 1
	s_mov_b32 s12, exec_lo
	v_cmpx_ne_u16_e32 0x80, v0
	s_cbranch_execz .LBB365_1610
; %bb.1605:                             ;   in Loop: Header=BB365_927 Depth=1
	v_bfe_u32 v13, v11, 16, 7
	v_mov_b32_e32 v118, 0x7fc02000
	s_mov_b32 s13, exec_lo
	s_delay_alu instid0(VALU_DEP_2)
	v_cmpx_ne_u32_e32 0x7f, v13
	s_cbranch_execz .LBB365_1609
; %bb.1606:                             ;   in Loop: Header=BB365_927 Depth=1
	v_and_b32_e32 v0, 7, v128
	v_lshrrev_b32_e32 v118, 3, v13
	v_cmp_gt_u32_e64 s0, 8, v13
	s_delay_alu instid0(VALU_DEP_3) | instskip(NEXT) | instid1(VALU_DEP_2)
	v_dual_mov_b32 v14, v1 :: v_dual_mov_b32 v13, v0
	s_and_saveexec_b32 s15, s0
; %bb.1607:                             ;   in Loop: Header=BB365_927 Depth=1
	v_clz_i32_u32_e32 v13, v0
	s_delay_alu instid0(VALU_DEP_1) | instskip(NEXT) | instid1(VALU_DEP_1)
	v_min_u32_e32 v118, 32, v13
	v_subrev_nc_u32_e32 v13, 28, v118
	v_sub_nc_u32_e32 v118, 29, v118
	s_delay_alu instid0(VALU_DEP_2) | instskip(NEXT) | instid1(VALU_DEP_1)
	v_lshlrev_b64 v[13:14], v13, v[0:1]
	v_and_b32_e32 v13, 7, v13
; %bb.1608:                             ;   in Loop: Header=BB365_927 Depth=1
	s_or_b32 exec_lo, exec_lo, s15
	v_lshlrev_b32_e32 v0, 8, v128
	v_lshl_add_u32 v14, v118, 10, 0x2000
	s_delay_alu instid0(VALU_DEP_1) | instskip(NEXT) | instid1(VALU_DEP_1)
	v_and_or_b32 v0, 0x8000, v0, v14
	v_lshl_or_b32 v0, v13, 7, v0
	s_delay_alu instid0(VALU_DEP_1)
	v_cvt_f32_f16_e32 v118, v0
.LBB365_1609:                           ;   in Loop: Header=BB365_927 Depth=1
	s_or_b32 exec_lo, exec_lo, s13
.LBB365_1610:                           ;   in Loop: Header=BB365_927 Depth=1
	s_delay_alu instid0(SALU_CYCLE_1)
	s_or_b32 exec_lo, exec_lo, s12
.LBB365_1611:                           ;   in Loop: Header=BB365_927 Depth=1
	s_delay_alu instid0(SALU_CYCLE_1) | instskip(NEXT) | instid1(SALU_CYCLE_1)
	s_or_b32 exec_lo, exec_lo, s10
	s_mov_b32 s10, exec_lo
	v_cmpx_lt_u32_e32 0xffffff, v11
	s_cbranch_execz .LBB365_1619
; %bb.1612:                             ;   in Loop: Header=BB365_927 Depth=1
	v_lshrrev_b32_e32 v128, 24, v11
	v_bfrev_b32_e32 v119, 1
	s_mov_b32 s12, exec_lo
	s_delay_alu instid0(VALU_DEP_2)
	v_cmpx_ne_u32_e32 0x80, v128
	s_cbranch_execz .LBB365_1618
; %bb.1613:                             ;   in Loop: Header=BB365_927 Depth=1
	v_and_b32_e32 v13, 0x7f, v128
	v_mov_b32_e32 v119, 0x7fc02000
	s_mov_b32 s13, exec_lo
	s_delay_alu instid0(VALU_DEP_2)
	v_cmpx_ne_u32_e32 0x7f, v13
	s_cbranch_execz .LBB365_1617
; %bb.1614:                             ;   in Loop: Header=BB365_927 Depth=1
	v_and_b32_e32 v0, 7, v128
	v_lshrrev_b32_e32 v119, 3, v13
	v_cmp_gt_u32_e64 s0, 8, v13
	s_delay_alu instid0(VALU_DEP_3) | instskip(NEXT) | instid1(VALU_DEP_2)
	v_dual_mov_b32 v14, v1 :: v_dual_mov_b32 v13, v0
	s_and_saveexec_b32 s15, s0
; %bb.1615:                             ;   in Loop: Header=BB365_927 Depth=1
	v_clz_i32_u32_e32 v13, v0
	s_delay_alu instid0(VALU_DEP_1) | instskip(NEXT) | instid1(VALU_DEP_1)
	v_min_u32_e32 v119, 32, v13
	v_subrev_nc_u32_e32 v13, 28, v119
	v_sub_nc_u32_e32 v119, 29, v119
	s_delay_alu instid0(VALU_DEP_2) | instskip(NEXT) | instid1(VALU_DEP_1)
	v_lshlrev_b64 v[13:14], v13, v[0:1]
	v_and_b32_e32 v13, 7, v13
; %bb.1616:                             ;   in Loop: Header=BB365_927 Depth=1
	s_or_b32 exec_lo, exec_lo, s15
	v_lshlrev_b32_e32 v0, 8, v128
	v_lshl_add_u32 v14, v119, 10, 0x2000
	s_delay_alu instid0(VALU_DEP_1) | instskip(NEXT) | instid1(VALU_DEP_1)
	v_and_or_b32 v0, 0x8000, v0, v14
	v_lshl_or_b32 v0, v13, 7, v0
	s_delay_alu instid0(VALU_DEP_1)
	v_cvt_f32_f16_e32 v119, v0
.LBB365_1617:                           ;   in Loop: Header=BB365_927 Depth=1
	s_or_b32 exec_lo, exec_lo, s13
.LBB365_1618:                           ;   in Loop: Header=BB365_927 Depth=1
	s_delay_alu instid0(SALU_CYCLE_1)
	s_or_b32 exec_lo, exec_lo, s12
.LBB365_1619:                           ;   in Loop: Header=BB365_927 Depth=1
	s_delay_alu instid0(SALU_CYCLE_1) | instskip(SKIP_3) | instid1(VALU_DEP_2)
	s_or_b32 exec_lo, exec_lo, s10
	v_dual_mov_b32 v0, v12 :: v_dual_and_b32 v13, 0xff, v12
	v_dual_mov_b32 v129, 0 :: v_dual_mov_b32 v128, 0
	s_mov_b32 s10, exec_lo
	v_cmpx_ne_u16_e32 0, v13
	s_cbranch_execz .LBB365_1627
; %bb.1620:                             ;   in Loop: Header=BB365_927 Depth=1
	v_bfrev_b32_e32 v128, 1
	s_mov_b32 s12, exec_lo
	v_cmpx_ne_u16_e32 0x80, v13
	s_cbranch_execz .LBB365_1626
; %bb.1621:                             ;   in Loop: Header=BB365_927 Depth=1
	v_and_b32_e32 v13, 0x7f, v12
	v_mov_b32_e32 v128, 0x7fc02000
	s_mov_b32 s13, exec_lo
	s_delay_alu instid0(VALU_DEP_2)
	v_cmpx_ne_u32_e32 0x7f, v13
	s_cbranch_execz .LBB365_1625
; %bb.1622:                             ;   in Loop: Header=BB365_927 Depth=1
	v_lshrrev_b32_e32 v128, 3, v13
	v_cmp_gt_u32_e64 s0, 8, v13
	v_dual_mov_b32 v14, v1 :: v_dual_mov_b32 v13, v0
	s_delay_alu instid0(VALU_DEP_2)
	s_and_saveexec_b32 s15, s0
; %bb.1623:                             ;   in Loop: Header=BB365_927 Depth=1
	v_and_b32_e32 v13, 7, v12
	s_delay_alu instid0(VALU_DEP_1) | instskip(NEXT) | instid1(VALU_DEP_1)
	v_clz_i32_u32_e32 v13, v13
	v_min_u32_e32 v128, 32, v13
	s_delay_alu instid0(VALU_DEP_1) | instskip(SKIP_1) | instid1(VALU_DEP_2)
	v_subrev_nc_u32_e32 v13, 28, v128
	v_sub_nc_u32_e32 v128, 29, v128
	v_lshlrev_b64 v[13:14], v13, v[0:1]
; %bb.1624:                             ;   in Loop: Header=BB365_927 Depth=1
	s_or_b32 exec_lo, exec_lo, s15
	v_lshlrev_b32_e32 v14, 8, v12
	s_delay_alu instid0(VALU_DEP_3) | instskip(NEXT) | instid1(VALU_DEP_3)
	v_lshl_add_u32 v128, v128, 10, 0x2000
	v_lshlrev_b32_e32 v13, 7, v13
	s_delay_alu instid0(VALU_DEP_2) | instskip(NEXT) | instid1(VALU_DEP_1)
	v_and_or_b32 v14, 0x8000, v14, v128
	v_and_or_b32 v13, 0x380, v13, v14
	s_delay_alu instid0(VALU_DEP_1)
	v_cvt_f32_f16_e64 v128, v13
.LBB365_1625:                           ;   in Loop: Header=BB365_927 Depth=1
	s_or_b32 exec_lo, exec_lo, s13
.LBB365_1626:                           ;   in Loop: Header=BB365_927 Depth=1
	s_delay_alu instid0(SALU_CYCLE_1)
	s_or_b32 exec_lo, exec_lo, s12
.LBB365_1627:                           ;   in Loop: Header=BB365_927 Depth=1
	s_delay_alu instid0(SALU_CYCLE_1) | instskip(SKIP_2) | instid1(VALU_DEP_1)
	s_or_b32 exec_lo, exec_lo, s10
	v_lshrrev_b16 v0, 8, v0
	s_mov_b32 s10, exec_lo
	v_cmpx_ne_u16_e32 0, v0
	s_cbranch_execz .LBB365_1635
; %bb.1628:                             ;   in Loop: Header=BB365_927 Depth=1
	v_bfrev_b32_e32 v129, 1
	s_mov_b32 s12, exec_lo
	v_cmpx_ne_u16_e32 0x80, v0
	s_cbranch_execz .LBB365_1634
; %bb.1629:                             ;   in Loop: Header=BB365_927 Depth=1
	v_and_b32_e32 v130, 0xffff, v0
	v_mov_b32_e32 v129, 0x7fc02000
	s_mov_b32 s13, exec_lo
	s_delay_alu instid0(VALU_DEP_2) | instskip(NEXT) | instid1(VALU_DEP_1)
	v_and_b32_e32 v13, 0x7f, v130
	v_cmpx_ne_u32_e32 0x7f, v13
	s_cbranch_execz .LBB365_1633
; %bb.1630:                             ;   in Loop: Header=BB365_927 Depth=1
	v_and_b32_e32 v0, 7, v130
	v_lshrrev_b32_e32 v129, 3, v13
	v_cmp_gt_u32_e64 s0, 8, v13
	s_delay_alu instid0(VALU_DEP_3) | instskip(NEXT) | instid1(VALU_DEP_2)
	v_dual_mov_b32 v14, v1 :: v_dual_mov_b32 v13, v0
	s_and_saveexec_b32 s15, s0
; %bb.1631:                             ;   in Loop: Header=BB365_927 Depth=1
	v_clz_i32_u32_e32 v13, v0
	s_delay_alu instid0(VALU_DEP_1) | instskip(NEXT) | instid1(VALU_DEP_1)
	v_min_u32_e32 v129, 32, v13
	v_subrev_nc_u32_e32 v13, 28, v129
	v_sub_nc_u32_e32 v129, 29, v129
	s_delay_alu instid0(VALU_DEP_2) | instskip(NEXT) | instid1(VALU_DEP_1)
	v_lshlrev_b64 v[13:14], v13, v[0:1]
	v_and_b32_e32 v13, 7, v13
; %bb.1632:                             ;   in Loop: Header=BB365_927 Depth=1
	s_or_b32 exec_lo, exec_lo, s15
	v_lshlrev_b32_e32 v0, 8, v130
	v_lshl_add_u32 v14, v129, 10, 0x2000
	s_delay_alu instid0(VALU_DEP_1) | instskip(NEXT) | instid1(VALU_DEP_1)
	v_and_or_b32 v0, 0x8000, v0, v14
	v_lshl_or_b32 v0, v13, 7, v0
	s_delay_alu instid0(VALU_DEP_1)
	v_cvt_f32_f16_e64 v129, v0
.LBB365_1633:                           ;   in Loop: Header=BB365_927 Depth=1
	s_or_b32 exec_lo, exec_lo, s13
.LBB365_1634:                           ;   in Loop: Header=BB365_927 Depth=1
	s_delay_alu instid0(SALU_CYCLE_1)
	s_or_b32 exec_lo, exec_lo, s12
.LBB365_1635:                           ;   in Loop: Header=BB365_927 Depth=1
	s_delay_alu instid0(SALU_CYCLE_1) | instskip(SKIP_3) | instid1(VALU_DEP_2)
	s_or_b32 exec_lo, exec_lo, s10
	v_lshrrev_b32_e32 v131, 16, v12
	v_mov_b32_e32 v130, 0
	s_mov_b32 s10, exec_lo
	v_dual_mov_b32 v13, 0 :: v_dual_and_b32 v0, 0xff, v131
	s_delay_alu instid0(VALU_DEP_1)
	v_cmpx_ne_u16_e32 0, v0
	s_cbranch_execz .LBB365_1643
; %bb.1636:                             ;   in Loop: Header=BB365_927 Depth=1
	v_bfrev_b32_e32 v13, 1
	s_mov_b32 s12, exec_lo
	v_cmpx_ne_u16_e32 0x80, v0
	s_cbranch_execz .LBB365_1642
; %bb.1637:                             ;   in Loop: Header=BB365_927 Depth=1
	v_bfe_u32 v14, v12, 16, 7
	v_mov_b32_e32 v13, 0x7fc02000
	s_mov_b32 s13, exec_lo
	s_delay_alu instid0(VALU_DEP_2)
	v_cmpx_ne_u32_e32 0x7f, v14
	s_cbranch_execz .LBB365_1641
; %bb.1638:                             ;   in Loop: Header=BB365_927 Depth=1
	v_and_b32_e32 v0, 7, v131
	v_lshrrev_b32_e32 v132, 3, v14
	v_cmp_gt_u32_e64 s0, 8, v14
	s_delay_alu instid0(VALU_DEP_3) | instskip(NEXT) | instid1(VALU_DEP_2)
	v_dual_mov_b32 v14, v1 :: v_dual_mov_b32 v13, v0
	s_and_saveexec_b32 s15, s0
; %bb.1639:                             ;   in Loop: Header=BB365_927 Depth=1
	v_clz_i32_u32_e32 v13, v0
	s_delay_alu instid0(VALU_DEP_1) | instskip(NEXT) | instid1(VALU_DEP_1)
	v_min_u32_e32 v132, 32, v13
	v_subrev_nc_u32_e32 v13, 28, v132
	v_sub_nc_u32_e32 v132, 29, v132
	s_delay_alu instid0(VALU_DEP_2) | instskip(NEXT) | instid1(VALU_DEP_1)
	v_lshlrev_b64 v[13:14], v13, v[0:1]
	v_and_b32_e32 v13, 7, v13
; %bb.1640:                             ;   in Loop: Header=BB365_927 Depth=1
	s_or_b32 exec_lo, exec_lo, s15
	v_lshlrev_b32_e32 v0, 8, v131
	v_lshl_add_u32 v14, v132, 10, 0x2000
	s_delay_alu instid0(VALU_DEP_1) | instskip(NEXT) | instid1(VALU_DEP_1)
	v_and_or_b32 v0, 0x8000, v0, v14
	v_lshl_or_b32 v0, v13, 7, v0
	s_delay_alu instid0(VALU_DEP_1)
	v_cvt_f32_f16_e32 v13, v0
.LBB365_1641:                           ;   in Loop: Header=BB365_927 Depth=1
	s_or_b32 exec_lo, exec_lo, s13
.LBB365_1642:                           ;   in Loop: Header=BB365_927 Depth=1
	s_delay_alu instid0(SALU_CYCLE_1)
	s_or_b32 exec_lo, exec_lo, s12
.LBB365_1643:                           ;   in Loop: Header=BB365_927 Depth=1
	s_delay_alu instid0(SALU_CYCLE_1) | instskip(NEXT) | instid1(SALU_CYCLE_1)
	s_or_b32 exec_lo, exec_lo, s10
	s_mov_b32 s10, exec_lo
	v_cmpx_lt_u64_e64 s[8:9], v[11:12]
	s_cbranch_execz .LBB365_1651
; %bb.1644:                             ;   in Loop: Header=BB365_927 Depth=1
	v_lshrrev_b32_e32 v14, 24, v12
	v_bfrev_b32_e32 v130, 1
	s_mov_b32 s12, exec_lo
	s_delay_alu instid0(VALU_DEP_2)
	v_cmpx_ne_u32_e32 0x80, v14
	s_cbranch_execz .LBB365_1650
; %bb.1645:                             ;   in Loop: Header=BB365_927 Depth=1
	v_and_b32_e32 v11, 0x7f, v14
	v_mov_b32_e32 v130, 0x7fc02000
	s_mov_b32 s13, exec_lo
	s_delay_alu instid0(VALU_DEP_2)
	v_cmpx_ne_u32_e32 0x7f, v11
	s_cbranch_execz .LBB365_1649
; %bb.1646:                             ;   in Loop: Header=BB365_927 Depth=1
	v_and_b32_e32 v0, 7, v14
	v_lshrrev_b32_e32 v130, 3, v11
	v_cmp_gt_u32_e64 s0, 8, v11
	s_delay_alu instid0(VALU_DEP_3) | instskip(NEXT) | instid1(VALU_DEP_2)
	v_dual_mov_b32 v12, v1 :: v_dual_mov_b32 v11, v0
	s_and_saveexec_b32 s15, s0
; %bb.1647:                             ;   in Loop: Header=BB365_927 Depth=1
	v_clz_i32_u32_e32 v11, v0
	s_delay_alu instid0(VALU_DEP_1) | instskip(NEXT) | instid1(VALU_DEP_1)
	v_min_u32_e32 v130, 32, v11
	v_subrev_nc_u32_e32 v11, 28, v130
	v_sub_nc_u32_e32 v130, 29, v130
	s_delay_alu instid0(VALU_DEP_2) | instskip(NEXT) | instid1(VALU_DEP_1)
	v_lshlrev_b64 v[11:12], v11, v[0:1]
	v_and_b32_e32 v11, 7, v11
; %bb.1648:                             ;   in Loop: Header=BB365_927 Depth=1
	s_or_b32 exec_lo, exec_lo, s15
	v_lshlrev_b32_e32 v0, 8, v14
	v_lshl_add_u32 v12, v130, 10, 0x2000
	s_delay_alu instid0(VALU_DEP_1) | instskip(NEXT) | instid1(VALU_DEP_1)
	v_and_or_b32 v0, 0x8000, v0, v12
	v_lshl_or_b32 v0, v11, 7, v0
	s_delay_alu instid0(VALU_DEP_1)
	v_cvt_f32_f16_e64 v130, v0
.LBB365_1649:                           ;   in Loop: Header=BB365_927 Depth=1
	s_or_b32 exec_lo, exec_lo, s13
.LBB365_1650:                           ;   in Loop: Header=BB365_927 Depth=1
	s_delay_alu instid0(SALU_CYCLE_1)
	s_or_b32 exec_lo, exec_lo, s12
.LBB365_1651:                           ;   in Loop: Header=BB365_927 Depth=1
	s_delay_alu instid0(SALU_CYCLE_1)
	s_or_b32 exec_lo, exec_lo, s10
	s_waitcnt vmcnt(0) lgkmcnt(0)
	v_fma_mixlo_f16 v12, v115, v117, 0
	v_fma_mixlo_f16 v0, v115, v119, 0
	;; [unrolled: 1-line block ×5, first 2 shown]
	v_lshlrev_b32_e32 v14, 16, v12
	v_fma_mixlo_f16 v118, v115, v128, 0
	v_fma_mixlo_f16 v119, v115, v130, 0
	v_fma_mixlo_f16 v12, v115, v13, 0
	v_lshlrev_b32_e32 v0, 16, v0
	v_and_b32_e32 v11, 0xffff, v11
	v_and_b32_e32 v115, 0xffff, v116
	v_lshlrev_b32_e32 v116, 16, v117
	v_and_b32_e32 v117, 0xffff, v118
	v_lshlrev_b32_e32 v118, 16, v119
	v_and_b32_e32 v119, 0xffff, v12
	v_or_b32_e32 v13, v0, v11
	v_or_b32_e32 v14, v14, v115
	;; [unrolled: 1-line block ×3, first 2 shown]
	s_delay_alu instid0(VALU_DEP_4)
	v_or_b32_e32 v11, v118, v119
	s_and_saveexec_b32 s10, vcc_lo
	s_cbranch_execz .LBB365_1653
; %bb.1652:                             ;   in Loop: Header=BB365_927 Depth=1
	v_cmp_lt_i32_e64 s0, v15, v35
	v_lshrrev_b32_e32 v115, 16, v14
	v_lshrrev_b32_e32 v116, 16, v13
	;; [unrolled: 1-line block ×4, first 2 shown]
	v_cndmask_b32_e64 v14, 0, v14, s0
	v_cmp_lt_i32_e64 s0, v80, v48
	s_delay_alu instid0(VALU_DEP_1) | instskip(SKIP_1) | instid1(VALU_DEP_2)
	v_cndmask_b32_e64 v115, 0, v115, s0
	v_cmp_lt_i32_e64 s0, v69, v48
	v_perm_b32 v14, v115, v14, 0x5040100
	s_delay_alu instid0(VALU_DEP_2) | instskip(SKIP_1) | instid1(VALU_DEP_1)
	v_cndmask_b32_e64 v116, 0, v116, s0
	v_cmp_lt_i32_e64 s0, v64, v35
	v_cndmask_b32_e64 v13, 0, v13, s0
	v_cmp_lt_i32_e64 s0, v55, v48
	s_delay_alu instid0(VALU_DEP_2) | instskip(NEXT) | instid1(VALU_DEP_2)
	v_perm_b32 v13, v116, v13, 0x5040100
	v_cndmask_b32_e64 v117, 0, v117, s0
	v_cmp_lt_i32_e64 s0, v54, v35
	s_delay_alu instid0(VALU_DEP_1) | instskip(SKIP_1) | instid1(VALU_DEP_2)
	v_cndmask_b32_e64 v0, 0, v0, s0
	v_cmp_lt_i32_e64 s0, v38, v48
	v_perm_b32 v0, v117, v0, 0x5040100
	s_delay_alu instid0(VALU_DEP_2) | instskip(SKIP_1) | instid1(VALU_DEP_1)
	v_cndmask_b32_e64 v11, 0, v11, s0
	v_cmp_lt_i32_e64 s0, v17, v35
	v_cndmask_b32_e64 v12, 0, v12, s0
	s_delay_alu instid0(VALU_DEP_1)
	v_perm_b32 v11, v11, v12, 0x5040100
.LBB365_1653:                           ;   in Loop: Header=BB365_927 Depth=1
	s_or_b32 exec_lo, exec_lo, s10
	;;#ASMSTART
	v_pk_mul_f16 v12, v71, v14;

	;;#ASMEND
	;;#ASMSTART
	v_pk_mul_f16 v13, v68, v13;

	;;#ASMEND
	;; [unrolled: 4-line block ×4, first 2 shown]
	;;#ASMSTART
	v_pk_add_f16 v12, v12, v13;

	;;#ASMEND
	;;#ASMSTART
	v_pk_add_f16 v0, v12, v0;

	;;#ASMEND
	;; [unrolled: 4-line block ×3, first 2 shown]
	v_dual_mov_b32 v118, 0 :: v_dual_and_b32 v11, 0xffff, v0
	v_lshrrev_b32_e32 v0, 16, v0
	;;#ASMSTART
	v_cvt_f32_f16 v115, v11;
	;;#ASMEND
	;;#ASMSTART
	v_cvt_f32_f16 v116, v0;
	;;#ASMEND
	flat_load_b64 v[11:12], v[9:10] offset:2816
	flat_load_b32 v117, v[26:27]
	s_mov_b32 s10, exec_lo
	s_waitcnt vmcnt(1) lgkmcnt(1)
	v_dual_mov_b32 v119, 0 :: v_dual_and_b32 v0, 0xff, v11
	s_delay_alu instid0(VALU_DEP_1)
	v_cmpx_ne_u16_e32 0, v0
	s_cbranch_execz .LBB365_1661
; %bb.1654:                             ;   in Loop: Header=BB365_927 Depth=1
	v_bfrev_b32_e32 v118, 1
	s_mov_b32 s12, exec_lo
	v_cmpx_ne_u16_e32 0x80, v0
	s_cbranch_execz .LBB365_1660
; %bb.1655:                             ;   in Loop: Header=BB365_927 Depth=1
	v_and_b32_e32 v13, 0x7f, v11
	v_mov_b32_e32 v118, 0x7fc02000
	s_mov_b32 s13, exec_lo
	s_delay_alu instid0(VALU_DEP_2)
	v_cmpx_ne_u32_e32 0x7f, v13
	s_cbranch_execz .LBB365_1659
; %bb.1656:                             ;   in Loop: Header=BB365_927 Depth=1
	v_lshrrev_b32_e32 v0, 3, v13
	v_cmp_gt_u32_e64 s0, 8, v13
	v_dual_mov_b32 v14, v12 :: v_dual_mov_b32 v13, v11
	s_delay_alu instid0(VALU_DEP_2)
	s_and_saveexec_b32 s15, s0
; %bb.1657:                             ;   in Loop: Header=BB365_927 Depth=1
	v_and_b32_e32 v0, 7, v11
	s_delay_alu instid0(VALU_DEP_1) | instskip(NEXT) | instid1(VALU_DEP_1)
	v_clz_i32_u32_e32 v0, v0
	v_min_u32_e32 v0, 32, v0
	s_delay_alu instid0(VALU_DEP_1) | instskip(SKIP_1) | instid1(VALU_DEP_2)
	v_subrev_nc_u32_e32 v13, 28, v0
	v_sub_nc_u32_e32 v0, 29, v0
	v_lshlrev_b64 v[13:14], v13, v[11:12]
; %bb.1658:                             ;   in Loop: Header=BB365_927 Depth=1
	s_or_b32 exec_lo, exec_lo, s15
	v_lshlrev_b32_e32 v14, 8, v11
	s_delay_alu instid0(VALU_DEP_3) | instskip(NEXT) | instid1(VALU_DEP_3)
	v_lshl_add_u32 v0, v0, 10, 0x2000
	v_lshlrev_b32_e32 v13, 7, v13
	s_delay_alu instid0(VALU_DEP_2) | instskip(NEXT) | instid1(VALU_DEP_1)
	v_and_or_b32 v0, 0x8000, v14, v0
	v_and_or_b32 v0, 0x380, v13, v0
	s_delay_alu instid0(VALU_DEP_1)
	v_cvt_f32_f16_e32 v118, v0
.LBB365_1659:                           ;   in Loop: Header=BB365_927 Depth=1
	s_or_b32 exec_lo, exec_lo, s13
.LBB365_1660:                           ;   in Loop: Header=BB365_927 Depth=1
	s_delay_alu instid0(SALU_CYCLE_1)
	s_or_b32 exec_lo, exec_lo, s12
.LBB365_1661:                           ;   in Loop: Header=BB365_927 Depth=1
	s_delay_alu instid0(SALU_CYCLE_1) | instskip(SKIP_2) | instid1(VALU_DEP_1)
	s_or_b32 exec_lo, exec_lo, s10
	v_lshrrev_b16 v0, 8, v11
	s_mov_b32 s10, exec_lo
	v_cmpx_ne_u16_e32 0, v0
	s_cbranch_execz .LBB365_1669
; %bb.1662:                             ;   in Loop: Header=BB365_927 Depth=1
	v_bfrev_b32_e32 v119, 1
	s_mov_b32 s12, exec_lo
	v_cmpx_ne_u16_e32 0x80, v0
	s_cbranch_execz .LBB365_1668
; %bb.1663:                             ;   in Loop: Header=BB365_927 Depth=1
	v_and_b32_e32 v128, 0xffff, v0
	v_mov_b32_e32 v119, 0x7fc02000
	s_mov_b32 s13, exec_lo
	s_delay_alu instid0(VALU_DEP_2) | instskip(NEXT) | instid1(VALU_DEP_1)
	v_and_b32_e32 v13, 0x7f, v128
	v_cmpx_ne_u32_e32 0x7f, v13
	s_cbranch_execz .LBB365_1667
; %bb.1664:                             ;   in Loop: Header=BB365_927 Depth=1
	v_and_b32_e32 v0, 7, v128
	v_lshrrev_b32_e32 v119, 3, v13
	v_cmp_gt_u32_e64 s0, 8, v13
	s_delay_alu instid0(VALU_DEP_3) | instskip(NEXT) | instid1(VALU_DEP_2)
	v_dual_mov_b32 v14, v1 :: v_dual_mov_b32 v13, v0
	s_and_saveexec_b32 s15, s0
; %bb.1665:                             ;   in Loop: Header=BB365_927 Depth=1
	v_clz_i32_u32_e32 v13, v0
	s_delay_alu instid0(VALU_DEP_1) | instskip(NEXT) | instid1(VALU_DEP_1)
	v_min_u32_e32 v119, 32, v13
	v_subrev_nc_u32_e32 v13, 28, v119
	v_sub_nc_u32_e32 v119, 29, v119
	s_delay_alu instid0(VALU_DEP_2) | instskip(NEXT) | instid1(VALU_DEP_1)
	v_lshlrev_b64 v[13:14], v13, v[0:1]
	v_and_b32_e32 v13, 7, v13
; %bb.1666:                             ;   in Loop: Header=BB365_927 Depth=1
	s_or_b32 exec_lo, exec_lo, s15
	v_lshlrev_b32_e32 v0, 8, v128
	v_lshl_add_u32 v14, v119, 10, 0x2000
	s_delay_alu instid0(VALU_DEP_1) | instskip(NEXT) | instid1(VALU_DEP_1)
	v_and_or_b32 v0, 0x8000, v0, v14
	v_lshl_or_b32 v0, v13, 7, v0
	s_delay_alu instid0(VALU_DEP_1)
	v_cvt_f32_f16_e32 v119, v0
.LBB365_1667:                           ;   in Loop: Header=BB365_927 Depth=1
	s_or_b32 exec_lo, exec_lo, s13
.LBB365_1668:                           ;   in Loop: Header=BB365_927 Depth=1
	s_delay_alu instid0(SALU_CYCLE_1)
	s_or_b32 exec_lo, exec_lo, s12
.LBB365_1669:                           ;   in Loop: Header=BB365_927 Depth=1
	s_delay_alu instid0(SALU_CYCLE_1) | instskip(SKIP_3) | instid1(VALU_DEP_2)
	s_or_b32 exec_lo, exec_lo, s10
	v_lshrrev_b32_e32 v130, 16, v11
	v_mov_b32_e32 v128, 0
	s_mov_b32 s10, exec_lo
	v_dual_mov_b32 v129, 0 :: v_dual_and_b32 v0, 0xff, v130
	s_delay_alu instid0(VALU_DEP_1)
	v_cmpx_ne_u16_e32 0, v0
	s_cbranch_execz .LBB365_1677
; %bb.1670:                             ;   in Loop: Header=BB365_927 Depth=1
	v_bfrev_b32_e32 v128, 1
	s_mov_b32 s12, exec_lo
	v_cmpx_ne_u16_e32 0x80, v0
	s_cbranch_execz .LBB365_1676
; %bb.1671:                             ;   in Loop: Header=BB365_927 Depth=1
	v_bfe_u32 v13, v11, 16, 7
	v_mov_b32_e32 v128, 0x7fc02000
	s_mov_b32 s13, exec_lo
	s_delay_alu instid0(VALU_DEP_2)
	v_cmpx_ne_u32_e32 0x7f, v13
	s_cbranch_execz .LBB365_1675
; %bb.1672:                             ;   in Loop: Header=BB365_927 Depth=1
	v_and_b32_e32 v0, 7, v130
	v_lshrrev_b32_e32 v128, 3, v13
	v_cmp_gt_u32_e64 s0, 8, v13
	s_delay_alu instid0(VALU_DEP_3) | instskip(NEXT) | instid1(VALU_DEP_2)
	v_dual_mov_b32 v14, v1 :: v_dual_mov_b32 v13, v0
	s_and_saveexec_b32 s15, s0
; %bb.1673:                             ;   in Loop: Header=BB365_927 Depth=1
	v_clz_i32_u32_e32 v13, v0
	s_delay_alu instid0(VALU_DEP_1) | instskip(NEXT) | instid1(VALU_DEP_1)
	v_min_u32_e32 v128, 32, v13
	v_subrev_nc_u32_e32 v13, 28, v128
	v_sub_nc_u32_e32 v128, 29, v128
	s_delay_alu instid0(VALU_DEP_2) | instskip(NEXT) | instid1(VALU_DEP_1)
	v_lshlrev_b64 v[13:14], v13, v[0:1]
	v_and_b32_e32 v13, 7, v13
; %bb.1674:                             ;   in Loop: Header=BB365_927 Depth=1
	s_or_b32 exec_lo, exec_lo, s15
	v_lshlrev_b32_e32 v0, 8, v130
	v_lshl_add_u32 v14, v128, 10, 0x2000
	s_delay_alu instid0(VALU_DEP_1) | instskip(NEXT) | instid1(VALU_DEP_1)
	v_and_or_b32 v0, 0x8000, v0, v14
	v_lshl_or_b32 v0, v13, 7, v0
	s_delay_alu instid0(VALU_DEP_1)
	v_cvt_f32_f16_e64 v128, v0
.LBB365_1675:                           ;   in Loop: Header=BB365_927 Depth=1
	s_or_b32 exec_lo, exec_lo, s13
.LBB365_1676:                           ;   in Loop: Header=BB365_927 Depth=1
	s_delay_alu instid0(SALU_CYCLE_1)
	s_or_b32 exec_lo, exec_lo, s12
.LBB365_1677:                           ;   in Loop: Header=BB365_927 Depth=1
	s_delay_alu instid0(SALU_CYCLE_1) | instskip(NEXT) | instid1(SALU_CYCLE_1)
	s_or_b32 exec_lo, exec_lo, s10
	s_mov_b32 s10, exec_lo
	v_cmpx_lt_u32_e32 0xffffff, v11
	s_cbranch_execz .LBB365_1685
; %bb.1678:                             ;   in Loop: Header=BB365_927 Depth=1
	v_lshrrev_b32_e32 v130, 24, v11
	v_bfrev_b32_e32 v129, 1
	s_mov_b32 s12, exec_lo
	s_delay_alu instid0(VALU_DEP_2)
	v_cmpx_ne_u32_e32 0x80, v130
	s_cbranch_execz .LBB365_1684
; %bb.1679:                             ;   in Loop: Header=BB365_927 Depth=1
	v_and_b32_e32 v13, 0x7f, v130
	v_mov_b32_e32 v129, 0x7fc02000
	s_mov_b32 s13, exec_lo
	s_delay_alu instid0(VALU_DEP_2)
	v_cmpx_ne_u32_e32 0x7f, v13
	s_cbranch_execz .LBB365_1683
; %bb.1680:                             ;   in Loop: Header=BB365_927 Depth=1
	v_and_b32_e32 v0, 7, v130
	v_lshrrev_b32_e32 v129, 3, v13
	v_cmp_gt_u32_e64 s0, 8, v13
	s_delay_alu instid0(VALU_DEP_3) | instskip(NEXT) | instid1(VALU_DEP_2)
	v_dual_mov_b32 v14, v1 :: v_dual_mov_b32 v13, v0
	s_and_saveexec_b32 s15, s0
; %bb.1681:                             ;   in Loop: Header=BB365_927 Depth=1
	v_clz_i32_u32_e32 v13, v0
	s_delay_alu instid0(VALU_DEP_1) | instskip(NEXT) | instid1(VALU_DEP_1)
	v_min_u32_e32 v129, 32, v13
	v_subrev_nc_u32_e32 v13, 28, v129
	v_sub_nc_u32_e32 v129, 29, v129
	s_delay_alu instid0(VALU_DEP_2) | instskip(NEXT) | instid1(VALU_DEP_1)
	v_lshlrev_b64 v[13:14], v13, v[0:1]
	v_and_b32_e32 v13, 7, v13
; %bb.1682:                             ;   in Loop: Header=BB365_927 Depth=1
	s_or_b32 exec_lo, exec_lo, s15
	v_lshlrev_b32_e32 v0, 8, v130
	v_lshl_add_u32 v14, v129, 10, 0x2000
	s_delay_alu instid0(VALU_DEP_1) | instskip(NEXT) | instid1(VALU_DEP_1)
	v_and_or_b32 v0, 0x8000, v0, v14
	v_lshl_or_b32 v0, v13, 7, v0
	s_delay_alu instid0(VALU_DEP_1)
	v_cvt_f32_f16_e64 v129, v0
.LBB365_1683:                           ;   in Loop: Header=BB365_927 Depth=1
	s_or_b32 exec_lo, exec_lo, s13
.LBB365_1684:                           ;   in Loop: Header=BB365_927 Depth=1
	s_delay_alu instid0(SALU_CYCLE_1)
	s_or_b32 exec_lo, exec_lo, s12
.LBB365_1685:                           ;   in Loop: Header=BB365_927 Depth=1
	s_delay_alu instid0(SALU_CYCLE_1) | instskip(SKIP_3) | instid1(VALU_DEP_2)
	s_or_b32 exec_lo, exec_lo, s10
	v_dual_mov_b32 v0, v12 :: v_dual_and_b32 v13, 0xff, v12
	v_dual_mov_b32 v131, 0 :: v_dual_mov_b32 v130, 0
	s_mov_b32 s10, exec_lo
	v_cmpx_ne_u16_e32 0, v13
	s_cbranch_execz .LBB365_1693
; %bb.1686:                             ;   in Loop: Header=BB365_927 Depth=1
	v_bfrev_b32_e32 v130, 1
	s_mov_b32 s12, exec_lo
	v_cmpx_ne_u16_e32 0x80, v13
	s_cbranch_execz .LBB365_1692
; %bb.1687:                             ;   in Loop: Header=BB365_927 Depth=1
	v_and_b32_e32 v13, 0x7f, v12
	v_mov_b32_e32 v130, 0x7fc02000
	s_mov_b32 s13, exec_lo
	s_delay_alu instid0(VALU_DEP_2)
	v_cmpx_ne_u32_e32 0x7f, v13
	s_cbranch_execz .LBB365_1691
; %bb.1688:                             ;   in Loop: Header=BB365_927 Depth=1
	v_lshrrev_b32_e32 v130, 3, v13
	v_cmp_gt_u32_e64 s0, 8, v13
	v_dual_mov_b32 v14, v1 :: v_dual_mov_b32 v13, v0
	s_delay_alu instid0(VALU_DEP_2)
	s_and_saveexec_b32 s15, s0
; %bb.1689:                             ;   in Loop: Header=BB365_927 Depth=1
	v_and_b32_e32 v13, 7, v12
	s_delay_alu instid0(VALU_DEP_1) | instskip(NEXT) | instid1(VALU_DEP_1)
	v_clz_i32_u32_e32 v13, v13
	v_min_u32_e32 v130, 32, v13
	s_delay_alu instid0(VALU_DEP_1) | instskip(SKIP_1) | instid1(VALU_DEP_2)
	v_subrev_nc_u32_e32 v13, 28, v130
	v_sub_nc_u32_e32 v130, 29, v130
	v_lshlrev_b64 v[13:14], v13, v[0:1]
; %bb.1690:                             ;   in Loop: Header=BB365_927 Depth=1
	s_or_b32 exec_lo, exec_lo, s15
	v_lshlrev_b32_e32 v14, 8, v12
	s_delay_alu instid0(VALU_DEP_3) | instskip(NEXT) | instid1(VALU_DEP_3)
	v_lshl_add_u32 v130, v130, 10, 0x2000
	v_lshlrev_b32_e32 v13, 7, v13
	s_delay_alu instid0(VALU_DEP_2) | instskip(NEXT) | instid1(VALU_DEP_1)
	v_and_or_b32 v14, 0x8000, v14, v130
	v_and_or_b32 v13, 0x380, v13, v14
	s_delay_alu instid0(VALU_DEP_1)
	v_cvt_f32_f16_e64 v130, v13
.LBB365_1691:                           ;   in Loop: Header=BB365_927 Depth=1
	s_or_b32 exec_lo, exec_lo, s13
.LBB365_1692:                           ;   in Loop: Header=BB365_927 Depth=1
	s_delay_alu instid0(SALU_CYCLE_1)
	s_or_b32 exec_lo, exec_lo, s12
.LBB365_1693:                           ;   in Loop: Header=BB365_927 Depth=1
	s_delay_alu instid0(SALU_CYCLE_1) | instskip(SKIP_2) | instid1(VALU_DEP_1)
	s_or_b32 exec_lo, exec_lo, s10
	v_lshrrev_b16 v0, 8, v0
	s_mov_b32 s10, exec_lo
	v_cmpx_ne_u16_e32 0, v0
	s_cbranch_execz .LBB365_1701
; %bb.1694:                             ;   in Loop: Header=BB365_927 Depth=1
	v_bfrev_b32_e32 v131, 1
	s_mov_b32 s12, exec_lo
	v_cmpx_ne_u16_e32 0x80, v0
	s_cbranch_execz .LBB365_1700
; %bb.1695:                             ;   in Loop: Header=BB365_927 Depth=1
	v_and_b32_e32 v132, 0xffff, v0
	v_mov_b32_e32 v131, 0x7fc02000
	s_mov_b32 s13, exec_lo
	s_delay_alu instid0(VALU_DEP_2) | instskip(NEXT) | instid1(VALU_DEP_1)
	v_and_b32_e32 v13, 0x7f, v132
	v_cmpx_ne_u32_e32 0x7f, v13
	s_cbranch_execz .LBB365_1699
; %bb.1696:                             ;   in Loop: Header=BB365_927 Depth=1
	v_and_b32_e32 v0, 7, v132
	v_lshrrev_b32_e32 v131, 3, v13
	v_cmp_gt_u32_e64 s0, 8, v13
	s_delay_alu instid0(VALU_DEP_3) | instskip(NEXT) | instid1(VALU_DEP_2)
	v_dual_mov_b32 v14, v1 :: v_dual_mov_b32 v13, v0
	s_and_saveexec_b32 s15, s0
; %bb.1697:                             ;   in Loop: Header=BB365_927 Depth=1
	v_clz_i32_u32_e32 v13, v0
	s_delay_alu instid0(VALU_DEP_1) | instskip(NEXT) | instid1(VALU_DEP_1)
	v_min_u32_e32 v131, 32, v13
	v_subrev_nc_u32_e32 v13, 28, v131
	v_sub_nc_u32_e32 v131, 29, v131
	s_delay_alu instid0(VALU_DEP_2) | instskip(NEXT) | instid1(VALU_DEP_1)
	v_lshlrev_b64 v[13:14], v13, v[0:1]
	v_and_b32_e32 v13, 7, v13
; %bb.1698:                             ;   in Loop: Header=BB365_927 Depth=1
	s_or_b32 exec_lo, exec_lo, s15
	v_lshlrev_b32_e32 v0, 8, v132
	v_lshl_add_u32 v14, v131, 10, 0x2000
	s_delay_alu instid0(VALU_DEP_1) | instskip(NEXT) | instid1(VALU_DEP_1)
	v_and_or_b32 v0, 0x8000, v0, v14
	v_lshl_or_b32 v0, v13, 7, v0
	s_delay_alu instid0(VALU_DEP_1)
	v_cvt_f32_f16_e64 v131, v0
.LBB365_1699:                           ;   in Loop: Header=BB365_927 Depth=1
	s_or_b32 exec_lo, exec_lo, s13
.LBB365_1700:                           ;   in Loop: Header=BB365_927 Depth=1
	s_delay_alu instid0(SALU_CYCLE_1)
	s_or_b32 exec_lo, exec_lo, s12
.LBB365_1701:                           ;   in Loop: Header=BB365_927 Depth=1
	s_delay_alu instid0(SALU_CYCLE_1) | instskip(SKIP_3) | instid1(VALU_DEP_2)
	s_or_b32 exec_lo, exec_lo, s10
	v_lshrrev_b32_e32 v133, 16, v12
	v_mov_b32_e32 v132, 0
	s_mov_b32 s10, exec_lo
	v_dual_mov_b32 v13, 0 :: v_dual_and_b32 v0, 0xff, v133
	s_delay_alu instid0(VALU_DEP_1)
	v_cmpx_ne_u16_e32 0, v0
	s_cbranch_execz .LBB365_1709
; %bb.1702:                             ;   in Loop: Header=BB365_927 Depth=1
	v_bfrev_b32_e32 v13, 1
	s_mov_b32 s12, exec_lo
	v_cmpx_ne_u16_e32 0x80, v0
	s_cbranch_execz .LBB365_1708
; %bb.1703:                             ;   in Loop: Header=BB365_927 Depth=1
	v_bfe_u32 v14, v12, 16, 7
	v_mov_b32_e32 v13, 0x7fc02000
	s_mov_b32 s13, exec_lo
	s_delay_alu instid0(VALU_DEP_2)
	v_cmpx_ne_u32_e32 0x7f, v14
	s_cbranch_execz .LBB365_1707
; %bb.1704:                             ;   in Loop: Header=BB365_927 Depth=1
	v_and_b32_e32 v0, 7, v133
	v_lshrrev_b32_e32 v134, 3, v14
	v_cmp_gt_u32_e64 s0, 8, v14
	s_delay_alu instid0(VALU_DEP_3) | instskip(NEXT) | instid1(VALU_DEP_2)
	v_dual_mov_b32 v14, v1 :: v_dual_mov_b32 v13, v0
	s_and_saveexec_b32 s15, s0
; %bb.1705:                             ;   in Loop: Header=BB365_927 Depth=1
	v_clz_i32_u32_e32 v13, v0
	s_delay_alu instid0(VALU_DEP_1) | instskip(NEXT) | instid1(VALU_DEP_1)
	v_min_u32_e32 v134, 32, v13
	v_subrev_nc_u32_e32 v13, 28, v134
	v_sub_nc_u32_e32 v134, 29, v134
	s_delay_alu instid0(VALU_DEP_2) | instskip(NEXT) | instid1(VALU_DEP_1)
	v_lshlrev_b64 v[13:14], v13, v[0:1]
	v_and_b32_e32 v13, 7, v13
; %bb.1706:                             ;   in Loop: Header=BB365_927 Depth=1
	s_or_b32 exec_lo, exec_lo, s15
	v_lshlrev_b32_e32 v0, 8, v133
	v_lshl_add_u32 v14, v134, 10, 0x2000
	s_delay_alu instid0(VALU_DEP_1) | instskip(NEXT) | instid1(VALU_DEP_1)
	v_and_or_b32 v0, 0x8000, v0, v14
	v_lshl_or_b32 v0, v13, 7, v0
	s_delay_alu instid0(VALU_DEP_1)
	v_cvt_f32_f16_e32 v13, v0
.LBB365_1707:                           ;   in Loop: Header=BB365_927 Depth=1
	s_or_b32 exec_lo, exec_lo, s13
.LBB365_1708:                           ;   in Loop: Header=BB365_927 Depth=1
	s_delay_alu instid0(SALU_CYCLE_1)
	s_or_b32 exec_lo, exec_lo, s12
.LBB365_1709:                           ;   in Loop: Header=BB365_927 Depth=1
	s_delay_alu instid0(SALU_CYCLE_1) | instskip(NEXT) | instid1(SALU_CYCLE_1)
	s_or_b32 exec_lo, exec_lo, s10
	s_mov_b32 s10, exec_lo
	v_cmpx_lt_u64_e64 s[8:9], v[11:12]
	s_cbranch_execz .LBB365_1717
; %bb.1710:                             ;   in Loop: Header=BB365_927 Depth=1
	v_lshrrev_b32_e32 v14, 24, v12
	v_bfrev_b32_e32 v132, 1
	s_mov_b32 s12, exec_lo
	s_delay_alu instid0(VALU_DEP_2)
	v_cmpx_ne_u32_e32 0x80, v14
	s_cbranch_execz .LBB365_1716
; %bb.1711:                             ;   in Loop: Header=BB365_927 Depth=1
	v_and_b32_e32 v11, 0x7f, v14
	v_mov_b32_e32 v132, 0x7fc02000
	s_mov_b32 s13, exec_lo
	s_delay_alu instid0(VALU_DEP_2)
	v_cmpx_ne_u32_e32 0x7f, v11
	s_cbranch_execz .LBB365_1715
; %bb.1712:                             ;   in Loop: Header=BB365_927 Depth=1
	v_and_b32_e32 v0, 7, v14
	v_lshrrev_b32_e32 v132, 3, v11
	v_cmp_gt_u32_e64 s0, 8, v11
	s_delay_alu instid0(VALU_DEP_3) | instskip(NEXT) | instid1(VALU_DEP_2)
	v_dual_mov_b32 v12, v1 :: v_dual_mov_b32 v11, v0
	s_and_saveexec_b32 s15, s0
; %bb.1713:                             ;   in Loop: Header=BB365_927 Depth=1
	v_clz_i32_u32_e32 v11, v0
	s_delay_alu instid0(VALU_DEP_1) | instskip(NEXT) | instid1(VALU_DEP_1)
	v_min_u32_e32 v132, 32, v11
	v_subrev_nc_u32_e32 v11, 28, v132
	v_sub_nc_u32_e32 v132, 29, v132
	s_delay_alu instid0(VALU_DEP_2) | instskip(NEXT) | instid1(VALU_DEP_1)
	v_lshlrev_b64 v[11:12], v11, v[0:1]
	v_and_b32_e32 v11, 7, v11
; %bb.1714:                             ;   in Loop: Header=BB365_927 Depth=1
	s_or_b32 exec_lo, exec_lo, s15
	v_lshlrev_b32_e32 v0, 8, v14
	v_lshl_add_u32 v12, v132, 10, 0x2000
	s_delay_alu instid0(VALU_DEP_1) | instskip(NEXT) | instid1(VALU_DEP_1)
	v_and_or_b32 v0, 0x8000, v0, v12
	v_lshl_or_b32 v0, v11, 7, v0
	s_delay_alu instid0(VALU_DEP_1)
	v_cvt_f32_f16_e64 v132, v0
.LBB365_1715:                           ;   in Loop: Header=BB365_927 Depth=1
	s_or_b32 exec_lo, exec_lo, s13
.LBB365_1716:                           ;   in Loop: Header=BB365_927 Depth=1
	s_delay_alu instid0(SALU_CYCLE_1)
	s_or_b32 exec_lo, exec_lo, s12
.LBB365_1717:                           ;   in Loop: Header=BB365_927 Depth=1
	s_delay_alu instid0(SALU_CYCLE_1)
	s_or_b32 exec_lo, exec_lo, s10
	s_waitcnt vmcnt(0) lgkmcnt(0)
	v_fma_mixlo_f16 v12, v117, v119, 0
	v_fma_mixlo_f16 v0, v117, v129, 0
	;; [unrolled: 1-line block ×5, first 2 shown]
	v_lshlrev_b32_e32 v14, 16, v12
	v_fma_mixlo_f16 v128, v117, v130, 0
	v_fma_mixlo_f16 v129, v117, v132, 0
	;; [unrolled: 1-line block ×3, first 2 shown]
	v_lshlrev_b32_e32 v0, 16, v0
	v_and_b32_e32 v11, 0xffff, v11
	v_and_b32_e32 v117, 0xffff, v118
	v_lshlrev_b32_e32 v118, 16, v119
	v_and_b32_e32 v119, 0xffff, v128
	v_lshlrev_b32_e32 v128, 16, v129
	v_and_b32_e32 v129, 0xffff, v12
	v_or_b32_e32 v13, v0, v11
	v_or_b32_e32 v14, v14, v117
	;; [unrolled: 1-line block ×3, first 2 shown]
	s_delay_alu instid0(VALU_DEP_4)
	v_or_b32_e32 v11, v128, v129
	s_and_saveexec_b32 s10, vcc_lo
	s_cbranch_execz .LBB365_1719
; %bb.1718:                             ;   in Loop: Header=BB365_927 Depth=1
	v_cmp_lt_i32_e64 s0, v15, v35
	v_lshrrev_b32_e32 v117, 16, v14
	v_lshrrev_b32_e32 v118, 16, v13
	;; [unrolled: 1-line block ×4, first 2 shown]
	v_cndmask_b32_e64 v14, 0, v14, s0
	v_cmp_lt_i32_e64 s0, v80, v48
	s_delay_alu instid0(VALU_DEP_1) | instskip(SKIP_1) | instid1(VALU_DEP_2)
	v_cndmask_b32_e64 v117, 0, v117, s0
	v_cmp_lt_i32_e64 s0, v69, v48
	v_perm_b32 v14, v117, v14, 0x5040100
	s_delay_alu instid0(VALU_DEP_2) | instskip(SKIP_1) | instid1(VALU_DEP_1)
	v_cndmask_b32_e64 v118, 0, v118, s0
	v_cmp_lt_i32_e64 s0, v64, v35
	v_cndmask_b32_e64 v13, 0, v13, s0
	v_cmp_lt_i32_e64 s0, v55, v48
	s_delay_alu instid0(VALU_DEP_2) | instskip(NEXT) | instid1(VALU_DEP_2)
	v_perm_b32 v13, v118, v13, 0x5040100
	v_cndmask_b32_e64 v119, 0, v119, s0
	v_cmp_lt_i32_e64 s0, v54, v35
	s_delay_alu instid0(VALU_DEP_1) | instskip(SKIP_1) | instid1(VALU_DEP_2)
	v_cndmask_b32_e64 v0, 0, v0, s0
	v_cmp_lt_i32_e64 s0, v38, v48
	v_perm_b32 v0, v119, v0, 0x5040100
	s_delay_alu instid0(VALU_DEP_2) | instskip(SKIP_1) | instid1(VALU_DEP_1)
	v_cndmask_b32_e64 v11, 0, v11, s0
	v_cmp_lt_i32_e64 s0, v17, v35
	v_cndmask_b32_e64 v12, 0, v12, s0
	s_delay_alu instid0(VALU_DEP_1)
	v_perm_b32 v11, v11, v12, 0x5040100
.LBB365_1719:                           ;   in Loop: Header=BB365_927 Depth=1
	s_or_b32 exec_lo, exec_lo, s10
	;;#ASMSTART
	v_pk_mul_f16 v12, v71, v14;

	;;#ASMEND
	;;#ASMSTART
	v_pk_mul_f16 v13, v68, v13;

	;;#ASMEND
	;; [unrolled: 4-line block ×4, first 2 shown]
	;;#ASMSTART
	v_pk_add_f16 v12, v12, v13;

	;;#ASMEND
	;;#ASMSTART
	v_pk_add_f16 v0, v12, v0;

	;;#ASMEND
	;; [unrolled: 4-line block ×3, first 2 shown]
	v_dual_mov_b32 v128, 0 :: v_dual_and_b32 v11, 0xffff, v0
	v_lshrrev_b32_e32 v0, 16, v0
	;;#ASMSTART
	v_cvt_f32_f16 v117, v11;
	;;#ASMEND
	;;#ASMSTART
	v_cvt_f32_f16 v118, v0;
	;;#ASMEND
	flat_load_b64 v[11:12], v[9:10] offset:3072
	flat_load_b32 v119, v[26:27]
	s_mov_b32 s10, exec_lo
	s_waitcnt vmcnt(1) lgkmcnt(1)
	v_dual_mov_b32 v129, 0 :: v_dual_and_b32 v0, 0xff, v11
	s_delay_alu instid0(VALU_DEP_1)
	v_cmpx_ne_u16_e32 0, v0
	s_cbranch_execz .LBB365_1727
; %bb.1720:                             ;   in Loop: Header=BB365_927 Depth=1
	v_bfrev_b32_e32 v128, 1
	s_mov_b32 s12, exec_lo
	v_cmpx_ne_u16_e32 0x80, v0
	s_cbranch_execz .LBB365_1726
; %bb.1721:                             ;   in Loop: Header=BB365_927 Depth=1
	v_and_b32_e32 v13, 0x7f, v11
	v_mov_b32_e32 v128, 0x7fc02000
	s_mov_b32 s13, exec_lo
	s_delay_alu instid0(VALU_DEP_2)
	v_cmpx_ne_u32_e32 0x7f, v13
	s_cbranch_execz .LBB365_1725
; %bb.1722:                             ;   in Loop: Header=BB365_927 Depth=1
	v_lshrrev_b32_e32 v0, 3, v13
	v_cmp_gt_u32_e64 s0, 8, v13
	v_dual_mov_b32 v14, v12 :: v_dual_mov_b32 v13, v11
	s_delay_alu instid0(VALU_DEP_2)
	s_and_saveexec_b32 s15, s0
; %bb.1723:                             ;   in Loop: Header=BB365_927 Depth=1
	v_and_b32_e32 v0, 7, v11
	s_delay_alu instid0(VALU_DEP_1) | instskip(NEXT) | instid1(VALU_DEP_1)
	v_clz_i32_u32_e32 v0, v0
	v_min_u32_e32 v0, 32, v0
	s_delay_alu instid0(VALU_DEP_1) | instskip(SKIP_1) | instid1(VALU_DEP_2)
	v_subrev_nc_u32_e32 v13, 28, v0
	v_sub_nc_u32_e32 v0, 29, v0
	v_lshlrev_b64 v[13:14], v13, v[11:12]
; %bb.1724:                             ;   in Loop: Header=BB365_927 Depth=1
	s_or_b32 exec_lo, exec_lo, s15
	v_lshlrev_b32_e32 v14, 8, v11
	s_delay_alu instid0(VALU_DEP_3) | instskip(NEXT) | instid1(VALU_DEP_3)
	v_lshl_add_u32 v0, v0, 10, 0x2000
	v_lshlrev_b32_e32 v13, 7, v13
	s_delay_alu instid0(VALU_DEP_2) | instskip(NEXT) | instid1(VALU_DEP_1)
	v_and_or_b32 v0, 0x8000, v14, v0
	v_and_or_b32 v0, 0x380, v13, v0
	s_delay_alu instid0(VALU_DEP_1)
	v_cvt_f32_f16_e64 v128, v0
.LBB365_1725:                           ;   in Loop: Header=BB365_927 Depth=1
	s_or_b32 exec_lo, exec_lo, s13
.LBB365_1726:                           ;   in Loop: Header=BB365_927 Depth=1
	s_delay_alu instid0(SALU_CYCLE_1)
	s_or_b32 exec_lo, exec_lo, s12
.LBB365_1727:                           ;   in Loop: Header=BB365_927 Depth=1
	s_delay_alu instid0(SALU_CYCLE_1) | instskip(SKIP_2) | instid1(VALU_DEP_1)
	s_or_b32 exec_lo, exec_lo, s10
	v_lshrrev_b16 v0, 8, v11
	s_mov_b32 s10, exec_lo
	v_cmpx_ne_u16_e32 0, v0
	s_cbranch_execz .LBB365_1735
; %bb.1728:                             ;   in Loop: Header=BB365_927 Depth=1
	v_bfrev_b32_e32 v129, 1
	s_mov_b32 s12, exec_lo
	v_cmpx_ne_u16_e32 0x80, v0
	s_cbranch_execz .LBB365_1734
; %bb.1729:                             ;   in Loop: Header=BB365_927 Depth=1
	v_and_b32_e32 v130, 0xffff, v0
	v_mov_b32_e32 v129, 0x7fc02000
	s_mov_b32 s13, exec_lo
	s_delay_alu instid0(VALU_DEP_2) | instskip(NEXT) | instid1(VALU_DEP_1)
	v_and_b32_e32 v13, 0x7f, v130
	v_cmpx_ne_u32_e32 0x7f, v13
	s_cbranch_execz .LBB365_1733
; %bb.1730:                             ;   in Loop: Header=BB365_927 Depth=1
	v_and_b32_e32 v0, 7, v130
	v_lshrrev_b32_e32 v129, 3, v13
	v_cmp_gt_u32_e64 s0, 8, v13
	s_delay_alu instid0(VALU_DEP_3) | instskip(NEXT) | instid1(VALU_DEP_2)
	v_dual_mov_b32 v14, v1 :: v_dual_mov_b32 v13, v0
	s_and_saveexec_b32 s15, s0
; %bb.1731:                             ;   in Loop: Header=BB365_927 Depth=1
	v_clz_i32_u32_e32 v13, v0
	s_delay_alu instid0(VALU_DEP_1) | instskip(NEXT) | instid1(VALU_DEP_1)
	v_min_u32_e32 v129, 32, v13
	v_subrev_nc_u32_e32 v13, 28, v129
	v_sub_nc_u32_e32 v129, 29, v129
	s_delay_alu instid0(VALU_DEP_2) | instskip(NEXT) | instid1(VALU_DEP_1)
	v_lshlrev_b64 v[13:14], v13, v[0:1]
	v_and_b32_e32 v13, 7, v13
; %bb.1732:                             ;   in Loop: Header=BB365_927 Depth=1
	s_or_b32 exec_lo, exec_lo, s15
	v_lshlrev_b32_e32 v0, 8, v130
	v_lshl_add_u32 v14, v129, 10, 0x2000
	s_delay_alu instid0(VALU_DEP_1) | instskip(NEXT) | instid1(VALU_DEP_1)
	v_and_or_b32 v0, 0x8000, v0, v14
	v_lshl_or_b32 v0, v13, 7, v0
	s_delay_alu instid0(VALU_DEP_1)
	v_cvt_f32_f16_e64 v129, v0
.LBB365_1733:                           ;   in Loop: Header=BB365_927 Depth=1
	s_or_b32 exec_lo, exec_lo, s13
.LBB365_1734:                           ;   in Loop: Header=BB365_927 Depth=1
	s_delay_alu instid0(SALU_CYCLE_1)
	s_or_b32 exec_lo, exec_lo, s12
.LBB365_1735:                           ;   in Loop: Header=BB365_927 Depth=1
	s_delay_alu instid0(SALU_CYCLE_1) | instskip(SKIP_3) | instid1(VALU_DEP_2)
	s_or_b32 exec_lo, exec_lo, s10
	v_lshrrev_b32_e32 v132, 16, v11
	v_mov_b32_e32 v130, 0
	s_mov_b32 s10, exec_lo
	v_dual_mov_b32 v131, 0 :: v_dual_and_b32 v0, 0xff, v132
	s_delay_alu instid0(VALU_DEP_1)
	v_cmpx_ne_u16_e32 0, v0
	s_cbranch_execz .LBB365_1743
; %bb.1736:                             ;   in Loop: Header=BB365_927 Depth=1
	v_bfrev_b32_e32 v130, 1
	s_mov_b32 s12, exec_lo
	v_cmpx_ne_u16_e32 0x80, v0
	s_cbranch_execz .LBB365_1742
; %bb.1737:                             ;   in Loop: Header=BB365_927 Depth=1
	v_bfe_u32 v13, v11, 16, 7
	v_mov_b32_e32 v130, 0x7fc02000
	s_mov_b32 s13, exec_lo
	s_delay_alu instid0(VALU_DEP_2)
	v_cmpx_ne_u32_e32 0x7f, v13
	s_cbranch_execz .LBB365_1741
; %bb.1738:                             ;   in Loop: Header=BB365_927 Depth=1
	v_and_b32_e32 v0, 7, v132
	v_lshrrev_b32_e32 v130, 3, v13
	v_cmp_gt_u32_e64 s0, 8, v13
	s_delay_alu instid0(VALU_DEP_3) | instskip(NEXT) | instid1(VALU_DEP_2)
	v_dual_mov_b32 v14, v1 :: v_dual_mov_b32 v13, v0
	s_and_saveexec_b32 s15, s0
; %bb.1739:                             ;   in Loop: Header=BB365_927 Depth=1
	v_clz_i32_u32_e32 v13, v0
	s_delay_alu instid0(VALU_DEP_1) | instskip(NEXT) | instid1(VALU_DEP_1)
	v_min_u32_e32 v130, 32, v13
	v_subrev_nc_u32_e32 v13, 28, v130
	v_sub_nc_u32_e32 v130, 29, v130
	s_delay_alu instid0(VALU_DEP_2) | instskip(NEXT) | instid1(VALU_DEP_1)
	v_lshlrev_b64 v[13:14], v13, v[0:1]
	v_and_b32_e32 v13, 7, v13
; %bb.1740:                             ;   in Loop: Header=BB365_927 Depth=1
	s_or_b32 exec_lo, exec_lo, s15
	v_lshlrev_b32_e32 v0, 8, v132
	v_lshl_add_u32 v14, v130, 10, 0x2000
	s_delay_alu instid0(VALU_DEP_1) | instskip(NEXT) | instid1(VALU_DEP_1)
	v_and_or_b32 v0, 0x8000, v0, v14
	v_lshl_or_b32 v0, v13, 7, v0
	s_delay_alu instid0(VALU_DEP_1)
	v_cvt_f32_f16_e64 v130, v0
.LBB365_1741:                           ;   in Loop: Header=BB365_927 Depth=1
	s_or_b32 exec_lo, exec_lo, s13
.LBB365_1742:                           ;   in Loop: Header=BB365_927 Depth=1
	s_delay_alu instid0(SALU_CYCLE_1)
	s_or_b32 exec_lo, exec_lo, s12
.LBB365_1743:                           ;   in Loop: Header=BB365_927 Depth=1
	s_delay_alu instid0(SALU_CYCLE_1) | instskip(NEXT) | instid1(SALU_CYCLE_1)
	s_or_b32 exec_lo, exec_lo, s10
	s_mov_b32 s10, exec_lo
	v_cmpx_lt_u32_e32 0xffffff, v11
	s_cbranch_execz .LBB365_1751
; %bb.1744:                             ;   in Loop: Header=BB365_927 Depth=1
	v_lshrrev_b32_e32 v132, 24, v11
	v_bfrev_b32_e32 v131, 1
	s_mov_b32 s12, exec_lo
	s_delay_alu instid0(VALU_DEP_2)
	v_cmpx_ne_u32_e32 0x80, v132
	s_cbranch_execz .LBB365_1750
; %bb.1745:                             ;   in Loop: Header=BB365_927 Depth=1
	v_and_b32_e32 v13, 0x7f, v132
	v_mov_b32_e32 v131, 0x7fc02000
	s_mov_b32 s13, exec_lo
	s_delay_alu instid0(VALU_DEP_2)
	v_cmpx_ne_u32_e32 0x7f, v13
	s_cbranch_execz .LBB365_1749
; %bb.1746:                             ;   in Loop: Header=BB365_927 Depth=1
	v_and_b32_e32 v0, 7, v132
	v_lshrrev_b32_e32 v131, 3, v13
	v_cmp_gt_u32_e64 s0, 8, v13
	s_delay_alu instid0(VALU_DEP_3) | instskip(NEXT) | instid1(VALU_DEP_2)
	v_dual_mov_b32 v14, v1 :: v_dual_mov_b32 v13, v0
	s_and_saveexec_b32 s15, s0
; %bb.1747:                             ;   in Loop: Header=BB365_927 Depth=1
	v_clz_i32_u32_e32 v13, v0
	s_delay_alu instid0(VALU_DEP_1) | instskip(NEXT) | instid1(VALU_DEP_1)
	v_min_u32_e32 v131, 32, v13
	v_subrev_nc_u32_e32 v13, 28, v131
	v_sub_nc_u32_e32 v131, 29, v131
	s_delay_alu instid0(VALU_DEP_2) | instskip(NEXT) | instid1(VALU_DEP_1)
	v_lshlrev_b64 v[13:14], v13, v[0:1]
	v_and_b32_e32 v13, 7, v13
; %bb.1748:                             ;   in Loop: Header=BB365_927 Depth=1
	s_or_b32 exec_lo, exec_lo, s15
	v_lshlrev_b32_e32 v0, 8, v132
	v_lshl_add_u32 v14, v131, 10, 0x2000
	s_delay_alu instid0(VALU_DEP_1) | instskip(NEXT) | instid1(VALU_DEP_1)
	v_and_or_b32 v0, 0x8000, v0, v14
	v_lshl_or_b32 v0, v13, 7, v0
	s_delay_alu instid0(VALU_DEP_1)
	v_cvt_f32_f16_e64 v131, v0
.LBB365_1749:                           ;   in Loop: Header=BB365_927 Depth=1
	s_or_b32 exec_lo, exec_lo, s13
.LBB365_1750:                           ;   in Loop: Header=BB365_927 Depth=1
	s_delay_alu instid0(SALU_CYCLE_1)
	s_or_b32 exec_lo, exec_lo, s12
.LBB365_1751:                           ;   in Loop: Header=BB365_927 Depth=1
	s_delay_alu instid0(SALU_CYCLE_1) | instskip(SKIP_3) | instid1(VALU_DEP_2)
	s_or_b32 exec_lo, exec_lo, s10
	v_dual_mov_b32 v0, v12 :: v_dual_and_b32 v13, 0xff, v12
	v_dual_mov_b32 v133, 0 :: v_dual_mov_b32 v132, 0
	s_mov_b32 s10, exec_lo
	v_cmpx_ne_u16_e32 0, v13
	s_cbranch_execz .LBB365_1759
; %bb.1752:                             ;   in Loop: Header=BB365_927 Depth=1
	v_bfrev_b32_e32 v132, 1
	s_mov_b32 s12, exec_lo
	v_cmpx_ne_u16_e32 0x80, v13
	s_cbranch_execz .LBB365_1758
; %bb.1753:                             ;   in Loop: Header=BB365_927 Depth=1
	v_and_b32_e32 v13, 0x7f, v12
	v_mov_b32_e32 v132, 0x7fc02000
	s_mov_b32 s13, exec_lo
	s_delay_alu instid0(VALU_DEP_2)
	v_cmpx_ne_u32_e32 0x7f, v13
	s_cbranch_execz .LBB365_1757
; %bb.1754:                             ;   in Loop: Header=BB365_927 Depth=1
	v_lshrrev_b32_e32 v132, 3, v13
	v_cmp_gt_u32_e64 s0, 8, v13
	v_dual_mov_b32 v14, v1 :: v_dual_mov_b32 v13, v0
	s_delay_alu instid0(VALU_DEP_2)
	s_and_saveexec_b32 s15, s0
; %bb.1755:                             ;   in Loop: Header=BB365_927 Depth=1
	v_and_b32_e32 v13, 7, v12
	s_delay_alu instid0(VALU_DEP_1) | instskip(NEXT) | instid1(VALU_DEP_1)
	v_clz_i32_u32_e32 v13, v13
	v_min_u32_e32 v132, 32, v13
	s_delay_alu instid0(VALU_DEP_1) | instskip(SKIP_1) | instid1(VALU_DEP_2)
	v_subrev_nc_u32_e32 v13, 28, v132
	v_sub_nc_u32_e32 v132, 29, v132
	v_lshlrev_b64 v[13:14], v13, v[0:1]
; %bb.1756:                             ;   in Loop: Header=BB365_927 Depth=1
	s_or_b32 exec_lo, exec_lo, s15
	v_lshlrev_b32_e32 v14, 8, v12
	s_delay_alu instid0(VALU_DEP_3) | instskip(NEXT) | instid1(VALU_DEP_3)
	v_lshl_add_u32 v132, v132, 10, 0x2000
	v_lshlrev_b32_e32 v13, 7, v13
	s_delay_alu instid0(VALU_DEP_2) | instskip(NEXT) | instid1(VALU_DEP_1)
	v_and_or_b32 v14, 0x8000, v14, v132
	v_and_or_b32 v13, 0x380, v13, v14
	s_delay_alu instid0(VALU_DEP_1)
	v_cvt_f32_f16_e64 v132, v13
.LBB365_1757:                           ;   in Loop: Header=BB365_927 Depth=1
	s_or_b32 exec_lo, exec_lo, s13
.LBB365_1758:                           ;   in Loop: Header=BB365_927 Depth=1
	s_delay_alu instid0(SALU_CYCLE_1)
	s_or_b32 exec_lo, exec_lo, s12
.LBB365_1759:                           ;   in Loop: Header=BB365_927 Depth=1
	s_delay_alu instid0(SALU_CYCLE_1) | instskip(SKIP_2) | instid1(VALU_DEP_1)
	s_or_b32 exec_lo, exec_lo, s10
	v_lshrrev_b16 v0, 8, v0
	s_mov_b32 s10, exec_lo
	v_cmpx_ne_u16_e32 0, v0
	s_cbranch_execz .LBB365_1767
; %bb.1760:                             ;   in Loop: Header=BB365_927 Depth=1
	v_bfrev_b32_e32 v133, 1
	s_mov_b32 s12, exec_lo
	v_cmpx_ne_u16_e32 0x80, v0
	s_cbranch_execz .LBB365_1766
; %bb.1761:                             ;   in Loop: Header=BB365_927 Depth=1
	v_and_b32_e32 v134, 0xffff, v0
	v_mov_b32_e32 v133, 0x7fc02000
	s_mov_b32 s13, exec_lo
	s_delay_alu instid0(VALU_DEP_2) | instskip(NEXT) | instid1(VALU_DEP_1)
	v_and_b32_e32 v13, 0x7f, v134
	v_cmpx_ne_u32_e32 0x7f, v13
	s_cbranch_execz .LBB365_1765
; %bb.1762:                             ;   in Loop: Header=BB365_927 Depth=1
	v_and_b32_e32 v0, 7, v134
	v_lshrrev_b32_e32 v133, 3, v13
	v_cmp_gt_u32_e64 s0, 8, v13
	s_delay_alu instid0(VALU_DEP_3) | instskip(NEXT) | instid1(VALU_DEP_2)
	v_dual_mov_b32 v14, v1 :: v_dual_mov_b32 v13, v0
	s_and_saveexec_b32 s15, s0
; %bb.1763:                             ;   in Loop: Header=BB365_927 Depth=1
	v_clz_i32_u32_e32 v13, v0
	s_delay_alu instid0(VALU_DEP_1) | instskip(NEXT) | instid1(VALU_DEP_1)
	v_min_u32_e32 v133, 32, v13
	v_subrev_nc_u32_e32 v13, 28, v133
	v_sub_nc_u32_e32 v133, 29, v133
	s_delay_alu instid0(VALU_DEP_2) | instskip(NEXT) | instid1(VALU_DEP_1)
	v_lshlrev_b64 v[13:14], v13, v[0:1]
	v_and_b32_e32 v13, 7, v13
; %bb.1764:                             ;   in Loop: Header=BB365_927 Depth=1
	s_or_b32 exec_lo, exec_lo, s15
	v_lshlrev_b32_e32 v0, 8, v134
	v_lshl_add_u32 v14, v133, 10, 0x2000
	s_delay_alu instid0(VALU_DEP_1) | instskip(NEXT) | instid1(VALU_DEP_1)
	v_and_or_b32 v0, 0x8000, v0, v14
	v_lshl_or_b32 v0, v13, 7, v0
	s_delay_alu instid0(VALU_DEP_1)
	v_cvt_f32_f16_e64 v133, v0
.LBB365_1765:                           ;   in Loop: Header=BB365_927 Depth=1
	s_or_b32 exec_lo, exec_lo, s13
.LBB365_1766:                           ;   in Loop: Header=BB365_927 Depth=1
	s_delay_alu instid0(SALU_CYCLE_1)
	s_or_b32 exec_lo, exec_lo, s12
.LBB365_1767:                           ;   in Loop: Header=BB365_927 Depth=1
	s_delay_alu instid0(SALU_CYCLE_1) | instskip(SKIP_3) | instid1(VALU_DEP_2)
	s_or_b32 exec_lo, exec_lo, s10
	v_lshrrev_b32_e32 v135, 16, v12
	v_mov_b32_e32 v134, 0
	s_mov_b32 s10, exec_lo
	v_dual_mov_b32 v13, 0 :: v_dual_and_b32 v0, 0xff, v135
	s_delay_alu instid0(VALU_DEP_1)
	v_cmpx_ne_u16_e32 0, v0
	s_cbranch_execz .LBB365_1775
; %bb.1768:                             ;   in Loop: Header=BB365_927 Depth=1
	v_bfrev_b32_e32 v13, 1
	s_mov_b32 s12, exec_lo
	v_cmpx_ne_u16_e32 0x80, v0
	s_cbranch_execz .LBB365_1774
; %bb.1769:                             ;   in Loop: Header=BB365_927 Depth=1
	v_bfe_u32 v14, v12, 16, 7
	v_mov_b32_e32 v13, 0x7fc02000
	s_mov_b32 s13, exec_lo
	s_delay_alu instid0(VALU_DEP_2)
	v_cmpx_ne_u32_e32 0x7f, v14
	s_cbranch_execz .LBB365_1773
; %bb.1770:                             ;   in Loop: Header=BB365_927 Depth=1
	v_and_b32_e32 v0, 7, v135
	v_lshrrev_b32_e32 v144, 3, v14
	v_cmp_gt_u32_e64 s0, 8, v14
	s_delay_alu instid0(VALU_DEP_3) | instskip(NEXT) | instid1(VALU_DEP_2)
	v_dual_mov_b32 v14, v1 :: v_dual_mov_b32 v13, v0
	s_and_saveexec_b32 s15, s0
; %bb.1771:                             ;   in Loop: Header=BB365_927 Depth=1
	v_clz_i32_u32_e32 v13, v0
	s_delay_alu instid0(VALU_DEP_1) | instskip(NEXT) | instid1(VALU_DEP_1)
	v_min_u32_e32 v144, 32, v13
	v_subrev_nc_u32_e32 v13, 28, v144
	v_sub_nc_u32_e32 v144, 29, v144
	s_delay_alu instid0(VALU_DEP_2) | instskip(NEXT) | instid1(VALU_DEP_1)
	v_lshlrev_b64 v[13:14], v13, v[0:1]
	v_and_b32_e32 v13, 7, v13
; %bb.1772:                             ;   in Loop: Header=BB365_927 Depth=1
	s_or_b32 exec_lo, exec_lo, s15
	v_lshlrev_b32_e32 v0, 8, v135
	v_lshl_add_u32 v14, v144, 10, 0x2000
	s_delay_alu instid0(VALU_DEP_1) | instskip(NEXT) | instid1(VALU_DEP_1)
	v_and_or_b32 v0, 0x8000, v0, v14
	v_lshl_or_b32 v0, v13, 7, v0
	s_delay_alu instid0(VALU_DEP_1)
	v_cvt_f32_f16_e32 v13, v0
.LBB365_1773:                           ;   in Loop: Header=BB365_927 Depth=1
	s_or_b32 exec_lo, exec_lo, s13
.LBB365_1774:                           ;   in Loop: Header=BB365_927 Depth=1
	s_delay_alu instid0(SALU_CYCLE_1)
	s_or_b32 exec_lo, exec_lo, s12
.LBB365_1775:                           ;   in Loop: Header=BB365_927 Depth=1
	s_delay_alu instid0(SALU_CYCLE_1) | instskip(NEXT) | instid1(SALU_CYCLE_1)
	s_or_b32 exec_lo, exec_lo, s10
	s_mov_b32 s10, exec_lo
	v_cmpx_lt_u64_e64 s[8:9], v[11:12]
	s_cbranch_execz .LBB365_1783
; %bb.1776:                             ;   in Loop: Header=BB365_927 Depth=1
	v_lshrrev_b32_e32 v14, 24, v12
	v_bfrev_b32_e32 v134, 1
	s_mov_b32 s12, exec_lo
	s_delay_alu instid0(VALU_DEP_2)
	v_cmpx_ne_u32_e32 0x80, v14
	s_cbranch_execz .LBB365_1782
; %bb.1777:                             ;   in Loop: Header=BB365_927 Depth=1
	v_and_b32_e32 v135, 0x7f, v14
	v_mov_b32_e32 v134, 0x7fc02000
	s_mov_b32 s13, exec_lo
	s_delay_alu instid0(VALU_DEP_2)
	v_cmpx_ne_u32_e32 0x7f, v135
	s_cbranch_execz .LBB365_1781
; %bb.1778:                             ;   in Loop: Header=BB365_927 Depth=1
	v_and_b32_e32 v0, 7, v14
	v_lshrrev_b32_e32 v134, 3, v135
	v_mov_b32_e32 v12, v1
	s_mov_b32 s15, exec_lo
	s_delay_alu instid0(VALU_DEP_3)
	v_mov_b32_e32 v11, v0
	v_cmpx_gt_u32_e32 8, v135
; %bb.1779:                             ;   in Loop: Header=BB365_927 Depth=1
	v_clz_i32_u32_e32 v11, v0
	s_delay_alu instid0(VALU_DEP_1) | instskip(NEXT) | instid1(VALU_DEP_1)
	v_min_u32_e32 v134, 32, v11
	v_subrev_nc_u32_e32 v11, 28, v134
	v_sub_nc_u32_e32 v134, 29, v134
	s_delay_alu instid0(VALU_DEP_2) | instskip(NEXT) | instid1(VALU_DEP_1)
	v_lshlrev_b64 v[11:12], v11, v[0:1]
	v_and_b32_e32 v11, 7, v11
; %bb.1780:                             ;   in Loop: Header=BB365_927 Depth=1
	s_or_b32 exec_lo, exec_lo, s15
	v_lshlrev_b32_e32 v0, 8, v14
	v_lshl_add_u32 v12, v134, 10, 0x2000
	s_delay_alu instid0(VALU_DEP_1) | instskip(NEXT) | instid1(VALU_DEP_1)
	v_and_or_b32 v0, 0x8000, v0, v12
	v_lshl_or_b32 v0, v11, 7, v0
	s_delay_alu instid0(VALU_DEP_1)
	v_cvt_f32_f16_e64 v134, v0
.LBB365_1781:                           ;   in Loop: Header=BB365_927 Depth=1
	s_or_b32 exec_lo, exec_lo, s13
.LBB365_1782:                           ;   in Loop: Header=BB365_927 Depth=1
	s_delay_alu instid0(SALU_CYCLE_1)
	s_or_b32 exec_lo, exec_lo, s12
.LBB365_1783:                           ;   in Loop: Header=BB365_927 Depth=1
	s_delay_alu instid0(SALU_CYCLE_1)
	s_or_b32 exec_lo, exec_lo, s10
	s_waitcnt vmcnt(0) lgkmcnt(0)
	v_fma_mixlo_f16 v12, v119, v129, 0
	v_fma_mixlo_f16 v0, v119, v131, 0
	;; [unrolled: 1-line block ×5, first 2 shown]
	v_lshlrev_b32_e32 v14, 16, v12
	v_fma_mixlo_f16 v130, v119, v132, 0
	v_fma_mixlo_f16 v131, v119, v134, 0
	v_fma_mixlo_f16 v12, v119, v13, 0
	v_lshlrev_b32_e32 v0, 16, v0
	v_and_b32_e32 v11, 0xffff, v11
	v_and_b32_e32 v119, 0xffff, v128
	v_lshlrev_b32_e32 v128, 16, v129
	v_and_b32_e32 v129, 0xffff, v130
	v_lshlrev_b32_e32 v130, 16, v131
	v_and_b32_e32 v131, 0xffff, v12
	v_or_b32_e32 v13, v0, v11
	v_or_b32_e32 v14, v14, v119
	;; [unrolled: 1-line block ×3, first 2 shown]
	s_delay_alu instid0(VALU_DEP_4)
	v_or_b32_e32 v11, v130, v131
	s_and_saveexec_b32 s10, vcc_lo
	s_cbranch_execz .LBB365_1785
; %bb.1784:                             ;   in Loop: Header=BB365_927 Depth=1
	v_cmp_lt_i32_e64 s0, v15, v35
	v_lshrrev_b32_e32 v119, 16, v14
	v_lshrrev_b32_e32 v128, 16, v13
	;; [unrolled: 1-line block ×4, first 2 shown]
	v_cndmask_b32_e64 v14, 0, v14, s0
	v_cmp_lt_i32_e64 s0, v80, v48
	s_delay_alu instid0(VALU_DEP_1) | instskip(SKIP_1) | instid1(VALU_DEP_2)
	v_cndmask_b32_e64 v119, 0, v119, s0
	v_cmp_lt_i32_e64 s0, v69, v48
	v_perm_b32 v14, v119, v14, 0x5040100
	s_delay_alu instid0(VALU_DEP_2) | instskip(SKIP_1) | instid1(VALU_DEP_1)
	v_cndmask_b32_e64 v128, 0, v128, s0
	v_cmp_lt_i32_e64 s0, v64, v35
	v_cndmask_b32_e64 v13, 0, v13, s0
	v_cmp_lt_i32_e64 s0, v55, v48
	s_delay_alu instid0(VALU_DEP_2) | instskip(NEXT) | instid1(VALU_DEP_2)
	v_perm_b32 v13, v128, v13, 0x5040100
	v_cndmask_b32_e64 v129, 0, v129, s0
	v_cmp_lt_i32_e64 s0, v54, v35
	s_delay_alu instid0(VALU_DEP_1) | instskip(SKIP_1) | instid1(VALU_DEP_2)
	v_cndmask_b32_e64 v0, 0, v0, s0
	v_cmp_lt_i32_e64 s0, v38, v48
	v_perm_b32 v0, v129, v0, 0x5040100
	s_delay_alu instid0(VALU_DEP_2) | instskip(SKIP_1) | instid1(VALU_DEP_1)
	v_cndmask_b32_e64 v11, 0, v11, s0
	v_cmp_lt_i32_e64 s0, v17, v35
	v_cndmask_b32_e64 v12, 0, v12, s0
	s_delay_alu instid0(VALU_DEP_1)
	v_perm_b32 v11, v11, v12, 0x5040100
.LBB365_1785:                           ;   in Loop: Header=BB365_927 Depth=1
	s_or_b32 exec_lo, exec_lo, s10
	;;#ASMSTART
	v_pk_mul_f16 v12, v71, v14;

	;;#ASMEND
	;;#ASMSTART
	v_pk_mul_f16 v13, v68, v13;

	;;#ASMEND
	;;#ASMSTART
	v_pk_mul_f16 v0, v66, v0;

	;;#ASMEND
	;;#ASMSTART
	v_pk_mul_f16 v11, v65, v11;

	;;#ASMEND
	;;#ASMSTART
	v_pk_add_f16 v12, v12, v13;

	;;#ASMEND
	;;#ASMSTART
	v_pk_add_f16 v0, v12, v0;

	;;#ASMEND
	;; [unrolled: 4-line block ×3, first 2 shown]
	v_dual_mov_b32 v128, 0 :: v_dual_and_b32 v11, 0xffff, v0
	v_lshrrev_b32_e32 v0, 16, v0
	;;#ASMSTART
	v_cvt_f32_f16 v13, v11;
	;;#ASMEND
	;;#ASMSTART
	v_cvt_f32_f16 v14, v0;
	;;#ASMEND
	flat_load_b64 v[9:10], v[9:10] offset:3328
	flat_load_b32 v119, v[26:27]
	s_mov_b32 s10, exec_lo
	s_waitcnt vmcnt(1) lgkmcnt(1)
	v_dual_mov_b32 v129, 0 :: v_dual_and_b32 v0, 0xff, v9
	s_delay_alu instid0(VALU_DEP_1)
	v_cmpx_ne_u16_e32 0, v0
	s_cbranch_execz .LBB365_1793
; %bb.1786:                             ;   in Loop: Header=BB365_927 Depth=1
	v_bfrev_b32_e32 v128, 1
	s_mov_b32 s12, exec_lo
	v_cmpx_ne_u16_e32 0x80, v0
	s_cbranch_execz .LBB365_1792
; %bb.1787:                             ;   in Loop: Header=BB365_927 Depth=1
	v_and_b32_e32 v11, 0x7f, v9
	v_mov_b32_e32 v128, 0x7fc02000
	s_mov_b32 s13, exec_lo
	s_delay_alu instid0(VALU_DEP_2)
	v_cmpx_ne_u32_e32 0x7f, v11
	s_cbranch_execz .LBB365_1791
; %bb.1788:                             ;   in Loop: Header=BB365_927 Depth=1
	v_lshrrev_b32_e32 v0, 3, v11
	v_cmp_gt_u32_e64 s0, 8, v11
	v_dual_mov_b32 v12, v10 :: v_dual_mov_b32 v11, v9
	s_delay_alu instid0(VALU_DEP_2)
	s_and_saveexec_b32 s15, s0
; %bb.1789:                             ;   in Loop: Header=BB365_927 Depth=1
	v_and_b32_e32 v0, 7, v9
	s_delay_alu instid0(VALU_DEP_1) | instskip(NEXT) | instid1(VALU_DEP_1)
	v_clz_i32_u32_e32 v0, v0
	v_min_u32_e32 v0, 32, v0
	s_delay_alu instid0(VALU_DEP_1) | instskip(SKIP_1) | instid1(VALU_DEP_2)
	v_subrev_nc_u32_e32 v11, 28, v0
	v_sub_nc_u32_e32 v0, 29, v0
	v_lshlrev_b64 v[11:12], v11, v[9:10]
; %bb.1790:                             ;   in Loop: Header=BB365_927 Depth=1
	s_or_b32 exec_lo, exec_lo, s15
	v_lshlrev_b32_e32 v12, 8, v9
	s_delay_alu instid0(VALU_DEP_3) | instskip(NEXT) | instid1(VALU_DEP_3)
	v_lshl_add_u32 v0, v0, 10, 0x2000
	v_lshlrev_b32_e32 v11, 7, v11
	s_delay_alu instid0(VALU_DEP_2) | instskip(NEXT) | instid1(VALU_DEP_1)
	v_and_or_b32 v0, 0x8000, v12, v0
	v_and_or_b32 v0, 0x380, v11, v0
	s_delay_alu instid0(VALU_DEP_1)
	v_cvt_f32_f16_e64 v128, v0
.LBB365_1791:                           ;   in Loop: Header=BB365_927 Depth=1
	s_or_b32 exec_lo, exec_lo, s13
.LBB365_1792:                           ;   in Loop: Header=BB365_927 Depth=1
	s_delay_alu instid0(SALU_CYCLE_1)
	s_or_b32 exec_lo, exec_lo, s12
.LBB365_1793:                           ;   in Loop: Header=BB365_927 Depth=1
	s_delay_alu instid0(SALU_CYCLE_1) | instskip(SKIP_2) | instid1(VALU_DEP_1)
	s_or_b32 exec_lo, exec_lo, s10
	v_lshrrev_b16 v0, 8, v9
	s_mov_b32 s10, exec_lo
	v_cmpx_ne_u16_e32 0, v0
	s_cbranch_execz .LBB365_1801
; %bb.1794:                             ;   in Loop: Header=BB365_927 Depth=1
	v_bfrev_b32_e32 v129, 1
	s_mov_b32 s12, exec_lo
	v_cmpx_ne_u16_e32 0x80, v0
	s_cbranch_execz .LBB365_1800
; %bb.1795:                             ;   in Loop: Header=BB365_927 Depth=1
	v_and_b32_e32 v130, 0xffff, v0
	v_mov_b32_e32 v129, 0x7fc02000
	s_mov_b32 s13, exec_lo
	s_delay_alu instid0(VALU_DEP_2) | instskip(NEXT) | instid1(VALU_DEP_1)
	v_and_b32_e32 v131, 0x7f, v130
	v_cmpx_ne_u32_e32 0x7f, v131
	s_cbranch_execz .LBB365_1799
; %bb.1796:                             ;   in Loop: Header=BB365_927 Depth=1
	v_and_b32_e32 v0, 7, v130
	v_lshrrev_b32_e32 v129, 3, v131
	v_mov_b32_e32 v12, v1
	s_mov_b32 s15, exec_lo
	s_delay_alu instid0(VALU_DEP_3)
	v_mov_b32_e32 v11, v0
	v_cmpx_gt_u32_e32 8, v131
; %bb.1797:                             ;   in Loop: Header=BB365_927 Depth=1
	v_clz_i32_u32_e32 v11, v0
	s_delay_alu instid0(VALU_DEP_1) | instskip(NEXT) | instid1(VALU_DEP_1)
	v_min_u32_e32 v129, 32, v11
	v_subrev_nc_u32_e32 v11, 28, v129
	v_sub_nc_u32_e32 v129, 29, v129
	s_delay_alu instid0(VALU_DEP_2) | instskip(NEXT) | instid1(VALU_DEP_1)
	v_lshlrev_b64 v[11:12], v11, v[0:1]
	v_and_b32_e32 v11, 7, v11
; %bb.1798:                             ;   in Loop: Header=BB365_927 Depth=1
	s_or_b32 exec_lo, exec_lo, s15
	v_lshlrev_b32_e32 v0, 8, v130
	v_lshl_add_u32 v12, v129, 10, 0x2000
	s_delay_alu instid0(VALU_DEP_1) | instskip(NEXT) | instid1(VALU_DEP_1)
	v_and_or_b32 v0, 0x8000, v0, v12
	v_lshl_or_b32 v0, v11, 7, v0
	s_delay_alu instid0(VALU_DEP_1)
	v_cvt_f32_f16_e64 v129, v0
.LBB365_1799:                           ;   in Loop: Header=BB365_927 Depth=1
	s_or_b32 exec_lo, exec_lo, s13
.LBB365_1800:                           ;   in Loop: Header=BB365_927 Depth=1
	s_delay_alu instid0(SALU_CYCLE_1)
	s_or_b32 exec_lo, exec_lo, s12
.LBB365_1801:                           ;   in Loop: Header=BB365_927 Depth=1
	s_delay_alu instid0(SALU_CYCLE_1) | instskip(SKIP_3) | instid1(VALU_DEP_2)
	s_or_b32 exec_lo, exec_lo, s10
	v_lshrrev_b32_e32 v132, 16, v9
	v_mov_b32_e32 v130, 0
	s_mov_b32 s10, exec_lo
	v_dual_mov_b32 v131, 0 :: v_dual_and_b32 v0, 0xff, v132
	s_delay_alu instid0(VALU_DEP_1)
	v_cmpx_ne_u16_e32 0, v0
	s_cbranch_execz .LBB365_1809
; %bb.1802:                             ;   in Loop: Header=BB365_927 Depth=1
	v_bfrev_b32_e32 v130, 1
	s_mov_b32 s12, exec_lo
	v_cmpx_ne_u16_e32 0x80, v0
	s_cbranch_execz .LBB365_1808
; %bb.1803:                             ;   in Loop: Header=BB365_927 Depth=1
	v_bfe_u32 v133, v9, 16, 7
	v_mov_b32_e32 v130, 0x7fc02000
	s_mov_b32 s13, exec_lo
	s_delay_alu instid0(VALU_DEP_2)
	v_cmpx_ne_u32_e32 0x7f, v133
	s_cbranch_execz .LBB365_1807
; %bb.1804:                             ;   in Loop: Header=BB365_927 Depth=1
	v_and_b32_e32 v0, 7, v132
	v_lshrrev_b32_e32 v130, 3, v133
	v_mov_b32_e32 v12, v1
	s_mov_b32 s15, exec_lo
	s_delay_alu instid0(VALU_DEP_3)
	v_mov_b32_e32 v11, v0
	v_cmpx_gt_u32_e32 8, v133
; %bb.1805:                             ;   in Loop: Header=BB365_927 Depth=1
	v_clz_i32_u32_e32 v11, v0
	s_delay_alu instid0(VALU_DEP_1) | instskip(NEXT) | instid1(VALU_DEP_1)
	v_min_u32_e32 v130, 32, v11
	v_subrev_nc_u32_e32 v11, 28, v130
	v_sub_nc_u32_e32 v130, 29, v130
	s_delay_alu instid0(VALU_DEP_2) | instskip(NEXT) | instid1(VALU_DEP_1)
	v_lshlrev_b64 v[11:12], v11, v[0:1]
	v_and_b32_e32 v11, 7, v11
; %bb.1806:                             ;   in Loop: Header=BB365_927 Depth=1
	s_or_b32 exec_lo, exec_lo, s15
	v_lshlrev_b32_e32 v0, 8, v132
	v_lshl_add_u32 v12, v130, 10, 0x2000
	s_delay_alu instid0(VALU_DEP_1) | instskip(NEXT) | instid1(VALU_DEP_1)
	v_and_or_b32 v0, 0x8000, v0, v12
	v_lshl_or_b32 v0, v11, 7, v0
	s_delay_alu instid0(VALU_DEP_1)
	v_cvt_f32_f16_e64 v130, v0
.LBB365_1807:                           ;   in Loop: Header=BB365_927 Depth=1
	s_or_b32 exec_lo, exec_lo, s13
.LBB365_1808:                           ;   in Loop: Header=BB365_927 Depth=1
	s_delay_alu instid0(SALU_CYCLE_1)
	s_or_b32 exec_lo, exec_lo, s12
.LBB365_1809:                           ;   in Loop: Header=BB365_927 Depth=1
	s_delay_alu instid0(SALU_CYCLE_1) | instskip(NEXT) | instid1(SALU_CYCLE_1)
	s_or_b32 exec_lo, exec_lo, s10
	s_mov_b32 s10, exec_lo
	v_cmpx_lt_u32_e32 0xffffff, v9
	s_cbranch_execz .LBB365_1817
; %bb.1810:                             ;   in Loop: Header=BB365_927 Depth=1
	v_lshrrev_b32_e32 v132, 24, v9
	v_bfrev_b32_e32 v131, 1
	s_mov_b32 s12, exec_lo
	s_delay_alu instid0(VALU_DEP_2)
	v_cmpx_ne_u32_e32 0x80, v132
	s_cbranch_execz .LBB365_1816
; %bb.1811:                             ;   in Loop: Header=BB365_927 Depth=1
	v_and_b32_e32 v133, 0x7f, v132
	v_mov_b32_e32 v131, 0x7fc02000
	s_mov_b32 s13, exec_lo
	s_delay_alu instid0(VALU_DEP_2)
	v_cmpx_ne_u32_e32 0x7f, v133
	s_cbranch_execz .LBB365_1815
; %bb.1812:                             ;   in Loop: Header=BB365_927 Depth=1
	v_and_b32_e32 v0, 7, v132
	v_lshrrev_b32_e32 v131, 3, v133
	v_mov_b32_e32 v12, v1
	s_mov_b32 s15, exec_lo
	s_delay_alu instid0(VALU_DEP_3)
	v_mov_b32_e32 v11, v0
	v_cmpx_gt_u32_e32 8, v133
; %bb.1813:                             ;   in Loop: Header=BB365_927 Depth=1
	v_clz_i32_u32_e32 v11, v0
	s_delay_alu instid0(VALU_DEP_1) | instskip(NEXT) | instid1(VALU_DEP_1)
	v_min_u32_e32 v131, 32, v11
	v_subrev_nc_u32_e32 v11, 28, v131
	v_sub_nc_u32_e32 v131, 29, v131
	s_delay_alu instid0(VALU_DEP_2) | instskip(NEXT) | instid1(VALU_DEP_1)
	v_lshlrev_b64 v[11:12], v11, v[0:1]
	v_and_b32_e32 v11, 7, v11
; %bb.1814:                             ;   in Loop: Header=BB365_927 Depth=1
	s_or_b32 exec_lo, exec_lo, s15
	v_lshlrev_b32_e32 v0, 8, v132
	v_lshl_add_u32 v12, v131, 10, 0x2000
	s_delay_alu instid0(VALU_DEP_1) | instskip(NEXT) | instid1(VALU_DEP_1)
	v_and_or_b32 v0, 0x8000, v0, v12
	v_lshl_or_b32 v0, v11, 7, v0
	s_delay_alu instid0(VALU_DEP_1)
	v_cvt_f32_f16_e64 v131, v0
.LBB365_1815:                           ;   in Loop: Header=BB365_927 Depth=1
	s_or_b32 exec_lo, exec_lo, s13
.LBB365_1816:                           ;   in Loop: Header=BB365_927 Depth=1
	s_delay_alu instid0(SALU_CYCLE_1)
	s_or_b32 exec_lo, exec_lo, s12
.LBB365_1817:                           ;   in Loop: Header=BB365_927 Depth=1
	s_delay_alu instid0(SALU_CYCLE_1) | instskip(SKIP_3) | instid1(VALU_DEP_2)
	s_or_b32 exec_lo, exec_lo, s10
	v_dual_mov_b32 v0, v10 :: v_dual_and_b32 v11, 0xff, v10
	v_dual_mov_b32 v133, 0 :: v_dual_mov_b32 v132, 0
	s_mov_b32 s10, exec_lo
	v_cmpx_ne_u16_e32 0, v11
	s_cbranch_execz .LBB365_1825
; %bb.1818:                             ;   in Loop: Header=BB365_927 Depth=1
	v_bfrev_b32_e32 v132, 1
	s_mov_b32 s12, exec_lo
	v_cmpx_ne_u16_e32 0x80, v11
	s_cbranch_execz .LBB365_1824
; %bb.1819:                             ;   in Loop: Header=BB365_927 Depth=1
	v_and_b32_e32 v134, 0x7f, v10
	v_mov_b32_e32 v132, 0x7fc02000
	s_mov_b32 s13, exec_lo
	s_delay_alu instid0(VALU_DEP_2)
	v_cmpx_ne_u32_e32 0x7f, v134
	s_cbranch_execz .LBB365_1823
; %bb.1820:                             ;   in Loop: Header=BB365_927 Depth=1
	v_dual_mov_b32 v12, v1 :: v_dual_mov_b32 v11, v0
	v_lshrrev_b32_e32 v12, 3, v134
	s_mov_b32 s15, exec_lo
	v_cmpx_gt_u32_e32 8, v134
; %bb.1821:                             ;   in Loop: Header=BB365_927 Depth=1
	v_and_b32_e32 v11, 7, v10
	s_delay_alu instid0(VALU_DEP_1) | instskip(NEXT) | instid1(VALU_DEP_1)
	v_clz_i32_u32_e32 v11, v11
	v_min_u32_e32 v132, 32, v11
	s_delay_alu instid0(VALU_DEP_1) | instskip(NEXT) | instid1(VALU_DEP_1)
	v_subrev_nc_u32_e32 v11, 28, v132
	v_lshlrev_b64 v[11:12], v11, v[0:1]
	v_sub_nc_u32_e32 v12, 29, v132
; %bb.1822:                             ;   in Loop: Header=BB365_927 Depth=1
	s_or_b32 exec_lo, exec_lo, s15
	v_lshlrev_b32_e32 v132, 8, v10
	s_delay_alu instid0(VALU_DEP_2) | instskip(NEXT) | instid1(VALU_DEP_4)
	v_lshl_add_u32 v12, v12, 10, 0x2000
	v_lshlrev_b32_e32 v11, 7, v11
	s_delay_alu instid0(VALU_DEP_2) | instskip(NEXT) | instid1(VALU_DEP_1)
	v_and_or_b32 v12, 0x8000, v132, v12
	v_and_or_b32 v11, 0x380, v11, v12
	s_delay_alu instid0(VALU_DEP_1)
	v_cvt_f32_f16_e64 v132, v11
.LBB365_1823:                           ;   in Loop: Header=BB365_927 Depth=1
	s_or_b32 exec_lo, exec_lo, s13
.LBB365_1824:                           ;   in Loop: Header=BB365_927 Depth=1
	s_delay_alu instid0(SALU_CYCLE_1)
	s_or_b32 exec_lo, exec_lo, s12
.LBB365_1825:                           ;   in Loop: Header=BB365_927 Depth=1
	s_delay_alu instid0(SALU_CYCLE_1) | instskip(SKIP_2) | instid1(VALU_DEP_1)
	s_or_b32 exec_lo, exec_lo, s10
	v_lshrrev_b16 v0, 8, v0
	s_mov_b32 s10, exec_lo
	v_cmpx_ne_u16_e32 0, v0
	s_cbranch_execz .LBB365_1833
; %bb.1826:                             ;   in Loop: Header=BB365_927 Depth=1
	v_bfrev_b32_e32 v133, 1
	s_mov_b32 s12, exec_lo
	v_cmpx_ne_u16_e32 0x80, v0
	s_cbranch_execz .LBB365_1832
; %bb.1827:                             ;   in Loop: Header=BB365_927 Depth=1
	v_and_b32_e32 v134, 0xffff, v0
	v_mov_b32_e32 v133, 0x7fc02000
	s_mov_b32 s13, exec_lo
	s_delay_alu instid0(VALU_DEP_2) | instskip(NEXT) | instid1(VALU_DEP_1)
	v_and_b32_e32 v135, 0x7f, v134
	v_cmpx_ne_u32_e32 0x7f, v135
	s_cbranch_execz .LBB365_1831
; %bb.1828:                             ;   in Loop: Header=BB365_927 Depth=1
	v_and_b32_e32 v0, 7, v134
	v_lshrrev_b32_e32 v133, 3, v135
	v_mov_b32_e32 v12, v1
	s_mov_b32 s15, exec_lo
	s_delay_alu instid0(VALU_DEP_3)
	v_mov_b32_e32 v11, v0
	v_cmpx_gt_u32_e32 8, v135
; %bb.1829:                             ;   in Loop: Header=BB365_927 Depth=1
	v_clz_i32_u32_e32 v11, v0
	s_delay_alu instid0(VALU_DEP_1) | instskip(NEXT) | instid1(VALU_DEP_1)
	v_min_u32_e32 v133, 32, v11
	v_subrev_nc_u32_e32 v11, 28, v133
	v_sub_nc_u32_e32 v133, 29, v133
	s_delay_alu instid0(VALU_DEP_2) | instskip(NEXT) | instid1(VALU_DEP_1)
	v_lshlrev_b64 v[11:12], v11, v[0:1]
	v_and_b32_e32 v11, 7, v11
; %bb.1830:                             ;   in Loop: Header=BB365_927 Depth=1
	s_or_b32 exec_lo, exec_lo, s15
	v_lshlrev_b32_e32 v0, 8, v134
	v_lshl_add_u32 v12, v133, 10, 0x2000
	s_delay_alu instid0(VALU_DEP_1) | instskip(NEXT) | instid1(VALU_DEP_1)
	v_and_or_b32 v0, 0x8000, v0, v12
	v_lshl_or_b32 v0, v11, 7, v0
	s_delay_alu instid0(VALU_DEP_1)
	v_cvt_f32_f16_e64 v133, v0
.LBB365_1831:                           ;   in Loop: Header=BB365_927 Depth=1
	s_or_b32 exec_lo, exec_lo, s13
.LBB365_1832:                           ;   in Loop: Header=BB365_927 Depth=1
	s_delay_alu instid0(SALU_CYCLE_1)
	s_or_b32 exec_lo, exec_lo, s12
.LBB365_1833:                           ;   in Loop: Header=BB365_927 Depth=1
	s_delay_alu instid0(SALU_CYCLE_1) | instskip(SKIP_3) | instid1(VALU_DEP_2)
	s_or_b32 exec_lo, exec_lo, s10
	v_lshrrev_b32_e32 v135, 16, v10
	v_mov_b32_e32 v134, 0
	s_mov_b32 s10, exec_lo
	v_dual_mov_b32 v11, 0 :: v_dual_and_b32 v0, 0xff, v135
	s_delay_alu instid0(VALU_DEP_1)
	v_cmpx_ne_u16_e32 0, v0
	s_cbranch_execz .LBB365_1841
; %bb.1834:                             ;   in Loop: Header=BB365_927 Depth=1
	v_bfrev_b32_e32 v11, 1
	s_mov_b32 s12, exec_lo
	v_cmpx_ne_u16_e32 0x80, v0
	s_cbranch_execz .LBB365_1840
; %bb.1835:                             ;   in Loop: Header=BB365_927 Depth=1
	v_bfe_u32 v145, v10, 16, 7
	v_mov_b32_e32 v11, 0x7fc02000
	s_mov_b32 s13, exec_lo
	s_delay_alu instid0(VALU_DEP_2)
	v_cmpx_ne_u32_e32 0x7f, v145
	s_cbranch_execz .LBB365_1839
; %bb.1836:                             ;   in Loop: Header=BB365_927 Depth=1
	v_and_b32_e32 v0, 7, v135
	v_lshrrev_b32_e32 v144, 3, v145
	v_mov_b32_e32 v12, v1
	s_mov_b32 s15, exec_lo
	s_delay_alu instid0(VALU_DEP_3)
	v_mov_b32_e32 v11, v0
	v_cmpx_gt_u32_e32 8, v145
; %bb.1837:                             ;   in Loop: Header=BB365_927 Depth=1
	v_clz_i32_u32_e32 v11, v0
	s_delay_alu instid0(VALU_DEP_1) | instskip(NEXT) | instid1(VALU_DEP_1)
	v_min_u32_e32 v144, 32, v11
	v_subrev_nc_u32_e32 v11, 28, v144
	v_sub_nc_u32_e32 v144, 29, v144
	s_delay_alu instid0(VALU_DEP_2) | instskip(NEXT) | instid1(VALU_DEP_1)
	v_lshlrev_b64 v[11:12], v11, v[0:1]
	v_and_b32_e32 v11, 7, v11
; %bb.1838:                             ;   in Loop: Header=BB365_927 Depth=1
	s_or_b32 exec_lo, exec_lo, s15
	v_lshlrev_b32_e32 v0, 8, v135
	v_lshl_add_u32 v12, v144, 10, 0x2000
	s_delay_alu instid0(VALU_DEP_1) | instskip(NEXT) | instid1(VALU_DEP_1)
	v_and_or_b32 v0, 0x8000, v0, v12
	v_lshl_or_b32 v0, v11, 7, v0
	s_delay_alu instid0(VALU_DEP_1)
	v_cvt_f32_f16_e32 v11, v0
.LBB365_1839:                           ;   in Loop: Header=BB365_927 Depth=1
	s_or_b32 exec_lo, exec_lo, s13
.LBB365_1840:                           ;   in Loop: Header=BB365_927 Depth=1
	s_delay_alu instid0(SALU_CYCLE_1)
	s_or_b32 exec_lo, exec_lo, s12
.LBB365_1841:                           ;   in Loop: Header=BB365_927 Depth=1
	s_delay_alu instid0(SALU_CYCLE_1) | instskip(NEXT) | instid1(SALU_CYCLE_1)
	s_or_b32 exec_lo, exec_lo, s10
	s_mov_b32 s10, exec_lo
	v_cmpx_lt_u64_e64 s[8:9], v[9:10]
	s_cbranch_execz .LBB365_1849
; %bb.1842:                             ;   in Loop: Header=BB365_927 Depth=1
	v_lshrrev_b32_e32 v12, 24, v10
	v_bfrev_b32_e32 v134, 1
	s_mov_b32 s12, exec_lo
	s_delay_alu instid0(VALU_DEP_2)
	v_cmpx_ne_u32_e32 0x80, v12
	s_cbranch_execz .LBB365_1848
; %bb.1843:                             ;   in Loop: Header=BB365_927 Depth=1
	v_and_b32_e32 v135, 0x7f, v12
	v_mov_b32_e32 v134, 0x7fc02000
	s_mov_b32 s13, exec_lo
	s_delay_alu instid0(VALU_DEP_2)
	v_cmpx_ne_u32_e32 0x7f, v135
	s_cbranch_execz .LBB365_1847
; %bb.1844:                             ;   in Loop: Header=BB365_927 Depth=1
	v_and_b32_e32 v0, 7, v12
	v_lshrrev_b32_e32 v134, 3, v135
	v_mov_b32_e32 v10, v1
	s_mov_b32 s15, exec_lo
	s_delay_alu instid0(VALU_DEP_3)
	v_mov_b32_e32 v9, v0
	v_cmpx_gt_u32_e32 8, v135
; %bb.1845:                             ;   in Loop: Header=BB365_927 Depth=1
	v_clz_i32_u32_e32 v9, v0
	s_delay_alu instid0(VALU_DEP_1) | instskip(NEXT) | instid1(VALU_DEP_1)
	v_min_u32_e32 v134, 32, v9
	v_subrev_nc_u32_e32 v9, 28, v134
	v_sub_nc_u32_e32 v134, 29, v134
	s_delay_alu instid0(VALU_DEP_2) | instskip(NEXT) | instid1(VALU_DEP_1)
	v_lshlrev_b64 v[9:10], v9, v[0:1]
	v_and_b32_e32 v9, 7, v9
; %bb.1846:                             ;   in Loop: Header=BB365_927 Depth=1
	s_or_b32 exec_lo, exec_lo, s15
	v_lshlrev_b32_e32 v0, 8, v12
	v_lshl_add_u32 v10, v134, 10, 0x2000
	s_delay_alu instid0(VALU_DEP_1) | instskip(NEXT) | instid1(VALU_DEP_1)
	v_and_or_b32 v0, 0x8000, v0, v10
	v_lshl_or_b32 v0, v9, 7, v0
	s_delay_alu instid0(VALU_DEP_1)
	v_cvt_f32_f16_e64 v134, v0
.LBB365_1847:                           ;   in Loop: Header=BB365_927 Depth=1
	s_or_b32 exec_lo, exec_lo, s13
.LBB365_1848:                           ;   in Loop: Header=BB365_927 Depth=1
	s_delay_alu instid0(SALU_CYCLE_1)
	s_or_b32 exec_lo, exec_lo, s12
.LBB365_1849:                           ;   in Loop: Header=BB365_927 Depth=1
	s_delay_alu instid0(SALU_CYCLE_1)
	s_or_b32 exec_lo, exec_lo, s10
	s_waitcnt vmcnt(0) lgkmcnt(0)
	v_fma_mixlo_f16 v10, v119, v129, 0
	v_fma_mixlo_f16 v0, v119, v131, 0
	;; [unrolled: 1-line block ×5, first 2 shown]
	v_lshlrev_b32_e32 v129, 16, v10
	v_fma_mixlo_f16 v10, v119, v128, 0
	v_fma_mixlo_f16 v128, v119, v133, 0
	v_fma_mixlo_f16 v12, v119, v11, 0
	v_lshlrev_b32_e32 v0, 16, v0
	v_and_b32_e32 v9, 0xffff, v9
	v_and_b32_e32 v11, 0xffff, v10
	v_lshlrev_b32_e32 v119, 16, v128
	v_and_b32_e32 v128, 0xffff, v130
	v_lshlrev_b32_e32 v130, 16, v131
	v_and_b32_e32 v131, 0xffff, v12
	v_or_b32_e32 v10, v0, v9
	v_or_b32_e32 v11, v129, v11
	;; [unrolled: 1-line block ×3, first 2 shown]
	s_delay_alu instid0(VALU_DEP_4)
	v_or_b32_e32 v9, v130, v131
	s_and_saveexec_b32 s0, vcc_lo
	s_cbranch_execz .LBB365_926
; %bb.1850:                             ;   in Loop: Header=BB365_927 Depth=1
	v_cmp_lt_i32_e32 vcc_lo, v15, v35
	v_lshrrev_b32_e32 v119, 16, v11
	v_lshrrev_b32_e32 v128, 16, v10
	;; [unrolled: 1-line block ×3, first 2 shown]
	v_cndmask_b32_e32 v11, 0, v11, vcc_lo
	v_cmp_lt_i32_e32 vcc_lo, v80, v48
	v_cndmask_b32_e32 v80, 0, v119, vcc_lo
	v_cmp_lt_i32_e32 vcc_lo, v69, v48
	v_lshrrev_b32_e32 v119, 16, v0
	v_cndmask_b32_e32 v69, 0, v128, vcc_lo
	v_cmp_lt_i32_e32 vcc_lo, v64, v35
	v_cndmask_b32_e32 v10, 0, v10, vcc_lo
	v_cmp_lt_i32_e32 vcc_lo, v55, v48
	v_perm_b32 v11, v80, v11, 0x5040100
	s_delay_alu instid0(VALU_DEP_3) | instskip(SKIP_4) | instid1(VALU_DEP_2)
	v_perm_b32 v10, v69, v10, 0x5040100
	v_cndmask_b32_e32 v55, 0, v119, vcc_lo
	v_cmp_lt_i32_e32 vcc_lo, v54, v35
	v_cndmask_b32_e32 v0, 0, v0, vcc_lo
	v_cmp_lt_i32_e32 vcc_lo, v38, v48
	v_perm_b32 v0, v55, v0, 0x5040100
	v_cndmask_b32_e32 v9, 0, v9, vcc_lo
	v_cmp_lt_i32_e32 vcc_lo, v17, v35
	v_cndmask_b32_e32 v12, 0, v12, vcc_lo
	s_delay_alu instid0(VALU_DEP_1)
	v_perm_b32 v9, v9, v12, 0x5040100
	s_branch .LBB365_926
.LBB365_1851:
	s_or_b32 exec_lo, exec_lo, s5
	v_dual_mov_b32 v0, s6 :: v_dual_mov_b32 v1, s7
.LBB365_1852:
	s_or_b32 exec_lo, exec_lo, s3
	s_delay_alu instid0(VALU_DEP_1)
	v_lshlrev_b64 v[0:1], 2, v[0:1]
	s_getpc_b64 s[6:7]
	s_add_u32 s6, s6, llvm.amdgcn.dynlds.offset.table@rel32@lo+4
	s_addc_u32 s7, s7, llvm.amdgcn.dynlds.offset.table@rel32@hi+12
	s_waitcnt lgkmcnt(0)
	s_waitcnt_vscnt null, 0x0
	s_barrier
	buffer_gl0_inv
	ds_bpermute_b32 v2, v19, v52
	v_add_co_u32 v0, vcc_lo, v0, s6
	v_add_co_ci_u32_e32 v1, vcc_lo, s7, v1, vcc_lo
	ds_bpermute_b32 v3, v19, v51
	ds_bpermute_b32 v6, v19, v49
	;; [unrolled: 1-line block ×3, first 2 shown]
	global_load_b32 v17, v[0:1], off
	ds_bpermute_b32 v0, v19, v50
	ds_bpermute_b32 v1, v19, v53
	;; [unrolled: 1-line block ×10, first 2 shown]
	v_lshrrev_b32_e32 v16, 2, v37
	s_waitcnt lgkmcnt(12)
	v_dual_add_f32 v2, v52, v2 :: v_dual_add_f32 v3, v51, v3
	s_waitcnt lgkmcnt(11)
	v_add_f32_e32 v6, v49, v6
	s_waitcnt lgkmcnt(9)
	v_dual_add_f32 v7, v33, v7 :: v_dual_add_f32 v0, v50, v0
	s_waitcnt lgkmcnt(7)
	v_dual_add_f32 v1, v53, v1 :: v_dual_add_f32 v8, v32, v8
	;; [unrolled: 2-line block ×5, first 2 shown]
	s_waitcnt lgkmcnt(0)
	v_add_f32_e32 v21, v21, v15
	ds_bpermute_b32 v9, v18, v0
	ds_bpermute_b32 v10, v18, v1
	;; [unrolled: 1-line block ×14, first 2 shown]
	v_and_b32_e32 v13, 0x3c3, v34
	s_waitcnt lgkmcnt(12)
	v_dual_add_f32 v15, v0, v9 :: v_dual_add_f32 v14, v1, v10
	s_waitcnt lgkmcnt(10)
	v_add_f32_e32 v12, v3, v12
	v_cmp_eq_u32_e32 vcc_lo, 64, v13
	s_waitcnt lgkmcnt(8)
	v_dual_add_f32 v13, v2, v11 :: v_dual_add_f32 v10, v7, v28
	v_add_f32_e32 v11, v6, v27
	s_waitcnt lgkmcnt(4)
	v_dual_add_f32 v9, v8, v29 :: v_dual_add_f32 v6, v23, v32
	v_dual_add_f32 v8, v19, v30 :: v_dual_add_f32 v7, v22, v31
	s_waitcnt lgkmcnt(2)
	v_dual_add_f32 v3, v26, v33 :: v_dual_add_f32 v2, v25, v35
	s_waitcnt lgkmcnt(1)
	v_add_f32_e32 v1, v24, v38
	s_waitcnt lgkmcnt(0)
	v_add_f32_e32 v0, v21, v18
	v_lshlrev_b32_e32 v18, 2, v16
	s_waitcnt vmcnt(0)
	v_mad_u32_u24 v17, 0x1c0, v36, v17
	s_and_saveexec_b32 s0, vcc_lo
	s_cbranch_execz .LBB365_1854
; %bb.1853:
	s_delay_alu instid0(VALU_DEP_1)
	v_add3_u32 v19, v17, v18, 0xfffffc80
	ds_store_2addr_b32 v19, v15, v14 offset1:8
	ds_store_2addr_b32 v19, v13, v12 offset0:16 offset1:24
	ds_store_2addr_b32 v19, v11, v10 offset0:32 offset1:40
	ds_store_2addr_b32 v19, v9, v8 offset0:48 offset1:56
	ds_store_2addr_b32 v19, v7, v6 offset0:64 offset1:72
	ds_store_2addr_b32 v19, v3, v2 offset0:80 offset1:88
	ds_store_2addr_b32 v19, v1, v0 offset0:96 offset1:104
.LBB365_1854:
	s_or_b32 exec_lo, exec_lo, s0
	v_cmp_eq_u32_e32 vcc_lo, 0, v20
	s_mov_b32 s3, exec_lo
	s_waitcnt lgkmcnt(0)
	s_barrier
	buffer_gl0_inv
	v_cmpx_gt_u32_e32 64, v34
	s_cbranch_execz .LBB365_1871
; %bb.1855:
	s_and_saveexec_b32 s0, vcc_lo
	s_cbranch_execnz .LBB365_1893
; %bb.1856:
	s_or_b32 exec_lo, exec_lo, s0
	s_and_saveexec_b32 s0, vcc_lo
	s_cbranch_execnz .LBB365_1894
.LBB365_1857:
	s_or_b32 exec_lo, exec_lo, s0
	s_and_saveexec_b32 s0, vcc_lo
	s_cbranch_execnz .LBB365_1895
.LBB365_1858:
	s_or_b32 exec_lo, exec_lo, s0
	s_and_saveexec_b32 s0, vcc_lo
	s_cbranch_execnz .LBB365_1896
.LBB365_1859:
	s_or_b32 exec_lo, exec_lo, s0
	s_and_saveexec_b32 s0, vcc_lo
	s_cbranch_execnz .LBB365_1897
.LBB365_1860:
	s_or_b32 exec_lo, exec_lo, s0
	s_and_saveexec_b32 s0, vcc_lo
	s_cbranch_execnz .LBB365_1898
.LBB365_1861:
	s_or_b32 exec_lo, exec_lo, s0
	s_and_saveexec_b32 s0, vcc_lo
	s_cbranch_execnz .LBB365_1899
.LBB365_1862:
	s_or_b32 exec_lo, exec_lo, s0
	s_and_saveexec_b32 s0, vcc_lo
	s_cbranch_execnz .LBB365_1900
.LBB365_1863:
	s_or_b32 exec_lo, exec_lo, s0
	s_and_saveexec_b32 s0, vcc_lo
	s_cbranch_execnz .LBB365_1901
.LBB365_1864:
	s_or_b32 exec_lo, exec_lo, s0
	s_and_saveexec_b32 s0, vcc_lo
	s_cbranch_execnz .LBB365_1902
.LBB365_1865:
	s_or_b32 exec_lo, exec_lo, s0
	s_and_saveexec_b32 s0, vcc_lo
	s_cbranch_execnz .LBB365_1903
.LBB365_1866:
	s_or_b32 exec_lo, exec_lo, s0
	s_and_saveexec_b32 s0, vcc_lo
	s_cbranch_execnz .LBB365_1904
.LBB365_1867:
	s_or_b32 exec_lo, exec_lo, s0
	s_and_saveexec_b32 s0, vcc_lo
	s_cbranch_execnz .LBB365_1905
.LBB365_1868:
	s_or_b32 exec_lo, exec_lo, s0
	s_and_saveexec_b32 s0, vcc_lo
	s_cbranch_execz .LBB365_1870
.LBB365_1869:
	v_lshl_add_u32 v19, v16, 2, v17
	ds_load_b32 v19, v19 offset:416
	s_waitcnt lgkmcnt(0)
	v_add_f32_e32 v0, v19, v0
.LBB365_1870:
	s_or_b32 exec_lo, exec_lo, s0
.LBB365_1871:
	s_delay_alu instid0(SALU_CYCLE_1)
	s_or_b32 exec_lo, exec_lo, s3
	v_and_b32_e32 v19, 0x3e3, v34
	s_mov_b32 s3, exec_lo
	s_barrier
	buffer_gl0_inv
	v_cmpx_eq_u32_e32 32, v19
	s_cbranch_execz .LBB365_1873
; %bb.1872:
	v_add3_u32 v18, v17, v18, 0xfffffe40
	ds_store_2addr_b32 v18, v15, v14 offset1:8
	ds_store_2addr_b32 v18, v13, v12 offset0:16 offset1:24
	ds_store_2addr_b32 v18, v11, v10 offset0:32 offset1:40
	;; [unrolled: 1-line block ×6, first 2 shown]
.LBB365_1873:
	s_or_b32 exec_lo, exec_lo, s3
	s_delay_alu instid0(SALU_CYCLE_1)
	s_mov_b32 s3, exec_lo
	s_waitcnt lgkmcnt(0)
	s_barrier
	buffer_gl0_inv
	v_cmpx_gt_u32_e32 32, v34
	s_cbranch_execz .LBB365_1890
; %bb.1874:
	v_lshl_add_u32 v16, v16, 2, v17
	s_and_saveexec_b32 s0, vcc_lo
	s_cbranch_execnz .LBB365_1906
; %bb.1875:
	s_or_b32 exec_lo, exec_lo, s0
	s_and_saveexec_b32 s0, vcc_lo
	s_cbranch_execnz .LBB365_1907
.LBB365_1876:
	s_or_b32 exec_lo, exec_lo, s0
	s_and_saveexec_b32 s0, vcc_lo
	s_cbranch_execnz .LBB365_1908
.LBB365_1877:
	s_or_b32 exec_lo, exec_lo, s0
	s_and_saveexec_b32 s0, vcc_lo
	s_cbranch_execnz .LBB365_1909
.LBB365_1878:
	s_or_b32 exec_lo, exec_lo, s0
	s_and_saveexec_b32 s0, vcc_lo
	s_cbranch_execnz .LBB365_1910
.LBB365_1879:
	s_or_b32 exec_lo, exec_lo, s0
	s_and_saveexec_b32 s0, vcc_lo
	s_cbranch_execnz .LBB365_1911
.LBB365_1880:
	s_or_b32 exec_lo, exec_lo, s0
	s_and_saveexec_b32 s0, vcc_lo
	s_cbranch_execnz .LBB365_1912
.LBB365_1881:
	s_or_b32 exec_lo, exec_lo, s0
	s_and_saveexec_b32 s0, vcc_lo
	s_cbranch_execnz .LBB365_1913
.LBB365_1882:
	s_or_b32 exec_lo, exec_lo, s0
	s_and_saveexec_b32 s0, vcc_lo
	s_cbranch_execnz .LBB365_1914
.LBB365_1883:
	s_or_b32 exec_lo, exec_lo, s0
	s_and_saveexec_b32 s0, vcc_lo
	s_cbranch_execnz .LBB365_1915
.LBB365_1884:
	s_or_b32 exec_lo, exec_lo, s0
	s_and_saveexec_b32 s0, vcc_lo
	s_cbranch_execnz .LBB365_1916
.LBB365_1885:
	s_or_b32 exec_lo, exec_lo, s0
	s_and_saveexec_b32 s0, vcc_lo
	s_cbranch_execnz .LBB365_1917
.LBB365_1886:
	s_or_b32 exec_lo, exec_lo, s0
	s_and_saveexec_b32 s0, vcc_lo
	s_cbranch_execnz .LBB365_1918
.LBB365_1887:
	s_or_b32 exec_lo, exec_lo, s0
	s_and_saveexec_b32 s0, vcc_lo
	s_cbranch_execz .LBB365_1889
.LBB365_1888:
	ds_load_b32 v16, v16 offset:416
	s_waitcnt lgkmcnt(0)
	v_add_f32_e32 v0, v16, v0
.LBB365_1889:
	s_or_b32 exec_lo, exec_lo, s0
.LBB365_1890:
	s_delay_alu instid0(SALU_CYCLE_1)
	s_or_b32 exec_lo, exec_lo, s3
	v_cmp_eq_u32_e32 vcc_lo, 0, v19
	s_barrier
	buffer_gl0_inv
	s_and_b32 exec_lo, exec_lo, vcc_lo
	s_cbranch_execz .LBB365_1892
; %bb.1891:
	s_mul_i32 s0, s2, 0x70
	s_mul_i32 s2, s4, s1
	;; [unrolled: 1-line block ×3, first 2 shown]
	s_ashr_i32 s3, s2, 31
	s_ashr_i32 s5, s4, 31
	;; [unrolled: 1-line block ×3, first 2 shown]
	s_lshl_b64 s[2:3], s[2:3], 1
	s_lshl_b64 s[4:5], s[4:5], 1
	s_lshl_b64 s[0:1], s[0:1], 1
	s_add_u32 s2, s4, s2
	s_addc_u32 s3, s5, s3
	s_add_u32 s0, s2, s0
	s_addc_u32 s1, s3, s1
	v_lshrrev_b32_e32 v16, 1, v34
	v_add_co_u32 v4, vcc_lo, s0, v4
	v_add_co_ci_u32_e32 v5, vcc_lo, s1, v5, vcc_lo
	;;#ASMSTART
	v_cvt_f16_f32 v15, v15;

	;;#ASMEND
	s_delay_alu instid0(VALU_DEP_2) | instskip(NEXT) | instid1(VALU_DEP_2)
	v_add_co_u32 v4, vcc_lo, v4, v16
	v_add_co_ci_u32_e32 v5, vcc_lo, 0, v5, vcc_lo
	flat_store_b16 v[4:5], v15
	;;#ASMSTART
	v_cvt_f16_f32 v14, v14;

	;;#ASMEND
	flat_store_b16 v[4:5], v14 offset:16
	;;#ASMSTART
	v_cvt_f16_f32 v13, v13;

	;;#ASMEND
	flat_store_b16 v[4:5], v13 offset:32
	;;#ASMSTART
	v_cvt_f16_f32 v12, v12;

	;;#ASMEND
	flat_store_b16 v[4:5], v12 offset:48
	;;#ASMSTART
	v_cvt_f16_f32 v11, v11;

	;;#ASMEND
	flat_store_b16 v[4:5], v11 offset:64
	;;#ASMSTART
	v_cvt_f16_f32 v10, v10;

	;;#ASMEND
	flat_store_b16 v[4:5], v10 offset:80
	;;#ASMSTART
	v_cvt_f16_f32 v9, v9;

	;;#ASMEND
	flat_store_b16 v[4:5], v9 offset:96
	;;#ASMSTART
	v_cvt_f16_f32 v8, v8;

	;;#ASMEND
	flat_store_b16 v[4:5], v8 offset:112
	;;#ASMSTART
	v_cvt_f16_f32 v7, v7;

	;;#ASMEND
	flat_store_b16 v[4:5], v7 offset:128
	;;#ASMSTART
	v_cvt_f16_f32 v6, v6;

	;;#ASMEND
	flat_store_b16 v[4:5], v6 offset:144
	;;#ASMSTART
	v_cvt_f16_f32 v3, v3;

	;;#ASMEND
	flat_store_b16 v[4:5], v3 offset:160
	;;#ASMSTART
	v_cvt_f16_f32 v2, v2;

	;;#ASMEND
	flat_store_b16 v[4:5], v2 offset:176
	;;#ASMSTART
	v_cvt_f16_f32 v1, v1;

	;;#ASMEND
	flat_store_b16 v[4:5], v1 offset:192
	;;#ASMSTART
	v_cvt_f16_f32 v0, v0;

	;;#ASMEND
	flat_store_b16 v[4:5], v0 offset:208
.LBB365_1892:
	s_or_b32 exec_lo, exec_lo, s11
	s_clause 0x1f
	scratch_load_b32 v153, off, s32
	scratch_load_b32 v152, off, s32 offset:4
	scratch_load_b32 v143, off, s32 offset:8
	;; [unrolled: 1-line block ×31, first 2 shown]
	s_clause 0x19
	scratch_load_b32 v89, off, s32 offset:128
	scratch_load_b32 v88, off, s32 offset:132
	;; [unrolled: 1-line block ×26, first 2 shown]
	s_waitcnt vmcnt(0) lgkmcnt(0)
	s_setpc_b64 s[30:31]
.LBB365_1893:
	v_lshl_add_u32 v19, v16, 2, v17
	ds_load_b32 v19, v19
	s_waitcnt lgkmcnt(0)
	v_add_f32_e32 v15, v19, v15
	s_or_b32 exec_lo, exec_lo, s0
	s_and_saveexec_b32 s0, vcc_lo
	s_cbranch_execz .LBB365_1857
.LBB365_1894:
	v_lshl_add_u32 v19, v16, 2, v17
	ds_load_b32 v19, v19 offset:32
	s_waitcnt lgkmcnt(0)
	v_add_f32_e32 v14, v19, v14
	s_or_b32 exec_lo, exec_lo, s0
	s_and_saveexec_b32 s0, vcc_lo
	s_cbranch_execz .LBB365_1858
.LBB365_1895:
	v_lshl_add_u32 v19, v16, 2, v17
	ds_load_b32 v19, v19 offset:64
	s_waitcnt lgkmcnt(0)
	v_add_f32_e32 v13, v19, v13
	s_or_b32 exec_lo, exec_lo, s0
	s_and_saveexec_b32 s0, vcc_lo
	s_cbranch_execz .LBB365_1859
.LBB365_1896:
	v_lshl_add_u32 v19, v16, 2, v17
	ds_load_b32 v19, v19 offset:96
	s_waitcnt lgkmcnt(0)
	v_add_f32_e32 v12, v19, v12
	s_or_b32 exec_lo, exec_lo, s0
	s_and_saveexec_b32 s0, vcc_lo
	s_cbranch_execz .LBB365_1860
.LBB365_1897:
	v_lshl_add_u32 v19, v16, 2, v17
	ds_load_b32 v19, v19 offset:128
	s_waitcnt lgkmcnt(0)
	v_add_f32_e32 v11, v19, v11
	s_or_b32 exec_lo, exec_lo, s0
	s_and_saveexec_b32 s0, vcc_lo
	s_cbranch_execz .LBB365_1861
.LBB365_1898:
	v_lshl_add_u32 v19, v16, 2, v17
	ds_load_b32 v19, v19 offset:160
	s_waitcnt lgkmcnt(0)
	v_add_f32_e32 v10, v19, v10
	s_or_b32 exec_lo, exec_lo, s0
	s_and_saveexec_b32 s0, vcc_lo
	s_cbranch_execz .LBB365_1862
.LBB365_1899:
	v_lshl_add_u32 v19, v16, 2, v17
	ds_load_b32 v19, v19 offset:192
	s_waitcnt lgkmcnt(0)
	v_add_f32_e32 v9, v19, v9
	s_or_b32 exec_lo, exec_lo, s0
	s_and_saveexec_b32 s0, vcc_lo
	s_cbranch_execz .LBB365_1863
.LBB365_1900:
	v_lshl_add_u32 v19, v16, 2, v17
	ds_load_b32 v19, v19 offset:224
	s_waitcnt lgkmcnt(0)
	v_add_f32_e32 v8, v19, v8
	s_or_b32 exec_lo, exec_lo, s0
	s_and_saveexec_b32 s0, vcc_lo
	s_cbranch_execz .LBB365_1864
.LBB365_1901:
	v_lshl_add_u32 v19, v16, 2, v17
	ds_load_b32 v19, v19 offset:256
	s_waitcnt lgkmcnt(0)
	v_add_f32_e32 v7, v19, v7
	s_or_b32 exec_lo, exec_lo, s0
	s_and_saveexec_b32 s0, vcc_lo
	s_cbranch_execz .LBB365_1865
.LBB365_1902:
	v_lshl_add_u32 v19, v16, 2, v17
	ds_load_b32 v19, v19 offset:288
	s_waitcnt lgkmcnt(0)
	v_add_f32_e32 v6, v19, v6
	s_or_b32 exec_lo, exec_lo, s0
	s_and_saveexec_b32 s0, vcc_lo
	s_cbranch_execz .LBB365_1866
.LBB365_1903:
	v_lshl_add_u32 v19, v16, 2, v17
	ds_load_b32 v19, v19 offset:320
	s_waitcnt lgkmcnt(0)
	v_add_f32_e32 v3, v19, v3
	s_or_b32 exec_lo, exec_lo, s0
	s_and_saveexec_b32 s0, vcc_lo
	s_cbranch_execz .LBB365_1867
.LBB365_1904:
	v_lshl_add_u32 v19, v16, 2, v17
	ds_load_b32 v19, v19 offset:352
	s_waitcnt lgkmcnt(0)
	v_add_f32_e32 v2, v19, v2
	s_or_b32 exec_lo, exec_lo, s0
	s_and_saveexec_b32 s0, vcc_lo
	s_cbranch_execz .LBB365_1868
.LBB365_1905:
	v_lshl_add_u32 v19, v16, 2, v17
	ds_load_b32 v19, v19 offset:384
	s_waitcnt lgkmcnt(0)
	v_add_f32_e32 v1, v19, v1
	s_or_b32 exec_lo, exec_lo, s0
	s_and_saveexec_b32 s0, vcc_lo
	s_cbranch_execnz .LBB365_1869
	s_branch .LBB365_1870
.LBB365_1906:
	ds_load_b32 v17, v16
	s_waitcnt lgkmcnt(0)
	v_add_f32_e32 v15, v17, v15
	s_or_b32 exec_lo, exec_lo, s0
	s_and_saveexec_b32 s0, vcc_lo
	s_cbranch_execz .LBB365_1876
.LBB365_1907:
	ds_load_b32 v17, v16 offset:32
	s_waitcnt lgkmcnt(0)
	v_add_f32_e32 v14, v17, v14
	s_or_b32 exec_lo, exec_lo, s0
	s_and_saveexec_b32 s0, vcc_lo
	s_cbranch_execz .LBB365_1877
.LBB365_1908:
	ds_load_b32 v17, v16 offset:64
	s_waitcnt lgkmcnt(0)
	v_add_f32_e32 v13, v17, v13
	s_or_b32 exec_lo, exec_lo, s0
	s_and_saveexec_b32 s0, vcc_lo
	s_cbranch_execz .LBB365_1878
.LBB365_1909:
	ds_load_b32 v17, v16 offset:96
	s_waitcnt lgkmcnt(0)
	v_add_f32_e32 v12, v17, v12
	s_or_b32 exec_lo, exec_lo, s0
	s_and_saveexec_b32 s0, vcc_lo
	s_cbranch_execz .LBB365_1879
.LBB365_1910:
	ds_load_b32 v17, v16 offset:128
	s_waitcnt lgkmcnt(0)
	v_add_f32_e32 v11, v17, v11
	s_or_b32 exec_lo, exec_lo, s0
	s_and_saveexec_b32 s0, vcc_lo
	s_cbranch_execz .LBB365_1880
.LBB365_1911:
	ds_load_b32 v17, v16 offset:160
	s_waitcnt lgkmcnt(0)
	v_add_f32_e32 v10, v17, v10
	s_or_b32 exec_lo, exec_lo, s0
	s_and_saveexec_b32 s0, vcc_lo
	s_cbranch_execz .LBB365_1881
.LBB365_1912:
	ds_load_b32 v17, v16 offset:192
	s_waitcnt lgkmcnt(0)
	v_add_f32_e32 v9, v17, v9
	s_or_b32 exec_lo, exec_lo, s0
	s_and_saveexec_b32 s0, vcc_lo
	s_cbranch_execz .LBB365_1882
.LBB365_1913:
	ds_load_b32 v17, v16 offset:224
	s_waitcnt lgkmcnt(0)
	v_add_f32_e32 v8, v17, v8
	s_or_b32 exec_lo, exec_lo, s0
	s_and_saveexec_b32 s0, vcc_lo
	s_cbranch_execz .LBB365_1883
.LBB365_1914:
	ds_load_b32 v17, v16 offset:256
	s_waitcnt lgkmcnt(0)
	v_add_f32_e32 v7, v17, v7
	s_or_b32 exec_lo, exec_lo, s0
	s_and_saveexec_b32 s0, vcc_lo
	s_cbranch_execz .LBB365_1884
.LBB365_1915:
	ds_load_b32 v17, v16 offset:288
	s_waitcnt lgkmcnt(0)
	v_add_f32_e32 v6, v17, v6
	s_or_b32 exec_lo, exec_lo, s0
	s_and_saveexec_b32 s0, vcc_lo
	s_cbranch_execz .LBB365_1885
.LBB365_1916:
	ds_load_b32 v17, v16 offset:320
	s_waitcnt lgkmcnt(0)
	v_add_f32_e32 v3, v17, v3
	s_or_b32 exec_lo, exec_lo, s0
	s_and_saveexec_b32 s0, vcc_lo
	s_cbranch_execz .LBB365_1886
.LBB365_1917:
	ds_load_b32 v17, v16 offset:352
	s_waitcnt lgkmcnt(0)
	v_add_f32_e32 v2, v17, v2
	s_or_b32 exec_lo, exec_lo, s0
	s_and_saveexec_b32 s0, vcc_lo
	s_cbranch_execz .LBB365_1887
.LBB365_1918:
	ds_load_b32 v17, v16 offset:384
	s_waitcnt lgkmcnt(0)
	v_add_f32_e32 v1, v17, v1
	s_or_b32 exec_lo, exec_lo, s0
	s_and_saveexec_b32 s0, vcc_lo
	s_cbranch_execnz .LBB365_1888
	s_branch .LBB365_1889
.Lfunc_end365:
	.size	_ZN4vllm22paged_attention_kernelIthLi112ELi32ELi128ELNS_18Fp8KVCacheDataTypeE1ELb0ELi512EEEvPfS2_PT_PKS3_PKT0_S9_ifPKiSB_iPKfiiiSD_SD_iiiii, .Lfunc_end365-_ZN4vllm22paged_attention_kernelIthLi112ELi32ELi128ELNS_18Fp8KVCacheDataTypeE1ELb0ELi512EEEvPfS2_PT_PKS3_PKT0_S9_ifPKiSB_iPKfiiiSD_SD_iiiii
                                        ; -- End function
	.section	.AMDGPU.csdata,"",@progbits
; Function info:
; codeLenInByte = 73664
; NumSgprs: 35
; NumVgprs: 184
; ScratchSize: 236
; MemoryBound: 0
	.section	.text._ZN4vllm25paged_attention_v2_kernelIthLi112ELi32ELi128ELNS_18Fp8KVCacheDataTypeE1ELb0ELi512EEEvPfS2_PT_PKS3_PKT0_S9_ifPKiSB_iPKfiiiSD_SD_iiiii,"axG",@progbits,_ZN4vllm25paged_attention_v2_kernelIthLi112ELi32ELi128ELNS_18Fp8KVCacheDataTypeE1ELb0ELi512EEEvPfS2_PT_PKS3_PKT0_S9_ifPKiSB_iPKfiiiSD_SD_iiiii,comdat
	.protected	_ZN4vllm25paged_attention_v2_kernelIthLi112ELi32ELi128ELNS_18Fp8KVCacheDataTypeE1ELb0ELi512EEEvPfS2_PT_PKS3_PKT0_S9_ifPKiSB_iPKfiiiSD_SD_iiiii ; -- Begin function _ZN4vllm25paged_attention_v2_kernelIthLi112ELi32ELi128ELNS_18Fp8KVCacheDataTypeE1ELb0ELi512EEEvPfS2_PT_PKS3_PKT0_S9_ifPKiSB_iPKfiiiSD_SD_iiiii
	.globl	_ZN4vllm25paged_attention_v2_kernelIthLi112ELi32ELi128ELNS_18Fp8KVCacheDataTypeE1ELb0ELi512EEEvPfS2_PT_PKS3_PKT0_S9_ifPKiSB_iPKfiiiSD_SD_iiiii
	.p2align	8
	.type	_ZN4vllm25paged_attention_v2_kernelIthLi112ELi32ELi128ELNS_18Fp8KVCacheDataTypeE1ELb0ELi512EEEvPfS2_PT_PKS3_PKT0_S9_ifPKiSB_iPKfiiiSD_SD_iiiii,@function
_ZN4vllm25paged_attention_v2_kernelIthLi112ELi32ELi128ELNS_18Fp8KVCacheDataTypeE1ELb0ELi512EEEvPfS2_PT_PKS3_PKT0_S9_ifPKiSB_iPKfiiiSD_SD_iiiii: ; @_ZN4vllm25paged_attention_v2_kernelIthLi112ELi32ELi128ELNS_18Fp8KVCacheDataTypeE1ELb0ELi512EEEvPfS2_PT_PKS3_PKT0_S9_ifPKiSB_iPKfiiiSD_SD_iiiii
; %bb.0:
	s_clause 0x5
	s_load_b256 s[24:31], s[0:1], 0x0
	s_load_b256 s[16:23], s[0:1], 0x20
	s_load_b64 s[2:3], s[0:1], 0x40
	s_load_b64 s[4:5], s[0:1], 0x50
	s_load_b32 s6, s[0:1], 0x48
	s_load_b256 s[36:43], s[0:1], 0x58
	v_mov_b32_e32 v31, v0
	s_add_u32 s8, s0, 0x90
	s_mov_b32 s12, s13
	s_addc_u32 s9, s1, 0
	s_mov_b32 s13, s14
	s_mov_b32 s14, s15
	s_movk_i32 s15, 0x55
	s_mov_b32 s32, 0
	s_getpc_b64 s[0:1]
	s_add_u32 s0, s0, _ZN4vllm22paged_attention_kernelIthLi112ELi32ELi128ELNS_18Fp8KVCacheDataTypeE1ELb0ELi512EEEvPfS2_PT_PKS3_PKT0_S9_ifPKiSB_iPKfiiiSD_SD_iiiii@rel32@lo+4
	s_addc_u32 s1, s1, _ZN4vllm22paged_attention_kernelIthLi112ELi32ELi128ELNS_18Fp8KVCacheDataTypeE1ELb0ELi512EEEvPfS2_PT_PKS3_PKT0_S9_ifPKiSB_iPKfiiiSD_SD_iiiii@rel32@hi+12
	s_waitcnt lgkmcnt(0)
	v_dual_mov_b32 v0, s24 :: v_dual_mov_b32 v1, s25
	v_dual_mov_b32 v2, s26 :: v_dual_mov_b32 v3, s27
	;; [unrolled: 1-line block ×14, first 2 shown]
	s_swappc_b64 s[30:31], s[0:1]
	s_endpgm
	.section	.rodata,"a",@progbits
	.p2align	6, 0x0
	.amdhsa_kernel _ZN4vllm25paged_attention_v2_kernelIthLi112ELi32ELi128ELNS_18Fp8KVCacheDataTypeE1ELb0ELi512EEEvPfS2_PT_PKS3_PKT0_S9_ifPKiSB_iPKfiiiSD_SD_iiiii
		.amdhsa_group_segment_fixed_size 256
		.amdhsa_private_segment_fixed_size 236
		.amdhsa_kernarg_size 400
		.amdhsa_user_sgpr_count 13
		.amdhsa_user_sgpr_dispatch_ptr 0
		.amdhsa_user_sgpr_queue_ptr 0
		.amdhsa_user_sgpr_kernarg_segment_ptr 1
		.amdhsa_user_sgpr_dispatch_id 0
		.amdhsa_user_sgpr_private_segment_size 0
		.amdhsa_wavefront_size32 1
		.amdhsa_uses_dynamic_stack 0
		.amdhsa_enable_private_segment 1
		.amdhsa_system_sgpr_workgroup_id_x 1
		.amdhsa_system_sgpr_workgroup_id_y 1
		.amdhsa_system_sgpr_workgroup_id_z 1
		.amdhsa_system_sgpr_workgroup_info 0
		.amdhsa_system_vgpr_workitem_id 0
		.amdhsa_next_free_vgpr 184
		.amdhsa_next_free_sgpr 44
		.amdhsa_reserve_vcc 1
		.amdhsa_float_round_mode_32 0
		.amdhsa_float_round_mode_16_64 0
		.amdhsa_float_denorm_mode_32 3
		.amdhsa_float_denorm_mode_16_64 3
		.amdhsa_dx10_clamp 1
		.amdhsa_ieee_mode 1
		.amdhsa_fp16_overflow 0
		.amdhsa_workgroup_processor_mode 1
		.amdhsa_memory_ordered 1
		.amdhsa_forward_progress 0
		.amdhsa_shared_vgpr_count 0
		.amdhsa_exception_fp_ieee_invalid_op 0
		.amdhsa_exception_fp_denorm_src 0
		.amdhsa_exception_fp_ieee_div_zero 0
		.amdhsa_exception_fp_ieee_overflow 0
		.amdhsa_exception_fp_ieee_underflow 0
		.amdhsa_exception_fp_ieee_inexact 0
		.amdhsa_exception_int_div_zero 0
	.end_amdhsa_kernel
	.section	.text._ZN4vllm25paged_attention_v2_kernelIthLi112ELi32ELi128ELNS_18Fp8KVCacheDataTypeE1ELb0ELi512EEEvPfS2_PT_PKS3_PKT0_S9_ifPKiSB_iPKfiiiSD_SD_iiiii,"axG",@progbits,_ZN4vllm25paged_attention_v2_kernelIthLi112ELi32ELi128ELNS_18Fp8KVCacheDataTypeE1ELb0ELi512EEEvPfS2_PT_PKS3_PKT0_S9_ifPKiSB_iPKfiiiSD_SD_iiiii,comdat
.Lfunc_end366:
	.size	_ZN4vllm25paged_attention_v2_kernelIthLi112ELi32ELi128ELNS_18Fp8KVCacheDataTypeE1ELb0ELi512EEEvPfS2_PT_PKS3_PKT0_S9_ifPKiSB_iPKfiiiSD_SD_iiiii, .Lfunc_end366-_ZN4vllm25paged_attention_v2_kernelIthLi112ELi32ELi128ELNS_18Fp8KVCacheDataTypeE1ELb0ELi512EEEvPfS2_PT_PKS3_PKT0_S9_ifPKiSB_iPKfiiiSD_SD_iiiii
                                        ; -- End function
	.section	.AMDGPU.csdata,"",@progbits
; Kernel info:
; codeLenInByte = 232
; NumSgprs: 46
; NumVgprs: 184
; ScratchSize: 236
; MemoryBound: 0
; FloatMode: 240
; IeeeMode: 1
; LDSByteSize: 256 bytes/workgroup (compile time only)
; SGPRBlocks: 5
; VGPRBlocks: 22
; NumSGPRsForWavesPerEU: 46
; NumVGPRsForWavesPerEU: 184
; Occupancy: 8
; WaveLimiterHint : 1
; COMPUTE_PGM_RSRC2:SCRATCH_EN: 1
; COMPUTE_PGM_RSRC2:USER_SGPR: 13
; COMPUTE_PGM_RSRC2:TRAP_HANDLER: 0
; COMPUTE_PGM_RSRC2:TGID_X_EN: 1
; COMPUTE_PGM_RSRC2:TGID_Y_EN: 1
; COMPUTE_PGM_RSRC2:TGID_Z_EN: 1
; COMPUTE_PGM_RSRC2:TIDIG_COMP_CNT: 0
	.text
	.p2align	2                               ; -- Begin function _ZN4vllm22paged_attention_kernelIthLi120ELi32ELi128ELNS_18Fp8KVCacheDataTypeE1ELb0ELi512EEEvPfS2_PT_PKS3_PKT0_S9_ifPKiSB_iPKfiiiSD_SD_iiiii
	.type	_ZN4vllm22paged_attention_kernelIthLi120ELi32ELi128ELNS_18Fp8KVCacheDataTypeE1ELb0ELi512EEEvPfS2_PT_PKS3_PKT0_S9_ifPKiSB_iPKfiiiSD_SD_iiiii,@function
_ZN4vllm22paged_attention_kernelIthLi120ELi32ELi128ELNS_18Fp8KVCacheDataTypeE1ELb0ELi512EEEvPfS2_PT_PKS3_PKT0_S9_ifPKiSB_iPKfiiiSD_SD_iiiii: ; @_ZN4vllm22paged_attention_kernelIthLi120ELi32ELi128ELNS_18Fp8KVCacheDataTypeE1ELb0ELi512EEEvPfS2_PT_PKS3_PKT0_S9_ifPKiSB_iPKfiiiSD_SD_iiiii
; %bb.0:
	s_waitcnt vmcnt(0) expcnt(0) lgkmcnt(0)
	s_clause 0x1f
	scratch_store_b32 off, v40, s32 offset:260
	; meta instruction
	scratch_store_b32 off, v41, s32 offset:256
	; meta instruction
	;; [unrolled: 2-line block ×31, first 2 shown]
	scratch_store_b32 off, v95, s32 offset:136
	s_clause 0x1f
	scratch_store_b32 off, v104, s32 offset:132
	; meta instruction
	scratch_store_b32 off, v105, s32 offset:128
	; meta instruction
	scratch_store_b32 off, v106, s32 offset:124
	; meta instruction
	scratch_store_b32 off, v107, s32 offset:120
	; meta instruction
	scratch_store_b32 off, v108, s32 offset:116
	; meta instruction
	scratch_store_b32 off, v109, s32 offset:112
	; meta instruction
	scratch_store_b32 off, v110, s32 offset:108
	; meta instruction
	scratch_store_b32 off, v111, s32 offset:104
	; meta instruction
	scratch_store_b32 off, v120, s32 offset:100
	; meta instruction
	scratch_store_b32 off, v121, s32 offset:96
	; meta instruction
	scratch_store_b32 off, v122, s32 offset:92
	; meta instruction
	scratch_store_b32 off, v123, s32 offset:88
	; meta instruction
	scratch_store_b32 off, v124, s32 offset:84
	; meta instruction
	scratch_store_b32 off, v125, s32 offset:80
	; meta instruction
	scratch_store_b32 off, v126, s32 offset:76
	; meta instruction
	scratch_store_b32 off, v127, s32 offset:72
	; meta instruction
	scratch_store_b32 off, v136, s32 offset:68
	; meta instruction
	scratch_store_b32 off, v137, s32 offset:64
	; meta instruction
	scratch_store_b32 off, v138, s32 offset:60
	; meta instruction
	scratch_store_b32 off, v139, s32 offset:56
	; meta instruction
	scratch_store_b32 off, v140, s32 offset:52
	; meta instruction
	scratch_store_b32 off, v141, s32 offset:48
	; meta instruction
	scratch_store_b32 off, v142, s32 offset:44
	; meta instruction
	scratch_store_b32 off, v143, s32 offset:40
	; meta instruction
	scratch_store_b32 off, v152, s32 offset:36
	; meta instruction
	scratch_store_b32 off, v153, s32 offset:32
	; meta instruction
	scratch_store_b32 off, v154, s32 offset:28
	; meta instruction
	scratch_store_b32 off, v155, s32 offset:24
	; meta instruction
	scratch_store_b32 off, v156, s32 offset:20
	; meta instruction
	scratch_store_b32 off, v157, s32 offset:16
	; meta instruction
	scratch_store_b32 off, v158, s32 offset:12
	; meta instruction
	scratch_store_b32 off, v159, s32 offset:8
	s_clause 0x1
	scratch_store_b32 off, v168, s32 offset:4
	; meta instruction
	scratch_store_b32 off, v169, s32
	s_mov_b32 s10, s13
	s_ashr_i32 s11, s13, 31
	s_lshl_b32 s16, s14, 9
	s_lshl_b64 s[0:1], s[10:11], 2
	s_mov_b32 s11, exec_lo
	v_add_co_u32 v16, vcc_lo, v16, s0
	v_add_co_ci_u32_e32 v17, vcc_lo, s1, v17, vcc_lo
	flat_load_b32 v36, v[16:17]
	s_waitcnt vmcnt(0) lgkmcnt(0)
	v_cmpx_lt_i32_e64 s16, v36
	s_cbranch_execz .LBB367_2024
; %bb.1:
	v_sub_nc_u32_e32 v16, 0, v12
	s_clause 0x1
	s_load_b32 s0, s[8:9], 0x10
	s_load_b32 s1, s[8:9], 0x0
	s_mov_b32 s6, s15
	v_mov_b32_e32 v50, 0
	v_max_i32_e32 v16, v12, v16
	s_delay_alu instid0(VALU_DEP_1) | instskip(SKIP_1) | instid1(VALU_DEP_2)
	v_cvt_f32_u32_e32 v17, v16
	v_sub_nc_u32_e32 v28, 0, v16
	v_rcp_iflag_f32_e32 v17, v17
	s_waitcnt lgkmcnt(0)
	s_lshr_b32 s0, s0, 16
	s_delay_alu instid0(SALU_CYCLE_1) | instskip(SKIP_3) | instid1(SALU_CYCLE_1)
	s_cmp_lg_u32 s0, 0
	s_waitcnt_depctr 0xfff
	v_mul_f32_e32 v17, 0x4f7ffffe, v17
	s_cselect_b32 s0, -1, 0
	s_cmp_lg_u32 s0, 0
	s_delay_alu instid0(VALU_DEP_1)
	v_cvt_u32_f32_e32 v17, v17
	s_addc_u32 s15, s1, 0
	s_mov_b32 s1, exec_lo
	s_abs_i32 s0, s15
	v_xor_b32_e32 v12, s15, v12
	v_mul_lo_u32 v28, v28, v17
	s_delay_alu instid0(VALU_DEP_2) | instskip(NEXT) | instid1(VALU_DEP_2)
	v_ashrrev_i32_e32 v12, 31, v12
	v_mul_hi_u32 v28, v17, v28
	s_delay_alu instid0(VALU_DEP_1) | instskip(NEXT) | instid1(VALU_DEP_1)
	v_add_nc_u32_e32 v17, v17, v28
	v_mul_hi_u32 v17, s0, v17
	s_delay_alu instid0(VALU_DEP_1) | instskip(SKIP_1) | instid1(VALU_DEP_2)
	v_mul_lo_u32 v28, v17, v16
	v_add_nc_u32_e32 v29, 1, v17
	v_sub_nc_u32_e32 v28, s0, v28
	s_abs_i32 s0, s12
	s_delay_alu instid0(VALU_DEP_1) | instskip(SKIP_1) | instid1(VALU_DEP_2)
	v_sub_nc_u32_e32 v30, v28, v16
	v_cmp_ge_u32_e32 vcc_lo, v28, v16
	v_dual_cndmask_b32 v17, v17, v29 :: v_dual_cndmask_b32 v28, v28, v30
	s_delay_alu instid0(VALU_DEP_1) | instskip(NEXT) | instid1(VALU_DEP_2)
	v_add_nc_u32_e32 v29, 1, v17
	v_cmp_ge_u32_e32 vcc_lo, v28, v16
	s_delay_alu instid0(VALU_DEP_2) | instskip(NEXT) | instid1(VALU_DEP_1)
	v_cndmask_b32_e32 v16, v17, v29, vcc_lo
	v_xor_b32_e32 v16, v16, v12
	s_delay_alu instid0(VALU_DEP_1) | instskip(NEXT) | instid1(VALU_DEP_1)
	v_sub_nc_u32_e32 v28, v16, v12
	v_sub_nc_u32_e32 v12, 0, v28
	s_delay_alu instid0(VALU_DEP_1) | instskip(NEXT) | instid1(VALU_DEP_1)
	v_max_i32_e32 v12, v28, v12
	v_cvt_f32_u32_e32 v16, v12
	v_sub_nc_u32_e32 v17, 0, v12
	s_delay_alu instid0(VALU_DEP_2) | instskip(SKIP_2) | instid1(VALU_DEP_1)
	v_rcp_iflag_f32_e32 v16, v16
	s_waitcnt_depctr 0xfff
	v_mul_f32_e32 v16, 0x4f7ffffe, v16
	v_cvt_u32_f32_e32 v16, v16
	s_delay_alu instid0(VALU_DEP_1) | instskip(NEXT) | instid1(VALU_DEP_1)
	v_mul_lo_u32 v17, v17, v16
	v_mul_hi_u32 v17, v16, v17
	s_delay_alu instid0(VALU_DEP_1) | instskip(NEXT) | instid1(VALU_DEP_1)
	v_add_nc_u32_e32 v29, v16, v17
	v_mad_u64_u32 v[16:17], null, s0, v29, 0
	v_cmpx_ne_u64_e32 0, v[19:20]
	s_cbranch_execz .LBB367_3
; %bb.2:
	s_ashr_i32 s13, s12, 31
	s_delay_alu instid0(SALU_CYCLE_1) | instskip(NEXT) | instid1(SALU_CYCLE_1)
	s_lshl_b64 s[2:3], s[12:13], 2
	v_add_co_u32 v19, vcc_lo, v19, s2
	v_add_co_ci_u32_e32 v20, vcc_lo, s3, v20, vcc_lo
	flat_load_b32 v50, v[19:20]
.LBB367_3:
	s_or_b32 exec_lo, exec_lo, s1
	v_and_b32_e32 v34, 0x3ff, v31
	v_ashrrev_i32_e32 v16, 31, v28
	s_ashr_i32 s1, s12, 31
	s_mul_i32 s4, s12, 0x78
	s_mov_b32 s2, exec_lo
	v_cmpx_gt_u32_e32 15, v34
	s_cbranch_execz .LBB367_5
; %bb.4:
	v_mul_lo_u32 v19, s10, v21
	s_ashr_i32 s5, s4, 31
	v_lshlrev_b32_e32 v21, 4, v34
	s_lshl_b64 s[18:19], s[4:5], 1
	s_delay_alu instid0(VALU_DEP_2) | instskip(NEXT) | instid1(VALU_DEP_1)
	v_ashrrev_i32_e32 v20, 31, v19
	v_lshlrev_b64 v[19:20], 1, v[19:20]
	s_delay_alu instid0(VALU_DEP_1) | instskip(NEXT) | instid1(VALU_DEP_2)
	v_add_co_u32 v6, vcc_lo, v6, v19
	v_add_co_ci_u32_e32 v7, vcc_lo, v7, v20, vcc_lo
	s_delay_alu instid0(VALU_DEP_2) | instskip(NEXT) | instid1(VALU_DEP_2)
	v_add_co_u32 v6, vcc_lo, v6, s18
	v_add_co_ci_u32_e32 v7, vcc_lo, s19, v7, vcc_lo
	s_delay_alu instid0(VALU_DEP_2) | instskip(NEXT) | instid1(VALU_DEP_2)
	v_add_co_u32 v6, vcc_lo, v6, v21
	v_add_co_ci_u32_e32 v7, vcc_lo, 0, v7, vcc_lo
	flat_load_b128 v[28:31], v[6:7]
	s_waitcnt vmcnt(0) lgkmcnt(0)
	ds_store_b128 v21, v[28:31]
.LBB367_5:
	s_or_b32 exec_lo, exec_lo, s2
	v_mul_lo_u32 v6, v17, v12
	v_xor_b32_e32 v21, s1, v16
	s_clause 0x1
	s_load_b32 s13, s[8:9], 0x14
	s_load_b32 s5, s[8:9], 0x8
	v_mul_lo_u32 v16, s10, v18
	v_lshrrev_b32_e32 v35, 5, v34
	s_lshl_b32 s8, s14, 4
	v_and_b32_e32 v37, 31, v34
	s_mov_b32 s9, exec_lo
	v_sub_nc_u32_e32 v6, s0, v6
	s_add_i32 s0, s8, 16
	v_lshlrev_b32_e32 v38, 5, v35
	v_lshlrev_b32_e32 v49, 2, v37
	s_waitcnt vmcnt(0) lgkmcnt(0)
	s_waitcnt_vscnt null, 0x0
	v_sub_nc_u32_e32 v19, v6, v12
	v_cmp_ge_u32_e32 vcc_lo, v6, v12
	v_add_nc_u32_e32 v7, 1, v17
	s_barrier
	buffer_gl0_inv
	v_dual_mov_b32 v51, 0xff7fffff :: v_dual_cndmask_b32 v6, v6, v19
	v_cndmask_b32_e32 v7, v17, v7, vcc_lo
	s_delay_alu instid0(VALU_DEP_2) | instskip(NEXT) | instid1(VALU_DEP_2)
	v_cmp_ge_u32_e32 vcc_lo, v6, v12
	v_add_nc_u32_e32 v19, 1, v7
	s_delay_alu instid0(VALU_DEP_1) | instskip(NEXT) | instid1(VALU_DEP_1)
	v_dual_cndmask_b32 v6, v7, v19 :: v_dual_add_nc_u32 v17, 31, v36
	v_ashrrev_i32_e32 v20, 31, v17
	s_delay_alu instid0(VALU_DEP_2) | instskip(NEXT) | instid1(VALU_DEP_2)
	v_xor_b32_e32 v6, v6, v21
	v_lshrrev_b32_e32 v7, 27, v20
	s_delay_alu instid0(VALU_DEP_2) | instskip(NEXT) | instid1(VALU_DEP_2)
	v_sub_nc_u32_e32 v18, v6, v21
	v_add_nc_u32_e32 v7, v17, v7
	v_ashrrev_i32_e32 v17, 31, v16
	v_add_nc_u32_e32 v6, s8, v35
	s_delay_alu instid0(VALU_DEP_4) | instskip(NEXT) | instid1(VALU_DEP_4)
	v_mul_lo_u32 v39, v18, v23
	v_ashrrev_i32_e32 v12, 5, v7
	s_delay_alu instid0(VALU_DEP_4) | instskip(NEXT) | instid1(VALU_DEP_4)
	v_lshlrev_b64 v[16:17], 2, v[16:17]
	v_ashrrev_i32_e32 v7, 31, v6
	s_delay_alu instid0(VALU_DEP_3) | instskip(SKIP_1) | instid1(VALU_DEP_2)
	v_min_i32_e32 v23, s0, v12
	v_ashrrev_i32_e32 v48, 31, v39
	v_cmp_ge_i32_e64 s0, v6, v23
	v_cmpx_lt_i32_e64 v6, v23
	s_cbranch_execz .LBB367_969
; %bb.6:
	s_getpc_b64 s[2:3]
	s_add_u32 s2, s2, llvm.amdgcn.dynlds.offset.table@rel32@lo+4
	s_addc_u32 s3, s3, llvm.amdgcn.dynlds.offset.table@rel32@hi+12
	s_ashr_i32 s7, s6, 31
	v_lshlrev_b64 v[20:21], 2, v[6:7]
	s_lshl_b64 s[18:19], s[6:7], 2
	v_lshlrev_b32_e32 v18, 4, v37
	s_add_u32 s2, s18, s2
	s_addc_u32 s3, s19, s3
	v_add_co_u32 v8, vcc_lo, v8, v39
	s_load_b32 s2, s[2:3], 0x0
	v_add_co_ci_u32_e32 v19, vcc_lo, v9, v48, vcc_lo
	v_mov_b32_e32 v9, 0
	s_delay_alu instid0(VALU_DEP_3) | instskip(SKIP_1) | instid1(VALU_DEP_1)
	v_add_co_u32 v18, vcc_lo, v8, v18
	v_add_co_u32 v8, s1, v16, v20
	v_add_co_ci_u32_e64 v21, s1, v17, v21, s1
	v_lshl_or_b32 v28, v35, 7, v49
	s_delay_alu instid0(VALU_DEP_3)
	v_add_co_u32 v20, s1, v14, v8
	v_add_co_ci_u32_e32 v19, vcc_lo, 0, v19, vcc_lo
	v_cmp_neq_f32_e32 vcc_lo, 0, v50
	v_add_co_ci_u32_e64 v21, s1, v15, v21, s1
	v_sub_nc_u32_e32 v52, 1, v36
	v_add3_u32 v53, s16, v38, v37
	s_waitcnt lgkmcnt(0)
	v_dual_mov_b32 v51, 0xff7fffff :: v_dual_add_nc_u32 v54, s2, v28
	v_mov_b32_e32 v55, v6
	s_mov_b32 s2, -1
	s_mov_b32 s3, 0xffffff
	s_mov_b32 s7, 0
	s_branch .LBB367_11
.LBB367_7:                              ;   in Loop: Header=BB367_11 Depth=1
	s_or_b32 exec_lo, exec_lo, s20
	v_lshlrev_b32_e32 v8, 8, v30
	v_lshl_add_u32 v29, v31, 10, 0x2000
	s_delay_alu instid0(VALU_DEP_1) | instskip(NEXT) | instid1(VALU_DEP_1)
	v_and_or_b32 v8, 0x8000, v8, v29
	v_lshl_or_b32 v8, v28, 7, v8
	s_delay_alu instid0(VALU_DEP_1)
	v_cvt_f32_f16_e32 v28, v8
.LBB367_8:                              ;   in Loop: Header=BB367_11 Depth=1
	s_or_b32 exec_lo, exec_lo, s19
.LBB367_9:                              ;   in Loop: Header=BB367_11 Depth=1
	s_delay_alu instid0(SALU_CYCLE_1)
	s_or_b32 exec_lo, exec_lo, s18
.LBB367_10:                             ;   in Loop: Header=BB367_11 Depth=1
	s_delay_alu instid0(SALU_CYCLE_1)
	s_or_b32 exec_lo, exec_lo, s17
	v_fma_mixlo_f16 v73, v64, v63, 0
	v_fma_mixlo_f16 v63, v64, v91, 0
	;; [unrolled: 1-line block ×58, first 2 shown]
	ds_load_b128 v[138:141], v9
	v_fma_mixlo_f16 v152, v64, v65, 0
	v_fma_mixlo_f16 v72, v64, v72, 0
	;; [unrolled: 1-line block ×62, first 2 shown]
	s_waitcnt lgkmcnt(0)
	v_lshrrev_b32_e32 v64, 16, v138
	v_and_b32_e32 v80, 0xffff, v138
	;;#ASMSTART
	v_cvt_f32_f16 v80, v80;
	;;#ASMEND
	;;#ASMSTART
	v_cvt_f32_f16 v142, v64;
	;;#ASMEND
	v_and_b32_e32 v64, 0xffff, v152
	;;#ASMSTART
	v_cvt_f32_f16 v152, v64;
	;;#ASMEND
	v_and_b32_e32 v64, 0xffff, v143
	;;#ASMSTART
	v_cvt_f32_f16 v143, v64;
	;;#ASMEND
	v_lshrrev_b32_e32 v64, 16, v139
	v_and_b32_e32 v138, 0xffff, v139
	;;#ASMSTART
	v_cvt_f32_f16 v153, v138;
	;;#ASMEND
	;;#ASMSTART
	v_cvt_f32_f16 v154, v64;
	;;#ASMEND
	v_and_b32_e32 v64, 0xffff, v96
	;;#ASMSTART
	v_cvt_f32_f16 v96, v64;
	;;#ASMEND
	v_and_b32_e32 v64, 0xffff, v87
	;;#ASMSTART
	v_cvt_f32_f16 v87, v64;
	;;#ASMEND
	;; [unrolled: 16-line block ×4, first 2 shown]
	ds_load_b128 v[138:141], v9 offset:16
	v_and_b32_e32 v71, 0xffff, v103
	v_and_b32_e32 v85, 0xffff, v85
	;; [unrolled: 1-line block ×17, first 2 shown]
	v_cmp_lt_i32_e64 s1, v53, v36
	v_add_nc_u32_e32 v55, 4, v55
	s_waitcnt lgkmcnt(0)
	v_lshrrev_b32_e32 v64, 16, v138
	v_and_b32_e32 v69, 0xffff, v138
	;;#ASMSTART
	v_cvt_f32_f16 v69, v69;
	;;#ASMEND
	;;#ASMSTART
	v_cvt_f32_f16 v70, v64;
	;;#ASMEND
	v_and_b32_e32 v64, 0xffff, v112
	;;#ASMSTART
	v_cvt_f32_f16 v64, v64;
	;;#ASMEND
	;;#ASMSTART
	v_cvt_f32_f16 v71, v71;
	;;#ASMEND
	v_add_nc_u32_e32 v8, v52, v53
	s_delay_alu instid0(VALU_DEP_2) | instskip(SKIP_2) | instid1(VALU_DEP_4)
	v_dual_mul_f32 v64, v69, v64 :: v_dual_mul_f32 v69, v70, v71
	v_lshrrev_b32_e32 v70, 16, v139
	v_and_b32_e32 v71, 0xffff, v139
	v_cvt_f32_i32_e32 v8, v8
	s_delay_alu instid0(VALU_DEP_4)
	v_fmac_f32_e32 v64, v80, v152
	;;#ASMSTART
	v_cvt_f32_f16 v71, v71;
	;;#ASMEND
	;;#ASMSTART
	v_cvt_f32_f16 v70, v70;
	;;#ASMEND
	v_and_b32_e32 v80, 0xffff, v102
	v_mul_f32_e32 v8, v50, v8
	;;#ASMSTART
	v_cvt_f32_f16 v80, v80;
	;;#ASMEND
	;;#ASMSTART
	v_cvt_f32_f16 v85, v85;
	;;#ASMEND
	s_delay_alu instid0(VALU_DEP_2)
	v_dual_mul_f32 v70, v70, v85 :: v_dual_mul_f32 v71, v71, v80
	v_lshrrev_b32_e32 v80, 16, v140
	v_and_b32_e32 v85, 0xffff, v140
	;;#ASMSTART
	v_cvt_f32_f16 v85, v85;
	;;#ASMEND
	;;#ASMSTART
	v_cvt_f32_f16 v80, v80;
	;;#ASMEND
	v_fmac_f32_e32 v70, v154, v87
	;;#ASMSTART
	v_cvt_f32_f16 v84, v84;
	;;#ASMEND
	;;#ASMSTART
	v_cvt_f32_f16 v87, v81;
	;;#ASMEND
	v_dual_mul_f32 v80, v80, v87 :: v_dual_mul_f32 v81, v85, v84
	v_lshrrev_b32_e32 v84, 16, v141
	v_and_b32_e32 v85, 0xffff, v141
	;;#ASMSTART
	v_cvt_f32_f16 v85, v85;
	;;#ASMEND
	s_delay_alu instid0(VALU_DEP_3)
	v_fmac_f32_e32 v80, v156, v157
	;;#ASMSTART
	v_cvt_f32_f16 v84, v84;
	;;#ASMEND
	;;#ASMSTART
	v_cvt_f32_f16 v83, v83;
	;;#ASMEND
	;; [unrolled: 3-line block ×3, first 2 shown]
	v_fmac_f32_e32 v81, v155, v86
	v_dual_mul_f32 v83, v85, v83 :: v_dual_mul_f32 v82, v84, v82
	ds_load_b128 v[84:87], v9 offset:32
	v_dual_cndmask_b32 v8, 0, v8 :: v_dual_fmac_f32 v69, v142, v143
	v_fmac_f32_e32 v71, v153, v96
	v_and_b32_e32 v102, 0xffff, v128
	v_dual_fmac_f32 v82, v159, v169 :: v_dual_fmac_f32 v83, v158, v168
	v_and_b32_e32 v101, 0xffff, v101
	v_add_nc_u32_e32 v53, 0x80, v53
	s_waitcnt lgkmcnt(0)
	v_lshrrev_b32_e32 v96, 16, v84
	v_and_b32_e32 v84, 0xffff, v84
	;;#ASMSTART
	v_cvt_f32_f16 v84, v84;
	;;#ASMEND
	;;#ASMSTART
	v_cvt_f32_f16 v96, v96;
	;;#ASMEND
	;; [unrolled: 3-line block ×3, first 2 shown]
	s_delay_alu instid0(VALU_DEP_1)
	v_fmac_f32_e32 v64, v84, v102
	v_lshrrev_b32_e32 v84, 16, v85
	v_and_b32_e32 v85, 0xffff, v85
	;;#ASMSTART
	v_cvt_f32_f16 v103, v103;
	;;#ASMEND
	v_fmac_f32_e32 v69, v96, v103
	;;#ASMSTART
	v_cvt_f32_f16 v85, v85;
	;;#ASMEND
	;;#ASMSTART
	v_cvt_f32_f16 v84, v84;
	;;#ASMEND
	v_and_b32_e32 v96, 0xffff, v118
	;;#ASMSTART
	v_cvt_f32_f16 v96, v96;
	;;#ASMEND
	;;#ASMSTART
	v_cvt_f32_f16 v101, v101;
	;;#ASMEND
	s_delay_alu instid0(VALU_DEP_1)
	v_dual_fmac_f32 v71, v85, v96 :: v_dual_fmac_f32 v70, v84, v101
	v_and_b32_e32 v85, 0xffff, v86
	v_lshrrev_b32_e32 v84, 16, v86
	v_and_b32_e32 v86, 0xffff, v100
	;;#ASMSTART
	v_cvt_f32_f16 v85, v85;
	;;#ASMEND
	;;#ASMSTART
	v_cvt_f32_f16 v84, v84;
	;;#ASMEND
	;; [unrolled: 3-line block ×3, first 2 shown]
	v_and_b32_e32 v96, 0xffff, v99
	;;#ASMSTART
	v_cvt_f32_f16 v96, v96;
	;;#ASMEND
	s_delay_alu instid0(VALU_DEP_1)
	v_dual_fmac_f32 v81, v85, v86 :: v_dual_fmac_f32 v80, v84, v96
	v_lshrrev_b32_e32 v84, 16, v87
	v_and_b32_e32 v85, 0xffff, v87
	v_and_b32_e32 v86, 0xffff, v98
	;; [unrolled: 1-line block ×3, first 2 shown]
	;;#ASMSTART
	v_cvt_f32_f16 v85, v85;
	;;#ASMEND
	;;#ASMSTART
	v_cvt_f32_f16 v84, v84;
	;;#ASMEND
	;; [unrolled: 3-line block ×4, first 2 shown]
	v_dual_fmac_f32 v83, v85, v86 :: v_dual_fmac_f32 v82, v84, v87
	ds_load_b128 v[84:87], v9 offset:48
	v_and_b32_e32 v97, 0xffff, v144
	v_and_b32_e32 v98, 0xffff, v135
	s_waitcnt lgkmcnt(0)
	v_lshrrev_b32_e32 v96, 16, v84
	v_and_b32_e32 v84, 0xffff, v84
	;;#ASMSTART
	v_cvt_f32_f16 v84, v84;
	;;#ASMEND
	;;#ASMSTART
	v_cvt_f32_f16 v96, v96;
	;;#ASMEND
	;; [unrolled: 3-line block ×3, first 2 shown]
	s_delay_alu instid0(VALU_DEP_1)
	v_fmac_f32_e32 v64, v84, v97
	v_lshrrev_b32_e32 v84, 16, v85
	v_and_b32_e32 v85, 0xffff, v85
	;;#ASMSTART
	v_cvt_f32_f16 v98, v98;
	;;#ASMEND
	v_fmac_f32_e32 v69, v96, v98
	;;#ASMSTART
	v_cvt_f32_f16 v85, v85;
	;;#ASMEND
	;;#ASMSTART
	v_cvt_f32_f16 v84, v84;
	;;#ASMEND
	v_and_b32_e32 v96, 0xffff, v134
	v_and_b32_e32 v97, 0xffff, v117
	;;#ASMSTART
	v_cvt_f32_f16 v96, v96;
	;;#ASMEND
	;;#ASMSTART
	v_cvt_f32_f16 v97, v97;
	;;#ASMEND
	s_delay_alu instid0(VALU_DEP_1)
	v_dual_fmac_f32 v71, v85, v96 :: v_dual_fmac_f32 v70, v84, v97
	v_and_b32_e32 v85, 0xffff, v86
	v_lshrrev_b32_e32 v84, 16, v86
	v_and_b32_e32 v86, 0xffff, v116
	;;#ASMSTART
	v_cvt_f32_f16 v85, v85;
	;;#ASMEND
	;;#ASMSTART
	v_cvt_f32_f16 v84, v84;
	;;#ASMEND
	;; [unrolled: 3-line block ×3, first 2 shown]
	v_and_b32_e32 v96, 0xffff, v115
	;;#ASMSTART
	v_cvt_f32_f16 v96, v96;
	;;#ASMEND
	s_delay_alu instid0(VALU_DEP_1)
	v_dual_fmac_f32 v81, v85, v86 :: v_dual_fmac_f32 v80, v84, v96
	v_lshrrev_b32_e32 v84, 16, v87
	v_and_b32_e32 v85, 0xffff, v87
	v_and_b32_e32 v86, 0xffff, v114
	;; [unrolled: 1-line block ×3, first 2 shown]
	;;#ASMSTART
	v_cvt_f32_f16 v85, v85;
	;;#ASMEND
	;;#ASMSTART
	v_cvt_f32_f16 v84, v84;
	;;#ASMEND
	;;#ASMSTART
	v_cvt_f32_f16 v86, v86;
	;;#ASMEND
	;;#ASMSTART
	v_cvt_f32_f16 v87, v87;
	;;#ASMEND
	v_dual_fmac_f32 v83, v85, v86 :: v_dual_fmac_f32 v82, v84, v87
	ds_load_b128 v[84:87], v9 offset:64
	v_and_b32_e32 v97, 0xffff, v160
	v_and_b32_e32 v98, 0xffff, v151
	s_waitcnt lgkmcnt(0)
	v_lshrrev_b32_e32 v96, 16, v84
	v_and_b32_e32 v84, 0xffff, v84
	;;#ASMSTART
	v_cvt_f32_f16 v84, v84;
	;;#ASMEND
	;;#ASMSTART
	v_cvt_f32_f16 v96, v96;
	;;#ASMEND
	;; [unrolled: 3-line block ×3, first 2 shown]
	s_delay_alu instid0(VALU_DEP_1)
	v_fmac_f32_e32 v64, v84, v97
	v_lshrrev_b32_e32 v84, 16, v85
	v_and_b32_e32 v85, 0xffff, v85
	;;#ASMSTART
	v_cvt_f32_f16 v98, v98;
	;;#ASMEND
	v_fmac_f32_e32 v69, v96, v98
	;;#ASMSTART
	v_cvt_f32_f16 v85, v85;
	;;#ASMEND
	;;#ASMSTART
	v_cvt_f32_f16 v84, v84;
	;;#ASMEND
	v_and_b32_e32 v96, 0xffff, v150
	v_and_b32_e32 v97, 0xffff, v133
	;;#ASMSTART
	v_cvt_f32_f16 v96, v96;
	;;#ASMEND
	;;#ASMSTART
	v_cvt_f32_f16 v97, v97;
	;;#ASMEND
	s_delay_alu instid0(VALU_DEP_1)
	v_dual_fmac_f32 v71, v85, v96 :: v_dual_fmac_f32 v70, v84, v97
	v_and_b32_e32 v85, 0xffff, v86
	v_lshrrev_b32_e32 v84, 16, v86
	v_and_b32_e32 v86, 0xffff, v132
	;;#ASMSTART
	v_cvt_f32_f16 v85, v85;
	;;#ASMEND
	;;#ASMSTART
	v_cvt_f32_f16 v84, v84;
	;;#ASMEND
	;;#ASMSTART
	v_cvt_f32_f16 v86, v86;
	;;#ASMEND
	v_and_b32_e32 v96, 0xffff, v131
	;;#ASMSTART
	v_cvt_f32_f16 v96, v96;
	;;#ASMEND
	s_delay_alu instid0(VALU_DEP_1)
	v_dual_fmac_f32 v81, v85, v86 :: v_dual_fmac_f32 v80, v84, v96
	v_lshrrev_b32_e32 v84, 16, v87
	v_and_b32_e32 v85, 0xffff, v87
	v_and_b32_e32 v86, 0xffff, v130
	;; [unrolled: 1-line block ×3, first 2 shown]
	;;#ASMSTART
	v_cvt_f32_f16 v85, v85;
	;;#ASMEND
	;;#ASMSTART
	v_cvt_f32_f16 v84, v84;
	;;#ASMEND
	;; [unrolled: 3-line block ×4, first 2 shown]
	v_dual_fmac_f32 v83, v85, v86 :: v_dual_fmac_f32 v82, v84, v87
	ds_load_b128 v[84:87], v9 offset:80
	v_and_b32_e32 v97, 0xffff, v176
	v_and_b32_e32 v98, 0xffff, v167
	s_waitcnt lgkmcnt(0)
	v_lshrrev_b32_e32 v96, 16, v84
	v_and_b32_e32 v84, 0xffff, v84
	;;#ASMSTART
	v_cvt_f32_f16 v84, v84;
	;;#ASMEND
	;;#ASMSTART
	v_cvt_f32_f16 v96, v96;
	;;#ASMEND
	;; [unrolled: 3-line block ×3, first 2 shown]
	s_delay_alu instid0(VALU_DEP_1)
	v_fmac_f32_e32 v64, v84, v97
	v_lshrrev_b32_e32 v84, 16, v85
	v_and_b32_e32 v85, 0xffff, v85
	;;#ASMSTART
	v_cvt_f32_f16 v98, v98;
	;;#ASMEND
	v_fmac_f32_e32 v69, v96, v98
	;;#ASMSTART
	v_cvt_f32_f16 v85, v85;
	;;#ASMEND
	;;#ASMSTART
	v_cvt_f32_f16 v84, v84;
	;;#ASMEND
	v_and_b32_e32 v96, 0xffff, v166
	v_and_b32_e32 v97, 0xffff, v149
	;;#ASMSTART
	v_cvt_f32_f16 v96, v96;
	;;#ASMEND
	;;#ASMSTART
	v_cvt_f32_f16 v97, v97;
	;;#ASMEND
	s_delay_alu instid0(VALU_DEP_1)
	v_dual_fmac_f32 v71, v85, v96 :: v_dual_fmac_f32 v70, v84, v97
	v_and_b32_e32 v85, 0xffff, v86
	v_lshrrev_b32_e32 v84, 16, v86
	v_and_b32_e32 v86, 0xffff, v148
	;;#ASMSTART
	v_cvt_f32_f16 v85, v85;
	;;#ASMEND
	;;#ASMSTART
	v_cvt_f32_f16 v84, v84;
	;;#ASMEND
	;;#ASMSTART
	v_cvt_f32_f16 v86, v86;
	;;#ASMEND
	v_and_b32_e32 v96, 0xffff, v147
	;;#ASMSTART
	v_cvt_f32_f16 v96, v96;
	;;#ASMEND
	s_delay_alu instid0(VALU_DEP_1)
	v_dual_fmac_f32 v81, v85, v86 :: v_dual_fmac_f32 v80, v84, v96
	v_lshrrev_b32_e32 v84, 16, v87
	v_and_b32_e32 v85, 0xffff, v87
	v_and_b32_e32 v86, 0xffff, v146
	;; [unrolled: 1-line block ×3, first 2 shown]
	;;#ASMSTART
	v_cvt_f32_f16 v85, v85;
	;;#ASMEND
	;;#ASMSTART
	v_cvt_f32_f16 v84, v84;
	;;#ASMEND
	;; [unrolled: 3-line block ×4, first 2 shown]
	v_dual_fmac_f32 v83, v85, v86 :: v_dual_fmac_f32 v82, v84, v87
	ds_load_b128 v[84:87], v9 offset:96
	v_and_b32_e32 v97, 0xffff, v40
	v_and_b32_e32 v98, 0xffff, v183
	s_waitcnt lgkmcnt(0)
	v_lshrrev_b32_e32 v96, 16, v84
	v_and_b32_e32 v84, 0xffff, v84
	;;#ASMSTART
	v_cvt_f32_f16 v84, v84;
	;;#ASMEND
	;;#ASMSTART
	v_cvt_f32_f16 v96, v96;
	;;#ASMEND
	;; [unrolled: 3-line block ×3, first 2 shown]
	s_delay_alu instid0(VALU_DEP_1)
	v_fmac_f32_e32 v64, v84, v97
	v_lshrrev_b32_e32 v84, 16, v85
	v_and_b32_e32 v85, 0xffff, v85
	;;#ASMSTART
	v_cvt_f32_f16 v98, v98;
	;;#ASMEND
	v_fmac_f32_e32 v69, v96, v98
	;;#ASMSTART
	v_cvt_f32_f16 v85, v85;
	;;#ASMEND
	;;#ASMSTART
	v_cvt_f32_f16 v84, v84;
	;;#ASMEND
	v_and_b32_e32 v96, 0xffff, v182
	v_and_b32_e32 v97, 0xffff, v165
	;;#ASMSTART
	v_cvt_f32_f16 v96, v96;
	;;#ASMEND
	;;#ASMSTART
	v_cvt_f32_f16 v97, v97;
	;;#ASMEND
	s_delay_alu instid0(VALU_DEP_1)
	v_dual_fmac_f32 v71, v85, v96 :: v_dual_fmac_f32 v70, v84, v97
	v_and_b32_e32 v85, 0xffff, v86
	v_lshrrev_b32_e32 v84, 16, v86
	v_and_b32_e32 v86, 0xffff, v164
	;;#ASMSTART
	v_cvt_f32_f16 v85, v85;
	;;#ASMEND
	;;#ASMSTART
	v_cvt_f32_f16 v84, v84;
	;;#ASMEND
	;; [unrolled: 3-line block ×3, first 2 shown]
	v_and_b32_e32 v96, 0xffff, v163
	;;#ASMSTART
	v_cvt_f32_f16 v96, v96;
	;;#ASMEND
	s_delay_alu instid0(VALU_DEP_1)
	v_dual_fmac_f32 v81, v85, v86 :: v_dual_fmac_f32 v80, v84, v96
	v_lshrrev_b32_e32 v84, 16, v87
	v_and_b32_e32 v85, 0xffff, v87
	v_and_b32_e32 v86, 0xffff, v162
	;; [unrolled: 1-line block ×3, first 2 shown]
	;;#ASMSTART
	v_cvt_f32_f16 v85, v85;
	;;#ASMEND
	;;#ASMSTART
	v_cvt_f32_f16 v84, v84;
	;;#ASMEND
	;;#ASMSTART
	v_cvt_f32_f16 v86, v86;
	;;#ASMEND
	;;#ASMSTART
	v_cvt_f32_f16 v87, v87;
	;;#ASMEND
	v_dual_fmac_f32 v83, v85, v86 :: v_dual_fmac_f32 v82, v84, v87
	ds_load_b128 v[84:87], v9 offset:112
	v_and_b32_e32 v97, 0xffff, v56
	v_and_b32_e32 v98, 0xffff, v47
	s_waitcnt lgkmcnt(0)
	v_lshrrev_b32_e32 v96, 16, v84
	v_and_b32_e32 v84, 0xffff, v84
	;;#ASMSTART
	v_cvt_f32_f16 v84, v84;
	;;#ASMEND
	;;#ASMSTART
	v_cvt_f32_f16 v96, v96;
	;;#ASMEND
	;; [unrolled: 3-line block ×3, first 2 shown]
	s_delay_alu instid0(VALU_DEP_1)
	v_fmac_f32_e32 v64, v84, v97
	v_lshrrev_b32_e32 v84, 16, v85
	v_and_b32_e32 v85, 0xffff, v85
	;;#ASMSTART
	v_cvt_f32_f16 v98, v98;
	;;#ASMEND
	v_fmac_f32_e32 v69, v96, v98
	;;#ASMSTART
	v_cvt_f32_f16 v85, v85;
	;;#ASMEND
	;;#ASMSTART
	v_cvt_f32_f16 v84, v84;
	;;#ASMEND
	v_and_b32_e32 v96, 0xffff, v46
	v_and_b32_e32 v97, 0xffff, v181
	;;#ASMSTART
	v_cvt_f32_f16 v96, v96;
	;;#ASMEND
	;;#ASMSTART
	v_cvt_f32_f16 v97, v97;
	;;#ASMEND
	s_delay_alu instid0(VALU_DEP_1)
	v_dual_fmac_f32 v71, v85, v96 :: v_dual_fmac_f32 v70, v84, v97
	v_and_b32_e32 v85, 0xffff, v86
	v_lshrrev_b32_e32 v84, 16, v86
	v_and_b32_e32 v86, 0xffff, v180
	;;#ASMSTART
	v_cvt_f32_f16 v85, v85;
	;;#ASMEND
	;;#ASMSTART
	v_cvt_f32_f16 v84, v84;
	;;#ASMEND
	;; [unrolled: 3-line block ×3, first 2 shown]
	v_and_b32_e32 v96, 0xffff, v179
	;;#ASMSTART
	v_cvt_f32_f16 v96, v96;
	;;#ASMEND
	s_delay_alu instid0(VALU_DEP_1)
	v_dual_fmac_f32 v81, v85, v86 :: v_dual_fmac_f32 v80, v84, v96
	v_lshrrev_b32_e32 v84, 16, v87
	v_and_b32_e32 v85, 0xffff, v87
	v_and_b32_e32 v86, 0xffff, v178
	;; [unrolled: 1-line block ×3, first 2 shown]
	;;#ASMSTART
	v_cvt_f32_f16 v85, v85;
	;;#ASMEND
	;;#ASMSTART
	v_cvt_f32_f16 v84, v84;
	;;#ASMEND
	;; [unrolled: 3-line block ×4, first 2 shown]
	v_dual_fmac_f32 v83, v85, v86 :: v_dual_fmac_f32 v82, v84, v87
	ds_load_b128 v[84:87], v9 offset:128
	v_and_b32_e32 v97, 0xffff, v92
	v_and_b32_e32 v98, 0xffff, v77
	s_waitcnt lgkmcnt(0)
	v_lshrrev_b32_e32 v96, 16, v84
	v_and_b32_e32 v84, 0xffff, v84
	;;#ASMSTART
	v_cvt_f32_f16 v84, v84;
	;;#ASMEND
	;;#ASMSTART
	v_cvt_f32_f16 v96, v96;
	;;#ASMEND
	;; [unrolled: 3-line block ×3, first 2 shown]
	s_delay_alu instid0(VALU_DEP_1)
	v_fmac_f32_e32 v64, v84, v97
	v_lshrrev_b32_e32 v84, 16, v85
	v_and_b32_e32 v85, 0xffff, v85
	;;#ASMSTART
	v_cvt_f32_f16 v98, v98;
	;;#ASMEND
	v_fmac_f32_e32 v69, v96, v98
	;;#ASMSTART
	v_cvt_f32_f16 v85, v85;
	;;#ASMEND
	;;#ASMSTART
	v_cvt_f32_f16 v84, v84;
	;;#ASMEND
	v_and_b32_e32 v96, 0xffff, v76
	v_and_b32_e32 v97, 0xffff, v45
	;;#ASMSTART
	v_cvt_f32_f16 v96, v96;
	;;#ASMEND
	;;#ASMSTART
	v_cvt_f32_f16 v97, v97;
	;;#ASMEND
	s_delay_alu instid0(VALU_DEP_1)
	v_dual_fmac_f32 v71, v85, v96 :: v_dual_fmac_f32 v70, v84, v97
	v_and_b32_e32 v85, 0xffff, v86
	v_lshrrev_b32_e32 v84, 16, v86
	v_and_b32_e32 v86, 0xffff, v44
	;;#ASMSTART
	v_cvt_f32_f16 v85, v85;
	;;#ASMEND
	;;#ASMSTART
	v_cvt_f32_f16 v84, v84;
	;;#ASMEND
	;; [unrolled: 3-line block ×3, first 2 shown]
	v_and_b32_e32 v96, 0xffff, v43
	;;#ASMSTART
	v_cvt_f32_f16 v96, v96;
	;;#ASMEND
	s_delay_alu instid0(VALU_DEP_1)
	v_dual_fmac_f32 v81, v85, v86 :: v_dual_fmac_f32 v80, v84, v96
	v_lshrrev_b32_e32 v84, 16, v87
	v_and_b32_e32 v85, 0xffff, v87
	v_and_b32_e32 v86, 0xffff, v42
	;; [unrolled: 1-line block ×3, first 2 shown]
	;;#ASMSTART
	v_cvt_f32_f16 v85, v85;
	;;#ASMEND
	;;#ASMSTART
	v_cvt_f32_f16 v84, v84;
	;;#ASMEND
	;; [unrolled: 3-line block ×4, first 2 shown]
	v_dual_fmac_f32 v83, v85, v86 :: v_dual_fmac_f32 v82, v84, v87
	ds_load_b128 v[84:87], v9 offset:144
	v_and_b32_e32 v97, 0xffff, v137
	v_and_b32_e32 v98, 0xffff, v126
	s_waitcnt lgkmcnt(0)
	v_lshrrev_b32_e32 v96, 16, v84
	v_and_b32_e32 v84, 0xffff, v84
	;;#ASMSTART
	v_cvt_f32_f16 v84, v84;
	;;#ASMEND
	;;#ASMSTART
	v_cvt_f32_f16 v96, v96;
	;;#ASMEND
	;; [unrolled: 3-line block ×3, first 2 shown]
	s_delay_alu instid0(VALU_DEP_1)
	v_fmac_f32_e32 v64, v84, v97
	v_lshrrev_b32_e32 v84, 16, v85
	v_and_b32_e32 v85, 0xffff, v85
	;;#ASMSTART
	v_cvt_f32_f16 v98, v98;
	;;#ASMEND
	v_fmac_f32_e32 v69, v96, v98
	;;#ASMSTART
	v_cvt_f32_f16 v85, v85;
	;;#ASMEND
	;;#ASMSTART
	v_cvt_f32_f16 v84, v84;
	;;#ASMEND
	v_and_b32_e32 v96, 0xffff, v125
	v_and_b32_e32 v97, 0xffff, v61
	;;#ASMSTART
	v_cvt_f32_f16 v96, v96;
	;;#ASMEND
	;;#ASMSTART
	v_cvt_f32_f16 v97, v97;
	;;#ASMEND
	s_delay_alu instid0(VALU_DEP_1)
	v_dual_fmac_f32 v71, v85, v96 :: v_dual_fmac_f32 v70, v84, v97
	v_and_b32_e32 v85, 0xffff, v86
	v_lshrrev_b32_e32 v84, 16, v86
	v_and_b32_e32 v86, 0xffff, v60
	;;#ASMSTART
	v_cvt_f32_f16 v85, v85;
	;;#ASMEND
	;;#ASMSTART
	v_cvt_f32_f16 v84, v84;
	;;#ASMEND
	;; [unrolled: 3-line block ×3, first 2 shown]
	v_and_b32_e32 v96, 0xffff, v59
	;;#ASMSTART
	v_cvt_f32_f16 v96, v96;
	;;#ASMEND
	s_delay_alu instid0(VALU_DEP_1)
	v_dual_fmac_f32 v81, v85, v86 :: v_dual_fmac_f32 v80, v84, v96
	v_lshrrev_b32_e32 v84, 16, v87
	v_and_b32_e32 v85, 0xffff, v87
	v_and_b32_e32 v86, 0xffff, v58
	;; [unrolled: 1-line block ×3, first 2 shown]
	;;#ASMSTART
	v_cvt_f32_f16 v85, v85;
	;;#ASMEND
	;;#ASMSTART
	v_cvt_f32_f16 v84, v84;
	;;#ASMEND
	;; [unrolled: 3-line block ×4, first 2 shown]
	v_dual_fmac_f32 v83, v85, v86 :: v_dual_fmac_f32 v82, v84, v87
	ds_load_b128 v[84:87], v9 offset:160
	v_and_b32_e32 v97, 0xffff, v136
	v_and_b32_e32 v98, 0xffff, v127
	s_waitcnt lgkmcnt(0)
	v_lshrrev_b32_e32 v96, 16, v84
	v_and_b32_e32 v84, 0xffff, v84
	;;#ASMSTART
	v_cvt_f32_f16 v84, v84;
	;;#ASMEND
	;;#ASMSTART
	v_cvt_f32_f16 v96, v96;
	;;#ASMEND
	;;#ASMSTART
	v_cvt_f32_f16 v97, v97;
	;;#ASMEND
	s_delay_alu instid0(VALU_DEP_1)
	v_fmac_f32_e32 v64, v84, v97
	v_lshrrev_b32_e32 v84, 16, v85
	v_and_b32_e32 v85, 0xffff, v85
	;;#ASMSTART
	v_cvt_f32_f16 v98, v98;
	;;#ASMEND
	v_fmac_f32_e32 v69, v96, v98
	;;#ASMSTART
	v_cvt_f32_f16 v85, v85;
	;;#ASMEND
	;;#ASMSTART
	v_cvt_f32_f16 v84, v84;
	;;#ASMEND
	v_and_b32_e32 v96, 0xffff, v124
	v_and_b32_e32 v97, 0xffff, v123
	;;#ASMSTART
	v_cvt_f32_f16 v96, v96;
	;;#ASMEND
	;;#ASMSTART
	v_cvt_f32_f16 v97, v97;
	;;#ASMEND
	s_delay_alu instid0(VALU_DEP_1)
	v_dual_fmac_f32 v71, v85, v96 :: v_dual_fmac_f32 v70, v84, v97
	v_and_b32_e32 v85, 0xffff, v86
	v_lshrrev_b32_e32 v84, 16, v86
	v_and_b32_e32 v86, 0xffff, v122
	;;#ASMSTART
	v_cvt_f32_f16 v85, v85;
	;;#ASMEND
	;;#ASMSTART
	v_cvt_f32_f16 v84, v84;
	;;#ASMEND
	;; [unrolled: 3-line block ×3, first 2 shown]
	v_and_b32_e32 v96, 0xffff, v107
	;;#ASMSTART
	v_cvt_f32_f16 v96, v96;
	;;#ASMEND
	s_delay_alu instid0(VALU_DEP_1)
	v_dual_fmac_f32 v81, v85, v86 :: v_dual_fmac_f32 v80, v84, v96
	v_lshrrev_b32_e32 v84, 16, v87
	v_and_b32_e32 v85, 0xffff, v87
	v_and_b32_e32 v86, 0xffff, v106
	;; [unrolled: 1-line block ×3, first 2 shown]
	;;#ASMSTART
	v_cvt_f32_f16 v85, v85;
	;;#ASMEND
	;;#ASMSTART
	v_cvt_f32_f16 v84, v84;
	;;#ASMEND
	;; [unrolled: 3-line block ×4, first 2 shown]
	v_dual_fmac_f32 v83, v85, v86 :: v_dual_fmac_f32 v82, v84, v87
	ds_load_b128 v[84:87], v9 offset:176
	v_and_b32_e32 v97, 0xffff, v121
	v_and_b32_e32 v98, 0xffff, v120
	s_waitcnt lgkmcnt(0)
	v_lshrrev_b32_e32 v96, 16, v84
	v_and_b32_e32 v84, 0xffff, v84
	;;#ASMSTART
	v_cvt_f32_f16 v84, v84;
	;;#ASMEND
	;;#ASMSTART
	v_cvt_f32_f16 v96, v96;
	;;#ASMEND
	;; [unrolled: 3-line block ×3, first 2 shown]
	s_delay_alu instid0(VALU_DEP_1)
	v_fmac_f32_e32 v64, v84, v97
	v_lshrrev_b32_e32 v84, 16, v85
	v_and_b32_e32 v85, 0xffff, v85
	;;#ASMSTART
	v_cvt_f32_f16 v98, v98;
	;;#ASMEND
	v_fmac_f32_e32 v69, v96, v98
	;;#ASMSTART
	v_cvt_f32_f16 v85, v85;
	;;#ASMEND
	;;#ASMSTART
	v_cvt_f32_f16 v84, v84;
	;;#ASMEND
	v_and_b32_e32 v96, 0xffff, v111
	v_and_b32_e32 v97, 0xffff, v110
	;;#ASMSTART
	v_cvt_f32_f16 v96, v96;
	;;#ASMEND
	;;#ASMSTART
	v_cvt_f32_f16 v97, v97;
	;;#ASMEND
	s_delay_alu instid0(VALU_DEP_1)
	v_dual_fmac_f32 v71, v85, v96 :: v_dual_fmac_f32 v70, v84, v97
	v_and_b32_e32 v85, 0xffff, v86
	v_lshrrev_b32_e32 v84, 16, v86
	v_and_b32_e32 v86, 0xffff, v109
	;;#ASMSTART
	v_cvt_f32_f16 v85, v85;
	;;#ASMEND
	;;#ASMSTART
	v_cvt_f32_f16 v84, v84;
	;;#ASMEND
	;; [unrolled: 3-line block ×3, first 2 shown]
	v_and_b32_e32 v96, 0xffff, v108
	;;#ASMSTART
	v_cvt_f32_f16 v96, v96;
	;;#ASMEND
	s_delay_alu instid0(VALU_DEP_1)
	v_dual_fmac_f32 v81, v85, v86 :: v_dual_fmac_f32 v80, v84, v96
	v_lshrrev_b32_e32 v84, 16, v87
	v_and_b32_e32 v85, 0xffff, v87
	v_and_b32_e32 v86, 0xffff, v105
	;; [unrolled: 1-line block ×3, first 2 shown]
	;;#ASMSTART
	v_cvt_f32_f16 v85, v85;
	;;#ASMEND
	;;#ASMSTART
	v_cvt_f32_f16 v84, v84;
	;;#ASMEND
	;; [unrolled: 3-line block ×4, first 2 shown]
	v_dual_fmac_f32 v83, v85, v86 :: v_dual_fmac_f32 v82, v84, v87
	ds_load_b128 v[84:87], v9 offset:192
	v_and_b32_e32 v97, 0xffff, v95
	v_and_b32_e32 v98, 0xffff, v94
	s_waitcnt lgkmcnt(0)
	v_lshrrev_b32_e32 v96, 16, v84
	v_and_b32_e32 v84, 0xffff, v84
	;;#ASMSTART
	v_cvt_f32_f16 v84, v84;
	;;#ASMEND
	;;#ASMSTART
	v_cvt_f32_f16 v96, v96;
	;;#ASMEND
	;; [unrolled: 3-line block ×3, first 2 shown]
	s_delay_alu instid0(VALU_DEP_1)
	v_fmac_f32_e32 v64, v84, v97
	v_lshrrev_b32_e32 v84, 16, v85
	v_and_b32_e32 v85, 0xffff, v85
	;;#ASMSTART
	v_cvt_f32_f16 v98, v98;
	;;#ASMEND
	v_fmac_f32_e32 v69, v96, v98
	;;#ASMSTART
	v_cvt_f32_f16 v85, v85;
	;;#ASMEND
	;;#ASMSTART
	v_cvt_f32_f16 v84, v84;
	;;#ASMEND
	v_and_b32_e32 v96, 0xffff, v91
	v_and_b32_e32 v97, 0xffff, v90
	;;#ASMSTART
	v_cvt_f32_f16 v96, v96;
	;;#ASMEND
	;;#ASMSTART
	v_cvt_f32_f16 v97, v97;
	;;#ASMEND
	s_delay_alu instid0(VALU_DEP_1)
	v_dual_fmac_f32 v70, v84, v97 :: v_dual_fmac_f32 v71, v85, v96
	v_lshrrev_b32_e32 v84, 16, v86
	v_and_b32_e32 v85, 0xffff, v86
	v_and_b32_e32 v86, 0xffff, v89
	;;#ASMSTART
	v_cvt_f32_f16 v85, v85;
	;;#ASMEND
	;;#ASMSTART
	v_cvt_f32_f16 v84, v84;
	;;#ASMEND
	;; [unrolled: 3-line block ×3, first 2 shown]
	v_and_b32_e32 v96, 0xffff, v88
	;;#ASMSTART
	v_cvt_f32_f16 v96, v96;
	;;#ASMEND
	s_delay_alu instid0(VALU_DEP_1)
	v_dual_fmac_f32 v81, v85, v86 :: v_dual_fmac_f32 v80, v84, v96
	v_lshrrev_b32_e32 v84, 16, v87
	v_and_b32_e32 v85, 0xffff, v87
	v_and_b32_e32 v86, 0xffff, v79
	;; [unrolled: 1-line block ×3, first 2 shown]
	;;#ASMSTART
	v_cvt_f32_f16 v85, v85;
	;;#ASMEND
	;;#ASMSTART
	v_cvt_f32_f16 v84, v84;
	;;#ASMEND
	;; [unrolled: 3-line block ×4, first 2 shown]
	v_dual_fmac_f32 v83, v85, v86 :: v_dual_fmac_f32 v82, v84, v87
	ds_load_b128 v[84:87], v9 offset:208
	v_and_b32_e32 v97, 0xffff, v75
	v_and_b32_e32 v98, 0xffff, v74
	s_waitcnt lgkmcnt(0)
	v_lshrrev_b32_e32 v96, 16, v84
	v_and_b32_e32 v84, 0xffff, v84
	;;#ASMSTART
	v_cvt_f32_f16 v84, v84;
	;;#ASMEND
	;;#ASMSTART
	v_cvt_f32_f16 v96, v96;
	;;#ASMEND
	;; [unrolled: 3-line block ×3, first 2 shown]
	s_delay_alu instid0(VALU_DEP_1)
	v_fmac_f32_e32 v64, v84, v97
	v_lshrrev_b32_e32 v84, 16, v85
	v_and_b32_e32 v85, 0xffff, v85
	;;#ASMSTART
	v_cvt_f32_f16 v98, v98;
	;;#ASMEND
	v_fmac_f32_e32 v69, v96, v98
	;;#ASMSTART
	v_cvt_f32_f16 v85, v85;
	;;#ASMEND
	;;#ASMSTART
	v_cvt_f32_f16 v84, v84;
	;;#ASMEND
	v_and_b32_e32 v96, 0xffff, v73
	v_and_b32_e32 v97, 0xffff, v72
	;;#ASMSTART
	v_cvt_f32_f16 v96, v96;
	;;#ASMEND
	;;#ASMSTART
	v_cvt_f32_f16 v97, v97;
	;;#ASMEND
	s_delay_alu instid0(VALU_DEP_1)
	v_dual_fmac_f32 v70, v84, v97 :: v_dual_fmac_f32 v71, v85, v96
	v_lshrrev_b32_e32 v84, 16, v86
	v_and_b32_e32 v85, 0xffff, v86
	;;#ASMSTART
	v_cvt_f32_f16 v85, v85;
	;;#ASMEND
	;;#ASMSTART
	v_cvt_f32_f16 v84, v84;
	;;#ASMEND
	v_and_b32_e32 v86, 0xffff, v63
	v_and_b32_e32 v96, 0xffff, v62
	;;#ASMSTART
	v_cvt_f32_f16 v86, v86;
	;;#ASMEND
	;;#ASMSTART
	v_cvt_f32_f16 v96, v96;
	;;#ASMEND
	s_delay_alu instid0(VALU_DEP_1)
	v_dual_fmac_f32 v81, v85, v86 :: v_dual_fmac_f32 v80, v84, v96
	v_lshrrev_b32_e32 v84, 16, v87
	v_and_b32_e32 v85, 0xffff, v87
	;;#ASMSTART
	v_cvt_f32_f16 v85, v85;
	;;#ASMEND
	;;#ASMSTART
	v_cvt_f32_f16 v84, v84;
	;;#ASMEND
	;; [unrolled: 3-line block ×4, first 2 shown]
	v_dual_fmac_f32 v83, v85, v33 :: v_dual_fmac_f32 v82, v84, v32
	ds_load_b128 v[84:87], v9 offset:224
	s_waitcnt lgkmcnt(0)
	v_lshrrev_b32_e32 v32, 16, v84
	v_and_b32_e32 v33, 0xffff, v84
	;;#ASMSTART
	v_cvt_f32_f16 v33, v33;
	;;#ASMEND
	;;#ASMSTART
	v_cvt_f32_f16 v32, v32;
	;;#ASMEND
	;;#ASMSTART
	v_cvt_f32_f16 v68, v68;
	;;#ASMEND
	;;#ASMSTART
	v_cvt_f32_f16 v67, v67;
	;;#ASMEND
	v_dual_fmac_f32 v64, v33, v68 :: v_dual_fmac_f32 v69, v32, v67
	v_lshrrev_b32_e32 v32, 16, v85
	v_and_b32_e32 v33, 0xffff, v85
	;;#ASMSTART
	v_cvt_f32_f16 v33, v33;
	;;#ASMEND
	;;#ASMSTART
	v_cvt_f32_f16 v32, v32;
	;;#ASMEND
	;;#ASMSTART
	v_cvt_f32_f16 v66, v66;
	;;#ASMEND
	;;#ASMSTART
	v_cvt_f32_f16 v65, v65;
	;;#ASMEND
	v_dual_fmac_f32 v71, v33, v66 :: v_dual_fmac_f32 v70, v32, v65
	;; [unrolled: 15-line block ×3, first 2 shown]
	v_lshrrev_b32_e32 v30, 16, v87
	v_and_b32_e32 v31, 0xffff, v87
	;;#ASMSTART
	v_cvt_f32_f16 v31, v31;
	;;#ASMEND
	;;#ASMSTART
	v_cvt_f32_f16 v30, v30;
	;;#ASMEND
	;; [unrolled: 3-line block ×4, first 2 shown]
	v_fmac_f32_e32 v82, v30, v28
	v_add_f32_e32 v28, v64, v69
	s_delay_alu instid0(VALU_DEP_1) | instskip(NEXT) | instid1(VALU_DEP_1)
	v_dual_fmac_f32 v83, v31, v29 :: v_dual_add_f32 v28, v28, v71
	v_add_f32_e32 v28, v70, v28
	s_delay_alu instid0(VALU_DEP_1) | instskip(NEXT) | instid1(VALU_DEP_1)
	v_add_f32_e32 v28, v28, v81
	v_add_f32_e32 v28, v80, v28
	s_delay_alu instid0(VALU_DEP_1) | instskip(NEXT) | instid1(VALU_DEP_1)
	v_add_f32_e32 v28, v28, v83
	v_add_f32_e32 v28, v82, v28
	s_delay_alu instid0(VALU_DEP_1) | instskip(NEXT) | instid1(VALU_DEP_1)
	v_fmac_f32_e32 v8, v28, v13
	v_cndmask_b32_e64 v28, 0, v8, s1
	ds_store_b32 v54, v28
	v_max_f32_e32 v28, v51, v51
	v_add_nc_u32_e32 v54, 0x200, v54
	s_delay_alu instid0(VALU_DEP_2) | instskip(NEXT) | instid1(VALU_DEP_1)
	v_max_f32_e32 v8, v28, v8
	v_cndmask_b32_e64 v51, v51, v8, s1
	v_add_co_u32 v20, s1, v20, 16
	s_delay_alu instid0(VALU_DEP_1) | instskip(SKIP_1) | instid1(VALU_DEP_1)
	v_add_co_ci_u32_e64 v21, s1, 0, v21, s1
	v_cmp_ge_i32_e64 s1, v55, v23
	s_or_b32 s7, s1, s7
	s_delay_alu instid0(SALU_CYCLE_1)
	s_and_not1_b32 exec_lo, exec_lo, s7
	s_cbranch_execz .LBB367_968
.LBB367_11:                             ; =>This Inner Loop Header: Depth=1
	flat_load_b32 v8, v[20:21]
	s_mov_b32 s17, exec_lo
	v_mov_b32_e32 v65, 0
	s_waitcnt vmcnt(0) lgkmcnt(0)
	v_mad_i64_i32 v[28:29], null, v8, v22, v[18:19]
	flat_load_b64 v[30:31], v[28:29]
	flat_load_b32 v64, v[24:25]
	s_waitcnt vmcnt(1) lgkmcnt(1)
	v_and_b32_e32 v8, 0xff, v30
	s_delay_alu instid0(VALU_DEP_1)
	v_cmpx_ne_u16_e32 0, v8
	s_cbranch_execz .LBB367_19
; %bb.12:                               ;   in Loop: Header=BB367_11 Depth=1
	v_bfrev_b32_e32 v65, 1
	s_mov_b32 s18, exec_lo
	v_cmpx_ne_u16_e32 0x80, v8
	s_cbranch_execz .LBB367_18
; %bb.13:                               ;   in Loop: Header=BB367_11 Depth=1
	v_and_b32_e32 v32, 0x7f, v30
	v_mov_b32_e32 v65, 0x7fc02000
	s_mov_b32 s19, exec_lo
	s_delay_alu instid0(VALU_DEP_2)
	v_cmpx_ne_u32_e32 0x7f, v32
	s_cbranch_execz .LBB367_17
; %bb.14:                               ;   in Loop: Header=BB367_11 Depth=1
	v_lshrrev_b32_e32 v8, 3, v32
	v_cmp_gt_u32_e64 s1, 8, v32
	v_dual_mov_b32 v33, v31 :: v_dual_mov_b32 v32, v30
	s_delay_alu instid0(VALU_DEP_2)
	s_and_saveexec_b32 s20, s1
; %bb.15:                               ;   in Loop: Header=BB367_11 Depth=1
	v_and_b32_e32 v8, 7, v30
	s_delay_alu instid0(VALU_DEP_1) | instskip(NEXT) | instid1(VALU_DEP_1)
	v_clz_i32_u32_e32 v8, v8
	v_min_u32_e32 v8, 32, v8
	s_delay_alu instid0(VALU_DEP_1) | instskip(SKIP_1) | instid1(VALU_DEP_2)
	v_subrev_nc_u32_e32 v32, 28, v8
	v_sub_nc_u32_e32 v8, 29, v8
	v_lshlrev_b64 v[32:33], v32, v[30:31]
; %bb.16:                               ;   in Loop: Header=BB367_11 Depth=1
	s_or_b32 exec_lo, exec_lo, s20
	v_lshlrev_b32_e32 v33, 8, v30
	s_delay_alu instid0(VALU_DEP_3) | instskip(NEXT) | instid1(VALU_DEP_3)
	v_lshl_add_u32 v8, v8, 10, 0x2000
	v_lshlrev_b32_e32 v32, 7, v32
	s_delay_alu instid0(VALU_DEP_2) | instskip(NEXT) | instid1(VALU_DEP_1)
	v_and_or_b32 v8, 0x8000, v33, v8
	v_and_or_b32 v8, 0x380, v32, v8
	s_delay_alu instid0(VALU_DEP_1)
	v_cvt_f32_f16_e32 v65, v8
.LBB367_17:                             ;   in Loop: Header=BB367_11 Depth=1
	s_or_b32 exec_lo, exec_lo, s19
.LBB367_18:                             ;   in Loop: Header=BB367_11 Depth=1
	s_delay_alu instid0(SALU_CYCLE_1)
	s_or_b32 exec_lo, exec_lo, s18
.LBB367_19:                             ;   in Loop: Header=BB367_11 Depth=1
	s_delay_alu instid0(SALU_CYCLE_1) | instskip(SKIP_3) | instid1(VALU_DEP_2)
	s_or_b32 exec_lo, exec_lo, s17
	v_lshrrev_b16 v8, 8, v30
	v_dual_mov_b32 v66, 0 :: v_dual_mov_b32 v67, 0
	s_mov_b32 s17, exec_lo
	v_cmpx_ne_u16_e32 0, v8
	s_cbranch_execz .LBB367_27
; %bb.20:                               ;   in Loop: Header=BB367_11 Depth=1
	v_bfrev_b32_e32 v67, 1
	s_mov_b32 s18, exec_lo
	v_cmpx_ne_u16_e32 0x80, v8
	s_cbranch_execz .LBB367_26
; %bb.21:                               ;   in Loop: Header=BB367_11 Depth=1
	v_and_b32_e32 v68, 0xffff, v8
	v_mov_b32_e32 v67, 0x7fc02000
	s_mov_b32 s19, exec_lo
	s_delay_alu instid0(VALU_DEP_2) | instskip(NEXT) | instid1(VALU_DEP_1)
	v_and_b32_e32 v32, 0x7f, v68
	v_cmpx_ne_u32_e32 0x7f, v32
	s_cbranch_execz .LBB367_25
; %bb.22:                               ;   in Loop: Header=BB367_11 Depth=1
	v_and_b32_e32 v8, 7, v68
	v_lshrrev_b32_e32 v67, 3, v32
	v_cmp_gt_u32_e64 s1, 8, v32
	s_delay_alu instid0(VALU_DEP_3) | instskip(NEXT) | instid1(VALU_DEP_2)
	v_dual_mov_b32 v33, v9 :: v_dual_mov_b32 v32, v8
	s_and_saveexec_b32 s20, s1
; %bb.23:                               ;   in Loop: Header=BB367_11 Depth=1
	v_clz_i32_u32_e32 v32, v8
	s_delay_alu instid0(VALU_DEP_1) | instskip(NEXT) | instid1(VALU_DEP_1)
	v_min_u32_e32 v67, 32, v32
	v_subrev_nc_u32_e32 v32, 28, v67
	v_sub_nc_u32_e32 v67, 29, v67
	s_delay_alu instid0(VALU_DEP_2) | instskip(NEXT) | instid1(VALU_DEP_1)
	v_lshlrev_b64 v[32:33], v32, v[8:9]
	v_and_b32_e32 v32, 7, v32
; %bb.24:                               ;   in Loop: Header=BB367_11 Depth=1
	s_or_b32 exec_lo, exec_lo, s20
	v_lshlrev_b32_e32 v8, 8, v68
	v_lshl_add_u32 v33, v67, 10, 0x2000
	s_delay_alu instid0(VALU_DEP_1) | instskip(NEXT) | instid1(VALU_DEP_1)
	v_and_or_b32 v8, 0x8000, v8, v33
	v_lshl_or_b32 v8, v32, 7, v8
	s_delay_alu instid0(VALU_DEP_1)
	v_cvt_f32_f16_e32 v67, v8
.LBB367_25:                             ;   in Loop: Header=BB367_11 Depth=1
	s_or_b32 exec_lo, exec_lo, s19
.LBB367_26:                             ;   in Loop: Header=BB367_11 Depth=1
	s_delay_alu instid0(SALU_CYCLE_1)
	s_or_b32 exec_lo, exec_lo, s18
.LBB367_27:                             ;   in Loop: Header=BB367_11 Depth=1
	s_delay_alu instid0(SALU_CYCLE_1) | instskip(SKIP_2) | instid1(VALU_DEP_1)
	s_or_b32 exec_lo, exec_lo, s17
	v_lshrrev_b32_e32 v68, 16, v30
	s_mov_b32 s17, exec_lo
	v_and_b32_e32 v8, 0xff, v68
	s_delay_alu instid0(VALU_DEP_1)
	v_cmpx_ne_u16_e32 0, v8
	s_cbranch_execz .LBB367_35
; %bb.28:                               ;   in Loop: Header=BB367_11 Depth=1
	v_bfrev_b32_e32 v66, 1
	s_mov_b32 s18, exec_lo
	v_cmpx_ne_u16_e32 0x80, v8
	s_cbranch_execz .LBB367_34
; %bb.29:                               ;   in Loop: Header=BB367_11 Depth=1
	v_bfe_u32 v32, v30, 16, 7
	v_mov_b32_e32 v66, 0x7fc02000
	s_mov_b32 s19, exec_lo
	s_delay_alu instid0(VALU_DEP_2)
	v_cmpx_ne_u32_e32 0x7f, v32
	s_cbranch_execz .LBB367_33
; %bb.30:                               ;   in Loop: Header=BB367_11 Depth=1
	v_and_b32_e32 v8, 7, v68
	v_lshrrev_b32_e32 v66, 3, v32
	v_cmp_gt_u32_e64 s1, 8, v32
	s_delay_alu instid0(VALU_DEP_3) | instskip(NEXT) | instid1(VALU_DEP_2)
	v_dual_mov_b32 v33, v9 :: v_dual_mov_b32 v32, v8
	s_and_saveexec_b32 s20, s1
; %bb.31:                               ;   in Loop: Header=BB367_11 Depth=1
	v_clz_i32_u32_e32 v32, v8
	s_delay_alu instid0(VALU_DEP_1) | instskip(NEXT) | instid1(VALU_DEP_1)
	v_min_u32_e32 v66, 32, v32
	v_subrev_nc_u32_e32 v32, 28, v66
	v_sub_nc_u32_e32 v66, 29, v66
	s_delay_alu instid0(VALU_DEP_2) | instskip(NEXT) | instid1(VALU_DEP_1)
	v_lshlrev_b64 v[32:33], v32, v[8:9]
	v_and_b32_e32 v32, 7, v32
; %bb.32:                               ;   in Loop: Header=BB367_11 Depth=1
	s_or_b32 exec_lo, exec_lo, s20
	v_lshlrev_b32_e32 v8, 8, v68
	v_lshl_add_u32 v33, v66, 10, 0x2000
	s_delay_alu instid0(VALU_DEP_1) | instskip(NEXT) | instid1(VALU_DEP_1)
	v_and_or_b32 v8, 0x8000, v8, v33
	v_lshl_or_b32 v8, v32, 7, v8
	s_delay_alu instid0(VALU_DEP_1)
	v_cvt_f32_f16_e32 v66, v8
.LBB367_33:                             ;   in Loop: Header=BB367_11 Depth=1
	s_or_b32 exec_lo, exec_lo, s19
.LBB367_34:                             ;   in Loop: Header=BB367_11 Depth=1
	s_delay_alu instid0(SALU_CYCLE_1)
	s_or_b32 exec_lo, exec_lo, s18
.LBB367_35:                             ;   in Loop: Header=BB367_11 Depth=1
	s_delay_alu instid0(SALU_CYCLE_1)
	s_or_b32 exec_lo, exec_lo, s17
	v_dual_mov_b32 v68, 0 :: v_dual_mov_b32 v69, 0
	s_mov_b32 s17, exec_lo
	v_cmpx_lt_u32_e32 0xffffff, v30
	s_cbranch_execz .LBB367_43
; %bb.36:                               ;   in Loop: Header=BB367_11 Depth=1
	v_lshrrev_b32_e32 v70, 24, v30
	v_bfrev_b32_e32 v69, 1
	s_mov_b32 s18, exec_lo
	s_delay_alu instid0(VALU_DEP_2)
	v_cmpx_ne_u32_e32 0x80, v70
	s_cbranch_execz .LBB367_42
; %bb.37:                               ;   in Loop: Header=BB367_11 Depth=1
	v_and_b32_e32 v32, 0x7f, v70
	v_mov_b32_e32 v69, 0x7fc02000
	s_mov_b32 s19, exec_lo
	s_delay_alu instid0(VALU_DEP_2)
	v_cmpx_ne_u32_e32 0x7f, v32
	s_cbranch_execz .LBB367_41
; %bb.38:                               ;   in Loop: Header=BB367_11 Depth=1
	v_and_b32_e32 v8, 7, v70
	v_lshrrev_b32_e32 v69, 3, v32
	v_cmp_gt_u32_e64 s1, 8, v32
	s_delay_alu instid0(VALU_DEP_3) | instskip(NEXT) | instid1(VALU_DEP_2)
	v_dual_mov_b32 v33, v9 :: v_dual_mov_b32 v32, v8
	s_and_saveexec_b32 s20, s1
; %bb.39:                               ;   in Loop: Header=BB367_11 Depth=1
	v_clz_i32_u32_e32 v32, v8
	s_delay_alu instid0(VALU_DEP_1) | instskip(NEXT) | instid1(VALU_DEP_1)
	v_min_u32_e32 v69, 32, v32
	v_subrev_nc_u32_e32 v32, 28, v69
	v_sub_nc_u32_e32 v69, 29, v69
	s_delay_alu instid0(VALU_DEP_2) | instskip(NEXT) | instid1(VALU_DEP_1)
	v_lshlrev_b64 v[32:33], v32, v[8:9]
	v_and_b32_e32 v32, 7, v32
; %bb.40:                               ;   in Loop: Header=BB367_11 Depth=1
	s_or_b32 exec_lo, exec_lo, s20
	v_lshlrev_b32_e32 v8, 8, v70
	v_lshl_add_u32 v33, v69, 10, 0x2000
	s_delay_alu instid0(VALU_DEP_1) | instskip(NEXT) | instid1(VALU_DEP_1)
	v_and_or_b32 v8, 0x8000, v8, v33
	v_lshl_or_b32 v8, v32, 7, v8
	s_delay_alu instid0(VALU_DEP_1)
	v_cvt_f32_f16_e32 v69, v8
.LBB367_41:                             ;   in Loop: Header=BB367_11 Depth=1
	s_or_b32 exec_lo, exec_lo, s19
.LBB367_42:                             ;   in Loop: Header=BB367_11 Depth=1
	s_delay_alu instid0(SALU_CYCLE_1)
	s_or_b32 exec_lo, exec_lo, s18
.LBB367_43:                             ;   in Loop: Header=BB367_11 Depth=1
	s_delay_alu instid0(SALU_CYCLE_1) | instskip(SKIP_3) | instid1(VALU_DEP_2)
	s_or_b32 exec_lo, exec_lo, s17
	v_and_b32_e32 v32, 0xff, v31
	v_mov_b32_e32 v8, v31
	s_mov_b32 s17, exec_lo
	v_cmpx_ne_u16_e32 0, v32
	s_cbranch_execz .LBB367_51
; %bb.44:                               ;   in Loop: Header=BB367_11 Depth=1
	v_bfrev_b32_e32 v68, 1
	s_mov_b32 s18, exec_lo
	v_cmpx_ne_u16_e32 0x80, v32
	s_cbranch_execz .LBB367_50
; %bb.45:                               ;   in Loop: Header=BB367_11 Depth=1
	v_and_b32_e32 v32, 0x7f, v31
	v_mov_b32_e32 v68, 0x7fc02000
	s_mov_b32 s19, exec_lo
	s_delay_alu instid0(VALU_DEP_2)
	v_cmpx_ne_u32_e32 0x7f, v32
	s_cbranch_execz .LBB367_49
; %bb.46:                               ;   in Loop: Header=BB367_11 Depth=1
	v_lshrrev_b32_e32 v68, 3, v32
	v_cmp_gt_u32_e64 s1, 8, v32
	v_dual_mov_b32 v33, v9 :: v_dual_mov_b32 v32, v8
	s_delay_alu instid0(VALU_DEP_2)
	s_and_saveexec_b32 s20, s1
; %bb.47:                               ;   in Loop: Header=BB367_11 Depth=1
	v_and_b32_e32 v32, 7, v31
	s_delay_alu instid0(VALU_DEP_1) | instskip(NEXT) | instid1(VALU_DEP_1)
	v_clz_i32_u32_e32 v32, v32
	v_min_u32_e32 v68, 32, v32
	s_delay_alu instid0(VALU_DEP_1) | instskip(SKIP_1) | instid1(VALU_DEP_2)
	v_subrev_nc_u32_e32 v32, 28, v68
	v_sub_nc_u32_e32 v68, 29, v68
	v_lshlrev_b64 v[32:33], v32, v[8:9]
; %bb.48:                               ;   in Loop: Header=BB367_11 Depth=1
	s_or_b32 exec_lo, exec_lo, s20
	v_lshlrev_b32_e32 v33, 8, v31
	s_delay_alu instid0(VALU_DEP_3) | instskip(NEXT) | instid1(VALU_DEP_3)
	v_lshl_add_u32 v68, v68, 10, 0x2000
	v_lshlrev_b32_e32 v32, 7, v32
	s_delay_alu instid0(VALU_DEP_2) | instskip(NEXT) | instid1(VALU_DEP_1)
	v_and_or_b32 v33, 0x8000, v33, v68
	v_and_or_b32 v32, 0x380, v32, v33
	s_delay_alu instid0(VALU_DEP_1)
	v_cvt_f32_f16_e32 v68, v32
.LBB367_49:                             ;   in Loop: Header=BB367_11 Depth=1
	s_or_b32 exec_lo, exec_lo, s19
.LBB367_50:                             ;   in Loop: Header=BB367_11 Depth=1
	s_delay_alu instid0(SALU_CYCLE_1)
	s_or_b32 exec_lo, exec_lo, s18
.LBB367_51:                             ;   in Loop: Header=BB367_11 Depth=1
	s_delay_alu instid0(SALU_CYCLE_1) | instskip(SKIP_3) | instid1(VALU_DEP_2)
	s_or_b32 exec_lo, exec_lo, s17
	v_lshrrev_b16 v8, 8, v8
	v_dual_mov_b32 v70, 0 :: v_dual_mov_b32 v71, 0
	s_mov_b32 s17, exec_lo
	v_cmpx_ne_u16_e32 0, v8
	s_cbranch_execz .LBB367_59
; %bb.52:                               ;   in Loop: Header=BB367_11 Depth=1
	v_bfrev_b32_e32 v71, 1
	s_mov_b32 s18, exec_lo
	v_cmpx_ne_u16_e32 0x80, v8
	s_cbranch_execz .LBB367_58
; %bb.53:                               ;   in Loop: Header=BB367_11 Depth=1
	v_and_b32_e32 v80, 0xffff, v8
	v_mov_b32_e32 v71, 0x7fc02000
	s_mov_b32 s19, exec_lo
	s_delay_alu instid0(VALU_DEP_2) | instskip(NEXT) | instid1(VALU_DEP_1)
	v_and_b32_e32 v32, 0x7f, v80
	v_cmpx_ne_u32_e32 0x7f, v32
	s_cbranch_execz .LBB367_57
; %bb.54:                               ;   in Loop: Header=BB367_11 Depth=1
	v_and_b32_e32 v8, 7, v80
	v_lshrrev_b32_e32 v71, 3, v32
	v_cmp_gt_u32_e64 s1, 8, v32
	s_delay_alu instid0(VALU_DEP_3) | instskip(NEXT) | instid1(VALU_DEP_2)
	v_dual_mov_b32 v33, v9 :: v_dual_mov_b32 v32, v8
	s_and_saveexec_b32 s20, s1
; %bb.55:                               ;   in Loop: Header=BB367_11 Depth=1
	v_clz_i32_u32_e32 v32, v8
	s_delay_alu instid0(VALU_DEP_1) | instskip(NEXT) | instid1(VALU_DEP_1)
	v_min_u32_e32 v71, 32, v32
	v_subrev_nc_u32_e32 v32, 28, v71
	v_sub_nc_u32_e32 v71, 29, v71
	s_delay_alu instid0(VALU_DEP_2) | instskip(NEXT) | instid1(VALU_DEP_1)
	v_lshlrev_b64 v[32:33], v32, v[8:9]
	v_and_b32_e32 v32, 7, v32
; %bb.56:                               ;   in Loop: Header=BB367_11 Depth=1
	s_or_b32 exec_lo, exec_lo, s20
	v_lshlrev_b32_e32 v8, 8, v80
	v_lshl_add_u32 v33, v71, 10, 0x2000
	s_delay_alu instid0(VALU_DEP_1) | instskip(NEXT) | instid1(VALU_DEP_1)
	v_and_or_b32 v8, 0x8000, v8, v33
	v_lshl_or_b32 v8, v32, 7, v8
	s_delay_alu instid0(VALU_DEP_1)
	v_cvt_f32_f16_e32 v71, v8
.LBB367_57:                             ;   in Loop: Header=BB367_11 Depth=1
	s_or_b32 exec_lo, exec_lo, s19
.LBB367_58:                             ;   in Loop: Header=BB367_11 Depth=1
	s_delay_alu instid0(SALU_CYCLE_1)
	s_or_b32 exec_lo, exec_lo, s18
.LBB367_59:                             ;   in Loop: Header=BB367_11 Depth=1
	s_delay_alu instid0(SALU_CYCLE_1) | instskip(SKIP_2) | instid1(VALU_DEP_1)
	s_or_b32 exec_lo, exec_lo, s17
	v_lshrrev_b32_e32 v80, 16, v31
	s_mov_b32 s17, exec_lo
	v_and_b32_e32 v8, 0xff, v80
	s_delay_alu instid0(VALU_DEP_1)
	v_cmpx_ne_u16_e32 0, v8
	s_cbranch_execz .LBB367_67
; %bb.60:                               ;   in Loop: Header=BB367_11 Depth=1
	v_bfrev_b32_e32 v70, 1
	s_mov_b32 s18, exec_lo
	v_cmpx_ne_u16_e32 0x80, v8
	s_cbranch_execz .LBB367_66
; %bb.61:                               ;   in Loop: Header=BB367_11 Depth=1
	v_bfe_u32 v32, v31, 16, 7
	v_mov_b32_e32 v70, 0x7fc02000
	s_mov_b32 s19, exec_lo
	s_delay_alu instid0(VALU_DEP_2)
	v_cmpx_ne_u32_e32 0x7f, v32
	s_cbranch_execz .LBB367_65
; %bb.62:                               ;   in Loop: Header=BB367_11 Depth=1
	v_and_b32_e32 v8, 7, v80
	v_lshrrev_b32_e32 v70, 3, v32
	v_cmp_gt_u32_e64 s1, 8, v32
	s_delay_alu instid0(VALU_DEP_3) | instskip(NEXT) | instid1(VALU_DEP_2)
	v_dual_mov_b32 v33, v9 :: v_dual_mov_b32 v32, v8
	s_and_saveexec_b32 s20, s1
; %bb.63:                               ;   in Loop: Header=BB367_11 Depth=1
	v_clz_i32_u32_e32 v32, v8
	s_delay_alu instid0(VALU_DEP_1) | instskip(NEXT) | instid1(VALU_DEP_1)
	v_min_u32_e32 v70, 32, v32
	v_subrev_nc_u32_e32 v32, 28, v70
	v_sub_nc_u32_e32 v70, 29, v70
	s_delay_alu instid0(VALU_DEP_2) | instskip(NEXT) | instid1(VALU_DEP_1)
	v_lshlrev_b64 v[32:33], v32, v[8:9]
	v_and_b32_e32 v32, 7, v32
; %bb.64:                               ;   in Loop: Header=BB367_11 Depth=1
	s_or_b32 exec_lo, exec_lo, s20
	v_lshlrev_b32_e32 v8, 8, v80
	v_lshl_add_u32 v33, v70, 10, 0x2000
	s_delay_alu instid0(VALU_DEP_1) | instskip(NEXT) | instid1(VALU_DEP_1)
	v_and_or_b32 v8, 0x8000, v8, v33
	v_lshl_or_b32 v8, v32, 7, v8
	s_delay_alu instid0(VALU_DEP_1)
	v_cvt_f32_f16_e32 v70, v8
.LBB367_65:                             ;   in Loop: Header=BB367_11 Depth=1
	s_or_b32 exec_lo, exec_lo, s19
.LBB367_66:                             ;   in Loop: Header=BB367_11 Depth=1
	s_delay_alu instid0(SALU_CYCLE_1)
	s_or_b32 exec_lo, exec_lo, s18
.LBB367_67:                             ;   in Loop: Header=BB367_11 Depth=1
	s_delay_alu instid0(SALU_CYCLE_1)
	s_or_b32 exec_lo, exec_lo, s17
	v_dual_mov_b32 v81, 0 :: v_dual_mov_b32 v80, 0
	s_mov_b32 s17, exec_lo
	v_cmpx_lt_u64_e64 s[2:3], v[30:31]
	s_cbranch_execz .LBB367_75
; %bb.68:                               ;   in Loop: Header=BB367_11 Depth=1
	v_lshrrev_b32_e32 v32, 24, v31
	v_bfrev_b32_e32 v80, 1
	s_mov_b32 s18, exec_lo
	s_delay_alu instid0(VALU_DEP_2)
	v_cmpx_ne_u32_e32 0x80, v32
	s_cbranch_execz .LBB367_74
; %bb.69:                               ;   in Loop: Header=BB367_11 Depth=1
	v_and_b32_e32 v30, 0x7f, v32
	v_mov_b32_e32 v80, 0x7fc02000
	s_mov_b32 s19, exec_lo
	s_delay_alu instid0(VALU_DEP_2)
	v_cmpx_ne_u32_e32 0x7f, v30
	s_cbranch_execz .LBB367_73
; %bb.70:                               ;   in Loop: Header=BB367_11 Depth=1
	v_and_b32_e32 v8, 7, v32
	v_lshrrev_b32_e32 v33, 3, v30
	v_cmp_gt_u32_e64 s1, 8, v30
	s_delay_alu instid0(VALU_DEP_3) | instskip(NEXT) | instid1(VALU_DEP_2)
	v_dual_mov_b32 v31, v9 :: v_dual_mov_b32 v30, v8
	s_and_saveexec_b32 s20, s1
; %bb.71:                               ;   in Loop: Header=BB367_11 Depth=1
	v_clz_i32_u32_e32 v30, v8
	s_delay_alu instid0(VALU_DEP_1) | instskip(NEXT) | instid1(VALU_DEP_1)
	v_min_u32_e32 v33, 32, v30
	v_subrev_nc_u32_e32 v30, 28, v33
	v_sub_nc_u32_e32 v33, 29, v33
	s_delay_alu instid0(VALU_DEP_2) | instskip(NEXT) | instid1(VALU_DEP_1)
	v_lshlrev_b64 v[30:31], v30, v[8:9]
	v_and_b32_e32 v30, 7, v30
; %bb.72:                               ;   in Loop: Header=BB367_11 Depth=1
	s_or_b32 exec_lo, exec_lo, s20
	v_lshlrev_b32_e32 v8, 8, v32
	v_lshl_add_u32 v31, v33, 10, 0x2000
	s_delay_alu instid0(VALU_DEP_1) | instskip(NEXT) | instid1(VALU_DEP_1)
	v_and_or_b32 v8, 0x8000, v8, v31
	v_lshl_or_b32 v8, v30, 7, v8
	s_delay_alu instid0(VALU_DEP_1)
	v_cvt_f32_f16_e32 v80, v8
.LBB367_73:                             ;   in Loop: Header=BB367_11 Depth=1
	s_or_b32 exec_lo, exec_lo, s19
.LBB367_74:                             ;   in Loop: Header=BB367_11 Depth=1
	s_delay_alu instid0(SALU_CYCLE_1)
	s_or_b32 exec_lo, exec_lo, s18
.LBB367_75:                             ;   in Loop: Header=BB367_11 Depth=1
	s_delay_alu instid0(SALU_CYCLE_1) | instskip(SKIP_4) | instid1(VALU_DEP_1)
	s_or_b32 exec_lo, exec_lo, s17
	flat_load_b64 v[30:31], v[28:29] offset:8
	s_mov_b32 s17, exec_lo
	s_waitcnt vmcnt(0) lgkmcnt(0)
	v_and_b32_e32 v8, 0xff, v30
	v_cmpx_ne_u16_e32 0, v8
	s_cbranch_execz .LBB367_83
; %bb.76:                               ;   in Loop: Header=BB367_11 Depth=1
	v_bfrev_b32_e32 v81, 1
	s_mov_b32 s18, exec_lo
	v_cmpx_ne_u16_e32 0x80, v8
	s_cbranch_execz .LBB367_82
; %bb.77:                               ;   in Loop: Header=BB367_11 Depth=1
	v_and_b32_e32 v32, 0x7f, v30
	v_mov_b32_e32 v81, 0x7fc02000
	s_mov_b32 s19, exec_lo
	s_delay_alu instid0(VALU_DEP_2)
	v_cmpx_ne_u32_e32 0x7f, v32
	s_cbranch_execz .LBB367_81
; %bb.78:                               ;   in Loop: Header=BB367_11 Depth=1
	v_lshrrev_b32_e32 v8, 3, v32
	v_cmp_gt_u32_e64 s1, 8, v32
	v_dual_mov_b32 v33, v31 :: v_dual_mov_b32 v32, v30
	s_delay_alu instid0(VALU_DEP_2)
	s_and_saveexec_b32 s20, s1
; %bb.79:                               ;   in Loop: Header=BB367_11 Depth=1
	v_and_b32_e32 v8, 7, v30
	s_delay_alu instid0(VALU_DEP_1) | instskip(NEXT) | instid1(VALU_DEP_1)
	v_clz_i32_u32_e32 v8, v8
	v_min_u32_e32 v8, 32, v8
	s_delay_alu instid0(VALU_DEP_1) | instskip(SKIP_1) | instid1(VALU_DEP_2)
	v_subrev_nc_u32_e32 v32, 28, v8
	v_sub_nc_u32_e32 v8, 29, v8
	v_lshlrev_b64 v[32:33], v32, v[30:31]
; %bb.80:                               ;   in Loop: Header=BB367_11 Depth=1
	s_or_b32 exec_lo, exec_lo, s20
	v_lshlrev_b32_e32 v33, 8, v30
	s_delay_alu instid0(VALU_DEP_3) | instskip(NEXT) | instid1(VALU_DEP_3)
	v_lshl_add_u32 v8, v8, 10, 0x2000
	v_lshlrev_b32_e32 v32, 7, v32
	s_delay_alu instid0(VALU_DEP_2) | instskip(NEXT) | instid1(VALU_DEP_1)
	v_and_or_b32 v8, 0x8000, v33, v8
	v_and_or_b32 v8, 0x380, v32, v8
	s_delay_alu instid0(VALU_DEP_1)
	v_cvt_f32_f16_e32 v81, v8
.LBB367_81:                             ;   in Loop: Header=BB367_11 Depth=1
	s_or_b32 exec_lo, exec_lo, s19
.LBB367_82:                             ;   in Loop: Header=BB367_11 Depth=1
	s_delay_alu instid0(SALU_CYCLE_1)
	s_or_b32 exec_lo, exec_lo, s18
.LBB367_83:                             ;   in Loop: Header=BB367_11 Depth=1
	s_delay_alu instid0(SALU_CYCLE_1) | instskip(SKIP_3) | instid1(VALU_DEP_2)
	s_or_b32 exec_lo, exec_lo, s17
	v_lshrrev_b16 v8, 8, v30
	v_dual_mov_b32 v82, 0 :: v_dual_mov_b32 v83, 0
	s_mov_b32 s17, exec_lo
	v_cmpx_ne_u16_e32 0, v8
	s_cbranch_execz .LBB367_91
; %bb.84:                               ;   in Loop: Header=BB367_11 Depth=1
	v_bfrev_b32_e32 v83, 1
	s_mov_b32 s18, exec_lo
	v_cmpx_ne_u16_e32 0x80, v8
	s_cbranch_execz .LBB367_90
; %bb.85:                               ;   in Loop: Header=BB367_11 Depth=1
	v_and_b32_e32 v84, 0xffff, v8
	v_mov_b32_e32 v83, 0x7fc02000
	s_mov_b32 s19, exec_lo
	s_delay_alu instid0(VALU_DEP_2) | instskip(NEXT) | instid1(VALU_DEP_1)
	v_and_b32_e32 v32, 0x7f, v84
	v_cmpx_ne_u32_e32 0x7f, v32
	s_cbranch_execz .LBB367_89
; %bb.86:                               ;   in Loop: Header=BB367_11 Depth=1
	v_and_b32_e32 v8, 7, v84
	v_lshrrev_b32_e32 v83, 3, v32
	v_cmp_gt_u32_e64 s1, 8, v32
	s_delay_alu instid0(VALU_DEP_3) | instskip(NEXT) | instid1(VALU_DEP_2)
	v_dual_mov_b32 v33, v9 :: v_dual_mov_b32 v32, v8
	s_and_saveexec_b32 s20, s1
; %bb.87:                               ;   in Loop: Header=BB367_11 Depth=1
	v_clz_i32_u32_e32 v32, v8
	s_delay_alu instid0(VALU_DEP_1) | instskip(NEXT) | instid1(VALU_DEP_1)
	v_min_u32_e32 v83, 32, v32
	v_subrev_nc_u32_e32 v32, 28, v83
	v_sub_nc_u32_e32 v83, 29, v83
	s_delay_alu instid0(VALU_DEP_2) | instskip(NEXT) | instid1(VALU_DEP_1)
	v_lshlrev_b64 v[32:33], v32, v[8:9]
	v_and_b32_e32 v32, 7, v32
; %bb.88:                               ;   in Loop: Header=BB367_11 Depth=1
	s_or_b32 exec_lo, exec_lo, s20
	v_lshlrev_b32_e32 v8, 8, v84
	v_lshl_add_u32 v33, v83, 10, 0x2000
	s_delay_alu instid0(VALU_DEP_1) | instskip(NEXT) | instid1(VALU_DEP_1)
	v_and_or_b32 v8, 0x8000, v8, v33
	v_lshl_or_b32 v8, v32, 7, v8
	s_delay_alu instid0(VALU_DEP_1)
	v_cvt_f32_f16_e32 v83, v8
.LBB367_89:                             ;   in Loop: Header=BB367_11 Depth=1
	s_or_b32 exec_lo, exec_lo, s19
.LBB367_90:                             ;   in Loop: Header=BB367_11 Depth=1
	s_delay_alu instid0(SALU_CYCLE_1)
	s_or_b32 exec_lo, exec_lo, s18
.LBB367_91:                             ;   in Loop: Header=BB367_11 Depth=1
	s_delay_alu instid0(SALU_CYCLE_1) | instskip(SKIP_2) | instid1(VALU_DEP_1)
	s_or_b32 exec_lo, exec_lo, s17
	v_lshrrev_b32_e32 v84, 16, v30
	s_mov_b32 s17, exec_lo
	v_and_b32_e32 v8, 0xff, v84
	s_delay_alu instid0(VALU_DEP_1)
	v_cmpx_ne_u16_e32 0, v8
	s_cbranch_execz .LBB367_99
; %bb.92:                               ;   in Loop: Header=BB367_11 Depth=1
	v_bfrev_b32_e32 v82, 1
	s_mov_b32 s18, exec_lo
	v_cmpx_ne_u16_e32 0x80, v8
	s_cbranch_execz .LBB367_98
; %bb.93:                               ;   in Loop: Header=BB367_11 Depth=1
	v_bfe_u32 v32, v30, 16, 7
	v_mov_b32_e32 v82, 0x7fc02000
	s_mov_b32 s19, exec_lo
	s_delay_alu instid0(VALU_DEP_2)
	v_cmpx_ne_u32_e32 0x7f, v32
	s_cbranch_execz .LBB367_97
; %bb.94:                               ;   in Loop: Header=BB367_11 Depth=1
	v_and_b32_e32 v8, 7, v84
	v_lshrrev_b32_e32 v82, 3, v32
	v_cmp_gt_u32_e64 s1, 8, v32
	s_delay_alu instid0(VALU_DEP_3) | instskip(NEXT) | instid1(VALU_DEP_2)
	v_dual_mov_b32 v33, v9 :: v_dual_mov_b32 v32, v8
	s_and_saveexec_b32 s20, s1
; %bb.95:                               ;   in Loop: Header=BB367_11 Depth=1
	v_clz_i32_u32_e32 v32, v8
	s_delay_alu instid0(VALU_DEP_1) | instskip(NEXT) | instid1(VALU_DEP_1)
	v_min_u32_e32 v82, 32, v32
	v_subrev_nc_u32_e32 v32, 28, v82
	v_sub_nc_u32_e32 v82, 29, v82
	s_delay_alu instid0(VALU_DEP_2) | instskip(NEXT) | instid1(VALU_DEP_1)
	v_lshlrev_b64 v[32:33], v32, v[8:9]
	v_and_b32_e32 v32, 7, v32
; %bb.96:                               ;   in Loop: Header=BB367_11 Depth=1
	s_or_b32 exec_lo, exec_lo, s20
	v_lshlrev_b32_e32 v8, 8, v84
	v_lshl_add_u32 v33, v82, 10, 0x2000
	s_delay_alu instid0(VALU_DEP_1) | instskip(NEXT) | instid1(VALU_DEP_1)
	v_and_or_b32 v8, 0x8000, v8, v33
	v_lshl_or_b32 v8, v32, 7, v8
	s_delay_alu instid0(VALU_DEP_1)
	v_cvt_f32_f16_e32 v82, v8
.LBB367_97:                             ;   in Loop: Header=BB367_11 Depth=1
	s_or_b32 exec_lo, exec_lo, s19
.LBB367_98:                             ;   in Loop: Header=BB367_11 Depth=1
	s_delay_alu instid0(SALU_CYCLE_1)
	s_or_b32 exec_lo, exec_lo, s18
.LBB367_99:                             ;   in Loop: Header=BB367_11 Depth=1
	s_delay_alu instid0(SALU_CYCLE_1)
	s_or_b32 exec_lo, exec_lo, s17
	v_dual_mov_b32 v84, 0 :: v_dual_mov_b32 v85, 0
	s_mov_b32 s17, exec_lo
	v_cmpx_lt_u32_e32 0xffffff, v30
	s_cbranch_execz .LBB367_107
; %bb.100:                              ;   in Loop: Header=BB367_11 Depth=1
	v_lshrrev_b32_e32 v86, 24, v30
	v_bfrev_b32_e32 v85, 1
	s_mov_b32 s18, exec_lo
	s_delay_alu instid0(VALU_DEP_2)
	v_cmpx_ne_u32_e32 0x80, v86
	s_cbranch_execz .LBB367_106
; %bb.101:                              ;   in Loop: Header=BB367_11 Depth=1
	v_and_b32_e32 v32, 0x7f, v86
	v_mov_b32_e32 v85, 0x7fc02000
	s_mov_b32 s19, exec_lo
	s_delay_alu instid0(VALU_DEP_2)
	v_cmpx_ne_u32_e32 0x7f, v32
	s_cbranch_execz .LBB367_105
; %bb.102:                              ;   in Loop: Header=BB367_11 Depth=1
	v_and_b32_e32 v8, 7, v86
	v_lshrrev_b32_e32 v85, 3, v32
	v_cmp_gt_u32_e64 s1, 8, v32
	s_delay_alu instid0(VALU_DEP_3) | instskip(NEXT) | instid1(VALU_DEP_2)
	v_dual_mov_b32 v33, v9 :: v_dual_mov_b32 v32, v8
	s_and_saveexec_b32 s20, s1
; %bb.103:                              ;   in Loop: Header=BB367_11 Depth=1
	v_clz_i32_u32_e32 v32, v8
	s_delay_alu instid0(VALU_DEP_1) | instskip(NEXT) | instid1(VALU_DEP_1)
	v_min_u32_e32 v85, 32, v32
	v_subrev_nc_u32_e32 v32, 28, v85
	v_sub_nc_u32_e32 v85, 29, v85
	s_delay_alu instid0(VALU_DEP_2) | instskip(NEXT) | instid1(VALU_DEP_1)
	v_lshlrev_b64 v[32:33], v32, v[8:9]
	v_and_b32_e32 v32, 7, v32
; %bb.104:                              ;   in Loop: Header=BB367_11 Depth=1
	s_or_b32 exec_lo, exec_lo, s20
	v_lshlrev_b32_e32 v8, 8, v86
	v_lshl_add_u32 v33, v85, 10, 0x2000
	s_delay_alu instid0(VALU_DEP_1) | instskip(NEXT) | instid1(VALU_DEP_1)
	v_and_or_b32 v8, 0x8000, v8, v33
	v_lshl_or_b32 v8, v32, 7, v8
	s_delay_alu instid0(VALU_DEP_1)
	v_cvt_f32_f16_e32 v85, v8
.LBB367_105:                            ;   in Loop: Header=BB367_11 Depth=1
	s_or_b32 exec_lo, exec_lo, s19
.LBB367_106:                            ;   in Loop: Header=BB367_11 Depth=1
	s_delay_alu instid0(SALU_CYCLE_1)
	s_or_b32 exec_lo, exec_lo, s18
.LBB367_107:                            ;   in Loop: Header=BB367_11 Depth=1
	s_delay_alu instid0(SALU_CYCLE_1) | instskip(SKIP_3) | instid1(VALU_DEP_2)
	s_or_b32 exec_lo, exec_lo, s17
	v_and_b32_e32 v32, 0xff, v31
	v_mov_b32_e32 v8, v31
	s_mov_b32 s17, exec_lo
	v_cmpx_ne_u16_e32 0, v32
	s_cbranch_execz .LBB367_115
; %bb.108:                              ;   in Loop: Header=BB367_11 Depth=1
	v_bfrev_b32_e32 v84, 1
	s_mov_b32 s18, exec_lo
	v_cmpx_ne_u16_e32 0x80, v32
	s_cbranch_execz .LBB367_114
; %bb.109:                              ;   in Loop: Header=BB367_11 Depth=1
	v_and_b32_e32 v32, 0x7f, v31
	v_mov_b32_e32 v84, 0x7fc02000
	s_mov_b32 s19, exec_lo
	s_delay_alu instid0(VALU_DEP_2)
	v_cmpx_ne_u32_e32 0x7f, v32
	s_cbranch_execz .LBB367_113
; %bb.110:                              ;   in Loop: Header=BB367_11 Depth=1
	v_lshrrev_b32_e32 v84, 3, v32
	v_cmp_gt_u32_e64 s1, 8, v32
	v_dual_mov_b32 v33, v9 :: v_dual_mov_b32 v32, v8
	s_delay_alu instid0(VALU_DEP_2)
	s_and_saveexec_b32 s20, s1
; %bb.111:                              ;   in Loop: Header=BB367_11 Depth=1
	v_and_b32_e32 v32, 7, v31
	s_delay_alu instid0(VALU_DEP_1) | instskip(NEXT) | instid1(VALU_DEP_1)
	v_clz_i32_u32_e32 v32, v32
	v_min_u32_e32 v84, 32, v32
	s_delay_alu instid0(VALU_DEP_1) | instskip(SKIP_1) | instid1(VALU_DEP_2)
	v_subrev_nc_u32_e32 v32, 28, v84
	v_sub_nc_u32_e32 v84, 29, v84
	v_lshlrev_b64 v[32:33], v32, v[8:9]
; %bb.112:                              ;   in Loop: Header=BB367_11 Depth=1
	s_or_b32 exec_lo, exec_lo, s20
	v_lshlrev_b32_e32 v33, 8, v31
	s_delay_alu instid0(VALU_DEP_3) | instskip(NEXT) | instid1(VALU_DEP_3)
	v_lshl_add_u32 v84, v84, 10, 0x2000
	v_lshlrev_b32_e32 v32, 7, v32
	s_delay_alu instid0(VALU_DEP_2) | instskip(NEXT) | instid1(VALU_DEP_1)
	v_and_or_b32 v33, 0x8000, v33, v84
	v_and_or_b32 v32, 0x380, v32, v33
	s_delay_alu instid0(VALU_DEP_1)
	v_cvt_f32_f16_e32 v84, v32
.LBB367_113:                            ;   in Loop: Header=BB367_11 Depth=1
	s_or_b32 exec_lo, exec_lo, s19
.LBB367_114:                            ;   in Loop: Header=BB367_11 Depth=1
	s_delay_alu instid0(SALU_CYCLE_1)
	s_or_b32 exec_lo, exec_lo, s18
.LBB367_115:                            ;   in Loop: Header=BB367_11 Depth=1
	s_delay_alu instid0(SALU_CYCLE_1) | instskip(SKIP_3) | instid1(VALU_DEP_2)
	s_or_b32 exec_lo, exec_lo, s17
	v_lshrrev_b16 v8, 8, v8
	v_dual_mov_b32 v86, 0 :: v_dual_mov_b32 v87, 0
	s_mov_b32 s17, exec_lo
	v_cmpx_ne_u16_e32 0, v8
	s_cbranch_execz .LBB367_123
; %bb.116:                              ;   in Loop: Header=BB367_11 Depth=1
	v_bfrev_b32_e32 v87, 1
	s_mov_b32 s18, exec_lo
	v_cmpx_ne_u16_e32 0x80, v8
	s_cbranch_execz .LBB367_122
; %bb.117:                              ;   in Loop: Header=BB367_11 Depth=1
	v_and_b32_e32 v96, 0xffff, v8
	v_mov_b32_e32 v87, 0x7fc02000
	s_mov_b32 s19, exec_lo
	s_delay_alu instid0(VALU_DEP_2) | instskip(NEXT) | instid1(VALU_DEP_1)
	v_and_b32_e32 v32, 0x7f, v96
	v_cmpx_ne_u32_e32 0x7f, v32
	s_cbranch_execz .LBB367_121
; %bb.118:                              ;   in Loop: Header=BB367_11 Depth=1
	v_and_b32_e32 v8, 7, v96
	v_lshrrev_b32_e32 v87, 3, v32
	v_cmp_gt_u32_e64 s1, 8, v32
	s_delay_alu instid0(VALU_DEP_3) | instskip(NEXT) | instid1(VALU_DEP_2)
	v_dual_mov_b32 v33, v9 :: v_dual_mov_b32 v32, v8
	s_and_saveexec_b32 s20, s1
; %bb.119:                              ;   in Loop: Header=BB367_11 Depth=1
	v_clz_i32_u32_e32 v32, v8
	s_delay_alu instid0(VALU_DEP_1) | instskip(NEXT) | instid1(VALU_DEP_1)
	v_min_u32_e32 v87, 32, v32
	v_subrev_nc_u32_e32 v32, 28, v87
	v_sub_nc_u32_e32 v87, 29, v87
	s_delay_alu instid0(VALU_DEP_2) | instskip(NEXT) | instid1(VALU_DEP_1)
	v_lshlrev_b64 v[32:33], v32, v[8:9]
	v_and_b32_e32 v32, 7, v32
; %bb.120:                              ;   in Loop: Header=BB367_11 Depth=1
	s_or_b32 exec_lo, exec_lo, s20
	v_lshlrev_b32_e32 v8, 8, v96
	v_lshl_add_u32 v33, v87, 10, 0x2000
	s_delay_alu instid0(VALU_DEP_1) | instskip(NEXT) | instid1(VALU_DEP_1)
	v_and_or_b32 v8, 0x8000, v8, v33
	v_lshl_or_b32 v8, v32, 7, v8
	s_delay_alu instid0(VALU_DEP_1)
	v_cvt_f32_f16_e32 v87, v8
.LBB367_121:                            ;   in Loop: Header=BB367_11 Depth=1
	s_or_b32 exec_lo, exec_lo, s19
.LBB367_122:                            ;   in Loop: Header=BB367_11 Depth=1
	s_delay_alu instid0(SALU_CYCLE_1)
	s_or_b32 exec_lo, exec_lo, s18
.LBB367_123:                            ;   in Loop: Header=BB367_11 Depth=1
	s_delay_alu instid0(SALU_CYCLE_1) | instskip(SKIP_2) | instid1(VALU_DEP_1)
	s_or_b32 exec_lo, exec_lo, s17
	v_lshrrev_b32_e32 v96, 16, v31
	s_mov_b32 s17, exec_lo
	v_and_b32_e32 v8, 0xff, v96
	s_delay_alu instid0(VALU_DEP_1)
	v_cmpx_ne_u16_e32 0, v8
	s_cbranch_execz .LBB367_131
; %bb.124:                              ;   in Loop: Header=BB367_11 Depth=1
	v_bfrev_b32_e32 v86, 1
	s_mov_b32 s18, exec_lo
	v_cmpx_ne_u16_e32 0x80, v8
	s_cbranch_execz .LBB367_130
; %bb.125:                              ;   in Loop: Header=BB367_11 Depth=1
	v_bfe_u32 v32, v31, 16, 7
	v_mov_b32_e32 v86, 0x7fc02000
	s_mov_b32 s19, exec_lo
	s_delay_alu instid0(VALU_DEP_2)
	v_cmpx_ne_u32_e32 0x7f, v32
	s_cbranch_execz .LBB367_129
; %bb.126:                              ;   in Loop: Header=BB367_11 Depth=1
	v_and_b32_e32 v8, 7, v96
	v_lshrrev_b32_e32 v86, 3, v32
	v_cmp_gt_u32_e64 s1, 8, v32
	s_delay_alu instid0(VALU_DEP_3) | instskip(NEXT) | instid1(VALU_DEP_2)
	v_dual_mov_b32 v33, v9 :: v_dual_mov_b32 v32, v8
	s_and_saveexec_b32 s20, s1
; %bb.127:                              ;   in Loop: Header=BB367_11 Depth=1
	v_clz_i32_u32_e32 v32, v8
	s_delay_alu instid0(VALU_DEP_1) | instskip(NEXT) | instid1(VALU_DEP_1)
	v_min_u32_e32 v86, 32, v32
	v_subrev_nc_u32_e32 v32, 28, v86
	v_sub_nc_u32_e32 v86, 29, v86
	s_delay_alu instid0(VALU_DEP_2) | instskip(NEXT) | instid1(VALU_DEP_1)
	v_lshlrev_b64 v[32:33], v32, v[8:9]
	v_and_b32_e32 v32, 7, v32
; %bb.128:                              ;   in Loop: Header=BB367_11 Depth=1
	s_or_b32 exec_lo, exec_lo, s20
	v_lshlrev_b32_e32 v8, 8, v96
	v_lshl_add_u32 v33, v86, 10, 0x2000
	s_delay_alu instid0(VALU_DEP_1) | instskip(NEXT) | instid1(VALU_DEP_1)
	v_and_or_b32 v8, 0x8000, v8, v33
	v_lshl_or_b32 v8, v32, 7, v8
	s_delay_alu instid0(VALU_DEP_1)
	v_cvt_f32_f16_e32 v86, v8
.LBB367_129:                            ;   in Loop: Header=BB367_11 Depth=1
	s_or_b32 exec_lo, exec_lo, s19
.LBB367_130:                            ;   in Loop: Header=BB367_11 Depth=1
	s_delay_alu instid0(SALU_CYCLE_1)
	s_or_b32 exec_lo, exec_lo, s18
.LBB367_131:                            ;   in Loop: Header=BB367_11 Depth=1
	s_delay_alu instid0(SALU_CYCLE_1)
	s_or_b32 exec_lo, exec_lo, s17
	v_dual_mov_b32 v97, 0 :: v_dual_mov_b32 v96, 0
	s_mov_b32 s17, exec_lo
	v_cmpx_lt_u64_e64 s[2:3], v[30:31]
	s_cbranch_execz .LBB367_139
; %bb.132:                              ;   in Loop: Header=BB367_11 Depth=1
	v_lshrrev_b32_e32 v32, 24, v31
	v_bfrev_b32_e32 v96, 1
	s_mov_b32 s18, exec_lo
	s_delay_alu instid0(VALU_DEP_2)
	v_cmpx_ne_u32_e32 0x80, v32
	s_cbranch_execz .LBB367_138
; %bb.133:                              ;   in Loop: Header=BB367_11 Depth=1
	v_and_b32_e32 v30, 0x7f, v32
	v_mov_b32_e32 v96, 0x7fc02000
	s_mov_b32 s19, exec_lo
	s_delay_alu instid0(VALU_DEP_2)
	v_cmpx_ne_u32_e32 0x7f, v30
	s_cbranch_execz .LBB367_137
; %bb.134:                              ;   in Loop: Header=BB367_11 Depth=1
	v_and_b32_e32 v8, 7, v32
	v_lshrrev_b32_e32 v33, 3, v30
	v_cmp_gt_u32_e64 s1, 8, v30
	s_delay_alu instid0(VALU_DEP_3) | instskip(NEXT) | instid1(VALU_DEP_2)
	v_dual_mov_b32 v31, v9 :: v_dual_mov_b32 v30, v8
	s_and_saveexec_b32 s20, s1
; %bb.135:                              ;   in Loop: Header=BB367_11 Depth=1
	v_clz_i32_u32_e32 v30, v8
	s_delay_alu instid0(VALU_DEP_1) | instskip(NEXT) | instid1(VALU_DEP_1)
	v_min_u32_e32 v33, 32, v30
	v_subrev_nc_u32_e32 v30, 28, v33
	v_sub_nc_u32_e32 v33, 29, v33
	s_delay_alu instid0(VALU_DEP_2) | instskip(NEXT) | instid1(VALU_DEP_1)
	v_lshlrev_b64 v[30:31], v30, v[8:9]
	v_and_b32_e32 v30, 7, v30
; %bb.136:                              ;   in Loop: Header=BB367_11 Depth=1
	s_or_b32 exec_lo, exec_lo, s20
	v_lshlrev_b32_e32 v8, 8, v32
	v_lshl_add_u32 v31, v33, 10, 0x2000
	s_delay_alu instid0(VALU_DEP_1) | instskip(NEXT) | instid1(VALU_DEP_1)
	v_and_or_b32 v8, 0x8000, v8, v31
	v_lshl_or_b32 v8, v30, 7, v8
	s_delay_alu instid0(VALU_DEP_1)
	v_cvt_f32_f16_e32 v96, v8
.LBB367_137:                            ;   in Loop: Header=BB367_11 Depth=1
	s_or_b32 exec_lo, exec_lo, s19
.LBB367_138:                            ;   in Loop: Header=BB367_11 Depth=1
	s_delay_alu instid0(SALU_CYCLE_1)
	s_or_b32 exec_lo, exec_lo, s18
.LBB367_139:                            ;   in Loop: Header=BB367_11 Depth=1
	s_delay_alu instid0(SALU_CYCLE_1) | instskip(SKIP_4) | instid1(VALU_DEP_1)
	s_or_b32 exec_lo, exec_lo, s17
	flat_load_b64 v[30:31], v[28:29] offset:512
	s_mov_b32 s17, exec_lo
	s_waitcnt vmcnt(0) lgkmcnt(0)
	v_and_b32_e32 v8, 0xff, v30
	v_cmpx_ne_u16_e32 0, v8
	s_cbranch_execz .LBB367_147
; %bb.140:                              ;   in Loop: Header=BB367_11 Depth=1
	v_bfrev_b32_e32 v97, 1
	s_mov_b32 s18, exec_lo
	v_cmpx_ne_u16_e32 0x80, v8
	s_cbranch_execz .LBB367_146
; %bb.141:                              ;   in Loop: Header=BB367_11 Depth=1
	v_and_b32_e32 v32, 0x7f, v30
	v_mov_b32_e32 v97, 0x7fc02000
	s_mov_b32 s19, exec_lo
	s_delay_alu instid0(VALU_DEP_2)
	v_cmpx_ne_u32_e32 0x7f, v32
	s_cbranch_execz .LBB367_145
; %bb.142:                              ;   in Loop: Header=BB367_11 Depth=1
	v_lshrrev_b32_e32 v8, 3, v32
	v_cmp_gt_u32_e64 s1, 8, v32
	v_dual_mov_b32 v33, v31 :: v_dual_mov_b32 v32, v30
	s_delay_alu instid0(VALU_DEP_2)
	s_and_saveexec_b32 s20, s1
; %bb.143:                              ;   in Loop: Header=BB367_11 Depth=1
	v_and_b32_e32 v8, 7, v30
	s_delay_alu instid0(VALU_DEP_1) | instskip(NEXT) | instid1(VALU_DEP_1)
	v_clz_i32_u32_e32 v8, v8
	v_min_u32_e32 v8, 32, v8
	s_delay_alu instid0(VALU_DEP_1) | instskip(SKIP_1) | instid1(VALU_DEP_2)
	v_subrev_nc_u32_e32 v32, 28, v8
	v_sub_nc_u32_e32 v8, 29, v8
	v_lshlrev_b64 v[32:33], v32, v[30:31]
; %bb.144:                              ;   in Loop: Header=BB367_11 Depth=1
	s_or_b32 exec_lo, exec_lo, s20
	v_lshlrev_b32_e32 v33, 8, v30
	s_delay_alu instid0(VALU_DEP_3) | instskip(NEXT) | instid1(VALU_DEP_3)
	v_lshl_add_u32 v8, v8, 10, 0x2000
	v_lshlrev_b32_e32 v32, 7, v32
	s_delay_alu instid0(VALU_DEP_2) | instskip(NEXT) | instid1(VALU_DEP_1)
	v_and_or_b32 v8, 0x8000, v33, v8
	v_and_or_b32 v8, 0x380, v32, v8
	s_delay_alu instid0(VALU_DEP_1)
	v_cvt_f32_f16_e32 v97, v8
.LBB367_145:                            ;   in Loop: Header=BB367_11 Depth=1
	s_or_b32 exec_lo, exec_lo, s19
.LBB367_146:                            ;   in Loop: Header=BB367_11 Depth=1
	s_delay_alu instid0(SALU_CYCLE_1)
	s_or_b32 exec_lo, exec_lo, s18
.LBB367_147:                            ;   in Loop: Header=BB367_11 Depth=1
	s_delay_alu instid0(SALU_CYCLE_1) | instskip(SKIP_3) | instid1(VALU_DEP_2)
	s_or_b32 exec_lo, exec_lo, s17
	v_lshrrev_b16 v8, 8, v30
	v_dual_mov_b32 v98, 0 :: v_dual_mov_b32 v99, 0
	s_mov_b32 s17, exec_lo
	v_cmpx_ne_u16_e32 0, v8
	s_cbranch_execz .LBB367_155
; %bb.148:                              ;   in Loop: Header=BB367_11 Depth=1
	v_bfrev_b32_e32 v99, 1
	s_mov_b32 s18, exec_lo
	v_cmpx_ne_u16_e32 0x80, v8
	s_cbranch_execz .LBB367_154
; %bb.149:                              ;   in Loop: Header=BB367_11 Depth=1
	v_and_b32_e32 v100, 0xffff, v8
	v_mov_b32_e32 v99, 0x7fc02000
	s_mov_b32 s19, exec_lo
	s_delay_alu instid0(VALU_DEP_2) | instskip(NEXT) | instid1(VALU_DEP_1)
	v_and_b32_e32 v32, 0x7f, v100
	v_cmpx_ne_u32_e32 0x7f, v32
	s_cbranch_execz .LBB367_153
; %bb.150:                              ;   in Loop: Header=BB367_11 Depth=1
	v_and_b32_e32 v8, 7, v100
	v_lshrrev_b32_e32 v99, 3, v32
	v_cmp_gt_u32_e64 s1, 8, v32
	s_delay_alu instid0(VALU_DEP_3) | instskip(NEXT) | instid1(VALU_DEP_2)
	v_dual_mov_b32 v33, v9 :: v_dual_mov_b32 v32, v8
	s_and_saveexec_b32 s20, s1
; %bb.151:                              ;   in Loop: Header=BB367_11 Depth=1
	v_clz_i32_u32_e32 v32, v8
	s_delay_alu instid0(VALU_DEP_1) | instskip(NEXT) | instid1(VALU_DEP_1)
	v_min_u32_e32 v99, 32, v32
	v_subrev_nc_u32_e32 v32, 28, v99
	v_sub_nc_u32_e32 v99, 29, v99
	s_delay_alu instid0(VALU_DEP_2) | instskip(NEXT) | instid1(VALU_DEP_1)
	v_lshlrev_b64 v[32:33], v32, v[8:9]
	v_and_b32_e32 v32, 7, v32
; %bb.152:                              ;   in Loop: Header=BB367_11 Depth=1
	s_or_b32 exec_lo, exec_lo, s20
	v_lshlrev_b32_e32 v8, 8, v100
	v_lshl_add_u32 v33, v99, 10, 0x2000
	s_delay_alu instid0(VALU_DEP_1) | instskip(NEXT) | instid1(VALU_DEP_1)
	v_and_or_b32 v8, 0x8000, v8, v33
	v_lshl_or_b32 v8, v32, 7, v8
	s_delay_alu instid0(VALU_DEP_1)
	v_cvt_f32_f16_e32 v99, v8
.LBB367_153:                            ;   in Loop: Header=BB367_11 Depth=1
	s_or_b32 exec_lo, exec_lo, s19
.LBB367_154:                            ;   in Loop: Header=BB367_11 Depth=1
	s_delay_alu instid0(SALU_CYCLE_1)
	s_or_b32 exec_lo, exec_lo, s18
.LBB367_155:                            ;   in Loop: Header=BB367_11 Depth=1
	s_delay_alu instid0(SALU_CYCLE_1) | instskip(SKIP_2) | instid1(VALU_DEP_1)
	s_or_b32 exec_lo, exec_lo, s17
	v_lshrrev_b32_e32 v100, 16, v30
	s_mov_b32 s17, exec_lo
	v_and_b32_e32 v8, 0xff, v100
	s_delay_alu instid0(VALU_DEP_1)
	v_cmpx_ne_u16_e32 0, v8
	s_cbranch_execz .LBB367_163
; %bb.156:                              ;   in Loop: Header=BB367_11 Depth=1
	v_bfrev_b32_e32 v98, 1
	s_mov_b32 s18, exec_lo
	v_cmpx_ne_u16_e32 0x80, v8
	s_cbranch_execz .LBB367_162
; %bb.157:                              ;   in Loop: Header=BB367_11 Depth=1
	v_bfe_u32 v32, v30, 16, 7
	v_mov_b32_e32 v98, 0x7fc02000
	s_mov_b32 s19, exec_lo
	s_delay_alu instid0(VALU_DEP_2)
	v_cmpx_ne_u32_e32 0x7f, v32
	s_cbranch_execz .LBB367_161
; %bb.158:                              ;   in Loop: Header=BB367_11 Depth=1
	v_and_b32_e32 v8, 7, v100
	v_lshrrev_b32_e32 v98, 3, v32
	v_cmp_gt_u32_e64 s1, 8, v32
	s_delay_alu instid0(VALU_DEP_3) | instskip(NEXT) | instid1(VALU_DEP_2)
	v_dual_mov_b32 v33, v9 :: v_dual_mov_b32 v32, v8
	s_and_saveexec_b32 s20, s1
; %bb.159:                              ;   in Loop: Header=BB367_11 Depth=1
	v_clz_i32_u32_e32 v32, v8
	s_delay_alu instid0(VALU_DEP_1) | instskip(NEXT) | instid1(VALU_DEP_1)
	v_min_u32_e32 v98, 32, v32
	v_subrev_nc_u32_e32 v32, 28, v98
	v_sub_nc_u32_e32 v98, 29, v98
	s_delay_alu instid0(VALU_DEP_2) | instskip(NEXT) | instid1(VALU_DEP_1)
	v_lshlrev_b64 v[32:33], v32, v[8:9]
	v_and_b32_e32 v32, 7, v32
; %bb.160:                              ;   in Loop: Header=BB367_11 Depth=1
	s_or_b32 exec_lo, exec_lo, s20
	v_lshlrev_b32_e32 v8, 8, v100
	v_lshl_add_u32 v33, v98, 10, 0x2000
	s_delay_alu instid0(VALU_DEP_1) | instskip(NEXT) | instid1(VALU_DEP_1)
	v_and_or_b32 v8, 0x8000, v8, v33
	v_lshl_or_b32 v8, v32, 7, v8
	s_delay_alu instid0(VALU_DEP_1)
	v_cvt_f32_f16_e32 v98, v8
.LBB367_161:                            ;   in Loop: Header=BB367_11 Depth=1
	s_or_b32 exec_lo, exec_lo, s19
.LBB367_162:                            ;   in Loop: Header=BB367_11 Depth=1
	s_delay_alu instid0(SALU_CYCLE_1)
	s_or_b32 exec_lo, exec_lo, s18
.LBB367_163:                            ;   in Loop: Header=BB367_11 Depth=1
	s_delay_alu instid0(SALU_CYCLE_1)
	s_or_b32 exec_lo, exec_lo, s17
	v_dual_mov_b32 v100, 0 :: v_dual_mov_b32 v101, 0
	s_mov_b32 s17, exec_lo
	v_cmpx_lt_u32_e32 0xffffff, v30
	s_cbranch_execz .LBB367_171
; %bb.164:                              ;   in Loop: Header=BB367_11 Depth=1
	v_lshrrev_b32_e32 v102, 24, v30
	v_bfrev_b32_e32 v101, 1
	s_mov_b32 s18, exec_lo
	s_delay_alu instid0(VALU_DEP_2)
	v_cmpx_ne_u32_e32 0x80, v102
	s_cbranch_execz .LBB367_170
; %bb.165:                              ;   in Loop: Header=BB367_11 Depth=1
	v_and_b32_e32 v32, 0x7f, v102
	v_mov_b32_e32 v101, 0x7fc02000
	s_mov_b32 s19, exec_lo
	s_delay_alu instid0(VALU_DEP_2)
	v_cmpx_ne_u32_e32 0x7f, v32
	s_cbranch_execz .LBB367_169
; %bb.166:                              ;   in Loop: Header=BB367_11 Depth=1
	v_and_b32_e32 v8, 7, v102
	v_lshrrev_b32_e32 v101, 3, v32
	v_cmp_gt_u32_e64 s1, 8, v32
	s_delay_alu instid0(VALU_DEP_3) | instskip(NEXT) | instid1(VALU_DEP_2)
	v_dual_mov_b32 v33, v9 :: v_dual_mov_b32 v32, v8
	s_and_saveexec_b32 s20, s1
; %bb.167:                              ;   in Loop: Header=BB367_11 Depth=1
	v_clz_i32_u32_e32 v32, v8
	s_delay_alu instid0(VALU_DEP_1) | instskip(NEXT) | instid1(VALU_DEP_1)
	v_min_u32_e32 v101, 32, v32
	v_subrev_nc_u32_e32 v32, 28, v101
	v_sub_nc_u32_e32 v101, 29, v101
	s_delay_alu instid0(VALU_DEP_2) | instskip(NEXT) | instid1(VALU_DEP_1)
	v_lshlrev_b64 v[32:33], v32, v[8:9]
	v_and_b32_e32 v32, 7, v32
; %bb.168:                              ;   in Loop: Header=BB367_11 Depth=1
	s_or_b32 exec_lo, exec_lo, s20
	v_lshlrev_b32_e32 v8, 8, v102
	v_lshl_add_u32 v33, v101, 10, 0x2000
	s_delay_alu instid0(VALU_DEP_1) | instskip(NEXT) | instid1(VALU_DEP_1)
	v_and_or_b32 v8, 0x8000, v8, v33
	v_lshl_or_b32 v8, v32, 7, v8
	s_delay_alu instid0(VALU_DEP_1)
	v_cvt_f32_f16_e32 v101, v8
.LBB367_169:                            ;   in Loop: Header=BB367_11 Depth=1
	s_or_b32 exec_lo, exec_lo, s19
.LBB367_170:                            ;   in Loop: Header=BB367_11 Depth=1
	s_delay_alu instid0(SALU_CYCLE_1)
	s_or_b32 exec_lo, exec_lo, s18
.LBB367_171:                            ;   in Loop: Header=BB367_11 Depth=1
	s_delay_alu instid0(SALU_CYCLE_1) | instskip(SKIP_3) | instid1(VALU_DEP_2)
	s_or_b32 exec_lo, exec_lo, s17
	v_and_b32_e32 v32, 0xff, v31
	v_mov_b32_e32 v8, v31
	s_mov_b32 s17, exec_lo
	v_cmpx_ne_u16_e32 0, v32
	s_cbranch_execz .LBB367_179
; %bb.172:                              ;   in Loop: Header=BB367_11 Depth=1
	v_bfrev_b32_e32 v100, 1
	s_mov_b32 s18, exec_lo
	v_cmpx_ne_u16_e32 0x80, v32
	s_cbranch_execz .LBB367_178
; %bb.173:                              ;   in Loop: Header=BB367_11 Depth=1
	v_and_b32_e32 v32, 0x7f, v31
	v_mov_b32_e32 v100, 0x7fc02000
	s_mov_b32 s19, exec_lo
	s_delay_alu instid0(VALU_DEP_2)
	v_cmpx_ne_u32_e32 0x7f, v32
	s_cbranch_execz .LBB367_177
; %bb.174:                              ;   in Loop: Header=BB367_11 Depth=1
	v_lshrrev_b32_e32 v100, 3, v32
	v_cmp_gt_u32_e64 s1, 8, v32
	v_dual_mov_b32 v33, v9 :: v_dual_mov_b32 v32, v8
	s_delay_alu instid0(VALU_DEP_2)
	s_and_saveexec_b32 s20, s1
; %bb.175:                              ;   in Loop: Header=BB367_11 Depth=1
	v_and_b32_e32 v32, 7, v31
	s_delay_alu instid0(VALU_DEP_1) | instskip(NEXT) | instid1(VALU_DEP_1)
	v_clz_i32_u32_e32 v32, v32
	v_min_u32_e32 v100, 32, v32
	s_delay_alu instid0(VALU_DEP_1) | instskip(SKIP_1) | instid1(VALU_DEP_2)
	v_subrev_nc_u32_e32 v32, 28, v100
	v_sub_nc_u32_e32 v100, 29, v100
	v_lshlrev_b64 v[32:33], v32, v[8:9]
; %bb.176:                              ;   in Loop: Header=BB367_11 Depth=1
	s_or_b32 exec_lo, exec_lo, s20
	v_lshlrev_b32_e32 v33, 8, v31
	s_delay_alu instid0(VALU_DEP_3) | instskip(NEXT) | instid1(VALU_DEP_3)
	v_lshl_add_u32 v100, v100, 10, 0x2000
	v_lshlrev_b32_e32 v32, 7, v32
	s_delay_alu instid0(VALU_DEP_2) | instskip(NEXT) | instid1(VALU_DEP_1)
	v_and_or_b32 v33, 0x8000, v33, v100
	v_and_or_b32 v32, 0x380, v32, v33
	s_delay_alu instid0(VALU_DEP_1)
	v_cvt_f32_f16_e32 v100, v32
.LBB367_177:                            ;   in Loop: Header=BB367_11 Depth=1
	s_or_b32 exec_lo, exec_lo, s19
.LBB367_178:                            ;   in Loop: Header=BB367_11 Depth=1
	s_delay_alu instid0(SALU_CYCLE_1)
	s_or_b32 exec_lo, exec_lo, s18
.LBB367_179:                            ;   in Loop: Header=BB367_11 Depth=1
	s_delay_alu instid0(SALU_CYCLE_1) | instskip(SKIP_3) | instid1(VALU_DEP_2)
	s_or_b32 exec_lo, exec_lo, s17
	v_lshrrev_b16 v8, 8, v8
	v_dual_mov_b32 v102, 0 :: v_dual_mov_b32 v103, 0
	s_mov_b32 s17, exec_lo
	v_cmpx_ne_u16_e32 0, v8
	s_cbranch_execz .LBB367_187
; %bb.180:                              ;   in Loop: Header=BB367_11 Depth=1
	v_bfrev_b32_e32 v103, 1
	s_mov_b32 s18, exec_lo
	v_cmpx_ne_u16_e32 0x80, v8
	s_cbranch_execz .LBB367_186
; %bb.181:                              ;   in Loop: Header=BB367_11 Depth=1
	v_and_b32_e32 v112, 0xffff, v8
	v_mov_b32_e32 v103, 0x7fc02000
	s_mov_b32 s19, exec_lo
	s_delay_alu instid0(VALU_DEP_2) | instskip(NEXT) | instid1(VALU_DEP_1)
	v_and_b32_e32 v32, 0x7f, v112
	v_cmpx_ne_u32_e32 0x7f, v32
	s_cbranch_execz .LBB367_185
; %bb.182:                              ;   in Loop: Header=BB367_11 Depth=1
	v_and_b32_e32 v8, 7, v112
	v_lshrrev_b32_e32 v103, 3, v32
	v_cmp_gt_u32_e64 s1, 8, v32
	s_delay_alu instid0(VALU_DEP_3) | instskip(NEXT) | instid1(VALU_DEP_2)
	v_dual_mov_b32 v33, v9 :: v_dual_mov_b32 v32, v8
	s_and_saveexec_b32 s20, s1
; %bb.183:                              ;   in Loop: Header=BB367_11 Depth=1
	v_clz_i32_u32_e32 v32, v8
	s_delay_alu instid0(VALU_DEP_1) | instskip(NEXT) | instid1(VALU_DEP_1)
	v_min_u32_e32 v103, 32, v32
	v_subrev_nc_u32_e32 v32, 28, v103
	v_sub_nc_u32_e32 v103, 29, v103
	s_delay_alu instid0(VALU_DEP_2) | instskip(NEXT) | instid1(VALU_DEP_1)
	v_lshlrev_b64 v[32:33], v32, v[8:9]
	v_and_b32_e32 v32, 7, v32
; %bb.184:                              ;   in Loop: Header=BB367_11 Depth=1
	s_or_b32 exec_lo, exec_lo, s20
	v_lshlrev_b32_e32 v8, 8, v112
	v_lshl_add_u32 v33, v103, 10, 0x2000
	s_delay_alu instid0(VALU_DEP_1) | instskip(NEXT) | instid1(VALU_DEP_1)
	v_and_or_b32 v8, 0x8000, v8, v33
	v_lshl_or_b32 v8, v32, 7, v8
	s_delay_alu instid0(VALU_DEP_1)
	v_cvt_f32_f16_e32 v103, v8
.LBB367_185:                            ;   in Loop: Header=BB367_11 Depth=1
	s_or_b32 exec_lo, exec_lo, s19
.LBB367_186:                            ;   in Loop: Header=BB367_11 Depth=1
	s_delay_alu instid0(SALU_CYCLE_1)
	s_or_b32 exec_lo, exec_lo, s18
.LBB367_187:                            ;   in Loop: Header=BB367_11 Depth=1
	s_delay_alu instid0(SALU_CYCLE_1) | instskip(SKIP_2) | instid1(VALU_DEP_1)
	s_or_b32 exec_lo, exec_lo, s17
	v_lshrrev_b32_e32 v112, 16, v31
	s_mov_b32 s17, exec_lo
	v_and_b32_e32 v8, 0xff, v112
	s_delay_alu instid0(VALU_DEP_1)
	v_cmpx_ne_u16_e32 0, v8
	s_cbranch_execz .LBB367_195
; %bb.188:                              ;   in Loop: Header=BB367_11 Depth=1
	v_bfrev_b32_e32 v102, 1
	s_mov_b32 s18, exec_lo
	v_cmpx_ne_u16_e32 0x80, v8
	s_cbranch_execz .LBB367_194
; %bb.189:                              ;   in Loop: Header=BB367_11 Depth=1
	v_bfe_u32 v32, v31, 16, 7
	v_mov_b32_e32 v102, 0x7fc02000
	s_mov_b32 s19, exec_lo
	s_delay_alu instid0(VALU_DEP_2)
	v_cmpx_ne_u32_e32 0x7f, v32
	s_cbranch_execz .LBB367_193
; %bb.190:                              ;   in Loop: Header=BB367_11 Depth=1
	v_and_b32_e32 v8, 7, v112
	v_lshrrev_b32_e32 v102, 3, v32
	v_cmp_gt_u32_e64 s1, 8, v32
	s_delay_alu instid0(VALU_DEP_3) | instskip(NEXT) | instid1(VALU_DEP_2)
	v_dual_mov_b32 v33, v9 :: v_dual_mov_b32 v32, v8
	s_and_saveexec_b32 s20, s1
; %bb.191:                              ;   in Loop: Header=BB367_11 Depth=1
	v_clz_i32_u32_e32 v32, v8
	s_delay_alu instid0(VALU_DEP_1) | instskip(NEXT) | instid1(VALU_DEP_1)
	v_min_u32_e32 v102, 32, v32
	v_subrev_nc_u32_e32 v32, 28, v102
	v_sub_nc_u32_e32 v102, 29, v102
	s_delay_alu instid0(VALU_DEP_2) | instskip(NEXT) | instid1(VALU_DEP_1)
	v_lshlrev_b64 v[32:33], v32, v[8:9]
	v_and_b32_e32 v32, 7, v32
; %bb.192:                              ;   in Loop: Header=BB367_11 Depth=1
	s_or_b32 exec_lo, exec_lo, s20
	v_lshlrev_b32_e32 v8, 8, v112
	v_lshl_add_u32 v33, v102, 10, 0x2000
	s_delay_alu instid0(VALU_DEP_1) | instskip(NEXT) | instid1(VALU_DEP_1)
	v_and_or_b32 v8, 0x8000, v8, v33
	v_lshl_or_b32 v8, v32, 7, v8
	s_delay_alu instid0(VALU_DEP_1)
	v_cvt_f32_f16_e32 v102, v8
.LBB367_193:                            ;   in Loop: Header=BB367_11 Depth=1
	s_or_b32 exec_lo, exec_lo, s19
.LBB367_194:                            ;   in Loop: Header=BB367_11 Depth=1
	s_delay_alu instid0(SALU_CYCLE_1)
	s_or_b32 exec_lo, exec_lo, s18
.LBB367_195:                            ;   in Loop: Header=BB367_11 Depth=1
	s_delay_alu instid0(SALU_CYCLE_1)
	s_or_b32 exec_lo, exec_lo, s17
	v_dual_mov_b32 v113, 0 :: v_dual_mov_b32 v112, 0
	s_mov_b32 s17, exec_lo
	v_cmpx_lt_u64_e64 s[2:3], v[30:31]
	s_cbranch_execz .LBB367_203
; %bb.196:                              ;   in Loop: Header=BB367_11 Depth=1
	v_lshrrev_b32_e32 v32, 24, v31
	v_bfrev_b32_e32 v112, 1
	s_mov_b32 s18, exec_lo
	s_delay_alu instid0(VALU_DEP_2)
	v_cmpx_ne_u32_e32 0x80, v32
	s_cbranch_execz .LBB367_202
; %bb.197:                              ;   in Loop: Header=BB367_11 Depth=1
	v_and_b32_e32 v30, 0x7f, v32
	v_mov_b32_e32 v112, 0x7fc02000
	s_mov_b32 s19, exec_lo
	s_delay_alu instid0(VALU_DEP_2)
	v_cmpx_ne_u32_e32 0x7f, v30
	s_cbranch_execz .LBB367_201
; %bb.198:                              ;   in Loop: Header=BB367_11 Depth=1
	v_and_b32_e32 v8, 7, v32
	v_lshrrev_b32_e32 v33, 3, v30
	v_cmp_gt_u32_e64 s1, 8, v30
	s_delay_alu instid0(VALU_DEP_3) | instskip(NEXT) | instid1(VALU_DEP_2)
	v_dual_mov_b32 v31, v9 :: v_dual_mov_b32 v30, v8
	s_and_saveexec_b32 s20, s1
; %bb.199:                              ;   in Loop: Header=BB367_11 Depth=1
	v_clz_i32_u32_e32 v30, v8
	s_delay_alu instid0(VALU_DEP_1) | instskip(NEXT) | instid1(VALU_DEP_1)
	v_min_u32_e32 v33, 32, v30
	v_subrev_nc_u32_e32 v30, 28, v33
	v_sub_nc_u32_e32 v33, 29, v33
	s_delay_alu instid0(VALU_DEP_2) | instskip(NEXT) | instid1(VALU_DEP_1)
	v_lshlrev_b64 v[30:31], v30, v[8:9]
	v_and_b32_e32 v30, 7, v30
; %bb.200:                              ;   in Loop: Header=BB367_11 Depth=1
	s_or_b32 exec_lo, exec_lo, s20
	v_lshlrev_b32_e32 v8, 8, v32
	v_lshl_add_u32 v31, v33, 10, 0x2000
	s_delay_alu instid0(VALU_DEP_1) | instskip(NEXT) | instid1(VALU_DEP_1)
	v_and_or_b32 v8, 0x8000, v8, v31
	v_lshl_or_b32 v8, v30, 7, v8
	s_delay_alu instid0(VALU_DEP_1)
	v_cvt_f32_f16_e32 v112, v8
.LBB367_201:                            ;   in Loop: Header=BB367_11 Depth=1
	s_or_b32 exec_lo, exec_lo, s19
.LBB367_202:                            ;   in Loop: Header=BB367_11 Depth=1
	s_delay_alu instid0(SALU_CYCLE_1)
	s_or_b32 exec_lo, exec_lo, s18
.LBB367_203:                            ;   in Loop: Header=BB367_11 Depth=1
	s_delay_alu instid0(SALU_CYCLE_1) | instskip(SKIP_4) | instid1(VALU_DEP_1)
	s_or_b32 exec_lo, exec_lo, s17
	flat_load_b64 v[30:31], v[28:29] offset:520
	s_mov_b32 s17, exec_lo
	s_waitcnt vmcnt(0) lgkmcnt(0)
	v_and_b32_e32 v8, 0xff, v30
	v_cmpx_ne_u16_e32 0, v8
	s_cbranch_execz .LBB367_211
; %bb.204:                              ;   in Loop: Header=BB367_11 Depth=1
	v_bfrev_b32_e32 v113, 1
	s_mov_b32 s18, exec_lo
	v_cmpx_ne_u16_e32 0x80, v8
	s_cbranch_execz .LBB367_210
; %bb.205:                              ;   in Loop: Header=BB367_11 Depth=1
	v_and_b32_e32 v32, 0x7f, v30
	v_mov_b32_e32 v113, 0x7fc02000
	s_mov_b32 s19, exec_lo
	s_delay_alu instid0(VALU_DEP_2)
	v_cmpx_ne_u32_e32 0x7f, v32
	s_cbranch_execz .LBB367_209
; %bb.206:                              ;   in Loop: Header=BB367_11 Depth=1
	v_lshrrev_b32_e32 v8, 3, v32
	v_cmp_gt_u32_e64 s1, 8, v32
	v_dual_mov_b32 v33, v31 :: v_dual_mov_b32 v32, v30
	s_delay_alu instid0(VALU_DEP_2)
	s_and_saveexec_b32 s20, s1
; %bb.207:                              ;   in Loop: Header=BB367_11 Depth=1
	v_and_b32_e32 v8, 7, v30
	s_delay_alu instid0(VALU_DEP_1) | instskip(NEXT) | instid1(VALU_DEP_1)
	v_clz_i32_u32_e32 v8, v8
	v_min_u32_e32 v8, 32, v8
	s_delay_alu instid0(VALU_DEP_1) | instskip(SKIP_1) | instid1(VALU_DEP_2)
	v_subrev_nc_u32_e32 v32, 28, v8
	v_sub_nc_u32_e32 v8, 29, v8
	v_lshlrev_b64 v[32:33], v32, v[30:31]
; %bb.208:                              ;   in Loop: Header=BB367_11 Depth=1
	s_or_b32 exec_lo, exec_lo, s20
	v_lshlrev_b32_e32 v33, 8, v30
	s_delay_alu instid0(VALU_DEP_3) | instskip(NEXT) | instid1(VALU_DEP_3)
	v_lshl_add_u32 v8, v8, 10, 0x2000
	v_lshlrev_b32_e32 v32, 7, v32
	s_delay_alu instid0(VALU_DEP_2) | instskip(NEXT) | instid1(VALU_DEP_1)
	v_and_or_b32 v8, 0x8000, v33, v8
	v_and_or_b32 v8, 0x380, v32, v8
	s_delay_alu instid0(VALU_DEP_1)
	v_cvt_f32_f16_e32 v113, v8
.LBB367_209:                            ;   in Loop: Header=BB367_11 Depth=1
	s_or_b32 exec_lo, exec_lo, s19
.LBB367_210:                            ;   in Loop: Header=BB367_11 Depth=1
	s_delay_alu instid0(SALU_CYCLE_1)
	s_or_b32 exec_lo, exec_lo, s18
.LBB367_211:                            ;   in Loop: Header=BB367_11 Depth=1
	s_delay_alu instid0(SALU_CYCLE_1) | instskip(SKIP_3) | instid1(VALU_DEP_2)
	s_or_b32 exec_lo, exec_lo, s17
	v_lshrrev_b16 v8, 8, v30
	v_dual_mov_b32 v114, 0 :: v_dual_mov_b32 v115, 0
	s_mov_b32 s17, exec_lo
	v_cmpx_ne_u16_e32 0, v8
	s_cbranch_execz .LBB367_219
; %bb.212:                              ;   in Loop: Header=BB367_11 Depth=1
	v_bfrev_b32_e32 v115, 1
	s_mov_b32 s18, exec_lo
	v_cmpx_ne_u16_e32 0x80, v8
	s_cbranch_execz .LBB367_218
; %bb.213:                              ;   in Loop: Header=BB367_11 Depth=1
	v_and_b32_e32 v116, 0xffff, v8
	v_mov_b32_e32 v115, 0x7fc02000
	s_mov_b32 s19, exec_lo
	s_delay_alu instid0(VALU_DEP_2) | instskip(NEXT) | instid1(VALU_DEP_1)
	v_and_b32_e32 v32, 0x7f, v116
	v_cmpx_ne_u32_e32 0x7f, v32
	s_cbranch_execz .LBB367_217
; %bb.214:                              ;   in Loop: Header=BB367_11 Depth=1
	v_and_b32_e32 v8, 7, v116
	v_lshrrev_b32_e32 v115, 3, v32
	v_cmp_gt_u32_e64 s1, 8, v32
	s_delay_alu instid0(VALU_DEP_3) | instskip(NEXT) | instid1(VALU_DEP_2)
	v_dual_mov_b32 v33, v9 :: v_dual_mov_b32 v32, v8
	s_and_saveexec_b32 s20, s1
; %bb.215:                              ;   in Loop: Header=BB367_11 Depth=1
	v_clz_i32_u32_e32 v32, v8
	s_delay_alu instid0(VALU_DEP_1) | instskip(NEXT) | instid1(VALU_DEP_1)
	v_min_u32_e32 v115, 32, v32
	v_subrev_nc_u32_e32 v32, 28, v115
	v_sub_nc_u32_e32 v115, 29, v115
	s_delay_alu instid0(VALU_DEP_2) | instskip(NEXT) | instid1(VALU_DEP_1)
	v_lshlrev_b64 v[32:33], v32, v[8:9]
	v_and_b32_e32 v32, 7, v32
; %bb.216:                              ;   in Loop: Header=BB367_11 Depth=1
	s_or_b32 exec_lo, exec_lo, s20
	v_lshlrev_b32_e32 v8, 8, v116
	v_lshl_add_u32 v33, v115, 10, 0x2000
	s_delay_alu instid0(VALU_DEP_1) | instskip(NEXT) | instid1(VALU_DEP_1)
	v_and_or_b32 v8, 0x8000, v8, v33
	v_lshl_or_b32 v8, v32, 7, v8
	s_delay_alu instid0(VALU_DEP_1)
	v_cvt_f32_f16_e32 v115, v8
.LBB367_217:                            ;   in Loop: Header=BB367_11 Depth=1
	s_or_b32 exec_lo, exec_lo, s19
.LBB367_218:                            ;   in Loop: Header=BB367_11 Depth=1
	s_delay_alu instid0(SALU_CYCLE_1)
	s_or_b32 exec_lo, exec_lo, s18
.LBB367_219:                            ;   in Loop: Header=BB367_11 Depth=1
	s_delay_alu instid0(SALU_CYCLE_1) | instskip(SKIP_2) | instid1(VALU_DEP_1)
	s_or_b32 exec_lo, exec_lo, s17
	v_lshrrev_b32_e32 v116, 16, v30
	s_mov_b32 s17, exec_lo
	v_and_b32_e32 v8, 0xff, v116
	s_delay_alu instid0(VALU_DEP_1)
	v_cmpx_ne_u16_e32 0, v8
	s_cbranch_execz .LBB367_227
; %bb.220:                              ;   in Loop: Header=BB367_11 Depth=1
	v_bfrev_b32_e32 v114, 1
	s_mov_b32 s18, exec_lo
	v_cmpx_ne_u16_e32 0x80, v8
	s_cbranch_execz .LBB367_226
; %bb.221:                              ;   in Loop: Header=BB367_11 Depth=1
	v_bfe_u32 v32, v30, 16, 7
	v_mov_b32_e32 v114, 0x7fc02000
	s_mov_b32 s19, exec_lo
	s_delay_alu instid0(VALU_DEP_2)
	v_cmpx_ne_u32_e32 0x7f, v32
	s_cbranch_execz .LBB367_225
; %bb.222:                              ;   in Loop: Header=BB367_11 Depth=1
	v_and_b32_e32 v8, 7, v116
	v_lshrrev_b32_e32 v114, 3, v32
	v_cmp_gt_u32_e64 s1, 8, v32
	s_delay_alu instid0(VALU_DEP_3) | instskip(NEXT) | instid1(VALU_DEP_2)
	v_dual_mov_b32 v33, v9 :: v_dual_mov_b32 v32, v8
	s_and_saveexec_b32 s20, s1
; %bb.223:                              ;   in Loop: Header=BB367_11 Depth=1
	v_clz_i32_u32_e32 v32, v8
	s_delay_alu instid0(VALU_DEP_1) | instskip(NEXT) | instid1(VALU_DEP_1)
	v_min_u32_e32 v114, 32, v32
	v_subrev_nc_u32_e32 v32, 28, v114
	v_sub_nc_u32_e32 v114, 29, v114
	s_delay_alu instid0(VALU_DEP_2) | instskip(NEXT) | instid1(VALU_DEP_1)
	v_lshlrev_b64 v[32:33], v32, v[8:9]
	v_and_b32_e32 v32, 7, v32
; %bb.224:                              ;   in Loop: Header=BB367_11 Depth=1
	s_or_b32 exec_lo, exec_lo, s20
	v_lshlrev_b32_e32 v8, 8, v116
	v_lshl_add_u32 v33, v114, 10, 0x2000
	s_delay_alu instid0(VALU_DEP_1) | instskip(NEXT) | instid1(VALU_DEP_1)
	v_and_or_b32 v8, 0x8000, v8, v33
	v_lshl_or_b32 v8, v32, 7, v8
	s_delay_alu instid0(VALU_DEP_1)
	v_cvt_f32_f16_e32 v114, v8
.LBB367_225:                            ;   in Loop: Header=BB367_11 Depth=1
	s_or_b32 exec_lo, exec_lo, s19
.LBB367_226:                            ;   in Loop: Header=BB367_11 Depth=1
	s_delay_alu instid0(SALU_CYCLE_1)
	s_or_b32 exec_lo, exec_lo, s18
.LBB367_227:                            ;   in Loop: Header=BB367_11 Depth=1
	s_delay_alu instid0(SALU_CYCLE_1)
	s_or_b32 exec_lo, exec_lo, s17
	v_dual_mov_b32 v116, 0 :: v_dual_mov_b32 v117, 0
	s_mov_b32 s17, exec_lo
	v_cmpx_lt_u32_e32 0xffffff, v30
	s_cbranch_execz .LBB367_235
; %bb.228:                              ;   in Loop: Header=BB367_11 Depth=1
	v_lshrrev_b32_e32 v118, 24, v30
	v_bfrev_b32_e32 v117, 1
	s_mov_b32 s18, exec_lo
	s_delay_alu instid0(VALU_DEP_2)
	v_cmpx_ne_u32_e32 0x80, v118
	s_cbranch_execz .LBB367_234
; %bb.229:                              ;   in Loop: Header=BB367_11 Depth=1
	v_and_b32_e32 v32, 0x7f, v118
	v_mov_b32_e32 v117, 0x7fc02000
	s_mov_b32 s19, exec_lo
	s_delay_alu instid0(VALU_DEP_2)
	v_cmpx_ne_u32_e32 0x7f, v32
	s_cbranch_execz .LBB367_233
; %bb.230:                              ;   in Loop: Header=BB367_11 Depth=1
	v_and_b32_e32 v8, 7, v118
	v_lshrrev_b32_e32 v117, 3, v32
	v_cmp_gt_u32_e64 s1, 8, v32
	s_delay_alu instid0(VALU_DEP_3) | instskip(NEXT) | instid1(VALU_DEP_2)
	v_dual_mov_b32 v33, v9 :: v_dual_mov_b32 v32, v8
	s_and_saveexec_b32 s20, s1
; %bb.231:                              ;   in Loop: Header=BB367_11 Depth=1
	v_clz_i32_u32_e32 v32, v8
	s_delay_alu instid0(VALU_DEP_1) | instskip(NEXT) | instid1(VALU_DEP_1)
	v_min_u32_e32 v117, 32, v32
	v_subrev_nc_u32_e32 v32, 28, v117
	v_sub_nc_u32_e32 v117, 29, v117
	s_delay_alu instid0(VALU_DEP_2) | instskip(NEXT) | instid1(VALU_DEP_1)
	v_lshlrev_b64 v[32:33], v32, v[8:9]
	v_and_b32_e32 v32, 7, v32
; %bb.232:                              ;   in Loop: Header=BB367_11 Depth=1
	s_or_b32 exec_lo, exec_lo, s20
	v_lshlrev_b32_e32 v8, 8, v118
	v_lshl_add_u32 v33, v117, 10, 0x2000
	s_delay_alu instid0(VALU_DEP_1) | instskip(NEXT) | instid1(VALU_DEP_1)
	v_and_or_b32 v8, 0x8000, v8, v33
	v_lshl_or_b32 v8, v32, 7, v8
	s_delay_alu instid0(VALU_DEP_1)
	v_cvt_f32_f16_e32 v117, v8
.LBB367_233:                            ;   in Loop: Header=BB367_11 Depth=1
	s_or_b32 exec_lo, exec_lo, s19
.LBB367_234:                            ;   in Loop: Header=BB367_11 Depth=1
	s_delay_alu instid0(SALU_CYCLE_1)
	s_or_b32 exec_lo, exec_lo, s18
.LBB367_235:                            ;   in Loop: Header=BB367_11 Depth=1
	s_delay_alu instid0(SALU_CYCLE_1) | instskip(SKIP_3) | instid1(VALU_DEP_2)
	s_or_b32 exec_lo, exec_lo, s17
	v_and_b32_e32 v32, 0xff, v31
	v_mov_b32_e32 v8, v31
	s_mov_b32 s17, exec_lo
	v_cmpx_ne_u16_e32 0, v32
	s_cbranch_execz .LBB367_243
; %bb.236:                              ;   in Loop: Header=BB367_11 Depth=1
	v_bfrev_b32_e32 v116, 1
	s_mov_b32 s18, exec_lo
	v_cmpx_ne_u16_e32 0x80, v32
	s_cbranch_execz .LBB367_242
; %bb.237:                              ;   in Loop: Header=BB367_11 Depth=1
	v_and_b32_e32 v32, 0x7f, v31
	v_mov_b32_e32 v116, 0x7fc02000
	s_mov_b32 s19, exec_lo
	s_delay_alu instid0(VALU_DEP_2)
	v_cmpx_ne_u32_e32 0x7f, v32
	s_cbranch_execz .LBB367_241
; %bb.238:                              ;   in Loop: Header=BB367_11 Depth=1
	v_lshrrev_b32_e32 v116, 3, v32
	v_cmp_gt_u32_e64 s1, 8, v32
	v_dual_mov_b32 v33, v9 :: v_dual_mov_b32 v32, v8
	s_delay_alu instid0(VALU_DEP_2)
	s_and_saveexec_b32 s20, s1
; %bb.239:                              ;   in Loop: Header=BB367_11 Depth=1
	v_and_b32_e32 v32, 7, v31
	s_delay_alu instid0(VALU_DEP_1) | instskip(NEXT) | instid1(VALU_DEP_1)
	v_clz_i32_u32_e32 v32, v32
	v_min_u32_e32 v116, 32, v32
	s_delay_alu instid0(VALU_DEP_1) | instskip(SKIP_1) | instid1(VALU_DEP_2)
	v_subrev_nc_u32_e32 v32, 28, v116
	v_sub_nc_u32_e32 v116, 29, v116
	v_lshlrev_b64 v[32:33], v32, v[8:9]
; %bb.240:                              ;   in Loop: Header=BB367_11 Depth=1
	s_or_b32 exec_lo, exec_lo, s20
	v_lshlrev_b32_e32 v33, 8, v31
	s_delay_alu instid0(VALU_DEP_3) | instskip(NEXT) | instid1(VALU_DEP_3)
	v_lshl_add_u32 v116, v116, 10, 0x2000
	v_lshlrev_b32_e32 v32, 7, v32
	s_delay_alu instid0(VALU_DEP_2) | instskip(NEXT) | instid1(VALU_DEP_1)
	v_and_or_b32 v33, 0x8000, v33, v116
	v_and_or_b32 v32, 0x380, v32, v33
	s_delay_alu instid0(VALU_DEP_1)
	v_cvt_f32_f16_e32 v116, v32
.LBB367_241:                            ;   in Loop: Header=BB367_11 Depth=1
	s_or_b32 exec_lo, exec_lo, s19
.LBB367_242:                            ;   in Loop: Header=BB367_11 Depth=1
	s_delay_alu instid0(SALU_CYCLE_1)
	s_or_b32 exec_lo, exec_lo, s18
.LBB367_243:                            ;   in Loop: Header=BB367_11 Depth=1
	s_delay_alu instid0(SALU_CYCLE_1) | instskip(SKIP_3) | instid1(VALU_DEP_2)
	s_or_b32 exec_lo, exec_lo, s17
	v_lshrrev_b16 v8, 8, v8
	v_dual_mov_b32 v118, 0 :: v_dual_mov_b32 v119, 0
	s_mov_b32 s17, exec_lo
	v_cmpx_ne_u16_e32 0, v8
	s_cbranch_execz .LBB367_251
; %bb.244:                              ;   in Loop: Header=BB367_11 Depth=1
	v_bfrev_b32_e32 v119, 1
	s_mov_b32 s18, exec_lo
	v_cmpx_ne_u16_e32 0x80, v8
	s_cbranch_execz .LBB367_250
; %bb.245:                              ;   in Loop: Header=BB367_11 Depth=1
	v_and_b32_e32 v128, 0xffff, v8
	v_mov_b32_e32 v119, 0x7fc02000
	s_mov_b32 s19, exec_lo
	s_delay_alu instid0(VALU_DEP_2) | instskip(NEXT) | instid1(VALU_DEP_1)
	v_and_b32_e32 v32, 0x7f, v128
	v_cmpx_ne_u32_e32 0x7f, v32
	s_cbranch_execz .LBB367_249
; %bb.246:                              ;   in Loop: Header=BB367_11 Depth=1
	v_and_b32_e32 v8, 7, v128
	v_lshrrev_b32_e32 v119, 3, v32
	v_cmp_gt_u32_e64 s1, 8, v32
	s_delay_alu instid0(VALU_DEP_3) | instskip(NEXT) | instid1(VALU_DEP_2)
	v_dual_mov_b32 v33, v9 :: v_dual_mov_b32 v32, v8
	s_and_saveexec_b32 s20, s1
; %bb.247:                              ;   in Loop: Header=BB367_11 Depth=1
	v_clz_i32_u32_e32 v32, v8
	s_delay_alu instid0(VALU_DEP_1) | instskip(NEXT) | instid1(VALU_DEP_1)
	v_min_u32_e32 v119, 32, v32
	v_subrev_nc_u32_e32 v32, 28, v119
	v_sub_nc_u32_e32 v119, 29, v119
	s_delay_alu instid0(VALU_DEP_2) | instskip(NEXT) | instid1(VALU_DEP_1)
	v_lshlrev_b64 v[32:33], v32, v[8:9]
	v_and_b32_e32 v32, 7, v32
; %bb.248:                              ;   in Loop: Header=BB367_11 Depth=1
	s_or_b32 exec_lo, exec_lo, s20
	v_lshlrev_b32_e32 v8, 8, v128
	v_lshl_add_u32 v33, v119, 10, 0x2000
	s_delay_alu instid0(VALU_DEP_1) | instskip(NEXT) | instid1(VALU_DEP_1)
	v_and_or_b32 v8, 0x8000, v8, v33
	v_lshl_or_b32 v8, v32, 7, v8
	s_delay_alu instid0(VALU_DEP_1)
	v_cvt_f32_f16_e32 v119, v8
.LBB367_249:                            ;   in Loop: Header=BB367_11 Depth=1
	s_or_b32 exec_lo, exec_lo, s19
.LBB367_250:                            ;   in Loop: Header=BB367_11 Depth=1
	s_delay_alu instid0(SALU_CYCLE_1)
	s_or_b32 exec_lo, exec_lo, s18
.LBB367_251:                            ;   in Loop: Header=BB367_11 Depth=1
	s_delay_alu instid0(SALU_CYCLE_1) | instskip(SKIP_2) | instid1(VALU_DEP_1)
	s_or_b32 exec_lo, exec_lo, s17
	v_lshrrev_b32_e32 v128, 16, v31
	s_mov_b32 s17, exec_lo
	v_and_b32_e32 v8, 0xff, v128
	s_delay_alu instid0(VALU_DEP_1)
	v_cmpx_ne_u16_e32 0, v8
	s_cbranch_execz .LBB367_259
; %bb.252:                              ;   in Loop: Header=BB367_11 Depth=1
	v_bfrev_b32_e32 v118, 1
	s_mov_b32 s18, exec_lo
	v_cmpx_ne_u16_e32 0x80, v8
	s_cbranch_execz .LBB367_258
; %bb.253:                              ;   in Loop: Header=BB367_11 Depth=1
	v_bfe_u32 v32, v31, 16, 7
	v_mov_b32_e32 v118, 0x7fc02000
	s_mov_b32 s19, exec_lo
	s_delay_alu instid0(VALU_DEP_2)
	v_cmpx_ne_u32_e32 0x7f, v32
	s_cbranch_execz .LBB367_257
; %bb.254:                              ;   in Loop: Header=BB367_11 Depth=1
	v_and_b32_e32 v8, 7, v128
	v_lshrrev_b32_e32 v118, 3, v32
	v_cmp_gt_u32_e64 s1, 8, v32
	s_delay_alu instid0(VALU_DEP_3) | instskip(NEXT) | instid1(VALU_DEP_2)
	v_dual_mov_b32 v33, v9 :: v_dual_mov_b32 v32, v8
	s_and_saveexec_b32 s20, s1
; %bb.255:                              ;   in Loop: Header=BB367_11 Depth=1
	v_clz_i32_u32_e32 v32, v8
	s_delay_alu instid0(VALU_DEP_1) | instskip(NEXT) | instid1(VALU_DEP_1)
	v_min_u32_e32 v118, 32, v32
	v_subrev_nc_u32_e32 v32, 28, v118
	v_sub_nc_u32_e32 v118, 29, v118
	s_delay_alu instid0(VALU_DEP_2) | instskip(NEXT) | instid1(VALU_DEP_1)
	v_lshlrev_b64 v[32:33], v32, v[8:9]
	v_and_b32_e32 v32, 7, v32
; %bb.256:                              ;   in Loop: Header=BB367_11 Depth=1
	s_or_b32 exec_lo, exec_lo, s20
	v_lshlrev_b32_e32 v8, 8, v128
	v_lshl_add_u32 v33, v118, 10, 0x2000
	s_delay_alu instid0(VALU_DEP_1) | instskip(NEXT) | instid1(VALU_DEP_1)
	v_and_or_b32 v8, 0x8000, v8, v33
	v_lshl_or_b32 v8, v32, 7, v8
	s_delay_alu instid0(VALU_DEP_1)
	v_cvt_f32_f16_e32 v118, v8
.LBB367_257:                            ;   in Loop: Header=BB367_11 Depth=1
	s_or_b32 exec_lo, exec_lo, s19
.LBB367_258:                            ;   in Loop: Header=BB367_11 Depth=1
	s_delay_alu instid0(SALU_CYCLE_1)
	s_or_b32 exec_lo, exec_lo, s18
.LBB367_259:                            ;   in Loop: Header=BB367_11 Depth=1
	s_delay_alu instid0(SALU_CYCLE_1)
	s_or_b32 exec_lo, exec_lo, s17
	v_dual_mov_b32 v129, 0 :: v_dual_mov_b32 v128, 0
	s_mov_b32 s17, exec_lo
	v_cmpx_lt_u64_e64 s[2:3], v[30:31]
	s_cbranch_execz .LBB367_267
; %bb.260:                              ;   in Loop: Header=BB367_11 Depth=1
	v_lshrrev_b32_e32 v32, 24, v31
	v_bfrev_b32_e32 v128, 1
	s_mov_b32 s18, exec_lo
	s_delay_alu instid0(VALU_DEP_2)
	v_cmpx_ne_u32_e32 0x80, v32
	s_cbranch_execz .LBB367_266
; %bb.261:                              ;   in Loop: Header=BB367_11 Depth=1
	v_and_b32_e32 v30, 0x7f, v32
	v_mov_b32_e32 v128, 0x7fc02000
	s_mov_b32 s19, exec_lo
	s_delay_alu instid0(VALU_DEP_2)
	v_cmpx_ne_u32_e32 0x7f, v30
	s_cbranch_execz .LBB367_265
; %bb.262:                              ;   in Loop: Header=BB367_11 Depth=1
	v_and_b32_e32 v8, 7, v32
	v_lshrrev_b32_e32 v33, 3, v30
	v_cmp_gt_u32_e64 s1, 8, v30
	s_delay_alu instid0(VALU_DEP_3) | instskip(NEXT) | instid1(VALU_DEP_2)
	v_dual_mov_b32 v31, v9 :: v_dual_mov_b32 v30, v8
	s_and_saveexec_b32 s20, s1
; %bb.263:                              ;   in Loop: Header=BB367_11 Depth=1
	v_clz_i32_u32_e32 v30, v8
	s_delay_alu instid0(VALU_DEP_1) | instskip(NEXT) | instid1(VALU_DEP_1)
	v_min_u32_e32 v33, 32, v30
	v_subrev_nc_u32_e32 v30, 28, v33
	v_sub_nc_u32_e32 v33, 29, v33
	s_delay_alu instid0(VALU_DEP_2) | instskip(NEXT) | instid1(VALU_DEP_1)
	v_lshlrev_b64 v[30:31], v30, v[8:9]
	v_and_b32_e32 v30, 7, v30
; %bb.264:                              ;   in Loop: Header=BB367_11 Depth=1
	s_or_b32 exec_lo, exec_lo, s20
	v_lshlrev_b32_e32 v8, 8, v32
	v_lshl_add_u32 v31, v33, 10, 0x2000
	s_delay_alu instid0(VALU_DEP_1) | instskip(NEXT) | instid1(VALU_DEP_1)
	v_and_or_b32 v8, 0x8000, v8, v31
	v_lshl_or_b32 v8, v30, 7, v8
	s_delay_alu instid0(VALU_DEP_1)
	v_cvt_f32_f16_e64 v128, v8
.LBB367_265:                            ;   in Loop: Header=BB367_11 Depth=1
	s_or_b32 exec_lo, exec_lo, s19
.LBB367_266:                            ;   in Loop: Header=BB367_11 Depth=1
	s_delay_alu instid0(SALU_CYCLE_1)
	s_or_b32 exec_lo, exec_lo, s18
.LBB367_267:                            ;   in Loop: Header=BB367_11 Depth=1
	s_delay_alu instid0(SALU_CYCLE_1) | instskip(SKIP_4) | instid1(VALU_DEP_1)
	s_or_b32 exec_lo, exec_lo, s17
	flat_load_b64 v[30:31], v[28:29] offset:1024
	s_mov_b32 s17, exec_lo
	s_waitcnt vmcnt(0) lgkmcnt(0)
	v_and_b32_e32 v8, 0xff, v30
	v_cmpx_ne_u16_e32 0, v8
	s_cbranch_execz .LBB367_275
; %bb.268:                              ;   in Loop: Header=BB367_11 Depth=1
	v_bfrev_b32_e32 v129, 1
	s_mov_b32 s18, exec_lo
	v_cmpx_ne_u16_e32 0x80, v8
	s_cbranch_execz .LBB367_274
; %bb.269:                              ;   in Loop: Header=BB367_11 Depth=1
	v_and_b32_e32 v32, 0x7f, v30
	v_mov_b32_e32 v129, 0x7fc02000
	s_mov_b32 s19, exec_lo
	s_delay_alu instid0(VALU_DEP_2)
	v_cmpx_ne_u32_e32 0x7f, v32
	s_cbranch_execz .LBB367_273
; %bb.270:                              ;   in Loop: Header=BB367_11 Depth=1
	v_lshrrev_b32_e32 v8, 3, v32
	v_cmp_gt_u32_e64 s1, 8, v32
	v_dual_mov_b32 v33, v31 :: v_dual_mov_b32 v32, v30
	s_delay_alu instid0(VALU_DEP_2)
	s_and_saveexec_b32 s20, s1
; %bb.271:                              ;   in Loop: Header=BB367_11 Depth=1
	v_and_b32_e32 v8, 7, v30
	s_delay_alu instid0(VALU_DEP_1) | instskip(NEXT) | instid1(VALU_DEP_1)
	v_clz_i32_u32_e32 v8, v8
	v_min_u32_e32 v8, 32, v8
	s_delay_alu instid0(VALU_DEP_1) | instskip(SKIP_1) | instid1(VALU_DEP_2)
	v_subrev_nc_u32_e32 v32, 28, v8
	v_sub_nc_u32_e32 v8, 29, v8
	v_lshlrev_b64 v[32:33], v32, v[30:31]
; %bb.272:                              ;   in Loop: Header=BB367_11 Depth=1
	s_or_b32 exec_lo, exec_lo, s20
	v_lshlrev_b32_e32 v33, 8, v30
	s_delay_alu instid0(VALU_DEP_3) | instskip(NEXT) | instid1(VALU_DEP_3)
	v_lshl_add_u32 v8, v8, 10, 0x2000
	v_lshlrev_b32_e32 v32, 7, v32
	s_delay_alu instid0(VALU_DEP_2) | instskip(NEXT) | instid1(VALU_DEP_1)
	v_and_or_b32 v8, 0x8000, v33, v8
	v_and_or_b32 v8, 0x380, v32, v8
	s_delay_alu instid0(VALU_DEP_1)
	v_cvt_f32_f16_e64 v129, v8
.LBB367_273:                            ;   in Loop: Header=BB367_11 Depth=1
	s_or_b32 exec_lo, exec_lo, s19
.LBB367_274:                            ;   in Loop: Header=BB367_11 Depth=1
	s_delay_alu instid0(SALU_CYCLE_1)
	s_or_b32 exec_lo, exec_lo, s18
.LBB367_275:                            ;   in Loop: Header=BB367_11 Depth=1
	s_delay_alu instid0(SALU_CYCLE_1) | instskip(SKIP_3) | instid1(VALU_DEP_2)
	s_or_b32 exec_lo, exec_lo, s17
	v_lshrrev_b16 v8, 8, v30
	v_dual_mov_b32 v130, 0 :: v_dual_mov_b32 v131, 0
	s_mov_b32 s17, exec_lo
	v_cmpx_ne_u16_e32 0, v8
	s_cbranch_execz .LBB367_283
; %bb.276:                              ;   in Loop: Header=BB367_11 Depth=1
	v_bfrev_b32_e32 v131, 1
	s_mov_b32 s18, exec_lo
	v_cmpx_ne_u16_e32 0x80, v8
	s_cbranch_execz .LBB367_282
; %bb.277:                              ;   in Loop: Header=BB367_11 Depth=1
	v_and_b32_e32 v132, 0xffff, v8
	v_mov_b32_e32 v131, 0x7fc02000
	s_mov_b32 s19, exec_lo
	s_delay_alu instid0(VALU_DEP_2) | instskip(NEXT) | instid1(VALU_DEP_1)
	v_and_b32_e32 v32, 0x7f, v132
	v_cmpx_ne_u32_e32 0x7f, v32
	s_cbranch_execz .LBB367_281
; %bb.278:                              ;   in Loop: Header=BB367_11 Depth=1
	v_and_b32_e32 v8, 7, v132
	v_lshrrev_b32_e32 v131, 3, v32
	v_cmp_gt_u32_e64 s1, 8, v32
	s_delay_alu instid0(VALU_DEP_3) | instskip(NEXT) | instid1(VALU_DEP_2)
	v_dual_mov_b32 v33, v9 :: v_dual_mov_b32 v32, v8
	s_and_saveexec_b32 s20, s1
; %bb.279:                              ;   in Loop: Header=BB367_11 Depth=1
	v_clz_i32_u32_e32 v32, v8
	s_delay_alu instid0(VALU_DEP_1) | instskip(NEXT) | instid1(VALU_DEP_1)
	v_min_u32_e32 v131, 32, v32
	v_subrev_nc_u32_e32 v32, 28, v131
	v_sub_nc_u32_e32 v131, 29, v131
	s_delay_alu instid0(VALU_DEP_2) | instskip(NEXT) | instid1(VALU_DEP_1)
	v_lshlrev_b64 v[32:33], v32, v[8:9]
	v_and_b32_e32 v32, 7, v32
; %bb.280:                              ;   in Loop: Header=BB367_11 Depth=1
	s_or_b32 exec_lo, exec_lo, s20
	v_lshlrev_b32_e32 v8, 8, v132
	v_lshl_add_u32 v33, v131, 10, 0x2000
	s_delay_alu instid0(VALU_DEP_1) | instskip(NEXT) | instid1(VALU_DEP_1)
	v_and_or_b32 v8, 0x8000, v8, v33
	v_lshl_or_b32 v8, v32, 7, v8
	s_delay_alu instid0(VALU_DEP_1)
	v_cvt_f32_f16_e64 v131, v8
.LBB367_281:                            ;   in Loop: Header=BB367_11 Depth=1
	s_or_b32 exec_lo, exec_lo, s19
.LBB367_282:                            ;   in Loop: Header=BB367_11 Depth=1
	s_delay_alu instid0(SALU_CYCLE_1)
	s_or_b32 exec_lo, exec_lo, s18
.LBB367_283:                            ;   in Loop: Header=BB367_11 Depth=1
	s_delay_alu instid0(SALU_CYCLE_1) | instskip(SKIP_2) | instid1(VALU_DEP_1)
	s_or_b32 exec_lo, exec_lo, s17
	v_lshrrev_b32_e32 v132, 16, v30
	s_mov_b32 s17, exec_lo
	v_and_b32_e32 v8, 0xff, v132
	s_delay_alu instid0(VALU_DEP_1)
	v_cmpx_ne_u16_e32 0, v8
	s_cbranch_execz .LBB367_291
; %bb.284:                              ;   in Loop: Header=BB367_11 Depth=1
	v_bfrev_b32_e32 v130, 1
	s_mov_b32 s18, exec_lo
	v_cmpx_ne_u16_e32 0x80, v8
	s_cbranch_execz .LBB367_290
; %bb.285:                              ;   in Loop: Header=BB367_11 Depth=1
	v_bfe_u32 v32, v30, 16, 7
	v_mov_b32_e32 v130, 0x7fc02000
	s_mov_b32 s19, exec_lo
	s_delay_alu instid0(VALU_DEP_2)
	v_cmpx_ne_u32_e32 0x7f, v32
	s_cbranch_execz .LBB367_289
; %bb.286:                              ;   in Loop: Header=BB367_11 Depth=1
	v_and_b32_e32 v8, 7, v132
	v_lshrrev_b32_e32 v130, 3, v32
	v_cmp_gt_u32_e64 s1, 8, v32
	s_delay_alu instid0(VALU_DEP_3) | instskip(NEXT) | instid1(VALU_DEP_2)
	v_dual_mov_b32 v33, v9 :: v_dual_mov_b32 v32, v8
	s_and_saveexec_b32 s20, s1
; %bb.287:                              ;   in Loop: Header=BB367_11 Depth=1
	v_clz_i32_u32_e32 v32, v8
	s_delay_alu instid0(VALU_DEP_1) | instskip(NEXT) | instid1(VALU_DEP_1)
	v_min_u32_e32 v130, 32, v32
	v_subrev_nc_u32_e32 v32, 28, v130
	v_sub_nc_u32_e32 v130, 29, v130
	s_delay_alu instid0(VALU_DEP_2) | instskip(NEXT) | instid1(VALU_DEP_1)
	v_lshlrev_b64 v[32:33], v32, v[8:9]
	v_and_b32_e32 v32, 7, v32
; %bb.288:                              ;   in Loop: Header=BB367_11 Depth=1
	s_or_b32 exec_lo, exec_lo, s20
	v_lshlrev_b32_e32 v8, 8, v132
	v_lshl_add_u32 v33, v130, 10, 0x2000
	s_delay_alu instid0(VALU_DEP_1) | instskip(NEXT) | instid1(VALU_DEP_1)
	v_and_or_b32 v8, 0x8000, v8, v33
	v_lshl_or_b32 v8, v32, 7, v8
	s_delay_alu instid0(VALU_DEP_1)
	v_cvt_f32_f16_e64 v130, v8
.LBB367_289:                            ;   in Loop: Header=BB367_11 Depth=1
	s_or_b32 exec_lo, exec_lo, s19
.LBB367_290:                            ;   in Loop: Header=BB367_11 Depth=1
	s_delay_alu instid0(SALU_CYCLE_1)
	s_or_b32 exec_lo, exec_lo, s18
.LBB367_291:                            ;   in Loop: Header=BB367_11 Depth=1
	s_delay_alu instid0(SALU_CYCLE_1)
	s_or_b32 exec_lo, exec_lo, s17
	v_dual_mov_b32 v132, 0 :: v_dual_mov_b32 v133, 0
	s_mov_b32 s17, exec_lo
	v_cmpx_lt_u32_e32 0xffffff, v30
	s_cbranch_execz .LBB367_299
; %bb.292:                              ;   in Loop: Header=BB367_11 Depth=1
	v_lshrrev_b32_e32 v134, 24, v30
	v_bfrev_b32_e32 v133, 1
	s_mov_b32 s18, exec_lo
	s_delay_alu instid0(VALU_DEP_2)
	v_cmpx_ne_u32_e32 0x80, v134
	s_cbranch_execz .LBB367_298
; %bb.293:                              ;   in Loop: Header=BB367_11 Depth=1
	v_and_b32_e32 v32, 0x7f, v134
	v_mov_b32_e32 v133, 0x7fc02000
	s_mov_b32 s19, exec_lo
	s_delay_alu instid0(VALU_DEP_2)
	v_cmpx_ne_u32_e32 0x7f, v32
	s_cbranch_execz .LBB367_297
; %bb.294:                              ;   in Loop: Header=BB367_11 Depth=1
	v_and_b32_e32 v8, 7, v134
	v_lshrrev_b32_e32 v133, 3, v32
	v_cmp_gt_u32_e64 s1, 8, v32
	s_delay_alu instid0(VALU_DEP_3) | instskip(NEXT) | instid1(VALU_DEP_2)
	v_dual_mov_b32 v33, v9 :: v_dual_mov_b32 v32, v8
	s_and_saveexec_b32 s20, s1
; %bb.295:                              ;   in Loop: Header=BB367_11 Depth=1
	v_clz_i32_u32_e32 v32, v8
	s_delay_alu instid0(VALU_DEP_1) | instskip(NEXT) | instid1(VALU_DEP_1)
	v_min_u32_e32 v133, 32, v32
	v_subrev_nc_u32_e32 v32, 28, v133
	v_sub_nc_u32_e32 v133, 29, v133
	s_delay_alu instid0(VALU_DEP_2) | instskip(NEXT) | instid1(VALU_DEP_1)
	v_lshlrev_b64 v[32:33], v32, v[8:9]
	v_and_b32_e32 v32, 7, v32
; %bb.296:                              ;   in Loop: Header=BB367_11 Depth=1
	s_or_b32 exec_lo, exec_lo, s20
	v_lshlrev_b32_e32 v8, 8, v134
	v_lshl_add_u32 v33, v133, 10, 0x2000
	s_delay_alu instid0(VALU_DEP_1) | instskip(NEXT) | instid1(VALU_DEP_1)
	v_and_or_b32 v8, 0x8000, v8, v33
	v_lshl_or_b32 v8, v32, 7, v8
	s_delay_alu instid0(VALU_DEP_1)
	v_cvt_f32_f16_e64 v133, v8
.LBB367_297:                            ;   in Loop: Header=BB367_11 Depth=1
	s_or_b32 exec_lo, exec_lo, s19
.LBB367_298:                            ;   in Loop: Header=BB367_11 Depth=1
	s_delay_alu instid0(SALU_CYCLE_1)
	s_or_b32 exec_lo, exec_lo, s18
.LBB367_299:                            ;   in Loop: Header=BB367_11 Depth=1
	s_delay_alu instid0(SALU_CYCLE_1) | instskip(SKIP_3) | instid1(VALU_DEP_2)
	s_or_b32 exec_lo, exec_lo, s17
	v_and_b32_e32 v32, 0xff, v31
	v_mov_b32_e32 v8, v31
	s_mov_b32 s17, exec_lo
	v_cmpx_ne_u16_e32 0, v32
	s_cbranch_execz .LBB367_307
; %bb.300:                              ;   in Loop: Header=BB367_11 Depth=1
	v_bfrev_b32_e32 v132, 1
	s_mov_b32 s18, exec_lo
	v_cmpx_ne_u16_e32 0x80, v32
	s_cbranch_execz .LBB367_306
; %bb.301:                              ;   in Loop: Header=BB367_11 Depth=1
	v_and_b32_e32 v32, 0x7f, v31
	v_mov_b32_e32 v132, 0x7fc02000
	s_mov_b32 s19, exec_lo
	s_delay_alu instid0(VALU_DEP_2)
	v_cmpx_ne_u32_e32 0x7f, v32
	s_cbranch_execz .LBB367_305
; %bb.302:                              ;   in Loop: Header=BB367_11 Depth=1
	v_lshrrev_b32_e32 v132, 3, v32
	v_cmp_gt_u32_e64 s1, 8, v32
	v_dual_mov_b32 v33, v9 :: v_dual_mov_b32 v32, v8
	s_delay_alu instid0(VALU_DEP_2)
	s_and_saveexec_b32 s20, s1
; %bb.303:                              ;   in Loop: Header=BB367_11 Depth=1
	v_and_b32_e32 v32, 7, v31
	s_delay_alu instid0(VALU_DEP_1) | instskip(NEXT) | instid1(VALU_DEP_1)
	v_clz_i32_u32_e32 v32, v32
	v_min_u32_e32 v132, 32, v32
	s_delay_alu instid0(VALU_DEP_1) | instskip(SKIP_1) | instid1(VALU_DEP_2)
	v_subrev_nc_u32_e32 v32, 28, v132
	v_sub_nc_u32_e32 v132, 29, v132
	v_lshlrev_b64 v[32:33], v32, v[8:9]
; %bb.304:                              ;   in Loop: Header=BB367_11 Depth=1
	s_or_b32 exec_lo, exec_lo, s20
	v_lshlrev_b32_e32 v33, 8, v31
	s_delay_alu instid0(VALU_DEP_3) | instskip(NEXT) | instid1(VALU_DEP_3)
	v_lshl_add_u32 v132, v132, 10, 0x2000
	v_lshlrev_b32_e32 v32, 7, v32
	s_delay_alu instid0(VALU_DEP_2) | instskip(NEXT) | instid1(VALU_DEP_1)
	v_and_or_b32 v33, 0x8000, v33, v132
	v_and_or_b32 v32, 0x380, v32, v33
	s_delay_alu instid0(VALU_DEP_1)
	v_cvt_f32_f16_e64 v132, v32
.LBB367_305:                            ;   in Loop: Header=BB367_11 Depth=1
	s_or_b32 exec_lo, exec_lo, s19
.LBB367_306:                            ;   in Loop: Header=BB367_11 Depth=1
	s_delay_alu instid0(SALU_CYCLE_1)
	s_or_b32 exec_lo, exec_lo, s18
.LBB367_307:                            ;   in Loop: Header=BB367_11 Depth=1
	s_delay_alu instid0(SALU_CYCLE_1) | instskip(SKIP_3) | instid1(VALU_DEP_2)
	s_or_b32 exec_lo, exec_lo, s17
	v_lshrrev_b16 v8, 8, v8
	v_dual_mov_b32 v134, 0 :: v_dual_mov_b32 v135, 0
	s_mov_b32 s17, exec_lo
	v_cmpx_ne_u16_e32 0, v8
	s_cbranch_execz .LBB367_315
; %bb.308:                              ;   in Loop: Header=BB367_11 Depth=1
	v_bfrev_b32_e32 v135, 1
	s_mov_b32 s18, exec_lo
	v_cmpx_ne_u16_e32 0x80, v8
	s_cbranch_execz .LBB367_314
; %bb.309:                              ;   in Loop: Header=BB367_11 Depth=1
	v_and_b32_e32 v144, 0xffff, v8
	v_mov_b32_e32 v135, 0x7fc02000
	s_mov_b32 s19, exec_lo
	s_delay_alu instid0(VALU_DEP_2) | instskip(NEXT) | instid1(VALU_DEP_1)
	v_and_b32_e32 v32, 0x7f, v144
	v_cmpx_ne_u32_e32 0x7f, v32
	s_cbranch_execz .LBB367_313
; %bb.310:                              ;   in Loop: Header=BB367_11 Depth=1
	v_and_b32_e32 v8, 7, v144
	v_lshrrev_b32_e32 v135, 3, v32
	v_cmp_gt_u32_e64 s1, 8, v32
	s_delay_alu instid0(VALU_DEP_3) | instskip(NEXT) | instid1(VALU_DEP_2)
	v_dual_mov_b32 v33, v9 :: v_dual_mov_b32 v32, v8
	s_and_saveexec_b32 s20, s1
; %bb.311:                              ;   in Loop: Header=BB367_11 Depth=1
	v_clz_i32_u32_e32 v32, v8
	s_delay_alu instid0(VALU_DEP_1) | instskip(NEXT) | instid1(VALU_DEP_1)
	v_min_u32_e32 v135, 32, v32
	v_subrev_nc_u32_e32 v32, 28, v135
	v_sub_nc_u32_e32 v135, 29, v135
	s_delay_alu instid0(VALU_DEP_2) | instskip(NEXT) | instid1(VALU_DEP_1)
	v_lshlrev_b64 v[32:33], v32, v[8:9]
	v_and_b32_e32 v32, 7, v32
; %bb.312:                              ;   in Loop: Header=BB367_11 Depth=1
	s_or_b32 exec_lo, exec_lo, s20
	v_lshlrev_b32_e32 v8, 8, v144
	v_lshl_add_u32 v33, v135, 10, 0x2000
	s_delay_alu instid0(VALU_DEP_1) | instskip(NEXT) | instid1(VALU_DEP_1)
	v_and_or_b32 v8, 0x8000, v8, v33
	v_lshl_or_b32 v8, v32, 7, v8
	s_delay_alu instid0(VALU_DEP_1)
	v_cvt_f32_f16_e64 v135, v8
.LBB367_313:                            ;   in Loop: Header=BB367_11 Depth=1
	s_or_b32 exec_lo, exec_lo, s19
.LBB367_314:                            ;   in Loop: Header=BB367_11 Depth=1
	s_delay_alu instid0(SALU_CYCLE_1)
	s_or_b32 exec_lo, exec_lo, s18
.LBB367_315:                            ;   in Loop: Header=BB367_11 Depth=1
	s_delay_alu instid0(SALU_CYCLE_1) | instskip(SKIP_2) | instid1(VALU_DEP_1)
	s_or_b32 exec_lo, exec_lo, s17
	v_lshrrev_b32_e32 v144, 16, v31
	s_mov_b32 s17, exec_lo
	v_and_b32_e32 v8, 0xff, v144
	s_delay_alu instid0(VALU_DEP_1)
	v_cmpx_ne_u16_e32 0, v8
	s_cbranch_execz .LBB367_323
; %bb.316:                              ;   in Loop: Header=BB367_11 Depth=1
	v_bfrev_b32_e32 v134, 1
	s_mov_b32 s18, exec_lo
	v_cmpx_ne_u16_e32 0x80, v8
	s_cbranch_execz .LBB367_322
; %bb.317:                              ;   in Loop: Header=BB367_11 Depth=1
	v_bfe_u32 v32, v31, 16, 7
	v_mov_b32_e32 v134, 0x7fc02000
	s_mov_b32 s19, exec_lo
	s_delay_alu instid0(VALU_DEP_2)
	v_cmpx_ne_u32_e32 0x7f, v32
	s_cbranch_execz .LBB367_321
; %bb.318:                              ;   in Loop: Header=BB367_11 Depth=1
	v_and_b32_e32 v8, 7, v144
	v_lshrrev_b32_e32 v134, 3, v32
	v_cmp_gt_u32_e64 s1, 8, v32
	s_delay_alu instid0(VALU_DEP_3) | instskip(NEXT) | instid1(VALU_DEP_2)
	v_dual_mov_b32 v33, v9 :: v_dual_mov_b32 v32, v8
	s_and_saveexec_b32 s20, s1
; %bb.319:                              ;   in Loop: Header=BB367_11 Depth=1
	v_clz_i32_u32_e32 v32, v8
	s_delay_alu instid0(VALU_DEP_1) | instskip(NEXT) | instid1(VALU_DEP_1)
	v_min_u32_e32 v134, 32, v32
	v_subrev_nc_u32_e32 v32, 28, v134
	v_sub_nc_u32_e32 v134, 29, v134
	s_delay_alu instid0(VALU_DEP_2) | instskip(NEXT) | instid1(VALU_DEP_1)
	v_lshlrev_b64 v[32:33], v32, v[8:9]
	v_and_b32_e32 v32, 7, v32
; %bb.320:                              ;   in Loop: Header=BB367_11 Depth=1
	s_or_b32 exec_lo, exec_lo, s20
	v_lshlrev_b32_e32 v8, 8, v144
	v_lshl_add_u32 v33, v134, 10, 0x2000
	s_delay_alu instid0(VALU_DEP_1) | instskip(NEXT) | instid1(VALU_DEP_1)
	v_and_or_b32 v8, 0x8000, v8, v33
	v_lshl_or_b32 v8, v32, 7, v8
	s_delay_alu instid0(VALU_DEP_1)
	v_cvt_f32_f16_e64 v134, v8
.LBB367_321:                            ;   in Loop: Header=BB367_11 Depth=1
	s_or_b32 exec_lo, exec_lo, s19
.LBB367_322:                            ;   in Loop: Header=BB367_11 Depth=1
	s_delay_alu instid0(SALU_CYCLE_1)
	s_or_b32 exec_lo, exec_lo, s18
.LBB367_323:                            ;   in Loop: Header=BB367_11 Depth=1
	s_delay_alu instid0(SALU_CYCLE_1)
	s_or_b32 exec_lo, exec_lo, s17
	v_dual_mov_b32 v145, 0 :: v_dual_mov_b32 v144, 0
	s_mov_b32 s17, exec_lo
	v_cmpx_lt_u64_e64 s[2:3], v[30:31]
	s_cbranch_execz .LBB367_331
; %bb.324:                              ;   in Loop: Header=BB367_11 Depth=1
	v_lshrrev_b32_e32 v32, 24, v31
	v_bfrev_b32_e32 v144, 1
	s_mov_b32 s18, exec_lo
	s_delay_alu instid0(VALU_DEP_2)
	v_cmpx_ne_u32_e32 0x80, v32
	s_cbranch_execz .LBB367_330
; %bb.325:                              ;   in Loop: Header=BB367_11 Depth=1
	v_and_b32_e32 v30, 0x7f, v32
	v_mov_b32_e32 v144, 0x7fc02000
	s_mov_b32 s19, exec_lo
	s_delay_alu instid0(VALU_DEP_2)
	v_cmpx_ne_u32_e32 0x7f, v30
	s_cbranch_execz .LBB367_329
; %bb.326:                              ;   in Loop: Header=BB367_11 Depth=1
	v_and_b32_e32 v8, 7, v32
	v_lshrrev_b32_e32 v33, 3, v30
	v_cmp_gt_u32_e64 s1, 8, v30
	s_delay_alu instid0(VALU_DEP_3) | instskip(NEXT) | instid1(VALU_DEP_2)
	v_dual_mov_b32 v31, v9 :: v_dual_mov_b32 v30, v8
	s_and_saveexec_b32 s20, s1
; %bb.327:                              ;   in Loop: Header=BB367_11 Depth=1
	v_clz_i32_u32_e32 v30, v8
	s_delay_alu instid0(VALU_DEP_1) | instskip(NEXT) | instid1(VALU_DEP_1)
	v_min_u32_e32 v33, 32, v30
	v_subrev_nc_u32_e32 v30, 28, v33
	v_sub_nc_u32_e32 v33, 29, v33
	s_delay_alu instid0(VALU_DEP_2) | instskip(NEXT) | instid1(VALU_DEP_1)
	v_lshlrev_b64 v[30:31], v30, v[8:9]
	v_and_b32_e32 v30, 7, v30
; %bb.328:                              ;   in Loop: Header=BB367_11 Depth=1
	s_or_b32 exec_lo, exec_lo, s20
	v_lshlrev_b32_e32 v8, 8, v32
	v_lshl_add_u32 v31, v33, 10, 0x2000
	s_delay_alu instid0(VALU_DEP_1) | instskip(NEXT) | instid1(VALU_DEP_1)
	v_and_or_b32 v8, 0x8000, v8, v31
	v_lshl_or_b32 v8, v30, 7, v8
	s_delay_alu instid0(VALU_DEP_1)
	v_cvt_f32_f16_e64 v144, v8
.LBB367_329:                            ;   in Loop: Header=BB367_11 Depth=1
	s_or_b32 exec_lo, exec_lo, s19
.LBB367_330:                            ;   in Loop: Header=BB367_11 Depth=1
	s_delay_alu instid0(SALU_CYCLE_1)
	s_or_b32 exec_lo, exec_lo, s18
.LBB367_331:                            ;   in Loop: Header=BB367_11 Depth=1
	s_delay_alu instid0(SALU_CYCLE_1) | instskip(SKIP_4) | instid1(VALU_DEP_1)
	s_or_b32 exec_lo, exec_lo, s17
	flat_load_b64 v[30:31], v[28:29] offset:1032
	s_mov_b32 s17, exec_lo
	s_waitcnt vmcnt(0) lgkmcnt(0)
	v_and_b32_e32 v8, 0xff, v30
	v_cmpx_ne_u16_e32 0, v8
	s_cbranch_execz .LBB367_339
; %bb.332:                              ;   in Loop: Header=BB367_11 Depth=1
	v_bfrev_b32_e32 v145, 1
	s_mov_b32 s18, exec_lo
	v_cmpx_ne_u16_e32 0x80, v8
	s_cbranch_execz .LBB367_338
; %bb.333:                              ;   in Loop: Header=BB367_11 Depth=1
	v_and_b32_e32 v32, 0x7f, v30
	v_mov_b32_e32 v145, 0x7fc02000
	s_mov_b32 s19, exec_lo
	s_delay_alu instid0(VALU_DEP_2)
	v_cmpx_ne_u32_e32 0x7f, v32
	s_cbranch_execz .LBB367_337
; %bb.334:                              ;   in Loop: Header=BB367_11 Depth=1
	v_lshrrev_b32_e32 v8, 3, v32
	v_cmp_gt_u32_e64 s1, 8, v32
	v_dual_mov_b32 v33, v31 :: v_dual_mov_b32 v32, v30
	s_delay_alu instid0(VALU_DEP_2)
	s_and_saveexec_b32 s20, s1
; %bb.335:                              ;   in Loop: Header=BB367_11 Depth=1
	v_and_b32_e32 v8, 7, v30
	s_delay_alu instid0(VALU_DEP_1) | instskip(NEXT) | instid1(VALU_DEP_1)
	v_clz_i32_u32_e32 v8, v8
	v_min_u32_e32 v8, 32, v8
	s_delay_alu instid0(VALU_DEP_1) | instskip(SKIP_1) | instid1(VALU_DEP_2)
	v_subrev_nc_u32_e32 v32, 28, v8
	v_sub_nc_u32_e32 v8, 29, v8
	v_lshlrev_b64 v[32:33], v32, v[30:31]
; %bb.336:                              ;   in Loop: Header=BB367_11 Depth=1
	s_or_b32 exec_lo, exec_lo, s20
	v_lshlrev_b32_e32 v33, 8, v30
	s_delay_alu instid0(VALU_DEP_3) | instskip(NEXT) | instid1(VALU_DEP_3)
	v_lshl_add_u32 v8, v8, 10, 0x2000
	v_lshlrev_b32_e32 v32, 7, v32
	s_delay_alu instid0(VALU_DEP_2) | instskip(NEXT) | instid1(VALU_DEP_1)
	v_and_or_b32 v8, 0x8000, v33, v8
	v_and_or_b32 v8, 0x380, v32, v8
	s_delay_alu instid0(VALU_DEP_1)
	v_cvt_f32_f16_e64 v145, v8
.LBB367_337:                            ;   in Loop: Header=BB367_11 Depth=1
	s_or_b32 exec_lo, exec_lo, s19
.LBB367_338:                            ;   in Loop: Header=BB367_11 Depth=1
	s_delay_alu instid0(SALU_CYCLE_1)
	s_or_b32 exec_lo, exec_lo, s18
.LBB367_339:                            ;   in Loop: Header=BB367_11 Depth=1
	s_delay_alu instid0(SALU_CYCLE_1) | instskip(SKIP_3) | instid1(VALU_DEP_2)
	s_or_b32 exec_lo, exec_lo, s17
	v_lshrrev_b16 v8, 8, v30
	v_dual_mov_b32 v146, 0 :: v_dual_mov_b32 v147, 0
	s_mov_b32 s17, exec_lo
	v_cmpx_ne_u16_e32 0, v8
	s_cbranch_execz .LBB367_347
; %bb.340:                              ;   in Loop: Header=BB367_11 Depth=1
	v_bfrev_b32_e32 v147, 1
	s_mov_b32 s18, exec_lo
	v_cmpx_ne_u16_e32 0x80, v8
	s_cbranch_execz .LBB367_346
; %bb.341:                              ;   in Loop: Header=BB367_11 Depth=1
	v_and_b32_e32 v148, 0xffff, v8
	v_mov_b32_e32 v147, 0x7fc02000
	s_mov_b32 s19, exec_lo
	s_delay_alu instid0(VALU_DEP_2) | instskip(NEXT) | instid1(VALU_DEP_1)
	v_and_b32_e32 v32, 0x7f, v148
	v_cmpx_ne_u32_e32 0x7f, v32
	s_cbranch_execz .LBB367_345
; %bb.342:                              ;   in Loop: Header=BB367_11 Depth=1
	v_and_b32_e32 v8, 7, v148
	v_lshrrev_b32_e32 v147, 3, v32
	v_cmp_gt_u32_e64 s1, 8, v32
	s_delay_alu instid0(VALU_DEP_3) | instskip(NEXT) | instid1(VALU_DEP_2)
	v_dual_mov_b32 v33, v9 :: v_dual_mov_b32 v32, v8
	s_and_saveexec_b32 s20, s1
; %bb.343:                              ;   in Loop: Header=BB367_11 Depth=1
	v_clz_i32_u32_e32 v32, v8
	s_delay_alu instid0(VALU_DEP_1) | instskip(NEXT) | instid1(VALU_DEP_1)
	v_min_u32_e32 v147, 32, v32
	v_subrev_nc_u32_e32 v32, 28, v147
	v_sub_nc_u32_e32 v147, 29, v147
	s_delay_alu instid0(VALU_DEP_2) | instskip(NEXT) | instid1(VALU_DEP_1)
	v_lshlrev_b64 v[32:33], v32, v[8:9]
	v_and_b32_e32 v32, 7, v32
; %bb.344:                              ;   in Loop: Header=BB367_11 Depth=1
	s_or_b32 exec_lo, exec_lo, s20
	v_lshlrev_b32_e32 v8, 8, v148
	v_lshl_add_u32 v33, v147, 10, 0x2000
	s_delay_alu instid0(VALU_DEP_1) | instskip(NEXT) | instid1(VALU_DEP_1)
	v_and_or_b32 v8, 0x8000, v8, v33
	v_lshl_or_b32 v8, v32, 7, v8
	s_delay_alu instid0(VALU_DEP_1)
	v_cvt_f32_f16_e64 v147, v8
.LBB367_345:                            ;   in Loop: Header=BB367_11 Depth=1
	s_or_b32 exec_lo, exec_lo, s19
.LBB367_346:                            ;   in Loop: Header=BB367_11 Depth=1
	s_delay_alu instid0(SALU_CYCLE_1)
	s_or_b32 exec_lo, exec_lo, s18
.LBB367_347:                            ;   in Loop: Header=BB367_11 Depth=1
	s_delay_alu instid0(SALU_CYCLE_1) | instskip(SKIP_2) | instid1(VALU_DEP_1)
	s_or_b32 exec_lo, exec_lo, s17
	v_lshrrev_b32_e32 v148, 16, v30
	s_mov_b32 s17, exec_lo
	v_and_b32_e32 v8, 0xff, v148
	s_delay_alu instid0(VALU_DEP_1)
	v_cmpx_ne_u16_e32 0, v8
	s_cbranch_execz .LBB367_355
; %bb.348:                              ;   in Loop: Header=BB367_11 Depth=1
	v_bfrev_b32_e32 v146, 1
	s_mov_b32 s18, exec_lo
	v_cmpx_ne_u16_e32 0x80, v8
	s_cbranch_execz .LBB367_354
; %bb.349:                              ;   in Loop: Header=BB367_11 Depth=1
	v_bfe_u32 v32, v30, 16, 7
	v_mov_b32_e32 v146, 0x7fc02000
	s_mov_b32 s19, exec_lo
	s_delay_alu instid0(VALU_DEP_2)
	v_cmpx_ne_u32_e32 0x7f, v32
	s_cbranch_execz .LBB367_353
; %bb.350:                              ;   in Loop: Header=BB367_11 Depth=1
	v_and_b32_e32 v8, 7, v148
	v_lshrrev_b32_e32 v146, 3, v32
	v_cmp_gt_u32_e64 s1, 8, v32
	s_delay_alu instid0(VALU_DEP_3) | instskip(NEXT) | instid1(VALU_DEP_2)
	v_dual_mov_b32 v33, v9 :: v_dual_mov_b32 v32, v8
	s_and_saveexec_b32 s20, s1
; %bb.351:                              ;   in Loop: Header=BB367_11 Depth=1
	v_clz_i32_u32_e32 v32, v8
	s_delay_alu instid0(VALU_DEP_1) | instskip(NEXT) | instid1(VALU_DEP_1)
	v_min_u32_e32 v146, 32, v32
	v_subrev_nc_u32_e32 v32, 28, v146
	v_sub_nc_u32_e32 v146, 29, v146
	s_delay_alu instid0(VALU_DEP_2) | instskip(NEXT) | instid1(VALU_DEP_1)
	v_lshlrev_b64 v[32:33], v32, v[8:9]
	v_and_b32_e32 v32, 7, v32
; %bb.352:                              ;   in Loop: Header=BB367_11 Depth=1
	s_or_b32 exec_lo, exec_lo, s20
	v_lshlrev_b32_e32 v8, 8, v148
	v_lshl_add_u32 v33, v146, 10, 0x2000
	s_delay_alu instid0(VALU_DEP_1) | instskip(NEXT) | instid1(VALU_DEP_1)
	v_and_or_b32 v8, 0x8000, v8, v33
	v_lshl_or_b32 v8, v32, 7, v8
	s_delay_alu instid0(VALU_DEP_1)
	v_cvt_f32_f16_e64 v146, v8
.LBB367_353:                            ;   in Loop: Header=BB367_11 Depth=1
	s_or_b32 exec_lo, exec_lo, s19
.LBB367_354:                            ;   in Loop: Header=BB367_11 Depth=1
	s_delay_alu instid0(SALU_CYCLE_1)
	s_or_b32 exec_lo, exec_lo, s18
.LBB367_355:                            ;   in Loop: Header=BB367_11 Depth=1
	s_delay_alu instid0(SALU_CYCLE_1)
	s_or_b32 exec_lo, exec_lo, s17
	v_dual_mov_b32 v148, 0 :: v_dual_mov_b32 v149, 0
	s_mov_b32 s17, exec_lo
	v_cmpx_lt_u32_e32 0xffffff, v30
	s_cbranch_execz .LBB367_363
; %bb.356:                              ;   in Loop: Header=BB367_11 Depth=1
	v_lshrrev_b32_e32 v150, 24, v30
	v_bfrev_b32_e32 v149, 1
	s_mov_b32 s18, exec_lo
	s_delay_alu instid0(VALU_DEP_2)
	v_cmpx_ne_u32_e32 0x80, v150
	s_cbranch_execz .LBB367_362
; %bb.357:                              ;   in Loop: Header=BB367_11 Depth=1
	v_and_b32_e32 v32, 0x7f, v150
	v_mov_b32_e32 v149, 0x7fc02000
	s_mov_b32 s19, exec_lo
	s_delay_alu instid0(VALU_DEP_2)
	v_cmpx_ne_u32_e32 0x7f, v32
	s_cbranch_execz .LBB367_361
; %bb.358:                              ;   in Loop: Header=BB367_11 Depth=1
	v_and_b32_e32 v8, 7, v150
	v_lshrrev_b32_e32 v149, 3, v32
	v_cmp_gt_u32_e64 s1, 8, v32
	s_delay_alu instid0(VALU_DEP_3) | instskip(NEXT) | instid1(VALU_DEP_2)
	v_dual_mov_b32 v33, v9 :: v_dual_mov_b32 v32, v8
	s_and_saveexec_b32 s20, s1
; %bb.359:                              ;   in Loop: Header=BB367_11 Depth=1
	v_clz_i32_u32_e32 v32, v8
	s_delay_alu instid0(VALU_DEP_1) | instskip(NEXT) | instid1(VALU_DEP_1)
	v_min_u32_e32 v149, 32, v32
	v_subrev_nc_u32_e32 v32, 28, v149
	v_sub_nc_u32_e32 v149, 29, v149
	s_delay_alu instid0(VALU_DEP_2) | instskip(NEXT) | instid1(VALU_DEP_1)
	v_lshlrev_b64 v[32:33], v32, v[8:9]
	v_and_b32_e32 v32, 7, v32
; %bb.360:                              ;   in Loop: Header=BB367_11 Depth=1
	s_or_b32 exec_lo, exec_lo, s20
	v_lshlrev_b32_e32 v8, 8, v150
	v_lshl_add_u32 v33, v149, 10, 0x2000
	s_delay_alu instid0(VALU_DEP_1) | instskip(NEXT) | instid1(VALU_DEP_1)
	v_and_or_b32 v8, 0x8000, v8, v33
	v_lshl_or_b32 v8, v32, 7, v8
	s_delay_alu instid0(VALU_DEP_1)
	v_cvt_f32_f16_e64 v149, v8
.LBB367_361:                            ;   in Loop: Header=BB367_11 Depth=1
	s_or_b32 exec_lo, exec_lo, s19
.LBB367_362:                            ;   in Loop: Header=BB367_11 Depth=1
	s_delay_alu instid0(SALU_CYCLE_1)
	s_or_b32 exec_lo, exec_lo, s18
.LBB367_363:                            ;   in Loop: Header=BB367_11 Depth=1
	s_delay_alu instid0(SALU_CYCLE_1) | instskip(SKIP_3) | instid1(VALU_DEP_2)
	s_or_b32 exec_lo, exec_lo, s17
	v_and_b32_e32 v32, 0xff, v31
	v_mov_b32_e32 v8, v31
	s_mov_b32 s17, exec_lo
	v_cmpx_ne_u16_e32 0, v32
	s_cbranch_execz .LBB367_371
; %bb.364:                              ;   in Loop: Header=BB367_11 Depth=1
	v_bfrev_b32_e32 v148, 1
	s_mov_b32 s18, exec_lo
	v_cmpx_ne_u16_e32 0x80, v32
	s_cbranch_execz .LBB367_370
; %bb.365:                              ;   in Loop: Header=BB367_11 Depth=1
	v_and_b32_e32 v32, 0x7f, v31
	v_mov_b32_e32 v148, 0x7fc02000
	s_mov_b32 s19, exec_lo
	s_delay_alu instid0(VALU_DEP_2)
	v_cmpx_ne_u32_e32 0x7f, v32
	s_cbranch_execz .LBB367_369
; %bb.366:                              ;   in Loop: Header=BB367_11 Depth=1
	v_lshrrev_b32_e32 v148, 3, v32
	v_cmp_gt_u32_e64 s1, 8, v32
	v_dual_mov_b32 v33, v9 :: v_dual_mov_b32 v32, v8
	s_delay_alu instid0(VALU_DEP_2)
	s_and_saveexec_b32 s20, s1
; %bb.367:                              ;   in Loop: Header=BB367_11 Depth=1
	v_and_b32_e32 v32, 7, v31
	s_delay_alu instid0(VALU_DEP_1) | instskip(NEXT) | instid1(VALU_DEP_1)
	v_clz_i32_u32_e32 v32, v32
	v_min_u32_e32 v148, 32, v32
	s_delay_alu instid0(VALU_DEP_1) | instskip(SKIP_1) | instid1(VALU_DEP_2)
	v_subrev_nc_u32_e32 v32, 28, v148
	v_sub_nc_u32_e32 v148, 29, v148
	v_lshlrev_b64 v[32:33], v32, v[8:9]
; %bb.368:                              ;   in Loop: Header=BB367_11 Depth=1
	s_or_b32 exec_lo, exec_lo, s20
	v_lshlrev_b32_e32 v33, 8, v31
	s_delay_alu instid0(VALU_DEP_3) | instskip(NEXT) | instid1(VALU_DEP_3)
	v_lshl_add_u32 v148, v148, 10, 0x2000
	v_lshlrev_b32_e32 v32, 7, v32
	s_delay_alu instid0(VALU_DEP_2) | instskip(NEXT) | instid1(VALU_DEP_1)
	v_and_or_b32 v33, 0x8000, v33, v148
	v_and_or_b32 v32, 0x380, v32, v33
	s_delay_alu instid0(VALU_DEP_1)
	v_cvt_f32_f16_e64 v148, v32
.LBB367_369:                            ;   in Loop: Header=BB367_11 Depth=1
	s_or_b32 exec_lo, exec_lo, s19
.LBB367_370:                            ;   in Loop: Header=BB367_11 Depth=1
	s_delay_alu instid0(SALU_CYCLE_1)
	s_or_b32 exec_lo, exec_lo, s18
.LBB367_371:                            ;   in Loop: Header=BB367_11 Depth=1
	s_delay_alu instid0(SALU_CYCLE_1) | instskip(SKIP_3) | instid1(VALU_DEP_2)
	s_or_b32 exec_lo, exec_lo, s17
	v_lshrrev_b16 v8, 8, v8
	v_dual_mov_b32 v150, 0 :: v_dual_mov_b32 v151, 0
	s_mov_b32 s17, exec_lo
	v_cmpx_ne_u16_e32 0, v8
	s_cbranch_execz .LBB367_379
; %bb.372:                              ;   in Loop: Header=BB367_11 Depth=1
	v_bfrev_b32_e32 v151, 1
	s_mov_b32 s18, exec_lo
	v_cmpx_ne_u16_e32 0x80, v8
	s_cbranch_execz .LBB367_378
; %bb.373:                              ;   in Loop: Header=BB367_11 Depth=1
	v_and_b32_e32 v160, 0xffff, v8
	v_mov_b32_e32 v151, 0x7fc02000
	s_mov_b32 s19, exec_lo
	s_delay_alu instid0(VALU_DEP_2) | instskip(NEXT) | instid1(VALU_DEP_1)
	v_and_b32_e32 v32, 0x7f, v160
	v_cmpx_ne_u32_e32 0x7f, v32
	s_cbranch_execz .LBB367_377
; %bb.374:                              ;   in Loop: Header=BB367_11 Depth=1
	v_and_b32_e32 v8, 7, v160
	v_lshrrev_b32_e32 v151, 3, v32
	v_cmp_gt_u32_e64 s1, 8, v32
	s_delay_alu instid0(VALU_DEP_3) | instskip(NEXT) | instid1(VALU_DEP_2)
	v_dual_mov_b32 v33, v9 :: v_dual_mov_b32 v32, v8
	s_and_saveexec_b32 s20, s1
; %bb.375:                              ;   in Loop: Header=BB367_11 Depth=1
	v_clz_i32_u32_e32 v32, v8
	s_delay_alu instid0(VALU_DEP_1) | instskip(NEXT) | instid1(VALU_DEP_1)
	v_min_u32_e32 v151, 32, v32
	v_subrev_nc_u32_e32 v32, 28, v151
	v_sub_nc_u32_e32 v151, 29, v151
	s_delay_alu instid0(VALU_DEP_2) | instskip(NEXT) | instid1(VALU_DEP_1)
	v_lshlrev_b64 v[32:33], v32, v[8:9]
	v_and_b32_e32 v32, 7, v32
; %bb.376:                              ;   in Loop: Header=BB367_11 Depth=1
	s_or_b32 exec_lo, exec_lo, s20
	v_lshlrev_b32_e32 v8, 8, v160
	v_lshl_add_u32 v33, v151, 10, 0x2000
	s_delay_alu instid0(VALU_DEP_1) | instskip(NEXT) | instid1(VALU_DEP_1)
	v_and_or_b32 v8, 0x8000, v8, v33
	v_lshl_or_b32 v8, v32, 7, v8
	s_delay_alu instid0(VALU_DEP_1)
	v_cvt_f32_f16_e64 v151, v8
.LBB367_377:                            ;   in Loop: Header=BB367_11 Depth=1
	s_or_b32 exec_lo, exec_lo, s19
.LBB367_378:                            ;   in Loop: Header=BB367_11 Depth=1
	s_delay_alu instid0(SALU_CYCLE_1)
	s_or_b32 exec_lo, exec_lo, s18
.LBB367_379:                            ;   in Loop: Header=BB367_11 Depth=1
	s_delay_alu instid0(SALU_CYCLE_1) | instskip(SKIP_2) | instid1(VALU_DEP_1)
	s_or_b32 exec_lo, exec_lo, s17
	v_lshrrev_b32_e32 v160, 16, v31
	s_mov_b32 s17, exec_lo
	v_and_b32_e32 v8, 0xff, v160
	s_delay_alu instid0(VALU_DEP_1)
	v_cmpx_ne_u16_e32 0, v8
	s_cbranch_execz .LBB367_387
; %bb.380:                              ;   in Loop: Header=BB367_11 Depth=1
	v_bfrev_b32_e32 v150, 1
	s_mov_b32 s18, exec_lo
	v_cmpx_ne_u16_e32 0x80, v8
	s_cbranch_execz .LBB367_386
; %bb.381:                              ;   in Loop: Header=BB367_11 Depth=1
	v_bfe_u32 v32, v31, 16, 7
	v_mov_b32_e32 v150, 0x7fc02000
	s_mov_b32 s19, exec_lo
	s_delay_alu instid0(VALU_DEP_2)
	v_cmpx_ne_u32_e32 0x7f, v32
	s_cbranch_execz .LBB367_385
; %bb.382:                              ;   in Loop: Header=BB367_11 Depth=1
	v_and_b32_e32 v8, 7, v160
	v_lshrrev_b32_e32 v150, 3, v32
	v_cmp_gt_u32_e64 s1, 8, v32
	s_delay_alu instid0(VALU_DEP_3) | instskip(NEXT) | instid1(VALU_DEP_2)
	v_dual_mov_b32 v33, v9 :: v_dual_mov_b32 v32, v8
	s_and_saveexec_b32 s20, s1
; %bb.383:                              ;   in Loop: Header=BB367_11 Depth=1
	v_clz_i32_u32_e32 v32, v8
	s_delay_alu instid0(VALU_DEP_1) | instskip(NEXT) | instid1(VALU_DEP_1)
	v_min_u32_e32 v150, 32, v32
	v_subrev_nc_u32_e32 v32, 28, v150
	v_sub_nc_u32_e32 v150, 29, v150
	s_delay_alu instid0(VALU_DEP_2) | instskip(NEXT) | instid1(VALU_DEP_1)
	v_lshlrev_b64 v[32:33], v32, v[8:9]
	v_and_b32_e32 v32, 7, v32
; %bb.384:                              ;   in Loop: Header=BB367_11 Depth=1
	s_or_b32 exec_lo, exec_lo, s20
	v_lshlrev_b32_e32 v8, 8, v160
	v_lshl_add_u32 v33, v150, 10, 0x2000
	s_delay_alu instid0(VALU_DEP_1) | instskip(NEXT) | instid1(VALU_DEP_1)
	v_and_or_b32 v8, 0x8000, v8, v33
	v_lshl_or_b32 v8, v32, 7, v8
	s_delay_alu instid0(VALU_DEP_1)
	v_cvt_f32_f16_e64 v150, v8
.LBB367_385:                            ;   in Loop: Header=BB367_11 Depth=1
	s_or_b32 exec_lo, exec_lo, s19
.LBB367_386:                            ;   in Loop: Header=BB367_11 Depth=1
	s_delay_alu instid0(SALU_CYCLE_1)
	s_or_b32 exec_lo, exec_lo, s18
.LBB367_387:                            ;   in Loop: Header=BB367_11 Depth=1
	s_delay_alu instid0(SALU_CYCLE_1)
	s_or_b32 exec_lo, exec_lo, s17
	v_dual_mov_b32 v161, 0 :: v_dual_mov_b32 v160, 0
	s_mov_b32 s17, exec_lo
	v_cmpx_lt_u64_e64 s[2:3], v[30:31]
	s_cbranch_execz .LBB367_395
; %bb.388:                              ;   in Loop: Header=BB367_11 Depth=1
	v_lshrrev_b32_e32 v32, 24, v31
	v_bfrev_b32_e32 v160, 1
	s_mov_b32 s18, exec_lo
	s_delay_alu instid0(VALU_DEP_2)
	v_cmpx_ne_u32_e32 0x80, v32
	s_cbranch_execz .LBB367_394
; %bb.389:                              ;   in Loop: Header=BB367_11 Depth=1
	v_and_b32_e32 v30, 0x7f, v32
	v_mov_b32_e32 v160, 0x7fc02000
	s_mov_b32 s19, exec_lo
	s_delay_alu instid0(VALU_DEP_2)
	v_cmpx_ne_u32_e32 0x7f, v30
	s_cbranch_execz .LBB367_393
; %bb.390:                              ;   in Loop: Header=BB367_11 Depth=1
	v_and_b32_e32 v8, 7, v32
	v_lshrrev_b32_e32 v33, 3, v30
	v_cmp_gt_u32_e64 s1, 8, v30
	s_delay_alu instid0(VALU_DEP_3) | instskip(NEXT) | instid1(VALU_DEP_2)
	v_dual_mov_b32 v31, v9 :: v_dual_mov_b32 v30, v8
	s_and_saveexec_b32 s20, s1
; %bb.391:                              ;   in Loop: Header=BB367_11 Depth=1
	v_clz_i32_u32_e32 v30, v8
	s_delay_alu instid0(VALU_DEP_1) | instskip(NEXT) | instid1(VALU_DEP_1)
	v_min_u32_e32 v33, 32, v30
	v_subrev_nc_u32_e32 v30, 28, v33
	v_sub_nc_u32_e32 v33, 29, v33
	s_delay_alu instid0(VALU_DEP_2) | instskip(NEXT) | instid1(VALU_DEP_1)
	v_lshlrev_b64 v[30:31], v30, v[8:9]
	v_and_b32_e32 v30, 7, v30
; %bb.392:                              ;   in Loop: Header=BB367_11 Depth=1
	s_or_b32 exec_lo, exec_lo, s20
	v_lshlrev_b32_e32 v8, 8, v32
	v_lshl_add_u32 v31, v33, 10, 0x2000
	s_delay_alu instid0(VALU_DEP_1) | instskip(NEXT) | instid1(VALU_DEP_1)
	v_and_or_b32 v8, 0x8000, v8, v31
	v_lshl_or_b32 v8, v30, 7, v8
	s_delay_alu instid0(VALU_DEP_1)
	v_cvt_f32_f16_e64 v160, v8
.LBB367_393:                            ;   in Loop: Header=BB367_11 Depth=1
	s_or_b32 exec_lo, exec_lo, s19
.LBB367_394:                            ;   in Loop: Header=BB367_11 Depth=1
	s_delay_alu instid0(SALU_CYCLE_1)
	s_or_b32 exec_lo, exec_lo, s18
.LBB367_395:                            ;   in Loop: Header=BB367_11 Depth=1
	s_delay_alu instid0(SALU_CYCLE_1) | instskip(SKIP_4) | instid1(VALU_DEP_1)
	s_or_b32 exec_lo, exec_lo, s17
	flat_load_b64 v[30:31], v[28:29] offset:1536
	s_mov_b32 s17, exec_lo
	s_waitcnt vmcnt(0) lgkmcnt(0)
	v_and_b32_e32 v8, 0xff, v30
	v_cmpx_ne_u16_e32 0, v8
	s_cbranch_execz .LBB367_403
; %bb.396:                              ;   in Loop: Header=BB367_11 Depth=1
	v_bfrev_b32_e32 v161, 1
	s_mov_b32 s18, exec_lo
	v_cmpx_ne_u16_e32 0x80, v8
	s_cbranch_execz .LBB367_402
; %bb.397:                              ;   in Loop: Header=BB367_11 Depth=1
	v_and_b32_e32 v32, 0x7f, v30
	v_mov_b32_e32 v161, 0x7fc02000
	s_mov_b32 s19, exec_lo
	s_delay_alu instid0(VALU_DEP_2)
	v_cmpx_ne_u32_e32 0x7f, v32
	s_cbranch_execz .LBB367_401
; %bb.398:                              ;   in Loop: Header=BB367_11 Depth=1
	v_lshrrev_b32_e32 v8, 3, v32
	v_cmp_gt_u32_e64 s1, 8, v32
	v_dual_mov_b32 v33, v31 :: v_dual_mov_b32 v32, v30
	s_delay_alu instid0(VALU_DEP_2)
	s_and_saveexec_b32 s20, s1
; %bb.399:                              ;   in Loop: Header=BB367_11 Depth=1
	v_and_b32_e32 v8, 7, v30
	s_delay_alu instid0(VALU_DEP_1) | instskip(NEXT) | instid1(VALU_DEP_1)
	v_clz_i32_u32_e32 v8, v8
	v_min_u32_e32 v8, 32, v8
	s_delay_alu instid0(VALU_DEP_1) | instskip(SKIP_1) | instid1(VALU_DEP_2)
	v_subrev_nc_u32_e32 v32, 28, v8
	v_sub_nc_u32_e32 v8, 29, v8
	v_lshlrev_b64 v[32:33], v32, v[30:31]
; %bb.400:                              ;   in Loop: Header=BB367_11 Depth=1
	s_or_b32 exec_lo, exec_lo, s20
	v_lshlrev_b32_e32 v33, 8, v30
	s_delay_alu instid0(VALU_DEP_3) | instskip(NEXT) | instid1(VALU_DEP_3)
	v_lshl_add_u32 v8, v8, 10, 0x2000
	v_lshlrev_b32_e32 v32, 7, v32
	s_delay_alu instid0(VALU_DEP_2) | instskip(NEXT) | instid1(VALU_DEP_1)
	v_and_or_b32 v8, 0x8000, v33, v8
	v_and_or_b32 v8, 0x380, v32, v8
	s_delay_alu instid0(VALU_DEP_1)
	v_cvt_f32_f16_e64 v161, v8
.LBB367_401:                            ;   in Loop: Header=BB367_11 Depth=1
	s_or_b32 exec_lo, exec_lo, s19
.LBB367_402:                            ;   in Loop: Header=BB367_11 Depth=1
	s_delay_alu instid0(SALU_CYCLE_1)
	s_or_b32 exec_lo, exec_lo, s18
.LBB367_403:                            ;   in Loop: Header=BB367_11 Depth=1
	s_delay_alu instid0(SALU_CYCLE_1) | instskip(SKIP_3) | instid1(VALU_DEP_2)
	s_or_b32 exec_lo, exec_lo, s17
	v_lshrrev_b16 v8, 8, v30
	v_dual_mov_b32 v162, 0 :: v_dual_mov_b32 v163, 0
	s_mov_b32 s17, exec_lo
	v_cmpx_ne_u16_e32 0, v8
	s_cbranch_execz .LBB367_411
; %bb.404:                              ;   in Loop: Header=BB367_11 Depth=1
	v_bfrev_b32_e32 v163, 1
	s_mov_b32 s18, exec_lo
	v_cmpx_ne_u16_e32 0x80, v8
	s_cbranch_execz .LBB367_410
; %bb.405:                              ;   in Loop: Header=BB367_11 Depth=1
	v_and_b32_e32 v164, 0xffff, v8
	v_mov_b32_e32 v163, 0x7fc02000
	s_mov_b32 s19, exec_lo
	s_delay_alu instid0(VALU_DEP_2) | instskip(NEXT) | instid1(VALU_DEP_1)
	v_and_b32_e32 v32, 0x7f, v164
	v_cmpx_ne_u32_e32 0x7f, v32
	s_cbranch_execz .LBB367_409
; %bb.406:                              ;   in Loop: Header=BB367_11 Depth=1
	v_and_b32_e32 v8, 7, v164
	v_lshrrev_b32_e32 v163, 3, v32
	v_cmp_gt_u32_e64 s1, 8, v32
	s_delay_alu instid0(VALU_DEP_3) | instskip(NEXT) | instid1(VALU_DEP_2)
	v_dual_mov_b32 v33, v9 :: v_dual_mov_b32 v32, v8
	s_and_saveexec_b32 s20, s1
; %bb.407:                              ;   in Loop: Header=BB367_11 Depth=1
	v_clz_i32_u32_e32 v32, v8
	s_delay_alu instid0(VALU_DEP_1) | instskip(NEXT) | instid1(VALU_DEP_1)
	v_min_u32_e32 v163, 32, v32
	v_subrev_nc_u32_e32 v32, 28, v163
	v_sub_nc_u32_e32 v163, 29, v163
	s_delay_alu instid0(VALU_DEP_2) | instskip(NEXT) | instid1(VALU_DEP_1)
	v_lshlrev_b64 v[32:33], v32, v[8:9]
	v_and_b32_e32 v32, 7, v32
; %bb.408:                              ;   in Loop: Header=BB367_11 Depth=1
	s_or_b32 exec_lo, exec_lo, s20
	v_lshlrev_b32_e32 v8, 8, v164
	v_lshl_add_u32 v33, v163, 10, 0x2000
	s_delay_alu instid0(VALU_DEP_1) | instskip(NEXT) | instid1(VALU_DEP_1)
	v_and_or_b32 v8, 0x8000, v8, v33
	v_lshl_or_b32 v8, v32, 7, v8
	s_delay_alu instid0(VALU_DEP_1)
	v_cvt_f32_f16_e64 v163, v8
.LBB367_409:                            ;   in Loop: Header=BB367_11 Depth=1
	s_or_b32 exec_lo, exec_lo, s19
.LBB367_410:                            ;   in Loop: Header=BB367_11 Depth=1
	s_delay_alu instid0(SALU_CYCLE_1)
	s_or_b32 exec_lo, exec_lo, s18
.LBB367_411:                            ;   in Loop: Header=BB367_11 Depth=1
	s_delay_alu instid0(SALU_CYCLE_1) | instskip(SKIP_2) | instid1(VALU_DEP_1)
	s_or_b32 exec_lo, exec_lo, s17
	v_lshrrev_b32_e32 v164, 16, v30
	s_mov_b32 s17, exec_lo
	v_and_b32_e32 v8, 0xff, v164
	s_delay_alu instid0(VALU_DEP_1)
	v_cmpx_ne_u16_e32 0, v8
	s_cbranch_execz .LBB367_419
; %bb.412:                              ;   in Loop: Header=BB367_11 Depth=1
	v_bfrev_b32_e32 v162, 1
	s_mov_b32 s18, exec_lo
	v_cmpx_ne_u16_e32 0x80, v8
	s_cbranch_execz .LBB367_418
; %bb.413:                              ;   in Loop: Header=BB367_11 Depth=1
	v_bfe_u32 v32, v30, 16, 7
	v_mov_b32_e32 v162, 0x7fc02000
	s_mov_b32 s19, exec_lo
	s_delay_alu instid0(VALU_DEP_2)
	v_cmpx_ne_u32_e32 0x7f, v32
	s_cbranch_execz .LBB367_417
; %bb.414:                              ;   in Loop: Header=BB367_11 Depth=1
	v_and_b32_e32 v8, 7, v164
	v_lshrrev_b32_e32 v162, 3, v32
	v_cmp_gt_u32_e64 s1, 8, v32
	s_delay_alu instid0(VALU_DEP_3) | instskip(NEXT) | instid1(VALU_DEP_2)
	v_dual_mov_b32 v33, v9 :: v_dual_mov_b32 v32, v8
	s_and_saveexec_b32 s20, s1
; %bb.415:                              ;   in Loop: Header=BB367_11 Depth=1
	v_clz_i32_u32_e32 v32, v8
	s_delay_alu instid0(VALU_DEP_1) | instskip(NEXT) | instid1(VALU_DEP_1)
	v_min_u32_e32 v162, 32, v32
	v_subrev_nc_u32_e32 v32, 28, v162
	v_sub_nc_u32_e32 v162, 29, v162
	s_delay_alu instid0(VALU_DEP_2) | instskip(NEXT) | instid1(VALU_DEP_1)
	v_lshlrev_b64 v[32:33], v32, v[8:9]
	v_and_b32_e32 v32, 7, v32
; %bb.416:                              ;   in Loop: Header=BB367_11 Depth=1
	s_or_b32 exec_lo, exec_lo, s20
	v_lshlrev_b32_e32 v8, 8, v164
	v_lshl_add_u32 v33, v162, 10, 0x2000
	s_delay_alu instid0(VALU_DEP_1) | instskip(NEXT) | instid1(VALU_DEP_1)
	v_and_or_b32 v8, 0x8000, v8, v33
	v_lshl_or_b32 v8, v32, 7, v8
	s_delay_alu instid0(VALU_DEP_1)
	v_cvt_f32_f16_e64 v162, v8
.LBB367_417:                            ;   in Loop: Header=BB367_11 Depth=1
	s_or_b32 exec_lo, exec_lo, s19
.LBB367_418:                            ;   in Loop: Header=BB367_11 Depth=1
	s_delay_alu instid0(SALU_CYCLE_1)
	s_or_b32 exec_lo, exec_lo, s18
.LBB367_419:                            ;   in Loop: Header=BB367_11 Depth=1
	s_delay_alu instid0(SALU_CYCLE_1)
	s_or_b32 exec_lo, exec_lo, s17
	v_dual_mov_b32 v164, 0 :: v_dual_mov_b32 v165, 0
	s_mov_b32 s17, exec_lo
	v_cmpx_lt_u32_e32 0xffffff, v30
	s_cbranch_execz .LBB367_427
; %bb.420:                              ;   in Loop: Header=BB367_11 Depth=1
	v_lshrrev_b32_e32 v166, 24, v30
	v_bfrev_b32_e32 v165, 1
	s_mov_b32 s18, exec_lo
	s_delay_alu instid0(VALU_DEP_2)
	v_cmpx_ne_u32_e32 0x80, v166
	s_cbranch_execz .LBB367_426
; %bb.421:                              ;   in Loop: Header=BB367_11 Depth=1
	v_and_b32_e32 v32, 0x7f, v166
	v_mov_b32_e32 v165, 0x7fc02000
	s_mov_b32 s19, exec_lo
	s_delay_alu instid0(VALU_DEP_2)
	v_cmpx_ne_u32_e32 0x7f, v32
	s_cbranch_execz .LBB367_425
; %bb.422:                              ;   in Loop: Header=BB367_11 Depth=1
	v_and_b32_e32 v8, 7, v166
	v_lshrrev_b32_e32 v165, 3, v32
	v_cmp_gt_u32_e64 s1, 8, v32
	s_delay_alu instid0(VALU_DEP_3) | instskip(NEXT) | instid1(VALU_DEP_2)
	v_dual_mov_b32 v33, v9 :: v_dual_mov_b32 v32, v8
	s_and_saveexec_b32 s20, s1
; %bb.423:                              ;   in Loop: Header=BB367_11 Depth=1
	v_clz_i32_u32_e32 v32, v8
	s_delay_alu instid0(VALU_DEP_1) | instskip(NEXT) | instid1(VALU_DEP_1)
	v_min_u32_e32 v165, 32, v32
	v_subrev_nc_u32_e32 v32, 28, v165
	v_sub_nc_u32_e32 v165, 29, v165
	s_delay_alu instid0(VALU_DEP_2) | instskip(NEXT) | instid1(VALU_DEP_1)
	v_lshlrev_b64 v[32:33], v32, v[8:9]
	v_and_b32_e32 v32, 7, v32
; %bb.424:                              ;   in Loop: Header=BB367_11 Depth=1
	s_or_b32 exec_lo, exec_lo, s20
	v_lshlrev_b32_e32 v8, 8, v166
	v_lshl_add_u32 v33, v165, 10, 0x2000
	s_delay_alu instid0(VALU_DEP_1) | instskip(NEXT) | instid1(VALU_DEP_1)
	v_and_or_b32 v8, 0x8000, v8, v33
	v_lshl_or_b32 v8, v32, 7, v8
	s_delay_alu instid0(VALU_DEP_1)
	v_cvt_f32_f16_e64 v165, v8
.LBB367_425:                            ;   in Loop: Header=BB367_11 Depth=1
	s_or_b32 exec_lo, exec_lo, s19
.LBB367_426:                            ;   in Loop: Header=BB367_11 Depth=1
	s_delay_alu instid0(SALU_CYCLE_1)
	s_or_b32 exec_lo, exec_lo, s18
.LBB367_427:                            ;   in Loop: Header=BB367_11 Depth=1
	s_delay_alu instid0(SALU_CYCLE_1) | instskip(SKIP_3) | instid1(VALU_DEP_2)
	s_or_b32 exec_lo, exec_lo, s17
	v_and_b32_e32 v32, 0xff, v31
	v_mov_b32_e32 v8, v31
	s_mov_b32 s17, exec_lo
	v_cmpx_ne_u16_e32 0, v32
	s_cbranch_execz .LBB367_435
; %bb.428:                              ;   in Loop: Header=BB367_11 Depth=1
	v_bfrev_b32_e32 v164, 1
	s_mov_b32 s18, exec_lo
	v_cmpx_ne_u16_e32 0x80, v32
	s_cbranch_execz .LBB367_434
; %bb.429:                              ;   in Loop: Header=BB367_11 Depth=1
	v_and_b32_e32 v32, 0x7f, v31
	v_mov_b32_e32 v164, 0x7fc02000
	s_mov_b32 s19, exec_lo
	s_delay_alu instid0(VALU_DEP_2)
	v_cmpx_ne_u32_e32 0x7f, v32
	s_cbranch_execz .LBB367_433
; %bb.430:                              ;   in Loop: Header=BB367_11 Depth=1
	v_lshrrev_b32_e32 v164, 3, v32
	v_cmp_gt_u32_e64 s1, 8, v32
	v_dual_mov_b32 v33, v9 :: v_dual_mov_b32 v32, v8
	s_delay_alu instid0(VALU_DEP_2)
	s_and_saveexec_b32 s20, s1
; %bb.431:                              ;   in Loop: Header=BB367_11 Depth=1
	v_and_b32_e32 v32, 7, v31
	s_delay_alu instid0(VALU_DEP_1) | instskip(NEXT) | instid1(VALU_DEP_1)
	v_clz_i32_u32_e32 v32, v32
	v_min_u32_e32 v164, 32, v32
	s_delay_alu instid0(VALU_DEP_1) | instskip(SKIP_1) | instid1(VALU_DEP_2)
	v_subrev_nc_u32_e32 v32, 28, v164
	v_sub_nc_u32_e32 v164, 29, v164
	v_lshlrev_b64 v[32:33], v32, v[8:9]
; %bb.432:                              ;   in Loop: Header=BB367_11 Depth=1
	s_or_b32 exec_lo, exec_lo, s20
	v_lshlrev_b32_e32 v33, 8, v31
	s_delay_alu instid0(VALU_DEP_3) | instskip(NEXT) | instid1(VALU_DEP_3)
	v_lshl_add_u32 v164, v164, 10, 0x2000
	v_lshlrev_b32_e32 v32, 7, v32
	s_delay_alu instid0(VALU_DEP_2) | instskip(NEXT) | instid1(VALU_DEP_1)
	v_and_or_b32 v33, 0x8000, v33, v164
	v_and_or_b32 v32, 0x380, v32, v33
	s_delay_alu instid0(VALU_DEP_1)
	v_cvt_f32_f16_e64 v164, v32
.LBB367_433:                            ;   in Loop: Header=BB367_11 Depth=1
	s_or_b32 exec_lo, exec_lo, s19
.LBB367_434:                            ;   in Loop: Header=BB367_11 Depth=1
	s_delay_alu instid0(SALU_CYCLE_1)
	s_or_b32 exec_lo, exec_lo, s18
.LBB367_435:                            ;   in Loop: Header=BB367_11 Depth=1
	s_delay_alu instid0(SALU_CYCLE_1) | instskip(SKIP_3) | instid1(VALU_DEP_2)
	s_or_b32 exec_lo, exec_lo, s17
	v_lshrrev_b16 v8, 8, v8
	v_dual_mov_b32 v166, 0 :: v_dual_mov_b32 v167, 0
	s_mov_b32 s17, exec_lo
	v_cmpx_ne_u16_e32 0, v8
	s_cbranch_execz .LBB367_443
; %bb.436:                              ;   in Loop: Header=BB367_11 Depth=1
	v_bfrev_b32_e32 v167, 1
	s_mov_b32 s18, exec_lo
	v_cmpx_ne_u16_e32 0x80, v8
	s_cbranch_execz .LBB367_442
; %bb.437:                              ;   in Loop: Header=BB367_11 Depth=1
	v_and_b32_e32 v176, 0xffff, v8
	v_mov_b32_e32 v167, 0x7fc02000
	s_mov_b32 s19, exec_lo
	s_delay_alu instid0(VALU_DEP_2) | instskip(NEXT) | instid1(VALU_DEP_1)
	v_and_b32_e32 v32, 0x7f, v176
	v_cmpx_ne_u32_e32 0x7f, v32
	s_cbranch_execz .LBB367_441
; %bb.438:                              ;   in Loop: Header=BB367_11 Depth=1
	v_and_b32_e32 v8, 7, v176
	v_lshrrev_b32_e32 v167, 3, v32
	v_cmp_gt_u32_e64 s1, 8, v32
	s_delay_alu instid0(VALU_DEP_3) | instskip(NEXT) | instid1(VALU_DEP_2)
	v_dual_mov_b32 v33, v9 :: v_dual_mov_b32 v32, v8
	s_and_saveexec_b32 s20, s1
; %bb.439:                              ;   in Loop: Header=BB367_11 Depth=1
	v_clz_i32_u32_e32 v32, v8
	s_delay_alu instid0(VALU_DEP_1) | instskip(NEXT) | instid1(VALU_DEP_1)
	v_min_u32_e32 v167, 32, v32
	v_subrev_nc_u32_e32 v32, 28, v167
	v_sub_nc_u32_e32 v167, 29, v167
	s_delay_alu instid0(VALU_DEP_2) | instskip(NEXT) | instid1(VALU_DEP_1)
	v_lshlrev_b64 v[32:33], v32, v[8:9]
	v_and_b32_e32 v32, 7, v32
; %bb.440:                              ;   in Loop: Header=BB367_11 Depth=1
	s_or_b32 exec_lo, exec_lo, s20
	v_lshlrev_b32_e32 v8, 8, v176
	v_lshl_add_u32 v33, v167, 10, 0x2000
	s_delay_alu instid0(VALU_DEP_1) | instskip(NEXT) | instid1(VALU_DEP_1)
	v_and_or_b32 v8, 0x8000, v8, v33
	v_lshl_or_b32 v8, v32, 7, v8
	s_delay_alu instid0(VALU_DEP_1)
	v_cvt_f32_f16_e64 v167, v8
.LBB367_441:                            ;   in Loop: Header=BB367_11 Depth=1
	s_or_b32 exec_lo, exec_lo, s19
.LBB367_442:                            ;   in Loop: Header=BB367_11 Depth=1
	s_delay_alu instid0(SALU_CYCLE_1)
	s_or_b32 exec_lo, exec_lo, s18
.LBB367_443:                            ;   in Loop: Header=BB367_11 Depth=1
	s_delay_alu instid0(SALU_CYCLE_1) | instskip(SKIP_2) | instid1(VALU_DEP_1)
	s_or_b32 exec_lo, exec_lo, s17
	v_lshrrev_b32_e32 v176, 16, v31
	s_mov_b32 s17, exec_lo
	v_and_b32_e32 v8, 0xff, v176
	s_delay_alu instid0(VALU_DEP_1)
	v_cmpx_ne_u16_e32 0, v8
	s_cbranch_execz .LBB367_451
; %bb.444:                              ;   in Loop: Header=BB367_11 Depth=1
	v_bfrev_b32_e32 v166, 1
	s_mov_b32 s18, exec_lo
	v_cmpx_ne_u16_e32 0x80, v8
	s_cbranch_execz .LBB367_450
; %bb.445:                              ;   in Loop: Header=BB367_11 Depth=1
	v_bfe_u32 v32, v31, 16, 7
	v_mov_b32_e32 v166, 0x7fc02000
	s_mov_b32 s19, exec_lo
	s_delay_alu instid0(VALU_DEP_2)
	v_cmpx_ne_u32_e32 0x7f, v32
	s_cbranch_execz .LBB367_449
; %bb.446:                              ;   in Loop: Header=BB367_11 Depth=1
	v_and_b32_e32 v8, 7, v176
	v_lshrrev_b32_e32 v166, 3, v32
	v_cmp_gt_u32_e64 s1, 8, v32
	s_delay_alu instid0(VALU_DEP_3) | instskip(NEXT) | instid1(VALU_DEP_2)
	v_dual_mov_b32 v33, v9 :: v_dual_mov_b32 v32, v8
	s_and_saveexec_b32 s20, s1
; %bb.447:                              ;   in Loop: Header=BB367_11 Depth=1
	v_clz_i32_u32_e32 v32, v8
	s_delay_alu instid0(VALU_DEP_1) | instskip(NEXT) | instid1(VALU_DEP_1)
	v_min_u32_e32 v166, 32, v32
	v_subrev_nc_u32_e32 v32, 28, v166
	v_sub_nc_u32_e32 v166, 29, v166
	s_delay_alu instid0(VALU_DEP_2) | instskip(NEXT) | instid1(VALU_DEP_1)
	v_lshlrev_b64 v[32:33], v32, v[8:9]
	v_and_b32_e32 v32, 7, v32
; %bb.448:                              ;   in Loop: Header=BB367_11 Depth=1
	s_or_b32 exec_lo, exec_lo, s20
	v_lshlrev_b32_e32 v8, 8, v176
	v_lshl_add_u32 v33, v166, 10, 0x2000
	s_delay_alu instid0(VALU_DEP_1) | instskip(NEXT) | instid1(VALU_DEP_1)
	v_and_or_b32 v8, 0x8000, v8, v33
	v_lshl_or_b32 v8, v32, 7, v8
	s_delay_alu instid0(VALU_DEP_1)
	v_cvt_f32_f16_e64 v166, v8
.LBB367_449:                            ;   in Loop: Header=BB367_11 Depth=1
	s_or_b32 exec_lo, exec_lo, s19
.LBB367_450:                            ;   in Loop: Header=BB367_11 Depth=1
	s_delay_alu instid0(SALU_CYCLE_1)
	s_or_b32 exec_lo, exec_lo, s18
.LBB367_451:                            ;   in Loop: Header=BB367_11 Depth=1
	s_delay_alu instid0(SALU_CYCLE_1)
	s_or_b32 exec_lo, exec_lo, s17
	v_dual_mov_b32 v177, 0 :: v_dual_mov_b32 v176, 0
	s_mov_b32 s17, exec_lo
	v_cmpx_lt_u64_e64 s[2:3], v[30:31]
	s_cbranch_execz .LBB367_459
; %bb.452:                              ;   in Loop: Header=BB367_11 Depth=1
	v_lshrrev_b32_e32 v32, 24, v31
	v_bfrev_b32_e32 v176, 1
	s_mov_b32 s18, exec_lo
	s_delay_alu instid0(VALU_DEP_2)
	v_cmpx_ne_u32_e32 0x80, v32
	s_cbranch_execz .LBB367_458
; %bb.453:                              ;   in Loop: Header=BB367_11 Depth=1
	v_and_b32_e32 v30, 0x7f, v32
	v_mov_b32_e32 v176, 0x7fc02000
	s_mov_b32 s19, exec_lo
	s_delay_alu instid0(VALU_DEP_2)
	v_cmpx_ne_u32_e32 0x7f, v30
	s_cbranch_execz .LBB367_457
; %bb.454:                              ;   in Loop: Header=BB367_11 Depth=1
	v_and_b32_e32 v8, 7, v32
	v_lshrrev_b32_e32 v33, 3, v30
	v_cmp_gt_u32_e64 s1, 8, v30
	s_delay_alu instid0(VALU_DEP_3) | instskip(NEXT) | instid1(VALU_DEP_2)
	v_dual_mov_b32 v31, v9 :: v_dual_mov_b32 v30, v8
	s_and_saveexec_b32 s20, s1
; %bb.455:                              ;   in Loop: Header=BB367_11 Depth=1
	v_clz_i32_u32_e32 v30, v8
	s_delay_alu instid0(VALU_DEP_1) | instskip(NEXT) | instid1(VALU_DEP_1)
	v_min_u32_e32 v33, 32, v30
	v_subrev_nc_u32_e32 v30, 28, v33
	v_sub_nc_u32_e32 v33, 29, v33
	s_delay_alu instid0(VALU_DEP_2) | instskip(NEXT) | instid1(VALU_DEP_1)
	v_lshlrev_b64 v[30:31], v30, v[8:9]
	v_and_b32_e32 v30, 7, v30
; %bb.456:                              ;   in Loop: Header=BB367_11 Depth=1
	s_or_b32 exec_lo, exec_lo, s20
	v_lshlrev_b32_e32 v8, 8, v32
	v_lshl_add_u32 v31, v33, 10, 0x2000
	s_delay_alu instid0(VALU_DEP_1) | instskip(NEXT) | instid1(VALU_DEP_1)
	v_and_or_b32 v8, 0x8000, v8, v31
	v_lshl_or_b32 v8, v30, 7, v8
	s_delay_alu instid0(VALU_DEP_1)
	v_cvt_f32_f16_e64 v176, v8
.LBB367_457:                            ;   in Loop: Header=BB367_11 Depth=1
	s_or_b32 exec_lo, exec_lo, s19
.LBB367_458:                            ;   in Loop: Header=BB367_11 Depth=1
	s_delay_alu instid0(SALU_CYCLE_1)
	s_or_b32 exec_lo, exec_lo, s18
.LBB367_459:                            ;   in Loop: Header=BB367_11 Depth=1
	s_delay_alu instid0(SALU_CYCLE_1) | instskip(SKIP_4) | instid1(VALU_DEP_1)
	s_or_b32 exec_lo, exec_lo, s17
	flat_load_b64 v[30:31], v[28:29] offset:1544
	s_mov_b32 s17, exec_lo
	s_waitcnt vmcnt(0) lgkmcnt(0)
	v_and_b32_e32 v8, 0xff, v30
	v_cmpx_ne_u16_e32 0, v8
	s_cbranch_execz .LBB367_467
; %bb.460:                              ;   in Loop: Header=BB367_11 Depth=1
	v_bfrev_b32_e32 v177, 1
	s_mov_b32 s18, exec_lo
	v_cmpx_ne_u16_e32 0x80, v8
	s_cbranch_execz .LBB367_466
; %bb.461:                              ;   in Loop: Header=BB367_11 Depth=1
	v_and_b32_e32 v32, 0x7f, v30
	v_mov_b32_e32 v177, 0x7fc02000
	s_mov_b32 s19, exec_lo
	s_delay_alu instid0(VALU_DEP_2)
	v_cmpx_ne_u32_e32 0x7f, v32
	s_cbranch_execz .LBB367_465
; %bb.462:                              ;   in Loop: Header=BB367_11 Depth=1
	v_lshrrev_b32_e32 v8, 3, v32
	v_cmp_gt_u32_e64 s1, 8, v32
	v_dual_mov_b32 v33, v31 :: v_dual_mov_b32 v32, v30
	s_delay_alu instid0(VALU_DEP_2)
	s_and_saveexec_b32 s20, s1
; %bb.463:                              ;   in Loop: Header=BB367_11 Depth=1
	v_and_b32_e32 v8, 7, v30
	s_delay_alu instid0(VALU_DEP_1) | instskip(NEXT) | instid1(VALU_DEP_1)
	v_clz_i32_u32_e32 v8, v8
	v_min_u32_e32 v8, 32, v8
	s_delay_alu instid0(VALU_DEP_1) | instskip(SKIP_1) | instid1(VALU_DEP_2)
	v_subrev_nc_u32_e32 v32, 28, v8
	v_sub_nc_u32_e32 v8, 29, v8
	v_lshlrev_b64 v[32:33], v32, v[30:31]
; %bb.464:                              ;   in Loop: Header=BB367_11 Depth=1
	s_or_b32 exec_lo, exec_lo, s20
	v_lshlrev_b32_e32 v33, 8, v30
	s_delay_alu instid0(VALU_DEP_3) | instskip(NEXT) | instid1(VALU_DEP_3)
	v_lshl_add_u32 v8, v8, 10, 0x2000
	v_lshlrev_b32_e32 v32, 7, v32
	s_delay_alu instid0(VALU_DEP_2) | instskip(NEXT) | instid1(VALU_DEP_1)
	v_and_or_b32 v8, 0x8000, v33, v8
	v_and_or_b32 v8, 0x380, v32, v8
	s_delay_alu instid0(VALU_DEP_1)
	v_cvt_f32_f16_e64 v177, v8
.LBB367_465:                            ;   in Loop: Header=BB367_11 Depth=1
	s_or_b32 exec_lo, exec_lo, s19
.LBB367_466:                            ;   in Loop: Header=BB367_11 Depth=1
	s_delay_alu instid0(SALU_CYCLE_1)
	s_or_b32 exec_lo, exec_lo, s18
.LBB367_467:                            ;   in Loop: Header=BB367_11 Depth=1
	s_delay_alu instid0(SALU_CYCLE_1) | instskip(SKIP_3) | instid1(VALU_DEP_2)
	s_or_b32 exec_lo, exec_lo, s17
	v_lshrrev_b16 v8, 8, v30
	v_dual_mov_b32 v178, 0 :: v_dual_mov_b32 v179, 0
	s_mov_b32 s17, exec_lo
	v_cmpx_ne_u16_e32 0, v8
	s_cbranch_execz .LBB367_475
; %bb.468:                              ;   in Loop: Header=BB367_11 Depth=1
	v_bfrev_b32_e32 v179, 1
	s_mov_b32 s18, exec_lo
	v_cmpx_ne_u16_e32 0x80, v8
	s_cbranch_execz .LBB367_474
; %bb.469:                              ;   in Loop: Header=BB367_11 Depth=1
	v_and_b32_e32 v180, 0xffff, v8
	v_mov_b32_e32 v179, 0x7fc02000
	s_mov_b32 s19, exec_lo
	s_delay_alu instid0(VALU_DEP_2) | instskip(NEXT) | instid1(VALU_DEP_1)
	v_and_b32_e32 v32, 0x7f, v180
	v_cmpx_ne_u32_e32 0x7f, v32
	s_cbranch_execz .LBB367_473
; %bb.470:                              ;   in Loop: Header=BB367_11 Depth=1
	v_and_b32_e32 v8, 7, v180
	v_lshrrev_b32_e32 v179, 3, v32
	v_cmp_gt_u32_e64 s1, 8, v32
	s_delay_alu instid0(VALU_DEP_3) | instskip(NEXT) | instid1(VALU_DEP_2)
	v_dual_mov_b32 v33, v9 :: v_dual_mov_b32 v32, v8
	s_and_saveexec_b32 s20, s1
; %bb.471:                              ;   in Loop: Header=BB367_11 Depth=1
	v_clz_i32_u32_e32 v32, v8
	s_delay_alu instid0(VALU_DEP_1) | instskip(NEXT) | instid1(VALU_DEP_1)
	v_min_u32_e32 v179, 32, v32
	v_subrev_nc_u32_e32 v32, 28, v179
	v_sub_nc_u32_e32 v179, 29, v179
	s_delay_alu instid0(VALU_DEP_2) | instskip(NEXT) | instid1(VALU_DEP_1)
	v_lshlrev_b64 v[32:33], v32, v[8:9]
	v_and_b32_e32 v32, 7, v32
; %bb.472:                              ;   in Loop: Header=BB367_11 Depth=1
	s_or_b32 exec_lo, exec_lo, s20
	v_lshlrev_b32_e32 v8, 8, v180
	v_lshl_add_u32 v33, v179, 10, 0x2000
	s_delay_alu instid0(VALU_DEP_1) | instskip(NEXT) | instid1(VALU_DEP_1)
	v_and_or_b32 v8, 0x8000, v8, v33
	v_lshl_or_b32 v8, v32, 7, v8
	s_delay_alu instid0(VALU_DEP_1)
	v_cvt_f32_f16_e64 v179, v8
.LBB367_473:                            ;   in Loop: Header=BB367_11 Depth=1
	s_or_b32 exec_lo, exec_lo, s19
.LBB367_474:                            ;   in Loop: Header=BB367_11 Depth=1
	s_delay_alu instid0(SALU_CYCLE_1)
	s_or_b32 exec_lo, exec_lo, s18
.LBB367_475:                            ;   in Loop: Header=BB367_11 Depth=1
	s_delay_alu instid0(SALU_CYCLE_1) | instskip(SKIP_2) | instid1(VALU_DEP_1)
	s_or_b32 exec_lo, exec_lo, s17
	v_lshrrev_b32_e32 v180, 16, v30
	s_mov_b32 s17, exec_lo
	v_and_b32_e32 v8, 0xff, v180
	s_delay_alu instid0(VALU_DEP_1)
	v_cmpx_ne_u16_e32 0, v8
	s_cbranch_execz .LBB367_483
; %bb.476:                              ;   in Loop: Header=BB367_11 Depth=1
	v_bfrev_b32_e32 v178, 1
	s_mov_b32 s18, exec_lo
	v_cmpx_ne_u16_e32 0x80, v8
	s_cbranch_execz .LBB367_482
; %bb.477:                              ;   in Loop: Header=BB367_11 Depth=1
	v_bfe_u32 v32, v30, 16, 7
	v_mov_b32_e32 v178, 0x7fc02000
	s_mov_b32 s19, exec_lo
	s_delay_alu instid0(VALU_DEP_2)
	v_cmpx_ne_u32_e32 0x7f, v32
	s_cbranch_execz .LBB367_481
; %bb.478:                              ;   in Loop: Header=BB367_11 Depth=1
	v_and_b32_e32 v8, 7, v180
	v_lshrrev_b32_e32 v178, 3, v32
	v_cmp_gt_u32_e64 s1, 8, v32
	s_delay_alu instid0(VALU_DEP_3) | instskip(NEXT) | instid1(VALU_DEP_2)
	v_dual_mov_b32 v33, v9 :: v_dual_mov_b32 v32, v8
	s_and_saveexec_b32 s20, s1
; %bb.479:                              ;   in Loop: Header=BB367_11 Depth=1
	v_clz_i32_u32_e32 v32, v8
	s_delay_alu instid0(VALU_DEP_1) | instskip(NEXT) | instid1(VALU_DEP_1)
	v_min_u32_e32 v178, 32, v32
	v_subrev_nc_u32_e32 v32, 28, v178
	v_sub_nc_u32_e32 v178, 29, v178
	s_delay_alu instid0(VALU_DEP_2) | instskip(NEXT) | instid1(VALU_DEP_1)
	v_lshlrev_b64 v[32:33], v32, v[8:9]
	v_and_b32_e32 v32, 7, v32
; %bb.480:                              ;   in Loop: Header=BB367_11 Depth=1
	s_or_b32 exec_lo, exec_lo, s20
	v_lshlrev_b32_e32 v8, 8, v180
	v_lshl_add_u32 v33, v178, 10, 0x2000
	s_delay_alu instid0(VALU_DEP_1) | instskip(NEXT) | instid1(VALU_DEP_1)
	v_and_or_b32 v8, 0x8000, v8, v33
	v_lshl_or_b32 v8, v32, 7, v8
	s_delay_alu instid0(VALU_DEP_1)
	v_cvt_f32_f16_e64 v178, v8
.LBB367_481:                            ;   in Loop: Header=BB367_11 Depth=1
	s_or_b32 exec_lo, exec_lo, s19
.LBB367_482:                            ;   in Loop: Header=BB367_11 Depth=1
	s_delay_alu instid0(SALU_CYCLE_1)
	s_or_b32 exec_lo, exec_lo, s18
.LBB367_483:                            ;   in Loop: Header=BB367_11 Depth=1
	s_delay_alu instid0(SALU_CYCLE_1)
	s_or_b32 exec_lo, exec_lo, s17
	v_dual_mov_b32 v180, 0 :: v_dual_mov_b32 v181, 0
	s_mov_b32 s17, exec_lo
	v_cmpx_lt_u32_e32 0xffffff, v30
	s_cbranch_execz .LBB367_491
; %bb.484:                              ;   in Loop: Header=BB367_11 Depth=1
	v_lshrrev_b32_e32 v182, 24, v30
	v_bfrev_b32_e32 v181, 1
	s_mov_b32 s18, exec_lo
	s_delay_alu instid0(VALU_DEP_2)
	v_cmpx_ne_u32_e32 0x80, v182
	s_cbranch_execz .LBB367_490
; %bb.485:                              ;   in Loop: Header=BB367_11 Depth=1
	v_and_b32_e32 v32, 0x7f, v182
	v_mov_b32_e32 v181, 0x7fc02000
	s_mov_b32 s19, exec_lo
	s_delay_alu instid0(VALU_DEP_2)
	v_cmpx_ne_u32_e32 0x7f, v32
	s_cbranch_execz .LBB367_489
; %bb.486:                              ;   in Loop: Header=BB367_11 Depth=1
	v_and_b32_e32 v8, 7, v182
	v_lshrrev_b32_e32 v181, 3, v32
	v_cmp_gt_u32_e64 s1, 8, v32
	s_delay_alu instid0(VALU_DEP_3) | instskip(NEXT) | instid1(VALU_DEP_2)
	v_dual_mov_b32 v33, v9 :: v_dual_mov_b32 v32, v8
	s_and_saveexec_b32 s20, s1
; %bb.487:                              ;   in Loop: Header=BB367_11 Depth=1
	v_clz_i32_u32_e32 v32, v8
	s_delay_alu instid0(VALU_DEP_1) | instskip(NEXT) | instid1(VALU_DEP_1)
	v_min_u32_e32 v181, 32, v32
	v_subrev_nc_u32_e32 v32, 28, v181
	v_sub_nc_u32_e32 v181, 29, v181
	s_delay_alu instid0(VALU_DEP_2) | instskip(NEXT) | instid1(VALU_DEP_1)
	v_lshlrev_b64 v[32:33], v32, v[8:9]
	v_and_b32_e32 v32, 7, v32
; %bb.488:                              ;   in Loop: Header=BB367_11 Depth=1
	s_or_b32 exec_lo, exec_lo, s20
	v_lshlrev_b32_e32 v8, 8, v182
	v_lshl_add_u32 v33, v181, 10, 0x2000
	s_delay_alu instid0(VALU_DEP_1) | instskip(NEXT) | instid1(VALU_DEP_1)
	v_and_or_b32 v8, 0x8000, v8, v33
	v_lshl_or_b32 v8, v32, 7, v8
	s_delay_alu instid0(VALU_DEP_1)
	v_cvt_f32_f16_e64 v181, v8
.LBB367_489:                            ;   in Loop: Header=BB367_11 Depth=1
	s_or_b32 exec_lo, exec_lo, s19
.LBB367_490:                            ;   in Loop: Header=BB367_11 Depth=1
	s_delay_alu instid0(SALU_CYCLE_1)
	s_or_b32 exec_lo, exec_lo, s18
.LBB367_491:                            ;   in Loop: Header=BB367_11 Depth=1
	s_delay_alu instid0(SALU_CYCLE_1) | instskip(SKIP_3) | instid1(VALU_DEP_2)
	s_or_b32 exec_lo, exec_lo, s17
	v_and_b32_e32 v32, 0xff, v31
	v_mov_b32_e32 v8, v31
	s_mov_b32 s17, exec_lo
	v_cmpx_ne_u16_e32 0, v32
	s_cbranch_execz .LBB367_499
; %bb.492:                              ;   in Loop: Header=BB367_11 Depth=1
	v_bfrev_b32_e32 v180, 1
	s_mov_b32 s18, exec_lo
	v_cmpx_ne_u16_e32 0x80, v32
	s_cbranch_execz .LBB367_498
; %bb.493:                              ;   in Loop: Header=BB367_11 Depth=1
	v_and_b32_e32 v32, 0x7f, v31
	v_mov_b32_e32 v180, 0x7fc02000
	s_mov_b32 s19, exec_lo
	s_delay_alu instid0(VALU_DEP_2)
	v_cmpx_ne_u32_e32 0x7f, v32
	s_cbranch_execz .LBB367_497
; %bb.494:                              ;   in Loop: Header=BB367_11 Depth=1
	v_lshrrev_b32_e32 v180, 3, v32
	v_cmp_gt_u32_e64 s1, 8, v32
	v_dual_mov_b32 v33, v9 :: v_dual_mov_b32 v32, v8
	s_delay_alu instid0(VALU_DEP_2)
	s_and_saveexec_b32 s20, s1
; %bb.495:                              ;   in Loop: Header=BB367_11 Depth=1
	v_and_b32_e32 v32, 7, v31
	s_delay_alu instid0(VALU_DEP_1) | instskip(NEXT) | instid1(VALU_DEP_1)
	v_clz_i32_u32_e32 v32, v32
	v_min_u32_e32 v180, 32, v32
	s_delay_alu instid0(VALU_DEP_1) | instskip(SKIP_1) | instid1(VALU_DEP_2)
	v_subrev_nc_u32_e32 v32, 28, v180
	v_sub_nc_u32_e32 v180, 29, v180
	v_lshlrev_b64 v[32:33], v32, v[8:9]
; %bb.496:                              ;   in Loop: Header=BB367_11 Depth=1
	s_or_b32 exec_lo, exec_lo, s20
	v_lshlrev_b32_e32 v33, 8, v31
	s_delay_alu instid0(VALU_DEP_3) | instskip(NEXT) | instid1(VALU_DEP_3)
	v_lshl_add_u32 v180, v180, 10, 0x2000
	v_lshlrev_b32_e32 v32, 7, v32
	s_delay_alu instid0(VALU_DEP_2) | instskip(NEXT) | instid1(VALU_DEP_1)
	v_and_or_b32 v33, 0x8000, v33, v180
	v_and_or_b32 v32, 0x380, v32, v33
	s_delay_alu instid0(VALU_DEP_1)
	v_cvt_f32_f16_e64 v180, v32
.LBB367_497:                            ;   in Loop: Header=BB367_11 Depth=1
	s_or_b32 exec_lo, exec_lo, s19
.LBB367_498:                            ;   in Loop: Header=BB367_11 Depth=1
	s_delay_alu instid0(SALU_CYCLE_1)
	s_or_b32 exec_lo, exec_lo, s18
.LBB367_499:                            ;   in Loop: Header=BB367_11 Depth=1
	s_delay_alu instid0(SALU_CYCLE_1) | instskip(SKIP_3) | instid1(VALU_DEP_2)
	s_or_b32 exec_lo, exec_lo, s17
	v_lshrrev_b16 v8, 8, v8
	v_dual_mov_b32 v182, 0 :: v_dual_mov_b32 v183, 0
	s_mov_b32 s17, exec_lo
	v_cmpx_ne_u16_e32 0, v8
	s_cbranch_execz .LBB367_507
; %bb.500:                              ;   in Loop: Header=BB367_11 Depth=1
	v_bfrev_b32_e32 v183, 1
	s_mov_b32 s18, exec_lo
	v_cmpx_ne_u16_e32 0x80, v8
	s_cbranch_execz .LBB367_506
; %bb.501:                              ;   in Loop: Header=BB367_11 Depth=1
	v_and_b32_e32 v40, 0xffff, v8
	v_mov_b32_e32 v183, 0x7fc02000
	s_mov_b32 s19, exec_lo
	s_delay_alu instid0(VALU_DEP_2) | instskip(NEXT) | instid1(VALU_DEP_1)
	v_and_b32_e32 v32, 0x7f, v40
	v_cmpx_ne_u32_e32 0x7f, v32
	s_cbranch_execz .LBB367_505
; %bb.502:                              ;   in Loop: Header=BB367_11 Depth=1
	v_and_b32_e32 v8, 7, v40
	v_lshrrev_b32_e32 v183, 3, v32
	v_cmp_gt_u32_e64 s1, 8, v32
	s_delay_alu instid0(VALU_DEP_3) | instskip(NEXT) | instid1(VALU_DEP_2)
	v_dual_mov_b32 v33, v9 :: v_dual_mov_b32 v32, v8
	s_and_saveexec_b32 s20, s1
; %bb.503:                              ;   in Loop: Header=BB367_11 Depth=1
	v_clz_i32_u32_e32 v32, v8
	s_delay_alu instid0(VALU_DEP_1) | instskip(NEXT) | instid1(VALU_DEP_1)
	v_min_u32_e32 v183, 32, v32
	v_subrev_nc_u32_e32 v32, 28, v183
	v_sub_nc_u32_e32 v183, 29, v183
	s_delay_alu instid0(VALU_DEP_2) | instskip(NEXT) | instid1(VALU_DEP_1)
	v_lshlrev_b64 v[32:33], v32, v[8:9]
	v_and_b32_e32 v32, 7, v32
; %bb.504:                              ;   in Loop: Header=BB367_11 Depth=1
	s_or_b32 exec_lo, exec_lo, s20
	v_lshlrev_b32_e32 v8, 8, v40
	v_lshl_add_u32 v33, v183, 10, 0x2000
	s_delay_alu instid0(VALU_DEP_1) | instskip(NEXT) | instid1(VALU_DEP_1)
	v_and_or_b32 v8, 0x8000, v8, v33
	v_lshl_or_b32 v8, v32, 7, v8
	s_delay_alu instid0(VALU_DEP_1)
	v_cvt_f32_f16_e64 v183, v8
.LBB367_505:                            ;   in Loop: Header=BB367_11 Depth=1
	s_or_b32 exec_lo, exec_lo, s19
.LBB367_506:                            ;   in Loop: Header=BB367_11 Depth=1
	s_delay_alu instid0(SALU_CYCLE_1)
	s_or_b32 exec_lo, exec_lo, s18
.LBB367_507:                            ;   in Loop: Header=BB367_11 Depth=1
	s_delay_alu instid0(SALU_CYCLE_1) | instskip(SKIP_2) | instid1(VALU_DEP_1)
	s_or_b32 exec_lo, exec_lo, s17
	v_lshrrev_b32_e32 v40, 16, v31
	s_mov_b32 s17, exec_lo
	v_and_b32_e32 v8, 0xff, v40
	s_delay_alu instid0(VALU_DEP_1)
	v_cmpx_ne_u16_e32 0, v8
	s_cbranch_execz .LBB367_515
; %bb.508:                              ;   in Loop: Header=BB367_11 Depth=1
	v_bfrev_b32_e32 v182, 1
	s_mov_b32 s18, exec_lo
	v_cmpx_ne_u16_e32 0x80, v8
	s_cbranch_execz .LBB367_514
; %bb.509:                              ;   in Loop: Header=BB367_11 Depth=1
	v_bfe_u32 v32, v31, 16, 7
	v_mov_b32_e32 v182, 0x7fc02000
	s_mov_b32 s19, exec_lo
	s_delay_alu instid0(VALU_DEP_2)
	v_cmpx_ne_u32_e32 0x7f, v32
	s_cbranch_execz .LBB367_513
; %bb.510:                              ;   in Loop: Header=BB367_11 Depth=1
	v_and_b32_e32 v8, 7, v40
	v_lshrrev_b32_e32 v182, 3, v32
	v_cmp_gt_u32_e64 s1, 8, v32
	s_delay_alu instid0(VALU_DEP_3) | instskip(NEXT) | instid1(VALU_DEP_2)
	v_dual_mov_b32 v33, v9 :: v_dual_mov_b32 v32, v8
	s_and_saveexec_b32 s20, s1
; %bb.511:                              ;   in Loop: Header=BB367_11 Depth=1
	v_clz_i32_u32_e32 v32, v8
	s_delay_alu instid0(VALU_DEP_1) | instskip(NEXT) | instid1(VALU_DEP_1)
	v_min_u32_e32 v182, 32, v32
	v_subrev_nc_u32_e32 v32, 28, v182
	v_sub_nc_u32_e32 v182, 29, v182
	s_delay_alu instid0(VALU_DEP_2) | instskip(NEXT) | instid1(VALU_DEP_1)
	v_lshlrev_b64 v[32:33], v32, v[8:9]
	v_and_b32_e32 v32, 7, v32
; %bb.512:                              ;   in Loop: Header=BB367_11 Depth=1
	s_or_b32 exec_lo, exec_lo, s20
	v_lshlrev_b32_e32 v8, 8, v40
	v_lshl_add_u32 v33, v182, 10, 0x2000
	s_delay_alu instid0(VALU_DEP_1) | instskip(NEXT) | instid1(VALU_DEP_1)
	v_and_or_b32 v8, 0x8000, v8, v33
	v_lshl_or_b32 v8, v32, 7, v8
	s_delay_alu instid0(VALU_DEP_1)
	v_cvt_f32_f16_e64 v182, v8
.LBB367_513:                            ;   in Loop: Header=BB367_11 Depth=1
	s_or_b32 exec_lo, exec_lo, s19
.LBB367_514:                            ;   in Loop: Header=BB367_11 Depth=1
	s_delay_alu instid0(SALU_CYCLE_1)
	s_or_b32 exec_lo, exec_lo, s18
.LBB367_515:                            ;   in Loop: Header=BB367_11 Depth=1
	s_delay_alu instid0(SALU_CYCLE_1)
	s_or_b32 exec_lo, exec_lo, s17
	v_dual_mov_b32 v41, 0 :: v_dual_mov_b32 v40, 0
	s_mov_b32 s17, exec_lo
	v_cmpx_lt_u64_e64 s[2:3], v[30:31]
	s_cbranch_execz .LBB367_523
; %bb.516:                              ;   in Loop: Header=BB367_11 Depth=1
	v_lshrrev_b32_e32 v32, 24, v31
	v_bfrev_b32_e32 v40, 1
	s_mov_b32 s18, exec_lo
	s_delay_alu instid0(VALU_DEP_2)
	v_cmpx_ne_u32_e32 0x80, v32
	s_cbranch_execz .LBB367_522
; %bb.517:                              ;   in Loop: Header=BB367_11 Depth=1
	v_and_b32_e32 v30, 0x7f, v32
	v_mov_b32_e32 v40, 0x7fc02000
	s_mov_b32 s19, exec_lo
	s_delay_alu instid0(VALU_DEP_2)
	v_cmpx_ne_u32_e32 0x7f, v30
	s_cbranch_execz .LBB367_521
; %bb.518:                              ;   in Loop: Header=BB367_11 Depth=1
	v_and_b32_e32 v8, 7, v32
	v_lshrrev_b32_e32 v33, 3, v30
	v_cmp_gt_u32_e64 s1, 8, v30
	s_delay_alu instid0(VALU_DEP_3) | instskip(NEXT) | instid1(VALU_DEP_2)
	v_dual_mov_b32 v31, v9 :: v_dual_mov_b32 v30, v8
	s_and_saveexec_b32 s20, s1
; %bb.519:                              ;   in Loop: Header=BB367_11 Depth=1
	v_clz_i32_u32_e32 v30, v8
	s_delay_alu instid0(VALU_DEP_1) | instskip(NEXT) | instid1(VALU_DEP_1)
	v_min_u32_e32 v33, 32, v30
	v_subrev_nc_u32_e32 v30, 28, v33
	v_sub_nc_u32_e32 v33, 29, v33
	s_delay_alu instid0(VALU_DEP_2) | instskip(NEXT) | instid1(VALU_DEP_1)
	v_lshlrev_b64 v[30:31], v30, v[8:9]
	v_and_b32_e32 v30, 7, v30
; %bb.520:                              ;   in Loop: Header=BB367_11 Depth=1
	s_or_b32 exec_lo, exec_lo, s20
	v_lshlrev_b32_e32 v8, 8, v32
	v_lshl_add_u32 v31, v33, 10, 0x2000
	s_delay_alu instid0(VALU_DEP_1) | instskip(NEXT) | instid1(VALU_DEP_1)
	v_and_or_b32 v8, 0x8000, v8, v31
	v_lshl_or_b32 v8, v30, 7, v8
	s_delay_alu instid0(VALU_DEP_1)
	v_cvt_f32_f16_e32 v40, v8
.LBB367_521:                            ;   in Loop: Header=BB367_11 Depth=1
	s_or_b32 exec_lo, exec_lo, s19
.LBB367_522:                            ;   in Loop: Header=BB367_11 Depth=1
	s_delay_alu instid0(SALU_CYCLE_1)
	s_or_b32 exec_lo, exec_lo, s18
.LBB367_523:                            ;   in Loop: Header=BB367_11 Depth=1
	s_delay_alu instid0(SALU_CYCLE_1) | instskip(SKIP_4) | instid1(VALU_DEP_1)
	s_or_b32 exec_lo, exec_lo, s17
	flat_load_b64 v[30:31], v[28:29] offset:2048
	s_mov_b32 s17, exec_lo
	s_waitcnt vmcnt(0) lgkmcnt(0)
	v_and_b32_e32 v8, 0xff, v30
	v_cmpx_ne_u16_e32 0, v8
	s_cbranch_execz .LBB367_531
; %bb.524:                              ;   in Loop: Header=BB367_11 Depth=1
	v_bfrev_b32_e32 v41, 1
	s_mov_b32 s18, exec_lo
	v_cmpx_ne_u16_e32 0x80, v8
	s_cbranch_execz .LBB367_530
; %bb.525:                              ;   in Loop: Header=BB367_11 Depth=1
	v_and_b32_e32 v32, 0x7f, v30
	v_mov_b32_e32 v41, 0x7fc02000
	s_mov_b32 s19, exec_lo
	s_delay_alu instid0(VALU_DEP_2)
	v_cmpx_ne_u32_e32 0x7f, v32
	s_cbranch_execz .LBB367_529
; %bb.526:                              ;   in Loop: Header=BB367_11 Depth=1
	v_lshrrev_b32_e32 v8, 3, v32
	v_cmp_gt_u32_e64 s1, 8, v32
	v_dual_mov_b32 v33, v31 :: v_dual_mov_b32 v32, v30
	s_delay_alu instid0(VALU_DEP_2)
	s_and_saveexec_b32 s20, s1
; %bb.527:                              ;   in Loop: Header=BB367_11 Depth=1
	v_and_b32_e32 v8, 7, v30
	s_delay_alu instid0(VALU_DEP_1) | instskip(NEXT) | instid1(VALU_DEP_1)
	v_clz_i32_u32_e32 v8, v8
	v_min_u32_e32 v8, 32, v8
	s_delay_alu instid0(VALU_DEP_1) | instskip(SKIP_1) | instid1(VALU_DEP_2)
	v_subrev_nc_u32_e32 v32, 28, v8
	v_sub_nc_u32_e32 v8, 29, v8
	v_lshlrev_b64 v[32:33], v32, v[30:31]
; %bb.528:                              ;   in Loop: Header=BB367_11 Depth=1
	s_or_b32 exec_lo, exec_lo, s20
	v_lshlrev_b32_e32 v33, 8, v30
	s_delay_alu instid0(VALU_DEP_3) | instskip(NEXT) | instid1(VALU_DEP_3)
	v_lshl_add_u32 v8, v8, 10, 0x2000
	v_lshlrev_b32_e32 v32, 7, v32
	s_delay_alu instid0(VALU_DEP_2) | instskip(NEXT) | instid1(VALU_DEP_1)
	v_and_or_b32 v8, 0x8000, v33, v8
	v_and_or_b32 v8, 0x380, v32, v8
	s_delay_alu instid0(VALU_DEP_1)
	v_cvt_f32_f16_e32 v41, v8
.LBB367_529:                            ;   in Loop: Header=BB367_11 Depth=1
	s_or_b32 exec_lo, exec_lo, s19
.LBB367_530:                            ;   in Loop: Header=BB367_11 Depth=1
	s_delay_alu instid0(SALU_CYCLE_1)
	s_or_b32 exec_lo, exec_lo, s18
.LBB367_531:                            ;   in Loop: Header=BB367_11 Depth=1
	s_delay_alu instid0(SALU_CYCLE_1) | instskip(SKIP_3) | instid1(VALU_DEP_2)
	s_or_b32 exec_lo, exec_lo, s17
	v_lshrrev_b16 v8, 8, v30
	v_dual_mov_b32 v42, 0 :: v_dual_mov_b32 v43, 0
	s_mov_b32 s17, exec_lo
	v_cmpx_ne_u16_e32 0, v8
	s_cbranch_execz .LBB367_539
; %bb.532:                              ;   in Loop: Header=BB367_11 Depth=1
	v_bfrev_b32_e32 v43, 1
	s_mov_b32 s18, exec_lo
	v_cmpx_ne_u16_e32 0x80, v8
	s_cbranch_execz .LBB367_538
; %bb.533:                              ;   in Loop: Header=BB367_11 Depth=1
	v_and_b32_e32 v44, 0xffff, v8
	v_mov_b32_e32 v43, 0x7fc02000
	s_mov_b32 s19, exec_lo
	s_delay_alu instid0(VALU_DEP_2) | instskip(NEXT) | instid1(VALU_DEP_1)
	v_and_b32_e32 v32, 0x7f, v44
	v_cmpx_ne_u32_e32 0x7f, v32
	s_cbranch_execz .LBB367_537
; %bb.534:                              ;   in Loop: Header=BB367_11 Depth=1
	v_and_b32_e32 v8, 7, v44
	v_lshrrev_b32_e32 v43, 3, v32
	v_cmp_gt_u32_e64 s1, 8, v32
	s_delay_alu instid0(VALU_DEP_3) | instskip(NEXT) | instid1(VALU_DEP_2)
	v_dual_mov_b32 v33, v9 :: v_dual_mov_b32 v32, v8
	s_and_saveexec_b32 s20, s1
; %bb.535:                              ;   in Loop: Header=BB367_11 Depth=1
	v_clz_i32_u32_e32 v32, v8
	s_delay_alu instid0(VALU_DEP_1) | instskip(NEXT) | instid1(VALU_DEP_1)
	v_min_u32_e32 v43, 32, v32
	v_subrev_nc_u32_e32 v32, 28, v43
	v_sub_nc_u32_e32 v43, 29, v43
	s_delay_alu instid0(VALU_DEP_2) | instskip(NEXT) | instid1(VALU_DEP_1)
	v_lshlrev_b64 v[32:33], v32, v[8:9]
	v_and_b32_e32 v32, 7, v32
; %bb.536:                              ;   in Loop: Header=BB367_11 Depth=1
	s_or_b32 exec_lo, exec_lo, s20
	v_lshlrev_b32_e32 v8, 8, v44
	v_lshl_add_u32 v33, v43, 10, 0x2000
	s_delay_alu instid0(VALU_DEP_1) | instskip(NEXT) | instid1(VALU_DEP_1)
	v_and_or_b32 v8, 0x8000, v8, v33
	v_lshl_or_b32 v8, v32, 7, v8
	s_delay_alu instid0(VALU_DEP_1)
	v_cvt_f32_f16_e32 v43, v8
.LBB367_537:                            ;   in Loop: Header=BB367_11 Depth=1
	s_or_b32 exec_lo, exec_lo, s19
.LBB367_538:                            ;   in Loop: Header=BB367_11 Depth=1
	s_delay_alu instid0(SALU_CYCLE_1)
	s_or_b32 exec_lo, exec_lo, s18
.LBB367_539:                            ;   in Loop: Header=BB367_11 Depth=1
	s_delay_alu instid0(SALU_CYCLE_1) | instskip(SKIP_2) | instid1(VALU_DEP_1)
	s_or_b32 exec_lo, exec_lo, s17
	v_lshrrev_b32_e32 v44, 16, v30
	s_mov_b32 s17, exec_lo
	v_and_b32_e32 v8, 0xff, v44
	s_delay_alu instid0(VALU_DEP_1)
	v_cmpx_ne_u16_e32 0, v8
	s_cbranch_execz .LBB367_547
; %bb.540:                              ;   in Loop: Header=BB367_11 Depth=1
	v_bfrev_b32_e32 v42, 1
	s_mov_b32 s18, exec_lo
	v_cmpx_ne_u16_e32 0x80, v8
	s_cbranch_execz .LBB367_546
; %bb.541:                              ;   in Loop: Header=BB367_11 Depth=1
	v_bfe_u32 v32, v30, 16, 7
	v_mov_b32_e32 v42, 0x7fc02000
	s_mov_b32 s19, exec_lo
	s_delay_alu instid0(VALU_DEP_2)
	v_cmpx_ne_u32_e32 0x7f, v32
	s_cbranch_execz .LBB367_545
; %bb.542:                              ;   in Loop: Header=BB367_11 Depth=1
	v_and_b32_e32 v8, 7, v44
	v_lshrrev_b32_e32 v42, 3, v32
	v_cmp_gt_u32_e64 s1, 8, v32
	s_delay_alu instid0(VALU_DEP_3) | instskip(NEXT) | instid1(VALU_DEP_2)
	v_dual_mov_b32 v33, v9 :: v_dual_mov_b32 v32, v8
	s_and_saveexec_b32 s20, s1
; %bb.543:                              ;   in Loop: Header=BB367_11 Depth=1
	v_clz_i32_u32_e32 v32, v8
	s_delay_alu instid0(VALU_DEP_1) | instskip(NEXT) | instid1(VALU_DEP_1)
	v_min_u32_e32 v42, 32, v32
	v_subrev_nc_u32_e32 v32, 28, v42
	v_sub_nc_u32_e32 v42, 29, v42
	s_delay_alu instid0(VALU_DEP_2) | instskip(NEXT) | instid1(VALU_DEP_1)
	v_lshlrev_b64 v[32:33], v32, v[8:9]
	v_and_b32_e32 v32, 7, v32
; %bb.544:                              ;   in Loop: Header=BB367_11 Depth=1
	s_or_b32 exec_lo, exec_lo, s20
	v_lshlrev_b32_e32 v8, 8, v44
	v_lshl_add_u32 v33, v42, 10, 0x2000
	s_delay_alu instid0(VALU_DEP_1) | instskip(NEXT) | instid1(VALU_DEP_1)
	v_and_or_b32 v8, 0x8000, v8, v33
	v_lshl_or_b32 v8, v32, 7, v8
	s_delay_alu instid0(VALU_DEP_1)
	v_cvt_f32_f16_e32 v42, v8
.LBB367_545:                            ;   in Loop: Header=BB367_11 Depth=1
	s_or_b32 exec_lo, exec_lo, s19
.LBB367_546:                            ;   in Loop: Header=BB367_11 Depth=1
	s_delay_alu instid0(SALU_CYCLE_1)
	s_or_b32 exec_lo, exec_lo, s18
.LBB367_547:                            ;   in Loop: Header=BB367_11 Depth=1
	s_delay_alu instid0(SALU_CYCLE_1)
	s_or_b32 exec_lo, exec_lo, s17
	v_dual_mov_b32 v44, 0 :: v_dual_mov_b32 v45, 0
	s_mov_b32 s17, exec_lo
	v_cmpx_lt_u32_e32 0xffffff, v30
	s_cbranch_execz .LBB367_555
; %bb.548:                              ;   in Loop: Header=BB367_11 Depth=1
	v_lshrrev_b32_e32 v46, 24, v30
	v_bfrev_b32_e32 v45, 1
	s_mov_b32 s18, exec_lo
	s_delay_alu instid0(VALU_DEP_2)
	v_cmpx_ne_u32_e32 0x80, v46
	s_cbranch_execz .LBB367_554
; %bb.549:                              ;   in Loop: Header=BB367_11 Depth=1
	v_and_b32_e32 v32, 0x7f, v46
	v_mov_b32_e32 v45, 0x7fc02000
	s_mov_b32 s19, exec_lo
	s_delay_alu instid0(VALU_DEP_2)
	v_cmpx_ne_u32_e32 0x7f, v32
	s_cbranch_execz .LBB367_553
; %bb.550:                              ;   in Loop: Header=BB367_11 Depth=1
	v_and_b32_e32 v8, 7, v46
	v_lshrrev_b32_e32 v45, 3, v32
	v_cmp_gt_u32_e64 s1, 8, v32
	s_delay_alu instid0(VALU_DEP_3) | instskip(NEXT) | instid1(VALU_DEP_2)
	v_dual_mov_b32 v33, v9 :: v_dual_mov_b32 v32, v8
	s_and_saveexec_b32 s20, s1
; %bb.551:                              ;   in Loop: Header=BB367_11 Depth=1
	v_clz_i32_u32_e32 v32, v8
	s_delay_alu instid0(VALU_DEP_1) | instskip(NEXT) | instid1(VALU_DEP_1)
	v_min_u32_e32 v45, 32, v32
	v_subrev_nc_u32_e32 v32, 28, v45
	v_sub_nc_u32_e32 v45, 29, v45
	s_delay_alu instid0(VALU_DEP_2) | instskip(NEXT) | instid1(VALU_DEP_1)
	v_lshlrev_b64 v[32:33], v32, v[8:9]
	v_and_b32_e32 v32, 7, v32
; %bb.552:                              ;   in Loop: Header=BB367_11 Depth=1
	s_or_b32 exec_lo, exec_lo, s20
	v_lshlrev_b32_e32 v8, 8, v46
	v_lshl_add_u32 v33, v45, 10, 0x2000
	s_delay_alu instid0(VALU_DEP_1) | instskip(NEXT) | instid1(VALU_DEP_1)
	v_and_or_b32 v8, 0x8000, v8, v33
	v_lshl_or_b32 v8, v32, 7, v8
	s_delay_alu instid0(VALU_DEP_1)
	v_cvt_f32_f16_e32 v45, v8
.LBB367_553:                            ;   in Loop: Header=BB367_11 Depth=1
	s_or_b32 exec_lo, exec_lo, s19
.LBB367_554:                            ;   in Loop: Header=BB367_11 Depth=1
	s_delay_alu instid0(SALU_CYCLE_1)
	s_or_b32 exec_lo, exec_lo, s18
.LBB367_555:                            ;   in Loop: Header=BB367_11 Depth=1
	s_delay_alu instid0(SALU_CYCLE_1) | instskip(SKIP_3) | instid1(VALU_DEP_2)
	s_or_b32 exec_lo, exec_lo, s17
	v_and_b32_e32 v32, 0xff, v31
	v_mov_b32_e32 v8, v31
	s_mov_b32 s17, exec_lo
	v_cmpx_ne_u16_e32 0, v32
	s_cbranch_execz .LBB367_563
; %bb.556:                              ;   in Loop: Header=BB367_11 Depth=1
	v_bfrev_b32_e32 v44, 1
	s_mov_b32 s18, exec_lo
	v_cmpx_ne_u16_e32 0x80, v32
	s_cbranch_execz .LBB367_562
; %bb.557:                              ;   in Loop: Header=BB367_11 Depth=1
	v_and_b32_e32 v32, 0x7f, v31
	v_mov_b32_e32 v44, 0x7fc02000
	s_mov_b32 s19, exec_lo
	s_delay_alu instid0(VALU_DEP_2)
	v_cmpx_ne_u32_e32 0x7f, v32
	s_cbranch_execz .LBB367_561
; %bb.558:                              ;   in Loop: Header=BB367_11 Depth=1
	v_lshrrev_b32_e32 v44, 3, v32
	v_cmp_gt_u32_e64 s1, 8, v32
	v_dual_mov_b32 v33, v9 :: v_dual_mov_b32 v32, v8
	s_delay_alu instid0(VALU_DEP_2)
	s_and_saveexec_b32 s20, s1
; %bb.559:                              ;   in Loop: Header=BB367_11 Depth=1
	v_and_b32_e32 v32, 7, v31
	s_delay_alu instid0(VALU_DEP_1) | instskip(NEXT) | instid1(VALU_DEP_1)
	v_clz_i32_u32_e32 v32, v32
	v_min_u32_e32 v44, 32, v32
	s_delay_alu instid0(VALU_DEP_1) | instskip(SKIP_1) | instid1(VALU_DEP_2)
	v_subrev_nc_u32_e32 v32, 28, v44
	v_sub_nc_u32_e32 v44, 29, v44
	v_lshlrev_b64 v[32:33], v32, v[8:9]
; %bb.560:                              ;   in Loop: Header=BB367_11 Depth=1
	s_or_b32 exec_lo, exec_lo, s20
	v_lshlrev_b32_e32 v33, 8, v31
	s_delay_alu instid0(VALU_DEP_3) | instskip(NEXT) | instid1(VALU_DEP_3)
	v_lshl_add_u32 v44, v44, 10, 0x2000
	v_lshlrev_b32_e32 v32, 7, v32
	s_delay_alu instid0(VALU_DEP_2) | instskip(NEXT) | instid1(VALU_DEP_1)
	v_and_or_b32 v33, 0x8000, v33, v44
	v_and_or_b32 v32, 0x380, v32, v33
	s_delay_alu instid0(VALU_DEP_1)
	v_cvt_f32_f16_e32 v44, v32
.LBB367_561:                            ;   in Loop: Header=BB367_11 Depth=1
	s_or_b32 exec_lo, exec_lo, s19
.LBB367_562:                            ;   in Loop: Header=BB367_11 Depth=1
	s_delay_alu instid0(SALU_CYCLE_1)
	s_or_b32 exec_lo, exec_lo, s18
.LBB367_563:                            ;   in Loop: Header=BB367_11 Depth=1
	s_delay_alu instid0(SALU_CYCLE_1) | instskip(SKIP_3) | instid1(VALU_DEP_2)
	s_or_b32 exec_lo, exec_lo, s17
	v_lshrrev_b16 v8, 8, v8
	v_dual_mov_b32 v46, 0 :: v_dual_mov_b32 v47, 0
	s_mov_b32 s17, exec_lo
	v_cmpx_ne_u16_e32 0, v8
	s_cbranch_execz .LBB367_571
; %bb.564:                              ;   in Loop: Header=BB367_11 Depth=1
	v_bfrev_b32_e32 v47, 1
	s_mov_b32 s18, exec_lo
	v_cmpx_ne_u16_e32 0x80, v8
	s_cbranch_execz .LBB367_570
; %bb.565:                              ;   in Loop: Header=BB367_11 Depth=1
	v_and_b32_e32 v56, 0xffff, v8
	v_mov_b32_e32 v47, 0x7fc02000
	s_mov_b32 s19, exec_lo
	s_delay_alu instid0(VALU_DEP_2) | instskip(NEXT) | instid1(VALU_DEP_1)
	v_and_b32_e32 v32, 0x7f, v56
	v_cmpx_ne_u32_e32 0x7f, v32
	s_cbranch_execz .LBB367_569
; %bb.566:                              ;   in Loop: Header=BB367_11 Depth=1
	v_and_b32_e32 v8, 7, v56
	v_lshrrev_b32_e32 v47, 3, v32
	v_cmp_gt_u32_e64 s1, 8, v32
	s_delay_alu instid0(VALU_DEP_3) | instskip(NEXT) | instid1(VALU_DEP_2)
	v_dual_mov_b32 v33, v9 :: v_dual_mov_b32 v32, v8
	s_and_saveexec_b32 s20, s1
; %bb.567:                              ;   in Loop: Header=BB367_11 Depth=1
	v_clz_i32_u32_e32 v32, v8
	s_delay_alu instid0(VALU_DEP_1) | instskip(NEXT) | instid1(VALU_DEP_1)
	v_min_u32_e32 v47, 32, v32
	v_subrev_nc_u32_e32 v32, 28, v47
	v_sub_nc_u32_e32 v47, 29, v47
	s_delay_alu instid0(VALU_DEP_2) | instskip(NEXT) | instid1(VALU_DEP_1)
	v_lshlrev_b64 v[32:33], v32, v[8:9]
	v_and_b32_e32 v32, 7, v32
; %bb.568:                              ;   in Loop: Header=BB367_11 Depth=1
	s_or_b32 exec_lo, exec_lo, s20
	v_lshlrev_b32_e32 v8, 8, v56
	v_lshl_add_u32 v33, v47, 10, 0x2000
	s_delay_alu instid0(VALU_DEP_1) | instskip(NEXT) | instid1(VALU_DEP_1)
	v_and_or_b32 v8, 0x8000, v8, v33
	v_lshl_or_b32 v8, v32, 7, v8
	s_delay_alu instid0(VALU_DEP_1)
	v_cvt_f32_f16_e32 v47, v8
.LBB367_569:                            ;   in Loop: Header=BB367_11 Depth=1
	s_or_b32 exec_lo, exec_lo, s19
.LBB367_570:                            ;   in Loop: Header=BB367_11 Depth=1
	s_delay_alu instid0(SALU_CYCLE_1)
	s_or_b32 exec_lo, exec_lo, s18
.LBB367_571:                            ;   in Loop: Header=BB367_11 Depth=1
	s_delay_alu instid0(SALU_CYCLE_1) | instskip(SKIP_2) | instid1(VALU_DEP_1)
	s_or_b32 exec_lo, exec_lo, s17
	v_lshrrev_b32_e32 v56, 16, v31
	s_mov_b32 s17, exec_lo
	v_and_b32_e32 v8, 0xff, v56
	s_delay_alu instid0(VALU_DEP_1)
	v_cmpx_ne_u16_e32 0, v8
	s_cbranch_execz .LBB367_579
; %bb.572:                              ;   in Loop: Header=BB367_11 Depth=1
	v_bfrev_b32_e32 v46, 1
	s_mov_b32 s18, exec_lo
	v_cmpx_ne_u16_e32 0x80, v8
	s_cbranch_execz .LBB367_578
; %bb.573:                              ;   in Loop: Header=BB367_11 Depth=1
	v_bfe_u32 v32, v31, 16, 7
	v_mov_b32_e32 v46, 0x7fc02000
	s_mov_b32 s19, exec_lo
	s_delay_alu instid0(VALU_DEP_2)
	v_cmpx_ne_u32_e32 0x7f, v32
	s_cbranch_execz .LBB367_577
; %bb.574:                              ;   in Loop: Header=BB367_11 Depth=1
	v_and_b32_e32 v8, 7, v56
	v_lshrrev_b32_e32 v46, 3, v32
	v_cmp_gt_u32_e64 s1, 8, v32
	s_delay_alu instid0(VALU_DEP_3) | instskip(NEXT) | instid1(VALU_DEP_2)
	v_dual_mov_b32 v33, v9 :: v_dual_mov_b32 v32, v8
	s_and_saveexec_b32 s20, s1
; %bb.575:                              ;   in Loop: Header=BB367_11 Depth=1
	v_clz_i32_u32_e32 v32, v8
	s_delay_alu instid0(VALU_DEP_1) | instskip(NEXT) | instid1(VALU_DEP_1)
	v_min_u32_e32 v46, 32, v32
	v_subrev_nc_u32_e32 v32, 28, v46
	v_sub_nc_u32_e32 v46, 29, v46
	s_delay_alu instid0(VALU_DEP_2) | instskip(NEXT) | instid1(VALU_DEP_1)
	v_lshlrev_b64 v[32:33], v32, v[8:9]
	v_and_b32_e32 v32, 7, v32
; %bb.576:                              ;   in Loop: Header=BB367_11 Depth=1
	s_or_b32 exec_lo, exec_lo, s20
	v_lshlrev_b32_e32 v8, 8, v56
	v_lshl_add_u32 v33, v46, 10, 0x2000
	s_delay_alu instid0(VALU_DEP_1) | instskip(NEXT) | instid1(VALU_DEP_1)
	v_and_or_b32 v8, 0x8000, v8, v33
	v_lshl_or_b32 v8, v32, 7, v8
	s_delay_alu instid0(VALU_DEP_1)
	v_cvt_f32_f16_e32 v46, v8
.LBB367_577:                            ;   in Loop: Header=BB367_11 Depth=1
	s_or_b32 exec_lo, exec_lo, s19
.LBB367_578:                            ;   in Loop: Header=BB367_11 Depth=1
	s_delay_alu instid0(SALU_CYCLE_1)
	s_or_b32 exec_lo, exec_lo, s18
.LBB367_579:                            ;   in Loop: Header=BB367_11 Depth=1
	s_delay_alu instid0(SALU_CYCLE_1)
	s_or_b32 exec_lo, exec_lo, s17
	v_dual_mov_b32 v57, 0 :: v_dual_mov_b32 v56, 0
	s_mov_b32 s17, exec_lo
	v_cmpx_lt_u64_e64 s[2:3], v[30:31]
	s_cbranch_execz .LBB367_587
; %bb.580:                              ;   in Loop: Header=BB367_11 Depth=1
	v_lshrrev_b32_e32 v32, 24, v31
	v_bfrev_b32_e32 v56, 1
	s_mov_b32 s18, exec_lo
	s_delay_alu instid0(VALU_DEP_2)
	v_cmpx_ne_u32_e32 0x80, v32
	s_cbranch_execz .LBB367_586
; %bb.581:                              ;   in Loop: Header=BB367_11 Depth=1
	v_and_b32_e32 v30, 0x7f, v32
	v_mov_b32_e32 v56, 0x7fc02000
	s_mov_b32 s19, exec_lo
	s_delay_alu instid0(VALU_DEP_2)
	v_cmpx_ne_u32_e32 0x7f, v30
	s_cbranch_execz .LBB367_585
; %bb.582:                              ;   in Loop: Header=BB367_11 Depth=1
	v_and_b32_e32 v8, 7, v32
	v_lshrrev_b32_e32 v33, 3, v30
	v_cmp_gt_u32_e64 s1, 8, v30
	s_delay_alu instid0(VALU_DEP_3) | instskip(NEXT) | instid1(VALU_DEP_2)
	v_dual_mov_b32 v31, v9 :: v_dual_mov_b32 v30, v8
	s_and_saveexec_b32 s20, s1
; %bb.583:                              ;   in Loop: Header=BB367_11 Depth=1
	v_clz_i32_u32_e32 v30, v8
	s_delay_alu instid0(VALU_DEP_1) | instskip(NEXT) | instid1(VALU_DEP_1)
	v_min_u32_e32 v33, 32, v30
	v_subrev_nc_u32_e32 v30, 28, v33
	v_sub_nc_u32_e32 v33, 29, v33
	s_delay_alu instid0(VALU_DEP_2) | instskip(NEXT) | instid1(VALU_DEP_1)
	v_lshlrev_b64 v[30:31], v30, v[8:9]
	v_and_b32_e32 v30, 7, v30
; %bb.584:                              ;   in Loop: Header=BB367_11 Depth=1
	s_or_b32 exec_lo, exec_lo, s20
	v_lshlrev_b32_e32 v8, 8, v32
	v_lshl_add_u32 v31, v33, 10, 0x2000
	s_delay_alu instid0(VALU_DEP_1) | instskip(NEXT) | instid1(VALU_DEP_1)
	v_and_or_b32 v8, 0x8000, v8, v31
	v_lshl_or_b32 v8, v30, 7, v8
	s_delay_alu instid0(VALU_DEP_1)
	v_cvt_f32_f16_e32 v56, v8
.LBB367_585:                            ;   in Loop: Header=BB367_11 Depth=1
	s_or_b32 exec_lo, exec_lo, s19
.LBB367_586:                            ;   in Loop: Header=BB367_11 Depth=1
	s_delay_alu instid0(SALU_CYCLE_1)
	s_or_b32 exec_lo, exec_lo, s18
.LBB367_587:                            ;   in Loop: Header=BB367_11 Depth=1
	s_delay_alu instid0(SALU_CYCLE_1) | instskip(SKIP_4) | instid1(VALU_DEP_1)
	s_or_b32 exec_lo, exec_lo, s17
	flat_load_b64 v[30:31], v[28:29] offset:2056
	s_mov_b32 s17, exec_lo
	s_waitcnt vmcnt(0) lgkmcnt(0)
	v_and_b32_e32 v8, 0xff, v30
	v_cmpx_ne_u16_e32 0, v8
	s_cbranch_execz .LBB367_595
; %bb.588:                              ;   in Loop: Header=BB367_11 Depth=1
	v_bfrev_b32_e32 v57, 1
	s_mov_b32 s18, exec_lo
	v_cmpx_ne_u16_e32 0x80, v8
	s_cbranch_execz .LBB367_594
; %bb.589:                              ;   in Loop: Header=BB367_11 Depth=1
	v_and_b32_e32 v32, 0x7f, v30
	v_mov_b32_e32 v57, 0x7fc02000
	s_mov_b32 s19, exec_lo
	s_delay_alu instid0(VALU_DEP_2)
	v_cmpx_ne_u32_e32 0x7f, v32
	s_cbranch_execz .LBB367_593
; %bb.590:                              ;   in Loop: Header=BB367_11 Depth=1
	v_lshrrev_b32_e32 v8, 3, v32
	v_cmp_gt_u32_e64 s1, 8, v32
	v_dual_mov_b32 v33, v31 :: v_dual_mov_b32 v32, v30
	s_delay_alu instid0(VALU_DEP_2)
	s_and_saveexec_b32 s20, s1
; %bb.591:                              ;   in Loop: Header=BB367_11 Depth=1
	v_and_b32_e32 v8, 7, v30
	s_delay_alu instid0(VALU_DEP_1) | instskip(NEXT) | instid1(VALU_DEP_1)
	v_clz_i32_u32_e32 v8, v8
	v_min_u32_e32 v8, 32, v8
	s_delay_alu instid0(VALU_DEP_1) | instskip(SKIP_1) | instid1(VALU_DEP_2)
	v_subrev_nc_u32_e32 v32, 28, v8
	v_sub_nc_u32_e32 v8, 29, v8
	v_lshlrev_b64 v[32:33], v32, v[30:31]
; %bb.592:                              ;   in Loop: Header=BB367_11 Depth=1
	s_or_b32 exec_lo, exec_lo, s20
	v_lshlrev_b32_e32 v33, 8, v30
	s_delay_alu instid0(VALU_DEP_3) | instskip(NEXT) | instid1(VALU_DEP_3)
	v_lshl_add_u32 v8, v8, 10, 0x2000
	v_lshlrev_b32_e32 v32, 7, v32
	s_delay_alu instid0(VALU_DEP_2) | instskip(NEXT) | instid1(VALU_DEP_1)
	v_and_or_b32 v8, 0x8000, v33, v8
	v_and_or_b32 v8, 0x380, v32, v8
	s_delay_alu instid0(VALU_DEP_1)
	v_cvt_f32_f16_e32 v57, v8
.LBB367_593:                            ;   in Loop: Header=BB367_11 Depth=1
	s_or_b32 exec_lo, exec_lo, s19
.LBB367_594:                            ;   in Loop: Header=BB367_11 Depth=1
	s_delay_alu instid0(SALU_CYCLE_1)
	s_or_b32 exec_lo, exec_lo, s18
.LBB367_595:                            ;   in Loop: Header=BB367_11 Depth=1
	s_delay_alu instid0(SALU_CYCLE_1) | instskip(SKIP_3) | instid1(VALU_DEP_2)
	s_or_b32 exec_lo, exec_lo, s17
	v_lshrrev_b16 v8, 8, v30
	v_dual_mov_b32 v58, 0 :: v_dual_mov_b32 v59, 0
	s_mov_b32 s17, exec_lo
	v_cmpx_ne_u16_e32 0, v8
	s_cbranch_execz .LBB367_603
; %bb.596:                              ;   in Loop: Header=BB367_11 Depth=1
	v_bfrev_b32_e32 v59, 1
	s_mov_b32 s18, exec_lo
	v_cmpx_ne_u16_e32 0x80, v8
	s_cbranch_execz .LBB367_602
; %bb.597:                              ;   in Loop: Header=BB367_11 Depth=1
	v_and_b32_e32 v60, 0xffff, v8
	v_mov_b32_e32 v59, 0x7fc02000
	s_mov_b32 s19, exec_lo
	s_delay_alu instid0(VALU_DEP_2) | instskip(NEXT) | instid1(VALU_DEP_1)
	v_and_b32_e32 v32, 0x7f, v60
	v_cmpx_ne_u32_e32 0x7f, v32
	s_cbranch_execz .LBB367_601
; %bb.598:                              ;   in Loop: Header=BB367_11 Depth=1
	v_and_b32_e32 v8, 7, v60
	v_lshrrev_b32_e32 v59, 3, v32
	v_cmp_gt_u32_e64 s1, 8, v32
	s_delay_alu instid0(VALU_DEP_3) | instskip(NEXT) | instid1(VALU_DEP_2)
	v_dual_mov_b32 v33, v9 :: v_dual_mov_b32 v32, v8
	s_and_saveexec_b32 s20, s1
; %bb.599:                              ;   in Loop: Header=BB367_11 Depth=1
	v_clz_i32_u32_e32 v32, v8
	s_delay_alu instid0(VALU_DEP_1) | instskip(NEXT) | instid1(VALU_DEP_1)
	v_min_u32_e32 v59, 32, v32
	v_subrev_nc_u32_e32 v32, 28, v59
	v_sub_nc_u32_e32 v59, 29, v59
	s_delay_alu instid0(VALU_DEP_2) | instskip(NEXT) | instid1(VALU_DEP_1)
	v_lshlrev_b64 v[32:33], v32, v[8:9]
	v_and_b32_e32 v32, 7, v32
; %bb.600:                              ;   in Loop: Header=BB367_11 Depth=1
	s_or_b32 exec_lo, exec_lo, s20
	v_lshlrev_b32_e32 v8, 8, v60
	v_lshl_add_u32 v33, v59, 10, 0x2000
	s_delay_alu instid0(VALU_DEP_1) | instskip(NEXT) | instid1(VALU_DEP_1)
	v_and_or_b32 v8, 0x8000, v8, v33
	v_lshl_or_b32 v8, v32, 7, v8
	s_delay_alu instid0(VALU_DEP_1)
	v_cvt_f32_f16_e32 v59, v8
.LBB367_601:                            ;   in Loop: Header=BB367_11 Depth=1
	s_or_b32 exec_lo, exec_lo, s19
.LBB367_602:                            ;   in Loop: Header=BB367_11 Depth=1
	s_delay_alu instid0(SALU_CYCLE_1)
	s_or_b32 exec_lo, exec_lo, s18
.LBB367_603:                            ;   in Loop: Header=BB367_11 Depth=1
	s_delay_alu instid0(SALU_CYCLE_1) | instskip(SKIP_2) | instid1(VALU_DEP_1)
	s_or_b32 exec_lo, exec_lo, s17
	v_lshrrev_b32_e32 v60, 16, v30
	s_mov_b32 s17, exec_lo
	v_and_b32_e32 v8, 0xff, v60
	s_delay_alu instid0(VALU_DEP_1)
	v_cmpx_ne_u16_e32 0, v8
	s_cbranch_execz .LBB367_611
; %bb.604:                              ;   in Loop: Header=BB367_11 Depth=1
	v_bfrev_b32_e32 v58, 1
	s_mov_b32 s18, exec_lo
	v_cmpx_ne_u16_e32 0x80, v8
	s_cbranch_execz .LBB367_610
; %bb.605:                              ;   in Loop: Header=BB367_11 Depth=1
	v_bfe_u32 v32, v30, 16, 7
	v_mov_b32_e32 v58, 0x7fc02000
	s_mov_b32 s19, exec_lo
	s_delay_alu instid0(VALU_DEP_2)
	v_cmpx_ne_u32_e32 0x7f, v32
	s_cbranch_execz .LBB367_609
; %bb.606:                              ;   in Loop: Header=BB367_11 Depth=1
	v_and_b32_e32 v8, 7, v60
	v_lshrrev_b32_e32 v58, 3, v32
	v_cmp_gt_u32_e64 s1, 8, v32
	s_delay_alu instid0(VALU_DEP_3) | instskip(NEXT) | instid1(VALU_DEP_2)
	v_dual_mov_b32 v33, v9 :: v_dual_mov_b32 v32, v8
	s_and_saveexec_b32 s20, s1
; %bb.607:                              ;   in Loop: Header=BB367_11 Depth=1
	v_clz_i32_u32_e32 v32, v8
	s_delay_alu instid0(VALU_DEP_1) | instskip(NEXT) | instid1(VALU_DEP_1)
	v_min_u32_e32 v58, 32, v32
	v_subrev_nc_u32_e32 v32, 28, v58
	v_sub_nc_u32_e32 v58, 29, v58
	s_delay_alu instid0(VALU_DEP_2) | instskip(NEXT) | instid1(VALU_DEP_1)
	v_lshlrev_b64 v[32:33], v32, v[8:9]
	v_and_b32_e32 v32, 7, v32
; %bb.608:                              ;   in Loop: Header=BB367_11 Depth=1
	s_or_b32 exec_lo, exec_lo, s20
	v_lshlrev_b32_e32 v8, 8, v60
	v_lshl_add_u32 v33, v58, 10, 0x2000
	s_delay_alu instid0(VALU_DEP_1) | instskip(NEXT) | instid1(VALU_DEP_1)
	v_and_or_b32 v8, 0x8000, v8, v33
	v_lshl_or_b32 v8, v32, 7, v8
	s_delay_alu instid0(VALU_DEP_1)
	v_cvt_f32_f16_e32 v58, v8
.LBB367_609:                            ;   in Loop: Header=BB367_11 Depth=1
	s_or_b32 exec_lo, exec_lo, s19
.LBB367_610:                            ;   in Loop: Header=BB367_11 Depth=1
	s_delay_alu instid0(SALU_CYCLE_1)
	s_or_b32 exec_lo, exec_lo, s18
.LBB367_611:                            ;   in Loop: Header=BB367_11 Depth=1
	s_delay_alu instid0(SALU_CYCLE_1)
	s_or_b32 exec_lo, exec_lo, s17
	v_dual_mov_b32 v60, 0 :: v_dual_mov_b32 v61, 0
	s_mov_b32 s17, exec_lo
	v_cmpx_lt_u32_e32 0xffffff, v30
	s_cbranch_execz .LBB367_619
; %bb.612:                              ;   in Loop: Header=BB367_11 Depth=1
	v_lshrrev_b32_e32 v62, 24, v30
	v_bfrev_b32_e32 v61, 1
	s_mov_b32 s18, exec_lo
	s_delay_alu instid0(VALU_DEP_2)
	v_cmpx_ne_u32_e32 0x80, v62
	s_cbranch_execz .LBB367_618
; %bb.613:                              ;   in Loop: Header=BB367_11 Depth=1
	v_and_b32_e32 v32, 0x7f, v62
	v_mov_b32_e32 v61, 0x7fc02000
	s_mov_b32 s19, exec_lo
	s_delay_alu instid0(VALU_DEP_2)
	v_cmpx_ne_u32_e32 0x7f, v32
	s_cbranch_execz .LBB367_617
; %bb.614:                              ;   in Loop: Header=BB367_11 Depth=1
	v_and_b32_e32 v8, 7, v62
	v_lshrrev_b32_e32 v61, 3, v32
	v_cmp_gt_u32_e64 s1, 8, v32
	s_delay_alu instid0(VALU_DEP_3) | instskip(NEXT) | instid1(VALU_DEP_2)
	v_dual_mov_b32 v33, v9 :: v_dual_mov_b32 v32, v8
	s_and_saveexec_b32 s20, s1
; %bb.615:                              ;   in Loop: Header=BB367_11 Depth=1
	v_clz_i32_u32_e32 v32, v8
	s_delay_alu instid0(VALU_DEP_1) | instskip(NEXT) | instid1(VALU_DEP_1)
	v_min_u32_e32 v61, 32, v32
	v_subrev_nc_u32_e32 v32, 28, v61
	v_sub_nc_u32_e32 v61, 29, v61
	s_delay_alu instid0(VALU_DEP_2) | instskip(NEXT) | instid1(VALU_DEP_1)
	v_lshlrev_b64 v[32:33], v32, v[8:9]
	v_and_b32_e32 v32, 7, v32
; %bb.616:                              ;   in Loop: Header=BB367_11 Depth=1
	s_or_b32 exec_lo, exec_lo, s20
	v_lshlrev_b32_e32 v8, 8, v62
	v_lshl_add_u32 v33, v61, 10, 0x2000
	s_delay_alu instid0(VALU_DEP_1) | instskip(NEXT) | instid1(VALU_DEP_1)
	v_and_or_b32 v8, 0x8000, v8, v33
	v_lshl_or_b32 v8, v32, 7, v8
	s_delay_alu instid0(VALU_DEP_1)
	v_cvt_f32_f16_e32 v61, v8
.LBB367_617:                            ;   in Loop: Header=BB367_11 Depth=1
	s_or_b32 exec_lo, exec_lo, s19
.LBB367_618:                            ;   in Loop: Header=BB367_11 Depth=1
	s_delay_alu instid0(SALU_CYCLE_1)
	s_or_b32 exec_lo, exec_lo, s18
.LBB367_619:                            ;   in Loop: Header=BB367_11 Depth=1
	s_delay_alu instid0(SALU_CYCLE_1) | instskip(SKIP_3) | instid1(VALU_DEP_2)
	s_or_b32 exec_lo, exec_lo, s17
	v_and_b32_e32 v32, 0xff, v31
	v_mov_b32_e32 v8, v31
	s_mov_b32 s17, exec_lo
	v_cmpx_ne_u16_e32 0, v32
	s_cbranch_execz .LBB367_627
; %bb.620:                              ;   in Loop: Header=BB367_11 Depth=1
	v_bfrev_b32_e32 v60, 1
	s_mov_b32 s18, exec_lo
	v_cmpx_ne_u16_e32 0x80, v32
	s_cbranch_execz .LBB367_626
; %bb.621:                              ;   in Loop: Header=BB367_11 Depth=1
	v_and_b32_e32 v32, 0x7f, v31
	v_mov_b32_e32 v60, 0x7fc02000
	s_mov_b32 s19, exec_lo
	s_delay_alu instid0(VALU_DEP_2)
	v_cmpx_ne_u32_e32 0x7f, v32
	s_cbranch_execz .LBB367_625
; %bb.622:                              ;   in Loop: Header=BB367_11 Depth=1
	v_lshrrev_b32_e32 v60, 3, v32
	v_cmp_gt_u32_e64 s1, 8, v32
	v_dual_mov_b32 v33, v9 :: v_dual_mov_b32 v32, v8
	s_delay_alu instid0(VALU_DEP_2)
	s_and_saveexec_b32 s20, s1
; %bb.623:                              ;   in Loop: Header=BB367_11 Depth=1
	v_and_b32_e32 v32, 7, v31
	s_delay_alu instid0(VALU_DEP_1) | instskip(NEXT) | instid1(VALU_DEP_1)
	v_clz_i32_u32_e32 v32, v32
	v_min_u32_e32 v60, 32, v32
	s_delay_alu instid0(VALU_DEP_1) | instskip(SKIP_1) | instid1(VALU_DEP_2)
	v_subrev_nc_u32_e32 v32, 28, v60
	v_sub_nc_u32_e32 v60, 29, v60
	v_lshlrev_b64 v[32:33], v32, v[8:9]
; %bb.624:                              ;   in Loop: Header=BB367_11 Depth=1
	s_or_b32 exec_lo, exec_lo, s20
	v_lshlrev_b32_e32 v33, 8, v31
	s_delay_alu instid0(VALU_DEP_3) | instskip(NEXT) | instid1(VALU_DEP_3)
	v_lshl_add_u32 v60, v60, 10, 0x2000
	v_lshlrev_b32_e32 v32, 7, v32
	s_delay_alu instid0(VALU_DEP_2) | instskip(NEXT) | instid1(VALU_DEP_1)
	v_and_or_b32 v33, 0x8000, v33, v60
	v_and_or_b32 v32, 0x380, v32, v33
	s_delay_alu instid0(VALU_DEP_1)
	v_cvt_f32_f16_e32 v60, v32
.LBB367_625:                            ;   in Loop: Header=BB367_11 Depth=1
	s_or_b32 exec_lo, exec_lo, s19
.LBB367_626:                            ;   in Loop: Header=BB367_11 Depth=1
	s_delay_alu instid0(SALU_CYCLE_1)
	s_or_b32 exec_lo, exec_lo, s18
.LBB367_627:                            ;   in Loop: Header=BB367_11 Depth=1
	s_delay_alu instid0(SALU_CYCLE_1) | instskip(SKIP_3) | instid1(VALU_DEP_2)
	s_or_b32 exec_lo, exec_lo, s17
	v_lshrrev_b16 v8, 8, v8
	v_dual_mov_b32 v76, 0 :: v_dual_mov_b32 v77, 0
	s_mov_b32 s17, exec_lo
	v_cmpx_ne_u16_e32 0, v8
	s_cbranch_execz .LBB367_635
; %bb.628:                              ;   in Loop: Header=BB367_11 Depth=1
	v_bfrev_b32_e32 v77, 1
	s_mov_b32 s18, exec_lo
	v_cmpx_ne_u16_e32 0x80, v8
	s_cbranch_execz .LBB367_634
; %bb.629:                              ;   in Loop: Header=BB367_11 Depth=1
	v_and_b32_e32 v62, 0xffff, v8
	v_mov_b32_e32 v77, 0x7fc02000
	s_mov_b32 s19, exec_lo
	s_delay_alu instid0(VALU_DEP_2) | instskip(NEXT) | instid1(VALU_DEP_1)
	v_and_b32_e32 v32, 0x7f, v62
	v_cmpx_ne_u32_e32 0x7f, v32
	s_cbranch_execz .LBB367_633
; %bb.630:                              ;   in Loop: Header=BB367_11 Depth=1
	v_and_b32_e32 v8, 7, v62
	v_lshrrev_b32_e32 v63, 3, v32
	v_cmp_gt_u32_e64 s1, 8, v32
	s_delay_alu instid0(VALU_DEP_3) | instskip(NEXT) | instid1(VALU_DEP_2)
	v_dual_mov_b32 v33, v9 :: v_dual_mov_b32 v32, v8
	s_and_saveexec_b32 s20, s1
; %bb.631:                              ;   in Loop: Header=BB367_11 Depth=1
	v_clz_i32_u32_e32 v32, v8
	s_delay_alu instid0(VALU_DEP_1) | instskip(NEXT) | instid1(VALU_DEP_1)
	v_min_u32_e32 v63, 32, v32
	v_subrev_nc_u32_e32 v32, 28, v63
	v_sub_nc_u32_e32 v63, 29, v63
	s_delay_alu instid0(VALU_DEP_2) | instskip(NEXT) | instid1(VALU_DEP_1)
	v_lshlrev_b64 v[32:33], v32, v[8:9]
	v_and_b32_e32 v32, 7, v32
; %bb.632:                              ;   in Loop: Header=BB367_11 Depth=1
	s_or_b32 exec_lo, exec_lo, s20
	v_lshlrev_b32_e32 v8, 8, v62
	v_lshl_add_u32 v33, v63, 10, 0x2000
	s_delay_alu instid0(VALU_DEP_1) | instskip(NEXT) | instid1(VALU_DEP_1)
	v_and_or_b32 v8, 0x8000, v8, v33
	v_lshl_or_b32 v8, v32, 7, v8
	s_delay_alu instid0(VALU_DEP_1)
	v_cvt_f32_f16_e32 v77, v8
.LBB367_633:                            ;   in Loop: Header=BB367_11 Depth=1
	s_or_b32 exec_lo, exec_lo, s19
.LBB367_634:                            ;   in Loop: Header=BB367_11 Depth=1
	s_delay_alu instid0(SALU_CYCLE_1)
	s_or_b32 exec_lo, exec_lo, s18
.LBB367_635:                            ;   in Loop: Header=BB367_11 Depth=1
	s_delay_alu instid0(SALU_CYCLE_1) | instskip(SKIP_2) | instid1(VALU_DEP_1)
	s_or_b32 exec_lo, exec_lo, s17
	v_lshrrev_b32_e32 v62, 16, v31
	s_mov_b32 s17, exec_lo
	v_and_b32_e32 v8, 0xff, v62
	s_delay_alu instid0(VALU_DEP_1)
	v_cmpx_ne_u16_e32 0, v8
	s_cbranch_execz .LBB367_643
; %bb.636:                              ;   in Loop: Header=BB367_11 Depth=1
	v_bfrev_b32_e32 v76, 1
	s_mov_b32 s18, exec_lo
	v_cmpx_ne_u16_e32 0x80, v8
	s_cbranch_execz .LBB367_642
; %bb.637:                              ;   in Loop: Header=BB367_11 Depth=1
	v_bfe_u32 v32, v31, 16, 7
	v_mov_b32_e32 v76, 0x7fc02000
	s_mov_b32 s19, exec_lo
	s_delay_alu instid0(VALU_DEP_2)
	v_cmpx_ne_u32_e32 0x7f, v32
	s_cbranch_execz .LBB367_641
; %bb.638:                              ;   in Loop: Header=BB367_11 Depth=1
	v_and_b32_e32 v8, 7, v62
	v_lshrrev_b32_e32 v63, 3, v32
	v_cmp_gt_u32_e64 s1, 8, v32
	s_delay_alu instid0(VALU_DEP_3) | instskip(NEXT) | instid1(VALU_DEP_2)
	v_dual_mov_b32 v33, v9 :: v_dual_mov_b32 v32, v8
	s_and_saveexec_b32 s20, s1
; %bb.639:                              ;   in Loop: Header=BB367_11 Depth=1
	v_clz_i32_u32_e32 v32, v8
	s_delay_alu instid0(VALU_DEP_1) | instskip(NEXT) | instid1(VALU_DEP_1)
	v_min_u32_e32 v63, 32, v32
	v_subrev_nc_u32_e32 v32, 28, v63
	v_sub_nc_u32_e32 v63, 29, v63
	s_delay_alu instid0(VALU_DEP_2) | instskip(NEXT) | instid1(VALU_DEP_1)
	v_lshlrev_b64 v[32:33], v32, v[8:9]
	v_and_b32_e32 v32, 7, v32
; %bb.640:                              ;   in Loop: Header=BB367_11 Depth=1
	s_or_b32 exec_lo, exec_lo, s20
	v_lshlrev_b32_e32 v8, 8, v62
	v_lshl_add_u32 v33, v63, 10, 0x2000
	s_delay_alu instid0(VALU_DEP_1) | instskip(NEXT) | instid1(VALU_DEP_1)
	v_and_or_b32 v8, 0x8000, v8, v33
	v_lshl_or_b32 v8, v32, 7, v8
	s_delay_alu instid0(VALU_DEP_1)
	v_cvt_f32_f16_e32 v76, v8
.LBB367_641:                            ;   in Loop: Header=BB367_11 Depth=1
	s_or_b32 exec_lo, exec_lo, s19
.LBB367_642:                            ;   in Loop: Header=BB367_11 Depth=1
	s_delay_alu instid0(SALU_CYCLE_1)
	s_or_b32 exec_lo, exec_lo, s18
.LBB367_643:                            ;   in Loop: Header=BB367_11 Depth=1
	s_delay_alu instid0(SALU_CYCLE_1)
	s_or_b32 exec_lo, exec_lo, s17
	v_dual_mov_b32 v93, 0 :: v_dual_mov_b32 v92, 0
	s_mov_b32 s17, exec_lo
	v_cmpx_lt_u64_e64 s[2:3], v[30:31]
	s_cbranch_execz .LBB367_651
; %bb.644:                              ;   in Loop: Header=BB367_11 Depth=1
	v_lshrrev_b32_e32 v32, 24, v31
	v_bfrev_b32_e32 v92, 1
	s_mov_b32 s18, exec_lo
	s_delay_alu instid0(VALU_DEP_2)
	v_cmpx_ne_u32_e32 0x80, v32
	s_cbranch_execz .LBB367_650
; %bb.645:                              ;   in Loop: Header=BB367_11 Depth=1
	v_and_b32_e32 v30, 0x7f, v32
	v_mov_b32_e32 v92, 0x7fc02000
	s_mov_b32 s19, exec_lo
	s_delay_alu instid0(VALU_DEP_2)
	v_cmpx_ne_u32_e32 0x7f, v30
	s_cbranch_execz .LBB367_649
; %bb.646:                              ;   in Loop: Header=BB367_11 Depth=1
	v_and_b32_e32 v8, 7, v32
	v_lshrrev_b32_e32 v33, 3, v30
	v_cmp_gt_u32_e64 s1, 8, v30
	s_delay_alu instid0(VALU_DEP_3) | instskip(NEXT) | instid1(VALU_DEP_2)
	v_dual_mov_b32 v31, v9 :: v_dual_mov_b32 v30, v8
	s_and_saveexec_b32 s20, s1
; %bb.647:                              ;   in Loop: Header=BB367_11 Depth=1
	v_clz_i32_u32_e32 v30, v8
	s_delay_alu instid0(VALU_DEP_1) | instskip(NEXT) | instid1(VALU_DEP_1)
	v_min_u32_e32 v33, 32, v30
	v_subrev_nc_u32_e32 v30, 28, v33
	v_sub_nc_u32_e32 v33, 29, v33
	s_delay_alu instid0(VALU_DEP_2) | instskip(NEXT) | instid1(VALU_DEP_1)
	v_lshlrev_b64 v[30:31], v30, v[8:9]
	v_and_b32_e32 v30, 7, v30
; %bb.648:                              ;   in Loop: Header=BB367_11 Depth=1
	s_or_b32 exec_lo, exec_lo, s20
	v_lshlrev_b32_e32 v8, 8, v32
	v_lshl_add_u32 v31, v33, 10, 0x2000
	s_delay_alu instid0(VALU_DEP_1) | instskip(NEXT) | instid1(VALU_DEP_1)
	v_and_or_b32 v8, 0x8000, v8, v31
	v_lshl_or_b32 v8, v30, 7, v8
	s_delay_alu instid0(VALU_DEP_1)
	v_cvt_f32_f16_e32 v92, v8
.LBB367_649:                            ;   in Loop: Header=BB367_11 Depth=1
	s_or_b32 exec_lo, exec_lo, s19
.LBB367_650:                            ;   in Loop: Header=BB367_11 Depth=1
	s_delay_alu instid0(SALU_CYCLE_1)
	s_or_b32 exec_lo, exec_lo, s18
.LBB367_651:                            ;   in Loop: Header=BB367_11 Depth=1
	s_delay_alu instid0(SALU_CYCLE_1) | instskip(SKIP_4) | instid1(VALU_DEP_1)
	s_or_b32 exec_lo, exec_lo, s17
	flat_load_b64 v[30:31], v[28:29] offset:2560
	s_mov_b32 s17, exec_lo
	s_waitcnt vmcnt(0) lgkmcnt(0)
	v_and_b32_e32 v8, 0xff, v30
	v_cmpx_ne_u16_e32 0, v8
	s_cbranch_execz .LBB367_659
; %bb.652:                              ;   in Loop: Header=BB367_11 Depth=1
	v_bfrev_b32_e32 v93, 1
	s_mov_b32 s18, exec_lo
	v_cmpx_ne_u16_e32 0x80, v8
	s_cbranch_execz .LBB367_658
; %bb.653:                              ;   in Loop: Header=BB367_11 Depth=1
	v_and_b32_e32 v32, 0x7f, v30
	v_mov_b32_e32 v93, 0x7fc02000
	s_mov_b32 s19, exec_lo
	s_delay_alu instid0(VALU_DEP_2)
	v_cmpx_ne_u32_e32 0x7f, v32
	s_cbranch_execz .LBB367_657
; %bb.654:                              ;   in Loop: Header=BB367_11 Depth=1
	v_lshrrev_b32_e32 v8, 3, v32
	v_cmp_gt_u32_e64 s1, 8, v32
	v_dual_mov_b32 v33, v31 :: v_dual_mov_b32 v32, v30
	s_delay_alu instid0(VALU_DEP_2)
	s_and_saveexec_b32 s20, s1
; %bb.655:                              ;   in Loop: Header=BB367_11 Depth=1
	v_and_b32_e32 v8, 7, v30
	s_delay_alu instid0(VALU_DEP_1) | instskip(NEXT) | instid1(VALU_DEP_1)
	v_clz_i32_u32_e32 v8, v8
	v_min_u32_e32 v8, 32, v8
	s_delay_alu instid0(VALU_DEP_1) | instskip(SKIP_1) | instid1(VALU_DEP_2)
	v_subrev_nc_u32_e32 v32, 28, v8
	v_sub_nc_u32_e32 v8, 29, v8
	v_lshlrev_b64 v[32:33], v32, v[30:31]
; %bb.656:                              ;   in Loop: Header=BB367_11 Depth=1
	s_or_b32 exec_lo, exec_lo, s20
	v_lshlrev_b32_e32 v33, 8, v30
	s_delay_alu instid0(VALU_DEP_3) | instskip(NEXT) | instid1(VALU_DEP_3)
	v_lshl_add_u32 v8, v8, 10, 0x2000
	v_lshlrev_b32_e32 v32, 7, v32
	s_delay_alu instid0(VALU_DEP_2) | instskip(NEXT) | instid1(VALU_DEP_1)
	v_and_or_b32 v8, 0x8000, v33, v8
	v_and_or_b32 v8, 0x380, v32, v8
	s_delay_alu instid0(VALU_DEP_1)
	v_cvt_f32_f16_e32 v93, v8
.LBB367_657:                            ;   in Loop: Header=BB367_11 Depth=1
	s_or_b32 exec_lo, exec_lo, s19
.LBB367_658:                            ;   in Loop: Header=BB367_11 Depth=1
	s_delay_alu instid0(SALU_CYCLE_1)
	s_or_b32 exec_lo, exec_lo, s18
.LBB367_659:                            ;   in Loop: Header=BB367_11 Depth=1
	s_delay_alu instid0(SALU_CYCLE_1) | instskip(SKIP_3) | instid1(VALU_DEP_2)
	s_or_b32 exec_lo, exec_lo, s17
	v_lshrrev_b16 v8, 8, v30
	v_dual_mov_b32 v106, 0 :: v_dual_mov_b32 v107, 0
	s_mov_b32 s17, exec_lo
	v_cmpx_ne_u16_e32 0, v8
	s_cbranch_execz .LBB367_667
; %bb.660:                              ;   in Loop: Header=BB367_11 Depth=1
	v_bfrev_b32_e32 v107, 1
	s_mov_b32 s18, exec_lo
	v_cmpx_ne_u16_e32 0x80, v8
	s_cbranch_execz .LBB367_666
; %bb.661:                              ;   in Loop: Header=BB367_11 Depth=1
	v_and_b32_e32 v62, 0xffff, v8
	v_mov_b32_e32 v107, 0x7fc02000
	s_mov_b32 s19, exec_lo
	s_delay_alu instid0(VALU_DEP_2) | instskip(NEXT) | instid1(VALU_DEP_1)
	v_and_b32_e32 v32, 0x7f, v62
	v_cmpx_ne_u32_e32 0x7f, v32
	s_cbranch_execz .LBB367_665
; %bb.662:                              ;   in Loop: Header=BB367_11 Depth=1
	v_and_b32_e32 v8, 7, v62
	v_lshrrev_b32_e32 v63, 3, v32
	v_cmp_gt_u32_e64 s1, 8, v32
	s_delay_alu instid0(VALU_DEP_3) | instskip(NEXT) | instid1(VALU_DEP_2)
	v_dual_mov_b32 v33, v9 :: v_dual_mov_b32 v32, v8
	s_and_saveexec_b32 s20, s1
; %bb.663:                              ;   in Loop: Header=BB367_11 Depth=1
	v_clz_i32_u32_e32 v32, v8
	s_delay_alu instid0(VALU_DEP_1) | instskip(NEXT) | instid1(VALU_DEP_1)
	v_min_u32_e32 v63, 32, v32
	v_subrev_nc_u32_e32 v32, 28, v63
	v_sub_nc_u32_e32 v63, 29, v63
	s_delay_alu instid0(VALU_DEP_2) | instskip(NEXT) | instid1(VALU_DEP_1)
	v_lshlrev_b64 v[32:33], v32, v[8:9]
	v_and_b32_e32 v32, 7, v32
; %bb.664:                              ;   in Loop: Header=BB367_11 Depth=1
	s_or_b32 exec_lo, exec_lo, s20
	v_lshlrev_b32_e32 v8, 8, v62
	v_lshl_add_u32 v33, v63, 10, 0x2000
	s_delay_alu instid0(VALU_DEP_1) | instskip(NEXT) | instid1(VALU_DEP_1)
	v_and_or_b32 v8, 0x8000, v8, v33
	v_lshl_or_b32 v8, v32, 7, v8
	s_delay_alu instid0(VALU_DEP_1)
	v_cvt_f32_f16_e32 v107, v8
.LBB367_665:                            ;   in Loop: Header=BB367_11 Depth=1
	s_or_b32 exec_lo, exec_lo, s19
.LBB367_666:                            ;   in Loop: Header=BB367_11 Depth=1
	s_delay_alu instid0(SALU_CYCLE_1)
	s_or_b32 exec_lo, exec_lo, s18
.LBB367_667:                            ;   in Loop: Header=BB367_11 Depth=1
	s_delay_alu instid0(SALU_CYCLE_1) | instskip(SKIP_2) | instid1(VALU_DEP_1)
	s_or_b32 exec_lo, exec_lo, s17
	v_lshrrev_b32_e32 v62, 16, v30
	s_mov_b32 s17, exec_lo
	v_and_b32_e32 v8, 0xff, v62
	s_delay_alu instid0(VALU_DEP_1)
	v_cmpx_ne_u16_e32 0, v8
	s_cbranch_execz .LBB367_675
; %bb.668:                              ;   in Loop: Header=BB367_11 Depth=1
	v_bfrev_b32_e32 v106, 1
	s_mov_b32 s18, exec_lo
	v_cmpx_ne_u16_e32 0x80, v8
	s_cbranch_execz .LBB367_674
; %bb.669:                              ;   in Loop: Header=BB367_11 Depth=1
	v_bfe_u32 v32, v30, 16, 7
	v_mov_b32_e32 v106, 0x7fc02000
	s_mov_b32 s19, exec_lo
	s_delay_alu instid0(VALU_DEP_2)
	v_cmpx_ne_u32_e32 0x7f, v32
	s_cbranch_execz .LBB367_673
; %bb.670:                              ;   in Loop: Header=BB367_11 Depth=1
	v_and_b32_e32 v8, 7, v62
	v_lshrrev_b32_e32 v63, 3, v32
	v_cmp_gt_u32_e64 s1, 8, v32
	s_delay_alu instid0(VALU_DEP_3) | instskip(NEXT) | instid1(VALU_DEP_2)
	v_dual_mov_b32 v33, v9 :: v_dual_mov_b32 v32, v8
	s_and_saveexec_b32 s20, s1
; %bb.671:                              ;   in Loop: Header=BB367_11 Depth=1
	v_clz_i32_u32_e32 v32, v8
	s_delay_alu instid0(VALU_DEP_1) | instskip(NEXT) | instid1(VALU_DEP_1)
	v_min_u32_e32 v63, 32, v32
	v_subrev_nc_u32_e32 v32, 28, v63
	v_sub_nc_u32_e32 v63, 29, v63
	s_delay_alu instid0(VALU_DEP_2) | instskip(NEXT) | instid1(VALU_DEP_1)
	v_lshlrev_b64 v[32:33], v32, v[8:9]
	v_and_b32_e32 v32, 7, v32
; %bb.672:                              ;   in Loop: Header=BB367_11 Depth=1
	s_or_b32 exec_lo, exec_lo, s20
	v_lshlrev_b32_e32 v8, 8, v62
	v_lshl_add_u32 v33, v63, 10, 0x2000
	s_delay_alu instid0(VALU_DEP_1) | instskip(NEXT) | instid1(VALU_DEP_1)
	v_and_or_b32 v8, 0x8000, v8, v33
	v_lshl_or_b32 v8, v32, 7, v8
	s_delay_alu instid0(VALU_DEP_1)
	v_cvt_f32_f16_e32 v106, v8
.LBB367_673:                            ;   in Loop: Header=BB367_11 Depth=1
	s_or_b32 exec_lo, exec_lo, s19
.LBB367_674:                            ;   in Loop: Header=BB367_11 Depth=1
	s_delay_alu instid0(SALU_CYCLE_1)
	s_or_b32 exec_lo, exec_lo, s18
.LBB367_675:                            ;   in Loop: Header=BB367_11 Depth=1
	s_delay_alu instid0(SALU_CYCLE_1)
	s_or_b32 exec_lo, exec_lo, s17
	v_dual_mov_b32 v122, 0 :: v_dual_mov_b32 v123, 0
	s_mov_b32 s17, exec_lo
	v_cmpx_lt_u32_e32 0xffffff, v30
	s_cbranch_execz .LBB367_683
; %bb.676:                              ;   in Loop: Header=BB367_11 Depth=1
	v_lshrrev_b32_e32 v62, 24, v30
	v_bfrev_b32_e32 v123, 1
	s_mov_b32 s18, exec_lo
	s_delay_alu instid0(VALU_DEP_2)
	v_cmpx_ne_u32_e32 0x80, v62
	s_cbranch_execz .LBB367_682
; %bb.677:                              ;   in Loop: Header=BB367_11 Depth=1
	v_and_b32_e32 v32, 0x7f, v62
	v_mov_b32_e32 v123, 0x7fc02000
	s_mov_b32 s19, exec_lo
	s_delay_alu instid0(VALU_DEP_2)
	v_cmpx_ne_u32_e32 0x7f, v32
	s_cbranch_execz .LBB367_681
; %bb.678:                              ;   in Loop: Header=BB367_11 Depth=1
	v_and_b32_e32 v8, 7, v62
	v_lshrrev_b32_e32 v63, 3, v32
	v_cmp_gt_u32_e64 s1, 8, v32
	s_delay_alu instid0(VALU_DEP_3) | instskip(NEXT) | instid1(VALU_DEP_2)
	v_dual_mov_b32 v33, v9 :: v_dual_mov_b32 v32, v8
	s_and_saveexec_b32 s20, s1
; %bb.679:                              ;   in Loop: Header=BB367_11 Depth=1
	v_clz_i32_u32_e32 v32, v8
	s_delay_alu instid0(VALU_DEP_1) | instskip(NEXT) | instid1(VALU_DEP_1)
	v_min_u32_e32 v63, 32, v32
	v_subrev_nc_u32_e32 v32, 28, v63
	v_sub_nc_u32_e32 v63, 29, v63
	s_delay_alu instid0(VALU_DEP_2) | instskip(NEXT) | instid1(VALU_DEP_1)
	v_lshlrev_b64 v[32:33], v32, v[8:9]
	v_and_b32_e32 v32, 7, v32
; %bb.680:                              ;   in Loop: Header=BB367_11 Depth=1
	s_or_b32 exec_lo, exec_lo, s20
	v_lshlrev_b32_e32 v8, 8, v62
	v_lshl_add_u32 v33, v63, 10, 0x2000
	s_delay_alu instid0(VALU_DEP_1) | instskip(NEXT) | instid1(VALU_DEP_1)
	v_and_or_b32 v8, 0x8000, v8, v33
	v_lshl_or_b32 v8, v32, 7, v8
	s_delay_alu instid0(VALU_DEP_1)
	v_cvt_f32_f16_e32 v123, v8
.LBB367_681:                            ;   in Loop: Header=BB367_11 Depth=1
	s_or_b32 exec_lo, exec_lo, s19
.LBB367_682:                            ;   in Loop: Header=BB367_11 Depth=1
	s_delay_alu instid0(SALU_CYCLE_1)
	s_or_b32 exec_lo, exec_lo, s18
.LBB367_683:                            ;   in Loop: Header=BB367_11 Depth=1
	s_delay_alu instid0(SALU_CYCLE_1) | instskip(SKIP_3) | instid1(VALU_DEP_2)
	s_or_b32 exec_lo, exec_lo, s17
	v_and_b32_e32 v32, 0xff, v31
	v_mov_b32_e32 v8, v31
	s_mov_b32 s17, exec_lo
	v_cmpx_ne_u16_e32 0, v32
	s_cbranch_execz .LBB367_691
; %bb.684:                              ;   in Loop: Header=BB367_11 Depth=1
	v_bfrev_b32_e32 v122, 1
	s_mov_b32 s18, exec_lo
	v_cmpx_ne_u16_e32 0x80, v32
	s_cbranch_execz .LBB367_690
; %bb.685:                              ;   in Loop: Header=BB367_11 Depth=1
	v_and_b32_e32 v32, 0x7f, v31
	v_mov_b32_e32 v122, 0x7fc02000
	s_mov_b32 s19, exec_lo
	s_delay_alu instid0(VALU_DEP_2)
	v_cmpx_ne_u32_e32 0x7f, v32
	s_cbranch_execz .LBB367_689
; %bb.686:                              ;   in Loop: Header=BB367_11 Depth=1
	v_lshrrev_b32_e32 v62, 3, v32
	v_cmp_gt_u32_e64 s1, 8, v32
	v_dual_mov_b32 v33, v9 :: v_dual_mov_b32 v32, v8
	s_delay_alu instid0(VALU_DEP_2)
	s_and_saveexec_b32 s20, s1
; %bb.687:                              ;   in Loop: Header=BB367_11 Depth=1
	v_and_b32_e32 v32, 7, v31
	s_delay_alu instid0(VALU_DEP_1) | instskip(NEXT) | instid1(VALU_DEP_1)
	v_clz_i32_u32_e32 v32, v32
	v_min_u32_e32 v62, 32, v32
	s_delay_alu instid0(VALU_DEP_1) | instskip(SKIP_1) | instid1(VALU_DEP_2)
	v_subrev_nc_u32_e32 v32, 28, v62
	v_sub_nc_u32_e32 v62, 29, v62
	v_lshlrev_b64 v[32:33], v32, v[8:9]
; %bb.688:                              ;   in Loop: Header=BB367_11 Depth=1
	s_or_b32 exec_lo, exec_lo, s20
	v_lshlrev_b32_e32 v33, 8, v31
	s_delay_alu instid0(VALU_DEP_3) | instskip(NEXT) | instid1(VALU_DEP_3)
	v_lshl_add_u32 v62, v62, 10, 0x2000
	v_lshlrev_b32_e32 v32, 7, v32
	s_delay_alu instid0(VALU_DEP_2) | instskip(NEXT) | instid1(VALU_DEP_1)
	v_and_or_b32 v33, 0x8000, v33, v62
	v_and_or_b32 v32, 0x380, v32, v33
	s_delay_alu instid0(VALU_DEP_1)
	v_cvt_f32_f16_e32 v122, v32
.LBB367_689:                            ;   in Loop: Header=BB367_11 Depth=1
	s_or_b32 exec_lo, exec_lo, s19
.LBB367_690:                            ;   in Loop: Header=BB367_11 Depth=1
	s_delay_alu instid0(SALU_CYCLE_1)
	s_or_b32 exec_lo, exec_lo, s18
.LBB367_691:                            ;   in Loop: Header=BB367_11 Depth=1
	s_delay_alu instid0(SALU_CYCLE_1) | instskip(SKIP_3) | instid1(VALU_DEP_2)
	s_or_b32 exec_lo, exec_lo, s17
	v_lshrrev_b16 v8, 8, v8
	v_dual_mov_b32 v125, 0 :: v_dual_mov_b32 v126, 0
	s_mov_b32 s17, exec_lo
	v_cmpx_ne_u16_e32 0, v8
	s_cbranch_execz .LBB367_699
; %bb.692:                              ;   in Loop: Header=BB367_11 Depth=1
	v_bfrev_b32_e32 v126, 1
	s_mov_b32 s18, exec_lo
	v_cmpx_ne_u16_e32 0x80, v8
	s_cbranch_execz .LBB367_698
; %bb.693:                              ;   in Loop: Header=BB367_11 Depth=1
	v_and_b32_e32 v62, 0xffff, v8
	v_mov_b32_e32 v126, 0x7fc02000
	s_mov_b32 s19, exec_lo
	s_delay_alu instid0(VALU_DEP_2) | instskip(NEXT) | instid1(VALU_DEP_1)
	v_and_b32_e32 v32, 0x7f, v62
	v_cmpx_ne_u32_e32 0x7f, v32
	s_cbranch_execz .LBB367_697
; %bb.694:                              ;   in Loop: Header=BB367_11 Depth=1
	v_and_b32_e32 v8, 7, v62
	v_lshrrev_b32_e32 v63, 3, v32
	v_cmp_gt_u32_e64 s1, 8, v32
	s_delay_alu instid0(VALU_DEP_3) | instskip(NEXT) | instid1(VALU_DEP_2)
	v_dual_mov_b32 v33, v9 :: v_dual_mov_b32 v32, v8
	s_and_saveexec_b32 s20, s1
; %bb.695:                              ;   in Loop: Header=BB367_11 Depth=1
	v_clz_i32_u32_e32 v32, v8
	s_delay_alu instid0(VALU_DEP_1) | instskip(NEXT) | instid1(VALU_DEP_1)
	v_min_u32_e32 v63, 32, v32
	v_subrev_nc_u32_e32 v32, 28, v63
	v_sub_nc_u32_e32 v63, 29, v63
	s_delay_alu instid0(VALU_DEP_2) | instskip(NEXT) | instid1(VALU_DEP_1)
	v_lshlrev_b64 v[32:33], v32, v[8:9]
	v_and_b32_e32 v32, 7, v32
; %bb.696:                              ;   in Loop: Header=BB367_11 Depth=1
	s_or_b32 exec_lo, exec_lo, s20
	v_lshlrev_b32_e32 v8, 8, v62
	v_lshl_add_u32 v33, v63, 10, 0x2000
	s_delay_alu instid0(VALU_DEP_1) | instskip(NEXT) | instid1(VALU_DEP_1)
	v_and_or_b32 v8, 0x8000, v8, v33
	v_lshl_or_b32 v8, v32, 7, v8
	s_delay_alu instid0(VALU_DEP_1)
	v_cvt_f32_f16_e32 v126, v8
.LBB367_697:                            ;   in Loop: Header=BB367_11 Depth=1
	s_or_b32 exec_lo, exec_lo, s19
.LBB367_698:                            ;   in Loop: Header=BB367_11 Depth=1
	s_delay_alu instid0(SALU_CYCLE_1)
	s_or_b32 exec_lo, exec_lo, s18
.LBB367_699:                            ;   in Loop: Header=BB367_11 Depth=1
	s_delay_alu instid0(SALU_CYCLE_1) | instskip(SKIP_2) | instid1(VALU_DEP_1)
	s_or_b32 exec_lo, exec_lo, s17
	v_lshrrev_b32_e32 v62, 16, v31
	s_mov_b32 s17, exec_lo
	v_and_b32_e32 v8, 0xff, v62
	s_delay_alu instid0(VALU_DEP_1)
	v_cmpx_ne_u16_e32 0, v8
	s_cbranch_execz .LBB367_707
; %bb.700:                              ;   in Loop: Header=BB367_11 Depth=1
	v_bfrev_b32_e32 v125, 1
	s_mov_b32 s18, exec_lo
	v_cmpx_ne_u16_e32 0x80, v8
	s_cbranch_execz .LBB367_706
; %bb.701:                              ;   in Loop: Header=BB367_11 Depth=1
	v_bfe_u32 v32, v31, 16, 7
	v_mov_b32_e32 v125, 0x7fc02000
	s_mov_b32 s19, exec_lo
	s_delay_alu instid0(VALU_DEP_2)
	v_cmpx_ne_u32_e32 0x7f, v32
	s_cbranch_execz .LBB367_705
; %bb.702:                              ;   in Loop: Header=BB367_11 Depth=1
	v_and_b32_e32 v8, 7, v62
	v_lshrrev_b32_e32 v63, 3, v32
	v_cmp_gt_u32_e64 s1, 8, v32
	s_delay_alu instid0(VALU_DEP_3) | instskip(NEXT) | instid1(VALU_DEP_2)
	v_dual_mov_b32 v33, v9 :: v_dual_mov_b32 v32, v8
	s_and_saveexec_b32 s20, s1
; %bb.703:                              ;   in Loop: Header=BB367_11 Depth=1
	v_clz_i32_u32_e32 v32, v8
	s_delay_alu instid0(VALU_DEP_1) | instskip(NEXT) | instid1(VALU_DEP_1)
	v_min_u32_e32 v63, 32, v32
	v_subrev_nc_u32_e32 v32, 28, v63
	v_sub_nc_u32_e32 v63, 29, v63
	s_delay_alu instid0(VALU_DEP_2) | instskip(NEXT) | instid1(VALU_DEP_1)
	v_lshlrev_b64 v[32:33], v32, v[8:9]
	v_and_b32_e32 v32, 7, v32
; %bb.704:                              ;   in Loop: Header=BB367_11 Depth=1
	s_or_b32 exec_lo, exec_lo, s20
	v_lshlrev_b32_e32 v8, 8, v62
	v_lshl_add_u32 v33, v63, 10, 0x2000
	s_delay_alu instid0(VALU_DEP_1) | instskip(NEXT) | instid1(VALU_DEP_1)
	v_and_or_b32 v8, 0x8000, v8, v33
	v_lshl_or_b32 v8, v32, 7, v8
	s_delay_alu instid0(VALU_DEP_1)
	v_cvt_f32_f16_e32 v125, v8
.LBB367_705:                            ;   in Loop: Header=BB367_11 Depth=1
	s_or_b32 exec_lo, exec_lo, s19
.LBB367_706:                            ;   in Loop: Header=BB367_11 Depth=1
	s_delay_alu instid0(SALU_CYCLE_1)
	s_or_b32 exec_lo, exec_lo, s18
.LBB367_707:                            ;   in Loop: Header=BB367_11 Depth=1
	s_delay_alu instid0(SALU_CYCLE_1)
	s_or_b32 exec_lo, exec_lo, s17
	v_dual_mov_b32 v104, 0 :: v_dual_mov_b32 v137, 0
	s_mov_b32 s17, exec_lo
	v_cmpx_lt_u64_e64 s[2:3], v[30:31]
	s_cbranch_execz .LBB367_715
; %bb.708:                              ;   in Loop: Header=BB367_11 Depth=1
	v_lshrrev_b32_e32 v32, 24, v31
	v_bfrev_b32_e32 v137, 1
	s_mov_b32 s18, exec_lo
	s_delay_alu instid0(VALU_DEP_2)
	v_cmpx_ne_u32_e32 0x80, v32
	s_cbranch_execz .LBB367_714
; %bb.709:                              ;   in Loop: Header=BB367_11 Depth=1
	v_and_b32_e32 v30, 0x7f, v32
	v_mov_b32_e32 v137, 0x7fc02000
	s_mov_b32 s19, exec_lo
	s_delay_alu instid0(VALU_DEP_2)
	v_cmpx_ne_u32_e32 0x7f, v30
	s_cbranch_execz .LBB367_713
; %bb.710:                              ;   in Loop: Header=BB367_11 Depth=1
	v_and_b32_e32 v8, 7, v32
	v_lshrrev_b32_e32 v33, 3, v30
	v_cmp_gt_u32_e64 s1, 8, v30
	s_delay_alu instid0(VALU_DEP_3) | instskip(NEXT) | instid1(VALU_DEP_2)
	v_dual_mov_b32 v31, v9 :: v_dual_mov_b32 v30, v8
	s_and_saveexec_b32 s20, s1
; %bb.711:                              ;   in Loop: Header=BB367_11 Depth=1
	v_clz_i32_u32_e32 v30, v8
	s_delay_alu instid0(VALU_DEP_1) | instskip(NEXT) | instid1(VALU_DEP_1)
	v_min_u32_e32 v33, 32, v30
	v_subrev_nc_u32_e32 v30, 28, v33
	v_sub_nc_u32_e32 v33, 29, v33
	s_delay_alu instid0(VALU_DEP_2) | instskip(NEXT) | instid1(VALU_DEP_1)
	v_lshlrev_b64 v[30:31], v30, v[8:9]
	v_and_b32_e32 v30, 7, v30
; %bb.712:                              ;   in Loop: Header=BB367_11 Depth=1
	s_or_b32 exec_lo, exec_lo, s20
	v_lshlrev_b32_e32 v8, 8, v32
	v_lshl_add_u32 v31, v33, 10, 0x2000
	s_delay_alu instid0(VALU_DEP_1) | instskip(NEXT) | instid1(VALU_DEP_1)
	v_and_or_b32 v8, 0x8000, v8, v31
	v_lshl_or_b32 v8, v30, 7, v8
	s_delay_alu instid0(VALU_DEP_1)
	v_cvt_f32_f16_e64 v137, v8
.LBB367_713:                            ;   in Loop: Header=BB367_11 Depth=1
	s_or_b32 exec_lo, exec_lo, s19
.LBB367_714:                            ;   in Loop: Header=BB367_11 Depth=1
	s_delay_alu instid0(SALU_CYCLE_1)
	s_or_b32 exec_lo, exec_lo, s18
.LBB367_715:                            ;   in Loop: Header=BB367_11 Depth=1
	s_delay_alu instid0(SALU_CYCLE_1) | instskip(SKIP_4) | instid1(VALU_DEP_1)
	s_or_b32 exec_lo, exec_lo, s17
	flat_load_b64 v[30:31], v[28:29] offset:2568
	s_mov_b32 s17, exec_lo
	s_waitcnt vmcnt(0) lgkmcnt(0)
	v_and_b32_e32 v8, 0xff, v30
	v_cmpx_ne_u16_e32 0, v8
	s_cbranch_execz .LBB367_723
; %bb.716:                              ;   in Loop: Header=BB367_11 Depth=1
	v_bfrev_b32_e32 v104, 1
	s_mov_b32 s18, exec_lo
	v_cmpx_ne_u16_e32 0x80, v8
	s_cbranch_execz .LBB367_722
; %bb.717:                              ;   in Loop: Header=BB367_11 Depth=1
	v_and_b32_e32 v32, 0x7f, v30
	v_mov_b32_e32 v104, 0x7fc02000
	s_mov_b32 s19, exec_lo
	s_delay_alu instid0(VALU_DEP_2)
	v_cmpx_ne_u32_e32 0x7f, v32
	s_cbranch_execz .LBB367_721
; %bb.718:                              ;   in Loop: Header=BB367_11 Depth=1
	v_lshrrev_b32_e32 v8, 3, v32
	v_cmp_gt_u32_e64 s1, 8, v32
	v_dual_mov_b32 v33, v31 :: v_dual_mov_b32 v32, v30
	s_delay_alu instid0(VALU_DEP_2)
	s_and_saveexec_b32 s20, s1
; %bb.719:                              ;   in Loop: Header=BB367_11 Depth=1
	v_and_b32_e32 v8, 7, v30
	s_delay_alu instid0(VALU_DEP_1) | instskip(NEXT) | instid1(VALU_DEP_1)
	v_clz_i32_u32_e32 v8, v8
	v_min_u32_e32 v8, 32, v8
	s_delay_alu instid0(VALU_DEP_1) | instskip(SKIP_1) | instid1(VALU_DEP_2)
	v_subrev_nc_u32_e32 v32, 28, v8
	v_sub_nc_u32_e32 v8, 29, v8
	v_lshlrev_b64 v[32:33], v32, v[30:31]
; %bb.720:                              ;   in Loop: Header=BB367_11 Depth=1
	s_or_b32 exec_lo, exec_lo, s20
	v_lshlrev_b32_e32 v33, 8, v30
	s_delay_alu instid0(VALU_DEP_3) | instskip(NEXT) | instid1(VALU_DEP_3)
	v_lshl_add_u32 v8, v8, 10, 0x2000
	v_lshlrev_b32_e32 v32, 7, v32
	s_delay_alu instid0(VALU_DEP_2) | instskip(NEXT) | instid1(VALU_DEP_1)
	v_and_or_b32 v8, 0x8000, v33, v8
	v_and_or_b32 v8, 0x380, v32, v8
	s_delay_alu instid0(VALU_DEP_1)
	v_cvt_f32_f16_e32 v104, v8
.LBB367_721:                            ;   in Loop: Header=BB367_11 Depth=1
	s_or_b32 exec_lo, exec_lo, s19
.LBB367_722:                            ;   in Loop: Header=BB367_11 Depth=1
	s_delay_alu instid0(SALU_CYCLE_1)
	s_or_b32 exec_lo, exec_lo, s18
.LBB367_723:                            ;   in Loop: Header=BB367_11 Depth=1
	s_delay_alu instid0(SALU_CYCLE_1) | instskip(SKIP_3) | instid1(VALU_DEP_2)
	s_or_b32 exec_lo, exec_lo, s17
	v_lshrrev_b16 v8, 8, v30
	v_dual_mov_b32 v105, 0 :: v_dual_mov_b32 v108, 0
	s_mov_b32 s17, exec_lo
	v_cmpx_ne_u16_e32 0, v8
	s_cbranch_execz .LBB367_731
; %bb.724:                              ;   in Loop: Header=BB367_11 Depth=1
	v_bfrev_b32_e32 v108, 1
	s_mov_b32 s18, exec_lo
	v_cmpx_ne_u16_e32 0x80, v8
	s_cbranch_execz .LBB367_730
; %bb.725:                              ;   in Loop: Header=BB367_11 Depth=1
	v_and_b32_e32 v62, 0xffff, v8
	v_mov_b32_e32 v108, 0x7fc02000
	s_mov_b32 s19, exec_lo
	s_delay_alu instid0(VALU_DEP_2) | instskip(NEXT) | instid1(VALU_DEP_1)
	v_and_b32_e32 v32, 0x7f, v62
	v_cmpx_ne_u32_e32 0x7f, v32
	s_cbranch_execz .LBB367_729
; %bb.726:                              ;   in Loop: Header=BB367_11 Depth=1
	v_and_b32_e32 v8, 7, v62
	v_lshrrev_b32_e32 v63, 3, v32
	v_cmp_gt_u32_e64 s1, 8, v32
	s_delay_alu instid0(VALU_DEP_3) | instskip(NEXT) | instid1(VALU_DEP_2)
	v_dual_mov_b32 v33, v9 :: v_dual_mov_b32 v32, v8
	s_and_saveexec_b32 s20, s1
; %bb.727:                              ;   in Loop: Header=BB367_11 Depth=1
	v_clz_i32_u32_e32 v32, v8
	s_delay_alu instid0(VALU_DEP_1) | instskip(NEXT) | instid1(VALU_DEP_1)
	v_min_u32_e32 v63, 32, v32
	v_subrev_nc_u32_e32 v32, 28, v63
	v_sub_nc_u32_e32 v63, 29, v63
	s_delay_alu instid0(VALU_DEP_2) | instskip(NEXT) | instid1(VALU_DEP_1)
	v_lshlrev_b64 v[32:33], v32, v[8:9]
	v_and_b32_e32 v32, 7, v32
; %bb.728:                              ;   in Loop: Header=BB367_11 Depth=1
	s_or_b32 exec_lo, exec_lo, s20
	v_lshlrev_b32_e32 v8, 8, v62
	v_lshl_add_u32 v33, v63, 10, 0x2000
	s_delay_alu instid0(VALU_DEP_1) | instskip(NEXT) | instid1(VALU_DEP_1)
	v_and_or_b32 v8, 0x8000, v8, v33
	v_lshl_or_b32 v8, v32, 7, v8
	s_delay_alu instid0(VALU_DEP_1)
	v_cvt_f32_f16_e32 v108, v8
.LBB367_729:                            ;   in Loop: Header=BB367_11 Depth=1
	s_or_b32 exec_lo, exec_lo, s19
.LBB367_730:                            ;   in Loop: Header=BB367_11 Depth=1
	s_delay_alu instid0(SALU_CYCLE_1)
	s_or_b32 exec_lo, exec_lo, s18
.LBB367_731:                            ;   in Loop: Header=BB367_11 Depth=1
	s_delay_alu instid0(SALU_CYCLE_1) | instskip(SKIP_2) | instid1(VALU_DEP_1)
	s_or_b32 exec_lo, exec_lo, s17
	v_lshrrev_b32_e32 v62, 16, v30
	s_mov_b32 s17, exec_lo
	v_and_b32_e32 v8, 0xff, v62
	s_delay_alu instid0(VALU_DEP_1)
	v_cmpx_ne_u16_e32 0, v8
	s_cbranch_execz .LBB367_739
; %bb.732:                              ;   in Loop: Header=BB367_11 Depth=1
	v_bfrev_b32_e32 v105, 1
	s_mov_b32 s18, exec_lo
	v_cmpx_ne_u16_e32 0x80, v8
	s_cbranch_execz .LBB367_738
; %bb.733:                              ;   in Loop: Header=BB367_11 Depth=1
	v_bfe_u32 v32, v30, 16, 7
	v_mov_b32_e32 v105, 0x7fc02000
	s_mov_b32 s19, exec_lo
	s_delay_alu instid0(VALU_DEP_2)
	v_cmpx_ne_u32_e32 0x7f, v32
	s_cbranch_execz .LBB367_737
; %bb.734:                              ;   in Loop: Header=BB367_11 Depth=1
	v_and_b32_e32 v8, 7, v62
	v_lshrrev_b32_e32 v63, 3, v32
	v_cmp_gt_u32_e64 s1, 8, v32
	s_delay_alu instid0(VALU_DEP_3) | instskip(NEXT) | instid1(VALU_DEP_2)
	v_dual_mov_b32 v33, v9 :: v_dual_mov_b32 v32, v8
	s_and_saveexec_b32 s20, s1
; %bb.735:                              ;   in Loop: Header=BB367_11 Depth=1
	v_clz_i32_u32_e32 v32, v8
	s_delay_alu instid0(VALU_DEP_1) | instskip(NEXT) | instid1(VALU_DEP_1)
	v_min_u32_e32 v63, 32, v32
	v_subrev_nc_u32_e32 v32, 28, v63
	v_sub_nc_u32_e32 v63, 29, v63
	s_delay_alu instid0(VALU_DEP_2) | instskip(NEXT) | instid1(VALU_DEP_1)
	v_lshlrev_b64 v[32:33], v32, v[8:9]
	v_and_b32_e32 v32, 7, v32
; %bb.736:                              ;   in Loop: Header=BB367_11 Depth=1
	s_or_b32 exec_lo, exec_lo, s20
	v_lshlrev_b32_e32 v8, 8, v62
	v_lshl_add_u32 v33, v63, 10, 0x2000
	s_delay_alu instid0(VALU_DEP_1) | instskip(NEXT) | instid1(VALU_DEP_1)
	v_and_or_b32 v8, 0x8000, v8, v33
	v_lshl_or_b32 v8, v32, 7, v8
	s_delay_alu instid0(VALU_DEP_1)
	v_cvt_f32_f16_e32 v105, v8
.LBB367_737:                            ;   in Loop: Header=BB367_11 Depth=1
	s_or_b32 exec_lo, exec_lo, s19
.LBB367_738:                            ;   in Loop: Header=BB367_11 Depth=1
	s_delay_alu instid0(SALU_CYCLE_1)
	s_or_b32 exec_lo, exec_lo, s18
.LBB367_739:                            ;   in Loop: Header=BB367_11 Depth=1
	s_delay_alu instid0(SALU_CYCLE_1)
	s_or_b32 exec_lo, exec_lo, s17
	v_dual_mov_b32 v109, 0 :: v_dual_mov_b32 v110, 0
	s_mov_b32 s17, exec_lo
	v_cmpx_lt_u32_e32 0xffffff, v30
	s_cbranch_execz .LBB367_747
; %bb.740:                              ;   in Loop: Header=BB367_11 Depth=1
	v_lshrrev_b32_e32 v62, 24, v30
	v_bfrev_b32_e32 v110, 1
	s_mov_b32 s18, exec_lo
	s_delay_alu instid0(VALU_DEP_2)
	v_cmpx_ne_u32_e32 0x80, v62
	s_cbranch_execz .LBB367_746
; %bb.741:                              ;   in Loop: Header=BB367_11 Depth=1
	v_and_b32_e32 v32, 0x7f, v62
	v_mov_b32_e32 v110, 0x7fc02000
	s_mov_b32 s19, exec_lo
	s_delay_alu instid0(VALU_DEP_2)
	v_cmpx_ne_u32_e32 0x7f, v32
	s_cbranch_execz .LBB367_745
; %bb.742:                              ;   in Loop: Header=BB367_11 Depth=1
	v_and_b32_e32 v8, 7, v62
	v_lshrrev_b32_e32 v63, 3, v32
	v_cmp_gt_u32_e64 s1, 8, v32
	s_delay_alu instid0(VALU_DEP_3) | instskip(NEXT) | instid1(VALU_DEP_2)
	v_dual_mov_b32 v33, v9 :: v_dual_mov_b32 v32, v8
	s_and_saveexec_b32 s20, s1
; %bb.743:                              ;   in Loop: Header=BB367_11 Depth=1
	v_clz_i32_u32_e32 v32, v8
	s_delay_alu instid0(VALU_DEP_1) | instskip(NEXT) | instid1(VALU_DEP_1)
	v_min_u32_e32 v63, 32, v32
	v_subrev_nc_u32_e32 v32, 28, v63
	v_sub_nc_u32_e32 v63, 29, v63
	s_delay_alu instid0(VALU_DEP_2) | instskip(NEXT) | instid1(VALU_DEP_1)
	v_lshlrev_b64 v[32:33], v32, v[8:9]
	v_and_b32_e32 v32, 7, v32
; %bb.744:                              ;   in Loop: Header=BB367_11 Depth=1
	s_or_b32 exec_lo, exec_lo, s20
	v_lshlrev_b32_e32 v8, 8, v62
	v_lshl_add_u32 v33, v63, 10, 0x2000
	s_delay_alu instid0(VALU_DEP_1) | instskip(NEXT) | instid1(VALU_DEP_1)
	v_and_or_b32 v8, 0x8000, v8, v33
	v_lshl_or_b32 v8, v32, 7, v8
	s_delay_alu instid0(VALU_DEP_1)
	v_cvt_f32_f16_e32 v110, v8
.LBB367_745:                            ;   in Loop: Header=BB367_11 Depth=1
	s_or_b32 exec_lo, exec_lo, s19
.LBB367_746:                            ;   in Loop: Header=BB367_11 Depth=1
	s_delay_alu instid0(SALU_CYCLE_1)
	s_or_b32 exec_lo, exec_lo, s18
.LBB367_747:                            ;   in Loop: Header=BB367_11 Depth=1
	s_delay_alu instid0(SALU_CYCLE_1) | instskip(SKIP_3) | instid1(VALU_DEP_2)
	s_or_b32 exec_lo, exec_lo, s17
	v_and_b32_e32 v32, 0xff, v31
	v_mov_b32_e32 v8, v31
	s_mov_b32 s17, exec_lo
	v_cmpx_ne_u16_e32 0, v32
	s_cbranch_execz .LBB367_755
; %bb.748:                              ;   in Loop: Header=BB367_11 Depth=1
	v_bfrev_b32_e32 v109, 1
	s_mov_b32 s18, exec_lo
	v_cmpx_ne_u16_e32 0x80, v32
	s_cbranch_execz .LBB367_754
; %bb.749:                              ;   in Loop: Header=BB367_11 Depth=1
	v_and_b32_e32 v32, 0x7f, v31
	v_mov_b32_e32 v109, 0x7fc02000
	s_mov_b32 s19, exec_lo
	s_delay_alu instid0(VALU_DEP_2)
	v_cmpx_ne_u32_e32 0x7f, v32
	s_cbranch_execz .LBB367_753
; %bb.750:                              ;   in Loop: Header=BB367_11 Depth=1
	v_lshrrev_b32_e32 v62, 3, v32
	v_cmp_gt_u32_e64 s1, 8, v32
	v_dual_mov_b32 v33, v9 :: v_dual_mov_b32 v32, v8
	s_delay_alu instid0(VALU_DEP_2)
	s_and_saveexec_b32 s20, s1
; %bb.751:                              ;   in Loop: Header=BB367_11 Depth=1
	v_and_b32_e32 v32, 7, v31
	s_delay_alu instid0(VALU_DEP_1) | instskip(NEXT) | instid1(VALU_DEP_1)
	v_clz_i32_u32_e32 v32, v32
	v_min_u32_e32 v62, 32, v32
	s_delay_alu instid0(VALU_DEP_1) | instskip(SKIP_1) | instid1(VALU_DEP_2)
	v_subrev_nc_u32_e32 v32, 28, v62
	v_sub_nc_u32_e32 v62, 29, v62
	v_lshlrev_b64 v[32:33], v32, v[8:9]
; %bb.752:                              ;   in Loop: Header=BB367_11 Depth=1
	s_or_b32 exec_lo, exec_lo, s20
	v_lshlrev_b32_e32 v33, 8, v31
	s_delay_alu instid0(VALU_DEP_3) | instskip(NEXT) | instid1(VALU_DEP_3)
	v_lshl_add_u32 v62, v62, 10, 0x2000
	v_lshlrev_b32_e32 v32, 7, v32
	s_delay_alu instid0(VALU_DEP_2) | instskip(NEXT) | instid1(VALU_DEP_1)
	v_and_or_b32 v33, 0x8000, v33, v62
	v_and_or_b32 v32, 0x380, v32, v33
	s_delay_alu instid0(VALU_DEP_1)
	v_cvt_f32_f16_e32 v109, v32
.LBB367_753:                            ;   in Loop: Header=BB367_11 Depth=1
	s_or_b32 exec_lo, exec_lo, s19
.LBB367_754:                            ;   in Loop: Header=BB367_11 Depth=1
	s_delay_alu instid0(SALU_CYCLE_1)
	s_or_b32 exec_lo, exec_lo, s18
.LBB367_755:                            ;   in Loop: Header=BB367_11 Depth=1
	s_delay_alu instid0(SALU_CYCLE_1) | instskip(SKIP_3) | instid1(VALU_DEP_2)
	s_or_b32 exec_lo, exec_lo, s17
	v_lshrrev_b16 v8, 8, v8
	v_dual_mov_b32 v124, 0 :: v_dual_mov_b32 v127, 0
	s_mov_b32 s17, exec_lo
	v_cmpx_ne_u16_e32 0, v8
	s_cbranch_execz .LBB367_763
; %bb.756:                              ;   in Loop: Header=BB367_11 Depth=1
	v_bfrev_b32_e32 v127, 1
	s_mov_b32 s18, exec_lo
	v_cmpx_ne_u16_e32 0x80, v8
	s_cbranch_execz .LBB367_762
; %bb.757:                              ;   in Loop: Header=BB367_11 Depth=1
	v_and_b32_e32 v62, 0xffff, v8
	v_mov_b32_e32 v127, 0x7fc02000
	s_mov_b32 s19, exec_lo
	s_delay_alu instid0(VALU_DEP_2) | instskip(NEXT) | instid1(VALU_DEP_1)
	v_and_b32_e32 v32, 0x7f, v62
	v_cmpx_ne_u32_e32 0x7f, v32
	s_cbranch_execz .LBB367_761
; %bb.758:                              ;   in Loop: Header=BB367_11 Depth=1
	v_and_b32_e32 v8, 7, v62
	v_lshrrev_b32_e32 v63, 3, v32
	v_cmp_gt_u32_e64 s1, 8, v32
	s_delay_alu instid0(VALU_DEP_3) | instskip(NEXT) | instid1(VALU_DEP_2)
	v_dual_mov_b32 v33, v9 :: v_dual_mov_b32 v32, v8
	s_and_saveexec_b32 s20, s1
; %bb.759:                              ;   in Loop: Header=BB367_11 Depth=1
	v_clz_i32_u32_e32 v32, v8
	s_delay_alu instid0(VALU_DEP_1) | instskip(NEXT) | instid1(VALU_DEP_1)
	v_min_u32_e32 v63, 32, v32
	v_subrev_nc_u32_e32 v32, 28, v63
	v_sub_nc_u32_e32 v63, 29, v63
	s_delay_alu instid0(VALU_DEP_2) | instskip(NEXT) | instid1(VALU_DEP_1)
	v_lshlrev_b64 v[32:33], v32, v[8:9]
	v_and_b32_e32 v32, 7, v32
; %bb.760:                              ;   in Loop: Header=BB367_11 Depth=1
	s_or_b32 exec_lo, exec_lo, s20
	v_lshlrev_b32_e32 v8, 8, v62
	v_lshl_add_u32 v33, v63, 10, 0x2000
	s_delay_alu instid0(VALU_DEP_1) | instskip(NEXT) | instid1(VALU_DEP_1)
	v_and_or_b32 v8, 0x8000, v8, v33
	v_lshl_or_b32 v8, v32, 7, v8
	s_delay_alu instid0(VALU_DEP_1)
	v_cvt_f32_f16_e32 v127, v8
.LBB367_761:                            ;   in Loop: Header=BB367_11 Depth=1
	s_or_b32 exec_lo, exec_lo, s19
.LBB367_762:                            ;   in Loop: Header=BB367_11 Depth=1
	s_delay_alu instid0(SALU_CYCLE_1)
	s_or_b32 exec_lo, exec_lo, s18
.LBB367_763:                            ;   in Loop: Header=BB367_11 Depth=1
	s_delay_alu instid0(SALU_CYCLE_1) | instskip(SKIP_2) | instid1(VALU_DEP_1)
	s_or_b32 exec_lo, exec_lo, s17
	v_lshrrev_b32_e32 v62, 16, v31
	s_mov_b32 s17, exec_lo
	v_and_b32_e32 v8, 0xff, v62
	s_delay_alu instid0(VALU_DEP_1)
	v_cmpx_ne_u16_e32 0, v8
	s_cbranch_execz .LBB367_771
; %bb.764:                              ;   in Loop: Header=BB367_11 Depth=1
	v_bfrev_b32_e32 v124, 1
	s_mov_b32 s18, exec_lo
	v_cmpx_ne_u16_e32 0x80, v8
	s_cbranch_execz .LBB367_770
; %bb.765:                              ;   in Loop: Header=BB367_11 Depth=1
	v_bfe_u32 v32, v31, 16, 7
	v_mov_b32_e32 v124, 0x7fc02000
	s_mov_b32 s19, exec_lo
	s_delay_alu instid0(VALU_DEP_2)
	v_cmpx_ne_u32_e32 0x7f, v32
	s_cbranch_execz .LBB367_769
; %bb.766:                              ;   in Loop: Header=BB367_11 Depth=1
	v_and_b32_e32 v8, 7, v62
	v_lshrrev_b32_e32 v63, 3, v32
	v_cmp_gt_u32_e64 s1, 8, v32
	s_delay_alu instid0(VALU_DEP_3) | instskip(NEXT) | instid1(VALU_DEP_2)
	v_dual_mov_b32 v33, v9 :: v_dual_mov_b32 v32, v8
	s_and_saveexec_b32 s20, s1
; %bb.767:                              ;   in Loop: Header=BB367_11 Depth=1
	v_clz_i32_u32_e32 v32, v8
	s_delay_alu instid0(VALU_DEP_1) | instskip(NEXT) | instid1(VALU_DEP_1)
	v_min_u32_e32 v63, 32, v32
	v_subrev_nc_u32_e32 v32, 28, v63
	v_sub_nc_u32_e32 v63, 29, v63
	s_delay_alu instid0(VALU_DEP_2) | instskip(NEXT) | instid1(VALU_DEP_1)
	v_lshlrev_b64 v[32:33], v32, v[8:9]
	v_and_b32_e32 v32, 7, v32
; %bb.768:                              ;   in Loop: Header=BB367_11 Depth=1
	s_or_b32 exec_lo, exec_lo, s20
	v_lshlrev_b32_e32 v8, 8, v62
	v_lshl_add_u32 v33, v63, 10, 0x2000
	s_delay_alu instid0(VALU_DEP_1) | instskip(NEXT) | instid1(VALU_DEP_1)
	v_and_or_b32 v8, 0x8000, v8, v33
	v_lshl_or_b32 v8, v32, 7, v8
	s_delay_alu instid0(VALU_DEP_1)
	v_cvt_f32_f16_e32 v124, v8
.LBB367_769:                            ;   in Loop: Header=BB367_11 Depth=1
	s_or_b32 exec_lo, exec_lo, s19
.LBB367_770:                            ;   in Loop: Header=BB367_11 Depth=1
	s_delay_alu instid0(SALU_CYCLE_1)
	s_or_b32 exec_lo, exec_lo, s18
.LBB367_771:                            ;   in Loop: Header=BB367_11 Depth=1
	s_delay_alu instid0(SALU_CYCLE_1)
	s_or_b32 exec_lo, exec_lo, s17
	v_mov_b32_e32 v78, 0
	v_mov_b32_e32 v136, 0
	s_mov_b32 s17, exec_lo
	v_cmpx_lt_u64_e64 s[2:3], v[30:31]
	s_cbranch_execz .LBB367_779
; %bb.772:                              ;   in Loop: Header=BB367_11 Depth=1
	v_lshrrev_b32_e32 v32, 24, v31
	v_bfrev_b32_e32 v136, 1
	s_mov_b32 s18, exec_lo
	s_delay_alu instid0(VALU_DEP_2)
	v_cmpx_ne_u32_e32 0x80, v32
	s_cbranch_execz .LBB367_778
; %bb.773:                              ;   in Loop: Header=BB367_11 Depth=1
	v_and_b32_e32 v30, 0x7f, v32
	v_mov_b32_e32 v136, 0x7fc02000
	s_mov_b32 s19, exec_lo
	s_delay_alu instid0(VALU_DEP_2)
	v_cmpx_ne_u32_e32 0x7f, v30
	s_cbranch_execz .LBB367_777
; %bb.774:                              ;   in Loop: Header=BB367_11 Depth=1
	v_and_b32_e32 v8, 7, v32
	v_lshrrev_b32_e32 v33, 3, v30
	v_cmp_gt_u32_e64 s1, 8, v30
	s_delay_alu instid0(VALU_DEP_3) | instskip(NEXT) | instid1(VALU_DEP_2)
	v_dual_mov_b32 v31, v9 :: v_dual_mov_b32 v30, v8
	s_and_saveexec_b32 s20, s1
; %bb.775:                              ;   in Loop: Header=BB367_11 Depth=1
	v_clz_i32_u32_e32 v30, v8
	s_delay_alu instid0(VALU_DEP_1) | instskip(NEXT) | instid1(VALU_DEP_1)
	v_min_u32_e32 v33, 32, v30
	v_subrev_nc_u32_e32 v30, 28, v33
	v_sub_nc_u32_e32 v33, 29, v33
	s_delay_alu instid0(VALU_DEP_2) | instskip(NEXT) | instid1(VALU_DEP_1)
	v_lshlrev_b64 v[30:31], v30, v[8:9]
	v_and_b32_e32 v30, 7, v30
; %bb.776:                              ;   in Loop: Header=BB367_11 Depth=1
	s_or_b32 exec_lo, exec_lo, s20
	v_lshlrev_b32_e32 v8, 8, v32
	v_lshl_add_u32 v31, v33, 10, 0x2000
	s_delay_alu instid0(VALU_DEP_1) | instskip(NEXT) | instid1(VALU_DEP_1)
	v_and_or_b32 v8, 0x8000, v8, v31
	v_lshl_or_b32 v8, v30, 7, v8
	s_delay_alu instid0(VALU_DEP_1)
	v_cvt_f32_f16_e64 v136, v8
.LBB367_777:                            ;   in Loop: Header=BB367_11 Depth=1
	s_or_b32 exec_lo, exec_lo, s19
.LBB367_778:                            ;   in Loop: Header=BB367_11 Depth=1
	s_delay_alu instid0(SALU_CYCLE_1)
	s_or_b32 exec_lo, exec_lo, s18
.LBB367_779:                            ;   in Loop: Header=BB367_11 Depth=1
	s_delay_alu instid0(SALU_CYCLE_1) | instskip(SKIP_4) | instid1(VALU_DEP_1)
	s_or_b32 exec_lo, exec_lo, s17
	flat_load_b64 v[30:31], v[28:29] offset:3072
	s_mov_b32 s17, exec_lo
	s_waitcnt vmcnt(0) lgkmcnt(0)
	v_and_b32_e32 v8, 0xff, v30
	v_cmpx_ne_u16_e32 0, v8
	s_cbranch_execz .LBB367_787
; %bb.780:                              ;   in Loop: Header=BB367_11 Depth=1
	v_bfrev_b32_e32 v78, 1
	s_mov_b32 s18, exec_lo
	v_cmpx_ne_u16_e32 0x80, v8
	s_cbranch_execz .LBB367_786
; %bb.781:                              ;   in Loop: Header=BB367_11 Depth=1
	v_and_b32_e32 v32, 0x7f, v30
	v_mov_b32_e32 v78, 0x7fc02000
	s_mov_b32 s19, exec_lo
	s_delay_alu instid0(VALU_DEP_2)
	v_cmpx_ne_u32_e32 0x7f, v32
	s_cbranch_execz .LBB367_785
; %bb.782:                              ;   in Loop: Header=BB367_11 Depth=1
	v_lshrrev_b32_e32 v8, 3, v32
	v_cmp_gt_u32_e64 s1, 8, v32
	v_dual_mov_b32 v33, v31 :: v_dual_mov_b32 v32, v30
	s_delay_alu instid0(VALU_DEP_2)
	s_and_saveexec_b32 s20, s1
; %bb.783:                              ;   in Loop: Header=BB367_11 Depth=1
	v_and_b32_e32 v8, 7, v30
	s_delay_alu instid0(VALU_DEP_1) | instskip(NEXT) | instid1(VALU_DEP_1)
	v_clz_i32_u32_e32 v8, v8
	v_min_u32_e32 v8, 32, v8
	s_delay_alu instid0(VALU_DEP_1) | instskip(SKIP_1) | instid1(VALU_DEP_2)
	v_subrev_nc_u32_e32 v32, 28, v8
	v_sub_nc_u32_e32 v8, 29, v8
	v_lshlrev_b64 v[32:33], v32, v[30:31]
; %bb.784:                              ;   in Loop: Header=BB367_11 Depth=1
	s_or_b32 exec_lo, exec_lo, s20
	v_lshlrev_b32_e32 v33, 8, v30
	s_delay_alu instid0(VALU_DEP_3) | instskip(NEXT) | instid1(VALU_DEP_3)
	v_lshl_add_u32 v8, v8, 10, 0x2000
	v_lshlrev_b32_e32 v32, 7, v32
	s_delay_alu instid0(VALU_DEP_2) | instskip(NEXT) | instid1(VALU_DEP_1)
	v_and_or_b32 v8, 0x8000, v33, v8
	v_and_or_b32 v8, 0x380, v32, v8
	s_delay_alu instid0(VALU_DEP_1)
	v_cvt_f32_f16_e32 v78, v8
.LBB367_785:                            ;   in Loop: Header=BB367_11 Depth=1
	s_or_b32 exec_lo, exec_lo, s19
.LBB367_786:                            ;   in Loop: Header=BB367_11 Depth=1
	s_delay_alu instid0(SALU_CYCLE_1)
	s_or_b32 exec_lo, exec_lo, s18
.LBB367_787:                            ;   in Loop: Header=BB367_11 Depth=1
	s_delay_alu instid0(SALU_CYCLE_1) | instskip(SKIP_3) | instid1(VALU_DEP_2)
	s_or_b32 exec_lo, exec_lo, s17
	v_lshrrev_b16 v8, 8, v30
	v_dual_mov_b32 v79, 0 :: v_dual_mov_b32 v88, 0
	s_mov_b32 s17, exec_lo
	v_cmpx_ne_u16_e32 0, v8
	s_cbranch_execz .LBB367_795
; %bb.788:                              ;   in Loop: Header=BB367_11 Depth=1
	v_bfrev_b32_e32 v88, 1
	s_mov_b32 s18, exec_lo
	v_cmpx_ne_u16_e32 0x80, v8
	s_cbranch_execz .LBB367_794
; %bb.789:                              ;   in Loop: Header=BB367_11 Depth=1
	v_and_b32_e32 v62, 0xffff, v8
	v_mov_b32_e32 v88, 0x7fc02000
	s_mov_b32 s19, exec_lo
	s_delay_alu instid0(VALU_DEP_2) | instskip(NEXT) | instid1(VALU_DEP_1)
	v_and_b32_e32 v32, 0x7f, v62
	v_cmpx_ne_u32_e32 0x7f, v32
	s_cbranch_execz .LBB367_793
; %bb.790:                              ;   in Loop: Header=BB367_11 Depth=1
	v_and_b32_e32 v8, 7, v62
	v_lshrrev_b32_e32 v63, 3, v32
	v_cmp_gt_u32_e64 s1, 8, v32
	s_delay_alu instid0(VALU_DEP_3) | instskip(NEXT) | instid1(VALU_DEP_2)
	v_dual_mov_b32 v33, v9 :: v_dual_mov_b32 v32, v8
	s_and_saveexec_b32 s20, s1
; %bb.791:                              ;   in Loop: Header=BB367_11 Depth=1
	v_clz_i32_u32_e32 v32, v8
	s_delay_alu instid0(VALU_DEP_1) | instskip(NEXT) | instid1(VALU_DEP_1)
	v_min_u32_e32 v63, 32, v32
	v_subrev_nc_u32_e32 v32, 28, v63
	v_sub_nc_u32_e32 v63, 29, v63
	s_delay_alu instid0(VALU_DEP_2) | instskip(NEXT) | instid1(VALU_DEP_1)
	v_lshlrev_b64 v[32:33], v32, v[8:9]
	v_and_b32_e32 v32, 7, v32
; %bb.792:                              ;   in Loop: Header=BB367_11 Depth=1
	s_or_b32 exec_lo, exec_lo, s20
	v_lshlrev_b32_e32 v8, 8, v62
	v_lshl_add_u32 v33, v63, 10, 0x2000
	s_delay_alu instid0(VALU_DEP_1) | instskip(NEXT) | instid1(VALU_DEP_1)
	v_and_or_b32 v8, 0x8000, v8, v33
	v_lshl_or_b32 v8, v32, 7, v8
	s_delay_alu instid0(VALU_DEP_1)
	v_cvt_f32_f16_e32 v88, v8
.LBB367_793:                            ;   in Loop: Header=BB367_11 Depth=1
	s_or_b32 exec_lo, exec_lo, s19
.LBB367_794:                            ;   in Loop: Header=BB367_11 Depth=1
	s_delay_alu instid0(SALU_CYCLE_1)
	s_or_b32 exec_lo, exec_lo, s18
.LBB367_795:                            ;   in Loop: Header=BB367_11 Depth=1
	s_delay_alu instid0(SALU_CYCLE_1) | instskip(SKIP_2) | instid1(VALU_DEP_1)
	s_or_b32 exec_lo, exec_lo, s17
	v_lshrrev_b32_e32 v62, 16, v30
	s_mov_b32 s17, exec_lo
	v_and_b32_e32 v8, 0xff, v62
	s_delay_alu instid0(VALU_DEP_1)
	v_cmpx_ne_u16_e32 0, v8
	s_cbranch_execz .LBB367_803
; %bb.796:                              ;   in Loop: Header=BB367_11 Depth=1
	v_bfrev_b32_e32 v79, 1
	s_mov_b32 s18, exec_lo
	v_cmpx_ne_u16_e32 0x80, v8
	s_cbranch_execz .LBB367_802
; %bb.797:                              ;   in Loop: Header=BB367_11 Depth=1
	v_bfe_u32 v32, v30, 16, 7
	v_mov_b32_e32 v79, 0x7fc02000
	s_mov_b32 s19, exec_lo
	s_delay_alu instid0(VALU_DEP_2)
	v_cmpx_ne_u32_e32 0x7f, v32
	s_cbranch_execz .LBB367_801
; %bb.798:                              ;   in Loop: Header=BB367_11 Depth=1
	v_and_b32_e32 v8, 7, v62
	v_lshrrev_b32_e32 v63, 3, v32
	v_cmp_gt_u32_e64 s1, 8, v32
	s_delay_alu instid0(VALU_DEP_3) | instskip(NEXT) | instid1(VALU_DEP_2)
	v_dual_mov_b32 v33, v9 :: v_dual_mov_b32 v32, v8
	s_and_saveexec_b32 s20, s1
; %bb.799:                              ;   in Loop: Header=BB367_11 Depth=1
	v_clz_i32_u32_e32 v32, v8
	s_delay_alu instid0(VALU_DEP_1) | instskip(NEXT) | instid1(VALU_DEP_1)
	v_min_u32_e32 v63, 32, v32
	v_subrev_nc_u32_e32 v32, 28, v63
	v_sub_nc_u32_e32 v63, 29, v63
	s_delay_alu instid0(VALU_DEP_2) | instskip(NEXT) | instid1(VALU_DEP_1)
	v_lshlrev_b64 v[32:33], v32, v[8:9]
	v_and_b32_e32 v32, 7, v32
; %bb.800:                              ;   in Loop: Header=BB367_11 Depth=1
	s_or_b32 exec_lo, exec_lo, s20
	v_lshlrev_b32_e32 v8, 8, v62
	v_lshl_add_u32 v33, v63, 10, 0x2000
	s_delay_alu instid0(VALU_DEP_1) | instskip(NEXT) | instid1(VALU_DEP_1)
	v_and_or_b32 v8, 0x8000, v8, v33
	v_lshl_or_b32 v8, v32, 7, v8
	s_delay_alu instid0(VALU_DEP_1)
	v_cvt_f32_f16_e32 v79, v8
.LBB367_801:                            ;   in Loop: Header=BB367_11 Depth=1
	s_or_b32 exec_lo, exec_lo, s19
.LBB367_802:                            ;   in Loop: Header=BB367_11 Depth=1
	s_delay_alu instid0(SALU_CYCLE_1)
	s_or_b32 exec_lo, exec_lo, s18
.LBB367_803:                            ;   in Loop: Header=BB367_11 Depth=1
	s_delay_alu instid0(SALU_CYCLE_1)
	s_or_b32 exec_lo, exec_lo, s17
	v_dual_mov_b32 v89, 0 :: v_dual_mov_b32 v90, 0
	s_mov_b32 s17, exec_lo
	v_cmpx_lt_u32_e32 0xffffff, v30
	s_cbranch_execz .LBB367_811
; %bb.804:                              ;   in Loop: Header=BB367_11 Depth=1
	v_lshrrev_b32_e32 v62, 24, v30
	v_bfrev_b32_e32 v90, 1
	s_mov_b32 s18, exec_lo
	s_delay_alu instid0(VALU_DEP_2)
	v_cmpx_ne_u32_e32 0x80, v62
	s_cbranch_execz .LBB367_810
; %bb.805:                              ;   in Loop: Header=BB367_11 Depth=1
	v_and_b32_e32 v32, 0x7f, v62
	v_mov_b32_e32 v90, 0x7fc02000
	s_mov_b32 s19, exec_lo
	s_delay_alu instid0(VALU_DEP_2)
	v_cmpx_ne_u32_e32 0x7f, v32
	s_cbranch_execz .LBB367_809
; %bb.806:                              ;   in Loop: Header=BB367_11 Depth=1
	v_and_b32_e32 v8, 7, v62
	v_lshrrev_b32_e32 v63, 3, v32
	v_cmp_gt_u32_e64 s1, 8, v32
	s_delay_alu instid0(VALU_DEP_3) | instskip(NEXT) | instid1(VALU_DEP_2)
	v_dual_mov_b32 v33, v9 :: v_dual_mov_b32 v32, v8
	s_and_saveexec_b32 s20, s1
; %bb.807:                              ;   in Loop: Header=BB367_11 Depth=1
	v_clz_i32_u32_e32 v32, v8
	s_delay_alu instid0(VALU_DEP_1) | instskip(NEXT) | instid1(VALU_DEP_1)
	v_min_u32_e32 v63, 32, v32
	v_subrev_nc_u32_e32 v32, 28, v63
	v_sub_nc_u32_e32 v63, 29, v63
	s_delay_alu instid0(VALU_DEP_2) | instskip(NEXT) | instid1(VALU_DEP_1)
	v_lshlrev_b64 v[32:33], v32, v[8:9]
	v_and_b32_e32 v32, 7, v32
; %bb.808:                              ;   in Loop: Header=BB367_11 Depth=1
	s_or_b32 exec_lo, exec_lo, s20
	v_lshlrev_b32_e32 v8, 8, v62
	v_lshl_add_u32 v33, v63, 10, 0x2000
	s_delay_alu instid0(VALU_DEP_1) | instskip(NEXT) | instid1(VALU_DEP_1)
	v_and_or_b32 v8, 0x8000, v8, v33
	v_lshl_or_b32 v8, v32, 7, v8
	s_delay_alu instid0(VALU_DEP_1)
	v_cvt_f32_f16_e32 v90, v8
.LBB367_809:                            ;   in Loop: Header=BB367_11 Depth=1
	s_or_b32 exec_lo, exec_lo, s19
.LBB367_810:                            ;   in Loop: Header=BB367_11 Depth=1
	s_delay_alu instid0(SALU_CYCLE_1)
	s_or_b32 exec_lo, exec_lo, s18
.LBB367_811:                            ;   in Loop: Header=BB367_11 Depth=1
	s_delay_alu instid0(SALU_CYCLE_1) | instskip(SKIP_3) | instid1(VALU_DEP_2)
	s_or_b32 exec_lo, exec_lo, s17
	v_and_b32_e32 v32, 0xff, v31
	v_mov_b32_e32 v8, v31
	s_mov_b32 s17, exec_lo
	v_cmpx_ne_u16_e32 0, v32
	s_cbranch_execz .LBB367_819
; %bb.812:                              ;   in Loop: Header=BB367_11 Depth=1
	v_bfrev_b32_e32 v89, 1
	s_mov_b32 s18, exec_lo
	v_cmpx_ne_u16_e32 0x80, v32
	s_cbranch_execz .LBB367_818
; %bb.813:                              ;   in Loop: Header=BB367_11 Depth=1
	v_and_b32_e32 v32, 0x7f, v31
	v_mov_b32_e32 v89, 0x7fc02000
	s_mov_b32 s19, exec_lo
	s_delay_alu instid0(VALU_DEP_2)
	v_cmpx_ne_u32_e32 0x7f, v32
	s_cbranch_execz .LBB367_817
; %bb.814:                              ;   in Loop: Header=BB367_11 Depth=1
	v_lshrrev_b32_e32 v62, 3, v32
	v_cmp_gt_u32_e64 s1, 8, v32
	v_dual_mov_b32 v33, v9 :: v_dual_mov_b32 v32, v8
	s_delay_alu instid0(VALU_DEP_2)
	s_and_saveexec_b32 s20, s1
; %bb.815:                              ;   in Loop: Header=BB367_11 Depth=1
	v_and_b32_e32 v32, 7, v31
	s_delay_alu instid0(VALU_DEP_1) | instskip(NEXT) | instid1(VALU_DEP_1)
	v_clz_i32_u32_e32 v32, v32
	v_min_u32_e32 v62, 32, v32
	s_delay_alu instid0(VALU_DEP_1) | instskip(SKIP_1) | instid1(VALU_DEP_2)
	v_subrev_nc_u32_e32 v32, 28, v62
	v_sub_nc_u32_e32 v62, 29, v62
	v_lshlrev_b64 v[32:33], v32, v[8:9]
; %bb.816:                              ;   in Loop: Header=BB367_11 Depth=1
	s_or_b32 exec_lo, exec_lo, s20
	v_lshlrev_b32_e32 v33, 8, v31
	s_delay_alu instid0(VALU_DEP_3) | instskip(NEXT) | instid1(VALU_DEP_3)
	v_lshl_add_u32 v62, v62, 10, 0x2000
	v_lshlrev_b32_e32 v32, 7, v32
	s_delay_alu instid0(VALU_DEP_2) | instskip(NEXT) | instid1(VALU_DEP_1)
	v_and_or_b32 v33, 0x8000, v33, v62
	v_and_or_b32 v32, 0x380, v32, v33
	s_delay_alu instid0(VALU_DEP_1)
	v_cvt_f32_f16_e32 v89, v32
.LBB367_817:                            ;   in Loop: Header=BB367_11 Depth=1
	s_or_b32 exec_lo, exec_lo, s19
.LBB367_818:                            ;   in Loop: Header=BB367_11 Depth=1
	s_delay_alu instid0(SALU_CYCLE_1)
	s_or_b32 exec_lo, exec_lo, s18
.LBB367_819:                            ;   in Loop: Header=BB367_11 Depth=1
	s_delay_alu instid0(SALU_CYCLE_1) | instskip(SKIP_3) | instid1(VALU_DEP_2)
	s_or_b32 exec_lo, exec_lo, s17
	v_lshrrev_b16 v8, 8, v8
	v_dual_mov_b32 v111, 0 :: v_dual_mov_b32 v120, 0
	s_mov_b32 s17, exec_lo
	v_cmpx_ne_u16_e32 0, v8
	s_cbranch_execz .LBB367_827
; %bb.820:                              ;   in Loop: Header=BB367_11 Depth=1
	v_bfrev_b32_e32 v120, 1
	s_mov_b32 s18, exec_lo
	v_cmpx_ne_u16_e32 0x80, v8
	s_cbranch_execz .LBB367_826
; %bb.821:                              ;   in Loop: Header=BB367_11 Depth=1
	v_and_b32_e32 v62, 0xffff, v8
	v_mov_b32_e32 v120, 0x7fc02000
	s_mov_b32 s19, exec_lo
	s_delay_alu instid0(VALU_DEP_2) | instskip(NEXT) | instid1(VALU_DEP_1)
	v_and_b32_e32 v32, 0x7f, v62
	v_cmpx_ne_u32_e32 0x7f, v32
	s_cbranch_execz .LBB367_825
; %bb.822:                              ;   in Loop: Header=BB367_11 Depth=1
	v_and_b32_e32 v8, 7, v62
	v_lshrrev_b32_e32 v63, 3, v32
	v_cmp_gt_u32_e64 s1, 8, v32
	s_delay_alu instid0(VALU_DEP_3) | instskip(NEXT) | instid1(VALU_DEP_2)
	v_dual_mov_b32 v33, v9 :: v_dual_mov_b32 v32, v8
	s_and_saveexec_b32 s20, s1
; %bb.823:                              ;   in Loop: Header=BB367_11 Depth=1
	v_clz_i32_u32_e32 v32, v8
	s_delay_alu instid0(VALU_DEP_1) | instskip(NEXT) | instid1(VALU_DEP_1)
	v_min_u32_e32 v63, 32, v32
	v_subrev_nc_u32_e32 v32, 28, v63
	v_sub_nc_u32_e32 v63, 29, v63
	s_delay_alu instid0(VALU_DEP_2) | instskip(NEXT) | instid1(VALU_DEP_1)
	v_lshlrev_b64 v[32:33], v32, v[8:9]
	v_and_b32_e32 v32, 7, v32
; %bb.824:                              ;   in Loop: Header=BB367_11 Depth=1
	s_or_b32 exec_lo, exec_lo, s20
	v_lshlrev_b32_e32 v8, 8, v62
	v_lshl_add_u32 v33, v63, 10, 0x2000
	s_delay_alu instid0(VALU_DEP_1) | instskip(NEXT) | instid1(VALU_DEP_1)
	v_and_or_b32 v8, 0x8000, v8, v33
	v_lshl_or_b32 v8, v32, 7, v8
	s_delay_alu instid0(VALU_DEP_1)
	v_cvt_f32_f16_e32 v120, v8
.LBB367_825:                            ;   in Loop: Header=BB367_11 Depth=1
	s_or_b32 exec_lo, exec_lo, s19
.LBB367_826:                            ;   in Loop: Header=BB367_11 Depth=1
	s_delay_alu instid0(SALU_CYCLE_1)
	s_or_b32 exec_lo, exec_lo, s18
.LBB367_827:                            ;   in Loop: Header=BB367_11 Depth=1
	s_delay_alu instid0(SALU_CYCLE_1) | instskip(SKIP_2) | instid1(VALU_DEP_1)
	s_or_b32 exec_lo, exec_lo, s17
	v_lshrrev_b32_e32 v62, 16, v31
	s_mov_b32 s17, exec_lo
	v_and_b32_e32 v8, 0xff, v62
	s_delay_alu instid0(VALU_DEP_1)
	v_cmpx_ne_u16_e32 0, v8
	s_cbranch_execz .LBB367_835
; %bb.828:                              ;   in Loop: Header=BB367_11 Depth=1
	v_bfrev_b32_e32 v111, 1
	s_mov_b32 s18, exec_lo
	v_cmpx_ne_u16_e32 0x80, v8
	s_cbranch_execz .LBB367_834
; %bb.829:                              ;   in Loop: Header=BB367_11 Depth=1
	v_bfe_u32 v32, v31, 16, 7
	v_mov_b32_e32 v111, 0x7fc02000
	s_mov_b32 s19, exec_lo
	s_delay_alu instid0(VALU_DEP_2)
	v_cmpx_ne_u32_e32 0x7f, v32
	s_cbranch_execz .LBB367_833
; %bb.830:                              ;   in Loop: Header=BB367_11 Depth=1
	v_and_b32_e32 v8, 7, v62
	v_lshrrev_b32_e32 v63, 3, v32
	v_cmp_gt_u32_e64 s1, 8, v32
	s_delay_alu instid0(VALU_DEP_3) | instskip(NEXT) | instid1(VALU_DEP_2)
	v_dual_mov_b32 v33, v9 :: v_dual_mov_b32 v32, v8
	s_and_saveexec_b32 s20, s1
; %bb.831:                              ;   in Loop: Header=BB367_11 Depth=1
	v_clz_i32_u32_e32 v32, v8
	s_delay_alu instid0(VALU_DEP_1) | instskip(NEXT) | instid1(VALU_DEP_1)
	v_min_u32_e32 v63, 32, v32
	v_subrev_nc_u32_e32 v32, 28, v63
	v_sub_nc_u32_e32 v63, 29, v63
	s_delay_alu instid0(VALU_DEP_2) | instskip(NEXT) | instid1(VALU_DEP_1)
	v_lshlrev_b64 v[32:33], v32, v[8:9]
	v_and_b32_e32 v32, 7, v32
; %bb.832:                              ;   in Loop: Header=BB367_11 Depth=1
	s_or_b32 exec_lo, exec_lo, s20
	v_lshlrev_b32_e32 v8, 8, v62
	v_lshl_add_u32 v33, v63, 10, 0x2000
	s_delay_alu instid0(VALU_DEP_1) | instskip(NEXT) | instid1(VALU_DEP_1)
	v_and_or_b32 v8, 0x8000, v8, v33
	v_lshl_or_b32 v8, v32, 7, v8
	s_delay_alu instid0(VALU_DEP_1)
	v_cvt_f32_f16_e32 v111, v8
.LBB367_833:                            ;   in Loop: Header=BB367_11 Depth=1
	s_or_b32 exec_lo, exec_lo, s19
.LBB367_834:                            ;   in Loop: Header=BB367_11 Depth=1
	s_delay_alu instid0(SALU_CYCLE_1)
	s_or_b32 exec_lo, exec_lo, s18
.LBB367_835:                            ;   in Loop: Header=BB367_11 Depth=1
	s_delay_alu instid0(SALU_CYCLE_1)
	s_or_b32 exec_lo, exec_lo, s17
	v_dual_mov_b32 v62, 0 :: v_dual_mov_b32 v121, 0
	s_mov_b32 s17, exec_lo
	v_cmpx_lt_u64_e64 s[2:3], v[30:31]
	s_cbranch_execz .LBB367_843
; %bb.836:                              ;   in Loop: Header=BB367_11 Depth=1
	v_lshrrev_b32_e32 v32, 24, v31
	v_bfrev_b32_e32 v121, 1
	s_mov_b32 s18, exec_lo
	s_delay_alu instid0(VALU_DEP_2)
	v_cmpx_ne_u32_e32 0x80, v32
	s_cbranch_execz .LBB367_842
; %bb.837:                              ;   in Loop: Header=BB367_11 Depth=1
	v_and_b32_e32 v63, 0x7f, v32
	v_mov_b32_e32 v121, 0x7fc02000
	s_mov_b32 s19, exec_lo
	s_delay_alu instid0(VALU_DEP_2)
	v_cmpx_ne_u32_e32 0x7f, v63
	s_cbranch_execz .LBB367_841
; %bb.838:                              ;   in Loop: Header=BB367_11 Depth=1
	v_and_b32_e32 v8, 7, v32
	v_lshrrev_b32_e32 v33, 3, v63
	v_mov_b32_e32 v31, v9
	s_mov_b32 s20, exec_lo
	s_delay_alu instid0(VALU_DEP_3)
	v_mov_b32_e32 v30, v8
	v_cmpx_gt_u32_e32 8, v63
; %bb.839:                              ;   in Loop: Header=BB367_11 Depth=1
	v_clz_i32_u32_e32 v30, v8
	s_delay_alu instid0(VALU_DEP_1) | instskip(NEXT) | instid1(VALU_DEP_1)
	v_min_u32_e32 v33, 32, v30
	v_subrev_nc_u32_e32 v30, 28, v33
	v_sub_nc_u32_e32 v33, 29, v33
	s_delay_alu instid0(VALU_DEP_2) | instskip(NEXT) | instid1(VALU_DEP_1)
	v_lshlrev_b64 v[30:31], v30, v[8:9]
	v_and_b32_e32 v30, 7, v30
; %bb.840:                              ;   in Loop: Header=BB367_11 Depth=1
	s_or_b32 exec_lo, exec_lo, s20
	v_lshlrev_b32_e32 v8, 8, v32
	v_lshl_add_u32 v31, v33, 10, 0x2000
	s_delay_alu instid0(VALU_DEP_1) | instskip(NEXT) | instid1(VALU_DEP_1)
	v_and_or_b32 v8, 0x8000, v8, v31
	v_lshl_or_b32 v8, v30, 7, v8
	s_delay_alu instid0(VALU_DEP_1)
	v_cvt_f32_f16_e32 v121, v8
.LBB367_841:                            ;   in Loop: Header=BB367_11 Depth=1
	s_or_b32 exec_lo, exec_lo, s19
.LBB367_842:                            ;   in Loop: Header=BB367_11 Depth=1
	s_delay_alu instid0(SALU_CYCLE_1)
	s_or_b32 exec_lo, exec_lo, s18
.LBB367_843:                            ;   in Loop: Header=BB367_11 Depth=1
	s_delay_alu instid0(SALU_CYCLE_1) | instskip(SKIP_4) | instid1(VALU_DEP_1)
	s_or_b32 exec_lo, exec_lo, s17
	flat_load_b64 v[30:31], v[28:29] offset:3080
	s_mov_b32 s17, exec_lo
	s_waitcnt vmcnt(0) lgkmcnt(0)
	v_and_b32_e32 v8, 0xff, v30
	v_cmpx_ne_u16_e32 0, v8
	s_cbranch_execz .LBB367_851
; %bb.844:                              ;   in Loop: Header=BB367_11 Depth=1
	v_bfrev_b32_e32 v62, 1
	s_mov_b32 s18, exec_lo
	v_cmpx_ne_u16_e32 0x80, v8
	s_cbranch_execz .LBB367_850
; %bb.845:                              ;   in Loop: Header=BB367_11 Depth=1
	v_and_b32_e32 v32, 0x7f, v30
	v_mov_b32_e32 v62, 0x7fc02000
	s_mov_b32 s19, exec_lo
	s_delay_alu instid0(VALU_DEP_2)
	v_cmpx_ne_u32_e32 0x7f, v32
	s_cbranch_execz .LBB367_849
; %bb.846:                              ;   in Loop: Header=BB367_11 Depth=1
	v_lshrrev_b32_e32 v8, 3, v32
	v_cmp_gt_u32_e64 s1, 8, v32
	v_dual_mov_b32 v33, v31 :: v_dual_mov_b32 v32, v30
	s_delay_alu instid0(VALU_DEP_2)
	s_and_saveexec_b32 s20, s1
; %bb.847:                              ;   in Loop: Header=BB367_11 Depth=1
	v_and_b32_e32 v8, 7, v30
	s_delay_alu instid0(VALU_DEP_1) | instskip(NEXT) | instid1(VALU_DEP_1)
	v_clz_i32_u32_e32 v8, v8
	v_min_u32_e32 v8, 32, v8
	s_delay_alu instid0(VALU_DEP_1) | instskip(SKIP_1) | instid1(VALU_DEP_2)
	v_subrev_nc_u32_e32 v32, 28, v8
	v_sub_nc_u32_e32 v8, 29, v8
	v_lshlrev_b64 v[32:33], v32, v[30:31]
; %bb.848:                              ;   in Loop: Header=BB367_11 Depth=1
	s_or_b32 exec_lo, exec_lo, s20
	v_lshlrev_b32_e32 v33, 8, v30
	s_delay_alu instid0(VALU_DEP_3) | instskip(NEXT) | instid1(VALU_DEP_3)
	v_lshl_add_u32 v8, v8, 10, 0x2000
	v_lshlrev_b32_e32 v32, 7, v32
	s_delay_alu instid0(VALU_DEP_2) | instskip(NEXT) | instid1(VALU_DEP_1)
	v_and_or_b32 v8, 0x8000, v33, v8
	v_and_or_b32 v8, 0x380, v32, v8
	s_delay_alu instid0(VALU_DEP_1)
	v_cvt_f32_f16_e32 v62, v8
.LBB367_849:                            ;   in Loop: Header=BB367_11 Depth=1
	s_or_b32 exec_lo, exec_lo, s19
.LBB367_850:                            ;   in Loop: Header=BB367_11 Depth=1
	s_delay_alu instid0(SALU_CYCLE_1)
	s_or_b32 exec_lo, exec_lo, s18
.LBB367_851:                            ;   in Loop: Header=BB367_11 Depth=1
	s_delay_alu instid0(SALU_CYCLE_1) | instskip(SKIP_3) | instid1(VALU_DEP_2)
	s_or_b32 exec_lo, exec_lo, s17
	v_lshrrev_b16 v8, 8, v30
	v_dual_mov_b32 v63, 0 :: v_dual_mov_b32 v74, 0
	s_mov_b32 s17, exec_lo
	v_cmpx_ne_u16_e32 0, v8
	s_cbranch_execz .LBB367_859
; %bb.852:                              ;   in Loop: Header=BB367_11 Depth=1
	v_bfrev_b32_e32 v74, 1
	s_mov_b32 s18, exec_lo
	v_cmpx_ne_u16_e32 0x80, v8
	s_cbranch_execz .LBB367_858
; %bb.853:                              ;   in Loop: Header=BB367_11 Depth=1
	v_and_b32_e32 v72, 0xffff, v8
	v_mov_b32_e32 v74, 0x7fc02000
	s_mov_b32 s19, exec_lo
	s_delay_alu instid0(VALU_DEP_2) | instskip(NEXT) | instid1(VALU_DEP_1)
	v_and_b32_e32 v75, 0x7f, v72
	v_cmpx_ne_u32_e32 0x7f, v75
	s_cbranch_execz .LBB367_857
; %bb.854:                              ;   in Loop: Header=BB367_11 Depth=1
	v_and_b32_e32 v8, 7, v72
	v_lshrrev_b32_e32 v73, 3, v75
	v_mov_b32_e32 v33, v9
	s_mov_b32 s20, exec_lo
	s_delay_alu instid0(VALU_DEP_3)
	v_mov_b32_e32 v32, v8
	v_cmpx_gt_u32_e32 8, v75
; %bb.855:                              ;   in Loop: Header=BB367_11 Depth=1
	v_clz_i32_u32_e32 v32, v8
	s_delay_alu instid0(VALU_DEP_1) | instskip(NEXT) | instid1(VALU_DEP_1)
	v_min_u32_e32 v73, 32, v32
	v_subrev_nc_u32_e32 v32, 28, v73
	v_sub_nc_u32_e32 v73, 29, v73
	s_delay_alu instid0(VALU_DEP_2) | instskip(NEXT) | instid1(VALU_DEP_1)
	v_lshlrev_b64 v[32:33], v32, v[8:9]
	v_and_b32_e32 v32, 7, v32
; %bb.856:                              ;   in Loop: Header=BB367_11 Depth=1
	s_or_b32 exec_lo, exec_lo, s20
	v_lshlrev_b32_e32 v8, 8, v72
	v_lshl_add_u32 v33, v73, 10, 0x2000
	s_delay_alu instid0(VALU_DEP_1) | instskip(NEXT) | instid1(VALU_DEP_1)
	v_and_or_b32 v8, 0x8000, v8, v33
	v_lshl_or_b32 v8, v32, 7, v8
	s_delay_alu instid0(VALU_DEP_1)
	v_cvt_f32_f16_e32 v74, v8
.LBB367_857:                            ;   in Loop: Header=BB367_11 Depth=1
	s_or_b32 exec_lo, exec_lo, s19
.LBB367_858:                            ;   in Loop: Header=BB367_11 Depth=1
	s_delay_alu instid0(SALU_CYCLE_1)
	s_or_b32 exec_lo, exec_lo, s18
.LBB367_859:                            ;   in Loop: Header=BB367_11 Depth=1
	s_delay_alu instid0(SALU_CYCLE_1) | instskip(SKIP_2) | instid1(VALU_DEP_1)
	s_or_b32 exec_lo, exec_lo, s17
	v_lshrrev_b32_e32 v72, 16, v30
	s_mov_b32 s17, exec_lo
	v_and_b32_e32 v8, 0xff, v72
	s_delay_alu instid0(VALU_DEP_1)
	v_cmpx_ne_u16_e32 0, v8
	s_cbranch_execz .LBB367_867
; %bb.860:                              ;   in Loop: Header=BB367_11 Depth=1
	v_bfrev_b32_e32 v63, 1
	s_mov_b32 s18, exec_lo
	v_cmpx_ne_u16_e32 0x80, v8
	s_cbranch_execz .LBB367_866
; %bb.861:                              ;   in Loop: Header=BB367_11 Depth=1
	v_bfe_u32 v73, v30, 16, 7
	v_mov_b32_e32 v63, 0x7fc02000
	s_mov_b32 s19, exec_lo
	s_delay_alu instid0(VALU_DEP_2)
	v_cmpx_ne_u32_e32 0x7f, v73
	s_cbranch_execz .LBB367_865
; %bb.862:                              ;   in Loop: Header=BB367_11 Depth=1
	v_and_b32_e32 v8, 7, v72
	v_lshrrev_b32_e32 v63, 3, v73
	v_mov_b32_e32 v33, v9
	s_mov_b32 s20, exec_lo
	s_delay_alu instid0(VALU_DEP_3)
	v_mov_b32_e32 v32, v8
	v_cmpx_gt_u32_e32 8, v73
; %bb.863:                              ;   in Loop: Header=BB367_11 Depth=1
	v_clz_i32_u32_e32 v32, v8
	s_delay_alu instid0(VALU_DEP_1) | instskip(NEXT) | instid1(VALU_DEP_1)
	v_min_u32_e32 v63, 32, v32
	v_subrev_nc_u32_e32 v32, 28, v63
	v_sub_nc_u32_e32 v63, 29, v63
	s_delay_alu instid0(VALU_DEP_2) | instskip(NEXT) | instid1(VALU_DEP_1)
	v_lshlrev_b64 v[32:33], v32, v[8:9]
	v_and_b32_e32 v32, 7, v32
; %bb.864:                              ;   in Loop: Header=BB367_11 Depth=1
	s_or_b32 exec_lo, exec_lo, s20
	v_lshlrev_b32_e32 v8, 8, v72
	v_lshl_add_u32 v33, v63, 10, 0x2000
	s_delay_alu instid0(VALU_DEP_1) | instskip(NEXT) | instid1(VALU_DEP_1)
	v_and_or_b32 v8, 0x8000, v8, v33
	v_lshl_or_b32 v8, v32, 7, v8
	s_delay_alu instid0(VALU_DEP_1)
	v_cvt_f32_f16_e32 v63, v8
.LBB367_865:                            ;   in Loop: Header=BB367_11 Depth=1
	s_or_b32 exec_lo, exec_lo, s19
.LBB367_866:                            ;   in Loop: Header=BB367_11 Depth=1
	s_delay_alu instid0(SALU_CYCLE_1)
	s_or_b32 exec_lo, exec_lo, s18
.LBB367_867:                            ;   in Loop: Header=BB367_11 Depth=1
	s_delay_alu instid0(SALU_CYCLE_1)
	s_or_b32 exec_lo, exec_lo, s17
	v_dual_mov_b32 v91, 0 :: v_dual_mov_b32 v72, 0
	s_mov_b32 s17, exec_lo
	v_cmpx_lt_u32_e32 0xffffff, v30
	s_cbranch_execz .LBB367_875
; %bb.868:                              ;   in Loop: Header=BB367_11 Depth=1
	v_lshrrev_b32_e32 v73, 24, v30
	v_bfrev_b32_e32 v72, 1
	s_mov_b32 s18, exec_lo
	s_delay_alu instid0(VALU_DEP_2)
	v_cmpx_ne_u32_e32 0x80, v73
	s_cbranch_execz .LBB367_874
; %bb.869:                              ;   in Loop: Header=BB367_11 Depth=1
	v_and_b32_e32 v75, 0x7f, v73
	v_mov_b32_e32 v72, 0x7fc02000
	s_mov_b32 s19, exec_lo
	s_delay_alu instid0(VALU_DEP_2)
	v_cmpx_ne_u32_e32 0x7f, v75
	s_cbranch_execz .LBB367_873
; %bb.870:                              ;   in Loop: Header=BB367_11 Depth=1
	v_and_b32_e32 v8, 7, v73
	v_lshrrev_b32_e32 v72, 3, v75
	v_mov_b32_e32 v33, v9
	s_mov_b32 s20, exec_lo
	s_delay_alu instid0(VALU_DEP_3)
	v_mov_b32_e32 v32, v8
	v_cmpx_gt_u32_e32 8, v75
; %bb.871:                              ;   in Loop: Header=BB367_11 Depth=1
	v_clz_i32_u32_e32 v32, v8
	s_delay_alu instid0(VALU_DEP_1) | instskip(NEXT) | instid1(VALU_DEP_1)
	v_min_u32_e32 v72, 32, v32
	v_subrev_nc_u32_e32 v32, 28, v72
	v_sub_nc_u32_e32 v72, 29, v72
	s_delay_alu instid0(VALU_DEP_2) | instskip(NEXT) | instid1(VALU_DEP_1)
	v_lshlrev_b64 v[32:33], v32, v[8:9]
	v_and_b32_e32 v32, 7, v32
; %bb.872:                              ;   in Loop: Header=BB367_11 Depth=1
	s_or_b32 exec_lo, exec_lo, s20
	v_lshlrev_b32_e32 v8, 8, v73
	v_lshl_add_u32 v33, v72, 10, 0x2000
	s_delay_alu instid0(VALU_DEP_1) | instskip(NEXT) | instid1(VALU_DEP_1)
	v_and_or_b32 v8, 0x8000, v8, v33
	v_lshl_or_b32 v8, v32, 7, v8
	s_delay_alu instid0(VALU_DEP_1)
	v_cvt_f32_f16_e32 v72, v8
.LBB367_873:                            ;   in Loop: Header=BB367_11 Depth=1
	s_or_b32 exec_lo, exec_lo, s19
.LBB367_874:                            ;   in Loop: Header=BB367_11 Depth=1
	s_delay_alu instid0(SALU_CYCLE_1)
	s_or_b32 exec_lo, exec_lo, s18
.LBB367_875:                            ;   in Loop: Header=BB367_11 Depth=1
	s_delay_alu instid0(SALU_CYCLE_1) | instskip(SKIP_3) | instid1(VALU_DEP_2)
	s_or_b32 exec_lo, exec_lo, s17
	v_and_b32_e32 v32, 0xff, v31
	v_mov_b32_e32 v8, v31
	s_mov_b32 s17, exec_lo
	v_cmpx_ne_u16_e32 0, v32
	s_cbranch_execz .LBB367_883
; %bb.876:                              ;   in Loop: Header=BB367_11 Depth=1
	v_bfrev_b32_e32 v91, 1
	s_mov_b32 s18, exec_lo
	v_cmpx_ne_u16_e32 0x80, v32
	s_cbranch_execz .LBB367_882
; %bb.877:                              ;   in Loop: Header=BB367_11 Depth=1
	v_and_b32_e32 v73, 0x7f, v31
	v_mov_b32_e32 v91, 0x7fc02000
	s_mov_b32 s19, exec_lo
	s_delay_alu instid0(VALU_DEP_2)
	v_cmpx_ne_u32_e32 0x7f, v73
	s_cbranch_execz .LBB367_881
; %bb.878:                              ;   in Loop: Header=BB367_11 Depth=1
	v_dual_mov_b32 v33, v9 :: v_dual_mov_b32 v32, v8
	v_lshrrev_b32_e32 v33, 3, v73
	s_mov_b32 s20, exec_lo
	v_cmpx_gt_u32_e32 8, v73
; %bb.879:                              ;   in Loop: Header=BB367_11 Depth=1
	v_and_b32_e32 v32, 7, v31
	s_delay_alu instid0(VALU_DEP_1) | instskip(NEXT) | instid1(VALU_DEP_1)
	v_clz_i32_u32_e32 v32, v32
	v_min_u32_e32 v73, 32, v32
	s_delay_alu instid0(VALU_DEP_1) | instskip(NEXT) | instid1(VALU_DEP_1)
	v_subrev_nc_u32_e32 v32, 28, v73
	v_lshlrev_b64 v[32:33], v32, v[8:9]
	v_sub_nc_u32_e32 v33, 29, v73
; %bb.880:                              ;   in Loop: Header=BB367_11 Depth=1
	s_or_b32 exec_lo, exec_lo, s20
	v_lshlrev_b32_e32 v73, 8, v31
	s_delay_alu instid0(VALU_DEP_2) | instskip(NEXT) | instid1(VALU_DEP_4)
	v_lshl_add_u32 v33, v33, 10, 0x2000
	v_lshlrev_b32_e32 v32, 7, v32
	s_delay_alu instid0(VALU_DEP_2) | instskip(NEXT) | instid1(VALU_DEP_1)
	v_and_or_b32 v33, 0x8000, v73, v33
	v_and_or_b32 v32, 0x380, v32, v33
	s_delay_alu instid0(VALU_DEP_1)
	v_cvt_f32_f16_e32 v91, v32
.LBB367_881:                            ;   in Loop: Header=BB367_11 Depth=1
	s_or_b32 exec_lo, exec_lo, s19
.LBB367_882:                            ;   in Loop: Header=BB367_11 Depth=1
	s_delay_alu instid0(SALU_CYCLE_1)
	s_or_b32 exec_lo, exec_lo, s18
.LBB367_883:                            ;   in Loop: Header=BB367_11 Depth=1
	s_delay_alu instid0(SALU_CYCLE_1) | instskip(SKIP_3) | instid1(VALU_DEP_2)
	s_or_b32 exec_lo, exec_lo, s17
	v_lshrrev_b16 v8, 8, v8
	v_dual_mov_b32 v94, 0 :: v_dual_mov_b32 v95, 0
	s_mov_b32 s17, exec_lo
	v_cmpx_ne_u16_e32 0, v8
	s_cbranch_execz .LBB367_891
; %bb.884:                              ;   in Loop: Header=BB367_11 Depth=1
	v_bfrev_b32_e32 v95, 1
	s_mov_b32 s18, exec_lo
	v_cmpx_ne_u16_e32 0x80, v8
	s_cbranch_execz .LBB367_890
; %bb.885:                              ;   in Loop: Header=BB367_11 Depth=1
	v_and_b32_e32 v73, 0xffff, v8
	v_mov_b32_e32 v95, 0x7fc02000
	s_mov_b32 s19, exec_lo
	s_delay_alu instid0(VALU_DEP_2) | instskip(NEXT) | instid1(VALU_DEP_1)
	v_and_b32_e32 v138, 0x7f, v73
	v_cmpx_ne_u32_e32 0x7f, v138
	s_cbranch_execz .LBB367_889
; %bb.886:                              ;   in Loop: Header=BB367_11 Depth=1
	v_and_b32_e32 v8, 7, v73
	v_lshrrev_b32_e32 v75, 3, v138
	v_mov_b32_e32 v33, v9
	s_mov_b32 s20, exec_lo
	s_delay_alu instid0(VALU_DEP_3)
	v_mov_b32_e32 v32, v8
	v_cmpx_gt_u32_e32 8, v138
; %bb.887:                              ;   in Loop: Header=BB367_11 Depth=1
	v_clz_i32_u32_e32 v32, v8
	s_delay_alu instid0(VALU_DEP_1) | instskip(NEXT) | instid1(VALU_DEP_1)
	v_min_u32_e32 v75, 32, v32
	v_subrev_nc_u32_e32 v32, 28, v75
	v_sub_nc_u32_e32 v75, 29, v75
	s_delay_alu instid0(VALU_DEP_2) | instskip(NEXT) | instid1(VALU_DEP_1)
	v_lshlrev_b64 v[32:33], v32, v[8:9]
	v_and_b32_e32 v32, 7, v32
; %bb.888:                              ;   in Loop: Header=BB367_11 Depth=1
	s_or_b32 exec_lo, exec_lo, s20
	v_lshlrev_b32_e32 v8, 8, v73
	v_lshl_add_u32 v33, v75, 10, 0x2000
	s_delay_alu instid0(VALU_DEP_1) | instskip(NEXT) | instid1(VALU_DEP_1)
	v_and_or_b32 v8, 0x8000, v8, v33
	v_lshl_or_b32 v8, v32, 7, v8
	s_delay_alu instid0(VALU_DEP_1)
	v_cvt_f32_f16_e32 v95, v8
.LBB367_889:                            ;   in Loop: Header=BB367_11 Depth=1
	s_or_b32 exec_lo, exec_lo, s19
.LBB367_890:                            ;   in Loop: Header=BB367_11 Depth=1
	s_delay_alu instid0(SALU_CYCLE_1)
	s_or_b32 exec_lo, exec_lo, s18
.LBB367_891:                            ;   in Loop: Header=BB367_11 Depth=1
	s_delay_alu instid0(SALU_CYCLE_1) | instskip(SKIP_2) | instid1(VALU_DEP_1)
	s_or_b32 exec_lo, exec_lo, s17
	v_lshrrev_b32_e32 v73, 16, v31
	s_mov_b32 s17, exec_lo
	v_and_b32_e32 v8, 0xff, v73
	s_delay_alu instid0(VALU_DEP_1)
	v_cmpx_ne_u16_e32 0, v8
	s_cbranch_execz .LBB367_899
; %bb.892:                              ;   in Loop: Header=BB367_11 Depth=1
	v_bfrev_b32_e32 v94, 1
	s_mov_b32 s18, exec_lo
	v_cmpx_ne_u16_e32 0x80, v8
	s_cbranch_execz .LBB367_898
; %bb.893:                              ;   in Loop: Header=BB367_11 Depth=1
	v_bfe_u32 v138, v31, 16, 7
	v_mov_b32_e32 v94, 0x7fc02000
	s_mov_b32 s19, exec_lo
	s_delay_alu instid0(VALU_DEP_2)
	v_cmpx_ne_u32_e32 0x7f, v138
	s_cbranch_execz .LBB367_897
; %bb.894:                              ;   in Loop: Header=BB367_11 Depth=1
	v_and_b32_e32 v8, 7, v73
	v_lshrrev_b32_e32 v75, 3, v138
	v_mov_b32_e32 v33, v9
	s_mov_b32 s20, exec_lo
	s_delay_alu instid0(VALU_DEP_3)
	v_mov_b32_e32 v32, v8
	v_cmpx_gt_u32_e32 8, v138
; %bb.895:                              ;   in Loop: Header=BB367_11 Depth=1
	v_clz_i32_u32_e32 v32, v8
	s_delay_alu instid0(VALU_DEP_1) | instskip(NEXT) | instid1(VALU_DEP_1)
	v_min_u32_e32 v75, 32, v32
	v_subrev_nc_u32_e32 v32, 28, v75
	v_sub_nc_u32_e32 v75, 29, v75
	s_delay_alu instid0(VALU_DEP_2) | instskip(NEXT) | instid1(VALU_DEP_1)
	v_lshlrev_b64 v[32:33], v32, v[8:9]
	v_and_b32_e32 v32, 7, v32
; %bb.896:                              ;   in Loop: Header=BB367_11 Depth=1
	s_or_b32 exec_lo, exec_lo, s20
	v_lshlrev_b32_e32 v8, 8, v73
	v_lshl_add_u32 v33, v75, 10, 0x2000
	s_delay_alu instid0(VALU_DEP_1) | instskip(NEXT) | instid1(VALU_DEP_1)
	v_and_or_b32 v8, 0x8000, v8, v33
	v_lshl_or_b32 v8, v32, 7, v8
	s_delay_alu instid0(VALU_DEP_1)
	v_cvt_f32_f16_e32 v94, v8
.LBB367_897:                            ;   in Loop: Header=BB367_11 Depth=1
	s_or_b32 exec_lo, exec_lo, s19
.LBB367_898:                            ;   in Loop: Header=BB367_11 Depth=1
	s_delay_alu instid0(SALU_CYCLE_1)
	s_or_b32 exec_lo, exec_lo, s18
.LBB367_899:                            ;   in Loop: Header=BB367_11 Depth=1
	s_delay_alu instid0(SALU_CYCLE_1)
	s_or_b32 exec_lo, exec_lo, s17
	v_mov_b32_e32 v138, 0
	v_mov_b32_e32 v32, 0
	s_mov_b32 s17, exec_lo
	v_cmpx_lt_u64_e64 s[2:3], v[30:31]
	s_cbranch_execz .LBB367_907
; %bb.900:                              ;   in Loop: Header=BB367_11 Depth=1
	v_lshrrev_b32_e32 v33, 24, v31
	v_bfrev_b32_e32 v32, 1
	s_mov_b32 s18, exec_lo
	s_delay_alu instid0(VALU_DEP_2)
	v_cmpx_ne_u32_e32 0x80, v33
	s_cbranch_execz .LBB367_906
; %bb.901:                              ;   in Loop: Header=BB367_11 Depth=1
	v_and_b32_e32 v73, 0x7f, v33
	v_mov_b32_e32 v32, 0x7fc02000
	s_mov_b32 s19, exec_lo
	s_delay_alu instid0(VALU_DEP_2)
	v_cmpx_ne_u32_e32 0x7f, v73
	s_cbranch_execz .LBB367_905
; %bb.902:                              ;   in Loop: Header=BB367_11 Depth=1
	v_and_b32_e32 v8, 7, v33
	v_lshrrev_b32_e32 v32, 3, v73
	v_mov_b32_e32 v31, v9
	s_mov_b32 s20, exec_lo
	s_delay_alu instid0(VALU_DEP_3)
	v_mov_b32_e32 v30, v8
	v_cmpx_gt_u32_e32 8, v73
; %bb.903:                              ;   in Loop: Header=BB367_11 Depth=1
	v_clz_i32_u32_e32 v30, v8
	s_delay_alu instid0(VALU_DEP_1) | instskip(NEXT) | instid1(VALU_DEP_1)
	v_min_u32_e32 v32, 32, v30
	v_subrev_nc_u32_e32 v30, 28, v32
	v_sub_nc_u32_e32 v32, 29, v32
	s_delay_alu instid0(VALU_DEP_2) | instskip(NEXT) | instid1(VALU_DEP_1)
	v_lshlrev_b64 v[30:31], v30, v[8:9]
	v_and_b32_e32 v30, 7, v30
; %bb.904:                              ;   in Loop: Header=BB367_11 Depth=1
	s_or_b32 exec_lo, exec_lo, s20
	v_lshlrev_b32_e32 v8, 8, v33
	v_lshl_add_u32 v31, v32, 10, 0x2000
	s_delay_alu instid0(VALU_DEP_1) | instskip(NEXT) | instid1(VALU_DEP_1)
	v_and_or_b32 v8, 0x8000, v8, v31
	v_lshl_or_b32 v8, v30, 7, v8
	s_delay_alu instid0(VALU_DEP_1)
	v_cvt_f32_f16_e32 v32, v8
.LBB367_905:                            ;   in Loop: Header=BB367_11 Depth=1
	s_or_b32 exec_lo, exec_lo, s19
.LBB367_906:                            ;   in Loop: Header=BB367_11 Depth=1
	s_delay_alu instid0(SALU_CYCLE_1)
	s_or_b32 exec_lo, exec_lo, s18
.LBB367_907:                            ;   in Loop: Header=BB367_11 Depth=1
	s_delay_alu instid0(SALU_CYCLE_1) | instskip(SKIP_4) | instid1(VALU_DEP_1)
	s_or_b32 exec_lo, exec_lo, s17
	flat_load_b64 v[28:29], v[28:29] offset:3584
	s_mov_b32 s17, exec_lo
	s_waitcnt vmcnt(0) lgkmcnt(0)
	v_and_b32_e32 v8, 0xff, v28
	v_cmpx_ne_u16_e32 0, v8
	s_cbranch_execz .LBB367_915
; %bb.908:                              ;   in Loop: Header=BB367_11 Depth=1
	v_bfrev_b32_e32 v138, 1
	s_mov_b32 s18, exec_lo
	v_cmpx_ne_u16_e32 0x80, v8
	s_cbranch_execz .LBB367_914
; %bb.909:                              ;   in Loop: Header=BB367_11 Depth=1
	v_and_b32_e32 v30, 0x7f, v28
	v_mov_b32_e32 v138, 0x7fc02000
	s_mov_b32 s19, exec_lo
	s_delay_alu instid0(VALU_DEP_2)
	v_cmpx_ne_u32_e32 0x7f, v30
	s_cbranch_execz .LBB367_913
; %bb.910:                              ;   in Loop: Header=BB367_11 Depth=1
	v_lshrrev_b32_e32 v8, 3, v30
	v_cmp_gt_u32_e64 s1, 8, v30
	v_dual_mov_b32 v31, v29 :: v_dual_mov_b32 v30, v28
	s_delay_alu instid0(VALU_DEP_2)
	s_and_saveexec_b32 s20, s1
; %bb.911:                              ;   in Loop: Header=BB367_11 Depth=1
	v_and_b32_e32 v8, 7, v28
	s_delay_alu instid0(VALU_DEP_1) | instskip(NEXT) | instid1(VALU_DEP_1)
	v_clz_i32_u32_e32 v8, v8
	v_min_u32_e32 v8, 32, v8
	s_delay_alu instid0(VALU_DEP_1) | instskip(SKIP_1) | instid1(VALU_DEP_2)
	v_subrev_nc_u32_e32 v30, 28, v8
	v_sub_nc_u32_e32 v8, 29, v8
	v_lshlrev_b64 v[30:31], v30, v[28:29]
; %bb.912:                              ;   in Loop: Header=BB367_11 Depth=1
	s_or_b32 exec_lo, exec_lo, s20
	v_lshlrev_b32_e32 v31, 8, v28
	s_delay_alu instid0(VALU_DEP_3) | instskip(NEXT) | instid1(VALU_DEP_3)
	v_lshl_add_u32 v8, v8, 10, 0x2000
	v_lshlrev_b32_e32 v30, 7, v30
	s_delay_alu instid0(VALU_DEP_2) | instskip(NEXT) | instid1(VALU_DEP_1)
	v_and_or_b32 v8, 0x8000, v31, v8
	v_and_or_b32 v8, 0x380, v30, v8
	s_delay_alu instid0(VALU_DEP_1)
	v_cvt_f32_f16_e64 v138, v8
.LBB367_913:                            ;   in Loop: Header=BB367_11 Depth=1
	s_or_b32 exec_lo, exec_lo, s19
.LBB367_914:                            ;   in Loop: Header=BB367_11 Depth=1
	s_delay_alu instid0(SALU_CYCLE_1)
	s_or_b32 exec_lo, exec_lo, s18
.LBB367_915:                            ;   in Loop: Header=BB367_11 Depth=1
	s_delay_alu instid0(SALU_CYCLE_1) | instskip(SKIP_3) | instid1(VALU_DEP_2)
	s_or_b32 exec_lo, exec_lo, s17
	v_lshrrev_b16 v8, 8, v28
	v_dual_mov_b32 v139, 0 :: v_dual_mov_b32 v140, 0
	s_mov_b32 s17, exec_lo
	v_cmpx_ne_u16_e32 0, v8
	s_cbranch_execz .LBB367_923
; %bb.916:                              ;   in Loop: Header=BB367_11 Depth=1
	v_bfrev_b32_e32 v140, 1
	s_mov_b32 s18, exec_lo
	v_cmpx_ne_u16_e32 0x80, v8
	s_cbranch_execz .LBB367_922
; %bb.917:                              ;   in Loop: Header=BB367_11 Depth=1
	v_and_b32_e32 v33, 0xffff, v8
	v_mov_b32_e32 v140, 0x7fc02000
	s_mov_b32 s19, exec_lo
	s_delay_alu instid0(VALU_DEP_2) | instskip(NEXT) | instid1(VALU_DEP_1)
	v_and_b32_e32 v75, 0x7f, v33
	v_cmpx_ne_u32_e32 0x7f, v75
	s_cbranch_execz .LBB367_921
; %bb.918:                              ;   in Loop: Header=BB367_11 Depth=1
	v_and_b32_e32 v8, 7, v33
	v_lshrrev_b32_e32 v73, 3, v75
	v_mov_b32_e32 v31, v9
	s_mov_b32 s20, exec_lo
	s_delay_alu instid0(VALU_DEP_3)
	v_mov_b32_e32 v30, v8
	v_cmpx_gt_u32_e32 8, v75
; %bb.919:                              ;   in Loop: Header=BB367_11 Depth=1
	v_clz_i32_u32_e32 v30, v8
	s_delay_alu instid0(VALU_DEP_1) | instskip(NEXT) | instid1(VALU_DEP_1)
	v_min_u32_e32 v73, 32, v30
	v_subrev_nc_u32_e32 v30, 28, v73
	v_sub_nc_u32_e32 v73, 29, v73
	s_delay_alu instid0(VALU_DEP_2) | instskip(NEXT) | instid1(VALU_DEP_1)
	v_lshlrev_b64 v[30:31], v30, v[8:9]
	v_and_b32_e32 v30, 7, v30
; %bb.920:                              ;   in Loop: Header=BB367_11 Depth=1
	s_or_b32 exec_lo, exec_lo, s20
	v_lshlrev_b32_e32 v8, 8, v33
	v_lshl_add_u32 v31, v73, 10, 0x2000
	s_delay_alu instid0(VALU_DEP_1) | instskip(NEXT) | instid1(VALU_DEP_1)
	v_and_or_b32 v8, 0x8000, v8, v31
	v_lshl_or_b32 v8, v30, 7, v8
	s_delay_alu instid0(VALU_DEP_1)
	v_cvt_f32_f16_e64 v140, v8
.LBB367_921:                            ;   in Loop: Header=BB367_11 Depth=1
	s_or_b32 exec_lo, exec_lo, s19
.LBB367_922:                            ;   in Loop: Header=BB367_11 Depth=1
	s_delay_alu instid0(SALU_CYCLE_1)
	s_or_b32 exec_lo, exec_lo, s18
.LBB367_923:                            ;   in Loop: Header=BB367_11 Depth=1
	s_delay_alu instid0(SALU_CYCLE_1) | instskip(SKIP_2) | instid1(VALU_DEP_1)
	s_or_b32 exec_lo, exec_lo, s17
	v_lshrrev_b32_e32 v33, 16, v28
	s_mov_b32 s17, exec_lo
	v_and_b32_e32 v8, 0xff, v33
	s_delay_alu instid0(VALU_DEP_1)
	v_cmpx_ne_u16_e32 0, v8
	s_cbranch_execz .LBB367_931
; %bb.924:                              ;   in Loop: Header=BB367_11 Depth=1
	v_bfrev_b32_e32 v139, 1
	s_mov_b32 s18, exec_lo
	v_cmpx_ne_u16_e32 0x80, v8
	s_cbranch_execz .LBB367_930
; %bb.925:                              ;   in Loop: Header=BB367_11 Depth=1
	v_bfe_u32 v75, v28, 16, 7
	v_mov_b32_e32 v139, 0x7fc02000
	s_mov_b32 s19, exec_lo
	s_delay_alu instid0(VALU_DEP_2)
	v_cmpx_ne_u32_e32 0x7f, v75
	s_cbranch_execz .LBB367_929
; %bb.926:                              ;   in Loop: Header=BB367_11 Depth=1
	v_and_b32_e32 v8, 7, v33
	v_lshrrev_b32_e32 v73, 3, v75
	v_mov_b32_e32 v31, v9
	s_mov_b32 s20, exec_lo
	s_delay_alu instid0(VALU_DEP_3)
	v_mov_b32_e32 v30, v8
	v_cmpx_gt_u32_e32 8, v75
; %bb.927:                              ;   in Loop: Header=BB367_11 Depth=1
	v_clz_i32_u32_e32 v30, v8
	s_delay_alu instid0(VALU_DEP_1) | instskip(NEXT) | instid1(VALU_DEP_1)
	v_min_u32_e32 v73, 32, v30
	v_subrev_nc_u32_e32 v30, 28, v73
	v_sub_nc_u32_e32 v73, 29, v73
	s_delay_alu instid0(VALU_DEP_2) | instskip(NEXT) | instid1(VALU_DEP_1)
	v_lshlrev_b64 v[30:31], v30, v[8:9]
	v_and_b32_e32 v30, 7, v30
; %bb.928:                              ;   in Loop: Header=BB367_11 Depth=1
	s_or_b32 exec_lo, exec_lo, s20
	v_lshlrev_b32_e32 v8, 8, v33
	v_lshl_add_u32 v31, v73, 10, 0x2000
	s_delay_alu instid0(VALU_DEP_1) | instskip(NEXT) | instid1(VALU_DEP_1)
	v_and_or_b32 v8, 0x8000, v8, v31
	v_lshl_or_b32 v8, v30, 7, v8
	s_delay_alu instid0(VALU_DEP_1)
	v_cvt_f32_f16_e64 v139, v8
.LBB367_929:                            ;   in Loop: Header=BB367_11 Depth=1
	s_or_b32 exec_lo, exec_lo, s19
.LBB367_930:                            ;   in Loop: Header=BB367_11 Depth=1
	s_delay_alu instid0(SALU_CYCLE_1)
	s_or_b32 exec_lo, exec_lo, s18
.LBB367_931:                            ;   in Loop: Header=BB367_11 Depth=1
	s_delay_alu instid0(SALU_CYCLE_1)
	s_or_b32 exec_lo, exec_lo, s17
	v_dual_mov_b32 v141, 0 :: v_dual_mov_b32 v142, 0
	s_mov_b32 s17, exec_lo
	v_cmpx_lt_u32_e32 0xffffff, v28
	s_cbranch_execz .LBB367_939
; %bb.932:                              ;   in Loop: Header=BB367_11 Depth=1
	v_lshrrev_b32_e32 v33, 24, v28
	v_bfrev_b32_e32 v142, 1
	s_mov_b32 s18, exec_lo
	s_delay_alu instid0(VALU_DEP_2)
	v_cmpx_ne_u32_e32 0x80, v33
	s_cbranch_execz .LBB367_938
; %bb.933:                              ;   in Loop: Header=BB367_11 Depth=1
	v_and_b32_e32 v75, 0x7f, v33
	v_mov_b32_e32 v142, 0x7fc02000
	s_mov_b32 s19, exec_lo
	s_delay_alu instid0(VALU_DEP_2)
	v_cmpx_ne_u32_e32 0x7f, v75
	s_cbranch_execz .LBB367_937
; %bb.934:                              ;   in Loop: Header=BB367_11 Depth=1
	v_and_b32_e32 v8, 7, v33
	v_lshrrev_b32_e32 v73, 3, v75
	v_mov_b32_e32 v31, v9
	s_mov_b32 s20, exec_lo
	s_delay_alu instid0(VALU_DEP_3)
	v_mov_b32_e32 v30, v8
	v_cmpx_gt_u32_e32 8, v75
; %bb.935:                              ;   in Loop: Header=BB367_11 Depth=1
	v_clz_i32_u32_e32 v30, v8
	s_delay_alu instid0(VALU_DEP_1) | instskip(NEXT) | instid1(VALU_DEP_1)
	v_min_u32_e32 v73, 32, v30
	v_subrev_nc_u32_e32 v30, 28, v73
	v_sub_nc_u32_e32 v73, 29, v73
	s_delay_alu instid0(VALU_DEP_2) | instskip(NEXT) | instid1(VALU_DEP_1)
	v_lshlrev_b64 v[30:31], v30, v[8:9]
	v_and_b32_e32 v30, 7, v30
; %bb.936:                              ;   in Loop: Header=BB367_11 Depth=1
	s_or_b32 exec_lo, exec_lo, s20
	v_lshlrev_b32_e32 v8, 8, v33
	v_lshl_add_u32 v31, v73, 10, 0x2000
	s_delay_alu instid0(VALU_DEP_1) | instskip(NEXT) | instid1(VALU_DEP_1)
	v_and_or_b32 v8, 0x8000, v8, v31
	v_lshl_or_b32 v8, v30, 7, v8
	s_delay_alu instid0(VALU_DEP_1)
	v_cvt_f32_f16_e64 v142, v8
.LBB367_937:                            ;   in Loop: Header=BB367_11 Depth=1
	s_or_b32 exec_lo, exec_lo, s19
.LBB367_938:                            ;   in Loop: Header=BB367_11 Depth=1
	s_delay_alu instid0(SALU_CYCLE_1)
	s_or_b32 exec_lo, exec_lo, s18
.LBB367_939:                            ;   in Loop: Header=BB367_11 Depth=1
	s_delay_alu instid0(SALU_CYCLE_1) | instskip(SKIP_3) | instid1(VALU_DEP_2)
	s_or_b32 exec_lo, exec_lo, s17
	v_and_b32_e32 v30, 0xff, v29
	v_mov_b32_e32 v8, v29
	s_mov_b32 s17, exec_lo
	v_cmpx_ne_u16_e32 0, v30
	s_cbranch_execz .LBB367_947
; %bb.940:                              ;   in Loop: Header=BB367_11 Depth=1
	v_bfrev_b32_e32 v141, 1
	s_mov_b32 s18, exec_lo
	v_cmpx_ne_u16_e32 0x80, v30
	s_cbranch_execz .LBB367_946
; %bb.941:                              ;   in Loop: Header=BB367_11 Depth=1
	v_and_b32_e32 v33, 0x7f, v29
	v_mov_b32_e32 v141, 0x7fc02000
	s_mov_b32 s19, exec_lo
	s_delay_alu instid0(VALU_DEP_2)
	v_cmpx_ne_u32_e32 0x7f, v33
	s_cbranch_execz .LBB367_945
; %bb.942:                              ;   in Loop: Header=BB367_11 Depth=1
	v_dual_mov_b32 v31, v9 :: v_dual_mov_b32 v30, v8
	v_lshrrev_b32_e32 v31, 3, v33
	s_mov_b32 s20, exec_lo
	v_cmpx_gt_u32_e32 8, v33
; %bb.943:                              ;   in Loop: Header=BB367_11 Depth=1
	v_and_b32_e32 v30, 7, v29
	s_delay_alu instid0(VALU_DEP_1) | instskip(NEXT) | instid1(VALU_DEP_1)
	v_clz_i32_u32_e32 v30, v30
	v_min_u32_e32 v33, 32, v30
	s_delay_alu instid0(VALU_DEP_1) | instskip(NEXT) | instid1(VALU_DEP_1)
	v_subrev_nc_u32_e32 v30, 28, v33
	v_lshlrev_b64 v[30:31], v30, v[8:9]
	v_sub_nc_u32_e32 v31, 29, v33
; %bb.944:                              ;   in Loop: Header=BB367_11 Depth=1
	s_or_b32 exec_lo, exec_lo, s20
	v_lshlrev_b32_e32 v33, 8, v29
	s_delay_alu instid0(VALU_DEP_2) | instskip(NEXT) | instid1(VALU_DEP_4)
	v_lshl_add_u32 v31, v31, 10, 0x2000
	v_lshlrev_b32_e32 v30, 7, v30
	s_delay_alu instid0(VALU_DEP_2) | instskip(NEXT) | instid1(VALU_DEP_1)
	v_and_or_b32 v31, 0x8000, v33, v31
	v_and_or_b32 v30, 0x380, v30, v31
	s_delay_alu instid0(VALU_DEP_1)
	v_cvt_f32_f16_e64 v141, v30
.LBB367_945:                            ;   in Loop: Header=BB367_11 Depth=1
	s_or_b32 exec_lo, exec_lo, s19
.LBB367_946:                            ;   in Loop: Header=BB367_11 Depth=1
	s_delay_alu instid0(SALU_CYCLE_1)
	s_or_b32 exec_lo, exec_lo, s18
.LBB367_947:                            ;   in Loop: Header=BB367_11 Depth=1
	s_delay_alu instid0(SALU_CYCLE_1) | instskip(SKIP_3) | instid1(VALU_DEP_2)
	s_or_b32 exec_lo, exec_lo, s17
	v_lshrrev_b16 v8, 8, v8
	v_dual_mov_b32 v153, 0 :: v_dual_mov_b32 v154, 0
	s_mov_b32 s17, exec_lo
	v_cmpx_ne_u16_e32 0, v8
	s_cbranch_execz .LBB367_955
; %bb.948:                              ;   in Loop: Header=BB367_11 Depth=1
	v_bfrev_b32_e32 v154, 1
	s_mov_b32 s18, exec_lo
	v_cmpx_ne_u16_e32 0x80, v8
	s_cbranch_execz .LBB367_954
; %bb.949:                              ;   in Loop: Header=BB367_11 Depth=1
	v_and_b32_e32 v33, 0xffff, v8
	v_mov_b32_e32 v154, 0x7fc02000
	s_mov_b32 s19, exec_lo
	s_delay_alu instid0(VALU_DEP_2) | instskip(NEXT) | instid1(VALU_DEP_1)
	v_and_b32_e32 v75, 0x7f, v33
	v_cmpx_ne_u32_e32 0x7f, v75
	s_cbranch_execz .LBB367_953
; %bb.950:                              ;   in Loop: Header=BB367_11 Depth=1
	v_and_b32_e32 v8, 7, v33
	v_lshrrev_b32_e32 v73, 3, v75
	v_mov_b32_e32 v31, v9
	s_mov_b32 s20, exec_lo
	s_delay_alu instid0(VALU_DEP_3)
	v_mov_b32_e32 v30, v8
	v_cmpx_gt_u32_e32 8, v75
; %bb.951:                              ;   in Loop: Header=BB367_11 Depth=1
	v_clz_i32_u32_e32 v30, v8
	s_delay_alu instid0(VALU_DEP_1) | instskip(NEXT) | instid1(VALU_DEP_1)
	v_min_u32_e32 v73, 32, v30
	v_subrev_nc_u32_e32 v30, 28, v73
	v_sub_nc_u32_e32 v73, 29, v73
	s_delay_alu instid0(VALU_DEP_2) | instskip(NEXT) | instid1(VALU_DEP_1)
	v_lshlrev_b64 v[30:31], v30, v[8:9]
	v_and_b32_e32 v30, 7, v30
; %bb.952:                              ;   in Loop: Header=BB367_11 Depth=1
	s_or_b32 exec_lo, exec_lo, s20
	v_lshlrev_b32_e32 v8, 8, v33
	v_lshl_add_u32 v31, v73, 10, 0x2000
	s_delay_alu instid0(VALU_DEP_1) | instskip(NEXT) | instid1(VALU_DEP_1)
	v_and_or_b32 v8, 0x8000, v8, v31
	v_lshl_or_b32 v8, v30, 7, v8
	s_delay_alu instid0(VALU_DEP_1)
	v_cvt_f32_f16_e64 v154, v8
.LBB367_953:                            ;   in Loop: Header=BB367_11 Depth=1
	s_or_b32 exec_lo, exec_lo, s19
.LBB367_954:                            ;   in Loop: Header=BB367_11 Depth=1
	s_delay_alu instid0(SALU_CYCLE_1)
	s_or_b32 exec_lo, exec_lo, s18
.LBB367_955:                            ;   in Loop: Header=BB367_11 Depth=1
	s_delay_alu instid0(SALU_CYCLE_1) | instskip(SKIP_2) | instid1(VALU_DEP_1)
	s_or_b32 exec_lo, exec_lo, s17
	v_lshrrev_b32_e32 v33, 16, v29
	s_mov_b32 s17, exec_lo
	v_and_b32_e32 v8, 0xff, v33
	s_delay_alu instid0(VALU_DEP_1)
	v_cmpx_ne_u16_e32 0, v8
	s_cbranch_execz .LBB367_963
; %bb.956:                              ;   in Loop: Header=BB367_11 Depth=1
	v_bfrev_b32_e32 v153, 1
	s_mov_b32 s18, exec_lo
	v_cmpx_ne_u16_e32 0x80, v8
	s_cbranch_execz .LBB367_962
; %bb.957:                              ;   in Loop: Header=BB367_11 Depth=1
	v_bfe_u32 v75, v29, 16, 7
	v_mov_b32_e32 v153, 0x7fc02000
	s_mov_b32 s19, exec_lo
	s_delay_alu instid0(VALU_DEP_2)
	v_cmpx_ne_u32_e32 0x7f, v75
	s_cbranch_execz .LBB367_961
; %bb.958:                              ;   in Loop: Header=BB367_11 Depth=1
	v_and_b32_e32 v8, 7, v33
	v_lshrrev_b32_e32 v73, 3, v75
	v_mov_b32_e32 v31, v9
	s_mov_b32 s20, exec_lo
	s_delay_alu instid0(VALU_DEP_3)
	v_mov_b32_e32 v30, v8
	v_cmpx_gt_u32_e32 8, v75
; %bb.959:                              ;   in Loop: Header=BB367_11 Depth=1
	v_clz_i32_u32_e32 v30, v8
	s_delay_alu instid0(VALU_DEP_1) | instskip(NEXT) | instid1(VALU_DEP_1)
	v_min_u32_e32 v73, 32, v30
	v_subrev_nc_u32_e32 v30, 28, v73
	v_sub_nc_u32_e32 v73, 29, v73
	s_delay_alu instid0(VALU_DEP_2) | instskip(NEXT) | instid1(VALU_DEP_1)
	v_lshlrev_b64 v[30:31], v30, v[8:9]
	v_and_b32_e32 v30, 7, v30
; %bb.960:                              ;   in Loop: Header=BB367_11 Depth=1
	s_or_b32 exec_lo, exec_lo, s20
	v_lshlrev_b32_e32 v8, 8, v33
	v_lshl_add_u32 v31, v73, 10, 0x2000
	s_delay_alu instid0(VALU_DEP_1) | instskip(NEXT) | instid1(VALU_DEP_1)
	v_and_or_b32 v8, 0x8000, v8, v31
	v_lshl_or_b32 v8, v30, 7, v8
	s_delay_alu instid0(VALU_DEP_1)
	v_cvt_f32_f16_e64 v153, v8
.LBB367_961:                            ;   in Loop: Header=BB367_11 Depth=1
	s_or_b32 exec_lo, exec_lo, s19
.LBB367_962:                            ;   in Loop: Header=BB367_11 Depth=1
	s_delay_alu instid0(SALU_CYCLE_1)
	s_or_b32 exec_lo, exec_lo, s18
.LBB367_963:                            ;   in Loop: Header=BB367_11 Depth=1
	s_delay_alu instid0(SALU_CYCLE_1) | instskip(SKIP_2) | instid1(VALU_DEP_2)
	s_or_b32 exec_lo, exec_lo, s17
	v_cmp_lt_u64_e64 s1, s[2:3], v[28:29]
	v_mov_b32_e32 v28, 0
	s_and_saveexec_b32 s17, s1
	s_cbranch_execz .LBB367_10
; %bb.964:                              ;   in Loop: Header=BB367_11 Depth=1
	v_lshrrev_b32_e32 v30, 24, v29
	v_bfrev_b32_e32 v28, 1
	s_mov_b32 s18, exec_lo
	s_delay_alu instid0(VALU_DEP_2)
	v_cmpx_ne_u32_e32 0x80, v30
	s_cbranch_execz .LBB367_9
; %bb.965:                              ;   in Loop: Header=BB367_11 Depth=1
	v_and_b32_e32 v33, 0x7f, v30
	v_mov_b32_e32 v28, 0x7fc02000
	s_mov_b32 s19, exec_lo
	s_delay_alu instid0(VALU_DEP_2)
	v_cmpx_ne_u32_e32 0x7f, v33
	s_cbranch_execz .LBB367_8
; %bb.966:                              ;   in Loop: Header=BB367_11 Depth=1
	v_and_b32_e32 v8, 7, v30
	v_lshrrev_b32_e32 v31, 3, v33
	v_mov_b32_e32 v29, v9
	s_mov_b32 s20, exec_lo
	s_delay_alu instid0(VALU_DEP_3)
	v_mov_b32_e32 v28, v8
	v_cmpx_gt_u32_e32 8, v33
	s_cbranch_execz .LBB367_7
; %bb.967:                              ;   in Loop: Header=BB367_11 Depth=1
	v_clz_i32_u32_e32 v28, v8
	s_delay_alu instid0(VALU_DEP_1) | instskip(NEXT) | instid1(VALU_DEP_1)
	v_min_u32_e32 v31, 32, v28
	v_subrev_nc_u32_e32 v28, 28, v31
	v_sub_nc_u32_e32 v31, 29, v31
	s_delay_alu instid0(VALU_DEP_2) | instskip(NEXT) | instid1(VALU_DEP_1)
	v_lshlrev_b64 v[28:29], v28, v[8:9]
	v_and_b32_e32 v28, 7, v28
	s_branch .LBB367_7
.LBB367_968:
	s_or_b32 exec_lo, exec_lo, s7
.LBB367_969:
	s_delay_alu instid0(SALU_CYCLE_1) | instskip(SKIP_2) | instid1(VALU_DEP_1)
	s_or_b32 exec_lo, exec_lo, s9
	v_mbcnt_lo_u32_b32 v8, -1, 0
	s_lshr_b32 s9, s13, 16
	v_xor_b32_e32 v9, 16, v8
	v_xor_b32_e32 v18, 8, v8
	;; [unrolled: 1-line block ×3, first 2 shown]
	s_delay_alu instid0(VALU_DEP_3) | instskip(SKIP_1) | instid1(VALU_DEP_4)
	v_cmp_gt_i32_e32 vcc_lo, 32, v9
	v_cndmask_b32_e32 v9, v8, v9, vcc_lo
	v_cmp_gt_i32_e32 vcc_lo, 32, v18
	v_dual_max_f32 v19, v51, v51 :: v_dual_cndmask_b32 v18, v8, v18
	s_delay_alu instid0(VALU_DEP_1) | instskip(NEXT) | instid1(VALU_DEP_4)
	v_lshlrev_b32_e32 v20, 2, v18
	v_lshlrev_b32_e32 v13, 2, v9
	ds_bpermute_b32 v9, v13, v51
	s_waitcnt lgkmcnt(0)
	v_max_f32_e32 v9, v9, v9
	s_delay_alu instid0(VALU_DEP_1) | instskip(SKIP_4) | instid1(VALU_DEP_1)
	v_max_f32_e32 v9, v19, v9
	v_xor_b32_e32 v19, 4, v8
	ds_bpermute_b32 v18, v20, v9
	v_cmp_gt_i32_e32 vcc_lo, 32, v19
	v_cndmask_b32_e32 v19, v8, v19, vcc_lo
	v_lshlrev_b32_e32 v21, 2, v19
	v_xor_b32_e32 v19, 2, v8
	s_delay_alu instid0(VALU_DEP_1) | instskip(SKIP_3) | instid1(VALU_DEP_2)
	v_cmp_gt_i32_e32 vcc_lo, 32, v19
	s_waitcnt lgkmcnt(0)
	v_dual_max_f32 v18, v18, v18 :: v_dual_cndmask_b32 v19, v8, v19
	v_cmp_gt_i32_e32 vcc_lo, 32, v24
	v_dual_cndmask_b32 v24, v8, v24 :: v_dual_lshlrev_b32 v19, 2, v19
	s_delay_alu instid0(VALU_DEP_3) | instskip(SKIP_4) | instid1(VALU_DEP_1)
	v_max_f32_e32 v9, v9, v18
	v_cmp_eq_u32_e32 vcc_lo, 0, v37
	ds_bpermute_b32 v18, v21, v9
	s_waitcnt lgkmcnt(0)
	v_max_f32_e32 v18, v18, v18
	v_max_f32_e32 v9, v9, v18
	ds_bpermute_b32 v18, v19, v9
	s_waitcnt lgkmcnt(0)
	v_max_f32_e32 v18, v18, v18
	s_delay_alu instid0(VALU_DEP_1)
	v_max_f32_e32 v8, v9, v18
	v_lshlrev_b32_e32 v18, 2, v24
	v_lshlrev_b32_e32 v24, 2, v35
	ds_bpermute_b32 v9, v18, v8
	s_and_saveexec_b32 s1, vcc_lo
	s_cbranch_execz .LBB367_971
; %bb.970:
	s_waitcnt lgkmcnt(0)
	v_dual_max_f32 v9, v9, v9 :: v_dual_max_f32 v8, v8, v8
	s_delay_alu instid0(VALU_DEP_1)
	v_max_f32_e32 v8, v8, v9
	ds_store_b32 v24, v8 offset:240
.LBB367_971:
	s_or_b32 exec_lo, exec_lo, s1
	v_cmp_gt_u32_e64 s1, 4, v37
	v_mov_b32_e32 v8, 0xff7fffff
	s_waitcnt lgkmcnt(0)
	s_barrier
	buffer_gl0_inv
	s_and_saveexec_b32 s2, s1
	s_cbranch_execz .LBB367_973
; %bb.972:
	ds_load_b32 v8, v49 offset:240
.LBB367_973:
	s_or_b32 exec_lo, exec_lo, s2
	s_waitcnt lgkmcnt(0)
	ds_bpermute_b32 v9, v19, v8
	v_max_f32_e32 v8, v8, v8
	v_subrev_nc_u32_e32 v28, s8, v23
	v_mov_b32_e32 v25, 0
	s_waitcnt lgkmcnt(0)
	v_max_f32_e32 v9, v9, v9
	s_delay_alu instid0(VALU_DEP_1) | instskip(SKIP_3) | instid1(VALU_DEP_1)
	v_max_f32_e32 v8, v8, v9
	ds_bpermute_b32 v9, v18, v8
	s_waitcnt lgkmcnt(0)
	v_max_f32_e32 v9, v9, v9
	v_max_f32_e32 v8, v8, v9
	v_lshl_add_u32 v9, v28, 5, s16
	ds_bpermute_b32 v8, v25, v8
	v_min_i32_e32 v9, v9, v36
	s_delay_alu instid0(VALU_DEP_1) | instskip(NEXT) | instid1(VALU_DEP_1)
	v_subrev_nc_u32_e32 v9, s16, v9
	v_cmp_lt_i32_e64 s2, v34, v9
	s_delay_alu instid0(VALU_DEP_1)
	s_and_saveexec_b32 s8, s2
	s_cbranch_execz .LBB367_977
; %bb.974:
	s_getpc_b64 s[18:19]
	s_add_u32 s18, s18, llvm.amdgcn.dynlds.offset.table@rel32@lo+4
	s_addc_u32 s19, s19, llvm.amdgcn.dynlds.offset.table@rel32@hi+12
	s_ashr_i32 s7, s6, 31
	v_mov_b32_e32 v25, 0
	s_lshl_b64 s[20:21], s[6:7], 2
	v_mov_b32_e32 v29, v34
	s_add_u32 s18, s20, s18
	s_addc_u32 s19, s21, s19
	s_mov_b32 s7, 0
	s_load_b32 s3, s[18:19], 0x0
	s_waitcnt lgkmcnt(0)
	v_lshl_add_u32 v28, v34, 2, s3
	.p2align	6
.LBB367_975:                            ; =>This Inner Loop Header: Depth=1
	ds_load_b32 v30, v28
	v_add_nc_u32_e32 v29, 0x80, v29
	s_delay_alu instid0(VALU_DEP_1) | instskip(NEXT) | instid1(VALU_DEP_1)
	v_cmp_ge_i32_e64 s3, v29, v9
	s_or_b32 s7, s3, s7
	s_waitcnt lgkmcnt(0)
	v_sub_f32_e32 v30, v30, v8
	s_delay_alu instid0(VALU_DEP_1) | instskip(NEXT) | instid1(VALU_DEP_1)
	v_mul_f32_e32 v30, 0x3fb8aa3b, v30
	v_exp_f32_e32 v30, v30
	ds_store_b32 v28, v30
	v_dual_add_f32 v25, v25, v30 :: v_dual_add_nc_u32 v28, 0x200, v28
	s_and_not1_b32 exec_lo, exec_lo, s7
	s_cbranch_execnz .LBB367_975
; %bb.976:
	s_or_b32 exec_lo, exec_lo, s7
.LBB367_977:
	s_delay_alu instid0(SALU_CYCLE_1)
	s_or_b32 exec_lo, exec_lo, s8
	ds_bpermute_b32 v13, v13, v25
	s_waitcnt lgkmcnt(0)
	v_add_f32_e32 v13, v25, v13
	ds_bpermute_b32 v20, v20, v13
	s_waitcnt lgkmcnt(0)
	v_add_f32_e32 v13, v13, v20
	;; [unrolled: 3-line block ×5, first 2 shown]
	s_and_saveexec_b32 s3, vcc_lo
	s_cbranch_execz .LBB367_979
; %bb.978:
	ds_store_b32 v24, v13 offset:256
.LBB367_979:
	s_or_b32 exec_lo, exec_lo, s3
	s_waitcnt lgkmcnt(0)
	s_barrier
	buffer_gl0_inv
	s_and_saveexec_b32 s3, s1
	s_cbranch_execz .LBB367_981
; %bb.980:
	ds_load_b32 v13, v49 offset:256
.LBB367_981:
	s_or_b32 exec_lo, exec_lo, s3
	s_waitcnt lgkmcnt(0)
	ds_bpermute_b32 v20, v19, v13
	s_waitcnt lgkmcnt(0)
	v_add_f32_e32 v13, v13, v20
	ds_bpermute_b32 v20, v18, v13
	s_waitcnt lgkmcnt(0)
	v_dual_add_f32 v13, v13, v20 :: v_dual_mov_b32 v20, 0
	ds_bpermute_b32 v13, v20, v13
	s_and_saveexec_b32 s1, s2
	s_cbranch_execz .LBB367_984
; %bb.982:
	s_waitcnt lgkmcnt(0)
	v_add_f32_e32 v21, 0x358637bd, v13
	s_getpc_b64 s[2:3]
	s_add_u32 s2, s2, llvm.amdgcn.dynlds.offset.table@rel32@lo+4
	s_addc_u32 s3, s3, llvm.amdgcn.dynlds.offset.table@rel32@hi+12
	s_ashr_i32 s7, s6, 31
	s_delay_alu instid0(SALU_CYCLE_1) | instskip(SKIP_4) | instid1(VALU_DEP_1)
	s_lshl_b64 s[18:19], s[6:7], 2
	v_div_scale_f32 v20, null, v21, v21, 1.0
	s_add_u32 s2, s18, s2
	s_addc_u32 s3, s19, s3
	s_load_b32 s2, s[2:3], 0x0
	v_rcp_f32_e32 v24, v20
	s_waitcnt_depctr 0xfff
	v_fma_f32 v25, -v20, v24, 1.0
	s_delay_alu instid0(VALU_DEP_1) | instskip(SKIP_1) | instid1(VALU_DEP_1)
	v_fmac_f32_e32 v24, v25, v24
	v_div_scale_f32 v28, vcc_lo, 1.0, v21, 1.0
	v_mul_f32_e32 v25, v28, v24
	s_delay_alu instid0(VALU_DEP_1) | instskip(NEXT) | instid1(VALU_DEP_1)
	v_fma_f32 v29, -v20, v25, v28
	v_fmac_f32_e32 v25, v29, v24
	s_delay_alu instid0(VALU_DEP_1) | instskip(NEXT) | instid1(VALU_DEP_1)
	v_fma_f32 v20, -v20, v25, v28
	v_div_fmas_f32 v24, v20, v24, v25
	s_waitcnt lgkmcnt(0)
	v_lshl_add_u32 v20, v34, 2, s2
	s_mov_b32 s2, 0
	s_delay_alu instid0(VALU_DEP_2)
	v_div_fixup_f32 v21, v24, v21, 1.0
	v_mov_b32_e32 v24, v34
.LBB367_983:                            ; =>This Inner Loop Header: Depth=1
	ds_load_b32 v25, v20
	s_waitcnt lgkmcnt(0)
	v_dual_mul_f32 v25, v21, v25 :: v_dual_add_nc_u32 v24, 0x80, v24
	s_delay_alu instid0(VALU_DEP_1) | instskip(SKIP_3) | instid1(SALU_CYCLE_1)
	v_cmp_ge_i32_e32 vcc_lo, v24, v9
	ds_store_b32 v20, v25
	v_add_nc_u32_e32 v20, 0x200, v20
	s_or_b32 s2, vcc_lo, s2
	s_and_not1_b32 exec_lo, exec_lo, s2
	s_cbranch_execnz .LBB367_983
.LBB367_984:
	s_or_b32 exec_lo, exec_lo, s1
	v_cmp_ne_u16_e64 s1, s9, 0
	s_waitcnt lgkmcnt(0)
	s_barrier
	buffer_gl0_inv
	s_cmp_lg_u32 s1, 0
	s_addc_u32 s1, s5, 0
	s_mov_b32 s5, exec_lo
	s_mul_i32 s2, s1, s10
	s_delay_alu instid0(SALU_CYCLE_1)
	s_mul_i32 s2, s2, s15
	v_cmpx_eq_u32_e32 0, v34
	s_cbranch_execz .LBB367_986
; %bb.985:
	s_mul_i32 s8, s1, s12
	s_ashr_i32 s15, s14, 31
	s_ashr_i32 s9, s8, 31
	;; [unrolled: 1-line block ×3, first 2 shown]
	s_lshl_b64 s[8:9], s[8:9], 2
	s_lshl_b64 s[12:13], s[14:15], 2
	;; [unrolled: 1-line block ×3, first 2 shown]
	s_add_u32 s3, s12, s8
	s_addc_u32 s7, s13, s9
	s_add_u32 s3, s3, s18
	s_addc_u32 s7, s7, s19
	v_add_co_u32 v2, vcc_lo, s3, v2
	v_add_co_ci_u32_e32 v3, vcc_lo, s7, v3, vcc_lo
	v_add_co_u32 v0, vcc_lo, s3, v0
	v_add_co_ci_u32_e32 v1, vcc_lo, s7, v1, vcc_lo
	flat_store_b32 v[2:3], v8
	flat_store_b32 v[0:1], v13
.LBB367_986:
	s_or_b32 exec_lo, exec_lo, s5
                                        ; implicit-def: $sgpr5
	s_and_saveexec_b32 s3, s0
	s_delay_alu instid0(SALU_CYCLE_1)
	s_xor_b32 s0, exec_lo, s3
; %bb.987:
	s_ashr_i32 s7, s6, 31
	s_mov_b32 s5, 0
                                        ; implicit-def: $vgpr36
                                        ; implicit-def: $vgpr12
                                        ; implicit-def: $vgpr23
                                        ; implicit-def: $vgpr6
                                        ; implicit-def: $vgpr10
                                        ; implicit-def: $vgpr11
                                        ; implicit-def: $vgpr14
                                        ; implicit-def: $vgpr15
                                        ; implicit-def: $vgpr22
                                        ; implicit-def: $vgpr26_vgpr27
                                        ; implicit-def: $vgpr39
                                        ; implicit-def: $vgpr48
                                        ; implicit-def: $vgpr16_vgpr17
                                        ; implicit-def: $vgpr38
; %bb.988:
	s_or_saveexec_b32 s3, s0
	v_dual_mov_b32 v51, s5 :: v_dual_mov_b32 v0, s6
	v_dual_mov_b32 v1, s7 :: v_dual_and_b32 v20, 3, v34
	v_dual_mov_b32 v54, s5 :: v_dual_mov_b32 v53, s5
	v_dual_mov_b32 v52, s5 :: v_dual_mov_b32 v49, s5
	;; [unrolled: 1-line block ×7, first 2 shown]
	s_xor_b32 exec_lo, exec_lo, s3
	s_cbranch_execz .LBB367_1982
; %bb.989:
	s_getpc_b64 s[8:9]
	s_add_u32 s8, s8, llvm.amdgcn.dynlds.offset.table@rel32@lo+4
	s_addc_u32 s9, s9, llvm.amdgcn.dynlds.offset.table@rel32@hi+12
	s_ashr_i32 s7, s6, 31
	v_dual_mov_b32 v1, 0 :: v_dual_lshlrev_b32 v0, 3, v34
	s_lshl_b64 s[12:13], s[6:7], 2
	v_add_co_u32 v2, vcc_lo, v10, v39
	s_add_u32 s8, s12, s8
	s_addc_u32 s9, s13, s9
	v_and_b32_e32 v9, 24, v0
	s_load_b32 s0, s[8:9], 0x0
	v_dual_mov_b32 v21, 0 :: v_dual_and_b32 v0, 0xf8, v0
	v_add_co_ci_u32_e32 v3, vcc_lo, v11, v48, vcc_lo
	v_lshlrev_b64 v[7:8], 2, v[6:7]
	s_delay_alu instid0(VALU_DEP_3) | instskip(SKIP_1) | instid1(VALU_DEP_4)
	v_add_co_u32 v2, vcc_lo, v2, v0
	v_dual_mov_b32 v25, 0 :: v_dual_lshlrev_b32 v0, 5, v20
	v_add_co_ci_u32_e32 v3, vcc_lo, 0, v3, vcc_lo
	s_delay_alu instid0(VALU_DEP_4) | instskip(SKIP_1) | instid1(VALU_DEP_4)
	v_add_co_u32 v7, vcc_lo, v16, v7
	v_add_co_ci_u32_e32 v8, vcc_lo, v17, v8, vcc_lo
	v_lshl_or_b32 v0, v35, 7, v0
	s_delay_alu instid0(VALU_DEP_3)
	v_add_co_u32 v7, vcc_lo, v14, v7
	v_dual_mov_b32 v24, 0 :: v_dual_add_nc_u32 v39, -1, v12
	v_mov_b32_e32 v48, v36
	v_add_co_ci_u32_e32 v8, vcc_lo, v15, v8, vcc_lo
	v_add3_u32 v15, s16, v38, v9
	s_waitcnt lgkmcnt(0)
	v_dual_mov_b32 v29, 0 :: v_dual_add_nc_u32 v16, s0, v0
	v_dual_mov_b32 v28, 0 :: v_dual_mov_b32 v31, 0
	v_dual_mov_b32 v30, 0 :: v_dual_mov_b32 v33, 0
	;; [unrolled: 1-line block ×5, first 2 shown]
	v_mov_b32_e32 v54, 0
	s_mov_b32 s8, -1
	s_mov_b32 s9, 0xffffff
	s_mov_b32 s5, 0
	s_branch .LBB367_991
.LBB367_990:                            ;   in Loop: Header=BB367_991 Depth=1
	s_or_b32 exec_lo, exec_lo, s0
	v_dual_add_f32 v12, v13, v14 :: v_dual_add_f32 v13, v128, v129
	v_add_f32_e32 v38, v114, v115
	v_dual_add_f32 v14, v118, v119 :: v_dual_add_f32 v17, v116, v117
	s_delay_alu instid0(VALU_DEP_3) | instskip(NEXT) | instid1(VALU_DEP_3)
	v_dual_add_f32 v24, v24, v12 :: v_dual_add_f32 v25, v25, v13
	v_dual_add_f32 v30, v30, v38 :: v_dual_add_f32 v13, v100, v101
	s_delay_alu instid0(VALU_DEP_3) | instskip(SKIP_4) | instid1(VALU_DEP_2)
	v_add_f32_e32 v28, v28, v14
	v_add_f32_e32 v14, v98, v99
	;;#ASMSTART
	v_pk_mul_f16 v11, v71, v11;

	;;#ASMEND
	;;#ASMSTART
	v_pk_mul_f16 v10, v69, v10;

	;;#ASMEND
	v_add_f32_e32 v33, v33, v13
	v_dual_add_f32 v12, v112, v113 :: v_dual_add_f32 v49, v49, v14
	;;#ASMSTART
	v_pk_mul_f16 v0, v67, v0;

	;;#ASMEND
	;;#ASMSTART
	v_pk_mul_f16 v9, v66, v9;

	;;#ASMEND
	;;#ASMSTART
	v_pk_add_f16 v10, v11, v10;

	;;#ASMEND
	s_delay_alu instid0(VALU_DEP_1)
	v_dual_add_f32 v31, v31, v12 :: v_dual_add_f32 v12, v102, v103
	;;#ASMSTART
	v_pk_add_f16 v0, v10, v0;

	;;#ASMEND
	;;#ASMSTART
	v_pk_add_f16 v0, v0, v9;

	;;#ASMEND
	v_dual_add_f32 v38, v86, v87 :: v_dual_and_b32 v9, 0xffff, v0
	v_lshrrev_b32_e32 v0, 16, v0
	v_add_nc_u32_e32 v6, 4, v6
	;;#ASMSTART
	v_cvt_f32_f16 v9, v9;
	;;#ASMEND
	;;#ASMSTART
	v_cvt_f32_f16 v0, v0;
	;;#ASMEND
	v_add_f32_e32 v29, v29, v17
	v_add_f32_e32 v17, v96, v97
	v_dual_add_f32 v32, v32, v12 :: v_dual_add_f32 v11, v82, v83
	v_dual_add_f32 v12, v68, v70 :: v_dual_add_nc_u32 v15, 0x80, v15
	v_add_f32_e32 v0, v9, v0
	v_add_f32_e32 v10, v84, v85
	v_cmp_ge_i32_e32 vcc_lo, v6, v23
	v_add_co_u32 v7, s0, v7, 16
	s_delay_alu instid0(VALU_DEP_4) | instskip(NEXT) | instid1(VALU_DEP_4)
	v_dual_add_f32 v21, v21, v0 :: v_dual_add_f32 v50, v50, v17
	v_add_f32_e32 v53, v53, v10
	v_dual_add_f32 v52, v52, v38 :: v_dual_add_f32 v51, v51, v12
	v_add_f32_e32 v54, v54, v11
	v_add_co_ci_u32_e64 v8, s0, 0, v8, s0
	v_add_nc_u32_e32 v16, 0x200, v16
	s_or_b32 s5, vcc_lo, s5
	s_delay_alu instid0(SALU_CYCLE_1)
	s_and_not1_b32 exec_lo, exec_lo, s5
	s_cbranch_execz .LBB367_1981
.LBB367_991:                            ; =>This Inner Loop Header: Depth=1
	flat_load_b32 v0, v[7:8]
	ds_load_2addr_b64 v[10:13], v16 offset1:1
	ds_load_2addr_b64 v[81:84], v16 offset0:2 offset1:3
	v_mov_b32_e32 v38, 0
	s_mov_b32 s0, exec_lo
	s_waitcnt lgkmcnt(1)
	;;#ASMSTART
	v_cvt_f16_f32 v66, v10;

	;;#ASMEND
	;;#ASMSTART
	v_cvt_f16_f32 v67, v11;

	;;#ASMEND
	;; [unrolled: 4-line block ×4, first 2 shown]
	s_waitcnt lgkmcnt(0)
	;;#ASMSTART
	v_cvt_f16_f32 v71, v81;

	;;#ASMEND
	;;#ASMSTART
	v_cvt_f16_f32 v70, v82;

	;;#ASMEND
	;; [unrolled: 4-line block ×4, first 2 shown]
	s_waitcnt vmcnt(0)
	v_mad_i64_i32 v[9:10], null, v0, v22, v[2:3]
	flat_load_b64 v[11:12], v[9:10]
	flat_load_b32 v17, v[26:27]
	s_waitcnt vmcnt(1) lgkmcnt(1)
	v_and_b32_e32 v0, 0xff, v11
	s_delay_alu instid0(VALU_DEP_1)
	v_cmpx_ne_u16_e32 0, v0
	s_cbranch_execz .LBB367_999
; %bb.992:                              ;   in Loop: Header=BB367_991 Depth=1
	v_bfrev_b32_e32 v38, 1
	s_mov_b32 s10, exec_lo
	v_cmpx_ne_u16_e32 0x80, v0
	s_cbranch_execz .LBB367_998
; %bb.993:                              ;   in Loop: Header=BB367_991 Depth=1
	v_and_b32_e32 v13, 0x7f, v11
	v_mov_b32_e32 v38, 0x7fc02000
	s_mov_b32 s12, exec_lo
	s_delay_alu instid0(VALU_DEP_2)
	v_cmpx_ne_u32_e32 0x7f, v13
	s_cbranch_execz .LBB367_997
; %bb.994:                              ;   in Loop: Header=BB367_991 Depth=1
	v_lshrrev_b32_e32 v0, 3, v13
	v_cmp_gt_u32_e32 vcc_lo, 8, v13
	v_dual_mov_b32 v14, v12 :: v_dual_mov_b32 v13, v11
	s_and_saveexec_b32 s13, vcc_lo
; %bb.995:                              ;   in Loop: Header=BB367_991 Depth=1
	v_and_b32_e32 v0, 7, v11
	s_delay_alu instid0(VALU_DEP_1) | instskip(NEXT) | instid1(VALU_DEP_1)
	v_clz_i32_u32_e32 v0, v0
	v_min_u32_e32 v0, 32, v0
	s_delay_alu instid0(VALU_DEP_1) | instskip(SKIP_1) | instid1(VALU_DEP_2)
	v_subrev_nc_u32_e32 v13, 28, v0
	v_sub_nc_u32_e32 v0, 29, v0
	v_lshlrev_b64 v[13:14], v13, v[11:12]
; %bb.996:                              ;   in Loop: Header=BB367_991 Depth=1
	s_or_b32 exec_lo, exec_lo, s13
	v_lshlrev_b32_e32 v14, 8, v11
	s_delay_alu instid0(VALU_DEP_3) | instskip(NEXT) | instid1(VALU_DEP_3)
	v_lshl_add_u32 v0, v0, 10, 0x2000
	v_lshlrev_b32_e32 v13, 7, v13
	s_delay_alu instid0(VALU_DEP_2) | instskip(NEXT) | instid1(VALU_DEP_1)
	v_and_or_b32 v0, 0x8000, v14, v0
	v_and_or_b32 v0, 0x380, v13, v0
	s_delay_alu instid0(VALU_DEP_1)
	v_cvt_f32_f16_e32 v38, v0
.LBB367_997:                            ;   in Loop: Header=BB367_991 Depth=1
	s_or_b32 exec_lo, exec_lo, s12
.LBB367_998:                            ;   in Loop: Header=BB367_991 Depth=1
	s_delay_alu instid0(SALU_CYCLE_1)
	s_or_b32 exec_lo, exec_lo, s10
.LBB367_999:                            ;   in Loop: Header=BB367_991 Depth=1
	s_delay_alu instid0(SALU_CYCLE_1) | instskip(SKIP_3) | instid1(VALU_DEP_2)
	s_or_b32 exec_lo, exec_lo, s0
	v_lshrrev_b16 v0, 8, v11
	v_dual_mov_b32 v64, 0 :: v_dual_mov_b32 v55, 0
	s_mov_b32 s0, exec_lo
	v_cmpx_ne_u16_e32 0, v0
	s_cbranch_execz .LBB367_1007
; %bb.1000:                             ;   in Loop: Header=BB367_991 Depth=1
	v_bfrev_b32_e32 v55, 1
	s_mov_b32 s10, exec_lo
	v_cmpx_ne_u16_e32 0x80, v0
	s_cbranch_execz .LBB367_1006
; %bb.1001:                             ;   in Loop: Header=BB367_991 Depth=1
	v_and_b32_e32 v65, 0xffff, v0
	v_mov_b32_e32 v55, 0x7fc02000
	s_mov_b32 s12, exec_lo
	s_delay_alu instid0(VALU_DEP_2) | instskip(NEXT) | instid1(VALU_DEP_1)
	v_and_b32_e32 v13, 0x7f, v65
	v_cmpx_ne_u32_e32 0x7f, v13
	s_cbranch_execz .LBB367_1005
; %bb.1002:                             ;   in Loop: Header=BB367_991 Depth=1
	v_and_b32_e32 v0, 7, v65
	v_lshrrev_b32_e32 v55, 3, v13
	v_cmp_gt_u32_e32 vcc_lo, 8, v13
	s_delay_alu instid0(VALU_DEP_3)
	v_dual_mov_b32 v14, v1 :: v_dual_mov_b32 v13, v0
	s_and_saveexec_b32 s13, vcc_lo
; %bb.1003:                             ;   in Loop: Header=BB367_991 Depth=1
	v_clz_i32_u32_e32 v13, v0
	s_delay_alu instid0(VALU_DEP_1) | instskip(NEXT) | instid1(VALU_DEP_1)
	v_min_u32_e32 v55, 32, v13
	v_subrev_nc_u32_e32 v13, 28, v55
	v_sub_nc_u32_e32 v55, 29, v55
	s_delay_alu instid0(VALU_DEP_2) | instskip(NEXT) | instid1(VALU_DEP_1)
	v_lshlrev_b64 v[13:14], v13, v[0:1]
	v_and_b32_e32 v13, 7, v13
; %bb.1004:                             ;   in Loop: Header=BB367_991 Depth=1
	s_or_b32 exec_lo, exec_lo, s13
	v_lshlrev_b32_e32 v0, 8, v65
	v_lshl_add_u32 v14, v55, 10, 0x2000
	s_delay_alu instid0(VALU_DEP_1) | instskip(NEXT) | instid1(VALU_DEP_1)
	v_and_or_b32 v0, 0x8000, v0, v14
	v_lshl_or_b32 v0, v13, 7, v0
	s_delay_alu instid0(VALU_DEP_1)
	v_cvt_f32_f16_e32 v55, v0
.LBB367_1005:                           ;   in Loop: Header=BB367_991 Depth=1
	s_or_b32 exec_lo, exec_lo, s12
.LBB367_1006:                           ;   in Loop: Header=BB367_991 Depth=1
	s_delay_alu instid0(SALU_CYCLE_1)
	s_or_b32 exec_lo, exec_lo, s10
.LBB367_1007:                           ;   in Loop: Header=BB367_991 Depth=1
	s_delay_alu instid0(SALU_CYCLE_1) | instskip(SKIP_2) | instid1(VALU_DEP_1)
	s_or_b32 exec_lo, exec_lo, s0
	v_lshrrev_b32_e32 v65, 16, v11
	s_mov_b32 s0, exec_lo
	v_and_b32_e32 v0, 0xff, v65
	s_delay_alu instid0(VALU_DEP_1)
	v_cmpx_ne_u16_e32 0, v0
	s_cbranch_execz .LBB367_1015
; %bb.1008:                             ;   in Loop: Header=BB367_991 Depth=1
	v_bfrev_b32_e32 v64, 1
	s_mov_b32 s10, exec_lo
	v_cmpx_ne_u16_e32 0x80, v0
	s_cbranch_execz .LBB367_1014
; %bb.1009:                             ;   in Loop: Header=BB367_991 Depth=1
	v_bfe_u32 v13, v11, 16, 7
	v_mov_b32_e32 v64, 0x7fc02000
	s_mov_b32 s12, exec_lo
	s_delay_alu instid0(VALU_DEP_2)
	v_cmpx_ne_u32_e32 0x7f, v13
	s_cbranch_execz .LBB367_1013
; %bb.1010:                             ;   in Loop: Header=BB367_991 Depth=1
	v_and_b32_e32 v0, 7, v65
	v_lshrrev_b32_e32 v64, 3, v13
	v_cmp_gt_u32_e32 vcc_lo, 8, v13
	s_delay_alu instid0(VALU_DEP_3)
	v_dual_mov_b32 v14, v1 :: v_dual_mov_b32 v13, v0
	s_and_saveexec_b32 s13, vcc_lo
; %bb.1011:                             ;   in Loop: Header=BB367_991 Depth=1
	v_clz_i32_u32_e32 v13, v0
	s_delay_alu instid0(VALU_DEP_1) | instskip(NEXT) | instid1(VALU_DEP_1)
	v_min_u32_e32 v64, 32, v13
	v_subrev_nc_u32_e32 v13, 28, v64
	v_sub_nc_u32_e32 v64, 29, v64
	s_delay_alu instid0(VALU_DEP_2) | instskip(NEXT) | instid1(VALU_DEP_1)
	v_lshlrev_b64 v[13:14], v13, v[0:1]
	v_and_b32_e32 v13, 7, v13
; %bb.1012:                             ;   in Loop: Header=BB367_991 Depth=1
	s_or_b32 exec_lo, exec_lo, s13
	v_lshlrev_b32_e32 v0, 8, v65
	v_lshl_add_u32 v14, v64, 10, 0x2000
	s_delay_alu instid0(VALU_DEP_1) | instskip(NEXT) | instid1(VALU_DEP_1)
	v_and_or_b32 v0, 0x8000, v0, v14
	v_lshl_or_b32 v0, v13, 7, v0
	s_delay_alu instid0(VALU_DEP_1)
	v_cvt_f32_f16_e32 v64, v0
.LBB367_1013:                           ;   in Loop: Header=BB367_991 Depth=1
	s_or_b32 exec_lo, exec_lo, s12
.LBB367_1014:                           ;   in Loop: Header=BB367_991 Depth=1
	s_delay_alu instid0(SALU_CYCLE_1)
	s_or_b32 exec_lo, exec_lo, s10
.LBB367_1015:                           ;   in Loop: Header=BB367_991 Depth=1
	s_delay_alu instid0(SALU_CYCLE_1)
	s_or_b32 exec_lo, exec_lo, s0
	v_dual_mov_b32 v65, 0 :: v_dual_mov_b32 v80, 0
	s_mov_b32 s0, exec_lo
	v_cmpx_lt_u32_e32 0xffffff, v11
	s_cbranch_execz .LBB367_1023
; %bb.1016:                             ;   in Loop: Header=BB367_991 Depth=1
	v_lshrrev_b32_e32 v81, 24, v11
	v_bfrev_b32_e32 v80, 1
	s_mov_b32 s10, exec_lo
	s_delay_alu instid0(VALU_DEP_2)
	v_cmpx_ne_u32_e32 0x80, v81
	s_cbranch_execz .LBB367_1022
; %bb.1017:                             ;   in Loop: Header=BB367_991 Depth=1
	v_and_b32_e32 v13, 0x7f, v81
	v_mov_b32_e32 v80, 0x7fc02000
	s_mov_b32 s12, exec_lo
	s_delay_alu instid0(VALU_DEP_2)
	v_cmpx_ne_u32_e32 0x7f, v13
	s_cbranch_execz .LBB367_1021
; %bb.1018:                             ;   in Loop: Header=BB367_991 Depth=1
	v_and_b32_e32 v0, 7, v81
	v_lshrrev_b32_e32 v80, 3, v13
	v_cmp_gt_u32_e32 vcc_lo, 8, v13
	s_delay_alu instid0(VALU_DEP_3)
	v_dual_mov_b32 v14, v1 :: v_dual_mov_b32 v13, v0
	s_and_saveexec_b32 s13, vcc_lo
; %bb.1019:                             ;   in Loop: Header=BB367_991 Depth=1
	v_clz_i32_u32_e32 v13, v0
	s_delay_alu instid0(VALU_DEP_1) | instskip(NEXT) | instid1(VALU_DEP_1)
	v_min_u32_e32 v80, 32, v13
	v_subrev_nc_u32_e32 v13, 28, v80
	v_sub_nc_u32_e32 v80, 29, v80
	s_delay_alu instid0(VALU_DEP_2) | instskip(NEXT) | instid1(VALU_DEP_1)
	v_lshlrev_b64 v[13:14], v13, v[0:1]
	v_and_b32_e32 v13, 7, v13
; %bb.1020:                             ;   in Loop: Header=BB367_991 Depth=1
	s_or_b32 exec_lo, exec_lo, s13
	v_lshlrev_b32_e32 v0, 8, v81
	v_lshl_add_u32 v14, v80, 10, 0x2000
	s_delay_alu instid0(VALU_DEP_1) | instskip(NEXT) | instid1(VALU_DEP_1)
	v_and_or_b32 v0, 0x8000, v0, v14
	v_lshl_or_b32 v0, v13, 7, v0
	s_delay_alu instid0(VALU_DEP_1)
	v_cvt_f32_f16_e32 v80, v0
.LBB367_1021:                           ;   in Loop: Header=BB367_991 Depth=1
	s_or_b32 exec_lo, exec_lo, s12
.LBB367_1022:                           ;   in Loop: Header=BB367_991 Depth=1
	s_delay_alu instid0(SALU_CYCLE_1)
	s_or_b32 exec_lo, exec_lo, s10
.LBB367_1023:                           ;   in Loop: Header=BB367_991 Depth=1
	s_delay_alu instid0(SALU_CYCLE_1) | instskip(SKIP_2) | instid1(VALU_DEP_1)
	s_or_b32 exec_lo, exec_lo, s0
	v_dual_mov_b32 v0, v12 :: v_dual_and_b32 v13, 0xff, v12
	s_mov_b32 s0, exec_lo
	v_cmpx_ne_u16_e32 0, v13
	s_cbranch_execz .LBB367_1031
; %bb.1024:                             ;   in Loop: Header=BB367_991 Depth=1
	v_bfrev_b32_e32 v65, 1
	s_mov_b32 s10, exec_lo
	v_cmpx_ne_u16_e32 0x80, v13
	s_cbranch_execz .LBB367_1030
; %bb.1025:                             ;   in Loop: Header=BB367_991 Depth=1
	v_and_b32_e32 v13, 0x7f, v12
	v_mov_b32_e32 v65, 0x7fc02000
	s_mov_b32 s12, exec_lo
	s_delay_alu instid0(VALU_DEP_2)
	v_cmpx_ne_u32_e32 0x7f, v13
	s_cbranch_execz .LBB367_1029
; %bb.1026:                             ;   in Loop: Header=BB367_991 Depth=1
	v_lshrrev_b32_e32 v65, 3, v13
	v_cmp_gt_u32_e32 vcc_lo, 8, v13
	v_dual_mov_b32 v14, v1 :: v_dual_mov_b32 v13, v0
	s_and_saveexec_b32 s13, vcc_lo
; %bb.1027:                             ;   in Loop: Header=BB367_991 Depth=1
	v_and_b32_e32 v13, 7, v12
	s_delay_alu instid0(VALU_DEP_1) | instskip(NEXT) | instid1(VALU_DEP_1)
	v_clz_i32_u32_e32 v13, v13
	v_min_u32_e32 v65, 32, v13
	s_delay_alu instid0(VALU_DEP_1) | instskip(SKIP_1) | instid1(VALU_DEP_2)
	v_subrev_nc_u32_e32 v13, 28, v65
	v_sub_nc_u32_e32 v65, 29, v65
	v_lshlrev_b64 v[13:14], v13, v[0:1]
; %bb.1028:                             ;   in Loop: Header=BB367_991 Depth=1
	s_or_b32 exec_lo, exec_lo, s13
	v_lshlrev_b32_e32 v14, 8, v12
	s_delay_alu instid0(VALU_DEP_3) | instskip(NEXT) | instid1(VALU_DEP_3)
	v_lshl_add_u32 v65, v65, 10, 0x2000
	v_lshlrev_b32_e32 v13, 7, v13
	s_delay_alu instid0(VALU_DEP_2) | instskip(NEXT) | instid1(VALU_DEP_1)
	v_and_or_b32 v14, 0x8000, v14, v65
	v_and_or_b32 v13, 0x380, v13, v14
	s_delay_alu instid0(VALU_DEP_1)
	v_cvt_f32_f16_e32 v65, v13
.LBB367_1029:                           ;   in Loop: Header=BB367_991 Depth=1
	s_or_b32 exec_lo, exec_lo, s12
.LBB367_1030:                           ;   in Loop: Header=BB367_991 Depth=1
	s_delay_alu instid0(SALU_CYCLE_1)
	s_or_b32 exec_lo, exec_lo, s10
.LBB367_1031:                           ;   in Loop: Header=BB367_991 Depth=1
	s_delay_alu instid0(SALU_CYCLE_1) | instskip(SKIP_3) | instid1(VALU_DEP_2)
	s_or_b32 exec_lo, exec_lo, s0
	v_lshrrev_b16 v0, 8, v0
	v_dual_mov_b32 v81, 0 :: v_dual_mov_b32 v84, 0
	s_mov_b32 s0, exec_lo
	v_cmpx_ne_u16_e32 0, v0
	s_cbranch_execz .LBB367_1039
; %bb.1032:                             ;   in Loop: Header=BB367_991 Depth=1
	v_bfrev_b32_e32 v84, 1
	s_mov_b32 s10, exec_lo
	v_cmpx_ne_u16_e32 0x80, v0
	s_cbranch_execz .LBB367_1038
; %bb.1033:                             ;   in Loop: Header=BB367_991 Depth=1
	v_and_b32_e32 v85, 0xffff, v0
	v_mov_b32_e32 v84, 0x7fc02000
	s_mov_b32 s12, exec_lo
	s_delay_alu instid0(VALU_DEP_2) | instskip(NEXT) | instid1(VALU_DEP_1)
	v_and_b32_e32 v13, 0x7f, v85
	v_cmpx_ne_u32_e32 0x7f, v13
	s_cbranch_execz .LBB367_1037
; %bb.1034:                             ;   in Loop: Header=BB367_991 Depth=1
	v_and_b32_e32 v0, 7, v85
	v_lshrrev_b32_e32 v84, 3, v13
	v_cmp_gt_u32_e32 vcc_lo, 8, v13
	s_delay_alu instid0(VALU_DEP_3)
	v_dual_mov_b32 v14, v1 :: v_dual_mov_b32 v13, v0
	s_and_saveexec_b32 s13, vcc_lo
; %bb.1035:                             ;   in Loop: Header=BB367_991 Depth=1
	v_clz_i32_u32_e32 v13, v0
	s_delay_alu instid0(VALU_DEP_1) | instskip(NEXT) | instid1(VALU_DEP_1)
	v_min_u32_e32 v84, 32, v13
	v_subrev_nc_u32_e32 v13, 28, v84
	v_sub_nc_u32_e32 v84, 29, v84
	s_delay_alu instid0(VALU_DEP_2) | instskip(NEXT) | instid1(VALU_DEP_1)
	v_lshlrev_b64 v[13:14], v13, v[0:1]
	v_and_b32_e32 v13, 7, v13
; %bb.1036:                             ;   in Loop: Header=BB367_991 Depth=1
	s_or_b32 exec_lo, exec_lo, s13
	v_lshlrev_b32_e32 v0, 8, v85
	v_lshl_add_u32 v14, v84, 10, 0x2000
	s_delay_alu instid0(VALU_DEP_1) | instskip(NEXT) | instid1(VALU_DEP_1)
	v_and_or_b32 v0, 0x8000, v0, v14
	v_lshl_or_b32 v0, v13, 7, v0
	s_delay_alu instid0(VALU_DEP_1)
	v_cvt_f32_f16_e32 v84, v0
.LBB367_1037:                           ;   in Loop: Header=BB367_991 Depth=1
	s_or_b32 exec_lo, exec_lo, s12
.LBB367_1038:                           ;   in Loop: Header=BB367_991 Depth=1
	s_delay_alu instid0(SALU_CYCLE_1)
	s_or_b32 exec_lo, exec_lo, s10
.LBB367_1039:                           ;   in Loop: Header=BB367_991 Depth=1
	s_delay_alu instid0(SALU_CYCLE_1) | instskip(SKIP_2) | instid1(VALU_DEP_1)
	s_or_b32 exec_lo, exec_lo, s0
	v_lshrrev_b32_e32 v85, 16, v12
	s_mov_b32 s0, exec_lo
	v_and_b32_e32 v0, 0xff, v85
	s_delay_alu instid0(VALU_DEP_1)
	v_cmpx_ne_u16_e32 0, v0
	s_cbranch_execz .LBB367_1047
; %bb.1040:                             ;   in Loop: Header=BB367_991 Depth=1
	v_bfrev_b32_e32 v81, 1
	s_mov_b32 s10, exec_lo
	v_cmpx_ne_u16_e32 0x80, v0
	s_cbranch_execz .LBB367_1046
; %bb.1041:                             ;   in Loop: Header=BB367_991 Depth=1
	v_bfe_u32 v13, v12, 16, 7
	v_mov_b32_e32 v81, 0x7fc02000
	s_mov_b32 s12, exec_lo
	s_delay_alu instid0(VALU_DEP_2)
	v_cmpx_ne_u32_e32 0x7f, v13
	s_cbranch_execz .LBB367_1045
; %bb.1042:                             ;   in Loop: Header=BB367_991 Depth=1
	v_and_b32_e32 v0, 7, v85
	v_lshrrev_b32_e32 v81, 3, v13
	v_cmp_gt_u32_e32 vcc_lo, 8, v13
	s_delay_alu instid0(VALU_DEP_3)
	v_dual_mov_b32 v14, v1 :: v_dual_mov_b32 v13, v0
	s_and_saveexec_b32 s13, vcc_lo
; %bb.1043:                             ;   in Loop: Header=BB367_991 Depth=1
	v_clz_i32_u32_e32 v13, v0
	s_delay_alu instid0(VALU_DEP_1) | instskip(NEXT) | instid1(VALU_DEP_1)
	v_min_u32_e32 v81, 32, v13
	v_subrev_nc_u32_e32 v13, 28, v81
	v_sub_nc_u32_e32 v81, 29, v81
	s_delay_alu instid0(VALU_DEP_2) | instskip(NEXT) | instid1(VALU_DEP_1)
	v_lshlrev_b64 v[13:14], v13, v[0:1]
	v_and_b32_e32 v13, 7, v13
; %bb.1044:                             ;   in Loop: Header=BB367_991 Depth=1
	s_or_b32 exec_lo, exec_lo, s13
	v_lshlrev_b32_e32 v0, 8, v85
	v_lshl_add_u32 v14, v81, 10, 0x2000
	s_delay_alu instid0(VALU_DEP_1) | instskip(NEXT) | instid1(VALU_DEP_1)
	v_and_or_b32 v0, 0x8000, v0, v14
	v_lshl_or_b32 v0, v13, 7, v0
	s_delay_alu instid0(VALU_DEP_1)
	v_cvt_f32_f16_e32 v81, v0
.LBB367_1045:                           ;   in Loop: Header=BB367_991 Depth=1
	s_or_b32 exec_lo, exec_lo, s12
.LBB367_1046:                           ;   in Loop: Header=BB367_991 Depth=1
	s_delay_alu instid0(SALU_CYCLE_1)
	s_or_b32 exec_lo, exec_lo, s10
.LBB367_1047:                           ;   in Loop: Header=BB367_991 Depth=1
	s_delay_alu instid0(SALU_CYCLE_1)
	s_or_b32 exec_lo, exec_lo, s0
	v_mov_b32_e32 v0, 0
	s_mov_b32 s0, exec_lo
	v_cmpx_lt_u64_e64 s[8:9], v[11:12]
	s_cbranch_execz .LBB367_1055
; %bb.1048:                             ;   in Loop: Header=BB367_991 Depth=1
	v_lshrrev_b32_e32 v13, 24, v12
	v_bfrev_b32_e32 v0, 1
	s_mov_b32 s10, exec_lo
	s_delay_alu instid0(VALU_DEP_2)
	v_cmpx_ne_u32_e32 0x80, v13
	s_cbranch_execz .LBB367_1054
; %bb.1049:                             ;   in Loop: Header=BB367_991 Depth=1
	v_and_b32_e32 v11, 0x7f, v13
	v_mov_b32_e32 v0, 0x7fc02000
	s_mov_b32 s12, exec_lo
	s_delay_alu instid0(VALU_DEP_2)
	v_cmpx_ne_u32_e32 0x7f, v11
	s_cbranch_execz .LBB367_1053
; %bb.1050:                             ;   in Loop: Header=BB367_991 Depth=1
	v_and_b32_e32 v0, 7, v13
	v_lshrrev_b32_e32 v14, 3, v11
	v_cmp_gt_u32_e32 vcc_lo, 8, v11
	s_delay_alu instid0(VALU_DEP_3)
	v_dual_mov_b32 v12, v1 :: v_dual_mov_b32 v11, v0
	s_and_saveexec_b32 s13, vcc_lo
; %bb.1051:                             ;   in Loop: Header=BB367_991 Depth=1
	v_clz_i32_u32_e32 v11, v0
	s_delay_alu instid0(VALU_DEP_1) | instskip(NEXT) | instid1(VALU_DEP_1)
	v_min_u32_e32 v14, 32, v11
	v_subrev_nc_u32_e32 v11, 28, v14
	v_sub_nc_u32_e32 v14, 29, v14
	s_delay_alu instid0(VALU_DEP_2) | instskip(NEXT) | instid1(VALU_DEP_1)
	v_lshlrev_b64 v[11:12], v11, v[0:1]
	v_and_b32_e32 v11, 7, v11
; %bb.1052:                             ;   in Loop: Header=BB367_991 Depth=1
	s_or_b32 exec_lo, exec_lo, s13
	v_lshlrev_b32_e32 v0, 8, v13
	v_lshl_add_u32 v12, v14, 10, 0x2000
	s_delay_alu instid0(VALU_DEP_1) | instskip(NEXT) | instid1(VALU_DEP_1)
	v_and_or_b32 v0, 0x8000, v0, v12
	v_lshl_or_b32 v0, v11, 7, v0
	s_delay_alu instid0(VALU_DEP_1)
	v_cvt_f32_f16_e32 v0, v0
.LBB367_1053:                           ;   in Loop: Header=BB367_991 Depth=1
	s_or_b32 exec_lo, exec_lo, s12
.LBB367_1054:                           ;   in Loop: Header=BB367_991 Depth=1
	s_delay_alu instid0(SALU_CYCLE_1)
	s_or_b32 exec_lo, exec_lo, s10
.LBB367_1055:                           ;   in Loop: Header=BB367_991 Depth=1
	s_delay_alu instid0(SALU_CYCLE_1)
	s_or_b32 exec_lo, exec_lo, s0
	s_waitcnt vmcnt(0) lgkmcnt(0)
	v_fma_mixlo_f16 v13, v17, v55, 0
	v_fma_mixlo_f16 v11, v17, v80, 0
	;; [unrolled: 1-line block ×5, first 2 shown]
	v_lshlrev_b32_e32 v14, 16, v13
	v_fma_mixlo_f16 v64, v17, v65, 0
	v_fma_mixlo_f16 v0, v17, v0, 0
	;; [unrolled: 1-line block ×3, first 2 shown]
	v_lshlrev_b32_e32 v11, 16, v11
	v_and_b32_e32 v12, 0xffff, v12
	v_and_b32_e32 v17, 0xffff, v38
	v_lshlrev_b32_e32 v38, 16, v55
	v_and_b32_e32 v55, 0xffff, v64
	v_lshlrev_b32_e32 v64, 16, v0
	v_and_b32_e32 v65, 0xffff, v13
	v_cmp_eq_u32_e32 vcc_lo, v39, v6
	v_or_b32_e32 v12, v11, v12
	v_or_b32_e32 v14, v14, v17
	;; [unrolled: 1-line block ×4, first 2 shown]
	v_add_nc_u32_e32 v81, 1, v15
	v_or_b32_e32 v80, 3, v15
	v_or_b32_e32 v65, 2, v15
	;; [unrolled: 1-line block ×6, first 2 shown]
	s_and_saveexec_b32 s10, vcc_lo
	s_cbranch_execz .LBB367_1057
; %bb.1056:                             ;   in Loop: Header=BB367_991 Depth=1
	v_cmp_lt_i32_e64 s0, v15, v36
	v_lshrrev_b32_e32 v84, 16, v14
	v_lshrrev_b32_e32 v85, 16, v12
	;; [unrolled: 1-line block ×4, first 2 shown]
	v_cndmask_b32_e64 v14, 0, v14, s0
	v_cmp_lt_i32_e64 s0, v81, v48
	s_delay_alu instid0(VALU_DEP_1) | instskip(SKIP_1) | instid1(VALU_DEP_2)
	v_cndmask_b32_e64 v84, 0, v84, s0
	v_cmp_lt_i32_e64 s0, v80, v48
	v_perm_b32 v14, v84, v14, 0x5040100
	s_delay_alu instid0(VALU_DEP_2) | instskip(SKIP_1) | instid1(VALU_DEP_1)
	v_cndmask_b32_e64 v85, 0, v85, s0
	v_cmp_lt_i32_e64 s0, v65, v36
	v_cndmask_b32_e64 v12, 0, v12, s0
	v_cmp_lt_i32_e64 s0, v64, v48
	s_delay_alu instid0(VALU_DEP_2) | instskip(NEXT) | instid1(VALU_DEP_2)
	v_perm_b32 v12, v85, v12, 0x5040100
	v_cndmask_b32_e64 v86, 0, v86, s0
	v_cmp_lt_i32_e64 s0, v55, v36
	s_delay_alu instid0(VALU_DEP_1) | instskip(SKIP_1) | instid1(VALU_DEP_2)
	v_cndmask_b32_e64 v0, 0, v0, s0
	v_cmp_lt_i32_e64 s0, v38, v48
	v_perm_b32 v0, v86, v0, 0x5040100
	s_delay_alu instid0(VALU_DEP_2) | instskip(SKIP_1) | instid1(VALU_DEP_1)
	v_cndmask_b32_e64 v11, 0, v11, s0
	v_cmp_lt_i32_e64 s0, v17, v36
	v_cndmask_b32_e64 v13, 0, v13, s0
	s_delay_alu instid0(VALU_DEP_1)
	v_perm_b32 v11, v11, v13, 0x5040100
.LBB367_1057:                           ;   in Loop: Header=BB367_991 Depth=1
	s_or_b32 exec_lo, exec_lo, s10
	v_and_b32_e32 v13, 0xffff, v66
	v_and_b32_e32 v66, 0xffff, v69
	;; [unrolled: 1-line block ×4, first 2 shown]
	s_mov_b32 s10, exec_lo
	v_lshl_or_b32 v71, v67, 16, v13
	v_lshl_or_b32 v69, v68, 16, v66
	;; [unrolled: 1-line block ×3, first 2 shown]
	;;#ASMSTART
	v_pk_mul_f16 v13, v71, v14;

	;;#ASMEND
	;;#ASMSTART
	v_pk_mul_f16 v12, v69, v12;

	;;#ASMEND
	;; [unrolled: 4-line block ×3, first 2 shown]
	v_lshl_or_b32 v66, v82, 16, v83
	v_mov_b32_e32 v83, 0
	;;#ASMSTART
	v_pk_mul_f16 v11, v66, v11;

	;;#ASMEND
	;;#ASMSTART
	v_pk_add_f16 v12, v13, v12;

	;;#ASMEND
	;;#ASMSTART
	v_pk_add_f16 v0, v12, v0;
	;; [unrolled: 4-line block ×3, first 2 shown]

	;;#ASMEND
	v_and_b32_e32 v11, 0xffff, v0
	v_lshrrev_b32_e32 v0, 16, v0
	;;#ASMSTART
	v_cvt_f32_f16 v68, v11;
	;;#ASMEND
	;;#ASMSTART
	v_cvt_f32_f16 v70, v0;
	;;#ASMEND
	flat_load_b64 v[11:12], v[9:10] offset:256
	flat_load_b32 v82, v[26:27]
	v_mov_b32_e32 v84, 0
	s_waitcnt vmcnt(1) lgkmcnt(1)
	v_and_b32_e32 v0, 0xff, v11
	s_delay_alu instid0(VALU_DEP_1)
	v_cmpx_ne_u16_e32 0, v0
	s_cbranch_execz .LBB367_1065
; %bb.1058:                             ;   in Loop: Header=BB367_991 Depth=1
	v_bfrev_b32_e32 v83, 1
	s_mov_b32 s12, exec_lo
	v_cmpx_ne_u16_e32 0x80, v0
	s_cbranch_execz .LBB367_1064
; %bb.1059:                             ;   in Loop: Header=BB367_991 Depth=1
	v_and_b32_e32 v13, 0x7f, v11
	v_mov_b32_e32 v83, 0x7fc02000
	s_mov_b32 s13, exec_lo
	s_delay_alu instid0(VALU_DEP_2)
	v_cmpx_ne_u32_e32 0x7f, v13
	s_cbranch_execz .LBB367_1063
; %bb.1060:                             ;   in Loop: Header=BB367_991 Depth=1
	v_lshrrev_b32_e32 v0, 3, v13
	v_cmp_gt_u32_e64 s0, 8, v13
	v_dual_mov_b32 v14, v12 :: v_dual_mov_b32 v13, v11
	s_delay_alu instid0(VALU_DEP_2)
	s_and_saveexec_b32 s15, s0
; %bb.1061:                             ;   in Loop: Header=BB367_991 Depth=1
	v_and_b32_e32 v0, 7, v11
	s_delay_alu instid0(VALU_DEP_1) | instskip(NEXT) | instid1(VALU_DEP_1)
	v_clz_i32_u32_e32 v0, v0
	v_min_u32_e32 v0, 32, v0
	s_delay_alu instid0(VALU_DEP_1) | instskip(SKIP_1) | instid1(VALU_DEP_2)
	v_subrev_nc_u32_e32 v13, 28, v0
	v_sub_nc_u32_e32 v0, 29, v0
	v_lshlrev_b64 v[13:14], v13, v[11:12]
; %bb.1062:                             ;   in Loop: Header=BB367_991 Depth=1
	s_or_b32 exec_lo, exec_lo, s15
	v_lshlrev_b32_e32 v14, 8, v11
	s_delay_alu instid0(VALU_DEP_3) | instskip(NEXT) | instid1(VALU_DEP_3)
	v_lshl_add_u32 v0, v0, 10, 0x2000
	v_lshlrev_b32_e32 v13, 7, v13
	s_delay_alu instid0(VALU_DEP_2) | instskip(NEXT) | instid1(VALU_DEP_1)
	v_and_or_b32 v0, 0x8000, v14, v0
	v_and_or_b32 v0, 0x380, v13, v0
	s_delay_alu instid0(VALU_DEP_1)
	v_cvt_f32_f16_e32 v83, v0
.LBB367_1063:                           ;   in Loop: Header=BB367_991 Depth=1
	s_or_b32 exec_lo, exec_lo, s13
.LBB367_1064:                           ;   in Loop: Header=BB367_991 Depth=1
	s_delay_alu instid0(SALU_CYCLE_1)
	s_or_b32 exec_lo, exec_lo, s12
.LBB367_1065:                           ;   in Loop: Header=BB367_991 Depth=1
	s_delay_alu instid0(SALU_CYCLE_1) | instskip(SKIP_2) | instid1(VALU_DEP_1)
	s_or_b32 exec_lo, exec_lo, s10
	v_lshrrev_b16 v0, 8, v11
	s_mov_b32 s10, exec_lo
	v_cmpx_ne_u16_e32 0, v0
	s_cbranch_execz .LBB367_1073
; %bb.1066:                             ;   in Loop: Header=BB367_991 Depth=1
	v_bfrev_b32_e32 v84, 1
	s_mov_b32 s12, exec_lo
	v_cmpx_ne_u16_e32 0x80, v0
	s_cbranch_execz .LBB367_1072
; %bb.1067:                             ;   in Loop: Header=BB367_991 Depth=1
	v_and_b32_e32 v85, 0xffff, v0
	v_mov_b32_e32 v84, 0x7fc02000
	s_mov_b32 s13, exec_lo
	s_delay_alu instid0(VALU_DEP_2) | instskip(NEXT) | instid1(VALU_DEP_1)
	v_and_b32_e32 v13, 0x7f, v85
	v_cmpx_ne_u32_e32 0x7f, v13
	s_cbranch_execz .LBB367_1071
; %bb.1068:                             ;   in Loop: Header=BB367_991 Depth=1
	v_and_b32_e32 v0, 7, v85
	v_lshrrev_b32_e32 v84, 3, v13
	v_cmp_gt_u32_e64 s0, 8, v13
	s_delay_alu instid0(VALU_DEP_3) | instskip(NEXT) | instid1(VALU_DEP_2)
	v_dual_mov_b32 v14, v1 :: v_dual_mov_b32 v13, v0
	s_and_saveexec_b32 s15, s0
; %bb.1069:                             ;   in Loop: Header=BB367_991 Depth=1
	v_clz_i32_u32_e32 v13, v0
	s_delay_alu instid0(VALU_DEP_1) | instskip(NEXT) | instid1(VALU_DEP_1)
	v_min_u32_e32 v84, 32, v13
	v_subrev_nc_u32_e32 v13, 28, v84
	v_sub_nc_u32_e32 v84, 29, v84
	s_delay_alu instid0(VALU_DEP_2) | instskip(NEXT) | instid1(VALU_DEP_1)
	v_lshlrev_b64 v[13:14], v13, v[0:1]
	v_and_b32_e32 v13, 7, v13
; %bb.1070:                             ;   in Loop: Header=BB367_991 Depth=1
	s_or_b32 exec_lo, exec_lo, s15
	v_lshlrev_b32_e32 v0, 8, v85
	v_lshl_add_u32 v14, v84, 10, 0x2000
	s_delay_alu instid0(VALU_DEP_1) | instskip(NEXT) | instid1(VALU_DEP_1)
	v_and_or_b32 v0, 0x8000, v0, v14
	v_lshl_or_b32 v0, v13, 7, v0
	s_delay_alu instid0(VALU_DEP_1)
	v_cvt_f32_f16_e32 v84, v0
.LBB367_1071:                           ;   in Loop: Header=BB367_991 Depth=1
	s_or_b32 exec_lo, exec_lo, s13
.LBB367_1072:                           ;   in Loop: Header=BB367_991 Depth=1
	s_delay_alu instid0(SALU_CYCLE_1)
	s_or_b32 exec_lo, exec_lo, s12
.LBB367_1073:                           ;   in Loop: Header=BB367_991 Depth=1
	s_delay_alu instid0(SALU_CYCLE_1) | instskip(SKIP_3) | instid1(VALU_DEP_2)
	s_or_b32 exec_lo, exec_lo, s10
	v_lshrrev_b32_e32 v87, 16, v11
	v_mov_b32_e32 v86, 0
	s_mov_b32 s10, exec_lo
	v_dual_mov_b32 v85, 0 :: v_dual_and_b32 v0, 0xff, v87
	s_delay_alu instid0(VALU_DEP_1)
	v_cmpx_ne_u16_e32 0, v0
	s_cbranch_execz .LBB367_1081
; %bb.1074:                             ;   in Loop: Header=BB367_991 Depth=1
	v_bfrev_b32_e32 v85, 1
	s_mov_b32 s12, exec_lo
	v_cmpx_ne_u16_e32 0x80, v0
	s_cbranch_execz .LBB367_1080
; %bb.1075:                             ;   in Loop: Header=BB367_991 Depth=1
	v_bfe_u32 v13, v11, 16, 7
	v_mov_b32_e32 v85, 0x7fc02000
	s_mov_b32 s13, exec_lo
	s_delay_alu instid0(VALU_DEP_2)
	v_cmpx_ne_u32_e32 0x7f, v13
	s_cbranch_execz .LBB367_1079
; %bb.1076:                             ;   in Loop: Header=BB367_991 Depth=1
	v_and_b32_e32 v0, 7, v87
	v_lshrrev_b32_e32 v85, 3, v13
	v_cmp_gt_u32_e64 s0, 8, v13
	s_delay_alu instid0(VALU_DEP_3) | instskip(NEXT) | instid1(VALU_DEP_2)
	v_dual_mov_b32 v14, v1 :: v_dual_mov_b32 v13, v0
	s_and_saveexec_b32 s15, s0
; %bb.1077:                             ;   in Loop: Header=BB367_991 Depth=1
	v_clz_i32_u32_e32 v13, v0
	s_delay_alu instid0(VALU_DEP_1) | instskip(NEXT) | instid1(VALU_DEP_1)
	v_min_u32_e32 v85, 32, v13
	v_subrev_nc_u32_e32 v13, 28, v85
	v_sub_nc_u32_e32 v85, 29, v85
	s_delay_alu instid0(VALU_DEP_2) | instskip(NEXT) | instid1(VALU_DEP_1)
	v_lshlrev_b64 v[13:14], v13, v[0:1]
	v_and_b32_e32 v13, 7, v13
; %bb.1078:                             ;   in Loop: Header=BB367_991 Depth=1
	s_or_b32 exec_lo, exec_lo, s15
	v_lshlrev_b32_e32 v0, 8, v87
	v_lshl_add_u32 v14, v85, 10, 0x2000
	s_delay_alu instid0(VALU_DEP_1) | instskip(NEXT) | instid1(VALU_DEP_1)
	v_and_or_b32 v0, 0x8000, v0, v14
	v_lshl_or_b32 v0, v13, 7, v0
	s_delay_alu instid0(VALU_DEP_1)
	v_cvt_f32_f16_e32 v85, v0
.LBB367_1079:                           ;   in Loop: Header=BB367_991 Depth=1
	s_or_b32 exec_lo, exec_lo, s13
.LBB367_1080:                           ;   in Loop: Header=BB367_991 Depth=1
	s_delay_alu instid0(SALU_CYCLE_1)
	s_or_b32 exec_lo, exec_lo, s12
.LBB367_1081:                           ;   in Loop: Header=BB367_991 Depth=1
	s_delay_alu instid0(SALU_CYCLE_1) | instskip(NEXT) | instid1(SALU_CYCLE_1)
	s_or_b32 exec_lo, exec_lo, s10
	s_mov_b32 s10, exec_lo
	v_cmpx_lt_u32_e32 0xffffff, v11
	s_cbranch_execz .LBB367_1089
; %bb.1082:                             ;   in Loop: Header=BB367_991 Depth=1
	v_lshrrev_b32_e32 v87, 24, v11
	v_bfrev_b32_e32 v86, 1
	s_mov_b32 s12, exec_lo
	s_delay_alu instid0(VALU_DEP_2)
	v_cmpx_ne_u32_e32 0x80, v87
	s_cbranch_execz .LBB367_1088
; %bb.1083:                             ;   in Loop: Header=BB367_991 Depth=1
	v_and_b32_e32 v13, 0x7f, v87
	v_mov_b32_e32 v86, 0x7fc02000
	s_mov_b32 s13, exec_lo
	s_delay_alu instid0(VALU_DEP_2)
	v_cmpx_ne_u32_e32 0x7f, v13
	s_cbranch_execz .LBB367_1087
; %bb.1084:                             ;   in Loop: Header=BB367_991 Depth=1
	v_and_b32_e32 v0, 7, v87
	v_lshrrev_b32_e32 v86, 3, v13
	v_cmp_gt_u32_e64 s0, 8, v13
	s_delay_alu instid0(VALU_DEP_3) | instskip(NEXT) | instid1(VALU_DEP_2)
	v_dual_mov_b32 v14, v1 :: v_dual_mov_b32 v13, v0
	s_and_saveexec_b32 s15, s0
; %bb.1085:                             ;   in Loop: Header=BB367_991 Depth=1
	v_clz_i32_u32_e32 v13, v0
	s_delay_alu instid0(VALU_DEP_1) | instskip(NEXT) | instid1(VALU_DEP_1)
	v_min_u32_e32 v86, 32, v13
	v_subrev_nc_u32_e32 v13, 28, v86
	v_sub_nc_u32_e32 v86, 29, v86
	s_delay_alu instid0(VALU_DEP_2) | instskip(NEXT) | instid1(VALU_DEP_1)
	v_lshlrev_b64 v[13:14], v13, v[0:1]
	v_and_b32_e32 v13, 7, v13
; %bb.1086:                             ;   in Loop: Header=BB367_991 Depth=1
	s_or_b32 exec_lo, exec_lo, s15
	v_lshlrev_b32_e32 v0, 8, v87
	v_lshl_add_u32 v14, v86, 10, 0x2000
	s_delay_alu instid0(VALU_DEP_1) | instskip(NEXT) | instid1(VALU_DEP_1)
	v_and_or_b32 v0, 0x8000, v0, v14
	v_lshl_or_b32 v0, v13, 7, v0
	s_delay_alu instid0(VALU_DEP_1)
	v_cvt_f32_f16_e32 v86, v0
.LBB367_1087:                           ;   in Loop: Header=BB367_991 Depth=1
	s_or_b32 exec_lo, exec_lo, s13
.LBB367_1088:                           ;   in Loop: Header=BB367_991 Depth=1
	s_delay_alu instid0(SALU_CYCLE_1)
	s_or_b32 exec_lo, exec_lo, s12
.LBB367_1089:                           ;   in Loop: Header=BB367_991 Depth=1
	s_delay_alu instid0(SALU_CYCLE_1) | instskip(SKIP_3) | instid1(VALU_DEP_2)
	s_or_b32 exec_lo, exec_lo, s10
	v_dual_mov_b32 v0, v12 :: v_dual_and_b32 v13, 0xff, v12
	v_dual_mov_b32 v96, 0 :: v_dual_mov_b32 v87, 0
	s_mov_b32 s10, exec_lo
	v_cmpx_ne_u16_e32 0, v13
	s_cbranch_execz .LBB367_1097
; %bb.1090:                             ;   in Loop: Header=BB367_991 Depth=1
	v_bfrev_b32_e32 v87, 1
	s_mov_b32 s12, exec_lo
	v_cmpx_ne_u16_e32 0x80, v13
	s_cbranch_execz .LBB367_1096
; %bb.1091:                             ;   in Loop: Header=BB367_991 Depth=1
	v_and_b32_e32 v13, 0x7f, v12
	v_mov_b32_e32 v87, 0x7fc02000
	s_mov_b32 s13, exec_lo
	s_delay_alu instid0(VALU_DEP_2)
	v_cmpx_ne_u32_e32 0x7f, v13
	s_cbranch_execz .LBB367_1095
; %bb.1092:                             ;   in Loop: Header=BB367_991 Depth=1
	v_lshrrev_b32_e32 v87, 3, v13
	v_cmp_gt_u32_e64 s0, 8, v13
	v_dual_mov_b32 v14, v1 :: v_dual_mov_b32 v13, v0
	s_delay_alu instid0(VALU_DEP_2)
	s_and_saveexec_b32 s15, s0
; %bb.1093:                             ;   in Loop: Header=BB367_991 Depth=1
	v_and_b32_e32 v13, 7, v12
	s_delay_alu instid0(VALU_DEP_1) | instskip(NEXT) | instid1(VALU_DEP_1)
	v_clz_i32_u32_e32 v13, v13
	v_min_u32_e32 v87, 32, v13
	s_delay_alu instid0(VALU_DEP_1) | instskip(SKIP_1) | instid1(VALU_DEP_2)
	v_subrev_nc_u32_e32 v13, 28, v87
	v_sub_nc_u32_e32 v87, 29, v87
	v_lshlrev_b64 v[13:14], v13, v[0:1]
; %bb.1094:                             ;   in Loop: Header=BB367_991 Depth=1
	s_or_b32 exec_lo, exec_lo, s15
	v_lshlrev_b32_e32 v14, 8, v12
	s_delay_alu instid0(VALU_DEP_3) | instskip(NEXT) | instid1(VALU_DEP_3)
	v_lshl_add_u32 v87, v87, 10, 0x2000
	v_lshlrev_b32_e32 v13, 7, v13
	s_delay_alu instid0(VALU_DEP_2) | instskip(NEXT) | instid1(VALU_DEP_1)
	v_and_or_b32 v14, 0x8000, v14, v87
	v_and_or_b32 v13, 0x380, v13, v14
	s_delay_alu instid0(VALU_DEP_1)
	v_cvt_f32_f16_e32 v87, v13
.LBB367_1095:                           ;   in Loop: Header=BB367_991 Depth=1
	s_or_b32 exec_lo, exec_lo, s13
.LBB367_1096:                           ;   in Loop: Header=BB367_991 Depth=1
	s_delay_alu instid0(SALU_CYCLE_1)
	s_or_b32 exec_lo, exec_lo, s12
.LBB367_1097:                           ;   in Loop: Header=BB367_991 Depth=1
	s_delay_alu instid0(SALU_CYCLE_1) | instskip(SKIP_2) | instid1(VALU_DEP_1)
	s_or_b32 exec_lo, exec_lo, s10
	v_lshrrev_b16 v0, 8, v0
	s_mov_b32 s10, exec_lo
	v_cmpx_ne_u16_e32 0, v0
	s_cbranch_execz .LBB367_1105
; %bb.1098:                             ;   in Loop: Header=BB367_991 Depth=1
	v_bfrev_b32_e32 v96, 1
	s_mov_b32 s12, exec_lo
	v_cmpx_ne_u16_e32 0x80, v0
	s_cbranch_execz .LBB367_1104
; %bb.1099:                             ;   in Loop: Header=BB367_991 Depth=1
	v_and_b32_e32 v97, 0xffff, v0
	v_mov_b32_e32 v96, 0x7fc02000
	s_mov_b32 s13, exec_lo
	s_delay_alu instid0(VALU_DEP_2) | instskip(NEXT) | instid1(VALU_DEP_1)
	v_and_b32_e32 v13, 0x7f, v97
	v_cmpx_ne_u32_e32 0x7f, v13
	s_cbranch_execz .LBB367_1103
; %bb.1100:                             ;   in Loop: Header=BB367_991 Depth=1
	v_and_b32_e32 v0, 7, v97
	v_lshrrev_b32_e32 v96, 3, v13
	v_cmp_gt_u32_e64 s0, 8, v13
	s_delay_alu instid0(VALU_DEP_3) | instskip(NEXT) | instid1(VALU_DEP_2)
	v_dual_mov_b32 v14, v1 :: v_dual_mov_b32 v13, v0
	s_and_saveexec_b32 s15, s0
; %bb.1101:                             ;   in Loop: Header=BB367_991 Depth=1
	v_clz_i32_u32_e32 v13, v0
	s_delay_alu instid0(VALU_DEP_1) | instskip(NEXT) | instid1(VALU_DEP_1)
	v_min_u32_e32 v96, 32, v13
	v_subrev_nc_u32_e32 v13, 28, v96
	v_sub_nc_u32_e32 v96, 29, v96
	s_delay_alu instid0(VALU_DEP_2) | instskip(NEXT) | instid1(VALU_DEP_1)
	v_lshlrev_b64 v[13:14], v13, v[0:1]
	v_and_b32_e32 v13, 7, v13
; %bb.1102:                             ;   in Loop: Header=BB367_991 Depth=1
	s_or_b32 exec_lo, exec_lo, s15
	v_lshlrev_b32_e32 v0, 8, v97
	v_lshl_add_u32 v14, v96, 10, 0x2000
	s_delay_alu instid0(VALU_DEP_1) | instskip(NEXT) | instid1(VALU_DEP_1)
	v_and_or_b32 v0, 0x8000, v0, v14
	v_lshl_or_b32 v0, v13, 7, v0
	s_delay_alu instid0(VALU_DEP_1)
	v_cvt_f32_f16_e32 v96, v0
.LBB367_1103:                           ;   in Loop: Header=BB367_991 Depth=1
	s_or_b32 exec_lo, exec_lo, s13
.LBB367_1104:                           ;   in Loop: Header=BB367_991 Depth=1
	s_delay_alu instid0(SALU_CYCLE_1)
	s_or_b32 exec_lo, exec_lo, s12
.LBB367_1105:                           ;   in Loop: Header=BB367_991 Depth=1
	s_delay_alu instid0(SALU_CYCLE_1) | instskip(SKIP_3) | instid1(VALU_DEP_2)
	s_or_b32 exec_lo, exec_lo, s10
	v_lshrrev_b32_e32 v98, 16, v12
	v_mov_b32_e32 v13, 0
	s_mov_b32 s10, exec_lo
	v_dual_mov_b32 v97, 0 :: v_dual_and_b32 v0, 0xff, v98
	s_delay_alu instid0(VALU_DEP_1)
	v_cmpx_ne_u16_e32 0, v0
	s_cbranch_execz .LBB367_1113
; %bb.1106:                             ;   in Loop: Header=BB367_991 Depth=1
	v_bfrev_b32_e32 v13, 1
	s_mov_b32 s12, exec_lo
	v_cmpx_ne_u16_e32 0x80, v0
	s_cbranch_execz .LBB367_1112
; %bb.1107:                             ;   in Loop: Header=BB367_991 Depth=1
	v_bfe_u32 v14, v12, 16, 7
	v_mov_b32_e32 v13, 0x7fc02000
	s_mov_b32 s13, exec_lo
	s_delay_alu instid0(VALU_DEP_2)
	v_cmpx_ne_u32_e32 0x7f, v14
	s_cbranch_execz .LBB367_1111
; %bb.1108:                             ;   in Loop: Header=BB367_991 Depth=1
	v_and_b32_e32 v0, 7, v98
	v_lshrrev_b32_e32 v99, 3, v14
	v_cmp_gt_u32_e64 s0, 8, v14
	s_delay_alu instid0(VALU_DEP_3) | instskip(NEXT) | instid1(VALU_DEP_2)
	v_dual_mov_b32 v14, v1 :: v_dual_mov_b32 v13, v0
	s_and_saveexec_b32 s15, s0
; %bb.1109:                             ;   in Loop: Header=BB367_991 Depth=1
	v_clz_i32_u32_e32 v13, v0
	s_delay_alu instid0(VALU_DEP_1) | instskip(NEXT) | instid1(VALU_DEP_1)
	v_min_u32_e32 v99, 32, v13
	v_subrev_nc_u32_e32 v13, 28, v99
	v_sub_nc_u32_e32 v99, 29, v99
	s_delay_alu instid0(VALU_DEP_2) | instskip(NEXT) | instid1(VALU_DEP_1)
	v_lshlrev_b64 v[13:14], v13, v[0:1]
	v_and_b32_e32 v13, 7, v13
; %bb.1110:                             ;   in Loop: Header=BB367_991 Depth=1
	s_or_b32 exec_lo, exec_lo, s15
	v_lshlrev_b32_e32 v0, 8, v98
	v_lshl_add_u32 v14, v99, 10, 0x2000
	s_delay_alu instid0(VALU_DEP_1) | instskip(NEXT) | instid1(VALU_DEP_1)
	v_and_or_b32 v0, 0x8000, v0, v14
	v_lshl_or_b32 v0, v13, 7, v0
	s_delay_alu instid0(VALU_DEP_1)
	v_cvt_f32_f16_e32 v13, v0
.LBB367_1111:                           ;   in Loop: Header=BB367_991 Depth=1
	s_or_b32 exec_lo, exec_lo, s13
.LBB367_1112:                           ;   in Loop: Header=BB367_991 Depth=1
	s_delay_alu instid0(SALU_CYCLE_1)
	s_or_b32 exec_lo, exec_lo, s12
.LBB367_1113:                           ;   in Loop: Header=BB367_991 Depth=1
	s_delay_alu instid0(SALU_CYCLE_1) | instskip(NEXT) | instid1(SALU_CYCLE_1)
	s_or_b32 exec_lo, exec_lo, s10
	s_mov_b32 s10, exec_lo
	v_cmpx_lt_u64_e64 s[8:9], v[11:12]
	s_cbranch_execz .LBB367_1121
; %bb.1114:                             ;   in Loop: Header=BB367_991 Depth=1
	v_lshrrev_b32_e32 v14, 24, v12
	v_bfrev_b32_e32 v97, 1
	s_mov_b32 s12, exec_lo
	s_delay_alu instid0(VALU_DEP_2)
	v_cmpx_ne_u32_e32 0x80, v14
	s_cbranch_execz .LBB367_1120
; %bb.1115:                             ;   in Loop: Header=BB367_991 Depth=1
	v_and_b32_e32 v11, 0x7f, v14
	v_mov_b32_e32 v97, 0x7fc02000
	s_mov_b32 s13, exec_lo
	s_delay_alu instid0(VALU_DEP_2)
	v_cmpx_ne_u32_e32 0x7f, v11
	s_cbranch_execz .LBB367_1119
; %bb.1116:                             ;   in Loop: Header=BB367_991 Depth=1
	v_and_b32_e32 v0, 7, v14
	v_lshrrev_b32_e32 v97, 3, v11
	v_cmp_gt_u32_e64 s0, 8, v11
	s_delay_alu instid0(VALU_DEP_3) | instskip(NEXT) | instid1(VALU_DEP_2)
	v_dual_mov_b32 v12, v1 :: v_dual_mov_b32 v11, v0
	s_and_saveexec_b32 s15, s0
; %bb.1117:                             ;   in Loop: Header=BB367_991 Depth=1
	v_clz_i32_u32_e32 v11, v0
	s_delay_alu instid0(VALU_DEP_1) | instskip(NEXT) | instid1(VALU_DEP_1)
	v_min_u32_e32 v97, 32, v11
	v_subrev_nc_u32_e32 v11, 28, v97
	v_sub_nc_u32_e32 v97, 29, v97
	s_delay_alu instid0(VALU_DEP_2) | instskip(NEXT) | instid1(VALU_DEP_1)
	v_lshlrev_b64 v[11:12], v11, v[0:1]
	v_and_b32_e32 v11, 7, v11
; %bb.1118:                             ;   in Loop: Header=BB367_991 Depth=1
	s_or_b32 exec_lo, exec_lo, s15
	v_lshlrev_b32_e32 v0, 8, v14
	v_lshl_add_u32 v12, v97, 10, 0x2000
	s_delay_alu instid0(VALU_DEP_1) | instskip(NEXT) | instid1(VALU_DEP_1)
	v_and_or_b32 v0, 0x8000, v0, v12
	v_lshl_or_b32 v0, v11, 7, v0
	s_delay_alu instid0(VALU_DEP_1)
	v_cvt_f32_f16_e32 v97, v0
.LBB367_1119:                           ;   in Loop: Header=BB367_991 Depth=1
	s_or_b32 exec_lo, exec_lo, s13
.LBB367_1120:                           ;   in Loop: Header=BB367_991 Depth=1
	s_delay_alu instid0(SALU_CYCLE_1)
	s_or_b32 exec_lo, exec_lo, s12
.LBB367_1121:                           ;   in Loop: Header=BB367_991 Depth=1
	s_delay_alu instid0(SALU_CYCLE_1)
	s_or_b32 exec_lo, exec_lo, s10
	s_waitcnt vmcnt(0) lgkmcnt(0)
	v_fma_mixlo_f16 v12, v82, v84, 0
	v_fma_mixlo_f16 v0, v82, v86, 0
	;; [unrolled: 1-line block ×5, first 2 shown]
	v_lshlrev_b32_e32 v14, 16, v12
	v_fma_mixlo_f16 v85, v82, v87, 0
	v_fma_mixlo_f16 v86, v82, v97, 0
	;; [unrolled: 1-line block ×3, first 2 shown]
	v_lshlrev_b32_e32 v0, 16, v0
	v_and_b32_e32 v11, 0xffff, v11
	v_and_b32_e32 v82, 0xffff, v83
	v_lshlrev_b32_e32 v83, 16, v84
	v_and_b32_e32 v84, 0xffff, v85
	v_lshlrev_b32_e32 v85, 16, v86
	v_and_b32_e32 v86, 0xffff, v12
	v_or_b32_e32 v13, v0, v11
	v_or_b32_e32 v14, v14, v82
	;; [unrolled: 1-line block ×3, first 2 shown]
	s_delay_alu instid0(VALU_DEP_4)
	v_or_b32_e32 v11, v85, v86
	s_and_saveexec_b32 s10, vcc_lo
	s_cbranch_execz .LBB367_1123
; %bb.1122:                             ;   in Loop: Header=BB367_991 Depth=1
	v_cmp_lt_i32_e64 s0, v15, v36
	v_lshrrev_b32_e32 v82, 16, v14
	v_lshrrev_b32_e32 v83, 16, v13
	;; [unrolled: 1-line block ×4, first 2 shown]
	v_cndmask_b32_e64 v14, 0, v14, s0
	v_cmp_lt_i32_e64 s0, v81, v48
	s_delay_alu instid0(VALU_DEP_1) | instskip(SKIP_1) | instid1(VALU_DEP_2)
	v_cndmask_b32_e64 v82, 0, v82, s0
	v_cmp_lt_i32_e64 s0, v80, v48
	v_perm_b32 v14, v82, v14, 0x5040100
	s_delay_alu instid0(VALU_DEP_2) | instskip(SKIP_1) | instid1(VALU_DEP_1)
	v_cndmask_b32_e64 v83, 0, v83, s0
	v_cmp_lt_i32_e64 s0, v65, v36
	v_cndmask_b32_e64 v13, 0, v13, s0
	v_cmp_lt_i32_e64 s0, v64, v48
	s_delay_alu instid0(VALU_DEP_2) | instskip(NEXT) | instid1(VALU_DEP_2)
	v_perm_b32 v13, v83, v13, 0x5040100
	v_cndmask_b32_e64 v84, 0, v84, s0
	v_cmp_lt_i32_e64 s0, v55, v36
	s_delay_alu instid0(VALU_DEP_1) | instskip(SKIP_1) | instid1(VALU_DEP_2)
	v_cndmask_b32_e64 v0, 0, v0, s0
	v_cmp_lt_i32_e64 s0, v38, v48
	v_perm_b32 v0, v84, v0, 0x5040100
	s_delay_alu instid0(VALU_DEP_2) | instskip(SKIP_1) | instid1(VALU_DEP_1)
	v_cndmask_b32_e64 v11, 0, v11, s0
	v_cmp_lt_i32_e64 s0, v17, v36
	v_cndmask_b32_e64 v12, 0, v12, s0
	s_delay_alu instid0(VALU_DEP_1)
	v_perm_b32 v11, v11, v12, 0x5040100
.LBB367_1123:                           ;   in Loop: Header=BB367_991 Depth=1
	s_or_b32 exec_lo, exec_lo, s10
	;;#ASMSTART
	v_pk_mul_f16 v12, v71, v14;

	;;#ASMEND
	;;#ASMSTART
	v_pk_mul_f16 v13, v69, v13;

	;;#ASMEND
	;; [unrolled: 4-line block ×4, first 2 shown]
	;;#ASMSTART
	v_pk_add_f16 v12, v12, v13;

	;;#ASMEND
	;;#ASMSTART
	v_pk_add_f16 v0, v12, v0;

	;;#ASMEND
	;;#ASMSTART
	v_pk_add_f16 v0, v0, v11;

	;;#ASMEND
	v_dual_mov_b32 v86, 0 :: v_dual_and_b32 v11, 0xffff, v0
	v_lshrrev_b32_e32 v0, 16, v0
	;;#ASMSTART
	v_cvt_f32_f16 v82, v11;
	;;#ASMEND
	;;#ASMSTART
	v_cvt_f32_f16 v83, v0;
	;;#ASMEND
	flat_load_b64 v[11:12], v[9:10] offset:512
	flat_load_b32 v84, v[26:27]
	s_mov_b32 s10, exec_lo
	s_waitcnt vmcnt(1) lgkmcnt(1)
	v_dual_mov_b32 v85, 0 :: v_dual_and_b32 v0, 0xff, v11
	s_delay_alu instid0(VALU_DEP_1)
	v_cmpx_ne_u16_e32 0, v0
	s_cbranch_execz .LBB367_1131
; %bb.1124:                             ;   in Loop: Header=BB367_991 Depth=1
	v_bfrev_b32_e32 v85, 1
	s_mov_b32 s12, exec_lo
	v_cmpx_ne_u16_e32 0x80, v0
	s_cbranch_execz .LBB367_1130
; %bb.1125:                             ;   in Loop: Header=BB367_991 Depth=1
	v_and_b32_e32 v13, 0x7f, v11
	v_mov_b32_e32 v85, 0x7fc02000
	s_mov_b32 s13, exec_lo
	s_delay_alu instid0(VALU_DEP_2)
	v_cmpx_ne_u32_e32 0x7f, v13
	s_cbranch_execz .LBB367_1129
; %bb.1126:                             ;   in Loop: Header=BB367_991 Depth=1
	v_lshrrev_b32_e32 v0, 3, v13
	v_cmp_gt_u32_e64 s0, 8, v13
	v_dual_mov_b32 v14, v12 :: v_dual_mov_b32 v13, v11
	s_delay_alu instid0(VALU_DEP_2)
	s_and_saveexec_b32 s15, s0
; %bb.1127:                             ;   in Loop: Header=BB367_991 Depth=1
	v_and_b32_e32 v0, 7, v11
	s_delay_alu instid0(VALU_DEP_1) | instskip(NEXT) | instid1(VALU_DEP_1)
	v_clz_i32_u32_e32 v0, v0
	v_min_u32_e32 v0, 32, v0
	s_delay_alu instid0(VALU_DEP_1) | instskip(SKIP_1) | instid1(VALU_DEP_2)
	v_subrev_nc_u32_e32 v13, 28, v0
	v_sub_nc_u32_e32 v0, 29, v0
	v_lshlrev_b64 v[13:14], v13, v[11:12]
; %bb.1128:                             ;   in Loop: Header=BB367_991 Depth=1
	s_or_b32 exec_lo, exec_lo, s15
	v_lshlrev_b32_e32 v14, 8, v11
	s_delay_alu instid0(VALU_DEP_3) | instskip(NEXT) | instid1(VALU_DEP_3)
	v_lshl_add_u32 v0, v0, 10, 0x2000
	v_lshlrev_b32_e32 v13, 7, v13
	s_delay_alu instid0(VALU_DEP_2) | instskip(NEXT) | instid1(VALU_DEP_1)
	v_and_or_b32 v0, 0x8000, v14, v0
	v_and_or_b32 v0, 0x380, v13, v0
	s_delay_alu instid0(VALU_DEP_1)
	v_cvt_f32_f16_e32 v85, v0
.LBB367_1129:                           ;   in Loop: Header=BB367_991 Depth=1
	s_or_b32 exec_lo, exec_lo, s13
.LBB367_1130:                           ;   in Loop: Header=BB367_991 Depth=1
	s_delay_alu instid0(SALU_CYCLE_1)
	s_or_b32 exec_lo, exec_lo, s12
.LBB367_1131:                           ;   in Loop: Header=BB367_991 Depth=1
	s_delay_alu instid0(SALU_CYCLE_1) | instskip(SKIP_2) | instid1(VALU_DEP_1)
	s_or_b32 exec_lo, exec_lo, s10
	v_lshrrev_b16 v0, 8, v11
	s_mov_b32 s10, exec_lo
	v_cmpx_ne_u16_e32 0, v0
	s_cbranch_execz .LBB367_1139
; %bb.1132:                             ;   in Loop: Header=BB367_991 Depth=1
	v_bfrev_b32_e32 v86, 1
	s_mov_b32 s12, exec_lo
	v_cmpx_ne_u16_e32 0x80, v0
	s_cbranch_execz .LBB367_1138
; %bb.1133:                             ;   in Loop: Header=BB367_991 Depth=1
	v_and_b32_e32 v87, 0xffff, v0
	v_mov_b32_e32 v86, 0x7fc02000
	s_mov_b32 s13, exec_lo
	s_delay_alu instid0(VALU_DEP_2) | instskip(NEXT) | instid1(VALU_DEP_1)
	v_and_b32_e32 v13, 0x7f, v87
	v_cmpx_ne_u32_e32 0x7f, v13
	s_cbranch_execz .LBB367_1137
; %bb.1134:                             ;   in Loop: Header=BB367_991 Depth=1
	v_and_b32_e32 v0, 7, v87
	v_lshrrev_b32_e32 v86, 3, v13
	v_cmp_gt_u32_e64 s0, 8, v13
	s_delay_alu instid0(VALU_DEP_3) | instskip(NEXT) | instid1(VALU_DEP_2)
	v_dual_mov_b32 v14, v1 :: v_dual_mov_b32 v13, v0
	s_and_saveexec_b32 s15, s0
; %bb.1135:                             ;   in Loop: Header=BB367_991 Depth=1
	v_clz_i32_u32_e32 v13, v0
	s_delay_alu instid0(VALU_DEP_1) | instskip(NEXT) | instid1(VALU_DEP_1)
	v_min_u32_e32 v86, 32, v13
	v_subrev_nc_u32_e32 v13, 28, v86
	v_sub_nc_u32_e32 v86, 29, v86
	s_delay_alu instid0(VALU_DEP_2) | instskip(NEXT) | instid1(VALU_DEP_1)
	v_lshlrev_b64 v[13:14], v13, v[0:1]
	v_and_b32_e32 v13, 7, v13
; %bb.1136:                             ;   in Loop: Header=BB367_991 Depth=1
	s_or_b32 exec_lo, exec_lo, s15
	v_lshlrev_b32_e32 v0, 8, v87
	v_lshl_add_u32 v14, v86, 10, 0x2000
	s_delay_alu instid0(VALU_DEP_1) | instskip(NEXT) | instid1(VALU_DEP_1)
	v_and_or_b32 v0, 0x8000, v0, v14
	v_lshl_or_b32 v0, v13, 7, v0
	s_delay_alu instid0(VALU_DEP_1)
	v_cvt_f32_f16_e32 v86, v0
.LBB367_1137:                           ;   in Loop: Header=BB367_991 Depth=1
	s_or_b32 exec_lo, exec_lo, s13
.LBB367_1138:                           ;   in Loop: Header=BB367_991 Depth=1
	s_delay_alu instid0(SALU_CYCLE_1)
	s_or_b32 exec_lo, exec_lo, s12
.LBB367_1139:                           ;   in Loop: Header=BB367_991 Depth=1
	s_delay_alu instid0(SALU_CYCLE_1) | instskip(SKIP_3) | instid1(VALU_DEP_2)
	s_or_b32 exec_lo, exec_lo, s10
	v_lshrrev_b32_e32 v97, 16, v11
	v_mov_b32_e32 v96, 0
	s_mov_b32 s10, exec_lo
	v_dual_mov_b32 v87, 0 :: v_dual_and_b32 v0, 0xff, v97
	s_delay_alu instid0(VALU_DEP_1)
	v_cmpx_ne_u16_e32 0, v0
	s_cbranch_execz .LBB367_1147
; %bb.1140:                             ;   in Loop: Header=BB367_991 Depth=1
	v_bfrev_b32_e32 v87, 1
	s_mov_b32 s12, exec_lo
	v_cmpx_ne_u16_e32 0x80, v0
	s_cbranch_execz .LBB367_1146
; %bb.1141:                             ;   in Loop: Header=BB367_991 Depth=1
	v_bfe_u32 v13, v11, 16, 7
	v_mov_b32_e32 v87, 0x7fc02000
	s_mov_b32 s13, exec_lo
	s_delay_alu instid0(VALU_DEP_2)
	v_cmpx_ne_u32_e32 0x7f, v13
	s_cbranch_execz .LBB367_1145
; %bb.1142:                             ;   in Loop: Header=BB367_991 Depth=1
	v_and_b32_e32 v0, 7, v97
	v_lshrrev_b32_e32 v87, 3, v13
	v_cmp_gt_u32_e64 s0, 8, v13
	s_delay_alu instid0(VALU_DEP_3) | instskip(NEXT) | instid1(VALU_DEP_2)
	v_dual_mov_b32 v14, v1 :: v_dual_mov_b32 v13, v0
	s_and_saveexec_b32 s15, s0
; %bb.1143:                             ;   in Loop: Header=BB367_991 Depth=1
	v_clz_i32_u32_e32 v13, v0
	s_delay_alu instid0(VALU_DEP_1) | instskip(NEXT) | instid1(VALU_DEP_1)
	v_min_u32_e32 v87, 32, v13
	v_subrev_nc_u32_e32 v13, 28, v87
	v_sub_nc_u32_e32 v87, 29, v87
	s_delay_alu instid0(VALU_DEP_2) | instskip(NEXT) | instid1(VALU_DEP_1)
	v_lshlrev_b64 v[13:14], v13, v[0:1]
	v_and_b32_e32 v13, 7, v13
; %bb.1144:                             ;   in Loop: Header=BB367_991 Depth=1
	s_or_b32 exec_lo, exec_lo, s15
	v_lshlrev_b32_e32 v0, 8, v97
	v_lshl_add_u32 v14, v87, 10, 0x2000
	s_delay_alu instid0(VALU_DEP_1) | instskip(NEXT) | instid1(VALU_DEP_1)
	v_and_or_b32 v0, 0x8000, v0, v14
	v_lshl_or_b32 v0, v13, 7, v0
	s_delay_alu instid0(VALU_DEP_1)
	v_cvt_f32_f16_e32 v87, v0
.LBB367_1145:                           ;   in Loop: Header=BB367_991 Depth=1
	s_or_b32 exec_lo, exec_lo, s13
.LBB367_1146:                           ;   in Loop: Header=BB367_991 Depth=1
	s_delay_alu instid0(SALU_CYCLE_1)
	s_or_b32 exec_lo, exec_lo, s12
.LBB367_1147:                           ;   in Loop: Header=BB367_991 Depth=1
	s_delay_alu instid0(SALU_CYCLE_1) | instskip(NEXT) | instid1(SALU_CYCLE_1)
	s_or_b32 exec_lo, exec_lo, s10
	s_mov_b32 s10, exec_lo
	v_cmpx_lt_u32_e32 0xffffff, v11
	s_cbranch_execz .LBB367_1155
; %bb.1148:                             ;   in Loop: Header=BB367_991 Depth=1
	v_lshrrev_b32_e32 v97, 24, v11
	v_bfrev_b32_e32 v96, 1
	s_mov_b32 s12, exec_lo
	s_delay_alu instid0(VALU_DEP_2)
	v_cmpx_ne_u32_e32 0x80, v97
	s_cbranch_execz .LBB367_1154
; %bb.1149:                             ;   in Loop: Header=BB367_991 Depth=1
	v_and_b32_e32 v13, 0x7f, v97
	v_mov_b32_e32 v96, 0x7fc02000
	s_mov_b32 s13, exec_lo
	s_delay_alu instid0(VALU_DEP_2)
	v_cmpx_ne_u32_e32 0x7f, v13
	s_cbranch_execz .LBB367_1153
; %bb.1150:                             ;   in Loop: Header=BB367_991 Depth=1
	v_and_b32_e32 v0, 7, v97
	v_lshrrev_b32_e32 v96, 3, v13
	v_cmp_gt_u32_e64 s0, 8, v13
	s_delay_alu instid0(VALU_DEP_3) | instskip(NEXT) | instid1(VALU_DEP_2)
	v_dual_mov_b32 v14, v1 :: v_dual_mov_b32 v13, v0
	s_and_saveexec_b32 s15, s0
; %bb.1151:                             ;   in Loop: Header=BB367_991 Depth=1
	v_clz_i32_u32_e32 v13, v0
	s_delay_alu instid0(VALU_DEP_1) | instskip(NEXT) | instid1(VALU_DEP_1)
	v_min_u32_e32 v96, 32, v13
	v_subrev_nc_u32_e32 v13, 28, v96
	v_sub_nc_u32_e32 v96, 29, v96
	s_delay_alu instid0(VALU_DEP_2) | instskip(NEXT) | instid1(VALU_DEP_1)
	v_lshlrev_b64 v[13:14], v13, v[0:1]
	v_and_b32_e32 v13, 7, v13
; %bb.1152:                             ;   in Loop: Header=BB367_991 Depth=1
	s_or_b32 exec_lo, exec_lo, s15
	v_lshlrev_b32_e32 v0, 8, v97
	v_lshl_add_u32 v14, v96, 10, 0x2000
	s_delay_alu instid0(VALU_DEP_1) | instskip(NEXT) | instid1(VALU_DEP_1)
	v_and_or_b32 v0, 0x8000, v0, v14
	v_lshl_or_b32 v0, v13, 7, v0
	s_delay_alu instid0(VALU_DEP_1)
	v_cvt_f32_f16_e32 v96, v0
.LBB367_1153:                           ;   in Loop: Header=BB367_991 Depth=1
	s_or_b32 exec_lo, exec_lo, s13
.LBB367_1154:                           ;   in Loop: Header=BB367_991 Depth=1
	s_delay_alu instid0(SALU_CYCLE_1)
	s_or_b32 exec_lo, exec_lo, s12
.LBB367_1155:                           ;   in Loop: Header=BB367_991 Depth=1
	s_delay_alu instid0(SALU_CYCLE_1) | instskip(SKIP_3) | instid1(VALU_DEP_2)
	s_or_b32 exec_lo, exec_lo, s10
	v_dual_mov_b32 v0, v12 :: v_dual_and_b32 v13, 0xff, v12
	v_dual_mov_b32 v98, 0 :: v_dual_mov_b32 v97, 0
	s_mov_b32 s10, exec_lo
	v_cmpx_ne_u16_e32 0, v13
	s_cbranch_execz .LBB367_1163
; %bb.1156:                             ;   in Loop: Header=BB367_991 Depth=1
	v_bfrev_b32_e32 v97, 1
	s_mov_b32 s12, exec_lo
	v_cmpx_ne_u16_e32 0x80, v13
	s_cbranch_execz .LBB367_1162
; %bb.1157:                             ;   in Loop: Header=BB367_991 Depth=1
	v_and_b32_e32 v13, 0x7f, v12
	v_mov_b32_e32 v97, 0x7fc02000
	s_mov_b32 s13, exec_lo
	s_delay_alu instid0(VALU_DEP_2)
	v_cmpx_ne_u32_e32 0x7f, v13
	s_cbranch_execz .LBB367_1161
; %bb.1158:                             ;   in Loop: Header=BB367_991 Depth=1
	v_lshrrev_b32_e32 v97, 3, v13
	v_cmp_gt_u32_e64 s0, 8, v13
	v_dual_mov_b32 v14, v1 :: v_dual_mov_b32 v13, v0
	s_delay_alu instid0(VALU_DEP_2)
	s_and_saveexec_b32 s15, s0
; %bb.1159:                             ;   in Loop: Header=BB367_991 Depth=1
	v_and_b32_e32 v13, 7, v12
	s_delay_alu instid0(VALU_DEP_1) | instskip(NEXT) | instid1(VALU_DEP_1)
	v_clz_i32_u32_e32 v13, v13
	v_min_u32_e32 v97, 32, v13
	s_delay_alu instid0(VALU_DEP_1) | instskip(SKIP_1) | instid1(VALU_DEP_2)
	v_subrev_nc_u32_e32 v13, 28, v97
	v_sub_nc_u32_e32 v97, 29, v97
	v_lshlrev_b64 v[13:14], v13, v[0:1]
; %bb.1160:                             ;   in Loop: Header=BB367_991 Depth=1
	s_or_b32 exec_lo, exec_lo, s15
	v_lshlrev_b32_e32 v14, 8, v12
	s_delay_alu instid0(VALU_DEP_3) | instskip(NEXT) | instid1(VALU_DEP_3)
	v_lshl_add_u32 v97, v97, 10, 0x2000
	v_lshlrev_b32_e32 v13, 7, v13
	s_delay_alu instid0(VALU_DEP_2) | instskip(NEXT) | instid1(VALU_DEP_1)
	v_and_or_b32 v14, 0x8000, v14, v97
	v_and_or_b32 v13, 0x380, v13, v14
	s_delay_alu instid0(VALU_DEP_1)
	v_cvt_f32_f16_e32 v97, v13
.LBB367_1161:                           ;   in Loop: Header=BB367_991 Depth=1
	s_or_b32 exec_lo, exec_lo, s13
.LBB367_1162:                           ;   in Loop: Header=BB367_991 Depth=1
	s_delay_alu instid0(SALU_CYCLE_1)
	s_or_b32 exec_lo, exec_lo, s12
.LBB367_1163:                           ;   in Loop: Header=BB367_991 Depth=1
	s_delay_alu instid0(SALU_CYCLE_1) | instskip(SKIP_2) | instid1(VALU_DEP_1)
	s_or_b32 exec_lo, exec_lo, s10
	v_lshrrev_b16 v0, 8, v0
	s_mov_b32 s10, exec_lo
	v_cmpx_ne_u16_e32 0, v0
	s_cbranch_execz .LBB367_1171
; %bb.1164:                             ;   in Loop: Header=BB367_991 Depth=1
	v_bfrev_b32_e32 v98, 1
	s_mov_b32 s12, exec_lo
	v_cmpx_ne_u16_e32 0x80, v0
	s_cbranch_execz .LBB367_1170
; %bb.1165:                             ;   in Loop: Header=BB367_991 Depth=1
	v_and_b32_e32 v99, 0xffff, v0
	v_mov_b32_e32 v98, 0x7fc02000
	s_mov_b32 s13, exec_lo
	s_delay_alu instid0(VALU_DEP_2) | instskip(NEXT) | instid1(VALU_DEP_1)
	v_and_b32_e32 v13, 0x7f, v99
	v_cmpx_ne_u32_e32 0x7f, v13
	s_cbranch_execz .LBB367_1169
; %bb.1166:                             ;   in Loop: Header=BB367_991 Depth=1
	v_and_b32_e32 v0, 7, v99
	v_lshrrev_b32_e32 v98, 3, v13
	v_cmp_gt_u32_e64 s0, 8, v13
	s_delay_alu instid0(VALU_DEP_3) | instskip(NEXT) | instid1(VALU_DEP_2)
	v_dual_mov_b32 v14, v1 :: v_dual_mov_b32 v13, v0
	s_and_saveexec_b32 s15, s0
; %bb.1167:                             ;   in Loop: Header=BB367_991 Depth=1
	v_clz_i32_u32_e32 v13, v0
	s_delay_alu instid0(VALU_DEP_1) | instskip(NEXT) | instid1(VALU_DEP_1)
	v_min_u32_e32 v98, 32, v13
	v_subrev_nc_u32_e32 v13, 28, v98
	v_sub_nc_u32_e32 v98, 29, v98
	s_delay_alu instid0(VALU_DEP_2) | instskip(NEXT) | instid1(VALU_DEP_1)
	v_lshlrev_b64 v[13:14], v13, v[0:1]
	v_and_b32_e32 v13, 7, v13
; %bb.1168:                             ;   in Loop: Header=BB367_991 Depth=1
	s_or_b32 exec_lo, exec_lo, s15
	v_lshlrev_b32_e32 v0, 8, v99
	v_lshl_add_u32 v14, v98, 10, 0x2000
	s_delay_alu instid0(VALU_DEP_1) | instskip(NEXT) | instid1(VALU_DEP_1)
	v_and_or_b32 v0, 0x8000, v0, v14
	v_lshl_or_b32 v0, v13, 7, v0
	s_delay_alu instid0(VALU_DEP_1)
	v_cvt_f32_f16_e32 v98, v0
.LBB367_1169:                           ;   in Loop: Header=BB367_991 Depth=1
	s_or_b32 exec_lo, exec_lo, s13
.LBB367_1170:                           ;   in Loop: Header=BB367_991 Depth=1
	s_delay_alu instid0(SALU_CYCLE_1)
	s_or_b32 exec_lo, exec_lo, s12
.LBB367_1171:                           ;   in Loop: Header=BB367_991 Depth=1
	s_delay_alu instid0(SALU_CYCLE_1) | instskip(SKIP_3) | instid1(VALU_DEP_2)
	s_or_b32 exec_lo, exec_lo, s10
	v_lshrrev_b32_e32 v100, 16, v12
	v_mov_b32_e32 v13, 0
	s_mov_b32 s10, exec_lo
	v_dual_mov_b32 v99, 0 :: v_dual_and_b32 v0, 0xff, v100
	s_delay_alu instid0(VALU_DEP_1)
	v_cmpx_ne_u16_e32 0, v0
	s_cbranch_execz .LBB367_1179
; %bb.1172:                             ;   in Loop: Header=BB367_991 Depth=1
	v_bfrev_b32_e32 v13, 1
	s_mov_b32 s12, exec_lo
	v_cmpx_ne_u16_e32 0x80, v0
	s_cbranch_execz .LBB367_1178
; %bb.1173:                             ;   in Loop: Header=BB367_991 Depth=1
	v_bfe_u32 v14, v12, 16, 7
	v_mov_b32_e32 v13, 0x7fc02000
	s_mov_b32 s13, exec_lo
	s_delay_alu instid0(VALU_DEP_2)
	v_cmpx_ne_u32_e32 0x7f, v14
	s_cbranch_execz .LBB367_1177
; %bb.1174:                             ;   in Loop: Header=BB367_991 Depth=1
	v_and_b32_e32 v0, 7, v100
	v_lshrrev_b32_e32 v101, 3, v14
	v_cmp_gt_u32_e64 s0, 8, v14
	s_delay_alu instid0(VALU_DEP_3) | instskip(NEXT) | instid1(VALU_DEP_2)
	v_dual_mov_b32 v14, v1 :: v_dual_mov_b32 v13, v0
	s_and_saveexec_b32 s15, s0
; %bb.1175:                             ;   in Loop: Header=BB367_991 Depth=1
	v_clz_i32_u32_e32 v13, v0
	s_delay_alu instid0(VALU_DEP_1) | instskip(NEXT) | instid1(VALU_DEP_1)
	v_min_u32_e32 v101, 32, v13
	v_subrev_nc_u32_e32 v13, 28, v101
	v_sub_nc_u32_e32 v101, 29, v101
	s_delay_alu instid0(VALU_DEP_2) | instskip(NEXT) | instid1(VALU_DEP_1)
	v_lshlrev_b64 v[13:14], v13, v[0:1]
	v_and_b32_e32 v13, 7, v13
; %bb.1176:                             ;   in Loop: Header=BB367_991 Depth=1
	s_or_b32 exec_lo, exec_lo, s15
	v_lshlrev_b32_e32 v0, 8, v100
	v_lshl_add_u32 v14, v101, 10, 0x2000
	s_delay_alu instid0(VALU_DEP_1) | instskip(NEXT) | instid1(VALU_DEP_1)
	v_and_or_b32 v0, 0x8000, v0, v14
	v_lshl_or_b32 v0, v13, 7, v0
	s_delay_alu instid0(VALU_DEP_1)
	v_cvt_f32_f16_e32 v13, v0
.LBB367_1177:                           ;   in Loop: Header=BB367_991 Depth=1
	s_or_b32 exec_lo, exec_lo, s13
.LBB367_1178:                           ;   in Loop: Header=BB367_991 Depth=1
	s_delay_alu instid0(SALU_CYCLE_1)
	s_or_b32 exec_lo, exec_lo, s12
.LBB367_1179:                           ;   in Loop: Header=BB367_991 Depth=1
	s_delay_alu instid0(SALU_CYCLE_1) | instskip(NEXT) | instid1(SALU_CYCLE_1)
	s_or_b32 exec_lo, exec_lo, s10
	s_mov_b32 s10, exec_lo
	v_cmpx_lt_u64_e64 s[8:9], v[11:12]
	s_cbranch_execz .LBB367_1187
; %bb.1180:                             ;   in Loop: Header=BB367_991 Depth=1
	v_lshrrev_b32_e32 v14, 24, v12
	v_bfrev_b32_e32 v99, 1
	s_mov_b32 s12, exec_lo
	s_delay_alu instid0(VALU_DEP_2)
	v_cmpx_ne_u32_e32 0x80, v14
	s_cbranch_execz .LBB367_1186
; %bb.1181:                             ;   in Loop: Header=BB367_991 Depth=1
	v_and_b32_e32 v11, 0x7f, v14
	v_mov_b32_e32 v99, 0x7fc02000
	s_mov_b32 s13, exec_lo
	s_delay_alu instid0(VALU_DEP_2)
	v_cmpx_ne_u32_e32 0x7f, v11
	s_cbranch_execz .LBB367_1185
; %bb.1182:                             ;   in Loop: Header=BB367_991 Depth=1
	v_and_b32_e32 v0, 7, v14
	v_lshrrev_b32_e32 v99, 3, v11
	v_cmp_gt_u32_e64 s0, 8, v11
	s_delay_alu instid0(VALU_DEP_3) | instskip(NEXT) | instid1(VALU_DEP_2)
	v_dual_mov_b32 v12, v1 :: v_dual_mov_b32 v11, v0
	s_and_saveexec_b32 s15, s0
; %bb.1183:                             ;   in Loop: Header=BB367_991 Depth=1
	v_clz_i32_u32_e32 v11, v0
	s_delay_alu instid0(VALU_DEP_1) | instskip(NEXT) | instid1(VALU_DEP_1)
	v_min_u32_e32 v99, 32, v11
	v_subrev_nc_u32_e32 v11, 28, v99
	v_sub_nc_u32_e32 v99, 29, v99
	s_delay_alu instid0(VALU_DEP_2) | instskip(NEXT) | instid1(VALU_DEP_1)
	v_lshlrev_b64 v[11:12], v11, v[0:1]
	v_and_b32_e32 v11, 7, v11
; %bb.1184:                             ;   in Loop: Header=BB367_991 Depth=1
	s_or_b32 exec_lo, exec_lo, s15
	v_lshlrev_b32_e32 v0, 8, v14
	v_lshl_add_u32 v12, v99, 10, 0x2000
	s_delay_alu instid0(VALU_DEP_1) | instskip(NEXT) | instid1(VALU_DEP_1)
	v_and_or_b32 v0, 0x8000, v0, v12
	v_lshl_or_b32 v0, v11, 7, v0
	s_delay_alu instid0(VALU_DEP_1)
	v_cvt_f32_f16_e32 v99, v0
.LBB367_1185:                           ;   in Loop: Header=BB367_991 Depth=1
	s_or_b32 exec_lo, exec_lo, s13
.LBB367_1186:                           ;   in Loop: Header=BB367_991 Depth=1
	s_delay_alu instid0(SALU_CYCLE_1)
	s_or_b32 exec_lo, exec_lo, s12
.LBB367_1187:                           ;   in Loop: Header=BB367_991 Depth=1
	s_delay_alu instid0(SALU_CYCLE_1)
	s_or_b32 exec_lo, exec_lo, s10
	s_waitcnt vmcnt(0) lgkmcnt(0)
	v_fma_mixlo_f16 v12, v84, v86, 0
	v_fma_mixlo_f16 v0, v84, v96, 0
	;; [unrolled: 1-line block ×5, first 2 shown]
	v_lshlrev_b32_e32 v14, 16, v12
	v_fma_mixlo_f16 v87, v84, v97, 0
	v_fma_mixlo_f16 v96, v84, v99, 0
	;; [unrolled: 1-line block ×3, first 2 shown]
	v_lshlrev_b32_e32 v0, 16, v0
	v_and_b32_e32 v11, 0xffff, v11
	v_and_b32_e32 v84, 0xffff, v85
	v_lshlrev_b32_e32 v85, 16, v86
	v_and_b32_e32 v86, 0xffff, v87
	v_lshlrev_b32_e32 v87, 16, v96
	v_and_b32_e32 v96, 0xffff, v12
	v_or_b32_e32 v13, v0, v11
	v_or_b32_e32 v14, v14, v84
	;; [unrolled: 1-line block ×3, first 2 shown]
	s_delay_alu instid0(VALU_DEP_4)
	v_or_b32_e32 v11, v87, v96
	s_and_saveexec_b32 s10, vcc_lo
	s_cbranch_execz .LBB367_1189
; %bb.1188:                             ;   in Loop: Header=BB367_991 Depth=1
	v_cmp_lt_i32_e64 s0, v15, v36
	v_lshrrev_b32_e32 v84, 16, v14
	v_lshrrev_b32_e32 v85, 16, v13
	v_lshrrev_b32_e32 v86, 16, v0
	v_lshrrev_b32_e32 v11, 16, v11
	v_cndmask_b32_e64 v14, 0, v14, s0
	v_cmp_lt_i32_e64 s0, v81, v48
	s_delay_alu instid0(VALU_DEP_1) | instskip(SKIP_1) | instid1(VALU_DEP_2)
	v_cndmask_b32_e64 v84, 0, v84, s0
	v_cmp_lt_i32_e64 s0, v80, v48
	v_perm_b32 v14, v84, v14, 0x5040100
	s_delay_alu instid0(VALU_DEP_2) | instskip(SKIP_1) | instid1(VALU_DEP_1)
	v_cndmask_b32_e64 v85, 0, v85, s0
	v_cmp_lt_i32_e64 s0, v65, v36
	v_cndmask_b32_e64 v13, 0, v13, s0
	v_cmp_lt_i32_e64 s0, v64, v48
	s_delay_alu instid0(VALU_DEP_2) | instskip(NEXT) | instid1(VALU_DEP_2)
	v_perm_b32 v13, v85, v13, 0x5040100
	v_cndmask_b32_e64 v86, 0, v86, s0
	v_cmp_lt_i32_e64 s0, v55, v36
	s_delay_alu instid0(VALU_DEP_1) | instskip(SKIP_1) | instid1(VALU_DEP_2)
	v_cndmask_b32_e64 v0, 0, v0, s0
	v_cmp_lt_i32_e64 s0, v38, v48
	v_perm_b32 v0, v86, v0, 0x5040100
	s_delay_alu instid0(VALU_DEP_2) | instskip(SKIP_1) | instid1(VALU_DEP_1)
	v_cndmask_b32_e64 v11, 0, v11, s0
	v_cmp_lt_i32_e64 s0, v17, v36
	v_cndmask_b32_e64 v12, 0, v12, s0
	s_delay_alu instid0(VALU_DEP_1)
	v_perm_b32 v11, v11, v12, 0x5040100
.LBB367_1189:                           ;   in Loop: Header=BB367_991 Depth=1
	s_or_b32 exec_lo, exec_lo, s10
	;;#ASMSTART
	v_pk_mul_f16 v12, v71, v14;

	;;#ASMEND
	;;#ASMSTART
	v_pk_mul_f16 v13, v69, v13;

	;;#ASMEND
	;; [unrolled: 4-line block ×4, first 2 shown]
	;;#ASMSTART
	v_pk_add_f16 v12, v12, v13;

	;;#ASMEND
	;;#ASMSTART
	v_pk_add_f16 v0, v12, v0;

	;;#ASMEND
	;; [unrolled: 4-line block ×3, first 2 shown]
	v_dual_mov_b32 v96, 0 :: v_dual_and_b32 v11, 0xffff, v0
	v_lshrrev_b32_e32 v0, 16, v0
	;;#ASMSTART
	v_cvt_f32_f16 v84, v11;
	;;#ASMEND
	;;#ASMSTART
	v_cvt_f32_f16 v85, v0;
	;;#ASMEND
	flat_load_b64 v[11:12], v[9:10] offset:768
	flat_load_b32 v86, v[26:27]
	s_mov_b32 s10, exec_lo
	s_waitcnt vmcnt(1) lgkmcnt(1)
	v_dual_mov_b32 v87, 0 :: v_dual_and_b32 v0, 0xff, v11
	s_delay_alu instid0(VALU_DEP_1)
	v_cmpx_ne_u16_e32 0, v0
	s_cbranch_execz .LBB367_1197
; %bb.1190:                             ;   in Loop: Header=BB367_991 Depth=1
	v_bfrev_b32_e32 v87, 1
	s_mov_b32 s12, exec_lo
	v_cmpx_ne_u16_e32 0x80, v0
	s_cbranch_execz .LBB367_1196
; %bb.1191:                             ;   in Loop: Header=BB367_991 Depth=1
	v_and_b32_e32 v13, 0x7f, v11
	v_mov_b32_e32 v87, 0x7fc02000
	s_mov_b32 s13, exec_lo
	s_delay_alu instid0(VALU_DEP_2)
	v_cmpx_ne_u32_e32 0x7f, v13
	s_cbranch_execz .LBB367_1195
; %bb.1192:                             ;   in Loop: Header=BB367_991 Depth=1
	v_lshrrev_b32_e32 v0, 3, v13
	v_cmp_gt_u32_e64 s0, 8, v13
	v_dual_mov_b32 v14, v12 :: v_dual_mov_b32 v13, v11
	s_delay_alu instid0(VALU_DEP_2)
	s_and_saveexec_b32 s15, s0
; %bb.1193:                             ;   in Loop: Header=BB367_991 Depth=1
	v_and_b32_e32 v0, 7, v11
	s_delay_alu instid0(VALU_DEP_1) | instskip(NEXT) | instid1(VALU_DEP_1)
	v_clz_i32_u32_e32 v0, v0
	v_min_u32_e32 v0, 32, v0
	s_delay_alu instid0(VALU_DEP_1) | instskip(SKIP_1) | instid1(VALU_DEP_2)
	v_subrev_nc_u32_e32 v13, 28, v0
	v_sub_nc_u32_e32 v0, 29, v0
	v_lshlrev_b64 v[13:14], v13, v[11:12]
; %bb.1194:                             ;   in Loop: Header=BB367_991 Depth=1
	s_or_b32 exec_lo, exec_lo, s15
	v_lshlrev_b32_e32 v14, 8, v11
	s_delay_alu instid0(VALU_DEP_3) | instskip(NEXT) | instid1(VALU_DEP_3)
	v_lshl_add_u32 v0, v0, 10, 0x2000
	v_lshlrev_b32_e32 v13, 7, v13
	s_delay_alu instid0(VALU_DEP_2) | instskip(NEXT) | instid1(VALU_DEP_1)
	v_and_or_b32 v0, 0x8000, v14, v0
	v_and_or_b32 v0, 0x380, v13, v0
	s_delay_alu instid0(VALU_DEP_1)
	v_cvt_f32_f16_e32 v87, v0
.LBB367_1195:                           ;   in Loop: Header=BB367_991 Depth=1
	s_or_b32 exec_lo, exec_lo, s13
.LBB367_1196:                           ;   in Loop: Header=BB367_991 Depth=1
	s_delay_alu instid0(SALU_CYCLE_1)
	s_or_b32 exec_lo, exec_lo, s12
.LBB367_1197:                           ;   in Loop: Header=BB367_991 Depth=1
	s_delay_alu instid0(SALU_CYCLE_1) | instskip(SKIP_2) | instid1(VALU_DEP_1)
	s_or_b32 exec_lo, exec_lo, s10
	v_lshrrev_b16 v0, 8, v11
	s_mov_b32 s10, exec_lo
	v_cmpx_ne_u16_e32 0, v0
	s_cbranch_execz .LBB367_1205
; %bb.1198:                             ;   in Loop: Header=BB367_991 Depth=1
	v_bfrev_b32_e32 v96, 1
	s_mov_b32 s12, exec_lo
	v_cmpx_ne_u16_e32 0x80, v0
	s_cbranch_execz .LBB367_1204
; %bb.1199:                             ;   in Loop: Header=BB367_991 Depth=1
	v_and_b32_e32 v97, 0xffff, v0
	v_mov_b32_e32 v96, 0x7fc02000
	s_mov_b32 s13, exec_lo
	s_delay_alu instid0(VALU_DEP_2) | instskip(NEXT) | instid1(VALU_DEP_1)
	v_and_b32_e32 v13, 0x7f, v97
	v_cmpx_ne_u32_e32 0x7f, v13
	s_cbranch_execz .LBB367_1203
; %bb.1200:                             ;   in Loop: Header=BB367_991 Depth=1
	v_and_b32_e32 v0, 7, v97
	v_lshrrev_b32_e32 v96, 3, v13
	v_cmp_gt_u32_e64 s0, 8, v13
	s_delay_alu instid0(VALU_DEP_3) | instskip(NEXT) | instid1(VALU_DEP_2)
	v_dual_mov_b32 v14, v1 :: v_dual_mov_b32 v13, v0
	s_and_saveexec_b32 s15, s0
; %bb.1201:                             ;   in Loop: Header=BB367_991 Depth=1
	v_clz_i32_u32_e32 v13, v0
	s_delay_alu instid0(VALU_DEP_1) | instskip(NEXT) | instid1(VALU_DEP_1)
	v_min_u32_e32 v96, 32, v13
	v_subrev_nc_u32_e32 v13, 28, v96
	v_sub_nc_u32_e32 v96, 29, v96
	s_delay_alu instid0(VALU_DEP_2) | instskip(NEXT) | instid1(VALU_DEP_1)
	v_lshlrev_b64 v[13:14], v13, v[0:1]
	v_and_b32_e32 v13, 7, v13
; %bb.1202:                             ;   in Loop: Header=BB367_991 Depth=1
	s_or_b32 exec_lo, exec_lo, s15
	v_lshlrev_b32_e32 v0, 8, v97
	v_lshl_add_u32 v14, v96, 10, 0x2000
	s_delay_alu instid0(VALU_DEP_1) | instskip(NEXT) | instid1(VALU_DEP_1)
	v_and_or_b32 v0, 0x8000, v0, v14
	v_lshl_or_b32 v0, v13, 7, v0
	s_delay_alu instid0(VALU_DEP_1)
	v_cvt_f32_f16_e32 v96, v0
.LBB367_1203:                           ;   in Loop: Header=BB367_991 Depth=1
	s_or_b32 exec_lo, exec_lo, s13
.LBB367_1204:                           ;   in Loop: Header=BB367_991 Depth=1
	s_delay_alu instid0(SALU_CYCLE_1)
	s_or_b32 exec_lo, exec_lo, s12
.LBB367_1205:                           ;   in Loop: Header=BB367_991 Depth=1
	s_delay_alu instid0(SALU_CYCLE_1) | instskip(SKIP_3) | instid1(VALU_DEP_2)
	s_or_b32 exec_lo, exec_lo, s10
	v_lshrrev_b32_e32 v99, 16, v11
	v_mov_b32_e32 v98, 0
	s_mov_b32 s10, exec_lo
	v_dual_mov_b32 v97, 0 :: v_dual_and_b32 v0, 0xff, v99
	s_delay_alu instid0(VALU_DEP_1)
	v_cmpx_ne_u16_e32 0, v0
	s_cbranch_execz .LBB367_1213
; %bb.1206:                             ;   in Loop: Header=BB367_991 Depth=1
	v_bfrev_b32_e32 v97, 1
	s_mov_b32 s12, exec_lo
	v_cmpx_ne_u16_e32 0x80, v0
	s_cbranch_execz .LBB367_1212
; %bb.1207:                             ;   in Loop: Header=BB367_991 Depth=1
	v_bfe_u32 v13, v11, 16, 7
	v_mov_b32_e32 v97, 0x7fc02000
	s_mov_b32 s13, exec_lo
	s_delay_alu instid0(VALU_DEP_2)
	v_cmpx_ne_u32_e32 0x7f, v13
	s_cbranch_execz .LBB367_1211
; %bb.1208:                             ;   in Loop: Header=BB367_991 Depth=1
	v_and_b32_e32 v0, 7, v99
	v_lshrrev_b32_e32 v97, 3, v13
	v_cmp_gt_u32_e64 s0, 8, v13
	s_delay_alu instid0(VALU_DEP_3) | instskip(NEXT) | instid1(VALU_DEP_2)
	v_dual_mov_b32 v14, v1 :: v_dual_mov_b32 v13, v0
	s_and_saveexec_b32 s15, s0
; %bb.1209:                             ;   in Loop: Header=BB367_991 Depth=1
	v_clz_i32_u32_e32 v13, v0
	s_delay_alu instid0(VALU_DEP_1) | instskip(NEXT) | instid1(VALU_DEP_1)
	v_min_u32_e32 v97, 32, v13
	v_subrev_nc_u32_e32 v13, 28, v97
	v_sub_nc_u32_e32 v97, 29, v97
	s_delay_alu instid0(VALU_DEP_2) | instskip(NEXT) | instid1(VALU_DEP_1)
	v_lshlrev_b64 v[13:14], v13, v[0:1]
	v_and_b32_e32 v13, 7, v13
; %bb.1210:                             ;   in Loop: Header=BB367_991 Depth=1
	s_or_b32 exec_lo, exec_lo, s15
	v_lshlrev_b32_e32 v0, 8, v99
	v_lshl_add_u32 v14, v97, 10, 0x2000
	s_delay_alu instid0(VALU_DEP_1) | instskip(NEXT) | instid1(VALU_DEP_1)
	v_and_or_b32 v0, 0x8000, v0, v14
	v_lshl_or_b32 v0, v13, 7, v0
	s_delay_alu instid0(VALU_DEP_1)
	v_cvt_f32_f16_e32 v97, v0
.LBB367_1211:                           ;   in Loop: Header=BB367_991 Depth=1
	s_or_b32 exec_lo, exec_lo, s13
.LBB367_1212:                           ;   in Loop: Header=BB367_991 Depth=1
	s_delay_alu instid0(SALU_CYCLE_1)
	s_or_b32 exec_lo, exec_lo, s12
.LBB367_1213:                           ;   in Loop: Header=BB367_991 Depth=1
	s_delay_alu instid0(SALU_CYCLE_1) | instskip(NEXT) | instid1(SALU_CYCLE_1)
	s_or_b32 exec_lo, exec_lo, s10
	s_mov_b32 s10, exec_lo
	v_cmpx_lt_u32_e32 0xffffff, v11
	s_cbranch_execz .LBB367_1221
; %bb.1214:                             ;   in Loop: Header=BB367_991 Depth=1
	v_lshrrev_b32_e32 v99, 24, v11
	v_bfrev_b32_e32 v98, 1
	s_mov_b32 s12, exec_lo
	s_delay_alu instid0(VALU_DEP_2)
	v_cmpx_ne_u32_e32 0x80, v99
	s_cbranch_execz .LBB367_1220
; %bb.1215:                             ;   in Loop: Header=BB367_991 Depth=1
	v_and_b32_e32 v13, 0x7f, v99
	v_mov_b32_e32 v98, 0x7fc02000
	s_mov_b32 s13, exec_lo
	s_delay_alu instid0(VALU_DEP_2)
	v_cmpx_ne_u32_e32 0x7f, v13
	s_cbranch_execz .LBB367_1219
; %bb.1216:                             ;   in Loop: Header=BB367_991 Depth=1
	v_and_b32_e32 v0, 7, v99
	v_lshrrev_b32_e32 v98, 3, v13
	v_cmp_gt_u32_e64 s0, 8, v13
	s_delay_alu instid0(VALU_DEP_3) | instskip(NEXT) | instid1(VALU_DEP_2)
	v_dual_mov_b32 v14, v1 :: v_dual_mov_b32 v13, v0
	s_and_saveexec_b32 s15, s0
; %bb.1217:                             ;   in Loop: Header=BB367_991 Depth=1
	v_clz_i32_u32_e32 v13, v0
	s_delay_alu instid0(VALU_DEP_1) | instskip(NEXT) | instid1(VALU_DEP_1)
	v_min_u32_e32 v98, 32, v13
	v_subrev_nc_u32_e32 v13, 28, v98
	v_sub_nc_u32_e32 v98, 29, v98
	s_delay_alu instid0(VALU_DEP_2) | instskip(NEXT) | instid1(VALU_DEP_1)
	v_lshlrev_b64 v[13:14], v13, v[0:1]
	v_and_b32_e32 v13, 7, v13
; %bb.1218:                             ;   in Loop: Header=BB367_991 Depth=1
	s_or_b32 exec_lo, exec_lo, s15
	v_lshlrev_b32_e32 v0, 8, v99
	v_lshl_add_u32 v14, v98, 10, 0x2000
	s_delay_alu instid0(VALU_DEP_1) | instskip(NEXT) | instid1(VALU_DEP_1)
	v_and_or_b32 v0, 0x8000, v0, v14
	v_lshl_or_b32 v0, v13, 7, v0
	s_delay_alu instid0(VALU_DEP_1)
	v_cvt_f32_f16_e32 v98, v0
.LBB367_1219:                           ;   in Loop: Header=BB367_991 Depth=1
	s_or_b32 exec_lo, exec_lo, s13
.LBB367_1220:                           ;   in Loop: Header=BB367_991 Depth=1
	s_delay_alu instid0(SALU_CYCLE_1)
	s_or_b32 exec_lo, exec_lo, s12
.LBB367_1221:                           ;   in Loop: Header=BB367_991 Depth=1
	s_delay_alu instid0(SALU_CYCLE_1) | instskip(SKIP_3) | instid1(VALU_DEP_2)
	s_or_b32 exec_lo, exec_lo, s10
	v_dual_mov_b32 v0, v12 :: v_dual_and_b32 v13, 0xff, v12
	v_dual_mov_b32 v100, 0 :: v_dual_mov_b32 v99, 0
	s_mov_b32 s10, exec_lo
	v_cmpx_ne_u16_e32 0, v13
	s_cbranch_execz .LBB367_1229
; %bb.1222:                             ;   in Loop: Header=BB367_991 Depth=1
	v_bfrev_b32_e32 v99, 1
	s_mov_b32 s12, exec_lo
	v_cmpx_ne_u16_e32 0x80, v13
	s_cbranch_execz .LBB367_1228
; %bb.1223:                             ;   in Loop: Header=BB367_991 Depth=1
	v_and_b32_e32 v13, 0x7f, v12
	v_mov_b32_e32 v99, 0x7fc02000
	s_mov_b32 s13, exec_lo
	s_delay_alu instid0(VALU_DEP_2)
	v_cmpx_ne_u32_e32 0x7f, v13
	s_cbranch_execz .LBB367_1227
; %bb.1224:                             ;   in Loop: Header=BB367_991 Depth=1
	v_lshrrev_b32_e32 v99, 3, v13
	v_cmp_gt_u32_e64 s0, 8, v13
	v_dual_mov_b32 v14, v1 :: v_dual_mov_b32 v13, v0
	s_delay_alu instid0(VALU_DEP_2)
	s_and_saveexec_b32 s15, s0
; %bb.1225:                             ;   in Loop: Header=BB367_991 Depth=1
	v_and_b32_e32 v13, 7, v12
	s_delay_alu instid0(VALU_DEP_1) | instskip(NEXT) | instid1(VALU_DEP_1)
	v_clz_i32_u32_e32 v13, v13
	v_min_u32_e32 v99, 32, v13
	s_delay_alu instid0(VALU_DEP_1) | instskip(SKIP_1) | instid1(VALU_DEP_2)
	v_subrev_nc_u32_e32 v13, 28, v99
	v_sub_nc_u32_e32 v99, 29, v99
	v_lshlrev_b64 v[13:14], v13, v[0:1]
; %bb.1226:                             ;   in Loop: Header=BB367_991 Depth=1
	s_or_b32 exec_lo, exec_lo, s15
	v_lshlrev_b32_e32 v14, 8, v12
	s_delay_alu instid0(VALU_DEP_3) | instskip(NEXT) | instid1(VALU_DEP_3)
	v_lshl_add_u32 v99, v99, 10, 0x2000
	v_lshlrev_b32_e32 v13, 7, v13
	s_delay_alu instid0(VALU_DEP_2) | instskip(NEXT) | instid1(VALU_DEP_1)
	v_and_or_b32 v14, 0x8000, v14, v99
	v_and_or_b32 v13, 0x380, v13, v14
	s_delay_alu instid0(VALU_DEP_1)
	v_cvt_f32_f16_e32 v99, v13
.LBB367_1227:                           ;   in Loop: Header=BB367_991 Depth=1
	s_or_b32 exec_lo, exec_lo, s13
.LBB367_1228:                           ;   in Loop: Header=BB367_991 Depth=1
	s_delay_alu instid0(SALU_CYCLE_1)
	s_or_b32 exec_lo, exec_lo, s12
.LBB367_1229:                           ;   in Loop: Header=BB367_991 Depth=1
	s_delay_alu instid0(SALU_CYCLE_1) | instskip(SKIP_2) | instid1(VALU_DEP_1)
	s_or_b32 exec_lo, exec_lo, s10
	v_lshrrev_b16 v0, 8, v0
	s_mov_b32 s10, exec_lo
	v_cmpx_ne_u16_e32 0, v0
	s_cbranch_execz .LBB367_1237
; %bb.1230:                             ;   in Loop: Header=BB367_991 Depth=1
	v_bfrev_b32_e32 v100, 1
	s_mov_b32 s12, exec_lo
	v_cmpx_ne_u16_e32 0x80, v0
	s_cbranch_execz .LBB367_1236
; %bb.1231:                             ;   in Loop: Header=BB367_991 Depth=1
	v_and_b32_e32 v101, 0xffff, v0
	v_mov_b32_e32 v100, 0x7fc02000
	s_mov_b32 s13, exec_lo
	s_delay_alu instid0(VALU_DEP_2) | instskip(NEXT) | instid1(VALU_DEP_1)
	v_and_b32_e32 v13, 0x7f, v101
	v_cmpx_ne_u32_e32 0x7f, v13
	s_cbranch_execz .LBB367_1235
; %bb.1232:                             ;   in Loop: Header=BB367_991 Depth=1
	v_and_b32_e32 v0, 7, v101
	v_lshrrev_b32_e32 v100, 3, v13
	v_cmp_gt_u32_e64 s0, 8, v13
	s_delay_alu instid0(VALU_DEP_3) | instskip(NEXT) | instid1(VALU_DEP_2)
	v_dual_mov_b32 v14, v1 :: v_dual_mov_b32 v13, v0
	s_and_saveexec_b32 s15, s0
; %bb.1233:                             ;   in Loop: Header=BB367_991 Depth=1
	v_clz_i32_u32_e32 v13, v0
	s_delay_alu instid0(VALU_DEP_1) | instskip(NEXT) | instid1(VALU_DEP_1)
	v_min_u32_e32 v100, 32, v13
	v_subrev_nc_u32_e32 v13, 28, v100
	v_sub_nc_u32_e32 v100, 29, v100
	s_delay_alu instid0(VALU_DEP_2) | instskip(NEXT) | instid1(VALU_DEP_1)
	v_lshlrev_b64 v[13:14], v13, v[0:1]
	v_and_b32_e32 v13, 7, v13
; %bb.1234:                             ;   in Loop: Header=BB367_991 Depth=1
	s_or_b32 exec_lo, exec_lo, s15
	v_lshlrev_b32_e32 v0, 8, v101
	v_lshl_add_u32 v14, v100, 10, 0x2000
	s_delay_alu instid0(VALU_DEP_1) | instskip(NEXT) | instid1(VALU_DEP_1)
	v_and_or_b32 v0, 0x8000, v0, v14
	v_lshl_or_b32 v0, v13, 7, v0
	s_delay_alu instid0(VALU_DEP_1)
	v_cvt_f32_f16_e32 v100, v0
.LBB367_1235:                           ;   in Loop: Header=BB367_991 Depth=1
	s_or_b32 exec_lo, exec_lo, s13
.LBB367_1236:                           ;   in Loop: Header=BB367_991 Depth=1
	s_delay_alu instid0(SALU_CYCLE_1)
	s_or_b32 exec_lo, exec_lo, s12
.LBB367_1237:                           ;   in Loop: Header=BB367_991 Depth=1
	s_delay_alu instid0(SALU_CYCLE_1) | instskip(SKIP_3) | instid1(VALU_DEP_2)
	s_or_b32 exec_lo, exec_lo, s10
	v_lshrrev_b32_e32 v102, 16, v12
	v_mov_b32_e32 v13, 0
	s_mov_b32 s10, exec_lo
	v_dual_mov_b32 v101, 0 :: v_dual_and_b32 v0, 0xff, v102
	s_delay_alu instid0(VALU_DEP_1)
	v_cmpx_ne_u16_e32 0, v0
	s_cbranch_execz .LBB367_1245
; %bb.1238:                             ;   in Loop: Header=BB367_991 Depth=1
	v_bfrev_b32_e32 v13, 1
	s_mov_b32 s12, exec_lo
	v_cmpx_ne_u16_e32 0x80, v0
	s_cbranch_execz .LBB367_1244
; %bb.1239:                             ;   in Loop: Header=BB367_991 Depth=1
	v_bfe_u32 v14, v12, 16, 7
	v_mov_b32_e32 v13, 0x7fc02000
	s_mov_b32 s13, exec_lo
	s_delay_alu instid0(VALU_DEP_2)
	v_cmpx_ne_u32_e32 0x7f, v14
	s_cbranch_execz .LBB367_1243
; %bb.1240:                             ;   in Loop: Header=BB367_991 Depth=1
	v_and_b32_e32 v0, 7, v102
	v_lshrrev_b32_e32 v103, 3, v14
	v_cmp_gt_u32_e64 s0, 8, v14
	s_delay_alu instid0(VALU_DEP_3) | instskip(NEXT) | instid1(VALU_DEP_2)
	v_dual_mov_b32 v14, v1 :: v_dual_mov_b32 v13, v0
	s_and_saveexec_b32 s15, s0
; %bb.1241:                             ;   in Loop: Header=BB367_991 Depth=1
	v_clz_i32_u32_e32 v13, v0
	s_delay_alu instid0(VALU_DEP_1) | instskip(NEXT) | instid1(VALU_DEP_1)
	v_min_u32_e32 v103, 32, v13
	v_subrev_nc_u32_e32 v13, 28, v103
	v_sub_nc_u32_e32 v103, 29, v103
	s_delay_alu instid0(VALU_DEP_2) | instskip(NEXT) | instid1(VALU_DEP_1)
	v_lshlrev_b64 v[13:14], v13, v[0:1]
	v_and_b32_e32 v13, 7, v13
; %bb.1242:                             ;   in Loop: Header=BB367_991 Depth=1
	s_or_b32 exec_lo, exec_lo, s15
	v_lshlrev_b32_e32 v0, 8, v102
	v_lshl_add_u32 v14, v103, 10, 0x2000
	s_delay_alu instid0(VALU_DEP_1) | instskip(NEXT) | instid1(VALU_DEP_1)
	v_and_or_b32 v0, 0x8000, v0, v14
	v_lshl_or_b32 v0, v13, 7, v0
	s_delay_alu instid0(VALU_DEP_1)
	v_cvt_f32_f16_e32 v13, v0
.LBB367_1243:                           ;   in Loop: Header=BB367_991 Depth=1
	s_or_b32 exec_lo, exec_lo, s13
.LBB367_1244:                           ;   in Loop: Header=BB367_991 Depth=1
	s_delay_alu instid0(SALU_CYCLE_1)
	s_or_b32 exec_lo, exec_lo, s12
.LBB367_1245:                           ;   in Loop: Header=BB367_991 Depth=1
	s_delay_alu instid0(SALU_CYCLE_1) | instskip(NEXT) | instid1(SALU_CYCLE_1)
	s_or_b32 exec_lo, exec_lo, s10
	s_mov_b32 s10, exec_lo
	v_cmpx_lt_u64_e64 s[8:9], v[11:12]
	s_cbranch_execz .LBB367_1253
; %bb.1246:                             ;   in Loop: Header=BB367_991 Depth=1
	v_lshrrev_b32_e32 v14, 24, v12
	v_bfrev_b32_e32 v101, 1
	s_mov_b32 s12, exec_lo
	s_delay_alu instid0(VALU_DEP_2)
	v_cmpx_ne_u32_e32 0x80, v14
	s_cbranch_execz .LBB367_1252
; %bb.1247:                             ;   in Loop: Header=BB367_991 Depth=1
	v_and_b32_e32 v11, 0x7f, v14
	v_mov_b32_e32 v101, 0x7fc02000
	s_mov_b32 s13, exec_lo
	s_delay_alu instid0(VALU_DEP_2)
	v_cmpx_ne_u32_e32 0x7f, v11
	s_cbranch_execz .LBB367_1251
; %bb.1248:                             ;   in Loop: Header=BB367_991 Depth=1
	v_and_b32_e32 v0, 7, v14
	v_lshrrev_b32_e32 v101, 3, v11
	v_cmp_gt_u32_e64 s0, 8, v11
	s_delay_alu instid0(VALU_DEP_3) | instskip(NEXT) | instid1(VALU_DEP_2)
	v_dual_mov_b32 v12, v1 :: v_dual_mov_b32 v11, v0
	s_and_saveexec_b32 s15, s0
; %bb.1249:                             ;   in Loop: Header=BB367_991 Depth=1
	v_clz_i32_u32_e32 v11, v0
	s_delay_alu instid0(VALU_DEP_1) | instskip(NEXT) | instid1(VALU_DEP_1)
	v_min_u32_e32 v101, 32, v11
	v_subrev_nc_u32_e32 v11, 28, v101
	v_sub_nc_u32_e32 v101, 29, v101
	s_delay_alu instid0(VALU_DEP_2) | instskip(NEXT) | instid1(VALU_DEP_1)
	v_lshlrev_b64 v[11:12], v11, v[0:1]
	v_and_b32_e32 v11, 7, v11
; %bb.1250:                             ;   in Loop: Header=BB367_991 Depth=1
	s_or_b32 exec_lo, exec_lo, s15
	v_lshlrev_b32_e32 v0, 8, v14
	v_lshl_add_u32 v12, v101, 10, 0x2000
	s_delay_alu instid0(VALU_DEP_1) | instskip(NEXT) | instid1(VALU_DEP_1)
	v_and_or_b32 v0, 0x8000, v0, v12
	v_lshl_or_b32 v0, v11, 7, v0
	s_delay_alu instid0(VALU_DEP_1)
	v_cvt_f32_f16_e32 v101, v0
.LBB367_1251:                           ;   in Loop: Header=BB367_991 Depth=1
	s_or_b32 exec_lo, exec_lo, s13
.LBB367_1252:                           ;   in Loop: Header=BB367_991 Depth=1
	s_delay_alu instid0(SALU_CYCLE_1)
	s_or_b32 exec_lo, exec_lo, s12
.LBB367_1253:                           ;   in Loop: Header=BB367_991 Depth=1
	s_delay_alu instid0(SALU_CYCLE_1)
	s_or_b32 exec_lo, exec_lo, s10
	s_waitcnt vmcnt(0) lgkmcnt(0)
	v_fma_mixlo_f16 v12, v86, v96, 0
	v_fma_mixlo_f16 v0, v86, v98, 0
	;; [unrolled: 1-line block ×5, first 2 shown]
	v_lshlrev_b32_e32 v14, 16, v12
	v_fma_mixlo_f16 v97, v86, v99, 0
	v_fma_mixlo_f16 v98, v86, v101, 0
	;; [unrolled: 1-line block ×3, first 2 shown]
	v_lshlrev_b32_e32 v0, 16, v0
	v_and_b32_e32 v11, 0xffff, v11
	v_and_b32_e32 v86, 0xffff, v87
	v_lshlrev_b32_e32 v87, 16, v96
	v_and_b32_e32 v96, 0xffff, v97
	v_lshlrev_b32_e32 v97, 16, v98
	v_and_b32_e32 v98, 0xffff, v12
	v_or_b32_e32 v13, v0, v11
	v_or_b32_e32 v14, v14, v86
	;; [unrolled: 1-line block ×3, first 2 shown]
	s_delay_alu instid0(VALU_DEP_4)
	v_or_b32_e32 v11, v97, v98
	s_and_saveexec_b32 s10, vcc_lo
	s_cbranch_execz .LBB367_1255
; %bb.1254:                             ;   in Loop: Header=BB367_991 Depth=1
	v_cmp_lt_i32_e64 s0, v15, v36
	v_lshrrev_b32_e32 v86, 16, v14
	v_lshrrev_b32_e32 v87, 16, v13
	;; [unrolled: 1-line block ×4, first 2 shown]
	v_cndmask_b32_e64 v14, 0, v14, s0
	v_cmp_lt_i32_e64 s0, v81, v48
	s_delay_alu instid0(VALU_DEP_1) | instskip(SKIP_1) | instid1(VALU_DEP_2)
	v_cndmask_b32_e64 v86, 0, v86, s0
	v_cmp_lt_i32_e64 s0, v80, v48
	v_perm_b32 v14, v86, v14, 0x5040100
	s_delay_alu instid0(VALU_DEP_2) | instskip(SKIP_1) | instid1(VALU_DEP_1)
	v_cndmask_b32_e64 v87, 0, v87, s0
	v_cmp_lt_i32_e64 s0, v65, v36
	v_cndmask_b32_e64 v13, 0, v13, s0
	v_cmp_lt_i32_e64 s0, v64, v48
	s_delay_alu instid0(VALU_DEP_2) | instskip(NEXT) | instid1(VALU_DEP_2)
	v_perm_b32 v13, v87, v13, 0x5040100
	v_cndmask_b32_e64 v96, 0, v96, s0
	v_cmp_lt_i32_e64 s0, v55, v36
	s_delay_alu instid0(VALU_DEP_1) | instskip(SKIP_1) | instid1(VALU_DEP_2)
	v_cndmask_b32_e64 v0, 0, v0, s0
	v_cmp_lt_i32_e64 s0, v38, v48
	v_perm_b32 v0, v96, v0, 0x5040100
	s_delay_alu instid0(VALU_DEP_2) | instskip(SKIP_1) | instid1(VALU_DEP_1)
	v_cndmask_b32_e64 v11, 0, v11, s0
	v_cmp_lt_i32_e64 s0, v17, v36
	v_cndmask_b32_e64 v12, 0, v12, s0
	s_delay_alu instid0(VALU_DEP_1)
	v_perm_b32 v11, v11, v12, 0x5040100
.LBB367_1255:                           ;   in Loop: Header=BB367_991 Depth=1
	s_or_b32 exec_lo, exec_lo, s10
	;;#ASMSTART
	v_pk_mul_f16 v12, v71, v14;

	;;#ASMEND
	;;#ASMSTART
	v_pk_mul_f16 v13, v69, v13;

	;;#ASMEND
	;; [unrolled: 4-line block ×4, first 2 shown]
	;;#ASMSTART
	v_pk_add_f16 v12, v12, v13;

	;;#ASMEND
	;;#ASMSTART
	v_pk_add_f16 v0, v12, v0;

	;;#ASMEND
	;; [unrolled: 4-line block ×3, first 2 shown]
	v_dual_mov_b32 v98, 0 :: v_dual_and_b32 v11, 0xffff, v0
	v_lshrrev_b32_e32 v0, 16, v0
	;;#ASMSTART
	v_cvt_f32_f16 v86, v11;
	;;#ASMEND
	;;#ASMSTART
	v_cvt_f32_f16 v87, v0;
	;;#ASMEND
	flat_load_b64 v[11:12], v[9:10] offset:1024
	flat_load_b32 v96, v[26:27]
	s_mov_b32 s10, exec_lo
	s_waitcnt vmcnt(1) lgkmcnt(1)
	v_dual_mov_b32 v97, 0 :: v_dual_and_b32 v0, 0xff, v11
	s_delay_alu instid0(VALU_DEP_1)
	v_cmpx_ne_u16_e32 0, v0
	s_cbranch_execz .LBB367_1263
; %bb.1256:                             ;   in Loop: Header=BB367_991 Depth=1
	v_bfrev_b32_e32 v97, 1
	s_mov_b32 s12, exec_lo
	v_cmpx_ne_u16_e32 0x80, v0
	s_cbranch_execz .LBB367_1262
; %bb.1257:                             ;   in Loop: Header=BB367_991 Depth=1
	v_and_b32_e32 v13, 0x7f, v11
	v_mov_b32_e32 v97, 0x7fc02000
	s_mov_b32 s13, exec_lo
	s_delay_alu instid0(VALU_DEP_2)
	v_cmpx_ne_u32_e32 0x7f, v13
	s_cbranch_execz .LBB367_1261
; %bb.1258:                             ;   in Loop: Header=BB367_991 Depth=1
	v_lshrrev_b32_e32 v0, 3, v13
	v_cmp_gt_u32_e64 s0, 8, v13
	v_dual_mov_b32 v14, v12 :: v_dual_mov_b32 v13, v11
	s_delay_alu instid0(VALU_DEP_2)
	s_and_saveexec_b32 s15, s0
; %bb.1259:                             ;   in Loop: Header=BB367_991 Depth=1
	v_and_b32_e32 v0, 7, v11
	s_delay_alu instid0(VALU_DEP_1) | instskip(NEXT) | instid1(VALU_DEP_1)
	v_clz_i32_u32_e32 v0, v0
	v_min_u32_e32 v0, 32, v0
	s_delay_alu instid0(VALU_DEP_1) | instskip(SKIP_1) | instid1(VALU_DEP_2)
	v_subrev_nc_u32_e32 v13, 28, v0
	v_sub_nc_u32_e32 v0, 29, v0
	v_lshlrev_b64 v[13:14], v13, v[11:12]
; %bb.1260:                             ;   in Loop: Header=BB367_991 Depth=1
	s_or_b32 exec_lo, exec_lo, s15
	v_lshlrev_b32_e32 v14, 8, v11
	s_delay_alu instid0(VALU_DEP_3) | instskip(NEXT) | instid1(VALU_DEP_3)
	v_lshl_add_u32 v0, v0, 10, 0x2000
	v_lshlrev_b32_e32 v13, 7, v13
	s_delay_alu instid0(VALU_DEP_2) | instskip(NEXT) | instid1(VALU_DEP_1)
	v_and_or_b32 v0, 0x8000, v14, v0
	v_and_or_b32 v0, 0x380, v13, v0
	s_delay_alu instid0(VALU_DEP_1)
	v_cvt_f32_f16_e32 v97, v0
.LBB367_1261:                           ;   in Loop: Header=BB367_991 Depth=1
	s_or_b32 exec_lo, exec_lo, s13
.LBB367_1262:                           ;   in Loop: Header=BB367_991 Depth=1
	s_delay_alu instid0(SALU_CYCLE_1)
	s_or_b32 exec_lo, exec_lo, s12
.LBB367_1263:                           ;   in Loop: Header=BB367_991 Depth=1
	s_delay_alu instid0(SALU_CYCLE_1) | instskip(SKIP_2) | instid1(VALU_DEP_1)
	s_or_b32 exec_lo, exec_lo, s10
	v_lshrrev_b16 v0, 8, v11
	s_mov_b32 s10, exec_lo
	v_cmpx_ne_u16_e32 0, v0
	s_cbranch_execz .LBB367_1271
; %bb.1264:                             ;   in Loop: Header=BB367_991 Depth=1
	v_bfrev_b32_e32 v98, 1
	s_mov_b32 s12, exec_lo
	v_cmpx_ne_u16_e32 0x80, v0
	s_cbranch_execz .LBB367_1270
; %bb.1265:                             ;   in Loop: Header=BB367_991 Depth=1
	v_and_b32_e32 v99, 0xffff, v0
	v_mov_b32_e32 v98, 0x7fc02000
	s_mov_b32 s13, exec_lo
	s_delay_alu instid0(VALU_DEP_2) | instskip(NEXT) | instid1(VALU_DEP_1)
	v_and_b32_e32 v13, 0x7f, v99
	v_cmpx_ne_u32_e32 0x7f, v13
	s_cbranch_execz .LBB367_1269
; %bb.1266:                             ;   in Loop: Header=BB367_991 Depth=1
	v_and_b32_e32 v0, 7, v99
	v_lshrrev_b32_e32 v98, 3, v13
	v_cmp_gt_u32_e64 s0, 8, v13
	s_delay_alu instid0(VALU_DEP_3) | instskip(NEXT) | instid1(VALU_DEP_2)
	v_dual_mov_b32 v14, v1 :: v_dual_mov_b32 v13, v0
	s_and_saveexec_b32 s15, s0
; %bb.1267:                             ;   in Loop: Header=BB367_991 Depth=1
	v_clz_i32_u32_e32 v13, v0
	s_delay_alu instid0(VALU_DEP_1) | instskip(NEXT) | instid1(VALU_DEP_1)
	v_min_u32_e32 v98, 32, v13
	v_subrev_nc_u32_e32 v13, 28, v98
	v_sub_nc_u32_e32 v98, 29, v98
	s_delay_alu instid0(VALU_DEP_2) | instskip(NEXT) | instid1(VALU_DEP_1)
	v_lshlrev_b64 v[13:14], v13, v[0:1]
	v_and_b32_e32 v13, 7, v13
; %bb.1268:                             ;   in Loop: Header=BB367_991 Depth=1
	s_or_b32 exec_lo, exec_lo, s15
	v_lshlrev_b32_e32 v0, 8, v99
	v_lshl_add_u32 v14, v98, 10, 0x2000
	s_delay_alu instid0(VALU_DEP_1) | instskip(NEXT) | instid1(VALU_DEP_1)
	v_and_or_b32 v0, 0x8000, v0, v14
	v_lshl_or_b32 v0, v13, 7, v0
	s_delay_alu instid0(VALU_DEP_1)
	v_cvt_f32_f16_e32 v98, v0
.LBB367_1269:                           ;   in Loop: Header=BB367_991 Depth=1
	s_or_b32 exec_lo, exec_lo, s13
.LBB367_1270:                           ;   in Loop: Header=BB367_991 Depth=1
	s_delay_alu instid0(SALU_CYCLE_1)
	s_or_b32 exec_lo, exec_lo, s12
.LBB367_1271:                           ;   in Loop: Header=BB367_991 Depth=1
	s_delay_alu instid0(SALU_CYCLE_1) | instskip(SKIP_3) | instid1(VALU_DEP_2)
	s_or_b32 exec_lo, exec_lo, s10
	v_lshrrev_b32_e32 v101, 16, v11
	v_mov_b32_e32 v100, 0
	s_mov_b32 s10, exec_lo
	v_dual_mov_b32 v99, 0 :: v_dual_and_b32 v0, 0xff, v101
	s_delay_alu instid0(VALU_DEP_1)
	v_cmpx_ne_u16_e32 0, v0
	s_cbranch_execz .LBB367_1279
; %bb.1272:                             ;   in Loop: Header=BB367_991 Depth=1
	v_bfrev_b32_e32 v99, 1
	s_mov_b32 s12, exec_lo
	v_cmpx_ne_u16_e32 0x80, v0
	s_cbranch_execz .LBB367_1278
; %bb.1273:                             ;   in Loop: Header=BB367_991 Depth=1
	v_bfe_u32 v13, v11, 16, 7
	v_mov_b32_e32 v99, 0x7fc02000
	s_mov_b32 s13, exec_lo
	s_delay_alu instid0(VALU_DEP_2)
	v_cmpx_ne_u32_e32 0x7f, v13
	s_cbranch_execz .LBB367_1277
; %bb.1274:                             ;   in Loop: Header=BB367_991 Depth=1
	v_and_b32_e32 v0, 7, v101
	v_lshrrev_b32_e32 v99, 3, v13
	v_cmp_gt_u32_e64 s0, 8, v13
	s_delay_alu instid0(VALU_DEP_3) | instskip(NEXT) | instid1(VALU_DEP_2)
	v_dual_mov_b32 v14, v1 :: v_dual_mov_b32 v13, v0
	s_and_saveexec_b32 s15, s0
; %bb.1275:                             ;   in Loop: Header=BB367_991 Depth=1
	v_clz_i32_u32_e32 v13, v0
	s_delay_alu instid0(VALU_DEP_1) | instskip(NEXT) | instid1(VALU_DEP_1)
	v_min_u32_e32 v99, 32, v13
	v_subrev_nc_u32_e32 v13, 28, v99
	v_sub_nc_u32_e32 v99, 29, v99
	s_delay_alu instid0(VALU_DEP_2) | instskip(NEXT) | instid1(VALU_DEP_1)
	v_lshlrev_b64 v[13:14], v13, v[0:1]
	v_and_b32_e32 v13, 7, v13
; %bb.1276:                             ;   in Loop: Header=BB367_991 Depth=1
	s_or_b32 exec_lo, exec_lo, s15
	v_lshlrev_b32_e32 v0, 8, v101
	v_lshl_add_u32 v14, v99, 10, 0x2000
	s_delay_alu instid0(VALU_DEP_1) | instskip(NEXT) | instid1(VALU_DEP_1)
	v_and_or_b32 v0, 0x8000, v0, v14
	v_lshl_or_b32 v0, v13, 7, v0
	s_delay_alu instid0(VALU_DEP_1)
	v_cvt_f32_f16_e32 v99, v0
.LBB367_1277:                           ;   in Loop: Header=BB367_991 Depth=1
	s_or_b32 exec_lo, exec_lo, s13
.LBB367_1278:                           ;   in Loop: Header=BB367_991 Depth=1
	s_delay_alu instid0(SALU_CYCLE_1)
	s_or_b32 exec_lo, exec_lo, s12
.LBB367_1279:                           ;   in Loop: Header=BB367_991 Depth=1
	s_delay_alu instid0(SALU_CYCLE_1) | instskip(NEXT) | instid1(SALU_CYCLE_1)
	s_or_b32 exec_lo, exec_lo, s10
	s_mov_b32 s10, exec_lo
	v_cmpx_lt_u32_e32 0xffffff, v11
	s_cbranch_execz .LBB367_1287
; %bb.1280:                             ;   in Loop: Header=BB367_991 Depth=1
	v_lshrrev_b32_e32 v101, 24, v11
	v_bfrev_b32_e32 v100, 1
	s_mov_b32 s12, exec_lo
	s_delay_alu instid0(VALU_DEP_2)
	v_cmpx_ne_u32_e32 0x80, v101
	s_cbranch_execz .LBB367_1286
; %bb.1281:                             ;   in Loop: Header=BB367_991 Depth=1
	v_and_b32_e32 v13, 0x7f, v101
	v_mov_b32_e32 v100, 0x7fc02000
	s_mov_b32 s13, exec_lo
	s_delay_alu instid0(VALU_DEP_2)
	v_cmpx_ne_u32_e32 0x7f, v13
	s_cbranch_execz .LBB367_1285
; %bb.1282:                             ;   in Loop: Header=BB367_991 Depth=1
	v_and_b32_e32 v0, 7, v101
	v_lshrrev_b32_e32 v100, 3, v13
	v_cmp_gt_u32_e64 s0, 8, v13
	s_delay_alu instid0(VALU_DEP_3) | instskip(NEXT) | instid1(VALU_DEP_2)
	v_dual_mov_b32 v14, v1 :: v_dual_mov_b32 v13, v0
	s_and_saveexec_b32 s15, s0
; %bb.1283:                             ;   in Loop: Header=BB367_991 Depth=1
	v_clz_i32_u32_e32 v13, v0
	s_delay_alu instid0(VALU_DEP_1) | instskip(NEXT) | instid1(VALU_DEP_1)
	v_min_u32_e32 v100, 32, v13
	v_subrev_nc_u32_e32 v13, 28, v100
	v_sub_nc_u32_e32 v100, 29, v100
	s_delay_alu instid0(VALU_DEP_2) | instskip(NEXT) | instid1(VALU_DEP_1)
	v_lshlrev_b64 v[13:14], v13, v[0:1]
	v_and_b32_e32 v13, 7, v13
; %bb.1284:                             ;   in Loop: Header=BB367_991 Depth=1
	s_or_b32 exec_lo, exec_lo, s15
	v_lshlrev_b32_e32 v0, 8, v101
	v_lshl_add_u32 v14, v100, 10, 0x2000
	s_delay_alu instid0(VALU_DEP_1) | instskip(NEXT) | instid1(VALU_DEP_1)
	v_and_or_b32 v0, 0x8000, v0, v14
	v_lshl_or_b32 v0, v13, 7, v0
	s_delay_alu instid0(VALU_DEP_1)
	v_cvt_f32_f16_e32 v100, v0
.LBB367_1285:                           ;   in Loop: Header=BB367_991 Depth=1
	s_or_b32 exec_lo, exec_lo, s13
.LBB367_1286:                           ;   in Loop: Header=BB367_991 Depth=1
	s_delay_alu instid0(SALU_CYCLE_1)
	s_or_b32 exec_lo, exec_lo, s12
.LBB367_1287:                           ;   in Loop: Header=BB367_991 Depth=1
	s_delay_alu instid0(SALU_CYCLE_1) | instskip(SKIP_3) | instid1(VALU_DEP_2)
	s_or_b32 exec_lo, exec_lo, s10
	v_dual_mov_b32 v0, v12 :: v_dual_and_b32 v13, 0xff, v12
	v_dual_mov_b32 v102, 0 :: v_dual_mov_b32 v101, 0
	s_mov_b32 s10, exec_lo
	v_cmpx_ne_u16_e32 0, v13
	s_cbranch_execz .LBB367_1295
; %bb.1288:                             ;   in Loop: Header=BB367_991 Depth=1
	v_bfrev_b32_e32 v101, 1
	s_mov_b32 s12, exec_lo
	v_cmpx_ne_u16_e32 0x80, v13
	s_cbranch_execz .LBB367_1294
; %bb.1289:                             ;   in Loop: Header=BB367_991 Depth=1
	v_and_b32_e32 v13, 0x7f, v12
	v_mov_b32_e32 v101, 0x7fc02000
	s_mov_b32 s13, exec_lo
	s_delay_alu instid0(VALU_DEP_2)
	v_cmpx_ne_u32_e32 0x7f, v13
	s_cbranch_execz .LBB367_1293
; %bb.1290:                             ;   in Loop: Header=BB367_991 Depth=1
	v_lshrrev_b32_e32 v101, 3, v13
	v_cmp_gt_u32_e64 s0, 8, v13
	v_dual_mov_b32 v14, v1 :: v_dual_mov_b32 v13, v0
	s_delay_alu instid0(VALU_DEP_2)
	s_and_saveexec_b32 s15, s0
; %bb.1291:                             ;   in Loop: Header=BB367_991 Depth=1
	v_and_b32_e32 v13, 7, v12
	s_delay_alu instid0(VALU_DEP_1) | instskip(NEXT) | instid1(VALU_DEP_1)
	v_clz_i32_u32_e32 v13, v13
	v_min_u32_e32 v101, 32, v13
	s_delay_alu instid0(VALU_DEP_1) | instskip(SKIP_1) | instid1(VALU_DEP_2)
	v_subrev_nc_u32_e32 v13, 28, v101
	v_sub_nc_u32_e32 v101, 29, v101
	v_lshlrev_b64 v[13:14], v13, v[0:1]
; %bb.1292:                             ;   in Loop: Header=BB367_991 Depth=1
	s_or_b32 exec_lo, exec_lo, s15
	v_lshlrev_b32_e32 v14, 8, v12
	s_delay_alu instid0(VALU_DEP_3) | instskip(NEXT) | instid1(VALU_DEP_3)
	v_lshl_add_u32 v101, v101, 10, 0x2000
	v_lshlrev_b32_e32 v13, 7, v13
	s_delay_alu instid0(VALU_DEP_2) | instskip(NEXT) | instid1(VALU_DEP_1)
	v_and_or_b32 v14, 0x8000, v14, v101
	v_and_or_b32 v13, 0x380, v13, v14
	s_delay_alu instid0(VALU_DEP_1)
	v_cvt_f32_f16_e32 v101, v13
.LBB367_1293:                           ;   in Loop: Header=BB367_991 Depth=1
	s_or_b32 exec_lo, exec_lo, s13
.LBB367_1294:                           ;   in Loop: Header=BB367_991 Depth=1
	s_delay_alu instid0(SALU_CYCLE_1)
	s_or_b32 exec_lo, exec_lo, s12
.LBB367_1295:                           ;   in Loop: Header=BB367_991 Depth=1
	s_delay_alu instid0(SALU_CYCLE_1) | instskip(SKIP_2) | instid1(VALU_DEP_1)
	s_or_b32 exec_lo, exec_lo, s10
	v_lshrrev_b16 v0, 8, v0
	s_mov_b32 s10, exec_lo
	v_cmpx_ne_u16_e32 0, v0
	s_cbranch_execz .LBB367_1303
; %bb.1296:                             ;   in Loop: Header=BB367_991 Depth=1
	v_bfrev_b32_e32 v102, 1
	s_mov_b32 s12, exec_lo
	v_cmpx_ne_u16_e32 0x80, v0
	s_cbranch_execz .LBB367_1302
; %bb.1297:                             ;   in Loop: Header=BB367_991 Depth=1
	v_and_b32_e32 v103, 0xffff, v0
	v_mov_b32_e32 v102, 0x7fc02000
	s_mov_b32 s13, exec_lo
	s_delay_alu instid0(VALU_DEP_2) | instskip(NEXT) | instid1(VALU_DEP_1)
	v_and_b32_e32 v13, 0x7f, v103
	v_cmpx_ne_u32_e32 0x7f, v13
	s_cbranch_execz .LBB367_1301
; %bb.1298:                             ;   in Loop: Header=BB367_991 Depth=1
	v_and_b32_e32 v0, 7, v103
	v_lshrrev_b32_e32 v102, 3, v13
	v_cmp_gt_u32_e64 s0, 8, v13
	s_delay_alu instid0(VALU_DEP_3) | instskip(NEXT) | instid1(VALU_DEP_2)
	v_dual_mov_b32 v14, v1 :: v_dual_mov_b32 v13, v0
	s_and_saveexec_b32 s15, s0
; %bb.1299:                             ;   in Loop: Header=BB367_991 Depth=1
	v_clz_i32_u32_e32 v13, v0
	s_delay_alu instid0(VALU_DEP_1) | instskip(NEXT) | instid1(VALU_DEP_1)
	v_min_u32_e32 v102, 32, v13
	v_subrev_nc_u32_e32 v13, 28, v102
	v_sub_nc_u32_e32 v102, 29, v102
	s_delay_alu instid0(VALU_DEP_2) | instskip(NEXT) | instid1(VALU_DEP_1)
	v_lshlrev_b64 v[13:14], v13, v[0:1]
	v_and_b32_e32 v13, 7, v13
; %bb.1300:                             ;   in Loop: Header=BB367_991 Depth=1
	s_or_b32 exec_lo, exec_lo, s15
	v_lshlrev_b32_e32 v0, 8, v103
	v_lshl_add_u32 v14, v102, 10, 0x2000
	s_delay_alu instid0(VALU_DEP_1) | instskip(NEXT) | instid1(VALU_DEP_1)
	v_and_or_b32 v0, 0x8000, v0, v14
	v_lshl_or_b32 v0, v13, 7, v0
	s_delay_alu instid0(VALU_DEP_1)
	v_cvt_f32_f16_e32 v102, v0
.LBB367_1301:                           ;   in Loop: Header=BB367_991 Depth=1
	s_or_b32 exec_lo, exec_lo, s13
.LBB367_1302:                           ;   in Loop: Header=BB367_991 Depth=1
	s_delay_alu instid0(SALU_CYCLE_1)
	s_or_b32 exec_lo, exec_lo, s12
.LBB367_1303:                           ;   in Loop: Header=BB367_991 Depth=1
	s_delay_alu instid0(SALU_CYCLE_1) | instskip(SKIP_3) | instid1(VALU_DEP_2)
	s_or_b32 exec_lo, exec_lo, s10
	v_lshrrev_b32_e32 v112, 16, v12
	v_mov_b32_e32 v13, 0
	s_mov_b32 s10, exec_lo
	v_dual_mov_b32 v103, 0 :: v_dual_and_b32 v0, 0xff, v112
	s_delay_alu instid0(VALU_DEP_1)
	v_cmpx_ne_u16_e32 0, v0
	s_cbranch_execz .LBB367_1311
; %bb.1304:                             ;   in Loop: Header=BB367_991 Depth=1
	v_bfrev_b32_e32 v13, 1
	s_mov_b32 s12, exec_lo
	v_cmpx_ne_u16_e32 0x80, v0
	s_cbranch_execz .LBB367_1310
; %bb.1305:                             ;   in Loop: Header=BB367_991 Depth=1
	v_bfe_u32 v14, v12, 16, 7
	v_mov_b32_e32 v13, 0x7fc02000
	s_mov_b32 s13, exec_lo
	s_delay_alu instid0(VALU_DEP_2)
	v_cmpx_ne_u32_e32 0x7f, v14
	s_cbranch_execz .LBB367_1309
; %bb.1306:                             ;   in Loop: Header=BB367_991 Depth=1
	v_and_b32_e32 v0, 7, v112
	v_lshrrev_b32_e32 v113, 3, v14
	v_cmp_gt_u32_e64 s0, 8, v14
	s_delay_alu instid0(VALU_DEP_3) | instskip(NEXT) | instid1(VALU_DEP_2)
	v_dual_mov_b32 v14, v1 :: v_dual_mov_b32 v13, v0
	s_and_saveexec_b32 s15, s0
; %bb.1307:                             ;   in Loop: Header=BB367_991 Depth=1
	v_clz_i32_u32_e32 v13, v0
	s_delay_alu instid0(VALU_DEP_1) | instskip(NEXT) | instid1(VALU_DEP_1)
	v_min_u32_e32 v113, 32, v13
	v_subrev_nc_u32_e32 v13, 28, v113
	v_sub_nc_u32_e32 v113, 29, v113
	s_delay_alu instid0(VALU_DEP_2) | instskip(NEXT) | instid1(VALU_DEP_1)
	v_lshlrev_b64 v[13:14], v13, v[0:1]
	v_and_b32_e32 v13, 7, v13
; %bb.1308:                             ;   in Loop: Header=BB367_991 Depth=1
	s_or_b32 exec_lo, exec_lo, s15
	v_lshlrev_b32_e32 v0, 8, v112
	v_lshl_add_u32 v14, v113, 10, 0x2000
	s_delay_alu instid0(VALU_DEP_1) | instskip(NEXT) | instid1(VALU_DEP_1)
	v_and_or_b32 v0, 0x8000, v0, v14
	v_lshl_or_b32 v0, v13, 7, v0
	s_delay_alu instid0(VALU_DEP_1)
	v_cvt_f32_f16_e32 v13, v0
.LBB367_1309:                           ;   in Loop: Header=BB367_991 Depth=1
	s_or_b32 exec_lo, exec_lo, s13
.LBB367_1310:                           ;   in Loop: Header=BB367_991 Depth=1
	s_delay_alu instid0(SALU_CYCLE_1)
	s_or_b32 exec_lo, exec_lo, s12
.LBB367_1311:                           ;   in Loop: Header=BB367_991 Depth=1
	s_delay_alu instid0(SALU_CYCLE_1) | instskip(NEXT) | instid1(SALU_CYCLE_1)
	s_or_b32 exec_lo, exec_lo, s10
	s_mov_b32 s10, exec_lo
	v_cmpx_lt_u64_e64 s[8:9], v[11:12]
	s_cbranch_execz .LBB367_1319
; %bb.1312:                             ;   in Loop: Header=BB367_991 Depth=1
	v_lshrrev_b32_e32 v14, 24, v12
	v_bfrev_b32_e32 v103, 1
	s_mov_b32 s12, exec_lo
	s_delay_alu instid0(VALU_DEP_2)
	v_cmpx_ne_u32_e32 0x80, v14
	s_cbranch_execz .LBB367_1318
; %bb.1313:                             ;   in Loop: Header=BB367_991 Depth=1
	v_and_b32_e32 v11, 0x7f, v14
	v_mov_b32_e32 v103, 0x7fc02000
	s_mov_b32 s13, exec_lo
	s_delay_alu instid0(VALU_DEP_2)
	v_cmpx_ne_u32_e32 0x7f, v11
	s_cbranch_execz .LBB367_1317
; %bb.1314:                             ;   in Loop: Header=BB367_991 Depth=1
	v_and_b32_e32 v0, 7, v14
	v_lshrrev_b32_e32 v103, 3, v11
	v_cmp_gt_u32_e64 s0, 8, v11
	s_delay_alu instid0(VALU_DEP_3) | instskip(NEXT) | instid1(VALU_DEP_2)
	v_dual_mov_b32 v12, v1 :: v_dual_mov_b32 v11, v0
	s_and_saveexec_b32 s15, s0
; %bb.1315:                             ;   in Loop: Header=BB367_991 Depth=1
	v_clz_i32_u32_e32 v11, v0
	s_delay_alu instid0(VALU_DEP_1) | instskip(NEXT) | instid1(VALU_DEP_1)
	v_min_u32_e32 v103, 32, v11
	v_subrev_nc_u32_e32 v11, 28, v103
	v_sub_nc_u32_e32 v103, 29, v103
	s_delay_alu instid0(VALU_DEP_2) | instskip(NEXT) | instid1(VALU_DEP_1)
	v_lshlrev_b64 v[11:12], v11, v[0:1]
	v_and_b32_e32 v11, 7, v11
; %bb.1316:                             ;   in Loop: Header=BB367_991 Depth=1
	s_or_b32 exec_lo, exec_lo, s15
	v_lshlrev_b32_e32 v0, 8, v14
	v_lshl_add_u32 v12, v103, 10, 0x2000
	s_delay_alu instid0(VALU_DEP_1) | instskip(NEXT) | instid1(VALU_DEP_1)
	v_and_or_b32 v0, 0x8000, v0, v12
	v_lshl_or_b32 v0, v11, 7, v0
	s_delay_alu instid0(VALU_DEP_1)
	v_cvt_f32_f16_e32 v103, v0
.LBB367_1317:                           ;   in Loop: Header=BB367_991 Depth=1
	s_or_b32 exec_lo, exec_lo, s13
.LBB367_1318:                           ;   in Loop: Header=BB367_991 Depth=1
	s_delay_alu instid0(SALU_CYCLE_1)
	s_or_b32 exec_lo, exec_lo, s12
.LBB367_1319:                           ;   in Loop: Header=BB367_991 Depth=1
	s_delay_alu instid0(SALU_CYCLE_1)
	s_or_b32 exec_lo, exec_lo, s10
	s_waitcnt vmcnt(0) lgkmcnt(0)
	v_fma_mixlo_f16 v12, v96, v98, 0
	v_fma_mixlo_f16 v0, v96, v100, 0
	;; [unrolled: 1-line block ×5, first 2 shown]
	v_lshlrev_b32_e32 v14, 16, v12
	v_fma_mixlo_f16 v99, v96, v101, 0
	v_fma_mixlo_f16 v100, v96, v103, 0
	;; [unrolled: 1-line block ×3, first 2 shown]
	v_lshlrev_b32_e32 v0, 16, v0
	v_and_b32_e32 v11, 0xffff, v11
	v_and_b32_e32 v96, 0xffff, v97
	v_lshlrev_b32_e32 v97, 16, v98
	v_and_b32_e32 v98, 0xffff, v99
	v_lshlrev_b32_e32 v99, 16, v100
	v_and_b32_e32 v100, 0xffff, v12
	v_or_b32_e32 v13, v0, v11
	v_or_b32_e32 v14, v14, v96
	;; [unrolled: 1-line block ×3, first 2 shown]
	s_delay_alu instid0(VALU_DEP_4)
	v_or_b32_e32 v11, v99, v100
	s_and_saveexec_b32 s10, vcc_lo
	s_cbranch_execz .LBB367_1321
; %bb.1320:                             ;   in Loop: Header=BB367_991 Depth=1
	v_cmp_lt_i32_e64 s0, v15, v36
	v_lshrrev_b32_e32 v96, 16, v14
	v_lshrrev_b32_e32 v97, 16, v13
	;; [unrolled: 1-line block ×4, first 2 shown]
	v_cndmask_b32_e64 v14, 0, v14, s0
	v_cmp_lt_i32_e64 s0, v81, v48
	s_delay_alu instid0(VALU_DEP_1) | instskip(SKIP_1) | instid1(VALU_DEP_2)
	v_cndmask_b32_e64 v96, 0, v96, s0
	v_cmp_lt_i32_e64 s0, v80, v48
	v_perm_b32 v14, v96, v14, 0x5040100
	s_delay_alu instid0(VALU_DEP_2) | instskip(SKIP_1) | instid1(VALU_DEP_1)
	v_cndmask_b32_e64 v97, 0, v97, s0
	v_cmp_lt_i32_e64 s0, v65, v36
	v_cndmask_b32_e64 v13, 0, v13, s0
	v_cmp_lt_i32_e64 s0, v64, v48
	s_delay_alu instid0(VALU_DEP_2) | instskip(NEXT) | instid1(VALU_DEP_2)
	v_perm_b32 v13, v97, v13, 0x5040100
	v_cndmask_b32_e64 v98, 0, v98, s0
	v_cmp_lt_i32_e64 s0, v55, v36
	s_delay_alu instid0(VALU_DEP_1) | instskip(SKIP_1) | instid1(VALU_DEP_2)
	v_cndmask_b32_e64 v0, 0, v0, s0
	v_cmp_lt_i32_e64 s0, v38, v48
	v_perm_b32 v0, v98, v0, 0x5040100
	s_delay_alu instid0(VALU_DEP_2) | instskip(SKIP_1) | instid1(VALU_DEP_1)
	v_cndmask_b32_e64 v11, 0, v11, s0
	v_cmp_lt_i32_e64 s0, v17, v36
	v_cndmask_b32_e64 v12, 0, v12, s0
	s_delay_alu instid0(VALU_DEP_1)
	v_perm_b32 v11, v11, v12, 0x5040100
.LBB367_1321:                           ;   in Loop: Header=BB367_991 Depth=1
	s_or_b32 exec_lo, exec_lo, s10
	;;#ASMSTART
	v_pk_mul_f16 v12, v71, v14;

	;;#ASMEND
	;;#ASMSTART
	v_pk_mul_f16 v13, v69, v13;

	;;#ASMEND
	;;#ASMSTART
	v_pk_mul_f16 v0, v67, v0;

	;;#ASMEND
	;;#ASMSTART
	v_pk_mul_f16 v11, v66, v11;

	;;#ASMEND
	;;#ASMSTART
	v_pk_add_f16 v12, v12, v13;

	;;#ASMEND
	;;#ASMSTART
	v_pk_add_f16 v0, v12, v0;

	;;#ASMEND
	;; [unrolled: 4-line block ×3, first 2 shown]
	v_dual_mov_b32 v100, 0 :: v_dual_and_b32 v11, 0xffff, v0
	v_lshrrev_b32_e32 v0, 16, v0
	;;#ASMSTART
	v_cvt_f32_f16 v96, v11;
	;;#ASMEND
	;;#ASMSTART
	v_cvt_f32_f16 v97, v0;
	;;#ASMEND
	flat_load_b64 v[11:12], v[9:10] offset:1280
	flat_load_b32 v98, v[26:27]
	s_mov_b32 s10, exec_lo
	s_waitcnt vmcnt(1) lgkmcnt(1)
	v_dual_mov_b32 v99, 0 :: v_dual_and_b32 v0, 0xff, v11
	s_delay_alu instid0(VALU_DEP_1)
	v_cmpx_ne_u16_e32 0, v0
	s_cbranch_execz .LBB367_1329
; %bb.1322:                             ;   in Loop: Header=BB367_991 Depth=1
	v_bfrev_b32_e32 v99, 1
	s_mov_b32 s12, exec_lo
	v_cmpx_ne_u16_e32 0x80, v0
	s_cbranch_execz .LBB367_1328
; %bb.1323:                             ;   in Loop: Header=BB367_991 Depth=1
	v_and_b32_e32 v13, 0x7f, v11
	v_mov_b32_e32 v99, 0x7fc02000
	s_mov_b32 s13, exec_lo
	s_delay_alu instid0(VALU_DEP_2)
	v_cmpx_ne_u32_e32 0x7f, v13
	s_cbranch_execz .LBB367_1327
; %bb.1324:                             ;   in Loop: Header=BB367_991 Depth=1
	v_lshrrev_b32_e32 v0, 3, v13
	v_cmp_gt_u32_e64 s0, 8, v13
	v_dual_mov_b32 v14, v12 :: v_dual_mov_b32 v13, v11
	s_delay_alu instid0(VALU_DEP_2)
	s_and_saveexec_b32 s15, s0
; %bb.1325:                             ;   in Loop: Header=BB367_991 Depth=1
	v_and_b32_e32 v0, 7, v11
	s_delay_alu instid0(VALU_DEP_1) | instskip(NEXT) | instid1(VALU_DEP_1)
	v_clz_i32_u32_e32 v0, v0
	v_min_u32_e32 v0, 32, v0
	s_delay_alu instid0(VALU_DEP_1) | instskip(SKIP_1) | instid1(VALU_DEP_2)
	v_subrev_nc_u32_e32 v13, 28, v0
	v_sub_nc_u32_e32 v0, 29, v0
	v_lshlrev_b64 v[13:14], v13, v[11:12]
; %bb.1326:                             ;   in Loop: Header=BB367_991 Depth=1
	s_or_b32 exec_lo, exec_lo, s15
	v_lshlrev_b32_e32 v14, 8, v11
	s_delay_alu instid0(VALU_DEP_3) | instskip(NEXT) | instid1(VALU_DEP_3)
	v_lshl_add_u32 v0, v0, 10, 0x2000
	v_lshlrev_b32_e32 v13, 7, v13
	s_delay_alu instid0(VALU_DEP_2) | instskip(NEXT) | instid1(VALU_DEP_1)
	v_and_or_b32 v0, 0x8000, v14, v0
	v_and_or_b32 v0, 0x380, v13, v0
	s_delay_alu instid0(VALU_DEP_1)
	v_cvt_f32_f16_e32 v99, v0
.LBB367_1327:                           ;   in Loop: Header=BB367_991 Depth=1
	s_or_b32 exec_lo, exec_lo, s13
.LBB367_1328:                           ;   in Loop: Header=BB367_991 Depth=1
	s_delay_alu instid0(SALU_CYCLE_1)
	s_or_b32 exec_lo, exec_lo, s12
.LBB367_1329:                           ;   in Loop: Header=BB367_991 Depth=1
	s_delay_alu instid0(SALU_CYCLE_1) | instskip(SKIP_2) | instid1(VALU_DEP_1)
	s_or_b32 exec_lo, exec_lo, s10
	v_lshrrev_b16 v0, 8, v11
	s_mov_b32 s10, exec_lo
	v_cmpx_ne_u16_e32 0, v0
	s_cbranch_execz .LBB367_1337
; %bb.1330:                             ;   in Loop: Header=BB367_991 Depth=1
	v_bfrev_b32_e32 v100, 1
	s_mov_b32 s12, exec_lo
	v_cmpx_ne_u16_e32 0x80, v0
	s_cbranch_execz .LBB367_1336
; %bb.1331:                             ;   in Loop: Header=BB367_991 Depth=1
	v_and_b32_e32 v101, 0xffff, v0
	v_mov_b32_e32 v100, 0x7fc02000
	s_mov_b32 s13, exec_lo
	s_delay_alu instid0(VALU_DEP_2) | instskip(NEXT) | instid1(VALU_DEP_1)
	v_and_b32_e32 v13, 0x7f, v101
	v_cmpx_ne_u32_e32 0x7f, v13
	s_cbranch_execz .LBB367_1335
; %bb.1332:                             ;   in Loop: Header=BB367_991 Depth=1
	v_and_b32_e32 v0, 7, v101
	v_lshrrev_b32_e32 v100, 3, v13
	v_cmp_gt_u32_e64 s0, 8, v13
	s_delay_alu instid0(VALU_DEP_3) | instskip(NEXT) | instid1(VALU_DEP_2)
	v_dual_mov_b32 v14, v1 :: v_dual_mov_b32 v13, v0
	s_and_saveexec_b32 s15, s0
; %bb.1333:                             ;   in Loop: Header=BB367_991 Depth=1
	v_clz_i32_u32_e32 v13, v0
	s_delay_alu instid0(VALU_DEP_1) | instskip(NEXT) | instid1(VALU_DEP_1)
	v_min_u32_e32 v100, 32, v13
	v_subrev_nc_u32_e32 v13, 28, v100
	v_sub_nc_u32_e32 v100, 29, v100
	s_delay_alu instid0(VALU_DEP_2) | instskip(NEXT) | instid1(VALU_DEP_1)
	v_lshlrev_b64 v[13:14], v13, v[0:1]
	v_and_b32_e32 v13, 7, v13
; %bb.1334:                             ;   in Loop: Header=BB367_991 Depth=1
	s_or_b32 exec_lo, exec_lo, s15
	v_lshlrev_b32_e32 v0, 8, v101
	v_lshl_add_u32 v14, v100, 10, 0x2000
	s_delay_alu instid0(VALU_DEP_1) | instskip(NEXT) | instid1(VALU_DEP_1)
	v_and_or_b32 v0, 0x8000, v0, v14
	v_lshl_or_b32 v0, v13, 7, v0
	s_delay_alu instid0(VALU_DEP_1)
	v_cvt_f32_f16_e32 v100, v0
.LBB367_1335:                           ;   in Loop: Header=BB367_991 Depth=1
	s_or_b32 exec_lo, exec_lo, s13
.LBB367_1336:                           ;   in Loop: Header=BB367_991 Depth=1
	s_delay_alu instid0(SALU_CYCLE_1)
	s_or_b32 exec_lo, exec_lo, s12
.LBB367_1337:                           ;   in Loop: Header=BB367_991 Depth=1
	s_delay_alu instid0(SALU_CYCLE_1) | instskip(SKIP_3) | instid1(VALU_DEP_2)
	s_or_b32 exec_lo, exec_lo, s10
	v_lshrrev_b32_e32 v103, 16, v11
	v_mov_b32_e32 v102, 0
	s_mov_b32 s10, exec_lo
	v_dual_mov_b32 v101, 0 :: v_dual_and_b32 v0, 0xff, v103
	s_delay_alu instid0(VALU_DEP_1)
	v_cmpx_ne_u16_e32 0, v0
	s_cbranch_execz .LBB367_1345
; %bb.1338:                             ;   in Loop: Header=BB367_991 Depth=1
	v_bfrev_b32_e32 v101, 1
	s_mov_b32 s12, exec_lo
	v_cmpx_ne_u16_e32 0x80, v0
	s_cbranch_execz .LBB367_1344
; %bb.1339:                             ;   in Loop: Header=BB367_991 Depth=1
	v_bfe_u32 v13, v11, 16, 7
	v_mov_b32_e32 v101, 0x7fc02000
	s_mov_b32 s13, exec_lo
	s_delay_alu instid0(VALU_DEP_2)
	v_cmpx_ne_u32_e32 0x7f, v13
	s_cbranch_execz .LBB367_1343
; %bb.1340:                             ;   in Loop: Header=BB367_991 Depth=1
	v_and_b32_e32 v0, 7, v103
	v_lshrrev_b32_e32 v101, 3, v13
	v_cmp_gt_u32_e64 s0, 8, v13
	s_delay_alu instid0(VALU_DEP_3) | instskip(NEXT) | instid1(VALU_DEP_2)
	v_dual_mov_b32 v14, v1 :: v_dual_mov_b32 v13, v0
	s_and_saveexec_b32 s15, s0
; %bb.1341:                             ;   in Loop: Header=BB367_991 Depth=1
	v_clz_i32_u32_e32 v13, v0
	s_delay_alu instid0(VALU_DEP_1) | instskip(NEXT) | instid1(VALU_DEP_1)
	v_min_u32_e32 v101, 32, v13
	v_subrev_nc_u32_e32 v13, 28, v101
	v_sub_nc_u32_e32 v101, 29, v101
	s_delay_alu instid0(VALU_DEP_2) | instskip(NEXT) | instid1(VALU_DEP_1)
	v_lshlrev_b64 v[13:14], v13, v[0:1]
	v_and_b32_e32 v13, 7, v13
; %bb.1342:                             ;   in Loop: Header=BB367_991 Depth=1
	s_or_b32 exec_lo, exec_lo, s15
	v_lshlrev_b32_e32 v0, 8, v103
	v_lshl_add_u32 v14, v101, 10, 0x2000
	s_delay_alu instid0(VALU_DEP_1) | instskip(NEXT) | instid1(VALU_DEP_1)
	v_and_or_b32 v0, 0x8000, v0, v14
	v_lshl_or_b32 v0, v13, 7, v0
	s_delay_alu instid0(VALU_DEP_1)
	v_cvt_f32_f16_e32 v101, v0
.LBB367_1343:                           ;   in Loop: Header=BB367_991 Depth=1
	s_or_b32 exec_lo, exec_lo, s13
.LBB367_1344:                           ;   in Loop: Header=BB367_991 Depth=1
	s_delay_alu instid0(SALU_CYCLE_1)
	s_or_b32 exec_lo, exec_lo, s12
.LBB367_1345:                           ;   in Loop: Header=BB367_991 Depth=1
	s_delay_alu instid0(SALU_CYCLE_1) | instskip(NEXT) | instid1(SALU_CYCLE_1)
	s_or_b32 exec_lo, exec_lo, s10
	s_mov_b32 s10, exec_lo
	v_cmpx_lt_u32_e32 0xffffff, v11
	s_cbranch_execz .LBB367_1353
; %bb.1346:                             ;   in Loop: Header=BB367_991 Depth=1
	v_lshrrev_b32_e32 v103, 24, v11
	v_bfrev_b32_e32 v102, 1
	s_mov_b32 s12, exec_lo
	s_delay_alu instid0(VALU_DEP_2)
	v_cmpx_ne_u32_e32 0x80, v103
	s_cbranch_execz .LBB367_1352
; %bb.1347:                             ;   in Loop: Header=BB367_991 Depth=1
	v_and_b32_e32 v13, 0x7f, v103
	v_mov_b32_e32 v102, 0x7fc02000
	s_mov_b32 s13, exec_lo
	s_delay_alu instid0(VALU_DEP_2)
	v_cmpx_ne_u32_e32 0x7f, v13
	s_cbranch_execz .LBB367_1351
; %bb.1348:                             ;   in Loop: Header=BB367_991 Depth=1
	v_and_b32_e32 v0, 7, v103
	v_lshrrev_b32_e32 v102, 3, v13
	v_cmp_gt_u32_e64 s0, 8, v13
	s_delay_alu instid0(VALU_DEP_3) | instskip(NEXT) | instid1(VALU_DEP_2)
	v_dual_mov_b32 v14, v1 :: v_dual_mov_b32 v13, v0
	s_and_saveexec_b32 s15, s0
; %bb.1349:                             ;   in Loop: Header=BB367_991 Depth=1
	v_clz_i32_u32_e32 v13, v0
	s_delay_alu instid0(VALU_DEP_1) | instskip(NEXT) | instid1(VALU_DEP_1)
	v_min_u32_e32 v102, 32, v13
	v_subrev_nc_u32_e32 v13, 28, v102
	v_sub_nc_u32_e32 v102, 29, v102
	s_delay_alu instid0(VALU_DEP_2) | instskip(NEXT) | instid1(VALU_DEP_1)
	v_lshlrev_b64 v[13:14], v13, v[0:1]
	v_and_b32_e32 v13, 7, v13
; %bb.1350:                             ;   in Loop: Header=BB367_991 Depth=1
	s_or_b32 exec_lo, exec_lo, s15
	v_lshlrev_b32_e32 v0, 8, v103
	v_lshl_add_u32 v14, v102, 10, 0x2000
	s_delay_alu instid0(VALU_DEP_1) | instskip(NEXT) | instid1(VALU_DEP_1)
	v_and_or_b32 v0, 0x8000, v0, v14
	v_lshl_or_b32 v0, v13, 7, v0
	s_delay_alu instid0(VALU_DEP_1)
	v_cvt_f32_f16_e32 v102, v0
.LBB367_1351:                           ;   in Loop: Header=BB367_991 Depth=1
	s_or_b32 exec_lo, exec_lo, s13
.LBB367_1352:                           ;   in Loop: Header=BB367_991 Depth=1
	s_delay_alu instid0(SALU_CYCLE_1)
	s_or_b32 exec_lo, exec_lo, s12
.LBB367_1353:                           ;   in Loop: Header=BB367_991 Depth=1
	s_delay_alu instid0(SALU_CYCLE_1) | instskip(SKIP_3) | instid1(VALU_DEP_2)
	s_or_b32 exec_lo, exec_lo, s10
	v_dual_mov_b32 v0, v12 :: v_dual_and_b32 v13, 0xff, v12
	v_dual_mov_b32 v112, 0 :: v_dual_mov_b32 v103, 0
	s_mov_b32 s10, exec_lo
	v_cmpx_ne_u16_e32 0, v13
	s_cbranch_execz .LBB367_1361
; %bb.1354:                             ;   in Loop: Header=BB367_991 Depth=1
	v_bfrev_b32_e32 v103, 1
	s_mov_b32 s12, exec_lo
	v_cmpx_ne_u16_e32 0x80, v13
	s_cbranch_execz .LBB367_1360
; %bb.1355:                             ;   in Loop: Header=BB367_991 Depth=1
	v_and_b32_e32 v13, 0x7f, v12
	v_mov_b32_e32 v103, 0x7fc02000
	s_mov_b32 s13, exec_lo
	s_delay_alu instid0(VALU_DEP_2)
	v_cmpx_ne_u32_e32 0x7f, v13
	s_cbranch_execz .LBB367_1359
; %bb.1356:                             ;   in Loop: Header=BB367_991 Depth=1
	v_lshrrev_b32_e32 v103, 3, v13
	v_cmp_gt_u32_e64 s0, 8, v13
	v_dual_mov_b32 v14, v1 :: v_dual_mov_b32 v13, v0
	s_delay_alu instid0(VALU_DEP_2)
	s_and_saveexec_b32 s15, s0
; %bb.1357:                             ;   in Loop: Header=BB367_991 Depth=1
	v_and_b32_e32 v13, 7, v12
	s_delay_alu instid0(VALU_DEP_1) | instskip(NEXT) | instid1(VALU_DEP_1)
	v_clz_i32_u32_e32 v13, v13
	v_min_u32_e32 v103, 32, v13
	s_delay_alu instid0(VALU_DEP_1) | instskip(SKIP_1) | instid1(VALU_DEP_2)
	v_subrev_nc_u32_e32 v13, 28, v103
	v_sub_nc_u32_e32 v103, 29, v103
	v_lshlrev_b64 v[13:14], v13, v[0:1]
; %bb.1358:                             ;   in Loop: Header=BB367_991 Depth=1
	s_or_b32 exec_lo, exec_lo, s15
	v_lshlrev_b32_e32 v14, 8, v12
	s_delay_alu instid0(VALU_DEP_3) | instskip(NEXT) | instid1(VALU_DEP_3)
	v_lshl_add_u32 v103, v103, 10, 0x2000
	v_lshlrev_b32_e32 v13, 7, v13
	s_delay_alu instid0(VALU_DEP_2) | instskip(NEXT) | instid1(VALU_DEP_1)
	v_and_or_b32 v14, 0x8000, v14, v103
	v_and_or_b32 v13, 0x380, v13, v14
	s_delay_alu instid0(VALU_DEP_1)
	v_cvt_f32_f16_e32 v103, v13
.LBB367_1359:                           ;   in Loop: Header=BB367_991 Depth=1
	s_or_b32 exec_lo, exec_lo, s13
.LBB367_1360:                           ;   in Loop: Header=BB367_991 Depth=1
	s_delay_alu instid0(SALU_CYCLE_1)
	s_or_b32 exec_lo, exec_lo, s12
.LBB367_1361:                           ;   in Loop: Header=BB367_991 Depth=1
	s_delay_alu instid0(SALU_CYCLE_1) | instskip(SKIP_2) | instid1(VALU_DEP_1)
	s_or_b32 exec_lo, exec_lo, s10
	v_lshrrev_b16 v0, 8, v0
	s_mov_b32 s10, exec_lo
	v_cmpx_ne_u16_e32 0, v0
	s_cbranch_execz .LBB367_1369
; %bb.1362:                             ;   in Loop: Header=BB367_991 Depth=1
	v_bfrev_b32_e32 v112, 1
	s_mov_b32 s12, exec_lo
	v_cmpx_ne_u16_e32 0x80, v0
	s_cbranch_execz .LBB367_1368
; %bb.1363:                             ;   in Loop: Header=BB367_991 Depth=1
	v_and_b32_e32 v113, 0xffff, v0
	v_mov_b32_e32 v112, 0x7fc02000
	s_mov_b32 s13, exec_lo
	s_delay_alu instid0(VALU_DEP_2) | instskip(NEXT) | instid1(VALU_DEP_1)
	v_and_b32_e32 v13, 0x7f, v113
	v_cmpx_ne_u32_e32 0x7f, v13
	s_cbranch_execz .LBB367_1367
; %bb.1364:                             ;   in Loop: Header=BB367_991 Depth=1
	v_and_b32_e32 v0, 7, v113
	v_lshrrev_b32_e32 v112, 3, v13
	v_cmp_gt_u32_e64 s0, 8, v13
	s_delay_alu instid0(VALU_DEP_3) | instskip(NEXT) | instid1(VALU_DEP_2)
	v_dual_mov_b32 v14, v1 :: v_dual_mov_b32 v13, v0
	s_and_saveexec_b32 s15, s0
; %bb.1365:                             ;   in Loop: Header=BB367_991 Depth=1
	v_clz_i32_u32_e32 v13, v0
	s_delay_alu instid0(VALU_DEP_1) | instskip(NEXT) | instid1(VALU_DEP_1)
	v_min_u32_e32 v112, 32, v13
	v_subrev_nc_u32_e32 v13, 28, v112
	v_sub_nc_u32_e32 v112, 29, v112
	s_delay_alu instid0(VALU_DEP_2) | instskip(NEXT) | instid1(VALU_DEP_1)
	v_lshlrev_b64 v[13:14], v13, v[0:1]
	v_and_b32_e32 v13, 7, v13
; %bb.1366:                             ;   in Loop: Header=BB367_991 Depth=1
	s_or_b32 exec_lo, exec_lo, s15
	v_lshlrev_b32_e32 v0, 8, v113
	v_lshl_add_u32 v14, v112, 10, 0x2000
	s_delay_alu instid0(VALU_DEP_1) | instskip(NEXT) | instid1(VALU_DEP_1)
	v_and_or_b32 v0, 0x8000, v0, v14
	v_lshl_or_b32 v0, v13, 7, v0
	s_delay_alu instid0(VALU_DEP_1)
	v_cvt_f32_f16_e32 v112, v0
.LBB367_1367:                           ;   in Loop: Header=BB367_991 Depth=1
	s_or_b32 exec_lo, exec_lo, s13
.LBB367_1368:                           ;   in Loop: Header=BB367_991 Depth=1
	s_delay_alu instid0(SALU_CYCLE_1)
	s_or_b32 exec_lo, exec_lo, s12
.LBB367_1369:                           ;   in Loop: Header=BB367_991 Depth=1
	s_delay_alu instid0(SALU_CYCLE_1) | instskip(SKIP_3) | instid1(VALU_DEP_2)
	s_or_b32 exec_lo, exec_lo, s10
	v_lshrrev_b32_e32 v114, 16, v12
	v_mov_b32_e32 v13, 0
	s_mov_b32 s10, exec_lo
	v_dual_mov_b32 v113, 0 :: v_dual_and_b32 v0, 0xff, v114
	s_delay_alu instid0(VALU_DEP_1)
	v_cmpx_ne_u16_e32 0, v0
	s_cbranch_execz .LBB367_1377
; %bb.1370:                             ;   in Loop: Header=BB367_991 Depth=1
	v_bfrev_b32_e32 v13, 1
	s_mov_b32 s12, exec_lo
	v_cmpx_ne_u16_e32 0x80, v0
	s_cbranch_execz .LBB367_1376
; %bb.1371:                             ;   in Loop: Header=BB367_991 Depth=1
	v_bfe_u32 v14, v12, 16, 7
	v_mov_b32_e32 v13, 0x7fc02000
	s_mov_b32 s13, exec_lo
	s_delay_alu instid0(VALU_DEP_2)
	v_cmpx_ne_u32_e32 0x7f, v14
	s_cbranch_execz .LBB367_1375
; %bb.1372:                             ;   in Loop: Header=BB367_991 Depth=1
	v_and_b32_e32 v0, 7, v114
	v_lshrrev_b32_e32 v115, 3, v14
	v_cmp_gt_u32_e64 s0, 8, v14
	s_delay_alu instid0(VALU_DEP_3) | instskip(NEXT) | instid1(VALU_DEP_2)
	v_dual_mov_b32 v14, v1 :: v_dual_mov_b32 v13, v0
	s_and_saveexec_b32 s15, s0
; %bb.1373:                             ;   in Loop: Header=BB367_991 Depth=1
	v_clz_i32_u32_e32 v13, v0
	s_delay_alu instid0(VALU_DEP_1) | instskip(NEXT) | instid1(VALU_DEP_1)
	v_min_u32_e32 v115, 32, v13
	v_subrev_nc_u32_e32 v13, 28, v115
	v_sub_nc_u32_e32 v115, 29, v115
	s_delay_alu instid0(VALU_DEP_2) | instskip(NEXT) | instid1(VALU_DEP_1)
	v_lshlrev_b64 v[13:14], v13, v[0:1]
	v_and_b32_e32 v13, 7, v13
; %bb.1374:                             ;   in Loop: Header=BB367_991 Depth=1
	s_or_b32 exec_lo, exec_lo, s15
	v_lshlrev_b32_e32 v0, 8, v114
	v_lshl_add_u32 v14, v115, 10, 0x2000
	s_delay_alu instid0(VALU_DEP_1) | instskip(NEXT) | instid1(VALU_DEP_1)
	v_and_or_b32 v0, 0x8000, v0, v14
	v_lshl_or_b32 v0, v13, 7, v0
	s_delay_alu instid0(VALU_DEP_1)
	v_cvt_f32_f16_e32 v13, v0
.LBB367_1375:                           ;   in Loop: Header=BB367_991 Depth=1
	s_or_b32 exec_lo, exec_lo, s13
.LBB367_1376:                           ;   in Loop: Header=BB367_991 Depth=1
	s_delay_alu instid0(SALU_CYCLE_1)
	s_or_b32 exec_lo, exec_lo, s12
.LBB367_1377:                           ;   in Loop: Header=BB367_991 Depth=1
	s_delay_alu instid0(SALU_CYCLE_1) | instskip(NEXT) | instid1(SALU_CYCLE_1)
	s_or_b32 exec_lo, exec_lo, s10
	s_mov_b32 s10, exec_lo
	v_cmpx_lt_u64_e64 s[8:9], v[11:12]
	s_cbranch_execz .LBB367_1385
; %bb.1378:                             ;   in Loop: Header=BB367_991 Depth=1
	v_lshrrev_b32_e32 v14, 24, v12
	v_bfrev_b32_e32 v113, 1
	s_mov_b32 s12, exec_lo
	s_delay_alu instid0(VALU_DEP_2)
	v_cmpx_ne_u32_e32 0x80, v14
	s_cbranch_execz .LBB367_1384
; %bb.1379:                             ;   in Loop: Header=BB367_991 Depth=1
	v_and_b32_e32 v11, 0x7f, v14
	v_mov_b32_e32 v113, 0x7fc02000
	s_mov_b32 s13, exec_lo
	s_delay_alu instid0(VALU_DEP_2)
	v_cmpx_ne_u32_e32 0x7f, v11
	s_cbranch_execz .LBB367_1383
; %bb.1380:                             ;   in Loop: Header=BB367_991 Depth=1
	v_and_b32_e32 v0, 7, v14
	v_lshrrev_b32_e32 v113, 3, v11
	v_cmp_gt_u32_e64 s0, 8, v11
	s_delay_alu instid0(VALU_DEP_3) | instskip(NEXT) | instid1(VALU_DEP_2)
	v_dual_mov_b32 v12, v1 :: v_dual_mov_b32 v11, v0
	s_and_saveexec_b32 s15, s0
; %bb.1381:                             ;   in Loop: Header=BB367_991 Depth=1
	v_clz_i32_u32_e32 v11, v0
	s_delay_alu instid0(VALU_DEP_1) | instskip(NEXT) | instid1(VALU_DEP_1)
	v_min_u32_e32 v113, 32, v11
	v_subrev_nc_u32_e32 v11, 28, v113
	v_sub_nc_u32_e32 v113, 29, v113
	s_delay_alu instid0(VALU_DEP_2) | instskip(NEXT) | instid1(VALU_DEP_1)
	v_lshlrev_b64 v[11:12], v11, v[0:1]
	v_and_b32_e32 v11, 7, v11
; %bb.1382:                             ;   in Loop: Header=BB367_991 Depth=1
	s_or_b32 exec_lo, exec_lo, s15
	v_lshlrev_b32_e32 v0, 8, v14
	v_lshl_add_u32 v12, v113, 10, 0x2000
	s_delay_alu instid0(VALU_DEP_1) | instskip(NEXT) | instid1(VALU_DEP_1)
	v_and_or_b32 v0, 0x8000, v0, v12
	v_lshl_or_b32 v0, v11, 7, v0
	s_delay_alu instid0(VALU_DEP_1)
	v_cvt_f32_f16_e32 v113, v0
.LBB367_1383:                           ;   in Loop: Header=BB367_991 Depth=1
	s_or_b32 exec_lo, exec_lo, s13
.LBB367_1384:                           ;   in Loop: Header=BB367_991 Depth=1
	s_delay_alu instid0(SALU_CYCLE_1)
	s_or_b32 exec_lo, exec_lo, s12
.LBB367_1385:                           ;   in Loop: Header=BB367_991 Depth=1
	s_delay_alu instid0(SALU_CYCLE_1)
	s_or_b32 exec_lo, exec_lo, s10
	s_waitcnt vmcnt(0) lgkmcnt(0)
	v_fma_mixlo_f16 v12, v98, v100, 0
	v_fma_mixlo_f16 v0, v98, v102, 0
	v_fma_mixlo_f16 v11, v98, v101, 0
	v_fma_mixlo_f16 v99, v98, v99, 0
	v_fma_mixlo_f16 v100, v98, v112, 0
	v_lshlrev_b32_e32 v14, 16, v12
	v_fma_mixlo_f16 v101, v98, v103, 0
	v_fma_mixlo_f16 v102, v98, v113, 0
	;; [unrolled: 1-line block ×3, first 2 shown]
	v_lshlrev_b32_e32 v0, 16, v0
	v_and_b32_e32 v11, 0xffff, v11
	v_and_b32_e32 v98, 0xffff, v99
	v_lshlrev_b32_e32 v99, 16, v100
	v_and_b32_e32 v100, 0xffff, v101
	v_lshlrev_b32_e32 v101, 16, v102
	v_and_b32_e32 v102, 0xffff, v12
	v_or_b32_e32 v13, v0, v11
	v_or_b32_e32 v14, v14, v98
	;; [unrolled: 1-line block ×3, first 2 shown]
	s_delay_alu instid0(VALU_DEP_4)
	v_or_b32_e32 v11, v101, v102
	s_and_saveexec_b32 s10, vcc_lo
	s_cbranch_execz .LBB367_1387
; %bb.1386:                             ;   in Loop: Header=BB367_991 Depth=1
	v_cmp_lt_i32_e64 s0, v15, v36
	v_lshrrev_b32_e32 v98, 16, v14
	v_lshrrev_b32_e32 v99, 16, v13
	;; [unrolled: 1-line block ×4, first 2 shown]
	v_cndmask_b32_e64 v14, 0, v14, s0
	v_cmp_lt_i32_e64 s0, v81, v48
	s_delay_alu instid0(VALU_DEP_1) | instskip(SKIP_1) | instid1(VALU_DEP_2)
	v_cndmask_b32_e64 v98, 0, v98, s0
	v_cmp_lt_i32_e64 s0, v80, v48
	v_perm_b32 v14, v98, v14, 0x5040100
	s_delay_alu instid0(VALU_DEP_2) | instskip(SKIP_1) | instid1(VALU_DEP_1)
	v_cndmask_b32_e64 v99, 0, v99, s0
	v_cmp_lt_i32_e64 s0, v65, v36
	v_cndmask_b32_e64 v13, 0, v13, s0
	v_cmp_lt_i32_e64 s0, v64, v48
	s_delay_alu instid0(VALU_DEP_2) | instskip(NEXT) | instid1(VALU_DEP_2)
	v_perm_b32 v13, v99, v13, 0x5040100
	v_cndmask_b32_e64 v100, 0, v100, s0
	v_cmp_lt_i32_e64 s0, v55, v36
	s_delay_alu instid0(VALU_DEP_1) | instskip(SKIP_1) | instid1(VALU_DEP_2)
	v_cndmask_b32_e64 v0, 0, v0, s0
	v_cmp_lt_i32_e64 s0, v38, v48
	v_perm_b32 v0, v100, v0, 0x5040100
	s_delay_alu instid0(VALU_DEP_2) | instskip(SKIP_1) | instid1(VALU_DEP_1)
	v_cndmask_b32_e64 v11, 0, v11, s0
	v_cmp_lt_i32_e64 s0, v17, v36
	v_cndmask_b32_e64 v12, 0, v12, s0
	s_delay_alu instid0(VALU_DEP_1)
	v_perm_b32 v11, v11, v12, 0x5040100
.LBB367_1387:                           ;   in Loop: Header=BB367_991 Depth=1
	s_or_b32 exec_lo, exec_lo, s10
	;;#ASMSTART
	v_pk_mul_f16 v12, v71, v14;

	;;#ASMEND
	;;#ASMSTART
	v_pk_mul_f16 v13, v69, v13;

	;;#ASMEND
	;; [unrolled: 4-line block ×4, first 2 shown]
	;;#ASMSTART
	v_pk_add_f16 v12, v12, v13;

	;;#ASMEND
	;;#ASMSTART
	v_pk_add_f16 v0, v12, v0;

	;;#ASMEND
	;; [unrolled: 4-line block ×3, first 2 shown]
	v_dual_mov_b32 v102, 0 :: v_dual_and_b32 v11, 0xffff, v0
	v_lshrrev_b32_e32 v0, 16, v0
	;;#ASMSTART
	v_cvt_f32_f16 v98, v11;
	;;#ASMEND
	;;#ASMSTART
	v_cvt_f32_f16 v99, v0;
	;;#ASMEND
	flat_load_b64 v[11:12], v[9:10] offset:1536
	flat_load_b32 v100, v[26:27]
	s_mov_b32 s10, exec_lo
	s_waitcnt vmcnt(1) lgkmcnt(1)
	v_dual_mov_b32 v101, 0 :: v_dual_and_b32 v0, 0xff, v11
	s_delay_alu instid0(VALU_DEP_1)
	v_cmpx_ne_u16_e32 0, v0
	s_cbranch_execz .LBB367_1395
; %bb.1388:                             ;   in Loop: Header=BB367_991 Depth=1
	v_bfrev_b32_e32 v101, 1
	s_mov_b32 s12, exec_lo
	v_cmpx_ne_u16_e32 0x80, v0
	s_cbranch_execz .LBB367_1394
; %bb.1389:                             ;   in Loop: Header=BB367_991 Depth=1
	v_and_b32_e32 v13, 0x7f, v11
	v_mov_b32_e32 v101, 0x7fc02000
	s_mov_b32 s13, exec_lo
	s_delay_alu instid0(VALU_DEP_2)
	v_cmpx_ne_u32_e32 0x7f, v13
	s_cbranch_execz .LBB367_1393
; %bb.1390:                             ;   in Loop: Header=BB367_991 Depth=1
	v_lshrrev_b32_e32 v0, 3, v13
	v_cmp_gt_u32_e64 s0, 8, v13
	v_dual_mov_b32 v14, v12 :: v_dual_mov_b32 v13, v11
	s_delay_alu instid0(VALU_DEP_2)
	s_and_saveexec_b32 s15, s0
; %bb.1391:                             ;   in Loop: Header=BB367_991 Depth=1
	v_and_b32_e32 v0, 7, v11
	s_delay_alu instid0(VALU_DEP_1) | instskip(NEXT) | instid1(VALU_DEP_1)
	v_clz_i32_u32_e32 v0, v0
	v_min_u32_e32 v0, 32, v0
	s_delay_alu instid0(VALU_DEP_1) | instskip(SKIP_1) | instid1(VALU_DEP_2)
	v_subrev_nc_u32_e32 v13, 28, v0
	v_sub_nc_u32_e32 v0, 29, v0
	v_lshlrev_b64 v[13:14], v13, v[11:12]
; %bb.1392:                             ;   in Loop: Header=BB367_991 Depth=1
	s_or_b32 exec_lo, exec_lo, s15
	v_lshlrev_b32_e32 v14, 8, v11
	s_delay_alu instid0(VALU_DEP_3) | instskip(NEXT) | instid1(VALU_DEP_3)
	v_lshl_add_u32 v0, v0, 10, 0x2000
	v_lshlrev_b32_e32 v13, 7, v13
	s_delay_alu instid0(VALU_DEP_2) | instskip(NEXT) | instid1(VALU_DEP_1)
	v_and_or_b32 v0, 0x8000, v14, v0
	v_and_or_b32 v0, 0x380, v13, v0
	s_delay_alu instid0(VALU_DEP_1)
	v_cvt_f32_f16_e32 v101, v0
.LBB367_1393:                           ;   in Loop: Header=BB367_991 Depth=1
	s_or_b32 exec_lo, exec_lo, s13
.LBB367_1394:                           ;   in Loop: Header=BB367_991 Depth=1
	s_delay_alu instid0(SALU_CYCLE_1)
	s_or_b32 exec_lo, exec_lo, s12
.LBB367_1395:                           ;   in Loop: Header=BB367_991 Depth=1
	s_delay_alu instid0(SALU_CYCLE_1) | instskip(SKIP_2) | instid1(VALU_DEP_1)
	s_or_b32 exec_lo, exec_lo, s10
	v_lshrrev_b16 v0, 8, v11
	s_mov_b32 s10, exec_lo
	v_cmpx_ne_u16_e32 0, v0
	s_cbranch_execz .LBB367_1403
; %bb.1396:                             ;   in Loop: Header=BB367_991 Depth=1
	v_bfrev_b32_e32 v102, 1
	s_mov_b32 s12, exec_lo
	v_cmpx_ne_u16_e32 0x80, v0
	s_cbranch_execz .LBB367_1402
; %bb.1397:                             ;   in Loop: Header=BB367_991 Depth=1
	v_and_b32_e32 v103, 0xffff, v0
	v_mov_b32_e32 v102, 0x7fc02000
	s_mov_b32 s13, exec_lo
	s_delay_alu instid0(VALU_DEP_2) | instskip(NEXT) | instid1(VALU_DEP_1)
	v_and_b32_e32 v13, 0x7f, v103
	v_cmpx_ne_u32_e32 0x7f, v13
	s_cbranch_execz .LBB367_1401
; %bb.1398:                             ;   in Loop: Header=BB367_991 Depth=1
	v_and_b32_e32 v0, 7, v103
	v_lshrrev_b32_e32 v102, 3, v13
	v_cmp_gt_u32_e64 s0, 8, v13
	s_delay_alu instid0(VALU_DEP_3) | instskip(NEXT) | instid1(VALU_DEP_2)
	v_dual_mov_b32 v14, v1 :: v_dual_mov_b32 v13, v0
	s_and_saveexec_b32 s15, s0
; %bb.1399:                             ;   in Loop: Header=BB367_991 Depth=1
	v_clz_i32_u32_e32 v13, v0
	s_delay_alu instid0(VALU_DEP_1) | instskip(NEXT) | instid1(VALU_DEP_1)
	v_min_u32_e32 v102, 32, v13
	v_subrev_nc_u32_e32 v13, 28, v102
	v_sub_nc_u32_e32 v102, 29, v102
	s_delay_alu instid0(VALU_DEP_2) | instskip(NEXT) | instid1(VALU_DEP_1)
	v_lshlrev_b64 v[13:14], v13, v[0:1]
	v_and_b32_e32 v13, 7, v13
; %bb.1400:                             ;   in Loop: Header=BB367_991 Depth=1
	s_or_b32 exec_lo, exec_lo, s15
	v_lshlrev_b32_e32 v0, 8, v103
	v_lshl_add_u32 v14, v102, 10, 0x2000
	s_delay_alu instid0(VALU_DEP_1) | instskip(NEXT) | instid1(VALU_DEP_1)
	v_and_or_b32 v0, 0x8000, v0, v14
	v_lshl_or_b32 v0, v13, 7, v0
	s_delay_alu instid0(VALU_DEP_1)
	v_cvt_f32_f16_e32 v102, v0
.LBB367_1401:                           ;   in Loop: Header=BB367_991 Depth=1
	s_or_b32 exec_lo, exec_lo, s13
.LBB367_1402:                           ;   in Loop: Header=BB367_991 Depth=1
	s_delay_alu instid0(SALU_CYCLE_1)
	s_or_b32 exec_lo, exec_lo, s12
.LBB367_1403:                           ;   in Loop: Header=BB367_991 Depth=1
	s_delay_alu instid0(SALU_CYCLE_1) | instskip(SKIP_3) | instid1(VALU_DEP_2)
	s_or_b32 exec_lo, exec_lo, s10
	v_lshrrev_b32_e32 v113, 16, v11
	v_mov_b32_e32 v112, 0
	s_mov_b32 s10, exec_lo
	v_dual_mov_b32 v103, 0 :: v_dual_and_b32 v0, 0xff, v113
	s_delay_alu instid0(VALU_DEP_1)
	v_cmpx_ne_u16_e32 0, v0
	s_cbranch_execz .LBB367_1411
; %bb.1404:                             ;   in Loop: Header=BB367_991 Depth=1
	v_bfrev_b32_e32 v103, 1
	s_mov_b32 s12, exec_lo
	v_cmpx_ne_u16_e32 0x80, v0
	s_cbranch_execz .LBB367_1410
; %bb.1405:                             ;   in Loop: Header=BB367_991 Depth=1
	v_bfe_u32 v13, v11, 16, 7
	v_mov_b32_e32 v103, 0x7fc02000
	s_mov_b32 s13, exec_lo
	s_delay_alu instid0(VALU_DEP_2)
	v_cmpx_ne_u32_e32 0x7f, v13
	s_cbranch_execz .LBB367_1409
; %bb.1406:                             ;   in Loop: Header=BB367_991 Depth=1
	v_and_b32_e32 v0, 7, v113
	v_lshrrev_b32_e32 v103, 3, v13
	v_cmp_gt_u32_e64 s0, 8, v13
	s_delay_alu instid0(VALU_DEP_3) | instskip(NEXT) | instid1(VALU_DEP_2)
	v_dual_mov_b32 v14, v1 :: v_dual_mov_b32 v13, v0
	s_and_saveexec_b32 s15, s0
; %bb.1407:                             ;   in Loop: Header=BB367_991 Depth=1
	v_clz_i32_u32_e32 v13, v0
	s_delay_alu instid0(VALU_DEP_1) | instskip(NEXT) | instid1(VALU_DEP_1)
	v_min_u32_e32 v103, 32, v13
	v_subrev_nc_u32_e32 v13, 28, v103
	v_sub_nc_u32_e32 v103, 29, v103
	s_delay_alu instid0(VALU_DEP_2) | instskip(NEXT) | instid1(VALU_DEP_1)
	v_lshlrev_b64 v[13:14], v13, v[0:1]
	v_and_b32_e32 v13, 7, v13
; %bb.1408:                             ;   in Loop: Header=BB367_991 Depth=1
	s_or_b32 exec_lo, exec_lo, s15
	v_lshlrev_b32_e32 v0, 8, v113
	v_lshl_add_u32 v14, v103, 10, 0x2000
	s_delay_alu instid0(VALU_DEP_1) | instskip(NEXT) | instid1(VALU_DEP_1)
	v_and_or_b32 v0, 0x8000, v0, v14
	v_lshl_or_b32 v0, v13, 7, v0
	s_delay_alu instid0(VALU_DEP_1)
	v_cvt_f32_f16_e32 v103, v0
.LBB367_1409:                           ;   in Loop: Header=BB367_991 Depth=1
	s_or_b32 exec_lo, exec_lo, s13
.LBB367_1410:                           ;   in Loop: Header=BB367_991 Depth=1
	s_delay_alu instid0(SALU_CYCLE_1)
	s_or_b32 exec_lo, exec_lo, s12
.LBB367_1411:                           ;   in Loop: Header=BB367_991 Depth=1
	s_delay_alu instid0(SALU_CYCLE_1) | instskip(NEXT) | instid1(SALU_CYCLE_1)
	s_or_b32 exec_lo, exec_lo, s10
	s_mov_b32 s10, exec_lo
	v_cmpx_lt_u32_e32 0xffffff, v11
	s_cbranch_execz .LBB367_1419
; %bb.1412:                             ;   in Loop: Header=BB367_991 Depth=1
	v_lshrrev_b32_e32 v113, 24, v11
	v_bfrev_b32_e32 v112, 1
	s_mov_b32 s12, exec_lo
	s_delay_alu instid0(VALU_DEP_2)
	v_cmpx_ne_u32_e32 0x80, v113
	s_cbranch_execz .LBB367_1418
; %bb.1413:                             ;   in Loop: Header=BB367_991 Depth=1
	v_and_b32_e32 v13, 0x7f, v113
	v_mov_b32_e32 v112, 0x7fc02000
	s_mov_b32 s13, exec_lo
	s_delay_alu instid0(VALU_DEP_2)
	v_cmpx_ne_u32_e32 0x7f, v13
	s_cbranch_execz .LBB367_1417
; %bb.1414:                             ;   in Loop: Header=BB367_991 Depth=1
	v_and_b32_e32 v0, 7, v113
	v_lshrrev_b32_e32 v112, 3, v13
	v_cmp_gt_u32_e64 s0, 8, v13
	s_delay_alu instid0(VALU_DEP_3) | instskip(NEXT) | instid1(VALU_DEP_2)
	v_dual_mov_b32 v14, v1 :: v_dual_mov_b32 v13, v0
	s_and_saveexec_b32 s15, s0
; %bb.1415:                             ;   in Loop: Header=BB367_991 Depth=1
	v_clz_i32_u32_e32 v13, v0
	s_delay_alu instid0(VALU_DEP_1) | instskip(NEXT) | instid1(VALU_DEP_1)
	v_min_u32_e32 v112, 32, v13
	v_subrev_nc_u32_e32 v13, 28, v112
	v_sub_nc_u32_e32 v112, 29, v112
	s_delay_alu instid0(VALU_DEP_2) | instskip(NEXT) | instid1(VALU_DEP_1)
	v_lshlrev_b64 v[13:14], v13, v[0:1]
	v_and_b32_e32 v13, 7, v13
; %bb.1416:                             ;   in Loop: Header=BB367_991 Depth=1
	s_or_b32 exec_lo, exec_lo, s15
	v_lshlrev_b32_e32 v0, 8, v113
	v_lshl_add_u32 v14, v112, 10, 0x2000
	s_delay_alu instid0(VALU_DEP_1) | instskip(NEXT) | instid1(VALU_DEP_1)
	v_and_or_b32 v0, 0x8000, v0, v14
	v_lshl_or_b32 v0, v13, 7, v0
	s_delay_alu instid0(VALU_DEP_1)
	v_cvt_f32_f16_e32 v112, v0
.LBB367_1417:                           ;   in Loop: Header=BB367_991 Depth=1
	s_or_b32 exec_lo, exec_lo, s13
.LBB367_1418:                           ;   in Loop: Header=BB367_991 Depth=1
	s_delay_alu instid0(SALU_CYCLE_1)
	s_or_b32 exec_lo, exec_lo, s12
.LBB367_1419:                           ;   in Loop: Header=BB367_991 Depth=1
	s_delay_alu instid0(SALU_CYCLE_1) | instskip(SKIP_3) | instid1(VALU_DEP_2)
	s_or_b32 exec_lo, exec_lo, s10
	v_dual_mov_b32 v0, v12 :: v_dual_and_b32 v13, 0xff, v12
	v_dual_mov_b32 v114, 0 :: v_dual_mov_b32 v113, 0
	s_mov_b32 s10, exec_lo
	v_cmpx_ne_u16_e32 0, v13
	s_cbranch_execz .LBB367_1427
; %bb.1420:                             ;   in Loop: Header=BB367_991 Depth=1
	v_bfrev_b32_e32 v113, 1
	s_mov_b32 s12, exec_lo
	v_cmpx_ne_u16_e32 0x80, v13
	s_cbranch_execz .LBB367_1426
; %bb.1421:                             ;   in Loop: Header=BB367_991 Depth=1
	v_and_b32_e32 v13, 0x7f, v12
	v_mov_b32_e32 v113, 0x7fc02000
	s_mov_b32 s13, exec_lo
	s_delay_alu instid0(VALU_DEP_2)
	v_cmpx_ne_u32_e32 0x7f, v13
	s_cbranch_execz .LBB367_1425
; %bb.1422:                             ;   in Loop: Header=BB367_991 Depth=1
	v_lshrrev_b32_e32 v113, 3, v13
	v_cmp_gt_u32_e64 s0, 8, v13
	v_dual_mov_b32 v14, v1 :: v_dual_mov_b32 v13, v0
	s_delay_alu instid0(VALU_DEP_2)
	s_and_saveexec_b32 s15, s0
; %bb.1423:                             ;   in Loop: Header=BB367_991 Depth=1
	v_and_b32_e32 v13, 7, v12
	s_delay_alu instid0(VALU_DEP_1) | instskip(NEXT) | instid1(VALU_DEP_1)
	v_clz_i32_u32_e32 v13, v13
	v_min_u32_e32 v113, 32, v13
	s_delay_alu instid0(VALU_DEP_1) | instskip(SKIP_1) | instid1(VALU_DEP_2)
	v_subrev_nc_u32_e32 v13, 28, v113
	v_sub_nc_u32_e32 v113, 29, v113
	v_lshlrev_b64 v[13:14], v13, v[0:1]
; %bb.1424:                             ;   in Loop: Header=BB367_991 Depth=1
	s_or_b32 exec_lo, exec_lo, s15
	v_lshlrev_b32_e32 v14, 8, v12
	s_delay_alu instid0(VALU_DEP_3) | instskip(NEXT) | instid1(VALU_DEP_3)
	v_lshl_add_u32 v113, v113, 10, 0x2000
	v_lshlrev_b32_e32 v13, 7, v13
	s_delay_alu instid0(VALU_DEP_2) | instskip(NEXT) | instid1(VALU_DEP_1)
	v_and_or_b32 v14, 0x8000, v14, v113
	v_and_or_b32 v13, 0x380, v13, v14
	s_delay_alu instid0(VALU_DEP_1)
	v_cvt_f32_f16_e32 v113, v13
.LBB367_1425:                           ;   in Loop: Header=BB367_991 Depth=1
	s_or_b32 exec_lo, exec_lo, s13
.LBB367_1426:                           ;   in Loop: Header=BB367_991 Depth=1
	s_delay_alu instid0(SALU_CYCLE_1)
	s_or_b32 exec_lo, exec_lo, s12
.LBB367_1427:                           ;   in Loop: Header=BB367_991 Depth=1
	s_delay_alu instid0(SALU_CYCLE_1) | instskip(SKIP_2) | instid1(VALU_DEP_1)
	s_or_b32 exec_lo, exec_lo, s10
	v_lshrrev_b16 v0, 8, v0
	s_mov_b32 s10, exec_lo
	v_cmpx_ne_u16_e32 0, v0
	s_cbranch_execz .LBB367_1435
; %bb.1428:                             ;   in Loop: Header=BB367_991 Depth=1
	v_bfrev_b32_e32 v114, 1
	s_mov_b32 s12, exec_lo
	v_cmpx_ne_u16_e32 0x80, v0
	s_cbranch_execz .LBB367_1434
; %bb.1429:                             ;   in Loop: Header=BB367_991 Depth=1
	v_and_b32_e32 v115, 0xffff, v0
	v_mov_b32_e32 v114, 0x7fc02000
	s_mov_b32 s13, exec_lo
	s_delay_alu instid0(VALU_DEP_2) | instskip(NEXT) | instid1(VALU_DEP_1)
	v_and_b32_e32 v13, 0x7f, v115
	v_cmpx_ne_u32_e32 0x7f, v13
	s_cbranch_execz .LBB367_1433
; %bb.1430:                             ;   in Loop: Header=BB367_991 Depth=1
	v_and_b32_e32 v0, 7, v115
	v_lshrrev_b32_e32 v114, 3, v13
	v_cmp_gt_u32_e64 s0, 8, v13
	s_delay_alu instid0(VALU_DEP_3) | instskip(NEXT) | instid1(VALU_DEP_2)
	v_dual_mov_b32 v14, v1 :: v_dual_mov_b32 v13, v0
	s_and_saveexec_b32 s15, s0
; %bb.1431:                             ;   in Loop: Header=BB367_991 Depth=1
	v_clz_i32_u32_e32 v13, v0
	s_delay_alu instid0(VALU_DEP_1) | instskip(NEXT) | instid1(VALU_DEP_1)
	v_min_u32_e32 v114, 32, v13
	v_subrev_nc_u32_e32 v13, 28, v114
	v_sub_nc_u32_e32 v114, 29, v114
	s_delay_alu instid0(VALU_DEP_2) | instskip(NEXT) | instid1(VALU_DEP_1)
	v_lshlrev_b64 v[13:14], v13, v[0:1]
	v_and_b32_e32 v13, 7, v13
; %bb.1432:                             ;   in Loop: Header=BB367_991 Depth=1
	s_or_b32 exec_lo, exec_lo, s15
	v_lshlrev_b32_e32 v0, 8, v115
	v_lshl_add_u32 v14, v114, 10, 0x2000
	s_delay_alu instid0(VALU_DEP_1) | instskip(NEXT) | instid1(VALU_DEP_1)
	v_and_or_b32 v0, 0x8000, v0, v14
	v_lshl_or_b32 v0, v13, 7, v0
	s_delay_alu instid0(VALU_DEP_1)
	v_cvt_f32_f16_e32 v114, v0
.LBB367_1433:                           ;   in Loop: Header=BB367_991 Depth=1
	s_or_b32 exec_lo, exec_lo, s13
.LBB367_1434:                           ;   in Loop: Header=BB367_991 Depth=1
	s_delay_alu instid0(SALU_CYCLE_1)
	s_or_b32 exec_lo, exec_lo, s12
.LBB367_1435:                           ;   in Loop: Header=BB367_991 Depth=1
	s_delay_alu instid0(SALU_CYCLE_1) | instskip(SKIP_3) | instid1(VALU_DEP_2)
	s_or_b32 exec_lo, exec_lo, s10
	v_lshrrev_b32_e32 v116, 16, v12
	v_mov_b32_e32 v13, 0
	s_mov_b32 s10, exec_lo
	v_dual_mov_b32 v115, 0 :: v_dual_and_b32 v0, 0xff, v116
	s_delay_alu instid0(VALU_DEP_1)
	v_cmpx_ne_u16_e32 0, v0
	s_cbranch_execz .LBB367_1443
; %bb.1436:                             ;   in Loop: Header=BB367_991 Depth=1
	v_bfrev_b32_e32 v13, 1
	s_mov_b32 s12, exec_lo
	v_cmpx_ne_u16_e32 0x80, v0
	s_cbranch_execz .LBB367_1442
; %bb.1437:                             ;   in Loop: Header=BB367_991 Depth=1
	v_bfe_u32 v14, v12, 16, 7
	v_mov_b32_e32 v13, 0x7fc02000
	s_mov_b32 s13, exec_lo
	s_delay_alu instid0(VALU_DEP_2)
	v_cmpx_ne_u32_e32 0x7f, v14
	s_cbranch_execz .LBB367_1441
; %bb.1438:                             ;   in Loop: Header=BB367_991 Depth=1
	v_and_b32_e32 v0, 7, v116
	v_lshrrev_b32_e32 v117, 3, v14
	v_cmp_gt_u32_e64 s0, 8, v14
	s_delay_alu instid0(VALU_DEP_3) | instskip(NEXT) | instid1(VALU_DEP_2)
	v_dual_mov_b32 v14, v1 :: v_dual_mov_b32 v13, v0
	s_and_saveexec_b32 s15, s0
; %bb.1439:                             ;   in Loop: Header=BB367_991 Depth=1
	v_clz_i32_u32_e32 v13, v0
	s_delay_alu instid0(VALU_DEP_1) | instskip(NEXT) | instid1(VALU_DEP_1)
	v_min_u32_e32 v117, 32, v13
	v_subrev_nc_u32_e32 v13, 28, v117
	v_sub_nc_u32_e32 v117, 29, v117
	s_delay_alu instid0(VALU_DEP_2) | instskip(NEXT) | instid1(VALU_DEP_1)
	v_lshlrev_b64 v[13:14], v13, v[0:1]
	v_and_b32_e32 v13, 7, v13
; %bb.1440:                             ;   in Loop: Header=BB367_991 Depth=1
	s_or_b32 exec_lo, exec_lo, s15
	v_lshlrev_b32_e32 v0, 8, v116
	v_lshl_add_u32 v14, v117, 10, 0x2000
	s_delay_alu instid0(VALU_DEP_1) | instskip(NEXT) | instid1(VALU_DEP_1)
	v_and_or_b32 v0, 0x8000, v0, v14
	v_lshl_or_b32 v0, v13, 7, v0
	s_delay_alu instid0(VALU_DEP_1)
	v_cvt_f32_f16_e32 v13, v0
.LBB367_1441:                           ;   in Loop: Header=BB367_991 Depth=1
	s_or_b32 exec_lo, exec_lo, s13
.LBB367_1442:                           ;   in Loop: Header=BB367_991 Depth=1
	s_delay_alu instid0(SALU_CYCLE_1)
	s_or_b32 exec_lo, exec_lo, s12
.LBB367_1443:                           ;   in Loop: Header=BB367_991 Depth=1
	s_delay_alu instid0(SALU_CYCLE_1) | instskip(NEXT) | instid1(SALU_CYCLE_1)
	s_or_b32 exec_lo, exec_lo, s10
	s_mov_b32 s10, exec_lo
	v_cmpx_lt_u64_e64 s[8:9], v[11:12]
	s_cbranch_execz .LBB367_1451
; %bb.1444:                             ;   in Loop: Header=BB367_991 Depth=1
	v_lshrrev_b32_e32 v14, 24, v12
	v_bfrev_b32_e32 v115, 1
	s_mov_b32 s12, exec_lo
	s_delay_alu instid0(VALU_DEP_2)
	v_cmpx_ne_u32_e32 0x80, v14
	s_cbranch_execz .LBB367_1450
; %bb.1445:                             ;   in Loop: Header=BB367_991 Depth=1
	v_and_b32_e32 v11, 0x7f, v14
	v_mov_b32_e32 v115, 0x7fc02000
	s_mov_b32 s13, exec_lo
	s_delay_alu instid0(VALU_DEP_2)
	v_cmpx_ne_u32_e32 0x7f, v11
	s_cbranch_execz .LBB367_1449
; %bb.1446:                             ;   in Loop: Header=BB367_991 Depth=1
	v_and_b32_e32 v0, 7, v14
	v_lshrrev_b32_e32 v115, 3, v11
	v_cmp_gt_u32_e64 s0, 8, v11
	s_delay_alu instid0(VALU_DEP_3) | instskip(NEXT) | instid1(VALU_DEP_2)
	v_dual_mov_b32 v12, v1 :: v_dual_mov_b32 v11, v0
	s_and_saveexec_b32 s15, s0
; %bb.1447:                             ;   in Loop: Header=BB367_991 Depth=1
	v_clz_i32_u32_e32 v11, v0
	s_delay_alu instid0(VALU_DEP_1) | instskip(NEXT) | instid1(VALU_DEP_1)
	v_min_u32_e32 v115, 32, v11
	v_subrev_nc_u32_e32 v11, 28, v115
	v_sub_nc_u32_e32 v115, 29, v115
	s_delay_alu instid0(VALU_DEP_2) | instskip(NEXT) | instid1(VALU_DEP_1)
	v_lshlrev_b64 v[11:12], v11, v[0:1]
	v_and_b32_e32 v11, 7, v11
; %bb.1448:                             ;   in Loop: Header=BB367_991 Depth=1
	s_or_b32 exec_lo, exec_lo, s15
	v_lshlrev_b32_e32 v0, 8, v14
	v_lshl_add_u32 v12, v115, 10, 0x2000
	s_delay_alu instid0(VALU_DEP_1) | instskip(NEXT) | instid1(VALU_DEP_1)
	v_and_or_b32 v0, 0x8000, v0, v12
	v_lshl_or_b32 v0, v11, 7, v0
	s_delay_alu instid0(VALU_DEP_1)
	v_cvt_f32_f16_e32 v115, v0
.LBB367_1449:                           ;   in Loop: Header=BB367_991 Depth=1
	s_or_b32 exec_lo, exec_lo, s13
.LBB367_1450:                           ;   in Loop: Header=BB367_991 Depth=1
	s_delay_alu instid0(SALU_CYCLE_1)
	s_or_b32 exec_lo, exec_lo, s12
.LBB367_1451:                           ;   in Loop: Header=BB367_991 Depth=1
	s_delay_alu instid0(SALU_CYCLE_1)
	s_or_b32 exec_lo, exec_lo, s10
	s_waitcnt vmcnt(0) lgkmcnt(0)
	v_fma_mixlo_f16 v12, v100, v102, 0
	v_fma_mixlo_f16 v0, v100, v112, 0
	;; [unrolled: 1-line block ×5, first 2 shown]
	v_lshlrev_b32_e32 v14, 16, v12
	v_fma_mixlo_f16 v103, v100, v113, 0
	v_fma_mixlo_f16 v112, v100, v115, 0
	;; [unrolled: 1-line block ×3, first 2 shown]
	v_lshlrev_b32_e32 v0, 16, v0
	v_and_b32_e32 v11, 0xffff, v11
	v_and_b32_e32 v100, 0xffff, v101
	v_lshlrev_b32_e32 v101, 16, v102
	v_and_b32_e32 v102, 0xffff, v103
	v_lshlrev_b32_e32 v103, 16, v112
	v_and_b32_e32 v112, 0xffff, v12
	v_or_b32_e32 v13, v0, v11
	v_or_b32_e32 v14, v14, v100
	;; [unrolled: 1-line block ×3, first 2 shown]
	s_delay_alu instid0(VALU_DEP_4)
	v_or_b32_e32 v11, v103, v112
	s_and_saveexec_b32 s10, vcc_lo
	s_cbranch_execz .LBB367_1453
; %bb.1452:                             ;   in Loop: Header=BB367_991 Depth=1
	v_cmp_lt_i32_e64 s0, v15, v36
	v_lshrrev_b32_e32 v100, 16, v14
	v_lshrrev_b32_e32 v101, 16, v13
	;; [unrolled: 1-line block ×4, first 2 shown]
	v_cndmask_b32_e64 v14, 0, v14, s0
	v_cmp_lt_i32_e64 s0, v81, v48
	s_delay_alu instid0(VALU_DEP_1) | instskip(SKIP_1) | instid1(VALU_DEP_2)
	v_cndmask_b32_e64 v100, 0, v100, s0
	v_cmp_lt_i32_e64 s0, v80, v48
	v_perm_b32 v14, v100, v14, 0x5040100
	s_delay_alu instid0(VALU_DEP_2) | instskip(SKIP_1) | instid1(VALU_DEP_1)
	v_cndmask_b32_e64 v101, 0, v101, s0
	v_cmp_lt_i32_e64 s0, v65, v36
	v_cndmask_b32_e64 v13, 0, v13, s0
	v_cmp_lt_i32_e64 s0, v64, v48
	s_delay_alu instid0(VALU_DEP_2) | instskip(NEXT) | instid1(VALU_DEP_2)
	v_perm_b32 v13, v101, v13, 0x5040100
	v_cndmask_b32_e64 v102, 0, v102, s0
	v_cmp_lt_i32_e64 s0, v55, v36
	s_delay_alu instid0(VALU_DEP_1) | instskip(SKIP_1) | instid1(VALU_DEP_2)
	v_cndmask_b32_e64 v0, 0, v0, s0
	v_cmp_lt_i32_e64 s0, v38, v48
	v_perm_b32 v0, v102, v0, 0x5040100
	s_delay_alu instid0(VALU_DEP_2) | instskip(SKIP_1) | instid1(VALU_DEP_1)
	v_cndmask_b32_e64 v11, 0, v11, s0
	v_cmp_lt_i32_e64 s0, v17, v36
	v_cndmask_b32_e64 v12, 0, v12, s0
	s_delay_alu instid0(VALU_DEP_1)
	v_perm_b32 v11, v11, v12, 0x5040100
.LBB367_1453:                           ;   in Loop: Header=BB367_991 Depth=1
	s_or_b32 exec_lo, exec_lo, s10
	;;#ASMSTART
	v_pk_mul_f16 v12, v71, v14;

	;;#ASMEND
	;;#ASMSTART
	v_pk_mul_f16 v13, v69, v13;

	;;#ASMEND
	;;#ASMSTART
	v_pk_mul_f16 v0, v67, v0;

	;;#ASMEND
	;;#ASMSTART
	v_pk_mul_f16 v11, v66, v11;

	;;#ASMEND
	;;#ASMSTART
	v_pk_add_f16 v12, v12, v13;

	;;#ASMEND
	;;#ASMSTART
	v_pk_add_f16 v0, v12, v0;

	;;#ASMEND
	;; [unrolled: 4-line block ×3, first 2 shown]
	v_dual_mov_b32 v112, 0 :: v_dual_and_b32 v11, 0xffff, v0
	v_lshrrev_b32_e32 v0, 16, v0
	;;#ASMSTART
	v_cvt_f32_f16 v100, v11;
	;;#ASMEND
	;;#ASMSTART
	v_cvt_f32_f16 v101, v0;
	;;#ASMEND
	flat_load_b64 v[11:12], v[9:10] offset:1792
	flat_load_b32 v102, v[26:27]
	s_mov_b32 s10, exec_lo
	s_waitcnt vmcnt(1) lgkmcnt(1)
	v_dual_mov_b32 v103, 0 :: v_dual_and_b32 v0, 0xff, v11
	s_delay_alu instid0(VALU_DEP_1)
	v_cmpx_ne_u16_e32 0, v0
	s_cbranch_execz .LBB367_1461
; %bb.1454:                             ;   in Loop: Header=BB367_991 Depth=1
	v_bfrev_b32_e32 v103, 1
	s_mov_b32 s12, exec_lo
	v_cmpx_ne_u16_e32 0x80, v0
	s_cbranch_execz .LBB367_1460
; %bb.1455:                             ;   in Loop: Header=BB367_991 Depth=1
	v_and_b32_e32 v13, 0x7f, v11
	v_mov_b32_e32 v103, 0x7fc02000
	s_mov_b32 s13, exec_lo
	s_delay_alu instid0(VALU_DEP_2)
	v_cmpx_ne_u32_e32 0x7f, v13
	s_cbranch_execz .LBB367_1459
; %bb.1456:                             ;   in Loop: Header=BB367_991 Depth=1
	v_lshrrev_b32_e32 v0, 3, v13
	v_cmp_gt_u32_e64 s0, 8, v13
	v_dual_mov_b32 v14, v12 :: v_dual_mov_b32 v13, v11
	s_delay_alu instid0(VALU_DEP_2)
	s_and_saveexec_b32 s15, s0
; %bb.1457:                             ;   in Loop: Header=BB367_991 Depth=1
	v_and_b32_e32 v0, 7, v11
	s_delay_alu instid0(VALU_DEP_1) | instskip(NEXT) | instid1(VALU_DEP_1)
	v_clz_i32_u32_e32 v0, v0
	v_min_u32_e32 v0, 32, v0
	s_delay_alu instid0(VALU_DEP_1) | instskip(SKIP_1) | instid1(VALU_DEP_2)
	v_subrev_nc_u32_e32 v13, 28, v0
	v_sub_nc_u32_e32 v0, 29, v0
	v_lshlrev_b64 v[13:14], v13, v[11:12]
; %bb.1458:                             ;   in Loop: Header=BB367_991 Depth=1
	s_or_b32 exec_lo, exec_lo, s15
	v_lshlrev_b32_e32 v14, 8, v11
	s_delay_alu instid0(VALU_DEP_3) | instskip(NEXT) | instid1(VALU_DEP_3)
	v_lshl_add_u32 v0, v0, 10, 0x2000
	v_lshlrev_b32_e32 v13, 7, v13
	s_delay_alu instid0(VALU_DEP_2) | instskip(NEXT) | instid1(VALU_DEP_1)
	v_and_or_b32 v0, 0x8000, v14, v0
	v_and_or_b32 v0, 0x380, v13, v0
	s_delay_alu instid0(VALU_DEP_1)
	v_cvt_f32_f16_e32 v103, v0
.LBB367_1459:                           ;   in Loop: Header=BB367_991 Depth=1
	s_or_b32 exec_lo, exec_lo, s13
.LBB367_1460:                           ;   in Loop: Header=BB367_991 Depth=1
	s_delay_alu instid0(SALU_CYCLE_1)
	s_or_b32 exec_lo, exec_lo, s12
.LBB367_1461:                           ;   in Loop: Header=BB367_991 Depth=1
	s_delay_alu instid0(SALU_CYCLE_1) | instskip(SKIP_2) | instid1(VALU_DEP_1)
	s_or_b32 exec_lo, exec_lo, s10
	v_lshrrev_b16 v0, 8, v11
	s_mov_b32 s10, exec_lo
	v_cmpx_ne_u16_e32 0, v0
	s_cbranch_execz .LBB367_1469
; %bb.1462:                             ;   in Loop: Header=BB367_991 Depth=1
	v_bfrev_b32_e32 v112, 1
	s_mov_b32 s12, exec_lo
	v_cmpx_ne_u16_e32 0x80, v0
	s_cbranch_execz .LBB367_1468
; %bb.1463:                             ;   in Loop: Header=BB367_991 Depth=1
	v_and_b32_e32 v113, 0xffff, v0
	v_mov_b32_e32 v112, 0x7fc02000
	s_mov_b32 s13, exec_lo
	s_delay_alu instid0(VALU_DEP_2) | instskip(NEXT) | instid1(VALU_DEP_1)
	v_and_b32_e32 v13, 0x7f, v113
	v_cmpx_ne_u32_e32 0x7f, v13
	s_cbranch_execz .LBB367_1467
; %bb.1464:                             ;   in Loop: Header=BB367_991 Depth=1
	v_and_b32_e32 v0, 7, v113
	v_lshrrev_b32_e32 v112, 3, v13
	v_cmp_gt_u32_e64 s0, 8, v13
	s_delay_alu instid0(VALU_DEP_3) | instskip(NEXT) | instid1(VALU_DEP_2)
	v_dual_mov_b32 v14, v1 :: v_dual_mov_b32 v13, v0
	s_and_saveexec_b32 s15, s0
; %bb.1465:                             ;   in Loop: Header=BB367_991 Depth=1
	v_clz_i32_u32_e32 v13, v0
	s_delay_alu instid0(VALU_DEP_1) | instskip(NEXT) | instid1(VALU_DEP_1)
	v_min_u32_e32 v112, 32, v13
	v_subrev_nc_u32_e32 v13, 28, v112
	v_sub_nc_u32_e32 v112, 29, v112
	s_delay_alu instid0(VALU_DEP_2) | instskip(NEXT) | instid1(VALU_DEP_1)
	v_lshlrev_b64 v[13:14], v13, v[0:1]
	v_and_b32_e32 v13, 7, v13
; %bb.1466:                             ;   in Loop: Header=BB367_991 Depth=1
	s_or_b32 exec_lo, exec_lo, s15
	v_lshlrev_b32_e32 v0, 8, v113
	v_lshl_add_u32 v14, v112, 10, 0x2000
	s_delay_alu instid0(VALU_DEP_1) | instskip(NEXT) | instid1(VALU_DEP_1)
	v_and_or_b32 v0, 0x8000, v0, v14
	v_lshl_or_b32 v0, v13, 7, v0
	s_delay_alu instid0(VALU_DEP_1)
	v_cvt_f32_f16_e32 v112, v0
.LBB367_1467:                           ;   in Loop: Header=BB367_991 Depth=1
	s_or_b32 exec_lo, exec_lo, s13
.LBB367_1468:                           ;   in Loop: Header=BB367_991 Depth=1
	s_delay_alu instid0(SALU_CYCLE_1)
	s_or_b32 exec_lo, exec_lo, s12
.LBB367_1469:                           ;   in Loop: Header=BB367_991 Depth=1
	s_delay_alu instid0(SALU_CYCLE_1) | instskip(SKIP_3) | instid1(VALU_DEP_2)
	s_or_b32 exec_lo, exec_lo, s10
	v_lshrrev_b32_e32 v115, 16, v11
	v_mov_b32_e32 v114, 0
	s_mov_b32 s10, exec_lo
	v_dual_mov_b32 v113, 0 :: v_dual_and_b32 v0, 0xff, v115
	s_delay_alu instid0(VALU_DEP_1)
	v_cmpx_ne_u16_e32 0, v0
	s_cbranch_execz .LBB367_1477
; %bb.1470:                             ;   in Loop: Header=BB367_991 Depth=1
	v_bfrev_b32_e32 v113, 1
	s_mov_b32 s12, exec_lo
	v_cmpx_ne_u16_e32 0x80, v0
	s_cbranch_execz .LBB367_1476
; %bb.1471:                             ;   in Loop: Header=BB367_991 Depth=1
	v_bfe_u32 v13, v11, 16, 7
	v_mov_b32_e32 v113, 0x7fc02000
	s_mov_b32 s13, exec_lo
	s_delay_alu instid0(VALU_DEP_2)
	v_cmpx_ne_u32_e32 0x7f, v13
	s_cbranch_execz .LBB367_1475
; %bb.1472:                             ;   in Loop: Header=BB367_991 Depth=1
	v_and_b32_e32 v0, 7, v115
	v_lshrrev_b32_e32 v113, 3, v13
	v_cmp_gt_u32_e64 s0, 8, v13
	s_delay_alu instid0(VALU_DEP_3) | instskip(NEXT) | instid1(VALU_DEP_2)
	v_dual_mov_b32 v14, v1 :: v_dual_mov_b32 v13, v0
	s_and_saveexec_b32 s15, s0
; %bb.1473:                             ;   in Loop: Header=BB367_991 Depth=1
	v_clz_i32_u32_e32 v13, v0
	s_delay_alu instid0(VALU_DEP_1) | instskip(NEXT) | instid1(VALU_DEP_1)
	v_min_u32_e32 v113, 32, v13
	v_subrev_nc_u32_e32 v13, 28, v113
	v_sub_nc_u32_e32 v113, 29, v113
	s_delay_alu instid0(VALU_DEP_2) | instskip(NEXT) | instid1(VALU_DEP_1)
	v_lshlrev_b64 v[13:14], v13, v[0:1]
	v_and_b32_e32 v13, 7, v13
; %bb.1474:                             ;   in Loop: Header=BB367_991 Depth=1
	s_or_b32 exec_lo, exec_lo, s15
	v_lshlrev_b32_e32 v0, 8, v115
	v_lshl_add_u32 v14, v113, 10, 0x2000
	s_delay_alu instid0(VALU_DEP_1) | instskip(NEXT) | instid1(VALU_DEP_1)
	v_and_or_b32 v0, 0x8000, v0, v14
	v_lshl_or_b32 v0, v13, 7, v0
	s_delay_alu instid0(VALU_DEP_1)
	v_cvt_f32_f16_e32 v113, v0
.LBB367_1475:                           ;   in Loop: Header=BB367_991 Depth=1
	s_or_b32 exec_lo, exec_lo, s13
.LBB367_1476:                           ;   in Loop: Header=BB367_991 Depth=1
	s_delay_alu instid0(SALU_CYCLE_1)
	s_or_b32 exec_lo, exec_lo, s12
.LBB367_1477:                           ;   in Loop: Header=BB367_991 Depth=1
	s_delay_alu instid0(SALU_CYCLE_1) | instskip(NEXT) | instid1(SALU_CYCLE_1)
	s_or_b32 exec_lo, exec_lo, s10
	s_mov_b32 s10, exec_lo
	v_cmpx_lt_u32_e32 0xffffff, v11
	s_cbranch_execz .LBB367_1485
; %bb.1478:                             ;   in Loop: Header=BB367_991 Depth=1
	v_lshrrev_b32_e32 v115, 24, v11
	v_bfrev_b32_e32 v114, 1
	s_mov_b32 s12, exec_lo
	s_delay_alu instid0(VALU_DEP_2)
	v_cmpx_ne_u32_e32 0x80, v115
	s_cbranch_execz .LBB367_1484
; %bb.1479:                             ;   in Loop: Header=BB367_991 Depth=1
	v_and_b32_e32 v13, 0x7f, v115
	v_mov_b32_e32 v114, 0x7fc02000
	s_mov_b32 s13, exec_lo
	s_delay_alu instid0(VALU_DEP_2)
	v_cmpx_ne_u32_e32 0x7f, v13
	s_cbranch_execz .LBB367_1483
; %bb.1480:                             ;   in Loop: Header=BB367_991 Depth=1
	v_and_b32_e32 v0, 7, v115
	v_lshrrev_b32_e32 v114, 3, v13
	v_cmp_gt_u32_e64 s0, 8, v13
	s_delay_alu instid0(VALU_DEP_3) | instskip(NEXT) | instid1(VALU_DEP_2)
	v_dual_mov_b32 v14, v1 :: v_dual_mov_b32 v13, v0
	s_and_saveexec_b32 s15, s0
; %bb.1481:                             ;   in Loop: Header=BB367_991 Depth=1
	v_clz_i32_u32_e32 v13, v0
	s_delay_alu instid0(VALU_DEP_1) | instskip(NEXT) | instid1(VALU_DEP_1)
	v_min_u32_e32 v114, 32, v13
	v_subrev_nc_u32_e32 v13, 28, v114
	v_sub_nc_u32_e32 v114, 29, v114
	s_delay_alu instid0(VALU_DEP_2) | instskip(NEXT) | instid1(VALU_DEP_1)
	v_lshlrev_b64 v[13:14], v13, v[0:1]
	v_and_b32_e32 v13, 7, v13
; %bb.1482:                             ;   in Loop: Header=BB367_991 Depth=1
	s_or_b32 exec_lo, exec_lo, s15
	v_lshlrev_b32_e32 v0, 8, v115
	v_lshl_add_u32 v14, v114, 10, 0x2000
	s_delay_alu instid0(VALU_DEP_1) | instskip(NEXT) | instid1(VALU_DEP_1)
	v_and_or_b32 v0, 0x8000, v0, v14
	v_lshl_or_b32 v0, v13, 7, v0
	s_delay_alu instid0(VALU_DEP_1)
	v_cvt_f32_f16_e32 v114, v0
.LBB367_1483:                           ;   in Loop: Header=BB367_991 Depth=1
	s_or_b32 exec_lo, exec_lo, s13
.LBB367_1484:                           ;   in Loop: Header=BB367_991 Depth=1
	s_delay_alu instid0(SALU_CYCLE_1)
	s_or_b32 exec_lo, exec_lo, s12
.LBB367_1485:                           ;   in Loop: Header=BB367_991 Depth=1
	s_delay_alu instid0(SALU_CYCLE_1) | instskip(SKIP_3) | instid1(VALU_DEP_2)
	s_or_b32 exec_lo, exec_lo, s10
	v_dual_mov_b32 v0, v12 :: v_dual_and_b32 v13, 0xff, v12
	v_dual_mov_b32 v116, 0 :: v_dual_mov_b32 v115, 0
	s_mov_b32 s10, exec_lo
	v_cmpx_ne_u16_e32 0, v13
	s_cbranch_execz .LBB367_1493
; %bb.1486:                             ;   in Loop: Header=BB367_991 Depth=1
	v_bfrev_b32_e32 v115, 1
	s_mov_b32 s12, exec_lo
	v_cmpx_ne_u16_e32 0x80, v13
	s_cbranch_execz .LBB367_1492
; %bb.1487:                             ;   in Loop: Header=BB367_991 Depth=1
	v_and_b32_e32 v13, 0x7f, v12
	v_mov_b32_e32 v115, 0x7fc02000
	s_mov_b32 s13, exec_lo
	s_delay_alu instid0(VALU_DEP_2)
	v_cmpx_ne_u32_e32 0x7f, v13
	s_cbranch_execz .LBB367_1491
; %bb.1488:                             ;   in Loop: Header=BB367_991 Depth=1
	v_lshrrev_b32_e32 v115, 3, v13
	v_cmp_gt_u32_e64 s0, 8, v13
	v_dual_mov_b32 v14, v1 :: v_dual_mov_b32 v13, v0
	s_delay_alu instid0(VALU_DEP_2)
	s_and_saveexec_b32 s15, s0
; %bb.1489:                             ;   in Loop: Header=BB367_991 Depth=1
	v_and_b32_e32 v13, 7, v12
	s_delay_alu instid0(VALU_DEP_1) | instskip(NEXT) | instid1(VALU_DEP_1)
	v_clz_i32_u32_e32 v13, v13
	v_min_u32_e32 v115, 32, v13
	s_delay_alu instid0(VALU_DEP_1) | instskip(SKIP_1) | instid1(VALU_DEP_2)
	v_subrev_nc_u32_e32 v13, 28, v115
	v_sub_nc_u32_e32 v115, 29, v115
	v_lshlrev_b64 v[13:14], v13, v[0:1]
; %bb.1490:                             ;   in Loop: Header=BB367_991 Depth=1
	s_or_b32 exec_lo, exec_lo, s15
	v_lshlrev_b32_e32 v14, 8, v12
	s_delay_alu instid0(VALU_DEP_3) | instskip(NEXT) | instid1(VALU_DEP_3)
	v_lshl_add_u32 v115, v115, 10, 0x2000
	v_lshlrev_b32_e32 v13, 7, v13
	s_delay_alu instid0(VALU_DEP_2) | instskip(NEXT) | instid1(VALU_DEP_1)
	v_and_or_b32 v14, 0x8000, v14, v115
	v_and_or_b32 v13, 0x380, v13, v14
	s_delay_alu instid0(VALU_DEP_1)
	v_cvt_f32_f16_e32 v115, v13
.LBB367_1491:                           ;   in Loop: Header=BB367_991 Depth=1
	s_or_b32 exec_lo, exec_lo, s13
.LBB367_1492:                           ;   in Loop: Header=BB367_991 Depth=1
	s_delay_alu instid0(SALU_CYCLE_1)
	s_or_b32 exec_lo, exec_lo, s12
.LBB367_1493:                           ;   in Loop: Header=BB367_991 Depth=1
	s_delay_alu instid0(SALU_CYCLE_1) | instskip(SKIP_2) | instid1(VALU_DEP_1)
	s_or_b32 exec_lo, exec_lo, s10
	v_lshrrev_b16 v0, 8, v0
	s_mov_b32 s10, exec_lo
	v_cmpx_ne_u16_e32 0, v0
	s_cbranch_execz .LBB367_1501
; %bb.1494:                             ;   in Loop: Header=BB367_991 Depth=1
	v_bfrev_b32_e32 v116, 1
	s_mov_b32 s12, exec_lo
	v_cmpx_ne_u16_e32 0x80, v0
	s_cbranch_execz .LBB367_1500
; %bb.1495:                             ;   in Loop: Header=BB367_991 Depth=1
	v_and_b32_e32 v117, 0xffff, v0
	v_mov_b32_e32 v116, 0x7fc02000
	s_mov_b32 s13, exec_lo
	s_delay_alu instid0(VALU_DEP_2) | instskip(NEXT) | instid1(VALU_DEP_1)
	v_and_b32_e32 v13, 0x7f, v117
	v_cmpx_ne_u32_e32 0x7f, v13
	s_cbranch_execz .LBB367_1499
; %bb.1496:                             ;   in Loop: Header=BB367_991 Depth=1
	v_and_b32_e32 v0, 7, v117
	v_lshrrev_b32_e32 v116, 3, v13
	v_cmp_gt_u32_e64 s0, 8, v13
	s_delay_alu instid0(VALU_DEP_3) | instskip(NEXT) | instid1(VALU_DEP_2)
	v_dual_mov_b32 v14, v1 :: v_dual_mov_b32 v13, v0
	s_and_saveexec_b32 s15, s0
; %bb.1497:                             ;   in Loop: Header=BB367_991 Depth=1
	v_clz_i32_u32_e32 v13, v0
	s_delay_alu instid0(VALU_DEP_1) | instskip(NEXT) | instid1(VALU_DEP_1)
	v_min_u32_e32 v116, 32, v13
	v_subrev_nc_u32_e32 v13, 28, v116
	v_sub_nc_u32_e32 v116, 29, v116
	s_delay_alu instid0(VALU_DEP_2) | instskip(NEXT) | instid1(VALU_DEP_1)
	v_lshlrev_b64 v[13:14], v13, v[0:1]
	v_and_b32_e32 v13, 7, v13
; %bb.1498:                             ;   in Loop: Header=BB367_991 Depth=1
	s_or_b32 exec_lo, exec_lo, s15
	v_lshlrev_b32_e32 v0, 8, v117
	v_lshl_add_u32 v14, v116, 10, 0x2000
	s_delay_alu instid0(VALU_DEP_1) | instskip(NEXT) | instid1(VALU_DEP_1)
	v_and_or_b32 v0, 0x8000, v0, v14
	v_lshl_or_b32 v0, v13, 7, v0
	s_delay_alu instid0(VALU_DEP_1)
	v_cvt_f32_f16_e32 v116, v0
.LBB367_1499:                           ;   in Loop: Header=BB367_991 Depth=1
	s_or_b32 exec_lo, exec_lo, s13
.LBB367_1500:                           ;   in Loop: Header=BB367_991 Depth=1
	s_delay_alu instid0(SALU_CYCLE_1)
	s_or_b32 exec_lo, exec_lo, s12
.LBB367_1501:                           ;   in Loop: Header=BB367_991 Depth=1
	s_delay_alu instid0(SALU_CYCLE_1) | instskip(SKIP_3) | instid1(VALU_DEP_2)
	s_or_b32 exec_lo, exec_lo, s10
	v_lshrrev_b32_e32 v118, 16, v12
	v_mov_b32_e32 v13, 0
	s_mov_b32 s10, exec_lo
	v_dual_mov_b32 v117, 0 :: v_dual_and_b32 v0, 0xff, v118
	s_delay_alu instid0(VALU_DEP_1)
	v_cmpx_ne_u16_e32 0, v0
	s_cbranch_execz .LBB367_1509
; %bb.1502:                             ;   in Loop: Header=BB367_991 Depth=1
	v_bfrev_b32_e32 v13, 1
	s_mov_b32 s12, exec_lo
	v_cmpx_ne_u16_e32 0x80, v0
	s_cbranch_execz .LBB367_1508
; %bb.1503:                             ;   in Loop: Header=BB367_991 Depth=1
	v_bfe_u32 v14, v12, 16, 7
	v_mov_b32_e32 v13, 0x7fc02000
	s_mov_b32 s13, exec_lo
	s_delay_alu instid0(VALU_DEP_2)
	v_cmpx_ne_u32_e32 0x7f, v14
	s_cbranch_execz .LBB367_1507
; %bb.1504:                             ;   in Loop: Header=BB367_991 Depth=1
	v_and_b32_e32 v0, 7, v118
	v_lshrrev_b32_e32 v119, 3, v14
	v_cmp_gt_u32_e64 s0, 8, v14
	s_delay_alu instid0(VALU_DEP_3) | instskip(NEXT) | instid1(VALU_DEP_2)
	v_dual_mov_b32 v14, v1 :: v_dual_mov_b32 v13, v0
	s_and_saveexec_b32 s15, s0
; %bb.1505:                             ;   in Loop: Header=BB367_991 Depth=1
	v_clz_i32_u32_e32 v13, v0
	s_delay_alu instid0(VALU_DEP_1) | instskip(NEXT) | instid1(VALU_DEP_1)
	v_min_u32_e32 v119, 32, v13
	v_subrev_nc_u32_e32 v13, 28, v119
	v_sub_nc_u32_e32 v119, 29, v119
	s_delay_alu instid0(VALU_DEP_2) | instskip(NEXT) | instid1(VALU_DEP_1)
	v_lshlrev_b64 v[13:14], v13, v[0:1]
	v_and_b32_e32 v13, 7, v13
; %bb.1506:                             ;   in Loop: Header=BB367_991 Depth=1
	s_or_b32 exec_lo, exec_lo, s15
	v_lshlrev_b32_e32 v0, 8, v118
	v_lshl_add_u32 v14, v119, 10, 0x2000
	s_delay_alu instid0(VALU_DEP_1) | instskip(NEXT) | instid1(VALU_DEP_1)
	v_and_or_b32 v0, 0x8000, v0, v14
	v_lshl_or_b32 v0, v13, 7, v0
	s_delay_alu instid0(VALU_DEP_1)
	v_cvt_f32_f16_e32 v13, v0
.LBB367_1507:                           ;   in Loop: Header=BB367_991 Depth=1
	s_or_b32 exec_lo, exec_lo, s13
.LBB367_1508:                           ;   in Loop: Header=BB367_991 Depth=1
	s_delay_alu instid0(SALU_CYCLE_1)
	s_or_b32 exec_lo, exec_lo, s12
.LBB367_1509:                           ;   in Loop: Header=BB367_991 Depth=1
	s_delay_alu instid0(SALU_CYCLE_1) | instskip(NEXT) | instid1(SALU_CYCLE_1)
	s_or_b32 exec_lo, exec_lo, s10
	s_mov_b32 s10, exec_lo
	v_cmpx_lt_u64_e64 s[8:9], v[11:12]
	s_cbranch_execz .LBB367_1517
; %bb.1510:                             ;   in Loop: Header=BB367_991 Depth=1
	v_lshrrev_b32_e32 v14, 24, v12
	v_bfrev_b32_e32 v117, 1
	s_mov_b32 s12, exec_lo
	s_delay_alu instid0(VALU_DEP_2)
	v_cmpx_ne_u32_e32 0x80, v14
	s_cbranch_execz .LBB367_1516
; %bb.1511:                             ;   in Loop: Header=BB367_991 Depth=1
	v_and_b32_e32 v11, 0x7f, v14
	v_mov_b32_e32 v117, 0x7fc02000
	s_mov_b32 s13, exec_lo
	s_delay_alu instid0(VALU_DEP_2)
	v_cmpx_ne_u32_e32 0x7f, v11
	s_cbranch_execz .LBB367_1515
; %bb.1512:                             ;   in Loop: Header=BB367_991 Depth=1
	v_and_b32_e32 v0, 7, v14
	v_lshrrev_b32_e32 v117, 3, v11
	v_cmp_gt_u32_e64 s0, 8, v11
	s_delay_alu instid0(VALU_DEP_3) | instskip(NEXT) | instid1(VALU_DEP_2)
	v_dual_mov_b32 v12, v1 :: v_dual_mov_b32 v11, v0
	s_and_saveexec_b32 s15, s0
; %bb.1513:                             ;   in Loop: Header=BB367_991 Depth=1
	v_clz_i32_u32_e32 v11, v0
	s_delay_alu instid0(VALU_DEP_1) | instskip(NEXT) | instid1(VALU_DEP_1)
	v_min_u32_e32 v117, 32, v11
	v_subrev_nc_u32_e32 v11, 28, v117
	v_sub_nc_u32_e32 v117, 29, v117
	s_delay_alu instid0(VALU_DEP_2) | instskip(NEXT) | instid1(VALU_DEP_1)
	v_lshlrev_b64 v[11:12], v11, v[0:1]
	v_and_b32_e32 v11, 7, v11
; %bb.1514:                             ;   in Loop: Header=BB367_991 Depth=1
	s_or_b32 exec_lo, exec_lo, s15
	v_lshlrev_b32_e32 v0, 8, v14
	v_lshl_add_u32 v12, v117, 10, 0x2000
	s_delay_alu instid0(VALU_DEP_1) | instskip(NEXT) | instid1(VALU_DEP_1)
	v_and_or_b32 v0, 0x8000, v0, v12
	v_lshl_or_b32 v0, v11, 7, v0
	s_delay_alu instid0(VALU_DEP_1)
	v_cvt_f32_f16_e32 v117, v0
.LBB367_1515:                           ;   in Loop: Header=BB367_991 Depth=1
	s_or_b32 exec_lo, exec_lo, s13
.LBB367_1516:                           ;   in Loop: Header=BB367_991 Depth=1
	s_delay_alu instid0(SALU_CYCLE_1)
	s_or_b32 exec_lo, exec_lo, s12
.LBB367_1517:                           ;   in Loop: Header=BB367_991 Depth=1
	s_delay_alu instid0(SALU_CYCLE_1)
	s_or_b32 exec_lo, exec_lo, s10
	s_waitcnt vmcnt(0) lgkmcnt(0)
	v_fma_mixlo_f16 v12, v102, v112, 0
	v_fma_mixlo_f16 v0, v102, v114, 0
	;; [unrolled: 1-line block ×5, first 2 shown]
	v_lshlrev_b32_e32 v14, 16, v12
	v_fma_mixlo_f16 v113, v102, v115, 0
	v_fma_mixlo_f16 v114, v102, v117, 0
	;; [unrolled: 1-line block ×3, first 2 shown]
	v_lshlrev_b32_e32 v0, 16, v0
	v_and_b32_e32 v11, 0xffff, v11
	v_and_b32_e32 v102, 0xffff, v103
	v_lshlrev_b32_e32 v103, 16, v112
	v_and_b32_e32 v112, 0xffff, v113
	v_lshlrev_b32_e32 v113, 16, v114
	v_and_b32_e32 v114, 0xffff, v12
	v_or_b32_e32 v13, v0, v11
	v_or_b32_e32 v14, v14, v102
	;; [unrolled: 1-line block ×3, first 2 shown]
	s_delay_alu instid0(VALU_DEP_4)
	v_or_b32_e32 v11, v113, v114
	s_and_saveexec_b32 s10, vcc_lo
	s_cbranch_execz .LBB367_1519
; %bb.1518:                             ;   in Loop: Header=BB367_991 Depth=1
	v_cmp_lt_i32_e64 s0, v15, v36
	v_lshrrev_b32_e32 v102, 16, v14
	v_lshrrev_b32_e32 v103, 16, v13
	;; [unrolled: 1-line block ×4, first 2 shown]
	v_cndmask_b32_e64 v14, 0, v14, s0
	v_cmp_lt_i32_e64 s0, v81, v48
	s_delay_alu instid0(VALU_DEP_1) | instskip(SKIP_1) | instid1(VALU_DEP_2)
	v_cndmask_b32_e64 v102, 0, v102, s0
	v_cmp_lt_i32_e64 s0, v80, v48
	v_perm_b32 v14, v102, v14, 0x5040100
	s_delay_alu instid0(VALU_DEP_2) | instskip(SKIP_1) | instid1(VALU_DEP_1)
	v_cndmask_b32_e64 v103, 0, v103, s0
	v_cmp_lt_i32_e64 s0, v65, v36
	v_cndmask_b32_e64 v13, 0, v13, s0
	v_cmp_lt_i32_e64 s0, v64, v48
	s_delay_alu instid0(VALU_DEP_2) | instskip(NEXT) | instid1(VALU_DEP_2)
	v_perm_b32 v13, v103, v13, 0x5040100
	v_cndmask_b32_e64 v112, 0, v112, s0
	v_cmp_lt_i32_e64 s0, v55, v36
	s_delay_alu instid0(VALU_DEP_1) | instskip(SKIP_1) | instid1(VALU_DEP_2)
	v_cndmask_b32_e64 v0, 0, v0, s0
	v_cmp_lt_i32_e64 s0, v38, v48
	v_perm_b32 v0, v112, v0, 0x5040100
	s_delay_alu instid0(VALU_DEP_2) | instskip(SKIP_1) | instid1(VALU_DEP_1)
	v_cndmask_b32_e64 v11, 0, v11, s0
	v_cmp_lt_i32_e64 s0, v17, v36
	v_cndmask_b32_e64 v12, 0, v12, s0
	s_delay_alu instid0(VALU_DEP_1)
	v_perm_b32 v11, v11, v12, 0x5040100
.LBB367_1519:                           ;   in Loop: Header=BB367_991 Depth=1
	s_or_b32 exec_lo, exec_lo, s10
	;;#ASMSTART
	v_pk_mul_f16 v12, v71, v14;

	;;#ASMEND
	;;#ASMSTART
	v_pk_mul_f16 v13, v69, v13;

	;;#ASMEND
	;; [unrolled: 4-line block ×4, first 2 shown]
	;;#ASMSTART
	v_pk_add_f16 v12, v12, v13;

	;;#ASMEND
	;;#ASMSTART
	v_pk_add_f16 v0, v12, v0;

	;;#ASMEND
	;; [unrolled: 4-line block ×3, first 2 shown]
	v_dual_mov_b32 v114, 0 :: v_dual_and_b32 v11, 0xffff, v0
	v_lshrrev_b32_e32 v0, 16, v0
	;;#ASMSTART
	v_cvt_f32_f16 v102, v11;
	;;#ASMEND
	;;#ASMSTART
	v_cvt_f32_f16 v103, v0;
	;;#ASMEND
	flat_load_b64 v[11:12], v[9:10] offset:2048
	flat_load_b32 v112, v[26:27]
	s_mov_b32 s10, exec_lo
	s_waitcnt vmcnt(1) lgkmcnt(1)
	v_dual_mov_b32 v113, 0 :: v_dual_and_b32 v0, 0xff, v11
	s_delay_alu instid0(VALU_DEP_1)
	v_cmpx_ne_u16_e32 0, v0
	s_cbranch_execz .LBB367_1527
; %bb.1520:                             ;   in Loop: Header=BB367_991 Depth=1
	v_bfrev_b32_e32 v113, 1
	s_mov_b32 s12, exec_lo
	v_cmpx_ne_u16_e32 0x80, v0
	s_cbranch_execz .LBB367_1526
; %bb.1521:                             ;   in Loop: Header=BB367_991 Depth=1
	v_and_b32_e32 v13, 0x7f, v11
	v_mov_b32_e32 v113, 0x7fc02000
	s_mov_b32 s13, exec_lo
	s_delay_alu instid0(VALU_DEP_2)
	v_cmpx_ne_u32_e32 0x7f, v13
	s_cbranch_execz .LBB367_1525
; %bb.1522:                             ;   in Loop: Header=BB367_991 Depth=1
	v_lshrrev_b32_e32 v0, 3, v13
	v_cmp_gt_u32_e64 s0, 8, v13
	v_dual_mov_b32 v14, v12 :: v_dual_mov_b32 v13, v11
	s_delay_alu instid0(VALU_DEP_2)
	s_and_saveexec_b32 s15, s0
; %bb.1523:                             ;   in Loop: Header=BB367_991 Depth=1
	v_and_b32_e32 v0, 7, v11
	s_delay_alu instid0(VALU_DEP_1) | instskip(NEXT) | instid1(VALU_DEP_1)
	v_clz_i32_u32_e32 v0, v0
	v_min_u32_e32 v0, 32, v0
	s_delay_alu instid0(VALU_DEP_1) | instskip(SKIP_1) | instid1(VALU_DEP_2)
	v_subrev_nc_u32_e32 v13, 28, v0
	v_sub_nc_u32_e32 v0, 29, v0
	v_lshlrev_b64 v[13:14], v13, v[11:12]
; %bb.1524:                             ;   in Loop: Header=BB367_991 Depth=1
	s_or_b32 exec_lo, exec_lo, s15
	v_lshlrev_b32_e32 v14, 8, v11
	s_delay_alu instid0(VALU_DEP_3) | instskip(NEXT) | instid1(VALU_DEP_3)
	v_lshl_add_u32 v0, v0, 10, 0x2000
	v_lshlrev_b32_e32 v13, 7, v13
	s_delay_alu instid0(VALU_DEP_2) | instskip(NEXT) | instid1(VALU_DEP_1)
	v_and_or_b32 v0, 0x8000, v14, v0
	v_and_or_b32 v0, 0x380, v13, v0
	s_delay_alu instid0(VALU_DEP_1)
	v_cvt_f32_f16_e32 v113, v0
.LBB367_1525:                           ;   in Loop: Header=BB367_991 Depth=1
	s_or_b32 exec_lo, exec_lo, s13
.LBB367_1526:                           ;   in Loop: Header=BB367_991 Depth=1
	s_delay_alu instid0(SALU_CYCLE_1)
	s_or_b32 exec_lo, exec_lo, s12
.LBB367_1527:                           ;   in Loop: Header=BB367_991 Depth=1
	s_delay_alu instid0(SALU_CYCLE_1) | instskip(SKIP_2) | instid1(VALU_DEP_1)
	s_or_b32 exec_lo, exec_lo, s10
	v_lshrrev_b16 v0, 8, v11
	s_mov_b32 s10, exec_lo
	v_cmpx_ne_u16_e32 0, v0
	s_cbranch_execz .LBB367_1535
; %bb.1528:                             ;   in Loop: Header=BB367_991 Depth=1
	v_bfrev_b32_e32 v114, 1
	s_mov_b32 s12, exec_lo
	v_cmpx_ne_u16_e32 0x80, v0
	s_cbranch_execz .LBB367_1534
; %bb.1529:                             ;   in Loop: Header=BB367_991 Depth=1
	v_and_b32_e32 v115, 0xffff, v0
	v_mov_b32_e32 v114, 0x7fc02000
	s_mov_b32 s13, exec_lo
	s_delay_alu instid0(VALU_DEP_2) | instskip(NEXT) | instid1(VALU_DEP_1)
	v_and_b32_e32 v13, 0x7f, v115
	v_cmpx_ne_u32_e32 0x7f, v13
	s_cbranch_execz .LBB367_1533
; %bb.1530:                             ;   in Loop: Header=BB367_991 Depth=1
	v_and_b32_e32 v0, 7, v115
	v_lshrrev_b32_e32 v114, 3, v13
	v_cmp_gt_u32_e64 s0, 8, v13
	s_delay_alu instid0(VALU_DEP_3) | instskip(NEXT) | instid1(VALU_DEP_2)
	v_dual_mov_b32 v14, v1 :: v_dual_mov_b32 v13, v0
	s_and_saveexec_b32 s15, s0
; %bb.1531:                             ;   in Loop: Header=BB367_991 Depth=1
	v_clz_i32_u32_e32 v13, v0
	s_delay_alu instid0(VALU_DEP_1) | instskip(NEXT) | instid1(VALU_DEP_1)
	v_min_u32_e32 v114, 32, v13
	v_subrev_nc_u32_e32 v13, 28, v114
	v_sub_nc_u32_e32 v114, 29, v114
	s_delay_alu instid0(VALU_DEP_2) | instskip(NEXT) | instid1(VALU_DEP_1)
	v_lshlrev_b64 v[13:14], v13, v[0:1]
	v_and_b32_e32 v13, 7, v13
; %bb.1532:                             ;   in Loop: Header=BB367_991 Depth=1
	s_or_b32 exec_lo, exec_lo, s15
	v_lshlrev_b32_e32 v0, 8, v115
	v_lshl_add_u32 v14, v114, 10, 0x2000
	s_delay_alu instid0(VALU_DEP_1) | instskip(NEXT) | instid1(VALU_DEP_1)
	v_and_or_b32 v0, 0x8000, v0, v14
	v_lshl_or_b32 v0, v13, 7, v0
	s_delay_alu instid0(VALU_DEP_1)
	v_cvt_f32_f16_e32 v114, v0
.LBB367_1533:                           ;   in Loop: Header=BB367_991 Depth=1
	s_or_b32 exec_lo, exec_lo, s13
.LBB367_1534:                           ;   in Loop: Header=BB367_991 Depth=1
	s_delay_alu instid0(SALU_CYCLE_1)
	s_or_b32 exec_lo, exec_lo, s12
.LBB367_1535:                           ;   in Loop: Header=BB367_991 Depth=1
	s_delay_alu instid0(SALU_CYCLE_1) | instskip(SKIP_3) | instid1(VALU_DEP_2)
	s_or_b32 exec_lo, exec_lo, s10
	v_lshrrev_b32_e32 v117, 16, v11
	v_mov_b32_e32 v116, 0
	s_mov_b32 s10, exec_lo
	v_dual_mov_b32 v115, 0 :: v_dual_and_b32 v0, 0xff, v117
	s_delay_alu instid0(VALU_DEP_1)
	v_cmpx_ne_u16_e32 0, v0
	s_cbranch_execz .LBB367_1543
; %bb.1536:                             ;   in Loop: Header=BB367_991 Depth=1
	v_bfrev_b32_e32 v115, 1
	s_mov_b32 s12, exec_lo
	v_cmpx_ne_u16_e32 0x80, v0
	s_cbranch_execz .LBB367_1542
; %bb.1537:                             ;   in Loop: Header=BB367_991 Depth=1
	v_bfe_u32 v13, v11, 16, 7
	v_mov_b32_e32 v115, 0x7fc02000
	s_mov_b32 s13, exec_lo
	s_delay_alu instid0(VALU_DEP_2)
	v_cmpx_ne_u32_e32 0x7f, v13
	s_cbranch_execz .LBB367_1541
; %bb.1538:                             ;   in Loop: Header=BB367_991 Depth=1
	v_and_b32_e32 v0, 7, v117
	v_lshrrev_b32_e32 v115, 3, v13
	v_cmp_gt_u32_e64 s0, 8, v13
	s_delay_alu instid0(VALU_DEP_3) | instskip(NEXT) | instid1(VALU_DEP_2)
	v_dual_mov_b32 v14, v1 :: v_dual_mov_b32 v13, v0
	s_and_saveexec_b32 s15, s0
; %bb.1539:                             ;   in Loop: Header=BB367_991 Depth=1
	v_clz_i32_u32_e32 v13, v0
	s_delay_alu instid0(VALU_DEP_1) | instskip(NEXT) | instid1(VALU_DEP_1)
	v_min_u32_e32 v115, 32, v13
	v_subrev_nc_u32_e32 v13, 28, v115
	v_sub_nc_u32_e32 v115, 29, v115
	s_delay_alu instid0(VALU_DEP_2) | instskip(NEXT) | instid1(VALU_DEP_1)
	v_lshlrev_b64 v[13:14], v13, v[0:1]
	v_and_b32_e32 v13, 7, v13
; %bb.1540:                             ;   in Loop: Header=BB367_991 Depth=1
	s_or_b32 exec_lo, exec_lo, s15
	v_lshlrev_b32_e32 v0, 8, v117
	v_lshl_add_u32 v14, v115, 10, 0x2000
	s_delay_alu instid0(VALU_DEP_1) | instskip(NEXT) | instid1(VALU_DEP_1)
	v_and_or_b32 v0, 0x8000, v0, v14
	v_lshl_or_b32 v0, v13, 7, v0
	s_delay_alu instid0(VALU_DEP_1)
	v_cvt_f32_f16_e32 v115, v0
.LBB367_1541:                           ;   in Loop: Header=BB367_991 Depth=1
	s_or_b32 exec_lo, exec_lo, s13
.LBB367_1542:                           ;   in Loop: Header=BB367_991 Depth=1
	s_delay_alu instid0(SALU_CYCLE_1)
	s_or_b32 exec_lo, exec_lo, s12
.LBB367_1543:                           ;   in Loop: Header=BB367_991 Depth=1
	s_delay_alu instid0(SALU_CYCLE_1) | instskip(NEXT) | instid1(SALU_CYCLE_1)
	s_or_b32 exec_lo, exec_lo, s10
	s_mov_b32 s10, exec_lo
	v_cmpx_lt_u32_e32 0xffffff, v11
	s_cbranch_execz .LBB367_1551
; %bb.1544:                             ;   in Loop: Header=BB367_991 Depth=1
	v_lshrrev_b32_e32 v117, 24, v11
	v_bfrev_b32_e32 v116, 1
	s_mov_b32 s12, exec_lo
	s_delay_alu instid0(VALU_DEP_2)
	v_cmpx_ne_u32_e32 0x80, v117
	s_cbranch_execz .LBB367_1550
; %bb.1545:                             ;   in Loop: Header=BB367_991 Depth=1
	v_and_b32_e32 v13, 0x7f, v117
	v_mov_b32_e32 v116, 0x7fc02000
	s_mov_b32 s13, exec_lo
	s_delay_alu instid0(VALU_DEP_2)
	v_cmpx_ne_u32_e32 0x7f, v13
	s_cbranch_execz .LBB367_1549
; %bb.1546:                             ;   in Loop: Header=BB367_991 Depth=1
	v_and_b32_e32 v0, 7, v117
	v_lshrrev_b32_e32 v116, 3, v13
	v_cmp_gt_u32_e64 s0, 8, v13
	s_delay_alu instid0(VALU_DEP_3) | instskip(NEXT) | instid1(VALU_DEP_2)
	v_dual_mov_b32 v14, v1 :: v_dual_mov_b32 v13, v0
	s_and_saveexec_b32 s15, s0
; %bb.1547:                             ;   in Loop: Header=BB367_991 Depth=1
	v_clz_i32_u32_e32 v13, v0
	s_delay_alu instid0(VALU_DEP_1) | instskip(NEXT) | instid1(VALU_DEP_1)
	v_min_u32_e32 v116, 32, v13
	v_subrev_nc_u32_e32 v13, 28, v116
	v_sub_nc_u32_e32 v116, 29, v116
	s_delay_alu instid0(VALU_DEP_2) | instskip(NEXT) | instid1(VALU_DEP_1)
	v_lshlrev_b64 v[13:14], v13, v[0:1]
	v_and_b32_e32 v13, 7, v13
; %bb.1548:                             ;   in Loop: Header=BB367_991 Depth=1
	s_or_b32 exec_lo, exec_lo, s15
	v_lshlrev_b32_e32 v0, 8, v117
	v_lshl_add_u32 v14, v116, 10, 0x2000
	s_delay_alu instid0(VALU_DEP_1) | instskip(NEXT) | instid1(VALU_DEP_1)
	v_and_or_b32 v0, 0x8000, v0, v14
	v_lshl_or_b32 v0, v13, 7, v0
	s_delay_alu instid0(VALU_DEP_1)
	v_cvt_f32_f16_e32 v116, v0
.LBB367_1549:                           ;   in Loop: Header=BB367_991 Depth=1
	s_or_b32 exec_lo, exec_lo, s13
.LBB367_1550:                           ;   in Loop: Header=BB367_991 Depth=1
	s_delay_alu instid0(SALU_CYCLE_1)
	s_or_b32 exec_lo, exec_lo, s12
.LBB367_1551:                           ;   in Loop: Header=BB367_991 Depth=1
	s_delay_alu instid0(SALU_CYCLE_1) | instskip(SKIP_3) | instid1(VALU_DEP_2)
	s_or_b32 exec_lo, exec_lo, s10
	v_dual_mov_b32 v0, v12 :: v_dual_and_b32 v13, 0xff, v12
	v_dual_mov_b32 v118, 0 :: v_dual_mov_b32 v117, 0
	s_mov_b32 s10, exec_lo
	v_cmpx_ne_u16_e32 0, v13
	s_cbranch_execz .LBB367_1559
; %bb.1552:                             ;   in Loop: Header=BB367_991 Depth=1
	v_bfrev_b32_e32 v117, 1
	s_mov_b32 s12, exec_lo
	v_cmpx_ne_u16_e32 0x80, v13
	s_cbranch_execz .LBB367_1558
; %bb.1553:                             ;   in Loop: Header=BB367_991 Depth=1
	v_and_b32_e32 v13, 0x7f, v12
	v_mov_b32_e32 v117, 0x7fc02000
	s_mov_b32 s13, exec_lo
	s_delay_alu instid0(VALU_DEP_2)
	v_cmpx_ne_u32_e32 0x7f, v13
	s_cbranch_execz .LBB367_1557
; %bb.1554:                             ;   in Loop: Header=BB367_991 Depth=1
	v_lshrrev_b32_e32 v117, 3, v13
	v_cmp_gt_u32_e64 s0, 8, v13
	v_dual_mov_b32 v14, v1 :: v_dual_mov_b32 v13, v0
	s_delay_alu instid0(VALU_DEP_2)
	s_and_saveexec_b32 s15, s0
; %bb.1555:                             ;   in Loop: Header=BB367_991 Depth=1
	v_and_b32_e32 v13, 7, v12
	s_delay_alu instid0(VALU_DEP_1) | instskip(NEXT) | instid1(VALU_DEP_1)
	v_clz_i32_u32_e32 v13, v13
	v_min_u32_e32 v117, 32, v13
	s_delay_alu instid0(VALU_DEP_1) | instskip(SKIP_1) | instid1(VALU_DEP_2)
	v_subrev_nc_u32_e32 v13, 28, v117
	v_sub_nc_u32_e32 v117, 29, v117
	v_lshlrev_b64 v[13:14], v13, v[0:1]
; %bb.1556:                             ;   in Loop: Header=BB367_991 Depth=1
	s_or_b32 exec_lo, exec_lo, s15
	v_lshlrev_b32_e32 v14, 8, v12
	s_delay_alu instid0(VALU_DEP_3) | instskip(NEXT) | instid1(VALU_DEP_3)
	v_lshl_add_u32 v117, v117, 10, 0x2000
	v_lshlrev_b32_e32 v13, 7, v13
	s_delay_alu instid0(VALU_DEP_2) | instskip(NEXT) | instid1(VALU_DEP_1)
	v_and_or_b32 v14, 0x8000, v14, v117
	v_and_or_b32 v13, 0x380, v13, v14
	s_delay_alu instid0(VALU_DEP_1)
	v_cvt_f32_f16_e32 v117, v13
.LBB367_1557:                           ;   in Loop: Header=BB367_991 Depth=1
	s_or_b32 exec_lo, exec_lo, s13
.LBB367_1558:                           ;   in Loop: Header=BB367_991 Depth=1
	s_delay_alu instid0(SALU_CYCLE_1)
	s_or_b32 exec_lo, exec_lo, s12
.LBB367_1559:                           ;   in Loop: Header=BB367_991 Depth=1
	s_delay_alu instid0(SALU_CYCLE_1) | instskip(SKIP_2) | instid1(VALU_DEP_1)
	s_or_b32 exec_lo, exec_lo, s10
	v_lshrrev_b16 v0, 8, v0
	s_mov_b32 s10, exec_lo
	v_cmpx_ne_u16_e32 0, v0
	s_cbranch_execz .LBB367_1567
; %bb.1560:                             ;   in Loop: Header=BB367_991 Depth=1
	v_bfrev_b32_e32 v118, 1
	s_mov_b32 s12, exec_lo
	v_cmpx_ne_u16_e32 0x80, v0
	s_cbranch_execz .LBB367_1566
; %bb.1561:                             ;   in Loop: Header=BB367_991 Depth=1
	v_and_b32_e32 v119, 0xffff, v0
	v_mov_b32_e32 v118, 0x7fc02000
	s_mov_b32 s13, exec_lo
	s_delay_alu instid0(VALU_DEP_2) | instskip(NEXT) | instid1(VALU_DEP_1)
	v_and_b32_e32 v13, 0x7f, v119
	v_cmpx_ne_u32_e32 0x7f, v13
	s_cbranch_execz .LBB367_1565
; %bb.1562:                             ;   in Loop: Header=BB367_991 Depth=1
	v_and_b32_e32 v0, 7, v119
	v_lshrrev_b32_e32 v118, 3, v13
	v_cmp_gt_u32_e64 s0, 8, v13
	s_delay_alu instid0(VALU_DEP_3) | instskip(NEXT) | instid1(VALU_DEP_2)
	v_dual_mov_b32 v14, v1 :: v_dual_mov_b32 v13, v0
	s_and_saveexec_b32 s15, s0
; %bb.1563:                             ;   in Loop: Header=BB367_991 Depth=1
	v_clz_i32_u32_e32 v13, v0
	s_delay_alu instid0(VALU_DEP_1) | instskip(NEXT) | instid1(VALU_DEP_1)
	v_min_u32_e32 v118, 32, v13
	v_subrev_nc_u32_e32 v13, 28, v118
	v_sub_nc_u32_e32 v118, 29, v118
	s_delay_alu instid0(VALU_DEP_2) | instskip(NEXT) | instid1(VALU_DEP_1)
	v_lshlrev_b64 v[13:14], v13, v[0:1]
	v_and_b32_e32 v13, 7, v13
; %bb.1564:                             ;   in Loop: Header=BB367_991 Depth=1
	s_or_b32 exec_lo, exec_lo, s15
	v_lshlrev_b32_e32 v0, 8, v119
	v_lshl_add_u32 v14, v118, 10, 0x2000
	s_delay_alu instid0(VALU_DEP_1) | instskip(NEXT) | instid1(VALU_DEP_1)
	v_and_or_b32 v0, 0x8000, v0, v14
	v_lshl_or_b32 v0, v13, 7, v0
	s_delay_alu instid0(VALU_DEP_1)
	v_cvt_f32_f16_e32 v118, v0
.LBB367_1565:                           ;   in Loop: Header=BB367_991 Depth=1
	s_or_b32 exec_lo, exec_lo, s13
.LBB367_1566:                           ;   in Loop: Header=BB367_991 Depth=1
	s_delay_alu instid0(SALU_CYCLE_1)
	s_or_b32 exec_lo, exec_lo, s12
.LBB367_1567:                           ;   in Loop: Header=BB367_991 Depth=1
	s_delay_alu instid0(SALU_CYCLE_1) | instskip(SKIP_3) | instid1(VALU_DEP_2)
	s_or_b32 exec_lo, exec_lo, s10
	v_lshrrev_b32_e32 v128, 16, v12
	v_mov_b32_e32 v13, 0
	s_mov_b32 s10, exec_lo
	v_dual_mov_b32 v119, 0 :: v_dual_and_b32 v0, 0xff, v128
	s_delay_alu instid0(VALU_DEP_1)
	v_cmpx_ne_u16_e32 0, v0
	s_cbranch_execz .LBB367_1575
; %bb.1568:                             ;   in Loop: Header=BB367_991 Depth=1
	v_bfrev_b32_e32 v13, 1
	s_mov_b32 s12, exec_lo
	v_cmpx_ne_u16_e32 0x80, v0
	s_cbranch_execz .LBB367_1574
; %bb.1569:                             ;   in Loop: Header=BB367_991 Depth=1
	v_bfe_u32 v14, v12, 16, 7
	v_mov_b32_e32 v13, 0x7fc02000
	s_mov_b32 s13, exec_lo
	s_delay_alu instid0(VALU_DEP_2)
	v_cmpx_ne_u32_e32 0x7f, v14
	s_cbranch_execz .LBB367_1573
; %bb.1570:                             ;   in Loop: Header=BB367_991 Depth=1
	v_and_b32_e32 v0, 7, v128
	v_lshrrev_b32_e32 v129, 3, v14
	v_cmp_gt_u32_e64 s0, 8, v14
	s_delay_alu instid0(VALU_DEP_3) | instskip(NEXT) | instid1(VALU_DEP_2)
	v_dual_mov_b32 v14, v1 :: v_dual_mov_b32 v13, v0
	s_and_saveexec_b32 s15, s0
; %bb.1571:                             ;   in Loop: Header=BB367_991 Depth=1
	v_clz_i32_u32_e32 v13, v0
	s_delay_alu instid0(VALU_DEP_1) | instskip(NEXT) | instid1(VALU_DEP_1)
	v_min_u32_e32 v129, 32, v13
	v_subrev_nc_u32_e32 v13, 28, v129
	v_sub_nc_u32_e32 v129, 29, v129
	s_delay_alu instid0(VALU_DEP_2) | instskip(NEXT) | instid1(VALU_DEP_1)
	v_lshlrev_b64 v[13:14], v13, v[0:1]
	v_and_b32_e32 v13, 7, v13
; %bb.1572:                             ;   in Loop: Header=BB367_991 Depth=1
	s_or_b32 exec_lo, exec_lo, s15
	v_lshlrev_b32_e32 v0, 8, v128
	v_lshl_add_u32 v14, v129, 10, 0x2000
	s_delay_alu instid0(VALU_DEP_1) | instskip(NEXT) | instid1(VALU_DEP_1)
	v_and_or_b32 v0, 0x8000, v0, v14
	v_lshl_or_b32 v0, v13, 7, v0
	s_delay_alu instid0(VALU_DEP_1)
	v_cvt_f32_f16_e32 v13, v0
.LBB367_1573:                           ;   in Loop: Header=BB367_991 Depth=1
	s_or_b32 exec_lo, exec_lo, s13
.LBB367_1574:                           ;   in Loop: Header=BB367_991 Depth=1
	s_delay_alu instid0(SALU_CYCLE_1)
	s_or_b32 exec_lo, exec_lo, s12
.LBB367_1575:                           ;   in Loop: Header=BB367_991 Depth=1
	s_delay_alu instid0(SALU_CYCLE_1) | instskip(NEXT) | instid1(SALU_CYCLE_1)
	s_or_b32 exec_lo, exec_lo, s10
	s_mov_b32 s10, exec_lo
	v_cmpx_lt_u64_e64 s[8:9], v[11:12]
	s_cbranch_execz .LBB367_1583
; %bb.1576:                             ;   in Loop: Header=BB367_991 Depth=1
	v_lshrrev_b32_e32 v14, 24, v12
	v_bfrev_b32_e32 v119, 1
	s_mov_b32 s12, exec_lo
	s_delay_alu instid0(VALU_DEP_2)
	v_cmpx_ne_u32_e32 0x80, v14
	s_cbranch_execz .LBB367_1582
; %bb.1577:                             ;   in Loop: Header=BB367_991 Depth=1
	v_and_b32_e32 v11, 0x7f, v14
	v_mov_b32_e32 v119, 0x7fc02000
	s_mov_b32 s13, exec_lo
	s_delay_alu instid0(VALU_DEP_2)
	v_cmpx_ne_u32_e32 0x7f, v11
	s_cbranch_execz .LBB367_1581
; %bb.1578:                             ;   in Loop: Header=BB367_991 Depth=1
	v_and_b32_e32 v0, 7, v14
	v_lshrrev_b32_e32 v119, 3, v11
	v_cmp_gt_u32_e64 s0, 8, v11
	s_delay_alu instid0(VALU_DEP_3) | instskip(NEXT) | instid1(VALU_DEP_2)
	v_dual_mov_b32 v12, v1 :: v_dual_mov_b32 v11, v0
	s_and_saveexec_b32 s15, s0
; %bb.1579:                             ;   in Loop: Header=BB367_991 Depth=1
	v_clz_i32_u32_e32 v11, v0
	s_delay_alu instid0(VALU_DEP_1) | instskip(NEXT) | instid1(VALU_DEP_1)
	v_min_u32_e32 v119, 32, v11
	v_subrev_nc_u32_e32 v11, 28, v119
	v_sub_nc_u32_e32 v119, 29, v119
	s_delay_alu instid0(VALU_DEP_2) | instskip(NEXT) | instid1(VALU_DEP_1)
	v_lshlrev_b64 v[11:12], v11, v[0:1]
	v_and_b32_e32 v11, 7, v11
; %bb.1580:                             ;   in Loop: Header=BB367_991 Depth=1
	s_or_b32 exec_lo, exec_lo, s15
	v_lshlrev_b32_e32 v0, 8, v14
	v_lshl_add_u32 v12, v119, 10, 0x2000
	s_delay_alu instid0(VALU_DEP_1) | instskip(NEXT) | instid1(VALU_DEP_1)
	v_and_or_b32 v0, 0x8000, v0, v12
	v_lshl_or_b32 v0, v11, 7, v0
	s_delay_alu instid0(VALU_DEP_1)
	v_cvt_f32_f16_e32 v119, v0
.LBB367_1581:                           ;   in Loop: Header=BB367_991 Depth=1
	s_or_b32 exec_lo, exec_lo, s13
.LBB367_1582:                           ;   in Loop: Header=BB367_991 Depth=1
	s_delay_alu instid0(SALU_CYCLE_1)
	s_or_b32 exec_lo, exec_lo, s12
.LBB367_1583:                           ;   in Loop: Header=BB367_991 Depth=1
	s_delay_alu instid0(SALU_CYCLE_1)
	s_or_b32 exec_lo, exec_lo, s10
	s_waitcnt vmcnt(0) lgkmcnt(0)
	v_fma_mixlo_f16 v12, v112, v114, 0
	v_fma_mixlo_f16 v0, v112, v116, 0
	;; [unrolled: 1-line block ×5, first 2 shown]
	v_lshlrev_b32_e32 v14, 16, v12
	v_fma_mixlo_f16 v115, v112, v117, 0
	v_fma_mixlo_f16 v116, v112, v119, 0
	;; [unrolled: 1-line block ×3, first 2 shown]
	v_lshlrev_b32_e32 v0, 16, v0
	v_and_b32_e32 v11, 0xffff, v11
	v_and_b32_e32 v112, 0xffff, v113
	v_lshlrev_b32_e32 v113, 16, v114
	v_and_b32_e32 v114, 0xffff, v115
	v_lshlrev_b32_e32 v115, 16, v116
	v_and_b32_e32 v116, 0xffff, v12
	v_or_b32_e32 v13, v0, v11
	v_or_b32_e32 v14, v14, v112
	;; [unrolled: 1-line block ×3, first 2 shown]
	s_delay_alu instid0(VALU_DEP_4)
	v_or_b32_e32 v11, v115, v116
	s_and_saveexec_b32 s10, vcc_lo
	s_cbranch_execz .LBB367_1585
; %bb.1584:                             ;   in Loop: Header=BB367_991 Depth=1
	v_cmp_lt_i32_e64 s0, v15, v36
	v_lshrrev_b32_e32 v112, 16, v14
	v_lshrrev_b32_e32 v113, 16, v13
	;; [unrolled: 1-line block ×4, first 2 shown]
	v_cndmask_b32_e64 v14, 0, v14, s0
	v_cmp_lt_i32_e64 s0, v81, v48
	s_delay_alu instid0(VALU_DEP_1) | instskip(SKIP_1) | instid1(VALU_DEP_2)
	v_cndmask_b32_e64 v112, 0, v112, s0
	v_cmp_lt_i32_e64 s0, v80, v48
	v_perm_b32 v14, v112, v14, 0x5040100
	s_delay_alu instid0(VALU_DEP_2) | instskip(SKIP_1) | instid1(VALU_DEP_1)
	v_cndmask_b32_e64 v113, 0, v113, s0
	v_cmp_lt_i32_e64 s0, v65, v36
	v_cndmask_b32_e64 v13, 0, v13, s0
	v_cmp_lt_i32_e64 s0, v64, v48
	s_delay_alu instid0(VALU_DEP_2) | instskip(NEXT) | instid1(VALU_DEP_2)
	v_perm_b32 v13, v113, v13, 0x5040100
	v_cndmask_b32_e64 v114, 0, v114, s0
	v_cmp_lt_i32_e64 s0, v55, v36
	s_delay_alu instid0(VALU_DEP_1) | instskip(SKIP_1) | instid1(VALU_DEP_2)
	v_cndmask_b32_e64 v0, 0, v0, s0
	v_cmp_lt_i32_e64 s0, v38, v48
	v_perm_b32 v0, v114, v0, 0x5040100
	s_delay_alu instid0(VALU_DEP_2) | instskip(SKIP_1) | instid1(VALU_DEP_1)
	v_cndmask_b32_e64 v11, 0, v11, s0
	v_cmp_lt_i32_e64 s0, v17, v36
	v_cndmask_b32_e64 v12, 0, v12, s0
	s_delay_alu instid0(VALU_DEP_1)
	v_perm_b32 v11, v11, v12, 0x5040100
.LBB367_1585:                           ;   in Loop: Header=BB367_991 Depth=1
	s_or_b32 exec_lo, exec_lo, s10
	;;#ASMSTART
	v_pk_mul_f16 v12, v71, v14;

	;;#ASMEND
	;;#ASMSTART
	v_pk_mul_f16 v13, v69, v13;

	;;#ASMEND
	;; [unrolled: 4-line block ×4, first 2 shown]
	;;#ASMSTART
	v_pk_add_f16 v12, v12, v13;

	;;#ASMEND
	;;#ASMSTART
	v_pk_add_f16 v0, v12, v0;

	;;#ASMEND
	;; [unrolled: 4-line block ×3, first 2 shown]
	v_dual_mov_b32 v116, 0 :: v_dual_and_b32 v11, 0xffff, v0
	v_lshrrev_b32_e32 v0, 16, v0
	;;#ASMSTART
	v_cvt_f32_f16 v112, v11;
	;;#ASMEND
	;;#ASMSTART
	v_cvt_f32_f16 v113, v0;
	;;#ASMEND
	flat_load_b64 v[11:12], v[9:10] offset:2304
	flat_load_b32 v114, v[26:27]
	s_mov_b32 s10, exec_lo
	s_waitcnt vmcnt(1) lgkmcnt(1)
	v_dual_mov_b32 v115, 0 :: v_dual_and_b32 v0, 0xff, v11
	s_delay_alu instid0(VALU_DEP_1)
	v_cmpx_ne_u16_e32 0, v0
	s_cbranch_execz .LBB367_1593
; %bb.1586:                             ;   in Loop: Header=BB367_991 Depth=1
	v_bfrev_b32_e32 v115, 1
	s_mov_b32 s12, exec_lo
	v_cmpx_ne_u16_e32 0x80, v0
	s_cbranch_execz .LBB367_1592
; %bb.1587:                             ;   in Loop: Header=BB367_991 Depth=1
	v_and_b32_e32 v13, 0x7f, v11
	v_mov_b32_e32 v115, 0x7fc02000
	s_mov_b32 s13, exec_lo
	s_delay_alu instid0(VALU_DEP_2)
	v_cmpx_ne_u32_e32 0x7f, v13
	s_cbranch_execz .LBB367_1591
; %bb.1588:                             ;   in Loop: Header=BB367_991 Depth=1
	v_lshrrev_b32_e32 v0, 3, v13
	v_cmp_gt_u32_e64 s0, 8, v13
	v_dual_mov_b32 v14, v12 :: v_dual_mov_b32 v13, v11
	s_delay_alu instid0(VALU_DEP_2)
	s_and_saveexec_b32 s15, s0
; %bb.1589:                             ;   in Loop: Header=BB367_991 Depth=1
	v_and_b32_e32 v0, 7, v11
	s_delay_alu instid0(VALU_DEP_1) | instskip(NEXT) | instid1(VALU_DEP_1)
	v_clz_i32_u32_e32 v0, v0
	v_min_u32_e32 v0, 32, v0
	s_delay_alu instid0(VALU_DEP_1) | instskip(SKIP_1) | instid1(VALU_DEP_2)
	v_subrev_nc_u32_e32 v13, 28, v0
	v_sub_nc_u32_e32 v0, 29, v0
	v_lshlrev_b64 v[13:14], v13, v[11:12]
; %bb.1590:                             ;   in Loop: Header=BB367_991 Depth=1
	s_or_b32 exec_lo, exec_lo, s15
	v_lshlrev_b32_e32 v14, 8, v11
	s_delay_alu instid0(VALU_DEP_3) | instskip(NEXT) | instid1(VALU_DEP_3)
	v_lshl_add_u32 v0, v0, 10, 0x2000
	v_lshlrev_b32_e32 v13, 7, v13
	s_delay_alu instid0(VALU_DEP_2) | instskip(NEXT) | instid1(VALU_DEP_1)
	v_and_or_b32 v0, 0x8000, v14, v0
	v_and_or_b32 v0, 0x380, v13, v0
	s_delay_alu instid0(VALU_DEP_1)
	v_cvt_f32_f16_e32 v115, v0
.LBB367_1591:                           ;   in Loop: Header=BB367_991 Depth=1
	s_or_b32 exec_lo, exec_lo, s13
.LBB367_1592:                           ;   in Loop: Header=BB367_991 Depth=1
	s_delay_alu instid0(SALU_CYCLE_1)
	s_or_b32 exec_lo, exec_lo, s12
.LBB367_1593:                           ;   in Loop: Header=BB367_991 Depth=1
	s_delay_alu instid0(SALU_CYCLE_1) | instskip(SKIP_2) | instid1(VALU_DEP_1)
	s_or_b32 exec_lo, exec_lo, s10
	v_lshrrev_b16 v0, 8, v11
	s_mov_b32 s10, exec_lo
	v_cmpx_ne_u16_e32 0, v0
	s_cbranch_execz .LBB367_1601
; %bb.1594:                             ;   in Loop: Header=BB367_991 Depth=1
	v_bfrev_b32_e32 v116, 1
	s_mov_b32 s12, exec_lo
	v_cmpx_ne_u16_e32 0x80, v0
	s_cbranch_execz .LBB367_1600
; %bb.1595:                             ;   in Loop: Header=BB367_991 Depth=1
	v_and_b32_e32 v117, 0xffff, v0
	v_mov_b32_e32 v116, 0x7fc02000
	s_mov_b32 s13, exec_lo
	s_delay_alu instid0(VALU_DEP_2) | instskip(NEXT) | instid1(VALU_DEP_1)
	v_and_b32_e32 v13, 0x7f, v117
	v_cmpx_ne_u32_e32 0x7f, v13
	s_cbranch_execz .LBB367_1599
; %bb.1596:                             ;   in Loop: Header=BB367_991 Depth=1
	v_and_b32_e32 v0, 7, v117
	v_lshrrev_b32_e32 v116, 3, v13
	v_cmp_gt_u32_e64 s0, 8, v13
	s_delay_alu instid0(VALU_DEP_3) | instskip(NEXT) | instid1(VALU_DEP_2)
	v_dual_mov_b32 v14, v1 :: v_dual_mov_b32 v13, v0
	s_and_saveexec_b32 s15, s0
; %bb.1597:                             ;   in Loop: Header=BB367_991 Depth=1
	v_clz_i32_u32_e32 v13, v0
	s_delay_alu instid0(VALU_DEP_1) | instskip(NEXT) | instid1(VALU_DEP_1)
	v_min_u32_e32 v116, 32, v13
	v_subrev_nc_u32_e32 v13, 28, v116
	v_sub_nc_u32_e32 v116, 29, v116
	s_delay_alu instid0(VALU_DEP_2) | instskip(NEXT) | instid1(VALU_DEP_1)
	v_lshlrev_b64 v[13:14], v13, v[0:1]
	v_and_b32_e32 v13, 7, v13
; %bb.1598:                             ;   in Loop: Header=BB367_991 Depth=1
	s_or_b32 exec_lo, exec_lo, s15
	v_lshlrev_b32_e32 v0, 8, v117
	v_lshl_add_u32 v14, v116, 10, 0x2000
	s_delay_alu instid0(VALU_DEP_1) | instskip(NEXT) | instid1(VALU_DEP_1)
	v_and_or_b32 v0, 0x8000, v0, v14
	v_lshl_or_b32 v0, v13, 7, v0
	s_delay_alu instid0(VALU_DEP_1)
	v_cvt_f32_f16_e32 v116, v0
.LBB367_1599:                           ;   in Loop: Header=BB367_991 Depth=1
	s_or_b32 exec_lo, exec_lo, s13
.LBB367_1600:                           ;   in Loop: Header=BB367_991 Depth=1
	s_delay_alu instid0(SALU_CYCLE_1)
	s_or_b32 exec_lo, exec_lo, s12
.LBB367_1601:                           ;   in Loop: Header=BB367_991 Depth=1
	s_delay_alu instid0(SALU_CYCLE_1) | instskip(SKIP_3) | instid1(VALU_DEP_2)
	s_or_b32 exec_lo, exec_lo, s10
	v_lshrrev_b32_e32 v119, 16, v11
	v_mov_b32_e32 v118, 0
	s_mov_b32 s10, exec_lo
	v_dual_mov_b32 v117, 0 :: v_dual_and_b32 v0, 0xff, v119
	s_delay_alu instid0(VALU_DEP_1)
	v_cmpx_ne_u16_e32 0, v0
	s_cbranch_execz .LBB367_1609
; %bb.1602:                             ;   in Loop: Header=BB367_991 Depth=1
	v_bfrev_b32_e32 v117, 1
	s_mov_b32 s12, exec_lo
	v_cmpx_ne_u16_e32 0x80, v0
	s_cbranch_execz .LBB367_1608
; %bb.1603:                             ;   in Loop: Header=BB367_991 Depth=1
	v_bfe_u32 v13, v11, 16, 7
	v_mov_b32_e32 v117, 0x7fc02000
	s_mov_b32 s13, exec_lo
	s_delay_alu instid0(VALU_DEP_2)
	v_cmpx_ne_u32_e32 0x7f, v13
	s_cbranch_execz .LBB367_1607
; %bb.1604:                             ;   in Loop: Header=BB367_991 Depth=1
	v_and_b32_e32 v0, 7, v119
	v_lshrrev_b32_e32 v117, 3, v13
	v_cmp_gt_u32_e64 s0, 8, v13
	s_delay_alu instid0(VALU_DEP_3) | instskip(NEXT) | instid1(VALU_DEP_2)
	v_dual_mov_b32 v14, v1 :: v_dual_mov_b32 v13, v0
	s_and_saveexec_b32 s15, s0
; %bb.1605:                             ;   in Loop: Header=BB367_991 Depth=1
	v_clz_i32_u32_e32 v13, v0
	s_delay_alu instid0(VALU_DEP_1) | instskip(NEXT) | instid1(VALU_DEP_1)
	v_min_u32_e32 v117, 32, v13
	v_subrev_nc_u32_e32 v13, 28, v117
	v_sub_nc_u32_e32 v117, 29, v117
	s_delay_alu instid0(VALU_DEP_2) | instskip(NEXT) | instid1(VALU_DEP_1)
	v_lshlrev_b64 v[13:14], v13, v[0:1]
	v_and_b32_e32 v13, 7, v13
; %bb.1606:                             ;   in Loop: Header=BB367_991 Depth=1
	s_or_b32 exec_lo, exec_lo, s15
	v_lshlrev_b32_e32 v0, 8, v119
	v_lshl_add_u32 v14, v117, 10, 0x2000
	s_delay_alu instid0(VALU_DEP_1) | instskip(NEXT) | instid1(VALU_DEP_1)
	v_and_or_b32 v0, 0x8000, v0, v14
	v_lshl_or_b32 v0, v13, 7, v0
	s_delay_alu instid0(VALU_DEP_1)
	v_cvt_f32_f16_e32 v117, v0
.LBB367_1607:                           ;   in Loop: Header=BB367_991 Depth=1
	s_or_b32 exec_lo, exec_lo, s13
.LBB367_1608:                           ;   in Loop: Header=BB367_991 Depth=1
	s_delay_alu instid0(SALU_CYCLE_1)
	s_or_b32 exec_lo, exec_lo, s12
.LBB367_1609:                           ;   in Loop: Header=BB367_991 Depth=1
	s_delay_alu instid0(SALU_CYCLE_1) | instskip(NEXT) | instid1(SALU_CYCLE_1)
	s_or_b32 exec_lo, exec_lo, s10
	s_mov_b32 s10, exec_lo
	v_cmpx_lt_u32_e32 0xffffff, v11
	s_cbranch_execz .LBB367_1617
; %bb.1610:                             ;   in Loop: Header=BB367_991 Depth=1
	v_lshrrev_b32_e32 v119, 24, v11
	v_bfrev_b32_e32 v118, 1
	s_mov_b32 s12, exec_lo
	s_delay_alu instid0(VALU_DEP_2)
	v_cmpx_ne_u32_e32 0x80, v119
	s_cbranch_execz .LBB367_1616
; %bb.1611:                             ;   in Loop: Header=BB367_991 Depth=1
	v_and_b32_e32 v13, 0x7f, v119
	v_mov_b32_e32 v118, 0x7fc02000
	s_mov_b32 s13, exec_lo
	s_delay_alu instid0(VALU_DEP_2)
	v_cmpx_ne_u32_e32 0x7f, v13
	s_cbranch_execz .LBB367_1615
; %bb.1612:                             ;   in Loop: Header=BB367_991 Depth=1
	v_and_b32_e32 v0, 7, v119
	v_lshrrev_b32_e32 v118, 3, v13
	v_cmp_gt_u32_e64 s0, 8, v13
	s_delay_alu instid0(VALU_DEP_3) | instskip(NEXT) | instid1(VALU_DEP_2)
	v_dual_mov_b32 v14, v1 :: v_dual_mov_b32 v13, v0
	s_and_saveexec_b32 s15, s0
; %bb.1613:                             ;   in Loop: Header=BB367_991 Depth=1
	v_clz_i32_u32_e32 v13, v0
	s_delay_alu instid0(VALU_DEP_1) | instskip(NEXT) | instid1(VALU_DEP_1)
	v_min_u32_e32 v118, 32, v13
	v_subrev_nc_u32_e32 v13, 28, v118
	v_sub_nc_u32_e32 v118, 29, v118
	s_delay_alu instid0(VALU_DEP_2) | instskip(NEXT) | instid1(VALU_DEP_1)
	v_lshlrev_b64 v[13:14], v13, v[0:1]
	v_and_b32_e32 v13, 7, v13
; %bb.1614:                             ;   in Loop: Header=BB367_991 Depth=1
	s_or_b32 exec_lo, exec_lo, s15
	v_lshlrev_b32_e32 v0, 8, v119
	v_lshl_add_u32 v14, v118, 10, 0x2000
	s_delay_alu instid0(VALU_DEP_1) | instskip(NEXT) | instid1(VALU_DEP_1)
	v_and_or_b32 v0, 0x8000, v0, v14
	v_lshl_or_b32 v0, v13, 7, v0
	s_delay_alu instid0(VALU_DEP_1)
	v_cvt_f32_f16_e32 v118, v0
.LBB367_1615:                           ;   in Loop: Header=BB367_991 Depth=1
	s_or_b32 exec_lo, exec_lo, s13
.LBB367_1616:                           ;   in Loop: Header=BB367_991 Depth=1
	s_delay_alu instid0(SALU_CYCLE_1)
	s_or_b32 exec_lo, exec_lo, s12
.LBB367_1617:                           ;   in Loop: Header=BB367_991 Depth=1
	s_delay_alu instid0(SALU_CYCLE_1) | instskip(SKIP_3) | instid1(VALU_DEP_2)
	s_or_b32 exec_lo, exec_lo, s10
	v_dual_mov_b32 v0, v12 :: v_dual_and_b32 v13, 0xff, v12
	v_dual_mov_b32 v128, 0 :: v_dual_mov_b32 v119, 0
	s_mov_b32 s10, exec_lo
	v_cmpx_ne_u16_e32 0, v13
	s_cbranch_execz .LBB367_1625
; %bb.1618:                             ;   in Loop: Header=BB367_991 Depth=1
	v_bfrev_b32_e32 v119, 1
	s_mov_b32 s12, exec_lo
	v_cmpx_ne_u16_e32 0x80, v13
	s_cbranch_execz .LBB367_1624
; %bb.1619:                             ;   in Loop: Header=BB367_991 Depth=1
	v_and_b32_e32 v13, 0x7f, v12
	v_mov_b32_e32 v119, 0x7fc02000
	s_mov_b32 s13, exec_lo
	s_delay_alu instid0(VALU_DEP_2)
	v_cmpx_ne_u32_e32 0x7f, v13
	s_cbranch_execz .LBB367_1623
; %bb.1620:                             ;   in Loop: Header=BB367_991 Depth=1
	v_lshrrev_b32_e32 v119, 3, v13
	v_cmp_gt_u32_e64 s0, 8, v13
	v_dual_mov_b32 v14, v1 :: v_dual_mov_b32 v13, v0
	s_delay_alu instid0(VALU_DEP_2)
	s_and_saveexec_b32 s15, s0
; %bb.1621:                             ;   in Loop: Header=BB367_991 Depth=1
	v_and_b32_e32 v13, 7, v12
	s_delay_alu instid0(VALU_DEP_1) | instskip(NEXT) | instid1(VALU_DEP_1)
	v_clz_i32_u32_e32 v13, v13
	v_min_u32_e32 v119, 32, v13
	s_delay_alu instid0(VALU_DEP_1) | instskip(SKIP_1) | instid1(VALU_DEP_2)
	v_subrev_nc_u32_e32 v13, 28, v119
	v_sub_nc_u32_e32 v119, 29, v119
	v_lshlrev_b64 v[13:14], v13, v[0:1]
; %bb.1622:                             ;   in Loop: Header=BB367_991 Depth=1
	s_or_b32 exec_lo, exec_lo, s15
	v_lshlrev_b32_e32 v14, 8, v12
	s_delay_alu instid0(VALU_DEP_3) | instskip(NEXT) | instid1(VALU_DEP_3)
	v_lshl_add_u32 v119, v119, 10, 0x2000
	v_lshlrev_b32_e32 v13, 7, v13
	s_delay_alu instid0(VALU_DEP_2) | instskip(NEXT) | instid1(VALU_DEP_1)
	v_and_or_b32 v14, 0x8000, v14, v119
	v_and_or_b32 v13, 0x380, v13, v14
	s_delay_alu instid0(VALU_DEP_1)
	v_cvt_f32_f16_e32 v119, v13
.LBB367_1623:                           ;   in Loop: Header=BB367_991 Depth=1
	s_or_b32 exec_lo, exec_lo, s13
.LBB367_1624:                           ;   in Loop: Header=BB367_991 Depth=1
	s_delay_alu instid0(SALU_CYCLE_1)
	s_or_b32 exec_lo, exec_lo, s12
.LBB367_1625:                           ;   in Loop: Header=BB367_991 Depth=1
	s_delay_alu instid0(SALU_CYCLE_1) | instskip(SKIP_2) | instid1(VALU_DEP_1)
	s_or_b32 exec_lo, exec_lo, s10
	v_lshrrev_b16 v0, 8, v0
	s_mov_b32 s10, exec_lo
	v_cmpx_ne_u16_e32 0, v0
	s_cbranch_execz .LBB367_1633
; %bb.1626:                             ;   in Loop: Header=BB367_991 Depth=1
	v_bfrev_b32_e32 v128, 1
	s_mov_b32 s12, exec_lo
	v_cmpx_ne_u16_e32 0x80, v0
	s_cbranch_execz .LBB367_1632
; %bb.1627:                             ;   in Loop: Header=BB367_991 Depth=1
	v_and_b32_e32 v129, 0xffff, v0
	v_mov_b32_e32 v128, 0x7fc02000
	s_mov_b32 s13, exec_lo
	s_delay_alu instid0(VALU_DEP_2) | instskip(NEXT) | instid1(VALU_DEP_1)
	v_and_b32_e32 v13, 0x7f, v129
	v_cmpx_ne_u32_e32 0x7f, v13
	s_cbranch_execz .LBB367_1631
; %bb.1628:                             ;   in Loop: Header=BB367_991 Depth=1
	v_and_b32_e32 v0, 7, v129
	v_lshrrev_b32_e32 v128, 3, v13
	v_cmp_gt_u32_e64 s0, 8, v13
	s_delay_alu instid0(VALU_DEP_3) | instskip(NEXT) | instid1(VALU_DEP_2)
	v_dual_mov_b32 v14, v1 :: v_dual_mov_b32 v13, v0
	s_and_saveexec_b32 s15, s0
; %bb.1629:                             ;   in Loop: Header=BB367_991 Depth=1
	v_clz_i32_u32_e32 v13, v0
	s_delay_alu instid0(VALU_DEP_1) | instskip(NEXT) | instid1(VALU_DEP_1)
	v_min_u32_e32 v128, 32, v13
	v_subrev_nc_u32_e32 v13, 28, v128
	v_sub_nc_u32_e32 v128, 29, v128
	s_delay_alu instid0(VALU_DEP_2) | instskip(NEXT) | instid1(VALU_DEP_1)
	v_lshlrev_b64 v[13:14], v13, v[0:1]
	v_and_b32_e32 v13, 7, v13
; %bb.1630:                             ;   in Loop: Header=BB367_991 Depth=1
	s_or_b32 exec_lo, exec_lo, s15
	v_lshlrev_b32_e32 v0, 8, v129
	v_lshl_add_u32 v14, v128, 10, 0x2000
	s_delay_alu instid0(VALU_DEP_1) | instskip(NEXT) | instid1(VALU_DEP_1)
	v_and_or_b32 v0, 0x8000, v0, v14
	v_lshl_or_b32 v0, v13, 7, v0
	s_delay_alu instid0(VALU_DEP_1)
	v_cvt_f32_f16_e64 v128, v0
.LBB367_1631:                           ;   in Loop: Header=BB367_991 Depth=1
	s_or_b32 exec_lo, exec_lo, s13
.LBB367_1632:                           ;   in Loop: Header=BB367_991 Depth=1
	s_delay_alu instid0(SALU_CYCLE_1)
	s_or_b32 exec_lo, exec_lo, s12
.LBB367_1633:                           ;   in Loop: Header=BB367_991 Depth=1
	s_delay_alu instid0(SALU_CYCLE_1) | instskip(SKIP_3) | instid1(VALU_DEP_2)
	s_or_b32 exec_lo, exec_lo, s10
	v_lshrrev_b32_e32 v130, 16, v12
	v_mov_b32_e32 v13, 0
	s_mov_b32 s10, exec_lo
	v_dual_mov_b32 v129, 0 :: v_dual_and_b32 v0, 0xff, v130
	s_delay_alu instid0(VALU_DEP_1)
	v_cmpx_ne_u16_e32 0, v0
	s_cbranch_execz .LBB367_1641
; %bb.1634:                             ;   in Loop: Header=BB367_991 Depth=1
	v_bfrev_b32_e32 v13, 1
	s_mov_b32 s12, exec_lo
	v_cmpx_ne_u16_e32 0x80, v0
	s_cbranch_execz .LBB367_1640
; %bb.1635:                             ;   in Loop: Header=BB367_991 Depth=1
	v_bfe_u32 v14, v12, 16, 7
	v_mov_b32_e32 v13, 0x7fc02000
	s_mov_b32 s13, exec_lo
	s_delay_alu instid0(VALU_DEP_2)
	v_cmpx_ne_u32_e32 0x7f, v14
	s_cbranch_execz .LBB367_1639
; %bb.1636:                             ;   in Loop: Header=BB367_991 Depth=1
	v_and_b32_e32 v0, 7, v130
	v_lshrrev_b32_e32 v131, 3, v14
	v_cmp_gt_u32_e64 s0, 8, v14
	s_delay_alu instid0(VALU_DEP_3) | instskip(NEXT) | instid1(VALU_DEP_2)
	v_dual_mov_b32 v14, v1 :: v_dual_mov_b32 v13, v0
	s_and_saveexec_b32 s15, s0
; %bb.1637:                             ;   in Loop: Header=BB367_991 Depth=1
	v_clz_i32_u32_e32 v13, v0
	s_delay_alu instid0(VALU_DEP_1) | instskip(NEXT) | instid1(VALU_DEP_1)
	v_min_u32_e32 v131, 32, v13
	v_subrev_nc_u32_e32 v13, 28, v131
	v_sub_nc_u32_e32 v131, 29, v131
	s_delay_alu instid0(VALU_DEP_2) | instskip(NEXT) | instid1(VALU_DEP_1)
	v_lshlrev_b64 v[13:14], v13, v[0:1]
	v_and_b32_e32 v13, 7, v13
; %bb.1638:                             ;   in Loop: Header=BB367_991 Depth=1
	s_or_b32 exec_lo, exec_lo, s15
	v_lshlrev_b32_e32 v0, 8, v130
	v_lshl_add_u32 v14, v131, 10, 0x2000
	s_delay_alu instid0(VALU_DEP_1) | instskip(NEXT) | instid1(VALU_DEP_1)
	v_and_or_b32 v0, 0x8000, v0, v14
	v_lshl_or_b32 v0, v13, 7, v0
	s_delay_alu instid0(VALU_DEP_1)
	v_cvt_f32_f16_e32 v13, v0
.LBB367_1639:                           ;   in Loop: Header=BB367_991 Depth=1
	s_or_b32 exec_lo, exec_lo, s13
.LBB367_1640:                           ;   in Loop: Header=BB367_991 Depth=1
	s_delay_alu instid0(SALU_CYCLE_1)
	s_or_b32 exec_lo, exec_lo, s12
.LBB367_1641:                           ;   in Loop: Header=BB367_991 Depth=1
	s_delay_alu instid0(SALU_CYCLE_1) | instskip(NEXT) | instid1(SALU_CYCLE_1)
	s_or_b32 exec_lo, exec_lo, s10
	s_mov_b32 s10, exec_lo
	v_cmpx_lt_u64_e64 s[8:9], v[11:12]
	s_cbranch_execz .LBB367_1649
; %bb.1642:                             ;   in Loop: Header=BB367_991 Depth=1
	v_lshrrev_b32_e32 v14, 24, v12
	v_bfrev_b32_e32 v129, 1
	s_mov_b32 s12, exec_lo
	s_delay_alu instid0(VALU_DEP_2)
	v_cmpx_ne_u32_e32 0x80, v14
	s_cbranch_execz .LBB367_1648
; %bb.1643:                             ;   in Loop: Header=BB367_991 Depth=1
	v_and_b32_e32 v11, 0x7f, v14
	v_mov_b32_e32 v129, 0x7fc02000
	s_mov_b32 s13, exec_lo
	s_delay_alu instid0(VALU_DEP_2)
	v_cmpx_ne_u32_e32 0x7f, v11
	s_cbranch_execz .LBB367_1647
; %bb.1644:                             ;   in Loop: Header=BB367_991 Depth=1
	v_and_b32_e32 v0, 7, v14
	v_lshrrev_b32_e32 v129, 3, v11
	v_cmp_gt_u32_e64 s0, 8, v11
	s_delay_alu instid0(VALU_DEP_3) | instskip(NEXT) | instid1(VALU_DEP_2)
	v_dual_mov_b32 v12, v1 :: v_dual_mov_b32 v11, v0
	s_and_saveexec_b32 s15, s0
; %bb.1645:                             ;   in Loop: Header=BB367_991 Depth=1
	v_clz_i32_u32_e32 v11, v0
	s_delay_alu instid0(VALU_DEP_1) | instskip(NEXT) | instid1(VALU_DEP_1)
	v_min_u32_e32 v129, 32, v11
	v_subrev_nc_u32_e32 v11, 28, v129
	v_sub_nc_u32_e32 v129, 29, v129
	s_delay_alu instid0(VALU_DEP_2) | instskip(NEXT) | instid1(VALU_DEP_1)
	v_lshlrev_b64 v[11:12], v11, v[0:1]
	v_and_b32_e32 v11, 7, v11
; %bb.1646:                             ;   in Loop: Header=BB367_991 Depth=1
	s_or_b32 exec_lo, exec_lo, s15
	v_lshlrev_b32_e32 v0, 8, v14
	v_lshl_add_u32 v12, v129, 10, 0x2000
	s_delay_alu instid0(VALU_DEP_1) | instskip(NEXT) | instid1(VALU_DEP_1)
	v_and_or_b32 v0, 0x8000, v0, v12
	v_lshl_or_b32 v0, v11, 7, v0
	s_delay_alu instid0(VALU_DEP_1)
	v_cvt_f32_f16_e64 v129, v0
.LBB367_1647:                           ;   in Loop: Header=BB367_991 Depth=1
	s_or_b32 exec_lo, exec_lo, s13
.LBB367_1648:                           ;   in Loop: Header=BB367_991 Depth=1
	s_delay_alu instid0(SALU_CYCLE_1)
	s_or_b32 exec_lo, exec_lo, s12
.LBB367_1649:                           ;   in Loop: Header=BB367_991 Depth=1
	s_delay_alu instid0(SALU_CYCLE_1)
	s_or_b32 exec_lo, exec_lo, s10
	s_waitcnt vmcnt(0) lgkmcnt(0)
	v_fma_mixlo_f16 v12, v114, v116, 0
	v_fma_mixlo_f16 v0, v114, v118, 0
	v_fma_mixlo_f16 v11, v114, v117, 0
	v_fma_mixlo_f16 v115, v114, v115, 0
	v_fma_mixlo_f16 v116, v114, v128, 0
	v_lshlrev_b32_e32 v14, 16, v12
	v_fma_mixlo_f16 v117, v114, v119, 0
	v_fma_mixlo_f16 v118, v114, v129, 0
	;; [unrolled: 1-line block ×3, first 2 shown]
	v_lshlrev_b32_e32 v0, 16, v0
	v_and_b32_e32 v11, 0xffff, v11
	v_and_b32_e32 v114, 0xffff, v115
	v_lshlrev_b32_e32 v115, 16, v116
	v_and_b32_e32 v116, 0xffff, v117
	v_lshlrev_b32_e32 v117, 16, v118
	v_and_b32_e32 v118, 0xffff, v12
	v_or_b32_e32 v13, v0, v11
	v_or_b32_e32 v14, v14, v114
	;; [unrolled: 1-line block ×3, first 2 shown]
	s_delay_alu instid0(VALU_DEP_4)
	v_or_b32_e32 v11, v117, v118
	s_and_saveexec_b32 s10, vcc_lo
	s_cbranch_execz .LBB367_1651
; %bb.1650:                             ;   in Loop: Header=BB367_991 Depth=1
	v_cmp_lt_i32_e64 s0, v15, v36
	v_lshrrev_b32_e32 v114, 16, v14
	v_lshrrev_b32_e32 v115, 16, v13
	v_lshrrev_b32_e32 v116, 16, v0
	v_lshrrev_b32_e32 v11, 16, v11
	v_cndmask_b32_e64 v14, 0, v14, s0
	v_cmp_lt_i32_e64 s0, v81, v48
	s_delay_alu instid0(VALU_DEP_1) | instskip(SKIP_1) | instid1(VALU_DEP_2)
	v_cndmask_b32_e64 v114, 0, v114, s0
	v_cmp_lt_i32_e64 s0, v80, v48
	v_perm_b32 v14, v114, v14, 0x5040100
	s_delay_alu instid0(VALU_DEP_2) | instskip(SKIP_1) | instid1(VALU_DEP_1)
	v_cndmask_b32_e64 v115, 0, v115, s0
	v_cmp_lt_i32_e64 s0, v65, v36
	v_cndmask_b32_e64 v13, 0, v13, s0
	v_cmp_lt_i32_e64 s0, v64, v48
	s_delay_alu instid0(VALU_DEP_2) | instskip(NEXT) | instid1(VALU_DEP_2)
	v_perm_b32 v13, v115, v13, 0x5040100
	v_cndmask_b32_e64 v116, 0, v116, s0
	v_cmp_lt_i32_e64 s0, v55, v36
	s_delay_alu instid0(VALU_DEP_1) | instskip(SKIP_1) | instid1(VALU_DEP_2)
	v_cndmask_b32_e64 v0, 0, v0, s0
	v_cmp_lt_i32_e64 s0, v38, v48
	v_perm_b32 v0, v116, v0, 0x5040100
	s_delay_alu instid0(VALU_DEP_2) | instskip(SKIP_1) | instid1(VALU_DEP_1)
	v_cndmask_b32_e64 v11, 0, v11, s0
	v_cmp_lt_i32_e64 s0, v17, v36
	v_cndmask_b32_e64 v12, 0, v12, s0
	s_delay_alu instid0(VALU_DEP_1)
	v_perm_b32 v11, v11, v12, 0x5040100
.LBB367_1651:                           ;   in Loop: Header=BB367_991 Depth=1
	s_or_b32 exec_lo, exec_lo, s10
	;;#ASMSTART
	v_pk_mul_f16 v12, v71, v14;

	;;#ASMEND
	;;#ASMSTART
	v_pk_mul_f16 v13, v69, v13;

	;;#ASMEND
	;; [unrolled: 4-line block ×4, first 2 shown]
	;;#ASMSTART
	v_pk_add_f16 v12, v12, v13;

	;;#ASMEND
	;;#ASMSTART
	v_pk_add_f16 v0, v12, v0;

	;;#ASMEND
	;; [unrolled: 4-line block ×3, first 2 shown]
	v_dual_mov_b32 v118, 0 :: v_dual_and_b32 v11, 0xffff, v0
	v_lshrrev_b32_e32 v0, 16, v0
	;;#ASMSTART
	v_cvt_f32_f16 v114, v11;
	;;#ASMEND
	;;#ASMSTART
	v_cvt_f32_f16 v115, v0;
	;;#ASMEND
	flat_load_b64 v[11:12], v[9:10] offset:2560
	flat_load_b32 v116, v[26:27]
	s_mov_b32 s10, exec_lo
	s_waitcnt vmcnt(1) lgkmcnt(1)
	v_dual_mov_b32 v117, 0 :: v_dual_and_b32 v0, 0xff, v11
	s_delay_alu instid0(VALU_DEP_1)
	v_cmpx_ne_u16_e32 0, v0
	s_cbranch_execz .LBB367_1659
; %bb.1652:                             ;   in Loop: Header=BB367_991 Depth=1
	v_bfrev_b32_e32 v117, 1
	s_mov_b32 s12, exec_lo
	v_cmpx_ne_u16_e32 0x80, v0
	s_cbranch_execz .LBB367_1658
; %bb.1653:                             ;   in Loop: Header=BB367_991 Depth=1
	v_and_b32_e32 v13, 0x7f, v11
	v_mov_b32_e32 v117, 0x7fc02000
	s_mov_b32 s13, exec_lo
	s_delay_alu instid0(VALU_DEP_2)
	v_cmpx_ne_u32_e32 0x7f, v13
	s_cbranch_execz .LBB367_1657
; %bb.1654:                             ;   in Loop: Header=BB367_991 Depth=1
	v_lshrrev_b32_e32 v0, 3, v13
	v_cmp_gt_u32_e64 s0, 8, v13
	v_dual_mov_b32 v14, v12 :: v_dual_mov_b32 v13, v11
	s_delay_alu instid0(VALU_DEP_2)
	s_and_saveexec_b32 s15, s0
; %bb.1655:                             ;   in Loop: Header=BB367_991 Depth=1
	v_and_b32_e32 v0, 7, v11
	s_delay_alu instid0(VALU_DEP_1) | instskip(NEXT) | instid1(VALU_DEP_1)
	v_clz_i32_u32_e32 v0, v0
	v_min_u32_e32 v0, 32, v0
	s_delay_alu instid0(VALU_DEP_1) | instskip(SKIP_1) | instid1(VALU_DEP_2)
	v_subrev_nc_u32_e32 v13, 28, v0
	v_sub_nc_u32_e32 v0, 29, v0
	v_lshlrev_b64 v[13:14], v13, v[11:12]
; %bb.1656:                             ;   in Loop: Header=BB367_991 Depth=1
	s_or_b32 exec_lo, exec_lo, s15
	v_lshlrev_b32_e32 v14, 8, v11
	s_delay_alu instid0(VALU_DEP_3) | instskip(NEXT) | instid1(VALU_DEP_3)
	v_lshl_add_u32 v0, v0, 10, 0x2000
	v_lshlrev_b32_e32 v13, 7, v13
	s_delay_alu instid0(VALU_DEP_2) | instskip(NEXT) | instid1(VALU_DEP_1)
	v_and_or_b32 v0, 0x8000, v14, v0
	v_and_or_b32 v0, 0x380, v13, v0
	s_delay_alu instid0(VALU_DEP_1)
	v_cvt_f32_f16_e32 v117, v0
.LBB367_1657:                           ;   in Loop: Header=BB367_991 Depth=1
	s_or_b32 exec_lo, exec_lo, s13
.LBB367_1658:                           ;   in Loop: Header=BB367_991 Depth=1
	s_delay_alu instid0(SALU_CYCLE_1)
	s_or_b32 exec_lo, exec_lo, s12
.LBB367_1659:                           ;   in Loop: Header=BB367_991 Depth=1
	s_delay_alu instid0(SALU_CYCLE_1) | instskip(SKIP_2) | instid1(VALU_DEP_1)
	s_or_b32 exec_lo, exec_lo, s10
	v_lshrrev_b16 v0, 8, v11
	s_mov_b32 s10, exec_lo
	v_cmpx_ne_u16_e32 0, v0
	s_cbranch_execz .LBB367_1667
; %bb.1660:                             ;   in Loop: Header=BB367_991 Depth=1
	v_bfrev_b32_e32 v118, 1
	s_mov_b32 s12, exec_lo
	v_cmpx_ne_u16_e32 0x80, v0
	s_cbranch_execz .LBB367_1666
; %bb.1661:                             ;   in Loop: Header=BB367_991 Depth=1
	v_and_b32_e32 v119, 0xffff, v0
	v_mov_b32_e32 v118, 0x7fc02000
	s_mov_b32 s13, exec_lo
	s_delay_alu instid0(VALU_DEP_2) | instskip(NEXT) | instid1(VALU_DEP_1)
	v_and_b32_e32 v13, 0x7f, v119
	v_cmpx_ne_u32_e32 0x7f, v13
	s_cbranch_execz .LBB367_1665
; %bb.1662:                             ;   in Loop: Header=BB367_991 Depth=1
	v_and_b32_e32 v0, 7, v119
	v_lshrrev_b32_e32 v118, 3, v13
	v_cmp_gt_u32_e64 s0, 8, v13
	s_delay_alu instid0(VALU_DEP_3) | instskip(NEXT) | instid1(VALU_DEP_2)
	v_dual_mov_b32 v14, v1 :: v_dual_mov_b32 v13, v0
	s_and_saveexec_b32 s15, s0
; %bb.1663:                             ;   in Loop: Header=BB367_991 Depth=1
	v_clz_i32_u32_e32 v13, v0
	s_delay_alu instid0(VALU_DEP_1) | instskip(NEXT) | instid1(VALU_DEP_1)
	v_min_u32_e32 v118, 32, v13
	v_subrev_nc_u32_e32 v13, 28, v118
	v_sub_nc_u32_e32 v118, 29, v118
	s_delay_alu instid0(VALU_DEP_2) | instskip(NEXT) | instid1(VALU_DEP_1)
	v_lshlrev_b64 v[13:14], v13, v[0:1]
	v_and_b32_e32 v13, 7, v13
; %bb.1664:                             ;   in Loop: Header=BB367_991 Depth=1
	s_or_b32 exec_lo, exec_lo, s15
	v_lshlrev_b32_e32 v0, 8, v119
	v_lshl_add_u32 v14, v118, 10, 0x2000
	s_delay_alu instid0(VALU_DEP_1) | instskip(NEXT) | instid1(VALU_DEP_1)
	v_and_or_b32 v0, 0x8000, v0, v14
	v_lshl_or_b32 v0, v13, 7, v0
	s_delay_alu instid0(VALU_DEP_1)
	v_cvt_f32_f16_e32 v118, v0
.LBB367_1665:                           ;   in Loop: Header=BB367_991 Depth=1
	s_or_b32 exec_lo, exec_lo, s13
.LBB367_1666:                           ;   in Loop: Header=BB367_991 Depth=1
	s_delay_alu instid0(SALU_CYCLE_1)
	s_or_b32 exec_lo, exec_lo, s12
.LBB367_1667:                           ;   in Loop: Header=BB367_991 Depth=1
	s_delay_alu instid0(SALU_CYCLE_1) | instskip(SKIP_3) | instid1(VALU_DEP_2)
	s_or_b32 exec_lo, exec_lo, s10
	v_lshrrev_b32_e32 v129, 16, v11
	v_mov_b32_e32 v128, 0
	s_mov_b32 s10, exec_lo
	v_dual_mov_b32 v119, 0 :: v_dual_and_b32 v0, 0xff, v129
	s_delay_alu instid0(VALU_DEP_1)
	v_cmpx_ne_u16_e32 0, v0
	s_cbranch_execz .LBB367_1675
; %bb.1668:                             ;   in Loop: Header=BB367_991 Depth=1
	v_bfrev_b32_e32 v119, 1
	s_mov_b32 s12, exec_lo
	v_cmpx_ne_u16_e32 0x80, v0
	s_cbranch_execz .LBB367_1674
; %bb.1669:                             ;   in Loop: Header=BB367_991 Depth=1
	v_bfe_u32 v13, v11, 16, 7
	v_mov_b32_e32 v119, 0x7fc02000
	s_mov_b32 s13, exec_lo
	s_delay_alu instid0(VALU_DEP_2)
	v_cmpx_ne_u32_e32 0x7f, v13
	s_cbranch_execz .LBB367_1673
; %bb.1670:                             ;   in Loop: Header=BB367_991 Depth=1
	v_and_b32_e32 v0, 7, v129
	v_lshrrev_b32_e32 v119, 3, v13
	v_cmp_gt_u32_e64 s0, 8, v13
	s_delay_alu instid0(VALU_DEP_3) | instskip(NEXT) | instid1(VALU_DEP_2)
	v_dual_mov_b32 v14, v1 :: v_dual_mov_b32 v13, v0
	s_and_saveexec_b32 s15, s0
; %bb.1671:                             ;   in Loop: Header=BB367_991 Depth=1
	v_clz_i32_u32_e32 v13, v0
	s_delay_alu instid0(VALU_DEP_1) | instskip(NEXT) | instid1(VALU_DEP_1)
	v_min_u32_e32 v119, 32, v13
	v_subrev_nc_u32_e32 v13, 28, v119
	v_sub_nc_u32_e32 v119, 29, v119
	s_delay_alu instid0(VALU_DEP_2) | instskip(NEXT) | instid1(VALU_DEP_1)
	v_lshlrev_b64 v[13:14], v13, v[0:1]
	v_and_b32_e32 v13, 7, v13
; %bb.1672:                             ;   in Loop: Header=BB367_991 Depth=1
	s_or_b32 exec_lo, exec_lo, s15
	v_lshlrev_b32_e32 v0, 8, v129
	v_lshl_add_u32 v14, v119, 10, 0x2000
	s_delay_alu instid0(VALU_DEP_1) | instskip(NEXT) | instid1(VALU_DEP_1)
	v_and_or_b32 v0, 0x8000, v0, v14
	v_lshl_or_b32 v0, v13, 7, v0
	s_delay_alu instid0(VALU_DEP_1)
	v_cvt_f32_f16_e32 v119, v0
.LBB367_1673:                           ;   in Loop: Header=BB367_991 Depth=1
	s_or_b32 exec_lo, exec_lo, s13
.LBB367_1674:                           ;   in Loop: Header=BB367_991 Depth=1
	s_delay_alu instid0(SALU_CYCLE_1)
	s_or_b32 exec_lo, exec_lo, s12
.LBB367_1675:                           ;   in Loop: Header=BB367_991 Depth=1
	s_delay_alu instid0(SALU_CYCLE_1) | instskip(NEXT) | instid1(SALU_CYCLE_1)
	s_or_b32 exec_lo, exec_lo, s10
	s_mov_b32 s10, exec_lo
	v_cmpx_lt_u32_e32 0xffffff, v11
	s_cbranch_execz .LBB367_1683
; %bb.1676:                             ;   in Loop: Header=BB367_991 Depth=1
	v_lshrrev_b32_e32 v129, 24, v11
	v_bfrev_b32_e32 v128, 1
	s_mov_b32 s12, exec_lo
	s_delay_alu instid0(VALU_DEP_2)
	v_cmpx_ne_u32_e32 0x80, v129
	s_cbranch_execz .LBB367_1682
; %bb.1677:                             ;   in Loop: Header=BB367_991 Depth=1
	v_and_b32_e32 v13, 0x7f, v129
	v_mov_b32_e32 v128, 0x7fc02000
	s_mov_b32 s13, exec_lo
	s_delay_alu instid0(VALU_DEP_2)
	v_cmpx_ne_u32_e32 0x7f, v13
	s_cbranch_execz .LBB367_1681
; %bb.1678:                             ;   in Loop: Header=BB367_991 Depth=1
	v_and_b32_e32 v0, 7, v129
	v_lshrrev_b32_e32 v128, 3, v13
	v_cmp_gt_u32_e64 s0, 8, v13
	s_delay_alu instid0(VALU_DEP_3) | instskip(NEXT) | instid1(VALU_DEP_2)
	v_dual_mov_b32 v14, v1 :: v_dual_mov_b32 v13, v0
	s_and_saveexec_b32 s15, s0
; %bb.1679:                             ;   in Loop: Header=BB367_991 Depth=1
	v_clz_i32_u32_e32 v13, v0
	s_delay_alu instid0(VALU_DEP_1) | instskip(NEXT) | instid1(VALU_DEP_1)
	v_min_u32_e32 v128, 32, v13
	v_subrev_nc_u32_e32 v13, 28, v128
	v_sub_nc_u32_e32 v128, 29, v128
	s_delay_alu instid0(VALU_DEP_2) | instskip(NEXT) | instid1(VALU_DEP_1)
	v_lshlrev_b64 v[13:14], v13, v[0:1]
	v_and_b32_e32 v13, 7, v13
; %bb.1680:                             ;   in Loop: Header=BB367_991 Depth=1
	s_or_b32 exec_lo, exec_lo, s15
	v_lshlrev_b32_e32 v0, 8, v129
	v_lshl_add_u32 v14, v128, 10, 0x2000
	s_delay_alu instid0(VALU_DEP_1) | instskip(NEXT) | instid1(VALU_DEP_1)
	v_and_or_b32 v0, 0x8000, v0, v14
	v_lshl_or_b32 v0, v13, 7, v0
	s_delay_alu instid0(VALU_DEP_1)
	v_cvt_f32_f16_e64 v128, v0
.LBB367_1681:                           ;   in Loop: Header=BB367_991 Depth=1
	s_or_b32 exec_lo, exec_lo, s13
.LBB367_1682:                           ;   in Loop: Header=BB367_991 Depth=1
	s_delay_alu instid0(SALU_CYCLE_1)
	s_or_b32 exec_lo, exec_lo, s12
.LBB367_1683:                           ;   in Loop: Header=BB367_991 Depth=1
	s_delay_alu instid0(SALU_CYCLE_1) | instskip(SKIP_3) | instid1(VALU_DEP_2)
	s_or_b32 exec_lo, exec_lo, s10
	v_dual_mov_b32 v0, v12 :: v_dual_and_b32 v13, 0xff, v12
	v_dual_mov_b32 v130, 0 :: v_dual_mov_b32 v129, 0
	s_mov_b32 s10, exec_lo
	v_cmpx_ne_u16_e32 0, v13
	s_cbranch_execz .LBB367_1691
; %bb.1684:                             ;   in Loop: Header=BB367_991 Depth=1
	v_bfrev_b32_e32 v129, 1
	s_mov_b32 s12, exec_lo
	v_cmpx_ne_u16_e32 0x80, v13
	s_cbranch_execz .LBB367_1690
; %bb.1685:                             ;   in Loop: Header=BB367_991 Depth=1
	v_and_b32_e32 v13, 0x7f, v12
	v_mov_b32_e32 v129, 0x7fc02000
	s_mov_b32 s13, exec_lo
	s_delay_alu instid0(VALU_DEP_2)
	v_cmpx_ne_u32_e32 0x7f, v13
	s_cbranch_execz .LBB367_1689
; %bb.1686:                             ;   in Loop: Header=BB367_991 Depth=1
	v_lshrrev_b32_e32 v129, 3, v13
	v_cmp_gt_u32_e64 s0, 8, v13
	v_dual_mov_b32 v14, v1 :: v_dual_mov_b32 v13, v0
	s_delay_alu instid0(VALU_DEP_2)
	s_and_saveexec_b32 s15, s0
; %bb.1687:                             ;   in Loop: Header=BB367_991 Depth=1
	v_and_b32_e32 v13, 7, v12
	s_delay_alu instid0(VALU_DEP_1) | instskip(NEXT) | instid1(VALU_DEP_1)
	v_clz_i32_u32_e32 v13, v13
	v_min_u32_e32 v129, 32, v13
	s_delay_alu instid0(VALU_DEP_1) | instskip(SKIP_1) | instid1(VALU_DEP_2)
	v_subrev_nc_u32_e32 v13, 28, v129
	v_sub_nc_u32_e32 v129, 29, v129
	v_lshlrev_b64 v[13:14], v13, v[0:1]
; %bb.1688:                             ;   in Loop: Header=BB367_991 Depth=1
	s_or_b32 exec_lo, exec_lo, s15
	v_lshlrev_b32_e32 v14, 8, v12
	s_delay_alu instid0(VALU_DEP_3) | instskip(NEXT) | instid1(VALU_DEP_3)
	v_lshl_add_u32 v129, v129, 10, 0x2000
	v_lshlrev_b32_e32 v13, 7, v13
	s_delay_alu instid0(VALU_DEP_2) | instskip(NEXT) | instid1(VALU_DEP_1)
	v_and_or_b32 v14, 0x8000, v14, v129
	v_and_or_b32 v13, 0x380, v13, v14
	s_delay_alu instid0(VALU_DEP_1)
	v_cvt_f32_f16_e64 v129, v13
.LBB367_1689:                           ;   in Loop: Header=BB367_991 Depth=1
	s_or_b32 exec_lo, exec_lo, s13
.LBB367_1690:                           ;   in Loop: Header=BB367_991 Depth=1
	s_delay_alu instid0(SALU_CYCLE_1)
	s_or_b32 exec_lo, exec_lo, s12
.LBB367_1691:                           ;   in Loop: Header=BB367_991 Depth=1
	s_delay_alu instid0(SALU_CYCLE_1) | instskip(SKIP_2) | instid1(VALU_DEP_1)
	s_or_b32 exec_lo, exec_lo, s10
	v_lshrrev_b16 v0, 8, v0
	s_mov_b32 s10, exec_lo
	v_cmpx_ne_u16_e32 0, v0
	s_cbranch_execz .LBB367_1699
; %bb.1692:                             ;   in Loop: Header=BB367_991 Depth=1
	v_bfrev_b32_e32 v130, 1
	s_mov_b32 s12, exec_lo
	v_cmpx_ne_u16_e32 0x80, v0
	s_cbranch_execz .LBB367_1698
; %bb.1693:                             ;   in Loop: Header=BB367_991 Depth=1
	v_and_b32_e32 v131, 0xffff, v0
	v_mov_b32_e32 v130, 0x7fc02000
	s_mov_b32 s13, exec_lo
	s_delay_alu instid0(VALU_DEP_2) | instskip(NEXT) | instid1(VALU_DEP_1)
	v_and_b32_e32 v13, 0x7f, v131
	v_cmpx_ne_u32_e32 0x7f, v13
	s_cbranch_execz .LBB367_1697
; %bb.1694:                             ;   in Loop: Header=BB367_991 Depth=1
	v_and_b32_e32 v0, 7, v131
	v_lshrrev_b32_e32 v130, 3, v13
	v_cmp_gt_u32_e64 s0, 8, v13
	s_delay_alu instid0(VALU_DEP_3) | instskip(NEXT) | instid1(VALU_DEP_2)
	v_dual_mov_b32 v14, v1 :: v_dual_mov_b32 v13, v0
	s_and_saveexec_b32 s15, s0
; %bb.1695:                             ;   in Loop: Header=BB367_991 Depth=1
	v_clz_i32_u32_e32 v13, v0
	s_delay_alu instid0(VALU_DEP_1) | instskip(NEXT) | instid1(VALU_DEP_1)
	v_min_u32_e32 v130, 32, v13
	v_subrev_nc_u32_e32 v13, 28, v130
	v_sub_nc_u32_e32 v130, 29, v130
	s_delay_alu instid0(VALU_DEP_2) | instskip(NEXT) | instid1(VALU_DEP_1)
	v_lshlrev_b64 v[13:14], v13, v[0:1]
	v_and_b32_e32 v13, 7, v13
; %bb.1696:                             ;   in Loop: Header=BB367_991 Depth=1
	s_or_b32 exec_lo, exec_lo, s15
	v_lshlrev_b32_e32 v0, 8, v131
	v_lshl_add_u32 v14, v130, 10, 0x2000
	s_delay_alu instid0(VALU_DEP_1) | instskip(NEXT) | instid1(VALU_DEP_1)
	v_and_or_b32 v0, 0x8000, v0, v14
	v_lshl_or_b32 v0, v13, 7, v0
	s_delay_alu instid0(VALU_DEP_1)
	v_cvt_f32_f16_e64 v130, v0
.LBB367_1697:                           ;   in Loop: Header=BB367_991 Depth=1
	s_or_b32 exec_lo, exec_lo, s13
.LBB367_1698:                           ;   in Loop: Header=BB367_991 Depth=1
	s_delay_alu instid0(SALU_CYCLE_1)
	s_or_b32 exec_lo, exec_lo, s12
.LBB367_1699:                           ;   in Loop: Header=BB367_991 Depth=1
	s_delay_alu instid0(SALU_CYCLE_1) | instskip(SKIP_3) | instid1(VALU_DEP_2)
	s_or_b32 exec_lo, exec_lo, s10
	v_lshrrev_b32_e32 v132, 16, v12
	v_mov_b32_e32 v13, 0
	s_mov_b32 s10, exec_lo
	v_dual_mov_b32 v131, 0 :: v_dual_and_b32 v0, 0xff, v132
	s_delay_alu instid0(VALU_DEP_1)
	v_cmpx_ne_u16_e32 0, v0
	s_cbranch_execz .LBB367_1707
; %bb.1700:                             ;   in Loop: Header=BB367_991 Depth=1
	v_bfrev_b32_e32 v13, 1
	s_mov_b32 s12, exec_lo
	v_cmpx_ne_u16_e32 0x80, v0
	s_cbranch_execz .LBB367_1706
; %bb.1701:                             ;   in Loop: Header=BB367_991 Depth=1
	v_bfe_u32 v14, v12, 16, 7
	v_mov_b32_e32 v13, 0x7fc02000
	s_mov_b32 s13, exec_lo
	s_delay_alu instid0(VALU_DEP_2)
	v_cmpx_ne_u32_e32 0x7f, v14
	s_cbranch_execz .LBB367_1705
; %bb.1702:                             ;   in Loop: Header=BB367_991 Depth=1
	v_and_b32_e32 v0, 7, v132
	v_lshrrev_b32_e32 v133, 3, v14
	v_cmp_gt_u32_e64 s0, 8, v14
	s_delay_alu instid0(VALU_DEP_3) | instskip(NEXT) | instid1(VALU_DEP_2)
	v_dual_mov_b32 v14, v1 :: v_dual_mov_b32 v13, v0
	s_and_saveexec_b32 s15, s0
; %bb.1703:                             ;   in Loop: Header=BB367_991 Depth=1
	v_clz_i32_u32_e32 v13, v0
	s_delay_alu instid0(VALU_DEP_1) | instskip(NEXT) | instid1(VALU_DEP_1)
	v_min_u32_e32 v133, 32, v13
	v_subrev_nc_u32_e32 v13, 28, v133
	v_sub_nc_u32_e32 v133, 29, v133
	s_delay_alu instid0(VALU_DEP_2) | instskip(NEXT) | instid1(VALU_DEP_1)
	v_lshlrev_b64 v[13:14], v13, v[0:1]
	v_and_b32_e32 v13, 7, v13
; %bb.1704:                             ;   in Loop: Header=BB367_991 Depth=1
	s_or_b32 exec_lo, exec_lo, s15
	v_lshlrev_b32_e32 v0, 8, v132
	v_lshl_add_u32 v14, v133, 10, 0x2000
	s_delay_alu instid0(VALU_DEP_1) | instskip(NEXT) | instid1(VALU_DEP_1)
	v_and_or_b32 v0, 0x8000, v0, v14
	v_lshl_or_b32 v0, v13, 7, v0
	s_delay_alu instid0(VALU_DEP_1)
	v_cvt_f32_f16_e32 v13, v0
.LBB367_1705:                           ;   in Loop: Header=BB367_991 Depth=1
	s_or_b32 exec_lo, exec_lo, s13
.LBB367_1706:                           ;   in Loop: Header=BB367_991 Depth=1
	s_delay_alu instid0(SALU_CYCLE_1)
	s_or_b32 exec_lo, exec_lo, s12
.LBB367_1707:                           ;   in Loop: Header=BB367_991 Depth=1
	s_delay_alu instid0(SALU_CYCLE_1) | instskip(NEXT) | instid1(SALU_CYCLE_1)
	s_or_b32 exec_lo, exec_lo, s10
	s_mov_b32 s10, exec_lo
	v_cmpx_lt_u64_e64 s[8:9], v[11:12]
	s_cbranch_execz .LBB367_1715
; %bb.1708:                             ;   in Loop: Header=BB367_991 Depth=1
	v_lshrrev_b32_e32 v14, 24, v12
	v_bfrev_b32_e32 v131, 1
	s_mov_b32 s12, exec_lo
	s_delay_alu instid0(VALU_DEP_2)
	v_cmpx_ne_u32_e32 0x80, v14
	s_cbranch_execz .LBB367_1714
; %bb.1709:                             ;   in Loop: Header=BB367_991 Depth=1
	v_and_b32_e32 v11, 0x7f, v14
	v_mov_b32_e32 v131, 0x7fc02000
	s_mov_b32 s13, exec_lo
	s_delay_alu instid0(VALU_DEP_2)
	v_cmpx_ne_u32_e32 0x7f, v11
	s_cbranch_execz .LBB367_1713
; %bb.1710:                             ;   in Loop: Header=BB367_991 Depth=1
	v_and_b32_e32 v0, 7, v14
	v_lshrrev_b32_e32 v131, 3, v11
	v_cmp_gt_u32_e64 s0, 8, v11
	s_delay_alu instid0(VALU_DEP_3) | instskip(NEXT) | instid1(VALU_DEP_2)
	v_dual_mov_b32 v12, v1 :: v_dual_mov_b32 v11, v0
	s_and_saveexec_b32 s15, s0
; %bb.1711:                             ;   in Loop: Header=BB367_991 Depth=1
	v_clz_i32_u32_e32 v11, v0
	s_delay_alu instid0(VALU_DEP_1) | instskip(NEXT) | instid1(VALU_DEP_1)
	v_min_u32_e32 v131, 32, v11
	v_subrev_nc_u32_e32 v11, 28, v131
	v_sub_nc_u32_e32 v131, 29, v131
	s_delay_alu instid0(VALU_DEP_2) | instskip(NEXT) | instid1(VALU_DEP_1)
	v_lshlrev_b64 v[11:12], v11, v[0:1]
	v_and_b32_e32 v11, 7, v11
; %bb.1712:                             ;   in Loop: Header=BB367_991 Depth=1
	s_or_b32 exec_lo, exec_lo, s15
	v_lshlrev_b32_e32 v0, 8, v14
	v_lshl_add_u32 v12, v131, 10, 0x2000
	s_delay_alu instid0(VALU_DEP_1) | instskip(NEXT) | instid1(VALU_DEP_1)
	v_and_or_b32 v0, 0x8000, v0, v12
	v_lshl_or_b32 v0, v11, 7, v0
	s_delay_alu instid0(VALU_DEP_1)
	v_cvt_f32_f16_e64 v131, v0
.LBB367_1713:                           ;   in Loop: Header=BB367_991 Depth=1
	s_or_b32 exec_lo, exec_lo, s13
.LBB367_1714:                           ;   in Loop: Header=BB367_991 Depth=1
	s_delay_alu instid0(SALU_CYCLE_1)
	s_or_b32 exec_lo, exec_lo, s12
.LBB367_1715:                           ;   in Loop: Header=BB367_991 Depth=1
	s_delay_alu instid0(SALU_CYCLE_1)
	s_or_b32 exec_lo, exec_lo, s10
	s_waitcnt vmcnt(0) lgkmcnt(0)
	v_fma_mixlo_f16 v12, v116, v118, 0
	v_fma_mixlo_f16 v0, v116, v128, 0
	;; [unrolled: 1-line block ×5, first 2 shown]
	v_lshlrev_b32_e32 v14, 16, v12
	v_fma_mixlo_f16 v119, v116, v129, 0
	v_fma_mixlo_f16 v128, v116, v131, 0
	;; [unrolled: 1-line block ×3, first 2 shown]
	v_lshlrev_b32_e32 v0, 16, v0
	v_and_b32_e32 v11, 0xffff, v11
	v_and_b32_e32 v116, 0xffff, v117
	v_lshlrev_b32_e32 v117, 16, v118
	v_and_b32_e32 v118, 0xffff, v119
	v_lshlrev_b32_e32 v119, 16, v128
	v_and_b32_e32 v128, 0xffff, v12
	v_or_b32_e32 v13, v0, v11
	v_or_b32_e32 v14, v14, v116
	v_or_b32_e32 v0, v117, v118
	s_delay_alu instid0(VALU_DEP_4)
	v_or_b32_e32 v11, v119, v128
	s_and_saveexec_b32 s10, vcc_lo
	s_cbranch_execz .LBB367_1717
; %bb.1716:                             ;   in Loop: Header=BB367_991 Depth=1
	v_cmp_lt_i32_e64 s0, v15, v36
	v_lshrrev_b32_e32 v116, 16, v14
	v_lshrrev_b32_e32 v117, 16, v13
	;; [unrolled: 1-line block ×4, first 2 shown]
	v_cndmask_b32_e64 v14, 0, v14, s0
	v_cmp_lt_i32_e64 s0, v81, v48
	s_delay_alu instid0(VALU_DEP_1) | instskip(SKIP_1) | instid1(VALU_DEP_2)
	v_cndmask_b32_e64 v116, 0, v116, s0
	v_cmp_lt_i32_e64 s0, v80, v48
	v_perm_b32 v14, v116, v14, 0x5040100
	s_delay_alu instid0(VALU_DEP_2) | instskip(SKIP_1) | instid1(VALU_DEP_1)
	v_cndmask_b32_e64 v117, 0, v117, s0
	v_cmp_lt_i32_e64 s0, v65, v36
	v_cndmask_b32_e64 v13, 0, v13, s0
	v_cmp_lt_i32_e64 s0, v64, v48
	s_delay_alu instid0(VALU_DEP_2) | instskip(NEXT) | instid1(VALU_DEP_2)
	v_perm_b32 v13, v117, v13, 0x5040100
	v_cndmask_b32_e64 v118, 0, v118, s0
	v_cmp_lt_i32_e64 s0, v55, v36
	s_delay_alu instid0(VALU_DEP_1) | instskip(SKIP_1) | instid1(VALU_DEP_2)
	v_cndmask_b32_e64 v0, 0, v0, s0
	v_cmp_lt_i32_e64 s0, v38, v48
	v_perm_b32 v0, v118, v0, 0x5040100
	s_delay_alu instid0(VALU_DEP_2) | instskip(SKIP_1) | instid1(VALU_DEP_1)
	v_cndmask_b32_e64 v11, 0, v11, s0
	v_cmp_lt_i32_e64 s0, v17, v36
	v_cndmask_b32_e64 v12, 0, v12, s0
	s_delay_alu instid0(VALU_DEP_1)
	v_perm_b32 v11, v11, v12, 0x5040100
.LBB367_1717:                           ;   in Loop: Header=BB367_991 Depth=1
	s_or_b32 exec_lo, exec_lo, s10
	;;#ASMSTART
	v_pk_mul_f16 v12, v71, v14;

	;;#ASMEND
	;;#ASMSTART
	v_pk_mul_f16 v13, v69, v13;

	;;#ASMEND
	;; [unrolled: 4-line block ×4, first 2 shown]
	;;#ASMSTART
	v_pk_add_f16 v12, v12, v13;

	;;#ASMEND
	;;#ASMSTART
	v_pk_add_f16 v0, v12, v0;

	;;#ASMEND
	;; [unrolled: 4-line block ×3, first 2 shown]
	v_dual_mov_b32 v128, 0 :: v_dual_and_b32 v11, 0xffff, v0
	v_lshrrev_b32_e32 v0, 16, v0
	;;#ASMSTART
	v_cvt_f32_f16 v116, v11;
	;;#ASMEND
	;;#ASMSTART
	v_cvt_f32_f16 v117, v0;
	;;#ASMEND
	flat_load_b64 v[11:12], v[9:10] offset:2816
	flat_load_b32 v118, v[26:27]
	s_mov_b32 s10, exec_lo
	s_waitcnt vmcnt(1) lgkmcnt(1)
	v_dual_mov_b32 v119, 0 :: v_dual_and_b32 v0, 0xff, v11
	s_delay_alu instid0(VALU_DEP_1)
	v_cmpx_ne_u16_e32 0, v0
	s_cbranch_execz .LBB367_1725
; %bb.1718:                             ;   in Loop: Header=BB367_991 Depth=1
	v_bfrev_b32_e32 v119, 1
	s_mov_b32 s12, exec_lo
	v_cmpx_ne_u16_e32 0x80, v0
	s_cbranch_execz .LBB367_1724
; %bb.1719:                             ;   in Loop: Header=BB367_991 Depth=1
	v_and_b32_e32 v13, 0x7f, v11
	v_mov_b32_e32 v119, 0x7fc02000
	s_mov_b32 s13, exec_lo
	s_delay_alu instid0(VALU_DEP_2)
	v_cmpx_ne_u32_e32 0x7f, v13
	s_cbranch_execz .LBB367_1723
; %bb.1720:                             ;   in Loop: Header=BB367_991 Depth=1
	v_lshrrev_b32_e32 v0, 3, v13
	v_cmp_gt_u32_e64 s0, 8, v13
	v_dual_mov_b32 v14, v12 :: v_dual_mov_b32 v13, v11
	s_delay_alu instid0(VALU_DEP_2)
	s_and_saveexec_b32 s15, s0
; %bb.1721:                             ;   in Loop: Header=BB367_991 Depth=1
	v_and_b32_e32 v0, 7, v11
	s_delay_alu instid0(VALU_DEP_1) | instskip(NEXT) | instid1(VALU_DEP_1)
	v_clz_i32_u32_e32 v0, v0
	v_min_u32_e32 v0, 32, v0
	s_delay_alu instid0(VALU_DEP_1) | instskip(SKIP_1) | instid1(VALU_DEP_2)
	v_subrev_nc_u32_e32 v13, 28, v0
	v_sub_nc_u32_e32 v0, 29, v0
	v_lshlrev_b64 v[13:14], v13, v[11:12]
; %bb.1722:                             ;   in Loop: Header=BB367_991 Depth=1
	s_or_b32 exec_lo, exec_lo, s15
	v_lshlrev_b32_e32 v14, 8, v11
	s_delay_alu instid0(VALU_DEP_3) | instskip(NEXT) | instid1(VALU_DEP_3)
	v_lshl_add_u32 v0, v0, 10, 0x2000
	v_lshlrev_b32_e32 v13, 7, v13
	s_delay_alu instid0(VALU_DEP_2) | instskip(NEXT) | instid1(VALU_DEP_1)
	v_and_or_b32 v0, 0x8000, v14, v0
	v_and_or_b32 v0, 0x380, v13, v0
	s_delay_alu instid0(VALU_DEP_1)
	v_cvt_f32_f16_e32 v119, v0
.LBB367_1723:                           ;   in Loop: Header=BB367_991 Depth=1
	s_or_b32 exec_lo, exec_lo, s13
.LBB367_1724:                           ;   in Loop: Header=BB367_991 Depth=1
	s_delay_alu instid0(SALU_CYCLE_1)
	s_or_b32 exec_lo, exec_lo, s12
.LBB367_1725:                           ;   in Loop: Header=BB367_991 Depth=1
	s_delay_alu instid0(SALU_CYCLE_1) | instskip(SKIP_2) | instid1(VALU_DEP_1)
	s_or_b32 exec_lo, exec_lo, s10
	v_lshrrev_b16 v0, 8, v11
	s_mov_b32 s10, exec_lo
	v_cmpx_ne_u16_e32 0, v0
	s_cbranch_execz .LBB367_1733
; %bb.1726:                             ;   in Loop: Header=BB367_991 Depth=1
	v_bfrev_b32_e32 v128, 1
	s_mov_b32 s12, exec_lo
	v_cmpx_ne_u16_e32 0x80, v0
	s_cbranch_execz .LBB367_1732
; %bb.1727:                             ;   in Loop: Header=BB367_991 Depth=1
	v_and_b32_e32 v129, 0xffff, v0
	v_mov_b32_e32 v128, 0x7fc02000
	s_mov_b32 s13, exec_lo
	s_delay_alu instid0(VALU_DEP_2) | instskip(NEXT) | instid1(VALU_DEP_1)
	v_and_b32_e32 v13, 0x7f, v129
	v_cmpx_ne_u32_e32 0x7f, v13
	s_cbranch_execz .LBB367_1731
; %bb.1728:                             ;   in Loop: Header=BB367_991 Depth=1
	v_and_b32_e32 v0, 7, v129
	v_lshrrev_b32_e32 v128, 3, v13
	v_cmp_gt_u32_e64 s0, 8, v13
	s_delay_alu instid0(VALU_DEP_3) | instskip(NEXT) | instid1(VALU_DEP_2)
	v_dual_mov_b32 v14, v1 :: v_dual_mov_b32 v13, v0
	s_and_saveexec_b32 s15, s0
; %bb.1729:                             ;   in Loop: Header=BB367_991 Depth=1
	v_clz_i32_u32_e32 v13, v0
	s_delay_alu instid0(VALU_DEP_1) | instskip(NEXT) | instid1(VALU_DEP_1)
	v_min_u32_e32 v128, 32, v13
	v_subrev_nc_u32_e32 v13, 28, v128
	v_sub_nc_u32_e32 v128, 29, v128
	s_delay_alu instid0(VALU_DEP_2) | instskip(NEXT) | instid1(VALU_DEP_1)
	v_lshlrev_b64 v[13:14], v13, v[0:1]
	v_and_b32_e32 v13, 7, v13
; %bb.1730:                             ;   in Loop: Header=BB367_991 Depth=1
	s_or_b32 exec_lo, exec_lo, s15
	v_lshlrev_b32_e32 v0, 8, v129
	v_lshl_add_u32 v14, v128, 10, 0x2000
	s_delay_alu instid0(VALU_DEP_1) | instskip(NEXT) | instid1(VALU_DEP_1)
	v_and_or_b32 v0, 0x8000, v0, v14
	v_lshl_or_b32 v0, v13, 7, v0
	s_delay_alu instid0(VALU_DEP_1)
	v_cvt_f32_f16_e64 v128, v0
.LBB367_1731:                           ;   in Loop: Header=BB367_991 Depth=1
	s_or_b32 exec_lo, exec_lo, s13
.LBB367_1732:                           ;   in Loop: Header=BB367_991 Depth=1
	s_delay_alu instid0(SALU_CYCLE_1)
	s_or_b32 exec_lo, exec_lo, s12
.LBB367_1733:                           ;   in Loop: Header=BB367_991 Depth=1
	s_delay_alu instid0(SALU_CYCLE_1) | instskip(SKIP_3) | instid1(VALU_DEP_2)
	s_or_b32 exec_lo, exec_lo, s10
	v_lshrrev_b32_e32 v131, 16, v11
	v_mov_b32_e32 v130, 0
	s_mov_b32 s10, exec_lo
	v_dual_mov_b32 v129, 0 :: v_dual_and_b32 v0, 0xff, v131
	s_delay_alu instid0(VALU_DEP_1)
	v_cmpx_ne_u16_e32 0, v0
	s_cbranch_execz .LBB367_1741
; %bb.1734:                             ;   in Loop: Header=BB367_991 Depth=1
	v_bfrev_b32_e32 v129, 1
	s_mov_b32 s12, exec_lo
	v_cmpx_ne_u16_e32 0x80, v0
	s_cbranch_execz .LBB367_1740
; %bb.1735:                             ;   in Loop: Header=BB367_991 Depth=1
	v_bfe_u32 v13, v11, 16, 7
	v_mov_b32_e32 v129, 0x7fc02000
	s_mov_b32 s13, exec_lo
	s_delay_alu instid0(VALU_DEP_2)
	v_cmpx_ne_u32_e32 0x7f, v13
	s_cbranch_execz .LBB367_1739
; %bb.1736:                             ;   in Loop: Header=BB367_991 Depth=1
	v_and_b32_e32 v0, 7, v131
	v_lshrrev_b32_e32 v129, 3, v13
	v_cmp_gt_u32_e64 s0, 8, v13
	s_delay_alu instid0(VALU_DEP_3) | instskip(NEXT) | instid1(VALU_DEP_2)
	v_dual_mov_b32 v14, v1 :: v_dual_mov_b32 v13, v0
	s_and_saveexec_b32 s15, s0
; %bb.1737:                             ;   in Loop: Header=BB367_991 Depth=1
	v_clz_i32_u32_e32 v13, v0
	s_delay_alu instid0(VALU_DEP_1) | instskip(NEXT) | instid1(VALU_DEP_1)
	v_min_u32_e32 v129, 32, v13
	v_subrev_nc_u32_e32 v13, 28, v129
	v_sub_nc_u32_e32 v129, 29, v129
	s_delay_alu instid0(VALU_DEP_2) | instskip(NEXT) | instid1(VALU_DEP_1)
	v_lshlrev_b64 v[13:14], v13, v[0:1]
	v_and_b32_e32 v13, 7, v13
; %bb.1738:                             ;   in Loop: Header=BB367_991 Depth=1
	s_or_b32 exec_lo, exec_lo, s15
	v_lshlrev_b32_e32 v0, 8, v131
	v_lshl_add_u32 v14, v129, 10, 0x2000
	s_delay_alu instid0(VALU_DEP_1) | instskip(NEXT) | instid1(VALU_DEP_1)
	v_and_or_b32 v0, 0x8000, v0, v14
	v_lshl_or_b32 v0, v13, 7, v0
	s_delay_alu instid0(VALU_DEP_1)
	v_cvt_f32_f16_e64 v129, v0
.LBB367_1739:                           ;   in Loop: Header=BB367_991 Depth=1
	s_or_b32 exec_lo, exec_lo, s13
.LBB367_1740:                           ;   in Loop: Header=BB367_991 Depth=1
	s_delay_alu instid0(SALU_CYCLE_1)
	s_or_b32 exec_lo, exec_lo, s12
.LBB367_1741:                           ;   in Loop: Header=BB367_991 Depth=1
	s_delay_alu instid0(SALU_CYCLE_1) | instskip(NEXT) | instid1(SALU_CYCLE_1)
	s_or_b32 exec_lo, exec_lo, s10
	s_mov_b32 s10, exec_lo
	v_cmpx_lt_u32_e32 0xffffff, v11
	s_cbranch_execz .LBB367_1749
; %bb.1742:                             ;   in Loop: Header=BB367_991 Depth=1
	v_lshrrev_b32_e32 v131, 24, v11
	v_bfrev_b32_e32 v130, 1
	s_mov_b32 s12, exec_lo
	s_delay_alu instid0(VALU_DEP_2)
	v_cmpx_ne_u32_e32 0x80, v131
	s_cbranch_execz .LBB367_1748
; %bb.1743:                             ;   in Loop: Header=BB367_991 Depth=1
	v_and_b32_e32 v13, 0x7f, v131
	v_mov_b32_e32 v130, 0x7fc02000
	s_mov_b32 s13, exec_lo
	s_delay_alu instid0(VALU_DEP_2)
	v_cmpx_ne_u32_e32 0x7f, v13
	s_cbranch_execz .LBB367_1747
; %bb.1744:                             ;   in Loop: Header=BB367_991 Depth=1
	v_and_b32_e32 v0, 7, v131
	v_lshrrev_b32_e32 v130, 3, v13
	v_cmp_gt_u32_e64 s0, 8, v13
	s_delay_alu instid0(VALU_DEP_3) | instskip(NEXT) | instid1(VALU_DEP_2)
	v_dual_mov_b32 v14, v1 :: v_dual_mov_b32 v13, v0
	s_and_saveexec_b32 s15, s0
; %bb.1745:                             ;   in Loop: Header=BB367_991 Depth=1
	v_clz_i32_u32_e32 v13, v0
	s_delay_alu instid0(VALU_DEP_1) | instskip(NEXT) | instid1(VALU_DEP_1)
	v_min_u32_e32 v130, 32, v13
	v_subrev_nc_u32_e32 v13, 28, v130
	v_sub_nc_u32_e32 v130, 29, v130
	s_delay_alu instid0(VALU_DEP_2) | instskip(NEXT) | instid1(VALU_DEP_1)
	v_lshlrev_b64 v[13:14], v13, v[0:1]
	v_and_b32_e32 v13, 7, v13
; %bb.1746:                             ;   in Loop: Header=BB367_991 Depth=1
	s_or_b32 exec_lo, exec_lo, s15
	v_lshlrev_b32_e32 v0, 8, v131
	v_lshl_add_u32 v14, v130, 10, 0x2000
	s_delay_alu instid0(VALU_DEP_1) | instskip(NEXT) | instid1(VALU_DEP_1)
	v_and_or_b32 v0, 0x8000, v0, v14
	v_lshl_or_b32 v0, v13, 7, v0
	s_delay_alu instid0(VALU_DEP_1)
	v_cvt_f32_f16_e64 v130, v0
.LBB367_1747:                           ;   in Loop: Header=BB367_991 Depth=1
	s_or_b32 exec_lo, exec_lo, s13
.LBB367_1748:                           ;   in Loop: Header=BB367_991 Depth=1
	s_delay_alu instid0(SALU_CYCLE_1)
	s_or_b32 exec_lo, exec_lo, s12
.LBB367_1749:                           ;   in Loop: Header=BB367_991 Depth=1
	s_delay_alu instid0(SALU_CYCLE_1) | instskip(SKIP_3) | instid1(VALU_DEP_2)
	s_or_b32 exec_lo, exec_lo, s10
	v_dual_mov_b32 v0, v12 :: v_dual_and_b32 v13, 0xff, v12
	v_dual_mov_b32 v132, 0 :: v_dual_mov_b32 v131, 0
	s_mov_b32 s10, exec_lo
	v_cmpx_ne_u16_e32 0, v13
	s_cbranch_execz .LBB367_1757
; %bb.1750:                             ;   in Loop: Header=BB367_991 Depth=1
	v_bfrev_b32_e32 v131, 1
	s_mov_b32 s12, exec_lo
	v_cmpx_ne_u16_e32 0x80, v13
	s_cbranch_execz .LBB367_1756
; %bb.1751:                             ;   in Loop: Header=BB367_991 Depth=1
	v_and_b32_e32 v13, 0x7f, v12
	v_mov_b32_e32 v131, 0x7fc02000
	s_mov_b32 s13, exec_lo
	s_delay_alu instid0(VALU_DEP_2)
	v_cmpx_ne_u32_e32 0x7f, v13
	s_cbranch_execz .LBB367_1755
; %bb.1752:                             ;   in Loop: Header=BB367_991 Depth=1
	v_lshrrev_b32_e32 v131, 3, v13
	v_cmp_gt_u32_e64 s0, 8, v13
	v_dual_mov_b32 v14, v1 :: v_dual_mov_b32 v13, v0
	s_delay_alu instid0(VALU_DEP_2)
	s_and_saveexec_b32 s15, s0
; %bb.1753:                             ;   in Loop: Header=BB367_991 Depth=1
	v_and_b32_e32 v13, 7, v12
	s_delay_alu instid0(VALU_DEP_1) | instskip(NEXT) | instid1(VALU_DEP_1)
	v_clz_i32_u32_e32 v13, v13
	v_min_u32_e32 v131, 32, v13
	s_delay_alu instid0(VALU_DEP_1) | instskip(SKIP_1) | instid1(VALU_DEP_2)
	v_subrev_nc_u32_e32 v13, 28, v131
	v_sub_nc_u32_e32 v131, 29, v131
	v_lshlrev_b64 v[13:14], v13, v[0:1]
; %bb.1754:                             ;   in Loop: Header=BB367_991 Depth=1
	s_or_b32 exec_lo, exec_lo, s15
	v_lshlrev_b32_e32 v14, 8, v12
	s_delay_alu instid0(VALU_DEP_3) | instskip(NEXT) | instid1(VALU_DEP_3)
	v_lshl_add_u32 v131, v131, 10, 0x2000
	v_lshlrev_b32_e32 v13, 7, v13
	s_delay_alu instid0(VALU_DEP_2) | instskip(NEXT) | instid1(VALU_DEP_1)
	v_and_or_b32 v14, 0x8000, v14, v131
	v_and_or_b32 v13, 0x380, v13, v14
	s_delay_alu instid0(VALU_DEP_1)
	v_cvt_f32_f16_e64 v131, v13
.LBB367_1755:                           ;   in Loop: Header=BB367_991 Depth=1
	s_or_b32 exec_lo, exec_lo, s13
.LBB367_1756:                           ;   in Loop: Header=BB367_991 Depth=1
	s_delay_alu instid0(SALU_CYCLE_1)
	s_or_b32 exec_lo, exec_lo, s12
.LBB367_1757:                           ;   in Loop: Header=BB367_991 Depth=1
	s_delay_alu instid0(SALU_CYCLE_1) | instskip(SKIP_2) | instid1(VALU_DEP_1)
	s_or_b32 exec_lo, exec_lo, s10
	v_lshrrev_b16 v0, 8, v0
	s_mov_b32 s10, exec_lo
	v_cmpx_ne_u16_e32 0, v0
	s_cbranch_execz .LBB367_1765
; %bb.1758:                             ;   in Loop: Header=BB367_991 Depth=1
	v_bfrev_b32_e32 v132, 1
	s_mov_b32 s12, exec_lo
	v_cmpx_ne_u16_e32 0x80, v0
	s_cbranch_execz .LBB367_1764
; %bb.1759:                             ;   in Loop: Header=BB367_991 Depth=1
	v_and_b32_e32 v133, 0xffff, v0
	v_mov_b32_e32 v132, 0x7fc02000
	s_mov_b32 s13, exec_lo
	s_delay_alu instid0(VALU_DEP_2) | instskip(NEXT) | instid1(VALU_DEP_1)
	v_and_b32_e32 v13, 0x7f, v133
	v_cmpx_ne_u32_e32 0x7f, v13
	s_cbranch_execz .LBB367_1763
; %bb.1760:                             ;   in Loop: Header=BB367_991 Depth=1
	v_and_b32_e32 v0, 7, v133
	v_lshrrev_b32_e32 v132, 3, v13
	v_cmp_gt_u32_e64 s0, 8, v13
	s_delay_alu instid0(VALU_DEP_3) | instskip(NEXT) | instid1(VALU_DEP_2)
	v_dual_mov_b32 v14, v1 :: v_dual_mov_b32 v13, v0
	s_and_saveexec_b32 s15, s0
; %bb.1761:                             ;   in Loop: Header=BB367_991 Depth=1
	v_clz_i32_u32_e32 v13, v0
	s_delay_alu instid0(VALU_DEP_1) | instskip(NEXT) | instid1(VALU_DEP_1)
	v_min_u32_e32 v132, 32, v13
	v_subrev_nc_u32_e32 v13, 28, v132
	v_sub_nc_u32_e32 v132, 29, v132
	s_delay_alu instid0(VALU_DEP_2) | instskip(NEXT) | instid1(VALU_DEP_1)
	v_lshlrev_b64 v[13:14], v13, v[0:1]
	v_and_b32_e32 v13, 7, v13
; %bb.1762:                             ;   in Loop: Header=BB367_991 Depth=1
	s_or_b32 exec_lo, exec_lo, s15
	v_lshlrev_b32_e32 v0, 8, v133
	v_lshl_add_u32 v14, v132, 10, 0x2000
	s_delay_alu instid0(VALU_DEP_1) | instskip(NEXT) | instid1(VALU_DEP_1)
	v_and_or_b32 v0, 0x8000, v0, v14
	v_lshl_or_b32 v0, v13, 7, v0
	s_delay_alu instid0(VALU_DEP_1)
	v_cvt_f32_f16_e64 v132, v0
.LBB367_1763:                           ;   in Loop: Header=BB367_991 Depth=1
	s_or_b32 exec_lo, exec_lo, s13
.LBB367_1764:                           ;   in Loop: Header=BB367_991 Depth=1
	s_delay_alu instid0(SALU_CYCLE_1)
	s_or_b32 exec_lo, exec_lo, s12
.LBB367_1765:                           ;   in Loop: Header=BB367_991 Depth=1
	s_delay_alu instid0(SALU_CYCLE_1) | instskip(SKIP_3) | instid1(VALU_DEP_2)
	s_or_b32 exec_lo, exec_lo, s10
	v_lshrrev_b32_e32 v134, 16, v12
	v_mov_b32_e32 v13, 0
	s_mov_b32 s10, exec_lo
	v_dual_mov_b32 v133, 0 :: v_dual_and_b32 v0, 0xff, v134
	s_delay_alu instid0(VALU_DEP_1)
	v_cmpx_ne_u16_e32 0, v0
	s_cbranch_execz .LBB367_1773
; %bb.1766:                             ;   in Loop: Header=BB367_991 Depth=1
	v_bfrev_b32_e32 v13, 1
	s_mov_b32 s12, exec_lo
	v_cmpx_ne_u16_e32 0x80, v0
	s_cbranch_execz .LBB367_1772
; %bb.1767:                             ;   in Loop: Header=BB367_991 Depth=1
	v_bfe_u32 v14, v12, 16, 7
	v_mov_b32_e32 v13, 0x7fc02000
	s_mov_b32 s13, exec_lo
	s_delay_alu instid0(VALU_DEP_2)
	v_cmpx_ne_u32_e32 0x7f, v14
	s_cbranch_execz .LBB367_1771
; %bb.1768:                             ;   in Loop: Header=BB367_991 Depth=1
	v_and_b32_e32 v0, 7, v134
	v_lshrrev_b32_e32 v135, 3, v14
	v_cmp_gt_u32_e64 s0, 8, v14
	s_delay_alu instid0(VALU_DEP_3) | instskip(NEXT) | instid1(VALU_DEP_2)
	v_dual_mov_b32 v14, v1 :: v_dual_mov_b32 v13, v0
	s_and_saveexec_b32 s15, s0
; %bb.1769:                             ;   in Loop: Header=BB367_991 Depth=1
	v_clz_i32_u32_e32 v13, v0
	s_delay_alu instid0(VALU_DEP_1) | instskip(NEXT) | instid1(VALU_DEP_1)
	v_min_u32_e32 v135, 32, v13
	v_subrev_nc_u32_e32 v13, 28, v135
	v_sub_nc_u32_e32 v135, 29, v135
	s_delay_alu instid0(VALU_DEP_2) | instskip(NEXT) | instid1(VALU_DEP_1)
	v_lshlrev_b64 v[13:14], v13, v[0:1]
	v_and_b32_e32 v13, 7, v13
; %bb.1770:                             ;   in Loop: Header=BB367_991 Depth=1
	s_or_b32 exec_lo, exec_lo, s15
	v_lshlrev_b32_e32 v0, 8, v134
	v_lshl_add_u32 v14, v135, 10, 0x2000
	s_delay_alu instid0(VALU_DEP_1) | instskip(NEXT) | instid1(VALU_DEP_1)
	v_and_or_b32 v0, 0x8000, v0, v14
	v_lshl_or_b32 v0, v13, 7, v0
	s_delay_alu instid0(VALU_DEP_1)
	v_cvt_f32_f16_e32 v13, v0
.LBB367_1771:                           ;   in Loop: Header=BB367_991 Depth=1
	s_or_b32 exec_lo, exec_lo, s13
.LBB367_1772:                           ;   in Loop: Header=BB367_991 Depth=1
	s_delay_alu instid0(SALU_CYCLE_1)
	s_or_b32 exec_lo, exec_lo, s12
.LBB367_1773:                           ;   in Loop: Header=BB367_991 Depth=1
	s_delay_alu instid0(SALU_CYCLE_1) | instskip(NEXT) | instid1(SALU_CYCLE_1)
	s_or_b32 exec_lo, exec_lo, s10
	s_mov_b32 s10, exec_lo
	v_cmpx_lt_u64_e64 s[8:9], v[11:12]
	s_cbranch_execz .LBB367_1781
; %bb.1774:                             ;   in Loop: Header=BB367_991 Depth=1
	v_lshrrev_b32_e32 v14, 24, v12
	v_bfrev_b32_e32 v133, 1
	s_mov_b32 s12, exec_lo
	s_delay_alu instid0(VALU_DEP_2)
	v_cmpx_ne_u32_e32 0x80, v14
	s_cbranch_execz .LBB367_1780
; %bb.1775:                             ;   in Loop: Header=BB367_991 Depth=1
	v_and_b32_e32 v11, 0x7f, v14
	v_mov_b32_e32 v133, 0x7fc02000
	s_mov_b32 s13, exec_lo
	s_delay_alu instid0(VALU_DEP_2)
	v_cmpx_ne_u32_e32 0x7f, v11
	s_cbranch_execz .LBB367_1779
; %bb.1776:                             ;   in Loop: Header=BB367_991 Depth=1
	v_and_b32_e32 v0, 7, v14
	v_lshrrev_b32_e32 v133, 3, v11
	v_cmp_gt_u32_e64 s0, 8, v11
	s_delay_alu instid0(VALU_DEP_3) | instskip(NEXT) | instid1(VALU_DEP_2)
	v_dual_mov_b32 v12, v1 :: v_dual_mov_b32 v11, v0
	s_and_saveexec_b32 s15, s0
; %bb.1777:                             ;   in Loop: Header=BB367_991 Depth=1
	v_clz_i32_u32_e32 v11, v0
	s_delay_alu instid0(VALU_DEP_1) | instskip(NEXT) | instid1(VALU_DEP_1)
	v_min_u32_e32 v133, 32, v11
	v_subrev_nc_u32_e32 v11, 28, v133
	v_sub_nc_u32_e32 v133, 29, v133
	s_delay_alu instid0(VALU_DEP_2) | instskip(NEXT) | instid1(VALU_DEP_1)
	v_lshlrev_b64 v[11:12], v11, v[0:1]
	v_and_b32_e32 v11, 7, v11
; %bb.1778:                             ;   in Loop: Header=BB367_991 Depth=1
	s_or_b32 exec_lo, exec_lo, s15
	v_lshlrev_b32_e32 v0, 8, v14
	v_lshl_add_u32 v12, v133, 10, 0x2000
	s_delay_alu instid0(VALU_DEP_1) | instskip(NEXT) | instid1(VALU_DEP_1)
	v_and_or_b32 v0, 0x8000, v0, v12
	v_lshl_or_b32 v0, v11, 7, v0
	s_delay_alu instid0(VALU_DEP_1)
	v_cvt_f32_f16_e64 v133, v0
.LBB367_1779:                           ;   in Loop: Header=BB367_991 Depth=1
	s_or_b32 exec_lo, exec_lo, s13
.LBB367_1780:                           ;   in Loop: Header=BB367_991 Depth=1
	s_delay_alu instid0(SALU_CYCLE_1)
	s_or_b32 exec_lo, exec_lo, s12
.LBB367_1781:                           ;   in Loop: Header=BB367_991 Depth=1
	s_delay_alu instid0(SALU_CYCLE_1)
	s_or_b32 exec_lo, exec_lo, s10
	s_waitcnt vmcnt(0) lgkmcnt(0)
	v_fma_mixlo_f16 v12, v118, v128, 0
	v_fma_mixlo_f16 v0, v118, v130, 0
	;; [unrolled: 1-line block ×5, first 2 shown]
	v_lshlrev_b32_e32 v14, 16, v12
	v_fma_mixlo_f16 v129, v118, v131, 0
	v_fma_mixlo_f16 v130, v118, v133, 0
	;; [unrolled: 1-line block ×3, first 2 shown]
	v_lshlrev_b32_e32 v0, 16, v0
	v_and_b32_e32 v11, 0xffff, v11
	v_and_b32_e32 v118, 0xffff, v119
	v_lshlrev_b32_e32 v119, 16, v128
	v_and_b32_e32 v128, 0xffff, v129
	v_lshlrev_b32_e32 v129, 16, v130
	v_and_b32_e32 v130, 0xffff, v12
	v_or_b32_e32 v13, v0, v11
	v_or_b32_e32 v14, v14, v118
	;; [unrolled: 1-line block ×3, first 2 shown]
	s_delay_alu instid0(VALU_DEP_4)
	v_or_b32_e32 v11, v129, v130
	s_and_saveexec_b32 s10, vcc_lo
	s_cbranch_execz .LBB367_1783
; %bb.1782:                             ;   in Loop: Header=BB367_991 Depth=1
	v_cmp_lt_i32_e64 s0, v15, v36
	v_lshrrev_b32_e32 v118, 16, v14
	v_lshrrev_b32_e32 v119, 16, v13
	v_lshrrev_b32_e32 v128, 16, v0
	v_lshrrev_b32_e32 v11, 16, v11
	v_cndmask_b32_e64 v14, 0, v14, s0
	v_cmp_lt_i32_e64 s0, v81, v48
	s_delay_alu instid0(VALU_DEP_1) | instskip(SKIP_1) | instid1(VALU_DEP_2)
	v_cndmask_b32_e64 v118, 0, v118, s0
	v_cmp_lt_i32_e64 s0, v80, v48
	v_perm_b32 v14, v118, v14, 0x5040100
	s_delay_alu instid0(VALU_DEP_2) | instskip(SKIP_1) | instid1(VALU_DEP_1)
	v_cndmask_b32_e64 v119, 0, v119, s0
	v_cmp_lt_i32_e64 s0, v65, v36
	v_cndmask_b32_e64 v13, 0, v13, s0
	v_cmp_lt_i32_e64 s0, v64, v48
	s_delay_alu instid0(VALU_DEP_2) | instskip(NEXT) | instid1(VALU_DEP_2)
	v_perm_b32 v13, v119, v13, 0x5040100
	v_cndmask_b32_e64 v128, 0, v128, s0
	v_cmp_lt_i32_e64 s0, v55, v36
	s_delay_alu instid0(VALU_DEP_1) | instskip(SKIP_1) | instid1(VALU_DEP_2)
	v_cndmask_b32_e64 v0, 0, v0, s0
	v_cmp_lt_i32_e64 s0, v38, v48
	v_perm_b32 v0, v128, v0, 0x5040100
	s_delay_alu instid0(VALU_DEP_2) | instskip(SKIP_1) | instid1(VALU_DEP_1)
	v_cndmask_b32_e64 v11, 0, v11, s0
	v_cmp_lt_i32_e64 s0, v17, v36
	v_cndmask_b32_e64 v12, 0, v12, s0
	s_delay_alu instid0(VALU_DEP_1)
	v_perm_b32 v11, v11, v12, 0x5040100
.LBB367_1783:                           ;   in Loop: Header=BB367_991 Depth=1
	s_or_b32 exec_lo, exec_lo, s10
	;;#ASMSTART
	v_pk_mul_f16 v12, v71, v14;

	;;#ASMEND
	;;#ASMSTART
	v_pk_mul_f16 v13, v69, v13;

	;;#ASMEND
	;; [unrolled: 4-line block ×4, first 2 shown]
	;;#ASMSTART
	v_pk_add_f16 v12, v12, v13;

	;;#ASMEND
	;;#ASMSTART
	v_pk_add_f16 v0, v12, v0;

	;;#ASMEND
	;; [unrolled: 4-line block ×3, first 2 shown]
	v_dual_mov_b32 v130, 0 :: v_dual_and_b32 v11, 0xffff, v0
	v_lshrrev_b32_e32 v0, 16, v0
	;;#ASMSTART
	v_cvt_f32_f16 v118, v11;
	;;#ASMEND
	;;#ASMSTART
	v_cvt_f32_f16 v119, v0;
	;;#ASMEND
	flat_load_b64 v[11:12], v[9:10] offset:3072
	flat_load_b32 v128, v[26:27]
	s_mov_b32 s10, exec_lo
	s_waitcnt vmcnt(1) lgkmcnt(1)
	v_dual_mov_b32 v129, 0 :: v_dual_and_b32 v0, 0xff, v11
	s_delay_alu instid0(VALU_DEP_1)
	v_cmpx_ne_u16_e32 0, v0
	s_cbranch_execz .LBB367_1791
; %bb.1784:                             ;   in Loop: Header=BB367_991 Depth=1
	v_bfrev_b32_e32 v129, 1
	s_mov_b32 s12, exec_lo
	v_cmpx_ne_u16_e32 0x80, v0
	s_cbranch_execz .LBB367_1790
; %bb.1785:                             ;   in Loop: Header=BB367_991 Depth=1
	v_and_b32_e32 v13, 0x7f, v11
	v_mov_b32_e32 v129, 0x7fc02000
	s_mov_b32 s13, exec_lo
	s_delay_alu instid0(VALU_DEP_2)
	v_cmpx_ne_u32_e32 0x7f, v13
	s_cbranch_execz .LBB367_1789
; %bb.1786:                             ;   in Loop: Header=BB367_991 Depth=1
	v_lshrrev_b32_e32 v0, 3, v13
	v_cmp_gt_u32_e64 s0, 8, v13
	v_dual_mov_b32 v14, v12 :: v_dual_mov_b32 v13, v11
	s_delay_alu instid0(VALU_DEP_2)
	s_and_saveexec_b32 s15, s0
; %bb.1787:                             ;   in Loop: Header=BB367_991 Depth=1
	v_and_b32_e32 v0, 7, v11
	s_delay_alu instid0(VALU_DEP_1) | instskip(NEXT) | instid1(VALU_DEP_1)
	v_clz_i32_u32_e32 v0, v0
	v_min_u32_e32 v0, 32, v0
	s_delay_alu instid0(VALU_DEP_1) | instskip(SKIP_1) | instid1(VALU_DEP_2)
	v_subrev_nc_u32_e32 v13, 28, v0
	v_sub_nc_u32_e32 v0, 29, v0
	v_lshlrev_b64 v[13:14], v13, v[11:12]
; %bb.1788:                             ;   in Loop: Header=BB367_991 Depth=1
	s_or_b32 exec_lo, exec_lo, s15
	v_lshlrev_b32_e32 v14, 8, v11
	s_delay_alu instid0(VALU_DEP_3) | instskip(NEXT) | instid1(VALU_DEP_3)
	v_lshl_add_u32 v0, v0, 10, 0x2000
	v_lshlrev_b32_e32 v13, 7, v13
	s_delay_alu instid0(VALU_DEP_2) | instskip(NEXT) | instid1(VALU_DEP_1)
	v_and_or_b32 v0, 0x8000, v14, v0
	v_and_or_b32 v0, 0x380, v13, v0
	s_delay_alu instid0(VALU_DEP_1)
	v_cvt_f32_f16_e64 v129, v0
.LBB367_1789:                           ;   in Loop: Header=BB367_991 Depth=1
	s_or_b32 exec_lo, exec_lo, s13
.LBB367_1790:                           ;   in Loop: Header=BB367_991 Depth=1
	s_delay_alu instid0(SALU_CYCLE_1)
	s_or_b32 exec_lo, exec_lo, s12
.LBB367_1791:                           ;   in Loop: Header=BB367_991 Depth=1
	s_delay_alu instid0(SALU_CYCLE_1) | instskip(SKIP_2) | instid1(VALU_DEP_1)
	s_or_b32 exec_lo, exec_lo, s10
	v_lshrrev_b16 v0, 8, v11
	s_mov_b32 s10, exec_lo
	v_cmpx_ne_u16_e32 0, v0
	s_cbranch_execz .LBB367_1799
; %bb.1792:                             ;   in Loop: Header=BB367_991 Depth=1
	v_bfrev_b32_e32 v130, 1
	s_mov_b32 s12, exec_lo
	v_cmpx_ne_u16_e32 0x80, v0
	s_cbranch_execz .LBB367_1798
; %bb.1793:                             ;   in Loop: Header=BB367_991 Depth=1
	v_and_b32_e32 v131, 0xffff, v0
	v_mov_b32_e32 v130, 0x7fc02000
	s_mov_b32 s13, exec_lo
	s_delay_alu instid0(VALU_DEP_2) | instskip(NEXT) | instid1(VALU_DEP_1)
	v_and_b32_e32 v13, 0x7f, v131
	v_cmpx_ne_u32_e32 0x7f, v13
	s_cbranch_execz .LBB367_1797
; %bb.1794:                             ;   in Loop: Header=BB367_991 Depth=1
	v_and_b32_e32 v0, 7, v131
	v_lshrrev_b32_e32 v130, 3, v13
	v_cmp_gt_u32_e64 s0, 8, v13
	s_delay_alu instid0(VALU_DEP_3) | instskip(NEXT) | instid1(VALU_DEP_2)
	v_dual_mov_b32 v14, v1 :: v_dual_mov_b32 v13, v0
	s_and_saveexec_b32 s15, s0
; %bb.1795:                             ;   in Loop: Header=BB367_991 Depth=1
	v_clz_i32_u32_e32 v13, v0
	s_delay_alu instid0(VALU_DEP_1) | instskip(NEXT) | instid1(VALU_DEP_1)
	v_min_u32_e32 v130, 32, v13
	v_subrev_nc_u32_e32 v13, 28, v130
	v_sub_nc_u32_e32 v130, 29, v130
	s_delay_alu instid0(VALU_DEP_2) | instskip(NEXT) | instid1(VALU_DEP_1)
	v_lshlrev_b64 v[13:14], v13, v[0:1]
	v_and_b32_e32 v13, 7, v13
; %bb.1796:                             ;   in Loop: Header=BB367_991 Depth=1
	s_or_b32 exec_lo, exec_lo, s15
	v_lshlrev_b32_e32 v0, 8, v131
	v_lshl_add_u32 v14, v130, 10, 0x2000
	s_delay_alu instid0(VALU_DEP_1) | instskip(NEXT) | instid1(VALU_DEP_1)
	v_and_or_b32 v0, 0x8000, v0, v14
	v_lshl_or_b32 v0, v13, 7, v0
	s_delay_alu instid0(VALU_DEP_1)
	v_cvt_f32_f16_e64 v130, v0
.LBB367_1797:                           ;   in Loop: Header=BB367_991 Depth=1
	s_or_b32 exec_lo, exec_lo, s13
.LBB367_1798:                           ;   in Loop: Header=BB367_991 Depth=1
	s_delay_alu instid0(SALU_CYCLE_1)
	s_or_b32 exec_lo, exec_lo, s12
.LBB367_1799:                           ;   in Loop: Header=BB367_991 Depth=1
	s_delay_alu instid0(SALU_CYCLE_1) | instskip(SKIP_3) | instid1(VALU_DEP_2)
	s_or_b32 exec_lo, exec_lo, s10
	v_lshrrev_b32_e32 v133, 16, v11
	v_mov_b32_e32 v132, 0
	s_mov_b32 s10, exec_lo
	v_dual_mov_b32 v131, 0 :: v_dual_and_b32 v0, 0xff, v133
	s_delay_alu instid0(VALU_DEP_1)
	v_cmpx_ne_u16_e32 0, v0
	s_cbranch_execz .LBB367_1807
; %bb.1800:                             ;   in Loop: Header=BB367_991 Depth=1
	v_bfrev_b32_e32 v131, 1
	s_mov_b32 s12, exec_lo
	v_cmpx_ne_u16_e32 0x80, v0
	s_cbranch_execz .LBB367_1806
; %bb.1801:                             ;   in Loop: Header=BB367_991 Depth=1
	v_bfe_u32 v13, v11, 16, 7
	v_mov_b32_e32 v131, 0x7fc02000
	s_mov_b32 s13, exec_lo
	s_delay_alu instid0(VALU_DEP_2)
	v_cmpx_ne_u32_e32 0x7f, v13
	s_cbranch_execz .LBB367_1805
; %bb.1802:                             ;   in Loop: Header=BB367_991 Depth=1
	v_and_b32_e32 v0, 7, v133
	v_lshrrev_b32_e32 v131, 3, v13
	v_cmp_gt_u32_e64 s0, 8, v13
	s_delay_alu instid0(VALU_DEP_3) | instskip(NEXT) | instid1(VALU_DEP_2)
	v_dual_mov_b32 v14, v1 :: v_dual_mov_b32 v13, v0
	s_and_saveexec_b32 s15, s0
; %bb.1803:                             ;   in Loop: Header=BB367_991 Depth=1
	v_clz_i32_u32_e32 v13, v0
	s_delay_alu instid0(VALU_DEP_1) | instskip(NEXT) | instid1(VALU_DEP_1)
	v_min_u32_e32 v131, 32, v13
	v_subrev_nc_u32_e32 v13, 28, v131
	v_sub_nc_u32_e32 v131, 29, v131
	s_delay_alu instid0(VALU_DEP_2) | instskip(NEXT) | instid1(VALU_DEP_1)
	v_lshlrev_b64 v[13:14], v13, v[0:1]
	v_and_b32_e32 v13, 7, v13
; %bb.1804:                             ;   in Loop: Header=BB367_991 Depth=1
	s_or_b32 exec_lo, exec_lo, s15
	v_lshlrev_b32_e32 v0, 8, v133
	v_lshl_add_u32 v14, v131, 10, 0x2000
	s_delay_alu instid0(VALU_DEP_1) | instskip(NEXT) | instid1(VALU_DEP_1)
	v_and_or_b32 v0, 0x8000, v0, v14
	v_lshl_or_b32 v0, v13, 7, v0
	s_delay_alu instid0(VALU_DEP_1)
	v_cvt_f32_f16_e64 v131, v0
.LBB367_1805:                           ;   in Loop: Header=BB367_991 Depth=1
	s_or_b32 exec_lo, exec_lo, s13
.LBB367_1806:                           ;   in Loop: Header=BB367_991 Depth=1
	s_delay_alu instid0(SALU_CYCLE_1)
	s_or_b32 exec_lo, exec_lo, s12
.LBB367_1807:                           ;   in Loop: Header=BB367_991 Depth=1
	s_delay_alu instid0(SALU_CYCLE_1) | instskip(NEXT) | instid1(SALU_CYCLE_1)
	s_or_b32 exec_lo, exec_lo, s10
	s_mov_b32 s10, exec_lo
	v_cmpx_lt_u32_e32 0xffffff, v11
	s_cbranch_execz .LBB367_1815
; %bb.1808:                             ;   in Loop: Header=BB367_991 Depth=1
	v_lshrrev_b32_e32 v133, 24, v11
	v_bfrev_b32_e32 v132, 1
	s_mov_b32 s12, exec_lo
	s_delay_alu instid0(VALU_DEP_2)
	v_cmpx_ne_u32_e32 0x80, v133
	s_cbranch_execz .LBB367_1814
; %bb.1809:                             ;   in Loop: Header=BB367_991 Depth=1
	v_and_b32_e32 v13, 0x7f, v133
	v_mov_b32_e32 v132, 0x7fc02000
	s_mov_b32 s13, exec_lo
	s_delay_alu instid0(VALU_DEP_2)
	v_cmpx_ne_u32_e32 0x7f, v13
	s_cbranch_execz .LBB367_1813
; %bb.1810:                             ;   in Loop: Header=BB367_991 Depth=1
	v_and_b32_e32 v0, 7, v133
	v_lshrrev_b32_e32 v132, 3, v13
	v_cmp_gt_u32_e64 s0, 8, v13
	s_delay_alu instid0(VALU_DEP_3) | instskip(NEXT) | instid1(VALU_DEP_2)
	v_dual_mov_b32 v14, v1 :: v_dual_mov_b32 v13, v0
	s_and_saveexec_b32 s15, s0
; %bb.1811:                             ;   in Loop: Header=BB367_991 Depth=1
	v_clz_i32_u32_e32 v13, v0
	s_delay_alu instid0(VALU_DEP_1) | instskip(NEXT) | instid1(VALU_DEP_1)
	v_min_u32_e32 v132, 32, v13
	v_subrev_nc_u32_e32 v13, 28, v132
	v_sub_nc_u32_e32 v132, 29, v132
	s_delay_alu instid0(VALU_DEP_2) | instskip(NEXT) | instid1(VALU_DEP_1)
	v_lshlrev_b64 v[13:14], v13, v[0:1]
	v_and_b32_e32 v13, 7, v13
; %bb.1812:                             ;   in Loop: Header=BB367_991 Depth=1
	s_or_b32 exec_lo, exec_lo, s15
	v_lshlrev_b32_e32 v0, 8, v133
	v_lshl_add_u32 v14, v132, 10, 0x2000
	s_delay_alu instid0(VALU_DEP_1) | instskip(NEXT) | instid1(VALU_DEP_1)
	v_and_or_b32 v0, 0x8000, v0, v14
	v_lshl_or_b32 v0, v13, 7, v0
	s_delay_alu instid0(VALU_DEP_1)
	v_cvt_f32_f16_e64 v132, v0
.LBB367_1813:                           ;   in Loop: Header=BB367_991 Depth=1
	s_or_b32 exec_lo, exec_lo, s13
.LBB367_1814:                           ;   in Loop: Header=BB367_991 Depth=1
	s_delay_alu instid0(SALU_CYCLE_1)
	s_or_b32 exec_lo, exec_lo, s12
.LBB367_1815:                           ;   in Loop: Header=BB367_991 Depth=1
	s_delay_alu instid0(SALU_CYCLE_1) | instskip(SKIP_3) | instid1(VALU_DEP_2)
	s_or_b32 exec_lo, exec_lo, s10
	v_dual_mov_b32 v0, v12 :: v_dual_and_b32 v13, 0xff, v12
	v_dual_mov_b32 v134, 0 :: v_dual_mov_b32 v133, 0
	s_mov_b32 s10, exec_lo
	v_cmpx_ne_u16_e32 0, v13
	s_cbranch_execz .LBB367_1823
; %bb.1816:                             ;   in Loop: Header=BB367_991 Depth=1
	v_bfrev_b32_e32 v133, 1
	s_mov_b32 s12, exec_lo
	v_cmpx_ne_u16_e32 0x80, v13
	s_cbranch_execz .LBB367_1822
; %bb.1817:                             ;   in Loop: Header=BB367_991 Depth=1
	v_and_b32_e32 v13, 0x7f, v12
	v_mov_b32_e32 v133, 0x7fc02000
	s_mov_b32 s13, exec_lo
	s_delay_alu instid0(VALU_DEP_2)
	v_cmpx_ne_u32_e32 0x7f, v13
	s_cbranch_execz .LBB367_1821
; %bb.1818:                             ;   in Loop: Header=BB367_991 Depth=1
	v_lshrrev_b32_e32 v133, 3, v13
	v_cmp_gt_u32_e64 s0, 8, v13
	v_dual_mov_b32 v14, v1 :: v_dual_mov_b32 v13, v0
	s_delay_alu instid0(VALU_DEP_2)
	s_and_saveexec_b32 s15, s0
; %bb.1819:                             ;   in Loop: Header=BB367_991 Depth=1
	v_and_b32_e32 v13, 7, v12
	s_delay_alu instid0(VALU_DEP_1) | instskip(NEXT) | instid1(VALU_DEP_1)
	v_clz_i32_u32_e32 v13, v13
	v_min_u32_e32 v133, 32, v13
	s_delay_alu instid0(VALU_DEP_1) | instskip(SKIP_1) | instid1(VALU_DEP_2)
	v_subrev_nc_u32_e32 v13, 28, v133
	v_sub_nc_u32_e32 v133, 29, v133
	v_lshlrev_b64 v[13:14], v13, v[0:1]
; %bb.1820:                             ;   in Loop: Header=BB367_991 Depth=1
	s_or_b32 exec_lo, exec_lo, s15
	v_lshlrev_b32_e32 v14, 8, v12
	s_delay_alu instid0(VALU_DEP_3) | instskip(NEXT) | instid1(VALU_DEP_3)
	v_lshl_add_u32 v133, v133, 10, 0x2000
	v_lshlrev_b32_e32 v13, 7, v13
	s_delay_alu instid0(VALU_DEP_2) | instskip(NEXT) | instid1(VALU_DEP_1)
	v_and_or_b32 v14, 0x8000, v14, v133
	v_and_or_b32 v13, 0x380, v13, v14
	s_delay_alu instid0(VALU_DEP_1)
	v_cvt_f32_f16_e64 v133, v13
.LBB367_1821:                           ;   in Loop: Header=BB367_991 Depth=1
	s_or_b32 exec_lo, exec_lo, s13
.LBB367_1822:                           ;   in Loop: Header=BB367_991 Depth=1
	s_delay_alu instid0(SALU_CYCLE_1)
	s_or_b32 exec_lo, exec_lo, s12
.LBB367_1823:                           ;   in Loop: Header=BB367_991 Depth=1
	s_delay_alu instid0(SALU_CYCLE_1) | instskip(SKIP_2) | instid1(VALU_DEP_1)
	s_or_b32 exec_lo, exec_lo, s10
	v_lshrrev_b16 v0, 8, v0
	s_mov_b32 s10, exec_lo
	v_cmpx_ne_u16_e32 0, v0
	s_cbranch_execz .LBB367_1831
; %bb.1824:                             ;   in Loop: Header=BB367_991 Depth=1
	v_bfrev_b32_e32 v134, 1
	s_mov_b32 s12, exec_lo
	v_cmpx_ne_u16_e32 0x80, v0
	s_cbranch_execz .LBB367_1830
; %bb.1825:                             ;   in Loop: Header=BB367_991 Depth=1
	v_and_b32_e32 v135, 0xffff, v0
	v_mov_b32_e32 v134, 0x7fc02000
	s_mov_b32 s13, exec_lo
	s_delay_alu instid0(VALU_DEP_2) | instskip(NEXT) | instid1(VALU_DEP_1)
	v_and_b32_e32 v13, 0x7f, v135
	v_cmpx_ne_u32_e32 0x7f, v13
	s_cbranch_execz .LBB367_1829
; %bb.1826:                             ;   in Loop: Header=BB367_991 Depth=1
	v_and_b32_e32 v0, 7, v135
	v_lshrrev_b32_e32 v134, 3, v13
	v_cmp_gt_u32_e64 s0, 8, v13
	s_delay_alu instid0(VALU_DEP_3) | instskip(NEXT) | instid1(VALU_DEP_2)
	v_dual_mov_b32 v14, v1 :: v_dual_mov_b32 v13, v0
	s_and_saveexec_b32 s15, s0
; %bb.1827:                             ;   in Loop: Header=BB367_991 Depth=1
	v_clz_i32_u32_e32 v13, v0
	s_delay_alu instid0(VALU_DEP_1) | instskip(NEXT) | instid1(VALU_DEP_1)
	v_min_u32_e32 v134, 32, v13
	v_subrev_nc_u32_e32 v13, 28, v134
	v_sub_nc_u32_e32 v134, 29, v134
	s_delay_alu instid0(VALU_DEP_2) | instskip(NEXT) | instid1(VALU_DEP_1)
	v_lshlrev_b64 v[13:14], v13, v[0:1]
	v_and_b32_e32 v13, 7, v13
; %bb.1828:                             ;   in Loop: Header=BB367_991 Depth=1
	s_or_b32 exec_lo, exec_lo, s15
	v_lshlrev_b32_e32 v0, 8, v135
	v_lshl_add_u32 v14, v134, 10, 0x2000
	s_delay_alu instid0(VALU_DEP_1) | instskip(NEXT) | instid1(VALU_DEP_1)
	v_and_or_b32 v0, 0x8000, v0, v14
	v_lshl_or_b32 v0, v13, 7, v0
	s_delay_alu instid0(VALU_DEP_1)
	v_cvt_f32_f16_e64 v134, v0
.LBB367_1829:                           ;   in Loop: Header=BB367_991 Depth=1
	s_or_b32 exec_lo, exec_lo, s13
.LBB367_1830:                           ;   in Loop: Header=BB367_991 Depth=1
	s_delay_alu instid0(SALU_CYCLE_1)
	s_or_b32 exec_lo, exec_lo, s12
.LBB367_1831:                           ;   in Loop: Header=BB367_991 Depth=1
	s_delay_alu instid0(SALU_CYCLE_1) | instskip(SKIP_3) | instid1(VALU_DEP_2)
	s_or_b32 exec_lo, exec_lo, s10
	v_lshrrev_b32_e32 v144, 16, v12
	v_mov_b32_e32 v13, 0
	s_mov_b32 s10, exec_lo
	v_dual_mov_b32 v135, 0 :: v_dual_and_b32 v0, 0xff, v144
	s_delay_alu instid0(VALU_DEP_1)
	v_cmpx_ne_u16_e32 0, v0
	s_cbranch_execz .LBB367_1839
; %bb.1832:                             ;   in Loop: Header=BB367_991 Depth=1
	v_bfrev_b32_e32 v13, 1
	s_mov_b32 s12, exec_lo
	v_cmpx_ne_u16_e32 0x80, v0
	s_cbranch_execz .LBB367_1838
; %bb.1833:                             ;   in Loop: Header=BB367_991 Depth=1
	v_bfe_u32 v14, v12, 16, 7
	v_mov_b32_e32 v13, 0x7fc02000
	s_mov_b32 s13, exec_lo
	s_delay_alu instid0(VALU_DEP_2)
	v_cmpx_ne_u32_e32 0x7f, v14
	s_cbranch_execz .LBB367_1837
; %bb.1834:                             ;   in Loop: Header=BB367_991 Depth=1
	v_and_b32_e32 v0, 7, v144
	v_lshrrev_b32_e32 v145, 3, v14
	v_cmp_gt_u32_e64 s0, 8, v14
	s_delay_alu instid0(VALU_DEP_3) | instskip(NEXT) | instid1(VALU_DEP_2)
	v_dual_mov_b32 v14, v1 :: v_dual_mov_b32 v13, v0
	s_and_saveexec_b32 s15, s0
; %bb.1835:                             ;   in Loop: Header=BB367_991 Depth=1
	v_clz_i32_u32_e32 v13, v0
	s_delay_alu instid0(VALU_DEP_1) | instskip(NEXT) | instid1(VALU_DEP_1)
	v_min_u32_e32 v145, 32, v13
	v_subrev_nc_u32_e32 v13, 28, v145
	v_sub_nc_u32_e32 v145, 29, v145
	s_delay_alu instid0(VALU_DEP_2) | instskip(NEXT) | instid1(VALU_DEP_1)
	v_lshlrev_b64 v[13:14], v13, v[0:1]
	v_and_b32_e32 v13, 7, v13
; %bb.1836:                             ;   in Loop: Header=BB367_991 Depth=1
	s_or_b32 exec_lo, exec_lo, s15
	v_lshlrev_b32_e32 v0, 8, v144
	v_lshl_add_u32 v14, v145, 10, 0x2000
	s_delay_alu instid0(VALU_DEP_1) | instskip(NEXT) | instid1(VALU_DEP_1)
	v_and_or_b32 v0, 0x8000, v0, v14
	v_lshl_or_b32 v0, v13, 7, v0
	s_delay_alu instid0(VALU_DEP_1)
	v_cvt_f32_f16_e32 v13, v0
.LBB367_1837:                           ;   in Loop: Header=BB367_991 Depth=1
	s_or_b32 exec_lo, exec_lo, s13
.LBB367_1838:                           ;   in Loop: Header=BB367_991 Depth=1
	s_delay_alu instid0(SALU_CYCLE_1)
	s_or_b32 exec_lo, exec_lo, s12
.LBB367_1839:                           ;   in Loop: Header=BB367_991 Depth=1
	s_delay_alu instid0(SALU_CYCLE_1) | instskip(NEXT) | instid1(SALU_CYCLE_1)
	s_or_b32 exec_lo, exec_lo, s10
	s_mov_b32 s10, exec_lo
	v_cmpx_lt_u64_e64 s[8:9], v[11:12]
	s_cbranch_execz .LBB367_1847
; %bb.1840:                             ;   in Loop: Header=BB367_991 Depth=1
	v_lshrrev_b32_e32 v14, 24, v12
	v_bfrev_b32_e32 v135, 1
	s_mov_b32 s12, exec_lo
	s_delay_alu instid0(VALU_DEP_2)
	v_cmpx_ne_u32_e32 0x80, v14
	s_cbranch_execz .LBB367_1846
; %bb.1841:                             ;   in Loop: Header=BB367_991 Depth=1
	v_and_b32_e32 v144, 0x7f, v14
	v_mov_b32_e32 v135, 0x7fc02000
	s_mov_b32 s13, exec_lo
	s_delay_alu instid0(VALU_DEP_2)
	v_cmpx_ne_u32_e32 0x7f, v144
	s_cbranch_execz .LBB367_1845
; %bb.1842:                             ;   in Loop: Header=BB367_991 Depth=1
	v_and_b32_e32 v0, 7, v14
	v_lshrrev_b32_e32 v135, 3, v144
	v_mov_b32_e32 v12, v1
	s_mov_b32 s15, exec_lo
	s_delay_alu instid0(VALU_DEP_3)
	v_mov_b32_e32 v11, v0
	v_cmpx_gt_u32_e32 8, v144
; %bb.1843:                             ;   in Loop: Header=BB367_991 Depth=1
	v_clz_i32_u32_e32 v11, v0
	s_delay_alu instid0(VALU_DEP_1) | instskip(NEXT) | instid1(VALU_DEP_1)
	v_min_u32_e32 v135, 32, v11
	v_subrev_nc_u32_e32 v11, 28, v135
	v_sub_nc_u32_e32 v135, 29, v135
	s_delay_alu instid0(VALU_DEP_2) | instskip(NEXT) | instid1(VALU_DEP_1)
	v_lshlrev_b64 v[11:12], v11, v[0:1]
	v_and_b32_e32 v11, 7, v11
; %bb.1844:                             ;   in Loop: Header=BB367_991 Depth=1
	s_or_b32 exec_lo, exec_lo, s15
	v_lshlrev_b32_e32 v0, 8, v14
	v_lshl_add_u32 v12, v135, 10, 0x2000
	s_delay_alu instid0(VALU_DEP_1) | instskip(NEXT) | instid1(VALU_DEP_1)
	v_and_or_b32 v0, 0x8000, v0, v12
	v_lshl_or_b32 v0, v11, 7, v0
	s_delay_alu instid0(VALU_DEP_1)
	v_cvt_f32_f16_e64 v135, v0
.LBB367_1845:                           ;   in Loop: Header=BB367_991 Depth=1
	s_or_b32 exec_lo, exec_lo, s13
.LBB367_1846:                           ;   in Loop: Header=BB367_991 Depth=1
	s_delay_alu instid0(SALU_CYCLE_1)
	s_or_b32 exec_lo, exec_lo, s12
.LBB367_1847:                           ;   in Loop: Header=BB367_991 Depth=1
	s_delay_alu instid0(SALU_CYCLE_1)
	s_or_b32 exec_lo, exec_lo, s10
	s_waitcnt vmcnt(0) lgkmcnt(0)
	v_fma_mixlo_f16 v12, v128, v130, 0
	v_fma_mixlo_f16 v0, v128, v132, 0
	;; [unrolled: 1-line block ×5, first 2 shown]
	v_lshlrev_b32_e32 v14, 16, v12
	v_fma_mixlo_f16 v131, v128, v133, 0
	v_fma_mixlo_f16 v132, v128, v135, 0
	;; [unrolled: 1-line block ×3, first 2 shown]
	v_lshlrev_b32_e32 v0, 16, v0
	v_and_b32_e32 v11, 0xffff, v11
	v_and_b32_e32 v128, 0xffff, v129
	v_lshlrev_b32_e32 v129, 16, v130
	v_and_b32_e32 v130, 0xffff, v131
	v_lshlrev_b32_e32 v131, 16, v132
	v_and_b32_e32 v132, 0xffff, v12
	v_or_b32_e32 v13, v0, v11
	v_or_b32_e32 v14, v14, v128
	;; [unrolled: 1-line block ×3, first 2 shown]
	s_delay_alu instid0(VALU_DEP_4)
	v_or_b32_e32 v11, v131, v132
	s_and_saveexec_b32 s10, vcc_lo
	s_cbranch_execz .LBB367_1849
; %bb.1848:                             ;   in Loop: Header=BB367_991 Depth=1
	v_cmp_lt_i32_e64 s0, v15, v36
	v_lshrrev_b32_e32 v128, 16, v14
	v_lshrrev_b32_e32 v129, 16, v13
	;; [unrolled: 1-line block ×4, first 2 shown]
	v_cndmask_b32_e64 v14, 0, v14, s0
	v_cmp_lt_i32_e64 s0, v81, v48
	s_delay_alu instid0(VALU_DEP_1) | instskip(SKIP_1) | instid1(VALU_DEP_2)
	v_cndmask_b32_e64 v128, 0, v128, s0
	v_cmp_lt_i32_e64 s0, v80, v48
	v_perm_b32 v14, v128, v14, 0x5040100
	s_delay_alu instid0(VALU_DEP_2) | instskip(SKIP_1) | instid1(VALU_DEP_1)
	v_cndmask_b32_e64 v129, 0, v129, s0
	v_cmp_lt_i32_e64 s0, v65, v36
	v_cndmask_b32_e64 v13, 0, v13, s0
	v_cmp_lt_i32_e64 s0, v64, v48
	s_delay_alu instid0(VALU_DEP_2) | instskip(NEXT) | instid1(VALU_DEP_2)
	v_perm_b32 v13, v129, v13, 0x5040100
	v_cndmask_b32_e64 v130, 0, v130, s0
	v_cmp_lt_i32_e64 s0, v55, v36
	s_delay_alu instid0(VALU_DEP_1) | instskip(SKIP_1) | instid1(VALU_DEP_2)
	v_cndmask_b32_e64 v0, 0, v0, s0
	v_cmp_lt_i32_e64 s0, v38, v48
	v_perm_b32 v0, v130, v0, 0x5040100
	s_delay_alu instid0(VALU_DEP_2) | instskip(SKIP_1) | instid1(VALU_DEP_1)
	v_cndmask_b32_e64 v11, 0, v11, s0
	v_cmp_lt_i32_e64 s0, v17, v36
	v_cndmask_b32_e64 v12, 0, v12, s0
	s_delay_alu instid0(VALU_DEP_1)
	v_perm_b32 v11, v11, v12, 0x5040100
.LBB367_1849:                           ;   in Loop: Header=BB367_991 Depth=1
	s_or_b32 exec_lo, exec_lo, s10
	;;#ASMSTART
	v_pk_mul_f16 v12, v71, v14;

	;;#ASMEND
	;;#ASMSTART
	v_pk_mul_f16 v13, v69, v13;

	;;#ASMEND
	;; [unrolled: 4-line block ×4, first 2 shown]
	;;#ASMSTART
	v_pk_add_f16 v12, v12, v13;

	;;#ASMEND
	;;#ASMSTART
	v_pk_add_f16 v0, v12, v0;

	;;#ASMEND
	;; [unrolled: 4-line block ×3, first 2 shown]
	v_dual_mov_b32 v132, 0 :: v_dual_and_b32 v11, 0xffff, v0
	v_lshrrev_b32_e32 v0, 16, v0
	;;#ASMSTART
	v_cvt_f32_f16 v128, v11;
	;;#ASMEND
	;;#ASMSTART
	v_cvt_f32_f16 v129, v0;
	;;#ASMEND
	flat_load_b64 v[11:12], v[9:10] offset:3328
	flat_load_b32 v130, v[26:27]
	s_mov_b32 s10, exec_lo
	s_waitcnt vmcnt(1) lgkmcnt(1)
	v_dual_mov_b32 v131, 0 :: v_dual_and_b32 v0, 0xff, v11
	s_delay_alu instid0(VALU_DEP_1)
	v_cmpx_ne_u16_e32 0, v0
	s_cbranch_execz .LBB367_1857
; %bb.1850:                             ;   in Loop: Header=BB367_991 Depth=1
	v_bfrev_b32_e32 v131, 1
	s_mov_b32 s12, exec_lo
	v_cmpx_ne_u16_e32 0x80, v0
	s_cbranch_execz .LBB367_1856
; %bb.1851:                             ;   in Loop: Header=BB367_991 Depth=1
	v_and_b32_e32 v13, 0x7f, v11
	v_mov_b32_e32 v131, 0x7fc02000
	s_mov_b32 s13, exec_lo
	s_delay_alu instid0(VALU_DEP_2)
	v_cmpx_ne_u32_e32 0x7f, v13
	s_cbranch_execz .LBB367_1855
; %bb.1852:                             ;   in Loop: Header=BB367_991 Depth=1
	v_lshrrev_b32_e32 v0, 3, v13
	v_cmp_gt_u32_e64 s0, 8, v13
	v_dual_mov_b32 v14, v12 :: v_dual_mov_b32 v13, v11
	s_delay_alu instid0(VALU_DEP_2)
	s_and_saveexec_b32 s15, s0
; %bb.1853:                             ;   in Loop: Header=BB367_991 Depth=1
	v_and_b32_e32 v0, 7, v11
	s_delay_alu instid0(VALU_DEP_1) | instskip(NEXT) | instid1(VALU_DEP_1)
	v_clz_i32_u32_e32 v0, v0
	v_min_u32_e32 v0, 32, v0
	s_delay_alu instid0(VALU_DEP_1) | instskip(SKIP_1) | instid1(VALU_DEP_2)
	v_subrev_nc_u32_e32 v13, 28, v0
	v_sub_nc_u32_e32 v0, 29, v0
	v_lshlrev_b64 v[13:14], v13, v[11:12]
; %bb.1854:                             ;   in Loop: Header=BB367_991 Depth=1
	s_or_b32 exec_lo, exec_lo, s15
	v_lshlrev_b32_e32 v14, 8, v11
	s_delay_alu instid0(VALU_DEP_3) | instskip(NEXT) | instid1(VALU_DEP_3)
	v_lshl_add_u32 v0, v0, 10, 0x2000
	v_lshlrev_b32_e32 v13, 7, v13
	s_delay_alu instid0(VALU_DEP_2) | instskip(NEXT) | instid1(VALU_DEP_1)
	v_and_or_b32 v0, 0x8000, v14, v0
	v_and_or_b32 v0, 0x380, v13, v0
	s_delay_alu instid0(VALU_DEP_1)
	v_cvt_f32_f16_e64 v131, v0
.LBB367_1855:                           ;   in Loop: Header=BB367_991 Depth=1
	s_or_b32 exec_lo, exec_lo, s13
.LBB367_1856:                           ;   in Loop: Header=BB367_991 Depth=1
	s_delay_alu instid0(SALU_CYCLE_1)
	s_or_b32 exec_lo, exec_lo, s12
.LBB367_1857:                           ;   in Loop: Header=BB367_991 Depth=1
	s_delay_alu instid0(SALU_CYCLE_1) | instskip(SKIP_2) | instid1(VALU_DEP_1)
	s_or_b32 exec_lo, exec_lo, s10
	v_lshrrev_b16 v0, 8, v11
	s_mov_b32 s10, exec_lo
	v_cmpx_ne_u16_e32 0, v0
	s_cbranch_execz .LBB367_1865
; %bb.1858:                             ;   in Loop: Header=BB367_991 Depth=1
	v_bfrev_b32_e32 v132, 1
	s_mov_b32 s12, exec_lo
	v_cmpx_ne_u16_e32 0x80, v0
	s_cbranch_execz .LBB367_1864
; %bb.1859:                             ;   in Loop: Header=BB367_991 Depth=1
	v_and_b32_e32 v133, 0xffff, v0
	v_mov_b32_e32 v132, 0x7fc02000
	s_mov_b32 s13, exec_lo
	s_delay_alu instid0(VALU_DEP_2) | instskip(NEXT) | instid1(VALU_DEP_1)
	v_and_b32_e32 v134, 0x7f, v133
	v_cmpx_ne_u32_e32 0x7f, v134
	s_cbranch_execz .LBB367_1863
; %bb.1860:                             ;   in Loop: Header=BB367_991 Depth=1
	v_and_b32_e32 v0, 7, v133
	v_lshrrev_b32_e32 v132, 3, v134
	v_mov_b32_e32 v14, v1
	s_mov_b32 s15, exec_lo
	s_delay_alu instid0(VALU_DEP_3)
	v_mov_b32_e32 v13, v0
	v_cmpx_gt_u32_e32 8, v134
; %bb.1861:                             ;   in Loop: Header=BB367_991 Depth=1
	v_clz_i32_u32_e32 v13, v0
	s_delay_alu instid0(VALU_DEP_1) | instskip(NEXT) | instid1(VALU_DEP_1)
	v_min_u32_e32 v132, 32, v13
	v_subrev_nc_u32_e32 v13, 28, v132
	v_sub_nc_u32_e32 v132, 29, v132
	s_delay_alu instid0(VALU_DEP_2) | instskip(NEXT) | instid1(VALU_DEP_1)
	v_lshlrev_b64 v[13:14], v13, v[0:1]
	v_and_b32_e32 v13, 7, v13
; %bb.1862:                             ;   in Loop: Header=BB367_991 Depth=1
	s_or_b32 exec_lo, exec_lo, s15
	v_lshlrev_b32_e32 v0, 8, v133
	v_lshl_add_u32 v14, v132, 10, 0x2000
	s_delay_alu instid0(VALU_DEP_1) | instskip(NEXT) | instid1(VALU_DEP_1)
	v_and_or_b32 v0, 0x8000, v0, v14
	v_lshl_or_b32 v0, v13, 7, v0
	s_delay_alu instid0(VALU_DEP_1)
	v_cvt_f32_f16_e64 v132, v0
.LBB367_1863:                           ;   in Loop: Header=BB367_991 Depth=1
	s_or_b32 exec_lo, exec_lo, s13
.LBB367_1864:                           ;   in Loop: Header=BB367_991 Depth=1
	s_delay_alu instid0(SALU_CYCLE_1)
	s_or_b32 exec_lo, exec_lo, s12
.LBB367_1865:                           ;   in Loop: Header=BB367_991 Depth=1
	s_delay_alu instid0(SALU_CYCLE_1) | instskip(SKIP_3) | instid1(VALU_DEP_2)
	s_or_b32 exec_lo, exec_lo, s10
	v_lshrrev_b32_e32 v135, 16, v11
	v_mov_b32_e32 v134, 0
	s_mov_b32 s10, exec_lo
	v_dual_mov_b32 v133, 0 :: v_dual_and_b32 v0, 0xff, v135
	s_delay_alu instid0(VALU_DEP_1)
	v_cmpx_ne_u16_e32 0, v0
	s_cbranch_execz .LBB367_1873
; %bb.1866:                             ;   in Loop: Header=BB367_991 Depth=1
	v_bfrev_b32_e32 v133, 1
	s_mov_b32 s12, exec_lo
	v_cmpx_ne_u16_e32 0x80, v0
	s_cbranch_execz .LBB367_1872
; %bb.1867:                             ;   in Loop: Header=BB367_991 Depth=1
	v_bfe_u32 v144, v11, 16, 7
	v_mov_b32_e32 v133, 0x7fc02000
	s_mov_b32 s13, exec_lo
	s_delay_alu instid0(VALU_DEP_2)
	v_cmpx_ne_u32_e32 0x7f, v144
	s_cbranch_execz .LBB367_1871
; %bb.1868:                             ;   in Loop: Header=BB367_991 Depth=1
	v_and_b32_e32 v0, 7, v135
	v_lshrrev_b32_e32 v133, 3, v144
	v_mov_b32_e32 v14, v1
	s_mov_b32 s15, exec_lo
	s_delay_alu instid0(VALU_DEP_3)
	v_mov_b32_e32 v13, v0
	v_cmpx_gt_u32_e32 8, v144
; %bb.1869:                             ;   in Loop: Header=BB367_991 Depth=1
	v_clz_i32_u32_e32 v13, v0
	s_delay_alu instid0(VALU_DEP_1) | instskip(NEXT) | instid1(VALU_DEP_1)
	v_min_u32_e32 v133, 32, v13
	v_subrev_nc_u32_e32 v13, 28, v133
	v_sub_nc_u32_e32 v133, 29, v133
	s_delay_alu instid0(VALU_DEP_2) | instskip(NEXT) | instid1(VALU_DEP_1)
	v_lshlrev_b64 v[13:14], v13, v[0:1]
	v_and_b32_e32 v13, 7, v13
; %bb.1870:                             ;   in Loop: Header=BB367_991 Depth=1
	s_or_b32 exec_lo, exec_lo, s15
	v_lshlrev_b32_e32 v0, 8, v135
	v_lshl_add_u32 v14, v133, 10, 0x2000
	s_delay_alu instid0(VALU_DEP_1) | instskip(NEXT) | instid1(VALU_DEP_1)
	v_and_or_b32 v0, 0x8000, v0, v14
	v_lshl_or_b32 v0, v13, 7, v0
	s_delay_alu instid0(VALU_DEP_1)
	v_cvt_f32_f16_e64 v133, v0
.LBB367_1871:                           ;   in Loop: Header=BB367_991 Depth=1
	s_or_b32 exec_lo, exec_lo, s13
.LBB367_1872:                           ;   in Loop: Header=BB367_991 Depth=1
	s_delay_alu instid0(SALU_CYCLE_1)
	s_or_b32 exec_lo, exec_lo, s12
.LBB367_1873:                           ;   in Loop: Header=BB367_991 Depth=1
	s_delay_alu instid0(SALU_CYCLE_1) | instskip(NEXT) | instid1(SALU_CYCLE_1)
	s_or_b32 exec_lo, exec_lo, s10
	s_mov_b32 s10, exec_lo
	v_cmpx_lt_u32_e32 0xffffff, v11
	s_cbranch_execz .LBB367_1881
; %bb.1874:                             ;   in Loop: Header=BB367_991 Depth=1
	v_lshrrev_b32_e32 v135, 24, v11
	v_bfrev_b32_e32 v134, 1
	s_mov_b32 s12, exec_lo
	s_delay_alu instid0(VALU_DEP_2)
	v_cmpx_ne_u32_e32 0x80, v135
	s_cbranch_execz .LBB367_1880
; %bb.1875:                             ;   in Loop: Header=BB367_991 Depth=1
	v_and_b32_e32 v144, 0x7f, v135
	v_mov_b32_e32 v134, 0x7fc02000
	s_mov_b32 s13, exec_lo
	s_delay_alu instid0(VALU_DEP_2)
	v_cmpx_ne_u32_e32 0x7f, v144
	s_cbranch_execz .LBB367_1879
; %bb.1876:                             ;   in Loop: Header=BB367_991 Depth=1
	v_and_b32_e32 v0, 7, v135
	v_lshrrev_b32_e32 v134, 3, v144
	v_mov_b32_e32 v14, v1
	s_mov_b32 s15, exec_lo
	s_delay_alu instid0(VALU_DEP_3)
	v_mov_b32_e32 v13, v0
	v_cmpx_gt_u32_e32 8, v144
; %bb.1877:                             ;   in Loop: Header=BB367_991 Depth=1
	v_clz_i32_u32_e32 v13, v0
	s_delay_alu instid0(VALU_DEP_1) | instskip(NEXT) | instid1(VALU_DEP_1)
	v_min_u32_e32 v134, 32, v13
	v_subrev_nc_u32_e32 v13, 28, v134
	v_sub_nc_u32_e32 v134, 29, v134
	s_delay_alu instid0(VALU_DEP_2) | instskip(NEXT) | instid1(VALU_DEP_1)
	v_lshlrev_b64 v[13:14], v13, v[0:1]
	v_and_b32_e32 v13, 7, v13
; %bb.1878:                             ;   in Loop: Header=BB367_991 Depth=1
	s_or_b32 exec_lo, exec_lo, s15
	v_lshlrev_b32_e32 v0, 8, v135
	v_lshl_add_u32 v14, v134, 10, 0x2000
	s_delay_alu instid0(VALU_DEP_1) | instskip(NEXT) | instid1(VALU_DEP_1)
	v_and_or_b32 v0, 0x8000, v0, v14
	v_lshl_or_b32 v0, v13, 7, v0
	s_delay_alu instid0(VALU_DEP_1)
	v_cvt_f32_f16_e64 v134, v0
.LBB367_1879:                           ;   in Loop: Header=BB367_991 Depth=1
	s_or_b32 exec_lo, exec_lo, s13
.LBB367_1880:                           ;   in Loop: Header=BB367_991 Depth=1
	s_delay_alu instid0(SALU_CYCLE_1)
	s_or_b32 exec_lo, exec_lo, s12
.LBB367_1881:                           ;   in Loop: Header=BB367_991 Depth=1
	s_delay_alu instid0(SALU_CYCLE_1) | instskip(SKIP_3) | instid1(VALU_DEP_2)
	s_or_b32 exec_lo, exec_lo, s10
	v_dual_mov_b32 v0, v12 :: v_dual_and_b32 v13, 0xff, v12
	v_dual_mov_b32 v144, 0 :: v_dual_mov_b32 v135, 0
	s_mov_b32 s10, exec_lo
	v_cmpx_ne_u16_e32 0, v13
	s_cbranch_execz .LBB367_1889
; %bb.1882:                             ;   in Loop: Header=BB367_991 Depth=1
	v_bfrev_b32_e32 v135, 1
	s_mov_b32 s12, exec_lo
	v_cmpx_ne_u16_e32 0x80, v13
	s_cbranch_execz .LBB367_1888
; %bb.1883:                             ;   in Loop: Header=BB367_991 Depth=1
	v_and_b32_e32 v145, 0x7f, v12
	v_mov_b32_e32 v135, 0x7fc02000
	s_mov_b32 s13, exec_lo
	s_delay_alu instid0(VALU_DEP_2)
	v_cmpx_ne_u32_e32 0x7f, v145
	s_cbranch_execz .LBB367_1887
; %bb.1884:                             ;   in Loop: Header=BB367_991 Depth=1
	v_dual_mov_b32 v14, v1 :: v_dual_mov_b32 v13, v0
	v_lshrrev_b32_e32 v14, 3, v145
	s_mov_b32 s15, exec_lo
	v_cmpx_gt_u32_e32 8, v145
; %bb.1885:                             ;   in Loop: Header=BB367_991 Depth=1
	v_and_b32_e32 v13, 7, v12
	s_delay_alu instid0(VALU_DEP_1) | instskip(NEXT) | instid1(VALU_DEP_1)
	v_clz_i32_u32_e32 v13, v13
	v_min_u32_e32 v135, 32, v13
	s_delay_alu instid0(VALU_DEP_1) | instskip(NEXT) | instid1(VALU_DEP_1)
	v_subrev_nc_u32_e32 v13, 28, v135
	v_lshlrev_b64 v[13:14], v13, v[0:1]
	v_sub_nc_u32_e32 v14, 29, v135
; %bb.1886:                             ;   in Loop: Header=BB367_991 Depth=1
	s_or_b32 exec_lo, exec_lo, s15
	v_lshlrev_b32_e32 v135, 8, v12
	s_delay_alu instid0(VALU_DEP_2) | instskip(NEXT) | instid1(VALU_DEP_4)
	v_lshl_add_u32 v14, v14, 10, 0x2000
	v_lshlrev_b32_e32 v13, 7, v13
	s_delay_alu instid0(VALU_DEP_2) | instskip(NEXT) | instid1(VALU_DEP_1)
	v_and_or_b32 v14, 0x8000, v135, v14
	v_and_or_b32 v13, 0x380, v13, v14
	s_delay_alu instid0(VALU_DEP_1)
	v_cvt_f32_f16_e64 v135, v13
.LBB367_1887:                           ;   in Loop: Header=BB367_991 Depth=1
	s_or_b32 exec_lo, exec_lo, s13
.LBB367_1888:                           ;   in Loop: Header=BB367_991 Depth=1
	s_delay_alu instid0(SALU_CYCLE_1)
	s_or_b32 exec_lo, exec_lo, s12
.LBB367_1889:                           ;   in Loop: Header=BB367_991 Depth=1
	s_delay_alu instid0(SALU_CYCLE_1) | instskip(SKIP_2) | instid1(VALU_DEP_1)
	s_or_b32 exec_lo, exec_lo, s10
	v_lshrrev_b16 v0, 8, v0
	s_mov_b32 s10, exec_lo
	v_cmpx_ne_u16_e32 0, v0
	s_cbranch_execz .LBB367_1897
; %bb.1890:                             ;   in Loop: Header=BB367_991 Depth=1
	v_bfrev_b32_e32 v144, 1
	s_mov_b32 s12, exec_lo
	v_cmpx_ne_u16_e32 0x80, v0
	s_cbranch_execz .LBB367_1896
; %bb.1891:                             ;   in Loop: Header=BB367_991 Depth=1
	v_and_b32_e32 v145, 0xffff, v0
	v_mov_b32_e32 v144, 0x7fc02000
	s_mov_b32 s13, exec_lo
	s_delay_alu instid0(VALU_DEP_2) | instskip(NEXT) | instid1(VALU_DEP_1)
	v_and_b32_e32 v146, 0x7f, v145
	v_cmpx_ne_u32_e32 0x7f, v146
	s_cbranch_execz .LBB367_1895
; %bb.1892:                             ;   in Loop: Header=BB367_991 Depth=1
	v_and_b32_e32 v0, 7, v145
	v_lshrrev_b32_e32 v144, 3, v146
	v_mov_b32_e32 v14, v1
	s_mov_b32 s15, exec_lo
	s_delay_alu instid0(VALU_DEP_3)
	v_mov_b32_e32 v13, v0
	v_cmpx_gt_u32_e32 8, v146
; %bb.1893:                             ;   in Loop: Header=BB367_991 Depth=1
	v_clz_i32_u32_e32 v13, v0
	s_delay_alu instid0(VALU_DEP_1) | instskip(NEXT) | instid1(VALU_DEP_1)
	v_min_u32_e32 v144, 32, v13
	v_subrev_nc_u32_e32 v13, 28, v144
	v_sub_nc_u32_e32 v144, 29, v144
	s_delay_alu instid0(VALU_DEP_2) | instskip(NEXT) | instid1(VALU_DEP_1)
	v_lshlrev_b64 v[13:14], v13, v[0:1]
	v_and_b32_e32 v13, 7, v13
; %bb.1894:                             ;   in Loop: Header=BB367_991 Depth=1
	s_or_b32 exec_lo, exec_lo, s15
	v_lshlrev_b32_e32 v0, 8, v145
	v_lshl_add_u32 v14, v144, 10, 0x2000
	s_delay_alu instid0(VALU_DEP_1) | instskip(NEXT) | instid1(VALU_DEP_1)
	v_and_or_b32 v0, 0x8000, v0, v14
	v_lshl_or_b32 v0, v13, 7, v0
	s_delay_alu instid0(VALU_DEP_1)
	v_cvt_f32_f16_e64 v144, v0
.LBB367_1895:                           ;   in Loop: Header=BB367_991 Depth=1
	s_or_b32 exec_lo, exec_lo, s13
.LBB367_1896:                           ;   in Loop: Header=BB367_991 Depth=1
	s_delay_alu instid0(SALU_CYCLE_1)
	s_or_b32 exec_lo, exec_lo, s12
.LBB367_1897:                           ;   in Loop: Header=BB367_991 Depth=1
	s_delay_alu instid0(SALU_CYCLE_1) | instskip(SKIP_3) | instid1(VALU_DEP_2)
	s_or_b32 exec_lo, exec_lo, s10
	v_lshrrev_b32_e32 v146, 16, v12
	v_mov_b32_e32 v13, 0
	s_mov_b32 s10, exec_lo
	v_dual_mov_b32 v145, 0 :: v_dual_and_b32 v0, 0xff, v146
	s_delay_alu instid0(VALU_DEP_1)
	v_cmpx_ne_u16_e32 0, v0
	s_cbranch_execz .LBB367_1905
; %bb.1898:                             ;   in Loop: Header=BB367_991 Depth=1
	v_bfrev_b32_e32 v13, 1
	s_mov_b32 s12, exec_lo
	v_cmpx_ne_u16_e32 0x80, v0
	s_cbranch_execz .LBB367_1904
; %bb.1899:                             ;   in Loop: Header=BB367_991 Depth=1
	v_bfe_u32 v148, v12, 16, 7
	v_mov_b32_e32 v13, 0x7fc02000
	s_mov_b32 s13, exec_lo
	s_delay_alu instid0(VALU_DEP_2)
	v_cmpx_ne_u32_e32 0x7f, v148
	s_cbranch_execz .LBB367_1903
; %bb.1900:                             ;   in Loop: Header=BB367_991 Depth=1
	v_and_b32_e32 v0, 7, v146
	v_lshrrev_b32_e32 v147, 3, v148
	v_mov_b32_e32 v14, v1
	s_mov_b32 s15, exec_lo
	s_delay_alu instid0(VALU_DEP_3)
	v_mov_b32_e32 v13, v0
	v_cmpx_gt_u32_e32 8, v148
; %bb.1901:                             ;   in Loop: Header=BB367_991 Depth=1
	v_clz_i32_u32_e32 v13, v0
	s_delay_alu instid0(VALU_DEP_1) | instskip(NEXT) | instid1(VALU_DEP_1)
	v_min_u32_e32 v147, 32, v13
	v_subrev_nc_u32_e32 v13, 28, v147
	v_sub_nc_u32_e32 v147, 29, v147
	s_delay_alu instid0(VALU_DEP_2) | instskip(NEXT) | instid1(VALU_DEP_1)
	v_lshlrev_b64 v[13:14], v13, v[0:1]
	v_and_b32_e32 v13, 7, v13
; %bb.1902:                             ;   in Loop: Header=BB367_991 Depth=1
	s_or_b32 exec_lo, exec_lo, s15
	v_lshlrev_b32_e32 v0, 8, v146
	v_lshl_add_u32 v14, v147, 10, 0x2000
	s_delay_alu instid0(VALU_DEP_1) | instskip(NEXT) | instid1(VALU_DEP_1)
	v_and_or_b32 v0, 0x8000, v0, v14
	v_lshl_or_b32 v0, v13, 7, v0
	s_delay_alu instid0(VALU_DEP_1)
	v_cvt_f32_f16_e32 v13, v0
.LBB367_1903:                           ;   in Loop: Header=BB367_991 Depth=1
	s_or_b32 exec_lo, exec_lo, s13
.LBB367_1904:                           ;   in Loop: Header=BB367_991 Depth=1
	s_delay_alu instid0(SALU_CYCLE_1)
	s_or_b32 exec_lo, exec_lo, s12
.LBB367_1905:                           ;   in Loop: Header=BB367_991 Depth=1
	s_delay_alu instid0(SALU_CYCLE_1) | instskip(NEXT) | instid1(SALU_CYCLE_1)
	s_or_b32 exec_lo, exec_lo, s10
	s_mov_b32 s10, exec_lo
	v_cmpx_lt_u64_e64 s[8:9], v[11:12]
	s_cbranch_execz .LBB367_1913
; %bb.1906:                             ;   in Loop: Header=BB367_991 Depth=1
	v_lshrrev_b32_e32 v14, 24, v12
	v_bfrev_b32_e32 v145, 1
	s_mov_b32 s12, exec_lo
	s_delay_alu instid0(VALU_DEP_2)
	v_cmpx_ne_u32_e32 0x80, v14
	s_cbranch_execz .LBB367_1912
; %bb.1907:                             ;   in Loop: Header=BB367_991 Depth=1
	v_and_b32_e32 v146, 0x7f, v14
	v_mov_b32_e32 v145, 0x7fc02000
	s_mov_b32 s13, exec_lo
	s_delay_alu instid0(VALU_DEP_2)
	v_cmpx_ne_u32_e32 0x7f, v146
	s_cbranch_execz .LBB367_1911
; %bb.1908:                             ;   in Loop: Header=BB367_991 Depth=1
	v_and_b32_e32 v0, 7, v14
	v_lshrrev_b32_e32 v145, 3, v146
	v_mov_b32_e32 v12, v1
	s_mov_b32 s15, exec_lo
	s_delay_alu instid0(VALU_DEP_3)
	v_mov_b32_e32 v11, v0
	v_cmpx_gt_u32_e32 8, v146
; %bb.1909:                             ;   in Loop: Header=BB367_991 Depth=1
	v_clz_i32_u32_e32 v11, v0
	s_delay_alu instid0(VALU_DEP_1) | instskip(NEXT) | instid1(VALU_DEP_1)
	v_min_u32_e32 v145, 32, v11
	v_subrev_nc_u32_e32 v11, 28, v145
	v_sub_nc_u32_e32 v145, 29, v145
	s_delay_alu instid0(VALU_DEP_2) | instskip(NEXT) | instid1(VALU_DEP_1)
	v_lshlrev_b64 v[11:12], v11, v[0:1]
	v_and_b32_e32 v11, 7, v11
; %bb.1910:                             ;   in Loop: Header=BB367_991 Depth=1
	s_or_b32 exec_lo, exec_lo, s15
	v_lshlrev_b32_e32 v0, 8, v14
	v_lshl_add_u32 v12, v145, 10, 0x2000
	s_delay_alu instid0(VALU_DEP_1) | instskip(NEXT) | instid1(VALU_DEP_1)
	v_and_or_b32 v0, 0x8000, v0, v12
	v_lshl_or_b32 v0, v11, 7, v0
	s_delay_alu instid0(VALU_DEP_1)
	v_cvt_f32_f16_e64 v145, v0
.LBB367_1911:                           ;   in Loop: Header=BB367_991 Depth=1
	s_or_b32 exec_lo, exec_lo, s13
.LBB367_1912:                           ;   in Loop: Header=BB367_991 Depth=1
	s_delay_alu instid0(SALU_CYCLE_1)
	s_or_b32 exec_lo, exec_lo, s12
.LBB367_1913:                           ;   in Loop: Header=BB367_991 Depth=1
	s_delay_alu instid0(SALU_CYCLE_1)
	s_or_b32 exec_lo, exec_lo, s10
	s_waitcnt vmcnt(0) lgkmcnt(0)
	v_fma_mixlo_f16 v12, v130, v132, 0
	v_fma_mixlo_f16 v0, v130, v134, 0
	;; [unrolled: 1-line block ×5, first 2 shown]
	v_lshlrev_b32_e32 v14, 16, v12
	v_fma_mixlo_f16 v133, v130, v135, 0
	v_fma_mixlo_f16 v134, v130, v145, 0
	;; [unrolled: 1-line block ×3, first 2 shown]
	v_lshlrev_b32_e32 v0, 16, v0
	v_and_b32_e32 v11, 0xffff, v11
	v_and_b32_e32 v130, 0xffff, v131
	v_lshlrev_b32_e32 v131, 16, v132
	v_and_b32_e32 v132, 0xffff, v133
	v_lshlrev_b32_e32 v133, 16, v134
	v_and_b32_e32 v134, 0xffff, v12
	v_or_b32_e32 v13, v0, v11
	v_or_b32_e32 v14, v14, v130
	;; [unrolled: 1-line block ×3, first 2 shown]
	s_delay_alu instid0(VALU_DEP_4)
	v_or_b32_e32 v11, v133, v134
	s_and_saveexec_b32 s10, vcc_lo
	s_cbranch_execz .LBB367_1915
; %bb.1914:                             ;   in Loop: Header=BB367_991 Depth=1
	v_cmp_lt_i32_e64 s0, v15, v36
	v_lshrrev_b32_e32 v130, 16, v14
	v_lshrrev_b32_e32 v131, 16, v13
	;; [unrolled: 1-line block ×4, first 2 shown]
	v_cndmask_b32_e64 v14, 0, v14, s0
	v_cmp_lt_i32_e64 s0, v81, v48
	s_delay_alu instid0(VALU_DEP_1) | instskip(SKIP_1) | instid1(VALU_DEP_2)
	v_cndmask_b32_e64 v130, 0, v130, s0
	v_cmp_lt_i32_e64 s0, v80, v48
	v_perm_b32 v14, v130, v14, 0x5040100
	s_delay_alu instid0(VALU_DEP_2) | instskip(SKIP_1) | instid1(VALU_DEP_1)
	v_cndmask_b32_e64 v131, 0, v131, s0
	v_cmp_lt_i32_e64 s0, v65, v36
	v_cndmask_b32_e64 v13, 0, v13, s0
	v_cmp_lt_i32_e64 s0, v64, v48
	s_delay_alu instid0(VALU_DEP_2) | instskip(NEXT) | instid1(VALU_DEP_2)
	v_perm_b32 v13, v131, v13, 0x5040100
	v_cndmask_b32_e64 v132, 0, v132, s0
	v_cmp_lt_i32_e64 s0, v55, v36
	s_delay_alu instid0(VALU_DEP_1) | instskip(SKIP_1) | instid1(VALU_DEP_2)
	v_cndmask_b32_e64 v0, 0, v0, s0
	v_cmp_lt_i32_e64 s0, v38, v48
	v_perm_b32 v0, v132, v0, 0x5040100
	s_delay_alu instid0(VALU_DEP_2) | instskip(SKIP_1) | instid1(VALU_DEP_1)
	v_cndmask_b32_e64 v11, 0, v11, s0
	v_cmp_lt_i32_e64 s0, v17, v36
	v_cndmask_b32_e64 v12, 0, v12, s0
	s_delay_alu instid0(VALU_DEP_1)
	v_perm_b32 v11, v11, v12, 0x5040100
.LBB367_1915:                           ;   in Loop: Header=BB367_991 Depth=1
	s_or_b32 exec_lo, exec_lo, s10
	;;#ASMSTART
	v_pk_mul_f16 v12, v71, v14;

	;;#ASMEND
	;;#ASMSTART
	v_pk_mul_f16 v13, v69, v13;

	;;#ASMEND
	;; [unrolled: 4-line block ×4, first 2 shown]
	;;#ASMSTART
	v_pk_add_f16 v12, v12, v13;

	;;#ASMEND
	;;#ASMSTART
	v_pk_add_f16 v0, v12, v0;

	;;#ASMEND
	;; [unrolled: 4-line block ×3, first 2 shown]
	v_dual_mov_b32 v132, 0 :: v_dual_and_b32 v11, 0xffff, v0
	v_lshrrev_b32_e32 v0, 16, v0
	;;#ASMSTART
	v_cvt_f32_f16 v13, v11;
	;;#ASMEND
	;;#ASMSTART
	v_cvt_f32_f16 v14, v0;
	;;#ASMEND
	flat_load_b64 v[9:10], v[9:10] offset:3584
	flat_load_b32 v130, v[26:27]
	s_mov_b32 s10, exec_lo
	s_waitcnt vmcnt(1) lgkmcnt(1)
	v_dual_mov_b32 v131, 0 :: v_dual_and_b32 v0, 0xff, v9
	s_delay_alu instid0(VALU_DEP_1)
	v_cmpx_ne_u16_e32 0, v0
	s_cbranch_execz .LBB367_1923
; %bb.1916:                             ;   in Loop: Header=BB367_991 Depth=1
	v_bfrev_b32_e32 v131, 1
	s_mov_b32 s12, exec_lo
	v_cmpx_ne_u16_e32 0x80, v0
	s_cbranch_execz .LBB367_1922
; %bb.1917:                             ;   in Loop: Header=BB367_991 Depth=1
	v_and_b32_e32 v11, 0x7f, v9
	v_mov_b32_e32 v131, 0x7fc02000
	s_mov_b32 s13, exec_lo
	s_delay_alu instid0(VALU_DEP_2)
	v_cmpx_ne_u32_e32 0x7f, v11
	s_cbranch_execz .LBB367_1921
; %bb.1918:                             ;   in Loop: Header=BB367_991 Depth=1
	v_lshrrev_b32_e32 v0, 3, v11
	v_cmp_gt_u32_e64 s0, 8, v11
	v_dual_mov_b32 v12, v10 :: v_dual_mov_b32 v11, v9
	s_delay_alu instid0(VALU_DEP_2)
	s_and_saveexec_b32 s15, s0
; %bb.1919:                             ;   in Loop: Header=BB367_991 Depth=1
	v_and_b32_e32 v0, 7, v9
	s_delay_alu instid0(VALU_DEP_1) | instskip(NEXT) | instid1(VALU_DEP_1)
	v_clz_i32_u32_e32 v0, v0
	v_min_u32_e32 v0, 32, v0
	s_delay_alu instid0(VALU_DEP_1) | instskip(SKIP_1) | instid1(VALU_DEP_2)
	v_subrev_nc_u32_e32 v11, 28, v0
	v_sub_nc_u32_e32 v0, 29, v0
	v_lshlrev_b64 v[11:12], v11, v[9:10]
; %bb.1920:                             ;   in Loop: Header=BB367_991 Depth=1
	s_or_b32 exec_lo, exec_lo, s15
	v_lshlrev_b32_e32 v12, 8, v9
	s_delay_alu instid0(VALU_DEP_3) | instskip(NEXT) | instid1(VALU_DEP_3)
	v_lshl_add_u32 v0, v0, 10, 0x2000
	v_lshlrev_b32_e32 v11, 7, v11
	s_delay_alu instid0(VALU_DEP_2) | instskip(NEXT) | instid1(VALU_DEP_1)
	v_and_or_b32 v0, 0x8000, v12, v0
	v_and_or_b32 v0, 0x380, v11, v0
	s_delay_alu instid0(VALU_DEP_1)
	v_cvt_f32_f16_e64 v131, v0
.LBB367_1921:                           ;   in Loop: Header=BB367_991 Depth=1
	s_or_b32 exec_lo, exec_lo, s13
.LBB367_1922:                           ;   in Loop: Header=BB367_991 Depth=1
	s_delay_alu instid0(SALU_CYCLE_1)
	s_or_b32 exec_lo, exec_lo, s12
.LBB367_1923:                           ;   in Loop: Header=BB367_991 Depth=1
	s_delay_alu instid0(SALU_CYCLE_1) | instskip(SKIP_2) | instid1(VALU_DEP_1)
	s_or_b32 exec_lo, exec_lo, s10
	v_lshrrev_b16 v0, 8, v9
	s_mov_b32 s10, exec_lo
	v_cmpx_ne_u16_e32 0, v0
	s_cbranch_execz .LBB367_1931
; %bb.1924:                             ;   in Loop: Header=BB367_991 Depth=1
	v_bfrev_b32_e32 v132, 1
	s_mov_b32 s12, exec_lo
	v_cmpx_ne_u16_e32 0x80, v0
	s_cbranch_execz .LBB367_1930
; %bb.1925:                             ;   in Loop: Header=BB367_991 Depth=1
	v_and_b32_e32 v133, 0xffff, v0
	v_mov_b32_e32 v132, 0x7fc02000
	s_mov_b32 s13, exec_lo
	s_delay_alu instid0(VALU_DEP_2) | instskip(NEXT) | instid1(VALU_DEP_1)
	v_and_b32_e32 v134, 0x7f, v133
	v_cmpx_ne_u32_e32 0x7f, v134
	s_cbranch_execz .LBB367_1929
; %bb.1926:                             ;   in Loop: Header=BB367_991 Depth=1
	v_and_b32_e32 v0, 7, v133
	v_lshrrev_b32_e32 v132, 3, v134
	v_mov_b32_e32 v12, v1
	s_mov_b32 s15, exec_lo
	s_delay_alu instid0(VALU_DEP_3)
	v_mov_b32_e32 v11, v0
	v_cmpx_gt_u32_e32 8, v134
; %bb.1927:                             ;   in Loop: Header=BB367_991 Depth=1
	v_clz_i32_u32_e32 v11, v0
	s_delay_alu instid0(VALU_DEP_1) | instskip(NEXT) | instid1(VALU_DEP_1)
	v_min_u32_e32 v132, 32, v11
	v_subrev_nc_u32_e32 v11, 28, v132
	v_sub_nc_u32_e32 v132, 29, v132
	s_delay_alu instid0(VALU_DEP_2) | instskip(NEXT) | instid1(VALU_DEP_1)
	v_lshlrev_b64 v[11:12], v11, v[0:1]
	v_and_b32_e32 v11, 7, v11
; %bb.1928:                             ;   in Loop: Header=BB367_991 Depth=1
	s_or_b32 exec_lo, exec_lo, s15
	v_lshlrev_b32_e32 v0, 8, v133
	v_lshl_add_u32 v12, v132, 10, 0x2000
	s_delay_alu instid0(VALU_DEP_1) | instskip(NEXT) | instid1(VALU_DEP_1)
	v_and_or_b32 v0, 0x8000, v0, v12
	v_lshl_or_b32 v0, v11, 7, v0
	s_delay_alu instid0(VALU_DEP_1)
	v_cvt_f32_f16_e64 v132, v0
.LBB367_1929:                           ;   in Loop: Header=BB367_991 Depth=1
	s_or_b32 exec_lo, exec_lo, s13
.LBB367_1930:                           ;   in Loop: Header=BB367_991 Depth=1
	s_delay_alu instid0(SALU_CYCLE_1)
	s_or_b32 exec_lo, exec_lo, s12
.LBB367_1931:                           ;   in Loop: Header=BB367_991 Depth=1
	s_delay_alu instid0(SALU_CYCLE_1) | instskip(SKIP_3) | instid1(VALU_DEP_2)
	s_or_b32 exec_lo, exec_lo, s10
	v_lshrrev_b32_e32 v135, 16, v9
	v_mov_b32_e32 v134, 0
	s_mov_b32 s10, exec_lo
	v_dual_mov_b32 v133, 0 :: v_dual_and_b32 v0, 0xff, v135
	s_delay_alu instid0(VALU_DEP_1)
	v_cmpx_ne_u16_e32 0, v0
	s_cbranch_execz .LBB367_1939
; %bb.1932:                             ;   in Loop: Header=BB367_991 Depth=1
	v_bfrev_b32_e32 v133, 1
	s_mov_b32 s12, exec_lo
	v_cmpx_ne_u16_e32 0x80, v0
	s_cbranch_execz .LBB367_1938
; %bb.1933:                             ;   in Loop: Header=BB367_991 Depth=1
	v_bfe_u32 v144, v9, 16, 7
	v_mov_b32_e32 v133, 0x7fc02000
	s_mov_b32 s13, exec_lo
	s_delay_alu instid0(VALU_DEP_2)
	v_cmpx_ne_u32_e32 0x7f, v144
	s_cbranch_execz .LBB367_1937
; %bb.1934:                             ;   in Loop: Header=BB367_991 Depth=1
	v_and_b32_e32 v0, 7, v135
	v_lshrrev_b32_e32 v133, 3, v144
	v_mov_b32_e32 v12, v1
	s_mov_b32 s15, exec_lo
	s_delay_alu instid0(VALU_DEP_3)
	v_mov_b32_e32 v11, v0
	v_cmpx_gt_u32_e32 8, v144
; %bb.1935:                             ;   in Loop: Header=BB367_991 Depth=1
	v_clz_i32_u32_e32 v11, v0
	s_delay_alu instid0(VALU_DEP_1) | instskip(NEXT) | instid1(VALU_DEP_1)
	v_min_u32_e32 v133, 32, v11
	v_subrev_nc_u32_e32 v11, 28, v133
	v_sub_nc_u32_e32 v133, 29, v133
	s_delay_alu instid0(VALU_DEP_2) | instskip(NEXT) | instid1(VALU_DEP_1)
	v_lshlrev_b64 v[11:12], v11, v[0:1]
	v_and_b32_e32 v11, 7, v11
; %bb.1936:                             ;   in Loop: Header=BB367_991 Depth=1
	s_or_b32 exec_lo, exec_lo, s15
	v_lshlrev_b32_e32 v0, 8, v135
	v_lshl_add_u32 v12, v133, 10, 0x2000
	s_delay_alu instid0(VALU_DEP_1) | instskip(NEXT) | instid1(VALU_DEP_1)
	v_and_or_b32 v0, 0x8000, v0, v12
	v_lshl_or_b32 v0, v11, 7, v0
	s_delay_alu instid0(VALU_DEP_1)
	v_cvt_f32_f16_e64 v133, v0
.LBB367_1937:                           ;   in Loop: Header=BB367_991 Depth=1
	s_or_b32 exec_lo, exec_lo, s13
.LBB367_1938:                           ;   in Loop: Header=BB367_991 Depth=1
	s_delay_alu instid0(SALU_CYCLE_1)
	s_or_b32 exec_lo, exec_lo, s12
.LBB367_1939:                           ;   in Loop: Header=BB367_991 Depth=1
	s_delay_alu instid0(SALU_CYCLE_1) | instskip(NEXT) | instid1(SALU_CYCLE_1)
	s_or_b32 exec_lo, exec_lo, s10
	s_mov_b32 s10, exec_lo
	v_cmpx_lt_u32_e32 0xffffff, v9
	s_cbranch_execz .LBB367_1947
; %bb.1940:                             ;   in Loop: Header=BB367_991 Depth=1
	v_lshrrev_b32_e32 v135, 24, v9
	v_bfrev_b32_e32 v134, 1
	s_mov_b32 s12, exec_lo
	s_delay_alu instid0(VALU_DEP_2)
	v_cmpx_ne_u32_e32 0x80, v135
	s_cbranch_execz .LBB367_1946
; %bb.1941:                             ;   in Loop: Header=BB367_991 Depth=1
	v_and_b32_e32 v144, 0x7f, v135
	v_mov_b32_e32 v134, 0x7fc02000
	s_mov_b32 s13, exec_lo
	s_delay_alu instid0(VALU_DEP_2)
	v_cmpx_ne_u32_e32 0x7f, v144
	s_cbranch_execz .LBB367_1945
; %bb.1942:                             ;   in Loop: Header=BB367_991 Depth=1
	v_and_b32_e32 v0, 7, v135
	v_lshrrev_b32_e32 v134, 3, v144
	v_mov_b32_e32 v12, v1
	s_mov_b32 s15, exec_lo
	s_delay_alu instid0(VALU_DEP_3)
	v_mov_b32_e32 v11, v0
	v_cmpx_gt_u32_e32 8, v144
; %bb.1943:                             ;   in Loop: Header=BB367_991 Depth=1
	v_clz_i32_u32_e32 v11, v0
	s_delay_alu instid0(VALU_DEP_1) | instskip(NEXT) | instid1(VALU_DEP_1)
	v_min_u32_e32 v134, 32, v11
	v_subrev_nc_u32_e32 v11, 28, v134
	v_sub_nc_u32_e32 v134, 29, v134
	s_delay_alu instid0(VALU_DEP_2) | instskip(NEXT) | instid1(VALU_DEP_1)
	v_lshlrev_b64 v[11:12], v11, v[0:1]
	v_and_b32_e32 v11, 7, v11
; %bb.1944:                             ;   in Loop: Header=BB367_991 Depth=1
	s_or_b32 exec_lo, exec_lo, s15
	v_lshlrev_b32_e32 v0, 8, v135
	v_lshl_add_u32 v12, v134, 10, 0x2000
	s_delay_alu instid0(VALU_DEP_1) | instskip(NEXT) | instid1(VALU_DEP_1)
	v_and_or_b32 v0, 0x8000, v0, v12
	v_lshl_or_b32 v0, v11, 7, v0
	s_delay_alu instid0(VALU_DEP_1)
	v_cvt_f32_f16_e64 v134, v0
.LBB367_1945:                           ;   in Loop: Header=BB367_991 Depth=1
	s_or_b32 exec_lo, exec_lo, s13
.LBB367_1946:                           ;   in Loop: Header=BB367_991 Depth=1
	s_delay_alu instid0(SALU_CYCLE_1)
	s_or_b32 exec_lo, exec_lo, s12
.LBB367_1947:                           ;   in Loop: Header=BB367_991 Depth=1
	s_delay_alu instid0(SALU_CYCLE_1) | instskip(SKIP_3) | instid1(VALU_DEP_2)
	s_or_b32 exec_lo, exec_lo, s10
	v_dual_mov_b32 v0, v10 :: v_dual_and_b32 v11, 0xff, v10
	v_dual_mov_b32 v144, 0 :: v_dual_mov_b32 v135, 0
	s_mov_b32 s10, exec_lo
	v_cmpx_ne_u16_e32 0, v11
	s_cbranch_execz .LBB367_1955
; %bb.1948:                             ;   in Loop: Header=BB367_991 Depth=1
	v_bfrev_b32_e32 v135, 1
	s_mov_b32 s12, exec_lo
	v_cmpx_ne_u16_e32 0x80, v11
	s_cbranch_execz .LBB367_1954
; %bb.1949:                             ;   in Loop: Header=BB367_991 Depth=1
	v_and_b32_e32 v145, 0x7f, v10
	v_mov_b32_e32 v135, 0x7fc02000
	s_mov_b32 s13, exec_lo
	s_delay_alu instid0(VALU_DEP_2)
	v_cmpx_ne_u32_e32 0x7f, v145
	s_cbranch_execz .LBB367_1953
; %bb.1950:                             ;   in Loop: Header=BB367_991 Depth=1
	v_dual_mov_b32 v12, v1 :: v_dual_mov_b32 v11, v0
	v_lshrrev_b32_e32 v12, 3, v145
	s_mov_b32 s15, exec_lo
	v_cmpx_gt_u32_e32 8, v145
; %bb.1951:                             ;   in Loop: Header=BB367_991 Depth=1
	v_and_b32_e32 v11, 7, v10
	s_delay_alu instid0(VALU_DEP_1) | instskip(NEXT) | instid1(VALU_DEP_1)
	v_clz_i32_u32_e32 v11, v11
	v_min_u32_e32 v135, 32, v11
	s_delay_alu instid0(VALU_DEP_1) | instskip(NEXT) | instid1(VALU_DEP_1)
	v_subrev_nc_u32_e32 v11, 28, v135
	v_lshlrev_b64 v[11:12], v11, v[0:1]
	v_sub_nc_u32_e32 v12, 29, v135
; %bb.1952:                             ;   in Loop: Header=BB367_991 Depth=1
	s_or_b32 exec_lo, exec_lo, s15
	v_lshlrev_b32_e32 v135, 8, v10
	s_delay_alu instid0(VALU_DEP_2) | instskip(NEXT) | instid1(VALU_DEP_4)
	v_lshl_add_u32 v12, v12, 10, 0x2000
	v_lshlrev_b32_e32 v11, 7, v11
	s_delay_alu instid0(VALU_DEP_2) | instskip(NEXT) | instid1(VALU_DEP_1)
	v_and_or_b32 v12, 0x8000, v135, v12
	v_and_or_b32 v11, 0x380, v11, v12
	s_delay_alu instid0(VALU_DEP_1)
	v_cvt_f32_f16_e64 v135, v11
.LBB367_1953:                           ;   in Loop: Header=BB367_991 Depth=1
	s_or_b32 exec_lo, exec_lo, s13
.LBB367_1954:                           ;   in Loop: Header=BB367_991 Depth=1
	s_delay_alu instid0(SALU_CYCLE_1)
	s_or_b32 exec_lo, exec_lo, s12
.LBB367_1955:                           ;   in Loop: Header=BB367_991 Depth=1
	s_delay_alu instid0(SALU_CYCLE_1) | instskip(SKIP_2) | instid1(VALU_DEP_1)
	s_or_b32 exec_lo, exec_lo, s10
	v_lshrrev_b16 v0, 8, v0
	s_mov_b32 s10, exec_lo
	v_cmpx_ne_u16_e32 0, v0
	s_cbranch_execz .LBB367_1963
; %bb.1956:                             ;   in Loop: Header=BB367_991 Depth=1
	v_bfrev_b32_e32 v144, 1
	s_mov_b32 s12, exec_lo
	v_cmpx_ne_u16_e32 0x80, v0
	s_cbranch_execz .LBB367_1962
; %bb.1957:                             ;   in Loop: Header=BB367_991 Depth=1
	v_and_b32_e32 v145, 0xffff, v0
	v_mov_b32_e32 v144, 0x7fc02000
	s_mov_b32 s13, exec_lo
	s_delay_alu instid0(VALU_DEP_2) | instskip(NEXT) | instid1(VALU_DEP_1)
	v_and_b32_e32 v146, 0x7f, v145
	v_cmpx_ne_u32_e32 0x7f, v146
	s_cbranch_execz .LBB367_1961
; %bb.1958:                             ;   in Loop: Header=BB367_991 Depth=1
	v_and_b32_e32 v0, 7, v145
	v_lshrrev_b32_e32 v144, 3, v146
	v_mov_b32_e32 v12, v1
	s_mov_b32 s15, exec_lo
	s_delay_alu instid0(VALU_DEP_3)
	v_mov_b32_e32 v11, v0
	v_cmpx_gt_u32_e32 8, v146
; %bb.1959:                             ;   in Loop: Header=BB367_991 Depth=1
	v_clz_i32_u32_e32 v11, v0
	s_delay_alu instid0(VALU_DEP_1) | instskip(NEXT) | instid1(VALU_DEP_1)
	v_min_u32_e32 v144, 32, v11
	v_subrev_nc_u32_e32 v11, 28, v144
	v_sub_nc_u32_e32 v144, 29, v144
	s_delay_alu instid0(VALU_DEP_2) | instskip(NEXT) | instid1(VALU_DEP_1)
	v_lshlrev_b64 v[11:12], v11, v[0:1]
	v_and_b32_e32 v11, 7, v11
; %bb.1960:                             ;   in Loop: Header=BB367_991 Depth=1
	s_or_b32 exec_lo, exec_lo, s15
	v_lshlrev_b32_e32 v0, 8, v145
	v_lshl_add_u32 v12, v144, 10, 0x2000
	s_delay_alu instid0(VALU_DEP_1) | instskip(NEXT) | instid1(VALU_DEP_1)
	v_and_or_b32 v0, 0x8000, v0, v12
	v_lshl_or_b32 v0, v11, 7, v0
	s_delay_alu instid0(VALU_DEP_1)
	v_cvt_f32_f16_e64 v144, v0
.LBB367_1961:                           ;   in Loop: Header=BB367_991 Depth=1
	s_or_b32 exec_lo, exec_lo, s13
.LBB367_1962:                           ;   in Loop: Header=BB367_991 Depth=1
	s_delay_alu instid0(SALU_CYCLE_1)
	s_or_b32 exec_lo, exec_lo, s12
.LBB367_1963:                           ;   in Loop: Header=BB367_991 Depth=1
	s_delay_alu instid0(SALU_CYCLE_1) | instskip(SKIP_3) | instid1(VALU_DEP_2)
	s_or_b32 exec_lo, exec_lo, s10
	v_lshrrev_b32_e32 v146, 16, v10
	v_mov_b32_e32 v11, 0
	s_mov_b32 s10, exec_lo
	v_dual_mov_b32 v145, 0 :: v_dual_and_b32 v0, 0xff, v146
	s_delay_alu instid0(VALU_DEP_1)
	v_cmpx_ne_u16_e32 0, v0
	s_cbranch_execz .LBB367_1971
; %bb.1964:                             ;   in Loop: Header=BB367_991 Depth=1
	v_bfrev_b32_e32 v11, 1
	s_mov_b32 s12, exec_lo
	v_cmpx_ne_u16_e32 0x80, v0
	s_cbranch_execz .LBB367_1970
; %bb.1965:                             ;   in Loop: Header=BB367_991 Depth=1
	v_bfe_u32 v148, v10, 16, 7
	v_mov_b32_e32 v11, 0x7fc02000
	s_mov_b32 s13, exec_lo
	s_delay_alu instid0(VALU_DEP_2)
	v_cmpx_ne_u32_e32 0x7f, v148
	s_cbranch_execz .LBB367_1969
; %bb.1966:                             ;   in Loop: Header=BB367_991 Depth=1
	v_and_b32_e32 v0, 7, v146
	v_lshrrev_b32_e32 v147, 3, v148
	v_mov_b32_e32 v12, v1
	s_mov_b32 s15, exec_lo
	s_delay_alu instid0(VALU_DEP_3)
	v_mov_b32_e32 v11, v0
	v_cmpx_gt_u32_e32 8, v148
; %bb.1967:                             ;   in Loop: Header=BB367_991 Depth=1
	v_clz_i32_u32_e32 v11, v0
	s_delay_alu instid0(VALU_DEP_1) | instskip(NEXT) | instid1(VALU_DEP_1)
	v_min_u32_e32 v147, 32, v11
	v_subrev_nc_u32_e32 v11, 28, v147
	v_sub_nc_u32_e32 v147, 29, v147
	s_delay_alu instid0(VALU_DEP_2) | instskip(NEXT) | instid1(VALU_DEP_1)
	v_lshlrev_b64 v[11:12], v11, v[0:1]
	v_and_b32_e32 v11, 7, v11
; %bb.1968:                             ;   in Loop: Header=BB367_991 Depth=1
	s_or_b32 exec_lo, exec_lo, s15
	v_lshlrev_b32_e32 v0, 8, v146
	v_lshl_add_u32 v12, v147, 10, 0x2000
	s_delay_alu instid0(VALU_DEP_1) | instskip(NEXT) | instid1(VALU_DEP_1)
	v_and_or_b32 v0, 0x8000, v0, v12
	v_lshl_or_b32 v0, v11, 7, v0
	s_delay_alu instid0(VALU_DEP_1)
	v_cvt_f32_f16_e32 v11, v0
.LBB367_1969:                           ;   in Loop: Header=BB367_991 Depth=1
	s_or_b32 exec_lo, exec_lo, s13
.LBB367_1970:                           ;   in Loop: Header=BB367_991 Depth=1
	s_delay_alu instid0(SALU_CYCLE_1)
	s_or_b32 exec_lo, exec_lo, s12
.LBB367_1971:                           ;   in Loop: Header=BB367_991 Depth=1
	s_delay_alu instid0(SALU_CYCLE_1) | instskip(NEXT) | instid1(SALU_CYCLE_1)
	s_or_b32 exec_lo, exec_lo, s10
	s_mov_b32 s10, exec_lo
	v_cmpx_lt_u64_e64 s[8:9], v[9:10]
	s_cbranch_execz .LBB367_1979
; %bb.1972:                             ;   in Loop: Header=BB367_991 Depth=1
	v_lshrrev_b32_e32 v12, 24, v10
	v_bfrev_b32_e32 v145, 1
	s_mov_b32 s12, exec_lo
	s_delay_alu instid0(VALU_DEP_2)
	v_cmpx_ne_u32_e32 0x80, v12
	s_cbranch_execz .LBB367_1978
; %bb.1973:                             ;   in Loop: Header=BB367_991 Depth=1
	v_and_b32_e32 v146, 0x7f, v12
	v_mov_b32_e32 v145, 0x7fc02000
	s_mov_b32 s13, exec_lo
	s_delay_alu instid0(VALU_DEP_2)
	v_cmpx_ne_u32_e32 0x7f, v146
	s_cbranch_execz .LBB367_1977
; %bb.1974:                             ;   in Loop: Header=BB367_991 Depth=1
	v_and_b32_e32 v0, 7, v12
	v_lshrrev_b32_e32 v145, 3, v146
	v_mov_b32_e32 v10, v1
	s_mov_b32 s15, exec_lo
	s_delay_alu instid0(VALU_DEP_3)
	v_mov_b32_e32 v9, v0
	v_cmpx_gt_u32_e32 8, v146
; %bb.1975:                             ;   in Loop: Header=BB367_991 Depth=1
	v_clz_i32_u32_e32 v9, v0
	s_delay_alu instid0(VALU_DEP_1) | instskip(NEXT) | instid1(VALU_DEP_1)
	v_min_u32_e32 v145, 32, v9
	v_subrev_nc_u32_e32 v9, 28, v145
	v_sub_nc_u32_e32 v145, 29, v145
	s_delay_alu instid0(VALU_DEP_2) | instskip(NEXT) | instid1(VALU_DEP_1)
	v_lshlrev_b64 v[9:10], v9, v[0:1]
	v_and_b32_e32 v9, 7, v9
; %bb.1976:                             ;   in Loop: Header=BB367_991 Depth=1
	s_or_b32 exec_lo, exec_lo, s15
	v_lshlrev_b32_e32 v0, 8, v12
	v_lshl_add_u32 v10, v145, 10, 0x2000
	s_delay_alu instid0(VALU_DEP_1) | instskip(NEXT) | instid1(VALU_DEP_1)
	v_and_or_b32 v0, 0x8000, v0, v10
	v_lshl_or_b32 v0, v9, 7, v0
	s_delay_alu instid0(VALU_DEP_1)
	v_cvt_f32_f16_e64 v145, v0
.LBB367_1977:                           ;   in Loop: Header=BB367_991 Depth=1
	s_or_b32 exec_lo, exec_lo, s13
.LBB367_1978:                           ;   in Loop: Header=BB367_991 Depth=1
	s_delay_alu instid0(SALU_CYCLE_1)
	s_or_b32 exec_lo, exec_lo, s12
.LBB367_1979:                           ;   in Loop: Header=BB367_991 Depth=1
	s_delay_alu instid0(SALU_CYCLE_1)
	s_or_b32 exec_lo, exec_lo, s10
	s_waitcnt vmcnt(0) lgkmcnt(0)
	v_fma_mixlo_f16 v10, v130, v132, 0
	v_fma_mixlo_f16 v0, v130, v134, 0
	v_fma_mixlo_f16 v9, v130, v133, 0
	v_fma_mixlo_f16 v133, v130, v135, 0
	v_fma_mixlo_f16 v134, v130, v145, 0
	v_lshlrev_b32_e32 v132, 16, v10
	v_fma_mixlo_f16 v10, v130, v131, 0
	v_fma_mixlo_f16 v131, v130, v144, 0
	;; [unrolled: 1-line block ×3, first 2 shown]
	v_lshlrev_b32_e32 v0, 16, v0
	v_and_b32_e32 v9, 0xffff, v9
	v_and_b32_e32 v11, 0xffff, v10
	v_lshlrev_b32_e32 v130, 16, v131
	v_and_b32_e32 v131, 0xffff, v133
	v_lshlrev_b32_e32 v133, 16, v134
	v_and_b32_e32 v134, 0xffff, v12
	v_or_b32_e32 v10, v0, v9
	v_or_b32_e32 v11, v132, v11
	;; [unrolled: 1-line block ×3, first 2 shown]
	s_delay_alu instid0(VALU_DEP_4)
	v_or_b32_e32 v9, v133, v134
	s_and_saveexec_b32 s0, vcc_lo
	s_cbranch_execz .LBB367_990
; %bb.1980:                             ;   in Loop: Header=BB367_991 Depth=1
	v_cmp_lt_i32_e32 vcc_lo, v15, v36
	v_lshrrev_b32_e32 v130, 16, v11
	v_lshrrev_b32_e32 v131, 16, v10
	;; [unrolled: 1-line block ×3, first 2 shown]
	v_cndmask_b32_e32 v11, 0, v11, vcc_lo
	v_cmp_lt_i32_e32 vcc_lo, v81, v48
	v_cndmask_b32_e32 v81, 0, v130, vcc_lo
	v_cmp_lt_i32_e32 vcc_lo, v80, v48
	v_lshrrev_b32_e32 v130, 16, v0
	v_cndmask_b32_e32 v80, 0, v131, vcc_lo
	v_cmp_lt_i32_e32 vcc_lo, v65, v36
	v_cndmask_b32_e32 v10, 0, v10, vcc_lo
	v_cmp_lt_i32_e32 vcc_lo, v64, v48
	v_perm_b32 v11, v81, v11, 0x5040100
	s_delay_alu instid0(VALU_DEP_3)
	v_perm_b32 v10, v80, v10, 0x5040100
	v_cndmask_b32_e32 v64, 0, v130, vcc_lo
	v_cmp_lt_i32_e32 vcc_lo, v55, v36
	v_cndmask_b32_e32 v0, 0, v0, vcc_lo
	v_cmp_lt_i32_e32 vcc_lo, v38, v48
	;; [unrolled: 2-line block ×3, first 2 shown]
	s_delay_alu instid0(VALU_DEP_4) | instskip(SKIP_1) | instid1(VALU_DEP_1)
	v_perm_b32 v0, v64, v0, 0x5040100
	v_cndmask_b32_e32 v12, 0, v12, vcc_lo
	v_perm_b32 v9, v9, v12, 0x5040100
	s_branch .LBB367_990
.LBB367_1981:
	s_or_b32 exec_lo, exec_lo, s5
	v_dual_mov_b32 v0, s6 :: v_dual_mov_b32 v1, s7
.LBB367_1982:
	s_or_b32 exec_lo, exec_lo, s3
	s_delay_alu instid0(VALU_DEP_1)
	v_lshlrev_b64 v[0:1], 2, v[0:1]
	s_getpc_b64 s[6:7]
	s_add_u32 s6, s6, llvm.amdgcn.dynlds.offset.table@rel32@lo+4
	s_addc_u32 s7, s7, llvm.amdgcn.dynlds.offset.table@rel32@hi+12
	s_waitcnt lgkmcnt(0)
	s_waitcnt_vscnt null, 0x0
	s_barrier
	buffer_gl0_inv
	ds_bpermute_b32 v2, v19, v53
	v_add_co_u32 v0, vcc_lo, v0, s6
	v_add_co_ci_u32_e32 v1, vcc_lo, s7, v1, vcc_lo
	ds_bpermute_b32 v3, v19, v52
	ds_bpermute_b32 v10, v19, v31
	;; [unrolled: 1-line block ×3, first 2 shown]
	global_load_b32 v22, v[0:1], off
	ds_bpermute_b32 v0, v19, v51
	ds_bpermute_b32 v1, v19, v54
	;; [unrolled: 1-line block ×11, first 2 shown]
	s_waitcnt lgkmcnt(14)
	v_add_f32_e32 v2, v53, v2
	v_lshrrev_b32_e32 v17, 2, v37
	s_waitcnt lgkmcnt(13)
	v_add_f32_e32 v3, v52, v3
	s_waitcnt lgkmcnt(11)
	v_dual_add_f32 v19, v31, v10 :: v_dual_add_f32 v26, v29, v12
	ds_bpermute_b32 v12, v18, v2
	s_waitcnt lgkmcnt(10)
	v_dual_add_f32 v0, v51, v0 :: v_dual_add_f32 v1, v54, v1
	s_waitcnt lgkmcnt(8)
	v_dual_add_f32 v6, v50, v6 :: v_dual_add_f32 v7, v49, v7
	;; [unrolled: 2-line block ×3, first 2 shown]
	ds_bpermute_b32 v10, v18, v0
	s_waitcnt lgkmcnt(6)
	v_add_f32_e32 v23, v30, v11
	s_waitcnt lgkmcnt(5)
	v_add_f32_e32 v27, v28, v13
	s_waitcnt lgkmcnt(3)
	v_dual_add_f32 v25, v25, v14 :: v_dual_add_f32 v24, v24, v15
	s_waitcnt lgkmcnt(2)
	v_dual_add_f32 v21, v21, v16 :: v_dual_and_b32 v14, 0x3c3, v34
	ds_bpermute_b32 v11, v18, v1
	ds_bpermute_b32 v13, v18, v3
	;; [unrolled: 1-line block ×11, first 2 shown]
	v_cmp_eq_u32_e32 vcc_lo, 64, v14
	s_waitcnt lgkmcnt(12)
	v_add_f32_e32 v14, v2, v12
	s_waitcnt lgkmcnt(11)
	v_add_f32_e32 v16, v0, v10
	ds_bpermute_b32 v38, v18, v27
	ds_bpermute_b32 v18, v18, v21
	s_waitcnt lgkmcnt(12)
	v_add_f32_e32 v15, v1, v11
	s_waitcnt lgkmcnt(10)
	v_dual_add_f32 v13, v3, v13 :: v_dual_add_f32 v12, v6, v28
	s_waitcnt lgkmcnt(8)
	v_dual_add_f32 v11, v7, v29 :: v_dual_add_f32 v10, v8, v30
	;; [unrolled: 2-line block ×5, first 2 shown]
	v_lshlrev_b32_e32 v19, 2, v17
	s_waitcnt lgkmcnt(1)
	v_add_f32_e32 v3, v27, v38
	s_waitcnt lgkmcnt(0)
	v_add_f32_e32 v0, v21, v18
	s_waitcnt vmcnt(0)
	v_mad_u32_u24 v18, 0x1e0, v35, v22
	s_and_saveexec_b32 s0, vcc_lo
	s_cbranch_execz .LBB367_1984
; %bb.1983:
	s_delay_alu instid0(VALU_DEP_1)
	v_add3_u32 v21, v18, v19, 0xfffffc40
	ds_store_2addr_b32 v21, v16, v15 offset1:8
	ds_store_2addr_b32 v21, v14, v13 offset0:16 offset1:24
	ds_store_2addr_b32 v21, v12, v11 offset0:32 offset1:40
	;; [unrolled: 1-line block ×6, first 2 shown]
	ds_store_b32 v21, v0 offset:448
.LBB367_1984:
	s_or_b32 exec_lo, exec_lo, s0
	v_cmp_eq_u32_e32 vcc_lo, 0, v20
	s_mov_b32 s3, exec_lo
	s_waitcnt lgkmcnt(0)
	s_barrier
	buffer_gl0_inv
	v_cmpx_gt_u32_e32 64, v34
	s_cbranch_execz .LBB367_2002
; %bb.1985:
	s_and_saveexec_b32 s0, vcc_lo
	s_cbranch_execnz .LBB367_2025
; %bb.1986:
	s_or_b32 exec_lo, exec_lo, s0
	s_and_saveexec_b32 s0, vcc_lo
	s_cbranch_execnz .LBB367_2026
.LBB367_1987:
	s_or_b32 exec_lo, exec_lo, s0
	s_and_saveexec_b32 s0, vcc_lo
	s_cbranch_execnz .LBB367_2027
.LBB367_1988:
	s_or_b32 exec_lo, exec_lo, s0
	s_and_saveexec_b32 s0, vcc_lo
	s_cbranch_execnz .LBB367_2028
.LBB367_1989:
	s_or_b32 exec_lo, exec_lo, s0
	s_and_saveexec_b32 s0, vcc_lo
	s_cbranch_execnz .LBB367_2029
.LBB367_1990:
	s_or_b32 exec_lo, exec_lo, s0
	s_and_saveexec_b32 s0, vcc_lo
	s_cbranch_execnz .LBB367_2030
.LBB367_1991:
	s_or_b32 exec_lo, exec_lo, s0
	s_and_saveexec_b32 s0, vcc_lo
	s_cbranch_execnz .LBB367_2031
.LBB367_1992:
	s_or_b32 exec_lo, exec_lo, s0
	s_and_saveexec_b32 s0, vcc_lo
	s_cbranch_execnz .LBB367_2032
.LBB367_1993:
	s_or_b32 exec_lo, exec_lo, s0
	s_and_saveexec_b32 s0, vcc_lo
	s_cbranch_execnz .LBB367_2033
.LBB367_1994:
	s_or_b32 exec_lo, exec_lo, s0
	s_and_saveexec_b32 s0, vcc_lo
	s_cbranch_execnz .LBB367_2034
.LBB367_1995:
	s_or_b32 exec_lo, exec_lo, s0
	s_and_saveexec_b32 s0, vcc_lo
	s_cbranch_execnz .LBB367_2035
.LBB367_1996:
	s_or_b32 exec_lo, exec_lo, s0
	s_and_saveexec_b32 s0, vcc_lo
	s_cbranch_execnz .LBB367_2036
.LBB367_1997:
	s_or_b32 exec_lo, exec_lo, s0
	s_and_saveexec_b32 s0, vcc_lo
	s_cbranch_execnz .LBB367_2037
.LBB367_1998:
	s_or_b32 exec_lo, exec_lo, s0
	s_and_saveexec_b32 s0, vcc_lo
	s_cbranch_execnz .LBB367_2038
.LBB367_1999:
	s_or_b32 exec_lo, exec_lo, s0
	s_and_saveexec_b32 s0, vcc_lo
	s_cbranch_execz .LBB367_2001
.LBB367_2000:
	v_lshl_add_u32 v20, v17, 2, v18
	ds_load_b32 v20, v20 offset:448
	s_waitcnt lgkmcnt(0)
	v_add_f32_e32 v0, v20, v0
.LBB367_2001:
	s_or_b32 exec_lo, exec_lo, s0
.LBB367_2002:
	s_delay_alu instid0(SALU_CYCLE_1)
	s_or_b32 exec_lo, exec_lo, s3
	v_and_b32_e32 v20, 0x3e3, v34
	s_mov_b32 s3, exec_lo
	s_barrier
	buffer_gl0_inv
	v_cmpx_eq_u32_e32 32, v20
	s_cbranch_execz .LBB367_2004
; %bb.2003:
	v_add3_u32 v19, v18, v19, 0xfffffe20
	ds_store_2addr_b32 v19, v16, v15 offset1:8
	ds_store_2addr_b32 v19, v14, v13 offset0:16 offset1:24
	ds_store_2addr_b32 v19, v12, v11 offset0:32 offset1:40
	;; [unrolled: 1-line block ×6, first 2 shown]
	ds_store_b32 v19, v0 offset:448
.LBB367_2004:
	s_or_b32 exec_lo, exec_lo, s3
	s_delay_alu instid0(SALU_CYCLE_1)
	s_mov_b32 s3, exec_lo
	s_waitcnt lgkmcnt(0)
	s_barrier
	buffer_gl0_inv
	v_cmpx_gt_u32_e32 32, v34
	s_cbranch_execz .LBB367_2022
; %bb.2005:
	v_lshl_add_u32 v17, v17, 2, v18
	s_and_saveexec_b32 s0, vcc_lo
	s_cbranch_execnz .LBB367_2039
; %bb.2006:
	s_or_b32 exec_lo, exec_lo, s0
	s_and_saveexec_b32 s0, vcc_lo
	s_cbranch_execnz .LBB367_2040
.LBB367_2007:
	s_or_b32 exec_lo, exec_lo, s0
	s_and_saveexec_b32 s0, vcc_lo
	s_cbranch_execnz .LBB367_2041
.LBB367_2008:
	s_or_b32 exec_lo, exec_lo, s0
	s_and_saveexec_b32 s0, vcc_lo
	s_cbranch_execnz .LBB367_2042
.LBB367_2009:
	s_or_b32 exec_lo, exec_lo, s0
	s_and_saveexec_b32 s0, vcc_lo
	s_cbranch_execnz .LBB367_2043
.LBB367_2010:
	s_or_b32 exec_lo, exec_lo, s0
	s_and_saveexec_b32 s0, vcc_lo
	s_cbranch_execnz .LBB367_2044
.LBB367_2011:
	s_or_b32 exec_lo, exec_lo, s0
	s_and_saveexec_b32 s0, vcc_lo
	s_cbranch_execnz .LBB367_2045
.LBB367_2012:
	s_or_b32 exec_lo, exec_lo, s0
	s_and_saveexec_b32 s0, vcc_lo
	s_cbranch_execnz .LBB367_2046
.LBB367_2013:
	s_or_b32 exec_lo, exec_lo, s0
	s_and_saveexec_b32 s0, vcc_lo
	s_cbranch_execnz .LBB367_2047
.LBB367_2014:
	s_or_b32 exec_lo, exec_lo, s0
	s_and_saveexec_b32 s0, vcc_lo
	s_cbranch_execnz .LBB367_2048
.LBB367_2015:
	s_or_b32 exec_lo, exec_lo, s0
	s_and_saveexec_b32 s0, vcc_lo
	s_cbranch_execnz .LBB367_2049
.LBB367_2016:
	s_or_b32 exec_lo, exec_lo, s0
	s_and_saveexec_b32 s0, vcc_lo
	s_cbranch_execnz .LBB367_2050
.LBB367_2017:
	s_or_b32 exec_lo, exec_lo, s0
	s_and_saveexec_b32 s0, vcc_lo
	s_cbranch_execnz .LBB367_2051
.LBB367_2018:
	s_or_b32 exec_lo, exec_lo, s0
	s_and_saveexec_b32 s0, vcc_lo
	s_cbranch_execnz .LBB367_2052
.LBB367_2019:
	s_or_b32 exec_lo, exec_lo, s0
	s_and_saveexec_b32 s0, vcc_lo
	s_cbranch_execz .LBB367_2021
.LBB367_2020:
	ds_load_b32 v17, v17 offset:448
	s_waitcnt lgkmcnt(0)
	v_add_f32_e32 v0, v17, v0
.LBB367_2021:
	s_or_b32 exec_lo, exec_lo, s0
.LBB367_2022:
	s_delay_alu instid0(SALU_CYCLE_1)
	s_or_b32 exec_lo, exec_lo, s3
	v_cmp_eq_u32_e32 vcc_lo, 0, v20
	s_barrier
	buffer_gl0_inv
	s_and_b32 exec_lo, exec_lo, vcc_lo
	s_cbranch_execz .LBB367_2024
; %bb.2023:
	s_mul_i32 s0, s2, 0x78
	s_mul_i32 s2, s4, s1
	;; [unrolled: 1-line block ×3, first 2 shown]
	s_ashr_i32 s3, s2, 31
	s_ashr_i32 s5, s4, 31
	s_ashr_i32 s1, s0, 31
	s_lshl_b64 s[2:3], s[2:3], 1
	s_lshl_b64 s[4:5], s[4:5], 1
	;; [unrolled: 1-line block ×3, first 2 shown]
	s_add_u32 s2, s4, s2
	s_addc_u32 s3, s5, s3
	s_add_u32 s0, s2, s0
	s_addc_u32 s1, s3, s1
	v_lshrrev_b32_e32 v17, 1, v34
	v_add_co_u32 v4, vcc_lo, s0, v4
	v_add_co_ci_u32_e32 v5, vcc_lo, s1, v5, vcc_lo
	;;#ASMSTART
	v_cvt_f16_f32 v16, v16;

	;;#ASMEND
	s_delay_alu instid0(VALU_DEP_2) | instskip(NEXT) | instid1(VALU_DEP_2)
	v_add_co_u32 v4, vcc_lo, v4, v17
	v_add_co_ci_u32_e32 v5, vcc_lo, 0, v5, vcc_lo
	flat_store_b16 v[4:5], v16
	;;#ASMSTART
	v_cvt_f16_f32 v15, v15;

	;;#ASMEND
	flat_store_b16 v[4:5], v15 offset:16
	;;#ASMSTART
	v_cvt_f16_f32 v14, v14;

	;;#ASMEND
	flat_store_b16 v[4:5], v14 offset:32
	;; [unrolled: 5-line block ×14, first 2 shown]
.LBB367_2024:
	s_or_b32 exec_lo, exec_lo, s11
	s_clause 0x1f
	scratch_load_b32 v169, off, s32
	scratch_load_b32 v168, off, s32 offset:4
	scratch_load_b32 v159, off, s32 offset:8
	;; [unrolled: 1-line block ×31, first 2 shown]
	s_clause 0x1f
	scratch_load_b32 v105, off, s32 offset:128
	scratch_load_b32 v104, off, s32 offset:132
	;; [unrolled: 1-line block ×32, first 2 shown]
	s_clause 0x1
	scratch_load_b32 v41, off, s32 offset:256
	scratch_load_b32 v40, off, s32 offset:260
	s_waitcnt vmcnt(0) lgkmcnt(0)
	s_setpc_b64 s[30:31]
.LBB367_2025:
	v_lshl_add_u32 v20, v17, 2, v18
	ds_load_b32 v20, v20
	s_waitcnt lgkmcnt(0)
	v_add_f32_e32 v16, v20, v16
	s_or_b32 exec_lo, exec_lo, s0
	s_and_saveexec_b32 s0, vcc_lo
	s_cbranch_execz .LBB367_1987
.LBB367_2026:
	v_lshl_add_u32 v20, v17, 2, v18
	ds_load_b32 v20, v20 offset:32
	s_waitcnt lgkmcnt(0)
	v_add_f32_e32 v15, v20, v15
	s_or_b32 exec_lo, exec_lo, s0
	s_and_saveexec_b32 s0, vcc_lo
	s_cbranch_execz .LBB367_1988
.LBB367_2027:
	v_lshl_add_u32 v20, v17, 2, v18
	ds_load_b32 v20, v20 offset:64
	s_waitcnt lgkmcnt(0)
	v_add_f32_e32 v14, v20, v14
	s_or_b32 exec_lo, exec_lo, s0
	s_and_saveexec_b32 s0, vcc_lo
	s_cbranch_execz .LBB367_1989
.LBB367_2028:
	v_lshl_add_u32 v20, v17, 2, v18
	ds_load_b32 v20, v20 offset:96
	s_waitcnt lgkmcnt(0)
	v_add_f32_e32 v13, v20, v13
	s_or_b32 exec_lo, exec_lo, s0
	s_and_saveexec_b32 s0, vcc_lo
	s_cbranch_execz .LBB367_1990
.LBB367_2029:
	v_lshl_add_u32 v20, v17, 2, v18
	ds_load_b32 v20, v20 offset:128
	s_waitcnt lgkmcnt(0)
	v_add_f32_e32 v12, v20, v12
	s_or_b32 exec_lo, exec_lo, s0
	s_and_saveexec_b32 s0, vcc_lo
	s_cbranch_execz .LBB367_1991
.LBB367_2030:
	v_lshl_add_u32 v20, v17, 2, v18
	ds_load_b32 v20, v20 offset:160
	s_waitcnt lgkmcnt(0)
	v_add_f32_e32 v11, v20, v11
	s_or_b32 exec_lo, exec_lo, s0
	s_and_saveexec_b32 s0, vcc_lo
	s_cbranch_execz .LBB367_1992
.LBB367_2031:
	v_lshl_add_u32 v20, v17, 2, v18
	ds_load_b32 v20, v20 offset:192
	s_waitcnt lgkmcnt(0)
	v_add_f32_e32 v10, v20, v10
	s_or_b32 exec_lo, exec_lo, s0
	s_and_saveexec_b32 s0, vcc_lo
	s_cbranch_execz .LBB367_1993
.LBB367_2032:
	v_lshl_add_u32 v20, v17, 2, v18
	ds_load_b32 v20, v20 offset:224
	s_waitcnt lgkmcnt(0)
	v_add_f32_e32 v9, v20, v9
	s_or_b32 exec_lo, exec_lo, s0
	s_and_saveexec_b32 s0, vcc_lo
	s_cbranch_execz .LBB367_1994
.LBB367_2033:
	v_lshl_add_u32 v20, v17, 2, v18
	ds_load_b32 v20, v20 offset:256
	s_waitcnt lgkmcnt(0)
	v_add_f32_e32 v8, v20, v8
	s_or_b32 exec_lo, exec_lo, s0
	s_and_saveexec_b32 s0, vcc_lo
	s_cbranch_execz .LBB367_1995
.LBB367_2034:
	v_lshl_add_u32 v20, v17, 2, v18
	ds_load_b32 v20, v20 offset:288
	s_waitcnt lgkmcnt(0)
	v_add_f32_e32 v7, v20, v7
	s_or_b32 exec_lo, exec_lo, s0
	s_and_saveexec_b32 s0, vcc_lo
	s_cbranch_execz .LBB367_1996
.LBB367_2035:
	v_lshl_add_u32 v20, v17, 2, v18
	ds_load_b32 v20, v20 offset:320
	s_waitcnt lgkmcnt(0)
	v_add_f32_e32 v6, v20, v6
	s_or_b32 exec_lo, exec_lo, s0
	s_and_saveexec_b32 s0, vcc_lo
	s_cbranch_execz .LBB367_1997
.LBB367_2036:
	v_lshl_add_u32 v20, v17, 2, v18
	ds_load_b32 v20, v20 offset:352
	s_waitcnt lgkmcnt(0)
	v_add_f32_e32 v3, v20, v3
	s_or_b32 exec_lo, exec_lo, s0
	s_and_saveexec_b32 s0, vcc_lo
	s_cbranch_execz .LBB367_1998
.LBB367_2037:
	v_lshl_add_u32 v20, v17, 2, v18
	ds_load_b32 v20, v20 offset:384
	s_waitcnt lgkmcnt(0)
	v_add_f32_e32 v2, v20, v2
	s_or_b32 exec_lo, exec_lo, s0
	s_and_saveexec_b32 s0, vcc_lo
	s_cbranch_execz .LBB367_1999
.LBB367_2038:
	v_lshl_add_u32 v20, v17, 2, v18
	ds_load_b32 v20, v20 offset:416
	s_waitcnt lgkmcnt(0)
	v_add_f32_e32 v1, v20, v1
	s_or_b32 exec_lo, exec_lo, s0
	s_and_saveexec_b32 s0, vcc_lo
	s_cbranch_execnz .LBB367_2000
	s_branch .LBB367_2001
.LBB367_2039:
	ds_load_b32 v18, v17
	s_waitcnt lgkmcnt(0)
	v_add_f32_e32 v16, v18, v16
	s_or_b32 exec_lo, exec_lo, s0
	s_and_saveexec_b32 s0, vcc_lo
	s_cbranch_execz .LBB367_2007
.LBB367_2040:
	ds_load_b32 v18, v17 offset:32
	s_waitcnt lgkmcnt(0)
	v_add_f32_e32 v15, v18, v15
	s_or_b32 exec_lo, exec_lo, s0
	s_and_saveexec_b32 s0, vcc_lo
	s_cbranch_execz .LBB367_2008
.LBB367_2041:
	ds_load_b32 v18, v17 offset:64
	s_waitcnt lgkmcnt(0)
	v_add_f32_e32 v14, v18, v14
	s_or_b32 exec_lo, exec_lo, s0
	s_and_saveexec_b32 s0, vcc_lo
	s_cbranch_execz .LBB367_2009
.LBB367_2042:
	ds_load_b32 v18, v17 offset:96
	s_waitcnt lgkmcnt(0)
	v_add_f32_e32 v13, v18, v13
	s_or_b32 exec_lo, exec_lo, s0
	s_and_saveexec_b32 s0, vcc_lo
	s_cbranch_execz .LBB367_2010
.LBB367_2043:
	ds_load_b32 v18, v17 offset:128
	s_waitcnt lgkmcnt(0)
	v_add_f32_e32 v12, v18, v12
	s_or_b32 exec_lo, exec_lo, s0
	s_and_saveexec_b32 s0, vcc_lo
	s_cbranch_execz .LBB367_2011
.LBB367_2044:
	ds_load_b32 v18, v17 offset:160
	s_waitcnt lgkmcnt(0)
	v_add_f32_e32 v11, v18, v11
	s_or_b32 exec_lo, exec_lo, s0
	s_and_saveexec_b32 s0, vcc_lo
	s_cbranch_execz .LBB367_2012
.LBB367_2045:
	ds_load_b32 v18, v17 offset:192
	s_waitcnt lgkmcnt(0)
	v_add_f32_e32 v10, v18, v10
	s_or_b32 exec_lo, exec_lo, s0
	s_and_saveexec_b32 s0, vcc_lo
	s_cbranch_execz .LBB367_2013
.LBB367_2046:
	ds_load_b32 v18, v17 offset:224
	s_waitcnt lgkmcnt(0)
	v_add_f32_e32 v9, v18, v9
	s_or_b32 exec_lo, exec_lo, s0
	s_and_saveexec_b32 s0, vcc_lo
	s_cbranch_execz .LBB367_2014
.LBB367_2047:
	ds_load_b32 v18, v17 offset:256
	s_waitcnt lgkmcnt(0)
	v_add_f32_e32 v8, v18, v8
	s_or_b32 exec_lo, exec_lo, s0
	s_and_saveexec_b32 s0, vcc_lo
	s_cbranch_execz .LBB367_2015
.LBB367_2048:
	ds_load_b32 v18, v17 offset:288
	s_waitcnt lgkmcnt(0)
	v_add_f32_e32 v7, v18, v7
	s_or_b32 exec_lo, exec_lo, s0
	s_and_saveexec_b32 s0, vcc_lo
	s_cbranch_execz .LBB367_2016
.LBB367_2049:
	ds_load_b32 v18, v17 offset:320
	s_waitcnt lgkmcnt(0)
	v_add_f32_e32 v6, v18, v6
	s_or_b32 exec_lo, exec_lo, s0
	s_and_saveexec_b32 s0, vcc_lo
	s_cbranch_execz .LBB367_2017
.LBB367_2050:
	ds_load_b32 v18, v17 offset:352
	s_waitcnt lgkmcnt(0)
	v_add_f32_e32 v3, v18, v3
	s_or_b32 exec_lo, exec_lo, s0
	s_and_saveexec_b32 s0, vcc_lo
	s_cbranch_execz .LBB367_2018
.LBB367_2051:
	ds_load_b32 v18, v17 offset:384
	s_waitcnt lgkmcnt(0)
	v_add_f32_e32 v2, v18, v2
	s_or_b32 exec_lo, exec_lo, s0
	s_and_saveexec_b32 s0, vcc_lo
	s_cbranch_execz .LBB367_2019
.LBB367_2052:
	ds_load_b32 v18, v17 offset:416
	s_waitcnt lgkmcnt(0)
	v_add_f32_e32 v1, v18, v1
	s_or_b32 exec_lo, exec_lo, s0
	s_and_saveexec_b32 s0, vcc_lo
	s_cbranch_execnz .LBB367_2020
	s_branch .LBB367_2021
.Lfunc_end367:
	.size	_ZN4vllm22paged_attention_kernelIthLi120ELi32ELi128ELNS_18Fp8KVCacheDataTypeE1ELb0ELi512EEEvPfS2_PT_PKS3_PKT0_S9_ifPKiSB_iPKfiiiSD_SD_iiiii, .Lfunc_end367-_ZN4vllm22paged_attention_kernelIthLi120ELi32ELi128ELNS_18Fp8KVCacheDataTypeE1ELb0ELi512EEEvPfS2_PT_PKS3_PKT0_S9_ifPKiSB_iPKfiiiSD_SD_iiiii
                                        ; -- End function
	.section	.AMDGPU.csdata,"",@progbits
; Function info:
; codeLenInByte = 78776
; NumSgprs: 35
; NumVgprs: 184
; ScratchSize: 268
; MemoryBound: 0
	.section	.text._ZN4vllm25paged_attention_v2_kernelIthLi120ELi32ELi128ELNS_18Fp8KVCacheDataTypeE1ELb0ELi512EEEvPfS2_PT_PKS3_PKT0_S9_ifPKiSB_iPKfiiiSD_SD_iiiii,"axG",@progbits,_ZN4vllm25paged_attention_v2_kernelIthLi120ELi32ELi128ELNS_18Fp8KVCacheDataTypeE1ELb0ELi512EEEvPfS2_PT_PKS3_PKT0_S9_ifPKiSB_iPKfiiiSD_SD_iiiii,comdat
	.protected	_ZN4vllm25paged_attention_v2_kernelIthLi120ELi32ELi128ELNS_18Fp8KVCacheDataTypeE1ELb0ELi512EEEvPfS2_PT_PKS3_PKT0_S9_ifPKiSB_iPKfiiiSD_SD_iiiii ; -- Begin function _ZN4vllm25paged_attention_v2_kernelIthLi120ELi32ELi128ELNS_18Fp8KVCacheDataTypeE1ELb0ELi512EEEvPfS2_PT_PKS3_PKT0_S9_ifPKiSB_iPKfiiiSD_SD_iiiii
	.globl	_ZN4vllm25paged_attention_v2_kernelIthLi120ELi32ELi128ELNS_18Fp8KVCacheDataTypeE1ELb0ELi512EEEvPfS2_PT_PKS3_PKT0_S9_ifPKiSB_iPKfiiiSD_SD_iiiii
	.p2align	8
	.type	_ZN4vllm25paged_attention_v2_kernelIthLi120ELi32ELi128ELNS_18Fp8KVCacheDataTypeE1ELb0ELi512EEEvPfS2_PT_PKS3_PKT0_S9_ifPKiSB_iPKfiiiSD_SD_iiiii,@function
_ZN4vllm25paged_attention_v2_kernelIthLi120ELi32ELi128ELNS_18Fp8KVCacheDataTypeE1ELb0ELi512EEEvPfS2_PT_PKS3_PKT0_S9_ifPKiSB_iPKfiiiSD_SD_iiiii: ; @_ZN4vllm25paged_attention_v2_kernelIthLi120ELi32ELi128ELNS_18Fp8KVCacheDataTypeE1ELb0ELi512EEEvPfS2_PT_PKS3_PKT0_S9_ifPKiSB_iPKfiiiSD_SD_iiiii
; %bb.0:
	s_clause 0x5
	s_load_b256 s[24:31], s[0:1], 0x0
	s_load_b256 s[16:23], s[0:1], 0x20
	s_load_b64 s[2:3], s[0:1], 0x40
	s_load_b64 s[4:5], s[0:1], 0x50
	s_load_b32 s6, s[0:1], 0x48
	s_load_b256 s[36:43], s[0:1], 0x58
	v_mov_b32_e32 v31, v0
	s_add_u32 s8, s0, 0x90
	s_mov_b32 s12, s13
	s_addc_u32 s9, s1, 0
	s_mov_b32 s13, s14
	s_mov_b32 s14, s15
	s_movk_i32 s15, 0x59
	s_mov_b32 s32, 0
	s_getpc_b64 s[0:1]
	s_add_u32 s0, s0, _ZN4vllm22paged_attention_kernelIthLi120ELi32ELi128ELNS_18Fp8KVCacheDataTypeE1ELb0ELi512EEEvPfS2_PT_PKS3_PKT0_S9_ifPKiSB_iPKfiiiSD_SD_iiiii@rel32@lo+4
	s_addc_u32 s1, s1, _ZN4vllm22paged_attention_kernelIthLi120ELi32ELi128ELNS_18Fp8KVCacheDataTypeE1ELb0ELi512EEEvPfS2_PT_PKS3_PKT0_S9_ifPKiSB_iPKfiiiSD_SD_iiiii@rel32@hi+12
	s_waitcnt lgkmcnt(0)
	v_dual_mov_b32 v0, s24 :: v_dual_mov_b32 v1, s25
	v_dual_mov_b32 v2, s26 :: v_dual_mov_b32 v3, s27
	v_dual_mov_b32 v4, s28 :: v_dual_mov_b32 v5, s29
	v_dual_mov_b32 v6, s30 :: v_dual_mov_b32 v7, s31
	v_dual_mov_b32 v8, s16 :: v_dual_mov_b32 v9, s17
	v_dual_mov_b32 v10, s18 :: v_dual_mov_b32 v11, s19
	v_dual_mov_b32 v12, s20 :: v_dual_mov_b32 v13, s21
	v_dual_mov_b32 v14, s22 :: v_dual_mov_b32 v15, s23
	v_dual_mov_b32 v16, s2 :: v_dual_mov_b32 v17, s3
	v_dual_mov_b32 v18, s6 :: v_dual_mov_b32 v19, s4
	v_dual_mov_b32 v20, s5 :: v_dual_mov_b32 v21, s36
	v_dual_mov_b32 v22, s37 :: v_dual_mov_b32 v23, s38
	v_dual_mov_b32 v24, s40 :: v_dual_mov_b32 v25, s41
	v_dual_mov_b32 v26, s42 :: v_dual_mov_b32 v27, s43
	s_swappc_b64 s[30:31], s[0:1]
	s_endpgm
	.section	.rodata,"a",@progbits
	.p2align	6, 0x0
	.amdhsa_kernel _ZN4vllm25paged_attention_v2_kernelIthLi120ELi32ELi128ELNS_18Fp8KVCacheDataTypeE1ELb0ELi512EEEvPfS2_PT_PKS3_PKT0_S9_ifPKiSB_iPKfiiiSD_SD_iiiii
		.amdhsa_group_segment_fixed_size 272
		.amdhsa_private_segment_fixed_size 268
		.amdhsa_kernarg_size 400
		.amdhsa_user_sgpr_count 13
		.amdhsa_user_sgpr_dispatch_ptr 0
		.amdhsa_user_sgpr_queue_ptr 0
		.amdhsa_user_sgpr_kernarg_segment_ptr 1
		.amdhsa_user_sgpr_dispatch_id 0
		.amdhsa_user_sgpr_private_segment_size 0
		.amdhsa_wavefront_size32 1
		.amdhsa_uses_dynamic_stack 0
		.amdhsa_enable_private_segment 1
		.amdhsa_system_sgpr_workgroup_id_x 1
		.amdhsa_system_sgpr_workgroup_id_y 1
		.amdhsa_system_sgpr_workgroup_id_z 1
		.amdhsa_system_sgpr_workgroup_info 0
		.amdhsa_system_vgpr_workitem_id 0
		.amdhsa_next_free_vgpr 184
		.amdhsa_next_free_sgpr 44
		.amdhsa_reserve_vcc 1
		.amdhsa_float_round_mode_32 0
		.amdhsa_float_round_mode_16_64 0
		.amdhsa_float_denorm_mode_32 3
		.amdhsa_float_denorm_mode_16_64 3
		.amdhsa_dx10_clamp 1
		.amdhsa_ieee_mode 1
		.amdhsa_fp16_overflow 0
		.amdhsa_workgroup_processor_mode 1
		.amdhsa_memory_ordered 1
		.amdhsa_forward_progress 0
		.amdhsa_shared_vgpr_count 0
		.amdhsa_exception_fp_ieee_invalid_op 0
		.amdhsa_exception_fp_denorm_src 0
		.amdhsa_exception_fp_ieee_div_zero 0
		.amdhsa_exception_fp_ieee_overflow 0
		.amdhsa_exception_fp_ieee_underflow 0
		.amdhsa_exception_fp_ieee_inexact 0
		.amdhsa_exception_int_div_zero 0
	.end_amdhsa_kernel
	.section	.text._ZN4vllm25paged_attention_v2_kernelIthLi120ELi32ELi128ELNS_18Fp8KVCacheDataTypeE1ELb0ELi512EEEvPfS2_PT_PKS3_PKT0_S9_ifPKiSB_iPKfiiiSD_SD_iiiii,"axG",@progbits,_ZN4vllm25paged_attention_v2_kernelIthLi120ELi32ELi128ELNS_18Fp8KVCacheDataTypeE1ELb0ELi512EEEvPfS2_PT_PKS3_PKT0_S9_ifPKiSB_iPKfiiiSD_SD_iiiii,comdat
.Lfunc_end368:
	.size	_ZN4vllm25paged_attention_v2_kernelIthLi120ELi32ELi128ELNS_18Fp8KVCacheDataTypeE1ELb0ELi512EEEvPfS2_PT_PKS3_PKT0_S9_ifPKiSB_iPKfiiiSD_SD_iiiii, .Lfunc_end368-_ZN4vllm25paged_attention_v2_kernelIthLi120ELi32ELi128ELNS_18Fp8KVCacheDataTypeE1ELb0ELi512EEEvPfS2_PT_PKS3_PKT0_S9_ifPKiSB_iPKfiiiSD_SD_iiiii
                                        ; -- End function
	.section	.AMDGPU.csdata,"",@progbits
; Kernel info:
; codeLenInByte = 232
; NumSgprs: 46
; NumVgprs: 184
; ScratchSize: 268
; MemoryBound: 0
; FloatMode: 240
; IeeeMode: 1
; LDSByteSize: 272 bytes/workgroup (compile time only)
; SGPRBlocks: 5
; VGPRBlocks: 22
; NumSGPRsForWavesPerEU: 46
; NumVGPRsForWavesPerEU: 184
; Occupancy: 8
; WaveLimiterHint : 1
; COMPUTE_PGM_RSRC2:SCRATCH_EN: 1
; COMPUTE_PGM_RSRC2:USER_SGPR: 13
; COMPUTE_PGM_RSRC2:TRAP_HANDLER: 0
; COMPUTE_PGM_RSRC2:TGID_X_EN: 1
; COMPUTE_PGM_RSRC2:TGID_Y_EN: 1
; COMPUTE_PGM_RSRC2:TGID_Z_EN: 1
; COMPUTE_PGM_RSRC2:TIDIG_COMP_CNT: 0
	.text
	.p2align	2                               ; -- Begin function _ZN4vllm22paged_attention_kernelIthLi128ELi32ELi128ELNS_18Fp8KVCacheDataTypeE1ELb0ELi512EEEvPfS2_PT_PKS3_PKT0_S9_ifPKiSB_iPKfiiiSD_SD_iiiii
	.type	_ZN4vllm22paged_attention_kernelIthLi128ELi32ELi128ELNS_18Fp8KVCacheDataTypeE1ELb0ELi512EEEvPfS2_PT_PKS3_PKT0_S9_ifPKiSB_iPKfiiiSD_SD_iiiii,@function
_ZN4vllm22paged_attention_kernelIthLi128ELi32ELi128ELNS_18Fp8KVCacheDataTypeE1ELb0ELi512EEEvPfS2_PT_PKS3_PKT0_S9_ifPKiSB_iPKfiiiSD_SD_iiiii: ; @_ZN4vllm22paged_attention_kernelIthLi128ELi32ELi128ELNS_18Fp8KVCacheDataTypeE1ELb0ELi512EEEvPfS2_PT_PKS3_PKT0_S9_ifPKiSB_iPKfiiiSD_SD_iiiii
; %bb.0:
	s_waitcnt vmcnt(0) expcnt(0) lgkmcnt(0)
	s_clause 0x1f
	scratch_store_b32 off, v40, s32 offset:292
	; meta instruction
	scratch_store_b32 off, v41, s32 offset:288
	; meta instruction
	;; [unrolled: 2-line block ×31, first 2 shown]
	scratch_store_b32 off, v95, s32 offset:168
	s_clause 0x1f
	scratch_store_b32 off, v104, s32 offset:164
	; meta instruction
	scratch_store_b32 off, v105, s32 offset:160
	; meta instruction
	;; [unrolled: 2-line block ×31, first 2 shown]
	scratch_store_b32 off, v159, s32 offset:40
	s_clause 0x9
	scratch_store_b32 off, v168, s32 offset:36
	; meta instruction
	scratch_store_b32 off, v169, s32 offset:32
	; meta instruction
	;; [unrolled: 2-line block ×9, first 2 shown]
	scratch_store_b32 off, v185, s32
	s_mov_b32 s10, s13
	s_ashr_i32 s11, s13, 31
	s_lshl_b32 s16, s14, 9
	s_lshl_b64 s[0:1], s[10:11], 2
	s_mov_b32 s11, exec_lo
	v_add_co_u32 v16, vcc_lo, v16, s0
	v_add_co_ci_u32_e32 v17, vcc_lo, s1, v17, vcc_lo
	flat_load_b32 v36, v[16:17]
	s_waitcnt vmcnt(0) lgkmcnt(0)
	v_cmpx_lt_i32_e64 s16, v36
	s_cbranch_execz .LBB369_2156
; %bb.1:
	v_sub_nc_u32_e32 v16, 0, v12
	s_clause 0x1
	s_load_b32 s0, s[8:9], 0x10
	s_load_b32 s1, s[8:9], 0x0
	s_mov_b32 s6, s15
	v_mov_b32_e32 v50, 0
	v_max_i32_e32 v16, v12, v16
	s_delay_alu instid0(VALU_DEP_1) | instskip(SKIP_1) | instid1(VALU_DEP_2)
	v_cvt_f32_u32_e32 v17, v16
	v_sub_nc_u32_e32 v28, 0, v16
	v_rcp_iflag_f32_e32 v17, v17
	s_waitcnt lgkmcnt(0)
	s_lshr_b32 s0, s0, 16
	s_delay_alu instid0(SALU_CYCLE_1) | instskip(SKIP_3) | instid1(SALU_CYCLE_1)
	s_cmp_lg_u32 s0, 0
	s_waitcnt_depctr 0xfff
	v_mul_f32_e32 v17, 0x4f7ffffe, v17
	s_cselect_b32 s0, -1, 0
	s_cmp_lg_u32 s0, 0
	s_delay_alu instid0(VALU_DEP_1)
	v_cvt_u32_f32_e32 v17, v17
	s_addc_u32 s15, s1, 0
	s_mov_b32 s1, exec_lo
	s_abs_i32 s0, s15
	v_xor_b32_e32 v12, s15, v12
	v_mul_lo_u32 v28, v28, v17
	s_delay_alu instid0(VALU_DEP_2) | instskip(NEXT) | instid1(VALU_DEP_2)
	v_ashrrev_i32_e32 v12, 31, v12
	v_mul_hi_u32 v28, v17, v28
	s_delay_alu instid0(VALU_DEP_1) | instskip(NEXT) | instid1(VALU_DEP_1)
	v_add_nc_u32_e32 v17, v17, v28
	v_mul_hi_u32 v17, s0, v17
	s_delay_alu instid0(VALU_DEP_1) | instskip(SKIP_1) | instid1(VALU_DEP_2)
	v_mul_lo_u32 v28, v17, v16
	v_add_nc_u32_e32 v29, 1, v17
	v_sub_nc_u32_e32 v28, s0, v28
	s_abs_i32 s0, s12
	s_delay_alu instid0(VALU_DEP_1) | instskip(SKIP_1) | instid1(VALU_DEP_2)
	v_sub_nc_u32_e32 v30, v28, v16
	v_cmp_ge_u32_e32 vcc_lo, v28, v16
	v_dual_cndmask_b32 v17, v17, v29 :: v_dual_cndmask_b32 v28, v28, v30
	s_delay_alu instid0(VALU_DEP_1) | instskip(NEXT) | instid1(VALU_DEP_2)
	v_add_nc_u32_e32 v29, 1, v17
	v_cmp_ge_u32_e32 vcc_lo, v28, v16
	s_delay_alu instid0(VALU_DEP_2) | instskip(NEXT) | instid1(VALU_DEP_1)
	v_cndmask_b32_e32 v16, v17, v29, vcc_lo
	v_xor_b32_e32 v16, v16, v12
	s_delay_alu instid0(VALU_DEP_1) | instskip(NEXT) | instid1(VALU_DEP_1)
	v_sub_nc_u32_e32 v28, v16, v12
	v_sub_nc_u32_e32 v12, 0, v28
	s_delay_alu instid0(VALU_DEP_1) | instskip(NEXT) | instid1(VALU_DEP_1)
	v_max_i32_e32 v12, v28, v12
	v_cvt_f32_u32_e32 v16, v12
	v_sub_nc_u32_e32 v17, 0, v12
	s_delay_alu instid0(VALU_DEP_2) | instskip(SKIP_2) | instid1(VALU_DEP_1)
	v_rcp_iflag_f32_e32 v16, v16
	s_waitcnt_depctr 0xfff
	v_mul_f32_e32 v16, 0x4f7ffffe, v16
	v_cvt_u32_f32_e32 v16, v16
	s_delay_alu instid0(VALU_DEP_1) | instskip(NEXT) | instid1(VALU_DEP_1)
	v_mul_lo_u32 v17, v17, v16
	v_mul_hi_u32 v17, v16, v17
	s_delay_alu instid0(VALU_DEP_1) | instskip(NEXT) | instid1(VALU_DEP_1)
	v_add_nc_u32_e32 v29, v16, v17
	v_mad_u64_u32 v[16:17], null, s0, v29, 0
	v_cmpx_ne_u64_e32 0, v[19:20]
	s_cbranch_execz .LBB369_3
; %bb.2:
	s_ashr_i32 s13, s12, 31
	s_delay_alu instid0(SALU_CYCLE_1) | instskip(NEXT) | instid1(SALU_CYCLE_1)
	s_lshl_b64 s[2:3], s[12:13], 2
	v_add_co_u32 v19, vcc_lo, v19, s2
	v_add_co_ci_u32_e32 v20, vcc_lo, s3, v20, vcc_lo
	flat_load_b32 v50, v[19:20]
.LBB369_3:
	s_or_b32 exec_lo, exec_lo, s1
	v_and_b32_e32 v34, 0x3ff, v31
	v_ashrrev_i32_e32 v16, 31, v28
	s_ashr_i32 s1, s12, 31
	s_lshl_b32 s4, s12, 7
	s_mov_b32 s2, exec_lo
	v_cmpx_gt_u32_e32 16, v34
	s_cbranch_execz .LBB369_5
; %bb.4:
	v_mul_lo_u32 v19, s10, v21
	s_ashr_i32 s5, s4, 31
	v_lshlrev_b32_e32 v21, 4, v34
	s_lshl_b64 s[18:19], s[4:5], 1
	s_delay_alu instid0(VALU_DEP_2) | instskip(NEXT) | instid1(VALU_DEP_1)
	v_ashrrev_i32_e32 v20, 31, v19
	v_lshlrev_b64 v[19:20], 1, v[19:20]
	s_delay_alu instid0(VALU_DEP_1) | instskip(NEXT) | instid1(VALU_DEP_2)
	v_add_co_u32 v6, vcc_lo, v6, v19
	v_add_co_ci_u32_e32 v7, vcc_lo, v7, v20, vcc_lo
	s_delay_alu instid0(VALU_DEP_2) | instskip(NEXT) | instid1(VALU_DEP_2)
	v_add_co_u32 v6, vcc_lo, v6, s18
	v_add_co_ci_u32_e32 v7, vcc_lo, s19, v7, vcc_lo
	s_delay_alu instid0(VALU_DEP_2) | instskip(NEXT) | instid1(VALU_DEP_2)
	v_add_co_u32 v6, vcc_lo, v6, v21
	v_add_co_ci_u32_e32 v7, vcc_lo, 0, v7, vcc_lo
	flat_load_b128 v[28:31], v[6:7]
	s_waitcnt vmcnt(0) lgkmcnt(0)
	ds_store_b128 v21, v[28:31]
.LBB369_5:
	s_or_b32 exec_lo, exec_lo, s2
	v_mul_lo_u32 v6, v17, v12
	v_xor_b32_e32 v21, s1, v16
	s_clause 0x1
	s_load_b32 s13, s[8:9], 0x14
	s_load_b32 s5, s[8:9], 0x8
	v_mul_lo_u32 v16, s10, v18
	v_lshrrev_b32_e32 v35, 5, v34
	s_lshl_b32 s8, s14, 4
	v_and_b32_e32 v37, 31, v34
	s_mov_b32 s9, exec_lo
	v_sub_nc_u32_e32 v6, s0, v6
	s_add_i32 s0, s8, 16
	v_lshlrev_b32_e32 v38, 5, v35
	v_lshlrev_b32_e32 v49, 2, v37
	s_waitcnt vmcnt(0) lgkmcnt(0)
	s_waitcnt_vscnt null, 0x0
	v_sub_nc_u32_e32 v19, v6, v12
	v_cmp_ge_u32_e32 vcc_lo, v6, v12
	v_add_nc_u32_e32 v7, 1, v17
	s_barrier
	buffer_gl0_inv
	v_dual_mov_b32 v51, 0xff7fffff :: v_dual_cndmask_b32 v6, v6, v19
	v_cndmask_b32_e32 v7, v17, v7, vcc_lo
	s_delay_alu instid0(VALU_DEP_2) | instskip(NEXT) | instid1(VALU_DEP_2)
	v_cmp_ge_u32_e32 vcc_lo, v6, v12
	v_add_nc_u32_e32 v19, 1, v7
	s_delay_alu instid0(VALU_DEP_1) | instskip(NEXT) | instid1(VALU_DEP_1)
	v_dual_cndmask_b32 v6, v7, v19 :: v_dual_add_nc_u32 v17, 31, v36
	v_ashrrev_i32_e32 v20, 31, v17
	s_delay_alu instid0(VALU_DEP_2) | instskip(NEXT) | instid1(VALU_DEP_2)
	v_xor_b32_e32 v6, v6, v21
	v_lshrrev_b32_e32 v7, 27, v20
	s_delay_alu instid0(VALU_DEP_2) | instskip(NEXT) | instid1(VALU_DEP_2)
	v_sub_nc_u32_e32 v18, v6, v21
	v_add_nc_u32_e32 v7, v17, v7
	v_ashrrev_i32_e32 v17, 31, v16
	v_add_nc_u32_e32 v6, s8, v35
	s_delay_alu instid0(VALU_DEP_4) | instskip(NEXT) | instid1(VALU_DEP_4)
	v_mul_lo_u32 v39, v18, v23
	v_ashrrev_i32_e32 v12, 5, v7
	s_delay_alu instid0(VALU_DEP_4) | instskip(NEXT) | instid1(VALU_DEP_4)
	v_lshlrev_b64 v[16:17], 2, v[16:17]
	v_ashrrev_i32_e32 v7, 31, v6
	s_delay_alu instid0(VALU_DEP_3) | instskip(SKIP_1) | instid1(VALU_DEP_2)
	v_min_i32_e32 v23, s0, v12
	v_ashrrev_i32_e32 v48, 31, v39
	v_cmp_ge_i32_e64 s0, v6, v23
	v_cmpx_lt_i32_e64 v6, v23
	s_cbranch_execz .LBB369_1033
; %bb.6:
	s_getpc_b64 s[2:3]
	s_add_u32 s2, s2, llvm.amdgcn.dynlds.offset.table@rel32@lo+4
	s_addc_u32 s3, s3, llvm.amdgcn.dynlds.offset.table@rel32@hi+12
	s_ashr_i32 s7, s6, 31
	v_lshlrev_b64 v[20:21], 2, v[6:7]
	s_lshl_b64 s[18:19], s[6:7], 2
	v_lshlrev_b32_e32 v18, 4, v37
	s_add_u32 s2, s18, s2
	s_addc_u32 s3, s19, s3
	v_add_co_u32 v8, vcc_lo, v8, v39
	s_load_b32 s2, s[2:3], 0x0
	v_add_co_ci_u32_e32 v19, vcc_lo, v9, v48, vcc_lo
	v_mov_b32_e32 v9, 0
	s_delay_alu instid0(VALU_DEP_3) | instskip(SKIP_1) | instid1(VALU_DEP_1)
	v_add_co_u32 v18, vcc_lo, v8, v18
	v_add_co_u32 v8, s1, v16, v20
	v_add_co_ci_u32_e64 v21, s1, v17, v21, s1
	v_lshl_or_b32 v28, v35, 7, v49
	s_delay_alu instid0(VALU_DEP_3)
	v_add_co_u32 v20, s1, v14, v8
	v_add_co_ci_u32_e32 v19, vcc_lo, 0, v19, vcc_lo
	v_cmp_neq_f32_e32 vcc_lo, 0, v50
	v_add_co_ci_u32_e64 v21, s1, v15, v21, s1
	v_sub_nc_u32_e32 v52, 1, v36
	v_add3_u32 v53, s16, v38, v37
	s_waitcnt lgkmcnt(0)
	v_dual_mov_b32 v51, 0xff7fffff :: v_dual_add_nc_u32 v54, s2, v28
	v_mov_b32_e32 v55, v6
	s_mov_b32 s2, -1
	s_mov_b32 s3, 0xffffff
	s_mov_b32 s7, 0
	s_branch .LBB369_11
.LBB369_7:                              ;   in Loop: Header=BB369_11 Depth=1
	s_or_b32 exec_lo, exec_lo, s20
	v_lshlrev_b32_e32 v8, 8, v30
	v_lshl_add_u32 v29, v31, 10, 0x2000
	s_delay_alu instid0(VALU_DEP_1) | instskip(NEXT) | instid1(VALU_DEP_1)
	v_and_or_b32 v8, 0x8000, v8, v29
	v_lshl_or_b32 v8, v28, 7, v8
	s_delay_alu instid0(VALU_DEP_1)
	v_cvt_f32_f16_e32 v28, v8
.LBB369_8:                              ;   in Loop: Header=BB369_11 Depth=1
	s_or_b32 exec_lo, exec_lo, s19
.LBB369_9:                              ;   in Loop: Header=BB369_11 Depth=1
	s_delay_alu instid0(SALU_CYCLE_1)
	s_or_b32 exec_lo, exec_lo, s18
.LBB369_10:                             ;   in Loop: Header=BB369_11 Depth=1
	s_delay_alu instid0(SALU_CYCLE_1)
	s_or_b32 exec_lo, exec_lo, s17
	v_fma_mixlo_f16 v77, v64, v75, 0
	v_fma_mixlo_f16 v75, v64, v105, 0
	;; [unrolled: 1-line block ×62, first 2 shown]
	ds_load_b128 v[154:157], v9
	v_fma_mixlo_f16 v168, v64, v65, 0
	v_fma_mixlo_f16 v76, v64, v76, 0
	;; [unrolled: 1-line block ×66, first 2 shown]
	s_waitcnt lgkmcnt(0)
	v_lshrrev_b32_e32 v64, 16, v154
	v_and_b32_e32 v80, 0xffff, v154
	;;#ASMSTART
	v_cvt_f32_f16 v80, v80;
	;;#ASMEND
	;;#ASMSTART
	v_cvt_f32_f16 v158, v64;
	;;#ASMEND
	v_and_b32_e32 v64, 0xffff, v168
	;;#ASMSTART
	v_cvt_f32_f16 v168, v64;
	;;#ASMEND
	v_and_b32_e32 v64, 0xffff, v159
	;;#ASMSTART
	v_cvt_f32_f16 v159, v64;
	;;#ASMEND
	v_lshrrev_b32_e32 v64, 16, v155
	v_and_b32_e32 v154, 0xffff, v155
	;;#ASMSTART
	v_cvt_f32_f16 v169, v154;
	;;#ASMEND
	;;#ASMSTART
	v_cvt_f32_f16 v170, v64;
	;;#ASMEND
	v_and_b32_e32 v64, 0xffff, v96
	;;#ASMSTART
	v_cvt_f32_f16 v96, v64;
	;;#ASMEND
	v_and_b32_e32 v64, 0xffff, v87
	;;#ASMSTART
	v_cvt_f32_f16 v87, v64;
	;;#ASMEND
	;; [unrolled: 16-line block ×4, first 2 shown]
	ds_load_b128 v[154:157], v9 offset:16
	v_and_b32_e32 v71, 0xffff, v103
	v_and_b32_e32 v85, 0xffff, v85
	;; [unrolled: 1-line block ×17, first 2 shown]
	v_cmp_lt_i32_e64 s1, v53, v36
	v_add_nc_u32_e32 v55, 4, v55
	s_waitcnt lgkmcnt(0)
	v_lshrrev_b32_e32 v64, 16, v154
	v_and_b32_e32 v69, 0xffff, v154
	;;#ASMSTART
	v_cvt_f32_f16 v69, v69;
	;;#ASMEND
	;;#ASMSTART
	v_cvt_f32_f16 v70, v64;
	;;#ASMEND
	v_and_b32_e32 v64, 0xffff, v112
	;;#ASMSTART
	v_cvt_f32_f16 v64, v64;
	;;#ASMEND
	;;#ASMSTART
	v_cvt_f32_f16 v71, v71;
	;;#ASMEND
	v_add_nc_u32_e32 v8, v52, v53
	s_delay_alu instid0(VALU_DEP_2) | instskip(SKIP_2) | instid1(VALU_DEP_4)
	v_dual_mul_f32 v64, v69, v64 :: v_dual_mul_f32 v69, v70, v71
	v_lshrrev_b32_e32 v70, 16, v155
	v_and_b32_e32 v71, 0xffff, v155
	v_cvt_f32_i32_e32 v8, v8
	s_delay_alu instid0(VALU_DEP_4)
	v_fmac_f32_e32 v64, v80, v168
	;;#ASMSTART
	v_cvt_f32_f16 v71, v71;
	;;#ASMEND
	;;#ASMSTART
	v_cvt_f32_f16 v70, v70;
	;;#ASMEND
	v_and_b32_e32 v80, 0xffff, v102
	v_mul_f32_e32 v8, v50, v8
	;;#ASMSTART
	v_cvt_f32_f16 v80, v80;
	;;#ASMEND
	;;#ASMSTART
	v_cvt_f32_f16 v85, v85;
	;;#ASMEND
	s_delay_alu instid0(VALU_DEP_2)
	v_dual_mul_f32 v70, v70, v85 :: v_dual_mul_f32 v71, v71, v80
	v_lshrrev_b32_e32 v80, 16, v156
	v_and_b32_e32 v85, 0xffff, v156
	;;#ASMSTART
	v_cvt_f32_f16 v85, v85;
	;;#ASMEND
	;;#ASMSTART
	v_cvt_f32_f16 v80, v80;
	;;#ASMEND
	v_fmac_f32_e32 v70, v170, v87
	;;#ASMSTART
	v_cvt_f32_f16 v84, v84;
	;;#ASMEND
	;;#ASMSTART
	v_cvt_f32_f16 v87, v81;
	;;#ASMEND
	v_dual_mul_f32 v80, v80, v87 :: v_dual_mul_f32 v81, v85, v84
	v_lshrrev_b32_e32 v84, 16, v157
	v_and_b32_e32 v85, 0xffff, v157
	;;#ASMSTART
	v_cvt_f32_f16 v85, v85;
	;;#ASMEND
	s_delay_alu instid0(VALU_DEP_3)
	v_fmac_f32_e32 v80, v172, v173
	;;#ASMSTART
	v_cvt_f32_f16 v84, v84;
	;;#ASMEND
	;;#ASMSTART
	v_cvt_f32_f16 v83, v83;
	;;#ASMEND
	;; [unrolled: 3-line block ×3, first 2 shown]
	v_fmac_f32_e32 v81, v171, v86
	v_dual_mul_f32 v83, v85, v83 :: v_dual_mul_f32 v82, v84, v82
	ds_load_b128 v[84:87], v9 offset:32
	v_dual_cndmask_b32 v8, 0, v8 :: v_dual_fmac_f32 v69, v158, v159
	v_fmac_f32_e32 v71, v169, v96
	v_and_b32_e32 v102, 0xffff, v128
	v_dual_fmac_f32 v82, v175, v185 :: v_dual_fmac_f32 v83, v174, v184
	v_and_b32_e32 v101, 0xffff, v101
	v_add_nc_u32_e32 v53, 0x80, v53
	s_waitcnt lgkmcnt(0)
	v_lshrrev_b32_e32 v96, 16, v84
	v_and_b32_e32 v84, 0xffff, v84
	;;#ASMSTART
	v_cvt_f32_f16 v84, v84;
	;;#ASMEND
	;;#ASMSTART
	v_cvt_f32_f16 v96, v96;
	;;#ASMEND
	;; [unrolled: 3-line block ×3, first 2 shown]
	s_delay_alu instid0(VALU_DEP_1)
	v_fmac_f32_e32 v64, v84, v102
	v_lshrrev_b32_e32 v84, 16, v85
	v_and_b32_e32 v85, 0xffff, v85
	;;#ASMSTART
	v_cvt_f32_f16 v103, v103;
	;;#ASMEND
	v_fmac_f32_e32 v69, v96, v103
	;;#ASMSTART
	v_cvt_f32_f16 v85, v85;
	;;#ASMEND
	;;#ASMSTART
	v_cvt_f32_f16 v84, v84;
	;;#ASMEND
	v_and_b32_e32 v96, 0xffff, v118
	;;#ASMSTART
	v_cvt_f32_f16 v96, v96;
	;;#ASMEND
	;;#ASMSTART
	v_cvt_f32_f16 v101, v101;
	;;#ASMEND
	s_delay_alu instid0(VALU_DEP_1)
	v_dual_fmac_f32 v71, v85, v96 :: v_dual_fmac_f32 v70, v84, v101
	v_and_b32_e32 v85, 0xffff, v86
	v_lshrrev_b32_e32 v84, 16, v86
	v_and_b32_e32 v86, 0xffff, v100
	;;#ASMSTART
	v_cvt_f32_f16 v85, v85;
	;;#ASMEND
	;;#ASMSTART
	v_cvt_f32_f16 v84, v84;
	;;#ASMEND
	;;#ASMSTART
	v_cvt_f32_f16 v86, v86;
	;;#ASMEND
	v_and_b32_e32 v96, 0xffff, v99
	;;#ASMSTART
	v_cvt_f32_f16 v96, v96;
	;;#ASMEND
	s_delay_alu instid0(VALU_DEP_1)
	v_dual_fmac_f32 v81, v85, v86 :: v_dual_fmac_f32 v80, v84, v96
	v_lshrrev_b32_e32 v84, 16, v87
	v_and_b32_e32 v85, 0xffff, v87
	v_and_b32_e32 v86, 0xffff, v98
	;; [unrolled: 1-line block ×3, first 2 shown]
	;;#ASMSTART
	v_cvt_f32_f16 v85, v85;
	;;#ASMEND
	;;#ASMSTART
	v_cvt_f32_f16 v84, v84;
	;;#ASMEND
	;; [unrolled: 3-line block ×4, first 2 shown]
	v_dual_fmac_f32 v83, v85, v86 :: v_dual_fmac_f32 v82, v84, v87
	ds_load_b128 v[84:87], v9 offset:48
	v_and_b32_e32 v97, 0xffff, v144
	v_and_b32_e32 v98, 0xffff, v135
	s_waitcnt lgkmcnt(0)
	v_lshrrev_b32_e32 v96, 16, v84
	v_and_b32_e32 v84, 0xffff, v84
	;;#ASMSTART
	v_cvt_f32_f16 v84, v84;
	;;#ASMEND
	;;#ASMSTART
	v_cvt_f32_f16 v96, v96;
	;;#ASMEND
	;; [unrolled: 3-line block ×3, first 2 shown]
	s_delay_alu instid0(VALU_DEP_1)
	v_fmac_f32_e32 v64, v84, v97
	v_lshrrev_b32_e32 v84, 16, v85
	v_and_b32_e32 v85, 0xffff, v85
	;;#ASMSTART
	v_cvt_f32_f16 v98, v98;
	;;#ASMEND
	v_fmac_f32_e32 v69, v96, v98
	;;#ASMSTART
	v_cvt_f32_f16 v85, v85;
	;;#ASMEND
	;;#ASMSTART
	v_cvt_f32_f16 v84, v84;
	;;#ASMEND
	v_and_b32_e32 v96, 0xffff, v134
	v_and_b32_e32 v97, 0xffff, v117
	;;#ASMSTART
	v_cvt_f32_f16 v96, v96;
	;;#ASMEND
	;;#ASMSTART
	v_cvt_f32_f16 v97, v97;
	;;#ASMEND
	s_delay_alu instid0(VALU_DEP_1)
	v_dual_fmac_f32 v71, v85, v96 :: v_dual_fmac_f32 v70, v84, v97
	v_and_b32_e32 v85, 0xffff, v86
	v_lshrrev_b32_e32 v84, 16, v86
	v_and_b32_e32 v86, 0xffff, v116
	;;#ASMSTART
	v_cvt_f32_f16 v85, v85;
	;;#ASMEND
	;;#ASMSTART
	v_cvt_f32_f16 v84, v84;
	;;#ASMEND
	;; [unrolled: 3-line block ×3, first 2 shown]
	v_and_b32_e32 v96, 0xffff, v115
	;;#ASMSTART
	v_cvt_f32_f16 v96, v96;
	;;#ASMEND
	s_delay_alu instid0(VALU_DEP_1)
	v_dual_fmac_f32 v81, v85, v86 :: v_dual_fmac_f32 v80, v84, v96
	v_lshrrev_b32_e32 v84, 16, v87
	v_and_b32_e32 v85, 0xffff, v87
	v_and_b32_e32 v86, 0xffff, v114
	;; [unrolled: 1-line block ×3, first 2 shown]
	;;#ASMSTART
	v_cvt_f32_f16 v85, v85;
	;;#ASMEND
	;;#ASMSTART
	v_cvt_f32_f16 v84, v84;
	;;#ASMEND
	;; [unrolled: 3-line block ×4, first 2 shown]
	v_dual_fmac_f32 v83, v85, v86 :: v_dual_fmac_f32 v82, v84, v87
	ds_load_b128 v[84:87], v9 offset:64
	v_and_b32_e32 v97, 0xffff, v160
	v_and_b32_e32 v98, 0xffff, v151
	s_waitcnt lgkmcnt(0)
	v_lshrrev_b32_e32 v96, 16, v84
	v_and_b32_e32 v84, 0xffff, v84
	;;#ASMSTART
	v_cvt_f32_f16 v84, v84;
	;;#ASMEND
	;;#ASMSTART
	v_cvt_f32_f16 v96, v96;
	;;#ASMEND
	;; [unrolled: 3-line block ×3, first 2 shown]
	s_delay_alu instid0(VALU_DEP_1)
	v_fmac_f32_e32 v64, v84, v97
	v_lshrrev_b32_e32 v84, 16, v85
	v_and_b32_e32 v85, 0xffff, v85
	;;#ASMSTART
	v_cvt_f32_f16 v98, v98;
	;;#ASMEND
	v_fmac_f32_e32 v69, v96, v98
	;;#ASMSTART
	v_cvt_f32_f16 v85, v85;
	;;#ASMEND
	;;#ASMSTART
	v_cvt_f32_f16 v84, v84;
	;;#ASMEND
	v_and_b32_e32 v96, 0xffff, v150
	v_and_b32_e32 v97, 0xffff, v133
	;;#ASMSTART
	v_cvt_f32_f16 v96, v96;
	;;#ASMEND
	;;#ASMSTART
	v_cvt_f32_f16 v97, v97;
	;;#ASMEND
	s_delay_alu instid0(VALU_DEP_1)
	v_dual_fmac_f32 v71, v85, v96 :: v_dual_fmac_f32 v70, v84, v97
	v_and_b32_e32 v85, 0xffff, v86
	v_lshrrev_b32_e32 v84, 16, v86
	v_and_b32_e32 v86, 0xffff, v132
	;;#ASMSTART
	v_cvt_f32_f16 v85, v85;
	;;#ASMEND
	;;#ASMSTART
	v_cvt_f32_f16 v84, v84;
	;;#ASMEND
	;; [unrolled: 3-line block ×3, first 2 shown]
	v_and_b32_e32 v96, 0xffff, v131
	;;#ASMSTART
	v_cvt_f32_f16 v96, v96;
	;;#ASMEND
	s_delay_alu instid0(VALU_DEP_1)
	v_dual_fmac_f32 v81, v85, v86 :: v_dual_fmac_f32 v80, v84, v96
	v_lshrrev_b32_e32 v84, 16, v87
	v_and_b32_e32 v85, 0xffff, v87
	v_and_b32_e32 v86, 0xffff, v130
	;; [unrolled: 1-line block ×3, first 2 shown]
	;;#ASMSTART
	v_cvt_f32_f16 v85, v85;
	;;#ASMEND
	;;#ASMSTART
	v_cvt_f32_f16 v84, v84;
	;;#ASMEND
	;; [unrolled: 3-line block ×4, first 2 shown]
	v_dual_fmac_f32 v83, v85, v86 :: v_dual_fmac_f32 v82, v84, v87
	ds_load_b128 v[84:87], v9 offset:80
	v_and_b32_e32 v97, 0xffff, v176
	v_and_b32_e32 v98, 0xffff, v167
	s_waitcnt lgkmcnt(0)
	v_lshrrev_b32_e32 v96, 16, v84
	v_and_b32_e32 v84, 0xffff, v84
	;;#ASMSTART
	v_cvt_f32_f16 v84, v84;
	;;#ASMEND
	;;#ASMSTART
	v_cvt_f32_f16 v96, v96;
	;;#ASMEND
	;; [unrolled: 3-line block ×3, first 2 shown]
	s_delay_alu instid0(VALU_DEP_1)
	v_fmac_f32_e32 v64, v84, v97
	v_lshrrev_b32_e32 v84, 16, v85
	v_and_b32_e32 v85, 0xffff, v85
	;;#ASMSTART
	v_cvt_f32_f16 v98, v98;
	;;#ASMEND
	v_fmac_f32_e32 v69, v96, v98
	;;#ASMSTART
	v_cvt_f32_f16 v85, v85;
	;;#ASMEND
	;;#ASMSTART
	v_cvt_f32_f16 v84, v84;
	;;#ASMEND
	v_and_b32_e32 v96, 0xffff, v166
	v_and_b32_e32 v97, 0xffff, v149
	;;#ASMSTART
	v_cvt_f32_f16 v96, v96;
	;;#ASMEND
	;;#ASMSTART
	v_cvt_f32_f16 v97, v97;
	;;#ASMEND
	s_delay_alu instid0(VALU_DEP_1)
	v_dual_fmac_f32 v71, v85, v96 :: v_dual_fmac_f32 v70, v84, v97
	v_and_b32_e32 v85, 0xffff, v86
	v_lshrrev_b32_e32 v84, 16, v86
	v_and_b32_e32 v86, 0xffff, v148
	;;#ASMSTART
	v_cvt_f32_f16 v85, v85;
	;;#ASMEND
	;;#ASMSTART
	v_cvt_f32_f16 v84, v84;
	;;#ASMEND
	;; [unrolled: 3-line block ×3, first 2 shown]
	v_and_b32_e32 v96, 0xffff, v147
	;;#ASMSTART
	v_cvt_f32_f16 v96, v96;
	;;#ASMEND
	s_delay_alu instid0(VALU_DEP_1)
	v_dual_fmac_f32 v81, v85, v86 :: v_dual_fmac_f32 v80, v84, v96
	v_lshrrev_b32_e32 v84, 16, v87
	v_and_b32_e32 v85, 0xffff, v87
	v_and_b32_e32 v86, 0xffff, v146
	;; [unrolled: 1-line block ×3, first 2 shown]
	;;#ASMSTART
	v_cvt_f32_f16 v85, v85;
	;;#ASMEND
	;;#ASMSTART
	v_cvt_f32_f16 v84, v84;
	;;#ASMEND
	;; [unrolled: 3-line block ×4, first 2 shown]
	v_dual_fmac_f32 v83, v85, v86 :: v_dual_fmac_f32 v82, v84, v87
	ds_load_b128 v[84:87], v9 offset:96
	v_and_b32_e32 v97, 0xffff, v40
	v_and_b32_e32 v98, 0xffff, v183
	s_waitcnt lgkmcnt(0)
	v_lshrrev_b32_e32 v96, 16, v84
	v_and_b32_e32 v84, 0xffff, v84
	;;#ASMSTART
	v_cvt_f32_f16 v84, v84;
	;;#ASMEND
	;;#ASMSTART
	v_cvt_f32_f16 v96, v96;
	;;#ASMEND
	;; [unrolled: 3-line block ×3, first 2 shown]
	s_delay_alu instid0(VALU_DEP_1)
	v_fmac_f32_e32 v64, v84, v97
	v_lshrrev_b32_e32 v84, 16, v85
	v_and_b32_e32 v85, 0xffff, v85
	;;#ASMSTART
	v_cvt_f32_f16 v98, v98;
	;;#ASMEND
	v_fmac_f32_e32 v69, v96, v98
	;;#ASMSTART
	v_cvt_f32_f16 v85, v85;
	;;#ASMEND
	;;#ASMSTART
	v_cvt_f32_f16 v84, v84;
	;;#ASMEND
	v_and_b32_e32 v96, 0xffff, v182
	v_and_b32_e32 v97, 0xffff, v165
	;;#ASMSTART
	v_cvt_f32_f16 v96, v96;
	;;#ASMEND
	;;#ASMSTART
	v_cvt_f32_f16 v97, v97;
	;;#ASMEND
	s_delay_alu instid0(VALU_DEP_1)
	v_dual_fmac_f32 v71, v85, v96 :: v_dual_fmac_f32 v70, v84, v97
	v_and_b32_e32 v85, 0xffff, v86
	v_lshrrev_b32_e32 v84, 16, v86
	v_and_b32_e32 v86, 0xffff, v164
	;;#ASMSTART
	v_cvt_f32_f16 v85, v85;
	;;#ASMEND
	;;#ASMSTART
	v_cvt_f32_f16 v84, v84;
	;;#ASMEND
	;; [unrolled: 3-line block ×3, first 2 shown]
	v_and_b32_e32 v96, 0xffff, v163
	;;#ASMSTART
	v_cvt_f32_f16 v96, v96;
	;;#ASMEND
	s_delay_alu instid0(VALU_DEP_1)
	v_dual_fmac_f32 v81, v85, v86 :: v_dual_fmac_f32 v80, v84, v96
	v_lshrrev_b32_e32 v84, 16, v87
	v_and_b32_e32 v85, 0xffff, v87
	v_and_b32_e32 v86, 0xffff, v162
	;; [unrolled: 1-line block ×3, first 2 shown]
	;;#ASMSTART
	v_cvt_f32_f16 v85, v85;
	;;#ASMEND
	;;#ASMSTART
	v_cvt_f32_f16 v84, v84;
	;;#ASMEND
	;; [unrolled: 3-line block ×4, first 2 shown]
	v_dual_fmac_f32 v83, v85, v86 :: v_dual_fmac_f32 v82, v84, v87
	ds_load_b128 v[84:87], v9 offset:112
	v_and_b32_e32 v97, 0xffff, v56
	v_and_b32_e32 v98, 0xffff, v47
	s_waitcnt lgkmcnt(0)
	v_lshrrev_b32_e32 v96, 16, v84
	v_and_b32_e32 v84, 0xffff, v84
	;;#ASMSTART
	v_cvt_f32_f16 v84, v84;
	;;#ASMEND
	;;#ASMSTART
	v_cvt_f32_f16 v96, v96;
	;;#ASMEND
	;; [unrolled: 3-line block ×3, first 2 shown]
	s_delay_alu instid0(VALU_DEP_1)
	v_fmac_f32_e32 v64, v84, v97
	v_lshrrev_b32_e32 v84, 16, v85
	v_and_b32_e32 v85, 0xffff, v85
	;;#ASMSTART
	v_cvt_f32_f16 v98, v98;
	;;#ASMEND
	v_fmac_f32_e32 v69, v96, v98
	;;#ASMSTART
	v_cvt_f32_f16 v85, v85;
	;;#ASMEND
	;;#ASMSTART
	v_cvt_f32_f16 v84, v84;
	;;#ASMEND
	v_and_b32_e32 v96, 0xffff, v46
	v_and_b32_e32 v97, 0xffff, v181
	;;#ASMSTART
	v_cvt_f32_f16 v96, v96;
	;;#ASMEND
	;;#ASMSTART
	v_cvt_f32_f16 v97, v97;
	;;#ASMEND
	s_delay_alu instid0(VALU_DEP_1)
	v_dual_fmac_f32 v71, v85, v96 :: v_dual_fmac_f32 v70, v84, v97
	v_and_b32_e32 v85, 0xffff, v86
	v_lshrrev_b32_e32 v84, 16, v86
	v_and_b32_e32 v86, 0xffff, v180
	;;#ASMSTART
	v_cvt_f32_f16 v85, v85;
	;;#ASMEND
	;;#ASMSTART
	v_cvt_f32_f16 v84, v84;
	;;#ASMEND
	;; [unrolled: 3-line block ×3, first 2 shown]
	v_and_b32_e32 v96, 0xffff, v179
	;;#ASMSTART
	v_cvt_f32_f16 v96, v96;
	;;#ASMEND
	s_delay_alu instid0(VALU_DEP_1)
	v_dual_fmac_f32 v81, v85, v86 :: v_dual_fmac_f32 v80, v84, v96
	v_lshrrev_b32_e32 v84, 16, v87
	v_and_b32_e32 v85, 0xffff, v87
	v_and_b32_e32 v86, 0xffff, v178
	;; [unrolled: 1-line block ×3, first 2 shown]
	;;#ASMSTART
	v_cvt_f32_f16 v85, v85;
	;;#ASMEND
	;;#ASMSTART
	v_cvt_f32_f16 v84, v84;
	;;#ASMEND
	;; [unrolled: 3-line block ×4, first 2 shown]
	v_dual_fmac_f32 v83, v85, v86 :: v_dual_fmac_f32 v82, v84, v87
	ds_load_b128 v[84:87], v9 offset:128
	v_and_b32_e32 v97, 0xffff, v72
	v_and_b32_e32 v98, 0xffff, v63
	s_waitcnt lgkmcnt(0)
	v_lshrrev_b32_e32 v96, 16, v84
	v_and_b32_e32 v84, 0xffff, v84
	;;#ASMSTART
	v_cvt_f32_f16 v84, v84;
	;;#ASMEND
	;;#ASMSTART
	v_cvt_f32_f16 v96, v96;
	;;#ASMEND
	;; [unrolled: 3-line block ×3, first 2 shown]
	s_delay_alu instid0(VALU_DEP_1)
	v_fmac_f32_e32 v64, v84, v97
	v_lshrrev_b32_e32 v84, 16, v85
	v_and_b32_e32 v85, 0xffff, v85
	;;#ASMSTART
	v_cvt_f32_f16 v98, v98;
	;;#ASMEND
	v_fmac_f32_e32 v69, v96, v98
	;;#ASMSTART
	v_cvt_f32_f16 v85, v85;
	;;#ASMEND
	;;#ASMSTART
	v_cvt_f32_f16 v84, v84;
	;;#ASMEND
	v_and_b32_e32 v96, 0xffff, v62
	v_and_b32_e32 v97, 0xffff, v45
	;;#ASMSTART
	v_cvt_f32_f16 v96, v96;
	;;#ASMEND
	;;#ASMSTART
	v_cvt_f32_f16 v97, v97;
	;;#ASMEND
	s_delay_alu instid0(VALU_DEP_1)
	v_dual_fmac_f32 v71, v85, v96 :: v_dual_fmac_f32 v70, v84, v97
	v_and_b32_e32 v85, 0xffff, v86
	v_lshrrev_b32_e32 v84, 16, v86
	v_and_b32_e32 v86, 0xffff, v44
	;;#ASMSTART
	v_cvt_f32_f16 v85, v85;
	;;#ASMEND
	;;#ASMSTART
	v_cvt_f32_f16 v84, v84;
	;;#ASMEND
	;; [unrolled: 3-line block ×3, first 2 shown]
	v_and_b32_e32 v96, 0xffff, v43
	;;#ASMSTART
	v_cvt_f32_f16 v96, v96;
	;;#ASMEND
	s_delay_alu instid0(VALU_DEP_1)
	v_dual_fmac_f32 v81, v85, v86 :: v_dual_fmac_f32 v80, v84, v96
	v_lshrrev_b32_e32 v84, 16, v87
	v_and_b32_e32 v85, 0xffff, v87
	v_and_b32_e32 v86, 0xffff, v42
	;; [unrolled: 1-line block ×3, first 2 shown]
	;;#ASMSTART
	v_cvt_f32_f16 v85, v85;
	;;#ASMEND
	;;#ASMSTART
	v_cvt_f32_f16 v84, v84;
	;;#ASMEND
	;; [unrolled: 3-line block ×4, first 2 shown]
	v_dual_fmac_f32 v83, v85, v86 :: v_dual_fmac_f32 v82, v84, v87
	ds_load_b128 v[84:87], v9 offset:144
	v_and_b32_e32 v97, 0xffff, v124
	v_and_b32_e32 v98, 0xffff, v109
	s_waitcnt lgkmcnt(0)
	v_lshrrev_b32_e32 v96, 16, v84
	v_and_b32_e32 v84, 0xffff, v84
	;;#ASMSTART
	v_cvt_f32_f16 v84, v84;
	;;#ASMEND
	;;#ASMSTART
	v_cvt_f32_f16 v96, v96;
	;;#ASMEND
	;; [unrolled: 3-line block ×3, first 2 shown]
	s_delay_alu instid0(VALU_DEP_1)
	v_fmac_f32_e32 v64, v84, v97
	v_lshrrev_b32_e32 v84, 16, v85
	v_and_b32_e32 v85, 0xffff, v85
	;;#ASMSTART
	v_cvt_f32_f16 v98, v98;
	;;#ASMEND
	v_fmac_f32_e32 v69, v96, v98
	;;#ASMSTART
	v_cvt_f32_f16 v85, v85;
	;;#ASMEND
	;;#ASMSTART
	v_cvt_f32_f16 v84, v84;
	;;#ASMEND
	v_and_b32_e32 v96, 0xffff, v108
	v_and_b32_e32 v97, 0xffff, v61
	;;#ASMSTART
	v_cvt_f32_f16 v96, v96;
	;;#ASMEND
	;;#ASMSTART
	v_cvt_f32_f16 v97, v97;
	;;#ASMEND
	s_delay_alu instid0(VALU_DEP_1)
	v_dual_fmac_f32 v71, v85, v96 :: v_dual_fmac_f32 v70, v84, v97
	v_and_b32_e32 v85, 0xffff, v86
	v_lshrrev_b32_e32 v84, 16, v86
	v_and_b32_e32 v86, 0xffff, v60
	;;#ASMSTART
	v_cvt_f32_f16 v85, v85;
	;;#ASMEND
	;;#ASMSTART
	v_cvt_f32_f16 v84, v84;
	;;#ASMEND
	;; [unrolled: 3-line block ×3, first 2 shown]
	v_and_b32_e32 v96, 0xffff, v59
	;;#ASMSTART
	v_cvt_f32_f16 v96, v96;
	;;#ASMEND
	s_delay_alu instid0(VALU_DEP_1)
	v_dual_fmac_f32 v81, v85, v86 :: v_dual_fmac_f32 v80, v84, v96
	v_lshrrev_b32_e32 v84, 16, v87
	v_and_b32_e32 v85, 0xffff, v87
	v_and_b32_e32 v86, 0xffff, v58
	;; [unrolled: 1-line block ×3, first 2 shown]
	;;#ASMSTART
	v_cvt_f32_f16 v85, v85;
	;;#ASMEND
	;;#ASMSTART
	v_cvt_f32_f16 v84, v84;
	;;#ASMEND
	;; [unrolled: 3-line block ×4, first 2 shown]
	v_dual_fmac_f32 v83, v85, v86 :: v_dual_fmac_f32 v82, v84, v87
	ds_load_b128 v[84:87], v9 offset:160
	v_and_b32_e32 v97, 0xffff, v153
	v_and_b32_e32 v98, 0xffff, v152
	s_waitcnt lgkmcnt(0)
	v_lshrrev_b32_e32 v96, 16, v84
	v_and_b32_e32 v84, 0xffff, v84
	;;#ASMSTART
	v_cvt_f32_f16 v84, v84;
	;;#ASMEND
	;;#ASMSTART
	v_cvt_f32_f16 v96, v96;
	;;#ASMEND
	;; [unrolled: 3-line block ×3, first 2 shown]
	s_delay_alu instid0(VALU_DEP_1)
	v_fmac_f32_e32 v64, v84, v97
	v_lshrrev_b32_e32 v84, 16, v85
	v_and_b32_e32 v85, 0xffff, v85
	;;#ASMSTART
	v_cvt_f32_f16 v98, v98;
	;;#ASMEND
	v_fmac_f32_e32 v69, v96, v98
	;;#ASMSTART
	v_cvt_f32_f16 v85, v85;
	;;#ASMEND
	;;#ASMSTART
	v_cvt_f32_f16 v84, v84;
	;;#ASMEND
	v_and_b32_e32 v96, 0xffff, v143
	v_and_b32_e32 v97, 0xffff, v93
	;;#ASMSTART
	v_cvt_f32_f16 v96, v96;
	;;#ASMEND
	;;#ASMSTART
	v_cvt_f32_f16 v97, v97;
	;;#ASMEND
	s_delay_alu instid0(VALU_DEP_1)
	v_dual_fmac_f32 v71, v85, v96 :: v_dual_fmac_f32 v70, v84, v97
	v_and_b32_e32 v85, 0xffff, v86
	v_lshrrev_b32_e32 v84, 16, v86
	v_and_b32_e32 v86, 0xffff, v92
	;;#ASMSTART
	v_cvt_f32_f16 v85, v85;
	;;#ASMEND
	;;#ASMSTART
	v_cvt_f32_f16 v84, v84;
	;;#ASMEND
	;; [unrolled: 3-line block ×3, first 2 shown]
	v_and_b32_e32 v96, 0xffff, v79
	;;#ASMSTART
	v_cvt_f32_f16 v96, v96;
	;;#ASMEND
	s_delay_alu instid0(VALU_DEP_1)
	v_dual_fmac_f32 v81, v85, v86 :: v_dual_fmac_f32 v80, v84, v96
	v_lshrrev_b32_e32 v84, 16, v87
	v_and_b32_e32 v85, 0xffff, v87
	v_and_b32_e32 v86, 0xffff, v78
	;; [unrolled: 1-line block ×3, first 2 shown]
	;;#ASMSTART
	v_cvt_f32_f16 v85, v85;
	;;#ASMEND
	;;#ASMSTART
	v_cvt_f32_f16 v84, v84;
	;;#ASMEND
	;; [unrolled: 3-line block ×4, first 2 shown]
	v_dual_fmac_f32 v83, v85, v86 :: v_dual_fmac_f32 v82, v84, v87
	ds_load_b128 v[84:87], v9 offset:176
	v_and_b32_e32 v97, 0xffff, v142
	v_and_b32_e32 v98, 0xffff, v141
	s_waitcnt lgkmcnt(0)
	v_lshrrev_b32_e32 v96, 16, v84
	v_and_b32_e32 v84, 0xffff, v84
	;;#ASMSTART
	v_cvt_f32_f16 v84, v84;
	;;#ASMEND
	;;#ASMSTART
	v_cvt_f32_f16 v96, v96;
	;;#ASMEND
	;; [unrolled: 3-line block ×3, first 2 shown]
	s_delay_alu instid0(VALU_DEP_1)
	v_fmac_f32_e32 v64, v84, v97
	v_lshrrev_b32_e32 v84, 16, v85
	v_and_b32_e32 v85, 0xffff, v85
	;;#ASMSTART
	v_cvt_f32_f16 v98, v98;
	;;#ASMEND
	v_fmac_f32_e32 v69, v96, v98
	;;#ASMSTART
	v_cvt_f32_f16 v85, v85;
	;;#ASMEND
	;;#ASMSTART
	v_cvt_f32_f16 v84, v84;
	;;#ASMEND
	v_and_b32_e32 v96, 0xffff, v140
	v_and_b32_e32 v97, 0xffff, v139
	;;#ASMSTART
	v_cvt_f32_f16 v96, v96;
	;;#ASMEND
	;;#ASMSTART
	v_cvt_f32_f16 v97, v97;
	;;#ASMEND
	s_delay_alu instid0(VALU_DEP_1)
	v_dual_fmac_f32 v71, v85, v96 :: v_dual_fmac_f32 v70, v84, v97
	v_and_b32_e32 v85, 0xffff, v86
	v_lshrrev_b32_e32 v84, 16, v86
	v_and_b32_e32 v86, 0xffff, v138
	;;#ASMSTART
	v_cvt_f32_f16 v85, v85;
	;;#ASMEND
	;;#ASMSTART
	v_cvt_f32_f16 v84, v84;
	;;#ASMEND
	;; [unrolled: 3-line block ×3, first 2 shown]
	v_and_b32_e32 v96, 0xffff, v137
	;;#ASMSTART
	v_cvt_f32_f16 v96, v96;
	;;#ASMEND
	s_delay_alu instid0(VALU_DEP_1)
	v_dual_fmac_f32 v81, v85, v86 :: v_dual_fmac_f32 v80, v84, v96
	v_lshrrev_b32_e32 v84, 16, v87
	v_and_b32_e32 v85, 0xffff, v87
	v_and_b32_e32 v86, 0xffff, v136
	;; [unrolled: 1-line block ×3, first 2 shown]
	;;#ASMSTART
	v_cvt_f32_f16 v85, v85;
	;;#ASMEND
	;;#ASMSTART
	v_cvt_f32_f16 v84, v84;
	;;#ASMEND
	;; [unrolled: 3-line block ×4, first 2 shown]
	v_dual_fmac_f32 v83, v85, v86 :: v_dual_fmac_f32 v82, v84, v87
	ds_load_b128 v[84:87], v9 offset:192
	v_and_b32_e32 v97, 0xffff, v127
	v_and_b32_e32 v98, 0xffff, v126
	s_waitcnt lgkmcnt(0)
	v_lshrrev_b32_e32 v96, 16, v84
	v_and_b32_e32 v84, 0xffff, v84
	;;#ASMSTART
	v_cvt_f32_f16 v84, v84;
	;;#ASMEND
	;;#ASMSTART
	v_cvt_f32_f16 v96, v96;
	;;#ASMEND
	;; [unrolled: 3-line block ×3, first 2 shown]
	s_delay_alu instid0(VALU_DEP_1)
	v_fmac_f32_e32 v64, v84, v97
	v_lshrrev_b32_e32 v84, 16, v85
	v_and_b32_e32 v85, 0xffff, v85
	;;#ASMSTART
	v_cvt_f32_f16 v98, v98;
	;;#ASMEND
	v_fmac_f32_e32 v69, v96, v98
	;;#ASMSTART
	v_cvt_f32_f16 v85, v85;
	;;#ASMEND
	;;#ASMSTART
	v_cvt_f32_f16 v84, v84;
	;;#ASMEND
	v_and_b32_e32 v96, 0xffff, v123
	v_and_b32_e32 v97, 0xffff, v122
	;;#ASMSTART
	v_cvt_f32_f16 v96, v96;
	;;#ASMEND
	;;#ASMSTART
	v_cvt_f32_f16 v97, v97;
	;;#ASMEND
	s_delay_alu instid0(VALU_DEP_1)
	v_dual_fmac_f32 v71, v85, v96 :: v_dual_fmac_f32 v70, v84, v97
	v_and_b32_e32 v85, 0xffff, v86
	v_lshrrev_b32_e32 v84, 16, v86
	v_and_b32_e32 v86, 0xffff, v121
	;;#ASMSTART
	v_cvt_f32_f16 v85, v85;
	;;#ASMEND
	;;#ASMSTART
	v_cvt_f32_f16 v84, v84;
	;;#ASMEND
	;; [unrolled: 3-line block ×3, first 2 shown]
	v_and_b32_e32 v96, 0xffff, v120
	;;#ASMSTART
	v_cvt_f32_f16 v96, v96;
	;;#ASMEND
	s_delay_alu instid0(VALU_DEP_1)
	v_dual_fmac_f32 v81, v85, v86 :: v_dual_fmac_f32 v80, v84, v96
	v_lshrrev_b32_e32 v84, 16, v87
	v_and_b32_e32 v85, 0xffff, v87
	v_and_b32_e32 v86, 0xffff, v111
	;; [unrolled: 1-line block ×3, first 2 shown]
	;;#ASMSTART
	v_cvt_f32_f16 v85, v85;
	;;#ASMEND
	;;#ASMSTART
	v_cvt_f32_f16 v84, v84;
	;;#ASMEND
	;; [unrolled: 3-line block ×4, first 2 shown]
	v_dual_fmac_f32 v83, v85, v86 :: v_dual_fmac_f32 v82, v84, v87
	ds_load_b128 v[84:87], v9 offset:208
	v_and_b32_e32 v97, 0xffff, v107
	v_and_b32_e32 v98, 0xffff, v106
	s_waitcnt lgkmcnt(0)
	v_lshrrev_b32_e32 v96, 16, v84
	v_and_b32_e32 v84, 0xffff, v84
	;;#ASMSTART
	v_cvt_f32_f16 v84, v84;
	;;#ASMEND
	;;#ASMSTART
	v_cvt_f32_f16 v96, v96;
	;;#ASMEND
	;; [unrolled: 3-line block ×3, first 2 shown]
	s_delay_alu instid0(VALU_DEP_1)
	v_fmac_f32_e32 v64, v84, v97
	v_lshrrev_b32_e32 v84, 16, v85
	v_and_b32_e32 v85, 0xffff, v85
	;;#ASMSTART
	v_cvt_f32_f16 v98, v98;
	;;#ASMEND
	v_fmac_f32_e32 v69, v96, v98
	;;#ASMSTART
	v_cvt_f32_f16 v85, v85;
	;;#ASMEND
	;;#ASMSTART
	v_cvt_f32_f16 v84, v84;
	;;#ASMEND
	v_and_b32_e32 v96, 0xffff, v105
	v_and_b32_e32 v97, 0xffff, v104
	;;#ASMSTART
	v_cvt_f32_f16 v96, v96;
	;;#ASMEND
	;;#ASMSTART
	v_cvt_f32_f16 v97, v97;
	;;#ASMEND
	s_delay_alu instid0(VALU_DEP_1)
	v_dual_fmac_f32 v70, v84, v97 :: v_dual_fmac_f32 v71, v85, v96
	v_lshrrev_b32_e32 v84, 16, v86
	v_and_b32_e32 v85, 0xffff, v86
	v_and_b32_e32 v86, 0xffff, v95
	;;#ASMSTART
	v_cvt_f32_f16 v85, v85;
	;;#ASMEND
	;;#ASMSTART
	v_cvt_f32_f16 v84, v84;
	;;#ASMEND
	;; [unrolled: 3-line block ×3, first 2 shown]
	v_and_b32_e32 v96, 0xffff, v94
	;;#ASMSTART
	v_cvt_f32_f16 v96, v96;
	;;#ASMEND
	s_delay_alu instid0(VALU_DEP_1)
	v_dual_fmac_f32 v81, v85, v86 :: v_dual_fmac_f32 v80, v84, v96
	v_lshrrev_b32_e32 v84, 16, v87
	v_and_b32_e32 v85, 0xffff, v87
	v_and_b32_e32 v86, 0xffff, v91
	;; [unrolled: 1-line block ×3, first 2 shown]
	;;#ASMSTART
	v_cvt_f32_f16 v85, v85;
	;;#ASMEND
	;;#ASMSTART
	v_cvt_f32_f16 v84, v84;
	;;#ASMEND
	;; [unrolled: 3-line block ×4, first 2 shown]
	v_dual_fmac_f32 v83, v85, v86 :: v_dual_fmac_f32 v82, v84, v87
	ds_load_b128 v[84:87], v9 offset:224
	v_and_b32_e32 v97, 0xffff, v89
	v_and_b32_e32 v98, 0xffff, v88
	s_waitcnt lgkmcnt(0)
	v_lshrrev_b32_e32 v96, 16, v84
	v_and_b32_e32 v84, 0xffff, v84
	;;#ASMSTART
	v_cvt_f32_f16 v84, v84;
	;;#ASMEND
	;;#ASMSTART
	v_cvt_f32_f16 v96, v96;
	;;#ASMEND
	;; [unrolled: 3-line block ×3, first 2 shown]
	s_delay_alu instid0(VALU_DEP_1)
	v_fmac_f32_e32 v64, v84, v97
	v_lshrrev_b32_e32 v84, 16, v85
	v_and_b32_e32 v85, 0xffff, v85
	;;#ASMSTART
	v_cvt_f32_f16 v98, v98;
	;;#ASMEND
	v_fmac_f32_e32 v69, v96, v98
	;;#ASMSTART
	v_cvt_f32_f16 v85, v85;
	;;#ASMEND
	;;#ASMSTART
	v_cvt_f32_f16 v84, v84;
	;;#ASMEND
	v_and_b32_e32 v96, 0xffff, v77
	v_and_b32_e32 v97, 0xffff, v76
	;;#ASMSTART
	v_cvt_f32_f16 v96, v96;
	;;#ASMEND
	;;#ASMSTART
	v_cvt_f32_f16 v97, v97;
	;;#ASMEND
	s_delay_alu instid0(VALU_DEP_1)
	v_dual_fmac_f32 v70, v84, v97 :: v_dual_fmac_f32 v71, v85, v96
	v_lshrrev_b32_e32 v84, 16, v86
	v_and_b32_e32 v85, 0xffff, v86
	;;#ASMSTART
	v_cvt_f32_f16 v85, v85;
	;;#ASMEND
	;;#ASMSTART
	v_cvt_f32_f16 v84, v84;
	;;#ASMEND
	v_and_b32_e32 v86, 0xffff, v75
	v_and_b32_e32 v96, 0xffff, v74
	;;#ASMSTART
	v_cvt_f32_f16 v86, v86;
	;;#ASMEND
	;;#ASMSTART
	v_cvt_f32_f16 v96, v96;
	;;#ASMEND
	s_delay_alu instid0(VALU_DEP_1)
	v_dual_fmac_f32 v81, v85, v86 :: v_dual_fmac_f32 v80, v84, v96
	v_lshrrev_b32_e32 v84, 16, v87
	v_and_b32_e32 v85, 0xffff, v87
	;;#ASMSTART
	v_cvt_f32_f16 v85, v85;
	;;#ASMEND
	;;#ASMSTART
	v_cvt_f32_f16 v84, v84;
	;;#ASMEND
	;; [unrolled: 3-line block ×4, first 2 shown]
	v_dual_fmac_f32 v83, v85, v33 :: v_dual_fmac_f32 v82, v84, v32
	ds_load_b128 v[84:87], v9 offset:240
	s_waitcnt lgkmcnt(0)
	v_lshrrev_b32_e32 v32, 16, v84
	v_and_b32_e32 v33, 0xffff, v84
	;;#ASMSTART
	v_cvt_f32_f16 v33, v33;
	;;#ASMEND
	;;#ASMSTART
	v_cvt_f32_f16 v32, v32;
	;;#ASMEND
	;;#ASMSTART
	v_cvt_f32_f16 v68, v68;
	;;#ASMEND
	;;#ASMSTART
	v_cvt_f32_f16 v67, v67;
	;;#ASMEND
	v_dual_fmac_f32 v64, v33, v68 :: v_dual_fmac_f32 v69, v32, v67
	v_lshrrev_b32_e32 v32, 16, v85
	v_and_b32_e32 v33, 0xffff, v85
	;;#ASMSTART
	v_cvt_f32_f16 v33, v33;
	;;#ASMEND
	;;#ASMSTART
	v_cvt_f32_f16 v32, v32;
	;;#ASMEND
	;;#ASMSTART
	v_cvt_f32_f16 v66, v66;
	;;#ASMEND
	;;#ASMSTART
	v_cvt_f32_f16 v65, v65;
	;;#ASMEND
	v_dual_fmac_f32 v71, v33, v66 :: v_dual_fmac_f32 v70, v32, v65
	;; [unrolled: 15-line block ×3, first 2 shown]
	v_lshrrev_b32_e32 v30, 16, v87
	v_and_b32_e32 v31, 0xffff, v87
	;;#ASMSTART
	v_cvt_f32_f16 v31, v31;
	;;#ASMEND
	;;#ASMSTART
	v_cvt_f32_f16 v30, v30;
	;;#ASMEND
	;; [unrolled: 3-line block ×4, first 2 shown]
	v_fmac_f32_e32 v82, v30, v28
	v_add_f32_e32 v28, v64, v69
	s_delay_alu instid0(VALU_DEP_1) | instskip(NEXT) | instid1(VALU_DEP_1)
	v_dual_fmac_f32 v83, v31, v29 :: v_dual_add_f32 v28, v28, v71
	v_add_f32_e32 v28, v70, v28
	s_delay_alu instid0(VALU_DEP_1) | instskip(NEXT) | instid1(VALU_DEP_1)
	v_add_f32_e32 v28, v28, v81
	v_add_f32_e32 v28, v80, v28
	s_delay_alu instid0(VALU_DEP_1) | instskip(NEXT) | instid1(VALU_DEP_1)
	v_add_f32_e32 v28, v28, v83
	v_add_f32_e32 v28, v82, v28
	s_delay_alu instid0(VALU_DEP_1) | instskip(NEXT) | instid1(VALU_DEP_1)
	v_fmac_f32_e32 v8, v28, v13
	v_cndmask_b32_e64 v28, 0, v8, s1
	ds_store_b32 v54, v28
	v_max_f32_e32 v28, v51, v51
	v_add_nc_u32_e32 v54, 0x200, v54
	s_delay_alu instid0(VALU_DEP_2) | instskip(NEXT) | instid1(VALU_DEP_1)
	v_max_f32_e32 v8, v28, v8
	v_cndmask_b32_e64 v51, v51, v8, s1
	v_add_co_u32 v20, s1, v20, 16
	s_delay_alu instid0(VALU_DEP_1) | instskip(SKIP_1) | instid1(VALU_DEP_1)
	v_add_co_ci_u32_e64 v21, s1, 0, v21, s1
	v_cmp_ge_i32_e64 s1, v55, v23
	s_or_b32 s7, s1, s7
	s_delay_alu instid0(SALU_CYCLE_1)
	s_and_not1_b32 exec_lo, exec_lo, s7
	s_cbranch_execz .LBB369_1032
.LBB369_11:                             ; =>This Inner Loop Header: Depth=1
	flat_load_b32 v8, v[20:21]
	s_mov_b32 s17, exec_lo
	v_mov_b32_e32 v65, 0
	s_waitcnt vmcnt(0) lgkmcnt(0)
	v_mad_i64_i32 v[28:29], null, v8, v22, v[18:19]
	flat_load_b64 v[30:31], v[28:29]
	flat_load_b32 v64, v[24:25]
	s_waitcnt vmcnt(1) lgkmcnt(1)
	v_and_b32_e32 v8, 0xff, v30
	s_delay_alu instid0(VALU_DEP_1)
	v_cmpx_ne_u16_e32 0, v8
	s_cbranch_execz .LBB369_19
; %bb.12:                               ;   in Loop: Header=BB369_11 Depth=1
	v_bfrev_b32_e32 v65, 1
	s_mov_b32 s18, exec_lo
	v_cmpx_ne_u16_e32 0x80, v8
	s_cbranch_execz .LBB369_18
; %bb.13:                               ;   in Loop: Header=BB369_11 Depth=1
	v_and_b32_e32 v32, 0x7f, v30
	v_mov_b32_e32 v65, 0x7fc02000
	s_mov_b32 s19, exec_lo
	s_delay_alu instid0(VALU_DEP_2)
	v_cmpx_ne_u32_e32 0x7f, v32
	s_cbranch_execz .LBB369_17
; %bb.14:                               ;   in Loop: Header=BB369_11 Depth=1
	v_lshrrev_b32_e32 v8, 3, v32
	v_cmp_gt_u32_e64 s1, 8, v32
	v_dual_mov_b32 v33, v31 :: v_dual_mov_b32 v32, v30
	s_delay_alu instid0(VALU_DEP_2)
	s_and_saveexec_b32 s20, s1
; %bb.15:                               ;   in Loop: Header=BB369_11 Depth=1
	v_and_b32_e32 v8, 7, v30
	s_delay_alu instid0(VALU_DEP_1) | instskip(NEXT) | instid1(VALU_DEP_1)
	v_clz_i32_u32_e32 v8, v8
	v_min_u32_e32 v8, 32, v8
	s_delay_alu instid0(VALU_DEP_1) | instskip(SKIP_1) | instid1(VALU_DEP_2)
	v_subrev_nc_u32_e32 v32, 28, v8
	v_sub_nc_u32_e32 v8, 29, v8
	v_lshlrev_b64 v[32:33], v32, v[30:31]
; %bb.16:                               ;   in Loop: Header=BB369_11 Depth=1
	s_or_b32 exec_lo, exec_lo, s20
	v_lshlrev_b32_e32 v33, 8, v30
	s_delay_alu instid0(VALU_DEP_3) | instskip(NEXT) | instid1(VALU_DEP_3)
	v_lshl_add_u32 v8, v8, 10, 0x2000
	v_lshlrev_b32_e32 v32, 7, v32
	s_delay_alu instid0(VALU_DEP_2) | instskip(NEXT) | instid1(VALU_DEP_1)
	v_and_or_b32 v8, 0x8000, v33, v8
	v_and_or_b32 v8, 0x380, v32, v8
	s_delay_alu instid0(VALU_DEP_1)
	v_cvt_f32_f16_e32 v65, v8
.LBB369_17:                             ;   in Loop: Header=BB369_11 Depth=1
	s_or_b32 exec_lo, exec_lo, s19
.LBB369_18:                             ;   in Loop: Header=BB369_11 Depth=1
	s_delay_alu instid0(SALU_CYCLE_1)
	s_or_b32 exec_lo, exec_lo, s18
.LBB369_19:                             ;   in Loop: Header=BB369_11 Depth=1
	s_delay_alu instid0(SALU_CYCLE_1) | instskip(SKIP_3) | instid1(VALU_DEP_2)
	s_or_b32 exec_lo, exec_lo, s17
	v_lshrrev_b16 v8, 8, v30
	v_dual_mov_b32 v66, 0 :: v_dual_mov_b32 v67, 0
	s_mov_b32 s17, exec_lo
	v_cmpx_ne_u16_e32 0, v8
	s_cbranch_execz .LBB369_27
; %bb.20:                               ;   in Loop: Header=BB369_11 Depth=1
	v_bfrev_b32_e32 v67, 1
	s_mov_b32 s18, exec_lo
	v_cmpx_ne_u16_e32 0x80, v8
	s_cbranch_execz .LBB369_26
; %bb.21:                               ;   in Loop: Header=BB369_11 Depth=1
	v_and_b32_e32 v68, 0xffff, v8
	v_mov_b32_e32 v67, 0x7fc02000
	s_mov_b32 s19, exec_lo
	s_delay_alu instid0(VALU_DEP_2) | instskip(NEXT) | instid1(VALU_DEP_1)
	v_and_b32_e32 v32, 0x7f, v68
	v_cmpx_ne_u32_e32 0x7f, v32
	s_cbranch_execz .LBB369_25
; %bb.22:                               ;   in Loop: Header=BB369_11 Depth=1
	v_and_b32_e32 v8, 7, v68
	v_lshrrev_b32_e32 v67, 3, v32
	v_cmp_gt_u32_e64 s1, 8, v32
	s_delay_alu instid0(VALU_DEP_3) | instskip(NEXT) | instid1(VALU_DEP_2)
	v_dual_mov_b32 v33, v9 :: v_dual_mov_b32 v32, v8
	s_and_saveexec_b32 s20, s1
; %bb.23:                               ;   in Loop: Header=BB369_11 Depth=1
	v_clz_i32_u32_e32 v32, v8
	s_delay_alu instid0(VALU_DEP_1) | instskip(NEXT) | instid1(VALU_DEP_1)
	v_min_u32_e32 v67, 32, v32
	v_subrev_nc_u32_e32 v32, 28, v67
	v_sub_nc_u32_e32 v67, 29, v67
	s_delay_alu instid0(VALU_DEP_2) | instskip(NEXT) | instid1(VALU_DEP_1)
	v_lshlrev_b64 v[32:33], v32, v[8:9]
	v_and_b32_e32 v32, 7, v32
; %bb.24:                               ;   in Loop: Header=BB369_11 Depth=1
	s_or_b32 exec_lo, exec_lo, s20
	v_lshlrev_b32_e32 v8, 8, v68
	v_lshl_add_u32 v33, v67, 10, 0x2000
	s_delay_alu instid0(VALU_DEP_1) | instskip(NEXT) | instid1(VALU_DEP_1)
	v_and_or_b32 v8, 0x8000, v8, v33
	v_lshl_or_b32 v8, v32, 7, v8
	s_delay_alu instid0(VALU_DEP_1)
	v_cvt_f32_f16_e32 v67, v8
.LBB369_25:                             ;   in Loop: Header=BB369_11 Depth=1
	s_or_b32 exec_lo, exec_lo, s19
.LBB369_26:                             ;   in Loop: Header=BB369_11 Depth=1
	s_delay_alu instid0(SALU_CYCLE_1)
	s_or_b32 exec_lo, exec_lo, s18
.LBB369_27:                             ;   in Loop: Header=BB369_11 Depth=1
	s_delay_alu instid0(SALU_CYCLE_1) | instskip(SKIP_2) | instid1(VALU_DEP_1)
	s_or_b32 exec_lo, exec_lo, s17
	v_lshrrev_b32_e32 v68, 16, v30
	s_mov_b32 s17, exec_lo
	v_and_b32_e32 v8, 0xff, v68
	s_delay_alu instid0(VALU_DEP_1)
	v_cmpx_ne_u16_e32 0, v8
	s_cbranch_execz .LBB369_35
; %bb.28:                               ;   in Loop: Header=BB369_11 Depth=1
	v_bfrev_b32_e32 v66, 1
	s_mov_b32 s18, exec_lo
	v_cmpx_ne_u16_e32 0x80, v8
	s_cbranch_execz .LBB369_34
; %bb.29:                               ;   in Loop: Header=BB369_11 Depth=1
	v_bfe_u32 v32, v30, 16, 7
	v_mov_b32_e32 v66, 0x7fc02000
	s_mov_b32 s19, exec_lo
	s_delay_alu instid0(VALU_DEP_2)
	v_cmpx_ne_u32_e32 0x7f, v32
	s_cbranch_execz .LBB369_33
; %bb.30:                               ;   in Loop: Header=BB369_11 Depth=1
	v_and_b32_e32 v8, 7, v68
	v_lshrrev_b32_e32 v66, 3, v32
	v_cmp_gt_u32_e64 s1, 8, v32
	s_delay_alu instid0(VALU_DEP_3) | instskip(NEXT) | instid1(VALU_DEP_2)
	v_dual_mov_b32 v33, v9 :: v_dual_mov_b32 v32, v8
	s_and_saveexec_b32 s20, s1
; %bb.31:                               ;   in Loop: Header=BB369_11 Depth=1
	v_clz_i32_u32_e32 v32, v8
	s_delay_alu instid0(VALU_DEP_1) | instskip(NEXT) | instid1(VALU_DEP_1)
	v_min_u32_e32 v66, 32, v32
	v_subrev_nc_u32_e32 v32, 28, v66
	v_sub_nc_u32_e32 v66, 29, v66
	s_delay_alu instid0(VALU_DEP_2) | instskip(NEXT) | instid1(VALU_DEP_1)
	v_lshlrev_b64 v[32:33], v32, v[8:9]
	v_and_b32_e32 v32, 7, v32
; %bb.32:                               ;   in Loop: Header=BB369_11 Depth=1
	s_or_b32 exec_lo, exec_lo, s20
	v_lshlrev_b32_e32 v8, 8, v68
	v_lshl_add_u32 v33, v66, 10, 0x2000
	s_delay_alu instid0(VALU_DEP_1) | instskip(NEXT) | instid1(VALU_DEP_1)
	v_and_or_b32 v8, 0x8000, v8, v33
	v_lshl_or_b32 v8, v32, 7, v8
	s_delay_alu instid0(VALU_DEP_1)
	v_cvt_f32_f16_e32 v66, v8
.LBB369_33:                             ;   in Loop: Header=BB369_11 Depth=1
	s_or_b32 exec_lo, exec_lo, s19
.LBB369_34:                             ;   in Loop: Header=BB369_11 Depth=1
	s_delay_alu instid0(SALU_CYCLE_1)
	s_or_b32 exec_lo, exec_lo, s18
.LBB369_35:                             ;   in Loop: Header=BB369_11 Depth=1
	s_delay_alu instid0(SALU_CYCLE_1)
	s_or_b32 exec_lo, exec_lo, s17
	v_dual_mov_b32 v68, 0 :: v_dual_mov_b32 v69, 0
	s_mov_b32 s17, exec_lo
	v_cmpx_lt_u32_e32 0xffffff, v30
	s_cbranch_execz .LBB369_43
; %bb.36:                               ;   in Loop: Header=BB369_11 Depth=1
	v_lshrrev_b32_e32 v70, 24, v30
	v_bfrev_b32_e32 v69, 1
	s_mov_b32 s18, exec_lo
	s_delay_alu instid0(VALU_DEP_2)
	v_cmpx_ne_u32_e32 0x80, v70
	s_cbranch_execz .LBB369_42
; %bb.37:                               ;   in Loop: Header=BB369_11 Depth=1
	v_and_b32_e32 v32, 0x7f, v70
	v_mov_b32_e32 v69, 0x7fc02000
	s_mov_b32 s19, exec_lo
	s_delay_alu instid0(VALU_DEP_2)
	v_cmpx_ne_u32_e32 0x7f, v32
	s_cbranch_execz .LBB369_41
; %bb.38:                               ;   in Loop: Header=BB369_11 Depth=1
	v_and_b32_e32 v8, 7, v70
	v_lshrrev_b32_e32 v69, 3, v32
	v_cmp_gt_u32_e64 s1, 8, v32
	s_delay_alu instid0(VALU_DEP_3) | instskip(NEXT) | instid1(VALU_DEP_2)
	v_dual_mov_b32 v33, v9 :: v_dual_mov_b32 v32, v8
	s_and_saveexec_b32 s20, s1
; %bb.39:                               ;   in Loop: Header=BB369_11 Depth=1
	v_clz_i32_u32_e32 v32, v8
	s_delay_alu instid0(VALU_DEP_1) | instskip(NEXT) | instid1(VALU_DEP_1)
	v_min_u32_e32 v69, 32, v32
	v_subrev_nc_u32_e32 v32, 28, v69
	v_sub_nc_u32_e32 v69, 29, v69
	s_delay_alu instid0(VALU_DEP_2) | instskip(NEXT) | instid1(VALU_DEP_1)
	v_lshlrev_b64 v[32:33], v32, v[8:9]
	v_and_b32_e32 v32, 7, v32
; %bb.40:                               ;   in Loop: Header=BB369_11 Depth=1
	s_or_b32 exec_lo, exec_lo, s20
	v_lshlrev_b32_e32 v8, 8, v70
	v_lshl_add_u32 v33, v69, 10, 0x2000
	s_delay_alu instid0(VALU_DEP_1) | instskip(NEXT) | instid1(VALU_DEP_1)
	v_and_or_b32 v8, 0x8000, v8, v33
	v_lshl_or_b32 v8, v32, 7, v8
	s_delay_alu instid0(VALU_DEP_1)
	v_cvt_f32_f16_e32 v69, v8
.LBB369_41:                             ;   in Loop: Header=BB369_11 Depth=1
	s_or_b32 exec_lo, exec_lo, s19
.LBB369_42:                             ;   in Loop: Header=BB369_11 Depth=1
	s_delay_alu instid0(SALU_CYCLE_1)
	s_or_b32 exec_lo, exec_lo, s18
.LBB369_43:                             ;   in Loop: Header=BB369_11 Depth=1
	s_delay_alu instid0(SALU_CYCLE_1) | instskip(SKIP_3) | instid1(VALU_DEP_2)
	s_or_b32 exec_lo, exec_lo, s17
	v_and_b32_e32 v32, 0xff, v31
	v_mov_b32_e32 v8, v31
	s_mov_b32 s17, exec_lo
	v_cmpx_ne_u16_e32 0, v32
	s_cbranch_execz .LBB369_51
; %bb.44:                               ;   in Loop: Header=BB369_11 Depth=1
	v_bfrev_b32_e32 v68, 1
	s_mov_b32 s18, exec_lo
	v_cmpx_ne_u16_e32 0x80, v32
	s_cbranch_execz .LBB369_50
; %bb.45:                               ;   in Loop: Header=BB369_11 Depth=1
	v_and_b32_e32 v32, 0x7f, v31
	v_mov_b32_e32 v68, 0x7fc02000
	s_mov_b32 s19, exec_lo
	s_delay_alu instid0(VALU_DEP_2)
	v_cmpx_ne_u32_e32 0x7f, v32
	s_cbranch_execz .LBB369_49
; %bb.46:                               ;   in Loop: Header=BB369_11 Depth=1
	v_lshrrev_b32_e32 v68, 3, v32
	v_cmp_gt_u32_e64 s1, 8, v32
	v_dual_mov_b32 v33, v9 :: v_dual_mov_b32 v32, v8
	s_delay_alu instid0(VALU_DEP_2)
	s_and_saveexec_b32 s20, s1
; %bb.47:                               ;   in Loop: Header=BB369_11 Depth=1
	v_and_b32_e32 v32, 7, v31
	s_delay_alu instid0(VALU_DEP_1) | instskip(NEXT) | instid1(VALU_DEP_1)
	v_clz_i32_u32_e32 v32, v32
	v_min_u32_e32 v68, 32, v32
	s_delay_alu instid0(VALU_DEP_1) | instskip(SKIP_1) | instid1(VALU_DEP_2)
	v_subrev_nc_u32_e32 v32, 28, v68
	v_sub_nc_u32_e32 v68, 29, v68
	v_lshlrev_b64 v[32:33], v32, v[8:9]
; %bb.48:                               ;   in Loop: Header=BB369_11 Depth=1
	s_or_b32 exec_lo, exec_lo, s20
	v_lshlrev_b32_e32 v33, 8, v31
	s_delay_alu instid0(VALU_DEP_3) | instskip(NEXT) | instid1(VALU_DEP_3)
	v_lshl_add_u32 v68, v68, 10, 0x2000
	v_lshlrev_b32_e32 v32, 7, v32
	s_delay_alu instid0(VALU_DEP_2) | instskip(NEXT) | instid1(VALU_DEP_1)
	v_and_or_b32 v33, 0x8000, v33, v68
	v_and_or_b32 v32, 0x380, v32, v33
	s_delay_alu instid0(VALU_DEP_1)
	v_cvt_f32_f16_e32 v68, v32
.LBB369_49:                             ;   in Loop: Header=BB369_11 Depth=1
	s_or_b32 exec_lo, exec_lo, s19
.LBB369_50:                             ;   in Loop: Header=BB369_11 Depth=1
	s_delay_alu instid0(SALU_CYCLE_1)
	s_or_b32 exec_lo, exec_lo, s18
.LBB369_51:                             ;   in Loop: Header=BB369_11 Depth=1
	s_delay_alu instid0(SALU_CYCLE_1) | instskip(SKIP_3) | instid1(VALU_DEP_2)
	s_or_b32 exec_lo, exec_lo, s17
	v_lshrrev_b16 v8, 8, v8
	v_dual_mov_b32 v70, 0 :: v_dual_mov_b32 v71, 0
	s_mov_b32 s17, exec_lo
	v_cmpx_ne_u16_e32 0, v8
	s_cbranch_execz .LBB369_59
; %bb.52:                               ;   in Loop: Header=BB369_11 Depth=1
	v_bfrev_b32_e32 v71, 1
	s_mov_b32 s18, exec_lo
	v_cmpx_ne_u16_e32 0x80, v8
	s_cbranch_execz .LBB369_58
; %bb.53:                               ;   in Loop: Header=BB369_11 Depth=1
	v_and_b32_e32 v80, 0xffff, v8
	v_mov_b32_e32 v71, 0x7fc02000
	s_mov_b32 s19, exec_lo
	s_delay_alu instid0(VALU_DEP_2) | instskip(NEXT) | instid1(VALU_DEP_1)
	v_and_b32_e32 v32, 0x7f, v80
	v_cmpx_ne_u32_e32 0x7f, v32
	s_cbranch_execz .LBB369_57
; %bb.54:                               ;   in Loop: Header=BB369_11 Depth=1
	v_and_b32_e32 v8, 7, v80
	v_lshrrev_b32_e32 v71, 3, v32
	v_cmp_gt_u32_e64 s1, 8, v32
	s_delay_alu instid0(VALU_DEP_3) | instskip(NEXT) | instid1(VALU_DEP_2)
	v_dual_mov_b32 v33, v9 :: v_dual_mov_b32 v32, v8
	s_and_saveexec_b32 s20, s1
; %bb.55:                               ;   in Loop: Header=BB369_11 Depth=1
	v_clz_i32_u32_e32 v32, v8
	s_delay_alu instid0(VALU_DEP_1) | instskip(NEXT) | instid1(VALU_DEP_1)
	v_min_u32_e32 v71, 32, v32
	v_subrev_nc_u32_e32 v32, 28, v71
	v_sub_nc_u32_e32 v71, 29, v71
	s_delay_alu instid0(VALU_DEP_2) | instskip(NEXT) | instid1(VALU_DEP_1)
	v_lshlrev_b64 v[32:33], v32, v[8:9]
	v_and_b32_e32 v32, 7, v32
; %bb.56:                               ;   in Loop: Header=BB369_11 Depth=1
	s_or_b32 exec_lo, exec_lo, s20
	v_lshlrev_b32_e32 v8, 8, v80
	v_lshl_add_u32 v33, v71, 10, 0x2000
	s_delay_alu instid0(VALU_DEP_1) | instskip(NEXT) | instid1(VALU_DEP_1)
	v_and_or_b32 v8, 0x8000, v8, v33
	v_lshl_or_b32 v8, v32, 7, v8
	s_delay_alu instid0(VALU_DEP_1)
	v_cvt_f32_f16_e32 v71, v8
.LBB369_57:                             ;   in Loop: Header=BB369_11 Depth=1
	s_or_b32 exec_lo, exec_lo, s19
.LBB369_58:                             ;   in Loop: Header=BB369_11 Depth=1
	s_delay_alu instid0(SALU_CYCLE_1)
	s_or_b32 exec_lo, exec_lo, s18
.LBB369_59:                             ;   in Loop: Header=BB369_11 Depth=1
	s_delay_alu instid0(SALU_CYCLE_1) | instskip(SKIP_2) | instid1(VALU_DEP_1)
	s_or_b32 exec_lo, exec_lo, s17
	v_lshrrev_b32_e32 v80, 16, v31
	s_mov_b32 s17, exec_lo
	v_and_b32_e32 v8, 0xff, v80
	s_delay_alu instid0(VALU_DEP_1)
	v_cmpx_ne_u16_e32 0, v8
	s_cbranch_execz .LBB369_67
; %bb.60:                               ;   in Loop: Header=BB369_11 Depth=1
	v_bfrev_b32_e32 v70, 1
	s_mov_b32 s18, exec_lo
	v_cmpx_ne_u16_e32 0x80, v8
	s_cbranch_execz .LBB369_66
; %bb.61:                               ;   in Loop: Header=BB369_11 Depth=1
	v_bfe_u32 v32, v31, 16, 7
	v_mov_b32_e32 v70, 0x7fc02000
	s_mov_b32 s19, exec_lo
	s_delay_alu instid0(VALU_DEP_2)
	v_cmpx_ne_u32_e32 0x7f, v32
	s_cbranch_execz .LBB369_65
; %bb.62:                               ;   in Loop: Header=BB369_11 Depth=1
	v_and_b32_e32 v8, 7, v80
	v_lshrrev_b32_e32 v70, 3, v32
	v_cmp_gt_u32_e64 s1, 8, v32
	s_delay_alu instid0(VALU_DEP_3) | instskip(NEXT) | instid1(VALU_DEP_2)
	v_dual_mov_b32 v33, v9 :: v_dual_mov_b32 v32, v8
	s_and_saveexec_b32 s20, s1
; %bb.63:                               ;   in Loop: Header=BB369_11 Depth=1
	v_clz_i32_u32_e32 v32, v8
	s_delay_alu instid0(VALU_DEP_1) | instskip(NEXT) | instid1(VALU_DEP_1)
	v_min_u32_e32 v70, 32, v32
	v_subrev_nc_u32_e32 v32, 28, v70
	v_sub_nc_u32_e32 v70, 29, v70
	s_delay_alu instid0(VALU_DEP_2) | instskip(NEXT) | instid1(VALU_DEP_1)
	v_lshlrev_b64 v[32:33], v32, v[8:9]
	v_and_b32_e32 v32, 7, v32
; %bb.64:                               ;   in Loop: Header=BB369_11 Depth=1
	s_or_b32 exec_lo, exec_lo, s20
	v_lshlrev_b32_e32 v8, 8, v80
	v_lshl_add_u32 v33, v70, 10, 0x2000
	s_delay_alu instid0(VALU_DEP_1) | instskip(NEXT) | instid1(VALU_DEP_1)
	v_and_or_b32 v8, 0x8000, v8, v33
	v_lshl_or_b32 v8, v32, 7, v8
	s_delay_alu instid0(VALU_DEP_1)
	v_cvt_f32_f16_e32 v70, v8
.LBB369_65:                             ;   in Loop: Header=BB369_11 Depth=1
	s_or_b32 exec_lo, exec_lo, s19
.LBB369_66:                             ;   in Loop: Header=BB369_11 Depth=1
	s_delay_alu instid0(SALU_CYCLE_1)
	s_or_b32 exec_lo, exec_lo, s18
.LBB369_67:                             ;   in Loop: Header=BB369_11 Depth=1
	s_delay_alu instid0(SALU_CYCLE_1)
	s_or_b32 exec_lo, exec_lo, s17
	v_dual_mov_b32 v81, 0 :: v_dual_mov_b32 v80, 0
	s_mov_b32 s17, exec_lo
	v_cmpx_lt_u64_e64 s[2:3], v[30:31]
	s_cbranch_execz .LBB369_75
; %bb.68:                               ;   in Loop: Header=BB369_11 Depth=1
	v_lshrrev_b32_e32 v32, 24, v31
	v_bfrev_b32_e32 v80, 1
	s_mov_b32 s18, exec_lo
	s_delay_alu instid0(VALU_DEP_2)
	v_cmpx_ne_u32_e32 0x80, v32
	s_cbranch_execz .LBB369_74
; %bb.69:                               ;   in Loop: Header=BB369_11 Depth=1
	v_and_b32_e32 v30, 0x7f, v32
	v_mov_b32_e32 v80, 0x7fc02000
	s_mov_b32 s19, exec_lo
	s_delay_alu instid0(VALU_DEP_2)
	v_cmpx_ne_u32_e32 0x7f, v30
	s_cbranch_execz .LBB369_73
; %bb.70:                               ;   in Loop: Header=BB369_11 Depth=1
	v_and_b32_e32 v8, 7, v32
	v_lshrrev_b32_e32 v33, 3, v30
	v_cmp_gt_u32_e64 s1, 8, v30
	s_delay_alu instid0(VALU_DEP_3) | instskip(NEXT) | instid1(VALU_DEP_2)
	v_dual_mov_b32 v31, v9 :: v_dual_mov_b32 v30, v8
	s_and_saveexec_b32 s20, s1
; %bb.71:                               ;   in Loop: Header=BB369_11 Depth=1
	v_clz_i32_u32_e32 v30, v8
	s_delay_alu instid0(VALU_DEP_1) | instskip(NEXT) | instid1(VALU_DEP_1)
	v_min_u32_e32 v33, 32, v30
	v_subrev_nc_u32_e32 v30, 28, v33
	v_sub_nc_u32_e32 v33, 29, v33
	s_delay_alu instid0(VALU_DEP_2) | instskip(NEXT) | instid1(VALU_DEP_1)
	v_lshlrev_b64 v[30:31], v30, v[8:9]
	v_and_b32_e32 v30, 7, v30
; %bb.72:                               ;   in Loop: Header=BB369_11 Depth=1
	s_or_b32 exec_lo, exec_lo, s20
	v_lshlrev_b32_e32 v8, 8, v32
	v_lshl_add_u32 v31, v33, 10, 0x2000
	s_delay_alu instid0(VALU_DEP_1) | instskip(NEXT) | instid1(VALU_DEP_1)
	v_and_or_b32 v8, 0x8000, v8, v31
	v_lshl_or_b32 v8, v30, 7, v8
	s_delay_alu instid0(VALU_DEP_1)
	v_cvt_f32_f16_e32 v80, v8
.LBB369_73:                             ;   in Loop: Header=BB369_11 Depth=1
	s_or_b32 exec_lo, exec_lo, s19
.LBB369_74:                             ;   in Loop: Header=BB369_11 Depth=1
	s_delay_alu instid0(SALU_CYCLE_1)
	s_or_b32 exec_lo, exec_lo, s18
.LBB369_75:                             ;   in Loop: Header=BB369_11 Depth=1
	s_delay_alu instid0(SALU_CYCLE_1) | instskip(SKIP_4) | instid1(VALU_DEP_1)
	s_or_b32 exec_lo, exec_lo, s17
	flat_load_b64 v[30:31], v[28:29] offset:8
	s_mov_b32 s17, exec_lo
	s_waitcnt vmcnt(0) lgkmcnt(0)
	v_and_b32_e32 v8, 0xff, v30
	v_cmpx_ne_u16_e32 0, v8
	s_cbranch_execz .LBB369_83
; %bb.76:                               ;   in Loop: Header=BB369_11 Depth=1
	v_bfrev_b32_e32 v81, 1
	s_mov_b32 s18, exec_lo
	v_cmpx_ne_u16_e32 0x80, v8
	s_cbranch_execz .LBB369_82
; %bb.77:                               ;   in Loop: Header=BB369_11 Depth=1
	v_and_b32_e32 v32, 0x7f, v30
	v_mov_b32_e32 v81, 0x7fc02000
	s_mov_b32 s19, exec_lo
	s_delay_alu instid0(VALU_DEP_2)
	v_cmpx_ne_u32_e32 0x7f, v32
	s_cbranch_execz .LBB369_81
; %bb.78:                               ;   in Loop: Header=BB369_11 Depth=1
	v_lshrrev_b32_e32 v8, 3, v32
	v_cmp_gt_u32_e64 s1, 8, v32
	v_dual_mov_b32 v33, v31 :: v_dual_mov_b32 v32, v30
	s_delay_alu instid0(VALU_DEP_2)
	s_and_saveexec_b32 s20, s1
; %bb.79:                               ;   in Loop: Header=BB369_11 Depth=1
	v_and_b32_e32 v8, 7, v30
	s_delay_alu instid0(VALU_DEP_1) | instskip(NEXT) | instid1(VALU_DEP_1)
	v_clz_i32_u32_e32 v8, v8
	v_min_u32_e32 v8, 32, v8
	s_delay_alu instid0(VALU_DEP_1) | instskip(SKIP_1) | instid1(VALU_DEP_2)
	v_subrev_nc_u32_e32 v32, 28, v8
	v_sub_nc_u32_e32 v8, 29, v8
	v_lshlrev_b64 v[32:33], v32, v[30:31]
; %bb.80:                               ;   in Loop: Header=BB369_11 Depth=1
	s_or_b32 exec_lo, exec_lo, s20
	v_lshlrev_b32_e32 v33, 8, v30
	s_delay_alu instid0(VALU_DEP_3) | instskip(NEXT) | instid1(VALU_DEP_3)
	v_lshl_add_u32 v8, v8, 10, 0x2000
	v_lshlrev_b32_e32 v32, 7, v32
	s_delay_alu instid0(VALU_DEP_2) | instskip(NEXT) | instid1(VALU_DEP_1)
	v_and_or_b32 v8, 0x8000, v33, v8
	v_and_or_b32 v8, 0x380, v32, v8
	s_delay_alu instid0(VALU_DEP_1)
	v_cvt_f32_f16_e32 v81, v8
.LBB369_81:                             ;   in Loop: Header=BB369_11 Depth=1
	s_or_b32 exec_lo, exec_lo, s19
.LBB369_82:                             ;   in Loop: Header=BB369_11 Depth=1
	s_delay_alu instid0(SALU_CYCLE_1)
	s_or_b32 exec_lo, exec_lo, s18
.LBB369_83:                             ;   in Loop: Header=BB369_11 Depth=1
	s_delay_alu instid0(SALU_CYCLE_1) | instskip(SKIP_3) | instid1(VALU_DEP_2)
	s_or_b32 exec_lo, exec_lo, s17
	v_lshrrev_b16 v8, 8, v30
	v_dual_mov_b32 v82, 0 :: v_dual_mov_b32 v83, 0
	s_mov_b32 s17, exec_lo
	v_cmpx_ne_u16_e32 0, v8
	s_cbranch_execz .LBB369_91
; %bb.84:                               ;   in Loop: Header=BB369_11 Depth=1
	v_bfrev_b32_e32 v83, 1
	s_mov_b32 s18, exec_lo
	v_cmpx_ne_u16_e32 0x80, v8
	s_cbranch_execz .LBB369_90
; %bb.85:                               ;   in Loop: Header=BB369_11 Depth=1
	v_and_b32_e32 v84, 0xffff, v8
	v_mov_b32_e32 v83, 0x7fc02000
	s_mov_b32 s19, exec_lo
	s_delay_alu instid0(VALU_DEP_2) | instskip(NEXT) | instid1(VALU_DEP_1)
	v_and_b32_e32 v32, 0x7f, v84
	v_cmpx_ne_u32_e32 0x7f, v32
	s_cbranch_execz .LBB369_89
; %bb.86:                               ;   in Loop: Header=BB369_11 Depth=1
	v_and_b32_e32 v8, 7, v84
	v_lshrrev_b32_e32 v83, 3, v32
	v_cmp_gt_u32_e64 s1, 8, v32
	s_delay_alu instid0(VALU_DEP_3) | instskip(NEXT) | instid1(VALU_DEP_2)
	v_dual_mov_b32 v33, v9 :: v_dual_mov_b32 v32, v8
	s_and_saveexec_b32 s20, s1
; %bb.87:                               ;   in Loop: Header=BB369_11 Depth=1
	v_clz_i32_u32_e32 v32, v8
	s_delay_alu instid0(VALU_DEP_1) | instskip(NEXT) | instid1(VALU_DEP_1)
	v_min_u32_e32 v83, 32, v32
	v_subrev_nc_u32_e32 v32, 28, v83
	v_sub_nc_u32_e32 v83, 29, v83
	s_delay_alu instid0(VALU_DEP_2) | instskip(NEXT) | instid1(VALU_DEP_1)
	v_lshlrev_b64 v[32:33], v32, v[8:9]
	v_and_b32_e32 v32, 7, v32
; %bb.88:                               ;   in Loop: Header=BB369_11 Depth=1
	s_or_b32 exec_lo, exec_lo, s20
	v_lshlrev_b32_e32 v8, 8, v84
	v_lshl_add_u32 v33, v83, 10, 0x2000
	s_delay_alu instid0(VALU_DEP_1) | instskip(NEXT) | instid1(VALU_DEP_1)
	v_and_or_b32 v8, 0x8000, v8, v33
	v_lshl_or_b32 v8, v32, 7, v8
	s_delay_alu instid0(VALU_DEP_1)
	v_cvt_f32_f16_e32 v83, v8
.LBB369_89:                             ;   in Loop: Header=BB369_11 Depth=1
	s_or_b32 exec_lo, exec_lo, s19
.LBB369_90:                             ;   in Loop: Header=BB369_11 Depth=1
	s_delay_alu instid0(SALU_CYCLE_1)
	s_or_b32 exec_lo, exec_lo, s18
.LBB369_91:                             ;   in Loop: Header=BB369_11 Depth=1
	s_delay_alu instid0(SALU_CYCLE_1) | instskip(SKIP_2) | instid1(VALU_DEP_1)
	s_or_b32 exec_lo, exec_lo, s17
	v_lshrrev_b32_e32 v84, 16, v30
	s_mov_b32 s17, exec_lo
	v_and_b32_e32 v8, 0xff, v84
	s_delay_alu instid0(VALU_DEP_1)
	v_cmpx_ne_u16_e32 0, v8
	s_cbranch_execz .LBB369_99
; %bb.92:                               ;   in Loop: Header=BB369_11 Depth=1
	v_bfrev_b32_e32 v82, 1
	s_mov_b32 s18, exec_lo
	v_cmpx_ne_u16_e32 0x80, v8
	s_cbranch_execz .LBB369_98
; %bb.93:                               ;   in Loop: Header=BB369_11 Depth=1
	v_bfe_u32 v32, v30, 16, 7
	v_mov_b32_e32 v82, 0x7fc02000
	s_mov_b32 s19, exec_lo
	s_delay_alu instid0(VALU_DEP_2)
	v_cmpx_ne_u32_e32 0x7f, v32
	s_cbranch_execz .LBB369_97
; %bb.94:                               ;   in Loop: Header=BB369_11 Depth=1
	v_and_b32_e32 v8, 7, v84
	v_lshrrev_b32_e32 v82, 3, v32
	v_cmp_gt_u32_e64 s1, 8, v32
	s_delay_alu instid0(VALU_DEP_3) | instskip(NEXT) | instid1(VALU_DEP_2)
	v_dual_mov_b32 v33, v9 :: v_dual_mov_b32 v32, v8
	s_and_saveexec_b32 s20, s1
; %bb.95:                               ;   in Loop: Header=BB369_11 Depth=1
	v_clz_i32_u32_e32 v32, v8
	s_delay_alu instid0(VALU_DEP_1) | instskip(NEXT) | instid1(VALU_DEP_1)
	v_min_u32_e32 v82, 32, v32
	v_subrev_nc_u32_e32 v32, 28, v82
	v_sub_nc_u32_e32 v82, 29, v82
	s_delay_alu instid0(VALU_DEP_2) | instskip(NEXT) | instid1(VALU_DEP_1)
	v_lshlrev_b64 v[32:33], v32, v[8:9]
	v_and_b32_e32 v32, 7, v32
; %bb.96:                               ;   in Loop: Header=BB369_11 Depth=1
	s_or_b32 exec_lo, exec_lo, s20
	v_lshlrev_b32_e32 v8, 8, v84
	v_lshl_add_u32 v33, v82, 10, 0x2000
	s_delay_alu instid0(VALU_DEP_1) | instskip(NEXT) | instid1(VALU_DEP_1)
	v_and_or_b32 v8, 0x8000, v8, v33
	v_lshl_or_b32 v8, v32, 7, v8
	s_delay_alu instid0(VALU_DEP_1)
	v_cvt_f32_f16_e32 v82, v8
.LBB369_97:                             ;   in Loop: Header=BB369_11 Depth=1
	s_or_b32 exec_lo, exec_lo, s19
.LBB369_98:                             ;   in Loop: Header=BB369_11 Depth=1
	s_delay_alu instid0(SALU_CYCLE_1)
	s_or_b32 exec_lo, exec_lo, s18
.LBB369_99:                             ;   in Loop: Header=BB369_11 Depth=1
	s_delay_alu instid0(SALU_CYCLE_1)
	s_or_b32 exec_lo, exec_lo, s17
	v_dual_mov_b32 v84, 0 :: v_dual_mov_b32 v85, 0
	s_mov_b32 s17, exec_lo
	v_cmpx_lt_u32_e32 0xffffff, v30
	s_cbranch_execz .LBB369_107
; %bb.100:                              ;   in Loop: Header=BB369_11 Depth=1
	v_lshrrev_b32_e32 v86, 24, v30
	v_bfrev_b32_e32 v85, 1
	s_mov_b32 s18, exec_lo
	s_delay_alu instid0(VALU_DEP_2)
	v_cmpx_ne_u32_e32 0x80, v86
	s_cbranch_execz .LBB369_106
; %bb.101:                              ;   in Loop: Header=BB369_11 Depth=1
	v_and_b32_e32 v32, 0x7f, v86
	v_mov_b32_e32 v85, 0x7fc02000
	s_mov_b32 s19, exec_lo
	s_delay_alu instid0(VALU_DEP_2)
	v_cmpx_ne_u32_e32 0x7f, v32
	s_cbranch_execz .LBB369_105
; %bb.102:                              ;   in Loop: Header=BB369_11 Depth=1
	v_and_b32_e32 v8, 7, v86
	v_lshrrev_b32_e32 v85, 3, v32
	v_cmp_gt_u32_e64 s1, 8, v32
	s_delay_alu instid0(VALU_DEP_3) | instskip(NEXT) | instid1(VALU_DEP_2)
	v_dual_mov_b32 v33, v9 :: v_dual_mov_b32 v32, v8
	s_and_saveexec_b32 s20, s1
; %bb.103:                              ;   in Loop: Header=BB369_11 Depth=1
	v_clz_i32_u32_e32 v32, v8
	s_delay_alu instid0(VALU_DEP_1) | instskip(NEXT) | instid1(VALU_DEP_1)
	v_min_u32_e32 v85, 32, v32
	v_subrev_nc_u32_e32 v32, 28, v85
	v_sub_nc_u32_e32 v85, 29, v85
	s_delay_alu instid0(VALU_DEP_2) | instskip(NEXT) | instid1(VALU_DEP_1)
	v_lshlrev_b64 v[32:33], v32, v[8:9]
	v_and_b32_e32 v32, 7, v32
; %bb.104:                              ;   in Loop: Header=BB369_11 Depth=1
	s_or_b32 exec_lo, exec_lo, s20
	v_lshlrev_b32_e32 v8, 8, v86
	v_lshl_add_u32 v33, v85, 10, 0x2000
	s_delay_alu instid0(VALU_DEP_1) | instskip(NEXT) | instid1(VALU_DEP_1)
	v_and_or_b32 v8, 0x8000, v8, v33
	v_lshl_or_b32 v8, v32, 7, v8
	s_delay_alu instid0(VALU_DEP_1)
	v_cvt_f32_f16_e32 v85, v8
.LBB369_105:                            ;   in Loop: Header=BB369_11 Depth=1
	s_or_b32 exec_lo, exec_lo, s19
.LBB369_106:                            ;   in Loop: Header=BB369_11 Depth=1
	s_delay_alu instid0(SALU_CYCLE_1)
	s_or_b32 exec_lo, exec_lo, s18
.LBB369_107:                            ;   in Loop: Header=BB369_11 Depth=1
	s_delay_alu instid0(SALU_CYCLE_1) | instskip(SKIP_3) | instid1(VALU_DEP_2)
	s_or_b32 exec_lo, exec_lo, s17
	v_and_b32_e32 v32, 0xff, v31
	v_mov_b32_e32 v8, v31
	s_mov_b32 s17, exec_lo
	v_cmpx_ne_u16_e32 0, v32
	s_cbranch_execz .LBB369_115
; %bb.108:                              ;   in Loop: Header=BB369_11 Depth=1
	v_bfrev_b32_e32 v84, 1
	s_mov_b32 s18, exec_lo
	v_cmpx_ne_u16_e32 0x80, v32
	s_cbranch_execz .LBB369_114
; %bb.109:                              ;   in Loop: Header=BB369_11 Depth=1
	v_and_b32_e32 v32, 0x7f, v31
	v_mov_b32_e32 v84, 0x7fc02000
	s_mov_b32 s19, exec_lo
	s_delay_alu instid0(VALU_DEP_2)
	v_cmpx_ne_u32_e32 0x7f, v32
	s_cbranch_execz .LBB369_113
; %bb.110:                              ;   in Loop: Header=BB369_11 Depth=1
	v_lshrrev_b32_e32 v84, 3, v32
	v_cmp_gt_u32_e64 s1, 8, v32
	v_dual_mov_b32 v33, v9 :: v_dual_mov_b32 v32, v8
	s_delay_alu instid0(VALU_DEP_2)
	s_and_saveexec_b32 s20, s1
; %bb.111:                              ;   in Loop: Header=BB369_11 Depth=1
	v_and_b32_e32 v32, 7, v31
	s_delay_alu instid0(VALU_DEP_1) | instskip(NEXT) | instid1(VALU_DEP_1)
	v_clz_i32_u32_e32 v32, v32
	v_min_u32_e32 v84, 32, v32
	s_delay_alu instid0(VALU_DEP_1) | instskip(SKIP_1) | instid1(VALU_DEP_2)
	v_subrev_nc_u32_e32 v32, 28, v84
	v_sub_nc_u32_e32 v84, 29, v84
	v_lshlrev_b64 v[32:33], v32, v[8:9]
; %bb.112:                              ;   in Loop: Header=BB369_11 Depth=1
	s_or_b32 exec_lo, exec_lo, s20
	v_lshlrev_b32_e32 v33, 8, v31
	s_delay_alu instid0(VALU_DEP_3) | instskip(NEXT) | instid1(VALU_DEP_3)
	v_lshl_add_u32 v84, v84, 10, 0x2000
	v_lshlrev_b32_e32 v32, 7, v32
	s_delay_alu instid0(VALU_DEP_2) | instskip(NEXT) | instid1(VALU_DEP_1)
	v_and_or_b32 v33, 0x8000, v33, v84
	v_and_or_b32 v32, 0x380, v32, v33
	s_delay_alu instid0(VALU_DEP_1)
	v_cvt_f32_f16_e32 v84, v32
.LBB369_113:                            ;   in Loop: Header=BB369_11 Depth=1
	s_or_b32 exec_lo, exec_lo, s19
.LBB369_114:                            ;   in Loop: Header=BB369_11 Depth=1
	s_delay_alu instid0(SALU_CYCLE_1)
	s_or_b32 exec_lo, exec_lo, s18
.LBB369_115:                            ;   in Loop: Header=BB369_11 Depth=1
	s_delay_alu instid0(SALU_CYCLE_1) | instskip(SKIP_3) | instid1(VALU_DEP_2)
	s_or_b32 exec_lo, exec_lo, s17
	v_lshrrev_b16 v8, 8, v8
	v_dual_mov_b32 v86, 0 :: v_dual_mov_b32 v87, 0
	s_mov_b32 s17, exec_lo
	v_cmpx_ne_u16_e32 0, v8
	s_cbranch_execz .LBB369_123
; %bb.116:                              ;   in Loop: Header=BB369_11 Depth=1
	v_bfrev_b32_e32 v87, 1
	s_mov_b32 s18, exec_lo
	v_cmpx_ne_u16_e32 0x80, v8
	s_cbranch_execz .LBB369_122
; %bb.117:                              ;   in Loop: Header=BB369_11 Depth=1
	v_and_b32_e32 v96, 0xffff, v8
	v_mov_b32_e32 v87, 0x7fc02000
	s_mov_b32 s19, exec_lo
	s_delay_alu instid0(VALU_DEP_2) | instskip(NEXT) | instid1(VALU_DEP_1)
	v_and_b32_e32 v32, 0x7f, v96
	v_cmpx_ne_u32_e32 0x7f, v32
	s_cbranch_execz .LBB369_121
; %bb.118:                              ;   in Loop: Header=BB369_11 Depth=1
	v_and_b32_e32 v8, 7, v96
	v_lshrrev_b32_e32 v87, 3, v32
	v_cmp_gt_u32_e64 s1, 8, v32
	s_delay_alu instid0(VALU_DEP_3) | instskip(NEXT) | instid1(VALU_DEP_2)
	v_dual_mov_b32 v33, v9 :: v_dual_mov_b32 v32, v8
	s_and_saveexec_b32 s20, s1
; %bb.119:                              ;   in Loop: Header=BB369_11 Depth=1
	v_clz_i32_u32_e32 v32, v8
	s_delay_alu instid0(VALU_DEP_1) | instskip(NEXT) | instid1(VALU_DEP_1)
	v_min_u32_e32 v87, 32, v32
	v_subrev_nc_u32_e32 v32, 28, v87
	v_sub_nc_u32_e32 v87, 29, v87
	s_delay_alu instid0(VALU_DEP_2) | instskip(NEXT) | instid1(VALU_DEP_1)
	v_lshlrev_b64 v[32:33], v32, v[8:9]
	v_and_b32_e32 v32, 7, v32
; %bb.120:                              ;   in Loop: Header=BB369_11 Depth=1
	s_or_b32 exec_lo, exec_lo, s20
	v_lshlrev_b32_e32 v8, 8, v96
	v_lshl_add_u32 v33, v87, 10, 0x2000
	s_delay_alu instid0(VALU_DEP_1) | instskip(NEXT) | instid1(VALU_DEP_1)
	v_and_or_b32 v8, 0x8000, v8, v33
	v_lshl_or_b32 v8, v32, 7, v8
	s_delay_alu instid0(VALU_DEP_1)
	v_cvt_f32_f16_e32 v87, v8
.LBB369_121:                            ;   in Loop: Header=BB369_11 Depth=1
	s_or_b32 exec_lo, exec_lo, s19
.LBB369_122:                            ;   in Loop: Header=BB369_11 Depth=1
	s_delay_alu instid0(SALU_CYCLE_1)
	s_or_b32 exec_lo, exec_lo, s18
.LBB369_123:                            ;   in Loop: Header=BB369_11 Depth=1
	s_delay_alu instid0(SALU_CYCLE_1) | instskip(SKIP_2) | instid1(VALU_DEP_1)
	s_or_b32 exec_lo, exec_lo, s17
	v_lshrrev_b32_e32 v96, 16, v31
	s_mov_b32 s17, exec_lo
	v_and_b32_e32 v8, 0xff, v96
	s_delay_alu instid0(VALU_DEP_1)
	v_cmpx_ne_u16_e32 0, v8
	s_cbranch_execz .LBB369_131
; %bb.124:                              ;   in Loop: Header=BB369_11 Depth=1
	v_bfrev_b32_e32 v86, 1
	s_mov_b32 s18, exec_lo
	v_cmpx_ne_u16_e32 0x80, v8
	s_cbranch_execz .LBB369_130
; %bb.125:                              ;   in Loop: Header=BB369_11 Depth=1
	v_bfe_u32 v32, v31, 16, 7
	v_mov_b32_e32 v86, 0x7fc02000
	s_mov_b32 s19, exec_lo
	s_delay_alu instid0(VALU_DEP_2)
	v_cmpx_ne_u32_e32 0x7f, v32
	s_cbranch_execz .LBB369_129
; %bb.126:                              ;   in Loop: Header=BB369_11 Depth=1
	v_and_b32_e32 v8, 7, v96
	v_lshrrev_b32_e32 v86, 3, v32
	v_cmp_gt_u32_e64 s1, 8, v32
	s_delay_alu instid0(VALU_DEP_3) | instskip(NEXT) | instid1(VALU_DEP_2)
	v_dual_mov_b32 v33, v9 :: v_dual_mov_b32 v32, v8
	s_and_saveexec_b32 s20, s1
; %bb.127:                              ;   in Loop: Header=BB369_11 Depth=1
	v_clz_i32_u32_e32 v32, v8
	s_delay_alu instid0(VALU_DEP_1) | instskip(NEXT) | instid1(VALU_DEP_1)
	v_min_u32_e32 v86, 32, v32
	v_subrev_nc_u32_e32 v32, 28, v86
	v_sub_nc_u32_e32 v86, 29, v86
	s_delay_alu instid0(VALU_DEP_2) | instskip(NEXT) | instid1(VALU_DEP_1)
	v_lshlrev_b64 v[32:33], v32, v[8:9]
	v_and_b32_e32 v32, 7, v32
; %bb.128:                              ;   in Loop: Header=BB369_11 Depth=1
	s_or_b32 exec_lo, exec_lo, s20
	v_lshlrev_b32_e32 v8, 8, v96
	v_lshl_add_u32 v33, v86, 10, 0x2000
	s_delay_alu instid0(VALU_DEP_1) | instskip(NEXT) | instid1(VALU_DEP_1)
	v_and_or_b32 v8, 0x8000, v8, v33
	v_lshl_or_b32 v8, v32, 7, v8
	s_delay_alu instid0(VALU_DEP_1)
	v_cvt_f32_f16_e32 v86, v8
.LBB369_129:                            ;   in Loop: Header=BB369_11 Depth=1
	s_or_b32 exec_lo, exec_lo, s19
.LBB369_130:                            ;   in Loop: Header=BB369_11 Depth=1
	s_delay_alu instid0(SALU_CYCLE_1)
	s_or_b32 exec_lo, exec_lo, s18
.LBB369_131:                            ;   in Loop: Header=BB369_11 Depth=1
	s_delay_alu instid0(SALU_CYCLE_1)
	s_or_b32 exec_lo, exec_lo, s17
	v_dual_mov_b32 v97, 0 :: v_dual_mov_b32 v96, 0
	s_mov_b32 s17, exec_lo
	v_cmpx_lt_u64_e64 s[2:3], v[30:31]
	s_cbranch_execz .LBB369_139
; %bb.132:                              ;   in Loop: Header=BB369_11 Depth=1
	v_lshrrev_b32_e32 v32, 24, v31
	v_bfrev_b32_e32 v96, 1
	s_mov_b32 s18, exec_lo
	s_delay_alu instid0(VALU_DEP_2)
	v_cmpx_ne_u32_e32 0x80, v32
	s_cbranch_execz .LBB369_138
; %bb.133:                              ;   in Loop: Header=BB369_11 Depth=1
	v_and_b32_e32 v30, 0x7f, v32
	v_mov_b32_e32 v96, 0x7fc02000
	s_mov_b32 s19, exec_lo
	s_delay_alu instid0(VALU_DEP_2)
	v_cmpx_ne_u32_e32 0x7f, v30
	s_cbranch_execz .LBB369_137
; %bb.134:                              ;   in Loop: Header=BB369_11 Depth=1
	v_and_b32_e32 v8, 7, v32
	v_lshrrev_b32_e32 v33, 3, v30
	v_cmp_gt_u32_e64 s1, 8, v30
	s_delay_alu instid0(VALU_DEP_3) | instskip(NEXT) | instid1(VALU_DEP_2)
	v_dual_mov_b32 v31, v9 :: v_dual_mov_b32 v30, v8
	s_and_saveexec_b32 s20, s1
; %bb.135:                              ;   in Loop: Header=BB369_11 Depth=1
	v_clz_i32_u32_e32 v30, v8
	s_delay_alu instid0(VALU_DEP_1) | instskip(NEXT) | instid1(VALU_DEP_1)
	v_min_u32_e32 v33, 32, v30
	v_subrev_nc_u32_e32 v30, 28, v33
	v_sub_nc_u32_e32 v33, 29, v33
	s_delay_alu instid0(VALU_DEP_2) | instskip(NEXT) | instid1(VALU_DEP_1)
	v_lshlrev_b64 v[30:31], v30, v[8:9]
	v_and_b32_e32 v30, 7, v30
; %bb.136:                              ;   in Loop: Header=BB369_11 Depth=1
	s_or_b32 exec_lo, exec_lo, s20
	v_lshlrev_b32_e32 v8, 8, v32
	v_lshl_add_u32 v31, v33, 10, 0x2000
	s_delay_alu instid0(VALU_DEP_1) | instskip(NEXT) | instid1(VALU_DEP_1)
	v_and_or_b32 v8, 0x8000, v8, v31
	v_lshl_or_b32 v8, v30, 7, v8
	s_delay_alu instid0(VALU_DEP_1)
	v_cvt_f32_f16_e32 v96, v8
.LBB369_137:                            ;   in Loop: Header=BB369_11 Depth=1
	s_or_b32 exec_lo, exec_lo, s19
.LBB369_138:                            ;   in Loop: Header=BB369_11 Depth=1
	s_delay_alu instid0(SALU_CYCLE_1)
	s_or_b32 exec_lo, exec_lo, s18
.LBB369_139:                            ;   in Loop: Header=BB369_11 Depth=1
	s_delay_alu instid0(SALU_CYCLE_1) | instskip(SKIP_4) | instid1(VALU_DEP_1)
	s_or_b32 exec_lo, exec_lo, s17
	flat_load_b64 v[30:31], v[28:29] offset:512
	s_mov_b32 s17, exec_lo
	s_waitcnt vmcnt(0) lgkmcnt(0)
	v_and_b32_e32 v8, 0xff, v30
	v_cmpx_ne_u16_e32 0, v8
	s_cbranch_execz .LBB369_147
; %bb.140:                              ;   in Loop: Header=BB369_11 Depth=1
	v_bfrev_b32_e32 v97, 1
	s_mov_b32 s18, exec_lo
	v_cmpx_ne_u16_e32 0x80, v8
	s_cbranch_execz .LBB369_146
; %bb.141:                              ;   in Loop: Header=BB369_11 Depth=1
	v_and_b32_e32 v32, 0x7f, v30
	v_mov_b32_e32 v97, 0x7fc02000
	s_mov_b32 s19, exec_lo
	s_delay_alu instid0(VALU_DEP_2)
	v_cmpx_ne_u32_e32 0x7f, v32
	s_cbranch_execz .LBB369_145
; %bb.142:                              ;   in Loop: Header=BB369_11 Depth=1
	v_lshrrev_b32_e32 v8, 3, v32
	v_cmp_gt_u32_e64 s1, 8, v32
	v_dual_mov_b32 v33, v31 :: v_dual_mov_b32 v32, v30
	s_delay_alu instid0(VALU_DEP_2)
	s_and_saveexec_b32 s20, s1
; %bb.143:                              ;   in Loop: Header=BB369_11 Depth=1
	v_and_b32_e32 v8, 7, v30
	s_delay_alu instid0(VALU_DEP_1) | instskip(NEXT) | instid1(VALU_DEP_1)
	v_clz_i32_u32_e32 v8, v8
	v_min_u32_e32 v8, 32, v8
	s_delay_alu instid0(VALU_DEP_1) | instskip(SKIP_1) | instid1(VALU_DEP_2)
	v_subrev_nc_u32_e32 v32, 28, v8
	v_sub_nc_u32_e32 v8, 29, v8
	v_lshlrev_b64 v[32:33], v32, v[30:31]
; %bb.144:                              ;   in Loop: Header=BB369_11 Depth=1
	s_or_b32 exec_lo, exec_lo, s20
	v_lshlrev_b32_e32 v33, 8, v30
	s_delay_alu instid0(VALU_DEP_3) | instskip(NEXT) | instid1(VALU_DEP_3)
	v_lshl_add_u32 v8, v8, 10, 0x2000
	v_lshlrev_b32_e32 v32, 7, v32
	s_delay_alu instid0(VALU_DEP_2) | instskip(NEXT) | instid1(VALU_DEP_1)
	v_and_or_b32 v8, 0x8000, v33, v8
	v_and_or_b32 v8, 0x380, v32, v8
	s_delay_alu instid0(VALU_DEP_1)
	v_cvt_f32_f16_e32 v97, v8
.LBB369_145:                            ;   in Loop: Header=BB369_11 Depth=1
	s_or_b32 exec_lo, exec_lo, s19
.LBB369_146:                            ;   in Loop: Header=BB369_11 Depth=1
	s_delay_alu instid0(SALU_CYCLE_1)
	s_or_b32 exec_lo, exec_lo, s18
.LBB369_147:                            ;   in Loop: Header=BB369_11 Depth=1
	s_delay_alu instid0(SALU_CYCLE_1) | instskip(SKIP_3) | instid1(VALU_DEP_2)
	s_or_b32 exec_lo, exec_lo, s17
	v_lshrrev_b16 v8, 8, v30
	v_dual_mov_b32 v98, 0 :: v_dual_mov_b32 v99, 0
	s_mov_b32 s17, exec_lo
	v_cmpx_ne_u16_e32 0, v8
	s_cbranch_execz .LBB369_155
; %bb.148:                              ;   in Loop: Header=BB369_11 Depth=1
	v_bfrev_b32_e32 v99, 1
	s_mov_b32 s18, exec_lo
	v_cmpx_ne_u16_e32 0x80, v8
	s_cbranch_execz .LBB369_154
; %bb.149:                              ;   in Loop: Header=BB369_11 Depth=1
	v_and_b32_e32 v100, 0xffff, v8
	v_mov_b32_e32 v99, 0x7fc02000
	s_mov_b32 s19, exec_lo
	s_delay_alu instid0(VALU_DEP_2) | instskip(NEXT) | instid1(VALU_DEP_1)
	v_and_b32_e32 v32, 0x7f, v100
	v_cmpx_ne_u32_e32 0x7f, v32
	s_cbranch_execz .LBB369_153
; %bb.150:                              ;   in Loop: Header=BB369_11 Depth=1
	v_and_b32_e32 v8, 7, v100
	v_lshrrev_b32_e32 v99, 3, v32
	v_cmp_gt_u32_e64 s1, 8, v32
	s_delay_alu instid0(VALU_DEP_3) | instskip(NEXT) | instid1(VALU_DEP_2)
	v_dual_mov_b32 v33, v9 :: v_dual_mov_b32 v32, v8
	s_and_saveexec_b32 s20, s1
; %bb.151:                              ;   in Loop: Header=BB369_11 Depth=1
	v_clz_i32_u32_e32 v32, v8
	s_delay_alu instid0(VALU_DEP_1) | instskip(NEXT) | instid1(VALU_DEP_1)
	v_min_u32_e32 v99, 32, v32
	v_subrev_nc_u32_e32 v32, 28, v99
	v_sub_nc_u32_e32 v99, 29, v99
	s_delay_alu instid0(VALU_DEP_2) | instskip(NEXT) | instid1(VALU_DEP_1)
	v_lshlrev_b64 v[32:33], v32, v[8:9]
	v_and_b32_e32 v32, 7, v32
; %bb.152:                              ;   in Loop: Header=BB369_11 Depth=1
	s_or_b32 exec_lo, exec_lo, s20
	v_lshlrev_b32_e32 v8, 8, v100
	v_lshl_add_u32 v33, v99, 10, 0x2000
	s_delay_alu instid0(VALU_DEP_1) | instskip(NEXT) | instid1(VALU_DEP_1)
	v_and_or_b32 v8, 0x8000, v8, v33
	v_lshl_or_b32 v8, v32, 7, v8
	s_delay_alu instid0(VALU_DEP_1)
	v_cvt_f32_f16_e32 v99, v8
.LBB369_153:                            ;   in Loop: Header=BB369_11 Depth=1
	s_or_b32 exec_lo, exec_lo, s19
.LBB369_154:                            ;   in Loop: Header=BB369_11 Depth=1
	s_delay_alu instid0(SALU_CYCLE_1)
	s_or_b32 exec_lo, exec_lo, s18
.LBB369_155:                            ;   in Loop: Header=BB369_11 Depth=1
	s_delay_alu instid0(SALU_CYCLE_1) | instskip(SKIP_2) | instid1(VALU_DEP_1)
	s_or_b32 exec_lo, exec_lo, s17
	v_lshrrev_b32_e32 v100, 16, v30
	s_mov_b32 s17, exec_lo
	v_and_b32_e32 v8, 0xff, v100
	s_delay_alu instid0(VALU_DEP_1)
	v_cmpx_ne_u16_e32 0, v8
	s_cbranch_execz .LBB369_163
; %bb.156:                              ;   in Loop: Header=BB369_11 Depth=1
	v_bfrev_b32_e32 v98, 1
	s_mov_b32 s18, exec_lo
	v_cmpx_ne_u16_e32 0x80, v8
	s_cbranch_execz .LBB369_162
; %bb.157:                              ;   in Loop: Header=BB369_11 Depth=1
	v_bfe_u32 v32, v30, 16, 7
	v_mov_b32_e32 v98, 0x7fc02000
	s_mov_b32 s19, exec_lo
	s_delay_alu instid0(VALU_DEP_2)
	v_cmpx_ne_u32_e32 0x7f, v32
	s_cbranch_execz .LBB369_161
; %bb.158:                              ;   in Loop: Header=BB369_11 Depth=1
	v_and_b32_e32 v8, 7, v100
	v_lshrrev_b32_e32 v98, 3, v32
	v_cmp_gt_u32_e64 s1, 8, v32
	s_delay_alu instid0(VALU_DEP_3) | instskip(NEXT) | instid1(VALU_DEP_2)
	v_dual_mov_b32 v33, v9 :: v_dual_mov_b32 v32, v8
	s_and_saveexec_b32 s20, s1
; %bb.159:                              ;   in Loop: Header=BB369_11 Depth=1
	v_clz_i32_u32_e32 v32, v8
	s_delay_alu instid0(VALU_DEP_1) | instskip(NEXT) | instid1(VALU_DEP_1)
	v_min_u32_e32 v98, 32, v32
	v_subrev_nc_u32_e32 v32, 28, v98
	v_sub_nc_u32_e32 v98, 29, v98
	s_delay_alu instid0(VALU_DEP_2) | instskip(NEXT) | instid1(VALU_DEP_1)
	v_lshlrev_b64 v[32:33], v32, v[8:9]
	v_and_b32_e32 v32, 7, v32
; %bb.160:                              ;   in Loop: Header=BB369_11 Depth=1
	s_or_b32 exec_lo, exec_lo, s20
	v_lshlrev_b32_e32 v8, 8, v100
	v_lshl_add_u32 v33, v98, 10, 0x2000
	s_delay_alu instid0(VALU_DEP_1) | instskip(NEXT) | instid1(VALU_DEP_1)
	v_and_or_b32 v8, 0x8000, v8, v33
	v_lshl_or_b32 v8, v32, 7, v8
	s_delay_alu instid0(VALU_DEP_1)
	v_cvt_f32_f16_e32 v98, v8
.LBB369_161:                            ;   in Loop: Header=BB369_11 Depth=1
	s_or_b32 exec_lo, exec_lo, s19
.LBB369_162:                            ;   in Loop: Header=BB369_11 Depth=1
	s_delay_alu instid0(SALU_CYCLE_1)
	s_or_b32 exec_lo, exec_lo, s18
.LBB369_163:                            ;   in Loop: Header=BB369_11 Depth=1
	s_delay_alu instid0(SALU_CYCLE_1)
	s_or_b32 exec_lo, exec_lo, s17
	v_dual_mov_b32 v100, 0 :: v_dual_mov_b32 v101, 0
	s_mov_b32 s17, exec_lo
	v_cmpx_lt_u32_e32 0xffffff, v30
	s_cbranch_execz .LBB369_171
; %bb.164:                              ;   in Loop: Header=BB369_11 Depth=1
	v_lshrrev_b32_e32 v102, 24, v30
	v_bfrev_b32_e32 v101, 1
	s_mov_b32 s18, exec_lo
	s_delay_alu instid0(VALU_DEP_2)
	v_cmpx_ne_u32_e32 0x80, v102
	s_cbranch_execz .LBB369_170
; %bb.165:                              ;   in Loop: Header=BB369_11 Depth=1
	v_and_b32_e32 v32, 0x7f, v102
	v_mov_b32_e32 v101, 0x7fc02000
	s_mov_b32 s19, exec_lo
	s_delay_alu instid0(VALU_DEP_2)
	v_cmpx_ne_u32_e32 0x7f, v32
	s_cbranch_execz .LBB369_169
; %bb.166:                              ;   in Loop: Header=BB369_11 Depth=1
	v_and_b32_e32 v8, 7, v102
	v_lshrrev_b32_e32 v101, 3, v32
	v_cmp_gt_u32_e64 s1, 8, v32
	s_delay_alu instid0(VALU_DEP_3) | instskip(NEXT) | instid1(VALU_DEP_2)
	v_dual_mov_b32 v33, v9 :: v_dual_mov_b32 v32, v8
	s_and_saveexec_b32 s20, s1
; %bb.167:                              ;   in Loop: Header=BB369_11 Depth=1
	v_clz_i32_u32_e32 v32, v8
	s_delay_alu instid0(VALU_DEP_1) | instskip(NEXT) | instid1(VALU_DEP_1)
	v_min_u32_e32 v101, 32, v32
	v_subrev_nc_u32_e32 v32, 28, v101
	v_sub_nc_u32_e32 v101, 29, v101
	s_delay_alu instid0(VALU_DEP_2) | instskip(NEXT) | instid1(VALU_DEP_1)
	v_lshlrev_b64 v[32:33], v32, v[8:9]
	v_and_b32_e32 v32, 7, v32
; %bb.168:                              ;   in Loop: Header=BB369_11 Depth=1
	s_or_b32 exec_lo, exec_lo, s20
	v_lshlrev_b32_e32 v8, 8, v102
	v_lshl_add_u32 v33, v101, 10, 0x2000
	s_delay_alu instid0(VALU_DEP_1) | instskip(NEXT) | instid1(VALU_DEP_1)
	v_and_or_b32 v8, 0x8000, v8, v33
	v_lshl_or_b32 v8, v32, 7, v8
	s_delay_alu instid0(VALU_DEP_1)
	v_cvt_f32_f16_e32 v101, v8
.LBB369_169:                            ;   in Loop: Header=BB369_11 Depth=1
	s_or_b32 exec_lo, exec_lo, s19
.LBB369_170:                            ;   in Loop: Header=BB369_11 Depth=1
	s_delay_alu instid0(SALU_CYCLE_1)
	s_or_b32 exec_lo, exec_lo, s18
.LBB369_171:                            ;   in Loop: Header=BB369_11 Depth=1
	s_delay_alu instid0(SALU_CYCLE_1) | instskip(SKIP_3) | instid1(VALU_DEP_2)
	s_or_b32 exec_lo, exec_lo, s17
	v_and_b32_e32 v32, 0xff, v31
	v_mov_b32_e32 v8, v31
	s_mov_b32 s17, exec_lo
	v_cmpx_ne_u16_e32 0, v32
	s_cbranch_execz .LBB369_179
; %bb.172:                              ;   in Loop: Header=BB369_11 Depth=1
	v_bfrev_b32_e32 v100, 1
	s_mov_b32 s18, exec_lo
	v_cmpx_ne_u16_e32 0x80, v32
	s_cbranch_execz .LBB369_178
; %bb.173:                              ;   in Loop: Header=BB369_11 Depth=1
	v_and_b32_e32 v32, 0x7f, v31
	v_mov_b32_e32 v100, 0x7fc02000
	s_mov_b32 s19, exec_lo
	s_delay_alu instid0(VALU_DEP_2)
	v_cmpx_ne_u32_e32 0x7f, v32
	s_cbranch_execz .LBB369_177
; %bb.174:                              ;   in Loop: Header=BB369_11 Depth=1
	v_lshrrev_b32_e32 v100, 3, v32
	v_cmp_gt_u32_e64 s1, 8, v32
	v_dual_mov_b32 v33, v9 :: v_dual_mov_b32 v32, v8
	s_delay_alu instid0(VALU_DEP_2)
	s_and_saveexec_b32 s20, s1
; %bb.175:                              ;   in Loop: Header=BB369_11 Depth=1
	v_and_b32_e32 v32, 7, v31
	s_delay_alu instid0(VALU_DEP_1) | instskip(NEXT) | instid1(VALU_DEP_1)
	v_clz_i32_u32_e32 v32, v32
	v_min_u32_e32 v100, 32, v32
	s_delay_alu instid0(VALU_DEP_1) | instskip(SKIP_1) | instid1(VALU_DEP_2)
	v_subrev_nc_u32_e32 v32, 28, v100
	v_sub_nc_u32_e32 v100, 29, v100
	v_lshlrev_b64 v[32:33], v32, v[8:9]
; %bb.176:                              ;   in Loop: Header=BB369_11 Depth=1
	s_or_b32 exec_lo, exec_lo, s20
	v_lshlrev_b32_e32 v33, 8, v31
	s_delay_alu instid0(VALU_DEP_3) | instskip(NEXT) | instid1(VALU_DEP_3)
	v_lshl_add_u32 v100, v100, 10, 0x2000
	v_lshlrev_b32_e32 v32, 7, v32
	s_delay_alu instid0(VALU_DEP_2) | instskip(NEXT) | instid1(VALU_DEP_1)
	v_and_or_b32 v33, 0x8000, v33, v100
	v_and_or_b32 v32, 0x380, v32, v33
	s_delay_alu instid0(VALU_DEP_1)
	v_cvt_f32_f16_e32 v100, v32
.LBB369_177:                            ;   in Loop: Header=BB369_11 Depth=1
	s_or_b32 exec_lo, exec_lo, s19
.LBB369_178:                            ;   in Loop: Header=BB369_11 Depth=1
	s_delay_alu instid0(SALU_CYCLE_1)
	s_or_b32 exec_lo, exec_lo, s18
.LBB369_179:                            ;   in Loop: Header=BB369_11 Depth=1
	s_delay_alu instid0(SALU_CYCLE_1) | instskip(SKIP_3) | instid1(VALU_DEP_2)
	s_or_b32 exec_lo, exec_lo, s17
	v_lshrrev_b16 v8, 8, v8
	v_dual_mov_b32 v102, 0 :: v_dual_mov_b32 v103, 0
	s_mov_b32 s17, exec_lo
	v_cmpx_ne_u16_e32 0, v8
	s_cbranch_execz .LBB369_187
; %bb.180:                              ;   in Loop: Header=BB369_11 Depth=1
	v_bfrev_b32_e32 v103, 1
	s_mov_b32 s18, exec_lo
	v_cmpx_ne_u16_e32 0x80, v8
	s_cbranch_execz .LBB369_186
; %bb.181:                              ;   in Loop: Header=BB369_11 Depth=1
	v_and_b32_e32 v112, 0xffff, v8
	v_mov_b32_e32 v103, 0x7fc02000
	s_mov_b32 s19, exec_lo
	s_delay_alu instid0(VALU_DEP_2) | instskip(NEXT) | instid1(VALU_DEP_1)
	v_and_b32_e32 v32, 0x7f, v112
	v_cmpx_ne_u32_e32 0x7f, v32
	s_cbranch_execz .LBB369_185
; %bb.182:                              ;   in Loop: Header=BB369_11 Depth=1
	v_and_b32_e32 v8, 7, v112
	v_lshrrev_b32_e32 v103, 3, v32
	v_cmp_gt_u32_e64 s1, 8, v32
	s_delay_alu instid0(VALU_DEP_3) | instskip(NEXT) | instid1(VALU_DEP_2)
	v_dual_mov_b32 v33, v9 :: v_dual_mov_b32 v32, v8
	s_and_saveexec_b32 s20, s1
; %bb.183:                              ;   in Loop: Header=BB369_11 Depth=1
	v_clz_i32_u32_e32 v32, v8
	s_delay_alu instid0(VALU_DEP_1) | instskip(NEXT) | instid1(VALU_DEP_1)
	v_min_u32_e32 v103, 32, v32
	v_subrev_nc_u32_e32 v32, 28, v103
	v_sub_nc_u32_e32 v103, 29, v103
	s_delay_alu instid0(VALU_DEP_2) | instskip(NEXT) | instid1(VALU_DEP_1)
	v_lshlrev_b64 v[32:33], v32, v[8:9]
	v_and_b32_e32 v32, 7, v32
; %bb.184:                              ;   in Loop: Header=BB369_11 Depth=1
	s_or_b32 exec_lo, exec_lo, s20
	v_lshlrev_b32_e32 v8, 8, v112
	v_lshl_add_u32 v33, v103, 10, 0x2000
	s_delay_alu instid0(VALU_DEP_1) | instskip(NEXT) | instid1(VALU_DEP_1)
	v_and_or_b32 v8, 0x8000, v8, v33
	v_lshl_or_b32 v8, v32, 7, v8
	s_delay_alu instid0(VALU_DEP_1)
	v_cvt_f32_f16_e32 v103, v8
.LBB369_185:                            ;   in Loop: Header=BB369_11 Depth=1
	s_or_b32 exec_lo, exec_lo, s19
.LBB369_186:                            ;   in Loop: Header=BB369_11 Depth=1
	s_delay_alu instid0(SALU_CYCLE_1)
	s_or_b32 exec_lo, exec_lo, s18
.LBB369_187:                            ;   in Loop: Header=BB369_11 Depth=1
	s_delay_alu instid0(SALU_CYCLE_1) | instskip(SKIP_2) | instid1(VALU_DEP_1)
	s_or_b32 exec_lo, exec_lo, s17
	v_lshrrev_b32_e32 v112, 16, v31
	s_mov_b32 s17, exec_lo
	v_and_b32_e32 v8, 0xff, v112
	s_delay_alu instid0(VALU_DEP_1)
	v_cmpx_ne_u16_e32 0, v8
	s_cbranch_execz .LBB369_195
; %bb.188:                              ;   in Loop: Header=BB369_11 Depth=1
	v_bfrev_b32_e32 v102, 1
	s_mov_b32 s18, exec_lo
	v_cmpx_ne_u16_e32 0x80, v8
	s_cbranch_execz .LBB369_194
; %bb.189:                              ;   in Loop: Header=BB369_11 Depth=1
	v_bfe_u32 v32, v31, 16, 7
	v_mov_b32_e32 v102, 0x7fc02000
	s_mov_b32 s19, exec_lo
	s_delay_alu instid0(VALU_DEP_2)
	v_cmpx_ne_u32_e32 0x7f, v32
	s_cbranch_execz .LBB369_193
; %bb.190:                              ;   in Loop: Header=BB369_11 Depth=1
	v_and_b32_e32 v8, 7, v112
	v_lshrrev_b32_e32 v102, 3, v32
	v_cmp_gt_u32_e64 s1, 8, v32
	s_delay_alu instid0(VALU_DEP_3) | instskip(NEXT) | instid1(VALU_DEP_2)
	v_dual_mov_b32 v33, v9 :: v_dual_mov_b32 v32, v8
	s_and_saveexec_b32 s20, s1
; %bb.191:                              ;   in Loop: Header=BB369_11 Depth=1
	v_clz_i32_u32_e32 v32, v8
	s_delay_alu instid0(VALU_DEP_1) | instskip(NEXT) | instid1(VALU_DEP_1)
	v_min_u32_e32 v102, 32, v32
	v_subrev_nc_u32_e32 v32, 28, v102
	v_sub_nc_u32_e32 v102, 29, v102
	s_delay_alu instid0(VALU_DEP_2) | instskip(NEXT) | instid1(VALU_DEP_1)
	v_lshlrev_b64 v[32:33], v32, v[8:9]
	v_and_b32_e32 v32, 7, v32
; %bb.192:                              ;   in Loop: Header=BB369_11 Depth=1
	s_or_b32 exec_lo, exec_lo, s20
	v_lshlrev_b32_e32 v8, 8, v112
	v_lshl_add_u32 v33, v102, 10, 0x2000
	s_delay_alu instid0(VALU_DEP_1) | instskip(NEXT) | instid1(VALU_DEP_1)
	v_and_or_b32 v8, 0x8000, v8, v33
	v_lshl_or_b32 v8, v32, 7, v8
	s_delay_alu instid0(VALU_DEP_1)
	v_cvt_f32_f16_e32 v102, v8
.LBB369_193:                            ;   in Loop: Header=BB369_11 Depth=1
	s_or_b32 exec_lo, exec_lo, s19
.LBB369_194:                            ;   in Loop: Header=BB369_11 Depth=1
	s_delay_alu instid0(SALU_CYCLE_1)
	s_or_b32 exec_lo, exec_lo, s18
.LBB369_195:                            ;   in Loop: Header=BB369_11 Depth=1
	s_delay_alu instid0(SALU_CYCLE_1)
	s_or_b32 exec_lo, exec_lo, s17
	v_dual_mov_b32 v113, 0 :: v_dual_mov_b32 v112, 0
	s_mov_b32 s17, exec_lo
	v_cmpx_lt_u64_e64 s[2:3], v[30:31]
	s_cbranch_execz .LBB369_203
; %bb.196:                              ;   in Loop: Header=BB369_11 Depth=1
	v_lshrrev_b32_e32 v32, 24, v31
	v_bfrev_b32_e32 v112, 1
	s_mov_b32 s18, exec_lo
	s_delay_alu instid0(VALU_DEP_2)
	v_cmpx_ne_u32_e32 0x80, v32
	s_cbranch_execz .LBB369_202
; %bb.197:                              ;   in Loop: Header=BB369_11 Depth=1
	v_and_b32_e32 v30, 0x7f, v32
	v_mov_b32_e32 v112, 0x7fc02000
	s_mov_b32 s19, exec_lo
	s_delay_alu instid0(VALU_DEP_2)
	v_cmpx_ne_u32_e32 0x7f, v30
	s_cbranch_execz .LBB369_201
; %bb.198:                              ;   in Loop: Header=BB369_11 Depth=1
	v_and_b32_e32 v8, 7, v32
	v_lshrrev_b32_e32 v33, 3, v30
	v_cmp_gt_u32_e64 s1, 8, v30
	s_delay_alu instid0(VALU_DEP_3) | instskip(NEXT) | instid1(VALU_DEP_2)
	v_dual_mov_b32 v31, v9 :: v_dual_mov_b32 v30, v8
	s_and_saveexec_b32 s20, s1
; %bb.199:                              ;   in Loop: Header=BB369_11 Depth=1
	v_clz_i32_u32_e32 v30, v8
	s_delay_alu instid0(VALU_DEP_1) | instskip(NEXT) | instid1(VALU_DEP_1)
	v_min_u32_e32 v33, 32, v30
	v_subrev_nc_u32_e32 v30, 28, v33
	v_sub_nc_u32_e32 v33, 29, v33
	s_delay_alu instid0(VALU_DEP_2) | instskip(NEXT) | instid1(VALU_DEP_1)
	v_lshlrev_b64 v[30:31], v30, v[8:9]
	v_and_b32_e32 v30, 7, v30
; %bb.200:                              ;   in Loop: Header=BB369_11 Depth=1
	s_or_b32 exec_lo, exec_lo, s20
	v_lshlrev_b32_e32 v8, 8, v32
	v_lshl_add_u32 v31, v33, 10, 0x2000
	s_delay_alu instid0(VALU_DEP_1) | instskip(NEXT) | instid1(VALU_DEP_1)
	v_and_or_b32 v8, 0x8000, v8, v31
	v_lshl_or_b32 v8, v30, 7, v8
	s_delay_alu instid0(VALU_DEP_1)
	v_cvt_f32_f16_e32 v112, v8
.LBB369_201:                            ;   in Loop: Header=BB369_11 Depth=1
	s_or_b32 exec_lo, exec_lo, s19
.LBB369_202:                            ;   in Loop: Header=BB369_11 Depth=1
	s_delay_alu instid0(SALU_CYCLE_1)
	s_or_b32 exec_lo, exec_lo, s18
.LBB369_203:                            ;   in Loop: Header=BB369_11 Depth=1
	s_delay_alu instid0(SALU_CYCLE_1) | instskip(SKIP_4) | instid1(VALU_DEP_1)
	s_or_b32 exec_lo, exec_lo, s17
	flat_load_b64 v[30:31], v[28:29] offset:520
	s_mov_b32 s17, exec_lo
	s_waitcnt vmcnt(0) lgkmcnt(0)
	v_and_b32_e32 v8, 0xff, v30
	v_cmpx_ne_u16_e32 0, v8
	s_cbranch_execz .LBB369_211
; %bb.204:                              ;   in Loop: Header=BB369_11 Depth=1
	v_bfrev_b32_e32 v113, 1
	s_mov_b32 s18, exec_lo
	v_cmpx_ne_u16_e32 0x80, v8
	s_cbranch_execz .LBB369_210
; %bb.205:                              ;   in Loop: Header=BB369_11 Depth=1
	v_and_b32_e32 v32, 0x7f, v30
	v_mov_b32_e32 v113, 0x7fc02000
	s_mov_b32 s19, exec_lo
	s_delay_alu instid0(VALU_DEP_2)
	v_cmpx_ne_u32_e32 0x7f, v32
	s_cbranch_execz .LBB369_209
; %bb.206:                              ;   in Loop: Header=BB369_11 Depth=1
	v_lshrrev_b32_e32 v8, 3, v32
	v_cmp_gt_u32_e64 s1, 8, v32
	v_dual_mov_b32 v33, v31 :: v_dual_mov_b32 v32, v30
	s_delay_alu instid0(VALU_DEP_2)
	s_and_saveexec_b32 s20, s1
; %bb.207:                              ;   in Loop: Header=BB369_11 Depth=1
	v_and_b32_e32 v8, 7, v30
	s_delay_alu instid0(VALU_DEP_1) | instskip(NEXT) | instid1(VALU_DEP_1)
	v_clz_i32_u32_e32 v8, v8
	v_min_u32_e32 v8, 32, v8
	s_delay_alu instid0(VALU_DEP_1) | instskip(SKIP_1) | instid1(VALU_DEP_2)
	v_subrev_nc_u32_e32 v32, 28, v8
	v_sub_nc_u32_e32 v8, 29, v8
	v_lshlrev_b64 v[32:33], v32, v[30:31]
; %bb.208:                              ;   in Loop: Header=BB369_11 Depth=1
	s_or_b32 exec_lo, exec_lo, s20
	v_lshlrev_b32_e32 v33, 8, v30
	s_delay_alu instid0(VALU_DEP_3) | instskip(NEXT) | instid1(VALU_DEP_3)
	v_lshl_add_u32 v8, v8, 10, 0x2000
	v_lshlrev_b32_e32 v32, 7, v32
	s_delay_alu instid0(VALU_DEP_2) | instskip(NEXT) | instid1(VALU_DEP_1)
	v_and_or_b32 v8, 0x8000, v33, v8
	v_and_or_b32 v8, 0x380, v32, v8
	s_delay_alu instid0(VALU_DEP_1)
	v_cvt_f32_f16_e32 v113, v8
.LBB369_209:                            ;   in Loop: Header=BB369_11 Depth=1
	s_or_b32 exec_lo, exec_lo, s19
.LBB369_210:                            ;   in Loop: Header=BB369_11 Depth=1
	s_delay_alu instid0(SALU_CYCLE_1)
	s_or_b32 exec_lo, exec_lo, s18
.LBB369_211:                            ;   in Loop: Header=BB369_11 Depth=1
	s_delay_alu instid0(SALU_CYCLE_1) | instskip(SKIP_3) | instid1(VALU_DEP_2)
	s_or_b32 exec_lo, exec_lo, s17
	v_lshrrev_b16 v8, 8, v30
	v_dual_mov_b32 v114, 0 :: v_dual_mov_b32 v115, 0
	s_mov_b32 s17, exec_lo
	v_cmpx_ne_u16_e32 0, v8
	s_cbranch_execz .LBB369_219
; %bb.212:                              ;   in Loop: Header=BB369_11 Depth=1
	v_bfrev_b32_e32 v115, 1
	s_mov_b32 s18, exec_lo
	v_cmpx_ne_u16_e32 0x80, v8
	s_cbranch_execz .LBB369_218
; %bb.213:                              ;   in Loop: Header=BB369_11 Depth=1
	v_and_b32_e32 v116, 0xffff, v8
	v_mov_b32_e32 v115, 0x7fc02000
	s_mov_b32 s19, exec_lo
	s_delay_alu instid0(VALU_DEP_2) | instskip(NEXT) | instid1(VALU_DEP_1)
	v_and_b32_e32 v32, 0x7f, v116
	v_cmpx_ne_u32_e32 0x7f, v32
	s_cbranch_execz .LBB369_217
; %bb.214:                              ;   in Loop: Header=BB369_11 Depth=1
	v_and_b32_e32 v8, 7, v116
	v_lshrrev_b32_e32 v115, 3, v32
	v_cmp_gt_u32_e64 s1, 8, v32
	s_delay_alu instid0(VALU_DEP_3) | instskip(NEXT) | instid1(VALU_DEP_2)
	v_dual_mov_b32 v33, v9 :: v_dual_mov_b32 v32, v8
	s_and_saveexec_b32 s20, s1
; %bb.215:                              ;   in Loop: Header=BB369_11 Depth=1
	v_clz_i32_u32_e32 v32, v8
	s_delay_alu instid0(VALU_DEP_1) | instskip(NEXT) | instid1(VALU_DEP_1)
	v_min_u32_e32 v115, 32, v32
	v_subrev_nc_u32_e32 v32, 28, v115
	v_sub_nc_u32_e32 v115, 29, v115
	s_delay_alu instid0(VALU_DEP_2) | instskip(NEXT) | instid1(VALU_DEP_1)
	v_lshlrev_b64 v[32:33], v32, v[8:9]
	v_and_b32_e32 v32, 7, v32
; %bb.216:                              ;   in Loop: Header=BB369_11 Depth=1
	s_or_b32 exec_lo, exec_lo, s20
	v_lshlrev_b32_e32 v8, 8, v116
	v_lshl_add_u32 v33, v115, 10, 0x2000
	s_delay_alu instid0(VALU_DEP_1) | instskip(NEXT) | instid1(VALU_DEP_1)
	v_and_or_b32 v8, 0x8000, v8, v33
	v_lshl_or_b32 v8, v32, 7, v8
	s_delay_alu instid0(VALU_DEP_1)
	v_cvt_f32_f16_e32 v115, v8
.LBB369_217:                            ;   in Loop: Header=BB369_11 Depth=1
	s_or_b32 exec_lo, exec_lo, s19
.LBB369_218:                            ;   in Loop: Header=BB369_11 Depth=1
	s_delay_alu instid0(SALU_CYCLE_1)
	s_or_b32 exec_lo, exec_lo, s18
.LBB369_219:                            ;   in Loop: Header=BB369_11 Depth=1
	s_delay_alu instid0(SALU_CYCLE_1) | instskip(SKIP_2) | instid1(VALU_DEP_1)
	s_or_b32 exec_lo, exec_lo, s17
	v_lshrrev_b32_e32 v116, 16, v30
	s_mov_b32 s17, exec_lo
	v_and_b32_e32 v8, 0xff, v116
	s_delay_alu instid0(VALU_DEP_1)
	v_cmpx_ne_u16_e32 0, v8
	s_cbranch_execz .LBB369_227
; %bb.220:                              ;   in Loop: Header=BB369_11 Depth=1
	v_bfrev_b32_e32 v114, 1
	s_mov_b32 s18, exec_lo
	v_cmpx_ne_u16_e32 0x80, v8
	s_cbranch_execz .LBB369_226
; %bb.221:                              ;   in Loop: Header=BB369_11 Depth=1
	v_bfe_u32 v32, v30, 16, 7
	v_mov_b32_e32 v114, 0x7fc02000
	s_mov_b32 s19, exec_lo
	s_delay_alu instid0(VALU_DEP_2)
	v_cmpx_ne_u32_e32 0x7f, v32
	s_cbranch_execz .LBB369_225
; %bb.222:                              ;   in Loop: Header=BB369_11 Depth=1
	v_and_b32_e32 v8, 7, v116
	v_lshrrev_b32_e32 v114, 3, v32
	v_cmp_gt_u32_e64 s1, 8, v32
	s_delay_alu instid0(VALU_DEP_3) | instskip(NEXT) | instid1(VALU_DEP_2)
	v_dual_mov_b32 v33, v9 :: v_dual_mov_b32 v32, v8
	s_and_saveexec_b32 s20, s1
; %bb.223:                              ;   in Loop: Header=BB369_11 Depth=1
	v_clz_i32_u32_e32 v32, v8
	s_delay_alu instid0(VALU_DEP_1) | instskip(NEXT) | instid1(VALU_DEP_1)
	v_min_u32_e32 v114, 32, v32
	v_subrev_nc_u32_e32 v32, 28, v114
	v_sub_nc_u32_e32 v114, 29, v114
	s_delay_alu instid0(VALU_DEP_2) | instskip(NEXT) | instid1(VALU_DEP_1)
	v_lshlrev_b64 v[32:33], v32, v[8:9]
	v_and_b32_e32 v32, 7, v32
; %bb.224:                              ;   in Loop: Header=BB369_11 Depth=1
	s_or_b32 exec_lo, exec_lo, s20
	v_lshlrev_b32_e32 v8, 8, v116
	v_lshl_add_u32 v33, v114, 10, 0x2000
	s_delay_alu instid0(VALU_DEP_1) | instskip(NEXT) | instid1(VALU_DEP_1)
	v_and_or_b32 v8, 0x8000, v8, v33
	v_lshl_or_b32 v8, v32, 7, v8
	s_delay_alu instid0(VALU_DEP_1)
	v_cvt_f32_f16_e32 v114, v8
.LBB369_225:                            ;   in Loop: Header=BB369_11 Depth=1
	s_or_b32 exec_lo, exec_lo, s19
.LBB369_226:                            ;   in Loop: Header=BB369_11 Depth=1
	s_delay_alu instid0(SALU_CYCLE_1)
	s_or_b32 exec_lo, exec_lo, s18
.LBB369_227:                            ;   in Loop: Header=BB369_11 Depth=1
	s_delay_alu instid0(SALU_CYCLE_1)
	s_or_b32 exec_lo, exec_lo, s17
	v_dual_mov_b32 v116, 0 :: v_dual_mov_b32 v117, 0
	s_mov_b32 s17, exec_lo
	v_cmpx_lt_u32_e32 0xffffff, v30
	s_cbranch_execz .LBB369_235
; %bb.228:                              ;   in Loop: Header=BB369_11 Depth=1
	v_lshrrev_b32_e32 v118, 24, v30
	v_bfrev_b32_e32 v117, 1
	s_mov_b32 s18, exec_lo
	s_delay_alu instid0(VALU_DEP_2)
	v_cmpx_ne_u32_e32 0x80, v118
	s_cbranch_execz .LBB369_234
; %bb.229:                              ;   in Loop: Header=BB369_11 Depth=1
	v_and_b32_e32 v32, 0x7f, v118
	v_mov_b32_e32 v117, 0x7fc02000
	s_mov_b32 s19, exec_lo
	s_delay_alu instid0(VALU_DEP_2)
	v_cmpx_ne_u32_e32 0x7f, v32
	s_cbranch_execz .LBB369_233
; %bb.230:                              ;   in Loop: Header=BB369_11 Depth=1
	v_and_b32_e32 v8, 7, v118
	v_lshrrev_b32_e32 v117, 3, v32
	v_cmp_gt_u32_e64 s1, 8, v32
	s_delay_alu instid0(VALU_DEP_3) | instskip(NEXT) | instid1(VALU_DEP_2)
	v_dual_mov_b32 v33, v9 :: v_dual_mov_b32 v32, v8
	s_and_saveexec_b32 s20, s1
; %bb.231:                              ;   in Loop: Header=BB369_11 Depth=1
	v_clz_i32_u32_e32 v32, v8
	s_delay_alu instid0(VALU_DEP_1) | instskip(NEXT) | instid1(VALU_DEP_1)
	v_min_u32_e32 v117, 32, v32
	v_subrev_nc_u32_e32 v32, 28, v117
	v_sub_nc_u32_e32 v117, 29, v117
	s_delay_alu instid0(VALU_DEP_2) | instskip(NEXT) | instid1(VALU_DEP_1)
	v_lshlrev_b64 v[32:33], v32, v[8:9]
	v_and_b32_e32 v32, 7, v32
; %bb.232:                              ;   in Loop: Header=BB369_11 Depth=1
	s_or_b32 exec_lo, exec_lo, s20
	v_lshlrev_b32_e32 v8, 8, v118
	v_lshl_add_u32 v33, v117, 10, 0x2000
	s_delay_alu instid0(VALU_DEP_1) | instskip(NEXT) | instid1(VALU_DEP_1)
	v_and_or_b32 v8, 0x8000, v8, v33
	v_lshl_or_b32 v8, v32, 7, v8
	s_delay_alu instid0(VALU_DEP_1)
	v_cvt_f32_f16_e32 v117, v8
.LBB369_233:                            ;   in Loop: Header=BB369_11 Depth=1
	s_or_b32 exec_lo, exec_lo, s19
.LBB369_234:                            ;   in Loop: Header=BB369_11 Depth=1
	s_delay_alu instid0(SALU_CYCLE_1)
	s_or_b32 exec_lo, exec_lo, s18
.LBB369_235:                            ;   in Loop: Header=BB369_11 Depth=1
	s_delay_alu instid0(SALU_CYCLE_1) | instskip(SKIP_3) | instid1(VALU_DEP_2)
	s_or_b32 exec_lo, exec_lo, s17
	v_and_b32_e32 v32, 0xff, v31
	v_mov_b32_e32 v8, v31
	s_mov_b32 s17, exec_lo
	v_cmpx_ne_u16_e32 0, v32
	s_cbranch_execz .LBB369_243
; %bb.236:                              ;   in Loop: Header=BB369_11 Depth=1
	v_bfrev_b32_e32 v116, 1
	s_mov_b32 s18, exec_lo
	v_cmpx_ne_u16_e32 0x80, v32
	s_cbranch_execz .LBB369_242
; %bb.237:                              ;   in Loop: Header=BB369_11 Depth=1
	v_and_b32_e32 v32, 0x7f, v31
	v_mov_b32_e32 v116, 0x7fc02000
	s_mov_b32 s19, exec_lo
	s_delay_alu instid0(VALU_DEP_2)
	v_cmpx_ne_u32_e32 0x7f, v32
	s_cbranch_execz .LBB369_241
; %bb.238:                              ;   in Loop: Header=BB369_11 Depth=1
	v_lshrrev_b32_e32 v116, 3, v32
	v_cmp_gt_u32_e64 s1, 8, v32
	v_dual_mov_b32 v33, v9 :: v_dual_mov_b32 v32, v8
	s_delay_alu instid0(VALU_DEP_2)
	s_and_saveexec_b32 s20, s1
; %bb.239:                              ;   in Loop: Header=BB369_11 Depth=1
	v_and_b32_e32 v32, 7, v31
	s_delay_alu instid0(VALU_DEP_1) | instskip(NEXT) | instid1(VALU_DEP_1)
	v_clz_i32_u32_e32 v32, v32
	v_min_u32_e32 v116, 32, v32
	s_delay_alu instid0(VALU_DEP_1) | instskip(SKIP_1) | instid1(VALU_DEP_2)
	v_subrev_nc_u32_e32 v32, 28, v116
	v_sub_nc_u32_e32 v116, 29, v116
	v_lshlrev_b64 v[32:33], v32, v[8:9]
; %bb.240:                              ;   in Loop: Header=BB369_11 Depth=1
	s_or_b32 exec_lo, exec_lo, s20
	v_lshlrev_b32_e32 v33, 8, v31
	s_delay_alu instid0(VALU_DEP_3) | instskip(NEXT) | instid1(VALU_DEP_3)
	v_lshl_add_u32 v116, v116, 10, 0x2000
	v_lshlrev_b32_e32 v32, 7, v32
	s_delay_alu instid0(VALU_DEP_2) | instskip(NEXT) | instid1(VALU_DEP_1)
	v_and_or_b32 v33, 0x8000, v33, v116
	v_and_or_b32 v32, 0x380, v32, v33
	s_delay_alu instid0(VALU_DEP_1)
	v_cvt_f32_f16_e32 v116, v32
.LBB369_241:                            ;   in Loop: Header=BB369_11 Depth=1
	s_or_b32 exec_lo, exec_lo, s19
.LBB369_242:                            ;   in Loop: Header=BB369_11 Depth=1
	s_delay_alu instid0(SALU_CYCLE_1)
	s_or_b32 exec_lo, exec_lo, s18
.LBB369_243:                            ;   in Loop: Header=BB369_11 Depth=1
	s_delay_alu instid0(SALU_CYCLE_1) | instskip(SKIP_3) | instid1(VALU_DEP_2)
	s_or_b32 exec_lo, exec_lo, s17
	v_lshrrev_b16 v8, 8, v8
	v_dual_mov_b32 v118, 0 :: v_dual_mov_b32 v119, 0
	s_mov_b32 s17, exec_lo
	v_cmpx_ne_u16_e32 0, v8
	s_cbranch_execz .LBB369_251
; %bb.244:                              ;   in Loop: Header=BB369_11 Depth=1
	v_bfrev_b32_e32 v119, 1
	s_mov_b32 s18, exec_lo
	v_cmpx_ne_u16_e32 0x80, v8
	s_cbranch_execz .LBB369_250
; %bb.245:                              ;   in Loop: Header=BB369_11 Depth=1
	v_and_b32_e32 v128, 0xffff, v8
	v_mov_b32_e32 v119, 0x7fc02000
	s_mov_b32 s19, exec_lo
	s_delay_alu instid0(VALU_DEP_2) | instskip(NEXT) | instid1(VALU_DEP_1)
	v_and_b32_e32 v32, 0x7f, v128
	v_cmpx_ne_u32_e32 0x7f, v32
	s_cbranch_execz .LBB369_249
; %bb.246:                              ;   in Loop: Header=BB369_11 Depth=1
	v_and_b32_e32 v8, 7, v128
	v_lshrrev_b32_e32 v119, 3, v32
	v_cmp_gt_u32_e64 s1, 8, v32
	s_delay_alu instid0(VALU_DEP_3) | instskip(NEXT) | instid1(VALU_DEP_2)
	v_dual_mov_b32 v33, v9 :: v_dual_mov_b32 v32, v8
	s_and_saveexec_b32 s20, s1
; %bb.247:                              ;   in Loop: Header=BB369_11 Depth=1
	v_clz_i32_u32_e32 v32, v8
	s_delay_alu instid0(VALU_DEP_1) | instskip(NEXT) | instid1(VALU_DEP_1)
	v_min_u32_e32 v119, 32, v32
	v_subrev_nc_u32_e32 v32, 28, v119
	v_sub_nc_u32_e32 v119, 29, v119
	s_delay_alu instid0(VALU_DEP_2) | instskip(NEXT) | instid1(VALU_DEP_1)
	v_lshlrev_b64 v[32:33], v32, v[8:9]
	v_and_b32_e32 v32, 7, v32
; %bb.248:                              ;   in Loop: Header=BB369_11 Depth=1
	s_or_b32 exec_lo, exec_lo, s20
	v_lshlrev_b32_e32 v8, 8, v128
	v_lshl_add_u32 v33, v119, 10, 0x2000
	s_delay_alu instid0(VALU_DEP_1) | instskip(NEXT) | instid1(VALU_DEP_1)
	v_and_or_b32 v8, 0x8000, v8, v33
	v_lshl_or_b32 v8, v32, 7, v8
	s_delay_alu instid0(VALU_DEP_1)
	v_cvt_f32_f16_e32 v119, v8
.LBB369_249:                            ;   in Loop: Header=BB369_11 Depth=1
	s_or_b32 exec_lo, exec_lo, s19
.LBB369_250:                            ;   in Loop: Header=BB369_11 Depth=1
	s_delay_alu instid0(SALU_CYCLE_1)
	s_or_b32 exec_lo, exec_lo, s18
.LBB369_251:                            ;   in Loop: Header=BB369_11 Depth=1
	s_delay_alu instid0(SALU_CYCLE_1) | instskip(SKIP_2) | instid1(VALU_DEP_1)
	s_or_b32 exec_lo, exec_lo, s17
	v_lshrrev_b32_e32 v128, 16, v31
	s_mov_b32 s17, exec_lo
	v_and_b32_e32 v8, 0xff, v128
	s_delay_alu instid0(VALU_DEP_1)
	v_cmpx_ne_u16_e32 0, v8
	s_cbranch_execz .LBB369_259
; %bb.252:                              ;   in Loop: Header=BB369_11 Depth=1
	v_bfrev_b32_e32 v118, 1
	s_mov_b32 s18, exec_lo
	v_cmpx_ne_u16_e32 0x80, v8
	s_cbranch_execz .LBB369_258
; %bb.253:                              ;   in Loop: Header=BB369_11 Depth=1
	v_bfe_u32 v32, v31, 16, 7
	v_mov_b32_e32 v118, 0x7fc02000
	s_mov_b32 s19, exec_lo
	s_delay_alu instid0(VALU_DEP_2)
	v_cmpx_ne_u32_e32 0x7f, v32
	s_cbranch_execz .LBB369_257
; %bb.254:                              ;   in Loop: Header=BB369_11 Depth=1
	v_and_b32_e32 v8, 7, v128
	v_lshrrev_b32_e32 v118, 3, v32
	v_cmp_gt_u32_e64 s1, 8, v32
	s_delay_alu instid0(VALU_DEP_3) | instskip(NEXT) | instid1(VALU_DEP_2)
	v_dual_mov_b32 v33, v9 :: v_dual_mov_b32 v32, v8
	s_and_saveexec_b32 s20, s1
; %bb.255:                              ;   in Loop: Header=BB369_11 Depth=1
	v_clz_i32_u32_e32 v32, v8
	s_delay_alu instid0(VALU_DEP_1) | instskip(NEXT) | instid1(VALU_DEP_1)
	v_min_u32_e32 v118, 32, v32
	v_subrev_nc_u32_e32 v32, 28, v118
	v_sub_nc_u32_e32 v118, 29, v118
	s_delay_alu instid0(VALU_DEP_2) | instskip(NEXT) | instid1(VALU_DEP_1)
	v_lshlrev_b64 v[32:33], v32, v[8:9]
	v_and_b32_e32 v32, 7, v32
; %bb.256:                              ;   in Loop: Header=BB369_11 Depth=1
	s_or_b32 exec_lo, exec_lo, s20
	v_lshlrev_b32_e32 v8, 8, v128
	v_lshl_add_u32 v33, v118, 10, 0x2000
	s_delay_alu instid0(VALU_DEP_1) | instskip(NEXT) | instid1(VALU_DEP_1)
	v_and_or_b32 v8, 0x8000, v8, v33
	v_lshl_or_b32 v8, v32, 7, v8
	s_delay_alu instid0(VALU_DEP_1)
	v_cvt_f32_f16_e32 v118, v8
.LBB369_257:                            ;   in Loop: Header=BB369_11 Depth=1
	s_or_b32 exec_lo, exec_lo, s19
.LBB369_258:                            ;   in Loop: Header=BB369_11 Depth=1
	s_delay_alu instid0(SALU_CYCLE_1)
	s_or_b32 exec_lo, exec_lo, s18
.LBB369_259:                            ;   in Loop: Header=BB369_11 Depth=1
	s_delay_alu instid0(SALU_CYCLE_1)
	s_or_b32 exec_lo, exec_lo, s17
	v_dual_mov_b32 v129, 0 :: v_dual_mov_b32 v128, 0
	s_mov_b32 s17, exec_lo
	v_cmpx_lt_u64_e64 s[2:3], v[30:31]
	s_cbranch_execz .LBB369_267
; %bb.260:                              ;   in Loop: Header=BB369_11 Depth=1
	v_lshrrev_b32_e32 v32, 24, v31
	v_bfrev_b32_e32 v128, 1
	s_mov_b32 s18, exec_lo
	s_delay_alu instid0(VALU_DEP_2)
	v_cmpx_ne_u32_e32 0x80, v32
	s_cbranch_execz .LBB369_266
; %bb.261:                              ;   in Loop: Header=BB369_11 Depth=1
	v_and_b32_e32 v30, 0x7f, v32
	v_mov_b32_e32 v128, 0x7fc02000
	s_mov_b32 s19, exec_lo
	s_delay_alu instid0(VALU_DEP_2)
	v_cmpx_ne_u32_e32 0x7f, v30
	s_cbranch_execz .LBB369_265
; %bb.262:                              ;   in Loop: Header=BB369_11 Depth=1
	v_and_b32_e32 v8, 7, v32
	v_lshrrev_b32_e32 v33, 3, v30
	v_cmp_gt_u32_e64 s1, 8, v30
	s_delay_alu instid0(VALU_DEP_3) | instskip(NEXT) | instid1(VALU_DEP_2)
	v_dual_mov_b32 v31, v9 :: v_dual_mov_b32 v30, v8
	s_and_saveexec_b32 s20, s1
; %bb.263:                              ;   in Loop: Header=BB369_11 Depth=1
	v_clz_i32_u32_e32 v30, v8
	s_delay_alu instid0(VALU_DEP_1) | instskip(NEXT) | instid1(VALU_DEP_1)
	v_min_u32_e32 v33, 32, v30
	v_subrev_nc_u32_e32 v30, 28, v33
	v_sub_nc_u32_e32 v33, 29, v33
	s_delay_alu instid0(VALU_DEP_2) | instskip(NEXT) | instid1(VALU_DEP_1)
	v_lshlrev_b64 v[30:31], v30, v[8:9]
	v_and_b32_e32 v30, 7, v30
; %bb.264:                              ;   in Loop: Header=BB369_11 Depth=1
	s_or_b32 exec_lo, exec_lo, s20
	v_lshlrev_b32_e32 v8, 8, v32
	v_lshl_add_u32 v31, v33, 10, 0x2000
	s_delay_alu instid0(VALU_DEP_1) | instskip(NEXT) | instid1(VALU_DEP_1)
	v_and_or_b32 v8, 0x8000, v8, v31
	v_lshl_or_b32 v8, v30, 7, v8
	s_delay_alu instid0(VALU_DEP_1)
	v_cvt_f32_f16_e64 v128, v8
.LBB369_265:                            ;   in Loop: Header=BB369_11 Depth=1
	s_or_b32 exec_lo, exec_lo, s19
.LBB369_266:                            ;   in Loop: Header=BB369_11 Depth=1
	s_delay_alu instid0(SALU_CYCLE_1)
	s_or_b32 exec_lo, exec_lo, s18
.LBB369_267:                            ;   in Loop: Header=BB369_11 Depth=1
	s_delay_alu instid0(SALU_CYCLE_1) | instskip(SKIP_4) | instid1(VALU_DEP_1)
	s_or_b32 exec_lo, exec_lo, s17
	flat_load_b64 v[30:31], v[28:29] offset:1024
	s_mov_b32 s17, exec_lo
	s_waitcnt vmcnt(0) lgkmcnt(0)
	v_and_b32_e32 v8, 0xff, v30
	v_cmpx_ne_u16_e32 0, v8
	s_cbranch_execz .LBB369_275
; %bb.268:                              ;   in Loop: Header=BB369_11 Depth=1
	v_bfrev_b32_e32 v129, 1
	s_mov_b32 s18, exec_lo
	v_cmpx_ne_u16_e32 0x80, v8
	s_cbranch_execz .LBB369_274
; %bb.269:                              ;   in Loop: Header=BB369_11 Depth=1
	v_and_b32_e32 v32, 0x7f, v30
	v_mov_b32_e32 v129, 0x7fc02000
	s_mov_b32 s19, exec_lo
	s_delay_alu instid0(VALU_DEP_2)
	v_cmpx_ne_u32_e32 0x7f, v32
	s_cbranch_execz .LBB369_273
; %bb.270:                              ;   in Loop: Header=BB369_11 Depth=1
	v_lshrrev_b32_e32 v8, 3, v32
	v_cmp_gt_u32_e64 s1, 8, v32
	v_dual_mov_b32 v33, v31 :: v_dual_mov_b32 v32, v30
	s_delay_alu instid0(VALU_DEP_2)
	s_and_saveexec_b32 s20, s1
; %bb.271:                              ;   in Loop: Header=BB369_11 Depth=1
	v_and_b32_e32 v8, 7, v30
	s_delay_alu instid0(VALU_DEP_1) | instskip(NEXT) | instid1(VALU_DEP_1)
	v_clz_i32_u32_e32 v8, v8
	v_min_u32_e32 v8, 32, v8
	s_delay_alu instid0(VALU_DEP_1) | instskip(SKIP_1) | instid1(VALU_DEP_2)
	v_subrev_nc_u32_e32 v32, 28, v8
	v_sub_nc_u32_e32 v8, 29, v8
	v_lshlrev_b64 v[32:33], v32, v[30:31]
; %bb.272:                              ;   in Loop: Header=BB369_11 Depth=1
	s_or_b32 exec_lo, exec_lo, s20
	v_lshlrev_b32_e32 v33, 8, v30
	s_delay_alu instid0(VALU_DEP_3) | instskip(NEXT) | instid1(VALU_DEP_3)
	v_lshl_add_u32 v8, v8, 10, 0x2000
	v_lshlrev_b32_e32 v32, 7, v32
	s_delay_alu instid0(VALU_DEP_2) | instskip(NEXT) | instid1(VALU_DEP_1)
	v_and_or_b32 v8, 0x8000, v33, v8
	v_and_or_b32 v8, 0x380, v32, v8
	s_delay_alu instid0(VALU_DEP_1)
	v_cvt_f32_f16_e64 v129, v8
.LBB369_273:                            ;   in Loop: Header=BB369_11 Depth=1
	s_or_b32 exec_lo, exec_lo, s19
.LBB369_274:                            ;   in Loop: Header=BB369_11 Depth=1
	s_delay_alu instid0(SALU_CYCLE_1)
	s_or_b32 exec_lo, exec_lo, s18
.LBB369_275:                            ;   in Loop: Header=BB369_11 Depth=1
	s_delay_alu instid0(SALU_CYCLE_1) | instskip(SKIP_3) | instid1(VALU_DEP_2)
	s_or_b32 exec_lo, exec_lo, s17
	v_lshrrev_b16 v8, 8, v30
	v_dual_mov_b32 v130, 0 :: v_dual_mov_b32 v131, 0
	s_mov_b32 s17, exec_lo
	v_cmpx_ne_u16_e32 0, v8
	s_cbranch_execz .LBB369_283
; %bb.276:                              ;   in Loop: Header=BB369_11 Depth=1
	v_bfrev_b32_e32 v131, 1
	s_mov_b32 s18, exec_lo
	v_cmpx_ne_u16_e32 0x80, v8
	s_cbranch_execz .LBB369_282
; %bb.277:                              ;   in Loop: Header=BB369_11 Depth=1
	v_and_b32_e32 v132, 0xffff, v8
	v_mov_b32_e32 v131, 0x7fc02000
	s_mov_b32 s19, exec_lo
	s_delay_alu instid0(VALU_DEP_2) | instskip(NEXT) | instid1(VALU_DEP_1)
	v_and_b32_e32 v32, 0x7f, v132
	v_cmpx_ne_u32_e32 0x7f, v32
	s_cbranch_execz .LBB369_281
; %bb.278:                              ;   in Loop: Header=BB369_11 Depth=1
	v_and_b32_e32 v8, 7, v132
	v_lshrrev_b32_e32 v131, 3, v32
	v_cmp_gt_u32_e64 s1, 8, v32
	s_delay_alu instid0(VALU_DEP_3) | instskip(NEXT) | instid1(VALU_DEP_2)
	v_dual_mov_b32 v33, v9 :: v_dual_mov_b32 v32, v8
	s_and_saveexec_b32 s20, s1
; %bb.279:                              ;   in Loop: Header=BB369_11 Depth=1
	v_clz_i32_u32_e32 v32, v8
	s_delay_alu instid0(VALU_DEP_1) | instskip(NEXT) | instid1(VALU_DEP_1)
	v_min_u32_e32 v131, 32, v32
	v_subrev_nc_u32_e32 v32, 28, v131
	v_sub_nc_u32_e32 v131, 29, v131
	s_delay_alu instid0(VALU_DEP_2) | instskip(NEXT) | instid1(VALU_DEP_1)
	v_lshlrev_b64 v[32:33], v32, v[8:9]
	v_and_b32_e32 v32, 7, v32
; %bb.280:                              ;   in Loop: Header=BB369_11 Depth=1
	s_or_b32 exec_lo, exec_lo, s20
	v_lshlrev_b32_e32 v8, 8, v132
	v_lshl_add_u32 v33, v131, 10, 0x2000
	s_delay_alu instid0(VALU_DEP_1) | instskip(NEXT) | instid1(VALU_DEP_1)
	v_and_or_b32 v8, 0x8000, v8, v33
	v_lshl_or_b32 v8, v32, 7, v8
	s_delay_alu instid0(VALU_DEP_1)
	v_cvt_f32_f16_e64 v131, v8
.LBB369_281:                            ;   in Loop: Header=BB369_11 Depth=1
	s_or_b32 exec_lo, exec_lo, s19
.LBB369_282:                            ;   in Loop: Header=BB369_11 Depth=1
	s_delay_alu instid0(SALU_CYCLE_1)
	s_or_b32 exec_lo, exec_lo, s18
.LBB369_283:                            ;   in Loop: Header=BB369_11 Depth=1
	s_delay_alu instid0(SALU_CYCLE_1) | instskip(SKIP_2) | instid1(VALU_DEP_1)
	s_or_b32 exec_lo, exec_lo, s17
	v_lshrrev_b32_e32 v132, 16, v30
	s_mov_b32 s17, exec_lo
	v_and_b32_e32 v8, 0xff, v132
	s_delay_alu instid0(VALU_DEP_1)
	v_cmpx_ne_u16_e32 0, v8
	s_cbranch_execz .LBB369_291
; %bb.284:                              ;   in Loop: Header=BB369_11 Depth=1
	v_bfrev_b32_e32 v130, 1
	s_mov_b32 s18, exec_lo
	v_cmpx_ne_u16_e32 0x80, v8
	s_cbranch_execz .LBB369_290
; %bb.285:                              ;   in Loop: Header=BB369_11 Depth=1
	v_bfe_u32 v32, v30, 16, 7
	v_mov_b32_e32 v130, 0x7fc02000
	s_mov_b32 s19, exec_lo
	s_delay_alu instid0(VALU_DEP_2)
	v_cmpx_ne_u32_e32 0x7f, v32
	s_cbranch_execz .LBB369_289
; %bb.286:                              ;   in Loop: Header=BB369_11 Depth=1
	v_and_b32_e32 v8, 7, v132
	v_lshrrev_b32_e32 v130, 3, v32
	v_cmp_gt_u32_e64 s1, 8, v32
	s_delay_alu instid0(VALU_DEP_3) | instskip(NEXT) | instid1(VALU_DEP_2)
	v_dual_mov_b32 v33, v9 :: v_dual_mov_b32 v32, v8
	s_and_saveexec_b32 s20, s1
; %bb.287:                              ;   in Loop: Header=BB369_11 Depth=1
	v_clz_i32_u32_e32 v32, v8
	s_delay_alu instid0(VALU_DEP_1) | instskip(NEXT) | instid1(VALU_DEP_1)
	v_min_u32_e32 v130, 32, v32
	v_subrev_nc_u32_e32 v32, 28, v130
	v_sub_nc_u32_e32 v130, 29, v130
	s_delay_alu instid0(VALU_DEP_2) | instskip(NEXT) | instid1(VALU_DEP_1)
	v_lshlrev_b64 v[32:33], v32, v[8:9]
	v_and_b32_e32 v32, 7, v32
; %bb.288:                              ;   in Loop: Header=BB369_11 Depth=1
	s_or_b32 exec_lo, exec_lo, s20
	v_lshlrev_b32_e32 v8, 8, v132
	v_lshl_add_u32 v33, v130, 10, 0x2000
	s_delay_alu instid0(VALU_DEP_1) | instskip(NEXT) | instid1(VALU_DEP_1)
	v_and_or_b32 v8, 0x8000, v8, v33
	v_lshl_or_b32 v8, v32, 7, v8
	s_delay_alu instid0(VALU_DEP_1)
	v_cvt_f32_f16_e64 v130, v8
.LBB369_289:                            ;   in Loop: Header=BB369_11 Depth=1
	s_or_b32 exec_lo, exec_lo, s19
.LBB369_290:                            ;   in Loop: Header=BB369_11 Depth=1
	s_delay_alu instid0(SALU_CYCLE_1)
	s_or_b32 exec_lo, exec_lo, s18
.LBB369_291:                            ;   in Loop: Header=BB369_11 Depth=1
	s_delay_alu instid0(SALU_CYCLE_1)
	s_or_b32 exec_lo, exec_lo, s17
	v_dual_mov_b32 v132, 0 :: v_dual_mov_b32 v133, 0
	s_mov_b32 s17, exec_lo
	v_cmpx_lt_u32_e32 0xffffff, v30
	s_cbranch_execz .LBB369_299
; %bb.292:                              ;   in Loop: Header=BB369_11 Depth=1
	v_lshrrev_b32_e32 v134, 24, v30
	v_bfrev_b32_e32 v133, 1
	s_mov_b32 s18, exec_lo
	s_delay_alu instid0(VALU_DEP_2)
	v_cmpx_ne_u32_e32 0x80, v134
	s_cbranch_execz .LBB369_298
; %bb.293:                              ;   in Loop: Header=BB369_11 Depth=1
	v_and_b32_e32 v32, 0x7f, v134
	v_mov_b32_e32 v133, 0x7fc02000
	s_mov_b32 s19, exec_lo
	s_delay_alu instid0(VALU_DEP_2)
	v_cmpx_ne_u32_e32 0x7f, v32
	s_cbranch_execz .LBB369_297
; %bb.294:                              ;   in Loop: Header=BB369_11 Depth=1
	v_and_b32_e32 v8, 7, v134
	v_lshrrev_b32_e32 v133, 3, v32
	v_cmp_gt_u32_e64 s1, 8, v32
	s_delay_alu instid0(VALU_DEP_3) | instskip(NEXT) | instid1(VALU_DEP_2)
	v_dual_mov_b32 v33, v9 :: v_dual_mov_b32 v32, v8
	s_and_saveexec_b32 s20, s1
; %bb.295:                              ;   in Loop: Header=BB369_11 Depth=1
	v_clz_i32_u32_e32 v32, v8
	s_delay_alu instid0(VALU_DEP_1) | instskip(NEXT) | instid1(VALU_DEP_1)
	v_min_u32_e32 v133, 32, v32
	v_subrev_nc_u32_e32 v32, 28, v133
	v_sub_nc_u32_e32 v133, 29, v133
	s_delay_alu instid0(VALU_DEP_2) | instskip(NEXT) | instid1(VALU_DEP_1)
	v_lshlrev_b64 v[32:33], v32, v[8:9]
	v_and_b32_e32 v32, 7, v32
; %bb.296:                              ;   in Loop: Header=BB369_11 Depth=1
	s_or_b32 exec_lo, exec_lo, s20
	v_lshlrev_b32_e32 v8, 8, v134
	v_lshl_add_u32 v33, v133, 10, 0x2000
	s_delay_alu instid0(VALU_DEP_1) | instskip(NEXT) | instid1(VALU_DEP_1)
	v_and_or_b32 v8, 0x8000, v8, v33
	v_lshl_or_b32 v8, v32, 7, v8
	s_delay_alu instid0(VALU_DEP_1)
	v_cvt_f32_f16_e64 v133, v8
.LBB369_297:                            ;   in Loop: Header=BB369_11 Depth=1
	s_or_b32 exec_lo, exec_lo, s19
.LBB369_298:                            ;   in Loop: Header=BB369_11 Depth=1
	s_delay_alu instid0(SALU_CYCLE_1)
	s_or_b32 exec_lo, exec_lo, s18
.LBB369_299:                            ;   in Loop: Header=BB369_11 Depth=1
	s_delay_alu instid0(SALU_CYCLE_1) | instskip(SKIP_3) | instid1(VALU_DEP_2)
	s_or_b32 exec_lo, exec_lo, s17
	v_and_b32_e32 v32, 0xff, v31
	v_mov_b32_e32 v8, v31
	s_mov_b32 s17, exec_lo
	v_cmpx_ne_u16_e32 0, v32
	s_cbranch_execz .LBB369_307
; %bb.300:                              ;   in Loop: Header=BB369_11 Depth=1
	v_bfrev_b32_e32 v132, 1
	s_mov_b32 s18, exec_lo
	v_cmpx_ne_u16_e32 0x80, v32
	s_cbranch_execz .LBB369_306
; %bb.301:                              ;   in Loop: Header=BB369_11 Depth=1
	v_and_b32_e32 v32, 0x7f, v31
	v_mov_b32_e32 v132, 0x7fc02000
	s_mov_b32 s19, exec_lo
	s_delay_alu instid0(VALU_DEP_2)
	v_cmpx_ne_u32_e32 0x7f, v32
	s_cbranch_execz .LBB369_305
; %bb.302:                              ;   in Loop: Header=BB369_11 Depth=1
	v_lshrrev_b32_e32 v132, 3, v32
	v_cmp_gt_u32_e64 s1, 8, v32
	v_dual_mov_b32 v33, v9 :: v_dual_mov_b32 v32, v8
	s_delay_alu instid0(VALU_DEP_2)
	s_and_saveexec_b32 s20, s1
; %bb.303:                              ;   in Loop: Header=BB369_11 Depth=1
	v_and_b32_e32 v32, 7, v31
	s_delay_alu instid0(VALU_DEP_1) | instskip(NEXT) | instid1(VALU_DEP_1)
	v_clz_i32_u32_e32 v32, v32
	v_min_u32_e32 v132, 32, v32
	s_delay_alu instid0(VALU_DEP_1) | instskip(SKIP_1) | instid1(VALU_DEP_2)
	v_subrev_nc_u32_e32 v32, 28, v132
	v_sub_nc_u32_e32 v132, 29, v132
	v_lshlrev_b64 v[32:33], v32, v[8:9]
; %bb.304:                              ;   in Loop: Header=BB369_11 Depth=1
	s_or_b32 exec_lo, exec_lo, s20
	v_lshlrev_b32_e32 v33, 8, v31
	s_delay_alu instid0(VALU_DEP_3) | instskip(NEXT) | instid1(VALU_DEP_3)
	v_lshl_add_u32 v132, v132, 10, 0x2000
	v_lshlrev_b32_e32 v32, 7, v32
	s_delay_alu instid0(VALU_DEP_2) | instskip(NEXT) | instid1(VALU_DEP_1)
	v_and_or_b32 v33, 0x8000, v33, v132
	v_and_or_b32 v32, 0x380, v32, v33
	s_delay_alu instid0(VALU_DEP_1)
	v_cvt_f32_f16_e64 v132, v32
.LBB369_305:                            ;   in Loop: Header=BB369_11 Depth=1
	s_or_b32 exec_lo, exec_lo, s19
.LBB369_306:                            ;   in Loop: Header=BB369_11 Depth=1
	s_delay_alu instid0(SALU_CYCLE_1)
	s_or_b32 exec_lo, exec_lo, s18
.LBB369_307:                            ;   in Loop: Header=BB369_11 Depth=1
	s_delay_alu instid0(SALU_CYCLE_1) | instskip(SKIP_3) | instid1(VALU_DEP_2)
	s_or_b32 exec_lo, exec_lo, s17
	v_lshrrev_b16 v8, 8, v8
	v_dual_mov_b32 v134, 0 :: v_dual_mov_b32 v135, 0
	s_mov_b32 s17, exec_lo
	v_cmpx_ne_u16_e32 0, v8
	s_cbranch_execz .LBB369_315
; %bb.308:                              ;   in Loop: Header=BB369_11 Depth=1
	v_bfrev_b32_e32 v135, 1
	s_mov_b32 s18, exec_lo
	v_cmpx_ne_u16_e32 0x80, v8
	s_cbranch_execz .LBB369_314
; %bb.309:                              ;   in Loop: Header=BB369_11 Depth=1
	v_and_b32_e32 v144, 0xffff, v8
	v_mov_b32_e32 v135, 0x7fc02000
	s_mov_b32 s19, exec_lo
	s_delay_alu instid0(VALU_DEP_2) | instskip(NEXT) | instid1(VALU_DEP_1)
	v_and_b32_e32 v32, 0x7f, v144
	v_cmpx_ne_u32_e32 0x7f, v32
	s_cbranch_execz .LBB369_313
; %bb.310:                              ;   in Loop: Header=BB369_11 Depth=1
	v_and_b32_e32 v8, 7, v144
	v_lshrrev_b32_e32 v135, 3, v32
	v_cmp_gt_u32_e64 s1, 8, v32
	s_delay_alu instid0(VALU_DEP_3) | instskip(NEXT) | instid1(VALU_DEP_2)
	v_dual_mov_b32 v33, v9 :: v_dual_mov_b32 v32, v8
	s_and_saveexec_b32 s20, s1
; %bb.311:                              ;   in Loop: Header=BB369_11 Depth=1
	v_clz_i32_u32_e32 v32, v8
	s_delay_alu instid0(VALU_DEP_1) | instskip(NEXT) | instid1(VALU_DEP_1)
	v_min_u32_e32 v135, 32, v32
	v_subrev_nc_u32_e32 v32, 28, v135
	v_sub_nc_u32_e32 v135, 29, v135
	s_delay_alu instid0(VALU_DEP_2) | instskip(NEXT) | instid1(VALU_DEP_1)
	v_lshlrev_b64 v[32:33], v32, v[8:9]
	v_and_b32_e32 v32, 7, v32
; %bb.312:                              ;   in Loop: Header=BB369_11 Depth=1
	s_or_b32 exec_lo, exec_lo, s20
	v_lshlrev_b32_e32 v8, 8, v144
	v_lshl_add_u32 v33, v135, 10, 0x2000
	s_delay_alu instid0(VALU_DEP_1) | instskip(NEXT) | instid1(VALU_DEP_1)
	v_and_or_b32 v8, 0x8000, v8, v33
	v_lshl_or_b32 v8, v32, 7, v8
	s_delay_alu instid0(VALU_DEP_1)
	v_cvt_f32_f16_e64 v135, v8
.LBB369_313:                            ;   in Loop: Header=BB369_11 Depth=1
	s_or_b32 exec_lo, exec_lo, s19
.LBB369_314:                            ;   in Loop: Header=BB369_11 Depth=1
	s_delay_alu instid0(SALU_CYCLE_1)
	s_or_b32 exec_lo, exec_lo, s18
.LBB369_315:                            ;   in Loop: Header=BB369_11 Depth=1
	s_delay_alu instid0(SALU_CYCLE_1) | instskip(SKIP_2) | instid1(VALU_DEP_1)
	s_or_b32 exec_lo, exec_lo, s17
	v_lshrrev_b32_e32 v144, 16, v31
	s_mov_b32 s17, exec_lo
	v_and_b32_e32 v8, 0xff, v144
	s_delay_alu instid0(VALU_DEP_1)
	v_cmpx_ne_u16_e32 0, v8
	s_cbranch_execz .LBB369_323
; %bb.316:                              ;   in Loop: Header=BB369_11 Depth=1
	v_bfrev_b32_e32 v134, 1
	s_mov_b32 s18, exec_lo
	v_cmpx_ne_u16_e32 0x80, v8
	s_cbranch_execz .LBB369_322
; %bb.317:                              ;   in Loop: Header=BB369_11 Depth=1
	v_bfe_u32 v32, v31, 16, 7
	v_mov_b32_e32 v134, 0x7fc02000
	s_mov_b32 s19, exec_lo
	s_delay_alu instid0(VALU_DEP_2)
	v_cmpx_ne_u32_e32 0x7f, v32
	s_cbranch_execz .LBB369_321
; %bb.318:                              ;   in Loop: Header=BB369_11 Depth=1
	v_and_b32_e32 v8, 7, v144
	v_lshrrev_b32_e32 v134, 3, v32
	v_cmp_gt_u32_e64 s1, 8, v32
	s_delay_alu instid0(VALU_DEP_3) | instskip(NEXT) | instid1(VALU_DEP_2)
	v_dual_mov_b32 v33, v9 :: v_dual_mov_b32 v32, v8
	s_and_saveexec_b32 s20, s1
; %bb.319:                              ;   in Loop: Header=BB369_11 Depth=1
	v_clz_i32_u32_e32 v32, v8
	s_delay_alu instid0(VALU_DEP_1) | instskip(NEXT) | instid1(VALU_DEP_1)
	v_min_u32_e32 v134, 32, v32
	v_subrev_nc_u32_e32 v32, 28, v134
	v_sub_nc_u32_e32 v134, 29, v134
	s_delay_alu instid0(VALU_DEP_2) | instskip(NEXT) | instid1(VALU_DEP_1)
	v_lshlrev_b64 v[32:33], v32, v[8:9]
	v_and_b32_e32 v32, 7, v32
; %bb.320:                              ;   in Loop: Header=BB369_11 Depth=1
	s_or_b32 exec_lo, exec_lo, s20
	v_lshlrev_b32_e32 v8, 8, v144
	v_lshl_add_u32 v33, v134, 10, 0x2000
	s_delay_alu instid0(VALU_DEP_1) | instskip(NEXT) | instid1(VALU_DEP_1)
	v_and_or_b32 v8, 0x8000, v8, v33
	v_lshl_or_b32 v8, v32, 7, v8
	s_delay_alu instid0(VALU_DEP_1)
	v_cvt_f32_f16_e64 v134, v8
.LBB369_321:                            ;   in Loop: Header=BB369_11 Depth=1
	s_or_b32 exec_lo, exec_lo, s19
.LBB369_322:                            ;   in Loop: Header=BB369_11 Depth=1
	s_delay_alu instid0(SALU_CYCLE_1)
	s_or_b32 exec_lo, exec_lo, s18
.LBB369_323:                            ;   in Loop: Header=BB369_11 Depth=1
	s_delay_alu instid0(SALU_CYCLE_1)
	s_or_b32 exec_lo, exec_lo, s17
	v_dual_mov_b32 v145, 0 :: v_dual_mov_b32 v144, 0
	s_mov_b32 s17, exec_lo
	v_cmpx_lt_u64_e64 s[2:3], v[30:31]
	s_cbranch_execz .LBB369_331
; %bb.324:                              ;   in Loop: Header=BB369_11 Depth=1
	v_lshrrev_b32_e32 v32, 24, v31
	v_bfrev_b32_e32 v144, 1
	s_mov_b32 s18, exec_lo
	s_delay_alu instid0(VALU_DEP_2)
	v_cmpx_ne_u32_e32 0x80, v32
	s_cbranch_execz .LBB369_330
; %bb.325:                              ;   in Loop: Header=BB369_11 Depth=1
	v_and_b32_e32 v30, 0x7f, v32
	v_mov_b32_e32 v144, 0x7fc02000
	s_mov_b32 s19, exec_lo
	s_delay_alu instid0(VALU_DEP_2)
	v_cmpx_ne_u32_e32 0x7f, v30
	s_cbranch_execz .LBB369_329
; %bb.326:                              ;   in Loop: Header=BB369_11 Depth=1
	v_and_b32_e32 v8, 7, v32
	v_lshrrev_b32_e32 v33, 3, v30
	v_cmp_gt_u32_e64 s1, 8, v30
	s_delay_alu instid0(VALU_DEP_3) | instskip(NEXT) | instid1(VALU_DEP_2)
	v_dual_mov_b32 v31, v9 :: v_dual_mov_b32 v30, v8
	s_and_saveexec_b32 s20, s1
; %bb.327:                              ;   in Loop: Header=BB369_11 Depth=1
	v_clz_i32_u32_e32 v30, v8
	s_delay_alu instid0(VALU_DEP_1) | instskip(NEXT) | instid1(VALU_DEP_1)
	v_min_u32_e32 v33, 32, v30
	v_subrev_nc_u32_e32 v30, 28, v33
	v_sub_nc_u32_e32 v33, 29, v33
	s_delay_alu instid0(VALU_DEP_2) | instskip(NEXT) | instid1(VALU_DEP_1)
	v_lshlrev_b64 v[30:31], v30, v[8:9]
	v_and_b32_e32 v30, 7, v30
; %bb.328:                              ;   in Loop: Header=BB369_11 Depth=1
	s_or_b32 exec_lo, exec_lo, s20
	v_lshlrev_b32_e32 v8, 8, v32
	v_lshl_add_u32 v31, v33, 10, 0x2000
	s_delay_alu instid0(VALU_DEP_1) | instskip(NEXT) | instid1(VALU_DEP_1)
	v_and_or_b32 v8, 0x8000, v8, v31
	v_lshl_or_b32 v8, v30, 7, v8
	s_delay_alu instid0(VALU_DEP_1)
	v_cvt_f32_f16_e64 v144, v8
.LBB369_329:                            ;   in Loop: Header=BB369_11 Depth=1
	s_or_b32 exec_lo, exec_lo, s19
.LBB369_330:                            ;   in Loop: Header=BB369_11 Depth=1
	s_delay_alu instid0(SALU_CYCLE_1)
	s_or_b32 exec_lo, exec_lo, s18
.LBB369_331:                            ;   in Loop: Header=BB369_11 Depth=1
	s_delay_alu instid0(SALU_CYCLE_1) | instskip(SKIP_4) | instid1(VALU_DEP_1)
	s_or_b32 exec_lo, exec_lo, s17
	flat_load_b64 v[30:31], v[28:29] offset:1032
	s_mov_b32 s17, exec_lo
	s_waitcnt vmcnt(0) lgkmcnt(0)
	v_and_b32_e32 v8, 0xff, v30
	v_cmpx_ne_u16_e32 0, v8
	s_cbranch_execz .LBB369_339
; %bb.332:                              ;   in Loop: Header=BB369_11 Depth=1
	v_bfrev_b32_e32 v145, 1
	s_mov_b32 s18, exec_lo
	v_cmpx_ne_u16_e32 0x80, v8
	s_cbranch_execz .LBB369_338
; %bb.333:                              ;   in Loop: Header=BB369_11 Depth=1
	v_and_b32_e32 v32, 0x7f, v30
	v_mov_b32_e32 v145, 0x7fc02000
	s_mov_b32 s19, exec_lo
	s_delay_alu instid0(VALU_DEP_2)
	v_cmpx_ne_u32_e32 0x7f, v32
	s_cbranch_execz .LBB369_337
; %bb.334:                              ;   in Loop: Header=BB369_11 Depth=1
	v_lshrrev_b32_e32 v8, 3, v32
	v_cmp_gt_u32_e64 s1, 8, v32
	v_dual_mov_b32 v33, v31 :: v_dual_mov_b32 v32, v30
	s_delay_alu instid0(VALU_DEP_2)
	s_and_saveexec_b32 s20, s1
; %bb.335:                              ;   in Loop: Header=BB369_11 Depth=1
	v_and_b32_e32 v8, 7, v30
	s_delay_alu instid0(VALU_DEP_1) | instskip(NEXT) | instid1(VALU_DEP_1)
	v_clz_i32_u32_e32 v8, v8
	v_min_u32_e32 v8, 32, v8
	s_delay_alu instid0(VALU_DEP_1) | instskip(SKIP_1) | instid1(VALU_DEP_2)
	v_subrev_nc_u32_e32 v32, 28, v8
	v_sub_nc_u32_e32 v8, 29, v8
	v_lshlrev_b64 v[32:33], v32, v[30:31]
; %bb.336:                              ;   in Loop: Header=BB369_11 Depth=1
	s_or_b32 exec_lo, exec_lo, s20
	v_lshlrev_b32_e32 v33, 8, v30
	s_delay_alu instid0(VALU_DEP_3) | instskip(NEXT) | instid1(VALU_DEP_3)
	v_lshl_add_u32 v8, v8, 10, 0x2000
	v_lshlrev_b32_e32 v32, 7, v32
	s_delay_alu instid0(VALU_DEP_2) | instskip(NEXT) | instid1(VALU_DEP_1)
	v_and_or_b32 v8, 0x8000, v33, v8
	v_and_or_b32 v8, 0x380, v32, v8
	s_delay_alu instid0(VALU_DEP_1)
	v_cvt_f32_f16_e64 v145, v8
.LBB369_337:                            ;   in Loop: Header=BB369_11 Depth=1
	s_or_b32 exec_lo, exec_lo, s19
.LBB369_338:                            ;   in Loop: Header=BB369_11 Depth=1
	s_delay_alu instid0(SALU_CYCLE_1)
	s_or_b32 exec_lo, exec_lo, s18
.LBB369_339:                            ;   in Loop: Header=BB369_11 Depth=1
	s_delay_alu instid0(SALU_CYCLE_1) | instskip(SKIP_3) | instid1(VALU_DEP_2)
	s_or_b32 exec_lo, exec_lo, s17
	v_lshrrev_b16 v8, 8, v30
	v_dual_mov_b32 v146, 0 :: v_dual_mov_b32 v147, 0
	s_mov_b32 s17, exec_lo
	v_cmpx_ne_u16_e32 0, v8
	s_cbranch_execz .LBB369_347
; %bb.340:                              ;   in Loop: Header=BB369_11 Depth=1
	v_bfrev_b32_e32 v147, 1
	s_mov_b32 s18, exec_lo
	v_cmpx_ne_u16_e32 0x80, v8
	s_cbranch_execz .LBB369_346
; %bb.341:                              ;   in Loop: Header=BB369_11 Depth=1
	v_and_b32_e32 v148, 0xffff, v8
	v_mov_b32_e32 v147, 0x7fc02000
	s_mov_b32 s19, exec_lo
	s_delay_alu instid0(VALU_DEP_2) | instskip(NEXT) | instid1(VALU_DEP_1)
	v_and_b32_e32 v32, 0x7f, v148
	v_cmpx_ne_u32_e32 0x7f, v32
	s_cbranch_execz .LBB369_345
; %bb.342:                              ;   in Loop: Header=BB369_11 Depth=1
	v_and_b32_e32 v8, 7, v148
	v_lshrrev_b32_e32 v147, 3, v32
	v_cmp_gt_u32_e64 s1, 8, v32
	s_delay_alu instid0(VALU_DEP_3) | instskip(NEXT) | instid1(VALU_DEP_2)
	v_dual_mov_b32 v33, v9 :: v_dual_mov_b32 v32, v8
	s_and_saveexec_b32 s20, s1
; %bb.343:                              ;   in Loop: Header=BB369_11 Depth=1
	v_clz_i32_u32_e32 v32, v8
	s_delay_alu instid0(VALU_DEP_1) | instskip(NEXT) | instid1(VALU_DEP_1)
	v_min_u32_e32 v147, 32, v32
	v_subrev_nc_u32_e32 v32, 28, v147
	v_sub_nc_u32_e32 v147, 29, v147
	s_delay_alu instid0(VALU_DEP_2) | instskip(NEXT) | instid1(VALU_DEP_1)
	v_lshlrev_b64 v[32:33], v32, v[8:9]
	v_and_b32_e32 v32, 7, v32
; %bb.344:                              ;   in Loop: Header=BB369_11 Depth=1
	s_or_b32 exec_lo, exec_lo, s20
	v_lshlrev_b32_e32 v8, 8, v148
	v_lshl_add_u32 v33, v147, 10, 0x2000
	s_delay_alu instid0(VALU_DEP_1) | instskip(NEXT) | instid1(VALU_DEP_1)
	v_and_or_b32 v8, 0x8000, v8, v33
	v_lshl_or_b32 v8, v32, 7, v8
	s_delay_alu instid0(VALU_DEP_1)
	v_cvt_f32_f16_e64 v147, v8
.LBB369_345:                            ;   in Loop: Header=BB369_11 Depth=1
	s_or_b32 exec_lo, exec_lo, s19
.LBB369_346:                            ;   in Loop: Header=BB369_11 Depth=1
	s_delay_alu instid0(SALU_CYCLE_1)
	s_or_b32 exec_lo, exec_lo, s18
.LBB369_347:                            ;   in Loop: Header=BB369_11 Depth=1
	s_delay_alu instid0(SALU_CYCLE_1) | instskip(SKIP_2) | instid1(VALU_DEP_1)
	s_or_b32 exec_lo, exec_lo, s17
	v_lshrrev_b32_e32 v148, 16, v30
	s_mov_b32 s17, exec_lo
	v_and_b32_e32 v8, 0xff, v148
	s_delay_alu instid0(VALU_DEP_1)
	v_cmpx_ne_u16_e32 0, v8
	s_cbranch_execz .LBB369_355
; %bb.348:                              ;   in Loop: Header=BB369_11 Depth=1
	v_bfrev_b32_e32 v146, 1
	s_mov_b32 s18, exec_lo
	v_cmpx_ne_u16_e32 0x80, v8
	s_cbranch_execz .LBB369_354
; %bb.349:                              ;   in Loop: Header=BB369_11 Depth=1
	v_bfe_u32 v32, v30, 16, 7
	v_mov_b32_e32 v146, 0x7fc02000
	s_mov_b32 s19, exec_lo
	s_delay_alu instid0(VALU_DEP_2)
	v_cmpx_ne_u32_e32 0x7f, v32
	s_cbranch_execz .LBB369_353
; %bb.350:                              ;   in Loop: Header=BB369_11 Depth=1
	v_and_b32_e32 v8, 7, v148
	v_lshrrev_b32_e32 v146, 3, v32
	v_cmp_gt_u32_e64 s1, 8, v32
	s_delay_alu instid0(VALU_DEP_3) | instskip(NEXT) | instid1(VALU_DEP_2)
	v_dual_mov_b32 v33, v9 :: v_dual_mov_b32 v32, v8
	s_and_saveexec_b32 s20, s1
; %bb.351:                              ;   in Loop: Header=BB369_11 Depth=1
	v_clz_i32_u32_e32 v32, v8
	s_delay_alu instid0(VALU_DEP_1) | instskip(NEXT) | instid1(VALU_DEP_1)
	v_min_u32_e32 v146, 32, v32
	v_subrev_nc_u32_e32 v32, 28, v146
	v_sub_nc_u32_e32 v146, 29, v146
	s_delay_alu instid0(VALU_DEP_2) | instskip(NEXT) | instid1(VALU_DEP_1)
	v_lshlrev_b64 v[32:33], v32, v[8:9]
	v_and_b32_e32 v32, 7, v32
; %bb.352:                              ;   in Loop: Header=BB369_11 Depth=1
	s_or_b32 exec_lo, exec_lo, s20
	v_lshlrev_b32_e32 v8, 8, v148
	v_lshl_add_u32 v33, v146, 10, 0x2000
	s_delay_alu instid0(VALU_DEP_1) | instskip(NEXT) | instid1(VALU_DEP_1)
	v_and_or_b32 v8, 0x8000, v8, v33
	v_lshl_or_b32 v8, v32, 7, v8
	s_delay_alu instid0(VALU_DEP_1)
	v_cvt_f32_f16_e64 v146, v8
.LBB369_353:                            ;   in Loop: Header=BB369_11 Depth=1
	s_or_b32 exec_lo, exec_lo, s19
.LBB369_354:                            ;   in Loop: Header=BB369_11 Depth=1
	s_delay_alu instid0(SALU_CYCLE_1)
	s_or_b32 exec_lo, exec_lo, s18
.LBB369_355:                            ;   in Loop: Header=BB369_11 Depth=1
	s_delay_alu instid0(SALU_CYCLE_1)
	s_or_b32 exec_lo, exec_lo, s17
	v_dual_mov_b32 v148, 0 :: v_dual_mov_b32 v149, 0
	s_mov_b32 s17, exec_lo
	v_cmpx_lt_u32_e32 0xffffff, v30
	s_cbranch_execz .LBB369_363
; %bb.356:                              ;   in Loop: Header=BB369_11 Depth=1
	v_lshrrev_b32_e32 v150, 24, v30
	v_bfrev_b32_e32 v149, 1
	s_mov_b32 s18, exec_lo
	s_delay_alu instid0(VALU_DEP_2)
	v_cmpx_ne_u32_e32 0x80, v150
	s_cbranch_execz .LBB369_362
; %bb.357:                              ;   in Loop: Header=BB369_11 Depth=1
	v_and_b32_e32 v32, 0x7f, v150
	v_mov_b32_e32 v149, 0x7fc02000
	s_mov_b32 s19, exec_lo
	s_delay_alu instid0(VALU_DEP_2)
	v_cmpx_ne_u32_e32 0x7f, v32
	s_cbranch_execz .LBB369_361
; %bb.358:                              ;   in Loop: Header=BB369_11 Depth=1
	v_and_b32_e32 v8, 7, v150
	v_lshrrev_b32_e32 v149, 3, v32
	v_cmp_gt_u32_e64 s1, 8, v32
	s_delay_alu instid0(VALU_DEP_3) | instskip(NEXT) | instid1(VALU_DEP_2)
	v_dual_mov_b32 v33, v9 :: v_dual_mov_b32 v32, v8
	s_and_saveexec_b32 s20, s1
; %bb.359:                              ;   in Loop: Header=BB369_11 Depth=1
	v_clz_i32_u32_e32 v32, v8
	s_delay_alu instid0(VALU_DEP_1) | instskip(NEXT) | instid1(VALU_DEP_1)
	v_min_u32_e32 v149, 32, v32
	v_subrev_nc_u32_e32 v32, 28, v149
	v_sub_nc_u32_e32 v149, 29, v149
	s_delay_alu instid0(VALU_DEP_2) | instskip(NEXT) | instid1(VALU_DEP_1)
	v_lshlrev_b64 v[32:33], v32, v[8:9]
	v_and_b32_e32 v32, 7, v32
; %bb.360:                              ;   in Loop: Header=BB369_11 Depth=1
	s_or_b32 exec_lo, exec_lo, s20
	v_lshlrev_b32_e32 v8, 8, v150
	v_lshl_add_u32 v33, v149, 10, 0x2000
	s_delay_alu instid0(VALU_DEP_1) | instskip(NEXT) | instid1(VALU_DEP_1)
	v_and_or_b32 v8, 0x8000, v8, v33
	v_lshl_or_b32 v8, v32, 7, v8
	s_delay_alu instid0(VALU_DEP_1)
	v_cvt_f32_f16_e64 v149, v8
.LBB369_361:                            ;   in Loop: Header=BB369_11 Depth=1
	s_or_b32 exec_lo, exec_lo, s19
.LBB369_362:                            ;   in Loop: Header=BB369_11 Depth=1
	s_delay_alu instid0(SALU_CYCLE_1)
	s_or_b32 exec_lo, exec_lo, s18
.LBB369_363:                            ;   in Loop: Header=BB369_11 Depth=1
	s_delay_alu instid0(SALU_CYCLE_1) | instskip(SKIP_3) | instid1(VALU_DEP_2)
	s_or_b32 exec_lo, exec_lo, s17
	v_and_b32_e32 v32, 0xff, v31
	v_mov_b32_e32 v8, v31
	s_mov_b32 s17, exec_lo
	v_cmpx_ne_u16_e32 0, v32
	s_cbranch_execz .LBB369_371
; %bb.364:                              ;   in Loop: Header=BB369_11 Depth=1
	v_bfrev_b32_e32 v148, 1
	s_mov_b32 s18, exec_lo
	v_cmpx_ne_u16_e32 0x80, v32
	s_cbranch_execz .LBB369_370
; %bb.365:                              ;   in Loop: Header=BB369_11 Depth=1
	v_and_b32_e32 v32, 0x7f, v31
	v_mov_b32_e32 v148, 0x7fc02000
	s_mov_b32 s19, exec_lo
	s_delay_alu instid0(VALU_DEP_2)
	v_cmpx_ne_u32_e32 0x7f, v32
	s_cbranch_execz .LBB369_369
; %bb.366:                              ;   in Loop: Header=BB369_11 Depth=1
	v_lshrrev_b32_e32 v148, 3, v32
	v_cmp_gt_u32_e64 s1, 8, v32
	v_dual_mov_b32 v33, v9 :: v_dual_mov_b32 v32, v8
	s_delay_alu instid0(VALU_DEP_2)
	s_and_saveexec_b32 s20, s1
; %bb.367:                              ;   in Loop: Header=BB369_11 Depth=1
	v_and_b32_e32 v32, 7, v31
	s_delay_alu instid0(VALU_DEP_1) | instskip(NEXT) | instid1(VALU_DEP_1)
	v_clz_i32_u32_e32 v32, v32
	v_min_u32_e32 v148, 32, v32
	s_delay_alu instid0(VALU_DEP_1) | instskip(SKIP_1) | instid1(VALU_DEP_2)
	v_subrev_nc_u32_e32 v32, 28, v148
	v_sub_nc_u32_e32 v148, 29, v148
	v_lshlrev_b64 v[32:33], v32, v[8:9]
; %bb.368:                              ;   in Loop: Header=BB369_11 Depth=1
	s_or_b32 exec_lo, exec_lo, s20
	v_lshlrev_b32_e32 v33, 8, v31
	s_delay_alu instid0(VALU_DEP_3) | instskip(NEXT) | instid1(VALU_DEP_3)
	v_lshl_add_u32 v148, v148, 10, 0x2000
	v_lshlrev_b32_e32 v32, 7, v32
	s_delay_alu instid0(VALU_DEP_2) | instskip(NEXT) | instid1(VALU_DEP_1)
	v_and_or_b32 v33, 0x8000, v33, v148
	v_and_or_b32 v32, 0x380, v32, v33
	s_delay_alu instid0(VALU_DEP_1)
	v_cvt_f32_f16_e64 v148, v32
.LBB369_369:                            ;   in Loop: Header=BB369_11 Depth=1
	s_or_b32 exec_lo, exec_lo, s19
.LBB369_370:                            ;   in Loop: Header=BB369_11 Depth=1
	s_delay_alu instid0(SALU_CYCLE_1)
	s_or_b32 exec_lo, exec_lo, s18
.LBB369_371:                            ;   in Loop: Header=BB369_11 Depth=1
	s_delay_alu instid0(SALU_CYCLE_1) | instskip(SKIP_3) | instid1(VALU_DEP_2)
	s_or_b32 exec_lo, exec_lo, s17
	v_lshrrev_b16 v8, 8, v8
	v_dual_mov_b32 v150, 0 :: v_dual_mov_b32 v151, 0
	s_mov_b32 s17, exec_lo
	v_cmpx_ne_u16_e32 0, v8
	s_cbranch_execz .LBB369_379
; %bb.372:                              ;   in Loop: Header=BB369_11 Depth=1
	v_bfrev_b32_e32 v151, 1
	s_mov_b32 s18, exec_lo
	v_cmpx_ne_u16_e32 0x80, v8
	s_cbranch_execz .LBB369_378
; %bb.373:                              ;   in Loop: Header=BB369_11 Depth=1
	v_and_b32_e32 v160, 0xffff, v8
	v_mov_b32_e32 v151, 0x7fc02000
	s_mov_b32 s19, exec_lo
	s_delay_alu instid0(VALU_DEP_2) | instskip(NEXT) | instid1(VALU_DEP_1)
	v_and_b32_e32 v32, 0x7f, v160
	v_cmpx_ne_u32_e32 0x7f, v32
	s_cbranch_execz .LBB369_377
; %bb.374:                              ;   in Loop: Header=BB369_11 Depth=1
	v_and_b32_e32 v8, 7, v160
	v_lshrrev_b32_e32 v151, 3, v32
	v_cmp_gt_u32_e64 s1, 8, v32
	s_delay_alu instid0(VALU_DEP_3) | instskip(NEXT) | instid1(VALU_DEP_2)
	v_dual_mov_b32 v33, v9 :: v_dual_mov_b32 v32, v8
	s_and_saveexec_b32 s20, s1
; %bb.375:                              ;   in Loop: Header=BB369_11 Depth=1
	v_clz_i32_u32_e32 v32, v8
	s_delay_alu instid0(VALU_DEP_1) | instskip(NEXT) | instid1(VALU_DEP_1)
	v_min_u32_e32 v151, 32, v32
	v_subrev_nc_u32_e32 v32, 28, v151
	v_sub_nc_u32_e32 v151, 29, v151
	s_delay_alu instid0(VALU_DEP_2) | instskip(NEXT) | instid1(VALU_DEP_1)
	v_lshlrev_b64 v[32:33], v32, v[8:9]
	v_and_b32_e32 v32, 7, v32
; %bb.376:                              ;   in Loop: Header=BB369_11 Depth=1
	s_or_b32 exec_lo, exec_lo, s20
	v_lshlrev_b32_e32 v8, 8, v160
	v_lshl_add_u32 v33, v151, 10, 0x2000
	s_delay_alu instid0(VALU_DEP_1) | instskip(NEXT) | instid1(VALU_DEP_1)
	v_and_or_b32 v8, 0x8000, v8, v33
	v_lshl_or_b32 v8, v32, 7, v8
	s_delay_alu instid0(VALU_DEP_1)
	v_cvt_f32_f16_e64 v151, v8
.LBB369_377:                            ;   in Loop: Header=BB369_11 Depth=1
	s_or_b32 exec_lo, exec_lo, s19
.LBB369_378:                            ;   in Loop: Header=BB369_11 Depth=1
	s_delay_alu instid0(SALU_CYCLE_1)
	s_or_b32 exec_lo, exec_lo, s18
.LBB369_379:                            ;   in Loop: Header=BB369_11 Depth=1
	s_delay_alu instid0(SALU_CYCLE_1) | instskip(SKIP_2) | instid1(VALU_DEP_1)
	s_or_b32 exec_lo, exec_lo, s17
	v_lshrrev_b32_e32 v160, 16, v31
	s_mov_b32 s17, exec_lo
	v_and_b32_e32 v8, 0xff, v160
	s_delay_alu instid0(VALU_DEP_1)
	v_cmpx_ne_u16_e32 0, v8
	s_cbranch_execz .LBB369_387
; %bb.380:                              ;   in Loop: Header=BB369_11 Depth=1
	v_bfrev_b32_e32 v150, 1
	s_mov_b32 s18, exec_lo
	v_cmpx_ne_u16_e32 0x80, v8
	s_cbranch_execz .LBB369_386
; %bb.381:                              ;   in Loop: Header=BB369_11 Depth=1
	v_bfe_u32 v32, v31, 16, 7
	v_mov_b32_e32 v150, 0x7fc02000
	s_mov_b32 s19, exec_lo
	s_delay_alu instid0(VALU_DEP_2)
	v_cmpx_ne_u32_e32 0x7f, v32
	s_cbranch_execz .LBB369_385
; %bb.382:                              ;   in Loop: Header=BB369_11 Depth=1
	v_and_b32_e32 v8, 7, v160
	v_lshrrev_b32_e32 v150, 3, v32
	v_cmp_gt_u32_e64 s1, 8, v32
	s_delay_alu instid0(VALU_DEP_3) | instskip(NEXT) | instid1(VALU_DEP_2)
	v_dual_mov_b32 v33, v9 :: v_dual_mov_b32 v32, v8
	s_and_saveexec_b32 s20, s1
; %bb.383:                              ;   in Loop: Header=BB369_11 Depth=1
	v_clz_i32_u32_e32 v32, v8
	s_delay_alu instid0(VALU_DEP_1) | instskip(NEXT) | instid1(VALU_DEP_1)
	v_min_u32_e32 v150, 32, v32
	v_subrev_nc_u32_e32 v32, 28, v150
	v_sub_nc_u32_e32 v150, 29, v150
	s_delay_alu instid0(VALU_DEP_2) | instskip(NEXT) | instid1(VALU_DEP_1)
	v_lshlrev_b64 v[32:33], v32, v[8:9]
	v_and_b32_e32 v32, 7, v32
; %bb.384:                              ;   in Loop: Header=BB369_11 Depth=1
	s_or_b32 exec_lo, exec_lo, s20
	v_lshlrev_b32_e32 v8, 8, v160
	v_lshl_add_u32 v33, v150, 10, 0x2000
	s_delay_alu instid0(VALU_DEP_1) | instskip(NEXT) | instid1(VALU_DEP_1)
	v_and_or_b32 v8, 0x8000, v8, v33
	v_lshl_or_b32 v8, v32, 7, v8
	s_delay_alu instid0(VALU_DEP_1)
	v_cvt_f32_f16_e64 v150, v8
.LBB369_385:                            ;   in Loop: Header=BB369_11 Depth=1
	s_or_b32 exec_lo, exec_lo, s19
.LBB369_386:                            ;   in Loop: Header=BB369_11 Depth=1
	s_delay_alu instid0(SALU_CYCLE_1)
	s_or_b32 exec_lo, exec_lo, s18
.LBB369_387:                            ;   in Loop: Header=BB369_11 Depth=1
	s_delay_alu instid0(SALU_CYCLE_1)
	s_or_b32 exec_lo, exec_lo, s17
	v_dual_mov_b32 v161, 0 :: v_dual_mov_b32 v160, 0
	s_mov_b32 s17, exec_lo
	v_cmpx_lt_u64_e64 s[2:3], v[30:31]
	s_cbranch_execz .LBB369_395
; %bb.388:                              ;   in Loop: Header=BB369_11 Depth=1
	v_lshrrev_b32_e32 v32, 24, v31
	v_bfrev_b32_e32 v160, 1
	s_mov_b32 s18, exec_lo
	s_delay_alu instid0(VALU_DEP_2)
	v_cmpx_ne_u32_e32 0x80, v32
	s_cbranch_execz .LBB369_394
; %bb.389:                              ;   in Loop: Header=BB369_11 Depth=1
	v_and_b32_e32 v30, 0x7f, v32
	v_mov_b32_e32 v160, 0x7fc02000
	s_mov_b32 s19, exec_lo
	s_delay_alu instid0(VALU_DEP_2)
	v_cmpx_ne_u32_e32 0x7f, v30
	s_cbranch_execz .LBB369_393
; %bb.390:                              ;   in Loop: Header=BB369_11 Depth=1
	v_and_b32_e32 v8, 7, v32
	v_lshrrev_b32_e32 v33, 3, v30
	v_cmp_gt_u32_e64 s1, 8, v30
	s_delay_alu instid0(VALU_DEP_3) | instskip(NEXT) | instid1(VALU_DEP_2)
	v_dual_mov_b32 v31, v9 :: v_dual_mov_b32 v30, v8
	s_and_saveexec_b32 s20, s1
; %bb.391:                              ;   in Loop: Header=BB369_11 Depth=1
	v_clz_i32_u32_e32 v30, v8
	s_delay_alu instid0(VALU_DEP_1) | instskip(NEXT) | instid1(VALU_DEP_1)
	v_min_u32_e32 v33, 32, v30
	v_subrev_nc_u32_e32 v30, 28, v33
	v_sub_nc_u32_e32 v33, 29, v33
	s_delay_alu instid0(VALU_DEP_2) | instskip(NEXT) | instid1(VALU_DEP_1)
	v_lshlrev_b64 v[30:31], v30, v[8:9]
	v_and_b32_e32 v30, 7, v30
; %bb.392:                              ;   in Loop: Header=BB369_11 Depth=1
	s_or_b32 exec_lo, exec_lo, s20
	v_lshlrev_b32_e32 v8, 8, v32
	v_lshl_add_u32 v31, v33, 10, 0x2000
	s_delay_alu instid0(VALU_DEP_1) | instskip(NEXT) | instid1(VALU_DEP_1)
	v_and_or_b32 v8, 0x8000, v8, v31
	v_lshl_or_b32 v8, v30, 7, v8
	s_delay_alu instid0(VALU_DEP_1)
	v_cvt_f32_f16_e64 v160, v8
.LBB369_393:                            ;   in Loop: Header=BB369_11 Depth=1
	s_or_b32 exec_lo, exec_lo, s19
.LBB369_394:                            ;   in Loop: Header=BB369_11 Depth=1
	s_delay_alu instid0(SALU_CYCLE_1)
	s_or_b32 exec_lo, exec_lo, s18
.LBB369_395:                            ;   in Loop: Header=BB369_11 Depth=1
	s_delay_alu instid0(SALU_CYCLE_1) | instskip(SKIP_4) | instid1(VALU_DEP_1)
	s_or_b32 exec_lo, exec_lo, s17
	flat_load_b64 v[30:31], v[28:29] offset:1536
	s_mov_b32 s17, exec_lo
	s_waitcnt vmcnt(0) lgkmcnt(0)
	v_and_b32_e32 v8, 0xff, v30
	v_cmpx_ne_u16_e32 0, v8
	s_cbranch_execz .LBB369_403
; %bb.396:                              ;   in Loop: Header=BB369_11 Depth=1
	v_bfrev_b32_e32 v161, 1
	s_mov_b32 s18, exec_lo
	v_cmpx_ne_u16_e32 0x80, v8
	s_cbranch_execz .LBB369_402
; %bb.397:                              ;   in Loop: Header=BB369_11 Depth=1
	v_and_b32_e32 v32, 0x7f, v30
	v_mov_b32_e32 v161, 0x7fc02000
	s_mov_b32 s19, exec_lo
	s_delay_alu instid0(VALU_DEP_2)
	v_cmpx_ne_u32_e32 0x7f, v32
	s_cbranch_execz .LBB369_401
; %bb.398:                              ;   in Loop: Header=BB369_11 Depth=1
	v_lshrrev_b32_e32 v8, 3, v32
	v_cmp_gt_u32_e64 s1, 8, v32
	v_dual_mov_b32 v33, v31 :: v_dual_mov_b32 v32, v30
	s_delay_alu instid0(VALU_DEP_2)
	s_and_saveexec_b32 s20, s1
; %bb.399:                              ;   in Loop: Header=BB369_11 Depth=1
	v_and_b32_e32 v8, 7, v30
	s_delay_alu instid0(VALU_DEP_1) | instskip(NEXT) | instid1(VALU_DEP_1)
	v_clz_i32_u32_e32 v8, v8
	v_min_u32_e32 v8, 32, v8
	s_delay_alu instid0(VALU_DEP_1) | instskip(SKIP_1) | instid1(VALU_DEP_2)
	v_subrev_nc_u32_e32 v32, 28, v8
	v_sub_nc_u32_e32 v8, 29, v8
	v_lshlrev_b64 v[32:33], v32, v[30:31]
; %bb.400:                              ;   in Loop: Header=BB369_11 Depth=1
	s_or_b32 exec_lo, exec_lo, s20
	v_lshlrev_b32_e32 v33, 8, v30
	s_delay_alu instid0(VALU_DEP_3) | instskip(NEXT) | instid1(VALU_DEP_3)
	v_lshl_add_u32 v8, v8, 10, 0x2000
	v_lshlrev_b32_e32 v32, 7, v32
	s_delay_alu instid0(VALU_DEP_2) | instskip(NEXT) | instid1(VALU_DEP_1)
	v_and_or_b32 v8, 0x8000, v33, v8
	v_and_or_b32 v8, 0x380, v32, v8
	s_delay_alu instid0(VALU_DEP_1)
	v_cvt_f32_f16_e64 v161, v8
.LBB369_401:                            ;   in Loop: Header=BB369_11 Depth=1
	s_or_b32 exec_lo, exec_lo, s19
.LBB369_402:                            ;   in Loop: Header=BB369_11 Depth=1
	s_delay_alu instid0(SALU_CYCLE_1)
	s_or_b32 exec_lo, exec_lo, s18
.LBB369_403:                            ;   in Loop: Header=BB369_11 Depth=1
	s_delay_alu instid0(SALU_CYCLE_1) | instskip(SKIP_3) | instid1(VALU_DEP_2)
	s_or_b32 exec_lo, exec_lo, s17
	v_lshrrev_b16 v8, 8, v30
	v_dual_mov_b32 v162, 0 :: v_dual_mov_b32 v163, 0
	s_mov_b32 s17, exec_lo
	v_cmpx_ne_u16_e32 0, v8
	s_cbranch_execz .LBB369_411
; %bb.404:                              ;   in Loop: Header=BB369_11 Depth=1
	v_bfrev_b32_e32 v163, 1
	s_mov_b32 s18, exec_lo
	v_cmpx_ne_u16_e32 0x80, v8
	s_cbranch_execz .LBB369_410
; %bb.405:                              ;   in Loop: Header=BB369_11 Depth=1
	v_and_b32_e32 v164, 0xffff, v8
	v_mov_b32_e32 v163, 0x7fc02000
	s_mov_b32 s19, exec_lo
	s_delay_alu instid0(VALU_DEP_2) | instskip(NEXT) | instid1(VALU_DEP_1)
	v_and_b32_e32 v32, 0x7f, v164
	v_cmpx_ne_u32_e32 0x7f, v32
	s_cbranch_execz .LBB369_409
; %bb.406:                              ;   in Loop: Header=BB369_11 Depth=1
	v_and_b32_e32 v8, 7, v164
	v_lshrrev_b32_e32 v163, 3, v32
	v_cmp_gt_u32_e64 s1, 8, v32
	s_delay_alu instid0(VALU_DEP_3) | instskip(NEXT) | instid1(VALU_DEP_2)
	v_dual_mov_b32 v33, v9 :: v_dual_mov_b32 v32, v8
	s_and_saveexec_b32 s20, s1
; %bb.407:                              ;   in Loop: Header=BB369_11 Depth=1
	v_clz_i32_u32_e32 v32, v8
	s_delay_alu instid0(VALU_DEP_1) | instskip(NEXT) | instid1(VALU_DEP_1)
	v_min_u32_e32 v163, 32, v32
	v_subrev_nc_u32_e32 v32, 28, v163
	v_sub_nc_u32_e32 v163, 29, v163
	s_delay_alu instid0(VALU_DEP_2) | instskip(NEXT) | instid1(VALU_DEP_1)
	v_lshlrev_b64 v[32:33], v32, v[8:9]
	v_and_b32_e32 v32, 7, v32
; %bb.408:                              ;   in Loop: Header=BB369_11 Depth=1
	s_or_b32 exec_lo, exec_lo, s20
	v_lshlrev_b32_e32 v8, 8, v164
	v_lshl_add_u32 v33, v163, 10, 0x2000
	s_delay_alu instid0(VALU_DEP_1) | instskip(NEXT) | instid1(VALU_DEP_1)
	v_and_or_b32 v8, 0x8000, v8, v33
	v_lshl_or_b32 v8, v32, 7, v8
	s_delay_alu instid0(VALU_DEP_1)
	v_cvt_f32_f16_e64 v163, v8
.LBB369_409:                            ;   in Loop: Header=BB369_11 Depth=1
	s_or_b32 exec_lo, exec_lo, s19
.LBB369_410:                            ;   in Loop: Header=BB369_11 Depth=1
	s_delay_alu instid0(SALU_CYCLE_1)
	s_or_b32 exec_lo, exec_lo, s18
.LBB369_411:                            ;   in Loop: Header=BB369_11 Depth=1
	s_delay_alu instid0(SALU_CYCLE_1) | instskip(SKIP_2) | instid1(VALU_DEP_1)
	s_or_b32 exec_lo, exec_lo, s17
	v_lshrrev_b32_e32 v164, 16, v30
	s_mov_b32 s17, exec_lo
	v_and_b32_e32 v8, 0xff, v164
	s_delay_alu instid0(VALU_DEP_1)
	v_cmpx_ne_u16_e32 0, v8
	s_cbranch_execz .LBB369_419
; %bb.412:                              ;   in Loop: Header=BB369_11 Depth=1
	v_bfrev_b32_e32 v162, 1
	s_mov_b32 s18, exec_lo
	v_cmpx_ne_u16_e32 0x80, v8
	s_cbranch_execz .LBB369_418
; %bb.413:                              ;   in Loop: Header=BB369_11 Depth=1
	v_bfe_u32 v32, v30, 16, 7
	v_mov_b32_e32 v162, 0x7fc02000
	s_mov_b32 s19, exec_lo
	s_delay_alu instid0(VALU_DEP_2)
	v_cmpx_ne_u32_e32 0x7f, v32
	s_cbranch_execz .LBB369_417
; %bb.414:                              ;   in Loop: Header=BB369_11 Depth=1
	v_and_b32_e32 v8, 7, v164
	v_lshrrev_b32_e32 v162, 3, v32
	v_cmp_gt_u32_e64 s1, 8, v32
	s_delay_alu instid0(VALU_DEP_3) | instskip(NEXT) | instid1(VALU_DEP_2)
	v_dual_mov_b32 v33, v9 :: v_dual_mov_b32 v32, v8
	s_and_saveexec_b32 s20, s1
; %bb.415:                              ;   in Loop: Header=BB369_11 Depth=1
	v_clz_i32_u32_e32 v32, v8
	s_delay_alu instid0(VALU_DEP_1) | instskip(NEXT) | instid1(VALU_DEP_1)
	v_min_u32_e32 v162, 32, v32
	v_subrev_nc_u32_e32 v32, 28, v162
	v_sub_nc_u32_e32 v162, 29, v162
	s_delay_alu instid0(VALU_DEP_2) | instskip(NEXT) | instid1(VALU_DEP_1)
	v_lshlrev_b64 v[32:33], v32, v[8:9]
	v_and_b32_e32 v32, 7, v32
; %bb.416:                              ;   in Loop: Header=BB369_11 Depth=1
	s_or_b32 exec_lo, exec_lo, s20
	v_lshlrev_b32_e32 v8, 8, v164
	v_lshl_add_u32 v33, v162, 10, 0x2000
	s_delay_alu instid0(VALU_DEP_1) | instskip(NEXT) | instid1(VALU_DEP_1)
	v_and_or_b32 v8, 0x8000, v8, v33
	v_lshl_or_b32 v8, v32, 7, v8
	s_delay_alu instid0(VALU_DEP_1)
	v_cvt_f32_f16_e64 v162, v8
.LBB369_417:                            ;   in Loop: Header=BB369_11 Depth=1
	s_or_b32 exec_lo, exec_lo, s19
.LBB369_418:                            ;   in Loop: Header=BB369_11 Depth=1
	s_delay_alu instid0(SALU_CYCLE_1)
	s_or_b32 exec_lo, exec_lo, s18
.LBB369_419:                            ;   in Loop: Header=BB369_11 Depth=1
	s_delay_alu instid0(SALU_CYCLE_1)
	s_or_b32 exec_lo, exec_lo, s17
	v_dual_mov_b32 v164, 0 :: v_dual_mov_b32 v165, 0
	s_mov_b32 s17, exec_lo
	v_cmpx_lt_u32_e32 0xffffff, v30
	s_cbranch_execz .LBB369_427
; %bb.420:                              ;   in Loop: Header=BB369_11 Depth=1
	v_lshrrev_b32_e32 v166, 24, v30
	v_bfrev_b32_e32 v165, 1
	s_mov_b32 s18, exec_lo
	s_delay_alu instid0(VALU_DEP_2)
	v_cmpx_ne_u32_e32 0x80, v166
	s_cbranch_execz .LBB369_426
; %bb.421:                              ;   in Loop: Header=BB369_11 Depth=1
	v_and_b32_e32 v32, 0x7f, v166
	v_mov_b32_e32 v165, 0x7fc02000
	s_mov_b32 s19, exec_lo
	s_delay_alu instid0(VALU_DEP_2)
	v_cmpx_ne_u32_e32 0x7f, v32
	s_cbranch_execz .LBB369_425
; %bb.422:                              ;   in Loop: Header=BB369_11 Depth=1
	v_and_b32_e32 v8, 7, v166
	v_lshrrev_b32_e32 v165, 3, v32
	v_cmp_gt_u32_e64 s1, 8, v32
	s_delay_alu instid0(VALU_DEP_3) | instskip(NEXT) | instid1(VALU_DEP_2)
	v_dual_mov_b32 v33, v9 :: v_dual_mov_b32 v32, v8
	s_and_saveexec_b32 s20, s1
; %bb.423:                              ;   in Loop: Header=BB369_11 Depth=1
	v_clz_i32_u32_e32 v32, v8
	s_delay_alu instid0(VALU_DEP_1) | instskip(NEXT) | instid1(VALU_DEP_1)
	v_min_u32_e32 v165, 32, v32
	v_subrev_nc_u32_e32 v32, 28, v165
	v_sub_nc_u32_e32 v165, 29, v165
	s_delay_alu instid0(VALU_DEP_2) | instskip(NEXT) | instid1(VALU_DEP_1)
	v_lshlrev_b64 v[32:33], v32, v[8:9]
	v_and_b32_e32 v32, 7, v32
; %bb.424:                              ;   in Loop: Header=BB369_11 Depth=1
	s_or_b32 exec_lo, exec_lo, s20
	v_lshlrev_b32_e32 v8, 8, v166
	v_lshl_add_u32 v33, v165, 10, 0x2000
	s_delay_alu instid0(VALU_DEP_1) | instskip(NEXT) | instid1(VALU_DEP_1)
	v_and_or_b32 v8, 0x8000, v8, v33
	v_lshl_or_b32 v8, v32, 7, v8
	s_delay_alu instid0(VALU_DEP_1)
	v_cvt_f32_f16_e64 v165, v8
.LBB369_425:                            ;   in Loop: Header=BB369_11 Depth=1
	s_or_b32 exec_lo, exec_lo, s19
.LBB369_426:                            ;   in Loop: Header=BB369_11 Depth=1
	s_delay_alu instid0(SALU_CYCLE_1)
	s_or_b32 exec_lo, exec_lo, s18
.LBB369_427:                            ;   in Loop: Header=BB369_11 Depth=1
	s_delay_alu instid0(SALU_CYCLE_1) | instskip(SKIP_3) | instid1(VALU_DEP_2)
	s_or_b32 exec_lo, exec_lo, s17
	v_and_b32_e32 v32, 0xff, v31
	v_mov_b32_e32 v8, v31
	s_mov_b32 s17, exec_lo
	v_cmpx_ne_u16_e32 0, v32
	s_cbranch_execz .LBB369_435
; %bb.428:                              ;   in Loop: Header=BB369_11 Depth=1
	v_bfrev_b32_e32 v164, 1
	s_mov_b32 s18, exec_lo
	v_cmpx_ne_u16_e32 0x80, v32
	s_cbranch_execz .LBB369_434
; %bb.429:                              ;   in Loop: Header=BB369_11 Depth=1
	v_and_b32_e32 v32, 0x7f, v31
	v_mov_b32_e32 v164, 0x7fc02000
	s_mov_b32 s19, exec_lo
	s_delay_alu instid0(VALU_DEP_2)
	v_cmpx_ne_u32_e32 0x7f, v32
	s_cbranch_execz .LBB369_433
; %bb.430:                              ;   in Loop: Header=BB369_11 Depth=1
	v_lshrrev_b32_e32 v164, 3, v32
	v_cmp_gt_u32_e64 s1, 8, v32
	v_dual_mov_b32 v33, v9 :: v_dual_mov_b32 v32, v8
	s_delay_alu instid0(VALU_DEP_2)
	s_and_saveexec_b32 s20, s1
; %bb.431:                              ;   in Loop: Header=BB369_11 Depth=1
	v_and_b32_e32 v32, 7, v31
	s_delay_alu instid0(VALU_DEP_1) | instskip(NEXT) | instid1(VALU_DEP_1)
	v_clz_i32_u32_e32 v32, v32
	v_min_u32_e32 v164, 32, v32
	s_delay_alu instid0(VALU_DEP_1) | instskip(SKIP_1) | instid1(VALU_DEP_2)
	v_subrev_nc_u32_e32 v32, 28, v164
	v_sub_nc_u32_e32 v164, 29, v164
	v_lshlrev_b64 v[32:33], v32, v[8:9]
; %bb.432:                              ;   in Loop: Header=BB369_11 Depth=1
	s_or_b32 exec_lo, exec_lo, s20
	v_lshlrev_b32_e32 v33, 8, v31
	s_delay_alu instid0(VALU_DEP_3) | instskip(NEXT) | instid1(VALU_DEP_3)
	v_lshl_add_u32 v164, v164, 10, 0x2000
	v_lshlrev_b32_e32 v32, 7, v32
	s_delay_alu instid0(VALU_DEP_2) | instskip(NEXT) | instid1(VALU_DEP_1)
	v_and_or_b32 v33, 0x8000, v33, v164
	v_and_or_b32 v32, 0x380, v32, v33
	s_delay_alu instid0(VALU_DEP_1)
	v_cvt_f32_f16_e64 v164, v32
.LBB369_433:                            ;   in Loop: Header=BB369_11 Depth=1
	s_or_b32 exec_lo, exec_lo, s19
.LBB369_434:                            ;   in Loop: Header=BB369_11 Depth=1
	s_delay_alu instid0(SALU_CYCLE_1)
	s_or_b32 exec_lo, exec_lo, s18
.LBB369_435:                            ;   in Loop: Header=BB369_11 Depth=1
	s_delay_alu instid0(SALU_CYCLE_1) | instskip(SKIP_3) | instid1(VALU_DEP_2)
	s_or_b32 exec_lo, exec_lo, s17
	v_lshrrev_b16 v8, 8, v8
	v_dual_mov_b32 v166, 0 :: v_dual_mov_b32 v167, 0
	s_mov_b32 s17, exec_lo
	v_cmpx_ne_u16_e32 0, v8
	s_cbranch_execz .LBB369_443
; %bb.436:                              ;   in Loop: Header=BB369_11 Depth=1
	v_bfrev_b32_e32 v167, 1
	s_mov_b32 s18, exec_lo
	v_cmpx_ne_u16_e32 0x80, v8
	s_cbranch_execz .LBB369_442
; %bb.437:                              ;   in Loop: Header=BB369_11 Depth=1
	v_and_b32_e32 v176, 0xffff, v8
	v_mov_b32_e32 v167, 0x7fc02000
	s_mov_b32 s19, exec_lo
	s_delay_alu instid0(VALU_DEP_2) | instskip(NEXT) | instid1(VALU_DEP_1)
	v_and_b32_e32 v32, 0x7f, v176
	v_cmpx_ne_u32_e32 0x7f, v32
	s_cbranch_execz .LBB369_441
; %bb.438:                              ;   in Loop: Header=BB369_11 Depth=1
	v_and_b32_e32 v8, 7, v176
	v_lshrrev_b32_e32 v167, 3, v32
	v_cmp_gt_u32_e64 s1, 8, v32
	s_delay_alu instid0(VALU_DEP_3) | instskip(NEXT) | instid1(VALU_DEP_2)
	v_dual_mov_b32 v33, v9 :: v_dual_mov_b32 v32, v8
	s_and_saveexec_b32 s20, s1
; %bb.439:                              ;   in Loop: Header=BB369_11 Depth=1
	v_clz_i32_u32_e32 v32, v8
	s_delay_alu instid0(VALU_DEP_1) | instskip(NEXT) | instid1(VALU_DEP_1)
	v_min_u32_e32 v167, 32, v32
	v_subrev_nc_u32_e32 v32, 28, v167
	v_sub_nc_u32_e32 v167, 29, v167
	s_delay_alu instid0(VALU_DEP_2) | instskip(NEXT) | instid1(VALU_DEP_1)
	v_lshlrev_b64 v[32:33], v32, v[8:9]
	v_and_b32_e32 v32, 7, v32
; %bb.440:                              ;   in Loop: Header=BB369_11 Depth=1
	s_or_b32 exec_lo, exec_lo, s20
	v_lshlrev_b32_e32 v8, 8, v176
	v_lshl_add_u32 v33, v167, 10, 0x2000
	s_delay_alu instid0(VALU_DEP_1) | instskip(NEXT) | instid1(VALU_DEP_1)
	v_and_or_b32 v8, 0x8000, v8, v33
	v_lshl_or_b32 v8, v32, 7, v8
	s_delay_alu instid0(VALU_DEP_1)
	v_cvt_f32_f16_e64 v167, v8
.LBB369_441:                            ;   in Loop: Header=BB369_11 Depth=1
	s_or_b32 exec_lo, exec_lo, s19
.LBB369_442:                            ;   in Loop: Header=BB369_11 Depth=1
	s_delay_alu instid0(SALU_CYCLE_1)
	s_or_b32 exec_lo, exec_lo, s18
.LBB369_443:                            ;   in Loop: Header=BB369_11 Depth=1
	s_delay_alu instid0(SALU_CYCLE_1) | instskip(SKIP_2) | instid1(VALU_DEP_1)
	s_or_b32 exec_lo, exec_lo, s17
	v_lshrrev_b32_e32 v176, 16, v31
	s_mov_b32 s17, exec_lo
	v_and_b32_e32 v8, 0xff, v176
	s_delay_alu instid0(VALU_DEP_1)
	v_cmpx_ne_u16_e32 0, v8
	s_cbranch_execz .LBB369_451
; %bb.444:                              ;   in Loop: Header=BB369_11 Depth=1
	v_bfrev_b32_e32 v166, 1
	s_mov_b32 s18, exec_lo
	v_cmpx_ne_u16_e32 0x80, v8
	s_cbranch_execz .LBB369_450
; %bb.445:                              ;   in Loop: Header=BB369_11 Depth=1
	v_bfe_u32 v32, v31, 16, 7
	v_mov_b32_e32 v166, 0x7fc02000
	s_mov_b32 s19, exec_lo
	s_delay_alu instid0(VALU_DEP_2)
	v_cmpx_ne_u32_e32 0x7f, v32
	s_cbranch_execz .LBB369_449
; %bb.446:                              ;   in Loop: Header=BB369_11 Depth=1
	v_and_b32_e32 v8, 7, v176
	v_lshrrev_b32_e32 v166, 3, v32
	v_cmp_gt_u32_e64 s1, 8, v32
	s_delay_alu instid0(VALU_DEP_3) | instskip(NEXT) | instid1(VALU_DEP_2)
	v_dual_mov_b32 v33, v9 :: v_dual_mov_b32 v32, v8
	s_and_saveexec_b32 s20, s1
; %bb.447:                              ;   in Loop: Header=BB369_11 Depth=1
	v_clz_i32_u32_e32 v32, v8
	s_delay_alu instid0(VALU_DEP_1) | instskip(NEXT) | instid1(VALU_DEP_1)
	v_min_u32_e32 v166, 32, v32
	v_subrev_nc_u32_e32 v32, 28, v166
	v_sub_nc_u32_e32 v166, 29, v166
	s_delay_alu instid0(VALU_DEP_2) | instskip(NEXT) | instid1(VALU_DEP_1)
	v_lshlrev_b64 v[32:33], v32, v[8:9]
	v_and_b32_e32 v32, 7, v32
; %bb.448:                              ;   in Loop: Header=BB369_11 Depth=1
	s_or_b32 exec_lo, exec_lo, s20
	v_lshlrev_b32_e32 v8, 8, v176
	v_lshl_add_u32 v33, v166, 10, 0x2000
	s_delay_alu instid0(VALU_DEP_1) | instskip(NEXT) | instid1(VALU_DEP_1)
	v_and_or_b32 v8, 0x8000, v8, v33
	v_lshl_or_b32 v8, v32, 7, v8
	s_delay_alu instid0(VALU_DEP_1)
	v_cvt_f32_f16_e64 v166, v8
.LBB369_449:                            ;   in Loop: Header=BB369_11 Depth=1
	s_or_b32 exec_lo, exec_lo, s19
.LBB369_450:                            ;   in Loop: Header=BB369_11 Depth=1
	s_delay_alu instid0(SALU_CYCLE_1)
	s_or_b32 exec_lo, exec_lo, s18
.LBB369_451:                            ;   in Loop: Header=BB369_11 Depth=1
	s_delay_alu instid0(SALU_CYCLE_1)
	s_or_b32 exec_lo, exec_lo, s17
	v_dual_mov_b32 v177, 0 :: v_dual_mov_b32 v176, 0
	s_mov_b32 s17, exec_lo
	v_cmpx_lt_u64_e64 s[2:3], v[30:31]
	s_cbranch_execz .LBB369_459
; %bb.452:                              ;   in Loop: Header=BB369_11 Depth=1
	v_lshrrev_b32_e32 v32, 24, v31
	v_bfrev_b32_e32 v176, 1
	s_mov_b32 s18, exec_lo
	s_delay_alu instid0(VALU_DEP_2)
	v_cmpx_ne_u32_e32 0x80, v32
	s_cbranch_execz .LBB369_458
; %bb.453:                              ;   in Loop: Header=BB369_11 Depth=1
	v_and_b32_e32 v30, 0x7f, v32
	v_mov_b32_e32 v176, 0x7fc02000
	s_mov_b32 s19, exec_lo
	s_delay_alu instid0(VALU_DEP_2)
	v_cmpx_ne_u32_e32 0x7f, v30
	s_cbranch_execz .LBB369_457
; %bb.454:                              ;   in Loop: Header=BB369_11 Depth=1
	v_and_b32_e32 v8, 7, v32
	v_lshrrev_b32_e32 v33, 3, v30
	v_cmp_gt_u32_e64 s1, 8, v30
	s_delay_alu instid0(VALU_DEP_3) | instskip(NEXT) | instid1(VALU_DEP_2)
	v_dual_mov_b32 v31, v9 :: v_dual_mov_b32 v30, v8
	s_and_saveexec_b32 s20, s1
; %bb.455:                              ;   in Loop: Header=BB369_11 Depth=1
	v_clz_i32_u32_e32 v30, v8
	s_delay_alu instid0(VALU_DEP_1) | instskip(NEXT) | instid1(VALU_DEP_1)
	v_min_u32_e32 v33, 32, v30
	v_subrev_nc_u32_e32 v30, 28, v33
	v_sub_nc_u32_e32 v33, 29, v33
	s_delay_alu instid0(VALU_DEP_2) | instskip(NEXT) | instid1(VALU_DEP_1)
	v_lshlrev_b64 v[30:31], v30, v[8:9]
	v_and_b32_e32 v30, 7, v30
; %bb.456:                              ;   in Loop: Header=BB369_11 Depth=1
	s_or_b32 exec_lo, exec_lo, s20
	v_lshlrev_b32_e32 v8, 8, v32
	v_lshl_add_u32 v31, v33, 10, 0x2000
	s_delay_alu instid0(VALU_DEP_1) | instskip(NEXT) | instid1(VALU_DEP_1)
	v_and_or_b32 v8, 0x8000, v8, v31
	v_lshl_or_b32 v8, v30, 7, v8
	s_delay_alu instid0(VALU_DEP_1)
	v_cvt_f32_f16_e64 v176, v8
.LBB369_457:                            ;   in Loop: Header=BB369_11 Depth=1
	s_or_b32 exec_lo, exec_lo, s19
.LBB369_458:                            ;   in Loop: Header=BB369_11 Depth=1
	s_delay_alu instid0(SALU_CYCLE_1)
	s_or_b32 exec_lo, exec_lo, s18
.LBB369_459:                            ;   in Loop: Header=BB369_11 Depth=1
	s_delay_alu instid0(SALU_CYCLE_1) | instskip(SKIP_4) | instid1(VALU_DEP_1)
	s_or_b32 exec_lo, exec_lo, s17
	flat_load_b64 v[30:31], v[28:29] offset:1544
	s_mov_b32 s17, exec_lo
	s_waitcnt vmcnt(0) lgkmcnt(0)
	v_and_b32_e32 v8, 0xff, v30
	v_cmpx_ne_u16_e32 0, v8
	s_cbranch_execz .LBB369_467
; %bb.460:                              ;   in Loop: Header=BB369_11 Depth=1
	v_bfrev_b32_e32 v177, 1
	s_mov_b32 s18, exec_lo
	v_cmpx_ne_u16_e32 0x80, v8
	s_cbranch_execz .LBB369_466
; %bb.461:                              ;   in Loop: Header=BB369_11 Depth=1
	v_and_b32_e32 v32, 0x7f, v30
	v_mov_b32_e32 v177, 0x7fc02000
	s_mov_b32 s19, exec_lo
	s_delay_alu instid0(VALU_DEP_2)
	v_cmpx_ne_u32_e32 0x7f, v32
	s_cbranch_execz .LBB369_465
; %bb.462:                              ;   in Loop: Header=BB369_11 Depth=1
	v_lshrrev_b32_e32 v8, 3, v32
	v_cmp_gt_u32_e64 s1, 8, v32
	v_dual_mov_b32 v33, v31 :: v_dual_mov_b32 v32, v30
	s_delay_alu instid0(VALU_DEP_2)
	s_and_saveexec_b32 s20, s1
; %bb.463:                              ;   in Loop: Header=BB369_11 Depth=1
	v_and_b32_e32 v8, 7, v30
	s_delay_alu instid0(VALU_DEP_1) | instskip(NEXT) | instid1(VALU_DEP_1)
	v_clz_i32_u32_e32 v8, v8
	v_min_u32_e32 v8, 32, v8
	s_delay_alu instid0(VALU_DEP_1) | instskip(SKIP_1) | instid1(VALU_DEP_2)
	v_subrev_nc_u32_e32 v32, 28, v8
	v_sub_nc_u32_e32 v8, 29, v8
	v_lshlrev_b64 v[32:33], v32, v[30:31]
; %bb.464:                              ;   in Loop: Header=BB369_11 Depth=1
	s_or_b32 exec_lo, exec_lo, s20
	v_lshlrev_b32_e32 v33, 8, v30
	s_delay_alu instid0(VALU_DEP_3) | instskip(NEXT) | instid1(VALU_DEP_3)
	v_lshl_add_u32 v8, v8, 10, 0x2000
	v_lshlrev_b32_e32 v32, 7, v32
	s_delay_alu instid0(VALU_DEP_2) | instskip(NEXT) | instid1(VALU_DEP_1)
	v_and_or_b32 v8, 0x8000, v33, v8
	v_and_or_b32 v8, 0x380, v32, v8
	s_delay_alu instid0(VALU_DEP_1)
	v_cvt_f32_f16_e64 v177, v8
.LBB369_465:                            ;   in Loop: Header=BB369_11 Depth=1
	s_or_b32 exec_lo, exec_lo, s19
.LBB369_466:                            ;   in Loop: Header=BB369_11 Depth=1
	s_delay_alu instid0(SALU_CYCLE_1)
	s_or_b32 exec_lo, exec_lo, s18
.LBB369_467:                            ;   in Loop: Header=BB369_11 Depth=1
	s_delay_alu instid0(SALU_CYCLE_1) | instskip(SKIP_3) | instid1(VALU_DEP_2)
	s_or_b32 exec_lo, exec_lo, s17
	v_lshrrev_b16 v8, 8, v30
	v_dual_mov_b32 v178, 0 :: v_dual_mov_b32 v179, 0
	s_mov_b32 s17, exec_lo
	v_cmpx_ne_u16_e32 0, v8
	s_cbranch_execz .LBB369_475
; %bb.468:                              ;   in Loop: Header=BB369_11 Depth=1
	v_bfrev_b32_e32 v179, 1
	s_mov_b32 s18, exec_lo
	v_cmpx_ne_u16_e32 0x80, v8
	s_cbranch_execz .LBB369_474
; %bb.469:                              ;   in Loop: Header=BB369_11 Depth=1
	v_and_b32_e32 v180, 0xffff, v8
	v_mov_b32_e32 v179, 0x7fc02000
	s_mov_b32 s19, exec_lo
	s_delay_alu instid0(VALU_DEP_2) | instskip(NEXT) | instid1(VALU_DEP_1)
	v_and_b32_e32 v32, 0x7f, v180
	v_cmpx_ne_u32_e32 0x7f, v32
	s_cbranch_execz .LBB369_473
; %bb.470:                              ;   in Loop: Header=BB369_11 Depth=1
	v_and_b32_e32 v8, 7, v180
	v_lshrrev_b32_e32 v179, 3, v32
	v_cmp_gt_u32_e64 s1, 8, v32
	s_delay_alu instid0(VALU_DEP_3) | instskip(NEXT) | instid1(VALU_DEP_2)
	v_dual_mov_b32 v33, v9 :: v_dual_mov_b32 v32, v8
	s_and_saveexec_b32 s20, s1
; %bb.471:                              ;   in Loop: Header=BB369_11 Depth=1
	v_clz_i32_u32_e32 v32, v8
	s_delay_alu instid0(VALU_DEP_1) | instskip(NEXT) | instid1(VALU_DEP_1)
	v_min_u32_e32 v179, 32, v32
	v_subrev_nc_u32_e32 v32, 28, v179
	v_sub_nc_u32_e32 v179, 29, v179
	s_delay_alu instid0(VALU_DEP_2) | instskip(NEXT) | instid1(VALU_DEP_1)
	v_lshlrev_b64 v[32:33], v32, v[8:9]
	v_and_b32_e32 v32, 7, v32
; %bb.472:                              ;   in Loop: Header=BB369_11 Depth=1
	s_or_b32 exec_lo, exec_lo, s20
	v_lshlrev_b32_e32 v8, 8, v180
	v_lshl_add_u32 v33, v179, 10, 0x2000
	s_delay_alu instid0(VALU_DEP_1) | instskip(NEXT) | instid1(VALU_DEP_1)
	v_and_or_b32 v8, 0x8000, v8, v33
	v_lshl_or_b32 v8, v32, 7, v8
	s_delay_alu instid0(VALU_DEP_1)
	v_cvt_f32_f16_e64 v179, v8
.LBB369_473:                            ;   in Loop: Header=BB369_11 Depth=1
	s_or_b32 exec_lo, exec_lo, s19
.LBB369_474:                            ;   in Loop: Header=BB369_11 Depth=1
	s_delay_alu instid0(SALU_CYCLE_1)
	s_or_b32 exec_lo, exec_lo, s18
.LBB369_475:                            ;   in Loop: Header=BB369_11 Depth=1
	s_delay_alu instid0(SALU_CYCLE_1) | instskip(SKIP_2) | instid1(VALU_DEP_1)
	s_or_b32 exec_lo, exec_lo, s17
	v_lshrrev_b32_e32 v180, 16, v30
	s_mov_b32 s17, exec_lo
	v_and_b32_e32 v8, 0xff, v180
	s_delay_alu instid0(VALU_DEP_1)
	v_cmpx_ne_u16_e32 0, v8
	s_cbranch_execz .LBB369_483
; %bb.476:                              ;   in Loop: Header=BB369_11 Depth=1
	v_bfrev_b32_e32 v178, 1
	s_mov_b32 s18, exec_lo
	v_cmpx_ne_u16_e32 0x80, v8
	s_cbranch_execz .LBB369_482
; %bb.477:                              ;   in Loop: Header=BB369_11 Depth=1
	v_bfe_u32 v32, v30, 16, 7
	v_mov_b32_e32 v178, 0x7fc02000
	s_mov_b32 s19, exec_lo
	s_delay_alu instid0(VALU_DEP_2)
	v_cmpx_ne_u32_e32 0x7f, v32
	s_cbranch_execz .LBB369_481
; %bb.478:                              ;   in Loop: Header=BB369_11 Depth=1
	v_and_b32_e32 v8, 7, v180
	v_lshrrev_b32_e32 v178, 3, v32
	v_cmp_gt_u32_e64 s1, 8, v32
	s_delay_alu instid0(VALU_DEP_3) | instskip(NEXT) | instid1(VALU_DEP_2)
	v_dual_mov_b32 v33, v9 :: v_dual_mov_b32 v32, v8
	s_and_saveexec_b32 s20, s1
; %bb.479:                              ;   in Loop: Header=BB369_11 Depth=1
	v_clz_i32_u32_e32 v32, v8
	s_delay_alu instid0(VALU_DEP_1) | instskip(NEXT) | instid1(VALU_DEP_1)
	v_min_u32_e32 v178, 32, v32
	v_subrev_nc_u32_e32 v32, 28, v178
	v_sub_nc_u32_e32 v178, 29, v178
	s_delay_alu instid0(VALU_DEP_2) | instskip(NEXT) | instid1(VALU_DEP_1)
	v_lshlrev_b64 v[32:33], v32, v[8:9]
	v_and_b32_e32 v32, 7, v32
; %bb.480:                              ;   in Loop: Header=BB369_11 Depth=1
	s_or_b32 exec_lo, exec_lo, s20
	v_lshlrev_b32_e32 v8, 8, v180
	v_lshl_add_u32 v33, v178, 10, 0x2000
	s_delay_alu instid0(VALU_DEP_1) | instskip(NEXT) | instid1(VALU_DEP_1)
	v_and_or_b32 v8, 0x8000, v8, v33
	v_lshl_or_b32 v8, v32, 7, v8
	s_delay_alu instid0(VALU_DEP_1)
	v_cvt_f32_f16_e64 v178, v8
.LBB369_481:                            ;   in Loop: Header=BB369_11 Depth=1
	s_or_b32 exec_lo, exec_lo, s19
.LBB369_482:                            ;   in Loop: Header=BB369_11 Depth=1
	s_delay_alu instid0(SALU_CYCLE_1)
	s_or_b32 exec_lo, exec_lo, s18
.LBB369_483:                            ;   in Loop: Header=BB369_11 Depth=1
	s_delay_alu instid0(SALU_CYCLE_1)
	s_or_b32 exec_lo, exec_lo, s17
	v_dual_mov_b32 v180, 0 :: v_dual_mov_b32 v181, 0
	s_mov_b32 s17, exec_lo
	v_cmpx_lt_u32_e32 0xffffff, v30
	s_cbranch_execz .LBB369_491
; %bb.484:                              ;   in Loop: Header=BB369_11 Depth=1
	v_lshrrev_b32_e32 v182, 24, v30
	v_bfrev_b32_e32 v181, 1
	s_mov_b32 s18, exec_lo
	s_delay_alu instid0(VALU_DEP_2)
	v_cmpx_ne_u32_e32 0x80, v182
	s_cbranch_execz .LBB369_490
; %bb.485:                              ;   in Loop: Header=BB369_11 Depth=1
	v_and_b32_e32 v32, 0x7f, v182
	v_mov_b32_e32 v181, 0x7fc02000
	s_mov_b32 s19, exec_lo
	s_delay_alu instid0(VALU_DEP_2)
	v_cmpx_ne_u32_e32 0x7f, v32
	s_cbranch_execz .LBB369_489
; %bb.486:                              ;   in Loop: Header=BB369_11 Depth=1
	v_and_b32_e32 v8, 7, v182
	v_lshrrev_b32_e32 v181, 3, v32
	v_cmp_gt_u32_e64 s1, 8, v32
	s_delay_alu instid0(VALU_DEP_3) | instskip(NEXT) | instid1(VALU_DEP_2)
	v_dual_mov_b32 v33, v9 :: v_dual_mov_b32 v32, v8
	s_and_saveexec_b32 s20, s1
; %bb.487:                              ;   in Loop: Header=BB369_11 Depth=1
	v_clz_i32_u32_e32 v32, v8
	s_delay_alu instid0(VALU_DEP_1) | instskip(NEXT) | instid1(VALU_DEP_1)
	v_min_u32_e32 v181, 32, v32
	v_subrev_nc_u32_e32 v32, 28, v181
	v_sub_nc_u32_e32 v181, 29, v181
	s_delay_alu instid0(VALU_DEP_2) | instskip(NEXT) | instid1(VALU_DEP_1)
	v_lshlrev_b64 v[32:33], v32, v[8:9]
	v_and_b32_e32 v32, 7, v32
; %bb.488:                              ;   in Loop: Header=BB369_11 Depth=1
	s_or_b32 exec_lo, exec_lo, s20
	v_lshlrev_b32_e32 v8, 8, v182
	v_lshl_add_u32 v33, v181, 10, 0x2000
	s_delay_alu instid0(VALU_DEP_1) | instskip(NEXT) | instid1(VALU_DEP_1)
	v_and_or_b32 v8, 0x8000, v8, v33
	v_lshl_or_b32 v8, v32, 7, v8
	s_delay_alu instid0(VALU_DEP_1)
	v_cvt_f32_f16_e64 v181, v8
.LBB369_489:                            ;   in Loop: Header=BB369_11 Depth=1
	s_or_b32 exec_lo, exec_lo, s19
.LBB369_490:                            ;   in Loop: Header=BB369_11 Depth=1
	s_delay_alu instid0(SALU_CYCLE_1)
	s_or_b32 exec_lo, exec_lo, s18
.LBB369_491:                            ;   in Loop: Header=BB369_11 Depth=1
	s_delay_alu instid0(SALU_CYCLE_1) | instskip(SKIP_3) | instid1(VALU_DEP_2)
	s_or_b32 exec_lo, exec_lo, s17
	v_and_b32_e32 v32, 0xff, v31
	v_mov_b32_e32 v8, v31
	s_mov_b32 s17, exec_lo
	v_cmpx_ne_u16_e32 0, v32
	s_cbranch_execz .LBB369_499
; %bb.492:                              ;   in Loop: Header=BB369_11 Depth=1
	v_bfrev_b32_e32 v180, 1
	s_mov_b32 s18, exec_lo
	v_cmpx_ne_u16_e32 0x80, v32
	s_cbranch_execz .LBB369_498
; %bb.493:                              ;   in Loop: Header=BB369_11 Depth=1
	v_and_b32_e32 v32, 0x7f, v31
	v_mov_b32_e32 v180, 0x7fc02000
	s_mov_b32 s19, exec_lo
	s_delay_alu instid0(VALU_DEP_2)
	v_cmpx_ne_u32_e32 0x7f, v32
	s_cbranch_execz .LBB369_497
; %bb.494:                              ;   in Loop: Header=BB369_11 Depth=1
	v_lshrrev_b32_e32 v180, 3, v32
	v_cmp_gt_u32_e64 s1, 8, v32
	v_dual_mov_b32 v33, v9 :: v_dual_mov_b32 v32, v8
	s_delay_alu instid0(VALU_DEP_2)
	s_and_saveexec_b32 s20, s1
; %bb.495:                              ;   in Loop: Header=BB369_11 Depth=1
	v_and_b32_e32 v32, 7, v31
	s_delay_alu instid0(VALU_DEP_1) | instskip(NEXT) | instid1(VALU_DEP_1)
	v_clz_i32_u32_e32 v32, v32
	v_min_u32_e32 v180, 32, v32
	s_delay_alu instid0(VALU_DEP_1) | instskip(SKIP_1) | instid1(VALU_DEP_2)
	v_subrev_nc_u32_e32 v32, 28, v180
	v_sub_nc_u32_e32 v180, 29, v180
	v_lshlrev_b64 v[32:33], v32, v[8:9]
; %bb.496:                              ;   in Loop: Header=BB369_11 Depth=1
	s_or_b32 exec_lo, exec_lo, s20
	v_lshlrev_b32_e32 v33, 8, v31
	s_delay_alu instid0(VALU_DEP_3) | instskip(NEXT) | instid1(VALU_DEP_3)
	v_lshl_add_u32 v180, v180, 10, 0x2000
	v_lshlrev_b32_e32 v32, 7, v32
	s_delay_alu instid0(VALU_DEP_2) | instskip(NEXT) | instid1(VALU_DEP_1)
	v_and_or_b32 v33, 0x8000, v33, v180
	v_and_or_b32 v32, 0x380, v32, v33
	s_delay_alu instid0(VALU_DEP_1)
	v_cvt_f32_f16_e64 v180, v32
.LBB369_497:                            ;   in Loop: Header=BB369_11 Depth=1
	s_or_b32 exec_lo, exec_lo, s19
.LBB369_498:                            ;   in Loop: Header=BB369_11 Depth=1
	s_delay_alu instid0(SALU_CYCLE_1)
	s_or_b32 exec_lo, exec_lo, s18
.LBB369_499:                            ;   in Loop: Header=BB369_11 Depth=1
	s_delay_alu instid0(SALU_CYCLE_1) | instskip(SKIP_3) | instid1(VALU_DEP_2)
	s_or_b32 exec_lo, exec_lo, s17
	v_lshrrev_b16 v8, 8, v8
	v_dual_mov_b32 v182, 0 :: v_dual_mov_b32 v183, 0
	s_mov_b32 s17, exec_lo
	v_cmpx_ne_u16_e32 0, v8
	s_cbranch_execz .LBB369_507
; %bb.500:                              ;   in Loop: Header=BB369_11 Depth=1
	v_bfrev_b32_e32 v183, 1
	s_mov_b32 s18, exec_lo
	v_cmpx_ne_u16_e32 0x80, v8
	s_cbranch_execz .LBB369_506
; %bb.501:                              ;   in Loop: Header=BB369_11 Depth=1
	v_and_b32_e32 v40, 0xffff, v8
	v_mov_b32_e32 v183, 0x7fc02000
	s_mov_b32 s19, exec_lo
	s_delay_alu instid0(VALU_DEP_2) | instskip(NEXT) | instid1(VALU_DEP_1)
	v_and_b32_e32 v32, 0x7f, v40
	v_cmpx_ne_u32_e32 0x7f, v32
	s_cbranch_execz .LBB369_505
; %bb.502:                              ;   in Loop: Header=BB369_11 Depth=1
	v_and_b32_e32 v8, 7, v40
	v_lshrrev_b32_e32 v183, 3, v32
	v_cmp_gt_u32_e64 s1, 8, v32
	s_delay_alu instid0(VALU_DEP_3) | instskip(NEXT) | instid1(VALU_DEP_2)
	v_dual_mov_b32 v33, v9 :: v_dual_mov_b32 v32, v8
	s_and_saveexec_b32 s20, s1
; %bb.503:                              ;   in Loop: Header=BB369_11 Depth=1
	v_clz_i32_u32_e32 v32, v8
	s_delay_alu instid0(VALU_DEP_1) | instskip(NEXT) | instid1(VALU_DEP_1)
	v_min_u32_e32 v183, 32, v32
	v_subrev_nc_u32_e32 v32, 28, v183
	v_sub_nc_u32_e32 v183, 29, v183
	s_delay_alu instid0(VALU_DEP_2) | instskip(NEXT) | instid1(VALU_DEP_1)
	v_lshlrev_b64 v[32:33], v32, v[8:9]
	v_and_b32_e32 v32, 7, v32
; %bb.504:                              ;   in Loop: Header=BB369_11 Depth=1
	s_or_b32 exec_lo, exec_lo, s20
	v_lshlrev_b32_e32 v8, 8, v40
	v_lshl_add_u32 v33, v183, 10, 0x2000
	s_delay_alu instid0(VALU_DEP_1) | instskip(NEXT) | instid1(VALU_DEP_1)
	v_and_or_b32 v8, 0x8000, v8, v33
	v_lshl_or_b32 v8, v32, 7, v8
	s_delay_alu instid0(VALU_DEP_1)
	v_cvt_f32_f16_e64 v183, v8
.LBB369_505:                            ;   in Loop: Header=BB369_11 Depth=1
	s_or_b32 exec_lo, exec_lo, s19
.LBB369_506:                            ;   in Loop: Header=BB369_11 Depth=1
	s_delay_alu instid0(SALU_CYCLE_1)
	s_or_b32 exec_lo, exec_lo, s18
.LBB369_507:                            ;   in Loop: Header=BB369_11 Depth=1
	s_delay_alu instid0(SALU_CYCLE_1) | instskip(SKIP_2) | instid1(VALU_DEP_1)
	s_or_b32 exec_lo, exec_lo, s17
	v_lshrrev_b32_e32 v40, 16, v31
	s_mov_b32 s17, exec_lo
	v_and_b32_e32 v8, 0xff, v40
	s_delay_alu instid0(VALU_DEP_1)
	v_cmpx_ne_u16_e32 0, v8
	s_cbranch_execz .LBB369_515
; %bb.508:                              ;   in Loop: Header=BB369_11 Depth=1
	v_bfrev_b32_e32 v182, 1
	s_mov_b32 s18, exec_lo
	v_cmpx_ne_u16_e32 0x80, v8
	s_cbranch_execz .LBB369_514
; %bb.509:                              ;   in Loop: Header=BB369_11 Depth=1
	v_bfe_u32 v32, v31, 16, 7
	v_mov_b32_e32 v182, 0x7fc02000
	s_mov_b32 s19, exec_lo
	s_delay_alu instid0(VALU_DEP_2)
	v_cmpx_ne_u32_e32 0x7f, v32
	s_cbranch_execz .LBB369_513
; %bb.510:                              ;   in Loop: Header=BB369_11 Depth=1
	v_and_b32_e32 v8, 7, v40
	v_lshrrev_b32_e32 v182, 3, v32
	v_cmp_gt_u32_e64 s1, 8, v32
	s_delay_alu instid0(VALU_DEP_3) | instskip(NEXT) | instid1(VALU_DEP_2)
	v_dual_mov_b32 v33, v9 :: v_dual_mov_b32 v32, v8
	s_and_saveexec_b32 s20, s1
; %bb.511:                              ;   in Loop: Header=BB369_11 Depth=1
	v_clz_i32_u32_e32 v32, v8
	s_delay_alu instid0(VALU_DEP_1) | instskip(NEXT) | instid1(VALU_DEP_1)
	v_min_u32_e32 v182, 32, v32
	v_subrev_nc_u32_e32 v32, 28, v182
	v_sub_nc_u32_e32 v182, 29, v182
	s_delay_alu instid0(VALU_DEP_2) | instskip(NEXT) | instid1(VALU_DEP_1)
	v_lshlrev_b64 v[32:33], v32, v[8:9]
	v_and_b32_e32 v32, 7, v32
; %bb.512:                              ;   in Loop: Header=BB369_11 Depth=1
	s_or_b32 exec_lo, exec_lo, s20
	v_lshlrev_b32_e32 v8, 8, v40
	v_lshl_add_u32 v33, v182, 10, 0x2000
	s_delay_alu instid0(VALU_DEP_1) | instskip(NEXT) | instid1(VALU_DEP_1)
	v_and_or_b32 v8, 0x8000, v8, v33
	v_lshl_or_b32 v8, v32, 7, v8
	s_delay_alu instid0(VALU_DEP_1)
	v_cvt_f32_f16_e64 v182, v8
.LBB369_513:                            ;   in Loop: Header=BB369_11 Depth=1
	s_or_b32 exec_lo, exec_lo, s19
.LBB369_514:                            ;   in Loop: Header=BB369_11 Depth=1
	s_delay_alu instid0(SALU_CYCLE_1)
	s_or_b32 exec_lo, exec_lo, s18
.LBB369_515:                            ;   in Loop: Header=BB369_11 Depth=1
	s_delay_alu instid0(SALU_CYCLE_1)
	s_or_b32 exec_lo, exec_lo, s17
	v_dual_mov_b32 v41, 0 :: v_dual_mov_b32 v40, 0
	s_mov_b32 s17, exec_lo
	v_cmpx_lt_u64_e64 s[2:3], v[30:31]
	s_cbranch_execz .LBB369_523
; %bb.516:                              ;   in Loop: Header=BB369_11 Depth=1
	v_lshrrev_b32_e32 v32, 24, v31
	v_bfrev_b32_e32 v40, 1
	s_mov_b32 s18, exec_lo
	s_delay_alu instid0(VALU_DEP_2)
	v_cmpx_ne_u32_e32 0x80, v32
	s_cbranch_execz .LBB369_522
; %bb.517:                              ;   in Loop: Header=BB369_11 Depth=1
	v_and_b32_e32 v30, 0x7f, v32
	v_mov_b32_e32 v40, 0x7fc02000
	s_mov_b32 s19, exec_lo
	s_delay_alu instid0(VALU_DEP_2)
	v_cmpx_ne_u32_e32 0x7f, v30
	s_cbranch_execz .LBB369_521
; %bb.518:                              ;   in Loop: Header=BB369_11 Depth=1
	v_and_b32_e32 v8, 7, v32
	v_lshrrev_b32_e32 v33, 3, v30
	v_cmp_gt_u32_e64 s1, 8, v30
	s_delay_alu instid0(VALU_DEP_3) | instskip(NEXT) | instid1(VALU_DEP_2)
	v_dual_mov_b32 v31, v9 :: v_dual_mov_b32 v30, v8
	s_and_saveexec_b32 s20, s1
; %bb.519:                              ;   in Loop: Header=BB369_11 Depth=1
	v_clz_i32_u32_e32 v30, v8
	s_delay_alu instid0(VALU_DEP_1) | instskip(NEXT) | instid1(VALU_DEP_1)
	v_min_u32_e32 v33, 32, v30
	v_subrev_nc_u32_e32 v30, 28, v33
	v_sub_nc_u32_e32 v33, 29, v33
	s_delay_alu instid0(VALU_DEP_2) | instskip(NEXT) | instid1(VALU_DEP_1)
	v_lshlrev_b64 v[30:31], v30, v[8:9]
	v_and_b32_e32 v30, 7, v30
; %bb.520:                              ;   in Loop: Header=BB369_11 Depth=1
	s_or_b32 exec_lo, exec_lo, s20
	v_lshlrev_b32_e32 v8, 8, v32
	v_lshl_add_u32 v31, v33, 10, 0x2000
	s_delay_alu instid0(VALU_DEP_1) | instskip(NEXT) | instid1(VALU_DEP_1)
	v_and_or_b32 v8, 0x8000, v8, v31
	v_lshl_or_b32 v8, v30, 7, v8
	s_delay_alu instid0(VALU_DEP_1)
	v_cvt_f32_f16_e32 v40, v8
.LBB369_521:                            ;   in Loop: Header=BB369_11 Depth=1
	s_or_b32 exec_lo, exec_lo, s19
.LBB369_522:                            ;   in Loop: Header=BB369_11 Depth=1
	s_delay_alu instid0(SALU_CYCLE_1)
	s_or_b32 exec_lo, exec_lo, s18
.LBB369_523:                            ;   in Loop: Header=BB369_11 Depth=1
	s_delay_alu instid0(SALU_CYCLE_1) | instskip(SKIP_4) | instid1(VALU_DEP_1)
	s_or_b32 exec_lo, exec_lo, s17
	flat_load_b64 v[30:31], v[28:29] offset:2048
	s_mov_b32 s17, exec_lo
	s_waitcnt vmcnt(0) lgkmcnt(0)
	v_and_b32_e32 v8, 0xff, v30
	v_cmpx_ne_u16_e32 0, v8
	s_cbranch_execz .LBB369_531
; %bb.524:                              ;   in Loop: Header=BB369_11 Depth=1
	v_bfrev_b32_e32 v41, 1
	s_mov_b32 s18, exec_lo
	v_cmpx_ne_u16_e32 0x80, v8
	s_cbranch_execz .LBB369_530
; %bb.525:                              ;   in Loop: Header=BB369_11 Depth=1
	v_and_b32_e32 v32, 0x7f, v30
	v_mov_b32_e32 v41, 0x7fc02000
	s_mov_b32 s19, exec_lo
	s_delay_alu instid0(VALU_DEP_2)
	v_cmpx_ne_u32_e32 0x7f, v32
	s_cbranch_execz .LBB369_529
; %bb.526:                              ;   in Loop: Header=BB369_11 Depth=1
	v_lshrrev_b32_e32 v8, 3, v32
	v_cmp_gt_u32_e64 s1, 8, v32
	v_dual_mov_b32 v33, v31 :: v_dual_mov_b32 v32, v30
	s_delay_alu instid0(VALU_DEP_2)
	s_and_saveexec_b32 s20, s1
; %bb.527:                              ;   in Loop: Header=BB369_11 Depth=1
	v_and_b32_e32 v8, 7, v30
	s_delay_alu instid0(VALU_DEP_1) | instskip(NEXT) | instid1(VALU_DEP_1)
	v_clz_i32_u32_e32 v8, v8
	v_min_u32_e32 v8, 32, v8
	s_delay_alu instid0(VALU_DEP_1) | instskip(SKIP_1) | instid1(VALU_DEP_2)
	v_subrev_nc_u32_e32 v32, 28, v8
	v_sub_nc_u32_e32 v8, 29, v8
	v_lshlrev_b64 v[32:33], v32, v[30:31]
; %bb.528:                              ;   in Loop: Header=BB369_11 Depth=1
	s_or_b32 exec_lo, exec_lo, s20
	v_lshlrev_b32_e32 v33, 8, v30
	s_delay_alu instid0(VALU_DEP_3) | instskip(NEXT) | instid1(VALU_DEP_3)
	v_lshl_add_u32 v8, v8, 10, 0x2000
	v_lshlrev_b32_e32 v32, 7, v32
	s_delay_alu instid0(VALU_DEP_2) | instskip(NEXT) | instid1(VALU_DEP_1)
	v_and_or_b32 v8, 0x8000, v33, v8
	v_and_or_b32 v8, 0x380, v32, v8
	s_delay_alu instid0(VALU_DEP_1)
	v_cvt_f32_f16_e32 v41, v8
.LBB369_529:                            ;   in Loop: Header=BB369_11 Depth=1
	s_or_b32 exec_lo, exec_lo, s19
.LBB369_530:                            ;   in Loop: Header=BB369_11 Depth=1
	s_delay_alu instid0(SALU_CYCLE_1)
	s_or_b32 exec_lo, exec_lo, s18
.LBB369_531:                            ;   in Loop: Header=BB369_11 Depth=1
	s_delay_alu instid0(SALU_CYCLE_1) | instskip(SKIP_3) | instid1(VALU_DEP_2)
	s_or_b32 exec_lo, exec_lo, s17
	v_lshrrev_b16 v8, 8, v30
	v_dual_mov_b32 v42, 0 :: v_dual_mov_b32 v43, 0
	s_mov_b32 s17, exec_lo
	v_cmpx_ne_u16_e32 0, v8
	s_cbranch_execz .LBB369_539
; %bb.532:                              ;   in Loop: Header=BB369_11 Depth=1
	v_bfrev_b32_e32 v43, 1
	s_mov_b32 s18, exec_lo
	v_cmpx_ne_u16_e32 0x80, v8
	s_cbranch_execz .LBB369_538
; %bb.533:                              ;   in Loop: Header=BB369_11 Depth=1
	v_and_b32_e32 v44, 0xffff, v8
	v_mov_b32_e32 v43, 0x7fc02000
	s_mov_b32 s19, exec_lo
	s_delay_alu instid0(VALU_DEP_2) | instskip(NEXT) | instid1(VALU_DEP_1)
	v_and_b32_e32 v32, 0x7f, v44
	v_cmpx_ne_u32_e32 0x7f, v32
	s_cbranch_execz .LBB369_537
; %bb.534:                              ;   in Loop: Header=BB369_11 Depth=1
	v_and_b32_e32 v8, 7, v44
	v_lshrrev_b32_e32 v43, 3, v32
	v_cmp_gt_u32_e64 s1, 8, v32
	s_delay_alu instid0(VALU_DEP_3) | instskip(NEXT) | instid1(VALU_DEP_2)
	v_dual_mov_b32 v33, v9 :: v_dual_mov_b32 v32, v8
	s_and_saveexec_b32 s20, s1
; %bb.535:                              ;   in Loop: Header=BB369_11 Depth=1
	v_clz_i32_u32_e32 v32, v8
	s_delay_alu instid0(VALU_DEP_1) | instskip(NEXT) | instid1(VALU_DEP_1)
	v_min_u32_e32 v43, 32, v32
	v_subrev_nc_u32_e32 v32, 28, v43
	v_sub_nc_u32_e32 v43, 29, v43
	s_delay_alu instid0(VALU_DEP_2) | instskip(NEXT) | instid1(VALU_DEP_1)
	v_lshlrev_b64 v[32:33], v32, v[8:9]
	v_and_b32_e32 v32, 7, v32
; %bb.536:                              ;   in Loop: Header=BB369_11 Depth=1
	s_or_b32 exec_lo, exec_lo, s20
	v_lshlrev_b32_e32 v8, 8, v44
	v_lshl_add_u32 v33, v43, 10, 0x2000
	s_delay_alu instid0(VALU_DEP_1) | instskip(NEXT) | instid1(VALU_DEP_1)
	v_and_or_b32 v8, 0x8000, v8, v33
	v_lshl_or_b32 v8, v32, 7, v8
	s_delay_alu instid0(VALU_DEP_1)
	v_cvt_f32_f16_e32 v43, v8
.LBB369_537:                            ;   in Loop: Header=BB369_11 Depth=1
	s_or_b32 exec_lo, exec_lo, s19
.LBB369_538:                            ;   in Loop: Header=BB369_11 Depth=1
	s_delay_alu instid0(SALU_CYCLE_1)
	s_or_b32 exec_lo, exec_lo, s18
.LBB369_539:                            ;   in Loop: Header=BB369_11 Depth=1
	s_delay_alu instid0(SALU_CYCLE_1) | instskip(SKIP_2) | instid1(VALU_DEP_1)
	s_or_b32 exec_lo, exec_lo, s17
	v_lshrrev_b32_e32 v44, 16, v30
	s_mov_b32 s17, exec_lo
	v_and_b32_e32 v8, 0xff, v44
	s_delay_alu instid0(VALU_DEP_1)
	v_cmpx_ne_u16_e32 0, v8
	s_cbranch_execz .LBB369_547
; %bb.540:                              ;   in Loop: Header=BB369_11 Depth=1
	v_bfrev_b32_e32 v42, 1
	s_mov_b32 s18, exec_lo
	v_cmpx_ne_u16_e32 0x80, v8
	s_cbranch_execz .LBB369_546
; %bb.541:                              ;   in Loop: Header=BB369_11 Depth=1
	v_bfe_u32 v32, v30, 16, 7
	v_mov_b32_e32 v42, 0x7fc02000
	s_mov_b32 s19, exec_lo
	s_delay_alu instid0(VALU_DEP_2)
	v_cmpx_ne_u32_e32 0x7f, v32
	s_cbranch_execz .LBB369_545
; %bb.542:                              ;   in Loop: Header=BB369_11 Depth=1
	v_and_b32_e32 v8, 7, v44
	v_lshrrev_b32_e32 v42, 3, v32
	v_cmp_gt_u32_e64 s1, 8, v32
	s_delay_alu instid0(VALU_DEP_3) | instskip(NEXT) | instid1(VALU_DEP_2)
	v_dual_mov_b32 v33, v9 :: v_dual_mov_b32 v32, v8
	s_and_saveexec_b32 s20, s1
; %bb.543:                              ;   in Loop: Header=BB369_11 Depth=1
	v_clz_i32_u32_e32 v32, v8
	s_delay_alu instid0(VALU_DEP_1) | instskip(NEXT) | instid1(VALU_DEP_1)
	v_min_u32_e32 v42, 32, v32
	v_subrev_nc_u32_e32 v32, 28, v42
	v_sub_nc_u32_e32 v42, 29, v42
	s_delay_alu instid0(VALU_DEP_2) | instskip(NEXT) | instid1(VALU_DEP_1)
	v_lshlrev_b64 v[32:33], v32, v[8:9]
	v_and_b32_e32 v32, 7, v32
; %bb.544:                              ;   in Loop: Header=BB369_11 Depth=1
	s_or_b32 exec_lo, exec_lo, s20
	v_lshlrev_b32_e32 v8, 8, v44
	v_lshl_add_u32 v33, v42, 10, 0x2000
	s_delay_alu instid0(VALU_DEP_1) | instskip(NEXT) | instid1(VALU_DEP_1)
	v_and_or_b32 v8, 0x8000, v8, v33
	v_lshl_or_b32 v8, v32, 7, v8
	s_delay_alu instid0(VALU_DEP_1)
	v_cvt_f32_f16_e32 v42, v8
.LBB369_545:                            ;   in Loop: Header=BB369_11 Depth=1
	s_or_b32 exec_lo, exec_lo, s19
.LBB369_546:                            ;   in Loop: Header=BB369_11 Depth=1
	s_delay_alu instid0(SALU_CYCLE_1)
	s_or_b32 exec_lo, exec_lo, s18
.LBB369_547:                            ;   in Loop: Header=BB369_11 Depth=1
	s_delay_alu instid0(SALU_CYCLE_1)
	s_or_b32 exec_lo, exec_lo, s17
	v_dual_mov_b32 v44, 0 :: v_dual_mov_b32 v45, 0
	s_mov_b32 s17, exec_lo
	v_cmpx_lt_u32_e32 0xffffff, v30
	s_cbranch_execz .LBB369_555
; %bb.548:                              ;   in Loop: Header=BB369_11 Depth=1
	v_lshrrev_b32_e32 v46, 24, v30
	v_bfrev_b32_e32 v45, 1
	s_mov_b32 s18, exec_lo
	s_delay_alu instid0(VALU_DEP_2)
	v_cmpx_ne_u32_e32 0x80, v46
	s_cbranch_execz .LBB369_554
; %bb.549:                              ;   in Loop: Header=BB369_11 Depth=1
	v_and_b32_e32 v32, 0x7f, v46
	v_mov_b32_e32 v45, 0x7fc02000
	s_mov_b32 s19, exec_lo
	s_delay_alu instid0(VALU_DEP_2)
	v_cmpx_ne_u32_e32 0x7f, v32
	s_cbranch_execz .LBB369_553
; %bb.550:                              ;   in Loop: Header=BB369_11 Depth=1
	v_and_b32_e32 v8, 7, v46
	v_lshrrev_b32_e32 v45, 3, v32
	v_cmp_gt_u32_e64 s1, 8, v32
	s_delay_alu instid0(VALU_DEP_3) | instskip(NEXT) | instid1(VALU_DEP_2)
	v_dual_mov_b32 v33, v9 :: v_dual_mov_b32 v32, v8
	s_and_saveexec_b32 s20, s1
; %bb.551:                              ;   in Loop: Header=BB369_11 Depth=1
	v_clz_i32_u32_e32 v32, v8
	s_delay_alu instid0(VALU_DEP_1) | instskip(NEXT) | instid1(VALU_DEP_1)
	v_min_u32_e32 v45, 32, v32
	v_subrev_nc_u32_e32 v32, 28, v45
	v_sub_nc_u32_e32 v45, 29, v45
	s_delay_alu instid0(VALU_DEP_2) | instskip(NEXT) | instid1(VALU_DEP_1)
	v_lshlrev_b64 v[32:33], v32, v[8:9]
	v_and_b32_e32 v32, 7, v32
; %bb.552:                              ;   in Loop: Header=BB369_11 Depth=1
	s_or_b32 exec_lo, exec_lo, s20
	v_lshlrev_b32_e32 v8, 8, v46
	v_lshl_add_u32 v33, v45, 10, 0x2000
	s_delay_alu instid0(VALU_DEP_1) | instskip(NEXT) | instid1(VALU_DEP_1)
	v_and_or_b32 v8, 0x8000, v8, v33
	v_lshl_or_b32 v8, v32, 7, v8
	s_delay_alu instid0(VALU_DEP_1)
	v_cvt_f32_f16_e32 v45, v8
.LBB369_553:                            ;   in Loop: Header=BB369_11 Depth=1
	s_or_b32 exec_lo, exec_lo, s19
.LBB369_554:                            ;   in Loop: Header=BB369_11 Depth=1
	s_delay_alu instid0(SALU_CYCLE_1)
	s_or_b32 exec_lo, exec_lo, s18
.LBB369_555:                            ;   in Loop: Header=BB369_11 Depth=1
	s_delay_alu instid0(SALU_CYCLE_1) | instskip(SKIP_3) | instid1(VALU_DEP_2)
	s_or_b32 exec_lo, exec_lo, s17
	v_and_b32_e32 v32, 0xff, v31
	v_mov_b32_e32 v8, v31
	s_mov_b32 s17, exec_lo
	v_cmpx_ne_u16_e32 0, v32
	s_cbranch_execz .LBB369_563
; %bb.556:                              ;   in Loop: Header=BB369_11 Depth=1
	v_bfrev_b32_e32 v44, 1
	s_mov_b32 s18, exec_lo
	v_cmpx_ne_u16_e32 0x80, v32
	s_cbranch_execz .LBB369_562
; %bb.557:                              ;   in Loop: Header=BB369_11 Depth=1
	v_and_b32_e32 v32, 0x7f, v31
	v_mov_b32_e32 v44, 0x7fc02000
	s_mov_b32 s19, exec_lo
	s_delay_alu instid0(VALU_DEP_2)
	v_cmpx_ne_u32_e32 0x7f, v32
	s_cbranch_execz .LBB369_561
; %bb.558:                              ;   in Loop: Header=BB369_11 Depth=1
	v_lshrrev_b32_e32 v44, 3, v32
	v_cmp_gt_u32_e64 s1, 8, v32
	v_dual_mov_b32 v33, v9 :: v_dual_mov_b32 v32, v8
	s_delay_alu instid0(VALU_DEP_2)
	s_and_saveexec_b32 s20, s1
; %bb.559:                              ;   in Loop: Header=BB369_11 Depth=1
	v_and_b32_e32 v32, 7, v31
	s_delay_alu instid0(VALU_DEP_1) | instskip(NEXT) | instid1(VALU_DEP_1)
	v_clz_i32_u32_e32 v32, v32
	v_min_u32_e32 v44, 32, v32
	s_delay_alu instid0(VALU_DEP_1) | instskip(SKIP_1) | instid1(VALU_DEP_2)
	v_subrev_nc_u32_e32 v32, 28, v44
	v_sub_nc_u32_e32 v44, 29, v44
	v_lshlrev_b64 v[32:33], v32, v[8:9]
; %bb.560:                              ;   in Loop: Header=BB369_11 Depth=1
	s_or_b32 exec_lo, exec_lo, s20
	v_lshlrev_b32_e32 v33, 8, v31
	s_delay_alu instid0(VALU_DEP_3) | instskip(NEXT) | instid1(VALU_DEP_3)
	v_lshl_add_u32 v44, v44, 10, 0x2000
	v_lshlrev_b32_e32 v32, 7, v32
	s_delay_alu instid0(VALU_DEP_2) | instskip(NEXT) | instid1(VALU_DEP_1)
	v_and_or_b32 v33, 0x8000, v33, v44
	v_and_or_b32 v32, 0x380, v32, v33
	s_delay_alu instid0(VALU_DEP_1)
	v_cvt_f32_f16_e32 v44, v32
.LBB369_561:                            ;   in Loop: Header=BB369_11 Depth=1
	s_or_b32 exec_lo, exec_lo, s19
.LBB369_562:                            ;   in Loop: Header=BB369_11 Depth=1
	s_delay_alu instid0(SALU_CYCLE_1)
	s_or_b32 exec_lo, exec_lo, s18
.LBB369_563:                            ;   in Loop: Header=BB369_11 Depth=1
	s_delay_alu instid0(SALU_CYCLE_1) | instskip(SKIP_3) | instid1(VALU_DEP_2)
	s_or_b32 exec_lo, exec_lo, s17
	v_lshrrev_b16 v8, 8, v8
	v_dual_mov_b32 v46, 0 :: v_dual_mov_b32 v47, 0
	s_mov_b32 s17, exec_lo
	v_cmpx_ne_u16_e32 0, v8
	s_cbranch_execz .LBB369_571
; %bb.564:                              ;   in Loop: Header=BB369_11 Depth=1
	v_bfrev_b32_e32 v47, 1
	s_mov_b32 s18, exec_lo
	v_cmpx_ne_u16_e32 0x80, v8
	s_cbranch_execz .LBB369_570
; %bb.565:                              ;   in Loop: Header=BB369_11 Depth=1
	v_and_b32_e32 v56, 0xffff, v8
	v_mov_b32_e32 v47, 0x7fc02000
	s_mov_b32 s19, exec_lo
	s_delay_alu instid0(VALU_DEP_2) | instskip(NEXT) | instid1(VALU_DEP_1)
	v_and_b32_e32 v32, 0x7f, v56
	v_cmpx_ne_u32_e32 0x7f, v32
	s_cbranch_execz .LBB369_569
; %bb.566:                              ;   in Loop: Header=BB369_11 Depth=1
	v_and_b32_e32 v8, 7, v56
	v_lshrrev_b32_e32 v47, 3, v32
	v_cmp_gt_u32_e64 s1, 8, v32
	s_delay_alu instid0(VALU_DEP_3) | instskip(NEXT) | instid1(VALU_DEP_2)
	v_dual_mov_b32 v33, v9 :: v_dual_mov_b32 v32, v8
	s_and_saveexec_b32 s20, s1
; %bb.567:                              ;   in Loop: Header=BB369_11 Depth=1
	v_clz_i32_u32_e32 v32, v8
	s_delay_alu instid0(VALU_DEP_1) | instskip(NEXT) | instid1(VALU_DEP_1)
	v_min_u32_e32 v47, 32, v32
	v_subrev_nc_u32_e32 v32, 28, v47
	v_sub_nc_u32_e32 v47, 29, v47
	s_delay_alu instid0(VALU_DEP_2) | instskip(NEXT) | instid1(VALU_DEP_1)
	v_lshlrev_b64 v[32:33], v32, v[8:9]
	v_and_b32_e32 v32, 7, v32
; %bb.568:                              ;   in Loop: Header=BB369_11 Depth=1
	s_or_b32 exec_lo, exec_lo, s20
	v_lshlrev_b32_e32 v8, 8, v56
	v_lshl_add_u32 v33, v47, 10, 0x2000
	s_delay_alu instid0(VALU_DEP_1) | instskip(NEXT) | instid1(VALU_DEP_1)
	v_and_or_b32 v8, 0x8000, v8, v33
	v_lshl_or_b32 v8, v32, 7, v8
	s_delay_alu instid0(VALU_DEP_1)
	v_cvt_f32_f16_e32 v47, v8
.LBB369_569:                            ;   in Loop: Header=BB369_11 Depth=1
	s_or_b32 exec_lo, exec_lo, s19
.LBB369_570:                            ;   in Loop: Header=BB369_11 Depth=1
	s_delay_alu instid0(SALU_CYCLE_1)
	s_or_b32 exec_lo, exec_lo, s18
.LBB369_571:                            ;   in Loop: Header=BB369_11 Depth=1
	s_delay_alu instid0(SALU_CYCLE_1) | instskip(SKIP_2) | instid1(VALU_DEP_1)
	s_or_b32 exec_lo, exec_lo, s17
	v_lshrrev_b32_e32 v56, 16, v31
	s_mov_b32 s17, exec_lo
	v_and_b32_e32 v8, 0xff, v56
	s_delay_alu instid0(VALU_DEP_1)
	v_cmpx_ne_u16_e32 0, v8
	s_cbranch_execz .LBB369_579
; %bb.572:                              ;   in Loop: Header=BB369_11 Depth=1
	v_bfrev_b32_e32 v46, 1
	s_mov_b32 s18, exec_lo
	v_cmpx_ne_u16_e32 0x80, v8
	s_cbranch_execz .LBB369_578
; %bb.573:                              ;   in Loop: Header=BB369_11 Depth=1
	v_bfe_u32 v32, v31, 16, 7
	v_mov_b32_e32 v46, 0x7fc02000
	s_mov_b32 s19, exec_lo
	s_delay_alu instid0(VALU_DEP_2)
	v_cmpx_ne_u32_e32 0x7f, v32
	s_cbranch_execz .LBB369_577
; %bb.574:                              ;   in Loop: Header=BB369_11 Depth=1
	v_and_b32_e32 v8, 7, v56
	v_lshrrev_b32_e32 v46, 3, v32
	v_cmp_gt_u32_e64 s1, 8, v32
	s_delay_alu instid0(VALU_DEP_3) | instskip(NEXT) | instid1(VALU_DEP_2)
	v_dual_mov_b32 v33, v9 :: v_dual_mov_b32 v32, v8
	s_and_saveexec_b32 s20, s1
; %bb.575:                              ;   in Loop: Header=BB369_11 Depth=1
	v_clz_i32_u32_e32 v32, v8
	s_delay_alu instid0(VALU_DEP_1) | instskip(NEXT) | instid1(VALU_DEP_1)
	v_min_u32_e32 v46, 32, v32
	v_subrev_nc_u32_e32 v32, 28, v46
	v_sub_nc_u32_e32 v46, 29, v46
	s_delay_alu instid0(VALU_DEP_2) | instskip(NEXT) | instid1(VALU_DEP_1)
	v_lshlrev_b64 v[32:33], v32, v[8:9]
	v_and_b32_e32 v32, 7, v32
; %bb.576:                              ;   in Loop: Header=BB369_11 Depth=1
	s_or_b32 exec_lo, exec_lo, s20
	v_lshlrev_b32_e32 v8, 8, v56
	v_lshl_add_u32 v33, v46, 10, 0x2000
	s_delay_alu instid0(VALU_DEP_1) | instskip(NEXT) | instid1(VALU_DEP_1)
	v_and_or_b32 v8, 0x8000, v8, v33
	v_lshl_or_b32 v8, v32, 7, v8
	s_delay_alu instid0(VALU_DEP_1)
	v_cvt_f32_f16_e32 v46, v8
.LBB369_577:                            ;   in Loop: Header=BB369_11 Depth=1
	s_or_b32 exec_lo, exec_lo, s19
.LBB369_578:                            ;   in Loop: Header=BB369_11 Depth=1
	s_delay_alu instid0(SALU_CYCLE_1)
	s_or_b32 exec_lo, exec_lo, s18
.LBB369_579:                            ;   in Loop: Header=BB369_11 Depth=1
	s_delay_alu instid0(SALU_CYCLE_1)
	s_or_b32 exec_lo, exec_lo, s17
	v_dual_mov_b32 v57, 0 :: v_dual_mov_b32 v56, 0
	s_mov_b32 s17, exec_lo
	v_cmpx_lt_u64_e64 s[2:3], v[30:31]
	s_cbranch_execz .LBB369_587
; %bb.580:                              ;   in Loop: Header=BB369_11 Depth=1
	v_lshrrev_b32_e32 v32, 24, v31
	v_bfrev_b32_e32 v56, 1
	s_mov_b32 s18, exec_lo
	s_delay_alu instid0(VALU_DEP_2)
	v_cmpx_ne_u32_e32 0x80, v32
	s_cbranch_execz .LBB369_586
; %bb.581:                              ;   in Loop: Header=BB369_11 Depth=1
	v_and_b32_e32 v30, 0x7f, v32
	v_mov_b32_e32 v56, 0x7fc02000
	s_mov_b32 s19, exec_lo
	s_delay_alu instid0(VALU_DEP_2)
	v_cmpx_ne_u32_e32 0x7f, v30
	s_cbranch_execz .LBB369_585
; %bb.582:                              ;   in Loop: Header=BB369_11 Depth=1
	v_and_b32_e32 v8, 7, v32
	v_lshrrev_b32_e32 v33, 3, v30
	v_cmp_gt_u32_e64 s1, 8, v30
	s_delay_alu instid0(VALU_DEP_3) | instskip(NEXT) | instid1(VALU_DEP_2)
	v_dual_mov_b32 v31, v9 :: v_dual_mov_b32 v30, v8
	s_and_saveexec_b32 s20, s1
; %bb.583:                              ;   in Loop: Header=BB369_11 Depth=1
	v_clz_i32_u32_e32 v30, v8
	s_delay_alu instid0(VALU_DEP_1) | instskip(NEXT) | instid1(VALU_DEP_1)
	v_min_u32_e32 v33, 32, v30
	v_subrev_nc_u32_e32 v30, 28, v33
	v_sub_nc_u32_e32 v33, 29, v33
	s_delay_alu instid0(VALU_DEP_2) | instskip(NEXT) | instid1(VALU_DEP_1)
	v_lshlrev_b64 v[30:31], v30, v[8:9]
	v_and_b32_e32 v30, 7, v30
; %bb.584:                              ;   in Loop: Header=BB369_11 Depth=1
	s_or_b32 exec_lo, exec_lo, s20
	v_lshlrev_b32_e32 v8, 8, v32
	v_lshl_add_u32 v31, v33, 10, 0x2000
	s_delay_alu instid0(VALU_DEP_1) | instskip(NEXT) | instid1(VALU_DEP_1)
	v_and_or_b32 v8, 0x8000, v8, v31
	v_lshl_or_b32 v8, v30, 7, v8
	s_delay_alu instid0(VALU_DEP_1)
	v_cvt_f32_f16_e32 v56, v8
.LBB369_585:                            ;   in Loop: Header=BB369_11 Depth=1
	s_or_b32 exec_lo, exec_lo, s19
.LBB369_586:                            ;   in Loop: Header=BB369_11 Depth=1
	s_delay_alu instid0(SALU_CYCLE_1)
	s_or_b32 exec_lo, exec_lo, s18
.LBB369_587:                            ;   in Loop: Header=BB369_11 Depth=1
	s_delay_alu instid0(SALU_CYCLE_1) | instskip(SKIP_4) | instid1(VALU_DEP_1)
	s_or_b32 exec_lo, exec_lo, s17
	flat_load_b64 v[30:31], v[28:29] offset:2056
	s_mov_b32 s17, exec_lo
	s_waitcnt vmcnt(0) lgkmcnt(0)
	v_and_b32_e32 v8, 0xff, v30
	v_cmpx_ne_u16_e32 0, v8
	s_cbranch_execz .LBB369_595
; %bb.588:                              ;   in Loop: Header=BB369_11 Depth=1
	v_bfrev_b32_e32 v57, 1
	s_mov_b32 s18, exec_lo
	v_cmpx_ne_u16_e32 0x80, v8
	s_cbranch_execz .LBB369_594
; %bb.589:                              ;   in Loop: Header=BB369_11 Depth=1
	v_and_b32_e32 v32, 0x7f, v30
	v_mov_b32_e32 v57, 0x7fc02000
	s_mov_b32 s19, exec_lo
	s_delay_alu instid0(VALU_DEP_2)
	v_cmpx_ne_u32_e32 0x7f, v32
	s_cbranch_execz .LBB369_593
; %bb.590:                              ;   in Loop: Header=BB369_11 Depth=1
	v_lshrrev_b32_e32 v8, 3, v32
	v_cmp_gt_u32_e64 s1, 8, v32
	v_dual_mov_b32 v33, v31 :: v_dual_mov_b32 v32, v30
	s_delay_alu instid0(VALU_DEP_2)
	s_and_saveexec_b32 s20, s1
; %bb.591:                              ;   in Loop: Header=BB369_11 Depth=1
	v_and_b32_e32 v8, 7, v30
	s_delay_alu instid0(VALU_DEP_1) | instskip(NEXT) | instid1(VALU_DEP_1)
	v_clz_i32_u32_e32 v8, v8
	v_min_u32_e32 v8, 32, v8
	s_delay_alu instid0(VALU_DEP_1) | instskip(SKIP_1) | instid1(VALU_DEP_2)
	v_subrev_nc_u32_e32 v32, 28, v8
	v_sub_nc_u32_e32 v8, 29, v8
	v_lshlrev_b64 v[32:33], v32, v[30:31]
; %bb.592:                              ;   in Loop: Header=BB369_11 Depth=1
	s_or_b32 exec_lo, exec_lo, s20
	v_lshlrev_b32_e32 v33, 8, v30
	s_delay_alu instid0(VALU_DEP_3) | instskip(NEXT) | instid1(VALU_DEP_3)
	v_lshl_add_u32 v8, v8, 10, 0x2000
	v_lshlrev_b32_e32 v32, 7, v32
	s_delay_alu instid0(VALU_DEP_2) | instskip(NEXT) | instid1(VALU_DEP_1)
	v_and_or_b32 v8, 0x8000, v33, v8
	v_and_or_b32 v8, 0x380, v32, v8
	s_delay_alu instid0(VALU_DEP_1)
	v_cvt_f32_f16_e32 v57, v8
.LBB369_593:                            ;   in Loop: Header=BB369_11 Depth=1
	s_or_b32 exec_lo, exec_lo, s19
.LBB369_594:                            ;   in Loop: Header=BB369_11 Depth=1
	s_delay_alu instid0(SALU_CYCLE_1)
	s_or_b32 exec_lo, exec_lo, s18
.LBB369_595:                            ;   in Loop: Header=BB369_11 Depth=1
	s_delay_alu instid0(SALU_CYCLE_1) | instskip(SKIP_3) | instid1(VALU_DEP_2)
	s_or_b32 exec_lo, exec_lo, s17
	v_lshrrev_b16 v8, 8, v30
	v_dual_mov_b32 v58, 0 :: v_dual_mov_b32 v59, 0
	s_mov_b32 s17, exec_lo
	v_cmpx_ne_u16_e32 0, v8
	s_cbranch_execz .LBB369_603
; %bb.596:                              ;   in Loop: Header=BB369_11 Depth=1
	v_bfrev_b32_e32 v59, 1
	s_mov_b32 s18, exec_lo
	v_cmpx_ne_u16_e32 0x80, v8
	s_cbranch_execz .LBB369_602
; %bb.597:                              ;   in Loop: Header=BB369_11 Depth=1
	v_and_b32_e32 v60, 0xffff, v8
	v_mov_b32_e32 v59, 0x7fc02000
	s_mov_b32 s19, exec_lo
	s_delay_alu instid0(VALU_DEP_2) | instskip(NEXT) | instid1(VALU_DEP_1)
	v_and_b32_e32 v32, 0x7f, v60
	v_cmpx_ne_u32_e32 0x7f, v32
	s_cbranch_execz .LBB369_601
; %bb.598:                              ;   in Loop: Header=BB369_11 Depth=1
	v_and_b32_e32 v8, 7, v60
	v_lshrrev_b32_e32 v59, 3, v32
	v_cmp_gt_u32_e64 s1, 8, v32
	s_delay_alu instid0(VALU_DEP_3) | instskip(NEXT) | instid1(VALU_DEP_2)
	v_dual_mov_b32 v33, v9 :: v_dual_mov_b32 v32, v8
	s_and_saveexec_b32 s20, s1
; %bb.599:                              ;   in Loop: Header=BB369_11 Depth=1
	v_clz_i32_u32_e32 v32, v8
	s_delay_alu instid0(VALU_DEP_1) | instskip(NEXT) | instid1(VALU_DEP_1)
	v_min_u32_e32 v59, 32, v32
	v_subrev_nc_u32_e32 v32, 28, v59
	v_sub_nc_u32_e32 v59, 29, v59
	s_delay_alu instid0(VALU_DEP_2) | instskip(NEXT) | instid1(VALU_DEP_1)
	v_lshlrev_b64 v[32:33], v32, v[8:9]
	v_and_b32_e32 v32, 7, v32
; %bb.600:                              ;   in Loop: Header=BB369_11 Depth=1
	s_or_b32 exec_lo, exec_lo, s20
	v_lshlrev_b32_e32 v8, 8, v60
	v_lshl_add_u32 v33, v59, 10, 0x2000
	s_delay_alu instid0(VALU_DEP_1) | instskip(NEXT) | instid1(VALU_DEP_1)
	v_and_or_b32 v8, 0x8000, v8, v33
	v_lshl_or_b32 v8, v32, 7, v8
	s_delay_alu instid0(VALU_DEP_1)
	v_cvt_f32_f16_e32 v59, v8
.LBB369_601:                            ;   in Loop: Header=BB369_11 Depth=1
	s_or_b32 exec_lo, exec_lo, s19
.LBB369_602:                            ;   in Loop: Header=BB369_11 Depth=1
	s_delay_alu instid0(SALU_CYCLE_1)
	s_or_b32 exec_lo, exec_lo, s18
.LBB369_603:                            ;   in Loop: Header=BB369_11 Depth=1
	s_delay_alu instid0(SALU_CYCLE_1) | instskip(SKIP_2) | instid1(VALU_DEP_1)
	s_or_b32 exec_lo, exec_lo, s17
	v_lshrrev_b32_e32 v60, 16, v30
	s_mov_b32 s17, exec_lo
	v_and_b32_e32 v8, 0xff, v60
	s_delay_alu instid0(VALU_DEP_1)
	v_cmpx_ne_u16_e32 0, v8
	s_cbranch_execz .LBB369_611
; %bb.604:                              ;   in Loop: Header=BB369_11 Depth=1
	v_bfrev_b32_e32 v58, 1
	s_mov_b32 s18, exec_lo
	v_cmpx_ne_u16_e32 0x80, v8
	s_cbranch_execz .LBB369_610
; %bb.605:                              ;   in Loop: Header=BB369_11 Depth=1
	v_bfe_u32 v32, v30, 16, 7
	v_mov_b32_e32 v58, 0x7fc02000
	s_mov_b32 s19, exec_lo
	s_delay_alu instid0(VALU_DEP_2)
	v_cmpx_ne_u32_e32 0x7f, v32
	s_cbranch_execz .LBB369_609
; %bb.606:                              ;   in Loop: Header=BB369_11 Depth=1
	v_and_b32_e32 v8, 7, v60
	v_lshrrev_b32_e32 v58, 3, v32
	v_cmp_gt_u32_e64 s1, 8, v32
	s_delay_alu instid0(VALU_DEP_3) | instskip(NEXT) | instid1(VALU_DEP_2)
	v_dual_mov_b32 v33, v9 :: v_dual_mov_b32 v32, v8
	s_and_saveexec_b32 s20, s1
; %bb.607:                              ;   in Loop: Header=BB369_11 Depth=1
	v_clz_i32_u32_e32 v32, v8
	s_delay_alu instid0(VALU_DEP_1) | instskip(NEXT) | instid1(VALU_DEP_1)
	v_min_u32_e32 v58, 32, v32
	v_subrev_nc_u32_e32 v32, 28, v58
	v_sub_nc_u32_e32 v58, 29, v58
	s_delay_alu instid0(VALU_DEP_2) | instskip(NEXT) | instid1(VALU_DEP_1)
	v_lshlrev_b64 v[32:33], v32, v[8:9]
	v_and_b32_e32 v32, 7, v32
; %bb.608:                              ;   in Loop: Header=BB369_11 Depth=1
	s_or_b32 exec_lo, exec_lo, s20
	v_lshlrev_b32_e32 v8, 8, v60
	v_lshl_add_u32 v33, v58, 10, 0x2000
	s_delay_alu instid0(VALU_DEP_1) | instskip(NEXT) | instid1(VALU_DEP_1)
	v_and_or_b32 v8, 0x8000, v8, v33
	v_lshl_or_b32 v8, v32, 7, v8
	s_delay_alu instid0(VALU_DEP_1)
	v_cvt_f32_f16_e32 v58, v8
.LBB369_609:                            ;   in Loop: Header=BB369_11 Depth=1
	s_or_b32 exec_lo, exec_lo, s19
.LBB369_610:                            ;   in Loop: Header=BB369_11 Depth=1
	s_delay_alu instid0(SALU_CYCLE_1)
	s_or_b32 exec_lo, exec_lo, s18
.LBB369_611:                            ;   in Loop: Header=BB369_11 Depth=1
	s_delay_alu instid0(SALU_CYCLE_1)
	s_or_b32 exec_lo, exec_lo, s17
	v_dual_mov_b32 v60, 0 :: v_dual_mov_b32 v61, 0
	s_mov_b32 s17, exec_lo
	v_cmpx_lt_u32_e32 0xffffff, v30
	s_cbranch_execz .LBB369_619
; %bb.612:                              ;   in Loop: Header=BB369_11 Depth=1
	v_lshrrev_b32_e32 v62, 24, v30
	v_bfrev_b32_e32 v61, 1
	s_mov_b32 s18, exec_lo
	s_delay_alu instid0(VALU_DEP_2)
	v_cmpx_ne_u32_e32 0x80, v62
	s_cbranch_execz .LBB369_618
; %bb.613:                              ;   in Loop: Header=BB369_11 Depth=1
	v_and_b32_e32 v32, 0x7f, v62
	v_mov_b32_e32 v61, 0x7fc02000
	s_mov_b32 s19, exec_lo
	s_delay_alu instid0(VALU_DEP_2)
	v_cmpx_ne_u32_e32 0x7f, v32
	s_cbranch_execz .LBB369_617
; %bb.614:                              ;   in Loop: Header=BB369_11 Depth=1
	v_and_b32_e32 v8, 7, v62
	v_lshrrev_b32_e32 v61, 3, v32
	v_cmp_gt_u32_e64 s1, 8, v32
	s_delay_alu instid0(VALU_DEP_3) | instskip(NEXT) | instid1(VALU_DEP_2)
	v_dual_mov_b32 v33, v9 :: v_dual_mov_b32 v32, v8
	s_and_saveexec_b32 s20, s1
; %bb.615:                              ;   in Loop: Header=BB369_11 Depth=1
	v_clz_i32_u32_e32 v32, v8
	s_delay_alu instid0(VALU_DEP_1) | instskip(NEXT) | instid1(VALU_DEP_1)
	v_min_u32_e32 v61, 32, v32
	v_subrev_nc_u32_e32 v32, 28, v61
	v_sub_nc_u32_e32 v61, 29, v61
	s_delay_alu instid0(VALU_DEP_2) | instskip(NEXT) | instid1(VALU_DEP_1)
	v_lshlrev_b64 v[32:33], v32, v[8:9]
	v_and_b32_e32 v32, 7, v32
; %bb.616:                              ;   in Loop: Header=BB369_11 Depth=1
	s_or_b32 exec_lo, exec_lo, s20
	v_lshlrev_b32_e32 v8, 8, v62
	v_lshl_add_u32 v33, v61, 10, 0x2000
	s_delay_alu instid0(VALU_DEP_1) | instskip(NEXT) | instid1(VALU_DEP_1)
	v_and_or_b32 v8, 0x8000, v8, v33
	v_lshl_or_b32 v8, v32, 7, v8
	s_delay_alu instid0(VALU_DEP_1)
	v_cvt_f32_f16_e32 v61, v8
.LBB369_617:                            ;   in Loop: Header=BB369_11 Depth=1
	s_or_b32 exec_lo, exec_lo, s19
.LBB369_618:                            ;   in Loop: Header=BB369_11 Depth=1
	s_delay_alu instid0(SALU_CYCLE_1)
	s_or_b32 exec_lo, exec_lo, s18
.LBB369_619:                            ;   in Loop: Header=BB369_11 Depth=1
	s_delay_alu instid0(SALU_CYCLE_1) | instskip(SKIP_3) | instid1(VALU_DEP_2)
	s_or_b32 exec_lo, exec_lo, s17
	v_and_b32_e32 v32, 0xff, v31
	v_mov_b32_e32 v8, v31
	s_mov_b32 s17, exec_lo
	v_cmpx_ne_u16_e32 0, v32
	s_cbranch_execz .LBB369_627
; %bb.620:                              ;   in Loop: Header=BB369_11 Depth=1
	v_bfrev_b32_e32 v60, 1
	s_mov_b32 s18, exec_lo
	v_cmpx_ne_u16_e32 0x80, v32
	s_cbranch_execz .LBB369_626
; %bb.621:                              ;   in Loop: Header=BB369_11 Depth=1
	v_and_b32_e32 v32, 0x7f, v31
	v_mov_b32_e32 v60, 0x7fc02000
	s_mov_b32 s19, exec_lo
	s_delay_alu instid0(VALU_DEP_2)
	v_cmpx_ne_u32_e32 0x7f, v32
	s_cbranch_execz .LBB369_625
; %bb.622:                              ;   in Loop: Header=BB369_11 Depth=1
	v_lshrrev_b32_e32 v60, 3, v32
	v_cmp_gt_u32_e64 s1, 8, v32
	v_dual_mov_b32 v33, v9 :: v_dual_mov_b32 v32, v8
	s_delay_alu instid0(VALU_DEP_2)
	s_and_saveexec_b32 s20, s1
; %bb.623:                              ;   in Loop: Header=BB369_11 Depth=1
	v_and_b32_e32 v32, 7, v31
	s_delay_alu instid0(VALU_DEP_1) | instskip(NEXT) | instid1(VALU_DEP_1)
	v_clz_i32_u32_e32 v32, v32
	v_min_u32_e32 v60, 32, v32
	s_delay_alu instid0(VALU_DEP_1) | instskip(SKIP_1) | instid1(VALU_DEP_2)
	v_subrev_nc_u32_e32 v32, 28, v60
	v_sub_nc_u32_e32 v60, 29, v60
	v_lshlrev_b64 v[32:33], v32, v[8:9]
; %bb.624:                              ;   in Loop: Header=BB369_11 Depth=1
	s_or_b32 exec_lo, exec_lo, s20
	v_lshlrev_b32_e32 v33, 8, v31
	s_delay_alu instid0(VALU_DEP_3) | instskip(NEXT) | instid1(VALU_DEP_3)
	v_lshl_add_u32 v60, v60, 10, 0x2000
	v_lshlrev_b32_e32 v32, 7, v32
	s_delay_alu instid0(VALU_DEP_2) | instskip(NEXT) | instid1(VALU_DEP_1)
	v_and_or_b32 v33, 0x8000, v33, v60
	v_and_or_b32 v32, 0x380, v32, v33
	s_delay_alu instid0(VALU_DEP_1)
	v_cvt_f32_f16_e32 v60, v32
.LBB369_625:                            ;   in Loop: Header=BB369_11 Depth=1
	s_or_b32 exec_lo, exec_lo, s19
.LBB369_626:                            ;   in Loop: Header=BB369_11 Depth=1
	s_delay_alu instid0(SALU_CYCLE_1)
	s_or_b32 exec_lo, exec_lo, s18
.LBB369_627:                            ;   in Loop: Header=BB369_11 Depth=1
	s_delay_alu instid0(SALU_CYCLE_1) | instskip(SKIP_3) | instid1(VALU_DEP_2)
	s_or_b32 exec_lo, exec_lo, s17
	v_lshrrev_b16 v8, 8, v8
	v_dual_mov_b32 v62, 0 :: v_dual_mov_b32 v63, 0
	s_mov_b32 s17, exec_lo
	v_cmpx_ne_u16_e32 0, v8
	s_cbranch_execz .LBB369_635
; %bb.628:                              ;   in Loop: Header=BB369_11 Depth=1
	v_bfrev_b32_e32 v63, 1
	s_mov_b32 s18, exec_lo
	v_cmpx_ne_u16_e32 0x80, v8
	s_cbranch_execz .LBB369_634
; %bb.629:                              ;   in Loop: Header=BB369_11 Depth=1
	v_and_b32_e32 v72, 0xffff, v8
	v_mov_b32_e32 v63, 0x7fc02000
	s_mov_b32 s19, exec_lo
	s_delay_alu instid0(VALU_DEP_2) | instskip(NEXT) | instid1(VALU_DEP_1)
	v_and_b32_e32 v32, 0x7f, v72
	v_cmpx_ne_u32_e32 0x7f, v32
	s_cbranch_execz .LBB369_633
; %bb.630:                              ;   in Loop: Header=BB369_11 Depth=1
	v_and_b32_e32 v8, 7, v72
	v_lshrrev_b32_e32 v63, 3, v32
	v_cmp_gt_u32_e64 s1, 8, v32
	s_delay_alu instid0(VALU_DEP_3) | instskip(NEXT) | instid1(VALU_DEP_2)
	v_dual_mov_b32 v33, v9 :: v_dual_mov_b32 v32, v8
	s_and_saveexec_b32 s20, s1
; %bb.631:                              ;   in Loop: Header=BB369_11 Depth=1
	v_clz_i32_u32_e32 v32, v8
	s_delay_alu instid0(VALU_DEP_1) | instskip(NEXT) | instid1(VALU_DEP_1)
	v_min_u32_e32 v63, 32, v32
	v_subrev_nc_u32_e32 v32, 28, v63
	v_sub_nc_u32_e32 v63, 29, v63
	s_delay_alu instid0(VALU_DEP_2) | instskip(NEXT) | instid1(VALU_DEP_1)
	v_lshlrev_b64 v[32:33], v32, v[8:9]
	v_and_b32_e32 v32, 7, v32
; %bb.632:                              ;   in Loop: Header=BB369_11 Depth=1
	s_or_b32 exec_lo, exec_lo, s20
	v_lshlrev_b32_e32 v8, 8, v72
	v_lshl_add_u32 v33, v63, 10, 0x2000
	s_delay_alu instid0(VALU_DEP_1) | instskip(NEXT) | instid1(VALU_DEP_1)
	v_and_or_b32 v8, 0x8000, v8, v33
	v_lshl_or_b32 v8, v32, 7, v8
	s_delay_alu instid0(VALU_DEP_1)
	v_cvt_f32_f16_e32 v63, v8
.LBB369_633:                            ;   in Loop: Header=BB369_11 Depth=1
	s_or_b32 exec_lo, exec_lo, s19
.LBB369_634:                            ;   in Loop: Header=BB369_11 Depth=1
	s_delay_alu instid0(SALU_CYCLE_1)
	s_or_b32 exec_lo, exec_lo, s18
.LBB369_635:                            ;   in Loop: Header=BB369_11 Depth=1
	s_delay_alu instid0(SALU_CYCLE_1) | instskip(SKIP_2) | instid1(VALU_DEP_1)
	s_or_b32 exec_lo, exec_lo, s17
	v_lshrrev_b32_e32 v72, 16, v31
	s_mov_b32 s17, exec_lo
	v_and_b32_e32 v8, 0xff, v72
	s_delay_alu instid0(VALU_DEP_1)
	v_cmpx_ne_u16_e32 0, v8
	s_cbranch_execz .LBB369_643
; %bb.636:                              ;   in Loop: Header=BB369_11 Depth=1
	v_bfrev_b32_e32 v62, 1
	s_mov_b32 s18, exec_lo
	v_cmpx_ne_u16_e32 0x80, v8
	s_cbranch_execz .LBB369_642
; %bb.637:                              ;   in Loop: Header=BB369_11 Depth=1
	v_bfe_u32 v32, v31, 16, 7
	v_mov_b32_e32 v62, 0x7fc02000
	s_mov_b32 s19, exec_lo
	s_delay_alu instid0(VALU_DEP_2)
	v_cmpx_ne_u32_e32 0x7f, v32
	s_cbranch_execz .LBB369_641
; %bb.638:                              ;   in Loop: Header=BB369_11 Depth=1
	v_and_b32_e32 v8, 7, v72
	v_lshrrev_b32_e32 v62, 3, v32
	v_cmp_gt_u32_e64 s1, 8, v32
	s_delay_alu instid0(VALU_DEP_3) | instskip(NEXT) | instid1(VALU_DEP_2)
	v_dual_mov_b32 v33, v9 :: v_dual_mov_b32 v32, v8
	s_and_saveexec_b32 s20, s1
; %bb.639:                              ;   in Loop: Header=BB369_11 Depth=1
	v_clz_i32_u32_e32 v32, v8
	s_delay_alu instid0(VALU_DEP_1) | instskip(NEXT) | instid1(VALU_DEP_1)
	v_min_u32_e32 v62, 32, v32
	v_subrev_nc_u32_e32 v32, 28, v62
	v_sub_nc_u32_e32 v62, 29, v62
	s_delay_alu instid0(VALU_DEP_2) | instskip(NEXT) | instid1(VALU_DEP_1)
	v_lshlrev_b64 v[32:33], v32, v[8:9]
	v_and_b32_e32 v32, 7, v32
; %bb.640:                              ;   in Loop: Header=BB369_11 Depth=1
	s_or_b32 exec_lo, exec_lo, s20
	v_lshlrev_b32_e32 v8, 8, v72
	v_lshl_add_u32 v33, v62, 10, 0x2000
	s_delay_alu instid0(VALU_DEP_1) | instskip(NEXT) | instid1(VALU_DEP_1)
	v_and_or_b32 v8, 0x8000, v8, v33
	v_lshl_or_b32 v8, v32, 7, v8
	s_delay_alu instid0(VALU_DEP_1)
	v_cvt_f32_f16_e32 v62, v8
.LBB369_641:                            ;   in Loop: Header=BB369_11 Depth=1
	s_or_b32 exec_lo, exec_lo, s19
.LBB369_642:                            ;   in Loop: Header=BB369_11 Depth=1
	s_delay_alu instid0(SALU_CYCLE_1)
	s_or_b32 exec_lo, exec_lo, s18
.LBB369_643:                            ;   in Loop: Header=BB369_11 Depth=1
	s_delay_alu instid0(SALU_CYCLE_1)
	s_or_b32 exec_lo, exec_lo, s17
	v_dual_mov_b32 v73, 0 :: v_dual_mov_b32 v72, 0
	s_mov_b32 s17, exec_lo
	v_cmpx_lt_u64_e64 s[2:3], v[30:31]
	s_cbranch_execz .LBB369_651
; %bb.644:                              ;   in Loop: Header=BB369_11 Depth=1
	v_lshrrev_b32_e32 v32, 24, v31
	v_bfrev_b32_e32 v72, 1
	s_mov_b32 s18, exec_lo
	s_delay_alu instid0(VALU_DEP_2)
	v_cmpx_ne_u32_e32 0x80, v32
	s_cbranch_execz .LBB369_650
; %bb.645:                              ;   in Loop: Header=BB369_11 Depth=1
	v_and_b32_e32 v30, 0x7f, v32
	v_mov_b32_e32 v72, 0x7fc02000
	s_mov_b32 s19, exec_lo
	s_delay_alu instid0(VALU_DEP_2)
	v_cmpx_ne_u32_e32 0x7f, v30
	s_cbranch_execz .LBB369_649
; %bb.646:                              ;   in Loop: Header=BB369_11 Depth=1
	v_and_b32_e32 v8, 7, v32
	v_lshrrev_b32_e32 v33, 3, v30
	v_cmp_gt_u32_e64 s1, 8, v30
	s_delay_alu instid0(VALU_DEP_3) | instskip(NEXT) | instid1(VALU_DEP_2)
	v_dual_mov_b32 v31, v9 :: v_dual_mov_b32 v30, v8
	s_and_saveexec_b32 s20, s1
; %bb.647:                              ;   in Loop: Header=BB369_11 Depth=1
	v_clz_i32_u32_e32 v30, v8
	s_delay_alu instid0(VALU_DEP_1) | instskip(NEXT) | instid1(VALU_DEP_1)
	v_min_u32_e32 v33, 32, v30
	v_subrev_nc_u32_e32 v30, 28, v33
	v_sub_nc_u32_e32 v33, 29, v33
	s_delay_alu instid0(VALU_DEP_2) | instskip(NEXT) | instid1(VALU_DEP_1)
	v_lshlrev_b64 v[30:31], v30, v[8:9]
	v_and_b32_e32 v30, 7, v30
; %bb.648:                              ;   in Loop: Header=BB369_11 Depth=1
	s_or_b32 exec_lo, exec_lo, s20
	v_lshlrev_b32_e32 v8, 8, v32
	v_lshl_add_u32 v31, v33, 10, 0x2000
	s_delay_alu instid0(VALU_DEP_1) | instskip(NEXT) | instid1(VALU_DEP_1)
	v_and_or_b32 v8, 0x8000, v8, v31
	v_lshl_or_b32 v8, v30, 7, v8
	s_delay_alu instid0(VALU_DEP_1)
	v_cvt_f32_f16_e32 v72, v8
.LBB369_649:                            ;   in Loop: Header=BB369_11 Depth=1
	s_or_b32 exec_lo, exec_lo, s19
.LBB369_650:                            ;   in Loop: Header=BB369_11 Depth=1
	s_delay_alu instid0(SALU_CYCLE_1)
	s_or_b32 exec_lo, exec_lo, s18
.LBB369_651:                            ;   in Loop: Header=BB369_11 Depth=1
	s_delay_alu instid0(SALU_CYCLE_1) | instskip(SKIP_4) | instid1(VALU_DEP_1)
	s_or_b32 exec_lo, exec_lo, s17
	flat_load_b64 v[30:31], v[28:29] offset:2560
	s_mov_b32 s17, exec_lo
	s_waitcnt vmcnt(0) lgkmcnt(0)
	v_and_b32_e32 v8, 0xff, v30
	v_cmpx_ne_u16_e32 0, v8
	s_cbranch_execz .LBB369_659
; %bb.652:                              ;   in Loop: Header=BB369_11 Depth=1
	v_bfrev_b32_e32 v73, 1
	s_mov_b32 s18, exec_lo
	v_cmpx_ne_u16_e32 0x80, v8
	s_cbranch_execz .LBB369_658
; %bb.653:                              ;   in Loop: Header=BB369_11 Depth=1
	v_and_b32_e32 v32, 0x7f, v30
	v_mov_b32_e32 v73, 0x7fc02000
	s_mov_b32 s19, exec_lo
	s_delay_alu instid0(VALU_DEP_2)
	v_cmpx_ne_u32_e32 0x7f, v32
	s_cbranch_execz .LBB369_657
; %bb.654:                              ;   in Loop: Header=BB369_11 Depth=1
	v_lshrrev_b32_e32 v8, 3, v32
	v_cmp_gt_u32_e64 s1, 8, v32
	v_dual_mov_b32 v33, v31 :: v_dual_mov_b32 v32, v30
	s_delay_alu instid0(VALU_DEP_2)
	s_and_saveexec_b32 s20, s1
; %bb.655:                              ;   in Loop: Header=BB369_11 Depth=1
	v_and_b32_e32 v8, 7, v30
	s_delay_alu instid0(VALU_DEP_1) | instskip(NEXT) | instid1(VALU_DEP_1)
	v_clz_i32_u32_e32 v8, v8
	v_min_u32_e32 v8, 32, v8
	s_delay_alu instid0(VALU_DEP_1) | instskip(SKIP_1) | instid1(VALU_DEP_2)
	v_subrev_nc_u32_e32 v32, 28, v8
	v_sub_nc_u32_e32 v8, 29, v8
	v_lshlrev_b64 v[32:33], v32, v[30:31]
; %bb.656:                              ;   in Loop: Header=BB369_11 Depth=1
	s_or_b32 exec_lo, exec_lo, s20
	v_lshlrev_b32_e32 v33, 8, v30
	s_delay_alu instid0(VALU_DEP_3) | instskip(NEXT) | instid1(VALU_DEP_3)
	v_lshl_add_u32 v8, v8, 10, 0x2000
	v_lshlrev_b32_e32 v32, 7, v32
	s_delay_alu instid0(VALU_DEP_2) | instskip(NEXT) | instid1(VALU_DEP_1)
	v_and_or_b32 v8, 0x8000, v33, v8
	v_and_or_b32 v8, 0x380, v32, v8
	s_delay_alu instid0(VALU_DEP_1)
	v_cvt_f32_f16_e32 v73, v8
.LBB369_657:                            ;   in Loop: Header=BB369_11 Depth=1
	s_or_b32 exec_lo, exec_lo, s19
.LBB369_658:                            ;   in Loop: Header=BB369_11 Depth=1
	s_delay_alu instid0(SALU_CYCLE_1)
	s_or_b32 exec_lo, exec_lo, s18
.LBB369_659:                            ;   in Loop: Header=BB369_11 Depth=1
	s_delay_alu instid0(SALU_CYCLE_1) | instskip(SKIP_3) | instid1(VALU_DEP_2)
	s_or_b32 exec_lo, exec_lo, s17
	v_lshrrev_b16 v8, 8, v30
	v_dual_mov_b32 v78, 0 :: v_dual_mov_b32 v79, 0
	s_mov_b32 s17, exec_lo
	v_cmpx_ne_u16_e32 0, v8
	s_cbranch_execz .LBB369_667
; %bb.660:                              ;   in Loop: Header=BB369_11 Depth=1
	v_bfrev_b32_e32 v79, 1
	s_mov_b32 s18, exec_lo
	v_cmpx_ne_u16_e32 0x80, v8
	s_cbranch_execz .LBB369_666
; %bb.661:                              ;   in Loop: Header=BB369_11 Depth=1
	v_and_b32_e32 v74, 0xffff, v8
	v_mov_b32_e32 v79, 0x7fc02000
	s_mov_b32 s19, exec_lo
	s_delay_alu instid0(VALU_DEP_2) | instskip(NEXT) | instid1(VALU_DEP_1)
	v_and_b32_e32 v32, 0x7f, v74
	v_cmpx_ne_u32_e32 0x7f, v32
	s_cbranch_execz .LBB369_665
; %bb.662:                              ;   in Loop: Header=BB369_11 Depth=1
	v_and_b32_e32 v8, 7, v74
	v_lshrrev_b32_e32 v75, 3, v32
	v_cmp_gt_u32_e64 s1, 8, v32
	s_delay_alu instid0(VALU_DEP_3) | instskip(NEXT) | instid1(VALU_DEP_2)
	v_dual_mov_b32 v33, v9 :: v_dual_mov_b32 v32, v8
	s_and_saveexec_b32 s20, s1
; %bb.663:                              ;   in Loop: Header=BB369_11 Depth=1
	v_clz_i32_u32_e32 v32, v8
	s_delay_alu instid0(VALU_DEP_1) | instskip(NEXT) | instid1(VALU_DEP_1)
	v_min_u32_e32 v75, 32, v32
	v_subrev_nc_u32_e32 v32, 28, v75
	v_sub_nc_u32_e32 v75, 29, v75
	s_delay_alu instid0(VALU_DEP_2) | instskip(NEXT) | instid1(VALU_DEP_1)
	v_lshlrev_b64 v[32:33], v32, v[8:9]
	v_and_b32_e32 v32, 7, v32
; %bb.664:                              ;   in Loop: Header=BB369_11 Depth=1
	s_or_b32 exec_lo, exec_lo, s20
	v_lshlrev_b32_e32 v8, 8, v74
	v_lshl_add_u32 v33, v75, 10, 0x2000
	s_delay_alu instid0(VALU_DEP_1) | instskip(NEXT) | instid1(VALU_DEP_1)
	v_and_or_b32 v8, 0x8000, v8, v33
	v_lshl_or_b32 v8, v32, 7, v8
	s_delay_alu instid0(VALU_DEP_1)
	v_cvt_f32_f16_e32 v79, v8
.LBB369_665:                            ;   in Loop: Header=BB369_11 Depth=1
	s_or_b32 exec_lo, exec_lo, s19
.LBB369_666:                            ;   in Loop: Header=BB369_11 Depth=1
	s_delay_alu instid0(SALU_CYCLE_1)
	s_or_b32 exec_lo, exec_lo, s18
.LBB369_667:                            ;   in Loop: Header=BB369_11 Depth=1
	s_delay_alu instid0(SALU_CYCLE_1) | instskip(SKIP_2) | instid1(VALU_DEP_1)
	s_or_b32 exec_lo, exec_lo, s17
	v_lshrrev_b32_e32 v74, 16, v30
	s_mov_b32 s17, exec_lo
	v_and_b32_e32 v8, 0xff, v74
	s_delay_alu instid0(VALU_DEP_1)
	v_cmpx_ne_u16_e32 0, v8
	s_cbranch_execz .LBB369_675
; %bb.668:                              ;   in Loop: Header=BB369_11 Depth=1
	v_bfrev_b32_e32 v78, 1
	s_mov_b32 s18, exec_lo
	v_cmpx_ne_u16_e32 0x80, v8
	s_cbranch_execz .LBB369_674
; %bb.669:                              ;   in Loop: Header=BB369_11 Depth=1
	v_bfe_u32 v32, v30, 16, 7
	v_mov_b32_e32 v78, 0x7fc02000
	s_mov_b32 s19, exec_lo
	s_delay_alu instid0(VALU_DEP_2)
	v_cmpx_ne_u32_e32 0x7f, v32
	s_cbranch_execz .LBB369_673
; %bb.670:                              ;   in Loop: Header=BB369_11 Depth=1
	v_and_b32_e32 v8, 7, v74
	v_lshrrev_b32_e32 v75, 3, v32
	v_cmp_gt_u32_e64 s1, 8, v32
	s_delay_alu instid0(VALU_DEP_3) | instskip(NEXT) | instid1(VALU_DEP_2)
	v_dual_mov_b32 v33, v9 :: v_dual_mov_b32 v32, v8
	s_and_saveexec_b32 s20, s1
; %bb.671:                              ;   in Loop: Header=BB369_11 Depth=1
	v_clz_i32_u32_e32 v32, v8
	s_delay_alu instid0(VALU_DEP_1) | instskip(NEXT) | instid1(VALU_DEP_1)
	v_min_u32_e32 v75, 32, v32
	v_subrev_nc_u32_e32 v32, 28, v75
	v_sub_nc_u32_e32 v75, 29, v75
	s_delay_alu instid0(VALU_DEP_2) | instskip(NEXT) | instid1(VALU_DEP_1)
	v_lshlrev_b64 v[32:33], v32, v[8:9]
	v_and_b32_e32 v32, 7, v32
; %bb.672:                              ;   in Loop: Header=BB369_11 Depth=1
	s_or_b32 exec_lo, exec_lo, s20
	v_lshlrev_b32_e32 v8, 8, v74
	v_lshl_add_u32 v33, v75, 10, 0x2000
	s_delay_alu instid0(VALU_DEP_1) | instskip(NEXT) | instid1(VALU_DEP_1)
	v_and_or_b32 v8, 0x8000, v8, v33
	v_lshl_or_b32 v8, v32, 7, v8
	s_delay_alu instid0(VALU_DEP_1)
	v_cvt_f32_f16_e32 v78, v8
.LBB369_673:                            ;   in Loop: Header=BB369_11 Depth=1
	s_or_b32 exec_lo, exec_lo, s19
.LBB369_674:                            ;   in Loop: Header=BB369_11 Depth=1
	s_delay_alu instid0(SALU_CYCLE_1)
	s_or_b32 exec_lo, exec_lo, s18
.LBB369_675:                            ;   in Loop: Header=BB369_11 Depth=1
	s_delay_alu instid0(SALU_CYCLE_1)
	s_or_b32 exec_lo, exec_lo, s17
	v_dual_mov_b32 v92, 0 :: v_dual_mov_b32 v93, 0
	s_mov_b32 s17, exec_lo
	v_cmpx_lt_u32_e32 0xffffff, v30
	s_cbranch_execz .LBB369_683
; %bb.676:                              ;   in Loop: Header=BB369_11 Depth=1
	v_lshrrev_b32_e32 v74, 24, v30
	v_bfrev_b32_e32 v93, 1
	s_mov_b32 s18, exec_lo
	s_delay_alu instid0(VALU_DEP_2)
	v_cmpx_ne_u32_e32 0x80, v74
	s_cbranch_execz .LBB369_682
; %bb.677:                              ;   in Loop: Header=BB369_11 Depth=1
	v_and_b32_e32 v32, 0x7f, v74
	v_mov_b32_e32 v93, 0x7fc02000
	s_mov_b32 s19, exec_lo
	s_delay_alu instid0(VALU_DEP_2)
	v_cmpx_ne_u32_e32 0x7f, v32
	s_cbranch_execz .LBB369_681
; %bb.678:                              ;   in Loop: Header=BB369_11 Depth=1
	v_and_b32_e32 v8, 7, v74
	v_lshrrev_b32_e32 v75, 3, v32
	v_cmp_gt_u32_e64 s1, 8, v32
	s_delay_alu instid0(VALU_DEP_3) | instskip(NEXT) | instid1(VALU_DEP_2)
	v_dual_mov_b32 v33, v9 :: v_dual_mov_b32 v32, v8
	s_and_saveexec_b32 s20, s1
; %bb.679:                              ;   in Loop: Header=BB369_11 Depth=1
	v_clz_i32_u32_e32 v32, v8
	s_delay_alu instid0(VALU_DEP_1) | instskip(NEXT) | instid1(VALU_DEP_1)
	v_min_u32_e32 v75, 32, v32
	v_subrev_nc_u32_e32 v32, 28, v75
	v_sub_nc_u32_e32 v75, 29, v75
	s_delay_alu instid0(VALU_DEP_2) | instskip(NEXT) | instid1(VALU_DEP_1)
	v_lshlrev_b64 v[32:33], v32, v[8:9]
	v_and_b32_e32 v32, 7, v32
; %bb.680:                              ;   in Loop: Header=BB369_11 Depth=1
	s_or_b32 exec_lo, exec_lo, s20
	v_lshlrev_b32_e32 v8, 8, v74
	v_lshl_add_u32 v33, v75, 10, 0x2000
	s_delay_alu instid0(VALU_DEP_1) | instskip(NEXT) | instid1(VALU_DEP_1)
	v_and_or_b32 v8, 0x8000, v8, v33
	v_lshl_or_b32 v8, v32, 7, v8
	s_delay_alu instid0(VALU_DEP_1)
	v_cvt_f32_f16_e32 v93, v8
.LBB369_681:                            ;   in Loop: Header=BB369_11 Depth=1
	s_or_b32 exec_lo, exec_lo, s19
.LBB369_682:                            ;   in Loop: Header=BB369_11 Depth=1
	s_delay_alu instid0(SALU_CYCLE_1)
	s_or_b32 exec_lo, exec_lo, s18
.LBB369_683:                            ;   in Loop: Header=BB369_11 Depth=1
	s_delay_alu instid0(SALU_CYCLE_1) | instskip(SKIP_3) | instid1(VALU_DEP_2)
	s_or_b32 exec_lo, exec_lo, s17
	v_and_b32_e32 v32, 0xff, v31
	v_mov_b32_e32 v8, v31
	s_mov_b32 s17, exec_lo
	v_cmpx_ne_u16_e32 0, v32
	s_cbranch_execz .LBB369_691
; %bb.684:                              ;   in Loop: Header=BB369_11 Depth=1
	v_bfrev_b32_e32 v92, 1
	s_mov_b32 s18, exec_lo
	v_cmpx_ne_u16_e32 0x80, v32
	s_cbranch_execz .LBB369_690
; %bb.685:                              ;   in Loop: Header=BB369_11 Depth=1
	v_and_b32_e32 v32, 0x7f, v31
	v_mov_b32_e32 v92, 0x7fc02000
	s_mov_b32 s19, exec_lo
	s_delay_alu instid0(VALU_DEP_2)
	v_cmpx_ne_u32_e32 0x7f, v32
	s_cbranch_execz .LBB369_689
; %bb.686:                              ;   in Loop: Header=BB369_11 Depth=1
	v_lshrrev_b32_e32 v74, 3, v32
	v_cmp_gt_u32_e64 s1, 8, v32
	v_dual_mov_b32 v33, v9 :: v_dual_mov_b32 v32, v8
	s_delay_alu instid0(VALU_DEP_2)
	s_and_saveexec_b32 s20, s1
; %bb.687:                              ;   in Loop: Header=BB369_11 Depth=1
	v_and_b32_e32 v32, 7, v31
	s_delay_alu instid0(VALU_DEP_1) | instskip(NEXT) | instid1(VALU_DEP_1)
	v_clz_i32_u32_e32 v32, v32
	v_min_u32_e32 v74, 32, v32
	s_delay_alu instid0(VALU_DEP_1) | instskip(SKIP_1) | instid1(VALU_DEP_2)
	v_subrev_nc_u32_e32 v32, 28, v74
	v_sub_nc_u32_e32 v74, 29, v74
	v_lshlrev_b64 v[32:33], v32, v[8:9]
; %bb.688:                              ;   in Loop: Header=BB369_11 Depth=1
	s_or_b32 exec_lo, exec_lo, s20
	v_lshlrev_b32_e32 v33, 8, v31
	s_delay_alu instid0(VALU_DEP_3) | instskip(NEXT) | instid1(VALU_DEP_3)
	v_lshl_add_u32 v74, v74, 10, 0x2000
	v_lshlrev_b32_e32 v32, 7, v32
	s_delay_alu instid0(VALU_DEP_2) | instskip(NEXT) | instid1(VALU_DEP_1)
	v_and_or_b32 v33, 0x8000, v33, v74
	v_and_or_b32 v32, 0x380, v32, v33
	s_delay_alu instid0(VALU_DEP_1)
	v_cvt_f32_f16_e32 v92, v32
.LBB369_689:                            ;   in Loop: Header=BB369_11 Depth=1
	s_or_b32 exec_lo, exec_lo, s19
.LBB369_690:                            ;   in Loop: Header=BB369_11 Depth=1
	s_delay_alu instid0(SALU_CYCLE_1)
	s_or_b32 exec_lo, exec_lo, s18
.LBB369_691:                            ;   in Loop: Header=BB369_11 Depth=1
	s_delay_alu instid0(SALU_CYCLE_1) | instskip(SKIP_3) | instid1(VALU_DEP_2)
	s_or_b32 exec_lo, exec_lo, s17
	v_lshrrev_b16 v8, 8, v8
	v_dual_mov_b32 v108, 0 :: v_dual_mov_b32 v109, 0
	s_mov_b32 s17, exec_lo
	v_cmpx_ne_u16_e32 0, v8
	s_cbranch_execz .LBB369_699
; %bb.692:                              ;   in Loop: Header=BB369_11 Depth=1
	v_bfrev_b32_e32 v109, 1
	s_mov_b32 s18, exec_lo
	v_cmpx_ne_u16_e32 0x80, v8
	s_cbranch_execz .LBB369_698
; %bb.693:                              ;   in Loop: Header=BB369_11 Depth=1
	v_and_b32_e32 v74, 0xffff, v8
	v_mov_b32_e32 v109, 0x7fc02000
	s_mov_b32 s19, exec_lo
	s_delay_alu instid0(VALU_DEP_2) | instskip(NEXT) | instid1(VALU_DEP_1)
	v_and_b32_e32 v32, 0x7f, v74
	v_cmpx_ne_u32_e32 0x7f, v32
	s_cbranch_execz .LBB369_697
; %bb.694:                              ;   in Loop: Header=BB369_11 Depth=1
	v_and_b32_e32 v8, 7, v74
	v_lshrrev_b32_e32 v75, 3, v32
	v_cmp_gt_u32_e64 s1, 8, v32
	s_delay_alu instid0(VALU_DEP_3) | instskip(NEXT) | instid1(VALU_DEP_2)
	v_dual_mov_b32 v33, v9 :: v_dual_mov_b32 v32, v8
	s_and_saveexec_b32 s20, s1
; %bb.695:                              ;   in Loop: Header=BB369_11 Depth=1
	v_clz_i32_u32_e32 v32, v8
	s_delay_alu instid0(VALU_DEP_1) | instskip(NEXT) | instid1(VALU_DEP_1)
	v_min_u32_e32 v75, 32, v32
	v_subrev_nc_u32_e32 v32, 28, v75
	v_sub_nc_u32_e32 v75, 29, v75
	s_delay_alu instid0(VALU_DEP_2) | instskip(NEXT) | instid1(VALU_DEP_1)
	v_lshlrev_b64 v[32:33], v32, v[8:9]
	v_and_b32_e32 v32, 7, v32
; %bb.696:                              ;   in Loop: Header=BB369_11 Depth=1
	s_or_b32 exec_lo, exec_lo, s20
	v_lshlrev_b32_e32 v8, 8, v74
	v_lshl_add_u32 v33, v75, 10, 0x2000
	s_delay_alu instid0(VALU_DEP_1) | instskip(NEXT) | instid1(VALU_DEP_1)
	v_and_or_b32 v8, 0x8000, v8, v33
	v_lshl_or_b32 v8, v32, 7, v8
	s_delay_alu instid0(VALU_DEP_1)
	v_cvt_f32_f16_e32 v109, v8
.LBB369_697:                            ;   in Loop: Header=BB369_11 Depth=1
	s_or_b32 exec_lo, exec_lo, s19
.LBB369_698:                            ;   in Loop: Header=BB369_11 Depth=1
	s_delay_alu instid0(SALU_CYCLE_1)
	s_or_b32 exec_lo, exec_lo, s18
.LBB369_699:                            ;   in Loop: Header=BB369_11 Depth=1
	s_delay_alu instid0(SALU_CYCLE_1) | instskip(SKIP_2) | instid1(VALU_DEP_1)
	s_or_b32 exec_lo, exec_lo, s17
	v_lshrrev_b32_e32 v74, 16, v31
	s_mov_b32 s17, exec_lo
	v_and_b32_e32 v8, 0xff, v74
	s_delay_alu instid0(VALU_DEP_1)
	v_cmpx_ne_u16_e32 0, v8
	s_cbranch_execz .LBB369_707
; %bb.700:                              ;   in Loop: Header=BB369_11 Depth=1
	v_bfrev_b32_e32 v108, 1
	s_mov_b32 s18, exec_lo
	v_cmpx_ne_u16_e32 0x80, v8
	s_cbranch_execz .LBB369_706
; %bb.701:                              ;   in Loop: Header=BB369_11 Depth=1
	v_bfe_u32 v32, v31, 16, 7
	v_mov_b32_e32 v108, 0x7fc02000
	s_mov_b32 s19, exec_lo
	s_delay_alu instid0(VALU_DEP_2)
	v_cmpx_ne_u32_e32 0x7f, v32
	s_cbranch_execz .LBB369_705
; %bb.702:                              ;   in Loop: Header=BB369_11 Depth=1
	v_and_b32_e32 v8, 7, v74
	v_lshrrev_b32_e32 v75, 3, v32
	v_cmp_gt_u32_e64 s1, 8, v32
	s_delay_alu instid0(VALU_DEP_3) | instskip(NEXT) | instid1(VALU_DEP_2)
	v_dual_mov_b32 v33, v9 :: v_dual_mov_b32 v32, v8
	s_and_saveexec_b32 s20, s1
; %bb.703:                              ;   in Loop: Header=BB369_11 Depth=1
	v_clz_i32_u32_e32 v32, v8
	s_delay_alu instid0(VALU_DEP_1) | instskip(NEXT) | instid1(VALU_DEP_1)
	v_min_u32_e32 v75, 32, v32
	v_subrev_nc_u32_e32 v32, 28, v75
	v_sub_nc_u32_e32 v75, 29, v75
	s_delay_alu instid0(VALU_DEP_2) | instskip(NEXT) | instid1(VALU_DEP_1)
	v_lshlrev_b64 v[32:33], v32, v[8:9]
	v_and_b32_e32 v32, 7, v32
; %bb.704:                              ;   in Loop: Header=BB369_11 Depth=1
	s_or_b32 exec_lo, exec_lo, s20
	v_lshlrev_b32_e32 v8, 8, v74
	v_lshl_add_u32 v33, v75, 10, 0x2000
	s_delay_alu instid0(VALU_DEP_1) | instskip(NEXT) | instid1(VALU_DEP_1)
	v_and_or_b32 v8, 0x8000, v8, v33
	v_lshl_or_b32 v8, v32, 7, v8
	s_delay_alu instid0(VALU_DEP_1)
	v_cvt_f32_f16_e32 v108, v8
.LBB369_705:                            ;   in Loop: Header=BB369_11 Depth=1
	s_or_b32 exec_lo, exec_lo, s19
.LBB369_706:                            ;   in Loop: Header=BB369_11 Depth=1
	s_delay_alu instid0(SALU_CYCLE_1)
	s_or_b32 exec_lo, exec_lo, s18
.LBB369_707:                            ;   in Loop: Header=BB369_11 Depth=1
	s_delay_alu instid0(SALU_CYCLE_1)
	s_or_b32 exec_lo, exec_lo, s17
	v_dual_mov_b32 v125, 0 :: v_dual_mov_b32 v124, 0
	s_mov_b32 s17, exec_lo
	v_cmpx_lt_u64_e64 s[2:3], v[30:31]
	s_cbranch_execz .LBB369_715
; %bb.708:                              ;   in Loop: Header=BB369_11 Depth=1
	v_lshrrev_b32_e32 v32, 24, v31
	v_bfrev_b32_e32 v124, 1
	s_mov_b32 s18, exec_lo
	s_delay_alu instid0(VALU_DEP_2)
	v_cmpx_ne_u32_e32 0x80, v32
	s_cbranch_execz .LBB369_714
; %bb.709:                              ;   in Loop: Header=BB369_11 Depth=1
	v_and_b32_e32 v30, 0x7f, v32
	v_mov_b32_e32 v124, 0x7fc02000
	s_mov_b32 s19, exec_lo
	s_delay_alu instid0(VALU_DEP_2)
	v_cmpx_ne_u32_e32 0x7f, v30
	s_cbranch_execz .LBB369_713
; %bb.710:                              ;   in Loop: Header=BB369_11 Depth=1
	v_and_b32_e32 v8, 7, v32
	v_lshrrev_b32_e32 v33, 3, v30
	v_cmp_gt_u32_e64 s1, 8, v30
	s_delay_alu instid0(VALU_DEP_3) | instskip(NEXT) | instid1(VALU_DEP_2)
	v_dual_mov_b32 v31, v9 :: v_dual_mov_b32 v30, v8
	s_and_saveexec_b32 s20, s1
; %bb.711:                              ;   in Loop: Header=BB369_11 Depth=1
	v_clz_i32_u32_e32 v30, v8
	s_delay_alu instid0(VALU_DEP_1) | instskip(NEXT) | instid1(VALU_DEP_1)
	v_min_u32_e32 v33, 32, v30
	v_subrev_nc_u32_e32 v30, 28, v33
	v_sub_nc_u32_e32 v33, 29, v33
	s_delay_alu instid0(VALU_DEP_2) | instskip(NEXT) | instid1(VALU_DEP_1)
	v_lshlrev_b64 v[30:31], v30, v[8:9]
	v_and_b32_e32 v30, 7, v30
; %bb.712:                              ;   in Loop: Header=BB369_11 Depth=1
	s_or_b32 exec_lo, exec_lo, s20
	v_lshlrev_b32_e32 v8, 8, v32
	v_lshl_add_u32 v31, v33, 10, 0x2000
	s_delay_alu instid0(VALU_DEP_1) | instskip(NEXT) | instid1(VALU_DEP_1)
	v_and_or_b32 v8, 0x8000, v8, v31
	v_lshl_or_b32 v8, v30, 7, v8
	s_delay_alu instid0(VALU_DEP_1)
	v_cvt_f32_f16_e32 v124, v8
.LBB369_713:                            ;   in Loop: Header=BB369_11 Depth=1
	s_or_b32 exec_lo, exec_lo, s19
.LBB369_714:                            ;   in Loop: Header=BB369_11 Depth=1
	s_delay_alu instid0(SALU_CYCLE_1)
	s_or_b32 exec_lo, exec_lo, s18
.LBB369_715:                            ;   in Loop: Header=BB369_11 Depth=1
	s_delay_alu instid0(SALU_CYCLE_1) | instskip(SKIP_4) | instid1(VALU_DEP_1)
	s_or_b32 exec_lo, exec_lo, s17
	flat_load_b64 v[30:31], v[28:29] offset:2568
	s_mov_b32 s17, exec_lo
	s_waitcnt vmcnt(0) lgkmcnt(0)
	v_and_b32_e32 v8, 0xff, v30
	v_cmpx_ne_u16_e32 0, v8
	s_cbranch_execz .LBB369_723
; %bb.716:                              ;   in Loop: Header=BB369_11 Depth=1
	v_bfrev_b32_e32 v125, 1
	s_mov_b32 s18, exec_lo
	v_cmpx_ne_u16_e32 0x80, v8
	s_cbranch_execz .LBB369_722
; %bb.717:                              ;   in Loop: Header=BB369_11 Depth=1
	v_and_b32_e32 v32, 0x7f, v30
	v_mov_b32_e32 v125, 0x7fc02000
	s_mov_b32 s19, exec_lo
	s_delay_alu instid0(VALU_DEP_2)
	v_cmpx_ne_u32_e32 0x7f, v32
	s_cbranch_execz .LBB369_721
; %bb.718:                              ;   in Loop: Header=BB369_11 Depth=1
	v_lshrrev_b32_e32 v8, 3, v32
	v_cmp_gt_u32_e64 s1, 8, v32
	v_dual_mov_b32 v33, v31 :: v_dual_mov_b32 v32, v30
	s_delay_alu instid0(VALU_DEP_2)
	s_and_saveexec_b32 s20, s1
; %bb.719:                              ;   in Loop: Header=BB369_11 Depth=1
	v_and_b32_e32 v8, 7, v30
	s_delay_alu instid0(VALU_DEP_1) | instskip(NEXT) | instid1(VALU_DEP_1)
	v_clz_i32_u32_e32 v8, v8
	v_min_u32_e32 v8, 32, v8
	s_delay_alu instid0(VALU_DEP_1) | instskip(SKIP_1) | instid1(VALU_DEP_2)
	v_subrev_nc_u32_e32 v32, 28, v8
	v_sub_nc_u32_e32 v8, 29, v8
	v_lshlrev_b64 v[32:33], v32, v[30:31]
; %bb.720:                              ;   in Loop: Header=BB369_11 Depth=1
	s_or_b32 exec_lo, exec_lo, s20
	v_lshlrev_b32_e32 v33, 8, v30
	s_delay_alu instid0(VALU_DEP_3) | instskip(NEXT) | instid1(VALU_DEP_3)
	v_lshl_add_u32 v8, v8, 10, 0x2000
	v_lshlrev_b32_e32 v32, 7, v32
	s_delay_alu instid0(VALU_DEP_2) | instskip(NEXT) | instid1(VALU_DEP_1)
	v_and_or_b32 v8, 0x8000, v33, v8
	v_and_or_b32 v8, 0x380, v32, v8
	s_delay_alu instid0(VALU_DEP_1)
	v_cvt_f32_f16_e32 v125, v8
.LBB369_721:                            ;   in Loop: Header=BB369_11 Depth=1
	s_or_b32 exec_lo, exec_lo, s19
.LBB369_722:                            ;   in Loop: Header=BB369_11 Depth=1
	s_delay_alu instid0(SALU_CYCLE_1)
	s_or_b32 exec_lo, exec_lo, s18
.LBB369_723:                            ;   in Loop: Header=BB369_11 Depth=1
	s_delay_alu instid0(SALU_CYCLE_1) | instskip(SKIP_3) | instid1(VALU_DEP_2)
	s_or_b32 exec_lo, exec_lo, s17
	v_lshrrev_b16 v8, 8, v30
	v_dual_mov_b32 v136, 0 :: v_dual_mov_b32 v137, 0
	s_mov_b32 s17, exec_lo
	v_cmpx_ne_u16_e32 0, v8
	s_cbranch_execz .LBB369_731
; %bb.724:                              ;   in Loop: Header=BB369_11 Depth=1
	v_bfrev_b32_e32 v137, 1
	s_mov_b32 s18, exec_lo
	v_cmpx_ne_u16_e32 0x80, v8
	s_cbranch_execz .LBB369_730
; %bb.725:                              ;   in Loop: Header=BB369_11 Depth=1
	v_and_b32_e32 v74, 0xffff, v8
	v_mov_b32_e32 v137, 0x7fc02000
	s_mov_b32 s19, exec_lo
	s_delay_alu instid0(VALU_DEP_2) | instskip(NEXT) | instid1(VALU_DEP_1)
	v_and_b32_e32 v32, 0x7f, v74
	v_cmpx_ne_u32_e32 0x7f, v32
	s_cbranch_execz .LBB369_729
; %bb.726:                              ;   in Loop: Header=BB369_11 Depth=1
	v_and_b32_e32 v8, 7, v74
	v_lshrrev_b32_e32 v75, 3, v32
	v_cmp_gt_u32_e64 s1, 8, v32
	s_delay_alu instid0(VALU_DEP_3) | instskip(NEXT) | instid1(VALU_DEP_2)
	v_dual_mov_b32 v33, v9 :: v_dual_mov_b32 v32, v8
	s_and_saveexec_b32 s20, s1
; %bb.727:                              ;   in Loop: Header=BB369_11 Depth=1
	v_clz_i32_u32_e32 v32, v8
	s_delay_alu instid0(VALU_DEP_1) | instskip(NEXT) | instid1(VALU_DEP_1)
	v_min_u32_e32 v75, 32, v32
	v_subrev_nc_u32_e32 v32, 28, v75
	v_sub_nc_u32_e32 v75, 29, v75
	s_delay_alu instid0(VALU_DEP_2) | instskip(NEXT) | instid1(VALU_DEP_1)
	v_lshlrev_b64 v[32:33], v32, v[8:9]
	v_and_b32_e32 v32, 7, v32
; %bb.728:                              ;   in Loop: Header=BB369_11 Depth=1
	s_or_b32 exec_lo, exec_lo, s20
	v_lshlrev_b32_e32 v8, 8, v74
	v_lshl_add_u32 v33, v75, 10, 0x2000
	s_delay_alu instid0(VALU_DEP_1) | instskip(NEXT) | instid1(VALU_DEP_1)
	v_and_or_b32 v8, 0x8000, v8, v33
	v_lshl_or_b32 v8, v32, 7, v8
	s_delay_alu instid0(VALU_DEP_1)
	v_cvt_f32_f16_e64 v137, v8
.LBB369_729:                            ;   in Loop: Header=BB369_11 Depth=1
	s_or_b32 exec_lo, exec_lo, s19
.LBB369_730:                            ;   in Loop: Header=BB369_11 Depth=1
	s_delay_alu instid0(SALU_CYCLE_1)
	s_or_b32 exec_lo, exec_lo, s18
.LBB369_731:                            ;   in Loop: Header=BB369_11 Depth=1
	s_delay_alu instid0(SALU_CYCLE_1) | instskip(SKIP_2) | instid1(VALU_DEP_1)
	s_or_b32 exec_lo, exec_lo, s17
	v_lshrrev_b32_e32 v74, 16, v30
	s_mov_b32 s17, exec_lo
	v_and_b32_e32 v8, 0xff, v74
	s_delay_alu instid0(VALU_DEP_1)
	v_cmpx_ne_u16_e32 0, v8
	s_cbranch_execz .LBB369_739
; %bb.732:                              ;   in Loop: Header=BB369_11 Depth=1
	v_bfrev_b32_e32 v136, 1
	s_mov_b32 s18, exec_lo
	v_cmpx_ne_u16_e32 0x80, v8
	s_cbranch_execz .LBB369_738
; %bb.733:                              ;   in Loop: Header=BB369_11 Depth=1
	v_bfe_u32 v32, v30, 16, 7
	v_mov_b32_e32 v136, 0x7fc02000
	s_mov_b32 s19, exec_lo
	s_delay_alu instid0(VALU_DEP_2)
	v_cmpx_ne_u32_e32 0x7f, v32
	s_cbranch_execz .LBB369_737
; %bb.734:                              ;   in Loop: Header=BB369_11 Depth=1
	v_and_b32_e32 v8, 7, v74
	v_lshrrev_b32_e32 v75, 3, v32
	v_cmp_gt_u32_e64 s1, 8, v32
	s_delay_alu instid0(VALU_DEP_3) | instskip(NEXT) | instid1(VALU_DEP_2)
	v_dual_mov_b32 v33, v9 :: v_dual_mov_b32 v32, v8
	s_and_saveexec_b32 s20, s1
; %bb.735:                              ;   in Loop: Header=BB369_11 Depth=1
	v_clz_i32_u32_e32 v32, v8
	s_delay_alu instid0(VALU_DEP_1) | instskip(NEXT) | instid1(VALU_DEP_1)
	v_min_u32_e32 v75, 32, v32
	v_subrev_nc_u32_e32 v32, 28, v75
	v_sub_nc_u32_e32 v75, 29, v75
	s_delay_alu instid0(VALU_DEP_2) | instskip(NEXT) | instid1(VALU_DEP_1)
	v_lshlrev_b64 v[32:33], v32, v[8:9]
	v_and_b32_e32 v32, 7, v32
; %bb.736:                              ;   in Loop: Header=BB369_11 Depth=1
	s_or_b32 exec_lo, exec_lo, s20
	v_lshlrev_b32_e32 v8, 8, v74
	v_lshl_add_u32 v33, v75, 10, 0x2000
	s_delay_alu instid0(VALU_DEP_1) | instskip(NEXT) | instid1(VALU_DEP_1)
	v_and_or_b32 v8, 0x8000, v8, v33
	v_lshl_or_b32 v8, v32, 7, v8
	s_delay_alu instid0(VALU_DEP_1)
	v_cvt_f32_f16_e64 v136, v8
.LBB369_737:                            ;   in Loop: Header=BB369_11 Depth=1
	s_or_b32 exec_lo, exec_lo, s19
.LBB369_738:                            ;   in Loop: Header=BB369_11 Depth=1
	s_delay_alu instid0(SALU_CYCLE_1)
	s_or_b32 exec_lo, exec_lo, s18
.LBB369_739:                            ;   in Loop: Header=BB369_11 Depth=1
	s_delay_alu instid0(SALU_CYCLE_1)
	s_or_b32 exec_lo, exec_lo, s17
	v_dual_mov_b32 v138, 0 :: v_dual_mov_b32 v139, 0
	s_mov_b32 s17, exec_lo
	v_cmpx_lt_u32_e32 0xffffff, v30
	s_cbranch_execz .LBB369_747
; %bb.740:                              ;   in Loop: Header=BB369_11 Depth=1
	v_lshrrev_b32_e32 v74, 24, v30
	v_bfrev_b32_e32 v139, 1
	s_mov_b32 s18, exec_lo
	s_delay_alu instid0(VALU_DEP_2)
	v_cmpx_ne_u32_e32 0x80, v74
	s_cbranch_execz .LBB369_746
; %bb.741:                              ;   in Loop: Header=BB369_11 Depth=1
	v_and_b32_e32 v32, 0x7f, v74
	v_mov_b32_e32 v139, 0x7fc02000
	s_mov_b32 s19, exec_lo
	s_delay_alu instid0(VALU_DEP_2)
	v_cmpx_ne_u32_e32 0x7f, v32
	s_cbranch_execz .LBB369_745
; %bb.742:                              ;   in Loop: Header=BB369_11 Depth=1
	v_and_b32_e32 v8, 7, v74
	v_lshrrev_b32_e32 v75, 3, v32
	v_cmp_gt_u32_e64 s1, 8, v32
	s_delay_alu instid0(VALU_DEP_3) | instskip(NEXT) | instid1(VALU_DEP_2)
	v_dual_mov_b32 v33, v9 :: v_dual_mov_b32 v32, v8
	s_and_saveexec_b32 s20, s1
; %bb.743:                              ;   in Loop: Header=BB369_11 Depth=1
	v_clz_i32_u32_e32 v32, v8
	s_delay_alu instid0(VALU_DEP_1) | instskip(NEXT) | instid1(VALU_DEP_1)
	v_min_u32_e32 v75, 32, v32
	v_subrev_nc_u32_e32 v32, 28, v75
	v_sub_nc_u32_e32 v75, 29, v75
	s_delay_alu instid0(VALU_DEP_2) | instskip(NEXT) | instid1(VALU_DEP_1)
	v_lshlrev_b64 v[32:33], v32, v[8:9]
	v_and_b32_e32 v32, 7, v32
; %bb.744:                              ;   in Loop: Header=BB369_11 Depth=1
	s_or_b32 exec_lo, exec_lo, s20
	v_lshlrev_b32_e32 v8, 8, v74
	v_lshl_add_u32 v33, v75, 10, 0x2000
	s_delay_alu instid0(VALU_DEP_1) | instskip(NEXT) | instid1(VALU_DEP_1)
	v_and_or_b32 v8, 0x8000, v8, v33
	v_lshl_or_b32 v8, v32, 7, v8
	s_delay_alu instid0(VALU_DEP_1)
	v_cvt_f32_f16_e64 v139, v8
.LBB369_745:                            ;   in Loop: Header=BB369_11 Depth=1
	s_or_b32 exec_lo, exec_lo, s19
.LBB369_746:                            ;   in Loop: Header=BB369_11 Depth=1
	s_delay_alu instid0(SALU_CYCLE_1)
	s_or_b32 exec_lo, exec_lo, s18
.LBB369_747:                            ;   in Loop: Header=BB369_11 Depth=1
	s_delay_alu instid0(SALU_CYCLE_1) | instskip(SKIP_3) | instid1(VALU_DEP_2)
	s_or_b32 exec_lo, exec_lo, s17
	v_and_b32_e32 v32, 0xff, v31
	v_mov_b32_e32 v8, v31
	s_mov_b32 s17, exec_lo
	v_cmpx_ne_u16_e32 0, v32
	s_cbranch_execz .LBB369_755
; %bb.748:                              ;   in Loop: Header=BB369_11 Depth=1
	v_bfrev_b32_e32 v138, 1
	s_mov_b32 s18, exec_lo
	v_cmpx_ne_u16_e32 0x80, v32
	s_cbranch_execz .LBB369_754
; %bb.749:                              ;   in Loop: Header=BB369_11 Depth=1
	v_and_b32_e32 v32, 0x7f, v31
	v_mov_b32_e32 v138, 0x7fc02000
	s_mov_b32 s19, exec_lo
	s_delay_alu instid0(VALU_DEP_2)
	v_cmpx_ne_u32_e32 0x7f, v32
	s_cbranch_execz .LBB369_753
; %bb.750:                              ;   in Loop: Header=BB369_11 Depth=1
	v_lshrrev_b32_e32 v74, 3, v32
	v_cmp_gt_u32_e64 s1, 8, v32
	v_dual_mov_b32 v33, v9 :: v_dual_mov_b32 v32, v8
	s_delay_alu instid0(VALU_DEP_2)
	s_and_saveexec_b32 s20, s1
; %bb.751:                              ;   in Loop: Header=BB369_11 Depth=1
	v_and_b32_e32 v32, 7, v31
	s_delay_alu instid0(VALU_DEP_1) | instskip(NEXT) | instid1(VALU_DEP_1)
	v_clz_i32_u32_e32 v32, v32
	v_min_u32_e32 v74, 32, v32
	s_delay_alu instid0(VALU_DEP_1) | instskip(SKIP_1) | instid1(VALU_DEP_2)
	v_subrev_nc_u32_e32 v32, 28, v74
	v_sub_nc_u32_e32 v74, 29, v74
	v_lshlrev_b64 v[32:33], v32, v[8:9]
; %bb.752:                              ;   in Loop: Header=BB369_11 Depth=1
	s_or_b32 exec_lo, exec_lo, s20
	v_lshlrev_b32_e32 v33, 8, v31
	s_delay_alu instid0(VALU_DEP_3) | instskip(NEXT) | instid1(VALU_DEP_3)
	v_lshl_add_u32 v74, v74, 10, 0x2000
	v_lshlrev_b32_e32 v32, 7, v32
	s_delay_alu instid0(VALU_DEP_2) | instskip(NEXT) | instid1(VALU_DEP_1)
	v_and_or_b32 v33, 0x8000, v33, v74
	v_and_or_b32 v32, 0x380, v32, v33
	s_delay_alu instid0(VALU_DEP_1)
	v_cvt_f32_f16_e64 v138, v32
.LBB369_753:                            ;   in Loop: Header=BB369_11 Depth=1
	s_or_b32 exec_lo, exec_lo, s19
.LBB369_754:                            ;   in Loop: Header=BB369_11 Depth=1
	s_delay_alu instid0(SALU_CYCLE_1)
	s_or_b32 exec_lo, exec_lo, s18
.LBB369_755:                            ;   in Loop: Header=BB369_11 Depth=1
	s_delay_alu instid0(SALU_CYCLE_1) | instskip(SKIP_3) | instid1(VALU_DEP_2)
	s_or_b32 exec_lo, exec_lo, s17
	v_lshrrev_b16 v8, 8, v8
	v_dual_mov_b32 v143, 0 :: v_dual_mov_b32 v152, 0
	s_mov_b32 s17, exec_lo
	v_cmpx_ne_u16_e32 0, v8
	s_cbranch_execz .LBB369_763
; %bb.756:                              ;   in Loop: Header=BB369_11 Depth=1
	v_bfrev_b32_e32 v152, 1
	s_mov_b32 s18, exec_lo
	v_cmpx_ne_u16_e32 0x80, v8
	s_cbranch_execz .LBB369_762
; %bb.757:                              ;   in Loop: Header=BB369_11 Depth=1
	v_and_b32_e32 v74, 0xffff, v8
	v_mov_b32_e32 v152, 0x7fc02000
	s_mov_b32 s19, exec_lo
	s_delay_alu instid0(VALU_DEP_2) | instskip(NEXT) | instid1(VALU_DEP_1)
	v_and_b32_e32 v32, 0x7f, v74
	v_cmpx_ne_u32_e32 0x7f, v32
	s_cbranch_execz .LBB369_761
; %bb.758:                              ;   in Loop: Header=BB369_11 Depth=1
	v_and_b32_e32 v8, 7, v74
	v_lshrrev_b32_e32 v75, 3, v32
	v_cmp_gt_u32_e64 s1, 8, v32
	s_delay_alu instid0(VALU_DEP_3) | instskip(NEXT) | instid1(VALU_DEP_2)
	v_dual_mov_b32 v33, v9 :: v_dual_mov_b32 v32, v8
	s_and_saveexec_b32 s20, s1
; %bb.759:                              ;   in Loop: Header=BB369_11 Depth=1
	v_clz_i32_u32_e32 v32, v8
	s_delay_alu instid0(VALU_DEP_1) | instskip(NEXT) | instid1(VALU_DEP_1)
	v_min_u32_e32 v75, 32, v32
	v_subrev_nc_u32_e32 v32, 28, v75
	v_sub_nc_u32_e32 v75, 29, v75
	s_delay_alu instid0(VALU_DEP_2) | instskip(NEXT) | instid1(VALU_DEP_1)
	v_lshlrev_b64 v[32:33], v32, v[8:9]
	v_and_b32_e32 v32, 7, v32
; %bb.760:                              ;   in Loop: Header=BB369_11 Depth=1
	s_or_b32 exec_lo, exec_lo, s20
	v_lshlrev_b32_e32 v8, 8, v74
	v_lshl_add_u32 v33, v75, 10, 0x2000
	s_delay_alu instid0(VALU_DEP_1) | instskip(NEXT) | instid1(VALU_DEP_1)
	v_and_or_b32 v8, 0x8000, v8, v33
	v_lshl_or_b32 v8, v32, 7, v8
	s_delay_alu instid0(VALU_DEP_1)
	v_cvt_f32_f16_e64 v152, v8
.LBB369_761:                            ;   in Loop: Header=BB369_11 Depth=1
	s_or_b32 exec_lo, exec_lo, s19
.LBB369_762:                            ;   in Loop: Header=BB369_11 Depth=1
	s_delay_alu instid0(SALU_CYCLE_1)
	s_or_b32 exec_lo, exec_lo, s18
.LBB369_763:                            ;   in Loop: Header=BB369_11 Depth=1
	s_delay_alu instid0(SALU_CYCLE_1) | instskip(SKIP_2) | instid1(VALU_DEP_1)
	s_or_b32 exec_lo, exec_lo, s17
	v_lshrrev_b32_e32 v74, 16, v31
	s_mov_b32 s17, exec_lo
	v_and_b32_e32 v8, 0xff, v74
	s_delay_alu instid0(VALU_DEP_1)
	v_cmpx_ne_u16_e32 0, v8
	s_cbranch_execz .LBB369_771
; %bb.764:                              ;   in Loop: Header=BB369_11 Depth=1
	v_bfrev_b32_e32 v143, 1
	s_mov_b32 s18, exec_lo
	v_cmpx_ne_u16_e32 0x80, v8
	s_cbranch_execz .LBB369_770
; %bb.765:                              ;   in Loop: Header=BB369_11 Depth=1
	v_bfe_u32 v32, v31, 16, 7
	v_mov_b32_e32 v143, 0x7fc02000
	s_mov_b32 s19, exec_lo
	s_delay_alu instid0(VALU_DEP_2)
	v_cmpx_ne_u32_e32 0x7f, v32
	s_cbranch_execz .LBB369_769
; %bb.766:                              ;   in Loop: Header=BB369_11 Depth=1
	v_and_b32_e32 v8, 7, v74
	v_lshrrev_b32_e32 v75, 3, v32
	v_cmp_gt_u32_e64 s1, 8, v32
	s_delay_alu instid0(VALU_DEP_3) | instskip(NEXT) | instid1(VALU_DEP_2)
	v_dual_mov_b32 v33, v9 :: v_dual_mov_b32 v32, v8
	s_and_saveexec_b32 s20, s1
; %bb.767:                              ;   in Loop: Header=BB369_11 Depth=1
	v_clz_i32_u32_e32 v32, v8
	s_delay_alu instid0(VALU_DEP_1) | instskip(NEXT) | instid1(VALU_DEP_1)
	v_min_u32_e32 v75, 32, v32
	v_subrev_nc_u32_e32 v32, 28, v75
	v_sub_nc_u32_e32 v75, 29, v75
	s_delay_alu instid0(VALU_DEP_2) | instskip(NEXT) | instid1(VALU_DEP_1)
	v_lshlrev_b64 v[32:33], v32, v[8:9]
	v_and_b32_e32 v32, 7, v32
; %bb.768:                              ;   in Loop: Header=BB369_11 Depth=1
	s_or_b32 exec_lo, exec_lo, s20
	v_lshlrev_b32_e32 v8, 8, v74
	v_lshl_add_u32 v33, v75, 10, 0x2000
	s_delay_alu instid0(VALU_DEP_1) | instskip(NEXT) | instid1(VALU_DEP_1)
	v_and_or_b32 v8, 0x8000, v8, v33
	v_lshl_or_b32 v8, v32, 7, v8
	s_delay_alu instid0(VALU_DEP_1)
	v_cvt_f32_f16_e64 v143, v8
.LBB369_769:                            ;   in Loop: Header=BB369_11 Depth=1
	s_or_b32 exec_lo, exec_lo, s19
.LBB369_770:                            ;   in Loop: Header=BB369_11 Depth=1
	s_delay_alu instid0(SALU_CYCLE_1)
	s_or_b32 exec_lo, exec_lo, s18
.LBB369_771:                            ;   in Loop: Header=BB369_11 Depth=1
	s_delay_alu instid0(SALU_CYCLE_1)
	s_or_b32 exec_lo, exec_lo, s17
	v_dual_mov_b32 v110, 0 :: v_dual_mov_b32 v153, 0
	s_mov_b32 s17, exec_lo
	v_cmpx_lt_u64_e64 s[2:3], v[30:31]
	s_cbranch_execz .LBB369_779
; %bb.772:                              ;   in Loop: Header=BB369_11 Depth=1
	v_lshrrev_b32_e32 v32, 24, v31
	v_bfrev_b32_e32 v153, 1
	s_mov_b32 s18, exec_lo
	s_delay_alu instid0(VALU_DEP_2)
	v_cmpx_ne_u32_e32 0x80, v32
	s_cbranch_execz .LBB369_778
; %bb.773:                              ;   in Loop: Header=BB369_11 Depth=1
	v_and_b32_e32 v30, 0x7f, v32
	v_mov_b32_e32 v153, 0x7fc02000
	s_mov_b32 s19, exec_lo
	s_delay_alu instid0(VALU_DEP_2)
	v_cmpx_ne_u32_e32 0x7f, v30
	s_cbranch_execz .LBB369_777
; %bb.774:                              ;   in Loop: Header=BB369_11 Depth=1
	v_and_b32_e32 v8, 7, v32
	v_lshrrev_b32_e32 v33, 3, v30
	v_cmp_gt_u32_e64 s1, 8, v30
	s_delay_alu instid0(VALU_DEP_3) | instskip(NEXT) | instid1(VALU_DEP_2)
	v_dual_mov_b32 v31, v9 :: v_dual_mov_b32 v30, v8
	s_and_saveexec_b32 s20, s1
; %bb.775:                              ;   in Loop: Header=BB369_11 Depth=1
	v_clz_i32_u32_e32 v30, v8
	s_delay_alu instid0(VALU_DEP_1) | instskip(NEXT) | instid1(VALU_DEP_1)
	v_min_u32_e32 v33, 32, v30
	v_subrev_nc_u32_e32 v30, 28, v33
	v_sub_nc_u32_e32 v33, 29, v33
	s_delay_alu instid0(VALU_DEP_2) | instskip(NEXT) | instid1(VALU_DEP_1)
	v_lshlrev_b64 v[30:31], v30, v[8:9]
	v_and_b32_e32 v30, 7, v30
; %bb.776:                              ;   in Loop: Header=BB369_11 Depth=1
	s_or_b32 exec_lo, exec_lo, s20
	v_lshlrev_b32_e32 v8, 8, v32
	v_lshl_add_u32 v31, v33, 10, 0x2000
	s_delay_alu instid0(VALU_DEP_1) | instskip(NEXT) | instid1(VALU_DEP_1)
	v_and_or_b32 v8, 0x8000, v8, v31
	v_lshl_or_b32 v8, v30, 7, v8
	s_delay_alu instid0(VALU_DEP_1)
	v_cvt_f32_f16_e64 v153, v8
.LBB369_777:                            ;   in Loop: Header=BB369_11 Depth=1
	s_or_b32 exec_lo, exec_lo, s19
.LBB369_778:                            ;   in Loop: Header=BB369_11 Depth=1
	s_delay_alu instid0(SALU_CYCLE_1)
	s_or_b32 exec_lo, exec_lo, s18
.LBB369_779:                            ;   in Loop: Header=BB369_11 Depth=1
	s_delay_alu instid0(SALU_CYCLE_1) | instskip(SKIP_4) | instid1(VALU_DEP_1)
	s_or_b32 exec_lo, exec_lo, s17
	flat_load_b64 v[30:31], v[28:29] offset:3072
	s_mov_b32 s17, exec_lo
	s_waitcnt vmcnt(0) lgkmcnt(0)
	v_and_b32_e32 v8, 0xff, v30
	v_cmpx_ne_u16_e32 0, v8
	s_cbranch_execz .LBB369_787
; %bb.780:                              ;   in Loop: Header=BB369_11 Depth=1
	v_bfrev_b32_e32 v110, 1
	s_mov_b32 s18, exec_lo
	v_cmpx_ne_u16_e32 0x80, v8
	s_cbranch_execz .LBB369_786
; %bb.781:                              ;   in Loop: Header=BB369_11 Depth=1
	v_and_b32_e32 v32, 0x7f, v30
	v_mov_b32_e32 v110, 0x7fc02000
	s_mov_b32 s19, exec_lo
	s_delay_alu instid0(VALU_DEP_2)
	v_cmpx_ne_u32_e32 0x7f, v32
	s_cbranch_execz .LBB369_785
; %bb.782:                              ;   in Loop: Header=BB369_11 Depth=1
	v_lshrrev_b32_e32 v8, 3, v32
	v_cmp_gt_u32_e64 s1, 8, v32
	v_dual_mov_b32 v33, v31 :: v_dual_mov_b32 v32, v30
	s_delay_alu instid0(VALU_DEP_2)
	s_and_saveexec_b32 s20, s1
; %bb.783:                              ;   in Loop: Header=BB369_11 Depth=1
	v_and_b32_e32 v8, 7, v30
	s_delay_alu instid0(VALU_DEP_1) | instskip(NEXT) | instid1(VALU_DEP_1)
	v_clz_i32_u32_e32 v8, v8
	v_min_u32_e32 v8, 32, v8
	s_delay_alu instid0(VALU_DEP_1) | instskip(SKIP_1) | instid1(VALU_DEP_2)
	v_subrev_nc_u32_e32 v32, 28, v8
	v_sub_nc_u32_e32 v8, 29, v8
	v_lshlrev_b64 v[32:33], v32, v[30:31]
; %bb.784:                              ;   in Loop: Header=BB369_11 Depth=1
	s_or_b32 exec_lo, exec_lo, s20
	v_lshlrev_b32_e32 v33, 8, v30
	s_delay_alu instid0(VALU_DEP_3) | instskip(NEXT) | instid1(VALU_DEP_3)
	v_lshl_add_u32 v8, v8, 10, 0x2000
	v_lshlrev_b32_e32 v32, 7, v32
	s_delay_alu instid0(VALU_DEP_2) | instskip(NEXT) | instid1(VALU_DEP_1)
	v_and_or_b32 v8, 0x8000, v33, v8
	v_and_or_b32 v8, 0x380, v32, v8
	s_delay_alu instid0(VALU_DEP_1)
	v_cvt_f32_f16_e32 v110, v8
.LBB369_785:                            ;   in Loop: Header=BB369_11 Depth=1
	s_or_b32 exec_lo, exec_lo, s19
.LBB369_786:                            ;   in Loop: Header=BB369_11 Depth=1
	s_delay_alu instid0(SALU_CYCLE_1)
	s_or_b32 exec_lo, exec_lo, s18
.LBB369_787:                            ;   in Loop: Header=BB369_11 Depth=1
	s_delay_alu instid0(SALU_CYCLE_1) | instskip(SKIP_3) | instid1(VALU_DEP_2)
	s_or_b32 exec_lo, exec_lo, s17
	v_lshrrev_b16 v8, 8, v30
	v_dual_mov_b32 v111, 0 :: v_dual_mov_b32 v120, 0
	s_mov_b32 s17, exec_lo
	v_cmpx_ne_u16_e32 0, v8
	s_cbranch_execz .LBB369_795
; %bb.788:                              ;   in Loop: Header=BB369_11 Depth=1
	v_bfrev_b32_e32 v120, 1
	s_mov_b32 s18, exec_lo
	v_cmpx_ne_u16_e32 0x80, v8
	s_cbranch_execz .LBB369_794
; %bb.789:                              ;   in Loop: Header=BB369_11 Depth=1
	v_and_b32_e32 v74, 0xffff, v8
	v_mov_b32_e32 v120, 0x7fc02000
	s_mov_b32 s19, exec_lo
	s_delay_alu instid0(VALU_DEP_2) | instskip(NEXT) | instid1(VALU_DEP_1)
	v_and_b32_e32 v32, 0x7f, v74
	v_cmpx_ne_u32_e32 0x7f, v32
	s_cbranch_execz .LBB369_793
; %bb.790:                              ;   in Loop: Header=BB369_11 Depth=1
	v_and_b32_e32 v8, 7, v74
	v_lshrrev_b32_e32 v75, 3, v32
	v_cmp_gt_u32_e64 s1, 8, v32
	s_delay_alu instid0(VALU_DEP_3) | instskip(NEXT) | instid1(VALU_DEP_2)
	v_dual_mov_b32 v33, v9 :: v_dual_mov_b32 v32, v8
	s_and_saveexec_b32 s20, s1
; %bb.791:                              ;   in Loop: Header=BB369_11 Depth=1
	v_clz_i32_u32_e32 v32, v8
	s_delay_alu instid0(VALU_DEP_1) | instskip(NEXT) | instid1(VALU_DEP_1)
	v_min_u32_e32 v75, 32, v32
	v_subrev_nc_u32_e32 v32, 28, v75
	v_sub_nc_u32_e32 v75, 29, v75
	s_delay_alu instid0(VALU_DEP_2) | instskip(NEXT) | instid1(VALU_DEP_1)
	v_lshlrev_b64 v[32:33], v32, v[8:9]
	v_and_b32_e32 v32, 7, v32
; %bb.792:                              ;   in Loop: Header=BB369_11 Depth=1
	s_or_b32 exec_lo, exec_lo, s20
	v_lshlrev_b32_e32 v8, 8, v74
	v_lshl_add_u32 v33, v75, 10, 0x2000
	s_delay_alu instid0(VALU_DEP_1) | instskip(NEXT) | instid1(VALU_DEP_1)
	v_and_or_b32 v8, 0x8000, v8, v33
	v_lshl_or_b32 v8, v32, 7, v8
	s_delay_alu instid0(VALU_DEP_1)
	v_cvt_f32_f16_e32 v120, v8
.LBB369_793:                            ;   in Loop: Header=BB369_11 Depth=1
	s_or_b32 exec_lo, exec_lo, s19
.LBB369_794:                            ;   in Loop: Header=BB369_11 Depth=1
	s_delay_alu instid0(SALU_CYCLE_1)
	s_or_b32 exec_lo, exec_lo, s18
.LBB369_795:                            ;   in Loop: Header=BB369_11 Depth=1
	s_delay_alu instid0(SALU_CYCLE_1) | instskip(SKIP_2) | instid1(VALU_DEP_1)
	s_or_b32 exec_lo, exec_lo, s17
	v_lshrrev_b32_e32 v74, 16, v30
	s_mov_b32 s17, exec_lo
	v_and_b32_e32 v8, 0xff, v74
	s_delay_alu instid0(VALU_DEP_1)
	v_cmpx_ne_u16_e32 0, v8
	s_cbranch_execz .LBB369_803
; %bb.796:                              ;   in Loop: Header=BB369_11 Depth=1
	v_bfrev_b32_e32 v111, 1
	s_mov_b32 s18, exec_lo
	v_cmpx_ne_u16_e32 0x80, v8
	s_cbranch_execz .LBB369_802
; %bb.797:                              ;   in Loop: Header=BB369_11 Depth=1
	v_bfe_u32 v32, v30, 16, 7
	v_mov_b32_e32 v111, 0x7fc02000
	s_mov_b32 s19, exec_lo
	s_delay_alu instid0(VALU_DEP_2)
	v_cmpx_ne_u32_e32 0x7f, v32
	s_cbranch_execz .LBB369_801
; %bb.798:                              ;   in Loop: Header=BB369_11 Depth=1
	v_and_b32_e32 v8, 7, v74
	v_lshrrev_b32_e32 v75, 3, v32
	v_cmp_gt_u32_e64 s1, 8, v32
	s_delay_alu instid0(VALU_DEP_3) | instskip(NEXT) | instid1(VALU_DEP_2)
	v_dual_mov_b32 v33, v9 :: v_dual_mov_b32 v32, v8
	s_and_saveexec_b32 s20, s1
; %bb.799:                              ;   in Loop: Header=BB369_11 Depth=1
	v_clz_i32_u32_e32 v32, v8
	s_delay_alu instid0(VALU_DEP_1) | instskip(NEXT) | instid1(VALU_DEP_1)
	v_min_u32_e32 v75, 32, v32
	v_subrev_nc_u32_e32 v32, 28, v75
	v_sub_nc_u32_e32 v75, 29, v75
	s_delay_alu instid0(VALU_DEP_2) | instskip(NEXT) | instid1(VALU_DEP_1)
	v_lshlrev_b64 v[32:33], v32, v[8:9]
	v_and_b32_e32 v32, 7, v32
; %bb.800:                              ;   in Loop: Header=BB369_11 Depth=1
	s_or_b32 exec_lo, exec_lo, s20
	v_lshlrev_b32_e32 v8, 8, v74
	v_lshl_add_u32 v33, v75, 10, 0x2000
	s_delay_alu instid0(VALU_DEP_1) | instskip(NEXT) | instid1(VALU_DEP_1)
	v_and_or_b32 v8, 0x8000, v8, v33
	v_lshl_or_b32 v8, v32, 7, v8
	s_delay_alu instid0(VALU_DEP_1)
	v_cvt_f32_f16_e32 v111, v8
.LBB369_801:                            ;   in Loop: Header=BB369_11 Depth=1
	s_or_b32 exec_lo, exec_lo, s19
.LBB369_802:                            ;   in Loop: Header=BB369_11 Depth=1
	s_delay_alu instid0(SALU_CYCLE_1)
	s_or_b32 exec_lo, exec_lo, s18
.LBB369_803:                            ;   in Loop: Header=BB369_11 Depth=1
	s_delay_alu instid0(SALU_CYCLE_1)
	s_or_b32 exec_lo, exec_lo, s17
	v_dual_mov_b32 v121, 0 :: v_dual_mov_b32 v122, 0
	s_mov_b32 s17, exec_lo
	v_cmpx_lt_u32_e32 0xffffff, v30
	s_cbranch_execz .LBB369_811
; %bb.804:                              ;   in Loop: Header=BB369_11 Depth=1
	v_lshrrev_b32_e32 v74, 24, v30
	v_bfrev_b32_e32 v122, 1
	s_mov_b32 s18, exec_lo
	s_delay_alu instid0(VALU_DEP_2)
	v_cmpx_ne_u32_e32 0x80, v74
	s_cbranch_execz .LBB369_810
; %bb.805:                              ;   in Loop: Header=BB369_11 Depth=1
	v_and_b32_e32 v32, 0x7f, v74
	v_mov_b32_e32 v122, 0x7fc02000
	s_mov_b32 s19, exec_lo
	s_delay_alu instid0(VALU_DEP_2)
	v_cmpx_ne_u32_e32 0x7f, v32
	s_cbranch_execz .LBB369_809
; %bb.806:                              ;   in Loop: Header=BB369_11 Depth=1
	v_and_b32_e32 v8, 7, v74
	v_lshrrev_b32_e32 v75, 3, v32
	v_cmp_gt_u32_e64 s1, 8, v32
	s_delay_alu instid0(VALU_DEP_3) | instskip(NEXT) | instid1(VALU_DEP_2)
	v_dual_mov_b32 v33, v9 :: v_dual_mov_b32 v32, v8
	s_and_saveexec_b32 s20, s1
; %bb.807:                              ;   in Loop: Header=BB369_11 Depth=1
	v_clz_i32_u32_e32 v32, v8
	s_delay_alu instid0(VALU_DEP_1) | instskip(NEXT) | instid1(VALU_DEP_1)
	v_min_u32_e32 v75, 32, v32
	v_subrev_nc_u32_e32 v32, 28, v75
	v_sub_nc_u32_e32 v75, 29, v75
	s_delay_alu instid0(VALU_DEP_2) | instskip(NEXT) | instid1(VALU_DEP_1)
	v_lshlrev_b64 v[32:33], v32, v[8:9]
	v_and_b32_e32 v32, 7, v32
; %bb.808:                              ;   in Loop: Header=BB369_11 Depth=1
	s_or_b32 exec_lo, exec_lo, s20
	v_lshlrev_b32_e32 v8, 8, v74
	v_lshl_add_u32 v33, v75, 10, 0x2000
	s_delay_alu instid0(VALU_DEP_1) | instskip(NEXT) | instid1(VALU_DEP_1)
	v_and_or_b32 v8, 0x8000, v8, v33
	v_lshl_or_b32 v8, v32, 7, v8
	s_delay_alu instid0(VALU_DEP_1)
	v_cvt_f32_f16_e32 v122, v8
.LBB369_809:                            ;   in Loop: Header=BB369_11 Depth=1
	s_or_b32 exec_lo, exec_lo, s19
.LBB369_810:                            ;   in Loop: Header=BB369_11 Depth=1
	s_delay_alu instid0(SALU_CYCLE_1)
	s_or_b32 exec_lo, exec_lo, s18
.LBB369_811:                            ;   in Loop: Header=BB369_11 Depth=1
	s_delay_alu instid0(SALU_CYCLE_1) | instskip(SKIP_3) | instid1(VALU_DEP_2)
	s_or_b32 exec_lo, exec_lo, s17
	v_and_b32_e32 v32, 0xff, v31
	v_mov_b32_e32 v8, v31
	s_mov_b32 s17, exec_lo
	v_cmpx_ne_u16_e32 0, v32
	s_cbranch_execz .LBB369_819
; %bb.812:                              ;   in Loop: Header=BB369_11 Depth=1
	v_bfrev_b32_e32 v121, 1
	s_mov_b32 s18, exec_lo
	v_cmpx_ne_u16_e32 0x80, v32
	s_cbranch_execz .LBB369_818
; %bb.813:                              ;   in Loop: Header=BB369_11 Depth=1
	v_and_b32_e32 v32, 0x7f, v31
	v_mov_b32_e32 v121, 0x7fc02000
	s_mov_b32 s19, exec_lo
	s_delay_alu instid0(VALU_DEP_2)
	v_cmpx_ne_u32_e32 0x7f, v32
	s_cbranch_execz .LBB369_817
; %bb.814:                              ;   in Loop: Header=BB369_11 Depth=1
	v_lshrrev_b32_e32 v74, 3, v32
	v_cmp_gt_u32_e64 s1, 8, v32
	v_dual_mov_b32 v33, v9 :: v_dual_mov_b32 v32, v8
	s_delay_alu instid0(VALU_DEP_2)
	s_and_saveexec_b32 s20, s1
; %bb.815:                              ;   in Loop: Header=BB369_11 Depth=1
	v_and_b32_e32 v32, 7, v31
	s_delay_alu instid0(VALU_DEP_1) | instskip(NEXT) | instid1(VALU_DEP_1)
	v_clz_i32_u32_e32 v32, v32
	v_min_u32_e32 v74, 32, v32
	s_delay_alu instid0(VALU_DEP_1) | instskip(SKIP_1) | instid1(VALU_DEP_2)
	v_subrev_nc_u32_e32 v32, 28, v74
	v_sub_nc_u32_e32 v74, 29, v74
	v_lshlrev_b64 v[32:33], v32, v[8:9]
; %bb.816:                              ;   in Loop: Header=BB369_11 Depth=1
	s_or_b32 exec_lo, exec_lo, s20
	v_lshlrev_b32_e32 v33, 8, v31
	s_delay_alu instid0(VALU_DEP_3) | instskip(NEXT) | instid1(VALU_DEP_3)
	v_lshl_add_u32 v74, v74, 10, 0x2000
	v_lshlrev_b32_e32 v32, 7, v32
	s_delay_alu instid0(VALU_DEP_2) | instskip(NEXT) | instid1(VALU_DEP_1)
	v_and_or_b32 v33, 0x8000, v33, v74
	v_and_or_b32 v32, 0x380, v32, v33
	s_delay_alu instid0(VALU_DEP_1)
	v_cvt_f32_f16_e32 v121, v32
.LBB369_817:                            ;   in Loop: Header=BB369_11 Depth=1
	s_or_b32 exec_lo, exec_lo, s19
.LBB369_818:                            ;   in Loop: Header=BB369_11 Depth=1
	s_delay_alu instid0(SALU_CYCLE_1)
	s_or_b32 exec_lo, exec_lo, s18
.LBB369_819:                            ;   in Loop: Header=BB369_11 Depth=1
	s_delay_alu instid0(SALU_CYCLE_1) | instskip(SKIP_3) | instid1(VALU_DEP_2)
	s_or_b32 exec_lo, exec_lo, s17
	v_lshrrev_b16 v8, 8, v8
	v_dual_mov_b32 v140, 0 :: v_dual_mov_b32 v141, 0
	s_mov_b32 s17, exec_lo
	v_cmpx_ne_u16_e32 0, v8
	s_cbranch_execz .LBB369_827
; %bb.820:                              ;   in Loop: Header=BB369_11 Depth=1
	v_bfrev_b32_e32 v141, 1
	s_mov_b32 s18, exec_lo
	v_cmpx_ne_u16_e32 0x80, v8
	s_cbranch_execz .LBB369_826
; %bb.821:                              ;   in Loop: Header=BB369_11 Depth=1
	v_and_b32_e32 v74, 0xffff, v8
	v_mov_b32_e32 v141, 0x7fc02000
	s_mov_b32 s19, exec_lo
	s_delay_alu instid0(VALU_DEP_2) | instskip(NEXT) | instid1(VALU_DEP_1)
	v_and_b32_e32 v32, 0x7f, v74
	v_cmpx_ne_u32_e32 0x7f, v32
	s_cbranch_execz .LBB369_825
; %bb.822:                              ;   in Loop: Header=BB369_11 Depth=1
	v_and_b32_e32 v8, 7, v74
	v_lshrrev_b32_e32 v75, 3, v32
	v_cmp_gt_u32_e64 s1, 8, v32
	s_delay_alu instid0(VALU_DEP_3) | instskip(NEXT) | instid1(VALU_DEP_2)
	v_dual_mov_b32 v33, v9 :: v_dual_mov_b32 v32, v8
	s_and_saveexec_b32 s20, s1
; %bb.823:                              ;   in Loop: Header=BB369_11 Depth=1
	v_clz_i32_u32_e32 v32, v8
	s_delay_alu instid0(VALU_DEP_1) | instskip(NEXT) | instid1(VALU_DEP_1)
	v_min_u32_e32 v75, 32, v32
	v_subrev_nc_u32_e32 v32, 28, v75
	v_sub_nc_u32_e32 v75, 29, v75
	s_delay_alu instid0(VALU_DEP_2) | instskip(NEXT) | instid1(VALU_DEP_1)
	v_lshlrev_b64 v[32:33], v32, v[8:9]
	v_and_b32_e32 v32, 7, v32
; %bb.824:                              ;   in Loop: Header=BB369_11 Depth=1
	s_or_b32 exec_lo, exec_lo, s20
	v_lshlrev_b32_e32 v8, 8, v74
	v_lshl_add_u32 v33, v75, 10, 0x2000
	s_delay_alu instid0(VALU_DEP_1) | instskip(NEXT) | instid1(VALU_DEP_1)
	v_and_or_b32 v8, 0x8000, v8, v33
	v_lshl_or_b32 v8, v32, 7, v8
	s_delay_alu instid0(VALU_DEP_1)
	v_cvt_f32_f16_e64 v141, v8
.LBB369_825:                            ;   in Loop: Header=BB369_11 Depth=1
	s_or_b32 exec_lo, exec_lo, s19
.LBB369_826:                            ;   in Loop: Header=BB369_11 Depth=1
	s_delay_alu instid0(SALU_CYCLE_1)
	s_or_b32 exec_lo, exec_lo, s18
.LBB369_827:                            ;   in Loop: Header=BB369_11 Depth=1
	s_delay_alu instid0(SALU_CYCLE_1) | instskip(SKIP_2) | instid1(VALU_DEP_1)
	s_or_b32 exec_lo, exec_lo, s17
	v_lshrrev_b32_e32 v74, 16, v31
	s_mov_b32 s17, exec_lo
	v_and_b32_e32 v8, 0xff, v74
	s_delay_alu instid0(VALU_DEP_1)
	v_cmpx_ne_u16_e32 0, v8
	s_cbranch_execz .LBB369_835
; %bb.828:                              ;   in Loop: Header=BB369_11 Depth=1
	v_bfrev_b32_e32 v140, 1
	s_mov_b32 s18, exec_lo
	v_cmpx_ne_u16_e32 0x80, v8
	s_cbranch_execz .LBB369_834
; %bb.829:                              ;   in Loop: Header=BB369_11 Depth=1
	v_bfe_u32 v32, v31, 16, 7
	v_mov_b32_e32 v140, 0x7fc02000
	s_mov_b32 s19, exec_lo
	s_delay_alu instid0(VALU_DEP_2)
	v_cmpx_ne_u32_e32 0x7f, v32
	s_cbranch_execz .LBB369_833
; %bb.830:                              ;   in Loop: Header=BB369_11 Depth=1
	v_and_b32_e32 v8, 7, v74
	v_lshrrev_b32_e32 v75, 3, v32
	v_cmp_gt_u32_e64 s1, 8, v32
	s_delay_alu instid0(VALU_DEP_3) | instskip(NEXT) | instid1(VALU_DEP_2)
	v_dual_mov_b32 v33, v9 :: v_dual_mov_b32 v32, v8
	s_and_saveexec_b32 s20, s1
; %bb.831:                              ;   in Loop: Header=BB369_11 Depth=1
	v_clz_i32_u32_e32 v32, v8
	s_delay_alu instid0(VALU_DEP_1) | instskip(NEXT) | instid1(VALU_DEP_1)
	v_min_u32_e32 v75, 32, v32
	v_subrev_nc_u32_e32 v32, 28, v75
	v_sub_nc_u32_e32 v75, 29, v75
	s_delay_alu instid0(VALU_DEP_2) | instskip(NEXT) | instid1(VALU_DEP_1)
	v_lshlrev_b64 v[32:33], v32, v[8:9]
	v_and_b32_e32 v32, 7, v32
; %bb.832:                              ;   in Loop: Header=BB369_11 Depth=1
	s_or_b32 exec_lo, exec_lo, s20
	v_lshlrev_b32_e32 v8, 8, v74
	v_lshl_add_u32 v33, v75, 10, 0x2000
	s_delay_alu instid0(VALU_DEP_1) | instskip(NEXT) | instid1(VALU_DEP_1)
	v_and_or_b32 v8, 0x8000, v8, v33
	v_lshl_or_b32 v8, v32, 7, v8
	s_delay_alu instid0(VALU_DEP_1)
	v_cvt_f32_f16_e64 v140, v8
.LBB369_833:                            ;   in Loop: Header=BB369_11 Depth=1
	s_or_b32 exec_lo, exec_lo, s19
.LBB369_834:                            ;   in Loop: Header=BB369_11 Depth=1
	s_delay_alu instid0(SALU_CYCLE_1)
	s_or_b32 exec_lo, exec_lo, s18
.LBB369_835:                            ;   in Loop: Header=BB369_11 Depth=1
	s_delay_alu instid0(SALU_CYCLE_1)
	s_or_b32 exec_lo, exec_lo, s17
	v_mov_b32_e32 v90, 0
	v_mov_b32_e32 v142, 0
	s_mov_b32 s17, exec_lo
	v_cmpx_lt_u64_e64 s[2:3], v[30:31]
	s_cbranch_execz .LBB369_843
; %bb.836:                              ;   in Loop: Header=BB369_11 Depth=1
	v_lshrrev_b32_e32 v32, 24, v31
	v_bfrev_b32_e32 v142, 1
	s_mov_b32 s18, exec_lo
	s_delay_alu instid0(VALU_DEP_2)
	v_cmpx_ne_u32_e32 0x80, v32
	s_cbranch_execz .LBB369_842
; %bb.837:                              ;   in Loop: Header=BB369_11 Depth=1
	v_and_b32_e32 v74, 0x7f, v32
	v_mov_b32_e32 v142, 0x7fc02000
	s_mov_b32 s19, exec_lo
	s_delay_alu instid0(VALU_DEP_2)
	v_cmpx_ne_u32_e32 0x7f, v74
	s_cbranch_execz .LBB369_841
; %bb.838:                              ;   in Loop: Header=BB369_11 Depth=1
	v_and_b32_e32 v8, 7, v32
	v_lshrrev_b32_e32 v33, 3, v74
	v_mov_b32_e32 v31, v9
	s_mov_b32 s20, exec_lo
	s_delay_alu instid0(VALU_DEP_3)
	v_mov_b32_e32 v30, v8
	v_cmpx_gt_u32_e32 8, v74
; %bb.839:                              ;   in Loop: Header=BB369_11 Depth=1
	v_clz_i32_u32_e32 v30, v8
	s_delay_alu instid0(VALU_DEP_1) | instskip(NEXT) | instid1(VALU_DEP_1)
	v_min_u32_e32 v33, 32, v30
	v_subrev_nc_u32_e32 v30, 28, v33
	v_sub_nc_u32_e32 v33, 29, v33
	s_delay_alu instid0(VALU_DEP_2) | instskip(NEXT) | instid1(VALU_DEP_1)
	v_lshlrev_b64 v[30:31], v30, v[8:9]
	v_and_b32_e32 v30, 7, v30
; %bb.840:                              ;   in Loop: Header=BB369_11 Depth=1
	s_or_b32 exec_lo, exec_lo, s20
	v_lshlrev_b32_e32 v8, 8, v32
	v_lshl_add_u32 v31, v33, 10, 0x2000
	s_delay_alu instid0(VALU_DEP_1) | instskip(NEXT) | instid1(VALU_DEP_1)
	v_and_or_b32 v8, 0x8000, v8, v31
	v_lshl_or_b32 v8, v30, 7, v8
	s_delay_alu instid0(VALU_DEP_1)
	v_cvt_f32_f16_e64 v142, v8
.LBB369_841:                            ;   in Loop: Header=BB369_11 Depth=1
	s_or_b32 exec_lo, exec_lo, s19
.LBB369_842:                            ;   in Loop: Header=BB369_11 Depth=1
	s_delay_alu instid0(SALU_CYCLE_1)
	s_or_b32 exec_lo, exec_lo, s18
.LBB369_843:                            ;   in Loop: Header=BB369_11 Depth=1
	s_delay_alu instid0(SALU_CYCLE_1) | instskip(SKIP_4) | instid1(VALU_DEP_1)
	s_or_b32 exec_lo, exec_lo, s17
	flat_load_b64 v[30:31], v[28:29] offset:3080
	s_mov_b32 s17, exec_lo
	s_waitcnt vmcnt(0) lgkmcnt(0)
	v_and_b32_e32 v8, 0xff, v30
	v_cmpx_ne_u16_e32 0, v8
	s_cbranch_execz .LBB369_851
; %bb.844:                              ;   in Loop: Header=BB369_11 Depth=1
	v_bfrev_b32_e32 v90, 1
	s_mov_b32 s18, exec_lo
	v_cmpx_ne_u16_e32 0x80, v8
	s_cbranch_execz .LBB369_850
; %bb.845:                              ;   in Loop: Header=BB369_11 Depth=1
	v_and_b32_e32 v32, 0x7f, v30
	v_mov_b32_e32 v90, 0x7fc02000
	s_mov_b32 s19, exec_lo
	s_delay_alu instid0(VALU_DEP_2)
	v_cmpx_ne_u32_e32 0x7f, v32
	s_cbranch_execz .LBB369_849
; %bb.846:                              ;   in Loop: Header=BB369_11 Depth=1
	v_lshrrev_b32_e32 v8, 3, v32
	v_cmp_gt_u32_e64 s1, 8, v32
	v_dual_mov_b32 v33, v31 :: v_dual_mov_b32 v32, v30
	s_delay_alu instid0(VALU_DEP_2)
	s_and_saveexec_b32 s20, s1
; %bb.847:                              ;   in Loop: Header=BB369_11 Depth=1
	v_and_b32_e32 v8, 7, v30
	s_delay_alu instid0(VALU_DEP_1) | instskip(NEXT) | instid1(VALU_DEP_1)
	v_clz_i32_u32_e32 v8, v8
	v_min_u32_e32 v8, 32, v8
	s_delay_alu instid0(VALU_DEP_1) | instskip(SKIP_1) | instid1(VALU_DEP_2)
	v_subrev_nc_u32_e32 v32, 28, v8
	v_sub_nc_u32_e32 v8, 29, v8
	v_lshlrev_b64 v[32:33], v32, v[30:31]
; %bb.848:                              ;   in Loop: Header=BB369_11 Depth=1
	s_or_b32 exec_lo, exec_lo, s20
	v_lshlrev_b32_e32 v33, 8, v30
	s_delay_alu instid0(VALU_DEP_3) | instskip(NEXT) | instid1(VALU_DEP_3)
	v_lshl_add_u32 v8, v8, 10, 0x2000
	v_lshlrev_b32_e32 v32, 7, v32
	s_delay_alu instid0(VALU_DEP_2) | instskip(NEXT) | instid1(VALU_DEP_1)
	v_and_or_b32 v8, 0x8000, v33, v8
	v_and_or_b32 v8, 0x380, v32, v8
	s_delay_alu instid0(VALU_DEP_1)
	v_cvt_f32_f16_e32 v90, v8
.LBB369_849:                            ;   in Loop: Header=BB369_11 Depth=1
	s_or_b32 exec_lo, exec_lo, s19
.LBB369_850:                            ;   in Loop: Header=BB369_11 Depth=1
	s_delay_alu instid0(SALU_CYCLE_1)
	s_or_b32 exec_lo, exec_lo, s18
.LBB369_851:                            ;   in Loop: Header=BB369_11 Depth=1
	s_delay_alu instid0(SALU_CYCLE_1) | instskip(SKIP_3) | instid1(VALU_DEP_2)
	s_or_b32 exec_lo, exec_lo, s17
	v_lshrrev_b16 v8, 8, v30
	v_dual_mov_b32 v91, 0 :: v_dual_mov_b32 v94, 0
	s_mov_b32 s17, exec_lo
	v_cmpx_ne_u16_e32 0, v8
	s_cbranch_execz .LBB369_859
; %bb.852:                              ;   in Loop: Header=BB369_11 Depth=1
	v_bfrev_b32_e32 v94, 1
	s_mov_b32 s18, exec_lo
	v_cmpx_ne_u16_e32 0x80, v8
	s_cbranch_execz .LBB369_858
; %bb.853:                              ;   in Loop: Header=BB369_11 Depth=1
	v_and_b32_e32 v74, 0xffff, v8
	v_mov_b32_e32 v94, 0x7fc02000
	s_mov_b32 s19, exec_lo
	s_delay_alu instid0(VALU_DEP_2) | instskip(NEXT) | instid1(VALU_DEP_1)
	v_and_b32_e32 v76, 0x7f, v74
	v_cmpx_ne_u32_e32 0x7f, v76
	s_cbranch_execz .LBB369_857
; %bb.854:                              ;   in Loop: Header=BB369_11 Depth=1
	v_and_b32_e32 v8, 7, v74
	v_lshrrev_b32_e32 v75, 3, v76
	v_mov_b32_e32 v33, v9
	s_mov_b32 s20, exec_lo
	s_delay_alu instid0(VALU_DEP_3)
	v_mov_b32_e32 v32, v8
	v_cmpx_gt_u32_e32 8, v76
; %bb.855:                              ;   in Loop: Header=BB369_11 Depth=1
	v_clz_i32_u32_e32 v32, v8
	s_delay_alu instid0(VALU_DEP_1) | instskip(NEXT) | instid1(VALU_DEP_1)
	v_min_u32_e32 v75, 32, v32
	v_subrev_nc_u32_e32 v32, 28, v75
	v_sub_nc_u32_e32 v75, 29, v75
	s_delay_alu instid0(VALU_DEP_2) | instskip(NEXT) | instid1(VALU_DEP_1)
	v_lshlrev_b64 v[32:33], v32, v[8:9]
	v_and_b32_e32 v32, 7, v32
; %bb.856:                              ;   in Loop: Header=BB369_11 Depth=1
	s_or_b32 exec_lo, exec_lo, s20
	v_lshlrev_b32_e32 v8, 8, v74
	v_lshl_add_u32 v33, v75, 10, 0x2000
	s_delay_alu instid0(VALU_DEP_1) | instskip(NEXT) | instid1(VALU_DEP_1)
	v_and_or_b32 v8, 0x8000, v8, v33
	v_lshl_or_b32 v8, v32, 7, v8
	s_delay_alu instid0(VALU_DEP_1)
	v_cvt_f32_f16_e32 v94, v8
.LBB369_857:                            ;   in Loop: Header=BB369_11 Depth=1
	s_or_b32 exec_lo, exec_lo, s19
.LBB369_858:                            ;   in Loop: Header=BB369_11 Depth=1
	s_delay_alu instid0(SALU_CYCLE_1)
	s_or_b32 exec_lo, exec_lo, s18
.LBB369_859:                            ;   in Loop: Header=BB369_11 Depth=1
	s_delay_alu instid0(SALU_CYCLE_1) | instskip(SKIP_2) | instid1(VALU_DEP_1)
	s_or_b32 exec_lo, exec_lo, s17
	v_lshrrev_b32_e32 v74, 16, v30
	s_mov_b32 s17, exec_lo
	v_and_b32_e32 v8, 0xff, v74
	s_delay_alu instid0(VALU_DEP_1)
	v_cmpx_ne_u16_e32 0, v8
	s_cbranch_execz .LBB369_867
; %bb.860:                              ;   in Loop: Header=BB369_11 Depth=1
	v_bfrev_b32_e32 v91, 1
	s_mov_b32 s18, exec_lo
	v_cmpx_ne_u16_e32 0x80, v8
	s_cbranch_execz .LBB369_866
; %bb.861:                              ;   in Loop: Header=BB369_11 Depth=1
	v_bfe_u32 v76, v30, 16, 7
	v_mov_b32_e32 v91, 0x7fc02000
	s_mov_b32 s19, exec_lo
	s_delay_alu instid0(VALU_DEP_2)
	v_cmpx_ne_u32_e32 0x7f, v76
	s_cbranch_execz .LBB369_865
; %bb.862:                              ;   in Loop: Header=BB369_11 Depth=1
	v_and_b32_e32 v8, 7, v74
	v_lshrrev_b32_e32 v75, 3, v76
	v_mov_b32_e32 v33, v9
	s_mov_b32 s20, exec_lo
	s_delay_alu instid0(VALU_DEP_3)
	v_mov_b32_e32 v32, v8
	v_cmpx_gt_u32_e32 8, v76
; %bb.863:                              ;   in Loop: Header=BB369_11 Depth=1
	v_clz_i32_u32_e32 v32, v8
	s_delay_alu instid0(VALU_DEP_1) | instskip(NEXT) | instid1(VALU_DEP_1)
	v_min_u32_e32 v75, 32, v32
	v_subrev_nc_u32_e32 v32, 28, v75
	v_sub_nc_u32_e32 v75, 29, v75
	s_delay_alu instid0(VALU_DEP_2) | instskip(NEXT) | instid1(VALU_DEP_1)
	v_lshlrev_b64 v[32:33], v32, v[8:9]
	v_and_b32_e32 v32, 7, v32
; %bb.864:                              ;   in Loop: Header=BB369_11 Depth=1
	s_or_b32 exec_lo, exec_lo, s20
	v_lshlrev_b32_e32 v8, 8, v74
	v_lshl_add_u32 v33, v75, 10, 0x2000
	s_delay_alu instid0(VALU_DEP_1) | instskip(NEXT) | instid1(VALU_DEP_1)
	v_and_or_b32 v8, 0x8000, v8, v33
	v_lshl_or_b32 v8, v32, 7, v8
	s_delay_alu instid0(VALU_DEP_1)
	v_cvt_f32_f16_e32 v91, v8
.LBB369_865:                            ;   in Loop: Header=BB369_11 Depth=1
	s_or_b32 exec_lo, exec_lo, s19
.LBB369_866:                            ;   in Loop: Header=BB369_11 Depth=1
	s_delay_alu instid0(SALU_CYCLE_1)
	s_or_b32 exec_lo, exec_lo, s18
.LBB369_867:                            ;   in Loop: Header=BB369_11 Depth=1
	s_delay_alu instid0(SALU_CYCLE_1)
	s_or_b32 exec_lo, exec_lo, s17
	v_dual_mov_b32 v95, 0 :: v_dual_mov_b32 v104, 0
	s_mov_b32 s17, exec_lo
	v_cmpx_lt_u32_e32 0xffffff, v30
	s_cbranch_execz .LBB369_875
; %bb.868:                              ;   in Loop: Header=BB369_11 Depth=1
	v_lshrrev_b32_e32 v74, 24, v30
	v_bfrev_b32_e32 v104, 1
	s_mov_b32 s18, exec_lo
	s_delay_alu instid0(VALU_DEP_2)
	v_cmpx_ne_u32_e32 0x80, v74
	s_cbranch_execz .LBB369_874
; %bb.869:                              ;   in Loop: Header=BB369_11 Depth=1
	v_and_b32_e32 v76, 0x7f, v74
	v_mov_b32_e32 v104, 0x7fc02000
	s_mov_b32 s19, exec_lo
	s_delay_alu instid0(VALU_DEP_2)
	v_cmpx_ne_u32_e32 0x7f, v76
	s_cbranch_execz .LBB369_873
; %bb.870:                              ;   in Loop: Header=BB369_11 Depth=1
	v_and_b32_e32 v8, 7, v74
	v_lshrrev_b32_e32 v75, 3, v76
	v_mov_b32_e32 v33, v9
	s_mov_b32 s20, exec_lo
	s_delay_alu instid0(VALU_DEP_3)
	v_mov_b32_e32 v32, v8
	v_cmpx_gt_u32_e32 8, v76
; %bb.871:                              ;   in Loop: Header=BB369_11 Depth=1
	v_clz_i32_u32_e32 v32, v8
	s_delay_alu instid0(VALU_DEP_1) | instskip(NEXT) | instid1(VALU_DEP_1)
	v_min_u32_e32 v75, 32, v32
	v_subrev_nc_u32_e32 v32, 28, v75
	v_sub_nc_u32_e32 v75, 29, v75
	s_delay_alu instid0(VALU_DEP_2) | instskip(NEXT) | instid1(VALU_DEP_1)
	v_lshlrev_b64 v[32:33], v32, v[8:9]
	v_and_b32_e32 v32, 7, v32
; %bb.872:                              ;   in Loop: Header=BB369_11 Depth=1
	s_or_b32 exec_lo, exec_lo, s20
	v_lshlrev_b32_e32 v8, 8, v74
	v_lshl_add_u32 v33, v75, 10, 0x2000
	s_delay_alu instid0(VALU_DEP_1) | instskip(NEXT) | instid1(VALU_DEP_1)
	v_and_or_b32 v8, 0x8000, v8, v33
	v_lshl_or_b32 v8, v32, 7, v8
	s_delay_alu instid0(VALU_DEP_1)
	v_cvt_f32_f16_e32 v104, v8
.LBB369_873:                            ;   in Loop: Header=BB369_11 Depth=1
	s_or_b32 exec_lo, exec_lo, s19
.LBB369_874:                            ;   in Loop: Header=BB369_11 Depth=1
	s_delay_alu instid0(SALU_CYCLE_1)
	s_or_b32 exec_lo, exec_lo, s18
.LBB369_875:                            ;   in Loop: Header=BB369_11 Depth=1
	s_delay_alu instid0(SALU_CYCLE_1) | instskip(SKIP_3) | instid1(VALU_DEP_2)
	s_or_b32 exec_lo, exec_lo, s17
	v_and_b32_e32 v32, 0xff, v31
	v_mov_b32_e32 v8, v31
	s_mov_b32 s17, exec_lo
	v_cmpx_ne_u16_e32 0, v32
	s_cbranch_execz .LBB369_883
; %bb.876:                              ;   in Loop: Header=BB369_11 Depth=1
	v_bfrev_b32_e32 v95, 1
	s_mov_b32 s18, exec_lo
	v_cmpx_ne_u16_e32 0x80, v32
	s_cbranch_execz .LBB369_882
; %bb.877:                              ;   in Loop: Header=BB369_11 Depth=1
	v_and_b32_e32 v74, 0x7f, v31
	v_mov_b32_e32 v95, 0x7fc02000
	s_mov_b32 s19, exec_lo
	s_delay_alu instid0(VALU_DEP_2)
	v_cmpx_ne_u32_e32 0x7f, v74
	s_cbranch_execz .LBB369_881
; %bb.878:                              ;   in Loop: Header=BB369_11 Depth=1
	v_dual_mov_b32 v33, v9 :: v_dual_mov_b32 v32, v8
	v_lshrrev_b32_e32 v33, 3, v74
	s_mov_b32 s20, exec_lo
	v_cmpx_gt_u32_e32 8, v74
; %bb.879:                              ;   in Loop: Header=BB369_11 Depth=1
	v_and_b32_e32 v32, 7, v31
	s_delay_alu instid0(VALU_DEP_1) | instskip(NEXT) | instid1(VALU_DEP_1)
	v_clz_i32_u32_e32 v32, v32
	v_min_u32_e32 v74, 32, v32
	s_delay_alu instid0(VALU_DEP_1) | instskip(NEXT) | instid1(VALU_DEP_1)
	v_subrev_nc_u32_e32 v32, 28, v74
	v_lshlrev_b64 v[32:33], v32, v[8:9]
	v_sub_nc_u32_e32 v33, 29, v74
; %bb.880:                              ;   in Loop: Header=BB369_11 Depth=1
	s_or_b32 exec_lo, exec_lo, s20
	v_lshlrev_b32_e32 v74, 8, v31
	s_delay_alu instid0(VALU_DEP_2) | instskip(NEXT) | instid1(VALU_DEP_4)
	v_lshl_add_u32 v33, v33, 10, 0x2000
	v_lshlrev_b32_e32 v32, 7, v32
	s_delay_alu instid0(VALU_DEP_2) | instskip(NEXT) | instid1(VALU_DEP_1)
	v_and_or_b32 v33, 0x8000, v74, v33
	v_and_or_b32 v32, 0x380, v32, v33
	s_delay_alu instid0(VALU_DEP_1)
	v_cvt_f32_f16_e32 v95, v32
.LBB369_881:                            ;   in Loop: Header=BB369_11 Depth=1
	s_or_b32 exec_lo, exec_lo, s19
.LBB369_882:                            ;   in Loop: Header=BB369_11 Depth=1
	s_delay_alu instid0(SALU_CYCLE_1)
	s_or_b32 exec_lo, exec_lo, s18
.LBB369_883:                            ;   in Loop: Header=BB369_11 Depth=1
	s_delay_alu instid0(SALU_CYCLE_1) | instskip(SKIP_3) | instid1(VALU_DEP_2)
	s_or_b32 exec_lo, exec_lo, s17
	v_lshrrev_b16 v8, 8, v8
	v_dual_mov_b32 v123, 0 :: v_dual_mov_b32 v126, 0
	s_mov_b32 s17, exec_lo
	v_cmpx_ne_u16_e32 0, v8
	s_cbranch_execz .LBB369_891
; %bb.884:                              ;   in Loop: Header=BB369_11 Depth=1
	v_bfrev_b32_e32 v126, 1
	s_mov_b32 s18, exec_lo
	v_cmpx_ne_u16_e32 0x80, v8
	s_cbranch_execz .LBB369_890
; %bb.885:                              ;   in Loop: Header=BB369_11 Depth=1
	v_and_b32_e32 v74, 0xffff, v8
	v_mov_b32_e32 v126, 0x7fc02000
	s_mov_b32 s19, exec_lo
	s_delay_alu instid0(VALU_DEP_2) | instskip(NEXT) | instid1(VALU_DEP_1)
	v_and_b32_e32 v76, 0x7f, v74
	v_cmpx_ne_u32_e32 0x7f, v76
	s_cbranch_execz .LBB369_889
; %bb.886:                              ;   in Loop: Header=BB369_11 Depth=1
	v_and_b32_e32 v8, 7, v74
	v_lshrrev_b32_e32 v75, 3, v76
	v_mov_b32_e32 v33, v9
	s_mov_b32 s20, exec_lo
	s_delay_alu instid0(VALU_DEP_3)
	v_mov_b32_e32 v32, v8
	v_cmpx_gt_u32_e32 8, v76
; %bb.887:                              ;   in Loop: Header=BB369_11 Depth=1
	v_clz_i32_u32_e32 v32, v8
	s_delay_alu instid0(VALU_DEP_1) | instskip(NEXT) | instid1(VALU_DEP_1)
	v_min_u32_e32 v75, 32, v32
	v_subrev_nc_u32_e32 v32, 28, v75
	v_sub_nc_u32_e32 v75, 29, v75
	s_delay_alu instid0(VALU_DEP_2) | instskip(NEXT) | instid1(VALU_DEP_1)
	v_lshlrev_b64 v[32:33], v32, v[8:9]
	v_and_b32_e32 v32, 7, v32
; %bb.888:                              ;   in Loop: Header=BB369_11 Depth=1
	s_or_b32 exec_lo, exec_lo, s20
	v_lshlrev_b32_e32 v8, 8, v74
	v_lshl_add_u32 v33, v75, 10, 0x2000
	s_delay_alu instid0(VALU_DEP_1) | instskip(NEXT) | instid1(VALU_DEP_1)
	v_and_or_b32 v8, 0x8000, v8, v33
	v_lshl_or_b32 v8, v32, 7, v8
	s_delay_alu instid0(VALU_DEP_1)
	v_cvt_f32_f16_e32 v126, v8
.LBB369_889:                            ;   in Loop: Header=BB369_11 Depth=1
	s_or_b32 exec_lo, exec_lo, s19
.LBB369_890:                            ;   in Loop: Header=BB369_11 Depth=1
	s_delay_alu instid0(SALU_CYCLE_1)
	s_or_b32 exec_lo, exec_lo, s18
.LBB369_891:                            ;   in Loop: Header=BB369_11 Depth=1
	s_delay_alu instid0(SALU_CYCLE_1) | instskip(SKIP_2) | instid1(VALU_DEP_1)
	s_or_b32 exec_lo, exec_lo, s17
	v_lshrrev_b32_e32 v74, 16, v31
	s_mov_b32 s17, exec_lo
	v_and_b32_e32 v8, 0xff, v74
	s_delay_alu instid0(VALU_DEP_1)
	v_cmpx_ne_u16_e32 0, v8
	s_cbranch_execz .LBB369_899
; %bb.892:                              ;   in Loop: Header=BB369_11 Depth=1
	v_bfrev_b32_e32 v123, 1
	s_mov_b32 s18, exec_lo
	v_cmpx_ne_u16_e32 0x80, v8
	s_cbranch_execz .LBB369_898
; %bb.893:                              ;   in Loop: Header=BB369_11 Depth=1
	v_bfe_u32 v76, v31, 16, 7
	v_mov_b32_e32 v123, 0x7fc02000
	s_mov_b32 s19, exec_lo
	s_delay_alu instid0(VALU_DEP_2)
	v_cmpx_ne_u32_e32 0x7f, v76
	s_cbranch_execz .LBB369_897
; %bb.894:                              ;   in Loop: Header=BB369_11 Depth=1
	v_and_b32_e32 v8, 7, v74
	v_lshrrev_b32_e32 v75, 3, v76
	v_mov_b32_e32 v33, v9
	s_mov_b32 s20, exec_lo
	s_delay_alu instid0(VALU_DEP_3)
	v_mov_b32_e32 v32, v8
	v_cmpx_gt_u32_e32 8, v76
; %bb.895:                              ;   in Loop: Header=BB369_11 Depth=1
	v_clz_i32_u32_e32 v32, v8
	s_delay_alu instid0(VALU_DEP_1) | instskip(NEXT) | instid1(VALU_DEP_1)
	v_min_u32_e32 v75, 32, v32
	v_subrev_nc_u32_e32 v32, 28, v75
	v_sub_nc_u32_e32 v75, 29, v75
	s_delay_alu instid0(VALU_DEP_2) | instskip(NEXT) | instid1(VALU_DEP_1)
	v_lshlrev_b64 v[32:33], v32, v[8:9]
	v_and_b32_e32 v32, 7, v32
; %bb.896:                              ;   in Loop: Header=BB369_11 Depth=1
	s_or_b32 exec_lo, exec_lo, s20
	v_lshlrev_b32_e32 v8, 8, v74
	v_lshl_add_u32 v33, v75, 10, 0x2000
	s_delay_alu instid0(VALU_DEP_1) | instskip(NEXT) | instid1(VALU_DEP_1)
	v_and_or_b32 v8, 0x8000, v8, v33
	v_lshl_or_b32 v8, v32, 7, v8
	s_delay_alu instid0(VALU_DEP_1)
	v_cvt_f32_f16_e32 v123, v8
.LBB369_897:                            ;   in Loop: Header=BB369_11 Depth=1
	s_or_b32 exec_lo, exec_lo, s19
.LBB369_898:                            ;   in Loop: Header=BB369_11 Depth=1
	s_delay_alu instid0(SALU_CYCLE_1)
	s_or_b32 exec_lo, exec_lo, s18
.LBB369_899:                            ;   in Loop: Header=BB369_11 Depth=1
	s_delay_alu instid0(SALU_CYCLE_1)
	s_or_b32 exec_lo, exec_lo, s17
	v_dual_mov_b32 v74, 0 :: v_dual_mov_b32 v127, 0
	s_mov_b32 s17, exec_lo
	v_cmpx_lt_u64_e64 s[2:3], v[30:31]
	s_cbranch_execz .LBB369_907
; %bb.900:                              ;   in Loop: Header=BB369_11 Depth=1
	v_lshrrev_b32_e32 v32, 24, v31
	v_bfrev_b32_e32 v127, 1
	s_mov_b32 s18, exec_lo
	s_delay_alu instid0(VALU_DEP_2)
	v_cmpx_ne_u32_e32 0x80, v32
	s_cbranch_execz .LBB369_906
; %bb.901:                              ;   in Loop: Header=BB369_11 Depth=1
	v_and_b32_e32 v75, 0x7f, v32
	v_mov_b32_e32 v127, 0x7fc02000
	s_mov_b32 s19, exec_lo
	s_delay_alu instid0(VALU_DEP_2)
	v_cmpx_ne_u32_e32 0x7f, v75
	s_cbranch_execz .LBB369_905
; %bb.902:                              ;   in Loop: Header=BB369_11 Depth=1
	v_and_b32_e32 v8, 7, v32
	v_lshrrev_b32_e32 v33, 3, v75
	v_mov_b32_e32 v31, v9
	s_mov_b32 s20, exec_lo
	s_delay_alu instid0(VALU_DEP_3)
	v_mov_b32_e32 v30, v8
	v_cmpx_gt_u32_e32 8, v75
; %bb.903:                              ;   in Loop: Header=BB369_11 Depth=1
	v_clz_i32_u32_e32 v30, v8
	s_delay_alu instid0(VALU_DEP_1) | instskip(NEXT) | instid1(VALU_DEP_1)
	v_min_u32_e32 v33, 32, v30
	v_subrev_nc_u32_e32 v30, 28, v33
	v_sub_nc_u32_e32 v33, 29, v33
	s_delay_alu instid0(VALU_DEP_2) | instskip(NEXT) | instid1(VALU_DEP_1)
	v_lshlrev_b64 v[30:31], v30, v[8:9]
	v_and_b32_e32 v30, 7, v30
; %bb.904:                              ;   in Loop: Header=BB369_11 Depth=1
	s_or_b32 exec_lo, exec_lo, s20
	v_lshlrev_b32_e32 v8, 8, v32
	v_lshl_add_u32 v31, v33, 10, 0x2000
	s_delay_alu instid0(VALU_DEP_1) | instskip(NEXT) | instid1(VALU_DEP_1)
	v_and_or_b32 v8, 0x8000, v8, v31
	v_lshl_or_b32 v8, v30, 7, v8
	s_delay_alu instid0(VALU_DEP_1)
	v_cvt_f32_f16_e32 v127, v8
.LBB369_905:                            ;   in Loop: Header=BB369_11 Depth=1
	s_or_b32 exec_lo, exec_lo, s19
.LBB369_906:                            ;   in Loop: Header=BB369_11 Depth=1
	s_delay_alu instid0(SALU_CYCLE_1)
	s_or_b32 exec_lo, exec_lo, s18
.LBB369_907:                            ;   in Loop: Header=BB369_11 Depth=1
	s_delay_alu instid0(SALU_CYCLE_1) | instskip(SKIP_4) | instid1(VALU_DEP_1)
	s_or_b32 exec_lo, exec_lo, s17
	flat_load_b64 v[30:31], v[28:29] offset:3584
	s_mov_b32 s17, exec_lo
	s_waitcnt vmcnt(0) lgkmcnt(0)
	v_and_b32_e32 v8, 0xff, v30
	v_cmpx_ne_u16_e32 0, v8
	s_cbranch_execz .LBB369_915
; %bb.908:                              ;   in Loop: Header=BB369_11 Depth=1
	v_bfrev_b32_e32 v74, 1
	s_mov_b32 s18, exec_lo
	v_cmpx_ne_u16_e32 0x80, v8
	s_cbranch_execz .LBB369_914
; %bb.909:                              ;   in Loop: Header=BB369_11 Depth=1
	v_and_b32_e32 v32, 0x7f, v30
	v_mov_b32_e32 v74, 0x7fc02000
	s_mov_b32 s19, exec_lo
	s_delay_alu instid0(VALU_DEP_2)
	v_cmpx_ne_u32_e32 0x7f, v32
	s_cbranch_execz .LBB369_913
; %bb.910:                              ;   in Loop: Header=BB369_11 Depth=1
	v_lshrrev_b32_e32 v8, 3, v32
	v_cmp_gt_u32_e64 s1, 8, v32
	v_dual_mov_b32 v33, v31 :: v_dual_mov_b32 v32, v30
	s_delay_alu instid0(VALU_DEP_2)
	s_and_saveexec_b32 s20, s1
; %bb.911:                              ;   in Loop: Header=BB369_11 Depth=1
	v_and_b32_e32 v8, 7, v30
	s_delay_alu instid0(VALU_DEP_1) | instskip(NEXT) | instid1(VALU_DEP_1)
	v_clz_i32_u32_e32 v8, v8
	v_min_u32_e32 v8, 32, v8
	s_delay_alu instid0(VALU_DEP_1) | instskip(SKIP_1) | instid1(VALU_DEP_2)
	v_subrev_nc_u32_e32 v32, 28, v8
	v_sub_nc_u32_e32 v8, 29, v8
	v_lshlrev_b64 v[32:33], v32, v[30:31]
; %bb.912:                              ;   in Loop: Header=BB369_11 Depth=1
	s_or_b32 exec_lo, exec_lo, s20
	v_lshlrev_b32_e32 v33, 8, v30
	s_delay_alu instid0(VALU_DEP_3) | instskip(NEXT) | instid1(VALU_DEP_3)
	v_lshl_add_u32 v8, v8, 10, 0x2000
	v_lshlrev_b32_e32 v32, 7, v32
	s_delay_alu instid0(VALU_DEP_2) | instskip(NEXT) | instid1(VALU_DEP_1)
	v_and_or_b32 v8, 0x8000, v33, v8
	v_and_or_b32 v8, 0x380, v32, v8
	s_delay_alu instid0(VALU_DEP_1)
	v_cvt_f32_f16_e32 v74, v8
.LBB369_913:                            ;   in Loop: Header=BB369_11 Depth=1
	s_or_b32 exec_lo, exec_lo, s19
.LBB369_914:                            ;   in Loop: Header=BB369_11 Depth=1
	s_delay_alu instid0(SALU_CYCLE_1)
	s_or_b32 exec_lo, exec_lo, s18
.LBB369_915:                            ;   in Loop: Header=BB369_11 Depth=1
	s_delay_alu instid0(SALU_CYCLE_1) | instskip(SKIP_3) | instid1(VALU_DEP_2)
	s_or_b32 exec_lo, exec_lo, s17
	v_lshrrev_b16 v8, 8, v30
	v_dual_mov_b32 v75, 0 :: v_dual_mov_b32 v88, 0
	s_mov_b32 s17, exec_lo
	v_cmpx_ne_u16_e32 0, v8
	s_cbranch_execz .LBB369_923
; %bb.916:                              ;   in Loop: Header=BB369_11 Depth=1
	v_bfrev_b32_e32 v88, 1
	s_mov_b32 s18, exec_lo
	v_cmpx_ne_u16_e32 0x80, v8
	s_cbranch_execz .LBB369_922
; %bb.917:                              ;   in Loop: Header=BB369_11 Depth=1
	v_and_b32_e32 v76, 0xffff, v8
	v_mov_b32_e32 v88, 0x7fc02000
	s_mov_b32 s19, exec_lo
	s_delay_alu instid0(VALU_DEP_2) | instskip(NEXT) | instid1(VALU_DEP_1)
	v_and_b32_e32 v89, 0x7f, v76
	v_cmpx_ne_u32_e32 0x7f, v89
	s_cbranch_execz .LBB369_921
; %bb.918:                              ;   in Loop: Header=BB369_11 Depth=1
	v_and_b32_e32 v8, 7, v76
	v_lshrrev_b32_e32 v77, 3, v89
	v_mov_b32_e32 v33, v9
	s_mov_b32 s20, exec_lo
	s_delay_alu instid0(VALU_DEP_3)
	v_mov_b32_e32 v32, v8
	v_cmpx_gt_u32_e32 8, v89
; %bb.919:                              ;   in Loop: Header=BB369_11 Depth=1
	v_clz_i32_u32_e32 v32, v8
	s_delay_alu instid0(VALU_DEP_1) | instskip(NEXT) | instid1(VALU_DEP_1)
	v_min_u32_e32 v77, 32, v32
	v_subrev_nc_u32_e32 v32, 28, v77
	v_sub_nc_u32_e32 v77, 29, v77
	s_delay_alu instid0(VALU_DEP_2) | instskip(NEXT) | instid1(VALU_DEP_1)
	v_lshlrev_b64 v[32:33], v32, v[8:9]
	v_and_b32_e32 v32, 7, v32
; %bb.920:                              ;   in Loop: Header=BB369_11 Depth=1
	s_or_b32 exec_lo, exec_lo, s20
	v_lshlrev_b32_e32 v8, 8, v76
	v_lshl_add_u32 v33, v77, 10, 0x2000
	s_delay_alu instid0(VALU_DEP_1) | instskip(NEXT) | instid1(VALU_DEP_1)
	v_and_or_b32 v8, 0x8000, v8, v33
	v_lshl_or_b32 v8, v32, 7, v8
	s_delay_alu instid0(VALU_DEP_1)
	v_cvt_f32_f16_e32 v88, v8
.LBB369_921:                            ;   in Loop: Header=BB369_11 Depth=1
	s_or_b32 exec_lo, exec_lo, s19
.LBB369_922:                            ;   in Loop: Header=BB369_11 Depth=1
	s_delay_alu instid0(SALU_CYCLE_1)
	s_or_b32 exec_lo, exec_lo, s18
.LBB369_923:                            ;   in Loop: Header=BB369_11 Depth=1
	s_delay_alu instid0(SALU_CYCLE_1) | instskip(SKIP_2) | instid1(VALU_DEP_1)
	s_or_b32 exec_lo, exec_lo, s17
	v_lshrrev_b32_e32 v76, 16, v30
	s_mov_b32 s17, exec_lo
	v_and_b32_e32 v8, 0xff, v76
	s_delay_alu instid0(VALU_DEP_1)
	v_cmpx_ne_u16_e32 0, v8
	s_cbranch_execz .LBB369_931
; %bb.924:                              ;   in Loop: Header=BB369_11 Depth=1
	v_bfrev_b32_e32 v75, 1
	s_mov_b32 s18, exec_lo
	v_cmpx_ne_u16_e32 0x80, v8
	s_cbranch_execz .LBB369_930
; %bb.925:                              ;   in Loop: Header=BB369_11 Depth=1
	v_bfe_u32 v77, v30, 16, 7
	v_mov_b32_e32 v75, 0x7fc02000
	s_mov_b32 s19, exec_lo
	s_delay_alu instid0(VALU_DEP_2)
	v_cmpx_ne_u32_e32 0x7f, v77
	s_cbranch_execz .LBB369_929
; %bb.926:                              ;   in Loop: Header=BB369_11 Depth=1
	v_and_b32_e32 v8, 7, v76
	v_lshrrev_b32_e32 v75, 3, v77
	v_mov_b32_e32 v33, v9
	s_mov_b32 s20, exec_lo
	s_delay_alu instid0(VALU_DEP_3)
	v_mov_b32_e32 v32, v8
	v_cmpx_gt_u32_e32 8, v77
; %bb.927:                              ;   in Loop: Header=BB369_11 Depth=1
	v_clz_i32_u32_e32 v32, v8
	s_delay_alu instid0(VALU_DEP_1) | instskip(NEXT) | instid1(VALU_DEP_1)
	v_min_u32_e32 v75, 32, v32
	v_subrev_nc_u32_e32 v32, 28, v75
	v_sub_nc_u32_e32 v75, 29, v75
	s_delay_alu instid0(VALU_DEP_2) | instskip(NEXT) | instid1(VALU_DEP_1)
	v_lshlrev_b64 v[32:33], v32, v[8:9]
	v_and_b32_e32 v32, 7, v32
; %bb.928:                              ;   in Loop: Header=BB369_11 Depth=1
	s_or_b32 exec_lo, exec_lo, s20
	v_lshlrev_b32_e32 v8, 8, v76
	v_lshl_add_u32 v33, v75, 10, 0x2000
	s_delay_alu instid0(VALU_DEP_1) | instskip(NEXT) | instid1(VALU_DEP_1)
	v_and_or_b32 v8, 0x8000, v8, v33
	v_lshl_or_b32 v8, v32, 7, v8
	s_delay_alu instid0(VALU_DEP_1)
	v_cvt_f32_f16_e32 v75, v8
.LBB369_929:                            ;   in Loop: Header=BB369_11 Depth=1
	s_or_b32 exec_lo, exec_lo, s19
.LBB369_930:                            ;   in Loop: Header=BB369_11 Depth=1
	s_delay_alu instid0(SALU_CYCLE_1)
	s_or_b32 exec_lo, exec_lo, s18
.LBB369_931:                            ;   in Loop: Header=BB369_11 Depth=1
	s_delay_alu instid0(SALU_CYCLE_1)
	s_or_b32 exec_lo, exec_lo, s17
	v_dual_mov_b32 v105, 0 :: v_dual_mov_b32 v76, 0
	s_mov_b32 s17, exec_lo
	v_cmpx_lt_u32_e32 0xffffff, v30
	s_cbranch_execz .LBB369_939
; %bb.932:                              ;   in Loop: Header=BB369_11 Depth=1
	v_lshrrev_b32_e32 v77, 24, v30
	v_bfrev_b32_e32 v76, 1
	s_mov_b32 s18, exec_lo
	s_delay_alu instid0(VALU_DEP_2)
	v_cmpx_ne_u32_e32 0x80, v77
	s_cbranch_execz .LBB369_938
; %bb.933:                              ;   in Loop: Header=BB369_11 Depth=1
	v_and_b32_e32 v89, 0x7f, v77
	v_mov_b32_e32 v76, 0x7fc02000
	s_mov_b32 s19, exec_lo
	s_delay_alu instid0(VALU_DEP_2)
	v_cmpx_ne_u32_e32 0x7f, v89
	s_cbranch_execz .LBB369_937
; %bb.934:                              ;   in Loop: Header=BB369_11 Depth=1
	v_and_b32_e32 v8, 7, v77
	v_lshrrev_b32_e32 v76, 3, v89
	v_mov_b32_e32 v33, v9
	s_mov_b32 s20, exec_lo
	s_delay_alu instid0(VALU_DEP_3)
	v_mov_b32_e32 v32, v8
	v_cmpx_gt_u32_e32 8, v89
; %bb.935:                              ;   in Loop: Header=BB369_11 Depth=1
	v_clz_i32_u32_e32 v32, v8
	s_delay_alu instid0(VALU_DEP_1) | instskip(NEXT) | instid1(VALU_DEP_1)
	v_min_u32_e32 v76, 32, v32
	v_subrev_nc_u32_e32 v32, 28, v76
	v_sub_nc_u32_e32 v76, 29, v76
	s_delay_alu instid0(VALU_DEP_2) | instskip(NEXT) | instid1(VALU_DEP_1)
	v_lshlrev_b64 v[32:33], v32, v[8:9]
	v_and_b32_e32 v32, 7, v32
; %bb.936:                              ;   in Loop: Header=BB369_11 Depth=1
	s_or_b32 exec_lo, exec_lo, s20
	v_lshlrev_b32_e32 v8, 8, v77
	v_lshl_add_u32 v33, v76, 10, 0x2000
	s_delay_alu instid0(VALU_DEP_1) | instskip(NEXT) | instid1(VALU_DEP_1)
	v_and_or_b32 v8, 0x8000, v8, v33
	v_lshl_or_b32 v8, v32, 7, v8
	s_delay_alu instid0(VALU_DEP_1)
	v_cvt_f32_f16_e32 v76, v8
.LBB369_937:                            ;   in Loop: Header=BB369_11 Depth=1
	s_or_b32 exec_lo, exec_lo, s19
.LBB369_938:                            ;   in Loop: Header=BB369_11 Depth=1
	s_delay_alu instid0(SALU_CYCLE_1)
	s_or_b32 exec_lo, exec_lo, s18
.LBB369_939:                            ;   in Loop: Header=BB369_11 Depth=1
	s_delay_alu instid0(SALU_CYCLE_1) | instskip(SKIP_3) | instid1(VALU_DEP_2)
	s_or_b32 exec_lo, exec_lo, s17
	v_and_b32_e32 v32, 0xff, v31
	v_mov_b32_e32 v8, v31
	s_mov_b32 s17, exec_lo
	v_cmpx_ne_u16_e32 0, v32
	s_cbranch_execz .LBB369_947
; %bb.940:                              ;   in Loop: Header=BB369_11 Depth=1
	v_bfrev_b32_e32 v105, 1
	s_mov_b32 s18, exec_lo
	v_cmpx_ne_u16_e32 0x80, v32
	s_cbranch_execz .LBB369_946
; %bb.941:                              ;   in Loop: Header=BB369_11 Depth=1
	v_and_b32_e32 v77, 0x7f, v31
	v_mov_b32_e32 v105, 0x7fc02000
	s_mov_b32 s19, exec_lo
	s_delay_alu instid0(VALU_DEP_2)
	v_cmpx_ne_u32_e32 0x7f, v77
	s_cbranch_execz .LBB369_945
; %bb.942:                              ;   in Loop: Header=BB369_11 Depth=1
	v_dual_mov_b32 v33, v9 :: v_dual_mov_b32 v32, v8
	v_lshrrev_b32_e32 v33, 3, v77
	s_mov_b32 s20, exec_lo
	v_cmpx_gt_u32_e32 8, v77
; %bb.943:                              ;   in Loop: Header=BB369_11 Depth=1
	v_and_b32_e32 v32, 7, v31
	s_delay_alu instid0(VALU_DEP_1) | instskip(NEXT) | instid1(VALU_DEP_1)
	v_clz_i32_u32_e32 v32, v32
	v_min_u32_e32 v77, 32, v32
	s_delay_alu instid0(VALU_DEP_1) | instskip(NEXT) | instid1(VALU_DEP_1)
	v_subrev_nc_u32_e32 v32, 28, v77
	v_lshlrev_b64 v[32:33], v32, v[8:9]
	v_sub_nc_u32_e32 v33, 29, v77
; %bb.944:                              ;   in Loop: Header=BB369_11 Depth=1
	s_or_b32 exec_lo, exec_lo, s20
	v_lshlrev_b32_e32 v77, 8, v31
	s_delay_alu instid0(VALU_DEP_2) | instskip(NEXT) | instid1(VALU_DEP_4)
	v_lshl_add_u32 v33, v33, 10, 0x2000
	v_lshlrev_b32_e32 v32, 7, v32
	s_delay_alu instid0(VALU_DEP_2) | instskip(NEXT) | instid1(VALU_DEP_1)
	v_and_or_b32 v33, 0x8000, v77, v33
	v_and_or_b32 v32, 0x380, v32, v33
	s_delay_alu instid0(VALU_DEP_1)
	v_cvt_f32_f16_e32 v105, v32
.LBB369_945:                            ;   in Loop: Header=BB369_11 Depth=1
	s_or_b32 exec_lo, exec_lo, s19
.LBB369_946:                            ;   in Loop: Header=BB369_11 Depth=1
	s_delay_alu instid0(SALU_CYCLE_1)
	s_or_b32 exec_lo, exec_lo, s18
.LBB369_947:                            ;   in Loop: Header=BB369_11 Depth=1
	s_delay_alu instid0(SALU_CYCLE_1) | instskip(SKIP_3) | instid1(VALU_DEP_2)
	s_or_b32 exec_lo, exec_lo, s17
	v_lshrrev_b16 v8, 8, v8
	v_dual_mov_b32 v106, 0 :: v_dual_mov_b32 v107, 0
	s_mov_b32 s17, exec_lo
	v_cmpx_ne_u16_e32 0, v8
	s_cbranch_execz .LBB369_955
; %bb.948:                              ;   in Loop: Header=BB369_11 Depth=1
	v_bfrev_b32_e32 v107, 1
	s_mov_b32 s18, exec_lo
	v_cmpx_ne_u16_e32 0x80, v8
	s_cbranch_execz .LBB369_954
; %bb.949:                              ;   in Loop: Header=BB369_11 Depth=1
	v_and_b32_e32 v77, 0xffff, v8
	v_mov_b32_e32 v107, 0x7fc02000
	s_mov_b32 s19, exec_lo
	s_delay_alu instid0(VALU_DEP_2) | instskip(NEXT) | instid1(VALU_DEP_1)
	v_and_b32_e32 v154, 0x7f, v77
	v_cmpx_ne_u32_e32 0x7f, v154
	s_cbranch_execz .LBB369_953
; %bb.950:                              ;   in Loop: Header=BB369_11 Depth=1
	v_and_b32_e32 v8, 7, v77
	v_lshrrev_b32_e32 v89, 3, v154
	v_mov_b32_e32 v33, v9
	s_mov_b32 s20, exec_lo
	s_delay_alu instid0(VALU_DEP_3)
	v_mov_b32_e32 v32, v8
	v_cmpx_gt_u32_e32 8, v154
; %bb.951:                              ;   in Loop: Header=BB369_11 Depth=1
	v_clz_i32_u32_e32 v32, v8
	s_delay_alu instid0(VALU_DEP_1) | instskip(NEXT) | instid1(VALU_DEP_1)
	v_min_u32_e32 v89, 32, v32
	v_subrev_nc_u32_e32 v32, 28, v89
	v_sub_nc_u32_e32 v89, 29, v89
	s_delay_alu instid0(VALU_DEP_2) | instskip(NEXT) | instid1(VALU_DEP_1)
	v_lshlrev_b64 v[32:33], v32, v[8:9]
	v_and_b32_e32 v32, 7, v32
; %bb.952:                              ;   in Loop: Header=BB369_11 Depth=1
	s_or_b32 exec_lo, exec_lo, s20
	v_lshlrev_b32_e32 v8, 8, v77
	v_lshl_add_u32 v33, v89, 10, 0x2000
	s_delay_alu instid0(VALU_DEP_1) | instskip(NEXT) | instid1(VALU_DEP_1)
	v_and_or_b32 v8, 0x8000, v8, v33
	v_lshl_or_b32 v8, v32, 7, v8
	s_delay_alu instid0(VALU_DEP_1)
	v_cvt_f32_f16_e32 v107, v8
.LBB369_953:                            ;   in Loop: Header=BB369_11 Depth=1
	s_or_b32 exec_lo, exec_lo, s19
.LBB369_954:                            ;   in Loop: Header=BB369_11 Depth=1
	s_delay_alu instid0(SALU_CYCLE_1)
	s_or_b32 exec_lo, exec_lo, s18
.LBB369_955:                            ;   in Loop: Header=BB369_11 Depth=1
	s_delay_alu instid0(SALU_CYCLE_1) | instskip(SKIP_2) | instid1(VALU_DEP_1)
	s_or_b32 exec_lo, exec_lo, s17
	v_lshrrev_b32_e32 v77, 16, v31
	s_mov_b32 s17, exec_lo
	v_and_b32_e32 v8, 0xff, v77
	s_delay_alu instid0(VALU_DEP_1)
	v_cmpx_ne_u16_e32 0, v8
	s_cbranch_execz .LBB369_963
; %bb.956:                              ;   in Loop: Header=BB369_11 Depth=1
	v_bfrev_b32_e32 v106, 1
	s_mov_b32 s18, exec_lo
	v_cmpx_ne_u16_e32 0x80, v8
	s_cbranch_execz .LBB369_962
; %bb.957:                              ;   in Loop: Header=BB369_11 Depth=1
	v_bfe_u32 v154, v31, 16, 7
	v_mov_b32_e32 v106, 0x7fc02000
	s_mov_b32 s19, exec_lo
	s_delay_alu instid0(VALU_DEP_2)
	v_cmpx_ne_u32_e32 0x7f, v154
	s_cbranch_execz .LBB369_961
; %bb.958:                              ;   in Loop: Header=BB369_11 Depth=1
	v_and_b32_e32 v8, 7, v77
	v_lshrrev_b32_e32 v89, 3, v154
	v_mov_b32_e32 v33, v9
	s_mov_b32 s20, exec_lo
	s_delay_alu instid0(VALU_DEP_3)
	v_mov_b32_e32 v32, v8
	v_cmpx_gt_u32_e32 8, v154
; %bb.959:                              ;   in Loop: Header=BB369_11 Depth=1
	v_clz_i32_u32_e32 v32, v8
	s_delay_alu instid0(VALU_DEP_1) | instskip(NEXT) | instid1(VALU_DEP_1)
	v_min_u32_e32 v89, 32, v32
	v_subrev_nc_u32_e32 v32, 28, v89
	v_sub_nc_u32_e32 v89, 29, v89
	s_delay_alu instid0(VALU_DEP_2) | instskip(NEXT) | instid1(VALU_DEP_1)
	v_lshlrev_b64 v[32:33], v32, v[8:9]
	v_and_b32_e32 v32, 7, v32
; %bb.960:                              ;   in Loop: Header=BB369_11 Depth=1
	s_or_b32 exec_lo, exec_lo, s20
	v_lshlrev_b32_e32 v8, 8, v77
	v_lshl_add_u32 v33, v89, 10, 0x2000
	s_delay_alu instid0(VALU_DEP_1) | instskip(NEXT) | instid1(VALU_DEP_1)
	v_and_or_b32 v8, 0x8000, v8, v33
	v_lshl_or_b32 v8, v32, 7, v8
	s_delay_alu instid0(VALU_DEP_1)
	v_cvt_f32_f16_e32 v106, v8
.LBB369_961:                            ;   in Loop: Header=BB369_11 Depth=1
	s_or_b32 exec_lo, exec_lo, s19
.LBB369_962:                            ;   in Loop: Header=BB369_11 Depth=1
	s_delay_alu instid0(SALU_CYCLE_1)
	s_or_b32 exec_lo, exec_lo, s18
.LBB369_963:                            ;   in Loop: Header=BB369_11 Depth=1
	s_delay_alu instid0(SALU_CYCLE_1)
	s_or_b32 exec_lo, exec_lo, s17
	v_mov_b32_e32 v154, 0
	v_mov_b32_e32 v32, 0
	s_mov_b32 s17, exec_lo
	v_cmpx_lt_u64_e64 s[2:3], v[30:31]
	s_cbranch_execz .LBB369_971
; %bb.964:                              ;   in Loop: Header=BB369_11 Depth=1
	v_lshrrev_b32_e32 v33, 24, v31
	v_bfrev_b32_e32 v32, 1
	s_mov_b32 s18, exec_lo
	s_delay_alu instid0(VALU_DEP_2)
	v_cmpx_ne_u32_e32 0x80, v33
	s_cbranch_execz .LBB369_970
; %bb.965:                              ;   in Loop: Header=BB369_11 Depth=1
	v_and_b32_e32 v77, 0x7f, v33
	v_mov_b32_e32 v32, 0x7fc02000
	s_mov_b32 s19, exec_lo
	s_delay_alu instid0(VALU_DEP_2)
	v_cmpx_ne_u32_e32 0x7f, v77
	s_cbranch_execz .LBB369_969
; %bb.966:                              ;   in Loop: Header=BB369_11 Depth=1
	v_and_b32_e32 v8, 7, v33
	v_lshrrev_b32_e32 v32, 3, v77
	v_mov_b32_e32 v31, v9
	s_mov_b32 s20, exec_lo
	s_delay_alu instid0(VALU_DEP_3)
	v_mov_b32_e32 v30, v8
	v_cmpx_gt_u32_e32 8, v77
; %bb.967:                              ;   in Loop: Header=BB369_11 Depth=1
	v_clz_i32_u32_e32 v30, v8
	s_delay_alu instid0(VALU_DEP_1) | instskip(NEXT) | instid1(VALU_DEP_1)
	v_min_u32_e32 v32, 32, v30
	v_subrev_nc_u32_e32 v30, 28, v32
	v_sub_nc_u32_e32 v32, 29, v32
	s_delay_alu instid0(VALU_DEP_2) | instskip(NEXT) | instid1(VALU_DEP_1)
	v_lshlrev_b64 v[30:31], v30, v[8:9]
	v_and_b32_e32 v30, 7, v30
; %bb.968:                              ;   in Loop: Header=BB369_11 Depth=1
	s_or_b32 exec_lo, exec_lo, s20
	v_lshlrev_b32_e32 v8, 8, v33
	v_lshl_add_u32 v31, v32, 10, 0x2000
	s_delay_alu instid0(VALU_DEP_1) | instskip(NEXT) | instid1(VALU_DEP_1)
	v_and_or_b32 v8, 0x8000, v8, v31
	v_lshl_or_b32 v8, v30, 7, v8
	s_delay_alu instid0(VALU_DEP_1)
	v_cvt_f32_f16_e32 v32, v8
.LBB369_969:                            ;   in Loop: Header=BB369_11 Depth=1
	s_or_b32 exec_lo, exec_lo, s19
.LBB369_970:                            ;   in Loop: Header=BB369_11 Depth=1
	s_delay_alu instid0(SALU_CYCLE_1)
	s_or_b32 exec_lo, exec_lo, s18
.LBB369_971:                            ;   in Loop: Header=BB369_11 Depth=1
	s_delay_alu instid0(SALU_CYCLE_1) | instskip(SKIP_4) | instid1(VALU_DEP_1)
	s_or_b32 exec_lo, exec_lo, s17
	flat_load_b64 v[28:29], v[28:29] offset:3592
	s_mov_b32 s17, exec_lo
	s_waitcnt vmcnt(0) lgkmcnt(0)
	v_and_b32_e32 v8, 0xff, v28
	v_cmpx_ne_u16_e32 0, v8
	s_cbranch_execz .LBB369_979
; %bb.972:                              ;   in Loop: Header=BB369_11 Depth=1
	v_bfrev_b32_e32 v154, 1
	s_mov_b32 s18, exec_lo
	v_cmpx_ne_u16_e32 0x80, v8
	s_cbranch_execz .LBB369_978
; %bb.973:                              ;   in Loop: Header=BB369_11 Depth=1
	v_and_b32_e32 v30, 0x7f, v28
	v_mov_b32_e32 v154, 0x7fc02000
	s_mov_b32 s19, exec_lo
	s_delay_alu instid0(VALU_DEP_2)
	v_cmpx_ne_u32_e32 0x7f, v30
	s_cbranch_execz .LBB369_977
; %bb.974:                              ;   in Loop: Header=BB369_11 Depth=1
	v_lshrrev_b32_e32 v8, 3, v30
	v_cmp_gt_u32_e64 s1, 8, v30
	v_dual_mov_b32 v31, v29 :: v_dual_mov_b32 v30, v28
	s_delay_alu instid0(VALU_DEP_2)
	s_and_saveexec_b32 s20, s1
; %bb.975:                              ;   in Loop: Header=BB369_11 Depth=1
	v_and_b32_e32 v8, 7, v28
	s_delay_alu instid0(VALU_DEP_1) | instskip(NEXT) | instid1(VALU_DEP_1)
	v_clz_i32_u32_e32 v8, v8
	v_min_u32_e32 v8, 32, v8
	s_delay_alu instid0(VALU_DEP_1) | instskip(SKIP_1) | instid1(VALU_DEP_2)
	v_subrev_nc_u32_e32 v30, 28, v8
	v_sub_nc_u32_e32 v8, 29, v8
	v_lshlrev_b64 v[30:31], v30, v[28:29]
; %bb.976:                              ;   in Loop: Header=BB369_11 Depth=1
	s_or_b32 exec_lo, exec_lo, s20
	v_lshlrev_b32_e32 v31, 8, v28
	s_delay_alu instid0(VALU_DEP_3) | instskip(NEXT) | instid1(VALU_DEP_3)
	v_lshl_add_u32 v8, v8, 10, 0x2000
	v_lshlrev_b32_e32 v30, 7, v30
	s_delay_alu instid0(VALU_DEP_2) | instskip(NEXT) | instid1(VALU_DEP_1)
	v_and_or_b32 v8, 0x8000, v31, v8
	v_and_or_b32 v8, 0x380, v30, v8
	s_delay_alu instid0(VALU_DEP_1)
	v_cvt_f32_f16_e64 v154, v8
.LBB369_977:                            ;   in Loop: Header=BB369_11 Depth=1
	s_or_b32 exec_lo, exec_lo, s19
.LBB369_978:                            ;   in Loop: Header=BB369_11 Depth=1
	s_delay_alu instid0(SALU_CYCLE_1)
	s_or_b32 exec_lo, exec_lo, s18
.LBB369_979:                            ;   in Loop: Header=BB369_11 Depth=1
	s_delay_alu instid0(SALU_CYCLE_1) | instskip(SKIP_3) | instid1(VALU_DEP_2)
	s_or_b32 exec_lo, exec_lo, s17
	v_lshrrev_b16 v8, 8, v28
	v_dual_mov_b32 v155, 0 :: v_dual_mov_b32 v156, 0
	s_mov_b32 s17, exec_lo
	v_cmpx_ne_u16_e32 0, v8
	s_cbranch_execz .LBB369_987
; %bb.980:                              ;   in Loop: Header=BB369_11 Depth=1
	v_bfrev_b32_e32 v156, 1
	s_mov_b32 s18, exec_lo
	v_cmpx_ne_u16_e32 0x80, v8
	s_cbranch_execz .LBB369_986
; %bb.981:                              ;   in Loop: Header=BB369_11 Depth=1
	v_and_b32_e32 v33, 0xffff, v8
	v_mov_b32_e32 v156, 0x7fc02000
	s_mov_b32 s19, exec_lo
	s_delay_alu instid0(VALU_DEP_2) | instskip(NEXT) | instid1(VALU_DEP_1)
	v_and_b32_e32 v89, 0x7f, v33
	v_cmpx_ne_u32_e32 0x7f, v89
	s_cbranch_execz .LBB369_985
; %bb.982:                              ;   in Loop: Header=BB369_11 Depth=1
	v_and_b32_e32 v8, 7, v33
	v_lshrrev_b32_e32 v77, 3, v89
	v_mov_b32_e32 v31, v9
	s_mov_b32 s20, exec_lo
	s_delay_alu instid0(VALU_DEP_3)
	v_mov_b32_e32 v30, v8
	v_cmpx_gt_u32_e32 8, v89
; %bb.983:                              ;   in Loop: Header=BB369_11 Depth=1
	v_clz_i32_u32_e32 v30, v8
	s_delay_alu instid0(VALU_DEP_1) | instskip(NEXT) | instid1(VALU_DEP_1)
	v_min_u32_e32 v77, 32, v30
	v_subrev_nc_u32_e32 v30, 28, v77
	v_sub_nc_u32_e32 v77, 29, v77
	s_delay_alu instid0(VALU_DEP_2) | instskip(NEXT) | instid1(VALU_DEP_1)
	v_lshlrev_b64 v[30:31], v30, v[8:9]
	v_and_b32_e32 v30, 7, v30
; %bb.984:                              ;   in Loop: Header=BB369_11 Depth=1
	s_or_b32 exec_lo, exec_lo, s20
	v_lshlrev_b32_e32 v8, 8, v33
	v_lshl_add_u32 v31, v77, 10, 0x2000
	s_delay_alu instid0(VALU_DEP_1) | instskip(NEXT) | instid1(VALU_DEP_1)
	v_and_or_b32 v8, 0x8000, v8, v31
	v_lshl_or_b32 v8, v30, 7, v8
	s_delay_alu instid0(VALU_DEP_1)
	v_cvt_f32_f16_e64 v156, v8
.LBB369_985:                            ;   in Loop: Header=BB369_11 Depth=1
	s_or_b32 exec_lo, exec_lo, s19
.LBB369_986:                            ;   in Loop: Header=BB369_11 Depth=1
	s_delay_alu instid0(SALU_CYCLE_1)
	s_or_b32 exec_lo, exec_lo, s18
.LBB369_987:                            ;   in Loop: Header=BB369_11 Depth=1
	s_delay_alu instid0(SALU_CYCLE_1) | instskip(SKIP_2) | instid1(VALU_DEP_1)
	s_or_b32 exec_lo, exec_lo, s17
	v_lshrrev_b32_e32 v33, 16, v28
	s_mov_b32 s17, exec_lo
	v_and_b32_e32 v8, 0xff, v33
	s_delay_alu instid0(VALU_DEP_1)
	v_cmpx_ne_u16_e32 0, v8
	s_cbranch_execz .LBB369_995
; %bb.988:                              ;   in Loop: Header=BB369_11 Depth=1
	v_bfrev_b32_e32 v155, 1
	s_mov_b32 s18, exec_lo
	v_cmpx_ne_u16_e32 0x80, v8
	s_cbranch_execz .LBB369_994
; %bb.989:                              ;   in Loop: Header=BB369_11 Depth=1
	v_bfe_u32 v89, v28, 16, 7
	v_mov_b32_e32 v155, 0x7fc02000
	s_mov_b32 s19, exec_lo
	s_delay_alu instid0(VALU_DEP_2)
	v_cmpx_ne_u32_e32 0x7f, v89
	s_cbranch_execz .LBB369_993
; %bb.990:                              ;   in Loop: Header=BB369_11 Depth=1
	v_and_b32_e32 v8, 7, v33
	v_lshrrev_b32_e32 v77, 3, v89
	v_mov_b32_e32 v31, v9
	s_mov_b32 s20, exec_lo
	s_delay_alu instid0(VALU_DEP_3)
	v_mov_b32_e32 v30, v8
	v_cmpx_gt_u32_e32 8, v89
; %bb.991:                              ;   in Loop: Header=BB369_11 Depth=1
	v_clz_i32_u32_e32 v30, v8
	s_delay_alu instid0(VALU_DEP_1) | instskip(NEXT) | instid1(VALU_DEP_1)
	v_min_u32_e32 v77, 32, v30
	v_subrev_nc_u32_e32 v30, 28, v77
	v_sub_nc_u32_e32 v77, 29, v77
	s_delay_alu instid0(VALU_DEP_2) | instskip(NEXT) | instid1(VALU_DEP_1)
	v_lshlrev_b64 v[30:31], v30, v[8:9]
	v_and_b32_e32 v30, 7, v30
; %bb.992:                              ;   in Loop: Header=BB369_11 Depth=1
	s_or_b32 exec_lo, exec_lo, s20
	v_lshlrev_b32_e32 v8, 8, v33
	v_lshl_add_u32 v31, v77, 10, 0x2000
	s_delay_alu instid0(VALU_DEP_1) | instskip(NEXT) | instid1(VALU_DEP_1)
	v_and_or_b32 v8, 0x8000, v8, v31
	v_lshl_or_b32 v8, v30, 7, v8
	s_delay_alu instid0(VALU_DEP_1)
	v_cvt_f32_f16_e64 v155, v8
.LBB369_993:                            ;   in Loop: Header=BB369_11 Depth=1
	s_or_b32 exec_lo, exec_lo, s19
.LBB369_994:                            ;   in Loop: Header=BB369_11 Depth=1
	s_delay_alu instid0(SALU_CYCLE_1)
	s_or_b32 exec_lo, exec_lo, s18
.LBB369_995:                            ;   in Loop: Header=BB369_11 Depth=1
	s_delay_alu instid0(SALU_CYCLE_1)
	s_or_b32 exec_lo, exec_lo, s17
	v_dual_mov_b32 v157, 0 :: v_dual_mov_b32 v158, 0
	s_mov_b32 s17, exec_lo
	v_cmpx_lt_u32_e32 0xffffff, v28
	s_cbranch_execz .LBB369_1003
; %bb.996:                              ;   in Loop: Header=BB369_11 Depth=1
	v_lshrrev_b32_e32 v33, 24, v28
	v_bfrev_b32_e32 v158, 1
	s_mov_b32 s18, exec_lo
	s_delay_alu instid0(VALU_DEP_2)
	v_cmpx_ne_u32_e32 0x80, v33
	s_cbranch_execz .LBB369_1002
; %bb.997:                              ;   in Loop: Header=BB369_11 Depth=1
	v_and_b32_e32 v89, 0x7f, v33
	v_mov_b32_e32 v158, 0x7fc02000
	s_mov_b32 s19, exec_lo
	s_delay_alu instid0(VALU_DEP_2)
	v_cmpx_ne_u32_e32 0x7f, v89
	s_cbranch_execz .LBB369_1001
; %bb.998:                              ;   in Loop: Header=BB369_11 Depth=1
	v_and_b32_e32 v8, 7, v33
	v_lshrrev_b32_e32 v77, 3, v89
	v_mov_b32_e32 v31, v9
	s_mov_b32 s20, exec_lo
	s_delay_alu instid0(VALU_DEP_3)
	v_mov_b32_e32 v30, v8
	v_cmpx_gt_u32_e32 8, v89
; %bb.999:                              ;   in Loop: Header=BB369_11 Depth=1
	v_clz_i32_u32_e32 v30, v8
	s_delay_alu instid0(VALU_DEP_1) | instskip(NEXT) | instid1(VALU_DEP_1)
	v_min_u32_e32 v77, 32, v30
	v_subrev_nc_u32_e32 v30, 28, v77
	v_sub_nc_u32_e32 v77, 29, v77
	s_delay_alu instid0(VALU_DEP_2) | instskip(NEXT) | instid1(VALU_DEP_1)
	v_lshlrev_b64 v[30:31], v30, v[8:9]
	v_and_b32_e32 v30, 7, v30
; %bb.1000:                             ;   in Loop: Header=BB369_11 Depth=1
	s_or_b32 exec_lo, exec_lo, s20
	v_lshlrev_b32_e32 v8, 8, v33
	v_lshl_add_u32 v31, v77, 10, 0x2000
	s_delay_alu instid0(VALU_DEP_1) | instskip(NEXT) | instid1(VALU_DEP_1)
	v_and_or_b32 v8, 0x8000, v8, v31
	v_lshl_or_b32 v8, v30, 7, v8
	s_delay_alu instid0(VALU_DEP_1)
	v_cvt_f32_f16_e64 v158, v8
.LBB369_1001:                           ;   in Loop: Header=BB369_11 Depth=1
	s_or_b32 exec_lo, exec_lo, s19
.LBB369_1002:                           ;   in Loop: Header=BB369_11 Depth=1
	s_delay_alu instid0(SALU_CYCLE_1)
	s_or_b32 exec_lo, exec_lo, s18
.LBB369_1003:                           ;   in Loop: Header=BB369_11 Depth=1
	s_delay_alu instid0(SALU_CYCLE_1) | instskip(SKIP_3) | instid1(VALU_DEP_2)
	s_or_b32 exec_lo, exec_lo, s17
	v_and_b32_e32 v30, 0xff, v29
	v_mov_b32_e32 v8, v29
	s_mov_b32 s17, exec_lo
	v_cmpx_ne_u16_e32 0, v30
	s_cbranch_execz .LBB369_1011
; %bb.1004:                             ;   in Loop: Header=BB369_11 Depth=1
	v_bfrev_b32_e32 v157, 1
	s_mov_b32 s18, exec_lo
	v_cmpx_ne_u16_e32 0x80, v30
	s_cbranch_execz .LBB369_1010
; %bb.1005:                             ;   in Loop: Header=BB369_11 Depth=1
	v_and_b32_e32 v33, 0x7f, v29
	v_mov_b32_e32 v157, 0x7fc02000
	s_mov_b32 s19, exec_lo
	s_delay_alu instid0(VALU_DEP_2)
	v_cmpx_ne_u32_e32 0x7f, v33
	s_cbranch_execz .LBB369_1009
; %bb.1006:                             ;   in Loop: Header=BB369_11 Depth=1
	v_dual_mov_b32 v31, v9 :: v_dual_mov_b32 v30, v8
	v_lshrrev_b32_e32 v31, 3, v33
	s_mov_b32 s20, exec_lo
	v_cmpx_gt_u32_e32 8, v33
; %bb.1007:                             ;   in Loop: Header=BB369_11 Depth=1
	v_and_b32_e32 v30, 7, v29
	s_delay_alu instid0(VALU_DEP_1) | instskip(NEXT) | instid1(VALU_DEP_1)
	v_clz_i32_u32_e32 v30, v30
	v_min_u32_e32 v33, 32, v30
	s_delay_alu instid0(VALU_DEP_1) | instskip(NEXT) | instid1(VALU_DEP_1)
	v_subrev_nc_u32_e32 v30, 28, v33
	v_lshlrev_b64 v[30:31], v30, v[8:9]
	v_sub_nc_u32_e32 v31, 29, v33
; %bb.1008:                             ;   in Loop: Header=BB369_11 Depth=1
	s_or_b32 exec_lo, exec_lo, s20
	v_lshlrev_b32_e32 v33, 8, v29
	s_delay_alu instid0(VALU_DEP_2) | instskip(NEXT) | instid1(VALU_DEP_4)
	v_lshl_add_u32 v31, v31, 10, 0x2000
	v_lshlrev_b32_e32 v30, 7, v30
	s_delay_alu instid0(VALU_DEP_2) | instskip(NEXT) | instid1(VALU_DEP_1)
	v_and_or_b32 v31, 0x8000, v33, v31
	v_and_or_b32 v30, 0x380, v30, v31
	s_delay_alu instid0(VALU_DEP_1)
	v_cvt_f32_f16_e64 v157, v30
.LBB369_1009:                           ;   in Loop: Header=BB369_11 Depth=1
	s_or_b32 exec_lo, exec_lo, s19
.LBB369_1010:                           ;   in Loop: Header=BB369_11 Depth=1
	s_delay_alu instid0(SALU_CYCLE_1)
	s_or_b32 exec_lo, exec_lo, s18
.LBB369_1011:                           ;   in Loop: Header=BB369_11 Depth=1
	s_delay_alu instid0(SALU_CYCLE_1) | instskip(SKIP_3) | instid1(VALU_DEP_2)
	s_or_b32 exec_lo, exec_lo, s17
	v_lshrrev_b16 v8, 8, v8
	v_dual_mov_b32 v169, 0 :: v_dual_mov_b32 v170, 0
	s_mov_b32 s17, exec_lo
	v_cmpx_ne_u16_e32 0, v8
	s_cbranch_execz .LBB369_1019
; %bb.1012:                             ;   in Loop: Header=BB369_11 Depth=1
	v_bfrev_b32_e32 v170, 1
	s_mov_b32 s18, exec_lo
	v_cmpx_ne_u16_e32 0x80, v8
	s_cbranch_execz .LBB369_1018
; %bb.1013:                             ;   in Loop: Header=BB369_11 Depth=1
	v_and_b32_e32 v33, 0xffff, v8
	v_mov_b32_e32 v170, 0x7fc02000
	s_mov_b32 s19, exec_lo
	s_delay_alu instid0(VALU_DEP_2) | instskip(NEXT) | instid1(VALU_DEP_1)
	v_and_b32_e32 v89, 0x7f, v33
	v_cmpx_ne_u32_e32 0x7f, v89
	s_cbranch_execz .LBB369_1017
; %bb.1014:                             ;   in Loop: Header=BB369_11 Depth=1
	v_and_b32_e32 v8, 7, v33
	v_lshrrev_b32_e32 v77, 3, v89
	v_mov_b32_e32 v31, v9
	s_mov_b32 s20, exec_lo
	s_delay_alu instid0(VALU_DEP_3)
	v_mov_b32_e32 v30, v8
	v_cmpx_gt_u32_e32 8, v89
; %bb.1015:                             ;   in Loop: Header=BB369_11 Depth=1
	v_clz_i32_u32_e32 v30, v8
	s_delay_alu instid0(VALU_DEP_1) | instskip(NEXT) | instid1(VALU_DEP_1)
	v_min_u32_e32 v77, 32, v30
	v_subrev_nc_u32_e32 v30, 28, v77
	v_sub_nc_u32_e32 v77, 29, v77
	s_delay_alu instid0(VALU_DEP_2) | instskip(NEXT) | instid1(VALU_DEP_1)
	v_lshlrev_b64 v[30:31], v30, v[8:9]
	v_and_b32_e32 v30, 7, v30
; %bb.1016:                             ;   in Loop: Header=BB369_11 Depth=1
	s_or_b32 exec_lo, exec_lo, s20
	v_lshlrev_b32_e32 v8, 8, v33
	v_lshl_add_u32 v31, v77, 10, 0x2000
	s_delay_alu instid0(VALU_DEP_1) | instskip(NEXT) | instid1(VALU_DEP_1)
	v_and_or_b32 v8, 0x8000, v8, v31
	v_lshl_or_b32 v8, v30, 7, v8
	s_delay_alu instid0(VALU_DEP_1)
	v_cvt_f32_f16_e64 v170, v8
.LBB369_1017:                           ;   in Loop: Header=BB369_11 Depth=1
	s_or_b32 exec_lo, exec_lo, s19
.LBB369_1018:                           ;   in Loop: Header=BB369_11 Depth=1
	s_delay_alu instid0(SALU_CYCLE_1)
	s_or_b32 exec_lo, exec_lo, s18
.LBB369_1019:                           ;   in Loop: Header=BB369_11 Depth=1
	s_delay_alu instid0(SALU_CYCLE_1) | instskip(SKIP_2) | instid1(VALU_DEP_1)
	s_or_b32 exec_lo, exec_lo, s17
	v_lshrrev_b32_e32 v33, 16, v29
	s_mov_b32 s17, exec_lo
	v_and_b32_e32 v8, 0xff, v33
	s_delay_alu instid0(VALU_DEP_1)
	v_cmpx_ne_u16_e32 0, v8
	s_cbranch_execz .LBB369_1027
; %bb.1020:                             ;   in Loop: Header=BB369_11 Depth=1
	v_bfrev_b32_e32 v169, 1
	s_mov_b32 s18, exec_lo
	v_cmpx_ne_u16_e32 0x80, v8
	s_cbranch_execz .LBB369_1026
; %bb.1021:                             ;   in Loop: Header=BB369_11 Depth=1
	v_bfe_u32 v89, v29, 16, 7
	v_mov_b32_e32 v169, 0x7fc02000
	s_mov_b32 s19, exec_lo
	s_delay_alu instid0(VALU_DEP_2)
	v_cmpx_ne_u32_e32 0x7f, v89
	s_cbranch_execz .LBB369_1025
; %bb.1022:                             ;   in Loop: Header=BB369_11 Depth=1
	v_and_b32_e32 v8, 7, v33
	v_lshrrev_b32_e32 v77, 3, v89
	v_mov_b32_e32 v31, v9
	s_mov_b32 s20, exec_lo
	s_delay_alu instid0(VALU_DEP_3)
	v_mov_b32_e32 v30, v8
	v_cmpx_gt_u32_e32 8, v89
; %bb.1023:                             ;   in Loop: Header=BB369_11 Depth=1
	v_clz_i32_u32_e32 v30, v8
	s_delay_alu instid0(VALU_DEP_1) | instskip(NEXT) | instid1(VALU_DEP_1)
	v_min_u32_e32 v77, 32, v30
	v_subrev_nc_u32_e32 v30, 28, v77
	v_sub_nc_u32_e32 v77, 29, v77
	s_delay_alu instid0(VALU_DEP_2) | instskip(NEXT) | instid1(VALU_DEP_1)
	v_lshlrev_b64 v[30:31], v30, v[8:9]
	v_and_b32_e32 v30, 7, v30
; %bb.1024:                             ;   in Loop: Header=BB369_11 Depth=1
	s_or_b32 exec_lo, exec_lo, s20
	v_lshlrev_b32_e32 v8, 8, v33
	v_lshl_add_u32 v31, v77, 10, 0x2000
	s_delay_alu instid0(VALU_DEP_1) | instskip(NEXT) | instid1(VALU_DEP_1)
	v_and_or_b32 v8, 0x8000, v8, v31
	v_lshl_or_b32 v8, v30, 7, v8
	s_delay_alu instid0(VALU_DEP_1)
	v_cvt_f32_f16_e64 v169, v8
.LBB369_1025:                           ;   in Loop: Header=BB369_11 Depth=1
	s_or_b32 exec_lo, exec_lo, s19
.LBB369_1026:                           ;   in Loop: Header=BB369_11 Depth=1
	s_delay_alu instid0(SALU_CYCLE_1)
	s_or_b32 exec_lo, exec_lo, s18
.LBB369_1027:                           ;   in Loop: Header=BB369_11 Depth=1
	s_delay_alu instid0(SALU_CYCLE_1) | instskip(SKIP_2) | instid1(VALU_DEP_2)
	s_or_b32 exec_lo, exec_lo, s17
	v_cmp_lt_u64_e64 s1, s[2:3], v[28:29]
	v_mov_b32_e32 v28, 0
	s_and_saveexec_b32 s17, s1
	s_cbranch_execz .LBB369_10
; %bb.1028:                             ;   in Loop: Header=BB369_11 Depth=1
	v_lshrrev_b32_e32 v30, 24, v29
	v_bfrev_b32_e32 v28, 1
	s_mov_b32 s18, exec_lo
	s_delay_alu instid0(VALU_DEP_2)
	v_cmpx_ne_u32_e32 0x80, v30
	s_cbranch_execz .LBB369_9
; %bb.1029:                             ;   in Loop: Header=BB369_11 Depth=1
	v_and_b32_e32 v33, 0x7f, v30
	v_mov_b32_e32 v28, 0x7fc02000
	s_mov_b32 s19, exec_lo
	s_delay_alu instid0(VALU_DEP_2)
	v_cmpx_ne_u32_e32 0x7f, v33
	s_cbranch_execz .LBB369_8
; %bb.1030:                             ;   in Loop: Header=BB369_11 Depth=1
	v_and_b32_e32 v8, 7, v30
	v_lshrrev_b32_e32 v31, 3, v33
	v_mov_b32_e32 v29, v9
	s_mov_b32 s20, exec_lo
	s_delay_alu instid0(VALU_DEP_3)
	v_mov_b32_e32 v28, v8
	v_cmpx_gt_u32_e32 8, v33
	s_cbranch_execz .LBB369_7
; %bb.1031:                             ;   in Loop: Header=BB369_11 Depth=1
	v_clz_i32_u32_e32 v28, v8
	s_delay_alu instid0(VALU_DEP_1) | instskip(NEXT) | instid1(VALU_DEP_1)
	v_min_u32_e32 v31, 32, v28
	v_subrev_nc_u32_e32 v28, 28, v31
	v_sub_nc_u32_e32 v31, 29, v31
	s_delay_alu instid0(VALU_DEP_2) | instskip(NEXT) | instid1(VALU_DEP_1)
	v_lshlrev_b64 v[28:29], v28, v[8:9]
	v_and_b32_e32 v28, 7, v28
	s_branch .LBB369_7
.LBB369_1032:
	s_or_b32 exec_lo, exec_lo, s7
.LBB369_1033:
	s_delay_alu instid0(SALU_CYCLE_1) | instskip(SKIP_2) | instid1(VALU_DEP_1)
	s_or_b32 exec_lo, exec_lo, s9
	v_mbcnt_lo_u32_b32 v8, -1, 0
	s_lshr_b32 s9, s13, 16
	v_xor_b32_e32 v9, 16, v8
	v_xor_b32_e32 v18, 8, v8
	;; [unrolled: 1-line block ×3, first 2 shown]
	s_delay_alu instid0(VALU_DEP_3) | instskip(SKIP_1) | instid1(VALU_DEP_4)
	v_cmp_gt_i32_e32 vcc_lo, 32, v9
	v_cndmask_b32_e32 v9, v8, v9, vcc_lo
	v_cmp_gt_i32_e32 vcc_lo, 32, v18
	v_dual_max_f32 v19, v51, v51 :: v_dual_cndmask_b32 v18, v8, v18
	s_delay_alu instid0(VALU_DEP_1) | instskip(NEXT) | instid1(VALU_DEP_4)
	v_lshlrev_b32_e32 v20, 2, v18
	v_lshlrev_b32_e32 v13, 2, v9
	ds_bpermute_b32 v9, v13, v51
	s_waitcnt lgkmcnt(0)
	v_max_f32_e32 v9, v9, v9
	s_delay_alu instid0(VALU_DEP_1) | instskip(SKIP_4) | instid1(VALU_DEP_1)
	v_max_f32_e32 v9, v19, v9
	v_xor_b32_e32 v19, 4, v8
	ds_bpermute_b32 v18, v20, v9
	v_cmp_gt_i32_e32 vcc_lo, 32, v19
	v_cndmask_b32_e32 v19, v8, v19, vcc_lo
	v_lshlrev_b32_e32 v21, 2, v19
	v_xor_b32_e32 v19, 2, v8
	s_delay_alu instid0(VALU_DEP_1) | instskip(SKIP_3) | instid1(VALU_DEP_2)
	v_cmp_gt_i32_e32 vcc_lo, 32, v19
	s_waitcnt lgkmcnt(0)
	v_dual_max_f32 v18, v18, v18 :: v_dual_cndmask_b32 v19, v8, v19
	v_cmp_gt_i32_e32 vcc_lo, 32, v24
	v_dual_cndmask_b32 v24, v8, v24 :: v_dual_lshlrev_b32 v19, 2, v19
	s_delay_alu instid0(VALU_DEP_3) | instskip(SKIP_4) | instid1(VALU_DEP_1)
	v_max_f32_e32 v9, v9, v18
	v_cmp_eq_u32_e32 vcc_lo, 0, v37
	ds_bpermute_b32 v18, v21, v9
	s_waitcnt lgkmcnt(0)
	v_max_f32_e32 v18, v18, v18
	v_max_f32_e32 v9, v9, v18
	ds_bpermute_b32 v18, v19, v9
	s_waitcnt lgkmcnt(0)
	v_max_f32_e32 v18, v18, v18
	s_delay_alu instid0(VALU_DEP_1)
	v_max_f32_e32 v8, v9, v18
	v_lshlrev_b32_e32 v18, 2, v24
	v_lshlrev_b32_e32 v24, 2, v35
	ds_bpermute_b32 v9, v18, v8
	s_and_saveexec_b32 s1, vcc_lo
	s_cbranch_execz .LBB369_1035
; %bb.1034:
	s_waitcnt lgkmcnt(0)
	v_dual_max_f32 v9, v9, v9 :: v_dual_max_f32 v8, v8, v8
	s_delay_alu instid0(VALU_DEP_1)
	v_max_f32_e32 v8, v8, v9
	ds_store_b32 v24, v8 offset:256
.LBB369_1035:
	s_or_b32 exec_lo, exec_lo, s1
	v_cmp_gt_u32_e64 s1, 4, v37
	v_mov_b32_e32 v8, 0xff7fffff
	s_waitcnt lgkmcnt(0)
	s_barrier
	buffer_gl0_inv
	s_and_saveexec_b32 s2, s1
	s_cbranch_execz .LBB369_1037
; %bb.1036:
	ds_load_b32 v8, v49 offset:256
.LBB369_1037:
	s_or_b32 exec_lo, exec_lo, s2
	s_waitcnt lgkmcnt(0)
	ds_bpermute_b32 v9, v19, v8
	v_max_f32_e32 v8, v8, v8
	v_subrev_nc_u32_e32 v28, s8, v23
	v_mov_b32_e32 v25, 0
	s_waitcnt lgkmcnt(0)
	v_max_f32_e32 v9, v9, v9
	s_delay_alu instid0(VALU_DEP_1) | instskip(SKIP_3) | instid1(VALU_DEP_1)
	v_max_f32_e32 v8, v8, v9
	ds_bpermute_b32 v9, v18, v8
	s_waitcnt lgkmcnt(0)
	v_max_f32_e32 v9, v9, v9
	v_max_f32_e32 v8, v8, v9
	v_lshl_add_u32 v9, v28, 5, s16
	ds_bpermute_b32 v8, v25, v8
	v_min_i32_e32 v9, v9, v36
	s_delay_alu instid0(VALU_DEP_1) | instskip(NEXT) | instid1(VALU_DEP_1)
	v_subrev_nc_u32_e32 v9, s16, v9
	v_cmp_lt_i32_e64 s2, v34, v9
	s_delay_alu instid0(VALU_DEP_1)
	s_and_saveexec_b32 s8, s2
	s_cbranch_execz .LBB369_1041
; %bb.1038:
	s_getpc_b64 s[18:19]
	s_add_u32 s18, s18, llvm.amdgcn.dynlds.offset.table@rel32@lo+4
	s_addc_u32 s19, s19, llvm.amdgcn.dynlds.offset.table@rel32@hi+12
	s_ashr_i32 s7, s6, 31
	v_mov_b32_e32 v25, 0
	s_lshl_b64 s[20:21], s[6:7], 2
	v_mov_b32_e32 v29, v34
	s_add_u32 s18, s20, s18
	s_addc_u32 s19, s21, s19
	s_mov_b32 s7, 0
	s_load_b32 s3, s[18:19], 0x0
	s_waitcnt lgkmcnt(0)
	v_lshl_add_u32 v28, v34, 2, s3
	.p2align	6
.LBB369_1039:                           ; =>This Inner Loop Header: Depth=1
	ds_load_b32 v30, v28
	v_add_nc_u32_e32 v29, 0x80, v29
	s_delay_alu instid0(VALU_DEP_1) | instskip(NEXT) | instid1(VALU_DEP_1)
	v_cmp_ge_i32_e64 s3, v29, v9
	s_or_b32 s7, s3, s7
	s_waitcnt lgkmcnt(0)
	v_sub_f32_e32 v30, v30, v8
	s_delay_alu instid0(VALU_DEP_1) | instskip(NEXT) | instid1(VALU_DEP_1)
	v_mul_f32_e32 v30, 0x3fb8aa3b, v30
	v_exp_f32_e32 v30, v30
	ds_store_b32 v28, v30
	v_dual_add_f32 v25, v25, v30 :: v_dual_add_nc_u32 v28, 0x200, v28
	s_and_not1_b32 exec_lo, exec_lo, s7
	s_cbranch_execnz .LBB369_1039
; %bb.1040:
	s_or_b32 exec_lo, exec_lo, s7
.LBB369_1041:
	s_delay_alu instid0(SALU_CYCLE_1)
	s_or_b32 exec_lo, exec_lo, s8
	ds_bpermute_b32 v13, v13, v25
	s_waitcnt lgkmcnt(0)
	v_add_f32_e32 v13, v25, v13
	ds_bpermute_b32 v20, v20, v13
	s_waitcnt lgkmcnt(0)
	v_add_f32_e32 v13, v13, v20
	;; [unrolled: 3-line block ×5, first 2 shown]
	s_and_saveexec_b32 s3, vcc_lo
	s_cbranch_execz .LBB369_1043
; %bb.1042:
	ds_store_b32 v24, v13 offset:272
.LBB369_1043:
	s_or_b32 exec_lo, exec_lo, s3
	s_waitcnt lgkmcnt(0)
	s_barrier
	buffer_gl0_inv
	s_and_saveexec_b32 s3, s1
	s_cbranch_execz .LBB369_1045
; %bb.1044:
	ds_load_b32 v13, v49 offset:272
.LBB369_1045:
	s_or_b32 exec_lo, exec_lo, s3
	s_waitcnt lgkmcnt(0)
	ds_bpermute_b32 v20, v19, v13
	s_waitcnt lgkmcnt(0)
	v_add_f32_e32 v13, v13, v20
	ds_bpermute_b32 v20, v18, v13
	s_waitcnt lgkmcnt(0)
	v_dual_add_f32 v13, v13, v20 :: v_dual_mov_b32 v20, 0
	ds_bpermute_b32 v13, v20, v13
	s_and_saveexec_b32 s1, s2
	s_cbranch_execz .LBB369_1048
; %bb.1046:
	s_waitcnt lgkmcnt(0)
	v_add_f32_e32 v21, 0x358637bd, v13
	s_getpc_b64 s[2:3]
	s_add_u32 s2, s2, llvm.amdgcn.dynlds.offset.table@rel32@lo+4
	s_addc_u32 s3, s3, llvm.amdgcn.dynlds.offset.table@rel32@hi+12
	s_ashr_i32 s7, s6, 31
	s_delay_alu instid0(SALU_CYCLE_1) | instskip(SKIP_4) | instid1(VALU_DEP_1)
	s_lshl_b64 s[18:19], s[6:7], 2
	v_div_scale_f32 v20, null, v21, v21, 1.0
	s_add_u32 s2, s18, s2
	s_addc_u32 s3, s19, s3
	s_load_b32 s2, s[2:3], 0x0
	v_rcp_f32_e32 v24, v20
	s_waitcnt_depctr 0xfff
	v_fma_f32 v25, -v20, v24, 1.0
	s_delay_alu instid0(VALU_DEP_1) | instskip(SKIP_1) | instid1(VALU_DEP_1)
	v_fmac_f32_e32 v24, v25, v24
	v_div_scale_f32 v28, vcc_lo, 1.0, v21, 1.0
	v_mul_f32_e32 v25, v28, v24
	s_delay_alu instid0(VALU_DEP_1) | instskip(NEXT) | instid1(VALU_DEP_1)
	v_fma_f32 v29, -v20, v25, v28
	v_fmac_f32_e32 v25, v29, v24
	s_delay_alu instid0(VALU_DEP_1) | instskip(NEXT) | instid1(VALU_DEP_1)
	v_fma_f32 v20, -v20, v25, v28
	v_div_fmas_f32 v24, v20, v24, v25
	s_waitcnt lgkmcnt(0)
	v_lshl_add_u32 v20, v34, 2, s2
	s_mov_b32 s2, 0
	s_delay_alu instid0(VALU_DEP_2)
	v_div_fixup_f32 v21, v24, v21, 1.0
	v_mov_b32_e32 v24, v34
.LBB369_1047:                           ; =>This Inner Loop Header: Depth=1
	ds_load_b32 v25, v20
	s_waitcnt lgkmcnt(0)
	v_dual_mul_f32 v25, v21, v25 :: v_dual_add_nc_u32 v24, 0x80, v24
	s_delay_alu instid0(VALU_DEP_1) | instskip(SKIP_3) | instid1(SALU_CYCLE_1)
	v_cmp_ge_i32_e32 vcc_lo, v24, v9
	ds_store_b32 v20, v25
	v_add_nc_u32_e32 v20, 0x200, v20
	s_or_b32 s2, vcc_lo, s2
	s_and_not1_b32 exec_lo, exec_lo, s2
	s_cbranch_execnz .LBB369_1047
.LBB369_1048:
	s_or_b32 exec_lo, exec_lo, s1
	v_cmp_ne_u16_e64 s1, s9, 0
	s_waitcnt lgkmcnt(0)
	s_barrier
	buffer_gl0_inv
	s_cmp_lg_u32 s1, 0
	s_addc_u32 s1, s5, 0
	s_mov_b32 s5, exec_lo
	s_mul_i32 s2, s1, s10
	s_delay_alu instid0(SALU_CYCLE_1)
	s_mul_i32 s2, s2, s15
	v_cmpx_eq_u32_e32 0, v34
	s_cbranch_execz .LBB369_1050
; %bb.1049:
	s_mul_i32 s8, s1, s12
	s_ashr_i32 s15, s14, 31
	s_ashr_i32 s9, s8, 31
	;; [unrolled: 1-line block ×3, first 2 shown]
	s_lshl_b64 s[8:9], s[8:9], 2
	s_lshl_b64 s[12:13], s[14:15], 2
	;; [unrolled: 1-line block ×3, first 2 shown]
	s_add_u32 s3, s12, s8
	s_addc_u32 s7, s13, s9
	s_add_u32 s3, s3, s18
	s_addc_u32 s7, s7, s19
	v_add_co_u32 v2, vcc_lo, s3, v2
	v_add_co_ci_u32_e32 v3, vcc_lo, s7, v3, vcc_lo
	v_add_co_u32 v0, vcc_lo, s3, v0
	v_add_co_ci_u32_e32 v1, vcc_lo, s7, v1, vcc_lo
	flat_store_b32 v[2:3], v8
	flat_store_b32 v[0:1], v13
.LBB369_1050:
	s_or_b32 exec_lo, exec_lo, s5
                                        ; implicit-def: $sgpr5
	s_and_saveexec_b32 s3, s0
	s_delay_alu instid0(SALU_CYCLE_1)
	s_xor_b32 s0, exec_lo, s3
; %bb.1051:
	s_ashr_i32 s7, s6, 31
	s_mov_b32 s5, 0
                                        ; implicit-def: $vgpr36
                                        ; implicit-def: $vgpr12
                                        ; implicit-def: $vgpr23
                                        ; implicit-def: $vgpr6
                                        ; implicit-def: $vgpr10
                                        ; implicit-def: $vgpr11
                                        ; implicit-def: $vgpr14
                                        ; implicit-def: $vgpr15
                                        ; implicit-def: $vgpr22
                                        ; implicit-def: $vgpr26_vgpr27
                                        ; implicit-def: $vgpr39
                                        ; implicit-def: $vgpr48
                                        ; implicit-def: $vgpr16_vgpr17
                                        ; implicit-def: $vgpr38
; %bb.1052:
	s_or_saveexec_b32 s3, s0
	v_dual_mov_b32 v0, s6 :: v_dual_mov_b32 v55, s5
	v_dual_mov_b32 v52, s5 :: v_dual_mov_b32 v1, s7
	v_dual_mov_b32 v53, s5 :: v_dual_and_b32 v20, 3, v34
	v_dual_mov_b32 v54, s5 :: v_dual_mov_b32 v51, s5
	v_dual_mov_b32 v50, s5 :: v_dual_mov_b32 v49, s5
	;; [unrolled: 1-line block ×6, first 2 shown]
	v_mov_b32_e32 v21, s5
	s_xor_b32 exec_lo, exec_lo, s3
	s_cbranch_execz .LBB369_2112
; %bb.1053:
	s_getpc_b64 s[8:9]
	s_add_u32 s8, s8, llvm.amdgcn.dynlds.offset.table@rel32@lo+4
	s_addc_u32 s9, s9, llvm.amdgcn.dynlds.offset.table@rel32@hi+12
	s_ashr_i32 s7, s6, 31
	v_dual_mov_b32 v1, 0 :: v_dual_lshlrev_b32 v0, 3, v34
	s_lshl_b64 s[12:13], s[6:7], 2
	v_add_co_u32 v2, vcc_lo, v10, v39
	s_add_u32 s8, s12, s8
	s_addc_u32 s9, s13, s9
	v_and_b32_e32 v9, 24, v0
	s_load_b32 s0, s[8:9], 0x0
	v_dual_mov_b32 v21, 0 :: v_dual_and_b32 v0, 0xf8, v0
	v_add_co_ci_u32_e32 v3, vcc_lo, v11, v48, vcc_lo
	v_lshlrev_b64 v[7:8], 2, v[6:7]
	s_delay_alu instid0(VALU_DEP_3) | instskip(SKIP_1) | instid1(VALU_DEP_4)
	v_add_co_u32 v2, vcc_lo, v2, v0
	v_dual_mov_b32 v25, 0 :: v_dual_lshlrev_b32 v0, 5, v20
	v_add_co_ci_u32_e32 v3, vcc_lo, 0, v3, vcc_lo
	s_delay_alu instid0(VALU_DEP_4) | instskip(SKIP_1) | instid1(VALU_DEP_4)
	v_add_co_u32 v7, vcc_lo, v16, v7
	v_add_co_ci_u32_e32 v8, vcc_lo, v17, v8, vcc_lo
	v_lshl_or_b32 v0, v35, 7, v0
	s_delay_alu instid0(VALU_DEP_3)
	v_add_co_u32 v7, vcc_lo, v14, v7
	v_dual_mov_b32 v24, 0 :: v_dual_add_nc_u32 v39, -1, v12
	v_mov_b32_e32 v48, v36
	v_add_co_ci_u32_e32 v8, vcc_lo, v15, v8, vcc_lo
	v_add3_u32 v15, s16, v38, v9
	s_waitcnt lgkmcnt(0)
	v_dual_mov_b32 v29, 0 :: v_dual_add_nc_u32 v16, s0, v0
	v_dual_mov_b32 v28, 0 :: v_dual_mov_b32 v31, 0
	v_dual_mov_b32 v30, 0 :: v_dual_mov_b32 v33, 0
	;; [unrolled: 1-line block ×6, first 2 shown]
	s_mov_b32 s8, -1
	s_mov_b32 s9, 0xffffff
	s_mov_b32 s5, 0
	s_branch .LBB369_1055
.LBB369_1054:                           ;   in Loop: Header=BB369_1055 Depth=1
	s_or_b32 exec_lo, exec_lo, s0
	v_dual_add_f32 v12, v13, v14 :: v_dual_add_f32 v13, v131, v132
	v_dual_add_f32 v14, v129, v130 :: v_dual_add_f32 v17, v119, v128
	;;#ASMSTART
	v_pk_mul_f16 v11, v80, v11;

	;;#ASMEND
	s_delay_alu instid0(VALU_DEP_2) | instskip(SKIP_3) | instid1(VALU_DEP_3)
	v_dual_add_f32 v24, v24, v12 :: v_dual_add_f32 v25, v25, v13
	v_dual_add_f32 v12, v117, v118 :: v_dual_add_f32 v13, v115, v116
	v_add_f32_e32 v38, v113, v114
	v_dual_add_f32 v28, v28, v14 :: v_dual_add_f32 v29, v29, v17
	v_dual_add_f32 v30, v30, v12 :: v_dual_add_f32 v31, v31, v13
	;; [unrolled: 1-line block ×3, first 2 shown]
	v_add_f32_e32 v17, v97, v98
	v_add_f32_e32 v32, v32, v38
	v_dual_add_f32 v38, v87, v96 :: v_dual_add_nc_u32 v15, 0x80, v15
	;;#ASMSTART
	v_pk_mul_f16 v10, v69, v10;

	;;#ASMEND
	;;#ASMSTART
	v_pk_mul_f16 v0, v67, v0;

	;;#ASMEND
	;; [unrolled: 4-line block ×3, first 2 shown]
	;;#ASMSTART
	v_pk_add_f16 v10, v11, v10;

	;;#ASMEND
	;;#ASMSTART
	v_pk_add_f16 v0, v10, v0;

	;;#ASMEND
	;;#ASMSTART
	v_pk_add_f16 v0, v0, v9;

	;;#ASMEND
	v_dual_add_f32 v10, v85, v86 :: v_dual_and_b32 v9, 0xffff, v0
	v_lshrrev_b32_e32 v0, 16, v0
	v_dual_add_f32 v11, v83, v84 :: v_dual_add_nc_u32 v6, 4, v6
	;;#ASMSTART
	v_cvt_f32_f16 v9, v9;
	;;#ASMEND
	;;#ASMSTART
	v_cvt_f32_f16 v0, v0;
	;;#ASMEND
	v_dual_add_f32 v14, v99, v100 :: v_dual_add_f32 v49, v49, v13
	v_add_f32_e32 v33, v33, v12
	v_dual_add_f32 v53, v53, v38 :: v_dual_add_f32 v12, v68, v71
	v_dual_add_f32 v0, v9, v0 :: v_dual_add_f32 v55, v55, v11
	v_cmp_ge_i32_e32 vcc_lo, v6, v23
	v_add_co_u32 v7, s0, v7, 16
	v_dual_add_f32 v50, v50, v14 :: v_dual_add_f32 v51, v51, v17
	s_delay_alu instid0(VALU_DEP_4) | instskip(SKIP_4) | instid1(SALU_CYCLE_1)
	v_dual_add_f32 v54, v54, v10 :: v_dual_add_f32 v21, v21, v0
	v_add_f32_e32 v52, v52, v12
	v_add_co_ci_u32_e64 v8, s0, 0, v8, s0
	v_add_nc_u32_e32 v16, 0x200, v16
	s_or_b32 s5, vcc_lo, s5
	s_and_not1_b32 exec_lo, exec_lo, s5
	s_cbranch_execz .LBB369_2111
.LBB369_1055:                           ; =>This Inner Loop Header: Depth=1
	flat_load_b32 v0, v[7:8]
	ds_load_2addr_b64 v[10:13], v16 offset1:1
	ds_load_2addr_b64 v[80:83], v16 offset0:2 offset1:3
	v_mov_b32_e32 v38, 0
	s_mov_b32 s0, exec_lo
	s_waitcnt lgkmcnt(1)
	;;#ASMSTART
	v_cvt_f16_f32 v66, v10;

	;;#ASMEND
	;;#ASMSTART
	v_cvt_f16_f32 v67, v11;

	;;#ASMEND
	;; [unrolled: 4-line block ×4, first 2 shown]
	s_waitcnt lgkmcnt(0)
	;;#ASMSTART
	v_cvt_f16_f32 v80, v80;

	;;#ASMEND
	;;#ASMSTART
	v_cvt_f16_f32 v71, v81;

	;;#ASMEND
	;; [unrolled: 4-line block ×4, first 2 shown]
	s_waitcnt vmcnt(0)
	v_mad_i64_i32 v[9:10], null, v0, v22, v[2:3]
	flat_load_b64 v[11:12], v[9:10]
	flat_load_b32 v17, v[26:27]
	s_waitcnt vmcnt(1) lgkmcnt(1)
	v_and_b32_e32 v0, 0xff, v11
	s_delay_alu instid0(VALU_DEP_1)
	v_cmpx_ne_u16_e32 0, v0
	s_cbranch_execz .LBB369_1063
; %bb.1056:                             ;   in Loop: Header=BB369_1055 Depth=1
	v_bfrev_b32_e32 v38, 1
	s_mov_b32 s10, exec_lo
	v_cmpx_ne_u16_e32 0x80, v0
	s_cbranch_execz .LBB369_1062
; %bb.1057:                             ;   in Loop: Header=BB369_1055 Depth=1
	v_and_b32_e32 v13, 0x7f, v11
	v_mov_b32_e32 v38, 0x7fc02000
	s_mov_b32 s12, exec_lo
	s_delay_alu instid0(VALU_DEP_2)
	v_cmpx_ne_u32_e32 0x7f, v13
	s_cbranch_execz .LBB369_1061
; %bb.1058:                             ;   in Loop: Header=BB369_1055 Depth=1
	v_lshrrev_b32_e32 v0, 3, v13
	v_cmp_gt_u32_e32 vcc_lo, 8, v13
	v_dual_mov_b32 v14, v12 :: v_dual_mov_b32 v13, v11
	s_and_saveexec_b32 s13, vcc_lo
; %bb.1059:                             ;   in Loop: Header=BB369_1055 Depth=1
	v_and_b32_e32 v0, 7, v11
	s_delay_alu instid0(VALU_DEP_1) | instskip(NEXT) | instid1(VALU_DEP_1)
	v_clz_i32_u32_e32 v0, v0
	v_min_u32_e32 v0, 32, v0
	s_delay_alu instid0(VALU_DEP_1) | instskip(SKIP_1) | instid1(VALU_DEP_2)
	v_subrev_nc_u32_e32 v13, 28, v0
	v_sub_nc_u32_e32 v0, 29, v0
	v_lshlrev_b64 v[13:14], v13, v[11:12]
; %bb.1060:                             ;   in Loop: Header=BB369_1055 Depth=1
	s_or_b32 exec_lo, exec_lo, s13
	v_lshlrev_b32_e32 v14, 8, v11
	s_delay_alu instid0(VALU_DEP_3) | instskip(NEXT) | instid1(VALU_DEP_3)
	v_lshl_add_u32 v0, v0, 10, 0x2000
	v_lshlrev_b32_e32 v13, 7, v13
	s_delay_alu instid0(VALU_DEP_2) | instskip(NEXT) | instid1(VALU_DEP_1)
	v_and_or_b32 v0, 0x8000, v14, v0
	v_and_or_b32 v0, 0x380, v13, v0
	s_delay_alu instid0(VALU_DEP_1)
	v_cvt_f32_f16_e32 v38, v0
.LBB369_1061:                           ;   in Loop: Header=BB369_1055 Depth=1
	s_or_b32 exec_lo, exec_lo, s12
.LBB369_1062:                           ;   in Loop: Header=BB369_1055 Depth=1
	s_delay_alu instid0(SALU_CYCLE_1)
	s_or_b32 exec_lo, exec_lo, s10
.LBB369_1063:                           ;   in Loop: Header=BB369_1055 Depth=1
	s_delay_alu instid0(SALU_CYCLE_1) | instskip(SKIP_3) | instid1(VALU_DEP_2)
	s_or_b32 exec_lo, exec_lo, s0
	v_lshrrev_b16 v0, 8, v11
	v_dual_mov_b32 v65, 0 :: v_dual_mov_b32 v64, 0
	s_mov_b32 s0, exec_lo
	v_cmpx_ne_u16_e32 0, v0
	s_cbranch_execz .LBB369_1071
; %bb.1064:                             ;   in Loop: Header=BB369_1055 Depth=1
	v_bfrev_b32_e32 v64, 1
	s_mov_b32 s10, exec_lo
	v_cmpx_ne_u16_e32 0x80, v0
	s_cbranch_execz .LBB369_1070
; %bb.1065:                             ;   in Loop: Header=BB369_1055 Depth=1
	v_and_b32_e32 v70, 0xffff, v0
	v_mov_b32_e32 v64, 0x7fc02000
	s_mov_b32 s12, exec_lo
	s_delay_alu instid0(VALU_DEP_2) | instskip(NEXT) | instid1(VALU_DEP_1)
	v_and_b32_e32 v13, 0x7f, v70
	v_cmpx_ne_u32_e32 0x7f, v13
	s_cbranch_execz .LBB369_1069
; %bb.1066:                             ;   in Loop: Header=BB369_1055 Depth=1
	v_and_b32_e32 v0, 7, v70
	v_lshrrev_b32_e32 v64, 3, v13
	v_cmp_gt_u32_e32 vcc_lo, 8, v13
	s_delay_alu instid0(VALU_DEP_3)
	v_dual_mov_b32 v14, v1 :: v_dual_mov_b32 v13, v0
	s_and_saveexec_b32 s13, vcc_lo
; %bb.1067:                             ;   in Loop: Header=BB369_1055 Depth=1
	v_clz_i32_u32_e32 v13, v0
	s_delay_alu instid0(VALU_DEP_1) | instskip(NEXT) | instid1(VALU_DEP_1)
	v_min_u32_e32 v64, 32, v13
	v_subrev_nc_u32_e32 v13, 28, v64
	v_sub_nc_u32_e32 v64, 29, v64
	s_delay_alu instid0(VALU_DEP_2) | instskip(NEXT) | instid1(VALU_DEP_1)
	v_lshlrev_b64 v[13:14], v13, v[0:1]
	v_and_b32_e32 v13, 7, v13
; %bb.1068:                             ;   in Loop: Header=BB369_1055 Depth=1
	s_or_b32 exec_lo, exec_lo, s13
	v_lshlrev_b32_e32 v0, 8, v70
	v_lshl_add_u32 v14, v64, 10, 0x2000
	s_delay_alu instid0(VALU_DEP_1) | instskip(NEXT) | instid1(VALU_DEP_1)
	v_and_or_b32 v0, 0x8000, v0, v14
	v_lshl_or_b32 v0, v13, 7, v0
	s_delay_alu instid0(VALU_DEP_1)
	v_cvt_f32_f16_e32 v64, v0
.LBB369_1069:                           ;   in Loop: Header=BB369_1055 Depth=1
	s_or_b32 exec_lo, exec_lo, s12
.LBB369_1070:                           ;   in Loop: Header=BB369_1055 Depth=1
	s_delay_alu instid0(SALU_CYCLE_1)
	s_or_b32 exec_lo, exec_lo, s10
.LBB369_1071:                           ;   in Loop: Header=BB369_1055 Depth=1
	s_delay_alu instid0(SALU_CYCLE_1) | instskip(SKIP_2) | instid1(VALU_DEP_1)
	s_or_b32 exec_lo, exec_lo, s0
	v_lshrrev_b32_e32 v70, 16, v11
	s_mov_b32 s0, exec_lo
	v_and_b32_e32 v0, 0xff, v70
	s_delay_alu instid0(VALU_DEP_1)
	v_cmpx_ne_u16_e32 0, v0
	s_cbranch_execz .LBB369_1079
; %bb.1072:                             ;   in Loop: Header=BB369_1055 Depth=1
	v_bfrev_b32_e32 v65, 1
	s_mov_b32 s10, exec_lo
	v_cmpx_ne_u16_e32 0x80, v0
	s_cbranch_execz .LBB369_1078
; %bb.1073:                             ;   in Loop: Header=BB369_1055 Depth=1
	v_bfe_u32 v13, v11, 16, 7
	v_mov_b32_e32 v65, 0x7fc02000
	s_mov_b32 s12, exec_lo
	s_delay_alu instid0(VALU_DEP_2)
	v_cmpx_ne_u32_e32 0x7f, v13
	s_cbranch_execz .LBB369_1077
; %bb.1074:                             ;   in Loop: Header=BB369_1055 Depth=1
	v_and_b32_e32 v0, 7, v70
	v_lshrrev_b32_e32 v65, 3, v13
	v_cmp_gt_u32_e32 vcc_lo, 8, v13
	s_delay_alu instid0(VALU_DEP_3)
	v_dual_mov_b32 v14, v1 :: v_dual_mov_b32 v13, v0
	s_and_saveexec_b32 s13, vcc_lo
; %bb.1075:                             ;   in Loop: Header=BB369_1055 Depth=1
	v_clz_i32_u32_e32 v13, v0
	s_delay_alu instid0(VALU_DEP_1) | instskip(NEXT) | instid1(VALU_DEP_1)
	v_min_u32_e32 v65, 32, v13
	v_subrev_nc_u32_e32 v13, 28, v65
	v_sub_nc_u32_e32 v65, 29, v65
	s_delay_alu instid0(VALU_DEP_2) | instskip(NEXT) | instid1(VALU_DEP_1)
	v_lshlrev_b64 v[13:14], v13, v[0:1]
	v_and_b32_e32 v13, 7, v13
; %bb.1076:                             ;   in Loop: Header=BB369_1055 Depth=1
	s_or_b32 exec_lo, exec_lo, s13
	v_lshlrev_b32_e32 v0, 8, v70
	v_lshl_add_u32 v14, v65, 10, 0x2000
	s_delay_alu instid0(VALU_DEP_1) | instskip(NEXT) | instid1(VALU_DEP_1)
	v_and_or_b32 v0, 0x8000, v0, v14
	v_lshl_or_b32 v0, v13, 7, v0
	s_delay_alu instid0(VALU_DEP_1)
	v_cvt_f32_f16_e32 v65, v0
.LBB369_1077:                           ;   in Loop: Header=BB369_1055 Depth=1
	s_or_b32 exec_lo, exec_lo, s12
.LBB369_1078:                           ;   in Loop: Header=BB369_1055 Depth=1
	s_delay_alu instid0(SALU_CYCLE_1)
	s_or_b32 exec_lo, exec_lo, s10
.LBB369_1079:                           ;   in Loop: Header=BB369_1055 Depth=1
	s_delay_alu instid0(SALU_CYCLE_1)
	s_or_b32 exec_lo, exec_lo, s0
	v_dual_mov_b32 v70, 0 :: v_dual_mov_b32 v81, 0
	s_mov_b32 s0, exec_lo
	v_cmpx_lt_u32_e32 0xffffff, v11
	s_cbranch_execz .LBB369_1087
; %bb.1080:                             ;   in Loop: Header=BB369_1055 Depth=1
	v_lshrrev_b32_e32 v82, 24, v11
	v_bfrev_b32_e32 v81, 1
	s_mov_b32 s10, exec_lo
	s_delay_alu instid0(VALU_DEP_2)
	v_cmpx_ne_u32_e32 0x80, v82
	s_cbranch_execz .LBB369_1086
; %bb.1081:                             ;   in Loop: Header=BB369_1055 Depth=1
	v_and_b32_e32 v13, 0x7f, v82
	v_mov_b32_e32 v81, 0x7fc02000
	s_mov_b32 s12, exec_lo
	s_delay_alu instid0(VALU_DEP_2)
	v_cmpx_ne_u32_e32 0x7f, v13
	s_cbranch_execz .LBB369_1085
; %bb.1082:                             ;   in Loop: Header=BB369_1055 Depth=1
	v_and_b32_e32 v0, 7, v82
	v_lshrrev_b32_e32 v81, 3, v13
	v_cmp_gt_u32_e32 vcc_lo, 8, v13
	s_delay_alu instid0(VALU_DEP_3)
	v_dual_mov_b32 v14, v1 :: v_dual_mov_b32 v13, v0
	s_and_saveexec_b32 s13, vcc_lo
; %bb.1083:                             ;   in Loop: Header=BB369_1055 Depth=1
	v_clz_i32_u32_e32 v13, v0
	s_delay_alu instid0(VALU_DEP_1) | instskip(NEXT) | instid1(VALU_DEP_1)
	v_min_u32_e32 v81, 32, v13
	v_subrev_nc_u32_e32 v13, 28, v81
	v_sub_nc_u32_e32 v81, 29, v81
	s_delay_alu instid0(VALU_DEP_2) | instskip(NEXT) | instid1(VALU_DEP_1)
	v_lshlrev_b64 v[13:14], v13, v[0:1]
	v_and_b32_e32 v13, 7, v13
; %bb.1084:                             ;   in Loop: Header=BB369_1055 Depth=1
	s_or_b32 exec_lo, exec_lo, s13
	v_lshlrev_b32_e32 v0, 8, v82
	v_lshl_add_u32 v14, v81, 10, 0x2000
	s_delay_alu instid0(VALU_DEP_1) | instskip(NEXT) | instid1(VALU_DEP_1)
	v_and_or_b32 v0, 0x8000, v0, v14
	v_lshl_or_b32 v0, v13, 7, v0
	s_delay_alu instid0(VALU_DEP_1)
	v_cvt_f32_f16_e32 v81, v0
.LBB369_1085:                           ;   in Loop: Header=BB369_1055 Depth=1
	s_or_b32 exec_lo, exec_lo, s12
.LBB369_1086:                           ;   in Loop: Header=BB369_1055 Depth=1
	s_delay_alu instid0(SALU_CYCLE_1)
	s_or_b32 exec_lo, exec_lo, s10
.LBB369_1087:                           ;   in Loop: Header=BB369_1055 Depth=1
	s_delay_alu instid0(SALU_CYCLE_1) | instskip(SKIP_2) | instid1(VALU_DEP_1)
	s_or_b32 exec_lo, exec_lo, s0
	v_dual_mov_b32 v0, v12 :: v_dual_and_b32 v13, 0xff, v12
	s_mov_b32 s0, exec_lo
	v_cmpx_ne_u16_e32 0, v13
	s_cbranch_execz .LBB369_1095
; %bb.1088:                             ;   in Loop: Header=BB369_1055 Depth=1
	v_bfrev_b32_e32 v70, 1
	s_mov_b32 s10, exec_lo
	v_cmpx_ne_u16_e32 0x80, v13
	s_cbranch_execz .LBB369_1094
; %bb.1089:                             ;   in Loop: Header=BB369_1055 Depth=1
	v_and_b32_e32 v13, 0x7f, v12
	v_mov_b32_e32 v70, 0x7fc02000
	s_mov_b32 s12, exec_lo
	s_delay_alu instid0(VALU_DEP_2)
	v_cmpx_ne_u32_e32 0x7f, v13
	s_cbranch_execz .LBB369_1093
; %bb.1090:                             ;   in Loop: Header=BB369_1055 Depth=1
	v_lshrrev_b32_e32 v70, 3, v13
	v_cmp_gt_u32_e32 vcc_lo, 8, v13
	v_dual_mov_b32 v14, v1 :: v_dual_mov_b32 v13, v0
	s_and_saveexec_b32 s13, vcc_lo
; %bb.1091:                             ;   in Loop: Header=BB369_1055 Depth=1
	v_and_b32_e32 v13, 7, v12
	s_delay_alu instid0(VALU_DEP_1) | instskip(NEXT) | instid1(VALU_DEP_1)
	v_clz_i32_u32_e32 v13, v13
	v_min_u32_e32 v70, 32, v13
	s_delay_alu instid0(VALU_DEP_1) | instskip(SKIP_1) | instid1(VALU_DEP_2)
	v_subrev_nc_u32_e32 v13, 28, v70
	v_sub_nc_u32_e32 v70, 29, v70
	v_lshlrev_b64 v[13:14], v13, v[0:1]
; %bb.1092:                             ;   in Loop: Header=BB369_1055 Depth=1
	s_or_b32 exec_lo, exec_lo, s13
	v_lshlrev_b32_e32 v14, 8, v12
	s_delay_alu instid0(VALU_DEP_3) | instskip(NEXT) | instid1(VALU_DEP_3)
	v_lshl_add_u32 v70, v70, 10, 0x2000
	v_lshlrev_b32_e32 v13, 7, v13
	s_delay_alu instid0(VALU_DEP_2) | instskip(NEXT) | instid1(VALU_DEP_1)
	v_and_or_b32 v14, 0x8000, v14, v70
	v_and_or_b32 v13, 0x380, v13, v14
	s_delay_alu instid0(VALU_DEP_1)
	v_cvt_f32_f16_e32 v70, v13
.LBB369_1093:                           ;   in Loop: Header=BB369_1055 Depth=1
	s_or_b32 exec_lo, exec_lo, s12
.LBB369_1094:                           ;   in Loop: Header=BB369_1055 Depth=1
	s_delay_alu instid0(SALU_CYCLE_1)
	s_or_b32 exec_lo, exec_lo, s10
.LBB369_1095:                           ;   in Loop: Header=BB369_1055 Depth=1
	s_delay_alu instid0(SALU_CYCLE_1) | instskip(SKIP_3) | instid1(VALU_DEP_2)
	s_or_b32 exec_lo, exec_lo, s0
	v_lshrrev_b16 v0, 8, v0
	v_dual_mov_b32 v82, 0 :: v_dual_mov_b32 v85, 0
	s_mov_b32 s0, exec_lo
	v_cmpx_ne_u16_e32 0, v0
	s_cbranch_execz .LBB369_1103
; %bb.1096:                             ;   in Loop: Header=BB369_1055 Depth=1
	v_bfrev_b32_e32 v85, 1
	s_mov_b32 s10, exec_lo
	v_cmpx_ne_u16_e32 0x80, v0
	s_cbranch_execz .LBB369_1102
; %bb.1097:                             ;   in Loop: Header=BB369_1055 Depth=1
	v_and_b32_e32 v86, 0xffff, v0
	v_mov_b32_e32 v85, 0x7fc02000
	s_mov_b32 s12, exec_lo
	s_delay_alu instid0(VALU_DEP_2) | instskip(NEXT) | instid1(VALU_DEP_1)
	v_and_b32_e32 v13, 0x7f, v86
	v_cmpx_ne_u32_e32 0x7f, v13
	s_cbranch_execz .LBB369_1101
; %bb.1098:                             ;   in Loop: Header=BB369_1055 Depth=1
	v_and_b32_e32 v0, 7, v86
	v_lshrrev_b32_e32 v85, 3, v13
	v_cmp_gt_u32_e32 vcc_lo, 8, v13
	s_delay_alu instid0(VALU_DEP_3)
	v_dual_mov_b32 v14, v1 :: v_dual_mov_b32 v13, v0
	s_and_saveexec_b32 s13, vcc_lo
; %bb.1099:                             ;   in Loop: Header=BB369_1055 Depth=1
	v_clz_i32_u32_e32 v13, v0
	s_delay_alu instid0(VALU_DEP_1) | instskip(NEXT) | instid1(VALU_DEP_1)
	v_min_u32_e32 v85, 32, v13
	v_subrev_nc_u32_e32 v13, 28, v85
	v_sub_nc_u32_e32 v85, 29, v85
	s_delay_alu instid0(VALU_DEP_2) | instskip(NEXT) | instid1(VALU_DEP_1)
	v_lshlrev_b64 v[13:14], v13, v[0:1]
	v_and_b32_e32 v13, 7, v13
; %bb.1100:                             ;   in Loop: Header=BB369_1055 Depth=1
	s_or_b32 exec_lo, exec_lo, s13
	v_lshlrev_b32_e32 v0, 8, v86
	v_lshl_add_u32 v14, v85, 10, 0x2000
	s_delay_alu instid0(VALU_DEP_1) | instskip(NEXT) | instid1(VALU_DEP_1)
	v_and_or_b32 v0, 0x8000, v0, v14
	v_lshl_or_b32 v0, v13, 7, v0
	s_delay_alu instid0(VALU_DEP_1)
	v_cvt_f32_f16_e32 v85, v0
.LBB369_1101:                           ;   in Loop: Header=BB369_1055 Depth=1
	s_or_b32 exec_lo, exec_lo, s12
.LBB369_1102:                           ;   in Loop: Header=BB369_1055 Depth=1
	s_delay_alu instid0(SALU_CYCLE_1)
	s_or_b32 exec_lo, exec_lo, s10
.LBB369_1103:                           ;   in Loop: Header=BB369_1055 Depth=1
	s_delay_alu instid0(SALU_CYCLE_1) | instskip(SKIP_2) | instid1(VALU_DEP_1)
	s_or_b32 exec_lo, exec_lo, s0
	v_lshrrev_b32_e32 v86, 16, v12
	s_mov_b32 s0, exec_lo
	v_and_b32_e32 v0, 0xff, v86
	s_delay_alu instid0(VALU_DEP_1)
	v_cmpx_ne_u16_e32 0, v0
	s_cbranch_execz .LBB369_1111
; %bb.1104:                             ;   in Loop: Header=BB369_1055 Depth=1
	v_bfrev_b32_e32 v82, 1
	s_mov_b32 s10, exec_lo
	v_cmpx_ne_u16_e32 0x80, v0
	s_cbranch_execz .LBB369_1110
; %bb.1105:                             ;   in Loop: Header=BB369_1055 Depth=1
	v_bfe_u32 v13, v12, 16, 7
	v_mov_b32_e32 v82, 0x7fc02000
	s_mov_b32 s12, exec_lo
	s_delay_alu instid0(VALU_DEP_2)
	v_cmpx_ne_u32_e32 0x7f, v13
	s_cbranch_execz .LBB369_1109
; %bb.1106:                             ;   in Loop: Header=BB369_1055 Depth=1
	v_and_b32_e32 v0, 7, v86
	v_lshrrev_b32_e32 v82, 3, v13
	v_cmp_gt_u32_e32 vcc_lo, 8, v13
	s_delay_alu instid0(VALU_DEP_3)
	v_dual_mov_b32 v14, v1 :: v_dual_mov_b32 v13, v0
	s_and_saveexec_b32 s13, vcc_lo
; %bb.1107:                             ;   in Loop: Header=BB369_1055 Depth=1
	v_clz_i32_u32_e32 v13, v0
	s_delay_alu instid0(VALU_DEP_1) | instskip(NEXT) | instid1(VALU_DEP_1)
	v_min_u32_e32 v82, 32, v13
	v_subrev_nc_u32_e32 v13, 28, v82
	v_sub_nc_u32_e32 v82, 29, v82
	s_delay_alu instid0(VALU_DEP_2) | instskip(NEXT) | instid1(VALU_DEP_1)
	v_lshlrev_b64 v[13:14], v13, v[0:1]
	v_and_b32_e32 v13, 7, v13
; %bb.1108:                             ;   in Loop: Header=BB369_1055 Depth=1
	s_or_b32 exec_lo, exec_lo, s13
	v_lshlrev_b32_e32 v0, 8, v86
	v_lshl_add_u32 v14, v82, 10, 0x2000
	s_delay_alu instid0(VALU_DEP_1) | instskip(NEXT) | instid1(VALU_DEP_1)
	v_and_or_b32 v0, 0x8000, v0, v14
	v_lshl_or_b32 v0, v13, 7, v0
	s_delay_alu instid0(VALU_DEP_1)
	v_cvt_f32_f16_e32 v82, v0
.LBB369_1109:                           ;   in Loop: Header=BB369_1055 Depth=1
	s_or_b32 exec_lo, exec_lo, s12
.LBB369_1110:                           ;   in Loop: Header=BB369_1055 Depth=1
	s_delay_alu instid0(SALU_CYCLE_1)
	s_or_b32 exec_lo, exec_lo, s10
.LBB369_1111:                           ;   in Loop: Header=BB369_1055 Depth=1
	s_delay_alu instid0(SALU_CYCLE_1)
	s_or_b32 exec_lo, exec_lo, s0
	v_mov_b32_e32 v0, 0
	s_mov_b32 s0, exec_lo
	v_cmpx_lt_u64_e64 s[8:9], v[11:12]
	s_cbranch_execz .LBB369_1119
; %bb.1112:                             ;   in Loop: Header=BB369_1055 Depth=1
	v_lshrrev_b32_e32 v13, 24, v12
	v_bfrev_b32_e32 v0, 1
	s_mov_b32 s10, exec_lo
	s_delay_alu instid0(VALU_DEP_2)
	v_cmpx_ne_u32_e32 0x80, v13
	s_cbranch_execz .LBB369_1118
; %bb.1113:                             ;   in Loop: Header=BB369_1055 Depth=1
	v_and_b32_e32 v11, 0x7f, v13
	v_mov_b32_e32 v0, 0x7fc02000
	s_mov_b32 s12, exec_lo
	s_delay_alu instid0(VALU_DEP_2)
	v_cmpx_ne_u32_e32 0x7f, v11
	s_cbranch_execz .LBB369_1117
; %bb.1114:                             ;   in Loop: Header=BB369_1055 Depth=1
	v_and_b32_e32 v0, 7, v13
	v_lshrrev_b32_e32 v14, 3, v11
	v_cmp_gt_u32_e32 vcc_lo, 8, v11
	s_delay_alu instid0(VALU_DEP_3)
	v_dual_mov_b32 v12, v1 :: v_dual_mov_b32 v11, v0
	s_and_saveexec_b32 s13, vcc_lo
; %bb.1115:                             ;   in Loop: Header=BB369_1055 Depth=1
	v_clz_i32_u32_e32 v11, v0
	s_delay_alu instid0(VALU_DEP_1) | instskip(NEXT) | instid1(VALU_DEP_1)
	v_min_u32_e32 v14, 32, v11
	v_subrev_nc_u32_e32 v11, 28, v14
	v_sub_nc_u32_e32 v14, 29, v14
	s_delay_alu instid0(VALU_DEP_2) | instskip(NEXT) | instid1(VALU_DEP_1)
	v_lshlrev_b64 v[11:12], v11, v[0:1]
	v_and_b32_e32 v11, 7, v11
; %bb.1116:                             ;   in Loop: Header=BB369_1055 Depth=1
	s_or_b32 exec_lo, exec_lo, s13
	v_lshlrev_b32_e32 v0, 8, v13
	v_lshl_add_u32 v12, v14, 10, 0x2000
	s_delay_alu instid0(VALU_DEP_1) | instskip(NEXT) | instid1(VALU_DEP_1)
	v_and_or_b32 v0, 0x8000, v0, v12
	v_lshl_or_b32 v0, v11, 7, v0
	s_delay_alu instid0(VALU_DEP_1)
	v_cvt_f32_f16_e32 v0, v0
.LBB369_1117:                           ;   in Loop: Header=BB369_1055 Depth=1
	s_or_b32 exec_lo, exec_lo, s12
.LBB369_1118:                           ;   in Loop: Header=BB369_1055 Depth=1
	s_delay_alu instid0(SALU_CYCLE_1)
	s_or_b32 exec_lo, exec_lo, s10
.LBB369_1119:                           ;   in Loop: Header=BB369_1055 Depth=1
	s_delay_alu instid0(SALU_CYCLE_1)
	s_or_b32 exec_lo, exec_lo, s0
	s_waitcnt vmcnt(0) lgkmcnt(0)
	v_fma_mixlo_f16 v13, v17, v64, 0
	v_fma_mixlo_f16 v11, v17, v81, 0
	;; [unrolled: 1-line block ×5, first 2 shown]
	v_lshlrev_b32_e32 v14, 16, v13
	v_fma_mixlo_f16 v65, v17, v70, 0
	v_fma_mixlo_f16 v0, v17, v0, 0
	v_fma_mixlo_f16 v13, v17, v82, 0
	v_lshlrev_b32_e32 v11, 16, v11
	v_and_b32_e32 v12, 0xffff, v12
	v_and_b32_e32 v17, 0xffff, v38
	v_lshlrev_b32_e32 v38, 16, v64
	v_and_b32_e32 v64, 0xffff, v65
	v_lshlrev_b32_e32 v65, 16, v0
	v_and_b32_e32 v70, 0xffff, v13
	v_cmp_eq_u32_e32 vcc_lo, v39, v6
	v_or_b32_e32 v12, v11, v12
	v_or_b32_e32 v14, v14, v17
	;; [unrolled: 1-line block ×4, first 2 shown]
	v_add_nc_u32_e32 v82, 1, v15
	v_or_b32_e32 v81, 3, v15
	v_or_b32_e32 v70, 2, v15
	;; [unrolled: 1-line block ×6, first 2 shown]
	s_and_saveexec_b32 s10, vcc_lo
	s_cbranch_execz .LBB369_1121
; %bb.1120:                             ;   in Loop: Header=BB369_1055 Depth=1
	v_cmp_lt_i32_e64 s0, v15, v36
	v_lshrrev_b32_e32 v85, 16, v14
	v_lshrrev_b32_e32 v86, 16, v12
	;; [unrolled: 1-line block ×4, first 2 shown]
	v_cndmask_b32_e64 v14, 0, v14, s0
	v_cmp_lt_i32_e64 s0, v82, v48
	s_delay_alu instid0(VALU_DEP_1) | instskip(SKIP_1) | instid1(VALU_DEP_2)
	v_cndmask_b32_e64 v85, 0, v85, s0
	v_cmp_lt_i32_e64 s0, v81, v48
	v_perm_b32 v14, v85, v14, 0x5040100
	s_delay_alu instid0(VALU_DEP_2) | instskip(SKIP_1) | instid1(VALU_DEP_1)
	v_cndmask_b32_e64 v86, 0, v86, s0
	v_cmp_lt_i32_e64 s0, v70, v36
	v_cndmask_b32_e64 v12, 0, v12, s0
	v_cmp_lt_i32_e64 s0, v65, v48
	s_delay_alu instid0(VALU_DEP_2) | instskip(NEXT) | instid1(VALU_DEP_2)
	v_perm_b32 v12, v86, v12, 0x5040100
	v_cndmask_b32_e64 v87, 0, v87, s0
	v_cmp_lt_i32_e64 s0, v64, v36
	s_delay_alu instid0(VALU_DEP_1) | instskip(SKIP_1) | instid1(VALU_DEP_2)
	v_cndmask_b32_e64 v0, 0, v0, s0
	v_cmp_lt_i32_e64 s0, v38, v48
	v_perm_b32 v0, v87, v0, 0x5040100
	s_delay_alu instid0(VALU_DEP_2) | instskip(SKIP_1) | instid1(VALU_DEP_1)
	v_cndmask_b32_e64 v11, 0, v11, s0
	v_cmp_lt_i32_e64 s0, v17, v36
	v_cndmask_b32_e64 v13, 0, v13, s0
	s_delay_alu instid0(VALU_DEP_1)
	v_perm_b32 v11, v11, v13, 0x5040100
.LBB369_1121:                           ;   in Loop: Header=BB369_1055 Depth=1
	s_or_b32 exec_lo, exec_lo, s10
	v_and_b32_e32 v13, 0xffff, v66
	v_and_b32_e32 v66, 0xffff, v69
	;; [unrolled: 1-line block ×4, first 2 shown]
	s_mov_b32 s10, exec_lo
	s_delay_alu instid0(VALU_DEP_3) | instskip(NEXT) | instid1(VALU_DEP_2)
	v_lshl_or_b32 v69, v68, 16, v66
	v_lshl_or_b32 v66, v83, 16, v84
	v_mov_b32_e32 v84, 0
	v_lshl_or_b32 v80, v67, 16, v13
	v_lshl_or_b32 v67, v71, 16, v85
	v_mov_b32_e32 v85, 0
	;;#ASMSTART
	v_pk_mul_f16 v13, v80, v14;

	;;#ASMEND
	;;#ASMSTART
	v_pk_mul_f16 v12, v69, v12;

	;;#ASMEND
	;; [unrolled: 4-line block ×4, first 2 shown]
	;;#ASMSTART
	v_pk_add_f16 v12, v13, v12;

	;;#ASMEND
	;;#ASMSTART
	v_pk_add_f16 v0, v12, v0;

	;;#ASMEND
	;;#ASMSTART
	v_pk_add_f16 v0, v0, v11;

	;;#ASMEND
	v_and_b32_e32 v11, 0xffff, v0
	v_lshrrev_b32_e32 v0, 16, v0
	;;#ASMSTART
	v_cvt_f32_f16 v68, v11;
	;;#ASMEND
	;;#ASMSTART
	v_cvt_f32_f16 v71, v0;
	;;#ASMEND
	flat_load_b64 v[11:12], v[9:10] offset:256
	flat_load_b32 v83, v[26:27]
	s_waitcnt vmcnt(1) lgkmcnt(1)
	v_and_b32_e32 v0, 0xff, v11
	s_delay_alu instid0(VALU_DEP_1)
	v_cmpx_ne_u16_e32 0, v0
	s_cbranch_execz .LBB369_1129
; %bb.1122:                             ;   in Loop: Header=BB369_1055 Depth=1
	v_bfrev_b32_e32 v84, 1
	s_mov_b32 s12, exec_lo
	v_cmpx_ne_u16_e32 0x80, v0
	s_cbranch_execz .LBB369_1128
; %bb.1123:                             ;   in Loop: Header=BB369_1055 Depth=1
	v_and_b32_e32 v13, 0x7f, v11
	v_mov_b32_e32 v84, 0x7fc02000
	s_mov_b32 s13, exec_lo
	s_delay_alu instid0(VALU_DEP_2)
	v_cmpx_ne_u32_e32 0x7f, v13
	s_cbranch_execz .LBB369_1127
; %bb.1124:                             ;   in Loop: Header=BB369_1055 Depth=1
	v_lshrrev_b32_e32 v0, 3, v13
	v_cmp_gt_u32_e64 s0, 8, v13
	v_dual_mov_b32 v14, v12 :: v_dual_mov_b32 v13, v11
	s_delay_alu instid0(VALU_DEP_2)
	s_and_saveexec_b32 s15, s0
; %bb.1125:                             ;   in Loop: Header=BB369_1055 Depth=1
	v_and_b32_e32 v0, 7, v11
	s_delay_alu instid0(VALU_DEP_1) | instskip(NEXT) | instid1(VALU_DEP_1)
	v_clz_i32_u32_e32 v0, v0
	v_min_u32_e32 v0, 32, v0
	s_delay_alu instid0(VALU_DEP_1) | instskip(SKIP_1) | instid1(VALU_DEP_2)
	v_subrev_nc_u32_e32 v13, 28, v0
	v_sub_nc_u32_e32 v0, 29, v0
	v_lshlrev_b64 v[13:14], v13, v[11:12]
; %bb.1126:                             ;   in Loop: Header=BB369_1055 Depth=1
	s_or_b32 exec_lo, exec_lo, s15
	v_lshlrev_b32_e32 v14, 8, v11
	s_delay_alu instid0(VALU_DEP_3) | instskip(NEXT) | instid1(VALU_DEP_3)
	v_lshl_add_u32 v0, v0, 10, 0x2000
	v_lshlrev_b32_e32 v13, 7, v13
	s_delay_alu instid0(VALU_DEP_2) | instskip(NEXT) | instid1(VALU_DEP_1)
	v_and_or_b32 v0, 0x8000, v14, v0
	v_and_or_b32 v0, 0x380, v13, v0
	s_delay_alu instid0(VALU_DEP_1)
	v_cvt_f32_f16_e32 v84, v0
.LBB369_1127:                           ;   in Loop: Header=BB369_1055 Depth=1
	s_or_b32 exec_lo, exec_lo, s13
.LBB369_1128:                           ;   in Loop: Header=BB369_1055 Depth=1
	s_delay_alu instid0(SALU_CYCLE_1)
	s_or_b32 exec_lo, exec_lo, s12
.LBB369_1129:                           ;   in Loop: Header=BB369_1055 Depth=1
	s_delay_alu instid0(SALU_CYCLE_1) | instskip(SKIP_2) | instid1(VALU_DEP_1)
	s_or_b32 exec_lo, exec_lo, s10
	v_lshrrev_b16 v0, 8, v11
	s_mov_b32 s10, exec_lo
	v_cmpx_ne_u16_e32 0, v0
	s_cbranch_execz .LBB369_1137
; %bb.1130:                             ;   in Loop: Header=BB369_1055 Depth=1
	v_bfrev_b32_e32 v85, 1
	s_mov_b32 s12, exec_lo
	v_cmpx_ne_u16_e32 0x80, v0
	s_cbranch_execz .LBB369_1136
; %bb.1131:                             ;   in Loop: Header=BB369_1055 Depth=1
	v_and_b32_e32 v86, 0xffff, v0
	v_mov_b32_e32 v85, 0x7fc02000
	s_mov_b32 s13, exec_lo
	s_delay_alu instid0(VALU_DEP_2) | instskip(NEXT) | instid1(VALU_DEP_1)
	v_and_b32_e32 v13, 0x7f, v86
	v_cmpx_ne_u32_e32 0x7f, v13
	s_cbranch_execz .LBB369_1135
; %bb.1132:                             ;   in Loop: Header=BB369_1055 Depth=1
	v_and_b32_e32 v0, 7, v86
	v_lshrrev_b32_e32 v85, 3, v13
	v_cmp_gt_u32_e64 s0, 8, v13
	s_delay_alu instid0(VALU_DEP_3) | instskip(NEXT) | instid1(VALU_DEP_2)
	v_dual_mov_b32 v14, v1 :: v_dual_mov_b32 v13, v0
	s_and_saveexec_b32 s15, s0
; %bb.1133:                             ;   in Loop: Header=BB369_1055 Depth=1
	v_clz_i32_u32_e32 v13, v0
	s_delay_alu instid0(VALU_DEP_1) | instskip(NEXT) | instid1(VALU_DEP_1)
	v_min_u32_e32 v85, 32, v13
	v_subrev_nc_u32_e32 v13, 28, v85
	v_sub_nc_u32_e32 v85, 29, v85
	s_delay_alu instid0(VALU_DEP_2) | instskip(NEXT) | instid1(VALU_DEP_1)
	v_lshlrev_b64 v[13:14], v13, v[0:1]
	v_and_b32_e32 v13, 7, v13
; %bb.1134:                             ;   in Loop: Header=BB369_1055 Depth=1
	s_or_b32 exec_lo, exec_lo, s15
	v_lshlrev_b32_e32 v0, 8, v86
	v_lshl_add_u32 v14, v85, 10, 0x2000
	s_delay_alu instid0(VALU_DEP_1) | instskip(NEXT) | instid1(VALU_DEP_1)
	v_and_or_b32 v0, 0x8000, v0, v14
	v_lshl_or_b32 v0, v13, 7, v0
	s_delay_alu instid0(VALU_DEP_1)
	v_cvt_f32_f16_e32 v85, v0
.LBB369_1135:                           ;   in Loop: Header=BB369_1055 Depth=1
	s_or_b32 exec_lo, exec_lo, s13
.LBB369_1136:                           ;   in Loop: Header=BB369_1055 Depth=1
	s_delay_alu instid0(SALU_CYCLE_1)
	s_or_b32 exec_lo, exec_lo, s12
.LBB369_1137:                           ;   in Loop: Header=BB369_1055 Depth=1
	s_delay_alu instid0(SALU_CYCLE_1) | instskip(SKIP_3) | instid1(VALU_DEP_2)
	s_or_b32 exec_lo, exec_lo, s10
	v_lshrrev_b32_e32 v96, 16, v11
	v_mov_b32_e32 v86, 0
	s_mov_b32 s10, exec_lo
	v_dual_mov_b32 v87, 0 :: v_dual_and_b32 v0, 0xff, v96
	s_delay_alu instid0(VALU_DEP_1)
	v_cmpx_ne_u16_e32 0, v0
	s_cbranch_execz .LBB369_1145
; %bb.1138:                             ;   in Loop: Header=BB369_1055 Depth=1
	v_bfrev_b32_e32 v86, 1
	s_mov_b32 s12, exec_lo
	v_cmpx_ne_u16_e32 0x80, v0
	s_cbranch_execz .LBB369_1144
; %bb.1139:                             ;   in Loop: Header=BB369_1055 Depth=1
	v_bfe_u32 v13, v11, 16, 7
	v_mov_b32_e32 v86, 0x7fc02000
	s_mov_b32 s13, exec_lo
	s_delay_alu instid0(VALU_DEP_2)
	v_cmpx_ne_u32_e32 0x7f, v13
	s_cbranch_execz .LBB369_1143
; %bb.1140:                             ;   in Loop: Header=BB369_1055 Depth=1
	v_and_b32_e32 v0, 7, v96
	v_lshrrev_b32_e32 v86, 3, v13
	v_cmp_gt_u32_e64 s0, 8, v13
	s_delay_alu instid0(VALU_DEP_3) | instskip(NEXT) | instid1(VALU_DEP_2)
	v_dual_mov_b32 v14, v1 :: v_dual_mov_b32 v13, v0
	s_and_saveexec_b32 s15, s0
; %bb.1141:                             ;   in Loop: Header=BB369_1055 Depth=1
	v_clz_i32_u32_e32 v13, v0
	s_delay_alu instid0(VALU_DEP_1) | instskip(NEXT) | instid1(VALU_DEP_1)
	v_min_u32_e32 v86, 32, v13
	v_subrev_nc_u32_e32 v13, 28, v86
	v_sub_nc_u32_e32 v86, 29, v86
	s_delay_alu instid0(VALU_DEP_2) | instskip(NEXT) | instid1(VALU_DEP_1)
	v_lshlrev_b64 v[13:14], v13, v[0:1]
	v_and_b32_e32 v13, 7, v13
; %bb.1142:                             ;   in Loop: Header=BB369_1055 Depth=1
	s_or_b32 exec_lo, exec_lo, s15
	v_lshlrev_b32_e32 v0, 8, v96
	v_lshl_add_u32 v14, v86, 10, 0x2000
	s_delay_alu instid0(VALU_DEP_1) | instskip(NEXT) | instid1(VALU_DEP_1)
	v_and_or_b32 v0, 0x8000, v0, v14
	v_lshl_or_b32 v0, v13, 7, v0
	s_delay_alu instid0(VALU_DEP_1)
	v_cvt_f32_f16_e32 v86, v0
.LBB369_1143:                           ;   in Loop: Header=BB369_1055 Depth=1
	s_or_b32 exec_lo, exec_lo, s13
.LBB369_1144:                           ;   in Loop: Header=BB369_1055 Depth=1
	s_delay_alu instid0(SALU_CYCLE_1)
	s_or_b32 exec_lo, exec_lo, s12
.LBB369_1145:                           ;   in Loop: Header=BB369_1055 Depth=1
	s_delay_alu instid0(SALU_CYCLE_1) | instskip(NEXT) | instid1(SALU_CYCLE_1)
	s_or_b32 exec_lo, exec_lo, s10
	s_mov_b32 s10, exec_lo
	v_cmpx_lt_u32_e32 0xffffff, v11
	s_cbranch_execz .LBB369_1153
; %bb.1146:                             ;   in Loop: Header=BB369_1055 Depth=1
	v_lshrrev_b32_e32 v96, 24, v11
	v_bfrev_b32_e32 v87, 1
	s_mov_b32 s12, exec_lo
	s_delay_alu instid0(VALU_DEP_2)
	v_cmpx_ne_u32_e32 0x80, v96
	s_cbranch_execz .LBB369_1152
; %bb.1147:                             ;   in Loop: Header=BB369_1055 Depth=1
	v_and_b32_e32 v13, 0x7f, v96
	v_mov_b32_e32 v87, 0x7fc02000
	s_mov_b32 s13, exec_lo
	s_delay_alu instid0(VALU_DEP_2)
	v_cmpx_ne_u32_e32 0x7f, v13
	s_cbranch_execz .LBB369_1151
; %bb.1148:                             ;   in Loop: Header=BB369_1055 Depth=1
	v_and_b32_e32 v0, 7, v96
	v_lshrrev_b32_e32 v87, 3, v13
	v_cmp_gt_u32_e64 s0, 8, v13
	s_delay_alu instid0(VALU_DEP_3) | instskip(NEXT) | instid1(VALU_DEP_2)
	v_dual_mov_b32 v14, v1 :: v_dual_mov_b32 v13, v0
	s_and_saveexec_b32 s15, s0
; %bb.1149:                             ;   in Loop: Header=BB369_1055 Depth=1
	v_clz_i32_u32_e32 v13, v0
	s_delay_alu instid0(VALU_DEP_1) | instskip(NEXT) | instid1(VALU_DEP_1)
	v_min_u32_e32 v87, 32, v13
	v_subrev_nc_u32_e32 v13, 28, v87
	v_sub_nc_u32_e32 v87, 29, v87
	s_delay_alu instid0(VALU_DEP_2) | instskip(NEXT) | instid1(VALU_DEP_1)
	v_lshlrev_b64 v[13:14], v13, v[0:1]
	v_and_b32_e32 v13, 7, v13
; %bb.1150:                             ;   in Loop: Header=BB369_1055 Depth=1
	s_or_b32 exec_lo, exec_lo, s15
	v_lshlrev_b32_e32 v0, 8, v96
	v_lshl_add_u32 v14, v87, 10, 0x2000
	s_delay_alu instid0(VALU_DEP_1) | instskip(NEXT) | instid1(VALU_DEP_1)
	v_and_or_b32 v0, 0x8000, v0, v14
	v_lshl_or_b32 v0, v13, 7, v0
	s_delay_alu instid0(VALU_DEP_1)
	v_cvt_f32_f16_e32 v87, v0
.LBB369_1151:                           ;   in Loop: Header=BB369_1055 Depth=1
	s_or_b32 exec_lo, exec_lo, s13
.LBB369_1152:                           ;   in Loop: Header=BB369_1055 Depth=1
	s_delay_alu instid0(SALU_CYCLE_1)
	s_or_b32 exec_lo, exec_lo, s12
.LBB369_1153:                           ;   in Loop: Header=BB369_1055 Depth=1
	s_delay_alu instid0(SALU_CYCLE_1) | instskip(SKIP_3) | instid1(VALU_DEP_2)
	s_or_b32 exec_lo, exec_lo, s10
	v_dual_mov_b32 v0, v12 :: v_dual_and_b32 v13, 0xff, v12
	v_dual_mov_b32 v97, 0 :: v_dual_mov_b32 v96, 0
	s_mov_b32 s10, exec_lo
	v_cmpx_ne_u16_e32 0, v13
	s_cbranch_execz .LBB369_1161
; %bb.1154:                             ;   in Loop: Header=BB369_1055 Depth=1
	v_bfrev_b32_e32 v96, 1
	s_mov_b32 s12, exec_lo
	v_cmpx_ne_u16_e32 0x80, v13
	s_cbranch_execz .LBB369_1160
; %bb.1155:                             ;   in Loop: Header=BB369_1055 Depth=1
	v_and_b32_e32 v13, 0x7f, v12
	v_mov_b32_e32 v96, 0x7fc02000
	s_mov_b32 s13, exec_lo
	s_delay_alu instid0(VALU_DEP_2)
	v_cmpx_ne_u32_e32 0x7f, v13
	s_cbranch_execz .LBB369_1159
; %bb.1156:                             ;   in Loop: Header=BB369_1055 Depth=1
	v_lshrrev_b32_e32 v96, 3, v13
	v_cmp_gt_u32_e64 s0, 8, v13
	v_dual_mov_b32 v14, v1 :: v_dual_mov_b32 v13, v0
	s_delay_alu instid0(VALU_DEP_2)
	s_and_saveexec_b32 s15, s0
; %bb.1157:                             ;   in Loop: Header=BB369_1055 Depth=1
	v_and_b32_e32 v13, 7, v12
	s_delay_alu instid0(VALU_DEP_1) | instskip(NEXT) | instid1(VALU_DEP_1)
	v_clz_i32_u32_e32 v13, v13
	v_min_u32_e32 v96, 32, v13
	s_delay_alu instid0(VALU_DEP_1) | instskip(SKIP_1) | instid1(VALU_DEP_2)
	v_subrev_nc_u32_e32 v13, 28, v96
	v_sub_nc_u32_e32 v96, 29, v96
	v_lshlrev_b64 v[13:14], v13, v[0:1]
; %bb.1158:                             ;   in Loop: Header=BB369_1055 Depth=1
	s_or_b32 exec_lo, exec_lo, s15
	v_lshlrev_b32_e32 v14, 8, v12
	s_delay_alu instid0(VALU_DEP_3) | instskip(NEXT) | instid1(VALU_DEP_3)
	v_lshl_add_u32 v96, v96, 10, 0x2000
	v_lshlrev_b32_e32 v13, 7, v13
	s_delay_alu instid0(VALU_DEP_2) | instskip(NEXT) | instid1(VALU_DEP_1)
	v_and_or_b32 v14, 0x8000, v14, v96
	v_and_or_b32 v13, 0x380, v13, v14
	s_delay_alu instid0(VALU_DEP_1)
	v_cvt_f32_f16_e32 v96, v13
.LBB369_1159:                           ;   in Loop: Header=BB369_1055 Depth=1
	s_or_b32 exec_lo, exec_lo, s13
.LBB369_1160:                           ;   in Loop: Header=BB369_1055 Depth=1
	s_delay_alu instid0(SALU_CYCLE_1)
	s_or_b32 exec_lo, exec_lo, s12
.LBB369_1161:                           ;   in Loop: Header=BB369_1055 Depth=1
	s_delay_alu instid0(SALU_CYCLE_1) | instskip(SKIP_2) | instid1(VALU_DEP_1)
	s_or_b32 exec_lo, exec_lo, s10
	v_lshrrev_b16 v0, 8, v0
	s_mov_b32 s10, exec_lo
	v_cmpx_ne_u16_e32 0, v0
	s_cbranch_execz .LBB369_1169
; %bb.1162:                             ;   in Loop: Header=BB369_1055 Depth=1
	v_bfrev_b32_e32 v97, 1
	s_mov_b32 s12, exec_lo
	v_cmpx_ne_u16_e32 0x80, v0
	s_cbranch_execz .LBB369_1168
; %bb.1163:                             ;   in Loop: Header=BB369_1055 Depth=1
	v_and_b32_e32 v98, 0xffff, v0
	v_mov_b32_e32 v97, 0x7fc02000
	s_mov_b32 s13, exec_lo
	s_delay_alu instid0(VALU_DEP_2) | instskip(NEXT) | instid1(VALU_DEP_1)
	v_and_b32_e32 v13, 0x7f, v98
	v_cmpx_ne_u32_e32 0x7f, v13
	s_cbranch_execz .LBB369_1167
; %bb.1164:                             ;   in Loop: Header=BB369_1055 Depth=1
	v_and_b32_e32 v0, 7, v98
	v_lshrrev_b32_e32 v97, 3, v13
	v_cmp_gt_u32_e64 s0, 8, v13
	s_delay_alu instid0(VALU_DEP_3) | instskip(NEXT) | instid1(VALU_DEP_2)
	v_dual_mov_b32 v14, v1 :: v_dual_mov_b32 v13, v0
	s_and_saveexec_b32 s15, s0
; %bb.1165:                             ;   in Loop: Header=BB369_1055 Depth=1
	v_clz_i32_u32_e32 v13, v0
	s_delay_alu instid0(VALU_DEP_1) | instskip(NEXT) | instid1(VALU_DEP_1)
	v_min_u32_e32 v97, 32, v13
	v_subrev_nc_u32_e32 v13, 28, v97
	v_sub_nc_u32_e32 v97, 29, v97
	s_delay_alu instid0(VALU_DEP_2) | instskip(NEXT) | instid1(VALU_DEP_1)
	v_lshlrev_b64 v[13:14], v13, v[0:1]
	v_and_b32_e32 v13, 7, v13
; %bb.1166:                             ;   in Loop: Header=BB369_1055 Depth=1
	s_or_b32 exec_lo, exec_lo, s15
	v_lshlrev_b32_e32 v0, 8, v98
	v_lshl_add_u32 v14, v97, 10, 0x2000
	s_delay_alu instid0(VALU_DEP_1) | instskip(NEXT) | instid1(VALU_DEP_1)
	v_and_or_b32 v0, 0x8000, v0, v14
	v_lshl_or_b32 v0, v13, 7, v0
	s_delay_alu instid0(VALU_DEP_1)
	v_cvt_f32_f16_e32 v97, v0
.LBB369_1167:                           ;   in Loop: Header=BB369_1055 Depth=1
	s_or_b32 exec_lo, exec_lo, s13
.LBB369_1168:                           ;   in Loop: Header=BB369_1055 Depth=1
	s_delay_alu instid0(SALU_CYCLE_1)
	s_or_b32 exec_lo, exec_lo, s12
.LBB369_1169:                           ;   in Loop: Header=BB369_1055 Depth=1
	s_delay_alu instid0(SALU_CYCLE_1) | instskip(SKIP_3) | instid1(VALU_DEP_2)
	s_or_b32 exec_lo, exec_lo, s10
	v_lshrrev_b32_e32 v99, 16, v12
	v_mov_b32_e32 v98, 0
	s_mov_b32 s10, exec_lo
	v_dual_mov_b32 v13, 0 :: v_dual_and_b32 v0, 0xff, v99
	s_delay_alu instid0(VALU_DEP_1)
	v_cmpx_ne_u16_e32 0, v0
	s_cbranch_execz .LBB369_1177
; %bb.1170:                             ;   in Loop: Header=BB369_1055 Depth=1
	v_bfrev_b32_e32 v13, 1
	s_mov_b32 s12, exec_lo
	v_cmpx_ne_u16_e32 0x80, v0
	s_cbranch_execz .LBB369_1176
; %bb.1171:                             ;   in Loop: Header=BB369_1055 Depth=1
	v_bfe_u32 v14, v12, 16, 7
	v_mov_b32_e32 v13, 0x7fc02000
	s_mov_b32 s13, exec_lo
	s_delay_alu instid0(VALU_DEP_2)
	v_cmpx_ne_u32_e32 0x7f, v14
	s_cbranch_execz .LBB369_1175
; %bb.1172:                             ;   in Loop: Header=BB369_1055 Depth=1
	v_and_b32_e32 v0, 7, v99
	v_lshrrev_b32_e32 v100, 3, v14
	v_cmp_gt_u32_e64 s0, 8, v14
	s_delay_alu instid0(VALU_DEP_3) | instskip(NEXT) | instid1(VALU_DEP_2)
	v_dual_mov_b32 v14, v1 :: v_dual_mov_b32 v13, v0
	s_and_saveexec_b32 s15, s0
; %bb.1173:                             ;   in Loop: Header=BB369_1055 Depth=1
	v_clz_i32_u32_e32 v13, v0
	s_delay_alu instid0(VALU_DEP_1) | instskip(NEXT) | instid1(VALU_DEP_1)
	v_min_u32_e32 v100, 32, v13
	v_subrev_nc_u32_e32 v13, 28, v100
	v_sub_nc_u32_e32 v100, 29, v100
	s_delay_alu instid0(VALU_DEP_2) | instskip(NEXT) | instid1(VALU_DEP_1)
	v_lshlrev_b64 v[13:14], v13, v[0:1]
	v_and_b32_e32 v13, 7, v13
; %bb.1174:                             ;   in Loop: Header=BB369_1055 Depth=1
	s_or_b32 exec_lo, exec_lo, s15
	v_lshlrev_b32_e32 v0, 8, v99
	v_lshl_add_u32 v14, v100, 10, 0x2000
	s_delay_alu instid0(VALU_DEP_1) | instskip(NEXT) | instid1(VALU_DEP_1)
	v_and_or_b32 v0, 0x8000, v0, v14
	v_lshl_or_b32 v0, v13, 7, v0
	s_delay_alu instid0(VALU_DEP_1)
	v_cvt_f32_f16_e32 v13, v0
.LBB369_1175:                           ;   in Loop: Header=BB369_1055 Depth=1
	s_or_b32 exec_lo, exec_lo, s13
.LBB369_1176:                           ;   in Loop: Header=BB369_1055 Depth=1
	s_delay_alu instid0(SALU_CYCLE_1)
	s_or_b32 exec_lo, exec_lo, s12
.LBB369_1177:                           ;   in Loop: Header=BB369_1055 Depth=1
	s_delay_alu instid0(SALU_CYCLE_1) | instskip(NEXT) | instid1(SALU_CYCLE_1)
	s_or_b32 exec_lo, exec_lo, s10
	s_mov_b32 s10, exec_lo
	v_cmpx_lt_u64_e64 s[8:9], v[11:12]
	s_cbranch_execz .LBB369_1185
; %bb.1178:                             ;   in Loop: Header=BB369_1055 Depth=1
	v_lshrrev_b32_e32 v14, 24, v12
	v_bfrev_b32_e32 v98, 1
	s_mov_b32 s12, exec_lo
	s_delay_alu instid0(VALU_DEP_2)
	v_cmpx_ne_u32_e32 0x80, v14
	s_cbranch_execz .LBB369_1184
; %bb.1179:                             ;   in Loop: Header=BB369_1055 Depth=1
	v_and_b32_e32 v11, 0x7f, v14
	v_mov_b32_e32 v98, 0x7fc02000
	s_mov_b32 s13, exec_lo
	s_delay_alu instid0(VALU_DEP_2)
	v_cmpx_ne_u32_e32 0x7f, v11
	s_cbranch_execz .LBB369_1183
; %bb.1180:                             ;   in Loop: Header=BB369_1055 Depth=1
	v_and_b32_e32 v0, 7, v14
	v_lshrrev_b32_e32 v98, 3, v11
	v_cmp_gt_u32_e64 s0, 8, v11
	s_delay_alu instid0(VALU_DEP_3) | instskip(NEXT) | instid1(VALU_DEP_2)
	v_dual_mov_b32 v12, v1 :: v_dual_mov_b32 v11, v0
	s_and_saveexec_b32 s15, s0
; %bb.1181:                             ;   in Loop: Header=BB369_1055 Depth=1
	v_clz_i32_u32_e32 v11, v0
	s_delay_alu instid0(VALU_DEP_1) | instskip(NEXT) | instid1(VALU_DEP_1)
	v_min_u32_e32 v98, 32, v11
	v_subrev_nc_u32_e32 v11, 28, v98
	v_sub_nc_u32_e32 v98, 29, v98
	s_delay_alu instid0(VALU_DEP_2) | instskip(NEXT) | instid1(VALU_DEP_1)
	v_lshlrev_b64 v[11:12], v11, v[0:1]
	v_and_b32_e32 v11, 7, v11
; %bb.1182:                             ;   in Loop: Header=BB369_1055 Depth=1
	s_or_b32 exec_lo, exec_lo, s15
	v_lshlrev_b32_e32 v0, 8, v14
	v_lshl_add_u32 v12, v98, 10, 0x2000
	s_delay_alu instid0(VALU_DEP_1) | instskip(NEXT) | instid1(VALU_DEP_1)
	v_and_or_b32 v0, 0x8000, v0, v12
	v_lshl_or_b32 v0, v11, 7, v0
	s_delay_alu instid0(VALU_DEP_1)
	v_cvt_f32_f16_e32 v98, v0
.LBB369_1183:                           ;   in Loop: Header=BB369_1055 Depth=1
	s_or_b32 exec_lo, exec_lo, s13
.LBB369_1184:                           ;   in Loop: Header=BB369_1055 Depth=1
	s_delay_alu instid0(SALU_CYCLE_1)
	s_or_b32 exec_lo, exec_lo, s12
.LBB369_1185:                           ;   in Loop: Header=BB369_1055 Depth=1
	s_delay_alu instid0(SALU_CYCLE_1)
	s_or_b32 exec_lo, exec_lo, s10
	s_waitcnt vmcnt(0) lgkmcnt(0)
	v_fma_mixlo_f16 v12, v83, v85, 0
	v_fma_mixlo_f16 v0, v83, v87, 0
	;; [unrolled: 1-line block ×5, first 2 shown]
	v_lshlrev_b32_e32 v14, 16, v12
	v_fma_mixlo_f16 v86, v83, v96, 0
	v_fma_mixlo_f16 v87, v83, v98, 0
	;; [unrolled: 1-line block ×3, first 2 shown]
	v_lshlrev_b32_e32 v0, 16, v0
	v_and_b32_e32 v11, 0xffff, v11
	v_and_b32_e32 v83, 0xffff, v84
	v_lshlrev_b32_e32 v84, 16, v85
	v_and_b32_e32 v85, 0xffff, v86
	v_lshlrev_b32_e32 v86, 16, v87
	v_and_b32_e32 v87, 0xffff, v12
	v_or_b32_e32 v13, v0, v11
	v_or_b32_e32 v14, v14, v83
	;; [unrolled: 1-line block ×3, first 2 shown]
	s_delay_alu instid0(VALU_DEP_4)
	v_or_b32_e32 v11, v86, v87
	s_and_saveexec_b32 s10, vcc_lo
	s_cbranch_execz .LBB369_1187
; %bb.1186:                             ;   in Loop: Header=BB369_1055 Depth=1
	v_cmp_lt_i32_e64 s0, v15, v36
	v_lshrrev_b32_e32 v83, 16, v14
	v_lshrrev_b32_e32 v84, 16, v13
	;; [unrolled: 1-line block ×4, first 2 shown]
	v_cndmask_b32_e64 v14, 0, v14, s0
	v_cmp_lt_i32_e64 s0, v82, v48
	s_delay_alu instid0(VALU_DEP_1) | instskip(SKIP_1) | instid1(VALU_DEP_2)
	v_cndmask_b32_e64 v83, 0, v83, s0
	v_cmp_lt_i32_e64 s0, v81, v48
	v_perm_b32 v14, v83, v14, 0x5040100
	s_delay_alu instid0(VALU_DEP_2) | instskip(SKIP_1) | instid1(VALU_DEP_1)
	v_cndmask_b32_e64 v84, 0, v84, s0
	v_cmp_lt_i32_e64 s0, v70, v36
	v_cndmask_b32_e64 v13, 0, v13, s0
	v_cmp_lt_i32_e64 s0, v65, v48
	s_delay_alu instid0(VALU_DEP_2) | instskip(NEXT) | instid1(VALU_DEP_2)
	v_perm_b32 v13, v84, v13, 0x5040100
	v_cndmask_b32_e64 v85, 0, v85, s0
	v_cmp_lt_i32_e64 s0, v64, v36
	s_delay_alu instid0(VALU_DEP_1) | instskip(SKIP_1) | instid1(VALU_DEP_2)
	v_cndmask_b32_e64 v0, 0, v0, s0
	v_cmp_lt_i32_e64 s0, v38, v48
	v_perm_b32 v0, v85, v0, 0x5040100
	s_delay_alu instid0(VALU_DEP_2) | instskip(SKIP_1) | instid1(VALU_DEP_1)
	v_cndmask_b32_e64 v11, 0, v11, s0
	v_cmp_lt_i32_e64 s0, v17, v36
	v_cndmask_b32_e64 v12, 0, v12, s0
	s_delay_alu instid0(VALU_DEP_1)
	v_perm_b32 v11, v11, v12, 0x5040100
.LBB369_1187:                           ;   in Loop: Header=BB369_1055 Depth=1
	s_or_b32 exec_lo, exec_lo, s10
	;;#ASMSTART
	v_pk_mul_f16 v12, v80, v14;

	;;#ASMEND
	;;#ASMSTART
	v_pk_mul_f16 v13, v69, v13;

	;;#ASMEND
	;; [unrolled: 4-line block ×4, first 2 shown]
	;;#ASMSTART
	v_pk_add_f16 v12, v12, v13;

	;;#ASMEND
	;;#ASMSTART
	v_pk_add_f16 v0, v12, v0;

	;;#ASMEND
	;; [unrolled: 4-line block ×3, first 2 shown]
	v_dual_mov_b32 v86, 0 :: v_dual_and_b32 v11, 0xffff, v0
	v_lshrrev_b32_e32 v0, 16, v0
	;;#ASMSTART
	v_cvt_f32_f16 v83, v11;
	;;#ASMEND
	;;#ASMSTART
	v_cvt_f32_f16 v84, v0;
	;;#ASMEND
	flat_load_b64 v[11:12], v[9:10] offset:512
	flat_load_b32 v85, v[26:27]
	s_mov_b32 s10, exec_lo
	s_waitcnt vmcnt(1) lgkmcnt(1)
	v_dual_mov_b32 v87, 0 :: v_dual_and_b32 v0, 0xff, v11
	s_delay_alu instid0(VALU_DEP_1)
	v_cmpx_ne_u16_e32 0, v0
	s_cbranch_execz .LBB369_1195
; %bb.1188:                             ;   in Loop: Header=BB369_1055 Depth=1
	v_bfrev_b32_e32 v86, 1
	s_mov_b32 s12, exec_lo
	v_cmpx_ne_u16_e32 0x80, v0
	s_cbranch_execz .LBB369_1194
; %bb.1189:                             ;   in Loop: Header=BB369_1055 Depth=1
	v_and_b32_e32 v13, 0x7f, v11
	v_mov_b32_e32 v86, 0x7fc02000
	s_mov_b32 s13, exec_lo
	s_delay_alu instid0(VALU_DEP_2)
	v_cmpx_ne_u32_e32 0x7f, v13
	s_cbranch_execz .LBB369_1193
; %bb.1190:                             ;   in Loop: Header=BB369_1055 Depth=1
	v_lshrrev_b32_e32 v0, 3, v13
	v_cmp_gt_u32_e64 s0, 8, v13
	v_dual_mov_b32 v14, v12 :: v_dual_mov_b32 v13, v11
	s_delay_alu instid0(VALU_DEP_2)
	s_and_saveexec_b32 s15, s0
; %bb.1191:                             ;   in Loop: Header=BB369_1055 Depth=1
	v_and_b32_e32 v0, 7, v11
	s_delay_alu instid0(VALU_DEP_1) | instskip(NEXT) | instid1(VALU_DEP_1)
	v_clz_i32_u32_e32 v0, v0
	v_min_u32_e32 v0, 32, v0
	s_delay_alu instid0(VALU_DEP_1) | instskip(SKIP_1) | instid1(VALU_DEP_2)
	v_subrev_nc_u32_e32 v13, 28, v0
	v_sub_nc_u32_e32 v0, 29, v0
	v_lshlrev_b64 v[13:14], v13, v[11:12]
; %bb.1192:                             ;   in Loop: Header=BB369_1055 Depth=1
	s_or_b32 exec_lo, exec_lo, s15
	v_lshlrev_b32_e32 v14, 8, v11
	s_delay_alu instid0(VALU_DEP_3) | instskip(NEXT) | instid1(VALU_DEP_3)
	v_lshl_add_u32 v0, v0, 10, 0x2000
	v_lshlrev_b32_e32 v13, 7, v13
	s_delay_alu instid0(VALU_DEP_2) | instskip(NEXT) | instid1(VALU_DEP_1)
	v_and_or_b32 v0, 0x8000, v14, v0
	v_and_or_b32 v0, 0x380, v13, v0
	s_delay_alu instid0(VALU_DEP_1)
	v_cvt_f32_f16_e32 v86, v0
.LBB369_1193:                           ;   in Loop: Header=BB369_1055 Depth=1
	s_or_b32 exec_lo, exec_lo, s13
.LBB369_1194:                           ;   in Loop: Header=BB369_1055 Depth=1
	s_delay_alu instid0(SALU_CYCLE_1)
	s_or_b32 exec_lo, exec_lo, s12
.LBB369_1195:                           ;   in Loop: Header=BB369_1055 Depth=1
	s_delay_alu instid0(SALU_CYCLE_1) | instskip(SKIP_2) | instid1(VALU_DEP_1)
	s_or_b32 exec_lo, exec_lo, s10
	v_lshrrev_b16 v0, 8, v11
	s_mov_b32 s10, exec_lo
	v_cmpx_ne_u16_e32 0, v0
	s_cbranch_execz .LBB369_1203
; %bb.1196:                             ;   in Loop: Header=BB369_1055 Depth=1
	v_bfrev_b32_e32 v87, 1
	s_mov_b32 s12, exec_lo
	v_cmpx_ne_u16_e32 0x80, v0
	s_cbranch_execz .LBB369_1202
; %bb.1197:                             ;   in Loop: Header=BB369_1055 Depth=1
	v_and_b32_e32 v96, 0xffff, v0
	v_mov_b32_e32 v87, 0x7fc02000
	s_mov_b32 s13, exec_lo
	s_delay_alu instid0(VALU_DEP_2) | instskip(NEXT) | instid1(VALU_DEP_1)
	v_and_b32_e32 v13, 0x7f, v96
	v_cmpx_ne_u32_e32 0x7f, v13
	s_cbranch_execz .LBB369_1201
; %bb.1198:                             ;   in Loop: Header=BB369_1055 Depth=1
	v_and_b32_e32 v0, 7, v96
	v_lshrrev_b32_e32 v87, 3, v13
	v_cmp_gt_u32_e64 s0, 8, v13
	s_delay_alu instid0(VALU_DEP_3) | instskip(NEXT) | instid1(VALU_DEP_2)
	v_dual_mov_b32 v14, v1 :: v_dual_mov_b32 v13, v0
	s_and_saveexec_b32 s15, s0
; %bb.1199:                             ;   in Loop: Header=BB369_1055 Depth=1
	v_clz_i32_u32_e32 v13, v0
	s_delay_alu instid0(VALU_DEP_1) | instskip(NEXT) | instid1(VALU_DEP_1)
	v_min_u32_e32 v87, 32, v13
	v_subrev_nc_u32_e32 v13, 28, v87
	v_sub_nc_u32_e32 v87, 29, v87
	s_delay_alu instid0(VALU_DEP_2) | instskip(NEXT) | instid1(VALU_DEP_1)
	v_lshlrev_b64 v[13:14], v13, v[0:1]
	v_and_b32_e32 v13, 7, v13
; %bb.1200:                             ;   in Loop: Header=BB369_1055 Depth=1
	s_or_b32 exec_lo, exec_lo, s15
	v_lshlrev_b32_e32 v0, 8, v96
	v_lshl_add_u32 v14, v87, 10, 0x2000
	s_delay_alu instid0(VALU_DEP_1) | instskip(NEXT) | instid1(VALU_DEP_1)
	v_and_or_b32 v0, 0x8000, v0, v14
	v_lshl_or_b32 v0, v13, 7, v0
	s_delay_alu instid0(VALU_DEP_1)
	v_cvt_f32_f16_e32 v87, v0
.LBB369_1201:                           ;   in Loop: Header=BB369_1055 Depth=1
	s_or_b32 exec_lo, exec_lo, s13
.LBB369_1202:                           ;   in Loop: Header=BB369_1055 Depth=1
	s_delay_alu instid0(SALU_CYCLE_1)
	s_or_b32 exec_lo, exec_lo, s12
.LBB369_1203:                           ;   in Loop: Header=BB369_1055 Depth=1
	s_delay_alu instid0(SALU_CYCLE_1) | instskip(SKIP_3) | instid1(VALU_DEP_2)
	s_or_b32 exec_lo, exec_lo, s10
	v_lshrrev_b32_e32 v98, 16, v11
	v_mov_b32_e32 v96, 0
	s_mov_b32 s10, exec_lo
	v_dual_mov_b32 v97, 0 :: v_dual_and_b32 v0, 0xff, v98
	s_delay_alu instid0(VALU_DEP_1)
	v_cmpx_ne_u16_e32 0, v0
	s_cbranch_execz .LBB369_1211
; %bb.1204:                             ;   in Loop: Header=BB369_1055 Depth=1
	v_bfrev_b32_e32 v96, 1
	s_mov_b32 s12, exec_lo
	v_cmpx_ne_u16_e32 0x80, v0
	s_cbranch_execz .LBB369_1210
; %bb.1205:                             ;   in Loop: Header=BB369_1055 Depth=1
	v_bfe_u32 v13, v11, 16, 7
	v_mov_b32_e32 v96, 0x7fc02000
	s_mov_b32 s13, exec_lo
	s_delay_alu instid0(VALU_DEP_2)
	v_cmpx_ne_u32_e32 0x7f, v13
	s_cbranch_execz .LBB369_1209
; %bb.1206:                             ;   in Loop: Header=BB369_1055 Depth=1
	v_and_b32_e32 v0, 7, v98
	v_lshrrev_b32_e32 v96, 3, v13
	v_cmp_gt_u32_e64 s0, 8, v13
	s_delay_alu instid0(VALU_DEP_3) | instskip(NEXT) | instid1(VALU_DEP_2)
	v_dual_mov_b32 v14, v1 :: v_dual_mov_b32 v13, v0
	s_and_saveexec_b32 s15, s0
; %bb.1207:                             ;   in Loop: Header=BB369_1055 Depth=1
	v_clz_i32_u32_e32 v13, v0
	s_delay_alu instid0(VALU_DEP_1) | instskip(NEXT) | instid1(VALU_DEP_1)
	v_min_u32_e32 v96, 32, v13
	v_subrev_nc_u32_e32 v13, 28, v96
	v_sub_nc_u32_e32 v96, 29, v96
	s_delay_alu instid0(VALU_DEP_2) | instskip(NEXT) | instid1(VALU_DEP_1)
	v_lshlrev_b64 v[13:14], v13, v[0:1]
	v_and_b32_e32 v13, 7, v13
; %bb.1208:                             ;   in Loop: Header=BB369_1055 Depth=1
	s_or_b32 exec_lo, exec_lo, s15
	v_lshlrev_b32_e32 v0, 8, v98
	v_lshl_add_u32 v14, v96, 10, 0x2000
	s_delay_alu instid0(VALU_DEP_1) | instskip(NEXT) | instid1(VALU_DEP_1)
	v_and_or_b32 v0, 0x8000, v0, v14
	v_lshl_or_b32 v0, v13, 7, v0
	s_delay_alu instid0(VALU_DEP_1)
	v_cvt_f32_f16_e32 v96, v0
.LBB369_1209:                           ;   in Loop: Header=BB369_1055 Depth=1
	s_or_b32 exec_lo, exec_lo, s13
.LBB369_1210:                           ;   in Loop: Header=BB369_1055 Depth=1
	s_delay_alu instid0(SALU_CYCLE_1)
	s_or_b32 exec_lo, exec_lo, s12
.LBB369_1211:                           ;   in Loop: Header=BB369_1055 Depth=1
	s_delay_alu instid0(SALU_CYCLE_1) | instskip(NEXT) | instid1(SALU_CYCLE_1)
	s_or_b32 exec_lo, exec_lo, s10
	s_mov_b32 s10, exec_lo
	v_cmpx_lt_u32_e32 0xffffff, v11
	s_cbranch_execz .LBB369_1219
; %bb.1212:                             ;   in Loop: Header=BB369_1055 Depth=1
	v_lshrrev_b32_e32 v98, 24, v11
	v_bfrev_b32_e32 v97, 1
	s_mov_b32 s12, exec_lo
	s_delay_alu instid0(VALU_DEP_2)
	v_cmpx_ne_u32_e32 0x80, v98
	s_cbranch_execz .LBB369_1218
; %bb.1213:                             ;   in Loop: Header=BB369_1055 Depth=1
	v_and_b32_e32 v13, 0x7f, v98
	v_mov_b32_e32 v97, 0x7fc02000
	s_mov_b32 s13, exec_lo
	s_delay_alu instid0(VALU_DEP_2)
	v_cmpx_ne_u32_e32 0x7f, v13
	s_cbranch_execz .LBB369_1217
; %bb.1214:                             ;   in Loop: Header=BB369_1055 Depth=1
	v_and_b32_e32 v0, 7, v98
	v_lshrrev_b32_e32 v97, 3, v13
	v_cmp_gt_u32_e64 s0, 8, v13
	s_delay_alu instid0(VALU_DEP_3) | instskip(NEXT) | instid1(VALU_DEP_2)
	v_dual_mov_b32 v14, v1 :: v_dual_mov_b32 v13, v0
	s_and_saveexec_b32 s15, s0
; %bb.1215:                             ;   in Loop: Header=BB369_1055 Depth=1
	v_clz_i32_u32_e32 v13, v0
	s_delay_alu instid0(VALU_DEP_1) | instskip(NEXT) | instid1(VALU_DEP_1)
	v_min_u32_e32 v97, 32, v13
	v_subrev_nc_u32_e32 v13, 28, v97
	v_sub_nc_u32_e32 v97, 29, v97
	s_delay_alu instid0(VALU_DEP_2) | instskip(NEXT) | instid1(VALU_DEP_1)
	v_lshlrev_b64 v[13:14], v13, v[0:1]
	v_and_b32_e32 v13, 7, v13
; %bb.1216:                             ;   in Loop: Header=BB369_1055 Depth=1
	s_or_b32 exec_lo, exec_lo, s15
	v_lshlrev_b32_e32 v0, 8, v98
	v_lshl_add_u32 v14, v97, 10, 0x2000
	s_delay_alu instid0(VALU_DEP_1) | instskip(NEXT) | instid1(VALU_DEP_1)
	v_and_or_b32 v0, 0x8000, v0, v14
	v_lshl_or_b32 v0, v13, 7, v0
	s_delay_alu instid0(VALU_DEP_1)
	v_cvt_f32_f16_e32 v97, v0
.LBB369_1217:                           ;   in Loop: Header=BB369_1055 Depth=1
	s_or_b32 exec_lo, exec_lo, s13
.LBB369_1218:                           ;   in Loop: Header=BB369_1055 Depth=1
	s_delay_alu instid0(SALU_CYCLE_1)
	s_or_b32 exec_lo, exec_lo, s12
.LBB369_1219:                           ;   in Loop: Header=BB369_1055 Depth=1
	s_delay_alu instid0(SALU_CYCLE_1) | instskip(SKIP_3) | instid1(VALU_DEP_2)
	s_or_b32 exec_lo, exec_lo, s10
	v_dual_mov_b32 v0, v12 :: v_dual_and_b32 v13, 0xff, v12
	v_dual_mov_b32 v99, 0 :: v_dual_mov_b32 v98, 0
	s_mov_b32 s10, exec_lo
	v_cmpx_ne_u16_e32 0, v13
	s_cbranch_execz .LBB369_1227
; %bb.1220:                             ;   in Loop: Header=BB369_1055 Depth=1
	v_bfrev_b32_e32 v98, 1
	s_mov_b32 s12, exec_lo
	v_cmpx_ne_u16_e32 0x80, v13
	s_cbranch_execz .LBB369_1226
; %bb.1221:                             ;   in Loop: Header=BB369_1055 Depth=1
	v_and_b32_e32 v13, 0x7f, v12
	v_mov_b32_e32 v98, 0x7fc02000
	s_mov_b32 s13, exec_lo
	s_delay_alu instid0(VALU_DEP_2)
	v_cmpx_ne_u32_e32 0x7f, v13
	s_cbranch_execz .LBB369_1225
; %bb.1222:                             ;   in Loop: Header=BB369_1055 Depth=1
	v_lshrrev_b32_e32 v98, 3, v13
	v_cmp_gt_u32_e64 s0, 8, v13
	v_dual_mov_b32 v14, v1 :: v_dual_mov_b32 v13, v0
	s_delay_alu instid0(VALU_DEP_2)
	s_and_saveexec_b32 s15, s0
; %bb.1223:                             ;   in Loop: Header=BB369_1055 Depth=1
	v_and_b32_e32 v13, 7, v12
	s_delay_alu instid0(VALU_DEP_1) | instskip(NEXT) | instid1(VALU_DEP_1)
	v_clz_i32_u32_e32 v13, v13
	v_min_u32_e32 v98, 32, v13
	s_delay_alu instid0(VALU_DEP_1) | instskip(SKIP_1) | instid1(VALU_DEP_2)
	v_subrev_nc_u32_e32 v13, 28, v98
	v_sub_nc_u32_e32 v98, 29, v98
	v_lshlrev_b64 v[13:14], v13, v[0:1]
; %bb.1224:                             ;   in Loop: Header=BB369_1055 Depth=1
	s_or_b32 exec_lo, exec_lo, s15
	v_lshlrev_b32_e32 v14, 8, v12
	s_delay_alu instid0(VALU_DEP_3) | instskip(NEXT) | instid1(VALU_DEP_3)
	v_lshl_add_u32 v98, v98, 10, 0x2000
	v_lshlrev_b32_e32 v13, 7, v13
	s_delay_alu instid0(VALU_DEP_2) | instskip(NEXT) | instid1(VALU_DEP_1)
	v_and_or_b32 v14, 0x8000, v14, v98
	v_and_or_b32 v13, 0x380, v13, v14
	s_delay_alu instid0(VALU_DEP_1)
	v_cvt_f32_f16_e32 v98, v13
.LBB369_1225:                           ;   in Loop: Header=BB369_1055 Depth=1
	s_or_b32 exec_lo, exec_lo, s13
.LBB369_1226:                           ;   in Loop: Header=BB369_1055 Depth=1
	s_delay_alu instid0(SALU_CYCLE_1)
	s_or_b32 exec_lo, exec_lo, s12
.LBB369_1227:                           ;   in Loop: Header=BB369_1055 Depth=1
	s_delay_alu instid0(SALU_CYCLE_1) | instskip(SKIP_2) | instid1(VALU_DEP_1)
	s_or_b32 exec_lo, exec_lo, s10
	v_lshrrev_b16 v0, 8, v0
	s_mov_b32 s10, exec_lo
	v_cmpx_ne_u16_e32 0, v0
	s_cbranch_execz .LBB369_1235
; %bb.1228:                             ;   in Loop: Header=BB369_1055 Depth=1
	v_bfrev_b32_e32 v99, 1
	s_mov_b32 s12, exec_lo
	v_cmpx_ne_u16_e32 0x80, v0
	s_cbranch_execz .LBB369_1234
; %bb.1229:                             ;   in Loop: Header=BB369_1055 Depth=1
	v_and_b32_e32 v100, 0xffff, v0
	v_mov_b32_e32 v99, 0x7fc02000
	s_mov_b32 s13, exec_lo
	s_delay_alu instid0(VALU_DEP_2) | instskip(NEXT) | instid1(VALU_DEP_1)
	v_and_b32_e32 v13, 0x7f, v100
	v_cmpx_ne_u32_e32 0x7f, v13
	s_cbranch_execz .LBB369_1233
; %bb.1230:                             ;   in Loop: Header=BB369_1055 Depth=1
	v_and_b32_e32 v0, 7, v100
	v_lshrrev_b32_e32 v99, 3, v13
	v_cmp_gt_u32_e64 s0, 8, v13
	s_delay_alu instid0(VALU_DEP_3) | instskip(NEXT) | instid1(VALU_DEP_2)
	v_dual_mov_b32 v14, v1 :: v_dual_mov_b32 v13, v0
	s_and_saveexec_b32 s15, s0
; %bb.1231:                             ;   in Loop: Header=BB369_1055 Depth=1
	v_clz_i32_u32_e32 v13, v0
	s_delay_alu instid0(VALU_DEP_1) | instskip(NEXT) | instid1(VALU_DEP_1)
	v_min_u32_e32 v99, 32, v13
	v_subrev_nc_u32_e32 v13, 28, v99
	v_sub_nc_u32_e32 v99, 29, v99
	s_delay_alu instid0(VALU_DEP_2) | instskip(NEXT) | instid1(VALU_DEP_1)
	v_lshlrev_b64 v[13:14], v13, v[0:1]
	v_and_b32_e32 v13, 7, v13
; %bb.1232:                             ;   in Loop: Header=BB369_1055 Depth=1
	s_or_b32 exec_lo, exec_lo, s15
	v_lshlrev_b32_e32 v0, 8, v100
	v_lshl_add_u32 v14, v99, 10, 0x2000
	s_delay_alu instid0(VALU_DEP_1) | instskip(NEXT) | instid1(VALU_DEP_1)
	v_and_or_b32 v0, 0x8000, v0, v14
	v_lshl_or_b32 v0, v13, 7, v0
	s_delay_alu instid0(VALU_DEP_1)
	v_cvt_f32_f16_e32 v99, v0
.LBB369_1233:                           ;   in Loop: Header=BB369_1055 Depth=1
	s_or_b32 exec_lo, exec_lo, s13
.LBB369_1234:                           ;   in Loop: Header=BB369_1055 Depth=1
	s_delay_alu instid0(SALU_CYCLE_1)
	s_or_b32 exec_lo, exec_lo, s12
.LBB369_1235:                           ;   in Loop: Header=BB369_1055 Depth=1
	s_delay_alu instid0(SALU_CYCLE_1) | instskip(SKIP_3) | instid1(VALU_DEP_2)
	s_or_b32 exec_lo, exec_lo, s10
	v_lshrrev_b32_e32 v101, 16, v12
	v_mov_b32_e32 v100, 0
	s_mov_b32 s10, exec_lo
	v_dual_mov_b32 v13, 0 :: v_dual_and_b32 v0, 0xff, v101
	s_delay_alu instid0(VALU_DEP_1)
	v_cmpx_ne_u16_e32 0, v0
	s_cbranch_execz .LBB369_1243
; %bb.1236:                             ;   in Loop: Header=BB369_1055 Depth=1
	v_bfrev_b32_e32 v13, 1
	s_mov_b32 s12, exec_lo
	v_cmpx_ne_u16_e32 0x80, v0
	s_cbranch_execz .LBB369_1242
; %bb.1237:                             ;   in Loop: Header=BB369_1055 Depth=1
	v_bfe_u32 v14, v12, 16, 7
	v_mov_b32_e32 v13, 0x7fc02000
	s_mov_b32 s13, exec_lo
	s_delay_alu instid0(VALU_DEP_2)
	v_cmpx_ne_u32_e32 0x7f, v14
	s_cbranch_execz .LBB369_1241
; %bb.1238:                             ;   in Loop: Header=BB369_1055 Depth=1
	v_and_b32_e32 v0, 7, v101
	v_lshrrev_b32_e32 v102, 3, v14
	v_cmp_gt_u32_e64 s0, 8, v14
	s_delay_alu instid0(VALU_DEP_3) | instskip(NEXT) | instid1(VALU_DEP_2)
	v_dual_mov_b32 v14, v1 :: v_dual_mov_b32 v13, v0
	s_and_saveexec_b32 s15, s0
; %bb.1239:                             ;   in Loop: Header=BB369_1055 Depth=1
	v_clz_i32_u32_e32 v13, v0
	s_delay_alu instid0(VALU_DEP_1) | instskip(NEXT) | instid1(VALU_DEP_1)
	v_min_u32_e32 v102, 32, v13
	v_subrev_nc_u32_e32 v13, 28, v102
	v_sub_nc_u32_e32 v102, 29, v102
	s_delay_alu instid0(VALU_DEP_2) | instskip(NEXT) | instid1(VALU_DEP_1)
	v_lshlrev_b64 v[13:14], v13, v[0:1]
	v_and_b32_e32 v13, 7, v13
; %bb.1240:                             ;   in Loop: Header=BB369_1055 Depth=1
	s_or_b32 exec_lo, exec_lo, s15
	v_lshlrev_b32_e32 v0, 8, v101
	v_lshl_add_u32 v14, v102, 10, 0x2000
	s_delay_alu instid0(VALU_DEP_1) | instskip(NEXT) | instid1(VALU_DEP_1)
	v_and_or_b32 v0, 0x8000, v0, v14
	v_lshl_or_b32 v0, v13, 7, v0
	s_delay_alu instid0(VALU_DEP_1)
	v_cvt_f32_f16_e32 v13, v0
.LBB369_1241:                           ;   in Loop: Header=BB369_1055 Depth=1
	s_or_b32 exec_lo, exec_lo, s13
.LBB369_1242:                           ;   in Loop: Header=BB369_1055 Depth=1
	s_delay_alu instid0(SALU_CYCLE_1)
	s_or_b32 exec_lo, exec_lo, s12
.LBB369_1243:                           ;   in Loop: Header=BB369_1055 Depth=1
	s_delay_alu instid0(SALU_CYCLE_1) | instskip(NEXT) | instid1(SALU_CYCLE_1)
	s_or_b32 exec_lo, exec_lo, s10
	s_mov_b32 s10, exec_lo
	v_cmpx_lt_u64_e64 s[8:9], v[11:12]
	s_cbranch_execz .LBB369_1251
; %bb.1244:                             ;   in Loop: Header=BB369_1055 Depth=1
	v_lshrrev_b32_e32 v14, 24, v12
	v_bfrev_b32_e32 v100, 1
	s_mov_b32 s12, exec_lo
	s_delay_alu instid0(VALU_DEP_2)
	v_cmpx_ne_u32_e32 0x80, v14
	s_cbranch_execz .LBB369_1250
; %bb.1245:                             ;   in Loop: Header=BB369_1055 Depth=1
	v_and_b32_e32 v11, 0x7f, v14
	v_mov_b32_e32 v100, 0x7fc02000
	s_mov_b32 s13, exec_lo
	s_delay_alu instid0(VALU_DEP_2)
	v_cmpx_ne_u32_e32 0x7f, v11
	s_cbranch_execz .LBB369_1249
; %bb.1246:                             ;   in Loop: Header=BB369_1055 Depth=1
	v_and_b32_e32 v0, 7, v14
	v_lshrrev_b32_e32 v100, 3, v11
	v_cmp_gt_u32_e64 s0, 8, v11
	s_delay_alu instid0(VALU_DEP_3) | instskip(NEXT) | instid1(VALU_DEP_2)
	v_dual_mov_b32 v12, v1 :: v_dual_mov_b32 v11, v0
	s_and_saveexec_b32 s15, s0
; %bb.1247:                             ;   in Loop: Header=BB369_1055 Depth=1
	v_clz_i32_u32_e32 v11, v0
	s_delay_alu instid0(VALU_DEP_1) | instskip(NEXT) | instid1(VALU_DEP_1)
	v_min_u32_e32 v100, 32, v11
	v_subrev_nc_u32_e32 v11, 28, v100
	v_sub_nc_u32_e32 v100, 29, v100
	s_delay_alu instid0(VALU_DEP_2) | instskip(NEXT) | instid1(VALU_DEP_1)
	v_lshlrev_b64 v[11:12], v11, v[0:1]
	v_and_b32_e32 v11, 7, v11
; %bb.1248:                             ;   in Loop: Header=BB369_1055 Depth=1
	s_or_b32 exec_lo, exec_lo, s15
	v_lshlrev_b32_e32 v0, 8, v14
	v_lshl_add_u32 v12, v100, 10, 0x2000
	s_delay_alu instid0(VALU_DEP_1) | instskip(NEXT) | instid1(VALU_DEP_1)
	v_and_or_b32 v0, 0x8000, v0, v12
	v_lshl_or_b32 v0, v11, 7, v0
	s_delay_alu instid0(VALU_DEP_1)
	v_cvt_f32_f16_e32 v100, v0
.LBB369_1249:                           ;   in Loop: Header=BB369_1055 Depth=1
	s_or_b32 exec_lo, exec_lo, s13
.LBB369_1250:                           ;   in Loop: Header=BB369_1055 Depth=1
	s_delay_alu instid0(SALU_CYCLE_1)
	s_or_b32 exec_lo, exec_lo, s12
.LBB369_1251:                           ;   in Loop: Header=BB369_1055 Depth=1
	s_delay_alu instid0(SALU_CYCLE_1)
	s_or_b32 exec_lo, exec_lo, s10
	s_waitcnt vmcnt(0) lgkmcnt(0)
	v_fma_mixlo_f16 v12, v85, v87, 0
	v_fma_mixlo_f16 v0, v85, v97, 0
	;; [unrolled: 1-line block ×5, first 2 shown]
	v_lshlrev_b32_e32 v14, 16, v12
	v_fma_mixlo_f16 v96, v85, v98, 0
	v_fma_mixlo_f16 v97, v85, v100, 0
	;; [unrolled: 1-line block ×3, first 2 shown]
	v_lshlrev_b32_e32 v0, 16, v0
	v_and_b32_e32 v11, 0xffff, v11
	v_and_b32_e32 v85, 0xffff, v86
	v_lshlrev_b32_e32 v86, 16, v87
	v_and_b32_e32 v87, 0xffff, v96
	v_lshlrev_b32_e32 v96, 16, v97
	v_and_b32_e32 v97, 0xffff, v12
	v_or_b32_e32 v13, v0, v11
	v_or_b32_e32 v14, v14, v85
	;; [unrolled: 1-line block ×3, first 2 shown]
	s_delay_alu instid0(VALU_DEP_4)
	v_or_b32_e32 v11, v96, v97
	s_and_saveexec_b32 s10, vcc_lo
	s_cbranch_execz .LBB369_1253
; %bb.1252:                             ;   in Loop: Header=BB369_1055 Depth=1
	v_cmp_lt_i32_e64 s0, v15, v36
	v_lshrrev_b32_e32 v85, 16, v14
	v_lshrrev_b32_e32 v86, 16, v13
	;; [unrolled: 1-line block ×4, first 2 shown]
	v_cndmask_b32_e64 v14, 0, v14, s0
	v_cmp_lt_i32_e64 s0, v82, v48
	s_delay_alu instid0(VALU_DEP_1) | instskip(SKIP_1) | instid1(VALU_DEP_2)
	v_cndmask_b32_e64 v85, 0, v85, s0
	v_cmp_lt_i32_e64 s0, v81, v48
	v_perm_b32 v14, v85, v14, 0x5040100
	s_delay_alu instid0(VALU_DEP_2) | instskip(SKIP_1) | instid1(VALU_DEP_1)
	v_cndmask_b32_e64 v86, 0, v86, s0
	v_cmp_lt_i32_e64 s0, v70, v36
	v_cndmask_b32_e64 v13, 0, v13, s0
	v_cmp_lt_i32_e64 s0, v65, v48
	s_delay_alu instid0(VALU_DEP_2) | instskip(NEXT) | instid1(VALU_DEP_2)
	v_perm_b32 v13, v86, v13, 0x5040100
	v_cndmask_b32_e64 v87, 0, v87, s0
	v_cmp_lt_i32_e64 s0, v64, v36
	s_delay_alu instid0(VALU_DEP_1) | instskip(SKIP_1) | instid1(VALU_DEP_2)
	v_cndmask_b32_e64 v0, 0, v0, s0
	v_cmp_lt_i32_e64 s0, v38, v48
	v_perm_b32 v0, v87, v0, 0x5040100
	s_delay_alu instid0(VALU_DEP_2) | instskip(SKIP_1) | instid1(VALU_DEP_1)
	v_cndmask_b32_e64 v11, 0, v11, s0
	v_cmp_lt_i32_e64 s0, v17, v36
	v_cndmask_b32_e64 v12, 0, v12, s0
	s_delay_alu instid0(VALU_DEP_1)
	v_perm_b32 v11, v11, v12, 0x5040100
.LBB369_1253:                           ;   in Loop: Header=BB369_1055 Depth=1
	s_or_b32 exec_lo, exec_lo, s10
	;;#ASMSTART
	v_pk_mul_f16 v12, v80, v14;

	;;#ASMEND
	;;#ASMSTART
	v_pk_mul_f16 v13, v69, v13;

	;;#ASMEND
	;; [unrolled: 4-line block ×4, first 2 shown]
	;;#ASMSTART
	v_pk_add_f16 v12, v12, v13;

	;;#ASMEND
	;;#ASMSTART
	v_pk_add_f16 v0, v12, v0;

	;;#ASMEND
	;; [unrolled: 4-line block ×3, first 2 shown]
	v_dual_mov_b32 v96, 0 :: v_dual_and_b32 v11, 0xffff, v0
	v_lshrrev_b32_e32 v0, 16, v0
	;;#ASMSTART
	v_cvt_f32_f16 v85, v11;
	;;#ASMEND
	;;#ASMSTART
	v_cvt_f32_f16 v86, v0;
	;;#ASMEND
	flat_load_b64 v[11:12], v[9:10] offset:768
	flat_load_b32 v87, v[26:27]
	s_mov_b32 s10, exec_lo
	s_waitcnt vmcnt(1) lgkmcnt(1)
	v_dual_mov_b32 v97, 0 :: v_dual_and_b32 v0, 0xff, v11
	s_delay_alu instid0(VALU_DEP_1)
	v_cmpx_ne_u16_e32 0, v0
	s_cbranch_execz .LBB369_1261
; %bb.1254:                             ;   in Loop: Header=BB369_1055 Depth=1
	v_bfrev_b32_e32 v96, 1
	s_mov_b32 s12, exec_lo
	v_cmpx_ne_u16_e32 0x80, v0
	s_cbranch_execz .LBB369_1260
; %bb.1255:                             ;   in Loop: Header=BB369_1055 Depth=1
	v_and_b32_e32 v13, 0x7f, v11
	v_mov_b32_e32 v96, 0x7fc02000
	s_mov_b32 s13, exec_lo
	s_delay_alu instid0(VALU_DEP_2)
	v_cmpx_ne_u32_e32 0x7f, v13
	s_cbranch_execz .LBB369_1259
; %bb.1256:                             ;   in Loop: Header=BB369_1055 Depth=1
	v_lshrrev_b32_e32 v0, 3, v13
	v_cmp_gt_u32_e64 s0, 8, v13
	v_dual_mov_b32 v14, v12 :: v_dual_mov_b32 v13, v11
	s_delay_alu instid0(VALU_DEP_2)
	s_and_saveexec_b32 s15, s0
; %bb.1257:                             ;   in Loop: Header=BB369_1055 Depth=1
	v_and_b32_e32 v0, 7, v11
	s_delay_alu instid0(VALU_DEP_1) | instskip(NEXT) | instid1(VALU_DEP_1)
	v_clz_i32_u32_e32 v0, v0
	v_min_u32_e32 v0, 32, v0
	s_delay_alu instid0(VALU_DEP_1) | instskip(SKIP_1) | instid1(VALU_DEP_2)
	v_subrev_nc_u32_e32 v13, 28, v0
	v_sub_nc_u32_e32 v0, 29, v0
	v_lshlrev_b64 v[13:14], v13, v[11:12]
; %bb.1258:                             ;   in Loop: Header=BB369_1055 Depth=1
	s_or_b32 exec_lo, exec_lo, s15
	v_lshlrev_b32_e32 v14, 8, v11
	s_delay_alu instid0(VALU_DEP_3) | instskip(NEXT) | instid1(VALU_DEP_3)
	v_lshl_add_u32 v0, v0, 10, 0x2000
	v_lshlrev_b32_e32 v13, 7, v13
	s_delay_alu instid0(VALU_DEP_2) | instskip(NEXT) | instid1(VALU_DEP_1)
	v_and_or_b32 v0, 0x8000, v14, v0
	v_and_or_b32 v0, 0x380, v13, v0
	s_delay_alu instid0(VALU_DEP_1)
	v_cvt_f32_f16_e32 v96, v0
.LBB369_1259:                           ;   in Loop: Header=BB369_1055 Depth=1
	s_or_b32 exec_lo, exec_lo, s13
.LBB369_1260:                           ;   in Loop: Header=BB369_1055 Depth=1
	s_delay_alu instid0(SALU_CYCLE_1)
	s_or_b32 exec_lo, exec_lo, s12
.LBB369_1261:                           ;   in Loop: Header=BB369_1055 Depth=1
	s_delay_alu instid0(SALU_CYCLE_1) | instskip(SKIP_2) | instid1(VALU_DEP_1)
	s_or_b32 exec_lo, exec_lo, s10
	v_lshrrev_b16 v0, 8, v11
	s_mov_b32 s10, exec_lo
	v_cmpx_ne_u16_e32 0, v0
	s_cbranch_execz .LBB369_1269
; %bb.1262:                             ;   in Loop: Header=BB369_1055 Depth=1
	v_bfrev_b32_e32 v97, 1
	s_mov_b32 s12, exec_lo
	v_cmpx_ne_u16_e32 0x80, v0
	s_cbranch_execz .LBB369_1268
; %bb.1263:                             ;   in Loop: Header=BB369_1055 Depth=1
	v_and_b32_e32 v98, 0xffff, v0
	v_mov_b32_e32 v97, 0x7fc02000
	s_mov_b32 s13, exec_lo
	s_delay_alu instid0(VALU_DEP_2) | instskip(NEXT) | instid1(VALU_DEP_1)
	v_and_b32_e32 v13, 0x7f, v98
	v_cmpx_ne_u32_e32 0x7f, v13
	s_cbranch_execz .LBB369_1267
; %bb.1264:                             ;   in Loop: Header=BB369_1055 Depth=1
	v_and_b32_e32 v0, 7, v98
	v_lshrrev_b32_e32 v97, 3, v13
	v_cmp_gt_u32_e64 s0, 8, v13
	s_delay_alu instid0(VALU_DEP_3) | instskip(NEXT) | instid1(VALU_DEP_2)
	v_dual_mov_b32 v14, v1 :: v_dual_mov_b32 v13, v0
	s_and_saveexec_b32 s15, s0
; %bb.1265:                             ;   in Loop: Header=BB369_1055 Depth=1
	v_clz_i32_u32_e32 v13, v0
	s_delay_alu instid0(VALU_DEP_1) | instskip(NEXT) | instid1(VALU_DEP_1)
	v_min_u32_e32 v97, 32, v13
	v_subrev_nc_u32_e32 v13, 28, v97
	v_sub_nc_u32_e32 v97, 29, v97
	s_delay_alu instid0(VALU_DEP_2) | instskip(NEXT) | instid1(VALU_DEP_1)
	v_lshlrev_b64 v[13:14], v13, v[0:1]
	v_and_b32_e32 v13, 7, v13
; %bb.1266:                             ;   in Loop: Header=BB369_1055 Depth=1
	s_or_b32 exec_lo, exec_lo, s15
	v_lshlrev_b32_e32 v0, 8, v98
	v_lshl_add_u32 v14, v97, 10, 0x2000
	s_delay_alu instid0(VALU_DEP_1) | instskip(NEXT) | instid1(VALU_DEP_1)
	v_and_or_b32 v0, 0x8000, v0, v14
	v_lshl_or_b32 v0, v13, 7, v0
	s_delay_alu instid0(VALU_DEP_1)
	v_cvt_f32_f16_e32 v97, v0
.LBB369_1267:                           ;   in Loop: Header=BB369_1055 Depth=1
	s_or_b32 exec_lo, exec_lo, s13
.LBB369_1268:                           ;   in Loop: Header=BB369_1055 Depth=1
	s_delay_alu instid0(SALU_CYCLE_1)
	s_or_b32 exec_lo, exec_lo, s12
.LBB369_1269:                           ;   in Loop: Header=BB369_1055 Depth=1
	s_delay_alu instid0(SALU_CYCLE_1) | instskip(SKIP_3) | instid1(VALU_DEP_2)
	s_or_b32 exec_lo, exec_lo, s10
	v_lshrrev_b32_e32 v100, 16, v11
	v_mov_b32_e32 v98, 0
	s_mov_b32 s10, exec_lo
	v_dual_mov_b32 v99, 0 :: v_dual_and_b32 v0, 0xff, v100
	s_delay_alu instid0(VALU_DEP_1)
	v_cmpx_ne_u16_e32 0, v0
	s_cbranch_execz .LBB369_1277
; %bb.1270:                             ;   in Loop: Header=BB369_1055 Depth=1
	v_bfrev_b32_e32 v98, 1
	s_mov_b32 s12, exec_lo
	v_cmpx_ne_u16_e32 0x80, v0
	s_cbranch_execz .LBB369_1276
; %bb.1271:                             ;   in Loop: Header=BB369_1055 Depth=1
	v_bfe_u32 v13, v11, 16, 7
	v_mov_b32_e32 v98, 0x7fc02000
	s_mov_b32 s13, exec_lo
	s_delay_alu instid0(VALU_DEP_2)
	v_cmpx_ne_u32_e32 0x7f, v13
	s_cbranch_execz .LBB369_1275
; %bb.1272:                             ;   in Loop: Header=BB369_1055 Depth=1
	v_and_b32_e32 v0, 7, v100
	v_lshrrev_b32_e32 v98, 3, v13
	v_cmp_gt_u32_e64 s0, 8, v13
	s_delay_alu instid0(VALU_DEP_3) | instskip(NEXT) | instid1(VALU_DEP_2)
	v_dual_mov_b32 v14, v1 :: v_dual_mov_b32 v13, v0
	s_and_saveexec_b32 s15, s0
; %bb.1273:                             ;   in Loop: Header=BB369_1055 Depth=1
	v_clz_i32_u32_e32 v13, v0
	s_delay_alu instid0(VALU_DEP_1) | instskip(NEXT) | instid1(VALU_DEP_1)
	v_min_u32_e32 v98, 32, v13
	v_subrev_nc_u32_e32 v13, 28, v98
	v_sub_nc_u32_e32 v98, 29, v98
	s_delay_alu instid0(VALU_DEP_2) | instskip(NEXT) | instid1(VALU_DEP_1)
	v_lshlrev_b64 v[13:14], v13, v[0:1]
	v_and_b32_e32 v13, 7, v13
; %bb.1274:                             ;   in Loop: Header=BB369_1055 Depth=1
	s_or_b32 exec_lo, exec_lo, s15
	v_lshlrev_b32_e32 v0, 8, v100
	v_lshl_add_u32 v14, v98, 10, 0x2000
	s_delay_alu instid0(VALU_DEP_1) | instskip(NEXT) | instid1(VALU_DEP_1)
	v_and_or_b32 v0, 0x8000, v0, v14
	v_lshl_or_b32 v0, v13, 7, v0
	s_delay_alu instid0(VALU_DEP_1)
	v_cvt_f32_f16_e32 v98, v0
.LBB369_1275:                           ;   in Loop: Header=BB369_1055 Depth=1
	s_or_b32 exec_lo, exec_lo, s13
.LBB369_1276:                           ;   in Loop: Header=BB369_1055 Depth=1
	s_delay_alu instid0(SALU_CYCLE_1)
	s_or_b32 exec_lo, exec_lo, s12
.LBB369_1277:                           ;   in Loop: Header=BB369_1055 Depth=1
	s_delay_alu instid0(SALU_CYCLE_1) | instskip(NEXT) | instid1(SALU_CYCLE_1)
	s_or_b32 exec_lo, exec_lo, s10
	s_mov_b32 s10, exec_lo
	v_cmpx_lt_u32_e32 0xffffff, v11
	s_cbranch_execz .LBB369_1285
; %bb.1278:                             ;   in Loop: Header=BB369_1055 Depth=1
	v_lshrrev_b32_e32 v100, 24, v11
	v_bfrev_b32_e32 v99, 1
	s_mov_b32 s12, exec_lo
	s_delay_alu instid0(VALU_DEP_2)
	v_cmpx_ne_u32_e32 0x80, v100
	s_cbranch_execz .LBB369_1284
; %bb.1279:                             ;   in Loop: Header=BB369_1055 Depth=1
	v_and_b32_e32 v13, 0x7f, v100
	v_mov_b32_e32 v99, 0x7fc02000
	s_mov_b32 s13, exec_lo
	s_delay_alu instid0(VALU_DEP_2)
	v_cmpx_ne_u32_e32 0x7f, v13
	s_cbranch_execz .LBB369_1283
; %bb.1280:                             ;   in Loop: Header=BB369_1055 Depth=1
	v_and_b32_e32 v0, 7, v100
	v_lshrrev_b32_e32 v99, 3, v13
	v_cmp_gt_u32_e64 s0, 8, v13
	s_delay_alu instid0(VALU_DEP_3) | instskip(NEXT) | instid1(VALU_DEP_2)
	v_dual_mov_b32 v14, v1 :: v_dual_mov_b32 v13, v0
	s_and_saveexec_b32 s15, s0
; %bb.1281:                             ;   in Loop: Header=BB369_1055 Depth=1
	v_clz_i32_u32_e32 v13, v0
	s_delay_alu instid0(VALU_DEP_1) | instskip(NEXT) | instid1(VALU_DEP_1)
	v_min_u32_e32 v99, 32, v13
	v_subrev_nc_u32_e32 v13, 28, v99
	v_sub_nc_u32_e32 v99, 29, v99
	s_delay_alu instid0(VALU_DEP_2) | instskip(NEXT) | instid1(VALU_DEP_1)
	v_lshlrev_b64 v[13:14], v13, v[0:1]
	v_and_b32_e32 v13, 7, v13
; %bb.1282:                             ;   in Loop: Header=BB369_1055 Depth=1
	s_or_b32 exec_lo, exec_lo, s15
	v_lshlrev_b32_e32 v0, 8, v100
	v_lshl_add_u32 v14, v99, 10, 0x2000
	s_delay_alu instid0(VALU_DEP_1) | instskip(NEXT) | instid1(VALU_DEP_1)
	v_and_or_b32 v0, 0x8000, v0, v14
	v_lshl_or_b32 v0, v13, 7, v0
	s_delay_alu instid0(VALU_DEP_1)
	v_cvt_f32_f16_e32 v99, v0
.LBB369_1283:                           ;   in Loop: Header=BB369_1055 Depth=1
	s_or_b32 exec_lo, exec_lo, s13
.LBB369_1284:                           ;   in Loop: Header=BB369_1055 Depth=1
	s_delay_alu instid0(SALU_CYCLE_1)
	s_or_b32 exec_lo, exec_lo, s12
.LBB369_1285:                           ;   in Loop: Header=BB369_1055 Depth=1
	s_delay_alu instid0(SALU_CYCLE_1) | instskip(SKIP_3) | instid1(VALU_DEP_2)
	s_or_b32 exec_lo, exec_lo, s10
	v_dual_mov_b32 v0, v12 :: v_dual_and_b32 v13, 0xff, v12
	v_dual_mov_b32 v101, 0 :: v_dual_mov_b32 v100, 0
	s_mov_b32 s10, exec_lo
	v_cmpx_ne_u16_e32 0, v13
	s_cbranch_execz .LBB369_1293
; %bb.1286:                             ;   in Loop: Header=BB369_1055 Depth=1
	v_bfrev_b32_e32 v100, 1
	s_mov_b32 s12, exec_lo
	v_cmpx_ne_u16_e32 0x80, v13
	s_cbranch_execz .LBB369_1292
; %bb.1287:                             ;   in Loop: Header=BB369_1055 Depth=1
	v_and_b32_e32 v13, 0x7f, v12
	v_mov_b32_e32 v100, 0x7fc02000
	s_mov_b32 s13, exec_lo
	s_delay_alu instid0(VALU_DEP_2)
	v_cmpx_ne_u32_e32 0x7f, v13
	s_cbranch_execz .LBB369_1291
; %bb.1288:                             ;   in Loop: Header=BB369_1055 Depth=1
	v_lshrrev_b32_e32 v100, 3, v13
	v_cmp_gt_u32_e64 s0, 8, v13
	v_dual_mov_b32 v14, v1 :: v_dual_mov_b32 v13, v0
	s_delay_alu instid0(VALU_DEP_2)
	s_and_saveexec_b32 s15, s0
; %bb.1289:                             ;   in Loop: Header=BB369_1055 Depth=1
	v_and_b32_e32 v13, 7, v12
	s_delay_alu instid0(VALU_DEP_1) | instskip(NEXT) | instid1(VALU_DEP_1)
	v_clz_i32_u32_e32 v13, v13
	v_min_u32_e32 v100, 32, v13
	s_delay_alu instid0(VALU_DEP_1) | instskip(SKIP_1) | instid1(VALU_DEP_2)
	v_subrev_nc_u32_e32 v13, 28, v100
	v_sub_nc_u32_e32 v100, 29, v100
	v_lshlrev_b64 v[13:14], v13, v[0:1]
; %bb.1290:                             ;   in Loop: Header=BB369_1055 Depth=1
	s_or_b32 exec_lo, exec_lo, s15
	v_lshlrev_b32_e32 v14, 8, v12
	s_delay_alu instid0(VALU_DEP_3) | instskip(NEXT) | instid1(VALU_DEP_3)
	v_lshl_add_u32 v100, v100, 10, 0x2000
	v_lshlrev_b32_e32 v13, 7, v13
	s_delay_alu instid0(VALU_DEP_2) | instskip(NEXT) | instid1(VALU_DEP_1)
	v_and_or_b32 v14, 0x8000, v14, v100
	v_and_or_b32 v13, 0x380, v13, v14
	s_delay_alu instid0(VALU_DEP_1)
	v_cvt_f32_f16_e32 v100, v13
.LBB369_1291:                           ;   in Loop: Header=BB369_1055 Depth=1
	s_or_b32 exec_lo, exec_lo, s13
.LBB369_1292:                           ;   in Loop: Header=BB369_1055 Depth=1
	s_delay_alu instid0(SALU_CYCLE_1)
	s_or_b32 exec_lo, exec_lo, s12
.LBB369_1293:                           ;   in Loop: Header=BB369_1055 Depth=1
	s_delay_alu instid0(SALU_CYCLE_1) | instskip(SKIP_2) | instid1(VALU_DEP_1)
	s_or_b32 exec_lo, exec_lo, s10
	v_lshrrev_b16 v0, 8, v0
	s_mov_b32 s10, exec_lo
	v_cmpx_ne_u16_e32 0, v0
	s_cbranch_execz .LBB369_1301
; %bb.1294:                             ;   in Loop: Header=BB369_1055 Depth=1
	v_bfrev_b32_e32 v101, 1
	s_mov_b32 s12, exec_lo
	v_cmpx_ne_u16_e32 0x80, v0
	s_cbranch_execz .LBB369_1300
; %bb.1295:                             ;   in Loop: Header=BB369_1055 Depth=1
	v_and_b32_e32 v102, 0xffff, v0
	v_mov_b32_e32 v101, 0x7fc02000
	s_mov_b32 s13, exec_lo
	s_delay_alu instid0(VALU_DEP_2) | instskip(NEXT) | instid1(VALU_DEP_1)
	v_and_b32_e32 v13, 0x7f, v102
	v_cmpx_ne_u32_e32 0x7f, v13
	s_cbranch_execz .LBB369_1299
; %bb.1296:                             ;   in Loop: Header=BB369_1055 Depth=1
	v_and_b32_e32 v0, 7, v102
	v_lshrrev_b32_e32 v101, 3, v13
	v_cmp_gt_u32_e64 s0, 8, v13
	s_delay_alu instid0(VALU_DEP_3) | instskip(NEXT) | instid1(VALU_DEP_2)
	v_dual_mov_b32 v14, v1 :: v_dual_mov_b32 v13, v0
	s_and_saveexec_b32 s15, s0
; %bb.1297:                             ;   in Loop: Header=BB369_1055 Depth=1
	v_clz_i32_u32_e32 v13, v0
	s_delay_alu instid0(VALU_DEP_1) | instskip(NEXT) | instid1(VALU_DEP_1)
	v_min_u32_e32 v101, 32, v13
	v_subrev_nc_u32_e32 v13, 28, v101
	v_sub_nc_u32_e32 v101, 29, v101
	s_delay_alu instid0(VALU_DEP_2) | instskip(NEXT) | instid1(VALU_DEP_1)
	v_lshlrev_b64 v[13:14], v13, v[0:1]
	v_and_b32_e32 v13, 7, v13
; %bb.1298:                             ;   in Loop: Header=BB369_1055 Depth=1
	s_or_b32 exec_lo, exec_lo, s15
	v_lshlrev_b32_e32 v0, 8, v102
	v_lshl_add_u32 v14, v101, 10, 0x2000
	s_delay_alu instid0(VALU_DEP_1) | instskip(NEXT) | instid1(VALU_DEP_1)
	v_and_or_b32 v0, 0x8000, v0, v14
	v_lshl_or_b32 v0, v13, 7, v0
	s_delay_alu instid0(VALU_DEP_1)
	v_cvt_f32_f16_e32 v101, v0
.LBB369_1299:                           ;   in Loop: Header=BB369_1055 Depth=1
	s_or_b32 exec_lo, exec_lo, s13
.LBB369_1300:                           ;   in Loop: Header=BB369_1055 Depth=1
	s_delay_alu instid0(SALU_CYCLE_1)
	s_or_b32 exec_lo, exec_lo, s12
.LBB369_1301:                           ;   in Loop: Header=BB369_1055 Depth=1
	s_delay_alu instid0(SALU_CYCLE_1) | instskip(SKIP_3) | instid1(VALU_DEP_2)
	s_or_b32 exec_lo, exec_lo, s10
	v_lshrrev_b32_e32 v103, 16, v12
	v_mov_b32_e32 v102, 0
	s_mov_b32 s10, exec_lo
	v_dual_mov_b32 v13, 0 :: v_dual_and_b32 v0, 0xff, v103
	s_delay_alu instid0(VALU_DEP_1)
	v_cmpx_ne_u16_e32 0, v0
	s_cbranch_execz .LBB369_1309
; %bb.1302:                             ;   in Loop: Header=BB369_1055 Depth=1
	v_bfrev_b32_e32 v13, 1
	s_mov_b32 s12, exec_lo
	v_cmpx_ne_u16_e32 0x80, v0
	s_cbranch_execz .LBB369_1308
; %bb.1303:                             ;   in Loop: Header=BB369_1055 Depth=1
	v_bfe_u32 v14, v12, 16, 7
	v_mov_b32_e32 v13, 0x7fc02000
	s_mov_b32 s13, exec_lo
	s_delay_alu instid0(VALU_DEP_2)
	v_cmpx_ne_u32_e32 0x7f, v14
	s_cbranch_execz .LBB369_1307
; %bb.1304:                             ;   in Loop: Header=BB369_1055 Depth=1
	v_and_b32_e32 v0, 7, v103
	v_lshrrev_b32_e32 v112, 3, v14
	v_cmp_gt_u32_e64 s0, 8, v14
	s_delay_alu instid0(VALU_DEP_3) | instskip(NEXT) | instid1(VALU_DEP_2)
	v_dual_mov_b32 v14, v1 :: v_dual_mov_b32 v13, v0
	s_and_saveexec_b32 s15, s0
; %bb.1305:                             ;   in Loop: Header=BB369_1055 Depth=1
	v_clz_i32_u32_e32 v13, v0
	s_delay_alu instid0(VALU_DEP_1) | instskip(NEXT) | instid1(VALU_DEP_1)
	v_min_u32_e32 v112, 32, v13
	v_subrev_nc_u32_e32 v13, 28, v112
	v_sub_nc_u32_e32 v112, 29, v112
	s_delay_alu instid0(VALU_DEP_2) | instskip(NEXT) | instid1(VALU_DEP_1)
	v_lshlrev_b64 v[13:14], v13, v[0:1]
	v_and_b32_e32 v13, 7, v13
; %bb.1306:                             ;   in Loop: Header=BB369_1055 Depth=1
	s_or_b32 exec_lo, exec_lo, s15
	v_lshlrev_b32_e32 v0, 8, v103
	v_lshl_add_u32 v14, v112, 10, 0x2000
	s_delay_alu instid0(VALU_DEP_1) | instskip(NEXT) | instid1(VALU_DEP_1)
	v_and_or_b32 v0, 0x8000, v0, v14
	v_lshl_or_b32 v0, v13, 7, v0
	s_delay_alu instid0(VALU_DEP_1)
	v_cvt_f32_f16_e32 v13, v0
.LBB369_1307:                           ;   in Loop: Header=BB369_1055 Depth=1
	s_or_b32 exec_lo, exec_lo, s13
.LBB369_1308:                           ;   in Loop: Header=BB369_1055 Depth=1
	s_delay_alu instid0(SALU_CYCLE_1)
	s_or_b32 exec_lo, exec_lo, s12
.LBB369_1309:                           ;   in Loop: Header=BB369_1055 Depth=1
	s_delay_alu instid0(SALU_CYCLE_1) | instskip(NEXT) | instid1(SALU_CYCLE_1)
	s_or_b32 exec_lo, exec_lo, s10
	s_mov_b32 s10, exec_lo
	v_cmpx_lt_u64_e64 s[8:9], v[11:12]
	s_cbranch_execz .LBB369_1317
; %bb.1310:                             ;   in Loop: Header=BB369_1055 Depth=1
	v_lshrrev_b32_e32 v14, 24, v12
	v_bfrev_b32_e32 v102, 1
	s_mov_b32 s12, exec_lo
	s_delay_alu instid0(VALU_DEP_2)
	v_cmpx_ne_u32_e32 0x80, v14
	s_cbranch_execz .LBB369_1316
; %bb.1311:                             ;   in Loop: Header=BB369_1055 Depth=1
	v_and_b32_e32 v11, 0x7f, v14
	v_mov_b32_e32 v102, 0x7fc02000
	s_mov_b32 s13, exec_lo
	s_delay_alu instid0(VALU_DEP_2)
	v_cmpx_ne_u32_e32 0x7f, v11
	s_cbranch_execz .LBB369_1315
; %bb.1312:                             ;   in Loop: Header=BB369_1055 Depth=1
	v_and_b32_e32 v0, 7, v14
	v_lshrrev_b32_e32 v102, 3, v11
	v_cmp_gt_u32_e64 s0, 8, v11
	s_delay_alu instid0(VALU_DEP_3) | instskip(NEXT) | instid1(VALU_DEP_2)
	v_dual_mov_b32 v12, v1 :: v_dual_mov_b32 v11, v0
	s_and_saveexec_b32 s15, s0
; %bb.1313:                             ;   in Loop: Header=BB369_1055 Depth=1
	v_clz_i32_u32_e32 v11, v0
	s_delay_alu instid0(VALU_DEP_1) | instskip(NEXT) | instid1(VALU_DEP_1)
	v_min_u32_e32 v102, 32, v11
	v_subrev_nc_u32_e32 v11, 28, v102
	v_sub_nc_u32_e32 v102, 29, v102
	s_delay_alu instid0(VALU_DEP_2) | instskip(NEXT) | instid1(VALU_DEP_1)
	v_lshlrev_b64 v[11:12], v11, v[0:1]
	v_and_b32_e32 v11, 7, v11
; %bb.1314:                             ;   in Loop: Header=BB369_1055 Depth=1
	s_or_b32 exec_lo, exec_lo, s15
	v_lshlrev_b32_e32 v0, 8, v14
	v_lshl_add_u32 v12, v102, 10, 0x2000
	s_delay_alu instid0(VALU_DEP_1) | instskip(NEXT) | instid1(VALU_DEP_1)
	v_and_or_b32 v0, 0x8000, v0, v12
	v_lshl_or_b32 v0, v11, 7, v0
	s_delay_alu instid0(VALU_DEP_1)
	v_cvt_f32_f16_e32 v102, v0
.LBB369_1315:                           ;   in Loop: Header=BB369_1055 Depth=1
	s_or_b32 exec_lo, exec_lo, s13
.LBB369_1316:                           ;   in Loop: Header=BB369_1055 Depth=1
	s_delay_alu instid0(SALU_CYCLE_1)
	s_or_b32 exec_lo, exec_lo, s12
.LBB369_1317:                           ;   in Loop: Header=BB369_1055 Depth=1
	s_delay_alu instid0(SALU_CYCLE_1)
	s_or_b32 exec_lo, exec_lo, s10
	s_waitcnt vmcnt(0) lgkmcnt(0)
	v_fma_mixlo_f16 v12, v87, v97, 0
	v_fma_mixlo_f16 v0, v87, v99, 0
	;; [unrolled: 1-line block ×5, first 2 shown]
	v_lshlrev_b32_e32 v14, 16, v12
	v_fma_mixlo_f16 v98, v87, v100, 0
	v_fma_mixlo_f16 v99, v87, v102, 0
	;; [unrolled: 1-line block ×3, first 2 shown]
	v_lshlrev_b32_e32 v0, 16, v0
	v_and_b32_e32 v11, 0xffff, v11
	v_and_b32_e32 v87, 0xffff, v96
	v_lshlrev_b32_e32 v96, 16, v97
	v_and_b32_e32 v97, 0xffff, v98
	v_lshlrev_b32_e32 v98, 16, v99
	v_and_b32_e32 v99, 0xffff, v12
	v_or_b32_e32 v13, v0, v11
	v_or_b32_e32 v14, v14, v87
	;; [unrolled: 1-line block ×3, first 2 shown]
	s_delay_alu instid0(VALU_DEP_4)
	v_or_b32_e32 v11, v98, v99
	s_and_saveexec_b32 s10, vcc_lo
	s_cbranch_execz .LBB369_1319
; %bb.1318:                             ;   in Loop: Header=BB369_1055 Depth=1
	v_cmp_lt_i32_e64 s0, v15, v36
	v_lshrrev_b32_e32 v87, 16, v14
	v_lshrrev_b32_e32 v96, 16, v13
	;; [unrolled: 1-line block ×4, first 2 shown]
	v_cndmask_b32_e64 v14, 0, v14, s0
	v_cmp_lt_i32_e64 s0, v82, v48
	s_delay_alu instid0(VALU_DEP_1) | instskip(SKIP_1) | instid1(VALU_DEP_2)
	v_cndmask_b32_e64 v87, 0, v87, s0
	v_cmp_lt_i32_e64 s0, v81, v48
	v_perm_b32 v14, v87, v14, 0x5040100
	s_delay_alu instid0(VALU_DEP_2) | instskip(SKIP_1) | instid1(VALU_DEP_1)
	v_cndmask_b32_e64 v96, 0, v96, s0
	v_cmp_lt_i32_e64 s0, v70, v36
	v_cndmask_b32_e64 v13, 0, v13, s0
	v_cmp_lt_i32_e64 s0, v65, v48
	s_delay_alu instid0(VALU_DEP_2) | instskip(NEXT) | instid1(VALU_DEP_2)
	v_perm_b32 v13, v96, v13, 0x5040100
	v_cndmask_b32_e64 v97, 0, v97, s0
	v_cmp_lt_i32_e64 s0, v64, v36
	s_delay_alu instid0(VALU_DEP_1) | instskip(SKIP_1) | instid1(VALU_DEP_2)
	v_cndmask_b32_e64 v0, 0, v0, s0
	v_cmp_lt_i32_e64 s0, v38, v48
	v_perm_b32 v0, v97, v0, 0x5040100
	s_delay_alu instid0(VALU_DEP_2) | instskip(SKIP_1) | instid1(VALU_DEP_1)
	v_cndmask_b32_e64 v11, 0, v11, s0
	v_cmp_lt_i32_e64 s0, v17, v36
	v_cndmask_b32_e64 v12, 0, v12, s0
	s_delay_alu instid0(VALU_DEP_1)
	v_perm_b32 v11, v11, v12, 0x5040100
.LBB369_1319:                           ;   in Loop: Header=BB369_1055 Depth=1
	s_or_b32 exec_lo, exec_lo, s10
	;;#ASMSTART
	v_pk_mul_f16 v12, v80, v14;

	;;#ASMEND
	;;#ASMSTART
	v_pk_mul_f16 v13, v69, v13;

	;;#ASMEND
	;; [unrolled: 4-line block ×4, first 2 shown]
	;;#ASMSTART
	v_pk_add_f16 v12, v12, v13;

	;;#ASMEND
	;;#ASMSTART
	v_pk_add_f16 v0, v12, v0;

	;;#ASMEND
	;;#ASMSTART
	v_pk_add_f16 v0, v0, v11;

	;;#ASMEND
	v_dual_mov_b32 v98, 0 :: v_dual_and_b32 v11, 0xffff, v0
	v_lshrrev_b32_e32 v0, 16, v0
	;;#ASMSTART
	v_cvt_f32_f16 v87, v11;
	;;#ASMEND
	;;#ASMSTART
	v_cvt_f32_f16 v96, v0;
	;;#ASMEND
	flat_load_b64 v[11:12], v[9:10] offset:1024
	flat_load_b32 v97, v[26:27]
	s_mov_b32 s10, exec_lo
	s_waitcnt vmcnt(1) lgkmcnt(1)
	v_dual_mov_b32 v99, 0 :: v_dual_and_b32 v0, 0xff, v11
	s_delay_alu instid0(VALU_DEP_1)
	v_cmpx_ne_u16_e32 0, v0
	s_cbranch_execz .LBB369_1327
; %bb.1320:                             ;   in Loop: Header=BB369_1055 Depth=1
	v_bfrev_b32_e32 v98, 1
	s_mov_b32 s12, exec_lo
	v_cmpx_ne_u16_e32 0x80, v0
	s_cbranch_execz .LBB369_1326
; %bb.1321:                             ;   in Loop: Header=BB369_1055 Depth=1
	v_and_b32_e32 v13, 0x7f, v11
	v_mov_b32_e32 v98, 0x7fc02000
	s_mov_b32 s13, exec_lo
	s_delay_alu instid0(VALU_DEP_2)
	v_cmpx_ne_u32_e32 0x7f, v13
	s_cbranch_execz .LBB369_1325
; %bb.1322:                             ;   in Loop: Header=BB369_1055 Depth=1
	v_lshrrev_b32_e32 v0, 3, v13
	v_cmp_gt_u32_e64 s0, 8, v13
	v_dual_mov_b32 v14, v12 :: v_dual_mov_b32 v13, v11
	s_delay_alu instid0(VALU_DEP_2)
	s_and_saveexec_b32 s15, s0
; %bb.1323:                             ;   in Loop: Header=BB369_1055 Depth=1
	v_and_b32_e32 v0, 7, v11
	s_delay_alu instid0(VALU_DEP_1) | instskip(NEXT) | instid1(VALU_DEP_1)
	v_clz_i32_u32_e32 v0, v0
	v_min_u32_e32 v0, 32, v0
	s_delay_alu instid0(VALU_DEP_1) | instskip(SKIP_1) | instid1(VALU_DEP_2)
	v_subrev_nc_u32_e32 v13, 28, v0
	v_sub_nc_u32_e32 v0, 29, v0
	v_lshlrev_b64 v[13:14], v13, v[11:12]
; %bb.1324:                             ;   in Loop: Header=BB369_1055 Depth=1
	s_or_b32 exec_lo, exec_lo, s15
	v_lshlrev_b32_e32 v14, 8, v11
	s_delay_alu instid0(VALU_DEP_3) | instskip(NEXT) | instid1(VALU_DEP_3)
	v_lshl_add_u32 v0, v0, 10, 0x2000
	v_lshlrev_b32_e32 v13, 7, v13
	s_delay_alu instid0(VALU_DEP_2) | instskip(NEXT) | instid1(VALU_DEP_1)
	v_and_or_b32 v0, 0x8000, v14, v0
	v_and_or_b32 v0, 0x380, v13, v0
	s_delay_alu instid0(VALU_DEP_1)
	v_cvt_f32_f16_e32 v98, v0
.LBB369_1325:                           ;   in Loop: Header=BB369_1055 Depth=1
	s_or_b32 exec_lo, exec_lo, s13
.LBB369_1326:                           ;   in Loop: Header=BB369_1055 Depth=1
	s_delay_alu instid0(SALU_CYCLE_1)
	s_or_b32 exec_lo, exec_lo, s12
.LBB369_1327:                           ;   in Loop: Header=BB369_1055 Depth=1
	s_delay_alu instid0(SALU_CYCLE_1) | instskip(SKIP_2) | instid1(VALU_DEP_1)
	s_or_b32 exec_lo, exec_lo, s10
	v_lshrrev_b16 v0, 8, v11
	s_mov_b32 s10, exec_lo
	v_cmpx_ne_u16_e32 0, v0
	s_cbranch_execz .LBB369_1335
; %bb.1328:                             ;   in Loop: Header=BB369_1055 Depth=1
	v_bfrev_b32_e32 v99, 1
	s_mov_b32 s12, exec_lo
	v_cmpx_ne_u16_e32 0x80, v0
	s_cbranch_execz .LBB369_1334
; %bb.1329:                             ;   in Loop: Header=BB369_1055 Depth=1
	v_and_b32_e32 v100, 0xffff, v0
	v_mov_b32_e32 v99, 0x7fc02000
	s_mov_b32 s13, exec_lo
	s_delay_alu instid0(VALU_DEP_2) | instskip(NEXT) | instid1(VALU_DEP_1)
	v_and_b32_e32 v13, 0x7f, v100
	v_cmpx_ne_u32_e32 0x7f, v13
	s_cbranch_execz .LBB369_1333
; %bb.1330:                             ;   in Loop: Header=BB369_1055 Depth=1
	v_and_b32_e32 v0, 7, v100
	v_lshrrev_b32_e32 v99, 3, v13
	v_cmp_gt_u32_e64 s0, 8, v13
	s_delay_alu instid0(VALU_DEP_3) | instskip(NEXT) | instid1(VALU_DEP_2)
	v_dual_mov_b32 v14, v1 :: v_dual_mov_b32 v13, v0
	s_and_saveexec_b32 s15, s0
; %bb.1331:                             ;   in Loop: Header=BB369_1055 Depth=1
	v_clz_i32_u32_e32 v13, v0
	s_delay_alu instid0(VALU_DEP_1) | instskip(NEXT) | instid1(VALU_DEP_1)
	v_min_u32_e32 v99, 32, v13
	v_subrev_nc_u32_e32 v13, 28, v99
	v_sub_nc_u32_e32 v99, 29, v99
	s_delay_alu instid0(VALU_DEP_2) | instskip(NEXT) | instid1(VALU_DEP_1)
	v_lshlrev_b64 v[13:14], v13, v[0:1]
	v_and_b32_e32 v13, 7, v13
; %bb.1332:                             ;   in Loop: Header=BB369_1055 Depth=1
	s_or_b32 exec_lo, exec_lo, s15
	v_lshlrev_b32_e32 v0, 8, v100
	v_lshl_add_u32 v14, v99, 10, 0x2000
	s_delay_alu instid0(VALU_DEP_1) | instskip(NEXT) | instid1(VALU_DEP_1)
	v_and_or_b32 v0, 0x8000, v0, v14
	v_lshl_or_b32 v0, v13, 7, v0
	s_delay_alu instid0(VALU_DEP_1)
	v_cvt_f32_f16_e32 v99, v0
.LBB369_1333:                           ;   in Loop: Header=BB369_1055 Depth=1
	s_or_b32 exec_lo, exec_lo, s13
.LBB369_1334:                           ;   in Loop: Header=BB369_1055 Depth=1
	s_delay_alu instid0(SALU_CYCLE_1)
	s_or_b32 exec_lo, exec_lo, s12
.LBB369_1335:                           ;   in Loop: Header=BB369_1055 Depth=1
	s_delay_alu instid0(SALU_CYCLE_1) | instskip(SKIP_3) | instid1(VALU_DEP_2)
	s_or_b32 exec_lo, exec_lo, s10
	v_lshrrev_b32_e32 v102, 16, v11
	v_mov_b32_e32 v100, 0
	s_mov_b32 s10, exec_lo
	v_dual_mov_b32 v101, 0 :: v_dual_and_b32 v0, 0xff, v102
	s_delay_alu instid0(VALU_DEP_1)
	v_cmpx_ne_u16_e32 0, v0
	s_cbranch_execz .LBB369_1343
; %bb.1336:                             ;   in Loop: Header=BB369_1055 Depth=1
	v_bfrev_b32_e32 v100, 1
	s_mov_b32 s12, exec_lo
	v_cmpx_ne_u16_e32 0x80, v0
	s_cbranch_execz .LBB369_1342
; %bb.1337:                             ;   in Loop: Header=BB369_1055 Depth=1
	v_bfe_u32 v13, v11, 16, 7
	v_mov_b32_e32 v100, 0x7fc02000
	s_mov_b32 s13, exec_lo
	s_delay_alu instid0(VALU_DEP_2)
	v_cmpx_ne_u32_e32 0x7f, v13
	s_cbranch_execz .LBB369_1341
; %bb.1338:                             ;   in Loop: Header=BB369_1055 Depth=1
	v_and_b32_e32 v0, 7, v102
	v_lshrrev_b32_e32 v100, 3, v13
	v_cmp_gt_u32_e64 s0, 8, v13
	s_delay_alu instid0(VALU_DEP_3) | instskip(NEXT) | instid1(VALU_DEP_2)
	v_dual_mov_b32 v14, v1 :: v_dual_mov_b32 v13, v0
	s_and_saveexec_b32 s15, s0
; %bb.1339:                             ;   in Loop: Header=BB369_1055 Depth=1
	v_clz_i32_u32_e32 v13, v0
	s_delay_alu instid0(VALU_DEP_1) | instskip(NEXT) | instid1(VALU_DEP_1)
	v_min_u32_e32 v100, 32, v13
	v_subrev_nc_u32_e32 v13, 28, v100
	v_sub_nc_u32_e32 v100, 29, v100
	s_delay_alu instid0(VALU_DEP_2) | instskip(NEXT) | instid1(VALU_DEP_1)
	v_lshlrev_b64 v[13:14], v13, v[0:1]
	v_and_b32_e32 v13, 7, v13
; %bb.1340:                             ;   in Loop: Header=BB369_1055 Depth=1
	s_or_b32 exec_lo, exec_lo, s15
	v_lshlrev_b32_e32 v0, 8, v102
	v_lshl_add_u32 v14, v100, 10, 0x2000
	s_delay_alu instid0(VALU_DEP_1) | instskip(NEXT) | instid1(VALU_DEP_1)
	v_and_or_b32 v0, 0x8000, v0, v14
	v_lshl_or_b32 v0, v13, 7, v0
	s_delay_alu instid0(VALU_DEP_1)
	v_cvt_f32_f16_e32 v100, v0
.LBB369_1341:                           ;   in Loop: Header=BB369_1055 Depth=1
	s_or_b32 exec_lo, exec_lo, s13
.LBB369_1342:                           ;   in Loop: Header=BB369_1055 Depth=1
	s_delay_alu instid0(SALU_CYCLE_1)
	s_or_b32 exec_lo, exec_lo, s12
.LBB369_1343:                           ;   in Loop: Header=BB369_1055 Depth=1
	s_delay_alu instid0(SALU_CYCLE_1) | instskip(NEXT) | instid1(SALU_CYCLE_1)
	s_or_b32 exec_lo, exec_lo, s10
	s_mov_b32 s10, exec_lo
	v_cmpx_lt_u32_e32 0xffffff, v11
	s_cbranch_execz .LBB369_1351
; %bb.1344:                             ;   in Loop: Header=BB369_1055 Depth=1
	v_lshrrev_b32_e32 v102, 24, v11
	v_bfrev_b32_e32 v101, 1
	s_mov_b32 s12, exec_lo
	s_delay_alu instid0(VALU_DEP_2)
	v_cmpx_ne_u32_e32 0x80, v102
	s_cbranch_execz .LBB369_1350
; %bb.1345:                             ;   in Loop: Header=BB369_1055 Depth=1
	v_and_b32_e32 v13, 0x7f, v102
	v_mov_b32_e32 v101, 0x7fc02000
	s_mov_b32 s13, exec_lo
	s_delay_alu instid0(VALU_DEP_2)
	v_cmpx_ne_u32_e32 0x7f, v13
	s_cbranch_execz .LBB369_1349
; %bb.1346:                             ;   in Loop: Header=BB369_1055 Depth=1
	v_and_b32_e32 v0, 7, v102
	v_lshrrev_b32_e32 v101, 3, v13
	v_cmp_gt_u32_e64 s0, 8, v13
	s_delay_alu instid0(VALU_DEP_3) | instskip(NEXT) | instid1(VALU_DEP_2)
	v_dual_mov_b32 v14, v1 :: v_dual_mov_b32 v13, v0
	s_and_saveexec_b32 s15, s0
; %bb.1347:                             ;   in Loop: Header=BB369_1055 Depth=1
	v_clz_i32_u32_e32 v13, v0
	s_delay_alu instid0(VALU_DEP_1) | instskip(NEXT) | instid1(VALU_DEP_1)
	v_min_u32_e32 v101, 32, v13
	v_subrev_nc_u32_e32 v13, 28, v101
	v_sub_nc_u32_e32 v101, 29, v101
	s_delay_alu instid0(VALU_DEP_2) | instskip(NEXT) | instid1(VALU_DEP_1)
	v_lshlrev_b64 v[13:14], v13, v[0:1]
	v_and_b32_e32 v13, 7, v13
; %bb.1348:                             ;   in Loop: Header=BB369_1055 Depth=1
	s_or_b32 exec_lo, exec_lo, s15
	v_lshlrev_b32_e32 v0, 8, v102
	v_lshl_add_u32 v14, v101, 10, 0x2000
	s_delay_alu instid0(VALU_DEP_1) | instskip(NEXT) | instid1(VALU_DEP_1)
	v_and_or_b32 v0, 0x8000, v0, v14
	v_lshl_or_b32 v0, v13, 7, v0
	s_delay_alu instid0(VALU_DEP_1)
	v_cvt_f32_f16_e32 v101, v0
.LBB369_1349:                           ;   in Loop: Header=BB369_1055 Depth=1
	s_or_b32 exec_lo, exec_lo, s13
.LBB369_1350:                           ;   in Loop: Header=BB369_1055 Depth=1
	s_delay_alu instid0(SALU_CYCLE_1)
	s_or_b32 exec_lo, exec_lo, s12
.LBB369_1351:                           ;   in Loop: Header=BB369_1055 Depth=1
	s_delay_alu instid0(SALU_CYCLE_1) | instskip(SKIP_3) | instid1(VALU_DEP_2)
	s_or_b32 exec_lo, exec_lo, s10
	v_dual_mov_b32 v0, v12 :: v_dual_and_b32 v13, 0xff, v12
	v_dual_mov_b32 v103, 0 :: v_dual_mov_b32 v102, 0
	s_mov_b32 s10, exec_lo
	v_cmpx_ne_u16_e32 0, v13
	s_cbranch_execz .LBB369_1359
; %bb.1352:                             ;   in Loop: Header=BB369_1055 Depth=1
	v_bfrev_b32_e32 v102, 1
	s_mov_b32 s12, exec_lo
	v_cmpx_ne_u16_e32 0x80, v13
	s_cbranch_execz .LBB369_1358
; %bb.1353:                             ;   in Loop: Header=BB369_1055 Depth=1
	v_and_b32_e32 v13, 0x7f, v12
	v_mov_b32_e32 v102, 0x7fc02000
	s_mov_b32 s13, exec_lo
	s_delay_alu instid0(VALU_DEP_2)
	v_cmpx_ne_u32_e32 0x7f, v13
	s_cbranch_execz .LBB369_1357
; %bb.1354:                             ;   in Loop: Header=BB369_1055 Depth=1
	v_lshrrev_b32_e32 v102, 3, v13
	v_cmp_gt_u32_e64 s0, 8, v13
	v_dual_mov_b32 v14, v1 :: v_dual_mov_b32 v13, v0
	s_delay_alu instid0(VALU_DEP_2)
	s_and_saveexec_b32 s15, s0
; %bb.1355:                             ;   in Loop: Header=BB369_1055 Depth=1
	v_and_b32_e32 v13, 7, v12
	s_delay_alu instid0(VALU_DEP_1) | instskip(NEXT) | instid1(VALU_DEP_1)
	v_clz_i32_u32_e32 v13, v13
	v_min_u32_e32 v102, 32, v13
	s_delay_alu instid0(VALU_DEP_1) | instskip(SKIP_1) | instid1(VALU_DEP_2)
	v_subrev_nc_u32_e32 v13, 28, v102
	v_sub_nc_u32_e32 v102, 29, v102
	v_lshlrev_b64 v[13:14], v13, v[0:1]
; %bb.1356:                             ;   in Loop: Header=BB369_1055 Depth=1
	s_or_b32 exec_lo, exec_lo, s15
	v_lshlrev_b32_e32 v14, 8, v12
	s_delay_alu instid0(VALU_DEP_3) | instskip(NEXT) | instid1(VALU_DEP_3)
	v_lshl_add_u32 v102, v102, 10, 0x2000
	v_lshlrev_b32_e32 v13, 7, v13
	s_delay_alu instid0(VALU_DEP_2) | instskip(NEXT) | instid1(VALU_DEP_1)
	v_and_or_b32 v14, 0x8000, v14, v102
	v_and_or_b32 v13, 0x380, v13, v14
	s_delay_alu instid0(VALU_DEP_1)
	v_cvt_f32_f16_e32 v102, v13
.LBB369_1357:                           ;   in Loop: Header=BB369_1055 Depth=1
	s_or_b32 exec_lo, exec_lo, s13
.LBB369_1358:                           ;   in Loop: Header=BB369_1055 Depth=1
	s_delay_alu instid0(SALU_CYCLE_1)
	s_or_b32 exec_lo, exec_lo, s12
.LBB369_1359:                           ;   in Loop: Header=BB369_1055 Depth=1
	s_delay_alu instid0(SALU_CYCLE_1) | instskip(SKIP_2) | instid1(VALU_DEP_1)
	s_or_b32 exec_lo, exec_lo, s10
	v_lshrrev_b16 v0, 8, v0
	s_mov_b32 s10, exec_lo
	v_cmpx_ne_u16_e32 0, v0
	s_cbranch_execz .LBB369_1367
; %bb.1360:                             ;   in Loop: Header=BB369_1055 Depth=1
	v_bfrev_b32_e32 v103, 1
	s_mov_b32 s12, exec_lo
	v_cmpx_ne_u16_e32 0x80, v0
	s_cbranch_execz .LBB369_1366
; %bb.1361:                             ;   in Loop: Header=BB369_1055 Depth=1
	v_and_b32_e32 v112, 0xffff, v0
	v_mov_b32_e32 v103, 0x7fc02000
	s_mov_b32 s13, exec_lo
	s_delay_alu instid0(VALU_DEP_2) | instskip(NEXT) | instid1(VALU_DEP_1)
	v_and_b32_e32 v13, 0x7f, v112
	v_cmpx_ne_u32_e32 0x7f, v13
	s_cbranch_execz .LBB369_1365
; %bb.1362:                             ;   in Loop: Header=BB369_1055 Depth=1
	v_and_b32_e32 v0, 7, v112
	v_lshrrev_b32_e32 v103, 3, v13
	v_cmp_gt_u32_e64 s0, 8, v13
	s_delay_alu instid0(VALU_DEP_3) | instskip(NEXT) | instid1(VALU_DEP_2)
	v_dual_mov_b32 v14, v1 :: v_dual_mov_b32 v13, v0
	s_and_saveexec_b32 s15, s0
; %bb.1363:                             ;   in Loop: Header=BB369_1055 Depth=1
	v_clz_i32_u32_e32 v13, v0
	s_delay_alu instid0(VALU_DEP_1) | instskip(NEXT) | instid1(VALU_DEP_1)
	v_min_u32_e32 v103, 32, v13
	v_subrev_nc_u32_e32 v13, 28, v103
	v_sub_nc_u32_e32 v103, 29, v103
	s_delay_alu instid0(VALU_DEP_2) | instskip(NEXT) | instid1(VALU_DEP_1)
	v_lshlrev_b64 v[13:14], v13, v[0:1]
	v_and_b32_e32 v13, 7, v13
; %bb.1364:                             ;   in Loop: Header=BB369_1055 Depth=1
	s_or_b32 exec_lo, exec_lo, s15
	v_lshlrev_b32_e32 v0, 8, v112
	v_lshl_add_u32 v14, v103, 10, 0x2000
	s_delay_alu instid0(VALU_DEP_1) | instskip(NEXT) | instid1(VALU_DEP_1)
	v_and_or_b32 v0, 0x8000, v0, v14
	v_lshl_or_b32 v0, v13, 7, v0
	s_delay_alu instid0(VALU_DEP_1)
	v_cvt_f32_f16_e32 v103, v0
.LBB369_1365:                           ;   in Loop: Header=BB369_1055 Depth=1
	s_or_b32 exec_lo, exec_lo, s13
.LBB369_1366:                           ;   in Loop: Header=BB369_1055 Depth=1
	s_delay_alu instid0(SALU_CYCLE_1)
	s_or_b32 exec_lo, exec_lo, s12
.LBB369_1367:                           ;   in Loop: Header=BB369_1055 Depth=1
	s_delay_alu instid0(SALU_CYCLE_1) | instskip(SKIP_3) | instid1(VALU_DEP_2)
	s_or_b32 exec_lo, exec_lo, s10
	v_lshrrev_b32_e32 v113, 16, v12
	v_mov_b32_e32 v112, 0
	s_mov_b32 s10, exec_lo
	v_dual_mov_b32 v13, 0 :: v_dual_and_b32 v0, 0xff, v113
	s_delay_alu instid0(VALU_DEP_1)
	v_cmpx_ne_u16_e32 0, v0
	s_cbranch_execz .LBB369_1375
; %bb.1368:                             ;   in Loop: Header=BB369_1055 Depth=1
	v_bfrev_b32_e32 v13, 1
	s_mov_b32 s12, exec_lo
	v_cmpx_ne_u16_e32 0x80, v0
	s_cbranch_execz .LBB369_1374
; %bb.1369:                             ;   in Loop: Header=BB369_1055 Depth=1
	v_bfe_u32 v14, v12, 16, 7
	v_mov_b32_e32 v13, 0x7fc02000
	s_mov_b32 s13, exec_lo
	s_delay_alu instid0(VALU_DEP_2)
	v_cmpx_ne_u32_e32 0x7f, v14
	s_cbranch_execz .LBB369_1373
; %bb.1370:                             ;   in Loop: Header=BB369_1055 Depth=1
	v_and_b32_e32 v0, 7, v113
	v_lshrrev_b32_e32 v114, 3, v14
	v_cmp_gt_u32_e64 s0, 8, v14
	s_delay_alu instid0(VALU_DEP_3) | instskip(NEXT) | instid1(VALU_DEP_2)
	v_dual_mov_b32 v14, v1 :: v_dual_mov_b32 v13, v0
	s_and_saveexec_b32 s15, s0
; %bb.1371:                             ;   in Loop: Header=BB369_1055 Depth=1
	v_clz_i32_u32_e32 v13, v0
	s_delay_alu instid0(VALU_DEP_1) | instskip(NEXT) | instid1(VALU_DEP_1)
	v_min_u32_e32 v114, 32, v13
	v_subrev_nc_u32_e32 v13, 28, v114
	v_sub_nc_u32_e32 v114, 29, v114
	s_delay_alu instid0(VALU_DEP_2) | instskip(NEXT) | instid1(VALU_DEP_1)
	v_lshlrev_b64 v[13:14], v13, v[0:1]
	v_and_b32_e32 v13, 7, v13
; %bb.1372:                             ;   in Loop: Header=BB369_1055 Depth=1
	s_or_b32 exec_lo, exec_lo, s15
	v_lshlrev_b32_e32 v0, 8, v113
	v_lshl_add_u32 v14, v114, 10, 0x2000
	s_delay_alu instid0(VALU_DEP_1) | instskip(NEXT) | instid1(VALU_DEP_1)
	v_and_or_b32 v0, 0x8000, v0, v14
	v_lshl_or_b32 v0, v13, 7, v0
	s_delay_alu instid0(VALU_DEP_1)
	v_cvt_f32_f16_e32 v13, v0
.LBB369_1373:                           ;   in Loop: Header=BB369_1055 Depth=1
	s_or_b32 exec_lo, exec_lo, s13
.LBB369_1374:                           ;   in Loop: Header=BB369_1055 Depth=1
	s_delay_alu instid0(SALU_CYCLE_1)
	s_or_b32 exec_lo, exec_lo, s12
.LBB369_1375:                           ;   in Loop: Header=BB369_1055 Depth=1
	s_delay_alu instid0(SALU_CYCLE_1) | instskip(NEXT) | instid1(SALU_CYCLE_1)
	s_or_b32 exec_lo, exec_lo, s10
	s_mov_b32 s10, exec_lo
	v_cmpx_lt_u64_e64 s[8:9], v[11:12]
	s_cbranch_execz .LBB369_1383
; %bb.1376:                             ;   in Loop: Header=BB369_1055 Depth=1
	v_lshrrev_b32_e32 v14, 24, v12
	v_bfrev_b32_e32 v112, 1
	s_mov_b32 s12, exec_lo
	s_delay_alu instid0(VALU_DEP_2)
	v_cmpx_ne_u32_e32 0x80, v14
	s_cbranch_execz .LBB369_1382
; %bb.1377:                             ;   in Loop: Header=BB369_1055 Depth=1
	v_and_b32_e32 v11, 0x7f, v14
	v_mov_b32_e32 v112, 0x7fc02000
	s_mov_b32 s13, exec_lo
	s_delay_alu instid0(VALU_DEP_2)
	v_cmpx_ne_u32_e32 0x7f, v11
	s_cbranch_execz .LBB369_1381
; %bb.1378:                             ;   in Loop: Header=BB369_1055 Depth=1
	v_and_b32_e32 v0, 7, v14
	v_lshrrev_b32_e32 v112, 3, v11
	v_cmp_gt_u32_e64 s0, 8, v11
	s_delay_alu instid0(VALU_DEP_3) | instskip(NEXT) | instid1(VALU_DEP_2)
	v_dual_mov_b32 v12, v1 :: v_dual_mov_b32 v11, v0
	s_and_saveexec_b32 s15, s0
; %bb.1379:                             ;   in Loop: Header=BB369_1055 Depth=1
	v_clz_i32_u32_e32 v11, v0
	s_delay_alu instid0(VALU_DEP_1) | instskip(NEXT) | instid1(VALU_DEP_1)
	v_min_u32_e32 v112, 32, v11
	v_subrev_nc_u32_e32 v11, 28, v112
	v_sub_nc_u32_e32 v112, 29, v112
	s_delay_alu instid0(VALU_DEP_2) | instskip(NEXT) | instid1(VALU_DEP_1)
	v_lshlrev_b64 v[11:12], v11, v[0:1]
	v_and_b32_e32 v11, 7, v11
; %bb.1380:                             ;   in Loop: Header=BB369_1055 Depth=1
	s_or_b32 exec_lo, exec_lo, s15
	v_lshlrev_b32_e32 v0, 8, v14
	v_lshl_add_u32 v12, v112, 10, 0x2000
	s_delay_alu instid0(VALU_DEP_1) | instskip(NEXT) | instid1(VALU_DEP_1)
	v_and_or_b32 v0, 0x8000, v0, v12
	v_lshl_or_b32 v0, v11, 7, v0
	s_delay_alu instid0(VALU_DEP_1)
	v_cvt_f32_f16_e32 v112, v0
.LBB369_1381:                           ;   in Loop: Header=BB369_1055 Depth=1
	s_or_b32 exec_lo, exec_lo, s13
.LBB369_1382:                           ;   in Loop: Header=BB369_1055 Depth=1
	s_delay_alu instid0(SALU_CYCLE_1)
	s_or_b32 exec_lo, exec_lo, s12
.LBB369_1383:                           ;   in Loop: Header=BB369_1055 Depth=1
	s_delay_alu instid0(SALU_CYCLE_1)
	s_or_b32 exec_lo, exec_lo, s10
	s_waitcnt vmcnt(0) lgkmcnt(0)
	v_fma_mixlo_f16 v12, v97, v99, 0
	v_fma_mixlo_f16 v0, v97, v101, 0
	;; [unrolled: 1-line block ×5, first 2 shown]
	v_lshlrev_b32_e32 v14, 16, v12
	v_fma_mixlo_f16 v100, v97, v102, 0
	v_fma_mixlo_f16 v101, v97, v112, 0
	;; [unrolled: 1-line block ×3, first 2 shown]
	v_lshlrev_b32_e32 v0, 16, v0
	v_and_b32_e32 v11, 0xffff, v11
	v_and_b32_e32 v97, 0xffff, v98
	v_lshlrev_b32_e32 v98, 16, v99
	v_and_b32_e32 v99, 0xffff, v100
	v_lshlrev_b32_e32 v100, 16, v101
	v_and_b32_e32 v101, 0xffff, v12
	v_or_b32_e32 v13, v0, v11
	v_or_b32_e32 v14, v14, v97
	;; [unrolled: 1-line block ×3, first 2 shown]
	s_delay_alu instid0(VALU_DEP_4)
	v_or_b32_e32 v11, v100, v101
	s_and_saveexec_b32 s10, vcc_lo
	s_cbranch_execz .LBB369_1385
; %bb.1384:                             ;   in Loop: Header=BB369_1055 Depth=1
	v_cmp_lt_i32_e64 s0, v15, v36
	v_lshrrev_b32_e32 v97, 16, v14
	v_lshrrev_b32_e32 v98, 16, v13
	;; [unrolled: 1-line block ×4, first 2 shown]
	v_cndmask_b32_e64 v14, 0, v14, s0
	v_cmp_lt_i32_e64 s0, v82, v48
	s_delay_alu instid0(VALU_DEP_1) | instskip(SKIP_1) | instid1(VALU_DEP_2)
	v_cndmask_b32_e64 v97, 0, v97, s0
	v_cmp_lt_i32_e64 s0, v81, v48
	v_perm_b32 v14, v97, v14, 0x5040100
	s_delay_alu instid0(VALU_DEP_2) | instskip(SKIP_1) | instid1(VALU_DEP_1)
	v_cndmask_b32_e64 v98, 0, v98, s0
	v_cmp_lt_i32_e64 s0, v70, v36
	v_cndmask_b32_e64 v13, 0, v13, s0
	v_cmp_lt_i32_e64 s0, v65, v48
	s_delay_alu instid0(VALU_DEP_2) | instskip(NEXT) | instid1(VALU_DEP_2)
	v_perm_b32 v13, v98, v13, 0x5040100
	v_cndmask_b32_e64 v99, 0, v99, s0
	v_cmp_lt_i32_e64 s0, v64, v36
	s_delay_alu instid0(VALU_DEP_1) | instskip(SKIP_1) | instid1(VALU_DEP_2)
	v_cndmask_b32_e64 v0, 0, v0, s0
	v_cmp_lt_i32_e64 s0, v38, v48
	v_perm_b32 v0, v99, v0, 0x5040100
	s_delay_alu instid0(VALU_DEP_2) | instskip(SKIP_1) | instid1(VALU_DEP_1)
	v_cndmask_b32_e64 v11, 0, v11, s0
	v_cmp_lt_i32_e64 s0, v17, v36
	v_cndmask_b32_e64 v12, 0, v12, s0
	s_delay_alu instid0(VALU_DEP_1)
	v_perm_b32 v11, v11, v12, 0x5040100
.LBB369_1385:                           ;   in Loop: Header=BB369_1055 Depth=1
	s_or_b32 exec_lo, exec_lo, s10
	;;#ASMSTART
	v_pk_mul_f16 v12, v80, v14;

	;;#ASMEND
	;;#ASMSTART
	v_pk_mul_f16 v13, v69, v13;

	;;#ASMEND
	;; [unrolled: 4-line block ×4, first 2 shown]
	;;#ASMSTART
	v_pk_add_f16 v12, v12, v13;

	;;#ASMEND
	;;#ASMSTART
	v_pk_add_f16 v0, v12, v0;

	;;#ASMEND
	;; [unrolled: 4-line block ×3, first 2 shown]
	v_dual_mov_b32 v100, 0 :: v_dual_and_b32 v11, 0xffff, v0
	v_lshrrev_b32_e32 v0, 16, v0
	;;#ASMSTART
	v_cvt_f32_f16 v97, v11;
	;;#ASMEND
	;;#ASMSTART
	v_cvt_f32_f16 v98, v0;
	;;#ASMEND
	flat_load_b64 v[11:12], v[9:10] offset:1280
	flat_load_b32 v99, v[26:27]
	s_mov_b32 s10, exec_lo
	s_waitcnt vmcnt(1) lgkmcnt(1)
	v_dual_mov_b32 v101, 0 :: v_dual_and_b32 v0, 0xff, v11
	s_delay_alu instid0(VALU_DEP_1)
	v_cmpx_ne_u16_e32 0, v0
	s_cbranch_execz .LBB369_1393
; %bb.1386:                             ;   in Loop: Header=BB369_1055 Depth=1
	v_bfrev_b32_e32 v100, 1
	s_mov_b32 s12, exec_lo
	v_cmpx_ne_u16_e32 0x80, v0
	s_cbranch_execz .LBB369_1392
; %bb.1387:                             ;   in Loop: Header=BB369_1055 Depth=1
	v_and_b32_e32 v13, 0x7f, v11
	v_mov_b32_e32 v100, 0x7fc02000
	s_mov_b32 s13, exec_lo
	s_delay_alu instid0(VALU_DEP_2)
	v_cmpx_ne_u32_e32 0x7f, v13
	s_cbranch_execz .LBB369_1391
; %bb.1388:                             ;   in Loop: Header=BB369_1055 Depth=1
	v_lshrrev_b32_e32 v0, 3, v13
	v_cmp_gt_u32_e64 s0, 8, v13
	v_dual_mov_b32 v14, v12 :: v_dual_mov_b32 v13, v11
	s_delay_alu instid0(VALU_DEP_2)
	s_and_saveexec_b32 s15, s0
; %bb.1389:                             ;   in Loop: Header=BB369_1055 Depth=1
	v_and_b32_e32 v0, 7, v11
	s_delay_alu instid0(VALU_DEP_1) | instskip(NEXT) | instid1(VALU_DEP_1)
	v_clz_i32_u32_e32 v0, v0
	v_min_u32_e32 v0, 32, v0
	s_delay_alu instid0(VALU_DEP_1) | instskip(SKIP_1) | instid1(VALU_DEP_2)
	v_subrev_nc_u32_e32 v13, 28, v0
	v_sub_nc_u32_e32 v0, 29, v0
	v_lshlrev_b64 v[13:14], v13, v[11:12]
; %bb.1390:                             ;   in Loop: Header=BB369_1055 Depth=1
	s_or_b32 exec_lo, exec_lo, s15
	v_lshlrev_b32_e32 v14, 8, v11
	s_delay_alu instid0(VALU_DEP_3) | instskip(NEXT) | instid1(VALU_DEP_3)
	v_lshl_add_u32 v0, v0, 10, 0x2000
	v_lshlrev_b32_e32 v13, 7, v13
	s_delay_alu instid0(VALU_DEP_2) | instskip(NEXT) | instid1(VALU_DEP_1)
	v_and_or_b32 v0, 0x8000, v14, v0
	v_and_or_b32 v0, 0x380, v13, v0
	s_delay_alu instid0(VALU_DEP_1)
	v_cvt_f32_f16_e32 v100, v0
.LBB369_1391:                           ;   in Loop: Header=BB369_1055 Depth=1
	s_or_b32 exec_lo, exec_lo, s13
.LBB369_1392:                           ;   in Loop: Header=BB369_1055 Depth=1
	s_delay_alu instid0(SALU_CYCLE_1)
	s_or_b32 exec_lo, exec_lo, s12
.LBB369_1393:                           ;   in Loop: Header=BB369_1055 Depth=1
	s_delay_alu instid0(SALU_CYCLE_1) | instskip(SKIP_2) | instid1(VALU_DEP_1)
	s_or_b32 exec_lo, exec_lo, s10
	v_lshrrev_b16 v0, 8, v11
	s_mov_b32 s10, exec_lo
	v_cmpx_ne_u16_e32 0, v0
	s_cbranch_execz .LBB369_1401
; %bb.1394:                             ;   in Loop: Header=BB369_1055 Depth=1
	v_bfrev_b32_e32 v101, 1
	s_mov_b32 s12, exec_lo
	v_cmpx_ne_u16_e32 0x80, v0
	s_cbranch_execz .LBB369_1400
; %bb.1395:                             ;   in Loop: Header=BB369_1055 Depth=1
	v_and_b32_e32 v102, 0xffff, v0
	v_mov_b32_e32 v101, 0x7fc02000
	s_mov_b32 s13, exec_lo
	s_delay_alu instid0(VALU_DEP_2) | instskip(NEXT) | instid1(VALU_DEP_1)
	v_and_b32_e32 v13, 0x7f, v102
	v_cmpx_ne_u32_e32 0x7f, v13
	s_cbranch_execz .LBB369_1399
; %bb.1396:                             ;   in Loop: Header=BB369_1055 Depth=1
	v_and_b32_e32 v0, 7, v102
	v_lshrrev_b32_e32 v101, 3, v13
	v_cmp_gt_u32_e64 s0, 8, v13
	s_delay_alu instid0(VALU_DEP_3) | instskip(NEXT) | instid1(VALU_DEP_2)
	v_dual_mov_b32 v14, v1 :: v_dual_mov_b32 v13, v0
	s_and_saveexec_b32 s15, s0
; %bb.1397:                             ;   in Loop: Header=BB369_1055 Depth=1
	v_clz_i32_u32_e32 v13, v0
	s_delay_alu instid0(VALU_DEP_1) | instskip(NEXT) | instid1(VALU_DEP_1)
	v_min_u32_e32 v101, 32, v13
	v_subrev_nc_u32_e32 v13, 28, v101
	v_sub_nc_u32_e32 v101, 29, v101
	s_delay_alu instid0(VALU_DEP_2) | instskip(NEXT) | instid1(VALU_DEP_1)
	v_lshlrev_b64 v[13:14], v13, v[0:1]
	v_and_b32_e32 v13, 7, v13
; %bb.1398:                             ;   in Loop: Header=BB369_1055 Depth=1
	s_or_b32 exec_lo, exec_lo, s15
	v_lshlrev_b32_e32 v0, 8, v102
	v_lshl_add_u32 v14, v101, 10, 0x2000
	s_delay_alu instid0(VALU_DEP_1) | instskip(NEXT) | instid1(VALU_DEP_1)
	v_and_or_b32 v0, 0x8000, v0, v14
	v_lshl_or_b32 v0, v13, 7, v0
	s_delay_alu instid0(VALU_DEP_1)
	v_cvt_f32_f16_e32 v101, v0
.LBB369_1399:                           ;   in Loop: Header=BB369_1055 Depth=1
	s_or_b32 exec_lo, exec_lo, s13
.LBB369_1400:                           ;   in Loop: Header=BB369_1055 Depth=1
	s_delay_alu instid0(SALU_CYCLE_1)
	s_or_b32 exec_lo, exec_lo, s12
.LBB369_1401:                           ;   in Loop: Header=BB369_1055 Depth=1
	s_delay_alu instid0(SALU_CYCLE_1) | instskip(SKIP_3) | instid1(VALU_DEP_2)
	s_or_b32 exec_lo, exec_lo, s10
	v_lshrrev_b32_e32 v112, 16, v11
	v_mov_b32_e32 v102, 0
	s_mov_b32 s10, exec_lo
	v_dual_mov_b32 v103, 0 :: v_dual_and_b32 v0, 0xff, v112
	s_delay_alu instid0(VALU_DEP_1)
	v_cmpx_ne_u16_e32 0, v0
	s_cbranch_execz .LBB369_1409
; %bb.1402:                             ;   in Loop: Header=BB369_1055 Depth=1
	v_bfrev_b32_e32 v102, 1
	s_mov_b32 s12, exec_lo
	v_cmpx_ne_u16_e32 0x80, v0
	s_cbranch_execz .LBB369_1408
; %bb.1403:                             ;   in Loop: Header=BB369_1055 Depth=1
	v_bfe_u32 v13, v11, 16, 7
	v_mov_b32_e32 v102, 0x7fc02000
	s_mov_b32 s13, exec_lo
	s_delay_alu instid0(VALU_DEP_2)
	v_cmpx_ne_u32_e32 0x7f, v13
	s_cbranch_execz .LBB369_1407
; %bb.1404:                             ;   in Loop: Header=BB369_1055 Depth=1
	v_and_b32_e32 v0, 7, v112
	v_lshrrev_b32_e32 v102, 3, v13
	v_cmp_gt_u32_e64 s0, 8, v13
	s_delay_alu instid0(VALU_DEP_3) | instskip(NEXT) | instid1(VALU_DEP_2)
	v_dual_mov_b32 v14, v1 :: v_dual_mov_b32 v13, v0
	s_and_saveexec_b32 s15, s0
; %bb.1405:                             ;   in Loop: Header=BB369_1055 Depth=1
	v_clz_i32_u32_e32 v13, v0
	s_delay_alu instid0(VALU_DEP_1) | instskip(NEXT) | instid1(VALU_DEP_1)
	v_min_u32_e32 v102, 32, v13
	v_subrev_nc_u32_e32 v13, 28, v102
	v_sub_nc_u32_e32 v102, 29, v102
	s_delay_alu instid0(VALU_DEP_2) | instskip(NEXT) | instid1(VALU_DEP_1)
	v_lshlrev_b64 v[13:14], v13, v[0:1]
	v_and_b32_e32 v13, 7, v13
; %bb.1406:                             ;   in Loop: Header=BB369_1055 Depth=1
	s_or_b32 exec_lo, exec_lo, s15
	v_lshlrev_b32_e32 v0, 8, v112
	v_lshl_add_u32 v14, v102, 10, 0x2000
	s_delay_alu instid0(VALU_DEP_1) | instskip(NEXT) | instid1(VALU_DEP_1)
	v_and_or_b32 v0, 0x8000, v0, v14
	v_lshl_or_b32 v0, v13, 7, v0
	s_delay_alu instid0(VALU_DEP_1)
	v_cvt_f32_f16_e32 v102, v0
.LBB369_1407:                           ;   in Loop: Header=BB369_1055 Depth=1
	s_or_b32 exec_lo, exec_lo, s13
.LBB369_1408:                           ;   in Loop: Header=BB369_1055 Depth=1
	s_delay_alu instid0(SALU_CYCLE_1)
	s_or_b32 exec_lo, exec_lo, s12
.LBB369_1409:                           ;   in Loop: Header=BB369_1055 Depth=1
	s_delay_alu instid0(SALU_CYCLE_1) | instskip(NEXT) | instid1(SALU_CYCLE_1)
	s_or_b32 exec_lo, exec_lo, s10
	s_mov_b32 s10, exec_lo
	v_cmpx_lt_u32_e32 0xffffff, v11
	s_cbranch_execz .LBB369_1417
; %bb.1410:                             ;   in Loop: Header=BB369_1055 Depth=1
	v_lshrrev_b32_e32 v112, 24, v11
	v_bfrev_b32_e32 v103, 1
	s_mov_b32 s12, exec_lo
	s_delay_alu instid0(VALU_DEP_2)
	v_cmpx_ne_u32_e32 0x80, v112
	s_cbranch_execz .LBB369_1416
; %bb.1411:                             ;   in Loop: Header=BB369_1055 Depth=1
	v_and_b32_e32 v13, 0x7f, v112
	v_mov_b32_e32 v103, 0x7fc02000
	s_mov_b32 s13, exec_lo
	s_delay_alu instid0(VALU_DEP_2)
	v_cmpx_ne_u32_e32 0x7f, v13
	s_cbranch_execz .LBB369_1415
; %bb.1412:                             ;   in Loop: Header=BB369_1055 Depth=1
	v_and_b32_e32 v0, 7, v112
	v_lshrrev_b32_e32 v103, 3, v13
	v_cmp_gt_u32_e64 s0, 8, v13
	s_delay_alu instid0(VALU_DEP_3) | instskip(NEXT) | instid1(VALU_DEP_2)
	v_dual_mov_b32 v14, v1 :: v_dual_mov_b32 v13, v0
	s_and_saveexec_b32 s15, s0
; %bb.1413:                             ;   in Loop: Header=BB369_1055 Depth=1
	v_clz_i32_u32_e32 v13, v0
	s_delay_alu instid0(VALU_DEP_1) | instskip(NEXT) | instid1(VALU_DEP_1)
	v_min_u32_e32 v103, 32, v13
	v_subrev_nc_u32_e32 v13, 28, v103
	v_sub_nc_u32_e32 v103, 29, v103
	s_delay_alu instid0(VALU_DEP_2) | instskip(NEXT) | instid1(VALU_DEP_1)
	v_lshlrev_b64 v[13:14], v13, v[0:1]
	v_and_b32_e32 v13, 7, v13
; %bb.1414:                             ;   in Loop: Header=BB369_1055 Depth=1
	s_or_b32 exec_lo, exec_lo, s15
	v_lshlrev_b32_e32 v0, 8, v112
	v_lshl_add_u32 v14, v103, 10, 0x2000
	s_delay_alu instid0(VALU_DEP_1) | instskip(NEXT) | instid1(VALU_DEP_1)
	v_and_or_b32 v0, 0x8000, v0, v14
	v_lshl_or_b32 v0, v13, 7, v0
	s_delay_alu instid0(VALU_DEP_1)
	v_cvt_f32_f16_e32 v103, v0
.LBB369_1415:                           ;   in Loop: Header=BB369_1055 Depth=1
	s_or_b32 exec_lo, exec_lo, s13
.LBB369_1416:                           ;   in Loop: Header=BB369_1055 Depth=1
	s_delay_alu instid0(SALU_CYCLE_1)
	s_or_b32 exec_lo, exec_lo, s12
.LBB369_1417:                           ;   in Loop: Header=BB369_1055 Depth=1
	s_delay_alu instid0(SALU_CYCLE_1) | instskip(SKIP_3) | instid1(VALU_DEP_2)
	s_or_b32 exec_lo, exec_lo, s10
	v_dual_mov_b32 v0, v12 :: v_dual_and_b32 v13, 0xff, v12
	v_dual_mov_b32 v113, 0 :: v_dual_mov_b32 v112, 0
	s_mov_b32 s10, exec_lo
	v_cmpx_ne_u16_e32 0, v13
	s_cbranch_execz .LBB369_1425
; %bb.1418:                             ;   in Loop: Header=BB369_1055 Depth=1
	v_bfrev_b32_e32 v112, 1
	s_mov_b32 s12, exec_lo
	v_cmpx_ne_u16_e32 0x80, v13
	s_cbranch_execz .LBB369_1424
; %bb.1419:                             ;   in Loop: Header=BB369_1055 Depth=1
	v_and_b32_e32 v13, 0x7f, v12
	v_mov_b32_e32 v112, 0x7fc02000
	s_mov_b32 s13, exec_lo
	s_delay_alu instid0(VALU_DEP_2)
	v_cmpx_ne_u32_e32 0x7f, v13
	s_cbranch_execz .LBB369_1423
; %bb.1420:                             ;   in Loop: Header=BB369_1055 Depth=1
	v_lshrrev_b32_e32 v112, 3, v13
	v_cmp_gt_u32_e64 s0, 8, v13
	v_dual_mov_b32 v14, v1 :: v_dual_mov_b32 v13, v0
	s_delay_alu instid0(VALU_DEP_2)
	s_and_saveexec_b32 s15, s0
; %bb.1421:                             ;   in Loop: Header=BB369_1055 Depth=1
	v_and_b32_e32 v13, 7, v12
	s_delay_alu instid0(VALU_DEP_1) | instskip(NEXT) | instid1(VALU_DEP_1)
	v_clz_i32_u32_e32 v13, v13
	v_min_u32_e32 v112, 32, v13
	s_delay_alu instid0(VALU_DEP_1) | instskip(SKIP_1) | instid1(VALU_DEP_2)
	v_subrev_nc_u32_e32 v13, 28, v112
	v_sub_nc_u32_e32 v112, 29, v112
	v_lshlrev_b64 v[13:14], v13, v[0:1]
; %bb.1422:                             ;   in Loop: Header=BB369_1055 Depth=1
	s_or_b32 exec_lo, exec_lo, s15
	v_lshlrev_b32_e32 v14, 8, v12
	s_delay_alu instid0(VALU_DEP_3) | instskip(NEXT) | instid1(VALU_DEP_3)
	v_lshl_add_u32 v112, v112, 10, 0x2000
	v_lshlrev_b32_e32 v13, 7, v13
	s_delay_alu instid0(VALU_DEP_2) | instskip(NEXT) | instid1(VALU_DEP_1)
	v_and_or_b32 v14, 0x8000, v14, v112
	v_and_or_b32 v13, 0x380, v13, v14
	s_delay_alu instid0(VALU_DEP_1)
	v_cvt_f32_f16_e32 v112, v13
.LBB369_1423:                           ;   in Loop: Header=BB369_1055 Depth=1
	s_or_b32 exec_lo, exec_lo, s13
.LBB369_1424:                           ;   in Loop: Header=BB369_1055 Depth=1
	s_delay_alu instid0(SALU_CYCLE_1)
	s_or_b32 exec_lo, exec_lo, s12
.LBB369_1425:                           ;   in Loop: Header=BB369_1055 Depth=1
	s_delay_alu instid0(SALU_CYCLE_1) | instskip(SKIP_2) | instid1(VALU_DEP_1)
	s_or_b32 exec_lo, exec_lo, s10
	v_lshrrev_b16 v0, 8, v0
	s_mov_b32 s10, exec_lo
	v_cmpx_ne_u16_e32 0, v0
	s_cbranch_execz .LBB369_1433
; %bb.1426:                             ;   in Loop: Header=BB369_1055 Depth=1
	v_bfrev_b32_e32 v113, 1
	s_mov_b32 s12, exec_lo
	v_cmpx_ne_u16_e32 0x80, v0
	s_cbranch_execz .LBB369_1432
; %bb.1427:                             ;   in Loop: Header=BB369_1055 Depth=1
	v_and_b32_e32 v114, 0xffff, v0
	v_mov_b32_e32 v113, 0x7fc02000
	s_mov_b32 s13, exec_lo
	s_delay_alu instid0(VALU_DEP_2) | instskip(NEXT) | instid1(VALU_DEP_1)
	v_and_b32_e32 v13, 0x7f, v114
	v_cmpx_ne_u32_e32 0x7f, v13
	s_cbranch_execz .LBB369_1431
; %bb.1428:                             ;   in Loop: Header=BB369_1055 Depth=1
	v_and_b32_e32 v0, 7, v114
	v_lshrrev_b32_e32 v113, 3, v13
	v_cmp_gt_u32_e64 s0, 8, v13
	s_delay_alu instid0(VALU_DEP_3) | instskip(NEXT) | instid1(VALU_DEP_2)
	v_dual_mov_b32 v14, v1 :: v_dual_mov_b32 v13, v0
	s_and_saveexec_b32 s15, s0
; %bb.1429:                             ;   in Loop: Header=BB369_1055 Depth=1
	v_clz_i32_u32_e32 v13, v0
	s_delay_alu instid0(VALU_DEP_1) | instskip(NEXT) | instid1(VALU_DEP_1)
	v_min_u32_e32 v113, 32, v13
	v_subrev_nc_u32_e32 v13, 28, v113
	v_sub_nc_u32_e32 v113, 29, v113
	s_delay_alu instid0(VALU_DEP_2) | instskip(NEXT) | instid1(VALU_DEP_1)
	v_lshlrev_b64 v[13:14], v13, v[0:1]
	v_and_b32_e32 v13, 7, v13
; %bb.1430:                             ;   in Loop: Header=BB369_1055 Depth=1
	s_or_b32 exec_lo, exec_lo, s15
	v_lshlrev_b32_e32 v0, 8, v114
	v_lshl_add_u32 v14, v113, 10, 0x2000
	s_delay_alu instid0(VALU_DEP_1) | instskip(NEXT) | instid1(VALU_DEP_1)
	v_and_or_b32 v0, 0x8000, v0, v14
	v_lshl_or_b32 v0, v13, 7, v0
	s_delay_alu instid0(VALU_DEP_1)
	v_cvt_f32_f16_e32 v113, v0
.LBB369_1431:                           ;   in Loop: Header=BB369_1055 Depth=1
	s_or_b32 exec_lo, exec_lo, s13
.LBB369_1432:                           ;   in Loop: Header=BB369_1055 Depth=1
	s_delay_alu instid0(SALU_CYCLE_1)
	s_or_b32 exec_lo, exec_lo, s12
.LBB369_1433:                           ;   in Loop: Header=BB369_1055 Depth=1
	s_delay_alu instid0(SALU_CYCLE_1) | instskip(SKIP_3) | instid1(VALU_DEP_2)
	s_or_b32 exec_lo, exec_lo, s10
	v_lshrrev_b32_e32 v115, 16, v12
	v_mov_b32_e32 v114, 0
	s_mov_b32 s10, exec_lo
	v_dual_mov_b32 v13, 0 :: v_dual_and_b32 v0, 0xff, v115
	s_delay_alu instid0(VALU_DEP_1)
	v_cmpx_ne_u16_e32 0, v0
	s_cbranch_execz .LBB369_1441
; %bb.1434:                             ;   in Loop: Header=BB369_1055 Depth=1
	v_bfrev_b32_e32 v13, 1
	s_mov_b32 s12, exec_lo
	v_cmpx_ne_u16_e32 0x80, v0
	s_cbranch_execz .LBB369_1440
; %bb.1435:                             ;   in Loop: Header=BB369_1055 Depth=1
	v_bfe_u32 v14, v12, 16, 7
	v_mov_b32_e32 v13, 0x7fc02000
	s_mov_b32 s13, exec_lo
	s_delay_alu instid0(VALU_DEP_2)
	v_cmpx_ne_u32_e32 0x7f, v14
	s_cbranch_execz .LBB369_1439
; %bb.1436:                             ;   in Loop: Header=BB369_1055 Depth=1
	v_and_b32_e32 v0, 7, v115
	v_lshrrev_b32_e32 v116, 3, v14
	v_cmp_gt_u32_e64 s0, 8, v14
	s_delay_alu instid0(VALU_DEP_3) | instskip(NEXT) | instid1(VALU_DEP_2)
	v_dual_mov_b32 v14, v1 :: v_dual_mov_b32 v13, v0
	s_and_saveexec_b32 s15, s0
; %bb.1437:                             ;   in Loop: Header=BB369_1055 Depth=1
	v_clz_i32_u32_e32 v13, v0
	s_delay_alu instid0(VALU_DEP_1) | instskip(NEXT) | instid1(VALU_DEP_1)
	v_min_u32_e32 v116, 32, v13
	v_subrev_nc_u32_e32 v13, 28, v116
	v_sub_nc_u32_e32 v116, 29, v116
	s_delay_alu instid0(VALU_DEP_2) | instskip(NEXT) | instid1(VALU_DEP_1)
	v_lshlrev_b64 v[13:14], v13, v[0:1]
	v_and_b32_e32 v13, 7, v13
; %bb.1438:                             ;   in Loop: Header=BB369_1055 Depth=1
	s_or_b32 exec_lo, exec_lo, s15
	v_lshlrev_b32_e32 v0, 8, v115
	v_lshl_add_u32 v14, v116, 10, 0x2000
	s_delay_alu instid0(VALU_DEP_1) | instskip(NEXT) | instid1(VALU_DEP_1)
	v_and_or_b32 v0, 0x8000, v0, v14
	v_lshl_or_b32 v0, v13, 7, v0
	s_delay_alu instid0(VALU_DEP_1)
	v_cvt_f32_f16_e32 v13, v0
.LBB369_1439:                           ;   in Loop: Header=BB369_1055 Depth=1
	s_or_b32 exec_lo, exec_lo, s13
.LBB369_1440:                           ;   in Loop: Header=BB369_1055 Depth=1
	s_delay_alu instid0(SALU_CYCLE_1)
	s_or_b32 exec_lo, exec_lo, s12
.LBB369_1441:                           ;   in Loop: Header=BB369_1055 Depth=1
	s_delay_alu instid0(SALU_CYCLE_1) | instskip(NEXT) | instid1(SALU_CYCLE_1)
	s_or_b32 exec_lo, exec_lo, s10
	s_mov_b32 s10, exec_lo
	v_cmpx_lt_u64_e64 s[8:9], v[11:12]
	s_cbranch_execz .LBB369_1449
; %bb.1442:                             ;   in Loop: Header=BB369_1055 Depth=1
	v_lshrrev_b32_e32 v14, 24, v12
	v_bfrev_b32_e32 v114, 1
	s_mov_b32 s12, exec_lo
	s_delay_alu instid0(VALU_DEP_2)
	v_cmpx_ne_u32_e32 0x80, v14
	s_cbranch_execz .LBB369_1448
; %bb.1443:                             ;   in Loop: Header=BB369_1055 Depth=1
	v_and_b32_e32 v11, 0x7f, v14
	v_mov_b32_e32 v114, 0x7fc02000
	s_mov_b32 s13, exec_lo
	s_delay_alu instid0(VALU_DEP_2)
	v_cmpx_ne_u32_e32 0x7f, v11
	s_cbranch_execz .LBB369_1447
; %bb.1444:                             ;   in Loop: Header=BB369_1055 Depth=1
	v_and_b32_e32 v0, 7, v14
	v_lshrrev_b32_e32 v114, 3, v11
	v_cmp_gt_u32_e64 s0, 8, v11
	s_delay_alu instid0(VALU_DEP_3) | instskip(NEXT) | instid1(VALU_DEP_2)
	v_dual_mov_b32 v12, v1 :: v_dual_mov_b32 v11, v0
	s_and_saveexec_b32 s15, s0
; %bb.1445:                             ;   in Loop: Header=BB369_1055 Depth=1
	v_clz_i32_u32_e32 v11, v0
	s_delay_alu instid0(VALU_DEP_1) | instskip(NEXT) | instid1(VALU_DEP_1)
	v_min_u32_e32 v114, 32, v11
	v_subrev_nc_u32_e32 v11, 28, v114
	v_sub_nc_u32_e32 v114, 29, v114
	s_delay_alu instid0(VALU_DEP_2) | instskip(NEXT) | instid1(VALU_DEP_1)
	v_lshlrev_b64 v[11:12], v11, v[0:1]
	v_and_b32_e32 v11, 7, v11
; %bb.1446:                             ;   in Loop: Header=BB369_1055 Depth=1
	s_or_b32 exec_lo, exec_lo, s15
	v_lshlrev_b32_e32 v0, 8, v14
	v_lshl_add_u32 v12, v114, 10, 0x2000
	s_delay_alu instid0(VALU_DEP_1) | instskip(NEXT) | instid1(VALU_DEP_1)
	v_and_or_b32 v0, 0x8000, v0, v12
	v_lshl_or_b32 v0, v11, 7, v0
	s_delay_alu instid0(VALU_DEP_1)
	v_cvt_f32_f16_e32 v114, v0
.LBB369_1447:                           ;   in Loop: Header=BB369_1055 Depth=1
	s_or_b32 exec_lo, exec_lo, s13
.LBB369_1448:                           ;   in Loop: Header=BB369_1055 Depth=1
	s_delay_alu instid0(SALU_CYCLE_1)
	s_or_b32 exec_lo, exec_lo, s12
.LBB369_1449:                           ;   in Loop: Header=BB369_1055 Depth=1
	s_delay_alu instid0(SALU_CYCLE_1)
	s_or_b32 exec_lo, exec_lo, s10
	s_waitcnt vmcnt(0) lgkmcnt(0)
	v_fma_mixlo_f16 v12, v99, v101, 0
	v_fma_mixlo_f16 v0, v99, v103, 0
	;; [unrolled: 1-line block ×5, first 2 shown]
	v_lshlrev_b32_e32 v14, 16, v12
	v_fma_mixlo_f16 v102, v99, v112, 0
	v_fma_mixlo_f16 v103, v99, v114, 0
	;; [unrolled: 1-line block ×3, first 2 shown]
	v_lshlrev_b32_e32 v0, 16, v0
	v_and_b32_e32 v11, 0xffff, v11
	v_and_b32_e32 v99, 0xffff, v100
	v_lshlrev_b32_e32 v100, 16, v101
	v_and_b32_e32 v101, 0xffff, v102
	v_lshlrev_b32_e32 v102, 16, v103
	v_and_b32_e32 v103, 0xffff, v12
	v_or_b32_e32 v13, v0, v11
	v_or_b32_e32 v14, v14, v99
	;; [unrolled: 1-line block ×3, first 2 shown]
	s_delay_alu instid0(VALU_DEP_4)
	v_or_b32_e32 v11, v102, v103
	s_and_saveexec_b32 s10, vcc_lo
	s_cbranch_execz .LBB369_1451
; %bb.1450:                             ;   in Loop: Header=BB369_1055 Depth=1
	v_cmp_lt_i32_e64 s0, v15, v36
	v_lshrrev_b32_e32 v99, 16, v14
	v_lshrrev_b32_e32 v100, 16, v13
	v_lshrrev_b32_e32 v101, 16, v0
	v_lshrrev_b32_e32 v11, 16, v11
	v_cndmask_b32_e64 v14, 0, v14, s0
	v_cmp_lt_i32_e64 s0, v82, v48
	s_delay_alu instid0(VALU_DEP_1) | instskip(SKIP_1) | instid1(VALU_DEP_2)
	v_cndmask_b32_e64 v99, 0, v99, s0
	v_cmp_lt_i32_e64 s0, v81, v48
	v_perm_b32 v14, v99, v14, 0x5040100
	s_delay_alu instid0(VALU_DEP_2) | instskip(SKIP_1) | instid1(VALU_DEP_1)
	v_cndmask_b32_e64 v100, 0, v100, s0
	v_cmp_lt_i32_e64 s0, v70, v36
	v_cndmask_b32_e64 v13, 0, v13, s0
	v_cmp_lt_i32_e64 s0, v65, v48
	s_delay_alu instid0(VALU_DEP_2) | instskip(NEXT) | instid1(VALU_DEP_2)
	v_perm_b32 v13, v100, v13, 0x5040100
	v_cndmask_b32_e64 v101, 0, v101, s0
	v_cmp_lt_i32_e64 s0, v64, v36
	s_delay_alu instid0(VALU_DEP_1) | instskip(SKIP_1) | instid1(VALU_DEP_2)
	v_cndmask_b32_e64 v0, 0, v0, s0
	v_cmp_lt_i32_e64 s0, v38, v48
	v_perm_b32 v0, v101, v0, 0x5040100
	s_delay_alu instid0(VALU_DEP_2) | instskip(SKIP_1) | instid1(VALU_DEP_1)
	v_cndmask_b32_e64 v11, 0, v11, s0
	v_cmp_lt_i32_e64 s0, v17, v36
	v_cndmask_b32_e64 v12, 0, v12, s0
	s_delay_alu instid0(VALU_DEP_1)
	v_perm_b32 v11, v11, v12, 0x5040100
.LBB369_1451:                           ;   in Loop: Header=BB369_1055 Depth=1
	s_or_b32 exec_lo, exec_lo, s10
	;;#ASMSTART
	v_pk_mul_f16 v12, v80, v14;

	;;#ASMEND
	;;#ASMSTART
	v_pk_mul_f16 v13, v69, v13;

	;;#ASMEND
	;; [unrolled: 4-line block ×4, first 2 shown]
	;;#ASMSTART
	v_pk_add_f16 v12, v12, v13;

	;;#ASMEND
	;;#ASMSTART
	v_pk_add_f16 v0, v12, v0;

	;;#ASMEND
	;; [unrolled: 4-line block ×3, first 2 shown]
	v_dual_mov_b32 v102, 0 :: v_dual_and_b32 v11, 0xffff, v0
	v_lshrrev_b32_e32 v0, 16, v0
	;;#ASMSTART
	v_cvt_f32_f16 v99, v11;
	;;#ASMEND
	;;#ASMSTART
	v_cvt_f32_f16 v100, v0;
	;;#ASMEND
	flat_load_b64 v[11:12], v[9:10] offset:1536
	flat_load_b32 v101, v[26:27]
	s_mov_b32 s10, exec_lo
	s_waitcnt vmcnt(1) lgkmcnt(1)
	v_dual_mov_b32 v103, 0 :: v_dual_and_b32 v0, 0xff, v11
	s_delay_alu instid0(VALU_DEP_1)
	v_cmpx_ne_u16_e32 0, v0
	s_cbranch_execz .LBB369_1459
; %bb.1452:                             ;   in Loop: Header=BB369_1055 Depth=1
	v_bfrev_b32_e32 v102, 1
	s_mov_b32 s12, exec_lo
	v_cmpx_ne_u16_e32 0x80, v0
	s_cbranch_execz .LBB369_1458
; %bb.1453:                             ;   in Loop: Header=BB369_1055 Depth=1
	v_and_b32_e32 v13, 0x7f, v11
	v_mov_b32_e32 v102, 0x7fc02000
	s_mov_b32 s13, exec_lo
	s_delay_alu instid0(VALU_DEP_2)
	v_cmpx_ne_u32_e32 0x7f, v13
	s_cbranch_execz .LBB369_1457
; %bb.1454:                             ;   in Loop: Header=BB369_1055 Depth=1
	v_lshrrev_b32_e32 v0, 3, v13
	v_cmp_gt_u32_e64 s0, 8, v13
	v_dual_mov_b32 v14, v12 :: v_dual_mov_b32 v13, v11
	s_delay_alu instid0(VALU_DEP_2)
	s_and_saveexec_b32 s15, s0
; %bb.1455:                             ;   in Loop: Header=BB369_1055 Depth=1
	v_and_b32_e32 v0, 7, v11
	s_delay_alu instid0(VALU_DEP_1) | instskip(NEXT) | instid1(VALU_DEP_1)
	v_clz_i32_u32_e32 v0, v0
	v_min_u32_e32 v0, 32, v0
	s_delay_alu instid0(VALU_DEP_1) | instskip(SKIP_1) | instid1(VALU_DEP_2)
	v_subrev_nc_u32_e32 v13, 28, v0
	v_sub_nc_u32_e32 v0, 29, v0
	v_lshlrev_b64 v[13:14], v13, v[11:12]
; %bb.1456:                             ;   in Loop: Header=BB369_1055 Depth=1
	s_or_b32 exec_lo, exec_lo, s15
	v_lshlrev_b32_e32 v14, 8, v11
	s_delay_alu instid0(VALU_DEP_3) | instskip(NEXT) | instid1(VALU_DEP_3)
	v_lshl_add_u32 v0, v0, 10, 0x2000
	v_lshlrev_b32_e32 v13, 7, v13
	s_delay_alu instid0(VALU_DEP_2) | instskip(NEXT) | instid1(VALU_DEP_1)
	v_and_or_b32 v0, 0x8000, v14, v0
	v_and_or_b32 v0, 0x380, v13, v0
	s_delay_alu instid0(VALU_DEP_1)
	v_cvt_f32_f16_e32 v102, v0
.LBB369_1457:                           ;   in Loop: Header=BB369_1055 Depth=1
	s_or_b32 exec_lo, exec_lo, s13
.LBB369_1458:                           ;   in Loop: Header=BB369_1055 Depth=1
	s_delay_alu instid0(SALU_CYCLE_1)
	s_or_b32 exec_lo, exec_lo, s12
.LBB369_1459:                           ;   in Loop: Header=BB369_1055 Depth=1
	s_delay_alu instid0(SALU_CYCLE_1) | instskip(SKIP_2) | instid1(VALU_DEP_1)
	s_or_b32 exec_lo, exec_lo, s10
	v_lshrrev_b16 v0, 8, v11
	s_mov_b32 s10, exec_lo
	v_cmpx_ne_u16_e32 0, v0
	s_cbranch_execz .LBB369_1467
; %bb.1460:                             ;   in Loop: Header=BB369_1055 Depth=1
	v_bfrev_b32_e32 v103, 1
	s_mov_b32 s12, exec_lo
	v_cmpx_ne_u16_e32 0x80, v0
	s_cbranch_execz .LBB369_1466
; %bb.1461:                             ;   in Loop: Header=BB369_1055 Depth=1
	v_and_b32_e32 v112, 0xffff, v0
	v_mov_b32_e32 v103, 0x7fc02000
	s_mov_b32 s13, exec_lo
	s_delay_alu instid0(VALU_DEP_2) | instskip(NEXT) | instid1(VALU_DEP_1)
	v_and_b32_e32 v13, 0x7f, v112
	v_cmpx_ne_u32_e32 0x7f, v13
	s_cbranch_execz .LBB369_1465
; %bb.1462:                             ;   in Loop: Header=BB369_1055 Depth=1
	v_and_b32_e32 v0, 7, v112
	v_lshrrev_b32_e32 v103, 3, v13
	v_cmp_gt_u32_e64 s0, 8, v13
	s_delay_alu instid0(VALU_DEP_3) | instskip(NEXT) | instid1(VALU_DEP_2)
	v_dual_mov_b32 v14, v1 :: v_dual_mov_b32 v13, v0
	s_and_saveexec_b32 s15, s0
; %bb.1463:                             ;   in Loop: Header=BB369_1055 Depth=1
	v_clz_i32_u32_e32 v13, v0
	s_delay_alu instid0(VALU_DEP_1) | instskip(NEXT) | instid1(VALU_DEP_1)
	v_min_u32_e32 v103, 32, v13
	v_subrev_nc_u32_e32 v13, 28, v103
	v_sub_nc_u32_e32 v103, 29, v103
	s_delay_alu instid0(VALU_DEP_2) | instskip(NEXT) | instid1(VALU_DEP_1)
	v_lshlrev_b64 v[13:14], v13, v[0:1]
	v_and_b32_e32 v13, 7, v13
; %bb.1464:                             ;   in Loop: Header=BB369_1055 Depth=1
	s_or_b32 exec_lo, exec_lo, s15
	v_lshlrev_b32_e32 v0, 8, v112
	v_lshl_add_u32 v14, v103, 10, 0x2000
	s_delay_alu instid0(VALU_DEP_1) | instskip(NEXT) | instid1(VALU_DEP_1)
	v_and_or_b32 v0, 0x8000, v0, v14
	v_lshl_or_b32 v0, v13, 7, v0
	s_delay_alu instid0(VALU_DEP_1)
	v_cvt_f32_f16_e32 v103, v0
.LBB369_1465:                           ;   in Loop: Header=BB369_1055 Depth=1
	s_or_b32 exec_lo, exec_lo, s13
.LBB369_1466:                           ;   in Loop: Header=BB369_1055 Depth=1
	s_delay_alu instid0(SALU_CYCLE_1)
	s_or_b32 exec_lo, exec_lo, s12
.LBB369_1467:                           ;   in Loop: Header=BB369_1055 Depth=1
	s_delay_alu instid0(SALU_CYCLE_1) | instskip(SKIP_3) | instid1(VALU_DEP_2)
	s_or_b32 exec_lo, exec_lo, s10
	v_lshrrev_b32_e32 v114, 16, v11
	v_mov_b32_e32 v112, 0
	s_mov_b32 s10, exec_lo
	v_dual_mov_b32 v113, 0 :: v_dual_and_b32 v0, 0xff, v114
	s_delay_alu instid0(VALU_DEP_1)
	v_cmpx_ne_u16_e32 0, v0
	s_cbranch_execz .LBB369_1475
; %bb.1468:                             ;   in Loop: Header=BB369_1055 Depth=1
	v_bfrev_b32_e32 v112, 1
	s_mov_b32 s12, exec_lo
	v_cmpx_ne_u16_e32 0x80, v0
	s_cbranch_execz .LBB369_1474
; %bb.1469:                             ;   in Loop: Header=BB369_1055 Depth=1
	v_bfe_u32 v13, v11, 16, 7
	v_mov_b32_e32 v112, 0x7fc02000
	s_mov_b32 s13, exec_lo
	s_delay_alu instid0(VALU_DEP_2)
	v_cmpx_ne_u32_e32 0x7f, v13
	s_cbranch_execz .LBB369_1473
; %bb.1470:                             ;   in Loop: Header=BB369_1055 Depth=1
	v_and_b32_e32 v0, 7, v114
	v_lshrrev_b32_e32 v112, 3, v13
	v_cmp_gt_u32_e64 s0, 8, v13
	s_delay_alu instid0(VALU_DEP_3) | instskip(NEXT) | instid1(VALU_DEP_2)
	v_dual_mov_b32 v14, v1 :: v_dual_mov_b32 v13, v0
	s_and_saveexec_b32 s15, s0
; %bb.1471:                             ;   in Loop: Header=BB369_1055 Depth=1
	v_clz_i32_u32_e32 v13, v0
	s_delay_alu instid0(VALU_DEP_1) | instskip(NEXT) | instid1(VALU_DEP_1)
	v_min_u32_e32 v112, 32, v13
	v_subrev_nc_u32_e32 v13, 28, v112
	v_sub_nc_u32_e32 v112, 29, v112
	s_delay_alu instid0(VALU_DEP_2) | instskip(NEXT) | instid1(VALU_DEP_1)
	v_lshlrev_b64 v[13:14], v13, v[0:1]
	v_and_b32_e32 v13, 7, v13
; %bb.1472:                             ;   in Loop: Header=BB369_1055 Depth=1
	s_or_b32 exec_lo, exec_lo, s15
	v_lshlrev_b32_e32 v0, 8, v114
	v_lshl_add_u32 v14, v112, 10, 0x2000
	s_delay_alu instid0(VALU_DEP_1) | instskip(NEXT) | instid1(VALU_DEP_1)
	v_and_or_b32 v0, 0x8000, v0, v14
	v_lshl_or_b32 v0, v13, 7, v0
	s_delay_alu instid0(VALU_DEP_1)
	v_cvt_f32_f16_e32 v112, v0
.LBB369_1473:                           ;   in Loop: Header=BB369_1055 Depth=1
	s_or_b32 exec_lo, exec_lo, s13
.LBB369_1474:                           ;   in Loop: Header=BB369_1055 Depth=1
	s_delay_alu instid0(SALU_CYCLE_1)
	s_or_b32 exec_lo, exec_lo, s12
.LBB369_1475:                           ;   in Loop: Header=BB369_1055 Depth=1
	s_delay_alu instid0(SALU_CYCLE_1) | instskip(NEXT) | instid1(SALU_CYCLE_1)
	s_or_b32 exec_lo, exec_lo, s10
	s_mov_b32 s10, exec_lo
	v_cmpx_lt_u32_e32 0xffffff, v11
	s_cbranch_execz .LBB369_1483
; %bb.1476:                             ;   in Loop: Header=BB369_1055 Depth=1
	v_lshrrev_b32_e32 v114, 24, v11
	v_bfrev_b32_e32 v113, 1
	s_mov_b32 s12, exec_lo
	s_delay_alu instid0(VALU_DEP_2)
	v_cmpx_ne_u32_e32 0x80, v114
	s_cbranch_execz .LBB369_1482
; %bb.1477:                             ;   in Loop: Header=BB369_1055 Depth=1
	v_and_b32_e32 v13, 0x7f, v114
	v_mov_b32_e32 v113, 0x7fc02000
	s_mov_b32 s13, exec_lo
	s_delay_alu instid0(VALU_DEP_2)
	v_cmpx_ne_u32_e32 0x7f, v13
	s_cbranch_execz .LBB369_1481
; %bb.1478:                             ;   in Loop: Header=BB369_1055 Depth=1
	v_and_b32_e32 v0, 7, v114
	v_lshrrev_b32_e32 v113, 3, v13
	v_cmp_gt_u32_e64 s0, 8, v13
	s_delay_alu instid0(VALU_DEP_3) | instskip(NEXT) | instid1(VALU_DEP_2)
	v_dual_mov_b32 v14, v1 :: v_dual_mov_b32 v13, v0
	s_and_saveexec_b32 s15, s0
; %bb.1479:                             ;   in Loop: Header=BB369_1055 Depth=1
	v_clz_i32_u32_e32 v13, v0
	s_delay_alu instid0(VALU_DEP_1) | instskip(NEXT) | instid1(VALU_DEP_1)
	v_min_u32_e32 v113, 32, v13
	v_subrev_nc_u32_e32 v13, 28, v113
	v_sub_nc_u32_e32 v113, 29, v113
	s_delay_alu instid0(VALU_DEP_2) | instskip(NEXT) | instid1(VALU_DEP_1)
	v_lshlrev_b64 v[13:14], v13, v[0:1]
	v_and_b32_e32 v13, 7, v13
; %bb.1480:                             ;   in Loop: Header=BB369_1055 Depth=1
	s_or_b32 exec_lo, exec_lo, s15
	v_lshlrev_b32_e32 v0, 8, v114
	v_lshl_add_u32 v14, v113, 10, 0x2000
	s_delay_alu instid0(VALU_DEP_1) | instskip(NEXT) | instid1(VALU_DEP_1)
	v_and_or_b32 v0, 0x8000, v0, v14
	v_lshl_or_b32 v0, v13, 7, v0
	s_delay_alu instid0(VALU_DEP_1)
	v_cvt_f32_f16_e32 v113, v0
.LBB369_1481:                           ;   in Loop: Header=BB369_1055 Depth=1
	s_or_b32 exec_lo, exec_lo, s13
.LBB369_1482:                           ;   in Loop: Header=BB369_1055 Depth=1
	s_delay_alu instid0(SALU_CYCLE_1)
	s_or_b32 exec_lo, exec_lo, s12
.LBB369_1483:                           ;   in Loop: Header=BB369_1055 Depth=1
	s_delay_alu instid0(SALU_CYCLE_1) | instskip(SKIP_3) | instid1(VALU_DEP_2)
	s_or_b32 exec_lo, exec_lo, s10
	v_dual_mov_b32 v0, v12 :: v_dual_and_b32 v13, 0xff, v12
	v_dual_mov_b32 v115, 0 :: v_dual_mov_b32 v114, 0
	s_mov_b32 s10, exec_lo
	v_cmpx_ne_u16_e32 0, v13
	s_cbranch_execz .LBB369_1491
; %bb.1484:                             ;   in Loop: Header=BB369_1055 Depth=1
	v_bfrev_b32_e32 v114, 1
	s_mov_b32 s12, exec_lo
	v_cmpx_ne_u16_e32 0x80, v13
	s_cbranch_execz .LBB369_1490
; %bb.1485:                             ;   in Loop: Header=BB369_1055 Depth=1
	v_and_b32_e32 v13, 0x7f, v12
	v_mov_b32_e32 v114, 0x7fc02000
	s_mov_b32 s13, exec_lo
	s_delay_alu instid0(VALU_DEP_2)
	v_cmpx_ne_u32_e32 0x7f, v13
	s_cbranch_execz .LBB369_1489
; %bb.1486:                             ;   in Loop: Header=BB369_1055 Depth=1
	v_lshrrev_b32_e32 v114, 3, v13
	v_cmp_gt_u32_e64 s0, 8, v13
	v_dual_mov_b32 v14, v1 :: v_dual_mov_b32 v13, v0
	s_delay_alu instid0(VALU_DEP_2)
	s_and_saveexec_b32 s15, s0
; %bb.1487:                             ;   in Loop: Header=BB369_1055 Depth=1
	v_and_b32_e32 v13, 7, v12
	s_delay_alu instid0(VALU_DEP_1) | instskip(NEXT) | instid1(VALU_DEP_1)
	v_clz_i32_u32_e32 v13, v13
	v_min_u32_e32 v114, 32, v13
	s_delay_alu instid0(VALU_DEP_1) | instskip(SKIP_1) | instid1(VALU_DEP_2)
	v_subrev_nc_u32_e32 v13, 28, v114
	v_sub_nc_u32_e32 v114, 29, v114
	v_lshlrev_b64 v[13:14], v13, v[0:1]
; %bb.1488:                             ;   in Loop: Header=BB369_1055 Depth=1
	s_or_b32 exec_lo, exec_lo, s15
	v_lshlrev_b32_e32 v14, 8, v12
	s_delay_alu instid0(VALU_DEP_3) | instskip(NEXT) | instid1(VALU_DEP_3)
	v_lshl_add_u32 v114, v114, 10, 0x2000
	v_lshlrev_b32_e32 v13, 7, v13
	s_delay_alu instid0(VALU_DEP_2) | instskip(NEXT) | instid1(VALU_DEP_1)
	v_and_or_b32 v14, 0x8000, v14, v114
	v_and_or_b32 v13, 0x380, v13, v14
	s_delay_alu instid0(VALU_DEP_1)
	v_cvt_f32_f16_e32 v114, v13
.LBB369_1489:                           ;   in Loop: Header=BB369_1055 Depth=1
	s_or_b32 exec_lo, exec_lo, s13
.LBB369_1490:                           ;   in Loop: Header=BB369_1055 Depth=1
	s_delay_alu instid0(SALU_CYCLE_1)
	s_or_b32 exec_lo, exec_lo, s12
.LBB369_1491:                           ;   in Loop: Header=BB369_1055 Depth=1
	s_delay_alu instid0(SALU_CYCLE_1) | instskip(SKIP_2) | instid1(VALU_DEP_1)
	s_or_b32 exec_lo, exec_lo, s10
	v_lshrrev_b16 v0, 8, v0
	s_mov_b32 s10, exec_lo
	v_cmpx_ne_u16_e32 0, v0
	s_cbranch_execz .LBB369_1499
; %bb.1492:                             ;   in Loop: Header=BB369_1055 Depth=1
	v_bfrev_b32_e32 v115, 1
	s_mov_b32 s12, exec_lo
	v_cmpx_ne_u16_e32 0x80, v0
	s_cbranch_execz .LBB369_1498
; %bb.1493:                             ;   in Loop: Header=BB369_1055 Depth=1
	v_and_b32_e32 v116, 0xffff, v0
	v_mov_b32_e32 v115, 0x7fc02000
	s_mov_b32 s13, exec_lo
	s_delay_alu instid0(VALU_DEP_2) | instskip(NEXT) | instid1(VALU_DEP_1)
	v_and_b32_e32 v13, 0x7f, v116
	v_cmpx_ne_u32_e32 0x7f, v13
	s_cbranch_execz .LBB369_1497
; %bb.1494:                             ;   in Loop: Header=BB369_1055 Depth=1
	v_and_b32_e32 v0, 7, v116
	v_lshrrev_b32_e32 v115, 3, v13
	v_cmp_gt_u32_e64 s0, 8, v13
	s_delay_alu instid0(VALU_DEP_3) | instskip(NEXT) | instid1(VALU_DEP_2)
	v_dual_mov_b32 v14, v1 :: v_dual_mov_b32 v13, v0
	s_and_saveexec_b32 s15, s0
; %bb.1495:                             ;   in Loop: Header=BB369_1055 Depth=1
	v_clz_i32_u32_e32 v13, v0
	s_delay_alu instid0(VALU_DEP_1) | instskip(NEXT) | instid1(VALU_DEP_1)
	v_min_u32_e32 v115, 32, v13
	v_subrev_nc_u32_e32 v13, 28, v115
	v_sub_nc_u32_e32 v115, 29, v115
	s_delay_alu instid0(VALU_DEP_2) | instskip(NEXT) | instid1(VALU_DEP_1)
	v_lshlrev_b64 v[13:14], v13, v[0:1]
	v_and_b32_e32 v13, 7, v13
; %bb.1496:                             ;   in Loop: Header=BB369_1055 Depth=1
	s_or_b32 exec_lo, exec_lo, s15
	v_lshlrev_b32_e32 v0, 8, v116
	v_lshl_add_u32 v14, v115, 10, 0x2000
	s_delay_alu instid0(VALU_DEP_1) | instskip(NEXT) | instid1(VALU_DEP_1)
	v_and_or_b32 v0, 0x8000, v0, v14
	v_lshl_or_b32 v0, v13, 7, v0
	s_delay_alu instid0(VALU_DEP_1)
	v_cvt_f32_f16_e32 v115, v0
.LBB369_1497:                           ;   in Loop: Header=BB369_1055 Depth=1
	s_or_b32 exec_lo, exec_lo, s13
.LBB369_1498:                           ;   in Loop: Header=BB369_1055 Depth=1
	s_delay_alu instid0(SALU_CYCLE_1)
	s_or_b32 exec_lo, exec_lo, s12
.LBB369_1499:                           ;   in Loop: Header=BB369_1055 Depth=1
	s_delay_alu instid0(SALU_CYCLE_1) | instskip(SKIP_3) | instid1(VALU_DEP_2)
	s_or_b32 exec_lo, exec_lo, s10
	v_lshrrev_b32_e32 v117, 16, v12
	v_mov_b32_e32 v116, 0
	s_mov_b32 s10, exec_lo
	v_dual_mov_b32 v13, 0 :: v_dual_and_b32 v0, 0xff, v117
	s_delay_alu instid0(VALU_DEP_1)
	v_cmpx_ne_u16_e32 0, v0
	s_cbranch_execz .LBB369_1507
; %bb.1500:                             ;   in Loop: Header=BB369_1055 Depth=1
	v_bfrev_b32_e32 v13, 1
	s_mov_b32 s12, exec_lo
	v_cmpx_ne_u16_e32 0x80, v0
	s_cbranch_execz .LBB369_1506
; %bb.1501:                             ;   in Loop: Header=BB369_1055 Depth=1
	v_bfe_u32 v14, v12, 16, 7
	v_mov_b32_e32 v13, 0x7fc02000
	s_mov_b32 s13, exec_lo
	s_delay_alu instid0(VALU_DEP_2)
	v_cmpx_ne_u32_e32 0x7f, v14
	s_cbranch_execz .LBB369_1505
; %bb.1502:                             ;   in Loop: Header=BB369_1055 Depth=1
	v_and_b32_e32 v0, 7, v117
	v_lshrrev_b32_e32 v118, 3, v14
	v_cmp_gt_u32_e64 s0, 8, v14
	s_delay_alu instid0(VALU_DEP_3) | instskip(NEXT) | instid1(VALU_DEP_2)
	v_dual_mov_b32 v14, v1 :: v_dual_mov_b32 v13, v0
	s_and_saveexec_b32 s15, s0
; %bb.1503:                             ;   in Loop: Header=BB369_1055 Depth=1
	v_clz_i32_u32_e32 v13, v0
	s_delay_alu instid0(VALU_DEP_1) | instskip(NEXT) | instid1(VALU_DEP_1)
	v_min_u32_e32 v118, 32, v13
	v_subrev_nc_u32_e32 v13, 28, v118
	v_sub_nc_u32_e32 v118, 29, v118
	s_delay_alu instid0(VALU_DEP_2) | instskip(NEXT) | instid1(VALU_DEP_1)
	v_lshlrev_b64 v[13:14], v13, v[0:1]
	v_and_b32_e32 v13, 7, v13
; %bb.1504:                             ;   in Loop: Header=BB369_1055 Depth=1
	s_or_b32 exec_lo, exec_lo, s15
	v_lshlrev_b32_e32 v0, 8, v117
	v_lshl_add_u32 v14, v118, 10, 0x2000
	s_delay_alu instid0(VALU_DEP_1) | instskip(NEXT) | instid1(VALU_DEP_1)
	v_and_or_b32 v0, 0x8000, v0, v14
	v_lshl_or_b32 v0, v13, 7, v0
	s_delay_alu instid0(VALU_DEP_1)
	v_cvt_f32_f16_e32 v13, v0
.LBB369_1505:                           ;   in Loop: Header=BB369_1055 Depth=1
	s_or_b32 exec_lo, exec_lo, s13
.LBB369_1506:                           ;   in Loop: Header=BB369_1055 Depth=1
	s_delay_alu instid0(SALU_CYCLE_1)
	s_or_b32 exec_lo, exec_lo, s12
.LBB369_1507:                           ;   in Loop: Header=BB369_1055 Depth=1
	s_delay_alu instid0(SALU_CYCLE_1) | instskip(NEXT) | instid1(SALU_CYCLE_1)
	s_or_b32 exec_lo, exec_lo, s10
	s_mov_b32 s10, exec_lo
	v_cmpx_lt_u64_e64 s[8:9], v[11:12]
	s_cbranch_execz .LBB369_1515
; %bb.1508:                             ;   in Loop: Header=BB369_1055 Depth=1
	v_lshrrev_b32_e32 v14, 24, v12
	v_bfrev_b32_e32 v116, 1
	s_mov_b32 s12, exec_lo
	s_delay_alu instid0(VALU_DEP_2)
	v_cmpx_ne_u32_e32 0x80, v14
	s_cbranch_execz .LBB369_1514
; %bb.1509:                             ;   in Loop: Header=BB369_1055 Depth=1
	v_and_b32_e32 v11, 0x7f, v14
	v_mov_b32_e32 v116, 0x7fc02000
	s_mov_b32 s13, exec_lo
	s_delay_alu instid0(VALU_DEP_2)
	v_cmpx_ne_u32_e32 0x7f, v11
	s_cbranch_execz .LBB369_1513
; %bb.1510:                             ;   in Loop: Header=BB369_1055 Depth=1
	v_and_b32_e32 v0, 7, v14
	v_lshrrev_b32_e32 v116, 3, v11
	v_cmp_gt_u32_e64 s0, 8, v11
	s_delay_alu instid0(VALU_DEP_3) | instskip(NEXT) | instid1(VALU_DEP_2)
	v_dual_mov_b32 v12, v1 :: v_dual_mov_b32 v11, v0
	s_and_saveexec_b32 s15, s0
; %bb.1511:                             ;   in Loop: Header=BB369_1055 Depth=1
	v_clz_i32_u32_e32 v11, v0
	s_delay_alu instid0(VALU_DEP_1) | instskip(NEXT) | instid1(VALU_DEP_1)
	v_min_u32_e32 v116, 32, v11
	v_subrev_nc_u32_e32 v11, 28, v116
	v_sub_nc_u32_e32 v116, 29, v116
	s_delay_alu instid0(VALU_DEP_2) | instskip(NEXT) | instid1(VALU_DEP_1)
	v_lshlrev_b64 v[11:12], v11, v[0:1]
	v_and_b32_e32 v11, 7, v11
; %bb.1512:                             ;   in Loop: Header=BB369_1055 Depth=1
	s_or_b32 exec_lo, exec_lo, s15
	v_lshlrev_b32_e32 v0, 8, v14
	v_lshl_add_u32 v12, v116, 10, 0x2000
	s_delay_alu instid0(VALU_DEP_1) | instskip(NEXT) | instid1(VALU_DEP_1)
	v_and_or_b32 v0, 0x8000, v0, v12
	v_lshl_or_b32 v0, v11, 7, v0
	s_delay_alu instid0(VALU_DEP_1)
	v_cvt_f32_f16_e32 v116, v0
.LBB369_1513:                           ;   in Loop: Header=BB369_1055 Depth=1
	s_or_b32 exec_lo, exec_lo, s13
.LBB369_1514:                           ;   in Loop: Header=BB369_1055 Depth=1
	s_delay_alu instid0(SALU_CYCLE_1)
	s_or_b32 exec_lo, exec_lo, s12
.LBB369_1515:                           ;   in Loop: Header=BB369_1055 Depth=1
	s_delay_alu instid0(SALU_CYCLE_1)
	s_or_b32 exec_lo, exec_lo, s10
	s_waitcnt vmcnt(0) lgkmcnt(0)
	v_fma_mixlo_f16 v12, v101, v103, 0
	v_fma_mixlo_f16 v0, v101, v113, 0
	;; [unrolled: 1-line block ×5, first 2 shown]
	v_lshlrev_b32_e32 v14, 16, v12
	v_fma_mixlo_f16 v112, v101, v114, 0
	v_fma_mixlo_f16 v113, v101, v116, 0
	;; [unrolled: 1-line block ×3, first 2 shown]
	v_lshlrev_b32_e32 v0, 16, v0
	v_and_b32_e32 v11, 0xffff, v11
	v_and_b32_e32 v101, 0xffff, v102
	v_lshlrev_b32_e32 v102, 16, v103
	v_and_b32_e32 v103, 0xffff, v112
	v_lshlrev_b32_e32 v112, 16, v113
	v_and_b32_e32 v113, 0xffff, v12
	v_or_b32_e32 v13, v0, v11
	v_or_b32_e32 v14, v14, v101
	;; [unrolled: 1-line block ×3, first 2 shown]
	s_delay_alu instid0(VALU_DEP_4)
	v_or_b32_e32 v11, v112, v113
	s_and_saveexec_b32 s10, vcc_lo
	s_cbranch_execz .LBB369_1517
; %bb.1516:                             ;   in Loop: Header=BB369_1055 Depth=1
	v_cmp_lt_i32_e64 s0, v15, v36
	v_lshrrev_b32_e32 v101, 16, v14
	v_lshrrev_b32_e32 v102, 16, v13
	;; [unrolled: 1-line block ×4, first 2 shown]
	v_cndmask_b32_e64 v14, 0, v14, s0
	v_cmp_lt_i32_e64 s0, v82, v48
	s_delay_alu instid0(VALU_DEP_1) | instskip(SKIP_1) | instid1(VALU_DEP_2)
	v_cndmask_b32_e64 v101, 0, v101, s0
	v_cmp_lt_i32_e64 s0, v81, v48
	v_perm_b32 v14, v101, v14, 0x5040100
	s_delay_alu instid0(VALU_DEP_2) | instskip(SKIP_1) | instid1(VALU_DEP_1)
	v_cndmask_b32_e64 v102, 0, v102, s0
	v_cmp_lt_i32_e64 s0, v70, v36
	v_cndmask_b32_e64 v13, 0, v13, s0
	v_cmp_lt_i32_e64 s0, v65, v48
	s_delay_alu instid0(VALU_DEP_2) | instskip(NEXT) | instid1(VALU_DEP_2)
	v_perm_b32 v13, v102, v13, 0x5040100
	v_cndmask_b32_e64 v103, 0, v103, s0
	v_cmp_lt_i32_e64 s0, v64, v36
	s_delay_alu instid0(VALU_DEP_1) | instskip(SKIP_1) | instid1(VALU_DEP_2)
	v_cndmask_b32_e64 v0, 0, v0, s0
	v_cmp_lt_i32_e64 s0, v38, v48
	v_perm_b32 v0, v103, v0, 0x5040100
	s_delay_alu instid0(VALU_DEP_2) | instskip(SKIP_1) | instid1(VALU_DEP_1)
	v_cndmask_b32_e64 v11, 0, v11, s0
	v_cmp_lt_i32_e64 s0, v17, v36
	v_cndmask_b32_e64 v12, 0, v12, s0
	s_delay_alu instid0(VALU_DEP_1)
	v_perm_b32 v11, v11, v12, 0x5040100
.LBB369_1517:                           ;   in Loop: Header=BB369_1055 Depth=1
	s_or_b32 exec_lo, exec_lo, s10
	;;#ASMSTART
	v_pk_mul_f16 v12, v80, v14;

	;;#ASMEND
	;;#ASMSTART
	v_pk_mul_f16 v13, v69, v13;

	;;#ASMEND
	;; [unrolled: 4-line block ×4, first 2 shown]
	;;#ASMSTART
	v_pk_add_f16 v12, v12, v13;

	;;#ASMEND
	;;#ASMSTART
	v_pk_add_f16 v0, v12, v0;

	;;#ASMEND
	;; [unrolled: 4-line block ×3, first 2 shown]
	v_dual_mov_b32 v112, 0 :: v_dual_and_b32 v11, 0xffff, v0
	v_lshrrev_b32_e32 v0, 16, v0
	;;#ASMSTART
	v_cvt_f32_f16 v101, v11;
	;;#ASMEND
	;;#ASMSTART
	v_cvt_f32_f16 v102, v0;
	;;#ASMEND
	flat_load_b64 v[11:12], v[9:10] offset:1792
	flat_load_b32 v103, v[26:27]
	s_mov_b32 s10, exec_lo
	s_waitcnt vmcnt(1) lgkmcnt(1)
	v_dual_mov_b32 v113, 0 :: v_dual_and_b32 v0, 0xff, v11
	s_delay_alu instid0(VALU_DEP_1)
	v_cmpx_ne_u16_e32 0, v0
	s_cbranch_execz .LBB369_1525
; %bb.1518:                             ;   in Loop: Header=BB369_1055 Depth=1
	v_bfrev_b32_e32 v112, 1
	s_mov_b32 s12, exec_lo
	v_cmpx_ne_u16_e32 0x80, v0
	s_cbranch_execz .LBB369_1524
; %bb.1519:                             ;   in Loop: Header=BB369_1055 Depth=1
	v_and_b32_e32 v13, 0x7f, v11
	v_mov_b32_e32 v112, 0x7fc02000
	s_mov_b32 s13, exec_lo
	s_delay_alu instid0(VALU_DEP_2)
	v_cmpx_ne_u32_e32 0x7f, v13
	s_cbranch_execz .LBB369_1523
; %bb.1520:                             ;   in Loop: Header=BB369_1055 Depth=1
	v_lshrrev_b32_e32 v0, 3, v13
	v_cmp_gt_u32_e64 s0, 8, v13
	v_dual_mov_b32 v14, v12 :: v_dual_mov_b32 v13, v11
	s_delay_alu instid0(VALU_DEP_2)
	s_and_saveexec_b32 s15, s0
; %bb.1521:                             ;   in Loop: Header=BB369_1055 Depth=1
	v_and_b32_e32 v0, 7, v11
	s_delay_alu instid0(VALU_DEP_1) | instskip(NEXT) | instid1(VALU_DEP_1)
	v_clz_i32_u32_e32 v0, v0
	v_min_u32_e32 v0, 32, v0
	s_delay_alu instid0(VALU_DEP_1) | instskip(SKIP_1) | instid1(VALU_DEP_2)
	v_subrev_nc_u32_e32 v13, 28, v0
	v_sub_nc_u32_e32 v0, 29, v0
	v_lshlrev_b64 v[13:14], v13, v[11:12]
; %bb.1522:                             ;   in Loop: Header=BB369_1055 Depth=1
	s_or_b32 exec_lo, exec_lo, s15
	v_lshlrev_b32_e32 v14, 8, v11
	s_delay_alu instid0(VALU_DEP_3) | instskip(NEXT) | instid1(VALU_DEP_3)
	v_lshl_add_u32 v0, v0, 10, 0x2000
	v_lshlrev_b32_e32 v13, 7, v13
	s_delay_alu instid0(VALU_DEP_2) | instskip(NEXT) | instid1(VALU_DEP_1)
	v_and_or_b32 v0, 0x8000, v14, v0
	v_and_or_b32 v0, 0x380, v13, v0
	s_delay_alu instid0(VALU_DEP_1)
	v_cvt_f32_f16_e32 v112, v0
.LBB369_1523:                           ;   in Loop: Header=BB369_1055 Depth=1
	s_or_b32 exec_lo, exec_lo, s13
.LBB369_1524:                           ;   in Loop: Header=BB369_1055 Depth=1
	s_delay_alu instid0(SALU_CYCLE_1)
	s_or_b32 exec_lo, exec_lo, s12
.LBB369_1525:                           ;   in Loop: Header=BB369_1055 Depth=1
	s_delay_alu instid0(SALU_CYCLE_1) | instskip(SKIP_2) | instid1(VALU_DEP_1)
	s_or_b32 exec_lo, exec_lo, s10
	v_lshrrev_b16 v0, 8, v11
	s_mov_b32 s10, exec_lo
	v_cmpx_ne_u16_e32 0, v0
	s_cbranch_execz .LBB369_1533
; %bb.1526:                             ;   in Loop: Header=BB369_1055 Depth=1
	v_bfrev_b32_e32 v113, 1
	s_mov_b32 s12, exec_lo
	v_cmpx_ne_u16_e32 0x80, v0
	s_cbranch_execz .LBB369_1532
; %bb.1527:                             ;   in Loop: Header=BB369_1055 Depth=1
	v_and_b32_e32 v114, 0xffff, v0
	v_mov_b32_e32 v113, 0x7fc02000
	s_mov_b32 s13, exec_lo
	s_delay_alu instid0(VALU_DEP_2) | instskip(NEXT) | instid1(VALU_DEP_1)
	v_and_b32_e32 v13, 0x7f, v114
	v_cmpx_ne_u32_e32 0x7f, v13
	s_cbranch_execz .LBB369_1531
; %bb.1528:                             ;   in Loop: Header=BB369_1055 Depth=1
	v_and_b32_e32 v0, 7, v114
	v_lshrrev_b32_e32 v113, 3, v13
	v_cmp_gt_u32_e64 s0, 8, v13
	s_delay_alu instid0(VALU_DEP_3) | instskip(NEXT) | instid1(VALU_DEP_2)
	v_dual_mov_b32 v14, v1 :: v_dual_mov_b32 v13, v0
	s_and_saveexec_b32 s15, s0
; %bb.1529:                             ;   in Loop: Header=BB369_1055 Depth=1
	v_clz_i32_u32_e32 v13, v0
	s_delay_alu instid0(VALU_DEP_1) | instskip(NEXT) | instid1(VALU_DEP_1)
	v_min_u32_e32 v113, 32, v13
	v_subrev_nc_u32_e32 v13, 28, v113
	v_sub_nc_u32_e32 v113, 29, v113
	s_delay_alu instid0(VALU_DEP_2) | instskip(NEXT) | instid1(VALU_DEP_1)
	v_lshlrev_b64 v[13:14], v13, v[0:1]
	v_and_b32_e32 v13, 7, v13
; %bb.1530:                             ;   in Loop: Header=BB369_1055 Depth=1
	s_or_b32 exec_lo, exec_lo, s15
	v_lshlrev_b32_e32 v0, 8, v114
	v_lshl_add_u32 v14, v113, 10, 0x2000
	s_delay_alu instid0(VALU_DEP_1) | instskip(NEXT) | instid1(VALU_DEP_1)
	v_and_or_b32 v0, 0x8000, v0, v14
	v_lshl_or_b32 v0, v13, 7, v0
	s_delay_alu instid0(VALU_DEP_1)
	v_cvt_f32_f16_e32 v113, v0
.LBB369_1531:                           ;   in Loop: Header=BB369_1055 Depth=1
	s_or_b32 exec_lo, exec_lo, s13
.LBB369_1532:                           ;   in Loop: Header=BB369_1055 Depth=1
	s_delay_alu instid0(SALU_CYCLE_1)
	s_or_b32 exec_lo, exec_lo, s12
.LBB369_1533:                           ;   in Loop: Header=BB369_1055 Depth=1
	s_delay_alu instid0(SALU_CYCLE_1) | instskip(SKIP_3) | instid1(VALU_DEP_2)
	s_or_b32 exec_lo, exec_lo, s10
	v_lshrrev_b32_e32 v116, 16, v11
	v_mov_b32_e32 v114, 0
	s_mov_b32 s10, exec_lo
	v_dual_mov_b32 v115, 0 :: v_dual_and_b32 v0, 0xff, v116
	s_delay_alu instid0(VALU_DEP_1)
	v_cmpx_ne_u16_e32 0, v0
	s_cbranch_execz .LBB369_1541
; %bb.1534:                             ;   in Loop: Header=BB369_1055 Depth=1
	v_bfrev_b32_e32 v114, 1
	s_mov_b32 s12, exec_lo
	v_cmpx_ne_u16_e32 0x80, v0
	s_cbranch_execz .LBB369_1540
; %bb.1535:                             ;   in Loop: Header=BB369_1055 Depth=1
	v_bfe_u32 v13, v11, 16, 7
	v_mov_b32_e32 v114, 0x7fc02000
	s_mov_b32 s13, exec_lo
	s_delay_alu instid0(VALU_DEP_2)
	v_cmpx_ne_u32_e32 0x7f, v13
	s_cbranch_execz .LBB369_1539
; %bb.1536:                             ;   in Loop: Header=BB369_1055 Depth=1
	v_and_b32_e32 v0, 7, v116
	v_lshrrev_b32_e32 v114, 3, v13
	v_cmp_gt_u32_e64 s0, 8, v13
	s_delay_alu instid0(VALU_DEP_3) | instskip(NEXT) | instid1(VALU_DEP_2)
	v_dual_mov_b32 v14, v1 :: v_dual_mov_b32 v13, v0
	s_and_saveexec_b32 s15, s0
; %bb.1537:                             ;   in Loop: Header=BB369_1055 Depth=1
	v_clz_i32_u32_e32 v13, v0
	s_delay_alu instid0(VALU_DEP_1) | instskip(NEXT) | instid1(VALU_DEP_1)
	v_min_u32_e32 v114, 32, v13
	v_subrev_nc_u32_e32 v13, 28, v114
	v_sub_nc_u32_e32 v114, 29, v114
	s_delay_alu instid0(VALU_DEP_2) | instskip(NEXT) | instid1(VALU_DEP_1)
	v_lshlrev_b64 v[13:14], v13, v[0:1]
	v_and_b32_e32 v13, 7, v13
; %bb.1538:                             ;   in Loop: Header=BB369_1055 Depth=1
	s_or_b32 exec_lo, exec_lo, s15
	v_lshlrev_b32_e32 v0, 8, v116
	v_lshl_add_u32 v14, v114, 10, 0x2000
	s_delay_alu instid0(VALU_DEP_1) | instskip(NEXT) | instid1(VALU_DEP_1)
	v_and_or_b32 v0, 0x8000, v0, v14
	v_lshl_or_b32 v0, v13, 7, v0
	s_delay_alu instid0(VALU_DEP_1)
	v_cvt_f32_f16_e32 v114, v0
.LBB369_1539:                           ;   in Loop: Header=BB369_1055 Depth=1
	s_or_b32 exec_lo, exec_lo, s13
.LBB369_1540:                           ;   in Loop: Header=BB369_1055 Depth=1
	s_delay_alu instid0(SALU_CYCLE_1)
	s_or_b32 exec_lo, exec_lo, s12
.LBB369_1541:                           ;   in Loop: Header=BB369_1055 Depth=1
	s_delay_alu instid0(SALU_CYCLE_1) | instskip(NEXT) | instid1(SALU_CYCLE_1)
	s_or_b32 exec_lo, exec_lo, s10
	s_mov_b32 s10, exec_lo
	v_cmpx_lt_u32_e32 0xffffff, v11
	s_cbranch_execz .LBB369_1549
; %bb.1542:                             ;   in Loop: Header=BB369_1055 Depth=1
	v_lshrrev_b32_e32 v116, 24, v11
	v_bfrev_b32_e32 v115, 1
	s_mov_b32 s12, exec_lo
	s_delay_alu instid0(VALU_DEP_2)
	v_cmpx_ne_u32_e32 0x80, v116
	s_cbranch_execz .LBB369_1548
; %bb.1543:                             ;   in Loop: Header=BB369_1055 Depth=1
	v_and_b32_e32 v13, 0x7f, v116
	v_mov_b32_e32 v115, 0x7fc02000
	s_mov_b32 s13, exec_lo
	s_delay_alu instid0(VALU_DEP_2)
	v_cmpx_ne_u32_e32 0x7f, v13
	s_cbranch_execz .LBB369_1547
; %bb.1544:                             ;   in Loop: Header=BB369_1055 Depth=1
	v_and_b32_e32 v0, 7, v116
	v_lshrrev_b32_e32 v115, 3, v13
	v_cmp_gt_u32_e64 s0, 8, v13
	s_delay_alu instid0(VALU_DEP_3) | instskip(NEXT) | instid1(VALU_DEP_2)
	v_dual_mov_b32 v14, v1 :: v_dual_mov_b32 v13, v0
	s_and_saveexec_b32 s15, s0
; %bb.1545:                             ;   in Loop: Header=BB369_1055 Depth=1
	v_clz_i32_u32_e32 v13, v0
	s_delay_alu instid0(VALU_DEP_1) | instskip(NEXT) | instid1(VALU_DEP_1)
	v_min_u32_e32 v115, 32, v13
	v_subrev_nc_u32_e32 v13, 28, v115
	v_sub_nc_u32_e32 v115, 29, v115
	s_delay_alu instid0(VALU_DEP_2) | instskip(NEXT) | instid1(VALU_DEP_1)
	v_lshlrev_b64 v[13:14], v13, v[0:1]
	v_and_b32_e32 v13, 7, v13
; %bb.1546:                             ;   in Loop: Header=BB369_1055 Depth=1
	s_or_b32 exec_lo, exec_lo, s15
	v_lshlrev_b32_e32 v0, 8, v116
	v_lshl_add_u32 v14, v115, 10, 0x2000
	s_delay_alu instid0(VALU_DEP_1) | instskip(NEXT) | instid1(VALU_DEP_1)
	v_and_or_b32 v0, 0x8000, v0, v14
	v_lshl_or_b32 v0, v13, 7, v0
	s_delay_alu instid0(VALU_DEP_1)
	v_cvt_f32_f16_e32 v115, v0
.LBB369_1547:                           ;   in Loop: Header=BB369_1055 Depth=1
	s_or_b32 exec_lo, exec_lo, s13
.LBB369_1548:                           ;   in Loop: Header=BB369_1055 Depth=1
	s_delay_alu instid0(SALU_CYCLE_1)
	s_or_b32 exec_lo, exec_lo, s12
.LBB369_1549:                           ;   in Loop: Header=BB369_1055 Depth=1
	s_delay_alu instid0(SALU_CYCLE_1) | instskip(SKIP_3) | instid1(VALU_DEP_2)
	s_or_b32 exec_lo, exec_lo, s10
	v_dual_mov_b32 v0, v12 :: v_dual_and_b32 v13, 0xff, v12
	v_dual_mov_b32 v117, 0 :: v_dual_mov_b32 v116, 0
	s_mov_b32 s10, exec_lo
	v_cmpx_ne_u16_e32 0, v13
	s_cbranch_execz .LBB369_1557
; %bb.1550:                             ;   in Loop: Header=BB369_1055 Depth=1
	v_bfrev_b32_e32 v116, 1
	s_mov_b32 s12, exec_lo
	v_cmpx_ne_u16_e32 0x80, v13
	s_cbranch_execz .LBB369_1556
; %bb.1551:                             ;   in Loop: Header=BB369_1055 Depth=1
	v_and_b32_e32 v13, 0x7f, v12
	v_mov_b32_e32 v116, 0x7fc02000
	s_mov_b32 s13, exec_lo
	s_delay_alu instid0(VALU_DEP_2)
	v_cmpx_ne_u32_e32 0x7f, v13
	s_cbranch_execz .LBB369_1555
; %bb.1552:                             ;   in Loop: Header=BB369_1055 Depth=1
	v_lshrrev_b32_e32 v116, 3, v13
	v_cmp_gt_u32_e64 s0, 8, v13
	v_dual_mov_b32 v14, v1 :: v_dual_mov_b32 v13, v0
	s_delay_alu instid0(VALU_DEP_2)
	s_and_saveexec_b32 s15, s0
; %bb.1553:                             ;   in Loop: Header=BB369_1055 Depth=1
	v_and_b32_e32 v13, 7, v12
	s_delay_alu instid0(VALU_DEP_1) | instskip(NEXT) | instid1(VALU_DEP_1)
	v_clz_i32_u32_e32 v13, v13
	v_min_u32_e32 v116, 32, v13
	s_delay_alu instid0(VALU_DEP_1) | instskip(SKIP_1) | instid1(VALU_DEP_2)
	v_subrev_nc_u32_e32 v13, 28, v116
	v_sub_nc_u32_e32 v116, 29, v116
	v_lshlrev_b64 v[13:14], v13, v[0:1]
; %bb.1554:                             ;   in Loop: Header=BB369_1055 Depth=1
	s_or_b32 exec_lo, exec_lo, s15
	v_lshlrev_b32_e32 v14, 8, v12
	s_delay_alu instid0(VALU_DEP_3) | instskip(NEXT) | instid1(VALU_DEP_3)
	v_lshl_add_u32 v116, v116, 10, 0x2000
	v_lshlrev_b32_e32 v13, 7, v13
	s_delay_alu instid0(VALU_DEP_2) | instskip(NEXT) | instid1(VALU_DEP_1)
	v_and_or_b32 v14, 0x8000, v14, v116
	v_and_or_b32 v13, 0x380, v13, v14
	s_delay_alu instid0(VALU_DEP_1)
	v_cvt_f32_f16_e32 v116, v13
.LBB369_1555:                           ;   in Loop: Header=BB369_1055 Depth=1
	s_or_b32 exec_lo, exec_lo, s13
.LBB369_1556:                           ;   in Loop: Header=BB369_1055 Depth=1
	s_delay_alu instid0(SALU_CYCLE_1)
	s_or_b32 exec_lo, exec_lo, s12
.LBB369_1557:                           ;   in Loop: Header=BB369_1055 Depth=1
	s_delay_alu instid0(SALU_CYCLE_1) | instskip(SKIP_2) | instid1(VALU_DEP_1)
	s_or_b32 exec_lo, exec_lo, s10
	v_lshrrev_b16 v0, 8, v0
	s_mov_b32 s10, exec_lo
	v_cmpx_ne_u16_e32 0, v0
	s_cbranch_execz .LBB369_1565
; %bb.1558:                             ;   in Loop: Header=BB369_1055 Depth=1
	v_bfrev_b32_e32 v117, 1
	s_mov_b32 s12, exec_lo
	v_cmpx_ne_u16_e32 0x80, v0
	s_cbranch_execz .LBB369_1564
; %bb.1559:                             ;   in Loop: Header=BB369_1055 Depth=1
	v_and_b32_e32 v118, 0xffff, v0
	v_mov_b32_e32 v117, 0x7fc02000
	s_mov_b32 s13, exec_lo
	s_delay_alu instid0(VALU_DEP_2) | instskip(NEXT) | instid1(VALU_DEP_1)
	v_and_b32_e32 v13, 0x7f, v118
	v_cmpx_ne_u32_e32 0x7f, v13
	s_cbranch_execz .LBB369_1563
; %bb.1560:                             ;   in Loop: Header=BB369_1055 Depth=1
	v_and_b32_e32 v0, 7, v118
	v_lshrrev_b32_e32 v117, 3, v13
	v_cmp_gt_u32_e64 s0, 8, v13
	s_delay_alu instid0(VALU_DEP_3) | instskip(NEXT) | instid1(VALU_DEP_2)
	v_dual_mov_b32 v14, v1 :: v_dual_mov_b32 v13, v0
	s_and_saveexec_b32 s15, s0
; %bb.1561:                             ;   in Loop: Header=BB369_1055 Depth=1
	v_clz_i32_u32_e32 v13, v0
	s_delay_alu instid0(VALU_DEP_1) | instskip(NEXT) | instid1(VALU_DEP_1)
	v_min_u32_e32 v117, 32, v13
	v_subrev_nc_u32_e32 v13, 28, v117
	v_sub_nc_u32_e32 v117, 29, v117
	s_delay_alu instid0(VALU_DEP_2) | instskip(NEXT) | instid1(VALU_DEP_1)
	v_lshlrev_b64 v[13:14], v13, v[0:1]
	v_and_b32_e32 v13, 7, v13
; %bb.1562:                             ;   in Loop: Header=BB369_1055 Depth=1
	s_or_b32 exec_lo, exec_lo, s15
	v_lshlrev_b32_e32 v0, 8, v118
	v_lshl_add_u32 v14, v117, 10, 0x2000
	s_delay_alu instid0(VALU_DEP_1) | instskip(NEXT) | instid1(VALU_DEP_1)
	v_and_or_b32 v0, 0x8000, v0, v14
	v_lshl_or_b32 v0, v13, 7, v0
	s_delay_alu instid0(VALU_DEP_1)
	v_cvt_f32_f16_e32 v117, v0
.LBB369_1563:                           ;   in Loop: Header=BB369_1055 Depth=1
	s_or_b32 exec_lo, exec_lo, s13
.LBB369_1564:                           ;   in Loop: Header=BB369_1055 Depth=1
	s_delay_alu instid0(SALU_CYCLE_1)
	s_or_b32 exec_lo, exec_lo, s12
.LBB369_1565:                           ;   in Loop: Header=BB369_1055 Depth=1
	s_delay_alu instid0(SALU_CYCLE_1) | instskip(SKIP_3) | instid1(VALU_DEP_2)
	s_or_b32 exec_lo, exec_lo, s10
	v_lshrrev_b32_e32 v119, 16, v12
	v_mov_b32_e32 v118, 0
	s_mov_b32 s10, exec_lo
	v_dual_mov_b32 v13, 0 :: v_dual_and_b32 v0, 0xff, v119
	s_delay_alu instid0(VALU_DEP_1)
	v_cmpx_ne_u16_e32 0, v0
	s_cbranch_execz .LBB369_1573
; %bb.1566:                             ;   in Loop: Header=BB369_1055 Depth=1
	v_bfrev_b32_e32 v13, 1
	s_mov_b32 s12, exec_lo
	v_cmpx_ne_u16_e32 0x80, v0
	s_cbranch_execz .LBB369_1572
; %bb.1567:                             ;   in Loop: Header=BB369_1055 Depth=1
	v_bfe_u32 v14, v12, 16, 7
	v_mov_b32_e32 v13, 0x7fc02000
	s_mov_b32 s13, exec_lo
	s_delay_alu instid0(VALU_DEP_2)
	v_cmpx_ne_u32_e32 0x7f, v14
	s_cbranch_execz .LBB369_1571
; %bb.1568:                             ;   in Loop: Header=BB369_1055 Depth=1
	v_and_b32_e32 v0, 7, v119
	v_lshrrev_b32_e32 v128, 3, v14
	v_cmp_gt_u32_e64 s0, 8, v14
	s_delay_alu instid0(VALU_DEP_3) | instskip(NEXT) | instid1(VALU_DEP_2)
	v_dual_mov_b32 v14, v1 :: v_dual_mov_b32 v13, v0
	s_and_saveexec_b32 s15, s0
; %bb.1569:                             ;   in Loop: Header=BB369_1055 Depth=1
	v_clz_i32_u32_e32 v13, v0
	s_delay_alu instid0(VALU_DEP_1) | instskip(NEXT) | instid1(VALU_DEP_1)
	v_min_u32_e32 v128, 32, v13
	v_subrev_nc_u32_e32 v13, 28, v128
	v_sub_nc_u32_e32 v128, 29, v128
	s_delay_alu instid0(VALU_DEP_2) | instskip(NEXT) | instid1(VALU_DEP_1)
	v_lshlrev_b64 v[13:14], v13, v[0:1]
	v_and_b32_e32 v13, 7, v13
; %bb.1570:                             ;   in Loop: Header=BB369_1055 Depth=1
	s_or_b32 exec_lo, exec_lo, s15
	v_lshlrev_b32_e32 v0, 8, v119
	v_lshl_add_u32 v14, v128, 10, 0x2000
	s_delay_alu instid0(VALU_DEP_1) | instskip(NEXT) | instid1(VALU_DEP_1)
	v_and_or_b32 v0, 0x8000, v0, v14
	v_lshl_or_b32 v0, v13, 7, v0
	s_delay_alu instid0(VALU_DEP_1)
	v_cvt_f32_f16_e32 v13, v0
.LBB369_1571:                           ;   in Loop: Header=BB369_1055 Depth=1
	s_or_b32 exec_lo, exec_lo, s13
.LBB369_1572:                           ;   in Loop: Header=BB369_1055 Depth=1
	s_delay_alu instid0(SALU_CYCLE_1)
	s_or_b32 exec_lo, exec_lo, s12
.LBB369_1573:                           ;   in Loop: Header=BB369_1055 Depth=1
	s_delay_alu instid0(SALU_CYCLE_1) | instskip(NEXT) | instid1(SALU_CYCLE_1)
	s_or_b32 exec_lo, exec_lo, s10
	s_mov_b32 s10, exec_lo
	v_cmpx_lt_u64_e64 s[8:9], v[11:12]
	s_cbranch_execz .LBB369_1581
; %bb.1574:                             ;   in Loop: Header=BB369_1055 Depth=1
	v_lshrrev_b32_e32 v14, 24, v12
	v_bfrev_b32_e32 v118, 1
	s_mov_b32 s12, exec_lo
	s_delay_alu instid0(VALU_DEP_2)
	v_cmpx_ne_u32_e32 0x80, v14
	s_cbranch_execz .LBB369_1580
; %bb.1575:                             ;   in Loop: Header=BB369_1055 Depth=1
	v_and_b32_e32 v11, 0x7f, v14
	v_mov_b32_e32 v118, 0x7fc02000
	s_mov_b32 s13, exec_lo
	s_delay_alu instid0(VALU_DEP_2)
	v_cmpx_ne_u32_e32 0x7f, v11
	s_cbranch_execz .LBB369_1579
; %bb.1576:                             ;   in Loop: Header=BB369_1055 Depth=1
	v_and_b32_e32 v0, 7, v14
	v_lshrrev_b32_e32 v118, 3, v11
	v_cmp_gt_u32_e64 s0, 8, v11
	s_delay_alu instid0(VALU_DEP_3) | instskip(NEXT) | instid1(VALU_DEP_2)
	v_dual_mov_b32 v12, v1 :: v_dual_mov_b32 v11, v0
	s_and_saveexec_b32 s15, s0
; %bb.1577:                             ;   in Loop: Header=BB369_1055 Depth=1
	v_clz_i32_u32_e32 v11, v0
	s_delay_alu instid0(VALU_DEP_1) | instskip(NEXT) | instid1(VALU_DEP_1)
	v_min_u32_e32 v118, 32, v11
	v_subrev_nc_u32_e32 v11, 28, v118
	v_sub_nc_u32_e32 v118, 29, v118
	s_delay_alu instid0(VALU_DEP_2) | instskip(NEXT) | instid1(VALU_DEP_1)
	v_lshlrev_b64 v[11:12], v11, v[0:1]
	v_and_b32_e32 v11, 7, v11
; %bb.1578:                             ;   in Loop: Header=BB369_1055 Depth=1
	s_or_b32 exec_lo, exec_lo, s15
	v_lshlrev_b32_e32 v0, 8, v14
	v_lshl_add_u32 v12, v118, 10, 0x2000
	s_delay_alu instid0(VALU_DEP_1) | instskip(NEXT) | instid1(VALU_DEP_1)
	v_and_or_b32 v0, 0x8000, v0, v12
	v_lshl_or_b32 v0, v11, 7, v0
	s_delay_alu instid0(VALU_DEP_1)
	v_cvt_f32_f16_e32 v118, v0
.LBB369_1579:                           ;   in Loop: Header=BB369_1055 Depth=1
	s_or_b32 exec_lo, exec_lo, s13
.LBB369_1580:                           ;   in Loop: Header=BB369_1055 Depth=1
	s_delay_alu instid0(SALU_CYCLE_1)
	s_or_b32 exec_lo, exec_lo, s12
.LBB369_1581:                           ;   in Loop: Header=BB369_1055 Depth=1
	s_delay_alu instid0(SALU_CYCLE_1)
	s_or_b32 exec_lo, exec_lo, s10
	s_waitcnt vmcnt(0) lgkmcnt(0)
	v_fma_mixlo_f16 v12, v103, v113, 0
	v_fma_mixlo_f16 v0, v103, v115, 0
	v_fma_mixlo_f16 v11, v103, v114, 0
	v_fma_mixlo_f16 v112, v103, v112, 0
	v_fma_mixlo_f16 v113, v103, v117, 0
	v_lshlrev_b32_e32 v14, 16, v12
	v_fma_mixlo_f16 v114, v103, v116, 0
	v_fma_mixlo_f16 v115, v103, v118, 0
	v_fma_mixlo_f16 v12, v103, v13, 0
	v_lshlrev_b32_e32 v0, 16, v0
	v_and_b32_e32 v11, 0xffff, v11
	v_and_b32_e32 v103, 0xffff, v112
	v_lshlrev_b32_e32 v112, 16, v113
	v_and_b32_e32 v113, 0xffff, v114
	v_lshlrev_b32_e32 v114, 16, v115
	v_and_b32_e32 v115, 0xffff, v12
	v_or_b32_e32 v13, v0, v11
	v_or_b32_e32 v14, v14, v103
	;; [unrolled: 1-line block ×3, first 2 shown]
	s_delay_alu instid0(VALU_DEP_4)
	v_or_b32_e32 v11, v114, v115
	s_and_saveexec_b32 s10, vcc_lo
	s_cbranch_execz .LBB369_1583
; %bb.1582:                             ;   in Loop: Header=BB369_1055 Depth=1
	v_cmp_lt_i32_e64 s0, v15, v36
	v_lshrrev_b32_e32 v103, 16, v14
	v_lshrrev_b32_e32 v112, 16, v13
	;; [unrolled: 1-line block ×4, first 2 shown]
	v_cndmask_b32_e64 v14, 0, v14, s0
	v_cmp_lt_i32_e64 s0, v82, v48
	s_delay_alu instid0(VALU_DEP_1) | instskip(SKIP_1) | instid1(VALU_DEP_2)
	v_cndmask_b32_e64 v103, 0, v103, s0
	v_cmp_lt_i32_e64 s0, v81, v48
	v_perm_b32 v14, v103, v14, 0x5040100
	s_delay_alu instid0(VALU_DEP_2) | instskip(SKIP_1) | instid1(VALU_DEP_1)
	v_cndmask_b32_e64 v112, 0, v112, s0
	v_cmp_lt_i32_e64 s0, v70, v36
	v_cndmask_b32_e64 v13, 0, v13, s0
	v_cmp_lt_i32_e64 s0, v65, v48
	s_delay_alu instid0(VALU_DEP_2) | instskip(NEXT) | instid1(VALU_DEP_2)
	v_perm_b32 v13, v112, v13, 0x5040100
	v_cndmask_b32_e64 v113, 0, v113, s0
	v_cmp_lt_i32_e64 s0, v64, v36
	s_delay_alu instid0(VALU_DEP_1) | instskip(SKIP_1) | instid1(VALU_DEP_2)
	v_cndmask_b32_e64 v0, 0, v0, s0
	v_cmp_lt_i32_e64 s0, v38, v48
	v_perm_b32 v0, v113, v0, 0x5040100
	s_delay_alu instid0(VALU_DEP_2) | instskip(SKIP_1) | instid1(VALU_DEP_1)
	v_cndmask_b32_e64 v11, 0, v11, s0
	v_cmp_lt_i32_e64 s0, v17, v36
	v_cndmask_b32_e64 v12, 0, v12, s0
	s_delay_alu instid0(VALU_DEP_1)
	v_perm_b32 v11, v11, v12, 0x5040100
.LBB369_1583:                           ;   in Loop: Header=BB369_1055 Depth=1
	s_or_b32 exec_lo, exec_lo, s10
	;;#ASMSTART
	v_pk_mul_f16 v12, v80, v14;

	;;#ASMEND
	;;#ASMSTART
	v_pk_mul_f16 v13, v69, v13;

	;;#ASMEND
	;; [unrolled: 4-line block ×4, first 2 shown]
	;;#ASMSTART
	v_pk_add_f16 v12, v12, v13;

	;;#ASMEND
	;;#ASMSTART
	v_pk_add_f16 v0, v12, v0;

	;;#ASMEND
	;; [unrolled: 4-line block ×3, first 2 shown]
	v_dual_mov_b32 v114, 0 :: v_dual_and_b32 v11, 0xffff, v0
	v_lshrrev_b32_e32 v0, 16, v0
	;;#ASMSTART
	v_cvt_f32_f16 v103, v11;
	;;#ASMEND
	;;#ASMSTART
	v_cvt_f32_f16 v112, v0;
	;;#ASMEND
	flat_load_b64 v[11:12], v[9:10] offset:2048
	flat_load_b32 v113, v[26:27]
	s_mov_b32 s10, exec_lo
	s_waitcnt vmcnt(1) lgkmcnt(1)
	v_dual_mov_b32 v115, 0 :: v_dual_and_b32 v0, 0xff, v11
	s_delay_alu instid0(VALU_DEP_1)
	v_cmpx_ne_u16_e32 0, v0
	s_cbranch_execz .LBB369_1591
; %bb.1584:                             ;   in Loop: Header=BB369_1055 Depth=1
	v_bfrev_b32_e32 v114, 1
	s_mov_b32 s12, exec_lo
	v_cmpx_ne_u16_e32 0x80, v0
	s_cbranch_execz .LBB369_1590
; %bb.1585:                             ;   in Loop: Header=BB369_1055 Depth=1
	v_and_b32_e32 v13, 0x7f, v11
	v_mov_b32_e32 v114, 0x7fc02000
	s_mov_b32 s13, exec_lo
	s_delay_alu instid0(VALU_DEP_2)
	v_cmpx_ne_u32_e32 0x7f, v13
	s_cbranch_execz .LBB369_1589
; %bb.1586:                             ;   in Loop: Header=BB369_1055 Depth=1
	v_lshrrev_b32_e32 v0, 3, v13
	v_cmp_gt_u32_e64 s0, 8, v13
	v_dual_mov_b32 v14, v12 :: v_dual_mov_b32 v13, v11
	s_delay_alu instid0(VALU_DEP_2)
	s_and_saveexec_b32 s15, s0
; %bb.1587:                             ;   in Loop: Header=BB369_1055 Depth=1
	v_and_b32_e32 v0, 7, v11
	s_delay_alu instid0(VALU_DEP_1) | instskip(NEXT) | instid1(VALU_DEP_1)
	v_clz_i32_u32_e32 v0, v0
	v_min_u32_e32 v0, 32, v0
	s_delay_alu instid0(VALU_DEP_1) | instskip(SKIP_1) | instid1(VALU_DEP_2)
	v_subrev_nc_u32_e32 v13, 28, v0
	v_sub_nc_u32_e32 v0, 29, v0
	v_lshlrev_b64 v[13:14], v13, v[11:12]
; %bb.1588:                             ;   in Loop: Header=BB369_1055 Depth=1
	s_or_b32 exec_lo, exec_lo, s15
	v_lshlrev_b32_e32 v14, 8, v11
	s_delay_alu instid0(VALU_DEP_3) | instskip(NEXT) | instid1(VALU_DEP_3)
	v_lshl_add_u32 v0, v0, 10, 0x2000
	v_lshlrev_b32_e32 v13, 7, v13
	s_delay_alu instid0(VALU_DEP_2) | instskip(NEXT) | instid1(VALU_DEP_1)
	v_and_or_b32 v0, 0x8000, v14, v0
	v_and_or_b32 v0, 0x380, v13, v0
	s_delay_alu instid0(VALU_DEP_1)
	v_cvt_f32_f16_e32 v114, v0
.LBB369_1589:                           ;   in Loop: Header=BB369_1055 Depth=1
	s_or_b32 exec_lo, exec_lo, s13
.LBB369_1590:                           ;   in Loop: Header=BB369_1055 Depth=1
	s_delay_alu instid0(SALU_CYCLE_1)
	s_or_b32 exec_lo, exec_lo, s12
.LBB369_1591:                           ;   in Loop: Header=BB369_1055 Depth=1
	s_delay_alu instid0(SALU_CYCLE_1) | instskip(SKIP_2) | instid1(VALU_DEP_1)
	s_or_b32 exec_lo, exec_lo, s10
	v_lshrrev_b16 v0, 8, v11
	s_mov_b32 s10, exec_lo
	v_cmpx_ne_u16_e32 0, v0
	s_cbranch_execz .LBB369_1599
; %bb.1592:                             ;   in Loop: Header=BB369_1055 Depth=1
	v_bfrev_b32_e32 v115, 1
	s_mov_b32 s12, exec_lo
	v_cmpx_ne_u16_e32 0x80, v0
	s_cbranch_execz .LBB369_1598
; %bb.1593:                             ;   in Loop: Header=BB369_1055 Depth=1
	v_and_b32_e32 v116, 0xffff, v0
	v_mov_b32_e32 v115, 0x7fc02000
	s_mov_b32 s13, exec_lo
	s_delay_alu instid0(VALU_DEP_2) | instskip(NEXT) | instid1(VALU_DEP_1)
	v_and_b32_e32 v13, 0x7f, v116
	v_cmpx_ne_u32_e32 0x7f, v13
	s_cbranch_execz .LBB369_1597
; %bb.1594:                             ;   in Loop: Header=BB369_1055 Depth=1
	v_and_b32_e32 v0, 7, v116
	v_lshrrev_b32_e32 v115, 3, v13
	v_cmp_gt_u32_e64 s0, 8, v13
	s_delay_alu instid0(VALU_DEP_3) | instskip(NEXT) | instid1(VALU_DEP_2)
	v_dual_mov_b32 v14, v1 :: v_dual_mov_b32 v13, v0
	s_and_saveexec_b32 s15, s0
; %bb.1595:                             ;   in Loop: Header=BB369_1055 Depth=1
	v_clz_i32_u32_e32 v13, v0
	s_delay_alu instid0(VALU_DEP_1) | instskip(NEXT) | instid1(VALU_DEP_1)
	v_min_u32_e32 v115, 32, v13
	v_subrev_nc_u32_e32 v13, 28, v115
	v_sub_nc_u32_e32 v115, 29, v115
	s_delay_alu instid0(VALU_DEP_2) | instskip(NEXT) | instid1(VALU_DEP_1)
	v_lshlrev_b64 v[13:14], v13, v[0:1]
	v_and_b32_e32 v13, 7, v13
; %bb.1596:                             ;   in Loop: Header=BB369_1055 Depth=1
	s_or_b32 exec_lo, exec_lo, s15
	v_lshlrev_b32_e32 v0, 8, v116
	v_lshl_add_u32 v14, v115, 10, 0x2000
	s_delay_alu instid0(VALU_DEP_1) | instskip(NEXT) | instid1(VALU_DEP_1)
	v_and_or_b32 v0, 0x8000, v0, v14
	v_lshl_or_b32 v0, v13, 7, v0
	s_delay_alu instid0(VALU_DEP_1)
	v_cvt_f32_f16_e32 v115, v0
.LBB369_1597:                           ;   in Loop: Header=BB369_1055 Depth=1
	s_or_b32 exec_lo, exec_lo, s13
.LBB369_1598:                           ;   in Loop: Header=BB369_1055 Depth=1
	s_delay_alu instid0(SALU_CYCLE_1)
	s_or_b32 exec_lo, exec_lo, s12
.LBB369_1599:                           ;   in Loop: Header=BB369_1055 Depth=1
	s_delay_alu instid0(SALU_CYCLE_1) | instskip(SKIP_3) | instid1(VALU_DEP_2)
	s_or_b32 exec_lo, exec_lo, s10
	v_lshrrev_b32_e32 v118, 16, v11
	v_mov_b32_e32 v116, 0
	s_mov_b32 s10, exec_lo
	v_dual_mov_b32 v117, 0 :: v_dual_and_b32 v0, 0xff, v118
	s_delay_alu instid0(VALU_DEP_1)
	v_cmpx_ne_u16_e32 0, v0
	s_cbranch_execz .LBB369_1607
; %bb.1600:                             ;   in Loop: Header=BB369_1055 Depth=1
	v_bfrev_b32_e32 v116, 1
	s_mov_b32 s12, exec_lo
	v_cmpx_ne_u16_e32 0x80, v0
	s_cbranch_execz .LBB369_1606
; %bb.1601:                             ;   in Loop: Header=BB369_1055 Depth=1
	v_bfe_u32 v13, v11, 16, 7
	v_mov_b32_e32 v116, 0x7fc02000
	s_mov_b32 s13, exec_lo
	s_delay_alu instid0(VALU_DEP_2)
	v_cmpx_ne_u32_e32 0x7f, v13
	s_cbranch_execz .LBB369_1605
; %bb.1602:                             ;   in Loop: Header=BB369_1055 Depth=1
	v_and_b32_e32 v0, 7, v118
	v_lshrrev_b32_e32 v116, 3, v13
	v_cmp_gt_u32_e64 s0, 8, v13
	s_delay_alu instid0(VALU_DEP_3) | instskip(NEXT) | instid1(VALU_DEP_2)
	v_dual_mov_b32 v14, v1 :: v_dual_mov_b32 v13, v0
	s_and_saveexec_b32 s15, s0
; %bb.1603:                             ;   in Loop: Header=BB369_1055 Depth=1
	v_clz_i32_u32_e32 v13, v0
	s_delay_alu instid0(VALU_DEP_1) | instskip(NEXT) | instid1(VALU_DEP_1)
	v_min_u32_e32 v116, 32, v13
	v_subrev_nc_u32_e32 v13, 28, v116
	v_sub_nc_u32_e32 v116, 29, v116
	s_delay_alu instid0(VALU_DEP_2) | instskip(NEXT) | instid1(VALU_DEP_1)
	v_lshlrev_b64 v[13:14], v13, v[0:1]
	v_and_b32_e32 v13, 7, v13
; %bb.1604:                             ;   in Loop: Header=BB369_1055 Depth=1
	s_or_b32 exec_lo, exec_lo, s15
	v_lshlrev_b32_e32 v0, 8, v118
	v_lshl_add_u32 v14, v116, 10, 0x2000
	s_delay_alu instid0(VALU_DEP_1) | instskip(NEXT) | instid1(VALU_DEP_1)
	v_and_or_b32 v0, 0x8000, v0, v14
	v_lshl_or_b32 v0, v13, 7, v0
	s_delay_alu instid0(VALU_DEP_1)
	v_cvt_f32_f16_e32 v116, v0
.LBB369_1605:                           ;   in Loop: Header=BB369_1055 Depth=1
	s_or_b32 exec_lo, exec_lo, s13
.LBB369_1606:                           ;   in Loop: Header=BB369_1055 Depth=1
	s_delay_alu instid0(SALU_CYCLE_1)
	s_or_b32 exec_lo, exec_lo, s12
.LBB369_1607:                           ;   in Loop: Header=BB369_1055 Depth=1
	s_delay_alu instid0(SALU_CYCLE_1) | instskip(NEXT) | instid1(SALU_CYCLE_1)
	s_or_b32 exec_lo, exec_lo, s10
	s_mov_b32 s10, exec_lo
	v_cmpx_lt_u32_e32 0xffffff, v11
	s_cbranch_execz .LBB369_1615
; %bb.1608:                             ;   in Loop: Header=BB369_1055 Depth=1
	v_lshrrev_b32_e32 v118, 24, v11
	v_bfrev_b32_e32 v117, 1
	s_mov_b32 s12, exec_lo
	s_delay_alu instid0(VALU_DEP_2)
	v_cmpx_ne_u32_e32 0x80, v118
	s_cbranch_execz .LBB369_1614
; %bb.1609:                             ;   in Loop: Header=BB369_1055 Depth=1
	v_and_b32_e32 v13, 0x7f, v118
	v_mov_b32_e32 v117, 0x7fc02000
	s_mov_b32 s13, exec_lo
	s_delay_alu instid0(VALU_DEP_2)
	v_cmpx_ne_u32_e32 0x7f, v13
	s_cbranch_execz .LBB369_1613
; %bb.1610:                             ;   in Loop: Header=BB369_1055 Depth=1
	v_and_b32_e32 v0, 7, v118
	v_lshrrev_b32_e32 v117, 3, v13
	v_cmp_gt_u32_e64 s0, 8, v13
	s_delay_alu instid0(VALU_DEP_3) | instskip(NEXT) | instid1(VALU_DEP_2)
	v_dual_mov_b32 v14, v1 :: v_dual_mov_b32 v13, v0
	s_and_saveexec_b32 s15, s0
; %bb.1611:                             ;   in Loop: Header=BB369_1055 Depth=1
	v_clz_i32_u32_e32 v13, v0
	s_delay_alu instid0(VALU_DEP_1) | instskip(NEXT) | instid1(VALU_DEP_1)
	v_min_u32_e32 v117, 32, v13
	v_subrev_nc_u32_e32 v13, 28, v117
	v_sub_nc_u32_e32 v117, 29, v117
	s_delay_alu instid0(VALU_DEP_2) | instskip(NEXT) | instid1(VALU_DEP_1)
	v_lshlrev_b64 v[13:14], v13, v[0:1]
	v_and_b32_e32 v13, 7, v13
; %bb.1612:                             ;   in Loop: Header=BB369_1055 Depth=1
	s_or_b32 exec_lo, exec_lo, s15
	v_lshlrev_b32_e32 v0, 8, v118
	v_lshl_add_u32 v14, v117, 10, 0x2000
	s_delay_alu instid0(VALU_DEP_1) | instskip(NEXT) | instid1(VALU_DEP_1)
	v_and_or_b32 v0, 0x8000, v0, v14
	v_lshl_or_b32 v0, v13, 7, v0
	s_delay_alu instid0(VALU_DEP_1)
	v_cvt_f32_f16_e32 v117, v0
.LBB369_1613:                           ;   in Loop: Header=BB369_1055 Depth=1
	s_or_b32 exec_lo, exec_lo, s13
.LBB369_1614:                           ;   in Loop: Header=BB369_1055 Depth=1
	s_delay_alu instid0(SALU_CYCLE_1)
	s_or_b32 exec_lo, exec_lo, s12
.LBB369_1615:                           ;   in Loop: Header=BB369_1055 Depth=1
	s_delay_alu instid0(SALU_CYCLE_1) | instskip(SKIP_3) | instid1(VALU_DEP_2)
	s_or_b32 exec_lo, exec_lo, s10
	v_dual_mov_b32 v0, v12 :: v_dual_and_b32 v13, 0xff, v12
	v_dual_mov_b32 v119, 0 :: v_dual_mov_b32 v118, 0
	s_mov_b32 s10, exec_lo
	v_cmpx_ne_u16_e32 0, v13
	s_cbranch_execz .LBB369_1623
; %bb.1616:                             ;   in Loop: Header=BB369_1055 Depth=1
	v_bfrev_b32_e32 v118, 1
	s_mov_b32 s12, exec_lo
	v_cmpx_ne_u16_e32 0x80, v13
	s_cbranch_execz .LBB369_1622
; %bb.1617:                             ;   in Loop: Header=BB369_1055 Depth=1
	v_and_b32_e32 v13, 0x7f, v12
	v_mov_b32_e32 v118, 0x7fc02000
	s_mov_b32 s13, exec_lo
	s_delay_alu instid0(VALU_DEP_2)
	v_cmpx_ne_u32_e32 0x7f, v13
	s_cbranch_execz .LBB369_1621
; %bb.1618:                             ;   in Loop: Header=BB369_1055 Depth=1
	v_lshrrev_b32_e32 v118, 3, v13
	v_cmp_gt_u32_e64 s0, 8, v13
	v_dual_mov_b32 v14, v1 :: v_dual_mov_b32 v13, v0
	s_delay_alu instid0(VALU_DEP_2)
	s_and_saveexec_b32 s15, s0
; %bb.1619:                             ;   in Loop: Header=BB369_1055 Depth=1
	v_and_b32_e32 v13, 7, v12
	s_delay_alu instid0(VALU_DEP_1) | instskip(NEXT) | instid1(VALU_DEP_1)
	v_clz_i32_u32_e32 v13, v13
	v_min_u32_e32 v118, 32, v13
	s_delay_alu instid0(VALU_DEP_1) | instskip(SKIP_1) | instid1(VALU_DEP_2)
	v_subrev_nc_u32_e32 v13, 28, v118
	v_sub_nc_u32_e32 v118, 29, v118
	v_lshlrev_b64 v[13:14], v13, v[0:1]
; %bb.1620:                             ;   in Loop: Header=BB369_1055 Depth=1
	s_or_b32 exec_lo, exec_lo, s15
	v_lshlrev_b32_e32 v14, 8, v12
	s_delay_alu instid0(VALU_DEP_3) | instskip(NEXT) | instid1(VALU_DEP_3)
	v_lshl_add_u32 v118, v118, 10, 0x2000
	v_lshlrev_b32_e32 v13, 7, v13
	s_delay_alu instid0(VALU_DEP_2) | instskip(NEXT) | instid1(VALU_DEP_1)
	v_and_or_b32 v14, 0x8000, v14, v118
	v_and_or_b32 v13, 0x380, v13, v14
	s_delay_alu instid0(VALU_DEP_1)
	v_cvt_f32_f16_e32 v118, v13
.LBB369_1621:                           ;   in Loop: Header=BB369_1055 Depth=1
	s_or_b32 exec_lo, exec_lo, s13
.LBB369_1622:                           ;   in Loop: Header=BB369_1055 Depth=1
	s_delay_alu instid0(SALU_CYCLE_1)
	s_or_b32 exec_lo, exec_lo, s12
.LBB369_1623:                           ;   in Loop: Header=BB369_1055 Depth=1
	s_delay_alu instid0(SALU_CYCLE_1) | instskip(SKIP_2) | instid1(VALU_DEP_1)
	s_or_b32 exec_lo, exec_lo, s10
	v_lshrrev_b16 v0, 8, v0
	s_mov_b32 s10, exec_lo
	v_cmpx_ne_u16_e32 0, v0
	s_cbranch_execz .LBB369_1631
; %bb.1624:                             ;   in Loop: Header=BB369_1055 Depth=1
	v_bfrev_b32_e32 v119, 1
	s_mov_b32 s12, exec_lo
	v_cmpx_ne_u16_e32 0x80, v0
	s_cbranch_execz .LBB369_1630
; %bb.1625:                             ;   in Loop: Header=BB369_1055 Depth=1
	v_and_b32_e32 v128, 0xffff, v0
	v_mov_b32_e32 v119, 0x7fc02000
	s_mov_b32 s13, exec_lo
	s_delay_alu instid0(VALU_DEP_2) | instskip(NEXT) | instid1(VALU_DEP_1)
	v_and_b32_e32 v13, 0x7f, v128
	v_cmpx_ne_u32_e32 0x7f, v13
	s_cbranch_execz .LBB369_1629
; %bb.1626:                             ;   in Loop: Header=BB369_1055 Depth=1
	v_and_b32_e32 v0, 7, v128
	v_lshrrev_b32_e32 v119, 3, v13
	v_cmp_gt_u32_e64 s0, 8, v13
	s_delay_alu instid0(VALU_DEP_3) | instskip(NEXT) | instid1(VALU_DEP_2)
	v_dual_mov_b32 v14, v1 :: v_dual_mov_b32 v13, v0
	s_and_saveexec_b32 s15, s0
; %bb.1627:                             ;   in Loop: Header=BB369_1055 Depth=1
	v_clz_i32_u32_e32 v13, v0
	s_delay_alu instid0(VALU_DEP_1) | instskip(NEXT) | instid1(VALU_DEP_1)
	v_min_u32_e32 v119, 32, v13
	v_subrev_nc_u32_e32 v13, 28, v119
	v_sub_nc_u32_e32 v119, 29, v119
	s_delay_alu instid0(VALU_DEP_2) | instskip(NEXT) | instid1(VALU_DEP_1)
	v_lshlrev_b64 v[13:14], v13, v[0:1]
	v_and_b32_e32 v13, 7, v13
; %bb.1628:                             ;   in Loop: Header=BB369_1055 Depth=1
	s_or_b32 exec_lo, exec_lo, s15
	v_lshlrev_b32_e32 v0, 8, v128
	v_lshl_add_u32 v14, v119, 10, 0x2000
	s_delay_alu instid0(VALU_DEP_1) | instskip(NEXT) | instid1(VALU_DEP_1)
	v_and_or_b32 v0, 0x8000, v0, v14
	v_lshl_or_b32 v0, v13, 7, v0
	s_delay_alu instid0(VALU_DEP_1)
	v_cvt_f32_f16_e32 v119, v0
.LBB369_1629:                           ;   in Loop: Header=BB369_1055 Depth=1
	s_or_b32 exec_lo, exec_lo, s13
.LBB369_1630:                           ;   in Loop: Header=BB369_1055 Depth=1
	s_delay_alu instid0(SALU_CYCLE_1)
	s_or_b32 exec_lo, exec_lo, s12
.LBB369_1631:                           ;   in Loop: Header=BB369_1055 Depth=1
	s_delay_alu instid0(SALU_CYCLE_1) | instskip(SKIP_3) | instid1(VALU_DEP_2)
	s_or_b32 exec_lo, exec_lo, s10
	v_lshrrev_b32_e32 v129, 16, v12
	v_mov_b32_e32 v128, 0
	s_mov_b32 s10, exec_lo
	v_dual_mov_b32 v13, 0 :: v_dual_and_b32 v0, 0xff, v129
	s_delay_alu instid0(VALU_DEP_1)
	v_cmpx_ne_u16_e32 0, v0
	s_cbranch_execz .LBB369_1639
; %bb.1632:                             ;   in Loop: Header=BB369_1055 Depth=1
	v_bfrev_b32_e32 v13, 1
	s_mov_b32 s12, exec_lo
	v_cmpx_ne_u16_e32 0x80, v0
	s_cbranch_execz .LBB369_1638
; %bb.1633:                             ;   in Loop: Header=BB369_1055 Depth=1
	v_bfe_u32 v14, v12, 16, 7
	v_mov_b32_e32 v13, 0x7fc02000
	s_mov_b32 s13, exec_lo
	s_delay_alu instid0(VALU_DEP_2)
	v_cmpx_ne_u32_e32 0x7f, v14
	s_cbranch_execz .LBB369_1637
; %bb.1634:                             ;   in Loop: Header=BB369_1055 Depth=1
	v_and_b32_e32 v0, 7, v129
	v_lshrrev_b32_e32 v130, 3, v14
	v_cmp_gt_u32_e64 s0, 8, v14
	s_delay_alu instid0(VALU_DEP_3) | instskip(NEXT) | instid1(VALU_DEP_2)
	v_dual_mov_b32 v14, v1 :: v_dual_mov_b32 v13, v0
	s_and_saveexec_b32 s15, s0
; %bb.1635:                             ;   in Loop: Header=BB369_1055 Depth=1
	v_clz_i32_u32_e32 v13, v0
	s_delay_alu instid0(VALU_DEP_1) | instskip(NEXT) | instid1(VALU_DEP_1)
	v_min_u32_e32 v130, 32, v13
	v_subrev_nc_u32_e32 v13, 28, v130
	v_sub_nc_u32_e32 v130, 29, v130
	s_delay_alu instid0(VALU_DEP_2) | instskip(NEXT) | instid1(VALU_DEP_1)
	v_lshlrev_b64 v[13:14], v13, v[0:1]
	v_and_b32_e32 v13, 7, v13
; %bb.1636:                             ;   in Loop: Header=BB369_1055 Depth=1
	s_or_b32 exec_lo, exec_lo, s15
	v_lshlrev_b32_e32 v0, 8, v129
	v_lshl_add_u32 v14, v130, 10, 0x2000
	s_delay_alu instid0(VALU_DEP_1) | instskip(NEXT) | instid1(VALU_DEP_1)
	v_and_or_b32 v0, 0x8000, v0, v14
	v_lshl_or_b32 v0, v13, 7, v0
	s_delay_alu instid0(VALU_DEP_1)
	v_cvt_f32_f16_e32 v13, v0
.LBB369_1637:                           ;   in Loop: Header=BB369_1055 Depth=1
	s_or_b32 exec_lo, exec_lo, s13
.LBB369_1638:                           ;   in Loop: Header=BB369_1055 Depth=1
	s_delay_alu instid0(SALU_CYCLE_1)
	s_or_b32 exec_lo, exec_lo, s12
.LBB369_1639:                           ;   in Loop: Header=BB369_1055 Depth=1
	s_delay_alu instid0(SALU_CYCLE_1) | instskip(NEXT) | instid1(SALU_CYCLE_1)
	s_or_b32 exec_lo, exec_lo, s10
	s_mov_b32 s10, exec_lo
	v_cmpx_lt_u64_e64 s[8:9], v[11:12]
	s_cbranch_execz .LBB369_1647
; %bb.1640:                             ;   in Loop: Header=BB369_1055 Depth=1
	v_lshrrev_b32_e32 v14, 24, v12
	v_bfrev_b32_e32 v128, 1
	s_mov_b32 s12, exec_lo
	s_delay_alu instid0(VALU_DEP_2)
	v_cmpx_ne_u32_e32 0x80, v14
	s_cbranch_execz .LBB369_1646
; %bb.1641:                             ;   in Loop: Header=BB369_1055 Depth=1
	v_and_b32_e32 v11, 0x7f, v14
	v_mov_b32_e32 v128, 0x7fc02000
	s_mov_b32 s13, exec_lo
	s_delay_alu instid0(VALU_DEP_2)
	v_cmpx_ne_u32_e32 0x7f, v11
	s_cbranch_execz .LBB369_1645
; %bb.1642:                             ;   in Loop: Header=BB369_1055 Depth=1
	v_and_b32_e32 v0, 7, v14
	v_lshrrev_b32_e32 v128, 3, v11
	v_cmp_gt_u32_e64 s0, 8, v11
	s_delay_alu instid0(VALU_DEP_3) | instskip(NEXT) | instid1(VALU_DEP_2)
	v_dual_mov_b32 v12, v1 :: v_dual_mov_b32 v11, v0
	s_and_saveexec_b32 s15, s0
; %bb.1643:                             ;   in Loop: Header=BB369_1055 Depth=1
	v_clz_i32_u32_e32 v11, v0
	s_delay_alu instid0(VALU_DEP_1) | instskip(NEXT) | instid1(VALU_DEP_1)
	v_min_u32_e32 v128, 32, v11
	v_subrev_nc_u32_e32 v11, 28, v128
	v_sub_nc_u32_e32 v128, 29, v128
	s_delay_alu instid0(VALU_DEP_2) | instskip(NEXT) | instid1(VALU_DEP_1)
	v_lshlrev_b64 v[11:12], v11, v[0:1]
	v_and_b32_e32 v11, 7, v11
; %bb.1644:                             ;   in Loop: Header=BB369_1055 Depth=1
	s_or_b32 exec_lo, exec_lo, s15
	v_lshlrev_b32_e32 v0, 8, v14
	v_lshl_add_u32 v12, v128, 10, 0x2000
	s_delay_alu instid0(VALU_DEP_1) | instskip(NEXT) | instid1(VALU_DEP_1)
	v_and_or_b32 v0, 0x8000, v0, v12
	v_lshl_or_b32 v0, v11, 7, v0
	s_delay_alu instid0(VALU_DEP_1)
	v_cvt_f32_f16_e64 v128, v0
.LBB369_1645:                           ;   in Loop: Header=BB369_1055 Depth=1
	s_or_b32 exec_lo, exec_lo, s13
.LBB369_1646:                           ;   in Loop: Header=BB369_1055 Depth=1
	s_delay_alu instid0(SALU_CYCLE_1)
	s_or_b32 exec_lo, exec_lo, s12
.LBB369_1647:                           ;   in Loop: Header=BB369_1055 Depth=1
	s_delay_alu instid0(SALU_CYCLE_1)
	s_or_b32 exec_lo, exec_lo, s10
	s_waitcnt vmcnt(0) lgkmcnt(0)
	v_fma_mixlo_f16 v12, v113, v115, 0
	v_fma_mixlo_f16 v0, v113, v117, 0
	;; [unrolled: 1-line block ×5, first 2 shown]
	v_lshlrev_b32_e32 v14, 16, v12
	v_fma_mixlo_f16 v116, v113, v118, 0
	v_fma_mixlo_f16 v117, v113, v128, 0
	;; [unrolled: 1-line block ×3, first 2 shown]
	v_lshlrev_b32_e32 v0, 16, v0
	v_and_b32_e32 v11, 0xffff, v11
	v_and_b32_e32 v113, 0xffff, v114
	v_lshlrev_b32_e32 v114, 16, v115
	v_and_b32_e32 v115, 0xffff, v116
	v_lshlrev_b32_e32 v116, 16, v117
	v_and_b32_e32 v117, 0xffff, v12
	v_or_b32_e32 v13, v0, v11
	v_or_b32_e32 v14, v14, v113
	;; [unrolled: 1-line block ×3, first 2 shown]
	s_delay_alu instid0(VALU_DEP_4)
	v_or_b32_e32 v11, v116, v117
	s_and_saveexec_b32 s10, vcc_lo
	s_cbranch_execz .LBB369_1649
; %bb.1648:                             ;   in Loop: Header=BB369_1055 Depth=1
	v_cmp_lt_i32_e64 s0, v15, v36
	v_lshrrev_b32_e32 v113, 16, v14
	v_lshrrev_b32_e32 v114, 16, v13
	;; [unrolled: 1-line block ×4, first 2 shown]
	v_cndmask_b32_e64 v14, 0, v14, s0
	v_cmp_lt_i32_e64 s0, v82, v48
	s_delay_alu instid0(VALU_DEP_1) | instskip(SKIP_1) | instid1(VALU_DEP_2)
	v_cndmask_b32_e64 v113, 0, v113, s0
	v_cmp_lt_i32_e64 s0, v81, v48
	v_perm_b32 v14, v113, v14, 0x5040100
	s_delay_alu instid0(VALU_DEP_2) | instskip(SKIP_1) | instid1(VALU_DEP_1)
	v_cndmask_b32_e64 v114, 0, v114, s0
	v_cmp_lt_i32_e64 s0, v70, v36
	v_cndmask_b32_e64 v13, 0, v13, s0
	v_cmp_lt_i32_e64 s0, v65, v48
	s_delay_alu instid0(VALU_DEP_2) | instskip(NEXT) | instid1(VALU_DEP_2)
	v_perm_b32 v13, v114, v13, 0x5040100
	v_cndmask_b32_e64 v115, 0, v115, s0
	v_cmp_lt_i32_e64 s0, v64, v36
	s_delay_alu instid0(VALU_DEP_1) | instskip(SKIP_1) | instid1(VALU_DEP_2)
	v_cndmask_b32_e64 v0, 0, v0, s0
	v_cmp_lt_i32_e64 s0, v38, v48
	v_perm_b32 v0, v115, v0, 0x5040100
	s_delay_alu instid0(VALU_DEP_2) | instskip(SKIP_1) | instid1(VALU_DEP_1)
	v_cndmask_b32_e64 v11, 0, v11, s0
	v_cmp_lt_i32_e64 s0, v17, v36
	v_cndmask_b32_e64 v12, 0, v12, s0
	s_delay_alu instid0(VALU_DEP_1)
	v_perm_b32 v11, v11, v12, 0x5040100
.LBB369_1649:                           ;   in Loop: Header=BB369_1055 Depth=1
	s_or_b32 exec_lo, exec_lo, s10
	;;#ASMSTART
	v_pk_mul_f16 v12, v80, v14;

	;;#ASMEND
	;;#ASMSTART
	v_pk_mul_f16 v13, v69, v13;

	;;#ASMEND
	;;#ASMSTART
	v_pk_mul_f16 v0, v67, v0;

	;;#ASMEND
	;;#ASMSTART
	v_pk_mul_f16 v11, v66, v11;

	;;#ASMEND
	;;#ASMSTART
	v_pk_add_f16 v12, v12, v13;

	;;#ASMEND
	;;#ASMSTART
	v_pk_add_f16 v0, v12, v0;

	;;#ASMEND
	;; [unrolled: 4-line block ×3, first 2 shown]
	v_dual_mov_b32 v116, 0 :: v_dual_and_b32 v11, 0xffff, v0
	v_lshrrev_b32_e32 v0, 16, v0
	;;#ASMSTART
	v_cvt_f32_f16 v113, v11;
	;;#ASMEND
	;;#ASMSTART
	v_cvt_f32_f16 v114, v0;
	;;#ASMEND
	flat_load_b64 v[11:12], v[9:10] offset:2304
	flat_load_b32 v115, v[26:27]
	s_mov_b32 s10, exec_lo
	s_waitcnt vmcnt(1) lgkmcnt(1)
	v_dual_mov_b32 v117, 0 :: v_dual_and_b32 v0, 0xff, v11
	s_delay_alu instid0(VALU_DEP_1)
	v_cmpx_ne_u16_e32 0, v0
	s_cbranch_execz .LBB369_1657
; %bb.1650:                             ;   in Loop: Header=BB369_1055 Depth=1
	v_bfrev_b32_e32 v116, 1
	s_mov_b32 s12, exec_lo
	v_cmpx_ne_u16_e32 0x80, v0
	s_cbranch_execz .LBB369_1656
; %bb.1651:                             ;   in Loop: Header=BB369_1055 Depth=1
	v_and_b32_e32 v13, 0x7f, v11
	v_mov_b32_e32 v116, 0x7fc02000
	s_mov_b32 s13, exec_lo
	s_delay_alu instid0(VALU_DEP_2)
	v_cmpx_ne_u32_e32 0x7f, v13
	s_cbranch_execz .LBB369_1655
; %bb.1652:                             ;   in Loop: Header=BB369_1055 Depth=1
	v_lshrrev_b32_e32 v0, 3, v13
	v_cmp_gt_u32_e64 s0, 8, v13
	v_dual_mov_b32 v14, v12 :: v_dual_mov_b32 v13, v11
	s_delay_alu instid0(VALU_DEP_2)
	s_and_saveexec_b32 s15, s0
; %bb.1653:                             ;   in Loop: Header=BB369_1055 Depth=1
	v_and_b32_e32 v0, 7, v11
	s_delay_alu instid0(VALU_DEP_1) | instskip(NEXT) | instid1(VALU_DEP_1)
	v_clz_i32_u32_e32 v0, v0
	v_min_u32_e32 v0, 32, v0
	s_delay_alu instid0(VALU_DEP_1) | instskip(SKIP_1) | instid1(VALU_DEP_2)
	v_subrev_nc_u32_e32 v13, 28, v0
	v_sub_nc_u32_e32 v0, 29, v0
	v_lshlrev_b64 v[13:14], v13, v[11:12]
; %bb.1654:                             ;   in Loop: Header=BB369_1055 Depth=1
	s_or_b32 exec_lo, exec_lo, s15
	v_lshlrev_b32_e32 v14, 8, v11
	s_delay_alu instid0(VALU_DEP_3) | instskip(NEXT) | instid1(VALU_DEP_3)
	v_lshl_add_u32 v0, v0, 10, 0x2000
	v_lshlrev_b32_e32 v13, 7, v13
	s_delay_alu instid0(VALU_DEP_2) | instskip(NEXT) | instid1(VALU_DEP_1)
	v_and_or_b32 v0, 0x8000, v14, v0
	v_and_or_b32 v0, 0x380, v13, v0
	s_delay_alu instid0(VALU_DEP_1)
	v_cvt_f32_f16_e32 v116, v0
.LBB369_1655:                           ;   in Loop: Header=BB369_1055 Depth=1
	s_or_b32 exec_lo, exec_lo, s13
.LBB369_1656:                           ;   in Loop: Header=BB369_1055 Depth=1
	s_delay_alu instid0(SALU_CYCLE_1)
	s_or_b32 exec_lo, exec_lo, s12
.LBB369_1657:                           ;   in Loop: Header=BB369_1055 Depth=1
	s_delay_alu instid0(SALU_CYCLE_1) | instskip(SKIP_2) | instid1(VALU_DEP_1)
	s_or_b32 exec_lo, exec_lo, s10
	v_lshrrev_b16 v0, 8, v11
	s_mov_b32 s10, exec_lo
	v_cmpx_ne_u16_e32 0, v0
	s_cbranch_execz .LBB369_1665
; %bb.1658:                             ;   in Loop: Header=BB369_1055 Depth=1
	v_bfrev_b32_e32 v117, 1
	s_mov_b32 s12, exec_lo
	v_cmpx_ne_u16_e32 0x80, v0
	s_cbranch_execz .LBB369_1664
; %bb.1659:                             ;   in Loop: Header=BB369_1055 Depth=1
	v_and_b32_e32 v118, 0xffff, v0
	v_mov_b32_e32 v117, 0x7fc02000
	s_mov_b32 s13, exec_lo
	s_delay_alu instid0(VALU_DEP_2) | instskip(NEXT) | instid1(VALU_DEP_1)
	v_and_b32_e32 v13, 0x7f, v118
	v_cmpx_ne_u32_e32 0x7f, v13
	s_cbranch_execz .LBB369_1663
; %bb.1660:                             ;   in Loop: Header=BB369_1055 Depth=1
	v_and_b32_e32 v0, 7, v118
	v_lshrrev_b32_e32 v117, 3, v13
	v_cmp_gt_u32_e64 s0, 8, v13
	s_delay_alu instid0(VALU_DEP_3) | instskip(NEXT) | instid1(VALU_DEP_2)
	v_dual_mov_b32 v14, v1 :: v_dual_mov_b32 v13, v0
	s_and_saveexec_b32 s15, s0
; %bb.1661:                             ;   in Loop: Header=BB369_1055 Depth=1
	v_clz_i32_u32_e32 v13, v0
	s_delay_alu instid0(VALU_DEP_1) | instskip(NEXT) | instid1(VALU_DEP_1)
	v_min_u32_e32 v117, 32, v13
	v_subrev_nc_u32_e32 v13, 28, v117
	v_sub_nc_u32_e32 v117, 29, v117
	s_delay_alu instid0(VALU_DEP_2) | instskip(NEXT) | instid1(VALU_DEP_1)
	v_lshlrev_b64 v[13:14], v13, v[0:1]
	v_and_b32_e32 v13, 7, v13
; %bb.1662:                             ;   in Loop: Header=BB369_1055 Depth=1
	s_or_b32 exec_lo, exec_lo, s15
	v_lshlrev_b32_e32 v0, 8, v118
	v_lshl_add_u32 v14, v117, 10, 0x2000
	s_delay_alu instid0(VALU_DEP_1) | instskip(NEXT) | instid1(VALU_DEP_1)
	v_and_or_b32 v0, 0x8000, v0, v14
	v_lshl_or_b32 v0, v13, 7, v0
	s_delay_alu instid0(VALU_DEP_1)
	v_cvt_f32_f16_e32 v117, v0
.LBB369_1663:                           ;   in Loop: Header=BB369_1055 Depth=1
	s_or_b32 exec_lo, exec_lo, s13
.LBB369_1664:                           ;   in Loop: Header=BB369_1055 Depth=1
	s_delay_alu instid0(SALU_CYCLE_1)
	s_or_b32 exec_lo, exec_lo, s12
.LBB369_1665:                           ;   in Loop: Header=BB369_1055 Depth=1
	s_delay_alu instid0(SALU_CYCLE_1) | instskip(SKIP_3) | instid1(VALU_DEP_2)
	s_or_b32 exec_lo, exec_lo, s10
	v_lshrrev_b32_e32 v128, 16, v11
	v_mov_b32_e32 v118, 0
	s_mov_b32 s10, exec_lo
	v_dual_mov_b32 v119, 0 :: v_dual_and_b32 v0, 0xff, v128
	s_delay_alu instid0(VALU_DEP_1)
	v_cmpx_ne_u16_e32 0, v0
	s_cbranch_execz .LBB369_1673
; %bb.1666:                             ;   in Loop: Header=BB369_1055 Depth=1
	v_bfrev_b32_e32 v118, 1
	s_mov_b32 s12, exec_lo
	v_cmpx_ne_u16_e32 0x80, v0
	s_cbranch_execz .LBB369_1672
; %bb.1667:                             ;   in Loop: Header=BB369_1055 Depth=1
	v_bfe_u32 v13, v11, 16, 7
	v_mov_b32_e32 v118, 0x7fc02000
	s_mov_b32 s13, exec_lo
	s_delay_alu instid0(VALU_DEP_2)
	v_cmpx_ne_u32_e32 0x7f, v13
	s_cbranch_execz .LBB369_1671
; %bb.1668:                             ;   in Loop: Header=BB369_1055 Depth=1
	v_and_b32_e32 v0, 7, v128
	v_lshrrev_b32_e32 v118, 3, v13
	v_cmp_gt_u32_e64 s0, 8, v13
	s_delay_alu instid0(VALU_DEP_3) | instskip(NEXT) | instid1(VALU_DEP_2)
	v_dual_mov_b32 v14, v1 :: v_dual_mov_b32 v13, v0
	s_and_saveexec_b32 s15, s0
; %bb.1669:                             ;   in Loop: Header=BB369_1055 Depth=1
	v_clz_i32_u32_e32 v13, v0
	s_delay_alu instid0(VALU_DEP_1) | instskip(NEXT) | instid1(VALU_DEP_1)
	v_min_u32_e32 v118, 32, v13
	v_subrev_nc_u32_e32 v13, 28, v118
	v_sub_nc_u32_e32 v118, 29, v118
	s_delay_alu instid0(VALU_DEP_2) | instskip(NEXT) | instid1(VALU_DEP_1)
	v_lshlrev_b64 v[13:14], v13, v[0:1]
	v_and_b32_e32 v13, 7, v13
; %bb.1670:                             ;   in Loop: Header=BB369_1055 Depth=1
	s_or_b32 exec_lo, exec_lo, s15
	v_lshlrev_b32_e32 v0, 8, v128
	v_lshl_add_u32 v14, v118, 10, 0x2000
	s_delay_alu instid0(VALU_DEP_1) | instskip(NEXT) | instid1(VALU_DEP_1)
	v_and_or_b32 v0, 0x8000, v0, v14
	v_lshl_or_b32 v0, v13, 7, v0
	s_delay_alu instid0(VALU_DEP_1)
	v_cvt_f32_f16_e32 v118, v0
.LBB369_1671:                           ;   in Loop: Header=BB369_1055 Depth=1
	s_or_b32 exec_lo, exec_lo, s13
.LBB369_1672:                           ;   in Loop: Header=BB369_1055 Depth=1
	s_delay_alu instid0(SALU_CYCLE_1)
	s_or_b32 exec_lo, exec_lo, s12
.LBB369_1673:                           ;   in Loop: Header=BB369_1055 Depth=1
	s_delay_alu instid0(SALU_CYCLE_1) | instskip(NEXT) | instid1(SALU_CYCLE_1)
	s_or_b32 exec_lo, exec_lo, s10
	s_mov_b32 s10, exec_lo
	v_cmpx_lt_u32_e32 0xffffff, v11
	s_cbranch_execz .LBB369_1681
; %bb.1674:                             ;   in Loop: Header=BB369_1055 Depth=1
	v_lshrrev_b32_e32 v128, 24, v11
	v_bfrev_b32_e32 v119, 1
	s_mov_b32 s12, exec_lo
	s_delay_alu instid0(VALU_DEP_2)
	v_cmpx_ne_u32_e32 0x80, v128
	s_cbranch_execz .LBB369_1680
; %bb.1675:                             ;   in Loop: Header=BB369_1055 Depth=1
	v_and_b32_e32 v13, 0x7f, v128
	v_mov_b32_e32 v119, 0x7fc02000
	s_mov_b32 s13, exec_lo
	s_delay_alu instid0(VALU_DEP_2)
	v_cmpx_ne_u32_e32 0x7f, v13
	s_cbranch_execz .LBB369_1679
; %bb.1676:                             ;   in Loop: Header=BB369_1055 Depth=1
	v_and_b32_e32 v0, 7, v128
	v_lshrrev_b32_e32 v119, 3, v13
	v_cmp_gt_u32_e64 s0, 8, v13
	s_delay_alu instid0(VALU_DEP_3) | instskip(NEXT) | instid1(VALU_DEP_2)
	v_dual_mov_b32 v14, v1 :: v_dual_mov_b32 v13, v0
	s_and_saveexec_b32 s15, s0
; %bb.1677:                             ;   in Loop: Header=BB369_1055 Depth=1
	v_clz_i32_u32_e32 v13, v0
	s_delay_alu instid0(VALU_DEP_1) | instskip(NEXT) | instid1(VALU_DEP_1)
	v_min_u32_e32 v119, 32, v13
	v_subrev_nc_u32_e32 v13, 28, v119
	v_sub_nc_u32_e32 v119, 29, v119
	s_delay_alu instid0(VALU_DEP_2) | instskip(NEXT) | instid1(VALU_DEP_1)
	v_lshlrev_b64 v[13:14], v13, v[0:1]
	v_and_b32_e32 v13, 7, v13
; %bb.1678:                             ;   in Loop: Header=BB369_1055 Depth=1
	s_or_b32 exec_lo, exec_lo, s15
	v_lshlrev_b32_e32 v0, 8, v128
	v_lshl_add_u32 v14, v119, 10, 0x2000
	s_delay_alu instid0(VALU_DEP_1) | instskip(NEXT) | instid1(VALU_DEP_1)
	v_and_or_b32 v0, 0x8000, v0, v14
	v_lshl_or_b32 v0, v13, 7, v0
	s_delay_alu instid0(VALU_DEP_1)
	v_cvt_f32_f16_e32 v119, v0
.LBB369_1679:                           ;   in Loop: Header=BB369_1055 Depth=1
	s_or_b32 exec_lo, exec_lo, s13
.LBB369_1680:                           ;   in Loop: Header=BB369_1055 Depth=1
	s_delay_alu instid0(SALU_CYCLE_1)
	s_or_b32 exec_lo, exec_lo, s12
.LBB369_1681:                           ;   in Loop: Header=BB369_1055 Depth=1
	s_delay_alu instid0(SALU_CYCLE_1) | instskip(SKIP_3) | instid1(VALU_DEP_2)
	s_or_b32 exec_lo, exec_lo, s10
	v_dual_mov_b32 v0, v12 :: v_dual_and_b32 v13, 0xff, v12
	v_dual_mov_b32 v129, 0 :: v_dual_mov_b32 v128, 0
	s_mov_b32 s10, exec_lo
	v_cmpx_ne_u16_e32 0, v13
	s_cbranch_execz .LBB369_1689
; %bb.1682:                             ;   in Loop: Header=BB369_1055 Depth=1
	v_bfrev_b32_e32 v128, 1
	s_mov_b32 s12, exec_lo
	v_cmpx_ne_u16_e32 0x80, v13
	s_cbranch_execz .LBB369_1688
; %bb.1683:                             ;   in Loop: Header=BB369_1055 Depth=1
	v_and_b32_e32 v13, 0x7f, v12
	v_mov_b32_e32 v128, 0x7fc02000
	s_mov_b32 s13, exec_lo
	s_delay_alu instid0(VALU_DEP_2)
	v_cmpx_ne_u32_e32 0x7f, v13
	s_cbranch_execz .LBB369_1687
; %bb.1684:                             ;   in Loop: Header=BB369_1055 Depth=1
	v_lshrrev_b32_e32 v128, 3, v13
	v_cmp_gt_u32_e64 s0, 8, v13
	v_dual_mov_b32 v14, v1 :: v_dual_mov_b32 v13, v0
	s_delay_alu instid0(VALU_DEP_2)
	s_and_saveexec_b32 s15, s0
; %bb.1685:                             ;   in Loop: Header=BB369_1055 Depth=1
	v_and_b32_e32 v13, 7, v12
	s_delay_alu instid0(VALU_DEP_1) | instskip(NEXT) | instid1(VALU_DEP_1)
	v_clz_i32_u32_e32 v13, v13
	v_min_u32_e32 v128, 32, v13
	s_delay_alu instid0(VALU_DEP_1) | instskip(SKIP_1) | instid1(VALU_DEP_2)
	v_subrev_nc_u32_e32 v13, 28, v128
	v_sub_nc_u32_e32 v128, 29, v128
	v_lshlrev_b64 v[13:14], v13, v[0:1]
; %bb.1686:                             ;   in Loop: Header=BB369_1055 Depth=1
	s_or_b32 exec_lo, exec_lo, s15
	v_lshlrev_b32_e32 v14, 8, v12
	s_delay_alu instid0(VALU_DEP_3) | instskip(NEXT) | instid1(VALU_DEP_3)
	v_lshl_add_u32 v128, v128, 10, 0x2000
	v_lshlrev_b32_e32 v13, 7, v13
	s_delay_alu instid0(VALU_DEP_2) | instskip(NEXT) | instid1(VALU_DEP_1)
	v_and_or_b32 v14, 0x8000, v14, v128
	v_and_or_b32 v13, 0x380, v13, v14
	s_delay_alu instid0(VALU_DEP_1)
	v_cvt_f32_f16_e64 v128, v13
.LBB369_1687:                           ;   in Loop: Header=BB369_1055 Depth=1
	s_or_b32 exec_lo, exec_lo, s13
.LBB369_1688:                           ;   in Loop: Header=BB369_1055 Depth=1
	s_delay_alu instid0(SALU_CYCLE_1)
	s_or_b32 exec_lo, exec_lo, s12
.LBB369_1689:                           ;   in Loop: Header=BB369_1055 Depth=1
	s_delay_alu instid0(SALU_CYCLE_1) | instskip(SKIP_2) | instid1(VALU_DEP_1)
	s_or_b32 exec_lo, exec_lo, s10
	v_lshrrev_b16 v0, 8, v0
	s_mov_b32 s10, exec_lo
	v_cmpx_ne_u16_e32 0, v0
	s_cbranch_execz .LBB369_1697
; %bb.1690:                             ;   in Loop: Header=BB369_1055 Depth=1
	v_bfrev_b32_e32 v129, 1
	s_mov_b32 s12, exec_lo
	v_cmpx_ne_u16_e32 0x80, v0
	s_cbranch_execz .LBB369_1696
; %bb.1691:                             ;   in Loop: Header=BB369_1055 Depth=1
	v_and_b32_e32 v130, 0xffff, v0
	v_mov_b32_e32 v129, 0x7fc02000
	s_mov_b32 s13, exec_lo
	s_delay_alu instid0(VALU_DEP_2) | instskip(NEXT) | instid1(VALU_DEP_1)
	v_and_b32_e32 v13, 0x7f, v130
	v_cmpx_ne_u32_e32 0x7f, v13
	s_cbranch_execz .LBB369_1695
; %bb.1692:                             ;   in Loop: Header=BB369_1055 Depth=1
	v_and_b32_e32 v0, 7, v130
	v_lshrrev_b32_e32 v129, 3, v13
	v_cmp_gt_u32_e64 s0, 8, v13
	s_delay_alu instid0(VALU_DEP_3) | instskip(NEXT) | instid1(VALU_DEP_2)
	v_dual_mov_b32 v14, v1 :: v_dual_mov_b32 v13, v0
	s_and_saveexec_b32 s15, s0
; %bb.1693:                             ;   in Loop: Header=BB369_1055 Depth=1
	v_clz_i32_u32_e32 v13, v0
	s_delay_alu instid0(VALU_DEP_1) | instskip(NEXT) | instid1(VALU_DEP_1)
	v_min_u32_e32 v129, 32, v13
	v_subrev_nc_u32_e32 v13, 28, v129
	v_sub_nc_u32_e32 v129, 29, v129
	s_delay_alu instid0(VALU_DEP_2) | instskip(NEXT) | instid1(VALU_DEP_1)
	v_lshlrev_b64 v[13:14], v13, v[0:1]
	v_and_b32_e32 v13, 7, v13
; %bb.1694:                             ;   in Loop: Header=BB369_1055 Depth=1
	s_or_b32 exec_lo, exec_lo, s15
	v_lshlrev_b32_e32 v0, 8, v130
	v_lshl_add_u32 v14, v129, 10, 0x2000
	s_delay_alu instid0(VALU_DEP_1) | instskip(NEXT) | instid1(VALU_DEP_1)
	v_and_or_b32 v0, 0x8000, v0, v14
	v_lshl_or_b32 v0, v13, 7, v0
	s_delay_alu instid0(VALU_DEP_1)
	v_cvt_f32_f16_e64 v129, v0
.LBB369_1695:                           ;   in Loop: Header=BB369_1055 Depth=1
	s_or_b32 exec_lo, exec_lo, s13
.LBB369_1696:                           ;   in Loop: Header=BB369_1055 Depth=1
	s_delay_alu instid0(SALU_CYCLE_1)
	s_or_b32 exec_lo, exec_lo, s12
.LBB369_1697:                           ;   in Loop: Header=BB369_1055 Depth=1
	s_delay_alu instid0(SALU_CYCLE_1) | instskip(SKIP_3) | instid1(VALU_DEP_2)
	s_or_b32 exec_lo, exec_lo, s10
	v_lshrrev_b32_e32 v131, 16, v12
	v_mov_b32_e32 v130, 0
	s_mov_b32 s10, exec_lo
	v_dual_mov_b32 v13, 0 :: v_dual_and_b32 v0, 0xff, v131
	s_delay_alu instid0(VALU_DEP_1)
	v_cmpx_ne_u16_e32 0, v0
	s_cbranch_execz .LBB369_1705
; %bb.1698:                             ;   in Loop: Header=BB369_1055 Depth=1
	v_bfrev_b32_e32 v13, 1
	s_mov_b32 s12, exec_lo
	v_cmpx_ne_u16_e32 0x80, v0
	s_cbranch_execz .LBB369_1704
; %bb.1699:                             ;   in Loop: Header=BB369_1055 Depth=1
	v_bfe_u32 v14, v12, 16, 7
	v_mov_b32_e32 v13, 0x7fc02000
	s_mov_b32 s13, exec_lo
	s_delay_alu instid0(VALU_DEP_2)
	v_cmpx_ne_u32_e32 0x7f, v14
	s_cbranch_execz .LBB369_1703
; %bb.1700:                             ;   in Loop: Header=BB369_1055 Depth=1
	v_and_b32_e32 v0, 7, v131
	v_lshrrev_b32_e32 v132, 3, v14
	v_cmp_gt_u32_e64 s0, 8, v14
	s_delay_alu instid0(VALU_DEP_3) | instskip(NEXT) | instid1(VALU_DEP_2)
	v_dual_mov_b32 v14, v1 :: v_dual_mov_b32 v13, v0
	s_and_saveexec_b32 s15, s0
; %bb.1701:                             ;   in Loop: Header=BB369_1055 Depth=1
	v_clz_i32_u32_e32 v13, v0
	s_delay_alu instid0(VALU_DEP_1) | instskip(NEXT) | instid1(VALU_DEP_1)
	v_min_u32_e32 v132, 32, v13
	v_subrev_nc_u32_e32 v13, 28, v132
	v_sub_nc_u32_e32 v132, 29, v132
	s_delay_alu instid0(VALU_DEP_2) | instskip(NEXT) | instid1(VALU_DEP_1)
	v_lshlrev_b64 v[13:14], v13, v[0:1]
	v_and_b32_e32 v13, 7, v13
; %bb.1702:                             ;   in Loop: Header=BB369_1055 Depth=1
	s_or_b32 exec_lo, exec_lo, s15
	v_lshlrev_b32_e32 v0, 8, v131
	v_lshl_add_u32 v14, v132, 10, 0x2000
	s_delay_alu instid0(VALU_DEP_1) | instskip(NEXT) | instid1(VALU_DEP_1)
	v_and_or_b32 v0, 0x8000, v0, v14
	v_lshl_or_b32 v0, v13, 7, v0
	s_delay_alu instid0(VALU_DEP_1)
	v_cvt_f32_f16_e32 v13, v0
.LBB369_1703:                           ;   in Loop: Header=BB369_1055 Depth=1
	s_or_b32 exec_lo, exec_lo, s13
.LBB369_1704:                           ;   in Loop: Header=BB369_1055 Depth=1
	s_delay_alu instid0(SALU_CYCLE_1)
	s_or_b32 exec_lo, exec_lo, s12
.LBB369_1705:                           ;   in Loop: Header=BB369_1055 Depth=1
	s_delay_alu instid0(SALU_CYCLE_1) | instskip(NEXT) | instid1(SALU_CYCLE_1)
	s_or_b32 exec_lo, exec_lo, s10
	s_mov_b32 s10, exec_lo
	v_cmpx_lt_u64_e64 s[8:9], v[11:12]
	s_cbranch_execz .LBB369_1713
; %bb.1706:                             ;   in Loop: Header=BB369_1055 Depth=1
	v_lshrrev_b32_e32 v14, 24, v12
	v_bfrev_b32_e32 v130, 1
	s_mov_b32 s12, exec_lo
	s_delay_alu instid0(VALU_DEP_2)
	v_cmpx_ne_u32_e32 0x80, v14
	s_cbranch_execz .LBB369_1712
; %bb.1707:                             ;   in Loop: Header=BB369_1055 Depth=1
	v_and_b32_e32 v11, 0x7f, v14
	v_mov_b32_e32 v130, 0x7fc02000
	s_mov_b32 s13, exec_lo
	s_delay_alu instid0(VALU_DEP_2)
	v_cmpx_ne_u32_e32 0x7f, v11
	s_cbranch_execz .LBB369_1711
; %bb.1708:                             ;   in Loop: Header=BB369_1055 Depth=1
	v_and_b32_e32 v0, 7, v14
	v_lshrrev_b32_e32 v130, 3, v11
	v_cmp_gt_u32_e64 s0, 8, v11
	s_delay_alu instid0(VALU_DEP_3) | instskip(NEXT) | instid1(VALU_DEP_2)
	v_dual_mov_b32 v12, v1 :: v_dual_mov_b32 v11, v0
	s_and_saveexec_b32 s15, s0
; %bb.1709:                             ;   in Loop: Header=BB369_1055 Depth=1
	v_clz_i32_u32_e32 v11, v0
	s_delay_alu instid0(VALU_DEP_1) | instskip(NEXT) | instid1(VALU_DEP_1)
	v_min_u32_e32 v130, 32, v11
	v_subrev_nc_u32_e32 v11, 28, v130
	v_sub_nc_u32_e32 v130, 29, v130
	s_delay_alu instid0(VALU_DEP_2) | instskip(NEXT) | instid1(VALU_DEP_1)
	v_lshlrev_b64 v[11:12], v11, v[0:1]
	v_and_b32_e32 v11, 7, v11
; %bb.1710:                             ;   in Loop: Header=BB369_1055 Depth=1
	s_or_b32 exec_lo, exec_lo, s15
	v_lshlrev_b32_e32 v0, 8, v14
	v_lshl_add_u32 v12, v130, 10, 0x2000
	s_delay_alu instid0(VALU_DEP_1) | instskip(NEXT) | instid1(VALU_DEP_1)
	v_and_or_b32 v0, 0x8000, v0, v12
	v_lshl_or_b32 v0, v11, 7, v0
	s_delay_alu instid0(VALU_DEP_1)
	v_cvt_f32_f16_e64 v130, v0
.LBB369_1711:                           ;   in Loop: Header=BB369_1055 Depth=1
	s_or_b32 exec_lo, exec_lo, s13
.LBB369_1712:                           ;   in Loop: Header=BB369_1055 Depth=1
	s_delay_alu instid0(SALU_CYCLE_1)
	s_or_b32 exec_lo, exec_lo, s12
.LBB369_1713:                           ;   in Loop: Header=BB369_1055 Depth=1
	s_delay_alu instid0(SALU_CYCLE_1)
	s_or_b32 exec_lo, exec_lo, s10
	s_waitcnt vmcnt(0) lgkmcnt(0)
	v_fma_mixlo_f16 v12, v115, v117, 0
	v_fma_mixlo_f16 v0, v115, v119, 0
	;; [unrolled: 1-line block ×5, first 2 shown]
	v_lshlrev_b32_e32 v14, 16, v12
	v_fma_mixlo_f16 v118, v115, v128, 0
	v_fma_mixlo_f16 v119, v115, v130, 0
	;; [unrolled: 1-line block ×3, first 2 shown]
	v_lshlrev_b32_e32 v0, 16, v0
	v_and_b32_e32 v11, 0xffff, v11
	v_and_b32_e32 v115, 0xffff, v116
	v_lshlrev_b32_e32 v116, 16, v117
	v_and_b32_e32 v117, 0xffff, v118
	v_lshlrev_b32_e32 v118, 16, v119
	v_and_b32_e32 v119, 0xffff, v12
	v_or_b32_e32 v13, v0, v11
	v_or_b32_e32 v14, v14, v115
	;; [unrolled: 1-line block ×3, first 2 shown]
	s_delay_alu instid0(VALU_DEP_4)
	v_or_b32_e32 v11, v118, v119
	s_and_saveexec_b32 s10, vcc_lo
	s_cbranch_execz .LBB369_1715
; %bb.1714:                             ;   in Loop: Header=BB369_1055 Depth=1
	v_cmp_lt_i32_e64 s0, v15, v36
	v_lshrrev_b32_e32 v115, 16, v14
	v_lshrrev_b32_e32 v116, 16, v13
	;; [unrolled: 1-line block ×4, first 2 shown]
	v_cndmask_b32_e64 v14, 0, v14, s0
	v_cmp_lt_i32_e64 s0, v82, v48
	s_delay_alu instid0(VALU_DEP_1) | instskip(SKIP_1) | instid1(VALU_DEP_2)
	v_cndmask_b32_e64 v115, 0, v115, s0
	v_cmp_lt_i32_e64 s0, v81, v48
	v_perm_b32 v14, v115, v14, 0x5040100
	s_delay_alu instid0(VALU_DEP_2) | instskip(SKIP_1) | instid1(VALU_DEP_1)
	v_cndmask_b32_e64 v116, 0, v116, s0
	v_cmp_lt_i32_e64 s0, v70, v36
	v_cndmask_b32_e64 v13, 0, v13, s0
	v_cmp_lt_i32_e64 s0, v65, v48
	s_delay_alu instid0(VALU_DEP_2) | instskip(NEXT) | instid1(VALU_DEP_2)
	v_perm_b32 v13, v116, v13, 0x5040100
	v_cndmask_b32_e64 v117, 0, v117, s0
	v_cmp_lt_i32_e64 s0, v64, v36
	s_delay_alu instid0(VALU_DEP_1) | instskip(SKIP_1) | instid1(VALU_DEP_2)
	v_cndmask_b32_e64 v0, 0, v0, s0
	v_cmp_lt_i32_e64 s0, v38, v48
	v_perm_b32 v0, v117, v0, 0x5040100
	s_delay_alu instid0(VALU_DEP_2) | instskip(SKIP_1) | instid1(VALU_DEP_1)
	v_cndmask_b32_e64 v11, 0, v11, s0
	v_cmp_lt_i32_e64 s0, v17, v36
	v_cndmask_b32_e64 v12, 0, v12, s0
	s_delay_alu instid0(VALU_DEP_1)
	v_perm_b32 v11, v11, v12, 0x5040100
.LBB369_1715:                           ;   in Loop: Header=BB369_1055 Depth=1
	s_or_b32 exec_lo, exec_lo, s10
	;;#ASMSTART
	v_pk_mul_f16 v12, v80, v14;

	;;#ASMEND
	;;#ASMSTART
	v_pk_mul_f16 v13, v69, v13;

	;;#ASMEND
	;; [unrolled: 4-line block ×4, first 2 shown]
	;;#ASMSTART
	v_pk_add_f16 v12, v12, v13;

	;;#ASMEND
	;;#ASMSTART
	v_pk_add_f16 v0, v12, v0;

	;;#ASMEND
	;; [unrolled: 4-line block ×3, first 2 shown]
	v_dual_mov_b32 v118, 0 :: v_dual_and_b32 v11, 0xffff, v0
	v_lshrrev_b32_e32 v0, 16, v0
	;;#ASMSTART
	v_cvt_f32_f16 v115, v11;
	;;#ASMEND
	;;#ASMSTART
	v_cvt_f32_f16 v116, v0;
	;;#ASMEND
	flat_load_b64 v[11:12], v[9:10] offset:2560
	flat_load_b32 v117, v[26:27]
	s_mov_b32 s10, exec_lo
	s_waitcnt vmcnt(1) lgkmcnt(1)
	v_dual_mov_b32 v119, 0 :: v_dual_and_b32 v0, 0xff, v11
	s_delay_alu instid0(VALU_DEP_1)
	v_cmpx_ne_u16_e32 0, v0
	s_cbranch_execz .LBB369_1723
; %bb.1716:                             ;   in Loop: Header=BB369_1055 Depth=1
	v_bfrev_b32_e32 v118, 1
	s_mov_b32 s12, exec_lo
	v_cmpx_ne_u16_e32 0x80, v0
	s_cbranch_execz .LBB369_1722
; %bb.1717:                             ;   in Loop: Header=BB369_1055 Depth=1
	v_and_b32_e32 v13, 0x7f, v11
	v_mov_b32_e32 v118, 0x7fc02000
	s_mov_b32 s13, exec_lo
	s_delay_alu instid0(VALU_DEP_2)
	v_cmpx_ne_u32_e32 0x7f, v13
	s_cbranch_execz .LBB369_1721
; %bb.1718:                             ;   in Loop: Header=BB369_1055 Depth=1
	v_lshrrev_b32_e32 v0, 3, v13
	v_cmp_gt_u32_e64 s0, 8, v13
	v_dual_mov_b32 v14, v12 :: v_dual_mov_b32 v13, v11
	s_delay_alu instid0(VALU_DEP_2)
	s_and_saveexec_b32 s15, s0
; %bb.1719:                             ;   in Loop: Header=BB369_1055 Depth=1
	v_and_b32_e32 v0, 7, v11
	s_delay_alu instid0(VALU_DEP_1) | instskip(NEXT) | instid1(VALU_DEP_1)
	v_clz_i32_u32_e32 v0, v0
	v_min_u32_e32 v0, 32, v0
	s_delay_alu instid0(VALU_DEP_1) | instskip(SKIP_1) | instid1(VALU_DEP_2)
	v_subrev_nc_u32_e32 v13, 28, v0
	v_sub_nc_u32_e32 v0, 29, v0
	v_lshlrev_b64 v[13:14], v13, v[11:12]
; %bb.1720:                             ;   in Loop: Header=BB369_1055 Depth=1
	s_or_b32 exec_lo, exec_lo, s15
	v_lshlrev_b32_e32 v14, 8, v11
	s_delay_alu instid0(VALU_DEP_3) | instskip(NEXT) | instid1(VALU_DEP_3)
	v_lshl_add_u32 v0, v0, 10, 0x2000
	v_lshlrev_b32_e32 v13, 7, v13
	s_delay_alu instid0(VALU_DEP_2) | instskip(NEXT) | instid1(VALU_DEP_1)
	v_and_or_b32 v0, 0x8000, v14, v0
	v_and_or_b32 v0, 0x380, v13, v0
	s_delay_alu instid0(VALU_DEP_1)
	v_cvt_f32_f16_e32 v118, v0
.LBB369_1721:                           ;   in Loop: Header=BB369_1055 Depth=1
	s_or_b32 exec_lo, exec_lo, s13
.LBB369_1722:                           ;   in Loop: Header=BB369_1055 Depth=1
	s_delay_alu instid0(SALU_CYCLE_1)
	s_or_b32 exec_lo, exec_lo, s12
.LBB369_1723:                           ;   in Loop: Header=BB369_1055 Depth=1
	s_delay_alu instid0(SALU_CYCLE_1) | instskip(SKIP_2) | instid1(VALU_DEP_1)
	s_or_b32 exec_lo, exec_lo, s10
	v_lshrrev_b16 v0, 8, v11
	s_mov_b32 s10, exec_lo
	v_cmpx_ne_u16_e32 0, v0
	s_cbranch_execz .LBB369_1731
; %bb.1724:                             ;   in Loop: Header=BB369_1055 Depth=1
	v_bfrev_b32_e32 v119, 1
	s_mov_b32 s12, exec_lo
	v_cmpx_ne_u16_e32 0x80, v0
	s_cbranch_execz .LBB369_1730
; %bb.1725:                             ;   in Loop: Header=BB369_1055 Depth=1
	v_and_b32_e32 v128, 0xffff, v0
	v_mov_b32_e32 v119, 0x7fc02000
	s_mov_b32 s13, exec_lo
	s_delay_alu instid0(VALU_DEP_2) | instskip(NEXT) | instid1(VALU_DEP_1)
	v_and_b32_e32 v13, 0x7f, v128
	v_cmpx_ne_u32_e32 0x7f, v13
	s_cbranch_execz .LBB369_1729
; %bb.1726:                             ;   in Loop: Header=BB369_1055 Depth=1
	v_and_b32_e32 v0, 7, v128
	v_lshrrev_b32_e32 v119, 3, v13
	v_cmp_gt_u32_e64 s0, 8, v13
	s_delay_alu instid0(VALU_DEP_3) | instskip(NEXT) | instid1(VALU_DEP_2)
	v_dual_mov_b32 v14, v1 :: v_dual_mov_b32 v13, v0
	s_and_saveexec_b32 s15, s0
; %bb.1727:                             ;   in Loop: Header=BB369_1055 Depth=1
	v_clz_i32_u32_e32 v13, v0
	s_delay_alu instid0(VALU_DEP_1) | instskip(NEXT) | instid1(VALU_DEP_1)
	v_min_u32_e32 v119, 32, v13
	v_subrev_nc_u32_e32 v13, 28, v119
	v_sub_nc_u32_e32 v119, 29, v119
	s_delay_alu instid0(VALU_DEP_2) | instskip(NEXT) | instid1(VALU_DEP_1)
	v_lshlrev_b64 v[13:14], v13, v[0:1]
	v_and_b32_e32 v13, 7, v13
; %bb.1728:                             ;   in Loop: Header=BB369_1055 Depth=1
	s_or_b32 exec_lo, exec_lo, s15
	v_lshlrev_b32_e32 v0, 8, v128
	v_lshl_add_u32 v14, v119, 10, 0x2000
	s_delay_alu instid0(VALU_DEP_1) | instskip(NEXT) | instid1(VALU_DEP_1)
	v_and_or_b32 v0, 0x8000, v0, v14
	v_lshl_or_b32 v0, v13, 7, v0
	s_delay_alu instid0(VALU_DEP_1)
	v_cvt_f32_f16_e32 v119, v0
.LBB369_1729:                           ;   in Loop: Header=BB369_1055 Depth=1
	s_or_b32 exec_lo, exec_lo, s13
.LBB369_1730:                           ;   in Loop: Header=BB369_1055 Depth=1
	s_delay_alu instid0(SALU_CYCLE_1)
	s_or_b32 exec_lo, exec_lo, s12
.LBB369_1731:                           ;   in Loop: Header=BB369_1055 Depth=1
	s_delay_alu instid0(SALU_CYCLE_1) | instskip(SKIP_3) | instid1(VALU_DEP_2)
	s_or_b32 exec_lo, exec_lo, s10
	v_lshrrev_b32_e32 v130, 16, v11
	v_mov_b32_e32 v128, 0
	s_mov_b32 s10, exec_lo
	v_dual_mov_b32 v129, 0 :: v_dual_and_b32 v0, 0xff, v130
	s_delay_alu instid0(VALU_DEP_1)
	v_cmpx_ne_u16_e32 0, v0
	s_cbranch_execz .LBB369_1739
; %bb.1732:                             ;   in Loop: Header=BB369_1055 Depth=1
	v_bfrev_b32_e32 v128, 1
	s_mov_b32 s12, exec_lo
	v_cmpx_ne_u16_e32 0x80, v0
	s_cbranch_execz .LBB369_1738
; %bb.1733:                             ;   in Loop: Header=BB369_1055 Depth=1
	v_bfe_u32 v13, v11, 16, 7
	v_mov_b32_e32 v128, 0x7fc02000
	s_mov_b32 s13, exec_lo
	s_delay_alu instid0(VALU_DEP_2)
	v_cmpx_ne_u32_e32 0x7f, v13
	s_cbranch_execz .LBB369_1737
; %bb.1734:                             ;   in Loop: Header=BB369_1055 Depth=1
	v_and_b32_e32 v0, 7, v130
	v_lshrrev_b32_e32 v128, 3, v13
	v_cmp_gt_u32_e64 s0, 8, v13
	s_delay_alu instid0(VALU_DEP_3) | instskip(NEXT) | instid1(VALU_DEP_2)
	v_dual_mov_b32 v14, v1 :: v_dual_mov_b32 v13, v0
	s_and_saveexec_b32 s15, s0
; %bb.1735:                             ;   in Loop: Header=BB369_1055 Depth=1
	v_clz_i32_u32_e32 v13, v0
	s_delay_alu instid0(VALU_DEP_1) | instskip(NEXT) | instid1(VALU_DEP_1)
	v_min_u32_e32 v128, 32, v13
	v_subrev_nc_u32_e32 v13, 28, v128
	v_sub_nc_u32_e32 v128, 29, v128
	s_delay_alu instid0(VALU_DEP_2) | instskip(NEXT) | instid1(VALU_DEP_1)
	v_lshlrev_b64 v[13:14], v13, v[0:1]
	v_and_b32_e32 v13, 7, v13
; %bb.1736:                             ;   in Loop: Header=BB369_1055 Depth=1
	s_or_b32 exec_lo, exec_lo, s15
	v_lshlrev_b32_e32 v0, 8, v130
	v_lshl_add_u32 v14, v128, 10, 0x2000
	s_delay_alu instid0(VALU_DEP_1) | instskip(NEXT) | instid1(VALU_DEP_1)
	v_and_or_b32 v0, 0x8000, v0, v14
	v_lshl_or_b32 v0, v13, 7, v0
	s_delay_alu instid0(VALU_DEP_1)
	v_cvt_f32_f16_e64 v128, v0
.LBB369_1737:                           ;   in Loop: Header=BB369_1055 Depth=1
	s_or_b32 exec_lo, exec_lo, s13
.LBB369_1738:                           ;   in Loop: Header=BB369_1055 Depth=1
	s_delay_alu instid0(SALU_CYCLE_1)
	s_or_b32 exec_lo, exec_lo, s12
.LBB369_1739:                           ;   in Loop: Header=BB369_1055 Depth=1
	s_delay_alu instid0(SALU_CYCLE_1) | instskip(NEXT) | instid1(SALU_CYCLE_1)
	s_or_b32 exec_lo, exec_lo, s10
	s_mov_b32 s10, exec_lo
	v_cmpx_lt_u32_e32 0xffffff, v11
	s_cbranch_execz .LBB369_1747
; %bb.1740:                             ;   in Loop: Header=BB369_1055 Depth=1
	v_lshrrev_b32_e32 v130, 24, v11
	v_bfrev_b32_e32 v129, 1
	s_mov_b32 s12, exec_lo
	s_delay_alu instid0(VALU_DEP_2)
	v_cmpx_ne_u32_e32 0x80, v130
	s_cbranch_execz .LBB369_1746
; %bb.1741:                             ;   in Loop: Header=BB369_1055 Depth=1
	v_and_b32_e32 v13, 0x7f, v130
	v_mov_b32_e32 v129, 0x7fc02000
	s_mov_b32 s13, exec_lo
	s_delay_alu instid0(VALU_DEP_2)
	v_cmpx_ne_u32_e32 0x7f, v13
	s_cbranch_execz .LBB369_1745
; %bb.1742:                             ;   in Loop: Header=BB369_1055 Depth=1
	v_and_b32_e32 v0, 7, v130
	v_lshrrev_b32_e32 v129, 3, v13
	v_cmp_gt_u32_e64 s0, 8, v13
	s_delay_alu instid0(VALU_DEP_3) | instskip(NEXT) | instid1(VALU_DEP_2)
	v_dual_mov_b32 v14, v1 :: v_dual_mov_b32 v13, v0
	s_and_saveexec_b32 s15, s0
; %bb.1743:                             ;   in Loop: Header=BB369_1055 Depth=1
	v_clz_i32_u32_e32 v13, v0
	s_delay_alu instid0(VALU_DEP_1) | instskip(NEXT) | instid1(VALU_DEP_1)
	v_min_u32_e32 v129, 32, v13
	v_subrev_nc_u32_e32 v13, 28, v129
	v_sub_nc_u32_e32 v129, 29, v129
	s_delay_alu instid0(VALU_DEP_2) | instskip(NEXT) | instid1(VALU_DEP_1)
	v_lshlrev_b64 v[13:14], v13, v[0:1]
	v_and_b32_e32 v13, 7, v13
; %bb.1744:                             ;   in Loop: Header=BB369_1055 Depth=1
	s_or_b32 exec_lo, exec_lo, s15
	v_lshlrev_b32_e32 v0, 8, v130
	v_lshl_add_u32 v14, v129, 10, 0x2000
	s_delay_alu instid0(VALU_DEP_1) | instskip(NEXT) | instid1(VALU_DEP_1)
	v_and_or_b32 v0, 0x8000, v0, v14
	v_lshl_or_b32 v0, v13, 7, v0
	s_delay_alu instid0(VALU_DEP_1)
	v_cvt_f32_f16_e64 v129, v0
.LBB369_1745:                           ;   in Loop: Header=BB369_1055 Depth=1
	s_or_b32 exec_lo, exec_lo, s13
.LBB369_1746:                           ;   in Loop: Header=BB369_1055 Depth=1
	s_delay_alu instid0(SALU_CYCLE_1)
	s_or_b32 exec_lo, exec_lo, s12
.LBB369_1747:                           ;   in Loop: Header=BB369_1055 Depth=1
	s_delay_alu instid0(SALU_CYCLE_1) | instskip(SKIP_3) | instid1(VALU_DEP_2)
	s_or_b32 exec_lo, exec_lo, s10
	v_dual_mov_b32 v0, v12 :: v_dual_and_b32 v13, 0xff, v12
	v_dual_mov_b32 v131, 0 :: v_dual_mov_b32 v130, 0
	s_mov_b32 s10, exec_lo
	v_cmpx_ne_u16_e32 0, v13
	s_cbranch_execz .LBB369_1755
; %bb.1748:                             ;   in Loop: Header=BB369_1055 Depth=1
	v_bfrev_b32_e32 v130, 1
	s_mov_b32 s12, exec_lo
	v_cmpx_ne_u16_e32 0x80, v13
	s_cbranch_execz .LBB369_1754
; %bb.1749:                             ;   in Loop: Header=BB369_1055 Depth=1
	v_and_b32_e32 v13, 0x7f, v12
	v_mov_b32_e32 v130, 0x7fc02000
	s_mov_b32 s13, exec_lo
	s_delay_alu instid0(VALU_DEP_2)
	v_cmpx_ne_u32_e32 0x7f, v13
	s_cbranch_execz .LBB369_1753
; %bb.1750:                             ;   in Loop: Header=BB369_1055 Depth=1
	v_lshrrev_b32_e32 v130, 3, v13
	v_cmp_gt_u32_e64 s0, 8, v13
	v_dual_mov_b32 v14, v1 :: v_dual_mov_b32 v13, v0
	s_delay_alu instid0(VALU_DEP_2)
	s_and_saveexec_b32 s15, s0
; %bb.1751:                             ;   in Loop: Header=BB369_1055 Depth=1
	v_and_b32_e32 v13, 7, v12
	s_delay_alu instid0(VALU_DEP_1) | instskip(NEXT) | instid1(VALU_DEP_1)
	v_clz_i32_u32_e32 v13, v13
	v_min_u32_e32 v130, 32, v13
	s_delay_alu instid0(VALU_DEP_1) | instskip(SKIP_1) | instid1(VALU_DEP_2)
	v_subrev_nc_u32_e32 v13, 28, v130
	v_sub_nc_u32_e32 v130, 29, v130
	v_lshlrev_b64 v[13:14], v13, v[0:1]
; %bb.1752:                             ;   in Loop: Header=BB369_1055 Depth=1
	s_or_b32 exec_lo, exec_lo, s15
	v_lshlrev_b32_e32 v14, 8, v12
	s_delay_alu instid0(VALU_DEP_3) | instskip(NEXT) | instid1(VALU_DEP_3)
	v_lshl_add_u32 v130, v130, 10, 0x2000
	v_lshlrev_b32_e32 v13, 7, v13
	s_delay_alu instid0(VALU_DEP_2) | instskip(NEXT) | instid1(VALU_DEP_1)
	v_and_or_b32 v14, 0x8000, v14, v130
	v_and_or_b32 v13, 0x380, v13, v14
	s_delay_alu instid0(VALU_DEP_1)
	v_cvt_f32_f16_e64 v130, v13
.LBB369_1753:                           ;   in Loop: Header=BB369_1055 Depth=1
	s_or_b32 exec_lo, exec_lo, s13
.LBB369_1754:                           ;   in Loop: Header=BB369_1055 Depth=1
	s_delay_alu instid0(SALU_CYCLE_1)
	s_or_b32 exec_lo, exec_lo, s12
.LBB369_1755:                           ;   in Loop: Header=BB369_1055 Depth=1
	s_delay_alu instid0(SALU_CYCLE_1) | instskip(SKIP_2) | instid1(VALU_DEP_1)
	s_or_b32 exec_lo, exec_lo, s10
	v_lshrrev_b16 v0, 8, v0
	s_mov_b32 s10, exec_lo
	v_cmpx_ne_u16_e32 0, v0
	s_cbranch_execz .LBB369_1763
; %bb.1756:                             ;   in Loop: Header=BB369_1055 Depth=1
	v_bfrev_b32_e32 v131, 1
	s_mov_b32 s12, exec_lo
	v_cmpx_ne_u16_e32 0x80, v0
	s_cbranch_execz .LBB369_1762
; %bb.1757:                             ;   in Loop: Header=BB369_1055 Depth=1
	v_and_b32_e32 v132, 0xffff, v0
	v_mov_b32_e32 v131, 0x7fc02000
	s_mov_b32 s13, exec_lo
	s_delay_alu instid0(VALU_DEP_2) | instskip(NEXT) | instid1(VALU_DEP_1)
	v_and_b32_e32 v13, 0x7f, v132
	v_cmpx_ne_u32_e32 0x7f, v13
	s_cbranch_execz .LBB369_1761
; %bb.1758:                             ;   in Loop: Header=BB369_1055 Depth=1
	v_and_b32_e32 v0, 7, v132
	v_lshrrev_b32_e32 v131, 3, v13
	v_cmp_gt_u32_e64 s0, 8, v13
	s_delay_alu instid0(VALU_DEP_3) | instskip(NEXT) | instid1(VALU_DEP_2)
	v_dual_mov_b32 v14, v1 :: v_dual_mov_b32 v13, v0
	s_and_saveexec_b32 s15, s0
; %bb.1759:                             ;   in Loop: Header=BB369_1055 Depth=1
	v_clz_i32_u32_e32 v13, v0
	s_delay_alu instid0(VALU_DEP_1) | instskip(NEXT) | instid1(VALU_DEP_1)
	v_min_u32_e32 v131, 32, v13
	v_subrev_nc_u32_e32 v13, 28, v131
	v_sub_nc_u32_e32 v131, 29, v131
	s_delay_alu instid0(VALU_DEP_2) | instskip(NEXT) | instid1(VALU_DEP_1)
	v_lshlrev_b64 v[13:14], v13, v[0:1]
	v_and_b32_e32 v13, 7, v13
; %bb.1760:                             ;   in Loop: Header=BB369_1055 Depth=1
	s_or_b32 exec_lo, exec_lo, s15
	v_lshlrev_b32_e32 v0, 8, v132
	v_lshl_add_u32 v14, v131, 10, 0x2000
	s_delay_alu instid0(VALU_DEP_1) | instskip(NEXT) | instid1(VALU_DEP_1)
	v_and_or_b32 v0, 0x8000, v0, v14
	v_lshl_or_b32 v0, v13, 7, v0
	s_delay_alu instid0(VALU_DEP_1)
	v_cvt_f32_f16_e64 v131, v0
.LBB369_1761:                           ;   in Loop: Header=BB369_1055 Depth=1
	s_or_b32 exec_lo, exec_lo, s13
.LBB369_1762:                           ;   in Loop: Header=BB369_1055 Depth=1
	s_delay_alu instid0(SALU_CYCLE_1)
	s_or_b32 exec_lo, exec_lo, s12
.LBB369_1763:                           ;   in Loop: Header=BB369_1055 Depth=1
	s_delay_alu instid0(SALU_CYCLE_1) | instskip(SKIP_3) | instid1(VALU_DEP_2)
	s_or_b32 exec_lo, exec_lo, s10
	v_lshrrev_b32_e32 v133, 16, v12
	v_mov_b32_e32 v132, 0
	s_mov_b32 s10, exec_lo
	v_dual_mov_b32 v13, 0 :: v_dual_and_b32 v0, 0xff, v133
	s_delay_alu instid0(VALU_DEP_1)
	v_cmpx_ne_u16_e32 0, v0
	s_cbranch_execz .LBB369_1771
; %bb.1764:                             ;   in Loop: Header=BB369_1055 Depth=1
	v_bfrev_b32_e32 v13, 1
	s_mov_b32 s12, exec_lo
	v_cmpx_ne_u16_e32 0x80, v0
	s_cbranch_execz .LBB369_1770
; %bb.1765:                             ;   in Loop: Header=BB369_1055 Depth=1
	v_bfe_u32 v14, v12, 16, 7
	v_mov_b32_e32 v13, 0x7fc02000
	s_mov_b32 s13, exec_lo
	s_delay_alu instid0(VALU_DEP_2)
	v_cmpx_ne_u32_e32 0x7f, v14
	s_cbranch_execz .LBB369_1769
; %bb.1766:                             ;   in Loop: Header=BB369_1055 Depth=1
	v_and_b32_e32 v0, 7, v133
	v_lshrrev_b32_e32 v134, 3, v14
	v_cmp_gt_u32_e64 s0, 8, v14
	s_delay_alu instid0(VALU_DEP_3) | instskip(NEXT) | instid1(VALU_DEP_2)
	v_dual_mov_b32 v14, v1 :: v_dual_mov_b32 v13, v0
	s_and_saveexec_b32 s15, s0
; %bb.1767:                             ;   in Loop: Header=BB369_1055 Depth=1
	v_clz_i32_u32_e32 v13, v0
	s_delay_alu instid0(VALU_DEP_1) | instskip(NEXT) | instid1(VALU_DEP_1)
	v_min_u32_e32 v134, 32, v13
	v_subrev_nc_u32_e32 v13, 28, v134
	v_sub_nc_u32_e32 v134, 29, v134
	s_delay_alu instid0(VALU_DEP_2) | instskip(NEXT) | instid1(VALU_DEP_1)
	v_lshlrev_b64 v[13:14], v13, v[0:1]
	v_and_b32_e32 v13, 7, v13
; %bb.1768:                             ;   in Loop: Header=BB369_1055 Depth=1
	s_or_b32 exec_lo, exec_lo, s15
	v_lshlrev_b32_e32 v0, 8, v133
	v_lshl_add_u32 v14, v134, 10, 0x2000
	s_delay_alu instid0(VALU_DEP_1) | instskip(NEXT) | instid1(VALU_DEP_1)
	v_and_or_b32 v0, 0x8000, v0, v14
	v_lshl_or_b32 v0, v13, 7, v0
	s_delay_alu instid0(VALU_DEP_1)
	v_cvt_f32_f16_e32 v13, v0
.LBB369_1769:                           ;   in Loop: Header=BB369_1055 Depth=1
	s_or_b32 exec_lo, exec_lo, s13
.LBB369_1770:                           ;   in Loop: Header=BB369_1055 Depth=1
	s_delay_alu instid0(SALU_CYCLE_1)
	s_or_b32 exec_lo, exec_lo, s12
.LBB369_1771:                           ;   in Loop: Header=BB369_1055 Depth=1
	s_delay_alu instid0(SALU_CYCLE_1) | instskip(NEXT) | instid1(SALU_CYCLE_1)
	s_or_b32 exec_lo, exec_lo, s10
	s_mov_b32 s10, exec_lo
	v_cmpx_lt_u64_e64 s[8:9], v[11:12]
	s_cbranch_execz .LBB369_1779
; %bb.1772:                             ;   in Loop: Header=BB369_1055 Depth=1
	v_lshrrev_b32_e32 v14, 24, v12
	v_bfrev_b32_e32 v132, 1
	s_mov_b32 s12, exec_lo
	s_delay_alu instid0(VALU_DEP_2)
	v_cmpx_ne_u32_e32 0x80, v14
	s_cbranch_execz .LBB369_1778
; %bb.1773:                             ;   in Loop: Header=BB369_1055 Depth=1
	v_and_b32_e32 v11, 0x7f, v14
	v_mov_b32_e32 v132, 0x7fc02000
	s_mov_b32 s13, exec_lo
	s_delay_alu instid0(VALU_DEP_2)
	v_cmpx_ne_u32_e32 0x7f, v11
	s_cbranch_execz .LBB369_1777
; %bb.1774:                             ;   in Loop: Header=BB369_1055 Depth=1
	v_and_b32_e32 v0, 7, v14
	v_lshrrev_b32_e32 v132, 3, v11
	v_cmp_gt_u32_e64 s0, 8, v11
	s_delay_alu instid0(VALU_DEP_3) | instskip(NEXT) | instid1(VALU_DEP_2)
	v_dual_mov_b32 v12, v1 :: v_dual_mov_b32 v11, v0
	s_and_saveexec_b32 s15, s0
; %bb.1775:                             ;   in Loop: Header=BB369_1055 Depth=1
	v_clz_i32_u32_e32 v11, v0
	s_delay_alu instid0(VALU_DEP_1) | instskip(NEXT) | instid1(VALU_DEP_1)
	v_min_u32_e32 v132, 32, v11
	v_subrev_nc_u32_e32 v11, 28, v132
	v_sub_nc_u32_e32 v132, 29, v132
	s_delay_alu instid0(VALU_DEP_2) | instskip(NEXT) | instid1(VALU_DEP_1)
	v_lshlrev_b64 v[11:12], v11, v[0:1]
	v_and_b32_e32 v11, 7, v11
; %bb.1776:                             ;   in Loop: Header=BB369_1055 Depth=1
	s_or_b32 exec_lo, exec_lo, s15
	v_lshlrev_b32_e32 v0, 8, v14
	v_lshl_add_u32 v12, v132, 10, 0x2000
	s_delay_alu instid0(VALU_DEP_1) | instskip(NEXT) | instid1(VALU_DEP_1)
	v_and_or_b32 v0, 0x8000, v0, v12
	v_lshl_or_b32 v0, v11, 7, v0
	s_delay_alu instid0(VALU_DEP_1)
	v_cvt_f32_f16_e64 v132, v0
.LBB369_1777:                           ;   in Loop: Header=BB369_1055 Depth=1
	s_or_b32 exec_lo, exec_lo, s13
.LBB369_1778:                           ;   in Loop: Header=BB369_1055 Depth=1
	s_delay_alu instid0(SALU_CYCLE_1)
	s_or_b32 exec_lo, exec_lo, s12
.LBB369_1779:                           ;   in Loop: Header=BB369_1055 Depth=1
	s_delay_alu instid0(SALU_CYCLE_1)
	s_or_b32 exec_lo, exec_lo, s10
	s_waitcnt vmcnt(0) lgkmcnt(0)
	v_fma_mixlo_f16 v12, v117, v119, 0
	v_fma_mixlo_f16 v0, v117, v129, 0
	;; [unrolled: 1-line block ×5, first 2 shown]
	v_lshlrev_b32_e32 v14, 16, v12
	v_fma_mixlo_f16 v128, v117, v130, 0
	v_fma_mixlo_f16 v129, v117, v132, 0
	;; [unrolled: 1-line block ×3, first 2 shown]
	v_lshlrev_b32_e32 v0, 16, v0
	v_and_b32_e32 v11, 0xffff, v11
	v_and_b32_e32 v117, 0xffff, v118
	v_lshlrev_b32_e32 v118, 16, v119
	v_and_b32_e32 v119, 0xffff, v128
	v_lshlrev_b32_e32 v128, 16, v129
	v_and_b32_e32 v129, 0xffff, v12
	v_or_b32_e32 v13, v0, v11
	v_or_b32_e32 v14, v14, v117
	;; [unrolled: 1-line block ×3, first 2 shown]
	s_delay_alu instid0(VALU_DEP_4)
	v_or_b32_e32 v11, v128, v129
	s_and_saveexec_b32 s10, vcc_lo
	s_cbranch_execz .LBB369_1781
; %bb.1780:                             ;   in Loop: Header=BB369_1055 Depth=1
	v_cmp_lt_i32_e64 s0, v15, v36
	v_lshrrev_b32_e32 v117, 16, v14
	v_lshrrev_b32_e32 v118, 16, v13
	;; [unrolled: 1-line block ×4, first 2 shown]
	v_cndmask_b32_e64 v14, 0, v14, s0
	v_cmp_lt_i32_e64 s0, v82, v48
	s_delay_alu instid0(VALU_DEP_1) | instskip(SKIP_1) | instid1(VALU_DEP_2)
	v_cndmask_b32_e64 v117, 0, v117, s0
	v_cmp_lt_i32_e64 s0, v81, v48
	v_perm_b32 v14, v117, v14, 0x5040100
	s_delay_alu instid0(VALU_DEP_2) | instskip(SKIP_1) | instid1(VALU_DEP_1)
	v_cndmask_b32_e64 v118, 0, v118, s0
	v_cmp_lt_i32_e64 s0, v70, v36
	v_cndmask_b32_e64 v13, 0, v13, s0
	v_cmp_lt_i32_e64 s0, v65, v48
	s_delay_alu instid0(VALU_DEP_2) | instskip(NEXT) | instid1(VALU_DEP_2)
	v_perm_b32 v13, v118, v13, 0x5040100
	v_cndmask_b32_e64 v119, 0, v119, s0
	v_cmp_lt_i32_e64 s0, v64, v36
	s_delay_alu instid0(VALU_DEP_1) | instskip(SKIP_1) | instid1(VALU_DEP_2)
	v_cndmask_b32_e64 v0, 0, v0, s0
	v_cmp_lt_i32_e64 s0, v38, v48
	v_perm_b32 v0, v119, v0, 0x5040100
	s_delay_alu instid0(VALU_DEP_2) | instskip(SKIP_1) | instid1(VALU_DEP_1)
	v_cndmask_b32_e64 v11, 0, v11, s0
	v_cmp_lt_i32_e64 s0, v17, v36
	v_cndmask_b32_e64 v12, 0, v12, s0
	s_delay_alu instid0(VALU_DEP_1)
	v_perm_b32 v11, v11, v12, 0x5040100
.LBB369_1781:                           ;   in Loop: Header=BB369_1055 Depth=1
	s_or_b32 exec_lo, exec_lo, s10
	;;#ASMSTART
	v_pk_mul_f16 v12, v80, v14;

	;;#ASMEND
	;;#ASMSTART
	v_pk_mul_f16 v13, v69, v13;

	;;#ASMEND
	;; [unrolled: 4-line block ×4, first 2 shown]
	;;#ASMSTART
	v_pk_add_f16 v12, v12, v13;

	;;#ASMEND
	;;#ASMSTART
	v_pk_add_f16 v0, v12, v0;

	;;#ASMEND
	;; [unrolled: 4-line block ×3, first 2 shown]
	v_dual_mov_b32 v128, 0 :: v_dual_and_b32 v11, 0xffff, v0
	v_lshrrev_b32_e32 v0, 16, v0
	;;#ASMSTART
	v_cvt_f32_f16 v117, v11;
	;;#ASMEND
	;;#ASMSTART
	v_cvt_f32_f16 v118, v0;
	;;#ASMEND
	flat_load_b64 v[11:12], v[9:10] offset:2816
	flat_load_b32 v119, v[26:27]
	s_mov_b32 s10, exec_lo
	s_waitcnt vmcnt(1) lgkmcnt(1)
	v_dual_mov_b32 v129, 0 :: v_dual_and_b32 v0, 0xff, v11
	s_delay_alu instid0(VALU_DEP_1)
	v_cmpx_ne_u16_e32 0, v0
	s_cbranch_execz .LBB369_1789
; %bb.1782:                             ;   in Loop: Header=BB369_1055 Depth=1
	v_bfrev_b32_e32 v128, 1
	s_mov_b32 s12, exec_lo
	v_cmpx_ne_u16_e32 0x80, v0
	s_cbranch_execz .LBB369_1788
; %bb.1783:                             ;   in Loop: Header=BB369_1055 Depth=1
	v_and_b32_e32 v13, 0x7f, v11
	v_mov_b32_e32 v128, 0x7fc02000
	s_mov_b32 s13, exec_lo
	s_delay_alu instid0(VALU_DEP_2)
	v_cmpx_ne_u32_e32 0x7f, v13
	s_cbranch_execz .LBB369_1787
; %bb.1784:                             ;   in Loop: Header=BB369_1055 Depth=1
	v_lshrrev_b32_e32 v0, 3, v13
	v_cmp_gt_u32_e64 s0, 8, v13
	v_dual_mov_b32 v14, v12 :: v_dual_mov_b32 v13, v11
	s_delay_alu instid0(VALU_DEP_2)
	s_and_saveexec_b32 s15, s0
; %bb.1785:                             ;   in Loop: Header=BB369_1055 Depth=1
	v_and_b32_e32 v0, 7, v11
	s_delay_alu instid0(VALU_DEP_1) | instskip(NEXT) | instid1(VALU_DEP_1)
	v_clz_i32_u32_e32 v0, v0
	v_min_u32_e32 v0, 32, v0
	s_delay_alu instid0(VALU_DEP_1) | instskip(SKIP_1) | instid1(VALU_DEP_2)
	v_subrev_nc_u32_e32 v13, 28, v0
	v_sub_nc_u32_e32 v0, 29, v0
	v_lshlrev_b64 v[13:14], v13, v[11:12]
; %bb.1786:                             ;   in Loop: Header=BB369_1055 Depth=1
	s_or_b32 exec_lo, exec_lo, s15
	v_lshlrev_b32_e32 v14, 8, v11
	s_delay_alu instid0(VALU_DEP_3) | instskip(NEXT) | instid1(VALU_DEP_3)
	v_lshl_add_u32 v0, v0, 10, 0x2000
	v_lshlrev_b32_e32 v13, 7, v13
	s_delay_alu instid0(VALU_DEP_2) | instskip(NEXT) | instid1(VALU_DEP_1)
	v_and_or_b32 v0, 0x8000, v14, v0
	v_and_or_b32 v0, 0x380, v13, v0
	s_delay_alu instid0(VALU_DEP_1)
	v_cvt_f32_f16_e64 v128, v0
.LBB369_1787:                           ;   in Loop: Header=BB369_1055 Depth=1
	s_or_b32 exec_lo, exec_lo, s13
.LBB369_1788:                           ;   in Loop: Header=BB369_1055 Depth=1
	s_delay_alu instid0(SALU_CYCLE_1)
	s_or_b32 exec_lo, exec_lo, s12
.LBB369_1789:                           ;   in Loop: Header=BB369_1055 Depth=1
	s_delay_alu instid0(SALU_CYCLE_1) | instskip(SKIP_2) | instid1(VALU_DEP_1)
	s_or_b32 exec_lo, exec_lo, s10
	v_lshrrev_b16 v0, 8, v11
	s_mov_b32 s10, exec_lo
	v_cmpx_ne_u16_e32 0, v0
	s_cbranch_execz .LBB369_1797
; %bb.1790:                             ;   in Loop: Header=BB369_1055 Depth=1
	v_bfrev_b32_e32 v129, 1
	s_mov_b32 s12, exec_lo
	v_cmpx_ne_u16_e32 0x80, v0
	s_cbranch_execz .LBB369_1796
; %bb.1791:                             ;   in Loop: Header=BB369_1055 Depth=1
	v_and_b32_e32 v130, 0xffff, v0
	v_mov_b32_e32 v129, 0x7fc02000
	s_mov_b32 s13, exec_lo
	s_delay_alu instid0(VALU_DEP_2) | instskip(NEXT) | instid1(VALU_DEP_1)
	v_and_b32_e32 v13, 0x7f, v130
	v_cmpx_ne_u32_e32 0x7f, v13
	s_cbranch_execz .LBB369_1795
; %bb.1792:                             ;   in Loop: Header=BB369_1055 Depth=1
	v_and_b32_e32 v0, 7, v130
	v_lshrrev_b32_e32 v129, 3, v13
	v_cmp_gt_u32_e64 s0, 8, v13
	s_delay_alu instid0(VALU_DEP_3) | instskip(NEXT) | instid1(VALU_DEP_2)
	v_dual_mov_b32 v14, v1 :: v_dual_mov_b32 v13, v0
	s_and_saveexec_b32 s15, s0
; %bb.1793:                             ;   in Loop: Header=BB369_1055 Depth=1
	v_clz_i32_u32_e32 v13, v0
	s_delay_alu instid0(VALU_DEP_1) | instskip(NEXT) | instid1(VALU_DEP_1)
	v_min_u32_e32 v129, 32, v13
	v_subrev_nc_u32_e32 v13, 28, v129
	v_sub_nc_u32_e32 v129, 29, v129
	s_delay_alu instid0(VALU_DEP_2) | instskip(NEXT) | instid1(VALU_DEP_1)
	v_lshlrev_b64 v[13:14], v13, v[0:1]
	v_and_b32_e32 v13, 7, v13
; %bb.1794:                             ;   in Loop: Header=BB369_1055 Depth=1
	s_or_b32 exec_lo, exec_lo, s15
	v_lshlrev_b32_e32 v0, 8, v130
	v_lshl_add_u32 v14, v129, 10, 0x2000
	s_delay_alu instid0(VALU_DEP_1) | instskip(NEXT) | instid1(VALU_DEP_1)
	v_and_or_b32 v0, 0x8000, v0, v14
	v_lshl_or_b32 v0, v13, 7, v0
	s_delay_alu instid0(VALU_DEP_1)
	v_cvt_f32_f16_e64 v129, v0
.LBB369_1795:                           ;   in Loop: Header=BB369_1055 Depth=1
	s_or_b32 exec_lo, exec_lo, s13
.LBB369_1796:                           ;   in Loop: Header=BB369_1055 Depth=1
	s_delay_alu instid0(SALU_CYCLE_1)
	s_or_b32 exec_lo, exec_lo, s12
.LBB369_1797:                           ;   in Loop: Header=BB369_1055 Depth=1
	s_delay_alu instid0(SALU_CYCLE_1) | instskip(SKIP_3) | instid1(VALU_DEP_2)
	s_or_b32 exec_lo, exec_lo, s10
	v_lshrrev_b32_e32 v132, 16, v11
	v_mov_b32_e32 v130, 0
	s_mov_b32 s10, exec_lo
	v_dual_mov_b32 v131, 0 :: v_dual_and_b32 v0, 0xff, v132
	s_delay_alu instid0(VALU_DEP_1)
	v_cmpx_ne_u16_e32 0, v0
	s_cbranch_execz .LBB369_1805
; %bb.1798:                             ;   in Loop: Header=BB369_1055 Depth=1
	v_bfrev_b32_e32 v130, 1
	s_mov_b32 s12, exec_lo
	v_cmpx_ne_u16_e32 0x80, v0
	s_cbranch_execz .LBB369_1804
; %bb.1799:                             ;   in Loop: Header=BB369_1055 Depth=1
	v_bfe_u32 v13, v11, 16, 7
	v_mov_b32_e32 v130, 0x7fc02000
	s_mov_b32 s13, exec_lo
	s_delay_alu instid0(VALU_DEP_2)
	v_cmpx_ne_u32_e32 0x7f, v13
	s_cbranch_execz .LBB369_1803
; %bb.1800:                             ;   in Loop: Header=BB369_1055 Depth=1
	v_and_b32_e32 v0, 7, v132
	v_lshrrev_b32_e32 v130, 3, v13
	v_cmp_gt_u32_e64 s0, 8, v13
	s_delay_alu instid0(VALU_DEP_3) | instskip(NEXT) | instid1(VALU_DEP_2)
	v_dual_mov_b32 v14, v1 :: v_dual_mov_b32 v13, v0
	s_and_saveexec_b32 s15, s0
; %bb.1801:                             ;   in Loop: Header=BB369_1055 Depth=1
	v_clz_i32_u32_e32 v13, v0
	s_delay_alu instid0(VALU_DEP_1) | instskip(NEXT) | instid1(VALU_DEP_1)
	v_min_u32_e32 v130, 32, v13
	v_subrev_nc_u32_e32 v13, 28, v130
	v_sub_nc_u32_e32 v130, 29, v130
	s_delay_alu instid0(VALU_DEP_2) | instskip(NEXT) | instid1(VALU_DEP_1)
	v_lshlrev_b64 v[13:14], v13, v[0:1]
	v_and_b32_e32 v13, 7, v13
; %bb.1802:                             ;   in Loop: Header=BB369_1055 Depth=1
	s_or_b32 exec_lo, exec_lo, s15
	v_lshlrev_b32_e32 v0, 8, v132
	v_lshl_add_u32 v14, v130, 10, 0x2000
	s_delay_alu instid0(VALU_DEP_1) | instskip(NEXT) | instid1(VALU_DEP_1)
	v_and_or_b32 v0, 0x8000, v0, v14
	v_lshl_or_b32 v0, v13, 7, v0
	s_delay_alu instid0(VALU_DEP_1)
	v_cvt_f32_f16_e64 v130, v0
.LBB369_1803:                           ;   in Loop: Header=BB369_1055 Depth=1
	s_or_b32 exec_lo, exec_lo, s13
.LBB369_1804:                           ;   in Loop: Header=BB369_1055 Depth=1
	s_delay_alu instid0(SALU_CYCLE_1)
	s_or_b32 exec_lo, exec_lo, s12
.LBB369_1805:                           ;   in Loop: Header=BB369_1055 Depth=1
	s_delay_alu instid0(SALU_CYCLE_1) | instskip(NEXT) | instid1(SALU_CYCLE_1)
	s_or_b32 exec_lo, exec_lo, s10
	s_mov_b32 s10, exec_lo
	v_cmpx_lt_u32_e32 0xffffff, v11
	s_cbranch_execz .LBB369_1813
; %bb.1806:                             ;   in Loop: Header=BB369_1055 Depth=1
	v_lshrrev_b32_e32 v132, 24, v11
	v_bfrev_b32_e32 v131, 1
	s_mov_b32 s12, exec_lo
	s_delay_alu instid0(VALU_DEP_2)
	v_cmpx_ne_u32_e32 0x80, v132
	s_cbranch_execz .LBB369_1812
; %bb.1807:                             ;   in Loop: Header=BB369_1055 Depth=1
	v_and_b32_e32 v13, 0x7f, v132
	v_mov_b32_e32 v131, 0x7fc02000
	s_mov_b32 s13, exec_lo
	s_delay_alu instid0(VALU_DEP_2)
	v_cmpx_ne_u32_e32 0x7f, v13
	s_cbranch_execz .LBB369_1811
; %bb.1808:                             ;   in Loop: Header=BB369_1055 Depth=1
	v_and_b32_e32 v0, 7, v132
	v_lshrrev_b32_e32 v131, 3, v13
	v_cmp_gt_u32_e64 s0, 8, v13
	s_delay_alu instid0(VALU_DEP_3) | instskip(NEXT) | instid1(VALU_DEP_2)
	v_dual_mov_b32 v14, v1 :: v_dual_mov_b32 v13, v0
	s_and_saveexec_b32 s15, s0
; %bb.1809:                             ;   in Loop: Header=BB369_1055 Depth=1
	v_clz_i32_u32_e32 v13, v0
	s_delay_alu instid0(VALU_DEP_1) | instskip(NEXT) | instid1(VALU_DEP_1)
	v_min_u32_e32 v131, 32, v13
	v_subrev_nc_u32_e32 v13, 28, v131
	v_sub_nc_u32_e32 v131, 29, v131
	s_delay_alu instid0(VALU_DEP_2) | instskip(NEXT) | instid1(VALU_DEP_1)
	v_lshlrev_b64 v[13:14], v13, v[0:1]
	v_and_b32_e32 v13, 7, v13
; %bb.1810:                             ;   in Loop: Header=BB369_1055 Depth=1
	s_or_b32 exec_lo, exec_lo, s15
	v_lshlrev_b32_e32 v0, 8, v132
	v_lshl_add_u32 v14, v131, 10, 0x2000
	s_delay_alu instid0(VALU_DEP_1) | instskip(NEXT) | instid1(VALU_DEP_1)
	v_and_or_b32 v0, 0x8000, v0, v14
	v_lshl_or_b32 v0, v13, 7, v0
	s_delay_alu instid0(VALU_DEP_1)
	v_cvt_f32_f16_e64 v131, v0
.LBB369_1811:                           ;   in Loop: Header=BB369_1055 Depth=1
	s_or_b32 exec_lo, exec_lo, s13
.LBB369_1812:                           ;   in Loop: Header=BB369_1055 Depth=1
	s_delay_alu instid0(SALU_CYCLE_1)
	s_or_b32 exec_lo, exec_lo, s12
.LBB369_1813:                           ;   in Loop: Header=BB369_1055 Depth=1
	s_delay_alu instid0(SALU_CYCLE_1) | instskip(SKIP_3) | instid1(VALU_DEP_2)
	s_or_b32 exec_lo, exec_lo, s10
	v_dual_mov_b32 v0, v12 :: v_dual_and_b32 v13, 0xff, v12
	v_dual_mov_b32 v133, 0 :: v_dual_mov_b32 v132, 0
	s_mov_b32 s10, exec_lo
	v_cmpx_ne_u16_e32 0, v13
	s_cbranch_execz .LBB369_1821
; %bb.1814:                             ;   in Loop: Header=BB369_1055 Depth=1
	v_bfrev_b32_e32 v132, 1
	s_mov_b32 s12, exec_lo
	v_cmpx_ne_u16_e32 0x80, v13
	s_cbranch_execz .LBB369_1820
; %bb.1815:                             ;   in Loop: Header=BB369_1055 Depth=1
	v_and_b32_e32 v13, 0x7f, v12
	v_mov_b32_e32 v132, 0x7fc02000
	s_mov_b32 s13, exec_lo
	s_delay_alu instid0(VALU_DEP_2)
	v_cmpx_ne_u32_e32 0x7f, v13
	s_cbranch_execz .LBB369_1819
; %bb.1816:                             ;   in Loop: Header=BB369_1055 Depth=1
	v_lshrrev_b32_e32 v132, 3, v13
	v_cmp_gt_u32_e64 s0, 8, v13
	v_dual_mov_b32 v14, v1 :: v_dual_mov_b32 v13, v0
	s_delay_alu instid0(VALU_DEP_2)
	s_and_saveexec_b32 s15, s0
; %bb.1817:                             ;   in Loop: Header=BB369_1055 Depth=1
	v_and_b32_e32 v13, 7, v12
	s_delay_alu instid0(VALU_DEP_1) | instskip(NEXT) | instid1(VALU_DEP_1)
	v_clz_i32_u32_e32 v13, v13
	v_min_u32_e32 v132, 32, v13
	s_delay_alu instid0(VALU_DEP_1) | instskip(SKIP_1) | instid1(VALU_DEP_2)
	v_subrev_nc_u32_e32 v13, 28, v132
	v_sub_nc_u32_e32 v132, 29, v132
	v_lshlrev_b64 v[13:14], v13, v[0:1]
; %bb.1818:                             ;   in Loop: Header=BB369_1055 Depth=1
	s_or_b32 exec_lo, exec_lo, s15
	v_lshlrev_b32_e32 v14, 8, v12
	s_delay_alu instid0(VALU_DEP_3) | instskip(NEXT) | instid1(VALU_DEP_3)
	v_lshl_add_u32 v132, v132, 10, 0x2000
	v_lshlrev_b32_e32 v13, 7, v13
	s_delay_alu instid0(VALU_DEP_2) | instskip(NEXT) | instid1(VALU_DEP_1)
	v_and_or_b32 v14, 0x8000, v14, v132
	v_and_or_b32 v13, 0x380, v13, v14
	s_delay_alu instid0(VALU_DEP_1)
	v_cvt_f32_f16_e64 v132, v13
.LBB369_1819:                           ;   in Loop: Header=BB369_1055 Depth=1
	s_or_b32 exec_lo, exec_lo, s13
.LBB369_1820:                           ;   in Loop: Header=BB369_1055 Depth=1
	s_delay_alu instid0(SALU_CYCLE_1)
	s_or_b32 exec_lo, exec_lo, s12
.LBB369_1821:                           ;   in Loop: Header=BB369_1055 Depth=1
	s_delay_alu instid0(SALU_CYCLE_1) | instskip(SKIP_2) | instid1(VALU_DEP_1)
	s_or_b32 exec_lo, exec_lo, s10
	v_lshrrev_b16 v0, 8, v0
	s_mov_b32 s10, exec_lo
	v_cmpx_ne_u16_e32 0, v0
	s_cbranch_execz .LBB369_1829
; %bb.1822:                             ;   in Loop: Header=BB369_1055 Depth=1
	v_bfrev_b32_e32 v133, 1
	s_mov_b32 s12, exec_lo
	v_cmpx_ne_u16_e32 0x80, v0
	s_cbranch_execz .LBB369_1828
; %bb.1823:                             ;   in Loop: Header=BB369_1055 Depth=1
	v_and_b32_e32 v134, 0xffff, v0
	v_mov_b32_e32 v133, 0x7fc02000
	s_mov_b32 s13, exec_lo
	s_delay_alu instid0(VALU_DEP_2) | instskip(NEXT) | instid1(VALU_DEP_1)
	v_and_b32_e32 v13, 0x7f, v134
	v_cmpx_ne_u32_e32 0x7f, v13
	s_cbranch_execz .LBB369_1827
; %bb.1824:                             ;   in Loop: Header=BB369_1055 Depth=1
	v_and_b32_e32 v0, 7, v134
	v_lshrrev_b32_e32 v133, 3, v13
	v_cmp_gt_u32_e64 s0, 8, v13
	s_delay_alu instid0(VALU_DEP_3) | instskip(NEXT) | instid1(VALU_DEP_2)
	v_dual_mov_b32 v14, v1 :: v_dual_mov_b32 v13, v0
	s_and_saveexec_b32 s15, s0
; %bb.1825:                             ;   in Loop: Header=BB369_1055 Depth=1
	v_clz_i32_u32_e32 v13, v0
	s_delay_alu instid0(VALU_DEP_1) | instskip(NEXT) | instid1(VALU_DEP_1)
	v_min_u32_e32 v133, 32, v13
	v_subrev_nc_u32_e32 v13, 28, v133
	v_sub_nc_u32_e32 v133, 29, v133
	s_delay_alu instid0(VALU_DEP_2) | instskip(NEXT) | instid1(VALU_DEP_1)
	v_lshlrev_b64 v[13:14], v13, v[0:1]
	v_and_b32_e32 v13, 7, v13
; %bb.1826:                             ;   in Loop: Header=BB369_1055 Depth=1
	s_or_b32 exec_lo, exec_lo, s15
	v_lshlrev_b32_e32 v0, 8, v134
	v_lshl_add_u32 v14, v133, 10, 0x2000
	s_delay_alu instid0(VALU_DEP_1) | instskip(NEXT) | instid1(VALU_DEP_1)
	v_and_or_b32 v0, 0x8000, v0, v14
	v_lshl_or_b32 v0, v13, 7, v0
	s_delay_alu instid0(VALU_DEP_1)
	v_cvt_f32_f16_e64 v133, v0
.LBB369_1827:                           ;   in Loop: Header=BB369_1055 Depth=1
	s_or_b32 exec_lo, exec_lo, s13
.LBB369_1828:                           ;   in Loop: Header=BB369_1055 Depth=1
	s_delay_alu instid0(SALU_CYCLE_1)
	s_or_b32 exec_lo, exec_lo, s12
.LBB369_1829:                           ;   in Loop: Header=BB369_1055 Depth=1
	s_delay_alu instid0(SALU_CYCLE_1) | instskip(SKIP_3) | instid1(VALU_DEP_2)
	s_or_b32 exec_lo, exec_lo, s10
	v_lshrrev_b32_e32 v135, 16, v12
	v_mov_b32_e32 v134, 0
	s_mov_b32 s10, exec_lo
	v_dual_mov_b32 v13, 0 :: v_dual_and_b32 v0, 0xff, v135
	s_delay_alu instid0(VALU_DEP_1)
	v_cmpx_ne_u16_e32 0, v0
	s_cbranch_execz .LBB369_1837
; %bb.1830:                             ;   in Loop: Header=BB369_1055 Depth=1
	v_bfrev_b32_e32 v13, 1
	s_mov_b32 s12, exec_lo
	v_cmpx_ne_u16_e32 0x80, v0
	s_cbranch_execz .LBB369_1836
; %bb.1831:                             ;   in Loop: Header=BB369_1055 Depth=1
	v_bfe_u32 v14, v12, 16, 7
	v_mov_b32_e32 v13, 0x7fc02000
	s_mov_b32 s13, exec_lo
	s_delay_alu instid0(VALU_DEP_2)
	v_cmpx_ne_u32_e32 0x7f, v14
	s_cbranch_execz .LBB369_1835
; %bb.1832:                             ;   in Loop: Header=BB369_1055 Depth=1
	v_and_b32_e32 v0, 7, v135
	v_lshrrev_b32_e32 v144, 3, v14
	v_cmp_gt_u32_e64 s0, 8, v14
	s_delay_alu instid0(VALU_DEP_3) | instskip(NEXT) | instid1(VALU_DEP_2)
	v_dual_mov_b32 v14, v1 :: v_dual_mov_b32 v13, v0
	s_and_saveexec_b32 s15, s0
; %bb.1833:                             ;   in Loop: Header=BB369_1055 Depth=1
	v_clz_i32_u32_e32 v13, v0
	s_delay_alu instid0(VALU_DEP_1) | instskip(NEXT) | instid1(VALU_DEP_1)
	v_min_u32_e32 v144, 32, v13
	v_subrev_nc_u32_e32 v13, 28, v144
	v_sub_nc_u32_e32 v144, 29, v144
	s_delay_alu instid0(VALU_DEP_2) | instskip(NEXT) | instid1(VALU_DEP_1)
	v_lshlrev_b64 v[13:14], v13, v[0:1]
	v_and_b32_e32 v13, 7, v13
; %bb.1834:                             ;   in Loop: Header=BB369_1055 Depth=1
	s_or_b32 exec_lo, exec_lo, s15
	v_lshlrev_b32_e32 v0, 8, v135
	v_lshl_add_u32 v14, v144, 10, 0x2000
	s_delay_alu instid0(VALU_DEP_1) | instskip(NEXT) | instid1(VALU_DEP_1)
	v_and_or_b32 v0, 0x8000, v0, v14
	v_lshl_or_b32 v0, v13, 7, v0
	s_delay_alu instid0(VALU_DEP_1)
	v_cvt_f32_f16_e32 v13, v0
.LBB369_1835:                           ;   in Loop: Header=BB369_1055 Depth=1
	s_or_b32 exec_lo, exec_lo, s13
.LBB369_1836:                           ;   in Loop: Header=BB369_1055 Depth=1
	s_delay_alu instid0(SALU_CYCLE_1)
	s_or_b32 exec_lo, exec_lo, s12
.LBB369_1837:                           ;   in Loop: Header=BB369_1055 Depth=1
	s_delay_alu instid0(SALU_CYCLE_1) | instskip(NEXT) | instid1(SALU_CYCLE_1)
	s_or_b32 exec_lo, exec_lo, s10
	s_mov_b32 s10, exec_lo
	v_cmpx_lt_u64_e64 s[8:9], v[11:12]
	s_cbranch_execz .LBB369_1845
; %bb.1838:                             ;   in Loop: Header=BB369_1055 Depth=1
	v_lshrrev_b32_e32 v14, 24, v12
	v_bfrev_b32_e32 v134, 1
	s_mov_b32 s12, exec_lo
	s_delay_alu instid0(VALU_DEP_2)
	v_cmpx_ne_u32_e32 0x80, v14
	s_cbranch_execz .LBB369_1844
; %bb.1839:                             ;   in Loop: Header=BB369_1055 Depth=1
	v_and_b32_e32 v11, 0x7f, v14
	v_mov_b32_e32 v134, 0x7fc02000
	s_mov_b32 s13, exec_lo
	s_delay_alu instid0(VALU_DEP_2)
	v_cmpx_ne_u32_e32 0x7f, v11
	s_cbranch_execz .LBB369_1843
; %bb.1840:                             ;   in Loop: Header=BB369_1055 Depth=1
	v_and_b32_e32 v0, 7, v14
	v_lshrrev_b32_e32 v134, 3, v11
	v_cmp_gt_u32_e64 s0, 8, v11
	s_delay_alu instid0(VALU_DEP_3) | instskip(NEXT) | instid1(VALU_DEP_2)
	v_dual_mov_b32 v12, v1 :: v_dual_mov_b32 v11, v0
	s_and_saveexec_b32 s15, s0
; %bb.1841:                             ;   in Loop: Header=BB369_1055 Depth=1
	v_clz_i32_u32_e32 v11, v0
	s_delay_alu instid0(VALU_DEP_1) | instskip(NEXT) | instid1(VALU_DEP_1)
	v_min_u32_e32 v134, 32, v11
	v_subrev_nc_u32_e32 v11, 28, v134
	v_sub_nc_u32_e32 v134, 29, v134
	s_delay_alu instid0(VALU_DEP_2) | instskip(NEXT) | instid1(VALU_DEP_1)
	v_lshlrev_b64 v[11:12], v11, v[0:1]
	v_and_b32_e32 v11, 7, v11
; %bb.1842:                             ;   in Loop: Header=BB369_1055 Depth=1
	s_or_b32 exec_lo, exec_lo, s15
	v_lshlrev_b32_e32 v0, 8, v14
	v_lshl_add_u32 v12, v134, 10, 0x2000
	s_delay_alu instid0(VALU_DEP_1) | instskip(NEXT) | instid1(VALU_DEP_1)
	v_and_or_b32 v0, 0x8000, v0, v12
	v_lshl_or_b32 v0, v11, 7, v0
	s_delay_alu instid0(VALU_DEP_1)
	v_cvt_f32_f16_e64 v134, v0
.LBB369_1843:                           ;   in Loop: Header=BB369_1055 Depth=1
	s_or_b32 exec_lo, exec_lo, s13
.LBB369_1844:                           ;   in Loop: Header=BB369_1055 Depth=1
	s_delay_alu instid0(SALU_CYCLE_1)
	s_or_b32 exec_lo, exec_lo, s12
.LBB369_1845:                           ;   in Loop: Header=BB369_1055 Depth=1
	s_delay_alu instid0(SALU_CYCLE_1)
	s_or_b32 exec_lo, exec_lo, s10
	s_waitcnt vmcnt(0) lgkmcnt(0)
	v_fma_mixlo_f16 v12, v119, v129, 0
	v_fma_mixlo_f16 v0, v119, v131, 0
	;; [unrolled: 1-line block ×5, first 2 shown]
	v_lshlrev_b32_e32 v14, 16, v12
	v_fma_mixlo_f16 v130, v119, v132, 0
	v_fma_mixlo_f16 v131, v119, v134, 0
	v_fma_mixlo_f16 v12, v119, v13, 0
	v_lshlrev_b32_e32 v0, 16, v0
	v_and_b32_e32 v11, 0xffff, v11
	v_and_b32_e32 v119, 0xffff, v128
	v_lshlrev_b32_e32 v128, 16, v129
	v_and_b32_e32 v129, 0xffff, v130
	v_lshlrev_b32_e32 v130, 16, v131
	v_and_b32_e32 v131, 0xffff, v12
	v_or_b32_e32 v13, v0, v11
	v_or_b32_e32 v14, v14, v119
	;; [unrolled: 1-line block ×3, first 2 shown]
	s_delay_alu instid0(VALU_DEP_4)
	v_or_b32_e32 v11, v130, v131
	s_and_saveexec_b32 s10, vcc_lo
	s_cbranch_execz .LBB369_1847
; %bb.1846:                             ;   in Loop: Header=BB369_1055 Depth=1
	v_cmp_lt_i32_e64 s0, v15, v36
	v_lshrrev_b32_e32 v119, 16, v14
	v_lshrrev_b32_e32 v128, 16, v13
	;; [unrolled: 1-line block ×4, first 2 shown]
	v_cndmask_b32_e64 v14, 0, v14, s0
	v_cmp_lt_i32_e64 s0, v82, v48
	s_delay_alu instid0(VALU_DEP_1) | instskip(SKIP_1) | instid1(VALU_DEP_2)
	v_cndmask_b32_e64 v119, 0, v119, s0
	v_cmp_lt_i32_e64 s0, v81, v48
	v_perm_b32 v14, v119, v14, 0x5040100
	s_delay_alu instid0(VALU_DEP_2) | instskip(SKIP_1) | instid1(VALU_DEP_1)
	v_cndmask_b32_e64 v128, 0, v128, s0
	v_cmp_lt_i32_e64 s0, v70, v36
	v_cndmask_b32_e64 v13, 0, v13, s0
	v_cmp_lt_i32_e64 s0, v65, v48
	s_delay_alu instid0(VALU_DEP_2) | instskip(NEXT) | instid1(VALU_DEP_2)
	v_perm_b32 v13, v128, v13, 0x5040100
	v_cndmask_b32_e64 v129, 0, v129, s0
	v_cmp_lt_i32_e64 s0, v64, v36
	s_delay_alu instid0(VALU_DEP_1) | instskip(SKIP_1) | instid1(VALU_DEP_2)
	v_cndmask_b32_e64 v0, 0, v0, s0
	v_cmp_lt_i32_e64 s0, v38, v48
	v_perm_b32 v0, v129, v0, 0x5040100
	s_delay_alu instid0(VALU_DEP_2) | instskip(SKIP_1) | instid1(VALU_DEP_1)
	v_cndmask_b32_e64 v11, 0, v11, s0
	v_cmp_lt_i32_e64 s0, v17, v36
	v_cndmask_b32_e64 v12, 0, v12, s0
	s_delay_alu instid0(VALU_DEP_1)
	v_perm_b32 v11, v11, v12, 0x5040100
.LBB369_1847:                           ;   in Loop: Header=BB369_1055 Depth=1
	s_or_b32 exec_lo, exec_lo, s10
	;;#ASMSTART
	v_pk_mul_f16 v12, v80, v14;

	;;#ASMEND
	;;#ASMSTART
	v_pk_mul_f16 v13, v69, v13;

	;;#ASMEND
	;; [unrolled: 4-line block ×4, first 2 shown]
	;;#ASMSTART
	v_pk_add_f16 v12, v12, v13;

	;;#ASMEND
	;;#ASMSTART
	v_pk_add_f16 v0, v12, v0;

	;;#ASMEND
	;;#ASMSTART
	v_pk_add_f16 v0, v0, v11;

	;;#ASMEND
	v_dual_mov_b32 v130, 0 :: v_dual_and_b32 v11, 0xffff, v0
	v_lshrrev_b32_e32 v0, 16, v0
	;;#ASMSTART
	v_cvt_f32_f16 v119, v11;
	;;#ASMEND
	;;#ASMSTART
	v_cvt_f32_f16 v128, v0;
	;;#ASMEND
	flat_load_b64 v[11:12], v[9:10] offset:3072
	flat_load_b32 v129, v[26:27]
	s_mov_b32 s10, exec_lo
	s_waitcnt vmcnt(1) lgkmcnt(1)
	v_dual_mov_b32 v131, 0 :: v_dual_and_b32 v0, 0xff, v11
	s_delay_alu instid0(VALU_DEP_1)
	v_cmpx_ne_u16_e32 0, v0
	s_cbranch_execz .LBB369_1855
; %bb.1848:                             ;   in Loop: Header=BB369_1055 Depth=1
	v_bfrev_b32_e32 v130, 1
	s_mov_b32 s12, exec_lo
	v_cmpx_ne_u16_e32 0x80, v0
	s_cbranch_execz .LBB369_1854
; %bb.1849:                             ;   in Loop: Header=BB369_1055 Depth=1
	v_and_b32_e32 v13, 0x7f, v11
	v_mov_b32_e32 v130, 0x7fc02000
	s_mov_b32 s13, exec_lo
	s_delay_alu instid0(VALU_DEP_2)
	v_cmpx_ne_u32_e32 0x7f, v13
	s_cbranch_execz .LBB369_1853
; %bb.1850:                             ;   in Loop: Header=BB369_1055 Depth=1
	v_lshrrev_b32_e32 v0, 3, v13
	v_cmp_gt_u32_e64 s0, 8, v13
	v_dual_mov_b32 v14, v12 :: v_dual_mov_b32 v13, v11
	s_delay_alu instid0(VALU_DEP_2)
	s_and_saveexec_b32 s15, s0
; %bb.1851:                             ;   in Loop: Header=BB369_1055 Depth=1
	v_and_b32_e32 v0, 7, v11
	s_delay_alu instid0(VALU_DEP_1) | instskip(NEXT) | instid1(VALU_DEP_1)
	v_clz_i32_u32_e32 v0, v0
	v_min_u32_e32 v0, 32, v0
	s_delay_alu instid0(VALU_DEP_1) | instskip(SKIP_1) | instid1(VALU_DEP_2)
	v_subrev_nc_u32_e32 v13, 28, v0
	v_sub_nc_u32_e32 v0, 29, v0
	v_lshlrev_b64 v[13:14], v13, v[11:12]
; %bb.1852:                             ;   in Loop: Header=BB369_1055 Depth=1
	s_or_b32 exec_lo, exec_lo, s15
	v_lshlrev_b32_e32 v14, 8, v11
	s_delay_alu instid0(VALU_DEP_3) | instskip(NEXT) | instid1(VALU_DEP_3)
	v_lshl_add_u32 v0, v0, 10, 0x2000
	v_lshlrev_b32_e32 v13, 7, v13
	s_delay_alu instid0(VALU_DEP_2) | instskip(NEXT) | instid1(VALU_DEP_1)
	v_and_or_b32 v0, 0x8000, v14, v0
	v_and_or_b32 v0, 0x380, v13, v0
	s_delay_alu instid0(VALU_DEP_1)
	v_cvt_f32_f16_e64 v130, v0
.LBB369_1853:                           ;   in Loop: Header=BB369_1055 Depth=1
	s_or_b32 exec_lo, exec_lo, s13
.LBB369_1854:                           ;   in Loop: Header=BB369_1055 Depth=1
	s_delay_alu instid0(SALU_CYCLE_1)
	s_or_b32 exec_lo, exec_lo, s12
.LBB369_1855:                           ;   in Loop: Header=BB369_1055 Depth=1
	s_delay_alu instid0(SALU_CYCLE_1) | instskip(SKIP_2) | instid1(VALU_DEP_1)
	s_or_b32 exec_lo, exec_lo, s10
	v_lshrrev_b16 v0, 8, v11
	s_mov_b32 s10, exec_lo
	v_cmpx_ne_u16_e32 0, v0
	s_cbranch_execz .LBB369_1863
; %bb.1856:                             ;   in Loop: Header=BB369_1055 Depth=1
	v_bfrev_b32_e32 v131, 1
	s_mov_b32 s12, exec_lo
	v_cmpx_ne_u16_e32 0x80, v0
	s_cbranch_execz .LBB369_1862
; %bb.1857:                             ;   in Loop: Header=BB369_1055 Depth=1
	v_and_b32_e32 v132, 0xffff, v0
	v_mov_b32_e32 v131, 0x7fc02000
	s_mov_b32 s13, exec_lo
	s_delay_alu instid0(VALU_DEP_2) | instskip(NEXT) | instid1(VALU_DEP_1)
	v_and_b32_e32 v13, 0x7f, v132
	v_cmpx_ne_u32_e32 0x7f, v13
	s_cbranch_execz .LBB369_1861
; %bb.1858:                             ;   in Loop: Header=BB369_1055 Depth=1
	v_and_b32_e32 v0, 7, v132
	v_lshrrev_b32_e32 v131, 3, v13
	v_cmp_gt_u32_e64 s0, 8, v13
	s_delay_alu instid0(VALU_DEP_3) | instskip(NEXT) | instid1(VALU_DEP_2)
	v_dual_mov_b32 v14, v1 :: v_dual_mov_b32 v13, v0
	s_and_saveexec_b32 s15, s0
; %bb.1859:                             ;   in Loop: Header=BB369_1055 Depth=1
	v_clz_i32_u32_e32 v13, v0
	s_delay_alu instid0(VALU_DEP_1) | instskip(NEXT) | instid1(VALU_DEP_1)
	v_min_u32_e32 v131, 32, v13
	v_subrev_nc_u32_e32 v13, 28, v131
	v_sub_nc_u32_e32 v131, 29, v131
	s_delay_alu instid0(VALU_DEP_2) | instskip(NEXT) | instid1(VALU_DEP_1)
	v_lshlrev_b64 v[13:14], v13, v[0:1]
	v_and_b32_e32 v13, 7, v13
; %bb.1860:                             ;   in Loop: Header=BB369_1055 Depth=1
	s_or_b32 exec_lo, exec_lo, s15
	v_lshlrev_b32_e32 v0, 8, v132
	v_lshl_add_u32 v14, v131, 10, 0x2000
	s_delay_alu instid0(VALU_DEP_1) | instskip(NEXT) | instid1(VALU_DEP_1)
	v_and_or_b32 v0, 0x8000, v0, v14
	v_lshl_or_b32 v0, v13, 7, v0
	s_delay_alu instid0(VALU_DEP_1)
	v_cvt_f32_f16_e64 v131, v0
.LBB369_1861:                           ;   in Loop: Header=BB369_1055 Depth=1
	s_or_b32 exec_lo, exec_lo, s13
.LBB369_1862:                           ;   in Loop: Header=BB369_1055 Depth=1
	s_delay_alu instid0(SALU_CYCLE_1)
	s_or_b32 exec_lo, exec_lo, s12
.LBB369_1863:                           ;   in Loop: Header=BB369_1055 Depth=1
	s_delay_alu instid0(SALU_CYCLE_1) | instskip(SKIP_3) | instid1(VALU_DEP_2)
	s_or_b32 exec_lo, exec_lo, s10
	v_lshrrev_b32_e32 v134, 16, v11
	v_mov_b32_e32 v132, 0
	s_mov_b32 s10, exec_lo
	v_dual_mov_b32 v133, 0 :: v_dual_and_b32 v0, 0xff, v134
	s_delay_alu instid0(VALU_DEP_1)
	v_cmpx_ne_u16_e32 0, v0
	s_cbranch_execz .LBB369_1871
; %bb.1864:                             ;   in Loop: Header=BB369_1055 Depth=1
	v_bfrev_b32_e32 v132, 1
	s_mov_b32 s12, exec_lo
	v_cmpx_ne_u16_e32 0x80, v0
	s_cbranch_execz .LBB369_1870
; %bb.1865:                             ;   in Loop: Header=BB369_1055 Depth=1
	v_bfe_u32 v13, v11, 16, 7
	v_mov_b32_e32 v132, 0x7fc02000
	s_mov_b32 s13, exec_lo
	s_delay_alu instid0(VALU_DEP_2)
	v_cmpx_ne_u32_e32 0x7f, v13
	s_cbranch_execz .LBB369_1869
; %bb.1866:                             ;   in Loop: Header=BB369_1055 Depth=1
	v_and_b32_e32 v0, 7, v134
	v_lshrrev_b32_e32 v132, 3, v13
	v_cmp_gt_u32_e64 s0, 8, v13
	s_delay_alu instid0(VALU_DEP_3) | instskip(NEXT) | instid1(VALU_DEP_2)
	v_dual_mov_b32 v14, v1 :: v_dual_mov_b32 v13, v0
	s_and_saveexec_b32 s15, s0
; %bb.1867:                             ;   in Loop: Header=BB369_1055 Depth=1
	v_clz_i32_u32_e32 v13, v0
	s_delay_alu instid0(VALU_DEP_1) | instskip(NEXT) | instid1(VALU_DEP_1)
	v_min_u32_e32 v132, 32, v13
	v_subrev_nc_u32_e32 v13, 28, v132
	v_sub_nc_u32_e32 v132, 29, v132
	s_delay_alu instid0(VALU_DEP_2) | instskip(NEXT) | instid1(VALU_DEP_1)
	v_lshlrev_b64 v[13:14], v13, v[0:1]
	v_and_b32_e32 v13, 7, v13
; %bb.1868:                             ;   in Loop: Header=BB369_1055 Depth=1
	s_or_b32 exec_lo, exec_lo, s15
	v_lshlrev_b32_e32 v0, 8, v134
	v_lshl_add_u32 v14, v132, 10, 0x2000
	s_delay_alu instid0(VALU_DEP_1) | instskip(NEXT) | instid1(VALU_DEP_1)
	v_and_or_b32 v0, 0x8000, v0, v14
	v_lshl_or_b32 v0, v13, 7, v0
	s_delay_alu instid0(VALU_DEP_1)
	v_cvt_f32_f16_e64 v132, v0
.LBB369_1869:                           ;   in Loop: Header=BB369_1055 Depth=1
	s_or_b32 exec_lo, exec_lo, s13
.LBB369_1870:                           ;   in Loop: Header=BB369_1055 Depth=1
	s_delay_alu instid0(SALU_CYCLE_1)
	s_or_b32 exec_lo, exec_lo, s12
.LBB369_1871:                           ;   in Loop: Header=BB369_1055 Depth=1
	s_delay_alu instid0(SALU_CYCLE_1) | instskip(NEXT) | instid1(SALU_CYCLE_1)
	s_or_b32 exec_lo, exec_lo, s10
	s_mov_b32 s10, exec_lo
	v_cmpx_lt_u32_e32 0xffffff, v11
	s_cbranch_execz .LBB369_1879
; %bb.1872:                             ;   in Loop: Header=BB369_1055 Depth=1
	v_lshrrev_b32_e32 v134, 24, v11
	v_bfrev_b32_e32 v133, 1
	s_mov_b32 s12, exec_lo
	s_delay_alu instid0(VALU_DEP_2)
	v_cmpx_ne_u32_e32 0x80, v134
	s_cbranch_execz .LBB369_1878
; %bb.1873:                             ;   in Loop: Header=BB369_1055 Depth=1
	v_and_b32_e32 v13, 0x7f, v134
	v_mov_b32_e32 v133, 0x7fc02000
	s_mov_b32 s13, exec_lo
	s_delay_alu instid0(VALU_DEP_2)
	v_cmpx_ne_u32_e32 0x7f, v13
	s_cbranch_execz .LBB369_1877
; %bb.1874:                             ;   in Loop: Header=BB369_1055 Depth=1
	v_and_b32_e32 v0, 7, v134
	v_lshrrev_b32_e32 v133, 3, v13
	v_cmp_gt_u32_e64 s0, 8, v13
	s_delay_alu instid0(VALU_DEP_3) | instskip(NEXT) | instid1(VALU_DEP_2)
	v_dual_mov_b32 v14, v1 :: v_dual_mov_b32 v13, v0
	s_and_saveexec_b32 s15, s0
; %bb.1875:                             ;   in Loop: Header=BB369_1055 Depth=1
	v_clz_i32_u32_e32 v13, v0
	s_delay_alu instid0(VALU_DEP_1) | instskip(NEXT) | instid1(VALU_DEP_1)
	v_min_u32_e32 v133, 32, v13
	v_subrev_nc_u32_e32 v13, 28, v133
	v_sub_nc_u32_e32 v133, 29, v133
	s_delay_alu instid0(VALU_DEP_2) | instskip(NEXT) | instid1(VALU_DEP_1)
	v_lshlrev_b64 v[13:14], v13, v[0:1]
	v_and_b32_e32 v13, 7, v13
; %bb.1876:                             ;   in Loop: Header=BB369_1055 Depth=1
	s_or_b32 exec_lo, exec_lo, s15
	v_lshlrev_b32_e32 v0, 8, v134
	v_lshl_add_u32 v14, v133, 10, 0x2000
	s_delay_alu instid0(VALU_DEP_1) | instskip(NEXT) | instid1(VALU_DEP_1)
	v_and_or_b32 v0, 0x8000, v0, v14
	v_lshl_or_b32 v0, v13, 7, v0
	s_delay_alu instid0(VALU_DEP_1)
	v_cvt_f32_f16_e64 v133, v0
.LBB369_1877:                           ;   in Loop: Header=BB369_1055 Depth=1
	s_or_b32 exec_lo, exec_lo, s13
.LBB369_1878:                           ;   in Loop: Header=BB369_1055 Depth=1
	s_delay_alu instid0(SALU_CYCLE_1)
	s_or_b32 exec_lo, exec_lo, s12
.LBB369_1879:                           ;   in Loop: Header=BB369_1055 Depth=1
	s_delay_alu instid0(SALU_CYCLE_1) | instskip(SKIP_3) | instid1(VALU_DEP_2)
	s_or_b32 exec_lo, exec_lo, s10
	v_dual_mov_b32 v0, v12 :: v_dual_and_b32 v13, 0xff, v12
	v_dual_mov_b32 v135, 0 :: v_dual_mov_b32 v134, 0
	s_mov_b32 s10, exec_lo
	v_cmpx_ne_u16_e32 0, v13
	s_cbranch_execz .LBB369_1887
; %bb.1880:                             ;   in Loop: Header=BB369_1055 Depth=1
	v_bfrev_b32_e32 v134, 1
	s_mov_b32 s12, exec_lo
	v_cmpx_ne_u16_e32 0x80, v13
	s_cbranch_execz .LBB369_1886
; %bb.1881:                             ;   in Loop: Header=BB369_1055 Depth=1
	v_and_b32_e32 v13, 0x7f, v12
	v_mov_b32_e32 v134, 0x7fc02000
	s_mov_b32 s13, exec_lo
	s_delay_alu instid0(VALU_DEP_2)
	v_cmpx_ne_u32_e32 0x7f, v13
	s_cbranch_execz .LBB369_1885
; %bb.1882:                             ;   in Loop: Header=BB369_1055 Depth=1
	v_lshrrev_b32_e32 v134, 3, v13
	v_cmp_gt_u32_e64 s0, 8, v13
	v_dual_mov_b32 v14, v1 :: v_dual_mov_b32 v13, v0
	s_delay_alu instid0(VALU_DEP_2)
	s_and_saveexec_b32 s15, s0
; %bb.1883:                             ;   in Loop: Header=BB369_1055 Depth=1
	v_and_b32_e32 v13, 7, v12
	s_delay_alu instid0(VALU_DEP_1) | instskip(NEXT) | instid1(VALU_DEP_1)
	v_clz_i32_u32_e32 v13, v13
	v_min_u32_e32 v134, 32, v13
	s_delay_alu instid0(VALU_DEP_1) | instskip(SKIP_1) | instid1(VALU_DEP_2)
	v_subrev_nc_u32_e32 v13, 28, v134
	v_sub_nc_u32_e32 v134, 29, v134
	v_lshlrev_b64 v[13:14], v13, v[0:1]
; %bb.1884:                             ;   in Loop: Header=BB369_1055 Depth=1
	s_or_b32 exec_lo, exec_lo, s15
	v_lshlrev_b32_e32 v14, 8, v12
	s_delay_alu instid0(VALU_DEP_3) | instskip(NEXT) | instid1(VALU_DEP_3)
	v_lshl_add_u32 v134, v134, 10, 0x2000
	v_lshlrev_b32_e32 v13, 7, v13
	s_delay_alu instid0(VALU_DEP_2) | instskip(NEXT) | instid1(VALU_DEP_1)
	v_and_or_b32 v14, 0x8000, v14, v134
	v_and_or_b32 v13, 0x380, v13, v14
	s_delay_alu instid0(VALU_DEP_1)
	v_cvt_f32_f16_e64 v134, v13
.LBB369_1885:                           ;   in Loop: Header=BB369_1055 Depth=1
	s_or_b32 exec_lo, exec_lo, s13
.LBB369_1886:                           ;   in Loop: Header=BB369_1055 Depth=1
	s_delay_alu instid0(SALU_CYCLE_1)
	s_or_b32 exec_lo, exec_lo, s12
.LBB369_1887:                           ;   in Loop: Header=BB369_1055 Depth=1
	s_delay_alu instid0(SALU_CYCLE_1) | instskip(SKIP_2) | instid1(VALU_DEP_1)
	s_or_b32 exec_lo, exec_lo, s10
	v_lshrrev_b16 v0, 8, v0
	s_mov_b32 s10, exec_lo
	v_cmpx_ne_u16_e32 0, v0
	s_cbranch_execz .LBB369_1895
; %bb.1888:                             ;   in Loop: Header=BB369_1055 Depth=1
	v_bfrev_b32_e32 v135, 1
	s_mov_b32 s12, exec_lo
	v_cmpx_ne_u16_e32 0x80, v0
	s_cbranch_execz .LBB369_1894
; %bb.1889:                             ;   in Loop: Header=BB369_1055 Depth=1
	v_and_b32_e32 v144, 0xffff, v0
	v_mov_b32_e32 v135, 0x7fc02000
	s_mov_b32 s13, exec_lo
	s_delay_alu instid0(VALU_DEP_2) | instskip(NEXT) | instid1(VALU_DEP_1)
	v_and_b32_e32 v13, 0x7f, v144
	v_cmpx_ne_u32_e32 0x7f, v13
	s_cbranch_execz .LBB369_1893
; %bb.1890:                             ;   in Loop: Header=BB369_1055 Depth=1
	v_and_b32_e32 v0, 7, v144
	v_lshrrev_b32_e32 v135, 3, v13
	v_cmp_gt_u32_e64 s0, 8, v13
	s_delay_alu instid0(VALU_DEP_3) | instskip(NEXT) | instid1(VALU_DEP_2)
	v_dual_mov_b32 v14, v1 :: v_dual_mov_b32 v13, v0
	s_and_saveexec_b32 s15, s0
; %bb.1891:                             ;   in Loop: Header=BB369_1055 Depth=1
	v_clz_i32_u32_e32 v13, v0
	s_delay_alu instid0(VALU_DEP_1) | instskip(NEXT) | instid1(VALU_DEP_1)
	v_min_u32_e32 v135, 32, v13
	v_subrev_nc_u32_e32 v13, 28, v135
	v_sub_nc_u32_e32 v135, 29, v135
	s_delay_alu instid0(VALU_DEP_2) | instskip(NEXT) | instid1(VALU_DEP_1)
	v_lshlrev_b64 v[13:14], v13, v[0:1]
	v_and_b32_e32 v13, 7, v13
; %bb.1892:                             ;   in Loop: Header=BB369_1055 Depth=1
	s_or_b32 exec_lo, exec_lo, s15
	v_lshlrev_b32_e32 v0, 8, v144
	v_lshl_add_u32 v14, v135, 10, 0x2000
	s_delay_alu instid0(VALU_DEP_1) | instskip(NEXT) | instid1(VALU_DEP_1)
	v_and_or_b32 v0, 0x8000, v0, v14
	v_lshl_or_b32 v0, v13, 7, v0
	s_delay_alu instid0(VALU_DEP_1)
	v_cvt_f32_f16_e64 v135, v0
.LBB369_1893:                           ;   in Loop: Header=BB369_1055 Depth=1
	s_or_b32 exec_lo, exec_lo, s13
.LBB369_1894:                           ;   in Loop: Header=BB369_1055 Depth=1
	s_delay_alu instid0(SALU_CYCLE_1)
	s_or_b32 exec_lo, exec_lo, s12
.LBB369_1895:                           ;   in Loop: Header=BB369_1055 Depth=1
	s_delay_alu instid0(SALU_CYCLE_1) | instskip(SKIP_3) | instid1(VALU_DEP_2)
	s_or_b32 exec_lo, exec_lo, s10
	v_lshrrev_b32_e32 v145, 16, v12
	v_mov_b32_e32 v144, 0
	s_mov_b32 s10, exec_lo
	v_dual_mov_b32 v13, 0 :: v_dual_and_b32 v0, 0xff, v145
	s_delay_alu instid0(VALU_DEP_1)
	v_cmpx_ne_u16_e32 0, v0
	s_cbranch_execz .LBB369_1903
; %bb.1896:                             ;   in Loop: Header=BB369_1055 Depth=1
	v_bfrev_b32_e32 v13, 1
	s_mov_b32 s12, exec_lo
	v_cmpx_ne_u16_e32 0x80, v0
	s_cbranch_execz .LBB369_1902
; %bb.1897:                             ;   in Loop: Header=BB369_1055 Depth=1
	v_bfe_u32 v14, v12, 16, 7
	v_mov_b32_e32 v13, 0x7fc02000
	s_mov_b32 s13, exec_lo
	s_delay_alu instid0(VALU_DEP_2)
	v_cmpx_ne_u32_e32 0x7f, v14
	s_cbranch_execz .LBB369_1901
; %bb.1898:                             ;   in Loop: Header=BB369_1055 Depth=1
	v_and_b32_e32 v0, 7, v145
	v_lshrrev_b32_e32 v146, 3, v14
	v_cmp_gt_u32_e64 s0, 8, v14
	s_delay_alu instid0(VALU_DEP_3) | instskip(NEXT) | instid1(VALU_DEP_2)
	v_dual_mov_b32 v14, v1 :: v_dual_mov_b32 v13, v0
	s_and_saveexec_b32 s15, s0
; %bb.1899:                             ;   in Loop: Header=BB369_1055 Depth=1
	v_clz_i32_u32_e32 v13, v0
	s_delay_alu instid0(VALU_DEP_1) | instskip(NEXT) | instid1(VALU_DEP_1)
	v_min_u32_e32 v146, 32, v13
	v_subrev_nc_u32_e32 v13, 28, v146
	v_sub_nc_u32_e32 v146, 29, v146
	s_delay_alu instid0(VALU_DEP_2) | instskip(NEXT) | instid1(VALU_DEP_1)
	v_lshlrev_b64 v[13:14], v13, v[0:1]
	v_and_b32_e32 v13, 7, v13
; %bb.1900:                             ;   in Loop: Header=BB369_1055 Depth=1
	s_or_b32 exec_lo, exec_lo, s15
	v_lshlrev_b32_e32 v0, 8, v145
	v_lshl_add_u32 v14, v146, 10, 0x2000
	s_delay_alu instid0(VALU_DEP_1) | instskip(NEXT) | instid1(VALU_DEP_1)
	v_and_or_b32 v0, 0x8000, v0, v14
	v_lshl_or_b32 v0, v13, 7, v0
	s_delay_alu instid0(VALU_DEP_1)
	v_cvt_f32_f16_e32 v13, v0
.LBB369_1901:                           ;   in Loop: Header=BB369_1055 Depth=1
	s_or_b32 exec_lo, exec_lo, s13
.LBB369_1902:                           ;   in Loop: Header=BB369_1055 Depth=1
	s_delay_alu instid0(SALU_CYCLE_1)
	s_or_b32 exec_lo, exec_lo, s12
.LBB369_1903:                           ;   in Loop: Header=BB369_1055 Depth=1
	s_delay_alu instid0(SALU_CYCLE_1) | instskip(NEXT) | instid1(SALU_CYCLE_1)
	s_or_b32 exec_lo, exec_lo, s10
	s_mov_b32 s10, exec_lo
	v_cmpx_lt_u64_e64 s[8:9], v[11:12]
	s_cbranch_execz .LBB369_1911
; %bb.1904:                             ;   in Loop: Header=BB369_1055 Depth=1
	v_lshrrev_b32_e32 v14, 24, v12
	v_bfrev_b32_e32 v144, 1
	s_mov_b32 s12, exec_lo
	s_delay_alu instid0(VALU_DEP_2)
	v_cmpx_ne_u32_e32 0x80, v14
	s_cbranch_execz .LBB369_1910
; %bb.1905:                             ;   in Loop: Header=BB369_1055 Depth=1
	v_and_b32_e32 v145, 0x7f, v14
	v_mov_b32_e32 v144, 0x7fc02000
	s_mov_b32 s13, exec_lo
	s_delay_alu instid0(VALU_DEP_2)
	v_cmpx_ne_u32_e32 0x7f, v145
	s_cbranch_execz .LBB369_1909
; %bb.1906:                             ;   in Loop: Header=BB369_1055 Depth=1
	v_and_b32_e32 v0, 7, v14
	v_lshrrev_b32_e32 v144, 3, v145
	v_mov_b32_e32 v12, v1
	s_mov_b32 s15, exec_lo
	s_delay_alu instid0(VALU_DEP_3)
	v_mov_b32_e32 v11, v0
	v_cmpx_gt_u32_e32 8, v145
; %bb.1907:                             ;   in Loop: Header=BB369_1055 Depth=1
	v_clz_i32_u32_e32 v11, v0
	s_delay_alu instid0(VALU_DEP_1) | instskip(NEXT) | instid1(VALU_DEP_1)
	v_min_u32_e32 v144, 32, v11
	v_subrev_nc_u32_e32 v11, 28, v144
	v_sub_nc_u32_e32 v144, 29, v144
	s_delay_alu instid0(VALU_DEP_2) | instskip(NEXT) | instid1(VALU_DEP_1)
	v_lshlrev_b64 v[11:12], v11, v[0:1]
	v_and_b32_e32 v11, 7, v11
; %bb.1908:                             ;   in Loop: Header=BB369_1055 Depth=1
	s_or_b32 exec_lo, exec_lo, s15
	v_lshlrev_b32_e32 v0, 8, v14
	v_lshl_add_u32 v12, v144, 10, 0x2000
	s_delay_alu instid0(VALU_DEP_1) | instskip(NEXT) | instid1(VALU_DEP_1)
	v_and_or_b32 v0, 0x8000, v0, v12
	v_lshl_or_b32 v0, v11, 7, v0
	s_delay_alu instid0(VALU_DEP_1)
	v_cvt_f32_f16_e64 v144, v0
.LBB369_1909:                           ;   in Loop: Header=BB369_1055 Depth=1
	s_or_b32 exec_lo, exec_lo, s13
.LBB369_1910:                           ;   in Loop: Header=BB369_1055 Depth=1
	s_delay_alu instid0(SALU_CYCLE_1)
	s_or_b32 exec_lo, exec_lo, s12
.LBB369_1911:                           ;   in Loop: Header=BB369_1055 Depth=1
	s_delay_alu instid0(SALU_CYCLE_1)
	s_or_b32 exec_lo, exec_lo, s10
	s_waitcnt vmcnt(0) lgkmcnt(0)
	v_fma_mixlo_f16 v12, v129, v131, 0
	v_fma_mixlo_f16 v0, v129, v133, 0
	;; [unrolled: 1-line block ×5, first 2 shown]
	v_lshlrev_b32_e32 v14, 16, v12
	v_fma_mixlo_f16 v132, v129, v134, 0
	v_fma_mixlo_f16 v133, v129, v144, 0
	;; [unrolled: 1-line block ×3, first 2 shown]
	v_lshlrev_b32_e32 v0, 16, v0
	v_and_b32_e32 v11, 0xffff, v11
	v_and_b32_e32 v129, 0xffff, v130
	v_lshlrev_b32_e32 v130, 16, v131
	v_and_b32_e32 v131, 0xffff, v132
	v_lshlrev_b32_e32 v132, 16, v133
	v_and_b32_e32 v133, 0xffff, v12
	v_or_b32_e32 v13, v0, v11
	v_or_b32_e32 v14, v14, v129
	;; [unrolled: 1-line block ×3, first 2 shown]
	s_delay_alu instid0(VALU_DEP_4)
	v_or_b32_e32 v11, v132, v133
	s_and_saveexec_b32 s10, vcc_lo
	s_cbranch_execz .LBB369_1913
; %bb.1912:                             ;   in Loop: Header=BB369_1055 Depth=1
	v_cmp_lt_i32_e64 s0, v15, v36
	v_lshrrev_b32_e32 v129, 16, v14
	v_lshrrev_b32_e32 v130, 16, v13
	;; [unrolled: 1-line block ×4, first 2 shown]
	v_cndmask_b32_e64 v14, 0, v14, s0
	v_cmp_lt_i32_e64 s0, v82, v48
	s_delay_alu instid0(VALU_DEP_1) | instskip(SKIP_1) | instid1(VALU_DEP_2)
	v_cndmask_b32_e64 v129, 0, v129, s0
	v_cmp_lt_i32_e64 s0, v81, v48
	v_perm_b32 v14, v129, v14, 0x5040100
	s_delay_alu instid0(VALU_DEP_2) | instskip(SKIP_1) | instid1(VALU_DEP_1)
	v_cndmask_b32_e64 v130, 0, v130, s0
	v_cmp_lt_i32_e64 s0, v70, v36
	v_cndmask_b32_e64 v13, 0, v13, s0
	v_cmp_lt_i32_e64 s0, v65, v48
	s_delay_alu instid0(VALU_DEP_2) | instskip(NEXT) | instid1(VALU_DEP_2)
	v_perm_b32 v13, v130, v13, 0x5040100
	v_cndmask_b32_e64 v131, 0, v131, s0
	v_cmp_lt_i32_e64 s0, v64, v36
	s_delay_alu instid0(VALU_DEP_1) | instskip(SKIP_1) | instid1(VALU_DEP_2)
	v_cndmask_b32_e64 v0, 0, v0, s0
	v_cmp_lt_i32_e64 s0, v38, v48
	v_perm_b32 v0, v131, v0, 0x5040100
	s_delay_alu instid0(VALU_DEP_2) | instskip(SKIP_1) | instid1(VALU_DEP_1)
	v_cndmask_b32_e64 v11, 0, v11, s0
	v_cmp_lt_i32_e64 s0, v17, v36
	v_cndmask_b32_e64 v12, 0, v12, s0
	s_delay_alu instid0(VALU_DEP_1)
	v_perm_b32 v11, v11, v12, 0x5040100
.LBB369_1913:                           ;   in Loop: Header=BB369_1055 Depth=1
	s_or_b32 exec_lo, exec_lo, s10
	;;#ASMSTART
	v_pk_mul_f16 v12, v80, v14;

	;;#ASMEND
	;;#ASMSTART
	v_pk_mul_f16 v13, v69, v13;

	;;#ASMEND
	;; [unrolled: 4-line block ×4, first 2 shown]
	;;#ASMSTART
	v_pk_add_f16 v12, v12, v13;

	;;#ASMEND
	;;#ASMSTART
	v_pk_add_f16 v0, v12, v0;

	;;#ASMEND
	;; [unrolled: 4-line block ×3, first 2 shown]
	v_dual_mov_b32 v132, 0 :: v_dual_and_b32 v11, 0xffff, v0
	v_lshrrev_b32_e32 v0, 16, v0
	;;#ASMSTART
	v_cvt_f32_f16 v129, v11;
	;;#ASMEND
	;;#ASMSTART
	v_cvt_f32_f16 v130, v0;
	;;#ASMEND
	flat_load_b64 v[11:12], v[9:10] offset:3328
	flat_load_b32 v131, v[26:27]
	s_mov_b32 s10, exec_lo
	s_waitcnt vmcnt(1) lgkmcnt(1)
	v_dual_mov_b32 v133, 0 :: v_dual_and_b32 v0, 0xff, v11
	s_delay_alu instid0(VALU_DEP_1)
	v_cmpx_ne_u16_e32 0, v0
	s_cbranch_execz .LBB369_1921
; %bb.1914:                             ;   in Loop: Header=BB369_1055 Depth=1
	v_bfrev_b32_e32 v132, 1
	s_mov_b32 s12, exec_lo
	v_cmpx_ne_u16_e32 0x80, v0
	s_cbranch_execz .LBB369_1920
; %bb.1915:                             ;   in Loop: Header=BB369_1055 Depth=1
	v_and_b32_e32 v13, 0x7f, v11
	v_mov_b32_e32 v132, 0x7fc02000
	s_mov_b32 s13, exec_lo
	s_delay_alu instid0(VALU_DEP_2)
	v_cmpx_ne_u32_e32 0x7f, v13
	s_cbranch_execz .LBB369_1919
; %bb.1916:                             ;   in Loop: Header=BB369_1055 Depth=1
	v_lshrrev_b32_e32 v0, 3, v13
	v_cmp_gt_u32_e64 s0, 8, v13
	v_dual_mov_b32 v14, v12 :: v_dual_mov_b32 v13, v11
	s_delay_alu instid0(VALU_DEP_2)
	s_and_saveexec_b32 s15, s0
; %bb.1917:                             ;   in Loop: Header=BB369_1055 Depth=1
	v_and_b32_e32 v0, 7, v11
	s_delay_alu instid0(VALU_DEP_1) | instskip(NEXT) | instid1(VALU_DEP_1)
	v_clz_i32_u32_e32 v0, v0
	v_min_u32_e32 v0, 32, v0
	s_delay_alu instid0(VALU_DEP_1) | instskip(SKIP_1) | instid1(VALU_DEP_2)
	v_subrev_nc_u32_e32 v13, 28, v0
	v_sub_nc_u32_e32 v0, 29, v0
	v_lshlrev_b64 v[13:14], v13, v[11:12]
; %bb.1918:                             ;   in Loop: Header=BB369_1055 Depth=1
	s_or_b32 exec_lo, exec_lo, s15
	v_lshlrev_b32_e32 v14, 8, v11
	s_delay_alu instid0(VALU_DEP_3) | instskip(NEXT) | instid1(VALU_DEP_3)
	v_lshl_add_u32 v0, v0, 10, 0x2000
	v_lshlrev_b32_e32 v13, 7, v13
	s_delay_alu instid0(VALU_DEP_2) | instskip(NEXT) | instid1(VALU_DEP_1)
	v_and_or_b32 v0, 0x8000, v14, v0
	v_and_or_b32 v0, 0x380, v13, v0
	s_delay_alu instid0(VALU_DEP_1)
	v_cvt_f32_f16_e64 v132, v0
.LBB369_1919:                           ;   in Loop: Header=BB369_1055 Depth=1
	s_or_b32 exec_lo, exec_lo, s13
.LBB369_1920:                           ;   in Loop: Header=BB369_1055 Depth=1
	s_delay_alu instid0(SALU_CYCLE_1)
	s_or_b32 exec_lo, exec_lo, s12
.LBB369_1921:                           ;   in Loop: Header=BB369_1055 Depth=1
	s_delay_alu instid0(SALU_CYCLE_1) | instskip(SKIP_2) | instid1(VALU_DEP_1)
	s_or_b32 exec_lo, exec_lo, s10
	v_lshrrev_b16 v0, 8, v11
	s_mov_b32 s10, exec_lo
	v_cmpx_ne_u16_e32 0, v0
	s_cbranch_execz .LBB369_1929
; %bb.1922:                             ;   in Loop: Header=BB369_1055 Depth=1
	v_bfrev_b32_e32 v133, 1
	s_mov_b32 s12, exec_lo
	v_cmpx_ne_u16_e32 0x80, v0
	s_cbranch_execz .LBB369_1928
; %bb.1923:                             ;   in Loop: Header=BB369_1055 Depth=1
	v_and_b32_e32 v134, 0xffff, v0
	v_mov_b32_e32 v133, 0x7fc02000
	s_mov_b32 s13, exec_lo
	s_delay_alu instid0(VALU_DEP_2) | instskip(NEXT) | instid1(VALU_DEP_1)
	v_and_b32_e32 v135, 0x7f, v134
	v_cmpx_ne_u32_e32 0x7f, v135
	s_cbranch_execz .LBB369_1927
; %bb.1924:                             ;   in Loop: Header=BB369_1055 Depth=1
	v_and_b32_e32 v0, 7, v134
	v_lshrrev_b32_e32 v133, 3, v135
	v_mov_b32_e32 v14, v1
	s_mov_b32 s15, exec_lo
	s_delay_alu instid0(VALU_DEP_3)
	v_mov_b32_e32 v13, v0
	v_cmpx_gt_u32_e32 8, v135
; %bb.1925:                             ;   in Loop: Header=BB369_1055 Depth=1
	v_clz_i32_u32_e32 v13, v0
	s_delay_alu instid0(VALU_DEP_1) | instskip(NEXT) | instid1(VALU_DEP_1)
	v_min_u32_e32 v133, 32, v13
	v_subrev_nc_u32_e32 v13, 28, v133
	v_sub_nc_u32_e32 v133, 29, v133
	s_delay_alu instid0(VALU_DEP_2) | instskip(NEXT) | instid1(VALU_DEP_1)
	v_lshlrev_b64 v[13:14], v13, v[0:1]
	v_and_b32_e32 v13, 7, v13
; %bb.1926:                             ;   in Loop: Header=BB369_1055 Depth=1
	s_or_b32 exec_lo, exec_lo, s15
	v_lshlrev_b32_e32 v0, 8, v134
	v_lshl_add_u32 v14, v133, 10, 0x2000
	s_delay_alu instid0(VALU_DEP_1) | instskip(NEXT) | instid1(VALU_DEP_1)
	v_and_or_b32 v0, 0x8000, v0, v14
	v_lshl_or_b32 v0, v13, 7, v0
	s_delay_alu instid0(VALU_DEP_1)
	v_cvt_f32_f16_e64 v133, v0
.LBB369_1927:                           ;   in Loop: Header=BB369_1055 Depth=1
	s_or_b32 exec_lo, exec_lo, s13
.LBB369_1928:                           ;   in Loop: Header=BB369_1055 Depth=1
	s_delay_alu instid0(SALU_CYCLE_1)
	s_or_b32 exec_lo, exec_lo, s12
.LBB369_1929:                           ;   in Loop: Header=BB369_1055 Depth=1
	s_delay_alu instid0(SALU_CYCLE_1) | instskip(SKIP_3) | instid1(VALU_DEP_2)
	s_or_b32 exec_lo, exec_lo, s10
	v_lshrrev_b32_e32 v144, 16, v11
	v_mov_b32_e32 v134, 0
	s_mov_b32 s10, exec_lo
	v_dual_mov_b32 v135, 0 :: v_dual_and_b32 v0, 0xff, v144
	s_delay_alu instid0(VALU_DEP_1)
	v_cmpx_ne_u16_e32 0, v0
	s_cbranch_execz .LBB369_1937
; %bb.1930:                             ;   in Loop: Header=BB369_1055 Depth=1
	v_bfrev_b32_e32 v134, 1
	s_mov_b32 s12, exec_lo
	v_cmpx_ne_u16_e32 0x80, v0
	s_cbranch_execz .LBB369_1936
; %bb.1931:                             ;   in Loop: Header=BB369_1055 Depth=1
	v_bfe_u32 v145, v11, 16, 7
	v_mov_b32_e32 v134, 0x7fc02000
	s_mov_b32 s13, exec_lo
	s_delay_alu instid0(VALU_DEP_2)
	v_cmpx_ne_u32_e32 0x7f, v145
	s_cbranch_execz .LBB369_1935
; %bb.1932:                             ;   in Loop: Header=BB369_1055 Depth=1
	v_and_b32_e32 v0, 7, v144
	v_lshrrev_b32_e32 v134, 3, v145
	v_mov_b32_e32 v14, v1
	s_mov_b32 s15, exec_lo
	s_delay_alu instid0(VALU_DEP_3)
	v_mov_b32_e32 v13, v0
	v_cmpx_gt_u32_e32 8, v145
; %bb.1933:                             ;   in Loop: Header=BB369_1055 Depth=1
	v_clz_i32_u32_e32 v13, v0
	s_delay_alu instid0(VALU_DEP_1) | instskip(NEXT) | instid1(VALU_DEP_1)
	v_min_u32_e32 v134, 32, v13
	v_subrev_nc_u32_e32 v13, 28, v134
	v_sub_nc_u32_e32 v134, 29, v134
	s_delay_alu instid0(VALU_DEP_2) | instskip(NEXT) | instid1(VALU_DEP_1)
	v_lshlrev_b64 v[13:14], v13, v[0:1]
	v_and_b32_e32 v13, 7, v13
; %bb.1934:                             ;   in Loop: Header=BB369_1055 Depth=1
	s_or_b32 exec_lo, exec_lo, s15
	v_lshlrev_b32_e32 v0, 8, v144
	v_lshl_add_u32 v14, v134, 10, 0x2000
	s_delay_alu instid0(VALU_DEP_1) | instskip(NEXT) | instid1(VALU_DEP_1)
	v_and_or_b32 v0, 0x8000, v0, v14
	v_lshl_or_b32 v0, v13, 7, v0
	s_delay_alu instid0(VALU_DEP_1)
	v_cvt_f32_f16_e64 v134, v0
.LBB369_1935:                           ;   in Loop: Header=BB369_1055 Depth=1
	s_or_b32 exec_lo, exec_lo, s13
.LBB369_1936:                           ;   in Loop: Header=BB369_1055 Depth=1
	s_delay_alu instid0(SALU_CYCLE_1)
	s_or_b32 exec_lo, exec_lo, s12
.LBB369_1937:                           ;   in Loop: Header=BB369_1055 Depth=1
	s_delay_alu instid0(SALU_CYCLE_1) | instskip(NEXT) | instid1(SALU_CYCLE_1)
	s_or_b32 exec_lo, exec_lo, s10
	s_mov_b32 s10, exec_lo
	v_cmpx_lt_u32_e32 0xffffff, v11
	s_cbranch_execz .LBB369_1945
; %bb.1938:                             ;   in Loop: Header=BB369_1055 Depth=1
	v_lshrrev_b32_e32 v144, 24, v11
	v_bfrev_b32_e32 v135, 1
	s_mov_b32 s12, exec_lo
	s_delay_alu instid0(VALU_DEP_2)
	v_cmpx_ne_u32_e32 0x80, v144
	s_cbranch_execz .LBB369_1944
; %bb.1939:                             ;   in Loop: Header=BB369_1055 Depth=1
	v_and_b32_e32 v145, 0x7f, v144
	v_mov_b32_e32 v135, 0x7fc02000
	s_mov_b32 s13, exec_lo
	s_delay_alu instid0(VALU_DEP_2)
	v_cmpx_ne_u32_e32 0x7f, v145
	s_cbranch_execz .LBB369_1943
; %bb.1940:                             ;   in Loop: Header=BB369_1055 Depth=1
	v_and_b32_e32 v0, 7, v144
	v_lshrrev_b32_e32 v135, 3, v145
	v_mov_b32_e32 v14, v1
	s_mov_b32 s15, exec_lo
	s_delay_alu instid0(VALU_DEP_3)
	v_mov_b32_e32 v13, v0
	v_cmpx_gt_u32_e32 8, v145
; %bb.1941:                             ;   in Loop: Header=BB369_1055 Depth=1
	v_clz_i32_u32_e32 v13, v0
	s_delay_alu instid0(VALU_DEP_1) | instskip(NEXT) | instid1(VALU_DEP_1)
	v_min_u32_e32 v135, 32, v13
	v_subrev_nc_u32_e32 v13, 28, v135
	v_sub_nc_u32_e32 v135, 29, v135
	s_delay_alu instid0(VALU_DEP_2) | instskip(NEXT) | instid1(VALU_DEP_1)
	v_lshlrev_b64 v[13:14], v13, v[0:1]
	v_and_b32_e32 v13, 7, v13
; %bb.1942:                             ;   in Loop: Header=BB369_1055 Depth=1
	s_or_b32 exec_lo, exec_lo, s15
	v_lshlrev_b32_e32 v0, 8, v144
	v_lshl_add_u32 v14, v135, 10, 0x2000
	s_delay_alu instid0(VALU_DEP_1) | instskip(NEXT) | instid1(VALU_DEP_1)
	v_and_or_b32 v0, 0x8000, v0, v14
	v_lshl_or_b32 v0, v13, 7, v0
	s_delay_alu instid0(VALU_DEP_1)
	v_cvt_f32_f16_e64 v135, v0
.LBB369_1943:                           ;   in Loop: Header=BB369_1055 Depth=1
	s_or_b32 exec_lo, exec_lo, s13
.LBB369_1944:                           ;   in Loop: Header=BB369_1055 Depth=1
	s_delay_alu instid0(SALU_CYCLE_1)
	s_or_b32 exec_lo, exec_lo, s12
.LBB369_1945:                           ;   in Loop: Header=BB369_1055 Depth=1
	s_delay_alu instid0(SALU_CYCLE_1) | instskip(SKIP_3) | instid1(VALU_DEP_2)
	s_or_b32 exec_lo, exec_lo, s10
	v_dual_mov_b32 v0, v12 :: v_dual_and_b32 v13, 0xff, v12
	v_dual_mov_b32 v145, 0 :: v_dual_mov_b32 v144, 0
	s_mov_b32 s10, exec_lo
	v_cmpx_ne_u16_e32 0, v13
	s_cbranch_execz .LBB369_1953
; %bb.1946:                             ;   in Loop: Header=BB369_1055 Depth=1
	v_bfrev_b32_e32 v144, 1
	s_mov_b32 s12, exec_lo
	v_cmpx_ne_u16_e32 0x80, v13
	s_cbranch_execz .LBB369_1952
; %bb.1947:                             ;   in Loop: Header=BB369_1055 Depth=1
	v_and_b32_e32 v146, 0x7f, v12
	v_mov_b32_e32 v144, 0x7fc02000
	s_mov_b32 s13, exec_lo
	s_delay_alu instid0(VALU_DEP_2)
	v_cmpx_ne_u32_e32 0x7f, v146
	s_cbranch_execz .LBB369_1951
; %bb.1948:                             ;   in Loop: Header=BB369_1055 Depth=1
	v_dual_mov_b32 v14, v1 :: v_dual_mov_b32 v13, v0
	v_lshrrev_b32_e32 v14, 3, v146
	s_mov_b32 s15, exec_lo
	v_cmpx_gt_u32_e32 8, v146
; %bb.1949:                             ;   in Loop: Header=BB369_1055 Depth=1
	v_and_b32_e32 v13, 7, v12
	s_delay_alu instid0(VALU_DEP_1) | instskip(NEXT) | instid1(VALU_DEP_1)
	v_clz_i32_u32_e32 v13, v13
	v_min_u32_e32 v144, 32, v13
	s_delay_alu instid0(VALU_DEP_1) | instskip(NEXT) | instid1(VALU_DEP_1)
	v_subrev_nc_u32_e32 v13, 28, v144
	v_lshlrev_b64 v[13:14], v13, v[0:1]
	v_sub_nc_u32_e32 v14, 29, v144
; %bb.1950:                             ;   in Loop: Header=BB369_1055 Depth=1
	s_or_b32 exec_lo, exec_lo, s15
	v_lshlrev_b32_e32 v144, 8, v12
	s_delay_alu instid0(VALU_DEP_2) | instskip(NEXT) | instid1(VALU_DEP_4)
	v_lshl_add_u32 v14, v14, 10, 0x2000
	v_lshlrev_b32_e32 v13, 7, v13
	s_delay_alu instid0(VALU_DEP_2) | instskip(NEXT) | instid1(VALU_DEP_1)
	v_and_or_b32 v14, 0x8000, v144, v14
	v_and_or_b32 v13, 0x380, v13, v14
	s_delay_alu instid0(VALU_DEP_1)
	v_cvt_f32_f16_e64 v144, v13
.LBB369_1951:                           ;   in Loop: Header=BB369_1055 Depth=1
	s_or_b32 exec_lo, exec_lo, s13
.LBB369_1952:                           ;   in Loop: Header=BB369_1055 Depth=1
	s_delay_alu instid0(SALU_CYCLE_1)
	s_or_b32 exec_lo, exec_lo, s12
.LBB369_1953:                           ;   in Loop: Header=BB369_1055 Depth=1
	s_delay_alu instid0(SALU_CYCLE_1) | instskip(SKIP_2) | instid1(VALU_DEP_1)
	s_or_b32 exec_lo, exec_lo, s10
	v_lshrrev_b16 v0, 8, v0
	s_mov_b32 s10, exec_lo
	v_cmpx_ne_u16_e32 0, v0
	s_cbranch_execz .LBB369_1961
; %bb.1954:                             ;   in Loop: Header=BB369_1055 Depth=1
	v_bfrev_b32_e32 v145, 1
	s_mov_b32 s12, exec_lo
	v_cmpx_ne_u16_e32 0x80, v0
	s_cbranch_execz .LBB369_1960
; %bb.1955:                             ;   in Loop: Header=BB369_1055 Depth=1
	v_and_b32_e32 v146, 0xffff, v0
	v_mov_b32_e32 v145, 0x7fc02000
	s_mov_b32 s13, exec_lo
	s_delay_alu instid0(VALU_DEP_2) | instskip(NEXT) | instid1(VALU_DEP_1)
	v_and_b32_e32 v147, 0x7f, v146
	v_cmpx_ne_u32_e32 0x7f, v147
	s_cbranch_execz .LBB369_1959
; %bb.1956:                             ;   in Loop: Header=BB369_1055 Depth=1
	v_and_b32_e32 v0, 7, v146
	v_lshrrev_b32_e32 v145, 3, v147
	v_mov_b32_e32 v14, v1
	s_mov_b32 s15, exec_lo
	s_delay_alu instid0(VALU_DEP_3)
	v_mov_b32_e32 v13, v0
	v_cmpx_gt_u32_e32 8, v147
; %bb.1957:                             ;   in Loop: Header=BB369_1055 Depth=1
	v_clz_i32_u32_e32 v13, v0
	s_delay_alu instid0(VALU_DEP_1) | instskip(NEXT) | instid1(VALU_DEP_1)
	v_min_u32_e32 v145, 32, v13
	v_subrev_nc_u32_e32 v13, 28, v145
	v_sub_nc_u32_e32 v145, 29, v145
	s_delay_alu instid0(VALU_DEP_2) | instskip(NEXT) | instid1(VALU_DEP_1)
	v_lshlrev_b64 v[13:14], v13, v[0:1]
	v_and_b32_e32 v13, 7, v13
; %bb.1958:                             ;   in Loop: Header=BB369_1055 Depth=1
	s_or_b32 exec_lo, exec_lo, s15
	v_lshlrev_b32_e32 v0, 8, v146
	v_lshl_add_u32 v14, v145, 10, 0x2000
	s_delay_alu instid0(VALU_DEP_1) | instskip(NEXT) | instid1(VALU_DEP_1)
	v_and_or_b32 v0, 0x8000, v0, v14
	v_lshl_or_b32 v0, v13, 7, v0
	s_delay_alu instid0(VALU_DEP_1)
	v_cvt_f32_f16_e64 v145, v0
.LBB369_1959:                           ;   in Loop: Header=BB369_1055 Depth=1
	s_or_b32 exec_lo, exec_lo, s13
.LBB369_1960:                           ;   in Loop: Header=BB369_1055 Depth=1
	s_delay_alu instid0(SALU_CYCLE_1)
	s_or_b32 exec_lo, exec_lo, s12
.LBB369_1961:                           ;   in Loop: Header=BB369_1055 Depth=1
	s_delay_alu instid0(SALU_CYCLE_1) | instskip(SKIP_3) | instid1(VALU_DEP_2)
	s_or_b32 exec_lo, exec_lo, s10
	v_lshrrev_b32_e32 v147, 16, v12
	v_mov_b32_e32 v146, 0
	s_mov_b32 s10, exec_lo
	v_dual_mov_b32 v13, 0 :: v_dual_and_b32 v0, 0xff, v147
	s_delay_alu instid0(VALU_DEP_1)
	v_cmpx_ne_u16_e32 0, v0
	s_cbranch_execz .LBB369_1969
; %bb.1962:                             ;   in Loop: Header=BB369_1055 Depth=1
	v_bfrev_b32_e32 v13, 1
	s_mov_b32 s12, exec_lo
	v_cmpx_ne_u16_e32 0x80, v0
	s_cbranch_execz .LBB369_1968
; %bb.1963:                             ;   in Loop: Header=BB369_1055 Depth=1
	v_bfe_u32 v149, v12, 16, 7
	v_mov_b32_e32 v13, 0x7fc02000
	s_mov_b32 s13, exec_lo
	s_delay_alu instid0(VALU_DEP_2)
	v_cmpx_ne_u32_e32 0x7f, v149
	s_cbranch_execz .LBB369_1967
; %bb.1964:                             ;   in Loop: Header=BB369_1055 Depth=1
	v_and_b32_e32 v0, 7, v147
	v_lshrrev_b32_e32 v148, 3, v149
	v_mov_b32_e32 v14, v1
	s_mov_b32 s15, exec_lo
	s_delay_alu instid0(VALU_DEP_3)
	v_mov_b32_e32 v13, v0
	v_cmpx_gt_u32_e32 8, v149
; %bb.1965:                             ;   in Loop: Header=BB369_1055 Depth=1
	v_clz_i32_u32_e32 v13, v0
	s_delay_alu instid0(VALU_DEP_1) | instskip(NEXT) | instid1(VALU_DEP_1)
	v_min_u32_e32 v148, 32, v13
	v_subrev_nc_u32_e32 v13, 28, v148
	v_sub_nc_u32_e32 v148, 29, v148
	s_delay_alu instid0(VALU_DEP_2) | instskip(NEXT) | instid1(VALU_DEP_1)
	v_lshlrev_b64 v[13:14], v13, v[0:1]
	v_and_b32_e32 v13, 7, v13
; %bb.1966:                             ;   in Loop: Header=BB369_1055 Depth=1
	s_or_b32 exec_lo, exec_lo, s15
	v_lshlrev_b32_e32 v0, 8, v147
	v_lshl_add_u32 v14, v148, 10, 0x2000
	s_delay_alu instid0(VALU_DEP_1) | instskip(NEXT) | instid1(VALU_DEP_1)
	v_and_or_b32 v0, 0x8000, v0, v14
	v_lshl_or_b32 v0, v13, 7, v0
	s_delay_alu instid0(VALU_DEP_1)
	v_cvt_f32_f16_e32 v13, v0
.LBB369_1967:                           ;   in Loop: Header=BB369_1055 Depth=1
	s_or_b32 exec_lo, exec_lo, s13
.LBB369_1968:                           ;   in Loop: Header=BB369_1055 Depth=1
	s_delay_alu instid0(SALU_CYCLE_1)
	s_or_b32 exec_lo, exec_lo, s12
.LBB369_1969:                           ;   in Loop: Header=BB369_1055 Depth=1
	s_delay_alu instid0(SALU_CYCLE_1) | instskip(NEXT) | instid1(SALU_CYCLE_1)
	s_or_b32 exec_lo, exec_lo, s10
	s_mov_b32 s10, exec_lo
	v_cmpx_lt_u64_e64 s[8:9], v[11:12]
	s_cbranch_execz .LBB369_1977
; %bb.1970:                             ;   in Loop: Header=BB369_1055 Depth=1
	v_lshrrev_b32_e32 v14, 24, v12
	v_bfrev_b32_e32 v146, 1
	s_mov_b32 s12, exec_lo
	s_delay_alu instid0(VALU_DEP_2)
	v_cmpx_ne_u32_e32 0x80, v14
	s_cbranch_execz .LBB369_1976
; %bb.1971:                             ;   in Loop: Header=BB369_1055 Depth=1
	v_and_b32_e32 v147, 0x7f, v14
	v_mov_b32_e32 v146, 0x7fc02000
	s_mov_b32 s13, exec_lo
	s_delay_alu instid0(VALU_DEP_2)
	v_cmpx_ne_u32_e32 0x7f, v147
	s_cbranch_execz .LBB369_1975
; %bb.1972:                             ;   in Loop: Header=BB369_1055 Depth=1
	v_and_b32_e32 v0, 7, v14
	v_lshrrev_b32_e32 v146, 3, v147
	v_mov_b32_e32 v12, v1
	s_mov_b32 s15, exec_lo
	s_delay_alu instid0(VALU_DEP_3)
	v_mov_b32_e32 v11, v0
	v_cmpx_gt_u32_e32 8, v147
; %bb.1973:                             ;   in Loop: Header=BB369_1055 Depth=1
	v_clz_i32_u32_e32 v11, v0
	s_delay_alu instid0(VALU_DEP_1) | instskip(NEXT) | instid1(VALU_DEP_1)
	v_min_u32_e32 v146, 32, v11
	v_subrev_nc_u32_e32 v11, 28, v146
	v_sub_nc_u32_e32 v146, 29, v146
	s_delay_alu instid0(VALU_DEP_2) | instskip(NEXT) | instid1(VALU_DEP_1)
	v_lshlrev_b64 v[11:12], v11, v[0:1]
	v_and_b32_e32 v11, 7, v11
; %bb.1974:                             ;   in Loop: Header=BB369_1055 Depth=1
	s_or_b32 exec_lo, exec_lo, s15
	v_lshlrev_b32_e32 v0, 8, v14
	v_lshl_add_u32 v12, v146, 10, 0x2000
	s_delay_alu instid0(VALU_DEP_1) | instskip(NEXT) | instid1(VALU_DEP_1)
	v_and_or_b32 v0, 0x8000, v0, v12
	v_lshl_or_b32 v0, v11, 7, v0
	s_delay_alu instid0(VALU_DEP_1)
	v_cvt_f32_f16_e64 v146, v0
.LBB369_1975:                           ;   in Loop: Header=BB369_1055 Depth=1
	s_or_b32 exec_lo, exec_lo, s13
.LBB369_1976:                           ;   in Loop: Header=BB369_1055 Depth=1
	s_delay_alu instid0(SALU_CYCLE_1)
	s_or_b32 exec_lo, exec_lo, s12
.LBB369_1977:                           ;   in Loop: Header=BB369_1055 Depth=1
	s_delay_alu instid0(SALU_CYCLE_1)
	s_or_b32 exec_lo, exec_lo, s10
	s_waitcnt vmcnt(0) lgkmcnt(0)
	v_fma_mixlo_f16 v12, v131, v133, 0
	v_fma_mixlo_f16 v0, v131, v135, 0
	;; [unrolled: 1-line block ×5, first 2 shown]
	v_lshlrev_b32_e32 v14, 16, v12
	v_fma_mixlo_f16 v134, v131, v144, 0
	v_fma_mixlo_f16 v135, v131, v146, 0
	;; [unrolled: 1-line block ×3, first 2 shown]
	v_lshlrev_b32_e32 v0, 16, v0
	v_and_b32_e32 v11, 0xffff, v11
	v_and_b32_e32 v131, 0xffff, v132
	v_lshlrev_b32_e32 v132, 16, v133
	v_and_b32_e32 v133, 0xffff, v134
	v_lshlrev_b32_e32 v134, 16, v135
	v_and_b32_e32 v135, 0xffff, v12
	v_or_b32_e32 v13, v0, v11
	v_or_b32_e32 v14, v14, v131
	;; [unrolled: 1-line block ×3, first 2 shown]
	s_delay_alu instid0(VALU_DEP_4)
	v_or_b32_e32 v11, v134, v135
	s_and_saveexec_b32 s10, vcc_lo
	s_cbranch_execz .LBB369_1979
; %bb.1978:                             ;   in Loop: Header=BB369_1055 Depth=1
	v_cmp_lt_i32_e64 s0, v15, v36
	v_lshrrev_b32_e32 v131, 16, v14
	v_lshrrev_b32_e32 v132, 16, v13
	;; [unrolled: 1-line block ×4, first 2 shown]
	v_cndmask_b32_e64 v14, 0, v14, s0
	v_cmp_lt_i32_e64 s0, v82, v48
	s_delay_alu instid0(VALU_DEP_1) | instskip(SKIP_1) | instid1(VALU_DEP_2)
	v_cndmask_b32_e64 v131, 0, v131, s0
	v_cmp_lt_i32_e64 s0, v81, v48
	v_perm_b32 v14, v131, v14, 0x5040100
	s_delay_alu instid0(VALU_DEP_2) | instskip(SKIP_1) | instid1(VALU_DEP_1)
	v_cndmask_b32_e64 v132, 0, v132, s0
	v_cmp_lt_i32_e64 s0, v70, v36
	v_cndmask_b32_e64 v13, 0, v13, s0
	v_cmp_lt_i32_e64 s0, v65, v48
	s_delay_alu instid0(VALU_DEP_2) | instskip(NEXT) | instid1(VALU_DEP_2)
	v_perm_b32 v13, v132, v13, 0x5040100
	v_cndmask_b32_e64 v133, 0, v133, s0
	v_cmp_lt_i32_e64 s0, v64, v36
	s_delay_alu instid0(VALU_DEP_1) | instskip(SKIP_1) | instid1(VALU_DEP_2)
	v_cndmask_b32_e64 v0, 0, v0, s0
	v_cmp_lt_i32_e64 s0, v38, v48
	v_perm_b32 v0, v133, v0, 0x5040100
	s_delay_alu instid0(VALU_DEP_2) | instskip(SKIP_1) | instid1(VALU_DEP_1)
	v_cndmask_b32_e64 v11, 0, v11, s0
	v_cmp_lt_i32_e64 s0, v17, v36
	v_cndmask_b32_e64 v12, 0, v12, s0
	s_delay_alu instid0(VALU_DEP_1)
	v_perm_b32 v11, v11, v12, 0x5040100
.LBB369_1979:                           ;   in Loop: Header=BB369_1055 Depth=1
	s_or_b32 exec_lo, exec_lo, s10
	;;#ASMSTART
	v_pk_mul_f16 v12, v80, v14;

	;;#ASMEND
	;;#ASMSTART
	v_pk_mul_f16 v13, v69, v13;

	;;#ASMEND
	;; [unrolled: 4-line block ×4, first 2 shown]
	;;#ASMSTART
	v_pk_add_f16 v12, v12, v13;

	;;#ASMEND
	;;#ASMSTART
	v_pk_add_f16 v0, v12, v0;

	;;#ASMEND
	;; [unrolled: 4-line block ×3, first 2 shown]
	v_dual_mov_b32 v134, 0 :: v_dual_and_b32 v11, 0xffff, v0
	v_lshrrev_b32_e32 v0, 16, v0
	;;#ASMSTART
	v_cvt_f32_f16 v131, v11;
	;;#ASMEND
	;;#ASMSTART
	v_cvt_f32_f16 v132, v0;
	;;#ASMEND
	flat_load_b64 v[11:12], v[9:10] offset:3584
	flat_load_b32 v133, v[26:27]
	s_mov_b32 s10, exec_lo
	s_waitcnt vmcnt(1) lgkmcnt(1)
	v_dual_mov_b32 v135, 0 :: v_dual_and_b32 v0, 0xff, v11
	s_delay_alu instid0(VALU_DEP_1)
	v_cmpx_ne_u16_e32 0, v0
	s_cbranch_execz .LBB369_1987
; %bb.1980:                             ;   in Loop: Header=BB369_1055 Depth=1
	v_bfrev_b32_e32 v134, 1
	s_mov_b32 s12, exec_lo
	v_cmpx_ne_u16_e32 0x80, v0
	s_cbranch_execz .LBB369_1986
; %bb.1981:                             ;   in Loop: Header=BB369_1055 Depth=1
	v_and_b32_e32 v13, 0x7f, v11
	v_mov_b32_e32 v134, 0x7fc02000
	s_mov_b32 s13, exec_lo
	s_delay_alu instid0(VALU_DEP_2)
	v_cmpx_ne_u32_e32 0x7f, v13
	s_cbranch_execz .LBB369_1985
; %bb.1982:                             ;   in Loop: Header=BB369_1055 Depth=1
	v_lshrrev_b32_e32 v0, 3, v13
	v_cmp_gt_u32_e64 s0, 8, v13
	v_dual_mov_b32 v14, v12 :: v_dual_mov_b32 v13, v11
	s_delay_alu instid0(VALU_DEP_2)
	s_and_saveexec_b32 s15, s0
; %bb.1983:                             ;   in Loop: Header=BB369_1055 Depth=1
	v_and_b32_e32 v0, 7, v11
	s_delay_alu instid0(VALU_DEP_1) | instskip(NEXT) | instid1(VALU_DEP_1)
	v_clz_i32_u32_e32 v0, v0
	v_min_u32_e32 v0, 32, v0
	s_delay_alu instid0(VALU_DEP_1) | instskip(SKIP_1) | instid1(VALU_DEP_2)
	v_subrev_nc_u32_e32 v13, 28, v0
	v_sub_nc_u32_e32 v0, 29, v0
	v_lshlrev_b64 v[13:14], v13, v[11:12]
; %bb.1984:                             ;   in Loop: Header=BB369_1055 Depth=1
	s_or_b32 exec_lo, exec_lo, s15
	v_lshlrev_b32_e32 v14, 8, v11
	s_delay_alu instid0(VALU_DEP_3) | instskip(NEXT) | instid1(VALU_DEP_3)
	v_lshl_add_u32 v0, v0, 10, 0x2000
	v_lshlrev_b32_e32 v13, 7, v13
	s_delay_alu instid0(VALU_DEP_2) | instskip(NEXT) | instid1(VALU_DEP_1)
	v_and_or_b32 v0, 0x8000, v14, v0
	v_and_or_b32 v0, 0x380, v13, v0
	s_delay_alu instid0(VALU_DEP_1)
	v_cvt_f32_f16_e64 v134, v0
.LBB369_1985:                           ;   in Loop: Header=BB369_1055 Depth=1
	s_or_b32 exec_lo, exec_lo, s13
.LBB369_1986:                           ;   in Loop: Header=BB369_1055 Depth=1
	s_delay_alu instid0(SALU_CYCLE_1)
	s_or_b32 exec_lo, exec_lo, s12
.LBB369_1987:                           ;   in Loop: Header=BB369_1055 Depth=1
	s_delay_alu instid0(SALU_CYCLE_1) | instskip(SKIP_2) | instid1(VALU_DEP_1)
	s_or_b32 exec_lo, exec_lo, s10
	v_lshrrev_b16 v0, 8, v11
	s_mov_b32 s10, exec_lo
	v_cmpx_ne_u16_e32 0, v0
	s_cbranch_execz .LBB369_1995
; %bb.1988:                             ;   in Loop: Header=BB369_1055 Depth=1
	v_bfrev_b32_e32 v135, 1
	s_mov_b32 s12, exec_lo
	v_cmpx_ne_u16_e32 0x80, v0
	s_cbranch_execz .LBB369_1994
; %bb.1989:                             ;   in Loop: Header=BB369_1055 Depth=1
	v_and_b32_e32 v144, 0xffff, v0
	v_mov_b32_e32 v135, 0x7fc02000
	s_mov_b32 s13, exec_lo
	s_delay_alu instid0(VALU_DEP_2) | instskip(NEXT) | instid1(VALU_DEP_1)
	v_and_b32_e32 v145, 0x7f, v144
	v_cmpx_ne_u32_e32 0x7f, v145
	s_cbranch_execz .LBB369_1993
; %bb.1990:                             ;   in Loop: Header=BB369_1055 Depth=1
	v_and_b32_e32 v0, 7, v144
	v_lshrrev_b32_e32 v135, 3, v145
	v_mov_b32_e32 v14, v1
	s_mov_b32 s15, exec_lo
	s_delay_alu instid0(VALU_DEP_3)
	v_mov_b32_e32 v13, v0
	v_cmpx_gt_u32_e32 8, v145
; %bb.1991:                             ;   in Loop: Header=BB369_1055 Depth=1
	v_clz_i32_u32_e32 v13, v0
	s_delay_alu instid0(VALU_DEP_1) | instskip(NEXT) | instid1(VALU_DEP_1)
	v_min_u32_e32 v135, 32, v13
	v_subrev_nc_u32_e32 v13, 28, v135
	v_sub_nc_u32_e32 v135, 29, v135
	s_delay_alu instid0(VALU_DEP_2) | instskip(NEXT) | instid1(VALU_DEP_1)
	v_lshlrev_b64 v[13:14], v13, v[0:1]
	v_and_b32_e32 v13, 7, v13
; %bb.1992:                             ;   in Loop: Header=BB369_1055 Depth=1
	s_or_b32 exec_lo, exec_lo, s15
	v_lshlrev_b32_e32 v0, 8, v144
	v_lshl_add_u32 v14, v135, 10, 0x2000
	s_delay_alu instid0(VALU_DEP_1) | instskip(NEXT) | instid1(VALU_DEP_1)
	v_and_or_b32 v0, 0x8000, v0, v14
	v_lshl_or_b32 v0, v13, 7, v0
	s_delay_alu instid0(VALU_DEP_1)
	v_cvt_f32_f16_e64 v135, v0
.LBB369_1993:                           ;   in Loop: Header=BB369_1055 Depth=1
	s_or_b32 exec_lo, exec_lo, s13
.LBB369_1994:                           ;   in Loop: Header=BB369_1055 Depth=1
	s_delay_alu instid0(SALU_CYCLE_1)
	s_or_b32 exec_lo, exec_lo, s12
.LBB369_1995:                           ;   in Loop: Header=BB369_1055 Depth=1
	s_delay_alu instid0(SALU_CYCLE_1) | instskip(SKIP_3) | instid1(VALU_DEP_2)
	s_or_b32 exec_lo, exec_lo, s10
	v_lshrrev_b32_e32 v146, 16, v11
	v_mov_b32_e32 v144, 0
	s_mov_b32 s10, exec_lo
	v_dual_mov_b32 v145, 0 :: v_dual_and_b32 v0, 0xff, v146
	s_delay_alu instid0(VALU_DEP_1)
	v_cmpx_ne_u16_e32 0, v0
	s_cbranch_execz .LBB369_2003
; %bb.1996:                             ;   in Loop: Header=BB369_1055 Depth=1
	v_bfrev_b32_e32 v144, 1
	s_mov_b32 s12, exec_lo
	v_cmpx_ne_u16_e32 0x80, v0
	s_cbranch_execz .LBB369_2002
; %bb.1997:                             ;   in Loop: Header=BB369_1055 Depth=1
	v_bfe_u32 v147, v11, 16, 7
	v_mov_b32_e32 v144, 0x7fc02000
	s_mov_b32 s13, exec_lo
	s_delay_alu instid0(VALU_DEP_2)
	v_cmpx_ne_u32_e32 0x7f, v147
	s_cbranch_execz .LBB369_2001
; %bb.1998:                             ;   in Loop: Header=BB369_1055 Depth=1
	v_and_b32_e32 v0, 7, v146
	v_lshrrev_b32_e32 v144, 3, v147
	v_mov_b32_e32 v14, v1
	s_mov_b32 s15, exec_lo
	s_delay_alu instid0(VALU_DEP_3)
	v_mov_b32_e32 v13, v0
	v_cmpx_gt_u32_e32 8, v147
; %bb.1999:                             ;   in Loop: Header=BB369_1055 Depth=1
	v_clz_i32_u32_e32 v13, v0
	s_delay_alu instid0(VALU_DEP_1) | instskip(NEXT) | instid1(VALU_DEP_1)
	v_min_u32_e32 v144, 32, v13
	v_subrev_nc_u32_e32 v13, 28, v144
	v_sub_nc_u32_e32 v144, 29, v144
	s_delay_alu instid0(VALU_DEP_2) | instskip(NEXT) | instid1(VALU_DEP_1)
	v_lshlrev_b64 v[13:14], v13, v[0:1]
	v_and_b32_e32 v13, 7, v13
; %bb.2000:                             ;   in Loop: Header=BB369_1055 Depth=1
	s_or_b32 exec_lo, exec_lo, s15
	v_lshlrev_b32_e32 v0, 8, v146
	v_lshl_add_u32 v14, v144, 10, 0x2000
	s_delay_alu instid0(VALU_DEP_1) | instskip(NEXT) | instid1(VALU_DEP_1)
	v_and_or_b32 v0, 0x8000, v0, v14
	v_lshl_or_b32 v0, v13, 7, v0
	s_delay_alu instid0(VALU_DEP_1)
	v_cvt_f32_f16_e64 v144, v0
.LBB369_2001:                           ;   in Loop: Header=BB369_1055 Depth=1
	s_or_b32 exec_lo, exec_lo, s13
.LBB369_2002:                           ;   in Loop: Header=BB369_1055 Depth=1
	s_delay_alu instid0(SALU_CYCLE_1)
	s_or_b32 exec_lo, exec_lo, s12
.LBB369_2003:                           ;   in Loop: Header=BB369_1055 Depth=1
	s_delay_alu instid0(SALU_CYCLE_1) | instskip(NEXT) | instid1(SALU_CYCLE_1)
	s_or_b32 exec_lo, exec_lo, s10
	s_mov_b32 s10, exec_lo
	v_cmpx_lt_u32_e32 0xffffff, v11
	s_cbranch_execz .LBB369_2011
; %bb.2004:                             ;   in Loop: Header=BB369_1055 Depth=1
	v_lshrrev_b32_e32 v146, 24, v11
	v_bfrev_b32_e32 v145, 1
	s_mov_b32 s12, exec_lo
	s_delay_alu instid0(VALU_DEP_2)
	v_cmpx_ne_u32_e32 0x80, v146
	s_cbranch_execz .LBB369_2010
; %bb.2005:                             ;   in Loop: Header=BB369_1055 Depth=1
	v_and_b32_e32 v147, 0x7f, v146
	v_mov_b32_e32 v145, 0x7fc02000
	s_mov_b32 s13, exec_lo
	s_delay_alu instid0(VALU_DEP_2)
	v_cmpx_ne_u32_e32 0x7f, v147
	s_cbranch_execz .LBB369_2009
; %bb.2006:                             ;   in Loop: Header=BB369_1055 Depth=1
	v_and_b32_e32 v0, 7, v146
	v_lshrrev_b32_e32 v145, 3, v147
	v_mov_b32_e32 v14, v1
	s_mov_b32 s15, exec_lo
	s_delay_alu instid0(VALU_DEP_3)
	v_mov_b32_e32 v13, v0
	v_cmpx_gt_u32_e32 8, v147
; %bb.2007:                             ;   in Loop: Header=BB369_1055 Depth=1
	v_clz_i32_u32_e32 v13, v0
	s_delay_alu instid0(VALU_DEP_1) | instskip(NEXT) | instid1(VALU_DEP_1)
	v_min_u32_e32 v145, 32, v13
	v_subrev_nc_u32_e32 v13, 28, v145
	v_sub_nc_u32_e32 v145, 29, v145
	s_delay_alu instid0(VALU_DEP_2) | instskip(NEXT) | instid1(VALU_DEP_1)
	v_lshlrev_b64 v[13:14], v13, v[0:1]
	v_and_b32_e32 v13, 7, v13
; %bb.2008:                             ;   in Loop: Header=BB369_1055 Depth=1
	s_or_b32 exec_lo, exec_lo, s15
	v_lshlrev_b32_e32 v0, 8, v146
	v_lshl_add_u32 v14, v145, 10, 0x2000
	s_delay_alu instid0(VALU_DEP_1) | instskip(NEXT) | instid1(VALU_DEP_1)
	v_and_or_b32 v0, 0x8000, v0, v14
	v_lshl_or_b32 v0, v13, 7, v0
	s_delay_alu instid0(VALU_DEP_1)
	v_cvt_f32_f16_e64 v145, v0
.LBB369_2009:                           ;   in Loop: Header=BB369_1055 Depth=1
	s_or_b32 exec_lo, exec_lo, s13
.LBB369_2010:                           ;   in Loop: Header=BB369_1055 Depth=1
	s_delay_alu instid0(SALU_CYCLE_1)
	s_or_b32 exec_lo, exec_lo, s12
.LBB369_2011:                           ;   in Loop: Header=BB369_1055 Depth=1
	s_delay_alu instid0(SALU_CYCLE_1) | instskip(SKIP_3) | instid1(VALU_DEP_2)
	s_or_b32 exec_lo, exec_lo, s10
	v_dual_mov_b32 v0, v12 :: v_dual_and_b32 v13, 0xff, v12
	v_dual_mov_b32 v147, 0 :: v_dual_mov_b32 v146, 0
	s_mov_b32 s10, exec_lo
	v_cmpx_ne_u16_e32 0, v13
	s_cbranch_execz .LBB369_2019
; %bb.2012:                             ;   in Loop: Header=BB369_1055 Depth=1
	v_bfrev_b32_e32 v146, 1
	s_mov_b32 s12, exec_lo
	v_cmpx_ne_u16_e32 0x80, v13
	s_cbranch_execz .LBB369_2018
; %bb.2013:                             ;   in Loop: Header=BB369_1055 Depth=1
	v_and_b32_e32 v148, 0x7f, v12
	v_mov_b32_e32 v146, 0x7fc02000
	s_mov_b32 s13, exec_lo
	s_delay_alu instid0(VALU_DEP_2)
	v_cmpx_ne_u32_e32 0x7f, v148
	s_cbranch_execz .LBB369_2017
; %bb.2014:                             ;   in Loop: Header=BB369_1055 Depth=1
	v_dual_mov_b32 v14, v1 :: v_dual_mov_b32 v13, v0
	v_lshrrev_b32_e32 v14, 3, v148
	s_mov_b32 s15, exec_lo
	v_cmpx_gt_u32_e32 8, v148
; %bb.2015:                             ;   in Loop: Header=BB369_1055 Depth=1
	v_and_b32_e32 v13, 7, v12
	s_delay_alu instid0(VALU_DEP_1) | instskip(NEXT) | instid1(VALU_DEP_1)
	v_clz_i32_u32_e32 v13, v13
	v_min_u32_e32 v146, 32, v13
	s_delay_alu instid0(VALU_DEP_1) | instskip(NEXT) | instid1(VALU_DEP_1)
	v_subrev_nc_u32_e32 v13, 28, v146
	v_lshlrev_b64 v[13:14], v13, v[0:1]
	v_sub_nc_u32_e32 v14, 29, v146
; %bb.2016:                             ;   in Loop: Header=BB369_1055 Depth=1
	s_or_b32 exec_lo, exec_lo, s15
	v_lshlrev_b32_e32 v146, 8, v12
	s_delay_alu instid0(VALU_DEP_2) | instskip(NEXT) | instid1(VALU_DEP_4)
	v_lshl_add_u32 v14, v14, 10, 0x2000
	v_lshlrev_b32_e32 v13, 7, v13
	s_delay_alu instid0(VALU_DEP_2) | instskip(NEXT) | instid1(VALU_DEP_1)
	v_and_or_b32 v14, 0x8000, v146, v14
	v_and_or_b32 v13, 0x380, v13, v14
	s_delay_alu instid0(VALU_DEP_1)
	v_cvt_f32_f16_e64 v146, v13
.LBB369_2017:                           ;   in Loop: Header=BB369_1055 Depth=1
	s_or_b32 exec_lo, exec_lo, s13
.LBB369_2018:                           ;   in Loop: Header=BB369_1055 Depth=1
	s_delay_alu instid0(SALU_CYCLE_1)
	s_or_b32 exec_lo, exec_lo, s12
.LBB369_2019:                           ;   in Loop: Header=BB369_1055 Depth=1
	s_delay_alu instid0(SALU_CYCLE_1) | instskip(SKIP_2) | instid1(VALU_DEP_1)
	s_or_b32 exec_lo, exec_lo, s10
	v_lshrrev_b16 v0, 8, v0
	s_mov_b32 s10, exec_lo
	v_cmpx_ne_u16_e32 0, v0
	s_cbranch_execz .LBB369_2027
; %bb.2020:                             ;   in Loop: Header=BB369_1055 Depth=1
	v_bfrev_b32_e32 v147, 1
	s_mov_b32 s12, exec_lo
	v_cmpx_ne_u16_e32 0x80, v0
	s_cbranch_execz .LBB369_2026
; %bb.2021:                             ;   in Loop: Header=BB369_1055 Depth=1
	v_and_b32_e32 v148, 0xffff, v0
	v_mov_b32_e32 v147, 0x7fc02000
	s_mov_b32 s13, exec_lo
	s_delay_alu instid0(VALU_DEP_2) | instskip(NEXT) | instid1(VALU_DEP_1)
	v_and_b32_e32 v149, 0x7f, v148
	v_cmpx_ne_u32_e32 0x7f, v149
	s_cbranch_execz .LBB369_2025
; %bb.2022:                             ;   in Loop: Header=BB369_1055 Depth=1
	v_and_b32_e32 v0, 7, v148
	v_lshrrev_b32_e32 v147, 3, v149
	v_mov_b32_e32 v14, v1
	s_mov_b32 s15, exec_lo
	s_delay_alu instid0(VALU_DEP_3)
	v_mov_b32_e32 v13, v0
	v_cmpx_gt_u32_e32 8, v149
; %bb.2023:                             ;   in Loop: Header=BB369_1055 Depth=1
	v_clz_i32_u32_e32 v13, v0
	s_delay_alu instid0(VALU_DEP_1) | instskip(NEXT) | instid1(VALU_DEP_1)
	v_min_u32_e32 v147, 32, v13
	v_subrev_nc_u32_e32 v13, 28, v147
	v_sub_nc_u32_e32 v147, 29, v147
	s_delay_alu instid0(VALU_DEP_2) | instskip(NEXT) | instid1(VALU_DEP_1)
	v_lshlrev_b64 v[13:14], v13, v[0:1]
	v_and_b32_e32 v13, 7, v13
; %bb.2024:                             ;   in Loop: Header=BB369_1055 Depth=1
	s_or_b32 exec_lo, exec_lo, s15
	v_lshlrev_b32_e32 v0, 8, v148
	v_lshl_add_u32 v14, v147, 10, 0x2000
	s_delay_alu instid0(VALU_DEP_1) | instskip(NEXT) | instid1(VALU_DEP_1)
	v_and_or_b32 v0, 0x8000, v0, v14
	v_lshl_or_b32 v0, v13, 7, v0
	s_delay_alu instid0(VALU_DEP_1)
	v_cvt_f32_f16_e64 v147, v0
.LBB369_2025:                           ;   in Loop: Header=BB369_1055 Depth=1
	s_or_b32 exec_lo, exec_lo, s13
.LBB369_2026:                           ;   in Loop: Header=BB369_1055 Depth=1
	s_delay_alu instid0(SALU_CYCLE_1)
	s_or_b32 exec_lo, exec_lo, s12
.LBB369_2027:                           ;   in Loop: Header=BB369_1055 Depth=1
	s_delay_alu instid0(SALU_CYCLE_1) | instskip(SKIP_3) | instid1(VALU_DEP_2)
	s_or_b32 exec_lo, exec_lo, s10
	v_lshrrev_b32_e32 v149, 16, v12
	v_mov_b32_e32 v148, 0
	s_mov_b32 s10, exec_lo
	v_dual_mov_b32 v13, 0 :: v_dual_and_b32 v0, 0xff, v149
	s_delay_alu instid0(VALU_DEP_1)
	v_cmpx_ne_u16_e32 0, v0
	s_cbranch_execz .LBB369_2035
; %bb.2028:                             ;   in Loop: Header=BB369_1055 Depth=1
	v_bfrev_b32_e32 v13, 1
	s_mov_b32 s12, exec_lo
	v_cmpx_ne_u16_e32 0x80, v0
	s_cbranch_execz .LBB369_2034
; %bb.2029:                             ;   in Loop: Header=BB369_1055 Depth=1
	v_bfe_u32 v151, v12, 16, 7
	v_mov_b32_e32 v13, 0x7fc02000
	s_mov_b32 s13, exec_lo
	s_delay_alu instid0(VALU_DEP_2)
	v_cmpx_ne_u32_e32 0x7f, v151
	s_cbranch_execz .LBB369_2033
; %bb.2030:                             ;   in Loop: Header=BB369_1055 Depth=1
	v_and_b32_e32 v0, 7, v149
	v_lshrrev_b32_e32 v150, 3, v151
	v_mov_b32_e32 v14, v1
	s_mov_b32 s15, exec_lo
	s_delay_alu instid0(VALU_DEP_3)
	v_mov_b32_e32 v13, v0
	v_cmpx_gt_u32_e32 8, v151
; %bb.2031:                             ;   in Loop: Header=BB369_1055 Depth=1
	v_clz_i32_u32_e32 v13, v0
	s_delay_alu instid0(VALU_DEP_1) | instskip(NEXT) | instid1(VALU_DEP_1)
	v_min_u32_e32 v150, 32, v13
	v_subrev_nc_u32_e32 v13, 28, v150
	v_sub_nc_u32_e32 v150, 29, v150
	s_delay_alu instid0(VALU_DEP_2) | instskip(NEXT) | instid1(VALU_DEP_1)
	v_lshlrev_b64 v[13:14], v13, v[0:1]
	v_and_b32_e32 v13, 7, v13
; %bb.2032:                             ;   in Loop: Header=BB369_1055 Depth=1
	s_or_b32 exec_lo, exec_lo, s15
	v_lshlrev_b32_e32 v0, 8, v149
	v_lshl_add_u32 v14, v150, 10, 0x2000
	s_delay_alu instid0(VALU_DEP_1) | instskip(NEXT) | instid1(VALU_DEP_1)
	v_and_or_b32 v0, 0x8000, v0, v14
	v_lshl_or_b32 v0, v13, 7, v0
	s_delay_alu instid0(VALU_DEP_1)
	v_cvt_f32_f16_e32 v13, v0
.LBB369_2033:                           ;   in Loop: Header=BB369_1055 Depth=1
	s_or_b32 exec_lo, exec_lo, s13
.LBB369_2034:                           ;   in Loop: Header=BB369_1055 Depth=1
	s_delay_alu instid0(SALU_CYCLE_1)
	s_or_b32 exec_lo, exec_lo, s12
.LBB369_2035:                           ;   in Loop: Header=BB369_1055 Depth=1
	s_delay_alu instid0(SALU_CYCLE_1) | instskip(NEXT) | instid1(SALU_CYCLE_1)
	s_or_b32 exec_lo, exec_lo, s10
	s_mov_b32 s10, exec_lo
	v_cmpx_lt_u64_e64 s[8:9], v[11:12]
	s_cbranch_execz .LBB369_2043
; %bb.2036:                             ;   in Loop: Header=BB369_1055 Depth=1
	v_lshrrev_b32_e32 v14, 24, v12
	v_bfrev_b32_e32 v148, 1
	s_mov_b32 s12, exec_lo
	s_delay_alu instid0(VALU_DEP_2)
	v_cmpx_ne_u32_e32 0x80, v14
	s_cbranch_execz .LBB369_2042
; %bb.2037:                             ;   in Loop: Header=BB369_1055 Depth=1
	v_and_b32_e32 v149, 0x7f, v14
	v_mov_b32_e32 v148, 0x7fc02000
	s_mov_b32 s13, exec_lo
	s_delay_alu instid0(VALU_DEP_2)
	v_cmpx_ne_u32_e32 0x7f, v149
	s_cbranch_execz .LBB369_2041
; %bb.2038:                             ;   in Loop: Header=BB369_1055 Depth=1
	v_and_b32_e32 v0, 7, v14
	v_lshrrev_b32_e32 v148, 3, v149
	v_mov_b32_e32 v12, v1
	s_mov_b32 s15, exec_lo
	s_delay_alu instid0(VALU_DEP_3)
	v_mov_b32_e32 v11, v0
	v_cmpx_gt_u32_e32 8, v149
; %bb.2039:                             ;   in Loop: Header=BB369_1055 Depth=1
	v_clz_i32_u32_e32 v11, v0
	s_delay_alu instid0(VALU_DEP_1) | instskip(NEXT) | instid1(VALU_DEP_1)
	v_min_u32_e32 v148, 32, v11
	v_subrev_nc_u32_e32 v11, 28, v148
	v_sub_nc_u32_e32 v148, 29, v148
	s_delay_alu instid0(VALU_DEP_2) | instskip(NEXT) | instid1(VALU_DEP_1)
	v_lshlrev_b64 v[11:12], v11, v[0:1]
	v_and_b32_e32 v11, 7, v11
; %bb.2040:                             ;   in Loop: Header=BB369_1055 Depth=1
	s_or_b32 exec_lo, exec_lo, s15
	v_lshlrev_b32_e32 v0, 8, v14
	v_lshl_add_u32 v12, v148, 10, 0x2000
	s_delay_alu instid0(VALU_DEP_1) | instskip(NEXT) | instid1(VALU_DEP_1)
	v_and_or_b32 v0, 0x8000, v0, v12
	v_lshl_or_b32 v0, v11, 7, v0
	s_delay_alu instid0(VALU_DEP_1)
	v_cvt_f32_f16_e64 v148, v0
.LBB369_2041:                           ;   in Loop: Header=BB369_1055 Depth=1
	s_or_b32 exec_lo, exec_lo, s13
.LBB369_2042:                           ;   in Loop: Header=BB369_1055 Depth=1
	s_delay_alu instid0(SALU_CYCLE_1)
	s_or_b32 exec_lo, exec_lo, s12
.LBB369_2043:                           ;   in Loop: Header=BB369_1055 Depth=1
	s_delay_alu instid0(SALU_CYCLE_1)
	s_or_b32 exec_lo, exec_lo, s10
	s_waitcnt vmcnt(0) lgkmcnt(0)
	v_fma_mixlo_f16 v12, v133, v135, 0
	v_fma_mixlo_f16 v0, v133, v145, 0
	;; [unrolled: 1-line block ×5, first 2 shown]
	v_lshlrev_b32_e32 v14, 16, v12
	v_fma_mixlo_f16 v144, v133, v146, 0
	v_fma_mixlo_f16 v145, v133, v148, 0
	;; [unrolled: 1-line block ×3, first 2 shown]
	v_lshlrev_b32_e32 v0, 16, v0
	v_and_b32_e32 v11, 0xffff, v11
	v_and_b32_e32 v133, 0xffff, v134
	v_lshlrev_b32_e32 v134, 16, v135
	v_and_b32_e32 v135, 0xffff, v144
	v_lshlrev_b32_e32 v144, 16, v145
	v_and_b32_e32 v145, 0xffff, v12
	v_or_b32_e32 v13, v0, v11
	v_or_b32_e32 v14, v14, v133
	;; [unrolled: 1-line block ×3, first 2 shown]
	s_delay_alu instid0(VALU_DEP_4)
	v_or_b32_e32 v11, v144, v145
	s_and_saveexec_b32 s10, vcc_lo
	s_cbranch_execz .LBB369_2045
; %bb.2044:                             ;   in Loop: Header=BB369_1055 Depth=1
	v_cmp_lt_i32_e64 s0, v15, v36
	v_lshrrev_b32_e32 v133, 16, v14
	v_lshrrev_b32_e32 v134, 16, v13
	;; [unrolled: 1-line block ×4, first 2 shown]
	v_cndmask_b32_e64 v14, 0, v14, s0
	v_cmp_lt_i32_e64 s0, v82, v48
	s_delay_alu instid0(VALU_DEP_1) | instskip(SKIP_1) | instid1(VALU_DEP_2)
	v_cndmask_b32_e64 v133, 0, v133, s0
	v_cmp_lt_i32_e64 s0, v81, v48
	v_perm_b32 v14, v133, v14, 0x5040100
	s_delay_alu instid0(VALU_DEP_2) | instskip(SKIP_1) | instid1(VALU_DEP_1)
	v_cndmask_b32_e64 v134, 0, v134, s0
	v_cmp_lt_i32_e64 s0, v70, v36
	v_cndmask_b32_e64 v13, 0, v13, s0
	v_cmp_lt_i32_e64 s0, v65, v48
	s_delay_alu instid0(VALU_DEP_2) | instskip(NEXT) | instid1(VALU_DEP_2)
	v_perm_b32 v13, v134, v13, 0x5040100
	v_cndmask_b32_e64 v135, 0, v135, s0
	v_cmp_lt_i32_e64 s0, v64, v36
	s_delay_alu instid0(VALU_DEP_1) | instskip(SKIP_1) | instid1(VALU_DEP_2)
	v_cndmask_b32_e64 v0, 0, v0, s0
	v_cmp_lt_i32_e64 s0, v38, v48
	v_perm_b32 v0, v135, v0, 0x5040100
	s_delay_alu instid0(VALU_DEP_2) | instskip(SKIP_1) | instid1(VALU_DEP_1)
	v_cndmask_b32_e64 v11, 0, v11, s0
	v_cmp_lt_i32_e64 s0, v17, v36
	v_cndmask_b32_e64 v12, 0, v12, s0
	s_delay_alu instid0(VALU_DEP_1)
	v_perm_b32 v11, v11, v12, 0x5040100
.LBB369_2045:                           ;   in Loop: Header=BB369_1055 Depth=1
	s_or_b32 exec_lo, exec_lo, s10
	;;#ASMSTART
	v_pk_mul_f16 v12, v80, v14;

	;;#ASMEND
	;;#ASMSTART
	v_pk_mul_f16 v13, v69, v13;

	;;#ASMEND
	;; [unrolled: 4-line block ×4, first 2 shown]
	;;#ASMSTART
	v_pk_add_f16 v12, v12, v13;

	;;#ASMEND
	;;#ASMSTART
	v_pk_add_f16 v0, v12, v0;

	;;#ASMEND
	;; [unrolled: 4-line block ×3, first 2 shown]
	v_dual_mov_b32 v134, 0 :: v_dual_and_b32 v11, 0xffff, v0
	v_lshrrev_b32_e32 v0, 16, v0
	;;#ASMSTART
	v_cvt_f32_f16 v13, v11;
	;;#ASMEND
	;;#ASMSTART
	v_cvt_f32_f16 v14, v0;
	;;#ASMEND
	flat_load_b64 v[9:10], v[9:10] offset:3840
	flat_load_b32 v133, v[26:27]
	s_mov_b32 s10, exec_lo
	s_waitcnt vmcnt(1) lgkmcnt(1)
	v_dual_mov_b32 v135, 0 :: v_dual_and_b32 v0, 0xff, v9
	s_delay_alu instid0(VALU_DEP_1)
	v_cmpx_ne_u16_e32 0, v0
	s_cbranch_execz .LBB369_2053
; %bb.2046:                             ;   in Loop: Header=BB369_1055 Depth=1
	v_bfrev_b32_e32 v134, 1
	s_mov_b32 s12, exec_lo
	v_cmpx_ne_u16_e32 0x80, v0
	s_cbranch_execz .LBB369_2052
; %bb.2047:                             ;   in Loop: Header=BB369_1055 Depth=1
	v_and_b32_e32 v11, 0x7f, v9
	v_mov_b32_e32 v134, 0x7fc02000
	s_mov_b32 s13, exec_lo
	s_delay_alu instid0(VALU_DEP_2)
	v_cmpx_ne_u32_e32 0x7f, v11
	s_cbranch_execz .LBB369_2051
; %bb.2048:                             ;   in Loop: Header=BB369_1055 Depth=1
	v_lshrrev_b32_e32 v0, 3, v11
	v_cmp_gt_u32_e64 s0, 8, v11
	v_dual_mov_b32 v12, v10 :: v_dual_mov_b32 v11, v9
	s_delay_alu instid0(VALU_DEP_2)
	s_and_saveexec_b32 s15, s0
; %bb.2049:                             ;   in Loop: Header=BB369_1055 Depth=1
	v_and_b32_e32 v0, 7, v9
	s_delay_alu instid0(VALU_DEP_1) | instskip(NEXT) | instid1(VALU_DEP_1)
	v_clz_i32_u32_e32 v0, v0
	v_min_u32_e32 v0, 32, v0
	s_delay_alu instid0(VALU_DEP_1) | instskip(SKIP_1) | instid1(VALU_DEP_2)
	v_subrev_nc_u32_e32 v11, 28, v0
	v_sub_nc_u32_e32 v0, 29, v0
	v_lshlrev_b64 v[11:12], v11, v[9:10]
; %bb.2050:                             ;   in Loop: Header=BB369_1055 Depth=1
	s_or_b32 exec_lo, exec_lo, s15
	v_lshlrev_b32_e32 v12, 8, v9
	s_delay_alu instid0(VALU_DEP_3) | instskip(NEXT) | instid1(VALU_DEP_3)
	v_lshl_add_u32 v0, v0, 10, 0x2000
	v_lshlrev_b32_e32 v11, 7, v11
	s_delay_alu instid0(VALU_DEP_2) | instskip(NEXT) | instid1(VALU_DEP_1)
	v_and_or_b32 v0, 0x8000, v12, v0
	v_and_or_b32 v0, 0x380, v11, v0
	s_delay_alu instid0(VALU_DEP_1)
	v_cvt_f32_f16_e64 v134, v0
.LBB369_2051:                           ;   in Loop: Header=BB369_1055 Depth=1
	s_or_b32 exec_lo, exec_lo, s13
.LBB369_2052:                           ;   in Loop: Header=BB369_1055 Depth=1
	s_delay_alu instid0(SALU_CYCLE_1)
	s_or_b32 exec_lo, exec_lo, s12
.LBB369_2053:                           ;   in Loop: Header=BB369_1055 Depth=1
	s_delay_alu instid0(SALU_CYCLE_1) | instskip(SKIP_2) | instid1(VALU_DEP_1)
	s_or_b32 exec_lo, exec_lo, s10
	v_lshrrev_b16 v0, 8, v9
	s_mov_b32 s10, exec_lo
	v_cmpx_ne_u16_e32 0, v0
	s_cbranch_execz .LBB369_2061
; %bb.2054:                             ;   in Loop: Header=BB369_1055 Depth=1
	v_bfrev_b32_e32 v135, 1
	s_mov_b32 s12, exec_lo
	v_cmpx_ne_u16_e32 0x80, v0
	s_cbranch_execz .LBB369_2060
; %bb.2055:                             ;   in Loop: Header=BB369_1055 Depth=1
	v_and_b32_e32 v144, 0xffff, v0
	v_mov_b32_e32 v135, 0x7fc02000
	s_mov_b32 s13, exec_lo
	s_delay_alu instid0(VALU_DEP_2) | instskip(NEXT) | instid1(VALU_DEP_1)
	v_and_b32_e32 v145, 0x7f, v144
	v_cmpx_ne_u32_e32 0x7f, v145
	s_cbranch_execz .LBB369_2059
; %bb.2056:                             ;   in Loop: Header=BB369_1055 Depth=1
	v_and_b32_e32 v0, 7, v144
	v_lshrrev_b32_e32 v135, 3, v145
	v_mov_b32_e32 v12, v1
	s_mov_b32 s15, exec_lo
	s_delay_alu instid0(VALU_DEP_3)
	v_mov_b32_e32 v11, v0
	v_cmpx_gt_u32_e32 8, v145
; %bb.2057:                             ;   in Loop: Header=BB369_1055 Depth=1
	v_clz_i32_u32_e32 v11, v0
	s_delay_alu instid0(VALU_DEP_1) | instskip(NEXT) | instid1(VALU_DEP_1)
	v_min_u32_e32 v135, 32, v11
	v_subrev_nc_u32_e32 v11, 28, v135
	v_sub_nc_u32_e32 v135, 29, v135
	s_delay_alu instid0(VALU_DEP_2) | instskip(NEXT) | instid1(VALU_DEP_1)
	v_lshlrev_b64 v[11:12], v11, v[0:1]
	v_and_b32_e32 v11, 7, v11
; %bb.2058:                             ;   in Loop: Header=BB369_1055 Depth=1
	s_or_b32 exec_lo, exec_lo, s15
	v_lshlrev_b32_e32 v0, 8, v144
	v_lshl_add_u32 v12, v135, 10, 0x2000
	s_delay_alu instid0(VALU_DEP_1) | instskip(NEXT) | instid1(VALU_DEP_1)
	v_and_or_b32 v0, 0x8000, v0, v12
	v_lshl_or_b32 v0, v11, 7, v0
	s_delay_alu instid0(VALU_DEP_1)
	v_cvt_f32_f16_e64 v135, v0
.LBB369_2059:                           ;   in Loop: Header=BB369_1055 Depth=1
	s_or_b32 exec_lo, exec_lo, s13
.LBB369_2060:                           ;   in Loop: Header=BB369_1055 Depth=1
	s_delay_alu instid0(SALU_CYCLE_1)
	s_or_b32 exec_lo, exec_lo, s12
.LBB369_2061:                           ;   in Loop: Header=BB369_1055 Depth=1
	s_delay_alu instid0(SALU_CYCLE_1) | instskip(SKIP_3) | instid1(VALU_DEP_2)
	s_or_b32 exec_lo, exec_lo, s10
	v_lshrrev_b32_e32 v146, 16, v9
	v_mov_b32_e32 v144, 0
	s_mov_b32 s10, exec_lo
	v_dual_mov_b32 v145, 0 :: v_dual_and_b32 v0, 0xff, v146
	s_delay_alu instid0(VALU_DEP_1)
	v_cmpx_ne_u16_e32 0, v0
	s_cbranch_execz .LBB369_2069
; %bb.2062:                             ;   in Loop: Header=BB369_1055 Depth=1
	v_bfrev_b32_e32 v144, 1
	s_mov_b32 s12, exec_lo
	v_cmpx_ne_u16_e32 0x80, v0
	s_cbranch_execz .LBB369_2068
; %bb.2063:                             ;   in Loop: Header=BB369_1055 Depth=1
	v_bfe_u32 v147, v9, 16, 7
	v_mov_b32_e32 v144, 0x7fc02000
	s_mov_b32 s13, exec_lo
	s_delay_alu instid0(VALU_DEP_2)
	v_cmpx_ne_u32_e32 0x7f, v147
	s_cbranch_execz .LBB369_2067
; %bb.2064:                             ;   in Loop: Header=BB369_1055 Depth=1
	v_and_b32_e32 v0, 7, v146
	v_lshrrev_b32_e32 v144, 3, v147
	v_mov_b32_e32 v12, v1
	s_mov_b32 s15, exec_lo
	s_delay_alu instid0(VALU_DEP_3)
	v_mov_b32_e32 v11, v0
	v_cmpx_gt_u32_e32 8, v147
; %bb.2065:                             ;   in Loop: Header=BB369_1055 Depth=1
	v_clz_i32_u32_e32 v11, v0
	s_delay_alu instid0(VALU_DEP_1) | instskip(NEXT) | instid1(VALU_DEP_1)
	v_min_u32_e32 v144, 32, v11
	v_subrev_nc_u32_e32 v11, 28, v144
	v_sub_nc_u32_e32 v144, 29, v144
	s_delay_alu instid0(VALU_DEP_2) | instskip(NEXT) | instid1(VALU_DEP_1)
	v_lshlrev_b64 v[11:12], v11, v[0:1]
	v_and_b32_e32 v11, 7, v11
; %bb.2066:                             ;   in Loop: Header=BB369_1055 Depth=1
	s_or_b32 exec_lo, exec_lo, s15
	v_lshlrev_b32_e32 v0, 8, v146
	v_lshl_add_u32 v12, v144, 10, 0x2000
	s_delay_alu instid0(VALU_DEP_1) | instskip(NEXT) | instid1(VALU_DEP_1)
	v_and_or_b32 v0, 0x8000, v0, v12
	v_lshl_or_b32 v0, v11, 7, v0
	s_delay_alu instid0(VALU_DEP_1)
	v_cvt_f32_f16_e64 v144, v0
.LBB369_2067:                           ;   in Loop: Header=BB369_1055 Depth=1
	s_or_b32 exec_lo, exec_lo, s13
.LBB369_2068:                           ;   in Loop: Header=BB369_1055 Depth=1
	s_delay_alu instid0(SALU_CYCLE_1)
	s_or_b32 exec_lo, exec_lo, s12
.LBB369_2069:                           ;   in Loop: Header=BB369_1055 Depth=1
	s_delay_alu instid0(SALU_CYCLE_1) | instskip(NEXT) | instid1(SALU_CYCLE_1)
	s_or_b32 exec_lo, exec_lo, s10
	s_mov_b32 s10, exec_lo
	v_cmpx_lt_u32_e32 0xffffff, v9
	s_cbranch_execz .LBB369_2077
; %bb.2070:                             ;   in Loop: Header=BB369_1055 Depth=1
	v_lshrrev_b32_e32 v146, 24, v9
	v_bfrev_b32_e32 v145, 1
	s_mov_b32 s12, exec_lo
	s_delay_alu instid0(VALU_DEP_2)
	v_cmpx_ne_u32_e32 0x80, v146
	s_cbranch_execz .LBB369_2076
; %bb.2071:                             ;   in Loop: Header=BB369_1055 Depth=1
	v_and_b32_e32 v147, 0x7f, v146
	v_mov_b32_e32 v145, 0x7fc02000
	s_mov_b32 s13, exec_lo
	s_delay_alu instid0(VALU_DEP_2)
	v_cmpx_ne_u32_e32 0x7f, v147
	s_cbranch_execz .LBB369_2075
; %bb.2072:                             ;   in Loop: Header=BB369_1055 Depth=1
	v_and_b32_e32 v0, 7, v146
	v_lshrrev_b32_e32 v145, 3, v147
	v_mov_b32_e32 v12, v1
	s_mov_b32 s15, exec_lo
	s_delay_alu instid0(VALU_DEP_3)
	v_mov_b32_e32 v11, v0
	v_cmpx_gt_u32_e32 8, v147
; %bb.2073:                             ;   in Loop: Header=BB369_1055 Depth=1
	v_clz_i32_u32_e32 v11, v0
	s_delay_alu instid0(VALU_DEP_1) | instskip(NEXT) | instid1(VALU_DEP_1)
	v_min_u32_e32 v145, 32, v11
	v_subrev_nc_u32_e32 v11, 28, v145
	v_sub_nc_u32_e32 v145, 29, v145
	s_delay_alu instid0(VALU_DEP_2) | instskip(NEXT) | instid1(VALU_DEP_1)
	v_lshlrev_b64 v[11:12], v11, v[0:1]
	v_and_b32_e32 v11, 7, v11
; %bb.2074:                             ;   in Loop: Header=BB369_1055 Depth=1
	s_or_b32 exec_lo, exec_lo, s15
	v_lshlrev_b32_e32 v0, 8, v146
	v_lshl_add_u32 v12, v145, 10, 0x2000
	s_delay_alu instid0(VALU_DEP_1) | instskip(NEXT) | instid1(VALU_DEP_1)
	v_and_or_b32 v0, 0x8000, v0, v12
	v_lshl_or_b32 v0, v11, 7, v0
	s_delay_alu instid0(VALU_DEP_1)
	v_cvt_f32_f16_e64 v145, v0
.LBB369_2075:                           ;   in Loop: Header=BB369_1055 Depth=1
	s_or_b32 exec_lo, exec_lo, s13
.LBB369_2076:                           ;   in Loop: Header=BB369_1055 Depth=1
	s_delay_alu instid0(SALU_CYCLE_1)
	s_or_b32 exec_lo, exec_lo, s12
.LBB369_2077:                           ;   in Loop: Header=BB369_1055 Depth=1
	s_delay_alu instid0(SALU_CYCLE_1) | instskip(SKIP_3) | instid1(VALU_DEP_2)
	s_or_b32 exec_lo, exec_lo, s10
	v_dual_mov_b32 v0, v10 :: v_dual_and_b32 v11, 0xff, v10
	v_dual_mov_b32 v147, 0 :: v_dual_mov_b32 v146, 0
	s_mov_b32 s10, exec_lo
	v_cmpx_ne_u16_e32 0, v11
	s_cbranch_execz .LBB369_2085
; %bb.2078:                             ;   in Loop: Header=BB369_1055 Depth=1
	v_bfrev_b32_e32 v146, 1
	s_mov_b32 s12, exec_lo
	v_cmpx_ne_u16_e32 0x80, v11
	s_cbranch_execz .LBB369_2084
; %bb.2079:                             ;   in Loop: Header=BB369_1055 Depth=1
	v_and_b32_e32 v148, 0x7f, v10
	v_mov_b32_e32 v146, 0x7fc02000
	s_mov_b32 s13, exec_lo
	s_delay_alu instid0(VALU_DEP_2)
	v_cmpx_ne_u32_e32 0x7f, v148
	s_cbranch_execz .LBB369_2083
; %bb.2080:                             ;   in Loop: Header=BB369_1055 Depth=1
	v_dual_mov_b32 v12, v1 :: v_dual_mov_b32 v11, v0
	v_lshrrev_b32_e32 v12, 3, v148
	s_mov_b32 s15, exec_lo
	v_cmpx_gt_u32_e32 8, v148
; %bb.2081:                             ;   in Loop: Header=BB369_1055 Depth=1
	v_and_b32_e32 v11, 7, v10
	s_delay_alu instid0(VALU_DEP_1) | instskip(NEXT) | instid1(VALU_DEP_1)
	v_clz_i32_u32_e32 v11, v11
	v_min_u32_e32 v146, 32, v11
	s_delay_alu instid0(VALU_DEP_1) | instskip(NEXT) | instid1(VALU_DEP_1)
	v_subrev_nc_u32_e32 v11, 28, v146
	v_lshlrev_b64 v[11:12], v11, v[0:1]
	v_sub_nc_u32_e32 v12, 29, v146
; %bb.2082:                             ;   in Loop: Header=BB369_1055 Depth=1
	s_or_b32 exec_lo, exec_lo, s15
	v_lshlrev_b32_e32 v146, 8, v10
	s_delay_alu instid0(VALU_DEP_2) | instskip(NEXT) | instid1(VALU_DEP_4)
	v_lshl_add_u32 v12, v12, 10, 0x2000
	v_lshlrev_b32_e32 v11, 7, v11
	s_delay_alu instid0(VALU_DEP_2) | instskip(NEXT) | instid1(VALU_DEP_1)
	v_and_or_b32 v12, 0x8000, v146, v12
	v_and_or_b32 v11, 0x380, v11, v12
	s_delay_alu instid0(VALU_DEP_1)
	v_cvt_f32_f16_e64 v146, v11
.LBB369_2083:                           ;   in Loop: Header=BB369_1055 Depth=1
	s_or_b32 exec_lo, exec_lo, s13
.LBB369_2084:                           ;   in Loop: Header=BB369_1055 Depth=1
	s_delay_alu instid0(SALU_CYCLE_1)
	s_or_b32 exec_lo, exec_lo, s12
.LBB369_2085:                           ;   in Loop: Header=BB369_1055 Depth=1
	s_delay_alu instid0(SALU_CYCLE_1) | instskip(SKIP_2) | instid1(VALU_DEP_1)
	s_or_b32 exec_lo, exec_lo, s10
	v_lshrrev_b16 v0, 8, v0
	s_mov_b32 s10, exec_lo
	v_cmpx_ne_u16_e32 0, v0
	s_cbranch_execz .LBB369_2093
; %bb.2086:                             ;   in Loop: Header=BB369_1055 Depth=1
	v_bfrev_b32_e32 v147, 1
	s_mov_b32 s12, exec_lo
	v_cmpx_ne_u16_e32 0x80, v0
	s_cbranch_execz .LBB369_2092
; %bb.2087:                             ;   in Loop: Header=BB369_1055 Depth=1
	v_and_b32_e32 v148, 0xffff, v0
	v_mov_b32_e32 v147, 0x7fc02000
	s_mov_b32 s13, exec_lo
	s_delay_alu instid0(VALU_DEP_2) | instskip(NEXT) | instid1(VALU_DEP_1)
	v_and_b32_e32 v149, 0x7f, v148
	v_cmpx_ne_u32_e32 0x7f, v149
	s_cbranch_execz .LBB369_2091
; %bb.2088:                             ;   in Loop: Header=BB369_1055 Depth=1
	v_and_b32_e32 v0, 7, v148
	v_lshrrev_b32_e32 v147, 3, v149
	v_mov_b32_e32 v12, v1
	s_mov_b32 s15, exec_lo
	s_delay_alu instid0(VALU_DEP_3)
	v_mov_b32_e32 v11, v0
	v_cmpx_gt_u32_e32 8, v149
; %bb.2089:                             ;   in Loop: Header=BB369_1055 Depth=1
	v_clz_i32_u32_e32 v11, v0
	s_delay_alu instid0(VALU_DEP_1) | instskip(NEXT) | instid1(VALU_DEP_1)
	v_min_u32_e32 v147, 32, v11
	v_subrev_nc_u32_e32 v11, 28, v147
	v_sub_nc_u32_e32 v147, 29, v147
	s_delay_alu instid0(VALU_DEP_2) | instskip(NEXT) | instid1(VALU_DEP_1)
	v_lshlrev_b64 v[11:12], v11, v[0:1]
	v_and_b32_e32 v11, 7, v11
; %bb.2090:                             ;   in Loop: Header=BB369_1055 Depth=1
	s_or_b32 exec_lo, exec_lo, s15
	v_lshlrev_b32_e32 v0, 8, v148
	v_lshl_add_u32 v12, v147, 10, 0x2000
	s_delay_alu instid0(VALU_DEP_1) | instskip(NEXT) | instid1(VALU_DEP_1)
	v_and_or_b32 v0, 0x8000, v0, v12
	v_lshl_or_b32 v0, v11, 7, v0
	s_delay_alu instid0(VALU_DEP_1)
	v_cvt_f32_f16_e64 v147, v0
.LBB369_2091:                           ;   in Loop: Header=BB369_1055 Depth=1
	s_or_b32 exec_lo, exec_lo, s13
.LBB369_2092:                           ;   in Loop: Header=BB369_1055 Depth=1
	s_delay_alu instid0(SALU_CYCLE_1)
	s_or_b32 exec_lo, exec_lo, s12
.LBB369_2093:                           ;   in Loop: Header=BB369_1055 Depth=1
	s_delay_alu instid0(SALU_CYCLE_1) | instskip(SKIP_3) | instid1(VALU_DEP_2)
	s_or_b32 exec_lo, exec_lo, s10
	v_lshrrev_b32_e32 v149, 16, v10
	v_mov_b32_e32 v148, 0
	s_mov_b32 s10, exec_lo
	v_dual_mov_b32 v11, 0 :: v_dual_and_b32 v0, 0xff, v149
	s_delay_alu instid0(VALU_DEP_1)
	v_cmpx_ne_u16_e32 0, v0
	s_cbranch_execz .LBB369_2101
; %bb.2094:                             ;   in Loop: Header=BB369_1055 Depth=1
	v_bfrev_b32_e32 v11, 1
	s_mov_b32 s12, exec_lo
	v_cmpx_ne_u16_e32 0x80, v0
	s_cbranch_execz .LBB369_2100
; %bb.2095:                             ;   in Loop: Header=BB369_1055 Depth=1
	v_bfe_u32 v151, v10, 16, 7
	v_mov_b32_e32 v11, 0x7fc02000
	s_mov_b32 s13, exec_lo
	s_delay_alu instid0(VALU_DEP_2)
	v_cmpx_ne_u32_e32 0x7f, v151
	s_cbranch_execz .LBB369_2099
; %bb.2096:                             ;   in Loop: Header=BB369_1055 Depth=1
	v_and_b32_e32 v0, 7, v149
	v_lshrrev_b32_e32 v150, 3, v151
	v_mov_b32_e32 v12, v1
	s_mov_b32 s15, exec_lo
	s_delay_alu instid0(VALU_DEP_3)
	v_mov_b32_e32 v11, v0
	v_cmpx_gt_u32_e32 8, v151
; %bb.2097:                             ;   in Loop: Header=BB369_1055 Depth=1
	v_clz_i32_u32_e32 v11, v0
	s_delay_alu instid0(VALU_DEP_1) | instskip(NEXT) | instid1(VALU_DEP_1)
	v_min_u32_e32 v150, 32, v11
	v_subrev_nc_u32_e32 v11, 28, v150
	v_sub_nc_u32_e32 v150, 29, v150
	s_delay_alu instid0(VALU_DEP_2) | instskip(NEXT) | instid1(VALU_DEP_1)
	v_lshlrev_b64 v[11:12], v11, v[0:1]
	v_and_b32_e32 v11, 7, v11
; %bb.2098:                             ;   in Loop: Header=BB369_1055 Depth=1
	s_or_b32 exec_lo, exec_lo, s15
	v_lshlrev_b32_e32 v0, 8, v149
	v_lshl_add_u32 v12, v150, 10, 0x2000
	s_delay_alu instid0(VALU_DEP_1) | instskip(NEXT) | instid1(VALU_DEP_1)
	v_and_or_b32 v0, 0x8000, v0, v12
	v_lshl_or_b32 v0, v11, 7, v0
	s_delay_alu instid0(VALU_DEP_1)
	v_cvt_f32_f16_e32 v11, v0
.LBB369_2099:                           ;   in Loop: Header=BB369_1055 Depth=1
	s_or_b32 exec_lo, exec_lo, s13
.LBB369_2100:                           ;   in Loop: Header=BB369_1055 Depth=1
	s_delay_alu instid0(SALU_CYCLE_1)
	s_or_b32 exec_lo, exec_lo, s12
.LBB369_2101:                           ;   in Loop: Header=BB369_1055 Depth=1
	s_delay_alu instid0(SALU_CYCLE_1) | instskip(NEXT) | instid1(SALU_CYCLE_1)
	s_or_b32 exec_lo, exec_lo, s10
	s_mov_b32 s10, exec_lo
	v_cmpx_lt_u64_e64 s[8:9], v[9:10]
	s_cbranch_execz .LBB369_2109
; %bb.2102:                             ;   in Loop: Header=BB369_1055 Depth=1
	v_lshrrev_b32_e32 v12, 24, v10
	v_bfrev_b32_e32 v148, 1
	s_mov_b32 s12, exec_lo
	s_delay_alu instid0(VALU_DEP_2)
	v_cmpx_ne_u32_e32 0x80, v12
	s_cbranch_execz .LBB369_2108
; %bb.2103:                             ;   in Loop: Header=BB369_1055 Depth=1
	v_and_b32_e32 v149, 0x7f, v12
	v_mov_b32_e32 v148, 0x7fc02000
	s_mov_b32 s13, exec_lo
	s_delay_alu instid0(VALU_DEP_2)
	v_cmpx_ne_u32_e32 0x7f, v149
	s_cbranch_execz .LBB369_2107
; %bb.2104:                             ;   in Loop: Header=BB369_1055 Depth=1
	v_and_b32_e32 v0, 7, v12
	v_lshrrev_b32_e32 v148, 3, v149
	v_mov_b32_e32 v10, v1
	s_mov_b32 s15, exec_lo
	s_delay_alu instid0(VALU_DEP_3)
	v_mov_b32_e32 v9, v0
	v_cmpx_gt_u32_e32 8, v149
; %bb.2105:                             ;   in Loop: Header=BB369_1055 Depth=1
	v_clz_i32_u32_e32 v9, v0
	s_delay_alu instid0(VALU_DEP_1) | instskip(NEXT) | instid1(VALU_DEP_1)
	v_min_u32_e32 v148, 32, v9
	v_subrev_nc_u32_e32 v9, 28, v148
	v_sub_nc_u32_e32 v148, 29, v148
	s_delay_alu instid0(VALU_DEP_2) | instskip(NEXT) | instid1(VALU_DEP_1)
	v_lshlrev_b64 v[9:10], v9, v[0:1]
	v_and_b32_e32 v9, 7, v9
; %bb.2106:                             ;   in Loop: Header=BB369_1055 Depth=1
	s_or_b32 exec_lo, exec_lo, s15
	v_lshlrev_b32_e32 v0, 8, v12
	v_lshl_add_u32 v10, v148, 10, 0x2000
	s_delay_alu instid0(VALU_DEP_1) | instskip(NEXT) | instid1(VALU_DEP_1)
	v_and_or_b32 v0, 0x8000, v0, v10
	v_lshl_or_b32 v0, v9, 7, v0
	s_delay_alu instid0(VALU_DEP_1)
	v_cvt_f32_f16_e64 v148, v0
.LBB369_2107:                           ;   in Loop: Header=BB369_1055 Depth=1
	s_or_b32 exec_lo, exec_lo, s13
.LBB369_2108:                           ;   in Loop: Header=BB369_1055 Depth=1
	s_delay_alu instid0(SALU_CYCLE_1)
	s_or_b32 exec_lo, exec_lo, s12
.LBB369_2109:                           ;   in Loop: Header=BB369_1055 Depth=1
	s_delay_alu instid0(SALU_CYCLE_1)
	s_or_b32 exec_lo, exec_lo, s10
	s_waitcnt vmcnt(0) lgkmcnt(0)
	v_fma_mixlo_f16 v10, v133, v135, 0
	v_fma_mixlo_f16 v0, v133, v145, 0
	;; [unrolled: 1-line block ×5, first 2 shown]
	v_lshlrev_b32_e32 v135, 16, v10
	v_fma_mixlo_f16 v10, v133, v134, 0
	v_fma_mixlo_f16 v134, v133, v147, 0
	;; [unrolled: 1-line block ×3, first 2 shown]
	v_lshlrev_b32_e32 v0, 16, v0
	v_and_b32_e32 v9, 0xffff, v9
	v_and_b32_e32 v11, 0xffff, v10
	v_lshlrev_b32_e32 v133, 16, v134
	v_and_b32_e32 v134, 0xffff, v144
	v_lshlrev_b32_e32 v144, 16, v145
	v_and_b32_e32 v145, 0xffff, v12
	v_or_b32_e32 v10, v0, v9
	v_or_b32_e32 v11, v135, v11
	;; [unrolled: 1-line block ×3, first 2 shown]
	s_delay_alu instid0(VALU_DEP_4)
	v_or_b32_e32 v9, v144, v145
	s_and_saveexec_b32 s0, vcc_lo
	s_cbranch_execz .LBB369_1054
; %bb.2110:                             ;   in Loop: Header=BB369_1055 Depth=1
	v_cmp_lt_i32_e32 vcc_lo, v15, v36
	v_lshrrev_b32_e32 v133, 16, v11
	v_lshrrev_b32_e32 v134, 16, v10
	;; [unrolled: 1-line block ×3, first 2 shown]
	v_cndmask_b32_e32 v11, 0, v11, vcc_lo
	v_cmp_lt_i32_e32 vcc_lo, v82, v48
	v_cndmask_b32_e32 v82, 0, v133, vcc_lo
	v_cmp_lt_i32_e32 vcc_lo, v81, v48
	v_lshrrev_b32_e32 v133, 16, v0
	s_delay_alu instid0(VALU_DEP_3)
	v_perm_b32 v11, v82, v11, 0x5040100
	v_cndmask_b32_e32 v81, 0, v134, vcc_lo
	v_cmp_lt_i32_e32 vcc_lo, v70, v36
	v_cndmask_b32_e32 v10, 0, v10, vcc_lo
	v_cmp_lt_i32_e32 vcc_lo, v65, v48
	;; [unrolled: 2-line block ×4, first 2 shown]
	v_perm_b32 v10, v81, v10, 0x5040100
	s_delay_alu instid0(VALU_DEP_3) | instskip(SKIP_3) | instid1(VALU_DEP_1)
	v_perm_b32 v0, v65, v0, 0x5040100
	v_cndmask_b32_e32 v9, 0, v9, vcc_lo
	v_cmp_lt_i32_e32 vcc_lo, v17, v36
	v_cndmask_b32_e32 v12, 0, v12, vcc_lo
	v_perm_b32 v9, v9, v12, 0x5040100
	s_branch .LBB369_1054
.LBB369_2111:
	s_or_b32 exec_lo, exec_lo, s5
	v_dual_mov_b32 v0, s6 :: v_dual_mov_b32 v1, s7
.LBB369_2112:
	s_or_b32 exec_lo, exec_lo, s3
	s_delay_alu instid0(VALU_DEP_1)
	v_lshlrev_b64 v[0:1], 2, v[0:1]
	s_getpc_b64 s[6:7]
	s_add_u32 s6, s6, llvm.amdgcn.dynlds.offset.table@rel32@lo+4
	s_addc_u32 s7, s7, llvm.amdgcn.dynlds.offset.table@rel32@hi+12
	s_waitcnt lgkmcnt(0)
	s_waitcnt_vscnt null, 0x0
	s_barrier
	buffer_gl0_inv
	ds_bpermute_b32 v2, v19, v54
	v_add_co_u32 v0, vcc_lo, v0, s6
	v_add_co_ci_u32_e32 v1, vcc_lo, s7, v1, vcc_lo
	ds_bpermute_b32 v3, v19, v53
	ds_bpermute_b32 v6, v19, v51
	;; [unrolled: 1-line block ×3, first 2 shown]
	global_load_b32 v22, v[0:1], off
	ds_bpermute_b32 v9, v19, v33
	ds_bpermute_b32 v12, v19, v30
	;; [unrolled: 1-line block ×12, first 2 shown]
	s_waitcnt lgkmcnt(15)
	v_add_f32_e32 v2, v54, v2
	s_mov_b32 s0, exec_lo
	s_waitcnt lgkmcnt(13)
	v_dual_add_f32 v3, v53, v3 :: v_dual_add_f32 v6, v51, v6
	s_waitcnt lgkmcnt(12)
	v_add_f32_e32 v7, v50, v7
	s_waitcnt lgkmcnt(10)
	v_dual_add_f32 v9, v33, v9 :: v_dual_add_f32 v26, v30, v12
	s_waitcnt lgkmcnt(9)
	v_add_f32_e32 v27, v29, v13
	ds_bpermute_b32 v12, v18, v2
	ds_bpermute_b32 v13, v18, v3
	;; [unrolled: 1-line block ×3, first 2 shown]
	s_waitcnt lgkmcnt(10)
	v_dual_add_f32 v0, v52, v0 :: v_dual_add_f32 v1, v55, v1
	s_waitcnt lgkmcnt(8)
	v_dual_add_f32 v8, v49, v8 :: v_dual_add_f32 v19, v32, v10
	;; [unrolled: 2-line block ×4, first 2 shown]
	s_waitcnt lgkmcnt(3)
	v_add_f32_e32 v21, v21, v17
	ds_bpermute_b32 v10, v18, v0
	ds_bpermute_b32 v11, v18, v1
	;; [unrolled: 1-line block ×11, first 2 shown]
	s_waitcnt lgkmcnt(12)
	v_dual_add_f32 v15, v2, v12 :: v_dual_add_f32 v14, v3, v13
	ds_bpermute_b32 v49, v18, v25
	s_waitcnt lgkmcnt(12)
	v_add_f32_e32 v12, v7, v30
	ds_bpermute_b32 v51, v18, v21
	v_lshrrev_b32_e32 v18, 2, v37
	v_and_b32_e32 v37, 0x3c3, v34
	s_waitcnt lgkmcnt(11)
	v_dual_add_f32 v17, v0, v10 :: v_dual_add_f32 v16, v1, v11
	s_waitcnt lgkmcnt(10)
	v_add_f32_e32 v13, v6, v29
	s_waitcnt lgkmcnt(8)
	v_dual_add_f32 v11, v8, v31 :: v_dual_add_f32 v10, v9, v32
	s_waitcnt lgkmcnt(7)
	v_add_f32_e32 v9, v19, v33
	s_waitcnt lgkmcnt(5)
	v_dual_add_f32 v8, v23, v36 :: v_dual_add_f32 v7, v26, v38
	s_waitcnt lgkmcnt(3)
	v_dual_add_f32 v6, v27, v39 :: v_dual_add_f32 v3, v28, v48
	;; [unrolled: 2-line block ×3, first 2 shown]
	s_waitcnt lgkmcnt(0)
	v_add_f32_e32 v0, v21, v51
	s_waitcnt vmcnt(0)
	v_lshl_add_u32 v19, v35, 9, v22
	v_cmpx_eq_u32_e32 64, v37
	s_cbranch_execz .LBB369_2114
; %bb.2113:
	v_lshlrev_b32_e32 v21, 2, v18
	s_delay_alu instid0(VALU_DEP_1)
	v_add3_u32 v21, v19, v21, 0xfffffc00
	ds_store_2addr_b32 v21, v17, v16 offset1:8
	ds_store_2addr_b32 v21, v15, v14 offset0:16 offset1:24
	ds_store_2addr_b32 v21, v13, v12 offset0:32 offset1:40
	;; [unrolled: 1-line block ×7, first 2 shown]
.LBB369_2114:
	s_or_b32 exec_lo, exec_lo, s0
	v_cmp_eq_u32_e32 vcc_lo, 0, v20
	s_mov_b32 s3, exec_lo
	s_waitcnt lgkmcnt(0)
	s_barrier
	buffer_gl0_inv
	v_cmpx_gt_u32_e32 64, v34
	s_cbranch_execz .LBB369_2133
; %bb.2115:
	s_and_saveexec_b32 s0, vcc_lo
	s_cbranch_execnz .LBB369_2157
; %bb.2116:
	s_or_b32 exec_lo, exec_lo, s0
	s_and_saveexec_b32 s0, vcc_lo
	s_cbranch_execnz .LBB369_2158
.LBB369_2117:
	s_or_b32 exec_lo, exec_lo, s0
	s_and_saveexec_b32 s0, vcc_lo
	s_cbranch_execnz .LBB369_2159
.LBB369_2118:
	s_or_b32 exec_lo, exec_lo, s0
	s_and_saveexec_b32 s0, vcc_lo
	s_cbranch_execnz .LBB369_2160
.LBB369_2119:
	s_or_b32 exec_lo, exec_lo, s0
	s_and_saveexec_b32 s0, vcc_lo
	s_cbranch_execnz .LBB369_2161
.LBB369_2120:
	s_or_b32 exec_lo, exec_lo, s0
	s_and_saveexec_b32 s0, vcc_lo
	s_cbranch_execnz .LBB369_2162
.LBB369_2121:
	s_or_b32 exec_lo, exec_lo, s0
	s_and_saveexec_b32 s0, vcc_lo
	s_cbranch_execnz .LBB369_2163
.LBB369_2122:
	s_or_b32 exec_lo, exec_lo, s0
	s_and_saveexec_b32 s0, vcc_lo
	s_cbranch_execnz .LBB369_2164
.LBB369_2123:
	s_or_b32 exec_lo, exec_lo, s0
	s_and_saveexec_b32 s0, vcc_lo
	s_cbranch_execnz .LBB369_2165
.LBB369_2124:
	s_or_b32 exec_lo, exec_lo, s0
	s_and_saveexec_b32 s0, vcc_lo
	s_cbranch_execnz .LBB369_2166
.LBB369_2125:
	s_or_b32 exec_lo, exec_lo, s0
	s_and_saveexec_b32 s0, vcc_lo
	s_cbranch_execnz .LBB369_2167
.LBB369_2126:
	s_or_b32 exec_lo, exec_lo, s0
	s_and_saveexec_b32 s0, vcc_lo
	s_cbranch_execnz .LBB369_2168
.LBB369_2127:
	s_or_b32 exec_lo, exec_lo, s0
	s_and_saveexec_b32 s0, vcc_lo
	s_cbranch_execnz .LBB369_2169
.LBB369_2128:
	s_or_b32 exec_lo, exec_lo, s0
	s_and_saveexec_b32 s0, vcc_lo
	s_cbranch_execnz .LBB369_2170
.LBB369_2129:
	s_or_b32 exec_lo, exec_lo, s0
	s_and_saveexec_b32 s0, vcc_lo
	s_cbranch_execnz .LBB369_2171
.LBB369_2130:
	s_or_b32 exec_lo, exec_lo, s0
	s_and_saveexec_b32 s0, vcc_lo
	s_cbranch_execz .LBB369_2132
.LBB369_2131:
	v_lshl_add_u32 v20, v18, 2, v19
	ds_load_b32 v20, v20 offset:480
	s_waitcnt lgkmcnt(0)
	v_add_f32_e32 v0, v20, v0
.LBB369_2132:
	s_or_b32 exec_lo, exec_lo, s0
.LBB369_2133:
	s_delay_alu instid0(SALU_CYCLE_1)
	s_or_b32 exec_lo, exec_lo, s3
	v_and_b32_e32 v20, 0x3e3, v34
	s_mov_b32 s3, exec_lo
	s_barrier
	buffer_gl0_inv
	v_cmpx_eq_u32_e32 32, v20
	s_cbranch_execz .LBB369_2135
; %bb.2134:
	v_lshl_add_u32 v21, v18, 2, v22
	ds_store_2addr_b32 v21, v17, v16 offset1:8
	ds_store_2addr_b32 v21, v15, v14 offset0:16 offset1:24
	ds_store_2addr_b32 v21, v13, v12 offset0:32 offset1:40
	;; [unrolled: 1-line block ×7, first 2 shown]
.LBB369_2135:
	s_or_b32 exec_lo, exec_lo, s3
	s_delay_alu instid0(SALU_CYCLE_1)
	s_mov_b32 s3, exec_lo
	s_waitcnt lgkmcnt(0)
	s_barrier
	buffer_gl0_inv
	v_cmpx_gt_u32_e32 32, v34
	s_cbranch_execz .LBB369_2154
; %bb.2136:
	v_lshl_add_u32 v18, v18, 2, v19
	s_and_saveexec_b32 s0, vcc_lo
	s_cbranch_execnz .LBB369_2172
; %bb.2137:
	s_or_b32 exec_lo, exec_lo, s0
	s_and_saveexec_b32 s0, vcc_lo
	s_cbranch_execnz .LBB369_2173
.LBB369_2138:
	s_or_b32 exec_lo, exec_lo, s0
	s_and_saveexec_b32 s0, vcc_lo
	s_cbranch_execnz .LBB369_2174
.LBB369_2139:
	s_or_b32 exec_lo, exec_lo, s0
	s_and_saveexec_b32 s0, vcc_lo
	s_cbranch_execnz .LBB369_2175
.LBB369_2140:
	s_or_b32 exec_lo, exec_lo, s0
	s_and_saveexec_b32 s0, vcc_lo
	s_cbranch_execnz .LBB369_2176
.LBB369_2141:
	s_or_b32 exec_lo, exec_lo, s0
	s_and_saveexec_b32 s0, vcc_lo
	s_cbranch_execnz .LBB369_2177
.LBB369_2142:
	s_or_b32 exec_lo, exec_lo, s0
	s_and_saveexec_b32 s0, vcc_lo
	s_cbranch_execnz .LBB369_2178
.LBB369_2143:
	s_or_b32 exec_lo, exec_lo, s0
	s_and_saveexec_b32 s0, vcc_lo
	s_cbranch_execnz .LBB369_2179
.LBB369_2144:
	s_or_b32 exec_lo, exec_lo, s0
	s_and_saveexec_b32 s0, vcc_lo
	s_cbranch_execnz .LBB369_2180
.LBB369_2145:
	s_or_b32 exec_lo, exec_lo, s0
	s_and_saveexec_b32 s0, vcc_lo
	s_cbranch_execnz .LBB369_2181
.LBB369_2146:
	s_or_b32 exec_lo, exec_lo, s0
	s_and_saveexec_b32 s0, vcc_lo
	s_cbranch_execnz .LBB369_2182
.LBB369_2147:
	s_or_b32 exec_lo, exec_lo, s0
	s_and_saveexec_b32 s0, vcc_lo
	s_cbranch_execnz .LBB369_2183
.LBB369_2148:
	s_or_b32 exec_lo, exec_lo, s0
	s_and_saveexec_b32 s0, vcc_lo
	s_cbranch_execnz .LBB369_2184
.LBB369_2149:
	s_or_b32 exec_lo, exec_lo, s0
	s_and_saveexec_b32 s0, vcc_lo
	s_cbranch_execnz .LBB369_2185
.LBB369_2150:
	s_or_b32 exec_lo, exec_lo, s0
	s_and_saveexec_b32 s0, vcc_lo
	s_cbranch_execnz .LBB369_2186
.LBB369_2151:
	s_or_b32 exec_lo, exec_lo, s0
	s_and_saveexec_b32 s0, vcc_lo
	s_cbranch_execz .LBB369_2153
.LBB369_2152:
	ds_load_b32 v18, v18 offset:480
	s_waitcnt lgkmcnt(0)
	v_add_f32_e32 v0, v18, v0
.LBB369_2153:
	s_or_b32 exec_lo, exec_lo, s0
.LBB369_2154:
	s_delay_alu instid0(SALU_CYCLE_1)
	s_or_b32 exec_lo, exec_lo, s3
	v_cmp_eq_u32_e32 vcc_lo, 0, v20
	s_barrier
	buffer_gl0_inv
	s_and_b32 exec_lo, exec_lo, vcc_lo
	s_cbranch_execz .LBB369_2156
; %bb.2155:
	s_lshl_b32 s0, s2, 7
	s_mul_i32 s2, s4, s1
	s_lshl_b32 s4, s14, 7
	s_ashr_i32 s3, s2, 31
	s_ashr_i32 s5, s4, 31
	;; [unrolled: 1-line block ×3, first 2 shown]
	s_lshl_b64 s[2:3], s[2:3], 1
	s_lshl_b64 s[4:5], s[4:5], 1
	;; [unrolled: 1-line block ×3, first 2 shown]
	s_add_u32 s2, s4, s2
	s_addc_u32 s3, s5, s3
	s_add_u32 s0, s2, s0
	s_addc_u32 s1, s3, s1
	v_lshrrev_b32_e32 v18, 1, v34
	v_add_co_u32 v4, vcc_lo, s0, v4
	v_add_co_ci_u32_e32 v5, vcc_lo, s1, v5, vcc_lo
	;;#ASMSTART
	v_cvt_f16_f32 v17, v17;

	;;#ASMEND
	s_delay_alu instid0(VALU_DEP_2) | instskip(NEXT) | instid1(VALU_DEP_2)
	v_add_co_u32 v4, vcc_lo, v4, v18
	v_add_co_ci_u32_e32 v5, vcc_lo, 0, v5, vcc_lo
	flat_store_b16 v[4:5], v17
	;;#ASMSTART
	v_cvt_f16_f32 v16, v16;

	;;#ASMEND
	flat_store_b16 v[4:5], v16 offset:16
	;;#ASMSTART
	v_cvt_f16_f32 v15, v15;

	;;#ASMEND
	flat_store_b16 v[4:5], v15 offset:32
	;;#ASMSTART
	v_cvt_f16_f32 v14, v14;

	;;#ASMEND
	flat_store_b16 v[4:5], v14 offset:48
	;;#ASMSTART
	v_cvt_f16_f32 v13, v13;

	;;#ASMEND
	flat_store_b16 v[4:5], v13 offset:64
	;;#ASMSTART
	v_cvt_f16_f32 v12, v12;

	;;#ASMEND
	flat_store_b16 v[4:5], v12 offset:80
	;;#ASMSTART
	v_cvt_f16_f32 v11, v11;

	;;#ASMEND
	flat_store_b16 v[4:5], v11 offset:96
	;;#ASMSTART
	v_cvt_f16_f32 v10, v10;

	;;#ASMEND
	flat_store_b16 v[4:5], v10 offset:112
	;;#ASMSTART
	v_cvt_f16_f32 v9, v9;

	;;#ASMEND
	flat_store_b16 v[4:5], v9 offset:128
	;;#ASMSTART
	v_cvt_f16_f32 v8, v8;

	;;#ASMEND
	flat_store_b16 v[4:5], v8 offset:144
	;;#ASMSTART
	v_cvt_f16_f32 v7, v7;

	;;#ASMEND
	flat_store_b16 v[4:5], v7 offset:160
	;;#ASMSTART
	v_cvt_f16_f32 v6, v6;

	;;#ASMEND
	flat_store_b16 v[4:5], v6 offset:176
	;;#ASMSTART
	v_cvt_f16_f32 v3, v3;

	;;#ASMEND
	flat_store_b16 v[4:5], v3 offset:192
	;;#ASMSTART
	v_cvt_f16_f32 v2, v2;

	;;#ASMEND
	flat_store_b16 v[4:5], v2 offset:208
	;;#ASMSTART
	v_cvt_f16_f32 v1, v1;

	;;#ASMEND
	flat_store_b16 v[4:5], v1 offset:224
	;;#ASMSTART
	v_cvt_f16_f32 v0, v0;

	;;#ASMEND
	flat_store_b16 v[4:5], v0 offset:240
.LBB369_2156:
	s_or_b32 exec_lo, exec_lo, s11
	s_clause 0x1f
	scratch_load_b32 v185, off, s32
	scratch_load_b32 v184, off, s32 offset:4
	scratch_load_b32 v175, off, s32 offset:8
	scratch_load_b32 v174, off, s32 offset:12
	scratch_load_b32 v173, off, s32 offset:16
	scratch_load_b32 v172, off, s32 offset:20
	scratch_load_b32 v171, off, s32 offset:24
	scratch_load_b32 v170, off, s32 offset:28
	scratch_load_b32 v169, off, s32 offset:32
	scratch_load_b32 v168, off, s32 offset:36
	scratch_load_b32 v159, off, s32 offset:40
	scratch_load_b32 v158, off, s32 offset:44
	scratch_load_b32 v157, off, s32 offset:48
	scratch_load_b32 v156, off, s32 offset:52
	scratch_load_b32 v155, off, s32 offset:56
	scratch_load_b32 v154, off, s32 offset:60
	scratch_load_b32 v153, off, s32 offset:64
	scratch_load_b32 v152, off, s32 offset:68
	scratch_load_b32 v143, off, s32 offset:72
	scratch_load_b32 v142, off, s32 offset:76
	scratch_load_b32 v141, off, s32 offset:80
	scratch_load_b32 v140, off, s32 offset:84
	scratch_load_b32 v139, off, s32 offset:88
	scratch_load_b32 v138, off, s32 offset:92
	scratch_load_b32 v137, off, s32 offset:96
	scratch_load_b32 v136, off, s32 offset:100
	scratch_load_b32 v127, off, s32 offset:104
	scratch_load_b32 v126, off, s32 offset:108
	scratch_load_b32 v125, off, s32 offset:112
	scratch_load_b32 v124, off, s32 offset:116
	scratch_load_b32 v123, off, s32 offset:120
	scratch_load_b32 v122, off, s32 offset:124
	s_clause 0x1f
	scratch_load_b32 v121, off, s32 offset:128
	scratch_load_b32 v120, off, s32 offset:132
	;; [unrolled: 1-line block ×32, first 2 shown]
	s_clause 0x9
	scratch_load_b32 v57, off, s32 offset:256
	scratch_load_b32 v56, off, s32 offset:260
	;; [unrolled: 1-line block ×10, first 2 shown]
	s_waitcnt vmcnt(0) lgkmcnt(0)
	s_setpc_b64 s[30:31]
.LBB369_2157:
	v_lshl_add_u32 v20, v18, 2, v19
	ds_load_b32 v20, v20
	s_waitcnt lgkmcnt(0)
	v_add_f32_e32 v17, v20, v17
	s_or_b32 exec_lo, exec_lo, s0
	s_and_saveexec_b32 s0, vcc_lo
	s_cbranch_execz .LBB369_2117
.LBB369_2158:
	v_lshl_add_u32 v20, v18, 2, v19
	ds_load_b32 v20, v20 offset:32
	s_waitcnt lgkmcnt(0)
	v_add_f32_e32 v16, v20, v16
	s_or_b32 exec_lo, exec_lo, s0
	s_and_saveexec_b32 s0, vcc_lo
	s_cbranch_execz .LBB369_2118
.LBB369_2159:
	v_lshl_add_u32 v20, v18, 2, v19
	ds_load_b32 v20, v20 offset:64
	s_waitcnt lgkmcnt(0)
	v_add_f32_e32 v15, v20, v15
	s_or_b32 exec_lo, exec_lo, s0
	s_and_saveexec_b32 s0, vcc_lo
	s_cbranch_execz .LBB369_2119
.LBB369_2160:
	v_lshl_add_u32 v20, v18, 2, v19
	ds_load_b32 v20, v20 offset:96
	s_waitcnt lgkmcnt(0)
	v_add_f32_e32 v14, v20, v14
	s_or_b32 exec_lo, exec_lo, s0
	s_and_saveexec_b32 s0, vcc_lo
	s_cbranch_execz .LBB369_2120
.LBB369_2161:
	v_lshl_add_u32 v20, v18, 2, v19
	ds_load_b32 v20, v20 offset:128
	s_waitcnt lgkmcnt(0)
	v_add_f32_e32 v13, v20, v13
	s_or_b32 exec_lo, exec_lo, s0
	s_and_saveexec_b32 s0, vcc_lo
	s_cbranch_execz .LBB369_2121
.LBB369_2162:
	v_lshl_add_u32 v20, v18, 2, v19
	ds_load_b32 v20, v20 offset:160
	s_waitcnt lgkmcnt(0)
	v_add_f32_e32 v12, v20, v12
	s_or_b32 exec_lo, exec_lo, s0
	s_and_saveexec_b32 s0, vcc_lo
	s_cbranch_execz .LBB369_2122
.LBB369_2163:
	v_lshl_add_u32 v20, v18, 2, v19
	ds_load_b32 v20, v20 offset:192
	s_waitcnt lgkmcnt(0)
	v_add_f32_e32 v11, v20, v11
	s_or_b32 exec_lo, exec_lo, s0
	s_and_saveexec_b32 s0, vcc_lo
	s_cbranch_execz .LBB369_2123
.LBB369_2164:
	v_lshl_add_u32 v20, v18, 2, v19
	ds_load_b32 v20, v20 offset:224
	s_waitcnt lgkmcnt(0)
	v_add_f32_e32 v10, v20, v10
	s_or_b32 exec_lo, exec_lo, s0
	s_and_saveexec_b32 s0, vcc_lo
	s_cbranch_execz .LBB369_2124
.LBB369_2165:
	v_lshl_add_u32 v20, v18, 2, v19
	ds_load_b32 v20, v20 offset:256
	s_waitcnt lgkmcnt(0)
	v_add_f32_e32 v9, v20, v9
	s_or_b32 exec_lo, exec_lo, s0
	s_and_saveexec_b32 s0, vcc_lo
	s_cbranch_execz .LBB369_2125
.LBB369_2166:
	v_lshl_add_u32 v20, v18, 2, v19
	ds_load_b32 v20, v20 offset:288
	s_waitcnt lgkmcnt(0)
	v_add_f32_e32 v8, v20, v8
	s_or_b32 exec_lo, exec_lo, s0
	s_and_saveexec_b32 s0, vcc_lo
	s_cbranch_execz .LBB369_2126
.LBB369_2167:
	v_lshl_add_u32 v20, v18, 2, v19
	ds_load_b32 v20, v20 offset:320
	s_waitcnt lgkmcnt(0)
	v_add_f32_e32 v7, v20, v7
	s_or_b32 exec_lo, exec_lo, s0
	s_and_saveexec_b32 s0, vcc_lo
	s_cbranch_execz .LBB369_2127
.LBB369_2168:
	v_lshl_add_u32 v20, v18, 2, v19
	ds_load_b32 v20, v20 offset:352
	s_waitcnt lgkmcnt(0)
	v_add_f32_e32 v6, v20, v6
	s_or_b32 exec_lo, exec_lo, s0
	s_and_saveexec_b32 s0, vcc_lo
	s_cbranch_execz .LBB369_2128
.LBB369_2169:
	v_lshl_add_u32 v20, v18, 2, v19
	ds_load_b32 v20, v20 offset:384
	s_waitcnt lgkmcnt(0)
	v_add_f32_e32 v3, v20, v3
	s_or_b32 exec_lo, exec_lo, s0
	s_and_saveexec_b32 s0, vcc_lo
	s_cbranch_execz .LBB369_2129
.LBB369_2170:
	v_lshl_add_u32 v20, v18, 2, v19
	ds_load_b32 v20, v20 offset:416
	s_waitcnt lgkmcnt(0)
	v_add_f32_e32 v2, v20, v2
	s_or_b32 exec_lo, exec_lo, s0
	s_and_saveexec_b32 s0, vcc_lo
	s_cbranch_execz .LBB369_2130
.LBB369_2171:
	v_lshl_add_u32 v20, v18, 2, v19
	ds_load_b32 v20, v20 offset:448
	s_waitcnt lgkmcnt(0)
	v_add_f32_e32 v1, v20, v1
	s_or_b32 exec_lo, exec_lo, s0
	s_and_saveexec_b32 s0, vcc_lo
	s_cbranch_execnz .LBB369_2131
	s_branch .LBB369_2132
.LBB369_2172:
	ds_load_b32 v19, v18
	s_waitcnt lgkmcnt(0)
	v_add_f32_e32 v17, v19, v17
	s_or_b32 exec_lo, exec_lo, s0
	s_and_saveexec_b32 s0, vcc_lo
	s_cbranch_execz .LBB369_2138
.LBB369_2173:
	ds_load_b32 v19, v18 offset:32
	s_waitcnt lgkmcnt(0)
	v_add_f32_e32 v16, v19, v16
	s_or_b32 exec_lo, exec_lo, s0
	s_and_saveexec_b32 s0, vcc_lo
	s_cbranch_execz .LBB369_2139
.LBB369_2174:
	ds_load_b32 v19, v18 offset:64
	s_waitcnt lgkmcnt(0)
	v_add_f32_e32 v15, v19, v15
	s_or_b32 exec_lo, exec_lo, s0
	s_and_saveexec_b32 s0, vcc_lo
	s_cbranch_execz .LBB369_2140
.LBB369_2175:
	ds_load_b32 v19, v18 offset:96
	s_waitcnt lgkmcnt(0)
	v_add_f32_e32 v14, v19, v14
	s_or_b32 exec_lo, exec_lo, s0
	s_and_saveexec_b32 s0, vcc_lo
	s_cbranch_execz .LBB369_2141
.LBB369_2176:
	ds_load_b32 v19, v18 offset:128
	s_waitcnt lgkmcnt(0)
	v_add_f32_e32 v13, v19, v13
	s_or_b32 exec_lo, exec_lo, s0
	s_and_saveexec_b32 s0, vcc_lo
	s_cbranch_execz .LBB369_2142
.LBB369_2177:
	ds_load_b32 v19, v18 offset:160
	s_waitcnt lgkmcnt(0)
	v_add_f32_e32 v12, v19, v12
	s_or_b32 exec_lo, exec_lo, s0
	s_and_saveexec_b32 s0, vcc_lo
	s_cbranch_execz .LBB369_2143
.LBB369_2178:
	ds_load_b32 v19, v18 offset:192
	s_waitcnt lgkmcnt(0)
	v_add_f32_e32 v11, v19, v11
	s_or_b32 exec_lo, exec_lo, s0
	s_and_saveexec_b32 s0, vcc_lo
	s_cbranch_execz .LBB369_2144
.LBB369_2179:
	ds_load_b32 v19, v18 offset:224
	s_waitcnt lgkmcnt(0)
	v_add_f32_e32 v10, v19, v10
	s_or_b32 exec_lo, exec_lo, s0
	s_and_saveexec_b32 s0, vcc_lo
	s_cbranch_execz .LBB369_2145
.LBB369_2180:
	ds_load_b32 v19, v18 offset:256
	s_waitcnt lgkmcnt(0)
	v_add_f32_e32 v9, v19, v9
	s_or_b32 exec_lo, exec_lo, s0
	s_and_saveexec_b32 s0, vcc_lo
	s_cbranch_execz .LBB369_2146
.LBB369_2181:
	ds_load_b32 v19, v18 offset:288
	s_waitcnt lgkmcnt(0)
	v_add_f32_e32 v8, v19, v8
	s_or_b32 exec_lo, exec_lo, s0
	s_and_saveexec_b32 s0, vcc_lo
	s_cbranch_execz .LBB369_2147
.LBB369_2182:
	ds_load_b32 v19, v18 offset:320
	s_waitcnt lgkmcnt(0)
	v_add_f32_e32 v7, v19, v7
	s_or_b32 exec_lo, exec_lo, s0
	s_and_saveexec_b32 s0, vcc_lo
	s_cbranch_execz .LBB369_2148
.LBB369_2183:
	ds_load_b32 v19, v18 offset:352
	s_waitcnt lgkmcnt(0)
	v_add_f32_e32 v6, v19, v6
	s_or_b32 exec_lo, exec_lo, s0
	s_and_saveexec_b32 s0, vcc_lo
	s_cbranch_execz .LBB369_2149
.LBB369_2184:
	ds_load_b32 v19, v18 offset:384
	s_waitcnt lgkmcnt(0)
	v_add_f32_e32 v3, v19, v3
	s_or_b32 exec_lo, exec_lo, s0
	s_and_saveexec_b32 s0, vcc_lo
	s_cbranch_execz .LBB369_2150
.LBB369_2185:
	ds_load_b32 v19, v18 offset:416
	s_waitcnt lgkmcnt(0)
	v_add_f32_e32 v2, v19, v2
	s_or_b32 exec_lo, exec_lo, s0
	s_and_saveexec_b32 s0, vcc_lo
	s_cbranch_execz .LBB369_2151
.LBB369_2186:
	ds_load_b32 v19, v18 offset:448
	s_waitcnt lgkmcnt(0)
	v_add_f32_e32 v1, v19, v1
	s_or_b32 exec_lo, exec_lo, s0
	s_and_saveexec_b32 s0, vcc_lo
	s_cbranch_execnz .LBB369_2152
	s_branch .LBB369_2153
.Lfunc_end369:
	.size	_ZN4vllm22paged_attention_kernelIthLi128ELi32ELi128ELNS_18Fp8KVCacheDataTypeE1ELb0ELi512EEEvPfS2_PT_PKS3_PKT0_S9_ifPKiSB_iPKfiiiSD_SD_iiiii, .Lfunc_end369-_ZN4vllm22paged_attention_kernelIthLi128ELi32ELi128ELNS_18Fp8KVCacheDataTypeE1ELb0ELi512EEEvPfS2_PT_PKS3_PKT0_S9_ifPKiSB_iPKfiiiSD_SD_iiiii
                                        ; -- End function
	.section	.AMDGPU.csdata,"",@progbits
; Function info:
; codeLenInByte = 83828
; NumSgprs: 35
; NumVgprs: 186
; ScratchSize: 300
; MemoryBound: 0
	.section	.text._ZN4vllm25paged_attention_v2_kernelIthLi128ELi32ELi128ELNS_18Fp8KVCacheDataTypeE1ELb0ELi512EEEvPfS2_PT_PKS3_PKT0_S9_ifPKiSB_iPKfiiiSD_SD_iiiii,"axG",@progbits,_ZN4vllm25paged_attention_v2_kernelIthLi128ELi32ELi128ELNS_18Fp8KVCacheDataTypeE1ELb0ELi512EEEvPfS2_PT_PKS3_PKT0_S9_ifPKiSB_iPKfiiiSD_SD_iiiii,comdat
	.protected	_ZN4vllm25paged_attention_v2_kernelIthLi128ELi32ELi128ELNS_18Fp8KVCacheDataTypeE1ELb0ELi512EEEvPfS2_PT_PKS3_PKT0_S9_ifPKiSB_iPKfiiiSD_SD_iiiii ; -- Begin function _ZN4vllm25paged_attention_v2_kernelIthLi128ELi32ELi128ELNS_18Fp8KVCacheDataTypeE1ELb0ELi512EEEvPfS2_PT_PKS3_PKT0_S9_ifPKiSB_iPKfiiiSD_SD_iiiii
	.globl	_ZN4vllm25paged_attention_v2_kernelIthLi128ELi32ELi128ELNS_18Fp8KVCacheDataTypeE1ELb0ELi512EEEvPfS2_PT_PKS3_PKT0_S9_ifPKiSB_iPKfiiiSD_SD_iiiii
	.p2align	8
	.type	_ZN4vllm25paged_attention_v2_kernelIthLi128ELi32ELi128ELNS_18Fp8KVCacheDataTypeE1ELb0ELi512EEEvPfS2_PT_PKS3_PKT0_S9_ifPKiSB_iPKfiiiSD_SD_iiiii,@function
_ZN4vllm25paged_attention_v2_kernelIthLi128ELi32ELi128ELNS_18Fp8KVCacheDataTypeE1ELb0ELi512EEEvPfS2_PT_PKS3_PKT0_S9_ifPKiSB_iPKfiiiSD_SD_iiiii: ; @_ZN4vllm25paged_attention_v2_kernelIthLi128ELi32ELi128ELNS_18Fp8KVCacheDataTypeE1ELb0ELi512EEEvPfS2_PT_PKS3_PKT0_S9_ifPKiSB_iPKfiiiSD_SD_iiiii
; %bb.0:
	s_clause 0x5
	s_load_b256 s[24:31], s[0:1], 0x0
	s_load_b256 s[16:23], s[0:1], 0x20
	s_load_b64 s[2:3], s[0:1], 0x40
	s_load_b64 s[4:5], s[0:1], 0x50
	s_load_b32 s6, s[0:1], 0x48
	s_load_b256 s[36:43], s[0:1], 0x58
	v_mov_b32_e32 v31, v0
	s_add_u32 s8, s0, 0x90
	s_mov_b32 s12, s13
	s_addc_u32 s9, s1, 0
	s_mov_b32 s13, s14
	s_mov_b32 s14, s15
	s_movk_i32 s15, 0x5d
	s_mov_b32 s32, 0
	s_getpc_b64 s[0:1]
	s_add_u32 s0, s0, _ZN4vllm22paged_attention_kernelIthLi128ELi32ELi128ELNS_18Fp8KVCacheDataTypeE1ELb0ELi512EEEvPfS2_PT_PKS3_PKT0_S9_ifPKiSB_iPKfiiiSD_SD_iiiii@rel32@lo+4
	s_addc_u32 s1, s1, _ZN4vllm22paged_attention_kernelIthLi128ELi32ELi128ELNS_18Fp8KVCacheDataTypeE1ELb0ELi512EEEvPfS2_PT_PKS3_PKT0_S9_ifPKiSB_iPKfiiiSD_SD_iiiii@rel32@hi+12
	s_waitcnt lgkmcnt(0)
	v_dual_mov_b32 v0, s24 :: v_dual_mov_b32 v1, s25
	v_dual_mov_b32 v2, s26 :: v_dual_mov_b32 v3, s27
	;; [unrolled: 1-line block ×14, first 2 shown]
	s_swappc_b64 s[30:31], s[0:1]
	s_endpgm
	.section	.rodata,"a",@progbits
	.p2align	6, 0x0
	.amdhsa_kernel _ZN4vllm25paged_attention_v2_kernelIthLi128ELi32ELi128ELNS_18Fp8KVCacheDataTypeE1ELb0ELi512EEEvPfS2_PT_PKS3_PKT0_S9_ifPKiSB_iPKfiiiSD_SD_iiiii
		.amdhsa_group_segment_fixed_size 288
		.amdhsa_private_segment_fixed_size 300
		.amdhsa_kernarg_size 400
		.amdhsa_user_sgpr_count 13
		.amdhsa_user_sgpr_dispatch_ptr 0
		.amdhsa_user_sgpr_queue_ptr 0
		.amdhsa_user_sgpr_kernarg_segment_ptr 1
		.amdhsa_user_sgpr_dispatch_id 0
		.amdhsa_user_sgpr_private_segment_size 0
		.amdhsa_wavefront_size32 1
		.amdhsa_uses_dynamic_stack 0
		.amdhsa_enable_private_segment 1
		.amdhsa_system_sgpr_workgroup_id_x 1
		.amdhsa_system_sgpr_workgroup_id_y 1
		.amdhsa_system_sgpr_workgroup_id_z 1
		.amdhsa_system_sgpr_workgroup_info 0
		.amdhsa_system_vgpr_workitem_id 0
		.amdhsa_next_free_vgpr 186
		.amdhsa_next_free_sgpr 44
		.amdhsa_reserve_vcc 1
		.amdhsa_float_round_mode_32 0
		.amdhsa_float_round_mode_16_64 0
		.amdhsa_float_denorm_mode_32 3
		.amdhsa_float_denorm_mode_16_64 3
		.amdhsa_dx10_clamp 1
		.amdhsa_ieee_mode 1
		.amdhsa_fp16_overflow 0
		.amdhsa_workgroup_processor_mode 1
		.amdhsa_memory_ordered 1
		.amdhsa_forward_progress 0
		.amdhsa_shared_vgpr_count 0
		.amdhsa_exception_fp_ieee_invalid_op 0
		.amdhsa_exception_fp_denorm_src 0
		.amdhsa_exception_fp_ieee_div_zero 0
		.amdhsa_exception_fp_ieee_overflow 0
		.amdhsa_exception_fp_ieee_underflow 0
		.amdhsa_exception_fp_ieee_inexact 0
		.amdhsa_exception_int_div_zero 0
	.end_amdhsa_kernel
	.section	.text._ZN4vllm25paged_attention_v2_kernelIthLi128ELi32ELi128ELNS_18Fp8KVCacheDataTypeE1ELb0ELi512EEEvPfS2_PT_PKS3_PKT0_S9_ifPKiSB_iPKfiiiSD_SD_iiiii,"axG",@progbits,_ZN4vllm25paged_attention_v2_kernelIthLi128ELi32ELi128ELNS_18Fp8KVCacheDataTypeE1ELb0ELi512EEEvPfS2_PT_PKS3_PKT0_S9_ifPKiSB_iPKfiiiSD_SD_iiiii,comdat
.Lfunc_end370:
	.size	_ZN4vllm25paged_attention_v2_kernelIthLi128ELi32ELi128ELNS_18Fp8KVCacheDataTypeE1ELb0ELi512EEEvPfS2_PT_PKS3_PKT0_S9_ifPKiSB_iPKfiiiSD_SD_iiiii, .Lfunc_end370-_ZN4vllm25paged_attention_v2_kernelIthLi128ELi32ELi128ELNS_18Fp8KVCacheDataTypeE1ELb0ELi512EEEvPfS2_PT_PKS3_PKT0_S9_ifPKiSB_iPKfiiiSD_SD_iiiii
                                        ; -- End function
	.section	.AMDGPU.csdata,"",@progbits
; Kernel info:
; codeLenInByte = 232
; NumSgprs: 46
; NumVgprs: 186
; ScratchSize: 300
; MemoryBound: 0
; FloatMode: 240
; IeeeMode: 1
; LDSByteSize: 288 bytes/workgroup (compile time only)
; SGPRBlocks: 5
; VGPRBlocks: 23
; NumSGPRsForWavesPerEU: 46
; NumVGPRsForWavesPerEU: 186
; Occupancy: 8
; WaveLimiterHint : 1
; COMPUTE_PGM_RSRC2:SCRATCH_EN: 1
; COMPUTE_PGM_RSRC2:USER_SGPR: 13
; COMPUTE_PGM_RSRC2:TRAP_HANDLER: 0
; COMPUTE_PGM_RSRC2:TGID_X_EN: 1
; COMPUTE_PGM_RSRC2:TGID_Y_EN: 1
; COMPUTE_PGM_RSRC2:TGID_Z_EN: 1
; COMPUTE_PGM_RSRC2:TIDIG_COMP_CNT: 0
	.text
	.p2align	2                               ; -- Begin function _ZN4vllm22paged_attention_kernelIthLi192ELi32ELi128ELNS_18Fp8KVCacheDataTypeE1ELb0ELi512EEEvPfS2_PT_PKS3_PKT0_S9_ifPKiSB_iPKfiiiSD_SD_iiiii
	.type	_ZN4vllm22paged_attention_kernelIthLi192ELi32ELi128ELNS_18Fp8KVCacheDataTypeE1ELb0ELi512EEEvPfS2_PT_PKS3_PKT0_S9_ifPKiSB_iPKfiiiSD_SD_iiiii,@function
_ZN4vllm22paged_attention_kernelIthLi192ELi32ELi128ELNS_18Fp8KVCacheDataTypeE1ELb0ELi512EEEvPfS2_PT_PKS3_PKT0_S9_ifPKiSB_iPKfiiiSD_SD_iiiii: ; @_ZN4vllm22paged_attention_kernelIthLi192ELi32ELi128ELNS_18Fp8KVCacheDataTypeE1ELb0ELi512EEEvPfS2_PT_PKS3_PKT0_S9_ifPKiSB_iPKfiiiSD_SD_iiiii
; %bb.0:
	s_waitcnt vmcnt(0) expcnt(0) lgkmcnt(0)
	s_clause 0x1f
	scratch_store_b32 off, v40, s32 offset:316
	; meta instruction
	scratch_store_b32 off, v41, s32 offset:312
	; meta instruction
	;; [unrolled: 2-line block ×31, first 2 shown]
	scratch_store_b32 off, v95, s32 offset:192
	s_clause 0x1f
	scratch_store_b32 off, v104, s32 offset:188
	; meta instruction
	scratch_store_b32 off, v105, s32 offset:184
	; meta instruction
	;; [unrolled: 2-line block ×31, first 2 shown]
	scratch_store_b32 off, v159, s32 offset:64
	s_clause 0xf
	scratch_store_b32 off, v168, s32 offset:60
	; meta instruction
	scratch_store_b32 off, v169, s32 offset:56
	; meta instruction
	;; [unrolled: 2-line block ×15, first 2 shown]
	scratch_store_b32 off, v191, s32
	s_mov_b32 s10, s13
	s_ashr_i32 s11, s13, 31
	s_clause 0x1
	scratch_store_b64 off, v[24:25], s32 offset:472
	scratch_store_b32 off, v13, s32 offset:480
	s_lshl_b64 s[0:1], s[10:11], 2
	v_dual_mov_b32 v61, v22 :: v_dual_mov_b32 v58, v4
	v_dual_mov_b32 v25, v2 :: v_dual_mov_b32 v22, v0
	v_add_co_u32 v0, vcc_lo, v16, s0
	v_mov_b32_e32 v13, v1
	v_add_co_ci_u32_e32 v1, vcc_lo, s1, v17, vcc_lo
	v_dual_mov_b32 v57, v5 :: v_dual_mov_b32 v24, v3
	s_lshl_b32 s16, s14, 9
	flat_load_b32 v37, v[0:1]
	s_mov_b32 s11, exec_lo
	s_waitcnt vmcnt(0) lgkmcnt(0)
	v_cmpx_lt_i32_e64 s16, v37
	s_cbranch_execz .LBB371_3212
; %bb.1:
	v_sub_nc_u32_e32 v0, 0, v12
	s_clause 0x1
	s_load_b32 s0, s[8:9], 0x10
	s_load_b32 s1, s[8:9], 0x0
	s_mov_b32 s6, s15
	v_max_i32_e32 v0, v12, v0
	s_delay_alu instid0(VALU_DEP_1) | instskip(SKIP_1) | instid1(VALU_DEP_2)
	v_cvt_f32_u32_e32 v1, v0
	v_sub_nc_u32_e32 v2, 0, v0
	v_rcp_iflag_f32_e32 v1, v1
	s_waitcnt lgkmcnt(0)
	s_lshr_b32 s0, s0, 16
	s_delay_alu instid0(SALU_CYCLE_1)
	s_cmp_lg_u32 s0, 0
	s_cselect_b32 s0, -1, 0
	s_waitcnt_depctr 0xfff
	v_mul_f32_e32 v1, 0x4f7ffffe, v1
	s_cmp_lg_u32 s0, 0
	s_addc_u32 s15, s1, 0
	s_mov_b32 s1, exec_lo
	s_delay_alu instid0(VALU_DEP_1) | instskip(SKIP_1) | instid1(VALU_DEP_1)
	v_cvt_u32_f32_e32 v1, v1
	s_abs_i32 s0, s15
	v_mul_lo_u32 v2, v2, v1
	s_delay_alu instid0(VALU_DEP_1) | instskip(NEXT) | instid1(VALU_DEP_1)
	v_mul_hi_u32 v2, v1, v2
	v_add_nc_u32_e32 v1, v1, v2
	s_delay_alu instid0(VALU_DEP_1) | instskip(NEXT) | instid1(VALU_DEP_1)
	v_mul_hi_u32 v1, s0, v1
	v_mul_lo_u32 v2, v1, v0
	v_add_nc_u32_e32 v3, 1, v1
	s_delay_alu instid0(VALU_DEP_2) | instskip(SKIP_1) | instid1(VALU_DEP_1)
	v_sub_nc_u32_e32 v2, s0, v2
	s_abs_i32 s0, s12
	v_sub_nc_u32_e32 v4, v2, v0
	v_cmp_ge_u32_e32 vcc_lo, v2, v0
	s_delay_alu instid0(VALU_DEP_2) | instskip(SKIP_1) | instid1(VALU_DEP_2)
	v_dual_cndmask_b32 v1, v1, v3 :: v_dual_cndmask_b32 v2, v2, v4
	v_xor_b32_e32 v3, s15, v12
	v_add_nc_u32_e32 v4, 1, v1
	s_delay_alu instid0(VALU_DEP_3) | instskip(NEXT) | instid1(VALU_DEP_3)
	v_cmp_ge_u32_e32 vcc_lo, v2, v0
	v_ashrrev_i32_e32 v3, 31, v3
	s_delay_alu instid0(VALU_DEP_3) | instskip(NEXT) | instid1(VALU_DEP_1)
	v_cndmask_b32_e32 v0, v1, v4, vcc_lo
	v_xor_b32_e32 v0, v0, v3
	s_delay_alu instid0(VALU_DEP_1) | instskip(NEXT) | instid1(VALU_DEP_1)
	v_sub_nc_u32_e32 v1, v0, v3
	v_sub_nc_u32_e32 v0, 0, v1
	s_delay_alu instid0(VALU_DEP_1) | instskip(NEXT) | instid1(VALU_DEP_1)
	v_max_i32_e32 v0, v1, v0
	v_cvt_f32_u32_e32 v2, v0
	v_sub_nc_u32_e32 v3, 0, v0
	s_delay_alu instid0(VALU_DEP_2) | instskip(SKIP_2) | instid1(VALU_DEP_1)
	v_rcp_iflag_f32_e32 v2, v2
	s_waitcnt_depctr 0xfff
	v_mul_f32_e32 v2, 0x4f7ffffe, v2
	v_cvt_u32_f32_e32 v2, v2
	s_delay_alu instid0(VALU_DEP_1) | instskip(NEXT) | instid1(VALU_DEP_1)
	v_mul_lo_u32 v3, v3, v2
	v_mul_hi_u32 v3, v2, v3
	s_delay_alu instid0(VALU_DEP_1) | instskip(NEXT) | instid1(VALU_DEP_1)
	v_add_nc_u32_e32 v2, v2, v3
	v_mad_u64_u32 v[16:17], null, s0, v2, 0
	v_mov_b32_e32 v2, 0
	scratch_store_b32 off, v2, s32 offset:484 ; 4-byte Folded Spill
	v_cmpx_ne_u64_e32 0, v[19:20]
	s_cbranch_execz .LBB371_3
; %bb.2:
	s_ashr_i32 s13, s12, 31
	s_delay_alu instid0(SALU_CYCLE_1) | instskip(NEXT) | instid1(SALU_CYCLE_1)
	s_lshl_b64 s[2:3], s[12:13], 2
	v_add_co_u32 v2, vcc_lo, v19, s2
	v_add_co_ci_u32_e32 v3, vcc_lo, s3, v20, vcc_lo
	flat_load_b32 v2, v[2:3]
	s_waitcnt vmcnt(0) lgkmcnt(0)
	scratch_store_b32 off, v2, s32 offset:484 ; 4-byte Folded Spill
.LBB371_3:
	s_or_b32 exec_lo, exec_lo, s1
	v_and_b32_e32 v59, 0x3ff, v31
	v_ashrrev_i32_e32 v1, 31, v1
	s_ashr_i32 s1, s12, 31
	s_mul_i32 s4, s12, 0xc0
	s_mov_b32 s2, exec_lo
	v_cmpx_gt_u32_e32 24, v59
	s_cbranch_execz .LBB371_5
; %bb.4:
	v_mul_lo_u32 v2, s10, v21
	s_ashr_i32 s5, s4, 31
	v_lshlrev_b32_e32 v12, 4, v59
	s_lshl_b64 s[18:19], s[4:5], 1
	s_delay_alu instid0(VALU_DEP_2) | instskip(NEXT) | instid1(VALU_DEP_1)
	v_ashrrev_i32_e32 v3, 31, v2
	v_lshlrev_b64 v[2:3], 1, v[2:3]
	s_delay_alu instid0(VALU_DEP_1) | instskip(NEXT) | instid1(VALU_DEP_2)
	v_add_co_u32 v2, vcc_lo, v6, v2
	v_add_co_ci_u32_e32 v3, vcc_lo, v7, v3, vcc_lo
	s_delay_alu instid0(VALU_DEP_2) | instskip(NEXT) | instid1(VALU_DEP_2)
	v_add_co_u32 v2, vcc_lo, v2, s18
	v_add_co_ci_u32_e32 v3, vcc_lo, s19, v3, vcc_lo
	s_delay_alu instid0(VALU_DEP_2) | instskip(NEXT) | instid1(VALU_DEP_2)
	v_add_co_u32 v2, vcc_lo, v2, v12
	v_add_co_ci_u32_e32 v3, vcc_lo, 0, v3, vcc_lo
	flat_load_b128 v[2:5], v[2:3]
	s_waitcnt vmcnt(0) lgkmcnt(0)
	ds_store_b128 v12, v[2:5]
.LBB371_5:
	s_or_b32 exec_lo, exec_lo, s2
	v_mul_lo_u32 v2, v17, v0
	s_clause 0x1
	s_load_b32 s13, s[8:9], 0x14
	s_load_b32 s5, s[8:9], 0x8
	s_lshl_b32 s8, s14, 4
	v_lshrrev_b32_e32 v60, 5, v59
	v_xor_b32_e32 v1, s1, v1
	v_and_b32_e32 v62, 31, v59
	s_mov_b32 s9, exec_lo
	v_sub_nc_u32_e32 v2, s0, v2
	s_add_i32 s0, s8, 16
	s_delay_alu instid0(VALU_DEP_2) | instskip(SKIP_1) | instid1(VALU_DEP_3)
	v_lshlrev_b32_e32 v20, 2, v62
	v_add_nc_u32_e32 v72, s8, v60
	v_sub_nc_u32_e32 v4, v2, v0
	v_cmp_ge_u32_e32 vcc_lo, v2, v0
	v_add_nc_u32_e32 v3, 1, v17
	s_delay_alu instid0(VALU_DEP_4) | instskip(NEXT) | instid1(VALU_DEP_2)
	v_ashrrev_i32_e32 v73, 31, v72
	v_dual_cndmask_b32 v2, v2, v4 :: v_dual_cndmask_b32 v3, v17, v3
	s_delay_alu instid0(VALU_DEP_1) | instskip(NEXT) | instid1(VALU_DEP_2)
	v_cmp_ge_u32_e32 vcc_lo, v2, v0
	v_add_nc_u32_e32 v4, 1, v3
	v_add_nc_u32_e32 v5, 31, v37
	v_mul_lo_u32 v0, s10, v18
	s_delay_alu instid0(VALU_DEP_3) | instskip(NEXT) | instid1(VALU_DEP_3)
	v_cndmask_b32_e32 v2, v3, v4, vcc_lo
	v_ashrrev_i32_e32 v6, 31, v5
	v_mov_b32_e32 v4, 0xff7fffff
	s_delay_alu instid0(VALU_DEP_3) | instskip(NEXT) | instid1(VALU_DEP_3)
	v_xor_b32_e32 v2, v2, v1
	v_lshrrev_b32_e32 v3, 27, v6
	s_delay_alu instid0(VALU_DEP_2) | instskip(NEXT) | instid1(VALU_DEP_2)
	v_sub_nc_u32_e32 v2, v2, v1
	v_add_nc_u32_e32 v3, v5, v3
	v_ashrrev_i32_e32 v1, 31, v0
	s_delay_alu instid0(VALU_DEP_3) | instskip(NEXT) | instid1(VALU_DEP_3)
	v_mul_lo_u32 v23, v2, v23
	v_ashrrev_i32_e32 v12, 5, v3
	s_delay_alu instid0(VALU_DEP_3) | instskip(SKIP_1) | instid1(VALU_DEP_3)
	v_lshlrev_b64 v[16:17], 2, v[0:1]
	v_lshlrev_b32_e32 v2, 5, v60
	v_min_i32_e32 v175, s0, v12
	v_ashrrev_i32_e32 v34, 31, v23
	scratch_store_b32 off, v2, s32 offset:504 ; 4-byte Folded Spill
	s_waitcnt lgkmcnt(0)
	s_waitcnt_vscnt null, 0x0
	v_cmp_ge_i32_e64 s0, v72, v175
	s_barrier
	buffer_gl0_inv
	v_cmpx_lt_i32_e64 v72, v175
	s_cbranch_execz .LBB371_1545
; %bb.6:
	v_lshlrev_b32_e32 v2, 4, v62
	v_add_co_u32 v3, vcc_lo, v8, v23
	v_add_co_ci_u32_e32 v4, vcc_lo, v9, v34, vcc_lo
	v_mov_b32_e32 v9, 0
	s_delay_alu instid0(VALU_DEP_3) | instskip(SKIP_1) | instid1(VALU_DEP_4)
	v_add_co_u32 v2, vcc_lo, v3, v2
	v_lshlrev_b64 v[0:1], 2, v[72:73]
	v_add_co_ci_u32_e32 v3, vcc_lo, 0, v4, vcc_lo
	s_getpc_b64 s[2:3]
	s_add_u32 s2, s2, llvm.amdgcn.dynlds.offset.table@rel32@lo+4
	s_addc_u32 s3, s3, llvm.amdgcn.dynlds.offset.table@rel32@hi+12
	s_ashr_i32 s7, s6, 31
	s_clause 0xa
	scratch_store_b32 off, v12, s32 offset:576
	scratch_store_b32 off, v25, s32 offset:564
	;; [unrolled: 1-line block ×11, first 2 shown]
	s_lshl_b64 s[18:19], s[6:7], 2
	s_clause 0x1
	scratch_store_b64 off, v[2:3], s32 offset:496
	scratch_store_b64 off, v[16:17], s32 offset:568
	scratch_load_b32 v2, off, s32 offset:484 ; 4-byte Folded Reload
	v_add_co_u32 v0, s1, v16, v0
	s_add_u32 s2, s18, s2
	s_addc_u32 s3, s19, s3
	s_clause 0x1
	scratch_store_b32 off, v23, s32 offset:580
	scratch_store_b32 off, v34, s32 offset:584
	s_load_b32 s2, s[2:3], 0x0
	v_add_co_ci_u32_e64 v1, s1, v17, v1, s1
	s_clause 0x1
	scratch_store_b32 off, v60, s32 offset:520
	scratch_store_b32 off, v20, s32 offset:588
	v_add_co_u32 v170, s1, v14, v0
	scratch_load_b32 v0, off, s32 offset:504 ; 4-byte Folded Reload
	v_add_co_ci_u32_e64 v171, s1, v15, v1, s1
	v_mov_b32_e32 v4, 0xff7fffff
	s_mov_b32 s7, 0
	s_clause 0x4
	scratch_store_b32 off, v62, s32 offset:524
	scratch_store_b64 off, v[72:73], s32 offset:528
	scratch_store_b32 off, v14, s32 offset:540
	scratch_store_b32 off, v15, s32 offset:536
	;; [unrolled: 1-line block ×3, first 2 shown]
	v_mov_b32_e32 v21, v72
	s_waitcnt vmcnt(1)
	v_cmp_neq_f32_e32 vcc_lo, 0, v2
	v_lshl_or_b32 v2, v60, 7, v20
	s_waitcnt lgkmcnt(0)
	s_delay_alu instid0(VALU_DEP_1)
	v_add_nc_u32_e32 v28, s2, v2
	s_mov_b32 s2, -1
	s_mov_b32 s3, 0xffffff
	s_waitcnt vmcnt(0)
	v_add3_u32 v30, s16, v0, v62
	s_branch .LBB371_11
.LBB371_7:                              ;   in Loop: Header=BB371_11 Depth=1
	s_or_b32 exec_lo, exec_lo, s20
	v_lshlrev_b32_e32 v8, 8, v30
	v_lshl_add_u32 v29, v29, 10, 0x2000
	s_delay_alu instid0(VALU_DEP_1) | instskip(NEXT) | instid1(VALU_DEP_1)
	v_and_or_b32 v8, 0x8000, v8, v29
	v_lshl_or_b32 v8, v28, 7, v8
	s_delay_alu instid0(VALU_DEP_1)
	v_cvt_f32_f16_e32 v31, v8
.LBB371_8:                              ;   in Loop: Header=BB371_11 Depth=1
	s_or_b32 exec_lo, exec_lo, s19
.LBB371_9:                              ;   in Loop: Header=BB371_11 Depth=1
	s_delay_alu instid0(SALU_CYCLE_1)
	s_or_b32 exec_lo, exec_lo, s18
	s_clause 0x2
	scratch_load_b32 v30, off, s32 offset:384
	scratch_load_b32 v28, off, s32 offset:372
	;; [unrolled: 1-line block ×3, first 2 shown]
.LBB371_10:                             ;   in Loop: Header=BB371_11 Depth=1
	s_or_b32 exec_lo, exec_lo, s17
	v_fma_mixlo_f16 v8, v64, v54, 0
	v_fma_mixlo_f16 v54, v64, v53, 0
	v_fma_mixlo_f16 v159, v64, v159, 0
	v_fma_mixlo_f16 v29, v64, v96, 0
	v_fma_mixlo_f16 v96, v64, v84, 0
	scratch_store_b32 off, v8, s32 offset:408 ; 4-byte Folded Spill
	v_fma_mixlo_f16 v8, v64, v153, 0
	v_fma_mixlo_f16 v153, v64, v82, 0
	v_fma_mixlo_f16 v82, v64, v19, 0
	v_fma_mixlo_f16 v19, v64, v13, 0
	v_fma_mixlo_f16 v13, v64, v35, 0
	scratch_store_b32 off, v8, s32 offset:412 ; 4-byte Folded Spill
	;; [unrolled: 6-line block ×3, first 2 shown]
	v_fma_mixlo_f16 v8, v64, v152, 0
	v_fma_mixlo_f16 v152, v64, v24, 0
	;; [unrolled: 1-line block ×3, first 2 shown]
	scratch_load_b32 v0, off, s32 offset:356 ; 4-byte Folded Reload
	v_fma_mixlo_f16 v23, v64, v23, 0
	scratch_store_b32 off, v8, s32 offset:420 ; 4-byte Folded Spill
	v_fma_mixlo_f16 v8, v64, v80, 0
	v_fma_mixlo_f16 v87, v64, v87, 0
	;; [unrolled: 1-line block ×5, first 2 shown]
	scratch_store_b32 off, v8, s32 offset:400 ; 4-byte Folded Spill
	v_fma_mixlo_f16 v8, v64, v51, 0
	v_fma_mixlo_f16 v51, v64, v81, 0
	v_fma_mixlo_f16 v10, v64, v20, 0
	v_fma_mixlo_f16 v141, v64, v141, 0
	v_fma_mixlo_f16 v140, v64, v140, 0
	scratch_store_b32 off, v8, s32 offset:404 ; 4-byte Folded Spill
	v_fma_mixlo_f16 v8, v64, v55, 0
	scratch_store_b32 off, v4, s32 offset:464 ; 4-byte Folded Spill
	v_fma_mixlo_f16 v4, v64, v39, 0
	v_fma_mixlo_f16 v39, v64, v17, 0
	v_fma_mixlo_f16 v17, v64, v68, 0
	scratch_store_b32 off, v8, s32 offset:396 ; 4-byte Folded Spill
	v_fma_mixlo_f16 v68, v64, v172, 0
	v_fma_mixlo_f16 v172, v64, v138, 0
	;; [unrolled: 1-line block ×27, first 2 shown]
	scratch_store_b32 off, v4, s32 offset:468 ; 4-byte Folded Spill
	v_fma_mixlo_f16 v4, v64, v52, 0
	v_fma_mixlo_f16 v112, v64, v69, 0
	;; [unrolled: 1-line block ×3, first 2 shown]
	scratch_store_b32 off, v8, s32 offset:392 ; 4-byte Folded Spill
	v_fma_mixlo_f16 v8, v64, v168, 0
	scratch_store_b32 off, v4, s32 offset:460 ; 4-byte Folded Spill
	v_fma_mixlo_f16 v4, v64, v101, 0
	v_fma_mixlo_f16 v101, v64, v11, 0
	v_fma_mixlo_f16 v11, v64, v185, 0
	scratch_store_b32 off, v8, s32 offset:440 ; 4-byte Folded Spill
	v_fma_mixlo_f16 v8, v64, v38, 0
	v_fma_mixlo_f16 v38, v64, v3, 0
	v_fma_mixlo_f16 v52, v64, v14, 0
	v_fma_mixlo_f16 v14, v64, v2, 0
	v_fma_mixlo_f16 v168, v64, v5, 0
	scratch_store_b32 off, v8, s32 offset:444 ; 4-byte Folded Spill
	v_fma_mixlo_f16 v8, v64, v48, 0
	v_fma_mixlo_f16 v48, v64, v25, 0
	;; [unrolled: 6-line block ×3, first 2 shown]
	v_fma_mixlo_f16 v15, v64, v22, 0
	v_fma_mixlo_f16 v22, v64, v186, 0
	;; [unrolled: 1-line block ×28, first 2 shown]
	scratch_store_b32 off, v8, s32 offset:452 ; 4-byte Folded Spill
	v_fma_mixlo_f16 v8, v64, v174, 0
	v_fma_mixlo_f16 v174, v64, v34, 0
	v_fma_mixlo_f16 v34, v64, v98, 0
	v_fma_mixlo_f16 v98, v64, v83, 0
	v_fma_mixlo_f16 v83, v64, v99, 0
	scratch_store_b32 off, v8, s32 offset:432 ; 4-byte Folded Spill
	v_fma_mixlo_f16 v8, v64, v102, 0
	v_fma_mixlo_f16 v99, v64, v1, 0
	v_fma_mixlo_f16 v102, v64, v156, 0
	v_fma_mixlo_f16 v85, v64, v7, 0
	v_fma_mixlo_f16 v125, v64, v125, 0
	;; [unrolled: 6-line block ×4, first 2 shown]
	v_fma_mixlo_f16 v137, v64, v154, 0
	v_fma_mixlo_f16 v154, v64, v121, 0
	;; [unrolled: 1-line block ×24, first 2 shown]
	scratch_store_b32 off, v8, s32 offset:424 ; 4-byte Folded Spill
	v_fma_mixlo_f16 v108, v64, v108, 0
	v_fma_mixlo_f16 v93, v64, v93, 0
	v_fma_mixlo_f16 v92, v64, v92, 0
	v_fma_mixlo_f16 v77, v64, v77, 0
	v_fma_mixlo_f16 v76, v64, v76, 0
	v_fma_mixlo_f16 v61, v64, v61, 0
	v_fma_mixlo_f16 v60, v64, v60, 0
	v_fma_mixlo_f16 v45, v64, v45, 0
	v_fma_mixlo_f16 v44, v64, v44, 0
	v_fma_mixlo_f16 v181, v64, v181, 0
	v_fma_mixlo_f16 v180, v64, v180, 0
	v_fma_mixlo_f16 v165, v64, v165, 0
	v_fma_mixlo_f16 v164, v64, v164, 0
	v_fma_mixlo_f16 v149, v64, v149, 0
	v_fma_mixlo_f16 v148, v64, v148, 0
	v_fma_mixlo_f16 v133, v64, v133, 0
	v_fma_mixlo_f16 v132, v64, v132, 0
	v_fma_mixlo_f16 v117, v64, v117, 0
	v_fma_mixlo_f16 v116, v64, v116, 0
	v_fma_mixlo_f16 v33, v64, v33, 0
	v_fma_mixlo_f16 v67, v64, v67, 0
	s_waitcnt vmcnt(3)
	v_cmp_lt_i32_e64 s1, v30, v37
	s_waitcnt vmcnt(1)
	v_add_nc_u32_e32 v21, 4, v21
	scratch_load_b32 v1, off, s32 offset:484 ; 4-byte Folded Reload
	s_waitcnt vmcnt(1)
	v_fma_mixlo_f16 v70, v64, v0, 0
	scratch_load_b32 v0, off, s32 offset:344 ; 4-byte Folded Reload
	s_waitcnt vmcnt(0)
	v_fma_mixlo_f16 v71, v64, v0, 0
	;; [unrolled: 3-line block ×4, first 2 shown]
	scratch_load_b32 v0, off, s32 offset:364 ; 4-byte Folded Reload
	v_and_b32_e32 v53, 0xffff, v53
	s_waitcnt vmcnt(0)
	v_fma_mixlo_f16 v81, v64, v0, 0
	scratch_load_b32 v0, off, s32 offset:352 ; 4-byte Folded Reload
	s_waitcnt vmcnt(0)
	v_fma_mixlo_f16 v80, v64, v0, 0
	scratch_load_b32 v0, off, s32 offset:360 ; 4-byte Folded Reload
	s_waitcnt vmcnt(0)
	v_fma_mixlo_f16 v49, v64, v0, 0
	scratch_load_b32 v0, off, s32 offset:320 ; 4-byte Folded Reload
	s_waitcnt vmcnt(0)
	v_fma_mixlo_f16 v175, v64, v0, 0
	scratch_load_b32 v0, off, s32 offset:324 ; 4-byte Folded Reload
	s_waitcnt vmcnt(0)
	v_fma_mixlo_f16 v184, v64, v0, 0
	scratch_load_b32 v0, off, s32 offset:376 ; 4-byte Folded Reload
	s_waitcnt vmcnt(0)
	v_fma_mixlo_f16 v185, v64, v0, 0
	scratch_load_b32 v0, off, s32 offset:336 ; 4-byte Folded Reload
	s_waitcnt vmcnt(0)
	v_fma_mixlo_f16 v156, v64, v0, 0
	scratch_load_b32 v0, off, s32 offset:328 ; 4-byte Folded Reload
	s_waitcnt vmcnt(0)
	v_fma_mixlo_f16 v157, v64, v0, 0
	scratch_load_b32 v0, off, s32 offset:332 ; 4-byte Folded Reload
	s_waitcnt vmcnt(0)
	v_fma_mixlo_f16 v66, v64, v0, 0
	scratch_load_b32 v0, off, s32 offset:380 ; 4-byte Folded Reload
	s_waitcnt vmcnt(0)
	v_fma_mixlo_f16 v65, v64, v0, 0
	v_sub_nc_u32_e32 v0, 1, v37
	s_delay_alu instid0(VALU_DEP_1) | instskip(SKIP_1) | instid1(VALU_DEP_2)
	v_add_nc_u32_e32 v0, v0, v30
	v_add_nc_u32_e32 v30, 0x80, v30
	v_cvt_f32_i32_e32 v0, v0
	s_delay_alu instid0(VALU_DEP_1) | instskip(NEXT) | instid1(VALU_DEP_1)
	v_mul_f32_e32 v0, v1, v0
	v_cndmask_b32_e32 v8, 0, v0, vcc_lo
	v_fma_mixlo_f16 v0, v64, v188, 0
	v_fma_mixlo_f16 v188, v64, v32, 0
	;; [unrolled: 1-line block ×3, first 2 shown]
	scratch_store_b32 off, v0, s32 offset:332 ; 4-byte Folded Spill
	v_fma_mixlo_f16 v0, v64, v155, 0
	scratch_store_b32 off, v0, s32 offset:328 ; 4-byte Folded Spill
	v_fma_mixlo_f16 v0, v64, v191, 0
	;; [unrolled: 2-line block ×3, first 2 shown]
	s_clause 0x1
	scratch_store_b32 off, v4, s32 offset:456
	scratch_store_b32 off, v0, s32 offset:320
	ds_load_b128 v[0:3], v9
	s_waitcnt lgkmcnt(0)
	v_lshrrev_b32_e32 v31, 16, v0
	v_and_b32_e32 v0, 0xffff, v0
	;;#ASMSTART
	v_cvt_f32_f16 v155, v0;
	;;#ASMEND
	v_and_b32_e32 v0, 0xffff, v185
	;;#ASMSTART
	v_cvt_f32_f16 v31, v31;
	;;#ASMEND
	;;#ASMSTART
	v_cvt_f32_f16 v185, v0;
	;;#ASMEND
	v_and_b32_e32 v0, 0xffff, v184
	;;#ASMSTART
	v_cvt_f32_f16 v184, v0;
	;;#ASMEND
	v_lshrrev_b32_e32 v0, 16, v1
	v_and_b32_e32 v1, 0xffff, v1
	;;#ASMSTART
	v_cvt_f32_f16 v189, v1;
	;;#ASMEND
	;;#ASMSTART
	v_cvt_f32_f16 v191, v0;
	;;#ASMEND
	v_and_b32_e32 v0, 0xffff, v175
	;;#ASMSTART
	v_cvt_f32_f16 v175, v0;
	;;#ASMEND
	v_and_b32_e32 v0, 0xffff, v159
	;;#ASMSTART
	v_cvt_f32_f16 v159, v0;
	;;#ASMEND
	v_lshrrev_b32_e32 v0, 16, v2
	v_and_b32_e32 v1, 0xffff, v2
	;;#ASMSTART
	v_cvt_f32_f16 v4, v1;
	;;#ASMEND
	;;#ASMSTART
	v_cvt_f32_f16 v5, v0;
	;;#ASMEND
	v_and_b32_e32 v0, 0xffff, v157
	;; [unrolled: 16-line block ×3, first 2 shown]
	;;#ASMSTART
	v_cvt_f32_f16 v66, v0;
	;;#ASMEND
	v_and_b32_e32 v0, 0xffff, v65
	;;#ASMSTART
	v_cvt_f32_f16 v65, v0;
	;;#ASMEND
	ds_load_b128 v[0:3], v9 offset:16
	s_waitcnt lgkmcnt(0)
	v_lshrrev_b32_e32 v64, 16, v0
	v_and_b32_e32 v0, 0xffff, v0
	;;#ASMSTART
	v_cvt_f32_f16 v0, v0;
	;;#ASMEND
	;;#ASMSTART
	v_cvt_f32_f16 v20, v64;
	;;#ASMEND
	;; [unrolled: 3-line block ×3, first 2 shown]
	v_and_b32_e32 v64, 0xffff, v69
	;;#ASMSTART
	v_cvt_f32_f16 v69, v64;
	;;#ASMEND
	v_mul_f32_e32 v64, v0, v53
	v_mul_f32_e32 v69, v20, v69
	v_lshrrev_b32_e32 v0, 16, v1
	v_and_b32_e32 v1, 0xffff, v1
	v_and_b32_e32 v20, 0xffff, v71
	v_fmac_f32_e32 v64, v155, v185
	v_fmac_f32_e32 v69, v31, v184
	v_and_b32_e32 v31, 0xffff, v70
	;;#ASMSTART
	v_cvt_f32_f16 v1, v1;
	;;#ASMEND
	;;#ASMSTART
	v_cvt_f32_f16 v0, v0;
	;;#ASMEND
	;; [unrolled: 3-line block ×4, first 2 shown]
	v_dual_mul_f32 v71, v1, v20 :: v_dual_mul_f32 v70, v0, v31
	v_lshrrev_b32_e32 v0, 16, v2
	v_and_b32_e32 v1, 0xffff, v2
	v_and_b32_e32 v2, 0xffff, v80
	;; [unrolled: 1-line block ×3, first 2 shown]
	;;#ASMSTART
	v_cvt_f32_f16 v1, v1;
	;;#ASMEND
	;;#ASMSTART
	v_cvt_f32_f16 v0, v0;
	;;#ASMEND
	;; [unrolled: 3-line block ×4, first 2 shown]
	v_dual_mul_f32 v80, v0, v20 :: v_dual_mul_f32 v81, v1, v2
	v_lshrrev_b32_e32 v0, 16, v3
	v_and_b32_e32 v1, 0xffff, v3
	v_and_b32_e32 v2, 0xffff, v49
	s_delay_alu instid0(VALU_DEP_4)
	v_dual_fmac_f32 v80, v5, v156 :: v_dual_and_b32 v3, 0xffff, v35
	;;#ASMSTART
	v_cvt_f32_f16 v1, v1;
	;;#ASMEND
	;;#ASMSTART
	v_cvt_f32_f16 v0, v0;
	;;#ASMEND
	;;#ASMSTART
	v_cvt_f32_f16 v2, v2;
	;;#ASMEND
	;;#ASMSTART
	v_cvt_f32_f16 v3, v3;
	;;#ASMEND
	v_mul_f32_e32 v49, v1, v2
	v_mul_f32_e32 v35, v0, v3
	ds_load_b128 v[0:3], v9 offset:32
	v_fmac_f32_e32 v71, v189, v175
	v_dual_fmac_f32 v70, v191, v159 :: v_dual_fmac_f32 v81, v4, v157
	v_and_b32_e32 v5, 0xffff, v51
	v_dual_fmac_f32 v49, v6, v66 :: v_dual_and_b32 v6, 0xffff, v55
	v_fmac_f32_e32 v35, v7, v65
	s_waitcnt lgkmcnt(0)
	v_lshrrev_b32_e32 v4, 16, v0
	v_and_b32_e32 v0, 0xffff, v0
	;;#ASMSTART
	v_cvt_f32_f16 v0, v0;
	;;#ASMEND
	;;#ASMSTART
	v_cvt_f32_f16 v4, v4;
	;;#ASMEND
	;; [unrolled: 3-line block ×3, first 2 shown]
	s_delay_alu instid0(VALU_DEP_1)
	v_fmac_f32_e32 v64, v0, v5
	v_lshrrev_b32_e32 v0, 16, v1
	v_and_b32_e32 v1, 0xffff, v1
	;;#ASMSTART
	v_cvt_f32_f16 v6, v6;
	;;#ASMEND
	v_fmac_f32_e32 v69, v4, v6
	;;#ASMSTART
	v_cvt_f32_f16 v1, v1;
	;;#ASMEND
	;;#ASMSTART
	v_cvt_f32_f16 v0, v0;
	;;#ASMEND
	v_and_b32_e32 v4, 0xffff, v54
	v_and_b32_e32 v5, 0xffff, v112
	;;#ASMSTART
	v_cvt_f32_f16 v4, v4;
	;;#ASMEND
	;;#ASMSTART
	v_cvt_f32_f16 v5, v5;
	;;#ASMEND
	s_delay_alu instid0(VALU_DEP_1)
	v_dual_fmac_f32 v71, v1, v4 :: v_dual_fmac_f32 v70, v0, v5
	v_and_b32_e32 v1, 0xffff, v2
	v_lshrrev_b32_e32 v0, 16, v2
	v_and_b32_e32 v2, 0xffff, v128
	;;#ASMSTART
	v_cvt_f32_f16 v1, v1;
	;;#ASMEND
	;;#ASMSTART
	v_cvt_f32_f16 v0, v0;
	;;#ASMEND
	;; [unrolled: 3-line block ×3, first 2 shown]
	v_and_b32_e32 v4, 0xffff, v119
	;;#ASMSTART
	v_cvt_f32_f16 v4, v4;
	;;#ASMEND
	s_delay_alu instid0(VALU_DEP_1)
	v_dual_fmac_f32 v81, v1, v2 :: v_dual_fmac_f32 v80, v0, v4
	v_lshrrev_b32_e32 v0, 16, v3
	v_and_b32_e32 v1, 0xffff, v3
	v_and_b32_e32 v2, 0xffff, v118
	;; [unrolled: 1-line block ×3, first 2 shown]
	;;#ASMSTART
	v_cvt_f32_f16 v1, v1;
	;;#ASMEND
	;;#ASMSTART
	v_cvt_f32_f16 v0, v0;
	;;#ASMEND
	;; [unrolled: 3-line block ×4, first 2 shown]
	v_fmac_f32_e32 v49, v1, v2
	v_fmac_f32_e32 v35, v0, v3
	ds_load_b128 v[0:3], v9 offset:48
	v_and_b32_e32 v5, 0xffff, v144
	v_and_b32_e32 v6, 0xffff, v135
	s_waitcnt lgkmcnt(0)
	v_lshrrev_b32_e32 v4, 16, v0
	v_and_b32_e32 v0, 0xffff, v0
	;;#ASMSTART
	v_cvt_f32_f16 v0, v0;
	;;#ASMEND
	;;#ASMSTART
	v_cvt_f32_f16 v4, v4;
	;;#ASMEND
	;; [unrolled: 3-line block ×3, first 2 shown]
	s_delay_alu instid0(VALU_DEP_1)
	v_fmac_f32_e32 v64, v0, v5
	v_lshrrev_b32_e32 v0, 16, v1
	v_and_b32_e32 v1, 0xffff, v1
	;;#ASMSTART
	v_cvt_f32_f16 v6, v6;
	;;#ASMEND
	v_fmac_f32_e32 v69, v4, v6
	;;#ASMSTART
	v_cvt_f32_f16 v1, v1;
	;;#ASMEND
	;;#ASMSTART
	v_cvt_f32_f16 v0, v0;
	;;#ASMEND
	v_and_b32_e32 v4, 0xffff, v134
	v_and_b32_e32 v5, 0xffff, v117
	;;#ASMSTART
	v_cvt_f32_f16 v4, v4;
	;;#ASMEND
	;;#ASMSTART
	v_cvt_f32_f16 v5, v5;
	;;#ASMEND
	s_delay_alu instid0(VALU_DEP_1)
	v_dual_fmac_f32 v71, v1, v4 :: v_dual_fmac_f32 v70, v0, v5
	v_lshrrev_b32_e32 v0, 16, v2
	v_and_b32_e32 v1, 0xffff, v2
	v_and_b32_e32 v2, 0xffff, v116
	;;#ASMSTART
	v_cvt_f32_f16 v1, v1;
	;;#ASMEND
	;;#ASMSTART
	v_cvt_f32_f16 v0, v0;
	;;#ASMEND
	;; [unrolled: 3-line block ×3, first 2 shown]
	v_and_b32_e32 v4, 0xffff, v115
	;;#ASMSTART
	v_cvt_f32_f16 v4, v4;
	;;#ASMEND
	s_delay_alu instid0(VALU_DEP_1)
	v_dual_fmac_f32 v81, v1, v2 :: v_dual_fmac_f32 v80, v0, v4
	v_lshrrev_b32_e32 v0, 16, v3
	v_and_b32_e32 v1, 0xffff, v3
	v_and_b32_e32 v2, 0xffff, v114
	;; [unrolled: 1-line block ×3, first 2 shown]
	;;#ASMSTART
	v_cvt_f32_f16 v1, v1;
	;;#ASMEND
	;;#ASMSTART
	v_cvt_f32_f16 v0, v0;
	;;#ASMEND
	;; [unrolled: 3-line block ×4, first 2 shown]
	v_fmac_f32_e32 v49, v1, v2
	v_fmac_f32_e32 v35, v0, v3
	ds_load_b128 v[0:3], v9 offset:64
	v_and_b32_e32 v5, 0xffff, v160
	v_and_b32_e32 v6, 0xffff, v151
	s_waitcnt lgkmcnt(0)
	v_lshrrev_b32_e32 v4, 16, v0
	v_and_b32_e32 v0, 0xffff, v0
	;;#ASMSTART
	v_cvt_f32_f16 v0, v0;
	;;#ASMEND
	;;#ASMSTART
	v_cvt_f32_f16 v4, v4;
	;;#ASMEND
	;;#ASMSTART
	v_cvt_f32_f16 v5, v5;
	;;#ASMEND
	s_delay_alu instid0(VALU_DEP_1)
	v_fmac_f32_e32 v64, v0, v5
	v_lshrrev_b32_e32 v0, 16, v1
	v_and_b32_e32 v1, 0xffff, v1
	;;#ASMSTART
	v_cvt_f32_f16 v6, v6;
	;;#ASMEND
	v_fmac_f32_e32 v69, v4, v6
	;;#ASMSTART
	v_cvt_f32_f16 v1, v1;
	;;#ASMEND
	;;#ASMSTART
	v_cvt_f32_f16 v0, v0;
	;;#ASMEND
	v_and_b32_e32 v4, 0xffff, v150
	v_and_b32_e32 v5, 0xffff, v133
	;;#ASMSTART
	v_cvt_f32_f16 v4, v4;
	;;#ASMEND
	;;#ASMSTART
	v_cvt_f32_f16 v5, v5;
	;;#ASMEND
	s_delay_alu instid0(VALU_DEP_1)
	v_dual_fmac_f32 v71, v1, v4 :: v_dual_fmac_f32 v70, v0, v5
	v_lshrrev_b32_e32 v0, 16, v2
	v_and_b32_e32 v1, 0xffff, v2
	v_and_b32_e32 v2, 0xffff, v132
	;;#ASMSTART
	v_cvt_f32_f16 v1, v1;
	;;#ASMEND
	;;#ASMSTART
	v_cvt_f32_f16 v0, v0;
	;;#ASMEND
	;; [unrolled: 3-line block ×3, first 2 shown]
	v_and_b32_e32 v4, 0xffff, v131
	;;#ASMSTART
	v_cvt_f32_f16 v4, v4;
	;;#ASMEND
	s_delay_alu instid0(VALU_DEP_1)
	v_dual_fmac_f32 v81, v1, v2 :: v_dual_fmac_f32 v80, v0, v4
	v_lshrrev_b32_e32 v0, 16, v3
	v_and_b32_e32 v1, 0xffff, v3
	v_and_b32_e32 v2, 0xffff, v130
	;; [unrolled: 1-line block ×3, first 2 shown]
	;;#ASMSTART
	v_cvt_f32_f16 v1, v1;
	;;#ASMEND
	;;#ASMSTART
	v_cvt_f32_f16 v0, v0;
	;;#ASMEND
	;; [unrolled: 3-line block ×4, first 2 shown]
	v_fmac_f32_e32 v49, v1, v2
	v_fmac_f32_e32 v35, v0, v3
	ds_load_b128 v[0:3], v9 offset:80
	v_and_b32_e32 v5, 0xffff, v176
	v_and_b32_e32 v6, 0xffff, v167
	s_waitcnt lgkmcnt(0)
	v_lshrrev_b32_e32 v4, 16, v0
	v_and_b32_e32 v0, 0xffff, v0
	;;#ASMSTART
	v_cvt_f32_f16 v0, v0;
	;;#ASMEND
	;;#ASMSTART
	v_cvt_f32_f16 v4, v4;
	;;#ASMEND
	;; [unrolled: 3-line block ×3, first 2 shown]
	s_delay_alu instid0(VALU_DEP_1)
	v_fmac_f32_e32 v64, v0, v5
	v_lshrrev_b32_e32 v0, 16, v1
	v_and_b32_e32 v1, 0xffff, v1
	;;#ASMSTART
	v_cvt_f32_f16 v6, v6;
	;;#ASMEND
	v_fmac_f32_e32 v69, v4, v6
	;;#ASMSTART
	v_cvt_f32_f16 v1, v1;
	;;#ASMEND
	;;#ASMSTART
	v_cvt_f32_f16 v0, v0;
	;;#ASMEND
	v_and_b32_e32 v4, 0xffff, v166
	v_and_b32_e32 v5, 0xffff, v149
	;;#ASMSTART
	v_cvt_f32_f16 v4, v4;
	;;#ASMEND
	;;#ASMSTART
	v_cvt_f32_f16 v5, v5;
	;;#ASMEND
	s_delay_alu instid0(VALU_DEP_1)
	v_dual_fmac_f32 v71, v1, v4 :: v_dual_fmac_f32 v70, v0, v5
	v_lshrrev_b32_e32 v0, 16, v2
	v_and_b32_e32 v1, 0xffff, v2
	v_and_b32_e32 v2, 0xffff, v148
	;;#ASMSTART
	v_cvt_f32_f16 v1, v1;
	;;#ASMEND
	;;#ASMSTART
	v_cvt_f32_f16 v0, v0;
	;;#ASMEND
	;; [unrolled: 3-line block ×3, first 2 shown]
	v_and_b32_e32 v4, 0xffff, v147
	;;#ASMSTART
	v_cvt_f32_f16 v4, v4;
	;;#ASMEND
	s_delay_alu instid0(VALU_DEP_1)
	v_dual_fmac_f32 v81, v1, v2 :: v_dual_fmac_f32 v80, v0, v4
	v_lshrrev_b32_e32 v0, 16, v3
	v_and_b32_e32 v1, 0xffff, v3
	v_and_b32_e32 v2, 0xffff, v146
	;; [unrolled: 1-line block ×3, first 2 shown]
	;;#ASMSTART
	v_cvt_f32_f16 v1, v1;
	;;#ASMEND
	;;#ASMSTART
	v_cvt_f32_f16 v0, v0;
	;;#ASMEND
	;; [unrolled: 3-line block ×4, first 2 shown]
	v_fmac_f32_e32 v49, v1, v2
	v_fmac_f32_e32 v35, v0, v3
	ds_load_b128 v[0:3], v9 offset:96
	v_and_b32_e32 v5, 0xffff, v40
	v_and_b32_e32 v6, 0xffff, v183
	s_waitcnt lgkmcnt(0)
	v_lshrrev_b32_e32 v4, 16, v0
	v_and_b32_e32 v0, 0xffff, v0
	;;#ASMSTART
	v_cvt_f32_f16 v0, v0;
	;;#ASMEND
	;;#ASMSTART
	v_cvt_f32_f16 v4, v4;
	;;#ASMEND
	;; [unrolled: 3-line block ×3, first 2 shown]
	s_delay_alu instid0(VALU_DEP_1)
	v_fmac_f32_e32 v64, v0, v5
	v_lshrrev_b32_e32 v0, 16, v1
	v_and_b32_e32 v1, 0xffff, v1
	;;#ASMSTART
	v_cvt_f32_f16 v6, v6;
	;;#ASMEND
	v_fmac_f32_e32 v69, v4, v6
	;;#ASMSTART
	v_cvt_f32_f16 v1, v1;
	;;#ASMEND
	;;#ASMSTART
	v_cvt_f32_f16 v0, v0;
	;;#ASMEND
	v_and_b32_e32 v4, 0xffff, v182
	v_and_b32_e32 v5, 0xffff, v165
	;;#ASMSTART
	v_cvt_f32_f16 v4, v4;
	;;#ASMEND
	;;#ASMSTART
	v_cvt_f32_f16 v5, v5;
	;;#ASMEND
	s_delay_alu instid0(VALU_DEP_1)
	v_dual_fmac_f32 v71, v1, v4 :: v_dual_fmac_f32 v70, v0, v5
	v_lshrrev_b32_e32 v0, 16, v2
	v_and_b32_e32 v1, 0xffff, v2
	v_and_b32_e32 v2, 0xffff, v164
	;;#ASMSTART
	v_cvt_f32_f16 v1, v1;
	;;#ASMEND
	;;#ASMSTART
	v_cvt_f32_f16 v0, v0;
	;;#ASMEND
	;; [unrolled: 3-line block ×3, first 2 shown]
	v_and_b32_e32 v4, 0xffff, v163
	;;#ASMSTART
	v_cvt_f32_f16 v4, v4;
	;;#ASMEND
	s_delay_alu instid0(VALU_DEP_1)
	v_dual_fmac_f32 v81, v1, v2 :: v_dual_fmac_f32 v80, v0, v4
	v_lshrrev_b32_e32 v0, 16, v3
	v_and_b32_e32 v1, 0xffff, v3
	v_and_b32_e32 v2, 0xffff, v162
	;; [unrolled: 1-line block ×3, first 2 shown]
	;;#ASMSTART
	v_cvt_f32_f16 v1, v1;
	;;#ASMEND
	;;#ASMSTART
	v_cvt_f32_f16 v0, v0;
	;;#ASMEND
	;; [unrolled: 3-line block ×4, first 2 shown]
	v_fmac_f32_e32 v49, v1, v2
	v_fmac_f32_e32 v35, v0, v3
	ds_load_b128 v[0:3], v9 offset:112
	v_and_b32_e32 v5, 0xffff, v56
	v_and_b32_e32 v6, 0xffff, v47
	s_waitcnt lgkmcnt(0)
	v_lshrrev_b32_e32 v4, 16, v0
	v_and_b32_e32 v0, 0xffff, v0
	;;#ASMSTART
	v_cvt_f32_f16 v0, v0;
	;;#ASMEND
	;;#ASMSTART
	v_cvt_f32_f16 v4, v4;
	;;#ASMEND
	;; [unrolled: 3-line block ×3, first 2 shown]
	s_delay_alu instid0(VALU_DEP_1)
	v_fmac_f32_e32 v64, v0, v5
	v_lshrrev_b32_e32 v0, 16, v1
	v_and_b32_e32 v1, 0xffff, v1
	;;#ASMSTART
	v_cvt_f32_f16 v6, v6;
	;;#ASMEND
	v_fmac_f32_e32 v69, v4, v6
	;;#ASMSTART
	v_cvt_f32_f16 v1, v1;
	;;#ASMEND
	;;#ASMSTART
	v_cvt_f32_f16 v0, v0;
	;;#ASMEND
	v_and_b32_e32 v4, 0xffff, v46
	v_and_b32_e32 v5, 0xffff, v181
	;;#ASMSTART
	v_cvt_f32_f16 v4, v4;
	;;#ASMEND
	;;#ASMSTART
	v_cvt_f32_f16 v5, v5;
	;;#ASMEND
	s_delay_alu instid0(VALU_DEP_1)
	v_dual_fmac_f32 v71, v1, v4 :: v_dual_fmac_f32 v70, v0, v5
	v_lshrrev_b32_e32 v0, 16, v2
	v_and_b32_e32 v1, 0xffff, v2
	v_and_b32_e32 v2, 0xffff, v180
	;;#ASMSTART
	v_cvt_f32_f16 v1, v1;
	;;#ASMEND
	;;#ASMSTART
	v_cvt_f32_f16 v0, v0;
	;;#ASMEND
	;; [unrolled: 3-line block ×3, first 2 shown]
	v_and_b32_e32 v4, 0xffff, v179
	;;#ASMSTART
	v_cvt_f32_f16 v4, v4;
	;;#ASMEND
	s_delay_alu instid0(VALU_DEP_1)
	v_dual_fmac_f32 v81, v1, v2 :: v_dual_fmac_f32 v80, v0, v4
	v_lshrrev_b32_e32 v0, 16, v3
	v_and_b32_e32 v1, 0xffff, v3
	v_and_b32_e32 v2, 0xffff, v178
	;; [unrolled: 1-line block ×3, first 2 shown]
	;;#ASMSTART
	v_cvt_f32_f16 v1, v1;
	;;#ASMEND
	;;#ASMSTART
	v_cvt_f32_f16 v0, v0;
	;;#ASMEND
	;; [unrolled: 3-line block ×4, first 2 shown]
	v_fmac_f32_e32 v49, v1, v2
	v_fmac_f32_e32 v35, v0, v3
	ds_load_b128 v[0:3], v9 offset:128
	v_and_b32_e32 v5, 0xffff, v72
	v_and_b32_e32 v6, 0xffff, v63
	s_waitcnt lgkmcnt(0)
	v_lshrrev_b32_e32 v4, 16, v0
	v_and_b32_e32 v0, 0xffff, v0
	;;#ASMSTART
	v_cvt_f32_f16 v0, v0;
	;;#ASMEND
	;;#ASMSTART
	v_cvt_f32_f16 v4, v4;
	;;#ASMEND
	;; [unrolled: 3-line block ×3, first 2 shown]
	s_delay_alu instid0(VALU_DEP_1)
	v_fmac_f32_e32 v64, v0, v5
	v_lshrrev_b32_e32 v0, 16, v1
	v_and_b32_e32 v1, 0xffff, v1
	;;#ASMSTART
	v_cvt_f32_f16 v6, v6;
	;;#ASMEND
	v_fmac_f32_e32 v69, v4, v6
	;;#ASMSTART
	v_cvt_f32_f16 v1, v1;
	;;#ASMEND
	;;#ASMSTART
	v_cvt_f32_f16 v0, v0;
	;;#ASMEND
	v_and_b32_e32 v4, 0xffff, v62
	v_and_b32_e32 v5, 0xffff, v45
	;;#ASMSTART
	v_cvt_f32_f16 v4, v4;
	;;#ASMEND
	;;#ASMSTART
	v_cvt_f32_f16 v5, v5;
	;;#ASMEND
	s_delay_alu instid0(VALU_DEP_1)
	v_dual_fmac_f32 v71, v1, v4 :: v_dual_fmac_f32 v70, v0, v5
	v_lshrrev_b32_e32 v0, 16, v2
	v_and_b32_e32 v1, 0xffff, v2
	v_and_b32_e32 v2, 0xffff, v44
	;;#ASMSTART
	v_cvt_f32_f16 v1, v1;
	;;#ASMEND
	;;#ASMSTART
	v_cvt_f32_f16 v0, v0;
	;;#ASMEND
	;; [unrolled: 3-line block ×3, first 2 shown]
	v_and_b32_e32 v4, 0xffff, v43
	;;#ASMSTART
	v_cvt_f32_f16 v4, v4;
	;;#ASMEND
	s_delay_alu instid0(VALU_DEP_1)
	v_dual_fmac_f32 v81, v1, v2 :: v_dual_fmac_f32 v80, v0, v4
	v_lshrrev_b32_e32 v0, 16, v3
	v_and_b32_e32 v1, 0xffff, v3
	v_and_b32_e32 v2, 0xffff, v42
	;; [unrolled: 1-line block ×3, first 2 shown]
	;;#ASMSTART
	v_cvt_f32_f16 v1, v1;
	;;#ASMEND
	;;#ASMSTART
	v_cvt_f32_f16 v0, v0;
	;;#ASMEND
	;; [unrolled: 3-line block ×4, first 2 shown]
	v_fmac_f32_e32 v49, v1, v2
	v_fmac_f32_e32 v35, v0, v3
	ds_load_b128 v[0:3], v9 offset:144
	v_and_b32_e32 v5, 0xffff, v88
	v_and_b32_e32 v6, 0xffff, v79
	s_waitcnt lgkmcnt(0)
	v_lshrrev_b32_e32 v4, 16, v0
	v_and_b32_e32 v0, 0xffff, v0
	;;#ASMSTART
	v_cvt_f32_f16 v0, v0;
	;;#ASMEND
	;;#ASMSTART
	v_cvt_f32_f16 v4, v4;
	;;#ASMEND
	;; [unrolled: 3-line block ×3, first 2 shown]
	s_delay_alu instid0(VALU_DEP_1)
	v_fmac_f32_e32 v64, v0, v5
	v_lshrrev_b32_e32 v0, 16, v1
	v_and_b32_e32 v1, 0xffff, v1
	;;#ASMSTART
	v_cvt_f32_f16 v6, v6;
	;;#ASMEND
	v_fmac_f32_e32 v69, v4, v6
	;;#ASMSTART
	v_cvt_f32_f16 v1, v1;
	;;#ASMEND
	;;#ASMSTART
	v_cvt_f32_f16 v0, v0;
	;;#ASMEND
	v_and_b32_e32 v4, 0xffff, v78
	v_and_b32_e32 v5, 0xffff, v61
	;;#ASMSTART
	v_cvt_f32_f16 v4, v4;
	;;#ASMEND
	;;#ASMSTART
	v_cvt_f32_f16 v5, v5;
	;;#ASMEND
	s_delay_alu instid0(VALU_DEP_1)
	v_dual_fmac_f32 v71, v1, v4 :: v_dual_fmac_f32 v70, v0, v5
	v_lshrrev_b32_e32 v0, 16, v2
	v_and_b32_e32 v1, 0xffff, v2
	v_and_b32_e32 v2, 0xffff, v60
	;;#ASMSTART
	v_cvt_f32_f16 v1, v1;
	;;#ASMEND
	;;#ASMSTART
	v_cvt_f32_f16 v0, v0;
	;;#ASMEND
	;; [unrolled: 3-line block ×3, first 2 shown]
	v_and_b32_e32 v4, 0xffff, v59
	;;#ASMSTART
	v_cvt_f32_f16 v4, v4;
	;;#ASMEND
	s_delay_alu instid0(VALU_DEP_1)
	v_dual_fmac_f32 v81, v1, v2 :: v_dual_fmac_f32 v80, v0, v4
	v_lshrrev_b32_e32 v0, 16, v3
	v_and_b32_e32 v1, 0xffff, v3
	v_and_b32_e32 v2, 0xffff, v58
	v_and_b32_e32 v3, 0xffff, v57
	;;#ASMSTART
	v_cvt_f32_f16 v1, v1;
	;;#ASMEND
	;;#ASMSTART
	v_cvt_f32_f16 v0, v0;
	;;#ASMEND
	;; [unrolled: 3-line block ×4, first 2 shown]
	v_fmac_f32_e32 v49, v1, v2
	v_fmac_f32_e32 v35, v0, v3
	ds_load_b128 v[0:3], v9 offset:160
	v_and_b32_e32 v5, 0xffff, v104
	v_and_b32_e32 v6, 0xffff, v95
	s_waitcnt lgkmcnt(0)
	v_lshrrev_b32_e32 v4, 16, v0
	v_and_b32_e32 v0, 0xffff, v0
	;;#ASMSTART
	v_cvt_f32_f16 v0, v0;
	;;#ASMEND
	;;#ASMSTART
	v_cvt_f32_f16 v4, v4;
	;;#ASMEND
	;; [unrolled: 3-line block ×3, first 2 shown]
	s_delay_alu instid0(VALU_DEP_1)
	v_fmac_f32_e32 v64, v0, v5
	v_lshrrev_b32_e32 v0, 16, v1
	v_and_b32_e32 v1, 0xffff, v1
	;;#ASMSTART
	v_cvt_f32_f16 v6, v6;
	;;#ASMEND
	v_fmac_f32_e32 v69, v4, v6
	;;#ASMSTART
	v_cvt_f32_f16 v1, v1;
	;;#ASMEND
	;;#ASMSTART
	v_cvt_f32_f16 v0, v0;
	;;#ASMEND
	v_and_b32_e32 v4, 0xffff, v94
	v_and_b32_e32 v5, 0xffff, v77
	;;#ASMSTART
	v_cvt_f32_f16 v4, v4;
	;;#ASMEND
	;;#ASMSTART
	v_cvt_f32_f16 v5, v5;
	;;#ASMEND
	s_delay_alu instid0(VALU_DEP_1)
	v_dual_fmac_f32 v71, v1, v4 :: v_dual_fmac_f32 v70, v0, v5
	v_lshrrev_b32_e32 v0, 16, v2
	v_and_b32_e32 v1, 0xffff, v2
	v_and_b32_e32 v2, 0xffff, v76
	;;#ASMSTART
	v_cvt_f32_f16 v1, v1;
	;;#ASMEND
	;;#ASMSTART
	v_cvt_f32_f16 v0, v0;
	;;#ASMEND
	;; [unrolled: 3-line block ×3, first 2 shown]
	v_and_b32_e32 v4, 0xffff, v75
	;;#ASMSTART
	v_cvt_f32_f16 v4, v4;
	;;#ASMEND
	s_delay_alu instid0(VALU_DEP_1)
	v_dual_fmac_f32 v81, v1, v2 :: v_dual_fmac_f32 v80, v0, v4
	v_lshrrev_b32_e32 v0, 16, v3
	v_and_b32_e32 v1, 0xffff, v3
	v_and_b32_e32 v2, 0xffff, v74
	;; [unrolled: 1-line block ×3, first 2 shown]
	;;#ASMSTART
	v_cvt_f32_f16 v1, v1;
	;;#ASMEND
	;;#ASMSTART
	v_cvt_f32_f16 v0, v0;
	;;#ASMEND
	;; [unrolled: 3-line block ×4, first 2 shown]
	v_fmac_f32_e32 v49, v1, v2
	v_fmac_f32_e32 v35, v0, v3
	ds_load_b128 v[0:3], v9 offset:176
	v_and_b32_e32 v5, 0xffff, v120
	v_and_b32_e32 v6, 0xffff, v111
	s_waitcnt lgkmcnt(0)
	v_lshrrev_b32_e32 v4, 16, v0
	v_and_b32_e32 v0, 0xffff, v0
	;;#ASMSTART
	v_cvt_f32_f16 v0, v0;
	;;#ASMEND
	;;#ASMSTART
	v_cvt_f32_f16 v4, v4;
	;;#ASMEND
	;;#ASMSTART
	v_cvt_f32_f16 v5, v5;
	;;#ASMEND
	s_delay_alu instid0(VALU_DEP_1)
	v_fmac_f32_e32 v64, v0, v5
	v_lshrrev_b32_e32 v0, 16, v1
	v_and_b32_e32 v1, 0xffff, v1
	;;#ASMSTART
	v_cvt_f32_f16 v6, v6;
	;;#ASMEND
	v_fmac_f32_e32 v69, v4, v6
	;;#ASMSTART
	v_cvt_f32_f16 v1, v1;
	;;#ASMEND
	;;#ASMSTART
	v_cvt_f32_f16 v0, v0;
	;;#ASMEND
	v_and_b32_e32 v4, 0xffff, v110
	v_and_b32_e32 v5, 0xffff, v93
	;;#ASMSTART
	v_cvt_f32_f16 v4, v4;
	;;#ASMEND
	;;#ASMSTART
	v_cvt_f32_f16 v5, v5;
	;;#ASMEND
	s_delay_alu instid0(VALU_DEP_1)
	v_dual_fmac_f32 v71, v1, v4 :: v_dual_fmac_f32 v70, v0, v5
	v_lshrrev_b32_e32 v0, 16, v2
	v_and_b32_e32 v1, 0xffff, v2
	v_and_b32_e32 v2, 0xffff, v92
	;;#ASMSTART
	v_cvt_f32_f16 v1, v1;
	;;#ASMEND
	;;#ASMSTART
	v_cvt_f32_f16 v0, v0;
	;;#ASMEND
	;; [unrolled: 3-line block ×3, first 2 shown]
	v_and_b32_e32 v4, 0xffff, v91
	;;#ASMSTART
	v_cvt_f32_f16 v4, v4;
	;;#ASMEND
	s_delay_alu instid0(VALU_DEP_1)
	v_dual_fmac_f32 v81, v1, v2 :: v_dual_fmac_f32 v80, v0, v4
	v_lshrrev_b32_e32 v0, 16, v3
	v_and_b32_e32 v1, 0xffff, v3
	v_and_b32_e32 v2, 0xffff, v90
	;; [unrolled: 1-line block ×3, first 2 shown]
	;;#ASMSTART
	v_cvt_f32_f16 v1, v1;
	;;#ASMEND
	;;#ASMSTART
	v_cvt_f32_f16 v0, v0;
	;;#ASMEND
	;; [unrolled: 3-line block ×4, first 2 shown]
	v_fmac_f32_e32 v49, v1, v2
	v_fmac_f32_e32 v35, v0, v3
	ds_load_b128 v[0:3], v9 offset:192
	v_and_b32_e32 v5, 0xffff, v136
	v_and_b32_e32 v6, 0xffff, v127
	s_waitcnt lgkmcnt(0)
	v_lshrrev_b32_e32 v4, 16, v0
	v_and_b32_e32 v0, 0xffff, v0
	;;#ASMSTART
	v_cvt_f32_f16 v0, v0;
	;;#ASMEND
	;;#ASMSTART
	v_cvt_f32_f16 v4, v4;
	;;#ASMEND
	;; [unrolled: 3-line block ×3, first 2 shown]
	s_delay_alu instid0(VALU_DEP_1)
	v_fmac_f32_e32 v64, v0, v5
	v_lshrrev_b32_e32 v0, 16, v1
	v_and_b32_e32 v1, 0xffff, v1
	;;#ASMSTART
	v_cvt_f32_f16 v6, v6;
	;;#ASMEND
	v_fmac_f32_e32 v69, v4, v6
	;;#ASMSTART
	v_cvt_f32_f16 v1, v1;
	;;#ASMEND
	;;#ASMSTART
	v_cvt_f32_f16 v0, v0;
	;;#ASMEND
	v_and_b32_e32 v4, 0xffff, v126
	v_and_b32_e32 v5, 0xffff, v109
	;;#ASMSTART
	v_cvt_f32_f16 v4, v4;
	;;#ASMEND
	;;#ASMSTART
	v_cvt_f32_f16 v5, v5;
	;;#ASMEND
	s_delay_alu instid0(VALU_DEP_1)
	v_dual_fmac_f32 v71, v1, v4 :: v_dual_fmac_f32 v70, v0, v5
	v_lshrrev_b32_e32 v0, 16, v2
	v_and_b32_e32 v1, 0xffff, v2
	v_and_b32_e32 v2, 0xffff, v108
	;;#ASMSTART
	v_cvt_f32_f16 v1, v1;
	;;#ASMEND
	;;#ASMSTART
	v_cvt_f32_f16 v0, v0;
	;;#ASMEND
	;; [unrolled: 3-line block ×3, first 2 shown]
	v_and_b32_e32 v4, 0xffff, v107
	;;#ASMSTART
	v_cvt_f32_f16 v4, v4;
	;;#ASMEND
	s_delay_alu instid0(VALU_DEP_1)
	v_dual_fmac_f32 v81, v1, v2 :: v_dual_fmac_f32 v80, v0, v4
	v_lshrrev_b32_e32 v0, 16, v3
	v_and_b32_e32 v1, 0xffff, v3
	v_and_b32_e32 v2, 0xffff, v106
	;; [unrolled: 1-line block ×3, first 2 shown]
	;;#ASMSTART
	v_cvt_f32_f16 v1, v1;
	;;#ASMEND
	;;#ASMSTART
	v_cvt_f32_f16 v0, v0;
	;;#ASMEND
	;; [unrolled: 3-line block ×4, first 2 shown]
	v_fmac_f32_e32 v49, v1, v2
	v_fmac_f32_e32 v35, v0, v3
	ds_load_b128 v[0:3], v9 offset:208
	v_and_b32_e32 v5, 0xffff, v154
	v_and_b32_e32 v6, 0xffff, v143
	s_waitcnt lgkmcnt(0)
	v_lshrrev_b32_e32 v4, 16, v0
	v_and_b32_e32 v0, 0xffff, v0
	;;#ASMSTART
	v_cvt_f32_f16 v0, v0;
	;;#ASMEND
	;;#ASMSTART
	v_cvt_f32_f16 v4, v4;
	;;#ASMEND
	;; [unrolled: 3-line block ×3, first 2 shown]
	s_delay_alu instid0(VALU_DEP_1)
	v_fmac_f32_e32 v64, v0, v5
	v_lshrrev_b32_e32 v0, 16, v1
	v_and_b32_e32 v1, 0xffff, v1
	;;#ASMSTART
	v_cvt_f32_f16 v6, v6;
	;;#ASMEND
	v_fmac_f32_e32 v69, v4, v6
	;;#ASMSTART
	v_cvt_f32_f16 v1, v1;
	;;#ASMEND
	;;#ASMSTART
	v_cvt_f32_f16 v0, v0;
	;;#ASMEND
	v_and_b32_e32 v4, 0xffff, v142
	v_and_b32_e32 v5, 0xffff, v125
	;;#ASMSTART
	v_cvt_f32_f16 v4, v4;
	;;#ASMEND
	;;#ASMSTART
	v_cvt_f32_f16 v5, v5;
	;;#ASMEND
	s_delay_alu instid0(VALU_DEP_1)
	v_dual_fmac_f32 v71, v1, v4 :: v_dual_fmac_f32 v70, v0, v5
	v_lshrrev_b32_e32 v0, 16, v2
	v_and_b32_e32 v1, 0xffff, v2
	v_and_b32_e32 v2, 0xffff, v124
	;;#ASMSTART
	v_cvt_f32_f16 v1, v1;
	;;#ASMEND
	;;#ASMSTART
	v_cvt_f32_f16 v0, v0;
	;;#ASMEND
	;; [unrolled: 3-line block ×3, first 2 shown]
	v_and_b32_e32 v4, 0xffff, v123
	;;#ASMSTART
	v_cvt_f32_f16 v4, v4;
	;;#ASMEND
	s_delay_alu instid0(VALU_DEP_1)
	v_dual_fmac_f32 v81, v1, v2 :: v_dual_fmac_f32 v80, v0, v4
	v_lshrrev_b32_e32 v0, 16, v3
	v_and_b32_e32 v1, 0xffff, v3
	v_and_b32_e32 v2, 0xffff, v122
	;; [unrolled: 1-line block ×3, first 2 shown]
	;;#ASMSTART
	v_cvt_f32_f16 v1, v1;
	;;#ASMEND
	;;#ASMSTART
	v_cvt_f32_f16 v0, v0;
	;;#ASMEND
	;; [unrolled: 3-line block ×4, first 2 shown]
	v_fmac_f32_e32 v49, v1, v2
	v_fmac_f32_e32 v35, v0, v3
	ds_load_b128 v[0:3], v9 offset:224
	v_and_b32_e32 v5, 0xffff, v187
	v_and_b32_e32 v6, 0xffff, v186
	s_waitcnt lgkmcnt(0)
	v_lshrrev_b32_e32 v4, 16, v0
	v_and_b32_e32 v0, 0xffff, v0
	;;#ASMSTART
	v_cvt_f32_f16 v0, v0;
	;;#ASMEND
	;;#ASMSTART
	v_cvt_f32_f16 v4, v4;
	;;#ASMEND
	;;#ASMSTART
	v_cvt_f32_f16 v5, v5;
	;;#ASMEND
	s_delay_alu instid0(VALU_DEP_1)
	v_fmac_f32_e32 v64, v0, v5
	v_lshrrev_b32_e32 v0, 16, v1
	v_and_b32_e32 v1, 0xffff, v1
	;;#ASMSTART
	v_cvt_f32_f16 v6, v6;
	;;#ASMEND
	v_fmac_f32_e32 v69, v4, v6
	;;#ASMSTART
	v_cvt_f32_f16 v1, v1;
	;;#ASMEND
	;;#ASMSTART
	v_cvt_f32_f16 v0, v0;
	;;#ASMEND
	v_and_b32_e32 v4, 0xffff, v172
	v_and_b32_e32 v5, 0xffff, v141
	;;#ASMSTART
	v_cvt_f32_f16 v4, v4;
	;;#ASMEND
	;;#ASMSTART
	v_cvt_f32_f16 v5, v5;
	;;#ASMEND
	s_delay_alu instid0(VALU_DEP_1)
	v_dual_fmac_f32 v71, v1, v4 :: v_dual_fmac_f32 v70, v0, v5
	v_lshrrev_b32_e32 v0, 16, v2
	v_and_b32_e32 v1, 0xffff, v2
	v_and_b32_e32 v2, 0xffff, v140
	;;#ASMSTART
	v_cvt_f32_f16 v1, v1;
	;;#ASMEND
	;;#ASMSTART
	v_cvt_f32_f16 v0, v0;
	;;#ASMEND
	;;#ASMSTART
	v_cvt_f32_f16 v2, v2;
	;;#ASMEND
	v_and_b32_e32 v4, 0xffff, v139
	;;#ASMSTART
	v_cvt_f32_f16 v4, v4;
	;;#ASMEND
	s_delay_alu instid0(VALU_DEP_1)
	v_dual_fmac_f32 v81, v1, v2 :: v_dual_fmac_f32 v80, v0, v4
	v_lshrrev_b32_e32 v0, 16, v3
	v_and_b32_e32 v1, 0xffff, v3
	v_and_b32_e32 v2, 0xffff, v138
	;; [unrolled: 1-line block ×3, first 2 shown]
	;;#ASMSTART
	v_cvt_f32_f16 v1, v1;
	;;#ASMEND
	;;#ASMSTART
	v_cvt_f32_f16 v0, v0;
	;;#ASMEND
	;; [unrolled: 3-line block ×4, first 2 shown]
	v_fmac_f32_e32 v49, v1, v2
	v_fmac_f32_e32 v35, v0, v3
	ds_load_b128 v[0:3], v9 offset:240
	v_and_b32_e32 v5, 0xffff, v102
	v_and_b32_e32 v6, 0xffff, v11
	s_waitcnt lgkmcnt(0)
	v_lshrrev_b32_e32 v4, 16, v0
	v_and_b32_e32 v0, 0xffff, v0
	;;#ASMSTART
	v_cvt_f32_f16 v0, v0;
	;;#ASMEND
	;;#ASMSTART
	v_cvt_f32_f16 v4, v4;
	;;#ASMEND
	;; [unrolled: 3-line block ×3, first 2 shown]
	s_delay_alu instid0(VALU_DEP_1)
	v_fmac_f32_e32 v64, v0, v5
	v_lshrrev_b32_e32 v0, 16, v1
	v_and_b32_e32 v1, 0xffff, v1
	;;#ASMSTART
	v_cvt_f32_f16 v6, v6;
	;;#ASMEND
	v_fmac_f32_e32 v69, v4, v6
	;;#ASMSTART
	v_cvt_f32_f16 v1, v1;
	;;#ASMEND
	;;#ASMSTART
	v_cvt_f32_f16 v0, v0;
	;;#ASMEND
	v_and_b32_e32 v4, 0xffff, v10
	v_and_b32_e32 v5, 0xffff, v173
	;;#ASMSTART
	v_cvt_f32_f16 v4, v4;
	;;#ASMEND
	;;#ASMSTART
	v_cvt_f32_f16 v5, v5;
	;;#ASMEND
	s_delay_alu instid0(VALU_DEP_1)
	v_dual_fmac_f32 v71, v1, v4 :: v_dual_fmac_f32 v70, v0, v5
	v_lshrrev_b32_e32 v0, 16, v2
	v_and_b32_e32 v1, 0xffff, v2
	v_and_b32_e32 v2, 0xffff, v68
	;;#ASMSTART
	v_cvt_f32_f16 v1, v1;
	;;#ASMEND
	;;#ASMSTART
	v_cvt_f32_f16 v0, v0;
	;;#ASMEND
	;; [unrolled: 3-line block ×3, first 2 shown]
	v_and_b32_e32 v4, 0xffff, v50
	;;#ASMSTART
	v_cvt_f32_f16 v4, v4;
	;;#ASMEND
	s_delay_alu instid0(VALU_DEP_1)
	v_dual_fmac_f32 v81, v1, v2 :: v_dual_fmac_f32 v80, v0, v4
	v_lshrrev_b32_e32 v0, 16, v3
	v_and_b32_e32 v1, 0xffff, v3
	v_and_b32_e32 v2, 0xffff, v22
	;; [unrolled: 1-line block ×3, first 2 shown]
	;;#ASMSTART
	v_cvt_f32_f16 v1, v1;
	;;#ASMEND
	;;#ASMSTART
	v_cvt_f32_f16 v0, v0;
	;;#ASMEND
	;; [unrolled: 3-line block ×4, first 2 shown]
	v_fmac_f32_e32 v49, v1, v2
	v_fmac_f32_e32 v35, v0, v3
	ds_load_b128 v[0:3], v9 offset:256
	v_and_b32_e32 v5, 0xffff, v13
	v_and_b32_e32 v6, 0xffff, v101
	s_waitcnt lgkmcnt(0)
	v_lshrrev_b32_e32 v4, 16, v0
	v_and_b32_e32 v0, 0xffff, v0
	;;#ASMSTART
	v_cvt_f32_f16 v0, v0;
	;;#ASMEND
	;;#ASMSTART
	v_cvt_f32_f16 v4, v4;
	;;#ASMEND
	;; [unrolled: 3-line block ×3, first 2 shown]
	s_delay_alu instid0(VALU_DEP_1)
	v_fmac_f32_e32 v64, v0, v5
	v_lshrrev_b32_e32 v0, 16, v1
	v_and_b32_e32 v1, 0xffff, v1
	;;#ASMSTART
	v_cvt_f32_f16 v6, v6;
	;;#ASMEND
	v_fmac_f32_e32 v69, v4, v6
	;;#ASMSTART
	v_cvt_f32_f16 v1, v1;
	;;#ASMEND
	;;#ASMSTART
	v_cvt_f32_f16 v0, v0;
	;;#ASMEND
	v_and_b32_e32 v4, 0xffff, v100
	v_and_b32_e32 v5, 0xffff, v99
	;;#ASMSTART
	v_cvt_f32_f16 v4, v4;
	;;#ASMEND
	;;#ASMSTART
	v_cvt_f32_f16 v5, v5;
	;;#ASMEND
	s_delay_alu instid0(VALU_DEP_1)
	v_dual_fmac_f32 v71, v1, v4 :: v_dual_fmac_f32 v70, v0, v5
	v_lshrrev_b32_e32 v0, 16, v2
	v_and_b32_e32 v1, 0xffff, v2
	v_and_b32_e32 v2, 0xffff, v14
	;;#ASMSTART
	v_cvt_f32_f16 v1, v1;
	;;#ASMEND
	;;#ASMSTART
	v_cvt_f32_f16 v0, v0;
	;;#ASMEND
	;; [unrolled: 3-line block ×3, first 2 shown]
	v_and_b32_e32 v4, 0xffff, v15
	;;#ASMSTART
	v_cvt_f32_f16 v4, v4;
	;;#ASMEND
	s_delay_alu instid0(VALU_DEP_1)
	v_dual_fmac_f32 v81, v1, v2 :: v_dual_fmac_f32 v80, v0, v4
	v_lshrrev_b32_e32 v0, 16, v3
	v_and_b32_e32 v1, 0xffff, v3
	v_and_b32_e32 v2, 0xffff, v16
	;; [unrolled: 1-line block ×3, first 2 shown]
	;;#ASMSTART
	v_cvt_f32_f16 v1, v1;
	;;#ASMEND
	;;#ASMSTART
	v_cvt_f32_f16 v0, v0;
	;;#ASMEND
	;; [unrolled: 3-line block ×4, first 2 shown]
	v_fmac_f32_e32 v49, v1, v2
	v_fmac_f32_e32 v35, v0, v3
	ds_load_b128 v[0:3], v9 offset:272
	v_and_b32_e32 v5, 0xffff, v98
	v_and_b32_e32 v6, 0xffff, v97
	s_waitcnt lgkmcnt(0)
	v_lshrrev_b32_e32 v4, 16, v0
	v_and_b32_e32 v0, 0xffff, v0
	;;#ASMSTART
	v_cvt_f32_f16 v0, v0;
	;;#ASMEND
	;;#ASMSTART
	v_cvt_f32_f16 v4, v4;
	;;#ASMEND
	;; [unrolled: 3-line block ×3, first 2 shown]
	s_delay_alu instid0(VALU_DEP_1)
	v_fmac_f32_e32 v64, v0, v5
	v_lshrrev_b32_e32 v0, 16, v1
	v_and_b32_e32 v1, 0xffff, v1
	;;#ASMSTART
	v_cvt_f32_f16 v6, v6;
	;;#ASMEND
	v_fmac_f32_e32 v69, v4, v6
	;;#ASMSTART
	v_cvt_f32_f16 v1, v1;
	;;#ASMEND
	;;#ASMSTART
	v_cvt_f32_f16 v0, v0;
	;;#ASMEND
	v_and_b32_e32 v4, 0xffff, v96
	v_and_b32_e32 v5, 0xffff, v87
	;;#ASMSTART
	v_cvt_f32_f16 v4, v4;
	;;#ASMEND
	;;#ASMSTART
	v_cvt_f32_f16 v5, v5;
	;;#ASMEND
	s_delay_alu instid0(VALU_DEP_1)
	v_dual_fmac_f32 v71, v1, v4 :: v_dual_fmac_f32 v70, v0, v5
	v_lshrrev_b32_e32 v0, 16, v2
	v_and_b32_e32 v1, 0xffff, v2
	v_and_b32_e32 v2, 0xffff, v86
	;;#ASMSTART
	v_cvt_f32_f16 v1, v1;
	;;#ASMEND
	;;#ASMSTART
	v_cvt_f32_f16 v0, v0;
	;;#ASMEND
	;; [unrolled: 3-line block ×3, first 2 shown]
	v_and_b32_e32 v4, 0xffff, v85
	;;#ASMSTART
	v_cvt_f32_f16 v4, v4;
	;;#ASMEND
	s_delay_alu instid0(VALU_DEP_1)
	v_dual_fmac_f32 v81, v1, v2 :: v_dual_fmac_f32 v80, v0, v4
	v_lshrrev_b32_e32 v0, 16, v3
	v_and_b32_e32 v1, 0xffff, v3
	v_and_b32_e32 v2, 0xffff, v84
	;; [unrolled: 1-line block ×3, first 2 shown]
	;;#ASMSTART
	v_cvt_f32_f16 v1, v1;
	;;#ASMEND
	;;#ASMSTART
	v_cvt_f32_f16 v0, v0;
	;;#ASMEND
	;; [unrolled: 3-line block ×4, first 2 shown]
	v_fmac_f32_e32 v49, v1, v2
	v_fmac_f32_e32 v35, v0, v3
	ds_load_b128 v[0:3], v9 offset:288
	v_and_b32_e32 v5, 0xffff, v24
	v_and_b32_e32 v6, 0xffff, v25
	s_waitcnt lgkmcnt(0)
	v_lshrrev_b32_e32 v4, 16, v0
	v_and_b32_e32 v0, 0xffff, v0
	;;#ASMSTART
	v_cvt_f32_f16 v0, v0;
	;;#ASMEND
	;;#ASMSTART
	v_cvt_f32_f16 v4, v4;
	;;#ASMEND
	;; [unrolled: 3-line block ×3, first 2 shown]
	s_delay_alu instid0(VALU_DEP_1)
	v_fmac_f32_e32 v64, v0, v5
	v_lshrrev_b32_e32 v0, 16, v1
	v_and_b32_e32 v1, 0xffff, v1
	;;#ASMSTART
	v_cvt_f32_f16 v6, v6;
	;;#ASMEND
	v_fmac_f32_e32 v69, v4, v6
	;;#ASMSTART
	v_cvt_f32_f16 v1, v1;
	;;#ASMEND
	;;#ASMSTART
	v_cvt_f32_f16 v0, v0;
	;;#ASMEND
	v_and_b32_e32 v4, 0xffff, v19
	v_and_b32_e32 v5, 0xffff, v82
	;;#ASMSTART
	v_cvt_f32_f16 v4, v4;
	;;#ASMEND
	;;#ASMSTART
	v_cvt_f32_f16 v5, v5;
	;;#ASMEND
	s_delay_alu instid0(VALU_DEP_1)
	v_dual_fmac_f32 v71, v1, v4 :: v_dual_fmac_f32 v70, v0, v5
	v_lshrrev_b32_e32 v0, 16, v2
	v_and_b32_e32 v1, 0xffff, v2
	v_and_b32_e32 v2, 0xffff, v23
	;;#ASMSTART
	v_cvt_f32_f16 v1, v1;
	;;#ASMEND
	;;#ASMSTART
	v_cvt_f32_f16 v0, v0;
	;;#ASMEND
	;; [unrolled: 3-line block ×3, first 2 shown]
	v_and_b32_e32 v4, 0xffff, v18
	;;#ASMSTART
	v_cvt_f32_f16 v4, v4;
	;;#ASMEND
	s_delay_alu instid0(VALU_DEP_1)
	v_dual_fmac_f32 v81, v1, v2 :: v_dual_fmac_f32 v80, v0, v4
	v_lshrrev_b32_e32 v0, 16, v3
	v_and_b32_e32 v1, 0xffff, v3
	v_and_b32_e32 v2, 0xffff, v29
	;; [unrolled: 1-line block ×3, first 2 shown]
	;;#ASMSTART
	v_cvt_f32_f16 v1, v1;
	;;#ASMEND
	;;#ASMSTART
	v_cvt_f32_f16 v0, v0;
	;;#ASMEND
	;; [unrolled: 3-line block ×4, first 2 shown]
	v_fmac_f32_e32 v49, v1, v2
	v_fmac_f32_e32 v35, v0, v3
	ds_load_b128 v[0:3], v9 offset:304
	v_and_b32_e32 v5, 0xffff, v52
	v_and_b32_e32 v6, 0xffff, v36
	s_waitcnt lgkmcnt(0)
	v_lshrrev_b32_e32 v4, 16, v0
	v_and_b32_e32 v0, 0xffff, v0
	;;#ASMSTART
	v_cvt_f32_f16 v0, v0;
	;;#ASMEND
	;;#ASMSTART
	v_cvt_f32_f16 v4, v4;
	;;#ASMEND
	;; [unrolled: 3-line block ×3, first 2 shown]
	s_delay_alu instid0(VALU_DEP_1)
	v_fmac_f32_e32 v64, v0, v5
	v_lshrrev_b32_e32 v0, 16, v1
	v_and_b32_e32 v1, 0xffff, v1
	;;#ASMSTART
	v_cvt_f32_f16 v6, v6;
	;;#ASMEND
	v_fmac_f32_e32 v69, v4, v6
	;;#ASMSTART
	v_cvt_f32_f16 v1, v1;
	;;#ASMEND
	;;#ASMSTART
	v_cvt_f32_f16 v0, v0;
	;;#ASMEND
	v_and_b32_e32 v4, 0xffff, v38
	v_and_b32_e32 v5, 0xffff, v39
	;;#ASMSTART
	v_cvt_f32_f16 v4, v4;
	;;#ASMEND
	;;#ASMSTART
	v_cvt_f32_f16 v5, v5;
	;;#ASMEND
	s_delay_alu instid0(VALU_DEP_1)
	v_dual_fmac_f32 v71, v1, v4 :: v_dual_fmac_f32 v70, v0, v5
	v_lshrrev_b32_e32 v0, 16, v2
	v_and_b32_e32 v1, 0xffff, v2
	v_and_b32_e32 v2, 0xffff, v190
	;;#ASMSTART
	v_cvt_f32_f16 v1, v1;
	;;#ASMEND
	;;#ASMSTART
	v_cvt_f32_f16 v0, v0;
	;;#ASMEND
	;; [unrolled: 3-line block ×3, first 2 shown]
	v_and_b32_e32 v4, 0xffff, v48
	;;#ASMSTART
	v_cvt_f32_f16 v4, v4;
	;;#ASMEND
	s_delay_alu instid0(VALU_DEP_1)
	v_dual_fmac_f32 v81, v1, v2 :: v_dual_fmac_f32 v80, v0, v4
	v_lshrrev_b32_e32 v0, 16, v3
	v_and_b32_e32 v1, 0xffff, v3
	v_and_b32_e32 v2, 0xffff, v152
	;; [unrolled: 1-line block ×3, first 2 shown]
	;;#ASMSTART
	v_cvt_f32_f16 v1, v1;
	;;#ASMEND
	;;#ASMSTART
	v_cvt_f32_f16 v0, v0;
	;;#ASMEND
	;; [unrolled: 3-line block ×4, first 2 shown]
	v_fmac_f32_e32 v49, v1, v2
	v_fmac_f32_e32 v35, v0, v3
	ds_load_b128 v[0:3], v9 offset:320
	v_and_b32_e32 v5, 0xffff, v158
	v_and_b32_e32 v6, 0xffff, v174
	s_waitcnt lgkmcnt(0)
	v_lshrrev_b32_e32 v4, 16, v0
	v_and_b32_e32 v0, 0xffff, v0
	;;#ASMSTART
	v_cvt_f32_f16 v0, v0;
	;;#ASMEND
	;;#ASMSTART
	v_cvt_f32_f16 v4, v4;
	;;#ASMEND
	;; [unrolled: 3-line block ×3, first 2 shown]
	s_delay_alu instid0(VALU_DEP_1)
	v_fmac_f32_e32 v64, v0, v5
	v_lshrrev_b32_e32 v0, 16, v1
	v_and_b32_e32 v1, 0xffff, v1
	;;#ASMSTART
	v_cvt_f32_f16 v6, v6;
	;;#ASMEND
	v_fmac_f32_e32 v69, v4, v6
	;;#ASMSTART
	v_cvt_f32_f16 v1, v1;
	;;#ASMEND
	;;#ASMSTART
	v_cvt_f32_f16 v0, v0;
	;;#ASMEND
	v_and_b32_e32 v4, 0xffff, v168
	v_and_b32_e32 v5, 0xffff, v169
	;;#ASMSTART
	v_cvt_f32_f16 v4, v4;
	;;#ASMEND
	;;#ASMSTART
	v_cvt_f32_f16 v5, v5;
	;;#ASMEND
	s_delay_alu instid0(VALU_DEP_1)
	v_dual_fmac_f32 v71, v1, v4 :: v_dual_fmac_f32 v70, v0, v5
	v_lshrrev_b32_e32 v0, 16, v2
	v_and_b32_e32 v1, 0xffff, v2
	;;#ASMSTART
	v_cvt_f32_f16 v1, v1;
	;;#ASMEND
	;;#ASMSTART
	v_cvt_f32_f16 v0, v0;
	;;#ASMEND
	scratch_load_b32 v2, off, s32 offset:468 ; 4-byte Folded Reload
	s_waitcnt vmcnt(0)
	v_and_b32_e32 v2, 0xffff, v2
	;;#ASMSTART
	v_cvt_f32_f16 v2, v2;
	;;#ASMEND
	scratch_load_b32 v4, off, s32 offset:464 ; 4-byte Folded Reload
	v_fmac_f32_e32 v81, v1, v2
	v_and_b32_e32 v1, 0xffff, v3
	s_waitcnt vmcnt(0)
	v_and_b32_e32 v4, 0xffff, v4
	;;#ASMSTART
	v_cvt_f32_f16 v4, v4;
	;;#ASMEND
	s_delay_alu instid0(VALU_DEP_1)
	v_fmac_f32_e32 v80, v0, v4
	v_lshrrev_b32_e32 v0, 16, v3
	;;#ASMSTART
	v_cvt_f32_f16 v1, v1;
	;;#ASMEND
	;;#ASMSTART
	v_cvt_f32_f16 v0, v0;
	;;#ASMEND
	scratch_load_b32 v2, off, s32 offset:460 ; 4-byte Folded Reload
	s_waitcnt vmcnt(0)
	v_and_b32_e32 v2, 0xffff, v2
	;;#ASMSTART
	v_cvt_f32_f16 v2, v2;
	;;#ASMEND
	scratch_load_b32 v3, off, s32 offset:456 ; 4-byte Folded Reload
	v_fmac_f32_e32 v49, v1, v2
	s_waitcnt vmcnt(0)
	v_and_b32_e32 v3, 0xffff, v3
	;;#ASMSTART
	v_cvt_f32_f16 v3, v3;
	;;#ASMEND
	s_delay_alu instid0(VALU_DEP_1)
	v_fmac_f32_e32 v35, v0, v3
	ds_load_b128 v[0:3], v9 offset:336
	s_waitcnt lgkmcnt(0)
	v_lshrrev_b32_e32 v4, 16, v0
	v_and_b32_e32 v0, 0xffff, v0
	;;#ASMSTART
	v_cvt_f32_f16 v0, v0;
	;;#ASMEND
	;;#ASMSTART
	v_cvt_f32_f16 v4, v4;
	;;#ASMEND
	scratch_load_b32 v5, off, s32 offset:452 ; 4-byte Folded Reload
	s_waitcnt vmcnt(0)
	v_and_b32_e32 v5, 0xffff, v5
	;;#ASMSTART
	v_cvt_f32_f16 v5, v5;
	;;#ASMEND
	scratch_load_b32 v6, off, s32 offset:448 ; 4-byte Folded Reload
	v_fmac_f32_e32 v64, v0, v5
	v_lshrrev_b32_e32 v0, 16, v1
	v_and_b32_e32 v1, 0xffff, v1
	s_waitcnt vmcnt(0)
	v_and_b32_e32 v6, 0xffff, v6
	;;#ASMSTART
	v_cvt_f32_f16 v6, v6;
	;;#ASMEND
	s_delay_alu instid0(VALU_DEP_1)
	v_fmac_f32_e32 v69, v4, v6
	;;#ASMSTART
	v_cvt_f32_f16 v1, v1;
	;;#ASMEND
	;;#ASMSTART
	v_cvt_f32_f16 v0, v0;
	;;#ASMEND
	scratch_load_b32 v4, off, s32 offset:444 ; 4-byte Folded Reload
	s_waitcnt vmcnt(0)
	v_and_b32_e32 v4, 0xffff, v4
	;;#ASMSTART
	v_cvt_f32_f16 v4, v4;
	;;#ASMEND
	scratch_load_b32 v5, off, s32 offset:440 ; 4-byte Folded Reload
	v_fmac_f32_e32 v71, v1, v4
	v_and_b32_e32 v1, 0xffff, v2
	s_waitcnt vmcnt(0)
	v_and_b32_e32 v5, 0xffff, v5
	;;#ASMSTART
	v_cvt_f32_f16 v5, v5;
	;;#ASMEND
	s_delay_alu instid0(VALU_DEP_1)
	v_fmac_f32_e32 v70, v0, v5
	v_lshrrev_b32_e32 v0, 16, v2
	;;#ASMSTART
	v_cvt_f32_f16 v1, v1;
	;;#ASMEND
	;;#ASMSTART
	v_cvt_f32_f16 v0, v0;
	;;#ASMEND
	scratch_load_b32 v2, off, s32 offset:436 ; 4-byte Folded Reload
	s_waitcnt vmcnt(0)
	v_and_b32_e32 v2, 0xffff, v2
	;;#ASMSTART
	v_cvt_f32_f16 v2, v2;
	;;#ASMEND
	scratch_load_b32 v4, off, s32 offset:432 ; 4-byte Folded Reload
	v_fmac_f32_e32 v81, v1, v2
	v_and_b32_e32 v1, 0xffff, v3
	s_waitcnt vmcnt(0)
	v_and_b32_e32 v4, 0xffff, v4
	;;#ASMSTART
	v_cvt_f32_f16 v4, v4;
	;;#ASMEND
	s_delay_alu instid0(VALU_DEP_1)
	v_fmac_f32_e32 v80, v0, v4
	v_lshrrev_b32_e32 v0, 16, v3
	;;#ASMSTART
	v_cvt_f32_f16 v1, v1;
	;;#ASMEND
	;;#ASMSTART
	v_cvt_f32_f16 v0, v0;
	;;#ASMEND
	scratch_load_b32 v2, off, s32 offset:428 ; 4-byte Folded Reload
	s_waitcnt vmcnt(0)
	v_and_b32_e32 v2, 0xffff, v2
	;;#ASMSTART
	v_cvt_f32_f16 v2, v2;
	;;#ASMEND
	scratch_load_b32 v3, off, s32 offset:424 ; 4-byte Folded Reload
	v_fmac_f32_e32 v49, v1, v2
	s_waitcnt vmcnt(0)
	v_and_b32_e32 v3, 0xffff, v3
	;;#ASMSTART
	v_cvt_f32_f16 v3, v3;
	;;#ASMEND
	s_delay_alu instid0(VALU_DEP_1)
	v_fmac_f32_e32 v35, v0, v3
	ds_load_b128 v[0:3], v9 offset:352
	s_waitcnt lgkmcnt(0)
	v_lshrrev_b32_e32 v4, 16, v0
	v_and_b32_e32 v0, 0xffff, v0
	;;#ASMSTART
	v_cvt_f32_f16 v0, v0;
	;;#ASMEND
	;;#ASMSTART
	v_cvt_f32_f16 v4, v4;
	;;#ASMEND
	scratch_load_b32 v5, off, s32 offset:420 ; 4-byte Folded Reload
	s_waitcnt vmcnt(0)
	v_and_b32_e32 v5, 0xffff, v5
	;;#ASMSTART
	v_cvt_f32_f16 v5, v5;
	;;#ASMEND
	scratch_load_b32 v6, off, s32 offset:416 ; 4-byte Folded Reload
	v_fmac_f32_e32 v64, v0, v5
	v_lshrrev_b32_e32 v0, 16, v1
	v_and_b32_e32 v1, 0xffff, v1
	s_waitcnt vmcnt(0)
	v_and_b32_e32 v6, 0xffff, v6
	;;#ASMSTART
	v_cvt_f32_f16 v6, v6;
	;;#ASMEND
	s_delay_alu instid0(VALU_DEP_1)
	v_fmac_f32_e32 v69, v4, v6
	;;#ASMSTART
	v_cvt_f32_f16 v1, v1;
	;;#ASMEND
	;;#ASMSTART
	v_cvt_f32_f16 v0, v0;
	;;#ASMEND
	scratch_load_b32 v4, off, s32 offset:412 ; 4-byte Folded Reload
	v_and_b32_e32 v6, 0xffff, v67
	s_waitcnt vmcnt(0)
	v_and_b32_e32 v4, 0xffff, v4
	;;#ASMSTART
	v_cvt_f32_f16 v4, v4;
	;;#ASMEND
	scratch_load_b32 v5, off, s32 offset:408 ; 4-byte Folded Reload
	v_fmac_f32_e32 v71, v1, v4
	v_and_b32_e32 v1, 0xffff, v2
	s_waitcnt vmcnt(0)
	v_and_b32_e32 v5, 0xffff, v5
	;;#ASMSTART
	v_cvt_f32_f16 v5, v5;
	;;#ASMEND
	s_delay_alu instid0(VALU_DEP_1)
	v_fmac_f32_e32 v70, v0, v5
	v_lshrrev_b32_e32 v0, 16, v2
	;;#ASMSTART
	v_cvt_f32_f16 v1, v1;
	;;#ASMEND
	;;#ASMSTART
	v_cvt_f32_f16 v0, v0;
	;;#ASMEND
	scratch_load_b32 v2, off, s32 offset:404 ; 4-byte Folded Reload
	v_and_b32_e32 v5, 0xffff, v188
	s_waitcnt vmcnt(0)
	v_and_b32_e32 v2, 0xffff, v2
	;;#ASMSTART
	v_cvt_f32_f16 v2, v2;
	;;#ASMEND
	scratch_load_b32 v4, off, s32 offset:400 ; 4-byte Folded Reload
	v_fmac_f32_e32 v81, v1, v2
	v_and_b32_e32 v1, 0xffff, v3
	s_waitcnt vmcnt(0)
	v_and_b32_e32 v4, 0xffff, v4
	;;#ASMSTART
	v_cvt_f32_f16 v4, v4;
	;;#ASMEND
	s_delay_alu instid0(VALU_DEP_1)
	v_fmac_f32_e32 v80, v0, v4
	v_lshrrev_b32_e32 v0, 16, v3
	;;#ASMSTART
	v_cvt_f32_f16 v1, v1;
	;;#ASMEND
	;;#ASMSTART
	v_cvt_f32_f16 v0, v0;
	;;#ASMEND
	scratch_load_b32 v2, off, s32 offset:396 ; 4-byte Folded Reload
	s_waitcnt vmcnt(0)
	v_and_b32_e32 v2, 0xffff, v2
	;;#ASMSTART
	v_cvt_f32_f16 v2, v2;
	;;#ASMEND
	scratch_load_b32 v3, off, s32 offset:392 ; 4-byte Folded Reload
	v_fmac_f32_e32 v49, v1, v2
	s_waitcnt vmcnt(0)
	v_and_b32_e32 v3, 0xffff, v3
	;;#ASMSTART
	v_cvt_f32_f16 v3, v3;
	;;#ASMEND
	s_delay_alu instid0(VALU_DEP_1)
	v_fmac_f32_e32 v35, v0, v3
	ds_load_b128 v[0:3], v9 offset:368
	s_waitcnt lgkmcnt(0)
	v_lshrrev_b32_e32 v4, 16, v0
	v_and_b32_e32 v0, 0xffff, v0
	;;#ASMSTART
	v_cvt_f32_f16 v0, v0;
	;;#ASMEND
	;;#ASMSTART
	v_cvt_f32_f16 v4, v4;
	;;#ASMEND
	;; [unrolled: 3-line block ×4, first 2 shown]
	v_fmac_f32_e32 v64, v0, v5
	v_fmac_f32_e32 v69, v4, v6
	v_lshrrev_b32_e32 v0, 16, v1
	v_and_b32_e32 v1, 0xffff, v1
	v_and_b32_e32 v4, 0xffff, v33
	;;#ASMSTART
	v_cvt_f32_f16 v1, v1;
	;;#ASMEND
	;;#ASMSTART
	v_cvt_f32_f16 v0, v0;
	;;#ASMEND
	;; [unrolled: 3-line block ×3, first 2 shown]
	scratch_load_b32 v5, off, s32 offset:332 ; 4-byte Folded Reload
	v_fmac_f32_e32 v71, v1, v4
	v_and_b32_e32 v1, 0xffff, v2
	s_waitcnt vmcnt(0)
	v_and_b32_e32 v5, 0xffff, v5
	;;#ASMSTART
	v_cvt_f32_f16 v5, v5;
	;;#ASMEND
	s_delay_alu instid0(VALU_DEP_1)
	v_fmac_f32_e32 v70, v0, v5
	v_lshrrev_b32_e32 v0, 16, v2
	v_and_b32_e32 v2, 0xffff, v32
	;;#ASMSTART
	v_cvt_f32_f16 v1, v1;
	;;#ASMEND
	;;#ASMSTART
	v_cvt_f32_f16 v0, v0;
	;;#ASMEND
	;; [unrolled: 3-line block ×3, first 2 shown]
	scratch_load_b32 v4, off, s32 offset:328 ; 4-byte Folded Reload
	v_fmac_f32_e32 v81, v1, v2
	v_and_b32_e32 v1, 0xffff, v3
	s_waitcnt vmcnt(0)
	v_and_b32_e32 v4, 0xffff, v4
	;;#ASMSTART
	v_cvt_f32_f16 v4, v4;
	;;#ASMEND
	s_delay_alu instid0(VALU_DEP_1)
	v_fmac_f32_e32 v80, v0, v4
	v_lshrrev_b32_e32 v0, 16, v3
	;;#ASMSTART
	v_cvt_f32_f16 v1, v1;
	;;#ASMEND
	;;#ASMSTART
	v_cvt_f32_f16 v0, v0;
	;;#ASMEND
	scratch_load_b32 v2, off, s32 offset:324 ; 4-byte Folded Reload
	s_waitcnt vmcnt(0)
	v_and_b32_e32 v2, 0xffff, v2
	;;#ASMSTART
	v_cvt_f32_f16 v2, v2;
	;;#ASMEND
	scratch_load_b32 v3, off, s32 offset:320 ; 4-byte Folded Reload
	v_fmac_f32_e32 v49, v1, v2
	s_waitcnt vmcnt(0)
	v_and_b32_e32 v3, 0xffff, v3
	;;#ASMSTART
	v_cvt_f32_f16 v3, v3;
	;;#ASMEND
	s_clause 0x2
	scratch_load_b32 v1, off, s32 offset:480
	scratch_load_b32 v175, off, s32 offset:492
	;; [unrolled: 1-line block ×3, first 2 shown]
	v_fmac_f32_e32 v35, v0, v3
	v_add_f32_e32 v0, v64, v69
	s_delay_alu instid0(VALU_DEP_1) | instskip(NEXT) | instid1(VALU_DEP_1)
	v_add_f32_e32 v0, v0, v71
	v_add_f32_e32 v0, v70, v0
	s_delay_alu instid0(VALU_DEP_1) | instskip(NEXT) | instid1(VALU_DEP_1)
	v_add_f32_e32 v0, v0, v81
	;; [unrolled: 3-line block ×3, first 2 shown]
	v_add_f32_e32 v0, v35, v0
	s_waitcnt vmcnt(2)
	s_delay_alu instid0(VALU_DEP_1) | instskip(NEXT) | instid1(VALU_DEP_1)
	v_fmac_f32_e32 v8, v0, v1
	v_cndmask_b32_e64 v0, 0, v8, s1
	ds_store_b32 v28, v0
	s_waitcnt vmcnt(0)
	v_max_f32_e32 v0, v4, v4
	v_add_nc_u32_e32 v28, 0x200, v28
	s_delay_alu instid0(VALU_DEP_2) | instskip(NEXT) | instid1(VALU_DEP_1)
	v_max_f32_e32 v0, v0, v8
	v_cndmask_b32_e64 v4, v4, v0, s1
	v_add_co_u32 v170, s1, v170, 16
	s_delay_alu instid0(VALU_DEP_1) | instskip(SKIP_1) | instid1(VALU_DEP_1)
	v_add_co_ci_u32_e64 v171, s1, 0, v171, s1
	v_cmp_ge_i32_e64 s1, v21, v175
	s_or_b32 s7, s1, s7
	s_delay_alu instid0(SALU_CYCLE_1)
	s_and_not1_b32 exec_lo, exec_lo, s7
	s_cbranch_execz .LBB371_1544
.LBB371_11:                             ; =>This Inner Loop Header: Depth=1
	s_clause 0x3
	scratch_store_b32 off, v30, s32 offset:384
	scratch_store_b32 off, v28, s32 offset:372
	;; [unrolled: 1-line block ×4, first 2 shown]
	flat_load_b32 v0, v[170:171]
	s_clause 0x1
	scratch_load_b32 v1, off, s32 offset:488
	scratch_load_b64 v[2:3], off, s32 offset:496
	s_mov_b32 s17, exec_lo
	s_waitcnt vmcnt(0) lgkmcnt(0)
	v_mad_i64_i32 v[28:29], null, v0, v1, v[2:3]
	flat_load_b64 v[30:31], v[28:29]
	scratch_load_b64 v[0:1], off, s32 offset:472 ; 8-byte Folded Reload
	s_waitcnt vmcnt(0)
	flat_load_b32 v64, v[0:1]
	s_waitcnt lgkmcnt(1)
	v_dual_mov_b32 v1, 0 :: v_dual_and_b32 v0, 0xff, v30
	scratch_store_b32 off, v1, s32 offset:376 ; 4-byte Folded Spill
	v_cmpx_ne_u16_e32 0, v0
	s_cbranch_execz .LBB371_19
; %bb.12:                               ;   in Loop: Header=BB371_11 Depth=1
	v_cmp_ne_u16_e64 s1, 0x80, v0
	v_bfrev_b32_e32 v0, 1
	s_delay_alu instid0(VALU_DEP_2)
	s_and_saveexec_b32 s18, s1
	s_cbranch_execz .LBB371_18
; %bb.13:                               ;   in Loop: Header=BB371_11 Depth=1
	v_and_b32_e32 v1, 0x7f, v30
	v_mov_b32_e32 v0, 0x7fc02000
	s_mov_b32 s19, exec_lo
	s_delay_alu instid0(VALU_DEP_2)
	v_cmpx_ne_u32_e32 0x7f, v1
	s_cbranch_execz .LBB371_17
; %bb.14:                               ;   in Loop: Header=BB371_11 Depth=1
	v_lshrrev_b32_e32 v0, 3, v1
	v_dual_mov_b32 v33, v31 :: v_dual_mov_b32 v32, v30
	s_mov_b32 s20, exec_lo
	v_cmpx_gt_u32_e32 8, v1
; %bb.15:                               ;   in Loop: Header=BB371_11 Depth=1
	v_and_b32_e32 v0, 7, v30
	s_delay_alu instid0(VALU_DEP_1) | instskip(NEXT) | instid1(VALU_DEP_1)
	v_clz_i32_u32_e32 v0, v0
	v_min_u32_e32 v0, 32, v0
	s_delay_alu instid0(VALU_DEP_1) | instskip(SKIP_1) | instid1(VALU_DEP_2)
	v_subrev_nc_u32_e32 v1, 28, v0
	v_sub_nc_u32_e32 v0, 29, v0
	v_lshlrev_b64 v[32:33], v1, v[30:31]
; %bb.16:                               ;   in Loop: Header=BB371_11 Depth=1
	s_or_b32 exec_lo, exec_lo, s20
	v_lshlrev_b32_e32 v1, 8, v30
	s_delay_alu instid0(VALU_DEP_3) | instskip(NEXT) | instid1(VALU_DEP_3)
	v_lshl_add_u32 v0, v0, 10, 0x2000
	v_lshlrev_b32_e32 v2, 7, v32
	s_delay_alu instid0(VALU_DEP_2) | instskip(NEXT) | instid1(VALU_DEP_1)
	v_and_or_b32 v0, 0x8000, v1, v0
	v_and_or_b32 v0, 0x380, v2, v0
	s_delay_alu instid0(VALU_DEP_1)
	v_cvt_f32_f16_e32 v0, v0
.LBB371_17:                             ;   in Loop: Header=BB371_11 Depth=1
	s_or_b32 exec_lo, exec_lo, s19
.LBB371_18:                             ;   in Loop: Header=BB371_11 Depth=1
	s_delay_alu instid0(SALU_CYCLE_1)
	s_or_b32 exec_lo, exec_lo, s18
	scratch_store_b32 off, v0, s32 offset:376 ; 4-byte Folded Spill
.LBB371_19:                             ;   in Loop: Header=BB371_11 Depth=1
	s_or_b32 exec_lo, exec_lo, s17
	v_mov_b32_e32 v1, 0
	v_lshrrev_b16 v0, 8, v30
	s_mov_b32 s17, exec_lo
	scratch_store_b32 off, v1, s32 offset:320 ; 4-byte Folded Spill
	v_mov_b32_e32 v1, 0
	scratch_store_b32 off, v1, s32 offset:324 ; 4-byte Folded Spill
	v_cmpx_ne_u16_e32 0, v0
	s_cbranch_execz .LBB371_27
; %bb.20:                               ;   in Loop: Header=BB371_11 Depth=1
	v_bfrev_b32_e32 v1, 1
	s_mov_b32 s18, exec_lo
	scratch_store_b32 off, v1, s32 offset:324 ; 4-byte Folded Spill
	v_cmpx_ne_u16_e32 0x80, v0
	s_cbranch_execz .LBB371_26
; %bb.21:                               ;   in Loop: Header=BB371_11 Depth=1
	v_and_b32_e32 v0, 0xffff, v0
	v_mov_b32_e32 v1, 0x7fc02000
	s_mov_b32 s19, exec_lo
	s_delay_alu instid0(VALU_DEP_2)
	v_and_b32_e32 v2, 0x7f, v0
	scratch_store_b32 off, v1, s32 offset:324 ; 4-byte Folded Spill
	v_cmpx_ne_u32_e32 0x7f, v2
	s_cbranch_execz .LBB371_25
; %bb.22:                               ;   in Loop: Header=BB371_11 Depth=1
	v_and_b32_e32 v8, 7, v0
	v_lshrrev_b32_e32 v1, 3, v2
	v_mov_b32_e32 v33, v9
	s_mov_b32 s20, exec_lo
	s_delay_alu instid0(VALU_DEP_3)
	v_mov_b32_e32 v32, v8
	v_cmpx_gt_u32_e32 8, v2
; %bb.23:                               ;   in Loop: Header=BB371_11 Depth=1
	v_clz_i32_u32_e32 v1, v8
	s_delay_alu instid0(VALU_DEP_1) | instskip(NEXT) | instid1(VALU_DEP_1)
	v_min_u32_e32 v1, 32, v1
	v_subrev_nc_u32_e32 v2, 28, v1
	v_sub_nc_u32_e32 v1, 29, v1
	s_delay_alu instid0(VALU_DEP_2) | instskip(NEXT) | instid1(VALU_DEP_1)
	v_lshlrev_b64 v[2:3], v2, v[8:9]
	v_and_b32_e32 v32, 7, v2
; %bb.24:                               ;   in Loop: Header=BB371_11 Depth=1
	s_or_b32 exec_lo, exec_lo, s20
	v_lshlrev_b32_e32 v0, 8, v0
	v_lshl_add_u32 v1, v1, 10, 0x2000
	s_delay_alu instid0(VALU_DEP_1) | instskip(NEXT) | instid1(VALU_DEP_1)
	v_and_or_b32 v0, 0x8000, v0, v1
	v_lshl_or_b32 v0, v32, 7, v0
	s_delay_alu instid0(VALU_DEP_1)
	v_cvt_f32_f16_e32 v0, v0
	scratch_store_b32 off, v0, s32 offset:324 ; 4-byte Folded Spill
.LBB371_25:                             ;   in Loop: Header=BB371_11 Depth=1
	s_or_b32 exec_lo, exec_lo, s19
.LBB371_26:                             ;   in Loop: Header=BB371_11 Depth=1
	s_delay_alu instid0(SALU_CYCLE_1)
	s_or_b32 exec_lo, exec_lo, s18
.LBB371_27:                             ;   in Loop: Header=BB371_11 Depth=1
	s_delay_alu instid0(SALU_CYCLE_1) | instskip(SKIP_2) | instid1(VALU_DEP_1)
	s_or_b32 exec_lo, exec_lo, s17
	v_lshrrev_b32_e32 v0, 16, v30
	s_mov_b32 s17, exec_lo
	v_and_b32_e32 v1, 0xff, v0
	s_delay_alu instid0(VALU_DEP_1)
	v_cmpx_ne_u16_e32 0, v1
	s_cbranch_execz .LBB371_35
; %bb.28:                               ;   in Loop: Header=BB371_11 Depth=1
	v_cmp_ne_u16_e64 s1, 0x80, v1
	v_bfrev_b32_e32 v1, 1
	scratch_store_b32 off, v1, s32 offset:320 ; 4-byte Folded Spill
	s_and_saveexec_b32 s18, s1
	s_cbranch_execz .LBB371_34
; %bb.29:                               ;   in Loop: Header=BB371_11 Depth=1
	v_bfe_u32 v2, v30, 16, 7
	v_mov_b32_e32 v1, 0x7fc02000
	s_mov_b32 s19, exec_lo
	scratch_store_b32 off, v1, s32 offset:320 ; 4-byte Folded Spill
	v_cmpx_ne_u32_e32 0x7f, v2
	s_cbranch_execz .LBB371_33
; %bb.30:                               ;   in Loop: Header=BB371_11 Depth=1
	v_and_b32_e32 v8, 7, v0
	v_lshrrev_b32_e32 v1, 3, v2
	v_mov_b32_e32 v33, v9
	s_mov_b32 s20, exec_lo
	s_delay_alu instid0(VALU_DEP_3)
	v_mov_b32_e32 v32, v8
	v_cmpx_gt_u32_e32 8, v2
; %bb.31:                               ;   in Loop: Header=BB371_11 Depth=1
	v_clz_i32_u32_e32 v1, v8
	s_delay_alu instid0(VALU_DEP_1) | instskip(NEXT) | instid1(VALU_DEP_1)
	v_min_u32_e32 v1, 32, v1
	v_subrev_nc_u32_e32 v2, 28, v1
	v_sub_nc_u32_e32 v1, 29, v1
	s_delay_alu instid0(VALU_DEP_2) | instskip(NEXT) | instid1(VALU_DEP_1)
	v_lshlrev_b64 v[2:3], v2, v[8:9]
	v_and_b32_e32 v32, 7, v2
; %bb.32:                               ;   in Loop: Header=BB371_11 Depth=1
	s_or_b32 exec_lo, exec_lo, s20
	v_lshlrev_b32_e32 v0, 8, v0
	v_lshl_add_u32 v1, v1, 10, 0x2000
	s_delay_alu instid0(VALU_DEP_1) | instskip(NEXT) | instid1(VALU_DEP_1)
	v_and_or_b32 v0, 0x8000, v0, v1
	v_lshl_or_b32 v0, v32, 7, v0
	s_delay_alu instid0(VALU_DEP_1)
	v_cvt_f32_f16_e32 v0, v0
	scratch_store_b32 off, v0, s32 offset:320 ; 4-byte Folded Spill
.LBB371_33:                             ;   in Loop: Header=BB371_11 Depth=1
	s_or_b32 exec_lo, exec_lo, s19
.LBB371_34:                             ;   in Loop: Header=BB371_11 Depth=1
	s_delay_alu instid0(SALU_CYCLE_1)
	s_or_b32 exec_lo, exec_lo, s18
.LBB371_35:                             ;   in Loop: Header=BB371_11 Depth=1
	s_delay_alu instid0(SALU_CYCLE_1)
	s_or_b32 exec_lo, exec_lo, s17
	v_dual_mov_b32 v0, 0 :: v_dual_mov_b32 v159, 0
	s_mov_b32 s17, exec_lo
	scratch_store_b32 off, v0, s32 offset:328 ; 4-byte Folded Spill
	v_cmpx_lt_u32_e32 0xffffff, v30
	s_cbranch_execz .LBB371_43
; %bb.36:                               ;   in Loop: Header=BB371_11 Depth=1
	v_lshrrev_b32_e32 v0, 24, v30
	v_bfrev_b32_e32 v159, 1
	s_mov_b32 s18, exec_lo
	s_delay_alu instid0(VALU_DEP_2)
	v_cmpx_ne_u32_e32 0x80, v0
	s_cbranch_execz .LBB371_42
; %bb.37:                               ;   in Loop: Header=BB371_11 Depth=1
	v_and_b32_e32 v2, 0x7f, v0
	v_mov_b32_e32 v159, 0x7fc02000
	s_mov_b32 s19, exec_lo
	s_delay_alu instid0(VALU_DEP_2)
	v_cmpx_ne_u32_e32 0x7f, v2
	s_cbranch_execz .LBB371_41
; %bb.38:                               ;   in Loop: Header=BB371_11 Depth=1
	v_and_b32_e32 v8, 7, v0
	v_lshrrev_b32_e32 v1, 3, v2
	v_mov_b32_e32 v33, v9
	s_mov_b32 s20, exec_lo
	s_delay_alu instid0(VALU_DEP_3)
	v_mov_b32_e32 v32, v8
	v_cmpx_gt_u32_e32 8, v2
; %bb.39:                               ;   in Loop: Header=BB371_11 Depth=1
	v_clz_i32_u32_e32 v1, v8
	s_delay_alu instid0(VALU_DEP_1) | instskip(NEXT) | instid1(VALU_DEP_1)
	v_min_u32_e32 v1, 32, v1
	v_subrev_nc_u32_e32 v2, 28, v1
	v_sub_nc_u32_e32 v1, 29, v1
	s_delay_alu instid0(VALU_DEP_2) | instskip(NEXT) | instid1(VALU_DEP_1)
	v_lshlrev_b64 v[2:3], v2, v[8:9]
	v_and_b32_e32 v32, 7, v2
; %bb.40:                               ;   in Loop: Header=BB371_11 Depth=1
	s_or_b32 exec_lo, exec_lo, s20
	v_lshlrev_b32_e32 v0, 8, v0
	v_lshl_add_u32 v1, v1, 10, 0x2000
	s_delay_alu instid0(VALU_DEP_1) | instskip(NEXT) | instid1(VALU_DEP_1)
	v_and_or_b32 v0, 0x8000, v0, v1
	v_lshl_or_b32 v0, v32, 7, v0
	s_delay_alu instid0(VALU_DEP_1)
	v_cvt_f32_f16_e64 v159, v0
.LBB371_41:                             ;   in Loop: Header=BB371_11 Depth=1
	s_or_b32 exec_lo, exec_lo, s19
.LBB371_42:                             ;   in Loop: Header=BB371_11 Depth=1
	s_delay_alu instid0(SALU_CYCLE_1)
	s_or_b32 exec_lo, exec_lo, s18
.LBB371_43:                             ;   in Loop: Header=BB371_11 Depth=1
	s_delay_alu instid0(SALU_CYCLE_1) | instskip(SKIP_3) | instid1(VALU_DEP_2)
	s_or_b32 exec_lo, exec_lo, s17
	v_and_b32_e32 v0, 0xff, v31
	v_mov_b32_e32 v8, v31
	s_mov_b32 s17, exec_lo
	v_cmpx_ne_u16_e32 0, v0
	s_cbranch_execz .LBB371_51
; %bb.44:                               ;   in Loop: Header=BB371_11 Depth=1
	v_cmp_ne_u16_e64 s1, 0x80, v0
	v_bfrev_b32_e32 v0, 1
	scratch_store_b32 off, v0, s32 offset:328 ; 4-byte Folded Spill
	s_and_saveexec_b32 s18, s1
	s_cbranch_execz .LBB371_50
; %bb.45:                               ;   in Loop: Header=BB371_11 Depth=1
	v_and_b32_e32 v1, 0x7f, v31
	v_mov_b32_e32 v0, 0x7fc02000
	s_mov_b32 s19, exec_lo
	scratch_store_b32 off, v0, s32 offset:328 ; 4-byte Folded Spill
	v_cmpx_ne_u32_e32 0x7f, v1
	s_cbranch_execz .LBB371_49
; %bb.46:                               ;   in Loop: Header=BB371_11 Depth=1
	v_lshrrev_b32_e32 v0, 3, v1
	v_dual_mov_b32 v33, v9 :: v_dual_mov_b32 v32, v8
	s_mov_b32 s20, exec_lo
	v_cmpx_gt_u32_e32 8, v1
; %bb.47:                               ;   in Loop: Header=BB371_11 Depth=1
	v_and_b32_e32 v0, 7, v31
	s_delay_alu instid0(VALU_DEP_1) | instskip(NEXT) | instid1(VALU_DEP_1)
	v_clz_i32_u32_e32 v0, v0
	v_min_u32_e32 v0, 32, v0
	s_delay_alu instid0(VALU_DEP_1) | instskip(SKIP_1) | instid1(VALU_DEP_2)
	v_subrev_nc_u32_e32 v1, 28, v0
	v_sub_nc_u32_e32 v0, 29, v0
	v_lshlrev_b64 v[32:33], v1, v[8:9]
; %bb.48:                               ;   in Loop: Header=BB371_11 Depth=1
	s_or_b32 exec_lo, exec_lo, s20
	v_lshlrev_b32_e32 v1, 8, v31
	s_delay_alu instid0(VALU_DEP_3) | instskip(NEXT) | instid1(VALU_DEP_3)
	v_lshl_add_u32 v0, v0, 10, 0x2000
	v_lshlrev_b32_e32 v2, 7, v32
	s_delay_alu instid0(VALU_DEP_2) | instskip(NEXT) | instid1(VALU_DEP_1)
	v_and_or_b32 v0, 0x8000, v1, v0
	v_and_or_b32 v0, 0x380, v2, v0
	s_delay_alu instid0(VALU_DEP_1)
	v_cvt_f32_f16_e32 v0, v0
	scratch_store_b32 off, v0, s32 offset:328 ; 4-byte Folded Spill
.LBB371_49:                             ;   in Loop: Header=BB371_11 Depth=1
	s_or_b32 exec_lo, exec_lo, s19
.LBB371_50:                             ;   in Loop: Header=BB371_11 Depth=1
	s_delay_alu instid0(SALU_CYCLE_1)
	s_or_b32 exec_lo, exec_lo, s18
.LBB371_51:                             ;   in Loop: Header=BB371_11 Depth=1
	s_delay_alu instid0(SALU_CYCLE_1)
	s_or_b32 exec_lo, exec_lo, s17
	v_mov_b32_e32 v1, 0
	v_lshrrev_b16 v0, 8, v8
	s_mov_b32 s17, exec_lo
	scratch_store_b32 off, v1, s32 offset:332 ; 4-byte Folded Spill
	v_mov_b32_e32 v1, 0
	scratch_store_b32 off, v1, s32 offset:336 ; 4-byte Folded Spill
	v_cmpx_ne_u16_e32 0, v0
	s_cbranch_execz .LBB371_59
; %bb.52:                               ;   in Loop: Header=BB371_11 Depth=1
	v_bfrev_b32_e32 v1, 1
	s_mov_b32 s18, exec_lo
	scratch_store_b32 off, v1, s32 offset:336 ; 4-byte Folded Spill
	v_cmpx_ne_u16_e32 0x80, v0
	s_cbranch_execz .LBB371_58
; %bb.53:                               ;   in Loop: Header=BB371_11 Depth=1
	v_and_b32_e32 v0, 0xffff, v0
	v_mov_b32_e32 v1, 0x7fc02000
	s_mov_b32 s19, exec_lo
	s_delay_alu instid0(VALU_DEP_2)
	v_and_b32_e32 v2, 0x7f, v0
	scratch_store_b32 off, v1, s32 offset:336 ; 4-byte Folded Spill
	v_cmpx_ne_u32_e32 0x7f, v2
	s_cbranch_execz .LBB371_57
; %bb.54:                               ;   in Loop: Header=BB371_11 Depth=1
	v_and_b32_e32 v8, 7, v0
	v_lshrrev_b32_e32 v1, 3, v2
	v_mov_b32_e32 v33, v9
	s_mov_b32 s20, exec_lo
	s_delay_alu instid0(VALU_DEP_3)
	v_mov_b32_e32 v32, v8
	v_cmpx_gt_u32_e32 8, v2
; %bb.55:                               ;   in Loop: Header=BB371_11 Depth=1
	v_clz_i32_u32_e32 v1, v8
	s_delay_alu instid0(VALU_DEP_1) | instskip(NEXT) | instid1(VALU_DEP_1)
	v_min_u32_e32 v1, 32, v1
	v_subrev_nc_u32_e32 v2, 28, v1
	v_sub_nc_u32_e32 v1, 29, v1
	s_delay_alu instid0(VALU_DEP_2) | instskip(NEXT) | instid1(VALU_DEP_1)
	v_lshlrev_b64 v[2:3], v2, v[8:9]
	v_and_b32_e32 v32, 7, v2
; %bb.56:                               ;   in Loop: Header=BB371_11 Depth=1
	s_or_b32 exec_lo, exec_lo, s20
	v_lshlrev_b32_e32 v0, 8, v0
	v_lshl_add_u32 v1, v1, 10, 0x2000
	s_delay_alu instid0(VALU_DEP_1) | instskip(NEXT) | instid1(VALU_DEP_1)
	v_and_or_b32 v0, 0x8000, v0, v1
	v_lshl_or_b32 v0, v32, 7, v0
	s_delay_alu instid0(VALU_DEP_1)
	v_cvt_f32_f16_e32 v0, v0
	scratch_store_b32 off, v0, s32 offset:336 ; 4-byte Folded Spill
.LBB371_57:                             ;   in Loop: Header=BB371_11 Depth=1
	s_or_b32 exec_lo, exec_lo, s19
.LBB371_58:                             ;   in Loop: Header=BB371_11 Depth=1
	s_delay_alu instid0(SALU_CYCLE_1)
	s_or_b32 exec_lo, exec_lo, s18
.LBB371_59:                             ;   in Loop: Header=BB371_11 Depth=1
	s_delay_alu instid0(SALU_CYCLE_1) | instskip(SKIP_2) | instid1(VALU_DEP_1)
	s_or_b32 exec_lo, exec_lo, s17
	v_lshrrev_b32_e32 v0, 16, v31
	s_mov_b32 s17, exec_lo
	v_and_b32_e32 v1, 0xff, v0
	s_delay_alu instid0(VALU_DEP_1)
	v_cmpx_ne_u16_e32 0, v1
	s_cbranch_execz .LBB371_67
; %bb.60:                               ;   in Loop: Header=BB371_11 Depth=1
	v_cmp_ne_u16_e64 s1, 0x80, v1
	v_bfrev_b32_e32 v1, 1
	scratch_store_b32 off, v1, s32 offset:332 ; 4-byte Folded Spill
	s_and_saveexec_b32 s18, s1
	s_cbranch_execz .LBB371_66
; %bb.61:                               ;   in Loop: Header=BB371_11 Depth=1
	v_bfe_u32 v2, v31, 16, 7
	v_mov_b32_e32 v1, 0x7fc02000
	s_mov_b32 s19, exec_lo
	scratch_store_b32 off, v1, s32 offset:332 ; 4-byte Folded Spill
	v_cmpx_ne_u32_e32 0x7f, v2
	s_cbranch_execz .LBB371_65
; %bb.62:                               ;   in Loop: Header=BB371_11 Depth=1
	v_and_b32_e32 v8, 7, v0
	v_lshrrev_b32_e32 v1, 3, v2
	v_mov_b32_e32 v33, v9
	s_mov_b32 s20, exec_lo
	s_delay_alu instid0(VALU_DEP_3)
	v_mov_b32_e32 v32, v8
	v_cmpx_gt_u32_e32 8, v2
; %bb.63:                               ;   in Loop: Header=BB371_11 Depth=1
	v_clz_i32_u32_e32 v1, v8
	s_delay_alu instid0(VALU_DEP_1) | instskip(NEXT) | instid1(VALU_DEP_1)
	v_min_u32_e32 v1, 32, v1
	v_subrev_nc_u32_e32 v2, 28, v1
	v_sub_nc_u32_e32 v1, 29, v1
	s_delay_alu instid0(VALU_DEP_2) | instskip(NEXT) | instid1(VALU_DEP_1)
	v_lshlrev_b64 v[2:3], v2, v[8:9]
	v_and_b32_e32 v32, 7, v2
; %bb.64:                               ;   in Loop: Header=BB371_11 Depth=1
	s_or_b32 exec_lo, exec_lo, s20
	v_lshlrev_b32_e32 v0, 8, v0
	v_lshl_add_u32 v1, v1, 10, 0x2000
	s_delay_alu instid0(VALU_DEP_1) | instskip(NEXT) | instid1(VALU_DEP_1)
	v_and_or_b32 v0, 0x8000, v0, v1
	v_lshl_or_b32 v0, v32, 7, v0
	s_delay_alu instid0(VALU_DEP_1)
	v_cvt_f32_f16_e32 v0, v0
	scratch_store_b32 off, v0, s32 offset:332 ; 4-byte Folded Spill
.LBB371_65:                             ;   in Loop: Header=BB371_11 Depth=1
	s_or_b32 exec_lo, exec_lo, s19
.LBB371_66:                             ;   in Loop: Header=BB371_11 Depth=1
	s_delay_alu instid0(SALU_CYCLE_1)
	s_or_b32 exec_lo, exec_lo, s18
.LBB371_67:                             ;   in Loop: Header=BB371_11 Depth=1
	s_delay_alu instid0(SALU_CYCLE_1)
	s_or_b32 exec_lo, exec_lo, s17
	v_mov_b32_e32 v0, 0
	s_mov_b32 s17, exec_lo
	scratch_store_b32 off, v0, s32 offset:340 ; 4-byte Folded Spill
	v_mov_b32_e32 v0, 0
	scratch_store_b32 off, v0, s32 offset:380 ; 4-byte Folded Spill
	v_cmpx_lt_u64_e64 s[2:3], v[30:31]
	s_cbranch_execz .LBB371_75
; %bb.68:                               ;   in Loop: Header=BB371_11 Depth=1
	v_lshrrev_b32_e32 v0, 24, v31
	v_bfrev_b32_e32 v1, 1
	s_mov_b32 s18, exec_lo
	s_delay_alu instid0(VALU_DEP_2)
	v_cmpx_ne_u32_e32 0x80, v0
	s_cbranch_execz .LBB371_74
; %bb.69:                               ;   in Loop: Header=BB371_11 Depth=1
	v_and_b32_e32 v2, 0x7f, v0
	v_mov_b32_e32 v1, 0x7fc02000
	s_mov_b32 s19, exec_lo
	s_delay_alu instid0(VALU_DEP_2)
	v_cmpx_ne_u32_e32 0x7f, v2
	s_cbranch_execz .LBB371_73
; %bb.70:                               ;   in Loop: Header=BB371_11 Depth=1
	v_and_b32_e32 v8, 7, v0
	v_lshrrev_b32_e32 v1, 3, v2
	v_mov_b32_e32 v31, v9
	s_mov_b32 s20, exec_lo
	s_delay_alu instid0(VALU_DEP_3)
	v_mov_b32_e32 v30, v8
	v_cmpx_gt_u32_e32 8, v2
; %bb.71:                               ;   in Loop: Header=BB371_11 Depth=1
	v_clz_i32_u32_e32 v1, v8
	s_delay_alu instid0(VALU_DEP_1) | instskip(NEXT) | instid1(VALU_DEP_1)
	v_min_u32_e32 v1, 32, v1
	v_subrev_nc_u32_e32 v2, 28, v1
	v_sub_nc_u32_e32 v1, 29, v1
	s_delay_alu instid0(VALU_DEP_2) | instskip(NEXT) | instid1(VALU_DEP_1)
	v_lshlrev_b64 v[2:3], v2, v[8:9]
	v_and_b32_e32 v30, 7, v2
; %bb.72:                               ;   in Loop: Header=BB371_11 Depth=1
	s_or_b32 exec_lo, exec_lo, s20
	v_lshlrev_b32_e32 v0, 8, v0
	v_lshl_add_u32 v1, v1, 10, 0x2000
	s_delay_alu instid0(VALU_DEP_1) | instskip(NEXT) | instid1(VALU_DEP_1)
	v_and_or_b32 v0, 0x8000, v0, v1
	v_lshl_or_b32 v0, v30, 7, v0
	s_delay_alu instid0(VALU_DEP_1)
	v_cvt_f32_f16_e32 v1, v0
.LBB371_73:                             ;   in Loop: Header=BB371_11 Depth=1
	s_or_b32 exec_lo, exec_lo, s19
.LBB371_74:                             ;   in Loop: Header=BB371_11 Depth=1
	s_delay_alu instid0(SALU_CYCLE_1)
	s_or_b32 exec_lo, exec_lo, s18
	scratch_store_b32 off, v1, s32 offset:380 ; 4-byte Folded Spill
.LBB371_75:                             ;   in Loop: Header=BB371_11 Depth=1
	s_or_b32 exec_lo, exec_lo, s17
	flat_load_b64 v[30:31], v[28:29] offset:8
	s_mov_b32 s17, exec_lo
	s_waitcnt vmcnt(0) lgkmcnt(0)
	v_and_b32_e32 v0, 0xff, v30
	s_delay_alu instid0(VALU_DEP_1)
	v_cmpx_ne_u16_e32 0, v0
	s_cbranch_execz .LBB371_83
; %bb.76:                               ;   in Loop: Header=BB371_11 Depth=1
	v_cmp_ne_u16_e64 s1, 0x80, v0
	v_bfrev_b32_e32 v0, 1
	scratch_store_b32 off, v0, s32 offset:340 ; 4-byte Folded Spill
	s_and_saveexec_b32 s18, s1
	s_cbranch_execz .LBB371_82
; %bb.77:                               ;   in Loop: Header=BB371_11 Depth=1
	v_and_b32_e32 v1, 0x7f, v30
	v_mov_b32_e32 v0, 0x7fc02000
	s_mov_b32 s19, exec_lo
	scratch_store_b32 off, v0, s32 offset:340 ; 4-byte Folded Spill
	v_cmpx_ne_u32_e32 0x7f, v1
	s_cbranch_execz .LBB371_81
; %bb.78:                               ;   in Loop: Header=BB371_11 Depth=1
	v_lshrrev_b32_e32 v0, 3, v1
	v_dual_mov_b32 v33, v31 :: v_dual_mov_b32 v32, v30
	s_mov_b32 s20, exec_lo
	v_cmpx_gt_u32_e32 8, v1
; %bb.79:                               ;   in Loop: Header=BB371_11 Depth=1
	v_and_b32_e32 v0, 7, v30
	s_delay_alu instid0(VALU_DEP_1) | instskip(NEXT) | instid1(VALU_DEP_1)
	v_clz_i32_u32_e32 v0, v0
	v_min_u32_e32 v0, 32, v0
	s_delay_alu instid0(VALU_DEP_1) | instskip(SKIP_1) | instid1(VALU_DEP_2)
	v_subrev_nc_u32_e32 v1, 28, v0
	v_sub_nc_u32_e32 v0, 29, v0
	v_lshlrev_b64 v[32:33], v1, v[30:31]
; %bb.80:                               ;   in Loop: Header=BB371_11 Depth=1
	s_or_b32 exec_lo, exec_lo, s20
	v_lshlrev_b32_e32 v1, 8, v30
	s_delay_alu instid0(VALU_DEP_3) | instskip(NEXT) | instid1(VALU_DEP_3)
	v_lshl_add_u32 v0, v0, 10, 0x2000
	v_lshlrev_b32_e32 v2, 7, v32
	s_delay_alu instid0(VALU_DEP_2) | instskip(NEXT) | instid1(VALU_DEP_1)
	v_and_or_b32 v0, 0x8000, v1, v0
	v_and_or_b32 v0, 0x380, v2, v0
	s_delay_alu instid0(VALU_DEP_1)
	v_cvt_f32_f16_e32 v0, v0
	scratch_store_b32 off, v0, s32 offset:340 ; 4-byte Folded Spill
.LBB371_81:                             ;   in Loop: Header=BB371_11 Depth=1
	s_or_b32 exec_lo, exec_lo, s19
.LBB371_82:                             ;   in Loop: Header=BB371_11 Depth=1
	s_delay_alu instid0(SALU_CYCLE_1)
	s_or_b32 exec_lo, exec_lo, s18
.LBB371_83:                             ;   in Loop: Header=BB371_11 Depth=1
	s_delay_alu instid0(SALU_CYCLE_1)
	s_or_b32 exec_lo, exec_lo, s17
	v_mov_b32_e32 v1, 0
	v_lshrrev_b16 v0, 8, v30
	s_mov_b32 s17, exec_lo
	scratch_store_b32 off, v1, s32 offset:344 ; 4-byte Folded Spill
	v_mov_b32_e32 v1, 0
	scratch_store_b32 off, v1, s32 offset:348 ; 4-byte Folded Spill
	v_cmpx_ne_u16_e32 0, v0
	s_cbranch_execz .LBB371_91
; %bb.84:                               ;   in Loop: Header=BB371_11 Depth=1
	v_bfrev_b32_e32 v1, 1
	s_mov_b32 s18, exec_lo
	scratch_store_b32 off, v1, s32 offset:348 ; 4-byte Folded Spill
	v_cmpx_ne_u16_e32 0x80, v0
	s_cbranch_execz .LBB371_90
; %bb.85:                               ;   in Loop: Header=BB371_11 Depth=1
	v_and_b32_e32 v0, 0xffff, v0
	v_mov_b32_e32 v1, 0x7fc02000
	s_mov_b32 s19, exec_lo
	s_delay_alu instid0(VALU_DEP_2)
	v_and_b32_e32 v2, 0x7f, v0
	scratch_store_b32 off, v1, s32 offset:348 ; 4-byte Folded Spill
	v_cmpx_ne_u32_e32 0x7f, v2
	s_cbranch_execz .LBB371_89
; %bb.86:                               ;   in Loop: Header=BB371_11 Depth=1
	v_and_b32_e32 v8, 7, v0
	v_lshrrev_b32_e32 v1, 3, v2
	v_mov_b32_e32 v33, v9
	s_mov_b32 s20, exec_lo
	s_delay_alu instid0(VALU_DEP_3)
	v_mov_b32_e32 v32, v8
	v_cmpx_gt_u32_e32 8, v2
; %bb.87:                               ;   in Loop: Header=BB371_11 Depth=1
	v_clz_i32_u32_e32 v1, v8
	s_delay_alu instid0(VALU_DEP_1) | instskip(NEXT) | instid1(VALU_DEP_1)
	v_min_u32_e32 v1, 32, v1
	v_subrev_nc_u32_e32 v2, 28, v1
	v_sub_nc_u32_e32 v1, 29, v1
	s_delay_alu instid0(VALU_DEP_2) | instskip(NEXT) | instid1(VALU_DEP_1)
	v_lshlrev_b64 v[2:3], v2, v[8:9]
	v_and_b32_e32 v32, 7, v2
; %bb.88:                               ;   in Loop: Header=BB371_11 Depth=1
	s_or_b32 exec_lo, exec_lo, s20
	v_lshlrev_b32_e32 v0, 8, v0
	v_lshl_add_u32 v1, v1, 10, 0x2000
	s_delay_alu instid0(VALU_DEP_1) | instskip(NEXT) | instid1(VALU_DEP_1)
	v_and_or_b32 v0, 0x8000, v0, v1
	v_lshl_or_b32 v0, v32, 7, v0
	s_delay_alu instid0(VALU_DEP_1)
	v_cvt_f32_f16_e32 v0, v0
	scratch_store_b32 off, v0, s32 offset:348 ; 4-byte Folded Spill
.LBB371_89:                             ;   in Loop: Header=BB371_11 Depth=1
	s_or_b32 exec_lo, exec_lo, s19
.LBB371_90:                             ;   in Loop: Header=BB371_11 Depth=1
	s_delay_alu instid0(SALU_CYCLE_1)
	s_or_b32 exec_lo, exec_lo, s18
.LBB371_91:                             ;   in Loop: Header=BB371_11 Depth=1
	s_delay_alu instid0(SALU_CYCLE_1) | instskip(SKIP_2) | instid1(VALU_DEP_1)
	s_or_b32 exec_lo, exec_lo, s17
	v_lshrrev_b32_e32 v0, 16, v30
	s_mov_b32 s17, exec_lo
	v_and_b32_e32 v1, 0xff, v0
	s_delay_alu instid0(VALU_DEP_1)
	v_cmpx_ne_u16_e32 0, v1
	s_cbranch_execz .LBB371_99
; %bb.92:                               ;   in Loop: Header=BB371_11 Depth=1
	v_cmp_ne_u16_e64 s1, 0x80, v1
	v_bfrev_b32_e32 v1, 1
	scratch_store_b32 off, v1, s32 offset:344 ; 4-byte Folded Spill
	s_and_saveexec_b32 s18, s1
	s_cbranch_execz .LBB371_98
; %bb.93:                               ;   in Loop: Header=BB371_11 Depth=1
	v_bfe_u32 v2, v30, 16, 7
	v_mov_b32_e32 v1, 0x7fc02000
	s_mov_b32 s19, exec_lo
	scratch_store_b32 off, v1, s32 offset:344 ; 4-byte Folded Spill
	v_cmpx_ne_u32_e32 0x7f, v2
	s_cbranch_execz .LBB371_97
; %bb.94:                               ;   in Loop: Header=BB371_11 Depth=1
	v_and_b32_e32 v8, 7, v0
	v_lshrrev_b32_e32 v1, 3, v2
	v_mov_b32_e32 v33, v9
	s_mov_b32 s20, exec_lo
	s_delay_alu instid0(VALU_DEP_3)
	v_mov_b32_e32 v32, v8
	v_cmpx_gt_u32_e32 8, v2
; %bb.95:                               ;   in Loop: Header=BB371_11 Depth=1
	v_clz_i32_u32_e32 v1, v8
	s_delay_alu instid0(VALU_DEP_1) | instskip(NEXT) | instid1(VALU_DEP_1)
	v_min_u32_e32 v1, 32, v1
	v_subrev_nc_u32_e32 v2, 28, v1
	v_sub_nc_u32_e32 v1, 29, v1
	s_delay_alu instid0(VALU_DEP_2) | instskip(NEXT) | instid1(VALU_DEP_1)
	v_lshlrev_b64 v[2:3], v2, v[8:9]
	v_and_b32_e32 v32, 7, v2
; %bb.96:                               ;   in Loop: Header=BB371_11 Depth=1
	s_or_b32 exec_lo, exec_lo, s20
	v_lshlrev_b32_e32 v0, 8, v0
	v_lshl_add_u32 v1, v1, 10, 0x2000
	s_delay_alu instid0(VALU_DEP_1) | instskip(NEXT) | instid1(VALU_DEP_1)
	v_and_or_b32 v0, 0x8000, v0, v1
	v_lshl_or_b32 v0, v32, 7, v0
	s_delay_alu instid0(VALU_DEP_1)
	v_cvt_f32_f16_e32 v0, v0
	scratch_store_b32 off, v0, s32 offset:344 ; 4-byte Folded Spill
.LBB371_97:                             ;   in Loop: Header=BB371_11 Depth=1
	s_or_b32 exec_lo, exec_lo, s19
.LBB371_98:                             ;   in Loop: Header=BB371_11 Depth=1
	s_delay_alu instid0(SALU_CYCLE_1)
	s_or_b32 exec_lo, exec_lo, s18
.LBB371_99:                             ;   in Loop: Header=BB371_11 Depth=1
	s_delay_alu instid0(SALU_CYCLE_1)
	s_or_b32 exec_lo, exec_lo, s17
	v_mov_b32_e32 v0, 0
	s_mov_b32 s17, exec_lo
	scratch_store_b32 off, v0, s32 offset:352 ; 4-byte Folded Spill
	v_mov_b32_e32 v0, 0
	scratch_store_b32 off, v0, s32 offset:356 ; 4-byte Folded Spill
	v_cmpx_lt_u32_e32 0xffffff, v30
	s_cbranch_execz .LBB371_107
; %bb.100:                              ;   in Loop: Header=BB371_11 Depth=1
	v_lshrrev_b32_e32 v0, 24, v30
	v_bfrev_b32_e32 v1, 1
	s_mov_b32 s18, exec_lo
	scratch_store_b32 off, v1, s32 offset:356 ; 4-byte Folded Spill
	v_cmpx_ne_u32_e32 0x80, v0
	s_cbranch_execz .LBB371_106
; %bb.101:                              ;   in Loop: Header=BB371_11 Depth=1
	v_and_b32_e32 v2, 0x7f, v0
	v_mov_b32_e32 v1, 0x7fc02000
	s_mov_b32 s19, exec_lo
	scratch_store_b32 off, v1, s32 offset:356 ; 4-byte Folded Spill
	v_cmpx_ne_u32_e32 0x7f, v2
	s_cbranch_execz .LBB371_105
; %bb.102:                              ;   in Loop: Header=BB371_11 Depth=1
	v_and_b32_e32 v8, 7, v0
	v_lshrrev_b32_e32 v1, 3, v2
	v_mov_b32_e32 v33, v9
	s_mov_b32 s20, exec_lo
	s_delay_alu instid0(VALU_DEP_3)
	v_mov_b32_e32 v32, v8
	v_cmpx_gt_u32_e32 8, v2
; %bb.103:                              ;   in Loop: Header=BB371_11 Depth=1
	v_clz_i32_u32_e32 v1, v8
	s_delay_alu instid0(VALU_DEP_1) | instskip(NEXT) | instid1(VALU_DEP_1)
	v_min_u32_e32 v1, 32, v1
	v_subrev_nc_u32_e32 v2, 28, v1
	v_sub_nc_u32_e32 v1, 29, v1
	s_delay_alu instid0(VALU_DEP_2) | instskip(NEXT) | instid1(VALU_DEP_1)
	v_lshlrev_b64 v[2:3], v2, v[8:9]
	v_and_b32_e32 v32, 7, v2
; %bb.104:                              ;   in Loop: Header=BB371_11 Depth=1
	s_or_b32 exec_lo, exec_lo, s20
	v_lshlrev_b32_e32 v0, 8, v0
	v_lshl_add_u32 v1, v1, 10, 0x2000
	s_delay_alu instid0(VALU_DEP_1) | instskip(NEXT) | instid1(VALU_DEP_1)
	v_and_or_b32 v0, 0x8000, v0, v1
	v_lshl_or_b32 v0, v32, 7, v0
	s_delay_alu instid0(VALU_DEP_1)
	v_cvt_f32_f16_e32 v0, v0
	scratch_store_b32 off, v0, s32 offset:356 ; 4-byte Folded Spill
.LBB371_105:                            ;   in Loop: Header=BB371_11 Depth=1
	s_or_b32 exec_lo, exec_lo, s19
.LBB371_106:                            ;   in Loop: Header=BB371_11 Depth=1
	s_delay_alu instid0(SALU_CYCLE_1)
	s_or_b32 exec_lo, exec_lo, s18
.LBB371_107:                            ;   in Loop: Header=BB371_11 Depth=1
	s_delay_alu instid0(SALU_CYCLE_1) | instskip(SKIP_3) | instid1(VALU_DEP_2)
	s_or_b32 exec_lo, exec_lo, s17
	v_and_b32_e32 v0, 0xff, v31
	v_mov_b32_e32 v8, v31
	s_mov_b32 s17, exec_lo
	v_cmpx_ne_u16_e32 0, v0
	s_cbranch_execz .LBB371_115
; %bb.108:                              ;   in Loop: Header=BB371_11 Depth=1
	v_cmp_ne_u16_e64 s1, 0x80, v0
	v_bfrev_b32_e32 v0, 1
	scratch_store_b32 off, v0, s32 offset:352 ; 4-byte Folded Spill
	s_and_saveexec_b32 s18, s1
	s_cbranch_execz .LBB371_114
; %bb.109:                              ;   in Loop: Header=BB371_11 Depth=1
	v_and_b32_e32 v1, 0x7f, v31
	v_mov_b32_e32 v0, 0x7fc02000
	s_mov_b32 s19, exec_lo
	scratch_store_b32 off, v0, s32 offset:352 ; 4-byte Folded Spill
	v_cmpx_ne_u32_e32 0x7f, v1
	s_cbranch_execz .LBB371_113
; %bb.110:                              ;   in Loop: Header=BB371_11 Depth=1
	v_lshrrev_b32_e32 v0, 3, v1
	v_dual_mov_b32 v33, v9 :: v_dual_mov_b32 v32, v8
	s_mov_b32 s20, exec_lo
	v_cmpx_gt_u32_e32 8, v1
; %bb.111:                              ;   in Loop: Header=BB371_11 Depth=1
	v_and_b32_e32 v0, 7, v31
	s_delay_alu instid0(VALU_DEP_1) | instskip(NEXT) | instid1(VALU_DEP_1)
	v_clz_i32_u32_e32 v0, v0
	v_min_u32_e32 v0, 32, v0
	s_delay_alu instid0(VALU_DEP_1) | instskip(SKIP_1) | instid1(VALU_DEP_2)
	v_subrev_nc_u32_e32 v1, 28, v0
	v_sub_nc_u32_e32 v0, 29, v0
	v_lshlrev_b64 v[32:33], v1, v[8:9]
; %bb.112:                              ;   in Loop: Header=BB371_11 Depth=1
	s_or_b32 exec_lo, exec_lo, s20
	v_lshlrev_b32_e32 v1, 8, v31
	s_delay_alu instid0(VALU_DEP_3) | instskip(NEXT) | instid1(VALU_DEP_3)
	v_lshl_add_u32 v0, v0, 10, 0x2000
	v_lshlrev_b32_e32 v2, 7, v32
	s_delay_alu instid0(VALU_DEP_2) | instskip(NEXT) | instid1(VALU_DEP_1)
	v_and_or_b32 v0, 0x8000, v1, v0
	v_and_or_b32 v0, 0x380, v2, v0
	s_delay_alu instid0(VALU_DEP_1)
	v_cvt_f32_f16_e32 v0, v0
	scratch_store_b32 off, v0, s32 offset:352 ; 4-byte Folded Spill
.LBB371_113:                            ;   in Loop: Header=BB371_11 Depth=1
	s_or_b32 exec_lo, exec_lo, s19
.LBB371_114:                            ;   in Loop: Header=BB371_11 Depth=1
	s_delay_alu instid0(SALU_CYCLE_1)
	s_or_b32 exec_lo, exec_lo, s18
.LBB371_115:                            ;   in Loop: Header=BB371_11 Depth=1
	s_delay_alu instid0(SALU_CYCLE_1)
	s_or_b32 exec_lo, exec_lo, s17
	v_mov_b32_e32 v1, 0
	v_lshrrev_b16 v0, 8, v8
	s_mov_b32 s17, exec_lo
	scratch_store_b32 off, v1, s32 offset:360 ; 4-byte Folded Spill
	v_mov_b32_e32 v1, 0
	scratch_store_b32 off, v1, s32 offset:364 ; 4-byte Folded Spill
	v_cmpx_ne_u16_e32 0, v0
	s_cbranch_execz .LBB371_123
; %bb.116:                              ;   in Loop: Header=BB371_11 Depth=1
	v_bfrev_b32_e32 v1, 1
	s_mov_b32 s18, exec_lo
	scratch_store_b32 off, v1, s32 offset:364 ; 4-byte Folded Spill
	v_cmpx_ne_u16_e32 0x80, v0
	s_cbranch_execz .LBB371_122
; %bb.117:                              ;   in Loop: Header=BB371_11 Depth=1
	v_and_b32_e32 v0, 0xffff, v0
	v_mov_b32_e32 v1, 0x7fc02000
	s_mov_b32 s19, exec_lo
	s_delay_alu instid0(VALU_DEP_2)
	v_and_b32_e32 v2, 0x7f, v0
	scratch_store_b32 off, v1, s32 offset:364 ; 4-byte Folded Spill
	v_cmpx_ne_u32_e32 0x7f, v2
	s_cbranch_execz .LBB371_121
; %bb.118:                              ;   in Loop: Header=BB371_11 Depth=1
	v_and_b32_e32 v8, 7, v0
	v_lshrrev_b32_e32 v1, 3, v2
	v_mov_b32_e32 v33, v9
	s_mov_b32 s20, exec_lo
	s_delay_alu instid0(VALU_DEP_3)
	v_mov_b32_e32 v32, v8
	v_cmpx_gt_u32_e32 8, v2
; %bb.119:                              ;   in Loop: Header=BB371_11 Depth=1
	v_clz_i32_u32_e32 v1, v8
	s_delay_alu instid0(VALU_DEP_1) | instskip(NEXT) | instid1(VALU_DEP_1)
	v_min_u32_e32 v1, 32, v1
	v_subrev_nc_u32_e32 v2, 28, v1
	v_sub_nc_u32_e32 v1, 29, v1
	s_delay_alu instid0(VALU_DEP_2) | instskip(NEXT) | instid1(VALU_DEP_1)
	v_lshlrev_b64 v[2:3], v2, v[8:9]
	v_and_b32_e32 v32, 7, v2
; %bb.120:                              ;   in Loop: Header=BB371_11 Depth=1
	s_or_b32 exec_lo, exec_lo, s20
	v_lshlrev_b32_e32 v0, 8, v0
	v_lshl_add_u32 v1, v1, 10, 0x2000
	s_delay_alu instid0(VALU_DEP_1) | instskip(NEXT) | instid1(VALU_DEP_1)
	v_and_or_b32 v0, 0x8000, v0, v1
	v_lshl_or_b32 v0, v32, 7, v0
	s_delay_alu instid0(VALU_DEP_1)
	v_cvt_f32_f16_e32 v0, v0
	scratch_store_b32 off, v0, s32 offset:364 ; 4-byte Folded Spill
.LBB371_121:                            ;   in Loop: Header=BB371_11 Depth=1
	s_or_b32 exec_lo, exec_lo, s19
.LBB371_122:                            ;   in Loop: Header=BB371_11 Depth=1
	s_delay_alu instid0(SALU_CYCLE_1)
	s_or_b32 exec_lo, exec_lo, s18
.LBB371_123:                            ;   in Loop: Header=BB371_11 Depth=1
	s_delay_alu instid0(SALU_CYCLE_1) | instskip(SKIP_2) | instid1(VALU_DEP_1)
	s_or_b32 exec_lo, exec_lo, s17
	v_lshrrev_b32_e32 v0, 16, v31
	s_mov_b32 s17, exec_lo
	v_and_b32_e32 v1, 0xff, v0
	s_delay_alu instid0(VALU_DEP_1)
	v_cmpx_ne_u16_e32 0, v1
	s_cbranch_execz .LBB371_131
; %bb.124:                              ;   in Loop: Header=BB371_11 Depth=1
	v_cmp_ne_u16_e64 s1, 0x80, v1
	v_bfrev_b32_e32 v1, 1
	scratch_store_b32 off, v1, s32 offset:360 ; 4-byte Folded Spill
	s_and_saveexec_b32 s18, s1
	s_cbranch_execz .LBB371_130
; %bb.125:                              ;   in Loop: Header=BB371_11 Depth=1
	v_bfe_u32 v2, v31, 16, 7
	v_mov_b32_e32 v1, 0x7fc02000
	s_mov_b32 s19, exec_lo
	scratch_store_b32 off, v1, s32 offset:360 ; 4-byte Folded Spill
	v_cmpx_ne_u32_e32 0x7f, v2
	s_cbranch_execz .LBB371_129
; %bb.126:                              ;   in Loop: Header=BB371_11 Depth=1
	v_and_b32_e32 v8, 7, v0
	v_lshrrev_b32_e32 v1, 3, v2
	v_mov_b32_e32 v33, v9
	s_mov_b32 s20, exec_lo
	s_delay_alu instid0(VALU_DEP_3)
	v_mov_b32_e32 v32, v8
	v_cmpx_gt_u32_e32 8, v2
; %bb.127:                              ;   in Loop: Header=BB371_11 Depth=1
	v_clz_i32_u32_e32 v1, v8
	s_delay_alu instid0(VALU_DEP_1) | instskip(NEXT) | instid1(VALU_DEP_1)
	v_min_u32_e32 v1, 32, v1
	v_subrev_nc_u32_e32 v2, 28, v1
	v_sub_nc_u32_e32 v1, 29, v1
	s_delay_alu instid0(VALU_DEP_2) | instskip(NEXT) | instid1(VALU_DEP_1)
	v_lshlrev_b64 v[2:3], v2, v[8:9]
	v_and_b32_e32 v32, 7, v2
; %bb.128:                              ;   in Loop: Header=BB371_11 Depth=1
	s_or_b32 exec_lo, exec_lo, s20
	v_lshlrev_b32_e32 v0, 8, v0
	v_lshl_add_u32 v1, v1, 10, 0x2000
	s_delay_alu instid0(VALU_DEP_1) | instskip(NEXT) | instid1(VALU_DEP_1)
	v_and_or_b32 v0, 0x8000, v0, v1
	v_lshl_or_b32 v0, v32, 7, v0
	s_delay_alu instid0(VALU_DEP_1)
	v_cvt_f32_f16_e32 v0, v0
	scratch_store_b32 off, v0, s32 offset:360 ; 4-byte Folded Spill
.LBB371_129:                            ;   in Loop: Header=BB371_11 Depth=1
	s_or_b32 exec_lo, exec_lo, s19
.LBB371_130:                            ;   in Loop: Header=BB371_11 Depth=1
	s_delay_alu instid0(SALU_CYCLE_1)
	s_or_b32 exec_lo, exec_lo, s18
.LBB371_131:                            ;   in Loop: Header=BB371_11 Depth=1
	s_delay_alu instid0(SALU_CYCLE_1)
	s_or_b32 exec_lo, exec_lo, s17
	v_dual_mov_b32 v81, 0 :: v_dual_mov_b32 v184, 0
	s_mov_b32 s17, exec_lo
	v_cmpx_lt_u64_e64 s[2:3], v[30:31]
	s_cbranch_execz .LBB371_139
; %bb.132:                              ;   in Loop: Header=BB371_11 Depth=1
	v_lshrrev_b32_e32 v0, 24, v31
	v_bfrev_b32_e32 v184, 1
	s_mov_b32 s18, exec_lo
	s_delay_alu instid0(VALU_DEP_2)
	v_cmpx_ne_u32_e32 0x80, v0
	s_cbranch_execz .LBB371_138
; %bb.133:                              ;   in Loop: Header=BB371_11 Depth=1
	v_and_b32_e32 v2, 0x7f, v0
	v_mov_b32_e32 v184, 0x7fc02000
	s_mov_b32 s19, exec_lo
	s_delay_alu instid0(VALU_DEP_2)
	v_cmpx_ne_u32_e32 0x7f, v2
	s_cbranch_execz .LBB371_137
; %bb.134:                              ;   in Loop: Header=BB371_11 Depth=1
	v_and_b32_e32 v8, 7, v0
	v_lshrrev_b32_e32 v1, 3, v2
	v_mov_b32_e32 v31, v9
	s_mov_b32 s20, exec_lo
	s_delay_alu instid0(VALU_DEP_3)
	v_mov_b32_e32 v30, v8
	v_cmpx_gt_u32_e32 8, v2
; %bb.135:                              ;   in Loop: Header=BB371_11 Depth=1
	v_clz_i32_u32_e32 v1, v8
	s_delay_alu instid0(VALU_DEP_1) | instskip(NEXT) | instid1(VALU_DEP_1)
	v_min_u32_e32 v1, 32, v1
	v_subrev_nc_u32_e32 v2, 28, v1
	v_sub_nc_u32_e32 v1, 29, v1
	s_delay_alu instid0(VALU_DEP_2) | instskip(NEXT) | instid1(VALU_DEP_1)
	v_lshlrev_b64 v[2:3], v2, v[8:9]
	v_and_b32_e32 v30, 7, v2
; %bb.136:                              ;   in Loop: Header=BB371_11 Depth=1
	s_or_b32 exec_lo, exec_lo, s20
	v_lshlrev_b32_e32 v0, 8, v0
	v_lshl_add_u32 v1, v1, 10, 0x2000
	s_delay_alu instid0(VALU_DEP_1) | instskip(NEXT) | instid1(VALU_DEP_1)
	v_and_or_b32 v0, 0x8000, v0, v1
	v_lshl_or_b32 v0, v30, 7, v0
	s_delay_alu instid0(VALU_DEP_1)
	v_cvt_f32_f16_e64 v184, v0
.LBB371_137:                            ;   in Loop: Header=BB371_11 Depth=1
	s_or_b32 exec_lo, exec_lo, s19
.LBB371_138:                            ;   in Loop: Header=BB371_11 Depth=1
	s_delay_alu instid0(SALU_CYCLE_1)
	s_or_b32 exec_lo, exec_lo, s18
.LBB371_139:                            ;   in Loop: Header=BB371_11 Depth=1
	s_delay_alu instid0(SALU_CYCLE_1) | instskip(SKIP_4) | instid1(VALU_DEP_1)
	s_or_b32 exec_lo, exec_lo, s17
	flat_load_b64 v[30:31], v[28:29] offset:512
	s_mov_b32 s17, exec_lo
	s_waitcnt vmcnt(0) lgkmcnt(0)
	v_and_b32_e32 v0, 0xff, v30
	v_cmpx_ne_u16_e32 0, v0
	s_cbranch_execz .LBB371_147
; %bb.140:                              ;   in Loop: Header=BB371_11 Depth=1
	v_bfrev_b32_e32 v81, 1
	s_mov_b32 s18, exec_lo
	v_cmpx_ne_u16_e32 0x80, v0
	s_cbranch_execz .LBB371_146
; %bb.141:                              ;   in Loop: Header=BB371_11 Depth=1
	v_and_b32_e32 v1, 0x7f, v30
	v_mov_b32_e32 v81, 0x7fc02000
	s_mov_b32 s19, exec_lo
	s_delay_alu instid0(VALU_DEP_2)
	v_cmpx_ne_u32_e32 0x7f, v1
	s_cbranch_execz .LBB371_145
; %bb.142:                              ;   in Loop: Header=BB371_11 Depth=1
	v_lshrrev_b32_e32 v0, 3, v1
	v_dual_mov_b32 v33, v31 :: v_dual_mov_b32 v32, v30
	s_mov_b32 s20, exec_lo
	v_cmpx_gt_u32_e32 8, v1
; %bb.143:                              ;   in Loop: Header=BB371_11 Depth=1
	v_and_b32_e32 v0, 7, v30
	s_delay_alu instid0(VALU_DEP_1) | instskip(NEXT) | instid1(VALU_DEP_1)
	v_clz_i32_u32_e32 v0, v0
	v_min_u32_e32 v0, 32, v0
	s_delay_alu instid0(VALU_DEP_1) | instskip(SKIP_1) | instid1(VALU_DEP_2)
	v_subrev_nc_u32_e32 v1, 28, v0
	v_sub_nc_u32_e32 v0, 29, v0
	v_lshlrev_b64 v[32:33], v1, v[30:31]
; %bb.144:                              ;   in Loop: Header=BB371_11 Depth=1
	s_or_b32 exec_lo, exec_lo, s20
	v_lshlrev_b32_e32 v1, 8, v30
	s_delay_alu instid0(VALU_DEP_3) | instskip(NEXT) | instid1(VALU_DEP_3)
	v_lshl_add_u32 v0, v0, 10, 0x2000
	v_lshlrev_b32_e32 v2, 7, v32
	s_delay_alu instid0(VALU_DEP_2) | instskip(NEXT) | instid1(VALU_DEP_1)
	v_and_or_b32 v0, 0x8000, v1, v0
	v_and_or_b32 v0, 0x380, v2, v0
	s_delay_alu instid0(VALU_DEP_1)
	v_cvt_f32_f16_e32 v81, v0
.LBB371_145:                            ;   in Loop: Header=BB371_11 Depth=1
	s_or_b32 exec_lo, exec_lo, s19
.LBB371_146:                            ;   in Loop: Header=BB371_11 Depth=1
	s_delay_alu instid0(SALU_CYCLE_1)
	s_or_b32 exec_lo, exec_lo, s18
.LBB371_147:                            ;   in Loop: Header=BB371_11 Depth=1
	s_delay_alu instid0(SALU_CYCLE_1) | instskip(SKIP_4) | instid1(VALU_DEP_3)
	s_or_b32 exec_lo, exec_lo, s17
	v_lshrrev_b16 v0, 8, v30
	v_mov_b32_e32 v53, 0
	v_mov_b32_e32 v65, 0
	s_mov_b32 s17, exec_lo
	v_cmpx_ne_u16_e32 0, v0
	s_cbranch_execz .LBB371_155
; %bb.148:                              ;   in Loop: Header=BB371_11 Depth=1
	v_bfrev_b32_e32 v65, 1
	s_mov_b32 s18, exec_lo
	v_cmpx_ne_u16_e32 0x80, v0
	s_cbranch_execz .LBB371_154
; %bb.149:                              ;   in Loop: Header=BB371_11 Depth=1
	v_and_b32_e32 v0, 0xffff, v0
	v_mov_b32_e32 v65, 0x7fc02000
	s_mov_b32 s19, exec_lo
	s_delay_alu instid0(VALU_DEP_2) | instskip(NEXT) | instid1(VALU_DEP_1)
	v_and_b32_e32 v2, 0x7f, v0
	v_cmpx_ne_u32_e32 0x7f, v2
	s_cbranch_execz .LBB371_153
; %bb.150:                              ;   in Loop: Header=BB371_11 Depth=1
	v_and_b32_e32 v8, 7, v0
	v_lshrrev_b32_e32 v1, 3, v2
	v_mov_b32_e32 v33, v9
	s_mov_b32 s20, exec_lo
	s_delay_alu instid0(VALU_DEP_3)
	v_mov_b32_e32 v32, v8
	v_cmpx_gt_u32_e32 8, v2
; %bb.151:                              ;   in Loop: Header=BB371_11 Depth=1
	v_clz_i32_u32_e32 v1, v8
	s_delay_alu instid0(VALU_DEP_1) | instskip(NEXT) | instid1(VALU_DEP_1)
	v_min_u32_e32 v1, 32, v1
	v_subrev_nc_u32_e32 v2, 28, v1
	v_sub_nc_u32_e32 v1, 29, v1
	s_delay_alu instid0(VALU_DEP_2) | instskip(NEXT) | instid1(VALU_DEP_1)
	v_lshlrev_b64 v[2:3], v2, v[8:9]
	v_and_b32_e32 v32, 7, v2
; %bb.152:                              ;   in Loop: Header=BB371_11 Depth=1
	s_or_b32 exec_lo, exec_lo, s20
	v_lshlrev_b32_e32 v0, 8, v0
	v_lshl_add_u32 v1, v1, 10, 0x2000
	s_delay_alu instid0(VALU_DEP_1) | instskip(NEXT) | instid1(VALU_DEP_1)
	v_and_or_b32 v0, 0x8000, v0, v1
	v_lshl_or_b32 v0, v32, 7, v0
	s_delay_alu instid0(VALU_DEP_1)
	v_cvt_f32_f16_e32 v65, v0
.LBB371_153:                            ;   in Loop: Header=BB371_11 Depth=1
	s_or_b32 exec_lo, exec_lo, s19
.LBB371_154:                            ;   in Loop: Header=BB371_11 Depth=1
	s_delay_alu instid0(SALU_CYCLE_1)
	s_or_b32 exec_lo, exec_lo, s18
.LBB371_155:                            ;   in Loop: Header=BB371_11 Depth=1
	s_delay_alu instid0(SALU_CYCLE_1) | instskip(SKIP_2) | instid1(VALU_DEP_1)
	s_or_b32 exec_lo, exec_lo, s17
	v_lshrrev_b32_e32 v0, 16, v30
	s_mov_b32 s17, exec_lo
	v_and_b32_e32 v1, 0xff, v0
	s_delay_alu instid0(VALU_DEP_1)
	v_cmpx_ne_u16_e32 0, v1
	s_cbranch_execz .LBB371_163
; %bb.156:                              ;   in Loop: Header=BB371_11 Depth=1
	v_bfrev_b32_e32 v53, 1
	s_mov_b32 s18, exec_lo
	v_cmpx_ne_u16_e32 0x80, v1
	s_cbranch_execz .LBB371_162
; %bb.157:                              ;   in Loop: Header=BB371_11 Depth=1
	v_bfe_u32 v2, v30, 16, 7
	v_mov_b32_e32 v53, 0x7fc02000
	s_mov_b32 s19, exec_lo
	s_delay_alu instid0(VALU_DEP_2)
	v_cmpx_ne_u32_e32 0x7f, v2
	s_cbranch_execz .LBB371_161
; %bb.158:                              ;   in Loop: Header=BB371_11 Depth=1
	v_and_b32_e32 v8, 7, v0
	v_lshrrev_b32_e32 v1, 3, v2
	v_mov_b32_e32 v33, v9
	s_mov_b32 s20, exec_lo
	s_delay_alu instid0(VALU_DEP_3)
	v_mov_b32_e32 v32, v8
	v_cmpx_gt_u32_e32 8, v2
; %bb.159:                              ;   in Loop: Header=BB371_11 Depth=1
	v_clz_i32_u32_e32 v1, v8
	s_delay_alu instid0(VALU_DEP_1) | instskip(NEXT) | instid1(VALU_DEP_1)
	v_min_u32_e32 v1, 32, v1
	v_subrev_nc_u32_e32 v2, 28, v1
	v_sub_nc_u32_e32 v1, 29, v1
	s_delay_alu instid0(VALU_DEP_2) | instskip(NEXT) | instid1(VALU_DEP_1)
	v_lshlrev_b64 v[2:3], v2, v[8:9]
	v_and_b32_e32 v32, 7, v2
; %bb.160:                              ;   in Loop: Header=BB371_11 Depth=1
	s_or_b32 exec_lo, exec_lo, s20
	v_lshlrev_b32_e32 v0, 8, v0
	v_lshl_add_u32 v1, v1, 10, 0x2000
	s_delay_alu instid0(VALU_DEP_1) | instskip(NEXT) | instid1(VALU_DEP_1)
	v_and_or_b32 v0, 0x8000, v0, v1
	v_lshl_or_b32 v0, v32, 7, v0
	s_delay_alu instid0(VALU_DEP_1)
	v_cvt_f32_f16_e32 v53, v0
.LBB371_161:                            ;   in Loop: Header=BB371_11 Depth=1
	s_or_b32 exec_lo, exec_lo, s19
.LBB371_162:                            ;   in Loop: Header=BB371_11 Depth=1
	s_delay_alu instid0(SALU_CYCLE_1)
	s_or_b32 exec_lo, exec_lo, s18
.LBB371_163:                            ;   in Loop: Header=BB371_11 Depth=1
	s_delay_alu instid0(SALU_CYCLE_1)
	s_or_b32 exec_lo, exec_lo, s17
	v_dual_mov_b32 v66, 0 :: v_dual_mov_b32 v69, 0
	s_mov_b32 s17, exec_lo
	v_cmpx_lt_u32_e32 0xffffff, v30
	s_cbranch_execz .LBB371_171
; %bb.164:                              ;   in Loop: Header=BB371_11 Depth=1
	v_lshrrev_b32_e32 v0, 24, v30
	v_bfrev_b32_e32 v69, 1
	s_mov_b32 s18, exec_lo
	s_delay_alu instid0(VALU_DEP_2)
	v_cmpx_ne_u32_e32 0x80, v0
	s_cbranch_execz .LBB371_170
; %bb.165:                              ;   in Loop: Header=BB371_11 Depth=1
	v_and_b32_e32 v2, 0x7f, v0
	v_mov_b32_e32 v69, 0x7fc02000
	s_mov_b32 s19, exec_lo
	s_delay_alu instid0(VALU_DEP_2)
	v_cmpx_ne_u32_e32 0x7f, v2
	s_cbranch_execz .LBB371_169
; %bb.166:                              ;   in Loop: Header=BB371_11 Depth=1
	v_and_b32_e32 v8, 7, v0
	v_lshrrev_b32_e32 v1, 3, v2
	v_mov_b32_e32 v33, v9
	s_mov_b32 s20, exec_lo
	s_delay_alu instid0(VALU_DEP_3)
	v_mov_b32_e32 v32, v8
	v_cmpx_gt_u32_e32 8, v2
; %bb.167:                              ;   in Loop: Header=BB371_11 Depth=1
	v_clz_i32_u32_e32 v1, v8
	s_delay_alu instid0(VALU_DEP_1) | instskip(NEXT) | instid1(VALU_DEP_1)
	v_min_u32_e32 v1, 32, v1
	v_subrev_nc_u32_e32 v2, 28, v1
	v_sub_nc_u32_e32 v1, 29, v1
	s_delay_alu instid0(VALU_DEP_2) | instskip(NEXT) | instid1(VALU_DEP_1)
	v_lshlrev_b64 v[2:3], v2, v[8:9]
	v_and_b32_e32 v32, 7, v2
; %bb.168:                              ;   in Loop: Header=BB371_11 Depth=1
	s_or_b32 exec_lo, exec_lo, s20
	v_lshlrev_b32_e32 v0, 8, v0
	v_lshl_add_u32 v1, v1, 10, 0x2000
	s_delay_alu instid0(VALU_DEP_1) | instskip(NEXT) | instid1(VALU_DEP_1)
	v_and_or_b32 v0, 0x8000, v0, v1
	v_lshl_or_b32 v0, v32, 7, v0
	s_delay_alu instid0(VALU_DEP_1)
	v_cvt_f32_f16_e32 v69, v0
.LBB371_169:                            ;   in Loop: Header=BB371_11 Depth=1
	s_or_b32 exec_lo, exec_lo, s19
.LBB371_170:                            ;   in Loop: Header=BB371_11 Depth=1
	s_delay_alu instid0(SALU_CYCLE_1)
	s_or_b32 exec_lo, exec_lo, s18
.LBB371_171:                            ;   in Loop: Header=BB371_11 Depth=1
	s_delay_alu instid0(SALU_CYCLE_1) | instskip(SKIP_3) | instid1(VALU_DEP_2)
	s_or_b32 exec_lo, exec_lo, s17
	v_and_b32_e32 v0, 0xff, v31
	v_mov_b32_e32 v8, v31
	s_mov_b32 s17, exec_lo
	v_cmpx_ne_u16_e32 0, v0
	s_cbranch_execz .LBB371_179
; %bb.172:                              ;   in Loop: Header=BB371_11 Depth=1
	v_bfrev_b32_e32 v66, 1
	s_mov_b32 s18, exec_lo
	v_cmpx_ne_u16_e32 0x80, v0
	s_cbranch_execz .LBB371_178
; %bb.173:                              ;   in Loop: Header=BB371_11 Depth=1
	v_and_b32_e32 v1, 0x7f, v31
	v_mov_b32_e32 v66, 0x7fc02000
	s_mov_b32 s19, exec_lo
	s_delay_alu instid0(VALU_DEP_2)
	v_cmpx_ne_u32_e32 0x7f, v1
	s_cbranch_execz .LBB371_177
; %bb.174:                              ;   in Loop: Header=BB371_11 Depth=1
	v_lshrrev_b32_e32 v0, 3, v1
	v_dual_mov_b32 v33, v9 :: v_dual_mov_b32 v32, v8
	s_mov_b32 s20, exec_lo
	v_cmpx_gt_u32_e32 8, v1
; %bb.175:                              ;   in Loop: Header=BB371_11 Depth=1
	v_and_b32_e32 v0, 7, v31
	s_delay_alu instid0(VALU_DEP_1) | instskip(NEXT) | instid1(VALU_DEP_1)
	v_clz_i32_u32_e32 v0, v0
	v_min_u32_e32 v0, 32, v0
	s_delay_alu instid0(VALU_DEP_1) | instskip(SKIP_1) | instid1(VALU_DEP_2)
	v_subrev_nc_u32_e32 v1, 28, v0
	v_sub_nc_u32_e32 v0, 29, v0
	v_lshlrev_b64 v[32:33], v1, v[8:9]
; %bb.176:                              ;   in Loop: Header=BB371_11 Depth=1
	s_or_b32 exec_lo, exec_lo, s20
	v_lshlrev_b32_e32 v1, 8, v31
	s_delay_alu instid0(VALU_DEP_3) | instskip(NEXT) | instid1(VALU_DEP_3)
	v_lshl_add_u32 v0, v0, 10, 0x2000
	v_lshlrev_b32_e32 v2, 7, v32
	s_delay_alu instid0(VALU_DEP_2) | instskip(NEXT) | instid1(VALU_DEP_1)
	v_and_or_b32 v0, 0x8000, v1, v0
	v_and_or_b32 v0, 0x380, v2, v0
	s_delay_alu instid0(VALU_DEP_1)
	v_cvt_f32_f16_e32 v66, v0
.LBB371_177:                            ;   in Loop: Header=BB371_11 Depth=1
	s_or_b32 exec_lo, exec_lo, s19
.LBB371_178:                            ;   in Loop: Header=BB371_11 Depth=1
	s_delay_alu instid0(SALU_CYCLE_1)
	s_or_b32 exec_lo, exec_lo, s18
.LBB371_179:                            ;   in Loop: Header=BB371_11 Depth=1
	s_delay_alu instid0(SALU_CYCLE_1) | instskip(SKIP_3) | instid1(VALU_DEP_2)
	s_or_b32 exec_lo, exec_lo, s17
	v_lshrrev_b16 v0, 8, v8
	v_dual_mov_b32 v70, 0 :: v_dual_mov_b32 v103, 0
	s_mov_b32 s17, exec_lo
	v_cmpx_ne_u16_e32 0, v0
	s_cbranch_execz .LBB371_187
; %bb.180:                              ;   in Loop: Header=BB371_11 Depth=1
	v_bfrev_b32_e32 v103, 1
	s_mov_b32 s18, exec_lo
	v_cmpx_ne_u16_e32 0x80, v0
	s_cbranch_execz .LBB371_186
; %bb.181:                              ;   in Loop: Header=BB371_11 Depth=1
	v_and_b32_e32 v0, 0xffff, v0
	v_mov_b32_e32 v103, 0x7fc02000
	s_mov_b32 s19, exec_lo
	s_delay_alu instid0(VALU_DEP_2) | instskip(NEXT) | instid1(VALU_DEP_1)
	v_and_b32_e32 v2, 0x7f, v0
	v_cmpx_ne_u32_e32 0x7f, v2
	s_cbranch_execz .LBB371_185
; %bb.182:                              ;   in Loop: Header=BB371_11 Depth=1
	v_and_b32_e32 v8, 7, v0
	v_lshrrev_b32_e32 v1, 3, v2
	v_mov_b32_e32 v33, v9
	s_mov_b32 s20, exec_lo
	s_delay_alu instid0(VALU_DEP_3)
	v_mov_b32_e32 v32, v8
	v_cmpx_gt_u32_e32 8, v2
; %bb.183:                              ;   in Loop: Header=BB371_11 Depth=1
	v_clz_i32_u32_e32 v1, v8
	s_delay_alu instid0(VALU_DEP_1) | instskip(NEXT) | instid1(VALU_DEP_1)
	v_min_u32_e32 v1, 32, v1
	v_subrev_nc_u32_e32 v2, 28, v1
	v_sub_nc_u32_e32 v1, 29, v1
	s_delay_alu instid0(VALU_DEP_2) | instskip(NEXT) | instid1(VALU_DEP_1)
	v_lshlrev_b64 v[2:3], v2, v[8:9]
	v_and_b32_e32 v32, 7, v2
; %bb.184:                              ;   in Loop: Header=BB371_11 Depth=1
	s_or_b32 exec_lo, exec_lo, s20
	v_lshlrev_b32_e32 v0, 8, v0
	v_lshl_add_u32 v1, v1, 10, 0x2000
	s_delay_alu instid0(VALU_DEP_1) | instskip(NEXT) | instid1(VALU_DEP_1)
	v_and_or_b32 v0, 0x8000, v0, v1
	v_lshl_or_b32 v0, v32, 7, v0
	s_delay_alu instid0(VALU_DEP_1)
	v_cvt_f32_f16_e32 v103, v0
.LBB371_185:                            ;   in Loop: Header=BB371_11 Depth=1
	s_or_b32 exec_lo, exec_lo, s19
.LBB371_186:                            ;   in Loop: Header=BB371_11 Depth=1
	s_delay_alu instid0(SALU_CYCLE_1)
	s_or_b32 exec_lo, exec_lo, s18
.LBB371_187:                            ;   in Loop: Header=BB371_11 Depth=1
	s_delay_alu instid0(SALU_CYCLE_1) | instskip(SKIP_2) | instid1(VALU_DEP_1)
	s_or_b32 exec_lo, exec_lo, s17
	v_lshrrev_b32_e32 v0, 16, v31
	s_mov_b32 s17, exec_lo
	v_and_b32_e32 v1, 0xff, v0
	s_delay_alu instid0(VALU_DEP_1)
	v_cmpx_ne_u16_e32 0, v1
	s_cbranch_execz .LBB371_195
; %bb.188:                              ;   in Loop: Header=BB371_11 Depth=1
	v_bfrev_b32_e32 v70, 1
	s_mov_b32 s18, exec_lo
	v_cmpx_ne_u16_e32 0x80, v1
	s_cbranch_execz .LBB371_194
; %bb.189:                              ;   in Loop: Header=BB371_11 Depth=1
	v_bfe_u32 v2, v31, 16, 7
	v_mov_b32_e32 v70, 0x7fc02000
	s_mov_b32 s19, exec_lo
	s_delay_alu instid0(VALU_DEP_2)
	v_cmpx_ne_u32_e32 0x7f, v2
	s_cbranch_execz .LBB371_193
; %bb.190:                              ;   in Loop: Header=BB371_11 Depth=1
	v_and_b32_e32 v8, 7, v0
	v_lshrrev_b32_e32 v1, 3, v2
	v_mov_b32_e32 v33, v9
	s_mov_b32 s20, exec_lo
	s_delay_alu instid0(VALU_DEP_3)
	v_mov_b32_e32 v32, v8
	v_cmpx_gt_u32_e32 8, v2
; %bb.191:                              ;   in Loop: Header=BB371_11 Depth=1
	v_clz_i32_u32_e32 v1, v8
	s_delay_alu instid0(VALU_DEP_1) | instskip(NEXT) | instid1(VALU_DEP_1)
	v_min_u32_e32 v1, 32, v1
	v_subrev_nc_u32_e32 v2, 28, v1
	v_sub_nc_u32_e32 v1, 29, v1
	s_delay_alu instid0(VALU_DEP_2) | instskip(NEXT) | instid1(VALU_DEP_1)
	v_lshlrev_b64 v[2:3], v2, v[8:9]
	v_and_b32_e32 v32, 7, v2
; %bb.192:                              ;   in Loop: Header=BB371_11 Depth=1
	s_or_b32 exec_lo, exec_lo, s20
	v_lshlrev_b32_e32 v0, 8, v0
	v_lshl_add_u32 v1, v1, 10, 0x2000
	s_delay_alu instid0(VALU_DEP_1) | instskip(NEXT) | instid1(VALU_DEP_1)
	v_and_or_b32 v0, 0x8000, v0, v1
	v_lshl_or_b32 v0, v32, 7, v0
	s_delay_alu instid0(VALU_DEP_1)
	v_cvt_f32_f16_e32 v70, v0
.LBB371_193:                            ;   in Loop: Header=BB371_11 Depth=1
	s_or_b32 exec_lo, exec_lo, s19
.LBB371_194:                            ;   in Loop: Header=BB371_11 Depth=1
	s_delay_alu instid0(SALU_CYCLE_1)
	s_or_b32 exec_lo, exec_lo, s18
.LBB371_195:                            ;   in Loop: Header=BB371_11 Depth=1
	s_delay_alu instid0(SALU_CYCLE_1)
	s_or_b32 exec_lo, exec_lo, s17
	v_mov_b32_e32 v113, 0
	v_mov_b32_e32 v71, 0
	s_mov_b32 s17, exec_lo
	v_cmpx_lt_u64_e64 s[2:3], v[30:31]
	s_cbranch_execz .LBB371_203
; %bb.196:                              ;   in Loop: Header=BB371_11 Depth=1
	v_lshrrev_b32_e32 v0, 24, v31
	v_bfrev_b32_e32 v71, 1
	s_mov_b32 s18, exec_lo
	s_delay_alu instid0(VALU_DEP_2)
	v_cmpx_ne_u32_e32 0x80, v0
	s_cbranch_execz .LBB371_202
; %bb.197:                              ;   in Loop: Header=BB371_11 Depth=1
	v_and_b32_e32 v2, 0x7f, v0
	v_mov_b32_e32 v71, 0x7fc02000
	s_mov_b32 s19, exec_lo
	s_delay_alu instid0(VALU_DEP_2)
	v_cmpx_ne_u32_e32 0x7f, v2
	s_cbranch_execz .LBB371_201
; %bb.198:                              ;   in Loop: Header=BB371_11 Depth=1
	v_and_b32_e32 v8, 7, v0
	v_lshrrev_b32_e32 v1, 3, v2
	v_mov_b32_e32 v31, v9
	s_mov_b32 s20, exec_lo
	s_delay_alu instid0(VALU_DEP_3)
	v_mov_b32_e32 v30, v8
	v_cmpx_gt_u32_e32 8, v2
; %bb.199:                              ;   in Loop: Header=BB371_11 Depth=1
	v_clz_i32_u32_e32 v1, v8
	s_delay_alu instid0(VALU_DEP_1) | instskip(NEXT) | instid1(VALU_DEP_1)
	v_min_u32_e32 v1, 32, v1
	v_subrev_nc_u32_e32 v2, 28, v1
	v_sub_nc_u32_e32 v1, 29, v1
	s_delay_alu instid0(VALU_DEP_2) | instskip(NEXT) | instid1(VALU_DEP_1)
	v_lshlrev_b64 v[2:3], v2, v[8:9]
	v_and_b32_e32 v30, 7, v2
; %bb.200:                              ;   in Loop: Header=BB371_11 Depth=1
	s_or_b32 exec_lo, exec_lo, s20
	v_lshlrev_b32_e32 v0, 8, v0
	v_lshl_add_u32 v1, v1, 10, 0x2000
	s_delay_alu instid0(VALU_DEP_1) | instskip(NEXT) | instid1(VALU_DEP_1)
	v_and_or_b32 v0, 0x8000, v0, v1
	v_lshl_or_b32 v0, v30, 7, v0
	s_delay_alu instid0(VALU_DEP_1)
	v_cvt_f32_f16_e32 v71, v0
.LBB371_201:                            ;   in Loop: Header=BB371_11 Depth=1
	s_or_b32 exec_lo, exec_lo, s19
.LBB371_202:                            ;   in Loop: Header=BB371_11 Depth=1
	s_delay_alu instid0(SALU_CYCLE_1)
	s_or_b32 exec_lo, exec_lo, s18
.LBB371_203:                            ;   in Loop: Header=BB371_11 Depth=1
	s_delay_alu instid0(SALU_CYCLE_1) | instskip(SKIP_4) | instid1(VALU_DEP_1)
	s_or_b32 exec_lo, exec_lo, s17
	flat_load_b64 v[30:31], v[28:29] offset:520
	s_mov_b32 s17, exec_lo
	s_waitcnt vmcnt(0) lgkmcnt(0)
	v_and_b32_e32 v0, 0xff, v30
	v_cmpx_ne_u16_e32 0, v0
	s_cbranch_execz .LBB371_211
; %bb.204:                              ;   in Loop: Header=BB371_11 Depth=1
	v_bfrev_b32_e32 v113, 1
	s_mov_b32 s18, exec_lo
	v_cmpx_ne_u16_e32 0x80, v0
	s_cbranch_execz .LBB371_210
; %bb.205:                              ;   in Loop: Header=BB371_11 Depth=1
	v_and_b32_e32 v1, 0x7f, v30
	v_mov_b32_e32 v113, 0x7fc02000
	s_mov_b32 s19, exec_lo
	s_delay_alu instid0(VALU_DEP_2)
	v_cmpx_ne_u32_e32 0x7f, v1
	s_cbranch_execz .LBB371_209
; %bb.206:                              ;   in Loop: Header=BB371_11 Depth=1
	v_lshrrev_b32_e32 v0, 3, v1
	v_dual_mov_b32 v33, v31 :: v_dual_mov_b32 v32, v30
	s_mov_b32 s20, exec_lo
	v_cmpx_gt_u32_e32 8, v1
; %bb.207:                              ;   in Loop: Header=BB371_11 Depth=1
	v_and_b32_e32 v0, 7, v30
	s_delay_alu instid0(VALU_DEP_1) | instskip(NEXT) | instid1(VALU_DEP_1)
	v_clz_i32_u32_e32 v0, v0
	v_min_u32_e32 v0, 32, v0
	s_delay_alu instid0(VALU_DEP_1) | instskip(SKIP_1) | instid1(VALU_DEP_2)
	v_subrev_nc_u32_e32 v1, 28, v0
	v_sub_nc_u32_e32 v0, 29, v0
	v_lshlrev_b64 v[32:33], v1, v[30:31]
; %bb.208:                              ;   in Loop: Header=BB371_11 Depth=1
	s_or_b32 exec_lo, exec_lo, s20
	v_lshlrev_b32_e32 v1, 8, v30
	s_delay_alu instid0(VALU_DEP_3) | instskip(NEXT) | instid1(VALU_DEP_3)
	v_lshl_add_u32 v0, v0, 10, 0x2000
	v_lshlrev_b32_e32 v2, 7, v32
	s_delay_alu instid0(VALU_DEP_2) | instskip(NEXT) | instid1(VALU_DEP_1)
	v_and_or_b32 v0, 0x8000, v1, v0
	v_and_or_b32 v0, 0x380, v2, v0
	s_delay_alu instid0(VALU_DEP_1)
	v_cvt_f32_f16_e32 v113, v0
.LBB371_209:                            ;   in Loop: Header=BB371_11 Depth=1
	s_or_b32 exec_lo, exec_lo, s19
.LBB371_210:                            ;   in Loop: Header=BB371_11 Depth=1
	s_delay_alu instid0(SALU_CYCLE_1)
	s_or_b32 exec_lo, exec_lo, s18
.LBB371_211:                            ;   in Loop: Header=BB371_11 Depth=1
	s_delay_alu instid0(SALU_CYCLE_1) | instskip(SKIP_3) | instid1(VALU_DEP_2)
	s_or_b32 exec_lo, exec_lo, s17
	v_lshrrev_b16 v0, 8, v30
	v_dual_mov_b32 v114, 0 :: v_dual_mov_b32 v115, 0
	s_mov_b32 s17, exec_lo
	v_cmpx_ne_u16_e32 0, v0
	s_cbranch_execz .LBB371_219
; %bb.212:                              ;   in Loop: Header=BB371_11 Depth=1
	v_bfrev_b32_e32 v115, 1
	s_mov_b32 s18, exec_lo
	v_cmpx_ne_u16_e32 0x80, v0
	s_cbranch_execz .LBB371_218
; %bb.213:                              ;   in Loop: Header=BB371_11 Depth=1
	v_and_b32_e32 v0, 0xffff, v0
	v_mov_b32_e32 v115, 0x7fc02000
	s_mov_b32 s19, exec_lo
	s_delay_alu instid0(VALU_DEP_2) | instskip(NEXT) | instid1(VALU_DEP_1)
	v_and_b32_e32 v2, 0x7f, v0
	v_cmpx_ne_u32_e32 0x7f, v2
	s_cbranch_execz .LBB371_217
; %bb.214:                              ;   in Loop: Header=BB371_11 Depth=1
	v_and_b32_e32 v8, 7, v0
	v_lshrrev_b32_e32 v1, 3, v2
	v_mov_b32_e32 v33, v9
	s_mov_b32 s20, exec_lo
	s_delay_alu instid0(VALU_DEP_3)
	v_mov_b32_e32 v32, v8
	v_cmpx_gt_u32_e32 8, v2
; %bb.215:                              ;   in Loop: Header=BB371_11 Depth=1
	v_clz_i32_u32_e32 v1, v8
	s_delay_alu instid0(VALU_DEP_1) | instskip(NEXT) | instid1(VALU_DEP_1)
	v_min_u32_e32 v1, 32, v1
	v_subrev_nc_u32_e32 v2, 28, v1
	v_sub_nc_u32_e32 v1, 29, v1
	s_delay_alu instid0(VALU_DEP_2) | instskip(NEXT) | instid1(VALU_DEP_1)
	v_lshlrev_b64 v[2:3], v2, v[8:9]
	v_and_b32_e32 v32, 7, v2
; %bb.216:                              ;   in Loop: Header=BB371_11 Depth=1
	s_or_b32 exec_lo, exec_lo, s20
	v_lshlrev_b32_e32 v0, 8, v0
	v_lshl_add_u32 v1, v1, 10, 0x2000
	s_delay_alu instid0(VALU_DEP_1) | instskip(NEXT) | instid1(VALU_DEP_1)
	v_and_or_b32 v0, 0x8000, v0, v1
	v_lshl_or_b32 v0, v32, 7, v0
	s_delay_alu instid0(VALU_DEP_1)
	v_cvt_f32_f16_e32 v115, v0
.LBB371_217:                            ;   in Loop: Header=BB371_11 Depth=1
	s_or_b32 exec_lo, exec_lo, s19
.LBB371_218:                            ;   in Loop: Header=BB371_11 Depth=1
	s_delay_alu instid0(SALU_CYCLE_1)
	s_or_b32 exec_lo, exec_lo, s18
.LBB371_219:                            ;   in Loop: Header=BB371_11 Depth=1
	s_delay_alu instid0(SALU_CYCLE_1) | instskip(SKIP_2) | instid1(VALU_DEP_1)
	s_or_b32 exec_lo, exec_lo, s17
	v_lshrrev_b32_e32 v0, 16, v30
	s_mov_b32 s17, exec_lo
	v_and_b32_e32 v1, 0xff, v0
	s_delay_alu instid0(VALU_DEP_1)
	v_cmpx_ne_u16_e32 0, v1
	s_cbranch_execz .LBB371_227
; %bb.220:                              ;   in Loop: Header=BB371_11 Depth=1
	v_bfrev_b32_e32 v114, 1
	s_mov_b32 s18, exec_lo
	v_cmpx_ne_u16_e32 0x80, v1
	s_cbranch_execz .LBB371_226
; %bb.221:                              ;   in Loop: Header=BB371_11 Depth=1
	v_bfe_u32 v2, v30, 16, 7
	v_mov_b32_e32 v114, 0x7fc02000
	s_mov_b32 s19, exec_lo
	s_delay_alu instid0(VALU_DEP_2)
	v_cmpx_ne_u32_e32 0x7f, v2
	s_cbranch_execz .LBB371_225
; %bb.222:                              ;   in Loop: Header=BB371_11 Depth=1
	v_and_b32_e32 v8, 7, v0
	v_lshrrev_b32_e32 v1, 3, v2
	v_mov_b32_e32 v33, v9
	s_mov_b32 s20, exec_lo
	s_delay_alu instid0(VALU_DEP_3)
	v_mov_b32_e32 v32, v8
	v_cmpx_gt_u32_e32 8, v2
; %bb.223:                              ;   in Loop: Header=BB371_11 Depth=1
	v_clz_i32_u32_e32 v1, v8
	s_delay_alu instid0(VALU_DEP_1) | instskip(NEXT) | instid1(VALU_DEP_1)
	v_min_u32_e32 v1, 32, v1
	v_subrev_nc_u32_e32 v2, 28, v1
	v_sub_nc_u32_e32 v1, 29, v1
	s_delay_alu instid0(VALU_DEP_2) | instskip(NEXT) | instid1(VALU_DEP_1)
	v_lshlrev_b64 v[2:3], v2, v[8:9]
	v_and_b32_e32 v32, 7, v2
; %bb.224:                              ;   in Loop: Header=BB371_11 Depth=1
	s_or_b32 exec_lo, exec_lo, s20
	v_lshlrev_b32_e32 v0, 8, v0
	v_lshl_add_u32 v1, v1, 10, 0x2000
	s_delay_alu instid0(VALU_DEP_1) | instskip(NEXT) | instid1(VALU_DEP_1)
	v_and_or_b32 v0, 0x8000, v0, v1
	v_lshl_or_b32 v0, v32, 7, v0
	s_delay_alu instid0(VALU_DEP_1)
	v_cvt_f32_f16_e32 v114, v0
.LBB371_225:                            ;   in Loop: Header=BB371_11 Depth=1
	s_or_b32 exec_lo, exec_lo, s19
.LBB371_226:                            ;   in Loop: Header=BB371_11 Depth=1
	s_delay_alu instid0(SALU_CYCLE_1)
	s_or_b32 exec_lo, exec_lo, s18
.LBB371_227:                            ;   in Loop: Header=BB371_11 Depth=1
	s_delay_alu instid0(SALU_CYCLE_1)
	s_or_b32 exec_lo, exec_lo, s17
	v_dual_mov_b32 v116, 0 :: v_dual_mov_b32 v117, 0
	s_mov_b32 s17, exec_lo
	v_cmpx_lt_u32_e32 0xffffff, v30
	s_cbranch_execz .LBB371_235
; %bb.228:                              ;   in Loop: Header=BB371_11 Depth=1
	v_lshrrev_b32_e32 v0, 24, v30
	v_bfrev_b32_e32 v117, 1
	s_mov_b32 s18, exec_lo
	s_delay_alu instid0(VALU_DEP_2)
	v_cmpx_ne_u32_e32 0x80, v0
	s_cbranch_execz .LBB371_234
; %bb.229:                              ;   in Loop: Header=BB371_11 Depth=1
	v_and_b32_e32 v2, 0x7f, v0
	v_mov_b32_e32 v117, 0x7fc02000
	s_mov_b32 s19, exec_lo
	s_delay_alu instid0(VALU_DEP_2)
	v_cmpx_ne_u32_e32 0x7f, v2
	s_cbranch_execz .LBB371_233
; %bb.230:                              ;   in Loop: Header=BB371_11 Depth=1
	v_and_b32_e32 v8, 7, v0
	v_lshrrev_b32_e32 v1, 3, v2
	v_mov_b32_e32 v33, v9
	s_mov_b32 s20, exec_lo
	s_delay_alu instid0(VALU_DEP_3)
	v_mov_b32_e32 v32, v8
	v_cmpx_gt_u32_e32 8, v2
; %bb.231:                              ;   in Loop: Header=BB371_11 Depth=1
	v_clz_i32_u32_e32 v1, v8
	s_delay_alu instid0(VALU_DEP_1) | instskip(NEXT) | instid1(VALU_DEP_1)
	v_min_u32_e32 v1, 32, v1
	v_subrev_nc_u32_e32 v2, 28, v1
	v_sub_nc_u32_e32 v1, 29, v1
	s_delay_alu instid0(VALU_DEP_2) | instskip(NEXT) | instid1(VALU_DEP_1)
	v_lshlrev_b64 v[2:3], v2, v[8:9]
	v_and_b32_e32 v32, 7, v2
; %bb.232:                              ;   in Loop: Header=BB371_11 Depth=1
	s_or_b32 exec_lo, exec_lo, s20
	v_lshlrev_b32_e32 v0, 8, v0
	v_lshl_add_u32 v1, v1, 10, 0x2000
	s_delay_alu instid0(VALU_DEP_1) | instskip(NEXT) | instid1(VALU_DEP_1)
	v_and_or_b32 v0, 0x8000, v0, v1
	v_lshl_or_b32 v0, v32, 7, v0
	s_delay_alu instid0(VALU_DEP_1)
	v_cvt_f32_f16_e32 v117, v0
.LBB371_233:                            ;   in Loop: Header=BB371_11 Depth=1
	s_or_b32 exec_lo, exec_lo, s19
.LBB371_234:                            ;   in Loop: Header=BB371_11 Depth=1
	s_delay_alu instid0(SALU_CYCLE_1)
	s_or_b32 exec_lo, exec_lo, s18
.LBB371_235:                            ;   in Loop: Header=BB371_11 Depth=1
	s_delay_alu instid0(SALU_CYCLE_1) | instskip(SKIP_3) | instid1(VALU_DEP_2)
	s_or_b32 exec_lo, exec_lo, s17
	v_and_b32_e32 v0, 0xff, v31
	v_mov_b32_e32 v8, v31
	s_mov_b32 s17, exec_lo
	v_cmpx_ne_u16_e32 0, v0
	s_cbranch_execz .LBB371_243
; %bb.236:                              ;   in Loop: Header=BB371_11 Depth=1
	v_bfrev_b32_e32 v116, 1
	s_mov_b32 s18, exec_lo
	v_cmpx_ne_u16_e32 0x80, v0
	s_cbranch_execz .LBB371_242
; %bb.237:                              ;   in Loop: Header=BB371_11 Depth=1
	v_and_b32_e32 v1, 0x7f, v31
	v_mov_b32_e32 v116, 0x7fc02000
	s_mov_b32 s19, exec_lo
	s_delay_alu instid0(VALU_DEP_2)
	v_cmpx_ne_u32_e32 0x7f, v1
	s_cbranch_execz .LBB371_241
; %bb.238:                              ;   in Loop: Header=BB371_11 Depth=1
	v_lshrrev_b32_e32 v0, 3, v1
	v_dual_mov_b32 v33, v9 :: v_dual_mov_b32 v32, v8
	s_mov_b32 s20, exec_lo
	v_cmpx_gt_u32_e32 8, v1
; %bb.239:                              ;   in Loop: Header=BB371_11 Depth=1
	v_and_b32_e32 v0, 7, v31
	s_delay_alu instid0(VALU_DEP_1) | instskip(NEXT) | instid1(VALU_DEP_1)
	v_clz_i32_u32_e32 v0, v0
	v_min_u32_e32 v0, 32, v0
	s_delay_alu instid0(VALU_DEP_1) | instskip(SKIP_1) | instid1(VALU_DEP_2)
	v_subrev_nc_u32_e32 v1, 28, v0
	v_sub_nc_u32_e32 v0, 29, v0
	v_lshlrev_b64 v[32:33], v1, v[8:9]
; %bb.240:                              ;   in Loop: Header=BB371_11 Depth=1
	s_or_b32 exec_lo, exec_lo, s20
	v_lshlrev_b32_e32 v1, 8, v31
	s_delay_alu instid0(VALU_DEP_3) | instskip(NEXT) | instid1(VALU_DEP_3)
	v_lshl_add_u32 v0, v0, 10, 0x2000
	v_lshlrev_b32_e32 v2, 7, v32
	s_delay_alu instid0(VALU_DEP_2) | instskip(NEXT) | instid1(VALU_DEP_1)
	v_and_or_b32 v0, 0x8000, v1, v0
	v_and_or_b32 v0, 0x380, v2, v0
	s_delay_alu instid0(VALU_DEP_1)
	v_cvt_f32_f16_e32 v116, v0
.LBB371_241:                            ;   in Loop: Header=BB371_11 Depth=1
	s_or_b32 exec_lo, exec_lo, s19
.LBB371_242:                            ;   in Loop: Header=BB371_11 Depth=1
	s_delay_alu instid0(SALU_CYCLE_1)
	s_or_b32 exec_lo, exec_lo, s18
.LBB371_243:                            ;   in Loop: Header=BB371_11 Depth=1
	s_delay_alu instid0(SALU_CYCLE_1) | instskip(SKIP_3) | instid1(VALU_DEP_2)
	s_or_b32 exec_lo, exec_lo, s17
	v_lshrrev_b16 v0, 8, v8
	v_dual_mov_b32 v118, 0 :: v_dual_mov_b32 v119, 0
	s_mov_b32 s17, exec_lo
	v_cmpx_ne_u16_e32 0, v0
	s_cbranch_execz .LBB371_251
; %bb.244:                              ;   in Loop: Header=BB371_11 Depth=1
	v_bfrev_b32_e32 v119, 1
	s_mov_b32 s18, exec_lo
	v_cmpx_ne_u16_e32 0x80, v0
	s_cbranch_execz .LBB371_250
; %bb.245:                              ;   in Loop: Header=BB371_11 Depth=1
	v_and_b32_e32 v0, 0xffff, v0
	v_mov_b32_e32 v119, 0x7fc02000
	s_mov_b32 s19, exec_lo
	s_delay_alu instid0(VALU_DEP_2) | instskip(NEXT) | instid1(VALU_DEP_1)
	v_and_b32_e32 v2, 0x7f, v0
	v_cmpx_ne_u32_e32 0x7f, v2
	s_cbranch_execz .LBB371_249
; %bb.246:                              ;   in Loop: Header=BB371_11 Depth=1
	v_and_b32_e32 v8, 7, v0
	v_lshrrev_b32_e32 v1, 3, v2
	v_mov_b32_e32 v33, v9
	s_mov_b32 s20, exec_lo
	s_delay_alu instid0(VALU_DEP_3)
	v_mov_b32_e32 v32, v8
	v_cmpx_gt_u32_e32 8, v2
; %bb.247:                              ;   in Loop: Header=BB371_11 Depth=1
	v_clz_i32_u32_e32 v1, v8
	s_delay_alu instid0(VALU_DEP_1) | instskip(NEXT) | instid1(VALU_DEP_1)
	v_min_u32_e32 v1, 32, v1
	v_subrev_nc_u32_e32 v2, 28, v1
	v_sub_nc_u32_e32 v1, 29, v1
	s_delay_alu instid0(VALU_DEP_2) | instskip(NEXT) | instid1(VALU_DEP_1)
	v_lshlrev_b64 v[2:3], v2, v[8:9]
	v_and_b32_e32 v32, 7, v2
; %bb.248:                              ;   in Loop: Header=BB371_11 Depth=1
	s_or_b32 exec_lo, exec_lo, s20
	v_lshlrev_b32_e32 v0, 8, v0
	v_lshl_add_u32 v1, v1, 10, 0x2000
	s_delay_alu instid0(VALU_DEP_1) | instskip(NEXT) | instid1(VALU_DEP_1)
	v_and_or_b32 v0, 0x8000, v0, v1
	v_lshl_or_b32 v0, v32, 7, v0
	s_delay_alu instid0(VALU_DEP_1)
	v_cvt_f32_f16_e32 v119, v0
.LBB371_249:                            ;   in Loop: Header=BB371_11 Depth=1
	s_or_b32 exec_lo, exec_lo, s19
.LBB371_250:                            ;   in Loop: Header=BB371_11 Depth=1
	s_delay_alu instid0(SALU_CYCLE_1)
	s_or_b32 exec_lo, exec_lo, s18
.LBB371_251:                            ;   in Loop: Header=BB371_11 Depth=1
	s_delay_alu instid0(SALU_CYCLE_1) | instskip(SKIP_2) | instid1(VALU_DEP_1)
	s_or_b32 exec_lo, exec_lo, s17
	v_lshrrev_b32_e32 v0, 16, v31
	s_mov_b32 s17, exec_lo
	v_and_b32_e32 v1, 0xff, v0
	s_delay_alu instid0(VALU_DEP_1)
	v_cmpx_ne_u16_e32 0, v1
	s_cbranch_execz .LBB371_259
; %bb.252:                              ;   in Loop: Header=BB371_11 Depth=1
	v_bfrev_b32_e32 v118, 1
	s_mov_b32 s18, exec_lo
	v_cmpx_ne_u16_e32 0x80, v1
	s_cbranch_execz .LBB371_258
; %bb.253:                              ;   in Loop: Header=BB371_11 Depth=1
	v_bfe_u32 v2, v31, 16, 7
	v_mov_b32_e32 v118, 0x7fc02000
	s_mov_b32 s19, exec_lo
	s_delay_alu instid0(VALU_DEP_2)
	v_cmpx_ne_u32_e32 0x7f, v2
	s_cbranch_execz .LBB371_257
; %bb.254:                              ;   in Loop: Header=BB371_11 Depth=1
	v_and_b32_e32 v8, 7, v0
	v_lshrrev_b32_e32 v1, 3, v2
	v_mov_b32_e32 v33, v9
	s_mov_b32 s20, exec_lo
	s_delay_alu instid0(VALU_DEP_3)
	v_mov_b32_e32 v32, v8
	v_cmpx_gt_u32_e32 8, v2
; %bb.255:                              ;   in Loop: Header=BB371_11 Depth=1
	v_clz_i32_u32_e32 v1, v8
	s_delay_alu instid0(VALU_DEP_1) | instskip(NEXT) | instid1(VALU_DEP_1)
	v_min_u32_e32 v1, 32, v1
	v_subrev_nc_u32_e32 v2, 28, v1
	v_sub_nc_u32_e32 v1, 29, v1
	s_delay_alu instid0(VALU_DEP_2) | instskip(NEXT) | instid1(VALU_DEP_1)
	v_lshlrev_b64 v[2:3], v2, v[8:9]
	v_and_b32_e32 v32, 7, v2
; %bb.256:                              ;   in Loop: Header=BB371_11 Depth=1
	s_or_b32 exec_lo, exec_lo, s20
	v_lshlrev_b32_e32 v0, 8, v0
	v_lshl_add_u32 v1, v1, 10, 0x2000
	s_delay_alu instid0(VALU_DEP_1) | instskip(NEXT) | instid1(VALU_DEP_1)
	v_and_or_b32 v0, 0x8000, v0, v1
	v_lshl_or_b32 v0, v32, 7, v0
	s_delay_alu instid0(VALU_DEP_1)
	v_cvt_f32_f16_e32 v118, v0
.LBB371_257:                            ;   in Loop: Header=BB371_11 Depth=1
	s_or_b32 exec_lo, exec_lo, s19
.LBB371_258:                            ;   in Loop: Header=BB371_11 Depth=1
	s_delay_alu instid0(SALU_CYCLE_1)
	s_or_b32 exec_lo, exec_lo, s18
.LBB371_259:                            ;   in Loop: Header=BB371_11 Depth=1
	s_delay_alu instid0(SALU_CYCLE_1)
	s_or_b32 exec_lo, exec_lo, s17
	v_dual_mov_b32 v129, 0 :: v_dual_mov_b32 v128, 0
	s_mov_b32 s17, exec_lo
	v_cmpx_lt_u64_e64 s[2:3], v[30:31]
	s_cbranch_execz .LBB371_267
; %bb.260:                              ;   in Loop: Header=BB371_11 Depth=1
	v_lshrrev_b32_e32 v0, 24, v31
	v_bfrev_b32_e32 v128, 1
	s_mov_b32 s18, exec_lo
	s_delay_alu instid0(VALU_DEP_2)
	v_cmpx_ne_u32_e32 0x80, v0
	s_cbranch_execz .LBB371_266
; %bb.261:                              ;   in Loop: Header=BB371_11 Depth=1
	v_and_b32_e32 v2, 0x7f, v0
	v_mov_b32_e32 v128, 0x7fc02000
	s_mov_b32 s19, exec_lo
	s_delay_alu instid0(VALU_DEP_2)
	v_cmpx_ne_u32_e32 0x7f, v2
	s_cbranch_execz .LBB371_265
; %bb.262:                              ;   in Loop: Header=BB371_11 Depth=1
	v_and_b32_e32 v8, 7, v0
	v_lshrrev_b32_e32 v1, 3, v2
	v_mov_b32_e32 v31, v9
	s_mov_b32 s20, exec_lo
	s_delay_alu instid0(VALU_DEP_3)
	v_mov_b32_e32 v30, v8
	v_cmpx_gt_u32_e32 8, v2
; %bb.263:                              ;   in Loop: Header=BB371_11 Depth=1
	v_clz_i32_u32_e32 v1, v8
	s_delay_alu instid0(VALU_DEP_1) | instskip(NEXT) | instid1(VALU_DEP_1)
	v_min_u32_e32 v1, 32, v1
	v_subrev_nc_u32_e32 v2, 28, v1
	v_sub_nc_u32_e32 v1, 29, v1
	s_delay_alu instid0(VALU_DEP_2) | instskip(NEXT) | instid1(VALU_DEP_1)
	v_lshlrev_b64 v[2:3], v2, v[8:9]
	v_and_b32_e32 v30, 7, v2
; %bb.264:                              ;   in Loop: Header=BB371_11 Depth=1
	s_or_b32 exec_lo, exec_lo, s20
	v_lshlrev_b32_e32 v0, 8, v0
	v_lshl_add_u32 v1, v1, 10, 0x2000
	s_delay_alu instid0(VALU_DEP_1) | instskip(NEXT) | instid1(VALU_DEP_1)
	v_and_or_b32 v0, 0x8000, v0, v1
	v_lshl_or_b32 v0, v30, 7, v0
	s_delay_alu instid0(VALU_DEP_1)
	v_cvt_f32_f16_e64 v128, v0
.LBB371_265:                            ;   in Loop: Header=BB371_11 Depth=1
	s_or_b32 exec_lo, exec_lo, s19
.LBB371_266:                            ;   in Loop: Header=BB371_11 Depth=1
	s_delay_alu instid0(SALU_CYCLE_1)
	s_or_b32 exec_lo, exec_lo, s18
.LBB371_267:                            ;   in Loop: Header=BB371_11 Depth=1
	s_delay_alu instid0(SALU_CYCLE_1) | instskip(SKIP_4) | instid1(VALU_DEP_1)
	s_or_b32 exec_lo, exec_lo, s17
	flat_load_b64 v[30:31], v[28:29] offset:1024
	s_mov_b32 s17, exec_lo
	s_waitcnt vmcnt(0) lgkmcnt(0)
	v_and_b32_e32 v0, 0xff, v30
	v_cmpx_ne_u16_e32 0, v0
	s_cbranch_execz .LBB371_275
; %bb.268:                              ;   in Loop: Header=BB371_11 Depth=1
	v_bfrev_b32_e32 v129, 1
	s_mov_b32 s18, exec_lo
	v_cmpx_ne_u16_e32 0x80, v0
	s_cbranch_execz .LBB371_274
; %bb.269:                              ;   in Loop: Header=BB371_11 Depth=1
	v_and_b32_e32 v1, 0x7f, v30
	v_mov_b32_e32 v129, 0x7fc02000
	s_mov_b32 s19, exec_lo
	s_delay_alu instid0(VALU_DEP_2)
	v_cmpx_ne_u32_e32 0x7f, v1
	s_cbranch_execz .LBB371_273
; %bb.270:                              ;   in Loop: Header=BB371_11 Depth=1
	v_lshrrev_b32_e32 v0, 3, v1
	v_dual_mov_b32 v33, v31 :: v_dual_mov_b32 v32, v30
	s_mov_b32 s20, exec_lo
	v_cmpx_gt_u32_e32 8, v1
; %bb.271:                              ;   in Loop: Header=BB371_11 Depth=1
	v_and_b32_e32 v0, 7, v30
	s_delay_alu instid0(VALU_DEP_1) | instskip(NEXT) | instid1(VALU_DEP_1)
	v_clz_i32_u32_e32 v0, v0
	v_min_u32_e32 v0, 32, v0
	s_delay_alu instid0(VALU_DEP_1) | instskip(SKIP_1) | instid1(VALU_DEP_2)
	v_subrev_nc_u32_e32 v1, 28, v0
	v_sub_nc_u32_e32 v0, 29, v0
	v_lshlrev_b64 v[32:33], v1, v[30:31]
; %bb.272:                              ;   in Loop: Header=BB371_11 Depth=1
	s_or_b32 exec_lo, exec_lo, s20
	v_lshlrev_b32_e32 v1, 8, v30
	s_delay_alu instid0(VALU_DEP_3) | instskip(NEXT) | instid1(VALU_DEP_3)
	v_lshl_add_u32 v0, v0, 10, 0x2000
	v_lshlrev_b32_e32 v2, 7, v32
	s_delay_alu instid0(VALU_DEP_2) | instskip(NEXT) | instid1(VALU_DEP_1)
	v_and_or_b32 v0, 0x8000, v1, v0
	v_and_or_b32 v0, 0x380, v2, v0
	s_delay_alu instid0(VALU_DEP_1)
	v_cvt_f32_f16_e64 v129, v0
.LBB371_273:                            ;   in Loop: Header=BB371_11 Depth=1
	s_or_b32 exec_lo, exec_lo, s19
.LBB371_274:                            ;   in Loop: Header=BB371_11 Depth=1
	s_delay_alu instid0(SALU_CYCLE_1)
	s_or_b32 exec_lo, exec_lo, s18
.LBB371_275:                            ;   in Loop: Header=BB371_11 Depth=1
	s_delay_alu instid0(SALU_CYCLE_1) | instskip(SKIP_3) | instid1(VALU_DEP_2)
	s_or_b32 exec_lo, exec_lo, s17
	v_lshrrev_b16 v0, 8, v30
	v_dual_mov_b32 v130, 0 :: v_dual_mov_b32 v131, 0
	s_mov_b32 s17, exec_lo
	v_cmpx_ne_u16_e32 0, v0
	s_cbranch_execz .LBB371_283
; %bb.276:                              ;   in Loop: Header=BB371_11 Depth=1
	v_bfrev_b32_e32 v131, 1
	s_mov_b32 s18, exec_lo
	v_cmpx_ne_u16_e32 0x80, v0
	s_cbranch_execz .LBB371_282
; %bb.277:                              ;   in Loop: Header=BB371_11 Depth=1
	v_and_b32_e32 v0, 0xffff, v0
	v_mov_b32_e32 v131, 0x7fc02000
	s_mov_b32 s19, exec_lo
	s_delay_alu instid0(VALU_DEP_2) | instskip(NEXT) | instid1(VALU_DEP_1)
	v_and_b32_e32 v2, 0x7f, v0
	v_cmpx_ne_u32_e32 0x7f, v2
	s_cbranch_execz .LBB371_281
; %bb.278:                              ;   in Loop: Header=BB371_11 Depth=1
	v_and_b32_e32 v8, 7, v0
	v_lshrrev_b32_e32 v1, 3, v2
	v_mov_b32_e32 v33, v9
	s_mov_b32 s20, exec_lo
	s_delay_alu instid0(VALU_DEP_3)
	v_mov_b32_e32 v32, v8
	v_cmpx_gt_u32_e32 8, v2
; %bb.279:                              ;   in Loop: Header=BB371_11 Depth=1
	v_clz_i32_u32_e32 v1, v8
	s_delay_alu instid0(VALU_DEP_1) | instskip(NEXT) | instid1(VALU_DEP_1)
	v_min_u32_e32 v1, 32, v1
	v_subrev_nc_u32_e32 v2, 28, v1
	v_sub_nc_u32_e32 v1, 29, v1
	s_delay_alu instid0(VALU_DEP_2) | instskip(NEXT) | instid1(VALU_DEP_1)
	v_lshlrev_b64 v[2:3], v2, v[8:9]
	v_and_b32_e32 v32, 7, v2
; %bb.280:                              ;   in Loop: Header=BB371_11 Depth=1
	s_or_b32 exec_lo, exec_lo, s20
	v_lshlrev_b32_e32 v0, 8, v0
	v_lshl_add_u32 v1, v1, 10, 0x2000
	s_delay_alu instid0(VALU_DEP_1) | instskip(NEXT) | instid1(VALU_DEP_1)
	v_and_or_b32 v0, 0x8000, v0, v1
	v_lshl_or_b32 v0, v32, 7, v0
	s_delay_alu instid0(VALU_DEP_1)
	v_cvt_f32_f16_e64 v131, v0
.LBB371_281:                            ;   in Loop: Header=BB371_11 Depth=1
	s_or_b32 exec_lo, exec_lo, s19
.LBB371_282:                            ;   in Loop: Header=BB371_11 Depth=1
	s_delay_alu instid0(SALU_CYCLE_1)
	s_or_b32 exec_lo, exec_lo, s18
.LBB371_283:                            ;   in Loop: Header=BB371_11 Depth=1
	s_delay_alu instid0(SALU_CYCLE_1) | instskip(SKIP_2) | instid1(VALU_DEP_1)
	s_or_b32 exec_lo, exec_lo, s17
	v_lshrrev_b32_e32 v0, 16, v30
	s_mov_b32 s17, exec_lo
	v_and_b32_e32 v1, 0xff, v0
	s_delay_alu instid0(VALU_DEP_1)
	v_cmpx_ne_u16_e32 0, v1
	s_cbranch_execz .LBB371_291
; %bb.284:                              ;   in Loop: Header=BB371_11 Depth=1
	v_bfrev_b32_e32 v130, 1
	s_mov_b32 s18, exec_lo
	v_cmpx_ne_u16_e32 0x80, v1
	s_cbranch_execz .LBB371_290
; %bb.285:                              ;   in Loop: Header=BB371_11 Depth=1
	v_bfe_u32 v2, v30, 16, 7
	v_mov_b32_e32 v130, 0x7fc02000
	s_mov_b32 s19, exec_lo
	s_delay_alu instid0(VALU_DEP_2)
	v_cmpx_ne_u32_e32 0x7f, v2
	s_cbranch_execz .LBB371_289
; %bb.286:                              ;   in Loop: Header=BB371_11 Depth=1
	v_and_b32_e32 v8, 7, v0
	v_lshrrev_b32_e32 v1, 3, v2
	v_mov_b32_e32 v33, v9
	s_mov_b32 s20, exec_lo
	s_delay_alu instid0(VALU_DEP_3)
	v_mov_b32_e32 v32, v8
	v_cmpx_gt_u32_e32 8, v2
; %bb.287:                              ;   in Loop: Header=BB371_11 Depth=1
	v_clz_i32_u32_e32 v1, v8
	s_delay_alu instid0(VALU_DEP_1) | instskip(NEXT) | instid1(VALU_DEP_1)
	v_min_u32_e32 v1, 32, v1
	v_subrev_nc_u32_e32 v2, 28, v1
	v_sub_nc_u32_e32 v1, 29, v1
	s_delay_alu instid0(VALU_DEP_2) | instskip(NEXT) | instid1(VALU_DEP_1)
	v_lshlrev_b64 v[2:3], v2, v[8:9]
	v_and_b32_e32 v32, 7, v2
; %bb.288:                              ;   in Loop: Header=BB371_11 Depth=1
	s_or_b32 exec_lo, exec_lo, s20
	v_lshlrev_b32_e32 v0, 8, v0
	v_lshl_add_u32 v1, v1, 10, 0x2000
	s_delay_alu instid0(VALU_DEP_1) | instskip(NEXT) | instid1(VALU_DEP_1)
	v_and_or_b32 v0, 0x8000, v0, v1
	v_lshl_or_b32 v0, v32, 7, v0
	s_delay_alu instid0(VALU_DEP_1)
	v_cvt_f32_f16_e64 v130, v0
.LBB371_289:                            ;   in Loop: Header=BB371_11 Depth=1
	s_or_b32 exec_lo, exec_lo, s19
.LBB371_290:                            ;   in Loop: Header=BB371_11 Depth=1
	s_delay_alu instid0(SALU_CYCLE_1)
	s_or_b32 exec_lo, exec_lo, s18
.LBB371_291:                            ;   in Loop: Header=BB371_11 Depth=1
	s_delay_alu instid0(SALU_CYCLE_1)
	s_or_b32 exec_lo, exec_lo, s17
	v_dual_mov_b32 v132, 0 :: v_dual_mov_b32 v133, 0
	s_mov_b32 s17, exec_lo
	v_cmpx_lt_u32_e32 0xffffff, v30
	s_cbranch_execz .LBB371_299
; %bb.292:                              ;   in Loop: Header=BB371_11 Depth=1
	v_lshrrev_b32_e32 v0, 24, v30
	v_bfrev_b32_e32 v133, 1
	s_mov_b32 s18, exec_lo
	s_delay_alu instid0(VALU_DEP_2)
	v_cmpx_ne_u32_e32 0x80, v0
	s_cbranch_execz .LBB371_298
; %bb.293:                              ;   in Loop: Header=BB371_11 Depth=1
	v_and_b32_e32 v2, 0x7f, v0
	v_mov_b32_e32 v133, 0x7fc02000
	s_mov_b32 s19, exec_lo
	s_delay_alu instid0(VALU_DEP_2)
	v_cmpx_ne_u32_e32 0x7f, v2
	s_cbranch_execz .LBB371_297
; %bb.294:                              ;   in Loop: Header=BB371_11 Depth=1
	v_and_b32_e32 v8, 7, v0
	v_lshrrev_b32_e32 v1, 3, v2
	v_mov_b32_e32 v33, v9
	s_mov_b32 s20, exec_lo
	s_delay_alu instid0(VALU_DEP_3)
	v_mov_b32_e32 v32, v8
	v_cmpx_gt_u32_e32 8, v2
; %bb.295:                              ;   in Loop: Header=BB371_11 Depth=1
	v_clz_i32_u32_e32 v1, v8
	s_delay_alu instid0(VALU_DEP_1) | instskip(NEXT) | instid1(VALU_DEP_1)
	v_min_u32_e32 v1, 32, v1
	v_subrev_nc_u32_e32 v2, 28, v1
	v_sub_nc_u32_e32 v1, 29, v1
	s_delay_alu instid0(VALU_DEP_2) | instskip(NEXT) | instid1(VALU_DEP_1)
	v_lshlrev_b64 v[2:3], v2, v[8:9]
	v_and_b32_e32 v32, 7, v2
; %bb.296:                              ;   in Loop: Header=BB371_11 Depth=1
	s_or_b32 exec_lo, exec_lo, s20
	v_lshlrev_b32_e32 v0, 8, v0
	v_lshl_add_u32 v1, v1, 10, 0x2000
	s_delay_alu instid0(VALU_DEP_1) | instskip(NEXT) | instid1(VALU_DEP_1)
	v_and_or_b32 v0, 0x8000, v0, v1
	v_lshl_or_b32 v0, v32, 7, v0
	s_delay_alu instid0(VALU_DEP_1)
	v_cvt_f32_f16_e64 v133, v0
.LBB371_297:                            ;   in Loop: Header=BB371_11 Depth=1
	s_or_b32 exec_lo, exec_lo, s19
.LBB371_298:                            ;   in Loop: Header=BB371_11 Depth=1
	s_delay_alu instid0(SALU_CYCLE_1)
	s_or_b32 exec_lo, exec_lo, s18
.LBB371_299:                            ;   in Loop: Header=BB371_11 Depth=1
	s_delay_alu instid0(SALU_CYCLE_1) | instskip(SKIP_3) | instid1(VALU_DEP_2)
	s_or_b32 exec_lo, exec_lo, s17
	v_and_b32_e32 v0, 0xff, v31
	v_mov_b32_e32 v8, v31
	s_mov_b32 s17, exec_lo
	v_cmpx_ne_u16_e32 0, v0
	s_cbranch_execz .LBB371_307
; %bb.300:                              ;   in Loop: Header=BB371_11 Depth=1
	v_bfrev_b32_e32 v132, 1
	s_mov_b32 s18, exec_lo
	v_cmpx_ne_u16_e32 0x80, v0
	s_cbranch_execz .LBB371_306
; %bb.301:                              ;   in Loop: Header=BB371_11 Depth=1
	v_and_b32_e32 v1, 0x7f, v31
	v_mov_b32_e32 v132, 0x7fc02000
	s_mov_b32 s19, exec_lo
	s_delay_alu instid0(VALU_DEP_2)
	v_cmpx_ne_u32_e32 0x7f, v1
	s_cbranch_execz .LBB371_305
; %bb.302:                              ;   in Loop: Header=BB371_11 Depth=1
	v_lshrrev_b32_e32 v0, 3, v1
	v_dual_mov_b32 v33, v9 :: v_dual_mov_b32 v32, v8
	s_mov_b32 s20, exec_lo
	v_cmpx_gt_u32_e32 8, v1
; %bb.303:                              ;   in Loop: Header=BB371_11 Depth=1
	v_and_b32_e32 v0, 7, v31
	s_delay_alu instid0(VALU_DEP_1) | instskip(NEXT) | instid1(VALU_DEP_1)
	v_clz_i32_u32_e32 v0, v0
	v_min_u32_e32 v0, 32, v0
	s_delay_alu instid0(VALU_DEP_1) | instskip(SKIP_1) | instid1(VALU_DEP_2)
	v_subrev_nc_u32_e32 v1, 28, v0
	v_sub_nc_u32_e32 v0, 29, v0
	v_lshlrev_b64 v[32:33], v1, v[8:9]
; %bb.304:                              ;   in Loop: Header=BB371_11 Depth=1
	s_or_b32 exec_lo, exec_lo, s20
	v_lshlrev_b32_e32 v1, 8, v31
	s_delay_alu instid0(VALU_DEP_3) | instskip(NEXT) | instid1(VALU_DEP_3)
	v_lshl_add_u32 v0, v0, 10, 0x2000
	v_lshlrev_b32_e32 v2, 7, v32
	s_delay_alu instid0(VALU_DEP_2) | instskip(NEXT) | instid1(VALU_DEP_1)
	v_and_or_b32 v0, 0x8000, v1, v0
	v_and_or_b32 v0, 0x380, v2, v0
	s_delay_alu instid0(VALU_DEP_1)
	v_cvt_f32_f16_e64 v132, v0
.LBB371_305:                            ;   in Loop: Header=BB371_11 Depth=1
	s_or_b32 exec_lo, exec_lo, s19
.LBB371_306:                            ;   in Loop: Header=BB371_11 Depth=1
	s_delay_alu instid0(SALU_CYCLE_1)
	s_or_b32 exec_lo, exec_lo, s18
.LBB371_307:                            ;   in Loop: Header=BB371_11 Depth=1
	s_delay_alu instid0(SALU_CYCLE_1) | instskip(SKIP_3) | instid1(VALU_DEP_2)
	s_or_b32 exec_lo, exec_lo, s17
	v_lshrrev_b16 v0, 8, v8
	v_dual_mov_b32 v134, 0 :: v_dual_mov_b32 v135, 0
	s_mov_b32 s17, exec_lo
	v_cmpx_ne_u16_e32 0, v0
	s_cbranch_execz .LBB371_315
; %bb.308:                              ;   in Loop: Header=BB371_11 Depth=1
	v_bfrev_b32_e32 v135, 1
	s_mov_b32 s18, exec_lo
	v_cmpx_ne_u16_e32 0x80, v0
	s_cbranch_execz .LBB371_314
; %bb.309:                              ;   in Loop: Header=BB371_11 Depth=1
	v_and_b32_e32 v0, 0xffff, v0
	v_mov_b32_e32 v135, 0x7fc02000
	s_mov_b32 s19, exec_lo
	s_delay_alu instid0(VALU_DEP_2) | instskip(NEXT) | instid1(VALU_DEP_1)
	v_and_b32_e32 v2, 0x7f, v0
	v_cmpx_ne_u32_e32 0x7f, v2
	s_cbranch_execz .LBB371_313
; %bb.310:                              ;   in Loop: Header=BB371_11 Depth=1
	v_and_b32_e32 v8, 7, v0
	v_lshrrev_b32_e32 v1, 3, v2
	v_mov_b32_e32 v33, v9
	s_mov_b32 s20, exec_lo
	s_delay_alu instid0(VALU_DEP_3)
	v_mov_b32_e32 v32, v8
	v_cmpx_gt_u32_e32 8, v2
; %bb.311:                              ;   in Loop: Header=BB371_11 Depth=1
	v_clz_i32_u32_e32 v1, v8
	s_delay_alu instid0(VALU_DEP_1) | instskip(NEXT) | instid1(VALU_DEP_1)
	v_min_u32_e32 v1, 32, v1
	v_subrev_nc_u32_e32 v2, 28, v1
	v_sub_nc_u32_e32 v1, 29, v1
	s_delay_alu instid0(VALU_DEP_2) | instskip(NEXT) | instid1(VALU_DEP_1)
	v_lshlrev_b64 v[2:3], v2, v[8:9]
	v_and_b32_e32 v32, 7, v2
; %bb.312:                              ;   in Loop: Header=BB371_11 Depth=1
	s_or_b32 exec_lo, exec_lo, s20
	v_lshlrev_b32_e32 v0, 8, v0
	v_lshl_add_u32 v1, v1, 10, 0x2000
	s_delay_alu instid0(VALU_DEP_1) | instskip(NEXT) | instid1(VALU_DEP_1)
	v_and_or_b32 v0, 0x8000, v0, v1
	v_lshl_or_b32 v0, v32, 7, v0
	s_delay_alu instid0(VALU_DEP_1)
	v_cvt_f32_f16_e64 v135, v0
.LBB371_313:                            ;   in Loop: Header=BB371_11 Depth=1
	s_or_b32 exec_lo, exec_lo, s19
.LBB371_314:                            ;   in Loop: Header=BB371_11 Depth=1
	s_delay_alu instid0(SALU_CYCLE_1)
	s_or_b32 exec_lo, exec_lo, s18
.LBB371_315:                            ;   in Loop: Header=BB371_11 Depth=1
	s_delay_alu instid0(SALU_CYCLE_1) | instskip(SKIP_2) | instid1(VALU_DEP_1)
	s_or_b32 exec_lo, exec_lo, s17
	v_lshrrev_b32_e32 v0, 16, v31
	s_mov_b32 s17, exec_lo
	v_and_b32_e32 v1, 0xff, v0
	s_delay_alu instid0(VALU_DEP_1)
	v_cmpx_ne_u16_e32 0, v1
	s_cbranch_execz .LBB371_323
; %bb.316:                              ;   in Loop: Header=BB371_11 Depth=1
	v_bfrev_b32_e32 v134, 1
	s_mov_b32 s18, exec_lo
	v_cmpx_ne_u16_e32 0x80, v1
	s_cbranch_execz .LBB371_322
; %bb.317:                              ;   in Loop: Header=BB371_11 Depth=1
	v_bfe_u32 v2, v31, 16, 7
	v_mov_b32_e32 v134, 0x7fc02000
	s_mov_b32 s19, exec_lo
	s_delay_alu instid0(VALU_DEP_2)
	v_cmpx_ne_u32_e32 0x7f, v2
	s_cbranch_execz .LBB371_321
; %bb.318:                              ;   in Loop: Header=BB371_11 Depth=1
	v_and_b32_e32 v8, 7, v0
	v_lshrrev_b32_e32 v1, 3, v2
	v_mov_b32_e32 v33, v9
	s_mov_b32 s20, exec_lo
	s_delay_alu instid0(VALU_DEP_3)
	v_mov_b32_e32 v32, v8
	v_cmpx_gt_u32_e32 8, v2
; %bb.319:                              ;   in Loop: Header=BB371_11 Depth=1
	v_clz_i32_u32_e32 v1, v8
	s_delay_alu instid0(VALU_DEP_1) | instskip(NEXT) | instid1(VALU_DEP_1)
	v_min_u32_e32 v1, 32, v1
	v_subrev_nc_u32_e32 v2, 28, v1
	v_sub_nc_u32_e32 v1, 29, v1
	s_delay_alu instid0(VALU_DEP_2) | instskip(NEXT) | instid1(VALU_DEP_1)
	v_lshlrev_b64 v[2:3], v2, v[8:9]
	v_and_b32_e32 v32, 7, v2
; %bb.320:                              ;   in Loop: Header=BB371_11 Depth=1
	s_or_b32 exec_lo, exec_lo, s20
	v_lshlrev_b32_e32 v0, 8, v0
	v_lshl_add_u32 v1, v1, 10, 0x2000
	s_delay_alu instid0(VALU_DEP_1) | instskip(NEXT) | instid1(VALU_DEP_1)
	v_and_or_b32 v0, 0x8000, v0, v1
	v_lshl_or_b32 v0, v32, 7, v0
	s_delay_alu instid0(VALU_DEP_1)
	v_cvt_f32_f16_e64 v134, v0
.LBB371_321:                            ;   in Loop: Header=BB371_11 Depth=1
	s_or_b32 exec_lo, exec_lo, s19
.LBB371_322:                            ;   in Loop: Header=BB371_11 Depth=1
	s_delay_alu instid0(SALU_CYCLE_1)
	s_or_b32 exec_lo, exec_lo, s18
.LBB371_323:                            ;   in Loop: Header=BB371_11 Depth=1
	s_delay_alu instid0(SALU_CYCLE_1)
	s_or_b32 exec_lo, exec_lo, s17
	v_dual_mov_b32 v145, 0 :: v_dual_mov_b32 v144, 0
	s_mov_b32 s17, exec_lo
	v_cmpx_lt_u64_e64 s[2:3], v[30:31]
	s_cbranch_execz .LBB371_331
; %bb.324:                              ;   in Loop: Header=BB371_11 Depth=1
	v_lshrrev_b32_e32 v0, 24, v31
	v_bfrev_b32_e32 v144, 1
	s_mov_b32 s18, exec_lo
	s_delay_alu instid0(VALU_DEP_2)
	v_cmpx_ne_u32_e32 0x80, v0
	s_cbranch_execz .LBB371_330
; %bb.325:                              ;   in Loop: Header=BB371_11 Depth=1
	v_and_b32_e32 v2, 0x7f, v0
	v_mov_b32_e32 v144, 0x7fc02000
	s_mov_b32 s19, exec_lo
	s_delay_alu instid0(VALU_DEP_2)
	v_cmpx_ne_u32_e32 0x7f, v2
	s_cbranch_execz .LBB371_329
; %bb.326:                              ;   in Loop: Header=BB371_11 Depth=1
	v_and_b32_e32 v8, 7, v0
	v_lshrrev_b32_e32 v1, 3, v2
	v_mov_b32_e32 v31, v9
	s_mov_b32 s20, exec_lo
	s_delay_alu instid0(VALU_DEP_3)
	v_mov_b32_e32 v30, v8
	v_cmpx_gt_u32_e32 8, v2
; %bb.327:                              ;   in Loop: Header=BB371_11 Depth=1
	v_clz_i32_u32_e32 v1, v8
	s_delay_alu instid0(VALU_DEP_1) | instskip(NEXT) | instid1(VALU_DEP_1)
	v_min_u32_e32 v1, 32, v1
	v_subrev_nc_u32_e32 v2, 28, v1
	v_sub_nc_u32_e32 v1, 29, v1
	s_delay_alu instid0(VALU_DEP_2) | instskip(NEXT) | instid1(VALU_DEP_1)
	v_lshlrev_b64 v[2:3], v2, v[8:9]
	v_and_b32_e32 v30, 7, v2
; %bb.328:                              ;   in Loop: Header=BB371_11 Depth=1
	s_or_b32 exec_lo, exec_lo, s20
	v_lshlrev_b32_e32 v0, 8, v0
	v_lshl_add_u32 v1, v1, 10, 0x2000
	s_delay_alu instid0(VALU_DEP_1) | instskip(NEXT) | instid1(VALU_DEP_1)
	v_and_or_b32 v0, 0x8000, v0, v1
	v_lshl_or_b32 v0, v30, 7, v0
	s_delay_alu instid0(VALU_DEP_1)
	v_cvt_f32_f16_e64 v144, v0
.LBB371_329:                            ;   in Loop: Header=BB371_11 Depth=1
	s_or_b32 exec_lo, exec_lo, s19
.LBB371_330:                            ;   in Loop: Header=BB371_11 Depth=1
	s_delay_alu instid0(SALU_CYCLE_1)
	s_or_b32 exec_lo, exec_lo, s18
.LBB371_331:                            ;   in Loop: Header=BB371_11 Depth=1
	s_delay_alu instid0(SALU_CYCLE_1) | instskip(SKIP_4) | instid1(VALU_DEP_1)
	s_or_b32 exec_lo, exec_lo, s17
	flat_load_b64 v[30:31], v[28:29] offset:1032
	s_mov_b32 s17, exec_lo
	s_waitcnt vmcnt(0) lgkmcnt(0)
	v_and_b32_e32 v0, 0xff, v30
	v_cmpx_ne_u16_e32 0, v0
	s_cbranch_execz .LBB371_339
; %bb.332:                              ;   in Loop: Header=BB371_11 Depth=1
	v_bfrev_b32_e32 v145, 1
	s_mov_b32 s18, exec_lo
	v_cmpx_ne_u16_e32 0x80, v0
	s_cbranch_execz .LBB371_338
; %bb.333:                              ;   in Loop: Header=BB371_11 Depth=1
	v_and_b32_e32 v1, 0x7f, v30
	v_mov_b32_e32 v145, 0x7fc02000
	s_mov_b32 s19, exec_lo
	s_delay_alu instid0(VALU_DEP_2)
	v_cmpx_ne_u32_e32 0x7f, v1
	s_cbranch_execz .LBB371_337
; %bb.334:                              ;   in Loop: Header=BB371_11 Depth=1
	v_lshrrev_b32_e32 v0, 3, v1
	v_dual_mov_b32 v33, v31 :: v_dual_mov_b32 v32, v30
	s_mov_b32 s20, exec_lo
	v_cmpx_gt_u32_e32 8, v1
; %bb.335:                              ;   in Loop: Header=BB371_11 Depth=1
	v_and_b32_e32 v0, 7, v30
	s_delay_alu instid0(VALU_DEP_1) | instskip(NEXT) | instid1(VALU_DEP_1)
	v_clz_i32_u32_e32 v0, v0
	v_min_u32_e32 v0, 32, v0
	s_delay_alu instid0(VALU_DEP_1) | instskip(SKIP_1) | instid1(VALU_DEP_2)
	v_subrev_nc_u32_e32 v1, 28, v0
	v_sub_nc_u32_e32 v0, 29, v0
	v_lshlrev_b64 v[32:33], v1, v[30:31]
; %bb.336:                              ;   in Loop: Header=BB371_11 Depth=1
	s_or_b32 exec_lo, exec_lo, s20
	v_lshlrev_b32_e32 v1, 8, v30
	s_delay_alu instid0(VALU_DEP_3) | instskip(NEXT) | instid1(VALU_DEP_3)
	v_lshl_add_u32 v0, v0, 10, 0x2000
	v_lshlrev_b32_e32 v2, 7, v32
	s_delay_alu instid0(VALU_DEP_2) | instskip(NEXT) | instid1(VALU_DEP_1)
	v_and_or_b32 v0, 0x8000, v1, v0
	v_and_or_b32 v0, 0x380, v2, v0
	s_delay_alu instid0(VALU_DEP_1)
	v_cvt_f32_f16_e64 v145, v0
.LBB371_337:                            ;   in Loop: Header=BB371_11 Depth=1
	s_or_b32 exec_lo, exec_lo, s19
.LBB371_338:                            ;   in Loop: Header=BB371_11 Depth=1
	s_delay_alu instid0(SALU_CYCLE_1)
	s_or_b32 exec_lo, exec_lo, s18
.LBB371_339:                            ;   in Loop: Header=BB371_11 Depth=1
	s_delay_alu instid0(SALU_CYCLE_1) | instskip(SKIP_3) | instid1(VALU_DEP_2)
	s_or_b32 exec_lo, exec_lo, s17
	v_lshrrev_b16 v0, 8, v30
	v_dual_mov_b32 v146, 0 :: v_dual_mov_b32 v147, 0
	s_mov_b32 s17, exec_lo
	v_cmpx_ne_u16_e32 0, v0
	s_cbranch_execz .LBB371_347
; %bb.340:                              ;   in Loop: Header=BB371_11 Depth=1
	v_bfrev_b32_e32 v147, 1
	s_mov_b32 s18, exec_lo
	v_cmpx_ne_u16_e32 0x80, v0
	s_cbranch_execz .LBB371_346
; %bb.341:                              ;   in Loop: Header=BB371_11 Depth=1
	v_and_b32_e32 v0, 0xffff, v0
	v_mov_b32_e32 v147, 0x7fc02000
	s_mov_b32 s19, exec_lo
	s_delay_alu instid0(VALU_DEP_2) | instskip(NEXT) | instid1(VALU_DEP_1)
	v_and_b32_e32 v2, 0x7f, v0
	v_cmpx_ne_u32_e32 0x7f, v2
	s_cbranch_execz .LBB371_345
; %bb.342:                              ;   in Loop: Header=BB371_11 Depth=1
	v_and_b32_e32 v8, 7, v0
	v_lshrrev_b32_e32 v1, 3, v2
	v_mov_b32_e32 v33, v9
	s_mov_b32 s20, exec_lo
	s_delay_alu instid0(VALU_DEP_3)
	v_mov_b32_e32 v32, v8
	v_cmpx_gt_u32_e32 8, v2
; %bb.343:                              ;   in Loop: Header=BB371_11 Depth=1
	v_clz_i32_u32_e32 v1, v8
	s_delay_alu instid0(VALU_DEP_1) | instskip(NEXT) | instid1(VALU_DEP_1)
	v_min_u32_e32 v1, 32, v1
	v_subrev_nc_u32_e32 v2, 28, v1
	v_sub_nc_u32_e32 v1, 29, v1
	s_delay_alu instid0(VALU_DEP_2) | instskip(NEXT) | instid1(VALU_DEP_1)
	v_lshlrev_b64 v[2:3], v2, v[8:9]
	v_and_b32_e32 v32, 7, v2
; %bb.344:                              ;   in Loop: Header=BB371_11 Depth=1
	s_or_b32 exec_lo, exec_lo, s20
	v_lshlrev_b32_e32 v0, 8, v0
	v_lshl_add_u32 v1, v1, 10, 0x2000
	s_delay_alu instid0(VALU_DEP_1) | instskip(NEXT) | instid1(VALU_DEP_1)
	v_and_or_b32 v0, 0x8000, v0, v1
	v_lshl_or_b32 v0, v32, 7, v0
	s_delay_alu instid0(VALU_DEP_1)
	v_cvt_f32_f16_e64 v147, v0
.LBB371_345:                            ;   in Loop: Header=BB371_11 Depth=1
	s_or_b32 exec_lo, exec_lo, s19
.LBB371_346:                            ;   in Loop: Header=BB371_11 Depth=1
	s_delay_alu instid0(SALU_CYCLE_1)
	s_or_b32 exec_lo, exec_lo, s18
.LBB371_347:                            ;   in Loop: Header=BB371_11 Depth=1
	s_delay_alu instid0(SALU_CYCLE_1) | instskip(SKIP_2) | instid1(VALU_DEP_1)
	s_or_b32 exec_lo, exec_lo, s17
	v_lshrrev_b32_e32 v0, 16, v30
	s_mov_b32 s17, exec_lo
	v_and_b32_e32 v1, 0xff, v0
	s_delay_alu instid0(VALU_DEP_1)
	v_cmpx_ne_u16_e32 0, v1
	s_cbranch_execz .LBB371_355
; %bb.348:                              ;   in Loop: Header=BB371_11 Depth=1
	v_bfrev_b32_e32 v146, 1
	s_mov_b32 s18, exec_lo
	v_cmpx_ne_u16_e32 0x80, v1
	s_cbranch_execz .LBB371_354
; %bb.349:                              ;   in Loop: Header=BB371_11 Depth=1
	v_bfe_u32 v2, v30, 16, 7
	v_mov_b32_e32 v146, 0x7fc02000
	s_mov_b32 s19, exec_lo
	s_delay_alu instid0(VALU_DEP_2)
	v_cmpx_ne_u32_e32 0x7f, v2
	s_cbranch_execz .LBB371_353
; %bb.350:                              ;   in Loop: Header=BB371_11 Depth=1
	v_and_b32_e32 v8, 7, v0
	v_lshrrev_b32_e32 v1, 3, v2
	v_mov_b32_e32 v33, v9
	s_mov_b32 s20, exec_lo
	s_delay_alu instid0(VALU_DEP_3)
	v_mov_b32_e32 v32, v8
	v_cmpx_gt_u32_e32 8, v2
; %bb.351:                              ;   in Loop: Header=BB371_11 Depth=1
	v_clz_i32_u32_e32 v1, v8
	s_delay_alu instid0(VALU_DEP_1) | instskip(NEXT) | instid1(VALU_DEP_1)
	v_min_u32_e32 v1, 32, v1
	v_subrev_nc_u32_e32 v2, 28, v1
	v_sub_nc_u32_e32 v1, 29, v1
	s_delay_alu instid0(VALU_DEP_2) | instskip(NEXT) | instid1(VALU_DEP_1)
	v_lshlrev_b64 v[2:3], v2, v[8:9]
	v_and_b32_e32 v32, 7, v2
; %bb.352:                              ;   in Loop: Header=BB371_11 Depth=1
	s_or_b32 exec_lo, exec_lo, s20
	v_lshlrev_b32_e32 v0, 8, v0
	v_lshl_add_u32 v1, v1, 10, 0x2000
	s_delay_alu instid0(VALU_DEP_1) | instskip(NEXT) | instid1(VALU_DEP_1)
	v_and_or_b32 v0, 0x8000, v0, v1
	v_lshl_or_b32 v0, v32, 7, v0
	s_delay_alu instid0(VALU_DEP_1)
	v_cvt_f32_f16_e64 v146, v0
.LBB371_353:                            ;   in Loop: Header=BB371_11 Depth=1
	s_or_b32 exec_lo, exec_lo, s19
.LBB371_354:                            ;   in Loop: Header=BB371_11 Depth=1
	s_delay_alu instid0(SALU_CYCLE_1)
	s_or_b32 exec_lo, exec_lo, s18
.LBB371_355:                            ;   in Loop: Header=BB371_11 Depth=1
	s_delay_alu instid0(SALU_CYCLE_1)
	s_or_b32 exec_lo, exec_lo, s17
	v_dual_mov_b32 v148, 0 :: v_dual_mov_b32 v149, 0
	s_mov_b32 s17, exec_lo
	v_cmpx_lt_u32_e32 0xffffff, v30
	s_cbranch_execz .LBB371_363
; %bb.356:                              ;   in Loop: Header=BB371_11 Depth=1
	v_lshrrev_b32_e32 v0, 24, v30
	v_bfrev_b32_e32 v149, 1
	s_mov_b32 s18, exec_lo
	s_delay_alu instid0(VALU_DEP_2)
	v_cmpx_ne_u32_e32 0x80, v0
	s_cbranch_execz .LBB371_362
; %bb.357:                              ;   in Loop: Header=BB371_11 Depth=1
	v_and_b32_e32 v2, 0x7f, v0
	v_mov_b32_e32 v149, 0x7fc02000
	s_mov_b32 s19, exec_lo
	s_delay_alu instid0(VALU_DEP_2)
	v_cmpx_ne_u32_e32 0x7f, v2
	s_cbranch_execz .LBB371_361
; %bb.358:                              ;   in Loop: Header=BB371_11 Depth=1
	v_and_b32_e32 v8, 7, v0
	v_lshrrev_b32_e32 v1, 3, v2
	v_mov_b32_e32 v33, v9
	s_mov_b32 s20, exec_lo
	s_delay_alu instid0(VALU_DEP_3)
	v_mov_b32_e32 v32, v8
	v_cmpx_gt_u32_e32 8, v2
; %bb.359:                              ;   in Loop: Header=BB371_11 Depth=1
	v_clz_i32_u32_e32 v1, v8
	s_delay_alu instid0(VALU_DEP_1) | instskip(NEXT) | instid1(VALU_DEP_1)
	v_min_u32_e32 v1, 32, v1
	v_subrev_nc_u32_e32 v2, 28, v1
	v_sub_nc_u32_e32 v1, 29, v1
	s_delay_alu instid0(VALU_DEP_2) | instskip(NEXT) | instid1(VALU_DEP_1)
	v_lshlrev_b64 v[2:3], v2, v[8:9]
	v_and_b32_e32 v32, 7, v2
; %bb.360:                              ;   in Loop: Header=BB371_11 Depth=1
	s_or_b32 exec_lo, exec_lo, s20
	v_lshlrev_b32_e32 v0, 8, v0
	v_lshl_add_u32 v1, v1, 10, 0x2000
	s_delay_alu instid0(VALU_DEP_1) | instskip(NEXT) | instid1(VALU_DEP_1)
	v_and_or_b32 v0, 0x8000, v0, v1
	v_lshl_or_b32 v0, v32, 7, v0
	s_delay_alu instid0(VALU_DEP_1)
	v_cvt_f32_f16_e64 v149, v0
.LBB371_361:                            ;   in Loop: Header=BB371_11 Depth=1
	s_or_b32 exec_lo, exec_lo, s19
.LBB371_362:                            ;   in Loop: Header=BB371_11 Depth=1
	s_delay_alu instid0(SALU_CYCLE_1)
	s_or_b32 exec_lo, exec_lo, s18
.LBB371_363:                            ;   in Loop: Header=BB371_11 Depth=1
	s_delay_alu instid0(SALU_CYCLE_1) | instskip(SKIP_3) | instid1(VALU_DEP_2)
	s_or_b32 exec_lo, exec_lo, s17
	v_and_b32_e32 v0, 0xff, v31
	v_mov_b32_e32 v8, v31
	s_mov_b32 s17, exec_lo
	v_cmpx_ne_u16_e32 0, v0
	s_cbranch_execz .LBB371_371
; %bb.364:                              ;   in Loop: Header=BB371_11 Depth=1
	v_bfrev_b32_e32 v148, 1
	s_mov_b32 s18, exec_lo
	v_cmpx_ne_u16_e32 0x80, v0
	s_cbranch_execz .LBB371_370
; %bb.365:                              ;   in Loop: Header=BB371_11 Depth=1
	v_and_b32_e32 v1, 0x7f, v31
	v_mov_b32_e32 v148, 0x7fc02000
	s_mov_b32 s19, exec_lo
	s_delay_alu instid0(VALU_DEP_2)
	v_cmpx_ne_u32_e32 0x7f, v1
	s_cbranch_execz .LBB371_369
; %bb.366:                              ;   in Loop: Header=BB371_11 Depth=1
	v_lshrrev_b32_e32 v0, 3, v1
	v_dual_mov_b32 v33, v9 :: v_dual_mov_b32 v32, v8
	s_mov_b32 s20, exec_lo
	v_cmpx_gt_u32_e32 8, v1
; %bb.367:                              ;   in Loop: Header=BB371_11 Depth=1
	v_and_b32_e32 v0, 7, v31
	s_delay_alu instid0(VALU_DEP_1) | instskip(NEXT) | instid1(VALU_DEP_1)
	v_clz_i32_u32_e32 v0, v0
	v_min_u32_e32 v0, 32, v0
	s_delay_alu instid0(VALU_DEP_1) | instskip(SKIP_1) | instid1(VALU_DEP_2)
	v_subrev_nc_u32_e32 v1, 28, v0
	v_sub_nc_u32_e32 v0, 29, v0
	v_lshlrev_b64 v[32:33], v1, v[8:9]
; %bb.368:                              ;   in Loop: Header=BB371_11 Depth=1
	s_or_b32 exec_lo, exec_lo, s20
	v_lshlrev_b32_e32 v1, 8, v31
	s_delay_alu instid0(VALU_DEP_3) | instskip(NEXT) | instid1(VALU_DEP_3)
	v_lshl_add_u32 v0, v0, 10, 0x2000
	v_lshlrev_b32_e32 v2, 7, v32
	s_delay_alu instid0(VALU_DEP_2) | instskip(NEXT) | instid1(VALU_DEP_1)
	v_and_or_b32 v0, 0x8000, v1, v0
	v_and_or_b32 v0, 0x380, v2, v0
	s_delay_alu instid0(VALU_DEP_1)
	v_cvt_f32_f16_e64 v148, v0
.LBB371_369:                            ;   in Loop: Header=BB371_11 Depth=1
	s_or_b32 exec_lo, exec_lo, s19
.LBB371_370:                            ;   in Loop: Header=BB371_11 Depth=1
	s_delay_alu instid0(SALU_CYCLE_1)
	s_or_b32 exec_lo, exec_lo, s18
.LBB371_371:                            ;   in Loop: Header=BB371_11 Depth=1
	s_delay_alu instid0(SALU_CYCLE_1) | instskip(SKIP_3) | instid1(VALU_DEP_2)
	s_or_b32 exec_lo, exec_lo, s17
	v_lshrrev_b16 v0, 8, v8
	v_dual_mov_b32 v150, 0 :: v_dual_mov_b32 v151, 0
	s_mov_b32 s17, exec_lo
	v_cmpx_ne_u16_e32 0, v0
	s_cbranch_execz .LBB371_379
; %bb.372:                              ;   in Loop: Header=BB371_11 Depth=1
	v_bfrev_b32_e32 v151, 1
	s_mov_b32 s18, exec_lo
	v_cmpx_ne_u16_e32 0x80, v0
	s_cbranch_execz .LBB371_378
; %bb.373:                              ;   in Loop: Header=BB371_11 Depth=1
	v_and_b32_e32 v0, 0xffff, v0
	v_mov_b32_e32 v151, 0x7fc02000
	s_mov_b32 s19, exec_lo
	s_delay_alu instid0(VALU_DEP_2) | instskip(NEXT) | instid1(VALU_DEP_1)
	v_and_b32_e32 v2, 0x7f, v0
	v_cmpx_ne_u32_e32 0x7f, v2
	s_cbranch_execz .LBB371_377
; %bb.374:                              ;   in Loop: Header=BB371_11 Depth=1
	v_and_b32_e32 v8, 7, v0
	v_lshrrev_b32_e32 v1, 3, v2
	v_mov_b32_e32 v33, v9
	s_mov_b32 s20, exec_lo
	s_delay_alu instid0(VALU_DEP_3)
	v_mov_b32_e32 v32, v8
	v_cmpx_gt_u32_e32 8, v2
; %bb.375:                              ;   in Loop: Header=BB371_11 Depth=1
	v_clz_i32_u32_e32 v1, v8
	s_delay_alu instid0(VALU_DEP_1) | instskip(NEXT) | instid1(VALU_DEP_1)
	v_min_u32_e32 v1, 32, v1
	v_subrev_nc_u32_e32 v2, 28, v1
	v_sub_nc_u32_e32 v1, 29, v1
	s_delay_alu instid0(VALU_DEP_2) | instskip(NEXT) | instid1(VALU_DEP_1)
	v_lshlrev_b64 v[2:3], v2, v[8:9]
	v_and_b32_e32 v32, 7, v2
; %bb.376:                              ;   in Loop: Header=BB371_11 Depth=1
	s_or_b32 exec_lo, exec_lo, s20
	v_lshlrev_b32_e32 v0, 8, v0
	v_lshl_add_u32 v1, v1, 10, 0x2000
	s_delay_alu instid0(VALU_DEP_1) | instskip(NEXT) | instid1(VALU_DEP_1)
	v_and_or_b32 v0, 0x8000, v0, v1
	v_lshl_or_b32 v0, v32, 7, v0
	s_delay_alu instid0(VALU_DEP_1)
	v_cvt_f32_f16_e64 v151, v0
.LBB371_377:                            ;   in Loop: Header=BB371_11 Depth=1
	s_or_b32 exec_lo, exec_lo, s19
.LBB371_378:                            ;   in Loop: Header=BB371_11 Depth=1
	s_delay_alu instid0(SALU_CYCLE_1)
	s_or_b32 exec_lo, exec_lo, s18
.LBB371_379:                            ;   in Loop: Header=BB371_11 Depth=1
	s_delay_alu instid0(SALU_CYCLE_1) | instskip(SKIP_2) | instid1(VALU_DEP_1)
	s_or_b32 exec_lo, exec_lo, s17
	v_lshrrev_b32_e32 v0, 16, v31
	s_mov_b32 s17, exec_lo
	v_and_b32_e32 v1, 0xff, v0
	s_delay_alu instid0(VALU_DEP_1)
	v_cmpx_ne_u16_e32 0, v1
	s_cbranch_execz .LBB371_387
; %bb.380:                              ;   in Loop: Header=BB371_11 Depth=1
	v_bfrev_b32_e32 v150, 1
	s_mov_b32 s18, exec_lo
	v_cmpx_ne_u16_e32 0x80, v1
	s_cbranch_execz .LBB371_386
; %bb.381:                              ;   in Loop: Header=BB371_11 Depth=1
	v_bfe_u32 v2, v31, 16, 7
	v_mov_b32_e32 v150, 0x7fc02000
	s_mov_b32 s19, exec_lo
	s_delay_alu instid0(VALU_DEP_2)
	v_cmpx_ne_u32_e32 0x7f, v2
	s_cbranch_execz .LBB371_385
; %bb.382:                              ;   in Loop: Header=BB371_11 Depth=1
	v_and_b32_e32 v8, 7, v0
	v_lshrrev_b32_e32 v1, 3, v2
	v_mov_b32_e32 v33, v9
	s_mov_b32 s20, exec_lo
	s_delay_alu instid0(VALU_DEP_3)
	v_mov_b32_e32 v32, v8
	v_cmpx_gt_u32_e32 8, v2
; %bb.383:                              ;   in Loop: Header=BB371_11 Depth=1
	v_clz_i32_u32_e32 v1, v8
	s_delay_alu instid0(VALU_DEP_1) | instskip(NEXT) | instid1(VALU_DEP_1)
	v_min_u32_e32 v1, 32, v1
	v_subrev_nc_u32_e32 v2, 28, v1
	v_sub_nc_u32_e32 v1, 29, v1
	s_delay_alu instid0(VALU_DEP_2) | instskip(NEXT) | instid1(VALU_DEP_1)
	v_lshlrev_b64 v[2:3], v2, v[8:9]
	v_and_b32_e32 v32, 7, v2
; %bb.384:                              ;   in Loop: Header=BB371_11 Depth=1
	s_or_b32 exec_lo, exec_lo, s20
	v_lshlrev_b32_e32 v0, 8, v0
	v_lshl_add_u32 v1, v1, 10, 0x2000
	s_delay_alu instid0(VALU_DEP_1) | instskip(NEXT) | instid1(VALU_DEP_1)
	v_and_or_b32 v0, 0x8000, v0, v1
	v_lshl_or_b32 v0, v32, 7, v0
	s_delay_alu instid0(VALU_DEP_1)
	v_cvt_f32_f16_e64 v150, v0
.LBB371_385:                            ;   in Loop: Header=BB371_11 Depth=1
	s_or_b32 exec_lo, exec_lo, s19
.LBB371_386:                            ;   in Loop: Header=BB371_11 Depth=1
	s_delay_alu instid0(SALU_CYCLE_1)
	s_or_b32 exec_lo, exec_lo, s18
.LBB371_387:                            ;   in Loop: Header=BB371_11 Depth=1
	s_delay_alu instid0(SALU_CYCLE_1)
	s_or_b32 exec_lo, exec_lo, s17
	v_dual_mov_b32 v161, 0 :: v_dual_mov_b32 v160, 0
	s_mov_b32 s17, exec_lo
	v_cmpx_lt_u64_e64 s[2:3], v[30:31]
	s_cbranch_execz .LBB371_395
; %bb.388:                              ;   in Loop: Header=BB371_11 Depth=1
	v_lshrrev_b32_e32 v0, 24, v31
	v_bfrev_b32_e32 v160, 1
	s_mov_b32 s18, exec_lo
	s_delay_alu instid0(VALU_DEP_2)
	v_cmpx_ne_u32_e32 0x80, v0
	s_cbranch_execz .LBB371_394
; %bb.389:                              ;   in Loop: Header=BB371_11 Depth=1
	v_and_b32_e32 v2, 0x7f, v0
	v_mov_b32_e32 v160, 0x7fc02000
	s_mov_b32 s19, exec_lo
	s_delay_alu instid0(VALU_DEP_2)
	v_cmpx_ne_u32_e32 0x7f, v2
	s_cbranch_execz .LBB371_393
; %bb.390:                              ;   in Loop: Header=BB371_11 Depth=1
	v_and_b32_e32 v8, 7, v0
	v_lshrrev_b32_e32 v1, 3, v2
	v_mov_b32_e32 v31, v9
	s_mov_b32 s20, exec_lo
	s_delay_alu instid0(VALU_DEP_3)
	v_mov_b32_e32 v30, v8
	v_cmpx_gt_u32_e32 8, v2
; %bb.391:                              ;   in Loop: Header=BB371_11 Depth=1
	v_clz_i32_u32_e32 v1, v8
	s_delay_alu instid0(VALU_DEP_1) | instskip(NEXT) | instid1(VALU_DEP_1)
	v_min_u32_e32 v1, 32, v1
	v_subrev_nc_u32_e32 v2, 28, v1
	v_sub_nc_u32_e32 v1, 29, v1
	s_delay_alu instid0(VALU_DEP_2) | instskip(NEXT) | instid1(VALU_DEP_1)
	v_lshlrev_b64 v[2:3], v2, v[8:9]
	v_and_b32_e32 v30, 7, v2
; %bb.392:                              ;   in Loop: Header=BB371_11 Depth=1
	s_or_b32 exec_lo, exec_lo, s20
	v_lshlrev_b32_e32 v0, 8, v0
	v_lshl_add_u32 v1, v1, 10, 0x2000
	s_delay_alu instid0(VALU_DEP_1) | instskip(NEXT) | instid1(VALU_DEP_1)
	v_and_or_b32 v0, 0x8000, v0, v1
	v_lshl_or_b32 v0, v30, 7, v0
	s_delay_alu instid0(VALU_DEP_1)
	v_cvt_f32_f16_e64 v160, v0
.LBB371_393:                            ;   in Loop: Header=BB371_11 Depth=1
	s_or_b32 exec_lo, exec_lo, s19
.LBB371_394:                            ;   in Loop: Header=BB371_11 Depth=1
	s_delay_alu instid0(SALU_CYCLE_1)
	s_or_b32 exec_lo, exec_lo, s18
.LBB371_395:                            ;   in Loop: Header=BB371_11 Depth=1
	s_delay_alu instid0(SALU_CYCLE_1) | instskip(SKIP_4) | instid1(VALU_DEP_1)
	s_or_b32 exec_lo, exec_lo, s17
	flat_load_b64 v[30:31], v[28:29] offset:1536
	s_mov_b32 s17, exec_lo
	s_waitcnt vmcnt(0) lgkmcnt(0)
	v_and_b32_e32 v0, 0xff, v30
	v_cmpx_ne_u16_e32 0, v0
	s_cbranch_execz .LBB371_403
; %bb.396:                              ;   in Loop: Header=BB371_11 Depth=1
	v_bfrev_b32_e32 v161, 1
	s_mov_b32 s18, exec_lo
	v_cmpx_ne_u16_e32 0x80, v0
	s_cbranch_execz .LBB371_402
; %bb.397:                              ;   in Loop: Header=BB371_11 Depth=1
	v_and_b32_e32 v1, 0x7f, v30
	v_mov_b32_e32 v161, 0x7fc02000
	s_mov_b32 s19, exec_lo
	s_delay_alu instid0(VALU_DEP_2)
	v_cmpx_ne_u32_e32 0x7f, v1
	s_cbranch_execz .LBB371_401
; %bb.398:                              ;   in Loop: Header=BB371_11 Depth=1
	v_lshrrev_b32_e32 v0, 3, v1
	v_dual_mov_b32 v33, v31 :: v_dual_mov_b32 v32, v30
	s_mov_b32 s20, exec_lo
	v_cmpx_gt_u32_e32 8, v1
; %bb.399:                              ;   in Loop: Header=BB371_11 Depth=1
	v_and_b32_e32 v0, 7, v30
	s_delay_alu instid0(VALU_DEP_1) | instskip(NEXT) | instid1(VALU_DEP_1)
	v_clz_i32_u32_e32 v0, v0
	v_min_u32_e32 v0, 32, v0
	s_delay_alu instid0(VALU_DEP_1) | instskip(SKIP_1) | instid1(VALU_DEP_2)
	v_subrev_nc_u32_e32 v1, 28, v0
	v_sub_nc_u32_e32 v0, 29, v0
	v_lshlrev_b64 v[32:33], v1, v[30:31]
; %bb.400:                              ;   in Loop: Header=BB371_11 Depth=1
	s_or_b32 exec_lo, exec_lo, s20
	v_lshlrev_b32_e32 v1, 8, v30
	s_delay_alu instid0(VALU_DEP_3) | instskip(NEXT) | instid1(VALU_DEP_3)
	v_lshl_add_u32 v0, v0, 10, 0x2000
	v_lshlrev_b32_e32 v2, 7, v32
	s_delay_alu instid0(VALU_DEP_2) | instskip(NEXT) | instid1(VALU_DEP_1)
	v_and_or_b32 v0, 0x8000, v1, v0
	v_and_or_b32 v0, 0x380, v2, v0
	s_delay_alu instid0(VALU_DEP_1)
	v_cvt_f32_f16_e64 v161, v0
.LBB371_401:                            ;   in Loop: Header=BB371_11 Depth=1
	s_or_b32 exec_lo, exec_lo, s19
.LBB371_402:                            ;   in Loop: Header=BB371_11 Depth=1
	s_delay_alu instid0(SALU_CYCLE_1)
	s_or_b32 exec_lo, exec_lo, s18
.LBB371_403:                            ;   in Loop: Header=BB371_11 Depth=1
	s_delay_alu instid0(SALU_CYCLE_1) | instskip(SKIP_3) | instid1(VALU_DEP_2)
	s_or_b32 exec_lo, exec_lo, s17
	v_lshrrev_b16 v0, 8, v30
	v_dual_mov_b32 v162, 0 :: v_dual_mov_b32 v163, 0
	s_mov_b32 s17, exec_lo
	v_cmpx_ne_u16_e32 0, v0
	s_cbranch_execz .LBB371_411
; %bb.404:                              ;   in Loop: Header=BB371_11 Depth=1
	v_bfrev_b32_e32 v163, 1
	s_mov_b32 s18, exec_lo
	v_cmpx_ne_u16_e32 0x80, v0
	s_cbranch_execz .LBB371_410
; %bb.405:                              ;   in Loop: Header=BB371_11 Depth=1
	v_and_b32_e32 v0, 0xffff, v0
	v_mov_b32_e32 v163, 0x7fc02000
	s_mov_b32 s19, exec_lo
	s_delay_alu instid0(VALU_DEP_2) | instskip(NEXT) | instid1(VALU_DEP_1)
	v_and_b32_e32 v2, 0x7f, v0
	v_cmpx_ne_u32_e32 0x7f, v2
	s_cbranch_execz .LBB371_409
; %bb.406:                              ;   in Loop: Header=BB371_11 Depth=1
	v_and_b32_e32 v8, 7, v0
	v_lshrrev_b32_e32 v1, 3, v2
	v_mov_b32_e32 v33, v9
	s_mov_b32 s20, exec_lo
	s_delay_alu instid0(VALU_DEP_3)
	v_mov_b32_e32 v32, v8
	v_cmpx_gt_u32_e32 8, v2
; %bb.407:                              ;   in Loop: Header=BB371_11 Depth=1
	v_clz_i32_u32_e32 v1, v8
	s_delay_alu instid0(VALU_DEP_1) | instskip(NEXT) | instid1(VALU_DEP_1)
	v_min_u32_e32 v1, 32, v1
	v_subrev_nc_u32_e32 v2, 28, v1
	v_sub_nc_u32_e32 v1, 29, v1
	s_delay_alu instid0(VALU_DEP_2) | instskip(NEXT) | instid1(VALU_DEP_1)
	v_lshlrev_b64 v[2:3], v2, v[8:9]
	v_and_b32_e32 v32, 7, v2
; %bb.408:                              ;   in Loop: Header=BB371_11 Depth=1
	s_or_b32 exec_lo, exec_lo, s20
	v_lshlrev_b32_e32 v0, 8, v0
	v_lshl_add_u32 v1, v1, 10, 0x2000
	s_delay_alu instid0(VALU_DEP_1) | instskip(NEXT) | instid1(VALU_DEP_1)
	v_and_or_b32 v0, 0x8000, v0, v1
	v_lshl_or_b32 v0, v32, 7, v0
	s_delay_alu instid0(VALU_DEP_1)
	v_cvt_f32_f16_e64 v163, v0
.LBB371_409:                            ;   in Loop: Header=BB371_11 Depth=1
	s_or_b32 exec_lo, exec_lo, s19
.LBB371_410:                            ;   in Loop: Header=BB371_11 Depth=1
	s_delay_alu instid0(SALU_CYCLE_1)
	s_or_b32 exec_lo, exec_lo, s18
.LBB371_411:                            ;   in Loop: Header=BB371_11 Depth=1
	s_delay_alu instid0(SALU_CYCLE_1) | instskip(SKIP_2) | instid1(VALU_DEP_1)
	s_or_b32 exec_lo, exec_lo, s17
	v_lshrrev_b32_e32 v0, 16, v30
	s_mov_b32 s17, exec_lo
	v_and_b32_e32 v1, 0xff, v0
	s_delay_alu instid0(VALU_DEP_1)
	v_cmpx_ne_u16_e32 0, v1
	s_cbranch_execz .LBB371_419
; %bb.412:                              ;   in Loop: Header=BB371_11 Depth=1
	v_bfrev_b32_e32 v162, 1
	s_mov_b32 s18, exec_lo
	v_cmpx_ne_u16_e32 0x80, v1
	s_cbranch_execz .LBB371_418
; %bb.413:                              ;   in Loop: Header=BB371_11 Depth=1
	v_bfe_u32 v2, v30, 16, 7
	v_mov_b32_e32 v162, 0x7fc02000
	s_mov_b32 s19, exec_lo
	s_delay_alu instid0(VALU_DEP_2)
	v_cmpx_ne_u32_e32 0x7f, v2
	s_cbranch_execz .LBB371_417
; %bb.414:                              ;   in Loop: Header=BB371_11 Depth=1
	v_and_b32_e32 v8, 7, v0
	v_lshrrev_b32_e32 v1, 3, v2
	v_mov_b32_e32 v33, v9
	s_mov_b32 s20, exec_lo
	s_delay_alu instid0(VALU_DEP_3)
	v_mov_b32_e32 v32, v8
	v_cmpx_gt_u32_e32 8, v2
; %bb.415:                              ;   in Loop: Header=BB371_11 Depth=1
	v_clz_i32_u32_e32 v1, v8
	s_delay_alu instid0(VALU_DEP_1) | instskip(NEXT) | instid1(VALU_DEP_1)
	v_min_u32_e32 v1, 32, v1
	v_subrev_nc_u32_e32 v2, 28, v1
	v_sub_nc_u32_e32 v1, 29, v1
	s_delay_alu instid0(VALU_DEP_2) | instskip(NEXT) | instid1(VALU_DEP_1)
	v_lshlrev_b64 v[2:3], v2, v[8:9]
	v_and_b32_e32 v32, 7, v2
; %bb.416:                              ;   in Loop: Header=BB371_11 Depth=1
	s_or_b32 exec_lo, exec_lo, s20
	v_lshlrev_b32_e32 v0, 8, v0
	v_lshl_add_u32 v1, v1, 10, 0x2000
	s_delay_alu instid0(VALU_DEP_1) | instskip(NEXT) | instid1(VALU_DEP_1)
	v_and_or_b32 v0, 0x8000, v0, v1
	v_lshl_or_b32 v0, v32, 7, v0
	s_delay_alu instid0(VALU_DEP_1)
	v_cvt_f32_f16_e64 v162, v0
.LBB371_417:                            ;   in Loop: Header=BB371_11 Depth=1
	s_or_b32 exec_lo, exec_lo, s19
.LBB371_418:                            ;   in Loop: Header=BB371_11 Depth=1
	s_delay_alu instid0(SALU_CYCLE_1)
	s_or_b32 exec_lo, exec_lo, s18
.LBB371_419:                            ;   in Loop: Header=BB371_11 Depth=1
	s_delay_alu instid0(SALU_CYCLE_1)
	s_or_b32 exec_lo, exec_lo, s17
	v_dual_mov_b32 v164, 0 :: v_dual_mov_b32 v165, 0
	s_mov_b32 s17, exec_lo
	v_cmpx_lt_u32_e32 0xffffff, v30
	s_cbranch_execz .LBB371_427
; %bb.420:                              ;   in Loop: Header=BB371_11 Depth=1
	v_lshrrev_b32_e32 v0, 24, v30
	v_bfrev_b32_e32 v165, 1
	s_mov_b32 s18, exec_lo
	s_delay_alu instid0(VALU_DEP_2)
	v_cmpx_ne_u32_e32 0x80, v0
	s_cbranch_execz .LBB371_426
; %bb.421:                              ;   in Loop: Header=BB371_11 Depth=1
	v_and_b32_e32 v2, 0x7f, v0
	v_mov_b32_e32 v165, 0x7fc02000
	s_mov_b32 s19, exec_lo
	s_delay_alu instid0(VALU_DEP_2)
	v_cmpx_ne_u32_e32 0x7f, v2
	s_cbranch_execz .LBB371_425
; %bb.422:                              ;   in Loop: Header=BB371_11 Depth=1
	v_and_b32_e32 v8, 7, v0
	v_lshrrev_b32_e32 v1, 3, v2
	v_mov_b32_e32 v33, v9
	s_mov_b32 s20, exec_lo
	s_delay_alu instid0(VALU_DEP_3)
	v_mov_b32_e32 v32, v8
	v_cmpx_gt_u32_e32 8, v2
; %bb.423:                              ;   in Loop: Header=BB371_11 Depth=1
	v_clz_i32_u32_e32 v1, v8
	s_delay_alu instid0(VALU_DEP_1) | instskip(NEXT) | instid1(VALU_DEP_1)
	v_min_u32_e32 v1, 32, v1
	v_subrev_nc_u32_e32 v2, 28, v1
	v_sub_nc_u32_e32 v1, 29, v1
	s_delay_alu instid0(VALU_DEP_2) | instskip(NEXT) | instid1(VALU_DEP_1)
	v_lshlrev_b64 v[2:3], v2, v[8:9]
	v_and_b32_e32 v32, 7, v2
; %bb.424:                              ;   in Loop: Header=BB371_11 Depth=1
	s_or_b32 exec_lo, exec_lo, s20
	v_lshlrev_b32_e32 v0, 8, v0
	v_lshl_add_u32 v1, v1, 10, 0x2000
	s_delay_alu instid0(VALU_DEP_1) | instskip(NEXT) | instid1(VALU_DEP_1)
	v_and_or_b32 v0, 0x8000, v0, v1
	v_lshl_or_b32 v0, v32, 7, v0
	s_delay_alu instid0(VALU_DEP_1)
	v_cvt_f32_f16_e64 v165, v0
.LBB371_425:                            ;   in Loop: Header=BB371_11 Depth=1
	s_or_b32 exec_lo, exec_lo, s19
.LBB371_426:                            ;   in Loop: Header=BB371_11 Depth=1
	s_delay_alu instid0(SALU_CYCLE_1)
	s_or_b32 exec_lo, exec_lo, s18
.LBB371_427:                            ;   in Loop: Header=BB371_11 Depth=1
	s_delay_alu instid0(SALU_CYCLE_1) | instskip(SKIP_3) | instid1(VALU_DEP_2)
	s_or_b32 exec_lo, exec_lo, s17
	v_and_b32_e32 v0, 0xff, v31
	v_mov_b32_e32 v8, v31
	s_mov_b32 s17, exec_lo
	v_cmpx_ne_u16_e32 0, v0
	s_cbranch_execz .LBB371_435
; %bb.428:                              ;   in Loop: Header=BB371_11 Depth=1
	v_bfrev_b32_e32 v164, 1
	s_mov_b32 s18, exec_lo
	v_cmpx_ne_u16_e32 0x80, v0
	s_cbranch_execz .LBB371_434
; %bb.429:                              ;   in Loop: Header=BB371_11 Depth=1
	v_and_b32_e32 v1, 0x7f, v31
	v_mov_b32_e32 v164, 0x7fc02000
	s_mov_b32 s19, exec_lo
	s_delay_alu instid0(VALU_DEP_2)
	v_cmpx_ne_u32_e32 0x7f, v1
	s_cbranch_execz .LBB371_433
; %bb.430:                              ;   in Loop: Header=BB371_11 Depth=1
	v_lshrrev_b32_e32 v0, 3, v1
	v_dual_mov_b32 v33, v9 :: v_dual_mov_b32 v32, v8
	s_mov_b32 s20, exec_lo
	v_cmpx_gt_u32_e32 8, v1
; %bb.431:                              ;   in Loop: Header=BB371_11 Depth=1
	v_and_b32_e32 v0, 7, v31
	s_delay_alu instid0(VALU_DEP_1) | instskip(NEXT) | instid1(VALU_DEP_1)
	v_clz_i32_u32_e32 v0, v0
	v_min_u32_e32 v0, 32, v0
	s_delay_alu instid0(VALU_DEP_1) | instskip(SKIP_1) | instid1(VALU_DEP_2)
	v_subrev_nc_u32_e32 v1, 28, v0
	v_sub_nc_u32_e32 v0, 29, v0
	v_lshlrev_b64 v[32:33], v1, v[8:9]
; %bb.432:                              ;   in Loop: Header=BB371_11 Depth=1
	s_or_b32 exec_lo, exec_lo, s20
	v_lshlrev_b32_e32 v1, 8, v31
	s_delay_alu instid0(VALU_DEP_3) | instskip(NEXT) | instid1(VALU_DEP_3)
	v_lshl_add_u32 v0, v0, 10, 0x2000
	v_lshlrev_b32_e32 v2, 7, v32
	s_delay_alu instid0(VALU_DEP_2) | instskip(NEXT) | instid1(VALU_DEP_1)
	v_and_or_b32 v0, 0x8000, v1, v0
	v_and_or_b32 v0, 0x380, v2, v0
	s_delay_alu instid0(VALU_DEP_1)
	v_cvt_f32_f16_e64 v164, v0
.LBB371_433:                            ;   in Loop: Header=BB371_11 Depth=1
	s_or_b32 exec_lo, exec_lo, s19
.LBB371_434:                            ;   in Loop: Header=BB371_11 Depth=1
	s_delay_alu instid0(SALU_CYCLE_1)
	s_or_b32 exec_lo, exec_lo, s18
.LBB371_435:                            ;   in Loop: Header=BB371_11 Depth=1
	s_delay_alu instid0(SALU_CYCLE_1) | instskip(SKIP_3) | instid1(VALU_DEP_2)
	s_or_b32 exec_lo, exec_lo, s17
	v_lshrrev_b16 v0, 8, v8
	v_dual_mov_b32 v166, 0 :: v_dual_mov_b32 v167, 0
	s_mov_b32 s17, exec_lo
	v_cmpx_ne_u16_e32 0, v0
	s_cbranch_execz .LBB371_443
; %bb.436:                              ;   in Loop: Header=BB371_11 Depth=1
	v_bfrev_b32_e32 v167, 1
	s_mov_b32 s18, exec_lo
	v_cmpx_ne_u16_e32 0x80, v0
	s_cbranch_execz .LBB371_442
; %bb.437:                              ;   in Loop: Header=BB371_11 Depth=1
	v_and_b32_e32 v0, 0xffff, v0
	v_mov_b32_e32 v167, 0x7fc02000
	s_mov_b32 s19, exec_lo
	s_delay_alu instid0(VALU_DEP_2) | instskip(NEXT) | instid1(VALU_DEP_1)
	v_and_b32_e32 v2, 0x7f, v0
	v_cmpx_ne_u32_e32 0x7f, v2
	s_cbranch_execz .LBB371_441
; %bb.438:                              ;   in Loop: Header=BB371_11 Depth=1
	v_and_b32_e32 v8, 7, v0
	v_lshrrev_b32_e32 v1, 3, v2
	v_mov_b32_e32 v33, v9
	s_mov_b32 s20, exec_lo
	s_delay_alu instid0(VALU_DEP_3)
	v_mov_b32_e32 v32, v8
	v_cmpx_gt_u32_e32 8, v2
; %bb.439:                              ;   in Loop: Header=BB371_11 Depth=1
	v_clz_i32_u32_e32 v1, v8
	s_delay_alu instid0(VALU_DEP_1) | instskip(NEXT) | instid1(VALU_DEP_1)
	v_min_u32_e32 v1, 32, v1
	v_subrev_nc_u32_e32 v2, 28, v1
	v_sub_nc_u32_e32 v1, 29, v1
	s_delay_alu instid0(VALU_DEP_2) | instskip(NEXT) | instid1(VALU_DEP_1)
	v_lshlrev_b64 v[2:3], v2, v[8:9]
	v_and_b32_e32 v32, 7, v2
; %bb.440:                              ;   in Loop: Header=BB371_11 Depth=1
	s_or_b32 exec_lo, exec_lo, s20
	v_lshlrev_b32_e32 v0, 8, v0
	v_lshl_add_u32 v1, v1, 10, 0x2000
	s_delay_alu instid0(VALU_DEP_1) | instskip(NEXT) | instid1(VALU_DEP_1)
	v_and_or_b32 v0, 0x8000, v0, v1
	v_lshl_or_b32 v0, v32, 7, v0
	s_delay_alu instid0(VALU_DEP_1)
	v_cvt_f32_f16_e64 v167, v0
.LBB371_441:                            ;   in Loop: Header=BB371_11 Depth=1
	s_or_b32 exec_lo, exec_lo, s19
.LBB371_442:                            ;   in Loop: Header=BB371_11 Depth=1
	s_delay_alu instid0(SALU_CYCLE_1)
	s_or_b32 exec_lo, exec_lo, s18
.LBB371_443:                            ;   in Loop: Header=BB371_11 Depth=1
	s_delay_alu instid0(SALU_CYCLE_1) | instskip(SKIP_2) | instid1(VALU_DEP_1)
	s_or_b32 exec_lo, exec_lo, s17
	v_lshrrev_b32_e32 v0, 16, v31
	s_mov_b32 s17, exec_lo
	v_and_b32_e32 v1, 0xff, v0
	s_delay_alu instid0(VALU_DEP_1)
	v_cmpx_ne_u16_e32 0, v1
	s_cbranch_execz .LBB371_451
; %bb.444:                              ;   in Loop: Header=BB371_11 Depth=1
	v_bfrev_b32_e32 v166, 1
	s_mov_b32 s18, exec_lo
	v_cmpx_ne_u16_e32 0x80, v1
	s_cbranch_execz .LBB371_450
; %bb.445:                              ;   in Loop: Header=BB371_11 Depth=1
	v_bfe_u32 v2, v31, 16, 7
	v_mov_b32_e32 v166, 0x7fc02000
	s_mov_b32 s19, exec_lo
	s_delay_alu instid0(VALU_DEP_2)
	v_cmpx_ne_u32_e32 0x7f, v2
	s_cbranch_execz .LBB371_449
; %bb.446:                              ;   in Loop: Header=BB371_11 Depth=1
	v_and_b32_e32 v8, 7, v0
	v_lshrrev_b32_e32 v1, 3, v2
	v_mov_b32_e32 v33, v9
	s_mov_b32 s20, exec_lo
	s_delay_alu instid0(VALU_DEP_3)
	v_mov_b32_e32 v32, v8
	v_cmpx_gt_u32_e32 8, v2
; %bb.447:                              ;   in Loop: Header=BB371_11 Depth=1
	v_clz_i32_u32_e32 v1, v8
	s_delay_alu instid0(VALU_DEP_1) | instskip(NEXT) | instid1(VALU_DEP_1)
	v_min_u32_e32 v1, 32, v1
	v_subrev_nc_u32_e32 v2, 28, v1
	v_sub_nc_u32_e32 v1, 29, v1
	s_delay_alu instid0(VALU_DEP_2) | instskip(NEXT) | instid1(VALU_DEP_1)
	v_lshlrev_b64 v[2:3], v2, v[8:9]
	v_and_b32_e32 v32, 7, v2
; %bb.448:                              ;   in Loop: Header=BB371_11 Depth=1
	s_or_b32 exec_lo, exec_lo, s20
	v_lshlrev_b32_e32 v0, 8, v0
	v_lshl_add_u32 v1, v1, 10, 0x2000
	s_delay_alu instid0(VALU_DEP_1) | instskip(NEXT) | instid1(VALU_DEP_1)
	v_and_or_b32 v0, 0x8000, v0, v1
	v_lshl_or_b32 v0, v32, 7, v0
	s_delay_alu instid0(VALU_DEP_1)
	v_cvt_f32_f16_e64 v166, v0
.LBB371_449:                            ;   in Loop: Header=BB371_11 Depth=1
	s_or_b32 exec_lo, exec_lo, s19
.LBB371_450:                            ;   in Loop: Header=BB371_11 Depth=1
	s_delay_alu instid0(SALU_CYCLE_1)
	s_or_b32 exec_lo, exec_lo, s18
.LBB371_451:                            ;   in Loop: Header=BB371_11 Depth=1
	s_delay_alu instid0(SALU_CYCLE_1)
	s_or_b32 exec_lo, exec_lo, s17
	v_dual_mov_b32 v177, 0 :: v_dual_mov_b32 v176, 0
	s_mov_b32 s17, exec_lo
	v_cmpx_lt_u64_e64 s[2:3], v[30:31]
	s_cbranch_execz .LBB371_459
; %bb.452:                              ;   in Loop: Header=BB371_11 Depth=1
	v_lshrrev_b32_e32 v0, 24, v31
	v_bfrev_b32_e32 v176, 1
	s_mov_b32 s18, exec_lo
	s_delay_alu instid0(VALU_DEP_2)
	v_cmpx_ne_u32_e32 0x80, v0
	s_cbranch_execz .LBB371_458
; %bb.453:                              ;   in Loop: Header=BB371_11 Depth=1
	v_and_b32_e32 v2, 0x7f, v0
	v_mov_b32_e32 v176, 0x7fc02000
	s_mov_b32 s19, exec_lo
	s_delay_alu instid0(VALU_DEP_2)
	v_cmpx_ne_u32_e32 0x7f, v2
	s_cbranch_execz .LBB371_457
; %bb.454:                              ;   in Loop: Header=BB371_11 Depth=1
	v_and_b32_e32 v8, 7, v0
	v_lshrrev_b32_e32 v1, 3, v2
	v_mov_b32_e32 v31, v9
	s_mov_b32 s20, exec_lo
	s_delay_alu instid0(VALU_DEP_3)
	v_mov_b32_e32 v30, v8
	v_cmpx_gt_u32_e32 8, v2
; %bb.455:                              ;   in Loop: Header=BB371_11 Depth=1
	v_clz_i32_u32_e32 v1, v8
	s_delay_alu instid0(VALU_DEP_1) | instskip(NEXT) | instid1(VALU_DEP_1)
	v_min_u32_e32 v1, 32, v1
	v_subrev_nc_u32_e32 v2, 28, v1
	v_sub_nc_u32_e32 v1, 29, v1
	s_delay_alu instid0(VALU_DEP_2) | instskip(NEXT) | instid1(VALU_DEP_1)
	v_lshlrev_b64 v[2:3], v2, v[8:9]
	v_and_b32_e32 v30, 7, v2
; %bb.456:                              ;   in Loop: Header=BB371_11 Depth=1
	s_or_b32 exec_lo, exec_lo, s20
	v_lshlrev_b32_e32 v0, 8, v0
	v_lshl_add_u32 v1, v1, 10, 0x2000
	s_delay_alu instid0(VALU_DEP_1) | instskip(NEXT) | instid1(VALU_DEP_1)
	v_and_or_b32 v0, 0x8000, v0, v1
	v_lshl_or_b32 v0, v30, 7, v0
	s_delay_alu instid0(VALU_DEP_1)
	v_cvt_f32_f16_e64 v176, v0
.LBB371_457:                            ;   in Loop: Header=BB371_11 Depth=1
	s_or_b32 exec_lo, exec_lo, s19
.LBB371_458:                            ;   in Loop: Header=BB371_11 Depth=1
	s_delay_alu instid0(SALU_CYCLE_1)
	s_or_b32 exec_lo, exec_lo, s18
.LBB371_459:                            ;   in Loop: Header=BB371_11 Depth=1
	s_delay_alu instid0(SALU_CYCLE_1) | instskip(SKIP_4) | instid1(VALU_DEP_1)
	s_or_b32 exec_lo, exec_lo, s17
	flat_load_b64 v[30:31], v[28:29] offset:1544
	s_mov_b32 s17, exec_lo
	s_waitcnt vmcnt(0) lgkmcnt(0)
	v_and_b32_e32 v0, 0xff, v30
	v_cmpx_ne_u16_e32 0, v0
	s_cbranch_execz .LBB371_467
; %bb.460:                              ;   in Loop: Header=BB371_11 Depth=1
	v_bfrev_b32_e32 v177, 1
	s_mov_b32 s18, exec_lo
	v_cmpx_ne_u16_e32 0x80, v0
	s_cbranch_execz .LBB371_466
; %bb.461:                              ;   in Loop: Header=BB371_11 Depth=1
	v_and_b32_e32 v1, 0x7f, v30
	v_mov_b32_e32 v177, 0x7fc02000
	s_mov_b32 s19, exec_lo
	s_delay_alu instid0(VALU_DEP_2)
	v_cmpx_ne_u32_e32 0x7f, v1
	s_cbranch_execz .LBB371_465
; %bb.462:                              ;   in Loop: Header=BB371_11 Depth=1
	v_lshrrev_b32_e32 v0, 3, v1
	v_dual_mov_b32 v33, v31 :: v_dual_mov_b32 v32, v30
	s_mov_b32 s20, exec_lo
	v_cmpx_gt_u32_e32 8, v1
; %bb.463:                              ;   in Loop: Header=BB371_11 Depth=1
	v_and_b32_e32 v0, 7, v30
	s_delay_alu instid0(VALU_DEP_1) | instskip(NEXT) | instid1(VALU_DEP_1)
	v_clz_i32_u32_e32 v0, v0
	v_min_u32_e32 v0, 32, v0
	s_delay_alu instid0(VALU_DEP_1) | instskip(SKIP_1) | instid1(VALU_DEP_2)
	v_subrev_nc_u32_e32 v1, 28, v0
	v_sub_nc_u32_e32 v0, 29, v0
	v_lshlrev_b64 v[32:33], v1, v[30:31]
; %bb.464:                              ;   in Loop: Header=BB371_11 Depth=1
	s_or_b32 exec_lo, exec_lo, s20
	v_lshlrev_b32_e32 v1, 8, v30
	s_delay_alu instid0(VALU_DEP_3) | instskip(NEXT) | instid1(VALU_DEP_3)
	v_lshl_add_u32 v0, v0, 10, 0x2000
	v_lshlrev_b32_e32 v2, 7, v32
	s_delay_alu instid0(VALU_DEP_2) | instskip(NEXT) | instid1(VALU_DEP_1)
	v_and_or_b32 v0, 0x8000, v1, v0
	v_and_or_b32 v0, 0x380, v2, v0
	s_delay_alu instid0(VALU_DEP_1)
	v_cvt_f32_f16_e64 v177, v0
.LBB371_465:                            ;   in Loop: Header=BB371_11 Depth=1
	s_or_b32 exec_lo, exec_lo, s19
.LBB371_466:                            ;   in Loop: Header=BB371_11 Depth=1
	s_delay_alu instid0(SALU_CYCLE_1)
	s_or_b32 exec_lo, exec_lo, s18
.LBB371_467:                            ;   in Loop: Header=BB371_11 Depth=1
	s_delay_alu instid0(SALU_CYCLE_1) | instskip(SKIP_3) | instid1(VALU_DEP_2)
	s_or_b32 exec_lo, exec_lo, s17
	v_lshrrev_b16 v0, 8, v30
	v_dual_mov_b32 v178, 0 :: v_dual_mov_b32 v179, 0
	s_mov_b32 s17, exec_lo
	v_cmpx_ne_u16_e32 0, v0
	s_cbranch_execz .LBB371_475
; %bb.468:                              ;   in Loop: Header=BB371_11 Depth=1
	v_bfrev_b32_e32 v179, 1
	s_mov_b32 s18, exec_lo
	v_cmpx_ne_u16_e32 0x80, v0
	s_cbranch_execz .LBB371_474
; %bb.469:                              ;   in Loop: Header=BB371_11 Depth=1
	v_and_b32_e32 v0, 0xffff, v0
	v_mov_b32_e32 v179, 0x7fc02000
	s_mov_b32 s19, exec_lo
	s_delay_alu instid0(VALU_DEP_2) | instskip(NEXT) | instid1(VALU_DEP_1)
	v_and_b32_e32 v2, 0x7f, v0
	v_cmpx_ne_u32_e32 0x7f, v2
	s_cbranch_execz .LBB371_473
; %bb.470:                              ;   in Loop: Header=BB371_11 Depth=1
	v_and_b32_e32 v8, 7, v0
	v_lshrrev_b32_e32 v1, 3, v2
	v_mov_b32_e32 v33, v9
	s_mov_b32 s20, exec_lo
	s_delay_alu instid0(VALU_DEP_3)
	v_mov_b32_e32 v32, v8
	v_cmpx_gt_u32_e32 8, v2
; %bb.471:                              ;   in Loop: Header=BB371_11 Depth=1
	v_clz_i32_u32_e32 v1, v8
	s_delay_alu instid0(VALU_DEP_1) | instskip(NEXT) | instid1(VALU_DEP_1)
	v_min_u32_e32 v1, 32, v1
	v_subrev_nc_u32_e32 v2, 28, v1
	v_sub_nc_u32_e32 v1, 29, v1
	s_delay_alu instid0(VALU_DEP_2) | instskip(NEXT) | instid1(VALU_DEP_1)
	v_lshlrev_b64 v[2:3], v2, v[8:9]
	v_and_b32_e32 v32, 7, v2
; %bb.472:                              ;   in Loop: Header=BB371_11 Depth=1
	s_or_b32 exec_lo, exec_lo, s20
	v_lshlrev_b32_e32 v0, 8, v0
	v_lshl_add_u32 v1, v1, 10, 0x2000
	s_delay_alu instid0(VALU_DEP_1) | instskip(NEXT) | instid1(VALU_DEP_1)
	v_and_or_b32 v0, 0x8000, v0, v1
	v_lshl_or_b32 v0, v32, 7, v0
	s_delay_alu instid0(VALU_DEP_1)
	v_cvt_f32_f16_e64 v179, v0
.LBB371_473:                            ;   in Loop: Header=BB371_11 Depth=1
	s_or_b32 exec_lo, exec_lo, s19
.LBB371_474:                            ;   in Loop: Header=BB371_11 Depth=1
	s_delay_alu instid0(SALU_CYCLE_1)
	s_or_b32 exec_lo, exec_lo, s18
.LBB371_475:                            ;   in Loop: Header=BB371_11 Depth=1
	s_delay_alu instid0(SALU_CYCLE_1) | instskip(SKIP_2) | instid1(VALU_DEP_1)
	s_or_b32 exec_lo, exec_lo, s17
	v_lshrrev_b32_e32 v0, 16, v30
	s_mov_b32 s17, exec_lo
	v_and_b32_e32 v1, 0xff, v0
	s_delay_alu instid0(VALU_DEP_1)
	v_cmpx_ne_u16_e32 0, v1
	s_cbranch_execz .LBB371_483
; %bb.476:                              ;   in Loop: Header=BB371_11 Depth=1
	v_bfrev_b32_e32 v178, 1
	s_mov_b32 s18, exec_lo
	v_cmpx_ne_u16_e32 0x80, v1
	s_cbranch_execz .LBB371_482
; %bb.477:                              ;   in Loop: Header=BB371_11 Depth=1
	v_bfe_u32 v2, v30, 16, 7
	v_mov_b32_e32 v178, 0x7fc02000
	s_mov_b32 s19, exec_lo
	s_delay_alu instid0(VALU_DEP_2)
	v_cmpx_ne_u32_e32 0x7f, v2
	s_cbranch_execz .LBB371_481
; %bb.478:                              ;   in Loop: Header=BB371_11 Depth=1
	v_and_b32_e32 v8, 7, v0
	v_lshrrev_b32_e32 v1, 3, v2
	v_mov_b32_e32 v33, v9
	s_mov_b32 s20, exec_lo
	s_delay_alu instid0(VALU_DEP_3)
	v_mov_b32_e32 v32, v8
	v_cmpx_gt_u32_e32 8, v2
; %bb.479:                              ;   in Loop: Header=BB371_11 Depth=1
	v_clz_i32_u32_e32 v1, v8
	s_delay_alu instid0(VALU_DEP_1) | instskip(NEXT) | instid1(VALU_DEP_1)
	v_min_u32_e32 v1, 32, v1
	v_subrev_nc_u32_e32 v2, 28, v1
	v_sub_nc_u32_e32 v1, 29, v1
	s_delay_alu instid0(VALU_DEP_2) | instskip(NEXT) | instid1(VALU_DEP_1)
	v_lshlrev_b64 v[2:3], v2, v[8:9]
	v_and_b32_e32 v32, 7, v2
; %bb.480:                              ;   in Loop: Header=BB371_11 Depth=1
	s_or_b32 exec_lo, exec_lo, s20
	v_lshlrev_b32_e32 v0, 8, v0
	v_lshl_add_u32 v1, v1, 10, 0x2000
	s_delay_alu instid0(VALU_DEP_1) | instskip(NEXT) | instid1(VALU_DEP_1)
	v_and_or_b32 v0, 0x8000, v0, v1
	v_lshl_or_b32 v0, v32, 7, v0
	s_delay_alu instid0(VALU_DEP_1)
	v_cvt_f32_f16_e64 v178, v0
.LBB371_481:                            ;   in Loop: Header=BB371_11 Depth=1
	s_or_b32 exec_lo, exec_lo, s19
.LBB371_482:                            ;   in Loop: Header=BB371_11 Depth=1
	s_delay_alu instid0(SALU_CYCLE_1)
	s_or_b32 exec_lo, exec_lo, s18
.LBB371_483:                            ;   in Loop: Header=BB371_11 Depth=1
	s_delay_alu instid0(SALU_CYCLE_1)
	s_or_b32 exec_lo, exec_lo, s17
	v_dual_mov_b32 v180, 0 :: v_dual_mov_b32 v181, 0
	s_mov_b32 s17, exec_lo
	v_cmpx_lt_u32_e32 0xffffff, v30
	s_cbranch_execz .LBB371_491
; %bb.484:                              ;   in Loop: Header=BB371_11 Depth=1
	v_lshrrev_b32_e32 v0, 24, v30
	v_bfrev_b32_e32 v181, 1
	s_mov_b32 s18, exec_lo
	s_delay_alu instid0(VALU_DEP_2)
	v_cmpx_ne_u32_e32 0x80, v0
	s_cbranch_execz .LBB371_490
; %bb.485:                              ;   in Loop: Header=BB371_11 Depth=1
	v_and_b32_e32 v2, 0x7f, v0
	v_mov_b32_e32 v181, 0x7fc02000
	s_mov_b32 s19, exec_lo
	s_delay_alu instid0(VALU_DEP_2)
	v_cmpx_ne_u32_e32 0x7f, v2
	s_cbranch_execz .LBB371_489
; %bb.486:                              ;   in Loop: Header=BB371_11 Depth=1
	v_and_b32_e32 v8, 7, v0
	v_lshrrev_b32_e32 v1, 3, v2
	v_mov_b32_e32 v33, v9
	s_mov_b32 s20, exec_lo
	s_delay_alu instid0(VALU_DEP_3)
	v_mov_b32_e32 v32, v8
	v_cmpx_gt_u32_e32 8, v2
; %bb.487:                              ;   in Loop: Header=BB371_11 Depth=1
	v_clz_i32_u32_e32 v1, v8
	s_delay_alu instid0(VALU_DEP_1) | instskip(NEXT) | instid1(VALU_DEP_1)
	v_min_u32_e32 v1, 32, v1
	v_subrev_nc_u32_e32 v2, 28, v1
	v_sub_nc_u32_e32 v1, 29, v1
	s_delay_alu instid0(VALU_DEP_2) | instskip(NEXT) | instid1(VALU_DEP_1)
	v_lshlrev_b64 v[2:3], v2, v[8:9]
	v_and_b32_e32 v32, 7, v2
; %bb.488:                              ;   in Loop: Header=BB371_11 Depth=1
	s_or_b32 exec_lo, exec_lo, s20
	v_lshlrev_b32_e32 v0, 8, v0
	v_lshl_add_u32 v1, v1, 10, 0x2000
	s_delay_alu instid0(VALU_DEP_1) | instskip(NEXT) | instid1(VALU_DEP_1)
	v_and_or_b32 v0, 0x8000, v0, v1
	v_lshl_or_b32 v0, v32, 7, v0
	s_delay_alu instid0(VALU_DEP_1)
	v_cvt_f32_f16_e64 v181, v0
.LBB371_489:                            ;   in Loop: Header=BB371_11 Depth=1
	s_or_b32 exec_lo, exec_lo, s19
.LBB371_490:                            ;   in Loop: Header=BB371_11 Depth=1
	s_delay_alu instid0(SALU_CYCLE_1)
	s_or_b32 exec_lo, exec_lo, s18
.LBB371_491:                            ;   in Loop: Header=BB371_11 Depth=1
	s_delay_alu instid0(SALU_CYCLE_1) | instskip(SKIP_3) | instid1(VALU_DEP_2)
	s_or_b32 exec_lo, exec_lo, s17
	v_and_b32_e32 v0, 0xff, v31
	v_mov_b32_e32 v8, v31
	s_mov_b32 s17, exec_lo
	v_cmpx_ne_u16_e32 0, v0
	s_cbranch_execz .LBB371_499
; %bb.492:                              ;   in Loop: Header=BB371_11 Depth=1
	v_bfrev_b32_e32 v180, 1
	s_mov_b32 s18, exec_lo
	v_cmpx_ne_u16_e32 0x80, v0
	s_cbranch_execz .LBB371_498
; %bb.493:                              ;   in Loop: Header=BB371_11 Depth=1
	v_and_b32_e32 v1, 0x7f, v31
	v_mov_b32_e32 v180, 0x7fc02000
	s_mov_b32 s19, exec_lo
	s_delay_alu instid0(VALU_DEP_2)
	v_cmpx_ne_u32_e32 0x7f, v1
	s_cbranch_execz .LBB371_497
; %bb.494:                              ;   in Loop: Header=BB371_11 Depth=1
	v_lshrrev_b32_e32 v0, 3, v1
	v_dual_mov_b32 v33, v9 :: v_dual_mov_b32 v32, v8
	s_mov_b32 s20, exec_lo
	v_cmpx_gt_u32_e32 8, v1
; %bb.495:                              ;   in Loop: Header=BB371_11 Depth=1
	v_and_b32_e32 v0, 7, v31
	s_delay_alu instid0(VALU_DEP_1) | instskip(NEXT) | instid1(VALU_DEP_1)
	v_clz_i32_u32_e32 v0, v0
	v_min_u32_e32 v0, 32, v0
	s_delay_alu instid0(VALU_DEP_1) | instskip(SKIP_1) | instid1(VALU_DEP_2)
	v_subrev_nc_u32_e32 v1, 28, v0
	v_sub_nc_u32_e32 v0, 29, v0
	v_lshlrev_b64 v[32:33], v1, v[8:9]
; %bb.496:                              ;   in Loop: Header=BB371_11 Depth=1
	s_or_b32 exec_lo, exec_lo, s20
	v_lshlrev_b32_e32 v1, 8, v31
	s_delay_alu instid0(VALU_DEP_3) | instskip(NEXT) | instid1(VALU_DEP_3)
	v_lshl_add_u32 v0, v0, 10, 0x2000
	v_lshlrev_b32_e32 v2, 7, v32
	s_delay_alu instid0(VALU_DEP_2) | instskip(NEXT) | instid1(VALU_DEP_1)
	v_and_or_b32 v0, 0x8000, v1, v0
	v_and_or_b32 v0, 0x380, v2, v0
	s_delay_alu instid0(VALU_DEP_1)
	v_cvt_f32_f16_e64 v180, v0
.LBB371_497:                            ;   in Loop: Header=BB371_11 Depth=1
	s_or_b32 exec_lo, exec_lo, s19
.LBB371_498:                            ;   in Loop: Header=BB371_11 Depth=1
	s_delay_alu instid0(SALU_CYCLE_1)
	s_or_b32 exec_lo, exec_lo, s18
.LBB371_499:                            ;   in Loop: Header=BB371_11 Depth=1
	s_delay_alu instid0(SALU_CYCLE_1) | instskip(SKIP_3) | instid1(VALU_DEP_2)
	s_or_b32 exec_lo, exec_lo, s17
	v_lshrrev_b16 v0, 8, v8
	v_dual_mov_b32 v182, 0 :: v_dual_mov_b32 v183, 0
	s_mov_b32 s17, exec_lo
	v_cmpx_ne_u16_e32 0, v0
	s_cbranch_execz .LBB371_507
; %bb.500:                              ;   in Loop: Header=BB371_11 Depth=1
	v_bfrev_b32_e32 v183, 1
	s_mov_b32 s18, exec_lo
	v_cmpx_ne_u16_e32 0x80, v0
	s_cbranch_execz .LBB371_506
; %bb.501:                              ;   in Loop: Header=BB371_11 Depth=1
	v_and_b32_e32 v0, 0xffff, v0
	v_mov_b32_e32 v183, 0x7fc02000
	s_mov_b32 s19, exec_lo
	s_delay_alu instid0(VALU_DEP_2) | instskip(NEXT) | instid1(VALU_DEP_1)
	v_and_b32_e32 v2, 0x7f, v0
	v_cmpx_ne_u32_e32 0x7f, v2
	s_cbranch_execz .LBB371_505
; %bb.502:                              ;   in Loop: Header=BB371_11 Depth=1
	v_and_b32_e32 v8, 7, v0
	v_lshrrev_b32_e32 v1, 3, v2
	v_mov_b32_e32 v33, v9
	s_mov_b32 s20, exec_lo
	s_delay_alu instid0(VALU_DEP_3)
	v_mov_b32_e32 v32, v8
	v_cmpx_gt_u32_e32 8, v2
; %bb.503:                              ;   in Loop: Header=BB371_11 Depth=1
	v_clz_i32_u32_e32 v1, v8
	s_delay_alu instid0(VALU_DEP_1) | instskip(NEXT) | instid1(VALU_DEP_1)
	v_min_u32_e32 v1, 32, v1
	v_subrev_nc_u32_e32 v2, 28, v1
	v_sub_nc_u32_e32 v1, 29, v1
	s_delay_alu instid0(VALU_DEP_2) | instskip(NEXT) | instid1(VALU_DEP_1)
	v_lshlrev_b64 v[2:3], v2, v[8:9]
	v_and_b32_e32 v32, 7, v2
; %bb.504:                              ;   in Loop: Header=BB371_11 Depth=1
	s_or_b32 exec_lo, exec_lo, s20
	v_lshlrev_b32_e32 v0, 8, v0
	v_lshl_add_u32 v1, v1, 10, 0x2000
	s_delay_alu instid0(VALU_DEP_1) | instskip(NEXT) | instid1(VALU_DEP_1)
	v_and_or_b32 v0, 0x8000, v0, v1
	v_lshl_or_b32 v0, v32, 7, v0
	s_delay_alu instid0(VALU_DEP_1)
	v_cvt_f32_f16_e64 v183, v0
.LBB371_505:                            ;   in Loop: Header=BB371_11 Depth=1
	s_or_b32 exec_lo, exec_lo, s19
.LBB371_506:                            ;   in Loop: Header=BB371_11 Depth=1
	s_delay_alu instid0(SALU_CYCLE_1)
	s_or_b32 exec_lo, exec_lo, s18
.LBB371_507:                            ;   in Loop: Header=BB371_11 Depth=1
	s_delay_alu instid0(SALU_CYCLE_1) | instskip(SKIP_2) | instid1(VALU_DEP_1)
	s_or_b32 exec_lo, exec_lo, s17
	v_lshrrev_b32_e32 v0, 16, v31
	s_mov_b32 s17, exec_lo
	v_and_b32_e32 v1, 0xff, v0
	s_delay_alu instid0(VALU_DEP_1)
	v_cmpx_ne_u16_e32 0, v1
	s_cbranch_execz .LBB371_515
; %bb.508:                              ;   in Loop: Header=BB371_11 Depth=1
	v_bfrev_b32_e32 v182, 1
	s_mov_b32 s18, exec_lo
	v_cmpx_ne_u16_e32 0x80, v1
	s_cbranch_execz .LBB371_514
; %bb.509:                              ;   in Loop: Header=BB371_11 Depth=1
	v_bfe_u32 v2, v31, 16, 7
	v_mov_b32_e32 v182, 0x7fc02000
	s_mov_b32 s19, exec_lo
	s_delay_alu instid0(VALU_DEP_2)
	v_cmpx_ne_u32_e32 0x7f, v2
	s_cbranch_execz .LBB371_513
; %bb.510:                              ;   in Loop: Header=BB371_11 Depth=1
	v_and_b32_e32 v8, 7, v0
	v_lshrrev_b32_e32 v1, 3, v2
	v_mov_b32_e32 v33, v9
	s_mov_b32 s20, exec_lo
	s_delay_alu instid0(VALU_DEP_3)
	v_mov_b32_e32 v32, v8
	v_cmpx_gt_u32_e32 8, v2
; %bb.511:                              ;   in Loop: Header=BB371_11 Depth=1
	v_clz_i32_u32_e32 v1, v8
	s_delay_alu instid0(VALU_DEP_1) | instskip(NEXT) | instid1(VALU_DEP_1)
	v_min_u32_e32 v1, 32, v1
	v_subrev_nc_u32_e32 v2, 28, v1
	v_sub_nc_u32_e32 v1, 29, v1
	s_delay_alu instid0(VALU_DEP_2) | instskip(NEXT) | instid1(VALU_DEP_1)
	v_lshlrev_b64 v[2:3], v2, v[8:9]
	v_and_b32_e32 v32, 7, v2
; %bb.512:                              ;   in Loop: Header=BB371_11 Depth=1
	s_or_b32 exec_lo, exec_lo, s20
	v_lshlrev_b32_e32 v0, 8, v0
	v_lshl_add_u32 v1, v1, 10, 0x2000
	s_delay_alu instid0(VALU_DEP_1) | instskip(NEXT) | instid1(VALU_DEP_1)
	v_and_or_b32 v0, 0x8000, v0, v1
	v_lshl_or_b32 v0, v32, 7, v0
	s_delay_alu instid0(VALU_DEP_1)
	v_cvt_f32_f16_e64 v182, v0
.LBB371_513:                            ;   in Loop: Header=BB371_11 Depth=1
	s_or_b32 exec_lo, exec_lo, s19
.LBB371_514:                            ;   in Loop: Header=BB371_11 Depth=1
	s_delay_alu instid0(SALU_CYCLE_1)
	s_or_b32 exec_lo, exec_lo, s18
.LBB371_515:                            ;   in Loop: Header=BB371_11 Depth=1
	s_delay_alu instid0(SALU_CYCLE_1)
	s_or_b32 exec_lo, exec_lo, s17
	v_dual_mov_b32 v41, 0 :: v_dual_mov_b32 v40, 0
	s_mov_b32 s17, exec_lo
	v_cmpx_lt_u64_e64 s[2:3], v[30:31]
	s_cbranch_execz .LBB371_523
; %bb.516:                              ;   in Loop: Header=BB371_11 Depth=1
	v_lshrrev_b32_e32 v0, 24, v31
	v_bfrev_b32_e32 v40, 1
	s_mov_b32 s18, exec_lo
	s_delay_alu instid0(VALU_DEP_2)
	v_cmpx_ne_u32_e32 0x80, v0
	s_cbranch_execz .LBB371_522
; %bb.517:                              ;   in Loop: Header=BB371_11 Depth=1
	v_and_b32_e32 v2, 0x7f, v0
	v_mov_b32_e32 v40, 0x7fc02000
	s_mov_b32 s19, exec_lo
	s_delay_alu instid0(VALU_DEP_2)
	v_cmpx_ne_u32_e32 0x7f, v2
	s_cbranch_execz .LBB371_521
; %bb.518:                              ;   in Loop: Header=BB371_11 Depth=1
	v_and_b32_e32 v8, 7, v0
	v_lshrrev_b32_e32 v1, 3, v2
	v_mov_b32_e32 v31, v9
	s_mov_b32 s20, exec_lo
	s_delay_alu instid0(VALU_DEP_3)
	v_mov_b32_e32 v30, v8
	v_cmpx_gt_u32_e32 8, v2
; %bb.519:                              ;   in Loop: Header=BB371_11 Depth=1
	v_clz_i32_u32_e32 v1, v8
	s_delay_alu instid0(VALU_DEP_1) | instskip(NEXT) | instid1(VALU_DEP_1)
	v_min_u32_e32 v1, 32, v1
	v_subrev_nc_u32_e32 v2, 28, v1
	v_sub_nc_u32_e32 v1, 29, v1
	s_delay_alu instid0(VALU_DEP_2) | instskip(NEXT) | instid1(VALU_DEP_1)
	v_lshlrev_b64 v[2:3], v2, v[8:9]
	v_and_b32_e32 v30, 7, v2
; %bb.520:                              ;   in Loop: Header=BB371_11 Depth=1
	s_or_b32 exec_lo, exec_lo, s20
	v_lshlrev_b32_e32 v0, 8, v0
	v_lshl_add_u32 v1, v1, 10, 0x2000
	s_delay_alu instid0(VALU_DEP_1) | instskip(NEXT) | instid1(VALU_DEP_1)
	v_and_or_b32 v0, 0x8000, v0, v1
	v_lshl_or_b32 v0, v30, 7, v0
	s_delay_alu instid0(VALU_DEP_1)
	v_cvt_f32_f16_e32 v40, v0
.LBB371_521:                            ;   in Loop: Header=BB371_11 Depth=1
	s_or_b32 exec_lo, exec_lo, s19
.LBB371_522:                            ;   in Loop: Header=BB371_11 Depth=1
	s_delay_alu instid0(SALU_CYCLE_1)
	s_or_b32 exec_lo, exec_lo, s18
.LBB371_523:                            ;   in Loop: Header=BB371_11 Depth=1
	s_delay_alu instid0(SALU_CYCLE_1) | instskip(SKIP_4) | instid1(VALU_DEP_1)
	s_or_b32 exec_lo, exec_lo, s17
	flat_load_b64 v[30:31], v[28:29] offset:2048
	s_mov_b32 s17, exec_lo
	s_waitcnt vmcnt(0) lgkmcnt(0)
	v_and_b32_e32 v0, 0xff, v30
	v_cmpx_ne_u16_e32 0, v0
	s_cbranch_execz .LBB371_531
; %bb.524:                              ;   in Loop: Header=BB371_11 Depth=1
	v_bfrev_b32_e32 v41, 1
	s_mov_b32 s18, exec_lo
	v_cmpx_ne_u16_e32 0x80, v0
	s_cbranch_execz .LBB371_530
; %bb.525:                              ;   in Loop: Header=BB371_11 Depth=1
	v_and_b32_e32 v1, 0x7f, v30
	v_mov_b32_e32 v41, 0x7fc02000
	s_mov_b32 s19, exec_lo
	s_delay_alu instid0(VALU_DEP_2)
	v_cmpx_ne_u32_e32 0x7f, v1
	s_cbranch_execz .LBB371_529
; %bb.526:                              ;   in Loop: Header=BB371_11 Depth=1
	v_lshrrev_b32_e32 v0, 3, v1
	v_dual_mov_b32 v33, v31 :: v_dual_mov_b32 v32, v30
	s_mov_b32 s20, exec_lo
	v_cmpx_gt_u32_e32 8, v1
; %bb.527:                              ;   in Loop: Header=BB371_11 Depth=1
	v_and_b32_e32 v0, 7, v30
	s_delay_alu instid0(VALU_DEP_1) | instskip(NEXT) | instid1(VALU_DEP_1)
	v_clz_i32_u32_e32 v0, v0
	v_min_u32_e32 v0, 32, v0
	s_delay_alu instid0(VALU_DEP_1) | instskip(SKIP_1) | instid1(VALU_DEP_2)
	v_subrev_nc_u32_e32 v1, 28, v0
	v_sub_nc_u32_e32 v0, 29, v0
	v_lshlrev_b64 v[32:33], v1, v[30:31]
; %bb.528:                              ;   in Loop: Header=BB371_11 Depth=1
	s_or_b32 exec_lo, exec_lo, s20
	v_lshlrev_b32_e32 v1, 8, v30
	s_delay_alu instid0(VALU_DEP_3) | instskip(NEXT) | instid1(VALU_DEP_3)
	v_lshl_add_u32 v0, v0, 10, 0x2000
	v_lshlrev_b32_e32 v2, 7, v32
	s_delay_alu instid0(VALU_DEP_2) | instskip(NEXT) | instid1(VALU_DEP_1)
	v_and_or_b32 v0, 0x8000, v1, v0
	v_and_or_b32 v0, 0x380, v2, v0
	s_delay_alu instid0(VALU_DEP_1)
	v_cvt_f32_f16_e32 v41, v0
.LBB371_529:                            ;   in Loop: Header=BB371_11 Depth=1
	s_or_b32 exec_lo, exec_lo, s19
.LBB371_530:                            ;   in Loop: Header=BB371_11 Depth=1
	s_delay_alu instid0(SALU_CYCLE_1)
	s_or_b32 exec_lo, exec_lo, s18
.LBB371_531:                            ;   in Loop: Header=BB371_11 Depth=1
	s_delay_alu instid0(SALU_CYCLE_1) | instskip(SKIP_3) | instid1(VALU_DEP_2)
	s_or_b32 exec_lo, exec_lo, s17
	v_lshrrev_b16 v0, 8, v30
	v_dual_mov_b32 v42, 0 :: v_dual_mov_b32 v43, 0
	s_mov_b32 s17, exec_lo
	v_cmpx_ne_u16_e32 0, v0
	s_cbranch_execz .LBB371_539
; %bb.532:                              ;   in Loop: Header=BB371_11 Depth=1
	v_bfrev_b32_e32 v43, 1
	s_mov_b32 s18, exec_lo
	v_cmpx_ne_u16_e32 0x80, v0
	s_cbranch_execz .LBB371_538
; %bb.533:                              ;   in Loop: Header=BB371_11 Depth=1
	v_and_b32_e32 v0, 0xffff, v0
	v_mov_b32_e32 v43, 0x7fc02000
	s_mov_b32 s19, exec_lo
	s_delay_alu instid0(VALU_DEP_2) | instskip(NEXT) | instid1(VALU_DEP_1)
	v_and_b32_e32 v2, 0x7f, v0
	v_cmpx_ne_u32_e32 0x7f, v2
	s_cbranch_execz .LBB371_537
; %bb.534:                              ;   in Loop: Header=BB371_11 Depth=1
	v_and_b32_e32 v8, 7, v0
	v_lshrrev_b32_e32 v1, 3, v2
	v_mov_b32_e32 v33, v9
	s_mov_b32 s20, exec_lo
	s_delay_alu instid0(VALU_DEP_3)
	v_mov_b32_e32 v32, v8
	v_cmpx_gt_u32_e32 8, v2
; %bb.535:                              ;   in Loop: Header=BB371_11 Depth=1
	v_clz_i32_u32_e32 v1, v8
	s_delay_alu instid0(VALU_DEP_1) | instskip(NEXT) | instid1(VALU_DEP_1)
	v_min_u32_e32 v1, 32, v1
	v_subrev_nc_u32_e32 v2, 28, v1
	v_sub_nc_u32_e32 v1, 29, v1
	s_delay_alu instid0(VALU_DEP_2) | instskip(NEXT) | instid1(VALU_DEP_1)
	v_lshlrev_b64 v[2:3], v2, v[8:9]
	v_and_b32_e32 v32, 7, v2
; %bb.536:                              ;   in Loop: Header=BB371_11 Depth=1
	s_or_b32 exec_lo, exec_lo, s20
	v_lshlrev_b32_e32 v0, 8, v0
	v_lshl_add_u32 v1, v1, 10, 0x2000
	s_delay_alu instid0(VALU_DEP_1) | instskip(NEXT) | instid1(VALU_DEP_1)
	v_and_or_b32 v0, 0x8000, v0, v1
	v_lshl_or_b32 v0, v32, 7, v0
	s_delay_alu instid0(VALU_DEP_1)
	v_cvt_f32_f16_e32 v43, v0
.LBB371_537:                            ;   in Loop: Header=BB371_11 Depth=1
	s_or_b32 exec_lo, exec_lo, s19
.LBB371_538:                            ;   in Loop: Header=BB371_11 Depth=1
	s_delay_alu instid0(SALU_CYCLE_1)
	s_or_b32 exec_lo, exec_lo, s18
.LBB371_539:                            ;   in Loop: Header=BB371_11 Depth=1
	s_delay_alu instid0(SALU_CYCLE_1) | instskip(SKIP_2) | instid1(VALU_DEP_1)
	s_or_b32 exec_lo, exec_lo, s17
	v_lshrrev_b32_e32 v0, 16, v30
	s_mov_b32 s17, exec_lo
	v_and_b32_e32 v1, 0xff, v0
	s_delay_alu instid0(VALU_DEP_1)
	v_cmpx_ne_u16_e32 0, v1
	s_cbranch_execz .LBB371_547
; %bb.540:                              ;   in Loop: Header=BB371_11 Depth=1
	v_bfrev_b32_e32 v42, 1
	s_mov_b32 s18, exec_lo
	v_cmpx_ne_u16_e32 0x80, v1
	s_cbranch_execz .LBB371_546
; %bb.541:                              ;   in Loop: Header=BB371_11 Depth=1
	v_bfe_u32 v2, v30, 16, 7
	v_mov_b32_e32 v42, 0x7fc02000
	s_mov_b32 s19, exec_lo
	s_delay_alu instid0(VALU_DEP_2)
	v_cmpx_ne_u32_e32 0x7f, v2
	s_cbranch_execz .LBB371_545
; %bb.542:                              ;   in Loop: Header=BB371_11 Depth=1
	v_and_b32_e32 v8, 7, v0
	v_lshrrev_b32_e32 v1, 3, v2
	v_mov_b32_e32 v33, v9
	s_mov_b32 s20, exec_lo
	s_delay_alu instid0(VALU_DEP_3)
	v_mov_b32_e32 v32, v8
	v_cmpx_gt_u32_e32 8, v2
; %bb.543:                              ;   in Loop: Header=BB371_11 Depth=1
	v_clz_i32_u32_e32 v1, v8
	s_delay_alu instid0(VALU_DEP_1) | instskip(NEXT) | instid1(VALU_DEP_1)
	v_min_u32_e32 v1, 32, v1
	v_subrev_nc_u32_e32 v2, 28, v1
	v_sub_nc_u32_e32 v1, 29, v1
	s_delay_alu instid0(VALU_DEP_2) | instskip(NEXT) | instid1(VALU_DEP_1)
	v_lshlrev_b64 v[2:3], v2, v[8:9]
	v_and_b32_e32 v32, 7, v2
; %bb.544:                              ;   in Loop: Header=BB371_11 Depth=1
	s_or_b32 exec_lo, exec_lo, s20
	v_lshlrev_b32_e32 v0, 8, v0
	v_lshl_add_u32 v1, v1, 10, 0x2000
	s_delay_alu instid0(VALU_DEP_1) | instskip(NEXT) | instid1(VALU_DEP_1)
	v_and_or_b32 v0, 0x8000, v0, v1
	v_lshl_or_b32 v0, v32, 7, v0
	s_delay_alu instid0(VALU_DEP_1)
	v_cvt_f32_f16_e32 v42, v0
.LBB371_545:                            ;   in Loop: Header=BB371_11 Depth=1
	s_or_b32 exec_lo, exec_lo, s19
.LBB371_546:                            ;   in Loop: Header=BB371_11 Depth=1
	s_delay_alu instid0(SALU_CYCLE_1)
	s_or_b32 exec_lo, exec_lo, s18
.LBB371_547:                            ;   in Loop: Header=BB371_11 Depth=1
	s_delay_alu instid0(SALU_CYCLE_1)
	s_or_b32 exec_lo, exec_lo, s17
	v_dual_mov_b32 v44, 0 :: v_dual_mov_b32 v45, 0
	s_mov_b32 s17, exec_lo
	v_cmpx_lt_u32_e32 0xffffff, v30
	s_cbranch_execz .LBB371_555
; %bb.548:                              ;   in Loop: Header=BB371_11 Depth=1
	v_lshrrev_b32_e32 v0, 24, v30
	v_bfrev_b32_e32 v45, 1
	s_mov_b32 s18, exec_lo
	s_delay_alu instid0(VALU_DEP_2)
	v_cmpx_ne_u32_e32 0x80, v0
	s_cbranch_execz .LBB371_554
; %bb.549:                              ;   in Loop: Header=BB371_11 Depth=1
	v_and_b32_e32 v2, 0x7f, v0
	v_mov_b32_e32 v45, 0x7fc02000
	s_mov_b32 s19, exec_lo
	s_delay_alu instid0(VALU_DEP_2)
	v_cmpx_ne_u32_e32 0x7f, v2
	s_cbranch_execz .LBB371_553
; %bb.550:                              ;   in Loop: Header=BB371_11 Depth=1
	v_and_b32_e32 v8, 7, v0
	v_lshrrev_b32_e32 v1, 3, v2
	v_mov_b32_e32 v33, v9
	s_mov_b32 s20, exec_lo
	s_delay_alu instid0(VALU_DEP_3)
	v_mov_b32_e32 v32, v8
	v_cmpx_gt_u32_e32 8, v2
; %bb.551:                              ;   in Loop: Header=BB371_11 Depth=1
	v_clz_i32_u32_e32 v1, v8
	s_delay_alu instid0(VALU_DEP_1) | instskip(NEXT) | instid1(VALU_DEP_1)
	v_min_u32_e32 v1, 32, v1
	v_subrev_nc_u32_e32 v2, 28, v1
	v_sub_nc_u32_e32 v1, 29, v1
	s_delay_alu instid0(VALU_DEP_2) | instskip(NEXT) | instid1(VALU_DEP_1)
	v_lshlrev_b64 v[2:3], v2, v[8:9]
	v_and_b32_e32 v32, 7, v2
; %bb.552:                              ;   in Loop: Header=BB371_11 Depth=1
	s_or_b32 exec_lo, exec_lo, s20
	v_lshlrev_b32_e32 v0, 8, v0
	v_lshl_add_u32 v1, v1, 10, 0x2000
	s_delay_alu instid0(VALU_DEP_1) | instskip(NEXT) | instid1(VALU_DEP_1)
	v_and_or_b32 v0, 0x8000, v0, v1
	v_lshl_or_b32 v0, v32, 7, v0
	s_delay_alu instid0(VALU_DEP_1)
	v_cvt_f32_f16_e32 v45, v0
.LBB371_553:                            ;   in Loop: Header=BB371_11 Depth=1
	s_or_b32 exec_lo, exec_lo, s19
.LBB371_554:                            ;   in Loop: Header=BB371_11 Depth=1
	s_delay_alu instid0(SALU_CYCLE_1)
	s_or_b32 exec_lo, exec_lo, s18
.LBB371_555:                            ;   in Loop: Header=BB371_11 Depth=1
	s_delay_alu instid0(SALU_CYCLE_1) | instskip(SKIP_3) | instid1(VALU_DEP_2)
	s_or_b32 exec_lo, exec_lo, s17
	v_and_b32_e32 v0, 0xff, v31
	v_mov_b32_e32 v8, v31
	s_mov_b32 s17, exec_lo
	v_cmpx_ne_u16_e32 0, v0
	s_cbranch_execz .LBB371_563
; %bb.556:                              ;   in Loop: Header=BB371_11 Depth=1
	v_bfrev_b32_e32 v44, 1
	s_mov_b32 s18, exec_lo
	v_cmpx_ne_u16_e32 0x80, v0
	s_cbranch_execz .LBB371_562
; %bb.557:                              ;   in Loop: Header=BB371_11 Depth=1
	v_and_b32_e32 v1, 0x7f, v31
	v_mov_b32_e32 v44, 0x7fc02000
	s_mov_b32 s19, exec_lo
	s_delay_alu instid0(VALU_DEP_2)
	v_cmpx_ne_u32_e32 0x7f, v1
	s_cbranch_execz .LBB371_561
; %bb.558:                              ;   in Loop: Header=BB371_11 Depth=1
	v_lshrrev_b32_e32 v0, 3, v1
	v_dual_mov_b32 v33, v9 :: v_dual_mov_b32 v32, v8
	s_mov_b32 s20, exec_lo
	v_cmpx_gt_u32_e32 8, v1
; %bb.559:                              ;   in Loop: Header=BB371_11 Depth=1
	v_and_b32_e32 v0, 7, v31
	s_delay_alu instid0(VALU_DEP_1) | instskip(NEXT) | instid1(VALU_DEP_1)
	v_clz_i32_u32_e32 v0, v0
	v_min_u32_e32 v0, 32, v0
	s_delay_alu instid0(VALU_DEP_1) | instskip(SKIP_1) | instid1(VALU_DEP_2)
	v_subrev_nc_u32_e32 v1, 28, v0
	v_sub_nc_u32_e32 v0, 29, v0
	v_lshlrev_b64 v[32:33], v1, v[8:9]
; %bb.560:                              ;   in Loop: Header=BB371_11 Depth=1
	s_or_b32 exec_lo, exec_lo, s20
	v_lshlrev_b32_e32 v1, 8, v31
	s_delay_alu instid0(VALU_DEP_3) | instskip(NEXT) | instid1(VALU_DEP_3)
	v_lshl_add_u32 v0, v0, 10, 0x2000
	v_lshlrev_b32_e32 v2, 7, v32
	s_delay_alu instid0(VALU_DEP_2) | instskip(NEXT) | instid1(VALU_DEP_1)
	v_and_or_b32 v0, 0x8000, v1, v0
	v_and_or_b32 v0, 0x380, v2, v0
	s_delay_alu instid0(VALU_DEP_1)
	v_cvt_f32_f16_e32 v44, v0
.LBB371_561:                            ;   in Loop: Header=BB371_11 Depth=1
	s_or_b32 exec_lo, exec_lo, s19
.LBB371_562:                            ;   in Loop: Header=BB371_11 Depth=1
	s_delay_alu instid0(SALU_CYCLE_1)
	s_or_b32 exec_lo, exec_lo, s18
.LBB371_563:                            ;   in Loop: Header=BB371_11 Depth=1
	s_delay_alu instid0(SALU_CYCLE_1) | instskip(SKIP_3) | instid1(VALU_DEP_2)
	s_or_b32 exec_lo, exec_lo, s17
	v_lshrrev_b16 v0, 8, v8
	v_dual_mov_b32 v46, 0 :: v_dual_mov_b32 v47, 0
	s_mov_b32 s17, exec_lo
	v_cmpx_ne_u16_e32 0, v0
	s_cbranch_execz .LBB371_571
; %bb.564:                              ;   in Loop: Header=BB371_11 Depth=1
	v_bfrev_b32_e32 v47, 1
	s_mov_b32 s18, exec_lo
	v_cmpx_ne_u16_e32 0x80, v0
	s_cbranch_execz .LBB371_570
; %bb.565:                              ;   in Loop: Header=BB371_11 Depth=1
	v_and_b32_e32 v0, 0xffff, v0
	v_mov_b32_e32 v47, 0x7fc02000
	s_mov_b32 s19, exec_lo
	s_delay_alu instid0(VALU_DEP_2) | instskip(NEXT) | instid1(VALU_DEP_1)
	v_and_b32_e32 v2, 0x7f, v0
	v_cmpx_ne_u32_e32 0x7f, v2
	s_cbranch_execz .LBB371_569
; %bb.566:                              ;   in Loop: Header=BB371_11 Depth=1
	v_and_b32_e32 v8, 7, v0
	v_lshrrev_b32_e32 v1, 3, v2
	v_mov_b32_e32 v33, v9
	s_mov_b32 s20, exec_lo
	s_delay_alu instid0(VALU_DEP_3)
	v_mov_b32_e32 v32, v8
	v_cmpx_gt_u32_e32 8, v2
; %bb.567:                              ;   in Loop: Header=BB371_11 Depth=1
	v_clz_i32_u32_e32 v1, v8
	s_delay_alu instid0(VALU_DEP_1) | instskip(NEXT) | instid1(VALU_DEP_1)
	v_min_u32_e32 v1, 32, v1
	v_subrev_nc_u32_e32 v2, 28, v1
	v_sub_nc_u32_e32 v1, 29, v1
	s_delay_alu instid0(VALU_DEP_2) | instskip(NEXT) | instid1(VALU_DEP_1)
	v_lshlrev_b64 v[2:3], v2, v[8:9]
	v_and_b32_e32 v32, 7, v2
; %bb.568:                              ;   in Loop: Header=BB371_11 Depth=1
	s_or_b32 exec_lo, exec_lo, s20
	v_lshlrev_b32_e32 v0, 8, v0
	v_lshl_add_u32 v1, v1, 10, 0x2000
	s_delay_alu instid0(VALU_DEP_1) | instskip(NEXT) | instid1(VALU_DEP_1)
	v_and_or_b32 v0, 0x8000, v0, v1
	v_lshl_or_b32 v0, v32, 7, v0
	s_delay_alu instid0(VALU_DEP_1)
	v_cvt_f32_f16_e32 v47, v0
.LBB371_569:                            ;   in Loop: Header=BB371_11 Depth=1
	s_or_b32 exec_lo, exec_lo, s19
.LBB371_570:                            ;   in Loop: Header=BB371_11 Depth=1
	s_delay_alu instid0(SALU_CYCLE_1)
	s_or_b32 exec_lo, exec_lo, s18
.LBB371_571:                            ;   in Loop: Header=BB371_11 Depth=1
	s_delay_alu instid0(SALU_CYCLE_1) | instskip(SKIP_2) | instid1(VALU_DEP_1)
	s_or_b32 exec_lo, exec_lo, s17
	v_lshrrev_b32_e32 v0, 16, v31
	s_mov_b32 s17, exec_lo
	v_and_b32_e32 v1, 0xff, v0
	s_delay_alu instid0(VALU_DEP_1)
	v_cmpx_ne_u16_e32 0, v1
	s_cbranch_execz .LBB371_579
; %bb.572:                              ;   in Loop: Header=BB371_11 Depth=1
	v_bfrev_b32_e32 v46, 1
	s_mov_b32 s18, exec_lo
	v_cmpx_ne_u16_e32 0x80, v1
	s_cbranch_execz .LBB371_578
; %bb.573:                              ;   in Loop: Header=BB371_11 Depth=1
	v_bfe_u32 v2, v31, 16, 7
	v_mov_b32_e32 v46, 0x7fc02000
	s_mov_b32 s19, exec_lo
	s_delay_alu instid0(VALU_DEP_2)
	v_cmpx_ne_u32_e32 0x7f, v2
	s_cbranch_execz .LBB371_577
; %bb.574:                              ;   in Loop: Header=BB371_11 Depth=1
	v_and_b32_e32 v8, 7, v0
	v_lshrrev_b32_e32 v1, 3, v2
	v_mov_b32_e32 v33, v9
	s_mov_b32 s20, exec_lo
	s_delay_alu instid0(VALU_DEP_3)
	v_mov_b32_e32 v32, v8
	v_cmpx_gt_u32_e32 8, v2
; %bb.575:                              ;   in Loop: Header=BB371_11 Depth=1
	v_clz_i32_u32_e32 v1, v8
	s_delay_alu instid0(VALU_DEP_1) | instskip(NEXT) | instid1(VALU_DEP_1)
	v_min_u32_e32 v1, 32, v1
	v_subrev_nc_u32_e32 v2, 28, v1
	v_sub_nc_u32_e32 v1, 29, v1
	s_delay_alu instid0(VALU_DEP_2) | instskip(NEXT) | instid1(VALU_DEP_1)
	v_lshlrev_b64 v[2:3], v2, v[8:9]
	v_and_b32_e32 v32, 7, v2
; %bb.576:                              ;   in Loop: Header=BB371_11 Depth=1
	s_or_b32 exec_lo, exec_lo, s20
	v_lshlrev_b32_e32 v0, 8, v0
	v_lshl_add_u32 v1, v1, 10, 0x2000
	s_delay_alu instid0(VALU_DEP_1) | instskip(NEXT) | instid1(VALU_DEP_1)
	v_and_or_b32 v0, 0x8000, v0, v1
	v_lshl_or_b32 v0, v32, 7, v0
	s_delay_alu instid0(VALU_DEP_1)
	v_cvt_f32_f16_e32 v46, v0
.LBB371_577:                            ;   in Loop: Header=BB371_11 Depth=1
	s_or_b32 exec_lo, exec_lo, s19
.LBB371_578:                            ;   in Loop: Header=BB371_11 Depth=1
	s_delay_alu instid0(SALU_CYCLE_1)
	s_or_b32 exec_lo, exec_lo, s18
.LBB371_579:                            ;   in Loop: Header=BB371_11 Depth=1
	s_delay_alu instid0(SALU_CYCLE_1)
	s_or_b32 exec_lo, exec_lo, s17
	v_dual_mov_b32 v57, 0 :: v_dual_mov_b32 v56, 0
	s_mov_b32 s17, exec_lo
	v_cmpx_lt_u64_e64 s[2:3], v[30:31]
	s_cbranch_execz .LBB371_587
; %bb.580:                              ;   in Loop: Header=BB371_11 Depth=1
	v_lshrrev_b32_e32 v0, 24, v31
	v_bfrev_b32_e32 v56, 1
	s_mov_b32 s18, exec_lo
	s_delay_alu instid0(VALU_DEP_2)
	v_cmpx_ne_u32_e32 0x80, v0
	s_cbranch_execz .LBB371_586
; %bb.581:                              ;   in Loop: Header=BB371_11 Depth=1
	v_and_b32_e32 v2, 0x7f, v0
	v_mov_b32_e32 v56, 0x7fc02000
	s_mov_b32 s19, exec_lo
	s_delay_alu instid0(VALU_DEP_2)
	v_cmpx_ne_u32_e32 0x7f, v2
	s_cbranch_execz .LBB371_585
; %bb.582:                              ;   in Loop: Header=BB371_11 Depth=1
	v_and_b32_e32 v8, 7, v0
	v_lshrrev_b32_e32 v1, 3, v2
	v_mov_b32_e32 v31, v9
	s_mov_b32 s20, exec_lo
	s_delay_alu instid0(VALU_DEP_3)
	v_mov_b32_e32 v30, v8
	v_cmpx_gt_u32_e32 8, v2
; %bb.583:                              ;   in Loop: Header=BB371_11 Depth=1
	v_clz_i32_u32_e32 v1, v8
	s_delay_alu instid0(VALU_DEP_1) | instskip(NEXT) | instid1(VALU_DEP_1)
	v_min_u32_e32 v1, 32, v1
	v_subrev_nc_u32_e32 v2, 28, v1
	v_sub_nc_u32_e32 v1, 29, v1
	s_delay_alu instid0(VALU_DEP_2) | instskip(NEXT) | instid1(VALU_DEP_1)
	v_lshlrev_b64 v[2:3], v2, v[8:9]
	v_and_b32_e32 v30, 7, v2
; %bb.584:                              ;   in Loop: Header=BB371_11 Depth=1
	s_or_b32 exec_lo, exec_lo, s20
	v_lshlrev_b32_e32 v0, 8, v0
	v_lshl_add_u32 v1, v1, 10, 0x2000
	s_delay_alu instid0(VALU_DEP_1) | instskip(NEXT) | instid1(VALU_DEP_1)
	v_and_or_b32 v0, 0x8000, v0, v1
	v_lshl_or_b32 v0, v30, 7, v0
	s_delay_alu instid0(VALU_DEP_1)
	v_cvt_f32_f16_e32 v56, v0
.LBB371_585:                            ;   in Loop: Header=BB371_11 Depth=1
	s_or_b32 exec_lo, exec_lo, s19
.LBB371_586:                            ;   in Loop: Header=BB371_11 Depth=1
	s_delay_alu instid0(SALU_CYCLE_1)
	s_or_b32 exec_lo, exec_lo, s18
.LBB371_587:                            ;   in Loop: Header=BB371_11 Depth=1
	s_delay_alu instid0(SALU_CYCLE_1) | instskip(SKIP_4) | instid1(VALU_DEP_1)
	s_or_b32 exec_lo, exec_lo, s17
	flat_load_b64 v[30:31], v[28:29] offset:2056
	s_mov_b32 s17, exec_lo
	s_waitcnt vmcnt(0) lgkmcnt(0)
	v_and_b32_e32 v0, 0xff, v30
	v_cmpx_ne_u16_e32 0, v0
	s_cbranch_execz .LBB371_595
; %bb.588:                              ;   in Loop: Header=BB371_11 Depth=1
	v_bfrev_b32_e32 v57, 1
	s_mov_b32 s18, exec_lo
	v_cmpx_ne_u16_e32 0x80, v0
	s_cbranch_execz .LBB371_594
; %bb.589:                              ;   in Loop: Header=BB371_11 Depth=1
	v_and_b32_e32 v1, 0x7f, v30
	v_mov_b32_e32 v57, 0x7fc02000
	s_mov_b32 s19, exec_lo
	s_delay_alu instid0(VALU_DEP_2)
	v_cmpx_ne_u32_e32 0x7f, v1
	s_cbranch_execz .LBB371_593
; %bb.590:                              ;   in Loop: Header=BB371_11 Depth=1
	v_lshrrev_b32_e32 v0, 3, v1
	v_dual_mov_b32 v33, v31 :: v_dual_mov_b32 v32, v30
	s_mov_b32 s20, exec_lo
	v_cmpx_gt_u32_e32 8, v1
; %bb.591:                              ;   in Loop: Header=BB371_11 Depth=1
	v_and_b32_e32 v0, 7, v30
	s_delay_alu instid0(VALU_DEP_1) | instskip(NEXT) | instid1(VALU_DEP_1)
	v_clz_i32_u32_e32 v0, v0
	v_min_u32_e32 v0, 32, v0
	s_delay_alu instid0(VALU_DEP_1) | instskip(SKIP_1) | instid1(VALU_DEP_2)
	v_subrev_nc_u32_e32 v1, 28, v0
	v_sub_nc_u32_e32 v0, 29, v0
	v_lshlrev_b64 v[32:33], v1, v[30:31]
; %bb.592:                              ;   in Loop: Header=BB371_11 Depth=1
	s_or_b32 exec_lo, exec_lo, s20
	v_lshlrev_b32_e32 v1, 8, v30
	s_delay_alu instid0(VALU_DEP_3) | instskip(NEXT) | instid1(VALU_DEP_3)
	v_lshl_add_u32 v0, v0, 10, 0x2000
	v_lshlrev_b32_e32 v2, 7, v32
	s_delay_alu instid0(VALU_DEP_2) | instskip(NEXT) | instid1(VALU_DEP_1)
	v_and_or_b32 v0, 0x8000, v1, v0
	v_and_or_b32 v0, 0x380, v2, v0
	s_delay_alu instid0(VALU_DEP_1)
	v_cvt_f32_f16_e32 v57, v0
.LBB371_593:                            ;   in Loop: Header=BB371_11 Depth=1
	s_or_b32 exec_lo, exec_lo, s19
.LBB371_594:                            ;   in Loop: Header=BB371_11 Depth=1
	s_delay_alu instid0(SALU_CYCLE_1)
	s_or_b32 exec_lo, exec_lo, s18
.LBB371_595:                            ;   in Loop: Header=BB371_11 Depth=1
	s_delay_alu instid0(SALU_CYCLE_1) | instskip(SKIP_3) | instid1(VALU_DEP_2)
	s_or_b32 exec_lo, exec_lo, s17
	v_lshrrev_b16 v0, 8, v30
	v_dual_mov_b32 v58, 0 :: v_dual_mov_b32 v59, 0
	s_mov_b32 s17, exec_lo
	v_cmpx_ne_u16_e32 0, v0
	s_cbranch_execz .LBB371_603
; %bb.596:                              ;   in Loop: Header=BB371_11 Depth=1
	v_bfrev_b32_e32 v59, 1
	s_mov_b32 s18, exec_lo
	v_cmpx_ne_u16_e32 0x80, v0
	s_cbranch_execz .LBB371_602
; %bb.597:                              ;   in Loop: Header=BB371_11 Depth=1
	v_and_b32_e32 v0, 0xffff, v0
	v_mov_b32_e32 v59, 0x7fc02000
	s_mov_b32 s19, exec_lo
	s_delay_alu instid0(VALU_DEP_2) | instskip(NEXT) | instid1(VALU_DEP_1)
	v_and_b32_e32 v2, 0x7f, v0
	v_cmpx_ne_u32_e32 0x7f, v2
	s_cbranch_execz .LBB371_601
; %bb.598:                              ;   in Loop: Header=BB371_11 Depth=1
	v_and_b32_e32 v8, 7, v0
	v_lshrrev_b32_e32 v1, 3, v2
	v_mov_b32_e32 v33, v9
	s_mov_b32 s20, exec_lo
	s_delay_alu instid0(VALU_DEP_3)
	v_mov_b32_e32 v32, v8
	v_cmpx_gt_u32_e32 8, v2
; %bb.599:                              ;   in Loop: Header=BB371_11 Depth=1
	v_clz_i32_u32_e32 v1, v8
	s_delay_alu instid0(VALU_DEP_1) | instskip(NEXT) | instid1(VALU_DEP_1)
	v_min_u32_e32 v1, 32, v1
	v_subrev_nc_u32_e32 v2, 28, v1
	v_sub_nc_u32_e32 v1, 29, v1
	s_delay_alu instid0(VALU_DEP_2) | instskip(NEXT) | instid1(VALU_DEP_1)
	v_lshlrev_b64 v[2:3], v2, v[8:9]
	v_and_b32_e32 v32, 7, v2
; %bb.600:                              ;   in Loop: Header=BB371_11 Depth=1
	s_or_b32 exec_lo, exec_lo, s20
	v_lshlrev_b32_e32 v0, 8, v0
	v_lshl_add_u32 v1, v1, 10, 0x2000
	s_delay_alu instid0(VALU_DEP_1) | instskip(NEXT) | instid1(VALU_DEP_1)
	v_and_or_b32 v0, 0x8000, v0, v1
	v_lshl_or_b32 v0, v32, 7, v0
	s_delay_alu instid0(VALU_DEP_1)
	v_cvt_f32_f16_e32 v59, v0
.LBB371_601:                            ;   in Loop: Header=BB371_11 Depth=1
	s_or_b32 exec_lo, exec_lo, s19
.LBB371_602:                            ;   in Loop: Header=BB371_11 Depth=1
	s_delay_alu instid0(SALU_CYCLE_1)
	s_or_b32 exec_lo, exec_lo, s18
.LBB371_603:                            ;   in Loop: Header=BB371_11 Depth=1
	s_delay_alu instid0(SALU_CYCLE_1) | instskip(SKIP_2) | instid1(VALU_DEP_1)
	s_or_b32 exec_lo, exec_lo, s17
	v_lshrrev_b32_e32 v0, 16, v30
	s_mov_b32 s17, exec_lo
	v_and_b32_e32 v1, 0xff, v0
	s_delay_alu instid0(VALU_DEP_1)
	v_cmpx_ne_u16_e32 0, v1
	s_cbranch_execz .LBB371_611
; %bb.604:                              ;   in Loop: Header=BB371_11 Depth=1
	v_bfrev_b32_e32 v58, 1
	s_mov_b32 s18, exec_lo
	v_cmpx_ne_u16_e32 0x80, v1
	s_cbranch_execz .LBB371_610
; %bb.605:                              ;   in Loop: Header=BB371_11 Depth=1
	v_bfe_u32 v2, v30, 16, 7
	v_mov_b32_e32 v58, 0x7fc02000
	s_mov_b32 s19, exec_lo
	s_delay_alu instid0(VALU_DEP_2)
	v_cmpx_ne_u32_e32 0x7f, v2
	s_cbranch_execz .LBB371_609
; %bb.606:                              ;   in Loop: Header=BB371_11 Depth=1
	v_and_b32_e32 v8, 7, v0
	v_lshrrev_b32_e32 v1, 3, v2
	v_mov_b32_e32 v33, v9
	s_mov_b32 s20, exec_lo
	s_delay_alu instid0(VALU_DEP_3)
	v_mov_b32_e32 v32, v8
	v_cmpx_gt_u32_e32 8, v2
; %bb.607:                              ;   in Loop: Header=BB371_11 Depth=1
	v_clz_i32_u32_e32 v1, v8
	s_delay_alu instid0(VALU_DEP_1) | instskip(NEXT) | instid1(VALU_DEP_1)
	v_min_u32_e32 v1, 32, v1
	v_subrev_nc_u32_e32 v2, 28, v1
	v_sub_nc_u32_e32 v1, 29, v1
	s_delay_alu instid0(VALU_DEP_2) | instskip(NEXT) | instid1(VALU_DEP_1)
	v_lshlrev_b64 v[2:3], v2, v[8:9]
	v_and_b32_e32 v32, 7, v2
; %bb.608:                              ;   in Loop: Header=BB371_11 Depth=1
	s_or_b32 exec_lo, exec_lo, s20
	v_lshlrev_b32_e32 v0, 8, v0
	v_lshl_add_u32 v1, v1, 10, 0x2000
	s_delay_alu instid0(VALU_DEP_1) | instskip(NEXT) | instid1(VALU_DEP_1)
	v_and_or_b32 v0, 0x8000, v0, v1
	v_lshl_or_b32 v0, v32, 7, v0
	s_delay_alu instid0(VALU_DEP_1)
	v_cvt_f32_f16_e32 v58, v0
.LBB371_609:                            ;   in Loop: Header=BB371_11 Depth=1
	s_or_b32 exec_lo, exec_lo, s19
.LBB371_610:                            ;   in Loop: Header=BB371_11 Depth=1
	s_delay_alu instid0(SALU_CYCLE_1)
	s_or_b32 exec_lo, exec_lo, s18
.LBB371_611:                            ;   in Loop: Header=BB371_11 Depth=1
	s_delay_alu instid0(SALU_CYCLE_1)
	s_or_b32 exec_lo, exec_lo, s17
	v_dual_mov_b32 v60, 0 :: v_dual_mov_b32 v61, 0
	s_mov_b32 s17, exec_lo
	v_cmpx_lt_u32_e32 0xffffff, v30
	s_cbranch_execz .LBB371_619
; %bb.612:                              ;   in Loop: Header=BB371_11 Depth=1
	v_lshrrev_b32_e32 v0, 24, v30
	v_bfrev_b32_e32 v61, 1
	s_mov_b32 s18, exec_lo
	s_delay_alu instid0(VALU_DEP_2)
	v_cmpx_ne_u32_e32 0x80, v0
	s_cbranch_execz .LBB371_618
; %bb.613:                              ;   in Loop: Header=BB371_11 Depth=1
	v_and_b32_e32 v2, 0x7f, v0
	v_mov_b32_e32 v61, 0x7fc02000
	s_mov_b32 s19, exec_lo
	s_delay_alu instid0(VALU_DEP_2)
	v_cmpx_ne_u32_e32 0x7f, v2
	s_cbranch_execz .LBB371_617
; %bb.614:                              ;   in Loop: Header=BB371_11 Depth=1
	v_and_b32_e32 v8, 7, v0
	v_lshrrev_b32_e32 v1, 3, v2
	v_mov_b32_e32 v33, v9
	s_mov_b32 s20, exec_lo
	s_delay_alu instid0(VALU_DEP_3)
	v_mov_b32_e32 v32, v8
	v_cmpx_gt_u32_e32 8, v2
; %bb.615:                              ;   in Loop: Header=BB371_11 Depth=1
	v_clz_i32_u32_e32 v1, v8
	s_delay_alu instid0(VALU_DEP_1) | instskip(NEXT) | instid1(VALU_DEP_1)
	v_min_u32_e32 v1, 32, v1
	v_subrev_nc_u32_e32 v2, 28, v1
	v_sub_nc_u32_e32 v1, 29, v1
	s_delay_alu instid0(VALU_DEP_2) | instskip(NEXT) | instid1(VALU_DEP_1)
	v_lshlrev_b64 v[2:3], v2, v[8:9]
	v_and_b32_e32 v32, 7, v2
; %bb.616:                              ;   in Loop: Header=BB371_11 Depth=1
	s_or_b32 exec_lo, exec_lo, s20
	v_lshlrev_b32_e32 v0, 8, v0
	v_lshl_add_u32 v1, v1, 10, 0x2000
	s_delay_alu instid0(VALU_DEP_1) | instskip(NEXT) | instid1(VALU_DEP_1)
	v_and_or_b32 v0, 0x8000, v0, v1
	v_lshl_or_b32 v0, v32, 7, v0
	s_delay_alu instid0(VALU_DEP_1)
	v_cvt_f32_f16_e32 v61, v0
.LBB371_617:                            ;   in Loop: Header=BB371_11 Depth=1
	s_or_b32 exec_lo, exec_lo, s19
.LBB371_618:                            ;   in Loop: Header=BB371_11 Depth=1
	s_delay_alu instid0(SALU_CYCLE_1)
	s_or_b32 exec_lo, exec_lo, s18
.LBB371_619:                            ;   in Loop: Header=BB371_11 Depth=1
	s_delay_alu instid0(SALU_CYCLE_1) | instskip(SKIP_3) | instid1(VALU_DEP_2)
	s_or_b32 exec_lo, exec_lo, s17
	v_and_b32_e32 v0, 0xff, v31
	v_mov_b32_e32 v8, v31
	s_mov_b32 s17, exec_lo
	v_cmpx_ne_u16_e32 0, v0
	s_cbranch_execz .LBB371_627
; %bb.620:                              ;   in Loop: Header=BB371_11 Depth=1
	v_bfrev_b32_e32 v60, 1
	s_mov_b32 s18, exec_lo
	v_cmpx_ne_u16_e32 0x80, v0
	s_cbranch_execz .LBB371_626
; %bb.621:                              ;   in Loop: Header=BB371_11 Depth=1
	v_and_b32_e32 v1, 0x7f, v31
	v_mov_b32_e32 v60, 0x7fc02000
	s_mov_b32 s19, exec_lo
	s_delay_alu instid0(VALU_DEP_2)
	v_cmpx_ne_u32_e32 0x7f, v1
	s_cbranch_execz .LBB371_625
; %bb.622:                              ;   in Loop: Header=BB371_11 Depth=1
	v_lshrrev_b32_e32 v0, 3, v1
	v_dual_mov_b32 v33, v9 :: v_dual_mov_b32 v32, v8
	s_mov_b32 s20, exec_lo
	v_cmpx_gt_u32_e32 8, v1
; %bb.623:                              ;   in Loop: Header=BB371_11 Depth=1
	v_and_b32_e32 v0, 7, v31
	s_delay_alu instid0(VALU_DEP_1) | instskip(NEXT) | instid1(VALU_DEP_1)
	v_clz_i32_u32_e32 v0, v0
	v_min_u32_e32 v0, 32, v0
	s_delay_alu instid0(VALU_DEP_1) | instskip(SKIP_1) | instid1(VALU_DEP_2)
	v_subrev_nc_u32_e32 v1, 28, v0
	v_sub_nc_u32_e32 v0, 29, v0
	v_lshlrev_b64 v[32:33], v1, v[8:9]
; %bb.624:                              ;   in Loop: Header=BB371_11 Depth=1
	s_or_b32 exec_lo, exec_lo, s20
	v_lshlrev_b32_e32 v1, 8, v31
	s_delay_alu instid0(VALU_DEP_3) | instskip(NEXT) | instid1(VALU_DEP_3)
	v_lshl_add_u32 v0, v0, 10, 0x2000
	v_lshlrev_b32_e32 v2, 7, v32
	s_delay_alu instid0(VALU_DEP_2) | instskip(NEXT) | instid1(VALU_DEP_1)
	v_and_or_b32 v0, 0x8000, v1, v0
	v_and_or_b32 v0, 0x380, v2, v0
	s_delay_alu instid0(VALU_DEP_1)
	v_cvt_f32_f16_e32 v60, v0
.LBB371_625:                            ;   in Loop: Header=BB371_11 Depth=1
	s_or_b32 exec_lo, exec_lo, s19
.LBB371_626:                            ;   in Loop: Header=BB371_11 Depth=1
	s_delay_alu instid0(SALU_CYCLE_1)
	s_or_b32 exec_lo, exec_lo, s18
.LBB371_627:                            ;   in Loop: Header=BB371_11 Depth=1
	s_delay_alu instid0(SALU_CYCLE_1) | instskip(SKIP_3) | instid1(VALU_DEP_2)
	s_or_b32 exec_lo, exec_lo, s17
	v_lshrrev_b16 v0, 8, v8
	v_dual_mov_b32 v62, 0 :: v_dual_mov_b32 v63, 0
	s_mov_b32 s17, exec_lo
	v_cmpx_ne_u16_e32 0, v0
	s_cbranch_execz .LBB371_635
; %bb.628:                              ;   in Loop: Header=BB371_11 Depth=1
	v_bfrev_b32_e32 v63, 1
	s_mov_b32 s18, exec_lo
	v_cmpx_ne_u16_e32 0x80, v0
	s_cbranch_execz .LBB371_634
; %bb.629:                              ;   in Loop: Header=BB371_11 Depth=1
	v_and_b32_e32 v0, 0xffff, v0
	v_mov_b32_e32 v63, 0x7fc02000
	s_mov_b32 s19, exec_lo
	s_delay_alu instid0(VALU_DEP_2) | instskip(NEXT) | instid1(VALU_DEP_1)
	v_and_b32_e32 v2, 0x7f, v0
	v_cmpx_ne_u32_e32 0x7f, v2
	s_cbranch_execz .LBB371_633
; %bb.630:                              ;   in Loop: Header=BB371_11 Depth=1
	v_and_b32_e32 v8, 7, v0
	v_lshrrev_b32_e32 v1, 3, v2
	v_mov_b32_e32 v33, v9
	s_mov_b32 s20, exec_lo
	s_delay_alu instid0(VALU_DEP_3)
	v_mov_b32_e32 v32, v8
	v_cmpx_gt_u32_e32 8, v2
; %bb.631:                              ;   in Loop: Header=BB371_11 Depth=1
	v_clz_i32_u32_e32 v1, v8
	s_delay_alu instid0(VALU_DEP_1) | instskip(NEXT) | instid1(VALU_DEP_1)
	v_min_u32_e32 v1, 32, v1
	v_subrev_nc_u32_e32 v2, 28, v1
	v_sub_nc_u32_e32 v1, 29, v1
	s_delay_alu instid0(VALU_DEP_2) | instskip(NEXT) | instid1(VALU_DEP_1)
	v_lshlrev_b64 v[2:3], v2, v[8:9]
	v_and_b32_e32 v32, 7, v2
; %bb.632:                              ;   in Loop: Header=BB371_11 Depth=1
	s_or_b32 exec_lo, exec_lo, s20
	v_lshlrev_b32_e32 v0, 8, v0
	v_lshl_add_u32 v1, v1, 10, 0x2000
	s_delay_alu instid0(VALU_DEP_1) | instskip(NEXT) | instid1(VALU_DEP_1)
	v_and_or_b32 v0, 0x8000, v0, v1
	v_lshl_or_b32 v0, v32, 7, v0
	s_delay_alu instid0(VALU_DEP_1)
	v_cvt_f32_f16_e32 v63, v0
.LBB371_633:                            ;   in Loop: Header=BB371_11 Depth=1
	s_or_b32 exec_lo, exec_lo, s19
.LBB371_634:                            ;   in Loop: Header=BB371_11 Depth=1
	s_delay_alu instid0(SALU_CYCLE_1)
	s_or_b32 exec_lo, exec_lo, s18
.LBB371_635:                            ;   in Loop: Header=BB371_11 Depth=1
	s_delay_alu instid0(SALU_CYCLE_1) | instskip(SKIP_2) | instid1(VALU_DEP_1)
	s_or_b32 exec_lo, exec_lo, s17
	v_lshrrev_b32_e32 v0, 16, v31
	s_mov_b32 s17, exec_lo
	v_and_b32_e32 v1, 0xff, v0
	s_delay_alu instid0(VALU_DEP_1)
	v_cmpx_ne_u16_e32 0, v1
	s_cbranch_execz .LBB371_643
; %bb.636:                              ;   in Loop: Header=BB371_11 Depth=1
	v_bfrev_b32_e32 v62, 1
	s_mov_b32 s18, exec_lo
	v_cmpx_ne_u16_e32 0x80, v1
	s_cbranch_execz .LBB371_642
; %bb.637:                              ;   in Loop: Header=BB371_11 Depth=1
	v_bfe_u32 v2, v31, 16, 7
	v_mov_b32_e32 v62, 0x7fc02000
	s_mov_b32 s19, exec_lo
	s_delay_alu instid0(VALU_DEP_2)
	v_cmpx_ne_u32_e32 0x7f, v2
	s_cbranch_execz .LBB371_641
; %bb.638:                              ;   in Loop: Header=BB371_11 Depth=1
	v_and_b32_e32 v8, 7, v0
	v_lshrrev_b32_e32 v1, 3, v2
	v_mov_b32_e32 v33, v9
	s_mov_b32 s20, exec_lo
	s_delay_alu instid0(VALU_DEP_3)
	v_mov_b32_e32 v32, v8
	v_cmpx_gt_u32_e32 8, v2
; %bb.639:                              ;   in Loop: Header=BB371_11 Depth=1
	v_clz_i32_u32_e32 v1, v8
	s_delay_alu instid0(VALU_DEP_1) | instskip(NEXT) | instid1(VALU_DEP_1)
	v_min_u32_e32 v1, 32, v1
	v_subrev_nc_u32_e32 v2, 28, v1
	v_sub_nc_u32_e32 v1, 29, v1
	s_delay_alu instid0(VALU_DEP_2) | instskip(NEXT) | instid1(VALU_DEP_1)
	v_lshlrev_b64 v[2:3], v2, v[8:9]
	v_and_b32_e32 v32, 7, v2
; %bb.640:                              ;   in Loop: Header=BB371_11 Depth=1
	s_or_b32 exec_lo, exec_lo, s20
	v_lshlrev_b32_e32 v0, 8, v0
	v_lshl_add_u32 v1, v1, 10, 0x2000
	s_delay_alu instid0(VALU_DEP_1) | instskip(NEXT) | instid1(VALU_DEP_1)
	v_and_or_b32 v0, 0x8000, v0, v1
	v_lshl_or_b32 v0, v32, 7, v0
	s_delay_alu instid0(VALU_DEP_1)
	v_cvt_f32_f16_e32 v62, v0
.LBB371_641:                            ;   in Loop: Header=BB371_11 Depth=1
	s_or_b32 exec_lo, exec_lo, s19
.LBB371_642:                            ;   in Loop: Header=BB371_11 Depth=1
	s_delay_alu instid0(SALU_CYCLE_1)
	s_or_b32 exec_lo, exec_lo, s18
.LBB371_643:                            ;   in Loop: Header=BB371_11 Depth=1
	s_delay_alu instid0(SALU_CYCLE_1)
	s_or_b32 exec_lo, exec_lo, s17
	v_dual_mov_b32 v73, 0 :: v_dual_mov_b32 v72, 0
	s_mov_b32 s17, exec_lo
	v_cmpx_lt_u64_e64 s[2:3], v[30:31]
	s_cbranch_execz .LBB371_651
; %bb.644:                              ;   in Loop: Header=BB371_11 Depth=1
	v_lshrrev_b32_e32 v0, 24, v31
	v_bfrev_b32_e32 v72, 1
	s_mov_b32 s18, exec_lo
	s_delay_alu instid0(VALU_DEP_2)
	v_cmpx_ne_u32_e32 0x80, v0
	s_cbranch_execz .LBB371_650
; %bb.645:                              ;   in Loop: Header=BB371_11 Depth=1
	v_and_b32_e32 v2, 0x7f, v0
	v_mov_b32_e32 v72, 0x7fc02000
	s_mov_b32 s19, exec_lo
	s_delay_alu instid0(VALU_DEP_2)
	v_cmpx_ne_u32_e32 0x7f, v2
	s_cbranch_execz .LBB371_649
; %bb.646:                              ;   in Loop: Header=BB371_11 Depth=1
	v_and_b32_e32 v8, 7, v0
	v_lshrrev_b32_e32 v1, 3, v2
	v_mov_b32_e32 v31, v9
	s_mov_b32 s20, exec_lo
	s_delay_alu instid0(VALU_DEP_3)
	v_mov_b32_e32 v30, v8
	v_cmpx_gt_u32_e32 8, v2
; %bb.647:                              ;   in Loop: Header=BB371_11 Depth=1
	v_clz_i32_u32_e32 v1, v8
	s_delay_alu instid0(VALU_DEP_1) | instskip(NEXT) | instid1(VALU_DEP_1)
	v_min_u32_e32 v1, 32, v1
	v_subrev_nc_u32_e32 v2, 28, v1
	v_sub_nc_u32_e32 v1, 29, v1
	s_delay_alu instid0(VALU_DEP_2) | instskip(NEXT) | instid1(VALU_DEP_1)
	v_lshlrev_b64 v[2:3], v2, v[8:9]
	v_and_b32_e32 v30, 7, v2
; %bb.648:                              ;   in Loop: Header=BB371_11 Depth=1
	s_or_b32 exec_lo, exec_lo, s20
	v_lshlrev_b32_e32 v0, 8, v0
	v_lshl_add_u32 v1, v1, 10, 0x2000
	s_delay_alu instid0(VALU_DEP_1) | instskip(NEXT) | instid1(VALU_DEP_1)
	v_and_or_b32 v0, 0x8000, v0, v1
	v_lshl_or_b32 v0, v30, 7, v0
	s_delay_alu instid0(VALU_DEP_1)
	v_cvt_f32_f16_e32 v72, v0
.LBB371_649:                            ;   in Loop: Header=BB371_11 Depth=1
	s_or_b32 exec_lo, exec_lo, s19
.LBB371_650:                            ;   in Loop: Header=BB371_11 Depth=1
	s_delay_alu instid0(SALU_CYCLE_1)
	s_or_b32 exec_lo, exec_lo, s18
.LBB371_651:                            ;   in Loop: Header=BB371_11 Depth=1
	s_delay_alu instid0(SALU_CYCLE_1) | instskip(SKIP_4) | instid1(VALU_DEP_1)
	s_or_b32 exec_lo, exec_lo, s17
	flat_load_b64 v[30:31], v[28:29] offset:2560
	s_mov_b32 s17, exec_lo
	s_waitcnt vmcnt(0) lgkmcnt(0)
	v_and_b32_e32 v0, 0xff, v30
	v_cmpx_ne_u16_e32 0, v0
	s_cbranch_execz .LBB371_659
; %bb.652:                              ;   in Loop: Header=BB371_11 Depth=1
	v_bfrev_b32_e32 v73, 1
	s_mov_b32 s18, exec_lo
	v_cmpx_ne_u16_e32 0x80, v0
	s_cbranch_execz .LBB371_658
; %bb.653:                              ;   in Loop: Header=BB371_11 Depth=1
	v_and_b32_e32 v1, 0x7f, v30
	v_mov_b32_e32 v73, 0x7fc02000
	s_mov_b32 s19, exec_lo
	s_delay_alu instid0(VALU_DEP_2)
	v_cmpx_ne_u32_e32 0x7f, v1
	s_cbranch_execz .LBB371_657
; %bb.654:                              ;   in Loop: Header=BB371_11 Depth=1
	v_lshrrev_b32_e32 v0, 3, v1
	v_dual_mov_b32 v33, v31 :: v_dual_mov_b32 v32, v30
	s_mov_b32 s20, exec_lo
	v_cmpx_gt_u32_e32 8, v1
; %bb.655:                              ;   in Loop: Header=BB371_11 Depth=1
	v_and_b32_e32 v0, 7, v30
	s_delay_alu instid0(VALU_DEP_1) | instskip(NEXT) | instid1(VALU_DEP_1)
	v_clz_i32_u32_e32 v0, v0
	v_min_u32_e32 v0, 32, v0
	s_delay_alu instid0(VALU_DEP_1) | instskip(SKIP_1) | instid1(VALU_DEP_2)
	v_subrev_nc_u32_e32 v1, 28, v0
	v_sub_nc_u32_e32 v0, 29, v0
	v_lshlrev_b64 v[32:33], v1, v[30:31]
; %bb.656:                              ;   in Loop: Header=BB371_11 Depth=1
	s_or_b32 exec_lo, exec_lo, s20
	v_lshlrev_b32_e32 v1, 8, v30
	s_delay_alu instid0(VALU_DEP_3) | instskip(NEXT) | instid1(VALU_DEP_3)
	v_lshl_add_u32 v0, v0, 10, 0x2000
	v_lshlrev_b32_e32 v2, 7, v32
	s_delay_alu instid0(VALU_DEP_2) | instskip(NEXT) | instid1(VALU_DEP_1)
	v_and_or_b32 v0, 0x8000, v1, v0
	v_and_or_b32 v0, 0x380, v2, v0
	s_delay_alu instid0(VALU_DEP_1)
	v_cvt_f32_f16_e32 v73, v0
.LBB371_657:                            ;   in Loop: Header=BB371_11 Depth=1
	s_or_b32 exec_lo, exec_lo, s19
.LBB371_658:                            ;   in Loop: Header=BB371_11 Depth=1
	s_delay_alu instid0(SALU_CYCLE_1)
	s_or_b32 exec_lo, exec_lo, s18
.LBB371_659:                            ;   in Loop: Header=BB371_11 Depth=1
	s_delay_alu instid0(SALU_CYCLE_1) | instskip(SKIP_3) | instid1(VALU_DEP_2)
	s_or_b32 exec_lo, exec_lo, s17
	v_lshrrev_b16 v0, 8, v30
	v_dual_mov_b32 v74, 0 :: v_dual_mov_b32 v75, 0
	s_mov_b32 s17, exec_lo
	v_cmpx_ne_u16_e32 0, v0
	s_cbranch_execz .LBB371_667
; %bb.660:                              ;   in Loop: Header=BB371_11 Depth=1
	v_bfrev_b32_e32 v75, 1
	s_mov_b32 s18, exec_lo
	v_cmpx_ne_u16_e32 0x80, v0
	s_cbranch_execz .LBB371_666
; %bb.661:                              ;   in Loop: Header=BB371_11 Depth=1
	v_and_b32_e32 v0, 0xffff, v0
	v_mov_b32_e32 v75, 0x7fc02000
	s_mov_b32 s19, exec_lo
	s_delay_alu instid0(VALU_DEP_2) | instskip(NEXT) | instid1(VALU_DEP_1)
	v_and_b32_e32 v2, 0x7f, v0
	v_cmpx_ne_u32_e32 0x7f, v2
	s_cbranch_execz .LBB371_665
; %bb.662:                              ;   in Loop: Header=BB371_11 Depth=1
	v_and_b32_e32 v8, 7, v0
	v_lshrrev_b32_e32 v1, 3, v2
	v_mov_b32_e32 v33, v9
	s_mov_b32 s20, exec_lo
	s_delay_alu instid0(VALU_DEP_3)
	v_mov_b32_e32 v32, v8
	v_cmpx_gt_u32_e32 8, v2
; %bb.663:                              ;   in Loop: Header=BB371_11 Depth=1
	v_clz_i32_u32_e32 v1, v8
	s_delay_alu instid0(VALU_DEP_1) | instskip(NEXT) | instid1(VALU_DEP_1)
	v_min_u32_e32 v1, 32, v1
	v_subrev_nc_u32_e32 v2, 28, v1
	v_sub_nc_u32_e32 v1, 29, v1
	s_delay_alu instid0(VALU_DEP_2) | instskip(NEXT) | instid1(VALU_DEP_1)
	v_lshlrev_b64 v[2:3], v2, v[8:9]
	v_and_b32_e32 v32, 7, v2
; %bb.664:                              ;   in Loop: Header=BB371_11 Depth=1
	s_or_b32 exec_lo, exec_lo, s20
	v_lshlrev_b32_e32 v0, 8, v0
	v_lshl_add_u32 v1, v1, 10, 0x2000
	s_delay_alu instid0(VALU_DEP_1) | instskip(NEXT) | instid1(VALU_DEP_1)
	v_and_or_b32 v0, 0x8000, v0, v1
	v_lshl_or_b32 v0, v32, 7, v0
	s_delay_alu instid0(VALU_DEP_1)
	v_cvt_f32_f16_e32 v75, v0
.LBB371_665:                            ;   in Loop: Header=BB371_11 Depth=1
	s_or_b32 exec_lo, exec_lo, s19
.LBB371_666:                            ;   in Loop: Header=BB371_11 Depth=1
	s_delay_alu instid0(SALU_CYCLE_1)
	s_or_b32 exec_lo, exec_lo, s18
.LBB371_667:                            ;   in Loop: Header=BB371_11 Depth=1
	s_delay_alu instid0(SALU_CYCLE_1) | instskip(SKIP_2) | instid1(VALU_DEP_1)
	s_or_b32 exec_lo, exec_lo, s17
	v_lshrrev_b32_e32 v0, 16, v30
	s_mov_b32 s17, exec_lo
	v_and_b32_e32 v1, 0xff, v0
	s_delay_alu instid0(VALU_DEP_1)
	v_cmpx_ne_u16_e32 0, v1
	s_cbranch_execz .LBB371_675
; %bb.668:                              ;   in Loop: Header=BB371_11 Depth=1
	v_bfrev_b32_e32 v74, 1
	s_mov_b32 s18, exec_lo
	v_cmpx_ne_u16_e32 0x80, v1
	s_cbranch_execz .LBB371_674
; %bb.669:                              ;   in Loop: Header=BB371_11 Depth=1
	v_bfe_u32 v2, v30, 16, 7
	v_mov_b32_e32 v74, 0x7fc02000
	s_mov_b32 s19, exec_lo
	s_delay_alu instid0(VALU_DEP_2)
	v_cmpx_ne_u32_e32 0x7f, v2
	s_cbranch_execz .LBB371_673
; %bb.670:                              ;   in Loop: Header=BB371_11 Depth=1
	v_and_b32_e32 v8, 7, v0
	v_lshrrev_b32_e32 v1, 3, v2
	v_mov_b32_e32 v33, v9
	s_mov_b32 s20, exec_lo
	s_delay_alu instid0(VALU_DEP_3)
	v_mov_b32_e32 v32, v8
	v_cmpx_gt_u32_e32 8, v2
; %bb.671:                              ;   in Loop: Header=BB371_11 Depth=1
	v_clz_i32_u32_e32 v1, v8
	s_delay_alu instid0(VALU_DEP_1) | instskip(NEXT) | instid1(VALU_DEP_1)
	v_min_u32_e32 v1, 32, v1
	v_subrev_nc_u32_e32 v2, 28, v1
	v_sub_nc_u32_e32 v1, 29, v1
	s_delay_alu instid0(VALU_DEP_2) | instskip(NEXT) | instid1(VALU_DEP_1)
	v_lshlrev_b64 v[2:3], v2, v[8:9]
	v_and_b32_e32 v32, 7, v2
; %bb.672:                              ;   in Loop: Header=BB371_11 Depth=1
	s_or_b32 exec_lo, exec_lo, s20
	v_lshlrev_b32_e32 v0, 8, v0
	v_lshl_add_u32 v1, v1, 10, 0x2000
	s_delay_alu instid0(VALU_DEP_1) | instskip(NEXT) | instid1(VALU_DEP_1)
	v_and_or_b32 v0, 0x8000, v0, v1
	v_lshl_or_b32 v0, v32, 7, v0
	s_delay_alu instid0(VALU_DEP_1)
	v_cvt_f32_f16_e32 v74, v0
.LBB371_673:                            ;   in Loop: Header=BB371_11 Depth=1
	s_or_b32 exec_lo, exec_lo, s19
.LBB371_674:                            ;   in Loop: Header=BB371_11 Depth=1
	s_delay_alu instid0(SALU_CYCLE_1)
	s_or_b32 exec_lo, exec_lo, s18
.LBB371_675:                            ;   in Loop: Header=BB371_11 Depth=1
	s_delay_alu instid0(SALU_CYCLE_1)
	s_or_b32 exec_lo, exec_lo, s17
	v_dual_mov_b32 v76, 0 :: v_dual_mov_b32 v77, 0
	s_mov_b32 s17, exec_lo
	v_cmpx_lt_u32_e32 0xffffff, v30
	s_cbranch_execz .LBB371_683
; %bb.676:                              ;   in Loop: Header=BB371_11 Depth=1
	v_lshrrev_b32_e32 v0, 24, v30
	v_bfrev_b32_e32 v77, 1
	s_mov_b32 s18, exec_lo
	s_delay_alu instid0(VALU_DEP_2)
	v_cmpx_ne_u32_e32 0x80, v0
	s_cbranch_execz .LBB371_682
; %bb.677:                              ;   in Loop: Header=BB371_11 Depth=1
	v_and_b32_e32 v2, 0x7f, v0
	v_mov_b32_e32 v77, 0x7fc02000
	s_mov_b32 s19, exec_lo
	s_delay_alu instid0(VALU_DEP_2)
	v_cmpx_ne_u32_e32 0x7f, v2
	s_cbranch_execz .LBB371_681
; %bb.678:                              ;   in Loop: Header=BB371_11 Depth=1
	v_and_b32_e32 v8, 7, v0
	v_lshrrev_b32_e32 v1, 3, v2
	v_mov_b32_e32 v33, v9
	s_mov_b32 s20, exec_lo
	s_delay_alu instid0(VALU_DEP_3)
	v_mov_b32_e32 v32, v8
	v_cmpx_gt_u32_e32 8, v2
; %bb.679:                              ;   in Loop: Header=BB371_11 Depth=1
	v_clz_i32_u32_e32 v1, v8
	s_delay_alu instid0(VALU_DEP_1) | instskip(NEXT) | instid1(VALU_DEP_1)
	v_min_u32_e32 v1, 32, v1
	v_subrev_nc_u32_e32 v2, 28, v1
	v_sub_nc_u32_e32 v1, 29, v1
	s_delay_alu instid0(VALU_DEP_2) | instskip(NEXT) | instid1(VALU_DEP_1)
	v_lshlrev_b64 v[2:3], v2, v[8:9]
	v_and_b32_e32 v32, 7, v2
; %bb.680:                              ;   in Loop: Header=BB371_11 Depth=1
	s_or_b32 exec_lo, exec_lo, s20
	v_lshlrev_b32_e32 v0, 8, v0
	v_lshl_add_u32 v1, v1, 10, 0x2000
	s_delay_alu instid0(VALU_DEP_1) | instskip(NEXT) | instid1(VALU_DEP_1)
	v_and_or_b32 v0, 0x8000, v0, v1
	v_lshl_or_b32 v0, v32, 7, v0
	s_delay_alu instid0(VALU_DEP_1)
	v_cvt_f32_f16_e32 v77, v0
.LBB371_681:                            ;   in Loop: Header=BB371_11 Depth=1
	s_or_b32 exec_lo, exec_lo, s19
.LBB371_682:                            ;   in Loop: Header=BB371_11 Depth=1
	s_delay_alu instid0(SALU_CYCLE_1)
	s_or_b32 exec_lo, exec_lo, s18
.LBB371_683:                            ;   in Loop: Header=BB371_11 Depth=1
	s_delay_alu instid0(SALU_CYCLE_1) | instskip(SKIP_3) | instid1(VALU_DEP_2)
	s_or_b32 exec_lo, exec_lo, s17
	v_and_b32_e32 v0, 0xff, v31
	v_mov_b32_e32 v8, v31
	s_mov_b32 s17, exec_lo
	v_cmpx_ne_u16_e32 0, v0
	s_cbranch_execz .LBB371_691
; %bb.684:                              ;   in Loop: Header=BB371_11 Depth=1
	v_bfrev_b32_e32 v76, 1
	s_mov_b32 s18, exec_lo
	v_cmpx_ne_u16_e32 0x80, v0
	s_cbranch_execz .LBB371_690
; %bb.685:                              ;   in Loop: Header=BB371_11 Depth=1
	v_and_b32_e32 v1, 0x7f, v31
	v_mov_b32_e32 v76, 0x7fc02000
	s_mov_b32 s19, exec_lo
	s_delay_alu instid0(VALU_DEP_2)
	v_cmpx_ne_u32_e32 0x7f, v1
	s_cbranch_execz .LBB371_689
; %bb.686:                              ;   in Loop: Header=BB371_11 Depth=1
	v_lshrrev_b32_e32 v0, 3, v1
	v_dual_mov_b32 v33, v9 :: v_dual_mov_b32 v32, v8
	s_mov_b32 s20, exec_lo
	v_cmpx_gt_u32_e32 8, v1
; %bb.687:                              ;   in Loop: Header=BB371_11 Depth=1
	v_and_b32_e32 v0, 7, v31
	s_delay_alu instid0(VALU_DEP_1) | instskip(NEXT) | instid1(VALU_DEP_1)
	v_clz_i32_u32_e32 v0, v0
	v_min_u32_e32 v0, 32, v0
	s_delay_alu instid0(VALU_DEP_1) | instskip(SKIP_1) | instid1(VALU_DEP_2)
	v_subrev_nc_u32_e32 v1, 28, v0
	v_sub_nc_u32_e32 v0, 29, v0
	v_lshlrev_b64 v[32:33], v1, v[8:9]
; %bb.688:                              ;   in Loop: Header=BB371_11 Depth=1
	s_or_b32 exec_lo, exec_lo, s20
	v_lshlrev_b32_e32 v1, 8, v31
	s_delay_alu instid0(VALU_DEP_3) | instskip(NEXT) | instid1(VALU_DEP_3)
	v_lshl_add_u32 v0, v0, 10, 0x2000
	v_lshlrev_b32_e32 v2, 7, v32
	s_delay_alu instid0(VALU_DEP_2) | instskip(NEXT) | instid1(VALU_DEP_1)
	v_and_or_b32 v0, 0x8000, v1, v0
	v_and_or_b32 v0, 0x380, v2, v0
	s_delay_alu instid0(VALU_DEP_1)
	v_cvt_f32_f16_e32 v76, v0
.LBB371_689:                            ;   in Loop: Header=BB371_11 Depth=1
	s_or_b32 exec_lo, exec_lo, s19
.LBB371_690:                            ;   in Loop: Header=BB371_11 Depth=1
	s_delay_alu instid0(SALU_CYCLE_1)
	s_or_b32 exec_lo, exec_lo, s18
.LBB371_691:                            ;   in Loop: Header=BB371_11 Depth=1
	s_delay_alu instid0(SALU_CYCLE_1) | instskip(SKIP_3) | instid1(VALU_DEP_2)
	s_or_b32 exec_lo, exec_lo, s17
	v_lshrrev_b16 v0, 8, v8
	v_dual_mov_b32 v78, 0 :: v_dual_mov_b32 v79, 0
	s_mov_b32 s17, exec_lo
	v_cmpx_ne_u16_e32 0, v0
	s_cbranch_execz .LBB371_699
; %bb.692:                              ;   in Loop: Header=BB371_11 Depth=1
	v_bfrev_b32_e32 v79, 1
	s_mov_b32 s18, exec_lo
	v_cmpx_ne_u16_e32 0x80, v0
	s_cbranch_execz .LBB371_698
; %bb.693:                              ;   in Loop: Header=BB371_11 Depth=1
	v_and_b32_e32 v0, 0xffff, v0
	v_mov_b32_e32 v79, 0x7fc02000
	s_mov_b32 s19, exec_lo
	s_delay_alu instid0(VALU_DEP_2) | instskip(NEXT) | instid1(VALU_DEP_1)
	v_and_b32_e32 v2, 0x7f, v0
	v_cmpx_ne_u32_e32 0x7f, v2
	s_cbranch_execz .LBB371_697
; %bb.694:                              ;   in Loop: Header=BB371_11 Depth=1
	v_and_b32_e32 v8, 7, v0
	v_lshrrev_b32_e32 v1, 3, v2
	v_mov_b32_e32 v33, v9
	s_mov_b32 s20, exec_lo
	s_delay_alu instid0(VALU_DEP_3)
	v_mov_b32_e32 v32, v8
	v_cmpx_gt_u32_e32 8, v2
; %bb.695:                              ;   in Loop: Header=BB371_11 Depth=1
	v_clz_i32_u32_e32 v1, v8
	s_delay_alu instid0(VALU_DEP_1) | instskip(NEXT) | instid1(VALU_DEP_1)
	v_min_u32_e32 v1, 32, v1
	v_subrev_nc_u32_e32 v2, 28, v1
	v_sub_nc_u32_e32 v1, 29, v1
	s_delay_alu instid0(VALU_DEP_2) | instskip(NEXT) | instid1(VALU_DEP_1)
	v_lshlrev_b64 v[2:3], v2, v[8:9]
	v_and_b32_e32 v32, 7, v2
; %bb.696:                              ;   in Loop: Header=BB371_11 Depth=1
	s_or_b32 exec_lo, exec_lo, s20
	v_lshlrev_b32_e32 v0, 8, v0
	v_lshl_add_u32 v1, v1, 10, 0x2000
	s_delay_alu instid0(VALU_DEP_1) | instskip(NEXT) | instid1(VALU_DEP_1)
	v_and_or_b32 v0, 0x8000, v0, v1
	v_lshl_or_b32 v0, v32, 7, v0
	s_delay_alu instid0(VALU_DEP_1)
	v_cvt_f32_f16_e32 v79, v0
.LBB371_697:                            ;   in Loop: Header=BB371_11 Depth=1
	s_or_b32 exec_lo, exec_lo, s19
.LBB371_698:                            ;   in Loop: Header=BB371_11 Depth=1
	s_delay_alu instid0(SALU_CYCLE_1)
	s_or_b32 exec_lo, exec_lo, s18
.LBB371_699:                            ;   in Loop: Header=BB371_11 Depth=1
	s_delay_alu instid0(SALU_CYCLE_1) | instskip(SKIP_2) | instid1(VALU_DEP_1)
	s_or_b32 exec_lo, exec_lo, s17
	v_lshrrev_b32_e32 v0, 16, v31
	s_mov_b32 s17, exec_lo
	v_and_b32_e32 v1, 0xff, v0
	s_delay_alu instid0(VALU_DEP_1)
	v_cmpx_ne_u16_e32 0, v1
	s_cbranch_execz .LBB371_707
; %bb.700:                              ;   in Loop: Header=BB371_11 Depth=1
	v_bfrev_b32_e32 v78, 1
	s_mov_b32 s18, exec_lo
	v_cmpx_ne_u16_e32 0x80, v1
	s_cbranch_execz .LBB371_706
; %bb.701:                              ;   in Loop: Header=BB371_11 Depth=1
	v_bfe_u32 v2, v31, 16, 7
	v_mov_b32_e32 v78, 0x7fc02000
	s_mov_b32 s19, exec_lo
	s_delay_alu instid0(VALU_DEP_2)
	v_cmpx_ne_u32_e32 0x7f, v2
	s_cbranch_execz .LBB371_705
; %bb.702:                              ;   in Loop: Header=BB371_11 Depth=1
	v_and_b32_e32 v8, 7, v0
	v_lshrrev_b32_e32 v1, 3, v2
	v_mov_b32_e32 v33, v9
	s_mov_b32 s20, exec_lo
	s_delay_alu instid0(VALU_DEP_3)
	v_mov_b32_e32 v32, v8
	v_cmpx_gt_u32_e32 8, v2
; %bb.703:                              ;   in Loop: Header=BB371_11 Depth=1
	v_clz_i32_u32_e32 v1, v8
	s_delay_alu instid0(VALU_DEP_1) | instskip(NEXT) | instid1(VALU_DEP_1)
	v_min_u32_e32 v1, 32, v1
	v_subrev_nc_u32_e32 v2, 28, v1
	v_sub_nc_u32_e32 v1, 29, v1
	s_delay_alu instid0(VALU_DEP_2) | instskip(NEXT) | instid1(VALU_DEP_1)
	v_lshlrev_b64 v[2:3], v2, v[8:9]
	v_and_b32_e32 v32, 7, v2
; %bb.704:                              ;   in Loop: Header=BB371_11 Depth=1
	s_or_b32 exec_lo, exec_lo, s20
	v_lshlrev_b32_e32 v0, 8, v0
	v_lshl_add_u32 v1, v1, 10, 0x2000
	s_delay_alu instid0(VALU_DEP_1) | instskip(NEXT) | instid1(VALU_DEP_1)
	v_and_or_b32 v0, 0x8000, v0, v1
	v_lshl_or_b32 v0, v32, 7, v0
	s_delay_alu instid0(VALU_DEP_1)
	v_cvt_f32_f16_e32 v78, v0
.LBB371_705:                            ;   in Loop: Header=BB371_11 Depth=1
	s_or_b32 exec_lo, exec_lo, s19
.LBB371_706:                            ;   in Loop: Header=BB371_11 Depth=1
	s_delay_alu instid0(SALU_CYCLE_1)
	s_or_b32 exec_lo, exec_lo, s18
.LBB371_707:                            ;   in Loop: Header=BB371_11 Depth=1
	s_delay_alu instid0(SALU_CYCLE_1)
	s_or_b32 exec_lo, exec_lo, s17
	v_dual_mov_b32 v89, 0 :: v_dual_mov_b32 v88, 0
	s_mov_b32 s17, exec_lo
	v_cmpx_lt_u64_e64 s[2:3], v[30:31]
	s_cbranch_execz .LBB371_715
; %bb.708:                              ;   in Loop: Header=BB371_11 Depth=1
	v_lshrrev_b32_e32 v0, 24, v31
	v_bfrev_b32_e32 v88, 1
	s_mov_b32 s18, exec_lo
	s_delay_alu instid0(VALU_DEP_2)
	v_cmpx_ne_u32_e32 0x80, v0
	s_cbranch_execz .LBB371_714
; %bb.709:                              ;   in Loop: Header=BB371_11 Depth=1
	v_and_b32_e32 v2, 0x7f, v0
	v_mov_b32_e32 v88, 0x7fc02000
	s_mov_b32 s19, exec_lo
	s_delay_alu instid0(VALU_DEP_2)
	v_cmpx_ne_u32_e32 0x7f, v2
	s_cbranch_execz .LBB371_713
; %bb.710:                              ;   in Loop: Header=BB371_11 Depth=1
	v_and_b32_e32 v8, 7, v0
	v_lshrrev_b32_e32 v1, 3, v2
	v_mov_b32_e32 v31, v9
	s_mov_b32 s20, exec_lo
	s_delay_alu instid0(VALU_DEP_3)
	v_mov_b32_e32 v30, v8
	v_cmpx_gt_u32_e32 8, v2
; %bb.711:                              ;   in Loop: Header=BB371_11 Depth=1
	v_clz_i32_u32_e32 v1, v8
	s_delay_alu instid0(VALU_DEP_1) | instskip(NEXT) | instid1(VALU_DEP_1)
	v_min_u32_e32 v1, 32, v1
	v_subrev_nc_u32_e32 v2, 28, v1
	v_sub_nc_u32_e32 v1, 29, v1
	s_delay_alu instid0(VALU_DEP_2) | instskip(NEXT) | instid1(VALU_DEP_1)
	v_lshlrev_b64 v[2:3], v2, v[8:9]
	v_and_b32_e32 v30, 7, v2
; %bb.712:                              ;   in Loop: Header=BB371_11 Depth=1
	s_or_b32 exec_lo, exec_lo, s20
	v_lshlrev_b32_e32 v0, 8, v0
	v_lshl_add_u32 v1, v1, 10, 0x2000
	s_delay_alu instid0(VALU_DEP_1) | instskip(NEXT) | instid1(VALU_DEP_1)
	v_and_or_b32 v0, 0x8000, v0, v1
	v_lshl_or_b32 v0, v30, 7, v0
	s_delay_alu instid0(VALU_DEP_1)
	v_cvt_f32_f16_e32 v88, v0
.LBB371_713:                            ;   in Loop: Header=BB371_11 Depth=1
	s_or_b32 exec_lo, exec_lo, s19
.LBB371_714:                            ;   in Loop: Header=BB371_11 Depth=1
	s_delay_alu instid0(SALU_CYCLE_1)
	s_or_b32 exec_lo, exec_lo, s18
.LBB371_715:                            ;   in Loop: Header=BB371_11 Depth=1
	s_delay_alu instid0(SALU_CYCLE_1) | instskip(SKIP_4) | instid1(VALU_DEP_1)
	s_or_b32 exec_lo, exec_lo, s17
	flat_load_b64 v[30:31], v[28:29] offset:2568
	s_mov_b32 s17, exec_lo
	s_waitcnt vmcnt(0) lgkmcnt(0)
	v_and_b32_e32 v0, 0xff, v30
	v_cmpx_ne_u16_e32 0, v0
	s_cbranch_execz .LBB371_723
; %bb.716:                              ;   in Loop: Header=BB371_11 Depth=1
	v_bfrev_b32_e32 v89, 1
	s_mov_b32 s18, exec_lo
	v_cmpx_ne_u16_e32 0x80, v0
	s_cbranch_execz .LBB371_722
; %bb.717:                              ;   in Loop: Header=BB371_11 Depth=1
	v_and_b32_e32 v1, 0x7f, v30
	v_mov_b32_e32 v89, 0x7fc02000
	s_mov_b32 s19, exec_lo
	s_delay_alu instid0(VALU_DEP_2)
	v_cmpx_ne_u32_e32 0x7f, v1
	s_cbranch_execz .LBB371_721
; %bb.718:                              ;   in Loop: Header=BB371_11 Depth=1
	v_lshrrev_b32_e32 v0, 3, v1
	v_dual_mov_b32 v33, v31 :: v_dual_mov_b32 v32, v30
	s_mov_b32 s20, exec_lo
	v_cmpx_gt_u32_e32 8, v1
; %bb.719:                              ;   in Loop: Header=BB371_11 Depth=1
	v_and_b32_e32 v0, 7, v30
	s_delay_alu instid0(VALU_DEP_1) | instskip(NEXT) | instid1(VALU_DEP_1)
	v_clz_i32_u32_e32 v0, v0
	v_min_u32_e32 v0, 32, v0
	s_delay_alu instid0(VALU_DEP_1) | instskip(SKIP_1) | instid1(VALU_DEP_2)
	v_subrev_nc_u32_e32 v1, 28, v0
	v_sub_nc_u32_e32 v0, 29, v0
	v_lshlrev_b64 v[32:33], v1, v[30:31]
; %bb.720:                              ;   in Loop: Header=BB371_11 Depth=1
	s_or_b32 exec_lo, exec_lo, s20
	v_lshlrev_b32_e32 v1, 8, v30
	s_delay_alu instid0(VALU_DEP_3) | instskip(NEXT) | instid1(VALU_DEP_3)
	v_lshl_add_u32 v0, v0, 10, 0x2000
	v_lshlrev_b32_e32 v2, 7, v32
	s_delay_alu instid0(VALU_DEP_2) | instskip(NEXT) | instid1(VALU_DEP_1)
	v_and_or_b32 v0, 0x8000, v1, v0
	v_and_or_b32 v0, 0x380, v2, v0
	s_delay_alu instid0(VALU_DEP_1)
	v_cvt_f32_f16_e32 v89, v0
.LBB371_721:                            ;   in Loop: Header=BB371_11 Depth=1
	s_or_b32 exec_lo, exec_lo, s19
.LBB371_722:                            ;   in Loop: Header=BB371_11 Depth=1
	s_delay_alu instid0(SALU_CYCLE_1)
	s_or_b32 exec_lo, exec_lo, s18
.LBB371_723:                            ;   in Loop: Header=BB371_11 Depth=1
	s_delay_alu instid0(SALU_CYCLE_1) | instskip(SKIP_3) | instid1(VALU_DEP_2)
	s_or_b32 exec_lo, exec_lo, s17
	v_lshrrev_b16 v0, 8, v30
	v_dual_mov_b32 v90, 0 :: v_dual_mov_b32 v91, 0
	s_mov_b32 s17, exec_lo
	v_cmpx_ne_u16_e32 0, v0
	s_cbranch_execz .LBB371_731
; %bb.724:                              ;   in Loop: Header=BB371_11 Depth=1
	v_bfrev_b32_e32 v91, 1
	s_mov_b32 s18, exec_lo
	v_cmpx_ne_u16_e32 0x80, v0
	s_cbranch_execz .LBB371_730
; %bb.725:                              ;   in Loop: Header=BB371_11 Depth=1
	v_and_b32_e32 v0, 0xffff, v0
	v_mov_b32_e32 v91, 0x7fc02000
	s_mov_b32 s19, exec_lo
	s_delay_alu instid0(VALU_DEP_2) | instskip(NEXT) | instid1(VALU_DEP_1)
	v_and_b32_e32 v2, 0x7f, v0
	v_cmpx_ne_u32_e32 0x7f, v2
	s_cbranch_execz .LBB371_729
; %bb.726:                              ;   in Loop: Header=BB371_11 Depth=1
	v_and_b32_e32 v8, 7, v0
	v_lshrrev_b32_e32 v1, 3, v2
	v_mov_b32_e32 v33, v9
	s_mov_b32 s20, exec_lo
	s_delay_alu instid0(VALU_DEP_3)
	v_mov_b32_e32 v32, v8
	v_cmpx_gt_u32_e32 8, v2
; %bb.727:                              ;   in Loop: Header=BB371_11 Depth=1
	v_clz_i32_u32_e32 v1, v8
	s_delay_alu instid0(VALU_DEP_1) | instskip(NEXT) | instid1(VALU_DEP_1)
	v_min_u32_e32 v1, 32, v1
	v_subrev_nc_u32_e32 v2, 28, v1
	v_sub_nc_u32_e32 v1, 29, v1
	s_delay_alu instid0(VALU_DEP_2) | instskip(NEXT) | instid1(VALU_DEP_1)
	v_lshlrev_b64 v[2:3], v2, v[8:9]
	v_and_b32_e32 v32, 7, v2
; %bb.728:                              ;   in Loop: Header=BB371_11 Depth=1
	s_or_b32 exec_lo, exec_lo, s20
	v_lshlrev_b32_e32 v0, 8, v0
	v_lshl_add_u32 v1, v1, 10, 0x2000
	s_delay_alu instid0(VALU_DEP_1) | instskip(NEXT) | instid1(VALU_DEP_1)
	v_and_or_b32 v0, 0x8000, v0, v1
	v_lshl_or_b32 v0, v32, 7, v0
	s_delay_alu instid0(VALU_DEP_1)
	v_cvt_f32_f16_e32 v91, v0
.LBB371_729:                            ;   in Loop: Header=BB371_11 Depth=1
	s_or_b32 exec_lo, exec_lo, s19
.LBB371_730:                            ;   in Loop: Header=BB371_11 Depth=1
	s_delay_alu instid0(SALU_CYCLE_1)
	s_or_b32 exec_lo, exec_lo, s18
.LBB371_731:                            ;   in Loop: Header=BB371_11 Depth=1
	s_delay_alu instid0(SALU_CYCLE_1) | instskip(SKIP_2) | instid1(VALU_DEP_1)
	s_or_b32 exec_lo, exec_lo, s17
	v_lshrrev_b32_e32 v0, 16, v30
	s_mov_b32 s17, exec_lo
	v_and_b32_e32 v1, 0xff, v0
	s_delay_alu instid0(VALU_DEP_1)
	v_cmpx_ne_u16_e32 0, v1
	s_cbranch_execz .LBB371_739
; %bb.732:                              ;   in Loop: Header=BB371_11 Depth=1
	v_bfrev_b32_e32 v90, 1
	s_mov_b32 s18, exec_lo
	v_cmpx_ne_u16_e32 0x80, v1
	s_cbranch_execz .LBB371_738
; %bb.733:                              ;   in Loop: Header=BB371_11 Depth=1
	v_bfe_u32 v2, v30, 16, 7
	v_mov_b32_e32 v90, 0x7fc02000
	s_mov_b32 s19, exec_lo
	s_delay_alu instid0(VALU_DEP_2)
	v_cmpx_ne_u32_e32 0x7f, v2
	s_cbranch_execz .LBB371_737
; %bb.734:                              ;   in Loop: Header=BB371_11 Depth=1
	v_and_b32_e32 v8, 7, v0
	v_lshrrev_b32_e32 v1, 3, v2
	v_mov_b32_e32 v33, v9
	s_mov_b32 s20, exec_lo
	s_delay_alu instid0(VALU_DEP_3)
	v_mov_b32_e32 v32, v8
	v_cmpx_gt_u32_e32 8, v2
; %bb.735:                              ;   in Loop: Header=BB371_11 Depth=1
	v_clz_i32_u32_e32 v1, v8
	s_delay_alu instid0(VALU_DEP_1) | instskip(NEXT) | instid1(VALU_DEP_1)
	v_min_u32_e32 v1, 32, v1
	v_subrev_nc_u32_e32 v2, 28, v1
	v_sub_nc_u32_e32 v1, 29, v1
	s_delay_alu instid0(VALU_DEP_2) | instskip(NEXT) | instid1(VALU_DEP_1)
	v_lshlrev_b64 v[2:3], v2, v[8:9]
	v_and_b32_e32 v32, 7, v2
; %bb.736:                              ;   in Loop: Header=BB371_11 Depth=1
	s_or_b32 exec_lo, exec_lo, s20
	v_lshlrev_b32_e32 v0, 8, v0
	v_lshl_add_u32 v1, v1, 10, 0x2000
	s_delay_alu instid0(VALU_DEP_1) | instskip(NEXT) | instid1(VALU_DEP_1)
	v_and_or_b32 v0, 0x8000, v0, v1
	v_lshl_or_b32 v0, v32, 7, v0
	s_delay_alu instid0(VALU_DEP_1)
	v_cvt_f32_f16_e32 v90, v0
.LBB371_737:                            ;   in Loop: Header=BB371_11 Depth=1
	s_or_b32 exec_lo, exec_lo, s19
.LBB371_738:                            ;   in Loop: Header=BB371_11 Depth=1
	s_delay_alu instid0(SALU_CYCLE_1)
	s_or_b32 exec_lo, exec_lo, s18
.LBB371_739:                            ;   in Loop: Header=BB371_11 Depth=1
	s_delay_alu instid0(SALU_CYCLE_1)
	s_or_b32 exec_lo, exec_lo, s17
	v_dual_mov_b32 v92, 0 :: v_dual_mov_b32 v93, 0
	s_mov_b32 s17, exec_lo
	v_cmpx_lt_u32_e32 0xffffff, v30
	s_cbranch_execz .LBB371_747
; %bb.740:                              ;   in Loop: Header=BB371_11 Depth=1
	v_lshrrev_b32_e32 v0, 24, v30
	v_bfrev_b32_e32 v93, 1
	s_mov_b32 s18, exec_lo
	s_delay_alu instid0(VALU_DEP_2)
	v_cmpx_ne_u32_e32 0x80, v0
	s_cbranch_execz .LBB371_746
; %bb.741:                              ;   in Loop: Header=BB371_11 Depth=1
	v_and_b32_e32 v2, 0x7f, v0
	v_mov_b32_e32 v93, 0x7fc02000
	s_mov_b32 s19, exec_lo
	s_delay_alu instid0(VALU_DEP_2)
	v_cmpx_ne_u32_e32 0x7f, v2
	s_cbranch_execz .LBB371_745
; %bb.742:                              ;   in Loop: Header=BB371_11 Depth=1
	v_and_b32_e32 v8, 7, v0
	v_lshrrev_b32_e32 v1, 3, v2
	v_mov_b32_e32 v33, v9
	s_mov_b32 s20, exec_lo
	s_delay_alu instid0(VALU_DEP_3)
	v_mov_b32_e32 v32, v8
	v_cmpx_gt_u32_e32 8, v2
; %bb.743:                              ;   in Loop: Header=BB371_11 Depth=1
	v_clz_i32_u32_e32 v1, v8
	s_delay_alu instid0(VALU_DEP_1) | instskip(NEXT) | instid1(VALU_DEP_1)
	v_min_u32_e32 v1, 32, v1
	v_subrev_nc_u32_e32 v2, 28, v1
	v_sub_nc_u32_e32 v1, 29, v1
	s_delay_alu instid0(VALU_DEP_2) | instskip(NEXT) | instid1(VALU_DEP_1)
	v_lshlrev_b64 v[2:3], v2, v[8:9]
	v_and_b32_e32 v32, 7, v2
; %bb.744:                              ;   in Loop: Header=BB371_11 Depth=1
	s_or_b32 exec_lo, exec_lo, s20
	v_lshlrev_b32_e32 v0, 8, v0
	v_lshl_add_u32 v1, v1, 10, 0x2000
	s_delay_alu instid0(VALU_DEP_1) | instskip(NEXT) | instid1(VALU_DEP_1)
	v_and_or_b32 v0, 0x8000, v0, v1
	v_lshl_or_b32 v0, v32, 7, v0
	s_delay_alu instid0(VALU_DEP_1)
	v_cvt_f32_f16_e32 v93, v0
.LBB371_745:                            ;   in Loop: Header=BB371_11 Depth=1
	s_or_b32 exec_lo, exec_lo, s19
.LBB371_746:                            ;   in Loop: Header=BB371_11 Depth=1
	s_delay_alu instid0(SALU_CYCLE_1)
	s_or_b32 exec_lo, exec_lo, s18
.LBB371_747:                            ;   in Loop: Header=BB371_11 Depth=1
	s_delay_alu instid0(SALU_CYCLE_1) | instskip(SKIP_3) | instid1(VALU_DEP_2)
	s_or_b32 exec_lo, exec_lo, s17
	v_and_b32_e32 v0, 0xff, v31
	v_mov_b32_e32 v8, v31
	s_mov_b32 s17, exec_lo
	v_cmpx_ne_u16_e32 0, v0
	s_cbranch_execz .LBB371_755
; %bb.748:                              ;   in Loop: Header=BB371_11 Depth=1
	v_bfrev_b32_e32 v92, 1
	s_mov_b32 s18, exec_lo
	v_cmpx_ne_u16_e32 0x80, v0
	s_cbranch_execz .LBB371_754
; %bb.749:                              ;   in Loop: Header=BB371_11 Depth=1
	v_and_b32_e32 v1, 0x7f, v31
	v_mov_b32_e32 v92, 0x7fc02000
	s_mov_b32 s19, exec_lo
	s_delay_alu instid0(VALU_DEP_2)
	v_cmpx_ne_u32_e32 0x7f, v1
	s_cbranch_execz .LBB371_753
; %bb.750:                              ;   in Loop: Header=BB371_11 Depth=1
	v_lshrrev_b32_e32 v0, 3, v1
	v_dual_mov_b32 v33, v9 :: v_dual_mov_b32 v32, v8
	s_mov_b32 s20, exec_lo
	v_cmpx_gt_u32_e32 8, v1
; %bb.751:                              ;   in Loop: Header=BB371_11 Depth=1
	v_and_b32_e32 v0, 7, v31
	s_delay_alu instid0(VALU_DEP_1) | instskip(NEXT) | instid1(VALU_DEP_1)
	v_clz_i32_u32_e32 v0, v0
	v_min_u32_e32 v0, 32, v0
	s_delay_alu instid0(VALU_DEP_1) | instskip(SKIP_1) | instid1(VALU_DEP_2)
	v_subrev_nc_u32_e32 v1, 28, v0
	v_sub_nc_u32_e32 v0, 29, v0
	v_lshlrev_b64 v[32:33], v1, v[8:9]
; %bb.752:                              ;   in Loop: Header=BB371_11 Depth=1
	s_or_b32 exec_lo, exec_lo, s20
	v_lshlrev_b32_e32 v1, 8, v31
	s_delay_alu instid0(VALU_DEP_3) | instskip(NEXT) | instid1(VALU_DEP_3)
	v_lshl_add_u32 v0, v0, 10, 0x2000
	v_lshlrev_b32_e32 v2, 7, v32
	s_delay_alu instid0(VALU_DEP_2) | instskip(NEXT) | instid1(VALU_DEP_1)
	v_and_or_b32 v0, 0x8000, v1, v0
	v_and_or_b32 v0, 0x380, v2, v0
	s_delay_alu instid0(VALU_DEP_1)
	v_cvt_f32_f16_e32 v92, v0
.LBB371_753:                            ;   in Loop: Header=BB371_11 Depth=1
	s_or_b32 exec_lo, exec_lo, s19
.LBB371_754:                            ;   in Loop: Header=BB371_11 Depth=1
	s_delay_alu instid0(SALU_CYCLE_1)
	s_or_b32 exec_lo, exec_lo, s18
.LBB371_755:                            ;   in Loop: Header=BB371_11 Depth=1
	s_delay_alu instid0(SALU_CYCLE_1) | instskip(SKIP_3) | instid1(VALU_DEP_2)
	s_or_b32 exec_lo, exec_lo, s17
	v_lshrrev_b16 v0, 8, v8
	v_dual_mov_b32 v94, 0 :: v_dual_mov_b32 v95, 0
	s_mov_b32 s17, exec_lo
	v_cmpx_ne_u16_e32 0, v0
	s_cbranch_execz .LBB371_763
; %bb.756:                              ;   in Loop: Header=BB371_11 Depth=1
	v_bfrev_b32_e32 v95, 1
	s_mov_b32 s18, exec_lo
	v_cmpx_ne_u16_e32 0x80, v0
	s_cbranch_execz .LBB371_762
; %bb.757:                              ;   in Loop: Header=BB371_11 Depth=1
	v_and_b32_e32 v0, 0xffff, v0
	v_mov_b32_e32 v95, 0x7fc02000
	s_mov_b32 s19, exec_lo
	s_delay_alu instid0(VALU_DEP_2) | instskip(NEXT) | instid1(VALU_DEP_1)
	v_and_b32_e32 v2, 0x7f, v0
	v_cmpx_ne_u32_e32 0x7f, v2
	s_cbranch_execz .LBB371_761
; %bb.758:                              ;   in Loop: Header=BB371_11 Depth=1
	v_and_b32_e32 v8, 7, v0
	v_lshrrev_b32_e32 v1, 3, v2
	v_mov_b32_e32 v33, v9
	s_mov_b32 s20, exec_lo
	s_delay_alu instid0(VALU_DEP_3)
	v_mov_b32_e32 v32, v8
	v_cmpx_gt_u32_e32 8, v2
; %bb.759:                              ;   in Loop: Header=BB371_11 Depth=1
	v_clz_i32_u32_e32 v1, v8
	s_delay_alu instid0(VALU_DEP_1) | instskip(NEXT) | instid1(VALU_DEP_1)
	v_min_u32_e32 v1, 32, v1
	v_subrev_nc_u32_e32 v2, 28, v1
	v_sub_nc_u32_e32 v1, 29, v1
	s_delay_alu instid0(VALU_DEP_2) | instskip(NEXT) | instid1(VALU_DEP_1)
	v_lshlrev_b64 v[2:3], v2, v[8:9]
	v_and_b32_e32 v32, 7, v2
; %bb.760:                              ;   in Loop: Header=BB371_11 Depth=1
	s_or_b32 exec_lo, exec_lo, s20
	v_lshlrev_b32_e32 v0, 8, v0
	v_lshl_add_u32 v1, v1, 10, 0x2000
	s_delay_alu instid0(VALU_DEP_1) | instskip(NEXT) | instid1(VALU_DEP_1)
	v_and_or_b32 v0, 0x8000, v0, v1
	v_lshl_or_b32 v0, v32, 7, v0
	s_delay_alu instid0(VALU_DEP_1)
	v_cvt_f32_f16_e32 v95, v0
.LBB371_761:                            ;   in Loop: Header=BB371_11 Depth=1
	s_or_b32 exec_lo, exec_lo, s19
.LBB371_762:                            ;   in Loop: Header=BB371_11 Depth=1
	s_delay_alu instid0(SALU_CYCLE_1)
	s_or_b32 exec_lo, exec_lo, s18
.LBB371_763:                            ;   in Loop: Header=BB371_11 Depth=1
	s_delay_alu instid0(SALU_CYCLE_1) | instskip(SKIP_2) | instid1(VALU_DEP_1)
	s_or_b32 exec_lo, exec_lo, s17
	v_lshrrev_b32_e32 v0, 16, v31
	s_mov_b32 s17, exec_lo
	v_and_b32_e32 v1, 0xff, v0
	s_delay_alu instid0(VALU_DEP_1)
	v_cmpx_ne_u16_e32 0, v1
	s_cbranch_execz .LBB371_771
; %bb.764:                              ;   in Loop: Header=BB371_11 Depth=1
	v_bfrev_b32_e32 v94, 1
	s_mov_b32 s18, exec_lo
	v_cmpx_ne_u16_e32 0x80, v1
	s_cbranch_execz .LBB371_770
; %bb.765:                              ;   in Loop: Header=BB371_11 Depth=1
	v_bfe_u32 v2, v31, 16, 7
	v_mov_b32_e32 v94, 0x7fc02000
	s_mov_b32 s19, exec_lo
	s_delay_alu instid0(VALU_DEP_2)
	v_cmpx_ne_u32_e32 0x7f, v2
	s_cbranch_execz .LBB371_769
; %bb.766:                              ;   in Loop: Header=BB371_11 Depth=1
	v_and_b32_e32 v8, 7, v0
	v_lshrrev_b32_e32 v1, 3, v2
	v_mov_b32_e32 v33, v9
	s_mov_b32 s20, exec_lo
	s_delay_alu instid0(VALU_DEP_3)
	v_mov_b32_e32 v32, v8
	v_cmpx_gt_u32_e32 8, v2
; %bb.767:                              ;   in Loop: Header=BB371_11 Depth=1
	v_clz_i32_u32_e32 v1, v8
	s_delay_alu instid0(VALU_DEP_1) | instskip(NEXT) | instid1(VALU_DEP_1)
	v_min_u32_e32 v1, 32, v1
	v_subrev_nc_u32_e32 v2, 28, v1
	v_sub_nc_u32_e32 v1, 29, v1
	s_delay_alu instid0(VALU_DEP_2) | instskip(NEXT) | instid1(VALU_DEP_1)
	v_lshlrev_b64 v[2:3], v2, v[8:9]
	v_and_b32_e32 v32, 7, v2
; %bb.768:                              ;   in Loop: Header=BB371_11 Depth=1
	s_or_b32 exec_lo, exec_lo, s20
	v_lshlrev_b32_e32 v0, 8, v0
	v_lshl_add_u32 v1, v1, 10, 0x2000
	s_delay_alu instid0(VALU_DEP_1) | instskip(NEXT) | instid1(VALU_DEP_1)
	v_and_or_b32 v0, 0x8000, v0, v1
	v_lshl_or_b32 v0, v32, 7, v0
	s_delay_alu instid0(VALU_DEP_1)
	v_cvt_f32_f16_e32 v94, v0
.LBB371_769:                            ;   in Loop: Header=BB371_11 Depth=1
	s_or_b32 exec_lo, exec_lo, s19
.LBB371_770:                            ;   in Loop: Header=BB371_11 Depth=1
	s_delay_alu instid0(SALU_CYCLE_1)
	s_or_b32 exec_lo, exec_lo, s18
.LBB371_771:                            ;   in Loop: Header=BB371_11 Depth=1
	s_delay_alu instid0(SALU_CYCLE_1)
	s_or_b32 exec_lo, exec_lo, s17
	v_dual_mov_b32 v105, 0 :: v_dual_mov_b32 v104, 0
	s_mov_b32 s17, exec_lo
	v_cmpx_lt_u64_e64 s[2:3], v[30:31]
	s_cbranch_execz .LBB371_779
; %bb.772:                              ;   in Loop: Header=BB371_11 Depth=1
	v_lshrrev_b32_e32 v0, 24, v31
	v_bfrev_b32_e32 v104, 1
	s_mov_b32 s18, exec_lo
	s_delay_alu instid0(VALU_DEP_2)
	v_cmpx_ne_u32_e32 0x80, v0
	s_cbranch_execz .LBB371_778
; %bb.773:                              ;   in Loop: Header=BB371_11 Depth=1
	v_and_b32_e32 v2, 0x7f, v0
	v_mov_b32_e32 v104, 0x7fc02000
	s_mov_b32 s19, exec_lo
	s_delay_alu instid0(VALU_DEP_2)
	v_cmpx_ne_u32_e32 0x7f, v2
	s_cbranch_execz .LBB371_777
; %bb.774:                              ;   in Loop: Header=BB371_11 Depth=1
	v_and_b32_e32 v8, 7, v0
	v_lshrrev_b32_e32 v1, 3, v2
	v_mov_b32_e32 v31, v9
	s_mov_b32 s20, exec_lo
	s_delay_alu instid0(VALU_DEP_3)
	v_mov_b32_e32 v30, v8
	v_cmpx_gt_u32_e32 8, v2
; %bb.775:                              ;   in Loop: Header=BB371_11 Depth=1
	v_clz_i32_u32_e32 v1, v8
	s_delay_alu instid0(VALU_DEP_1) | instskip(NEXT) | instid1(VALU_DEP_1)
	v_min_u32_e32 v1, 32, v1
	v_subrev_nc_u32_e32 v2, 28, v1
	v_sub_nc_u32_e32 v1, 29, v1
	s_delay_alu instid0(VALU_DEP_2) | instskip(NEXT) | instid1(VALU_DEP_1)
	v_lshlrev_b64 v[2:3], v2, v[8:9]
	v_and_b32_e32 v30, 7, v2
; %bb.776:                              ;   in Loop: Header=BB371_11 Depth=1
	s_or_b32 exec_lo, exec_lo, s20
	v_lshlrev_b32_e32 v0, 8, v0
	v_lshl_add_u32 v1, v1, 10, 0x2000
	s_delay_alu instid0(VALU_DEP_1) | instskip(NEXT) | instid1(VALU_DEP_1)
	v_and_or_b32 v0, 0x8000, v0, v1
	v_lshl_or_b32 v0, v30, 7, v0
	s_delay_alu instid0(VALU_DEP_1)
	v_cvt_f32_f16_e32 v104, v0
.LBB371_777:                            ;   in Loop: Header=BB371_11 Depth=1
	s_or_b32 exec_lo, exec_lo, s19
.LBB371_778:                            ;   in Loop: Header=BB371_11 Depth=1
	s_delay_alu instid0(SALU_CYCLE_1)
	s_or_b32 exec_lo, exec_lo, s18
.LBB371_779:                            ;   in Loop: Header=BB371_11 Depth=1
	s_delay_alu instid0(SALU_CYCLE_1) | instskip(SKIP_4) | instid1(VALU_DEP_1)
	s_or_b32 exec_lo, exec_lo, s17
	flat_load_b64 v[30:31], v[28:29] offset:3072
	s_mov_b32 s17, exec_lo
	s_waitcnt vmcnt(0) lgkmcnt(0)
	v_and_b32_e32 v0, 0xff, v30
	v_cmpx_ne_u16_e32 0, v0
	s_cbranch_execz .LBB371_787
; %bb.780:                              ;   in Loop: Header=BB371_11 Depth=1
	v_bfrev_b32_e32 v105, 1
	s_mov_b32 s18, exec_lo
	v_cmpx_ne_u16_e32 0x80, v0
	s_cbranch_execz .LBB371_786
; %bb.781:                              ;   in Loop: Header=BB371_11 Depth=1
	v_and_b32_e32 v1, 0x7f, v30
	v_mov_b32_e32 v105, 0x7fc02000
	s_mov_b32 s19, exec_lo
	s_delay_alu instid0(VALU_DEP_2)
	v_cmpx_ne_u32_e32 0x7f, v1
	s_cbranch_execz .LBB371_785
; %bb.782:                              ;   in Loop: Header=BB371_11 Depth=1
	v_lshrrev_b32_e32 v0, 3, v1
	v_dual_mov_b32 v33, v31 :: v_dual_mov_b32 v32, v30
	s_mov_b32 s20, exec_lo
	v_cmpx_gt_u32_e32 8, v1
; %bb.783:                              ;   in Loop: Header=BB371_11 Depth=1
	v_and_b32_e32 v0, 7, v30
	s_delay_alu instid0(VALU_DEP_1) | instskip(NEXT) | instid1(VALU_DEP_1)
	v_clz_i32_u32_e32 v0, v0
	v_min_u32_e32 v0, 32, v0
	s_delay_alu instid0(VALU_DEP_1) | instskip(SKIP_1) | instid1(VALU_DEP_2)
	v_subrev_nc_u32_e32 v1, 28, v0
	v_sub_nc_u32_e32 v0, 29, v0
	v_lshlrev_b64 v[32:33], v1, v[30:31]
; %bb.784:                              ;   in Loop: Header=BB371_11 Depth=1
	s_or_b32 exec_lo, exec_lo, s20
	v_lshlrev_b32_e32 v1, 8, v30
	s_delay_alu instid0(VALU_DEP_3) | instskip(NEXT) | instid1(VALU_DEP_3)
	v_lshl_add_u32 v0, v0, 10, 0x2000
	v_lshlrev_b32_e32 v2, 7, v32
	s_delay_alu instid0(VALU_DEP_2) | instskip(NEXT) | instid1(VALU_DEP_1)
	v_and_or_b32 v0, 0x8000, v1, v0
	v_and_or_b32 v0, 0x380, v2, v0
	s_delay_alu instid0(VALU_DEP_1)
	v_cvt_f32_f16_e32 v105, v0
.LBB371_785:                            ;   in Loop: Header=BB371_11 Depth=1
	s_or_b32 exec_lo, exec_lo, s19
.LBB371_786:                            ;   in Loop: Header=BB371_11 Depth=1
	s_delay_alu instid0(SALU_CYCLE_1)
	s_or_b32 exec_lo, exec_lo, s18
.LBB371_787:                            ;   in Loop: Header=BB371_11 Depth=1
	s_delay_alu instid0(SALU_CYCLE_1) | instskip(SKIP_3) | instid1(VALU_DEP_2)
	s_or_b32 exec_lo, exec_lo, s17
	v_lshrrev_b16 v0, 8, v30
	v_dual_mov_b32 v106, 0 :: v_dual_mov_b32 v107, 0
	s_mov_b32 s17, exec_lo
	v_cmpx_ne_u16_e32 0, v0
	s_cbranch_execz .LBB371_795
; %bb.788:                              ;   in Loop: Header=BB371_11 Depth=1
	v_bfrev_b32_e32 v107, 1
	s_mov_b32 s18, exec_lo
	v_cmpx_ne_u16_e32 0x80, v0
	s_cbranch_execz .LBB371_794
; %bb.789:                              ;   in Loop: Header=BB371_11 Depth=1
	v_and_b32_e32 v0, 0xffff, v0
	v_mov_b32_e32 v107, 0x7fc02000
	s_mov_b32 s19, exec_lo
	s_delay_alu instid0(VALU_DEP_2) | instskip(NEXT) | instid1(VALU_DEP_1)
	v_and_b32_e32 v2, 0x7f, v0
	v_cmpx_ne_u32_e32 0x7f, v2
	s_cbranch_execz .LBB371_793
; %bb.790:                              ;   in Loop: Header=BB371_11 Depth=1
	v_and_b32_e32 v8, 7, v0
	v_lshrrev_b32_e32 v1, 3, v2
	v_mov_b32_e32 v33, v9
	s_mov_b32 s20, exec_lo
	s_delay_alu instid0(VALU_DEP_3)
	v_mov_b32_e32 v32, v8
	v_cmpx_gt_u32_e32 8, v2
; %bb.791:                              ;   in Loop: Header=BB371_11 Depth=1
	v_clz_i32_u32_e32 v1, v8
	s_delay_alu instid0(VALU_DEP_1) | instskip(NEXT) | instid1(VALU_DEP_1)
	v_min_u32_e32 v1, 32, v1
	v_subrev_nc_u32_e32 v2, 28, v1
	v_sub_nc_u32_e32 v1, 29, v1
	s_delay_alu instid0(VALU_DEP_2) | instskip(NEXT) | instid1(VALU_DEP_1)
	v_lshlrev_b64 v[2:3], v2, v[8:9]
	v_and_b32_e32 v32, 7, v2
; %bb.792:                              ;   in Loop: Header=BB371_11 Depth=1
	s_or_b32 exec_lo, exec_lo, s20
	v_lshlrev_b32_e32 v0, 8, v0
	v_lshl_add_u32 v1, v1, 10, 0x2000
	s_delay_alu instid0(VALU_DEP_1) | instskip(NEXT) | instid1(VALU_DEP_1)
	v_and_or_b32 v0, 0x8000, v0, v1
	v_lshl_or_b32 v0, v32, 7, v0
	s_delay_alu instid0(VALU_DEP_1)
	v_cvt_f32_f16_e32 v107, v0
.LBB371_793:                            ;   in Loop: Header=BB371_11 Depth=1
	s_or_b32 exec_lo, exec_lo, s19
.LBB371_794:                            ;   in Loop: Header=BB371_11 Depth=1
	s_delay_alu instid0(SALU_CYCLE_1)
	s_or_b32 exec_lo, exec_lo, s18
.LBB371_795:                            ;   in Loop: Header=BB371_11 Depth=1
	s_delay_alu instid0(SALU_CYCLE_1) | instskip(SKIP_2) | instid1(VALU_DEP_1)
	s_or_b32 exec_lo, exec_lo, s17
	v_lshrrev_b32_e32 v0, 16, v30
	s_mov_b32 s17, exec_lo
	v_and_b32_e32 v1, 0xff, v0
	s_delay_alu instid0(VALU_DEP_1)
	v_cmpx_ne_u16_e32 0, v1
	s_cbranch_execz .LBB371_803
; %bb.796:                              ;   in Loop: Header=BB371_11 Depth=1
	v_bfrev_b32_e32 v106, 1
	s_mov_b32 s18, exec_lo
	v_cmpx_ne_u16_e32 0x80, v1
	s_cbranch_execz .LBB371_802
; %bb.797:                              ;   in Loop: Header=BB371_11 Depth=1
	v_bfe_u32 v2, v30, 16, 7
	v_mov_b32_e32 v106, 0x7fc02000
	s_mov_b32 s19, exec_lo
	s_delay_alu instid0(VALU_DEP_2)
	v_cmpx_ne_u32_e32 0x7f, v2
	s_cbranch_execz .LBB371_801
; %bb.798:                              ;   in Loop: Header=BB371_11 Depth=1
	v_and_b32_e32 v8, 7, v0
	v_lshrrev_b32_e32 v1, 3, v2
	v_mov_b32_e32 v33, v9
	s_mov_b32 s20, exec_lo
	s_delay_alu instid0(VALU_DEP_3)
	v_mov_b32_e32 v32, v8
	v_cmpx_gt_u32_e32 8, v2
; %bb.799:                              ;   in Loop: Header=BB371_11 Depth=1
	v_clz_i32_u32_e32 v1, v8
	s_delay_alu instid0(VALU_DEP_1) | instskip(NEXT) | instid1(VALU_DEP_1)
	v_min_u32_e32 v1, 32, v1
	v_subrev_nc_u32_e32 v2, 28, v1
	v_sub_nc_u32_e32 v1, 29, v1
	s_delay_alu instid0(VALU_DEP_2) | instskip(NEXT) | instid1(VALU_DEP_1)
	v_lshlrev_b64 v[2:3], v2, v[8:9]
	v_and_b32_e32 v32, 7, v2
; %bb.800:                              ;   in Loop: Header=BB371_11 Depth=1
	s_or_b32 exec_lo, exec_lo, s20
	v_lshlrev_b32_e32 v0, 8, v0
	v_lshl_add_u32 v1, v1, 10, 0x2000
	s_delay_alu instid0(VALU_DEP_1) | instskip(NEXT) | instid1(VALU_DEP_1)
	v_and_or_b32 v0, 0x8000, v0, v1
	v_lshl_or_b32 v0, v32, 7, v0
	s_delay_alu instid0(VALU_DEP_1)
	v_cvt_f32_f16_e32 v106, v0
.LBB371_801:                            ;   in Loop: Header=BB371_11 Depth=1
	s_or_b32 exec_lo, exec_lo, s19
.LBB371_802:                            ;   in Loop: Header=BB371_11 Depth=1
	s_delay_alu instid0(SALU_CYCLE_1)
	s_or_b32 exec_lo, exec_lo, s18
.LBB371_803:                            ;   in Loop: Header=BB371_11 Depth=1
	s_delay_alu instid0(SALU_CYCLE_1)
	s_or_b32 exec_lo, exec_lo, s17
	v_dual_mov_b32 v108, 0 :: v_dual_mov_b32 v109, 0
	s_mov_b32 s17, exec_lo
	v_cmpx_lt_u32_e32 0xffffff, v30
	s_cbranch_execz .LBB371_811
; %bb.804:                              ;   in Loop: Header=BB371_11 Depth=1
	v_lshrrev_b32_e32 v0, 24, v30
	v_bfrev_b32_e32 v109, 1
	s_mov_b32 s18, exec_lo
	s_delay_alu instid0(VALU_DEP_2)
	v_cmpx_ne_u32_e32 0x80, v0
	s_cbranch_execz .LBB371_810
; %bb.805:                              ;   in Loop: Header=BB371_11 Depth=1
	v_and_b32_e32 v2, 0x7f, v0
	v_mov_b32_e32 v109, 0x7fc02000
	s_mov_b32 s19, exec_lo
	s_delay_alu instid0(VALU_DEP_2)
	v_cmpx_ne_u32_e32 0x7f, v2
	s_cbranch_execz .LBB371_809
; %bb.806:                              ;   in Loop: Header=BB371_11 Depth=1
	v_and_b32_e32 v8, 7, v0
	v_lshrrev_b32_e32 v1, 3, v2
	v_mov_b32_e32 v33, v9
	s_mov_b32 s20, exec_lo
	s_delay_alu instid0(VALU_DEP_3)
	v_mov_b32_e32 v32, v8
	v_cmpx_gt_u32_e32 8, v2
; %bb.807:                              ;   in Loop: Header=BB371_11 Depth=1
	v_clz_i32_u32_e32 v1, v8
	s_delay_alu instid0(VALU_DEP_1) | instskip(NEXT) | instid1(VALU_DEP_1)
	v_min_u32_e32 v1, 32, v1
	v_subrev_nc_u32_e32 v2, 28, v1
	v_sub_nc_u32_e32 v1, 29, v1
	s_delay_alu instid0(VALU_DEP_2) | instskip(NEXT) | instid1(VALU_DEP_1)
	v_lshlrev_b64 v[2:3], v2, v[8:9]
	v_and_b32_e32 v32, 7, v2
; %bb.808:                              ;   in Loop: Header=BB371_11 Depth=1
	s_or_b32 exec_lo, exec_lo, s20
	v_lshlrev_b32_e32 v0, 8, v0
	v_lshl_add_u32 v1, v1, 10, 0x2000
	s_delay_alu instid0(VALU_DEP_1) | instskip(NEXT) | instid1(VALU_DEP_1)
	v_and_or_b32 v0, 0x8000, v0, v1
	v_lshl_or_b32 v0, v32, 7, v0
	s_delay_alu instid0(VALU_DEP_1)
	v_cvt_f32_f16_e32 v109, v0
.LBB371_809:                            ;   in Loop: Header=BB371_11 Depth=1
	s_or_b32 exec_lo, exec_lo, s19
.LBB371_810:                            ;   in Loop: Header=BB371_11 Depth=1
	s_delay_alu instid0(SALU_CYCLE_1)
	s_or_b32 exec_lo, exec_lo, s18
.LBB371_811:                            ;   in Loop: Header=BB371_11 Depth=1
	s_delay_alu instid0(SALU_CYCLE_1) | instskip(SKIP_3) | instid1(VALU_DEP_2)
	s_or_b32 exec_lo, exec_lo, s17
	v_and_b32_e32 v0, 0xff, v31
	v_mov_b32_e32 v8, v31
	s_mov_b32 s17, exec_lo
	v_cmpx_ne_u16_e32 0, v0
	s_cbranch_execz .LBB371_819
; %bb.812:                              ;   in Loop: Header=BB371_11 Depth=1
	v_bfrev_b32_e32 v108, 1
	s_mov_b32 s18, exec_lo
	v_cmpx_ne_u16_e32 0x80, v0
	s_cbranch_execz .LBB371_818
; %bb.813:                              ;   in Loop: Header=BB371_11 Depth=1
	v_and_b32_e32 v1, 0x7f, v31
	v_mov_b32_e32 v108, 0x7fc02000
	s_mov_b32 s19, exec_lo
	s_delay_alu instid0(VALU_DEP_2)
	v_cmpx_ne_u32_e32 0x7f, v1
	s_cbranch_execz .LBB371_817
; %bb.814:                              ;   in Loop: Header=BB371_11 Depth=1
	v_lshrrev_b32_e32 v0, 3, v1
	v_dual_mov_b32 v33, v9 :: v_dual_mov_b32 v32, v8
	s_mov_b32 s20, exec_lo
	v_cmpx_gt_u32_e32 8, v1
; %bb.815:                              ;   in Loop: Header=BB371_11 Depth=1
	v_and_b32_e32 v0, 7, v31
	s_delay_alu instid0(VALU_DEP_1) | instskip(NEXT) | instid1(VALU_DEP_1)
	v_clz_i32_u32_e32 v0, v0
	v_min_u32_e32 v0, 32, v0
	s_delay_alu instid0(VALU_DEP_1) | instskip(SKIP_1) | instid1(VALU_DEP_2)
	v_subrev_nc_u32_e32 v1, 28, v0
	v_sub_nc_u32_e32 v0, 29, v0
	v_lshlrev_b64 v[32:33], v1, v[8:9]
; %bb.816:                              ;   in Loop: Header=BB371_11 Depth=1
	s_or_b32 exec_lo, exec_lo, s20
	v_lshlrev_b32_e32 v1, 8, v31
	s_delay_alu instid0(VALU_DEP_3) | instskip(NEXT) | instid1(VALU_DEP_3)
	v_lshl_add_u32 v0, v0, 10, 0x2000
	v_lshlrev_b32_e32 v2, 7, v32
	s_delay_alu instid0(VALU_DEP_2) | instskip(NEXT) | instid1(VALU_DEP_1)
	v_and_or_b32 v0, 0x8000, v1, v0
	v_and_or_b32 v0, 0x380, v2, v0
	s_delay_alu instid0(VALU_DEP_1)
	v_cvt_f32_f16_e32 v108, v0
.LBB371_817:                            ;   in Loop: Header=BB371_11 Depth=1
	s_or_b32 exec_lo, exec_lo, s19
.LBB371_818:                            ;   in Loop: Header=BB371_11 Depth=1
	s_delay_alu instid0(SALU_CYCLE_1)
	s_or_b32 exec_lo, exec_lo, s18
.LBB371_819:                            ;   in Loop: Header=BB371_11 Depth=1
	s_delay_alu instid0(SALU_CYCLE_1) | instskip(SKIP_3) | instid1(VALU_DEP_2)
	s_or_b32 exec_lo, exec_lo, s17
	v_lshrrev_b16 v0, 8, v8
	v_dual_mov_b32 v110, 0 :: v_dual_mov_b32 v111, 0
	s_mov_b32 s17, exec_lo
	v_cmpx_ne_u16_e32 0, v0
	s_cbranch_execz .LBB371_827
; %bb.820:                              ;   in Loop: Header=BB371_11 Depth=1
	v_bfrev_b32_e32 v111, 1
	s_mov_b32 s18, exec_lo
	v_cmpx_ne_u16_e32 0x80, v0
	s_cbranch_execz .LBB371_826
; %bb.821:                              ;   in Loop: Header=BB371_11 Depth=1
	v_and_b32_e32 v0, 0xffff, v0
	v_mov_b32_e32 v111, 0x7fc02000
	s_mov_b32 s19, exec_lo
	s_delay_alu instid0(VALU_DEP_2) | instskip(NEXT) | instid1(VALU_DEP_1)
	v_and_b32_e32 v2, 0x7f, v0
	v_cmpx_ne_u32_e32 0x7f, v2
	s_cbranch_execz .LBB371_825
; %bb.822:                              ;   in Loop: Header=BB371_11 Depth=1
	v_and_b32_e32 v8, 7, v0
	v_lshrrev_b32_e32 v1, 3, v2
	v_mov_b32_e32 v33, v9
	s_mov_b32 s20, exec_lo
	s_delay_alu instid0(VALU_DEP_3)
	v_mov_b32_e32 v32, v8
	v_cmpx_gt_u32_e32 8, v2
; %bb.823:                              ;   in Loop: Header=BB371_11 Depth=1
	v_clz_i32_u32_e32 v1, v8
	s_delay_alu instid0(VALU_DEP_1) | instskip(NEXT) | instid1(VALU_DEP_1)
	v_min_u32_e32 v1, 32, v1
	v_subrev_nc_u32_e32 v2, 28, v1
	v_sub_nc_u32_e32 v1, 29, v1
	s_delay_alu instid0(VALU_DEP_2) | instskip(NEXT) | instid1(VALU_DEP_1)
	v_lshlrev_b64 v[2:3], v2, v[8:9]
	v_and_b32_e32 v32, 7, v2
; %bb.824:                              ;   in Loop: Header=BB371_11 Depth=1
	s_or_b32 exec_lo, exec_lo, s20
	v_lshlrev_b32_e32 v0, 8, v0
	v_lshl_add_u32 v1, v1, 10, 0x2000
	s_delay_alu instid0(VALU_DEP_1) | instskip(NEXT) | instid1(VALU_DEP_1)
	v_and_or_b32 v0, 0x8000, v0, v1
	v_lshl_or_b32 v0, v32, 7, v0
	s_delay_alu instid0(VALU_DEP_1)
	v_cvt_f32_f16_e32 v111, v0
.LBB371_825:                            ;   in Loop: Header=BB371_11 Depth=1
	s_or_b32 exec_lo, exec_lo, s19
.LBB371_826:                            ;   in Loop: Header=BB371_11 Depth=1
	s_delay_alu instid0(SALU_CYCLE_1)
	s_or_b32 exec_lo, exec_lo, s18
.LBB371_827:                            ;   in Loop: Header=BB371_11 Depth=1
	s_delay_alu instid0(SALU_CYCLE_1) | instskip(SKIP_2) | instid1(VALU_DEP_1)
	s_or_b32 exec_lo, exec_lo, s17
	v_lshrrev_b32_e32 v0, 16, v31
	s_mov_b32 s17, exec_lo
	v_and_b32_e32 v1, 0xff, v0
	s_delay_alu instid0(VALU_DEP_1)
	v_cmpx_ne_u16_e32 0, v1
	s_cbranch_execz .LBB371_835
; %bb.828:                              ;   in Loop: Header=BB371_11 Depth=1
	v_bfrev_b32_e32 v110, 1
	s_mov_b32 s18, exec_lo
	v_cmpx_ne_u16_e32 0x80, v1
	s_cbranch_execz .LBB371_834
; %bb.829:                              ;   in Loop: Header=BB371_11 Depth=1
	v_bfe_u32 v2, v31, 16, 7
	v_mov_b32_e32 v110, 0x7fc02000
	s_mov_b32 s19, exec_lo
	s_delay_alu instid0(VALU_DEP_2)
	v_cmpx_ne_u32_e32 0x7f, v2
	s_cbranch_execz .LBB371_833
; %bb.830:                              ;   in Loop: Header=BB371_11 Depth=1
	v_and_b32_e32 v8, 7, v0
	v_lshrrev_b32_e32 v1, 3, v2
	v_mov_b32_e32 v33, v9
	s_mov_b32 s20, exec_lo
	s_delay_alu instid0(VALU_DEP_3)
	v_mov_b32_e32 v32, v8
	v_cmpx_gt_u32_e32 8, v2
; %bb.831:                              ;   in Loop: Header=BB371_11 Depth=1
	v_clz_i32_u32_e32 v1, v8
	s_delay_alu instid0(VALU_DEP_1) | instskip(NEXT) | instid1(VALU_DEP_1)
	v_min_u32_e32 v1, 32, v1
	v_subrev_nc_u32_e32 v2, 28, v1
	v_sub_nc_u32_e32 v1, 29, v1
	s_delay_alu instid0(VALU_DEP_2) | instskip(NEXT) | instid1(VALU_DEP_1)
	v_lshlrev_b64 v[2:3], v2, v[8:9]
	v_and_b32_e32 v32, 7, v2
; %bb.832:                              ;   in Loop: Header=BB371_11 Depth=1
	s_or_b32 exec_lo, exec_lo, s20
	v_lshlrev_b32_e32 v0, 8, v0
	v_lshl_add_u32 v1, v1, 10, 0x2000
	s_delay_alu instid0(VALU_DEP_1) | instskip(NEXT) | instid1(VALU_DEP_1)
	v_and_or_b32 v0, 0x8000, v0, v1
	v_lshl_or_b32 v0, v32, 7, v0
	s_delay_alu instid0(VALU_DEP_1)
	v_cvt_f32_f16_e32 v110, v0
.LBB371_833:                            ;   in Loop: Header=BB371_11 Depth=1
	s_or_b32 exec_lo, exec_lo, s19
.LBB371_834:                            ;   in Loop: Header=BB371_11 Depth=1
	s_delay_alu instid0(SALU_CYCLE_1)
	s_or_b32 exec_lo, exec_lo, s18
.LBB371_835:                            ;   in Loop: Header=BB371_11 Depth=1
	s_delay_alu instid0(SALU_CYCLE_1)
	s_or_b32 exec_lo, exec_lo, s17
	v_dual_mov_b32 v121, 0 :: v_dual_mov_b32 v120, 0
	s_mov_b32 s17, exec_lo
	v_cmpx_lt_u64_e64 s[2:3], v[30:31]
	s_cbranch_execz .LBB371_843
; %bb.836:                              ;   in Loop: Header=BB371_11 Depth=1
	v_lshrrev_b32_e32 v0, 24, v31
	v_bfrev_b32_e32 v120, 1
	s_mov_b32 s18, exec_lo
	s_delay_alu instid0(VALU_DEP_2)
	v_cmpx_ne_u32_e32 0x80, v0
	s_cbranch_execz .LBB371_842
; %bb.837:                              ;   in Loop: Header=BB371_11 Depth=1
	v_and_b32_e32 v2, 0x7f, v0
	v_mov_b32_e32 v120, 0x7fc02000
	s_mov_b32 s19, exec_lo
	s_delay_alu instid0(VALU_DEP_2)
	v_cmpx_ne_u32_e32 0x7f, v2
	s_cbranch_execz .LBB371_841
; %bb.838:                              ;   in Loop: Header=BB371_11 Depth=1
	v_and_b32_e32 v8, 7, v0
	v_lshrrev_b32_e32 v1, 3, v2
	v_mov_b32_e32 v31, v9
	s_mov_b32 s20, exec_lo
	s_delay_alu instid0(VALU_DEP_3)
	v_mov_b32_e32 v30, v8
	v_cmpx_gt_u32_e32 8, v2
; %bb.839:                              ;   in Loop: Header=BB371_11 Depth=1
	v_clz_i32_u32_e32 v1, v8
	s_delay_alu instid0(VALU_DEP_1) | instskip(NEXT) | instid1(VALU_DEP_1)
	v_min_u32_e32 v1, 32, v1
	v_subrev_nc_u32_e32 v2, 28, v1
	v_sub_nc_u32_e32 v1, 29, v1
	s_delay_alu instid0(VALU_DEP_2) | instskip(NEXT) | instid1(VALU_DEP_1)
	v_lshlrev_b64 v[2:3], v2, v[8:9]
	v_and_b32_e32 v30, 7, v2
; %bb.840:                              ;   in Loop: Header=BB371_11 Depth=1
	s_or_b32 exec_lo, exec_lo, s20
	v_lshlrev_b32_e32 v0, 8, v0
	v_lshl_add_u32 v1, v1, 10, 0x2000
	s_delay_alu instid0(VALU_DEP_1) | instskip(NEXT) | instid1(VALU_DEP_1)
	v_and_or_b32 v0, 0x8000, v0, v1
	v_lshl_or_b32 v0, v30, 7, v0
	s_delay_alu instid0(VALU_DEP_1)
	v_cvt_f32_f16_e32 v120, v0
.LBB371_841:                            ;   in Loop: Header=BB371_11 Depth=1
	s_or_b32 exec_lo, exec_lo, s19
.LBB371_842:                            ;   in Loop: Header=BB371_11 Depth=1
	s_delay_alu instid0(SALU_CYCLE_1)
	s_or_b32 exec_lo, exec_lo, s18
.LBB371_843:                            ;   in Loop: Header=BB371_11 Depth=1
	s_delay_alu instid0(SALU_CYCLE_1) | instskip(SKIP_4) | instid1(VALU_DEP_1)
	s_or_b32 exec_lo, exec_lo, s17
	flat_load_b64 v[30:31], v[28:29] offset:3080
	s_mov_b32 s17, exec_lo
	s_waitcnt vmcnt(0) lgkmcnt(0)
	v_and_b32_e32 v0, 0xff, v30
	v_cmpx_ne_u16_e32 0, v0
	s_cbranch_execz .LBB371_851
; %bb.844:                              ;   in Loop: Header=BB371_11 Depth=1
	v_bfrev_b32_e32 v121, 1
	s_mov_b32 s18, exec_lo
	v_cmpx_ne_u16_e32 0x80, v0
	s_cbranch_execz .LBB371_850
; %bb.845:                              ;   in Loop: Header=BB371_11 Depth=1
	v_and_b32_e32 v1, 0x7f, v30
	v_mov_b32_e32 v121, 0x7fc02000
	s_mov_b32 s19, exec_lo
	s_delay_alu instid0(VALU_DEP_2)
	v_cmpx_ne_u32_e32 0x7f, v1
	s_cbranch_execz .LBB371_849
; %bb.846:                              ;   in Loop: Header=BB371_11 Depth=1
	v_lshrrev_b32_e32 v0, 3, v1
	v_dual_mov_b32 v33, v31 :: v_dual_mov_b32 v32, v30
	s_mov_b32 s20, exec_lo
	v_cmpx_gt_u32_e32 8, v1
; %bb.847:                              ;   in Loop: Header=BB371_11 Depth=1
	v_and_b32_e32 v0, 7, v30
	s_delay_alu instid0(VALU_DEP_1) | instskip(NEXT) | instid1(VALU_DEP_1)
	v_clz_i32_u32_e32 v0, v0
	v_min_u32_e32 v0, 32, v0
	s_delay_alu instid0(VALU_DEP_1) | instskip(SKIP_1) | instid1(VALU_DEP_2)
	v_subrev_nc_u32_e32 v1, 28, v0
	v_sub_nc_u32_e32 v0, 29, v0
	v_lshlrev_b64 v[32:33], v1, v[30:31]
; %bb.848:                              ;   in Loop: Header=BB371_11 Depth=1
	s_or_b32 exec_lo, exec_lo, s20
	v_lshlrev_b32_e32 v1, 8, v30
	s_delay_alu instid0(VALU_DEP_3) | instskip(NEXT) | instid1(VALU_DEP_3)
	v_lshl_add_u32 v0, v0, 10, 0x2000
	v_lshlrev_b32_e32 v2, 7, v32
	s_delay_alu instid0(VALU_DEP_2) | instskip(NEXT) | instid1(VALU_DEP_1)
	v_and_or_b32 v0, 0x8000, v1, v0
	v_and_or_b32 v0, 0x380, v2, v0
	s_delay_alu instid0(VALU_DEP_1)
	v_cvt_f32_f16_e32 v121, v0
.LBB371_849:                            ;   in Loop: Header=BB371_11 Depth=1
	s_or_b32 exec_lo, exec_lo, s19
.LBB371_850:                            ;   in Loop: Header=BB371_11 Depth=1
	s_delay_alu instid0(SALU_CYCLE_1)
	s_or_b32 exec_lo, exec_lo, s18
.LBB371_851:                            ;   in Loop: Header=BB371_11 Depth=1
	s_delay_alu instid0(SALU_CYCLE_1) | instskip(SKIP_3) | instid1(VALU_DEP_2)
	s_or_b32 exec_lo, exec_lo, s17
	v_lshrrev_b16 v0, 8, v30
	v_dual_mov_b32 v122, 0 :: v_dual_mov_b32 v123, 0
	s_mov_b32 s17, exec_lo
	v_cmpx_ne_u16_e32 0, v0
	s_cbranch_execz .LBB371_859
; %bb.852:                              ;   in Loop: Header=BB371_11 Depth=1
	v_bfrev_b32_e32 v123, 1
	s_mov_b32 s18, exec_lo
	v_cmpx_ne_u16_e32 0x80, v0
	s_cbranch_execz .LBB371_858
; %bb.853:                              ;   in Loop: Header=BB371_11 Depth=1
	v_and_b32_e32 v0, 0xffff, v0
	v_mov_b32_e32 v123, 0x7fc02000
	s_mov_b32 s19, exec_lo
	s_delay_alu instid0(VALU_DEP_2) | instskip(NEXT) | instid1(VALU_DEP_1)
	v_and_b32_e32 v2, 0x7f, v0
	v_cmpx_ne_u32_e32 0x7f, v2
	s_cbranch_execz .LBB371_857
; %bb.854:                              ;   in Loop: Header=BB371_11 Depth=1
	v_and_b32_e32 v8, 7, v0
	v_lshrrev_b32_e32 v1, 3, v2
	v_mov_b32_e32 v33, v9
	s_mov_b32 s20, exec_lo
	s_delay_alu instid0(VALU_DEP_3)
	v_mov_b32_e32 v32, v8
	v_cmpx_gt_u32_e32 8, v2
; %bb.855:                              ;   in Loop: Header=BB371_11 Depth=1
	v_clz_i32_u32_e32 v1, v8
	s_delay_alu instid0(VALU_DEP_1) | instskip(NEXT) | instid1(VALU_DEP_1)
	v_min_u32_e32 v1, 32, v1
	v_subrev_nc_u32_e32 v2, 28, v1
	v_sub_nc_u32_e32 v1, 29, v1
	s_delay_alu instid0(VALU_DEP_2) | instskip(NEXT) | instid1(VALU_DEP_1)
	v_lshlrev_b64 v[2:3], v2, v[8:9]
	v_and_b32_e32 v32, 7, v2
; %bb.856:                              ;   in Loop: Header=BB371_11 Depth=1
	s_or_b32 exec_lo, exec_lo, s20
	v_lshlrev_b32_e32 v0, 8, v0
	v_lshl_add_u32 v1, v1, 10, 0x2000
	s_delay_alu instid0(VALU_DEP_1) | instskip(NEXT) | instid1(VALU_DEP_1)
	v_and_or_b32 v0, 0x8000, v0, v1
	v_lshl_or_b32 v0, v32, 7, v0
	s_delay_alu instid0(VALU_DEP_1)
	v_cvt_f32_f16_e32 v123, v0
.LBB371_857:                            ;   in Loop: Header=BB371_11 Depth=1
	s_or_b32 exec_lo, exec_lo, s19
.LBB371_858:                            ;   in Loop: Header=BB371_11 Depth=1
	s_delay_alu instid0(SALU_CYCLE_1)
	s_or_b32 exec_lo, exec_lo, s18
.LBB371_859:                            ;   in Loop: Header=BB371_11 Depth=1
	s_delay_alu instid0(SALU_CYCLE_1) | instskip(SKIP_2) | instid1(VALU_DEP_1)
	s_or_b32 exec_lo, exec_lo, s17
	v_lshrrev_b32_e32 v0, 16, v30
	s_mov_b32 s17, exec_lo
	v_and_b32_e32 v1, 0xff, v0
	s_delay_alu instid0(VALU_DEP_1)
	v_cmpx_ne_u16_e32 0, v1
	s_cbranch_execz .LBB371_867
; %bb.860:                              ;   in Loop: Header=BB371_11 Depth=1
	v_bfrev_b32_e32 v122, 1
	s_mov_b32 s18, exec_lo
	v_cmpx_ne_u16_e32 0x80, v1
	s_cbranch_execz .LBB371_866
; %bb.861:                              ;   in Loop: Header=BB371_11 Depth=1
	v_bfe_u32 v2, v30, 16, 7
	v_mov_b32_e32 v122, 0x7fc02000
	s_mov_b32 s19, exec_lo
	s_delay_alu instid0(VALU_DEP_2)
	v_cmpx_ne_u32_e32 0x7f, v2
	s_cbranch_execz .LBB371_865
; %bb.862:                              ;   in Loop: Header=BB371_11 Depth=1
	v_and_b32_e32 v8, 7, v0
	v_lshrrev_b32_e32 v1, 3, v2
	v_mov_b32_e32 v33, v9
	s_mov_b32 s20, exec_lo
	s_delay_alu instid0(VALU_DEP_3)
	v_mov_b32_e32 v32, v8
	v_cmpx_gt_u32_e32 8, v2
; %bb.863:                              ;   in Loop: Header=BB371_11 Depth=1
	v_clz_i32_u32_e32 v1, v8
	s_delay_alu instid0(VALU_DEP_1) | instskip(NEXT) | instid1(VALU_DEP_1)
	v_min_u32_e32 v1, 32, v1
	v_subrev_nc_u32_e32 v2, 28, v1
	v_sub_nc_u32_e32 v1, 29, v1
	s_delay_alu instid0(VALU_DEP_2) | instskip(NEXT) | instid1(VALU_DEP_1)
	v_lshlrev_b64 v[2:3], v2, v[8:9]
	v_and_b32_e32 v32, 7, v2
; %bb.864:                              ;   in Loop: Header=BB371_11 Depth=1
	s_or_b32 exec_lo, exec_lo, s20
	v_lshlrev_b32_e32 v0, 8, v0
	v_lshl_add_u32 v1, v1, 10, 0x2000
	s_delay_alu instid0(VALU_DEP_1) | instskip(NEXT) | instid1(VALU_DEP_1)
	v_and_or_b32 v0, 0x8000, v0, v1
	v_lshl_or_b32 v0, v32, 7, v0
	s_delay_alu instid0(VALU_DEP_1)
	v_cvt_f32_f16_e32 v122, v0
.LBB371_865:                            ;   in Loop: Header=BB371_11 Depth=1
	s_or_b32 exec_lo, exec_lo, s19
.LBB371_866:                            ;   in Loop: Header=BB371_11 Depth=1
	s_delay_alu instid0(SALU_CYCLE_1)
	s_or_b32 exec_lo, exec_lo, s18
.LBB371_867:                            ;   in Loop: Header=BB371_11 Depth=1
	s_delay_alu instid0(SALU_CYCLE_1)
	s_or_b32 exec_lo, exec_lo, s17
	v_dual_mov_b32 v124, 0 :: v_dual_mov_b32 v125, 0
	s_mov_b32 s17, exec_lo
	v_cmpx_lt_u32_e32 0xffffff, v30
	s_cbranch_execz .LBB371_875
; %bb.868:                              ;   in Loop: Header=BB371_11 Depth=1
	v_lshrrev_b32_e32 v0, 24, v30
	v_bfrev_b32_e32 v125, 1
	s_mov_b32 s18, exec_lo
	s_delay_alu instid0(VALU_DEP_2)
	v_cmpx_ne_u32_e32 0x80, v0
	s_cbranch_execz .LBB371_874
; %bb.869:                              ;   in Loop: Header=BB371_11 Depth=1
	v_and_b32_e32 v2, 0x7f, v0
	v_mov_b32_e32 v125, 0x7fc02000
	s_mov_b32 s19, exec_lo
	s_delay_alu instid0(VALU_DEP_2)
	v_cmpx_ne_u32_e32 0x7f, v2
	s_cbranch_execz .LBB371_873
; %bb.870:                              ;   in Loop: Header=BB371_11 Depth=1
	v_and_b32_e32 v8, 7, v0
	v_lshrrev_b32_e32 v1, 3, v2
	v_mov_b32_e32 v33, v9
	s_mov_b32 s20, exec_lo
	s_delay_alu instid0(VALU_DEP_3)
	v_mov_b32_e32 v32, v8
	v_cmpx_gt_u32_e32 8, v2
; %bb.871:                              ;   in Loop: Header=BB371_11 Depth=1
	v_clz_i32_u32_e32 v1, v8
	s_delay_alu instid0(VALU_DEP_1) | instskip(NEXT) | instid1(VALU_DEP_1)
	v_min_u32_e32 v1, 32, v1
	v_subrev_nc_u32_e32 v2, 28, v1
	v_sub_nc_u32_e32 v1, 29, v1
	s_delay_alu instid0(VALU_DEP_2) | instskip(NEXT) | instid1(VALU_DEP_1)
	v_lshlrev_b64 v[2:3], v2, v[8:9]
	v_and_b32_e32 v32, 7, v2
; %bb.872:                              ;   in Loop: Header=BB371_11 Depth=1
	s_or_b32 exec_lo, exec_lo, s20
	v_lshlrev_b32_e32 v0, 8, v0
	v_lshl_add_u32 v1, v1, 10, 0x2000
	s_delay_alu instid0(VALU_DEP_1) | instskip(NEXT) | instid1(VALU_DEP_1)
	v_and_or_b32 v0, 0x8000, v0, v1
	v_lshl_or_b32 v0, v32, 7, v0
	s_delay_alu instid0(VALU_DEP_1)
	v_cvt_f32_f16_e32 v125, v0
.LBB371_873:                            ;   in Loop: Header=BB371_11 Depth=1
	s_or_b32 exec_lo, exec_lo, s19
.LBB371_874:                            ;   in Loop: Header=BB371_11 Depth=1
	s_delay_alu instid0(SALU_CYCLE_1)
	s_or_b32 exec_lo, exec_lo, s18
.LBB371_875:                            ;   in Loop: Header=BB371_11 Depth=1
	s_delay_alu instid0(SALU_CYCLE_1) | instskip(SKIP_3) | instid1(VALU_DEP_2)
	s_or_b32 exec_lo, exec_lo, s17
	v_and_b32_e32 v0, 0xff, v31
	v_mov_b32_e32 v8, v31
	s_mov_b32 s17, exec_lo
	v_cmpx_ne_u16_e32 0, v0
	s_cbranch_execz .LBB371_883
; %bb.876:                              ;   in Loop: Header=BB371_11 Depth=1
	v_bfrev_b32_e32 v124, 1
	s_mov_b32 s18, exec_lo
	v_cmpx_ne_u16_e32 0x80, v0
	s_cbranch_execz .LBB371_882
; %bb.877:                              ;   in Loop: Header=BB371_11 Depth=1
	v_and_b32_e32 v1, 0x7f, v31
	v_mov_b32_e32 v124, 0x7fc02000
	s_mov_b32 s19, exec_lo
	s_delay_alu instid0(VALU_DEP_2)
	v_cmpx_ne_u32_e32 0x7f, v1
	s_cbranch_execz .LBB371_881
; %bb.878:                              ;   in Loop: Header=BB371_11 Depth=1
	v_dual_mov_b32 v33, v9 :: v_dual_mov_b32 v32, v8
	v_lshrrev_b32_e32 v0, 3, v1
	s_mov_b32 s20, exec_lo
	v_cmpx_gt_u32_e32 8, v1
; %bb.879:                              ;   in Loop: Header=BB371_11 Depth=1
	v_and_b32_e32 v0, 7, v31
	s_delay_alu instid0(VALU_DEP_1) | instskip(NEXT) | instid1(VALU_DEP_1)
	v_clz_i32_u32_e32 v0, v0
	v_min_u32_e32 v0, 32, v0
	s_delay_alu instid0(VALU_DEP_1) | instskip(SKIP_1) | instid1(VALU_DEP_2)
	v_subrev_nc_u32_e32 v1, 28, v0
	v_sub_nc_u32_e32 v0, 29, v0
	v_lshlrev_b64 v[32:33], v1, v[8:9]
; %bb.880:                              ;   in Loop: Header=BB371_11 Depth=1
	s_or_b32 exec_lo, exec_lo, s20
	v_lshlrev_b32_e32 v1, 8, v31
	s_delay_alu instid0(VALU_DEP_3) | instskip(NEXT) | instid1(VALU_DEP_3)
	v_lshl_add_u32 v0, v0, 10, 0x2000
	v_lshlrev_b32_e32 v2, 7, v32
	s_delay_alu instid0(VALU_DEP_2) | instskip(NEXT) | instid1(VALU_DEP_1)
	v_and_or_b32 v0, 0x8000, v1, v0
	v_and_or_b32 v0, 0x380, v2, v0
	s_delay_alu instid0(VALU_DEP_1)
	v_cvt_f32_f16_e32 v124, v0
.LBB371_881:                            ;   in Loop: Header=BB371_11 Depth=1
	s_or_b32 exec_lo, exec_lo, s19
.LBB371_882:                            ;   in Loop: Header=BB371_11 Depth=1
	s_delay_alu instid0(SALU_CYCLE_1)
	s_or_b32 exec_lo, exec_lo, s18
.LBB371_883:                            ;   in Loop: Header=BB371_11 Depth=1
	s_delay_alu instid0(SALU_CYCLE_1) | instskip(SKIP_3) | instid1(VALU_DEP_2)
	s_or_b32 exec_lo, exec_lo, s17
	v_lshrrev_b16 v0, 8, v8
	v_dual_mov_b32 v126, 0 :: v_dual_mov_b32 v127, 0
	s_mov_b32 s17, exec_lo
	v_cmpx_ne_u16_e32 0, v0
	s_cbranch_execz .LBB371_891
; %bb.884:                              ;   in Loop: Header=BB371_11 Depth=1
	v_bfrev_b32_e32 v127, 1
	s_mov_b32 s18, exec_lo
	v_cmpx_ne_u16_e32 0x80, v0
	s_cbranch_execz .LBB371_890
; %bb.885:                              ;   in Loop: Header=BB371_11 Depth=1
	v_and_b32_e32 v0, 0xffff, v0
	v_mov_b32_e32 v127, 0x7fc02000
	s_mov_b32 s19, exec_lo
	s_delay_alu instid0(VALU_DEP_2) | instskip(NEXT) | instid1(VALU_DEP_1)
	v_and_b32_e32 v2, 0x7f, v0
	v_cmpx_ne_u32_e32 0x7f, v2
	s_cbranch_execz .LBB371_889
; %bb.886:                              ;   in Loop: Header=BB371_11 Depth=1
	v_and_b32_e32 v8, 7, v0
	v_lshrrev_b32_e32 v1, 3, v2
	v_mov_b32_e32 v33, v9
	s_mov_b32 s20, exec_lo
	s_delay_alu instid0(VALU_DEP_3)
	v_mov_b32_e32 v32, v8
	v_cmpx_gt_u32_e32 8, v2
; %bb.887:                              ;   in Loop: Header=BB371_11 Depth=1
	v_clz_i32_u32_e32 v1, v8
	s_delay_alu instid0(VALU_DEP_1) | instskip(NEXT) | instid1(VALU_DEP_1)
	v_min_u32_e32 v1, 32, v1
	v_subrev_nc_u32_e32 v2, 28, v1
	v_sub_nc_u32_e32 v1, 29, v1
	s_delay_alu instid0(VALU_DEP_2) | instskip(NEXT) | instid1(VALU_DEP_1)
	v_lshlrev_b64 v[2:3], v2, v[8:9]
	v_and_b32_e32 v32, 7, v2
; %bb.888:                              ;   in Loop: Header=BB371_11 Depth=1
	s_or_b32 exec_lo, exec_lo, s20
	v_lshlrev_b32_e32 v0, 8, v0
	v_lshl_add_u32 v1, v1, 10, 0x2000
	s_delay_alu instid0(VALU_DEP_1) | instskip(NEXT) | instid1(VALU_DEP_1)
	v_and_or_b32 v0, 0x8000, v0, v1
	v_lshl_or_b32 v0, v32, 7, v0
	s_delay_alu instid0(VALU_DEP_1)
	v_cvt_f32_f16_e32 v127, v0
.LBB371_889:                            ;   in Loop: Header=BB371_11 Depth=1
	s_or_b32 exec_lo, exec_lo, s19
.LBB371_890:                            ;   in Loop: Header=BB371_11 Depth=1
	s_delay_alu instid0(SALU_CYCLE_1)
	s_or_b32 exec_lo, exec_lo, s18
.LBB371_891:                            ;   in Loop: Header=BB371_11 Depth=1
	s_delay_alu instid0(SALU_CYCLE_1) | instskip(SKIP_2) | instid1(VALU_DEP_1)
	s_or_b32 exec_lo, exec_lo, s17
	v_lshrrev_b32_e32 v0, 16, v31
	s_mov_b32 s17, exec_lo
	v_and_b32_e32 v1, 0xff, v0
	s_delay_alu instid0(VALU_DEP_1)
	v_cmpx_ne_u16_e32 0, v1
	s_cbranch_execz .LBB371_899
; %bb.892:                              ;   in Loop: Header=BB371_11 Depth=1
	v_bfrev_b32_e32 v126, 1
	s_mov_b32 s18, exec_lo
	v_cmpx_ne_u16_e32 0x80, v1
	s_cbranch_execz .LBB371_898
; %bb.893:                              ;   in Loop: Header=BB371_11 Depth=1
	v_bfe_u32 v2, v31, 16, 7
	v_mov_b32_e32 v126, 0x7fc02000
	s_mov_b32 s19, exec_lo
	s_delay_alu instid0(VALU_DEP_2)
	v_cmpx_ne_u32_e32 0x7f, v2
	s_cbranch_execz .LBB371_897
; %bb.894:                              ;   in Loop: Header=BB371_11 Depth=1
	v_and_b32_e32 v8, 7, v0
	v_lshrrev_b32_e32 v1, 3, v2
	v_mov_b32_e32 v33, v9
	s_mov_b32 s20, exec_lo
	s_delay_alu instid0(VALU_DEP_3)
	v_mov_b32_e32 v32, v8
	v_cmpx_gt_u32_e32 8, v2
; %bb.895:                              ;   in Loop: Header=BB371_11 Depth=1
	v_clz_i32_u32_e32 v1, v8
	s_delay_alu instid0(VALU_DEP_1) | instskip(NEXT) | instid1(VALU_DEP_1)
	v_min_u32_e32 v1, 32, v1
	v_subrev_nc_u32_e32 v2, 28, v1
	v_sub_nc_u32_e32 v1, 29, v1
	s_delay_alu instid0(VALU_DEP_2) | instskip(NEXT) | instid1(VALU_DEP_1)
	v_lshlrev_b64 v[2:3], v2, v[8:9]
	v_and_b32_e32 v32, 7, v2
; %bb.896:                              ;   in Loop: Header=BB371_11 Depth=1
	s_or_b32 exec_lo, exec_lo, s20
	v_lshlrev_b32_e32 v0, 8, v0
	v_lshl_add_u32 v1, v1, 10, 0x2000
	s_delay_alu instid0(VALU_DEP_1) | instskip(NEXT) | instid1(VALU_DEP_1)
	v_and_or_b32 v0, 0x8000, v0, v1
	v_lshl_or_b32 v0, v32, 7, v0
	s_delay_alu instid0(VALU_DEP_1)
	v_cvt_f32_f16_e32 v126, v0
.LBB371_897:                            ;   in Loop: Header=BB371_11 Depth=1
	s_or_b32 exec_lo, exec_lo, s19
.LBB371_898:                            ;   in Loop: Header=BB371_11 Depth=1
	s_delay_alu instid0(SALU_CYCLE_1)
	s_or_b32 exec_lo, exec_lo, s18
.LBB371_899:                            ;   in Loop: Header=BB371_11 Depth=1
	s_delay_alu instid0(SALU_CYCLE_1)
	s_or_b32 exec_lo, exec_lo, s17
	v_dual_mov_b32 v137, 0 :: v_dual_mov_b32 v136, 0
	s_mov_b32 s17, exec_lo
	v_cmpx_lt_u64_e64 s[2:3], v[30:31]
	s_cbranch_execz .LBB371_907
; %bb.900:                              ;   in Loop: Header=BB371_11 Depth=1
	v_lshrrev_b32_e32 v0, 24, v31
	v_bfrev_b32_e32 v136, 1
	s_mov_b32 s18, exec_lo
	s_delay_alu instid0(VALU_DEP_2)
	v_cmpx_ne_u32_e32 0x80, v0
	s_cbranch_execz .LBB371_906
; %bb.901:                              ;   in Loop: Header=BB371_11 Depth=1
	v_and_b32_e32 v2, 0x7f, v0
	v_mov_b32_e32 v136, 0x7fc02000
	s_mov_b32 s19, exec_lo
	s_delay_alu instid0(VALU_DEP_2)
	v_cmpx_ne_u32_e32 0x7f, v2
	s_cbranch_execz .LBB371_905
; %bb.902:                              ;   in Loop: Header=BB371_11 Depth=1
	v_and_b32_e32 v8, 7, v0
	v_lshrrev_b32_e32 v1, 3, v2
	v_mov_b32_e32 v31, v9
	s_mov_b32 s20, exec_lo
	s_delay_alu instid0(VALU_DEP_3)
	v_mov_b32_e32 v30, v8
	v_cmpx_gt_u32_e32 8, v2
; %bb.903:                              ;   in Loop: Header=BB371_11 Depth=1
	v_clz_i32_u32_e32 v1, v8
	s_delay_alu instid0(VALU_DEP_1) | instskip(NEXT) | instid1(VALU_DEP_1)
	v_min_u32_e32 v1, 32, v1
	v_subrev_nc_u32_e32 v2, 28, v1
	v_sub_nc_u32_e32 v1, 29, v1
	s_delay_alu instid0(VALU_DEP_2) | instskip(NEXT) | instid1(VALU_DEP_1)
	v_lshlrev_b64 v[2:3], v2, v[8:9]
	v_and_b32_e32 v30, 7, v2
; %bb.904:                              ;   in Loop: Header=BB371_11 Depth=1
	s_or_b32 exec_lo, exec_lo, s20
	v_lshlrev_b32_e32 v0, 8, v0
	v_lshl_add_u32 v1, v1, 10, 0x2000
	s_delay_alu instid0(VALU_DEP_1) | instskip(NEXT) | instid1(VALU_DEP_1)
	v_and_or_b32 v0, 0x8000, v0, v1
	v_lshl_or_b32 v0, v30, 7, v0
	s_delay_alu instid0(VALU_DEP_1)
	v_cvt_f32_f16_e64 v136, v0
.LBB371_905:                            ;   in Loop: Header=BB371_11 Depth=1
	s_or_b32 exec_lo, exec_lo, s19
.LBB371_906:                            ;   in Loop: Header=BB371_11 Depth=1
	s_delay_alu instid0(SALU_CYCLE_1)
	s_or_b32 exec_lo, exec_lo, s18
.LBB371_907:                            ;   in Loop: Header=BB371_11 Depth=1
	s_delay_alu instid0(SALU_CYCLE_1) | instskip(SKIP_4) | instid1(VALU_DEP_1)
	s_or_b32 exec_lo, exec_lo, s17
	flat_load_b64 v[30:31], v[28:29] offset:3584
	s_mov_b32 s17, exec_lo
	s_waitcnt vmcnt(0) lgkmcnt(0)
	v_and_b32_e32 v0, 0xff, v30
	v_cmpx_ne_u16_e32 0, v0
	s_cbranch_execz .LBB371_915
; %bb.908:                              ;   in Loop: Header=BB371_11 Depth=1
	v_bfrev_b32_e32 v137, 1
	s_mov_b32 s18, exec_lo
	v_cmpx_ne_u16_e32 0x80, v0
	s_cbranch_execz .LBB371_914
; %bb.909:                              ;   in Loop: Header=BB371_11 Depth=1
	v_and_b32_e32 v1, 0x7f, v30
	v_mov_b32_e32 v137, 0x7fc02000
	s_mov_b32 s19, exec_lo
	s_delay_alu instid0(VALU_DEP_2)
	v_cmpx_ne_u32_e32 0x7f, v1
	s_cbranch_execz .LBB371_913
; %bb.910:                              ;   in Loop: Header=BB371_11 Depth=1
	v_lshrrev_b32_e32 v0, 3, v1
	v_dual_mov_b32 v33, v31 :: v_dual_mov_b32 v32, v30
	s_mov_b32 s20, exec_lo
	v_cmpx_gt_u32_e32 8, v1
; %bb.911:                              ;   in Loop: Header=BB371_11 Depth=1
	v_and_b32_e32 v0, 7, v30
	s_delay_alu instid0(VALU_DEP_1) | instskip(NEXT) | instid1(VALU_DEP_1)
	v_clz_i32_u32_e32 v0, v0
	v_min_u32_e32 v0, 32, v0
	s_delay_alu instid0(VALU_DEP_1) | instskip(SKIP_1) | instid1(VALU_DEP_2)
	v_subrev_nc_u32_e32 v1, 28, v0
	v_sub_nc_u32_e32 v0, 29, v0
	v_lshlrev_b64 v[32:33], v1, v[30:31]
; %bb.912:                              ;   in Loop: Header=BB371_11 Depth=1
	s_or_b32 exec_lo, exec_lo, s20
	v_lshlrev_b32_e32 v1, 8, v30
	s_delay_alu instid0(VALU_DEP_3) | instskip(NEXT) | instid1(VALU_DEP_3)
	v_lshl_add_u32 v0, v0, 10, 0x2000
	v_lshlrev_b32_e32 v2, 7, v32
	s_delay_alu instid0(VALU_DEP_2) | instskip(NEXT) | instid1(VALU_DEP_1)
	v_and_or_b32 v0, 0x8000, v1, v0
	v_and_or_b32 v0, 0x380, v2, v0
	s_delay_alu instid0(VALU_DEP_1)
	v_cvt_f32_f16_e64 v137, v0
.LBB371_913:                            ;   in Loop: Header=BB371_11 Depth=1
	s_or_b32 exec_lo, exec_lo, s19
.LBB371_914:                            ;   in Loop: Header=BB371_11 Depth=1
	s_delay_alu instid0(SALU_CYCLE_1)
	s_or_b32 exec_lo, exec_lo, s18
.LBB371_915:                            ;   in Loop: Header=BB371_11 Depth=1
	s_delay_alu instid0(SALU_CYCLE_1) | instskip(SKIP_3) | instid1(VALU_DEP_2)
	s_or_b32 exec_lo, exec_lo, s17
	v_lshrrev_b16 v0, 8, v30
	v_dual_mov_b32 v138, 0 :: v_dual_mov_b32 v139, 0
	s_mov_b32 s17, exec_lo
	v_cmpx_ne_u16_e32 0, v0
	s_cbranch_execz .LBB371_923
; %bb.916:                              ;   in Loop: Header=BB371_11 Depth=1
	v_bfrev_b32_e32 v139, 1
	s_mov_b32 s18, exec_lo
	v_cmpx_ne_u16_e32 0x80, v0
	s_cbranch_execz .LBB371_922
; %bb.917:                              ;   in Loop: Header=BB371_11 Depth=1
	v_and_b32_e32 v0, 0xffff, v0
	v_mov_b32_e32 v139, 0x7fc02000
	s_mov_b32 s19, exec_lo
	s_delay_alu instid0(VALU_DEP_2) | instskip(NEXT) | instid1(VALU_DEP_1)
	v_and_b32_e32 v2, 0x7f, v0
	v_cmpx_ne_u32_e32 0x7f, v2
	s_cbranch_execz .LBB371_921
; %bb.918:                              ;   in Loop: Header=BB371_11 Depth=1
	v_and_b32_e32 v8, 7, v0
	v_lshrrev_b32_e32 v1, 3, v2
	v_mov_b32_e32 v33, v9
	s_mov_b32 s20, exec_lo
	s_delay_alu instid0(VALU_DEP_3)
	v_mov_b32_e32 v32, v8
	v_cmpx_gt_u32_e32 8, v2
; %bb.919:                              ;   in Loop: Header=BB371_11 Depth=1
	v_clz_i32_u32_e32 v1, v8
	s_delay_alu instid0(VALU_DEP_1) | instskip(NEXT) | instid1(VALU_DEP_1)
	v_min_u32_e32 v1, 32, v1
	v_subrev_nc_u32_e32 v2, 28, v1
	v_sub_nc_u32_e32 v1, 29, v1
	s_delay_alu instid0(VALU_DEP_2) | instskip(NEXT) | instid1(VALU_DEP_1)
	v_lshlrev_b64 v[2:3], v2, v[8:9]
	v_and_b32_e32 v32, 7, v2
; %bb.920:                              ;   in Loop: Header=BB371_11 Depth=1
	s_or_b32 exec_lo, exec_lo, s20
	v_lshlrev_b32_e32 v0, 8, v0
	v_lshl_add_u32 v1, v1, 10, 0x2000
	s_delay_alu instid0(VALU_DEP_1) | instskip(NEXT) | instid1(VALU_DEP_1)
	v_and_or_b32 v0, 0x8000, v0, v1
	v_lshl_or_b32 v0, v32, 7, v0
	s_delay_alu instid0(VALU_DEP_1)
	v_cvt_f32_f16_e64 v139, v0
.LBB371_921:                            ;   in Loop: Header=BB371_11 Depth=1
	s_or_b32 exec_lo, exec_lo, s19
.LBB371_922:                            ;   in Loop: Header=BB371_11 Depth=1
	s_delay_alu instid0(SALU_CYCLE_1)
	s_or_b32 exec_lo, exec_lo, s18
.LBB371_923:                            ;   in Loop: Header=BB371_11 Depth=1
	s_delay_alu instid0(SALU_CYCLE_1) | instskip(SKIP_2) | instid1(VALU_DEP_1)
	s_or_b32 exec_lo, exec_lo, s17
	v_lshrrev_b32_e32 v0, 16, v30
	s_mov_b32 s17, exec_lo
	v_and_b32_e32 v1, 0xff, v0
	s_delay_alu instid0(VALU_DEP_1)
	v_cmpx_ne_u16_e32 0, v1
	s_cbranch_execz .LBB371_931
; %bb.924:                              ;   in Loop: Header=BB371_11 Depth=1
	v_bfrev_b32_e32 v138, 1
	s_mov_b32 s18, exec_lo
	v_cmpx_ne_u16_e32 0x80, v1
	s_cbranch_execz .LBB371_930
; %bb.925:                              ;   in Loop: Header=BB371_11 Depth=1
	v_bfe_u32 v2, v30, 16, 7
	v_mov_b32_e32 v138, 0x7fc02000
	s_mov_b32 s19, exec_lo
	s_delay_alu instid0(VALU_DEP_2)
	v_cmpx_ne_u32_e32 0x7f, v2
	s_cbranch_execz .LBB371_929
; %bb.926:                              ;   in Loop: Header=BB371_11 Depth=1
	v_and_b32_e32 v8, 7, v0
	v_lshrrev_b32_e32 v1, 3, v2
	v_mov_b32_e32 v33, v9
	s_mov_b32 s20, exec_lo
	s_delay_alu instid0(VALU_DEP_3)
	v_mov_b32_e32 v32, v8
	v_cmpx_gt_u32_e32 8, v2
; %bb.927:                              ;   in Loop: Header=BB371_11 Depth=1
	v_clz_i32_u32_e32 v1, v8
	s_delay_alu instid0(VALU_DEP_1) | instskip(NEXT) | instid1(VALU_DEP_1)
	v_min_u32_e32 v1, 32, v1
	v_subrev_nc_u32_e32 v2, 28, v1
	v_sub_nc_u32_e32 v1, 29, v1
	s_delay_alu instid0(VALU_DEP_2) | instskip(NEXT) | instid1(VALU_DEP_1)
	v_lshlrev_b64 v[2:3], v2, v[8:9]
	v_and_b32_e32 v32, 7, v2
; %bb.928:                              ;   in Loop: Header=BB371_11 Depth=1
	s_or_b32 exec_lo, exec_lo, s20
	v_lshlrev_b32_e32 v0, 8, v0
	v_lshl_add_u32 v1, v1, 10, 0x2000
	s_delay_alu instid0(VALU_DEP_1) | instskip(NEXT) | instid1(VALU_DEP_1)
	v_and_or_b32 v0, 0x8000, v0, v1
	v_lshl_or_b32 v0, v32, 7, v0
	s_delay_alu instid0(VALU_DEP_1)
	v_cvt_f32_f16_e64 v138, v0
.LBB371_929:                            ;   in Loop: Header=BB371_11 Depth=1
	s_or_b32 exec_lo, exec_lo, s19
.LBB371_930:                            ;   in Loop: Header=BB371_11 Depth=1
	s_delay_alu instid0(SALU_CYCLE_1)
	s_or_b32 exec_lo, exec_lo, s18
.LBB371_931:                            ;   in Loop: Header=BB371_11 Depth=1
	s_delay_alu instid0(SALU_CYCLE_1)
	s_or_b32 exec_lo, exec_lo, s17
	v_dual_mov_b32 v140, 0 :: v_dual_mov_b32 v141, 0
	s_mov_b32 s17, exec_lo
	v_cmpx_lt_u32_e32 0xffffff, v30
	s_cbranch_execz .LBB371_939
; %bb.932:                              ;   in Loop: Header=BB371_11 Depth=1
	v_lshrrev_b32_e32 v0, 24, v30
	v_bfrev_b32_e32 v141, 1
	s_mov_b32 s18, exec_lo
	s_delay_alu instid0(VALU_DEP_2)
	v_cmpx_ne_u32_e32 0x80, v0
	s_cbranch_execz .LBB371_938
; %bb.933:                              ;   in Loop: Header=BB371_11 Depth=1
	v_and_b32_e32 v2, 0x7f, v0
	v_mov_b32_e32 v141, 0x7fc02000
	s_mov_b32 s19, exec_lo
	s_delay_alu instid0(VALU_DEP_2)
	v_cmpx_ne_u32_e32 0x7f, v2
	s_cbranch_execz .LBB371_937
; %bb.934:                              ;   in Loop: Header=BB371_11 Depth=1
	v_and_b32_e32 v8, 7, v0
	v_lshrrev_b32_e32 v1, 3, v2
	v_mov_b32_e32 v33, v9
	s_mov_b32 s20, exec_lo
	s_delay_alu instid0(VALU_DEP_3)
	v_mov_b32_e32 v32, v8
	v_cmpx_gt_u32_e32 8, v2
; %bb.935:                              ;   in Loop: Header=BB371_11 Depth=1
	v_clz_i32_u32_e32 v1, v8
	s_delay_alu instid0(VALU_DEP_1) | instskip(NEXT) | instid1(VALU_DEP_1)
	v_min_u32_e32 v1, 32, v1
	v_subrev_nc_u32_e32 v2, 28, v1
	v_sub_nc_u32_e32 v1, 29, v1
	s_delay_alu instid0(VALU_DEP_2) | instskip(NEXT) | instid1(VALU_DEP_1)
	v_lshlrev_b64 v[2:3], v2, v[8:9]
	v_and_b32_e32 v32, 7, v2
; %bb.936:                              ;   in Loop: Header=BB371_11 Depth=1
	s_or_b32 exec_lo, exec_lo, s20
	v_lshlrev_b32_e32 v0, 8, v0
	v_lshl_add_u32 v1, v1, 10, 0x2000
	s_delay_alu instid0(VALU_DEP_1) | instskip(NEXT) | instid1(VALU_DEP_1)
	v_and_or_b32 v0, 0x8000, v0, v1
	v_lshl_or_b32 v0, v32, 7, v0
	s_delay_alu instid0(VALU_DEP_1)
	v_cvt_f32_f16_e64 v141, v0
.LBB371_937:                            ;   in Loop: Header=BB371_11 Depth=1
	s_or_b32 exec_lo, exec_lo, s19
.LBB371_938:                            ;   in Loop: Header=BB371_11 Depth=1
	s_delay_alu instid0(SALU_CYCLE_1)
	s_or_b32 exec_lo, exec_lo, s18
.LBB371_939:                            ;   in Loop: Header=BB371_11 Depth=1
	s_delay_alu instid0(SALU_CYCLE_1) | instskip(SKIP_3) | instid1(VALU_DEP_2)
	s_or_b32 exec_lo, exec_lo, s17
	v_and_b32_e32 v0, 0xff, v31
	v_mov_b32_e32 v8, v31
	s_mov_b32 s17, exec_lo
	v_cmpx_ne_u16_e32 0, v0
	s_cbranch_execz .LBB371_947
; %bb.940:                              ;   in Loop: Header=BB371_11 Depth=1
	v_bfrev_b32_e32 v140, 1
	s_mov_b32 s18, exec_lo
	v_cmpx_ne_u16_e32 0x80, v0
	s_cbranch_execz .LBB371_946
; %bb.941:                              ;   in Loop: Header=BB371_11 Depth=1
	v_and_b32_e32 v1, 0x7f, v31
	v_mov_b32_e32 v140, 0x7fc02000
	s_mov_b32 s19, exec_lo
	s_delay_alu instid0(VALU_DEP_2)
	v_cmpx_ne_u32_e32 0x7f, v1
	s_cbranch_execz .LBB371_945
; %bb.942:                              ;   in Loop: Header=BB371_11 Depth=1
	v_dual_mov_b32 v33, v9 :: v_dual_mov_b32 v32, v8
	v_lshrrev_b32_e32 v0, 3, v1
	s_mov_b32 s20, exec_lo
	v_cmpx_gt_u32_e32 8, v1
; %bb.943:                              ;   in Loop: Header=BB371_11 Depth=1
	v_and_b32_e32 v0, 7, v31
	s_delay_alu instid0(VALU_DEP_1) | instskip(NEXT) | instid1(VALU_DEP_1)
	v_clz_i32_u32_e32 v0, v0
	v_min_u32_e32 v0, 32, v0
	s_delay_alu instid0(VALU_DEP_1) | instskip(SKIP_1) | instid1(VALU_DEP_2)
	v_subrev_nc_u32_e32 v1, 28, v0
	v_sub_nc_u32_e32 v0, 29, v0
	v_lshlrev_b64 v[32:33], v1, v[8:9]
; %bb.944:                              ;   in Loop: Header=BB371_11 Depth=1
	s_or_b32 exec_lo, exec_lo, s20
	v_lshlrev_b32_e32 v1, 8, v31
	s_delay_alu instid0(VALU_DEP_3) | instskip(NEXT) | instid1(VALU_DEP_3)
	v_lshl_add_u32 v0, v0, 10, 0x2000
	v_lshlrev_b32_e32 v2, 7, v32
	s_delay_alu instid0(VALU_DEP_2) | instskip(NEXT) | instid1(VALU_DEP_1)
	v_and_or_b32 v0, 0x8000, v1, v0
	v_and_or_b32 v0, 0x380, v2, v0
	s_delay_alu instid0(VALU_DEP_1)
	v_cvt_f32_f16_e64 v140, v0
.LBB371_945:                            ;   in Loop: Header=BB371_11 Depth=1
	s_or_b32 exec_lo, exec_lo, s19
.LBB371_946:                            ;   in Loop: Header=BB371_11 Depth=1
	s_delay_alu instid0(SALU_CYCLE_1)
	s_or_b32 exec_lo, exec_lo, s18
.LBB371_947:                            ;   in Loop: Header=BB371_11 Depth=1
	s_delay_alu instid0(SALU_CYCLE_1) | instskip(SKIP_3) | instid1(VALU_DEP_2)
	s_or_b32 exec_lo, exec_lo, s17
	v_lshrrev_b16 v0, 8, v8
	v_dual_mov_b32 v142, 0 :: v_dual_mov_b32 v143, 0
	s_mov_b32 s17, exec_lo
	v_cmpx_ne_u16_e32 0, v0
	s_cbranch_execz .LBB371_955
; %bb.948:                              ;   in Loop: Header=BB371_11 Depth=1
	v_bfrev_b32_e32 v143, 1
	s_mov_b32 s18, exec_lo
	v_cmpx_ne_u16_e32 0x80, v0
	s_cbranch_execz .LBB371_954
; %bb.949:                              ;   in Loop: Header=BB371_11 Depth=1
	v_and_b32_e32 v0, 0xffff, v0
	v_mov_b32_e32 v143, 0x7fc02000
	s_mov_b32 s19, exec_lo
	s_delay_alu instid0(VALU_DEP_2) | instskip(NEXT) | instid1(VALU_DEP_1)
	v_and_b32_e32 v2, 0x7f, v0
	v_cmpx_ne_u32_e32 0x7f, v2
	s_cbranch_execz .LBB371_953
; %bb.950:                              ;   in Loop: Header=BB371_11 Depth=1
	v_and_b32_e32 v8, 7, v0
	v_lshrrev_b32_e32 v1, 3, v2
	v_mov_b32_e32 v33, v9
	s_mov_b32 s20, exec_lo
	s_delay_alu instid0(VALU_DEP_3)
	v_mov_b32_e32 v32, v8
	v_cmpx_gt_u32_e32 8, v2
; %bb.951:                              ;   in Loop: Header=BB371_11 Depth=1
	v_clz_i32_u32_e32 v1, v8
	s_delay_alu instid0(VALU_DEP_1) | instskip(NEXT) | instid1(VALU_DEP_1)
	v_min_u32_e32 v1, 32, v1
	v_subrev_nc_u32_e32 v2, 28, v1
	v_sub_nc_u32_e32 v1, 29, v1
	s_delay_alu instid0(VALU_DEP_2) | instskip(NEXT) | instid1(VALU_DEP_1)
	v_lshlrev_b64 v[2:3], v2, v[8:9]
	v_and_b32_e32 v32, 7, v2
; %bb.952:                              ;   in Loop: Header=BB371_11 Depth=1
	s_or_b32 exec_lo, exec_lo, s20
	v_lshlrev_b32_e32 v0, 8, v0
	v_lshl_add_u32 v1, v1, 10, 0x2000
	s_delay_alu instid0(VALU_DEP_1) | instskip(NEXT) | instid1(VALU_DEP_1)
	v_and_or_b32 v0, 0x8000, v0, v1
	v_lshl_or_b32 v0, v32, 7, v0
	s_delay_alu instid0(VALU_DEP_1)
	v_cvt_f32_f16_e64 v143, v0
.LBB371_953:                            ;   in Loop: Header=BB371_11 Depth=1
	s_or_b32 exec_lo, exec_lo, s19
.LBB371_954:                            ;   in Loop: Header=BB371_11 Depth=1
	s_delay_alu instid0(SALU_CYCLE_1)
	s_or_b32 exec_lo, exec_lo, s18
.LBB371_955:                            ;   in Loop: Header=BB371_11 Depth=1
	s_delay_alu instid0(SALU_CYCLE_1) | instskip(SKIP_2) | instid1(VALU_DEP_1)
	s_or_b32 exec_lo, exec_lo, s17
	v_lshrrev_b32_e32 v0, 16, v31
	s_mov_b32 s17, exec_lo
	v_and_b32_e32 v1, 0xff, v0
	s_delay_alu instid0(VALU_DEP_1)
	v_cmpx_ne_u16_e32 0, v1
	s_cbranch_execz .LBB371_963
; %bb.956:                              ;   in Loop: Header=BB371_11 Depth=1
	v_bfrev_b32_e32 v142, 1
	s_mov_b32 s18, exec_lo
	v_cmpx_ne_u16_e32 0x80, v1
	s_cbranch_execz .LBB371_962
; %bb.957:                              ;   in Loop: Header=BB371_11 Depth=1
	v_bfe_u32 v2, v31, 16, 7
	v_mov_b32_e32 v142, 0x7fc02000
	s_mov_b32 s19, exec_lo
	s_delay_alu instid0(VALU_DEP_2)
	v_cmpx_ne_u32_e32 0x7f, v2
	s_cbranch_execz .LBB371_961
; %bb.958:                              ;   in Loop: Header=BB371_11 Depth=1
	v_and_b32_e32 v8, 7, v0
	v_lshrrev_b32_e32 v1, 3, v2
	v_mov_b32_e32 v33, v9
	s_mov_b32 s20, exec_lo
	s_delay_alu instid0(VALU_DEP_3)
	v_mov_b32_e32 v32, v8
	v_cmpx_gt_u32_e32 8, v2
; %bb.959:                              ;   in Loop: Header=BB371_11 Depth=1
	v_clz_i32_u32_e32 v1, v8
	s_delay_alu instid0(VALU_DEP_1) | instskip(NEXT) | instid1(VALU_DEP_1)
	v_min_u32_e32 v1, 32, v1
	v_subrev_nc_u32_e32 v2, 28, v1
	v_sub_nc_u32_e32 v1, 29, v1
	s_delay_alu instid0(VALU_DEP_2) | instskip(NEXT) | instid1(VALU_DEP_1)
	v_lshlrev_b64 v[2:3], v2, v[8:9]
	v_and_b32_e32 v32, 7, v2
; %bb.960:                              ;   in Loop: Header=BB371_11 Depth=1
	s_or_b32 exec_lo, exec_lo, s20
	v_lshlrev_b32_e32 v0, 8, v0
	v_lshl_add_u32 v1, v1, 10, 0x2000
	s_delay_alu instid0(VALU_DEP_1) | instskip(NEXT) | instid1(VALU_DEP_1)
	v_and_or_b32 v0, 0x8000, v0, v1
	v_lshl_or_b32 v0, v32, 7, v0
	s_delay_alu instid0(VALU_DEP_1)
	v_cvt_f32_f16_e64 v142, v0
.LBB371_961:                            ;   in Loop: Header=BB371_11 Depth=1
	s_or_b32 exec_lo, exec_lo, s19
.LBB371_962:                            ;   in Loop: Header=BB371_11 Depth=1
	s_delay_alu instid0(SALU_CYCLE_1)
	s_or_b32 exec_lo, exec_lo, s18
.LBB371_963:                            ;   in Loop: Header=BB371_11 Depth=1
	s_delay_alu instid0(SALU_CYCLE_1)
	s_or_b32 exec_lo, exec_lo, s17
	v_mov_b32_e32 v156, 0
	v_mov_b32_e32 v154, 0
	s_mov_b32 s17, exec_lo
	v_cmpx_lt_u64_e64 s[2:3], v[30:31]
	s_cbranch_execz .LBB371_971
; %bb.964:                              ;   in Loop: Header=BB371_11 Depth=1
	v_lshrrev_b32_e32 v0, 24, v31
	v_bfrev_b32_e32 v154, 1
	s_mov_b32 s18, exec_lo
	s_delay_alu instid0(VALU_DEP_2)
	v_cmpx_ne_u32_e32 0x80, v0
	s_cbranch_execz .LBB371_970
; %bb.965:                              ;   in Loop: Header=BB371_11 Depth=1
	v_and_b32_e32 v2, 0x7f, v0
	v_mov_b32_e32 v154, 0x7fc02000
	s_mov_b32 s19, exec_lo
	s_delay_alu instid0(VALU_DEP_2)
	v_cmpx_ne_u32_e32 0x7f, v2
	s_cbranch_execz .LBB371_969
; %bb.966:                              ;   in Loop: Header=BB371_11 Depth=1
	v_and_b32_e32 v8, 7, v0
	v_lshrrev_b32_e32 v1, 3, v2
	v_mov_b32_e32 v31, v9
	s_mov_b32 s20, exec_lo
	s_delay_alu instid0(VALU_DEP_3)
	v_mov_b32_e32 v30, v8
	v_cmpx_gt_u32_e32 8, v2
; %bb.967:                              ;   in Loop: Header=BB371_11 Depth=1
	v_clz_i32_u32_e32 v1, v8
	s_delay_alu instid0(VALU_DEP_1) | instskip(NEXT) | instid1(VALU_DEP_1)
	v_min_u32_e32 v1, 32, v1
	v_subrev_nc_u32_e32 v2, 28, v1
	v_sub_nc_u32_e32 v1, 29, v1
	s_delay_alu instid0(VALU_DEP_2) | instskip(NEXT) | instid1(VALU_DEP_1)
	v_lshlrev_b64 v[2:3], v2, v[8:9]
	v_and_b32_e32 v30, 7, v2
; %bb.968:                              ;   in Loop: Header=BB371_11 Depth=1
	s_or_b32 exec_lo, exec_lo, s20
	v_lshlrev_b32_e32 v0, 8, v0
	v_lshl_add_u32 v1, v1, 10, 0x2000
	s_delay_alu instid0(VALU_DEP_1) | instskip(NEXT) | instid1(VALU_DEP_1)
	v_and_or_b32 v0, 0x8000, v0, v1
	v_lshl_or_b32 v0, v30, 7, v0
	s_delay_alu instid0(VALU_DEP_1)
	v_cvt_f32_f16_e64 v154, v0
.LBB371_969:                            ;   in Loop: Header=BB371_11 Depth=1
	s_or_b32 exec_lo, exec_lo, s19
.LBB371_970:                            ;   in Loop: Header=BB371_11 Depth=1
	s_delay_alu instid0(SALU_CYCLE_1)
	s_or_b32 exec_lo, exec_lo, s18
.LBB371_971:                            ;   in Loop: Header=BB371_11 Depth=1
	s_delay_alu instid0(SALU_CYCLE_1) | instskip(SKIP_4) | instid1(VALU_DEP_1)
	s_or_b32 exec_lo, exec_lo, s17
	flat_load_b64 v[30:31], v[28:29] offset:3592
	s_mov_b32 s17, exec_lo
	s_waitcnt vmcnt(0) lgkmcnt(0)
	v_and_b32_e32 v0, 0xff, v30
	v_cmpx_ne_u16_e32 0, v0
	s_cbranch_execz .LBB371_979
; %bb.972:                              ;   in Loop: Header=BB371_11 Depth=1
	v_bfrev_b32_e32 v156, 1
	s_mov_b32 s18, exec_lo
	v_cmpx_ne_u16_e32 0x80, v0
	s_cbranch_execz .LBB371_978
; %bb.973:                              ;   in Loop: Header=BB371_11 Depth=1
	v_and_b32_e32 v1, 0x7f, v30
	v_mov_b32_e32 v156, 0x7fc02000
	s_mov_b32 s19, exec_lo
	s_delay_alu instid0(VALU_DEP_2)
	v_cmpx_ne_u32_e32 0x7f, v1
	s_cbranch_execz .LBB371_977
; %bb.974:                              ;   in Loop: Header=BB371_11 Depth=1
	v_lshrrev_b32_e32 v0, 3, v1
	v_dual_mov_b32 v33, v31 :: v_dual_mov_b32 v32, v30
	s_mov_b32 s20, exec_lo
	v_cmpx_gt_u32_e32 8, v1
; %bb.975:                              ;   in Loop: Header=BB371_11 Depth=1
	v_and_b32_e32 v0, 7, v30
	s_delay_alu instid0(VALU_DEP_1) | instskip(NEXT) | instid1(VALU_DEP_1)
	v_clz_i32_u32_e32 v0, v0
	v_min_u32_e32 v0, 32, v0
	s_delay_alu instid0(VALU_DEP_1) | instskip(SKIP_1) | instid1(VALU_DEP_2)
	v_subrev_nc_u32_e32 v1, 28, v0
	v_sub_nc_u32_e32 v0, 29, v0
	v_lshlrev_b64 v[32:33], v1, v[30:31]
; %bb.976:                              ;   in Loop: Header=BB371_11 Depth=1
	s_or_b32 exec_lo, exec_lo, s20
	v_lshlrev_b32_e32 v1, 8, v30
	s_delay_alu instid0(VALU_DEP_3) | instskip(NEXT) | instid1(VALU_DEP_3)
	v_lshl_add_u32 v0, v0, 10, 0x2000
	v_lshlrev_b32_e32 v2, 7, v32
	s_delay_alu instid0(VALU_DEP_2) | instskip(NEXT) | instid1(VALU_DEP_1)
	v_and_or_b32 v0, 0x8000, v1, v0
	v_and_or_b32 v0, 0x380, v2, v0
	s_delay_alu instid0(VALU_DEP_1)
	v_cvt_f32_f16_e64 v156, v0
.LBB371_977:                            ;   in Loop: Header=BB371_11 Depth=1
	s_or_b32 exec_lo, exec_lo, s19
.LBB371_978:                            ;   in Loop: Header=BB371_11 Depth=1
	s_delay_alu instid0(SALU_CYCLE_1)
	s_or_b32 exec_lo, exec_lo, s18
.LBB371_979:                            ;   in Loop: Header=BB371_11 Depth=1
	s_delay_alu instid0(SALU_CYCLE_1) | instskip(SKIP_3) | instid1(VALU_DEP_2)
	s_or_b32 exec_lo, exec_lo, s17
	v_lshrrev_b16 v0, 8, v30
	v_dual_mov_b32 v20, 0 :: v_dual_mov_b32 v185, 0
	s_mov_b32 s17, exec_lo
	v_cmpx_ne_u16_e32 0, v0
	s_cbranch_execz .LBB371_987
; %bb.980:                              ;   in Loop: Header=BB371_11 Depth=1
	v_bfrev_b32_e32 v185, 1
	s_mov_b32 s18, exec_lo
	v_cmpx_ne_u16_e32 0x80, v0
	s_cbranch_execz .LBB371_986
; %bb.981:                              ;   in Loop: Header=BB371_11 Depth=1
	v_and_b32_e32 v0, 0xffff, v0
	v_mov_b32_e32 v185, 0x7fc02000
	s_mov_b32 s19, exec_lo
	s_delay_alu instid0(VALU_DEP_2) | instskip(NEXT) | instid1(VALU_DEP_1)
	v_and_b32_e32 v2, 0x7f, v0
	v_cmpx_ne_u32_e32 0x7f, v2
	s_cbranch_execz .LBB371_985
; %bb.982:                              ;   in Loop: Header=BB371_11 Depth=1
	v_and_b32_e32 v8, 7, v0
	v_lshrrev_b32_e32 v1, 3, v2
	v_mov_b32_e32 v33, v9
	s_mov_b32 s20, exec_lo
	s_delay_alu instid0(VALU_DEP_3)
	v_mov_b32_e32 v32, v8
	v_cmpx_gt_u32_e32 8, v2
; %bb.983:                              ;   in Loop: Header=BB371_11 Depth=1
	v_clz_i32_u32_e32 v1, v8
	s_delay_alu instid0(VALU_DEP_1) | instskip(NEXT) | instid1(VALU_DEP_1)
	v_min_u32_e32 v1, 32, v1
	v_subrev_nc_u32_e32 v2, 28, v1
	v_sub_nc_u32_e32 v1, 29, v1
	s_delay_alu instid0(VALU_DEP_2) | instskip(NEXT) | instid1(VALU_DEP_1)
	v_lshlrev_b64 v[2:3], v2, v[8:9]
	v_and_b32_e32 v32, 7, v2
; %bb.984:                              ;   in Loop: Header=BB371_11 Depth=1
	s_or_b32 exec_lo, exec_lo, s20
	v_lshlrev_b32_e32 v0, 8, v0
	v_lshl_add_u32 v1, v1, 10, 0x2000
	s_delay_alu instid0(VALU_DEP_1) | instskip(NEXT) | instid1(VALU_DEP_1)
	v_and_or_b32 v0, 0x8000, v0, v1
	v_lshl_or_b32 v0, v32, 7, v0
	s_delay_alu instid0(VALU_DEP_1)
	v_cvt_f32_f16_e64 v185, v0
.LBB371_985:                            ;   in Loop: Header=BB371_11 Depth=1
	s_or_b32 exec_lo, exec_lo, s19
.LBB371_986:                            ;   in Loop: Header=BB371_11 Depth=1
	s_delay_alu instid0(SALU_CYCLE_1)
	s_or_b32 exec_lo, exec_lo, s18
.LBB371_987:                            ;   in Loop: Header=BB371_11 Depth=1
	s_delay_alu instid0(SALU_CYCLE_1) | instskip(SKIP_2) | instid1(VALU_DEP_1)
	s_or_b32 exec_lo, exec_lo, s17
	v_lshrrev_b32_e32 v0, 16, v30
	s_mov_b32 s17, exec_lo
	v_and_b32_e32 v1, 0xff, v0
	s_delay_alu instid0(VALU_DEP_1)
	v_cmpx_ne_u16_e32 0, v1
	s_cbranch_execz .LBB371_995
; %bb.988:                              ;   in Loop: Header=BB371_11 Depth=1
	v_bfrev_b32_e32 v20, 1
	s_mov_b32 s18, exec_lo
	v_cmpx_ne_u16_e32 0x80, v1
	s_cbranch_execz .LBB371_994
; %bb.989:                              ;   in Loop: Header=BB371_11 Depth=1
	v_bfe_u32 v2, v30, 16, 7
	v_mov_b32_e32 v20, 0x7fc02000
	s_mov_b32 s19, exec_lo
	s_delay_alu instid0(VALU_DEP_2)
	v_cmpx_ne_u32_e32 0x7f, v2
	s_cbranch_execz .LBB371_993
; %bb.990:                              ;   in Loop: Header=BB371_11 Depth=1
	v_and_b32_e32 v8, 7, v0
	v_lshrrev_b32_e32 v1, 3, v2
	v_mov_b32_e32 v33, v9
	s_mov_b32 s20, exec_lo
	s_delay_alu instid0(VALU_DEP_3)
	v_mov_b32_e32 v32, v8
	v_cmpx_gt_u32_e32 8, v2
; %bb.991:                              ;   in Loop: Header=BB371_11 Depth=1
	v_clz_i32_u32_e32 v1, v8
	s_delay_alu instid0(VALU_DEP_1) | instskip(NEXT) | instid1(VALU_DEP_1)
	v_min_u32_e32 v1, 32, v1
	v_subrev_nc_u32_e32 v2, 28, v1
	v_sub_nc_u32_e32 v1, 29, v1
	s_delay_alu instid0(VALU_DEP_2) | instskip(NEXT) | instid1(VALU_DEP_1)
	v_lshlrev_b64 v[2:3], v2, v[8:9]
	v_and_b32_e32 v32, 7, v2
; %bb.992:                              ;   in Loop: Header=BB371_11 Depth=1
	s_or_b32 exec_lo, exec_lo, s20
	v_lshlrev_b32_e32 v0, 8, v0
	v_lshl_add_u32 v1, v1, 10, 0x2000
	s_delay_alu instid0(VALU_DEP_1) | instskip(NEXT) | instid1(VALU_DEP_1)
	v_and_or_b32 v0, 0x8000, v0, v1
	v_lshl_or_b32 v0, v32, 7, v0
	s_delay_alu instid0(VALU_DEP_1)
	v_cvt_f32_f16_e32 v20, v0
.LBB371_993:                            ;   in Loop: Header=BB371_11 Depth=1
	s_or_b32 exec_lo, exec_lo, s19
.LBB371_994:                            ;   in Loop: Header=BB371_11 Depth=1
	s_delay_alu instid0(SALU_CYCLE_1)
	s_or_b32 exec_lo, exec_lo, s18
.LBB371_995:                            ;   in Loop: Header=BB371_11 Depth=1
	s_delay_alu instid0(SALU_CYCLE_1)
	s_or_b32 exec_lo, exec_lo, s17
	v_dual_mov_b32 v172, 0 :: v_dual_mov_b32 v173, 0
	s_mov_b32 s17, exec_lo
	v_cmpx_lt_u32_e32 0xffffff, v30
	s_cbranch_execz .LBB371_1003
; %bb.996:                              ;   in Loop: Header=BB371_11 Depth=1
	v_lshrrev_b32_e32 v0, 24, v30
	v_bfrev_b32_e32 v173, 1
	s_mov_b32 s18, exec_lo
	s_delay_alu instid0(VALU_DEP_2)
	v_cmpx_ne_u32_e32 0x80, v0
	s_cbranch_execz .LBB371_1002
; %bb.997:                              ;   in Loop: Header=BB371_11 Depth=1
	v_and_b32_e32 v2, 0x7f, v0
	v_mov_b32_e32 v173, 0x7fc02000
	s_mov_b32 s19, exec_lo
	s_delay_alu instid0(VALU_DEP_2)
	v_cmpx_ne_u32_e32 0x7f, v2
	s_cbranch_execz .LBB371_1001
; %bb.998:                              ;   in Loop: Header=BB371_11 Depth=1
	v_and_b32_e32 v8, 7, v0
	v_lshrrev_b32_e32 v1, 3, v2
	v_mov_b32_e32 v33, v9
	s_mov_b32 s20, exec_lo
	s_delay_alu instid0(VALU_DEP_3)
	v_mov_b32_e32 v32, v8
	v_cmpx_gt_u32_e32 8, v2
; %bb.999:                              ;   in Loop: Header=BB371_11 Depth=1
	v_clz_i32_u32_e32 v1, v8
	s_delay_alu instid0(VALU_DEP_1) | instskip(NEXT) | instid1(VALU_DEP_1)
	v_min_u32_e32 v1, 32, v1
	v_subrev_nc_u32_e32 v2, 28, v1
	v_sub_nc_u32_e32 v1, 29, v1
	s_delay_alu instid0(VALU_DEP_2) | instskip(NEXT) | instid1(VALU_DEP_1)
	v_lshlrev_b64 v[2:3], v2, v[8:9]
	v_and_b32_e32 v32, 7, v2
; %bb.1000:                             ;   in Loop: Header=BB371_11 Depth=1
	s_or_b32 exec_lo, exec_lo, s20
	v_lshlrev_b32_e32 v0, 8, v0
	v_lshl_add_u32 v1, v1, 10, 0x2000
	s_delay_alu instid0(VALU_DEP_1) | instskip(NEXT) | instid1(VALU_DEP_1)
	v_and_or_b32 v0, 0x8000, v0, v1
	v_lshl_or_b32 v0, v32, 7, v0
	s_delay_alu instid0(VALU_DEP_1)
	v_cvt_f32_f16_e64 v173, v0
.LBB371_1001:                           ;   in Loop: Header=BB371_11 Depth=1
	s_or_b32 exec_lo, exec_lo, s19
.LBB371_1002:                           ;   in Loop: Header=BB371_11 Depth=1
	s_delay_alu instid0(SALU_CYCLE_1)
	s_or_b32 exec_lo, exec_lo, s18
.LBB371_1003:                           ;   in Loop: Header=BB371_11 Depth=1
	s_delay_alu instid0(SALU_CYCLE_1) | instskip(SKIP_3) | instid1(VALU_DEP_2)
	s_or_b32 exec_lo, exec_lo, s17
	v_and_b32_e32 v0, 0xff, v31
	v_mov_b32_e32 v8, v31
	s_mov_b32 s17, exec_lo
	v_cmpx_ne_u16_e32 0, v0
	s_cbranch_execz .LBB371_1011
; %bb.1004:                             ;   in Loop: Header=BB371_11 Depth=1
	v_bfrev_b32_e32 v172, 1
	s_mov_b32 s18, exec_lo
	v_cmpx_ne_u16_e32 0x80, v0
	s_cbranch_execz .LBB371_1010
; %bb.1005:                             ;   in Loop: Header=BB371_11 Depth=1
	v_and_b32_e32 v1, 0x7f, v31
	v_mov_b32_e32 v172, 0x7fc02000
	s_mov_b32 s19, exec_lo
	s_delay_alu instid0(VALU_DEP_2)
	v_cmpx_ne_u32_e32 0x7f, v1
	s_cbranch_execz .LBB371_1009
; %bb.1006:                             ;   in Loop: Header=BB371_11 Depth=1
	v_dual_mov_b32 v33, v9 :: v_dual_mov_b32 v32, v8
	v_lshrrev_b32_e32 v0, 3, v1
	s_mov_b32 s20, exec_lo
	v_cmpx_gt_u32_e32 8, v1
; %bb.1007:                             ;   in Loop: Header=BB371_11 Depth=1
	v_and_b32_e32 v0, 7, v31
	s_delay_alu instid0(VALU_DEP_1) | instskip(NEXT) | instid1(VALU_DEP_1)
	v_clz_i32_u32_e32 v0, v0
	v_min_u32_e32 v0, 32, v0
	s_delay_alu instid0(VALU_DEP_1) | instskip(SKIP_1) | instid1(VALU_DEP_2)
	v_subrev_nc_u32_e32 v1, 28, v0
	v_sub_nc_u32_e32 v0, 29, v0
	v_lshlrev_b64 v[32:33], v1, v[8:9]
; %bb.1008:                             ;   in Loop: Header=BB371_11 Depth=1
	s_or_b32 exec_lo, exec_lo, s20
	v_lshlrev_b32_e32 v1, 8, v31
	s_delay_alu instid0(VALU_DEP_3) | instskip(NEXT) | instid1(VALU_DEP_3)
	v_lshl_add_u32 v0, v0, 10, 0x2000
	v_lshlrev_b32_e32 v2, 7, v32
	s_delay_alu instid0(VALU_DEP_2) | instskip(NEXT) | instid1(VALU_DEP_1)
	v_and_or_b32 v0, 0x8000, v1, v0
	v_and_or_b32 v0, 0x380, v2, v0
	s_delay_alu instid0(VALU_DEP_1)
	v_cvt_f32_f16_e64 v172, v0
.LBB371_1009:                           ;   in Loop: Header=BB371_11 Depth=1
	s_or_b32 exec_lo, exec_lo, s19
.LBB371_1010:                           ;   in Loop: Header=BB371_11 Depth=1
	s_delay_alu instid0(SALU_CYCLE_1)
	s_or_b32 exec_lo, exec_lo, s18
.LBB371_1011:                           ;   in Loop: Header=BB371_11 Depth=1
	s_delay_alu instid0(SALU_CYCLE_1) | instskip(SKIP_3) | instid1(VALU_DEP_2)
	s_or_b32 exec_lo, exec_lo, s17
	v_lshrrev_b16 v0, 8, v8
	v_dual_mov_b32 v186, 0 :: v_dual_mov_b32 v187, 0
	s_mov_b32 s17, exec_lo
	v_cmpx_ne_u16_e32 0, v0
	s_cbranch_execz .LBB371_1019
; %bb.1012:                             ;   in Loop: Header=BB371_11 Depth=1
	v_bfrev_b32_e32 v187, 1
	s_mov_b32 s18, exec_lo
	v_cmpx_ne_u16_e32 0x80, v0
	s_cbranch_execz .LBB371_1018
; %bb.1013:                             ;   in Loop: Header=BB371_11 Depth=1
	v_and_b32_e32 v0, 0xffff, v0
	v_mov_b32_e32 v187, 0x7fc02000
	s_mov_b32 s19, exec_lo
	s_delay_alu instid0(VALU_DEP_2) | instskip(NEXT) | instid1(VALU_DEP_1)
	v_and_b32_e32 v2, 0x7f, v0
	v_cmpx_ne_u32_e32 0x7f, v2
	s_cbranch_execz .LBB371_1017
; %bb.1014:                             ;   in Loop: Header=BB371_11 Depth=1
	v_and_b32_e32 v8, 7, v0
	v_lshrrev_b32_e32 v1, 3, v2
	v_mov_b32_e32 v33, v9
	s_mov_b32 s20, exec_lo
	s_delay_alu instid0(VALU_DEP_3)
	v_mov_b32_e32 v32, v8
	v_cmpx_gt_u32_e32 8, v2
; %bb.1015:                             ;   in Loop: Header=BB371_11 Depth=1
	v_clz_i32_u32_e32 v1, v8
	s_delay_alu instid0(VALU_DEP_1) | instskip(NEXT) | instid1(VALU_DEP_1)
	v_min_u32_e32 v1, 32, v1
	v_subrev_nc_u32_e32 v2, 28, v1
	v_sub_nc_u32_e32 v1, 29, v1
	s_delay_alu instid0(VALU_DEP_2) | instskip(NEXT) | instid1(VALU_DEP_1)
	v_lshlrev_b64 v[2:3], v2, v[8:9]
	v_and_b32_e32 v32, 7, v2
; %bb.1016:                             ;   in Loop: Header=BB371_11 Depth=1
	s_or_b32 exec_lo, exec_lo, s20
	v_lshlrev_b32_e32 v0, 8, v0
	v_lshl_add_u32 v1, v1, 10, 0x2000
	s_delay_alu instid0(VALU_DEP_1) | instskip(NEXT) | instid1(VALU_DEP_1)
	v_and_or_b32 v0, 0x8000, v0, v1
	v_lshl_or_b32 v0, v32, 7, v0
	s_delay_alu instid0(VALU_DEP_1)
	v_cvt_f32_f16_e64 v187, v0
.LBB371_1017:                           ;   in Loop: Header=BB371_11 Depth=1
	s_or_b32 exec_lo, exec_lo, s19
.LBB371_1018:                           ;   in Loop: Header=BB371_11 Depth=1
	s_delay_alu instid0(SALU_CYCLE_1)
	s_or_b32 exec_lo, exec_lo, s18
.LBB371_1019:                           ;   in Loop: Header=BB371_11 Depth=1
	s_delay_alu instid0(SALU_CYCLE_1) | instskip(SKIP_2) | instid1(VALU_DEP_1)
	s_or_b32 exec_lo, exec_lo, s17
	v_lshrrev_b32_e32 v0, 16, v31
	s_mov_b32 s17, exec_lo
	v_and_b32_e32 v1, 0xff, v0
	s_delay_alu instid0(VALU_DEP_1)
	v_cmpx_ne_u16_e32 0, v1
	s_cbranch_execz .LBB371_1027
; %bb.1020:                             ;   in Loop: Header=BB371_11 Depth=1
	v_bfrev_b32_e32 v186, 1
	s_mov_b32 s18, exec_lo
	v_cmpx_ne_u16_e32 0x80, v1
	s_cbranch_execz .LBB371_1026
; %bb.1021:                             ;   in Loop: Header=BB371_11 Depth=1
	v_bfe_u32 v2, v31, 16, 7
	v_mov_b32_e32 v186, 0x7fc02000
	s_mov_b32 s19, exec_lo
	s_delay_alu instid0(VALU_DEP_2)
	v_cmpx_ne_u32_e32 0x7f, v2
	s_cbranch_execz .LBB371_1025
; %bb.1022:                             ;   in Loop: Header=BB371_11 Depth=1
	v_and_b32_e32 v8, 7, v0
	v_lshrrev_b32_e32 v1, 3, v2
	v_mov_b32_e32 v33, v9
	s_mov_b32 s20, exec_lo
	s_delay_alu instid0(VALU_DEP_3)
	v_mov_b32_e32 v32, v8
	v_cmpx_gt_u32_e32 8, v2
; %bb.1023:                             ;   in Loop: Header=BB371_11 Depth=1
	v_clz_i32_u32_e32 v1, v8
	s_delay_alu instid0(VALU_DEP_1) | instskip(NEXT) | instid1(VALU_DEP_1)
	v_min_u32_e32 v1, 32, v1
	v_subrev_nc_u32_e32 v2, 28, v1
	v_sub_nc_u32_e32 v1, 29, v1
	s_delay_alu instid0(VALU_DEP_2) | instskip(NEXT) | instid1(VALU_DEP_1)
	v_lshlrev_b64 v[2:3], v2, v[8:9]
	v_and_b32_e32 v32, 7, v2
; %bb.1024:                             ;   in Loop: Header=BB371_11 Depth=1
	s_or_b32 exec_lo, exec_lo, s20
	v_lshlrev_b32_e32 v0, 8, v0
	v_lshl_add_u32 v1, v1, 10, 0x2000
	s_delay_alu instid0(VALU_DEP_1) | instskip(NEXT) | instid1(VALU_DEP_1)
	v_and_or_b32 v0, 0x8000, v0, v1
	v_lshl_or_b32 v0, v32, 7, v0
	s_delay_alu instid0(VALU_DEP_1)
	v_cvt_f32_f16_e64 v186, v0
.LBB371_1025:                           ;   in Loop: Header=BB371_11 Depth=1
	s_or_b32 exec_lo, exec_lo, s19
.LBB371_1026:                           ;   in Loop: Header=BB371_11 Depth=1
	s_delay_alu instid0(SALU_CYCLE_1)
	s_or_b32 exec_lo, exec_lo, s18
.LBB371_1027:                           ;   in Loop: Header=BB371_11 Depth=1
	s_delay_alu instid0(SALU_CYCLE_1)
	s_or_b32 exec_lo, exec_lo, s17
	v_mov_b32_e32 v35, 0
	v_mov_b32_e32 v49, 0
	s_mov_b32 s17, exec_lo
	v_cmpx_lt_u64_e64 s[2:3], v[30:31]
	s_cbranch_execz .LBB371_1035
; %bb.1028:                             ;   in Loop: Header=BB371_11 Depth=1
	v_lshrrev_b32_e32 v0, 24, v31
	v_bfrev_b32_e32 v49, 1
	s_mov_b32 s18, exec_lo
	s_delay_alu instid0(VALU_DEP_2)
	v_cmpx_ne_u32_e32 0x80, v0
	s_cbranch_execz .LBB371_1034
; %bb.1029:                             ;   in Loop: Header=BB371_11 Depth=1
	v_and_b32_e32 v2, 0x7f, v0
	v_mov_b32_e32 v49, 0x7fc02000
	s_mov_b32 s19, exec_lo
	s_delay_alu instid0(VALU_DEP_2)
	v_cmpx_ne_u32_e32 0x7f, v2
	s_cbranch_execz .LBB371_1033
; %bb.1030:                             ;   in Loop: Header=BB371_11 Depth=1
	v_and_b32_e32 v8, 7, v0
	v_lshrrev_b32_e32 v1, 3, v2
	v_mov_b32_e32 v31, v9
	s_mov_b32 s20, exec_lo
	s_delay_alu instid0(VALU_DEP_3)
	v_mov_b32_e32 v30, v8
	v_cmpx_gt_u32_e32 8, v2
; %bb.1031:                             ;   in Loop: Header=BB371_11 Depth=1
	v_clz_i32_u32_e32 v1, v8
	s_delay_alu instid0(VALU_DEP_1) | instskip(NEXT) | instid1(VALU_DEP_1)
	v_min_u32_e32 v1, 32, v1
	v_subrev_nc_u32_e32 v2, 28, v1
	v_sub_nc_u32_e32 v1, 29, v1
	s_delay_alu instid0(VALU_DEP_2) | instskip(NEXT) | instid1(VALU_DEP_1)
	v_lshlrev_b64 v[2:3], v2, v[8:9]
	v_and_b32_e32 v30, 7, v2
; %bb.1032:                             ;   in Loop: Header=BB371_11 Depth=1
	s_or_b32 exec_lo, exec_lo, s20
	v_lshlrev_b32_e32 v0, 8, v0
	v_lshl_add_u32 v1, v1, 10, 0x2000
	s_delay_alu instid0(VALU_DEP_1) | instskip(NEXT) | instid1(VALU_DEP_1)
	v_and_or_b32 v0, 0x8000, v0, v1
	v_lshl_or_b32 v0, v30, 7, v0
	s_delay_alu instid0(VALU_DEP_1)
	v_cvt_f32_f16_e32 v49, v0
.LBB371_1033:                           ;   in Loop: Header=BB371_11 Depth=1
	s_or_b32 exec_lo, exec_lo, s19
.LBB371_1034:                           ;   in Loop: Header=BB371_11 Depth=1
	s_delay_alu instid0(SALU_CYCLE_1)
	s_or_b32 exec_lo, exec_lo, s18
.LBB371_1035:                           ;   in Loop: Header=BB371_11 Depth=1
	s_delay_alu instid0(SALU_CYCLE_1) | instskip(SKIP_1) | instid1(VALU_DEP_1)
	s_or_b32 exec_lo, exec_lo, s17
	v_add_co_u32 v28, s1, 0x1000, v28
	v_add_co_ci_u32_e64 v29, s1, 0, v29, s1
	s_mov_b32 s17, exec_lo
	flat_load_b64 v[30:31], v[28:29]
	s_waitcnt vmcnt(0) lgkmcnt(0)
	v_and_b32_e32 v0, 0xff, v30
	s_delay_alu instid0(VALU_DEP_1)
	v_cmpx_ne_u16_e32 0, v0
	s_cbranch_execz .LBB371_1043
; %bb.1036:                             ;   in Loop: Header=BB371_11 Depth=1
	v_bfrev_b32_e32 v35, 1
	s_mov_b32 s18, exec_lo
	v_cmpx_ne_u16_e32 0x80, v0
	s_cbranch_execz .LBB371_1042
; %bb.1037:                             ;   in Loop: Header=BB371_11 Depth=1
	v_and_b32_e32 v1, 0x7f, v30
	v_mov_b32_e32 v35, 0x7fc02000
	s_mov_b32 s19, exec_lo
	s_delay_alu instid0(VALU_DEP_2)
	v_cmpx_ne_u32_e32 0x7f, v1
	s_cbranch_execz .LBB371_1041
; %bb.1038:                             ;   in Loop: Header=BB371_11 Depth=1
	v_lshrrev_b32_e32 v0, 3, v1
	v_dual_mov_b32 v33, v31 :: v_dual_mov_b32 v32, v30
	s_mov_b32 s20, exec_lo
	v_cmpx_gt_u32_e32 8, v1
; %bb.1039:                             ;   in Loop: Header=BB371_11 Depth=1
	v_and_b32_e32 v0, 7, v30
	s_delay_alu instid0(VALU_DEP_1) | instskip(NEXT) | instid1(VALU_DEP_1)
	v_clz_i32_u32_e32 v0, v0
	v_min_u32_e32 v0, 32, v0
	s_delay_alu instid0(VALU_DEP_1) | instskip(SKIP_1) | instid1(VALU_DEP_2)
	v_subrev_nc_u32_e32 v1, 28, v0
	v_sub_nc_u32_e32 v0, 29, v0
	v_lshlrev_b64 v[32:33], v1, v[30:31]
; %bb.1040:                             ;   in Loop: Header=BB371_11 Depth=1
	s_or_b32 exec_lo, exec_lo, s20
	v_lshlrev_b32_e32 v1, 8, v30
	s_delay_alu instid0(VALU_DEP_3) | instskip(NEXT) | instid1(VALU_DEP_3)
	v_lshl_add_u32 v0, v0, 10, 0x2000
	v_lshlrev_b32_e32 v2, 7, v32
	s_delay_alu instid0(VALU_DEP_2) | instskip(NEXT) | instid1(VALU_DEP_1)
	v_and_or_b32 v0, 0x8000, v1, v0
	v_and_or_b32 v0, 0x380, v2, v0
	s_delay_alu instid0(VALU_DEP_1)
	v_cvt_f32_f16_e32 v35, v0
.LBB371_1041:                           ;   in Loop: Header=BB371_11 Depth=1
	s_or_b32 exec_lo, exec_lo, s19
.LBB371_1042:                           ;   in Loop: Header=BB371_11 Depth=1
	s_delay_alu instid0(SALU_CYCLE_1)
	s_or_b32 exec_lo, exec_lo, s18
.LBB371_1043:                           ;   in Loop: Header=BB371_11 Depth=1
	s_delay_alu instid0(SALU_CYCLE_1) | instskip(SKIP_3) | instid1(VALU_DEP_2)
	s_or_b32 exec_lo, exec_lo, s17
	v_lshrrev_b16 v0, 8, v30
	v_dual_mov_b32 v10, 0 :: v_dual_mov_b32 v11, 0
	s_mov_b32 s17, exec_lo
	v_cmpx_ne_u16_e32 0, v0
	s_cbranch_execz .LBB371_1051
; %bb.1044:                             ;   in Loop: Header=BB371_11 Depth=1
	v_bfrev_b32_e32 v11, 1
	s_mov_b32 s18, exec_lo
	v_cmpx_ne_u16_e32 0x80, v0
	s_cbranch_execz .LBB371_1050
; %bb.1045:                             ;   in Loop: Header=BB371_11 Depth=1
	v_and_b32_e32 v0, 0xffff, v0
	v_mov_b32_e32 v11, 0x7fc02000
	s_mov_b32 s19, exec_lo
	s_delay_alu instid0(VALU_DEP_2) | instskip(NEXT) | instid1(VALU_DEP_1)
	v_and_b32_e32 v2, 0x7f, v0
	v_cmpx_ne_u32_e32 0x7f, v2
	s_cbranch_execz .LBB371_1049
; %bb.1046:                             ;   in Loop: Header=BB371_11 Depth=1
	v_and_b32_e32 v8, 7, v0
	v_lshrrev_b32_e32 v1, 3, v2
	v_mov_b32_e32 v33, v9
	s_mov_b32 s20, exec_lo
	s_delay_alu instid0(VALU_DEP_3)
	v_mov_b32_e32 v32, v8
	v_cmpx_gt_u32_e32 8, v2
; %bb.1047:                             ;   in Loop: Header=BB371_11 Depth=1
	v_clz_i32_u32_e32 v1, v8
	s_delay_alu instid0(VALU_DEP_1) | instskip(NEXT) | instid1(VALU_DEP_1)
	v_min_u32_e32 v1, 32, v1
	v_subrev_nc_u32_e32 v2, 28, v1
	v_sub_nc_u32_e32 v1, 29, v1
	s_delay_alu instid0(VALU_DEP_2) | instskip(NEXT) | instid1(VALU_DEP_1)
	v_lshlrev_b64 v[2:3], v2, v[8:9]
	v_and_b32_e32 v32, 7, v2
; %bb.1048:                             ;   in Loop: Header=BB371_11 Depth=1
	s_or_b32 exec_lo, exec_lo, s20
	v_lshlrev_b32_e32 v0, 8, v0
	v_lshl_add_u32 v1, v1, 10, 0x2000
	s_delay_alu instid0(VALU_DEP_1) | instskip(NEXT) | instid1(VALU_DEP_1)
	v_and_or_b32 v0, 0x8000, v0, v1
	v_lshl_or_b32 v0, v32, 7, v0
	s_delay_alu instid0(VALU_DEP_1)
	v_cvt_f32_f16_e32 v11, v0
.LBB371_1049:                           ;   in Loop: Header=BB371_11 Depth=1
	s_or_b32 exec_lo, exec_lo, s19
.LBB371_1050:                           ;   in Loop: Header=BB371_11 Depth=1
	s_delay_alu instid0(SALU_CYCLE_1)
	s_or_b32 exec_lo, exec_lo, s18
.LBB371_1051:                           ;   in Loop: Header=BB371_11 Depth=1
	s_delay_alu instid0(SALU_CYCLE_1) | instskip(SKIP_2) | instid1(VALU_DEP_1)
	s_or_b32 exec_lo, exec_lo, s17
	v_lshrrev_b32_e32 v0, 16, v30
	s_mov_b32 s17, exec_lo
	v_and_b32_e32 v1, 0xff, v0
	s_delay_alu instid0(VALU_DEP_1)
	v_cmpx_ne_u16_e32 0, v1
	s_cbranch_execz .LBB371_1059
; %bb.1052:                             ;   in Loop: Header=BB371_11 Depth=1
	v_bfrev_b32_e32 v10, 1
	s_mov_b32 s18, exec_lo
	v_cmpx_ne_u16_e32 0x80, v1
	s_cbranch_execz .LBB371_1058
; %bb.1053:                             ;   in Loop: Header=BB371_11 Depth=1
	v_bfe_u32 v2, v30, 16, 7
	v_mov_b32_e32 v10, 0x7fc02000
	s_mov_b32 s19, exec_lo
	s_delay_alu instid0(VALU_DEP_2)
	v_cmpx_ne_u32_e32 0x7f, v2
	s_cbranch_execz .LBB371_1057
; %bb.1054:                             ;   in Loop: Header=BB371_11 Depth=1
	v_and_b32_e32 v8, 7, v0
	v_lshrrev_b32_e32 v1, 3, v2
	v_mov_b32_e32 v33, v9
	s_mov_b32 s20, exec_lo
	s_delay_alu instid0(VALU_DEP_3)
	v_mov_b32_e32 v32, v8
	v_cmpx_gt_u32_e32 8, v2
; %bb.1055:                             ;   in Loop: Header=BB371_11 Depth=1
	v_clz_i32_u32_e32 v1, v8
	s_delay_alu instid0(VALU_DEP_1) | instskip(NEXT) | instid1(VALU_DEP_1)
	v_min_u32_e32 v1, 32, v1
	v_subrev_nc_u32_e32 v2, 28, v1
	v_sub_nc_u32_e32 v1, 29, v1
	s_delay_alu instid0(VALU_DEP_2) | instskip(NEXT) | instid1(VALU_DEP_1)
	v_lshlrev_b64 v[2:3], v2, v[8:9]
	v_and_b32_e32 v32, 7, v2
; %bb.1056:                             ;   in Loop: Header=BB371_11 Depth=1
	s_or_b32 exec_lo, exec_lo, s20
	v_lshlrev_b32_e32 v0, 8, v0
	v_lshl_add_u32 v1, v1, 10, 0x2000
	s_delay_alu instid0(VALU_DEP_1) | instskip(NEXT) | instid1(VALU_DEP_1)
	v_and_or_b32 v0, 0x8000, v0, v1
	v_lshl_or_b32 v0, v32, 7, v0
	s_delay_alu instid0(VALU_DEP_1)
	v_cvt_f32_f16_e32 v10, v0
.LBB371_1057:                           ;   in Loop: Header=BB371_11 Depth=1
	s_or_b32 exec_lo, exec_lo, s19
.LBB371_1058:                           ;   in Loop: Header=BB371_11 Depth=1
	s_delay_alu instid0(SALU_CYCLE_1)
	s_or_b32 exec_lo, exec_lo, s18
.LBB371_1059:                           ;   in Loop: Header=BB371_11 Depth=1
	s_delay_alu instid0(SALU_CYCLE_1)
	s_or_b32 exec_lo, exec_lo, s17
	v_dual_mov_b32 v2, 0 :: v_dual_mov_b32 v1, 0
	s_mov_b32 s17, exec_lo
	v_cmpx_lt_u32_e32 0xffffff, v30
	s_cbranch_execz .LBB371_1067
; %bb.1060:                             ;   in Loop: Header=BB371_11 Depth=1
	v_lshrrev_b32_e32 v0, 24, v30
	v_bfrev_b32_e32 v1, 1
	s_mov_b32 s18, exec_lo
	s_delay_alu instid0(VALU_DEP_2)
	v_cmpx_ne_u32_e32 0x80, v0
	s_cbranch_execz .LBB371_1066
; %bb.1061:                             ;   in Loop: Header=BB371_11 Depth=1
	v_and_b32_e32 v3, 0x7f, v0
	v_mov_b32_e32 v1, 0x7fc02000
	s_mov_b32 s19, exec_lo
	s_delay_alu instid0(VALU_DEP_2)
	v_cmpx_ne_u32_e32 0x7f, v3
	s_cbranch_execz .LBB371_1065
; %bb.1062:                             ;   in Loop: Header=BB371_11 Depth=1
	v_and_b32_e32 v8, 7, v0
	v_lshrrev_b32_e32 v1, 3, v3
	v_mov_b32_e32 v33, v9
	s_mov_b32 s20, exec_lo
	s_delay_alu instid0(VALU_DEP_3)
	v_mov_b32_e32 v32, v8
	v_cmpx_gt_u32_e32 8, v3
; %bb.1063:                             ;   in Loop: Header=BB371_11 Depth=1
	v_clz_i32_u32_e32 v1, v8
	s_delay_alu instid0(VALU_DEP_1) | instskip(NEXT) | instid1(VALU_DEP_1)
	v_min_u32_e32 v1, 32, v1
	v_subrev_nc_u32_e32 v3, 28, v1
	v_sub_nc_u32_e32 v1, 29, v1
	s_delay_alu instid0(VALU_DEP_2) | instskip(NEXT) | instid1(VALU_DEP_1)
	v_lshlrev_b64 v[3:4], v3, v[8:9]
	v_and_b32_e32 v32, 7, v3
; %bb.1064:                             ;   in Loop: Header=BB371_11 Depth=1
	s_or_b32 exec_lo, exec_lo, s20
	v_lshlrev_b32_e32 v0, 8, v0
	v_lshl_add_u32 v1, v1, 10, 0x2000
	s_delay_alu instid0(VALU_DEP_1) | instskip(NEXT) | instid1(VALU_DEP_1)
	v_and_or_b32 v0, 0x8000, v0, v1
	v_lshl_or_b32 v0, v32, 7, v0
	s_delay_alu instid0(VALU_DEP_1)
	v_cvt_f32_f16_e32 v1, v0
.LBB371_1065:                           ;   in Loop: Header=BB371_11 Depth=1
	s_or_b32 exec_lo, exec_lo, s19
.LBB371_1066:                           ;   in Loop: Header=BB371_11 Depth=1
	s_delay_alu instid0(SALU_CYCLE_1)
	s_or_b32 exec_lo, exec_lo, s18
.LBB371_1067:                           ;   in Loop: Header=BB371_11 Depth=1
	s_delay_alu instid0(SALU_CYCLE_1) | instskip(SKIP_3) | instid1(VALU_DEP_2)
	s_or_b32 exec_lo, exec_lo, s17
	v_and_b32_e32 v0, 0xff, v31
	v_mov_b32_e32 v8, v31
	s_mov_b32 s17, exec_lo
	v_cmpx_ne_u16_e32 0, v0
	s_cbranch_execz .LBB371_1075
; %bb.1068:                             ;   in Loop: Header=BB371_11 Depth=1
	v_bfrev_b32_e32 v2, 1
	s_mov_b32 s18, exec_lo
	v_cmpx_ne_u16_e32 0x80, v0
	s_cbranch_execz .LBB371_1074
; %bb.1069:                             ;   in Loop: Header=BB371_11 Depth=1
	v_and_b32_e32 v3, 0x7f, v31
	v_mov_b32_e32 v2, 0x7fc02000
	s_mov_b32 s19, exec_lo
	s_delay_alu instid0(VALU_DEP_2)
	v_cmpx_ne_u32_e32 0x7f, v3
	s_cbranch_execz .LBB371_1073
; %bb.1070:                             ;   in Loop: Header=BB371_11 Depth=1
	v_dual_mov_b32 v33, v9 :: v_dual_mov_b32 v32, v8
	v_lshrrev_b32_e32 v0, 3, v3
	s_mov_b32 s20, exec_lo
	v_cmpx_gt_u32_e32 8, v3
; %bb.1071:                             ;   in Loop: Header=BB371_11 Depth=1
	v_and_b32_e32 v0, 7, v31
	s_delay_alu instid0(VALU_DEP_1) | instskip(NEXT) | instid1(VALU_DEP_1)
	v_clz_i32_u32_e32 v0, v0
	v_min_u32_e32 v0, 32, v0
	s_delay_alu instid0(VALU_DEP_1) | instskip(SKIP_1) | instid1(VALU_DEP_2)
	v_subrev_nc_u32_e32 v2, 28, v0
	v_sub_nc_u32_e32 v0, 29, v0
	v_lshlrev_b64 v[32:33], v2, v[8:9]
; %bb.1072:                             ;   in Loop: Header=BB371_11 Depth=1
	s_or_b32 exec_lo, exec_lo, s20
	v_lshlrev_b32_e32 v2, 8, v31
	s_delay_alu instid0(VALU_DEP_3) | instskip(NEXT) | instid1(VALU_DEP_3)
	v_lshl_add_u32 v0, v0, 10, 0x2000
	v_lshlrev_b32_e32 v3, 7, v32
	s_delay_alu instid0(VALU_DEP_2) | instskip(NEXT) | instid1(VALU_DEP_1)
	v_and_or_b32 v0, 0x8000, v2, v0
	v_and_or_b32 v0, 0x380, v3, v0
	s_delay_alu instid0(VALU_DEP_1)
	v_cvt_f32_f16_e32 v2, v0
.LBB371_1073:                           ;   in Loop: Header=BB371_11 Depth=1
	s_or_b32 exec_lo, exec_lo, s19
.LBB371_1074:                           ;   in Loop: Header=BB371_11 Depth=1
	s_delay_alu instid0(SALU_CYCLE_1)
	s_or_b32 exec_lo, exec_lo, s18
.LBB371_1075:                           ;   in Loop: Header=BB371_11 Depth=1
	s_delay_alu instid0(SALU_CYCLE_1) | instskip(SKIP_4) | instid1(VALU_DEP_3)
	s_or_b32 exec_lo, exec_lo, s17
	v_lshrrev_b16 v0, 8, v8
	v_mov_b32_e32 v50, 0
	v_mov_b32_e32 v22, 0
	s_mov_b32 s17, exec_lo
	v_cmpx_ne_u16_e32 0, v0
	s_cbranch_execz .LBB371_1083
; %bb.1076:                             ;   in Loop: Header=BB371_11 Depth=1
	v_bfrev_b32_e32 v22, 1
	s_mov_b32 s18, exec_lo
	v_cmpx_ne_u16_e32 0x80, v0
	s_cbranch_execz .LBB371_1082
; %bb.1077:                             ;   in Loop: Header=BB371_11 Depth=1
	v_and_b32_e32 v0, 0xffff, v0
	v_mov_b32_e32 v22, 0x7fc02000
	s_mov_b32 s19, exec_lo
	s_delay_alu instid0(VALU_DEP_2) | instskip(NEXT) | instid1(VALU_DEP_1)
	v_and_b32_e32 v4, 0x7f, v0
	v_cmpx_ne_u32_e32 0x7f, v4
	s_cbranch_execz .LBB371_1081
; %bb.1078:                             ;   in Loop: Header=BB371_11 Depth=1
	v_and_b32_e32 v8, 7, v0
	v_lshrrev_b32_e32 v3, 3, v4
	v_mov_b32_e32 v33, v9
	s_mov_b32 s20, exec_lo
	s_delay_alu instid0(VALU_DEP_3)
	v_mov_b32_e32 v32, v8
	v_cmpx_gt_u32_e32 8, v4
; %bb.1079:                             ;   in Loop: Header=BB371_11 Depth=1
	v_clz_i32_u32_e32 v3, v8
	s_delay_alu instid0(VALU_DEP_1) | instskip(NEXT) | instid1(VALU_DEP_1)
	v_min_u32_e32 v3, 32, v3
	v_subrev_nc_u32_e32 v4, 28, v3
	v_sub_nc_u32_e32 v3, 29, v3
	s_delay_alu instid0(VALU_DEP_2) | instskip(NEXT) | instid1(VALU_DEP_1)
	v_lshlrev_b64 v[4:5], v4, v[8:9]
	v_and_b32_e32 v32, 7, v4
; %bb.1080:                             ;   in Loop: Header=BB371_11 Depth=1
	s_or_b32 exec_lo, exec_lo, s20
	v_lshlrev_b32_e32 v0, 8, v0
	v_lshl_add_u32 v3, v3, 10, 0x2000
	s_delay_alu instid0(VALU_DEP_1) | instskip(NEXT) | instid1(VALU_DEP_1)
	v_and_or_b32 v0, 0x8000, v0, v3
	v_lshl_or_b32 v0, v32, 7, v0
	s_delay_alu instid0(VALU_DEP_1)
	v_cvt_f32_f16_e32 v22, v0
.LBB371_1081:                           ;   in Loop: Header=BB371_11 Depth=1
	s_or_b32 exec_lo, exec_lo, s19
.LBB371_1082:                           ;   in Loop: Header=BB371_11 Depth=1
	s_delay_alu instid0(SALU_CYCLE_1)
	s_or_b32 exec_lo, exec_lo, s18
.LBB371_1083:                           ;   in Loop: Header=BB371_11 Depth=1
	s_delay_alu instid0(SALU_CYCLE_1) | instskip(SKIP_2) | instid1(VALU_DEP_1)
	s_or_b32 exec_lo, exec_lo, s17
	v_lshrrev_b32_e32 v0, 16, v31
	s_mov_b32 s17, exec_lo
	v_and_b32_e32 v3, 0xff, v0
	s_delay_alu instid0(VALU_DEP_1)
	v_cmpx_ne_u16_e32 0, v3
	s_cbranch_execz .LBB371_1091
; %bb.1084:                             ;   in Loop: Header=BB371_11 Depth=1
	v_bfrev_b32_e32 v50, 1
	s_mov_b32 s18, exec_lo
	v_cmpx_ne_u16_e32 0x80, v3
	s_cbranch_execz .LBB371_1090
; %bb.1085:                             ;   in Loop: Header=BB371_11 Depth=1
	v_bfe_u32 v4, v31, 16, 7
	v_mov_b32_e32 v50, 0x7fc02000
	s_mov_b32 s19, exec_lo
	s_delay_alu instid0(VALU_DEP_2)
	v_cmpx_ne_u32_e32 0x7f, v4
	s_cbranch_execz .LBB371_1089
; %bb.1086:                             ;   in Loop: Header=BB371_11 Depth=1
	v_and_b32_e32 v8, 7, v0
	v_lshrrev_b32_e32 v3, 3, v4
	v_mov_b32_e32 v33, v9
	s_mov_b32 s20, exec_lo
	s_delay_alu instid0(VALU_DEP_3)
	v_mov_b32_e32 v32, v8
	v_cmpx_gt_u32_e32 8, v4
; %bb.1087:                             ;   in Loop: Header=BB371_11 Depth=1
	v_clz_i32_u32_e32 v3, v8
	s_delay_alu instid0(VALU_DEP_1) | instskip(NEXT) | instid1(VALU_DEP_1)
	v_min_u32_e32 v3, 32, v3
	v_subrev_nc_u32_e32 v4, 28, v3
	v_sub_nc_u32_e32 v3, 29, v3
	s_delay_alu instid0(VALU_DEP_2) | instskip(NEXT) | instid1(VALU_DEP_1)
	v_lshlrev_b64 v[4:5], v4, v[8:9]
	v_and_b32_e32 v32, 7, v4
; %bb.1088:                             ;   in Loop: Header=BB371_11 Depth=1
	s_or_b32 exec_lo, exec_lo, s20
	v_lshlrev_b32_e32 v0, 8, v0
	v_lshl_add_u32 v3, v3, 10, 0x2000
	s_delay_alu instid0(VALU_DEP_1) | instskip(NEXT) | instid1(VALU_DEP_1)
	v_and_or_b32 v0, 0x8000, v0, v3
	v_lshl_or_b32 v0, v32, 7, v0
	s_delay_alu instid0(VALU_DEP_1)
	v_cvt_f32_f16_e32 v50, v0
.LBB371_1089:                           ;   in Loop: Header=BB371_11 Depth=1
	s_or_b32 exec_lo, exec_lo, s19
.LBB371_1090:                           ;   in Loop: Header=BB371_11 Depth=1
	s_delay_alu instid0(SALU_CYCLE_1)
	s_or_b32 exec_lo, exec_lo, s18
.LBB371_1091:                           ;   in Loop: Header=BB371_11 Depth=1
	s_delay_alu instid0(SALU_CYCLE_1)
	s_or_b32 exec_lo, exec_lo, s17
	v_dual_mov_b32 v83, 0 :: v_dual_mov_b32 v68, 0
	s_mov_b32 s17, exec_lo
	v_cmpx_lt_u64_e64 s[2:3], v[30:31]
	s_cbranch_execz .LBB371_1099
; %bb.1092:                             ;   in Loop: Header=BB371_11 Depth=1
	v_lshrrev_b32_e32 v0, 24, v31
	v_bfrev_b32_e32 v68, 1
	s_mov_b32 s18, exec_lo
	s_delay_alu instid0(VALU_DEP_2)
	v_cmpx_ne_u32_e32 0x80, v0
	s_cbranch_execz .LBB371_1098
; %bb.1093:                             ;   in Loop: Header=BB371_11 Depth=1
	v_and_b32_e32 v4, 0x7f, v0
	v_mov_b32_e32 v68, 0x7fc02000
	s_mov_b32 s19, exec_lo
	s_delay_alu instid0(VALU_DEP_2)
	v_cmpx_ne_u32_e32 0x7f, v4
	s_cbranch_execz .LBB371_1097
; %bb.1094:                             ;   in Loop: Header=BB371_11 Depth=1
	v_and_b32_e32 v8, 7, v0
	v_lshrrev_b32_e32 v3, 3, v4
	v_mov_b32_e32 v31, v9
	s_mov_b32 s20, exec_lo
	s_delay_alu instid0(VALU_DEP_3)
	v_mov_b32_e32 v30, v8
	v_cmpx_gt_u32_e32 8, v4
; %bb.1095:                             ;   in Loop: Header=BB371_11 Depth=1
	v_clz_i32_u32_e32 v3, v8
	s_delay_alu instid0(VALU_DEP_1) | instskip(NEXT) | instid1(VALU_DEP_1)
	v_min_u32_e32 v3, 32, v3
	v_subrev_nc_u32_e32 v4, 28, v3
	v_sub_nc_u32_e32 v3, 29, v3
	s_delay_alu instid0(VALU_DEP_2) | instskip(NEXT) | instid1(VALU_DEP_1)
	v_lshlrev_b64 v[4:5], v4, v[8:9]
	v_and_b32_e32 v30, 7, v4
; %bb.1096:                             ;   in Loop: Header=BB371_11 Depth=1
	s_or_b32 exec_lo, exec_lo, s20
	v_lshlrev_b32_e32 v0, 8, v0
	v_lshl_add_u32 v3, v3, 10, 0x2000
	s_delay_alu instid0(VALU_DEP_1) | instskip(NEXT) | instid1(VALU_DEP_1)
	v_and_or_b32 v0, 0x8000, v0, v3
	v_lshl_or_b32 v0, v30, 7, v0
	s_delay_alu instid0(VALU_DEP_1)
	v_cvt_f32_f16_e32 v68, v0
.LBB371_1097:                           ;   in Loop: Header=BB371_11 Depth=1
	s_or_b32 exec_lo, exec_lo, s19
.LBB371_1098:                           ;   in Loop: Header=BB371_11 Depth=1
	s_delay_alu instid0(SALU_CYCLE_1)
	s_or_b32 exec_lo, exec_lo, s18
.LBB371_1099:                           ;   in Loop: Header=BB371_11 Depth=1
	s_delay_alu instid0(SALU_CYCLE_1) | instskip(SKIP_4) | instid1(VALU_DEP_1)
	s_or_b32 exec_lo, exec_lo, s17
	flat_load_b64 v[30:31], v[28:29] offset:8
	s_mov_b32 s17, exec_lo
	s_waitcnt vmcnt(0) lgkmcnt(0)
	v_and_b32_e32 v0, 0xff, v30
	v_cmpx_ne_u16_e32 0, v0
	s_cbranch_execz .LBB371_1107
; %bb.1100:                             ;   in Loop: Header=BB371_11 Depth=1
	v_bfrev_b32_e32 v83, 1
	s_mov_b32 s18, exec_lo
	v_cmpx_ne_u16_e32 0x80, v0
	s_cbranch_execz .LBB371_1106
; %bb.1101:                             ;   in Loop: Header=BB371_11 Depth=1
	v_and_b32_e32 v3, 0x7f, v30
	v_mov_b32_e32 v83, 0x7fc02000
	s_mov_b32 s19, exec_lo
	s_delay_alu instid0(VALU_DEP_2)
	v_cmpx_ne_u32_e32 0x7f, v3
	s_cbranch_execz .LBB371_1105
; %bb.1102:                             ;   in Loop: Header=BB371_11 Depth=1
	v_lshrrev_b32_e32 v0, 3, v3
	v_dual_mov_b32 v33, v31 :: v_dual_mov_b32 v32, v30
	s_mov_b32 s20, exec_lo
	v_cmpx_gt_u32_e32 8, v3
; %bb.1103:                             ;   in Loop: Header=BB371_11 Depth=1
	v_and_b32_e32 v0, 7, v30
	s_delay_alu instid0(VALU_DEP_1) | instskip(NEXT) | instid1(VALU_DEP_1)
	v_clz_i32_u32_e32 v0, v0
	v_min_u32_e32 v0, 32, v0
	s_delay_alu instid0(VALU_DEP_1) | instskip(SKIP_1) | instid1(VALU_DEP_2)
	v_subrev_nc_u32_e32 v3, 28, v0
	v_sub_nc_u32_e32 v0, 29, v0
	v_lshlrev_b64 v[32:33], v3, v[30:31]
; %bb.1104:                             ;   in Loop: Header=BB371_11 Depth=1
	s_or_b32 exec_lo, exec_lo, s20
	v_lshlrev_b32_e32 v3, 8, v30
	s_delay_alu instid0(VALU_DEP_3) | instskip(NEXT) | instid1(VALU_DEP_3)
	v_lshl_add_u32 v0, v0, 10, 0x2000
	v_lshlrev_b32_e32 v4, 7, v32
	s_delay_alu instid0(VALU_DEP_2) | instskip(NEXT) | instid1(VALU_DEP_1)
	v_and_or_b32 v0, 0x8000, v3, v0
	v_and_or_b32 v0, 0x380, v4, v0
	s_delay_alu instid0(VALU_DEP_1)
	v_cvt_f32_f16_e32 v83, v0
.LBB371_1105:                           ;   in Loop: Header=BB371_11 Depth=1
	s_or_b32 exec_lo, exec_lo, s19
.LBB371_1106:                           ;   in Loop: Header=BB371_11 Depth=1
	s_delay_alu instid0(SALU_CYCLE_1)
	s_or_b32 exec_lo, exec_lo, s18
.LBB371_1107:                           ;   in Loop: Header=BB371_11 Depth=1
	s_delay_alu instid0(SALU_CYCLE_1) | instskip(SKIP_3) | instid1(VALU_DEP_2)
	s_or_b32 exec_lo, exec_lo, s17
	v_lshrrev_b16 v0, 8, v30
	v_dual_mov_b32 v84, 0 :: v_dual_mov_b32 v85, 0
	s_mov_b32 s17, exec_lo
	v_cmpx_ne_u16_e32 0, v0
	s_cbranch_execz .LBB371_1115
; %bb.1108:                             ;   in Loop: Header=BB371_11 Depth=1
	v_bfrev_b32_e32 v85, 1
	s_mov_b32 s18, exec_lo
	v_cmpx_ne_u16_e32 0x80, v0
	s_cbranch_execz .LBB371_1114
; %bb.1109:                             ;   in Loop: Header=BB371_11 Depth=1
	v_and_b32_e32 v0, 0xffff, v0
	v_mov_b32_e32 v85, 0x7fc02000
	s_mov_b32 s19, exec_lo
	s_delay_alu instid0(VALU_DEP_2) | instskip(NEXT) | instid1(VALU_DEP_1)
	v_and_b32_e32 v4, 0x7f, v0
	v_cmpx_ne_u32_e32 0x7f, v4
	s_cbranch_execz .LBB371_1113
; %bb.1110:                             ;   in Loop: Header=BB371_11 Depth=1
	v_and_b32_e32 v8, 7, v0
	v_lshrrev_b32_e32 v3, 3, v4
	v_mov_b32_e32 v33, v9
	s_mov_b32 s20, exec_lo
	s_delay_alu instid0(VALU_DEP_3)
	v_mov_b32_e32 v32, v8
	v_cmpx_gt_u32_e32 8, v4
; %bb.1111:                             ;   in Loop: Header=BB371_11 Depth=1
	v_clz_i32_u32_e32 v3, v8
	s_delay_alu instid0(VALU_DEP_1) | instskip(NEXT) | instid1(VALU_DEP_1)
	v_min_u32_e32 v3, 32, v3
	v_subrev_nc_u32_e32 v4, 28, v3
	v_sub_nc_u32_e32 v3, 29, v3
	s_delay_alu instid0(VALU_DEP_2) | instskip(NEXT) | instid1(VALU_DEP_1)
	v_lshlrev_b64 v[4:5], v4, v[8:9]
	v_and_b32_e32 v32, 7, v4
; %bb.1112:                             ;   in Loop: Header=BB371_11 Depth=1
	s_or_b32 exec_lo, exec_lo, s20
	v_lshlrev_b32_e32 v0, 8, v0
	v_lshl_add_u32 v3, v3, 10, 0x2000
	s_delay_alu instid0(VALU_DEP_1) | instskip(NEXT) | instid1(VALU_DEP_1)
	v_and_or_b32 v0, 0x8000, v0, v3
	v_lshl_or_b32 v0, v32, 7, v0
	s_delay_alu instid0(VALU_DEP_1)
	v_cvt_f32_f16_e32 v85, v0
.LBB371_1113:                           ;   in Loop: Header=BB371_11 Depth=1
	s_or_b32 exec_lo, exec_lo, s19
.LBB371_1114:                           ;   in Loop: Header=BB371_11 Depth=1
	s_delay_alu instid0(SALU_CYCLE_1)
	s_or_b32 exec_lo, exec_lo, s18
.LBB371_1115:                           ;   in Loop: Header=BB371_11 Depth=1
	s_delay_alu instid0(SALU_CYCLE_1) | instskip(SKIP_2) | instid1(VALU_DEP_1)
	s_or_b32 exec_lo, exec_lo, s17
	v_lshrrev_b32_e32 v0, 16, v30
	s_mov_b32 s17, exec_lo
	v_and_b32_e32 v3, 0xff, v0
	s_delay_alu instid0(VALU_DEP_1)
	v_cmpx_ne_u16_e32 0, v3
	s_cbranch_execz .LBB371_1123
; %bb.1116:                             ;   in Loop: Header=BB371_11 Depth=1
	v_bfrev_b32_e32 v84, 1
	s_mov_b32 s18, exec_lo
	v_cmpx_ne_u16_e32 0x80, v3
	s_cbranch_execz .LBB371_1122
; %bb.1117:                             ;   in Loop: Header=BB371_11 Depth=1
	v_bfe_u32 v4, v30, 16, 7
	v_mov_b32_e32 v84, 0x7fc02000
	s_mov_b32 s19, exec_lo
	s_delay_alu instid0(VALU_DEP_2)
	v_cmpx_ne_u32_e32 0x7f, v4
	s_cbranch_execz .LBB371_1121
; %bb.1118:                             ;   in Loop: Header=BB371_11 Depth=1
	v_and_b32_e32 v8, 7, v0
	v_lshrrev_b32_e32 v3, 3, v4
	v_mov_b32_e32 v33, v9
	s_mov_b32 s20, exec_lo
	s_delay_alu instid0(VALU_DEP_3)
	v_mov_b32_e32 v32, v8
	v_cmpx_gt_u32_e32 8, v4
; %bb.1119:                             ;   in Loop: Header=BB371_11 Depth=1
	v_clz_i32_u32_e32 v3, v8
	s_delay_alu instid0(VALU_DEP_1) | instskip(NEXT) | instid1(VALU_DEP_1)
	v_min_u32_e32 v3, 32, v3
	v_subrev_nc_u32_e32 v4, 28, v3
	v_sub_nc_u32_e32 v3, 29, v3
	s_delay_alu instid0(VALU_DEP_2) | instskip(NEXT) | instid1(VALU_DEP_1)
	v_lshlrev_b64 v[4:5], v4, v[8:9]
	v_and_b32_e32 v32, 7, v4
; %bb.1120:                             ;   in Loop: Header=BB371_11 Depth=1
	s_or_b32 exec_lo, exec_lo, s20
	v_lshlrev_b32_e32 v0, 8, v0
	v_lshl_add_u32 v3, v3, 10, 0x2000
	s_delay_alu instid0(VALU_DEP_1) | instskip(NEXT) | instid1(VALU_DEP_1)
	v_and_or_b32 v0, 0x8000, v0, v3
	v_lshl_or_b32 v0, v32, 7, v0
	s_delay_alu instid0(VALU_DEP_1)
	v_cvt_f32_f16_e32 v84, v0
.LBB371_1121:                           ;   in Loop: Header=BB371_11 Depth=1
	s_or_b32 exec_lo, exec_lo, s19
.LBB371_1122:                           ;   in Loop: Header=BB371_11 Depth=1
	s_delay_alu instid0(SALU_CYCLE_1)
	s_or_b32 exec_lo, exec_lo, s18
.LBB371_1123:                           ;   in Loop: Header=BB371_11 Depth=1
	s_delay_alu instid0(SALU_CYCLE_1)
	s_or_b32 exec_lo, exec_lo, s17
	v_dual_mov_b32 v86, 0 :: v_dual_mov_b32 v87, 0
	s_mov_b32 s17, exec_lo
	v_cmpx_lt_u32_e32 0xffffff, v30
	s_cbranch_execz .LBB371_1131
; %bb.1124:                             ;   in Loop: Header=BB371_11 Depth=1
	v_lshrrev_b32_e32 v0, 24, v30
	v_bfrev_b32_e32 v87, 1
	s_mov_b32 s18, exec_lo
	s_delay_alu instid0(VALU_DEP_2)
	v_cmpx_ne_u32_e32 0x80, v0
	s_cbranch_execz .LBB371_1130
; %bb.1125:                             ;   in Loop: Header=BB371_11 Depth=1
	v_and_b32_e32 v4, 0x7f, v0
	v_mov_b32_e32 v87, 0x7fc02000
	s_mov_b32 s19, exec_lo
	s_delay_alu instid0(VALU_DEP_2)
	v_cmpx_ne_u32_e32 0x7f, v4
	s_cbranch_execz .LBB371_1129
; %bb.1126:                             ;   in Loop: Header=BB371_11 Depth=1
	v_and_b32_e32 v8, 7, v0
	v_lshrrev_b32_e32 v3, 3, v4
	v_mov_b32_e32 v33, v9
	s_mov_b32 s20, exec_lo
	s_delay_alu instid0(VALU_DEP_3)
	v_mov_b32_e32 v32, v8
	v_cmpx_gt_u32_e32 8, v4
; %bb.1127:                             ;   in Loop: Header=BB371_11 Depth=1
	v_clz_i32_u32_e32 v3, v8
	s_delay_alu instid0(VALU_DEP_1) | instskip(NEXT) | instid1(VALU_DEP_1)
	v_min_u32_e32 v3, 32, v3
	v_subrev_nc_u32_e32 v4, 28, v3
	v_sub_nc_u32_e32 v3, 29, v3
	s_delay_alu instid0(VALU_DEP_2) | instskip(NEXT) | instid1(VALU_DEP_1)
	v_lshlrev_b64 v[4:5], v4, v[8:9]
	v_and_b32_e32 v32, 7, v4
; %bb.1128:                             ;   in Loop: Header=BB371_11 Depth=1
	s_or_b32 exec_lo, exec_lo, s20
	v_lshlrev_b32_e32 v0, 8, v0
	v_lshl_add_u32 v3, v3, 10, 0x2000
	s_delay_alu instid0(VALU_DEP_1) | instskip(NEXT) | instid1(VALU_DEP_1)
	v_and_or_b32 v0, 0x8000, v0, v3
	v_lshl_or_b32 v0, v32, 7, v0
	s_delay_alu instid0(VALU_DEP_1)
	v_cvt_f32_f16_e32 v87, v0
.LBB371_1129:                           ;   in Loop: Header=BB371_11 Depth=1
	s_or_b32 exec_lo, exec_lo, s19
.LBB371_1130:                           ;   in Loop: Header=BB371_11 Depth=1
	s_delay_alu instid0(SALU_CYCLE_1)
	s_or_b32 exec_lo, exec_lo, s18
.LBB371_1131:                           ;   in Loop: Header=BB371_11 Depth=1
	s_delay_alu instid0(SALU_CYCLE_1) | instskip(SKIP_3) | instid1(VALU_DEP_2)
	s_or_b32 exec_lo, exec_lo, s17
	v_and_b32_e32 v0, 0xff, v31
	v_mov_b32_e32 v8, v31
	s_mov_b32 s17, exec_lo
	v_cmpx_ne_u16_e32 0, v0
	s_cbranch_execz .LBB371_1139
; %bb.1132:                             ;   in Loop: Header=BB371_11 Depth=1
	v_bfrev_b32_e32 v86, 1
	s_mov_b32 s18, exec_lo
	v_cmpx_ne_u16_e32 0x80, v0
	s_cbranch_execz .LBB371_1138
; %bb.1133:                             ;   in Loop: Header=BB371_11 Depth=1
	v_and_b32_e32 v3, 0x7f, v31
	v_mov_b32_e32 v86, 0x7fc02000
	s_mov_b32 s19, exec_lo
	s_delay_alu instid0(VALU_DEP_2)
	v_cmpx_ne_u32_e32 0x7f, v3
	s_cbranch_execz .LBB371_1137
; %bb.1134:                             ;   in Loop: Header=BB371_11 Depth=1
	v_dual_mov_b32 v33, v9 :: v_dual_mov_b32 v32, v8
	v_lshrrev_b32_e32 v0, 3, v3
	s_mov_b32 s20, exec_lo
	v_cmpx_gt_u32_e32 8, v3
; %bb.1135:                             ;   in Loop: Header=BB371_11 Depth=1
	v_and_b32_e32 v0, 7, v31
	s_delay_alu instid0(VALU_DEP_1) | instskip(NEXT) | instid1(VALU_DEP_1)
	v_clz_i32_u32_e32 v0, v0
	v_min_u32_e32 v0, 32, v0
	s_delay_alu instid0(VALU_DEP_1) | instskip(SKIP_1) | instid1(VALU_DEP_2)
	v_subrev_nc_u32_e32 v3, 28, v0
	v_sub_nc_u32_e32 v0, 29, v0
	v_lshlrev_b64 v[32:33], v3, v[8:9]
; %bb.1136:                             ;   in Loop: Header=BB371_11 Depth=1
	s_or_b32 exec_lo, exec_lo, s20
	v_lshlrev_b32_e32 v3, 8, v31
	s_delay_alu instid0(VALU_DEP_3) | instskip(NEXT) | instid1(VALU_DEP_3)
	v_lshl_add_u32 v0, v0, 10, 0x2000
	v_lshlrev_b32_e32 v4, 7, v32
	s_delay_alu instid0(VALU_DEP_2) | instskip(NEXT) | instid1(VALU_DEP_1)
	v_and_or_b32 v0, 0x8000, v3, v0
	v_and_or_b32 v0, 0x380, v4, v0
	s_delay_alu instid0(VALU_DEP_1)
	v_cvt_f32_f16_e32 v86, v0
.LBB371_1137:                           ;   in Loop: Header=BB371_11 Depth=1
	s_or_b32 exec_lo, exec_lo, s19
.LBB371_1138:                           ;   in Loop: Header=BB371_11 Depth=1
	s_delay_alu instid0(SALU_CYCLE_1)
	s_or_b32 exec_lo, exec_lo, s18
.LBB371_1139:                           ;   in Loop: Header=BB371_11 Depth=1
	s_delay_alu instid0(SALU_CYCLE_1) | instskip(SKIP_3) | instid1(VALU_DEP_2)
	s_or_b32 exec_lo, exec_lo, s17
	v_lshrrev_b16 v0, 8, v8
	v_dual_mov_b32 v6, 0 :: v_dual_mov_b32 v7, 0
	s_mov_b32 s17, exec_lo
	v_cmpx_ne_u16_e32 0, v0
	s_cbranch_execz .LBB371_1147
; %bb.1140:                             ;   in Loop: Header=BB371_11 Depth=1
	v_bfrev_b32_e32 v7, 1
	s_mov_b32 s18, exec_lo
	v_cmpx_ne_u16_e32 0x80, v0
	s_cbranch_execz .LBB371_1146
; %bb.1141:                             ;   in Loop: Header=BB371_11 Depth=1
	v_and_b32_e32 v0, 0xffff, v0
	v_mov_b32_e32 v7, 0x7fc02000
	s_mov_b32 s19, exec_lo
	s_delay_alu instid0(VALU_DEP_2) | instskip(NEXT) | instid1(VALU_DEP_1)
	v_and_b32_e32 v4, 0x7f, v0
	v_cmpx_ne_u32_e32 0x7f, v4
	s_cbranch_execz .LBB371_1145
; %bb.1142:                             ;   in Loop: Header=BB371_11 Depth=1
	v_and_b32_e32 v8, 7, v0
	v_mov_b32_e32 v33, v9
	v_lshrrev_b32_e32 v3, 3, v4
	s_mov_b32 s20, exec_lo
	s_delay_alu instid0(VALU_DEP_3)
	v_mov_b32_e32 v32, v8
	v_cmpx_gt_u32_e32 8, v4
; %bb.1143:                             ;   in Loop: Header=BB371_11 Depth=1
	v_clz_i32_u32_e32 v3, v8
	s_delay_alu instid0(VALU_DEP_1) | instskip(NEXT) | instid1(VALU_DEP_1)
	v_min_u32_e32 v3, 32, v3
	v_subrev_nc_u32_e32 v4, 28, v3
	v_sub_nc_u32_e32 v3, 29, v3
	s_delay_alu instid0(VALU_DEP_2) | instskip(NEXT) | instid1(VALU_DEP_1)
	v_lshlrev_b64 v[4:5], v4, v[8:9]
	v_and_b32_e32 v32, 7, v4
; %bb.1144:                             ;   in Loop: Header=BB371_11 Depth=1
	s_or_b32 exec_lo, exec_lo, s20
	v_lshlrev_b32_e32 v0, 8, v0
	v_lshl_add_u32 v3, v3, 10, 0x2000
	s_delay_alu instid0(VALU_DEP_1) | instskip(NEXT) | instid1(VALU_DEP_1)
	v_and_or_b32 v0, 0x8000, v0, v3
	v_lshl_or_b32 v0, v32, 7, v0
	s_delay_alu instid0(VALU_DEP_1)
	v_cvt_f32_f16_e32 v7, v0
.LBB371_1145:                           ;   in Loop: Header=BB371_11 Depth=1
	s_or_b32 exec_lo, exec_lo, s19
.LBB371_1146:                           ;   in Loop: Header=BB371_11 Depth=1
	s_delay_alu instid0(SALU_CYCLE_1)
	s_or_b32 exec_lo, exec_lo, s18
.LBB371_1147:                           ;   in Loop: Header=BB371_11 Depth=1
	s_delay_alu instid0(SALU_CYCLE_1) | instskip(SKIP_2) | instid1(VALU_DEP_1)
	s_or_b32 exec_lo, exec_lo, s17
	v_lshrrev_b32_e32 v0, 16, v31
	s_mov_b32 s17, exec_lo
	v_and_b32_e32 v3, 0xff, v0
	s_delay_alu instid0(VALU_DEP_1)
	v_cmpx_ne_u16_e32 0, v3
	s_cbranch_execz .LBB371_1155
; %bb.1148:                             ;   in Loop: Header=BB371_11 Depth=1
	v_bfrev_b32_e32 v6, 1
	s_mov_b32 s18, exec_lo
	v_cmpx_ne_u16_e32 0x80, v3
	s_cbranch_execz .LBB371_1154
; %bb.1149:                             ;   in Loop: Header=BB371_11 Depth=1
	v_bfe_u32 v4, v31, 16, 7
	v_mov_b32_e32 v6, 0x7fc02000
	s_mov_b32 s19, exec_lo
	s_delay_alu instid0(VALU_DEP_2)
	v_cmpx_ne_u32_e32 0x7f, v4
	s_cbranch_execz .LBB371_1153
; %bb.1150:                             ;   in Loop: Header=BB371_11 Depth=1
	v_and_b32_e32 v8, 7, v0
	v_mov_b32_e32 v33, v9
	v_lshrrev_b32_e32 v3, 3, v4
	s_mov_b32 s20, exec_lo
	s_delay_alu instid0(VALU_DEP_3)
	v_mov_b32_e32 v32, v8
	v_cmpx_gt_u32_e32 8, v4
; %bb.1151:                             ;   in Loop: Header=BB371_11 Depth=1
	v_clz_i32_u32_e32 v3, v8
	s_delay_alu instid0(VALU_DEP_1) | instskip(NEXT) | instid1(VALU_DEP_1)
	v_min_u32_e32 v3, 32, v3
	v_subrev_nc_u32_e32 v4, 28, v3
	v_sub_nc_u32_e32 v3, 29, v3
	s_delay_alu instid0(VALU_DEP_2) | instskip(NEXT) | instid1(VALU_DEP_1)
	v_lshlrev_b64 v[4:5], v4, v[8:9]
	v_and_b32_e32 v32, 7, v4
; %bb.1152:                             ;   in Loop: Header=BB371_11 Depth=1
	s_or_b32 exec_lo, exec_lo, s20
	v_lshlrev_b32_e32 v0, 8, v0
	v_lshl_add_u32 v3, v3, 10, 0x2000
	s_delay_alu instid0(VALU_DEP_1) | instskip(NEXT) | instid1(VALU_DEP_1)
	v_and_or_b32 v0, 0x8000, v0, v3
	v_lshl_or_b32 v0, v32, 7, v0
	s_delay_alu instid0(VALU_DEP_1)
	v_cvt_f32_f16_e32 v6, v0
.LBB371_1153:                           ;   in Loop: Header=BB371_11 Depth=1
	s_or_b32 exec_lo, exec_lo, s19
.LBB371_1154:                           ;   in Loop: Header=BB371_11 Depth=1
	s_delay_alu instid0(SALU_CYCLE_1)
	s_or_b32 exec_lo, exec_lo, s18
.LBB371_1155:                           ;   in Loop: Header=BB371_11 Depth=1
	s_delay_alu instid0(SALU_CYCLE_1)
	s_or_b32 exec_lo, exec_lo, s17
	v_dual_mov_b32 v0, 0 :: v_dual_mov_b32 v99, 0
	s_mov_b32 s17, exec_lo
	v_cmpx_lt_u64_e64 s[2:3], v[30:31]
	s_cbranch_execz .LBB371_1163
; %bb.1156:                             ;   in Loop: Header=BB371_11 Depth=1
	v_lshrrev_b32_e32 v3, 24, v31
	v_bfrev_b32_e32 v99, 1
	s_mov_b32 s18, exec_lo
	s_delay_alu instid0(VALU_DEP_2)
	v_cmpx_ne_u32_e32 0x80, v3
	s_cbranch_execz .LBB371_1162
; %bb.1157:                             ;   in Loop: Header=BB371_11 Depth=1
	v_and_b32_e32 v5, 0x7f, v3
	v_mov_b32_e32 v99, 0x7fc02000
	s_mov_b32 s19, exec_lo
	s_delay_alu instid0(VALU_DEP_2)
	v_cmpx_ne_u32_e32 0x7f, v5
	s_cbranch_execz .LBB371_1161
; %bb.1158:                             ;   in Loop: Header=BB371_11 Depth=1
	v_and_b32_e32 v8, 7, v3
	v_mov_b32_e32 v31, v9
	v_lshrrev_b32_e32 v4, 3, v5
	s_mov_b32 s20, exec_lo
	s_delay_alu instid0(VALU_DEP_3)
	v_mov_b32_e32 v30, v8
	v_cmpx_gt_u32_e32 8, v5
; %bb.1159:                             ;   in Loop: Header=BB371_11 Depth=1
	v_clz_i32_u32_e32 v4, v8
	s_delay_alu instid0(VALU_DEP_1) | instskip(NEXT) | instid1(VALU_DEP_1)
	v_min_u32_e32 v4, 32, v4
	v_subrev_nc_u32_e32 v5, 28, v4
	v_sub_nc_u32_e32 v4, 29, v4
	s_delay_alu instid0(VALU_DEP_2) | instskip(NEXT) | instid1(VALU_DEP_1)
	v_lshlrev_b64 v[12:13], v5, v[8:9]
	v_and_b32_e32 v30, 7, v12
; %bb.1160:                             ;   in Loop: Header=BB371_11 Depth=1
	s_or_b32 exec_lo, exec_lo, s20
	v_lshlrev_b32_e32 v3, 8, v3
	v_lshl_add_u32 v4, v4, 10, 0x2000
	s_delay_alu instid0(VALU_DEP_1) | instskip(NEXT) | instid1(VALU_DEP_1)
	v_and_or_b32 v3, 0x8000, v3, v4
	v_lshl_or_b32 v3, v30, 7, v3
	s_delay_alu instid0(VALU_DEP_1)
	v_cvt_f32_f16_e32 v99, v3
.LBB371_1161:                           ;   in Loop: Header=BB371_11 Depth=1
	s_or_b32 exec_lo, exec_lo, s19
.LBB371_1162:                           ;   in Loop: Header=BB371_11 Depth=1
	s_delay_alu instid0(SALU_CYCLE_1)
	s_or_b32 exec_lo, exec_lo, s18
.LBB371_1163:                           ;   in Loop: Header=BB371_11 Depth=1
	s_delay_alu instid0(SALU_CYCLE_1) | instskip(SKIP_4) | instid1(VALU_DEP_1)
	s_or_b32 exec_lo, exec_lo, s17
	flat_load_b64 v[30:31], v[28:29] offset:512
	s_mov_b32 s17, exec_lo
	s_waitcnt vmcnt(0) lgkmcnt(0)
	v_and_b32_e32 v3, 0xff, v30
	v_cmpx_ne_u16_e32 0, v3
	s_cbranch_execz .LBB371_1171
; %bb.1164:                             ;   in Loop: Header=BB371_11 Depth=1
	v_bfrev_b32_e32 v0, 1
	s_mov_b32 s18, exec_lo
	v_cmpx_ne_u16_e32 0x80, v3
	s_cbranch_execz .LBB371_1170
; %bb.1165:                             ;   in Loop: Header=BB371_11 Depth=1
	v_and_b32_e32 v3, 0x7f, v30
	v_mov_b32_e32 v0, 0x7fc02000
	s_mov_b32 s19, exec_lo
	s_delay_alu instid0(VALU_DEP_2)
	v_cmpx_ne_u32_e32 0x7f, v3
	s_cbranch_execz .LBB371_1169
; %bb.1166:                             ;   in Loop: Header=BB371_11 Depth=1
	v_lshrrev_b32_e32 v0, 3, v3
	v_dual_mov_b32 v33, v31 :: v_dual_mov_b32 v32, v30
	s_mov_b32 s20, exec_lo
	v_cmpx_gt_u32_e32 8, v3
; %bb.1167:                             ;   in Loop: Header=BB371_11 Depth=1
	v_and_b32_e32 v0, 7, v30
	s_delay_alu instid0(VALU_DEP_1) | instskip(NEXT) | instid1(VALU_DEP_1)
	v_clz_i32_u32_e32 v0, v0
	v_min_u32_e32 v0, 32, v0
	s_delay_alu instid0(VALU_DEP_1) | instskip(SKIP_1) | instid1(VALU_DEP_2)
	v_subrev_nc_u32_e32 v3, 28, v0
	v_sub_nc_u32_e32 v0, 29, v0
	v_lshlrev_b64 v[32:33], v3, v[30:31]
; %bb.1168:                             ;   in Loop: Header=BB371_11 Depth=1
	s_or_b32 exec_lo, exec_lo, s20
	v_lshlrev_b32_e32 v3, 8, v30
	s_delay_alu instid0(VALU_DEP_3) | instskip(NEXT) | instid1(VALU_DEP_3)
	v_lshl_add_u32 v0, v0, 10, 0x2000
	v_lshlrev_b32_e32 v4, 7, v32
	s_delay_alu instid0(VALU_DEP_2) | instskip(NEXT) | instid1(VALU_DEP_1)
	v_and_or_b32 v0, 0x8000, v3, v0
	v_and_or_b32 v0, 0x380, v4, v0
	s_delay_alu instid0(VALU_DEP_1)
	v_cvt_f32_f16_e32 v0, v0
.LBB371_1169:                           ;   in Loop: Header=BB371_11 Depth=1
	s_or_b32 exec_lo, exec_lo, s19
.LBB371_1170:                           ;   in Loop: Header=BB371_11 Depth=1
	s_delay_alu instid0(SALU_CYCLE_1)
	s_or_b32 exec_lo, exec_lo, s18
.LBB371_1171:                           ;   in Loop: Header=BB371_11 Depth=1
	s_delay_alu instid0(SALU_CYCLE_1) | instskip(SKIP_3) | instid1(VALU_DEP_2)
	s_or_b32 exec_lo, exec_lo, s17
	v_lshrrev_b16 v3, 8, v30
	v_dual_mov_b32 v13, 0 :: v_dual_mov_b32 v18, 0
	s_mov_b32 s17, exec_lo
	v_cmpx_ne_u16_e32 0, v3
	s_cbranch_execz .LBB371_1179
; %bb.1172:                             ;   in Loop: Header=BB371_11 Depth=1
	v_bfrev_b32_e32 v18, 1
	s_mov_b32 s18, exec_lo
	v_cmpx_ne_u16_e32 0x80, v3
	s_cbranch_execz .LBB371_1178
; %bb.1173:                             ;   in Loop: Header=BB371_11 Depth=1
	v_and_b32_e32 v3, 0xffff, v3
	v_mov_b32_e32 v18, 0x7fc02000
	s_mov_b32 s19, exec_lo
	s_delay_alu instid0(VALU_DEP_2) | instskip(NEXT) | instid1(VALU_DEP_1)
	v_and_b32_e32 v5, 0x7f, v3
	v_cmpx_ne_u32_e32 0x7f, v5
	s_cbranch_execz .LBB371_1177
; %bb.1174:                             ;   in Loop: Header=BB371_11 Depth=1
	v_and_b32_e32 v8, 7, v3
	v_mov_b32_e32 v33, v9
	v_lshrrev_b32_e32 v4, 3, v5
	s_mov_b32 s20, exec_lo
	s_delay_alu instid0(VALU_DEP_3)
	v_mov_b32_e32 v32, v8
	v_cmpx_gt_u32_e32 8, v5
; %bb.1175:                             ;   in Loop: Header=BB371_11 Depth=1
	v_clz_i32_u32_e32 v4, v8
	s_delay_alu instid0(VALU_DEP_1) | instskip(NEXT) | instid1(VALU_DEP_1)
	v_min_u32_e32 v4, 32, v4
	v_subrev_nc_u32_e32 v5, 28, v4
	v_sub_nc_u32_e32 v4, 29, v4
	s_delay_alu instid0(VALU_DEP_2) | instskip(NEXT) | instid1(VALU_DEP_1)
	v_lshlrev_b64 v[14:15], v5, v[8:9]
	v_and_b32_e32 v32, 7, v14
; %bb.1176:                             ;   in Loop: Header=BB371_11 Depth=1
	s_or_b32 exec_lo, exec_lo, s20
	v_lshlrev_b32_e32 v3, 8, v3
	v_lshl_add_u32 v4, v4, 10, 0x2000
	s_delay_alu instid0(VALU_DEP_1) | instskip(NEXT) | instid1(VALU_DEP_1)
	v_and_or_b32 v3, 0x8000, v3, v4
	v_lshl_or_b32 v3, v32, 7, v3
	s_delay_alu instid0(VALU_DEP_1)
	v_cvt_f32_f16_e32 v18, v3
.LBB371_1177:                           ;   in Loop: Header=BB371_11 Depth=1
	s_or_b32 exec_lo, exec_lo, s19
.LBB371_1178:                           ;   in Loop: Header=BB371_11 Depth=1
	s_delay_alu instid0(SALU_CYCLE_1)
	s_or_b32 exec_lo, exec_lo, s18
.LBB371_1179:                           ;   in Loop: Header=BB371_11 Depth=1
	s_delay_alu instid0(SALU_CYCLE_1) | instskip(SKIP_2) | instid1(VALU_DEP_1)
	s_or_b32 exec_lo, exec_lo, s17
	v_lshrrev_b32_e32 v3, 16, v30
	s_mov_b32 s17, exec_lo
	v_and_b32_e32 v4, 0xff, v3
	s_delay_alu instid0(VALU_DEP_1)
	v_cmpx_ne_u16_e32 0, v4
	s_cbranch_execz .LBB371_1187
; %bb.1180:                             ;   in Loop: Header=BB371_11 Depth=1
	v_bfrev_b32_e32 v13, 1
	s_mov_b32 s18, exec_lo
	v_cmpx_ne_u16_e32 0x80, v4
	s_cbranch_execz .LBB371_1186
; %bb.1181:                             ;   in Loop: Header=BB371_11 Depth=1
	v_bfe_u32 v5, v30, 16, 7
	v_mov_b32_e32 v13, 0x7fc02000
	s_mov_b32 s19, exec_lo
	s_delay_alu instid0(VALU_DEP_2)
	v_cmpx_ne_u32_e32 0x7f, v5
	s_cbranch_execz .LBB371_1185
; %bb.1182:                             ;   in Loop: Header=BB371_11 Depth=1
	v_and_b32_e32 v8, 7, v3
	v_mov_b32_e32 v33, v9
	v_lshrrev_b32_e32 v4, 3, v5
	s_mov_b32 s20, exec_lo
	s_delay_alu instid0(VALU_DEP_3)
	v_mov_b32_e32 v32, v8
	v_cmpx_gt_u32_e32 8, v5
; %bb.1183:                             ;   in Loop: Header=BB371_11 Depth=1
	v_clz_i32_u32_e32 v4, v8
	s_delay_alu instid0(VALU_DEP_1) | instskip(NEXT) | instid1(VALU_DEP_1)
	v_min_u32_e32 v4, 32, v4
	v_subrev_nc_u32_e32 v5, 28, v4
	v_sub_nc_u32_e32 v4, 29, v4
	s_delay_alu instid0(VALU_DEP_2) | instskip(NEXT) | instid1(VALU_DEP_1)
	v_lshlrev_b64 v[12:13], v5, v[8:9]
	v_and_b32_e32 v32, 7, v12
; %bb.1184:                             ;   in Loop: Header=BB371_11 Depth=1
	s_or_b32 exec_lo, exec_lo, s20
	v_lshlrev_b32_e32 v3, 8, v3
	v_lshl_add_u32 v4, v4, 10, 0x2000
	s_delay_alu instid0(VALU_DEP_1) | instskip(NEXT) | instid1(VALU_DEP_1)
	v_and_or_b32 v3, 0x8000, v3, v4
	v_lshl_or_b32 v3, v32, 7, v3
	s_delay_alu instid0(VALU_DEP_1)
	v_cvt_f32_f16_e32 v13, v3
.LBB371_1185:                           ;   in Loop: Header=BB371_11 Depth=1
	s_or_b32 exec_lo, exec_lo, s19
.LBB371_1186:                           ;   in Loop: Header=BB371_11 Depth=1
	s_delay_alu instid0(SALU_CYCLE_1)
	s_or_b32 exec_lo, exec_lo, s18
.LBB371_1187:                           ;   in Loop: Header=BB371_11 Depth=1
	s_delay_alu instid0(SALU_CYCLE_1)
	s_or_b32 exec_lo, exec_lo, s17
	v_mov_b32_e32 v23, 0
	v_mov_b32_e32 v19, 0
	s_mov_b32 s17, exec_lo
	v_cmpx_lt_u32_e32 0xffffff, v30
	s_cbranch_execz .LBB371_1195
; %bb.1188:                             ;   in Loop: Header=BB371_11 Depth=1
	v_lshrrev_b32_e32 v3, 24, v30
	v_bfrev_b32_e32 v19, 1
	s_mov_b32 s18, exec_lo
	s_delay_alu instid0(VALU_DEP_2)
	v_cmpx_ne_u32_e32 0x80, v3
	s_cbranch_execz .LBB371_1194
; %bb.1189:                             ;   in Loop: Header=BB371_11 Depth=1
	v_and_b32_e32 v5, 0x7f, v3
	v_mov_b32_e32 v19, 0x7fc02000
	s_mov_b32 s19, exec_lo
	s_delay_alu instid0(VALU_DEP_2)
	v_cmpx_ne_u32_e32 0x7f, v5
	s_cbranch_execz .LBB371_1193
; %bb.1190:                             ;   in Loop: Header=BB371_11 Depth=1
	v_and_b32_e32 v8, 7, v3
	v_mov_b32_e32 v33, v9
	v_lshrrev_b32_e32 v4, 3, v5
	s_mov_b32 s20, exec_lo
	s_delay_alu instid0(VALU_DEP_3)
	v_mov_b32_e32 v32, v8
	v_cmpx_gt_u32_e32 8, v5
; %bb.1191:                             ;   in Loop: Header=BB371_11 Depth=1
	v_clz_i32_u32_e32 v4, v8
	s_delay_alu instid0(VALU_DEP_1) | instskip(NEXT) | instid1(VALU_DEP_1)
	v_min_u32_e32 v4, 32, v4
	v_subrev_nc_u32_e32 v5, 28, v4
	v_sub_nc_u32_e32 v4, 29, v4
	s_delay_alu instid0(VALU_DEP_2) | instskip(NEXT) | instid1(VALU_DEP_1)
	v_lshlrev_b64 v[14:15], v5, v[8:9]
	v_and_b32_e32 v32, 7, v14
; %bb.1192:                             ;   in Loop: Header=BB371_11 Depth=1
	s_or_b32 exec_lo, exec_lo, s20
	v_lshlrev_b32_e32 v3, 8, v3
	v_lshl_add_u32 v4, v4, 10, 0x2000
	s_delay_alu instid0(VALU_DEP_1) | instskip(NEXT) | instid1(VALU_DEP_1)
	v_and_or_b32 v3, 0x8000, v3, v4
	v_lshl_or_b32 v3, v32, 7, v3
	s_delay_alu instid0(VALU_DEP_1)
	v_cvt_f32_f16_e32 v19, v3
.LBB371_1193:                           ;   in Loop: Header=BB371_11 Depth=1
	s_or_b32 exec_lo, exec_lo, s19
.LBB371_1194:                           ;   in Loop: Header=BB371_11 Depth=1
	s_delay_alu instid0(SALU_CYCLE_1)
	s_or_b32 exec_lo, exec_lo, s18
.LBB371_1195:                           ;   in Loop: Header=BB371_11 Depth=1
	s_delay_alu instid0(SALU_CYCLE_1) | instskip(SKIP_2) | instid1(VALU_DEP_1)
	s_or_b32 exec_lo, exec_lo, s17
	v_dual_mov_b32 v8, v31 :: v_dual_and_b32 v3, 0xff, v31
	s_mov_b32 s17, exec_lo
	v_cmpx_ne_u16_e32 0, v3
	s_cbranch_execz .LBB371_1203
; %bb.1196:                             ;   in Loop: Header=BB371_11 Depth=1
	v_bfrev_b32_e32 v23, 1
	s_mov_b32 s18, exec_lo
	v_cmpx_ne_u16_e32 0x80, v3
	s_cbranch_execz .LBB371_1202
; %bb.1197:                             ;   in Loop: Header=BB371_11 Depth=1
	v_and_b32_e32 v4, 0x7f, v31
	v_mov_b32_e32 v23, 0x7fc02000
	s_mov_b32 s19, exec_lo
	s_delay_alu instid0(VALU_DEP_2)
	v_cmpx_ne_u32_e32 0x7f, v4
	s_cbranch_execz .LBB371_1201
; %bb.1198:                             ;   in Loop: Header=BB371_11 Depth=1
	v_dual_mov_b32 v33, v9 :: v_dual_mov_b32 v32, v8
	v_lshrrev_b32_e32 v3, 3, v4
	s_mov_b32 s20, exec_lo
	v_cmpx_gt_u32_e32 8, v4
; %bb.1199:                             ;   in Loop: Header=BB371_11 Depth=1
	v_and_b32_e32 v3, 7, v31
	s_delay_alu instid0(VALU_DEP_1) | instskip(NEXT) | instid1(VALU_DEP_1)
	v_clz_i32_u32_e32 v3, v3
	v_min_u32_e32 v3, 32, v3
	s_delay_alu instid0(VALU_DEP_1) | instskip(SKIP_1) | instid1(VALU_DEP_2)
	v_subrev_nc_u32_e32 v4, 28, v3
	v_sub_nc_u32_e32 v3, 29, v3
	v_lshlrev_b64 v[32:33], v4, v[8:9]
; %bb.1200:                             ;   in Loop: Header=BB371_11 Depth=1
	s_or_b32 exec_lo, exec_lo, s20
	v_lshlrev_b32_e32 v4, 8, v31
	s_delay_alu instid0(VALU_DEP_3) | instskip(NEXT) | instid1(VALU_DEP_3)
	v_lshl_add_u32 v3, v3, 10, 0x2000
	v_lshlrev_b32_e32 v5, 7, v32
	s_delay_alu instid0(VALU_DEP_2) | instskip(NEXT) | instid1(VALU_DEP_1)
	v_and_or_b32 v3, 0x8000, v4, v3
	v_and_or_b32 v3, 0x380, v5, v3
	s_delay_alu instid0(VALU_DEP_1)
	v_cvt_f32_f16_e32 v23, v3
.LBB371_1201:                           ;   in Loop: Header=BB371_11 Depth=1
	s_or_b32 exec_lo, exec_lo, s19
.LBB371_1202:                           ;   in Loop: Header=BB371_11 Depth=1
	s_delay_alu instid0(SALU_CYCLE_1)
	s_or_b32 exec_lo, exec_lo, s18
.LBB371_1203:                           ;   in Loop: Header=BB371_11 Depth=1
	s_delay_alu instid0(SALU_CYCLE_1) | instskip(SKIP_3) | instid1(VALU_DEP_2)
	s_or_b32 exec_lo, exec_lo, s17
	v_lshrrev_b16 v3, 8, v8
	v_dual_mov_b32 v96, 0 :: v_dual_mov_b32 v97, 0
	s_mov_b32 s17, exec_lo
	v_cmpx_ne_u16_e32 0, v3
	s_cbranch_execz .LBB371_1211
; %bb.1204:                             ;   in Loop: Header=BB371_11 Depth=1
	v_bfrev_b32_e32 v97, 1
	s_mov_b32 s18, exec_lo
	v_cmpx_ne_u16_e32 0x80, v3
	s_cbranch_execz .LBB371_1210
; %bb.1205:                             ;   in Loop: Header=BB371_11 Depth=1
	v_and_b32_e32 v3, 0xffff, v3
	v_mov_b32_e32 v97, 0x7fc02000
	s_mov_b32 s19, exec_lo
	s_delay_alu instid0(VALU_DEP_2) | instskip(NEXT) | instid1(VALU_DEP_1)
	v_and_b32_e32 v5, 0x7f, v3
	v_cmpx_ne_u32_e32 0x7f, v5
	s_cbranch_execz .LBB371_1209
; %bb.1206:                             ;   in Loop: Header=BB371_11 Depth=1
	v_and_b32_e32 v8, 7, v3
	v_mov_b32_e32 v33, v9
	v_lshrrev_b32_e32 v4, 3, v5
	s_mov_b32 s20, exec_lo
	s_delay_alu instid0(VALU_DEP_3)
	v_mov_b32_e32 v32, v8
	v_cmpx_gt_u32_e32 8, v5
; %bb.1207:                             ;   in Loop: Header=BB371_11 Depth=1
	v_clz_i32_u32_e32 v4, v8
	s_delay_alu instid0(VALU_DEP_1) | instskip(NEXT) | instid1(VALU_DEP_1)
	v_min_u32_e32 v4, 32, v4
	v_subrev_nc_u32_e32 v5, 28, v4
	v_sub_nc_u32_e32 v4, 29, v4
	s_delay_alu instid0(VALU_DEP_2) | instskip(NEXT) | instid1(VALU_DEP_1)
	v_lshlrev_b64 v[14:15], v5, v[8:9]
	v_and_b32_e32 v32, 7, v14
; %bb.1208:                             ;   in Loop: Header=BB371_11 Depth=1
	s_or_b32 exec_lo, exec_lo, s20
	v_lshlrev_b32_e32 v3, 8, v3
	v_lshl_add_u32 v4, v4, 10, 0x2000
	s_delay_alu instid0(VALU_DEP_1) | instskip(NEXT) | instid1(VALU_DEP_1)
	v_and_or_b32 v3, 0x8000, v3, v4
	v_lshl_or_b32 v3, v32, 7, v3
	s_delay_alu instid0(VALU_DEP_1)
	v_cvt_f32_f16_e32 v97, v3
.LBB371_1209:                           ;   in Loop: Header=BB371_11 Depth=1
	s_or_b32 exec_lo, exec_lo, s19
.LBB371_1210:                           ;   in Loop: Header=BB371_11 Depth=1
	s_delay_alu instid0(SALU_CYCLE_1)
	s_or_b32 exec_lo, exec_lo, s18
.LBB371_1211:                           ;   in Loop: Header=BB371_11 Depth=1
	s_delay_alu instid0(SALU_CYCLE_1) | instskip(SKIP_2) | instid1(VALU_DEP_1)
	s_or_b32 exec_lo, exec_lo, s17
	v_lshrrev_b32_e32 v3, 16, v31
	s_mov_b32 s17, exec_lo
	v_and_b32_e32 v4, 0xff, v3
	s_delay_alu instid0(VALU_DEP_1)
	v_cmpx_ne_u16_e32 0, v4
	s_cbranch_execz .LBB371_1219
; %bb.1212:                             ;   in Loop: Header=BB371_11 Depth=1
	v_bfrev_b32_e32 v96, 1
	s_mov_b32 s18, exec_lo
	v_cmpx_ne_u16_e32 0x80, v4
	s_cbranch_execz .LBB371_1218
; %bb.1213:                             ;   in Loop: Header=BB371_11 Depth=1
	v_bfe_u32 v5, v31, 16, 7
	v_mov_b32_e32 v96, 0x7fc02000
	s_mov_b32 s19, exec_lo
	s_delay_alu instid0(VALU_DEP_2)
	v_cmpx_ne_u32_e32 0x7f, v5
	s_cbranch_execz .LBB371_1217
; %bb.1214:                             ;   in Loop: Header=BB371_11 Depth=1
	v_and_b32_e32 v8, 7, v3
	v_mov_b32_e32 v33, v9
	v_lshrrev_b32_e32 v4, 3, v5
	s_mov_b32 s20, exec_lo
	s_delay_alu instid0(VALU_DEP_3)
	v_mov_b32_e32 v32, v8
	v_cmpx_gt_u32_e32 8, v5
; %bb.1215:                             ;   in Loop: Header=BB371_11 Depth=1
	v_clz_i32_u32_e32 v4, v8
	s_delay_alu instid0(VALU_DEP_1) | instskip(NEXT) | instid1(VALU_DEP_1)
	v_min_u32_e32 v4, 32, v4
	v_subrev_nc_u32_e32 v5, 28, v4
	v_sub_nc_u32_e32 v4, 29, v4
	s_delay_alu instid0(VALU_DEP_2) | instskip(NEXT) | instid1(VALU_DEP_1)
	v_lshlrev_b64 v[14:15], v5, v[8:9]
	v_and_b32_e32 v32, 7, v14
; %bb.1216:                             ;   in Loop: Header=BB371_11 Depth=1
	s_or_b32 exec_lo, exec_lo, s20
	v_lshlrev_b32_e32 v3, 8, v3
	v_lshl_add_u32 v4, v4, 10, 0x2000
	s_delay_alu instid0(VALU_DEP_1) | instskip(NEXT) | instid1(VALU_DEP_1)
	v_and_or_b32 v3, 0x8000, v3, v4
	v_lshl_or_b32 v3, v32, 7, v3
	s_delay_alu instid0(VALU_DEP_1)
	v_cvt_f32_f16_e32 v96, v3
.LBB371_1217:                           ;   in Loop: Header=BB371_11 Depth=1
	s_or_b32 exec_lo, exec_lo, s19
.LBB371_1218:                           ;   in Loop: Header=BB371_11 Depth=1
	s_delay_alu instid0(SALU_CYCLE_1)
	s_or_b32 exec_lo, exec_lo, s18
.LBB371_1219:                           ;   in Loop: Header=BB371_11 Depth=1
	s_delay_alu instid0(SALU_CYCLE_1)
	s_or_b32 exec_lo, exec_lo, s17
	v_mov_b32_e32 v14, 0
	v_mov_b32_e32 v98, 0
	s_mov_b32 s17, exec_lo
	v_cmpx_lt_u64_e64 s[2:3], v[30:31]
	s_cbranch_execz .LBB371_1227
; %bb.1220:                             ;   in Loop: Header=BB371_11 Depth=1
	v_lshrrev_b32_e32 v3, 24, v31
	v_bfrev_b32_e32 v98, 1
	s_mov_b32 s18, exec_lo
	s_delay_alu instid0(VALU_DEP_2)
	v_cmpx_ne_u32_e32 0x80, v3
	s_cbranch_execz .LBB371_1226
; %bb.1221:                             ;   in Loop: Header=BB371_11 Depth=1
	v_and_b32_e32 v5, 0x7f, v3
	v_mov_b32_e32 v98, 0x7fc02000
	s_mov_b32 s19, exec_lo
	s_delay_alu instid0(VALU_DEP_2)
	v_cmpx_ne_u32_e32 0x7f, v5
	s_cbranch_execz .LBB371_1225
; %bb.1222:                             ;   in Loop: Header=BB371_11 Depth=1
	v_and_b32_e32 v8, 7, v3
	v_mov_b32_e32 v31, v9
	v_lshrrev_b32_e32 v4, 3, v5
	s_mov_b32 s20, exec_lo
	s_delay_alu instid0(VALU_DEP_3)
	v_mov_b32_e32 v30, v8
	v_cmpx_gt_u32_e32 8, v5
; %bb.1223:                             ;   in Loop: Header=BB371_11 Depth=1
	v_clz_i32_u32_e32 v4, v8
	s_delay_alu instid0(VALU_DEP_1) | instskip(NEXT) | instid1(VALU_DEP_1)
	v_min_u32_e32 v4, 32, v4
	v_subrev_nc_u32_e32 v5, 28, v4
	v_sub_nc_u32_e32 v4, 29, v4
	s_delay_alu instid0(VALU_DEP_2) | instskip(NEXT) | instid1(VALU_DEP_1)
	v_lshlrev_b64 v[15:16], v5, v[8:9]
	v_and_b32_e32 v30, 7, v15
; %bb.1224:                             ;   in Loop: Header=BB371_11 Depth=1
	s_or_b32 exec_lo, exec_lo, s20
	v_lshlrev_b32_e32 v3, 8, v3
	v_lshl_add_u32 v4, v4, 10, 0x2000
	s_delay_alu instid0(VALU_DEP_1) | instskip(NEXT) | instid1(VALU_DEP_1)
	v_and_or_b32 v3, 0x8000, v3, v4
	v_lshl_or_b32 v3, v30, 7, v3
	s_delay_alu instid0(VALU_DEP_1)
	v_cvt_f32_f16_e32 v98, v3
.LBB371_1225:                           ;   in Loop: Header=BB371_11 Depth=1
	s_or_b32 exec_lo, exec_lo, s19
.LBB371_1226:                           ;   in Loop: Header=BB371_11 Depth=1
	s_delay_alu instid0(SALU_CYCLE_1)
	s_or_b32 exec_lo, exec_lo, s18
.LBB371_1227:                           ;   in Loop: Header=BB371_11 Depth=1
	s_delay_alu instid0(SALU_CYCLE_1) | instskip(SKIP_4) | instid1(VALU_DEP_1)
	s_or_b32 exec_lo, exec_lo, s17
	flat_load_b64 v[30:31], v[28:29] offset:520
	s_mov_b32 s17, exec_lo
	s_waitcnt vmcnt(0) lgkmcnt(0)
	v_and_b32_e32 v3, 0xff, v30
	v_cmpx_ne_u16_e32 0, v3
	s_cbranch_execz .LBB371_1235
; %bb.1228:                             ;   in Loop: Header=BB371_11 Depth=1
	v_bfrev_b32_e32 v14, 1
	s_mov_b32 s18, exec_lo
	v_cmpx_ne_u16_e32 0x80, v3
	s_cbranch_execz .LBB371_1234
; %bb.1229:                             ;   in Loop: Header=BB371_11 Depth=1
	v_and_b32_e32 v4, 0x7f, v30
	v_mov_b32_e32 v14, 0x7fc02000
	s_mov_b32 s19, exec_lo
	s_delay_alu instid0(VALU_DEP_2)
	v_cmpx_ne_u32_e32 0x7f, v4
	s_cbranch_execz .LBB371_1233
; %bb.1230:                             ;   in Loop: Header=BB371_11 Depth=1
	v_lshrrev_b32_e32 v3, 3, v4
	v_dual_mov_b32 v33, v31 :: v_dual_mov_b32 v32, v30
	s_mov_b32 s20, exec_lo
	v_cmpx_gt_u32_e32 8, v4
; %bb.1231:                             ;   in Loop: Header=BB371_11 Depth=1
	v_and_b32_e32 v3, 7, v30
	s_delay_alu instid0(VALU_DEP_1) | instskip(NEXT) | instid1(VALU_DEP_1)
	v_clz_i32_u32_e32 v3, v3
	v_min_u32_e32 v3, 32, v3
	s_delay_alu instid0(VALU_DEP_1) | instskip(SKIP_1) | instid1(VALU_DEP_2)
	v_subrev_nc_u32_e32 v4, 28, v3
	v_sub_nc_u32_e32 v3, 29, v3
	v_lshlrev_b64 v[32:33], v4, v[30:31]
; %bb.1232:                             ;   in Loop: Header=BB371_11 Depth=1
	s_or_b32 exec_lo, exec_lo, s20
	v_lshlrev_b32_e32 v4, 8, v30
	s_delay_alu instid0(VALU_DEP_3) | instskip(NEXT) | instid1(VALU_DEP_3)
	v_lshl_add_u32 v3, v3, 10, 0x2000
	v_lshlrev_b32_e32 v5, 7, v32
	s_delay_alu instid0(VALU_DEP_2) | instskip(NEXT) | instid1(VALU_DEP_1)
	v_and_or_b32 v3, 0x8000, v4, v3
	v_and_or_b32 v3, 0x380, v5, v3
	s_delay_alu instid0(VALU_DEP_1)
	v_cvt_f32_f16_e32 v14, v3
.LBB371_1233:                           ;   in Loop: Header=BB371_11 Depth=1
	s_or_b32 exec_lo, exec_lo, s19
.LBB371_1234:                           ;   in Loop: Header=BB371_11 Depth=1
	s_delay_alu instid0(SALU_CYCLE_1)
	s_or_b32 exec_lo, exec_lo, s18
.LBB371_1235:                           ;   in Loop: Header=BB371_11 Depth=1
	s_delay_alu instid0(SALU_CYCLE_1) | instskip(SKIP_4) | instid1(VALU_DEP_3)
	s_or_b32 exec_lo, exec_lo, s17
	v_lshrrev_b16 v4, 8, v30
	v_mov_b32_e32 v3, 0
	v_mov_b32_e32 v15, 0
	s_mov_b32 s17, exec_lo
	v_cmpx_ne_u16_e32 0, v4
	s_cbranch_execz .LBB371_1243
; %bb.1236:                             ;   in Loop: Header=BB371_11 Depth=1
	v_bfrev_b32_e32 v15, 1
	s_mov_b32 s18, exec_lo
	v_cmpx_ne_u16_e32 0x80, v4
	s_cbranch_execz .LBB371_1242
; %bb.1237:                             ;   in Loop: Header=BB371_11 Depth=1
	v_and_b32_e32 v4, 0xffff, v4
	v_mov_b32_e32 v15, 0x7fc02000
	s_mov_b32 s19, exec_lo
	s_delay_alu instid0(VALU_DEP_2) | instskip(NEXT) | instid1(VALU_DEP_1)
	v_and_b32_e32 v12, 0x7f, v4
	v_cmpx_ne_u32_e32 0x7f, v12
	s_cbranch_execz .LBB371_1241
; %bb.1238:                             ;   in Loop: Header=BB371_11 Depth=1
	v_and_b32_e32 v8, 7, v4
	v_mov_b32_e32 v33, v9
	v_lshrrev_b32_e32 v5, 3, v12
	s_mov_b32 s20, exec_lo
	s_delay_alu instid0(VALU_DEP_3)
	v_mov_b32_e32 v32, v8
	v_cmpx_gt_u32_e32 8, v12
; %bb.1239:                             ;   in Loop: Header=BB371_11 Depth=1
	v_clz_i32_u32_e32 v5, v8
	s_delay_alu instid0(VALU_DEP_1) | instskip(NEXT) | instid1(VALU_DEP_1)
	v_min_u32_e32 v5, 32, v5
	v_subrev_nc_u32_e32 v12, 28, v5
	v_sub_nc_u32_e32 v5, 29, v5
	s_delay_alu instid0(VALU_DEP_2) | instskip(NEXT) | instid1(VALU_DEP_1)
	v_lshlrev_b64 v[15:16], v12, v[8:9]
	v_and_b32_e32 v32, 7, v15
; %bb.1240:                             ;   in Loop: Header=BB371_11 Depth=1
	s_or_b32 exec_lo, exec_lo, s20
	v_lshlrev_b32_e32 v4, 8, v4
	v_lshl_add_u32 v5, v5, 10, 0x2000
	s_delay_alu instid0(VALU_DEP_1) | instskip(NEXT) | instid1(VALU_DEP_1)
	v_and_or_b32 v4, 0x8000, v4, v5
	v_lshl_or_b32 v4, v32, 7, v4
	s_delay_alu instid0(VALU_DEP_1)
	v_cvt_f32_f16_e32 v15, v4
.LBB371_1241:                           ;   in Loop: Header=BB371_11 Depth=1
	s_or_b32 exec_lo, exec_lo, s19
.LBB371_1242:                           ;   in Loop: Header=BB371_11 Depth=1
	s_delay_alu instid0(SALU_CYCLE_1)
	s_or_b32 exec_lo, exec_lo, s18
.LBB371_1243:                           ;   in Loop: Header=BB371_11 Depth=1
	s_delay_alu instid0(SALU_CYCLE_1) | instskip(SKIP_2) | instid1(VALU_DEP_1)
	s_or_b32 exec_lo, exec_lo, s17
	v_lshrrev_b32_e32 v4, 16, v30
	s_mov_b32 s17, exec_lo
	v_and_b32_e32 v5, 0xff, v4
	s_delay_alu instid0(VALU_DEP_1)
	v_cmpx_ne_u16_e32 0, v5
	s_cbranch_execz .LBB371_1251
; %bb.1244:                             ;   in Loop: Header=BB371_11 Depth=1
	v_bfrev_b32_e32 v3, 1
	s_mov_b32 s18, exec_lo
	v_cmpx_ne_u16_e32 0x80, v5
	s_cbranch_execz .LBB371_1250
; %bb.1245:                             ;   in Loop: Header=BB371_11 Depth=1
	v_bfe_u32 v5, v30, 16, 7
	v_mov_b32_e32 v3, 0x7fc02000
	s_mov_b32 s19, exec_lo
	s_delay_alu instid0(VALU_DEP_2)
	v_cmpx_ne_u32_e32 0x7f, v5
	s_cbranch_execz .LBB371_1249
; %bb.1246:                             ;   in Loop: Header=BB371_11 Depth=1
	v_and_b32_e32 v8, 7, v4
	v_mov_b32_e32 v33, v9
	v_lshrrev_b32_e32 v3, 3, v5
	s_mov_b32 s20, exec_lo
	s_delay_alu instid0(VALU_DEP_3)
	v_mov_b32_e32 v32, v8
	v_cmpx_gt_u32_e32 8, v5
; %bb.1247:                             ;   in Loop: Header=BB371_11 Depth=1
	v_clz_i32_u32_e32 v3, v8
	s_delay_alu instid0(VALU_DEP_1) | instskip(NEXT) | instid1(VALU_DEP_1)
	v_min_u32_e32 v3, 32, v3
	v_subrev_nc_u32_e32 v5, 28, v3
	v_sub_nc_u32_e32 v3, 29, v3
	s_delay_alu instid0(VALU_DEP_2) | instskip(NEXT) | instid1(VALU_DEP_1)
	v_lshlrev_b64 v[16:17], v5, v[8:9]
	v_and_b32_e32 v32, 7, v16
; %bb.1248:                             ;   in Loop: Header=BB371_11 Depth=1
	s_or_b32 exec_lo, exec_lo, s20
	v_lshlrev_b32_e32 v4, 8, v4
	v_lshl_add_u32 v3, v3, 10, 0x2000
	s_delay_alu instid0(VALU_DEP_1) | instskip(NEXT) | instid1(VALU_DEP_1)
	v_and_or_b32 v3, 0x8000, v4, v3
	v_lshl_or_b32 v3, v32, 7, v3
	s_delay_alu instid0(VALU_DEP_1)
	v_cvt_f32_f16_e32 v3, v3
.LBB371_1249:                           ;   in Loop: Header=BB371_11 Depth=1
	s_or_b32 exec_lo, exec_lo, s19
.LBB371_1250:                           ;   in Loop: Header=BB371_11 Depth=1
	s_delay_alu instid0(SALU_CYCLE_1)
	s_or_b32 exec_lo, exec_lo, s18
.LBB371_1251:                           ;   in Loop: Header=BB371_11 Depth=1
	s_delay_alu instid0(SALU_CYCLE_1)
	s_or_b32 exec_lo, exec_lo, s17
	v_dual_mov_b32 v16, 0 :: v_dual_mov_b32 v17, 0
	s_mov_b32 s17, exec_lo
	v_cmpx_lt_u32_e32 0xffffff, v30
	s_cbranch_execz .LBB371_1259
; %bb.1252:                             ;   in Loop: Header=BB371_11 Depth=1
	v_lshrrev_b32_e32 v4, 24, v30
	v_bfrev_b32_e32 v17, 1
	s_mov_b32 s18, exec_lo
	s_delay_alu instid0(VALU_DEP_2)
	v_cmpx_ne_u32_e32 0x80, v4
	s_cbranch_execz .LBB371_1258
; %bb.1253:                             ;   in Loop: Header=BB371_11 Depth=1
	v_and_b32_e32 v12, 0x7f, v4
	v_mov_b32_e32 v17, 0x7fc02000
	s_mov_b32 s19, exec_lo
	s_delay_alu instid0(VALU_DEP_2)
	v_cmpx_ne_u32_e32 0x7f, v12
	s_cbranch_execz .LBB371_1257
; %bb.1254:                             ;   in Loop: Header=BB371_11 Depth=1
	v_and_b32_e32 v8, 7, v4
	v_mov_b32_e32 v33, v9
	v_lshrrev_b32_e32 v5, 3, v12
	s_mov_b32 s20, exec_lo
	s_delay_alu instid0(VALU_DEP_3)
	v_mov_b32_e32 v32, v8
	v_cmpx_gt_u32_e32 8, v12
; %bb.1255:                             ;   in Loop: Header=BB371_11 Depth=1
	v_clz_i32_u32_e32 v5, v8
	s_delay_alu instid0(VALU_DEP_1) | instskip(NEXT) | instid1(VALU_DEP_1)
	v_min_u32_e32 v5, 32, v5
	v_subrev_nc_u32_e32 v12, 28, v5
	v_sub_nc_u32_e32 v5, 29, v5
	s_delay_alu instid0(VALU_DEP_2) | instskip(NEXT) | instid1(VALU_DEP_1)
	v_lshlrev_b64 v[24:25], v12, v[8:9]
	v_and_b32_e32 v32, 7, v24
; %bb.1256:                             ;   in Loop: Header=BB371_11 Depth=1
	s_or_b32 exec_lo, exec_lo, s20
	v_lshlrev_b32_e32 v4, 8, v4
	v_lshl_add_u32 v5, v5, 10, 0x2000
	s_delay_alu instid0(VALU_DEP_1) | instskip(NEXT) | instid1(VALU_DEP_1)
	v_and_or_b32 v4, 0x8000, v4, v5
	v_lshl_or_b32 v4, v32, 7, v4
	s_delay_alu instid0(VALU_DEP_1)
	v_cvt_f32_f16_e32 v17, v4
.LBB371_1257:                           ;   in Loop: Header=BB371_11 Depth=1
	s_or_b32 exec_lo, exec_lo, s19
.LBB371_1258:                           ;   in Loop: Header=BB371_11 Depth=1
	s_delay_alu instid0(SALU_CYCLE_1)
	s_or_b32 exec_lo, exec_lo, s18
.LBB371_1259:                           ;   in Loop: Header=BB371_11 Depth=1
	s_delay_alu instid0(SALU_CYCLE_1) | instskip(SKIP_3) | instid1(VALU_DEP_2)
	s_or_b32 exec_lo, exec_lo, s17
	v_and_b32_e32 v4, 0xff, v31
	v_mov_b32_e32 v8, v31
	s_mov_b32 s17, exec_lo
	v_cmpx_ne_u16_e32 0, v4
	s_cbranch_execz .LBB371_1267
; %bb.1260:                             ;   in Loop: Header=BB371_11 Depth=1
	v_bfrev_b32_e32 v16, 1
	s_mov_b32 s18, exec_lo
	v_cmpx_ne_u16_e32 0x80, v4
	s_cbranch_execz .LBB371_1266
; %bb.1261:                             ;   in Loop: Header=BB371_11 Depth=1
	v_and_b32_e32 v5, 0x7f, v31
	v_mov_b32_e32 v16, 0x7fc02000
	s_mov_b32 s19, exec_lo
	s_delay_alu instid0(VALU_DEP_2)
	v_cmpx_ne_u32_e32 0x7f, v5
	s_cbranch_execz .LBB371_1265
; %bb.1262:                             ;   in Loop: Header=BB371_11 Depth=1
	v_dual_mov_b32 v33, v9 :: v_dual_mov_b32 v32, v8
	v_lshrrev_b32_e32 v4, 3, v5
	s_mov_b32 s20, exec_lo
	v_cmpx_gt_u32_e32 8, v5
; %bb.1263:                             ;   in Loop: Header=BB371_11 Depth=1
	v_and_b32_e32 v4, 7, v31
	s_delay_alu instid0(VALU_DEP_1) | instskip(NEXT) | instid1(VALU_DEP_1)
	v_clz_i32_u32_e32 v4, v4
	v_min_u32_e32 v4, 32, v4
	s_delay_alu instid0(VALU_DEP_1) | instskip(SKIP_1) | instid1(VALU_DEP_2)
	v_subrev_nc_u32_e32 v5, 28, v4
	v_sub_nc_u32_e32 v4, 29, v4
	v_lshlrev_b64 v[32:33], v5, v[8:9]
; %bb.1264:                             ;   in Loop: Header=BB371_11 Depth=1
	s_or_b32 exec_lo, exec_lo, s20
	v_lshlrev_b32_e32 v5, 8, v31
	s_delay_alu instid0(VALU_DEP_3) | instskip(NEXT) | instid1(VALU_DEP_3)
	v_lshl_add_u32 v4, v4, 10, 0x2000
	v_lshlrev_b32_e32 v12, 7, v32
	s_delay_alu instid0(VALU_DEP_2) | instskip(NEXT) | instid1(VALU_DEP_1)
	v_and_or_b32 v4, 0x8000, v5, v4
	v_and_or_b32 v4, 0x380, v12, v4
	s_delay_alu instid0(VALU_DEP_1)
	v_cvt_f32_f16_e32 v16, v4
.LBB371_1265:                           ;   in Loop: Header=BB371_11 Depth=1
	s_or_b32 exec_lo, exec_lo, s19
.LBB371_1266:                           ;   in Loop: Header=BB371_11 Depth=1
	s_delay_alu instid0(SALU_CYCLE_1)
	s_or_b32 exec_lo, exec_lo, s18
.LBB371_1267:                           ;   in Loop: Header=BB371_11 Depth=1
	s_delay_alu instid0(SALU_CYCLE_1) | instskip(SKIP_3) | instid1(VALU_DEP_2)
	s_or_b32 exec_lo, exec_lo, s17
	v_lshrrev_b16 v4, 8, v8
	v_dual_mov_b32 v24, 0 :: v_dual_mov_b32 v25, 0
	s_mov_b32 s17, exec_lo
	v_cmpx_ne_u16_e32 0, v4
	s_cbranch_execz .LBB371_1275
; %bb.1268:                             ;   in Loop: Header=BB371_11 Depth=1
	v_bfrev_b32_e32 v25, 1
	s_mov_b32 s18, exec_lo
	v_cmpx_ne_u16_e32 0x80, v4
	s_cbranch_execz .LBB371_1274
; %bb.1269:                             ;   in Loop: Header=BB371_11 Depth=1
	v_and_b32_e32 v4, 0xffff, v4
	v_mov_b32_e32 v25, 0x7fc02000
	s_mov_b32 s19, exec_lo
	s_delay_alu instid0(VALU_DEP_2) | instskip(NEXT) | instid1(VALU_DEP_1)
	v_and_b32_e32 v12, 0x7f, v4
	v_cmpx_ne_u32_e32 0x7f, v12
	s_cbranch_execz .LBB371_1273
; %bb.1270:                             ;   in Loop: Header=BB371_11 Depth=1
	v_and_b32_e32 v8, 7, v4
	v_mov_b32_e32 v33, v9
	v_lshrrev_b32_e32 v5, 3, v12
	s_mov_b32 s20, exec_lo
	s_delay_alu instid0(VALU_DEP_3)
	v_mov_b32_e32 v32, v8
	v_cmpx_gt_u32_e32 8, v12
; %bb.1271:                             ;   in Loop: Header=BB371_11 Depth=1
	v_clz_i32_u32_e32 v5, v8
	s_delay_alu instid0(VALU_DEP_1) | instskip(NEXT) | instid1(VALU_DEP_1)
	v_min_u32_e32 v5, 32, v5
	v_subrev_nc_u32_e32 v12, 28, v5
	v_sub_nc_u32_e32 v5, 29, v5
	s_delay_alu instid0(VALU_DEP_2) | instskip(NEXT) | instid1(VALU_DEP_1)
	v_lshlrev_b64 v[32:33], v12, v[8:9]
	v_and_b32_e32 v32, 7, v32
; %bb.1272:                             ;   in Loop: Header=BB371_11 Depth=1
	s_or_b32 exec_lo, exec_lo, s20
	v_lshlrev_b32_e32 v4, 8, v4
	v_lshl_add_u32 v5, v5, 10, 0x2000
	s_delay_alu instid0(VALU_DEP_1) | instskip(NEXT) | instid1(VALU_DEP_1)
	v_and_or_b32 v4, 0x8000, v4, v5
	v_lshl_or_b32 v4, v32, 7, v4
	s_delay_alu instid0(VALU_DEP_1)
	v_cvt_f32_f16_e32 v25, v4
.LBB371_1273:                           ;   in Loop: Header=BB371_11 Depth=1
	s_or_b32 exec_lo, exec_lo, s19
.LBB371_1274:                           ;   in Loop: Header=BB371_11 Depth=1
	s_delay_alu instid0(SALU_CYCLE_1)
	s_or_b32 exec_lo, exec_lo, s18
.LBB371_1275:                           ;   in Loop: Header=BB371_11 Depth=1
	s_delay_alu instid0(SALU_CYCLE_1) | instskip(SKIP_2) | instid1(VALU_DEP_1)
	s_or_b32 exec_lo, exec_lo, s17
	v_lshrrev_b32_e32 v4, 16, v31
	s_mov_b32 s17, exec_lo
	v_and_b32_e32 v5, 0xff, v4
	s_delay_alu instid0(VALU_DEP_1)
	v_cmpx_ne_u16_e32 0, v5
	s_cbranch_execz .LBB371_1283
; %bb.1276:                             ;   in Loop: Header=BB371_11 Depth=1
	v_bfrev_b32_e32 v24, 1
	s_mov_b32 s18, exec_lo
	v_cmpx_ne_u16_e32 0x80, v5
	s_cbranch_execz .LBB371_1282
; %bb.1277:                             ;   in Loop: Header=BB371_11 Depth=1
	v_bfe_u32 v12, v31, 16, 7
	v_mov_b32_e32 v24, 0x7fc02000
	s_mov_b32 s19, exec_lo
	s_delay_alu instid0(VALU_DEP_2)
	v_cmpx_ne_u32_e32 0x7f, v12
	s_cbranch_execz .LBB371_1281
; %bb.1278:                             ;   in Loop: Header=BB371_11 Depth=1
	v_and_b32_e32 v8, 7, v4
	v_mov_b32_e32 v33, v9
	v_lshrrev_b32_e32 v5, 3, v12
	s_mov_b32 s20, exec_lo
	s_delay_alu instid0(VALU_DEP_3)
	v_mov_b32_e32 v32, v8
	v_cmpx_gt_u32_e32 8, v12
; %bb.1279:                             ;   in Loop: Header=BB371_11 Depth=1
	v_clz_i32_u32_e32 v5, v8
	s_delay_alu instid0(VALU_DEP_1) | instskip(NEXT) | instid1(VALU_DEP_1)
	v_min_u32_e32 v5, 32, v5
	v_subrev_nc_u32_e32 v12, 28, v5
	v_sub_nc_u32_e32 v5, 29, v5
	s_delay_alu instid0(VALU_DEP_2) | instskip(NEXT) | instid1(VALU_DEP_1)
	v_lshlrev_b64 v[32:33], v12, v[8:9]
	v_and_b32_e32 v32, 7, v32
; %bb.1280:                             ;   in Loop: Header=BB371_11 Depth=1
	s_or_b32 exec_lo, exec_lo, s20
	v_lshlrev_b32_e32 v4, 8, v4
	v_lshl_add_u32 v5, v5, 10, 0x2000
	s_delay_alu instid0(VALU_DEP_1) | instskip(NEXT) | instid1(VALU_DEP_1)
	v_and_or_b32 v4, 0x8000, v4, v5
	v_lshl_or_b32 v4, v32, 7, v4
	s_delay_alu instid0(VALU_DEP_1)
	v_cvt_f32_f16_e32 v24, v4
.LBB371_1281:                           ;   in Loop: Header=BB371_11 Depth=1
	s_or_b32 exec_lo, exec_lo, s19
.LBB371_1282:                           ;   in Loop: Header=BB371_11 Depth=1
	s_delay_alu instid0(SALU_CYCLE_1)
	s_or_b32 exec_lo, exec_lo, s18
.LBB371_1283:                           ;   in Loop: Header=BB371_11 Depth=1
	s_delay_alu instid0(SALU_CYCLE_1)
	s_or_b32 exec_lo, exec_lo, s17
	v_mov_b32_e32 v4, 0
	v_mov_b32_e32 v82, 0
	s_mov_b32 s17, exec_lo
	v_cmpx_lt_u64_e64 s[2:3], v[30:31]
	s_cbranch_execz .LBB371_1291
; %bb.1284:                             ;   in Loop: Header=BB371_11 Depth=1
	v_lshrrev_b32_e32 v5, 24, v31
	v_bfrev_b32_e32 v82, 1
	s_mov_b32 s18, exec_lo
	s_delay_alu instid0(VALU_DEP_2)
	v_cmpx_ne_u32_e32 0x80, v5
	s_cbranch_execz .LBB371_1290
; %bb.1285:                             ;   in Loop: Header=BB371_11 Depth=1
	v_and_b32_e32 v32, 0x7f, v5
	v_mov_b32_e32 v82, 0x7fc02000
	s_mov_b32 s19, exec_lo
	s_delay_alu instid0(VALU_DEP_2)
	v_cmpx_ne_u32_e32 0x7f, v32
	s_cbranch_execz .LBB371_1289
; %bb.1286:                             ;   in Loop: Header=BB371_11 Depth=1
	v_and_b32_e32 v8, 7, v5
	v_mov_b32_e32 v31, v9
	v_lshrrev_b32_e32 v12, 3, v32
	s_mov_b32 s20, exec_lo
	s_delay_alu instid0(VALU_DEP_3)
	v_mov_b32_e32 v30, v8
	v_cmpx_gt_u32_e32 8, v32
; %bb.1287:                             ;   in Loop: Header=BB371_11 Depth=1
	v_clz_i32_u32_e32 v12, v8
	s_delay_alu instid0(VALU_DEP_1) | instskip(NEXT) | instid1(VALU_DEP_1)
	v_min_u32_e32 v12, 32, v12
	v_subrev_nc_u32_e32 v30, 28, v12
	v_sub_nc_u32_e32 v12, 29, v12
	s_delay_alu instid0(VALU_DEP_2) | instskip(NEXT) | instid1(VALU_DEP_1)
	v_lshlrev_b64 v[30:31], v30, v[8:9]
	v_and_b32_e32 v30, 7, v30
; %bb.1288:                             ;   in Loop: Header=BB371_11 Depth=1
	s_or_b32 exec_lo, exec_lo, s20
	v_lshlrev_b32_e32 v5, 8, v5
	v_lshl_add_u32 v8, v12, 10, 0x2000
	s_delay_alu instid0(VALU_DEP_1) | instskip(NEXT) | instid1(VALU_DEP_1)
	v_and_or_b32 v5, 0x8000, v5, v8
	v_lshl_or_b32 v5, v30, 7, v5
	s_delay_alu instid0(VALU_DEP_1)
	v_cvt_f32_f16_e32 v82, v5
.LBB371_1289:                           ;   in Loop: Header=BB371_11 Depth=1
	s_or_b32 exec_lo, exec_lo, s19
.LBB371_1290:                           ;   in Loop: Header=BB371_11 Depth=1
	s_delay_alu instid0(SALU_CYCLE_1)
	s_or_b32 exec_lo, exec_lo, s18
.LBB371_1291:                           ;   in Loop: Header=BB371_11 Depth=1
	s_delay_alu instid0(SALU_CYCLE_1) | instskip(SKIP_4) | instid1(VALU_DEP_1)
	s_or_b32 exec_lo, exec_lo, s17
	flat_load_b64 v[30:31], v[28:29] offset:1024
	s_mov_b32 s17, exec_lo
	s_waitcnt vmcnt(0) lgkmcnt(0)
	v_and_b32_e32 v5, 0xff, v30
	v_cmpx_ne_u16_e32 0, v5
	s_cbranch_execz .LBB371_1299
; %bb.1292:                             ;   in Loop: Header=BB371_11 Depth=1
	v_bfrev_b32_e32 v4, 1
	s_mov_b32 s18, exec_lo
	v_cmpx_ne_u16_e32 0x80, v5
	s_cbranch_execz .LBB371_1298
; %bb.1293:                             ;   in Loop: Header=BB371_11 Depth=1
	v_and_b32_e32 v5, 0x7f, v30
	v_mov_b32_e32 v4, 0x7fc02000
	s_mov_b32 s19, exec_lo
	s_delay_alu instid0(VALU_DEP_2)
	v_cmpx_ne_u32_e32 0x7f, v5
	s_cbranch_execz .LBB371_1297
; %bb.1294:                             ;   in Loop: Header=BB371_11 Depth=1
	v_lshrrev_b32_e32 v4, 3, v5
	v_dual_mov_b32 v33, v31 :: v_dual_mov_b32 v32, v30
	s_mov_b32 s20, exec_lo
	v_cmpx_gt_u32_e32 8, v5
; %bb.1295:                             ;   in Loop: Header=BB371_11 Depth=1
	v_and_b32_e32 v4, 7, v30
	s_delay_alu instid0(VALU_DEP_1) | instskip(NEXT) | instid1(VALU_DEP_1)
	v_clz_i32_u32_e32 v4, v4
	v_min_u32_e32 v4, 32, v4
	s_delay_alu instid0(VALU_DEP_1) | instskip(SKIP_1) | instid1(VALU_DEP_2)
	v_subrev_nc_u32_e32 v5, 28, v4
	v_sub_nc_u32_e32 v4, 29, v4
	v_lshlrev_b64 v[32:33], v5, v[30:31]
; %bb.1296:                             ;   in Loop: Header=BB371_11 Depth=1
	s_or_b32 exec_lo, exec_lo, s20
	v_lshlrev_b32_e32 v5, 8, v30
	s_delay_alu instid0(VALU_DEP_3) | instskip(NEXT) | instid1(VALU_DEP_3)
	v_lshl_add_u32 v4, v4, 10, 0x2000
	v_lshlrev_b32_e32 v8, 7, v32
	s_delay_alu instid0(VALU_DEP_2) | instskip(NEXT) | instid1(VALU_DEP_1)
	v_and_or_b32 v4, 0x8000, v5, v4
	v_and_or_b32 v4, 0x380, v8, v4
	s_delay_alu instid0(VALU_DEP_1)
	v_cvt_f32_f16_e32 v4, v4
.LBB371_1297:                           ;   in Loop: Header=BB371_11 Depth=1
	s_or_b32 exec_lo, exec_lo, s19
.LBB371_1298:                           ;   in Loop: Header=BB371_11 Depth=1
	s_delay_alu instid0(SALU_CYCLE_1)
	s_or_b32 exec_lo, exec_lo, s18
.LBB371_1299:                           ;   in Loop: Header=BB371_11 Depth=1
	s_delay_alu instid0(SALU_CYCLE_1) | instskip(SKIP_3) | instid1(VALU_DEP_2)
	s_or_b32 exec_lo, exec_lo, s17
	v_lshrrev_b16 v8, 8, v30
	v_dual_mov_b32 v5, 0 :: v_dual_mov_b32 v34, 0
	s_mov_b32 s17, exec_lo
	v_cmpx_ne_u16_e32 0, v8
	s_cbranch_execz .LBB371_1307
; %bb.1300:                             ;   in Loop: Header=BB371_11 Depth=1
	v_bfrev_b32_e32 v34, 1
	s_mov_b32 s18, exec_lo
	v_cmpx_ne_u16_e32 0x80, v8
	s_cbranch_execz .LBB371_1306
; %bb.1301:                             ;   in Loop: Header=BB371_11 Depth=1
	v_and_b32_e32 v12, 0xffff, v8
	v_mov_b32_e32 v34, 0x7fc02000
	s_mov_b32 s19, exec_lo
	s_delay_alu instid0(VALU_DEP_2) | instskip(NEXT) | instid1(VALU_DEP_1)
	v_and_b32_e32 v36, 0x7f, v12
	v_cmpx_ne_u32_e32 0x7f, v36
	s_cbranch_execz .LBB371_1305
; %bb.1302:                             ;   in Loop: Header=BB371_11 Depth=1
	v_and_b32_e32 v8, 7, v12
	v_mov_b32_e32 v33, v9
	v_lshrrev_b32_e32 v33, 3, v36
	s_mov_b32 s20, exec_lo
	s_delay_alu instid0(VALU_DEP_3)
	v_mov_b32_e32 v32, v8
	v_cmpx_gt_u32_e32 8, v36
; %bb.1303:                             ;   in Loop: Header=BB371_11 Depth=1
	v_clz_i32_u32_e32 v32, v8
	s_delay_alu instid0(VALU_DEP_1) | instskip(NEXT) | instid1(VALU_DEP_1)
	v_min_u32_e32 v34, 32, v32
	v_subrev_nc_u32_e32 v32, 28, v34
	s_delay_alu instid0(VALU_DEP_1) | instskip(SKIP_1) | instid1(VALU_DEP_2)
	v_lshlrev_b64 v[32:33], v32, v[8:9]
	v_sub_nc_u32_e32 v33, 29, v34
	v_and_b32_e32 v32, 7, v32
; %bb.1304:                             ;   in Loop: Header=BB371_11 Depth=1
	s_or_b32 exec_lo, exec_lo, s20
	v_lshlrev_b32_e32 v8, 8, v12
	s_delay_alu instid0(VALU_DEP_3) | instskip(NEXT) | instid1(VALU_DEP_1)
	v_lshl_add_u32 v12, v33, 10, 0x2000
	v_and_or_b32 v8, 0x8000, v8, v12
	s_delay_alu instid0(VALU_DEP_1) | instskip(NEXT) | instid1(VALU_DEP_1)
	v_lshl_or_b32 v8, v32, 7, v8
	v_cvt_f32_f16_e32 v34, v8
.LBB371_1305:                           ;   in Loop: Header=BB371_11 Depth=1
	s_or_b32 exec_lo, exec_lo, s19
.LBB371_1306:                           ;   in Loop: Header=BB371_11 Depth=1
	s_delay_alu instid0(SALU_CYCLE_1)
	s_or_b32 exec_lo, exec_lo, s18
.LBB371_1307:                           ;   in Loop: Header=BB371_11 Depth=1
	s_delay_alu instid0(SALU_CYCLE_1) | instskip(SKIP_2) | instid1(VALU_DEP_1)
	s_or_b32 exec_lo, exec_lo, s17
	v_lshrrev_b32_e32 v12, 16, v30
	s_mov_b32 s17, exec_lo
	v_and_b32_e32 v8, 0xff, v12
	s_delay_alu instid0(VALU_DEP_1)
	v_cmpx_ne_u16_e32 0, v8
	s_cbranch_execz .LBB371_1315
; %bb.1308:                             ;   in Loop: Header=BB371_11 Depth=1
	v_bfrev_b32_e32 v5, 1
	s_mov_b32 s18, exec_lo
	v_cmpx_ne_u16_e32 0x80, v8
	s_cbranch_execz .LBB371_1314
; %bb.1309:                             ;   in Loop: Header=BB371_11 Depth=1
	v_bfe_u32 v36, v30, 16, 7
	v_mov_b32_e32 v5, 0x7fc02000
	s_mov_b32 s19, exec_lo
	s_delay_alu instid0(VALU_DEP_2)
	v_cmpx_ne_u32_e32 0x7f, v36
	s_cbranch_execz .LBB371_1313
; %bb.1310:                             ;   in Loop: Header=BB371_11 Depth=1
	v_and_b32_e32 v8, 7, v12
	v_mov_b32_e32 v33, v9
	v_lshrrev_b32_e32 v5, 3, v36
	s_mov_b32 s20, exec_lo
	s_delay_alu instid0(VALU_DEP_3)
	v_mov_b32_e32 v32, v8
	v_cmpx_gt_u32_e32 8, v36
; %bb.1311:                             ;   in Loop: Header=BB371_11 Depth=1
	v_clz_i32_u32_e32 v5, v8
	s_delay_alu instid0(VALU_DEP_1) | instskip(NEXT) | instid1(VALU_DEP_1)
	v_min_u32_e32 v5, 32, v5
	v_subrev_nc_u32_e32 v32, 28, v5
	v_sub_nc_u32_e32 v5, 29, v5
	s_delay_alu instid0(VALU_DEP_2) | instskip(NEXT) | instid1(VALU_DEP_1)
	v_lshlrev_b64 v[32:33], v32, v[8:9]
	v_and_b32_e32 v32, 7, v32
; %bb.1312:                             ;   in Loop: Header=BB371_11 Depth=1
	s_or_b32 exec_lo, exec_lo, s20
	v_lshlrev_b32_e32 v8, 8, v12
	v_lshl_add_u32 v5, v5, 10, 0x2000
	s_delay_alu instid0(VALU_DEP_1) | instskip(NEXT) | instid1(VALU_DEP_1)
	v_and_or_b32 v5, 0x8000, v8, v5
	v_lshl_or_b32 v5, v32, 7, v5
	s_delay_alu instid0(VALU_DEP_1)
	v_cvt_f32_f16_e32 v5, v5
.LBB371_1313:                           ;   in Loop: Header=BB371_11 Depth=1
	s_or_b32 exec_lo, exec_lo, s19
.LBB371_1314:                           ;   in Loop: Header=BB371_11 Depth=1
	s_delay_alu instid0(SALU_CYCLE_1)
	s_or_b32 exec_lo, exec_lo, s18
.LBB371_1315:                           ;   in Loop: Header=BB371_11 Depth=1
	s_delay_alu instid0(SALU_CYCLE_1)
	s_or_b32 exec_lo, exec_lo, s17
	v_dual_mov_b32 v39, 0 :: v_dual_mov_b32 v12, 0
	s_mov_b32 s17, exec_lo
	v_cmpx_lt_u32_e32 0xffffff, v30
	s_cbranch_execz .LBB371_1323
; %bb.1316:                             ;   in Loop: Header=BB371_11 Depth=1
	v_lshrrev_b32_e32 v36, 24, v30
	v_bfrev_b32_e32 v12, 1
	s_mov_b32 s18, exec_lo
	s_delay_alu instid0(VALU_DEP_2)
	v_cmpx_ne_u32_e32 0x80, v36
	s_cbranch_execz .LBB371_1322
; %bb.1317:                             ;   in Loop: Header=BB371_11 Depth=1
	v_and_b32_e32 v38, 0x7f, v36
	v_mov_b32_e32 v12, 0x7fc02000
	s_mov_b32 s19, exec_lo
	s_delay_alu instid0(VALU_DEP_2)
	v_cmpx_ne_u32_e32 0x7f, v38
	s_cbranch_execz .LBB371_1321
; %bb.1318:                             ;   in Loop: Header=BB371_11 Depth=1
	v_and_b32_e32 v8, 7, v36
	v_mov_b32_e32 v33, v9
	v_lshrrev_b32_e32 v12, 3, v38
	s_mov_b32 s20, exec_lo
	s_delay_alu instid0(VALU_DEP_3)
	v_mov_b32_e32 v32, v8
	v_cmpx_gt_u32_e32 8, v38
; %bb.1319:                             ;   in Loop: Header=BB371_11 Depth=1
	v_clz_i32_u32_e32 v12, v8
	s_delay_alu instid0(VALU_DEP_1) | instskip(NEXT) | instid1(VALU_DEP_1)
	v_min_u32_e32 v12, 32, v12
	v_subrev_nc_u32_e32 v32, 28, v12
	v_sub_nc_u32_e32 v12, 29, v12
	s_delay_alu instid0(VALU_DEP_2) | instskip(NEXT) | instid1(VALU_DEP_1)
	v_lshlrev_b64 v[32:33], v32, v[8:9]
	v_and_b32_e32 v32, 7, v32
; %bb.1320:                             ;   in Loop: Header=BB371_11 Depth=1
	s_or_b32 exec_lo, exec_lo, s20
	v_lshlrev_b32_e32 v8, 8, v36
	v_lshl_add_u32 v12, v12, 10, 0x2000
	s_delay_alu instid0(VALU_DEP_1) | instskip(NEXT) | instid1(VALU_DEP_1)
	v_and_or_b32 v8, 0x8000, v8, v12
	v_lshl_or_b32 v8, v32, 7, v8
	s_delay_alu instid0(VALU_DEP_1)
	v_cvt_f32_f16_e32 v12, v8
.LBB371_1321:                           ;   in Loop: Header=BB371_11 Depth=1
	s_or_b32 exec_lo, exec_lo, s19
.LBB371_1322:                           ;   in Loop: Header=BB371_11 Depth=1
	s_delay_alu instid0(SALU_CYCLE_1)
	s_or_b32 exec_lo, exec_lo, s18
.LBB371_1323:                           ;   in Loop: Header=BB371_11 Depth=1
	s_delay_alu instid0(SALU_CYCLE_1) | instskip(SKIP_3) | instid1(VALU_DEP_2)
	s_or_b32 exec_lo, exec_lo, s17
	v_and_b32_e32 v32, 0xff, v31
	v_mov_b32_e32 v8, v31
	s_mov_b32 s17, exec_lo
	v_cmpx_ne_u16_e32 0, v32
	s_cbranch_execz .LBB371_1331
; %bb.1324:                             ;   in Loop: Header=BB371_11 Depth=1
	v_bfrev_b32_e32 v39, 1
	s_mov_b32 s18, exec_lo
	v_cmpx_ne_u16_e32 0x80, v32
	s_cbranch_execz .LBB371_1330
; %bb.1325:                             ;   in Loop: Header=BB371_11 Depth=1
	v_and_b32_e32 v36, 0x7f, v31
	v_mov_b32_e32 v39, 0x7fc02000
	s_mov_b32 s19, exec_lo
	s_delay_alu instid0(VALU_DEP_2)
	v_cmpx_ne_u32_e32 0x7f, v36
	s_cbranch_execz .LBB371_1329
; %bb.1326:                             ;   in Loop: Header=BB371_11 Depth=1
	v_dual_mov_b32 v33, v9 :: v_dual_mov_b32 v32, v8
	v_lshrrev_b32_e32 v33, 3, v36
	s_mov_b32 s20, exec_lo
	v_cmpx_gt_u32_e32 8, v36
; %bb.1327:                             ;   in Loop: Header=BB371_11 Depth=1
	v_and_b32_e32 v32, 7, v31
	s_delay_alu instid0(VALU_DEP_1) | instskip(NEXT) | instid1(VALU_DEP_1)
	v_clz_i32_u32_e32 v32, v32
	v_min_u32_e32 v36, 32, v32
	s_delay_alu instid0(VALU_DEP_1) | instskip(NEXT) | instid1(VALU_DEP_1)
	v_subrev_nc_u32_e32 v32, 28, v36
	v_lshlrev_b64 v[32:33], v32, v[8:9]
	v_sub_nc_u32_e32 v33, 29, v36
; %bb.1328:                             ;   in Loop: Header=BB371_11 Depth=1
	s_or_b32 exec_lo, exec_lo, s20
	v_lshlrev_b32_e32 v36, 8, v31
	s_delay_alu instid0(VALU_DEP_2) | instskip(NEXT) | instid1(VALU_DEP_4)
	v_lshl_add_u32 v33, v33, 10, 0x2000
	v_lshlrev_b32_e32 v32, 7, v32
	s_delay_alu instid0(VALU_DEP_2) | instskip(NEXT) | instid1(VALU_DEP_1)
	v_and_or_b32 v33, 0x8000, v36, v33
	v_and_or_b32 v32, 0x380, v32, v33
	s_delay_alu instid0(VALU_DEP_1)
	v_cvt_f32_f16_e32 v39, v32
.LBB371_1329:                           ;   in Loop: Header=BB371_11 Depth=1
	s_or_b32 exec_lo, exec_lo, s19
.LBB371_1330:                           ;   in Loop: Header=BB371_11 Depth=1
	s_delay_alu instid0(SALU_CYCLE_1)
	s_or_b32 exec_lo, exec_lo, s18
.LBB371_1331:                           ;   in Loop: Header=BB371_11 Depth=1
	s_delay_alu instid0(SALU_CYCLE_1) | instskip(SKIP_4) | instid1(VALU_DEP_3)
	s_or_b32 exec_lo, exec_lo, s17
	v_lshrrev_b16 v8, 8, v8
	v_mov_b32_e32 v52, 0
	v_mov_b32_e32 v100, 0
	s_mov_b32 s17, exec_lo
	v_cmpx_ne_u16_e32 0, v8
	s_cbranch_execz .LBB371_1339
; %bb.1332:                             ;   in Loop: Header=BB371_11 Depth=1
	v_bfrev_b32_e32 v100, 1
	s_mov_b32 s18, exec_lo
	v_cmpx_ne_u16_e32 0x80, v8
	s_cbranch_execz .LBB371_1338
; %bb.1333:                             ;   in Loop: Header=BB371_11 Depth=1
	v_and_b32_e32 v36, 0xffff, v8
	v_mov_b32_e32 v100, 0x7fc02000
	s_mov_b32 s19, exec_lo
	s_delay_alu instid0(VALU_DEP_2) | instskip(NEXT) | instid1(VALU_DEP_1)
	v_and_b32_e32 v38, 0x7f, v36
	v_cmpx_ne_u32_e32 0x7f, v38
	s_cbranch_execz .LBB371_1337
; %bb.1334:                             ;   in Loop: Header=BB371_11 Depth=1
	v_and_b32_e32 v8, 7, v36
	v_mov_b32_e32 v33, v9
	v_lshrrev_b32_e32 v33, 3, v38
	s_mov_b32 s20, exec_lo
	s_delay_alu instid0(VALU_DEP_3)
	v_mov_b32_e32 v32, v8
	v_cmpx_gt_u32_e32 8, v38
; %bb.1335:                             ;   in Loop: Header=BB371_11 Depth=1
	v_clz_i32_u32_e32 v32, v8
	s_delay_alu instid0(VALU_DEP_1) | instskip(NEXT) | instid1(VALU_DEP_1)
	v_min_u32_e32 v38, 32, v32
	v_subrev_nc_u32_e32 v32, 28, v38
	s_delay_alu instid0(VALU_DEP_1) | instskip(SKIP_1) | instid1(VALU_DEP_2)
	v_lshlrev_b64 v[32:33], v32, v[8:9]
	v_sub_nc_u32_e32 v33, 29, v38
	v_and_b32_e32 v32, 7, v32
; %bb.1336:                             ;   in Loop: Header=BB371_11 Depth=1
	s_or_b32 exec_lo, exec_lo, s20
	v_lshlrev_b32_e32 v8, 8, v36
	s_delay_alu instid0(VALU_DEP_3) | instskip(NEXT) | instid1(VALU_DEP_1)
	v_lshl_add_u32 v33, v33, 10, 0x2000
	v_and_or_b32 v8, 0x8000, v8, v33
	s_delay_alu instid0(VALU_DEP_1) | instskip(NEXT) | instid1(VALU_DEP_1)
	v_lshl_or_b32 v8, v32, 7, v8
	v_cvt_f32_f16_e32 v100, v8
.LBB371_1337:                           ;   in Loop: Header=BB371_11 Depth=1
	s_or_b32 exec_lo, exec_lo, s19
.LBB371_1338:                           ;   in Loop: Header=BB371_11 Depth=1
	s_delay_alu instid0(SALU_CYCLE_1)
	s_or_b32 exec_lo, exec_lo, s18
.LBB371_1339:                           ;   in Loop: Header=BB371_11 Depth=1
	s_delay_alu instid0(SALU_CYCLE_1) | instskip(SKIP_2) | instid1(VALU_DEP_1)
	s_or_b32 exec_lo, exec_lo, s17
	v_lshrrev_b32_e32 v36, 16, v31
	s_mov_b32 s17, exec_lo
	v_and_b32_e32 v8, 0xff, v36
	s_delay_alu instid0(VALU_DEP_1)
	v_cmpx_ne_u16_e32 0, v8
	s_cbranch_execz .LBB371_1347
; %bb.1340:                             ;   in Loop: Header=BB371_11 Depth=1
	v_bfrev_b32_e32 v52, 1
	s_mov_b32 s18, exec_lo
	v_cmpx_ne_u16_e32 0x80, v8
	s_cbranch_execz .LBB371_1346
; %bb.1341:                             ;   in Loop: Header=BB371_11 Depth=1
	v_bfe_u32 v38, v31, 16, 7
	v_mov_b32_e32 v52, 0x7fc02000
	s_mov_b32 s19, exec_lo
	s_delay_alu instid0(VALU_DEP_2)
	v_cmpx_ne_u32_e32 0x7f, v38
	s_cbranch_execz .LBB371_1345
; %bb.1342:                             ;   in Loop: Header=BB371_11 Depth=1
	v_and_b32_e32 v8, 7, v36
	v_mov_b32_e32 v33, v9
	v_lshrrev_b32_e32 v33, 3, v38
	s_mov_b32 s20, exec_lo
	s_delay_alu instid0(VALU_DEP_3)
	v_mov_b32_e32 v32, v8
	v_cmpx_gt_u32_e32 8, v38
; %bb.1343:                             ;   in Loop: Header=BB371_11 Depth=1
	v_clz_i32_u32_e32 v32, v8
	s_delay_alu instid0(VALU_DEP_1) | instskip(NEXT) | instid1(VALU_DEP_1)
	v_min_u32_e32 v38, 32, v32
	v_subrev_nc_u32_e32 v32, 28, v38
	s_delay_alu instid0(VALU_DEP_1) | instskip(SKIP_1) | instid1(VALU_DEP_2)
	v_lshlrev_b64 v[32:33], v32, v[8:9]
	v_sub_nc_u32_e32 v33, 29, v38
	v_and_b32_e32 v32, 7, v32
; %bb.1344:                             ;   in Loop: Header=BB371_11 Depth=1
	s_or_b32 exec_lo, exec_lo, s20
	v_lshlrev_b32_e32 v8, 8, v36
	s_delay_alu instid0(VALU_DEP_3) | instskip(NEXT) | instid1(VALU_DEP_1)
	v_lshl_add_u32 v33, v33, 10, 0x2000
	v_and_or_b32 v8, 0x8000, v8, v33
	s_delay_alu instid0(VALU_DEP_1) | instskip(NEXT) | instid1(VALU_DEP_1)
	v_lshl_or_b32 v8, v32, 7, v8
	v_cvt_f32_f16_e32 v52, v8
.LBB371_1345:                           ;   in Loop: Header=BB371_11 Depth=1
	s_or_b32 exec_lo, exec_lo, s19
.LBB371_1346:                           ;   in Loop: Header=BB371_11 Depth=1
	s_delay_alu instid0(SALU_CYCLE_1)
	s_or_b32 exec_lo, exec_lo, s18
.LBB371_1347:                           ;   in Loop: Header=BB371_11 Depth=1
	s_delay_alu instid0(SALU_CYCLE_1)
	s_or_b32 exec_lo, exec_lo, s17
	v_dual_mov_b32 v36, 0 :: v_dual_mov_b32 v101, 0
	s_mov_b32 s17, exec_lo
	v_cmpx_lt_u64_e64 s[2:3], v[30:31]
	s_cbranch_execz .LBB371_1355
; %bb.1348:                             ;   in Loop: Header=BB371_11 Depth=1
	v_lshrrev_b32_e32 v32, 24, v31
	v_bfrev_b32_e32 v101, 1
	s_mov_b32 s18, exec_lo
	s_delay_alu instid0(VALU_DEP_2)
	v_cmpx_ne_u32_e32 0x80, v32
	s_cbranch_execz .LBB371_1354
; %bb.1349:                             ;   in Loop: Header=BB371_11 Depth=1
	v_and_b32_e32 v33, 0x7f, v32
	v_mov_b32_e32 v101, 0x7fc02000
	s_mov_b32 s19, exec_lo
	s_delay_alu instid0(VALU_DEP_2)
	v_cmpx_ne_u32_e32 0x7f, v33
	s_cbranch_execz .LBB371_1353
; %bb.1350:                             ;   in Loop: Header=BB371_11 Depth=1
	v_and_b32_e32 v8, 7, v32
	v_mov_b32_e32 v31, v9
	v_lshrrev_b32_e32 v31, 3, v33
	s_mov_b32 s20, exec_lo
	s_delay_alu instid0(VALU_DEP_3)
	v_mov_b32_e32 v30, v8
	v_cmpx_gt_u32_e32 8, v33
; %bb.1351:                             ;   in Loop: Header=BB371_11 Depth=1
	v_clz_i32_u32_e32 v30, v8
	s_delay_alu instid0(VALU_DEP_1) | instskip(NEXT) | instid1(VALU_DEP_1)
	v_min_u32_e32 v33, 32, v30
	v_subrev_nc_u32_e32 v30, 28, v33
	s_delay_alu instid0(VALU_DEP_1) | instskip(SKIP_1) | instid1(VALU_DEP_2)
	v_lshlrev_b64 v[30:31], v30, v[8:9]
	v_sub_nc_u32_e32 v31, 29, v33
	v_and_b32_e32 v30, 7, v30
; %bb.1352:                             ;   in Loop: Header=BB371_11 Depth=1
	s_or_b32 exec_lo, exec_lo, s20
	v_lshlrev_b32_e32 v8, 8, v32
	s_delay_alu instid0(VALU_DEP_3) | instskip(NEXT) | instid1(VALU_DEP_1)
	v_lshl_add_u32 v31, v31, 10, 0x2000
	v_and_or_b32 v8, 0x8000, v8, v31
	s_delay_alu instid0(VALU_DEP_1) | instskip(NEXT) | instid1(VALU_DEP_1)
	v_lshl_or_b32 v8, v30, 7, v8
	v_cvt_f32_f16_e32 v101, v8
.LBB371_1353:                           ;   in Loop: Header=BB371_11 Depth=1
	s_or_b32 exec_lo, exec_lo, s19
.LBB371_1354:                           ;   in Loop: Header=BB371_11 Depth=1
	s_delay_alu instid0(SALU_CYCLE_1)
	s_or_b32 exec_lo, exec_lo, s18
.LBB371_1355:                           ;   in Loop: Header=BB371_11 Depth=1
	s_delay_alu instid0(SALU_CYCLE_1) | instskip(SKIP_4) | instid1(VALU_DEP_1)
	s_or_b32 exec_lo, exec_lo, s17
	flat_load_b64 v[30:31], v[28:29] offset:1032
	s_mov_b32 s17, exec_lo
	s_waitcnt vmcnt(0) lgkmcnt(0)
	v_and_b32_e32 v8, 0xff, v30
	v_cmpx_ne_u16_e32 0, v8
	s_cbranch_execz .LBB371_1363
; %bb.1356:                             ;   in Loop: Header=BB371_11 Depth=1
	v_bfrev_b32_e32 v36, 1
	s_mov_b32 s18, exec_lo
	v_cmpx_ne_u16_e32 0x80, v8
	s_cbranch_execz .LBB371_1362
; %bb.1357:                             ;   in Loop: Header=BB371_11 Depth=1
	v_and_b32_e32 v32, 0x7f, v30
	v_mov_b32_e32 v36, 0x7fc02000
	s_mov_b32 s19, exec_lo
	s_delay_alu instid0(VALU_DEP_2)
	v_cmpx_ne_u32_e32 0x7f, v32
	s_cbranch_execz .LBB371_1361
; %bb.1358:                             ;   in Loop: Header=BB371_11 Depth=1
	v_lshrrev_b32_e32 v8, 3, v32
	v_cmp_gt_u32_e64 s1, 8, v32
	v_dual_mov_b32 v33, v31 :: v_dual_mov_b32 v32, v30
	s_delay_alu instid0(VALU_DEP_2)
	s_and_saveexec_b32 s20, s1
; %bb.1359:                             ;   in Loop: Header=BB371_11 Depth=1
	v_and_b32_e32 v8, 7, v30
	s_delay_alu instid0(VALU_DEP_1) | instskip(NEXT) | instid1(VALU_DEP_1)
	v_clz_i32_u32_e32 v8, v8
	v_min_u32_e32 v8, 32, v8
	s_delay_alu instid0(VALU_DEP_1) | instskip(SKIP_1) | instid1(VALU_DEP_2)
	v_subrev_nc_u32_e32 v32, 28, v8
	v_sub_nc_u32_e32 v8, 29, v8
	v_lshlrev_b64 v[32:33], v32, v[30:31]
; %bb.1360:                             ;   in Loop: Header=BB371_11 Depth=1
	s_or_b32 exec_lo, exec_lo, s20
	v_lshlrev_b32_e32 v33, 8, v30
	s_delay_alu instid0(VALU_DEP_3) | instskip(NEXT) | instid1(VALU_DEP_3)
	v_lshl_add_u32 v8, v8, 10, 0x2000
	v_lshlrev_b32_e32 v32, 7, v32
	s_delay_alu instid0(VALU_DEP_2) | instskip(NEXT) | instid1(VALU_DEP_1)
	v_and_or_b32 v8, 0x8000, v33, v8
	v_and_or_b32 v8, 0x380, v32, v8
	s_delay_alu instid0(VALU_DEP_1)
	v_cvt_f32_f16_e32 v36, v8
.LBB371_1361:                           ;   in Loop: Header=BB371_11 Depth=1
	s_or_b32 exec_lo, exec_lo, s19
.LBB371_1362:                           ;   in Loop: Header=BB371_11 Depth=1
	s_delay_alu instid0(SALU_CYCLE_1)
	s_or_b32 exec_lo, exec_lo, s18
.LBB371_1363:                           ;   in Loop: Header=BB371_11 Depth=1
	s_delay_alu instid0(SALU_CYCLE_1) | instskip(SKIP_4) | instid1(VALU_DEP_3)
	s_or_b32 exec_lo, exec_lo, s17
	v_lshrrev_b16 v8, 8, v30
	v_mov_b32_e32 v38, 0
	v_mov_b32_e32 v48, 0
	s_mov_b32 s17, exec_lo
	v_cmpx_ne_u16_e32 0, v8
	s_cbranch_execz .LBB371_1371
; %bb.1364:                             ;   in Loop: Header=BB371_11 Depth=1
	v_bfrev_b32_e32 v48, 1
	s_mov_b32 s18, exec_lo
	v_cmpx_ne_u16_e32 0x80, v8
	s_cbranch_execz .LBB371_1370
; %bb.1365:                             ;   in Loop: Header=BB371_11 Depth=1
	v_and_b32_e32 v51, 0xffff, v8
	v_mov_b32_e32 v48, 0x7fc02000
	s_mov_b32 s19, exec_lo
	s_delay_alu instid0(VALU_DEP_2) | instskip(NEXT) | instid1(VALU_DEP_1)
	v_and_b32_e32 v54, 0x7f, v51
	v_cmpx_ne_u32_e32 0x7f, v54
	s_cbranch_execz .LBB371_1369
; %bb.1366:                             ;   in Loop: Header=BB371_11 Depth=1
	v_and_b32_e32 v8, 7, v51
	v_mov_b32_e32 v33, v9
	v_lshrrev_b32_e32 v33, 3, v54
	s_mov_b32 s20, exec_lo
	s_delay_alu instid0(VALU_DEP_3)
	v_mov_b32_e32 v32, v8
	v_cmpx_gt_u32_e32 8, v54
; %bb.1367:                             ;   in Loop: Header=BB371_11 Depth=1
	v_clz_i32_u32_e32 v32, v8
	s_delay_alu instid0(VALU_DEP_1) | instskip(NEXT) | instid1(VALU_DEP_1)
	v_min_u32_e32 v48, 32, v32
	v_subrev_nc_u32_e32 v32, 28, v48
	s_delay_alu instid0(VALU_DEP_1) | instskip(SKIP_1) | instid1(VALU_DEP_2)
	v_lshlrev_b64 v[32:33], v32, v[8:9]
	v_sub_nc_u32_e32 v33, 29, v48
	v_and_b32_e32 v32, 7, v32
; %bb.1368:                             ;   in Loop: Header=BB371_11 Depth=1
	s_or_b32 exec_lo, exec_lo, s20
	v_lshlrev_b32_e32 v8, 8, v51
	s_delay_alu instid0(VALU_DEP_3) | instskip(NEXT) | instid1(VALU_DEP_1)
	v_lshl_add_u32 v33, v33, 10, 0x2000
	v_and_or_b32 v8, 0x8000, v8, v33
	s_delay_alu instid0(VALU_DEP_1) | instskip(NEXT) | instid1(VALU_DEP_1)
	v_lshl_or_b32 v8, v32, 7, v8
	v_cvt_f32_f16_e32 v48, v8
.LBB371_1369:                           ;   in Loop: Header=BB371_11 Depth=1
	s_or_b32 exec_lo, exec_lo, s19
.LBB371_1370:                           ;   in Loop: Header=BB371_11 Depth=1
	s_delay_alu instid0(SALU_CYCLE_1)
	s_or_b32 exec_lo, exec_lo, s18
.LBB371_1371:                           ;   in Loop: Header=BB371_11 Depth=1
	s_delay_alu instid0(SALU_CYCLE_1) | instskip(SKIP_2) | instid1(VALU_DEP_1)
	s_or_b32 exec_lo, exec_lo, s17
	v_lshrrev_b32_e32 v51, 16, v30
	s_mov_b32 s17, exec_lo
	v_and_b32_e32 v8, 0xff, v51
	s_delay_alu instid0(VALU_DEP_1)
	v_cmpx_ne_u16_e32 0, v8
	s_cbranch_execz .LBB371_1379
; %bb.1372:                             ;   in Loop: Header=BB371_11 Depth=1
	v_bfrev_b32_e32 v38, 1
	s_mov_b32 s18, exec_lo
	v_cmpx_ne_u16_e32 0x80, v8
	s_cbranch_execz .LBB371_1378
; %bb.1373:                             ;   in Loop: Header=BB371_11 Depth=1
	v_bfe_u32 v54, v30, 16, 7
	v_mov_b32_e32 v38, 0x7fc02000
	s_mov_b32 s19, exec_lo
	s_delay_alu instid0(VALU_DEP_2)
	v_cmpx_ne_u32_e32 0x7f, v54
	s_cbranch_execz .LBB371_1377
; %bb.1374:                             ;   in Loop: Header=BB371_11 Depth=1
	v_and_b32_e32 v8, 7, v51
	v_mov_b32_e32 v33, v9
	v_lshrrev_b32_e32 v33, 3, v54
	s_mov_b32 s20, exec_lo
	s_delay_alu instid0(VALU_DEP_3)
	v_mov_b32_e32 v32, v8
	v_cmpx_gt_u32_e32 8, v54
; %bb.1375:                             ;   in Loop: Header=BB371_11 Depth=1
	v_clz_i32_u32_e32 v32, v8
	s_delay_alu instid0(VALU_DEP_1) | instskip(NEXT) | instid1(VALU_DEP_1)
	v_min_u32_e32 v38, 32, v32
	v_subrev_nc_u32_e32 v32, 28, v38
	s_delay_alu instid0(VALU_DEP_1) | instskip(SKIP_1) | instid1(VALU_DEP_2)
	v_lshlrev_b64 v[32:33], v32, v[8:9]
	v_sub_nc_u32_e32 v33, 29, v38
	v_and_b32_e32 v32, 7, v32
; %bb.1376:                             ;   in Loop: Header=BB371_11 Depth=1
	s_or_b32 exec_lo, exec_lo, s20
	v_lshlrev_b32_e32 v8, 8, v51
	s_delay_alu instid0(VALU_DEP_3) | instskip(NEXT) | instid1(VALU_DEP_1)
	v_lshl_add_u32 v33, v33, 10, 0x2000
	v_and_or_b32 v8, 0x8000, v8, v33
	s_delay_alu instid0(VALU_DEP_1) | instskip(NEXT) | instid1(VALU_DEP_1)
	v_lshl_or_b32 v8, v32, 7, v8
	v_cvt_f32_f16_e32 v38, v8
.LBB371_1377:                           ;   in Loop: Header=BB371_11 Depth=1
	s_or_b32 exec_lo, exec_lo, s19
.LBB371_1378:                           ;   in Loop: Header=BB371_11 Depth=1
	s_delay_alu instid0(SALU_CYCLE_1)
	s_or_b32 exec_lo, exec_lo, s18
.LBB371_1379:                           ;   in Loop: Header=BB371_11 Depth=1
	s_delay_alu instid0(SALU_CYCLE_1)
	s_or_b32 exec_lo, exec_lo, s17
	v_mov_b32_e32 v102, 0
	v_mov_b32_e32 v168, 0
	s_mov_b32 s17, exec_lo
	v_cmpx_lt_u32_e32 0xffffff, v30
	s_cbranch_execz .LBB371_1387
; %bb.1380:                             ;   in Loop: Header=BB371_11 Depth=1
	v_lshrrev_b32_e32 v51, 24, v30
	v_bfrev_b32_e32 v168, 1
	s_mov_b32 s18, exec_lo
	s_delay_alu instid0(VALU_DEP_2)
	v_cmpx_ne_u32_e32 0x80, v51
	s_cbranch_execz .LBB371_1386
; %bb.1381:                             ;   in Loop: Header=BB371_11 Depth=1
	v_and_b32_e32 v54, 0x7f, v51
	v_mov_b32_e32 v168, 0x7fc02000
	s_mov_b32 s19, exec_lo
	s_delay_alu instid0(VALU_DEP_2)
	v_cmpx_ne_u32_e32 0x7f, v54
	s_cbranch_execz .LBB371_1385
; %bb.1382:                             ;   in Loop: Header=BB371_11 Depth=1
	v_and_b32_e32 v8, 7, v51
	v_mov_b32_e32 v33, v9
	v_lshrrev_b32_e32 v33, 3, v54
	s_mov_b32 s20, exec_lo
	s_delay_alu instid0(VALU_DEP_3)
	v_mov_b32_e32 v32, v8
	v_cmpx_gt_u32_e32 8, v54
; %bb.1383:                             ;   in Loop: Header=BB371_11 Depth=1
	v_clz_i32_u32_e32 v32, v8
	s_delay_alu instid0(VALU_DEP_1) | instskip(NEXT) | instid1(VALU_DEP_1)
	v_min_u32_e32 v54, 32, v32
	v_subrev_nc_u32_e32 v32, 28, v54
	s_delay_alu instid0(VALU_DEP_1) | instskip(SKIP_1) | instid1(VALU_DEP_2)
	v_lshlrev_b64 v[32:33], v32, v[8:9]
	v_sub_nc_u32_e32 v33, 29, v54
	v_and_b32_e32 v32, 7, v32
; %bb.1384:                             ;   in Loop: Header=BB371_11 Depth=1
	s_or_b32 exec_lo, exec_lo, s20
	v_lshlrev_b32_e32 v8, 8, v51
	s_delay_alu instid0(VALU_DEP_3) | instskip(NEXT) | instid1(VALU_DEP_1)
	v_lshl_add_u32 v33, v33, 10, 0x2000
	v_and_or_b32 v8, 0x8000, v8, v33
	s_delay_alu instid0(VALU_DEP_1) | instskip(NEXT) | instid1(VALU_DEP_1)
	v_lshl_or_b32 v8, v32, 7, v8
	v_cvt_f32_f16_e64 v168, v8
.LBB371_1385:                           ;   in Loop: Header=BB371_11 Depth=1
	s_or_b32 exec_lo, exec_lo, s19
.LBB371_1386:                           ;   in Loop: Header=BB371_11 Depth=1
	s_delay_alu instid0(SALU_CYCLE_1)
	s_or_b32 exec_lo, exec_lo, s18
.LBB371_1387:                           ;   in Loop: Header=BB371_11 Depth=1
	s_delay_alu instid0(SALU_CYCLE_1) | instskip(SKIP_3) | instid1(VALU_DEP_2)
	s_or_b32 exec_lo, exec_lo, s17
	v_and_b32_e32 v32, 0xff, v31
	v_mov_b32_e32 v8, v31
	s_mov_b32 s17, exec_lo
	v_cmpx_ne_u16_e32 0, v32
	s_cbranch_execz .LBB371_1395
; %bb.1388:                             ;   in Loop: Header=BB371_11 Depth=1
	v_bfrev_b32_e32 v102, 1
	s_mov_b32 s18, exec_lo
	v_cmpx_ne_u16_e32 0x80, v32
	s_cbranch_execz .LBB371_1394
; %bb.1389:                             ;   in Loop: Header=BB371_11 Depth=1
	v_and_b32_e32 v51, 0x7f, v31
	v_mov_b32_e32 v102, 0x7fc02000
	s_mov_b32 s19, exec_lo
	s_delay_alu instid0(VALU_DEP_2)
	v_cmpx_ne_u32_e32 0x7f, v51
	s_cbranch_execz .LBB371_1393
; %bb.1390:                             ;   in Loop: Header=BB371_11 Depth=1
	v_dual_mov_b32 v33, v9 :: v_dual_mov_b32 v32, v8
	v_lshrrev_b32_e32 v33, 3, v51
	s_mov_b32 s20, exec_lo
	v_cmpx_gt_u32_e32 8, v51
; %bb.1391:                             ;   in Loop: Header=BB371_11 Depth=1
	v_and_b32_e32 v32, 7, v31
	s_delay_alu instid0(VALU_DEP_1) | instskip(NEXT) | instid1(VALU_DEP_1)
	v_clz_i32_u32_e32 v32, v32
	v_min_u32_e32 v51, 32, v32
	s_delay_alu instid0(VALU_DEP_1) | instskip(NEXT) | instid1(VALU_DEP_1)
	v_subrev_nc_u32_e32 v32, 28, v51
	v_lshlrev_b64 v[32:33], v32, v[8:9]
	v_sub_nc_u32_e32 v33, 29, v51
; %bb.1392:                             ;   in Loop: Header=BB371_11 Depth=1
	s_or_b32 exec_lo, exec_lo, s20
	v_lshlrev_b32_e32 v51, 8, v31
	s_delay_alu instid0(VALU_DEP_2) | instskip(NEXT) | instid1(VALU_DEP_4)
	v_lshl_add_u32 v33, v33, 10, 0x2000
	v_lshlrev_b32_e32 v32, 7, v32
	s_delay_alu instid0(VALU_DEP_2) | instskip(NEXT) | instid1(VALU_DEP_1)
	v_and_or_b32 v33, 0x8000, v51, v33
	v_and_or_b32 v32, 0x380, v32, v33
	s_delay_alu instid0(VALU_DEP_1)
	v_cvt_f32_f16_e32 v102, v32
.LBB371_1393:                           ;   in Loop: Header=BB371_11 Depth=1
	s_or_b32 exec_lo, exec_lo, s19
.LBB371_1394:                           ;   in Loop: Header=BB371_11 Depth=1
	s_delay_alu instid0(SALU_CYCLE_1)
	s_or_b32 exec_lo, exec_lo, s18
.LBB371_1395:                           ;   in Loop: Header=BB371_11 Depth=1
	s_delay_alu instid0(SALU_CYCLE_1) | instskip(SKIP_3) | instid1(VALU_DEP_2)
	s_or_b32 exec_lo, exec_lo, s17
	v_lshrrev_b16 v8, 8, v8
	v_dual_mov_b32 v169, 0 :: v_dual_mov_b32 v174, 0
	s_mov_b32 s17, exec_lo
	v_cmpx_ne_u16_e32 0, v8
	s_cbranch_execz .LBB371_1403
; %bb.1396:                             ;   in Loop: Header=BB371_11 Depth=1
	v_bfrev_b32_e32 v174, 1
	s_mov_b32 s18, exec_lo
	v_cmpx_ne_u16_e32 0x80, v8
	s_cbranch_execz .LBB371_1402
; %bb.1397:                             ;   in Loop: Header=BB371_11 Depth=1
	v_and_b32_e32 v51, 0xffff, v8
	v_mov_b32_e32 v174, 0x7fc02000
	s_mov_b32 s19, exec_lo
	s_delay_alu instid0(VALU_DEP_2) | instskip(NEXT) | instid1(VALU_DEP_1)
	v_and_b32_e32 v54, 0x7f, v51
	v_cmpx_ne_u32_e32 0x7f, v54
	s_cbranch_execz .LBB371_1401
; %bb.1398:                             ;   in Loop: Header=BB371_11 Depth=1
	v_and_b32_e32 v8, 7, v51
	v_mov_b32_e32 v33, v9
	v_lshrrev_b32_e32 v33, 3, v54
	s_mov_b32 s20, exec_lo
	s_delay_alu instid0(VALU_DEP_3)
	v_mov_b32_e32 v32, v8
	v_cmpx_gt_u32_e32 8, v54
; %bb.1399:                             ;   in Loop: Header=BB371_11 Depth=1
	v_clz_i32_u32_e32 v32, v8
	s_delay_alu instid0(VALU_DEP_1) | instskip(NEXT) | instid1(VALU_DEP_1)
	v_min_u32_e32 v54, 32, v32
	v_subrev_nc_u32_e32 v32, 28, v54
	s_delay_alu instid0(VALU_DEP_1) | instskip(SKIP_1) | instid1(VALU_DEP_2)
	v_lshlrev_b64 v[32:33], v32, v[8:9]
	v_sub_nc_u32_e32 v33, 29, v54
	v_and_b32_e32 v32, 7, v32
; %bb.1400:                             ;   in Loop: Header=BB371_11 Depth=1
	s_or_b32 exec_lo, exec_lo, s20
	v_lshlrev_b32_e32 v8, 8, v51
	s_delay_alu instid0(VALU_DEP_3) | instskip(NEXT) | instid1(VALU_DEP_1)
	v_lshl_add_u32 v33, v33, 10, 0x2000
	v_and_or_b32 v8, 0x8000, v8, v33
	s_delay_alu instid0(VALU_DEP_1) | instskip(NEXT) | instid1(VALU_DEP_1)
	v_lshl_or_b32 v8, v32, 7, v8
	v_cvt_f32_f16_e64 v174, v8
.LBB371_1401:                           ;   in Loop: Header=BB371_11 Depth=1
	s_or_b32 exec_lo, exec_lo, s19
.LBB371_1402:                           ;   in Loop: Header=BB371_11 Depth=1
	s_delay_alu instid0(SALU_CYCLE_1)
	s_or_b32 exec_lo, exec_lo, s18
.LBB371_1403:                           ;   in Loop: Header=BB371_11 Depth=1
	s_delay_alu instid0(SALU_CYCLE_1) | instskip(SKIP_2) | instid1(VALU_DEP_1)
	s_or_b32 exec_lo, exec_lo, s17
	v_lshrrev_b32_e32 v51, 16, v31
	s_mov_b32 s17, exec_lo
	v_and_b32_e32 v8, 0xff, v51
	s_delay_alu instid0(VALU_DEP_1)
	v_cmpx_ne_u16_e32 0, v8
	s_cbranch_execz .LBB371_1411
; %bb.1404:                             ;   in Loop: Header=BB371_11 Depth=1
	v_bfrev_b32_e32 v169, 1
	s_mov_b32 s18, exec_lo
	v_cmpx_ne_u16_e32 0x80, v8
	s_cbranch_execz .LBB371_1410
; %bb.1405:                             ;   in Loop: Header=BB371_11 Depth=1
	v_bfe_u32 v54, v31, 16, 7
	v_mov_b32_e32 v169, 0x7fc02000
	s_mov_b32 s19, exec_lo
	s_delay_alu instid0(VALU_DEP_2)
	v_cmpx_ne_u32_e32 0x7f, v54
	s_cbranch_execz .LBB371_1409
; %bb.1406:                             ;   in Loop: Header=BB371_11 Depth=1
	v_and_b32_e32 v8, 7, v51
	v_mov_b32_e32 v33, v9
	v_lshrrev_b32_e32 v33, 3, v54
	s_mov_b32 s20, exec_lo
	s_delay_alu instid0(VALU_DEP_3)
	v_mov_b32_e32 v32, v8
	v_cmpx_gt_u32_e32 8, v54
; %bb.1407:                             ;   in Loop: Header=BB371_11 Depth=1
	v_clz_i32_u32_e32 v32, v8
	s_delay_alu instid0(VALU_DEP_1) | instskip(NEXT) | instid1(VALU_DEP_1)
	v_min_u32_e32 v54, 32, v32
	v_subrev_nc_u32_e32 v32, 28, v54
	s_delay_alu instid0(VALU_DEP_1) | instskip(SKIP_1) | instid1(VALU_DEP_2)
	v_lshlrev_b64 v[32:33], v32, v[8:9]
	v_sub_nc_u32_e32 v33, 29, v54
	v_and_b32_e32 v32, 7, v32
; %bb.1408:                             ;   in Loop: Header=BB371_11 Depth=1
	s_or_b32 exec_lo, exec_lo, s20
	v_lshlrev_b32_e32 v8, 8, v51
	s_delay_alu instid0(VALU_DEP_3) | instskip(NEXT) | instid1(VALU_DEP_1)
	v_lshl_add_u32 v33, v33, 10, 0x2000
	v_and_or_b32 v8, 0x8000, v8, v33
	s_delay_alu instid0(VALU_DEP_1) | instskip(NEXT) | instid1(VALU_DEP_1)
	v_lshl_or_b32 v8, v32, 7, v8
	v_cvt_f32_f16_e64 v169, v8
.LBB371_1409:                           ;   in Loop: Header=BB371_11 Depth=1
	s_or_b32 exec_lo, exec_lo, s19
.LBB371_1410:                           ;   in Loop: Header=BB371_11 Depth=1
	s_delay_alu instid0(SALU_CYCLE_1)
	s_or_b32 exec_lo, exec_lo, s18
.LBB371_1411:                           ;   in Loop: Header=BB371_11 Depth=1
	s_delay_alu instid0(SALU_CYCLE_1)
	s_or_b32 exec_lo, exec_lo, s17
	v_mov_b32_e32 v152, 0
	v_mov_b32_e32 v190, 0
	s_mov_b32 s17, exec_lo
	v_cmpx_lt_u64_e64 s[2:3], v[30:31]
	s_cbranch_execz .LBB371_1419
; %bb.1412:                             ;   in Loop: Header=BB371_11 Depth=1
	v_lshrrev_b32_e32 v32, 24, v31
	v_bfrev_b32_e32 v190, 1
	s_mov_b32 s18, exec_lo
	s_delay_alu instid0(VALU_DEP_2)
	v_cmpx_ne_u32_e32 0x80, v32
	s_cbranch_execz .LBB371_1418
; %bb.1413:                             ;   in Loop: Header=BB371_11 Depth=1
	v_and_b32_e32 v33, 0x7f, v32
	v_mov_b32_e32 v190, 0x7fc02000
	s_mov_b32 s19, exec_lo
	s_delay_alu instid0(VALU_DEP_2)
	v_cmpx_ne_u32_e32 0x7f, v33
	s_cbranch_execz .LBB371_1417
; %bb.1414:                             ;   in Loop: Header=BB371_11 Depth=1
	v_and_b32_e32 v8, 7, v32
	v_mov_b32_e32 v31, v9
	v_lshrrev_b32_e32 v31, 3, v33
	s_mov_b32 s20, exec_lo
	s_delay_alu instid0(VALU_DEP_3)
	v_mov_b32_e32 v30, v8
	v_cmpx_gt_u32_e32 8, v33
; %bb.1415:                             ;   in Loop: Header=BB371_11 Depth=1
	v_clz_i32_u32_e32 v30, v8
	s_delay_alu instid0(VALU_DEP_1) | instskip(NEXT) | instid1(VALU_DEP_1)
	v_min_u32_e32 v33, 32, v30
	v_subrev_nc_u32_e32 v30, 28, v33
	s_delay_alu instid0(VALU_DEP_1) | instskip(SKIP_1) | instid1(VALU_DEP_2)
	v_lshlrev_b64 v[30:31], v30, v[8:9]
	v_sub_nc_u32_e32 v31, 29, v33
	v_and_b32_e32 v30, 7, v30
; %bb.1416:                             ;   in Loop: Header=BB371_11 Depth=1
	s_or_b32 exec_lo, exec_lo, s20
	v_lshlrev_b32_e32 v8, 8, v32
	s_delay_alu instid0(VALU_DEP_3) | instskip(NEXT) | instid1(VALU_DEP_1)
	v_lshl_add_u32 v31, v31, 10, 0x2000
	v_and_or_b32 v8, 0x8000, v8, v31
	s_delay_alu instid0(VALU_DEP_1) | instskip(NEXT) | instid1(VALU_DEP_1)
	v_lshl_or_b32 v8, v30, 7, v8
	v_cvt_f32_f16_e64 v190, v8
.LBB371_1417:                           ;   in Loop: Header=BB371_11 Depth=1
	s_or_b32 exec_lo, exec_lo, s19
.LBB371_1418:                           ;   in Loop: Header=BB371_11 Depth=1
	s_delay_alu instid0(SALU_CYCLE_1)
	s_or_b32 exec_lo, exec_lo, s18
.LBB371_1419:                           ;   in Loop: Header=BB371_11 Depth=1
	s_delay_alu instid0(SALU_CYCLE_1) | instskip(SKIP_4) | instid1(VALU_DEP_1)
	s_or_b32 exec_lo, exec_lo, s17
	flat_load_b64 v[30:31], v[28:29] offset:1536
	s_mov_b32 s17, exec_lo
	s_waitcnt vmcnt(0) lgkmcnt(0)
	v_and_b32_e32 v8, 0xff, v30
	v_cmpx_ne_u16_e32 0, v8
	s_cbranch_execz .LBB371_1427
; %bb.1420:                             ;   in Loop: Header=BB371_11 Depth=1
	v_bfrev_b32_e32 v152, 1
	s_mov_b32 s18, exec_lo
	v_cmpx_ne_u16_e32 0x80, v8
	s_cbranch_execz .LBB371_1426
; %bb.1421:                             ;   in Loop: Header=BB371_11 Depth=1
	v_and_b32_e32 v32, 0x7f, v30
	v_mov_b32_e32 v152, 0x7fc02000
	s_mov_b32 s19, exec_lo
	s_delay_alu instid0(VALU_DEP_2)
	v_cmpx_ne_u32_e32 0x7f, v32
	s_cbranch_execz .LBB371_1425
; %bb.1422:                             ;   in Loop: Header=BB371_11 Depth=1
	v_lshrrev_b32_e32 v8, 3, v32
	v_cmp_gt_u32_e64 s1, 8, v32
	v_dual_mov_b32 v33, v31 :: v_dual_mov_b32 v32, v30
	s_delay_alu instid0(VALU_DEP_2)
	s_and_saveexec_b32 s20, s1
; %bb.1423:                             ;   in Loop: Header=BB371_11 Depth=1
	v_and_b32_e32 v8, 7, v30
	s_delay_alu instid0(VALU_DEP_1) | instskip(NEXT) | instid1(VALU_DEP_1)
	v_clz_i32_u32_e32 v8, v8
	v_min_u32_e32 v8, 32, v8
	s_delay_alu instid0(VALU_DEP_1) | instskip(SKIP_1) | instid1(VALU_DEP_2)
	v_subrev_nc_u32_e32 v32, 28, v8
	v_sub_nc_u32_e32 v8, 29, v8
	v_lshlrev_b64 v[32:33], v32, v[30:31]
; %bb.1424:                             ;   in Loop: Header=BB371_11 Depth=1
	s_or_b32 exec_lo, exec_lo, s20
	v_lshlrev_b32_e32 v33, 8, v30
	s_delay_alu instid0(VALU_DEP_3) | instskip(NEXT) | instid1(VALU_DEP_3)
	v_lshl_add_u32 v8, v8, 10, 0x2000
	v_lshlrev_b32_e32 v32, 7, v32
	s_delay_alu instid0(VALU_DEP_2) | instskip(NEXT) | instid1(VALU_DEP_1)
	v_and_or_b32 v8, 0x8000, v33, v8
	v_and_or_b32 v8, 0x380, v32, v8
	s_delay_alu instid0(VALU_DEP_1)
	v_cvt_f32_f16_e64 v152, v8
.LBB371_1425:                           ;   in Loop: Header=BB371_11 Depth=1
	s_or_b32 exec_lo, exec_lo, s19
.LBB371_1426:                           ;   in Loop: Header=BB371_11 Depth=1
	s_delay_alu instid0(SALU_CYCLE_1)
	s_or_b32 exec_lo, exec_lo, s18
.LBB371_1427:                           ;   in Loop: Header=BB371_11 Depth=1
	s_delay_alu instid0(SALU_CYCLE_1) | instskip(SKIP_3) | instid1(VALU_DEP_2)
	s_or_b32 exec_lo, exec_lo, s17
	v_lshrrev_b16 v8, 8, v30
	v_dual_mov_b32 v153, 0 :: v_dual_mov_b32 v158, 0
	s_mov_b32 s17, exec_lo
	v_cmpx_ne_u16_e32 0, v8
	s_cbranch_execz .LBB371_1435
; %bb.1428:                             ;   in Loop: Header=BB371_11 Depth=1
	v_bfrev_b32_e32 v158, 1
	s_mov_b32 s18, exec_lo
	v_cmpx_ne_u16_e32 0x80, v8
	s_cbranch_execz .LBB371_1434
; %bb.1429:                             ;   in Loop: Header=BB371_11 Depth=1
	v_and_b32_e32 v51, 0xffff, v8
	v_mov_b32_e32 v158, 0x7fc02000
	s_mov_b32 s19, exec_lo
	s_delay_alu instid0(VALU_DEP_2) | instskip(NEXT) | instid1(VALU_DEP_1)
	v_and_b32_e32 v54, 0x7f, v51
	v_cmpx_ne_u32_e32 0x7f, v54
	s_cbranch_execz .LBB371_1433
; %bb.1430:                             ;   in Loop: Header=BB371_11 Depth=1
	v_and_b32_e32 v8, 7, v51
	v_mov_b32_e32 v33, v9
	v_lshrrev_b32_e32 v33, 3, v54
	s_mov_b32 s20, exec_lo
	s_delay_alu instid0(VALU_DEP_3)
	v_mov_b32_e32 v32, v8
	v_cmpx_gt_u32_e32 8, v54
; %bb.1431:                             ;   in Loop: Header=BB371_11 Depth=1
	v_clz_i32_u32_e32 v32, v8
	s_delay_alu instid0(VALU_DEP_1) | instskip(NEXT) | instid1(VALU_DEP_1)
	v_min_u32_e32 v54, 32, v32
	v_subrev_nc_u32_e32 v32, 28, v54
	s_delay_alu instid0(VALU_DEP_1) | instskip(SKIP_1) | instid1(VALU_DEP_2)
	v_lshlrev_b64 v[32:33], v32, v[8:9]
	v_sub_nc_u32_e32 v33, 29, v54
	v_and_b32_e32 v32, 7, v32
; %bb.1432:                             ;   in Loop: Header=BB371_11 Depth=1
	s_or_b32 exec_lo, exec_lo, s20
	v_lshlrev_b32_e32 v8, 8, v51
	s_delay_alu instid0(VALU_DEP_3) | instskip(NEXT) | instid1(VALU_DEP_1)
	v_lshl_add_u32 v33, v33, 10, 0x2000
	v_and_or_b32 v8, 0x8000, v8, v33
	s_delay_alu instid0(VALU_DEP_1) | instskip(NEXT) | instid1(VALU_DEP_1)
	v_lshl_or_b32 v8, v32, 7, v8
	v_cvt_f32_f16_e64 v158, v8
.LBB371_1433:                           ;   in Loop: Header=BB371_11 Depth=1
	s_or_b32 exec_lo, exec_lo, s19
.LBB371_1434:                           ;   in Loop: Header=BB371_11 Depth=1
	s_delay_alu instid0(SALU_CYCLE_1)
	s_or_b32 exec_lo, exec_lo, s18
.LBB371_1435:                           ;   in Loop: Header=BB371_11 Depth=1
	s_delay_alu instid0(SALU_CYCLE_1) | instskip(SKIP_2) | instid1(VALU_DEP_1)
	s_or_b32 exec_lo, exec_lo, s17
	v_lshrrev_b32_e32 v51, 16, v30
	s_mov_b32 s17, exec_lo
	v_and_b32_e32 v8, 0xff, v51
	s_delay_alu instid0(VALU_DEP_1)
	v_cmpx_ne_u16_e32 0, v8
	s_cbranch_execz .LBB371_1443
; %bb.1436:                             ;   in Loop: Header=BB371_11 Depth=1
	v_bfrev_b32_e32 v153, 1
	s_mov_b32 s18, exec_lo
	v_cmpx_ne_u16_e32 0x80, v8
	s_cbranch_execz .LBB371_1442
; %bb.1437:                             ;   in Loop: Header=BB371_11 Depth=1
	v_bfe_u32 v54, v30, 16, 7
	v_mov_b32_e32 v153, 0x7fc02000
	s_mov_b32 s19, exec_lo
	s_delay_alu instid0(VALU_DEP_2)
	v_cmpx_ne_u32_e32 0x7f, v54
	s_cbranch_execz .LBB371_1441
; %bb.1438:                             ;   in Loop: Header=BB371_11 Depth=1
	v_and_b32_e32 v8, 7, v51
	v_mov_b32_e32 v33, v9
	v_lshrrev_b32_e32 v33, 3, v54
	s_mov_b32 s20, exec_lo
	s_delay_alu instid0(VALU_DEP_3)
	v_mov_b32_e32 v32, v8
	v_cmpx_gt_u32_e32 8, v54
; %bb.1439:                             ;   in Loop: Header=BB371_11 Depth=1
	v_clz_i32_u32_e32 v32, v8
	s_delay_alu instid0(VALU_DEP_1) | instskip(NEXT) | instid1(VALU_DEP_1)
	v_min_u32_e32 v54, 32, v32
	v_subrev_nc_u32_e32 v32, 28, v54
	s_delay_alu instid0(VALU_DEP_1) | instskip(SKIP_1) | instid1(VALU_DEP_2)
	v_lshlrev_b64 v[32:33], v32, v[8:9]
	v_sub_nc_u32_e32 v33, 29, v54
	v_and_b32_e32 v32, 7, v32
; %bb.1440:                             ;   in Loop: Header=BB371_11 Depth=1
	s_or_b32 exec_lo, exec_lo, s20
	v_lshlrev_b32_e32 v8, 8, v51
	s_delay_alu instid0(VALU_DEP_3) | instskip(NEXT) | instid1(VALU_DEP_1)
	v_lshl_add_u32 v33, v33, 10, 0x2000
	v_and_or_b32 v8, 0x8000, v8, v33
	s_delay_alu instid0(VALU_DEP_1) | instskip(NEXT) | instid1(VALU_DEP_1)
	v_lshl_or_b32 v8, v32, 7, v8
	v_cvt_f32_f16_e64 v153, v8
.LBB371_1441:                           ;   in Loop: Header=BB371_11 Depth=1
	s_or_b32 exec_lo, exec_lo, s19
.LBB371_1442:                           ;   in Loop: Header=BB371_11 Depth=1
	s_delay_alu instid0(SALU_CYCLE_1)
	s_or_b32 exec_lo, exec_lo, s18
.LBB371_1443:                           ;   in Loop: Header=BB371_11 Depth=1
	s_delay_alu instid0(SALU_CYCLE_1)
	s_or_b32 exec_lo, exec_lo, s17
	v_dual_mov_b32 v51, 0 :: v_dual_mov_b32 v54, 0
	s_mov_b32 s17, exec_lo
	v_cmpx_lt_u32_e32 0xffffff, v30
	s_cbranch_execz .LBB371_1451
; %bb.1444:                             ;   in Loop: Header=BB371_11 Depth=1
	v_lshrrev_b32_e32 v55, 24, v30
	v_bfrev_b32_e32 v54, 1
	s_mov_b32 s18, exec_lo
	s_delay_alu instid0(VALU_DEP_2)
	v_cmpx_ne_u32_e32 0x80, v55
	s_cbranch_execz .LBB371_1450
; %bb.1445:                             ;   in Loop: Header=BB371_11 Depth=1
	v_and_b32_e32 v67, 0x7f, v55
	v_mov_b32_e32 v54, 0x7fc02000
	s_mov_b32 s19, exec_lo
	s_delay_alu instid0(VALU_DEP_2)
	v_cmpx_ne_u32_e32 0x7f, v67
	s_cbranch_execz .LBB371_1449
; %bb.1446:                             ;   in Loop: Header=BB371_11 Depth=1
	v_and_b32_e32 v8, 7, v55
	v_mov_b32_e32 v33, v9
	v_lshrrev_b32_e32 v33, 3, v67
	s_mov_b32 s20, exec_lo
	s_delay_alu instid0(VALU_DEP_3)
	v_mov_b32_e32 v32, v8
	v_cmpx_gt_u32_e32 8, v67
; %bb.1447:                             ;   in Loop: Header=BB371_11 Depth=1
	v_clz_i32_u32_e32 v32, v8
	s_delay_alu instid0(VALU_DEP_1) | instskip(NEXT) | instid1(VALU_DEP_1)
	v_min_u32_e32 v54, 32, v32
	v_subrev_nc_u32_e32 v32, 28, v54
	s_delay_alu instid0(VALU_DEP_1) | instskip(SKIP_1) | instid1(VALU_DEP_2)
	v_lshlrev_b64 v[32:33], v32, v[8:9]
	v_sub_nc_u32_e32 v33, 29, v54
	v_and_b32_e32 v32, 7, v32
; %bb.1448:                             ;   in Loop: Header=BB371_11 Depth=1
	s_or_b32 exec_lo, exec_lo, s20
	v_lshlrev_b32_e32 v8, 8, v55
	s_delay_alu instid0(VALU_DEP_3) | instskip(NEXT) | instid1(VALU_DEP_1)
	v_lshl_add_u32 v33, v33, 10, 0x2000
	v_and_or_b32 v8, 0x8000, v8, v33
	s_delay_alu instid0(VALU_DEP_1) | instskip(NEXT) | instid1(VALU_DEP_1)
	v_lshl_or_b32 v8, v32, 7, v8
	v_cvt_f32_f16_e32 v54, v8
.LBB371_1449:                           ;   in Loop: Header=BB371_11 Depth=1
	s_or_b32 exec_lo, exec_lo, s19
.LBB371_1450:                           ;   in Loop: Header=BB371_11 Depth=1
	s_delay_alu instid0(SALU_CYCLE_1)
	s_or_b32 exec_lo, exec_lo, s18
.LBB371_1451:                           ;   in Loop: Header=BB371_11 Depth=1
	s_delay_alu instid0(SALU_CYCLE_1) | instskip(SKIP_3) | instid1(VALU_DEP_2)
	s_or_b32 exec_lo, exec_lo, s17
	v_and_b32_e32 v32, 0xff, v31
	v_mov_b32_e32 v8, v31
	s_mov_b32 s17, exec_lo
	v_cmpx_ne_u16_e32 0, v32
	s_cbranch_execz .LBB371_1459
; %bb.1452:                             ;   in Loop: Header=BB371_11 Depth=1
	v_bfrev_b32_e32 v51, 1
	s_mov_b32 s18, exec_lo
	v_cmpx_ne_u16_e32 0x80, v32
	s_cbranch_execz .LBB371_1458
; %bb.1453:                             ;   in Loop: Header=BB371_11 Depth=1
	v_and_b32_e32 v55, 0x7f, v31
	v_mov_b32_e32 v51, 0x7fc02000
	s_mov_b32 s19, exec_lo
	s_delay_alu instid0(VALU_DEP_2)
	v_cmpx_ne_u32_e32 0x7f, v55
	s_cbranch_execz .LBB371_1457
; %bb.1454:                             ;   in Loop: Header=BB371_11 Depth=1
	v_dual_mov_b32 v33, v9 :: v_dual_mov_b32 v32, v8
	v_lshrrev_b32_e32 v33, 3, v55
	s_mov_b32 s20, exec_lo
	v_cmpx_gt_u32_e32 8, v55
; %bb.1455:                             ;   in Loop: Header=BB371_11 Depth=1
	v_and_b32_e32 v32, 7, v31
	s_delay_alu instid0(VALU_DEP_1) | instskip(NEXT) | instid1(VALU_DEP_1)
	v_clz_i32_u32_e32 v32, v32
	v_min_u32_e32 v51, 32, v32
	s_delay_alu instid0(VALU_DEP_1) | instskip(NEXT) | instid1(VALU_DEP_1)
	v_subrev_nc_u32_e32 v32, 28, v51
	v_lshlrev_b64 v[32:33], v32, v[8:9]
	v_sub_nc_u32_e32 v33, 29, v51
; %bb.1456:                             ;   in Loop: Header=BB371_11 Depth=1
	s_or_b32 exec_lo, exec_lo, s20
	v_lshlrev_b32_e32 v51, 8, v31
	s_delay_alu instid0(VALU_DEP_2) | instskip(NEXT) | instid1(VALU_DEP_4)
	v_lshl_add_u32 v33, v33, 10, 0x2000
	v_lshlrev_b32_e32 v32, 7, v32
	s_delay_alu instid0(VALU_DEP_2) | instskip(NEXT) | instid1(VALU_DEP_1)
	v_and_or_b32 v33, 0x8000, v51, v33
	v_and_or_b32 v32, 0x380, v32, v33
	s_delay_alu instid0(VALU_DEP_1)
	v_cvt_f32_f16_e32 v51, v32
.LBB371_1457:                           ;   in Loop: Header=BB371_11 Depth=1
	s_or_b32 exec_lo, exec_lo, s19
.LBB371_1458:                           ;   in Loop: Header=BB371_11 Depth=1
	s_delay_alu instid0(SALU_CYCLE_1)
	s_or_b32 exec_lo, exec_lo, s18
.LBB371_1459:                           ;   in Loop: Header=BB371_11 Depth=1
	s_delay_alu instid0(SALU_CYCLE_1) | instskip(SKIP_3) | instid1(VALU_DEP_2)
	s_or_b32 exec_lo, exec_lo, s17
	v_lshrrev_b16 v8, 8, v8
	v_dual_mov_b32 v55, 0 :: v_dual_mov_b32 v80, 0
	s_mov_b32 s17, exec_lo
	v_cmpx_ne_u16_e32 0, v8
	s_cbranch_execz .LBB371_1467
; %bb.1460:                             ;   in Loop: Header=BB371_11 Depth=1
	v_bfrev_b32_e32 v80, 1
	s_mov_b32 s18, exec_lo
	v_cmpx_ne_u16_e32 0x80, v8
	s_cbranch_execz .LBB371_1466
; %bb.1461:                             ;   in Loop: Header=BB371_11 Depth=1
	v_and_b32_e32 v67, 0xffff, v8
	v_mov_b32_e32 v80, 0x7fc02000
	s_mov_b32 s19, exec_lo
	s_delay_alu instid0(VALU_DEP_2) | instskip(NEXT) | instid1(VALU_DEP_1)
	v_and_b32_e32 v112, 0x7f, v67
	v_cmpx_ne_u32_e32 0x7f, v112
	s_cbranch_execz .LBB371_1465
; %bb.1462:                             ;   in Loop: Header=BB371_11 Depth=1
	v_and_b32_e32 v8, 7, v67
	v_mov_b32_e32 v33, v9
	v_lshrrev_b32_e32 v33, 3, v112
	s_mov_b32 s20, exec_lo
	s_delay_alu instid0(VALU_DEP_3)
	v_mov_b32_e32 v32, v8
	v_cmpx_gt_u32_e32 8, v112
; %bb.1463:                             ;   in Loop: Header=BB371_11 Depth=1
	v_clz_i32_u32_e32 v32, v8
	s_delay_alu instid0(VALU_DEP_1) | instskip(NEXT) | instid1(VALU_DEP_1)
	v_min_u32_e32 v80, 32, v32
	v_subrev_nc_u32_e32 v32, 28, v80
	s_delay_alu instid0(VALU_DEP_1) | instskip(SKIP_1) | instid1(VALU_DEP_2)
	v_lshlrev_b64 v[32:33], v32, v[8:9]
	v_sub_nc_u32_e32 v33, 29, v80
	v_and_b32_e32 v32, 7, v32
; %bb.1464:                             ;   in Loop: Header=BB371_11 Depth=1
	s_or_b32 exec_lo, exec_lo, s20
	v_lshlrev_b32_e32 v8, 8, v67
	s_delay_alu instid0(VALU_DEP_3) | instskip(NEXT) | instid1(VALU_DEP_1)
	v_lshl_add_u32 v33, v33, 10, 0x2000
	v_and_or_b32 v8, 0x8000, v8, v33
	s_delay_alu instid0(VALU_DEP_1) | instskip(NEXT) | instid1(VALU_DEP_1)
	v_lshl_or_b32 v8, v32, 7, v8
	v_cvt_f32_f16_e32 v80, v8
.LBB371_1465:                           ;   in Loop: Header=BB371_11 Depth=1
	s_or_b32 exec_lo, exec_lo, s19
.LBB371_1466:                           ;   in Loop: Header=BB371_11 Depth=1
	s_delay_alu instid0(SALU_CYCLE_1)
	s_or_b32 exec_lo, exec_lo, s18
.LBB371_1467:                           ;   in Loop: Header=BB371_11 Depth=1
	s_delay_alu instid0(SALU_CYCLE_1) | instskip(SKIP_2) | instid1(VALU_DEP_1)
	s_or_b32 exec_lo, exec_lo, s17
	v_lshrrev_b32_e32 v67, 16, v31
	s_mov_b32 s17, exec_lo
	v_and_b32_e32 v8, 0xff, v67
	s_delay_alu instid0(VALU_DEP_1)
	v_cmpx_ne_u16_e32 0, v8
	s_cbranch_execz .LBB371_1475
; %bb.1468:                             ;   in Loop: Header=BB371_11 Depth=1
	v_bfrev_b32_e32 v55, 1
	s_mov_b32 s18, exec_lo
	v_cmpx_ne_u16_e32 0x80, v8
	s_cbranch_execz .LBB371_1474
; %bb.1469:                             ;   in Loop: Header=BB371_11 Depth=1
	v_bfe_u32 v112, v31, 16, 7
	v_mov_b32_e32 v55, 0x7fc02000
	s_mov_b32 s19, exec_lo
	s_delay_alu instid0(VALU_DEP_2)
	v_cmpx_ne_u32_e32 0x7f, v112
	s_cbranch_execz .LBB371_1473
; %bb.1470:                             ;   in Loop: Header=BB371_11 Depth=1
	v_and_b32_e32 v8, 7, v67
	v_mov_b32_e32 v33, v9
	v_lshrrev_b32_e32 v33, 3, v112
	s_mov_b32 s20, exec_lo
	s_delay_alu instid0(VALU_DEP_3)
	v_mov_b32_e32 v32, v8
	v_cmpx_gt_u32_e32 8, v112
; %bb.1471:                             ;   in Loop: Header=BB371_11 Depth=1
	v_clz_i32_u32_e32 v32, v8
	s_delay_alu instid0(VALU_DEP_1) | instskip(NEXT) | instid1(VALU_DEP_1)
	v_min_u32_e32 v55, 32, v32
	v_subrev_nc_u32_e32 v32, 28, v55
	s_delay_alu instid0(VALU_DEP_1) | instskip(SKIP_1) | instid1(VALU_DEP_2)
	v_lshlrev_b64 v[32:33], v32, v[8:9]
	v_sub_nc_u32_e32 v33, 29, v55
	v_and_b32_e32 v32, 7, v32
; %bb.1472:                             ;   in Loop: Header=BB371_11 Depth=1
	s_or_b32 exec_lo, exec_lo, s20
	v_lshlrev_b32_e32 v8, 8, v67
	s_delay_alu instid0(VALU_DEP_3) | instskip(NEXT) | instid1(VALU_DEP_1)
	v_lshl_add_u32 v33, v33, 10, 0x2000
	v_and_or_b32 v8, 0x8000, v8, v33
	s_delay_alu instid0(VALU_DEP_1) | instskip(NEXT) | instid1(VALU_DEP_1)
	v_lshl_or_b32 v8, v32, 7, v8
	v_cvt_f32_f16_e32 v55, v8
.LBB371_1473:                           ;   in Loop: Header=BB371_11 Depth=1
	s_or_b32 exec_lo, exec_lo, s19
.LBB371_1474:                           ;   in Loop: Header=BB371_11 Depth=1
	s_delay_alu instid0(SALU_CYCLE_1)
	s_or_b32 exec_lo, exec_lo, s18
.LBB371_1475:                           ;   in Loop: Header=BB371_11 Depth=1
	s_delay_alu instid0(SALU_CYCLE_1)
	s_or_b32 exec_lo, exec_lo, s17
	v_mov_b32_e32 v32, 0
	v_mov_b32_e32 v112, 0
	s_mov_b32 s17, exec_lo
	v_cmpx_lt_u64_e64 s[2:3], v[30:31]
	s_cbranch_execz .LBB371_1483
; %bb.1476:                             ;   in Loop: Header=BB371_11 Depth=1
	v_lshrrev_b32_e32 v33, 24, v31
	v_bfrev_b32_e32 v112, 1
	s_mov_b32 s18, exec_lo
	s_delay_alu instid0(VALU_DEP_2)
	v_cmpx_ne_u32_e32 0x80, v33
	s_cbranch_execz .LBB371_1482
; %bb.1477:                             ;   in Loop: Header=BB371_11 Depth=1
	v_and_b32_e32 v67, 0x7f, v33
	v_mov_b32_e32 v112, 0x7fc02000
	s_mov_b32 s19, exec_lo
	s_delay_alu instid0(VALU_DEP_2)
	v_cmpx_ne_u32_e32 0x7f, v67
	s_cbranch_execz .LBB371_1481
; %bb.1478:                             ;   in Loop: Header=BB371_11 Depth=1
	v_and_b32_e32 v8, 7, v33
	v_mov_b32_e32 v31, v9
	v_lshrrev_b32_e32 v31, 3, v67
	s_mov_b32 s20, exec_lo
	s_delay_alu instid0(VALU_DEP_3)
	v_mov_b32_e32 v30, v8
	v_cmpx_gt_u32_e32 8, v67
; %bb.1479:                             ;   in Loop: Header=BB371_11 Depth=1
	v_clz_i32_u32_e32 v30, v8
	s_delay_alu instid0(VALU_DEP_1) | instskip(NEXT) | instid1(VALU_DEP_1)
	v_min_u32_e32 v67, 32, v30
	v_subrev_nc_u32_e32 v30, 28, v67
	s_delay_alu instid0(VALU_DEP_1) | instskip(SKIP_1) | instid1(VALU_DEP_2)
	v_lshlrev_b64 v[30:31], v30, v[8:9]
	v_sub_nc_u32_e32 v31, 29, v67
	v_and_b32_e32 v30, 7, v30
; %bb.1480:                             ;   in Loop: Header=BB371_11 Depth=1
	s_or_b32 exec_lo, exec_lo, s20
	v_lshlrev_b32_e32 v8, 8, v33
	s_delay_alu instid0(VALU_DEP_3) | instskip(NEXT) | instid1(VALU_DEP_1)
	v_lshl_add_u32 v31, v31, 10, 0x2000
	v_and_or_b32 v8, 0x8000, v8, v31
	s_delay_alu instid0(VALU_DEP_1) | instskip(NEXT) | instid1(VALU_DEP_1)
	v_lshl_or_b32 v8, v30, 7, v8
	v_cvt_f32_f16_e32 v112, v8
.LBB371_1481:                           ;   in Loop: Header=BB371_11 Depth=1
	s_or_b32 exec_lo, exec_lo, s19
.LBB371_1482:                           ;   in Loop: Header=BB371_11 Depth=1
	s_delay_alu instid0(SALU_CYCLE_1)
	s_or_b32 exec_lo, exec_lo, s18
.LBB371_1483:                           ;   in Loop: Header=BB371_11 Depth=1
	s_delay_alu instid0(SALU_CYCLE_1) | instskip(SKIP_4) | instid1(VALU_DEP_1)
	s_or_b32 exec_lo, exec_lo, s17
	flat_load_b64 v[28:29], v[28:29] offset:1544
	s_mov_b32 s17, exec_lo
	s_waitcnt vmcnt(0) lgkmcnt(0)
	v_and_b32_e32 v8, 0xff, v28
	v_cmpx_ne_u16_e32 0, v8
	s_cbranch_execz .LBB371_1491
; %bb.1484:                             ;   in Loop: Header=BB371_11 Depth=1
	v_bfrev_b32_e32 v32, 1
	s_mov_b32 s18, exec_lo
	v_cmpx_ne_u16_e32 0x80, v8
	s_cbranch_execz .LBB371_1490
; %bb.1485:                             ;   in Loop: Header=BB371_11 Depth=1
	v_and_b32_e32 v30, 0x7f, v28
	v_mov_b32_e32 v32, 0x7fc02000
	s_mov_b32 s19, exec_lo
	s_delay_alu instid0(VALU_DEP_2)
	v_cmpx_ne_u32_e32 0x7f, v30
	s_cbranch_execz .LBB371_1489
; %bb.1486:                             ;   in Loop: Header=BB371_11 Depth=1
	v_lshrrev_b32_e32 v8, 3, v30
	v_cmp_gt_u32_e64 s1, 8, v30
	v_dual_mov_b32 v31, v29 :: v_dual_mov_b32 v30, v28
	s_delay_alu instid0(VALU_DEP_2)
	s_and_saveexec_b32 s20, s1
; %bb.1487:                             ;   in Loop: Header=BB371_11 Depth=1
	v_and_b32_e32 v8, 7, v28
	s_delay_alu instid0(VALU_DEP_1) | instskip(NEXT) | instid1(VALU_DEP_1)
	v_clz_i32_u32_e32 v8, v8
	v_min_u32_e32 v8, 32, v8
	s_delay_alu instid0(VALU_DEP_1) | instskip(SKIP_1) | instid1(VALU_DEP_2)
	v_subrev_nc_u32_e32 v30, 28, v8
	v_sub_nc_u32_e32 v8, 29, v8
	v_lshlrev_b64 v[30:31], v30, v[28:29]
; %bb.1488:                             ;   in Loop: Header=BB371_11 Depth=1
	s_or_b32 exec_lo, exec_lo, s20
	v_lshlrev_b32_e32 v31, 8, v28
	s_delay_alu instid0(VALU_DEP_3) | instskip(NEXT) | instid1(VALU_DEP_3)
	v_lshl_add_u32 v8, v8, 10, 0x2000
	v_lshlrev_b32_e32 v30, 7, v30
	s_delay_alu instid0(VALU_DEP_2) | instskip(NEXT) | instid1(VALU_DEP_1)
	v_and_or_b32 v8, 0x8000, v31, v8
	v_and_or_b32 v8, 0x380, v30, v8
	s_delay_alu instid0(VALU_DEP_1)
	v_cvt_f32_f16_e32 v32, v8
.LBB371_1489:                           ;   in Loop: Header=BB371_11 Depth=1
	s_or_b32 exec_lo, exec_lo, s19
.LBB371_1490:                           ;   in Loop: Header=BB371_11 Depth=1
	s_delay_alu instid0(SALU_CYCLE_1)
	s_or_b32 exec_lo, exec_lo, s18
.LBB371_1491:                           ;   in Loop: Header=BB371_11 Depth=1
	s_delay_alu instid0(SALU_CYCLE_1) | instskip(SKIP_4) | instid1(VALU_DEP_3)
	s_or_b32 exec_lo, exec_lo, s17
	v_lshrrev_b16 v8, 8, v28
	v_mov_b32_e32 v33, 0
	v_mov_b32_e32 v67, 0
	s_mov_b32 s17, exec_lo
	v_cmpx_ne_u16_e32 0, v8
	s_cbranch_execz .LBB371_1499
; %bb.1492:                             ;   in Loop: Header=BB371_11 Depth=1
	v_bfrev_b32_e32 v67, 1
	s_mov_b32 s18, exec_lo
	v_cmpx_ne_u16_e32 0x80, v8
	s_cbranch_execz .LBB371_1498
; %bb.1493:                             ;   in Loop: Header=BB371_11 Depth=1
	v_and_b32_e32 v155, 0xffff, v8
	v_mov_b32_e32 v67, 0x7fc02000
	s_mov_b32 s19, exec_lo
	s_delay_alu instid0(VALU_DEP_2) | instskip(NEXT) | instid1(VALU_DEP_1)
	v_and_b32_e32 v157, 0x7f, v155
	v_cmpx_ne_u32_e32 0x7f, v157
	s_cbranch_execz .LBB371_1497
; %bb.1494:                             ;   in Loop: Header=BB371_11 Depth=1
	v_and_b32_e32 v8, 7, v155
	v_mov_b32_e32 v31, v9
	v_lshrrev_b32_e32 v31, 3, v157
	s_mov_b32 s20, exec_lo
	s_delay_alu instid0(VALU_DEP_3)
	v_mov_b32_e32 v30, v8
	v_cmpx_gt_u32_e32 8, v157
; %bb.1495:                             ;   in Loop: Header=BB371_11 Depth=1
	v_clz_i32_u32_e32 v30, v8
	s_delay_alu instid0(VALU_DEP_1) | instskip(NEXT) | instid1(VALU_DEP_1)
	v_min_u32_e32 v67, 32, v30
	v_subrev_nc_u32_e32 v30, 28, v67
	s_delay_alu instid0(VALU_DEP_1) | instskip(SKIP_1) | instid1(VALU_DEP_2)
	v_lshlrev_b64 v[30:31], v30, v[8:9]
	v_sub_nc_u32_e32 v31, 29, v67
	v_and_b32_e32 v30, 7, v30
; %bb.1496:                             ;   in Loop: Header=BB371_11 Depth=1
	s_or_b32 exec_lo, exec_lo, s20
	v_lshlrev_b32_e32 v8, 8, v155
	s_delay_alu instid0(VALU_DEP_3) | instskip(NEXT) | instid1(VALU_DEP_1)
	v_lshl_add_u32 v31, v31, 10, 0x2000
	v_and_or_b32 v8, 0x8000, v8, v31
	s_delay_alu instid0(VALU_DEP_1) | instskip(NEXT) | instid1(VALU_DEP_1)
	v_lshl_or_b32 v8, v30, 7, v8
	v_cvt_f32_f16_e32 v67, v8
.LBB371_1497:                           ;   in Loop: Header=BB371_11 Depth=1
	s_or_b32 exec_lo, exec_lo, s19
.LBB371_1498:                           ;   in Loop: Header=BB371_11 Depth=1
	s_delay_alu instid0(SALU_CYCLE_1)
	s_or_b32 exec_lo, exec_lo, s18
.LBB371_1499:                           ;   in Loop: Header=BB371_11 Depth=1
	s_delay_alu instid0(SALU_CYCLE_1) | instskip(SKIP_2) | instid1(VALU_DEP_1)
	s_or_b32 exec_lo, exec_lo, s17
	v_lshrrev_b32_e32 v155, 16, v28
	s_mov_b32 s17, exec_lo
	v_and_b32_e32 v8, 0xff, v155
	s_delay_alu instid0(VALU_DEP_1)
	v_cmpx_ne_u16_e32 0, v8
	s_cbranch_execz .LBB371_1507
; %bb.1500:                             ;   in Loop: Header=BB371_11 Depth=1
	v_bfrev_b32_e32 v33, 1
	s_mov_b32 s18, exec_lo
	v_cmpx_ne_u16_e32 0x80, v8
	s_cbranch_execz .LBB371_1506
; %bb.1501:                             ;   in Loop: Header=BB371_11 Depth=1
	v_bfe_u32 v157, v28, 16, 7
	v_mov_b32_e32 v33, 0x7fc02000
	s_mov_b32 s19, exec_lo
	s_delay_alu instid0(VALU_DEP_2)
	v_cmpx_ne_u32_e32 0x7f, v157
	s_cbranch_execz .LBB371_1505
; %bb.1502:                             ;   in Loop: Header=BB371_11 Depth=1
	v_and_b32_e32 v8, 7, v155
	v_mov_b32_e32 v31, v9
	v_lshrrev_b32_e32 v31, 3, v157
	s_mov_b32 s20, exec_lo
	s_delay_alu instid0(VALU_DEP_3)
	v_mov_b32_e32 v30, v8
	v_cmpx_gt_u32_e32 8, v157
; %bb.1503:                             ;   in Loop: Header=BB371_11 Depth=1
	v_clz_i32_u32_e32 v30, v8
	s_delay_alu instid0(VALU_DEP_1) | instskip(NEXT) | instid1(VALU_DEP_1)
	v_min_u32_e32 v33, 32, v30
	v_subrev_nc_u32_e32 v30, 28, v33
	s_delay_alu instid0(VALU_DEP_1) | instskip(SKIP_1) | instid1(VALU_DEP_2)
	v_lshlrev_b64 v[30:31], v30, v[8:9]
	v_sub_nc_u32_e32 v31, 29, v33
	v_and_b32_e32 v30, 7, v30
; %bb.1504:                             ;   in Loop: Header=BB371_11 Depth=1
	s_or_b32 exec_lo, exec_lo, s20
	v_lshlrev_b32_e32 v8, 8, v155
	s_delay_alu instid0(VALU_DEP_3) | instskip(NEXT) | instid1(VALU_DEP_1)
	v_lshl_add_u32 v31, v31, 10, 0x2000
	v_and_or_b32 v8, 0x8000, v8, v31
	s_delay_alu instid0(VALU_DEP_1) | instskip(NEXT) | instid1(VALU_DEP_1)
	v_lshl_or_b32 v8, v30, 7, v8
	v_cvt_f32_f16_e32 v33, v8
.LBB371_1505:                           ;   in Loop: Header=BB371_11 Depth=1
	s_or_b32 exec_lo, exec_lo, s19
.LBB371_1506:                           ;   in Loop: Header=BB371_11 Depth=1
	s_delay_alu instid0(SALU_CYCLE_1)
	s_or_b32 exec_lo, exec_lo, s18
.LBB371_1507:                           ;   in Loop: Header=BB371_11 Depth=1
	s_delay_alu instid0(SALU_CYCLE_1)
	s_or_b32 exec_lo, exec_lo, s17
	v_dual_mov_b32 v189, 0 :: v_dual_mov_b32 v188, 0
	s_mov_b32 s17, exec_lo
	v_cmpx_lt_u32_e32 0xffffff, v28
	s_cbranch_execz .LBB371_1515
; %bb.1508:                             ;   in Loop: Header=BB371_11 Depth=1
	v_lshrrev_b32_e32 v155, 24, v28
	v_bfrev_b32_e32 v188, 1
	s_mov_b32 s18, exec_lo
	s_delay_alu instid0(VALU_DEP_2)
	v_cmpx_ne_u32_e32 0x80, v155
	s_cbranch_execz .LBB371_1514
; %bb.1509:                             ;   in Loop: Header=BB371_11 Depth=1
	v_and_b32_e32 v157, 0x7f, v155
	v_mov_b32_e32 v188, 0x7fc02000
	s_mov_b32 s19, exec_lo
	s_delay_alu instid0(VALU_DEP_2)
	v_cmpx_ne_u32_e32 0x7f, v157
	s_cbranch_execz .LBB371_1513
; %bb.1510:                             ;   in Loop: Header=BB371_11 Depth=1
	v_and_b32_e32 v8, 7, v155
	v_mov_b32_e32 v31, v9
	v_lshrrev_b32_e32 v31, 3, v157
	s_mov_b32 s20, exec_lo
	s_delay_alu instid0(VALU_DEP_3)
	v_mov_b32_e32 v30, v8
	v_cmpx_gt_u32_e32 8, v157
; %bb.1511:                             ;   in Loop: Header=BB371_11 Depth=1
	v_clz_i32_u32_e32 v30, v8
	s_delay_alu instid0(VALU_DEP_1) | instskip(NEXT) | instid1(VALU_DEP_1)
	v_min_u32_e32 v157, 32, v30
	v_subrev_nc_u32_e32 v30, 28, v157
	s_delay_alu instid0(VALU_DEP_1) | instskip(SKIP_1) | instid1(VALU_DEP_2)
	v_lshlrev_b64 v[30:31], v30, v[8:9]
	v_sub_nc_u32_e32 v31, 29, v157
	v_and_b32_e32 v30, 7, v30
; %bb.1512:                             ;   in Loop: Header=BB371_11 Depth=1
	s_or_b32 exec_lo, exec_lo, s20
	v_lshlrev_b32_e32 v8, 8, v155
	s_delay_alu instid0(VALU_DEP_3) | instskip(NEXT) | instid1(VALU_DEP_1)
	v_lshl_add_u32 v31, v31, 10, 0x2000
	v_and_or_b32 v8, 0x8000, v8, v31
	s_delay_alu instid0(VALU_DEP_1) | instskip(NEXT) | instid1(VALU_DEP_1)
	v_lshl_or_b32 v8, v30, 7, v8
	v_cvt_f32_f16_e64 v188, v8
.LBB371_1513:                           ;   in Loop: Header=BB371_11 Depth=1
	s_or_b32 exec_lo, exec_lo, s19
.LBB371_1514:                           ;   in Loop: Header=BB371_11 Depth=1
	s_delay_alu instid0(SALU_CYCLE_1)
	s_or_b32 exec_lo, exec_lo, s18
.LBB371_1515:                           ;   in Loop: Header=BB371_11 Depth=1
	s_delay_alu instid0(SALU_CYCLE_1) | instskip(SKIP_3) | instid1(VALU_DEP_2)
	s_or_b32 exec_lo, exec_lo, s17
	v_and_b32_e32 v30, 0xff, v29
	v_mov_b32_e32 v8, v29
	s_mov_b32 s17, exec_lo
	v_cmpx_ne_u16_e32 0, v30
	s_cbranch_execz .LBB371_1523
; %bb.1516:                             ;   in Loop: Header=BB371_11 Depth=1
	v_bfrev_b32_e32 v189, 1
	s_mov_b32 s18, exec_lo
	v_cmpx_ne_u16_e32 0x80, v30
	s_cbranch_execz .LBB371_1522
; %bb.1517:                             ;   in Loop: Header=BB371_11 Depth=1
	v_and_b32_e32 v155, 0x7f, v29
	v_mov_b32_e32 v189, 0x7fc02000
	s_mov_b32 s19, exec_lo
	s_delay_alu instid0(VALU_DEP_2)
	v_cmpx_ne_u32_e32 0x7f, v155
	s_cbranch_execz .LBB371_1521
; %bb.1518:                             ;   in Loop: Header=BB371_11 Depth=1
	v_dual_mov_b32 v31, v9 :: v_dual_mov_b32 v30, v8
	v_lshrrev_b32_e32 v31, 3, v155
	s_mov_b32 s20, exec_lo
	v_cmpx_gt_u32_e32 8, v155
; %bb.1519:                             ;   in Loop: Header=BB371_11 Depth=1
	v_and_b32_e32 v30, 7, v29
	s_delay_alu instid0(VALU_DEP_1) | instskip(NEXT) | instid1(VALU_DEP_1)
	v_clz_i32_u32_e32 v30, v30
	v_min_u32_e32 v155, 32, v30
	s_delay_alu instid0(VALU_DEP_1) | instskip(NEXT) | instid1(VALU_DEP_1)
	v_subrev_nc_u32_e32 v30, 28, v155
	v_lshlrev_b64 v[30:31], v30, v[8:9]
	v_sub_nc_u32_e32 v31, 29, v155
; %bb.1520:                             ;   in Loop: Header=BB371_11 Depth=1
	s_or_b32 exec_lo, exec_lo, s20
	v_lshlrev_b32_e32 v155, 8, v29
	s_delay_alu instid0(VALU_DEP_2) | instskip(NEXT) | instid1(VALU_DEP_4)
	v_lshl_add_u32 v31, v31, 10, 0x2000
	v_lshlrev_b32_e32 v30, 7, v30
	s_delay_alu instid0(VALU_DEP_2) | instskip(NEXT) | instid1(VALU_DEP_1)
	v_and_or_b32 v31, 0x8000, v155, v31
	v_and_or_b32 v30, 0x380, v30, v31
	s_delay_alu instid0(VALU_DEP_1)
	v_cvt_f32_f16_e64 v189, v30
.LBB371_1521:                           ;   in Loop: Header=BB371_11 Depth=1
	s_or_b32 exec_lo, exec_lo, s19
.LBB371_1522:                           ;   in Loop: Header=BB371_11 Depth=1
	s_delay_alu instid0(SALU_CYCLE_1)
	s_or_b32 exec_lo, exec_lo, s18
.LBB371_1523:                           ;   in Loop: Header=BB371_11 Depth=1
	s_delay_alu instid0(SALU_CYCLE_1) | instskip(SKIP_4) | instid1(VALU_DEP_3)
	s_or_b32 exec_lo, exec_lo, s17
	v_lshrrev_b16 v8, 8, v8
	v_mov_b32_e32 v191, 0
	v_mov_b32_e32 v155, 0
	s_mov_b32 s17, exec_lo
	v_cmpx_ne_u16_e32 0, v8
	s_cbranch_execz .LBB371_1531
; %bb.1524:                             ;   in Loop: Header=BB371_11 Depth=1
	v_bfrev_b32_e32 v155, 1
	s_mov_b32 s18, exec_lo
	v_cmpx_ne_u16_e32 0x80, v8
	s_cbranch_execz .LBB371_1530
; %bb.1525:                             ;   in Loop: Header=BB371_11 Depth=1
	v_and_b32_e32 v157, 0xffff, v8
	v_mov_b32_e32 v21, v159
	v_mov_b32_e32 v155, 0x7fc02000
	s_mov_b32 s19, exec_lo
	s_delay_alu instid0(VALU_DEP_3) | instskip(NEXT) | instid1(VALU_DEP_1)
	v_and_b32_e32 v159, 0x7f, v157
	v_cmpx_ne_u32_e32 0x7f, v159
	s_cbranch_execz .LBB371_1529
; %bb.1526:                             ;   in Loop: Header=BB371_11 Depth=1
	v_and_b32_e32 v8, 7, v157
	v_mov_b32_e32 v31, v9
	v_lshrrev_b32_e32 v31, 3, v159
	s_mov_b32 s20, exec_lo
	s_delay_alu instid0(VALU_DEP_3)
	v_mov_b32_e32 v30, v8
	v_cmpx_gt_u32_e32 8, v159
; %bb.1527:                             ;   in Loop: Header=BB371_11 Depth=1
	v_clz_i32_u32_e32 v30, v8
	s_delay_alu instid0(VALU_DEP_1) | instskip(NEXT) | instid1(VALU_DEP_1)
	v_min_u32_e32 v155, 32, v30
	v_subrev_nc_u32_e32 v30, 28, v155
	s_delay_alu instid0(VALU_DEP_1) | instskip(SKIP_1) | instid1(VALU_DEP_2)
	v_lshlrev_b64 v[30:31], v30, v[8:9]
	v_sub_nc_u32_e32 v31, 29, v155
	v_and_b32_e32 v30, 7, v30
; %bb.1528:                             ;   in Loop: Header=BB371_11 Depth=1
	s_or_b32 exec_lo, exec_lo, s20
	v_lshlrev_b32_e32 v8, 8, v157
	s_delay_alu instid0(VALU_DEP_3) | instskip(NEXT) | instid1(VALU_DEP_1)
	v_lshl_add_u32 v31, v31, 10, 0x2000
	v_and_or_b32 v8, 0x8000, v8, v31
	s_delay_alu instid0(VALU_DEP_1) | instskip(NEXT) | instid1(VALU_DEP_1)
	v_lshl_or_b32 v8, v30, 7, v8
	v_cvt_f32_f16_e64 v155, v8
.LBB371_1529:                           ;   in Loop: Header=BB371_11 Depth=1
	s_or_b32 exec_lo, exec_lo, s19
	v_mov_b32_e32 v159, v21
.LBB371_1530:                           ;   in Loop: Header=BB371_11 Depth=1
	s_or_b32 exec_lo, exec_lo, s18
.LBB371_1531:                           ;   in Loop: Header=BB371_11 Depth=1
	s_delay_alu instid0(SALU_CYCLE_1) | instskip(SKIP_2) | instid1(VALU_DEP_1)
	s_or_b32 exec_lo, exec_lo, s17
	v_lshrrev_b32_e32 v157, 16, v29
	s_mov_b32 s17, exec_lo
	v_and_b32_e32 v8, 0xff, v157
	s_delay_alu instid0(VALU_DEP_1)
	v_cmpx_ne_u16_e32 0, v8
	s_cbranch_execz .LBB371_1539
; %bb.1532:                             ;   in Loop: Header=BB371_11 Depth=1
	v_bfrev_b32_e32 v191, 1
	s_mov_b32 s18, exec_lo
	v_cmpx_ne_u16_e32 0x80, v8
	s_cbranch_execz .LBB371_1538
; %bb.1533:                             ;   in Loop: Header=BB371_11 Depth=1
	v_mov_b32_e32 v21, v159
	v_bfe_u32 v159, v29, 16, 7
	v_mov_b32_e32 v191, 0x7fc02000
	s_mov_b32 s19, exec_lo
	s_delay_alu instid0(VALU_DEP_2)
	v_cmpx_ne_u32_e32 0x7f, v159
	s_cbranch_execz .LBB371_1537
; %bb.1534:                             ;   in Loop: Header=BB371_11 Depth=1
	v_and_b32_e32 v8, 7, v157
	v_mov_b32_e32 v31, v9
	v_lshrrev_b32_e32 v31, 3, v159
	s_mov_b32 s20, exec_lo
	s_delay_alu instid0(VALU_DEP_3)
	v_mov_b32_e32 v30, v8
	v_cmpx_gt_u32_e32 8, v159
; %bb.1535:                             ;   in Loop: Header=BB371_11 Depth=1
	v_clz_i32_u32_e32 v30, v8
	s_delay_alu instid0(VALU_DEP_1) | instskip(NEXT) | instid1(VALU_DEP_1)
	v_min_u32_e32 v159, 32, v30
	v_subrev_nc_u32_e32 v30, 28, v159
	s_delay_alu instid0(VALU_DEP_1) | instskip(SKIP_1) | instid1(VALU_DEP_2)
	v_lshlrev_b64 v[30:31], v30, v[8:9]
	v_sub_nc_u32_e32 v31, 29, v159
	v_and_b32_e32 v30, 7, v30
; %bb.1536:                             ;   in Loop: Header=BB371_11 Depth=1
	s_or_b32 exec_lo, exec_lo, s20
	v_lshlrev_b32_e32 v8, 8, v157
	s_delay_alu instid0(VALU_DEP_3) | instskip(NEXT) | instid1(VALU_DEP_1)
	v_lshl_add_u32 v31, v31, 10, 0x2000
	v_and_or_b32 v8, 0x8000, v8, v31
	s_delay_alu instid0(VALU_DEP_1) | instskip(NEXT) | instid1(VALU_DEP_1)
	v_lshl_or_b32 v8, v30, 7, v8
	v_cvt_f32_f16_e64 v191, v8
.LBB371_1537:                           ;   in Loop: Header=BB371_11 Depth=1
	s_or_b32 exec_lo, exec_lo, s19
	v_mov_b32_e32 v159, v21
.LBB371_1538:                           ;   in Loop: Header=BB371_11 Depth=1
	s_or_b32 exec_lo, exec_lo, s18
.LBB371_1539:                           ;   in Loop: Header=BB371_11 Depth=1
	s_delay_alu instid0(SALU_CYCLE_1)
	s_or_b32 exec_lo, exec_lo, s17
	v_mov_b32_e32 v31, 0
	v_cmp_lt_u64_e64 s1, s[2:3], v[28:29]
	s_mov_b32 s17, exec_lo
	s_clause 0x2
	scratch_load_b32 v30, off, s32 offset:384
	scratch_load_b32 v28, off, s32 offset:372
	;; [unrolled: 1-line block ×3, first 2 shown]
	s_and_b32 s1, s17, s1
	s_delay_alu instid0(SALU_CYCLE_1)
	s_mov_b32 exec_lo, s1
	s_cbranch_execz .LBB371_10
; %bb.1540:                             ;   in Loop: Header=BB371_11 Depth=1
	s_waitcnt vmcnt(2)
	v_lshrrev_b32_e32 v30, 24, v29
	v_bfrev_b32_e32 v31, 1
	s_mov_b32 s18, exec_lo
	s_delay_alu instid0(VALU_DEP_2)
	v_cmpx_ne_u32_e32 0x80, v30
	s_cbranch_execz .LBB371_9
; %bb.1541:                             ;   in Loop: Header=BB371_11 Depth=1
	v_and_b32_e32 v157, 0x7f, v30
	v_mov_b32_e32 v31, 0x7fc02000
	s_mov_b32 s19, exec_lo
	s_delay_alu instid0(VALU_DEP_2)
	v_cmpx_ne_u32_e32 0x7f, v157
	s_cbranch_execz .LBB371_8
; %bb.1542:                             ;   in Loop: Header=BB371_11 Depth=1
	v_and_b32_e32 v8, 7, v30
	s_waitcnt vmcnt(1)
	v_mov_b32_e32 v29, v9
	v_lshrrev_b32_e32 v29, 3, v157
	s_mov_b32 s20, exec_lo
	v_mov_b32_e32 v28, v8
	v_cmpx_gt_u32_e32 8, v157
	s_cbranch_execz .LBB371_7
; %bb.1543:                             ;   in Loop: Header=BB371_11 Depth=1
	v_clz_i32_u32_e32 v28, v8
	s_delay_alu instid0(VALU_DEP_1) | instskip(NEXT) | instid1(VALU_DEP_1)
	v_min_u32_e32 v31, 32, v28
	v_subrev_nc_u32_e32 v28, 28, v31
	s_delay_alu instid0(VALU_DEP_1) | instskip(SKIP_1) | instid1(VALU_DEP_2)
	v_lshlrev_b64 v[28:29], v28, v[8:9]
	v_sub_nc_u32_e32 v29, 29, v31
	v_and_b32_e32 v28, 7, v28
	s_branch .LBB371_7
.LBB371_1544:
	s_or_b32 exec_lo, exec_lo, s7
	s_clause 0x13
	scratch_load_b32 v57, off, s32 offset:508
	scratch_load_b32 v58, off, s32 offset:512
	;; [unrolled: 1-line block ×6, first 2 shown]
	scratch_load_b64 v[72:73], off, s32 offset:528
	scratch_load_b32 v15, off, s32 offset:536
	scratch_load_b32 v14, off, s32 offset:540
	;; [unrolled: 1-line block ×8, first 2 shown]
	scratch_load_b64 v[16:17], off, s32 offset:568
	scratch_load_b32 v12, off, s32 offset:576
	scratch_load_b32 v23, off, s32 offset:580
	;; [unrolled: 1-line block ×4, first 2 shown]
.LBB371_1545:
	s_or_b32 exec_lo, exec_lo, s9
	v_mbcnt_lo_u32_b32 v0, -1, 0
	s_lshr_b32 s9, s13, 16
	s_delay_alu instid0(VALU_DEP_1) | instskip(SKIP_2) | instid1(VALU_DEP_3)
	v_xor_b32_e32 v1, 16, v0
	v_xor_b32_e32 v3, 8, v0
	;; [unrolled: 1-line block ×3, first 2 shown]
	v_cmp_gt_i32_e32 vcc_lo, 32, v1
	v_cndmask_b32_e32 v1, v0, v1, vcc_lo
	s_delay_alu instid0(VALU_DEP_4) | instskip(NEXT) | instid1(VALU_DEP_2)
	v_cmp_gt_i32_e32 vcc_lo, 32, v3
	v_dual_cndmask_b32 v3, v0, v3 :: v_dual_lshlrev_b32 v2, 2, v1
	v_cmp_gt_i32_e32 vcc_lo, 32, v5
	ds_bpermute_b32 v1, v2, v4
	v_dual_max_f32 v4, v4, v4 :: v_dual_lshlrev_b32 v3, 2, v3
	v_cndmask_b32_e32 v5, v0, v5, vcc_lo
	s_waitcnt lgkmcnt(0)
	v_max_f32_e32 v1, v1, v1
	s_delay_alu instid0(VALU_DEP_1) | instskip(SKIP_3) | instid1(VALU_DEP_1)
	v_max_f32_e32 v1, v4, v1
	ds_bpermute_b32 v4, v3, v1
	s_waitcnt lgkmcnt(0)
	v_max_f32_e32 v6, v4, v4
	v_dual_max_f32 v1, v1, v6 :: v_dual_lshlrev_b32 v4, 2, v5
	v_xor_b32_e32 v6, 2, v0
	ds_bpermute_b32 v5, v4, v1
	v_cmp_gt_i32_e32 vcc_lo, 32, v6
	s_waitcnt lgkmcnt(0)
	v_dual_cndmask_b32 v6, v0, v6 :: v_dual_max_f32 v5, v5, v5
	s_delay_alu instid0(VALU_DEP_1) | instskip(NEXT) | instid1(VALU_DEP_2)
	v_max_f32_e32 v1, v1, v5
	v_lshlrev_b32_e32 v19, 2, v6
	v_xor_b32_e32 v6, 1, v0
	s_delay_alu instid0(VALU_DEP_1)
	v_cmp_gt_i32_e32 vcc_lo, 32, v6
	v_cndmask_b32_e32 v6, v0, v6, vcc_lo
	ds_bpermute_b32 v5, v19, v1
	s_waitcnt vmcnt(14)
	v_cmp_eq_u32_e32 vcc_lo, 0, v62
	s_waitcnt lgkmcnt(0)
	v_dual_max_f32 v5, v5, v5 :: v_dual_lshlrev_b32 v18, 2, v6
	s_delay_alu instid0(VALU_DEP_1)
	v_dual_max_f32 v0, v1, v5 :: v_dual_lshlrev_b32 v5, 2, v60
	ds_bpermute_b32 v1, v18, v0
	s_and_saveexec_b32 s1, vcc_lo
	s_cbranch_execz .LBB371_1547
; %bb.1546:
	s_waitcnt lgkmcnt(0)
	v_dual_max_f32 v1, v1, v1 :: v_dual_max_f32 v0, v0, v0
	s_delay_alu instid0(VALU_DEP_1)
	v_max_f32_e32 v0, v0, v1
	ds_store_b32 v5, v0 offset:384
.LBB371_1547:
	s_or_b32 exec_lo, exec_lo, s1
	v_cmp_gt_u32_e64 s1, 4, v62
	v_mov_b32_e32 v0, 0xff7fffff
	s_waitcnt vmcnt(0) lgkmcnt(0)
	s_waitcnt_vscnt null, 0x0
	s_barrier
	buffer_gl0_inv
	s_and_saveexec_b32 s2, s1
	s_cbranch_execz .LBB371_1549
; %bb.1548:
	ds_load_b32 v0, v20 offset:384
.LBB371_1549:
	s_or_b32 exec_lo, exec_lo, s2
	s_waitcnt lgkmcnt(0)
	ds_bpermute_b32 v1, v19, v0
	v_max_f32_e32 v0, v0, v0
	v_subrev_nc_u32_e32 v7, s8, v175
	s_waitcnt lgkmcnt(0)
	v_dual_mov_b32 v6, 0 :: v_dual_max_f32 v1, v1, v1
	s_delay_alu instid0(VALU_DEP_1) | instskip(SKIP_3) | instid1(VALU_DEP_1)
	v_max_f32_e32 v0, v0, v1
	ds_bpermute_b32 v1, v18, v0
	s_waitcnt lgkmcnt(0)
	v_max_f32_e32 v1, v1, v1
	v_max_f32_e32 v0, v0, v1
	v_lshl_add_u32 v1, v7, 5, s16
	ds_bpermute_b32 v0, v6, v0
	v_min_i32_e32 v1, v1, v37
	s_delay_alu instid0(VALU_DEP_1) | instskip(NEXT) | instid1(VALU_DEP_1)
	v_subrev_nc_u32_e32 v1, s16, v1
	v_cmp_lt_i32_e64 s2, v59, v1
	s_delay_alu instid0(VALU_DEP_1)
	s_and_saveexec_b32 s8, s2
	s_cbranch_execz .LBB371_1553
; %bb.1550:
	s_getpc_b64 s[18:19]
	s_add_u32 s18, s18, llvm.amdgcn.dynlds.offset.table@rel32@lo+4
	s_addc_u32 s19, s19, llvm.amdgcn.dynlds.offset.table@rel32@hi+12
	s_ashr_i32 s7, s6, 31
	v_mov_b32_e32 v6, 0
	s_lshl_b64 s[20:21], s[6:7], 2
	v_mov_b32_e32 v8, v59
	s_add_u32 s18, s20, s18
	s_addc_u32 s19, s21, s19
	s_mov_b32 s7, 0
	s_load_b32 s3, s[18:19], 0x0
	s_waitcnt lgkmcnt(0)
	v_lshl_add_u32 v7, v59, 2, s3
	.p2align	6
.LBB371_1551:                           ; =>This Inner Loop Header: Depth=1
	ds_load_b32 v9, v7
	v_add_nc_u32_e32 v8, 0x80, v8
	s_delay_alu instid0(VALU_DEP_1) | instskip(NEXT) | instid1(VALU_DEP_1)
	v_cmp_ge_i32_e64 s3, v8, v1
	s_or_b32 s7, s3, s7
	s_waitcnt lgkmcnt(0)
	v_sub_f32_e32 v9, v9, v0
	s_delay_alu instid0(VALU_DEP_1) | instskip(NEXT) | instid1(VALU_DEP_1)
	v_mul_f32_e32 v9, 0x3fb8aa3b, v9
	v_exp_f32_e32 v9, v9
	ds_store_b32 v7, v9
	v_dual_add_f32 v6, v6, v9 :: v_dual_add_nc_u32 v7, 0x200, v7
	s_and_not1_b32 exec_lo, exec_lo, s7
	s_cbranch_execnz .LBB371_1551
; %bb.1552:
	s_or_b32 exec_lo, exec_lo, s7
.LBB371_1553:
	s_delay_alu instid0(SALU_CYCLE_1)
	s_or_b32 exec_lo, exec_lo, s8
	ds_bpermute_b32 v2, v2, v6
	s_waitcnt lgkmcnt(0)
	v_add_f32_e32 v2, v6, v2
	ds_bpermute_b32 v3, v3, v2
	s_waitcnt lgkmcnt(0)
	v_add_f32_e32 v2, v2, v3
	ds_bpermute_b32 v3, v4, v2
	s_waitcnt lgkmcnt(0)
	v_add_f32_e32 v2, v2, v3
	ds_bpermute_b32 v3, v19, v2
	s_waitcnt lgkmcnt(0)
	v_add_f32_e32 v2, v2, v3
	ds_bpermute_b32 v3, v18, v2
	s_waitcnt lgkmcnt(0)
	v_add_f32_e32 v2, v2, v3
	s_and_saveexec_b32 s3, vcc_lo
	s_cbranch_execz .LBB371_1555
; %bb.1554:
	ds_store_b32 v5, v2 offset:400
.LBB371_1555:
	s_or_b32 exec_lo, exec_lo, s3
	s_waitcnt lgkmcnt(0)
	s_barrier
	buffer_gl0_inv
	s_and_saveexec_b32 s3, s1
	s_cbranch_execz .LBB371_1557
; %bb.1556:
	ds_load_b32 v2, v20 offset:400
.LBB371_1557:
	s_or_b32 exec_lo, exec_lo, s3
	s_waitcnt lgkmcnt(0)
	ds_bpermute_b32 v3, v19, v2
	s_waitcnt lgkmcnt(0)
	v_add_f32_e32 v2, v2, v3
	ds_bpermute_b32 v3, v18, v2
	s_waitcnt lgkmcnt(0)
	v_dual_add_f32 v2, v2, v3 :: v_dual_mov_b32 v3, 0
	ds_bpermute_b32 v2, v3, v2
	s_and_saveexec_b32 s1, s2
	s_cbranch_execz .LBB371_1560
; %bb.1558:
	s_waitcnt lgkmcnt(0)
	v_add_f32_e32 v4, 0x358637bd, v2
	s_getpc_b64 s[2:3]
	s_add_u32 s2, s2, llvm.amdgcn.dynlds.offset.table@rel32@lo+4
	s_addc_u32 s3, s3, llvm.amdgcn.dynlds.offset.table@rel32@hi+12
	s_ashr_i32 s7, s6, 31
	s_delay_alu instid0(SALU_CYCLE_1) | instskip(SKIP_4) | instid1(VALU_DEP_1)
	s_lshl_b64 s[18:19], s[6:7], 2
	v_div_scale_f32 v3, null, v4, v4, 1.0
	s_add_u32 s2, s18, s2
	s_addc_u32 s3, s19, s3
	s_load_b32 s2, s[2:3], 0x0
	v_rcp_f32_e32 v5, v3
	s_waitcnt_depctr 0xfff
	v_fma_f32 v6, -v3, v5, 1.0
	s_delay_alu instid0(VALU_DEP_1) | instskip(SKIP_1) | instid1(VALU_DEP_1)
	v_fmac_f32_e32 v5, v6, v5
	v_div_scale_f32 v7, vcc_lo, 1.0, v4, 1.0
	v_mul_f32_e32 v6, v7, v5
	s_delay_alu instid0(VALU_DEP_1) | instskip(NEXT) | instid1(VALU_DEP_1)
	v_fma_f32 v8, -v3, v6, v7
	v_fmac_f32_e32 v6, v8, v5
	s_delay_alu instid0(VALU_DEP_1) | instskip(NEXT) | instid1(VALU_DEP_1)
	v_fma_f32 v3, -v3, v6, v7
	v_div_fmas_f32 v5, v3, v5, v6
	s_waitcnt lgkmcnt(0)
	v_lshl_add_u32 v3, v59, 2, s2
	s_mov_b32 s2, 0
	s_delay_alu instid0(VALU_DEP_2)
	v_div_fixup_f32 v4, v5, v4, 1.0
	v_mov_b32_e32 v5, v59
.LBB371_1559:                           ; =>This Inner Loop Header: Depth=1
	ds_load_b32 v6, v3
	s_waitcnt lgkmcnt(0)
	v_dual_mul_f32 v6, v4, v6 :: v_dual_add_nc_u32 v5, 0x80, v5
	s_delay_alu instid0(VALU_DEP_1) | instskip(SKIP_3) | instid1(SALU_CYCLE_1)
	v_cmp_ge_i32_e32 vcc_lo, v5, v1
	ds_store_b32 v3, v6
	v_add_nc_u32_e32 v3, 0x200, v3
	s_or_b32 s2, vcc_lo, s2
	s_and_not1_b32 exec_lo, exec_lo, s2
	s_cbranch_execnz .LBB371_1559
.LBB371_1560:
	s_or_b32 exec_lo, exec_lo, s1
	v_cmp_ne_u16_e64 s1, s9, 0
	s_waitcnt lgkmcnt(0)
	s_barrier
	buffer_gl0_inv
	s_cmp_lg_u32 s1, 0
	s_addc_u32 s1, s5, 0
	s_mov_b32 s5, exec_lo
	s_mul_i32 s2, s1, s10
	s_delay_alu instid0(SALU_CYCLE_1)
	s_mul_i32 s2, s2, s15
	v_cmpx_eq_u32_e32 0, v59
	s_cbranch_execz .LBB371_1562
; %bb.1561:
	s_mul_i32 s8, s1, s12
	s_ashr_i32 s15, s14, 31
	s_ashr_i32 s9, s8, 31
	;; [unrolled: 1-line block ×3, first 2 shown]
	s_lshl_b64 s[8:9], s[8:9], 2
	s_lshl_b64 s[12:13], s[14:15], 2
	;; [unrolled: 1-line block ×3, first 2 shown]
	s_add_u32 s3, s12, s8
	s_addc_u32 s7, s13, s9
	s_add_u32 s3, s3, s18
	s_addc_u32 s7, s7, s19
	v_add_co_u32 v3, vcc_lo, s3, v25
	v_add_co_ci_u32_e32 v4, vcc_lo, s7, v24, vcc_lo
	v_add_co_u32 v5, vcc_lo, s3, v22
	v_add_co_ci_u32_e32 v6, vcc_lo, s7, v13, vcc_lo
	flat_store_b32 v[3:4], v0
	flat_store_b32 v[5:6], v2
.LBB371_1562:
	s_or_b32 exec_lo, exec_lo, s5
                                        ; implicit-def: $sgpr5
	s_and_saveexec_b32 s3, s0
	s_delay_alu instid0(SALU_CYCLE_1)
	s_xor_b32 s0, exec_lo, s3
; %bb.1563:
	s_ashr_i32 s7, s6, 31
	s_mov_b32 s5, 0
                                        ; implicit-def: $vgpr37
                                        ; implicit-def: $vgpr12
                                        ; implicit-def: $vgpr175
                                        ; implicit-def: $vgpr72
                                        ; implicit-def: $vgpr10
                                        ; implicit-def: $vgpr11
                                        ; implicit-def: $vgpr14
                                        ; implicit-def: $vgpr15
                                        ; implicit-def: $vgpr61
                                        ; implicit-def: $vgpr26_vgpr27
                                        ; implicit-def: $vgpr23
                                        ; implicit-def: $vgpr34
                                        ; implicit-def: $vgpr16_vgpr17
                                        ; implicit-def: $vgpr0
                                        ; kill: killed $vgpr0
; %bb.1564:
	s_or_saveexec_b32 s3, s0
	v_dual_mov_b32 v0, s6 :: v_dual_mov_b32 v71, s5
	v_dual_mov_b32 v68, s5 :: v_dual_mov_b32 v1, s7
	v_dual_mov_b32 v69, s5 :: v_dual_and_b32 v20, 3, v59
	v_dual_mov_b32 v70, s5 :: v_dual_mov_b32 v67, s5
	v_dual_mov_b32 v66, s5 :: v_dual_mov_b32 v65, s5
	;; [unrolled: 1-line block ×10, first 2 shown]
	v_mov_b32_e32 v21, s5
	s_xor_b32 exec_lo, exec_lo, s3
	s_cbranch_execz .LBB371_3152
; %bb.1565:
	v_lshlrev_b64 v[4:5], 2, v[72:73]
	v_add_co_u32 v0, vcc_lo, v10, v23
	v_add_co_ci_u32_e32 v1, vcc_lo, v11, v34, vcc_lo
	s_getpc_b64 s[8:9]
	s_add_u32 s8, s8, llvm.amdgcn.dynlds.offset.table@rel32@lo+4
	s_addc_u32 s9, s9, llvm.amdgcn.dynlds.offset.table@rel32@hi+12
	v_add_co_u32 v4, vcc_lo, v16, v4
	v_add_co_ci_u32_e32 v5, vcc_lo, v17, v5, vcc_lo
	s_ashr_i32 s7, s6, 31
	s_delay_alu instid0(VALU_DEP_2)
	v_add_co_u32 v7, vcc_lo, v14, v4
	scratch_load_b32 v4, off, s32 offset:504 ; 4-byte Folded Reload
	s_lshl_b64 s[12:13], s[6:7], 2
	v_dual_mov_b32 v3, 0 :: v_dual_lshlrev_b32 v2, 3, v59
	s_add_u32 s8, s12, s8
	s_addc_u32 s9, s13, s9
	v_mov_b32_e32 v25, 0
	s_load_b32 s0, s[8:9], 0x0
	v_dual_mov_b32 v87, v37 :: v_dual_and_b32 v6, 24, v2
	v_dual_mov_b32 v24, 0 :: v_dual_and_b32 v39, 0xf8, v2
	v_lshlrev_b32_e32 v2, 5, v20
	v_dual_mov_b32 v21, 0 :: v_dual_add_nc_u32 v38, -1, v12
	s_delay_alu instid0(VALU_DEP_3) | instskip(SKIP_1) | instid1(VALU_DEP_4)
	v_or_b32_e32 v48, 0x1000, v39
	v_or_b32_e32 v80, 0x1100, v39
	v_lshl_or_b32 v2, v60, 7, v2
	v_or_b32_e32 v81, 0x1200, v39
	v_or_b32_e32 v82, 0x1300, v39
	;; [unrolled: 1-line block ×6, first 2 shown]
	v_add_co_ci_u32_e32 v8, vcc_lo, v15, v5, vcc_lo
	v_dual_mov_b32 v28, 0 :: v_dual_mov_b32 v31, 0
	s_waitcnt lgkmcnt(0)
	v_dual_mov_b32 v29, 0 :: v_dual_add_nc_u32 v96, s0, v2
	v_dual_mov_b32 v30, 0 :: v_dual_mov_b32 v33, 0
	v_dual_mov_b32 v32, 0 :: v_dual_mov_b32 v49, 0
	;; [unrolled: 1-line block ×9, first 2 shown]
	s_mov_b32 s8, -1
	s_mov_b32 s9, 0xffffff
	s_mov_b32 s5, 0
	s_waitcnt vmcnt(0)
	v_add3_u32 v17, s16, v4, v6
	s_branch .LBB371_1567
.LBB371_1566:                           ;   in Loop: Header=BB371_1567 Depth=1
	s_or_b32 exec_lo, exec_lo, s0
	v_dual_add_f32 v12, v13, v14 :: v_dual_add_f32 v13, v180, v181
	v_dual_add_f32 v14, v178, v179 :: v_dual_add_f32 v35, v35, v36
	v_add_f32_e32 v6, v6, v34
	s_delay_alu instid0(VALU_DEP_3) | instskip(NEXT) | instid1(VALU_DEP_3)
	v_dual_add_f32 v24, v24, v12 :: v_dual_add_f32 v25, v25, v13
	v_dual_add_f32 v28, v28, v14 :: v_dual_add_f32 v13, v166, v167
	s_delay_alu instid0(VALU_DEP_3)
	v_add_f32_e32 v30, v30, v6
	v_add_f32_e32 v4, v4, v5
	v_dual_add_f32 v5, v176, v177 :: v_dual_add_f32 v6, v22, v23
	v_add_f32_e32 v12, v15, v16
	v_add_f32_e32 v50, v50, v13
	v_add_f32_e32 v13, v148, v149
	s_delay_alu instid0(VALU_DEP_4)
	v_add_f32_e32 v33, v33, v5
	v_add_f32_e32 v5, v162, v163
	;; [unrolled: 1-line block ×3, first 2 shown]
	v_dual_add_f32 v49, v49, v12 :: v_dual_add_f32 v6, v160, v161
	v_add_f32_e32 v32, v32, v4
	v_add_f32_e32 v4, v164, v165
	v_dual_add_f32 v12, v150, v151 :: v_dual_add_f32 v55, v55, v13
	v_dual_add_f32 v13, v130, v131 :: v_dual_add_nc_u32 v72, 4, v72
	s_delay_alu instid0(VALU_DEP_3) | instskip(NEXT) | instid1(VALU_DEP_3)
	v_add_f32_e32 v51, v51, v4
	v_add_f32_e32 v54, v54, v12
	;; [unrolled: 1-line block ×6, first 2 shown]
	v_dual_add_f32 v53, v53, v6 :: v_dual_add_f32 v6, v134, v135
	v_dual_add_f32 v64, v64, v4 :: v_dual_add_f32 v69, v69, v13
	s_delay_alu instid0(VALU_DEP_3)
	v_add_f32_e32 v65, v65, v5
	;;#ASMSTART
	v_pk_mul_f16 v4, v102, v11;

	;;#ASMEND
	;;#ASMSTART
	v_pk_mul_f16 v5, v100, v10;

	;;#ASMEND
	;; [unrolled: 4-line block ×3, first 2 shown]
	v_add_f32_e32 v66, v66, v6
	;;#ASMSTART
	v_pk_mul_f16 v6, v97, v9;

	;;#ASMEND
	;;#ASMSTART
	v_pk_add_f16 v4, v4, v5;

	;;#ASMEND
	v_add_f32_e32 v5, v128, v129
	;;#ASMSTART
	v_pk_add_f16 v2, v4, v2;

	;;#ASMEND
	;;#ASMSTART
	v_pk_add_f16 v2, v2, v6;

	;;#ASMEND
	v_dual_add_f32 v9, v99, v101 :: v_dual_and_b32 v4, 0xffff, v2
	v_lshrrev_b32_e32 v2, 16, v2
	;;#ASMSTART
	v_cvt_f32_f16 v4, v4;
	;;#ASMEND
	;;#ASMSTART
	v_cvt_f32_f16 v2, v2;
	;;#ASMEND
	s_delay_alu instid0(VALU_DEP_1) | instskip(SKIP_3) | instid1(VALU_DEP_4)
	v_dual_add_f32 v2, v4, v2 :: v_dual_add_nc_u32 v17, 0x80, v17
	v_add_f32_e32 v6, v118, v119
	v_cmp_ge_i32_e32 vcc_lo, v72, v175
	v_add_co_u32 v7, s0, v7, 16
	v_add_f32_e32 v21, v21, v2
	v_dual_add_f32 v29, v29, v35 :: v_dual_add_f32 v70, v70, v5
	v_add_f32_e32 v71, v71, v6
	v_dual_add_f32 v67, v67, v12 :: v_dual_add_f32 v68, v68, v9
	v_add_co_ci_u32_e64 v8, s0, 0, v8, s0
	v_add_nc_u32_e32 v96, 0x200, v96
	s_or_b32 s5, vcc_lo, s5
	s_delay_alu instid0(SALU_CYCLE_1)
	s_and_not1_b32 exec_lo, exec_lo, s5
	s_cbranch_execz .LBB371_3151
.LBB371_1567:                           ; =>This Inner Loop Header: Depth=1
	flat_load_b32 v2, v[7:8]
	ds_load_2addr_b64 v[11:14], v96 offset1:1
	ds_load_2addr_b64 v[97:100], v96 offset0:2 offset1:3
	s_mov_b32 s0, exec_lo
	s_waitcnt lgkmcnt(1)
	;;#ASMSTART
	v_cvt_f16_f32 v23, v11;

	;;#ASMEND
	;;#ASMSTART
	v_cvt_f16_f32 v4, v12;

	;;#ASMEND
	;; [unrolled: 4-line block ×4, first 2 shown]
	s_waitcnt lgkmcnt(0)
	;;#ASMSTART
	v_cvt_f16_f32 v35, v97;

	;;#ASMEND
	;;#ASMSTART
	v_cvt_f16_f32 v6, v98;

	;;#ASMEND
	;; [unrolled: 4-line block ×4, first 2 shown]
	v_mov_b32_e32 v98, 0
	s_waitcnt vmcnt(0)
	v_mad_i64_i32 v[9:10], null, v2, v61, v[0:1]
	s_delay_alu instid0(VALU_DEP_1) | instskip(NEXT) | instid1(VALU_DEP_2)
	v_add_co_u32 v11, vcc_lo, v9, v39
	v_add_co_ci_u32_e32 v12, vcc_lo, 0, v10, vcc_lo
	flat_load_b64 v[13:14], v[11:12]
	flat_load_b32 v97, v[26:27]
	s_waitcnt vmcnt(1) lgkmcnt(1)
	v_and_b32_e32 v2, 0xff, v13
	s_delay_alu instid0(VALU_DEP_1)
	v_cmpx_ne_u16_e32 0, v2
	s_cbranch_execz .LBB371_1575
; %bb.1568:                             ;   in Loop: Header=BB371_1567 Depth=1
	v_bfrev_b32_e32 v98, 1
	s_mov_b32 s10, exec_lo
	v_cmpx_ne_u16_e32 0x80, v2
	s_cbranch_execz .LBB371_1574
; %bb.1569:                             ;   in Loop: Header=BB371_1567 Depth=1
	v_and_b32_e32 v15, 0x7f, v13
	v_mov_b32_e32 v98, 0x7fc02000
	s_mov_b32 s12, exec_lo
	s_delay_alu instid0(VALU_DEP_2)
	v_cmpx_ne_u32_e32 0x7f, v15
	s_cbranch_execz .LBB371_1573
; %bb.1570:                             ;   in Loop: Header=BB371_1567 Depth=1
	v_lshrrev_b32_e32 v2, 3, v15
	v_cmp_gt_u32_e32 vcc_lo, 8, v15
	v_dual_mov_b32 v16, v14 :: v_dual_mov_b32 v15, v13
	s_and_saveexec_b32 s13, vcc_lo
; %bb.1571:                             ;   in Loop: Header=BB371_1567 Depth=1
	v_and_b32_e32 v2, 7, v13
	s_delay_alu instid0(VALU_DEP_1) | instskip(NEXT) | instid1(VALU_DEP_1)
	v_clz_i32_u32_e32 v2, v2
	v_min_u32_e32 v2, 32, v2
	s_delay_alu instid0(VALU_DEP_1) | instskip(SKIP_1) | instid1(VALU_DEP_2)
	v_subrev_nc_u32_e32 v15, 28, v2
	v_sub_nc_u32_e32 v2, 29, v2
	v_lshlrev_b64 v[15:16], v15, v[13:14]
; %bb.1572:                             ;   in Loop: Header=BB371_1567 Depth=1
	s_or_b32 exec_lo, exec_lo, s13
	v_lshlrev_b32_e32 v16, 8, v13
	s_delay_alu instid0(VALU_DEP_3) | instskip(NEXT) | instid1(VALU_DEP_3)
	v_lshl_add_u32 v2, v2, 10, 0x2000
	v_lshlrev_b32_e32 v15, 7, v15
	s_delay_alu instid0(VALU_DEP_2) | instskip(NEXT) | instid1(VALU_DEP_1)
	v_and_or_b32 v2, 0x8000, v16, v2
	v_and_or_b32 v2, 0x380, v15, v2
	s_delay_alu instid0(VALU_DEP_1)
	v_cvt_f32_f16_e32 v98, v2
.LBB371_1573:                           ;   in Loop: Header=BB371_1567 Depth=1
	s_or_b32 exec_lo, exec_lo, s12
.LBB371_1574:                           ;   in Loop: Header=BB371_1567 Depth=1
	s_delay_alu instid0(SALU_CYCLE_1)
	s_or_b32 exec_lo, exec_lo, s10
.LBB371_1575:                           ;   in Loop: Header=BB371_1567 Depth=1
	s_delay_alu instid0(SALU_CYCLE_1) | instskip(SKIP_3) | instid1(VALU_DEP_2)
	s_or_b32 exec_lo, exec_lo, s0
	v_lshrrev_b16 v2, 8, v13
	v_dual_mov_b32 v100, 0 :: v_dual_mov_b32 v99, 0
	s_mov_b32 s0, exec_lo
	v_cmpx_ne_u16_e32 0, v2
	s_cbranch_execz .LBB371_1583
; %bb.1576:                             ;   in Loop: Header=BB371_1567 Depth=1
	v_bfrev_b32_e32 v99, 1
	s_mov_b32 s10, exec_lo
	v_cmpx_ne_u16_e32 0x80, v2
	s_cbranch_execz .LBB371_1582
; %bb.1577:                             ;   in Loop: Header=BB371_1567 Depth=1
	v_and_b32_e32 v101, 0xffff, v2
	v_mov_b32_e32 v99, 0x7fc02000
	s_mov_b32 s12, exec_lo
	s_delay_alu instid0(VALU_DEP_2) | instskip(NEXT) | instid1(VALU_DEP_1)
	v_and_b32_e32 v15, 0x7f, v101
	v_cmpx_ne_u32_e32 0x7f, v15
	s_cbranch_execz .LBB371_1581
; %bb.1578:                             ;   in Loop: Header=BB371_1567 Depth=1
	v_and_b32_e32 v2, 7, v101
	v_lshrrev_b32_e32 v99, 3, v15
	v_cmp_gt_u32_e32 vcc_lo, 8, v15
	s_delay_alu instid0(VALU_DEP_3)
	v_dual_mov_b32 v16, v3 :: v_dual_mov_b32 v15, v2
	s_and_saveexec_b32 s13, vcc_lo
; %bb.1579:                             ;   in Loop: Header=BB371_1567 Depth=1
	v_clz_i32_u32_e32 v15, v2
	s_delay_alu instid0(VALU_DEP_1) | instskip(NEXT) | instid1(VALU_DEP_1)
	v_min_u32_e32 v99, 32, v15
	v_subrev_nc_u32_e32 v15, 28, v99
	v_sub_nc_u32_e32 v99, 29, v99
	s_delay_alu instid0(VALU_DEP_2) | instskip(NEXT) | instid1(VALU_DEP_1)
	v_lshlrev_b64 v[15:16], v15, v[2:3]
	v_and_b32_e32 v15, 7, v15
; %bb.1580:                             ;   in Loop: Header=BB371_1567 Depth=1
	s_or_b32 exec_lo, exec_lo, s13
	v_lshlrev_b32_e32 v2, 8, v101
	v_lshl_add_u32 v16, v99, 10, 0x2000
	s_delay_alu instid0(VALU_DEP_1) | instskip(NEXT) | instid1(VALU_DEP_1)
	v_and_or_b32 v2, 0x8000, v2, v16
	v_lshl_or_b32 v2, v15, 7, v2
	s_delay_alu instid0(VALU_DEP_1)
	v_cvt_f32_f16_e32 v99, v2
.LBB371_1581:                           ;   in Loop: Header=BB371_1567 Depth=1
	s_or_b32 exec_lo, exec_lo, s12
.LBB371_1582:                           ;   in Loop: Header=BB371_1567 Depth=1
	s_delay_alu instid0(SALU_CYCLE_1)
	s_or_b32 exec_lo, exec_lo, s10
.LBB371_1583:                           ;   in Loop: Header=BB371_1567 Depth=1
	s_delay_alu instid0(SALU_CYCLE_1) | instskip(SKIP_2) | instid1(VALU_DEP_1)
	s_or_b32 exec_lo, exec_lo, s0
	v_lshrrev_b32_e32 v101, 16, v13
	s_mov_b32 s0, exec_lo
	v_and_b32_e32 v2, 0xff, v101
	s_delay_alu instid0(VALU_DEP_1)
	v_cmpx_ne_u16_e32 0, v2
	s_cbranch_execz .LBB371_1591
; %bb.1584:                             ;   in Loop: Header=BB371_1567 Depth=1
	v_bfrev_b32_e32 v100, 1
	s_mov_b32 s10, exec_lo
	v_cmpx_ne_u16_e32 0x80, v2
	s_cbranch_execz .LBB371_1590
; %bb.1585:                             ;   in Loop: Header=BB371_1567 Depth=1
	v_bfe_u32 v15, v13, 16, 7
	v_mov_b32_e32 v100, 0x7fc02000
	s_mov_b32 s12, exec_lo
	s_delay_alu instid0(VALU_DEP_2)
	v_cmpx_ne_u32_e32 0x7f, v15
	s_cbranch_execz .LBB371_1589
; %bb.1586:                             ;   in Loop: Header=BB371_1567 Depth=1
	v_and_b32_e32 v2, 7, v101
	v_lshrrev_b32_e32 v100, 3, v15
	v_cmp_gt_u32_e32 vcc_lo, 8, v15
	s_delay_alu instid0(VALU_DEP_3)
	v_dual_mov_b32 v16, v3 :: v_dual_mov_b32 v15, v2
	s_and_saveexec_b32 s13, vcc_lo
; %bb.1587:                             ;   in Loop: Header=BB371_1567 Depth=1
	v_clz_i32_u32_e32 v15, v2
	s_delay_alu instid0(VALU_DEP_1) | instskip(NEXT) | instid1(VALU_DEP_1)
	v_min_u32_e32 v100, 32, v15
	v_subrev_nc_u32_e32 v15, 28, v100
	v_sub_nc_u32_e32 v100, 29, v100
	s_delay_alu instid0(VALU_DEP_2) | instskip(NEXT) | instid1(VALU_DEP_1)
	v_lshlrev_b64 v[15:16], v15, v[2:3]
	v_and_b32_e32 v15, 7, v15
; %bb.1588:                             ;   in Loop: Header=BB371_1567 Depth=1
	s_or_b32 exec_lo, exec_lo, s13
	v_lshlrev_b32_e32 v2, 8, v101
	v_lshl_add_u32 v16, v100, 10, 0x2000
	s_delay_alu instid0(VALU_DEP_1) | instskip(NEXT) | instid1(VALU_DEP_1)
	v_and_or_b32 v2, 0x8000, v2, v16
	v_lshl_or_b32 v2, v15, 7, v2
	s_delay_alu instid0(VALU_DEP_1)
	v_cvt_f32_f16_e32 v100, v2
.LBB371_1589:                           ;   in Loop: Header=BB371_1567 Depth=1
	s_or_b32 exec_lo, exec_lo, s12
.LBB371_1590:                           ;   in Loop: Header=BB371_1567 Depth=1
	s_delay_alu instid0(SALU_CYCLE_1)
	s_or_b32 exec_lo, exec_lo, s10
.LBB371_1591:                           ;   in Loop: Header=BB371_1567 Depth=1
	s_delay_alu instid0(SALU_CYCLE_1)
	s_or_b32 exec_lo, exec_lo, s0
	v_dual_mov_b32 v101, 0 :: v_dual_mov_b32 v102, 0
	s_mov_b32 s0, exec_lo
	v_cmpx_lt_u32_e32 0xffffff, v13
	s_cbranch_execz .LBB371_1599
; %bb.1592:                             ;   in Loop: Header=BB371_1567 Depth=1
	v_lshrrev_b32_e32 v103, 24, v13
	v_bfrev_b32_e32 v102, 1
	s_mov_b32 s10, exec_lo
	s_delay_alu instid0(VALU_DEP_2)
	v_cmpx_ne_u32_e32 0x80, v103
	s_cbranch_execz .LBB371_1598
; %bb.1593:                             ;   in Loop: Header=BB371_1567 Depth=1
	v_and_b32_e32 v15, 0x7f, v103
	v_mov_b32_e32 v102, 0x7fc02000
	s_mov_b32 s12, exec_lo
	s_delay_alu instid0(VALU_DEP_2)
	v_cmpx_ne_u32_e32 0x7f, v15
	s_cbranch_execz .LBB371_1597
; %bb.1594:                             ;   in Loop: Header=BB371_1567 Depth=1
	v_and_b32_e32 v2, 7, v103
	v_lshrrev_b32_e32 v102, 3, v15
	v_cmp_gt_u32_e32 vcc_lo, 8, v15
	s_delay_alu instid0(VALU_DEP_3)
	v_dual_mov_b32 v16, v3 :: v_dual_mov_b32 v15, v2
	s_and_saveexec_b32 s13, vcc_lo
; %bb.1595:                             ;   in Loop: Header=BB371_1567 Depth=1
	v_clz_i32_u32_e32 v15, v2
	s_delay_alu instid0(VALU_DEP_1) | instskip(NEXT) | instid1(VALU_DEP_1)
	v_min_u32_e32 v102, 32, v15
	v_subrev_nc_u32_e32 v15, 28, v102
	v_sub_nc_u32_e32 v102, 29, v102
	s_delay_alu instid0(VALU_DEP_2) | instskip(NEXT) | instid1(VALU_DEP_1)
	v_lshlrev_b64 v[15:16], v15, v[2:3]
	v_and_b32_e32 v15, 7, v15
; %bb.1596:                             ;   in Loop: Header=BB371_1567 Depth=1
	s_or_b32 exec_lo, exec_lo, s13
	v_lshlrev_b32_e32 v2, 8, v103
	v_lshl_add_u32 v16, v102, 10, 0x2000
	s_delay_alu instid0(VALU_DEP_1) | instskip(NEXT) | instid1(VALU_DEP_1)
	v_and_or_b32 v2, 0x8000, v2, v16
	v_lshl_or_b32 v2, v15, 7, v2
	s_delay_alu instid0(VALU_DEP_1)
	v_cvt_f32_f16_e32 v102, v2
.LBB371_1597:                           ;   in Loop: Header=BB371_1567 Depth=1
	s_or_b32 exec_lo, exec_lo, s12
.LBB371_1598:                           ;   in Loop: Header=BB371_1567 Depth=1
	s_delay_alu instid0(SALU_CYCLE_1)
	s_or_b32 exec_lo, exec_lo, s10
.LBB371_1599:                           ;   in Loop: Header=BB371_1567 Depth=1
	s_delay_alu instid0(SALU_CYCLE_1) | instskip(SKIP_2) | instid1(VALU_DEP_1)
	s_or_b32 exec_lo, exec_lo, s0
	v_dual_mov_b32 v2, v14 :: v_dual_and_b32 v15, 0xff, v14
	s_mov_b32 s0, exec_lo
	v_cmpx_ne_u16_e32 0, v15
	s_cbranch_execz .LBB371_1607
; %bb.1600:                             ;   in Loop: Header=BB371_1567 Depth=1
	v_bfrev_b32_e32 v101, 1
	s_mov_b32 s10, exec_lo
	v_cmpx_ne_u16_e32 0x80, v15
	s_cbranch_execz .LBB371_1606
; %bb.1601:                             ;   in Loop: Header=BB371_1567 Depth=1
	v_and_b32_e32 v15, 0x7f, v14
	v_mov_b32_e32 v101, 0x7fc02000
	s_mov_b32 s12, exec_lo
	s_delay_alu instid0(VALU_DEP_2)
	v_cmpx_ne_u32_e32 0x7f, v15
	s_cbranch_execz .LBB371_1605
; %bb.1602:                             ;   in Loop: Header=BB371_1567 Depth=1
	v_lshrrev_b32_e32 v101, 3, v15
	v_cmp_gt_u32_e32 vcc_lo, 8, v15
	v_dual_mov_b32 v16, v3 :: v_dual_mov_b32 v15, v2
	s_and_saveexec_b32 s13, vcc_lo
; %bb.1603:                             ;   in Loop: Header=BB371_1567 Depth=1
	v_and_b32_e32 v15, 7, v14
	s_delay_alu instid0(VALU_DEP_1) | instskip(NEXT) | instid1(VALU_DEP_1)
	v_clz_i32_u32_e32 v15, v15
	v_min_u32_e32 v101, 32, v15
	s_delay_alu instid0(VALU_DEP_1) | instskip(SKIP_1) | instid1(VALU_DEP_2)
	v_subrev_nc_u32_e32 v15, 28, v101
	v_sub_nc_u32_e32 v101, 29, v101
	v_lshlrev_b64 v[15:16], v15, v[2:3]
; %bb.1604:                             ;   in Loop: Header=BB371_1567 Depth=1
	s_or_b32 exec_lo, exec_lo, s13
	v_lshlrev_b32_e32 v16, 8, v14
	s_delay_alu instid0(VALU_DEP_3) | instskip(NEXT) | instid1(VALU_DEP_3)
	v_lshl_add_u32 v101, v101, 10, 0x2000
	v_lshlrev_b32_e32 v15, 7, v15
	s_delay_alu instid0(VALU_DEP_2) | instskip(NEXT) | instid1(VALU_DEP_1)
	v_and_or_b32 v16, 0x8000, v16, v101
	v_and_or_b32 v15, 0x380, v15, v16
	s_delay_alu instid0(VALU_DEP_1)
	v_cvt_f32_f16_e32 v101, v15
.LBB371_1605:                           ;   in Loop: Header=BB371_1567 Depth=1
	s_or_b32 exec_lo, exec_lo, s12
.LBB371_1606:                           ;   in Loop: Header=BB371_1567 Depth=1
	s_delay_alu instid0(SALU_CYCLE_1)
	s_or_b32 exec_lo, exec_lo, s10
.LBB371_1607:                           ;   in Loop: Header=BB371_1567 Depth=1
	s_delay_alu instid0(SALU_CYCLE_1) | instskip(SKIP_3) | instid1(VALU_DEP_2)
	s_or_b32 exec_lo, exec_lo, s0
	v_lshrrev_b16 v2, 8, v2
	v_dual_mov_b32 v103, 0 :: v_dual_mov_b32 v112, 0
	s_mov_b32 s0, exec_lo
	v_cmpx_ne_u16_e32 0, v2
	s_cbranch_execz .LBB371_1615
; %bb.1608:                             ;   in Loop: Header=BB371_1567 Depth=1
	v_bfrev_b32_e32 v112, 1
	s_mov_b32 s10, exec_lo
	v_cmpx_ne_u16_e32 0x80, v2
	s_cbranch_execz .LBB371_1614
; %bb.1609:                             ;   in Loop: Header=BB371_1567 Depth=1
	v_and_b32_e32 v113, 0xffff, v2
	v_mov_b32_e32 v112, 0x7fc02000
	s_mov_b32 s12, exec_lo
	s_delay_alu instid0(VALU_DEP_2) | instskip(NEXT) | instid1(VALU_DEP_1)
	v_and_b32_e32 v15, 0x7f, v113
	v_cmpx_ne_u32_e32 0x7f, v15
	s_cbranch_execz .LBB371_1613
; %bb.1610:                             ;   in Loop: Header=BB371_1567 Depth=1
	v_and_b32_e32 v2, 7, v113
	v_lshrrev_b32_e32 v112, 3, v15
	v_cmp_gt_u32_e32 vcc_lo, 8, v15
	s_delay_alu instid0(VALU_DEP_3)
	v_dual_mov_b32 v16, v3 :: v_dual_mov_b32 v15, v2
	s_and_saveexec_b32 s13, vcc_lo
; %bb.1611:                             ;   in Loop: Header=BB371_1567 Depth=1
	v_clz_i32_u32_e32 v15, v2
	s_delay_alu instid0(VALU_DEP_1) | instskip(NEXT) | instid1(VALU_DEP_1)
	v_min_u32_e32 v112, 32, v15
	v_subrev_nc_u32_e32 v15, 28, v112
	v_sub_nc_u32_e32 v112, 29, v112
	s_delay_alu instid0(VALU_DEP_2) | instskip(NEXT) | instid1(VALU_DEP_1)
	v_lshlrev_b64 v[15:16], v15, v[2:3]
	v_and_b32_e32 v15, 7, v15
; %bb.1612:                             ;   in Loop: Header=BB371_1567 Depth=1
	s_or_b32 exec_lo, exec_lo, s13
	v_lshlrev_b32_e32 v2, 8, v113
	v_lshl_add_u32 v16, v112, 10, 0x2000
	s_delay_alu instid0(VALU_DEP_1) | instskip(NEXT) | instid1(VALU_DEP_1)
	v_and_or_b32 v2, 0x8000, v2, v16
	v_lshl_or_b32 v2, v15, 7, v2
	s_delay_alu instid0(VALU_DEP_1)
	v_cvt_f32_f16_e32 v112, v2
.LBB371_1613:                           ;   in Loop: Header=BB371_1567 Depth=1
	s_or_b32 exec_lo, exec_lo, s12
.LBB371_1614:                           ;   in Loop: Header=BB371_1567 Depth=1
	s_delay_alu instid0(SALU_CYCLE_1)
	s_or_b32 exec_lo, exec_lo, s10
.LBB371_1615:                           ;   in Loop: Header=BB371_1567 Depth=1
	s_delay_alu instid0(SALU_CYCLE_1) | instskip(SKIP_2) | instid1(VALU_DEP_1)
	s_or_b32 exec_lo, exec_lo, s0
	v_lshrrev_b32_e32 v113, 16, v14
	s_mov_b32 s0, exec_lo
	v_and_b32_e32 v2, 0xff, v113
	s_delay_alu instid0(VALU_DEP_1)
	v_cmpx_ne_u16_e32 0, v2
	s_cbranch_execz .LBB371_1623
; %bb.1616:                             ;   in Loop: Header=BB371_1567 Depth=1
	v_bfrev_b32_e32 v103, 1
	s_mov_b32 s10, exec_lo
	v_cmpx_ne_u16_e32 0x80, v2
	s_cbranch_execz .LBB371_1622
; %bb.1617:                             ;   in Loop: Header=BB371_1567 Depth=1
	v_bfe_u32 v15, v14, 16, 7
	v_mov_b32_e32 v103, 0x7fc02000
	s_mov_b32 s12, exec_lo
	s_delay_alu instid0(VALU_DEP_2)
	v_cmpx_ne_u32_e32 0x7f, v15
	s_cbranch_execz .LBB371_1621
; %bb.1618:                             ;   in Loop: Header=BB371_1567 Depth=1
	v_and_b32_e32 v2, 7, v113
	v_lshrrev_b32_e32 v103, 3, v15
	v_cmp_gt_u32_e32 vcc_lo, 8, v15
	s_delay_alu instid0(VALU_DEP_3)
	v_dual_mov_b32 v16, v3 :: v_dual_mov_b32 v15, v2
	s_and_saveexec_b32 s13, vcc_lo
; %bb.1619:                             ;   in Loop: Header=BB371_1567 Depth=1
	v_clz_i32_u32_e32 v15, v2
	s_delay_alu instid0(VALU_DEP_1) | instskip(NEXT) | instid1(VALU_DEP_1)
	v_min_u32_e32 v103, 32, v15
	v_subrev_nc_u32_e32 v15, 28, v103
	v_sub_nc_u32_e32 v103, 29, v103
	s_delay_alu instid0(VALU_DEP_2) | instskip(NEXT) | instid1(VALU_DEP_1)
	v_lshlrev_b64 v[15:16], v15, v[2:3]
	v_and_b32_e32 v15, 7, v15
; %bb.1620:                             ;   in Loop: Header=BB371_1567 Depth=1
	s_or_b32 exec_lo, exec_lo, s13
	v_lshlrev_b32_e32 v2, 8, v113
	v_lshl_add_u32 v16, v103, 10, 0x2000
	s_delay_alu instid0(VALU_DEP_1) | instskip(NEXT) | instid1(VALU_DEP_1)
	v_and_or_b32 v2, 0x8000, v2, v16
	v_lshl_or_b32 v2, v15, 7, v2
	s_delay_alu instid0(VALU_DEP_1)
	v_cvt_f32_f16_e32 v103, v2
.LBB371_1621:                           ;   in Loop: Header=BB371_1567 Depth=1
	s_or_b32 exec_lo, exec_lo, s12
.LBB371_1622:                           ;   in Loop: Header=BB371_1567 Depth=1
	s_delay_alu instid0(SALU_CYCLE_1)
	s_or_b32 exec_lo, exec_lo, s10
.LBB371_1623:                           ;   in Loop: Header=BB371_1567 Depth=1
	s_delay_alu instid0(SALU_CYCLE_1)
	s_or_b32 exec_lo, exec_lo, s0
	v_mov_b32_e32 v2, 0
	s_mov_b32 s0, exec_lo
	v_cmpx_lt_u64_e64 s[8:9], v[13:14]
	s_cbranch_execz .LBB371_1631
; %bb.1624:                             ;   in Loop: Header=BB371_1567 Depth=1
	v_lshrrev_b32_e32 v15, 24, v14
	v_bfrev_b32_e32 v2, 1
	s_mov_b32 s10, exec_lo
	s_delay_alu instid0(VALU_DEP_2)
	v_cmpx_ne_u32_e32 0x80, v15
	s_cbranch_execz .LBB371_1630
; %bb.1625:                             ;   in Loop: Header=BB371_1567 Depth=1
	v_and_b32_e32 v13, 0x7f, v15
	v_mov_b32_e32 v2, 0x7fc02000
	s_mov_b32 s12, exec_lo
	s_delay_alu instid0(VALU_DEP_2)
	v_cmpx_ne_u32_e32 0x7f, v13
	s_cbranch_execz .LBB371_1629
; %bb.1626:                             ;   in Loop: Header=BB371_1567 Depth=1
	v_and_b32_e32 v2, 7, v15
	v_lshrrev_b32_e32 v16, 3, v13
	v_cmp_gt_u32_e32 vcc_lo, 8, v13
	s_delay_alu instid0(VALU_DEP_3)
	v_dual_mov_b32 v14, v3 :: v_dual_mov_b32 v13, v2
	s_and_saveexec_b32 s13, vcc_lo
; %bb.1627:                             ;   in Loop: Header=BB371_1567 Depth=1
	v_clz_i32_u32_e32 v13, v2
	s_delay_alu instid0(VALU_DEP_1) | instskip(NEXT) | instid1(VALU_DEP_1)
	v_min_u32_e32 v16, 32, v13
	v_subrev_nc_u32_e32 v13, 28, v16
	v_sub_nc_u32_e32 v16, 29, v16
	s_delay_alu instid0(VALU_DEP_2) | instskip(NEXT) | instid1(VALU_DEP_1)
	v_lshlrev_b64 v[13:14], v13, v[2:3]
	v_and_b32_e32 v13, 7, v13
; %bb.1628:                             ;   in Loop: Header=BB371_1567 Depth=1
	s_or_b32 exec_lo, exec_lo, s13
	v_lshlrev_b32_e32 v2, 8, v15
	v_lshl_add_u32 v14, v16, 10, 0x2000
	s_delay_alu instid0(VALU_DEP_1) | instskip(NEXT) | instid1(VALU_DEP_1)
	v_and_or_b32 v2, 0x8000, v2, v14
	v_lshl_or_b32 v2, v13, 7, v2
	s_delay_alu instid0(VALU_DEP_1)
	v_cvt_f32_f16_e32 v2, v2
.LBB371_1629:                           ;   in Loop: Header=BB371_1567 Depth=1
	s_or_b32 exec_lo, exec_lo, s12
.LBB371_1630:                           ;   in Loop: Header=BB371_1567 Depth=1
	s_delay_alu instid0(SALU_CYCLE_1)
	s_or_b32 exec_lo, exec_lo, s10
.LBB371_1631:                           ;   in Loop: Header=BB371_1567 Depth=1
	s_delay_alu instid0(SALU_CYCLE_1)
	s_or_b32 exec_lo, exec_lo, s0
	s_waitcnt vmcnt(0) lgkmcnt(0)
	v_fma_mixlo_f16 v15, v97, v99, 0
	v_fma_mixlo_f16 v13, v97, v102, 0
	;; [unrolled: 1-line block ×5, first 2 shown]
	v_lshlrev_b32_e32 v16, 16, v15
	v_fma_mixlo_f16 v100, v97, v101, 0
	v_fma_mixlo_f16 v2, v97, v2, 0
	;; [unrolled: 1-line block ×3, first 2 shown]
	v_lshlrev_b32_e32 v13, 16, v13
	v_and_b32_e32 v14, 0xffff, v14
	v_and_b32_e32 v97, 0xffff, v98
	v_lshlrev_b32_e32 v98, 16, v99
	v_and_b32_e32 v99, 0xffff, v100
	v_lshlrev_b32_e32 v100, 16, v2
	v_and_b32_e32 v101, 0xffff, v15
	v_cmp_eq_u32_e32 vcc_lo, v38, v72
	v_or_b32_e32 v14, v13, v14
	v_or_b32_e32 v16, v16, v97
	;; [unrolled: 1-line block ×4, first 2 shown]
	v_add_nc_u32_e32 v117, 1, v17
	v_or_b32_e32 v116, 3, v17
	v_or_b32_e32 v115, 2, v17
	;; [unrolled: 1-line block ×6, first 2 shown]
	s_and_saveexec_b32 s10, vcc_lo
	s_cbranch_execz .LBB371_1633
; %bb.1632:                             ;   in Loop: Header=BB371_1567 Depth=1
	v_cmp_lt_i32_e64 s0, v17, v37
	v_lshrrev_b32_e32 v97, 16, v16
	v_lshrrev_b32_e32 v98, 16, v14
	;; [unrolled: 1-line block ×4, first 2 shown]
	v_cndmask_b32_e64 v16, 0, v16, s0
	v_cmp_lt_i32_e64 s0, v117, v87
	s_delay_alu instid0(VALU_DEP_1) | instskip(SKIP_1) | instid1(VALU_DEP_2)
	v_cndmask_b32_e64 v97, 0, v97, s0
	v_cmp_lt_i32_e64 s0, v116, v87
	v_perm_b32 v16, v97, v16, 0x5040100
	s_delay_alu instid0(VALU_DEP_2) | instskip(SKIP_1) | instid1(VALU_DEP_1)
	v_cndmask_b32_e64 v98, 0, v98, s0
	v_cmp_lt_i32_e64 s0, v115, v37
	v_cndmask_b32_e64 v14, 0, v14, s0
	v_cmp_lt_i32_e64 s0, v114, v87
	s_delay_alu instid0(VALU_DEP_2) | instskip(NEXT) | instid1(VALU_DEP_2)
	v_perm_b32 v14, v98, v14, 0x5040100
	v_cndmask_b32_e64 v99, 0, v99, s0
	v_cmp_lt_i32_e64 s0, v113, v37
	s_delay_alu instid0(VALU_DEP_1) | instskip(SKIP_1) | instid1(VALU_DEP_2)
	v_cndmask_b32_e64 v2, 0, v2, s0
	v_cmp_lt_i32_e64 s0, v112, v87
	v_perm_b32 v2, v99, v2, 0x5040100
	s_delay_alu instid0(VALU_DEP_2) | instskip(SKIP_1) | instid1(VALU_DEP_1)
	v_cndmask_b32_e64 v13, 0, v13, s0
	v_cmp_lt_i32_e64 s0, v103, v37
	v_cndmask_b32_e64 v15, 0, v15, s0
	s_delay_alu instid0(VALU_DEP_1)
	v_perm_b32 v13, v13, v15, 0x5040100
.LBB371_1633:                           ;   in Loop: Header=BB371_1567 Depth=1
	s_or_b32 exec_lo, exec_lo, s10
	v_and_b32_e32 v15, 0xffff, v23
	v_and_b32_e32 v23, 0xffff, v34
	;; [unrolled: 1-line block ×4, first 2 shown]
	s_mov_b32 s10, exec_lo
	v_lshl_or_b32 v102, v4, 16, v15
	v_lshl_or_b32 v100, v5, 16, v23
	;; [unrolled: 1-line block ×3, first 2 shown]
	;;#ASMSTART
	v_pk_mul_f16 v4, v102, v16;

	;;#ASMEND
	;;#ASMSTART
	v_pk_mul_f16 v5, v100, v14;

	;;#ASMEND
	;;#ASMSTART
	v_pk_mul_f16 v2, v98, v2;

	;;#ASMEND
	v_lshl_or_b32 v97, v22, 16, v35
	;;#ASMSTART
	v_pk_mul_f16 v6, v97, v13;

	;;#ASMEND
	;;#ASMSTART
	v_pk_add_f16 v4, v4, v5;

	;;#ASMEND
	v_mov_b32_e32 v5, 0
	;;#ASMSTART
	v_pk_add_f16 v2, v4, v2;

	;;#ASMEND
	;;#ASMSTART
	v_pk_add_f16 v2, v2, v6;

	;;#ASMEND
	v_and_b32_e32 v4, 0xffff, v2
	v_lshrrev_b32_e32 v2, 16, v2
	;;#ASMSTART
	v_cvt_f32_f16 v99, v4;
	;;#ASMEND
	;;#ASMSTART
	v_cvt_f32_f16 v101, v2;
	;;#ASMEND
	flat_load_b64 v[13:14], v[11:12] offset:256
	flat_load_b32 v4, v[26:27]
	v_mov_b32_e32 v6, 0
	s_waitcnt vmcnt(1) lgkmcnt(1)
	v_and_b32_e32 v2, 0xff, v13
	s_delay_alu instid0(VALU_DEP_1)
	v_cmpx_ne_u16_e32 0, v2
	s_cbranch_execz .LBB371_1641
; %bb.1634:                             ;   in Loop: Header=BB371_1567 Depth=1
	v_bfrev_b32_e32 v5, 1
	s_mov_b32 s12, exec_lo
	v_cmpx_ne_u16_e32 0x80, v2
	s_cbranch_execz .LBB371_1640
; %bb.1635:                             ;   in Loop: Header=BB371_1567 Depth=1
	v_and_b32_e32 v15, 0x7f, v13
	v_mov_b32_e32 v5, 0x7fc02000
	s_mov_b32 s13, exec_lo
	s_delay_alu instid0(VALU_DEP_2)
	v_cmpx_ne_u32_e32 0x7f, v15
	s_cbranch_execz .LBB371_1639
; %bb.1636:                             ;   in Loop: Header=BB371_1567 Depth=1
	v_lshrrev_b32_e32 v2, 3, v15
	v_cmp_gt_u32_e64 s0, 8, v15
	v_dual_mov_b32 v16, v14 :: v_dual_mov_b32 v15, v13
	s_delay_alu instid0(VALU_DEP_2)
	s_and_saveexec_b32 s15, s0
; %bb.1637:                             ;   in Loop: Header=BB371_1567 Depth=1
	v_and_b32_e32 v2, 7, v13
	s_delay_alu instid0(VALU_DEP_1) | instskip(NEXT) | instid1(VALU_DEP_1)
	v_clz_i32_u32_e32 v2, v2
	v_min_u32_e32 v2, 32, v2
	s_delay_alu instid0(VALU_DEP_1) | instskip(SKIP_1) | instid1(VALU_DEP_2)
	v_subrev_nc_u32_e32 v5, 28, v2
	v_sub_nc_u32_e32 v2, 29, v2
	v_lshlrev_b64 v[15:16], v5, v[13:14]
; %bb.1638:                             ;   in Loop: Header=BB371_1567 Depth=1
	s_or_b32 exec_lo, exec_lo, s15
	v_lshlrev_b32_e32 v5, 8, v13
	s_delay_alu instid0(VALU_DEP_3) | instskip(NEXT) | instid1(VALU_DEP_3)
	v_lshl_add_u32 v2, v2, 10, 0x2000
	v_lshlrev_b32_e32 v15, 7, v15
	s_delay_alu instid0(VALU_DEP_2) | instskip(NEXT) | instid1(VALU_DEP_1)
	v_and_or_b32 v2, 0x8000, v5, v2
	v_and_or_b32 v2, 0x380, v15, v2
	s_delay_alu instid0(VALU_DEP_1)
	v_cvt_f32_f16_e32 v5, v2
.LBB371_1639:                           ;   in Loop: Header=BB371_1567 Depth=1
	s_or_b32 exec_lo, exec_lo, s13
.LBB371_1640:                           ;   in Loop: Header=BB371_1567 Depth=1
	s_delay_alu instid0(SALU_CYCLE_1)
	s_or_b32 exec_lo, exec_lo, s12
.LBB371_1641:                           ;   in Loop: Header=BB371_1567 Depth=1
	s_delay_alu instid0(SALU_CYCLE_1) | instskip(SKIP_2) | instid1(VALU_DEP_1)
	s_or_b32 exec_lo, exec_lo, s10
	v_lshrrev_b16 v2, 8, v13
	s_mov_b32 s10, exec_lo
	v_cmpx_ne_u16_e32 0, v2
	s_cbranch_execz .LBB371_1649
; %bb.1642:                             ;   in Loop: Header=BB371_1567 Depth=1
	v_bfrev_b32_e32 v6, 1
	s_mov_b32 s12, exec_lo
	v_cmpx_ne_u16_e32 0x80, v2
	s_cbranch_execz .LBB371_1648
; %bb.1643:                             ;   in Loop: Header=BB371_1567 Depth=1
	v_and_b32_e32 v22, 0xffff, v2
	v_mov_b32_e32 v6, 0x7fc02000
	s_mov_b32 s13, exec_lo
	s_delay_alu instid0(VALU_DEP_2) | instskip(NEXT) | instid1(VALU_DEP_1)
	v_and_b32_e32 v15, 0x7f, v22
	v_cmpx_ne_u32_e32 0x7f, v15
	s_cbranch_execz .LBB371_1647
; %bb.1644:                             ;   in Loop: Header=BB371_1567 Depth=1
	v_and_b32_e32 v2, 7, v22
	v_lshrrev_b32_e32 v6, 3, v15
	v_cmp_gt_u32_e64 s0, 8, v15
	s_delay_alu instid0(VALU_DEP_3) | instskip(NEXT) | instid1(VALU_DEP_2)
	v_dual_mov_b32 v16, v3 :: v_dual_mov_b32 v15, v2
	s_and_saveexec_b32 s15, s0
; %bb.1645:                             ;   in Loop: Header=BB371_1567 Depth=1
	v_clz_i32_u32_e32 v6, v2
	s_delay_alu instid0(VALU_DEP_1) | instskip(NEXT) | instid1(VALU_DEP_1)
	v_min_u32_e32 v6, 32, v6
	v_subrev_nc_u32_e32 v15, 28, v6
	v_sub_nc_u32_e32 v6, 29, v6
	s_delay_alu instid0(VALU_DEP_2) | instskip(NEXT) | instid1(VALU_DEP_1)
	v_lshlrev_b64 v[15:16], v15, v[2:3]
	v_and_b32_e32 v15, 7, v15
; %bb.1646:                             ;   in Loop: Header=BB371_1567 Depth=1
	s_or_b32 exec_lo, exec_lo, s15
	v_lshlrev_b32_e32 v2, 8, v22
	v_lshl_add_u32 v6, v6, 10, 0x2000
	s_delay_alu instid0(VALU_DEP_1) | instskip(NEXT) | instid1(VALU_DEP_1)
	v_and_or_b32 v2, 0x8000, v2, v6
	v_lshl_or_b32 v2, v15, 7, v2
	s_delay_alu instid0(VALU_DEP_1)
	v_cvt_f32_f16_e32 v6, v2
.LBB371_1647:                           ;   in Loop: Header=BB371_1567 Depth=1
	s_or_b32 exec_lo, exec_lo, s13
.LBB371_1648:                           ;   in Loop: Header=BB371_1567 Depth=1
	s_delay_alu instid0(SALU_CYCLE_1)
	s_or_b32 exec_lo, exec_lo, s12
.LBB371_1649:                           ;   in Loop: Header=BB371_1567 Depth=1
	s_delay_alu instid0(SALU_CYCLE_1) | instskip(SKIP_3) | instid1(VALU_DEP_2)
	s_or_b32 exec_lo, exec_lo, s10
	v_lshrrev_b32_e32 v34, 16, v13
	v_mov_b32_e32 v22, 0
	s_mov_b32 s10, exec_lo
	v_dual_mov_b32 v23, 0 :: v_dual_and_b32 v2, 0xff, v34
	s_delay_alu instid0(VALU_DEP_1)
	v_cmpx_ne_u16_e32 0, v2
	s_cbranch_execz .LBB371_1657
; %bb.1650:                             ;   in Loop: Header=BB371_1567 Depth=1
	v_bfrev_b32_e32 v22, 1
	s_mov_b32 s12, exec_lo
	v_cmpx_ne_u16_e32 0x80, v2
	s_cbranch_execz .LBB371_1656
; %bb.1651:                             ;   in Loop: Header=BB371_1567 Depth=1
	v_bfe_u32 v15, v13, 16, 7
	v_mov_b32_e32 v22, 0x7fc02000
	s_mov_b32 s13, exec_lo
	s_delay_alu instid0(VALU_DEP_2)
	v_cmpx_ne_u32_e32 0x7f, v15
	s_cbranch_execz .LBB371_1655
; %bb.1652:                             ;   in Loop: Header=BB371_1567 Depth=1
	v_and_b32_e32 v2, 7, v34
	v_lshrrev_b32_e32 v22, 3, v15
	v_cmp_gt_u32_e64 s0, 8, v15
	s_delay_alu instid0(VALU_DEP_3) | instskip(NEXT) | instid1(VALU_DEP_2)
	v_dual_mov_b32 v16, v3 :: v_dual_mov_b32 v15, v2
	s_and_saveexec_b32 s15, s0
; %bb.1653:                             ;   in Loop: Header=BB371_1567 Depth=1
	v_clz_i32_u32_e32 v15, v2
	s_delay_alu instid0(VALU_DEP_1) | instskip(NEXT) | instid1(VALU_DEP_1)
	v_min_u32_e32 v22, 32, v15
	v_subrev_nc_u32_e32 v15, 28, v22
	v_sub_nc_u32_e32 v22, 29, v22
	s_delay_alu instid0(VALU_DEP_2) | instskip(NEXT) | instid1(VALU_DEP_1)
	v_lshlrev_b64 v[15:16], v15, v[2:3]
	v_and_b32_e32 v15, 7, v15
; %bb.1654:                             ;   in Loop: Header=BB371_1567 Depth=1
	s_or_b32 exec_lo, exec_lo, s15
	v_lshlrev_b32_e32 v2, 8, v34
	v_lshl_add_u32 v16, v22, 10, 0x2000
	s_delay_alu instid0(VALU_DEP_1) | instskip(NEXT) | instid1(VALU_DEP_1)
	v_and_or_b32 v2, 0x8000, v2, v16
	v_lshl_or_b32 v2, v15, 7, v2
	s_delay_alu instid0(VALU_DEP_1)
	v_cvt_f32_f16_e32 v22, v2
.LBB371_1655:                           ;   in Loop: Header=BB371_1567 Depth=1
	s_or_b32 exec_lo, exec_lo, s13
.LBB371_1656:                           ;   in Loop: Header=BB371_1567 Depth=1
	s_delay_alu instid0(SALU_CYCLE_1)
	s_or_b32 exec_lo, exec_lo, s12
.LBB371_1657:                           ;   in Loop: Header=BB371_1567 Depth=1
	s_delay_alu instid0(SALU_CYCLE_1) | instskip(NEXT) | instid1(SALU_CYCLE_1)
	s_or_b32 exec_lo, exec_lo, s10
	s_mov_b32 s10, exec_lo
	v_cmpx_lt_u32_e32 0xffffff, v13
	s_cbranch_execz .LBB371_1665
; %bb.1658:                             ;   in Loop: Header=BB371_1567 Depth=1
	v_lshrrev_b32_e32 v34, 24, v13
	v_bfrev_b32_e32 v23, 1
	s_mov_b32 s12, exec_lo
	s_delay_alu instid0(VALU_DEP_2)
	v_cmpx_ne_u32_e32 0x80, v34
	s_cbranch_execz .LBB371_1664
; %bb.1659:                             ;   in Loop: Header=BB371_1567 Depth=1
	v_and_b32_e32 v15, 0x7f, v34
	v_mov_b32_e32 v23, 0x7fc02000
	s_mov_b32 s13, exec_lo
	s_delay_alu instid0(VALU_DEP_2)
	v_cmpx_ne_u32_e32 0x7f, v15
	s_cbranch_execz .LBB371_1663
; %bb.1660:                             ;   in Loop: Header=BB371_1567 Depth=1
	v_and_b32_e32 v2, 7, v34
	v_lshrrev_b32_e32 v23, 3, v15
	v_cmp_gt_u32_e64 s0, 8, v15
	s_delay_alu instid0(VALU_DEP_3) | instskip(NEXT) | instid1(VALU_DEP_2)
	v_dual_mov_b32 v16, v3 :: v_dual_mov_b32 v15, v2
	s_and_saveexec_b32 s15, s0
; %bb.1661:                             ;   in Loop: Header=BB371_1567 Depth=1
	v_clz_i32_u32_e32 v15, v2
	s_delay_alu instid0(VALU_DEP_1) | instskip(NEXT) | instid1(VALU_DEP_1)
	v_min_u32_e32 v23, 32, v15
	v_subrev_nc_u32_e32 v15, 28, v23
	v_sub_nc_u32_e32 v23, 29, v23
	s_delay_alu instid0(VALU_DEP_2) | instskip(NEXT) | instid1(VALU_DEP_1)
	v_lshlrev_b64 v[15:16], v15, v[2:3]
	v_and_b32_e32 v15, 7, v15
; %bb.1662:                             ;   in Loop: Header=BB371_1567 Depth=1
	s_or_b32 exec_lo, exec_lo, s15
	v_lshlrev_b32_e32 v2, 8, v34
	v_lshl_add_u32 v16, v23, 10, 0x2000
	s_delay_alu instid0(VALU_DEP_1) | instskip(NEXT) | instid1(VALU_DEP_1)
	v_and_or_b32 v2, 0x8000, v2, v16
	v_lshl_or_b32 v2, v15, 7, v2
	s_delay_alu instid0(VALU_DEP_1)
	v_cvt_f32_f16_e32 v23, v2
.LBB371_1663:                           ;   in Loop: Header=BB371_1567 Depth=1
	s_or_b32 exec_lo, exec_lo, s13
.LBB371_1664:                           ;   in Loop: Header=BB371_1567 Depth=1
	s_delay_alu instid0(SALU_CYCLE_1)
	s_or_b32 exec_lo, exec_lo, s12
.LBB371_1665:                           ;   in Loop: Header=BB371_1567 Depth=1
	s_delay_alu instid0(SALU_CYCLE_1) | instskip(SKIP_3) | instid1(VALU_DEP_2)
	s_or_b32 exec_lo, exec_lo, s10
	v_dual_mov_b32 v2, v14 :: v_dual_and_b32 v15, 0xff, v14
	v_dual_mov_b32 v35, 0 :: v_dual_mov_b32 v34, 0
	s_mov_b32 s10, exec_lo
	v_cmpx_ne_u16_e32 0, v15
	s_cbranch_execz .LBB371_1673
; %bb.1666:                             ;   in Loop: Header=BB371_1567 Depth=1
	v_bfrev_b32_e32 v34, 1
	s_mov_b32 s12, exec_lo
	v_cmpx_ne_u16_e32 0x80, v15
	s_cbranch_execz .LBB371_1672
; %bb.1667:                             ;   in Loop: Header=BB371_1567 Depth=1
	v_and_b32_e32 v15, 0x7f, v14
	v_mov_b32_e32 v34, 0x7fc02000
	s_mov_b32 s13, exec_lo
	s_delay_alu instid0(VALU_DEP_2)
	v_cmpx_ne_u32_e32 0x7f, v15
	s_cbranch_execz .LBB371_1671
; %bb.1668:                             ;   in Loop: Header=BB371_1567 Depth=1
	v_lshrrev_b32_e32 v34, 3, v15
	v_cmp_gt_u32_e64 s0, 8, v15
	v_dual_mov_b32 v16, v3 :: v_dual_mov_b32 v15, v2
	s_delay_alu instid0(VALU_DEP_2)
	s_and_saveexec_b32 s15, s0
; %bb.1669:                             ;   in Loop: Header=BB371_1567 Depth=1
	v_and_b32_e32 v15, 7, v14
	s_delay_alu instid0(VALU_DEP_1) | instskip(NEXT) | instid1(VALU_DEP_1)
	v_clz_i32_u32_e32 v15, v15
	v_min_u32_e32 v34, 32, v15
	s_delay_alu instid0(VALU_DEP_1) | instskip(SKIP_1) | instid1(VALU_DEP_2)
	v_subrev_nc_u32_e32 v15, 28, v34
	v_sub_nc_u32_e32 v34, 29, v34
	v_lshlrev_b64 v[15:16], v15, v[2:3]
; %bb.1670:                             ;   in Loop: Header=BB371_1567 Depth=1
	s_or_b32 exec_lo, exec_lo, s15
	v_lshlrev_b32_e32 v16, 8, v14
	s_delay_alu instid0(VALU_DEP_3) | instskip(NEXT) | instid1(VALU_DEP_3)
	v_lshl_add_u32 v34, v34, 10, 0x2000
	v_lshlrev_b32_e32 v15, 7, v15
	s_delay_alu instid0(VALU_DEP_2) | instskip(NEXT) | instid1(VALU_DEP_1)
	v_and_or_b32 v16, 0x8000, v16, v34
	v_and_or_b32 v15, 0x380, v15, v16
	s_delay_alu instid0(VALU_DEP_1)
	v_cvt_f32_f16_e32 v34, v15
.LBB371_1671:                           ;   in Loop: Header=BB371_1567 Depth=1
	s_or_b32 exec_lo, exec_lo, s13
.LBB371_1672:                           ;   in Loop: Header=BB371_1567 Depth=1
	s_delay_alu instid0(SALU_CYCLE_1)
	s_or_b32 exec_lo, exec_lo, s12
.LBB371_1673:                           ;   in Loop: Header=BB371_1567 Depth=1
	s_delay_alu instid0(SALU_CYCLE_1) | instskip(SKIP_2) | instid1(VALU_DEP_1)
	s_or_b32 exec_lo, exec_lo, s10
	v_lshrrev_b16 v2, 8, v2
	s_mov_b32 s10, exec_lo
	v_cmpx_ne_u16_e32 0, v2
	s_cbranch_execz .LBB371_1681
; %bb.1674:                             ;   in Loop: Header=BB371_1567 Depth=1
	v_bfrev_b32_e32 v35, 1
	s_mov_b32 s12, exec_lo
	v_cmpx_ne_u16_e32 0x80, v2
	s_cbranch_execz .LBB371_1680
; %bb.1675:                             ;   in Loop: Header=BB371_1567 Depth=1
	v_and_b32_e32 v36, 0xffff, v2
	v_mov_b32_e32 v35, 0x7fc02000
	s_mov_b32 s13, exec_lo
	s_delay_alu instid0(VALU_DEP_2) | instskip(NEXT) | instid1(VALU_DEP_1)
	v_and_b32_e32 v15, 0x7f, v36
	v_cmpx_ne_u32_e32 0x7f, v15
	s_cbranch_execz .LBB371_1679
; %bb.1676:                             ;   in Loop: Header=BB371_1567 Depth=1
	v_and_b32_e32 v2, 7, v36
	v_lshrrev_b32_e32 v35, 3, v15
	v_cmp_gt_u32_e64 s0, 8, v15
	s_delay_alu instid0(VALU_DEP_3) | instskip(NEXT) | instid1(VALU_DEP_2)
	v_dual_mov_b32 v16, v3 :: v_dual_mov_b32 v15, v2
	s_and_saveexec_b32 s15, s0
; %bb.1677:                             ;   in Loop: Header=BB371_1567 Depth=1
	v_clz_i32_u32_e32 v15, v2
	s_delay_alu instid0(VALU_DEP_1) | instskip(NEXT) | instid1(VALU_DEP_1)
	v_min_u32_e32 v35, 32, v15
	v_subrev_nc_u32_e32 v15, 28, v35
	v_sub_nc_u32_e32 v35, 29, v35
	s_delay_alu instid0(VALU_DEP_2) | instskip(NEXT) | instid1(VALU_DEP_1)
	v_lshlrev_b64 v[15:16], v15, v[2:3]
	v_and_b32_e32 v15, 7, v15
; %bb.1678:                             ;   in Loop: Header=BB371_1567 Depth=1
	s_or_b32 exec_lo, exec_lo, s15
	v_lshlrev_b32_e32 v2, 8, v36
	v_lshl_add_u32 v16, v35, 10, 0x2000
	s_delay_alu instid0(VALU_DEP_1) | instskip(NEXT) | instid1(VALU_DEP_1)
	v_and_or_b32 v2, 0x8000, v2, v16
	v_lshl_or_b32 v2, v15, 7, v2
	s_delay_alu instid0(VALU_DEP_1)
	v_cvt_f32_f16_e32 v35, v2
.LBB371_1679:                           ;   in Loop: Header=BB371_1567 Depth=1
	s_or_b32 exec_lo, exec_lo, s13
.LBB371_1680:                           ;   in Loop: Header=BB371_1567 Depth=1
	s_delay_alu instid0(SALU_CYCLE_1)
	s_or_b32 exec_lo, exec_lo, s12
.LBB371_1681:                           ;   in Loop: Header=BB371_1567 Depth=1
	s_delay_alu instid0(SALU_CYCLE_1) | instskip(SKIP_3) | instid1(VALU_DEP_2)
	s_or_b32 exec_lo, exec_lo, s10
	v_lshrrev_b32_e32 v118, 16, v14
	v_mov_b32_e32 v36, 0
	s_mov_b32 s10, exec_lo
	v_dual_mov_b32 v15, 0 :: v_dual_and_b32 v2, 0xff, v118
	s_delay_alu instid0(VALU_DEP_1)
	v_cmpx_ne_u16_e32 0, v2
	s_cbranch_execz .LBB371_1689
; %bb.1682:                             ;   in Loop: Header=BB371_1567 Depth=1
	v_bfrev_b32_e32 v15, 1
	s_mov_b32 s12, exec_lo
	v_cmpx_ne_u16_e32 0x80, v2
	s_cbranch_execz .LBB371_1688
; %bb.1683:                             ;   in Loop: Header=BB371_1567 Depth=1
	v_bfe_u32 v16, v14, 16, 7
	v_mov_b32_e32 v15, 0x7fc02000
	s_mov_b32 s13, exec_lo
	s_delay_alu instid0(VALU_DEP_2)
	v_cmpx_ne_u32_e32 0x7f, v16
	s_cbranch_execz .LBB371_1687
; %bb.1684:                             ;   in Loop: Header=BB371_1567 Depth=1
	v_and_b32_e32 v2, 7, v118
	v_lshrrev_b32_e32 v119, 3, v16
	v_cmp_gt_u32_e64 s0, 8, v16
	s_delay_alu instid0(VALU_DEP_3) | instskip(NEXT) | instid1(VALU_DEP_2)
	v_dual_mov_b32 v16, v3 :: v_dual_mov_b32 v15, v2
	s_and_saveexec_b32 s15, s0
; %bb.1685:                             ;   in Loop: Header=BB371_1567 Depth=1
	v_clz_i32_u32_e32 v15, v2
	s_delay_alu instid0(VALU_DEP_1) | instskip(NEXT) | instid1(VALU_DEP_1)
	v_min_u32_e32 v119, 32, v15
	v_subrev_nc_u32_e32 v15, 28, v119
	v_sub_nc_u32_e32 v119, 29, v119
	s_delay_alu instid0(VALU_DEP_2) | instskip(NEXT) | instid1(VALU_DEP_1)
	v_lshlrev_b64 v[15:16], v15, v[2:3]
	v_and_b32_e32 v15, 7, v15
; %bb.1686:                             ;   in Loop: Header=BB371_1567 Depth=1
	s_or_b32 exec_lo, exec_lo, s15
	v_lshlrev_b32_e32 v2, 8, v118
	v_lshl_add_u32 v16, v119, 10, 0x2000
	s_delay_alu instid0(VALU_DEP_1) | instskip(NEXT) | instid1(VALU_DEP_1)
	v_and_or_b32 v2, 0x8000, v2, v16
	v_lshl_or_b32 v2, v15, 7, v2
	s_delay_alu instid0(VALU_DEP_1)
	v_cvt_f32_f16_e32 v15, v2
.LBB371_1687:                           ;   in Loop: Header=BB371_1567 Depth=1
	s_or_b32 exec_lo, exec_lo, s13
.LBB371_1688:                           ;   in Loop: Header=BB371_1567 Depth=1
	s_delay_alu instid0(SALU_CYCLE_1)
	s_or_b32 exec_lo, exec_lo, s12
.LBB371_1689:                           ;   in Loop: Header=BB371_1567 Depth=1
	s_delay_alu instid0(SALU_CYCLE_1) | instskip(NEXT) | instid1(SALU_CYCLE_1)
	s_or_b32 exec_lo, exec_lo, s10
	s_mov_b32 s10, exec_lo
	v_cmpx_lt_u64_e64 s[8:9], v[13:14]
	s_cbranch_execz .LBB371_1697
; %bb.1690:                             ;   in Loop: Header=BB371_1567 Depth=1
	v_lshrrev_b32_e32 v16, 24, v14
	v_bfrev_b32_e32 v36, 1
	s_mov_b32 s12, exec_lo
	s_delay_alu instid0(VALU_DEP_2)
	v_cmpx_ne_u32_e32 0x80, v16
	s_cbranch_execz .LBB371_1696
; %bb.1691:                             ;   in Loop: Header=BB371_1567 Depth=1
	v_and_b32_e32 v13, 0x7f, v16
	v_mov_b32_e32 v36, 0x7fc02000
	s_mov_b32 s13, exec_lo
	s_delay_alu instid0(VALU_DEP_2)
	v_cmpx_ne_u32_e32 0x7f, v13
	s_cbranch_execz .LBB371_1695
; %bb.1692:                             ;   in Loop: Header=BB371_1567 Depth=1
	v_and_b32_e32 v2, 7, v16
	v_lshrrev_b32_e32 v36, 3, v13
	v_cmp_gt_u32_e64 s0, 8, v13
	s_delay_alu instid0(VALU_DEP_3) | instskip(NEXT) | instid1(VALU_DEP_2)
	v_dual_mov_b32 v14, v3 :: v_dual_mov_b32 v13, v2
	s_and_saveexec_b32 s15, s0
; %bb.1693:                             ;   in Loop: Header=BB371_1567 Depth=1
	v_clz_i32_u32_e32 v13, v2
	s_delay_alu instid0(VALU_DEP_1) | instskip(NEXT) | instid1(VALU_DEP_1)
	v_min_u32_e32 v36, 32, v13
	v_subrev_nc_u32_e32 v13, 28, v36
	v_sub_nc_u32_e32 v36, 29, v36
	s_delay_alu instid0(VALU_DEP_2) | instskip(NEXT) | instid1(VALU_DEP_1)
	v_lshlrev_b64 v[13:14], v13, v[2:3]
	v_and_b32_e32 v13, 7, v13
; %bb.1694:                             ;   in Loop: Header=BB371_1567 Depth=1
	s_or_b32 exec_lo, exec_lo, s15
	v_lshlrev_b32_e32 v2, 8, v16
	v_lshl_add_u32 v14, v36, 10, 0x2000
	s_delay_alu instid0(VALU_DEP_1) | instskip(NEXT) | instid1(VALU_DEP_1)
	v_and_or_b32 v2, 0x8000, v2, v14
	v_lshl_or_b32 v2, v13, 7, v2
	s_delay_alu instid0(VALU_DEP_1)
	v_cvt_f32_f16_e32 v36, v2
.LBB371_1695:                           ;   in Loop: Header=BB371_1567 Depth=1
	s_or_b32 exec_lo, exec_lo, s13
.LBB371_1696:                           ;   in Loop: Header=BB371_1567 Depth=1
	s_delay_alu instid0(SALU_CYCLE_1)
	s_or_b32 exec_lo, exec_lo, s12
.LBB371_1697:                           ;   in Loop: Header=BB371_1567 Depth=1
	s_delay_alu instid0(SALU_CYCLE_1)
	s_or_b32 exec_lo, exec_lo, s10
	s_waitcnt vmcnt(0) lgkmcnt(0)
	v_fma_mixlo_f16 v6, v4, v6, 0
	v_fma_mixlo_f16 v2, v4, v23, 0
	;; [unrolled: 1-line block ×5, first 2 shown]
	v_lshlrev_b32_e32 v14, 16, v6
	v_fma_mixlo_f16 v6, v4, v5, 0
	v_fma_mixlo_f16 v23, v4, v36, 0
	;; [unrolled: 1-line block ×3, first 2 shown]
	v_lshlrev_b32_e32 v2, 16, v2
	v_and_b32_e32 v13, 0xffff, v13
	v_and_b32_e32 v4, 0xffff, v6
	v_lshlrev_b32_e32 v15, 16, v16
	v_and_b32_e32 v16, 0xffff, v22
	v_lshlrev_b32_e32 v22, 16, v23
	v_and_b32_e32 v23, 0xffff, v5
	v_or_b32_e32 v6, v2, v13
	v_or_b32_e32 v13, v14, v4
	;; [unrolled: 1-line block ×3, first 2 shown]
	s_delay_alu instid0(VALU_DEP_4)
	v_or_b32_e32 v4, v22, v23
	s_and_saveexec_b32 s10, vcc_lo
	s_cbranch_execz .LBB371_1699
; %bb.1698:                             ;   in Loop: Header=BB371_1567 Depth=1
	v_cmp_lt_i32_e64 s0, v17, v37
	v_lshrrev_b32_e32 v14, 16, v13
	v_lshrrev_b32_e32 v15, 16, v6
	;; [unrolled: 1-line block ×4, first 2 shown]
	v_cndmask_b32_e64 v13, 0, v13, s0
	v_cmp_lt_i32_e64 s0, v117, v87
	s_delay_alu instid0(VALU_DEP_1) | instskip(SKIP_1) | instid1(VALU_DEP_2)
	v_cndmask_b32_e64 v14, 0, v14, s0
	v_cmp_lt_i32_e64 s0, v116, v87
	v_perm_b32 v13, v14, v13, 0x5040100
	s_delay_alu instid0(VALU_DEP_2) | instskip(SKIP_1) | instid1(VALU_DEP_1)
	v_cndmask_b32_e64 v15, 0, v15, s0
	v_cmp_lt_i32_e64 s0, v115, v37
	v_cndmask_b32_e64 v6, 0, v6, s0
	v_cmp_lt_i32_e64 s0, v114, v87
	s_delay_alu instid0(VALU_DEP_2) | instskip(NEXT) | instid1(VALU_DEP_2)
	v_perm_b32 v6, v15, v6, 0x5040100
	v_cndmask_b32_e64 v16, 0, v16, s0
	v_cmp_lt_i32_e64 s0, v113, v37
	s_delay_alu instid0(VALU_DEP_1) | instskip(SKIP_1) | instid1(VALU_DEP_2)
	v_cndmask_b32_e64 v2, 0, v2, s0
	v_cmp_lt_i32_e64 s0, v112, v87
	v_perm_b32 v2, v16, v2, 0x5040100
	s_delay_alu instid0(VALU_DEP_2) | instskip(SKIP_1) | instid1(VALU_DEP_1)
	v_cndmask_b32_e64 v4, 0, v4, s0
	v_cmp_lt_i32_e64 s0, v103, v37
	v_cndmask_b32_e64 v5, 0, v5, s0
	s_delay_alu instid0(VALU_DEP_1)
	v_perm_b32 v4, v4, v5, 0x5040100
.LBB371_1699:                           ;   in Loop: Header=BB371_1567 Depth=1
	s_or_b32 exec_lo, exec_lo, s10
	;;#ASMSTART
	v_pk_mul_f16 v5, v102, v13;

	;;#ASMEND
	;;#ASMSTART
	v_pk_mul_f16 v6, v100, v6;

	;;#ASMEND
	;; [unrolled: 4-line block ×4, first 2 shown]
	;;#ASMSTART
	v_pk_add_f16 v5, v5, v6;

	;;#ASMEND
	;;#ASMSTART
	v_pk_add_f16 v2, v5, v2;

	;;#ASMEND
	;; [unrolled: 4-line block ×3, first 2 shown]
	v_dual_mov_b32 v5, 0 :: v_dual_and_b32 v4, 0xffff, v2
	v_lshrrev_b32_e32 v2, 16, v2
	;;#ASMSTART
	v_cvt_f32_f16 v118, v4;
	;;#ASMEND
	;;#ASMSTART
	v_cvt_f32_f16 v119, v2;
	;;#ASMEND
	flat_load_b64 v[13:14], v[11:12] offset:512
	flat_load_b32 v4, v[26:27]
	v_mov_b32_e32 v6, 0
	s_mov_b32 s10, exec_lo
	s_waitcnt vmcnt(1) lgkmcnt(1)
	v_and_b32_e32 v2, 0xff, v13
	s_delay_alu instid0(VALU_DEP_1)
	v_cmpx_ne_u16_e32 0, v2
	s_cbranch_execz .LBB371_1707
; %bb.1700:                             ;   in Loop: Header=BB371_1567 Depth=1
	v_bfrev_b32_e32 v5, 1
	s_mov_b32 s12, exec_lo
	v_cmpx_ne_u16_e32 0x80, v2
	s_cbranch_execz .LBB371_1706
; %bb.1701:                             ;   in Loop: Header=BB371_1567 Depth=1
	v_and_b32_e32 v15, 0x7f, v13
	v_mov_b32_e32 v5, 0x7fc02000
	s_mov_b32 s13, exec_lo
	s_delay_alu instid0(VALU_DEP_2)
	v_cmpx_ne_u32_e32 0x7f, v15
	s_cbranch_execz .LBB371_1705
; %bb.1702:                             ;   in Loop: Header=BB371_1567 Depth=1
	v_lshrrev_b32_e32 v2, 3, v15
	v_cmp_gt_u32_e64 s0, 8, v15
	v_dual_mov_b32 v16, v14 :: v_dual_mov_b32 v15, v13
	s_delay_alu instid0(VALU_DEP_2)
	s_and_saveexec_b32 s15, s0
; %bb.1703:                             ;   in Loop: Header=BB371_1567 Depth=1
	v_and_b32_e32 v2, 7, v13
	s_delay_alu instid0(VALU_DEP_1) | instskip(NEXT) | instid1(VALU_DEP_1)
	v_clz_i32_u32_e32 v2, v2
	v_min_u32_e32 v2, 32, v2
	s_delay_alu instid0(VALU_DEP_1) | instskip(SKIP_1) | instid1(VALU_DEP_2)
	v_subrev_nc_u32_e32 v5, 28, v2
	v_sub_nc_u32_e32 v2, 29, v2
	v_lshlrev_b64 v[15:16], v5, v[13:14]
; %bb.1704:                             ;   in Loop: Header=BB371_1567 Depth=1
	s_or_b32 exec_lo, exec_lo, s15
	v_lshlrev_b32_e32 v5, 8, v13
	s_delay_alu instid0(VALU_DEP_3) | instskip(NEXT) | instid1(VALU_DEP_3)
	v_lshl_add_u32 v2, v2, 10, 0x2000
	v_lshlrev_b32_e32 v15, 7, v15
	s_delay_alu instid0(VALU_DEP_2) | instskip(NEXT) | instid1(VALU_DEP_1)
	v_and_or_b32 v2, 0x8000, v5, v2
	v_and_or_b32 v2, 0x380, v15, v2
	s_delay_alu instid0(VALU_DEP_1)
	v_cvt_f32_f16_e32 v5, v2
.LBB371_1705:                           ;   in Loop: Header=BB371_1567 Depth=1
	s_or_b32 exec_lo, exec_lo, s13
.LBB371_1706:                           ;   in Loop: Header=BB371_1567 Depth=1
	s_delay_alu instid0(SALU_CYCLE_1)
	s_or_b32 exec_lo, exec_lo, s12
.LBB371_1707:                           ;   in Loop: Header=BB371_1567 Depth=1
	s_delay_alu instid0(SALU_CYCLE_1) | instskip(SKIP_2) | instid1(VALU_DEP_1)
	s_or_b32 exec_lo, exec_lo, s10
	v_lshrrev_b16 v2, 8, v13
	s_mov_b32 s10, exec_lo
	v_cmpx_ne_u16_e32 0, v2
	s_cbranch_execz .LBB371_1715
; %bb.1708:                             ;   in Loop: Header=BB371_1567 Depth=1
	v_bfrev_b32_e32 v6, 1
	s_mov_b32 s12, exec_lo
	v_cmpx_ne_u16_e32 0x80, v2
	s_cbranch_execz .LBB371_1714
; %bb.1709:                             ;   in Loop: Header=BB371_1567 Depth=1
	v_and_b32_e32 v22, 0xffff, v2
	v_mov_b32_e32 v6, 0x7fc02000
	s_mov_b32 s13, exec_lo
	s_delay_alu instid0(VALU_DEP_2) | instskip(NEXT) | instid1(VALU_DEP_1)
	v_and_b32_e32 v15, 0x7f, v22
	v_cmpx_ne_u32_e32 0x7f, v15
	s_cbranch_execz .LBB371_1713
; %bb.1710:                             ;   in Loop: Header=BB371_1567 Depth=1
	v_and_b32_e32 v2, 7, v22
	v_lshrrev_b32_e32 v6, 3, v15
	v_cmp_gt_u32_e64 s0, 8, v15
	s_delay_alu instid0(VALU_DEP_3) | instskip(NEXT) | instid1(VALU_DEP_2)
	v_dual_mov_b32 v16, v3 :: v_dual_mov_b32 v15, v2
	s_and_saveexec_b32 s15, s0
; %bb.1711:                             ;   in Loop: Header=BB371_1567 Depth=1
	v_clz_i32_u32_e32 v6, v2
	s_delay_alu instid0(VALU_DEP_1) | instskip(NEXT) | instid1(VALU_DEP_1)
	v_min_u32_e32 v6, 32, v6
	v_subrev_nc_u32_e32 v15, 28, v6
	v_sub_nc_u32_e32 v6, 29, v6
	s_delay_alu instid0(VALU_DEP_2) | instskip(NEXT) | instid1(VALU_DEP_1)
	v_lshlrev_b64 v[15:16], v15, v[2:3]
	v_and_b32_e32 v15, 7, v15
; %bb.1712:                             ;   in Loop: Header=BB371_1567 Depth=1
	s_or_b32 exec_lo, exec_lo, s15
	v_lshlrev_b32_e32 v2, 8, v22
	v_lshl_add_u32 v6, v6, 10, 0x2000
	s_delay_alu instid0(VALU_DEP_1) | instskip(NEXT) | instid1(VALU_DEP_1)
	v_and_or_b32 v2, 0x8000, v2, v6
	v_lshl_or_b32 v2, v15, 7, v2
	s_delay_alu instid0(VALU_DEP_1)
	v_cvt_f32_f16_e32 v6, v2
.LBB371_1713:                           ;   in Loop: Header=BB371_1567 Depth=1
	s_or_b32 exec_lo, exec_lo, s13
.LBB371_1714:                           ;   in Loop: Header=BB371_1567 Depth=1
	s_delay_alu instid0(SALU_CYCLE_1)
	s_or_b32 exec_lo, exec_lo, s12
.LBB371_1715:                           ;   in Loop: Header=BB371_1567 Depth=1
	s_delay_alu instid0(SALU_CYCLE_1) | instskip(SKIP_3) | instid1(VALU_DEP_2)
	s_or_b32 exec_lo, exec_lo, s10
	v_lshrrev_b32_e32 v34, 16, v13
	v_mov_b32_e32 v22, 0
	s_mov_b32 s10, exec_lo
	v_dual_mov_b32 v23, 0 :: v_dual_and_b32 v2, 0xff, v34
	s_delay_alu instid0(VALU_DEP_1)
	v_cmpx_ne_u16_e32 0, v2
	s_cbranch_execz .LBB371_1723
; %bb.1716:                             ;   in Loop: Header=BB371_1567 Depth=1
	v_bfrev_b32_e32 v22, 1
	s_mov_b32 s12, exec_lo
	v_cmpx_ne_u16_e32 0x80, v2
	s_cbranch_execz .LBB371_1722
; %bb.1717:                             ;   in Loop: Header=BB371_1567 Depth=1
	v_bfe_u32 v15, v13, 16, 7
	v_mov_b32_e32 v22, 0x7fc02000
	s_mov_b32 s13, exec_lo
	s_delay_alu instid0(VALU_DEP_2)
	v_cmpx_ne_u32_e32 0x7f, v15
	s_cbranch_execz .LBB371_1721
; %bb.1718:                             ;   in Loop: Header=BB371_1567 Depth=1
	v_and_b32_e32 v2, 7, v34
	v_lshrrev_b32_e32 v22, 3, v15
	v_cmp_gt_u32_e64 s0, 8, v15
	s_delay_alu instid0(VALU_DEP_3) | instskip(NEXT) | instid1(VALU_DEP_2)
	v_dual_mov_b32 v16, v3 :: v_dual_mov_b32 v15, v2
	s_and_saveexec_b32 s15, s0
; %bb.1719:                             ;   in Loop: Header=BB371_1567 Depth=1
	v_clz_i32_u32_e32 v15, v2
	s_delay_alu instid0(VALU_DEP_1) | instskip(NEXT) | instid1(VALU_DEP_1)
	v_min_u32_e32 v22, 32, v15
	v_subrev_nc_u32_e32 v15, 28, v22
	v_sub_nc_u32_e32 v22, 29, v22
	s_delay_alu instid0(VALU_DEP_2) | instskip(NEXT) | instid1(VALU_DEP_1)
	v_lshlrev_b64 v[15:16], v15, v[2:3]
	v_and_b32_e32 v15, 7, v15
; %bb.1720:                             ;   in Loop: Header=BB371_1567 Depth=1
	s_or_b32 exec_lo, exec_lo, s15
	v_lshlrev_b32_e32 v2, 8, v34
	v_lshl_add_u32 v16, v22, 10, 0x2000
	s_delay_alu instid0(VALU_DEP_1) | instskip(NEXT) | instid1(VALU_DEP_1)
	v_and_or_b32 v2, 0x8000, v2, v16
	v_lshl_or_b32 v2, v15, 7, v2
	s_delay_alu instid0(VALU_DEP_1)
	v_cvt_f32_f16_e32 v22, v2
.LBB371_1721:                           ;   in Loop: Header=BB371_1567 Depth=1
	s_or_b32 exec_lo, exec_lo, s13
.LBB371_1722:                           ;   in Loop: Header=BB371_1567 Depth=1
	s_delay_alu instid0(SALU_CYCLE_1)
	s_or_b32 exec_lo, exec_lo, s12
.LBB371_1723:                           ;   in Loop: Header=BB371_1567 Depth=1
	s_delay_alu instid0(SALU_CYCLE_1) | instskip(NEXT) | instid1(SALU_CYCLE_1)
	s_or_b32 exec_lo, exec_lo, s10
	s_mov_b32 s10, exec_lo
	v_cmpx_lt_u32_e32 0xffffff, v13
	s_cbranch_execz .LBB371_1731
; %bb.1724:                             ;   in Loop: Header=BB371_1567 Depth=1
	v_lshrrev_b32_e32 v34, 24, v13
	v_bfrev_b32_e32 v23, 1
	s_mov_b32 s12, exec_lo
	s_delay_alu instid0(VALU_DEP_2)
	v_cmpx_ne_u32_e32 0x80, v34
	s_cbranch_execz .LBB371_1730
; %bb.1725:                             ;   in Loop: Header=BB371_1567 Depth=1
	v_and_b32_e32 v15, 0x7f, v34
	v_mov_b32_e32 v23, 0x7fc02000
	s_mov_b32 s13, exec_lo
	s_delay_alu instid0(VALU_DEP_2)
	v_cmpx_ne_u32_e32 0x7f, v15
	s_cbranch_execz .LBB371_1729
; %bb.1726:                             ;   in Loop: Header=BB371_1567 Depth=1
	v_and_b32_e32 v2, 7, v34
	v_lshrrev_b32_e32 v23, 3, v15
	v_cmp_gt_u32_e64 s0, 8, v15
	s_delay_alu instid0(VALU_DEP_3) | instskip(NEXT) | instid1(VALU_DEP_2)
	v_dual_mov_b32 v16, v3 :: v_dual_mov_b32 v15, v2
	s_and_saveexec_b32 s15, s0
; %bb.1727:                             ;   in Loop: Header=BB371_1567 Depth=1
	v_clz_i32_u32_e32 v15, v2
	s_delay_alu instid0(VALU_DEP_1) | instskip(NEXT) | instid1(VALU_DEP_1)
	v_min_u32_e32 v23, 32, v15
	v_subrev_nc_u32_e32 v15, 28, v23
	v_sub_nc_u32_e32 v23, 29, v23
	s_delay_alu instid0(VALU_DEP_2) | instskip(NEXT) | instid1(VALU_DEP_1)
	v_lshlrev_b64 v[15:16], v15, v[2:3]
	v_and_b32_e32 v15, 7, v15
; %bb.1728:                             ;   in Loop: Header=BB371_1567 Depth=1
	s_or_b32 exec_lo, exec_lo, s15
	v_lshlrev_b32_e32 v2, 8, v34
	v_lshl_add_u32 v16, v23, 10, 0x2000
	s_delay_alu instid0(VALU_DEP_1) | instskip(NEXT) | instid1(VALU_DEP_1)
	v_and_or_b32 v2, 0x8000, v2, v16
	v_lshl_or_b32 v2, v15, 7, v2
	s_delay_alu instid0(VALU_DEP_1)
	v_cvt_f32_f16_e32 v23, v2
.LBB371_1729:                           ;   in Loop: Header=BB371_1567 Depth=1
	s_or_b32 exec_lo, exec_lo, s13
.LBB371_1730:                           ;   in Loop: Header=BB371_1567 Depth=1
	s_delay_alu instid0(SALU_CYCLE_1)
	s_or_b32 exec_lo, exec_lo, s12
.LBB371_1731:                           ;   in Loop: Header=BB371_1567 Depth=1
	s_delay_alu instid0(SALU_CYCLE_1) | instskip(SKIP_3) | instid1(VALU_DEP_2)
	s_or_b32 exec_lo, exec_lo, s10
	v_dual_mov_b32 v2, v14 :: v_dual_and_b32 v15, 0xff, v14
	v_dual_mov_b32 v35, 0 :: v_dual_mov_b32 v34, 0
	s_mov_b32 s10, exec_lo
	v_cmpx_ne_u16_e32 0, v15
	s_cbranch_execz .LBB371_1739
; %bb.1732:                             ;   in Loop: Header=BB371_1567 Depth=1
	v_bfrev_b32_e32 v34, 1
	s_mov_b32 s12, exec_lo
	v_cmpx_ne_u16_e32 0x80, v15
	s_cbranch_execz .LBB371_1738
; %bb.1733:                             ;   in Loop: Header=BB371_1567 Depth=1
	v_and_b32_e32 v15, 0x7f, v14
	v_mov_b32_e32 v34, 0x7fc02000
	s_mov_b32 s13, exec_lo
	s_delay_alu instid0(VALU_DEP_2)
	v_cmpx_ne_u32_e32 0x7f, v15
	s_cbranch_execz .LBB371_1737
; %bb.1734:                             ;   in Loop: Header=BB371_1567 Depth=1
	v_lshrrev_b32_e32 v34, 3, v15
	v_cmp_gt_u32_e64 s0, 8, v15
	v_dual_mov_b32 v16, v3 :: v_dual_mov_b32 v15, v2
	s_delay_alu instid0(VALU_DEP_2)
	s_and_saveexec_b32 s15, s0
; %bb.1735:                             ;   in Loop: Header=BB371_1567 Depth=1
	v_and_b32_e32 v15, 7, v14
	s_delay_alu instid0(VALU_DEP_1) | instskip(NEXT) | instid1(VALU_DEP_1)
	v_clz_i32_u32_e32 v15, v15
	v_min_u32_e32 v34, 32, v15
	s_delay_alu instid0(VALU_DEP_1) | instskip(SKIP_1) | instid1(VALU_DEP_2)
	v_subrev_nc_u32_e32 v15, 28, v34
	v_sub_nc_u32_e32 v34, 29, v34
	v_lshlrev_b64 v[15:16], v15, v[2:3]
; %bb.1736:                             ;   in Loop: Header=BB371_1567 Depth=1
	s_or_b32 exec_lo, exec_lo, s15
	v_lshlrev_b32_e32 v16, 8, v14
	s_delay_alu instid0(VALU_DEP_3) | instskip(NEXT) | instid1(VALU_DEP_3)
	v_lshl_add_u32 v34, v34, 10, 0x2000
	v_lshlrev_b32_e32 v15, 7, v15
	s_delay_alu instid0(VALU_DEP_2) | instskip(NEXT) | instid1(VALU_DEP_1)
	v_and_or_b32 v16, 0x8000, v16, v34
	v_and_or_b32 v15, 0x380, v15, v16
	s_delay_alu instid0(VALU_DEP_1)
	v_cvt_f32_f16_e32 v34, v15
.LBB371_1737:                           ;   in Loop: Header=BB371_1567 Depth=1
	s_or_b32 exec_lo, exec_lo, s13
.LBB371_1738:                           ;   in Loop: Header=BB371_1567 Depth=1
	s_delay_alu instid0(SALU_CYCLE_1)
	s_or_b32 exec_lo, exec_lo, s12
.LBB371_1739:                           ;   in Loop: Header=BB371_1567 Depth=1
	s_delay_alu instid0(SALU_CYCLE_1) | instskip(SKIP_2) | instid1(VALU_DEP_1)
	s_or_b32 exec_lo, exec_lo, s10
	v_lshrrev_b16 v2, 8, v2
	s_mov_b32 s10, exec_lo
	v_cmpx_ne_u16_e32 0, v2
	s_cbranch_execz .LBB371_1747
; %bb.1740:                             ;   in Loop: Header=BB371_1567 Depth=1
	v_bfrev_b32_e32 v35, 1
	s_mov_b32 s12, exec_lo
	v_cmpx_ne_u16_e32 0x80, v2
	s_cbranch_execz .LBB371_1746
; %bb.1741:                             ;   in Loop: Header=BB371_1567 Depth=1
	v_and_b32_e32 v36, 0xffff, v2
	v_mov_b32_e32 v35, 0x7fc02000
	s_mov_b32 s13, exec_lo
	s_delay_alu instid0(VALU_DEP_2) | instskip(NEXT) | instid1(VALU_DEP_1)
	v_and_b32_e32 v15, 0x7f, v36
	v_cmpx_ne_u32_e32 0x7f, v15
	s_cbranch_execz .LBB371_1745
; %bb.1742:                             ;   in Loop: Header=BB371_1567 Depth=1
	v_and_b32_e32 v2, 7, v36
	v_lshrrev_b32_e32 v35, 3, v15
	v_cmp_gt_u32_e64 s0, 8, v15
	s_delay_alu instid0(VALU_DEP_3) | instskip(NEXT) | instid1(VALU_DEP_2)
	v_dual_mov_b32 v16, v3 :: v_dual_mov_b32 v15, v2
	s_and_saveexec_b32 s15, s0
; %bb.1743:                             ;   in Loop: Header=BB371_1567 Depth=1
	v_clz_i32_u32_e32 v15, v2
	s_delay_alu instid0(VALU_DEP_1) | instskip(NEXT) | instid1(VALU_DEP_1)
	v_min_u32_e32 v35, 32, v15
	v_subrev_nc_u32_e32 v15, 28, v35
	v_sub_nc_u32_e32 v35, 29, v35
	s_delay_alu instid0(VALU_DEP_2) | instskip(NEXT) | instid1(VALU_DEP_1)
	v_lshlrev_b64 v[15:16], v15, v[2:3]
	v_and_b32_e32 v15, 7, v15
; %bb.1744:                             ;   in Loop: Header=BB371_1567 Depth=1
	s_or_b32 exec_lo, exec_lo, s15
	v_lshlrev_b32_e32 v2, 8, v36
	v_lshl_add_u32 v16, v35, 10, 0x2000
	s_delay_alu instid0(VALU_DEP_1) | instskip(NEXT) | instid1(VALU_DEP_1)
	v_and_or_b32 v2, 0x8000, v2, v16
	v_lshl_or_b32 v2, v15, 7, v2
	s_delay_alu instid0(VALU_DEP_1)
	v_cvt_f32_f16_e32 v35, v2
.LBB371_1745:                           ;   in Loop: Header=BB371_1567 Depth=1
	s_or_b32 exec_lo, exec_lo, s13
.LBB371_1746:                           ;   in Loop: Header=BB371_1567 Depth=1
	s_delay_alu instid0(SALU_CYCLE_1)
	s_or_b32 exec_lo, exec_lo, s12
.LBB371_1747:                           ;   in Loop: Header=BB371_1567 Depth=1
	s_delay_alu instid0(SALU_CYCLE_1) | instskip(SKIP_3) | instid1(VALU_DEP_2)
	s_or_b32 exec_lo, exec_lo, s10
	v_lshrrev_b32_e32 v128, 16, v14
	v_mov_b32_e32 v36, 0
	s_mov_b32 s10, exec_lo
	v_dual_mov_b32 v15, 0 :: v_dual_and_b32 v2, 0xff, v128
	s_delay_alu instid0(VALU_DEP_1)
	v_cmpx_ne_u16_e32 0, v2
	s_cbranch_execz .LBB371_1755
; %bb.1748:                             ;   in Loop: Header=BB371_1567 Depth=1
	v_bfrev_b32_e32 v15, 1
	s_mov_b32 s12, exec_lo
	v_cmpx_ne_u16_e32 0x80, v2
	s_cbranch_execz .LBB371_1754
; %bb.1749:                             ;   in Loop: Header=BB371_1567 Depth=1
	v_bfe_u32 v16, v14, 16, 7
	v_mov_b32_e32 v15, 0x7fc02000
	s_mov_b32 s13, exec_lo
	s_delay_alu instid0(VALU_DEP_2)
	v_cmpx_ne_u32_e32 0x7f, v16
	s_cbranch_execz .LBB371_1753
; %bb.1750:                             ;   in Loop: Header=BB371_1567 Depth=1
	v_and_b32_e32 v2, 7, v128
	v_lshrrev_b32_e32 v129, 3, v16
	v_cmp_gt_u32_e64 s0, 8, v16
	s_delay_alu instid0(VALU_DEP_3) | instskip(NEXT) | instid1(VALU_DEP_2)
	v_dual_mov_b32 v16, v3 :: v_dual_mov_b32 v15, v2
	s_and_saveexec_b32 s15, s0
; %bb.1751:                             ;   in Loop: Header=BB371_1567 Depth=1
	v_clz_i32_u32_e32 v15, v2
	s_delay_alu instid0(VALU_DEP_1) | instskip(NEXT) | instid1(VALU_DEP_1)
	v_min_u32_e32 v129, 32, v15
	v_subrev_nc_u32_e32 v15, 28, v129
	v_sub_nc_u32_e32 v129, 29, v129
	s_delay_alu instid0(VALU_DEP_2) | instskip(NEXT) | instid1(VALU_DEP_1)
	v_lshlrev_b64 v[15:16], v15, v[2:3]
	v_and_b32_e32 v15, 7, v15
; %bb.1752:                             ;   in Loop: Header=BB371_1567 Depth=1
	s_or_b32 exec_lo, exec_lo, s15
	v_lshlrev_b32_e32 v2, 8, v128
	v_lshl_add_u32 v16, v129, 10, 0x2000
	s_delay_alu instid0(VALU_DEP_1) | instskip(NEXT) | instid1(VALU_DEP_1)
	v_and_or_b32 v2, 0x8000, v2, v16
	v_lshl_or_b32 v2, v15, 7, v2
	s_delay_alu instid0(VALU_DEP_1)
	v_cvt_f32_f16_e32 v15, v2
.LBB371_1753:                           ;   in Loop: Header=BB371_1567 Depth=1
	s_or_b32 exec_lo, exec_lo, s13
.LBB371_1754:                           ;   in Loop: Header=BB371_1567 Depth=1
	s_delay_alu instid0(SALU_CYCLE_1)
	s_or_b32 exec_lo, exec_lo, s12
.LBB371_1755:                           ;   in Loop: Header=BB371_1567 Depth=1
	s_delay_alu instid0(SALU_CYCLE_1) | instskip(NEXT) | instid1(SALU_CYCLE_1)
	s_or_b32 exec_lo, exec_lo, s10
	s_mov_b32 s10, exec_lo
	v_cmpx_lt_u64_e64 s[8:9], v[13:14]
	s_cbranch_execz .LBB371_1763
; %bb.1756:                             ;   in Loop: Header=BB371_1567 Depth=1
	v_lshrrev_b32_e32 v16, 24, v14
	v_bfrev_b32_e32 v36, 1
	s_mov_b32 s12, exec_lo
	s_delay_alu instid0(VALU_DEP_2)
	v_cmpx_ne_u32_e32 0x80, v16
	s_cbranch_execz .LBB371_1762
; %bb.1757:                             ;   in Loop: Header=BB371_1567 Depth=1
	v_and_b32_e32 v13, 0x7f, v16
	v_mov_b32_e32 v36, 0x7fc02000
	s_mov_b32 s13, exec_lo
	s_delay_alu instid0(VALU_DEP_2)
	v_cmpx_ne_u32_e32 0x7f, v13
	s_cbranch_execz .LBB371_1761
; %bb.1758:                             ;   in Loop: Header=BB371_1567 Depth=1
	v_and_b32_e32 v2, 7, v16
	v_lshrrev_b32_e32 v36, 3, v13
	v_cmp_gt_u32_e64 s0, 8, v13
	s_delay_alu instid0(VALU_DEP_3) | instskip(NEXT) | instid1(VALU_DEP_2)
	v_dual_mov_b32 v14, v3 :: v_dual_mov_b32 v13, v2
	s_and_saveexec_b32 s15, s0
; %bb.1759:                             ;   in Loop: Header=BB371_1567 Depth=1
	v_clz_i32_u32_e32 v13, v2
	s_delay_alu instid0(VALU_DEP_1) | instskip(NEXT) | instid1(VALU_DEP_1)
	v_min_u32_e32 v36, 32, v13
	v_subrev_nc_u32_e32 v13, 28, v36
	v_sub_nc_u32_e32 v36, 29, v36
	s_delay_alu instid0(VALU_DEP_2) | instskip(NEXT) | instid1(VALU_DEP_1)
	v_lshlrev_b64 v[13:14], v13, v[2:3]
	v_and_b32_e32 v13, 7, v13
; %bb.1760:                             ;   in Loop: Header=BB371_1567 Depth=1
	s_or_b32 exec_lo, exec_lo, s15
	v_lshlrev_b32_e32 v2, 8, v16
	v_lshl_add_u32 v14, v36, 10, 0x2000
	s_delay_alu instid0(VALU_DEP_1) | instskip(NEXT) | instid1(VALU_DEP_1)
	v_and_or_b32 v2, 0x8000, v2, v14
	v_lshl_or_b32 v2, v13, 7, v2
	s_delay_alu instid0(VALU_DEP_1)
	v_cvt_f32_f16_e32 v36, v2
.LBB371_1761:                           ;   in Loop: Header=BB371_1567 Depth=1
	s_or_b32 exec_lo, exec_lo, s13
.LBB371_1762:                           ;   in Loop: Header=BB371_1567 Depth=1
	s_delay_alu instid0(SALU_CYCLE_1)
	s_or_b32 exec_lo, exec_lo, s12
.LBB371_1763:                           ;   in Loop: Header=BB371_1567 Depth=1
	s_delay_alu instid0(SALU_CYCLE_1)
	s_or_b32 exec_lo, exec_lo, s10
	s_waitcnt vmcnt(0) lgkmcnt(0)
	v_fma_mixlo_f16 v6, v4, v6, 0
	v_fma_mixlo_f16 v2, v4, v23, 0
	;; [unrolled: 1-line block ×5, first 2 shown]
	v_lshlrev_b32_e32 v14, 16, v6
	v_fma_mixlo_f16 v6, v4, v5, 0
	v_fma_mixlo_f16 v23, v4, v36, 0
	;; [unrolled: 1-line block ×3, first 2 shown]
	v_lshlrev_b32_e32 v2, 16, v2
	v_and_b32_e32 v13, 0xffff, v13
	v_and_b32_e32 v4, 0xffff, v6
	v_lshlrev_b32_e32 v15, 16, v16
	v_and_b32_e32 v16, 0xffff, v22
	v_lshlrev_b32_e32 v22, 16, v23
	v_and_b32_e32 v23, 0xffff, v5
	v_or_b32_e32 v6, v2, v13
	v_or_b32_e32 v13, v14, v4
	;; [unrolled: 1-line block ×3, first 2 shown]
	s_delay_alu instid0(VALU_DEP_4)
	v_or_b32_e32 v4, v22, v23
	s_and_saveexec_b32 s10, vcc_lo
	s_cbranch_execz .LBB371_1765
; %bb.1764:                             ;   in Loop: Header=BB371_1567 Depth=1
	v_cmp_lt_i32_e64 s0, v17, v37
	v_lshrrev_b32_e32 v14, 16, v13
	v_lshrrev_b32_e32 v15, 16, v6
	;; [unrolled: 1-line block ×4, first 2 shown]
	v_cndmask_b32_e64 v13, 0, v13, s0
	v_cmp_lt_i32_e64 s0, v117, v87
	s_delay_alu instid0(VALU_DEP_1) | instskip(SKIP_1) | instid1(VALU_DEP_2)
	v_cndmask_b32_e64 v14, 0, v14, s0
	v_cmp_lt_i32_e64 s0, v116, v87
	v_perm_b32 v13, v14, v13, 0x5040100
	s_delay_alu instid0(VALU_DEP_2) | instskip(SKIP_1) | instid1(VALU_DEP_1)
	v_cndmask_b32_e64 v15, 0, v15, s0
	v_cmp_lt_i32_e64 s0, v115, v37
	v_cndmask_b32_e64 v6, 0, v6, s0
	v_cmp_lt_i32_e64 s0, v114, v87
	s_delay_alu instid0(VALU_DEP_2) | instskip(NEXT) | instid1(VALU_DEP_2)
	v_perm_b32 v6, v15, v6, 0x5040100
	v_cndmask_b32_e64 v16, 0, v16, s0
	v_cmp_lt_i32_e64 s0, v113, v37
	s_delay_alu instid0(VALU_DEP_1) | instskip(SKIP_1) | instid1(VALU_DEP_2)
	v_cndmask_b32_e64 v2, 0, v2, s0
	v_cmp_lt_i32_e64 s0, v112, v87
	v_perm_b32 v2, v16, v2, 0x5040100
	s_delay_alu instid0(VALU_DEP_2) | instskip(SKIP_1) | instid1(VALU_DEP_1)
	v_cndmask_b32_e64 v4, 0, v4, s0
	v_cmp_lt_i32_e64 s0, v103, v37
	v_cndmask_b32_e64 v5, 0, v5, s0
	s_delay_alu instid0(VALU_DEP_1)
	v_perm_b32 v4, v4, v5, 0x5040100
.LBB371_1765:                           ;   in Loop: Header=BB371_1567 Depth=1
	s_or_b32 exec_lo, exec_lo, s10
	;;#ASMSTART
	v_pk_mul_f16 v5, v102, v13;

	;;#ASMEND
	;;#ASMSTART
	v_pk_mul_f16 v6, v100, v6;

	;;#ASMEND
	;; [unrolled: 4-line block ×4, first 2 shown]
	;;#ASMSTART
	v_pk_add_f16 v5, v5, v6;

	;;#ASMEND
	;;#ASMSTART
	v_pk_add_f16 v2, v5, v2;

	;;#ASMEND
	;; [unrolled: 4-line block ×3, first 2 shown]
	v_dual_mov_b32 v5, 0 :: v_dual_and_b32 v4, 0xffff, v2
	v_lshrrev_b32_e32 v2, 16, v2
	;;#ASMSTART
	v_cvt_f32_f16 v128, v4;
	;;#ASMEND
	;;#ASMSTART
	v_cvt_f32_f16 v129, v2;
	;;#ASMEND
	flat_load_b64 v[13:14], v[11:12] offset:768
	flat_load_b32 v4, v[26:27]
	v_mov_b32_e32 v6, 0
	s_mov_b32 s10, exec_lo
	s_waitcnt vmcnt(1) lgkmcnt(1)
	v_and_b32_e32 v2, 0xff, v13
	s_delay_alu instid0(VALU_DEP_1)
	v_cmpx_ne_u16_e32 0, v2
	s_cbranch_execz .LBB371_1773
; %bb.1766:                             ;   in Loop: Header=BB371_1567 Depth=1
	v_bfrev_b32_e32 v5, 1
	s_mov_b32 s12, exec_lo
	v_cmpx_ne_u16_e32 0x80, v2
	s_cbranch_execz .LBB371_1772
; %bb.1767:                             ;   in Loop: Header=BB371_1567 Depth=1
	v_and_b32_e32 v15, 0x7f, v13
	v_mov_b32_e32 v5, 0x7fc02000
	s_mov_b32 s13, exec_lo
	s_delay_alu instid0(VALU_DEP_2)
	v_cmpx_ne_u32_e32 0x7f, v15
	s_cbranch_execz .LBB371_1771
; %bb.1768:                             ;   in Loop: Header=BB371_1567 Depth=1
	v_lshrrev_b32_e32 v2, 3, v15
	v_cmp_gt_u32_e64 s0, 8, v15
	v_dual_mov_b32 v16, v14 :: v_dual_mov_b32 v15, v13
	s_delay_alu instid0(VALU_DEP_2)
	s_and_saveexec_b32 s15, s0
; %bb.1769:                             ;   in Loop: Header=BB371_1567 Depth=1
	v_and_b32_e32 v2, 7, v13
	s_delay_alu instid0(VALU_DEP_1) | instskip(NEXT) | instid1(VALU_DEP_1)
	v_clz_i32_u32_e32 v2, v2
	v_min_u32_e32 v2, 32, v2
	s_delay_alu instid0(VALU_DEP_1) | instskip(SKIP_1) | instid1(VALU_DEP_2)
	v_subrev_nc_u32_e32 v5, 28, v2
	v_sub_nc_u32_e32 v2, 29, v2
	v_lshlrev_b64 v[15:16], v5, v[13:14]
; %bb.1770:                             ;   in Loop: Header=BB371_1567 Depth=1
	s_or_b32 exec_lo, exec_lo, s15
	v_lshlrev_b32_e32 v5, 8, v13
	s_delay_alu instid0(VALU_DEP_3) | instskip(NEXT) | instid1(VALU_DEP_3)
	v_lshl_add_u32 v2, v2, 10, 0x2000
	v_lshlrev_b32_e32 v15, 7, v15
	s_delay_alu instid0(VALU_DEP_2) | instskip(NEXT) | instid1(VALU_DEP_1)
	v_and_or_b32 v2, 0x8000, v5, v2
	v_and_or_b32 v2, 0x380, v15, v2
	s_delay_alu instid0(VALU_DEP_1)
	v_cvt_f32_f16_e32 v5, v2
.LBB371_1771:                           ;   in Loop: Header=BB371_1567 Depth=1
	s_or_b32 exec_lo, exec_lo, s13
.LBB371_1772:                           ;   in Loop: Header=BB371_1567 Depth=1
	s_delay_alu instid0(SALU_CYCLE_1)
	s_or_b32 exec_lo, exec_lo, s12
.LBB371_1773:                           ;   in Loop: Header=BB371_1567 Depth=1
	s_delay_alu instid0(SALU_CYCLE_1) | instskip(SKIP_2) | instid1(VALU_DEP_1)
	s_or_b32 exec_lo, exec_lo, s10
	v_lshrrev_b16 v2, 8, v13
	s_mov_b32 s10, exec_lo
	v_cmpx_ne_u16_e32 0, v2
	s_cbranch_execz .LBB371_1781
; %bb.1774:                             ;   in Loop: Header=BB371_1567 Depth=1
	v_bfrev_b32_e32 v6, 1
	s_mov_b32 s12, exec_lo
	v_cmpx_ne_u16_e32 0x80, v2
	s_cbranch_execz .LBB371_1780
; %bb.1775:                             ;   in Loop: Header=BB371_1567 Depth=1
	v_and_b32_e32 v22, 0xffff, v2
	v_mov_b32_e32 v6, 0x7fc02000
	s_mov_b32 s13, exec_lo
	s_delay_alu instid0(VALU_DEP_2) | instskip(NEXT) | instid1(VALU_DEP_1)
	v_and_b32_e32 v15, 0x7f, v22
	v_cmpx_ne_u32_e32 0x7f, v15
	s_cbranch_execz .LBB371_1779
; %bb.1776:                             ;   in Loop: Header=BB371_1567 Depth=1
	v_and_b32_e32 v2, 7, v22
	v_lshrrev_b32_e32 v6, 3, v15
	v_cmp_gt_u32_e64 s0, 8, v15
	s_delay_alu instid0(VALU_DEP_3) | instskip(NEXT) | instid1(VALU_DEP_2)
	v_dual_mov_b32 v16, v3 :: v_dual_mov_b32 v15, v2
	s_and_saveexec_b32 s15, s0
; %bb.1777:                             ;   in Loop: Header=BB371_1567 Depth=1
	v_clz_i32_u32_e32 v6, v2
	s_delay_alu instid0(VALU_DEP_1) | instskip(NEXT) | instid1(VALU_DEP_1)
	v_min_u32_e32 v6, 32, v6
	v_subrev_nc_u32_e32 v15, 28, v6
	v_sub_nc_u32_e32 v6, 29, v6
	s_delay_alu instid0(VALU_DEP_2) | instskip(NEXT) | instid1(VALU_DEP_1)
	v_lshlrev_b64 v[15:16], v15, v[2:3]
	v_and_b32_e32 v15, 7, v15
; %bb.1778:                             ;   in Loop: Header=BB371_1567 Depth=1
	s_or_b32 exec_lo, exec_lo, s15
	v_lshlrev_b32_e32 v2, 8, v22
	v_lshl_add_u32 v6, v6, 10, 0x2000
	s_delay_alu instid0(VALU_DEP_1) | instskip(NEXT) | instid1(VALU_DEP_1)
	v_and_or_b32 v2, 0x8000, v2, v6
	v_lshl_or_b32 v2, v15, 7, v2
	s_delay_alu instid0(VALU_DEP_1)
	v_cvt_f32_f16_e32 v6, v2
.LBB371_1779:                           ;   in Loop: Header=BB371_1567 Depth=1
	s_or_b32 exec_lo, exec_lo, s13
.LBB371_1780:                           ;   in Loop: Header=BB371_1567 Depth=1
	s_delay_alu instid0(SALU_CYCLE_1)
	s_or_b32 exec_lo, exec_lo, s12
.LBB371_1781:                           ;   in Loop: Header=BB371_1567 Depth=1
	s_delay_alu instid0(SALU_CYCLE_1) | instskip(SKIP_3) | instid1(VALU_DEP_2)
	s_or_b32 exec_lo, exec_lo, s10
	v_lshrrev_b32_e32 v34, 16, v13
	v_mov_b32_e32 v22, 0
	s_mov_b32 s10, exec_lo
	v_dual_mov_b32 v23, 0 :: v_dual_and_b32 v2, 0xff, v34
	s_delay_alu instid0(VALU_DEP_1)
	v_cmpx_ne_u16_e32 0, v2
	s_cbranch_execz .LBB371_1789
; %bb.1782:                             ;   in Loop: Header=BB371_1567 Depth=1
	v_bfrev_b32_e32 v22, 1
	s_mov_b32 s12, exec_lo
	v_cmpx_ne_u16_e32 0x80, v2
	s_cbranch_execz .LBB371_1788
; %bb.1783:                             ;   in Loop: Header=BB371_1567 Depth=1
	v_bfe_u32 v15, v13, 16, 7
	v_mov_b32_e32 v22, 0x7fc02000
	s_mov_b32 s13, exec_lo
	s_delay_alu instid0(VALU_DEP_2)
	v_cmpx_ne_u32_e32 0x7f, v15
	s_cbranch_execz .LBB371_1787
; %bb.1784:                             ;   in Loop: Header=BB371_1567 Depth=1
	v_and_b32_e32 v2, 7, v34
	v_lshrrev_b32_e32 v22, 3, v15
	v_cmp_gt_u32_e64 s0, 8, v15
	s_delay_alu instid0(VALU_DEP_3) | instskip(NEXT) | instid1(VALU_DEP_2)
	v_dual_mov_b32 v16, v3 :: v_dual_mov_b32 v15, v2
	s_and_saveexec_b32 s15, s0
; %bb.1785:                             ;   in Loop: Header=BB371_1567 Depth=1
	v_clz_i32_u32_e32 v15, v2
	s_delay_alu instid0(VALU_DEP_1) | instskip(NEXT) | instid1(VALU_DEP_1)
	v_min_u32_e32 v22, 32, v15
	v_subrev_nc_u32_e32 v15, 28, v22
	v_sub_nc_u32_e32 v22, 29, v22
	s_delay_alu instid0(VALU_DEP_2) | instskip(NEXT) | instid1(VALU_DEP_1)
	v_lshlrev_b64 v[15:16], v15, v[2:3]
	v_and_b32_e32 v15, 7, v15
; %bb.1786:                             ;   in Loop: Header=BB371_1567 Depth=1
	s_or_b32 exec_lo, exec_lo, s15
	v_lshlrev_b32_e32 v2, 8, v34
	v_lshl_add_u32 v16, v22, 10, 0x2000
	s_delay_alu instid0(VALU_DEP_1) | instskip(NEXT) | instid1(VALU_DEP_1)
	v_and_or_b32 v2, 0x8000, v2, v16
	v_lshl_or_b32 v2, v15, 7, v2
	s_delay_alu instid0(VALU_DEP_1)
	v_cvt_f32_f16_e32 v22, v2
.LBB371_1787:                           ;   in Loop: Header=BB371_1567 Depth=1
	s_or_b32 exec_lo, exec_lo, s13
.LBB371_1788:                           ;   in Loop: Header=BB371_1567 Depth=1
	s_delay_alu instid0(SALU_CYCLE_1)
	s_or_b32 exec_lo, exec_lo, s12
.LBB371_1789:                           ;   in Loop: Header=BB371_1567 Depth=1
	s_delay_alu instid0(SALU_CYCLE_1) | instskip(NEXT) | instid1(SALU_CYCLE_1)
	s_or_b32 exec_lo, exec_lo, s10
	s_mov_b32 s10, exec_lo
	v_cmpx_lt_u32_e32 0xffffff, v13
	s_cbranch_execz .LBB371_1797
; %bb.1790:                             ;   in Loop: Header=BB371_1567 Depth=1
	v_lshrrev_b32_e32 v34, 24, v13
	v_bfrev_b32_e32 v23, 1
	s_mov_b32 s12, exec_lo
	s_delay_alu instid0(VALU_DEP_2)
	v_cmpx_ne_u32_e32 0x80, v34
	s_cbranch_execz .LBB371_1796
; %bb.1791:                             ;   in Loop: Header=BB371_1567 Depth=1
	v_and_b32_e32 v15, 0x7f, v34
	v_mov_b32_e32 v23, 0x7fc02000
	s_mov_b32 s13, exec_lo
	s_delay_alu instid0(VALU_DEP_2)
	v_cmpx_ne_u32_e32 0x7f, v15
	s_cbranch_execz .LBB371_1795
; %bb.1792:                             ;   in Loop: Header=BB371_1567 Depth=1
	v_and_b32_e32 v2, 7, v34
	v_lshrrev_b32_e32 v23, 3, v15
	v_cmp_gt_u32_e64 s0, 8, v15
	s_delay_alu instid0(VALU_DEP_3) | instskip(NEXT) | instid1(VALU_DEP_2)
	v_dual_mov_b32 v16, v3 :: v_dual_mov_b32 v15, v2
	s_and_saveexec_b32 s15, s0
; %bb.1793:                             ;   in Loop: Header=BB371_1567 Depth=1
	v_clz_i32_u32_e32 v15, v2
	s_delay_alu instid0(VALU_DEP_1) | instskip(NEXT) | instid1(VALU_DEP_1)
	v_min_u32_e32 v23, 32, v15
	v_subrev_nc_u32_e32 v15, 28, v23
	v_sub_nc_u32_e32 v23, 29, v23
	s_delay_alu instid0(VALU_DEP_2) | instskip(NEXT) | instid1(VALU_DEP_1)
	v_lshlrev_b64 v[15:16], v15, v[2:3]
	v_and_b32_e32 v15, 7, v15
; %bb.1794:                             ;   in Loop: Header=BB371_1567 Depth=1
	s_or_b32 exec_lo, exec_lo, s15
	v_lshlrev_b32_e32 v2, 8, v34
	v_lshl_add_u32 v16, v23, 10, 0x2000
	s_delay_alu instid0(VALU_DEP_1) | instskip(NEXT) | instid1(VALU_DEP_1)
	v_and_or_b32 v2, 0x8000, v2, v16
	v_lshl_or_b32 v2, v15, 7, v2
	s_delay_alu instid0(VALU_DEP_1)
	v_cvt_f32_f16_e32 v23, v2
.LBB371_1795:                           ;   in Loop: Header=BB371_1567 Depth=1
	s_or_b32 exec_lo, exec_lo, s13
.LBB371_1796:                           ;   in Loop: Header=BB371_1567 Depth=1
	s_delay_alu instid0(SALU_CYCLE_1)
	s_or_b32 exec_lo, exec_lo, s12
.LBB371_1797:                           ;   in Loop: Header=BB371_1567 Depth=1
	s_delay_alu instid0(SALU_CYCLE_1) | instskip(SKIP_3) | instid1(VALU_DEP_2)
	s_or_b32 exec_lo, exec_lo, s10
	v_dual_mov_b32 v2, v14 :: v_dual_and_b32 v15, 0xff, v14
	v_dual_mov_b32 v35, 0 :: v_dual_mov_b32 v34, 0
	s_mov_b32 s10, exec_lo
	v_cmpx_ne_u16_e32 0, v15
	s_cbranch_execz .LBB371_1805
; %bb.1798:                             ;   in Loop: Header=BB371_1567 Depth=1
	v_bfrev_b32_e32 v34, 1
	s_mov_b32 s12, exec_lo
	v_cmpx_ne_u16_e32 0x80, v15
	s_cbranch_execz .LBB371_1804
; %bb.1799:                             ;   in Loop: Header=BB371_1567 Depth=1
	v_and_b32_e32 v15, 0x7f, v14
	v_mov_b32_e32 v34, 0x7fc02000
	s_mov_b32 s13, exec_lo
	s_delay_alu instid0(VALU_DEP_2)
	v_cmpx_ne_u32_e32 0x7f, v15
	s_cbranch_execz .LBB371_1803
; %bb.1800:                             ;   in Loop: Header=BB371_1567 Depth=1
	v_lshrrev_b32_e32 v34, 3, v15
	v_cmp_gt_u32_e64 s0, 8, v15
	v_dual_mov_b32 v16, v3 :: v_dual_mov_b32 v15, v2
	s_delay_alu instid0(VALU_DEP_2)
	s_and_saveexec_b32 s15, s0
; %bb.1801:                             ;   in Loop: Header=BB371_1567 Depth=1
	v_and_b32_e32 v15, 7, v14
	s_delay_alu instid0(VALU_DEP_1) | instskip(NEXT) | instid1(VALU_DEP_1)
	v_clz_i32_u32_e32 v15, v15
	v_min_u32_e32 v34, 32, v15
	s_delay_alu instid0(VALU_DEP_1) | instskip(SKIP_1) | instid1(VALU_DEP_2)
	v_subrev_nc_u32_e32 v15, 28, v34
	v_sub_nc_u32_e32 v34, 29, v34
	v_lshlrev_b64 v[15:16], v15, v[2:3]
; %bb.1802:                             ;   in Loop: Header=BB371_1567 Depth=1
	s_or_b32 exec_lo, exec_lo, s15
	v_lshlrev_b32_e32 v16, 8, v14
	s_delay_alu instid0(VALU_DEP_3) | instskip(NEXT) | instid1(VALU_DEP_3)
	v_lshl_add_u32 v34, v34, 10, 0x2000
	v_lshlrev_b32_e32 v15, 7, v15
	s_delay_alu instid0(VALU_DEP_2) | instskip(NEXT) | instid1(VALU_DEP_1)
	v_and_or_b32 v16, 0x8000, v16, v34
	v_and_or_b32 v15, 0x380, v15, v16
	s_delay_alu instid0(VALU_DEP_1)
	v_cvt_f32_f16_e32 v34, v15
.LBB371_1803:                           ;   in Loop: Header=BB371_1567 Depth=1
	s_or_b32 exec_lo, exec_lo, s13
.LBB371_1804:                           ;   in Loop: Header=BB371_1567 Depth=1
	s_delay_alu instid0(SALU_CYCLE_1)
	s_or_b32 exec_lo, exec_lo, s12
.LBB371_1805:                           ;   in Loop: Header=BB371_1567 Depth=1
	s_delay_alu instid0(SALU_CYCLE_1) | instskip(SKIP_2) | instid1(VALU_DEP_1)
	s_or_b32 exec_lo, exec_lo, s10
	v_lshrrev_b16 v2, 8, v2
	s_mov_b32 s10, exec_lo
	v_cmpx_ne_u16_e32 0, v2
	s_cbranch_execz .LBB371_1813
; %bb.1806:                             ;   in Loop: Header=BB371_1567 Depth=1
	v_bfrev_b32_e32 v35, 1
	s_mov_b32 s12, exec_lo
	v_cmpx_ne_u16_e32 0x80, v2
	s_cbranch_execz .LBB371_1812
; %bb.1807:                             ;   in Loop: Header=BB371_1567 Depth=1
	v_and_b32_e32 v36, 0xffff, v2
	v_mov_b32_e32 v35, 0x7fc02000
	s_mov_b32 s13, exec_lo
	s_delay_alu instid0(VALU_DEP_2) | instskip(NEXT) | instid1(VALU_DEP_1)
	v_and_b32_e32 v15, 0x7f, v36
	v_cmpx_ne_u32_e32 0x7f, v15
	s_cbranch_execz .LBB371_1811
; %bb.1808:                             ;   in Loop: Header=BB371_1567 Depth=1
	v_and_b32_e32 v2, 7, v36
	v_lshrrev_b32_e32 v35, 3, v15
	v_cmp_gt_u32_e64 s0, 8, v15
	s_delay_alu instid0(VALU_DEP_3) | instskip(NEXT) | instid1(VALU_DEP_2)
	v_dual_mov_b32 v16, v3 :: v_dual_mov_b32 v15, v2
	s_and_saveexec_b32 s15, s0
; %bb.1809:                             ;   in Loop: Header=BB371_1567 Depth=1
	v_clz_i32_u32_e32 v15, v2
	s_delay_alu instid0(VALU_DEP_1) | instskip(NEXT) | instid1(VALU_DEP_1)
	v_min_u32_e32 v35, 32, v15
	v_subrev_nc_u32_e32 v15, 28, v35
	v_sub_nc_u32_e32 v35, 29, v35
	s_delay_alu instid0(VALU_DEP_2) | instskip(NEXT) | instid1(VALU_DEP_1)
	v_lshlrev_b64 v[15:16], v15, v[2:3]
	v_and_b32_e32 v15, 7, v15
; %bb.1810:                             ;   in Loop: Header=BB371_1567 Depth=1
	s_or_b32 exec_lo, exec_lo, s15
	v_lshlrev_b32_e32 v2, 8, v36
	v_lshl_add_u32 v16, v35, 10, 0x2000
	s_delay_alu instid0(VALU_DEP_1) | instskip(NEXT) | instid1(VALU_DEP_1)
	v_and_or_b32 v2, 0x8000, v2, v16
	v_lshl_or_b32 v2, v15, 7, v2
	s_delay_alu instid0(VALU_DEP_1)
	v_cvt_f32_f16_e32 v35, v2
.LBB371_1811:                           ;   in Loop: Header=BB371_1567 Depth=1
	s_or_b32 exec_lo, exec_lo, s13
.LBB371_1812:                           ;   in Loop: Header=BB371_1567 Depth=1
	s_delay_alu instid0(SALU_CYCLE_1)
	s_or_b32 exec_lo, exec_lo, s12
.LBB371_1813:                           ;   in Loop: Header=BB371_1567 Depth=1
	s_delay_alu instid0(SALU_CYCLE_1) | instskip(SKIP_3) | instid1(VALU_DEP_2)
	s_or_b32 exec_lo, exec_lo, s10
	v_lshrrev_b32_e32 v130, 16, v14
	v_mov_b32_e32 v36, 0
	s_mov_b32 s10, exec_lo
	v_dual_mov_b32 v15, 0 :: v_dual_and_b32 v2, 0xff, v130
	s_delay_alu instid0(VALU_DEP_1)
	v_cmpx_ne_u16_e32 0, v2
	s_cbranch_execz .LBB371_1821
; %bb.1814:                             ;   in Loop: Header=BB371_1567 Depth=1
	v_bfrev_b32_e32 v15, 1
	s_mov_b32 s12, exec_lo
	v_cmpx_ne_u16_e32 0x80, v2
	s_cbranch_execz .LBB371_1820
; %bb.1815:                             ;   in Loop: Header=BB371_1567 Depth=1
	v_bfe_u32 v16, v14, 16, 7
	v_mov_b32_e32 v15, 0x7fc02000
	s_mov_b32 s13, exec_lo
	s_delay_alu instid0(VALU_DEP_2)
	v_cmpx_ne_u32_e32 0x7f, v16
	s_cbranch_execz .LBB371_1819
; %bb.1816:                             ;   in Loop: Header=BB371_1567 Depth=1
	v_and_b32_e32 v2, 7, v130
	v_lshrrev_b32_e32 v131, 3, v16
	v_cmp_gt_u32_e64 s0, 8, v16
	s_delay_alu instid0(VALU_DEP_3) | instskip(NEXT) | instid1(VALU_DEP_2)
	v_dual_mov_b32 v16, v3 :: v_dual_mov_b32 v15, v2
	s_and_saveexec_b32 s15, s0
; %bb.1817:                             ;   in Loop: Header=BB371_1567 Depth=1
	v_clz_i32_u32_e32 v15, v2
	s_delay_alu instid0(VALU_DEP_1) | instskip(NEXT) | instid1(VALU_DEP_1)
	v_min_u32_e32 v131, 32, v15
	v_subrev_nc_u32_e32 v15, 28, v131
	v_sub_nc_u32_e32 v131, 29, v131
	s_delay_alu instid0(VALU_DEP_2) | instskip(NEXT) | instid1(VALU_DEP_1)
	v_lshlrev_b64 v[15:16], v15, v[2:3]
	v_and_b32_e32 v15, 7, v15
; %bb.1818:                             ;   in Loop: Header=BB371_1567 Depth=1
	s_or_b32 exec_lo, exec_lo, s15
	v_lshlrev_b32_e32 v2, 8, v130
	v_lshl_add_u32 v16, v131, 10, 0x2000
	s_delay_alu instid0(VALU_DEP_1) | instskip(NEXT) | instid1(VALU_DEP_1)
	v_and_or_b32 v2, 0x8000, v2, v16
	v_lshl_or_b32 v2, v15, 7, v2
	s_delay_alu instid0(VALU_DEP_1)
	v_cvt_f32_f16_e32 v15, v2
.LBB371_1819:                           ;   in Loop: Header=BB371_1567 Depth=1
	s_or_b32 exec_lo, exec_lo, s13
.LBB371_1820:                           ;   in Loop: Header=BB371_1567 Depth=1
	s_delay_alu instid0(SALU_CYCLE_1)
	s_or_b32 exec_lo, exec_lo, s12
.LBB371_1821:                           ;   in Loop: Header=BB371_1567 Depth=1
	s_delay_alu instid0(SALU_CYCLE_1) | instskip(NEXT) | instid1(SALU_CYCLE_1)
	s_or_b32 exec_lo, exec_lo, s10
	s_mov_b32 s10, exec_lo
	v_cmpx_lt_u64_e64 s[8:9], v[13:14]
	s_cbranch_execz .LBB371_1829
; %bb.1822:                             ;   in Loop: Header=BB371_1567 Depth=1
	v_lshrrev_b32_e32 v16, 24, v14
	v_bfrev_b32_e32 v36, 1
	s_mov_b32 s12, exec_lo
	s_delay_alu instid0(VALU_DEP_2)
	v_cmpx_ne_u32_e32 0x80, v16
	s_cbranch_execz .LBB371_1828
; %bb.1823:                             ;   in Loop: Header=BB371_1567 Depth=1
	v_and_b32_e32 v13, 0x7f, v16
	v_mov_b32_e32 v36, 0x7fc02000
	s_mov_b32 s13, exec_lo
	s_delay_alu instid0(VALU_DEP_2)
	v_cmpx_ne_u32_e32 0x7f, v13
	s_cbranch_execz .LBB371_1827
; %bb.1824:                             ;   in Loop: Header=BB371_1567 Depth=1
	v_and_b32_e32 v2, 7, v16
	v_lshrrev_b32_e32 v36, 3, v13
	v_cmp_gt_u32_e64 s0, 8, v13
	s_delay_alu instid0(VALU_DEP_3) | instskip(NEXT) | instid1(VALU_DEP_2)
	v_dual_mov_b32 v14, v3 :: v_dual_mov_b32 v13, v2
	s_and_saveexec_b32 s15, s0
; %bb.1825:                             ;   in Loop: Header=BB371_1567 Depth=1
	v_clz_i32_u32_e32 v13, v2
	s_delay_alu instid0(VALU_DEP_1) | instskip(NEXT) | instid1(VALU_DEP_1)
	v_min_u32_e32 v36, 32, v13
	v_subrev_nc_u32_e32 v13, 28, v36
	v_sub_nc_u32_e32 v36, 29, v36
	s_delay_alu instid0(VALU_DEP_2) | instskip(NEXT) | instid1(VALU_DEP_1)
	v_lshlrev_b64 v[13:14], v13, v[2:3]
	v_and_b32_e32 v13, 7, v13
; %bb.1826:                             ;   in Loop: Header=BB371_1567 Depth=1
	s_or_b32 exec_lo, exec_lo, s15
	v_lshlrev_b32_e32 v2, 8, v16
	v_lshl_add_u32 v14, v36, 10, 0x2000
	s_delay_alu instid0(VALU_DEP_1) | instskip(NEXT) | instid1(VALU_DEP_1)
	v_and_or_b32 v2, 0x8000, v2, v14
	v_lshl_or_b32 v2, v13, 7, v2
	s_delay_alu instid0(VALU_DEP_1)
	v_cvt_f32_f16_e32 v36, v2
.LBB371_1827:                           ;   in Loop: Header=BB371_1567 Depth=1
	s_or_b32 exec_lo, exec_lo, s13
.LBB371_1828:                           ;   in Loop: Header=BB371_1567 Depth=1
	s_delay_alu instid0(SALU_CYCLE_1)
	s_or_b32 exec_lo, exec_lo, s12
.LBB371_1829:                           ;   in Loop: Header=BB371_1567 Depth=1
	s_delay_alu instid0(SALU_CYCLE_1)
	s_or_b32 exec_lo, exec_lo, s10
	s_waitcnt vmcnt(0) lgkmcnt(0)
	v_fma_mixlo_f16 v6, v4, v6, 0
	v_fma_mixlo_f16 v2, v4, v23, 0
	;; [unrolled: 1-line block ×5, first 2 shown]
	v_lshlrev_b32_e32 v14, 16, v6
	v_fma_mixlo_f16 v6, v4, v5, 0
	v_fma_mixlo_f16 v23, v4, v36, 0
	;; [unrolled: 1-line block ×3, first 2 shown]
	v_lshlrev_b32_e32 v2, 16, v2
	v_and_b32_e32 v13, 0xffff, v13
	v_and_b32_e32 v4, 0xffff, v6
	v_lshlrev_b32_e32 v15, 16, v16
	v_and_b32_e32 v16, 0xffff, v22
	v_lshlrev_b32_e32 v22, 16, v23
	v_and_b32_e32 v23, 0xffff, v5
	v_or_b32_e32 v6, v2, v13
	v_or_b32_e32 v13, v14, v4
	;; [unrolled: 1-line block ×3, first 2 shown]
	s_delay_alu instid0(VALU_DEP_4)
	v_or_b32_e32 v4, v22, v23
	s_and_saveexec_b32 s10, vcc_lo
	s_cbranch_execz .LBB371_1831
; %bb.1830:                             ;   in Loop: Header=BB371_1567 Depth=1
	v_cmp_lt_i32_e64 s0, v17, v37
	v_lshrrev_b32_e32 v14, 16, v13
	v_lshrrev_b32_e32 v15, 16, v6
	;; [unrolled: 1-line block ×4, first 2 shown]
	v_cndmask_b32_e64 v13, 0, v13, s0
	v_cmp_lt_i32_e64 s0, v117, v87
	s_delay_alu instid0(VALU_DEP_1) | instskip(SKIP_1) | instid1(VALU_DEP_2)
	v_cndmask_b32_e64 v14, 0, v14, s0
	v_cmp_lt_i32_e64 s0, v116, v87
	v_perm_b32 v13, v14, v13, 0x5040100
	s_delay_alu instid0(VALU_DEP_2) | instskip(SKIP_1) | instid1(VALU_DEP_1)
	v_cndmask_b32_e64 v15, 0, v15, s0
	v_cmp_lt_i32_e64 s0, v115, v37
	v_cndmask_b32_e64 v6, 0, v6, s0
	v_cmp_lt_i32_e64 s0, v114, v87
	s_delay_alu instid0(VALU_DEP_2) | instskip(NEXT) | instid1(VALU_DEP_2)
	v_perm_b32 v6, v15, v6, 0x5040100
	v_cndmask_b32_e64 v16, 0, v16, s0
	v_cmp_lt_i32_e64 s0, v113, v37
	s_delay_alu instid0(VALU_DEP_1) | instskip(SKIP_1) | instid1(VALU_DEP_2)
	v_cndmask_b32_e64 v2, 0, v2, s0
	v_cmp_lt_i32_e64 s0, v112, v87
	v_perm_b32 v2, v16, v2, 0x5040100
	s_delay_alu instid0(VALU_DEP_2) | instskip(SKIP_1) | instid1(VALU_DEP_1)
	v_cndmask_b32_e64 v4, 0, v4, s0
	v_cmp_lt_i32_e64 s0, v103, v37
	v_cndmask_b32_e64 v5, 0, v5, s0
	s_delay_alu instid0(VALU_DEP_1)
	v_perm_b32 v4, v4, v5, 0x5040100
.LBB371_1831:                           ;   in Loop: Header=BB371_1567 Depth=1
	s_or_b32 exec_lo, exec_lo, s10
	;;#ASMSTART
	v_pk_mul_f16 v5, v102, v13;

	;;#ASMEND
	;;#ASMSTART
	v_pk_mul_f16 v6, v100, v6;

	;;#ASMEND
	;; [unrolled: 4-line block ×4, first 2 shown]
	;;#ASMSTART
	v_pk_add_f16 v5, v5, v6;

	;;#ASMEND
	;;#ASMSTART
	v_pk_add_f16 v2, v5, v2;

	;;#ASMEND
	;; [unrolled: 4-line block ×3, first 2 shown]
	v_dual_mov_b32 v5, 0 :: v_dual_and_b32 v4, 0xffff, v2
	v_lshrrev_b32_e32 v2, 16, v2
	;;#ASMSTART
	v_cvt_f32_f16 v130, v4;
	;;#ASMEND
	;;#ASMSTART
	v_cvt_f32_f16 v131, v2;
	;;#ASMEND
	flat_load_b64 v[13:14], v[11:12] offset:1024
	flat_load_b32 v4, v[26:27]
	v_mov_b32_e32 v6, 0
	s_mov_b32 s10, exec_lo
	s_waitcnt vmcnt(1) lgkmcnt(1)
	v_and_b32_e32 v2, 0xff, v13
	s_delay_alu instid0(VALU_DEP_1)
	v_cmpx_ne_u16_e32 0, v2
	s_cbranch_execz .LBB371_1839
; %bb.1832:                             ;   in Loop: Header=BB371_1567 Depth=1
	v_bfrev_b32_e32 v5, 1
	s_mov_b32 s12, exec_lo
	v_cmpx_ne_u16_e32 0x80, v2
	s_cbranch_execz .LBB371_1838
; %bb.1833:                             ;   in Loop: Header=BB371_1567 Depth=1
	v_and_b32_e32 v15, 0x7f, v13
	v_mov_b32_e32 v5, 0x7fc02000
	s_mov_b32 s13, exec_lo
	s_delay_alu instid0(VALU_DEP_2)
	v_cmpx_ne_u32_e32 0x7f, v15
	s_cbranch_execz .LBB371_1837
; %bb.1834:                             ;   in Loop: Header=BB371_1567 Depth=1
	v_lshrrev_b32_e32 v2, 3, v15
	v_cmp_gt_u32_e64 s0, 8, v15
	v_dual_mov_b32 v16, v14 :: v_dual_mov_b32 v15, v13
	s_delay_alu instid0(VALU_DEP_2)
	s_and_saveexec_b32 s15, s0
; %bb.1835:                             ;   in Loop: Header=BB371_1567 Depth=1
	v_and_b32_e32 v2, 7, v13
	s_delay_alu instid0(VALU_DEP_1) | instskip(NEXT) | instid1(VALU_DEP_1)
	v_clz_i32_u32_e32 v2, v2
	v_min_u32_e32 v2, 32, v2
	s_delay_alu instid0(VALU_DEP_1) | instskip(SKIP_1) | instid1(VALU_DEP_2)
	v_subrev_nc_u32_e32 v5, 28, v2
	v_sub_nc_u32_e32 v2, 29, v2
	v_lshlrev_b64 v[15:16], v5, v[13:14]
; %bb.1836:                             ;   in Loop: Header=BB371_1567 Depth=1
	s_or_b32 exec_lo, exec_lo, s15
	v_lshlrev_b32_e32 v5, 8, v13
	s_delay_alu instid0(VALU_DEP_3) | instskip(NEXT) | instid1(VALU_DEP_3)
	v_lshl_add_u32 v2, v2, 10, 0x2000
	v_lshlrev_b32_e32 v15, 7, v15
	s_delay_alu instid0(VALU_DEP_2) | instskip(NEXT) | instid1(VALU_DEP_1)
	v_and_or_b32 v2, 0x8000, v5, v2
	v_and_or_b32 v2, 0x380, v15, v2
	s_delay_alu instid0(VALU_DEP_1)
	v_cvt_f32_f16_e32 v5, v2
.LBB371_1837:                           ;   in Loop: Header=BB371_1567 Depth=1
	s_or_b32 exec_lo, exec_lo, s13
.LBB371_1838:                           ;   in Loop: Header=BB371_1567 Depth=1
	s_delay_alu instid0(SALU_CYCLE_1)
	s_or_b32 exec_lo, exec_lo, s12
.LBB371_1839:                           ;   in Loop: Header=BB371_1567 Depth=1
	s_delay_alu instid0(SALU_CYCLE_1) | instskip(SKIP_2) | instid1(VALU_DEP_1)
	s_or_b32 exec_lo, exec_lo, s10
	v_lshrrev_b16 v2, 8, v13
	s_mov_b32 s10, exec_lo
	v_cmpx_ne_u16_e32 0, v2
	s_cbranch_execz .LBB371_1847
; %bb.1840:                             ;   in Loop: Header=BB371_1567 Depth=1
	v_bfrev_b32_e32 v6, 1
	s_mov_b32 s12, exec_lo
	v_cmpx_ne_u16_e32 0x80, v2
	s_cbranch_execz .LBB371_1846
; %bb.1841:                             ;   in Loop: Header=BB371_1567 Depth=1
	v_and_b32_e32 v22, 0xffff, v2
	v_mov_b32_e32 v6, 0x7fc02000
	s_mov_b32 s13, exec_lo
	s_delay_alu instid0(VALU_DEP_2) | instskip(NEXT) | instid1(VALU_DEP_1)
	v_and_b32_e32 v15, 0x7f, v22
	v_cmpx_ne_u32_e32 0x7f, v15
	s_cbranch_execz .LBB371_1845
; %bb.1842:                             ;   in Loop: Header=BB371_1567 Depth=1
	v_and_b32_e32 v2, 7, v22
	v_lshrrev_b32_e32 v6, 3, v15
	v_cmp_gt_u32_e64 s0, 8, v15
	s_delay_alu instid0(VALU_DEP_3) | instskip(NEXT) | instid1(VALU_DEP_2)
	v_dual_mov_b32 v16, v3 :: v_dual_mov_b32 v15, v2
	s_and_saveexec_b32 s15, s0
; %bb.1843:                             ;   in Loop: Header=BB371_1567 Depth=1
	v_clz_i32_u32_e32 v6, v2
	s_delay_alu instid0(VALU_DEP_1) | instskip(NEXT) | instid1(VALU_DEP_1)
	v_min_u32_e32 v6, 32, v6
	v_subrev_nc_u32_e32 v15, 28, v6
	v_sub_nc_u32_e32 v6, 29, v6
	s_delay_alu instid0(VALU_DEP_2) | instskip(NEXT) | instid1(VALU_DEP_1)
	v_lshlrev_b64 v[15:16], v15, v[2:3]
	v_and_b32_e32 v15, 7, v15
; %bb.1844:                             ;   in Loop: Header=BB371_1567 Depth=1
	s_or_b32 exec_lo, exec_lo, s15
	v_lshlrev_b32_e32 v2, 8, v22
	v_lshl_add_u32 v6, v6, 10, 0x2000
	s_delay_alu instid0(VALU_DEP_1) | instskip(NEXT) | instid1(VALU_DEP_1)
	v_and_or_b32 v2, 0x8000, v2, v6
	v_lshl_or_b32 v2, v15, 7, v2
	s_delay_alu instid0(VALU_DEP_1)
	v_cvt_f32_f16_e32 v6, v2
.LBB371_1845:                           ;   in Loop: Header=BB371_1567 Depth=1
	s_or_b32 exec_lo, exec_lo, s13
.LBB371_1846:                           ;   in Loop: Header=BB371_1567 Depth=1
	s_delay_alu instid0(SALU_CYCLE_1)
	s_or_b32 exec_lo, exec_lo, s12
.LBB371_1847:                           ;   in Loop: Header=BB371_1567 Depth=1
	s_delay_alu instid0(SALU_CYCLE_1) | instskip(SKIP_3) | instid1(VALU_DEP_2)
	s_or_b32 exec_lo, exec_lo, s10
	v_lshrrev_b32_e32 v34, 16, v13
	v_mov_b32_e32 v22, 0
	s_mov_b32 s10, exec_lo
	v_dual_mov_b32 v23, 0 :: v_dual_and_b32 v2, 0xff, v34
	s_delay_alu instid0(VALU_DEP_1)
	v_cmpx_ne_u16_e32 0, v2
	s_cbranch_execz .LBB371_1855
; %bb.1848:                             ;   in Loop: Header=BB371_1567 Depth=1
	v_bfrev_b32_e32 v22, 1
	s_mov_b32 s12, exec_lo
	v_cmpx_ne_u16_e32 0x80, v2
	s_cbranch_execz .LBB371_1854
; %bb.1849:                             ;   in Loop: Header=BB371_1567 Depth=1
	v_bfe_u32 v15, v13, 16, 7
	v_mov_b32_e32 v22, 0x7fc02000
	s_mov_b32 s13, exec_lo
	s_delay_alu instid0(VALU_DEP_2)
	v_cmpx_ne_u32_e32 0x7f, v15
	s_cbranch_execz .LBB371_1853
; %bb.1850:                             ;   in Loop: Header=BB371_1567 Depth=1
	v_and_b32_e32 v2, 7, v34
	v_lshrrev_b32_e32 v22, 3, v15
	v_cmp_gt_u32_e64 s0, 8, v15
	s_delay_alu instid0(VALU_DEP_3) | instskip(NEXT) | instid1(VALU_DEP_2)
	v_dual_mov_b32 v16, v3 :: v_dual_mov_b32 v15, v2
	s_and_saveexec_b32 s15, s0
; %bb.1851:                             ;   in Loop: Header=BB371_1567 Depth=1
	v_clz_i32_u32_e32 v15, v2
	s_delay_alu instid0(VALU_DEP_1) | instskip(NEXT) | instid1(VALU_DEP_1)
	v_min_u32_e32 v22, 32, v15
	v_subrev_nc_u32_e32 v15, 28, v22
	v_sub_nc_u32_e32 v22, 29, v22
	s_delay_alu instid0(VALU_DEP_2) | instskip(NEXT) | instid1(VALU_DEP_1)
	v_lshlrev_b64 v[15:16], v15, v[2:3]
	v_and_b32_e32 v15, 7, v15
; %bb.1852:                             ;   in Loop: Header=BB371_1567 Depth=1
	s_or_b32 exec_lo, exec_lo, s15
	v_lshlrev_b32_e32 v2, 8, v34
	v_lshl_add_u32 v16, v22, 10, 0x2000
	s_delay_alu instid0(VALU_DEP_1) | instskip(NEXT) | instid1(VALU_DEP_1)
	v_and_or_b32 v2, 0x8000, v2, v16
	v_lshl_or_b32 v2, v15, 7, v2
	s_delay_alu instid0(VALU_DEP_1)
	v_cvt_f32_f16_e32 v22, v2
.LBB371_1853:                           ;   in Loop: Header=BB371_1567 Depth=1
	s_or_b32 exec_lo, exec_lo, s13
.LBB371_1854:                           ;   in Loop: Header=BB371_1567 Depth=1
	s_delay_alu instid0(SALU_CYCLE_1)
	s_or_b32 exec_lo, exec_lo, s12
.LBB371_1855:                           ;   in Loop: Header=BB371_1567 Depth=1
	s_delay_alu instid0(SALU_CYCLE_1) | instskip(NEXT) | instid1(SALU_CYCLE_1)
	s_or_b32 exec_lo, exec_lo, s10
	s_mov_b32 s10, exec_lo
	v_cmpx_lt_u32_e32 0xffffff, v13
	s_cbranch_execz .LBB371_1863
; %bb.1856:                             ;   in Loop: Header=BB371_1567 Depth=1
	v_lshrrev_b32_e32 v34, 24, v13
	v_bfrev_b32_e32 v23, 1
	s_mov_b32 s12, exec_lo
	s_delay_alu instid0(VALU_DEP_2)
	v_cmpx_ne_u32_e32 0x80, v34
	s_cbranch_execz .LBB371_1862
; %bb.1857:                             ;   in Loop: Header=BB371_1567 Depth=1
	v_and_b32_e32 v15, 0x7f, v34
	v_mov_b32_e32 v23, 0x7fc02000
	s_mov_b32 s13, exec_lo
	s_delay_alu instid0(VALU_DEP_2)
	v_cmpx_ne_u32_e32 0x7f, v15
	s_cbranch_execz .LBB371_1861
; %bb.1858:                             ;   in Loop: Header=BB371_1567 Depth=1
	v_and_b32_e32 v2, 7, v34
	v_lshrrev_b32_e32 v23, 3, v15
	v_cmp_gt_u32_e64 s0, 8, v15
	s_delay_alu instid0(VALU_DEP_3) | instskip(NEXT) | instid1(VALU_DEP_2)
	v_dual_mov_b32 v16, v3 :: v_dual_mov_b32 v15, v2
	s_and_saveexec_b32 s15, s0
; %bb.1859:                             ;   in Loop: Header=BB371_1567 Depth=1
	v_clz_i32_u32_e32 v15, v2
	s_delay_alu instid0(VALU_DEP_1) | instskip(NEXT) | instid1(VALU_DEP_1)
	v_min_u32_e32 v23, 32, v15
	v_subrev_nc_u32_e32 v15, 28, v23
	v_sub_nc_u32_e32 v23, 29, v23
	s_delay_alu instid0(VALU_DEP_2) | instskip(NEXT) | instid1(VALU_DEP_1)
	v_lshlrev_b64 v[15:16], v15, v[2:3]
	v_and_b32_e32 v15, 7, v15
; %bb.1860:                             ;   in Loop: Header=BB371_1567 Depth=1
	s_or_b32 exec_lo, exec_lo, s15
	v_lshlrev_b32_e32 v2, 8, v34
	v_lshl_add_u32 v16, v23, 10, 0x2000
	s_delay_alu instid0(VALU_DEP_1) | instskip(NEXT) | instid1(VALU_DEP_1)
	v_and_or_b32 v2, 0x8000, v2, v16
	v_lshl_or_b32 v2, v15, 7, v2
	s_delay_alu instid0(VALU_DEP_1)
	v_cvt_f32_f16_e32 v23, v2
.LBB371_1861:                           ;   in Loop: Header=BB371_1567 Depth=1
	s_or_b32 exec_lo, exec_lo, s13
.LBB371_1862:                           ;   in Loop: Header=BB371_1567 Depth=1
	s_delay_alu instid0(SALU_CYCLE_1)
	s_or_b32 exec_lo, exec_lo, s12
.LBB371_1863:                           ;   in Loop: Header=BB371_1567 Depth=1
	s_delay_alu instid0(SALU_CYCLE_1) | instskip(SKIP_3) | instid1(VALU_DEP_2)
	s_or_b32 exec_lo, exec_lo, s10
	v_dual_mov_b32 v2, v14 :: v_dual_and_b32 v15, 0xff, v14
	v_dual_mov_b32 v35, 0 :: v_dual_mov_b32 v34, 0
	s_mov_b32 s10, exec_lo
	v_cmpx_ne_u16_e32 0, v15
	s_cbranch_execz .LBB371_1871
; %bb.1864:                             ;   in Loop: Header=BB371_1567 Depth=1
	v_bfrev_b32_e32 v34, 1
	s_mov_b32 s12, exec_lo
	v_cmpx_ne_u16_e32 0x80, v15
	s_cbranch_execz .LBB371_1870
; %bb.1865:                             ;   in Loop: Header=BB371_1567 Depth=1
	v_and_b32_e32 v15, 0x7f, v14
	v_mov_b32_e32 v34, 0x7fc02000
	s_mov_b32 s13, exec_lo
	s_delay_alu instid0(VALU_DEP_2)
	v_cmpx_ne_u32_e32 0x7f, v15
	s_cbranch_execz .LBB371_1869
; %bb.1866:                             ;   in Loop: Header=BB371_1567 Depth=1
	v_lshrrev_b32_e32 v34, 3, v15
	v_cmp_gt_u32_e64 s0, 8, v15
	v_dual_mov_b32 v16, v3 :: v_dual_mov_b32 v15, v2
	s_delay_alu instid0(VALU_DEP_2)
	s_and_saveexec_b32 s15, s0
; %bb.1867:                             ;   in Loop: Header=BB371_1567 Depth=1
	v_and_b32_e32 v15, 7, v14
	s_delay_alu instid0(VALU_DEP_1) | instskip(NEXT) | instid1(VALU_DEP_1)
	v_clz_i32_u32_e32 v15, v15
	v_min_u32_e32 v34, 32, v15
	s_delay_alu instid0(VALU_DEP_1) | instskip(SKIP_1) | instid1(VALU_DEP_2)
	v_subrev_nc_u32_e32 v15, 28, v34
	v_sub_nc_u32_e32 v34, 29, v34
	v_lshlrev_b64 v[15:16], v15, v[2:3]
; %bb.1868:                             ;   in Loop: Header=BB371_1567 Depth=1
	s_or_b32 exec_lo, exec_lo, s15
	v_lshlrev_b32_e32 v16, 8, v14
	s_delay_alu instid0(VALU_DEP_3) | instskip(NEXT) | instid1(VALU_DEP_3)
	v_lshl_add_u32 v34, v34, 10, 0x2000
	v_lshlrev_b32_e32 v15, 7, v15
	s_delay_alu instid0(VALU_DEP_2) | instskip(NEXT) | instid1(VALU_DEP_1)
	v_and_or_b32 v16, 0x8000, v16, v34
	v_and_or_b32 v15, 0x380, v15, v16
	s_delay_alu instid0(VALU_DEP_1)
	v_cvt_f32_f16_e32 v34, v15
.LBB371_1869:                           ;   in Loop: Header=BB371_1567 Depth=1
	s_or_b32 exec_lo, exec_lo, s13
.LBB371_1870:                           ;   in Loop: Header=BB371_1567 Depth=1
	s_delay_alu instid0(SALU_CYCLE_1)
	s_or_b32 exec_lo, exec_lo, s12
.LBB371_1871:                           ;   in Loop: Header=BB371_1567 Depth=1
	s_delay_alu instid0(SALU_CYCLE_1) | instskip(SKIP_2) | instid1(VALU_DEP_1)
	s_or_b32 exec_lo, exec_lo, s10
	v_lshrrev_b16 v2, 8, v2
	s_mov_b32 s10, exec_lo
	v_cmpx_ne_u16_e32 0, v2
	s_cbranch_execz .LBB371_1879
; %bb.1872:                             ;   in Loop: Header=BB371_1567 Depth=1
	v_bfrev_b32_e32 v35, 1
	s_mov_b32 s12, exec_lo
	v_cmpx_ne_u16_e32 0x80, v2
	s_cbranch_execz .LBB371_1878
; %bb.1873:                             ;   in Loop: Header=BB371_1567 Depth=1
	v_and_b32_e32 v36, 0xffff, v2
	v_mov_b32_e32 v35, 0x7fc02000
	s_mov_b32 s13, exec_lo
	s_delay_alu instid0(VALU_DEP_2) | instskip(NEXT) | instid1(VALU_DEP_1)
	v_and_b32_e32 v15, 0x7f, v36
	v_cmpx_ne_u32_e32 0x7f, v15
	s_cbranch_execz .LBB371_1877
; %bb.1874:                             ;   in Loop: Header=BB371_1567 Depth=1
	v_and_b32_e32 v2, 7, v36
	v_lshrrev_b32_e32 v35, 3, v15
	v_cmp_gt_u32_e64 s0, 8, v15
	s_delay_alu instid0(VALU_DEP_3) | instskip(NEXT) | instid1(VALU_DEP_2)
	v_dual_mov_b32 v16, v3 :: v_dual_mov_b32 v15, v2
	s_and_saveexec_b32 s15, s0
; %bb.1875:                             ;   in Loop: Header=BB371_1567 Depth=1
	v_clz_i32_u32_e32 v15, v2
	s_delay_alu instid0(VALU_DEP_1) | instskip(NEXT) | instid1(VALU_DEP_1)
	v_min_u32_e32 v35, 32, v15
	v_subrev_nc_u32_e32 v15, 28, v35
	v_sub_nc_u32_e32 v35, 29, v35
	s_delay_alu instid0(VALU_DEP_2) | instskip(NEXT) | instid1(VALU_DEP_1)
	v_lshlrev_b64 v[15:16], v15, v[2:3]
	v_and_b32_e32 v15, 7, v15
; %bb.1876:                             ;   in Loop: Header=BB371_1567 Depth=1
	s_or_b32 exec_lo, exec_lo, s15
	v_lshlrev_b32_e32 v2, 8, v36
	v_lshl_add_u32 v16, v35, 10, 0x2000
	s_delay_alu instid0(VALU_DEP_1) | instskip(NEXT) | instid1(VALU_DEP_1)
	v_and_or_b32 v2, 0x8000, v2, v16
	v_lshl_or_b32 v2, v15, 7, v2
	s_delay_alu instid0(VALU_DEP_1)
	v_cvt_f32_f16_e32 v35, v2
.LBB371_1877:                           ;   in Loop: Header=BB371_1567 Depth=1
	s_or_b32 exec_lo, exec_lo, s13
.LBB371_1878:                           ;   in Loop: Header=BB371_1567 Depth=1
	s_delay_alu instid0(SALU_CYCLE_1)
	s_or_b32 exec_lo, exec_lo, s12
.LBB371_1879:                           ;   in Loop: Header=BB371_1567 Depth=1
	s_delay_alu instid0(SALU_CYCLE_1) | instskip(SKIP_3) | instid1(VALU_DEP_2)
	s_or_b32 exec_lo, exec_lo, s10
	v_lshrrev_b32_e32 v132, 16, v14
	v_mov_b32_e32 v36, 0
	s_mov_b32 s10, exec_lo
	v_dual_mov_b32 v15, 0 :: v_dual_and_b32 v2, 0xff, v132
	s_delay_alu instid0(VALU_DEP_1)
	v_cmpx_ne_u16_e32 0, v2
	s_cbranch_execz .LBB371_1887
; %bb.1880:                             ;   in Loop: Header=BB371_1567 Depth=1
	v_bfrev_b32_e32 v15, 1
	s_mov_b32 s12, exec_lo
	v_cmpx_ne_u16_e32 0x80, v2
	s_cbranch_execz .LBB371_1886
; %bb.1881:                             ;   in Loop: Header=BB371_1567 Depth=1
	v_bfe_u32 v16, v14, 16, 7
	v_mov_b32_e32 v15, 0x7fc02000
	s_mov_b32 s13, exec_lo
	s_delay_alu instid0(VALU_DEP_2)
	v_cmpx_ne_u32_e32 0x7f, v16
	s_cbranch_execz .LBB371_1885
; %bb.1882:                             ;   in Loop: Header=BB371_1567 Depth=1
	v_and_b32_e32 v2, 7, v132
	v_lshrrev_b32_e32 v133, 3, v16
	v_cmp_gt_u32_e64 s0, 8, v16
	s_delay_alu instid0(VALU_DEP_3) | instskip(NEXT) | instid1(VALU_DEP_2)
	v_dual_mov_b32 v16, v3 :: v_dual_mov_b32 v15, v2
	s_and_saveexec_b32 s15, s0
; %bb.1883:                             ;   in Loop: Header=BB371_1567 Depth=1
	v_clz_i32_u32_e32 v15, v2
	s_delay_alu instid0(VALU_DEP_1) | instskip(NEXT) | instid1(VALU_DEP_1)
	v_min_u32_e32 v133, 32, v15
	v_subrev_nc_u32_e32 v15, 28, v133
	v_sub_nc_u32_e32 v133, 29, v133
	s_delay_alu instid0(VALU_DEP_2) | instskip(NEXT) | instid1(VALU_DEP_1)
	v_lshlrev_b64 v[15:16], v15, v[2:3]
	v_and_b32_e32 v15, 7, v15
; %bb.1884:                             ;   in Loop: Header=BB371_1567 Depth=1
	s_or_b32 exec_lo, exec_lo, s15
	v_lshlrev_b32_e32 v2, 8, v132
	v_lshl_add_u32 v16, v133, 10, 0x2000
	s_delay_alu instid0(VALU_DEP_1) | instskip(NEXT) | instid1(VALU_DEP_1)
	v_and_or_b32 v2, 0x8000, v2, v16
	v_lshl_or_b32 v2, v15, 7, v2
	s_delay_alu instid0(VALU_DEP_1)
	v_cvt_f32_f16_e32 v15, v2
.LBB371_1885:                           ;   in Loop: Header=BB371_1567 Depth=1
	s_or_b32 exec_lo, exec_lo, s13
.LBB371_1886:                           ;   in Loop: Header=BB371_1567 Depth=1
	s_delay_alu instid0(SALU_CYCLE_1)
	s_or_b32 exec_lo, exec_lo, s12
.LBB371_1887:                           ;   in Loop: Header=BB371_1567 Depth=1
	s_delay_alu instid0(SALU_CYCLE_1) | instskip(NEXT) | instid1(SALU_CYCLE_1)
	s_or_b32 exec_lo, exec_lo, s10
	s_mov_b32 s10, exec_lo
	v_cmpx_lt_u64_e64 s[8:9], v[13:14]
	s_cbranch_execz .LBB371_1895
; %bb.1888:                             ;   in Loop: Header=BB371_1567 Depth=1
	v_lshrrev_b32_e32 v16, 24, v14
	v_bfrev_b32_e32 v36, 1
	s_mov_b32 s12, exec_lo
	s_delay_alu instid0(VALU_DEP_2)
	v_cmpx_ne_u32_e32 0x80, v16
	s_cbranch_execz .LBB371_1894
; %bb.1889:                             ;   in Loop: Header=BB371_1567 Depth=1
	v_and_b32_e32 v13, 0x7f, v16
	v_mov_b32_e32 v36, 0x7fc02000
	s_mov_b32 s13, exec_lo
	s_delay_alu instid0(VALU_DEP_2)
	v_cmpx_ne_u32_e32 0x7f, v13
	s_cbranch_execz .LBB371_1893
; %bb.1890:                             ;   in Loop: Header=BB371_1567 Depth=1
	v_and_b32_e32 v2, 7, v16
	v_lshrrev_b32_e32 v36, 3, v13
	v_cmp_gt_u32_e64 s0, 8, v13
	s_delay_alu instid0(VALU_DEP_3) | instskip(NEXT) | instid1(VALU_DEP_2)
	v_dual_mov_b32 v14, v3 :: v_dual_mov_b32 v13, v2
	s_and_saveexec_b32 s15, s0
; %bb.1891:                             ;   in Loop: Header=BB371_1567 Depth=1
	v_clz_i32_u32_e32 v13, v2
	s_delay_alu instid0(VALU_DEP_1) | instskip(NEXT) | instid1(VALU_DEP_1)
	v_min_u32_e32 v36, 32, v13
	v_subrev_nc_u32_e32 v13, 28, v36
	v_sub_nc_u32_e32 v36, 29, v36
	s_delay_alu instid0(VALU_DEP_2) | instskip(NEXT) | instid1(VALU_DEP_1)
	v_lshlrev_b64 v[13:14], v13, v[2:3]
	v_and_b32_e32 v13, 7, v13
; %bb.1892:                             ;   in Loop: Header=BB371_1567 Depth=1
	s_or_b32 exec_lo, exec_lo, s15
	v_lshlrev_b32_e32 v2, 8, v16
	v_lshl_add_u32 v14, v36, 10, 0x2000
	s_delay_alu instid0(VALU_DEP_1) | instskip(NEXT) | instid1(VALU_DEP_1)
	v_and_or_b32 v2, 0x8000, v2, v14
	v_lshl_or_b32 v2, v13, 7, v2
	s_delay_alu instid0(VALU_DEP_1)
	v_cvt_f32_f16_e32 v36, v2
.LBB371_1893:                           ;   in Loop: Header=BB371_1567 Depth=1
	s_or_b32 exec_lo, exec_lo, s13
.LBB371_1894:                           ;   in Loop: Header=BB371_1567 Depth=1
	s_delay_alu instid0(SALU_CYCLE_1)
	s_or_b32 exec_lo, exec_lo, s12
.LBB371_1895:                           ;   in Loop: Header=BB371_1567 Depth=1
	s_delay_alu instid0(SALU_CYCLE_1)
	s_or_b32 exec_lo, exec_lo, s10
	s_waitcnt vmcnt(0) lgkmcnt(0)
	v_fma_mixlo_f16 v6, v4, v6, 0
	v_fma_mixlo_f16 v2, v4, v23, 0
	;; [unrolled: 1-line block ×5, first 2 shown]
	v_lshlrev_b32_e32 v14, 16, v6
	v_fma_mixlo_f16 v6, v4, v5, 0
	v_fma_mixlo_f16 v23, v4, v36, 0
	;; [unrolled: 1-line block ×3, first 2 shown]
	v_lshlrev_b32_e32 v2, 16, v2
	v_and_b32_e32 v13, 0xffff, v13
	v_and_b32_e32 v4, 0xffff, v6
	v_lshlrev_b32_e32 v15, 16, v16
	v_and_b32_e32 v16, 0xffff, v22
	v_lshlrev_b32_e32 v22, 16, v23
	v_and_b32_e32 v23, 0xffff, v5
	v_or_b32_e32 v6, v2, v13
	v_or_b32_e32 v13, v14, v4
	;; [unrolled: 1-line block ×3, first 2 shown]
	s_delay_alu instid0(VALU_DEP_4)
	v_or_b32_e32 v4, v22, v23
	s_and_saveexec_b32 s10, vcc_lo
	s_cbranch_execz .LBB371_1897
; %bb.1896:                             ;   in Loop: Header=BB371_1567 Depth=1
	v_cmp_lt_i32_e64 s0, v17, v37
	v_lshrrev_b32_e32 v14, 16, v13
	v_lshrrev_b32_e32 v15, 16, v6
	;; [unrolled: 1-line block ×4, first 2 shown]
	v_cndmask_b32_e64 v13, 0, v13, s0
	v_cmp_lt_i32_e64 s0, v117, v87
	s_delay_alu instid0(VALU_DEP_1) | instskip(SKIP_1) | instid1(VALU_DEP_2)
	v_cndmask_b32_e64 v14, 0, v14, s0
	v_cmp_lt_i32_e64 s0, v116, v87
	v_perm_b32 v13, v14, v13, 0x5040100
	s_delay_alu instid0(VALU_DEP_2) | instskip(SKIP_1) | instid1(VALU_DEP_1)
	v_cndmask_b32_e64 v15, 0, v15, s0
	v_cmp_lt_i32_e64 s0, v115, v37
	v_cndmask_b32_e64 v6, 0, v6, s0
	v_cmp_lt_i32_e64 s0, v114, v87
	s_delay_alu instid0(VALU_DEP_2) | instskip(NEXT) | instid1(VALU_DEP_2)
	v_perm_b32 v6, v15, v6, 0x5040100
	v_cndmask_b32_e64 v16, 0, v16, s0
	v_cmp_lt_i32_e64 s0, v113, v37
	s_delay_alu instid0(VALU_DEP_1) | instskip(SKIP_1) | instid1(VALU_DEP_2)
	v_cndmask_b32_e64 v2, 0, v2, s0
	v_cmp_lt_i32_e64 s0, v112, v87
	v_perm_b32 v2, v16, v2, 0x5040100
	s_delay_alu instid0(VALU_DEP_2) | instskip(SKIP_1) | instid1(VALU_DEP_1)
	v_cndmask_b32_e64 v4, 0, v4, s0
	v_cmp_lt_i32_e64 s0, v103, v37
	v_cndmask_b32_e64 v5, 0, v5, s0
	s_delay_alu instid0(VALU_DEP_1)
	v_perm_b32 v4, v4, v5, 0x5040100
.LBB371_1897:                           ;   in Loop: Header=BB371_1567 Depth=1
	s_or_b32 exec_lo, exec_lo, s10
	;;#ASMSTART
	v_pk_mul_f16 v5, v102, v13;

	;;#ASMEND
	;;#ASMSTART
	v_pk_mul_f16 v6, v100, v6;

	;;#ASMEND
	;; [unrolled: 4-line block ×4, first 2 shown]
	;;#ASMSTART
	v_pk_add_f16 v5, v5, v6;

	;;#ASMEND
	;;#ASMSTART
	v_pk_add_f16 v2, v5, v2;

	;;#ASMEND
	;; [unrolled: 4-line block ×3, first 2 shown]
	v_dual_mov_b32 v5, 0 :: v_dual_and_b32 v4, 0xffff, v2
	v_lshrrev_b32_e32 v2, 16, v2
	;;#ASMSTART
	v_cvt_f32_f16 v132, v4;
	;;#ASMEND
	;;#ASMSTART
	v_cvt_f32_f16 v133, v2;
	;;#ASMEND
	flat_load_b64 v[13:14], v[11:12] offset:1280
	flat_load_b32 v4, v[26:27]
	v_mov_b32_e32 v6, 0
	s_mov_b32 s10, exec_lo
	s_waitcnt vmcnt(1) lgkmcnt(1)
	v_and_b32_e32 v2, 0xff, v13
	s_delay_alu instid0(VALU_DEP_1)
	v_cmpx_ne_u16_e32 0, v2
	s_cbranch_execz .LBB371_1905
; %bb.1898:                             ;   in Loop: Header=BB371_1567 Depth=1
	v_bfrev_b32_e32 v5, 1
	s_mov_b32 s12, exec_lo
	v_cmpx_ne_u16_e32 0x80, v2
	s_cbranch_execz .LBB371_1904
; %bb.1899:                             ;   in Loop: Header=BB371_1567 Depth=1
	v_and_b32_e32 v15, 0x7f, v13
	v_mov_b32_e32 v5, 0x7fc02000
	s_mov_b32 s13, exec_lo
	s_delay_alu instid0(VALU_DEP_2)
	v_cmpx_ne_u32_e32 0x7f, v15
	s_cbranch_execz .LBB371_1903
; %bb.1900:                             ;   in Loop: Header=BB371_1567 Depth=1
	v_lshrrev_b32_e32 v2, 3, v15
	v_cmp_gt_u32_e64 s0, 8, v15
	v_dual_mov_b32 v16, v14 :: v_dual_mov_b32 v15, v13
	s_delay_alu instid0(VALU_DEP_2)
	s_and_saveexec_b32 s15, s0
; %bb.1901:                             ;   in Loop: Header=BB371_1567 Depth=1
	v_and_b32_e32 v2, 7, v13
	s_delay_alu instid0(VALU_DEP_1) | instskip(NEXT) | instid1(VALU_DEP_1)
	v_clz_i32_u32_e32 v2, v2
	v_min_u32_e32 v2, 32, v2
	s_delay_alu instid0(VALU_DEP_1) | instskip(SKIP_1) | instid1(VALU_DEP_2)
	v_subrev_nc_u32_e32 v5, 28, v2
	v_sub_nc_u32_e32 v2, 29, v2
	v_lshlrev_b64 v[15:16], v5, v[13:14]
; %bb.1902:                             ;   in Loop: Header=BB371_1567 Depth=1
	s_or_b32 exec_lo, exec_lo, s15
	v_lshlrev_b32_e32 v5, 8, v13
	s_delay_alu instid0(VALU_DEP_3) | instskip(NEXT) | instid1(VALU_DEP_3)
	v_lshl_add_u32 v2, v2, 10, 0x2000
	v_lshlrev_b32_e32 v15, 7, v15
	s_delay_alu instid0(VALU_DEP_2) | instskip(NEXT) | instid1(VALU_DEP_1)
	v_and_or_b32 v2, 0x8000, v5, v2
	v_and_or_b32 v2, 0x380, v15, v2
	s_delay_alu instid0(VALU_DEP_1)
	v_cvt_f32_f16_e32 v5, v2
.LBB371_1903:                           ;   in Loop: Header=BB371_1567 Depth=1
	s_or_b32 exec_lo, exec_lo, s13
.LBB371_1904:                           ;   in Loop: Header=BB371_1567 Depth=1
	s_delay_alu instid0(SALU_CYCLE_1)
	s_or_b32 exec_lo, exec_lo, s12
.LBB371_1905:                           ;   in Loop: Header=BB371_1567 Depth=1
	s_delay_alu instid0(SALU_CYCLE_1) | instskip(SKIP_2) | instid1(VALU_DEP_1)
	s_or_b32 exec_lo, exec_lo, s10
	v_lshrrev_b16 v2, 8, v13
	s_mov_b32 s10, exec_lo
	v_cmpx_ne_u16_e32 0, v2
	s_cbranch_execz .LBB371_1913
; %bb.1906:                             ;   in Loop: Header=BB371_1567 Depth=1
	v_bfrev_b32_e32 v6, 1
	s_mov_b32 s12, exec_lo
	v_cmpx_ne_u16_e32 0x80, v2
	s_cbranch_execz .LBB371_1912
; %bb.1907:                             ;   in Loop: Header=BB371_1567 Depth=1
	v_and_b32_e32 v22, 0xffff, v2
	v_mov_b32_e32 v6, 0x7fc02000
	s_mov_b32 s13, exec_lo
	s_delay_alu instid0(VALU_DEP_2) | instskip(NEXT) | instid1(VALU_DEP_1)
	v_and_b32_e32 v15, 0x7f, v22
	v_cmpx_ne_u32_e32 0x7f, v15
	s_cbranch_execz .LBB371_1911
; %bb.1908:                             ;   in Loop: Header=BB371_1567 Depth=1
	v_and_b32_e32 v2, 7, v22
	v_lshrrev_b32_e32 v6, 3, v15
	v_cmp_gt_u32_e64 s0, 8, v15
	s_delay_alu instid0(VALU_DEP_3) | instskip(NEXT) | instid1(VALU_DEP_2)
	v_dual_mov_b32 v16, v3 :: v_dual_mov_b32 v15, v2
	s_and_saveexec_b32 s15, s0
; %bb.1909:                             ;   in Loop: Header=BB371_1567 Depth=1
	v_clz_i32_u32_e32 v6, v2
	s_delay_alu instid0(VALU_DEP_1) | instskip(NEXT) | instid1(VALU_DEP_1)
	v_min_u32_e32 v6, 32, v6
	v_subrev_nc_u32_e32 v15, 28, v6
	v_sub_nc_u32_e32 v6, 29, v6
	s_delay_alu instid0(VALU_DEP_2) | instskip(NEXT) | instid1(VALU_DEP_1)
	v_lshlrev_b64 v[15:16], v15, v[2:3]
	v_and_b32_e32 v15, 7, v15
; %bb.1910:                             ;   in Loop: Header=BB371_1567 Depth=1
	s_or_b32 exec_lo, exec_lo, s15
	v_lshlrev_b32_e32 v2, 8, v22
	v_lshl_add_u32 v6, v6, 10, 0x2000
	s_delay_alu instid0(VALU_DEP_1) | instskip(NEXT) | instid1(VALU_DEP_1)
	v_and_or_b32 v2, 0x8000, v2, v6
	v_lshl_or_b32 v2, v15, 7, v2
	s_delay_alu instid0(VALU_DEP_1)
	v_cvt_f32_f16_e32 v6, v2
.LBB371_1911:                           ;   in Loop: Header=BB371_1567 Depth=1
	s_or_b32 exec_lo, exec_lo, s13
.LBB371_1912:                           ;   in Loop: Header=BB371_1567 Depth=1
	s_delay_alu instid0(SALU_CYCLE_1)
	s_or_b32 exec_lo, exec_lo, s12
.LBB371_1913:                           ;   in Loop: Header=BB371_1567 Depth=1
	s_delay_alu instid0(SALU_CYCLE_1) | instskip(SKIP_3) | instid1(VALU_DEP_2)
	s_or_b32 exec_lo, exec_lo, s10
	v_lshrrev_b32_e32 v34, 16, v13
	v_mov_b32_e32 v22, 0
	s_mov_b32 s10, exec_lo
	v_dual_mov_b32 v23, 0 :: v_dual_and_b32 v2, 0xff, v34
	s_delay_alu instid0(VALU_DEP_1)
	v_cmpx_ne_u16_e32 0, v2
	s_cbranch_execz .LBB371_1921
; %bb.1914:                             ;   in Loop: Header=BB371_1567 Depth=1
	v_bfrev_b32_e32 v22, 1
	s_mov_b32 s12, exec_lo
	v_cmpx_ne_u16_e32 0x80, v2
	s_cbranch_execz .LBB371_1920
; %bb.1915:                             ;   in Loop: Header=BB371_1567 Depth=1
	v_bfe_u32 v15, v13, 16, 7
	v_mov_b32_e32 v22, 0x7fc02000
	s_mov_b32 s13, exec_lo
	s_delay_alu instid0(VALU_DEP_2)
	v_cmpx_ne_u32_e32 0x7f, v15
	s_cbranch_execz .LBB371_1919
; %bb.1916:                             ;   in Loop: Header=BB371_1567 Depth=1
	v_and_b32_e32 v2, 7, v34
	v_lshrrev_b32_e32 v22, 3, v15
	v_cmp_gt_u32_e64 s0, 8, v15
	s_delay_alu instid0(VALU_DEP_3) | instskip(NEXT) | instid1(VALU_DEP_2)
	v_dual_mov_b32 v16, v3 :: v_dual_mov_b32 v15, v2
	s_and_saveexec_b32 s15, s0
; %bb.1917:                             ;   in Loop: Header=BB371_1567 Depth=1
	v_clz_i32_u32_e32 v15, v2
	s_delay_alu instid0(VALU_DEP_1) | instskip(NEXT) | instid1(VALU_DEP_1)
	v_min_u32_e32 v22, 32, v15
	v_subrev_nc_u32_e32 v15, 28, v22
	v_sub_nc_u32_e32 v22, 29, v22
	s_delay_alu instid0(VALU_DEP_2) | instskip(NEXT) | instid1(VALU_DEP_1)
	v_lshlrev_b64 v[15:16], v15, v[2:3]
	v_and_b32_e32 v15, 7, v15
; %bb.1918:                             ;   in Loop: Header=BB371_1567 Depth=1
	s_or_b32 exec_lo, exec_lo, s15
	v_lshlrev_b32_e32 v2, 8, v34
	v_lshl_add_u32 v16, v22, 10, 0x2000
	s_delay_alu instid0(VALU_DEP_1) | instskip(NEXT) | instid1(VALU_DEP_1)
	v_and_or_b32 v2, 0x8000, v2, v16
	v_lshl_or_b32 v2, v15, 7, v2
	s_delay_alu instid0(VALU_DEP_1)
	v_cvt_f32_f16_e32 v22, v2
.LBB371_1919:                           ;   in Loop: Header=BB371_1567 Depth=1
	s_or_b32 exec_lo, exec_lo, s13
.LBB371_1920:                           ;   in Loop: Header=BB371_1567 Depth=1
	s_delay_alu instid0(SALU_CYCLE_1)
	s_or_b32 exec_lo, exec_lo, s12
.LBB371_1921:                           ;   in Loop: Header=BB371_1567 Depth=1
	s_delay_alu instid0(SALU_CYCLE_1) | instskip(NEXT) | instid1(SALU_CYCLE_1)
	s_or_b32 exec_lo, exec_lo, s10
	s_mov_b32 s10, exec_lo
	v_cmpx_lt_u32_e32 0xffffff, v13
	s_cbranch_execz .LBB371_1929
; %bb.1922:                             ;   in Loop: Header=BB371_1567 Depth=1
	v_lshrrev_b32_e32 v34, 24, v13
	v_bfrev_b32_e32 v23, 1
	s_mov_b32 s12, exec_lo
	s_delay_alu instid0(VALU_DEP_2)
	v_cmpx_ne_u32_e32 0x80, v34
	s_cbranch_execz .LBB371_1928
; %bb.1923:                             ;   in Loop: Header=BB371_1567 Depth=1
	v_and_b32_e32 v15, 0x7f, v34
	v_mov_b32_e32 v23, 0x7fc02000
	s_mov_b32 s13, exec_lo
	s_delay_alu instid0(VALU_DEP_2)
	v_cmpx_ne_u32_e32 0x7f, v15
	s_cbranch_execz .LBB371_1927
; %bb.1924:                             ;   in Loop: Header=BB371_1567 Depth=1
	v_and_b32_e32 v2, 7, v34
	v_lshrrev_b32_e32 v23, 3, v15
	v_cmp_gt_u32_e64 s0, 8, v15
	s_delay_alu instid0(VALU_DEP_3) | instskip(NEXT) | instid1(VALU_DEP_2)
	v_dual_mov_b32 v16, v3 :: v_dual_mov_b32 v15, v2
	s_and_saveexec_b32 s15, s0
; %bb.1925:                             ;   in Loop: Header=BB371_1567 Depth=1
	v_clz_i32_u32_e32 v15, v2
	s_delay_alu instid0(VALU_DEP_1) | instskip(NEXT) | instid1(VALU_DEP_1)
	v_min_u32_e32 v23, 32, v15
	v_subrev_nc_u32_e32 v15, 28, v23
	v_sub_nc_u32_e32 v23, 29, v23
	s_delay_alu instid0(VALU_DEP_2) | instskip(NEXT) | instid1(VALU_DEP_1)
	v_lshlrev_b64 v[15:16], v15, v[2:3]
	v_and_b32_e32 v15, 7, v15
; %bb.1926:                             ;   in Loop: Header=BB371_1567 Depth=1
	s_or_b32 exec_lo, exec_lo, s15
	v_lshlrev_b32_e32 v2, 8, v34
	v_lshl_add_u32 v16, v23, 10, 0x2000
	s_delay_alu instid0(VALU_DEP_1) | instskip(NEXT) | instid1(VALU_DEP_1)
	v_and_or_b32 v2, 0x8000, v2, v16
	v_lshl_or_b32 v2, v15, 7, v2
	s_delay_alu instid0(VALU_DEP_1)
	v_cvt_f32_f16_e32 v23, v2
.LBB371_1927:                           ;   in Loop: Header=BB371_1567 Depth=1
	s_or_b32 exec_lo, exec_lo, s13
.LBB371_1928:                           ;   in Loop: Header=BB371_1567 Depth=1
	s_delay_alu instid0(SALU_CYCLE_1)
	s_or_b32 exec_lo, exec_lo, s12
.LBB371_1929:                           ;   in Loop: Header=BB371_1567 Depth=1
	s_delay_alu instid0(SALU_CYCLE_1) | instskip(SKIP_3) | instid1(VALU_DEP_2)
	s_or_b32 exec_lo, exec_lo, s10
	v_dual_mov_b32 v2, v14 :: v_dual_and_b32 v15, 0xff, v14
	v_dual_mov_b32 v35, 0 :: v_dual_mov_b32 v34, 0
	s_mov_b32 s10, exec_lo
	v_cmpx_ne_u16_e32 0, v15
	s_cbranch_execz .LBB371_1937
; %bb.1930:                             ;   in Loop: Header=BB371_1567 Depth=1
	v_bfrev_b32_e32 v34, 1
	s_mov_b32 s12, exec_lo
	v_cmpx_ne_u16_e32 0x80, v15
	s_cbranch_execz .LBB371_1936
; %bb.1931:                             ;   in Loop: Header=BB371_1567 Depth=1
	v_and_b32_e32 v15, 0x7f, v14
	v_mov_b32_e32 v34, 0x7fc02000
	s_mov_b32 s13, exec_lo
	s_delay_alu instid0(VALU_DEP_2)
	v_cmpx_ne_u32_e32 0x7f, v15
	s_cbranch_execz .LBB371_1935
; %bb.1932:                             ;   in Loop: Header=BB371_1567 Depth=1
	v_lshrrev_b32_e32 v34, 3, v15
	v_cmp_gt_u32_e64 s0, 8, v15
	v_dual_mov_b32 v16, v3 :: v_dual_mov_b32 v15, v2
	s_delay_alu instid0(VALU_DEP_2)
	s_and_saveexec_b32 s15, s0
; %bb.1933:                             ;   in Loop: Header=BB371_1567 Depth=1
	v_and_b32_e32 v15, 7, v14
	s_delay_alu instid0(VALU_DEP_1) | instskip(NEXT) | instid1(VALU_DEP_1)
	v_clz_i32_u32_e32 v15, v15
	v_min_u32_e32 v34, 32, v15
	s_delay_alu instid0(VALU_DEP_1) | instskip(SKIP_1) | instid1(VALU_DEP_2)
	v_subrev_nc_u32_e32 v15, 28, v34
	v_sub_nc_u32_e32 v34, 29, v34
	v_lshlrev_b64 v[15:16], v15, v[2:3]
; %bb.1934:                             ;   in Loop: Header=BB371_1567 Depth=1
	s_or_b32 exec_lo, exec_lo, s15
	v_lshlrev_b32_e32 v16, 8, v14
	s_delay_alu instid0(VALU_DEP_3) | instskip(NEXT) | instid1(VALU_DEP_3)
	v_lshl_add_u32 v34, v34, 10, 0x2000
	v_lshlrev_b32_e32 v15, 7, v15
	s_delay_alu instid0(VALU_DEP_2) | instskip(NEXT) | instid1(VALU_DEP_1)
	v_and_or_b32 v16, 0x8000, v16, v34
	v_and_or_b32 v15, 0x380, v15, v16
	s_delay_alu instid0(VALU_DEP_1)
	v_cvt_f32_f16_e32 v34, v15
.LBB371_1935:                           ;   in Loop: Header=BB371_1567 Depth=1
	s_or_b32 exec_lo, exec_lo, s13
.LBB371_1936:                           ;   in Loop: Header=BB371_1567 Depth=1
	s_delay_alu instid0(SALU_CYCLE_1)
	s_or_b32 exec_lo, exec_lo, s12
.LBB371_1937:                           ;   in Loop: Header=BB371_1567 Depth=1
	s_delay_alu instid0(SALU_CYCLE_1) | instskip(SKIP_2) | instid1(VALU_DEP_1)
	s_or_b32 exec_lo, exec_lo, s10
	v_lshrrev_b16 v2, 8, v2
	s_mov_b32 s10, exec_lo
	v_cmpx_ne_u16_e32 0, v2
	s_cbranch_execz .LBB371_1945
; %bb.1938:                             ;   in Loop: Header=BB371_1567 Depth=1
	v_bfrev_b32_e32 v35, 1
	s_mov_b32 s12, exec_lo
	v_cmpx_ne_u16_e32 0x80, v2
	s_cbranch_execz .LBB371_1944
; %bb.1939:                             ;   in Loop: Header=BB371_1567 Depth=1
	v_and_b32_e32 v36, 0xffff, v2
	v_mov_b32_e32 v35, 0x7fc02000
	s_mov_b32 s13, exec_lo
	s_delay_alu instid0(VALU_DEP_2) | instskip(NEXT) | instid1(VALU_DEP_1)
	v_and_b32_e32 v15, 0x7f, v36
	v_cmpx_ne_u32_e32 0x7f, v15
	s_cbranch_execz .LBB371_1943
; %bb.1940:                             ;   in Loop: Header=BB371_1567 Depth=1
	v_and_b32_e32 v2, 7, v36
	v_lshrrev_b32_e32 v35, 3, v15
	v_cmp_gt_u32_e64 s0, 8, v15
	s_delay_alu instid0(VALU_DEP_3) | instskip(NEXT) | instid1(VALU_DEP_2)
	v_dual_mov_b32 v16, v3 :: v_dual_mov_b32 v15, v2
	s_and_saveexec_b32 s15, s0
; %bb.1941:                             ;   in Loop: Header=BB371_1567 Depth=1
	v_clz_i32_u32_e32 v15, v2
	s_delay_alu instid0(VALU_DEP_1) | instskip(NEXT) | instid1(VALU_DEP_1)
	v_min_u32_e32 v35, 32, v15
	v_subrev_nc_u32_e32 v15, 28, v35
	v_sub_nc_u32_e32 v35, 29, v35
	s_delay_alu instid0(VALU_DEP_2) | instskip(NEXT) | instid1(VALU_DEP_1)
	v_lshlrev_b64 v[15:16], v15, v[2:3]
	v_and_b32_e32 v15, 7, v15
; %bb.1942:                             ;   in Loop: Header=BB371_1567 Depth=1
	s_or_b32 exec_lo, exec_lo, s15
	v_lshlrev_b32_e32 v2, 8, v36
	v_lshl_add_u32 v16, v35, 10, 0x2000
	s_delay_alu instid0(VALU_DEP_1) | instskip(NEXT) | instid1(VALU_DEP_1)
	v_and_or_b32 v2, 0x8000, v2, v16
	v_lshl_or_b32 v2, v15, 7, v2
	s_delay_alu instid0(VALU_DEP_1)
	v_cvt_f32_f16_e32 v35, v2
.LBB371_1943:                           ;   in Loop: Header=BB371_1567 Depth=1
	s_or_b32 exec_lo, exec_lo, s13
.LBB371_1944:                           ;   in Loop: Header=BB371_1567 Depth=1
	s_delay_alu instid0(SALU_CYCLE_1)
	s_or_b32 exec_lo, exec_lo, s12
.LBB371_1945:                           ;   in Loop: Header=BB371_1567 Depth=1
	s_delay_alu instid0(SALU_CYCLE_1) | instskip(SKIP_3) | instid1(VALU_DEP_2)
	s_or_b32 exec_lo, exec_lo, s10
	v_lshrrev_b32_e32 v134, 16, v14
	v_mov_b32_e32 v36, 0
	s_mov_b32 s10, exec_lo
	v_dual_mov_b32 v15, 0 :: v_dual_and_b32 v2, 0xff, v134
	s_delay_alu instid0(VALU_DEP_1)
	v_cmpx_ne_u16_e32 0, v2
	s_cbranch_execz .LBB371_1953
; %bb.1946:                             ;   in Loop: Header=BB371_1567 Depth=1
	v_bfrev_b32_e32 v15, 1
	s_mov_b32 s12, exec_lo
	v_cmpx_ne_u16_e32 0x80, v2
	s_cbranch_execz .LBB371_1952
; %bb.1947:                             ;   in Loop: Header=BB371_1567 Depth=1
	v_bfe_u32 v16, v14, 16, 7
	v_mov_b32_e32 v15, 0x7fc02000
	s_mov_b32 s13, exec_lo
	s_delay_alu instid0(VALU_DEP_2)
	v_cmpx_ne_u32_e32 0x7f, v16
	s_cbranch_execz .LBB371_1951
; %bb.1948:                             ;   in Loop: Header=BB371_1567 Depth=1
	v_and_b32_e32 v2, 7, v134
	v_lshrrev_b32_e32 v135, 3, v16
	v_cmp_gt_u32_e64 s0, 8, v16
	s_delay_alu instid0(VALU_DEP_3) | instskip(NEXT) | instid1(VALU_DEP_2)
	v_dual_mov_b32 v16, v3 :: v_dual_mov_b32 v15, v2
	s_and_saveexec_b32 s15, s0
; %bb.1949:                             ;   in Loop: Header=BB371_1567 Depth=1
	v_clz_i32_u32_e32 v15, v2
	s_delay_alu instid0(VALU_DEP_1) | instskip(NEXT) | instid1(VALU_DEP_1)
	v_min_u32_e32 v135, 32, v15
	v_subrev_nc_u32_e32 v15, 28, v135
	v_sub_nc_u32_e32 v135, 29, v135
	s_delay_alu instid0(VALU_DEP_2) | instskip(NEXT) | instid1(VALU_DEP_1)
	v_lshlrev_b64 v[15:16], v15, v[2:3]
	v_and_b32_e32 v15, 7, v15
; %bb.1950:                             ;   in Loop: Header=BB371_1567 Depth=1
	s_or_b32 exec_lo, exec_lo, s15
	v_lshlrev_b32_e32 v2, 8, v134
	v_lshl_add_u32 v16, v135, 10, 0x2000
	s_delay_alu instid0(VALU_DEP_1) | instskip(NEXT) | instid1(VALU_DEP_1)
	v_and_or_b32 v2, 0x8000, v2, v16
	v_lshl_or_b32 v2, v15, 7, v2
	s_delay_alu instid0(VALU_DEP_1)
	v_cvt_f32_f16_e32 v15, v2
.LBB371_1951:                           ;   in Loop: Header=BB371_1567 Depth=1
	s_or_b32 exec_lo, exec_lo, s13
.LBB371_1952:                           ;   in Loop: Header=BB371_1567 Depth=1
	s_delay_alu instid0(SALU_CYCLE_1)
	s_or_b32 exec_lo, exec_lo, s12
.LBB371_1953:                           ;   in Loop: Header=BB371_1567 Depth=1
	s_delay_alu instid0(SALU_CYCLE_1) | instskip(NEXT) | instid1(SALU_CYCLE_1)
	s_or_b32 exec_lo, exec_lo, s10
	s_mov_b32 s10, exec_lo
	v_cmpx_lt_u64_e64 s[8:9], v[13:14]
	s_cbranch_execz .LBB371_1961
; %bb.1954:                             ;   in Loop: Header=BB371_1567 Depth=1
	v_lshrrev_b32_e32 v16, 24, v14
	v_bfrev_b32_e32 v36, 1
	s_mov_b32 s12, exec_lo
	s_delay_alu instid0(VALU_DEP_2)
	v_cmpx_ne_u32_e32 0x80, v16
	s_cbranch_execz .LBB371_1960
; %bb.1955:                             ;   in Loop: Header=BB371_1567 Depth=1
	v_and_b32_e32 v13, 0x7f, v16
	v_mov_b32_e32 v36, 0x7fc02000
	s_mov_b32 s13, exec_lo
	s_delay_alu instid0(VALU_DEP_2)
	v_cmpx_ne_u32_e32 0x7f, v13
	s_cbranch_execz .LBB371_1959
; %bb.1956:                             ;   in Loop: Header=BB371_1567 Depth=1
	v_and_b32_e32 v2, 7, v16
	v_lshrrev_b32_e32 v36, 3, v13
	v_cmp_gt_u32_e64 s0, 8, v13
	s_delay_alu instid0(VALU_DEP_3) | instskip(NEXT) | instid1(VALU_DEP_2)
	v_dual_mov_b32 v14, v3 :: v_dual_mov_b32 v13, v2
	s_and_saveexec_b32 s15, s0
; %bb.1957:                             ;   in Loop: Header=BB371_1567 Depth=1
	v_clz_i32_u32_e32 v13, v2
	s_delay_alu instid0(VALU_DEP_1) | instskip(NEXT) | instid1(VALU_DEP_1)
	v_min_u32_e32 v36, 32, v13
	v_subrev_nc_u32_e32 v13, 28, v36
	v_sub_nc_u32_e32 v36, 29, v36
	s_delay_alu instid0(VALU_DEP_2) | instskip(NEXT) | instid1(VALU_DEP_1)
	v_lshlrev_b64 v[13:14], v13, v[2:3]
	v_and_b32_e32 v13, 7, v13
; %bb.1958:                             ;   in Loop: Header=BB371_1567 Depth=1
	s_or_b32 exec_lo, exec_lo, s15
	v_lshlrev_b32_e32 v2, 8, v16
	v_lshl_add_u32 v14, v36, 10, 0x2000
	s_delay_alu instid0(VALU_DEP_1) | instskip(NEXT) | instid1(VALU_DEP_1)
	v_and_or_b32 v2, 0x8000, v2, v14
	v_lshl_or_b32 v2, v13, 7, v2
	s_delay_alu instid0(VALU_DEP_1)
	v_cvt_f32_f16_e32 v36, v2
.LBB371_1959:                           ;   in Loop: Header=BB371_1567 Depth=1
	s_or_b32 exec_lo, exec_lo, s13
.LBB371_1960:                           ;   in Loop: Header=BB371_1567 Depth=1
	s_delay_alu instid0(SALU_CYCLE_1)
	s_or_b32 exec_lo, exec_lo, s12
.LBB371_1961:                           ;   in Loop: Header=BB371_1567 Depth=1
	s_delay_alu instid0(SALU_CYCLE_1)
	s_or_b32 exec_lo, exec_lo, s10
	s_waitcnt vmcnt(0) lgkmcnt(0)
	v_fma_mixlo_f16 v6, v4, v6, 0
	v_fma_mixlo_f16 v2, v4, v23, 0
	;; [unrolled: 1-line block ×5, first 2 shown]
	v_lshlrev_b32_e32 v14, 16, v6
	v_fma_mixlo_f16 v6, v4, v5, 0
	v_fma_mixlo_f16 v23, v4, v36, 0
	;; [unrolled: 1-line block ×3, first 2 shown]
	v_lshlrev_b32_e32 v2, 16, v2
	v_and_b32_e32 v13, 0xffff, v13
	v_and_b32_e32 v4, 0xffff, v6
	v_lshlrev_b32_e32 v15, 16, v16
	v_and_b32_e32 v16, 0xffff, v22
	v_lshlrev_b32_e32 v22, 16, v23
	v_and_b32_e32 v23, 0xffff, v5
	v_or_b32_e32 v6, v2, v13
	v_or_b32_e32 v13, v14, v4
	;; [unrolled: 1-line block ×3, first 2 shown]
	s_delay_alu instid0(VALU_DEP_4)
	v_or_b32_e32 v4, v22, v23
	s_and_saveexec_b32 s10, vcc_lo
	s_cbranch_execz .LBB371_1963
; %bb.1962:                             ;   in Loop: Header=BB371_1567 Depth=1
	v_cmp_lt_i32_e64 s0, v17, v37
	v_lshrrev_b32_e32 v14, 16, v13
	v_lshrrev_b32_e32 v15, 16, v6
	;; [unrolled: 1-line block ×4, first 2 shown]
	v_cndmask_b32_e64 v13, 0, v13, s0
	v_cmp_lt_i32_e64 s0, v117, v87
	s_delay_alu instid0(VALU_DEP_1) | instskip(SKIP_1) | instid1(VALU_DEP_2)
	v_cndmask_b32_e64 v14, 0, v14, s0
	v_cmp_lt_i32_e64 s0, v116, v87
	v_perm_b32 v13, v14, v13, 0x5040100
	s_delay_alu instid0(VALU_DEP_2) | instskip(SKIP_1) | instid1(VALU_DEP_1)
	v_cndmask_b32_e64 v15, 0, v15, s0
	v_cmp_lt_i32_e64 s0, v115, v37
	v_cndmask_b32_e64 v6, 0, v6, s0
	v_cmp_lt_i32_e64 s0, v114, v87
	s_delay_alu instid0(VALU_DEP_2) | instskip(NEXT) | instid1(VALU_DEP_2)
	v_perm_b32 v6, v15, v6, 0x5040100
	v_cndmask_b32_e64 v16, 0, v16, s0
	v_cmp_lt_i32_e64 s0, v113, v37
	s_delay_alu instid0(VALU_DEP_1) | instskip(SKIP_1) | instid1(VALU_DEP_2)
	v_cndmask_b32_e64 v2, 0, v2, s0
	v_cmp_lt_i32_e64 s0, v112, v87
	v_perm_b32 v2, v16, v2, 0x5040100
	s_delay_alu instid0(VALU_DEP_2) | instskip(SKIP_1) | instid1(VALU_DEP_1)
	v_cndmask_b32_e64 v4, 0, v4, s0
	v_cmp_lt_i32_e64 s0, v103, v37
	v_cndmask_b32_e64 v5, 0, v5, s0
	s_delay_alu instid0(VALU_DEP_1)
	v_perm_b32 v4, v4, v5, 0x5040100
.LBB371_1963:                           ;   in Loop: Header=BB371_1567 Depth=1
	s_or_b32 exec_lo, exec_lo, s10
	;;#ASMSTART
	v_pk_mul_f16 v5, v102, v13;

	;;#ASMEND
	;;#ASMSTART
	v_pk_mul_f16 v6, v100, v6;

	;;#ASMEND
	;; [unrolled: 4-line block ×4, first 2 shown]
	;;#ASMSTART
	v_pk_add_f16 v5, v5, v6;

	;;#ASMEND
	;;#ASMSTART
	v_pk_add_f16 v2, v5, v2;

	;;#ASMEND
	;; [unrolled: 4-line block ×3, first 2 shown]
	v_dual_mov_b32 v5, 0 :: v_dual_and_b32 v4, 0xffff, v2
	v_lshrrev_b32_e32 v2, 16, v2
	;;#ASMSTART
	v_cvt_f32_f16 v134, v4;
	;;#ASMEND
	;;#ASMSTART
	v_cvt_f32_f16 v135, v2;
	;;#ASMEND
	flat_load_b64 v[13:14], v[11:12] offset:1536
	flat_load_b32 v4, v[26:27]
	v_mov_b32_e32 v6, 0
	s_mov_b32 s10, exec_lo
	s_waitcnt vmcnt(1) lgkmcnt(1)
	v_and_b32_e32 v2, 0xff, v13
	s_delay_alu instid0(VALU_DEP_1)
	v_cmpx_ne_u16_e32 0, v2
	s_cbranch_execz .LBB371_1971
; %bb.1964:                             ;   in Loop: Header=BB371_1567 Depth=1
	v_bfrev_b32_e32 v5, 1
	s_mov_b32 s12, exec_lo
	v_cmpx_ne_u16_e32 0x80, v2
	s_cbranch_execz .LBB371_1970
; %bb.1965:                             ;   in Loop: Header=BB371_1567 Depth=1
	v_and_b32_e32 v15, 0x7f, v13
	v_mov_b32_e32 v5, 0x7fc02000
	s_mov_b32 s13, exec_lo
	s_delay_alu instid0(VALU_DEP_2)
	v_cmpx_ne_u32_e32 0x7f, v15
	s_cbranch_execz .LBB371_1969
; %bb.1966:                             ;   in Loop: Header=BB371_1567 Depth=1
	v_lshrrev_b32_e32 v2, 3, v15
	v_cmp_gt_u32_e64 s0, 8, v15
	v_dual_mov_b32 v16, v14 :: v_dual_mov_b32 v15, v13
	s_delay_alu instid0(VALU_DEP_2)
	s_and_saveexec_b32 s15, s0
; %bb.1967:                             ;   in Loop: Header=BB371_1567 Depth=1
	v_and_b32_e32 v2, 7, v13
	s_delay_alu instid0(VALU_DEP_1) | instskip(NEXT) | instid1(VALU_DEP_1)
	v_clz_i32_u32_e32 v2, v2
	v_min_u32_e32 v2, 32, v2
	s_delay_alu instid0(VALU_DEP_1) | instskip(SKIP_1) | instid1(VALU_DEP_2)
	v_subrev_nc_u32_e32 v5, 28, v2
	v_sub_nc_u32_e32 v2, 29, v2
	v_lshlrev_b64 v[15:16], v5, v[13:14]
; %bb.1968:                             ;   in Loop: Header=BB371_1567 Depth=1
	s_or_b32 exec_lo, exec_lo, s15
	v_lshlrev_b32_e32 v5, 8, v13
	s_delay_alu instid0(VALU_DEP_3) | instskip(NEXT) | instid1(VALU_DEP_3)
	v_lshl_add_u32 v2, v2, 10, 0x2000
	v_lshlrev_b32_e32 v15, 7, v15
	s_delay_alu instid0(VALU_DEP_2) | instskip(NEXT) | instid1(VALU_DEP_1)
	v_and_or_b32 v2, 0x8000, v5, v2
	v_and_or_b32 v2, 0x380, v15, v2
	s_delay_alu instid0(VALU_DEP_1)
	v_cvt_f32_f16_e32 v5, v2
.LBB371_1969:                           ;   in Loop: Header=BB371_1567 Depth=1
	s_or_b32 exec_lo, exec_lo, s13
.LBB371_1970:                           ;   in Loop: Header=BB371_1567 Depth=1
	s_delay_alu instid0(SALU_CYCLE_1)
	s_or_b32 exec_lo, exec_lo, s12
.LBB371_1971:                           ;   in Loop: Header=BB371_1567 Depth=1
	s_delay_alu instid0(SALU_CYCLE_1) | instskip(SKIP_2) | instid1(VALU_DEP_1)
	s_or_b32 exec_lo, exec_lo, s10
	v_lshrrev_b16 v2, 8, v13
	s_mov_b32 s10, exec_lo
	v_cmpx_ne_u16_e32 0, v2
	s_cbranch_execz .LBB371_1979
; %bb.1972:                             ;   in Loop: Header=BB371_1567 Depth=1
	v_bfrev_b32_e32 v6, 1
	s_mov_b32 s12, exec_lo
	v_cmpx_ne_u16_e32 0x80, v2
	s_cbranch_execz .LBB371_1978
; %bb.1973:                             ;   in Loop: Header=BB371_1567 Depth=1
	v_and_b32_e32 v22, 0xffff, v2
	v_mov_b32_e32 v6, 0x7fc02000
	s_mov_b32 s13, exec_lo
	s_delay_alu instid0(VALU_DEP_2) | instskip(NEXT) | instid1(VALU_DEP_1)
	v_and_b32_e32 v15, 0x7f, v22
	v_cmpx_ne_u32_e32 0x7f, v15
	s_cbranch_execz .LBB371_1977
; %bb.1974:                             ;   in Loop: Header=BB371_1567 Depth=1
	v_and_b32_e32 v2, 7, v22
	v_lshrrev_b32_e32 v6, 3, v15
	v_cmp_gt_u32_e64 s0, 8, v15
	s_delay_alu instid0(VALU_DEP_3) | instskip(NEXT) | instid1(VALU_DEP_2)
	v_dual_mov_b32 v16, v3 :: v_dual_mov_b32 v15, v2
	s_and_saveexec_b32 s15, s0
; %bb.1975:                             ;   in Loop: Header=BB371_1567 Depth=1
	v_clz_i32_u32_e32 v6, v2
	s_delay_alu instid0(VALU_DEP_1) | instskip(NEXT) | instid1(VALU_DEP_1)
	v_min_u32_e32 v6, 32, v6
	v_subrev_nc_u32_e32 v15, 28, v6
	v_sub_nc_u32_e32 v6, 29, v6
	s_delay_alu instid0(VALU_DEP_2) | instskip(NEXT) | instid1(VALU_DEP_1)
	v_lshlrev_b64 v[15:16], v15, v[2:3]
	v_and_b32_e32 v15, 7, v15
; %bb.1976:                             ;   in Loop: Header=BB371_1567 Depth=1
	s_or_b32 exec_lo, exec_lo, s15
	v_lshlrev_b32_e32 v2, 8, v22
	v_lshl_add_u32 v6, v6, 10, 0x2000
	s_delay_alu instid0(VALU_DEP_1) | instskip(NEXT) | instid1(VALU_DEP_1)
	v_and_or_b32 v2, 0x8000, v2, v6
	v_lshl_or_b32 v2, v15, 7, v2
	s_delay_alu instid0(VALU_DEP_1)
	v_cvt_f32_f16_e32 v6, v2
.LBB371_1977:                           ;   in Loop: Header=BB371_1567 Depth=1
	s_or_b32 exec_lo, exec_lo, s13
.LBB371_1978:                           ;   in Loop: Header=BB371_1567 Depth=1
	s_delay_alu instid0(SALU_CYCLE_1)
	s_or_b32 exec_lo, exec_lo, s12
.LBB371_1979:                           ;   in Loop: Header=BB371_1567 Depth=1
	s_delay_alu instid0(SALU_CYCLE_1) | instskip(SKIP_3) | instid1(VALU_DEP_2)
	s_or_b32 exec_lo, exec_lo, s10
	v_lshrrev_b32_e32 v34, 16, v13
	v_mov_b32_e32 v22, 0
	s_mov_b32 s10, exec_lo
	v_dual_mov_b32 v23, 0 :: v_dual_and_b32 v2, 0xff, v34
	s_delay_alu instid0(VALU_DEP_1)
	v_cmpx_ne_u16_e32 0, v2
	s_cbranch_execz .LBB371_1987
; %bb.1980:                             ;   in Loop: Header=BB371_1567 Depth=1
	v_bfrev_b32_e32 v22, 1
	s_mov_b32 s12, exec_lo
	v_cmpx_ne_u16_e32 0x80, v2
	s_cbranch_execz .LBB371_1986
; %bb.1981:                             ;   in Loop: Header=BB371_1567 Depth=1
	v_bfe_u32 v15, v13, 16, 7
	v_mov_b32_e32 v22, 0x7fc02000
	s_mov_b32 s13, exec_lo
	s_delay_alu instid0(VALU_DEP_2)
	v_cmpx_ne_u32_e32 0x7f, v15
	s_cbranch_execz .LBB371_1985
; %bb.1982:                             ;   in Loop: Header=BB371_1567 Depth=1
	v_and_b32_e32 v2, 7, v34
	v_lshrrev_b32_e32 v22, 3, v15
	v_cmp_gt_u32_e64 s0, 8, v15
	s_delay_alu instid0(VALU_DEP_3) | instskip(NEXT) | instid1(VALU_DEP_2)
	v_dual_mov_b32 v16, v3 :: v_dual_mov_b32 v15, v2
	s_and_saveexec_b32 s15, s0
; %bb.1983:                             ;   in Loop: Header=BB371_1567 Depth=1
	v_clz_i32_u32_e32 v15, v2
	s_delay_alu instid0(VALU_DEP_1) | instskip(NEXT) | instid1(VALU_DEP_1)
	v_min_u32_e32 v22, 32, v15
	v_subrev_nc_u32_e32 v15, 28, v22
	v_sub_nc_u32_e32 v22, 29, v22
	s_delay_alu instid0(VALU_DEP_2) | instskip(NEXT) | instid1(VALU_DEP_1)
	v_lshlrev_b64 v[15:16], v15, v[2:3]
	v_and_b32_e32 v15, 7, v15
; %bb.1984:                             ;   in Loop: Header=BB371_1567 Depth=1
	s_or_b32 exec_lo, exec_lo, s15
	v_lshlrev_b32_e32 v2, 8, v34
	v_lshl_add_u32 v16, v22, 10, 0x2000
	s_delay_alu instid0(VALU_DEP_1) | instskip(NEXT) | instid1(VALU_DEP_1)
	v_and_or_b32 v2, 0x8000, v2, v16
	v_lshl_or_b32 v2, v15, 7, v2
	s_delay_alu instid0(VALU_DEP_1)
	v_cvt_f32_f16_e32 v22, v2
.LBB371_1985:                           ;   in Loop: Header=BB371_1567 Depth=1
	s_or_b32 exec_lo, exec_lo, s13
.LBB371_1986:                           ;   in Loop: Header=BB371_1567 Depth=1
	s_delay_alu instid0(SALU_CYCLE_1)
	s_or_b32 exec_lo, exec_lo, s12
.LBB371_1987:                           ;   in Loop: Header=BB371_1567 Depth=1
	s_delay_alu instid0(SALU_CYCLE_1) | instskip(NEXT) | instid1(SALU_CYCLE_1)
	s_or_b32 exec_lo, exec_lo, s10
	s_mov_b32 s10, exec_lo
	v_cmpx_lt_u32_e32 0xffffff, v13
	s_cbranch_execz .LBB371_1995
; %bb.1988:                             ;   in Loop: Header=BB371_1567 Depth=1
	v_lshrrev_b32_e32 v34, 24, v13
	v_bfrev_b32_e32 v23, 1
	s_mov_b32 s12, exec_lo
	s_delay_alu instid0(VALU_DEP_2)
	v_cmpx_ne_u32_e32 0x80, v34
	s_cbranch_execz .LBB371_1994
; %bb.1989:                             ;   in Loop: Header=BB371_1567 Depth=1
	v_and_b32_e32 v15, 0x7f, v34
	v_mov_b32_e32 v23, 0x7fc02000
	s_mov_b32 s13, exec_lo
	s_delay_alu instid0(VALU_DEP_2)
	v_cmpx_ne_u32_e32 0x7f, v15
	s_cbranch_execz .LBB371_1993
; %bb.1990:                             ;   in Loop: Header=BB371_1567 Depth=1
	v_and_b32_e32 v2, 7, v34
	v_lshrrev_b32_e32 v23, 3, v15
	v_cmp_gt_u32_e64 s0, 8, v15
	s_delay_alu instid0(VALU_DEP_3) | instskip(NEXT) | instid1(VALU_DEP_2)
	v_dual_mov_b32 v16, v3 :: v_dual_mov_b32 v15, v2
	s_and_saveexec_b32 s15, s0
; %bb.1991:                             ;   in Loop: Header=BB371_1567 Depth=1
	v_clz_i32_u32_e32 v15, v2
	s_delay_alu instid0(VALU_DEP_1) | instskip(NEXT) | instid1(VALU_DEP_1)
	v_min_u32_e32 v23, 32, v15
	v_subrev_nc_u32_e32 v15, 28, v23
	v_sub_nc_u32_e32 v23, 29, v23
	s_delay_alu instid0(VALU_DEP_2) | instskip(NEXT) | instid1(VALU_DEP_1)
	v_lshlrev_b64 v[15:16], v15, v[2:3]
	v_and_b32_e32 v15, 7, v15
; %bb.1992:                             ;   in Loop: Header=BB371_1567 Depth=1
	s_or_b32 exec_lo, exec_lo, s15
	v_lshlrev_b32_e32 v2, 8, v34
	v_lshl_add_u32 v16, v23, 10, 0x2000
	s_delay_alu instid0(VALU_DEP_1) | instskip(NEXT) | instid1(VALU_DEP_1)
	v_and_or_b32 v2, 0x8000, v2, v16
	v_lshl_or_b32 v2, v15, 7, v2
	s_delay_alu instid0(VALU_DEP_1)
	v_cvt_f32_f16_e32 v23, v2
.LBB371_1993:                           ;   in Loop: Header=BB371_1567 Depth=1
	s_or_b32 exec_lo, exec_lo, s13
.LBB371_1994:                           ;   in Loop: Header=BB371_1567 Depth=1
	s_delay_alu instid0(SALU_CYCLE_1)
	s_or_b32 exec_lo, exec_lo, s12
.LBB371_1995:                           ;   in Loop: Header=BB371_1567 Depth=1
	s_delay_alu instid0(SALU_CYCLE_1) | instskip(SKIP_3) | instid1(VALU_DEP_2)
	s_or_b32 exec_lo, exec_lo, s10
	v_dual_mov_b32 v2, v14 :: v_dual_and_b32 v15, 0xff, v14
	v_dual_mov_b32 v35, 0 :: v_dual_mov_b32 v34, 0
	s_mov_b32 s10, exec_lo
	v_cmpx_ne_u16_e32 0, v15
	s_cbranch_execz .LBB371_2003
; %bb.1996:                             ;   in Loop: Header=BB371_1567 Depth=1
	v_bfrev_b32_e32 v34, 1
	s_mov_b32 s12, exec_lo
	v_cmpx_ne_u16_e32 0x80, v15
	s_cbranch_execz .LBB371_2002
; %bb.1997:                             ;   in Loop: Header=BB371_1567 Depth=1
	v_and_b32_e32 v15, 0x7f, v14
	v_mov_b32_e32 v34, 0x7fc02000
	s_mov_b32 s13, exec_lo
	s_delay_alu instid0(VALU_DEP_2)
	v_cmpx_ne_u32_e32 0x7f, v15
	s_cbranch_execz .LBB371_2001
; %bb.1998:                             ;   in Loop: Header=BB371_1567 Depth=1
	v_lshrrev_b32_e32 v34, 3, v15
	v_cmp_gt_u32_e64 s0, 8, v15
	v_dual_mov_b32 v16, v3 :: v_dual_mov_b32 v15, v2
	s_delay_alu instid0(VALU_DEP_2)
	s_and_saveexec_b32 s15, s0
; %bb.1999:                             ;   in Loop: Header=BB371_1567 Depth=1
	v_and_b32_e32 v15, 7, v14
	s_delay_alu instid0(VALU_DEP_1) | instskip(NEXT) | instid1(VALU_DEP_1)
	v_clz_i32_u32_e32 v15, v15
	v_min_u32_e32 v34, 32, v15
	s_delay_alu instid0(VALU_DEP_1) | instskip(SKIP_1) | instid1(VALU_DEP_2)
	v_subrev_nc_u32_e32 v15, 28, v34
	v_sub_nc_u32_e32 v34, 29, v34
	v_lshlrev_b64 v[15:16], v15, v[2:3]
; %bb.2000:                             ;   in Loop: Header=BB371_1567 Depth=1
	s_or_b32 exec_lo, exec_lo, s15
	v_lshlrev_b32_e32 v16, 8, v14
	s_delay_alu instid0(VALU_DEP_3) | instskip(NEXT) | instid1(VALU_DEP_3)
	v_lshl_add_u32 v34, v34, 10, 0x2000
	v_lshlrev_b32_e32 v15, 7, v15
	s_delay_alu instid0(VALU_DEP_2) | instskip(NEXT) | instid1(VALU_DEP_1)
	v_and_or_b32 v16, 0x8000, v16, v34
	v_and_or_b32 v15, 0x380, v15, v16
	s_delay_alu instid0(VALU_DEP_1)
	v_cvt_f32_f16_e32 v34, v15
.LBB371_2001:                           ;   in Loop: Header=BB371_1567 Depth=1
	s_or_b32 exec_lo, exec_lo, s13
.LBB371_2002:                           ;   in Loop: Header=BB371_1567 Depth=1
	s_delay_alu instid0(SALU_CYCLE_1)
	s_or_b32 exec_lo, exec_lo, s12
.LBB371_2003:                           ;   in Loop: Header=BB371_1567 Depth=1
	s_delay_alu instid0(SALU_CYCLE_1) | instskip(SKIP_2) | instid1(VALU_DEP_1)
	s_or_b32 exec_lo, exec_lo, s10
	v_lshrrev_b16 v2, 8, v2
	s_mov_b32 s10, exec_lo
	v_cmpx_ne_u16_e32 0, v2
	s_cbranch_execz .LBB371_2011
; %bb.2004:                             ;   in Loop: Header=BB371_1567 Depth=1
	v_bfrev_b32_e32 v35, 1
	s_mov_b32 s12, exec_lo
	v_cmpx_ne_u16_e32 0x80, v2
	s_cbranch_execz .LBB371_2010
; %bb.2005:                             ;   in Loop: Header=BB371_1567 Depth=1
	v_and_b32_e32 v36, 0xffff, v2
	v_mov_b32_e32 v35, 0x7fc02000
	s_mov_b32 s13, exec_lo
	s_delay_alu instid0(VALU_DEP_2) | instskip(NEXT) | instid1(VALU_DEP_1)
	v_and_b32_e32 v15, 0x7f, v36
	v_cmpx_ne_u32_e32 0x7f, v15
	s_cbranch_execz .LBB371_2009
; %bb.2006:                             ;   in Loop: Header=BB371_1567 Depth=1
	v_and_b32_e32 v2, 7, v36
	v_lshrrev_b32_e32 v35, 3, v15
	v_cmp_gt_u32_e64 s0, 8, v15
	s_delay_alu instid0(VALU_DEP_3) | instskip(NEXT) | instid1(VALU_DEP_2)
	v_dual_mov_b32 v16, v3 :: v_dual_mov_b32 v15, v2
	s_and_saveexec_b32 s15, s0
; %bb.2007:                             ;   in Loop: Header=BB371_1567 Depth=1
	v_clz_i32_u32_e32 v15, v2
	s_delay_alu instid0(VALU_DEP_1) | instskip(NEXT) | instid1(VALU_DEP_1)
	v_min_u32_e32 v35, 32, v15
	v_subrev_nc_u32_e32 v15, 28, v35
	v_sub_nc_u32_e32 v35, 29, v35
	s_delay_alu instid0(VALU_DEP_2) | instskip(NEXT) | instid1(VALU_DEP_1)
	v_lshlrev_b64 v[15:16], v15, v[2:3]
	v_and_b32_e32 v15, 7, v15
; %bb.2008:                             ;   in Loop: Header=BB371_1567 Depth=1
	s_or_b32 exec_lo, exec_lo, s15
	v_lshlrev_b32_e32 v2, 8, v36
	v_lshl_add_u32 v16, v35, 10, 0x2000
	s_delay_alu instid0(VALU_DEP_1) | instskip(NEXT) | instid1(VALU_DEP_1)
	v_and_or_b32 v2, 0x8000, v2, v16
	v_lshl_or_b32 v2, v15, 7, v2
	s_delay_alu instid0(VALU_DEP_1)
	v_cvt_f32_f16_e32 v35, v2
.LBB371_2009:                           ;   in Loop: Header=BB371_1567 Depth=1
	s_or_b32 exec_lo, exec_lo, s13
.LBB371_2010:                           ;   in Loop: Header=BB371_1567 Depth=1
	s_delay_alu instid0(SALU_CYCLE_1)
	s_or_b32 exec_lo, exec_lo, s12
.LBB371_2011:                           ;   in Loop: Header=BB371_1567 Depth=1
	s_delay_alu instid0(SALU_CYCLE_1) | instskip(SKIP_3) | instid1(VALU_DEP_2)
	s_or_b32 exec_lo, exec_lo, s10
	v_lshrrev_b32_e32 v144, 16, v14
	v_mov_b32_e32 v36, 0
	s_mov_b32 s10, exec_lo
	v_dual_mov_b32 v15, 0 :: v_dual_and_b32 v2, 0xff, v144
	s_delay_alu instid0(VALU_DEP_1)
	v_cmpx_ne_u16_e32 0, v2
	s_cbranch_execz .LBB371_2019
; %bb.2012:                             ;   in Loop: Header=BB371_1567 Depth=1
	v_bfrev_b32_e32 v15, 1
	s_mov_b32 s12, exec_lo
	v_cmpx_ne_u16_e32 0x80, v2
	s_cbranch_execz .LBB371_2018
; %bb.2013:                             ;   in Loop: Header=BB371_1567 Depth=1
	v_bfe_u32 v16, v14, 16, 7
	v_mov_b32_e32 v15, 0x7fc02000
	s_mov_b32 s13, exec_lo
	s_delay_alu instid0(VALU_DEP_2)
	v_cmpx_ne_u32_e32 0x7f, v16
	s_cbranch_execz .LBB371_2017
; %bb.2014:                             ;   in Loop: Header=BB371_1567 Depth=1
	v_and_b32_e32 v2, 7, v144
	v_lshrrev_b32_e32 v145, 3, v16
	v_cmp_gt_u32_e64 s0, 8, v16
	s_delay_alu instid0(VALU_DEP_3) | instskip(NEXT) | instid1(VALU_DEP_2)
	v_dual_mov_b32 v16, v3 :: v_dual_mov_b32 v15, v2
	s_and_saveexec_b32 s15, s0
; %bb.2015:                             ;   in Loop: Header=BB371_1567 Depth=1
	v_clz_i32_u32_e32 v15, v2
	s_delay_alu instid0(VALU_DEP_1) | instskip(NEXT) | instid1(VALU_DEP_1)
	v_min_u32_e32 v145, 32, v15
	v_subrev_nc_u32_e32 v15, 28, v145
	v_sub_nc_u32_e32 v145, 29, v145
	s_delay_alu instid0(VALU_DEP_2) | instskip(NEXT) | instid1(VALU_DEP_1)
	v_lshlrev_b64 v[15:16], v15, v[2:3]
	v_and_b32_e32 v15, 7, v15
; %bb.2016:                             ;   in Loop: Header=BB371_1567 Depth=1
	s_or_b32 exec_lo, exec_lo, s15
	v_lshlrev_b32_e32 v2, 8, v144
	v_lshl_add_u32 v16, v145, 10, 0x2000
	s_delay_alu instid0(VALU_DEP_1) | instskip(NEXT) | instid1(VALU_DEP_1)
	v_and_or_b32 v2, 0x8000, v2, v16
	v_lshl_or_b32 v2, v15, 7, v2
	s_delay_alu instid0(VALU_DEP_1)
	v_cvt_f32_f16_e32 v15, v2
.LBB371_2017:                           ;   in Loop: Header=BB371_1567 Depth=1
	s_or_b32 exec_lo, exec_lo, s13
.LBB371_2018:                           ;   in Loop: Header=BB371_1567 Depth=1
	s_delay_alu instid0(SALU_CYCLE_1)
	s_or_b32 exec_lo, exec_lo, s12
.LBB371_2019:                           ;   in Loop: Header=BB371_1567 Depth=1
	s_delay_alu instid0(SALU_CYCLE_1) | instskip(NEXT) | instid1(SALU_CYCLE_1)
	s_or_b32 exec_lo, exec_lo, s10
	s_mov_b32 s10, exec_lo
	v_cmpx_lt_u64_e64 s[8:9], v[13:14]
	s_cbranch_execz .LBB371_2027
; %bb.2020:                             ;   in Loop: Header=BB371_1567 Depth=1
	v_lshrrev_b32_e32 v16, 24, v14
	v_bfrev_b32_e32 v36, 1
	s_mov_b32 s12, exec_lo
	s_delay_alu instid0(VALU_DEP_2)
	v_cmpx_ne_u32_e32 0x80, v16
	s_cbranch_execz .LBB371_2026
; %bb.2021:                             ;   in Loop: Header=BB371_1567 Depth=1
	v_and_b32_e32 v13, 0x7f, v16
	v_mov_b32_e32 v36, 0x7fc02000
	s_mov_b32 s13, exec_lo
	s_delay_alu instid0(VALU_DEP_2)
	v_cmpx_ne_u32_e32 0x7f, v13
	s_cbranch_execz .LBB371_2025
; %bb.2022:                             ;   in Loop: Header=BB371_1567 Depth=1
	v_and_b32_e32 v2, 7, v16
	v_lshrrev_b32_e32 v36, 3, v13
	v_cmp_gt_u32_e64 s0, 8, v13
	s_delay_alu instid0(VALU_DEP_3) | instskip(NEXT) | instid1(VALU_DEP_2)
	v_dual_mov_b32 v14, v3 :: v_dual_mov_b32 v13, v2
	s_and_saveexec_b32 s15, s0
; %bb.2023:                             ;   in Loop: Header=BB371_1567 Depth=1
	v_clz_i32_u32_e32 v13, v2
	s_delay_alu instid0(VALU_DEP_1) | instskip(NEXT) | instid1(VALU_DEP_1)
	v_min_u32_e32 v36, 32, v13
	v_subrev_nc_u32_e32 v13, 28, v36
	v_sub_nc_u32_e32 v36, 29, v36
	s_delay_alu instid0(VALU_DEP_2) | instskip(NEXT) | instid1(VALU_DEP_1)
	v_lshlrev_b64 v[13:14], v13, v[2:3]
	v_and_b32_e32 v13, 7, v13
; %bb.2024:                             ;   in Loop: Header=BB371_1567 Depth=1
	s_or_b32 exec_lo, exec_lo, s15
	v_lshlrev_b32_e32 v2, 8, v16
	v_lshl_add_u32 v14, v36, 10, 0x2000
	s_delay_alu instid0(VALU_DEP_1) | instskip(NEXT) | instid1(VALU_DEP_1)
	v_and_or_b32 v2, 0x8000, v2, v14
	v_lshl_or_b32 v2, v13, 7, v2
	s_delay_alu instid0(VALU_DEP_1)
	v_cvt_f32_f16_e32 v36, v2
.LBB371_2025:                           ;   in Loop: Header=BB371_1567 Depth=1
	s_or_b32 exec_lo, exec_lo, s13
.LBB371_2026:                           ;   in Loop: Header=BB371_1567 Depth=1
	s_delay_alu instid0(SALU_CYCLE_1)
	s_or_b32 exec_lo, exec_lo, s12
.LBB371_2027:                           ;   in Loop: Header=BB371_1567 Depth=1
	s_delay_alu instid0(SALU_CYCLE_1)
	s_or_b32 exec_lo, exec_lo, s10
	s_waitcnt vmcnt(0) lgkmcnt(0)
	v_fma_mixlo_f16 v6, v4, v6, 0
	v_fma_mixlo_f16 v2, v4, v23, 0
	;; [unrolled: 1-line block ×5, first 2 shown]
	v_lshlrev_b32_e32 v14, 16, v6
	v_fma_mixlo_f16 v6, v4, v5, 0
	v_fma_mixlo_f16 v23, v4, v36, 0
	;; [unrolled: 1-line block ×3, first 2 shown]
	v_lshlrev_b32_e32 v2, 16, v2
	v_and_b32_e32 v13, 0xffff, v13
	v_and_b32_e32 v4, 0xffff, v6
	v_lshlrev_b32_e32 v15, 16, v16
	v_and_b32_e32 v16, 0xffff, v22
	v_lshlrev_b32_e32 v22, 16, v23
	v_and_b32_e32 v23, 0xffff, v5
	v_or_b32_e32 v6, v2, v13
	v_or_b32_e32 v13, v14, v4
	;; [unrolled: 1-line block ×3, first 2 shown]
	s_delay_alu instid0(VALU_DEP_4)
	v_or_b32_e32 v4, v22, v23
	s_and_saveexec_b32 s10, vcc_lo
	s_cbranch_execz .LBB371_2029
; %bb.2028:                             ;   in Loop: Header=BB371_1567 Depth=1
	v_cmp_lt_i32_e64 s0, v17, v37
	v_lshrrev_b32_e32 v14, 16, v13
	v_lshrrev_b32_e32 v15, 16, v6
	v_lshrrev_b32_e32 v16, 16, v2
	v_lshrrev_b32_e32 v4, 16, v4
	v_cndmask_b32_e64 v13, 0, v13, s0
	v_cmp_lt_i32_e64 s0, v117, v87
	s_delay_alu instid0(VALU_DEP_1) | instskip(SKIP_1) | instid1(VALU_DEP_2)
	v_cndmask_b32_e64 v14, 0, v14, s0
	v_cmp_lt_i32_e64 s0, v116, v87
	v_perm_b32 v13, v14, v13, 0x5040100
	s_delay_alu instid0(VALU_DEP_2) | instskip(SKIP_1) | instid1(VALU_DEP_1)
	v_cndmask_b32_e64 v15, 0, v15, s0
	v_cmp_lt_i32_e64 s0, v115, v37
	v_cndmask_b32_e64 v6, 0, v6, s0
	v_cmp_lt_i32_e64 s0, v114, v87
	s_delay_alu instid0(VALU_DEP_2) | instskip(NEXT) | instid1(VALU_DEP_2)
	v_perm_b32 v6, v15, v6, 0x5040100
	v_cndmask_b32_e64 v16, 0, v16, s0
	v_cmp_lt_i32_e64 s0, v113, v37
	s_delay_alu instid0(VALU_DEP_1) | instskip(SKIP_1) | instid1(VALU_DEP_2)
	v_cndmask_b32_e64 v2, 0, v2, s0
	v_cmp_lt_i32_e64 s0, v112, v87
	v_perm_b32 v2, v16, v2, 0x5040100
	s_delay_alu instid0(VALU_DEP_2) | instskip(SKIP_1) | instid1(VALU_DEP_1)
	v_cndmask_b32_e64 v4, 0, v4, s0
	v_cmp_lt_i32_e64 s0, v103, v37
	v_cndmask_b32_e64 v5, 0, v5, s0
	s_delay_alu instid0(VALU_DEP_1)
	v_perm_b32 v4, v4, v5, 0x5040100
.LBB371_2029:                           ;   in Loop: Header=BB371_1567 Depth=1
	s_or_b32 exec_lo, exec_lo, s10
	;;#ASMSTART
	v_pk_mul_f16 v5, v102, v13;

	;;#ASMEND
	;;#ASMSTART
	v_pk_mul_f16 v6, v100, v6;

	;;#ASMEND
	;; [unrolled: 4-line block ×4, first 2 shown]
	;;#ASMSTART
	v_pk_add_f16 v5, v5, v6;

	;;#ASMEND
	;;#ASMSTART
	v_pk_add_f16 v2, v5, v2;

	;;#ASMEND
	;; [unrolled: 4-line block ×3, first 2 shown]
	v_dual_mov_b32 v5, 0 :: v_dual_and_b32 v4, 0xffff, v2
	v_lshrrev_b32_e32 v2, 16, v2
	;;#ASMSTART
	v_cvt_f32_f16 v144, v4;
	;;#ASMEND
	;;#ASMSTART
	v_cvt_f32_f16 v145, v2;
	;;#ASMEND
	flat_load_b64 v[13:14], v[11:12] offset:1792
	flat_load_b32 v4, v[26:27]
	v_mov_b32_e32 v6, 0
	s_mov_b32 s10, exec_lo
	s_waitcnt vmcnt(1) lgkmcnt(1)
	v_and_b32_e32 v2, 0xff, v13
	s_delay_alu instid0(VALU_DEP_1)
	v_cmpx_ne_u16_e32 0, v2
	s_cbranch_execz .LBB371_2037
; %bb.2030:                             ;   in Loop: Header=BB371_1567 Depth=1
	v_bfrev_b32_e32 v5, 1
	s_mov_b32 s12, exec_lo
	v_cmpx_ne_u16_e32 0x80, v2
	s_cbranch_execz .LBB371_2036
; %bb.2031:                             ;   in Loop: Header=BB371_1567 Depth=1
	v_and_b32_e32 v15, 0x7f, v13
	v_mov_b32_e32 v5, 0x7fc02000
	s_mov_b32 s13, exec_lo
	s_delay_alu instid0(VALU_DEP_2)
	v_cmpx_ne_u32_e32 0x7f, v15
	s_cbranch_execz .LBB371_2035
; %bb.2032:                             ;   in Loop: Header=BB371_1567 Depth=1
	v_lshrrev_b32_e32 v2, 3, v15
	v_cmp_gt_u32_e64 s0, 8, v15
	v_dual_mov_b32 v16, v14 :: v_dual_mov_b32 v15, v13
	s_delay_alu instid0(VALU_DEP_2)
	s_and_saveexec_b32 s15, s0
; %bb.2033:                             ;   in Loop: Header=BB371_1567 Depth=1
	v_and_b32_e32 v2, 7, v13
	s_delay_alu instid0(VALU_DEP_1) | instskip(NEXT) | instid1(VALU_DEP_1)
	v_clz_i32_u32_e32 v2, v2
	v_min_u32_e32 v2, 32, v2
	s_delay_alu instid0(VALU_DEP_1) | instskip(SKIP_1) | instid1(VALU_DEP_2)
	v_subrev_nc_u32_e32 v5, 28, v2
	v_sub_nc_u32_e32 v2, 29, v2
	v_lshlrev_b64 v[15:16], v5, v[13:14]
; %bb.2034:                             ;   in Loop: Header=BB371_1567 Depth=1
	s_or_b32 exec_lo, exec_lo, s15
	v_lshlrev_b32_e32 v5, 8, v13
	s_delay_alu instid0(VALU_DEP_3) | instskip(NEXT) | instid1(VALU_DEP_3)
	v_lshl_add_u32 v2, v2, 10, 0x2000
	v_lshlrev_b32_e32 v15, 7, v15
	s_delay_alu instid0(VALU_DEP_2) | instskip(NEXT) | instid1(VALU_DEP_1)
	v_and_or_b32 v2, 0x8000, v5, v2
	v_and_or_b32 v2, 0x380, v15, v2
	s_delay_alu instid0(VALU_DEP_1)
	v_cvt_f32_f16_e32 v5, v2
.LBB371_2035:                           ;   in Loop: Header=BB371_1567 Depth=1
	s_or_b32 exec_lo, exec_lo, s13
.LBB371_2036:                           ;   in Loop: Header=BB371_1567 Depth=1
	s_delay_alu instid0(SALU_CYCLE_1)
	s_or_b32 exec_lo, exec_lo, s12
.LBB371_2037:                           ;   in Loop: Header=BB371_1567 Depth=1
	s_delay_alu instid0(SALU_CYCLE_1) | instskip(SKIP_2) | instid1(VALU_DEP_1)
	s_or_b32 exec_lo, exec_lo, s10
	v_lshrrev_b16 v2, 8, v13
	s_mov_b32 s10, exec_lo
	v_cmpx_ne_u16_e32 0, v2
	s_cbranch_execz .LBB371_2045
; %bb.2038:                             ;   in Loop: Header=BB371_1567 Depth=1
	v_bfrev_b32_e32 v6, 1
	s_mov_b32 s12, exec_lo
	v_cmpx_ne_u16_e32 0x80, v2
	s_cbranch_execz .LBB371_2044
; %bb.2039:                             ;   in Loop: Header=BB371_1567 Depth=1
	v_and_b32_e32 v22, 0xffff, v2
	v_mov_b32_e32 v6, 0x7fc02000
	s_mov_b32 s13, exec_lo
	s_delay_alu instid0(VALU_DEP_2) | instskip(NEXT) | instid1(VALU_DEP_1)
	v_and_b32_e32 v15, 0x7f, v22
	v_cmpx_ne_u32_e32 0x7f, v15
	s_cbranch_execz .LBB371_2043
; %bb.2040:                             ;   in Loop: Header=BB371_1567 Depth=1
	v_and_b32_e32 v2, 7, v22
	v_lshrrev_b32_e32 v6, 3, v15
	v_cmp_gt_u32_e64 s0, 8, v15
	s_delay_alu instid0(VALU_DEP_3) | instskip(NEXT) | instid1(VALU_DEP_2)
	v_dual_mov_b32 v16, v3 :: v_dual_mov_b32 v15, v2
	s_and_saveexec_b32 s15, s0
; %bb.2041:                             ;   in Loop: Header=BB371_1567 Depth=1
	v_clz_i32_u32_e32 v6, v2
	s_delay_alu instid0(VALU_DEP_1) | instskip(NEXT) | instid1(VALU_DEP_1)
	v_min_u32_e32 v6, 32, v6
	v_subrev_nc_u32_e32 v15, 28, v6
	v_sub_nc_u32_e32 v6, 29, v6
	s_delay_alu instid0(VALU_DEP_2) | instskip(NEXT) | instid1(VALU_DEP_1)
	v_lshlrev_b64 v[15:16], v15, v[2:3]
	v_and_b32_e32 v15, 7, v15
; %bb.2042:                             ;   in Loop: Header=BB371_1567 Depth=1
	s_or_b32 exec_lo, exec_lo, s15
	v_lshlrev_b32_e32 v2, 8, v22
	v_lshl_add_u32 v6, v6, 10, 0x2000
	s_delay_alu instid0(VALU_DEP_1) | instskip(NEXT) | instid1(VALU_DEP_1)
	v_and_or_b32 v2, 0x8000, v2, v6
	v_lshl_or_b32 v2, v15, 7, v2
	s_delay_alu instid0(VALU_DEP_1)
	v_cvt_f32_f16_e32 v6, v2
.LBB371_2043:                           ;   in Loop: Header=BB371_1567 Depth=1
	s_or_b32 exec_lo, exec_lo, s13
.LBB371_2044:                           ;   in Loop: Header=BB371_1567 Depth=1
	s_delay_alu instid0(SALU_CYCLE_1)
	s_or_b32 exec_lo, exec_lo, s12
.LBB371_2045:                           ;   in Loop: Header=BB371_1567 Depth=1
	s_delay_alu instid0(SALU_CYCLE_1) | instskip(SKIP_3) | instid1(VALU_DEP_2)
	s_or_b32 exec_lo, exec_lo, s10
	v_lshrrev_b32_e32 v34, 16, v13
	v_mov_b32_e32 v22, 0
	s_mov_b32 s10, exec_lo
	v_dual_mov_b32 v23, 0 :: v_dual_and_b32 v2, 0xff, v34
	s_delay_alu instid0(VALU_DEP_1)
	v_cmpx_ne_u16_e32 0, v2
	s_cbranch_execz .LBB371_2053
; %bb.2046:                             ;   in Loop: Header=BB371_1567 Depth=1
	v_bfrev_b32_e32 v22, 1
	s_mov_b32 s12, exec_lo
	v_cmpx_ne_u16_e32 0x80, v2
	s_cbranch_execz .LBB371_2052
; %bb.2047:                             ;   in Loop: Header=BB371_1567 Depth=1
	v_bfe_u32 v15, v13, 16, 7
	v_mov_b32_e32 v22, 0x7fc02000
	s_mov_b32 s13, exec_lo
	s_delay_alu instid0(VALU_DEP_2)
	v_cmpx_ne_u32_e32 0x7f, v15
	s_cbranch_execz .LBB371_2051
; %bb.2048:                             ;   in Loop: Header=BB371_1567 Depth=1
	v_and_b32_e32 v2, 7, v34
	v_lshrrev_b32_e32 v22, 3, v15
	v_cmp_gt_u32_e64 s0, 8, v15
	s_delay_alu instid0(VALU_DEP_3) | instskip(NEXT) | instid1(VALU_DEP_2)
	v_dual_mov_b32 v16, v3 :: v_dual_mov_b32 v15, v2
	s_and_saveexec_b32 s15, s0
; %bb.2049:                             ;   in Loop: Header=BB371_1567 Depth=1
	v_clz_i32_u32_e32 v15, v2
	s_delay_alu instid0(VALU_DEP_1) | instskip(NEXT) | instid1(VALU_DEP_1)
	v_min_u32_e32 v22, 32, v15
	v_subrev_nc_u32_e32 v15, 28, v22
	v_sub_nc_u32_e32 v22, 29, v22
	s_delay_alu instid0(VALU_DEP_2) | instskip(NEXT) | instid1(VALU_DEP_1)
	v_lshlrev_b64 v[15:16], v15, v[2:3]
	v_and_b32_e32 v15, 7, v15
; %bb.2050:                             ;   in Loop: Header=BB371_1567 Depth=1
	s_or_b32 exec_lo, exec_lo, s15
	v_lshlrev_b32_e32 v2, 8, v34
	v_lshl_add_u32 v16, v22, 10, 0x2000
	s_delay_alu instid0(VALU_DEP_1) | instskip(NEXT) | instid1(VALU_DEP_1)
	v_and_or_b32 v2, 0x8000, v2, v16
	v_lshl_or_b32 v2, v15, 7, v2
	s_delay_alu instid0(VALU_DEP_1)
	v_cvt_f32_f16_e32 v22, v2
.LBB371_2051:                           ;   in Loop: Header=BB371_1567 Depth=1
	s_or_b32 exec_lo, exec_lo, s13
.LBB371_2052:                           ;   in Loop: Header=BB371_1567 Depth=1
	s_delay_alu instid0(SALU_CYCLE_1)
	s_or_b32 exec_lo, exec_lo, s12
.LBB371_2053:                           ;   in Loop: Header=BB371_1567 Depth=1
	s_delay_alu instid0(SALU_CYCLE_1) | instskip(NEXT) | instid1(SALU_CYCLE_1)
	s_or_b32 exec_lo, exec_lo, s10
	s_mov_b32 s10, exec_lo
	v_cmpx_lt_u32_e32 0xffffff, v13
	s_cbranch_execz .LBB371_2061
; %bb.2054:                             ;   in Loop: Header=BB371_1567 Depth=1
	v_lshrrev_b32_e32 v34, 24, v13
	v_bfrev_b32_e32 v23, 1
	s_mov_b32 s12, exec_lo
	s_delay_alu instid0(VALU_DEP_2)
	v_cmpx_ne_u32_e32 0x80, v34
	s_cbranch_execz .LBB371_2060
; %bb.2055:                             ;   in Loop: Header=BB371_1567 Depth=1
	v_and_b32_e32 v15, 0x7f, v34
	v_mov_b32_e32 v23, 0x7fc02000
	s_mov_b32 s13, exec_lo
	s_delay_alu instid0(VALU_DEP_2)
	v_cmpx_ne_u32_e32 0x7f, v15
	s_cbranch_execz .LBB371_2059
; %bb.2056:                             ;   in Loop: Header=BB371_1567 Depth=1
	v_and_b32_e32 v2, 7, v34
	v_lshrrev_b32_e32 v23, 3, v15
	v_cmp_gt_u32_e64 s0, 8, v15
	s_delay_alu instid0(VALU_DEP_3) | instskip(NEXT) | instid1(VALU_DEP_2)
	v_dual_mov_b32 v16, v3 :: v_dual_mov_b32 v15, v2
	s_and_saveexec_b32 s15, s0
; %bb.2057:                             ;   in Loop: Header=BB371_1567 Depth=1
	v_clz_i32_u32_e32 v15, v2
	s_delay_alu instid0(VALU_DEP_1) | instskip(NEXT) | instid1(VALU_DEP_1)
	v_min_u32_e32 v23, 32, v15
	v_subrev_nc_u32_e32 v15, 28, v23
	v_sub_nc_u32_e32 v23, 29, v23
	s_delay_alu instid0(VALU_DEP_2) | instskip(NEXT) | instid1(VALU_DEP_1)
	v_lshlrev_b64 v[15:16], v15, v[2:3]
	v_and_b32_e32 v15, 7, v15
; %bb.2058:                             ;   in Loop: Header=BB371_1567 Depth=1
	s_or_b32 exec_lo, exec_lo, s15
	v_lshlrev_b32_e32 v2, 8, v34
	v_lshl_add_u32 v16, v23, 10, 0x2000
	s_delay_alu instid0(VALU_DEP_1) | instskip(NEXT) | instid1(VALU_DEP_1)
	v_and_or_b32 v2, 0x8000, v2, v16
	v_lshl_or_b32 v2, v15, 7, v2
	s_delay_alu instid0(VALU_DEP_1)
	v_cvt_f32_f16_e32 v23, v2
.LBB371_2059:                           ;   in Loop: Header=BB371_1567 Depth=1
	s_or_b32 exec_lo, exec_lo, s13
.LBB371_2060:                           ;   in Loop: Header=BB371_1567 Depth=1
	s_delay_alu instid0(SALU_CYCLE_1)
	s_or_b32 exec_lo, exec_lo, s12
.LBB371_2061:                           ;   in Loop: Header=BB371_1567 Depth=1
	s_delay_alu instid0(SALU_CYCLE_1) | instskip(SKIP_3) | instid1(VALU_DEP_2)
	s_or_b32 exec_lo, exec_lo, s10
	v_dual_mov_b32 v2, v14 :: v_dual_and_b32 v15, 0xff, v14
	v_dual_mov_b32 v35, 0 :: v_dual_mov_b32 v34, 0
	s_mov_b32 s10, exec_lo
	v_cmpx_ne_u16_e32 0, v15
	s_cbranch_execz .LBB371_2069
; %bb.2062:                             ;   in Loop: Header=BB371_1567 Depth=1
	v_bfrev_b32_e32 v34, 1
	s_mov_b32 s12, exec_lo
	v_cmpx_ne_u16_e32 0x80, v15
	s_cbranch_execz .LBB371_2068
; %bb.2063:                             ;   in Loop: Header=BB371_1567 Depth=1
	v_and_b32_e32 v15, 0x7f, v14
	v_mov_b32_e32 v34, 0x7fc02000
	s_mov_b32 s13, exec_lo
	s_delay_alu instid0(VALU_DEP_2)
	v_cmpx_ne_u32_e32 0x7f, v15
	s_cbranch_execz .LBB371_2067
; %bb.2064:                             ;   in Loop: Header=BB371_1567 Depth=1
	v_lshrrev_b32_e32 v34, 3, v15
	v_cmp_gt_u32_e64 s0, 8, v15
	v_dual_mov_b32 v16, v3 :: v_dual_mov_b32 v15, v2
	s_delay_alu instid0(VALU_DEP_2)
	s_and_saveexec_b32 s15, s0
; %bb.2065:                             ;   in Loop: Header=BB371_1567 Depth=1
	v_and_b32_e32 v15, 7, v14
	s_delay_alu instid0(VALU_DEP_1) | instskip(NEXT) | instid1(VALU_DEP_1)
	v_clz_i32_u32_e32 v15, v15
	v_min_u32_e32 v34, 32, v15
	s_delay_alu instid0(VALU_DEP_1) | instskip(SKIP_1) | instid1(VALU_DEP_2)
	v_subrev_nc_u32_e32 v15, 28, v34
	v_sub_nc_u32_e32 v34, 29, v34
	v_lshlrev_b64 v[15:16], v15, v[2:3]
; %bb.2066:                             ;   in Loop: Header=BB371_1567 Depth=1
	s_or_b32 exec_lo, exec_lo, s15
	v_lshlrev_b32_e32 v16, 8, v14
	s_delay_alu instid0(VALU_DEP_3) | instskip(NEXT) | instid1(VALU_DEP_3)
	v_lshl_add_u32 v34, v34, 10, 0x2000
	v_lshlrev_b32_e32 v15, 7, v15
	s_delay_alu instid0(VALU_DEP_2) | instskip(NEXT) | instid1(VALU_DEP_1)
	v_and_or_b32 v16, 0x8000, v16, v34
	v_and_or_b32 v15, 0x380, v15, v16
	s_delay_alu instid0(VALU_DEP_1)
	v_cvt_f32_f16_e32 v34, v15
.LBB371_2067:                           ;   in Loop: Header=BB371_1567 Depth=1
	s_or_b32 exec_lo, exec_lo, s13
.LBB371_2068:                           ;   in Loop: Header=BB371_1567 Depth=1
	s_delay_alu instid0(SALU_CYCLE_1)
	s_or_b32 exec_lo, exec_lo, s12
.LBB371_2069:                           ;   in Loop: Header=BB371_1567 Depth=1
	s_delay_alu instid0(SALU_CYCLE_1) | instskip(SKIP_2) | instid1(VALU_DEP_1)
	s_or_b32 exec_lo, exec_lo, s10
	v_lshrrev_b16 v2, 8, v2
	s_mov_b32 s10, exec_lo
	v_cmpx_ne_u16_e32 0, v2
	s_cbranch_execz .LBB371_2077
; %bb.2070:                             ;   in Loop: Header=BB371_1567 Depth=1
	v_bfrev_b32_e32 v35, 1
	s_mov_b32 s12, exec_lo
	v_cmpx_ne_u16_e32 0x80, v2
	s_cbranch_execz .LBB371_2076
; %bb.2071:                             ;   in Loop: Header=BB371_1567 Depth=1
	v_and_b32_e32 v36, 0xffff, v2
	v_mov_b32_e32 v35, 0x7fc02000
	s_mov_b32 s13, exec_lo
	s_delay_alu instid0(VALU_DEP_2) | instskip(NEXT) | instid1(VALU_DEP_1)
	v_and_b32_e32 v15, 0x7f, v36
	v_cmpx_ne_u32_e32 0x7f, v15
	s_cbranch_execz .LBB371_2075
; %bb.2072:                             ;   in Loop: Header=BB371_1567 Depth=1
	v_and_b32_e32 v2, 7, v36
	v_lshrrev_b32_e32 v35, 3, v15
	v_cmp_gt_u32_e64 s0, 8, v15
	s_delay_alu instid0(VALU_DEP_3) | instskip(NEXT) | instid1(VALU_DEP_2)
	v_dual_mov_b32 v16, v3 :: v_dual_mov_b32 v15, v2
	s_and_saveexec_b32 s15, s0
; %bb.2073:                             ;   in Loop: Header=BB371_1567 Depth=1
	v_clz_i32_u32_e32 v15, v2
	s_delay_alu instid0(VALU_DEP_1) | instskip(NEXT) | instid1(VALU_DEP_1)
	v_min_u32_e32 v35, 32, v15
	v_subrev_nc_u32_e32 v15, 28, v35
	v_sub_nc_u32_e32 v35, 29, v35
	s_delay_alu instid0(VALU_DEP_2) | instskip(NEXT) | instid1(VALU_DEP_1)
	v_lshlrev_b64 v[15:16], v15, v[2:3]
	v_and_b32_e32 v15, 7, v15
; %bb.2074:                             ;   in Loop: Header=BB371_1567 Depth=1
	s_or_b32 exec_lo, exec_lo, s15
	v_lshlrev_b32_e32 v2, 8, v36
	v_lshl_add_u32 v16, v35, 10, 0x2000
	s_delay_alu instid0(VALU_DEP_1) | instskip(NEXT) | instid1(VALU_DEP_1)
	v_and_or_b32 v2, 0x8000, v2, v16
	v_lshl_or_b32 v2, v15, 7, v2
	s_delay_alu instid0(VALU_DEP_1)
	v_cvt_f32_f16_e32 v35, v2
.LBB371_2075:                           ;   in Loop: Header=BB371_1567 Depth=1
	s_or_b32 exec_lo, exec_lo, s13
.LBB371_2076:                           ;   in Loop: Header=BB371_1567 Depth=1
	s_delay_alu instid0(SALU_CYCLE_1)
	s_or_b32 exec_lo, exec_lo, s12
.LBB371_2077:                           ;   in Loop: Header=BB371_1567 Depth=1
	s_delay_alu instid0(SALU_CYCLE_1) | instskip(SKIP_3) | instid1(VALU_DEP_2)
	s_or_b32 exec_lo, exec_lo, s10
	v_lshrrev_b32_e32 v146, 16, v14
	v_mov_b32_e32 v36, 0
	s_mov_b32 s10, exec_lo
	v_dual_mov_b32 v15, 0 :: v_dual_and_b32 v2, 0xff, v146
	s_delay_alu instid0(VALU_DEP_1)
	v_cmpx_ne_u16_e32 0, v2
	s_cbranch_execz .LBB371_2085
; %bb.2078:                             ;   in Loop: Header=BB371_1567 Depth=1
	v_bfrev_b32_e32 v15, 1
	s_mov_b32 s12, exec_lo
	v_cmpx_ne_u16_e32 0x80, v2
	s_cbranch_execz .LBB371_2084
; %bb.2079:                             ;   in Loop: Header=BB371_1567 Depth=1
	v_bfe_u32 v16, v14, 16, 7
	v_mov_b32_e32 v15, 0x7fc02000
	s_mov_b32 s13, exec_lo
	s_delay_alu instid0(VALU_DEP_2)
	v_cmpx_ne_u32_e32 0x7f, v16
	s_cbranch_execz .LBB371_2083
; %bb.2080:                             ;   in Loop: Header=BB371_1567 Depth=1
	v_and_b32_e32 v2, 7, v146
	v_lshrrev_b32_e32 v147, 3, v16
	v_cmp_gt_u32_e64 s0, 8, v16
	s_delay_alu instid0(VALU_DEP_3) | instskip(NEXT) | instid1(VALU_DEP_2)
	v_dual_mov_b32 v16, v3 :: v_dual_mov_b32 v15, v2
	s_and_saveexec_b32 s15, s0
; %bb.2081:                             ;   in Loop: Header=BB371_1567 Depth=1
	v_clz_i32_u32_e32 v15, v2
	s_delay_alu instid0(VALU_DEP_1) | instskip(NEXT) | instid1(VALU_DEP_1)
	v_min_u32_e32 v147, 32, v15
	v_subrev_nc_u32_e32 v15, 28, v147
	v_sub_nc_u32_e32 v147, 29, v147
	s_delay_alu instid0(VALU_DEP_2) | instskip(NEXT) | instid1(VALU_DEP_1)
	v_lshlrev_b64 v[15:16], v15, v[2:3]
	v_and_b32_e32 v15, 7, v15
; %bb.2082:                             ;   in Loop: Header=BB371_1567 Depth=1
	s_or_b32 exec_lo, exec_lo, s15
	v_lshlrev_b32_e32 v2, 8, v146
	v_lshl_add_u32 v16, v147, 10, 0x2000
	s_delay_alu instid0(VALU_DEP_1) | instskip(NEXT) | instid1(VALU_DEP_1)
	v_and_or_b32 v2, 0x8000, v2, v16
	v_lshl_or_b32 v2, v15, 7, v2
	s_delay_alu instid0(VALU_DEP_1)
	v_cvt_f32_f16_e32 v15, v2
.LBB371_2083:                           ;   in Loop: Header=BB371_1567 Depth=1
	s_or_b32 exec_lo, exec_lo, s13
.LBB371_2084:                           ;   in Loop: Header=BB371_1567 Depth=1
	s_delay_alu instid0(SALU_CYCLE_1)
	s_or_b32 exec_lo, exec_lo, s12
.LBB371_2085:                           ;   in Loop: Header=BB371_1567 Depth=1
	s_delay_alu instid0(SALU_CYCLE_1) | instskip(NEXT) | instid1(SALU_CYCLE_1)
	s_or_b32 exec_lo, exec_lo, s10
	s_mov_b32 s10, exec_lo
	v_cmpx_lt_u64_e64 s[8:9], v[13:14]
	s_cbranch_execz .LBB371_2093
; %bb.2086:                             ;   in Loop: Header=BB371_1567 Depth=1
	v_lshrrev_b32_e32 v16, 24, v14
	v_bfrev_b32_e32 v36, 1
	s_mov_b32 s12, exec_lo
	s_delay_alu instid0(VALU_DEP_2)
	v_cmpx_ne_u32_e32 0x80, v16
	s_cbranch_execz .LBB371_2092
; %bb.2087:                             ;   in Loop: Header=BB371_1567 Depth=1
	v_and_b32_e32 v13, 0x7f, v16
	v_mov_b32_e32 v36, 0x7fc02000
	s_mov_b32 s13, exec_lo
	s_delay_alu instid0(VALU_DEP_2)
	v_cmpx_ne_u32_e32 0x7f, v13
	s_cbranch_execz .LBB371_2091
; %bb.2088:                             ;   in Loop: Header=BB371_1567 Depth=1
	v_and_b32_e32 v2, 7, v16
	v_lshrrev_b32_e32 v36, 3, v13
	v_cmp_gt_u32_e64 s0, 8, v13
	s_delay_alu instid0(VALU_DEP_3) | instskip(NEXT) | instid1(VALU_DEP_2)
	v_dual_mov_b32 v14, v3 :: v_dual_mov_b32 v13, v2
	s_and_saveexec_b32 s15, s0
; %bb.2089:                             ;   in Loop: Header=BB371_1567 Depth=1
	v_clz_i32_u32_e32 v13, v2
	s_delay_alu instid0(VALU_DEP_1) | instskip(NEXT) | instid1(VALU_DEP_1)
	v_min_u32_e32 v36, 32, v13
	v_subrev_nc_u32_e32 v13, 28, v36
	v_sub_nc_u32_e32 v36, 29, v36
	s_delay_alu instid0(VALU_DEP_2) | instskip(NEXT) | instid1(VALU_DEP_1)
	v_lshlrev_b64 v[13:14], v13, v[2:3]
	v_and_b32_e32 v13, 7, v13
; %bb.2090:                             ;   in Loop: Header=BB371_1567 Depth=1
	s_or_b32 exec_lo, exec_lo, s15
	v_lshlrev_b32_e32 v2, 8, v16
	v_lshl_add_u32 v14, v36, 10, 0x2000
	s_delay_alu instid0(VALU_DEP_1) | instskip(NEXT) | instid1(VALU_DEP_1)
	v_and_or_b32 v2, 0x8000, v2, v14
	v_lshl_or_b32 v2, v13, 7, v2
	s_delay_alu instid0(VALU_DEP_1)
	v_cvt_f32_f16_e32 v36, v2
.LBB371_2091:                           ;   in Loop: Header=BB371_1567 Depth=1
	s_or_b32 exec_lo, exec_lo, s13
.LBB371_2092:                           ;   in Loop: Header=BB371_1567 Depth=1
	s_delay_alu instid0(SALU_CYCLE_1)
	s_or_b32 exec_lo, exec_lo, s12
.LBB371_2093:                           ;   in Loop: Header=BB371_1567 Depth=1
	s_delay_alu instid0(SALU_CYCLE_1)
	s_or_b32 exec_lo, exec_lo, s10
	s_waitcnt vmcnt(0) lgkmcnt(0)
	v_fma_mixlo_f16 v6, v4, v6, 0
	v_fma_mixlo_f16 v2, v4, v23, 0
	;; [unrolled: 1-line block ×5, first 2 shown]
	v_lshlrev_b32_e32 v14, 16, v6
	v_fma_mixlo_f16 v6, v4, v5, 0
	v_fma_mixlo_f16 v23, v4, v36, 0
	;; [unrolled: 1-line block ×3, first 2 shown]
	v_lshlrev_b32_e32 v2, 16, v2
	v_and_b32_e32 v13, 0xffff, v13
	v_and_b32_e32 v4, 0xffff, v6
	v_lshlrev_b32_e32 v15, 16, v16
	v_and_b32_e32 v16, 0xffff, v22
	v_lshlrev_b32_e32 v22, 16, v23
	v_and_b32_e32 v23, 0xffff, v5
	v_or_b32_e32 v6, v2, v13
	v_or_b32_e32 v13, v14, v4
	;; [unrolled: 1-line block ×3, first 2 shown]
	s_delay_alu instid0(VALU_DEP_4)
	v_or_b32_e32 v4, v22, v23
	s_and_saveexec_b32 s10, vcc_lo
	s_cbranch_execz .LBB371_2095
; %bb.2094:                             ;   in Loop: Header=BB371_1567 Depth=1
	v_cmp_lt_i32_e64 s0, v17, v37
	v_lshrrev_b32_e32 v14, 16, v13
	v_lshrrev_b32_e32 v15, 16, v6
	v_lshrrev_b32_e32 v16, 16, v2
	v_lshrrev_b32_e32 v4, 16, v4
	v_cndmask_b32_e64 v13, 0, v13, s0
	v_cmp_lt_i32_e64 s0, v117, v87
	s_delay_alu instid0(VALU_DEP_1) | instskip(SKIP_1) | instid1(VALU_DEP_2)
	v_cndmask_b32_e64 v14, 0, v14, s0
	v_cmp_lt_i32_e64 s0, v116, v87
	v_perm_b32 v13, v14, v13, 0x5040100
	s_delay_alu instid0(VALU_DEP_2) | instskip(SKIP_1) | instid1(VALU_DEP_1)
	v_cndmask_b32_e64 v15, 0, v15, s0
	v_cmp_lt_i32_e64 s0, v115, v37
	v_cndmask_b32_e64 v6, 0, v6, s0
	v_cmp_lt_i32_e64 s0, v114, v87
	s_delay_alu instid0(VALU_DEP_2) | instskip(NEXT) | instid1(VALU_DEP_2)
	v_perm_b32 v6, v15, v6, 0x5040100
	v_cndmask_b32_e64 v16, 0, v16, s0
	v_cmp_lt_i32_e64 s0, v113, v37
	s_delay_alu instid0(VALU_DEP_1) | instskip(SKIP_1) | instid1(VALU_DEP_2)
	v_cndmask_b32_e64 v2, 0, v2, s0
	v_cmp_lt_i32_e64 s0, v112, v87
	v_perm_b32 v2, v16, v2, 0x5040100
	s_delay_alu instid0(VALU_DEP_2) | instskip(SKIP_1) | instid1(VALU_DEP_1)
	v_cndmask_b32_e64 v4, 0, v4, s0
	v_cmp_lt_i32_e64 s0, v103, v37
	v_cndmask_b32_e64 v5, 0, v5, s0
	s_delay_alu instid0(VALU_DEP_1)
	v_perm_b32 v4, v4, v5, 0x5040100
.LBB371_2095:                           ;   in Loop: Header=BB371_1567 Depth=1
	s_or_b32 exec_lo, exec_lo, s10
	;;#ASMSTART
	v_pk_mul_f16 v5, v102, v13;

	;;#ASMEND
	;;#ASMSTART
	v_pk_mul_f16 v6, v100, v6;

	;;#ASMEND
	;; [unrolled: 4-line block ×4, first 2 shown]
	;;#ASMSTART
	v_pk_add_f16 v5, v5, v6;

	;;#ASMEND
	;;#ASMSTART
	v_pk_add_f16 v2, v5, v2;

	;;#ASMEND
	;; [unrolled: 4-line block ×3, first 2 shown]
	v_dual_mov_b32 v5, 0 :: v_dual_and_b32 v4, 0xffff, v2
	v_lshrrev_b32_e32 v2, 16, v2
	;;#ASMSTART
	v_cvt_f32_f16 v146, v4;
	;;#ASMEND
	;;#ASMSTART
	v_cvt_f32_f16 v147, v2;
	;;#ASMEND
	flat_load_b64 v[13:14], v[11:12] offset:2048
	flat_load_b32 v4, v[26:27]
	v_mov_b32_e32 v6, 0
	s_mov_b32 s10, exec_lo
	s_waitcnt vmcnt(1) lgkmcnt(1)
	v_and_b32_e32 v2, 0xff, v13
	s_delay_alu instid0(VALU_DEP_1)
	v_cmpx_ne_u16_e32 0, v2
	s_cbranch_execz .LBB371_2103
; %bb.2096:                             ;   in Loop: Header=BB371_1567 Depth=1
	v_bfrev_b32_e32 v5, 1
	s_mov_b32 s12, exec_lo
	v_cmpx_ne_u16_e32 0x80, v2
	s_cbranch_execz .LBB371_2102
; %bb.2097:                             ;   in Loop: Header=BB371_1567 Depth=1
	v_and_b32_e32 v15, 0x7f, v13
	v_mov_b32_e32 v5, 0x7fc02000
	s_mov_b32 s13, exec_lo
	s_delay_alu instid0(VALU_DEP_2)
	v_cmpx_ne_u32_e32 0x7f, v15
	s_cbranch_execz .LBB371_2101
; %bb.2098:                             ;   in Loop: Header=BB371_1567 Depth=1
	v_lshrrev_b32_e32 v2, 3, v15
	v_cmp_gt_u32_e64 s0, 8, v15
	v_dual_mov_b32 v16, v14 :: v_dual_mov_b32 v15, v13
	s_delay_alu instid0(VALU_DEP_2)
	s_and_saveexec_b32 s15, s0
; %bb.2099:                             ;   in Loop: Header=BB371_1567 Depth=1
	v_and_b32_e32 v2, 7, v13
	s_delay_alu instid0(VALU_DEP_1) | instskip(NEXT) | instid1(VALU_DEP_1)
	v_clz_i32_u32_e32 v2, v2
	v_min_u32_e32 v2, 32, v2
	s_delay_alu instid0(VALU_DEP_1) | instskip(SKIP_1) | instid1(VALU_DEP_2)
	v_subrev_nc_u32_e32 v5, 28, v2
	v_sub_nc_u32_e32 v2, 29, v2
	v_lshlrev_b64 v[15:16], v5, v[13:14]
; %bb.2100:                             ;   in Loop: Header=BB371_1567 Depth=1
	s_or_b32 exec_lo, exec_lo, s15
	v_lshlrev_b32_e32 v5, 8, v13
	s_delay_alu instid0(VALU_DEP_3) | instskip(NEXT) | instid1(VALU_DEP_3)
	v_lshl_add_u32 v2, v2, 10, 0x2000
	v_lshlrev_b32_e32 v15, 7, v15
	s_delay_alu instid0(VALU_DEP_2) | instskip(NEXT) | instid1(VALU_DEP_1)
	v_and_or_b32 v2, 0x8000, v5, v2
	v_and_or_b32 v2, 0x380, v15, v2
	s_delay_alu instid0(VALU_DEP_1)
	v_cvt_f32_f16_e32 v5, v2
.LBB371_2101:                           ;   in Loop: Header=BB371_1567 Depth=1
	s_or_b32 exec_lo, exec_lo, s13
.LBB371_2102:                           ;   in Loop: Header=BB371_1567 Depth=1
	s_delay_alu instid0(SALU_CYCLE_1)
	s_or_b32 exec_lo, exec_lo, s12
.LBB371_2103:                           ;   in Loop: Header=BB371_1567 Depth=1
	s_delay_alu instid0(SALU_CYCLE_1) | instskip(SKIP_2) | instid1(VALU_DEP_1)
	s_or_b32 exec_lo, exec_lo, s10
	v_lshrrev_b16 v2, 8, v13
	s_mov_b32 s10, exec_lo
	v_cmpx_ne_u16_e32 0, v2
	s_cbranch_execz .LBB371_2111
; %bb.2104:                             ;   in Loop: Header=BB371_1567 Depth=1
	v_bfrev_b32_e32 v6, 1
	s_mov_b32 s12, exec_lo
	v_cmpx_ne_u16_e32 0x80, v2
	s_cbranch_execz .LBB371_2110
; %bb.2105:                             ;   in Loop: Header=BB371_1567 Depth=1
	v_and_b32_e32 v22, 0xffff, v2
	v_mov_b32_e32 v6, 0x7fc02000
	s_mov_b32 s13, exec_lo
	s_delay_alu instid0(VALU_DEP_2) | instskip(NEXT) | instid1(VALU_DEP_1)
	v_and_b32_e32 v15, 0x7f, v22
	v_cmpx_ne_u32_e32 0x7f, v15
	s_cbranch_execz .LBB371_2109
; %bb.2106:                             ;   in Loop: Header=BB371_1567 Depth=1
	v_and_b32_e32 v2, 7, v22
	v_lshrrev_b32_e32 v6, 3, v15
	v_cmp_gt_u32_e64 s0, 8, v15
	s_delay_alu instid0(VALU_DEP_3) | instskip(NEXT) | instid1(VALU_DEP_2)
	v_dual_mov_b32 v16, v3 :: v_dual_mov_b32 v15, v2
	s_and_saveexec_b32 s15, s0
; %bb.2107:                             ;   in Loop: Header=BB371_1567 Depth=1
	v_clz_i32_u32_e32 v6, v2
	s_delay_alu instid0(VALU_DEP_1) | instskip(NEXT) | instid1(VALU_DEP_1)
	v_min_u32_e32 v6, 32, v6
	v_subrev_nc_u32_e32 v15, 28, v6
	v_sub_nc_u32_e32 v6, 29, v6
	s_delay_alu instid0(VALU_DEP_2) | instskip(NEXT) | instid1(VALU_DEP_1)
	v_lshlrev_b64 v[15:16], v15, v[2:3]
	v_and_b32_e32 v15, 7, v15
; %bb.2108:                             ;   in Loop: Header=BB371_1567 Depth=1
	s_or_b32 exec_lo, exec_lo, s15
	v_lshlrev_b32_e32 v2, 8, v22
	v_lshl_add_u32 v6, v6, 10, 0x2000
	s_delay_alu instid0(VALU_DEP_1) | instskip(NEXT) | instid1(VALU_DEP_1)
	v_and_or_b32 v2, 0x8000, v2, v6
	v_lshl_or_b32 v2, v15, 7, v2
	s_delay_alu instid0(VALU_DEP_1)
	v_cvt_f32_f16_e32 v6, v2
.LBB371_2109:                           ;   in Loop: Header=BB371_1567 Depth=1
	s_or_b32 exec_lo, exec_lo, s13
.LBB371_2110:                           ;   in Loop: Header=BB371_1567 Depth=1
	s_delay_alu instid0(SALU_CYCLE_1)
	s_or_b32 exec_lo, exec_lo, s12
.LBB371_2111:                           ;   in Loop: Header=BB371_1567 Depth=1
	s_delay_alu instid0(SALU_CYCLE_1) | instskip(SKIP_3) | instid1(VALU_DEP_2)
	s_or_b32 exec_lo, exec_lo, s10
	v_lshrrev_b32_e32 v34, 16, v13
	v_mov_b32_e32 v22, 0
	s_mov_b32 s10, exec_lo
	v_dual_mov_b32 v23, 0 :: v_dual_and_b32 v2, 0xff, v34
	s_delay_alu instid0(VALU_DEP_1)
	v_cmpx_ne_u16_e32 0, v2
	s_cbranch_execz .LBB371_2119
; %bb.2112:                             ;   in Loop: Header=BB371_1567 Depth=1
	v_bfrev_b32_e32 v22, 1
	s_mov_b32 s12, exec_lo
	v_cmpx_ne_u16_e32 0x80, v2
	s_cbranch_execz .LBB371_2118
; %bb.2113:                             ;   in Loop: Header=BB371_1567 Depth=1
	v_bfe_u32 v15, v13, 16, 7
	v_mov_b32_e32 v22, 0x7fc02000
	s_mov_b32 s13, exec_lo
	s_delay_alu instid0(VALU_DEP_2)
	v_cmpx_ne_u32_e32 0x7f, v15
	s_cbranch_execz .LBB371_2117
; %bb.2114:                             ;   in Loop: Header=BB371_1567 Depth=1
	v_and_b32_e32 v2, 7, v34
	v_lshrrev_b32_e32 v22, 3, v15
	v_cmp_gt_u32_e64 s0, 8, v15
	s_delay_alu instid0(VALU_DEP_3) | instskip(NEXT) | instid1(VALU_DEP_2)
	v_dual_mov_b32 v16, v3 :: v_dual_mov_b32 v15, v2
	s_and_saveexec_b32 s15, s0
; %bb.2115:                             ;   in Loop: Header=BB371_1567 Depth=1
	v_clz_i32_u32_e32 v15, v2
	s_delay_alu instid0(VALU_DEP_1) | instskip(NEXT) | instid1(VALU_DEP_1)
	v_min_u32_e32 v22, 32, v15
	v_subrev_nc_u32_e32 v15, 28, v22
	v_sub_nc_u32_e32 v22, 29, v22
	s_delay_alu instid0(VALU_DEP_2) | instskip(NEXT) | instid1(VALU_DEP_1)
	v_lshlrev_b64 v[15:16], v15, v[2:3]
	v_and_b32_e32 v15, 7, v15
; %bb.2116:                             ;   in Loop: Header=BB371_1567 Depth=1
	s_or_b32 exec_lo, exec_lo, s15
	v_lshlrev_b32_e32 v2, 8, v34
	v_lshl_add_u32 v16, v22, 10, 0x2000
	s_delay_alu instid0(VALU_DEP_1) | instskip(NEXT) | instid1(VALU_DEP_1)
	v_and_or_b32 v2, 0x8000, v2, v16
	v_lshl_or_b32 v2, v15, 7, v2
	s_delay_alu instid0(VALU_DEP_1)
	v_cvt_f32_f16_e32 v22, v2
.LBB371_2117:                           ;   in Loop: Header=BB371_1567 Depth=1
	s_or_b32 exec_lo, exec_lo, s13
.LBB371_2118:                           ;   in Loop: Header=BB371_1567 Depth=1
	s_delay_alu instid0(SALU_CYCLE_1)
	s_or_b32 exec_lo, exec_lo, s12
.LBB371_2119:                           ;   in Loop: Header=BB371_1567 Depth=1
	s_delay_alu instid0(SALU_CYCLE_1) | instskip(NEXT) | instid1(SALU_CYCLE_1)
	s_or_b32 exec_lo, exec_lo, s10
	s_mov_b32 s10, exec_lo
	v_cmpx_lt_u32_e32 0xffffff, v13
	s_cbranch_execz .LBB371_2127
; %bb.2120:                             ;   in Loop: Header=BB371_1567 Depth=1
	v_lshrrev_b32_e32 v34, 24, v13
	v_bfrev_b32_e32 v23, 1
	s_mov_b32 s12, exec_lo
	s_delay_alu instid0(VALU_DEP_2)
	v_cmpx_ne_u32_e32 0x80, v34
	s_cbranch_execz .LBB371_2126
; %bb.2121:                             ;   in Loop: Header=BB371_1567 Depth=1
	v_and_b32_e32 v15, 0x7f, v34
	v_mov_b32_e32 v23, 0x7fc02000
	s_mov_b32 s13, exec_lo
	s_delay_alu instid0(VALU_DEP_2)
	v_cmpx_ne_u32_e32 0x7f, v15
	s_cbranch_execz .LBB371_2125
; %bb.2122:                             ;   in Loop: Header=BB371_1567 Depth=1
	v_and_b32_e32 v2, 7, v34
	v_lshrrev_b32_e32 v23, 3, v15
	v_cmp_gt_u32_e64 s0, 8, v15
	s_delay_alu instid0(VALU_DEP_3) | instskip(NEXT) | instid1(VALU_DEP_2)
	v_dual_mov_b32 v16, v3 :: v_dual_mov_b32 v15, v2
	s_and_saveexec_b32 s15, s0
; %bb.2123:                             ;   in Loop: Header=BB371_1567 Depth=1
	v_clz_i32_u32_e32 v15, v2
	s_delay_alu instid0(VALU_DEP_1) | instskip(NEXT) | instid1(VALU_DEP_1)
	v_min_u32_e32 v23, 32, v15
	v_subrev_nc_u32_e32 v15, 28, v23
	v_sub_nc_u32_e32 v23, 29, v23
	s_delay_alu instid0(VALU_DEP_2) | instskip(NEXT) | instid1(VALU_DEP_1)
	v_lshlrev_b64 v[15:16], v15, v[2:3]
	v_and_b32_e32 v15, 7, v15
; %bb.2124:                             ;   in Loop: Header=BB371_1567 Depth=1
	s_or_b32 exec_lo, exec_lo, s15
	v_lshlrev_b32_e32 v2, 8, v34
	v_lshl_add_u32 v16, v23, 10, 0x2000
	s_delay_alu instid0(VALU_DEP_1) | instskip(NEXT) | instid1(VALU_DEP_1)
	v_and_or_b32 v2, 0x8000, v2, v16
	v_lshl_or_b32 v2, v15, 7, v2
	s_delay_alu instid0(VALU_DEP_1)
	v_cvt_f32_f16_e32 v23, v2
.LBB371_2125:                           ;   in Loop: Header=BB371_1567 Depth=1
	s_or_b32 exec_lo, exec_lo, s13
.LBB371_2126:                           ;   in Loop: Header=BB371_1567 Depth=1
	s_delay_alu instid0(SALU_CYCLE_1)
	s_or_b32 exec_lo, exec_lo, s12
.LBB371_2127:                           ;   in Loop: Header=BB371_1567 Depth=1
	s_delay_alu instid0(SALU_CYCLE_1) | instskip(SKIP_3) | instid1(VALU_DEP_2)
	s_or_b32 exec_lo, exec_lo, s10
	v_dual_mov_b32 v2, v14 :: v_dual_and_b32 v15, 0xff, v14
	v_dual_mov_b32 v35, 0 :: v_dual_mov_b32 v34, 0
	s_mov_b32 s10, exec_lo
	v_cmpx_ne_u16_e32 0, v15
	s_cbranch_execz .LBB371_2135
; %bb.2128:                             ;   in Loop: Header=BB371_1567 Depth=1
	v_bfrev_b32_e32 v34, 1
	s_mov_b32 s12, exec_lo
	v_cmpx_ne_u16_e32 0x80, v15
	s_cbranch_execz .LBB371_2134
; %bb.2129:                             ;   in Loop: Header=BB371_1567 Depth=1
	v_and_b32_e32 v15, 0x7f, v14
	v_mov_b32_e32 v34, 0x7fc02000
	s_mov_b32 s13, exec_lo
	s_delay_alu instid0(VALU_DEP_2)
	v_cmpx_ne_u32_e32 0x7f, v15
	s_cbranch_execz .LBB371_2133
; %bb.2130:                             ;   in Loop: Header=BB371_1567 Depth=1
	v_lshrrev_b32_e32 v34, 3, v15
	v_cmp_gt_u32_e64 s0, 8, v15
	v_dual_mov_b32 v16, v3 :: v_dual_mov_b32 v15, v2
	s_delay_alu instid0(VALU_DEP_2)
	s_and_saveexec_b32 s15, s0
; %bb.2131:                             ;   in Loop: Header=BB371_1567 Depth=1
	v_and_b32_e32 v15, 7, v14
	s_delay_alu instid0(VALU_DEP_1) | instskip(NEXT) | instid1(VALU_DEP_1)
	v_clz_i32_u32_e32 v15, v15
	v_min_u32_e32 v34, 32, v15
	s_delay_alu instid0(VALU_DEP_1) | instskip(SKIP_1) | instid1(VALU_DEP_2)
	v_subrev_nc_u32_e32 v15, 28, v34
	v_sub_nc_u32_e32 v34, 29, v34
	v_lshlrev_b64 v[15:16], v15, v[2:3]
; %bb.2132:                             ;   in Loop: Header=BB371_1567 Depth=1
	s_or_b32 exec_lo, exec_lo, s15
	v_lshlrev_b32_e32 v16, 8, v14
	s_delay_alu instid0(VALU_DEP_3) | instskip(NEXT) | instid1(VALU_DEP_3)
	v_lshl_add_u32 v34, v34, 10, 0x2000
	v_lshlrev_b32_e32 v15, 7, v15
	s_delay_alu instid0(VALU_DEP_2) | instskip(NEXT) | instid1(VALU_DEP_1)
	v_and_or_b32 v16, 0x8000, v16, v34
	v_and_or_b32 v15, 0x380, v15, v16
	s_delay_alu instid0(VALU_DEP_1)
	v_cvt_f32_f16_e32 v34, v15
.LBB371_2133:                           ;   in Loop: Header=BB371_1567 Depth=1
	s_or_b32 exec_lo, exec_lo, s13
.LBB371_2134:                           ;   in Loop: Header=BB371_1567 Depth=1
	s_delay_alu instid0(SALU_CYCLE_1)
	s_or_b32 exec_lo, exec_lo, s12
.LBB371_2135:                           ;   in Loop: Header=BB371_1567 Depth=1
	s_delay_alu instid0(SALU_CYCLE_1) | instskip(SKIP_2) | instid1(VALU_DEP_1)
	s_or_b32 exec_lo, exec_lo, s10
	v_lshrrev_b16 v2, 8, v2
	s_mov_b32 s10, exec_lo
	v_cmpx_ne_u16_e32 0, v2
	s_cbranch_execz .LBB371_2143
; %bb.2136:                             ;   in Loop: Header=BB371_1567 Depth=1
	v_bfrev_b32_e32 v35, 1
	s_mov_b32 s12, exec_lo
	v_cmpx_ne_u16_e32 0x80, v2
	s_cbranch_execz .LBB371_2142
; %bb.2137:                             ;   in Loop: Header=BB371_1567 Depth=1
	v_and_b32_e32 v36, 0xffff, v2
	v_mov_b32_e32 v35, 0x7fc02000
	s_mov_b32 s13, exec_lo
	s_delay_alu instid0(VALU_DEP_2) | instskip(NEXT) | instid1(VALU_DEP_1)
	v_and_b32_e32 v15, 0x7f, v36
	v_cmpx_ne_u32_e32 0x7f, v15
	s_cbranch_execz .LBB371_2141
; %bb.2138:                             ;   in Loop: Header=BB371_1567 Depth=1
	v_and_b32_e32 v2, 7, v36
	v_lshrrev_b32_e32 v35, 3, v15
	v_cmp_gt_u32_e64 s0, 8, v15
	s_delay_alu instid0(VALU_DEP_3) | instskip(NEXT) | instid1(VALU_DEP_2)
	v_dual_mov_b32 v16, v3 :: v_dual_mov_b32 v15, v2
	s_and_saveexec_b32 s15, s0
; %bb.2139:                             ;   in Loop: Header=BB371_1567 Depth=1
	v_clz_i32_u32_e32 v15, v2
	s_delay_alu instid0(VALU_DEP_1) | instskip(NEXT) | instid1(VALU_DEP_1)
	v_min_u32_e32 v35, 32, v15
	v_subrev_nc_u32_e32 v15, 28, v35
	v_sub_nc_u32_e32 v35, 29, v35
	s_delay_alu instid0(VALU_DEP_2) | instskip(NEXT) | instid1(VALU_DEP_1)
	v_lshlrev_b64 v[15:16], v15, v[2:3]
	v_and_b32_e32 v15, 7, v15
; %bb.2140:                             ;   in Loop: Header=BB371_1567 Depth=1
	s_or_b32 exec_lo, exec_lo, s15
	v_lshlrev_b32_e32 v2, 8, v36
	v_lshl_add_u32 v16, v35, 10, 0x2000
	s_delay_alu instid0(VALU_DEP_1) | instskip(NEXT) | instid1(VALU_DEP_1)
	v_and_or_b32 v2, 0x8000, v2, v16
	v_lshl_or_b32 v2, v15, 7, v2
	s_delay_alu instid0(VALU_DEP_1)
	v_cvt_f32_f16_e32 v35, v2
.LBB371_2141:                           ;   in Loop: Header=BB371_1567 Depth=1
	s_or_b32 exec_lo, exec_lo, s13
.LBB371_2142:                           ;   in Loop: Header=BB371_1567 Depth=1
	s_delay_alu instid0(SALU_CYCLE_1)
	s_or_b32 exec_lo, exec_lo, s12
.LBB371_2143:                           ;   in Loop: Header=BB371_1567 Depth=1
	s_delay_alu instid0(SALU_CYCLE_1) | instskip(SKIP_3) | instid1(VALU_DEP_2)
	s_or_b32 exec_lo, exec_lo, s10
	v_lshrrev_b32_e32 v148, 16, v14
	v_mov_b32_e32 v36, 0
	s_mov_b32 s10, exec_lo
	v_dual_mov_b32 v15, 0 :: v_dual_and_b32 v2, 0xff, v148
	s_delay_alu instid0(VALU_DEP_1)
	v_cmpx_ne_u16_e32 0, v2
	s_cbranch_execz .LBB371_2151
; %bb.2144:                             ;   in Loop: Header=BB371_1567 Depth=1
	v_bfrev_b32_e32 v15, 1
	s_mov_b32 s12, exec_lo
	v_cmpx_ne_u16_e32 0x80, v2
	s_cbranch_execz .LBB371_2150
; %bb.2145:                             ;   in Loop: Header=BB371_1567 Depth=1
	v_bfe_u32 v16, v14, 16, 7
	v_mov_b32_e32 v15, 0x7fc02000
	s_mov_b32 s13, exec_lo
	s_delay_alu instid0(VALU_DEP_2)
	v_cmpx_ne_u32_e32 0x7f, v16
	s_cbranch_execz .LBB371_2149
; %bb.2146:                             ;   in Loop: Header=BB371_1567 Depth=1
	v_and_b32_e32 v2, 7, v148
	v_lshrrev_b32_e32 v149, 3, v16
	v_cmp_gt_u32_e64 s0, 8, v16
	s_delay_alu instid0(VALU_DEP_3) | instskip(NEXT) | instid1(VALU_DEP_2)
	v_dual_mov_b32 v16, v3 :: v_dual_mov_b32 v15, v2
	s_and_saveexec_b32 s15, s0
; %bb.2147:                             ;   in Loop: Header=BB371_1567 Depth=1
	v_clz_i32_u32_e32 v15, v2
	s_delay_alu instid0(VALU_DEP_1) | instskip(NEXT) | instid1(VALU_DEP_1)
	v_min_u32_e32 v149, 32, v15
	v_subrev_nc_u32_e32 v15, 28, v149
	v_sub_nc_u32_e32 v149, 29, v149
	s_delay_alu instid0(VALU_DEP_2) | instskip(NEXT) | instid1(VALU_DEP_1)
	v_lshlrev_b64 v[15:16], v15, v[2:3]
	v_and_b32_e32 v15, 7, v15
; %bb.2148:                             ;   in Loop: Header=BB371_1567 Depth=1
	s_or_b32 exec_lo, exec_lo, s15
	v_lshlrev_b32_e32 v2, 8, v148
	v_lshl_add_u32 v16, v149, 10, 0x2000
	s_delay_alu instid0(VALU_DEP_1) | instskip(NEXT) | instid1(VALU_DEP_1)
	v_and_or_b32 v2, 0x8000, v2, v16
	v_lshl_or_b32 v2, v15, 7, v2
	s_delay_alu instid0(VALU_DEP_1)
	v_cvt_f32_f16_e32 v15, v2
.LBB371_2149:                           ;   in Loop: Header=BB371_1567 Depth=1
	s_or_b32 exec_lo, exec_lo, s13
.LBB371_2150:                           ;   in Loop: Header=BB371_1567 Depth=1
	s_delay_alu instid0(SALU_CYCLE_1)
	s_or_b32 exec_lo, exec_lo, s12
.LBB371_2151:                           ;   in Loop: Header=BB371_1567 Depth=1
	s_delay_alu instid0(SALU_CYCLE_1) | instskip(NEXT) | instid1(SALU_CYCLE_1)
	s_or_b32 exec_lo, exec_lo, s10
	s_mov_b32 s10, exec_lo
	v_cmpx_lt_u64_e64 s[8:9], v[13:14]
	s_cbranch_execz .LBB371_2159
; %bb.2152:                             ;   in Loop: Header=BB371_1567 Depth=1
	v_lshrrev_b32_e32 v16, 24, v14
	v_bfrev_b32_e32 v36, 1
	s_mov_b32 s12, exec_lo
	s_delay_alu instid0(VALU_DEP_2)
	v_cmpx_ne_u32_e32 0x80, v16
	s_cbranch_execz .LBB371_2158
; %bb.2153:                             ;   in Loop: Header=BB371_1567 Depth=1
	v_and_b32_e32 v13, 0x7f, v16
	v_mov_b32_e32 v36, 0x7fc02000
	s_mov_b32 s13, exec_lo
	s_delay_alu instid0(VALU_DEP_2)
	v_cmpx_ne_u32_e32 0x7f, v13
	s_cbranch_execz .LBB371_2157
; %bb.2154:                             ;   in Loop: Header=BB371_1567 Depth=1
	v_and_b32_e32 v2, 7, v16
	v_lshrrev_b32_e32 v36, 3, v13
	v_cmp_gt_u32_e64 s0, 8, v13
	s_delay_alu instid0(VALU_DEP_3) | instskip(NEXT) | instid1(VALU_DEP_2)
	v_dual_mov_b32 v14, v3 :: v_dual_mov_b32 v13, v2
	s_and_saveexec_b32 s15, s0
; %bb.2155:                             ;   in Loop: Header=BB371_1567 Depth=1
	v_clz_i32_u32_e32 v13, v2
	s_delay_alu instid0(VALU_DEP_1) | instskip(NEXT) | instid1(VALU_DEP_1)
	v_min_u32_e32 v36, 32, v13
	v_subrev_nc_u32_e32 v13, 28, v36
	v_sub_nc_u32_e32 v36, 29, v36
	s_delay_alu instid0(VALU_DEP_2) | instskip(NEXT) | instid1(VALU_DEP_1)
	v_lshlrev_b64 v[13:14], v13, v[2:3]
	v_and_b32_e32 v13, 7, v13
; %bb.2156:                             ;   in Loop: Header=BB371_1567 Depth=1
	s_or_b32 exec_lo, exec_lo, s15
	v_lshlrev_b32_e32 v2, 8, v16
	v_lshl_add_u32 v14, v36, 10, 0x2000
	s_delay_alu instid0(VALU_DEP_1) | instskip(NEXT) | instid1(VALU_DEP_1)
	v_and_or_b32 v2, 0x8000, v2, v14
	v_lshl_or_b32 v2, v13, 7, v2
	s_delay_alu instid0(VALU_DEP_1)
	v_cvt_f32_f16_e32 v36, v2
.LBB371_2157:                           ;   in Loop: Header=BB371_1567 Depth=1
	s_or_b32 exec_lo, exec_lo, s13
.LBB371_2158:                           ;   in Loop: Header=BB371_1567 Depth=1
	s_delay_alu instid0(SALU_CYCLE_1)
	s_or_b32 exec_lo, exec_lo, s12
.LBB371_2159:                           ;   in Loop: Header=BB371_1567 Depth=1
	s_delay_alu instid0(SALU_CYCLE_1)
	s_or_b32 exec_lo, exec_lo, s10
	s_waitcnt vmcnt(0) lgkmcnt(0)
	v_fma_mixlo_f16 v6, v4, v6, 0
	v_fma_mixlo_f16 v2, v4, v23, 0
	;; [unrolled: 1-line block ×5, first 2 shown]
	v_lshlrev_b32_e32 v14, 16, v6
	v_fma_mixlo_f16 v6, v4, v5, 0
	v_fma_mixlo_f16 v23, v4, v36, 0
	;; [unrolled: 1-line block ×3, first 2 shown]
	v_lshlrev_b32_e32 v2, 16, v2
	v_and_b32_e32 v13, 0xffff, v13
	v_and_b32_e32 v4, 0xffff, v6
	v_lshlrev_b32_e32 v15, 16, v16
	v_and_b32_e32 v16, 0xffff, v22
	v_lshlrev_b32_e32 v22, 16, v23
	v_and_b32_e32 v23, 0xffff, v5
	v_or_b32_e32 v6, v2, v13
	v_or_b32_e32 v13, v14, v4
	;; [unrolled: 1-line block ×3, first 2 shown]
	s_delay_alu instid0(VALU_DEP_4)
	v_or_b32_e32 v4, v22, v23
	s_and_saveexec_b32 s10, vcc_lo
	s_cbranch_execz .LBB371_2161
; %bb.2160:                             ;   in Loop: Header=BB371_1567 Depth=1
	v_cmp_lt_i32_e64 s0, v17, v37
	v_lshrrev_b32_e32 v14, 16, v13
	v_lshrrev_b32_e32 v15, 16, v6
	;; [unrolled: 1-line block ×4, first 2 shown]
	v_cndmask_b32_e64 v13, 0, v13, s0
	v_cmp_lt_i32_e64 s0, v117, v87
	s_delay_alu instid0(VALU_DEP_1) | instskip(SKIP_1) | instid1(VALU_DEP_2)
	v_cndmask_b32_e64 v14, 0, v14, s0
	v_cmp_lt_i32_e64 s0, v116, v87
	v_perm_b32 v13, v14, v13, 0x5040100
	s_delay_alu instid0(VALU_DEP_2) | instskip(SKIP_1) | instid1(VALU_DEP_1)
	v_cndmask_b32_e64 v15, 0, v15, s0
	v_cmp_lt_i32_e64 s0, v115, v37
	v_cndmask_b32_e64 v6, 0, v6, s0
	v_cmp_lt_i32_e64 s0, v114, v87
	s_delay_alu instid0(VALU_DEP_2) | instskip(NEXT) | instid1(VALU_DEP_2)
	v_perm_b32 v6, v15, v6, 0x5040100
	v_cndmask_b32_e64 v16, 0, v16, s0
	v_cmp_lt_i32_e64 s0, v113, v37
	s_delay_alu instid0(VALU_DEP_1) | instskip(SKIP_1) | instid1(VALU_DEP_2)
	v_cndmask_b32_e64 v2, 0, v2, s0
	v_cmp_lt_i32_e64 s0, v112, v87
	v_perm_b32 v2, v16, v2, 0x5040100
	s_delay_alu instid0(VALU_DEP_2) | instskip(SKIP_1) | instid1(VALU_DEP_1)
	v_cndmask_b32_e64 v4, 0, v4, s0
	v_cmp_lt_i32_e64 s0, v103, v37
	v_cndmask_b32_e64 v5, 0, v5, s0
	s_delay_alu instid0(VALU_DEP_1)
	v_perm_b32 v4, v4, v5, 0x5040100
.LBB371_2161:                           ;   in Loop: Header=BB371_1567 Depth=1
	s_or_b32 exec_lo, exec_lo, s10
	;;#ASMSTART
	v_pk_mul_f16 v5, v102, v13;

	;;#ASMEND
	;;#ASMSTART
	v_pk_mul_f16 v6, v100, v6;

	;;#ASMEND
	;; [unrolled: 4-line block ×4, first 2 shown]
	;;#ASMSTART
	v_pk_add_f16 v5, v5, v6;

	;;#ASMEND
	;;#ASMSTART
	v_pk_add_f16 v2, v5, v2;

	;;#ASMEND
	;;#ASMSTART
	v_pk_add_f16 v2, v2, v4;

	;;#ASMEND
	v_dual_mov_b32 v5, 0 :: v_dual_and_b32 v4, 0xffff, v2
	v_lshrrev_b32_e32 v2, 16, v2
	;;#ASMSTART
	v_cvt_f32_f16 v148, v4;
	;;#ASMEND
	;;#ASMSTART
	v_cvt_f32_f16 v149, v2;
	;;#ASMEND
	flat_load_b64 v[13:14], v[11:12] offset:2304
	flat_load_b32 v4, v[26:27]
	v_mov_b32_e32 v6, 0
	s_mov_b32 s10, exec_lo
	s_waitcnt vmcnt(1) lgkmcnt(1)
	v_and_b32_e32 v2, 0xff, v13
	s_delay_alu instid0(VALU_DEP_1)
	v_cmpx_ne_u16_e32 0, v2
	s_cbranch_execz .LBB371_2169
; %bb.2162:                             ;   in Loop: Header=BB371_1567 Depth=1
	v_bfrev_b32_e32 v5, 1
	s_mov_b32 s12, exec_lo
	v_cmpx_ne_u16_e32 0x80, v2
	s_cbranch_execz .LBB371_2168
; %bb.2163:                             ;   in Loop: Header=BB371_1567 Depth=1
	v_and_b32_e32 v15, 0x7f, v13
	v_mov_b32_e32 v5, 0x7fc02000
	s_mov_b32 s13, exec_lo
	s_delay_alu instid0(VALU_DEP_2)
	v_cmpx_ne_u32_e32 0x7f, v15
	s_cbranch_execz .LBB371_2167
; %bb.2164:                             ;   in Loop: Header=BB371_1567 Depth=1
	v_lshrrev_b32_e32 v2, 3, v15
	v_cmp_gt_u32_e64 s0, 8, v15
	v_dual_mov_b32 v16, v14 :: v_dual_mov_b32 v15, v13
	s_delay_alu instid0(VALU_DEP_2)
	s_and_saveexec_b32 s15, s0
; %bb.2165:                             ;   in Loop: Header=BB371_1567 Depth=1
	v_and_b32_e32 v2, 7, v13
	s_delay_alu instid0(VALU_DEP_1) | instskip(NEXT) | instid1(VALU_DEP_1)
	v_clz_i32_u32_e32 v2, v2
	v_min_u32_e32 v2, 32, v2
	s_delay_alu instid0(VALU_DEP_1) | instskip(SKIP_1) | instid1(VALU_DEP_2)
	v_subrev_nc_u32_e32 v5, 28, v2
	v_sub_nc_u32_e32 v2, 29, v2
	v_lshlrev_b64 v[15:16], v5, v[13:14]
; %bb.2166:                             ;   in Loop: Header=BB371_1567 Depth=1
	s_or_b32 exec_lo, exec_lo, s15
	v_lshlrev_b32_e32 v5, 8, v13
	s_delay_alu instid0(VALU_DEP_3) | instskip(NEXT) | instid1(VALU_DEP_3)
	v_lshl_add_u32 v2, v2, 10, 0x2000
	v_lshlrev_b32_e32 v15, 7, v15
	s_delay_alu instid0(VALU_DEP_2) | instskip(NEXT) | instid1(VALU_DEP_1)
	v_and_or_b32 v2, 0x8000, v5, v2
	v_and_or_b32 v2, 0x380, v15, v2
	s_delay_alu instid0(VALU_DEP_1)
	v_cvt_f32_f16_e32 v5, v2
.LBB371_2167:                           ;   in Loop: Header=BB371_1567 Depth=1
	s_or_b32 exec_lo, exec_lo, s13
.LBB371_2168:                           ;   in Loop: Header=BB371_1567 Depth=1
	s_delay_alu instid0(SALU_CYCLE_1)
	s_or_b32 exec_lo, exec_lo, s12
.LBB371_2169:                           ;   in Loop: Header=BB371_1567 Depth=1
	s_delay_alu instid0(SALU_CYCLE_1) | instskip(SKIP_2) | instid1(VALU_DEP_1)
	s_or_b32 exec_lo, exec_lo, s10
	v_lshrrev_b16 v2, 8, v13
	s_mov_b32 s10, exec_lo
	v_cmpx_ne_u16_e32 0, v2
	s_cbranch_execz .LBB371_2177
; %bb.2170:                             ;   in Loop: Header=BB371_1567 Depth=1
	v_bfrev_b32_e32 v6, 1
	s_mov_b32 s12, exec_lo
	v_cmpx_ne_u16_e32 0x80, v2
	s_cbranch_execz .LBB371_2176
; %bb.2171:                             ;   in Loop: Header=BB371_1567 Depth=1
	v_and_b32_e32 v22, 0xffff, v2
	v_mov_b32_e32 v6, 0x7fc02000
	s_mov_b32 s13, exec_lo
	s_delay_alu instid0(VALU_DEP_2) | instskip(NEXT) | instid1(VALU_DEP_1)
	v_and_b32_e32 v15, 0x7f, v22
	v_cmpx_ne_u32_e32 0x7f, v15
	s_cbranch_execz .LBB371_2175
; %bb.2172:                             ;   in Loop: Header=BB371_1567 Depth=1
	v_and_b32_e32 v2, 7, v22
	v_lshrrev_b32_e32 v6, 3, v15
	v_cmp_gt_u32_e64 s0, 8, v15
	s_delay_alu instid0(VALU_DEP_3) | instskip(NEXT) | instid1(VALU_DEP_2)
	v_dual_mov_b32 v16, v3 :: v_dual_mov_b32 v15, v2
	s_and_saveexec_b32 s15, s0
; %bb.2173:                             ;   in Loop: Header=BB371_1567 Depth=1
	v_clz_i32_u32_e32 v6, v2
	s_delay_alu instid0(VALU_DEP_1) | instskip(NEXT) | instid1(VALU_DEP_1)
	v_min_u32_e32 v6, 32, v6
	v_subrev_nc_u32_e32 v15, 28, v6
	v_sub_nc_u32_e32 v6, 29, v6
	s_delay_alu instid0(VALU_DEP_2) | instskip(NEXT) | instid1(VALU_DEP_1)
	v_lshlrev_b64 v[15:16], v15, v[2:3]
	v_and_b32_e32 v15, 7, v15
; %bb.2174:                             ;   in Loop: Header=BB371_1567 Depth=1
	s_or_b32 exec_lo, exec_lo, s15
	v_lshlrev_b32_e32 v2, 8, v22
	v_lshl_add_u32 v6, v6, 10, 0x2000
	s_delay_alu instid0(VALU_DEP_1) | instskip(NEXT) | instid1(VALU_DEP_1)
	v_and_or_b32 v2, 0x8000, v2, v6
	v_lshl_or_b32 v2, v15, 7, v2
	s_delay_alu instid0(VALU_DEP_1)
	v_cvt_f32_f16_e32 v6, v2
.LBB371_2175:                           ;   in Loop: Header=BB371_1567 Depth=1
	s_or_b32 exec_lo, exec_lo, s13
.LBB371_2176:                           ;   in Loop: Header=BB371_1567 Depth=1
	s_delay_alu instid0(SALU_CYCLE_1)
	s_or_b32 exec_lo, exec_lo, s12
.LBB371_2177:                           ;   in Loop: Header=BB371_1567 Depth=1
	s_delay_alu instid0(SALU_CYCLE_1) | instskip(SKIP_3) | instid1(VALU_DEP_2)
	s_or_b32 exec_lo, exec_lo, s10
	v_lshrrev_b32_e32 v34, 16, v13
	v_mov_b32_e32 v22, 0
	s_mov_b32 s10, exec_lo
	v_dual_mov_b32 v23, 0 :: v_dual_and_b32 v2, 0xff, v34
	s_delay_alu instid0(VALU_DEP_1)
	v_cmpx_ne_u16_e32 0, v2
	s_cbranch_execz .LBB371_2185
; %bb.2178:                             ;   in Loop: Header=BB371_1567 Depth=1
	v_bfrev_b32_e32 v22, 1
	s_mov_b32 s12, exec_lo
	v_cmpx_ne_u16_e32 0x80, v2
	s_cbranch_execz .LBB371_2184
; %bb.2179:                             ;   in Loop: Header=BB371_1567 Depth=1
	v_bfe_u32 v15, v13, 16, 7
	v_mov_b32_e32 v22, 0x7fc02000
	s_mov_b32 s13, exec_lo
	s_delay_alu instid0(VALU_DEP_2)
	v_cmpx_ne_u32_e32 0x7f, v15
	s_cbranch_execz .LBB371_2183
; %bb.2180:                             ;   in Loop: Header=BB371_1567 Depth=1
	v_and_b32_e32 v2, 7, v34
	v_lshrrev_b32_e32 v22, 3, v15
	v_cmp_gt_u32_e64 s0, 8, v15
	s_delay_alu instid0(VALU_DEP_3) | instskip(NEXT) | instid1(VALU_DEP_2)
	v_dual_mov_b32 v16, v3 :: v_dual_mov_b32 v15, v2
	s_and_saveexec_b32 s15, s0
; %bb.2181:                             ;   in Loop: Header=BB371_1567 Depth=1
	v_clz_i32_u32_e32 v15, v2
	s_delay_alu instid0(VALU_DEP_1) | instskip(NEXT) | instid1(VALU_DEP_1)
	v_min_u32_e32 v22, 32, v15
	v_subrev_nc_u32_e32 v15, 28, v22
	v_sub_nc_u32_e32 v22, 29, v22
	s_delay_alu instid0(VALU_DEP_2) | instskip(NEXT) | instid1(VALU_DEP_1)
	v_lshlrev_b64 v[15:16], v15, v[2:3]
	v_and_b32_e32 v15, 7, v15
; %bb.2182:                             ;   in Loop: Header=BB371_1567 Depth=1
	s_or_b32 exec_lo, exec_lo, s15
	v_lshlrev_b32_e32 v2, 8, v34
	v_lshl_add_u32 v16, v22, 10, 0x2000
	s_delay_alu instid0(VALU_DEP_1) | instskip(NEXT) | instid1(VALU_DEP_1)
	v_and_or_b32 v2, 0x8000, v2, v16
	v_lshl_or_b32 v2, v15, 7, v2
	s_delay_alu instid0(VALU_DEP_1)
	v_cvt_f32_f16_e32 v22, v2
.LBB371_2183:                           ;   in Loop: Header=BB371_1567 Depth=1
	s_or_b32 exec_lo, exec_lo, s13
.LBB371_2184:                           ;   in Loop: Header=BB371_1567 Depth=1
	s_delay_alu instid0(SALU_CYCLE_1)
	s_or_b32 exec_lo, exec_lo, s12
.LBB371_2185:                           ;   in Loop: Header=BB371_1567 Depth=1
	s_delay_alu instid0(SALU_CYCLE_1) | instskip(NEXT) | instid1(SALU_CYCLE_1)
	s_or_b32 exec_lo, exec_lo, s10
	s_mov_b32 s10, exec_lo
	v_cmpx_lt_u32_e32 0xffffff, v13
	s_cbranch_execz .LBB371_2193
; %bb.2186:                             ;   in Loop: Header=BB371_1567 Depth=1
	v_lshrrev_b32_e32 v34, 24, v13
	v_bfrev_b32_e32 v23, 1
	s_mov_b32 s12, exec_lo
	s_delay_alu instid0(VALU_DEP_2)
	v_cmpx_ne_u32_e32 0x80, v34
	s_cbranch_execz .LBB371_2192
; %bb.2187:                             ;   in Loop: Header=BB371_1567 Depth=1
	v_and_b32_e32 v15, 0x7f, v34
	v_mov_b32_e32 v23, 0x7fc02000
	s_mov_b32 s13, exec_lo
	s_delay_alu instid0(VALU_DEP_2)
	v_cmpx_ne_u32_e32 0x7f, v15
	s_cbranch_execz .LBB371_2191
; %bb.2188:                             ;   in Loop: Header=BB371_1567 Depth=1
	v_and_b32_e32 v2, 7, v34
	v_lshrrev_b32_e32 v23, 3, v15
	v_cmp_gt_u32_e64 s0, 8, v15
	s_delay_alu instid0(VALU_DEP_3) | instskip(NEXT) | instid1(VALU_DEP_2)
	v_dual_mov_b32 v16, v3 :: v_dual_mov_b32 v15, v2
	s_and_saveexec_b32 s15, s0
; %bb.2189:                             ;   in Loop: Header=BB371_1567 Depth=1
	v_clz_i32_u32_e32 v15, v2
	s_delay_alu instid0(VALU_DEP_1) | instskip(NEXT) | instid1(VALU_DEP_1)
	v_min_u32_e32 v23, 32, v15
	v_subrev_nc_u32_e32 v15, 28, v23
	v_sub_nc_u32_e32 v23, 29, v23
	s_delay_alu instid0(VALU_DEP_2) | instskip(NEXT) | instid1(VALU_DEP_1)
	v_lshlrev_b64 v[15:16], v15, v[2:3]
	v_and_b32_e32 v15, 7, v15
; %bb.2190:                             ;   in Loop: Header=BB371_1567 Depth=1
	s_or_b32 exec_lo, exec_lo, s15
	v_lshlrev_b32_e32 v2, 8, v34
	v_lshl_add_u32 v16, v23, 10, 0x2000
	s_delay_alu instid0(VALU_DEP_1) | instskip(NEXT) | instid1(VALU_DEP_1)
	v_and_or_b32 v2, 0x8000, v2, v16
	v_lshl_or_b32 v2, v15, 7, v2
	s_delay_alu instid0(VALU_DEP_1)
	v_cvt_f32_f16_e32 v23, v2
.LBB371_2191:                           ;   in Loop: Header=BB371_1567 Depth=1
	s_or_b32 exec_lo, exec_lo, s13
.LBB371_2192:                           ;   in Loop: Header=BB371_1567 Depth=1
	s_delay_alu instid0(SALU_CYCLE_1)
	s_or_b32 exec_lo, exec_lo, s12
.LBB371_2193:                           ;   in Loop: Header=BB371_1567 Depth=1
	s_delay_alu instid0(SALU_CYCLE_1) | instskip(SKIP_3) | instid1(VALU_DEP_2)
	s_or_b32 exec_lo, exec_lo, s10
	v_dual_mov_b32 v2, v14 :: v_dual_and_b32 v15, 0xff, v14
	v_dual_mov_b32 v35, 0 :: v_dual_mov_b32 v34, 0
	s_mov_b32 s10, exec_lo
	v_cmpx_ne_u16_e32 0, v15
	s_cbranch_execz .LBB371_2201
; %bb.2194:                             ;   in Loop: Header=BB371_1567 Depth=1
	v_bfrev_b32_e32 v34, 1
	s_mov_b32 s12, exec_lo
	v_cmpx_ne_u16_e32 0x80, v15
	s_cbranch_execz .LBB371_2200
; %bb.2195:                             ;   in Loop: Header=BB371_1567 Depth=1
	v_and_b32_e32 v15, 0x7f, v14
	v_mov_b32_e32 v34, 0x7fc02000
	s_mov_b32 s13, exec_lo
	s_delay_alu instid0(VALU_DEP_2)
	v_cmpx_ne_u32_e32 0x7f, v15
	s_cbranch_execz .LBB371_2199
; %bb.2196:                             ;   in Loop: Header=BB371_1567 Depth=1
	v_lshrrev_b32_e32 v34, 3, v15
	v_cmp_gt_u32_e64 s0, 8, v15
	v_dual_mov_b32 v16, v3 :: v_dual_mov_b32 v15, v2
	s_delay_alu instid0(VALU_DEP_2)
	s_and_saveexec_b32 s15, s0
; %bb.2197:                             ;   in Loop: Header=BB371_1567 Depth=1
	v_and_b32_e32 v15, 7, v14
	s_delay_alu instid0(VALU_DEP_1) | instskip(NEXT) | instid1(VALU_DEP_1)
	v_clz_i32_u32_e32 v15, v15
	v_min_u32_e32 v34, 32, v15
	s_delay_alu instid0(VALU_DEP_1) | instskip(SKIP_1) | instid1(VALU_DEP_2)
	v_subrev_nc_u32_e32 v15, 28, v34
	v_sub_nc_u32_e32 v34, 29, v34
	v_lshlrev_b64 v[15:16], v15, v[2:3]
; %bb.2198:                             ;   in Loop: Header=BB371_1567 Depth=1
	s_or_b32 exec_lo, exec_lo, s15
	v_lshlrev_b32_e32 v16, 8, v14
	s_delay_alu instid0(VALU_DEP_3) | instskip(NEXT) | instid1(VALU_DEP_3)
	v_lshl_add_u32 v34, v34, 10, 0x2000
	v_lshlrev_b32_e32 v15, 7, v15
	s_delay_alu instid0(VALU_DEP_2) | instskip(NEXT) | instid1(VALU_DEP_1)
	v_and_or_b32 v16, 0x8000, v16, v34
	v_and_or_b32 v15, 0x380, v15, v16
	s_delay_alu instid0(VALU_DEP_1)
	v_cvt_f32_f16_e32 v34, v15
.LBB371_2199:                           ;   in Loop: Header=BB371_1567 Depth=1
	s_or_b32 exec_lo, exec_lo, s13
.LBB371_2200:                           ;   in Loop: Header=BB371_1567 Depth=1
	s_delay_alu instid0(SALU_CYCLE_1)
	s_or_b32 exec_lo, exec_lo, s12
.LBB371_2201:                           ;   in Loop: Header=BB371_1567 Depth=1
	s_delay_alu instid0(SALU_CYCLE_1) | instskip(SKIP_2) | instid1(VALU_DEP_1)
	s_or_b32 exec_lo, exec_lo, s10
	v_lshrrev_b16 v2, 8, v2
	s_mov_b32 s10, exec_lo
	v_cmpx_ne_u16_e32 0, v2
	s_cbranch_execz .LBB371_2209
; %bb.2202:                             ;   in Loop: Header=BB371_1567 Depth=1
	v_bfrev_b32_e32 v35, 1
	s_mov_b32 s12, exec_lo
	v_cmpx_ne_u16_e32 0x80, v2
	s_cbranch_execz .LBB371_2208
; %bb.2203:                             ;   in Loop: Header=BB371_1567 Depth=1
	v_and_b32_e32 v36, 0xffff, v2
	v_mov_b32_e32 v35, 0x7fc02000
	s_mov_b32 s13, exec_lo
	s_delay_alu instid0(VALU_DEP_2) | instskip(NEXT) | instid1(VALU_DEP_1)
	v_and_b32_e32 v15, 0x7f, v36
	v_cmpx_ne_u32_e32 0x7f, v15
	s_cbranch_execz .LBB371_2207
; %bb.2204:                             ;   in Loop: Header=BB371_1567 Depth=1
	v_and_b32_e32 v2, 7, v36
	v_lshrrev_b32_e32 v35, 3, v15
	v_cmp_gt_u32_e64 s0, 8, v15
	s_delay_alu instid0(VALU_DEP_3) | instskip(NEXT) | instid1(VALU_DEP_2)
	v_dual_mov_b32 v16, v3 :: v_dual_mov_b32 v15, v2
	s_and_saveexec_b32 s15, s0
; %bb.2205:                             ;   in Loop: Header=BB371_1567 Depth=1
	v_clz_i32_u32_e32 v15, v2
	s_delay_alu instid0(VALU_DEP_1) | instskip(NEXT) | instid1(VALU_DEP_1)
	v_min_u32_e32 v35, 32, v15
	v_subrev_nc_u32_e32 v15, 28, v35
	v_sub_nc_u32_e32 v35, 29, v35
	s_delay_alu instid0(VALU_DEP_2) | instskip(NEXT) | instid1(VALU_DEP_1)
	v_lshlrev_b64 v[15:16], v15, v[2:3]
	v_and_b32_e32 v15, 7, v15
; %bb.2206:                             ;   in Loop: Header=BB371_1567 Depth=1
	s_or_b32 exec_lo, exec_lo, s15
	v_lshlrev_b32_e32 v2, 8, v36
	v_lshl_add_u32 v16, v35, 10, 0x2000
	s_delay_alu instid0(VALU_DEP_1) | instskip(NEXT) | instid1(VALU_DEP_1)
	v_and_or_b32 v2, 0x8000, v2, v16
	v_lshl_or_b32 v2, v15, 7, v2
	s_delay_alu instid0(VALU_DEP_1)
	v_cvt_f32_f16_e32 v35, v2
.LBB371_2207:                           ;   in Loop: Header=BB371_1567 Depth=1
	s_or_b32 exec_lo, exec_lo, s13
.LBB371_2208:                           ;   in Loop: Header=BB371_1567 Depth=1
	s_delay_alu instid0(SALU_CYCLE_1)
	s_or_b32 exec_lo, exec_lo, s12
.LBB371_2209:                           ;   in Loop: Header=BB371_1567 Depth=1
	s_delay_alu instid0(SALU_CYCLE_1) | instskip(SKIP_3) | instid1(VALU_DEP_2)
	s_or_b32 exec_lo, exec_lo, s10
	v_lshrrev_b32_e32 v150, 16, v14
	v_mov_b32_e32 v36, 0
	s_mov_b32 s10, exec_lo
	v_dual_mov_b32 v15, 0 :: v_dual_and_b32 v2, 0xff, v150
	s_delay_alu instid0(VALU_DEP_1)
	v_cmpx_ne_u16_e32 0, v2
	s_cbranch_execz .LBB371_2217
; %bb.2210:                             ;   in Loop: Header=BB371_1567 Depth=1
	v_bfrev_b32_e32 v15, 1
	s_mov_b32 s12, exec_lo
	v_cmpx_ne_u16_e32 0x80, v2
	s_cbranch_execz .LBB371_2216
; %bb.2211:                             ;   in Loop: Header=BB371_1567 Depth=1
	v_bfe_u32 v16, v14, 16, 7
	v_mov_b32_e32 v15, 0x7fc02000
	s_mov_b32 s13, exec_lo
	s_delay_alu instid0(VALU_DEP_2)
	v_cmpx_ne_u32_e32 0x7f, v16
	s_cbranch_execz .LBB371_2215
; %bb.2212:                             ;   in Loop: Header=BB371_1567 Depth=1
	v_and_b32_e32 v2, 7, v150
	v_lshrrev_b32_e32 v151, 3, v16
	v_cmp_gt_u32_e64 s0, 8, v16
	s_delay_alu instid0(VALU_DEP_3) | instskip(NEXT) | instid1(VALU_DEP_2)
	v_dual_mov_b32 v16, v3 :: v_dual_mov_b32 v15, v2
	s_and_saveexec_b32 s15, s0
; %bb.2213:                             ;   in Loop: Header=BB371_1567 Depth=1
	v_clz_i32_u32_e32 v15, v2
	s_delay_alu instid0(VALU_DEP_1) | instskip(NEXT) | instid1(VALU_DEP_1)
	v_min_u32_e32 v151, 32, v15
	v_subrev_nc_u32_e32 v15, 28, v151
	v_sub_nc_u32_e32 v151, 29, v151
	s_delay_alu instid0(VALU_DEP_2) | instskip(NEXT) | instid1(VALU_DEP_1)
	v_lshlrev_b64 v[15:16], v15, v[2:3]
	v_and_b32_e32 v15, 7, v15
; %bb.2214:                             ;   in Loop: Header=BB371_1567 Depth=1
	s_or_b32 exec_lo, exec_lo, s15
	v_lshlrev_b32_e32 v2, 8, v150
	v_lshl_add_u32 v16, v151, 10, 0x2000
	s_delay_alu instid0(VALU_DEP_1) | instskip(NEXT) | instid1(VALU_DEP_1)
	v_and_or_b32 v2, 0x8000, v2, v16
	v_lshl_or_b32 v2, v15, 7, v2
	s_delay_alu instid0(VALU_DEP_1)
	v_cvt_f32_f16_e32 v15, v2
.LBB371_2215:                           ;   in Loop: Header=BB371_1567 Depth=1
	s_or_b32 exec_lo, exec_lo, s13
.LBB371_2216:                           ;   in Loop: Header=BB371_1567 Depth=1
	s_delay_alu instid0(SALU_CYCLE_1)
	s_or_b32 exec_lo, exec_lo, s12
.LBB371_2217:                           ;   in Loop: Header=BB371_1567 Depth=1
	s_delay_alu instid0(SALU_CYCLE_1) | instskip(NEXT) | instid1(SALU_CYCLE_1)
	s_or_b32 exec_lo, exec_lo, s10
	s_mov_b32 s10, exec_lo
	v_cmpx_lt_u64_e64 s[8:9], v[13:14]
	s_cbranch_execz .LBB371_2225
; %bb.2218:                             ;   in Loop: Header=BB371_1567 Depth=1
	v_lshrrev_b32_e32 v16, 24, v14
	v_bfrev_b32_e32 v36, 1
	s_mov_b32 s12, exec_lo
	s_delay_alu instid0(VALU_DEP_2)
	v_cmpx_ne_u32_e32 0x80, v16
	s_cbranch_execz .LBB371_2224
; %bb.2219:                             ;   in Loop: Header=BB371_1567 Depth=1
	v_and_b32_e32 v13, 0x7f, v16
	v_mov_b32_e32 v36, 0x7fc02000
	s_mov_b32 s13, exec_lo
	s_delay_alu instid0(VALU_DEP_2)
	v_cmpx_ne_u32_e32 0x7f, v13
	s_cbranch_execz .LBB371_2223
; %bb.2220:                             ;   in Loop: Header=BB371_1567 Depth=1
	v_and_b32_e32 v2, 7, v16
	v_lshrrev_b32_e32 v36, 3, v13
	v_cmp_gt_u32_e64 s0, 8, v13
	s_delay_alu instid0(VALU_DEP_3) | instskip(NEXT) | instid1(VALU_DEP_2)
	v_dual_mov_b32 v14, v3 :: v_dual_mov_b32 v13, v2
	s_and_saveexec_b32 s15, s0
; %bb.2221:                             ;   in Loop: Header=BB371_1567 Depth=1
	v_clz_i32_u32_e32 v13, v2
	s_delay_alu instid0(VALU_DEP_1) | instskip(NEXT) | instid1(VALU_DEP_1)
	v_min_u32_e32 v36, 32, v13
	v_subrev_nc_u32_e32 v13, 28, v36
	v_sub_nc_u32_e32 v36, 29, v36
	s_delay_alu instid0(VALU_DEP_2) | instskip(NEXT) | instid1(VALU_DEP_1)
	v_lshlrev_b64 v[13:14], v13, v[2:3]
	v_and_b32_e32 v13, 7, v13
; %bb.2222:                             ;   in Loop: Header=BB371_1567 Depth=1
	s_or_b32 exec_lo, exec_lo, s15
	v_lshlrev_b32_e32 v2, 8, v16
	v_lshl_add_u32 v14, v36, 10, 0x2000
	s_delay_alu instid0(VALU_DEP_1) | instskip(NEXT) | instid1(VALU_DEP_1)
	v_and_or_b32 v2, 0x8000, v2, v14
	v_lshl_or_b32 v2, v13, 7, v2
	s_delay_alu instid0(VALU_DEP_1)
	v_cvt_f32_f16_e32 v36, v2
.LBB371_2223:                           ;   in Loop: Header=BB371_1567 Depth=1
	s_or_b32 exec_lo, exec_lo, s13
.LBB371_2224:                           ;   in Loop: Header=BB371_1567 Depth=1
	s_delay_alu instid0(SALU_CYCLE_1)
	s_or_b32 exec_lo, exec_lo, s12
.LBB371_2225:                           ;   in Loop: Header=BB371_1567 Depth=1
	s_delay_alu instid0(SALU_CYCLE_1)
	s_or_b32 exec_lo, exec_lo, s10
	s_waitcnt vmcnt(0) lgkmcnt(0)
	v_fma_mixlo_f16 v6, v4, v6, 0
	v_fma_mixlo_f16 v2, v4, v23, 0
	;; [unrolled: 1-line block ×5, first 2 shown]
	v_lshlrev_b32_e32 v14, 16, v6
	v_fma_mixlo_f16 v6, v4, v5, 0
	v_fma_mixlo_f16 v23, v4, v36, 0
	;; [unrolled: 1-line block ×3, first 2 shown]
	v_lshlrev_b32_e32 v2, 16, v2
	v_and_b32_e32 v13, 0xffff, v13
	v_and_b32_e32 v4, 0xffff, v6
	v_lshlrev_b32_e32 v15, 16, v16
	v_and_b32_e32 v16, 0xffff, v22
	v_lshlrev_b32_e32 v22, 16, v23
	v_and_b32_e32 v23, 0xffff, v5
	v_or_b32_e32 v6, v2, v13
	v_or_b32_e32 v13, v14, v4
	;; [unrolled: 1-line block ×3, first 2 shown]
	s_delay_alu instid0(VALU_DEP_4)
	v_or_b32_e32 v4, v22, v23
	s_and_saveexec_b32 s10, vcc_lo
	s_cbranch_execz .LBB371_2227
; %bb.2226:                             ;   in Loop: Header=BB371_1567 Depth=1
	v_cmp_lt_i32_e64 s0, v17, v37
	v_lshrrev_b32_e32 v14, 16, v13
	v_lshrrev_b32_e32 v15, 16, v6
	;; [unrolled: 1-line block ×4, first 2 shown]
	v_cndmask_b32_e64 v13, 0, v13, s0
	v_cmp_lt_i32_e64 s0, v117, v87
	s_delay_alu instid0(VALU_DEP_1) | instskip(SKIP_1) | instid1(VALU_DEP_2)
	v_cndmask_b32_e64 v14, 0, v14, s0
	v_cmp_lt_i32_e64 s0, v116, v87
	v_perm_b32 v13, v14, v13, 0x5040100
	s_delay_alu instid0(VALU_DEP_2) | instskip(SKIP_1) | instid1(VALU_DEP_1)
	v_cndmask_b32_e64 v15, 0, v15, s0
	v_cmp_lt_i32_e64 s0, v115, v37
	v_cndmask_b32_e64 v6, 0, v6, s0
	v_cmp_lt_i32_e64 s0, v114, v87
	s_delay_alu instid0(VALU_DEP_2) | instskip(NEXT) | instid1(VALU_DEP_2)
	v_perm_b32 v6, v15, v6, 0x5040100
	v_cndmask_b32_e64 v16, 0, v16, s0
	v_cmp_lt_i32_e64 s0, v113, v37
	s_delay_alu instid0(VALU_DEP_1) | instskip(SKIP_1) | instid1(VALU_DEP_2)
	v_cndmask_b32_e64 v2, 0, v2, s0
	v_cmp_lt_i32_e64 s0, v112, v87
	v_perm_b32 v2, v16, v2, 0x5040100
	s_delay_alu instid0(VALU_DEP_2) | instskip(SKIP_1) | instid1(VALU_DEP_1)
	v_cndmask_b32_e64 v4, 0, v4, s0
	v_cmp_lt_i32_e64 s0, v103, v37
	v_cndmask_b32_e64 v5, 0, v5, s0
	s_delay_alu instid0(VALU_DEP_1)
	v_perm_b32 v4, v4, v5, 0x5040100
.LBB371_2227:                           ;   in Loop: Header=BB371_1567 Depth=1
	s_or_b32 exec_lo, exec_lo, s10
	;;#ASMSTART
	v_pk_mul_f16 v5, v102, v13;

	;;#ASMEND
	;;#ASMSTART
	v_pk_mul_f16 v6, v100, v6;

	;;#ASMEND
	;; [unrolled: 4-line block ×4, first 2 shown]
	;;#ASMSTART
	v_pk_add_f16 v5, v5, v6;

	;;#ASMEND
	;;#ASMSTART
	v_pk_add_f16 v2, v5, v2;

	;;#ASMEND
	;; [unrolled: 4-line block ×3, first 2 shown]
	v_dual_mov_b32 v5, 0 :: v_dual_and_b32 v4, 0xffff, v2
	v_lshrrev_b32_e32 v2, 16, v2
	;;#ASMSTART
	v_cvt_f32_f16 v150, v4;
	;;#ASMEND
	;;#ASMSTART
	v_cvt_f32_f16 v151, v2;
	;;#ASMEND
	flat_load_b64 v[13:14], v[11:12] offset:2560
	flat_load_b32 v4, v[26:27]
	v_mov_b32_e32 v6, 0
	s_mov_b32 s10, exec_lo
	s_waitcnt vmcnt(1) lgkmcnt(1)
	v_and_b32_e32 v2, 0xff, v13
	s_delay_alu instid0(VALU_DEP_1)
	v_cmpx_ne_u16_e32 0, v2
	s_cbranch_execz .LBB371_2235
; %bb.2228:                             ;   in Loop: Header=BB371_1567 Depth=1
	v_bfrev_b32_e32 v5, 1
	s_mov_b32 s12, exec_lo
	v_cmpx_ne_u16_e32 0x80, v2
	s_cbranch_execz .LBB371_2234
; %bb.2229:                             ;   in Loop: Header=BB371_1567 Depth=1
	v_and_b32_e32 v15, 0x7f, v13
	v_mov_b32_e32 v5, 0x7fc02000
	s_mov_b32 s13, exec_lo
	s_delay_alu instid0(VALU_DEP_2)
	v_cmpx_ne_u32_e32 0x7f, v15
	s_cbranch_execz .LBB371_2233
; %bb.2230:                             ;   in Loop: Header=BB371_1567 Depth=1
	v_lshrrev_b32_e32 v2, 3, v15
	v_cmp_gt_u32_e64 s0, 8, v15
	v_dual_mov_b32 v16, v14 :: v_dual_mov_b32 v15, v13
	s_delay_alu instid0(VALU_DEP_2)
	s_and_saveexec_b32 s15, s0
; %bb.2231:                             ;   in Loop: Header=BB371_1567 Depth=1
	v_and_b32_e32 v2, 7, v13
	s_delay_alu instid0(VALU_DEP_1) | instskip(NEXT) | instid1(VALU_DEP_1)
	v_clz_i32_u32_e32 v2, v2
	v_min_u32_e32 v2, 32, v2
	s_delay_alu instid0(VALU_DEP_1) | instskip(SKIP_1) | instid1(VALU_DEP_2)
	v_subrev_nc_u32_e32 v5, 28, v2
	v_sub_nc_u32_e32 v2, 29, v2
	v_lshlrev_b64 v[15:16], v5, v[13:14]
; %bb.2232:                             ;   in Loop: Header=BB371_1567 Depth=1
	s_or_b32 exec_lo, exec_lo, s15
	v_lshlrev_b32_e32 v5, 8, v13
	s_delay_alu instid0(VALU_DEP_3) | instskip(NEXT) | instid1(VALU_DEP_3)
	v_lshl_add_u32 v2, v2, 10, 0x2000
	v_lshlrev_b32_e32 v15, 7, v15
	s_delay_alu instid0(VALU_DEP_2) | instskip(NEXT) | instid1(VALU_DEP_1)
	v_and_or_b32 v2, 0x8000, v5, v2
	v_and_or_b32 v2, 0x380, v15, v2
	s_delay_alu instid0(VALU_DEP_1)
	v_cvt_f32_f16_e32 v5, v2
.LBB371_2233:                           ;   in Loop: Header=BB371_1567 Depth=1
	s_or_b32 exec_lo, exec_lo, s13
.LBB371_2234:                           ;   in Loop: Header=BB371_1567 Depth=1
	s_delay_alu instid0(SALU_CYCLE_1)
	s_or_b32 exec_lo, exec_lo, s12
.LBB371_2235:                           ;   in Loop: Header=BB371_1567 Depth=1
	s_delay_alu instid0(SALU_CYCLE_1) | instskip(SKIP_2) | instid1(VALU_DEP_1)
	s_or_b32 exec_lo, exec_lo, s10
	v_lshrrev_b16 v2, 8, v13
	s_mov_b32 s10, exec_lo
	v_cmpx_ne_u16_e32 0, v2
	s_cbranch_execz .LBB371_2243
; %bb.2236:                             ;   in Loop: Header=BB371_1567 Depth=1
	v_bfrev_b32_e32 v6, 1
	s_mov_b32 s12, exec_lo
	v_cmpx_ne_u16_e32 0x80, v2
	s_cbranch_execz .LBB371_2242
; %bb.2237:                             ;   in Loop: Header=BB371_1567 Depth=1
	v_and_b32_e32 v22, 0xffff, v2
	v_mov_b32_e32 v6, 0x7fc02000
	s_mov_b32 s13, exec_lo
	s_delay_alu instid0(VALU_DEP_2) | instskip(NEXT) | instid1(VALU_DEP_1)
	v_and_b32_e32 v15, 0x7f, v22
	v_cmpx_ne_u32_e32 0x7f, v15
	s_cbranch_execz .LBB371_2241
; %bb.2238:                             ;   in Loop: Header=BB371_1567 Depth=1
	v_and_b32_e32 v2, 7, v22
	v_lshrrev_b32_e32 v6, 3, v15
	v_cmp_gt_u32_e64 s0, 8, v15
	s_delay_alu instid0(VALU_DEP_3) | instskip(NEXT) | instid1(VALU_DEP_2)
	v_dual_mov_b32 v16, v3 :: v_dual_mov_b32 v15, v2
	s_and_saveexec_b32 s15, s0
; %bb.2239:                             ;   in Loop: Header=BB371_1567 Depth=1
	v_clz_i32_u32_e32 v6, v2
	s_delay_alu instid0(VALU_DEP_1) | instskip(NEXT) | instid1(VALU_DEP_1)
	v_min_u32_e32 v6, 32, v6
	v_subrev_nc_u32_e32 v15, 28, v6
	v_sub_nc_u32_e32 v6, 29, v6
	s_delay_alu instid0(VALU_DEP_2) | instskip(NEXT) | instid1(VALU_DEP_1)
	v_lshlrev_b64 v[15:16], v15, v[2:3]
	v_and_b32_e32 v15, 7, v15
; %bb.2240:                             ;   in Loop: Header=BB371_1567 Depth=1
	s_or_b32 exec_lo, exec_lo, s15
	v_lshlrev_b32_e32 v2, 8, v22
	v_lshl_add_u32 v6, v6, 10, 0x2000
	s_delay_alu instid0(VALU_DEP_1) | instskip(NEXT) | instid1(VALU_DEP_1)
	v_and_or_b32 v2, 0x8000, v2, v6
	v_lshl_or_b32 v2, v15, 7, v2
	s_delay_alu instid0(VALU_DEP_1)
	v_cvt_f32_f16_e32 v6, v2
.LBB371_2241:                           ;   in Loop: Header=BB371_1567 Depth=1
	s_or_b32 exec_lo, exec_lo, s13
.LBB371_2242:                           ;   in Loop: Header=BB371_1567 Depth=1
	s_delay_alu instid0(SALU_CYCLE_1)
	s_or_b32 exec_lo, exec_lo, s12
.LBB371_2243:                           ;   in Loop: Header=BB371_1567 Depth=1
	s_delay_alu instid0(SALU_CYCLE_1) | instskip(SKIP_3) | instid1(VALU_DEP_2)
	s_or_b32 exec_lo, exec_lo, s10
	v_lshrrev_b32_e32 v34, 16, v13
	v_mov_b32_e32 v22, 0
	s_mov_b32 s10, exec_lo
	v_dual_mov_b32 v23, 0 :: v_dual_and_b32 v2, 0xff, v34
	s_delay_alu instid0(VALU_DEP_1)
	v_cmpx_ne_u16_e32 0, v2
	s_cbranch_execz .LBB371_2251
; %bb.2244:                             ;   in Loop: Header=BB371_1567 Depth=1
	v_bfrev_b32_e32 v22, 1
	s_mov_b32 s12, exec_lo
	v_cmpx_ne_u16_e32 0x80, v2
	s_cbranch_execz .LBB371_2250
; %bb.2245:                             ;   in Loop: Header=BB371_1567 Depth=1
	v_bfe_u32 v15, v13, 16, 7
	v_mov_b32_e32 v22, 0x7fc02000
	s_mov_b32 s13, exec_lo
	s_delay_alu instid0(VALU_DEP_2)
	v_cmpx_ne_u32_e32 0x7f, v15
	s_cbranch_execz .LBB371_2249
; %bb.2246:                             ;   in Loop: Header=BB371_1567 Depth=1
	v_and_b32_e32 v2, 7, v34
	v_lshrrev_b32_e32 v22, 3, v15
	v_cmp_gt_u32_e64 s0, 8, v15
	s_delay_alu instid0(VALU_DEP_3) | instskip(NEXT) | instid1(VALU_DEP_2)
	v_dual_mov_b32 v16, v3 :: v_dual_mov_b32 v15, v2
	s_and_saveexec_b32 s15, s0
; %bb.2247:                             ;   in Loop: Header=BB371_1567 Depth=1
	v_clz_i32_u32_e32 v15, v2
	s_delay_alu instid0(VALU_DEP_1) | instskip(NEXT) | instid1(VALU_DEP_1)
	v_min_u32_e32 v22, 32, v15
	v_subrev_nc_u32_e32 v15, 28, v22
	v_sub_nc_u32_e32 v22, 29, v22
	s_delay_alu instid0(VALU_DEP_2) | instskip(NEXT) | instid1(VALU_DEP_1)
	v_lshlrev_b64 v[15:16], v15, v[2:3]
	v_and_b32_e32 v15, 7, v15
; %bb.2248:                             ;   in Loop: Header=BB371_1567 Depth=1
	s_or_b32 exec_lo, exec_lo, s15
	v_lshlrev_b32_e32 v2, 8, v34
	v_lshl_add_u32 v16, v22, 10, 0x2000
	s_delay_alu instid0(VALU_DEP_1) | instskip(NEXT) | instid1(VALU_DEP_1)
	v_and_or_b32 v2, 0x8000, v2, v16
	v_lshl_or_b32 v2, v15, 7, v2
	s_delay_alu instid0(VALU_DEP_1)
	v_cvt_f32_f16_e32 v22, v2
.LBB371_2249:                           ;   in Loop: Header=BB371_1567 Depth=1
	s_or_b32 exec_lo, exec_lo, s13
.LBB371_2250:                           ;   in Loop: Header=BB371_1567 Depth=1
	s_delay_alu instid0(SALU_CYCLE_1)
	s_or_b32 exec_lo, exec_lo, s12
.LBB371_2251:                           ;   in Loop: Header=BB371_1567 Depth=1
	s_delay_alu instid0(SALU_CYCLE_1) | instskip(NEXT) | instid1(SALU_CYCLE_1)
	s_or_b32 exec_lo, exec_lo, s10
	s_mov_b32 s10, exec_lo
	v_cmpx_lt_u32_e32 0xffffff, v13
	s_cbranch_execz .LBB371_2259
; %bb.2252:                             ;   in Loop: Header=BB371_1567 Depth=1
	v_lshrrev_b32_e32 v34, 24, v13
	v_bfrev_b32_e32 v23, 1
	s_mov_b32 s12, exec_lo
	s_delay_alu instid0(VALU_DEP_2)
	v_cmpx_ne_u32_e32 0x80, v34
	s_cbranch_execz .LBB371_2258
; %bb.2253:                             ;   in Loop: Header=BB371_1567 Depth=1
	v_and_b32_e32 v15, 0x7f, v34
	v_mov_b32_e32 v23, 0x7fc02000
	s_mov_b32 s13, exec_lo
	s_delay_alu instid0(VALU_DEP_2)
	v_cmpx_ne_u32_e32 0x7f, v15
	s_cbranch_execz .LBB371_2257
; %bb.2254:                             ;   in Loop: Header=BB371_1567 Depth=1
	v_and_b32_e32 v2, 7, v34
	v_lshrrev_b32_e32 v23, 3, v15
	v_cmp_gt_u32_e64 s0, 8, v15
	s_delay_alu instid0(VALU_DEP_3) | instskip(NEXT) | instid1(VALU_DEP_2)
	v_dual_mov_b32 v16, v3 :: v_dual_mov_b32 v15, v2
	s_and_saveexec_b32 s15, s0
; %bb.2255:                             ;   in Loop: Header=BB371_1567 Depth=1
	v_clz_i32_u32_e32 v15, v2
	s_delay_alu instid0(VALU_DEP_1) | instskip(NEXT) | instid1(VALU_DEP_1)
	v_min_u32_e32 v23, 32, v15
	v_subrev_nc_u32_e32 v15, 28, v23
	v_sub_nc_u32_e32 v23, 29, v23
	s_delay_alu instid0(VALU_DEP_2) | instskip(NEXT) | instid1(VALU_DEP_1)
	v_lshlrev_b64 v[15:16], v15, v[2:3]
	v_and_b32_e32 v15, 7, v15
; %bb.2256:                             ;   in Loop: Header=BB371_1567 Depth=1
	s_or_b32 exec_lo, exec_lo, s15
	v_lshlrev_b32_e32 v2, 8, v34
	v_lshl_add_u32 v16, v23, 10, 0x2000
	s_delay_alu instid0(VALU_DEP_1) | instskip(NEXT) | instid1(VALU_DEP_1)
	v_and_or_b32 v2, 0x8000, v2, v16
	v_lshl_or_b32 v2, v15, 7, v2
	s_delay_alu instid0(VALU_DEP_1)
	v_cvt_f32_f16_e32 v23, v2
.LBB371_2257:                           ;   in Loop: Header=BB371_1567 Depth=1
	s_or_b32 exec_lo, exec_lo, s13
.LBB371_2258:                           ;   in Loop: Header=BB371_1567 Depth=1
	s_delay_alu instid0(SALU_CYCLE_1)
	s_or_b32 exec_lo, exec_lo, s12
.LBB371_2259:                           ;   in Loop: Header=BB371_1567 Depth=1
	s_delay_alu instid0(SALU_CYCLE_1) | instskip(SKIP_3) | instid1(VALU_DEP_2)
	s_or_b32 exec_lo, exec_lo, s10
	v_dual_mov_b32 v2, v14 :: v_dual_and_b32 v15, 0xff, v14
	v_dual_mov_b32 v35, 0 :: v_dual_mov_b32 v34, 0
	s_mov_b32 s10, exec_lo
	v_cmpx_ne_u16_e32 0, v15
	s_cbranch_execz .LBB371_2267
; %bb.2260:                             ;   in Loop: Header=BB371_1567 Depth=1
	v_bfrev_b32_e32 v34, 1
	s_mov_b32 s12, exec_lo
	v_cmpx_ne_u16_e32 0x80, v15
	s_cbranch_execz .LBB371_2266
; %bb.2261:                             ;   in Loop: Header=BB371_1567 Depth=1
	v_and_b32_e32 v15, 0x7f, v14
	v_mov_b32_e32 v34, 0x7fc02000
	s_mov_b32 s13, exec_lo
	s_delay_alu instid0(VALU_DEP_2)
	v_cmpx_ne_u32_e32 0x7f, v15
	s_cbranch_execz .LBB371_2265
; %bb.2262:                             ;   in Loop: Header=BB371_1567 Depth=1
	v_lshrrev_b32_e32 v34, 3, v15
	v_cmp_gt_u32_e64 s0, 8, v15
	v_dual_mov_b32 v16, v3 :: v_dual_mov_b32 v15, v2
	s_delay_alu instid0(VALU_DEP_2)
	s_and_saveexec_b32 s15, s0
; %bb.2263:                             ;   in Loop: Header=BB371_1567 Depth=1
	v_and_b32_e32 v15, 7, v14
	s_delay_alu instid0(VALU_DEP_1) | instskip(NEXT) | instid1(VALU_DEP_1)
	v_clz_i32_u32_e32 v15, v15
	v_min_u32_e32 v34, 32, v15
	s_delay_alu instid0(VALU_DEP_1) | instskip(SKIP_1) | instid1(VALU_DEP_2)
	v_subrev_nc_u32_e32 v15, 28, v34
	v_sub_nc_u32_e32 v34, 29, v34
	v_lshlrev_b64 v[15:16], v15, v[2:3]
; %bb.2264:                             ;   in Loop: Header=BB371_1567 Depth=1
	s_or_b32 exec_lo, exec_lo, s15
	v_lshlrev_b32_e32 v16, 8, v14
	s_delay_alu instid0(VALU_DEP_3) | instskip(NEXT) | instid1(VALU_DEP_3)
	v_lshl_add_u32 v34, v34, 10, 0x2000
	v_lshlrev_b32_e32 v15, 7, v15
	s_delay_alu instid0(VALU_DEP_2) | instskip(NEXT) | instid1(VALU_DEP_1)
	v_and_or_b32 v16, 0x8000, v16, v34
	v_and_or_b32 v15, 0x380, v15, v16
	s_delay_alu instid0(VALU_DEP_1)
	v_cvt_f32_f16_e32 v34, v15
.LBB371_2265:                           ;   in Loop: Header=BB371_1567 Depth=1
	s_or_b32 exec_lo, exec_lo, s13
.LBB371_2266:                           ;   in Loop: Header=BB371_1567 Depth=1
	s_delay_alu instid0(SALU_CYCLE_1)
	s_or_b32 exec_lo, exec_lo, s12
.LBB371_2267:                           ;   in Loop: Header=BB371_1567 Depth=1
	s_delay_alu instid0(SALU_CYCLE_1) | instskip(SKIP_2) | instid1(VALU_DEP_1)
	s_or_b32 exec_lo, exec_lo, s10
	v_lshrrev_b16 v2, 8, v2
	s_mov_b32 s10, exec_lo
	v_cmpx_ne_u16_e32 0, v2
	s_cbranch_execz .LBB371_2275
; %bb.2268:                             ;   in Loop: Header=BB371_1567 Depth=1
	v_bfrev_b32_e32 v35, 1
	s_mov_b32 s12, exec_lo
	v_cmpx_ne_u16_e32 0x80, v2
	s_cbranch_execz .LBB371_2274
; %bb.2269:                             ;   in Loop: Header=BB371_1567 Depth=1
	v_and_b32_e32 v36, 0xffff, v2
	v_mov_b32_e32 v35, 0x7fc02000
	s_mov_b32 s13, exec_lo
	s_delay_alu instid0(VALU_DEP_2) | instskip(NEXT) | instid1(VALU_DEP_1)
	v_and_b32_e32 v15, 0x7f, v36
	v_cmpx_ne_u32_e32 0x7f, v15
	s_cbranch_execz .LBB371_2273
; %bb.2270:                             ;   in Loop: Header=BB371_1567 Depth=1
	v_and_b32_e32 v2, 7, v36
	v_lshrrev_b32_e32 v35, 3, v15
	v_cmp_gt_u32_e64 s0, 8, v15
	s_delay_alu instid0(VALU_DEP_3) | instskip(NEXT) | instid1(VALU_DEP_2)
	v_dual_mov_b32 v16, v3 :: v_dual_mov_b32 v15, v2
	s_and_saveexec_b32 s15, s0
; %bb.2271:                             ;   in Loop: Header=BB371_1567 Depth=1
	v_clz_i32_u32_e32 v15, v2
	s_delay_alu instid0(VALU_DEP_1) | instskip(NEXT) | instid1(VALU_DEP_1)
	v_min_u32_e32 v35, 32, v15
	v_subrev_nc_u32_e32 v15, 28, v35
	v_sub_nc_u32_e32 v35, 29, v35
	s_delay_alu instid0(VALU_DEP_2) | instskip(NEXT) | instid1(VALU_DEP_1)
	v_lshlrev_b64 v[15:16], v15, v[2:3]
	v_and_b32_e32 v15, 7, v15
; %bb.2272:                             ;   in Loop: Header=BB371_1567 Depth=1
	s_or_b32 exec_lo, exec_lo, s15
	v_lshlrev_b32_e32 v2, 8, v36
	v_lshl_add_u32 v16, v35, 10, 0x2000
	s_delay_alu instid0(VALU_DEP_1) | instskip(NEXT) | instid1(VALU_DEP_1)
	v_and_or_b32 v2, 0x8000, v2, v16
	v_lshl_or_b32 v2, v15, 7, v2
	s_delay_alu instid0(VALU_DEP_1)
	v_cvt_f32_f16_e32 v35, v2
.LBB371_2273:                           ;   in Loop: Header=BB371_1567 Depth=1
	s_or_b32 exec_lo, exec_lo, s13
.LBB371_2274:                           ;   in Loop: Header=BB371_1567 Depth=1
	s_delay_alu instid0(SALU_CYCLE_1)
	s_or_b32 exec_lo, exec_lo, s12
.LBB371_2275:                           ;   in Loop: Header=BB371_1567 Depth=1
	s_delay_alu instid0(SALU_CYCLE_1) | instskip(SKIP_3) | instid1(VALU_DEP_2)
	s_or_b32 exec_lo, exec_lo, s10
	v_lshrrev_b32_e32 v160, 16, v14
	v_mov_b32_e32 v36, 0
	s_mov_b32 s10, exec_lo
	v_dual_mov_b32 v15, 0 :: v_dual_and_b32 v2, 0xff, v160
	s_delay_alu instid0(VALU_DEP_1)
	v_cmpx_ne_u16_e32 0, v2
	s_cbranch_execz .LBB371_2283
; %bb.2276:                             ;   in Loop: Header=BB371_1567 Depth=1
	v_bfrev_b32_e32 v15, 1
	s_mov_b32 s12, exec_lo
	v_cmpx_ne_u16_e32 0x80, v2
	s_cbranch_execz .LBB371_2282
; %bb.2277:                             ;   in Loop: Header=BB371_1567 Depth=1
	v_bfe_u32 v16, v14, 16, 7
	v_mov_b32_e32 v15, 0x7fc02000
	s_mov_b32 s13, exec_lo
	s_delay_alu instid0(VALU_DEP_2)
	v_cmpx_ne_u32_e32 0x7f, v16
	s_cbranch_execz .LBB371_2281
; %bb.2278:                             ;   in Loop: Header=BB371_1567 Depth=1
	v_and_b32_e32 v2, 7, v160
	v_lshrrev_b32_e32 v161, 3, v16
	v_cmp_gt_u32_e64 s0, 8, v16
	s_delay_alu instid0(VALU_DEP_3) | instskip(NEXT) | instid1(VALU_DEP_2)
	v_dual_mov_b32 v16, v3 :: v_dual_mov_b32 v15, v2
	s_and_saveexec_b32 s15, s0
; %bb.2279:                             ;   in Loop: Header=BB371_1567 Depth=1
	v_clz_i32_u32_e32 v15, v2
	s_delay_alu instid0(VALU_DEP_1) | instskip(NEXT) | instid1(VALU_DEP_1)
	v_min_u32_e32 v161, 32, v15
	v_subrev_nc_u32_e32 v15, 28, v161
	v_sub_nc_u32_e32 v161, 29, v161
	s_delay_alu instid0(VALU_DEP_2) | instskip(NEXT) | instid1(VALU_DEP_1)
	v_lshlrev_b64 v[15:16], v15, v[2:3]
	v_and_b32_e32 v15, 7, v15
; %bb.2280:                             ;   in Loop: Header=BB371_1567 Depth=1
	s_or_b32 exec_lo, exec_lo, s15
	v_lshlrev_b32_e32 v2, 8, v160
	v_lshl_add_u32 v16, v161, 10, 0x2000
	s_delay_alu instid0(VALU_DEP_1) | instskip(NEXT) | instid1(VALU_DEP_1)
	v_and_or_b32 v2, 0x8000, v2, v16
	v_lshl_or_b32 v2, v15, 7, v2
	s_delay_alu instid0(VALU_DEP_1)
	v_cvt_f32_f16_e32 v15, v2
.LBB371_2281:                           ;   in Loop: Header=BB371_1567 Depth=1
	s_or_b32 exec_lo, exec_lo, s13
.LBB371_2282:                           ;   in Loop: Header=BB371_1567 Depth=1
	s_delay_alu instid0(SALU_CYCLE_1)
	s_or_b32 exec_lo, exec_lo, s12
.LBB371_2283:                           ;   in Loop: Header=BB371_1567 Depth=1
	s_delay_alu instid0(SALU_CYCLE_1) | instskip(NEXT) | instid1(SALU_CYCLE_1)
	s_or_b32 exec_lo, exec_lo, s10
	s_mov_b32 s10, exec_lo
	v_cmpx_lt_u64_e64 s[8:9], v[13:14]
	s_cbranch_execz .LBB371_2291
; %bb.2284:                             ;   in Loop: Header=BB371_1567 Depth=1
	v_lshrrev_b32_e32 v16, 24, v14
	v_bfrev_b32_e32 v36, 1
	s_mov_b32 s12, exec_lo
	s_delay_alu instid0(VALU_DEP_2)
	v_cmpx_ne_u32_e32 0x80, v16
	s_cbranch_execz .LBB371_2290
; %bb.2285:                             ;   in Loop: Header=BB371_1567 Depth=1
	v_and_b32_e32 v13, 0x7f, v16
	v_mov_b32_e32 v36, 0x7fc02000
	s_mov_b32 s13, exec_lo
	s_delay_alu instid0(VALU_DEP_2)
	v_cmpx_ne_u32_e32 0x7f, v13
	s_cbranch_execz .LBB371_2289
; %bb.2286:                             ;   in Loop: Header=BB371_1567 Depth=1
	v_and_b32_e32 v2, 7, v16
	v_lshrrev_b32_e32 v36, 3, v13
	v_cmp_gt_u32_e64 s0, 8, v13
	s_delay_alu instid0(VALU_DEP_3) | instskip(NEXT) | instid1(VALU_DEP_2)
	v_dual_mov_b32 v14, v3 :: v_dual_mov_b32 v13, v2
	s_and_saveexec_b32 s15, s0
; %bb.2287:                             ;   in Loop: Header=BB371_1567 Depth=1
	v_clz_i32_u32_e32 v13, v2
	s_delay_alu instid0(VALU_DEP_1) | instskip(NEXT) | instid1(VALU_DEP_1)
	v_min_u32_e32 v36, 32, v13
	v_subrev_nc_u32_e32 v13, 28, v36
	v_sub_nc_u32_e32 v36, 29, v36
	s_delay_alu instid0(VALU_DEP_2) | instskip(NEXT) | instid1(VALU_DEP_1)
	v_lshlrev_b64 v[13:14], v13, v[2:3]
	v_and_b32_e32 v13, 7, v13
; %bb.2288:                             ;   in Loop: Header=BB371_1567 Depth=1
	s_or_b32 exec_lo, exec_lo, s15
	v_lshlrev_b32_e32 v2, 8, v16
	v_lshl_add_u32 v14, v36, 10, 0x2000
	s_delay_alu instid0(VALU_DEP_1) | instskip(NEXT) | instid1(VALU_DEP_1)
	v_and_or_b32 v2, 0x8000, v2, v14
	v_lshl_or_b32 v2, v13, 7, v2
	s_delay_alu instid0(VALU_DEP_1)
	v_cvt_f32_f16_e32 v36, v2
.LBB371_2289:                           ;   in Loop: Header=BB371_1567 Depth=1
	s_or_b32 exec_lo, exec_lo, s13
.LBB371_2290:                           ;   in Loop: Header=BB371_1567 Depth=1
	s_delay_alu instid0(SALU_CYCLE_1)
	s_or_b32 exec_lo, exec_lo, s12
.LBB371_2291:                           ;   in Loop: Header=BB371_1567 Depth=1
	s_delay_alu instid0(SALU_CYCLE_1)
	s_or_b32 exec_lo, exec_lo, s10
	s_waitcnt vmcnt(0) lgkmcnt(0)
	v_fma_mixlo_f16 v6, v4, v6, 0
	v_fma_mixlo_f16 v2, v4, v23, 0
	;; [unrolled: 1-line block ×5, first 2 shown]
	v_lshlrev_b32_e32 v14, 16, v6
	v_fma_mixlo_f16 v6, v4, v5, 0
	v_fma_mixlo_f16 v23, v4, v36, 0
	v_fma_mixlo_f16 v5, v4, v15, 0
	v_lshlrev_b32_e32 v2, 16, v2
	v_and_b32_e32 v13, 0xffff, v13
	v_and_b32_e32 v4, 0xffff, v6
	v_lshlrev_b32_e32 v15, 16, v16
	v_and_b32_e32 v16, 0xffff, v22
	v_lshlrev_b32_e32 v22, 16, v23
	v_and_b32_e32 v23, 0xffff, v5
	v_or_b32_e32 v6, v2, v13
	v_or_b32_e32 v13, v14, v4
	v_or_b32_e32 v2, v15, v16
	s_delay_alu instid0(VALU_DEP_4)
	v_or_b32_e32 v4, v22, v23
	s_and_saveexec_b32 s10, vcc_lo
	s_cbranch_execz .LBB371_2293
; %bb.2292:                             ;   in Loop: Header=BB371_1567 Depth=1
	v_cmp_lt_i32_e64 s0, v17, v37
	v_lshrrev_b32_e32 v14, 16, v13
	v_lshrrev_b32_e32 v15, 16, v6
	;; [unrolled: 1-line block ×4, first 2 shown]
	v_cndmask_b32_e64 v13, 0, v13, s0
	v_cmp_lt_i32_e64 s0, v117, v87
	s_delay_alu instid0(VALU_DEP_1) | instskip(SKIP_1) | instid1(VALU_DEP_2)
	v_cndmask_b32_e64 v14, 0, v14, s0
	v_cmp_lt_i32_e64 s0, v116, v87
	v_perm_b32 v13, v14, v13, 0x5040100
	s_delay_alu instid0(VALU_DEP_2) | instskip(SKIP_1) | instid1(VALU_DEP_1)
	v_cndmask_b32_e64 v15, 0, v15, s0
	v_cmp_lt_i32_e64 s0, v115, v37
	v_cndmask_b32_e64 v6, 0, v6, s0
	v_cmp_lt_i32_e64 s0, v114, v87
	s_delay_alu instid0(VALU_DEP_2) | instskip(NEXT) | instid1(VALU_DEP_2)
	v_perm_b32 v6, v15, v6, 0x5040100
	v_cndmask_b32_e64 v16, 0, v16, s0
	v_cmp_lt_i32_e64 s0, v113, v37
	s_delay_alu instid0(VALU_DEP_1) | instskip(SKIP_1) | instid1(VALU_DEP_2)
	v_cndmask_b32_e64 v2, 0, v2, s0
	v_cmp_lt_i32_e64 s0, v112, v87
	v_perm_b32 v2, v16, v2, 0x5040100
	s_delay_alu instid0(VALU_DEP_2) | instskip(SKIP_1) | instid1(VALU_DEP_1)
	v_cndmask_b32_e64 v4, 0, v4, s0
	v_cmp_lt_i32_e64 s0, v103, v37
	v_cndmask_b32_e64 v5, 0, v5, s0
	s_delay_alu instid0(VALU_DEP_1)
	v_perm_b32 v4, v4, v5, 0x5040100
.LBB371_2293:                           ;   in Loop: Header=BB371_1567 Depth=1
	s_or_b32 exec_lo, exec_lo, s10
	;;#ASMSTART
	v_pk_mul_f16 v5, v102, v13;

	;;#ASMEND
	;;#ASMSTART
	v_pk_mul_f16 v6, v100, v6;

	;;#ASMEND
	;;#ASMSTART
	v_pk_mul_f16 v2, v98, v2;

	;;#ASMEND
	;;#ASMSTART
	v_pk_mul_f16 v4, v97, v4;

	;;#ASMEND
	;;#ASMSTART
	v_pk_add_f16 v5, v5, v6;

	;;#ASMEND
	;;#ASMSTART
	v_pk_add_f16 v2, v5, v2;

	;;#ASMEND
	;;#ASMSTART
	v_pk_add_f16 v2, v2, v4;

	;;#ASMEND
	v_dual_mov_b32 v5, 0 :: v_dual_and_b32 v4, 0xffff, v2
	v_lshrrev_b32_e32 v2, 16, v2
	;;#ASMSTART
	v_cvt_f32_f16 v160, v4;
	;;#ASMEND
	;;#ASMSTART
	v_cvt_f32_f16 v161, v2;
	;;#ASMEND
	flat_load_b64 v[13:14], v[11:12] offset:2816
	flat_load_b32 v4, v[26:27]
	v_mov_b32_e32 v6, 0
	s_mov_b32 s10, exec_lo
	s_waitcnt vmcnt(1) lgkmcnt(1)
	v_and_b32_e32 v2, 0xff, v13
	s_delay_alu instid0(VALU_DEP_1)
	v_cmpx_ne_u16_e32 0, v2
	s_cbranch_execz .LBB371_2301
; %bb.2294:                             ;   in Loop: Header=BB371_1567 Depth=1
	v_bfrev_b32_e32 v5, 1
	s_mov_b32 s12, exec_lo
	v_cmpx_ne_u16_e32 0x80, v2
	s_cbranch_execz .LBB371_2300
; %bb.2295:                             ;   in Loop: Header=BB371_1567 Depth=1
	v_and_b32_e32 v15, 0x7f, v13
	v_mov_b32_e32 v5, 0x7fc02000
	s_mov_b32 s13, exec_lo
	s_delay_alu instid0(VALU_DEP_2)
	v_cmpx_ne_u32_e32 0x7f, v15
	s_cbranch_execz .LBB371_2299
; %bb.2296:                             ;   in Loop: Header=BB371_1567 Depth=1
	v_lshrrev_b32_e32 v2, 3, v15
	v_cmp_gt_u32_e64 s0, 8, v15
	v_dual_mov_b32 v16, v14 :: v_dual_mov_b32 v15, v13
	s_delay_alu instid0(VALU_DEP_2)
	s_and_saveexec_b32 s15, s0
; %bb.2297:                             ;   in Loop: Header=BB371_1567 Depth=1
	v_and_b32_e32 v2, 7, v13
	s_delay_alu instid0(VALU_DEP_1) | instskip(NEXT) | instid1(VALU_DEP_1)
	v_clz_i32_u32_e32 v2, v2
	v_min_u32_e32 v2, 32, v2
	s_delay_alu instid0(VALU_DEP_1) | instskip(SKIP_1) | instid1(VALU_DEP_2)
	v_subrev_nc_u32_e32 v5, 28, v2
	v_sub_nc_u32_e32 v2, 29, v2
	v_lshlrev_b64 v[15:16], v5, v[13:14]
; %bb.2298:                             ;   in Loop: Header=BB371_1567 Depth=1
	s_or_b32 exec_lo, exec_lo, s15
	v_lshlrev_b32_e32 v5, 8, v13
	s_delay_alu instid0(VALU_DEP_3) | instskip(NEXT) | instid1(VALU_DEP_3)
	v_lshl_add_u32 v2, v2, 10, 0x2000
	v_lshlrev_b32_e32 v15, 7, v15
	s_delay_alu instid0(VALU_DEP_2) | instskip(NEXT) | instid1(VALU_DEP_1)
	v_and_or_b32 v2, 0x8000, v5, v2
	v_and_or_b32 v2, 0x380, v15, v2
	s_delay_alu instid0(VALU_DEP_1)
	v_cvt_f32_f16_e32 v5, v2
.LBB371_2299:                           ;   in Loop: Header=BB371_1567 Depth=1
	s_or_b32 exec_lo, exec_lo, s13
.LBB371_2300:                           ;   in Loop: Header=BB371_1567 Depth=1
	s_delay_alu instid0(SALU_CYCLE_1)
	s_or_b32 exec_lo, exec_lo, s12
.LBB371_2301:                           ;   in Loop: Header=BB371_1567 Depth=1
	s_delay_alu instid0(SALU_CYCLE_1) | instskip(SKIP_2) | instid1(VALU_DEP_1)
	s_or_b32 exec_lo, exec_lo, s10
	v_lshrrev_b16 v2, 8, v13
	s_mov_b32 s10, exec_lo
	v_cmpx_ne_u16_e32 0, v2
	s_cbranch_execz .LBB371_2309
; %bb.2302:                             ;   in Loop: Header=BB371_1567 Depth=1
	v_bfrev_b32_e32 v6, 1
	s_mov_b32 s12, exec_lo
	v_cmpx_ne_u16_e32 0x80, v2
	s_cbranch_execz .LBB371_2308
; %bb.2303:                             ;   in Loop: Header=BB371_1567 Depth=1
	v_and_b32_e32 v22, 0xffff, v2
	v_mov_b32_e32 v6, 0x7fc02000
	s_mov_b32 s13, exec_lo
	s_delay_alu instid0(VALU_DEP_2) | instskip(NEXT) | instid1(VALU_DEP_1)
	v_and_b32_e32 v15, 0x7f, v22
	v_cmpx_ne_u32_e32 0x7f, v15
	s_cbranch_execz .LBB371_2307
; %bb.2304:                             ;   in Loop: Header=BB371_1567 Depth=1
	v_and_b32_e32 v2, 7, v22
	v_lshrrev_b32_e32 v6, 3, v15
	v_cmp_gt_u32_e64 s0, 8, v15
	s_delay_alu instid0(VALU_DEP_3) | instskip(NEXT) | instid1(VALU_DEP_2)
	v_dual_mov_b32 v16, v3 :: v_dual_mov_b32 v15, v2
	s_and_saveexec_b32 s15, s0
; %bb.2305:                             ;   in Loop: Header=BB371_1567 Depth=1
	v_clz_i32_u32_e32 v6, v2
	s_delay_alu instid0(VALU_DEP_1) | instskip(NEXT) | instid1(VALU_DEP_1)
	v_min_u32_e32 v6, 32, v6
	v_subrev_nc_u32_e32 v15, 28, v6
	v_sub_nc_u32_e32 v6, 29, v6
	s_delay_alu instid0(VALU_DEP_2) | instskip(NEXT) | instid1(VALU_DEP_1)
	v_lshlrev_b64 v[15:16], v15, v[2:3]
	v_and_b32_e32 v15, 7, v15
; %bb.2306:                             ;   in Loop: Header=BB371_1567 Depth=1
	s_or_b32 exec_lo, exec_lo, s15
	v_lshlrev_b32_e32 v2, 8, v22
	v_lshl_add_u32 v6, v6, 10, 0x2000
	s_delay_alu instid0(VALU_DEP_1) | instskip(NEXT) | instid1(VALU_DEP_1)
	v_and_or_b32 v2, 0x8000, v2, v6
	v_lshl_or_b32 v2, v15, 7, v2
	s_delay_alu instid0(VALU_DEP_1)
	v_cvt_f32_f16_e32 v6, v2
.LBB371_2307:                           ;   in Loop: Header=BB371_1567 Depth=1
	s_or_b32 exec_lo, exec_lo, s13
.LBB371_2308:                           ;   in Loop: Header=BB371_1567 Depth=1
	s_delay_alu instid0(SALU_CYCLE_1)
	s_or_b32 exec_lo, exec_lo, s12
.LBB371_2309:                           ;   in Loop: Header=BB371_1567 Depth=1
	s_delay_alu instid0(SALU_CYCLE_1) | instskip(SKIP_3) | instid1(VALU_DEP_2)
	s_or_b32 exec_lo, exec_lo, s10
	v_lshrrev_b32_e32 v34, 16, v13
	v_mov_b32_e32 v22, 0
	s_mov_b32 s10, exec_lo
	v_dual_mov_b32 v23, 0 :: v_dual_and_b32 v2, 0xff, v34
	s_delay_alu instid0(VALU_DEP_1)
	v_cmpx_ne_u16_e32 0, v2
	s_cbranch_execz .LBB371_2317
; %bb.2310:                             ;   in Loop: Header=BB371_1567 Depth=1
	v_bfrev_b32_e32 v22, 1
	s_mov_b32 s12, exec_lo
	v_cmpx_ne_u16_e32 0x80, v2
	s_cbranch_execz .LBB371_2316
; %bb.2311:                             ;   in Loop: Header=BB371_1567 Depth=1
	v_bfe_u32 v15, v13, 16, 7
	v_mov_b32_e32 v22, 0x7fc02000
	s_mov_b32 s13, exec_lo
	s_delay_alu instid0(VALU_DEP_2)
	v_cmpx_ne_u32_e32 0x7f, v15
	s_cbranch_execz .LBB371_2315
; %bb.2312:                             ;   in Loop: Header=BB371_1567 Depth=1
	v_and_b32_e32 v2, 7, v34
	v_lshrrev_b32_e32 v22, 3, v15
	v_cmp_gt_u32_e64 s0, 8, v15
	s_delay_alu instid0(VALU_DEP_3) | instskip(NEXT) | instid1(VALU_DEP_2)
	v_dual_mov_b32 v16, v3 :: v_dual_mov_b32 v15, v2
	s_and_saveexec_b32 s15, s0
; %bb.2313:                             ;   in Loop: Header=BB371_1567 Depth=1
	v_clz_i32_u32_e32 v15, v2
	s_delay_alu instid0(VALU_DEP_1) | instskip(NEXT) | instid1(VALU_DEP_1)
	v_min_u32_e32 v22, 32, v15
	v_subrev_nc_u32_e32 v15, 28, v22
	v_sub_nc_u32_e32 v22, 29, v22
	s_delay_alu instid0(VALU_DEP_2) | instskip(NEXT) | instid1(VALU_DEP_1)
	v_lshlrev_b64 v[15:16], v15, v[2:3]
	v_and_b32_e32 v15, 7, v15
; %bb.2314:                             ;   in Loop: Header=BB371_1567 Depth=1
	s_or_b32 exec_lo, exec_lo, s15
	v_lshlrev_b32_e32 v2, 8, v34
	v_lshl_add_u32 v16, v22, 10, 0x2000
	s_delay_alu instid0(VALU_DEP_1) | instskip(NEXT) | instid1(VALU_DEP_1)
	v_and_or_b32 v2, 0x8000, v2, v16
	v_lshl_or_b32 v2, v15, 7, v2
	s_delay_alu instid0(VALU_DEP_1)
	v_cvt_f32_f16_e32 v22, v2
.LBB371_2315:                           ;   in Loop: Header=BB371_1567 Depth=1
	s_or_b32 exec_lo, exec_lo, s13
.LBB371_2316:                           ;   in Loop: Header=BB371_1567 Depth=1
	s_delay_alu instid0(SALU_CYCLE_1)
	s_or_b32 exec_lo, exec_lo, s12
.LBB371_2317:                           ;   in Loop: Header=BB371_1567 Depth=1
	s_delay_alu instid0(SALU_CYCLE_1) | instskip(NEXT) | instid1(SALU_CYCLE_1)
	s_or_b32 exec_lo, exec_lo, s10
	s_mov_b32 s10, exec_lo
	v_cmpx_lt_u32_e32 0xffffff, v13
	s_cbranch_execz .LBB371_2325
; %bb.2318:                             ;   in Loop: Header=BB371_1567 Depth=1
	v_lshrrev_b32_e32 v34, 24, v13
	v_bfrev_b32_e32 v23, 1
	s_mov_b32 s12, exec_lo
	s_delay_alu instid0(VALU_DEP_2)
	v_cmpx_ne_u32_e32 0x80, v34
	s_cbranch_execz .LBB371_2324
; %bb.2319:                             ;   in Loop: Header=BB371_1567 Depth=1
	v_and_b32_e32 v15, 0x7f, v34
	v_mov_b32_e32 v23, 0x7fc02000
	s_mov_b32 s13, exec_lo
	s_delay_alu instid0(VALU_DEP_2)
	v_cmpx_ne_u32_e32 0x7f, v15
	s_cbranch_execz .LBB371_2323
; %bb.2320:                             ;   in Loop: Header=BB371_1567 Depth=1
	v_and_b32_e32 v2, 7, v34
	v_lshrrev_b32_e32 v23, 3, v15
	v_cmp_gt_u32_e64 s0, 8, v15
	s_delay_alu instid0(VALU_DEP_3) | instskip(NEXT) | instid1(VALU_DEP_2)
	v_dual_mov_b32 v16, v3 :: v_dual_mov_b32 v15, v2
	s_and_saveexec_b32 s15, s0
; %bb.2321:                             ;   in Loop: Header=BB371_1567 Depth=1
	v_clz_i32_u32_e32 v15, v2
	s_delay_alu instid0(VALU_DEP_1) | instskip(NEXT) | instid1(VALU_DEP_1)
	v_min_u32_e32 v23, 32, v15
	v_subrev_nc_u32_e32 v15, 28, v23
	v_sub_nc_u32_e32 v23, 29, v23
	s_delay_alu instid0(VALU_DEP_2) | instskip(NEXT) | instid1(VALU_DEP_1)
	v_lshlrev_b64 v[15:16], v15, v[2:3]
	v_and_b32_e32 v15, 7, v15
; %bb.2322:                             ;   in Loop: Header=BB371_1567 Depth=1
	s_or_b32 exec_lo, exec_lo, s15
	v_lshlrev_b32_e32 v2, 8, v34
	v_lshl_add_u32 v16, v23, 10, 0x2000
	s_delay_alu instid0(VALU_DEP_1) | instskip(NEXT) | instid1(VALU_DEP_1)
	v_and_or_b32 v2, 0x8000, v2, v16
	v_lshl_or_b32 v2, v15, 7, v2
	s_delay_alu instid0(VALU_DEP_1)
	v_cvt_f32_f16_e32 v23, v2
.LBB371_2323:                           ;   in Loop: Header=BB371_1567 Depth=1
	s_or_b32 exec_lo, exec_lo, s13
.LBB371_2324:                           ;   in Loop: Header=BB371_1567 Depth=1
	s_delay_alu instid0(SALU_CYCLE_1)
	s_or_b32 exec_lo, exec_lo, s12
.LBB371_2325:                           ;   in Loop: Header=BB371_1567 Depth=1
	s_delay_alu instid0(SALU_CYCLE_1) | instskip(SKIP_3) | instid1(VALU_DEP_2)
	s_or_b32 exec_lo, exec_lo, s10
	v_dual_mov_b32 v2, v14 :: v_dual_and_b32 v15, 0xff, v14
	v_dual_mov_b32 v35, 0 :: v_dual_mov_b32 v34, 0
	s_mov_b32 s10, exec_lo
	v_cmpx_ne_u16_e32 0, v15
	s_cbranch_execz .LBB371_2333
; %bb.2326:                             ;   in Loop: Header=BB371_1567 Depth=1
	v_bfrev_b32_e32 v34, 1
	s_mov_b32 s12, exec_lo
	v_cmpx_ne_u16_e32 0x80, v15
	s_cbranch_execz .LBB371_2332
; %bb.2327:                             ;   in Loop: Header=BB371_1567 Depth=1
	v_and_b32_e32 v15, 0x7f, v14
	v_mov_b32_e32 v34, 0x7fc02000
	s_mov_b32 s13, exec_lo
	s_delay_alu instid0(VALU_DEP_2)
	v_cmpx_ne_u32_e32 0x7f, v15
	s_cbranch_execz .LBB371_2331
; %bb.2328:                             ;   in Loop: Header=BB371_1567 Depth=1
	v_lshrrev_b32_e32 v34, 3, v15
	v_cmp_gt_u32_e64 s0, 8, v15
	v_dual_mov_b32 v16, v3 :: v_dual_mov_b32 v15, v2
	s_delay_alu instid0(VALU_DEP_2)
	s_and_saveexec_b32 s15, s0
; %bb.2329:                             ;   in Loop: Header=BB371_1567 Depth=1
	v_and_b32_e32 v15, 7, v14
	s_delay_alu instid0(VALU_DEP_1) | instskip(NEXT) | instid1(VALU_DEP_1)
	v_clz_i32_u32_e32 v15, v15
	v_min_u32_e32 v34, 32, v15
	s_delay_alu instid0(VALU_DEP_1) | instskip(SKIP_1) | instid1(VALU_DEP_2)
	v_subrev_nc_u32_e32 v15, 28, v34
	v_sub_nc_u32_e32 v34, 29, v34
	v_lshlrev_b64 v[15:16], v15, v[2:3]
; %bb.2330:                             ;   in Loop: Header=BB371_1567 Depth=1
	s_or_b32 exec_lo, exec_lo, s15
	v_lshlrev_b32_e32 v16, 8, v14
	s_delay_alu instid0(VALU_DEP_3) | instskip(NEXT) | instid1(VALU_DEP_3)
	v_lshl_add_u32 v34, v34, 10, 0x2000
	v_lshlrev_b32_e32 v15, 7, v15
	s_delay_alu instid0(VALU_DEP_2) | instskip(NEXT) | instid1(VALU_DEP_1)
	v_and_or_b32 v16, 0x8000, v16, v34
	v_and_or_b32 v15, 0x380, v15, v16
	s_delay_alu instid0(VALU_DEP_1)
	v_cvt_f32_f16_e32 v34, v15
.LBB371_2331:                           ;   in Loop: Header=BB371_1567 Depth=1
	s_or_b32 exec_lo, exec_lo, s13
.LBB371_2332:                           ;   in Loop: Header=BB371_1567 Depth=1
	s_delay_alu instid0(SALU_CYCLE_1)
	s_or_b32 exec_lo, exec_lo, s12
.LBB371_2333:                           ;   in Loop: Header=BB371_1567 Depth=1
	s_delay_alu instid0(SALU_CYCLE_1) | instskip(SKIP_2) | instid1(VALU_DEP_1)
	s_or_b32 exec_lo, exec_lo, s10
	v_lshrrev_b16 v2, 8, v2
	s_mov_b32 s10, exec_lo
	v_cmpx_ne_u16_e32 0, v2
	s_cbranch_execz .LBB371_2341
; %bb.2334:                             ;   in Loop: Header=BB371_1567 Depth=1
	v_bfrev_b32_e32 v35, 1
	s_mov_b32 s12, exec_lo
	v_cmpx_ne_u16_e32 0x80, v2
	s_cbranch_execz .LBB371_2340
; %bb.2335:                             ;   in Loop: Header=BB371_1567 Depth=1
	v_and_b32_e32 v36, 0xffff, v2
	v_mov_b32_e32 v35, 0x7fc02000
	s_mov_b32 s13, exec_lo
	s_delay_alu instid0(VALU_DEP_2) | instskip(NEXT) | instid1(VALU_DEP_1)
	v_and_b32_e32 v15, 0x7f, v36
	v_cmpx_ne_u32_e32 0x7f, v15
	s_cbranch_execz .LBB371_2339
; %bb.2336:                             ;   in Loop: Header=BB371_1567 Depth=1
	v_and_b32_e32 v2, 7, v36
	v_lshrrev_b32_e32 v35, 3, v15
	v_cmp_gt_u32_e64 s0, 8, v15
	s_delay_alu instid0(VALU_DEP_3) | instskip(NEXT) | instid1(VALU_DEP_2)
	v_dual_mov_b32 v16, v3 :: v_dual_mov_b32 v15, v2
	s_and_saveexec_b32 s15, s0
; %bb.2337:                             ;   in Loop: Header=BB371_1567 Depth=1
	v_clz_i32_u32_e32 v15, v2
	s_delay_alu instid0(VALU_DEP_1) | instskip(NEXT) | instid1(VALU_DEP_1)
	v_min_u32_e32 v35, 32, v15
	v_subrev_nc_u32_e32 v15, 28, v35
	v_sub_nc_u32_e32 v35, 29, v35
	s_delay_alu instid0(VALU_DEP_2) | instskip(NEXT) | instid1(VALU_DEP_1)
	v_lshlrev_b64 v[15:16], v15, v[2:3]
	v_and_b32_e32 v15, 7, v15
; %bb.2338:                             ;   in Loop: Header=BB371_1567 Depth=1
	s_or_b32 exec_lo, exec_lo, s15
	v_lshlrev_b32_e32 v2, 8, v36
	v_lshl_add_u32 v16, v35, 10, 0x2000
	s_delay_alu instid0(VALU_DEP_1) | instskip(NEXT) | instid1(VALU_DEP_1)
	v_and_or_b32 v2, 0x8000, v2, v16
	v_lshl_or_b32 v2, v15, 7, v2
	s_delay_alu instid0(VALU_DEP_1)
	v_cvt_f32_f16_e32 v35, v2
.LBB371_2339:                           ;   in Loop: Header=BB371_1567 Depth=1
	s_or_b32 exec_lo, exec_lo, s13
.LBB371_2340:                           ;   in Loop: Header=BB371_1567 Depth=1
	s_delay_alu instid0(SALU_CYCLE_1)
	s_or_b32 exec_lo, exec_lo, s12
.LBB371_2341:                           ;   in Loop: Header=BB371_1567 Depth=1
	s_delay_alu instid0(SALU_CYCLE_1) | instskip(SKIP_3) | instid1(VALU_DEP_2)
	s_or_b32 exec_lo, exec_lo, s10
	v_lshrrev_b32_e32 v162, 16, v14
	v_mov_b32_e32 v36, 0
	s_mov_b32 s10, exec_lo
	v_dual_mov_b32 v15, 0 :: v_dual_and_b32 v2, 0xff, v162
	s_delay_alu instid0(VALU_DEP_1)
	v_cmpx_ne_u16_e32 0, v2
	s_cbranch_execz .LBB371_2349
; %bb.2342:                             ;   in Loop: Header=BB371_1567 Depth=1
	v_bfrev_b32_e32 v15, 1
	s_mov_b32 s12, exec_lo
	v_cmpx_ne_u16_e32 0x80, v2
	s_cbranch_execz .LBB371_2348
; %bb.2343:                             ;   in Loop: Header=BB371_1567 Depth=1
	v_bfe_u32 v16, v14, 16, 7
	v_mov_b32_e32 v15, 0x7fc02000
	s_mov_b32 s13, exec_lo
	s_delay_alu instid0(VALU_DEP_2)
	v_cmpx_ne_u32_e32 0x7f, v16
	s_cbranch_execz .LBB371_2347
; %bb.2344:                             ;   in Loop: Header=BB371_1567 Depth=1
	v_and_b32_e32 v2, 7, v162
	v_lshrrev_b32_e32 v163, 3, v16
	v_cmp_gt_u32_e64 s0, 8, v16
	s_delay_alu instid0(VALU_DEP_3) | instskip(NEXT) | instid1(VALU_DEP_2)
	v_dual_mov_b32 v16, v3 :: v_dual_mov_b32 v15, v2
	s_and_saveexec_b32 s15, s0
; %bb.2345:                             ;   in Loop: Header=BB371_1567 Depth=1
	v_clz_i32_u32_e32 v15, v2
	s_delay_alu instid0(VALU_DEP_1) | instskip(NEXT) | instid1(VALU_DEP_1)
	v_min_u32_e32 v163, 32, v15
	v_subrev_nc_u32_e32 v15, 28, v163
	v_sub_nc_u32_e32 v163, 29, v163
	s_delay_alu instid0(VALU_DEP_2) | instskip(NEXT) | instid1(VALU_DEP_1)
	v_lshlrev_b64 v[15:16], v15, v[2:3]
	v_and_b32_e32 v15, 7, v15
; %bb.2346:                             ;   in Loop: Header=BB371_1567 Depth=1
	s_or_b32 exec_lo, exec_lo, s15
	v_lshlrev_b32_e32 v2, 8, v162
	v_lshl_add_u32 v16, v163, 10, 0x2000
	s_delay_alu instid0(VALU_DEP_1) | instskip(NEXT) | instid1(VALU_DEP_1)
	v_and_or_b32 v2, 0x8000, v2, v16
	v_lshl_or_b32 v2, v15, 7, v2
	s_delay_alu instid0(VALU_DEP_1)
	v_cvt_f32_f16_e32 v15, v2
.LBB371_2347:                           ;   in Loop: Header=BB371_1567 Depth=1
	s_or_b32 exec_lo, exec_lo, s13
.LBB371_2348:                           ;   in Loop: Header=BB371_1567 Depth=1
	s_delay_alu instid0(SALU_CYCLE_1)
	s_or_b32 exec_lo, exec_lo, s12
.LBB371_2349:                           ;   in Loop: Header=BB371_1567 Depth=1
	s_delay_alu instid0(SALU_CYCLE_1) | instskip(NEXT) | instid1(SALU_CYCLE_1)
	s_or_b32 exec_lo, exec_lo, s10
	s_mov_b32 s10, exec_lo
	v_cmpx_lt_u64_e64 s[8:9], v[13:14]
	s_cbranch_execz .LBB371_2357
; %bb.2350:                             ;   in Loop: Header=BB371_1567 Depth=1
	v_lshrrev_b32_e32 v16, 24, v14
	v_bfrev_b32_e32 v36, 1
	s_mov_b32 s12, exec_lo
	s_delay_alu instid0(VALU_DEP_2)
	v_cmpx_ne_u32_e32 0x80, v16
	s_cbranch_execz .LBB371_2356
; %bb.2351:                             ;   in Loop: Header=BB371_1567 Depth=1
	v_and_b32_e32 v13, 0x7f, v16
	v_mov_b32_e32 v36, 0x7fc02000
	s_mov_b32 s13, exec_lo
	s_delay_alu instid0(VALU_DEP_2)
	v_cmpx_ne_u32_e32 0x7f, v13
	s_cbranch_execz .LBB371_2355
; %bb.2352:                             ;   in Loop: Header=BB371_1567 Depth=1
	v_and_b32_e32 v2, 7, v16
	v_lshrrev_b32_e32 v36, 3, v13
	v_cmp_gt_u32_e64 s0, 8, v13
	s_delay_alu instid0(VALU_DEP_3) | instskip(NEXT) | instid1(VALU_DEP_2)
	v_dual_mov_b32 v14, v3 :: v_dual_mov_b32 v13, v2
	s_and_saveexec_b32 s15, s0
; %bb.2353:                             ;   in Loop: Header=BB371_1567 Depth=1
	v_clz_i32_u32_e32 v13, v2
	s_delay_alu instid0(VALU_DEP_1) | instskip(NEXT) | instid1(VALU_DEP_1)
	v_min_u32_e32 v36, 32, v13
	v_subrev_nc_u32_e32 v13, 28, v36
	v_sub_nc_u32_e32 v36, 29, v36
	s_delay_alu instid0(VALU_DEP_2) | instskip(NEXT) | instid1(VALU_DEP_1)
	v_lshlrev_b64 v[13:14], v13, v[2:3]
	v_and_b32_e32 v13, 7, v13
; %bb.2354:                             ;   in Loop: Header=BB371_1567 Depth=1
	s_or_b32 exec_lo, exec_lo, s15
	v_lshlrev_b32_e32 v2, 8, v16
	v_lshl_add_u32 v14, v36, 10, 0x2000
	s_delay_alu instid0(VALU_DEP_1) | instskip(NEXT) | instid1(VALU_DEP_1)
	v_and_or_b32 v2, 0x8000, v2, v14
	v_lshl_or_b32 v2, v13, 7, v2
	s_delay_alu instid0(VALU_DEP_1)
	v_cvt_f32_f16_e32 v36, v2
.LBB371_2355:                           ;   in Loop: Header=BB371_1567 Depth=1
	s_or_b32 exec_lo, exec_lo, s13
.LBB371_2356:                           ;   in Loop: Header=BB371_1567 Depth=1
	s_delay_alu instid0(SALU_CYCLE_1)
	s_or_b32 exec_lo, exec_lo, s12
.LBB371_2357:                           ;   in Loop: Header=BB371_1567 Depth=1
	s_delay_alu instid0(SALU_CYCLE_1)
	s_or_b32 exec_lo, exec_lo, s10
	s_waitcnt vmcnt(0) lgkmcnt(0)
	v_fma_mixlo_f16 v6, v4, v6, 0
	v_fma_mixlo_f16 v2, v4, v23, 0
	;; [unrolled: 1-line block ×5, first 2 shown]
	v_lshlrev_b32_e32 v14, 16, v6
	v_fma_mixlo_f16 v6, v4, v5, 0
	v_fma_mixlo_f16 v23, v4, v36, 0
	;; [unrolled: 1-line block ×3, first 2 shown]
	v_lshlrev_b32_e32 v2, 16, v2
	v_and_b32_e32 v13, 0xffff, v13
	v_and_b32_e32 v4, 0xffff, v6
	v_lshlrev_b32_e32 v15, 16, v16
	v_and_b32_e32 v16, 0xffff, v22
	v_lshlrev_b32_e32 v22, 16, v23
	v_and_b32_e32 v23, 0xffff, v5
	v_or_b32_e32 v6, v2, v13
	v_or_b32_e32 v13, v14, v4
	;; [unrolled: 1-line block ×3, first 2 shown]
	s_delay_alu instid0(VALU_DEP_4)
	v_or_b32_e32 v4, v22, v23
	s_and_saveexec_b32 s10, vcc_lo
	s_cbranch_execz .LBB371_2359
; %bb.2358:                             ;   in Loop: Header=BB371_1567 Depth=1
	v_cmp_lt_i32_e64 s0, v17, v37
	v_lshrrev_b32_e32 v14, 16, v13
	v_lshrrev_b32_e32 v15, 16, v6
	;; [unrolled: 1-line block ×4, first 2 shown]
	v_cndmask_b32_e64 v13, 0, v13, s0
	v_cmp_lt_i32_e64 s0, v117, v87
	s_delay_alu instid0(VALU_DEP_1) | instskip(SKIP_1) | instid1(VALU_DEP_2)
	v_cndmask_b32_e64 v14, 0, v14, s0
	v_cmp_lt_i32_e64 s0, v116, v87
	v_perm_b32 v13, v14, v13, 0x5040100
	s_delay_alu instid0(VALU_DEP_2) | instskip(SKIP_1) | instid1(VALU_DEP_1)
	v_cndmask_b32_e64 v15, 0, v15, s0
	v_cmp_lt_i32_e64 s0, v115, v37
	v_cndmask_b32_e64 v6, 0, v6, s0
	v_cmp_lt_i32_e64 s0, v114, v87
	s_delay_alu instid0(VALU_DEP_2) | instskip(NEXT) | instid1(VALU_DEP_2)
	v_perm_b32 v6, v15, v6, 0x5040100
	v_cndmask_b32_e64 v16, 0, v16, s0
	v_cmp_lt_i32_e64 s0, v113, v37
	s_delay_alu instid0(VALU_DEP_1) | instskip(SKIP_1) | instid1(VALU_DEP_2)
	v_cndmask_b32_e64 v2, 0, v2, s0
	v_cmp_lt_i32_e64 s0, v112, v87
	v_perm_b32 v2, v16, v2, 0x5040100
	s_delay_alu instid0(VALU_DEP_2) | instskip(SKIP_1) | instid1(VALU_DEP_1)
	v_cndmask_b32_e64 v4, 0, v4, s0
	v_cmp_lt_i32_e64 s0, v103, v37
	v_cndmask_b32_e64 v5, 0, v5, s0
	s_delay_alu instid0(VALU_DEP_1)
	v_perm_b32 v4, v4, v5, 0x5040100
.LBB371_2359:                           ;   in Loop: Header=BB371_1567 Depth=1
	s_or_b32 exec_lo, exec_lo, s10
	;;#ASMSTART
	v_pk_mul_f16 v5, v102, v13;

	;;#ASMEND
	;;#ASMSTART
	v_pk_mul_f16 v6, v100, v6;

	;;#ASMEND
	;; [unrolled: 4-line block ×4, first 2 shown]
	;;#ASMSTART
	v_pk_add_f16 v5, v5, v6;

	;;#ASMEND
	;;#ASMSTART
	v_pk_add_f16 v2, v5, v2;

	;;#ASMEND
	;; [unrolled: 4-line block ×3, first 2 shown]
	v_dual_mov_b32 v5, 0 :: v_dual_and_b32 v4, 0xffff, v2
	v_lshrrev_b32_e32 v2, 16, v2
	;;#ASMSTART
	v_cvt_f32_f16 v162, v4;
	;;#ASMEND
	;;#ASMSTART
	v_cvt_f32_f16 v163, v2;
	;;#ASMEND
	flat_load_b64 v[13:14], v[11:12] offset:3072
	flat_load_b32 v4, v[26:27]
	v_mov_b32_e32 v6, 0
	s_mov_b32 s10, exec_lo
	s_waitcnt vmcnt(1) lgkmcnt(1)
	v_and_b32_e32 v2, 0xff, v13
	s_delay_alu instid0(VALU_DEP_1)
	v_cmpx_ne_u16_e32 0, v2
	s_cbranch_execz .LBB371_2367
; %bb.2360:                             ;   in Loop: Header=BB371_1567 Depth=1
	v_bfrev_b32_e32 v5, 1
	s_mov_b32 s12, exec_lo
	v_cmpx_ne_u16_e32 0x80, v2
	s_cbranch_execz .LBB371_2366
; %bb.2361:                             ;   in Loop: Header=BB371_1567 Depth=1
	v_and_b32_e32 v15, 0x7f, v13
	v_mov_b32_e32 v5, 0x7fc02000
	s_mov_b32 s13, exec_lo
	s_delay_alu instid0(VALU_DEP_2)
	v_cmpx_ne_u32_e32 0x7f, v15
	s_cbranch_execz .LBB371_2365
; %bb.2362:                             ;   in Loop: Header=BB371_1567 Depth=1
	v_lshrrev_b32_e32 v2, 3, v15
	v_cmp_gt_u32_e64 s0, 8, v15
	v_dual_mov_b32 v16, v14 :: v_dual_mov_b32 v15, v13
	s_delay_alu instid0(VALU_DEP_2)
	s_and_saveexec_b32 s15, s0
; %bb.2363:                             ;   in Loop: Header=BB371_1567 Depth=1
	v_and_b32_e32 v2, 7, v13
	s_delay_alu instid0(VALU_DEP_1) | instskip(NEXT) | instid1(VALU_DEP_1)
	v_clz_i32_u32_e32 v2, v2
	v_min_u32_e32 v2, 32, v2
	s_delay_alu instid0(VALU_DEP_1) | instskip(SKIP_1) | instid1(VALU_DEP_2)
	v_subrev_nc_u32_e32 v5, 28, v2
	v_sub_nc_u32_e32 v2, 29, v2
	v_lshlrev_b64 v[15:16], v5, v[13:14]
; %bb.2364:                             ;   in Loop: Header=BB371_1567 Depth=1
	s_or_b32 exec_lo, exec_lo, s15
	v_lshlrev_b32_e32 v5, 8, v13
	s_delay_alu instid0(VALU_DEP_3) | instskip(NEXT) | instid1(VALU_DEP_3)
	v_lshl_add_u32 v2, v2, 10, 0x2000
	v_lshlrev_b32_e32 v15, 7, v15
	s_delay_alu instid0(VALU_DEP_2) | instskip(NEXT) | instid1(VALU_DEP_1)
	v_and_or_b32 v2, 0x8000, v5, v2
	v_and_or_b32 v2, 0x380, v15, v2
	s_delay_alu instid0(VALU_DEP_1)
	v_cvt_f32_f16_e32 v5, v2
.LBB371_2365:                           ;   in Loop: Header=BB371_1567 Depth=1
	s_or_b32 exec_lo, exec_lo, s13
.LBB371_2366:                           ;   in Loop: Header=BB371_1567 Depth=1
	s_delay_alu instid0(SALU_CYCLE_1)
	s_or_b32 exec_lo, exec_lo, s12
.LBB371_2367:                           ;   in Loop: Header=BB371_1567 Depth=1
	s_delay_alu instid0(SALU_CYCLE_1) | instskip(SKIP_2) | instid1(VALU_DEP_1)
	s_or_b32 exec_lo, exec_lo, s10
	v_lshrrev_b16 v2, 8, v13
	s_mov_b32 s10, exec_lo
	v_cmpx_ne_u16_e32 0, v2
	s_cbranch_execz .LBB371_2375
; %bb.2368:                             ;   in Loop: Header=BB371_1567 Depth=1
	v_bfrev_b32_e32 v6, 1
	s_mov_b32 s12, exec_lo
	v_cmpx_ne_u16_e32 0x80, v2
	s_cbranch_execz .LBB371_2374
; %bb.2369:                             ;   in Loop: Header=BB371_1567 Depth=1
	v_and_b32_e32 v22, 0xffff, v2
	v_mov_b32_e32 v6, 0x7fc02000
	s_mov_b32 s13, exec_lo
	s_delay_alu instid0(VALU_DEP_2) | instskip(NEXT) | instid1(VALU_DEP_1)
	v_and_b32_e32 v15, 0x7f, v22
	v_cmpx_ne_u32_e32 0x7f, v15
	s_cbranch_execz .LBB371_2373
; %bb.2370:                             ;   in Loop: Header=BB371_1567 Depth=1
	v_and_b32_e32 v2, 7, v22
	v_lshrrev_b32_e32 v6, 3, v15
	v_cmp_gt_u32_e64 s0, 8, v15
	s_delay_alu instid0(VALU_DEP_3) | instskip(NEXT) | instid1(VALU_DEP_2)
	v_dual_mov_b32 v16, v3 :: v_dual_mov_b32 v15, v2
	s_and_saveexec_b32 s15, s0
; %bb.2371:                             ;   in Loop: Header=BB371_1567 Depth=1
	v_clz_i32_u32_e32 v6, v2
	s_delay_alu instid0(VALU_DEP_1) | instskip(NEXT) | instid1(VALU_DEP_1)
	v_min_u32_e32 v6, 32, v6
	v_subrev_nc_u32_e32 v15, 28, v6
	v_sub_nc_u32_e32 v6, 29, v6
	s_delay_alu instid0(VALU_DEP_2) | instskip(NEXT) | instid1(VALU_DEP_1)
	v_lshlrev_b64 v[15:16], v15, v[2:3]
	v_and_b32_e32 v15, 7, v15
; %bb.2372:                             ;   in Loop: Header=BB371_1567 Depth=1
	s_or_b32 exec_lo, exec_lo, s15
	v_lshlrev_b32_e32 v2, 8, v22
	v_lshl_add_u32 v6, v6, 10, 0x2000
	s_delay_alu instid0(VALU_DEP_1) | instskip(NEXT) | instid1(VALU_DEP_1)
	v_and_or_b32 v2, 0x8000, v2, v6
	v_lshl_or_b32 v2, v15, 7, v2
	s_delay_alu instid0(VALU_DEP_1)
	v_cvt_f32_f16_e32 v6, v2
.LBB371_2373:                           ;   in Loop: Header=BB371_1567 Depth=1
	s_or_b32 exec_lo, exec_lo, s13
.LBB371_2374:                           ;   in Loop: Header=BB371_1567 Depth=1
	s_delay_alu instid0(SALU_CYCLE_1)
	s_or_b32 exec_lo, exec_lo, s12
.LBB371_2375:                           ;   in Loop: Header=BB371_1567 Depth=1
	s_delay_alu instid0(SALU_CYCLE_1) | instskip(SKIP_3) | instid1(VALU_DEP_2)
	s_or_b32 exec_lo, exec_lo, s10
	v_lshrrev_b32_e32 v34, 16, v13
	v_mov_b32_e32 v22, 0
	s_mov_b32 s10, exec_lo
	v_dual_mov_b32 v23, 0 :: v_dual_and_b32 v2, 0xff, v34
	s_delay_alu instid0(VALU_DEP_1)
	v_cmpx_ne_u16_e32 0, v2
	s_cbranch_execz .LBB371_2383
; %bb.2376:                             ;   in Loop: Header=BB371_1567 Depth=1
	v_bfrev_b32_e32 v22, 1
	s_mov_b32 s12, exec_lo
	v_cmpx_ne_u16_e32 0x80, v2
	s_cbranch_execz .LBB371_2382
; %bb.2377:                             ;   in Loop: Header=BB371_1567 Depth=1
	v_bfe_u32 v15, v13, 16, 7
	v_mov_b32_e32 v22, 0x7fc02000
	s_mov_b32 s13, exec_lo
	s_delay_alu instid0(VALU_DEP_2)
	v_cmpx_ne_u32_e32 0x7f, v15
	s_cbranch_execz .LBB371_2381
; %bb.2378:                             ;   in Loop: Header=BB371_1567 Depth=1
	v_and_b32_e32 v2, 7, v34
	v_lshrrev_b32_e32 v22, 3, v15
	v_cmp_gt_u32_e64 s0, 8, v15
	s_delay_alu instid0(VALU_DEP_3) | instskip(NEXT) | instid1(VALU_DEP_2)
	v_dual_mov_b32 v16, v3 :: v_dual_mov_b32 v15, v2
	s_and_saveexec_b32 s15, s0
; %bb.2379:                             ;   in Loop: Header=BB371_1567 Depth=1
	v_clz_i32_u32_e32 v15, v2
	s_delay_alu instid0(VALU_DEP_1) | instskip(NEXT) | instid1(VALU_DEP_1)
	v_min_u32_e32 v22, 32, v15
	v_subrev_nc_u32_e32 v15, 28, v22
	v_sub_nc_u32_e32 v22, 29, v22
	s_delay_alu instid0(VALU_DEP_2) | instskip(NEXT) | instid1(VALU_DEP_1)
	v_lshlrev_b64 v[15:16], v15, v[2:3]
	v_and_b32_e32 v15, 7, v15
; %bb.2380:                             ;   in Loop: Header=BB371_1567 Depth=1
	s_or_b32 exec_lo, exec_lo, s15
	v_lshlrev_b32_e32 v2, 8, v34
	v_lshl_add_u32 v16, v22, 10, 0x2000
	s_delay_alu instid0(VALU_DEP_1) | instskip(NEXT) | instid1(VALU_DEP_1)
	v_and_or_b32 v2, 0x8000, v2, v16
	v_lshl_or_b32 v2, v15, 7, v2
	s_delay_alu instid0(VALU_DEP_1)
	v_cvt_f32_f16_e32 v22, v2
.LBB371_2381:                           ;   in Loop: Header=BB371_1567 Depth=1
	s_or_b32 exec_lo, exec_lo, s13
.LBB371_2382:                           ;   in Loop: Header=BB371_1567 Depth=1
	s_delay_alu instid0(SALU_CYCLE_1)
	s_or_b32 exec_lo, exec_lo, s12
.LBB371_2383:                           ;   in Loop: Header=BB371_1567 Depth=1
	s_delay_alu instid0(SALU_CYCLE_1) | instskip(NEXT) | instid1(SALU_CYCLE_1)
	s_or_b32 exec_lo, exec_lo, s10
	s_mov_b32 s10, exec_lo
	v_cmpx_lt_u32_e32 0xffffff, v13
	s_cbranch_execz .LBB371_2391
; %bb.2384:                             ;   in Loop: Header=BB371_1567 Depth=1
	v_lshrrev_b32_e32 v34, 24, v13
	v_bfrev_b32_e32 v23, 1
	s_mov_b32 s12, exec_lo
	s_delay_alu instid0(VALU_DEP_2)
	v_cmpx_ne_u32_e32 0x80, v34
	s_cbranch_execz .LBB371_2390
; %bb.2385:                             ;   in Loop: Header=BB371_1567 Depth=1
	v_and_b32_e32 v15, 0x7f, v34
	v_mov_b32_e32 v23, 0x7fc02000
	s_mov_b32 s13, exec_lo
	s_delay_alu instid0(VALU_DEP_2)
	v_cmpx_ne_u32_e32 0x7f, v15
	s_cbranch_execz .LBB371_2389
; %bb.2386:                             ;   in Loop: Header=BB371_1567 Depth=1
	v_and_b32_e32 v2, 7, v34
	v_lshrrev_b32_e32 v23, 3, v15
	v_cmp_gt_u32_e64 s0, 8, v15
	s_delay_alu instid0(VALU_DEP_3) | instskip(NEXT) | instid1(VALU_DEP_2)
	v_dual_mov_b32 v16, v3 :: v_dual_mov_b32 v15, v2
	s_and_saveexec_b32 s15, s0
; %bb.2387:                             ;   in Loop: Header=BB371_1567 Depth=1
	v_clz_i32_u32_e32 v15, v2
	s_delay_alu instid0(VALU_DEP_1) | instskip(NEXT) | instid1(VALU_DEP_1)
	v_min_u32_e32 v23, 32, v15
	v_subrev_nc_u32_e32 v15, 28, v23
	v_sub_nc_u32_e32 v23, 29, v23
	s_delay_alu instid0(VALU_DEP_2) | instskip(NEXT) | instid1(VALU_DEP_1)
	v_lshlrev_b64 v[15:16], v15, v[2:3]
	v_and_b32_e32 v15, 7, v15
; %bb.2388:                             ;   in Loop: Header=BB371_1567 Depth=1
	s_or_b32 exec_lo, exec_lo, s15
	v_lshlrev_b32_e32 v2, 8, v34
	v_lshl_add_u32 v16, v23, 10, 0x2000
	s_delay_alu instid0(VALU_DEP_1) | instskip(NEXT) | instid1(VALU_DEP_1)
	v_and_or_b32 v2, 0x8000, v2, v16
	v_lshl_or_b32 v2, v15, 7, v2
	s_delay_alu instid0(VALU_DEP_1)
	v_cvt_f32_f16_e32 v23, v2
.LBB371_2389:                           ;   in Loop: Header=BB371_1567 Depth=1
	s_or_b32 exec_lo, exec_lo, s13
.LBB371_2390:                           ;   in Loop: Header=BB371_1567 Depth=1
	s_delay_alu instid0(SALU_CYCLE_1)
	s_or_b32 exec_lo, exec_lo, s12
.LBB371_2391:                           ;   in Loop: Header=BB371_1567 Depth=1
	s_delay_alu instid0(SALU_CYCLE_1) | instskip(SKIP_3) | instid1(VALU_DEP_2)
	s_or_b32 exec_lo, exec_lo, s10
	v_dual_mov_b32 v2, v14 :: v_dual_and_b32 v15, 0xff, v14
	v_dual_mov_b32 v35, 0 :: v_dual_mov_b32 v34, 0
	s_mov_b32 s10, exec_lo
	v_cmpx_ne_u16_e32 0, v15
	s_cbranch_execz .LBB371_2399
; %bb.2392:                             ;   in Loop: Header=BB371_1567 Depth=1
	v_bfrev_b32_e32 v34, 1
	s_mov_b32 s12, exec_lo
	v_cmpx_ne_u16_e32 0x80, v15
	s_cbranch_execz .LBB371_2398
; %bb.2393:                             ;   in Loop: Header=BB371_1567 Depth=1
	v_and_b32_e32 v15, 0x7f, v14
	v_mov_b32_e32 v34, 0x7fc02000
	s_mov_b32 s13, exec_lo
	s_delay_alu instid0(VALU_DEP_2)
	v_cmpx_ne_u32_e32 0x7f, v15
	s_cbranch_execz .LBB371_2397
; %bb.2394:                             ;   in Loop: Header=BB371_1567 Depth=1
	v_lshrrev_b32_e32 v34, 3, v15
	v_cmp_gt_u32_e64 s0, 8, v15
	v_dual_mov_b32 v16, v3 :: v_dual_mov_b32 v15, v2
	s_delay_alu instid0(VALU_DEP_2)
	s_and_saveexec_b32 s15, s0
; %bb.2395:                             ;   in Loop: Header=BB371_1567 Depth=1
	v_and_b32_e32 v15, 7, v14
	s_delay_alu instid0(VALU_DEP_1) | instskip(NEXT) | instid1(VALU_DEP_1)
	v_clz_i32_u32_e32 v15, v15
	v_min_u32_e32 v34, 32, v15
	s_delay_alu instid0(VALU_DEP_1) | instskip(SKIP_1) | instid1(VALU_DEP_2)
	v_subrev_nc_u32_e32 v15, 28, v34
	v_sub_nc_u32_e32 v34, 29, v34
	v_lshlrev_b64 v[15:16], v15, v[2:3]
; %bb.2396:                             ;   in Loop: Header=BB371_1567 Depth=1
	s_or_b32 exec_lo, exec_lo, s15
	v_lshlrev_b32_e32 v16, 8, v14
	s_delay_alu instid0(VALU_DEP_3) | instskip(NEXT) | instid1(VALU_DEP_3)
	v_lshl_add_u32 v34, v34, 10, 0x2000
	v_lshlrev_b32_e32 v15, 7, v15
	s_delay_alu instid0(VALU_DEP_2) | instskip(NEXT) | instid1(VALU_DEP_1)
	v_and_or_b32 v16, 0x8000, v16, v34
	v_and_or_b32 v15, 0x380, v15, v16
	s_delay_alu instid0(VALU_DEP_1)
	v_cvt_f32_f16_e32 v34, v15
.LBB371_2397:                           ;   in Loop: Header=BB371_1567 Depth=1
	s_or_b32 exec_lo, exec_lo, s13
.LBB371_2398:                           ;   in Loop: Header=BB371_1567 Depth=1
	s_delay_alu instid0(SALU_CYCLE_1)
	s_or_b32 exec_lo, exec_lo, s12
.LBB371_2399:                           ;   in Loop: Header=BB371_1567 Depth=1
	s_delay_alu instid0(SALU_CYCLE_1) | instskip(SKIP_2) | instid1(VALU_DEP_1)
	s_or_b32 exec_lo, exec_lo, s10
	v_lshrrev_b16 v2, 8, v2
	s_mov_b32 s10, exec_lo
	v_cmpx_ne_u16_e32 0, v2
	s_cbranch_execz .LBB371_2407
; %bb.2400:                             ;   in Loop: Header=BB371_1567 Depth=1
	v_bfrev_b32_e32 v35, 1
	s_mov_b32 s12, exec_lo
	v_cmpx_ne_u16_e32 0x80, v2
	s_cbranch_execz .LBB371_2406
; %bb.2401:                             ;   in Loop: Header=BB371_1567 Depth=1
	v_and_b32_e32 v36, 0xffff, v2
	v_mov_b32_e32 v35, 0x7fc02000
	s_mov_b32 s13, exec_lo
	s_delay_alu instid0(VALU_DEP_2) | instskip(NEXT) | instid1(VALU_DEP_1)
	v_and_b32_e32 v15, 0x7f, v36
	v_cmpx_ne_u32_e32 0x7f, v15
	s_cbranch_execz .LBB371_2405
; %bb.2402:                             ;   in Loop: Header=BB371_1567 Depth=1
	v_and_b32_e32 v2, 7, v36
	v_lshrrev_b32_e32 v35, 3, v15
	v_cmp_gt_u32_e64 s0, 8, v15
	s_delay_alu instid0(VALU_DEP_3) | instskip(NEXT) | instid1(VALU_DEP_2)
	v_dual_mov_b32 v16, v3 :: v_dual_mov_b32 v15, v2
	s_and_saveexec_b32 s15, s0
; %bb.2403:                             ;   in Loop: Header=BB371_1567 Depth=1
	v_clz_i32_u32_e32 v15, v2
	s_delay_alu instid0(VALU_DEP_1) | instskip(NEXT) | instid1(VALU_DEP_1)
	v_min_u32_e32 v35, 32, v15
	v_subrev_nc_u32_e32 v15, 28, v35
	v_sub_nc_u32_e32 v35, 29, v35
	s_delay_alu instid0(VALU_DEP_2) | instskip(NEXT) | instid1(VALU_DEP_1)
	v_lshlrev_b64 v[15:16], v15, v[2:3]
	v_and_b32_e32 v15, 7, v15
; %bb.2404:                             ;   in Loop: Header=BB371_1567 Depth=1
	s_or_b32 exec_lo, exec_lo, s15
	v_lshlrev_b32_e32 v2, 8, v36
	v_lshl_add_u32 v16, v35, 10, 0x2000
	s_delay_alu instid0(VALU_DEP_1) | instskip(NEXT) | instid1(VALU_DEP_1)
	v_and_or_b32 v2, 0x8000, v2, v16
	v_lshl_or_b32 v2, v15, 7, v2
	s_delay_alu instid0(VALU_DEP_1)
	v_cvt_f32_f16_e32 v35, v2
.LBB371_2405:                           ;   in Loop: Header=BB371_1567 Depth=1
	s_or_b32 exec_lo, exec_lo, s13
.LBB371_2406:                           ;   in Loop: Header=BB371_1567 Depth=1
	s_delay_alu instid0(SALU_CYCLE_1)
	s_or_b32 exec_lo, exec_lo, s12
.LBB371_2407:                           ;   in Loop: Header=BB371_1567 Depth=1
	s_delay_alu instid0(SALU_CYCLE_1) | instskip(SKIP_3) | instid1(VALU_DEP_2)
	s_or_b32 exec_lo, exec_lo, s10
	v_lshrrev_b32_e32 v164, 16, v14
	v_mov_b32_e32 v36, 0
	s_mov_b32 s10, exec_lo
	v_dual_mov_b32 v15, 0 :: v_dual_and_b32 v2, 0xff, v164
	s_delay_alu instid0(VALU_DEP_1)
	v_cmpx_ne_u16_e32 0, v2
	s_cbranch_execz .LBB371_2415
; %bb.2408:                             ;   in Loop: Header=BB371_1567 Depth=1
	v_bfrev_b32_e32 v15, 1
	s_mov_b32 s12, exec_lo
	v_cmpx_ne_u16_e32 0x80, v2
	s_cbranch_execz .LBB371_2414
; %bb.2409:                             ;   in Loop: Header=BB371_1567 Depth=1
	v_bfe_u32 v16, v14, 16, 7
	v_mov_b32_e32 v15, 0x7fc02000
	s_mov_b32 s13, exec_lo
	s_delay_alu instid0(VALU_DEP_2)
	v_cmpx_ne_u32_e32 0x7f, v16
	s_cbranch_execz .LBB371_2413
; %bb.2410:                             ;   in Loop: Header=BB371_1567 Depth=1
	v_and_b32_e32 v2, 7, v164
	v_lshrrev_b32_e32 v165, 3, v16
	v_cmp_gt_u32_e64 s0, 8, v16
	s_delay_alu instid0(VALU_DEP_3) | instskip(NEXT) | instid1(VALU_DEP_2)
	v_dual_mov_b32 v16, v3 :: v_dual_mov_b32 v15, v2
	s_and_saveexec_b32 s15, s0
; %bb.2411:                             ;   in Loop: Header=BB371_1567 Depth=1
	v_clz_i32_u32_e32 v15, v2
	s_delay_alu instid0(VALU_DEP_1) | instskip(NEXT) | instid1(VALU_DEP_1)
	v_min_u32_e32 v165, 32, v15
	v_subrev_nc_u32_e32 v15, 28, v165
	v_sub_nc_u32_e32 v165, 29, v165
	s_delay_alu instid0(VALU_DEP_2) | instskip(NEXT) | instid1(VALU_DEP_1)
	v_lshlrev_b64 v[15:16], v15, v[2:3]
	v_and_b32_e32 v15, 7, v15
; %bb.2412:                             ;   in Loop: Header=BB371_1567 Depth=1
	s_or_b32 exec_lo, exec_lo, s15
	v_lshlrev_b32_e32 v2, 8, v164
	v_lshl_add_u32 v16, v165, 10, 0x2000
	s_delay_alu instid0(VALU_DEP_1) | instskip(NEXT) | instid1(VALU_DEP_1)
	v_and_or_b32 v2, 0x8000, v2, v16
	v_lshl_or_b32 v2, v15, 7, v2
	s_delay_alu instid0(VALU_DEP_1)
	v_cvt_f32_f16_e32 v15, v2
.LBB371_2413:                           ;   in Loop: Header=BB371_1567 Depth=1
	s_or_b32 exec_lo, exec_lo, s13
.LBB371_2414:                           ;   in Loop: Header=BB371_1567 Depth=1
	s_delay_alu instid0(SALU_CYCLE_1)
	s_or_b32 exec_lo, exec_lo, s12
.LBB371_2415:                           ;   in Loop: Header=BB371_1567 Depth=1
	s_delay_alu instid0(SALU_CYCLE_1) | instskip(NEXT) | instid1(SALU_CYCLE_1)
	s_or_b32 exec_lo, exec_lo, s10
	s_mov_b32 s10, exec_lo
	v_cmpx_lt_u64_e64 s[8:9], v[13:14]
	s_cbranch_execz .LBB371_2423
; %bb.2416:                             ;   in Loop: Header=BB371_1567 Depth=1
	v_lshrrev_b32_e32 v16, 24, v14
	v_bfrev_b32_e32 v36, 1
	s_mov_b32 s12, exec_lo
	s_delay_alu instid0(VALU_DEP_2)
	v_cmpx_ne_u32_e32 0x80, v16
	s_cbranch_execz .LBB371_2422
; %bb.2417:                             ;   in Loop: Header=BB371_1567 Depth=1
	v_and_b32_e32 v164, 0x7f, v16
	v_mov_b32_e32 v36, 0x7fc02000
	s_mov_b32 s13, exec_lo
	s_delay_alu instid0(VALU_DEP_2)
	v_cmpx_ne_u32_e32 0x7f, v164
	s_cbranch_execz .LBB371_2421
; %bb.2418:                             ;   in Loop: Header=BB371_1567 Depth=1
	v_and_b32_e32 v2, 7, v16
	v_lshrrev_b32_e32 v36, 3, v164
	v_mov_b32_e32 v14, v3
	s_mov_b32 s15, exec_lo
	s_delay_alu instid0(VALU_DEP_3)
	v_mov_b32_e32 v13, v2
	v_cmpx_gt_u32_e32 8, v164
; %bb.2419:                             ;   in Loop: Header=BB371_1567 Depth=1
	v_clz_i32_u32_e32 v13, v2
	s_delay_alu instid0(VALU_DEP_1) | instskip(NEXT) | instid1(VALU_DEP_1)
	v_min_u32_e32 v36, 32, v13
	v_subrev_nc_u32_e32 v13, 28, v36
	v_sub_nc_u32_e32 v36, 29, v36
	s_delay_alu instid0(VALU_DEP_2) | instskip(NEXT) | instid1(VALU_DEP_1)
	v_lshlrev_b64 v[13:14], v13, v[2:3]
	v_and_b32_e32 v13, 7, v13
; %bb.2420:                             ;   in Loop: Header=BB371_1567 Depth=1
	s_or_b32 exec_lo, exec_lo, s15
	v_lshlrev_b32_e32 v2, 8, v16
	v_lshl_add_u32 v14, v36, 10, 0x2000
	s_delay_alu instid0(VALU_DEP_1) | instskip(NEXT) | instid1(VALU_DEP_1)
	v_and_or_b32 v2, 0x8000, v2, v14
	v_lshl_or_b32 v2, v13, 7, v2
	s_delay_alu instid0(VALU_DEP_1)
	v_cvt_f32_f16_e32 v36, v2
.LBB371_2421:                           ;   in Loop: Header=BB371_1567 Depth=1
	s_or_b32 exec_lo, exec_lo, s13
.LBB371_2422:                           ;   in Loop: Header=BB371_1567 Depth=1
	s_delay_alu instid0(SALU_CYCLE_1)
	s_or_b32 exec_lo, exec_lo, s12
.LBB371_2423:                           ;   in Loop: Header=BB371_1567 Depth=1
	s_delay_alu instid0(SALU_CYCLE_1)
	s_or_b32 exec_lo, exec_lo, s10
	s_waitcnt vmcnt(0) lgkmcnt(0)
	v_fma_mixlo_f16 v6, v4, v6, 0
	v_fma_mixlo_f16 v2, v4, v23, 0
	;; [unrolled: 1-line block ×5, first 2 shown]
	v_lshlrev_b32_e32 v14, 16, v6
	v_fma_mixlo_f16 v6, v4, v5, 0
	v_fma_mixlo_f16 v23, v4, v36, 0
	;; [unrolled: 1-line block ×3, first 2 shown]
	v_lshlrev_b32_e32 v2, 16, v2
	v_and_b32_e32 v13, 0xffff, v13
	v_and_b32_e32 v4, 0xffff, v6
	v_lshlrev_b32_e32 v15, 16, v16
	v_and_b32_e32 v16, 0xffff, v22
	v_lshlrev_b32_e32 v22, 16, v23
	v_and_b32_e32 v23, 0xffff, v5
	v_or_b32_e32 v6, v2, v13
	v_or_b32_e32 v13, v14, v4
	;; [unrolled: 1-line block ×3, first 2 shown]
	s_delay_alu instid0(VALU_DEP_4)
	v_or_b32_e32 v4, v22, v23
	s_and_saveexec_b32 s10, vcc_lo
	s_cbranch_execz .LBB371_2425
; %bb.2424:                             ;   in Loop: Header=BB371_1567 Depth=1
	v_cmp_lt_i32_e64 s0, v17, v37
	v_lshrrev_b32_e32 v14, 16, v13
	v_lshrrev_b32_e32 v15, 16, v6
	;; [unrolled: 1-line block ×4, first 2 shown]
	v_cndmask_b32_e64 v13, 0, v13, s0
	v_cmp_lt_i32_e64 s0, v117, v87
	s_delay_alu instid0(VALU_DEP_1) | instskip(SKIP_1) | instid1(VALU_DEP_2)
	v_cndmask_b32_e64 v14, 0, v14, s0
	v_cmp_lt_i32_e64 s0, v116, v87
	v_perm_b32 v13, v14, v13, 0x5040100
	s_delay_alu instid0(VALU_DEP_2) | instskip(SKIP_1) | instid1(VALU_DEP_1)
	v_cndmask_b32_e64 v15, 0, v15, s0
	v_cmp_lt_i32_e64 s0, v115, v37
	v_cndmask_b32_e64 v6, 0, v6, s0
	v_cmp_lt_i32_e64 s0, v114, v87
	s_delay_alu instid0(VALU_DEP_2) | instskip(NEXT) | instid1(VALU_DEP_2)
	v_perm_b32 v6, v15, v6, 0x5040100
	v_cndmask_b32_e64 v16, 0, v16, s0
	v_cmp_lt_i32_e64 s0, v113, v37
	s_delay_alu instid0(VALU_DEP_1) | instskip(SKIP_1) | instid1(VALU_DEP_2)
	v_cndmask_b32_e64 v2, 0, v2, s0
	v_cmp_lt_i32_e64 s0, v112, v87
	v_perm_b32 v2, v16, v2, 0x5040100
	s_delay_alu instid0(VALU_DEP_2) | instskip(SKIP_1) | instid1(VALU_DEP_1)
	v_cndmask_b32_e64 v4, 0, v4, s0
	v_cmp_lt_i32_e64 s0, v103, v37
	v_cndmask_b32_e64 v5, 0, v5, s0
	s_delay_alu instid0(VALU_DEP_1)
	v_perm_b32 v4, v4, v5, 0x5040100
.LBB371_2425:                           ;   in Loop: Header=BB371_1567 Depth=1
	s_or_b32 exec_lo, exec_lo, s10
	;;#ASMSTART
	v_pk_mul_f16 v5, v102, v13;

	;;#ASMEND
	;;#ASMSTART
	v_pk_mul_f16 v6, v100, v6;

	;;#ASMEND
	;; [unrolled: 4-line block ×4, first 2 shown]
	;;#ASMSTART
	v_pk_add_f16 v5, v5, v6;

	;;#ASMEND
	;;#ASMSTART
	v_pk_add_f16 v2, v5, v2;

	;;#ASMEND
	;; [unrolled: 4-line block ×3, first 2 shown]
	v_dual_mov_b32 v5, 0 :: v_dual_and_b32 v4, 0xffff, v2
	v_lshrrev_b32_e32 v2, 16, v2
	;;#ASMSTART
	v_cvt_f32_f16 v164, v4;
	;;#ASMEND
	;;#ASMSTART
	v_cvt_f32_f16 v165, v2;
	;;#ASMEND
	flat_load_b64 v[13:14], v[11:12] offset:3328
	flat_load_b32 v4, v[26:27]
	v_mov_b32_e32 v6, 0
	s_mov_b32 s10, exec_lo
	s_waitcnt vmcnt(1) lgkmcnt(1)
	v_and_b32_e32 v2, 0xff, v13
	s_delay_alu instid0(VALU_DEP_1)
	v_cmpx_ne_u16_e32 0, v2
	s_cbranch_execz .LBB371_2433
; %bb.2426:                             ;   in Loop: Header=BB371_1567 Depth=1
	v_bfrev_b32_e32 v5, 1
	s_mov_b32 s12, exec_lo
	v_cmpx_ne_u16_e32 0x80, v2
	s_cbranch_execz .LBB371_2432
; %bb.2427:                             ;   in Loop: Header=BB371_1567 Depth=1
	v_and_b32_e32 v15, 0x7f, v13
	v_mov_b32_e32 v5, 0x7fc02000
	s_mov_b32 s13, exec_lo
	s_delay_alu instid0(VALU_DEP_2)
	v_cmpx_ne_u32_e32 0x7f, v15
	s_cbranch_execz .LBB371_2431
; %bb.2428:                             ;   in Loop: Header=BB371_1567 Depth=1
	v_lshrrev_b32_e32 v2, 3, v15
	v_cmp_gt_u32_e64 s0, 8, v15
	v_dual_mov_b32 v16, v14 :: v_dual_mov_b32 v15, v13
	s_delay_alu instid0(VALU_DEP_2)
	s_and_saveexec_b32 s15, s0
; %bb.2429:                             ;   in Loop: Header=BB371_1567 Depth=1
	v_and_b32_e32 v2, 7, v13
	s_delay_alu instid0(VALU_DEP_1) | instskip(NEXT) | instid1(VALU_DEP_1)
	v_clz_i32_u32_e32 v2, v2
	v_min_u32_e32 v2, 32, v2
	s_delay_alu instid0(VALU_DEP_1) | instskip(SKIP_1) | instid1(VALU_DEP_2)
	v_subrev_nc_u32_e32 v5, 28, v2
	v_sub_nc_u32_e32 v2, 29, v2
	v_lshlrev_b64 v[15:16], v5, v[13:14]
; %bb.2430:                             ;   in Loop: Header=BB371_1567 Depth=1
	s_or_b32 exec_lo, exec_lo, s15
	v_lshlrev_b32_e32 v5, 8, v13
	s_delay_alu instid0(VALU_DEP_3) | instskip(NEXT) | instid1(VALU_DEP_3)
	v_lshl_add_u32 v2, v2, 10, 0x2000
	v_lshlrev_b32_e32 v15, 7, v15
	s_delay_alu instid0(VALU_DEP_2) | instskip(NEXT) | instid1(VALU_DEP_1)
	v_and_or_b32 v2, 0x8000, v5, v2
	v_and_or_b32 v2, 0x380, v15, v2
	s_delay_alu instid0(VALU_DEP_1)
	v_cvt_f32_f16_e32 v5, v2
.LBB371_2431:                           ;   in Loop: Header=BB371_1567 Depth=1
	s_or_b32 exec_lo, exec_lo, s13
.LBB371_2432:                           ;   in Loop: Header=BB371_1567 Depth=1
	s_delay_alu instid0(SALU_CYCLE_1)
	s_or_b32 exec_lo, exec_lo, s12
.LBB371_2433:                           ;   in Loop: Header=BB371_1567 Depth=1
	s_delay_alu instid0(SALU_CYCLE_1) | instskip(SKIP_2) | instid1(VALU_DEP_1)
	s_or_b32 exec_lo, exec_lo, s10
	v_lshrrev_b16 v2, 8, v13
	s_mov_b32 s10, exec_lo
	v_cmpx_ne_u16_e32 0, v2
	s_cbranch_execz .LBB371_2441
; %bb.2434:                             ;   in Loop: Header=BB371_1567 Depth=1
	v_bfrev_b32_e32 v6, 1
	s_mov_b32 s12, exec_lo
	v_cmpx_ne_u16_e32 0x80, v2
	s_cbranch_execz .LBB371_2440
; %bb.2435:                             ;   in Loop: Header=BB371_1567 Depth=1
	v_and_b32_e32 v22, 0xffff, v2
	v_mov_b32_e32 v6, 0x7fc02000
	s_mov_b32 s13, exec_lo
	s_delay_alu instid0(VALU_DEP_2) | instskip(NEXT) | instid1(VALU_DEP_1)
	v_and_b32_e32 v23, 0x7f, v22
	v_cmpx_ne_u32_e32 0x7f, v23
	s_cbranch_execz .LBB371_2439
; %bb.2436:                             ;   in Loop: Header=BB371_1567 Depth=1
	v_and_b32_e32 v2, 7, v22
	v_lshrrev_b32_e32 v6, 3, v23
	v_mov_b32_e32 v16, v3
	s_mov_b32 s15, exec_lo
	s_delay_alu instid0(VALU_DEP_3)
	v_mov_b32_e32 v15, v2
	v_cmpx_gt_u32_e32 8, v23
; %bb.2437:                             ;   in Loop: Header=BB371_1567 Depth=1
	v_clz_i32_u32_e32 v6, v2
	s_delay_alu instid0(VALU_DEP_1) | instskip(NEXT) | instid1(VALU_DEP_1)
	v_min_u32_e32 v6, 32, v6
	v_subrev_nc_u32_e32 v15, 28, v6
	v_sub_nc_u32_e32 v6, 29, v6
	s_delay_alu instid0(VALU_DEP_2) | instskip(NEXT) | instid1(VALU_DEP_1)
	v_lshlrev_b64 v[15:16], v15, v[2:3]
	v_and_b32_e32 v15, 7, v15
; %bb.2438:                             ;   in Loop: Header=BB371_1567 Depth=1
	s_or_b32 exec_lo, exec_lo, s15
	v_lshlrev_b32_e32 v2, 8, v22
	v_lshl_add_u32 v6, v6, 10, 0x2000
	s_delay_alu instid0(VALU_DEP_1) | instskip(NEXT) | instid1(VALU_DEP_1)
	v_and_or_b32 v2, 0x8000, v2, v6
	v_lshl_or_b32 v2, v15, 7, v2
	s_delay_alu instid0(VALU_DEP_1)
	v_cvt_f32_f16_e32 v6, v2
.LBB371_2439:                           ;   in Loop: Header=BB371_1567 Depth=1
	s_or_b32 exec_lo, exec_lo, s13
.LBB371_2440:                           ;   in Loop: Header=BB371_1567 Depth=1
	s_delay_alu instid0(SALU_CYCLE_1)
	s_or_b32 exec_lo, exec_lo, s12
.LBB371_2441:                           ;   in Loop: Header=BB371_1567 Depth=1
	s_delay_alu instid0(SALU_CYCLE_1) | instskip(SKIP_3) | instid1(VALU_DEP_2)
	s_or_b32 exec_lo, exec_lo, s10
	v_lshrrev_b32_e32 v34, 16, v13
	v_mov_b32_e32 v22, 0
	s_mov_b32 s10, exec_lo
	v_dual_mov_b32 v23, 0 :: v_dual_and_b32 v2, 0xff, v34
	s_delay_alu instid0(VALU_DEP_1)
	v_cmpx_ne_u16_e32 0, v2
	s_cbranch_execz .LBB371_2449
; %bb.2442:                             ;   in Loop: Header=BB371_1567 Depth=1
	v_bfrev_b32_e32 v22, 1
	s_mov_b32 s12, exec_lo
	v_cmpx_ne_u16_e32 0x80, v2
	s_cbranch_execz .LBB371_2448
; %bb.2443:                             ;   in Loop: Header=BB371_1567 Depth=1
	v_bfe_u32 v35, v13, 16, 7
	v_mov_b32_e32 v22, 0x7fc02000
	s_mov_b32 s13, exec_lo
	s_delay_alu instid0(VALU_DEP_2)
	v_cmpx_ne_u32_e32 0x7f, v35
	s_cbranch_execz .LBB371_2447
; %bb.2444:                             ;   in Loop: Header=BB371_1567 Depth=1
	v_and_b32_e32 v2, 7, v34
	v_lshrrev_b32_e32 v22, 3, v35
	v_mov_b32_e32 v16, v3
	s_mov_b32 s15, exec_lo
	s_delay_alu instid0(VALU_DEP_3)
	v_mov_b32_e32 v15, v2
	v_cmpx_gt_u32_e32 8, v35
; %bb.2445:                             ;   in Loop: Header=BB371_1567 Depth=1
	v_clz_i32_u32_e32 v15, v2
	s_delay_alu instid0(VALU_DEP_1) | instskip(NEXT) | instid1(VALU_DEP_1)
	v_min_u32_e32 v22, 32, v15
	v_subrev_nc_u32_e32 v15, 28, v22
	v_sub_nc_u32_e32 v22, 29, v22
	s_delay_alu instid0(VALU_DEP_2) | instskip(NEXT) | instid1(VALU_DEP_1)
	v_lshlrev_b64 v[15:16], v15, v[2:3]
	v_and_b32_e32 v15, 7, v15
; %bb.2446:                             ;   in Loop: Header=BB371_1567 Depth=1
	s_or_b32 exec_lo, exec_lo, s15
	v_lshlrev_b32_e32 v2, 8, v34
	v_lshl_add_u32 v16, v22, 10, 0x2000
	s_delay_alu instid0(VALU_DEP_1) | instskip(NEXT) | instid1(VALU_DEP_1)
	v_and_or_b32 v2, 0x8000, v2, v16
	v_lshl_or_b32 v2, v15, 7, v2
	s_delay_alu instid0(VALU_DEP_1)
	v_cvt_f32_f16_e32 v22, v2
.LBB371_2447:                           ;   in Loop: Header=BB371_1567 Depth=1
	s_or_b32 exec_lo, exec_lo, s13
.LBB371_2448:                           ;   in Loop: Header=BB371_1567 Depth=1
	s_delay_alu instid0(SALU_CYCLE_1)
	s_or_b32 exec_lo, exec_lo, s12
.LBB371_2449:                           ;   in Loop: Header=BB371_1567 Depth=1
	s_delay_alu instid0(SALU_CYCLE_1) | instskip(NEXT) | instid1(SALU_CYCLE_1)
	s_or_b32 exec_lo, exec_lo, s10
	s_mov_b32 s10, exec_lo
	v_cmpx_lt_u32_e32 0xffffff, v13
	s_cbranch_execz .LBB371_2457
; %bb.2450:                             ;   in Loop: Header=BB371_1567 Depth=1
	v_lshrrev_b32_e32 v34, 24, v13
	v_bfrev_b32_e32 v23, 1
	s_mov_b32 s12, exec_lo
	s_delay_alu instid0(VALU_DEP_2)
	v_cmpx_ne_u32_e32 0x80, v34
	s_cbranch_execz .LBB371_2456
; %bb.2451:                             ;   in Loop: Header=BB371_1567 Depth=1
	v_and_b32_e32 v35, 0x7f, v34
	v_mov_b32_e32 v23, 0x7fc02000
	s_mov_b32 s13, exec_lo
	s_delay_alu instid0(VALU_DEP_2)
	v_cmpx_ne_u32_e32 0x7f, v35
	s_cbranch_execz .LBB371_2455
; %bb.2452:                             ;   in Loop: Header=BB371_1567 Depth=1
	v_and_b32_e32 v2, 7, v34
	v_lshrrev_b32_e32 v23, 3, v35
	v_mov_b32_e32 v16, v3
	s_mov_b32 s15, exec_lo
	s_delay_alu instid0(VALU_DEP_3)
	v_mov_b32_e32 v15, v2
	v_cmpx_gt_u32_e32 8, v35
; %bb.2453:                             ;   in Loop: Header=BB371_1567 Depth=1
	v_clz_i32_u32_e32 v15, v2
	s_delay_alu instid0(VALU_DEP_1) | instskip(NEXT) | instid1(VALU_DEP_1)
	v_min_u32_e32 v23, 32, v15
	v_subrev_nc_u32_e32 v15, 28, v23
	v_sub_nc_u32_e32 v23, 29, v23
	s_delay_alu instid0(VALU_DEP_2) | instskip(NEXT) | instid1(VALU_DEP_1)
	v_lshlrev_b64 v[15:16], v15, v[2:3]
	v_and_b32_e32 v15, 7, v15
; %bb.2454:                             ;   in Loop: Header=BB371_1567 Depth=1
	s_or_b32 exec_lo, exec_lo, s15
	v_lshlrev_b32_e32 v2, 8, v34
	v_lshl_add_u32 v16, v23, 10, 0x2000
	s_delay_alu instid0(VALU_DEP_1) | instskip(NEXT) | instid1(VALU_DEP_1)
	v_and_or_b32 v2, 0x8000, v2, v16
	v_lshl_or_b32 v2, v15, 7, v2
	s_delay_alu instid0(VALU_DEP_1)
	v_cvt_f32_f16_e32 v23, v2
.LBB371_2455:                           ;   in Loop: Header=BB371_1567 Depth=1
	s_or_b32 exec_lo, exec_lo, s13
.LBB371_2456:                           ;   in Loop: Header=BB371_1567 Depth=1
	s_delay_alu instid0(SALU_CYCLE_1)
	s_or_b32 exec_lo, exec_lo, s12
.LBB371_2457:                           ;   in Loop: Header=BB371_1567 Depth=1
	s_delay_alu instid0(SALU_CYCLE_1) | instskip(SKIP_3) | instid1(VALU_DEP_2)
	s_or_b32 exec_lo, exec_lo, s10
	v_dual_mov_b32 v2, v14 :: v_dual_and_b32 v15, 0xff, v14
	v_dual_mov_b32 v35, 0 :: v_dual_mov_b32 v34, 0
	s_mov_b32 s10, exec_lo
	v_cmpx_ne_u16_e32 0, v15
	s_cbranch_execz .LBB371_2465
; %bb.2458:                             ;   in Loop: Header=BB371_1567 Depth=1
	v_bfrev_b32_e32 v34, 1
	s_mov_b32 s12, exec_lo
	v_cmpx_ne_u16_e32 0x80, v15
	s_cbranch_execz .LBB371_2464
; %bb.2459:                             ;   in Loop: Header=BB371_1567 Depth=1
	v_and_b32_e32 v36, 0x7f, v14
	v_mov_b32_e32 v34, 0x7fc02000
	s_mov_b32 s13, exec_lo
	s_delay_alu instid0(VALU_DEP_2)
	v_cmpx_ne_u32_e32 0x7f, v36
	s_cbranch_execz .LBB371_2463
; %bb.2460:                             ;   in Loop: Header=BB371_1567 Depth=1
	v_dual_mov_b32 v16, v3 :: v_dual_mov_b32 v15, v2
	v_lshrrev_b32_e32 v16, 3, v36
	s_mov_b32 s15, exec_lo
	v_cmpx_gt_u32_e32 8, v36
; %bb.2461:                             ;   in Loop: Header=BB371_1567 Depth=1
	v_and_b32_e32 v15, 7, v14
	s_delay_alu instid0(VALU_DEP_1) | instskip(NEXT) | instid1(VALU_DEP_1)
	v_clz_i32_u32_e32 v15, v15
	v_min_u32_e32 v34, 32, v15
	s_delay_alu instid0(VALU_DEP_1) | instskip(NEXT) | instid1(VALU_DEP_1)
	v_subrev_nc_u32_e32 v15, 28, v34
	v_lshlrev_b64 v[15:16], v15, v[2:3]
	v_sub_nc_u32_e32 v16, 29, v34
; %bb.2462:                             ;   in Loop: Header=BB371_1567 Depth=1
	s_or_b32 exec_lo, exec_lo, s15
	v_lshlrev_b32_e32 v34, 8, v14
	s_delay_alu instid0(VALU_DEP_2) | instskip(NEXT) | instid1(VALU_DEP_4)
	v_lshl_add_u32 v16, v16, 10, 0x2000
	v_lshlrev_b32_e32 v15, 7, v15
	s_delay_alu instid0(VALU_DEP_2) | instskip(NEXT) | instid1(VALU_DEP_1)
	v_and_or_b32 v16, 0x8000, v34, v16
	v_and_or_b32 v15, 0x380, v15, v16
	s_delay_alu instid0(VALU_DEP_1)
	v_cvt_f32_f16_e32 v34, v15
.LBB371_2463:                           ;   in Loop: Header=BB371_1567 Depth=1
	s_or_b32 exec_lo, exec_lo, s13
.LBB371_2464:                           ;   in Loop: Header=BB371_1567 Depth=1
	s_delay_alu instid0(SALU_CYCLE_1)
	s_or_b32 exec_lo, exec_lo, s12
.LBB371_2465:                           ;   in Loop: Header=BB371_1567 Depth=1
	s_delay_alu instid0(SALU_CYCLE_1) | instskip(SKIP_2) | instid1(VALU_DEP_1)
	s_or_b32 exec_lo, exec_lo, s10
	v_lshrrev_b16 v2, 8, v2
	s_mov_b32 s10, exec_lo
	v_cmpx_ne_u16_e32 0, v2
	s_cbranch_execz .LBB371_2473
; %bb.2466:                             ;   in Loop: Header=BB371_1567 Depth=1
	v_bfrev_b32_e32 v35, 1
	s_mov_b32 s12, exec_lo
	v_cmpx_ne_u16_e32 0x80, v2
	s_cbranch_execz .LBB371_2472
; %bb.2467:                             ;   in Loop: Header=BB371_1567 Depth=1
	v_and_b32_e32 v36, 0xffff, v2
	v_mov_b32_e32 v35, 0x7fc02000
	s_mov_b32 s13, exec_lo
	s_delay_alu instid0(VALU_DEP_2) | instskip(NEXT) | instid1(VALU_DEP_1)
	v_and_b32_e32 v166, 0x7f, v36
	v_cmpx_ne_u32_e32 0x7f, v166
	s_cbranch_execz .LBB371_2471
; %bb.2468:                             ;   in Loop: Header=BB371_1567 Depth=1
	v_and_b32_e32 v2, 7, v36
	v_lshrrev_b32_e32 v35, 3, v166
	v_mov_b32_e32 v16, v3
	s_mov_b32 s15, exec_lo
	s_delay_alu instid0(VALU_DEP_3)
	v_mov_b32_e32 v15, v2
	v_cmpx_gt_u32_e32 8, v166
; %bb.2469:                             ;   in Loop: Header=BB371_1567 Depth=1
	v_clz_i32_u32_e32 v15, v2
	s_delay_alu instid0(VALU_DEP_1) | instskip(NEXT) | instid1(VALU_DEP_1)
	v_min_u32_e32 v35, 32, v15
	v_subrev_nc_u32_e32 v15, 28, v35
	v_sub_nc_u32_e32 v35, 29, v35
	s_delay_alu instid0(VALU_DEP_2) | instskip(NEXT) | instid1(VALU_DEP_1)
	v_lshlrev_b64 v[15:16], v15, v[2:3]
	v_and_b32_e32 v15, 7, v15
; %bb.2470:                             ;   in Loop: Header=BB371_1567 Depth=1
	s_or_b32 exec_lo, exec_lo, s15
	v_lshlrev_b32_e32 v2, 8, v36
	v_lshl_add_u32 v16, v35, 10, 0x2000
	s_delay_alu instid0(VALU_DEP_1) | instskip(NEXT) | instid1(VALU_DEP_1)
	v_and_or_b32 v2, 0x8000, v2, v16
	v_lshl_or_b32 v2, v15, 7, v2
	s_delay_alu instid0(VALU_DEP_1)
	v_cvt_f32_f16_e32 v35, v2
.LBB371_2471:                           ;   in Loop: Header=BB371_1567 Depth=1
	s_or_b32 exec_lo, exec_lo, s13
.LBB371_2472:                           ;   in Loop: Header=BB371_1567 Depth=1
	s_delay_alu instid0(SALU_CYCLE_1)
	s_or_b32 exec_lo, exec_lo, s12
.LBB371_2473:                           ;   in Loop: Header=BB371_1567 Depth=1
	s_delay_alu instid0(SALU_CYCLE_1) | instskip(SKIP_3) | instid1(VALU_DEP_2)
	s_or_b32 exec_lo, exec_lo, s10
	v_lshrrev_b32_e32 v166, 16, v14
	v_mov_b32_e32 v36, 0
	s_mov_b32 s10, exec_lo
	v_dual_mov_b32 v15, 0 :: v_dual_and_b32 v2, 0xff, v166
	s_delay_alu instid0(VALU_DEP_1)
	v_cmpx_ne_u16_e32 0, v2
	s_cbranch_execz .LBB371_2481
; %bb.2474:                             ;   in Loop: Header=BB371_1567 Depth=1
	v_bfrev_b32_e32 v15, 1
	s_mov_b32 s12, exec_lo
	v_cmpx_ne_u16_e32 0x80, v2
	s_cbranch_execz .LBB371_2480
; %bb.2475:                             ;   in Loop: Header=BB371_1567 Depth=1
	v_bfe_u32 v176, v14, 16, 7
	v_mov_b32_e32 v15, 0x7fc02000
	s_mov_b32 s13, exec_lo
	s_delay_alu instid0(VALU_DEP_2)
	v_cmpx_ne_u32_e32 0x7f, v176
	s_cbranch_execz .LBB371_2479
; %bb.2476:                             ;   in Loop: Header=BB371_1567 Depth=1
	v_and_b32_e32 v2, 7, v166
	v_lshrrev_b32_e32 v167, 3, v176
	v_mov_b32_e32 v16, v3
	s_mov_b32 s15, exec_lo
	s_delay_alu instid0(VALU_DEP_3)
	v_mov_b32_e32 v15, v2
	v_cmpx_gt_u32_e32 8, v176
; %bb.2477:                             ;   in Loop: Header=BB371_1567 Depth=1
	v_clz_i32_u32_e32 v15, v2
	s_delay_alu instid0(VALU_DEP_1) | instskip(NEXT) | instid1(VALU_DEP_1)
	v_min_u32_e32 v167, 32, v15
	v_subrev_nc_u32_e32 v15, 28, v167
	v_sub_nc_u32_e32 v167, 29, v167
	s_delay_alu instid0(VALU_DEP_2) | instskip(NEXT) | instid1(VALU_DEP_1)
	v_lshlrev_b64 v[15:16], v15, v[2:3]
	v_and_b32_e32 v15, 7, v15
; %bb.2478:                             ;   in Loop: Header=BB371_1567 Depth=1
	s_or_b32 exec_lo, exec_lo, s15
	v_lshlrev_b32_e32 v2, 8, v166
	v_lshl_add_u32 v16, v167, 10, 0x2000
	s_delay_alu instid0(VALU_DEP_1) | instskip(NEXT) | instid1(VALU_DEP_1)
	v_and_or_b32 v2, 0x8000, v2, v16
	v_lshl_or_b32 v2, v15, 7, v2
	s_delay_alu instid0(VALU_DEP_1)
	v_cvt_f32_f16_e32 v15, v2
.LBB371_2479:                           ;   in Loop: Header=BB371_1567 Depth=1
	s_or_b32 exec_lo, exec_lo, s13
.LBB371_2480:                           ;   in Loop: Header=BB371_1567 Depth=1
	s_delay_alu instid0(SALU_CYCLE_1)
	s_or_b32 exec_lo, exec_lo, s12
.LBB371_2481:                           ;   in Loop: Header=BB371_1567 Depth=1
	s_delay_alu instid0(SALU_CYCLE_1) | instskip(NEXT) | instid1(SALU_CYCLE_1)
	s_or_b32 exec_lo, exec_lo, s10
	s_mov_b32 s10, exec_lo
	v_cmpx_lt_u64_e64 s[8:9], v[13:14]
	s_cbranch_execz .LBB371_2489
; %bb.2482:                             ;   in Loop: Header=BB371_1567 Depth=1
	v_lshrrev_b32_e32 v16, 24, v14
	v_bfrev_b32_e32 v36, 1
	s_mov_b32 s12, exec_lo
	s_delay_alu instid0(VALU_DEP_2)
	v_cmpx_ne_u32_e32 0x80, v16
	s_cbranch_execz .LBB371_2488
; %bb.2483:                             ;   in Loop: Header=BB371_1567 Depth=1
	v_and_b32_e32 v166, 0x7f, v16
	v_mov_b32_e32 v36, 0x7fc02000
	s_mov_b32 s13, exec_lo
	s_delay_alu instid0(VALU_DEP_2)
	v_cmpx_ne_u32_e32 0x7f, v166
	s_cbranch_execz .LBB371_2487
; %bb.2484:                             ;   in Loop: Header=BB371_1567 Depth=1
	v_and_b32_e32 v2, 7, v16
	v_lshrrev_b32_e32 v36, 3, v166
	v_mov_b32_e32 v14, v3
	s_mov_b32 s15, exec_lo
	s_delay_alu instid0(VALU_DEP_3)
	v_mov_b32_e32 v13, v2
	v_cmpx_gt_u32_e32 8, v166
; %bb.2485:                             ;   in Loop: Header=BB371_1567 Depth=1
	v_clz_i32_u32_e32 v13, v2
	s_delay_alu instid0(VALU_DEP_1) | instskip(NEXT) | instid1(VALU_DEP_1)
	v_min_u32_e32 v36, 32, v13
	v_subrev_nc_u32_e32 v13, 28, v36
	v_sub_nc_u32_e32 v36, 29, v36
	s_delay_alu instid0(VALU_DEP_2) | instskip(NEXT) | instid1(VALU_DEP_1)
	v_lshlrev_b64 v[13:14], v13, v[2:3]
	v_and_b32_e32 v13, 7, v13
; %bb.2486:                             ;   in Loop: Header=BB371_1567 Depth=1
	s_or_b32 exec_lo, exec_lo, s15
	v_lshlrev_b32_e32 v2, 8, v16
	v_lshl_add_u32 v14, v36, 10, 0x2000
	s_delay_alu instid0(VALU_DEP_1) | instskip(NEXT) | instid1(VALU_DEP_1)
	v_and_or_b32 v2, 0x8000, v2, v14
	v_lshl_or_b32 v2, v13, 7, v2
	s_delay_alu instid0(VALU_DEP_1)
	v_cvt_f32_f16_e32 v36, v2
.LBB371_2487:                           ;   in Loop: Header=BB371_1567 Depth=1
	s_or_b32 exec_lo, exec_lo, s13
.LBB371_2488:                           ;   in Loop: Header=BB371_1567 Depth=1
	s_delay_alu instid0(SALU_CYCLE_1)
	s_or_b32 exec_lo, exec_lo, s12
.LBB371_2489:                           ;   in Loop: Header=BB371_1567 Depth=1
	s_delay_alu instid0(SALU_CYCLE_1)
	s_or_b32 exec_lo, exec_lo, s10
	s_waitcnt vmcnt(0) lgkmcnt(0)
	v_fma_mixlo_f16 v6, v4, v6, 0
	v_fma_mixlo_f16 v2, v4, v23, 0
	;; [unrolled: 1-line block ×5, first 2 shown]
	v_lshlrev_b32_e32 v14, 16, v6
	v_fma_mixlo_f16 v6, v4, v5, 0
	v_fma_mixlo_f16 v23, v4, v36, 0
	;; [unrolled: 1-line block ×3, first 2 shown]
	v_lshlrev_b32_e32 v2, 16, v2
	v_and_b32_e32 v13, 0xffff, v13
	v_and_b32_e32 v4, 0xffff, v6
	v_lshlrev_b32_e32 v15, 16, v16
	v_and_b32_e32 v16, 0xffff, v22
	v_lshlrev_b32_e32 v22, 16, v23
	v_and_b32_e32 v23, 0xffff, v5
	v_or_b32_e32 v6, v2, v13
	v_or_b32_e32 v13, v14, v4
	v_or_b32_e32 v2, v15, v16
	s_delay_alu instid0(VALU_DEP_4)
	v_or_b32_e32 v4, v22, v23
	s_and_saveexec_b32 s10, vcc_lo
	s_cbranch_execz .LBB371_2491
; %bb.2490:                             ;   in Loop: Header=BB371_1567 Depth=1
	v_cmp_lt_i32_e64 s0, v17, v37
	v_lshrrev_b32_e32 v14, 16, v13
	v_lshrrev_b32_e32 v15, 16, v6
	;; [unrolled: 1-line block ×4, first 2 shown]
	v_cndmask_b32_e64 v13, 0, v13, s0
	v_cmp_lt_i32_e64 s0, v117, v87
	s_delay_alu instid0(VALU_DEP_1) | instskip(SKIP_1) | instid1(VALU_DEP_2)
	v_cndmask_b32_e64 v14, 0, v14, s0
	v_cmp_lt_i32_e64 s0, v116, v87
	v_perm_b32 v13, v14, v13, 0x5040100
	s_delay_alu instid0(VALU_DEP_2) | instskip(SKIP_1) | instid1(VALU_DEP_1)
	v_cndmask_b32_e64 v15, 0, v15, s0
	v_cmp_lt_i32_e64 s0, v115, v37
	v_cndmask_b32_e64 v6, 0, v6, s0
	v_cmp_lt_i32_e64 s0, v114, v87
	s_delay_alu instid0(VALU_DEP_2) | instskip(NEXT) | instid1(VALU_DEP_2)
	v_perm_b32 v6, v15, v6, 0x5040100
	v_cndmask_b32_e64 v16, 0, v16, s0
	v_cmp_lt_i32_e64 s0, v113, v37
	s_delay_alu instid0(VALU_DEP_1) | instskip(SKIP_1) | instid1(VALU_DEP_2)
	v_cndmask_b32_e64 v2, 0, v2, s0
	v_cmp_lt_i32_e64 s0, v112, v87
	v_perm_b32 v2, v16, v2, 0x5040100
	s_delay_alu instid0(VALU_DEP_2) | instskip(SKIP_1) | instid1(VALU_DEP_1)
	v_cndmask_b32_e64 v4, 0, v4, s0
	v_cmp_lt_i32_e64 s0, v103, v37
	v_cndmask_b32_e64 v5, 0, v5, s0
	s_delay_alu instid0(VALU_DEP_1)
	v_perm_b32 v4, v4, v5, 0x5040100
.LBB371_2491:                           ;   in Loop: Header=BB371_1567 Depth=1
	s_or_b32 exec_lo, exec_lo, s10
	;;#ASMSTART
	v_pk_mul_f16 v5, v102, v13;

	;;#ASMEND
	;;#ASMSTART
	v_pk_mul_f16 v6, v100, v6;

	;;#ASMEND
	;; [unrolled: 4-line block ×4, first 2 shown]
	;;#ASMSTART
	v_pk_add_f16 v5, v5, v6;

	;;#ASMEND
	;;#ASMSTART
	v_pk_add_f16 v2, v5, v2;

	;;#ASMEND
	;; [unrolled: 4-line block ×3, first 2 shown]
	v_dual_mov_b32 v5, 0 :: v_dual_and_b32 v4, 0xffff, v2
	v_lshrrev_b32_e32 v2, 16, v2
	;;#ASMSTART
	v_cvt_f32_f16 v166, v4;
	;;#ASMEND
	;;#ASMSTART
	v_cvt_f32_f16 v167, v2;
	;;#ASMEND
	flat_load_b64 v[13:14], v[11:12] offset:3584
	flat_load_b32 v4, v[26:27]
	v_mov_b32_e32 v6, 0
	s_mov_b32 s10, exec_lo
	s_waitcnt vmcnt(1) lgkmcnt(1)
	v_and_b32_e32 v2, 0xff, v13
	s_delay_alu instid0(VALU_DEP_1)
	v_cmpx_ne_u16_e32 0, v2
	s_cbranch_execz .LBB371_2499
; %bb.2492:                             ;   in Loop: Header=BB371_1567 Depth=1
	v_bfrev_b32_e32 v5, 1
	s_mov_b32 s12, exec_lo
	v_cmpx_ne_u16_e32 0x80, v2
	s_cbranch_execz .LBB371_2498
; %bb.2493:                             ;   in Loop: Header=BB371_1567 Depth=1
	v_and_b32_e32 v15, 0x7f, v13
	v_mov_b32_e32 v5, 0x7fc02000
	s_mov_b32 s13, exec_lo
	s_delay_alu instid0(VALU_DEP_2)
	v_cmpx_ne_u32_e32 0x7f, v15
	s_cbranch_execz .LBB371_2497
; %bb.2494:                             ;   in Loop: Header=BB371_1567 Depth=1
	v_lshrrev_b32_e32 v2, 3, v15
	v_cmp_gt_u32_e64 s0, 8, v15
	v_dual_mov_b32 v16, v14 :: v_dual_mov_b32 v15, v13
	s_delay_alu instid0(VALU_DEP_2)
	s_and_saveexec_b32 s15, s0
; %bb.2495:                             ;   in Loop: Header=BB371_1567 Depth=1
	v_and_b32_e32 v2, 7, v13
	s_delay_alu instid0(VALU_DEP_1) | instskip(NEXT) | instid1(VALU_DEP_1)
	v_clz_i32_u32_e32 v2, v2
	v_min_u32_e32 v2, 32, v2
	s_delay_alu instid0(VALU_DEP_1) | instskip(SKIP_1) | instid1(VALU_DEP_2)
	v_subrev_nc_u32_e32 v5, 28, v2
	v_sub_nc_u32_e32 v2, 29, v2
	v_lshlrev_b64 v[15:16], v5, v[13:14]
; %bb.2496:                             ;   in Loop: Header=BB371_1567 Depth=1
	s_or_b32 exec_lo, exec_lo, s15
	v_lshlrev_b32_e32 v5, 8, v13
	s_delay_alu instid0(VALU_DEP_3) | instskip(NEXT) | instid1(VALU_DEP_3)
	v_lshl_add_u32 v2, v2, 10, 0x2000
	v_lshlrev_b32_e32 v15, 7, v15
	s_delay_alu instid0(VALU_DEP_2) | instskip(NEXT) | instid1(VALU_DEP_1)
	v_and_or_b32 v2, 0x8000, v5, v2
	v_and_or_b32 v2, 0x380, v15, v2
	s_delay_alu instid0(VALU_DEP_1)
	v_cvt_f32_f16_e32 v5, v2
.LBB371_2497:                           ;   in Loop: Header=BB371_1567 Depth=1
	s_or_b32 exec_lo, exec_lo, s13
.LBB371_2498:                           ;   in Loop: Header=BB371_1567 Depth=1
	s_delay_alu instid0(SALU_CYCLE_1)
	s_or_b32 exec_lo, exec_lo, s12
.LBB371_2499:                           ;   in Loop: Header=BB371_1567 Depth=1
	s_delay_alu instid0(SALU_CYCLE_1) | instskip(SKIP_2) | instid1(VALU_DEP_1)
	s_or_b32 exec_lo, exec_lo, s10
	v_lshrrev_b16 v2, 8, v13
	s_mov_b32 s10, exec_lo
	v_cmpx_ne_u16_e32 0, v2
	s_cbranch_execz .LBB371_2507
; %bb.2500:                             ;   in Loop: Header=BB371_1567 Depth=1
	v_bfrev_b32_e32 v6, 1
	s_mov_b32 s12, exec_lo
	v_cmpx_ne_u16_e32 0x80, v2
	s_cbranch_execz .LBB371_2506
; %bb.2501:                             ;   in Loop: Header=BB371_1567 Depth=1
	v_and_b32_e32 v22, 0xffff, v2
	v_mov_b32_e32 v6, 0x7fc02000
	s_mov_b32 s13, exec_lo
	s_delay_alu instid0(VALU_DEP_2) | instskip(NEXT) | instid1(VALU_DEP_1)
	v_and_b32_e32 v23, 0x7f, v22
	v_cmpx_ne_u32_e32 0x7f, v23
	s_cbranch_execz .LBB371_2505
; %bb.2502:                             ;   in Loop: Header=BB371_1567 Depth=1
	v_and_b32_e32 v2, 7, v22
	v_lshrrev_b32_e32 v6, 3, v23
	v_mov_b32_e32 v16, v3
	s_mov_b32 s15, exec_lo
	s_delay_alu instid0(VALU_DEP_3)
	v_mov_b32_e32 v15, v2
	v_cmpx_gt_u32_e32 8, v23
; %bb.2503:                             ;   in Loop: Header=BB371_1567 Depth=1
	v_clz_i32_u32_e32 v6, v2
	s_delay_alu instid0(VALU_DEP_1) | instskip(NEXT) | instid1(VALU_DEP_1)
	v_min_u32_e32 v6, 32, v6
	v_subrev_nc_u32_e32 v15, 28, v6
	v_sub_nc_u32_e32 v6, 29, v6
	s_delay_alu instid0(VALU_DEP_2) | instskip(NEXT) | instid1(VALU_DEP_1)
	v_lshlrev_b64 v[15:16], v15, v[2:3]
	v_and_b32_e32 v15, 7, v15
; %bb.2504:                             ;   in Loop: Header=BB371_1567 Depth=1
	s_or_b32 exec_lo, exec_lo, s15
	v_lshlrev_b32_e32 v2, 8, v22
	v_lshl_add_u32 v6, v6, 10, 0x2000
	s_delay_alu instid0(VALU_DEP_1) | instskip(NEXT) | instid1(VALU_DEP_1)
	v_and_or_b32 v2, 0x8000, v2, v6
	v_lshl_or_b32 v2, v15, 7, v2
	s_delay_alu instid0(VALU_DEP_1)
	v_cvt_f32_f16_e32 v6, v2
.LBB371_2505:                           ;   in Loop: Header=BB371_1567 Depth=1
	s_or_b32 exec_lo, exec_lo, s13
.LBB371_2506:                           ;   in Loop: Header=BB371_1567 Depth=1
	s_delay_alu instid0(SALU_CYCLE_1)
	s_or_b32 exec_lo, exec_lo, s12
.LBB371_2507:                           ;   in Loop: Header=BB371_1567 Depth=1
	s_delay_alu instid0(SALU_CYCLE_1) | instskip(SKIP_3) | instid1(VALU_DEP_2)
	s_or_b32 exec_lo, exec_lo, s10
	v_lshrrev_b32_e32 v34, 16, v13
	v_mov_b32_e32 v22, 0
	s_mov_b32 s10, exec_lo
	v_dual_mov_b32 v23, 0 :: v_dual_and_b32 v2, 0xff, v34
	s_delay_alu instid0(VALU_DEP_1)
	v_cmpx_ne_u16_e32 0, v2
	s_cbranch_execz .LBB371_2515
; %bb.2508:                             ;   in Loop: Header=BB371_1567 Depth=1
	v_bfrev_b32_e32 v22, 1
	s_mov_b32 s12, exec_lo
	v_cmpx_ne_u16_e32 0x80, v2
	s_cbranch_execz .LBB371_2514
; %bb.2509:                             ;   in Loop: Header=BB371_1567 Depth=1
	v_bfe_u32 v35, v13, 16, 7
	v_mov_b32_e32 v22, 0x7fc02000
	s_mov_b32 s13, exec_lo
	s_delay_alu instid0(VALU_DEP_2)
	v_cmpx_ne_u32_e32 0x7f, v35
	s_cbranch_execz .LBB371_2513
; %bb.2510:                             ;   in Loop: Header=BB371_1567 Depth=1
	v_and_b32_e32 v2, 7, v34
	v_lshrrev_b32_e32 v22, 3, v35
	v_mov_b32_e32 v16, v3
	s_mov_b32 s15, exec_lo
	s_delay_alu instid0(VALU_DEP_3)
	v_mov_b32_e32 v15, v2
	v_cmpx_gt_u32_e32 8, v35
; %bb.2511:                             ;   in Loop: Header=BB371_1567 Depth=1
	v_clz_i32_u32_e32 v15, v2
	s_delay_alu instid0(VALU_DEP_1) | instskip(NEXT) | instid1(VALU_DEP_1)
	v_min_u32_e32 v22, 32, v15
	v_subrev_nc_u32_e32 v15, 28, v22
	v_sub_nc_u32_e32 v22, 29, v22
	s_delay_alu instid0(VALU_DEP_2) | instskip(NEXT) | instid1(VALU_DEP_1)
	v_lshlrev_b64 v[15:16], v15, v[2:3]
	v_and_b32_e32 v15, 7, v15
; %bb.2512:                             ;   in Loop: Header=BB371_1567 Depth=1
	s_or_b32 exec_lo, exec_lo, s15
	v_lshlrev_b32_e32 v2, 8, v34
	v_lshl_add_u32 v16, v22, 10, 0x2000
	s_delay_alu instid0(VALU_DEP_1) | instskip(NEXT) | instid1(VALU_DEP_1)
	v_and_or_b32 v2, 0x8000, v2, v16
	v_lshl_or_b32 v2, v15, 7, v2
	s_delay_alu instid0(VALU_DEP_1)
	v_cvt_f32_f16_e32 v22, v2
.LBB371_2513:                           ;   in Loop: Header=BB371_1567 Depth=1
	s_or_b32 exec_lo, exec_lo, s13
.LBB371_2514:                           ;   in Loop: Header=BB371_1567 Depth=1
	s_delay_alu instid0(SALU_CYCLE_1)
	s_or_b32 exec_lo, exec_lo, s12
.LBB371_2515:                           ;   in Loop: Header=BB371_1567 Depth=1
	s_delay_alu instid0(SALU_CYCLE_1) | instskip(NEXT) | instid1(SALU_CYCLE_1)
	s_or_b32 exec_lo, exec_lo, s10
	s_mov_b32 s10, exec_lo
	v_cmpx_lt_u32_e32 0xffffff, v13
	s_cbranch_execz .LBB371_2523
; %bb.2516:                             ;   in Loop: Header=BB371_1567 Depth=1
	v_lshrrev_b32_e32 v34, 24, v13
	v_bfrev_b32_e32 v23, 1
	s_mov_b32 s12, exec_lo
	s_delay_alu instid0(VALU_DEP_2)
	v_cmpx_ne_u32_e32 0x80, v34
	s_cbranch_execz .LBB371_2522
; %bb.2517:                             ;   in Loop: Header=BB371_1567 Depth=1
	v_and_b32_e32 v35, 0x7f, v34
	v_mov_b32_e32 v23, 0x7fc02000
	s_mov_b32 s13, exec_lo
	s_delay_alu instid0(VALU_DEP_2)
	v_cmpx_ne_u32_e32 0x7f, v35
	s_cbranch_execz .LBB371_2521
; %bb.2518:                             ;   in Loop: Header=BB371_1567 Depth=1
	v_and_b32_e32 v2, 7, v34
	v_lshrrev_b32_e32 v23, 3, v35
	v_mov_b32_e32 v16, v3
	s_mov_b32 s15, exec_lo
	s_delay_alu instid0(VALU_DEP_3)
	v_mov_b32_e32 v15, v2
	v_cmpx_gt_u32_e32 8, v35
; %bb.2519:                             ;   in Loop: Header=BB371_1567 Depth=1
	v_clz_i32_u32_e32 v15, v2
	s_delay_alu instid0(VALU_DEP_1) | instskip(NEXT) | instid1(VALU_DEP_1)
	v_min_u32_e32 v23, 32, v15
	v_subrev_nc_u32_e32 v15, 28, v23
	v_sub_nc_u32_e32 v23, 29, v23
	s_delay_alu instid0(VALU_DEP_2) | instskip(NEXT) | instid1(VALU_DEP_1)
	v_lshlrev_b64 v[15:16], v15, v[2:3]
	v_and_b32_e32 v15, 7, v15
; %bb.2520:                             ;   in Loop: Header=BB371_1567 Depth=1
	s_or_b32 exec_lo, exec_lo, s15
	v_lshlrev_b32_e32 v2, 8, v34
	v_lshl_add_u32 v16, v23, 10, 0x2000
	s_delay_alu instid0(VALU_DEP_1) | instskip(NEXT) | instid1(VALU_DEP_1)
	v_and_or_b32 v2, 0x8000, v2, v16
	v_lshl_or_b32 v2, v15, 7, v2
	s_delay_alu instid0(VALU_DEP_1)
	v_cvt_f32_f16_e32 v23, v2
.LBB371_2521:                           ;   in Loop: Header=BB371_1567 Depth=1
	s_or_b32 exec_lo, exec_lo, s13
.LBB371_2522:                           ;   in Loop: Header=BB371_1567 Depth=1
	s_delay_alu instid0(SALU_CYCLE_1)
	s_or_b32 exec_lo, exec_lo, s12
.LBB371_2523:                           ;   in Loop: Header=BB371_1567 Depth=1
	s_delay_alu instid0(SALU_CYCLE_1) | instskip(SKIP_3) | instid1(VALU_DEP_2)
	s_or_b32 exec_lo, exec_lo, s10
	v_dual_mov_b32 v2, v14 :: v_dual_and_b32 v15, 0xff, v14
	v_dual_mov_b32 v35, 0 :: v_dual_mov_b32 v34, 0
	s_mov_b32 s10, exec_lo
	v_cmpx_ne_u16_e32 0, v15
	s_cbranch_execz .LBB371_2531
; %bb.2524:                             ;   in Loop: Header=BB371_1567 Depth=1
	v_bfrev_b32_e32 v34, 1
	s_mov_b32 s12, exec_lo
	v_cmpx_ne_u16_e32 0x80, v15
	s_cbranch_execz .LBB371_2530
; %bb.2525:                             ;   in Loop: Header=BB371_1567 Depth=1
	v_and_b32_e32 v36, 0x7f, v14
	v_mov_b32_e32 v34, 0x7fc02000
	s_mov_b32 s13, exec_lo
	s_delay_alu instid0(VALU_DEP_2)
	v_cmpx_ne_u32_e32 0x7f, v36
	s_cbranch_execz .LBB371_2529
; %bb.2526:                             ;   in Loop: Header=BB371_1567 Depth=1
	v_dual_mov_b32 v16, v3 :: v_dual_mov_b32 v15, v2
	v_lshrrev_b32_e32 v16, 3, v36
	s_mov_b32 s15, exec_lo
	v_cmpx_gt_u32_e32 8, v36
; %bb.2527:                             ;   in Loop: Header=BB371_1567 Depth=1
	v_and_b32_e32 v15, 7, v14
	s_delay_alu instid0(VALU_DEP_1) | instskip(NEXT) | instid1(VALU_DEP_1)
	v_clz_i32_u32_e32 v15, v15
	v_min_u32_e32 v34, 32, v15
	s_delay_alu instid0(VALU_DEP_1) | instskip(NEXT) | instid1(VALU_DEP_1)
	v_subrev_nc_u32_e32 v15, 28, v34
	v_lshlrev_b64 v[15:16], v15, v[2:3]
	v_sub_nc_u32_e32 v16, 29, v34
; %bb.2528:                             ;   in Loop: Header=BB371_1567 Depth=1
	s_or_b32 exec_lo, exec_lo, s15
	v_lshlrev_b32_e32 v34, 8, v14
	s_delay_alu instid0(VALU_DEP_2) | instskip(NEXT) | instid1(VALU_DEP_4)
	v_lshl_add_u32 v16, v16, 10, 0x2000
	v_lshlrev_b32_e32 v15, 7, v15
	s_delay_alu instid0(VALU_DEP_2) | instskip(NEXT) | instid1(VALU_DEP_1)
	v_and_or_b32 v16, 0x8000, v34, v16
	v_and_or_b32 v15, 0x380, v15, v16
	s_delay_alu instid0(VALU_DEP_1)
	v_cvt_f32_f16_e32 v34, v15
.LBB371_2529:                           ;   in Loop: Header=BB371_1567 Depth=1
	s_or_b32 exec_lo, exec_lo, s13
.LBB371_2530:                           ;   in Loop: Header=BB371_1567 Depth=1
	s_delay_alu instid0(SALU_CYCLE_1)
	s_or_b32 exec_lo, exec_lo, s12
.LBB371_2531:                           ;   in Loop: Header=BB371_1567 Depth=1
	s_delay_alu instid0(SALU_CYCLE_1) | instskip(SKIP_2) | instid1(VALU_DEP_1)
	s_or_b32 exec_lo, exec_lo, s10
	v_lshrrev_b16 v2, 8, v2
	s_mov_b32 s10, exec_lo
	v_cmpx_ne_u16_e32 0, v2
	s_cbranch_execz .LBB371_2539
; %bb.2532:                             ;   in Loop: Header=BB371_1567 Depth=1
	v_bfrev_b32_e32 v35, 1
	s_mov_b32 s12, exec_lo
	v_cmpx_ne_u16_e32 0x80, v2
	s_cbranch_execz .LBB371_2538
; %bb.2533:                             ;   in Loop: Header=BB371_1567 Depth=1
	v_and_b32_e32 v36, 0xffff, v2
	v_mov_b32_e32 v35, 0x7fc02000
	s_mov_b32 s13, exec_lo
	s_delay_alu instid0(VALU_DEP_2) | instskip(NEXT) | instid1(VALU_DEP_1)
	v_and_b32_e32 v176, 0x7f, v36
	v_cmpx_ne_u32_e32 0x7f, v176
	s_cbranch_execz .LBB371_2537
; %bb.2534:                             ;   in Loop: Header=BB371_1567 Depth=1
	v_and_b32_e32 v2, 7, v36
	v_lshrrev_b32_e32 v35, 3, v176
	v_mov_b32_e32 v16, v3
	s_mov_b32 s15, exec_lo
	s_delay_alu instid0(VALU_DEP_3)
	v_mov_b32_e32 v15, v2
	v_cmpx_gt_u32_e32 8, v176
; %bb.2535:                             ;   in Loop: Header=BB371_1567 Depth=1
	v_clz_i32_u32_e32 v15, v2
	s_delay_alu instid0(VALU_DEP_1) | instskip(NEXT) | instid1(VALU_DEP_1)
	v_min_u32_e32 v35, 32, v15
	v_subrev_nc_u32_e32 v15, 28, v35
	v_sub_nc_u32_e32 v35, 29, v35
	s_delay_alu instid0(VALU_DEP_2) | instskip(NEXT) | instid1(VALU_DEP_1)
	v_lshlrev_b64 v[15:16], v15, v[2:3]
	v_and_b32_e32 v15, 7, v15
; %bb.2536:                             ;   in Loop: Header=BB371_1567 Depth=1
	s_or_b32 exec_lo, exec_lo, s15
	v_lshlrev_b32_e32 v2, 8, v36
	v_lshl_add_u32 v16, v35, 10, 0x2000
	s_delay_alu instid0(VALU_DEP_1) | instskip(NEXT) | instid1(VALU_DEP_1)
	v_and_or_b32 v2, 0x8000, v2, v16
	v_lshl_or_b32 v2, v15, 7, v2
	s_delay_alu instid0(VALU_DEP_1)
	v_cvt_f32_f16_e32 v35, v2
.LBB371_2537:                           ;   in Loop: Header=BB371_1567 Depth=1
	s_or_b32 exec_lo, exec_lo, s13
.LBB371_2538:                           ;   in Loop: Header=BB371_1567 Depth=1
	s_delay_alu instid0(SALU_CYCLE_1)
	s_or_b32 exec_lo, exec_lo, s12
.LBB371_2539:                           ;   in Loop: Header=BB371_1567 Depth=1
	s_delay_alu instid0(SALU_CYCLE_1) | instskip(SKIP_3) | instid1(VALU_DEP_2)
	s_or_b32 exec_lo, exec_lo, s10
	v_lshrrev_b32_e32 v176, 16, v14
	v_mov_b32_e32 v36, 0
	s_mov_b32 s10, exec_lo
	v_dual_mov_b32 v15, 0 :: v_dual_and_b32 v2, 0xff, v176
	s_delay_alu instid0(VALU_DEP_1)
	v_cmpx_ne_u16_e32 0, v2
	s_cbranch_execz .LBB371_2547
; %bb.2540:                             ;   in Loop: Header=BB371_1567 Depth=1
	v_bfrev_b32_e32 v15, 1
	s_mov_b32 s12, exec_lo
	v_cmpx_ne_u16_e32 0x80, v2
	s_cbranch_execz .LBB371_2546
; %bb.2541:                             ;   in Loop: Header=BB371_1567 Depth=1
	v_bfe_u32 v178, v14, 16, 7
	v_mov_b32_e32 v15, 0x7fc02000
	s_mov_b32 s13, exec_lo
	s_delay_alu instid0(VALU_DEP_2)
	v_cmpx_ne_u32_e32 0x7f, v178
	s_cbranch_execz .LBB371_2545
; %bb.2542:                             ;   in Loop: Header=BB371_1567 Depth=1
	v_and_b32_e32 v2, 7, v176
	v_lshrrev_b32_e32 v177, 3, v178
	v_mov_b32_e32 v16, v3
	s_mov_b32 s15, exec_lo
	s_delay_alu instid0(VALU_DEP_3)
	v_mov_b32_e32 v15, v2
	v_cmpx_gt_u32_e32 8, v178
; %bb.2543:                             ;   in Loop: Header=BB371_1567 Depth=1
	v_clz_i32_u32_e32 v15, v2
	s_delay_alu instid0(VALU_DEP_1) | instskip(NEXT) | instid1(VALU_DEP_1)
	v_min_u32_e32 v177, 32, v15
	v_subrev_nc_u32_e32 v15, 28, v177
	v_sub_nc_u32_e32 v177, 29, v177
	s_delay_alu instid0(VALU_DEP_2) | instskip(NEXT) | instid1(VALU_DEP_1)
	v_lshlrev_b64 v[15:16], v15, v[2:3]
	v_and_b32_e32 v15, 7, v15
; %bb.2544:                             ;   in Loop: Header=BB371_1567 Depth=1
	s_or_b32 exec_lo, exec_lo, s15
	v_lshlrev_b32_e32 v2, 8, v176
	v_lshl_add_u32 v16, v177, 10, 0x2000
	s_delay_alu instid0(VALU_DEP_1) | instskip(NEXT) | instid1(VALU_DEP_1)
	v_and_or_b32 v2, 0x8000, v2, v16
	v_lshl_or_b32 v2, v15, 7, v2
	s_delay_alu instid0(VALU_DEP_1)
	v_cvt_f32_f16_e32 v15, v2
.LBB371_2545:                           ;   in Loop: Header=BB371_1567 Depth=1
	s_or_b32 exec_lo, exec_lo, s13
.LBB371_2546:                           ;   in Loop: Header=BB371_1567 Depth=1
	s_delay_alu instid0(SALU_CYCLE_1)
	s_or_b32 exec_lo, exec_lo, s12
.LBB371_2547:                           ;   in Loop: Header=BB371_1567 Depth=1
	s_delay_alu instid0(SALU_CYCLE_1) | instskip(NEXT) | instid1(SALU_CYCLE_1)
	s_or_b32 exec_lo, exec_lo, s10
	s_mov_b32 s10, exec_lo
	v_cmpx_lt_u64_e64 s[8:9], v[13:14]
	s_cbranch_execz .LBB371_2555
; %bb.2548:                             ;   in Loop: Header=BB371_1567 Depth=1
	v_lshrrev_b32_e32 v16, 24, v14
	v_bfrev_b32_e32 v36, 1
	s_mov_b32 s12, exec_lo
	s_delay_alu instid0(VALU_DEP_2)
	v_cmpx_ne_u32_e32 0x80, v16
	s_cbranch_execz .LBB371_2554
; %bb.2549:                             ;   in Loop: Header=BB371_1567 Depth=1
	v_and_b32_e32 v176, 0x7f, v16
	v_mov_b32_e32 v36, 0x7fc02000
	s_mov_b32 s13, exec_lo
	s_delay_alu instid0(VALU_DEP_2)
	v_cmpx_ne_u32_e32 0x7f, v176
	s_cbranch_execz .LBB371_2553
; %bb.2550:                             ;   in Loop: Header=BB371_1567 Depth=1
	v_and_b32_e32 v2, 7, v16
	v_lshrrev_b32_e32 v36, 3, v176
	v_mov_b32_e32 v14, v3
	s_mov_b32 s15, exec_lo
	s_delay_alu instid0(VALU_DEP_3)
	v_mov_b32_e32 v13, v2
	v_cmpx_gt_u32_e32 8, v176
; %bb.2551:                             ;   in Loop: Header=BB371_1567 Depth=1
	v_clz_i32_u32_e32 v13, v2
	s_delay_alu instid0(VALU_DEP_1) | instskip(NEXT) | instid1(VALU_DEP_1)
	v_min_u32_e32 v36, 32, v13
	v_subrev_nc_u32_e32 v13, 28, v36
	v_sub_nc_u32_e32 v36, 29, v36
	s_delay_alu instid0(VALU_DEP_2) | instskip(NEXT) | instid1(VALU_DEP_1)
	v_lshlrev_b64 v[13:14], v13, v[2:3]
	v_and_b32_e32 v13, 7, v13
; %bb.2552:                             ;   in Loop: Header=BB371_1567 Depth=1
	s_or_b32 exec_lo, exec_lo, s15
	v_lshlrev_b32_e32 v2, 8, v16
	v_lshl_add_u32 v14, v36, 10, 0x2000
	s_delay_alu instid0(VALU_DEP_1) | instskip(NEXT) | instid1(VALU_DEP_1)
	v_and_or_b32 v2, 0x8000, v2, v14
	v_lshl_or_b32 v2, v13, 7, v2
	s_delay_alu instid0(VALU_DEP_1)
	v_cvt_f32_f16_e32 v36, v2
.LBB371_2553:                           ;   in Loop: Header=BB371_1567 Depth=1
	s_or_b32 exec_lo, exec_lo, s13
.LBB371_2554:                           ;   in Loop: Header=BB371_1567 Depth=1
	s_delay_alu instid0(SALU_CYCLE_1)
	s_or_b32 exec_lo, exec_lo, s12
.LBB371_2555:                           ;   in Loop: Header=BB371_1567 Depth=1
	s_delay_alu instid0(SALU_CYCLE_1)
	s_or_b32 exec_lo, exec_lo, s10
	s_waitcnt vmcnt(0) lgkmcnt(0)
	v_fma_mixlo_f16 v6, v4, v6, 0
	v_fma_mixlo_f16 v2, v4, v23, 0
	;; [unrolled: 1-line block ×5, first 2 shown]
	v_lshlrev_b32_e32 v14, 16, v6
	v_fma_mixlo_f16 v6, v4, v5, 0
	v_fma_mixlo_f16 v23, v4, v36, 0
	v_fma_mixlo_f16 v5, v4, v15, 0
	v_lshlrev_b32_e32 v2, 16, v2
	v_and_b32_e32 v13, 0xffff, v13
	v_and_b32_e32 v4, 0xffff, v6
	v_lshlrev_b32_e32 v15, 16, v16
	v_and_b32_e32 v16, 0xffff, v22
	v_lshlrev_b32_e32 v22, 16, v23
	v_and_b32_e32 v23, 0xffff, v5
	v_or_b32_e32 v6, v2, v13
	v_or_b32_e32 v13, v14, v4
	;; [unrolled: 1-line block ×3, first 2 shown]
	s_delay_alu instid0(VALU_DEP_4)
	v_or_b32_e32 v4, v22, v23
	s_and_saveexec_b32 s10, vcc_lo
	s_cbranch_execz .LBB371_2557
; %bb.2556:                             ;   in Loop: Header=BB371_1567 Depth=1
	v_cmp_lt_i32_e64 s0, v17, v37
	v_lshrrev_b32_e32 v14, 16, v13
	v_lshrrev_b32_e32 v15, 16, v6
	;; [unrolled: 1-line block ×4, first 2 shown]
	v_cndmask_b32_e64 v13, 0, v13, s0
	v_cmp_lt_i32_e64 s0, v117, v87
	s_delay_alu instid0(VALU_DEP_1) | instskip(SKIP_1) | instid1(VALU_DEP_2)
	v_cndmask_b32_e64 v14, 0, v14, s0
	v_cmp_lt_i32_e64 s0, v116, v87
	v_perm_b32 v13, v14, v13, 0x5040100
	s_delay_alu instid0(VALU_DEP_2) | instskip(SKIP_1) | instid1(VALU_DEP_1)
	v_cndmask_b32_e64 v15, 0, v15, s0
	v_cmp_lt_i32_e64 s0, v115, v37
	v_cndmask_b32_e64 v6, 0, v6, s0
	v_cmp_lt_i32_e64 s0, v114, v87
	s_delay_alu instid0(VALU_DEP_2) | instskip(NEXT) | instid1(VALU_DEP_2)
	v_perm_b32 v6, v15, v6, 0x5040100
	v_cndmask_b32_e64 v16, 0, v16, s0
	v_cmp_lt_i32_e64 s0, v113, v37
	s_delay_alu instid0(VALU_DEP_1) | instskip(SKIP_1) | instid1(VALU_DEP_2)
	v_cndmask_b32_e64 v2, 0, v2, s0
	v_cmp_lt_i32_e64 s0, v112, v87
	v_perm_b32 v2, v16, v2, 0x5040100
	s_delay_alu instid0(VALU_DEP_2) | instskip(SKIP_1) | instid1(VALU_DEP_1)
	v_cndmask_b32_e64 v4, 0, v4, s0
	v_cmp_lt_i32_e64 s0, v103, v37
	v_cndmask_b32_e64 v5, 0, v5, s0
	s_delay_alu instid0(VALU_DEP_1)
	v_perm_b32 v4, v4, v5, 0x5040100
.LBB371_2557:                           ;   in Loop: Header=BB371_1567 Depth=1
	s_or_b32 exec_lo, exec_lo, s10
	;;#ASMSTART
	v_pk_mul_f16 v5, v102, v13;

	;;#ASMEND
	;;#ASMSTART
	v_pk_mul_f16 v6, v100, v6;

	;;#ASMEND
	;; [unrolled: 4-line block ×4, first 2 shown]
	;;#ASMSTART
	v_pk_add_f16 v5, v5, v6;

	;;#ASMEND
	;;#ASMSTART
	v_pk_add_f16 v2, v5, v2;

	;;#ASMEND
	;; [unrolled: 4-line block ×3, first 2 shown]
	v_dual_mov_b32 v5, 0 :: v_dual_and_b32 v4, 0xffff, v2
	v_lshrrev_b32_e32 v2, 16, v2
	;;#ASMSTART
	v_cvt_f32_f16 v15, v4;
	;;#ASMEND
	;;#ASMSTART
	v_cvt_f32_f16 v16, v2;
	;;#ASMEND
	flat_load_b64 v[11:12], v[11:12] offset:3840
	flat_load_b32 v4, v[26:27]
	v_mov_b32_e32 v6, 0
	s_mov_b32 s10, exec_lo
	s_waitcnt vmcnt(1) lgkmcnt(1)
	v_and_b32_e32 v2, 0xff, v11
	s_delay_alu instid0(VALU_DEP_1)
	v_cmpx_ne_u16_e32 0, v2
	s_cbranch_execz .LBB371_2565
; %bb.2558:                             ;   in Loop: Header=BB371_1567 Depth=1
	v_bfrev_b32_e32 v5, 1
	s_mov_b32 s12, exec_lo
	v_cmpx_ne_u16_e32 0x80, v2
	s_cbranch_execz .LBB371_2564
; %bb.2559:                             ;   in Loop: Header=BB371_1567 Depth=1
	v_and_b32_e32 v13, 0x7f, v11
	v_mov_b32_e32 v5, 0x7fc02000
	s_mov_b32 s13, exec_lo
	s_delay_alu instid0(VALU_DEP_2)
	v_cmpx_ne_u32_e32 0x7f, v13
	s_cbranch_execz .LBB371_2563
; %bb.2560:                             ;   in Loop: Header=BB371_1567 Depth=1
	v_lshrrev_b32_e32 v2, 3, v13
	v_cmp_gt_u32_e64 s0, 8, v13
	v_dual_mov_b32 v14, v12 :: v_dual_mov_b32 v13, v11
	s_delay_alu instid0(VALU_DEP_2)
	s_and_saveexec_b32 s15, s0
; %bb.2561:                             ;   in Loop: Header=BB371_1567 Depth=1
	v_and_b32_e32 v2, 7, v11
	s_delay_alu instid0(VALU_DEP_1) | instskip(NEXT) | instid1(VALU_DEP_1)
	v_clz_i32_u32_e32 v2, v2
	v_min_u32_e32 v2, 32, v2
	s_delay_alu instid0(VALU_DEP_1) | instskip(SKIP_1) | instid1(VALU_DEP_2)
	v_subrev_nc_u32_e32 v5, 28, v2
	v_sub_nc_u32_e32 v2, 29, v2
	v_lshlrev_b64 v[13:14], v5, v[11:12]
; %bb.2562:                             ;   in Loop: Header=BB371_1567 Depth=1
	s_or_b32 exec_lo, exec_lo, s15
	v_lshlrev_b32_e32 v5, 8, v11
	s_delay_alu instid0(VALU_DEP_3) | instskip(NEXT) | instid1(VALU_DEP_3)
	v_lshl_add_u32 v2, v2, 10, 0x2000
	v_lshlrev_b32_e32 v13, 7, v13
	s_delay_alu instid0(VALU_DEP_2) | instskip(NEXT) | instid1(VALU_DEP_1)
	v_and_or_b32 v2, 0x8000, v5, v2
	v_and_or_b32 v2, 0x380, v13, v2
	s_delay_alu instid0(VALU_DEP_1)
	v_cvt_f32_f16_e32 v5, v2
.LBB371_2563:                           ;   in Loop: Header=BB371_1567 Depth=1
	s_or_b32 exec_lo, exec_lo, s13
.LBB371_2564:                           ;   in Loop: Header=BB371_1567 Depth=1
	s_delay_alu instid0(SALU_CYCLE_1)
	s_or_b32 exec_lo, exec_lo, s12
.LBB371_2565:                           ;   in Loop: Header=BB371_1567 Depth=1
	s_delay_alu instid0(SALU_CYCLE_1) | instskip(SKIP_2) | instid1(VALU_DEP_1)
	s_or_b32 exec_lo, exec_lo, s10
	v_lshrrev_b16 v2, 8, v11
	s_mov_b32 s10, exec_lo
	v_cmpx_ne_u16_e32 0, v2
	s_cbranch_execz .LBB371_2573
; %bb.2566:                             ;   in Loop: Header=BB371_1567 Depth=1
	v_bfrev_b32_e32 v6, 1
	s_mov_b32 s12, exec_lo
	v_cmpx_ne_u16_e32 0x80, v2
	s_cbranch_execz .LBB371_2572
; %bb.2567:                             ;   in Loop: Header=BB371_1567 Depth=1
	v_and_b32_e32 v22, 0xffff, v2
	v_mov_b32_e32 v6, 0x7fc02000
	s_mov_b32 s13, exec_lo
	s_delay_alu instid0(VALU_DEP_2) | instskip(NEXT) | instid1(VALU_DEP_1)
	v_and_b32_e32 v23, 0x7f, v22
	v_cmpx_ne_u32_e32 0x7f, v23
	s_cbranch_execz .LBB371_2571
; %bb.2568:                             ;   in Loop: Header=BB371_1567 Depth=1
	v_and_b32_e32 v2, 7, v22
	v_lshrrev_b32_e32 v6, 3, v23
	v_mov_b32_e32 v14, v3
	s_mov_b32 s15, exec_lo
	s_delay_alu instid0(VALU_DEP_3)
	v_mov_b32_e32 v13, v2
	v_cmpx_gt_u32_e32 8, v23
; %bb.2569:                             ;   in Loop: Header=BB371_1567 Depth=1
	v_clz_i32_u32_e32 v6, v2
	s_delay_alu instid0(VALU_DEP_1) | instskip(NEXT) | instid1(VALU_DEP_1)
	v_min_u32_e32 v6, 32, v6
	v_subrev_nc_u32_e32 v13, 28, v6
	v_sub_nc_u32_e32 v6, 29, v6
	s_delay_alu instid0(VALU_DEP_2) | instskip(NEXT) | instid1(VALU_DEP_1)
	v_lshlrev_b64 v[13:14], v13, v[2:3]
	v_and_b32_e32 v13, 7, v13
; %bb.2570:                             ;   in Loop: Header=BB371_1567 Depth=1
	s_or_b32 exec_lo, exec_lo, s15
	v_lshlrev_b32_e32 v2, 8, v22
	v_lshl_add_u32 v6, v6, 10, 0x2000
	s_delay_alu instid0(VALU_DEP_1) | instskip(NEXT) | instid1(VALU_DEP_1)
	v_and_or_b32 v2, 0x8000, v2, v6
	v_lshl_or_b32 v2, v13, 7, v2
	s_delay_alu instid0(VALU_DEP_1)
	v_cvt_f32_f16_e32 v6, v2
.LBB371_2571:                           ;   in Loop: Header=BB371_1567 Depth=1
	s_or_b32 exec_lo, exec_lo, s13
.LBB371_2572:                           ;   in Loop: Header=BB371_1567 Depth=1
	s_delay_alu instid0(SALU_CYCLE_1)
	s_or_b32 exec_lo, exec_lo, s12
.LBB371_2573:                           ;   in Loop: Header=BB371_1567 Depth=1
	s_delay_alu instid0(SALU_CYCLE_1) | instskip(SKIP_3) | instid1(VALU_DEP_2)
	s_or_b32 exec_lo, exec_lo, s10
	v_lshrrev_b32_e32 v34, 16, v11
	v_mov_b32_e32 v22, 0
	s_mov_b32 s10, exec_lo
	v_dual_mov_b32 v23, 0 :: v_dual_and_b32 v2, 0xff, v34
	s_delay_alu instid0(VALU_DEP_1)
	v_cmpx_ne_u16_e32 0, v2
	s_cbranch_execz .LBB371_2581
; %bb.2574:                             ;   in Loop: Header=BB371_1567 Depth=1
	v_bfrev_b32_e32 v22, 1
	s_mov_b32 s12, exec_lo
	v_cmpx_ne_u16_e32 0x80, v2
	s_cbranch_execz .LBB371_2580
; %bb.2575:                             ;   in Loop: Header=BB371_1567 Depth=1
	v_bfe_u32 v35, v11, 16, 7
	v_mov_b32_e32 v22, 0x7fc02000
	s_mov_b32 s13, exec_lo
	s_delay_alu instid0(VALU_DEP_2)
	v_cmpx_ne_u32_e32 0x7f, v35
	s_cbranch_execz .LBB371_2579
; %bb.2576:                             ;   in Loop: Header=BB371_1567 Depth=1
	v_and_b32_e32 v2, 7, v34
	v_lshrrev_b32_e32 v22, 3, v35
	v_mov_b32_e32 v14, v3
	s_mov_b32 s15, exec_lo
	s_delay_alu instid0(VALU_DEP_3)
	v_mov_b32_e32 v13, v2
	v_cmpx_gt_u32_e32 8, v35
; %bb.2577:                             ;   in Loop: Header=BB371_1567 Depth=1
	v_clz_i32_u32_e32 v13, v2
	s_delay_alu instid0(VALU_DEP_1) | instskip(NEXT) | instid1(VALU_DEP_1)
	v_min_u32_e32 v22, 32, v13
	v_subrev_nc_u32_e32 v13, 28, v22
	v_sub_nc_u32_e32 v22, 29, v22
	s_delay_alu instid0(VALU_DEP_2) | instskip(NEXT) | instid1(VALU_DEP_1)
	v_lshlrev_b64 v[13:14], v13, v[2:3]
	v_and_b32_e32 v13, 7, v13
; %bb.2578:                             ;   in Loop: Header=BB371_1567 Depth=1
	s_or_b32 exec_lo, exec_lo, s15
	v_lshlrev_b32_e32 v2, 8, v34
	v_lshl_add_u32 v14, v22, 10, 0x2000
	s_delay_alu instid0(VALU_DEP_1) | instskip(NEXT) | instid1(VALU_DEP_1)
	v_and_or_b32 v2, 0x8000, v2, v14
	v_lshl_or_b32 v2, v13, 7, v2
	s_delay_alu instid0(VALU_DEP_1)
	v_cvt_f32_f16_e32 v22, v2
.LBB371_2579:                           ;   in Loop: Header=BB371_1567 Depth=1
	s_or_b32 exec_lo, exec_lo, s13
.LBB371_2580:                           ;   in Loop: Header=BB371_1567 Depth=1
	s_delay_alu instid0(SALU_CYCLE_1)
	s_or_b32 exec_lo, exec_lo, s12
.LBB371_2581:                           ;   in Loop: Header=BB371_1567 Depth=1
	s_delay_alu instid0(SALU_CYCLE_1) | instskip(NEXT) | instid1(SALU_CYCLE_1)
	s_or_b32 exec_lo, exec_lo, s10
	s_mov_b32 s10, exec_lo
	v_cmpx_lt_u32_e32 0xffffff, v11
	s_cbranch_execz .LBB371_2589
; %bb.2582:                             ;   in Loop: Header=BB371_1567 Depth=1
	v_lshrrev_b32_e32 v34, 24, v11
	v_bfrev_b32_e32 v23, 1
	s_mov_b32 s12, exec_lo
	s_delay_alu instid0(VALU_DEP_2)
	v_cmpx_ne_u32_e32 0x80, v34
	s_cbranch_execz .LBB371_2588
; %bb.2583:                             ;   in Loop: Header=BB371_1567 Depth=1
	v_and_b32_e32 v35, 0x7f, v34
	v_mov_b32_e32 v23, 0x7fc02000
	s_mov_b32 s13, exec_lo
	s_delay_alu instid0(VALU_DEP_2)
	v_cmpx_ne_u32_e32 0x7f, v35
	s_cbranch_execz .LBB371_2587
; %bb.2584:                             ;   in Loop: Header=BB371_1567 Depth=1
	v_and_b32_e32 v2, 7, v34
	v_lshrrev_b32_e32 v23, 3, v35
	v_mov_b32_e32 v14, v3
	s_mov_b32 s15, exec_lo
	s_delay_alu instid0(VALU_DEP_3)
	v_mov_b32_e32 v13, v2
	v_cmpx_gt_u32_e32 8, v35
; %bb.2585:                             ;   in Loop: Header=BB371_1567 Depth=1
	v_clz_i32_u32_e32 v13, v2
	s_delay_alu instid0(VALU_DEP_1) | instskip(NEXT) | instid1(VALU_DEP_1)
	v_min_u32_e32 v23, 32, v13
	v_subrev_nc_u32_e32 v13, 28, v23
	v_sub_nc_u32_e32 v23, 29, v23
	s_delay_alu instid0(VALU_DEP_2) | instskip(NEXT) | instid1(VALU_DEP_1)
	v_lshlrev_b64 v[13:14], v13, v[2:3]
	v_and_b32_e32 v13, 7, v13
; %bb.2586:                             ;   in Loop: Header=BB371_1567 Depth=1
	s_or_b32 exec_lo, exec_lo, s15
	v_lshlrev_b32_e32 v2, 8, v34
	v_lshl_add_u32 v14, v23, 10, 0x2000
	s_delay_alu instid0(VALU_DEP_1) | instskip(NEXT) | instid1(VALU_DEP_1)
	v_and_or_b32 v2, 0x8000, v2, v14
	v_lshl_or_b32 v2, v13, 7, v2
	s_delay_alu instid0(VALU_DEP_1)
	v_cvt_f32_f16_e32 v23, v2
.LBB371_2587:                           ;   in Loop: Header=BB371_1567 Depth=1
	s_or_b32 exec_lo, exec_lo, s13
.LBB371_2588:                           ;   in Loop: Header=BB371_1567 Depth=1
	s_delay_alu instid0(SALU_CYCLE_1)
	s_or_b32 exec_lo, exec_lo, s12
.LBB371_2589:                           ;   in Loop: Header=BB371_1567 Depth=1
	s_delay_alu instid0(SALU_CYCLE_1) | instskip(SKIP_3) | instid1(VALU_DEP_2)
	s_or_b32 exec_lo, exec_lo, s10
	v_dual_mov_b32 v2, v12 :: v_dual_and_b32 v13, 0xff, v12
	v_dual_mov_b32 v35, 0 :: v_dual_mov_b32 v34, 0
	s_mov_b32 s10, exec_lo
	v_cmpx_ne_u16_e32 0, v13
	s_cbranch_execz .LBB371_2597
; %bb.2590:                             ;   in Loop: Header=BB371_1567 Depth=1
	v_bfrev_b32_e32 v34, 1
	s_mov_b32 s12, exec_lo
	v_cmpx_ne_u16_e32 0x80, v13
	s_cbranch_execz .LBB371_2596
; %bb.2591:                             ;   in Loop: Header=BB371_1567 Depth=1
	v_and_b32_e32 v36, 0x7f, v12
	v_mov_b32_e32 v34, 0x7fc02000
	s_mov_b32 s13, exec_lo
	s_delay_alu instid0(VALU_DEP_2)
	v_cmpx_ne_u32_e32 0x7f, v36
	s_cbranch_execz .LBB371_2595
; %bb.2592:                             ;   in Loop: Header=BB371_1567 Depth=1
	v_dual_mov_b32 v14, v3 :: v_dual_mov_b32 v13, v2
	v_lshrrev_b32_e32 v14, 3, v36
	s_mov_b32 s15, exec_lo
	v_cmpx_gt_u32_e32 8, v36
; %bb.2593:                             ;   in Loop: Header=BB371_1567 Depth=1
	v_and_b32_e32 v13, 7, v12
	s_delay_alu instid0(VALU_DEP_1) | instskip(NEXT) | instid1(VALU_DEP_1)
	v_clz_i32_u32_e32 v13, v13
	v_min_u32_e32 v34, 32, v13
	s_delay_alu instid0(VALU_DEP_1) | instskip(NEXT) | instid1(VALU_DEP_1)
	v_subrev_nc_u32_e32 v13, 28, v34
	v_lshlrev_b64 v[13:14], v13, v[2:3]
	v_sub_nc_u32_e32 v14, 29, v34
; %bb.2594:                             ;   in Loop: Header=BB371_1567 Depth=1
	s_or_b32 exec_lo, exec_lo, s15
	v_lshlrev_b32_e32 v34, 8, v12
	s_delay_alu instid0(VALU_DEP_2) | instskip(NEXT) | instid1(VALU_DEP_4)
	v_lshl_add_u32 v14, v14, 10, 0x2000
	v_lshlrev_b32_e32 v13, 7, v13
	s_delay_alu instid0(VALU_DEP_2) | instskip(NEXT) | instid1(VALU_DEP_1)
	v_and_or_b32 v14, 0x8000, v34, v14
	v_and_or_b32 v13, 0x380, v13, v14
	s_delay_alu instid0(VALU_DEP_1)
	v_cvt_f32_f16_e32 v34, v13
.LBB371_2595:                           ;   in Loop: Header=BB371_1567 Depth=1
	s_or_b32 exec_lo, exec_lo, s13
.LBB371_2596:                           ;   in Loop: Header=BB371_1567 Depth=1
	s_delay_alu instid0(SALU_CYCLE_1)
	s_or_b32 exec_lo, exec_lo, s12
.LBB371_2597:                           ;   in Loop: Header=BB371_1567 Depth=1
	s_delay_alu instid0(SALU_CYCLE_1) | instskip(SKIP_2) | instid1(VALU_DEP_1)
	s_or_b32 exec_lo, exec_lo, s10
	v_lshrrev_b16 v2, 8, v2
	s_mov_b32 s10, exec_lo
	v_cmpx_ne_u16_e32 0, v2
	s_cbranch_execz .LBB371_2605
; %bb.2598:                             ;   in Loop: Header=BB371_1567 Depth=1
	v_bfrev_b32_e32 v35, 1
	s_mov_b32 s12, exec_lo
	v_cmpx_ne_u16_e32 0x80, v2
	s_cbranch_execz .LBB371_2604
; %bb.2599:                             ;   in Loop: Header=BB371_1567 Depth=1
	v_and_b32_e32 v36, 0xffff, v2
	v_mov_b32_e32 v35, 0x7fc02000
	s_mov_b32 s13, exec_lo
	s_delay_alu instid0(VALU_DEP_2) | instskip(NEXT) | instid1(VALU_DEP_1)
	v_and_b32_e32 v176, 0x7f, v36
	v_cmpx_ne_u32_e32 0x7f, v176
	s_cbranch_execz .LBB371_2603
; %bb.2600:                             ;   in Loop: Header=BB371_1567 Depth=1
	v_and_b32_e32 v2, 7, v36
	v_lshrrev_b32_e32 v35, 3, v176
	v_mov_b32_e32 v14, v3
	s_mov_b32 s15, exec_lo
	s_delay_alu instid0(VALU_DEP_3)
	v_mov_b32_e32 v13, v2
	v_cmpx_gt_u32_e32 8, v176
; %bb.2601:                             ;   in Loop: Header=BB371_1567 Depth=1
	v_clz_i32_u32_e32 v13, v2
	s_delay_alu instid0(VALU_DEP_1) | instskip(NEXT) | instid1(VALU_DEP_1)
	v_min_u32_e32 v35, 32, v13
	v_subrev_nc_u32_e32 v13, 28, v35
	v_sub_nc_u32_e32 v35, 29, v35
	s_delay_alu instid0(VALU_DEP_2) | instskip(NEXT) | instid1(VALU_DEP_1)
	v_lshlrev_b64 v[13:14], v13, v[2:3]
	v_and_b32_e32 v13, 7, v13
; %bb.2602:                             ;   in Loop: Header=BB371_1567 Depth=1
	s_or_b32 exec_lo, exec_lo, s15
	v_lshlrev_b32_e32 v2, 8, v36
	v_lshl_add_u32 v14, v35, 10, 0x2000
	s_delay_alu instid0(VALU_DEP_1) | instskip(NEXT) | instid1(VALU_DEP_1)
	v_and_or_b32 v2, 0x8000, v2, v14
	v_lshl_or_b32 v2, v13, 7, v2
	s_delay_alu instid0(VALU_DEP_1)
	v_cvt_f32_f16_e32 v35, v2
.LBB371_2603:                           ;   in Loop: Header=BB371_1567 Depth=1
	s_or_b32 exec_lo, exec_lo, s13
.LBB371_2604:                           ;   in Loop: Header=BB371_1567 Depth=1
	s_delay_alu instid0(SALU_CYCLE_1)
	s_or_b32 exec_lo, exec_lo, s12
.LBB371_2605:                           ;   in Loop: Header=BB371_1567 Depth=1
	s_delay_alu instid0(SALU_CYCLE_1) | instskip(SKIP_3) | instid1(VALU_DEP_2)
	s_or_b32 exec_lo, exec_lo, s10
	v_lshrrev_b32_e32 v176, 16, v12
	v_mov_b32_e32 v36, 0
	s_mov_b32 s10, exec_lo
	v_dual_mov_b32 v13, 0 :: v_dual_and_b32 v2, 0xff, v176
	s_delay_alu instid0(VALU_DEP_1)
	v_cmpx_ne_u16_e32 0, v2
	s_cbranch_execz .LBB371_2613
; %bb.2606:                             ;   in Loop: Header=BB371_1567 Depth=1
	v_bfrev_b32_e32 v13, 1
	s_mov_b32 s12, exec_lo
	v_cmpx_ne_u16_e32 0x80, v2
	s_cbranch_execz .LBB371_2612
; %bb.2607:                             ;   in Loop: Header=BB371_1567 Depth=1
	v_bfe_u32 v178, v12, 16, 7
	v_mov_b32_e32 v13, 0x7fc02000
	s_mov_b32 s13, exec_lo
	s_delay_alu instid0(VALU_DEP_2)
	v_cmpx_ne_u32_e32 0x7f, v178
	s_cbranch_execz .LBB371_2611
; %bb.2608:                             ;   in Loop: Header=BB371_1567 Depth=1
	v_and_b32_e32 v2, 7, v176
	v_lshrrev_b32_e32 v177, 3, v178
	v_mov_b32_e32 v14, v3
	s_mov_b32 s15, exec_lo
	s_delay_alu instid0(VALU_DEP_3)
	v_mov_b32_e32 v13, v2
	v_cmpx_gt_u32_e32 8, v178
; %bb.2609:                             ;   in Loop: Header=BB371_1567 Depth=1
	v_clz_i32_u32_e32 v13, v2
	s_delay_alu instid0(VALU_DEP_1) | instskip(NEXT) | instid1(VALU_DEP_1)
	v_min_u32_e32 v177, 32, v13
	v_subrev_nc_u32_e32 v13, 28, v177
	v_sub_nc_u32_e32 v177, 29, v177
	s_delay_alu instid0(VALU_DEP_2) | instskip(NEXT) | instid1(VALU_DEP_1)
	v_lshlrev_b64 v[13:14], v13, v[2:3]
	v_and_b32_e32 v13, 7, v13
; %bb.2610:                             ;   in Loop: Header=BB371_1567 Depth=1
	s_or_b32 exec_lo, exec_lo, s15
	v_lshlrev_b32_e32 v2, 8, v176
	v_lshl_add_u32 v14, v177, 10, 0x2000
	s_delay_alu instid0(VALU_DEP_1) | instskip(NEXT) | instid1(VALU_DEP_1)
	v_and_or_b32 v2, 0x8000, v2, v14
	v_lshl_or_b32 v2, v13, 7, v2
	s_delay_alu instid0(VALU_DEP_1)
	v_cvt_f32_f16_e32 v13, v2
.LBB371_2611:                           ;   in Loop: Header=BB371_1567 Depth=1
	s_or_b32 exec_lo, exec_lo, s13
.LBB371_2612:                           ;   in Loop: Header=BB371_1567 Depth=1
	s_delay_alu instid0(SALU_CYCLE_1)
	s_or_b32 exec_lo, exec_lo, s12
.LBB371_2613:                           ;   in Loop: Header=BB371_1567 Depth=1
	s_delay_alu instid0(SALU_CYCLE_1) | instskip(NEXT) | instid1(SALU_CYCLE_1)
	s_or_b32 exec_lo, exec_lo, s10
	s_mov_b32 s10, exec_lo
	v_cmpx_lt_u64_e64 s[8:9], v[11:12]
	s_cbranch_execz .LBB371_2621
; %bb.2614:                             ;   in Loop: Header=BB371_1567 Depth=1
	v_lshrrev_b32_e32 v14, 24, v12
	v_bfrev_b32_e32 v36, 1
	s_mov_b32 s12, exec_lo
	s_delay_alu instid0(VALU_DEP_2)
	v_cmpx_ne_u32_e32 0x80, v14
	s_cbranch_execz .LBB371_2620
; %bb.2615:                             ;   in Loop: Header=BB371_1567 Depth=1
	v_and_b32_e32 v176, 0x7f, v14
	v_mov_b32_e32 v36, 0x7fc02000
	s_mov_b32 s13, exec_lo
	s_delay_alu instid0(VALU_DEP_2)
	v_cmpx_ne_u32_e32 0x7f, v176
	s_cbranch_execz .LBB371_2619
; %bb.2616:                             ;   in Loop: Header=BB371_1567 Depth=1
	v_and_b32_e32 v2, 7, v14
	v_lshrrev_b32_e32 v36, 3, v176
	v_mov_b32_e32 v12, v3
	s_mov_b32 s15, exec_lo
	s_delay_alu instid0(VALU_DEP_3)
	v_mov_b32_e32 v11, v2
	v_cmpx_gt_u32_e32 8, v176
; %bb.2617:                             ;   in Loop: Header=BB371_1567 Depth=1
	v_clz_i32_u32_e32 v11, v2
	s_delay_alu instid0(VALU_DEP_1) | instskip(NEXT) | instid1(VALU_DEP_1)
	v_min_u32_e32 v36, 32, v11
	v_subrev_nc_u32_e32 v11, 28, v36
	v_sub_nc_u32_e32 v36, 29, v36
	s_delay_alu instid0(VALU_DEP_2) | instskip(NEXT) | instid1(VALU_DEP_1)
	v_lshlrev_b64 v[11:12], v11, v[2:3]
	v_and_b32_e32 v11, 7, v11
; %bb.2618:                             ;   in Loop: Header=BB371_1567 Depth=1
	s_or_b32 exec_lo, exec_lo, s15
	v_lshlrev_b32_e32 v2, 8, v14
	v_lshl_add_u32 v12, v36, 10, 0x2000
	s_delay_alu instid0(VALU_DEP_1) | instskip(NEXT) | instid1(VALU_DEP_1)
	v_and_or_b32 v2, 0x8000, v2, v12
	v_lshl_or_b32 v2, v11, 7, v2
	s_delay_alu instid0(VALU_DEP_1)
	v_cvt_f32_f16_e32 v36, v2
.LBB371_2619:                           ;   in Loop: Header=BB371_1567 Depth=1
	s_or_b32 exec_lo, exec_lo, s13
.LBB371_2620:                           ;   in Loop: Header=BB371_1567 Depth=1
	s_delay_alu instid0(SALU_CYCLE_1)
	s_or_b32 exec_lo, exec_lo, s12
.LBB371_2621:                           ;   in Loop: Header=BB371_1567 Depth=1
	s_delay_alu instid0(SALU_CYCLE_1)
	s_or_b32 exec_lo, exec_lo, s10
	s_waitcnt vmcnt(0) lgkmcnt(0)
	v_fma_mixlo_f16 v6, v4, v6, 0
	v_fma_mixlo_f16 v2, v4, v23, 0
	;; [unrolled: 1-line block ×5, first 2 shown]
	v_lshlrev_b32_e32 v12, 16, v6
	v_fma_mixlo_f16 v6, v4, v5, 0
	v_fma_mixlo_f16 v23, v4, v36, 0
	;; [unrolled: 1-line block ×3, first 2 shown]
	v_lshlrev_b32_e32 v2, 16, v2
	v_and_b32_e32 v11, 0xffff, v11
	v_and_b32_e32 v4, 0xffff, v6
	v_lshlrev_b32_e32 v13, 16, v14
	v_and_b32_e32 v14, 0xffff, v22
	v_lshlrev_b32_e32 v22, 16, v23
	v_and_b32_e32 v23, 0xffff, v5
	v_or_b32_e32 v6, v2, v11
	v_or_b32_e32 v11, v12, v4
	;; [unrolled: 1-line block ×3, first 2 shown]
	s_delay_alu instid0(VALU_DEP_4)
	v_or_b32_e32 v4, v22, v23
	s_and_saveexec_b32 s10, vcc_lo
	s_cbranch_execz .LBB371_2623
; %bb.2622:                             ;   in Loop: Header=BB371_1567 Depth=1
	v_cmp_lt_i32_e64 s0, v17, v37
	v_lshrrev_b32_e32 v12, 16, v11
	v_lshrrev_b32_e32 v13, 16, v6
	;; [unrolled: 1-line block ×4, first 2 shown]
	v_cndmask_b32_e64 v11, 0, v11, s0
	v_cmp_lt_i32_e64 s0, v117, v87
	s_delay_alu instid0(VALU_DEP_1) | instskip(SKIP_1) | instid1(VALU_DEP_2)
	v_cndmask_b32_e64 v12, 0, v12, s0
	v_cmp_lt_i32_e64 s0, v116, v87
	v_perm_b32 v11, v12, v11, 0x5040100
	s_delay_alu instid0(VALU_DEP_2) | instskip(SKIP_1) | instid1(VALU_DEP_1)
	v_cndmask_b32_e64 v13, 0, v13, s0
	v_cmp_lt_i32_e64 s0, v115, v37
	v_cndmask_b32_e64 v6, 0, v6, s0
	v_cmp_lt_i32_e64 s0, v114, v87
	s_delay_alu instid0(VALU_DEP_2) | instskip(NEXT) | instid1(VALU_DEP_2)
	v_perm_b32 v6, v13, v6, 0x5040100
	v_cndmask_b32_e64 v14, 0, v14, s0
	v_cmp_lt_i32_e64 s0, v113, v37
	s_delay_alu instid0(VALU_DEP_1) | instskip(SKIP_1) | instid1(VALU_DEP_2)
	v_cndmask_b32_e64 v2, 0, v2, s0
	v_cmp_lt_i32_e64 s0, v112, v87
	v_perm_b32 v2, v14, v2, 0x5040100
	s_delay_alu instid0(VALU_DEP_2) | instskip(SKIP_1) | instid1(VALU_DEP_1)
	v_cndmask_b32_e64 v4, 0, v4, s0
	v_cmp_lt_i32_e64 s0, v103, v37
	v_cndmask_b32_e64 v5, 0, v5, s0
	s_delay_alu instid0(VALU_DEP_1)
	v_perm_b32 v4, v4, v5, 0x5040100
.LBB371_2623:                           ;   in Loop: Header=BB371_1567 Depth=1
	s_or_b32 exec_lo, exec_lo, s10
	;;#ASMSTART
	v_pk_mul_f16 v5, v102, v11;

	;;#ASMEND
	;;#ASMSTART
	v_pk_mul_f16 v6, v100, v6;

	;;#ASMEND
	;; [unrolled: 4-line block ×4, first 2 shown]
	;;#ASMSTART
	v_pk_add_f16 v5, v5, v6;

	;;#ASMEND
	;;#ASMSTART
	v_pk_add_f16 v2, v5, v2;

	;;#ASMEND
	;; [unrolled: 4-line block ×3, first 2 shown]
	v_add_co_u32 v4, s0, v9, v48
	s_delay_alu instid0(VALU_DEP_1)
	v_add_co_ci_u32_e64 v5, s0, 0, v10, s0
	v_lshrrev_b32_e32 v6, 16, v2
	v_and_b32_e32 v2, 0xffff, v2
	;;#ASMSTART
	v_cvt_f32_f16 v176, v2;
	;;#ASMEND
	;;#ASMSTART
	v_cvt_f32_f16 v177, v6;
	;;#ASMEND
	flat_load_b64 v[11:12], v[4:5]
	flat_load_b32 v4, v[26:27]
	v_dual_mov_b32 v5, 0 :: v_dual_mov_b32 v6, 0
	s_mov_b32 s10, exec_lo
	s_waitcnt vmcnt(1) lgkmcnt(1)
	v_and_b32_e32 v2, 0xff, v11
	s_delay_alu instid0(VALU_DEP_1)
	v_cmpx_ne_u16_e32 0, v2
	s_cbranch_execz .LBB371_2631
; %bb.2624:                             ;   in Loop: Header=BB371_1567 Depth=1
	v_bfrev_b32_e32 v5, 1
	s_mov_b32 s12, exec_lo
	v_cmpx_ne_u16_e32 0x80, v2
	s_cbranch_execz .LBB371_2630
; %bb.2625:                             ;   in Loop: Header=BB371_1567 Depth=1
	v_and_b32_e32 v13, 0x7f, v11
	v_mov_b32_e32 v5, 0x7fc02000
	s_mov_b32 s13, exec_lo
	s_delay_alu instid0(VALU_DEP_2)
	v_cmpx_ne_u32_e32 0x7f, v13
	s_cbranch_execz .LBB371_2629
; %bb.2626:                             ;   in Loop: Header=BB371_1567 Depth=1
	v_lshrrev_b32_e32 v2, 3, v13
	v_cmp_gt_u32_e64 s0, 8, v13
	v_dual_mov_b32 v14, v12 :: v_dual_mov_b32 v13, v11
	s_delay_alu instid0(VALU_DEP_2)
	s_and_saveexec_b32 s15, s0
; %bb.2627:                             ;   in Loop: Header=BB371_1567 Depth=1
	v_and_b32_e32 v2, 7, v11
	s_delay_alu instid0(VALU_DEP_1) | instskip(NEXT) | instid1(VALU_DEP_1)
	v_clz_i32_u32_e32 v2, v2
	v_min_u32_e32 v2, 32, v2
	s_delay_alu instid0(VALU_DEP_1) | instskip(SKIP_1) | instid1(VALU_DEP_2)
	v_subrev_nc_u32_e32 v5, 28, v2
	v_sub_nc_u32_e32 v2, 29, v2
	v_lshlrev_b64 v[13:14], v5, v[11:12]
; %bb.2628:                             ;   in Loop: Header=BB371_1567 Depth=1
	s_or_b32 exec_lo, exec_lo, s15
	v_lshlrev_b32_e32 v5, 8, v11
	s_delay_alu instid0(VALU_DEP_3) | instskip(NEXT) | instid1(VALU_DEP_3)
	v_lshl_add_u32 v2, v2, 10, 0x2000
	v_lshlrev_b32_e32 v13, 7, v13
	s_delay_alu instid0(VALU_DEP_2) | instskip(NEXT) | instid1(VALU_DEP_1)
	v_and_or_b32 v2, 0x8000, v5, v2
	v_and_or_b32 v2, 0x380, v13, v2
	s_delay_alu instid0(VALU_DEP_1)
	v_cvt_f32_f16_e32 v5, v2
.LBB371_2629:                           ;   in Loop: Header=BB371_1567 Depth=1
	s_or_b32 exec_lo, exec_lo, s13
.LBB371_2630:                           ;   in Loop: Header=BB371_1567 Depth=1
	s_delay_alu instid0(SALU_CYCLE_1)
	s_or_b32 exec_lo, exec_lo, s12
.LBB371_2631:                           ;   in Loop: Header=BB371_1567 Depth=1
	s_delay_alu instid0(SALU_CYCLE_1) | instskip(SKIP_2) | instid1(VALU_DEP_1)
	s_or_b32 exec_lo, exec_lo, s10
	v_lshrrev_b16 v2, 8, v11
	s_mov_b32 s10, exec_lo
	v_cmpx_ne_u16_e32 0, v2
	s_cbranch_execz .LBB371_2639
; %bb.2632:                             ;   in Loop: Header=BB371_1567 Depth=1
	v_bfrev_b32_e32 v6, 1
	s_mov_b32 s12, exec_lo
	v_cmpx_ne_u16_e32 0x80, v2
	s_cbranch_execz .LBB371_2638
; %bb.2633:                             ;   in Loop: Header=BB371_1567 Depth=1
	v_and_b32_e32 v22, 0xffff, v2
	v_mov_b32_e32 v6, 0x7fc02000
	s_mov_b32 s13, exec_lo
	s_delay_alu instid0(VALU_DEP_2) | instskip(NEXT) | instid1(VALU_DEP_1)
	v_and_b32_e32 v23, 0x7f, v22
	v_cmpx_ne_u32_e32 0x7f, v23
	s_cbranch_execz .LBB371_2637
; %bb.2634:                             ;   in Loop: Header=BB371_1567 Depth=1
	v_and_b32_e32 v2, 7, v22
	v_lshrrev_b32_e32 v6, 3, v23
	v_mov_b32_e32 v14, v3
	s_mov_b32 s15, exec_lo
	s_delay_alu instid0(VALU_DEP_3)
	v_mov_b32_e32 v13, v2
	v_cmpx_gt_u32_e32 8, v23
; %bb.2635:                             ;   in Loop: Header=BB371_1567 Depth=1
	v_clz_i32_u32_e32 v6, v2
	s_delay_alu instid0(VALU_DEP_1) | instskip(NEXT) | instid1(VALU_DEP_1)
	v_min_u32_e32 v6, 32, v6
	v_subrev_nc_u32_e32 v13, 28, v6
	v_sub_nc_u32_e32 v6, 29, v6
	s_delay_alu instid0(VALU_DEP_2) | instskip(NEXT) | instid1(VALU_DEP_1)
	v_lshlrev_b64 v[13:14], v13, v[2:3]
	v_and_b32_e32 v13, 7, v13
; %bb.2636:                             ;   in Loop: Header=BB371_1567 Depth=1
	s_or_b32 exec_lo, exec_lo, s15
	v_lshlrev_b32_e32 v2, 8, v22
	v_lshl_add_u32 v6, v6, 10, 0x2000
	s_delay_alu instid0(VALU_DEP_1) | instskip(NEXT) | instid1(VALU_DEP_1)
	v_and_or_b32 v2, 0x8000, v2, v6
	v_lshl_or_b32 v2, v13, 7, v2
	s_delay_alu instid0(VALU_DEP_1)
	v_cvt_f32_f16_e32 v6, v2
.LBB371_2637:                           ;   in Loop: Header=BB371_1567 Depth=1
	s_or_b32 exec_lo, exec_lo, s13
.LBB371_2638:                           ;   in Loop: Header=BB371_1567 Depth=1
	s_delay_alu instid0(SALU_CYCLE_1)
	s_or_b32 exec_lo, exec_lo, s12
.LBB371_2639:                           ;   in Loop: Header=BB371_1567 Depth=1
	s_delay_alu instid0(SALU_CYCLE_1) | instskip(SKIP_3) | instid1(VALU_DEP_2)
	s_or_b32 exec_lo, exec_lo, s10
	v_lshrrev_b32_e32 v34, 16, v11
	v_mov_b32_e32 v22, 0
	s_mov_b32 s10, exec_lo
	v_dual_mov_b32 v23, 0 :: v_dual_and_b32 v2, 0xff, v34
	s_delay_alu instid0(VALU_DEP_1)
	v_cmpx_ne_u16_e32 0, v2
	s_cbranch_execz .LBB371_2647
; %bb.2640:                             ;   in Loop: Header=BB371_1567 Depth=1
	v_bfrev_b32_e32 v22, 1
	s_mov_b32 s12, exec_lo
	v_cmpx_ne_u16_e32 0x80, v2
	s_cbranch_execz .LBB371_2646
; %bb.2641:                             ;   in Loop: Header=BB371_1567 Depth=1
	v_bfe_u32 v35, v11, 16, 7
	v_mov_b32_e32 v22, 0x7fc02000
	s_mov_b32 s13, exec_lo
	s_delay_alu instid0(VALU_DEP_2)
	v_cmpx_ne_u32_e32 0x7f, v35
	s_cbranch_execz .LBB371_2645
; %bb.2642:                             ;   in Loop: Header=BB371_1567 Depth=1
	v_and_b32_e32 v2, 7, v34
	v_lshrrev_b32_e32 v22, 3, v35
	v_mov_b32_e32 v14, v3
	s_mov_b32 s15, exec_lo
	s_delay_alu instid0(VALU_DEP_3)
	v_mov_b32_e32 v13, v2
	v_cmpx_gt_u32_e32 8, v35
; %bb.2643:                             ;   in Loop: Header=BB371_1567 Depth=1
	v_clz_i32_u32_e32 v13, v2
	s_delay_alu instid0(VALU_DEP_1) | instskip(NEXT) | instid1(VALU_DEP_1)
	v_min_u32_e32 v22, 32, v13
	v_subrev_nc_u32_e32 v13, 28, v22
	v_sub_nc_u32_e32 v22, 29, v22
	s_delay_alu instid0(VALU_DEP_2) | instskip(NEXT) | instid1(VALU_DEP_1)
	v_lshlrev_b64 v[13:14], v13, v[2:3]
	v_and_b32_e32 v13, 7, v13
; %bb.2644:                             ;   in Loop: Header=BB371_1567 Depth=1
	s_or_b32 exec_lo, exec_lo, s15
	v_lshlrev_b32_e32 v2, 8, v34
	v_lshl_add_u32 v14, v22, 10, 0x2000
	s_delay_alu instid0(VALU_DEP_1) | instskip(NEXT) | instid1(VALU_DEP_1)
	v_and_or_b32 v2, 0x8000, v2, v14
	v_lshl_or_b32 v2, v13, 7, v2
	s_delay_alu instid0(VALU_DEP_1)
	v_cvt_f32_f16_e32 v22, v2
.LBB371_2645:                           ;   in Loop: Header=BB371_1567 Depth=1
	s_or_b32 exec_lo, exec_lo, s13
.LBB371_2646:                           ;   in Loop: Header=BB371_1567 Depth=1
	s_delay_alu instid0(SALU_CYCLE_1)
	s_or_b32 exec_lo, exec_lo, s12
.LBB371_2647:                           ;   in Loop: Header=BB371_1567 Depth=1
	s_delay_alu instid0(SALU_CYCLE_1) | instskip(NEXT) | instid1(SALU_CYCLE_1)
	s_or_b32 exec_lo, exec_lo, s10
	s_mov_b32 s10, exec_lo
	v_cmpx_lt_u32_e32 0xffffff, v11
	s_cbranch_execz .LBB371_2655
; %bb.2648:                             ;   in Loop: Header=BB371_1567 Depth=1
	v_lshrrev_b32_e32 v34, 24, v11
	v_bfrev_b32_e32 v23, 1
	s_mov_b32 s12, exec_lo
	s_delay_alu instid0(VALU_DEP_2)
	v_cmpx_ne_u32_e32 0x80, v34
	s_cbranch_execz .LBB371_2654
; %bb.2649:                             ;   in Loop: Header=BB371_1567 Depth=1
	v_and_b32_e32 v35, 0x7f, v34
	v_mov_b32_e32 v23, 0x7fc02000
	s_mov_b32 s13, exec_lo
	s_delay_alu instid0(VALU_DEP_2)
	v_cmpx_ne_u32_e32 0x7f, v35
	s_cbranch_execz .LBB371_2653
; %bb.2650:                             ;   in Loop: Header=BB371_1567 Depth=1
	v_and_b32_e32 v2, 7, v34
	v_lshrrev_b32_e32 v23, 3, v35
	v_mov_b32_e32 v14, v3
	s_mov_b32 s15, exec_lo
	s_delay_alu instid0(VALU_DEP_3)
	v_mov_b32_e32 v13, v2
	v_cmpx_gt_u32_e32 8, v35
; %bb.2651:                             ;   in Loop: Header=BB371_1567 Depth=1
	v_clz_i32_u32_e32 v13, v2
	s_delay_alu instid0(VALU_DEP_1) | instskip(NEXT) | instid1(VALU_DEP_1)
	v_min_u32_e32 v23, 32, v13
	v_subrev_nc_u32_e32 v13, 28, v23
	v_sub_nc_u32_e32 v23, 29, v23
	s_delay_alu instid0(VALU_DEP_2) | instskip(NEXT) | instid1(VALU_DEP_1)
	v_lshlrev_b64 v[13:14], v13, v[2:3]
	v_and_b32_e32 v13, 7, v13
; %bb.2652:                             ;   in Loop: Header=BB371_1567 Depth=1
	s_or_b32 exec_lo, exec_lo, s15
	v_lshlrev_b32_e32 v2, 8, v34
	v_lshl_add_u32 v14, v23, 10, 0x2000
	s_delay_alu instid0(VALU_DEP_1) | instskip(NEXT) | instid1(VALU_DEP_1)
	v_and_or_b32 v2, 0x8000, v2, v14
	v_lshl_or_b32 v2, v13, 7, v2
	s_delay_alu instid0(VALU_DEP_1)
	v_cvt_f32_f16_e32 v23, v2
.LBB371_2653:                           ;   in Loop: Header=BB371_1567 Depth=1
	s_or_b32 exec_lo, exec_lo, s13
.LBB371_2654:                           ;   in Loop: Header=BB371_1567 Depth=1
	s_delay_alu instid0(SALU_CYCLE_1)
	s_or_b32 exec_lo, exec_lo, s12
.LBB371_2655:                           ;   in Loop: Header=BB371_1567 Depth=1
	s_delay_alu instid0(SALU_CYCLE_1) | instskip(SKIP_3) | instid1(VALU_DEP_2)
	s_or_b32 exec_lo, exec_lo, s10
	v_dual_mov_b32 v2, v12 :: v_dual_and_b32 v13, 0xff, v12
	v_dual_mov_b32 v35, 0 :: v_dual_mov_b32 v34, 0
	s_mov_b32 s10, exec_lo
	v_cmpx_ne_u16_e32 0, v13
	s_cbranch_execz .LBB371_2663
; %bb.2656:                             ;   in Loop: Header=BB371_1567 Depth=1
	v_bfrev_b32_e32 v34, 1
	s_mov_b32 s12, exec_lo
	v_cmpx_ne_u16_e32 0x80, v13
	s_cbranch_execz .LBB371_2662
; %bb.2657:                             ;   in Loop: Header=BB371_1567 Depth=1
	v_and_b32_e32 v36, 0x7f, v12
	v_mov_b32_e32 v34, 0x7fc02000
	s_mov_b32 s13, exec_lo
	s_delay_alu instid0(VALU_DEP_2)
	v_cmpx_ne_u32_e32 0x7f, v36
	s_cbranch_execz .LBB371_2661
; %bb.2658:                             ;   in Loop: Header=BB371_1567 Depth=1
	v_dual_mov_b32 v14, v3 :: v_dual_mov_b32 v13, v2
	v_lshrrev_b32_e32 v14, 3, v36
	s_mov_b32 s15, exec_lo
	v_cmpx_gt_u32_e32 8, v36
; %bb.2659:                             ;   in Loop: Header=BB371_1567 Depth=1
	v_and_b32_e32 v13, 7, v12
	s_delay_alu instid0(VALU_DEP_1) | instskip(NEXT) | instid1(VALU_DEP_1)
	v_clz_i32_u32_e32 v13, v13
	v_min_u32_e32 v34, 32, v13
	s_delay_alu instid0(VALU_DEP_1) | instskip(NEXT) | instid1(VALU_DEP_1)
	v_subrev_nc_u32_e32 v13, 28, v34
	v_lshlrev_b64 v[13:14], v13, v[2:3]
	v_sub_nc_u32_e32 v14, 29, v34
; %bb.2660:                             ;   in Loop: Header=BB371_1567 Depth=1
	s_or_b32 exec_lo, exec_lo, s15
	v_lshlrev_b32_e32 v34, 8, v12
	s_delay_alu instid0(VALU_DEP_2) | instskip(NEXT) | instid1(VALU_DEP_4)
	v_lshl_add_u32 v14, v14, 10, 0x2000
	v_lshlrev_b32_e32 v13, 7, v13
	s_delay_alu instid0(VALU_DEP_2) | instskip(NEXT) | instid1(VALU_DEP_1)
	v_and_or_b32 v14, 0x8000, v34, v14
	v_and_or_b32 v13, 0x380, v13, v14
	s_delay_alu instid0(VALU_DEP_1)
	v_cvt_f32_f16_e32 v34, v13
.LBB371_2661:                           ;   in Loop: Header=BB371_1567 Depth=1
	s_or_b32 exec_lo, exec_lo, s13
.LBB371_2662:                           ;   in Loop: Header=BB371_1567 Depth=1
	s_delay_alu instid0(SALU_CYCLE_1)
	s_or_b32 exec_lo, exec_lo, s12
.LBB371_2663:                           ;   in Loop: Header=BB371_1567 Depth=1
	s_delay_alu instid0(SALU_CYCLE_1) | instskip(SKIP_2) | instid1(VALU_DEP_1)
	s_or_b32 exec_lo, exec_lo, s10
	v_lshrrev_b16 v2, 8, v2
	s_mov_b32 s10, exec_lo
	v_cmpx_ne_u16_e32 0, v2
	s_cbranch_execz .LBB371_2671
; %bb.2664:                             ;   in Loop: Header=BB371_1567 Depth=1
	v_bfrev_b32_e32 v35, 1
	s_mov_b32 s12, exec_lo
	v_cmpx_ne_u16_e32 0x80, v2
	s_cbranch_execz .LBB371_2670
; %bb.2665:                             ;   in Loop: Header=BB371_1567 Depth=1
	v_and_b32_e32 v36, 0xffff, v2
	v_mov_b32_e32 v35, 0x7fc02000
	s_mov_b32 s13, exec_lo
	s_delay_alu instid0(VALU_DEP_2) | instskip(NEXT) | instid1(VALU_DEP_1)
	v_and_b32_e32 v178, 0x7f, v36
	v_cmpx_ne_u32_e32 0x7f, v178
	s_cbranch_execz .LBB371_2669
; %bb.2666:                             ;   in Loop: Header=BB371_1567 Depth=1
	v_and_b32_e32 v2, 7, v36
	v_lshrrev_b32_e32 v35, 3, v178
	v_mov_b32_e32 v14, v3
	s_mov_b32 s15, exec_lo
	s_delay_alu instid0(VALU_DEP_3)
	v_mov_b32_e32 v13, v2
	v_cmpx_gt_u32_e32 8, v178
; %bb.2667:                             ;   in Loop: Header=BB371_1567 Depth=1
	v_clz_i32_u32_e32 v13, v2
	s_delay_alu instid0(VALU_DEP_1) | instskip(NEXT) | instid1(VALU_DEP_1)
	v_min_u32_e32 v35, 32, v13
	v_subrev_nc_u32_e32 v13, 28, v35
	v_sub_nc_u32_e32 v35, 29, v35
	s_delay_alu instid0(VALU_DEP_2) | instskip(NEXT) | instid1(VALU_DEP_1)
	v_lshlrev_b64 v[13:14], v13, v[2:3]
	v_and_b32_e32 v13, 7, v13
; %bb.2668:                             ;   in Loop: Header=BB371_1567 Depth=1
	s_or_b32 exec_lo, exec_lo, s15
	v_lshlrev_b32_e32 v2, 8, v36
	v_lshl_add_u32 v14, v35, 10, 0x2000
	s_delay_alu instid0(VALU_DEP_1) | instskip(NEXT) | instid1(VALU_DEP_1)
	v_and_or_b32 v2, 0x8000, v2, v14
	v_lshl_or_b32 v2, v13, 7, v2
	s_delay_alu instid0(VALU_DEP_1)
	v_cvt_f32_f16_e32 v35, v2
.LBB371_2669:                           ;   in Loop: Header=BB371_1567 Depth=1
	s_or_b32 exec_lo, exec_lo, s13
.LBB371_2670:                           ;   in Loop: Header=BB371_1567 Depth=1
	s_delay_alu instid0(SALU_CYCLE_1)
	s_or_b32 exec_lo, exec_lo, s12
.LBB371_2671:                           ;   in Loop: Header=BB371_1567 Depth=1
	s_delay_alu instid0(SALU_CYCLE_1) | instskip(SKIP_3) | instid1(VALU_DEP_2)
	s_or_b32 exec_lo, exec_lo, s10
	v_lshrrev_b32_e32 v178, 16, v12
	v_mov_b32_e32 v36, 0
	s_mov_b32 s10, exec_lo
	v_dual_mov_b32 v13, 0 :: v_dual_and_b32 v2, 0xff, v178
	s_delay_alu instid0(VALU_DEP_1)
	v_cmpx_ne_u16_e32 0, v2
	s_cbranch_execz .LBB371_2679
; %bb.2672:                             ;   in Loop: Header=BB371_1567 Depth=1
	v_bfrev_b32_e32 v13, 1
	s_mov_b32 s12, exec_lo
	v_cmpx_ne_u16_e32 0x80, v2
	s_cbranch_execz .LBB371_2678
; %bb.2673:                             ;   in Loop: Header=BB371_1567 Depth=1
	v_bfe_u32 v180, v12, 16, 7
	v_mov_b32_e32 v13, 0x7fc02000
	s_mov_b32 s13, exec_lo
	s_delay_alu instid0(VALU_DEP_2)
	v_cmpx_ne_u32_e32 0x7f, v180
	s_cbranch_execz .LBB371_2677
; %bb.2674:                             ;   in Loop: Header=BB371_1567 Depth=1
	v_and_b32_e32 v2, 7, v178
	v_lshrrev_b32_e32 v179, 3, v180
	v_mov_b32_e32 v14, v3
	s_mov_b32 s15, exec_lo
	s_delay_alu instid0(VALU_DEP_3)
	v_mov_b32_e32 v13, v2
	v_cmpx_gt_u32_e32 8, v180
; %bb.2675:                             ;   in Loop: Header=BB371_1567 Depth=1
	v_clz_i32_u32_e32 v13, v2
	s_delay_alu instid0(VALU_DEP_1) | instskip(NEXT) | instid1(VALU_DEP_1)
	v_min_u32_e32 v179, 32, v13
	v_subrev_nc_u32_e32 v13, 28, v179
	v_sub_nc_u32_e32 v179, 29, v179
	s_delay_alu instid0(VALU_DEP_2) | instskip(NEXT) | instid1(VALU_DEP_1)
	v_lshlrev_b64 v[13:14], v13, v[2:3]
	v_and_b32_e32 v13, 7, v13
; %bb.2676:                             ;   in Loop: Header=BB371_1567 Depth=1
	s_or_b32 exec_lo, exec_lo, s15
	v_lshlrev_b32_e32 v2, 8, v178
	v_lshl_add_u32 v14, v179, 10, 0x2000
	s_delay_alu instid0(VALU_DEP_1) | instskip(NEXT) | instid1(VALU_DEP_1)
	v_and_or_b32 v2, 0x8000, v2, v14
	v_lshl_or_b32 v2, v13, 7, v2
	s_delay_alu instid0(VALU_DEP_1)
	v_cvt_f32_f16_e32 v13, v2
.LBB371_2677:                           ;   in Loop: Header=BB371_1567 Depth=1
	s_or_b32 exec_lo, exec_lo, s13
.LBB371_2678:                           ;   in Loop: Header=BB371_1567 Depth=1
	s_delay_alu instid0(SALU_CYCLE_1)
	s_or_b32 exec_lo, exec_lo, s12
.LBB371_2679:                           ;   in Loop: Header=BB371_1567 Depth=1
	s_delay_alu instid0(SALU_CYCLE_1) | instskip(NEXT) | instid1(SALU_CYCLE_1)
	s_or_b32 exec_lo, exec_lo, s10
	s_mov_b32 s10, exec_lo
	v_cmpx_lt_u64_e64 s[8:9], v[11:12]
	s_cbranch_execz .LBB371_2687
; %bb.2680:                             ;   in Loop: Header=BB371_1567 Depth=1
	v_lshrrev_b32_e32 v14, 24, v12
	v_bfrev_b32_e32 v36, 1
	s_mov_b32 s12, exec_lo
	s_delay_alu instid0(VALU_DEP_2)
	v_cmpx_ne_u32_e32 0x80, v14
	s_cbranch_execz .LBB371_2686
; %bb.2681:                             ;   in Loop: Header=BB371_1567 Depth=1
	v_and_b32_e32 v178, 0x7f, v14
	v_mov_b32_e32 v36, 0x7fc02000
	s_mov_b32 s13, exec_lo
	s_delay_alu instid0(VALU_DEP_2)
	v_cmpx_ne_u32_e32 0x7f, v178
	s_cbranch_execz .LBB371_2685
; %bb.2682:                             ;   in Loop: Header=BB371_1567 Depth=1
	v_and_b32_e32 v2, 7, v14
	v_lshrrev_b32_e32 v36, 3, v178
	v_mov_b32_e32 v12, v3
	s_mov_b32 s15, exec_lo
	s_delay_alu instid0(VALU_DEP_3)
	v_mov_b32_e32 v11, v2
	v_cmpx_gt_u32_e32 8, v178
; %bb.2683:                             ;   in Loop: Header=BB371_1567 Depth=1
	v_clz_i32_u32_e32 v11, v2
	s_delay_alu instid0(VALU_DEP_1) | instskip(NEXT) | instid1(VALU_DEP_1)
	v_min_u32_e32 v36, 32, v11
	v_subrev_nc_u32_e32 v11, 28, v36
	v_sub_nc_u32_e32 v36, 29, v36
	s_delay_alu instid0(VALU_DEP_2) | instskip(NEXT) | instid1(VALU_DEP_1)
	v_lshlrev_b64 v[11:12], v11, v[2:3]
	v_and_b32_e32 v11, 7, v11
; %bb.2684:                             ;   in Loop: Header=BB371_1567 Depth=1
	s_or_b32 exec_lo, exec_lo, s15
	v_lshlrev_b32_e32 v2, 8, v14
	v_lshl_add_u32 v12, v36, 10, 0x2000
	s_delay_alu instid0(VALU_DEP_1) | instskip(NEXT) | instid1(VALU_DEP_1)
	v_and_or_b32 v2, 0x8000, v2, v12
	v_lshl_or_b32 v2, v11, 7, v2
	s_delay_alu instid0(VALU_DEP_1)
	v_cvt_f32_f16_e32 v36, v2
.LBB371_2685:                           ;   in Loop: Header=BB371_1567 Depth=1
	s_or_b32 exec_lo, exec_lo, s13
.LBB371_2686:                           ;   in Loop: Header=BB371_1567 Depth=1
	s_delay_alu instid0(SALU_CYCLE_1)
	s_or_b32 exec_lo, exec_lo, s12
.LBB371_2687:                           ;   in Loop: Header=BB371_1567 Depth=1
	s_delay_alu instid0(SALU_CYCLE_1)
	s_or_b32 exec_lo, exec_lo, s10
	s_waitcnt vmcnt(0) lgkmcnt(0)
	v_fma_mixlo_f16 v6, v4, v6, 0
	v_fma_mixlo_f16 v2, v4, v23, 0
	;; [unrolled: 1-line block ×5, first 2 shown]
	v_lshlrev_b32_e32 v12, 16, v6
	v_fma_mixlo_f16 v6, v4, v5, 0
	v_fma_mixlo_f16 v23, v4, v36, 0
	;; [unrolled: 1-line block ×3, first 2 shown]
	v_lshlrev_b32_e32 v2, 16, v2
	v_and_b32_e32 v11, 0xffff, v11
	v_and_b32_e32 v4, 0xffff, v6
	v_lshlrev_b32_e32 v13, 16, v14
	v_and_b32_e32 v14, 0xffff, v22
	v_lshlrev_b32_e32 v22, 16, v23
	v_and_b32_e32 v23, 0xffff, v5
	v_or_b32_e32 v6, v2, v11
	v_or_b32_e32 v11, v12, v4
	;; [unrolled: 1-line block ×3, first 2 shown]
	s_delay_alu instid0(VALU_DEP_4)
	v_or_b32_e32 v4, v22, v23
	s_and_saveexec_b32 s10, vcc_lo
	s_cbranch_execz .LBB371_2689
; %bb.2688:                             ;   in Loop: Header=BB371_1567 Depth=1
	v_cmp_lt_i32_e64 s0, v17, v37
	v_lshrrev_b32_e32 v12, 16, v11
	v_lshrrev_b32_e32 v13, 16, v6
	;; [unrolled: 1-line block ×4, first 2 shown]
	v_cndmask_b32_e64 v11, 0, v11, s0
	v_cmp_lt_i32_e64 s0, v117, v87
	s_delay_alu instid0(VALU_DEP_1) | instskip(SKIP_1) | instid1(VALU_DEP_2)
	v_cndmask_b32_e64 v12, 0, v12, s0
	v_cmp_lt_i32_e64 s0, v116, v87
	v_perm_b32 v11, v12, v11, 0x5040100
	s_delay_alu instid0(VALU_DEP_2) | instskip(SKIP_1) | instid1(VALU_DEP_1)
	v_cndmask_b32_e64 v13, 0, v13, s0
	v_cmp_lt_i32_e64 s0, v115, v37
	v_cndmask_b32_e64 v6, 0, v6, s0
	v_cmp_lt_i32_e64 s0, v114, v87
	s_delay_alu instid0(VALU_DEP_2) | instskip(NEXT) | instid1(VALU_DEP_2)
	v_perm_b32 v6, v13, v6, 0x5040100
	v_cndmask_b32_e64 v14, 0, v14, s0
	v_cmp_lt_i32_e64 s0, v113, v37
	s_delay_alu instid0(VALU_DEP_1) | instskip(SKIP_1) | instid1(VALU_DEP_2)
	v_cndmask_b32_e64 v2, 0, v2, s0
	v_cmp_lt_i32_e64 s0, v112, v87
	v_perm_b32 v2, v14, v2, 0x5040100
	s_delay_alu instid0(VALU_DEP_2) | instskip(SKIP_1) | instid1(VALU_DEP_1)
	v_cndmask_b32_e64 v4, 0, v4, s0
	v_cmp_lt_i32_e64 s0, v103, v37
	v_cndmask_b32_e64 v5, 0, v5, s0
	s_delay_alu instid0(VALU_DEP_1)
	v_perm_b32 v4, v4, v5, 0x5040100
.LBB371_2689:                           ;   in Loop: Header=BB371_1567 Depth=1
	s_or_b32 exec_lo, exec_lo, s10
	;;#ASMSTART
	v_pk_mul_f16 v5, v102, v11;

	;;#ASMEND
	v_add_co_u32 v11, s0, v9, v80
	s_delay_alu instid0(VALU_DEP_1)
	v_add_co_ci_u32_e64 v12, s0, 0, v10, s0
	;;#ASMSTART
	v_pk_mul_f16 v6, v100, v6;

	;;#ASMEND
	;;#ASMSTART
	v_pk_mul_f16 v2, v98, v2;

	;;#ASMEND
	;; [unrolled: 4-line block ×3, first 2 shown]
	;;#ASMSTART
	v_pk_add_f16 v5, v5, v6;

	;;#ASMEND
	;;#ASMSTART
	v_pk_add_f16 v2, v5, v2;

	;;#ASMEND
	;; [unrolled: 4-line block ×3, first 2 shown]
	v_lshrrev_b32_e32 v5, 16, v2
	v_dual_mov_b32 v23, 0 :: v_dual_and_b32 v2, 0xffff, v2
	;;#ASMSTART
	v_cvt_f32_f16 v4, v2;
	;;#ASMEND
	;;#ASMSTART
	v_cvt_f32_f16 v5, v5;
	;;#ASMEND
	flat_load_b64 v[11:12], v[11:12]
	flat_load_b32 v6, v[26:27]
	v_mov_b32_e32 v22, 0
	s_mov_b32 s10, exec_lo
	s_waitcnt vmcnt(1) lgkmcnt(1)
	v_and_b32_e32 v2, 0xff, v11
	s_delay_alu instid0(VALU_DEP_1)
	v_cmpx_ne_u16_e32 0, v2
	s_cbranch_execz .LBB371_2697
; %bb.2690:                             ;   in Loop: Header=BB371_1567 Depth=1
	v_bfrev_b32_e32 v22, 1
	s_mov_b32 s12, exec_lo
	v_cmpx_ne_u16_e32 0x80, v2
	s_cbranch_execz .LBB371_2696
; %bb.2691:                             ;   in Loop: Header=BB371_1567 Depth=1
	v_and_b32_e32 v13, 0x7f, v11
	v_mov_b32_e32 v22, 0x7fc02000
	s_mov_b32 s13, exec_lo
	s_delay_alu instid0(VALU_DEP_2)
	v_cmpx_ne_u32_e32 0x7f, v13
	s_cbranch_execz .LBB371_2695
; %bb.2692:                             ;   in Loop: Header=BB371_1567 Depth=1
	v_lshrrev_b32_e32 v2, 3, v13
	v_cmp_gt_u32_e64 s0, 8, v13
	v_dual_mov_b32 v14, v12 :: v_dual_mov_b32 v13, v11
	s_delay_alu instid0(VALU_DEP_2)
	s_and_saveexec_b32 s15, s0
; %bb.2693:                             ;   in Loop: Header=BB371_1567 Depth=1
	v_and_b32_e32 v2, 7, v11
	s_delay_alu instid0(VALU_DEP_1) | instskip(NEXT) | instid1(VALU_DEP_1)
	v_clz_i32_u32_e32 v2, v2
	v_min_u32_e32 v2, 32, v2
	s_delay_alu instid0(VALU_DEP_1) | instskip(SKIP_1) | instid1(VALU_DEP_2)
	v_subrev_nc_u32_e32 v13, 28, v2
	v_sub_nc_u32_e32 v2, 29, v2
	v_lshlrev_b64 v[13:14], v13, v[11:12]
; %bb.2694:                             ;   in Loop: Header=BB371_1567 Depth=1
	s_or_b32 exec_lo, exec_lo, s15
	v_lshlrev_b32_e32 v14, 8, v11
	s_delay_alu instid0(VALU_DEP_3) | instskip(NEXT) | instid1(VALU_DEP_3)
	v_lshl_add_u32 v2, v2, 10, 0x2000
	v_lshlrev_b32_e32 v13, 7, v13
	s_delay_alu instid0(VALU_DEP_2) | instskip(NEXT) | instid1(VALU_DEP_1)
	v_and_or_b32 v2, 0x8000, v14, v2
	v_and_or_b32 v2, 0x380, v13, v2
	s_delay_alu instid0(VALU_DEP_1)
	v_cvt_f32_f16_e32 v22, v2
.LBB371_2695:                           ;   in Loop: Header=BB371_1567 Depth=1
	s_or_b32 exec_lo, exec_lo, s13
.LBB371_2696:                           ;   in Loop: Header=BB371_1567 Depth=1
	s_delay_alu instid0(SALU_CYCLE_1)
	s_or_b32 exec_lo, exec_lo, s12
.LBB371_2697:                           ;   in Loop: Header=BB371_1567 Depth=1
	s_delay_alu instid0(SALU_CYCLE_1) | instskip(SKIP_2) | instid1(VALU_DEP_1)
	s_or_b32 exec_lo, exec_lo, s10
	v_lshrrev_b16 v2, 8, v11
	s_mov_b32 s10, exec_lo
	v_cmpx_ne_u16_e32 0, v2
	s_cbranch_execz .LBB371_2705
; %bb.2698:                             ;   in Loop: Header=BB371_1567 Depth=1
	v_bfrev_b32_e32 v23, 1
	s_mov_b32 s12, exec_lo
	v_cmpx_ne_u16_e32 0x80, v2
	s_cbranch_execz .LBB371_2704
; %bb.2699:                             ;   in Loop: Header=BB371_1567 Depth=1
	v_and_b32_e32 v34, 0xffff, v2
	v_mov_b32_e32 v23, 0x7fc02000
	s_mov_b32 s13, exec_lo
	s_delay_alu instid0(VALU_DEP_2) | instskip(NEXT) | instid1(VALU_DEP_1)
	v_and_b32_e32 v35, 0x7f, v34
	v_cmpx_ne_u32_e32 0x7f, v35
	s_cbranch_execz .LBB371_2703
; %bb.2700:                             ;   in Loop: Header=BB371_1567 Depth=1
	v_and_b32_e32 v2, 7, v34
	v_lshrrev_b32_e32 v23, 3, v35
	v_mov_b32_e32 v14, v3
	s_mov_b32 s15, exec_lo
	s_delay_alu instid0(VALU_DEP_3)
	v_mov_b32_e32 v13, v2
	v_cmpx_gt_u32_e32 8, v35
; %bb.2701:                             ;   in Loop: Header=BB371_1567 Depth=1
	v_clz_i32_u32_e32 v13, v2
	s_delay_alu instid0(VALU_DEP_1) | instskip(NEXT) | instid1(VALU_DEP_1)
	v_min_u32_e32 v23, 32, v13
	v_subrev_nc_u32_e32 v13, 28, v23
	v_sub_nc_u32_e32 v23, 29, v23
	s_delay_alu instid0(VALU_DEP_2) | instskip(NEXT) | instid1(VALU_DEP_1)
	v_lshlrev_b64 v[13:14], v13, v[2:3]
	v_and_b32_e32 v13, 7, v13
; %bb.2702:                             ;   in Loop: Header=BB371_1567 Depth=1
	s_or_b32 exec_lo, exec_lo, s15
	v_lshlrev_b32_e32 v2, 8, v34
	v_lshl_add_u32 v14, v23, 10, 0x2000
	s_delay_alu instid0(VALU_DEP_1) | instskip(NEXT) | instid1(VALU_DEP_1)
	v_and_or_b32 v2, 0x8000, v2, v14
	v_lshl_or_b32 v2, v13, 7, v2
	s_delay_alu instid0(VALU_DEP_1)
	v_cvt_f32_f16_e32 v23, v2
.LBB371_2703:                           ;   in Loop: Header=BB371_1567 Depth=1
	s_or_b32 exec_lo, exec_lo, s13
.LBB371_2704:                           ;   in Loop: Header=BB371_1567 Depth=1
	s_delay_alu instid0(SALU_CYCLE_1)
	s_or_b32 exec_lo, exec_lo, s12
.LBB371_2705:                           ;   in Loop: Header=BB371_1567 Depth=1
	s_delay_alu instid0(SALU_CYCLE_1) | instskip(SKIP_3) | instid1(VALU_DEP_2)
	s_or_b32 exec_lo, exec_lo, s10
	v_lshrrev_b32_e32 v36, 16, v11
	v_mov_b32_e32 v34, 0
	s_mov_b32 s10, exec_lo
	v_dual_mov_b32 v35, 0 :: v_dual_and_b32 v2, 0xff, v36
	s_delay_alu instid0(VALU_DEP_1)
	v_cmpx_ne_u16_e32 0, v2
	s_cbranch_execz .LBB371_2713
; %bb.2706:                             ;   in Loop: Header=BB371_1567 Depth=1
	v_bfrev_b32_e32 v34, 1
	s_mov_b32 s12, exec_lo
	v_cmpx_ne_u16_e32 0x80, v2
	s_cbranch_execz .LBB371_2712
; %bb.2707:                             ;   in Loop: Header=BB371_1567 Depth=1
	v_bfe_u32 v178, v11, 16, 7
	v_mov_b32_e32 v34, 0x7fc02000
	s_mov_b32 s13, exec_lo
	s_delay_alu instid0(VALU_DEP_2)
	v_cmpx_ne_u32_e32 0x7f, v178
	s_cbranch_execz .LBB371_2711
; %bb.2708:                             ;   in Loop: Header=BB371_1567 Depth=1
	v_and_b32_e32 v2, 7, v36
	v_lshrrev_b32_e32 v34, 3, v178
	v_mov_b32_e32 v14, v3
	s_mov_b32 s15, exec_lo
	s_delay_alu instid0(VALU_DEP_3)
	v_mov_b32_e32 v13, v2
	v_cmpx_gt_u32_e32 8, v178
; %bb.2709:                             ;   in Loop: Header=BB371_1567 Depth=1
	v_clz_i32_u32_e32 v13, v2
	s_delay_alu instid0(VALU_DEP_1) | instskip(NEXT) | instid1(VALU_DEP_1)
	v_min_u32_e32 v34, 32, v13
	v_subrev_nc_u32_e32 v13, 28, v34
	v_sub_nc_u32_e32 v34, 29, v34
	s_delay_alu instid0(VALU_DEP_2) | instskip(NEXT) | instid1(VALU_DEP_1)
	v_lshlrev_b64 v[13:14], v13, v[2:3]
	v_and_b32_e32 v13, 7, v13
; %bb.2710:                             ;   in Loop: Header=BB371_1567 Depth=1
	s_or_b32 exec_lo, exec_lo, s15
	v_lshlrev_b32_e32 v2, 8, v36
	v_lshl_add_u32 v14, v34, 10, 0x2000
	s_delay_alu instid0(VALU_DEP_1) | instskip(NEXT) | instid1(VALU_DEP_1)
	v_and_or_b32 v2, 0x8000, v2, v14
	v_lshl_or_b32 v2, v13, 7, v2
	s_delay_alu instid0(VALU_DEP_1)
	v_cvt_f32_f16_e32 v34, v2
.LBB371_2711:                           ;   in Loop: Header=BB371_1567 Depth=1
	s_or_b32 exec_lo, exec_lo, s13
.LBB371_2712:                           ;   in Loop: Header=BB371_1567 Depth=1
	s_delay_alu instid0(SALU_CYCLE_1)
	s_or_b32 exec_lo, exec_lo, s12
.LBB371_2713:                           ;   in Loop: Header=BB371_1567 Depth=1
	s_delay_alu instid0(SALU_CYCLE_1) | instskip(NEXT) | instid1(SALU_CYCLE_1)
	s_or_b32 exec_lo, exec_lo, s10
	s_mov_b32 s10, exec_lo
	v_cmpx_lt_u32_e32 0xffffff, v11
	s_cbranch_execz .LBB371_2721
; %bb.2714:                             ;   in Loop: Header=BB371_1567 Depth=1
	v_lshrrev_b32_e32 v36, 24, v11
	v_bfrev_b32_e32 v35, 1
	s_mov_b32 s12, exec_lo
	s_delay_alu instid0(VALU_DEP_2)
	v_cmpx_ne_u32_e32 0x80, v36
	s_cbranch_execz .LBB371_2720
; %bb.2715:                             ;   in Loop: Header=BB371_1567 Depth=1
	v_and_b32_e32 v178, 0x7f, v36
	v_mov_b32_e32 v35, 0x7fc02000
	s_mov_b32 s13, exec_lo
	s_delay_alu instid0(VALU_DEP_2)
	v_cmpx_ne_u32_e32 0x7f, v178
	s_cbranch_execz .LBB371_2719
; %bb.2716:                             ;   in Loop: Header=BB371_1567 Depth=1
	v_and_b32_e32 v2, 7, v36
	v_lshrrev_b32_e32 v35, 3, v178
	v_mov_b32_e32 v14, v3
	s_mov_b32 s15, exec_lo
	s_delay_alu instid0(VALU_DEP_3)
	v_mov_b32_e32 v13, v2
	v_cmpx_gt_u32_e32 8, v178
; %bb.2717:                             ;   in Loop: Header=BB371_1567 Depth=1
	v_clz_i32_u32_e32 v13, v2
	s_delay_alu instid0(VALU_DEP_1) | instskip(NEXT) | instid1(VALU_DEP_1)
	v_min_u32_e32 v35, 32, v13
	v_subrev_nc_u32_e32 v13, 28, v35
	v_sub_nc_u32_e32 v35, 29, v35
	s_delay_alu instid0(VALU_DEP_2) | instskip(NEXT) | instid1(VALU_DEP_1)
	v_lshlrev_b64 v[13:14], v13, v[2:3]
	v_and_b32_e32 v13, 7, v13
; %bb.2718:                             ;   in Loop: Header=BB371_1567 Depth=1
	s_or_b32 exec_lo, exec_lo, s15
	v_lshlrev_b32_e32 v2, 8, v36
	v_lshl_add_u32 v14, v35, 10, 0x2000
	s_delay_alu instid0(VALU_DEP_1) | instskip(NEXT) | instid1(VALU_DEP_1)
	v_and_or_b32 v2, 0x8000, v2, v14
	v_lshl_or_b32 v2, v13, 7, v2
	s_delay_alu instid0(VALU_DEP_1)
	v_cvt_f32_f16_e32 v35, v2
.LBB371_2719:                           ;   in Loop: Header=BB371_1567 Depth=1
	s_or_b32 exec_lo, exec_lo, s13
.LBB371_2720:                           ;   in Loop: Header=BB371_1567 Depth=1
	s_delay_alu instid0(SALU_CYCLE_1)
	s_or_b32 exec_lo, exec_lo, s12
.LBB371_2721:                           ;   in Loop: Header=BB371_1567 Depth=1
	s_delay_alu instid0(SALU_CYCLE_1) | instskip(SKIP_4) | instid1(VALU_DEP_3)
	s_or_b32 exec_lo, exec_lo, s10
	v_dual_mov_b32 v2, v12 :: v_dual_and_b32 v13, 0xff, v12
	v_mov_b32_e32 v178, 0
	v_mov_b32_e32 v36, 0
	s_mov_b32 s10, exec_lo
	v_cmpx_ne_u16_e32 0, v13
	s_cbranch_execz .LBB371_2729
; %bb.2722:                             ;   in Loop: Header=BB371_1567 Depth=1
	v_bfrev_b32_e32 v36, 1
	s_mov_b32 s12, exec_lo
	v_cmpx_ne_u16_e32 0x80, v13
	s_cbranch_execz .LBB371_2728
; %bb.2723:                             ;   in Loop: Header=BB371_1567 Depth=1
	v_and_b32_e32 v179, 0x7f, v12
	v_mov_b32_e32 v36, 0x7fc02000
	s_mov_b32 s13, exec_lo
	s_delay_alu instid0(VALU_DEP_2)
	v_cmpx_ne_u32_e32 0x7f, v179
	s_cbranch_execz .LBB371_2727
; %bb.2724:                             ;   in Loop: Header=BB371_1567 Depth=1
	v_dual_mov_b32 v14, v3 :: v_dual_mov_b32 v13, v2
	v_lshrrev_b32_e32 v14, 3, v179
	s_mov_b32 s15, exec_lo
	v_cmpx_gt_u32_e32 8, v179
; %bb.2725:                             ;   in Loop: Header=BB371_1567 Depth=1
	v_and_b32_e32 v13, 7, v12
	s_delay_alu instid0(VALU_DEP_1) | instskip(NEXT) | instid1(VALU_DEP_1)
	v_clz_i32_u32_e32 v13, v13
	v_min_u32_e32 v36, 32, v13
	s_delay_alu instid0(VALU_DEP_1) | instskip(NEXT) | instid1(VALU_DEP_1)
	v_subrev_nc_u32_e32 v13, 28, v36
	v_lshlrev_b64 v[13:14], v13, v[2:3]
	v_sub_nc_u32_e32 v14, 29, v36
; %bb.2726:                             ;   in Loop: Header=BB371_1567 Depth=1
	s_or_b32 exec_lo, exec_lo, s15
	v_lshlrev_b32_e32 v36, 8, v12
	s_delay_alu instid0(VALU_DEP_2) | instskip(NEXT) | instid1(VALU_DEP_4)
	v_lshl_add_u32 v14, v14, 10, 0x2000
	v_lshlrev_b32_e32 v13, 7, v13
	s_delay_alu instid0(VALU_DEP_2) | instskip(NEXT) | instid1(VALU_DEP_1)
	v_and_or_b32 v14, 0x8000, v36, v14
	v_and_or_b32 v13, 0x380, v13, v14
	s_delay_alu instid0(VALU_DEP_1)
	v_cvt_f32_f16_e32 v36, v13
.LBB371_2727:                           ;   in Loop: Header=BB371_1567 Depth=1
	s_or_b32 exec_lo, exec_lo, s13
.LBB371_2728:                           ;   in Loop: Header=BB371_1567 Depth=1
	s_delay_alu instid0(SALU_CYCLE_1)
	s_or_b32 exec_lo, exec_lo, s12
.LBB371_2729:                           ;   in Loop: Header=BB371_1567 Depth=1
	s_delay_alu instid0(SALU_CYCLE_1) | instskip(SKIP_2) | instid1(VALU_DEP_1)
	s_or_b32 exec_lo, exec_lo, s10
	v_lshrrev_b16 v2, 8, v2
	s_mov_b32 s10, exec_lo
	v_cmpx_ne_u16_e32 0, v2
	s_cbranch_execz .LBB371_2737
; %bb.2730:                             ;   in Loop: Header=BB371_1567 Depth=1
	v_bfrev_b32_e32 v178, 1
	s_mov_b32 s12, exec_lo
	v_cmpx_ne_u16_e32 0x80, v2
	s_cbranch_execz .LBB371_2736
; %bb.2731:                             ;   in Loop: Header=BB371_1567 Depth=1
	v_and_b32_e32 v179, 0xffff, v2
	v_mov_b32_e32 v178, 0x7fc02000
	s_mov_b32 s13, exec_lo
	s_delay_alu instid0(VALU_DEP_2) | instskip(NEXT) | instid1(VALU_DEP_1)
	v_and_b32_e32 v180, 0x7f, v179
	v_cmpx_ne_u32_e32 0x7f, v180
	s_cbranch_execz .LBB371_2735
; %bb.2732:                             ;   in Loop: Header=BB371_1567 Depth=1
	v_and_b32_e32 v2, 7, v179
	v_lshrrev_b32_e32 v178, 3, v180
	v_mov_b32_e32 v14, v3
	s_mov_b32 s15, exec_lo
	s_delay_alu instid0(VALU_DEP_3)
	v_mov_b32_e32 v13, v2
	v_cmpx_gt_u32_e32 8, v180
; %bb.2733:                             ;   in Loop: Header=BB371_1567 Depth=1
	v_clz_i32_u32_e32 v13, v2
	s_delay_alu instid0(VALU_DEP_1) | instskip(NEXT) | instid1(VALU_DEP_1)
	v_min_u32_e32 v178, 32, v13
	v_subrev_nc_u32_e32 v13, 28, v178
	v_sub_nc_u32_e32 v178, 29, v178
	s_delay_alu instid0(VALU_DEP_2) | instskip(NEXT) | instid1(VALU_DEP_1)
	v_lshlrev_b64 v[13:14], v13, v[2:3]
	v_and_b32_e32 v13, 7, v13
; %bb.2734:                             ;   in Loop: Header=BB371_1567 Depth=1
	s_or_b32 exec_lo, exec_lo, s15
	v_lshlrev_b32_e32 v2, 8, v179
	v_lshl_add_u32 v14, v178, 10, 0x2000
	s_delay_alu instid0(VALU_DEP_1) | instskip(NEXT) | instid1(VALU_DEP_1)
	v_and_or_b32 v2, 0x8000, v2, v14
	v_lshl_or_b32 v2, v13, 7, v2
	s_delay_alu instid0(VALU_DEP_1)
	v_cvt_f32_f16_e64 v178, v2
.LBB371_2735:                           ;   in Loop: Header=BB371_1567 Depth=1
	s_or_b32 exec_lo, exec_lo, s13
.LBB371_2736:                           ;   in Loop: Header=BB371_1567 Depth=1
	s_delay_alu instid0(SALU_CYCLE_1)
	s_or_b32 exec_lo, exec_lo, s12
.LBB371_2737:                           ;   in Loop: Header=BB371_1567 Depth=1
	s_delay_alu instid0(SALU_CYCLE_1) | instskip(SKIP_3) | instid1(VALU_DEP_2)
	s_or_b32 exec_lo, exec_lo, s10
	v_lshrrev_b32_e32 v180, 16, v12
	v_mov_b32_e32 v13, 0
	s_mov_b32 s10, exec_lo
	v_dual_mov_b32 v179, 0 :: v_dual_and_b32 v2, 0xff, v180
	s_delay_alu instid0(VALU_DEP_1)
	v_cmpx_ne_u16_e32 0, v2
	s_cbranch_execz .LBB371_2745
; %bb.2738:                             ;   in Loop: Header=BB371_1567 Depth=1
	v_bfrev_b32_e32 v13, 1
	s_mov_b32 s12, exec_lo
	v_cmpx_ne_u16_e32 0x80, v2
	s_cbranch_execz .LBB371_2744
; %bb.2739:                             ;   in Loop: Header=BB371_1567 Depth=1
	v_bfe_u32 v182, v12, 16, 7
	v_mov_b32_e32 v13, 0x7fc02000
	s_mov_b32 s13, exec_lo
	s_delay_alu instid0(VALU_DEP_2)
	v_cmpx_ne_u32_e32 0x7f, v182
	s_cbranch_execz .LBB371_2743
; %bb.2740:                             ;   in Loop: Header=BB371_1567 Depth=1
	v_and_b32_e32 v2, 7, v180
	v_lshrrev_b32_e32 v181, 3, v182
	v_mov_b32_e32 v14, v3
	s_mov_b32 s15, exec_lo
	s_delay_alu instid0(VALU_DEP_3)
	v_mov_b32_e32 v13, v2
	v_cmpx_gt_u32_e32 8, v182
; %bb.2741:                             ;   in Loop: Header=BB371_1567 Depth=1
	v_clz_i32_u32_e32 v13, v2
	s_delay_alu instid0(VALU_DEP_1) | instskip(NEXT) | instid1(VALU_DEP_1)
	v_min_u32_e32 v181, 32, v13
	v_subrev_nc_u32_e32 v13, 28, v181
	v_sub_nc_u32_e32 v181, 29, v181
	s_delay_alu instid0(VALU_DEP_2) | instskip(NEXT) | instid1(VALU_DEP_1)
	v_lshlrev_b64 v[13:14], v13, v[2:3]
	v_and_b32_e32 v13, 7, v13
; %bb.2742:                             ;   in Loop: Header=BB371_1567 Depth=1
	s_or_b32 exec_lo, exec_lo, s15
	v_lshlrev_b32_e32 v2, 8, v180
	v_lshl_add_u32 v14, v181, 10, 0x2000
	s_delay_alu instid0(VALU_DEP_1) | instskip(NEXT) | instid1(VALU_DEP_1)
	v_and_or_b32 v2, 0x8000, v2, v14
	v_lshl_or_b32 v2, v13, 7, v2
	s_delay_alu instid0(VALU_DEP_1)
	v_cvt_f32_f16_e32 v13, v2
.LBB371_2743:                           ;   in Loop: Header=BB371_1567 Depth=1
	s_or_b32 exec_lo, exec_lo, s13
.LBB371_2744:                           ;   in Loop: Header=BB371_1567 Depth=1
	s_delay_alu instid0(SALU_CYCLE_1)
	s_or_b32 exec_lo, exec_lo, s12
.LBB371_2745:                           ;   in Loop: Header=BB371_1567 Depth=1
	s_delay_alu instid0(SALU_CYCLE_1) | instskip(NEXT) | instid1(SALU_CYCLE_1)
	s_or_b32 exec_lo, exec_lo, s10
	s_mov_b32 s10, exec_lo
	v_cmpx_lt_u64_e64 s[8:9], v[11:12]
	s_cbranch_execz .LBB371_2753
; %bb.2746:                             ;   in Loop: Header=BB371_1567 Depth=1
	v_lshrrev_b32_e32 v14, 24, v12
	v_bfrev_b32_e32 v179, 1
	s_mov_b32 s12, exec_lo
	s_delay_alu instid0(VALU_DEP_2)
	v_cmpx_ne_u32_e32 0x80, v14
	s_cbranch_execz .LBB371_2752
; %bb.2747:                             ;   in Loop: Header=BB371_1567 Depth=1
	v_and_b32_e32 v180, 0x7f, v14
	v_mov_b32_e32 v179, 0x7fc02000
	s_mov_b32 s13, exec_lo
	s_delay_alu instid0(VALU_DEP_2)
	v_cmpx_ne_u32_e32 0x7f, v180
	s_cbranch_execz .LBB371_2751
; %bb.2748:                             ;   in Loop: Header=BB371_1567 Depth=1
	v_and_b32_e32 v2, 7, v14
	v_lshrrev_b32_e32 v179, 3, v180
	v_mov_b32_e32 v12, v3
	s_mov_b32 s15, exec_lo
	s_delay_alu instid0(VALU_DEP_3)
	v_mov_b32_e32 v11, v2
	v_cmpx_gt_u32_e32 8, v180
; %bb.2749:                             ;   in Loop: Header=BB371_1567 Depth=1
	v_clz_i32_u32_e32 v11, v2
	s_delay_alu instid0(VALU_DEP_1) | instskip(NEXT) | instid1(VALU_DEP_1)
	v_min_u32_e32 v179, 32, v11
	v_subrev_nc_u32_e32 v11, 28, v179
	v_sub_nc_u32_e32 v179, 29, v179
	s_delay_alu instid0(VALU_DEP_2) | instskip(NEXT) | instid1(VALU_DEP_1)
	v_lshlrev_b64 v[11:12], v11, v[2:3]
	v_and_b32_e32 v11, 7, v11
; %bb.2750:                             ;   in Loop: Header=BB371_1567 Depth=1
	s_or_b32 exec_lo, exec_lo, s15
	v_lshlrev_b32_e32 v2, 8, v14
	v_lshl_add_u32 v12, v179, 10, 0x2000
	s_delay_alu instid0(VALU_DEP_1) | instskip(NEXT) | instid1(VALU_DEP_1)
	v_and_or_b32 v2, 0x8000, v2, v12
	v_lshl_or_b32 v2, v11, 7, v2
	s_delay_alu instid0(VALU_DEP_1)
	v_cvt_f32_f16_e64 v179, v2
.LBB371_2751:                           ;   in Loop: Header=BB371_1567 Depth=1
	s_or_b32 exec_lo, exec_lo, s13
.LBB371_2752:                           ;   in Loop: Header=BB371_1567 Depth=1
	s_delay_alu instid0(SALU_CYCLE_1)
	s_or_b32 exec_lo, exec_lo, s12
.LBB371_2753:                           ;   in Loop: Header=BB371_1567 Depth=1
	s_delay_alu instid0(SALU_CYCLE_1)
	s_or_b32 exec_lo, exec_lo, s10
	s_waitcnt vmcnt(0) lgkmcnt(0)
	v_fma_mixlo_f16 v11, v6, v34, 0
	v_fma_mixlo_f16 v12, v6, v23, 0
	;; [unrolled: 1-line block ×5, first 2 shown]
	v_and_b32_e32 v14, 0xffff, v11
	v_lshlrev_b32_e32 v23, 16, v12
	v_fma_mixlo_f16 v12, v6, v22, 0
	v_fma_mixlo_f16 v22, v6, v178, 0
	;; [unrolled: 1-line block ×3, first 2 shown]
	v_lshlrev_b32_e32 v2, 16, v2
	v_and_b32_e32 v34, 0xffff, v34
	v_and_b32_e32 v6, 0xffff, v12
	v_lshlrev_b32_e32 v22, 16, v22
	v_lshlrev_b32_e32 v35, 16, v35
	v_and_b32_e32 v36, 0xffff, v11
	v_or_b32_e32 v12, v2, v14
	v_or_b32_e32 v13, v23, v6
	;; [unrolled: 1-line block ×3, first 2 shown]
	s_delay_alu instid0(VALU_DEP_4)
	v_or_b32_e32 v6, v35, v36
	s_and_saveexec_b32 s10, vcc_lo
	s_cbranch_execz .LBB371_2755
; %bb.2754:                             ;   in Loop: Header=BB371_1567 Depth=1
	v_cmp_lt_i32_e64 s0, v17, v37
	v_lshrrev_b32_e32 v14, 16, v13
	v_lshrrev_b32_e32 v22, 16, v12
	;; [unrolled: 1-line block ×4, first 2 shown]
	v_cndmask_b32_e64 v13, 0, v13, s0
	v_cmp_lt_i32_e64 s0, v117, v87
	s_delay_alu instid0(VALU_DEP_1) | instskip(SKIP_1) | instid1(VALU_DEP_2)
	v_cndmask_b32_e64 v14, 0, v14, s0
	v_cmp_lt_i32_e64 s0, v116, v87
	v_perm_b32 v13, v14, v13, 0x5040100
	s_delay_alu instid0(VALU_DEP_2) | instskip(SKIP_1) | instid1(VALU_DEP_1)
	v_cndmask_b32_e64 v22, 0, v22, s0
	v_cmp_lt_i32_e64 s0, v115, v37
	v_cndmask_b32_e64 v12, 0, v12, s0
	v_cmp_lt_i32_e64 s0, v114, v87
	s_delay_alu instid0(VALU_DEP_2) | instskip(NEXT) | instid1(VALU_DEP_2)
	v_perm_b32 v12, v22, v12, 0x5040100
	v_cndmask_b32_e64 v23, 0, v23, s0
	v_cmp_lt_i32_e64 s0, v113, v37
	s_delay_alu instid0(VALU_DEP_1) | instskip(SKIP_1) | instid1(VALU_DEP_2)
	v_cndmask_b32_e64 v2, 0, v2, s0
	v_cmp_lt_i32_e64 s0, v112, v87
	v_perm_b32 v2, v23, v2, 0x5040100
	s_delay_alu instid0(VALU_DEP_2) | instskip(SKIP_1) | instid1(VALU_DEP_1)
	v_cndmask_b32_e64 v6, 0, v6, s0
	v_cmp_lt_i32_e64 s0, v103, v37
	v_cndmask_b32_e64 v11, 0, v11, s0
	s_delay_alu instid0(VALU_DEP_1)
	v_perm_b32 v6, v6, v11, 0x5040100
.LBB371_2755:                           ;   in Loop: Header=BB371_1567 Depth=1
	s_or_b32 exec_lo, exec_lo, s10
	;;#ASMSTART
	v_pk_mul_f16 v11, v102, v13;

	;;#ASMEND
	;;#ASMSTART
	v_pk_mul_f16 v12, v100, v12;

	;;#ASMEND
	;; [unrolled: 4-line block ×4, first 2 shown]
	;;#ASMSTART
	v_pk_add_f16 v11, v11, v12;

	;;#ASMEND
	;;#ASMSTART
	v_pk_add_f16 v2, v11, v2;

	;;#ASMEND
	v_add_co_u32 v11, s0, v9, v81
	s_delay_alu instid0(VALU_DEP_1)
	v_add_co_ci_u32_e64 v12, s0, 0, v10, s0
	;;#ASMSTART
	v_pk_add_f16 v2, v2, v6;

	;;#ASMEND
	v_lshrrev_b32_e32 v6, 16, v2
	v_dual_mov_b32 v35, 0 :: v_dual_and_b32 v2, 0xffff, v2
	;;#ASMSTART
	v_cvt_f32_f16 v22, v2;
	;;#ASMEND
	;;#ASMSTART
	v_cvt_f32_f16 v23, v6;
	;;#ASMEND
	flat_load_b64 v[11:12], v[11:12]
	flat_load_b32 v6, v[26:27]
	v_mov_b32_e32 v34, 0
	s_mov_b32 s10, exec_lo
	s_waitcnt vmcnt(1) lgkmcnt(1)
	v_and_b32_e32 v2, 0xff, v11
	s_delay_alu instid0(VALU_DEP_1)
	v_cmpx_ne_u16_e32 0, v2
	s_cbranch_execz .LBB371_2763
; %bb.2756:                             ;   in Loop: Header=BB371_1567 Depth=1
	v_bfrev_b32_e32 v34, 1
	s_mov_b32 s12, exec_lo
	v_cmpx_ne_u16_e32 0x80, v2
	s_cbranch_execz .LBB371_2762
; %bb.2757:                             ;   in Loop: Header=BB371_1567 Depth=1
	v_and_b32_e32 v13, 0x7f, v11
	v_mov_b32_e32 v34, 0x7fc02000
	s_mov_b32 s13, exec_lo
	s_delay_alu instid0(VALU_DEP_2)
	v_cmpx_ne_u32_e32 0x7f, v13
	s_cbranch_execz .LBB371_2761
; %bb.2758:                             ;   in Loop: Header=BB371_1567 Depth=1
	v_lshrrev_b32_e32 v2, 3, v13
	v_cmp_gt_u32_e64 s0, 8, v13
	v_dual_mov_b32 v14, v12 :: v_dual_mov_b32 v13, v11
	s_delay_alu instid0(VALU_DEP_2)
	s_and_saveexec_b32 s15, s0
; %bb.2759:                             ;   in Loop: Header=BB371_1567 Depth=1
	v_and_b32_e32 v2, 7, v11
	s_delay_alu instid0(VALU_DEP_1) | instskip(NEXT) | instid1(VALU_DEP_1)
	v_clz_i32_u32_e32 v2, v2
	v_min_u32_e32 v2, 32, v2
	s_delay_alu instid0(VALU_DEP_1) | instskip(SKIP_1) | instid1(VALU_DEP_2)
	v_subrev_nc_u32_e32 v13, 28, v2
	v_sub_nc_u32_e32 v2, 29, v2
	v_lshlrev_b64 v[13:14], v13, v[11:12]
; %bb.2760:                             ;   in Loop: Header=BB371_1567 Depth=1
	s_or_b32 exec_lo, exec_lo, s15
	v_lshlrev_b32_e32 v14, 8, v11
	s_delay_alu instid0(VALU_DEP_3) | instskip(NEXT) | instid1(VALU_DEP_3)
	v_lshl_add_u32 v2, v2, 10, 0x2000
	v_lshlrev_b32_e32 v13, 7, v13
	s_delay_alu instid0(VALU_DEP_2) | instskip(NEXT) | instid1(VALU_DEP_1)
	v_and_or_b32 v2, 0x8000, v14, v2
	v_and_or_b32 v2, 0x380, v13, v2
	s_delay_alu instid0(VALU_DEP_1)
	v_cvt_f32_f16_e32 v34, v2
.LBB371_2761:                           ;   in Loop: Header=BB371_1567 Depth=1
	s_or_b32 exec_lo, exec_lo, s13
.LBB371_2762:                           ;   in Loop: Header=BB371_1567 Depth=1
	s_delay_alu instid0(SALU_CYCLE_1)
	s_or_b32 exec_lo, exec_lo, s12
.LBB371_2763:                           ;   in Loop: Header=BB371_1567 Depth=1
	s_delay_alu instid0(SALU_CYCLE_1) | instskip(SKIP_2) | instid1(VALU_DEP_1)
	s_or_b32 exec_lo, exec_lo, s10
	v_lshrrev_b16 v2, 8, v11
	s_mov_b32 s10, exec_lo
	v_cmpx_ne_u16_e32 0, v2
	s_cbranch_execz .LBB371_2771
; %bb.2764:                             ;   in Loop: Header=BB371_1567 Depth=1
	v_bfrev_b32_e32 v35, 1
	s_mov_b32 s12, exec_lo
	v_cmpx_ne_u16_e32 0x80, v2
	s_cbranch_execz .LBB371_2770
; %bb.2765:                             ;   in Loop: Header=BB371_1567 Depth=1
	v_and_b32_e32 v36, 0xffff, v2
	v_mov_b32_e32 v35, 0x7fc02000
	s_mov_b32 s13, exec_lo
	s_delay_alu instid0(VALU_DEP_2) | instskip(NEXT) | instid1(VALU_DEP_1)
	v_and_b32_e32 v178, 0x7f, v36
	v_cmpx_ne_u32_e32 0x7f, v178
	s_cbranch_execz .LBB371_2769
; %bb.2766:                             ;   in Loop: Header=BB371_1567 Depth=1
	v_and_b32_e32 v2, 7, v36
	v_lshrrev_b32_e32 v35, 3, v178
	v_mov_b32_e32 v14, v3
	s_mov_b32 s15, exec_lo
	s_delay_alu instid0(VALU_DEP_3)
	v_mov_b32_e32 v13, v2
	v_cmpx_gt_u32_e32 8, v178
; %bb.2767:                             ;   in Loop: Header=BB371_1567 Depth=1
	v_clz_i32_u32_e32 v13, v2
	s_delay_alu instid0(VALU_DEP_1) | instskip(NEXT) | instid1(VALU_DEP_1)
	v_min_u32_e32 v35, 32, v13
	v_subrev_nc_u32_e32 v13, 28, v35
	v_sub_nc_u32_e32 v35, 29, v35
	s_delay_alu instid0(VALU_DEP_2) | instskip(NEXT) | instid1(VALU_DEP_1)
	v_lshlrev_b64 v[13:14], v13, v[2:3]
	v_and_b32_e32 v13, 7, v13
; %bb.2768:                             ;   in Loop: Header=BB371_1567 Depth=1
	s_or_b32 exec_lo, exec_lo, s15
	v_lshlrev_b32_e32 v2, 8, v36
	v_lshl_add_u32 v14, v35, 10, 0x2000
	s_delay_alu instid0(VALU_DEP_1) | instskip(NEXT) | instid1(VALU_DEP_1)
	v_and_or_b32 v2, 0x8000, v2, v14
	v_lshl_or_b32 v2, v13, 7, v2
	s_delay_alu instid0(VALU_DEP_1)
	v_cvt_f32_f16_e32 v35, v2
.LBB371_2769:                           ;   in Loop: Header=BB371_1567 Depth=1
	s_or_b32 exec_lo, exec_lo, s13
.LBB371_2770:                           ;   in Loop: Header=BB371_1567 Depth=1
	s_delay_alu instid0(SALU_CYCLE_1)
	s_or_b32 exec_lo, exec_lo, s12
.LBB371_2771:                           ;   in Loop: Header=BB371_1567 Depth=1
	s_delay_alu instid0(SALU_CYCLE_1) | instskip(SKIP_4) | instid1(VALU_DEP_3)
	s_or_b32 exec_lo, exec_lo, s10
	v_lshrrev_b32_e32 v179, 16, v11
	v_mov_b32_e32 v178, 0
	v_mov_b32_e32 v36, 0
	s_mov_b32 s10, exec_lo
	v_and_b32_e32 v2, 0xff, v179
	s_delay_alu instid0(VALU_DEP_1)
	v_cmpx_ne_u16_e32 0, v2
	s_cbranch_execz .LBB371_2779
; %bb.2772:                             ;   in Loop: Header=BB371_1567 Depth=1
	v_bfrev_b32_e32 v36, 1
	s_mov_b32 s12, exec_lo
	v_cmpx_ne_u16_e32 0x80, v2
	s_cbranch_execz .LBB371_2778
; %bb.2773:                             ;   in Loop: Header=BB371_1567 Depth=1
	v_bfe_u32 v180, v11, 16, 7
	v_mov_b32_e32 v36, 0x7fc02000
	s_mov_b32 s13, exec_lo
	s_delay_alu instid0(VALU_DEP_2)
	v_cmpx_ne_u32_e32 0x7f, v180
	s_cbranch_execz .LBB371_2777
; %bb.2774:                             ;   in Loop: Header=BB371_1567 Depth=1
	v_and_b32_e32 v2, 7, v179
	v_lshrrev_b32_e32 v36, 3, v180
	v_mov_b32_e32 v14, v3
	s_mov_b32 s15, exec_lo
	s_delay_alu instid0(VALU_DEP_3)
	v_mov_b32_e32 v13, v2
	v_cmpx_gt_u32_e32 8, v180
; %bb.2775:                             ;   in Loop: Header=BB371_1567 Depth=1
	v_clz_i32_u32_e32 v13, v2
	s_delay_alu instid0(VALU_DEP_1) | instskip(NEXT) | instid1(VALU_DEP_1)
	v_min_u32_e32 v36, 32, v13
	v_subrev_nc_u32_e32 v13, 28, v36
	v_sub_nc_u32_e32 v36, 29, v36
	s_delay_alu instid0(VALU_DEP_2) | instskip(NEXT) | instid1(VALU_DEP_1)
	v_lshlrev_b64 v[13:14], v13, v[2:3]
	v_and_b32_e32 v13, 7, v13
; %bb.2776:                             ;   in Loop: Header=BB371_1567 Depth=1
	s_or_b32 exec_lo, exec_lo, s15
	v_lshlrev_b32_e32 v2, 8, v179
	v_lshl_add_u32 v14, v36, 10, 0x2000
	s_delay_alu instid0(VALU_DEP_1) | instskip(NEXT) | instid1(VALU_DEP_1)
	v_and_or_b32 v2, 0x8000, v2, v14
	v_lshl_or_b32 v2, v13, 7, v2
	s_delay_alu instid0(VALU_DEP_1)
	v_cvt_f32_f16_e32 v36, v2
.LBB371_2777:                           ;   in Loop: Header=BB371_1567 Depth=1
	s_or_b32 exec_lo, exec_lo, s13
.LBB371_2778:                           ;   in Loop: Header=BB371_1567 Depth=1
	s_delay_alu instid0(SALU_CYCLE_1)
	s_or_b32 exec_lo, exec_lo, s12
.LBB371_2779:                           ;   in Loop: Header=BB371_1567 Depth=1
	s_delay_alu instid0(SALU_CYCLE_1) | instskip(NEXT) | instid1(SALU_CYCLE_1)
	s_or_b32 exec_lo, exec_lo, s10
	s_mov_b32 s10, exec_lo
	v_cmpx_lt_u32_e32 0xffffff, v11
	s_cbranch_execz .LBB371_2787
; %bb.2780:                             ;   in Loop: Header=BB371_1567 Depth=1
	v_lshrrev_b32_e32 v179, 24, v11
	v_bfrev_b32_e32 v178, 1
	s_mov_b32 s12, exec_lo
	s_delay_alu instid0(VALU_DEP_2)
	v_cmpx_ne_u32_e32 0x80, v179
	s_cbranch_execz .LBB371_2786
; %bb.2781:                             ;   in Loop: Header=BB371_1567 Depth=1
	v_and_b32_e32 v180, 0x7f, v179
	v_mov_b32_e32 v178, 0x7fc02000
	s_mov_b32 s13, exec_lo
	s_delay_alu instid0(VALU_DEP_2)
	v_cmpx_ne_u32_e32 0x7f, v180
	s_cbranch_execz .LBB371_2785
; %bb.2782:                             ;   in Loop: Header=BB371_1567 Depth=1
	v_and_b32_e32 v2, 7, v179
	v_lshrrev_b32_e32 v178, 3, v180
	v_mov_b32_e32 v14, v3
	s_mov_b32 s15, exec_lo
	s_delay_alu instid0(VALU_DEP_3)
	v_mov_b32_e32 v13, v2
	v_cmpx_gt_u32_e32 8, v180
; %bb.2783:                             ;   in Loop: Header=BB371_1567 Depth=1
	v_clz_i32_u32_e32 v13, v2
	s_delay_alu instid0(VALU_DEP_1) | instskip(NEXT) | instid1(VALU_DEP_1)
	v_min_u32_e32 v178, 32, v13
	v_subrev_nc_u32_e32 v13, 28, v178
	v_sub_nc_u32_e32 v178, 29, v178
	s_delay_alu instid0(VALU_DEP_2) | instskip(NEXT) | instid1(VALU_DEP_1)
	v_lshlrev_b64 v[13:14], v13, v[2:3]
	v_and_b32_e32 v13, 7, v13
; %bb.2784:                             ;   in Loop: Header=BB371_1567 Depth=1
	s_or_b32 exec_lo, exec_lo, s15
	v_lshlrev_b32_e32 v2, 8, v179
	v_lshl_add_u32 v14, v178, 10, 0x2000
	s_delay_alu instid0(VALU_DEP_1) | instskip(NEXT) | instid1(VALU_DEP_1)
	v_and_or_b32 v2, 0x8000, v2, v14
	v_lshl_or_b32 v2, v13, 7, v2
	s_delay_alu instid0(VALU_DEP_1)
	v_cvt_f32_f16_e64 v178, v2
.LBB371_2785:                           ;   in Loop: Header=BB371_1567 Depth=1
	s_or_b32 exec_lo, exec_lo, s13
.LBB371_2786:                           ;   in Loop: Header=BB371_1567 Depth=1
	s_delay_alu instid0(SALU_CYCLE_1)
	s_or_b32 exec_lo, exec_lo, s12
.LBB371_2787:                           ;   in Loop: Header=BB371_1567 Depth=1
	s_delay_alu instid0(SALU_CYCLE_1) | instskip(SKIP_3) | instid1(VALU_DEP_2)
	s_or_b32 exec_lo, exec_lo, s10
	v_dual_mov_b32 v2, v12 :: v_dual_and_b32 v13, 0xff, v12
	v_dual_mov_b32 v180, 0 :: v_dual_mov_b32 v179, 0
	s_mov_b32 s10, exec_lo
	v_cmpx_ne_u16_e32 0, v13
	s_cbranch_execz .LBB371_2795
; %bb.2788:                             ;   in Loop: Header=BB371_1567 Depth=1
	v_bfrev_b32_e32 v179, 1
	s_mov_b32 s12, exec_lo
	v_cmpx_ne_u16_e32 0x80, v13
	s_cbranch_execz .LBB371_2794
; %bb.2789:                             ;   in Loop: Header=BB371_1567 Depth=1
	v_and_b32_e32 v181, 0x7f, v12
	v_mov_b32_e32 v179, 0x7fc02000
	s_mov_b32 s13, exec_lo
	s_delay_alu instid0(VALU_DEP_2)
	v_cmpx_ne_u32_e32 0x7f, v181
	s_cbranch_execz .LBB371_2793
; %bb.2790:                             ;   in Loop: Header=BB371_1567 Depth=1
	v_dual_mov_b32 v14, v3 :: v_dual_mov_b32 v13, v2
	v_lshrrev_b32_e32 v14, 3, v181
	s_mov_b32 s15, exec_lo
	v_cmpx_gt_u32_e32 8, v181
; %bb.2791:                             ;   in Loop: Header=BB371_1567 Depth=1
	v_and_b32_e32 v13, 7, v12
	s_delay_alu instid0(VALU_DEP_1) | instskip(NEXT) | instid1(VALU_DEP_1)
	v_clz_i32_u32_e32 v13, v13
	v_min_u32_e32 v179, 32, v13
	s_delay_alu instid0(VALU_DEP_1) | instskip(NEXT) | instid1(VALU_DEP_1)
	v_subrev_nc_u32_e32 v13, 28, v179
	v_lshlrev_b64 v[13:14], v13, v[2:3]
	v_sub_nc_u32_e32 v14, 29, v179
; %bb.2792:                             ;   in Loop: Header=BB371_1567 Depth=1
	s_or_b32 exec_lo, exec_lo, s15
	v_lshlrev_b32_e32 v179, 8, v12
	s_delay_alu instid0(VALU_DEP_2) | instskip(NEXT) | instid1(VALU_DEP_4)
	v_lshl_add_u32 v14, v14, 10, 0x2000
	v_lshlrev_b32_e32 v13, 7, v13
	s_delay_alu instid0(VALU_DEP_2) | instskip(NEXT) | instid1(VALU_DEP_1)
	v_and_or_b32 v14, 0x8000, v179, v14
	v_and_or_b32 v13, 0x380, v13, v14
	s_delay_alu instid0(VALU_DEP_1)
	v_cvt_f32_f16_e64 v179, v13
.LBB371_2793:                           ;   in Loop: Header=BB371_1567 Depth=1
	s_or_b32 exec_lo, exec_lo, s13
.LBB371_2794:                           ;   in Loop: Header=BB371_1567 Depth=1
	s_delay_alu instid0(SALU_CYCLE_1)
	s_or_b32 exec_lo, exec_lo, s12
.LBB371_2795:                           ;   in Loop: Header=BB371_1567 Depth=1
	s_delay_alu instid0(SALU_CYCLE_1) | instskip(SKIP_2) | instid1(VALU_DEP_1)
	s_or_b32 exec_lo, exec_lo, s10
	v_lshrrev_b16 v2, 8, v2
	s_mov_b32 s10, exec_lo
	v_cmpx_ne_u16_e32 0, v2
	s_cbranch_execz .LBB371_2803
; %bb.2796:                             ;   in Loop: Header=BB371_1567 Depth=1
	v_bfrev_b32_e32 v180, 1
	s_mov_b32 s12, exec_lo
	v_cmpx_ne_u16_e32 0x80, v2
	s_cbranch_execz .LBB371_2802
; %bb.2797:                             ;   in Loop: Header=BB371_1567 Depth=1
	v_and_b32_e32 v181, 0xffff, v2
	v_mov_b32_e32 v180, 0x7fc02000
	s_mov_b32 s13, exec_lo
	s_delay_alu instid0(VALU_DEP_2) | instskip(NEXT) | instid1(VALU_DEP_1)
	v_and_b32_e32 v182, 0x7f, v181
	v_cmpx_ne_u32_e32 0x7f, v182
	s_cbranch_execz .LBB371_2801
; %bb.2798:                             ;   in Loop: Header=BB371_1567 Depth=1
	v_and_b32_e32 v2, 7, v181
	v_lshrrev_b32_e32 v180, 3, v182
	v_mov_b32_e32 v14, v3
	s_mov_b32 s15, exec_lo
	s_delay_alu instid0(VALU_DEP_3)
	v_mov_b32_e32 v13, v2
	v_cmpx_gt_u32_e32 8, v182
; %bb.2799:                             ;   in Loop: Header=BB371_1567 Depth=1
	v_clz_i32_u32_e32 v13, v2
	s_delay_alu instid0(VALU_DEP_1) | instskip(NEXT) | instid1(VALU_DEP_1)
	v_min_u32_e32 v180, 32, v13
	v_subrev_nc_u32_e32 v13, 28, v180
	v_sub_nc_u32_e32 v180, 29, v180
	s_delay_alu instid0(VALU_DEP_2) | instskip(NEXT) | instid1(VALU_DEP_1)
	v_lshlrev_b64 v[13:14], v13, v[2:3]
	v_and_b32_e32 v13, 7, v13
; %bb.2800:                             ;   in Loop: Header=BB371_1567 Depth=1
	s_or_b32 exec_lo, exec_lo, s15
	v_lshlrev_b32_e32 v2, 8, v181
	v_lshl_add_u32 v14, v180, 10, 0x2000
	s_delay_alu instid0(VALU_DEP_1) | instskip(NEXT) | instid1(VALU_DEP_1)
	v_and_or_b32 v2, 0x8000, v2, v14
	v_lshl_or_b32 v2, v13, 7, v2
	s_delay_alu instid0(VALU_DEP_1)
	v_cvt_f32_f16_e64 v180, v2
.LBB371_2801:                           ;   in Loop: Header=BB371_1567 Depth=1
	s_or_b32 exec_lo, exec_lo, s13
.LBB371_2802:                           ;   in Loop: Header=BB371_1567 Depth=1
	s_delay_alu instid0(SALU_CYCLE_1)
	s_or_b32 exec_lo, exec_lo, s12
.LBB371_2803:                           ;   in Loop: Header=BB371_1567 Depth=1
	s_delay_alu instid0(SALU_CYCLE_1) | instskip(SKIP_3) | instid1(VALU_DEP_2)
	s_or_b32 exec_lo, exec_lo, s10
	v_lshrrev_b32_e32 v182, 16, v12
	v_mov_b32_e32 v13, 0
	s_mov_b32 s10, exec_lo
	v_dual_mov_b32 v181, 0 :: v_dual_and_b32 v2, 0xff, v182
	s_delay_alu instid0(VALU_DEP_1)
	v_cmpx_ne_u16_e32 0, v2
	s_cbranch_execz .LBB371_2811
; %bb.2804:                             ;   in Loop: Header=BB371_1567 Depth=1
	v_bfrev_b32_e32 v13, 1
	s_mov_b32 s12, exec_lo
	v_cmpx_ne_u16_e32 0x80, v2
	s_cbranch_execz .LBB371_2810
; %bb.2805:                             ;   in Loop: Header=BB371_1567 Depth=1
	v_bfe_u32 v40, v12, 16, 7
	v_mov_b32_e32 v13, 0x7fc02000
	s_mov_b32 s13, exec_lo
	s_delay_alu instid0(VALU_DEP_2)
	v_cmpx_ne_u32_e32 0x7f, v40
	s_cbranch_execz .LBB371_2809
; %bb.2806:                             ;   in Loop: Header=BB371_1567 Depth=1
	v_and_b32_e32 v2, 7, v182
	v_lshrrev_b32_e32 v183, 3, v40
	v_mov_b32_e32 v14, v3
	s_mov_b32 s15, exec_lo
	s_delay_alu instid0(VALU_DEP_3)
	v_mov_b32_e32 v13, v2
	v_cmpx_gt_u32_e32 8, v40
; %bb.2807:                             ;   in Loop: Header=BB371_1567 Depth=1
	v_clz_i32_u32_e32 v13, v2
	s_delay_alu instid0(VALU_DEP_1) | instskip(NEXT) | instid1(VALU_DEP_1)
	v_min_u32_e32 v183, 32, v13
	v_subrev_nc_u32_e32 v13, 28, v183
	v_sub_nc_u32_e32 v183, 29, v183
	s_delay_alu instid0(VALU_DEP_2) | instskip(NEXT) | instid1(VALU_DEP_1)
	v_lshlrev_b64 v[13:14], v13, v[2:3]
	v_and_b32_e32 v13, 7, v13
; %bb.2808:                             ;   in Loop: Header=BB371_1567 Depth=1
	s_or_b32 exec_lo, exec_lo, s15
	v_lshlrev_b32_e32 v2, 8, v182
	v_lshl_add_u32 v14, v183, 10, 0x2000
	s_delay_alu instid0(VALU_DEP_1) | instskip(NEXT) | instid1(VALU_DEP_1)
	v_and_or_b32 v2, 0x8000, v2, v14
	v_lshl_or_b32 v2, v13, 7, v2
	s_delay_alu instid0(VALU_DEP_1)
	v_cvt_f32_f16_e32 v13, v2
.LBB371_2809:                           ;   in Loop: Header=BB371_1567 Depth=1
	s_or_b32 exec_lo, exec_lo, s13
.LBB371_2810:                           ;   in Loop: Header=BB371_1567 Depth=1
	s_delay_alu instid0(SALU_CYCLE_1)
	s_or_b32 exec_lo, exec_lo, s12
.LBB371_2811:                           ;   in Loop: Header=BB371_1567 Depth=1
	s_delay_alu instid0(SALU_CYCLE_1) | instskip(NEXT) | instid1(SALU_CYCLE_1)
	s_or_b32 exec_lo, exec_lo, s10
	s_mov_b32 s10, exec_lo
	v_cmpx_lt_u64_e64 s[8:9], v[11:12]
	s_cbranch_execz .LBB371_2819
; %bb.2812:                             ;   in Loop: Header=BB371_1567 Depth=1
	v_lshrrev_b32_e32 v14, 24, v12
	v_bfrev_b32_e32 v181, 1
	s_mov_b32 s12, exec_lo
	s_delay_alu instid0(VALU_DEP_2)
	v_cmpx_ne_u32_e32 0x80, v14
	s_cbranch_execz .LBB371_2818
; %bb.2813:                             ;   in Loop: Header=BB371_1567 Depth=1
	v_and_b32_e32 v182, 0x7f, v14
	v_mov_b32_e32 v181, 0x7fc02000
	s_mov_b32 s13, exec_lo
	s_delay_alu instid0(VALU_DEP_2)
	v_cmpx_ne_u32_e32 0x7f, v182
	s_cbranch_execz .LBB371_2817
; %bb.2814:                             ;   in Loop: Header=BB371_1567 Depth=1
	v_and_b32_e32 v2, 7, v14
	v_lshrrev_b32_e32 v181, 3, v182
	v_mov_b32_e32 v12, v3
	s_mov_b32 s15, exec_lo
	s_delay_alu instid0(VALU_DEP_3)
	v_mov_b32_e32 v11, v2
	v_cmpx_gt_u32_e32 8, v182
; %bb.2815:                             ;   in Loop: Header=BB371_1567 Depth=1
	v_clz_i32_u32_e32 v11, v2
	s_delay_alu instid0(VALU_DEP_1) | instskip(NEXT) | instid1(VALU_DEP_1)
	v_min_u32_e32 v181, 32, v11
	v_subrev_nc_u32_e32 v11, 28, v181
	v_sub_nc_u32_e32 v181, 29, v181
	s_delay_alu instid0(VALU_DEP_2) | instskip(NEXT) | instid1(VALU_DEP_1)
	v_lshlrev_b64 v[11:12], v11, v[2:3]
	v_and_b32_e32 v11, 7, v11
; %bb.2816:                             ;   in Loop: Header=BB371_1567 Depth=1
	s_or_b32 exec_lo, exec_lo, s15
	v_lshlrev_b32_e32 v2, 8, v14
	v_lshl_add_u32 v12, v181, 10, 0x2000
	s_delay_alu instid0(VALU_DEP_1) | instskip(NEXT) | instid1(VALU_DEP_1)
	v_and_or_b32 v2, 0x8000, v2, v12
	v_lshl_or_b32 v2, v11, 7, v2
	s_delay_alu instid0(VALU_DEP_1)
	v_cvt_f32_f16_e64 v181, v2
.LBB371_2817:                           ;   in Loop: Header=BB371_1567 Depth=1
	s_or_b32 exec_lo, exec_lo, s13
.LBB371_2818:                           ;   in Loop: Header=BB371_1567 Depth=1
	s_delay_alu instid0(SALU_CYCLE_1)
	s_or_b32 exec_lo, exec_lo, s12
.LBB371_2819:                           ;   in Loop: Header=BB371_1567 Depth=1
	s_delay_alu instid0(SALU_CYCLE_1)
	s_or_b32 exec_lo, exec_lo, s10
	s_waitcnt vmcnt(0) lgkmcnt(0)
	v_fma_mixlo_f16 v11, v6, v36, 0
	v_fma_mixlo_f16 v12, v6, v35, 0
	;; [unrolled: 1-line block ×5, first 2 shown]
	v_and_b32_e32 v14, 0xffff, v11
	v_lshlrev_b32_e32 v35, 16, v12
	v_fma_mixlo_f16 v12, v6, v34, 0
	v_fma_mixlo_f16 v34, v6, v180, 0
	;; [unrolled: 1-line block ×3, first 2 shown]
	v_lshlrev_b32_e32 v2, 16, v2
	v_and_b32_e32 v36, 0xffff, v36
	v_and_b32_e32 v6, 0xffff, v12
	v_lshlrev_b32_e32 v34, 16, v34
	v_lshlrev_b32_e32 v178, 16, v178
	v_and_b32_e32 v179, 0xffff, v11
	v_or_b32_e32 v12, v2, v14
	v_or_b32_e32 v13, v35, v6
	;; [unrolled: 1-line block ×3, first 2 shown]
	s_delay_alu instid0(VALU_DEP_4)
	v_or_b32_e32 v6, v178, v179
	s_and_saveexec_b32 s10, vcc_lo
	s_cbranch_execz .LBB371_2821
; %bb.2820:                             ;   in Loop: Header=BB371_1567 Depth=1
	v_cmp_lt_i32_e64 s0, v17, v37
	v_lshrrev_b32_e32 v14, 16, v13
	v_lshrrev_b32_e32 v34, 16, v12
	;; [unrolled: 1-line block ×4, first 2 shown]
	v_cndmask_b32_e64 v13, 0, v13, s0
	v_cmp_lt_i32_e64 s0, v117, v87
	s_delay_alu instid0(VALU_DEP_1) | instskip(SKIP_1) | instid1(VALU_DEP_2)
	v_cndmask_b32_e64 v14, 0, v14, s0
	v_cmp_lt_i32_e64 s0, v116, v87
	v_perm_b32 v13, v14, v13, 0x5040100
	s_delay_alu instid0(VALU_DEP_2) | instskip(SKIP_1) | instid1(VALU_DEP_1)
	v_cndmask_b32_e64 v34, 0, v34, s0
	v_cmp_lt_i32_e64 s0, v115, v37
	v_cndmask_b32_e64 v12, 0, v12, s0
	v_cmp_lt_i32_e64 s0, v114, v87
	s_delay_alu instid0(VALU_DEP_2) | instskip(NEXT) | instid1(VALU_DEP_2)
	v_perm_b32 v12, v34, v12, 0x5040100
	v_cndmask_b32_e64 v35, 0, v35, s0
	v_cmp_lt_i32_e64 s0, v113, v37
	s_delay_alu instid0(VALU_DEP_1) | instskip(SKIP_1) | instid1(VALU_DEP_2)
	v_cndmask_b32_e64 v2, 0, v2, s0
	v_cmp_lt_i32_e64 s0, v112, v87
	v_perm_b32 v2, v35, v2, 0x5040100
	s_delay_alu instid0(VALU_DEP_2) | instskip(SKIP_1) | instid1(VALU_DEP_1)
	v_cndmask_b32_e64 v6, 0, v6, s0
	v_cmp_lt_i32_e64 s0, v103, v37
	v_cndmask_b32_e64 v11, 0, v11, s0
	s_delay_alu instid0(VALU_DEP_1)
	v_perm_b32 v6, v6, v11, 0x5040100
.LBB371_2821:                           ;   in Loop: Header=BB371_1567 Depth=1
	s_or_b32 exec_lo, exec_lo, s10
	;;#ASMSTART
	v_pk_mul_f16 v11, v102, v13;

	;;#ASMEND
	;;#ASMSTART
	v_pk_mul_f16 v12, v100, v12;

	;;#ASMEND
	;; [unrolled: 4-line block ×4, first 2 shown]
	;;#ASMSTART
	v_pk_add_f16 v11, v11, v12;

	;;#ASMEND
	;;#ASMSTART
	v_pk_add_f16 v2, v11, v2;

	;;#ASMEND
	v_add_co_u32 v11, s0, v9, v82
	s_delay_alu instid0(VALU_DEP_1)
	v_add_co_ci_u32_e64 v12, s0, 0, v10, s0
	;;#ASMSTART
	v_pk_add_f16 v2, v2, v6;

	;;#ASMEND
	v_lshrrev_b32_e32 v13, 16, v2
	v_and_b32_e32 v2, 0xffff, v2
	;;#ASMSTART
	v_cvt_f32_f16 v6, v2;
	;;#ASMEND
	;;#ASMSTART
	v_cvt_f32_f16 v34, v13;
	;;#ASMEND
	flat_load_b64 v[11:12], v[11:12]
	flat_load_b32 v35, v[26:27]
	v_mov_b32_e32 v178, 0
	v_mov_b32_e32 v36, 0
	s_mov_b32 s10, exec_lo
	s_waitcnt vmcnt(1) lgkmcnt(1)
	v_and_b32_e32 v2, 0xff, v11
	s_delay_alu instid0(VALU_DEP_1)
	v_cmpx_ne_u16_e32 0, v2
	s_cbranch_execz .LBB371_2829
; %bb.2822:                             ;   in Loop: Header=BB371_1567 Depth=1
	v_bfrev_b32_e32 v36, 1
	s_mov_b32 s12, exec_lo
	v_cmpx_ne_u16_e32 0x80, v2
	s_cbranch_execz .LBB371_2828
; %bb.2823:                             ;   in Loop: Header=BB371_1567 Depth=1
	v_and_b32_e32 v13, 0x7f, v11
	v_mov_b32_e32 v36, 0x7fc02000
	s_mov_b32 s13, exec_lo
	s_delay_alu instid0(VALU_DEP_2)
	v_cmpx_ne_u32_e32 0x7f, v13
	s_cbranch_execz .LBB371_2827
; %bb.2824:                             ;   in Loop: Header=BB371_1567 Depth=1
	v_lshrrev_b32_e32 v2, 3, v13
	v_cmp_gt_u32_e64 s0, 8, v13
	v_dual_mov_b32 v14, v12 :: v_dual_mov_b32 v13, v11
	s_delay_alu instid0(VALU_DEP_2)
	s_and_saveexec_b32 s15, s0
; %bb.2825:                             ;   in Loop: Header=BB371_1567 Depth=1
	v_and_b32_e32 v2, 7, v11
	s_delay_alu instid0(VALU_DEP_1) | instskip(NEXT) | instid1(VALU_DEP_1)
	v_clz_i32_u32_e32 v2, v2
	v_min_u32_e32 v2, 32, v2
	s_delay_alu instid0(VALU_DEP_1) | instskip(SKIP_1) | instid1(VALU_DEP_2)
	v_subrev_nc_u32_e32 v13, 28, v2
	v_sub_nc_u32_e32 v2, 29, v2
	v_lshlrev_b64 v[13:14], v13, v[11:12]
; %bb.2826:                             ;   in Loop: Header=BB371_1567 Depth=1
	s_or_b32 exec_lo, exec_lo, s15
	v_lshlrev_b32_e32 v14, 8, v11
	s_delay_alu instid0(VALU_DEP_3) | instskip(NEXT) | instid1(VALU_DEP_3)
	v_lshl_add_u32 v2, v2, 10, 0x2000
	v_lshlrev_b32_e32 v13, 7, v13
	s_delay_alu instid0(VALU_DEP_2) | instskip(NEXT) | instid1(VALU_DEP_1)
	v_and_or_b32 v2, 0x8000, v14, v2
	v_and_or_b32 v2, 0x380, v13, v2
	s_delay_alu instid0(VALU_DEP_1)
	v_cvt_f32_f16_e32 v36, v2
.LBB371_2827:                           ;   in Loop: Header=BB371_1567 Depth=1
	s_or_b32 exec_lo, exec_lo, s13
.LBB371_2828:                           ;   in Loop: Header=BB371_1567 Depth=1
	s_delay_alu instid0(SALU_CYCLE_1)
	s_or_b32 exec_lo, exec_lo, s12
.LBB371_2829:                           ;   in Loop: Header=BB371_1567 Depth=1
	s_delay_alu instid0(SALU_CYCLE_1) | instskip(SKIP_2) | instid1(VALU_DEP_1)
	s_or_b32 exec_lo, exec_lo, s10
	v_lshrrev_b16 v2, 8, v11
	s_mov_b32 s10, exec_lo
	v_cmpx_ne_u16_e32 0, v2
	s_cbranch_execz .LBB371_2837
; %bb.2830:                             ;   in Loop: Header=BB371_1567 Depth=1
	v_bfrev_b32_e32 v178, 1
	s_mov_b32 s12, exec_lo
	v_cmpx_ne_u16_e32 0x80, v2
	s_cbranch_execz .LBB371_2836
; %bb.2831:                             ;   in Loop: Header=BB371_1567 Depth=1
	v_and_b32_e32 v179, 0xffff, v2
	v_mov_b32_e32 v178, 0x7fc02000
	s_mov_b32 s13, exec_lo
	s_delay_alu instid0(VALU_DEP_2) | instskip(NEXT) | instid1(VALU_DEP_1)
	v_and_b32_e32 v180, 0x7f, v179
	v_cmpx_ne_u32_e32 0x7f, v180
	s_cbranch_execz .LBB371_2835
; %bb.2832:                             ;   in Loop: Header=BB371_1567 Depth=1
	v_and_b32_e32 v2, 7, v179
	v_lshrrev_b32_e32 v178, 3, v180
	v_mov_b32_e32 v14, v3
	s_mov_b32 s15, exec_lo
	s_delay_alu instid0(VALU_DEP_3)
	v_mov_b32_e32 v13, v2
	v_cmpx_gt_u32_e32 8, v180
; %bb.2833:                             ;   in Loop: Header=BB371_1567 Depth=1
	v_clz_i32_u32_e32 v13, v2
	s_delay_alu instid0(VALU_DEP_1) | instskip(NEXT) | instid1(VALU_DEP_1)
	v_min_u32_e32 v178, 32, v13
	v_subrev_nc_u32_e32 v13, 28, v178
	v_sub_nc_u32_e32 v178, 29, v178
	s_delay_alu instid0(VALU_DEP_2) | instskip(NEXT) | instid1(VALU_DEP_1)
	v_lshlrev_b64 v[13:14], v13, v[2:3]
	v_and_b32_e32 v13, 7, v13
; %bb.2834:                             ;   in Loop: Header=BB371_1567 Depth=1
	s_or_b32 exec_lo, exec_lo, s15
	v_lshlrev_b32_e32 v2, 8, v179
	v_lshl_add_u32 v14, v178, 10, 0x2000
	s_delay_alu instid0(VALU_DEP_1) | instskip(NEXT) | instid1(VALU_DEP_1)
	v_and_or_b32 v2, 0x8000, v2, v14
	v_lshl_or_b32 v2, v13, 7, v2
	s_delay_alu instid0(VALU_DEP_1)
	v_cvt_f32_f16_e64 v178, v2
.LBB371_2835:                           ;   in Loop: Header=BB371_1567 Depth=1
	s_or_b32 exec_lo, exec_lo, s13
.LBB371_2836:                           ;   in Loop: Header=BB371_1567 Depth=1
	s_delay_alu instid0(SALU_CYCLE_1)
	s_or_b32 exec_lo, exec_lo, s12
.LBB371_2837:                           ;   in Loop: Header=BB371_1567 Depth=1
	s_delay_alu instid0(SALU_CYCLE_1) | instskip(SKIP_3) | instid1(VALU_DEP_2)
	s_or_b32 exec_lo, exec_lo, s10
	v_lshrrev_b32_e32 v181, 16, v11
	v_mov_b32_e32 v180, 0
	s_mov_b32 s10, exec_lo
	v_dual_mov_b32 v179, 0 :: v_dual_and_b32 v2, 0xff, v181
	s_delay_alu instid0(VALU_DEP_1)
	v_cmpx_ne_u16_e32 0, v2
	s_cbranch_execz .LBB371_2845
; %bb.2838:                             ;   in Loop: Header=BB371_1567 Depth=1
	v_bfrev_b32_e32 v179, 1
	s_mov_b32 s12, exec_lo
	v_cmpx_ne_u16_e32 0x80, v2
	s_cbranch_execz .LBB371_2844
; %bb.2839:                             ;   in Loop: Header=BB371_1567 Depth=1
	v_bfe_u32 v182, v11, 16, 7
	v_mov_b32_e32 v179, 0x7fc02000
	s_mov_b32 s13, exec_lo
	s_delay_alu instid0(VALU_DEP_2)
	v_cmpx_ne_u32_e32 0x7f, v182
	s_cbranch_execz .LBB371_2843
; %bb.2840:                             ;   in Loop: Header=BB371_1567 Depth=1
	v_and_b32_e32 v2, 7, v181
	v_lshrrev_b32_e32 v179, 3, v182
	v_mov_b32_e32 v14, v3
	s_mov_b32 s15, exec_lo
	s_delay_alu instid0(VALU_DEP_3)
	v_mov_b32_e32 v13, v2
	v_cmpx_gt_u32_e32 8, v182
; %bb.2841:                             ;   in Loop: Header=BB371_1567 Depth=1
	v_clz_i32_u32_e32 v13, v2
	s_delay_alu instid0(VALU_DEP_1) | instskip(NEXT) | instid1(VALU_DEP_1)
	v_min_u32_e32 v179, 32, v13
	v_subrev_nc_u32_e32 v13, 28, v179
	v_sub_nc_u32_e32 v179, 29, v179
	s_delay_alu instid0(VALU_DEP_2) | instskip(NEXT) | instid1(VALU_DEP_1)
	v_lshlrev_b64 v[13:14], v13, v[2:3]
	v_and_b32_e32 v13, 7, v13
; %bb.2842:                             ;   in Loop: Header=BB371_1567 Depth=1
	s_or_b32 exec_lo, exec_lo, s15
	v_lshlrev_b32_e32 v2, 8, v181
	v_lshl_add_u32 v14, v179, 10, 0x2000
	s_delay_alu instid0(VALU_DEP_1) | instskip(NEXT) | instid1(VALU_DEP_1)
	v_and_or_b32 v2, 0x8000, v2, v14
	v_lshl_or_b32 v2, v13, 7, v2
	s_delay_alu instid0(VALU_DEP_1)
	v_cvt_f32_f16_e64 v179, v2
.LBB371_2843:                           ;   in Loop: Header=BB371_1567 Depth=1
	s_or_b32 exec_lo, exec_lo, s13
.LBB371_2844:                           ;   in Loop: Header=BB371_1567 Depth=1
	s_delay_alu instid0(SALU_CYCLE_1)
	s_or_b32 exec_lo, exec_lo, s12
.LBB371_2845:                           ;   in Loop: Header=BB371_1567 Depth=1
	s_delay_alu instid0(SALU_CYCLE_1) | instskip(NEXT) | instid1(SALU_CYCLE_1)
	s_or_b32 exec_lo, exec_lo, s10
	s_mov_b32 s10, exec_lo
	v_cmpx_lt_u32_e32 0xffffff, v11
	s_cbranch_execz .LBB371_2853
; %bb.2846:                             ;   in Loop: Header=BB371_1567 Depth=1
	v_lshrrev_b32_e32 v181, 24, v11
	v_bfrev_b32_e32 v180, 1
	s_mov_b32 s12, exec_lo
	s_delay_alu instid0(VALU_DEP_2)
	v_cmpx_ne_u32_e32 0x80, v181
	s_cbranch_execz .LBB371_2852
; %bb.2847:                             ;   in Loop: Header=BB371_1567 Depth=1
	v_and_b32_e32 v182, 0x7f, v181
	v_mov_b32_e32 v180, 0x7fc02000
	s_mov_b32 s13, exec_lo
	s_delay_alu instid0(VALU_DEP_2)
	v_cmpx_ne_u32_e32 0x7f, v182
	s_cbranch_execz .LBB371_2851
; %bb.2848:                             ;   in Loop: Header=BB371_1567 Depth=1
	v_and_b32_e32 v2, 7, v181
	v_lshrrev_b32_e32 v180, 3, v182
	v_mov_b32_e32 v14, v3
	s_mov_b32 s15, exec_lo
	s_delay_alu instid0(VALU_DEP_3)
	v_mov_b32_e32 v13, v2
	v_cmpx_gt_u32_e32 8, v182
; %bb.2849:                             ;   in Loop: Header=BB371_1567 Depth=1
	v_clz_i32_u32_e32 v13, v2
	s_delay_alu instid0(VALU_DEP_1) | instskip(NEXT) | instid1(VALU_DEP_1)
	v_min_u32_e32 v180, 32, v13
	v_subrev_nc_u32_e32 v13, 28, v180
	v_sub_nc_u32_e32 v180, 29, v180
	s_delay_alu instid0(VALU_DEP_2) | instskip(NEXT) | instid1(VALU_DEP_1)
	v_lshlrev_b64 v[13:14], v13, v[2:3]
	v_and_b32_e32 v13, 7, v13
; %bb.2850:                             ;   in Loop: Header=BB371_1567 Depth=1
	s_or_b32 exec_lo, exec_lo, s15
	v_lshlrev_b32_e32 v2, 8, v181
	v_lshl_add_u32 v14, v180, 10, 0x2000
	s_delay_alu instid0(VALU_DEP_1) | instskip(NEXT) | instid1(VALU_DEP_1)
	v_and_or_b32 v2, 0x8000, v2, v14
	v_lshl_or_b32 v2, v13, 7, v2
	s_delay_alu instid0(VALU_DEP_1)
	v_cvt_f32_f16_e64 v180, v2
.LBB371_2851:                           ;   in Loop: Header=BB371_1567 Depth=1
	s_or_b32 exec_lo, exec_lo, s13
.LBB371_2852:                           ;   in Loop: Header=BB371_1567 Depth=1
	s_delay_alu instid0(SALU_CYCLE_1)
	s_or_b32 exec_lo, exec_lo, s12
.LBB371_2853:                           ;   in Loop: Header=BB371_1567 Depth=1
	s_delay_alu instid0(SALU_CYCLE_1) | instskip(SKIP_3) | instid1(VALU_DEP_2)
	s_or_b32 exec_lo, exec_lo, s10
	v_dual_mov_b32 v2, v12 :: v_dual_and_b32 v13, 0xff, v12
	v_dual_mov_b32 v182, 0 :: v_dual_mov_b32 v181, 0
	s_mov_b32 s10, exec_lo
	v_cmpx_ne_u16_e32 0, v13
	s_cbranch_execz .LBB371_2861
; %bb.2854:                             ;   in Loop: Header=BB371_1567 Depth=1
	v_bfrev_b32_e32 v181, 1
	s_mov_b32 s12, exec_lo
	v_cmpx_ne_u16_e32 0x80, v13
	s_cbranch_execz .LBB371_2860
; %bb.2855:                             ;   in Loop: Header=BB371_1567 Depth=1
	v_and_b32_e32 v183, 0x7f, v12
	v_mov_b32_e32 v181, 0x7fc02000
	s_mov_b32 s13, exec_lo
	s_delay_alu instid0(VALU_DEP_2)
	v_cmpx_ne_u32_e32 0x7f, v183
	s_cbranch_execz .LBB371_2859
; %bb.2856:                             ;   in Loop: Header=BB371_1567 Depth=1
	v_dual_mov_b32 v14, v3 :: v_dual_mov_b32 v13, v2
	v_lshrrev_b32_e32 v14, 3, v183
	s_mov_b32 s15, exec_lo
	v_cmpx_gt_u32_e32 8, v183
; %bb.2857:                             ;   in Loop: Header=BB371_1567 Depth=1
	v_and_b32_e32 v13, 7, v12
	s_delay_alu instid0(VALU_DEP_1) | instskip(NEXT) | instid1(VALU_DEP_1)
	v_clz_i32_u32_e32 v13, v13
	v_min_u32_e32 v181, 32, v13
	s_delay_alu instid0(VALU_DEP_1) | instskip(NEXT) | instid1(VALU_DEP_1)
	v_subrev_nc_u32_e32 v13, 28, v181
	v_lshlrev_b64 v[13:14], v13, v[2:3]
	v_sub_nc_u32_e32 v14, 29, v181
; %bb.2858:                             ;   in Loop: Header=BB371_1567 Depth=1
	s_or_b32 exec_lo, exec_lo, s15
	v_lshlrev_b32_e32 v181, 8, v12
	s_delay_alu instid0(VALU_DEP_2) | instskip(NEXT) | instid1(VALU_DEP_4)
	v_lshl_add_u32 v14, v14, 10, 0x2000
	v_lshlrev_b32_e32 v13, 7, v13
	s_delay_alu instid0(VALU_DEP_2) | instskip(NEXT) | instid1(VALU_DEP_1)
	v_and_or_b32 v14, 0x8000, v181, v14
	v_and_or_b32 v13, 0x380, v13, v14
	s_delay_alu instid0(VALU_DEP_1)
	v_cvt_f32_f16_e64 v181, v13
.LBB371_2859:                           ;   in Loop: Header=BB371_1567 Depth=1
	s_or_b32 exec_lo, exec_lo, s13
.LBB371_2860:                           ;   in Loop: Header=BB371_1567 Depth=1
	s_delay_alu instid0(SALU_CYCLE_1)
	s_or_b32 exec_lo, exec_lo, s12
.LBB371_2861:                           ;   in Loop: Header=BB371_1567 Depth=1
	s_delay_alu instid0(SALU_CYCLE_1) | instskip(SKIP_2) | instid1(VALU_DEP_1)
	s_or_b32 exec_lo, exec_lo, s10
	v_lshrrev_b16 v2, 8, v2
	s_mov_b32 s10, exec_lo
	v_cmpx_ne_u16_e32 0, v2
	s_cbranch_execz .LBB371_2869
; %bb.2862:                             ;   in Loop: Header=BB371_1567 Depth=1
	v_bfrev_b32_e32 v182, 1
	s_mov_b32 s12, exec_lo
	v_cmpx_ne_u16_e32 0x80, v2
	s_cbranch_execz .LBB371_2868
; %bb.2863:                             ;   in Loop: Header=BB371_1567 Depth=1
	v_and_b32_e32 v183, 0xffff, v2
	v_mov_b32_e32 v182, 0x7fc02000
	s_mov_b32 s13, exec_lo
	s_delay_alu instid0(VALU_DEP_2) | instskip(NEXT) | instid1(VALU_DEP_1)
	v_and_b32_e32 v40, 0x7f, v183
	v_cmpx_ne_u32_e32 0x7f, v40
	s_cbranch_execz .LBB371_2867
; %bb.2864:                             ;   in Loop: Header=BB371_1567 Depth=1
	v_and_b32_e32 v2, 7, v183
	v_lshrrev_b32_e32 v182, 3, v40
	v_mov_b32_e32 v14, v3
	s_mov_b32 s15, exec_lo
	s_delay_alu instid0(VALU_DEP_3)
	v_mov_b32_e32 v13, v2
	v_cmpx_gt_u32_e32 8, v40
; %bb.2865:                             ;   in Loop: Header=BB371_1567 Depth=1
	v_clz_i32_u32_e32 v13, v2
	s_delay_alu instid0(VALU_DEP_1) | instskip(NEXT) | instid1(VALU_DEP_1)
	v_min_u32_e32 v182, 32, v13
	v_subrev_nc_u32_e32 v13, 28, v182
	v_sub_nc_u32_e32 v182, 29, v182
	s_delay_alu instid0(VALU_DEP_2) | instskip(NEXT) | instid1(VALU_DEP_1)
	v_lshlrev_b64 v[13:14], v13, v[2:3]
	v_and_b32_e32 v13, 7, v13
; %bb.2866:                             ;   in Loop: Header=BB371_1567 Depth=1
	s_or_b32 exec_lo, exec_lo, s15
	v_lshlrev_b32_e32 v2, 8, v183
	v_lshl_add_u32 v14, v182, 10, 0x2000
	s_delay_alu instid0(VALU_DEP_1) | instskip(NEXT) | instid1(VALU_DEP_1)
	v_and_or_b32 v2, 0x8000, v2, v14
	v_lshl_or_b32 v2, v13, 7, v2
	s_delay_alu instid0(VALU_DEP_1)
	v_cvt_f32_f16_e64 v182, v2
.LBB371_2867:                           ;   in Loop: Header=BB371_1567 Depth=1
	s_or_b32 exec_lo, exec_lo, s13
.LBB371_2868:                           ;   in Loop: Header=BB371_1567 Depth=1
	s_delay_alu instid0(SALU_CYCLE_1)
	s_or_b32 exec_lo, exec_lo, s12
.LBB371_2869:                           ;   in Loop: Header=BB371_1567 Depth=1
	s_delay_alu instid0(SALU_CYCLE_1) | instskip(SKIP_3) | instid1(VALU_DEP_2)
	s_or_b32 exec_lo, exec_lo, s10
	v_lshrrev_b32_e32 v40, 16, v12
	v_mov_b32_e32 v13, 0
	s_mov_b32 s10, exec_lo
	v_dual_mov_b32 v183, 0 :: v_dual_and_b32 v2, 0xff, v40
	s_delay_alu instid0(VALU_DEP_1)
	v_cmpx_ne_u16_e32 0, v2
	s_cbranch_execz .LBB371_2877
; %bb.2870:                             ;   in Loop: Header=BB371_1567 Depth=1
	v_bfrev_b32_e32 v13, 1
	s_mov_b32 s12, exec_lo
	v_cmpx_ne_u16_e32 0x80, v2
	s_cbranch_execz .LBB371_2876
; %bb.2871:                             ;   in Loop: Header=BB371_1567 Depth=1
	v_bfe_u32 v42, v12, 16, 7
	v_mov_b32_e32 v13, 0x7fc02000
	s_mov_b32 s13, exec_lo
	s_delay_alu instid0(VALU_DEP_2)
	v_cmpx_ne_u32_e32 0x7f, v42
	s_cbranch_execz .LBB371_2875
; %bb.2872:                             ;   in Loop: Header=BB371_1567 Depth=1
	v_and_b32_e32 v2, 7, v40
	v_lshrrev_b32_e32 v41, 3, v42
	v_mov_b32_e32 v14, v3
	s_mov_b32 s15, exec_lo
	s_delay_alu instid0(VALU_DEP_3)
	v_mov_b32_e32 v13, v2
	v_cmpx_gt_u32_e32 8, v42
; %bb.2873:                             ;   in Loop: Header=BB371_1567 Depth=1
	v_clz_i32_u32_e32 v13, v2
	s_delay_alu instid0(VALU_DEP_1) | instskip(NEXT) | instid1(VALU_DEP_1)
	v_min_u32_e32 v41, 32, v13
	v_subrev_nc_u32_e32 v13, 28, v41
	v_sub_nc_u32_e32 v41, 29, v41
	s_delay_alu instid0(VALU_DEP_2) | instskip(NEXT) | instid1(VALU_DEP_1)
	v_lshlrev_b64 v[13:14], v13, v[2:3]
	v_and_b32_e32 v13, 7, v13
; %bb.2874:                             ;   in Loop: Header=BB371_1567 Depth=1
	s_or_b32 exec_lo, exec_lo, s15
	v_lshlrev_b32_e32 v2, 8, v40
	v_lshl_add_u32 v14, v41, 10, 0x2000
	s_delay_alu instid0(VALU_DEP_1) | instskip(NEXT) | instid1(VALU_DEP_1)
	v_and_or_b32 v2, 0x8000, v2, v14
	v_lshl_or_b32 v2, v13, 7, v2
	s_delay_alu instid0(VALU_DEP_1)
	v_cvt_f32_f16_e32 v13, v2
.LBB371_2875:                           ;   in Loop: Header=BB371_1567 Depth=1
	s_or_b32 exec_lo, exec_lo, s13
.LBB371_2876:                           ;   in Loop: Header=BB371_1567 Depth=1
	s_delay_alu instid0(SALU_CYCLE_1)
	s_or_b32 exec_lo, exec_lo, s12
.LBB371_2877:                           ;   in Loop: Header=BB371_1567 Depth=1
	s_delay_alu instid0(SALU_CYCLE_1) | instskip(NEXT) | instid1(SALU_CYCLE_1)
	s_or_b32 exec_lo, exec_lo, s10
	s_mov_b32 s10, exec_lo
	v_cmpx_lt_u64_e64 s[8:9], v[11:12]
	s_cbranch_execz .LBB371_2885
; %bb.2878:                             ;   in Loop: Header=BB371_1567 Depth=1
	v_lshrrev_b32_e32 v14, 24, v12
	v_bfrev_b32_e32 v183, 1
	s_mov_b32 s12, exec_lo
	s_delay_alu instid0(VALU_DEP_2)
	v_cmpx_ne_u32_e32 0x80, v14
	s_cbranch_execz .LBB371_2884
; %bb.2879:                             ;   in Loop: Header=BB371_1567 Depth=1
	v_and_b32_e32 v40, 0x7f, v14
	v_mov_b32_e32 v183, 0x7fc02000
	s_mov_b32 s13, exec_lo
	s_delay_alu instid0(VALU_DEP_2)
	v_cmpx_ne_u32_e32 0x7f, v40
	s_cbranch_execz .LBB371_2883
; %bb.2880:                             ;   in Loop: Header=BB371_1567 Depth=1
	v_and_b32_e32 v2, 7, v14
	v_lshrrev_b32_e32 v183, 3, v40
	v_mov_b32_e32 v12, v3
	s_mov_b32 s15, exec_lo
	s_delay_alu instid0(VALU_DEP_3)
	v_mov_b32_e32 v11, v2
	v_cmpx_gt_u32_e32 8, v40
; %bb.2881:                             ;   in Loop: Header=BB371_1567 Depth=1
	v_clz_i32_u32_e32 v11, v2
	s_delay_alu instid0(VALU_DEP_1) | instskip(NEXT) | instid1(VALU_DEP_1)
	v_min_u32_e32 v183, 32, v11
	v_subrev_nc_u32_e32 v11, 28, v183
	v_sub_nc_u32_e32 v183, 29, v183
	s_delay_alu instid0(VALU_DEP_2) | instskip(NEXT) | instid1(VALU_DEP_1)
	v_lshlrev_b64 v[11:12], v11, v[2:3]
	v_and_b32_e32 v11, 7, v11
; %bb.2882:                             ;   in Loop: Header=BB371_1567 Depth=1
	s_or_b32 exec_lo, exec_lo, s15
	v_lshlrev_b32_e32 v2, 8, v14
	v_lshl_add_u32 v12, v183, 10, 0x2000
	s_delay_alu instid0(VALU_DEP_1) | instskip(NEXT) | instid1(VALU_DEP_1)
	v_and_or_b32 v2, 0x8000, v2, v12
	v_lshl_or_b32 v2, v11, 7, v2
	s_delay_alu instid0(VALU_DEP_1)
	v_cvt_f32_f16_e64 v183, v2
.LBB371_2883:                           ;   in Loop: Header=BB371_1567 Depth=1
	s_or_b32 exec_lo, exec_lo, s13
.LBB371_2884:                           ;   in Loop: Header=BB371_1567 Depth=1
	s_delay_alu instid0(SALU_CYCLE_1)
	s_or_b32 exec_lo, exec_lo, s12
.LBB371_2885:                           ;   in Loop: Header=BB371_1567 Depth=1
	s_delay_alu instid0(SALU_CYCLE_1)
	s_or_b32 exec_lo, exec_lo, s10
	s_waitcnt vmcnt(0) lgkmcnt(0)
	v_fma_mixlo_f16 v12, v35, v178, 0
	v_fma_mixlo_f16 v2, v35, v180, 0
	;; [unrolled: 1-line block ×5, first 2 shown]
	v_lshlrev_b32_e32 v14, 16, v12
	v_fma_mixlo_f16 v179, v35, v181, 0
	v_fma_mixlo_f16 v180, v35, v183, 0
	;; [unrolled: 1-line block ×3, first 2 shown]
	v_lshlrev_b32_e32 v2, 16, v2
	v_and_b32_e32 v11, 0xffff, v11
	v_and_b32_e32 v35, 0xffff, v36
	v_lshlrev_b32_e32 v36, 16, v178
	v_and_b32_e32 v178, 0xffff, v179
	v_lshlrev_b32_e32 v179, 16, v180
	v_and_b32_e32 v180, 0xffff, v12
	v_or_b32_e32 v13, v2, v11
	v_or_b32_e32 v14, v14, v35
	;; [unrolled: 1-line block ×3, first 2 shown]
	s_delay_alu instid0(VALU_DEP_4)
	v_or_b32_e32 v11, v179, v180
	s_and_saveexec_b32 s10, vcc_lo
	s_cbranch_execz .LBB371_2887
; %bb.2886:                             ;   in Loop: Header=BB371_1567 Depth=1
	v_cmp_lt_i32_e64 s0, v17, v37
	v_lshrrev_b32_e32 v35, 16, v14
	v_lshrrev_b32_e32 v36, 16, v13
	;; [unrolled: 1-line block ×4, first 2 shown]
	v_cndmask_b32_e64 v14, 0, v14, s0
	v_cmp_lt_i32_e64 s0, v117, v87
	s_delay_alu instid0(VALU_DEP_1) | instskip(SKIP_1) | instid1(VALU_DEP_2)
	v_cndmask_b32_e64 v35, 0, v35, s0
	v_cmp_lt_i32_e64 s0, v116, v87
	v_perm_b32 v14, v35, v14, 0x5040100
	s_delay_alu instid0(VALU_DEP_2) | instskip(SKIP_1) | instid1(VALU_DEP_1)
	v_cndmask_b32_e64 v36, 0, v36, s0
	v_cmp_lt_i32_e64 s0, v115, v37
	v_cndmask_b32_e64 v13, 0, v13, s0
	v_cmp_lt_i32_e64 s0, v114, v87
	s_delay_alu instid0(VALU_DEP_2) | instskip(NEXT) | instid1(VALU_DEP_2)
	v_perm_b32 v13, v36, v13, 0x5040100
	v_cndmask_b32_e64 v178, 0, v178, s0
	v_cmp_lt_i32_e64 s0, v113, v37
	s_delay_alu instid0(VALU_DEP_1) | instskip(SKIP_1) | instid1(VALU_DEP_2)
	v_cndmask_b32_e64 v2, 0, v2, s0
	v_cmp_lt_i32_e64 s0, v112, v87
	v_perm_b32 v2, v178, v2, 0x5040100
	s_delay_alu instid0(VALU_DEP_2) | instskip(SKIP_1) | instid1(VALU_DEP_1)
	v_cndmask_b32_e64 v11, 0, v11, s0
	v_cmp_lt_i32_e64 s0, v103, v37
	v_cndmask_b32_e64 v12, 0, v12, s0
	s_delay_alu instid0(VALU_DEP_1)
	v_perm_b32 v11, v11, v12, 0x5040100
.LBB371_2887:                           ;   in Loop: Header=BB371_1567 Depth=1
	s_or_b32 exec_lo, exec_lo, s10
	;;#ASMSTART
	v_pk_mul_f16 v12, v102, v14;

	;;#ASMEND
	;;#ASMSTART
	v_pk_mul_f16 v13, v100, v13;

	;;#ASMEND
	;; [unrolled: 4-line block ×4, first 2 shown]
	;;#ASMSTART
	v_pk_add_f16 v12, v12, v13;

	;;#ASMEND
	;;#ASMSTART
	v_pk_add_f16 v2, v12, v2;

	;;#ASMEND
	;; [unrolled: 4-line block ×3, first 2 shown]
	v_add_co_u32 v11, s0, v9, v83
	s_delay_alu instid0(VALU_DEP_1)
	v_add_co_ci_u32_e64 v12, s0, 0, v10, s0
	v_lshrrev_b32_e32 v13, 16, v2
	v_dual_mov_b32 v179, 0 :: v_dual_and_b32 v2, 0xffff, v2
	;;#ASMSTART
	v_cvt_f32_f16 v35, v2;
	;;#ASMEND
	;;#ASMSTART
	v_cvt_f32_f16 v36, v13;
	;;#ASMEND
	flat_load_b64 v[11:12], v[11:12]
	flat_load_b32 v178, v[26:27]
	v_mov_b32_e32 v180, 0
	s_mov_b32 s10, exec_lo
	s_waitcnt vmcnt(1) lgkmcnt(1)
	v_and_b32_e32 v2, 0xff, v11
	s_delay_alu instid0(VALU_DEP_1)
	v_cmpx_ne_u16_e32 0, v2
	s_cbranch_execz .LBB371_2895
; %bb.2888:                             ;   in Loop: Header=BB371_1567 Depth=1
	v_bfrev_b32_e32 v179, 1
	s_mov_b32 s12, exec_lo
	v_cmpx_ne_u16_e32 0x80, v2
	s_cbranch_execz .LBB371_2894
; %bb.2889:                             ;   in Loop: Header=BB371_1567 Depth=1
	v_and_b32_e32 v13, 0x7f, v11
	v_mov_b32_e32 v179, 0x7fc02000
	s_mov_b32 s13, exec_lo
	s_delay_alu instid0(VALU_DEP_2)
	v_cmpx_ne_u32_e32 0x7f, v13
	s_cbranch_execz .LBB371_2893
; %bb.2890:                             ;   in Loop: Header=BB371_1567 Depth=1
	v_lshrrev_b32_e32 v2, 3, v13
	v_cmp_gt_u32_e64 s0, 8, v13
	v_dual_mov_b32 v14, v12 :: v_dual_mov_b32 v13, v11
	s_delay_alu instid0(VALU_DEP_2)
	s_and_saveexec_b32 s15, s0
; %bb.2891:                             ;   in Loop: Header=BB371_1567 Depth=1
	v_and_b32_e32 v2, 7, v11
	s_delay_alu instid0(VALU_DEP_1) | instskip(NEXT) | instid1(VALU_DEP_1)
	v_clz_i32_u32_e32 v2, v2
	v_min_u32_e32 v2, 32, v2
	s_delay_alu instid0(VALU_DEP_1) | instskip(SKIP_1) | instid1(VALU_DEP_2)
	v_subrev_nc_u32_e32 v13, 28, v2
	v_sub_nc_u32_e32 v2, 29, v2
	v_lshlrev_b64 v[13:14], v13, v[11:12]
; %bb.2892:                             ;   in Loop: Header=BB371_1567 Depth=1
	s_or_b32 exec_lo, exec_lo, s15
	v_lshlrev_b32_e32 v14, 8, v11
	s_delay_alu instid0(VALU_DEP_3) | instskip(NEXT) | instid1(VALU_DEP_3)
	v_lshl_add_u32 v2, v2, 10, 0x2000
	v_lshlrev_b32_e32 v13, 7, v13
	s_delay_alu instid0(VALU_DEP_2) | instskip(NEXT) | instid1(VALU_DEP_1)
	v_and_or_b32 v2, 0x8000, v14, v2
	v_and_or_b32 v2, 0x380, v13, v2
	s_delay_alu instid0(VALU_DEP_1)
	v_cvt_f32_f16_e64 v179, v2
.LBB371_2893:                           ;   in Loop: Header=BB371_1567 Depth=1
	s_or_b32 exec_lo, exec_lo, s13
.LBB371_2894:                           ;   in Loop: Header=BB371_1567 Depth=1
	s_delay_alu instid0(SALU_CYCLE_1)
	s_or_b32 exec_lo, exec_lo, s12
.LBB371_2895:                           ;   in Loop: Header=BB371_1567 Depth=1
	s_delay_alu instid0(SALU_CYCLE_1) | instskip(SKIP_2) | instid1(VALU_DEP_1)
	s_or_b32 exec_lo, exec_lo, s10
	v_lshrrev_b16 v2, 8, v11
	s_mov_b32 s10, exec_lo
	v_cmpx_ne_u16_e32 0, v2
	s_cbranch_execz .LBB371_2903
; %bb.2896:                             ;   in Loop: Header=BB371_1567 Depth=1
	v_bfrev_b32_e32 v180, 1
	s_mov_b32 s12, exec_lo
	v_cmpx_ne_u16_e32 0x80, v2
	s_cbranch_execz .LBB371_2902
; %bb.2897:                             ;   in Loop: Header=BB371_1567 Depth=1
	v_and_b32_e32 v181, 0xffff, v2
	v_mov_b32_e32 v180, 0x7fc02000
	s_mov_b32 s13, exec_lo
	s_delay_alu instid0(VALU_DEP_2) | instskip(NEXT) | instid1(VALU_DEP_1)
	v_and_b32_e32 v182, 0x7f, v181
	v_cmpx_ne_u32_e32 0x7f, v182
	s_cbranch_execz .LBB371_2901
; %bb.2898:                             ;   in Loop: Header=BB371_1567 Depth=1
	v_and_b32_e32 v2, 7, v181
	v_lshrrev_b32_e32 v180, 3, v182
	v_mov_b32_e32 v14, v3
	s_mov_b32 s15, exec_lo
	s_delay_alu instid0(VALU_DEP_3)
	v_mov_b32_e32 v13, v2
	v_cmpx_gt_u32_e32 8, v182
; %bb.2899:                             ;   in Loop: Header=BB371_1567 Depth=1
	v_clz_i32_u32_e32 v13, v2
	s_delay_alu instid0(VALU_DEP_1) | instskip(NEXT) | instid1(VALU_DEP_1)
	v_min_u32_e32 v180, 32, v13
	v_subrev_nc_u32_e32 v13, 28, v180
	v_sub_nc_u32_e32 v180, 29, v180
	s_delay_alu instid0(VALU_DEP_2) | instskip(NEXT) | instid1(VALU_DEP_1)
	v_lshlrev_b64 v[13:14], v13, v[2:3]
	v_and_b32_e32 v13, 7, v13
; %bb.2900:                             ;   in Loop: Header=BB371_1567 Depth=1
	s_or_b32 exec_lo, exec_lo, s15
	v_lshlrev_b32_e32 v2, 8, v181
	v_lshl_add_u32 v14, v180, 10, 0x2000
	s_delay_alu instid0(VALU_DEP_1) | instskip(NEXT) | instid1(VALU_DEP_1)
	v_and_or_b32 v2, 0x8000, v2, v14
	v_lshl_or_b32 v2, v13, 7, v2
	s_delay_alu instid0(VALU_DEP_1)
	v_cvt_f32_f16_e64 v180, v2
.LBB371_2901:                           ;   in Loop: Header=BB371_1567 Depth=1
	s_or_b32 exec_lo, exec_lo, s13
.LBB371_2902:                           ;   in Loop: Header=BB371_1567 Depth=1
	s_delay_alu instid0(SALU_CYCLE_1)
	s_or_b32 exec_lo, exec_lo, s12
.LBB371_2903:                           ;   in Loop: Header=BB371_1567 Depth=1
	s_delay_alu instid0(SALU_CYCLE_1) | instskip(SKIP_3) | instid1(VALU_DEP_2)
	s_or_b32 exec_lo, exec_lo, s10
	v_lshrrev_b32_e32 v183, 16, v11
	v_mov_b32_e32 v182, 0
	s_mov_b32 s10, exec_lo
	v_dual_mov_b32 v181, 0 :: v_dual_and_b32 v2, 0xff, v183
	s_delay_alu instid0(VALU_DEP_1)
	v_cmpx_ne_u16_e32 0, v2
	s_cbranch_execz .LBB371_2911
; %bb.2904:                             ;   in Loop: Header=BB371_1567 Depth=1
	v_bfrev_b32_e32 v181, 1
	s_mov_b32 s12, exec_lo
	v_cmpx_ne_u16_e32 0x80, v2
	s_cbranch_execz .LBB371_2910
; %bb.2905:                             ;   in Loop: Header=BB371_1567 Depth=1
	v_bfe_u32 v40, v11, 16, 7
	v_mov_b32_e32 v181, 0x7fc02000
	s_mov_b32 s13, exec_lo
	s_delay_alu instid0(VALU_DEP_2)
	v_cmpx_ne_u32_e32 0x7f, v40
	s_cbranch_execz .LBB371_2909
; %bb.2906:                             ;   in Loop: Header=BB371_1567 Depth=1
	v_and_b32_e32 v2, 7, v183
	v_lshrrev_b32_e32 v181, 3, v40
	v_mov_b32_e32 v14, v3
	s_mov_b32 s15, exec_lo
	s_delay_alu instid0(VALU_DEP_3)
	v_mov_b32_e32 v13, v2
	v_cmpx_gt_u32_e32 8, v40
; %bb.2907:                             ;   in Loop: Header=BB371_1567 Depth=1
	v_clz_i32_u32_e32 v13, v2
	s_delay_alu instid0(VALU_DEP_1) | instskip(NEXT) | instid1(VALU_DEP_1)
	v_min_u32_e32 v181, 32, v13
	v_subrev_nc_u32_e32 v13, 28, v181
	v_sub_nc_u32_e32 v181, 29, v181
	s_delay_alu instid0(VALU_DEP_2) | instskip(NEXT) | instid1(VALU_DEP_1)
	v_lshlrev_b64 v[13:14], v13, v[2:3]
	v_and_b32_e32 v13, 7, v13
; %bb.2908:                             ;   in Loop: Header=BB371_1567 Depth=1
	s_or_b32 exec_lo, exec_lo, s15
	v_lshlrev_b32_e32 v2, 8, v183
	v_lshl_add_u32 v14, v181, 10, 0x2000
	s_delay_alu instid0(VALU_DEP_1) | instskip(NEXT) | instid1(VALU_DEP_1)
	v_and_or_b32 v2, 0x8000, v2, v14
	v_lshl_or_b32 v2, v13, 7, v2
	s_delay_alu instid0(VALU_DEP_1)
	v_cvt_f32_f16_e64 v181, v2
.LBB371_2909:                           ;   in Loop: Header=BB371_1567 Depth=1
	s_or_b32 exec_lo, exec_lo, s13
.LBB371_2910:                           ;   in Loop: Header=BB371_1567 Depth=1
	s_delay_alu instid0(SALU_CYCLE_1)
	s_or_b32 exec_lo, exec_lo, s12
.LBB371_2911:                           ;   in Loop: Header=BB371_1567 Depth=1
	s_delay_alu instid0(SALU_CYCLE_1) | instskip(NEXT) | instid1(SALU_CYCLE_1)
	s_or_b32 exec_lo, exec_lo, s10
	s_mov_b32 s10, exec_lo
	v_cmpx_lt_u32_e32 0xffffff, v11
	s_cbranch_execz .LBB371_2919
; %bb.2912:                             ;   in Loop: Header=BB371_1567 Depth=1
	v_lshrrev_b32_e32 v183, 24, v11
	v_bfrev_b32_e32 v182, 1
	s_mov_b32 s12, exec_lo
	s_delay_alu instid0(VALU_DEP_2)
	v_cmpx_ne_u32_e32 0x80, v183
	s_cbranch_execz .LBB371_2918
; %bb.2913:                             ;   in Loop: Header=BB371_1567 Depth=1
	v_and_b32_e32 v40, 0x7f, v183
	v_mov_b32_e32 v182, 0x7fc02000
	s_mov_b32 s13, exec_lo
	s_delay_alu instid0(VALU_DEP_2)
	v_cmpx_ne_u32_e32 0x7f, v40
	s_cbranch_execz .LBB371_2917
; %bb.2914:                             ;   in Loop: Header=BB371_1567 Depth=1
	v_and_b32_e32 v2, 7, v183
	v_lshrrev_b32_e32 v182, 3, v40
	v_mov_b32_e32 v14, v3
	s_mov_b32 s15, exec_lo
	s_delay_alu instid0(VALU_DEP_3)
	v_mov_b32_e32 v13, v2
	v_cmpx_gt_u32_e32 8, v40
; %bb.2915:                             ;   in Loop: Header=BB371_1567 Depth=1
	v_clz_i32_u32_e32 v13, v2
	s_delay_alu instid0(VALU_DEP_1) | instskip(NEXT) | instid1(VALU_DEP_1)
	v_min_u32_e32 v182, 32, v13
	v_subrev_nc_u32_e32 v13, 28, v182
	v_sub_nc_u32_e32 v182, 29, v182
	s_delay_alu instid0(VALU_DEP_2) | instskip(NEXT) | instid1(VALU_DEP_1)
	v_lshlrev_b64 v[13:14], v13, v[2:3]
	v_and_b32_e32 v13, 7, v13
; %bb.2916:                             ;   in Loop: Header=BB371_1567 Depth=1
	s_or_b32 exec_lo, exec_lo, s15
	v_lshlrev_b32_e32 v2, 8, v183
	v_lshl_add_u32 v14, v182, 10, 0x2000
	s_delay_alu instid0(VALU_DEP_1) | instskip(NEXT) | instid1(VALU_DEP_1)
	v_and_or_b32 v2, 0x8000, v2, v14
	v_lshl_or_b32 v2, v13, 7, v2
	s_delay_alu instid0(VALU_DEP_1)
	v_cvt_f32_f16_e64 v182, v2
.LBB371_2917:                           ;   in Loop: Header=BB371_1567 Depth=1
	s_or_b32 exec_lo, exec_lo, s13
.LBB371_2918:                           ;   in Loop: Header=BB371_1567 Depth=1
	s_delay_alu instid0(SALU_CYCLE_1)
	s_or_b32 exec_lo, exec_lo, s12
.LBB371_2919:                           ;   in Loop: Header=BB371_1567 Depth=1
	s_delay_alu instid0(SALU_CYCLE_1) | instskip(SKIP_3) | instid1(VALU_DEP_2)
	s_or_b32 exec_lo, exec_lo, s10
	v_dual_mov_b32 v2, v12 :: v_dual_and_b32 v13, 0xff, v12
	v_dual_mov_b32 v40, 0 :: v_dual_mov_b32 v183, 0
	s_mov_b32 s10, exec_lo
	v_cmpx_ne_u16_e32 0, v13
	s_cbranch_execz .LBB371_2927
; %bb.2920:                             ;   in Loop: Header=BB371_1567 Depth=1
	v_bfrev_b32_e32 v183, 1
	s_mov_b32 s12, exec_lo
	v_cmpx_ne_u16_e32 0x80, v13
	s_cbranch_execz .LBB371_2926
; %bb.2921:                             ;   in Loop: Header=BB371_1567 Depth=1
	v_and_b32_e32 v41, 0x7f, v12
	v_mov_b32_e32 v183, 0x7fc02000
	s_mov_b32 s13, exec_lo
	s_delay_alu instid0(VALU_DEP_2)
	v_cmpx_ne_u32_e32 0x7f, v41
	s_cbranch_execz .LBB371_2925
; %bb.2922:                             ;   in Loop: Header=BB371_1567 Depth=1
	v_dual_mov_b32 v14, v3 :: v_dual_mov_b32 v13, v2
	v_lshrrev_b32_e32 v14, 3, v41
	s_mov_b32 s15, exec_lo
	v_cmpx_gt_u32_e32 8, v41
; %bb.2923:                             ;   in Loop: Header=BB371_1567 Depth=1
	v_and_b32_e32 v13, 7, v12
	s_delay_alu instid0(VALU_DEP_1) | instskip(NEXT) | instid1(VALU_DEP_1)
	v_clz_i32_u32_e32 v13, v13
	v_min_u32_e32 v183, 32, v13
	s_delay_alu instid0(VALU_DEP_1) | instskip(NEXT) | instid1(VALU_DEP_1)
	v_subrev_nc_u32_e32 v13, 28, v183
	v_lshlrev_b64 v[13:14], v13, v[2:3]
	v_sub_nc_u32_e32 v14, 29, v183
; %bb.2924:                             ;   in Loop: Header=BB371_1567 Depth=1
	s_or_b32 exec_lo, exec_lo, s15
	v_lshlrev_b32_e32 v183, 8, v12
	s_delay_alu instid0(VALU_DEP_2) | instskip(NEXT) | instid1(VALU_DEP_4)
	v_lshl_add_u32 v14, v14, 10, 0x2000
	v_lshlrev_b32_e32 v13, 7, v13
	s_delay_alu instid0(VALU_DEP_2) | instskip(NEXT) | instid1(VALU_DEP_1)
	v_and_or_b32 v14, 0x8000, v183, v14
	v_and_or_b32 v13, 0x380, v13, v14
	s_delay_alu instid0(VALU_DEP_1)
	v_cvt_f32_f16_e64 v183, v13
.LBB371_2925:                           ;   in Loop: Header=BB371_1567 Depth=1
	s_or_b32 exec_lo, exec_lo, s13
.LBB371_2926:                           ;   in Loop: Header=BB371_1567 Depth=1
	s_delay_alu instid0(SALU_CYCLE_1)
	s_or_b32 exec_lo, exec_lo, s12
.LBB371_2927:                           ;   in Loop: Header=BB371_1567 Depth=1
	s_delay_alu instid0(SALU_CYCLE_1) | instskip(SKIP_2) | instid1(VALU_DEP_1)
	s_or_b32 exec_lo, exec_lo, s10
	v_lshrrev_b16 v2, 8, v2
	s_mov_b32 s10, exec_lo
	v_cmpx_ne_u16_e32 0, v2
	s_cbranch_execz .LBB371_2935
; %bb.2928:                             ;   in Loop: Header=BB371_1567 Depth=1
	v_bfrev_b32_e32 v40, 1
	s_mov_b32 s12, exec_lo
	v_cmpx_ne_u16_e32 0x80, v2
	s_cbranch_execz .LBB371_2934
; %bb.2929:                             ;   in Loop: Header=BB371_1567 Depth=1
	v_and_b32_e32 v41, 0xffff, v2
	v_mov_b32_e32 v40, 0x7fc02000
	s_mov_b32 s13, exec_lo
	s_delay_alu instid0(VALU_DEP_2) | instskip(NEXT) | instid1(VALU_DEP_1)
	v_and_b32_e32 v42, 0x7f, v41
	v_cmpx_ne_u32_e32 0x7f, v42
	s_cbranch_execz .LBB371_2933
; %bb.2930:                             ;   in Loop: Header=BB371_1567 Depth=1
	v_and_b32_e32 v2, 7, v41
	v_lshrrev_b32_e32 v40, 3, v42
	v_mov_b32_e32 v14, v3
	s_mov_b32 s15, exec_lo
	s_delay_alu instid0(VALU_DEP_3)
	v_mov_b32_e32 v13, v2
	v_cmpx_gt_u32_e32 8, v42
; %bb.2931:                             ;   in Loop: Header=BB371_1567 Depth=1
	v_clz_i32_u32_e32 v13, v2
	s_delay_alu instid0(VALU_DEP_1) | instskip(NEXT) | instid1(VALU_DEP_1)
	v_min_u32_e32 v40, 32, v13
	v_subrev_nc_u32_e32 v13, 28, v40
	v_sub_nc_u32_e32 v40, 29, v40
	s_delay_alu instid0(VALU_DEP_2) | instskip(NEXT) | instid1(VALU_DEP_1)
	v_lshlrev_b64 v[13:14], v13, v[2:3]
	v_and_b32_e32 v13, 7, v13
; %bb.2932:                             ;   in Loop: Header=BB371_1567 Depth=1
	s_or_b32 exec_lo, exec_lo, s15
	v_lshlrev_b32_e32 v2, 8, v41
	v_lshl_add_u32 v14, v40, 10, 0x2000
	s_delay_alu instid0(VALU_DEP_1) | instskip(NEXT) | instid1(VALU_DEP_1)
	v_and_or_b32 v2, 0x8000, v2, v14
	v_lshl_or_b32 v2, v13, 7, v2
	s_delay_alu instid0(VALU_DEP_1)
	v_cvt_f32_f16_e32 v40, v2
.LBB371_2933:                           ;   in Loop: Header=BB371_1567 Depth=1
	s_or_b32 exec_lo, exec_lo, s13
.LBB371_2934:                           ;   in Loop: Header=BB371_1567 Depth=1
	s_delay_alu instid0(SALU_CYCLE_1)
	s_or_b32 exec_lo, exec_lo, s12
.LBB371_2935:                           ;   in Loop: Header=BB371_1567 Depth=1
	s_delay_alu instid0(SALU_CYCLE_1) | instskip(SKIP_3) | instid1(VALU_DEP_2)
	s_or_b32 exec_lo, exec_lo, s10
	v_lshrrev_b32_e32 v42, 16, v12
	v_mov_b32_e32 v13, 0
	s_mov_b32 s10, exec_lo
	v_dual_mov_b32 v41, 0 :: v_dual_and_b32 v2, 0xff, v42
	s_delay_alu instid0(VALU_DEP_1)
	v_cmpx_ne_u16_e32 0, v2
	s_cbranch_execz .LBB371_2943
; %bb.2936:                             ;   in Loop: Header=BB371_1567 Depth=1
	v_bfrev_b32_e32 v13, 1
	s_mov_b32 s12, exec_lo
	v_cmpx_ne_u16_e32 0x80, v2
	s_cbranch_execz .LBB371_2942
; %bb.2937:                             ;   in Loop: Header=BB371_1567 Depth=1
	v_bfe_u32 v44, v12, 16, 7
	v_mov_b32_e32 v13, 0x7fc02000
	s_mov_b32 s13, exec_lo
	s_delay_alu instid0(VALU_DEP_2)
	v_cmpx_ne_u32_e32 0x7f, v44
	s_cbranch_execz .LBB371_2941
; %bb.2938:                             ;   in Loop: Header=BB371_1567 Depth=1
	v_and_b32_e32 v2, 7, v42
	v_lshrrev_b32_e32 v43, 3, v44
	v_mov_b32_e32 v14, v3
	s_mov_b32 s15, exec_lo
	s_delay_alu instid0(VALU_DEP_3)
	v_mov_b32_e32 v13, v2
	v_cmpx_gt_u32_e32 8, v44
; %bb.2939:                             ;   in Loop: Header=BB371_1567 Depth=1
	v_clz_i32_u32_e32 v13, v2
	s_delay_alu instid0(VALU_DEP_1) | instskip(NEXT) | instid1(VALU_DEP_1)
	v_min_u32_e32 v43, 32, v13
	v_subrev_nc_u32_e32 v13, 28, v43
	v_sub_nc_u32_e32 v43, 29, v43
	s_delay_alu instid0(VALU_DEP_2) | instskip(NEXT) | instid1(VALU_DEP_1)
	v_lshlrev_b64 v[13:14], v13, v[2:3]
	v_and_b32_e32 v13, 7, v13
; %bb.2940:                             ;   in Loop: Header=BB371_1567 Depth=1
	s_or_b32 exec_lo, exec_lo, s15
	v_lshlrev_b32_e32 v2, 8, v42
	v_lshl_add_u32 v14, v43, 10, 0x2000
	s_delay_alu instid0(VALU_DEP_1) | instskip(NEXT) | instid1(VALU_DEP_1)
	v_and_or_b32 v2, 0x8000, v2, v14
	v_lshl_or_b32 v2, v13, 7, v2
	s_delay_alu instid0(VALU_DEP_1)
	v_cvt_f32_f16_e32 v13, v2
.LBB371_2941:                           ;   in Loop: Header=BB371_1567 Depth=1
	s_or_b32 exec_lo, exec_lo, s13
.LBB371_2942:                           ;   in Loop: Header=BB371_1567 Depth=1
	s_delay_alu instid0(SALU_CYCLE_1)
	s_or_b32 exec_lo, exec_lo, s12
.LBB371_2943:                           ;   in Loop: Header=BB371_1567 Depth=1
	s_delay_alu instid0(SALU_CYCLE_1) | instskip(NEXT) | instid1(SALU_CYCLE_1)
	s_or_b32 exec_lo, exec_lo, s10
	s_mov_b32 s10, exec_lo
	v_cmpx_lt_u64_e64 s[8:9], v[11:12]
	s_cbranch_execz .LBB371_2951
; %bb.2944:                             ;   in Loop: Header=BB371_1567 Depth=1
	v_lshrrev_b32_e32 v14, 24, v12
	v_bfrev_b32_e32 v41, 1
	s_mov_b32 s12, exec_lo
	s_delay_alu instid0(VALU_DEP_2)
	v_cmpx_ne_u32_e32 0x80, v14
	s_cbranch_execz .LBB371_2950
; %bb.2945:                             ;   in Loop: Header=BB371_1567 Depth=1
	v_and_b32_e32 v42, 0x7f, v14
	v_mov_b32_e32 v41, 0x7fc02000
	s_mov_b32 s13, exec_lo
	s_delay_alu instid0(VALU_DEP_2)
	v_cmpx_ne_u32_e32 0x7f, v42
	s_cbranch_execz .LBB371_2949
; %bb.2946:                             ;   in Loop: Header=BB371_1567 Depth=1
	v_and_b32_e32 v2, 7, v14
	v_lshrrev_b32_e32 v41, 3, v42
	v_mov_b32_e32 v12, v3
	s_mov_b32 s15, exec_lo
	s_delay_alu instid0(VALU_DEP_3)
	v_mov_b32_e32 v11, v2
	v_cmpx_gt_u32_e32 8, v42
; %bb.2947:                             ;   in Loop: Header=BB371_1567 Depth=1
	v_clz_i32_u32_e32 v11, v2
	s_delay_alu instid0(VALU_DEP_1) | instskip(NEXT) | instid1(VALU_DEP_1)
	v_min_u32_e32 v41, 32, v11
	v_subrev_nc_u32_e32 v11, 28, v41
	v_sub_nc_u32_e32 v41, 29, v41
	s_delay_alu instid0(VALU_DEP_2) | instskip(NEXT) | instid1(VALU_DEP_1)
	v_lshlrev_b64 v[11:12], v11, v[2:3]
	v_and_b32_e32 v11, 7, v11
; %bb.2948:                             ;   in Loop: Header=BB371_1567 Depth=1
	s_or_b32 exec_lo, exec_lo, s15
	v_lshlrev_b32_e32 v2, 8, v14
	v_lshl_add_u32 v12, v41, 10, 0x2000
	s_delay_alu instid0(VALU_DEP_1) | instskip(NEXT) | instid1(VALU_DEP_1)
	v_and_or_b32 v2, 0x8000, v2, v12
	v_lshl_or_b32 v2, v11, 7, v2
	s_delay_alu instid0(VALU_DEP_1)
	v_cvt_f32_f16_e32 v41, v2
.LBB371_2949:                           ;   in Loop: Header=BB371_1567 Depth=1
	s_or_b32 exec_lo, exec_lo, s13
.LBB371_2950:                           ;   in Loop: Header=BB371_1567 Depth=1
	s_delay_alu instid0(SALU_CYCLE_1)
	s_or_b32 exec_lo, exec_lo, s12
.LBB371_2951:                           ;   in Loop: Header=BB371_1567 Depth=1
	s_delay_alu instid0(SALU_CYCLE_1)
	s_or_b32 exec_lo, exec_lo, s10
	s_waitcnt vmcnt(0) lgkmcnt(0)
	v_fma_mixlo_f16 v12, v178, v180, 0
	v_fma_mixlo_f16 v2, v178, v182, 0
	;; [unrolled: 1-line block ×5, first 2 shown]
	v_lshlrev_b32_e32 v14, 16, v12
	v_fma_mixlo_f16 v181, v178, v183, 0
	v_fma_mixlo_f16 v182, v178, v41, 0
	;; [unrolled: 1-line block ×3, first 2 shown]
	v_lshlrev_b32_e32 v2, 16, v2
	v_and_b32_e32 v11, 0xffff, v11
	v_and_b32_e32 v178, 0xffff, v179
	v_lshlrev_b32_e32 v179, 16, v180
	v_and_b32_e32 v180, 0xffff, v181
	v_lshlrev_b32_e32 v181, 16, v182
	v_and_b32_e32 v182, 0xffff, v12
	v_or_b32_e32 v13, v2, v11
	v_or_b32_e32 v14, v14, v178
	;; [unrolled: 1-line block ×3, first 2 shown]
	s_delay_alu instid0(VALU_DEP_4)
	v_or_b32_e32 v11, v181, v182
	s_and_saveexec_b32 s10, vcc_lo
	s_cbranch_execz .LBB371_2953
; %bb.2952:                             ;   in Loop: Header=BB371_1567 Depth=1
	v_cmp_lt_i32_e64 s0, v17, v37
	v_lshrrev_b32_e32 v178, 16, v14
	v_lshrrev_b32_e32 v179, 16, v13
	;; [unrolled: 1-line block ×4, first 2 shown]
	v_cndmask_b32_e64 v14, 0, v14, s0
	v_cmp_lt_i32_e64 s0, v117, v87
	s_delay_alu instid0(VALU_DEP_1) | instskip(SKIP_1) | instid1(VALU_DEP_2)
	v_cndmask_b32_e64 v178, 0, v178, s0
	v_cmp_lt_i32_e64 s0, v116, v87
	v_perm_b32 v14, v178, v14, 0x5040100
	s_delay_alu instid0(VALU_DEP_2) | instskip(SKIP_1) | instid1(VALU_DEP_1)
	v_cndmask_b32_e64 v179, 0, v179, s0
	v_cmp_lt_i32_e64 s0, v115, v37
	v_cndmask_b32_e64 v13, 0, v13, s0
	v_cmp_lt_i32_e64 s0, v114, v87
	s_delay_alu instid0(VALU_DEP_2) | instskip(NEXT) | instid1(VALU_DEP_2)
	v_perm_b32 v13, v179, v13, 0x5040100
	v_cndmask_b32_e64 v180, 0, v180, s0
	v_cmp_lt_i32_e64 s0, v113, v37
	s_delay_alu instid0(VALU_DEP_1) | instskip(SKIP_1) | instid1(VALU_DEP_2)
	v_cndmask_b32_e64 v2, 0, v2, s0
	v_cmp_lt_i32_e64 s0, v112, v87
	v_perm_b32 v2, v180, v2, 0x5040100
	s_delay_alu instid0(VALU_DEP_2) | instskip(SKIP_1) | instid1(VALU_DEP_1)
	v_cndmask_b32_e64 v11, 0, v11, s0
	v_cmp_lt_i32_e64 s0, v103, v37
	v_cndmask_b32_e64 v12, 0, v12, s0
	s_delay_alu instid0(VALU_DEP_1)
	v_perm_b32 v11, v11, v12, 0x5040100
.LBB371_2953:                           ;   in Loop: Header=BB371_1567 Depth=1
	s_or_b32 exec_lo, exec_lo, s10
	;;#ASMSTART
	v_pk_mul_f16 v12, v102, v14;

	;;#ASMEND
	;;#ASMSTART
	v_pk_mul_f16 v13, v100, v13;

	;;#ASMEND
	;; [unrolled: 4-line block ×4, first 2 shown]
	;;#ASMSTART
	v_pk_add_f16 v12, v12, v13;

	;;#ASMEND
	;;#ASMSTART
	v_pk_add_f16 v2, v12, v2;

	;;#ASMEND
	;; [unrolled: 4-line block ×3, first 2 shown]
	v_add_co_u32 v11, s0, v9, v84
	s_delay_alu instid0(VALU_DEP_1)
	v_add_co_ci_u32_e64 v12, s0, 0, v10, s0
	v_lshrrev_b32_e32 v13, 16, v2
	v_dual_mov_b32 v181, 0 :: v_dual_and_b32 v2, 0xffff, v2
	;;#ASMSTART
	v_cvt_f32_f16 v178, v2;
	;;#ASMEND
	;;#ASMSTART
	v_cvt_f32_f16 v179, v13;
	;;#ASMEND
	flat_load_b64 v[11:12], v[11:12]
	flat_load_b32 v180, v[26:27]
	v_mov_b32_e32 v182, 0
	s_mov_b32 s10, exec_lo
	s_waitcnt vmcnt(1) lgkmcnt(1)
	v_and_b32_e32 v2, 0xff, v11
	s_delay_alu instid0(VALU_DEP_1)
	v_cmpx_ne_u16_e32 0, v2
	s_cbranch_execz .LBB371_2961
; %bb.2954:                             ;   in Loop: Header=BB371_1567 Depth=1
	v_bfrev_b32_e32 v181, 1
	s_mov_b32 s12, exec_lo
	v_cmpx_ne_u16_e32 0x80, v2
	s_cbranch_execz .LBB371_2960
; %bb.2955:                             ;   in Loop: Header=BB371_1567 Depth=1
	v_and_b32_e32 v13, 0x7f, v11
	v_mov_b32_e32 v181, 0x7fc02000
	s_mov_b32 s13, exec_lo
	s_delay_alu instid0(VALU_DEP_2)
	v_cmpx_ne_u32_e32 0x7f, v13
	s_cbranch_execz .LBB371_2959
; %bb.2956:                             ;   in Loop: Header=BB371_1567 Depth=1
	v_lshrrev_b32_e32 v2, 3, v13
	v_cmp_gt_u32_e64 s0, 8, v13
	v_dual_mov_b32 v14, v12 :: v_dual_mov_b32 v13, v11
	s_delay_alu instid0(VALU_DEP_2)
	s_and_saveexec_b32 s15, s0
; %bb.2957:                             ;   in Loop: Header=BB371_1567 Depth=1
	v_and_b32_e32 v2, 7, v11
	s_delay_alu instid0(VALU_DEP_1) | instskip(NEXT) | instid1(VALU_DEP_1)
	v_clz_i32_u32_e32 v2, v2
	v_min_u32_e32 v2, 32, v2
	s_delay_alu instid0(VALU_DEP_1) | instskip(SKIP_1) | instid1(VALU_DEP_2)
	v_subrev_nc_u32_e32 v13, 28, v2
	v_sub_nc_u32_e32 v2, 29, v2
	v_lshlrev_b64 v[13:14], v13, v[11:12]
; %bb.2958:                             ;   in Loop: Header=BB371_1567 Depth=1
	s_or_b32 exec_lo, exec_lo, s15
	v_lshlrev_b32_e32 v14, 8, v11
	s_delay_alu instid0(VALU_DEP_3) | instskip(NEXT) | instid1(VALU_DEP_3)
	v_lshl_add_u32 v2, v2, 10, 0x2000
	v_lshlrev_b32_e32 v13, 7, v13
	s_delay_alu instid0(VALU_DEP_2) | instskip(NEXT) | instid1(VALU_DEP_1)
	v_and_or_b32 v2, 0x8000, v14, v2
	v_and_or_b32 v2, 0x380, v13, v2
	s_delay_alu instid0(VALU_DEP_1)
	v_cvt_f32_f16_e64 v181, v2
.LBB371_2959:                           ;   in Loop: Header=BB371_1567 Depth=1
	s_or_b32 exec_lo, exec_lo, s13
.LBB371_2960:                           ;   in Loop: Header=BB371_1567 Depth=1
	s_delay_alu instid0(SALU_CYCLE_1)
	s_or_b32 exec_lo, exec_lo, s12
.LBB371_2961:                           ;   in Loop: Header=BB371_1567 Depth=1
	s_delay_alu instid0(SALU_CYCLE_1) | instskip(SKIP_2) | instid1(VALU_DEP_1)
	s_or_b32 exec_lo, exec_lo, s10
	v_lshrrev_b16 v2, 8, v11
	s_mov_b32 s10, exec_lo
	v_cmpx_ne_u16_e32 0, v2
	s_cbranch_execz .LBB371_2969
; %bb.2962:                             ;   in Loop: Header=BB371_1567 Depth=1
	v_bfrev_b32_e32 v182, 1
	s_mov_b32 s12, exec_lo
	v_cmpx_ne_u16_e32 0x80, v2
	s_cbranch_execz .LBB371_2968
; %bb.2963:                             ;   in Loop: Header=BB371_1567 Depth=1
	v_and_b32_e32 v183, 0xffff, v2
	v_mov_b32_e32 v182, 0x7fc02000
	s_mov_b32 s13, exec_lo
	s_delay_alu instid0(VALU_DEP_2) | instskip(NEXT) | instid1(VALU_DEP_1)
	v_and_b32_e32 v40, 0x7f, v183
	v_cmpx_ne_u32_e32 0x7f, v40
	s_cbranch_execz .LBB371_2967
; %bb.2964:                             ;   in Loop: Header=BB371_1567 Depth=1
	v_and_b32_e32 v2, 7, v183
	v_lshrrev_b32_e32 v182, 3, v40
	v_mov_b32_e32 v14, v3
	s_mov_b32 s15, exec_lo
	s_delay_alu instid0(VALU_DEP_3)
	v_mov_b32_e32 v13, v2
	v_cmpx_gt_u32_e32 8, v40
; %bb.2965:                             ;   in Loop: Header=BB371_1567 Depth=1
	v_clz_i32_u32_e32 v13, v2
	s_delay_alu instid0(VALU_DEP_1) | instskip(NEXT) | instid1(VALU_DEP_1)
	v_min_u32_e32 v182, 32, v13
	v_subrev_nc_u32_e32 v13, 28, v182
	v_sub_nc_u32_e32 v182, 29, v182
	s_delay_alu instid0(VALU_DEP_2) | instskip(NEXT) | instid1(VALU_DEP_1)
	v_lshlrev_b64 v[13:14], v13, v[2:3]
	v_and_b32_e32 v13, 7, v13
; %bb.2966:                             ;   in Loop: Header=BB371_1567 Depth=1
	s_or_b32 exec_lo, exec_lo, s15
	v_lshlrev_b32_e32 v2, 8, v183
	v_lshl_add_u32 v14, v182, 10, 0x2000
	s_delay_alu instid0(VALU_DEP_1) | instskip(NEXT) | instid1(VALU_DEP_1)
	v_and_or_b32 v2, 0x8000, v2, v14
	v_lshl_or_b32 v2, v13, 7, v2
	s_delay_alu instid0(VALU_DEP_1)
	v_cvt_f32_f16_e64 v182, v2
.LBB371_2967:                           ;   in Loop: Header=BB371_1567 Depth=1
	s_or_b32 exec_lo, exec_lo, s13
.LBB371_2968:                           ;   in Loop: Header=BB371_1567 Depth=1
	s_delay_alu instid0(SALU_CYCLE_1)
	s_or_b32 exec_lo, exec_lo, s12
.LBB371_2969:                           ;   in Loop: Header=BB371_1567 Depth=1
	s_delay_alu instid0(SALU_CYCLE_1) | instskip(SKIP_3) | instid1(VALU_DEP_2)
	s_or_b32 exec_lo, exec_lo, s10
	v_lshrrev_b32_e32 v41, 16, v11
	v_mov_b32_e32 v40, 0
	s_mov_b32 s10, exec_lo
	v_dual_mov_b32 v183, 0 :: v_dual_and_b32 v2, 0xff, v41
	s_delay_alu instid0(VALU_DEP_1)
	v_cmpx_ne_u16_e32 0, v2
	s_cbranch_execz .LBB371_2977
; %bb.2970:                             ;   in Loop: Header=BB371_1567 Depth=1
	v_bfrev_b32_e32 v183, 1
	s_mov_b32 s12, exec_lo
	v_cmpx_ne_u16_e32 0x80, v2
	s_cbranch_execz .LBB371_2976
; %bb.2971:                             ;   in Loop: Header=BB371_1567 Depth=1
	v_bfe_u32 v42, v11, 16, 7
	v_mov_b32_e32 v183, 0x7fc02000
	s_mov_b32 s13, exec_lo
	s_delay_alu instid0(VALU_DEP_2)
	v_cmpx_ne_u32_e32 0x7f, v42
	s_cbranch_execz .LBB371_2975
; %bb.2972:                             ;   in Loop: Header=BB371_1567 Depth=1
	v_and_b32_e32 v2, 7, v41
	v_lshrrev_b32_e32 v183, 3, v42
	v_mov_b32_e32 v14, v3
	s_mov_b32 s15, exec_lo
	s_delay_alu instid0(VALU_DEP_3)
	v_mov_b32_e32 v13, v2
	v_cmpx_gt_u32_e32 8, v42
; %bb.2973:                             ;   in Loop: Header=BB371_1567 Depth=1
	v_clz_i32_u32_e32 v13, v2
	s_delay_alu instid0(VALU_DEP_1) | instskip(NEXT) | instid1(VALU_DEP_1)
	v_min_u32_e32 v183, 32, v13
	v_subrev_nc_u32_e32 v13, 28, v183
	v_sub_nc_u32_e32 v183, 29, v183
	s_delay_alu instid0(VALU_DEP_2) | instskip(NEXT) | instid1(VALU_DEP_1)
	v_lshlrev_b64 v[13:14], v13, v[2:3]
	v_and_b32_e32 v13, 7, v13
; %bb.2974:                             ;   in Loop: Header=BB371_1567 Depth=1
	s_or_b32 exec_lo, exec_lo, s15
	v_lshlrev_b32_e32 v2, 8, v41
	v_lshl_add_u32 v14, v183, 10, 0x2000
	s_delay_alu instid0(VALU_DEP_1) | instskip(NEXT) | instid1(VALU_DEP_1)
	v_and_or_b32 v2, 0x8000, v2, v14
	v_lshl_or_b32 v2, v13, 7, v2
	s_delay_alu instid0(VALU_DEP_1)
	v_cvt_f32_f16_e64 v183, v2
.LBB371_2975:                           ;   in Loop: Header=BB371_1567 Depth=1
	s_or_b32 exec_lo, exec_lo, s13
.LBB371_2976:                           ;   in Loop: Header=BB371_1567 Depth=1
	s_delay_alu instid0(SALU_CYCLE_1)
	s_or_b32 exec_lo, exec_lo, s12
.LBB371_2977:                           ;   in Loop: Header=BB371_1567 Depth=1
	s_delay_alu instid0(SALU_CYCLE_1) | instskip(NEXT) | instid1(SALU_CYCLE_1)
	s_or_b32 exec_lo, exec_lo, s10
	s_mov_b32 s10, exec_lo
	v_cmpx_lt_u32_e32 0xffffff, v11
	s_cbranch_execz .LBB371_2985
; %bb.2978:                             ;   in Loop: Header=BB371_1567 Depth=1
	v_lshrrev_b32_e32 v41, 24, v11
	v_bfrev_b32_e32 v40, 1
	s_mov_b32 s12, exec_lo
	s_delay_alu instid0(VALU_DEP_2)
	v_cmpx_ne_u32_e32 0x80, v41
	s_cbranch_execz .LBB371_2984
; %bb.2979:                             ;   in Loop: Header=BB371_1567 Depth=1
	v_and_b32_e32 v42, 0x7f, v41
	v_mov_b32_e32 v40, 0x7fc02000
	s_mov_b32 s13, exec_lo
	s_delay_alu instid0(VALU_DEP_2)
	v_cmpx_ne_u32_e32 0x7f, v42
	s_cbranch_execz .LBB371_2983
; %bb.2980:                             ;   in Loop: Header=BB371_1567 Depth=1
	v_and_b32_e32 v2, 7, v41
	v_lshrrev_b32_e32 v40, 3, v42
	v_mov_b32_e32 v14, v3
	s_mov_b32 s15, exec_lo
	s_delay_alu instid0(VALU_DEP_3)
	v_mov_b32_e32 v13, v2
	v_cmpx_gt_u32_e32 8, v42
; %bb.2981:                             ;   in Loop: Header=BB371_1567 Depth=1
	v_clz_i32_u32_e32 v13, v2
	s_delay_alu instid0(VALU_DEP_1) | instskip(NEXT) | instid1(VALU_DEP_1)
	v_min_u32_e32 v40, 32, v13
	v_subrev_nc_u32_e32 v13, 28, v40
	v_sub_nc_u32_e32 v40, 29, v40
	s_delay_alu instid0(VALU_DEP_2) | instskip(NEXT) | instid1(VALU_DEP_1)
	v_lshlrev_b64 v[13:14], v13, v[2:3]
	v_and_b32_e32 v13, 7, v13
; %bb.2982:                             ;   in Loop: Header=BB371_1567 Depth=1
	s_or_b32 exec_lo, exec_lo, s15
	v_lshlrev_b32_e32 v2, 8, v41
	v_lshl_add_u32 v14, v40, 10, 0x2000
	s_delay_alu instid0(VALU_DEP_1) | instskip(NEXT) | instid1(VALU_DEP_1)
	v_and_or_b32 v2, 0x8000, v2, v14
	v_lshl_or_b32 v2, v13, 7, v2
	s_delay_alu instid0(VALU_DEP_1)
	v_cvt_f32_f16_e32 v40, v2
.LBB371_2983:                           ;   in Loop: Header=BB371_1567 Depth=1
	s_or_b32 exec_lo, exec_lo, s13
.LBB371_2984:                           ;   in Loop: Header=BB371_1567 Depth=1
	s_delay_alu instid0(SALU_CYCLE_1)
	s_or_b32 exec_lo, exec_lo, s12
.LBB371_2985:                           ;   in Loop: Header=BB371_1567 Depth=1
	s_delay_alu instid0(SALU_CYCLE_1) | instskip(SKIP_3) | instid1(VALU_DEP_2)
	s_or_b32 exec_lo, exec_lo, s10
	v_dual_mov_b32 v2, v12 :: v_dual_and_b32 v13, 0xff, v12
	v_dual_mov_b32 v42, 0 :: v_dual_mov_b32 v41, 0
	s_mov_b32 s10, exec_lo
	v_cmpx_ne_u16_e32 0, v13
	s_cbranch_execz .LBB371_2993
; %bb.2986:                             ;   in Loop: Header=BB371_1567 Depth=1
	v_bfrev_b32_e32 v41, 1
	s_mov_b32 s12, exec_lo
	v_cmpx_ne_u16_e32 0x80, v13
	s_cbranch_execz .LBB371_2992
; %bb.2987:                             ;   in Loop: Header=BB371_1567 Depth=1
	v_and_b32_e32 v43, 0x7f, v12
	v_mov_b32_e32 v41, 0x7fc02000
	s_mov_b32 s13, exec_lo
	s_delay_alu instid0(VALU_DEP_2)
	v_cmpx_ne_u32_e32 0x7f, v43
	s_cbranch_execz .LBB371_2991
; %bb.2988:                             ;   in Loop: Header=BB371_1567 Depth=1
	v_dual_mov_b32 v14, v3 :: v_dual_mov_b32 v13, v2
	v_lshrrev_b32_e32 v14, 3, v43
	s_mov_b32 s15, exec_lo
	v_cmpx_gt_u32_e32 8, v43
; %bb.2989:                             ;   in Loop: Header=BB371_1567 Depth=1
	v_and_b32_e32 v13, 7, v12
	s_delay_alu instid0(VALU_DEP_1) | instskip(NEXT) | instid1(VALU_DEP_1)
	v_clz_i32_u32_e32 v13, v13
	v_min_u32_e32 v41, 32, v13
	s_delay_alu instid0(VALU_DEP_1) | instskip(NEXT) | instid1(VALU_DEP_1)
	v_subrev_nc_u32_e32 v13, 28, v41
	v_lshlrev_b64 v[13:14], v13, v[2:3]
	v_sub_nc_u32_e32 v14, 29, v41
; %bb.2990:                             ;   in Loop: Header=BB371_1567 Depth=1
	s_or_b32 exec_lo, exec_lo, s15
	v_lshlrev_b32_e32 v41, 8, v12
	s_delay_alu instid0(VALU_DEP_2) | instskip(NEXT) | instid1(VALU_DEP_4)
	v_lshl_add_u32 v14, v14, 10, 0x2000
	v_lshlrev_b32_e32 v13, 7, v13
	s_delay_alu instid0(VALU_DEP_2) | instskip(NEXT) | instid1(VALU_DEP_1)
	v_and_or_b32 v14, 0x8000, v41, v14
	v_and_or_b32 v13, 0x380, v13, v14
	s_delay_alu instid0(VALU_DEP_1)
	v_cvt_f32_f16_e32 v41, v13
.LBB371_2991:                           ;   in Loop: Header=BB371_1567 Depth=1
	s_or_b32 exec_lo, exec_lo, s13
.LBB371_2992:                           ;   in Loop: Header=BB371_1567 Depth=1
	s_delay_alu instid0(SALU_CYCLE_1)
	s_or_b32 exec_lo, exec_lo, s12
.LBB371_2993:                           ;   in Loop: Header=BB371_1567 Depth=1
	s_delay_alu instid0(SALU_CYCLE_1) | instskip(SKIP_2) | instid1(VALU_DEP_1)
	s_or_b32 exec_lo, exec_lo, s10
	v_lshrrev_b16 v2, 8, v2
	s_mov_b32 s10, exec_lo
	v_cmpx_ne_u16_e32 0, v2
	s_cbranch_execz .LBB371_3001
; %bb.2994:                             ;   in Loop: Header=BB371_1567 Depth=1
	v_bfrev_b32_e32 v42, 1
	s_mov_b32 s12, exec_lo
	v_cmpx_ne_u16_e32 0x80, v2
	s_cbranch_execz .LBB371_3000
; %bb.2995:                             ;   in Loop: Header=BB371_1567 Depth=1
	v_and_b32_e32 v43, 0xffff, v2
	v_mov_b32_e32 v42, 0x7fc02000
	s_mov_b32 s13, exec_lo
	s_delay_alu instid0(VALU_DEP_2) | instskip(NEXT) | instid1(VALU_DEP_1)
	v_and_b32_e32 v44, 0x7f, v43
	v_cmpx_ne_u32_e32 0x7f, v44
	s_cbranch_execz .LBB371_2999
; %bb.2996:                             ;   in Loop: Header=BB371_1567 Depth=1
	v_and_b32_e32 v2, 7, v43
	v_lshrrev_b32_e32 v42, 3, v44
	v_mov_b32_e32 v14, v3
	s_mov_b32 s15, exec_lo
	s_delay_alu instid0(VALU_DEP_3)
	v_mov_b32_e32 v13, v2
	v_cmpx_gt_u32_e32 8, v44
; %bb.2997:                             ;   in Loop: Header=BB371_1567 Depth=1
	v_clz_i32_u32_e32 v13, v2
	s_delay_alu instid0(VALU_DEP_1) | instskip(NEXT) | instid1(VALU_DEP_1)
	v_min_u32_e32 v42, 32, v13
	v_subrev_nc_u32_e32 v13, 28, v42
	v_sub_nc_u32_e32 v42, 29, v42
	s_delay_alu instid0(VALU_DEP_2) | instskip(NEXT) | instid1(VALU_DEP_1)
	v_lshlrev_b64 v[13:14], v13, v[2:3]
	v_and_b32_e32 v13, 7, v13
; %bb.2998:                             ;   in Loop: Header=BB371_1567 Depth=1
	s_or_b32 exec_lo, exec_lo, s15
	v_lshlrev_b32_e32 v2, 8, v43
	v_lshl_add_u32 v14, v42, 10, 0x2000
	s_delay_alu instid0(VALU_DEP_1) | instskip(NEXT) | instid1(VALU_DEP_1)
	v_and_or_b32 v2, 0x8000, v2, v14
	v_lshl_or_b32 v2, v13, 7, v2
	s_delay_alu instid0(VALU_DEP_1)
	v_cvt_f32_f16_e32 v42, v2
.LBB371_2999:                           ;   in Loop: Header=BB371_1567 Depth=1
	s_or_b32 exec_lo, exec_lo, s13
.LBB371_3000:                           ;   in Loop: Header=BB371_1567 Depth=1
	s_delay_alu instid0(SALU_CYCLE_1)
	s_or_b32 exec_lo, exec_lo, s12
.LBB371_3001:                           ;   in Loop: Header=BB371_1567 Depth=1
	s_delay_alu instid0(SALU_CYCLE_1) | instskip(SKIP_3) | instid1(VALU_DEP_2)
	s_or_b32 exec_lo, exec_lo, s10
	v_lshrrev_b32_e32 v44, 16, v12
	v_mov_b32_e32 v13, 0
	s_mov_b32 s10, exec_lo
	v_dual_mov_b32 v43, 0 :: v_dual_and_b32 v2, 0xff, v44
	s_delay_alu instid0(VALU_DEP_1)
	v_cmpx_ne_u16_e32 0, v2
	s_cbranch_execz .LBB371_3009
; %bb.3002:                             ;   in Loop: Header=BB371_1567 Depth=1
	v_bfrev_b32_e32 v13, 1
	s_mov_b32 s12, exec_lo
	v_cmpx_ne_u16_e32 0x80, v2
	s_cbranch_execz .LBB371_3008
; %bb.3003:                             ;   in Loop: Header=BB371_1567 Depth=1
	v_bfe_u32 v46, v12, 16, 7
	v_mov_b32_e32 v13, 0x7fc02000
	s_mov_b32 s13, exec_lo
	s_delay_alu instid0(VALU_DEP_2)
	v_cmpx_ne_u32_e32 0x7f, v46
	s_cbranch_execz .LBB371_3007
; %bb.3004:                             ;   in Loop: Header=BB371_1567 Depth=1
	v_and_b32_e32 v2, 7, v44
	v_lshrrev_b32_e32 v45, 3, v46
	v_mov_b32_e32 v14, v3
	s_mov_b32 s15, exec_lo
	s_delay_alu instid0(VALU_DEP_3)
	v_mov_b32_e32 v13, v2
	v_cmpx_gt_u32_e32 8, v46
; %bb.3005:                             ;   in Loop: Header=BB371_1567 Depth=1
	v_clz_i32_u32_e32 v13, v2
	s_delay_alu instid0(VALU_DEP_1) | instskip(NEXT) | instid1(VALU_DEP_1)
	v_min_u32_e32 v45, 32, v13
	v_subrev_nc_u32_e32 v13, 28, v45
	v_sub_nc_u32_e32 v45, 29, v45
	s_delay_alu instid0(VALU_DEP_2) | instskip(NEXT) | instid1(VALU_DEP_1)
	v_lshlrev_b64 v[13:14], v13, v[2:3]
	v_and_b32_e32 v13, 7, v13
; %bb.3006:                             ;   in Loop: Header=BB371_1567 Depth=1
	s_or_b32 exec_lo, exec_lo, s15
	v_lshlrev_b32_e32 v2, 8, v44
	v_lshl_add_u32 v14, v45, 10, 0x2000
	s_delay_alu instid0(VALU_DEP_1) | instskip(NEXT) | instid1(VALU_DEP_1)
	v_and_or_b32 v2, 0x8000, v2, v14
	v_lshl_or_b32 v2, v13, 7, v2
	s_delay_alu instid0(VALU_DEP_1)
	v_cvt_f32_f16_e32 v13, v2
.LBB371_3007:                           ;   in Loop: Header=BB371_1567 Depth=1
	s_or_b32 exec_lo, exec_lo, s13
.LBB371_3008:                           ;   in Loop: Header=BB371_1567 Depth=1
	s_delay_alu instid0(SALU_CYCLE_1)
	s_or_b32 exec_lo, exec_lo, s12
.LBB371_3009:                           ;   in Loop: Header=BB371_1567 Depth=1
	s_delay_alu instid0(SALU_CYCLE_1) | instskip(NEXT) | instid1(SALU_CYCLE_1)
	s_or_b32 exec_lo, exec_lo, s10
	s_mov_b32 s10, exec_lo
	v_cmpx_lt_u64_e64 s[8:9], v[11:12]
	s_cbranch_execz .LBB371_3017
; %bb.3010:                             ;   in Loop: Header=BB371_1567 Depth=1
	v_lshrrev_b32_e32 v14, 24, v12
	v_bfrev_b32_e32 v43, 1
	s_mov_b32 s12, exec_lo
	s_delay_alu instid0(VALU_DEP_2)
	v_cmpx_ne_u32_e32 0x80, v14
	s_cbranch_execz .LBB371_3016
; %bb.3011:                             ;   in Loop: Header=BB371_1567 Depth=1
	v_and_b32_e32 v44, 0x7f, v14
	v_mov_b32_e32 v43, 0x7fc02000
	s_mov_b32 s13, exec_lo
	s_delay_alu instid0(VALU_DEP_2)
	v_cmpx_ne_u32_e32 0x7f, v44
	s_cbranch_execz .LBB371_3015
; %bb.3012:                             ;   in Loop: Header=BB371_1567 Depth=1
	v_and_b32_e32 v2, 7, v14
	v_lshrrev_b32_e32 v43, 3, v44
	v_mov_b32_e32 v12, v3
	s_mov_b32 s15, exec_lo
	s_delay_alu instid0(VALU_DEP_3)
	v_mov_b32_e32 v11, v2
	v_cmpx_gt_u32_e32 8, v44
; %bb.3013:                             ;   in Loop: Header=BB371_1567 Depth=1
	v_clz_i32_u32_e32 v11, v2
	s_delay_alu instid0(VALU_DEP_1) | instskip(NEXT) | instid1(VALU_DEP_1)
	v_min_u32_e32 v43, 32, v11
	v_subrev_nc_u32_e32 v11, 28, v43
	v_sub_nc_u32_e32 v43, 29, v43
	s_delay_alu instid0(VALU_DEP_2) | instskip(NEXT) | instid1(VALU_DEP_1)
	v_lshlrev_b64 v[11:12], v11, v[2:3]
	v_and_b32_e32 v11, 7, v11
; %bb.3014:                             ;   in Loop: Header=BB371_1567 Depth=1
	s_or_b32 exec_lo, exec_lo, s15
	v_lshlrev_b32_e32 v2, 8, v14
	v_lshl_add_u32 v12, v43, 10, 0x2000
	s_delay_alu instid0(VALU_DEP_1) | instskip(NEXT) | instid1(VALU_DEP_1)
	v_and_or_b32 v2, 0x8000, v2, v12
	v_lshl_or_b32 v2, v11, 7, v2
	s_delay_alu instid0(VALU_DEP_1)
	v_cvt_f32_f16_e32 v43, v2
.LBB371_3015:                           ;   in Loop: Header=BB371_1567 Depth=1
	s_or_b32 exec_lo, exec_lo, s13
.LBB371_3016:                           ;   in Loop: Header=BB371_1567 Depth=1
	s_delay_alu instid0(SALU_CYCLE_1)
	s_or_b32 exec_lo, exec_lo, s12
.LBB371_3017:                           ;   in Loop: Header=BB371_1567 Depth=1
	s_delay_alu instid0(SALU_CYCLE_1)
	s_or_b32 exec_lo, exec_lo, s10
	s_waitcnt vmcnt(0) lgkmcnt(0)
	v_fma_mixlo_f16 v12, v180, v182, 0
	v_fma_mixlo_f16 v2, v180, v40, 0
	;; [unrolled: 1-line block ×5, first 2 shown]
	v_lshlrev_b32_e32 v14, 16, v12
	v_fma_mixlo_f16 v183, v180, v41, 0
	v_fma_mixlo_f16 v40, v180, v43, 0
	;; [unrolled: 1-line block ×3, first 2 shown]
	v_lshlrev_b32_e32 v2, 16, v2
	v_and_b32_e32 v11, 0xffff, v11
	v_and_b32_e32 v180, 0xffff, v181
	v_lshlrev_b32_e32 v181, 16, v182
	v_and_b32_e32 v182, 0xffff, v183
	v_lshlrev_b32_e32 v183, 16, v40
	v_and_b32_e32 v40, 0xffff, v12
	v_or_b32_e32 v13, v2, v11
	v_or_b32_e32 v14, v14, v180
	;; [unrolled: 1-line block ×3, first 2 shown]
	s_delay_alu instid0(VALU_DEP_4)
	v_or_b32_e32 v11, v183, v40
	s_and_saveexec_b32 s10, vcc_lo
	s_cbranch_execz .LBB371_3019
; %bb.3018:                             ;   in Loop: Header=BB371_1567 Depth=1
	v_cmp_lt_i32_e64 s0, v17, v37
	v_lshrrev_b32_e32 v180, 16, v14
	v_lshrrev_b32_e32 v181, 16, v13
	;; [unrolled: 1-line block ×4, first 2 shown]
	v_cndmask_b32_e64 v14, 0, v14, s0
	v_cmp_lt_i32_e64 s0, v117, v87
	s_delay_alu instid0(VALU_DEP_1) | instskip(SKIP_1) | instid1(VALU_DEP_2)
	v_cndmask_b32_e64 v180, 0, v180, s0
	v_cmp_lt_i32_e64 s0, v116, v87
	v_perm_b32 v14, v180, v14, 0x5040100
	s_delay_alu instid0(VALU_DEP_2) | instskip(SKIP_1) | instid1(VALU_DEP_1)
	v_cndmask_b32_e64 v181, 0, v181, s0
	v_cmp_lt_i32_e64 s0, v115, v37
	v_cndmask_b32_e64 v13, 0, v13, s0
	v_cmp_lt_i32_e64 s0, v114, v87
	s_delay_alu instid0(VALU_DEP_2) | instskip(NEXT) | instid1(VALU_DEP_2)
	v_perm_b32 v13, v181, v13, 0x5040100
	v_cndmask_b32_e64 v182, 0, v182, s0
	v_cmp_lt_i32_e64 s0, v113, v37
	s_delay_alu instid0(VALU_DEP_1) | instskip(SKIP_1) | instid1(VALU_DEP_2)
	v_cndmask_b32_e64 v2, 0, v2, s0
	v_cmp_lt_i32_e64 s0, v112, v87
	v_perm_b32 v2, v182, v2, 0x5040100
	s_delay_alu instid0(VALU_DEP_2) | instskip(SKIP_1) | instid1(VALU_DEP_1)
	v_cndmask_b32_e64 v11, 0, v11, s0
	v_cmp_lt_i32_e64 s0, v103, v37
	v_cndmask_b32_e64 v12, 0, v12, s0
	s_delay_alu instid0(VALU_DEP_1)
	v_perm_b32 v11, v11, v12, 0x5040100
.LBB371_3019:                           ;   in Loop: Header=BB371_1567 Depth=1
	s_or_b32 exec_lo, exec_lo, s10
	;;#ASMSTART
	v_pk_mul_f16 v12, v102, v14;

	;;#ASMEND
	;;#ASMSTART
	v_pk_mul_f16 v13, v100, v13;

	;;#ASMEND
	;; [unrolled: 4-line block ×4, first 2 shown]
	;;#ASMSTART
	v_pk_add_f16 v12, v12, v13;

	;;#ASMEND
	;;#ASMSTART
	v_pk_add_f16 v2, v12, v2;

	;;#ASMEND
	;; [unrolled: 4-line block ×3, first 2 shown]
	v_add_co_u32 v11, s0, v9, v85
	s_delay_alu instid0(VALU_DEP_1)
	v_add_co_ci_u32_e64 v12, s0, 0, v10, s0
	v_lshrrev_b32_e32 v13, 16, v2
	v_dual_mov_b32 v183, 0 :: v_dual_and_b32 v2, 0xffff, v2
	;;#ASMSTART
	v_cvt_f32_f16 v180, v2;
	;;#ASMEND
	;;#ASMSTART
	v_cvt_f32_f16 v181, v13;
	;;#ASMEND
	flat_load_b64 v[11:12], v[11:12]
	flat_load_b32 v182, v[26:27]
	v_mov_b32_e32 v40, 0
	s_mov_b32 s10, exec_lo
	s_waitcnt vmcnt(1) lgkmcnt(1)
	v_and_b32_e32 v2, 0xff, v11
	s_delay_alu instid0(VALU_DEP_1)
	v_cmpx_ne_u16_e32 0, v2
	s_cbranch_execz .LBB371_3027
; %bb.3020:                             ;   in Loop: Header=BB371_1567 Depth=1
	v_bfrev_b32_e32 v183, 1
	s_mov_b32 s12, exec_lo
	v_cmpx_ne_u16_e32 0x80, v2
	s_cbranch_execz .LBB371_3026
; %bb.3021:                             ;   in Loop: Header=BB371_1567 Depth=1
	v_and_b32_e32 v13, 0x7f, v11
	v_mov_b32_e32 v183, 0x7fc02000
	s_mov_b32 s13, exec_lo
	s_delay_alu instid0(VALU_DEP_2)
	v_cmpx_ne_u32_e32 0x7f, v13
	s_cbranch_execz .LBB371_3025
; %bb.3022:                             ;   in Loop: Header=BB371_1567 Depth=1
	v_lshrrev_b32_e32 v2, 3, v13
	v_cmp_gt_u32_e64 s0, 8, v13
	v_dual_mov_b32 v14, v12 :: v_dual_mov_b32 v13, v11
	s_delay_alu instid0(VALU_DEP_2)
	s_and_saveexec_b32 s15, s0
; %bb.3023:                             ;   in Loop: Header=BB371_1567 Depth=1
	v_and_b32_e32 v2, 7, v11
	s_delay_alu instid0(VALU_DEP_1) | instskip(NEXT) | instid1(VALU_DEP_1)
	v_clz_i32_u32_e32 v2, v2
	v_min_u32_e32 v2, 32, v2
	s_delay_alu instid0(VALU_DEP_1) | instskip(SKIP_1) | instid1(VALU_DEP_2)
	v_subrev_nc_u32_e32 v13, 28, v2
	v_sub_nc_u32_e32 v2, 29, v2
	v_lshlrev_b64 v[13:14], v13, v[11:12]
; %bb.3024:                             ;   in Loop: Header=BB371_1567 Depth=1
	s_or_b32 exec_lo, exec_lo, s15
	v_lshlrev_b32_e32 v14, 8, v11
	s_delay_alu instid0(VALU_DEP_3) | instskip(NEXT) | instid1(VALU_DEP_3)
	v_lshl_add_u32 v2, v2, 10, 0x2000
	v_lshlrev_b32_e32 v13, 7, v13
	s_delay_alu instid0(VALU_DEP_2) | instskip(NEXT) | instid1(VALU_DEP_1)
	v_and_or_b32 v2, 0x8000, v14, v2
	v_and_or_b32 v2, 0x380, v13, v2
	s_delay_alu instid0(VALU_DEP_1)
	v_cvt_f32_f16_e64 v183, v2
.LBB371_3025:                           ;   in Loop: Header=BB371_1567 Depth=1
	s_or_b32 exec_lo, exec_lo, s13
.LBB371_3026:                           ;   in Loop: Header=BB371_1567 Depth=1
	s_delay_alu instid0(SALU_CYCLE_1)
	s_or_b32 exec_lo, exec_lo, s12
.LBB371_3027:                           ;   in Loop: Header=BB371_1567 Depth=1
	s_delay_alu instid0(SALU_CYCLE_1) | instskip(SKIP_2) | instid1(VALU_DEP_1)
	s_or_b32 exec_lo, exec_lo, s10
	v_lshrrev_b16 v2, 8, v11
	s_mov_b32 s10, exec_lo
	v_cmpx_ne_u16_e32 0, v2
	s_cbranch_execz .LBB371_3035
; %bb.3028:                             ;   in Loop: Header=BB371_1567 Depth=1
	v_bfrev_b32_e32 v40, 1
	s_mov_b32 s12, exec_lo
	v_cmpx_ne_u16_e32 0x80, v2
	s_cbranch_execz .LBB371_3034
; %bb.3029:                             ;   in Loop: Header=BB371_1567 Depth=1
	v_and_b32_e32 v41, 0xffff, v2
	v_mov_b32_e32 v40, 0x7fc02000
	s_mov_b32 s13, exec_lo
	s_delay_alu instid0(VALU_DEP_2) | instskip(NEXT) | instid1(VALU_DEP_1)
	v_and_b32_e32 v42, 0x7f, v41
	v_cmpx_ne_u32_e32 0x7f, v42
	s_cbranch_execz .LBB371_3033
; %bb.3030:                             ;   in Loop: Header=BB371_1567 Depth=1
	v_and_b32_e32 v2, 7, v41
	v_lshrrev_b32_e32 v40, 3, v42
	v_mov_b32_e32 v14, v3
	s_mov_b32 s15, exec_lo
	s_delay_alu instid0(VALU_DEP_3)
	v_mov_b32_e32 v13, v2
	v_cmpx_gt_u32_e32 8, v42
; %bb.3031:                             ;   in Loop: Header=BB371_1567 Depth=1
	v_clz_i32_u32_e32 v13, v2
	s_delay_alu instid0(VALU_DEP_1) | instskip(NEXT) | instid1(VALU_DEP_1)
	v_min_u32_e32 v40, 32, v13
	v_subrev_nc_u32_e32 v13, 28, v40
	v_sub_nc_u32_e32 v40, 29, v40
	s_delay_alu instid0(VALU_DEP_2) | instskip(NEXT) | instid1(VALU_DEP_1)
	v_lshlrev_b64 v[13:14], v13, v[2:3]
	v_and_b32_e32 v13, 7, v13
; %bb.3032:                             ;   in Loop: Header=BB371_1567 Depth=1
	s_or_b32 exec_lo, exec_lo, s15
	v_lshlrev_b32_e32 v2, 8, v41
	v_lshl_add_u32 v14, v40, 10, 0x2000
	s_delay_alu instid0(VALU_DEP_1) | instskip(NEXT) | instid1(VALU_DEP_1)
	v_and_or_b32 v2, 0x8000, v2, v14
	v_lshl_or_b32 v2, v13, 7, v2
	s_delay_alu instid0(VALU_DEP_1)
	v_cvt_f32_f16_e32 v40, v2
.LBB371_3033:                           ;   in Loop: Header=BB371_1567 Depth=1
	s_or_b32 exec_lo, exec_lo, s13
.LBB371_3034:                           ;   in Loop: Header=BB371_1567 Depth=1
	s_delay_alu instid0(SALU_CYCLE_1)
	s_or_b32 exec_lo, exec_lo, s12
.LBB371_3035:                           ;   in Loop: Header=BB371_1567 Depth=1
	s_delay_alu instid0(SALU_CYCLE_1) | instskip(SKIP_3) | instid1(VALU_DEP_2)
	s_or_b32 exec_lo, exec_lo, s10
	v_lshrrev_b32_e32 v43, 16, v11
	v_mov_b32_e32 v42, 0
	s_mov_b32 s10, exec_lo
	v_dual_mov_b32 v41, 0 :: v_dual_and_b32 v2, 0xff, v43
	s_delay_alu instid0(VALU_DEP_1)
	v_cmpx_ne_u16_e32 0, v2
	s_cbranch_execz .LBB371_3043
; %bb.3036:                             ;   in Loop: Header=BB371_1567 Depth=1
	v_bfrev_b32_e32 v41, 1
	s_mov_b32 s12, exec_lo
	v_cmpx_ne_u16_e32 0x80, v2
	s_cbranch_execz .LBB371_3042
; %bb.3037:                             ;   in Loop: Header=BB371_1567 Depth=1
	v_bfe_u32 v44, v11, 16, 7
	v_mov_b32_e32 v41, 0x7fc02000
	s_mov_b32 s13, exec_lo
	s_delay_alu instid0(VALU_DEP_2)
	v_cmpx_ne_u32_e32 0x7f, v44
	s_cbranch_execz .LBB371_3041
; %bb.3038:                             ;   in Loop: Header=BB371_1567 Depth=1
	v_and_b32_e32 v2, 7, v43
	v_lshrrev_b32_e32 v41, 3, v44
	v_mov_b32_e32 v14, v3
	s_mov_b32 s15, exec_lo
	s_delay_alu instid0(VALU_DEP_3)
	v_mov_b32_e32 v13, v2
	v_cmpx_gt_u32_e32 8, v44
; %bb.3039:                             ;   in Loop: Header=BB371_1567 Depth=1
	v_clz_i32_u32_e32 v13, v2
	s_delay_alu instid0(VALU_DEP_1) | instskip(NEXT) | instid1(VALU_DEP_1)
	v_min_u32_e32 v41, 32, v13
	v_subrev_nc_u32_e32 v13, 28, v41
	v_sub_nc_u32_e32 v41, 29, v41
	s_delay_alu instid0(VALU_DEP_2) | instskip(NEXT) | instid1(VALU_DEP_1)
	v_lshlrev_b64 v[13:14], v13, v[2:3]
	v_and_b32_e32 v13, 7, v13
; %bb.3040:                             ;   in Loop: Header=BB371_1567 Depth=1
	s_or_b32 exec_lo, exec_lo, s15
	v_lshlrev_b32_e32 v2, 8, v43
	v_lshl_add_u32 v14, v41, 10, 0x2000
	s_delay_alu instid0(VALU_DEP_1) | instskip(NEXT) | instid1(VALU_DEP_1)
	v_and_or_b32 v2, 0x8000, v2, v14
	v_lshl_or_b32 v2, v13, 7, v2
	s_delay_alu instid0(VALU_DEP_1)
	v_cvt_f32_f16_e32 v41, v2
.LBB371_3041:                           ;   in Loop: Header=BB371_1567 Depth=1
	s_or_b32 exec_lo, exec_lo, s13
.LBB371_3042:                           ;   in Loop: Header=BB371_1567 Depth=1
	s_delay_alu instid0(SALU_CYCLE_1)
	s_or_b32 exec_lo, exec_lo, s12
.LBB371_3043:                           ;   in Loop: Header=BB371_1567 Depth=1
	s_delay_alu instid0(SALU_CYCLE_1) | instskip(NEXT) | instid1(SALU_CYCLE_1)
	s_or_b32 exec_lo, exec_lo, s10
	s_mov_b32 s10, exec_lo
	v_cmpx_lt_u32_e32 0xffffff, v11
	s_cbranch_execz .LBB371_3051
; %bb.3044:                             ;   in Loop: Header=BB371_1567 Depth=1
	v_lshrrev_b32_e32 v43, 24, v11
	v_bfrev_b32_e32 v42, 1
	s_mov_b32 s12, exec_lo
	s_delay_alu instid0(VALU_DEP_2)
	v_cmpx_ne_u32_e32 0x80, v43
	s_cbranch_execz .LBB371_3050
; %bb.3045:                             ;   in Loop: Header=BB371_1567 Depth=1
	v_and_b32_e32 v44, 0x7f, v43
	v_mov_b32_e32 v42, 0x7fc02000
	s_mov_b32 s13, exec_lo
	s_delay_alu instid0(VALU_DEP_2)
	v_cmpx_ne_u32_e32 0x7f, v44
	s_cbranch_execz .LBB371_3049
; %bb.3046:                             ;   in Loop: Header=BB371_1567 Depth=1
	v_and_b32_e32 v2, 7, v43
	v_lshrrev_b32_e32 v42, 3, v44
	v_mov_b32_e32 v14, v3
	s_mov_b32 s15, exec_lo
	s_delay_alu instid0(VALU_DEP_3)
	v_mov_b32_e32 v13, v2
	v_cmpx_gt_u32_e32 8, v44
; %bb.3047:                             ;   in Loop: Header=BB371_1567 Depth=1
	v_clz_i32_u32_e32 v13, v2
	s_delay_alu instid0(VALU_DEP_1) | instskip(NEXT) | instid1(VALU_DEP_1)
	v_min_u32_e32 v42, 32, v13
	v_subrev_nc_u32_e32 v13, 28, v42
	v_sub_nc_u32_e32 v42, 29, v42
	s_delay_alu instid0(VALU_DEP_2) | instskip(NEXT) | instid1(VALU_DEP_1)
	v_lshlrev_b64 v[13:14], v13, v[2:3]
	v_and_b32_e32 v13, 7, v13
; %bb.3048:                             ;   in Loop: Header=BB371_1567 Depth=1
	s_or_b32 exec_lo, exec_lo, s15
	v_lshlrev_b32_e32 v2, 8, v43
	v_lshl_add_u32 v14, v42, 10, 0x2000
	s_delay_alu instid0(VALU_DEP_1) | instskip(NEXT) | instid1(VALU_DEP_1)
	v_and_or_b32 v2, 0x8000, v2, v14
	v_lshl_or_b32 v2, v13, 7, v2
	s_delay_alu instid0(VALU_DEP_1)
	v_cvt_f32_f16_e32 v42, v2
.LBB371_3049:                           ;   in Loop: Header=BB371_1567 Depth=1
	s_or_b32 exec_lo, exec_lo, s13
.LBB371_3050:                           ;   in Loop: Header=BB371_1567 Depth=1
	s_delay_alu instid0(SALU_CYCLE_1)
	s_or_b32 exec_lo, exec_lo, s12
.LBB371_3051:                           ;   in Loop: Header=BB371_1567 Depth=1
	s_delay_alu instid0(SALU_CYCLE_1) | instskip(SKIP_3) | instid1(VALU_DEP_2)
	s_or_b32 exec_lo, exec_lo, s10
	v_dual_mov_b32 v2, v12 :: v_dual_and_b32 v13, 0xff, v12
	v_dual_mov_b32 v44, 0 :: v_dual_mov_b32 v43, 0
	s_mov_b32 s10, exec_lo
	v_cmpx_ne_u16_e32 0, v13
	s_cbranch_execz .LBB371_3059
; %bb.3052:                             ;   in Loop: Header=BB371_1567 Depth=1
	v_bfrev_b32_e32 v43, 1
	s_mov_b32 s12, exec_lo
	v_cmpx_ne_u16_e32 0x80, v13
	s_cbranch_execz .LBB371_3058
; %bb.3053:                             ;   in Loop: Header=BB371_1567 Depth=1
	v_and_b32_e32 v45, 0x7f, v12
	v_mov_b32_e32 v43, 0x7fc02000
	s_mov_b32 s13, exec_lo
	s_delay_alu instid0(VALU_DEP_2)
	v_cmpx_ne_u32_e32 0x7f, v45
	s_cbranch_execz .LBB371_3057
; %bb.3054:                             ;   in Loop: Header=BB371_1567 Depth=1
	v_dual_mov_b32 v14, v3 :: v_dual_mov_b32 v13, v2
	v_lshrrev_b32_e32 v14, 3, v45
	s_mov_b32 s15, exec_lo
	v_cmpx_gt_u32_e32 8, v45
; %bb.3055:                             ;   in Loop: Header=BB371_1567 Depth=1
	v_and_b32_e32 v13, 7, v12
	s_delay_alu instid0(VALU_DEP_1) | instskip(NEXT) | instid1(VALU_DEP_1)
	v_clz_i32_u32_e32 v13, v13
	v_min_u32_e32 v43, 32, v13
	s_delay_alu instid0(VALU_DEP_1) | instskip(NEXT) | instid1(VALU_DEP_1)
	v_subrev_nc_u32_e32 v13, 28, v43
	v_lshlrev_b64 v[13:14], v13, v[2:3]
	v_sub_nc_u32_e32 v14, 29, v43
; %bb.3056:                             ;   in Loop: Header=BB371_1567 Depth=1
	s_or_b32 exec_lo, exec_lo, s15
	v_lshlrev_b32_e32 v43, 8, v12
	s_delay_alu instid0(VALU_DEP_2) | instskip(NEXT) | instid1(VALU_DEP_4)
	v_lshl_add_u32 v14, v14, 10, 0x2000
	v_lshlrev_b32_e32 v13, 7, v13
	s_delay_alu instid0(VALU_DEP_2) | instskip(NEXT) | instid1(VALU_DEP_1)
	v_and_or_b32 v14, 0x8000, v43, v14
	v_and_or_b32 v13, 0x380, v13, v14
	s_delay_alu instid0(VALU_DEP_1)
	v_cvt_f32_f16_e32 v43, v13
.LBB371_3057:                           ;   in Loop: Header=BB371_1567 Depth=1
	s_or_b32 exec_lo, exec_lo, s13
.LBB371_3058:                           ;   in Loop: Header=BB371_1567 Depth=1
	s_delay_alu instid0(SALU_CYCLE_1)
	s_or_b32 exec_lo, exec_lo, s12
.LBB371_3059:                           ;   in Loop: Header=BB371_1567 Depth=1
	s_delay_alu instid0(SALU_CYCLE_1) | instskip(SKIP_2) | instid1(VALU_DEP_1)
	s_or_b32 exec_lo, exec_lo, s10
	v_lshrrev_b16 v2, 8, v2
	s_mov_b32 s10, exec_lo
	v_cmpx_ne_u16_e32 0, v2
	s_cbranch_execz .LBB371_3067
; %bb.3060:                             ;   in Loop: Header=BB371_1567 Depth=1
	v_bfrev_b32_e32 v44, 1
	s_mov_b32 s12, exec_lo
	v_cmpx_ne_u16_e32 0x80, v2
	s_cbranch_execz .LBB371_3066
; %bb.3061:                             ;   in Loop: Header=BB371_1567 Depth=1
	v_and_b32_e32 v45, 0xffff, v2
	v_mov_b32_e32 v44, 0x7fc02000
	s_mov_b32 s13, exec_lo
	s_delay_alu instid0(VALU_DEP_2) | instskip(NEXT) | instid1(VALU_DEP_1)
	v_and_b32_e32 v46, 0x7f, v45
	v_cmpx_ne_u32_e32 0x7f, v46
	s_cbranch_execz .LBB371_3065
; %bb.3062:                             ;   in Loop: Header=BB371_1567 Depth=1
	v_and_b32_e32 v2, 7, v45
	v_lshrrev_b32_e32 v44, 3, v46
	v_mov_b32_e32 v14, v3
	s_mov_b32 s15, exec_lo
	s_delay_alu instid0(VALU_DEP_3)
	v_mov_b32_e32 v13, v2
	v_cmpx_gt_u32_e32 8, v46
; %bb.3063:                             ;   in Loop: Header=BB371_1567 Depth=1
	v_clz_i32_u32_e32 v13, v2
	s_delay_alu instid0(VALU_DEP_1) | instskip(NEXT) | instid1(VALU_DEP_1)
	v_min_u32_e32 v44, 32, v13
	v_subrev_nc_u32_e32 v13, 28, v44
	v_sub_nc_u32_e32 v44, 29, v44
	s_delay_alu instid0(VALU_DEP_2) | instskip(NEXT) | instid1(VALU_DEP_1)
	v_lshlrev_b64 v[13:14], v13, v[2:3]
	v_and_b32_e32 v13, 7, v13
; %bb.3064:                             ;   in Loop: Header=BB371_1567 Depth=1
	s_or_b32 exec_lo, exec_lo, s15
	v_lshlrev_b32_e32 v2, 8, v45
	v_lshl_add_u32 v14, v44, 10, 0x2000
	s_delay_alu instid0(VALU_DEP_1) | instskip(NEXT) | instid1(VALU_DEP_1)
	v_and_or_b32 v2, 0x8000, v2, v14
	v_lshl_or_b32 v2, v13, 7, v2
	s_delay_alu instid0(VALU_DEP_1)
	v_cvt_f32_f16_e32 v44, v2
.LBB371_3065:                           ;   in Loop: Header=BB371_1567 Depth=1
	s_or_b32 exec_lo, exec_lo, s13
.LBB371_3066:                           ;   in Loop: Header=BB371_1567 Depth=1
	s_delay_alu instid0(SALU_CYCLE_1)
	s_or_b32 exec_lo, exec_lo, s12
.LBB371_3067:                           ;   in Loop: Header=BB371_1567 Depth=1
	s_delay_alu instid0(SALU_CYCLE_1) | instskip(SKIP_3) | instid1(VALU_DEP_2)
	s_or_b32 exec_lo, exec_lo, s10
	v_lshrrev_b32_e32 v46, 16, v12
	v_mov_b32_e32 v13, 0
	s_mov_b32 s10, exec_lo
	v_dual_mov_b32 v45, 0 :: v_dual_and_b32 v2, 0xff, v46
	s_delay_alu instid0(VALU_DEP_1)
	v_cmpx_ne_u16_e32 0, v2
	s_cbranch_execz .LBB371_3075
; %bb.3068:                             ;   in Loop: Header=BB371_1567 Depth=1
	v_bfrev_b32_e32 v13, 1
	s_mov_b32 s12, exec_lo
	v_cmpx_ne_u16_e32 0x80, v2
	s_cbranch_execz .LBB371_3074
; %bb.3069:                             ;   in Loop: Header=BB371_1567 Depth=1
	v_bfe_u32 v56, v12, 16, 7
	v_mov_b32_e32 v13, 0x7fc02000
	s_mov_b32 s13, exec_lo
	s_delay_alu instid0(VALU_DEP_2)
	v_cmpx_ne_u32_e32 0x7f, v56
	s_cbranch_execz .LBB371_3073
; %bb.3070:                             ;   in Loop: Header=BB371_1567 Depth=1
	v_and_b32_e32 v2, 7, v46
	v_lshrrev_b32_e32 v47, 3, v56
	v_mov_b32_e32 v14, v3
	s_mov_b32 s15, exec_lo
	s_delay_alu instid0(VALU_DEP_3)
	v_mov_b32_e32 v13, v2
	v_cmpx_gt_u32_e32 8, v56
; %bb.3071:                             ;   in Loop: Header=BB371_1567 Depth=1
	v_clz_i32_u32_e32 v13, v2
	s_delay_alu instid0(VALU_DEP_1) | instskip(NEXT) | instid1(VALU_DEP_1)
	v_min_u32_e32 v47, 32, v13
	v_subrev_nc_u32_e32 v13, 28, v47
	v_sub_nc_u32_e32 v47, 29, v47
	s_delay_alu instid0(VALU_DEP_2) | instskip(NEXT) | instid1(VALU_DEP_1)
	v_lshlrev_b64 v[13:14], v13, v[2:3]
	v_and_b32_e32 v13, 7, v13
; %bb.3072:                             ;   in Loop: Header=BB371_1567 Depth=1
	s_or_b32 exec_lo, exec_lo, s15
	v_lshlrev_b32_e32 v2, 8, v46
	v_lshl_add_u32 v14, v47, 10, 0x2000
	s_delay_alu instid0(VALU_DEP_1) | instskip(NEXT) | instid1(VALU_DEP_1)
	v_and_or_b32 v2, 0x8000, v2, v14
	v_lshl_or_b32 v2, v13, 7, v2
	s_delay_alu instid0(VALU_DEP_1)
	v_cvt_f32_f16_e32 v13, v2
.LBB371_3073:                           ;   in Loop: Header=BB371_1567 Depth=1
	s_or_b32 exec_lo, exec_lo, s13
.LBB371_3074:                           ;   in Loop: Header=BB371_1567 Depth=1
	s_delay_alu instid0(SALU_CYCLE_1)
	s_or_b32 exec_lo, exec_lo, s12
.LBB371_3075:                           ;   in Loop: Header=BB371_1567 Depth=1
	s_delay_alu instid0(SALU_CYCLE_1) | instskip(NEXT) | instid1(SALU_CYCLE_1)
	s_or_b32 exec_lo, exec_lo, s10
	s_mov_b32 s10, exec_lo
	v_cmpx_lt_u64_e64 s[8:9], v[11:12]
	s_cbranch_execz .LBB371_3083
; %bb.3076:                             ;   in Loop: Header=BB371_1567 Depth=1
	v_lshrrev_b32_e32 v14, 24, v12
	v_bfrev_b32_e32 v45, 1
	s_mov_b32 s12, exec_lo
	s_delay_alu instid0(VALU_DEP_2)
	v_cmpx_ne_u32_e32 0x80, v14
	s_cbranch_execz .LBB371_3082
; %bb.3077:                             ;   in Loop: Header=BB371_1567 Depth=1
	v_and_b32_e32 v46, 0x7f, v14
	v_mov_b32_e32 v45, 0x7fc02000
	s_mov_b32 s13, exec_lo
	s_delay_alu instid0(VALU_DEP_2)
	v_cmpx_ne_u32_e32 0x7f, v46
	s_cbranch_execz .LBB371_3081
; %bb.3078:                             ;   in Loop: Header=BB371_1567 Depth=1
	v_and_b32_e32 v2, 7, v14
	v_lshrrev_b32_e32 v45, 3, v46
	v_mov_b32_e32 v12, v3
	s_mov_b32 s15, exec_lo
	s_delay_alu instid0(VALU_DEP_3)
	v_mov_b32_e32 v11, v2
	v_cmpx_gt_u32_e32 8, v46
; %bb.3079:                             ;   in Loop: Header=BB371_1567 Depth=1
	v_clz_i32_u32_e32 v11, v2
	s_delay_alu instid0(VALU_DEP_1) | instskip(NEXT) | instid1(VALU_DEP_1)
	v_min_u32_e32 v45, 32, v11
	v_subrev_nc_u32_e32 v11, 28, v45
	v_sub_nc_u32_e32 v45, 29, v45
	s_delay_alu instid0(VALU_DEP_2) | instskip(NEXT) | instid1(VALU_DEP_1)
	v_lshlrev_b64 v[11:12], v11, v[2:3]
	v_and_b32_e32 v11, 7, v11
; %bb.3080:                             ;   in Loop: Header=BB371_1567 Depth=1
	s_or_b32 exec_lo, exec_lo, s15
	v_lshlrev_b32_e32 v2, 8, v14
	v_lshl_add_u32 v12, v45, 10, 0x2000
	s_delay_alu instid0(VALU_DEP_1) | instskip(NEXT) | instid1(VALU_DEP_1)
	v_and_or_b32 v2, 0x8000, v2, v12
	v_lshl_or_b32 v2, v11, 7, v2
	s_delay_alu instid0(VALU_DEP_1)
	v_cvt_f32_f16_e32 v45, v2
.LBB371_3081:                           ;   in Loop: Header=BB371_1567 Depth=1
	s_or_b32 exec_lo, exec_lo, s13
.LBB371_3082:                           ;   in Loop: Header=BB371_1567 Depth=1
	s_delay_alu instid0(SALU_CYCLE_1)
	s_or_b32 exec_lo, exec_lo, s12
.LBB371_3083:                           ;   in Loop: Header=BB371_1567 Depth=1
	s_delay_alu instid0(SALU_CYCLE_1)
	s_or_b32 exec_lo, exec_lo, s10
	s_waitcnt vmcnt(0) lgkmcnt(0)
	v_fma_mixlo_f16 v12, v182, v40, 0
	v_fma_mixlo_f16 v2, v182, v42, 0
	;; [unrolled: 1-line block ×5, first 2 shown]
	v_lshlrev_b32_e32 v14, 16, v12
	v_fma_mixlo_f16 v41, v182, v43, 0
	v_fma_mixlo_f16 v42, v182, v45, 0
	;; [unrolled: 1-line block ×3, first 2 shown]
	v_lshlrev_b32_e32 v2, 16, v2
	v_and_b32_e32 v11, 0xffff, v11
	v_and_b32_e32 v182, 0xffff, v183
	v_lshlrev_b32_e32 v183, 16, v40
	v_and_b32_e32 v40, 0xffff, v41
	v_lshlrev_b32_e32 v41, 16, v42
	v_and_b32_e32 v42, 0xffff, v12
	v_or_b32_e32 v13, v2, v11
	v_or_b32_e32 v14, v14, v182
	;; [unrolled: 1-line block ×3, first 2 shown]
	s_delay_alu instid0(VALU_DEP_4)
	v_or_b32_e32 v11, v41, v42
	s_and_saveexec_b32 s10, vcc_lo
	s_cbranch_execz .LBB371_3085
; %bb.3084:                             ;   in Loop: Header=BB371_1567 Depth=1
	v_cmp_lt_i32_e64 s0, v17, v37
	v_lshrrev_b32_e32 v182, 16, v14
	v_lshrrev_b32_e32 v183, 16, v13
	;; [unrolled: 1-line block ×4, first 2 shown]
	v_cndmask_b32_e64 v14, 0, v14, s0
	v_cmp_lt_i32_e64 s0, v117, v87
	s_delay_alu instid0(VALU_DEP_1) | instskip(SKIP_1) | instid1(VALU_DEP_2)
	v_cndmask_b32_e64 v182, 0, v182, s0
	v_cmp_lt_i32_e64 s0, v116, v87
	v_perm_b32 v14, v182, v14, 0x5040100
	s_delay_alu instid0(VALU_DEP_2) | instskip(SKIP_1) | instid1(VALU_DEP_1)
	v_cndmask_b32_e64 v183, 0, v183, s0
	v_cmp_lt_i32_e64 s0, v115, v37
	v_cndmask_b32_e64 v13, 0, v13, s0
	v_cmp_lt_i32_e64 s0, v114, v87
	s_delay_alu instid0(VALU_DEP_2) | instskip(NEXT) | instid1(VALU_DEP_2)
	v_perm_b32 v13, v183, v13, 0x5040100
	v_cndmask_b32_e64 v40, 0, v40, s0
	v_cmp_lt_i32_e64 s0, v113, v37
	s_delay_alu instid0(VALU_DEP_1) | instskip(SKIP_1) | instid1(VALU_DEP_2)
	v_cndmask_b32_e64 v2, 0, v2, s0
	v_cmp_lt_i32_e64 s0, v112, v87
	v_perm_b32 v2, v40, v2, 0x5040100
	s_delay_alu instid0(VALU_DEP_2) | instskip(SKIP_1) | instid1(VALU_DEP_1)
	v_cndmask_b32_e64 v11, 0, v11, s0
	v_cmp_lt_i32_e64 s0, v103, v37
	v_cndmask_b32_e64 v12, 0, v12, s0
	s_delay_alu instid0(VALU_DEP_1)
	v_perm_b32 v11, v11, v12, 0x5040100
.LBB371_3085:                           ;   in Loop: Header=BB371_1567 Depth=1
	s_or_b32 exec_lo, exec_lo, s10
	v_add_co_u32 v9, s0, v9, v86
	s_delay_alu instid0(VALU_DEP_1)
	v_add_co_ci_u32_e64 v10, s0, 0, v10, s0
	;;#ASMSTART
	v_pk_mul_f16 v12, v102, v14;

	;;#ASMEND
	;;#ASMSTART
	v_pk_mul_f16 v13, v100, v13;

	;;#ASMEND
	;; [unrolled: 4-line block ×4, first 2 shown]
	;;#ASMSTART
	v_pk_add_f16 v12, v12, v13;

	;;#ASMEND
	;;#ASMSTART
	v_pk_add_f16 v2, v12, v2;

	;;#ASMEND
	;; [unrolled: 4-line block ×3, first 2 shown]
	v_lshrrev_b32_e32 v11, 16, v2
	v_dual_mov_b32 v183, 0 :: v_dual_and_b32 v2, 0xffff, v2
	;;#ASMSTART
	v_cvt_f32_f16 v13, v2;
	;;#ASMEND
	;;#ASMSTART
	v_cvt_f32_f16 v14, v11;
	;;#ASMEND
	flat_load_b64 v[9:10], v[9:10]
	flat_load_b32 v182, v[26:27]
	v_mov_b32_e32 v40, 0
	s_mov_b32 s10, exec_lo
	s_waitcnt vmcnt(1) lgkmcnt(1)
	v_and_b32_e32 v2, 0xff, v9
	s_delay_alu instid0(VALU_DEP_1)
	v_cmpx_ne_u16_e32 0, v2
	s_cbranch_execz .LBB371_3093
; %bb.3086:                             ;   in Loop: Header=BB371_1567 Depth=1
	v_bfrev_b32_e32 v183, 1
	s_mov_b32 s12, exec_lo
	v_cmpx_ne_u16_e32 0x80, v2
	s_cbranch_execz .LBB371_3092
; %bb.3087:                             ;   in Loop: Header=BB371_1567 Depth=1
	v_and_b32_e32 v11, 0x7f, v9
	v_mov_b32_e32 v183, 0x7fc02000
	s_mov_b32 s13, exec_lo
	s_delay_alu instid0(VALU_DEP_2)
	v_cmpx_ne_u32_e32 0x7f, v11
	s_cbranch_execz .LBB371_3091
; %bb.3088:                             ;   in Loop: Header=BB371_1567 Depth=1
	v_lshrrev_b32_e32 v2, 3, v11
	v_cmp_gt_u32_e64 s0, 8, v11
	v_dual_mov_b32 v12, v10 :: v_dual_mov_b32 v11, v9
	s_delay_alu instid0(VALU_DEP_2)
	s_and_saveexec_b32 s15, s0
; %bb.3089:                             ;   in Loop: Header=BB371_1567 Depth=1
	v_and_b32_e32 v2, 7, v9
	s_delay_alu instid0(VALU_DEP_1) | instskip(NEXT) | instid1(VALU_DEP_1)
	v_clz_i32_u32_e32 v2, v2
	v_min_u32_e32 v2, 32, v2
	s_delay_alu instid0(VALU_DEP_1) | instskip(SKIP_1) | instid1(VALU_DEP_2)
	v_subrev_nc_u32_e32 v11, 28, v2
	v_sub_nc_u32_e32 v2, 29, v2
	v_lshlrev_b64 v[11:12], v11, v[9:10]
; %bb.3090:                             ;   in Loop: Header=BB371_1567 Depth=1
	s_or_b32 exec_lo, exec_lo, s15
	v_lshlrev_b32_e32 v12, 8, v9
	s_delay_alu instid0(VALU_DEP_3) | instskip(NEXT) | instid1(VALU_DEP_3)
	v_lshl_add_u32 v2, v2, 10, 0x2000
	v_lshlrev_b32_e32 v11, 7, v11
	s_delay_alu instid0(VALU_DEP_2) | instskip(NEXT) | instid1(VALU_DEP_1)
	v_and_or_b32 v2, 0x8000, v12, v2
	v_and_or_b32 v2, 0x380, v11, v2
	s_delay_alu instid0(VALU_DEP_1)
	v_cvt_f32_f16_e64 v183, v2
.LBB371_3091:                           ;   in Loop: Header=BB371_1567 Depth=1
	s_or_b32 exec_lo, exec_lo, s13
.LBB371_3092:                           ;   in Loop: Header=BB371_1567 Depth=1
	s_delay_alu instid0(SALU_CYCLE_1)
	s_or_b32 exec_lo, exec_lo, s12
.LBB371_3093:                           ;   in Loop: Header=BB371_1567 Depth=1
	s_delay_alu instid0(SALU_CYCLE_1) | instskip(SKIP_2) | instid1(VALU_DEP_1)
	s_or_b32 exec_lo, exec_lo, s10
	v_lshrrev_b16 v2, 8, v9
	s_mov_b32 s10, exec_lo
	v_cmpx_ne_u16_e32 0, v2
	s_cbranch_execz .LBB371_3101
; %bb.3094:                             ;   in Loop: Header=BB371_1567 Depth=1
	v_bfrev_b32_e32 v40, 1
	s_mov_b32 s12, exec_lo
	v_cmpx_ne_u16_e32 0x80, v2
	s_cbranch_execz .LBB371_3100
; %bb.3095:                             ;   in Loop: Header=BB371_1567 Depth=1
	v_and_b32_e32 v41, 0xffff, v2
	v_mov_b32_e32 v40, 0x7fc02000
	s_mov_b32 s13, exec_lo
	s_delay_alu instid0(VALU_DEP_2) | instskip(NEXT) | instid1(VALU_DEP_1)
	v_and_b32_e32 v42, 0x7f, v41
	v_cmpx_ne_u32_e32 0x7f, v42
	s_cbranch_execz .LBB371_3099
; %bb.3096:                             ;   in Loop: Header=BB371_1567 Depth=1
	v_and_b32_e32 v2, 7, v41
	v_lshrrev_b32_e32 v40, 3, v42
	v_mov_b32_e32 v12, v3
	s_mov_b32 s15, exec_lo
	s_delay_alu instid0(VALU_DEP_3)
	v_mov_b32_e32 v11, v2
	v_cmpx_gt_u32_e32 8, v42
; %bb.3097:                             ;   in Loop: Header=BB371_1567 Depth=1
	v_clz_i32_u32_e32 v11, v2
	s_delay_alu instid0(VALU_DEP_1) | instskip(NEXT) | instid1(VALU_DEP_1)
	v_min_u32_e32 v40, 32, v11
	v_subrev_nc_u32_e32 v11, 28, v40
	v_sub_nc_u32_e32 v40, 29, v40
	s_delay_alu instid0(VALU_DEP_2) | instskip(NEXT) | instid1(VALU_DEP_1)
	v_lshlrev_b64 v[11:12], v11, v[2:3]
	v_and_b32_e32 v11, 7, v11
; %bb.3098:                             ;   in Loop: Header=BB371_1567 Depth=1
	s_or_b32 exec_lo, exec_lo, s15
	v_lshlrev_b32_e32 v2, 8, v41
	v_lshl_add_u32 v12, v40, 10, 0x2000
	s_delay_alu instid0(VALU_DEP_1) | instskip(NEXT) | instid1(VALU_DEP_1)
	v_and_or_b32 v2, 0x8000, v2, v12
	v_lshl_or_b32 v2, v11, 7, v2
	s_delay_alu instid0(VALU_DEP_1)
	v_cvt_f32_f16_e32 v40, v2
.LBB371_3099:                           ;   in Loop: Header=BB371_1567 Depth=1
	s_or_b32 exec_lo, exec_lo, s13
.LBB371_3100:                           ;   in Loop: Header=BB371_1567 Depth=1
	s_delay_alu instid0(SALU_CYCLE_1)
	s_or_b32 exec_lo, exec_lo, s12
.LBB371_3101:                           ;   in Loop: Header=BB371_1567 Depth=1
	s_delay_alu instid0(SALU_CYCLE_1) | instskip(SKIP_3) | instid1(VALU_DEP_2)
	s_or_b32 exec_lo, exec_lo, s10
	v_lshrrev_b32_e32 v43, 16, v9
	v_mov_b32_e32 v42, 0
	s_mov_b32 s10, exec_lo
	v_dual_mov_b32 v41, 0 :: v_dual_and_b32 v2, 0xff, v43
	s_delay_alu instid0(VALU_DEP_1)
	v_cmpx_ne_u16_e32 0, v2
	s_cbranch_execz .LBB371_3109
; %bb.3102:                             ;   in Loop: Header=BB371_1567 Depth=1
	v_bfrev_b32_e32 v41, 1
	s_mov_b32 s12, exec_lo
	v_cmpx_ne_u16_e32 0x80, v2
	s_cbranch_execz .LBB371_3108
; %bb.3103:                             ;   in Loop: Header=BB371_1567 Depth=1
	v_bfe_u32 v44, v9, 16, 7
	v_mov_b32_e32 v41, 0x7fc02000
	s_mov_b32 s13, exec_lo
	s_delay_alu instid0(VALU_DEP_2)
	v_cmpx_ne_u32_e32 0x7f, v44
	s_cbranch_execz .LBB371_3107
; %bb.3104:                             ;   in Loop: Header=BB371_1567 Depth=1
	v_and_b32_e32 v2, 7, v43
	v_lshrrev_b32_e32 v41, 3, v44
	v_mov_b32_e32 v12, v3
	s_mov_b32 s15, exec_lo
	s_delay_alu instid0(VALU_DEP_3)
	v_mov_b32_e32 v11, v2
	v_cmpx_gt_u32_e32 8, v44
; %bb.3105:                             ;   in Loop: Header=BB371_1567 Depth=1
	v_clz_i32_u32_e32 v11, v2
	s_delay_alu instid0(VALU_DEP_1) | instskip(NEXT) | instid1(VALU_DEP_1)
	v_min_u32_e32 v41, 32, v11
	v_subrev_nc_u32_e32 v11, 28, v41
	v_sub_nc_u32_e32 v41, 29, v41
	s_delay_alu instid0(VALU_DEP_2) | instskip(NEXT) | instid1(VALU_DEP_1)
	v_lshlrev_b64 v[11:12], v11, v[2:3]
	v_and_b32_e32 v11, 7, v11
; %bb.3106:                             ;   in Loop: Header=BB371_1567 Depth=1
	s_or_b32 exec_lo, exec_lo, s15
	v_lshlrev_b32_e32 v2, 8, v43
	v_lshl_add_u32 v12, v41, 10, 0x2000
	s_delay_alu instid0(VALU_DEP_1) | instskip(NEXT) | instid1(VALU_DEP_1)
	v_and_or_b32 v2, 0x8000, v2, v12
	v_lshl_or_b32 v2, v11, 7, v2
	s_delay_alu instid0(VALU_DEP_1)
	v_cvt_f32_f16_e32 v41, v2
.LBB371_3107:                           ;   in Loop: Header=BB371_1567 Depth=1
	s_or_b32 exec_lo, exec_lo, s13
.LBB371_3108:                           ;   in Loop: Header=BB371_1567 Depth=1
	s_delay_alu instid0(SALU_CYCLE_1)
	s_or_b32 exec_lo, exec_lo, s12
.LBB371_3109:                           ;   in Loop: Header=BB371_1567 Depth=1
	s_delay_alu instid0(SALU_CYCLE_1) | instskip(NEXT) | instid1(SALU_CYCLE_1)
	s_or_b32 exec_lo, exec_lo, s10
	s_mov_b32 s10, exec_lo
	v_cmpx_lt_u32_e32 0xffffff, v9
	s_cbranch_execz .LBB371_3117
; %bb.3110:                             ;   in Loop: Header=BB371_1567 Depth=1
	v_lshrrev_b32_e32 v43, 24, v9
	v_bfrev_b32_e32 v42, 1
	s_mov_b32 s12, exec_lo
	s_delay_alu instid0(VALU_DEP_2)
	v_cmpx_ne_u32_e32 0x80, v43
	s_cbranch_execz .LBB371_3116
; %bb.3111:                             ;   in Loop: Header=BB371_1567 Depth=1
	v_and_b32_e32 v44, 0x7f, v43
	v_mov_b32_e32 v42, 0x7fc02000
	s_mov_b32 s13, exec_lo
	s_delay_alu instid0(VALU_DEP_2)
	v_cmpx_ne_u32_e32 0x7f, v44
	s_cbranch_execz .LBB371_3115
; %bb.3112:                             ;   in Loop: Header=BB371_1567 Depth=1
	v_and_b32_e32 v2, 7, v43
	v_lshrrev_b32_e32 v42, 3, v44
	v_mov_b32_e32 v12, v3
	s_mov_b32 s15, exec_lo
	s_delay_alu instid0(VALU_DEP_3)
	v_mov_b32_e32 v11, v2
	v_cmpx_gt_u32_e32 8, v44
; %bb.3113:                             ;   in Loop: Header=BB371_1567 Depth=1
	v_clz_i32_u32_e32 v11, v2
	s_delay_alu instid0(VALU_DEP_1) | instskip(NEXT) | instid1(VALU_DEP_1)
	v_min_u32_e32 v42, 32, v11
	v_subrev_nc_u32_e32 v11, 28, v42
	v_sub_nc_u32_e32 v42, 29, v42
	s_delay_alu instid0(VALU_DEP_2) | instskip(NEXT) | instid1(VALU_DEP_1)
	v_lshlrev_b64 v[11:12], v11, v[2:3]
	v_and_b32_e32 v11, 7, v11
; %bb.3114:                             ;   in Loop: Header=BB371_1567 Depth=1
	s_or_b32 exec_lo, exec_lo, s15
	v_lshlrev_b32_e32 v2, 8, v43
	v_lshl_add_u32 v12, v42, 10, 0x2000
	s_delay_alu instid0(VALU_DEP_1) | instskip(NEXT) | instid1(VALU_DEP_1)
	v_and_or_b32 v2, 0x8000, v2, v12
	v_lshl_or_b32 v2, v11, 7, v2
	s_delay_alu instid0(VALU_DEP_1)
	v_cvt_f32_f16_e32 v42, v2
.LBB371_3115:                           ;   in Loop: Header=BB371_1567 Depth=1
	s_or_b32 exec_lo, exec_lo, s13
.LBB371_3116:                           ;   in Loop: Header=BB371_1567 Depth=1
	s_delay_alu instid0(SALU_CYCLE_1)
	s_or_b32 exec_lo, exec_lo, s12
.LBB371_3117:                           ;   in Loop: Header=BB371_1567 Depth=1
	s_delay_alu instid0(SALU_CYCLE_1) | instskip(SKIP_3) | instid1(VALU_DEP_2)
	s_or_b32 exec_lo, exec_lo, s10
	v_dual_mov_b32 v2, v10 :: v_dual_and_b32 v11, 0xff, v10
	v_dual_mov_b32 v44, 0 :: v_dual_mov_b32 v43, 0
	s_mov_b32 s10, exec_lo
	v_cmpx_ne_u16_e32 0, v11
	s_cbranch_execz .LBB371_3125
; %bb.3118:                             ;   in Loop: Header=BB371_1567 Depth=1
	v_bfrev_b32_e32 v43, 1
	s_mov_b32 s12, exec_lo
	v_cmpx_ne_u16_e32 0x80, v11
	s_cbranch_execz .LBB371_3124
; %bb.3119:                             ;   in Loop: Header=BB371_1567 Depth=1
	v_and_b32_e32 v45, 0x7f, v10
	v_mov_b32_e32 v43, 0x7fc02000
	s_mov_b32 s13, exec_lo
	s_delay_alu instid0(VALU_DEP_2)
	v_cmpx_ne_u32_e32 0x7f, v45
	s_cbranch_execz .LBB371_3123
; %bb.3120:                             ;   in Loop: Header=BB371_1567 Depth=1
	v_dual_mov_b32 v12, v3 :: v_dual_mov_b32 v11, v2
	v_lshrrev_b32_e32 v12, 3, v45
	s_mov_b32 s15, exec_lo
	v_cmpx_gt_u32_e32 8, v45
; %bb.3121:                             ;   in Loop: Header=BB371_1567 Depth=1
	v_and_b32_e32 v11, 7, v10
	s_delay_alu instid0(VALU_DEP_1) | instskip(NEXT) | instid1(VALU_DEP_1)
	v_clz_i32_u32_e32 v11, v11
	v_min_u32_e32 v43, 32, v11
	s_delay_alu instid0(VALU_DEP_1) | instskip(NEXT) | instid1(VALU_DEP_1)
	v_subrev_nc_u32_e32 v11, 28, v43
	v_lshlrev_b64 v[11:12], v11, v[2:3]
	v_sub_nc_u32_e32 v12, 29, v43
; %bb.3122:                             ;   in Loop: Header=BB371_1567 Depth=1
	s_or_b32 exec_lo, exec_lo, s15
	v_lshlrev_b32_e32 v43, 8, v10
	s_delay_alu instid0(VALU_DEP_2) | instskip(NEXT) | instid1(VALU_DEP_4)
	v_lshl_add_u32 v12, v12, 10, 0x2000
	v_lshlrev_b32_e32 v11, 7, v11
	s_delay_alu instid0(VALU_DEP_2) | instskip(NEXT) | instid1(VALU_DEP_1)
	v_and_or_b32 v12, 0x8000, v43, v12
	v_and_or_b32 v11, 0x380, v11, v12
	s_delay_alu instid0(VALU_DEP_1)
	v_cvt_f32_f16_e32 v43, v11
.LBB371_3123:                           ;   in Loop: Header=BB371_1567 Depth=1
	s_or_b32 exec_lo, exec_lo, s13
.LBB371_3124:                           ;   in Loop: Header=BB371_1567 Depth=1
	s_delay_alu instid0(SALU_CYCLE_1)
	s_or_b32 exec_lo, exec_lo, s12
.LBB371_3125:                           ;   in Loop: Header=BB371_1567 Depth=1
	s_delay_alu instid0(SALU_CYCLE_1) | instskip(SKIP_2) | instid1(VALU_DEP_1)
	s_or_b32 exec_lo, exec_lo, s10
	v_lshrrev_b16 v2, 8, v2
	s_mov_b32 s10, exec_lo
	v_cmpx_ne_u16_e32 0, v2
	s_cbranch_execz .LBB371_3133
; %bb.3126:                             ;   in Loop: Header=BB371_1567 Depth=1
	v_bfrev_b32_e32 v44, 1
	s_mov_b32 s12, exec_lo
	v_cmpx_ne_u16_e32 0x80, v2
	s_cbranch_execz .LBB371_3132
; %bb.3127:                             ;   in Loop: Header=BB371_1567 Depth=1
	v_and_b32_e32 v45, 0xffff, v2
	v_mov_b32_e32 v44, 0x7fc02000
	s_mov_b32 s13, exec_lo
	s_delay_alu instid0(VALU_DEP_2) | instskip(NEXT) | instid1(VALU_DEP_1)
	v_and_b32_e32 v46, 0x7f, v45
	v_cmpx_ne_u32_e32 0x7f, v46
	s_cbranch_execz .LBB371_3131
; %bb.3128:                             ;   in Loop: Header=BB371_1567 Depth=1
	v_and_b32_e32 v2, 7, v45
	v_lshrrev_b32_e32 v44, 3, v46
	v_mov_b32_e32 v12, v3
	s_mov_b32 s15, exec_lo
	s_delay_alu instid0(VALU_DEP_3)
	v_mov_b32_e32 v11, v2
	v_cmpx_gt_u32_e32 8, v46
; %bb.3129:                             ;   in Loop: Header=BB371_1567 Depth=1
	v_clz_i32_u32_e32 v11, v2
	s_delay_alu instid0(VALU_DEP_1) | instskip(NEXT) | instid1(VALU_DEP_1)
	v_min_u32_e32 v44, 32, v11
	v_subrev_nc_u32_e32 v11, 28, v44
	v_sub_nc_u32_e32 v44, 29, v44
	s_delay_alu instid0(VALU_DEP_2) | instskip(NEXT) | instid1(VALU_DEP_1)
	v_lshlrev_b64 v[11:12], v11, v[2:3]
	v_and_b32_e32 v11, 7, v11
; %bb.3130:                             ;   in Loop: Header=BB371_1567 Depth=1
	s_or_b32 exec_lo, exec_lo, s15
	v_lshlrev_b32_e32 v2, 8, v45
	v_lshl_add_u32 v12, v44, 10, 0x2000
	s_delay_alu instid0(VALU_DEP_1) | instskip(NEXT) | instid1(VALU_DEP_1)
	v_and_or_b32 v2, 0x8000, v2, v12
	v_lshl_or_b32 v2, v11, 7, v2
	s_delay_alu instid0(VALU_DEP_1)
	v_cvt_f32_f16_e32 v44, v2
.LBB371_3131:                           ;   in Loop: Header=BB371_1567 Depth=1
	s_or_b32 exec_lo, exec_lo, s13
.LBB371_3132:                           ;   in Loop: Header=BB371_1567 Depth=1
	s_delay_alu instid0(SALU_CYCLE_1)
	s_or_b32 exec_lo, exec_lo, s12
.LBB371_3133:                           ;   in Loop: Header=BB371_1567 Depth=1
	s_delay_alu instid0(SALU_CYCLE_1) | instskip(SKIP_3) | instid1(VALU_DEP_2)
	s_or_b32 exec_lo, exec_lo, s10
	v_lshrrev_b32_e32 v46, 16, v10
	v_mov_b32_e32 v11, 0
	s_mov_b32 s10, exec_lo
	v_dual_mov_b32 v45, 0 :: v_dual_and_b32 v2, 0xff, v46
	s_delay_alu instid0(VALU_DEP_1)
	v_cmpx_ne_u16_e32 0, v2
	s_cbranch_execz .LBB371_3141
; %bb.3134:                             ;   in Loop: Header=BB371_1567 Depth=1
	v_bfrev_b32_e32 v11, 1
	s_mov_b32 s12, exec_lo
	v_cmpx_ne_u16_e32 0x80, v2
	s_cbranch_execz .LBB371_3140
; %bb.3135:                             ;   in Loop: Header=BB371_1567 Depth=1
	v_bfe_u32 v56, v10, 16, 7
	v_mov_b32_e32 v11, 0x7fc02000
	s_mov_b32 s13, exec_lo
	s_delay_alu instid0(VALU_DEP_2)
	v_cmpx_ne_u32_e32 0x7f, v56
	s_cbranch_execz .LBB371_3139
; %bb.3136:                             ;   in Loop: Header=BB371_1567 Depth=1
	v_and_b32_e32 v2, 7, v46
	v_lshrrev_b32_e32 v47, 3, v56
	v_mov_b32_e32 v12, v3
	s_mov_b32 s15, exec_lo
	s_delay_alu instid0(VALU_DEP_3)
	v_mov_b32_e32 v11, v2
	v_cmpx_gt_u32_e32 8, v56
; %bb.3137:                             ;   in Loop: Header=BB371_1567 Depth=1
	v_clz_i32_u32_e32 v11, v2
	s_delay_alu instid0(VALU_DEP_1) | instskip(NEXT) | instid1(VALU_DEP_1)
	v_min_u32_e32 v47, 32, v11
	v_subrev_nc_u32_e32 v11, 28, v47
	v_sub_nc_u32_e32 v47, 29, v47
	s_delay_alu instid0(VALU_DEP_2) | instskip(NEXT) | instid1(VALU_DEP_1)
	v_lshlrev_b64 v[11:12], v11, v[2:3]
	v_and_b32_e32 v11, 7, v11
; %bb.3138:                             ;   in Loop: Header=BB371_1567 Depth=1
	s_or_b32 exec_lo, exec_lo, s15
	v_lshlrev_b32_e32 v2, 8, v46
	v_lshl_add_u32 v12, v47, 10, 0x2000
	s_delay_alu instid0(VALU_DEP_1) | instskip(NEXT) | instid1(VALU_DEP_1)
	v_and_or_b32 v2, 0x8000, v2, v12
	v_lshl_or_b32 v2, v11, 7, v2
	s_delay_alu instid0(VALU_DEP_1)
	v_cvt_f32_f16_e32 v11, v2
.LBB371_3139:                           ;   in Loop: Header=BB371_1567 Depth=1
	s_or_b32 exec_lo, exec_lo, s13
.LBB371_3140:                           ;   in Loop: Header=BB371_1567 Depth=1
	s_delay_alu instid0(SALU_CYCLE_1)
	s_or_b32 exec_lo, exec_lo, s12
.LBB371_3141:                           ;   in Loop: Header=BB371_1567 Depth=1
	s_delay_alu instid0(SALU_CYCLE_1) | instskip(NEXT) | instid1(SALU_CYCLE_1)
	s_or_b32 exec_lo, exec_lo, s10
	s_mov_b32 s10, exec_lo
	v_cmpx_lt_u64_e64 s[8:9], v[9:10]
	s_cbranch_execz .LBB371_3149
; %bb.3142:                             ;   in Loop: Header=BB371_1567 Depth=1
	v_lshrrev_b32_e32 v12, 24, v10
	v_bfrev_b32_e32 v45, 1
	s_mov_b32 s12, exec_lo
	s_delay_alu instid0(VALU_DEP_2)
	v_cmpx_ne_u32_e32 0x80, v12
	s_cbranch_execz .LBB371_3148
; %bb.3143:                             ;   in Loop: Header=BB371_1567 Depth=1
	v_and_b32_e32 v46, 0x7f, v12
	v_mov_b32_e32 v45, 0x7fc02000
	s_mov_b32 s13, exec_lo
	s_delay_alu instid0(VALU_DEP_2)
	v_cmpx_ne_u32_e32 0x7f, v46
	s_cbranch_execz .LBB371_3147
; %bb.3144:                             ;   in Loop: Header=BB371_1567 Depth=1
	v_and_b32_e32 v2, 7, v12
	v_lshrrev_b32_e32 v45, 3, v46
	v_mov_b32_e32 v10, v3
	s_mov_b32 s15, exec_lo
	s_delay_alu instid0(VALU_DEP_3)
	v_mov_b32_e32 v9, v2
	v_cmpx_gt_u32_e32 8, v46
; %bb.3145:                             ;   in Loop: Header=BB371_1567 Depth=1
	v_clz_i32_u32_e32 v9, v2
	s_delay_alu instid0(VALU_DEP_1) | instskip(NEXT) | instid1(VALU_DEP_1)
	v_min_u32_e32 v45, 32, v9
	v_subrev_nc_u32_e32 v9, 28, v45
	v_sub_nc_u32_e32 v45, 29, v45
	s_delay_alu instid0(VALU_DEP_2) | instskip(NEXT) | instid1(VALU_DEP_1)
	v_lshlrev_b64 v[9:10], v9, v[2:3]
	v_and_b32_e32 v9, 7, v9
; %bb.3146:                             ;   in Loop: Header=BB371_1567 Depth=1
	s_or_b32 exec_lo, exec_lo, s15
	v_lshlrev_b32_e32 v2, 8, v12
	v_lshl_add_u32 v10, v45, 10, 0x2000
	s_delay_alu instid0(VALU_DEP_1) | instskip(NEXT) | instid1(VALU_DEP_1)
	v_and_or_b32 v2, 0x8000, v2, v10
	v_lshl_or_b32 v2, v9, 7, v2
	s_delay_alu instid0(VALU_DEP_1)
	v_cvt_f32_f16_e32 v45, v2
.LBB371_3147:                           ;   in Loop: Header=BB371_1567 Depth=1
	s_or_b32 exec_lo, exec_lo, s13
.LBB371_3148:                           ;   in Loop: Header=BB371_1567 Depth=1
	s_delay_alu instid0(SALU_CYCLE_1)
	s_or_b32 exec_lo, exec_lo, s12
.LBB371_3149:                           ;   in Loop: Header=BB371_1567 Depth=1
	s_delay_alu instid0(SALU_CYCLE_1)
	s_or_b32 exec_lo, exec_lo, s10
	s_waitcnt vmcnt(0) lgkmcnt(0)
	v_fma_mixlo_f16 v10, v182, v40, 0
	v_fma_mixlo_f16 v2, v182, v42, 0
	;; [unrolled: 1-line block ×5, first 2 shown]
	v_lshlrev_b32_e32 v40, 16, v10
	v_fma_mixlo_f16 v10, v182, v183, 0
	v_fma_mixlo_f16 v183, v182, v44, 0
	;; [unrolled: 1-line block ×3, first 2 shown]
	v_lshlrev_b32_e32 v2, 16, v2
	v_and_b32_e32 v9, 0xffff, v9
	v_and_b32_e32 v11, 0xffff, v10
	v_lshlrev_b32_e32 v182, 16, v183
	v_and_b32_e32 v183, 0xffff, v41
	v_lshlrev_b32_e32 v41, 16, v42
	v_and_b32_e32 v42, 0xffff, v12
	v_or_b32_e32 v10, v2, v9
	v_or_b32_e32 v11, v40, v11
	;; [unrolled: 1-line block ×3, first 2 shown]
	s_delay_alu instid0(VALU_DEP_4)
	v_or_b32_e32 v9, v41, v42
	s_and_saveexec_b32 s0, vcc_lo
	s_cbranch_execz .LBB371_1566
; %bb.3150:                             ;   in Loop: Header=BB371_1567 Depth=1
	v_cmp_lt_i32_e32 vcc_lo, v17, v37
	v_lshrrev_b32_e32 v182, 16, v11
	v_lshrrev_b32_e32 v183, 16, v10
	;; [unrolled: 1-line block ×3, first 2 shown]
	v_cndmask_b32_e32 v11, 0, v11, vcc_lo
	v_cmp_lt_i32_e32 vcc_lo, v117, v87
	v_cndmask_b32_e32 v117, 0, v182, vcc_lo
	v_cmp_lt_i32_e32 vcc_lo, v116, v87
	v_lshrrev_b32_e32 v182, 16, v2
	v_cndmask_b32_e32 v116, 0, v183, vcc_lo
	v_cmp_lt_i32_e32 vcc_lo, v115, v37
	v_cndmask_b32_e32 v10, 0, v10, vcc_lo
	v_cmp_lt_i32_e32 vcc_lo, v114, v87
	v_perm_b32 v11, v117, v11, 0x5040100
	s_delay_alu instid0(VALU_DEP_3)
	v_perm_b32 v10, v116, v10, 0x5040100
	v_cndmask_b32_e32 v114, 0, v182, vcc_lo
	v_cmp_lt_i32_e32 vcc_lo, v113, v37
	v_cndmask_b32_e32 v2, 0, v2, vcc_lo
	v_cmp_lt_i32_e32 vcc_lo, v112, v87
	;; [unrolled: 2-line block ×3, first 2 shown]
	s_delay_alu instid0(VALU_DEP_4) | instskip(SKIP_1) | instid1(VALU_DEP_1)
	v_perm_b32 v2, v114, v2, 0x5040100
	v_cndmask_b32_e32 v12, 0, v12, vcc_lo
	v_perm_b32 v9, v9, v12, 0x5040100
	s_branch .LBB371_1566
.LBB371_3151:
	s_or_b32 exec_lo, exec_lo, s5
	v_dual_mov_b32 v0, s6 :: v_dual_mov_b32 v1, s7
.LBB371_3152:
	s_or_b32 exec_lo, exec_lo, s3
	s_delay_alu instid0(VALU_DEP_1)
	v_lshlrev_b64 v[0:1], 2, v[0:1]
	s_getpc_b64 s[6:7]
	s_add_u32 s6, s6, llvm.amdgcn.dynlds.offset.table@rel32@lo+4
	s_addc_u32 s7, s7, llvm.amdgcn.dynlds.offset.table@rel32@hi+12
	s_waitcnt lgkmcnt(0)
	s_waitcnt_vscnt null, 0x0
	s_barrier
	buffer_gl0_inv
	ds_bpermute_b32 v2, v19, v70
	v_add_co_u32 v0, vcc_lo, v0, s6
	v_add_co_ci_u32_e32 v1, vcc_lo, s7, v1, vcc_lo
	ds_bpermute_b32 v14, v19, v49
	ds_bpermute_b32 v3, v19, v69
	;; [unrolled: 1-line block ×3, first 2 shown]
	global_load_b32 v27, v[0:1], off
	ds_bpermute_b32 v1, v19, v71
	ds_bpermute_b32 v0, v19, v68
	;; [unrolled: 1-line block ×20, first 2 shown]
	s_waitcnt lgkmcnt(19)
	v_dual_add_f32 v1, v71, v1 :: v_dual_add_f32 v2, v70, v2
	v_add_f32_e32 v39, v49, v14
	s_waitcnt lgkmcnt(18)
	v_dual_add_f32 v0, v68, v0 :: v_dual_and_b32 v35, 0x3c3, v59
	v_dual_add_f32 v3, v69, v3 :: v_dual_add_f32 v4, v67, v4
	ds_bpermute_b32 v14, v18, v2
	v_cmp_eq_u32_e32 vcc_lo, 64, v35
	s_waitcnt lgkmcnt(17)
	v_dual_add_f32 v5, v66, v5 :: v_dual_add_f32 v6, v65, v6
	s_waitcnt lgkmcnt(15)
	v_dual_add_f32 v7, v64, v7 :: v_dual_add_f32 v8, v55, v8
	;; [unrolled: 2-line block ×6, first 2 shown]
	v_dual_add_f32 v32, v32, v16 :: v_dual_add_f32 v31, v31, v17
	s_waitcnt lgkmcnt(2)
	v_dual_add_f32 v29, v29, v23 :: v_dual_add_f32 v34, v24, v37
	v_add_f32_e32 v25, v25, v36
	s_waitcnt lgkmcnt(1)
	v_add_f32_e32 v36, v21, v19
	s_waitcnt lgkmcnt(0)
	v_add_f32_e32 v22, v2, v14
	ds_bpermute_b32 v12, v18, v0
	ds_bpermute_b32 v13, v18, v1
	;; [unrolled: 1-line block ×23, first 2 shown]
	v_lshrrev_b32_e32 v26, 2, v62
	s_waitcnt lgkmcnt(21)
	v_dual_add_f32 v24, v0, v12 :: v_dual_add_f32 v23, v1, v13
	s_waitcnt lgkmcnt(18)
	v_dual_add_f32 v21, v3, v15 :: v_dual_add_f32 v18, v5, v17
	;; [unrolled: 2-line block ×3, first 2 shown]
	v_dual_add_f32 v17, v6, v37 :: v_dual_add_f32 v16, v7, v48
	s_waitcnt lgkmcnt(12)
	v_dual_add_f32 v15, v8, v49 :: v_dual_add_f32 v12, v11, v52
	s_waitcnt lgkmcnt(8)
	v_dual_add_f32 v13, v10, v51 :: v_dual_add_f32 v8, v33, v64
	v_dual_add_f32 v11, v35, v53 :: v_dual_add_f32 v10, v38, v54
	s_waitcnt lgkmcnt(4)
	v_dual_add_f32 v9, v39, v55 :: v_dual_add_f32 v4, v29, v68
	;; [unrolled: 3-line block ×3, first 2 shown]
	v_add_f32_e32 v3, v28, v69
	s_waitcnt lgkmcnt(0)
	v_dual_add_f32 v1, v34, v71 :: v_dual_add_f32 v0, v36, v80
	s_waitcnt vmcnt(0)
	v_mad_u32_u24 v25, 0x300, v60, v27
	v_lshlrev_b32_e32 v27, 2, v26
	s_and_saveexec_b32 s0, vcc_lo
	s_cbranch_execz .LBB371_3154
; %bb.3153:
	s_delay_alu instid0(VALU_DEP_1)
	v_add3_u32 v28, v25, v27, 0xfffffa00
	ds_store_2addr_b32 v28, v24, v23 offset1:8
	ds_store_2addr_b32 v28, v22, v21 offset0:16 offset1:24
	ds_store_2addr_b32 v28, v19, v18 offset0:32 offset1:40
	;; [unrolled: 1-line block ×11, first 2 shown]
.LBB371_3154:
	s_or_b32 exec_lo, exec_lo, s0
	v_cmp_eq_u32_e32 vcc_lo, 0, v20
	s_mov_b32 s3, exec_lo
	s_waitcnt lgkmcnt(0)
	s_barrier
	buffer_gl0_inv
	v_cmpx_gt_u32_e32 64, v59
	s_cbranch_execz .LBB371_3181
; %bb.3155:
	s_and_saveexec_b32 s0, vcc_lo
	s_cbranch_execnz .LBB371_3213
; %bb.3156:
	s_or_b32 exec_lo, exec_lo, s0
	s_and_saveexec_b32 s0, vcc_lo
	s_cbranch_execnz .LBB371_3214
.LBB371_3157:
	s_or_b32 exec_lo, exec_lo, s0
	s_and_saveexec_b32 s0, vcc_lo
	s_cbranch_execnz .LBB371_3215
.LBB371_3158:
	s_or_b32 exec_lo, exec_lo, s0
	s_and_saveexec_b32 s0, vcc_lo
	s_cbranch_execnz .LBB371_3216
.LBB371_3159:
	s_or_b32 exec_lo, exec_lo, s0
	s_and_saveexec_b32 s0, vcc_lo
	s_cbranch_execnz .LBB371_3217
.LBB371_3160:
	s_or_b32 exec_lo, exec_lo, s0
	s_and_saveexec_b32 s0, vcc_lo
	s_cbranch_execnz .LBB371_3218
.LBB371_3161:
	s_or_b32 exec_lo, exec_lo, s0
	s_and_saveexec_b32 s0, vcc_lo
	s_cbranch_execnz .LBB371_3219
.LBB371_3162:
	s_or_b32 exec_lo, exec_lo, s0
	s_and_saveexec_b32 s0, vcc_lo
	s_cbranch_execnz .LBB371_3220
.LBB371_3163:
	s_or_b32 exec_lo, exec_lo, s0
	s_and_saveexec_b32 s0, vcc_lo
	s_cbranch_execnz .LBB371_3221
.LBB371_3164:
	s_or_b32 exec_lo, exec_lo, s0
	s_and_saveexec_b32 s0, vcc_lo
	s_cbranch_execnz .LBB371_3222
.LBB371_3165:
	s_or_b32 exec_lo, exec_lo, s0
	s_and_saveexec_b32 s0, vcc_lo
	s_cbranch_execnz .LBB371_3223
.LBB371_3166:
	s_or_b32 exec_lo, exec_lo, s0
	s_and_saveexec_b32 s0, vcc_lo
	s_cbranch_execnz .LBB371_3224
.LBB371_3167:
	s_or_b32 exec_lo, exec_lo, s0
	s_and_saveexec_b32 s0, vcc_lo
	s_cbranch_execnz .LBB371_3225
.LBB371_3168:
	s_or_b32 exec_lo, exec_lo, s0
	s_and_saveexec_b32 s0, vcc_lo
	s_cbranch_execnz .LBB371_3226
.LBB371_3169:
	s_or_b32 exec_lo, exec_lo, s0
	s_and_saveexec_b32 s0, vcc_lo
	s_cbranch_execnz .LBB371_3227
.LBB371_3170:
	s_or_b32 exec_lo, exec_lo, s0
	s_and_saveexec_b32 s0, vcc_lo
	s_cbranch_execnz .LBB371_3228
.LBB371_3171:
	s_or_b32 exec_lo, exec_lo, s0
	s_and_saveexec_b32 s0, vcc_lo
	s_cbranch_execnz .LBB371_3229
.LBB371_3172:
	s_or_b32 exec_lo, exec_lo, s0
	s_and_saveexec_b32 s0, vcc_lo
	s_cbranch_execnz .LBB371_3230
.LBB371_3173:
	s_or_b32 exec_lo, exec_lo, s0
	s_and_saveexec_b32 s0, vcc_lo
	s_cbranch_execnz .LBB371_3231
.LBB371_3174:
	s_or_b32 exec_lo, exec_lo, s0
	s_and_saveexec_b32 s0, vcc_lo
	s_cbranch_execnz .LBB371_3232
.LBB371_3175:
	s_or_b32 exec_lo, exec_lo, s0
	s_and_saveexec_b32 s0, vcc_lo
	s_cbranch_execnz .LBB371_3233
.LBB371_3176:
	s_or_b32 exec_lo, exec_lo, s0
	s_and_saveexec_b32 s0, vcc_lo
	s_cbranch_execnz .LBB371_3234
.LBB371_3177:
	s_or_b32 exec_lo, exec_lo, s0
	s_and_saveexec_b32 s0, vcc_lo
	s_cbranch_execnz .LBB371_3235
.LBB371_3178:
	s_or_b32 exec_lo, exec_lo, s0
	s_and_saveexec_b32 s0, vcc_lo
	s_cbranch_execz .LBB371_3180
.LBB371_3179:
	v_lshl_add_u32 v20, v26, 2, v25
	ds_load_b32 v20, v20 offset:736
	s_waitcnt lgkmcnt(0)
	v_add_f32_e32 v0, v20, v0
.LBB371_3180:
	s_or_b32 exec_lo, exec_lo, s0
.LBB371_3181:
	s_delay_alu instid0(SALU_CYCLE_1)
	s_or_b32 exec_lo, exec_lo, s3
	v_and_b32_e32 v20, 0x3e3, v59
	s_mov_b32 s3, exec_lo
	s_barrier
	buffer_gl0_inv
	v_cmpx_eq_u32_e32 32, v20
	s_cbranch_execz .LBB371_3183
; %bb.3182:
	v_add3_u32 v27, v25, v27, 0xfffffd00
	ds_store_2addr_b32 v27, v24, v23 offset1:8
	ds_store_2addr_b32 v27, v22, v21 offset0:16 offset1:24
	ds_store_2addr_b32 v27, v19, v18 offset0:32 offset1:40
	;; [unrolled: 1-line block ×11, first 2 shown]
.LBB371_3183:
	s_or_b32 exec_lo, exec_lo, s3
	s_delay_alu instid0(SALU_CYCLE_1)
	s_mov_b32 s3, exec_lo
	s_waitcnt lgkmcnt(0)
	s_barrier
	buffer_gl0_inv
	v_cmpx_gt_u32_e32 32, v59
	s_cbranch_execz .LBB371_3210
; %bb.3184:
	v_lshl_add_u32 v25, v26, 2, v25
	s_and_saveexec_b32 s0, vcc_lo
	s_cbranch_execnz .LBB371_3236
; %bb.3185:
	s_or_b32 exec_lo, exec_lo, s0
	s_and_saveexec_b32 s0, vcc_lo
	s_cbranch_execnz .LBB371_3237
.LBB371_3186:
	s_or_b32 exec_lo, exec_lo, s0
	s_and_saveexec_b32 s0, vcc_lo
	s_cbranch_execnz .LBB371_3238
.LBB371_3187:
	s_or_b32 exec_lo, exec_lo, s0
	s_and_saveexec_b32 s0, vcc_lo
	s_cbranch_execnz .LBB371_3239
.LBB371_3188:
	s_or_b32 exec_lo, exec_lo, s0
	s_and_saveexec_b32 s0, vcc_lo
	s_cbranch_execnz .LBB371_3240
.LBB371_3189:
	s_or_b32 exec_lo, exec_lo, s0
	s_and_saveexec_b32 s0, vcc_lo
	s_cbranch_execnz .LBB371_3241
.LBB371_3190:
	s_or_b32 exec_lo, exec_lo, s0
	s_and_saveexec_b32 s0, vcc_lo
	s_cbranch_execnz .LBB371_3242
.LBB371_3191:
	s_or_b32 exec_lo, exec_lo, s0
	s_and_saveexec_b32 s0, vcc_lo
	s_cbranch_execnz .LBB371_3243
.LBB371_3192:
	s_or_b32 exec_lo, exec_lo, s0
	s_and_saveexec_b32 s0, vcc_lo
	s_cbranch_execnz .LBB371_3244
.LBB371_3193:
	s_or_b32 exec_lo, exec_lo, s0
	s_and_saveexec_b32 s0, vcc_lo
	s_cbranch_execnz .LBB371_3245
.LBB371_3194:
	s_or_b32 exec_lo, exec_lo, s0
	s_and_saveexec_b32 s0, vcc_lo
	s_cbranch_execnz .LBB371_3246
.LBB371_3195:
	s_or_b32 exec_lo, exec_lo, s0
	s_and_saveexec_b32 s0, vcc_lo
	s_cbranch_execnz .LBB371_3247
.LBB371_3196:
	s_or_b32 exec_lo, exec_lo, s0
	s_and_saveexec_b32 s0, vcc_lo
	s_cbranch_execnz .LBB371_3248
.LBB371_3197:
	s_or_b32 exec_lo, exec_lo, s0
	s_and_saveexec_b32 s0, vcc_lo
	s_cbranch_execnz .LBB371_3249
.LBB371_3198:
	s_or_b32 exec_lo, exec_lo, s0
	s_and_saveexec_b32 s0, vcc_lo
	s_cbranch_execnz .LBB371_3250
.LBB371_3199:
	s_or_b32 exec_lo, exec_lo, s0
	s_and_saveexec_b32 s0, vcc_lo
	s_cbranch_execnz .LBB371_3251
.LBB371_3200:
	s_or_b32 exec_lo, exec_lo, s0
	s_and_saveexec_b32 s0, vcc_lo
	s_cbranch_execnz .LBB371_3252
.LBB371_3201:
	s_or_b32 exec_lo, exec_lo, s0
	s_and_saveexec_b32 s0, vcc_lo
	s_cbranch_execnz .LBB371_3253
.LBB371_3202:
	s_or_b32 exec_lo, exec_lo, s0
	s_and_saveexec_b32 s0, vcc_lo
	s_cbranch_execnz .LBB371_3254
.LBB371_3203:
	s_or_b32 exec_lo, exec_lo, s0
	s_and_saveexec_b32 s0, vcc_lo
	s_cbranch_execnz .LBB371_3255
.LBB371_3204:
	s_or_b32 exec_lo, exec_lo, s0
	s_and_saveexec_b32 s0, vcc_lo
	s_cbranch_execnz .LBB371_3256
.LBB371_3205:
	s_or_b32 exec_lo, exec_lo, s0
	s_and_saveexec_b32 s0, vcc_lo
	s_cbranch_execnz .LBB371_3257
.LBB371_3206:
	s_or_b32 exec_lo, exec_lo, s0
	s_and_saveexec_b32 s0, vcc_lo
	s_cbranch_execnz .LBB371_3258
.LBB371_3207:
	s_or_b32 exec_lo, exec_lo, s0
	s_and_saveexec_b32 s0, vcc_lo
	s_cbranch_execz .LBB371_3209
.LBB371_3208:
	ds_load_b32 v25, v25 offset:736
	s_waitcnt lgkmcnt(0)
	v_add_f32_e32 v0, v25, v0
.LBB371_3209:
	s_or_b32 exec_lo, exec_lo, s0
.LBB371_3210:
	s_delay_alu instid0(SALU_CYCLE_1)
	s_or_b32 exec_lo, exec_lo, s3
	v_cmp_eq_u32_e32 vcc_lo, 0, v20
	s_barrier
	buffer_gl0_inv
	s_and_b32 exec_lo, exec_lo, vcc_lo
	s_cbranch_execz .LBB371_3212
; %bb.3211:
	s_mul_i32 s0, s2, 0xc0
	s_mul_i32 s2, s4, s1
	;; [unrolled: 1-line block ×3, first 2 shown]
	s_ashr_i32 s3, s2, 31
	s_ashr_i32 s5, s4, 31
	;; [unrolled: 1-line block ×3, first 2 shown]
	s_lshl_b64 s[2:3], s[2:3], 1
	s_lshl_b64 s[4:5], s[4:5], 1
	;; [unrolled: 1-line block ×3, first 2 shown]
	s_add_u32 s2, s4, s2
	s_addc_u32 s3, s5, s3
	s_add_u32 s0, s2, s0
	s_addc_u32 s1, s3, s1
	v_lshrrev_b32_e32 v20, 1, v59
	v_add_co_u32 v25, vcc_lo, s0, v58
	v_add_co_ci_u32_e32 v26, vcc_lo, s1, v57, vcc_lo
	s_delay_alu instid0(VALU_DEP_2) | instskip(NEXT) | instid1(VALU_DEP_2)
	v_add_co_u32 v25, vcc_lo, v25, v20
	v_add_co_ci_u32_e32 v26, vcc_lo, 0, v26, vcc_lo
	;;#ASMSTART
	v_cvt_f16_f32 v20, v24;

	;;#ASMEND
	flat_store_b16 v[25:26], v20
	;;#ASMSTART
	v_cvt_f16_f32 v20, v23;

	;;#ASMEND
	flat_store_b16 v[25:26], v20 offset:16
	;;#ASMSTART
	v_cvt_f16_f32 v20, v22;

	;;#ASMEND
	flat_store_b16 v[25:26], v20 offset:32
	;; [unrolled: 5-line block ×23, first 2 shown]
.LBB371_3212:
	s_or_b32 exec_lo, exec_lo, s11
	s_clause 0x1f
	scratch_load_b32 v191, off, s32
	scratch_load_b32 v190, off, s32 offset:4
	scratch_load_b32 v189, off, s32 offset:8
	;; [unrolled: 1-line block ×31, first 2 shown]
	s_clause 0x1f
	scratch_load_b32 v127, off, s32 offset:128
	scratch_load_b32 v126, off, s32 offset:132
	;; [unrolled: 1-line block ×32, first 2 shown]
	s_clause 0xf
	scratch_load_b32 v63, off, s32 offset:256
	scratch_load_b32 v62, off, s32 offset:260
	;; [unrolled: 1-line block ×16, first 2 shown]
	s_waitcnt vmcnt(0) lgkmcnt(0)
	s_setpc_b64 s[30:31]
.LBB371_3213:
	v_lshl_add_u32 v20, v26, 2, v25
	ds_load_b32 v20, v20
	s_waitcnt lgkmcnt(0)
	v_add_f32_e32 v24, v20, v24
	s_or_b32 exec_lo, exec_lo, s0
	s_and_saveexec_b32 s0, vcc_lo
	s_cbranch_execz .LBB371_3157
.LBB371_3214:
	v_lshl_add_u32 v20, v26, 2, v25
	ds_load_b32 v20, v20 offset:32
	s_waitcnt lgkmcnt(0)
	v_add_f32_e32 v23, v20, v23
	s_or_b32 exec_lo, exec_lo, s0
	s_and_saveexec_b32 s0, vcc_lo
	s_cbranch_execz .LBB371_3158
.LBB371_3215:
	v_lshl_add_u32 v20, v26, 2, v25
	ds_load_b32 v20, v20 offset:64
	s_waitcnt lgkmcnt(0)
	v_add_f32_e32 v22, v20, v22
	s_or_b32 exec_lo, exec_lo, s0
	s_and_saveexec_b32 s0, vcc_lo
	s_cbranch_execz .LBB371_3159
.LBB371_3216:
	v_lshl_add_u32 v20, v26, 2, v25
	ds_load_b32 v20, v20 offset:96
	s_waitcnt lgkmcnt(0)
	v_add_f32_e32 v21, v20, v21
	s_or_b32 exec_lo, exec_lo, s0
	s_and_saveexec_b32 s0, vcc_lo
	s_cbranch_execz .LBB371_3160
.LBB371_3217:
	v_lshl_add_u32 v20, v26, 2, v25
	ds_load_b32 v20, v20 offset:128
	s_waitcnt lgkmcnt(0)
	v_add_f32_e32 v19, v20, v19
	s_or_b32 exec_lo, exec_lo, s0
	s_and_saveexec_b32 s0, vcc_lo
	s_cbranch_execz .LBB371_3161
.LBB371_3218:
	v_lshl_add_u32 v20, v26, 2, v25
	ds_load_b32 v20, v20 offset:160
	s_waitcnt lgkmcnt(0)
	v_add_f32_e32 v18, v20, v18
	s_or_b32 exec_lo, exec_lo, s0
	s_and_saveexec_b32 s0, vcc_lo
	s_cbranch_execz .LBB371_3162
.LBB371_3219:
	v_lshl_add_u32 v20, v26, 2, v25
	ds_load_b32 v20, v20 offset:192
	s_waitcnt lgkmcnt(0)
	v_add_f32_e32 v17, v20, v17
	s_or_b32 exec_lo, exec_lo, s0
	s_and_saveexec_b32 s0, vcc_lo
	s_cbranch_execz .LBB371_3163
.LBB371_3220:
	v_lshl_add_u32 v20, v26, 2, v25
	ds_load_b32 v20, v20 offset:224
	s_waitcnt lgkmcnt(0)
	v_add_f32_e32 v16, v20, v16
	s_or_b32 exec_lo, exec_lo, s0
	s_and_saveexec_b32 s0, vcc_lo
	s_cbranch_execz .LBB371_3164
.LBB371_3221:
	v_lshl_add_u32 v20, v26, 2, v25
	ds_load_b32 v20, v20 offset:256
	s_waitcnt lgkmcnt(0)
	v_add_f32_e32 v15, v20, v15
	s_or_b32 exec_lo, exec_lo, s0
	s_and_saveexec_b32 s0, vcc_lo
	s_cbranch_execz .LBB371_3165
.LBB371_3222:
	v_lshl_add_u32 v20, v26, 2, v25
	ds_load_b32 v20, v20 offset:288
	s_waitcnt lgkmcnt(0)
	v_add_f32_e32 v14, v20, v14
	s_or_b32 exec_lo, exec_lo, s0
	s_and_saveexec_b32 s0, vcc_lo
	s_cbranch_execz .LBB371_3166
.LBB371_3223:
	v_lshl_add_u32 v20, v26, 2, v25
	ds_load_b32 v20, v20 offset:320
	s_waitcnt lgkmcnt(0)
	v_add_f32_e32 v13, v20, v13
	s_or_b32 exec_lo, exec_lo, s0
	s_and_saveexec_b32 s0, vcc_lo
	s_cbranch_execz .LBB371_3167
.LBB371_3224:
	v_lshl_add_u32 v20, v26, 2, v25
	ds_load_b32 v20, v20 offset:352
	s_waitcnt lgkmcnt(0)
	v_add_f32_e32 v12, v20, v12
	s_or_b32 exec_lo, exec_lo, s0
	s_and_saveexec_b32 s0, vcc_lo
	s_cbranch_execz .LBB371_3168
.LBB371_3225:
	v_lshl_add_u32 v20, v26, 2, v25
	ds_load_b32 v20, v20 offset:384
	s_waitcnt lgkmcnt(0)
	v_add_f32_e32 v11, v20, v11
	s_or_b32 exec_lo, exec_lo, s0
	s_and_saveexec_b32 s0, vcc_lo
	s_cbranch_execz .LBB371_3169
.LBB371_3226:
	v_lshl_add_u32 v20, v26, 2, v25
	ds_load_b32 v20, v20 offset:416
	s_waitcnt lgkmcnt(0)
	v_add_f32_e32 v10, v20, v10
	s_or_b32 exec_lo, exec_lo, s0
	s_and_saveexec_b32 s0, vcc_lo
	s_cbranch_execz .LBB371_3170
.LBB371_3227:
	v_lshl_add_u32 v20, v26, 2, v25
	ds_load_b32 v20, v20 offset:448
	s_waitcnt lgkmcnt(0)
	v_add_f32_e32 v9, v20, v9
	s_or_b32 exec_lo, exec_lo, s0
	s_and_saveexec_b32 s0, vcc_lo
	s_cbranch_execz .LBB371_3171
.LBB371_3228:
	v_lshl_add_u32 v20, v26, 2, v25
	ds_load_b32 v20, v20 offset:480
	s_waitcnt lgkmcnt(0)
	v_add_f32_e32 v8, v20, v8
	s_or_b32 exec_lo, exec_lo, s0
	s_and_saveexec_b32 s0, vcc_lo
	s_cbranch_execz .LBB371_3172
.LBB371_3229:
	v_lshl_add_u32 v20, v26, 2, v25
	ds_load_b32 v20, v20 offset:512
	s_waitcnt lgkmcnt(0)
	v_add_f32_e32 v7, v20, v7
	s_or_b32 exec_lo, exec_lo, s0
	s_and_saveexec_b32 s0, vcc_lo
	s_cbranch_execz .LBB371_3173
.LBB371_3230:
	v_lshl_add_u32 v20, v26, 2, v25
	ds_load_b32 v20, v20 offset:544
	s_waitcnt lgkmcnt(0)
	v_add_f32_e32 v6, v20, v6
	s_or_b32 exec_lo, exec_lo, s0
	s_and_saveexec_b32 s0, vcc_lo
	s_cbranch_execz .LBB371_3174
.LBB371_3231:
	v_lshl_add_u32 v20, v26, 2, v25
	ds_load_b32 v20, v20 offset:576
	s_waitcnt lgkmcnt(0)
	v_add_f32_e32 v5, v20, v5
	s_or_b32 exec_lo, exec_lo, s0
	s_and_saveexec_b32 s0, vcc_lo
	s_cbranch_execz .LBB371_3175
.LBB371_3232:
	v_lshl_add_u32 v20, v26, 2, v25
	ds_load_b32 v20, v20 offset:608
	s_waitcnt lgkmcnt(0)
	v_add_f32_e32 v4, v20, v4
	s_or_b32 exec_lo, exec_lo, s0
	s_and_saveexec_b32 s0, vcc_lo
	s_cbranch_execz .LBB371_3176
.LBB371_3233:
	v_lshl_add_u32 v20, v26, 2, v25
	ds_load_b32 v20, v20 offset:640
	s_waitcnt lgkmcnt(0)
	v_add_f32_e32 v3, v20, v3
	s_or_b32 exec_lo, exec_lo, s0
	s_and_saveexec_b32 s0, vcc_lo
	s_cbranch_execz .LBB371_3177
.LBB371_3234:
	v_lshl_add_u32 v20, v26, 2, v25
	ds_load_b32 v20, v20 offset:672
	s_waitcnt lgkmcnt(0)
	v_add_f32_e32 v2, v20, v2
	s_or_b32 exec_lo, exec_lo, s0
	s_and_saveexec_b32 s0, vcc_lo
	s_cbranch_execz .LBB371_3178
.LBB371_3235:
	v_lshl_add_u32 v20, v26, 2, v25
	ds_load_b32 v20, v20 offset:704
	s_waitcnt lgkmcnt(0)
	v_add_f32_e32 v1, v20, v1
	s_or_b32 exec_lo, exec_lo, s0
	s_and_saveexec_b32 s0, vcc_lo
	s_cbranch_execnz .LBB371_3179
	s_branch .LBB371_3180
.LBB371_3236:
	ds_load_b32 v26, v25
	s_waitcnt lgkmcnt(0)
	v_add_f32_e32 v24, v26, v24
	s_or_b32 exec_lo, exec_lo, s0
	s_and_saveexec_b32 s0, vcc_lo
	s_cbranch_execz .LBB371_3186
.LBB371_3237:
	ds_load_b32 v26, v25 offset:32
	s_waitcnt lgkmcnt(0)
	v_add_f32_e32 v23, v26, v23
	s_or_b32 exec_lo, exec_lo, s0
	s_and_saveexec_b32 s0, vcc_lo
	s_cbranch_execz .LBB371_3187
.LBB371_3238:
	ds_load_b32 v26, v25 offset:64
	s_waitcnt lgkmcnt(0)
	v_add_f32_e32 v22, v26, v22
	s_or_b32 exec_lo, exec_lo, s0
	s_and_saveexec_b32 s0, vcc_lo
	s_cbranch_execz .LBB371_3188
.LBB371_3239:
	ds_load_b32 v26, v25 offset:96
	s_waitcnt lgkmcnt(0)
	v_add_f32_e32 v21, v26, v21
	s_or_b32 exec_lo, exec_lo, s0
	s_and_saveexec_b32 s0, vcc_lo
	s_cbranch_execz .LBB371_3189
.LBB371_3240:
	ds_load_b32 v26, v25 offset:128
	s_waitcnt lgkmcnt(0)
	v_add_f32_e32 v19, v26, v19
	s_or_b32 exec_lo, exec_lo, s0
	s_and_saveexec_b32 s0, vcc_lo
	s_cbranch_execz .LBB371_3190
.LBB371_3241:
	ds_load_b32 v26, v25 offset:160
	s_waitcnt lgkmcnt(0)
	v_add_f32_e32 v18, v26, v18
	s_or_b32 exec_lo, exec_lo, s0
	s_and_saveexec_b32 s0, vcc_lo
	s_cbranch_execz .LBB371_3191
.LBB371_3242:
	ds_load_b32 v26, v25 offset:192
	s_waitcnt lgkmcnt(0)
	v_add_f32_e32 v17, v26, v17
	s_or_b32 exec_lo, exec_lo, s0
	s_and_saveexec_b32 s0, vcc_lo
	s_cbranch_execz .LBB371_3192
.LBB371_3243:
	ds_load_b32 v26, v25 offset:224
	s_waitcnt lgkmcnt(0)
	v_add_f32_e32 v16, v26, v16
	s_or_b32 exec_lo, exec_lo, s0
	s_and_saveexec_b32 s0, vcc_lo
	s_cbranch_execz .LBB371_3193
.LBB371_3244:
	ds_load_b32 v26, v25 offset:256
	s_waitcnt lgkmcnt(0)
	v_add_f32_e32 v15, v26, v15
	s_or_b32 exec_lo, exec_lo, s0
	s_and_saveexec_b32 s0, vcc_lo
	s_cbranch_execz .LBB371_3194
.LBB371_3245:
	ds_load_b32 v26, v25 offset:288
	s_waitcnt lgkmcnt(0)
	v_add_f32_e32 v14, v26, v14
	s_or_b32 exec_lo, exec_lo, s0
	s_and_saveexec_b32 s0, vcc_lo
	s_cbranch_execz .LBB371_3195
.LBB371_3246:
	ds_load_b32 v26, v25 offset:320
	s_waitcnt lgkmcnt(0)
	v_add_f32_e32 v13, v26, v13
	s_or_b32 exec_lo, exec_lo, s0
	s_and_saveexec_b32 s0, vcc_lo
	s_cbranch_execz .LBB371_3196
.LBB371_3247:
	ds_load_b32 v26, v25 offset:352
	s_waitcnt lgkmcnt(0)
	v_add_f32_e32 v12, v26, v12
	s_or_b32 exec_lo, exec_lo, s0
	s_and_saveexec_b32 s0, vcc_lo
	s_cbranch_execz .LBB371_3197
.LBB371_3248:
	ds_load_b32 v26, v25 offset:384
	s_waitcnt lgkmcnt(0)
	v_add_f32_e32 v11, v26, v11
	s_or_b32 exec_lo, exec_lo, s0
	s_and_saveexec_b32 s0, vcc_lo
	s_cbranch_execz .LBB371_3198
.LBB371_3249:
	ds_load_b32 v26, v25 offset:416
	s_waitcnt lgkmcnt(0)
	v_add_f32_e32 v10, v26, v10
	s_or_b32 exec_lo, exec_lo, s0
	s_and_saveexec_b32 s0, vcc_lo
	s_cbranch_execz .LBB371_3199
.LBB371_3250:
	ds_load_b32 v26, v25 offset:448
	s_waitcnt lgkmcnt(0)
	v_add_f32_e32 v9, v26, v9
	s_or_b32 exec_lo, exec_lo, s0
	s_and_saveexec_b32 s0, vcc_lo
	s_cbranch_execz .LBB371_3200
.LBB371_3251:
	ds_load_b32 v26, v25 offset:480
	s_waitcnt lgkmcnt(0)
	v_add_f32_e32 v8, v26, v8
	s_or_b32 exec_lo, exec_lo, s0
	s_and_saveexec_b32 s0, vcc_lo
	s_cbranch_execz .LBB371_3201
.LBB371_3252:
	ds_load_b32 v26, v25 offset:512
	s_waitcnt lgkmcnt(0)
	v_add_f32_e32 v7, v26, v7
	s_or_b32 exec_lo, exec_lo, s0
	s_and_saveexec_b32 s0, vcc_lo
	s_cbranch_execz .LBB371_3202
.LBB371_3253:
	ds_load_b32 v26, v25 offset:544
	s_waitcnt lgkmcnt(0)
	v_add_f32_e32 v6, v26, v6
	s_or_b32 exec_lo, exec_lo, s0
	s_and_saveexec_b32 s0, vcc_lo
	s_cbranch_execz .LBB371_3203
.LBB371_3254:
	ds_load_b32 v26, v25 offset:576
	s_waitcnt lgkmcnt(0)
	v_add_f32_e32 v5, v26, v5
	s_or_b32 exec_lo, exec_lo, s0
	s_and_saveexec_b32 s0, vcc_lo
	s_cbranch_execz .LBB371_3204
.LBB371_3255:
	ds_load_b32 v26, v25 offset:608
	s_waitcnt lgkmcnt(0)
	v_add_f32_e32 v4, v26, v4
	s_or_b32 exec_lo, exec_lo, s0
	s_and_saveexec_b32 s0, vcc_lo
	s_cbranch_execz .LBB371_3205
.LBB371_3256:
	ds_load_b32 v26, v25 offset:640
	s_waitcnt lgkmcnt(0)
	v_add_f32_e32 v3, v26, v3
	s_or_b32 exec_lo, exec_lo, s0
	s_and_saveexec_b32 s0, vcc_lo
	s_cbranch_execz .LBB371_3206
.LBB371_3257:
	ds_load_b32 v26, v25 offset:672
	s_waitcnt lgkmcnt(0)
	v_add_f32_e32 v2, v26, v2
	s_or_b32 exec_lo, exec_lo, s0
	s_and_saveexec_b32 s0, vcc_lo
	s_cbranch_execz .LBB371_3207
.LBB371_3258:
	ds_load_b32 v26, v25 offset:704
	s_waitcnt lgkmcnt(0)
	v_add_f32_e32 v1, v26, v1
	s_or_b32 exec_lo, exec_lo, s0
	s_and_saveexec_b32 s0, vcc_lo
	s_cbranch_execnz .LBB371_3208
	s_branch .LBB371_3209
.Lfunc_end371:
	.size	_ZN4vllm22paged_attention_kernelIthLi192ELi32ELi128ELNS_18Fp8KVCacheDataTypeE1ELb0ELi512EEEvPfS2_PT_PKS3_PKT0_S9_ifPKiSB_iPKfiiiSD_SD_iiiii, .Lfunc_end371-_ZN4vllm22paged_attention_kernelIthLi192ELi32ELi128ELNS_18Fp8KVCacheDataTypeE1ELb0ELi512EEEvPfS2_PT_PKS3_PKT0_S9_ifPKiSB_iPKfiiiSD_SD_iiiii
                                        ; -- End function
	.section	.AMDGPU.csdata,"",@progbits
; Function info:
; codeLenInByte = 124404
; NumSgprs: 35
; NumVgprs: 192
; ScratchSize: 596
; MemoryBound: 0
	.section	.text._ZN4vllm25paged_attention_v2_kernelIthLi192ELi32ELi128ELNS_18Fp8KVCacheDataTypeE1ELb0ELi512EEEvPfS2_PT_PKS3_PKT0_S9_ifPKiSB_iPKfiiiSD_SD_iiiii,"axG",@progbits,_ZN4vllm25paged_attention_v2_kernelIthLi192ELi32ELi128ELNS_18Fp8KVCacheDataTypeE1ELb0ELi512EEEvPfS2_PT_PKS3_PKT0_S9_ifPKiSB_iPKfiiiSD_SD_iiiii,comdat
	.protected	_ZN4vllm25paged_attention_v2_kernelIthLi192ELi32ELi128ELNS_18Fp8KVCacheDataTypeE1ELb0ELi512EEEvPfS2_PT_PKS3_PKT0_S9_ifPKiSB_iPKfiiiSD_SD_iiiii ; -- Begin function _ZN4vllm25paged_attention_v2_kernelIthLi192ELi32ELi128ELNS_18Fp8KVCacheDataTypeE1ELb0ELi512EEEvPfS2_PT_PKS3_PKT0_S9_ifPKiSB_iPKfiiiSD_SD_iiiii
	.globl	_ZN4vllm25paged_attention_v2_kernelIthLi192ELi32ELi128ELNS_18Fp8KVCacheDataTypeE1ELb0ELi512EEEvPfS2_PT_PKS3_PKT0_S9_ifPKiSB_iPKfiiiSD_SD_iiiii
	.p2align	8
	.type	_ZN4vllm25paged_attention_v2_kernelIthLi192ELi32ELi128ELNS_18Fp8KVCacheDataTypeE1ELb0ELi512EEEvPfS2_PT_PKS3_PKT0_S9_ifPKiSB_iPKfiiiSD_SD_iiiii,@function
_ZN4vllm25paged_attention_v2_kernelIthLi192ELi32ELi128ELNS_18Fp8KVCacheDataTypeE1ELb0ELi512EEEvPfS2_PT_PKS3_PKT0_S9_ifPKiSB_iPKfiiiSD_SD_iiiii: ; @_ZN4vllm25paged_attention_v2_kernelIthLi192ELi32ELi128ELNS_18Fp8KVCacheDataTypeE1ELb0ELi512EEEvPfS2_PT_PKS3_PKT0_S9_ifPKiSB_iPKfiiiSD_SD_iiiii
; %bb.0:
	s_clause 0x5
	s_load_b256 s[24:31], s[0:1], 0x0
	s_load_b256 s[16:23], s[0:1], 0x20
	s_load_b64 s[2:3], s[0:1], 0x40
	s_load_b64 s[4:5], s[0:1], 0x50
	s_load_b32 s6, s[0:1], 0x48
	s_load_b256 s[36:43], s[0:1], 0x58
	v_mov_b32_e32 v31, v0
	s_add_u32 s8, s0, 0x90
	s_mov_b32 s12, s13
	s_addc_u32 s9, s1, 0
	s_mov_b32 s13, s14
	s_mov_b32 s14, s15
	s_movk_i32 s15, 0x61
	s_mov_b32 s32, 0
	s_getpc_b64 s[0:1]
	s_add_u32 s0, s0, _ZN4vllm22paged_attention_kernelIthLi192ELi32ELi128ELNS_18Fp8KVCacheDataTypeE1ELb0ELi512EEEvPfS2_PT_PKS3_PKT0_S9_ifPKiSB_iPKfiiiSD_SD_iiiii@rel32@lo+4
	s_addc_u32 s1, s1, _ZN4vllm22paged_attention_kernelIthLi192ELi32ELi128ELNS_18Fp8KVCacheDataTypeE1ELb0ELi512EEEvPfS2_PT_PKS3_PKT0_S9_ifPKiSB_iPKfiiiSD_SD_iiiii@rel32@hi+12
	s_waitcnt lgkmcnt(0)
	v_dual_mov_b32 v0, s24 :: v_dual_mov_b32 v1, s25
	v_dual_mov_b32 v2, s26 :: v_dual_mov_b32 v3, s27
	;; [unrolled: 1-line block ×14, first 2 shown]
	s_swappc_b64 s[30:31], s[0:1]
	s_endpgm
	.section	.rodata,"a",@progbits
	.p2align	6, 0x0
	.amdhsa_kernel _ZN4vllm25paged_attention_v2_kernelIthLi192ELi32ELi128ELNS_18Fp8KVCacheDataTypeE1ELb0ELi512EEEvPfS2_PT_PKS3_PKT0_S9_ifPKiSB_iPKfiiiSD_SD_iiiii
		.amdhsa_group_segment_fixed_size 416
		.amdhsa_private_segment_fixed_size 596
		.amdhsa_kernarg_size 400
		.amdhsa_user_sgpr_count 13
		.amdhsa_user_sgpr_dispatch_ptr 0
		.amdhsa_user_sgpr_queue_ptr 0
		.amdhsa_user_sgpr_kernarg_segment_ptr 1
		.amdhsa_user_sgpr_dispatch_id 0
		.amdhsa_user_sgpr_private_segment_size 0
		.amdhsa_wavefront_size32 1
		.amdhsa_uses_dynamic_stack 0
		.amdhsa_enable_private_segment 1
		.amdhsa_system_sgpr_workgroup_id_x 1
		.amdhsa_system_sgpr_workgroup_id_y 1
		.amdhsa_system_sgpr_workgroup_id_z 1
		.amdhsa_system_sgpr_workgroup_info 0
		.amdhsa_system_vgpr_workitem_id 0
		.amdhsa_next_free_vgpr 192
		.amdhsa_next_free_sgpr 44
		.amdhsa_reserve_vcc 1
		.amdhsa_float_round_mode_32 0
		.amdhsa_float_round_mode_16_64 0
		.amdhsa_float_denorm_mode_32 3
		.amdhsa_float_denorm_mode_16_64 3
		.amdhsa_dx10_clamp 1
		.amdhsa_ieee_mode 1
		.amdhsa_fp16_overflow 0
		.amdhsa_workgroup_processor_mode 1
		.amdhsa_memory_ordered 1
		.amdhsa_forward_progress 0
		.amdhsa_shared_vgpr_count 0
		.amdhsa_exception_fp_ieee_invalid_op 0
		.amdhsa_exception_fp_denorm_src 0
		.amdhsa_exception_fp_ieee_div_zero 0
		.amdhsa_exception_fp_ieee_overflow 0
		.amdhsa_exception_fp_ieee_underflow 0
		.amdhsa_exception_fp_ieee_inexact 0
		.amdhsa_exception_int_div_zero 0
	.end_amdhsa_kernel
	.section	.text._ZN4vllm25paged_attention_v2_kernelIthLi192ELi32ELi128ELNS_18Fp8KVCacheDataTypeE1ELb0ELi512EEEvPfS2_PT_PKS3_PKT0_S9_ifPKiSB_iPKfiiiSD_SD_iiiii,"axG",@progbits,_ZN4vllm25paged_attention_v2_kernelIthLi192ELi32ELi128ELNS_18Fp8KVCacheDataTypeE1ELb0ELi512EEEvPfS2_PT_PKS3_PKT0_S9_ifPKiSB_iPKfiiiSD_SD_iiiii,comdat
.Lfunc_end372:
	.size	_ZN4vllm25paged_attention_v2_kernelIthLi192ELi32ELi128ELNS_18Fp8KVCacheDataTypeE1ELb0ELi512EEEvPfS2_PT_PKS3_PKT0_S9_ifPKiSB_iPKfiiiSD_SD_iiiii, .Lfunc_end372-_ZN4vllm25paged_attention_v2_kernelIthLi192ELi32ELi128ELNS_18Fp8KVCacheDataTypeE1ELb0ELi512EEEvPfS2_PT_PKS3_PKT0_S9_ifPKiSB_iPKfiiiSD_SD_iiiii
                                        ; -- End function
	.section	.AMDGPU.csdata,"",@progbits
; Kernel info:
; codeLenInByte = 232
; NumSgprs: 46
; NumVgprs: 192
; ScratchSize: 596
; MemoryBound: 0
; FloatMode: 240
; IeeeMode: 1
; LDSByteSize: 416 bytes/workgroup (compile time only)
; SGPRBlocks: 5
; VGPRBlocks: 23
; NumSGPRsForWavesPerEU: 46
; NumVGPRsForWavesPerEU: 192
; Occupancy: 8
; WaveLimiterHint : 1
; COMPUTE_PGM_RSRC2:SCRATCH_EN: 1
; COMPUTE_PGM_RSRC2:USER_SGPR: 13
; COMPUTE_PGM_RSRC2:TRAP_HANDLER: 0
; COMPUTE_PGM_RSRC2:TGID_X_EN: 1
; COMPUTE_PGM_RSRC2:TGID_Y_EN: 1
; COMPUTE_PGM_RSRC2:TGID_Z_EN: 1
; COMPUTE_PGM_RSRC2:TIDIG_COMP_CNT: 0
	.text
	.p2align	2                               ; -- Begin function _ZN4vllm22paged_attention_kernelIthLi256ELi32ELi128ELNS_18Fp8KVCacheDataTypeE1ELb0ELi512EEEvPfS2_PT_PKS3_PKT0_S9_ifPKiSB_iPKfiiiSD_SD_iiiii
	.type	_ZN4vllm22paged_attention_kernelIthLi256ELi32ELi128ELNS_18Fp8KVCacheDataTypeE1ELb0ELi512EEEvPfS2_PT_PKS3_PKT0_S9_ifPKiSB_iPKfiiiSD_SD_iiiii,@function
_ZN4vllm22paged_attention_kernelIthLi256ELi32ELi128ELNS_18Fp8KVCacheDataTypeE1ELb0ELi512EEEvPfS2_PT_PKS3_PKT0_S9_ifPKiSB_iPKfiiiSD_SD_iiiii: ; @_ZN4vllm22paged_attention_kernelIthLi256ELi32ELi128ELNS_18Fp8KVCacheDataTypeE1ELb0ELi512EEEvPfS2_PT_PKS3_PKT0_S9_ifPKiSB_iPKfiiiSD_SD_iiiii
; %bb.0:
	s_waitcnt vmcnt(0) expcnt(0) lgkmcnt(0)
	s_clause 0x1f
	scratch_store_b32 off, v40, s32 offset:316
	; meta instruction
	scratch_store_b32 off, v41, s32 offset:312
	; meta instruction
	;; [unrolled: 2-line block ×31, first 2 shown]
	scratch_store_b32 off, v95, s32 offset:192
	s_clause 0x1f
	scratch_store_b32 off, v104, s32 offset:188
	; meta instruction
	scratch_store_b32 off, v105, s32 offset:184
	; meta instruction
	scratch_store_b32 off, v106, s32 offset:180
	; meta instruction
	scratch_store_b32 off, v107, s32 offset:176
	; meta instruction
	scratch_store_b32 off, v108, s32 offset:172
	; meta instruction
	scratch_store_b32 off, v109, s32 offset:168
	; meta instruction
	scratch_store_b32 off, v110, s32 offset:164
	; meta instruction
	scratch_store_b32 off, v111, s32 offset:160
	; meta instruction
	scratch_store_b32 off, v120, s32 offset:156
	; meta instruction
	scratch_store_b32 off, v121, s32 offset:152
	; meta instruction
	scratch_store_b32 off, v122, s32 offset:148
	; meta instruction
	scratch_store_b32 off, v123, s32 offset:144
	; meta instruction
	scratch_store_b32 off, v124, s32 offset:140
	; meta instruction
	scratch_store_b32 off, v125, s32 offset:136
	; meta instruction
	scratch_store_b32 off, v126, s32 offset:132
	; meta instruction
	scratch_store_b32 off, v127, s32 offset:128
	; meta instruction
	scratch_store_b32 off, v136, s32 offset:124
	; meta instruction
	scratch_store_b32 off, v137, s32 offset:120
	; meta instruction
	scratch_store_b32 off, v138, s32 offset:116
	; meta instruction
	scratch_store_b32 off, v139, s32 offset:112
	; meta instruction
	scratch_store_b32 off, v140, s32 offset:108
	; meta instruction
	scratch_store_b32 off, v141, s32 offset:104
	; meta instruction
	scratch_store_b32 off, v142, s32 offset:100
	; meta instruction
	scratch_store_b32 off, v143, s32 offset:96
	; meta instruction
	scratch_store_b32 off, v152, s32 offset:92
	; meta instruction
	scratch_store_b32 off, v153, s32 offset:88
	; meta instruction
	scratch_store_b32 off, v154, s32 offset:84
	; meta instruction
	scratch_store_b32 off, v155, s32 offset:80
	; meta instruction
	scratch_store_b32 off, v156, s32 offset:76
	; meta instruction
	scratch_store_b32 off, v157, s32 offset:72
	; meta instruction
	scratch_store_b32 off, v158, s32 offset:68
	; meta instruction
	scratch_store_b32 off, v159, s32 offset:64
	s_clause 0xf
	scratch_store_b32 off, v168, s32 offset:60
	; meta instruction
	scratch_store_b32 off, v169, s32 offset:56
	; meta instruction
	;; [unrolled: 2-line block ×15, first 2 shown]
	scratch_store_b32 off, v191, s32
	s_mov_b32 s4, s13
	s_ashr_i32 s5, s13, 31
	s_clause 0x8
	scratch_store_b64 off, v[24:25], s32 offset:1004
	scratch_store_b32 off, v22, s32 offset:652
	scratch_store_b32 off, v15, s32 offset:1048
	scratch_store_b32 off, v14, s32 offset:1052
	scratch_store_b32 off, v13, s32 offset:1012
	scratch_store_b32 off, v11, s32 offset:1064
	scratch_store_b32 off, v10, s32 offset:1068
	scratch_store_b32 off, v5, s32 offset:1056
	scratch_store_b32 off, v4, s32 offset:1060
	s_lshl_b64 s[0:1], s[4:5], 2
	v_dual_mov_b32 v122, v27 :: v_dual_mov_b32 v121, v26
	v_add_co_u32 v4, vcc_lo, v16, s0
	v_add_co_ci_u32_e32 v5, vcc_lo, s1, v17, vcc_lo
	s_lshl_b32 s5, s14, 9
	s_mov_b32 s20, exec_lo
	flat_load_b32 v157, v[4:5]
	s_waitcnt vmcnt(0) lgkmcnt(0)
	v_cmpx_lt_i32_e64 s5, v157
	s_cbranch_execnz .LBB373_1
; %bb.4139:
	s_getpc_b64 s[24:25]
.Lpost_getpc3:
	s_add_u32 s24, s24, (.LBB373_4138-.Lpost_getpc3)&4294967295
	s_addc_u32 s25, s25, (.LBB373_4138-.Lpost_getpc3)>>32
	s_setpc_b64 s[24:25]
.LBB373_1:
	s_clause 0x3
	scratch_store_b32 off, v2, s32 offset:1108
	scratch_store_b32 off, v3, s32 offset:1076
	;; [unrolled: 1-line block ×4, first 2 shown]
	v_sub_nc_u32_e32 v0, 0, v12
	s_clause 0x1
	s_load_b32 s0, s[8:9], 0x10
	s_load_b32 s1, s[8:9], 0x0
	s_mov_b32 s16, s15
	v_max_i32_e32 v0, v12, v0
	s_delay_alu instid0(VALU_DEP_1) | instskip(SKIP_1) | instid1(VALU_DEP_2)
	v_cvt_f32_u32_e32 v1, v0
	v_sub_nc_u32_e32 v2, 0, v0
	v_rcp_iflag_f32_e32 v1, v1
	s_waitcnt lgkmcnt(0)
	s_lshr_b32 s0, s0, 16
	s_delay_alu instid0(SALU_CYCLE_1) | instskip(SKIP_3) | instid1(SALU_CYCLE_1)
	s_cmp_lg_u32 s0, 0
	s_waitcnt_depctr 0xfff
	v_mul_f32_e32 v1, 0x4f7ffffe, v1
	s_cselect_b32 s0, -1, 0
	s_cmp_lg_u32 s0, 0
	s_delay_alu instid0(VALU_DEP_1) | instskip(SKIP_3) | instid1(VALU_DEP_1)
	v_cvt_u32_f32_e32 v1, v1
	s_addc_u32 s6, s1, 0
	s_mov_b32 s1, exec_lo
	s_abs_i32 s0, s6
	v_mul_lo_u32 v2, v2, v1
	s_delay_alu instid0(VALU_DEP_1) | instskip(NEXT) | instid1(VALU_DEP_1)
	v_mul_hi_u32 v2, v1, v2
	v_add_nc_u32_e32 v1, v1, v2
	s_delay_alu instid0(VALU_DEP_1) | instskip(NEXT) | instid1(VALU_DEP_1)
	v_mul_hi_u32 v1, s0, v1
	v_mul_lo_u32 v2, v1, v0
	v_add_nc_u32_e32 v3, 1, v1
	s_delay_alu instid0(VALU_DEP_2) | instskip(SKIP_1) | instid1(VALU_DEP_1)
	v_sub_nc_u32_e32 v2, s0, v2
	s_abs_i32 s0, s12
	v_sub_nc_u32_e32 v4, v2, v0
	v_cmp_ge_u32_e32 vcc_lo, v2, v0
	s_delay_alu instid0(VALU_DEP_2) | instskip(SKIP_1) | instid1(VALU_DEP_2)
	v_dual_cndmask_b32 v1, v1, v3 :: v_dual_cndmask_b32 v2, v2, v4
	v_xor_b32_e32 v3, s6, v12
	v_add_nc_u32_e32 v4, 1, v1
	s_delay_alu instid0(VALU_DEP_3) | instskip(NEXT) | instid1(VALU_DEP_3)
	v_cmp_ge_u32_e32 vcc_lo, v2, v0
	v_ashrrev_i32_e32 v3, 31, v3
	s_delay_alu instid0(VALU_DEP_3) | instskip(NEXT) | instid1(VALU_DEP_1)
	v_cndmask_b32_e32 v0, v1, v4, vcc_lo
	v_xor_b32_e32 v0, v0, v3
	s_delay_alu instid0(VALU_DEP_1) | instskip(NEXT) | instid1(VALU_DEP_1)
	v_sub_nc_u32_e32 v1, v0, v3
	v_sub_nc_u32_e32 v0, 0, v1
	s_delay_alu instid0(VALU_DEP_1) | instskip(NEXT) | instid1(VALU_DEP_1)
	v_max_i32_e32 v0, v1, v0
	v_cvt_f32_u32_e32 v2, v0
	v_sub_nc_u32_e32 v3, 0, v0
	s_delay_alu instid0(VALU_DEP_2) | instskip(SKIP_2) | instid1(VALU_DEP_1)
	v_rcp_iflag_f32_e32 v2, v2
	s_waitcnt_depctr 0xfff
	v_mul_f32_e32 v2, 0x4f7ffffe, v2
	v_cvt_u32_f32_e32 v2, v2
	s_delay_alu instid0(VALU_DEP_1) | instskip(NEXT) | instid1(VALU_DEP_1)
	v_mul_lo_u32 v3, v3, v2
	v_mul_hi_u32 v3, v2, v3
	s_delay_alu instid0(VALU_DEP_1) | instskip(NEXT) | instid1(VALU_DEP_1)
	v_add_nc_u32_e32 v2, v2, v3
	v_mad_u64_u32 v[16:17], null, s0, v2, 0
	v_mov_b32_e32 v2, 0
	scratch_store_b32 off, v2, s32 offset:1016 ; 4-byte Folded Spill
	v_cmpx_ne_u64_e32 0, v[19:20]
	s_cbranch_execz .LBB373_3
; %bb.2:
	s_ashr_i32 s13, s12, 31
	s_delay_alu instid0(SALU_CYCLE_1) | instskip(NEXT) | instid1(SALU_CYCLE_1)
	s_lshl_b64 s[2:3], s[12:13], 2
	v_add_co_u32 v2, vcc_lo, v19, s2
	v_add_co_ci_u32_e32 v3, vcc_lo, s3, v20, vcc_lo
	flat_load_b32 v2, v[2:3]
	s_waitcnt vmcnt(0) lgkmcnt(0)
	scratch_store_b32 off, v2, s32 offset:1016 ; 4-byte Folded Spill
.LBB373_3:
	s_or_b32 exec_lo, exec_lo, s1
	v_and_b32_e32 v11, 0x3ff, v31
	v_ashrrev_i32_e32 v1, 31, v1
	s_ashr_i32 s1, s12, 31
	s_lshl_b32 s10, s12, 8
	s_mov_b32 s2, exec_lo
	v_cmpx_gt_u32_e32 32, v11
	s_cbranch_execz .LBB373_5
; %bb.4:
	v_mul_lo_u32 v2, s4, v21
	s_ashr_i32 s11, s10, 31
	v_lshlrev_b32_e32 v10, 4, v11
	s_lshl_b64 s[18:19], s[10:11], 1
	s_delay_alu instid0(VALU_DEP_2) | instskip(NEXT) | instid1(VALU_DEP_1)
	v_ashrrev_i32_e32 v3, 31, v2
	v_lshlrev_b64 v[2:3], 1, v[2:3]
	s_delay_alu instid0(VALU_DEP_1) | instskip(NEXT) | instid1(VALU_DEP_2)
	v_add_co_u32 v2, vcc_lo, v6, v2
	v_add_co_ci_u32_e32 v3, vcc_lo, v7, v3, vcc_lo
	s_delay_alu instid0(VALU_DEP_2) | instskip(NEXT) | instid1(VALU_DEP_2)
	v_add_co_u32 v2, vcc_lo, v2, s18
	v_add_co_ci_u32_e32 v3, vcc_lo, s19, v3, vcc_lo
	s_delay_alu instid0(VALU_DEP_2) | instskip(NEXT) | instid1(VALU_DEP_2)
	v_add_co_u32 v2, vcc_lo, v2, v10
	v_add_co_ci_u32_e32 v3, vcc_lo, 0, v3, vcc_lo
	flat_load_b128 v[2:5], v[2:3]
	s_waitcnt vmcnt(0) lgkmcnt(0)
	ds_store_b128 v10, v[2:5]
.LBB373_5:
	s_or_b32 exec_lo, exec_lo, s2
	v_mul_lo_u32 v2, v17, v0
	v_xor_b32_e32 v1, s1, v1
	s_clause 0x1
	s_load_b32 s11, s[8:9], 0x14
	s_load_b32 s7, s[8:9], 0x8
	s_lshl_b32 s8, s14, 4
	s_mov_b32 s9, exec_lo
	v_mov_b32_e32 v10, 0xff7fffff
	v_sub_nc_u32_e32 v2, s0, v2
	s_add_i32 s0, s8, 16
	s_delay_alu instid0(VALU_DEP_1) | instskip(SKIP_1) | instid1(VALU_DEP_2)
	v_sub_nc_u32_e32 v4, v2, v0
	v_cmp_ge_u32_e32 vcc_lo, v2, v0
	v_dual_cndmask_b32 v2, v2, v4 :: v_dual_add_nc_u32 v3, 1, v17
	s_delay_alu instid0(VALU_DEP_1) | instskip(NEXT) | instid1(VALU_DEP_2)
	v_cndmask_b32_e32 v3, v17, v3, vcc_lo
	v_cmp_ge_u32_e32 vcc_lo, v2, v0
	s_delay_alu instid0(VALU_DEP_2) | instskip(SKIP_2) | instid1(VALU_DEP_3)
	v_add_nc_u32_e32 v4, 1, v3
	v_add_nc_u32_e32 v5, 31, v157
	v_mul_lo_u32 v0, s4, v18
	v_cndmask_b32_e32 v2, v3, v4, vcc_lo
	s_delay_alu instid0(VALU_DEP_3) | instskip(SKIP_4) | instid1(VALU_DEP_2)
	v_ashrrev_i32_e32 v6, 31, v5
	v_lshrrev_b32_e32 v4, 5, v11
	scratch_store_b32 off, v11, s32 offset:1036 ; 4-byte Folded Spill
	v_xor_b32_e32 v2, v2, v1
	v_lshrrev_b32_e32 v3, 27, v6
	v_sub_nc_u32_e32 v2, v2, v1
	v_ashrrev_i32_e32 v1, 31, v0
	s_delay_alu instid0(VALU_DEP_3) | instskip(SKIP_1) | instid1(VALU_DEP_4)
	v_add_nc_u32_e32 v3, v5, v3
	v_and_b32_e32 v5, 31, v11
	v_mul_lo_u32 v7, v2, v23
	s_delay_alu instid0(VALU_DEP_4) | instskip(NEXT) | instid1(VALU_DEP_4)
	v_lshlrev_b64 v[0:1], 2, v[0:1]
	v_ashrrev_i32_e32 v6, 5, v3
	v_add_nc_u32_e32 v3, s8, v4
	v_lshlrev_b32_e32 v2, 5, v4
	scratch_store_b32 off, v4, s32 offset:1044 ; 4-byte Folded Spill
	v_min_i32_e32 v95, s0, v6
	v_ashrrev_i32_e32 v4, 31, v3
	s_clause 0x2
	scratch_store_b32 off, v2, s32 offset:1080
	scratch_store_b64 off, v[0:1], s32 offset:1084
	scratch_store_b32 off, v6, s32 offset:1112
	v_ashrrev_i32_e32 v0, 31, v7
	v_cmp_ge_i32_e64 s0, v3, v95
	s_clause 0x3
	scratch_store_b64 off, v[3:4], s32 offset:320
	scratch_store_b32 off, v7, s32 offset:1092
	scratch_store_b32 off, v0, s32 offset:1096
	;; [unrolled: 1-line block ×3, first 2 shown]
	v_lshlrev_b32_e32 v0, 2, v5
	scratch_store_b32 off, v0, s32 offset:1072 ; 4-byte Folded Spill
	s_waitcnt lgkmcnt(0)
	s_waitcnt_vscnt null, 0x0
	s_barrier
	buffer_gl0_inv
	v_cmpx_lt_i32_e64 v3, v95
	s_cbranch_execz .LBB373_2057
; %bb.6:
	s_clause 0x2
	scratch_load_b32 v5, off, s32 offset:1040
	scratch_load_b32 v0, off, s32 offset:1092
	scratch_load_b64 v[6:7], off, s32 offset:320
	s_getpc_b64 s[2:3]
	s_add_u32 s2, s2, llvm.amdgcn.dynlds.offset.table@rel32@lo+4
	s_addc_u32 s3, s3, llvm.amdgcn.dynlds.offset.table@rel32@hi+12
	s_ashr_i32 s17, s16, 31
	s_mov_b32 s13, 0
	s_lshl_b64 s[18:19], s[16:17], 2
	v_mov_b32_e32 v10, 0xff7fffff
	s_add_u32 s2, s18, s2
	s_addc_u32 s3, s19, s3
	s_load_b32 s2, s[2:3], 0x0
	s_waitcnt vmcnt(2)
	v_lshlrev_b32_e32 v2, 4, v5
	s_waitcnt vmcnt(1)
	v_add_co_u32 v3, vcc_lo, v8, v0
	scratch_load_b32 v0, off, s32 offset:1096 ; 4-byte Folded Reload
	s_waitcnt vmcnt(0)
	v_add_co_ci_u32_e32 v4, vcc_lo, v9, v0, vcc_lo
	v_mov_b32_e32 v9, 0
	v_add_co_u32 v2, vcc_lo, v3, v2
	s_delay_alu instid0(VALU_DEP_3)
	v_add_co_ci_u32_e32 v3, vcc_lo, 0, v4, vcc_lo
	scratch_store_b64 off, v[2:3], s32 offset:1024 ; 8-byte Folded Spill
	scratch_load_b32 v2, off, s32 offset:1016 ; 4-byte Folded Reload
	v_lshlrev_b64 v[0:1], 2, v[6:7]
	v_mov_b32_e32 v191, v6
	s_waitcnt vmcnt(0)
	v_cmp_neq_f32_e32 vcc_lo, 0, v2
	scratch_load_b64 v[2:3], off, s32 offset:1084 ; 8-byte Folded Reload
	s_waitcnt vmcnt(0)
	v_add_co_u32 v0, s1, v2, v0
	s_delay_alu instid0(VALU_DEP_1)
	v_add_co_ci_u32_e64 v1, s1, v3, v1, s1
	s_clause 0x1
	scratch_load_b32 v2, off, s32 offset:1044
	scratch_load_b32 v3, off, s32 offset:1072
	scratch_store_b32 off, v95, s32 offset:1020 ; 4-byte Folded Spill
	s_waitcnt vmcnt(0)
	v_lshl_or_b32 v2, v2, 7, v3
	scratch_load_b32 v3, off, s32 offset:1052 ; 4-byte Folded Reload
	s_waitcnt lgkmcnt(0)
	v_add_nc_u32_e32 v175, s2, v2
	s_mov_b32 s2, -1
	s_mov_b32 s3, 0xffffff
	s_waitcnt vmcnt(0)
	v_add_co_u32 v3, s1, v3, v0
	scratch_load_b32 v0, off, s32 offset:1048 ; 4-byte Folded Reload
	s_waitcnt vmcnt(0)
	v_add_co_ci_u32_e64 v4, s1, v0, v1, s1
	v_sub_nc_u32_e32 v0, 1, v157
	scratch_store_b32 off, v0, s32 offset:1032 ; 4-byte Folded Spill
	scratch_load_b32 v0, off, s32 offset:1080 ; 4-byte Folded Reload
	s_waitcnt vmcnt(0)
	v_add3_u32 v63, s5, v0, v5
	s_branch .LBB373_11
.LBB373_7:                              ;   in Loop: Header=BB373_11 Depth=1
	s_or_b32 exec_lo, exec_lo, s19
	v_lshlrev_b32_e32 v8, 8, v30
	v_lshl_add_u32 v29, v29, 10, 0x2000
	s_delay_alu instid0(VALU_DEP_1) | instskip(NEXT) | instid1(VALU_DEP_1)
	v_and_or_b32 v8, 0x8000, v8, v29
	v_lshl_or_b32 v8, v28, 7, v8
	s_delay_alu instid0(VALU_DEP_1)
	v_cvt_f32_f16_e32 v83, v8
.LBB373_8:                              ;   in Loop: Header=BB373_11 Depth=1
	s_or_b32 exec_lo, exec_lo, s18
.LBB373_9:                              ;   in Loop: Header=BB373_11 Depth=1
	s_delay_alu instid0(SALU_CYCLE_1)
	s_or_b32 exec_lo, exec_lo, s17
	s_clause 0x2
	scratch_load_b32 v63, off, s32 offset:636
	scratch_load_b32 v175, off, s32 offset:632
	;; [unrolled: 1-line block ×3, first 2 shown]
.LBB373_10:                             ;   in Loop: Header=BB373_11 Depth=1
	s_or_b32 exec_lo, exec_lo, s15
	v_fma_mixlo_f16 v8, v64, v76, 0
	v_fma_mixlo_f16 v5, v64, v5, 0
	v_fma_mixlo_f16 v3, v64, v3, 0
	v_fma_mixlo_f16 v28, v64, v143, 0
	v_fma_mixlo_f16 v143, v64, v123, 0
	scratch_store_b32 off, v8, s32 offset:684 ; 4-byte Folded Spill
	v_fma_mixlo_f16 v8, v64, v150, 0
	v_fma_mixlo_f16 v123, v64, v127, 0
	v_fma_mixlo_f16 v127, v64, v107, 0
	v_fma_mixlo_f16 v107, v64, v111, 0
	v_fma_mixlo_f16 v111, v64, v91, 0
	scratch_store_b32 off, v8, s32 offset:688 ; 4-byte Folded Spill
	;; [unrolled: 6-line block ×4, first 2 shown]
	v_fma_mixlo_f16 v8, v64, v78, 0
	scratch_store_b32 off, v5, s32 offset:740 ; 4-byte Folded Spill
	v_fma_mixlo_f16 v5, v64, v21, 0
	v_fma_mixlo_f16 v31, v64, v26, 0
	;; [unrolled: 1-line block ×3, first 2 shown]
	scratch_store_b32 off, v8, s32 offset:676 ; 4-byte Folded Spill
	v_fma_mixlo_f16 v8, v64, v74, 0
	v_fma_mixlo_f16 v184, v64, v62, 0
	;; [unrolled: 1-line block ×5, first 2 shown]
	s_clause 0x1
	scratch_store_b32 off, v8, s32 offset:680
	scratch_store_b32 off, v5, s32 offset:744
	v_fma_mixlo_f16 v8, v64, v77, 0
	scratch_store_b32 off, v3, s32 offset:736 ; 4-byte Folded Spill
	v_fma_mixlo_f16 v3, v64, v12, 0
	v_fma_mixlo_f16 v5, v64, v185, 0
	v_fma_mixlo_f16 v12, v64, v169, 0
	scratch_store_b32 off, v8, s32 offset:672 ; 4-byte Folded Spill
	v_fma_mixlo_f16 v8, v64, v32, 0
	scratch_store_b32 off, v3, s32 offset:732 ; 4-byte Folded Spill
	v_fma_mixlo_f16 v3, v64, v53, 0
	v_fma_mixlo_f16 v32, v64, v88, 0
	v_fma_mixlo_f16 v30, v64, v152, 0
	scratch_store_b32 off, v8, s32 offset:668 ; 4-byte Folded Spill
	;; [unrolled: 6-line block ×10, first 2 shown]
	v_fma_mixlo_f16 v8, v64, v52, 0
	scratch_store_b32 off, v3, s32 offset:812 ; 4-byte Folded Spill
	v_fma_mixlo_f16 v3, v64, v113, 0
	v_fma_mixlo_f16 v113, v64, v134, 0
	v_fma_mixlo_f16 v81, v64, v174, 0
	v_fma_mixlo_f16 v174, v64, v119, 0
	v_fma_mixlo_f16 v119, v64, v16, 0
	scratch_store_b32 off, v3, s32 offset:816 ; 4-byte Folded Spill
	v_fma_mixlo_f16 v3, v64, v116, 0
	v_fma_mixlo_f16 v116, v64, v167, 0
	v_fma_mixlo_f16 v167, v64, v72, 0
	v_fma_mixlo_f16 v108, v64, v108, 0
	;; [unrolled: 6-line block ×3, first 2 shown]
	s_waitcnt vmcnt(2)
	v_cmp_lt_i32_e64 s1, v63, v157
	scratch_store_b32 off, v3, s32 offset:824 ; 4-byte Folded Spill
	v_fma_mixlo_f16 v3, v64, v146, 0
	v_fma_mixlo_f16 v146, v64, v71, 0
	s_waitcnt vmcnt(0)
	v_dual_mov_b32 v158, v157 :: v_dual_add_nc_u32 v191, 4, v191
	scratch_store_b32 off, v3, s32 offset:804 ; 4-byte Folded Spill
	v_fma_mixlo_f16 v3, v64, v117, 0
	v_fma_mixlo_f16 v117, v64, v166, 0
	;; [unrolled: 1-line block ×4, first 2 shown]
	scratch_store_b32 off, v3, s32 offset:808 ; 4-byte Folded Spill
	v_fma_mixlo_f16 v3, v64, v145, 0
	v_fma_mixlo_f16 v145, v64, v61, 0
	scratch_store_b32 off, v3, s32 offset:800 ; 4-byte Folded Spill
	v_fma_mixlo_f16 v3, v64, v147, 0
	scratch_store_b32 off, v8, s32 offset:748 ; 4-byte Folded Spill
	v_fma_mixlo_f16 v8, v64, v24, 0
	v_fma_mixlo_f16 v147, v64, v128, 0
	;; [unrolled: 1-line block ×3, first 2 shown]
	scratch_store_b32 off, v3, s32 offset:796 ; 4-byte Folded Spill
	v_fma_mixlo_f16 v3, v64, v144, 0
	v_fma_mixlo_f16 v144, v64, v56, 0
	scratch_store_b32 off, v3, s32 offset:844 ; 4-byte Folded Spill
	v_fma_mixlo_f16 v3, v64, v7, 0
	v_fma_mixlo_f16 v7, v64, v126, 0
	v_fma_mixlo_f16 v126, v64, v106, 0
	v_fma_mixlo_f16 v106, v64, v110, 0
	v_fma_mixlo_f16 v110, v64, v90, 0
	scratch_store_b32 off, v3, s32 offset:848 ; 4-byte Folded Spill
	v_fma_mixlo_f16 v3, v64, v132, 0
	v_fma_mixlo_f16 v90, v64, v94, 0
	;; [unrolled: 1-line block ×3, first 2 shown]
	scratch_store_b32 off, v3, s32 offset:852 ; 4-byte Folded Spill
	v_fma_mixlo_f16 v3, v64, v6, 0
	scratch_store_b32 off, v3, s32 offset:856 ; 4-byte Folded Spill
	v_fma_mixlo_f16 v3, v64, v164, 0
	v_fma_mixlo_f16 v164, v64, v57, 0
	scratch_store_b32 off, v3, s32 offset:836 ; 4-byte Folded Spill
	v_fma_mixlo_f16 v3, v64, v133, 0
	;; [unrolled: 3-line block ×4, first 2 shown]
	scratch_store_b32 off, v8, s32 offset:752 ; 4-byte Folded Spill
	v_fma_mixlo_f16 v8, v64, v25, 0
	v_fma_mixlo_f16 v165, v64, v58, 0
	scratch_store_b32 off, v3, s32 offset:828 ; 4-byte Folded Spill
	v_fma_mixlo_f16 v3, v64, v162, 0
	v_fma_mixlo_f16 v162, v64, v66, 0
	;; [unrolled: 3-line block ×8, first 2 shown]
	scratch_store_b32 off, v3, s32 offset:864 ; 4-byte Folded Spill
	v_fma_mixlo_f16 v3, v64, v41, 0
	scratch_store_b32 off, v8, s32 offset:756 ; 4-byte Folded Spill
	v_fma_mixlo_f16 v8, v64, v22, 0
	v_fma_mixlo_f16 v41, v64, v1, 0
	scratch_load_b32 v1, off, s32 offset:1016 ; 4-byte Folded Reload
	scratch_store_b32 off, v3, s32 offset:860 ; 4-byte Folded Spill
	v_fma_mixlo_f16 v3, v64, v180, 0
	v_fma_mixlo_f16 v180, v64, v75, 0
	scratch_store_b32 off, v3, s32 offset:908 ; 4-byte Folded Spill
	v_fma_mixlo_f16 v3, v64, v177, 0
	v_fma_mixlo_f16 v177, v64, v2, 0
	;; [unrolled: 3-line block ×4, first 2 shown]
	v_fma_mixlo_f16 v138, v64, v141, 0
	v_fma_mixlo_f16 v141, v64, v35, 0
	scratch_store_b32 off, v3, s32 offset:920 ; 4-byte Folded Spill
	v_fma_mixlo_f16 v3, v64, v44, 0
	v_fma_mixlo_f16 v44, v64, v19, 0
	scratch_store_b32 off, v3, s32 offset:900 ; 4-byte Folded Spill
	;; [unrolled: 3-line block ×3, first 2 shown]
	v_fma_mixlo_f16 v3, v64, v43, 0
	v_fma_mixlo_f16 v43, v64, v0, 0
	;; [unrolled: 1-line block ×3, first 2 shown]
	scratch_store_b32 off, v0, s32 offset:996 ; 4-byte Folded Spill
	v_fma_mixlo_f16 v0, v64, v80, 0
	scratch_store_b32 off, v0, s32 offset:1000 ; 4-byte Folded Spill
	v_fma_mixlo_f16 v0, v64, v55, 0
	;; [unrolled: 2-line block ×6, first 2 shown]
	v_fma_mixlo_f16 v8, v64, v137, 0
	v_fma_mixlo_f16 v155, v64, v39, 0
	scratch_store_b32 off, v0, s32 offset:988 ; 4-byte Folded Spill
	scratch_load_b32 v0, off, s32 offset:604 ; 4-byte Folded Reload
	scratch_store_b32 off, v3, s32 offset:940 ; 4-byte Folded Spill
	v_fma_mixlo_f16 v3, v64, v190, 0
	v_fma_mixlo_f16 v39, v64, v154, 0
	scratch_store_b32 off, v3, s32 offset:944 ; 4-byte Folded Spill
	v_fma_mixlo_f16 v3, v64, v73, 0
	scratch_store_b32 off, v3, s32 offset:948 ; 4-byte Folded Spill
	v_fma_mixlo_f16 v3, v64, v187, 0
	scratch_store_b32 off, v3, s32 offset:952 ; 4-byte Folded Spill
	v_fma_mixlo_f16 v3, v64, v183, 0
	scratch_store_b32 off, v3, s32 offset:932 ; 4-byte Folded Spill
	v_fma_mixlo_f16 v3, v64, v153, 0
	scratch_store_b32 off, v3, s32 offset:936 ; 4-byte Folded Spill
	v_fma_mixlo_f16 v3, v64, v182, 0
	v_fma_mixlo_f16 v182, v64, v60, 0
	scratch_store_b32 off, v3, s32 offset:928 ; 4-byte Folded Spill
	v_fma_mixlo_f16 v3, v64, v42, 0
	scratch_store_b32 off, v3, s32 offset:924 ; 4-byte Folded Spill
	v_fma_mixlo_f16 v3, v64, v85, 0
	scratch_store_b32 off, v3, s32 offset:972 ; 4-byte Folded Spill
	v_fma_mixlo_f16 v3, v64, v49, 0
	scratch_store_b32 off, v3, s32 offset:976 ; 4-byte Folded Spill
	v_fma_mixlo_f16 v3, v64, v129, 0
	scratch_store_b32 off, v3, s32 offset:980 ; 4-byte Folded Spill
	v_fma_mixlo_f16 v3, v64, v48, 0
	scratch_store_b32 off, v3, s32 offset:984 ; 4-byte Folded Spill
	v_fma_mixlo_f16 v3, v64, v102, 0
	scratch_store_b32 off, v3, s32 offset:964 ; 4-byte Folded Spill
	v_fma_mixlo_f16 v3, v64, v188, 0
	scratch_store_b32 off, v3, s32 offset:968 ; 4-byte Folded Spill
	v_fma_mixlo_f16 v3, v64, v101, 0
	scratch_store_b32 off, v3, s32 offset:960 ; 4-byte Folded Spill
	v_fma_mixlo_f16 v3, v64, v186, 0
	s_waitcnt vmcnt(0)
	v_fma_mixlo_f16 v88, v64, v0, 0
	scratch_load_b32 v0, off, s32 offset:592 ; 4-byte Folded Reload
	s_waitcnt vmcnt(0)
	v_fma_mixlo_f16 v183, v64, v0, 0
	scratch_load_b32 v0, off, s32 offset:596 ; 4-byte Folded Reload
	;; [unrolled: 3-line block ×29, first 2 shown]
	v_and_b32_e32 v4, 0xffff, v4
	s_waitcnt vmcnt(0)
	v_fma_mixlo_f16 v46, v64, v0, 0
	scratch_load_b32 v0, off, s32 offset:484 ; 4-byte Folded Reload
	s_waitcnt vmcnt(0)
	v_fma_mixlo_f16 v56, v64, v0, 0
	scratch_load_b32 v0, off, s32 offset:476 ; 4-byte Folded Reload
	;; [unrolled: 3-line block ×39, first 2 shown]
	v_and_b32_e32 v18, 0xffff, v18
	s_waitcnt vmcnt(0)
	v_fma_mixlo_f16 v19, v64, v0, 0
	scratch_load_b32 v0, off, s32 offset:344 ; 4-byte Folded Reload
	s_waitcnt vmcnt(0)
	v_fma_mixlo_f16 v11, v64, v0, 0
	scratch_load_b32 v0, off, s32 offset:336 ; 4-byte Folded Reload
	;; [unrolled: 3-line block ×10, first 2 shown]
	s_waitcnt vmcnt(0)
	v_add_nc_u32_e32 v0, v0, v63
	v_add_nc_u32_e32 v63, 0x80, v63
	s_delay_alu instid0(VALU_DEP_2) | instskip(NEXT) | instid1(VALU_DEP_1)
	v_cvt_f32_i32_e32 v0, v0
	v_mul_f32_e32 v0, v1, v0
	s_delay_alu instid0(VALU_DEP_1)
	v_cndmask_b32_e32 v6, 0, v0, vcc_lo
	v_fma_mixlo_f16 v0, v64, v36, 0
	s_clause 0x1
	scratch_store_b32 off, v3, s32 offset:956
	scratch_store_b32 off, v0, s32 offset:328
	v_fma_mixlo_f16 v0, v64, v50, 0
	v_fma_mixlo_f16 v64, v64, v83, 0
	scratch_store_b32 off, v0, s32 offset:332 ; 4-byte Folded Spill
	ds_load_b128 v[0:3], v9
	s_waitcnt lgkmcnt(0)
	v_lshrrev_b32_e32 v16, 16, v0
	v_and_b32_e32 v0, 0xffff, v0
	;;#ASMSTART
	v_cvt_f32_f16 v17, v0;
	;;#ASMEND
	v_and_b32_e32 v0, 0xffff, v174
	;;#ASMSTART
	v_cvt_f32_f16 v35, v16;
	;;#ASMEND
	;;#ASMSTART
	v_cvt_f32_f16 v36, v0;
	;;#ASMEND
	v_and_b32_e32 v0, 0xffff, v166
	;;#ASMSTART
	v_cvt_f32_f16 v50, v0;
	;;#ASMEND
	v_lshrrev_b32_e32 v0, 16, v1
	v_and_b32_e32 v1, 0xffff, v1
	;;#ASMSTART
	v_cvt_f32_f16 v83, v1;
	;;#ASMEND
	;;#ASMSTART
	v_cvt_f32_f16 v166, v0;
	;;#ASMEND
	v_and_b32_e32 v0, 0xffff, v156
	;;#ASMSTART
	v_cvt_f32_f16 v154, v0;
	;;#ASMEND
	v_and_b32_e32 v0, 0xffff, v155
	;;#ASMSTART
	v_cvt_f32_f16 v155, v0;
	;;#ASMEND
	v_lshrrev_b32_e32 v0, 16, v2
	v_and_b32_e32 v1, 0xffff, v2
	;;#ASMSTART
	v_cvt_f32_f16 v156, v1;
	;;#ASMEND
	;;#ASMSTART
	v_cvt_f32_f16 v173, v0;
	;;#ASMEND
	v_and_b32_e32 v0, 0xffff, v138
	v_and_b32_e32 v1, 0xffff, v3
	;;#ASMSTART
	v_cvt_f32_f16 v138, v0;
	;;#ASMEND
	v_and_b32_e32 v0, 0xffff, v137
	;;#ASMSTART
	v_cvt_f32_f16 v137, v0;
	;;#ASMEND
	v_lshrrev_b32_e32 v0, 16, v3
	;;#ASMSTART
	v_cvt_f32_f16 v174, v1;
	;;#ASMEND
	;;#ASMSTART
	v_cvt_f32_f16 v157, v0;
	;;#ASMEND
	v_and_b32_e32 v0, 0xffff, v139
	;;#ASMSTART
	v_cvt_f32_f16 v139, v0;
	;;#ASMEND
	v_and_b32_e32 v0, 0xffff, v140
	;;#ASMSTART
	v_cvt_f32_f16 v140, v0;
	;;#ASMEND
	ds_load_b128 v[0:3], v9 offset:16
	s_waitcnt lgkmcnt(0)
	v_lshrrev_b32_e32 v16, 16, v0
	v_and_b32_e32 v0, 0xffff, v0
	;;#ASMSTART
	v_cvt_f32_f16 v0, v0;
	;;#ASMEND
	;;#ASMSTART
	v_cvt_f32_f16 v176, v16;
	;;#ASMEND
	v_and_b32_e32 v16, 0xffff, v129
	;;#ASMSTART
	v_cvt_f32_f16 v16, v16;
	;;#ASMEND
	s_delay_alu instid0(VALU_DEP_1)
	v_dual_mul_f32 v16, v0, v16 :: v_dual_and_b32 v11, 0xffff, v11
	;;#ASMSTART
	v_cvt_f32_f16 v11, v11;
	;;#ASMEND
	v_lshrrev_b32_e32 v0, 16, v1
	v_and_b32_e32 v1, 0xffff, v1
	;;#ASMSTART
	v_cvt_f32_f16 v1, v1;
	;;#ASMEND
	v_dual_fmac_f32 v16, v17, v36 :: v_dual_mul_f32 v17, v176, v11
	;;#ASMSTART
	v_cvt_f32_f16 v0, v0;
	;;#ASMEND
	v_and_b32_e32 v11, 0xffff, v19
	;;#ASMSTART
	v_cvt_f32_f16 v11, v11;
	;;#ASMEND
	;;#ASMSTART
	v_cvt_f32_f16 v18, v18;
	;;#ASMEND
	s_delay_alu instid0(VALU_DEP_1) | instskip(SKIP_3) | instid1(VALU_DEP_4)
	v_dual_mul_f32 v18, v0, v18 :: v_dual_mul_f32 v19, v1, v11
	v_lshrrev_b32_e32 v0, 16, v2
	v_and_b32_e32 v1, 0xffff, v2
	v_and_b32_e32 v2, 0xffff, v34
	v_fmac_f32_e32 v18, v166, v155
	;;#ASMSTART
	v_cvt_f32_f16 v1, v1;
	;;#ASMEND
	;;#ASMSTART
	v_cvt_f32_f16 v0, v0;
	;;#ASMEND
	;; [unrolled: 3-line block ×3, first 2 shown]
	v_dual_mul_f32 v34, v1, v2 :: v_dual_and_b32 v11, 0xffff, v23
	;;#ASMSTART
	v_cvt_f32_f16 v11, v11;
	;;#ASMEND
	s_delay_alu instid0(VALU_DEP_1) | instskip(SKIP_1) | instid1(VALU_DEP_3)
	v_mul_f32_e32 v23, v0, v11
	v_lshrrev_b32_e32 v0, 16, v3
	v_dual_fmac_f32 v34, v156, v138 :: v_dual_and_b32 v1, 0xffff, v3
	v_and_b32_e32 v2, 0xffff, v10
	;;#ASMSTART
	v_cvt_f32_f16 v1, v1;
	;;#ASMEND
	;;#ASMSTART
	v_cvt_f32_f16 v0, v0;
	;;#ASMEND
	;; [unrolled: 3-line block ×3, first 2 shown]
	s_delay_alu instid0(VALU_DEP_1) | instskip(SKIP_2) | instid1(VALU_DEP_2)
	v_dual_mul_f32 v36, v1, v2 :: v_dual_and_b32 v3, 0xffff, v151
	;;#ASMSTART
	v_cvt_f32_f16 v3, v3;
	;;#ASMEND
	v_fmac_f32_e32 v17, v35, v50
	v_mul_f32_e32 v35, v0, v3
	ds_load_b128 v[0:3], v9 offset:32
	v_fmac_f32_e32 v19, v83, v154
	v_dual_fmac_f32 v23, v173, v137 :: v_dual_fmac_f32 v36, v174, v139
	v_and_b32_e32 v11, 0xffff, v150
	v_dual_fmac_f32 v35, v157, v140 :: v_dual_and_b32 v50, 0xffff, v153
	v_mov_b32_e32 v157, v158
	s_waitcnt lgkmcnt(0)
	v_lshrrev_b32_e32 v10, 16, v0
	v_and_b32_e32 v0, 0xffff, v0
	;;#ASMSTART
	v_cvt_f32_f16 v0, v0;
	;;#ASMEND
	;;#ASMSTART
	v_cvt_f32_f16 v10, v10;
	;;#ASMEND
	;; [unrolled: 3-line block ×3, first 2 shown]
	s_delay_alu instid0(VALU_DEP_1)
	v_fmac_f32_e32 v16, v0, v11
	v_lshrrev_b32_e32 v0, 16, v1
	v_and_b32_e32 v1, 0xffff, v1
	;;#ASMSTART
	v_cvt_f32_f16 v50, v50;
	;;#ASMEND
	v_fmac_f32_e32 v17, v10, v50
	;;#ASMSTART
	v_cvt_f32_f16 v1, v1;
	;;#ASMEND
	;;#ASMSTART
	v_cvt_f32_f16 v0, v0;
	;;#ASMEND
	v_and_b32_e32 v10, 0xffff, v190
	v_and_b32_e32 v11, 0xffff, v189
	;;#ASMSTART
	v_cvt_f32_f16 v10, v10;
	;;#ASMEND
	;;#ASMSTART
	v_cvt_f32_f16 v11, v11;
	;;#ASMEND
	s_delay_alu instid0(VALU_DEP_1)
	v_dual_fmac_f32 v19, v1, v10 :: v_dual_fmac_f32 v18, v0, v11
	v_and_b32_e32 v1, 0xffff, v2
	v_lshrrev_b32_e32 v0, 16, v2
	v_and_b32_e32 v2, 0xffff, v188
	;;#ASMSTART
	v_cvt_f32_f16 v1, v1;
	;;#ASMEND
	;;#ASMSTART
	v_cvt_f32_f16 v0, v0;
	;;#ASMEND
	;; [unrolled: 3-line block ×3, first 2 shown]
	v_and_b32_e32 v10, 0xffff, v187
	;;#ASMSTART
	v_cvt_f32_f16 v10, v10;
	;;#ASMEND
	v_fmac_f32_e32 v34, v1, v2
	s_delay_alu instid0(VALU_DEP_2)
	v_fmac_f32_e32 v23, v0, v10
	v_lshrrev_b32_e32 v0, 16, v3
	v_and_b32_e32 v1, 0xffff, v3
	v_and_b32_e32 v2, 0xffff, v172
	;; [unrolled: 1-line block ×3, first 2 shown]
	;;#ASMSTART
	v_cvt_f32_f16 v1, v1;
	;;#ASMEND
	;;#ASMSTART
	v_cvt_f32_f16 v0, v0;
	;;#ASMEND
	;; [unrolled: 3-line block ×4, first 2 shown]
	v_dual_fmac_f32 v36, v1, v2 :: v_dual_and_b32 v11, 0xffff, v171
	v_fmac_f32_e32 v35, v0, v3
	ds_load_b128 v[0:3], v9 offset:48
	v_and_b32_e32 v50, 0xffff, v170
	s_waitcnt lgkmcnt(0)
	v_lshrrev_b32_e32 v10, 16, v0
	v_and_b32_e32 v0, 0xffff, v0
	;;#ASMSTART
	v_cvt_f32_f16 v0, v0;
	;;#ASMEND
	;;#ASMSTART
	v_cvt_f32_f16 v10, v10;
	;;#ASMEND
	;; [unrolled: 3-line block ×3, first 2 shown]
	s_delay_alu instid0(VALU_DEP_1)
	v_fmac_f32_e32 v16, v0, v11
	v_lshrrev_b32_e32 v0, 16, v1
	v_and_b32_e32 v1, 0xffff, v1
	;;#ASMSTART
	v_cvt_f32_f16 v50, v50;
	;;#ASMEND
	v_fmac_f32_e32 v17, v10, v50
	;;#ASMSTART
	v_cvt_f32_f16 v1, v1;
	;;#ASMEND
	;;#ASMSTART
	v_cvt_f32_f16 v0, v0;
	;;#ASMEND
	v_and_b32_e32 v10, 0xffff, v130
	v_and_b32_e32 v11, 0xffff, v169
	;;#ASMSTART
	v_cvt_f32_f16 v10, v10;
	;;#ASMEND
	;;#ASMSTART
	v_cvt_f32_f16 v11, v11;
	;;#ASMEND
	s_delay_alu instid0(VALU_DEP_1)
	v_dual_fmac_f32 v19, v1, v10 :: v_dual_fmac_f32 v18, v0, v11
	v_lshrrev_b32_e32 v0, 16, v2
	v_and_b32_e32 v1, 0xffff, v2
	v_and_b32_e32 v2, 0xffff, v77
	;;#ASMSTART
	v_cvt_f32_f16 v1, v1;
	;;#ASMEND
	;;#ASMSTART
	v_cvt_f32_f16 v0, v0;
	;;#ASMEND
	;; [unrolled: 3-line block ×3, first 2 shown]
	v_and_b32_e32 v10, 0xffff, v76
	;;#ASMSTART
	v_cvt_f32_f16 v10, v10;
	;;#ASMEND
	v_fmac_f32_e32 v34, v1, v2
	s_delay_alu instid0(VALU_DEP_2)
	v_fmac_f32_e32 v23, v0, v10
	v_lshrrev_b32_e32 v0, 16, v3
	v_and_b32_e32 v1, 0xffff, v3
	v_and_b32_e32 v2, 0xffff, v75
	;; [unrolled: 1-line block ×3, first 2 shown]
	;;#ASMSTART
	v_cvt_f32_f16 v1, v1;
	;;#ASMEND
	;;#ASMSTART
	v_cvt_f32_f16 v0, v0;
	;;#ASMEND
	;; [unrolled: 3-line block ×4, first 2 shown]
	v_dual_fmac_f32 v36, v1, v2 :: v_dual_fmac_f32 v35, v0, v3
	ds_load_b128 v[0:3], v9 offset:64
	v_and_b32_e32 v11, 0xffff, v186
	v_and_b32_e32 v50, 0xffff, v185
	s_waitcnt lgkmcnt(0)
	v_lshrrev_b32_e32 v10, 16, v0
	v_and_b32_e32 v0, 0xffff, v0
	;;#ASMSTART
	v_cvt_f32_f16 v0, v0;
	;;#ASMEND
	;;#ASMSTART
	v_cvt_f32_f16 v10, v10;
	;;#ASMEND
	;; [unrolled: 3-line block ×3, first 2 shown]
	s_delay_alu instid0(VALU_DEP_1)
	v_fmac_f32_e32 v16, v0, v11
	v_lshrrev_b32_e32 v0, 16, v1
	v_and_b32_e32 v1, 0xffff, v1
	;;#ASMSTART
	v_cvt_f32_f16 v50, v50;
	;;#ASMEND
	v_fmac_f32_e32 v17, v10, v50
	;;#ASMSTART
	v_cvt_f32_f16 v1, v1;
	;;#ASMEND
	;;#ASMSTART
	v_cvt_f32_f16 v0, v0;
	;;#ASMEND
	v_and_b32_e32 v10, 0xffff, v96
	v_and_b32_e32 v11, 0xffff, v49
	;;#ASMSTART
	v_cvt_f32_f16 v10, v10;
	;;#ASMEND
	;;#ASMSTART
	v_cvt_f32_f16 v11, v11;
	;;#ASMEND
	s_delay_alu instid0(VALU_DEP_1)
	v_dual_fmac_f32 v19, v1, v10 :: v_dual_fmac_f32 v18, v0, v11
	v_lshrrev_b32_e32 v0, 16, v2
	v_and_b32_e32 v1, 0xffff, v2
	v_and_b32_e32 v2, 0xffff, v74
	;;#ASMSTART
	v_cvt_f32_f16 v1, v1;
	;;#ASMEND
	;;#ASMSTART
	v_cvt_f32_f16 v0, v0;
	;;#ASMEND
	;; [unrolled: 3-line block ×3, first 2 shown]
	v_and_b32_e32 v10, 0xffff, v73
	;;#ASMSTART
	v_cvt_f32_f16 v10, v10;
	;;#ASMEND
	v_fmac_f32_e32 v34, v1, v2
	s_delay_alu instid0(VALU_DEP_2)
	v_fmac_f32_e32 v23, v0, v10
	v_lshrrev_b32_e32 v0, 16, v3
	v_and_b32_e32 v1, 0xffff, v3
	v_and_b32_e32 v2, 0xffff, v72
	;; [unrolled: 1-line block ×3, first 2 shown]
	;;#ASMSTART
	v_cvt_f32_f16 v1, v1;
	;;#ASMEND
	;;#ASMSTART
	v_cvt_f32_f16 v0, v0;
	;;#ASMEND
	;;#ASMSTART
	v_cvt_f32_f16 v2, v2;
	;;#ASMEND
	;;#ASMSTART
	v_cvt_f32_f16 v3, v3;
	;;#ASMEND
	v_dual_fmac_f32 v36, v1, v2 :: v_dual_and_b32 v49, 0xffff, v61
	v_fmac_f32_e32 v35, v0, v3
	ds_load_b128 v[0:3], v9 offset:80
	v_and_b32_e32 v11, 0xffff, v62
	s_waitcnt lgkmcnt(0)
	v_lshrrev_b32_e32 v10, 16, v0
	v_and_b32_e32 v0, 0xffff, v0
	;;#ASMSTART
	v_cvt_f32_f16 v0, v0;
	;;#ASMEND
	;;#ASMSTART
	v_cvt_f32_f16 v10, v10;
	;;#ASMEND
	;;#ASMSTART
	v_cvt_f32_f16 v11, v11;
	;;#ASMEND
	s_delay_alu instid0(VALU_DEP_1)
	v_fmac_f32_e32 v16, v0, v11
	v_lshrrev_b32_e32 v0, 16, v1
	v_and_b32_e32 v1, 0xffff, v1
	;;#ASMSTART
	v_cvt_f32_f16 v49, v49;
	;;#ASMEND
	v_fmac_f32_e32 v17, v10, v49
	;;#ASMSTART
	v_cvt_f32_f16 v1, v1;
	;;#ASMEND
	;;#ASMSTART
	v_cvt_f32_f16 v0, v0;
	;;#ASMEND
	v_and_b32_e32 v10, 0xffff, v48
	v_and_b32_e32 v11, 0xffff, v38
	;;#ASMSTART
	v_cvt_f32_f16 v10, v10;
	;;#ASMEND
	;;#ASMSTART
	v_cvt_f32_f16 v11, v11;
	;;#ASMEND
	s_delay_alu instid0(VALU_DEP_1)
	v_dual_fmac_f32 v19, v1, v10 :: v_dual_fmac_f32 v18, v0, v11
	v_lshrrev_b32_e32 v0, 16, v2
	v_and_b32_e32 v1, 0xffff, v2
	v_and_b32_e32 v2, 0xffff, v66
	;;#ASMSTART
	v_cvt_f32_f16 v1, v1;
	;;#ASMEND
	;;#ASMSTART
	v_cvt_f32_f16 v0, v0;
	;;#ASMEND
	;; [unrolled: 3-line block ×3, first 2 shown]
	v_and_b32_e32 v10, 0xffff, v60
	;;#ASMSTART
	v_cvt_f32_f16 v10, v10;
	;;#ASMEND
	v_dual_fmac_f32 v34, v1, v2 :: v_dual_and_b32 v1, 0xffff, v3
	s_delay_alu instid0(VALU_DEP_2)
	v_fmac_f32_e32 v23, v0, v10
	v_lshrrev_b32_e32 v0, 16, v3
	v_and_b32_e32 v2, 0xffff, v59
	v_and_b32_e32 v3, 0xffff, v58
	;;#ASMSTART
	v_cvt_f32_f16 v1, v1;
	;;#ASMEND
	;;#ASMSTART
	v_cvt_f32_f16 v0, v0;
	;;#ASMEND
	;; [unrolled: 3-line block ×4, first 2 shown]
	v_dual_fmac_f32 v36, v1, v2 :: v_dual_and_b32 v11, 0xffff, v57
	v_fmac_f32_e32 v35, v0, v3
	ds_load_b128 v[0:3], v9 offset:96
	v_and_b32_e32 v38, 0xffff, v56
	s_waitcnt lgkmcnt(0)
	v_lshrrev_b32_e32 v10, 16, v0
	v_and_b32_e32 v0, 0xffff, v0
	;;#ASMSTART
	v_cvt_f32_f16 v0, v0;
	;;#ASMEND
	;;#ASMSTART
	v_cvt_f32_f16 v10, v10;
	;;#ASMEND
	;; [unrolled: 3-line block ×3, first 2 shown]
	s_delay_alu instid0(VALU_DEP_1)
	v_fmac_f32_e32 v16, v0, v11
	v_lshrrev_b32_e32 v0, 16, v1
	v_and_b32_e32 v1, 0xffff, v1
	;;#ASMSTART
	v_cvt_f32_f16 v38, v38;
	;;#ASMEND
	v_fmac_f32_e32 v17, v10, v38
	;;#ASMSTART
	v_cvt_f32_f16 v1, v1;
	;;#ASMEND
	;;#ASMSTART
	v_cvt_f32_f16 v0, v0;
	;;#ASMEND
	v_and_b32_e32 v10, 0xffff, v46
	;;#ASMSTART
	v_cvt_f32_f16 v10, v10;
	;;#ASMEND
	;;#ASMSTART
	v_cvt_f32_f16 v4, v4;
	;;#ASMEND
	s_delay_alu instid0(VALU_DEP_1)
	v_dual_fmac_f32 v19, v1, v10 :: v_dual_fmac_f32 v18, v0, v4
	v_lshrrev_b32_e32 v0, 16, v2
	v_and_b32_e32 v1, 0xffff, v2
	v_and_b32_e32 v2, 0xffff, v24
	;;#ASMSTART
	v_cvt_f32_f16 v1, v1;
	;;#ASMEND
	;;#ASMSTART
	v_cvt_f32_f16 v0, v0;
	;;#ASMEND
	;; [unrolled: 3-line block ×3, first 2 shown]
	v_and_b32_e32 v4, 0xffff, v20
	;;#ASMSTART
	v_cvt_f32_f16 v4, v4;
	;;#ASMEND
	v_dual_fmac_f32 v34, v1, v2 :: v_dual_and_b32 v1, 0xffff, v3
	s_delay_alu instid0(VALU_DEP_2)
	v_fmac_f32_e32 v23, v0, v4
	v_lshrrev_b32_e32 v0, 16, v3
	v_and_b32_e32 v2, 0xffff, v13
	;;#ASMSTART
	v_cvt_f32_f16 v1, v1;
	;;#ASMEND
	;;#ASMSTART
	v_cvt_f32_f16 v0, v0;
	;;#ASMEND
	;; [unrolled: 3-line block ×3, first 2 shown]
	s_delay_alu instid0(VALU_DEP_1) | instskip(SKIP_1) | instid1(VALU_DEP_1)
	v_dual_fmac_f32 v36, v1, v2 :: v_dual_and_b32 v3, 0xffff, v128
	;;#ASMSTART
	v_cvt_f32_f16 v3, v3;
	;;#ASMEND
	v_fmac_f32_e32 v35, v0, v3
	ds_load_b128 v[0:3], v9 offset:112
	v_and_b32_e32 v10, 0xffff, v102
	v_and_b32_e32 v11, 0xffff, v101
	s_waitcnt lgkmcnt(0)
	v_lshrrev_b32_e32 v4, 16, v0
	v_and_b32_e32 v0, 0xffff, v0
	;;#ASMSTART
	v_cvt_f32_f16 v0, v0;
	;;#ASMEND
	;;#ASMSTART
	v_cvt_f32_f16 v4, v4;
	;;#ASMEND
	;; [unrolled: 3-line block ×3, first 2 shown]
	s_delay_alu instid0(VALU_DEP_1)
	v_fmac_f32_e32 v16, v0, v10
	v_lshrrev_b32_e32 v0, 16, v1
	v_and_b32_e32 v1, 0xffff, v1
	;;#ASMSTART
	v_cvt_f32_f16 v11, v11;
	;;#ASMEND
	v_fmac_f32_e32 v17, v4, v11
	;;#ASMSTART
	v_cvt_f32_f16 v1, v1;
	;;#ASMEND
	;;#ASMSTART
	v_cvt_f32_f16 v0, v0;
	;;#ASMEND
	v_and_b32_e32 v4, 0xffff, v100
	v_and_b32_e32 v10, 0xffff, v99
	;;#ASMSTART
	v_cvt_f32_f16 v4, v4;
	;;#ASMEND
	;;#ASMSTART
	v_cvt_f32_f16 v10, v10;
	;;#ASMEND
	s_delay_alu instid0(VALU_DEP_1)
	v_dual_fmac_f32 v19, v1, v4 :: v_dual_fmac_f32 v18, v0, v10
	v_lshrrev_b32_e32 v0, 16, v2
	v_and_b32_e32 v1, 0xffff, v2
	v_and_b32_e32 v2, 0xffff, v22
	;;#ASMSTART
	v_cvt_f32_f16 v1, v1;
	;;#ASMEND
	;;#ASMSTART
	v_cvt_f32_f16 v0, v0;
	;;#ASMEND
	;; [unrolled: 3-line block ×3, first 2 shown]
	v_and_b32_e32 v4, 0xffff, v85
	;;#ASMSTART
	v_cvt_f32_f16 v4, v4;
	;;#ASMEND
	s_delay_alu instid0(VALU_DEP_1)
	v_dual_fmac_f32 v34, v1, v2 :: v_dual_fmac_f32 v23, v0, v4
	v_lshrrev_b32_e32 v0, 16, v3
	v_and_b32_e32 v1, 0xffff, v3
	v_and_b32_e32 v2, 0xffff, v84
	;;#ASMSTART
	v_cvt_f32_f16 v1, v1;
	;;#ASMEND
	;;#ASMSTART
	v_cvt_f32_f16 v0, v0;
	;;#ASMEND
	;; [unrolled: 3-line block ×3, first 2 shown]
	s_delay_alu instid0(VALU_DEP_1) | instskip(SKIP_1) | instid1(VALU_DEP_1)
	v_dual_fmac_f32 v36, v1, v2 :: v_dual_and_b32 v3, 0xffff, v81
	;;#ASMSTART
	v_cvt_f32_f16 v3, v3;
	;;#ASMEND
	v_fmac_f32_e32 v35, v0, v3
	ds_load_b128 v[0:3], v9 offset:128
	v_and_b32_e32 v10, 0xffff, v80
	v_and_b32_e32 v11, 0xffff, v71
	s_waitcnt lgkmcnt(0)
	v_lshrrev_b32_e32 v4, 16, v0
	v_and_b32_e32 v0, 0xffff, v0
	;;#ASMSTART
	v_cvt_f32_f16 v0, v0;
	;;#ASMEND
	;;#ASMSTART
	v_cvt_f32_f16 v4, v4;
	;;#ASMEND
	;; [unrolled: 3-line block ×3, first 2 shown]
	s_delay_alu instid0(VALU_DEP_1)
	v_fmac_f32_e32 v16, v0, v10
	v_lshrrev_b32_e32 v0, 16, v1
	v_and_b32_e32 v1, 0xffff, v1
	;;#ASMSTART
	v_cvt_f32_f16 v11, v11;
	;;#ASMEND
	v_fmac_f32_e32 v17, v4, v11
	;;#ASMSTART
	v_cvt_f32_f16 v1, v1;
	;;#ASMEND
	;;#ASMSTART
	v_cvt_f32_f16 v0, v0;
	;;#ASMEND
	v_and_b32_e32 v4, 0xffff, v70
	v_and_b32_e32 v10, 0xffff, v69
	;;#ASMSTART
	v_cvt_f32_f16 v4, v4;
	;;#ASMEND
	;;#ASMSTART
	v_cvt_f32_f16 v10, v10;
	;;#ASMEND
	s_delay_alu instid0(VALU_DEP_1)
	v_dual_fmac_f32 v19, v1, v4 :: v_dual_fmac_f32 v18, v0, v10
	v_lshrrev_b32_e32 v0, 16, v2
	v_and_b32_e32 v1, 0xffff, v2
	v_and_b32_e32 v2, 0xffff, v68
	;;#ASMSTART
	v_cvt_f32_f16 v1, v1;
	;;#ASMEND
	;;#ASMSTART
	v_cvt_f32_f16 v0, v0;
	;;#ASMEND
	;; [unrolled: 3-line block ×3, first 2 shown]
	v_and_b32_e32 v4, 0xffff, v25
	;;#ASMSTART
	v_cvt_f32_f16 v4, v4;
	;;#ASMEND
	s_delay_alu instid0(VALU_DEP_1)
	v_dual_fmac_f32 v34, v1, v2 :: v_dual_fmac_f32 v23, v0, v4
	v_lshrrev_b32_e32 v0, 16, v3
	v_and_b32_e32 v1, 0xffff, v3
	v_and_b32_e32 v2, 0xffff, v37
	;; [unrolled: 1-line block ×3, first 2 shown]
	;;#ASMSTART
	v_cvt_f32_f16 v1, v1;
	;;#ASMEND
	;;#ASMSTART
	v_cvt_f32_f16 v0, v0;
	;;#ASMEND
	;; [unrolled: 3-line block ×4, first 2 shown]
	v_dual_fmac_f32 v36, v1, v2 :: v_dual_and_b32 v11, 0xffff, v52
	v_fmac_f32_e32 v35, v0, v3
	ds_load_b128 v[0:3], v9 offset:144
	v_and_b32_e32 v10, 0xffff, v65
	s_waitcnt lgkmcnt(0)
	v_lshrrev_b32_e32 v4, 16, v0
	v_and_b32_e32 v0, 0xffff, v0
	;;#ASMSTART
	v_cvt_f32_f16 v0, v0;
	;;#ASMEND
	;;#ASMSTART
	v_cvt_f32_f16 v4, v4;
	;;#ASMEND
	;; [unrolled: 3-line block ×3, first 2 shown]
	s_delay_alu instid0(VALU_DEP_1)
	v_fmac_f32_e32 v16, v0, v10
	v_lshrrev_b32_e32 v0, 16, v1
	v_and_b32_e32 v1, 0xffff, v1
	;;#ASMSTART
	v_cvt_f32_f16 v11, v11;
	;;#ASMEND
	v_fmac_f32_e32 v17, v4, v11
	;;#ASMSTART
	v_cvt_f32_f16 v1, v1;
	;;#ASMEND
	;;#ASMSTART
	v_cvt_f32_f16 v0, v0;
	;;#ASMEND
	v_and_b32_e32 v4, 0xffff, v51
	v_and_b32_e32 v10, 0xffff, v15
	;;#ASMSTART
	v_cvt_f32_f16 v4, v4;
	;;#ASMEND
	;;#ASMSTART
	v_cvt_f32_f16 v10, v10;
	;;#ASMEND
	s_delay_alu instid0(VALU_DEP_1)
	v_dual_fmac_f32 v19, v1, v4 :: v_dual_fmac_f32 v18, v0, v10
	v_lshrrev_b32_e32 v0, 16, v2
	v_and_b32_e32 v1, 0xffff, v2
	v_and_b32_e32 v2, 0xffff, v26
	;;#ASMSTART
	v_cvt_f32_f16 v1, v1;
	;;#ASMEND
	;;#ASMSTART
	v_cvt_f32_f16 v0, v0;
	;;#ASMEND
	;; [unrolled: 3-line block ×3, first 2 shown]
	v_and_b32_e32 v4, 0xffff, v53
	;;#ASMSTART
	v_cvt_f32_f16 v4, v4;
	;;#ASMEND
	v_dual_fmac_f32 v34, v1, v2 :: v_dual_and_b32 v1, 0xffff, v3
	s_delay_alu instid0(VALU_DEP_2)
	v_fmac_f32_e32 v23, v0, v4
	v_lshrrev_b32_e32 v0, 16, v3
	v_and_b32_e32 v2, 0xffff, v55
	;;#ASMSTART
	v_cvt_f32_f16 v1, v1;
	;;#ASMEND
	;;#ASMSTART
	v_cvt_f32_f16 v0, v0;
	;;#ASMEND
	;;#ASMSTART
	v_cvt_f32_f16 v2, v2;
	;;#ASMEND
	s_delay_alu instid0(VALU_DEP_1) | instskip(SKIP_1) | instid1(VALU_DEP_1)
	v_dual_fmac_f32 v36, v1, v2 :: v_dual_and_b32 v3, 0xffff, v5
	;;#ASMSTART
	v_cvt_f32_f16 v3, v3;
	;;#ASMEND
	v_fmac_f32_e32 v35, v0, v3
	ds_load_b128 v[0:3], v9 offset:160
	v_and_b32_e32 v5, 0xffff, v54
	v_and_b32_e32 v10, 0xffff, v42
	s_waitcnt lgkmcnt(0)
	v_lshrrev_b32_e32 v4, 16, v0
	v_and_b32_e32 v0, 0xffff, v0
	;;#ASMSTART
	v_cvt_f32_f16 v0, v0;
	;;#ASMEND
	;;#ASMSTART
	v_cvt_f32_f16 v4, v4;
	;;#ASMEND
	;; [unrolled: 3-line block ×3, first 2 shown]
	s_delay_alu instid0(VALU_DEP_1)
	v_fmac_f32_e32 v16, v0, v5
	v_lshrrev_b32_e32 v0, 16, v1
	v_and_b32_e32 v1, 0xffff, v1
	;;#ASMSTART
	v_cvt_f32_f16 v10, v10;
	;;#ASMEND
	v_fmac_f32_e32 v17, v4, v10
	;;#ASMSTART
	v_cvt_f32_f16 v1, v1;
	;;#ASMEND
	;;#ASMSTART
	v_cvt_f32_f16 v0, v0;
	;;#ASMEND
	v_and_b32_e32 v4, 0xffff, v183
	v_and_b32_e32 v5, 0xffff, v88
	;;#ASMSTART
	v_cvt_f32_f16 v4, v4;
	;;#ASMEND
	;;#ASMSTART
	v_cvt_f32_f16 v5, v5;
	;;#ASMEND
	s_delay_alu instid0(VALU_DEP_1)
	v_dual_fmac_f32 v19, v1, v4 :: v_dual_fmac_f32 v18, v0, v5
	v_lshrrev_b32_e32 v0, 16, v2
	v_and_b32_e32 v1, 0xffff, v2
	v_and_b32_e32 v2, 0xffff, v104
	;;#ASMSTART
	v_cvt_f32_f16 v1, v1;
	;;#ASMEND
	;;#ASMSTART
	v_cvt_f32_f16 v0, v0;
	;;#ASMEND
	;; [unrolled: 3-line block ×3, first 2 shown]
	v_and_b32_e32 v4, 0xffff, v95
	;;#ASMSTART
	v_cvt_f32_f16 v4, v4;
	;;#ASMEND
	s_delay_alu instid0(VALU_DEP_1)
	v_dual_fmac_f32 v34, v1, v2 :: v_dual_fmac_f32 v23, v0, v4
	v_lshrrev_b32_e32 v0, 16, v3
	v_and_b32_e32 v1, 0xffff, v3
	v_and_b32_e32 v2, 0xffff, v94
	;;#ASMSTART
	v_cvt_f32_f16 v1, v1;
	;;#ASMEND
	;;#ASMSTART
	v_cvt_f32_f16 v0, v0;
	;;#ASMEND
	;; [unrolled: 3-line block ×3, first 2 shown]
	s_delay_alu instid0(VALU_DEP_1) | instskip(SKIP_1) | instid1(VALU_DEP_1)
	v_dual_fmac_f32 v36, v1, v2 :: v_dual_and_b32 v3, 0xffff, v79
	;;#ASMSTART
	v_cvt_f32_f16 v3, v3;
	;;#ASMEND
	v_fmac_f32_e32 v35, v0, v3
	ds_load_b128 v[0:3], v9 offset:176
	v_and_b32_e32 v5, 0xffff, v120
	v_and_b32_e32 v10, 0xffff, v111
	s_waitcnt lgkmcnt(0)
	v_lshrrev_b32_e32 v4, 16, v0
	v_and_b32_e32 v0, 0xffff, v0
	;;#ASMSTART
	v_cvt_f32_f16 v0, v0;
	;;#ASMEND
	;;#ASMSTART
	v_cvt_f32_f16 v4, v4;
	;;#ASMEND
	;; [unrolled: 3-line block ×3, first 2 shown]
	s_delay_alu instid0(VALU_DEP_1)
	v_fmac_f32_e32 v16, v0, v5
	v_lshrrev_b32_e32 v0, 16, v1
	v_and_b32_e32 v1, 0xffff, v1
	;;#ASMSTART
	v_cvt_f32_f16 v10, v10;
	;;#ASMEND
	v_fmac_f32_e32 v17, v4, v10
	;;#ASMSTART
	v_cvt_f32_f16 v1, v1;
	;;#ASMEND
	;;#ASMSTART
	v_cvt_f32_f16 v0, v0;
	;;#ASMEND
	v_and_b32_e32 v4, 0xffff, v110
	v_and_b32_e32 v5, 0xffff, v93
	;;#ASMSTART
	v_cvt_f32_f16 v4, v4;
	;;#ASMEND
	;;#ASMSTART
	v_cvt_f32_f16 v5, v5;
	;;#ASMEND
	s_delay_alu instid0(VALU_DEP_1)
	v_dual_fmac_f32 v19, v1, v4 :: v_dual_fmac_f32 v18, v0, v5
	v_lshrrev_b32_e32 v0, 16, v2
	v_and_b32_e32 v1, 0xffff, v2
	v_and_b32_e32 v2, 0xffff, v92
	;;#ASMSTART
	v_cvt_f32_f16 v1, v1;
	;;#ASMEND
	;;#ASMSTART
	v_cvt_f32_f16 v0, v0;
	;;#ASMEND
	;; [unrolled: 3-line block ×3, first 2 shown]
	v_and_b32_e32 v4, 0xffff, v91
	;;#ASMSTART
	v_cvt_f32_f16 v4, v4;
	;;#ASMEND
	s_delay_alu instid0(VALU_DEP_1)
	v_dual_fmac_f32 v34, v1, v2 :: v_dual_fmac_f32 v23, v0, v4
	v_lshrrev_b32_e32 v0, 16, v3
	v_and_b32_e32 v1, 0xffff, v3
	v_and_b32_e32 v2, 0xffff, v90
	;; [unrolled: 1-line block ×3, first 2 shown]
	;;#ASMSTART
	v_cvt_f32_f16 v1, v1;
	;;#ASMEND
	;;#ASMSTART
	v_cvt_f32_f16 v0, v0;
	;;#ASMEND
	;; [unrolled: 3-line block ×4, first 2 shown]
	v_dual_fmac_f32 v36, v1, v2 :: v_dual_fmac_f32 v35, v0, v3
	ds_load_b128 v[0:3], v9 offset:192
	v_and_b32_e32 v5, 0xffff, v136
	v_and_b32_e32 v10, 0xffff, v127
	s_waitcnt lgkmcnt(0)
	v_lshrrev_b32_e32 v4, 16, v0
	v_and_b32_e32 v0, 0xffff, v0
	;;#ASMSTART
	v_cvt_f32_f16 v0, v0;
	;;#ASMEND
	;;#ASMSTART
	v_cvt_f32_f16 v4, v4;
	;;#ASMEND
	;; [unrolled: 3-line block ×3, first 2 shown]
	s_delay_alu instid0(VALU_DEP_1)
	v_fmac_f32_e32 v16, v0, v5
	v_lshrrev_b32_e32 v0, 16, v1
	v_and_b32_e32 v1, 0xffff, v1
	;;#ASMSTART
	v_cvt_f32_f16 v10, v10;
	;;#ASMEND
	v_fmac_f32_e32 v17, v4, v10
	;;#ASMSTART
	v_cvt_f32_f16 v1, v1;
	;;#ASMEND
	;;#ASMSTART
	v_cvt_f32_f16 v0, v0;
	;;#ASMEND
	v_and_b32_e32 v4, 0xffff, v126
	v_and_b32_e32 v5, 0xffff, v109
	;;#ASMSTART
	v_cvt_f32_f16 v4, v4;
	;;#ASMEND
	;;#ASMSTART
	v_cvt_f32_f16 v5, v5;
	;;#ASMEND
	s_delay_alu instid0(VALU_DEP_1)
	v_dual_fmac_f32 v19, v1, v4 :: v_dual_fmac_f32 v18, v0, v5
	v_lshrrev_b32_e32 v0, 16, v2
	v_and_b32_e32 v1, 0xffff, v2
	v_and_b32_e32 v2, 0xffff, v108
	;;#ASMSTART
	v_cvt_f32_f16 v1, v1;
	;;#ASMEND
	;;#ASMSTART
	v_cvt_f32_f16 v0, v0;
	;;#ASMEND
	;; [unrolled: 3-line block ×3, first 2 shown]
	v_and_b32_e32 v4, 0xffff, v107
	;;#ASMSTART
	v_cvt_f32_f16 v4, v4;
	;;#ASMEND
	s_delay_alu instid0(VALU_DEP_1)
	v_dual_fmac_f32 v34, v1, v2 :: v_dual_fmac_f32 v23, v0, v4
	v_lshrrev_b32_e32 v0, 16, v3
	v_and_b32_e32 v1, 0xffff, v3
	v_and_b32_e32 v2, 0xffff, v106
	;;#ASMSTART
	v_cvt_f32_f16 v1, v1;
	;;#ASMEND
	;;#ASMSTART
	v_cvt_f32_f16 v0, v0;
	;;#ASMEND
	;; [unrolled: 3-line block ×3, first 2 shown]
	s_delay_alu instid0(VALU_DEP_1) | instskip(SKIP_1) | instid1(VALU_DEP_1)
	v_dual_fmac_f32 v36, v1, v2 :: v_dual_and_b32 v3, 0xffff, v105
	;;#ASMSTART
	v_cvt_f32_f16 v3, v3;
	;;#ASMEND
	v_fmac_f32_e32 v35, v0, v3
	ds_load_b128 v[0:3], v9 offset:208
	v_and_b32_e32 v5, 0xffff, v152
	v_and_b32_e32 v10, 0xffff, v143
	s_waitcnt lgkmcnt(0)
	v_lshrrev_b32_e32 v4, 16, v0
	v_and_b32_e32 v0, 0xffff, v0
	;;#ASMSTART
	v_cvt_f32_f16 v0, v0;
	;;#ASMEND
	;;#ASMSTART
	v_cvt_f32_f16 v4, v4;
	;;#ASMEND
	;; [unrolled: 3-line block ×3, first 2 shown]
	s_delay_alu instid0(VALU_DEP_1)
	v_fmac_f32_e32 v16, v0, v5
	v_lshrrev_b32_e32 v0, 16, v1
	v_and_b32_e32 v1, 0xffff, v1
	;;#ASMSTART
	v_cvt_f32_f16 v10, v10;
	;;#ASMEND
	v_fmac_f32_e32 v17, v4, v10
	;;#ASMSTART
	v_cvt_f32_f16 v1, v1;
	;;#ASMEND
	;;#ASMSTART
	v_cvt_f32_f16 v0, v0;
	;;#ASMEND
	v_and_b32_e32 v4, 0xffff, v142
	v_and_b32_e32 v5, 0xffff, v125
	;;#ASMSTART
	v_cvt_f32_f16 v4, v4;
	;;#ASMEND
	;;#ASMSTART
	v_cvt_f32_f16 v5, v5;
	;;#ASMEND
	s_delay_alu instid0(VALU_DEP_1)
	v_dual_fmac_f32 v19, v1, v4 :: v_dual_fmac_f32 v18, v0, v5
	v_lshrrev_b32_e32 v0, 16, v2
	v_and_b32_e32 v1, 0xffff, v2
	v_and_b32_e32 v2, 0xffff, v124
	;;#ASMSTART
	v_cvt_f32_f16 v1, v1;
	;;#ASMEND
	;;#ASMSTART
	v_cvt_f32_f16 v0, v0;
	;;#ASMEND
	;; [unrolled: 3-line block ×3, first 2 shown]
	v_and_b32_e32 v4, 0xffff, v123
	;;#ASMSTART
	v_cvt_f32_f16 v4, v4;
	;;#ASMEND
	s_delay_alu instid0(VALU_DEP_1)
	v_dual_fmac_f32 v34, v1, v2 :: v_dual_fmac_f32 v23, v0, v4
	v_lshrrev_b32_e32 v0, 16, v3
	v_and_b32_e32 v1, 0xffff, v3
	v_and_b32_e32 v2, 0xffff, v7
	;; [unrolled: 1-line block ×3, first 2 shown]
	;;#ASMSTART
	v_cvt_f32_f16 v1, v1;
	;;#ASMEND
	;;#ASMSTART
	v_cvt_f32_f16 v0, v0;
	;;#ASMEND
	;; [unrolled: 3-line block ×4, first 2 shown]
	v_dual_fmac_f32 v36, v1, v2 :: v_dual_fmac_f32 v35, v0, v3
	ds_load_b128 v[0:3], v9 offset:224
	v_and_b32_e32 v5, 0xffff, v168
	v_and_b32_e32 v7, 0xffff, v8
	s_waitcnt lgkmcnt(0)
	v_lshrrev_b32_e32 v4, 16, v0
	v_and_b32_e32 v0, 0xffff, v0
	;;#ASMSTART
	v_cvt_f32_f16 v0, v0;
	;;#ASMEND
	;;#ASMSTART
	v_cvt_f32_f16 v4, v4;
	;;#ASMEND
	;; [unrolled: 3-line block ×3, first 2 shown]
	s_delay_alu instid0(VALU_DEP_1)
	v_fmac_f32_e32 v16, v0, v5
	v_lshrrev_b32_e32 v0, 16, v1
	v_and_b32_e32 v1, 0xffff, v1
	;;#ASMSTART
	v_cvt_f32_f16 v7, v7;
	;;#ASMEND
	v_fmac_f32_e32 v17, v4, v7
	;;#ASMSTART
	v_cvt_f32_f16 v1, v1;
	;;#ASMEND
	;;#ASMSTART
	v_cvt_f32_f16 v0, v0;
	;;#ASMEND
	v_and_b32_e32 v4, 0xffff, v12
	v_and_b32_e32 v5, 0xffff, v21
	;;#ASMSTART
	v_cvt_f32_f16 v4, v4;
	;;#ASMEND
	;;#ASMSTART
	v_cvt_f32_f16 v5, v5;
	;;#ASMEND
	s_delay_alu instid0(VALU_DEP_1)
	v_dual_fmac_f32 v19, v1, v4 :: v_dual_fmac_f32 v18, v0, v5
	v_lshrrev_b32_e32 v0, 16, v2
	v_and_b32_e32 v1, 0xffff, v2
	v_and_b32_e32 v2, 0xffff, v27
	;;#ASMSTART
	v_cvt_f32_f16 v1, v1;
	;;#ASMEND
	;;#ASMSTART
	v_cvt_f32_f16 v0, v0;
	;;#ASMEND
	;; [unrolled: 3-line block ×3, first 2 shown]
	v_and_b32_e32 v4, 0xffff, v28
	;;#ASMSTART
	v_cvt_f32_f16 v4, v4;
	;;#ASMEND
	s_delay_alu instid0(VALU_DEP_1)
	v_dual_fmac_f32 v34, v1, v2 :: v_dual_fmac_f32 v23, v0, v4
	v_lshrrev_b32_e32 v0, 16, v3
	v_and_b32_e32 v1, 0xffff, v3
	v_and_b32_e32 v2, 0xffff, v29
	;; [unrolled: 1-line block ×3, first 2 shown]
	;;#ASMSTART
	v_cvt_f32_f16 v1, v1;
	;;#ASMEND
	;;#ASMSTART
	v_cvt_f32_f16 v0, v0;
	;;#ASMEND
	;; [unrolled: 3-line block ×4, first 2 shown]
	v_dual_fmac_f32 v36, v1, v2 :: v_dual_fmac_f32 v35, v0, v3
	ds_load_b128 v[0:3], v9 offset:240
	v_and_b32_e32 v5, 0xffff, v184
	v_and_b32_e32 v7, 0xffff, v31
	s_waitcnt lgkmcnt(0)
	v_lshrrev_b32_e32 v4, 16, v0
	v_and_b32_e32 v0, 0xffff, v0
	;;#ASMSTART
	v_cvt_f32_f16 v0, v0;
	;;#ASMEND
	;;#ASMSTART
	v_cvt_f32_f16 v4, v4;
	;;#ASMEND
	;; [unrolled: 3-line block ×3, first 2 shown]
	s_delay_alu instid0(VALU_DEP_1)
	v_fmac_f32_e32 v16, v0, v5
	v_lshrrev_b32_e32 v0, 16, v1
	v_and_b32_e32 v1, 0xffff, v1
	;;#ASMSTART
	v_cvt_f32_f16 v7, v7;
	;;#ASMEND
	v_fmac_f32_e32 v17, v4, v7
	;;#ASMSTART
	v_cvt_f32_f16 v1, v1;
	;;#ASMEND
	;;#ASMSTART
	v_cvt_f32_f16 v0, v0;
	;;#ASMEND
	v_and_b32_e32 v4, 0xffff, v167
	v_and_b32_e32 v5, 0xffff, v32
	;;#ASMSTART
	v_cvt_f32_f16 v4, v4;
	;;#ASMEND
	;;#ASMSTART
	v_cvt_f32_f16 v5, v5;
	;;#ASMEND
	s_delay_alu instid0(VALU_DEP_1)
	v_dual_fmac_f32 v19, v1, v4 :: v_dual_fmac_f32 v18, v0, v5
	v_lshrrev_b32_e32 v0, 16, v2
	v_and_b32_e32 v1, 0xffff, v2
	v_and_b32_e32 v2, 0xffff, v33
	;;#ASMSTART
	v_cvt_f32_f16 v1, v1;
	;;#ASMEND
	;;#ASMSTART
	v_cvt_f32_f16 v0, v0;
	;;#ASMEND
	;;#ASMSTART
	v_cvt_f32_f16 v2, v2;
	;;#ASMEND
	v_and_b32_e32 v4, 0xffff, v97
	;;#ASMSTART
	v_cvt_f32_f16 v4, v4;
	;;#ASMEND
	s_delay_alu instid0(VALU_DEP_1)
	v_dual_fmac_f32 v34, v1, v2 :: v_dual_fmac_f32 v23, v0, v4
	v_lshrrev_b32_e32 v0, 16, v3
	v_and_b32_e32 v1, 0xffff, v3
	v_and_b32_e32 v2, 0xffff, v86
	;; [unrolled: 1-line block ×3, first 2 shown]
	;;#ASMSTART
	v_cvt_f32_f16 v1, v1;
	;;#ASMEND
	;;#ASMSTART
	v_cvt_f32_f16 v0, v0;
	;;#ASMEND
	;; [unrolled: 3-line block ×4, first 2 shown]
	v_dual_fmac_f32 v36, v1, v2 :: v_dual_fmac_f32 v35, v0, v3
	ds_load_b128 v[0:3], v9 offset:256
	v_and_b32_e32 v5, 0xffff, v98
	v_and_b32_e32 v7, 0xffff, v103
	s_waitcnt lgkmcnt(0)
	v_lshrrev_b32_e32 v4, 16, v0
	v_and_b32_e32 v0, 0xffff, v0
	;;#ASMSTART
	v_cvt_f32_f16 v0, v0;
	;;#ASMEND
	;;#ASMSTART
	v_cvt_f32_f16 v4, v4;
	;;#ASMEND
	;; [unrolled: 3-line block ×3, first 2 shown]
	s_delay_alu instid0(VALU_DEP_1)
	v_fmac_f32_e32 v16, v0, v5
	v_lshrrev_b32_e32 v0, 16, v1
	v_and_b32_e32 v1, 0xffff, v1
	;;#ASMSTART
	v_cvt_f32_f16 v7, v7;
	;;#ASMEND
	v_fmac_f32_e32 v17, v4, v7
	;;#ASMSTART
	v_cvt_f32_f16 v1, v1;
	;;#ASMEND
	;;#ASMSTART
	v_cvt_f32_f16 v0, v0;
	;;#ASMEND
	v_and_b32_e32 v4, 0xffff, v112
	v_and_b32_e32 v5, 0xffff, v113
	;;#ASMSTART
	v_cvt_f32_f16 v4, v4;
	;;#ASMEND
	;;#ASMSTART
	v_cvt_f32_f16 v5, v5;
	;;#ASMEND
	s_delay_alu instid0(VALU_DEP_1)
	v_dual_fmac_f32 v19, v1, v4 :: v_dual_fmac_f32 v18, v0, v5
	v_lshrrev_b32_e32 v0, 16, v2
	v_and_b32_e32 v1, 0xffff, v2
	v_and_b32_e32 v2, 0xffff, v115
	;;#ASMSTART
	v_cvt_f32_f16 v1, v1;
	;;#ASMEND
	;;#ASMSTART
	v_cvt_f32_f16 v0, v0;
	;;#ASMEND
	;; [unrolled: 3-line block ×3, first 2 shown]
	v_and_b32_e32 v4, 0xffff, v116
	;;#ASMSTART
	v_cvt_f32_f16 v4, v4;
	;;#ASMEND
	s_delay_alu instid0(VALU_DEP_1)
	v_dual_fmac_f32 v34, v1, v2 :: v_dual_fmac_f32 v23, v0, v4
	v_lshrrev_b32_e32 v0, 16, v3
	v_and_b32_e32 v1, 0xffff, v3
	v_and_b32_e32 v2, 0xffff, v117
	;; [unrolled: 1-line block ×3, first 2 shown]
	;;#ASMSTART
	v_cvt_f32_f16 v1, v1;
	;;#ASMEND
	;;#ASMSTART
	v_cvt_f32_f16 v0, v0;
	;;#ASMEND
	;; [unrolled: 3-line block ×4, first 2 shown]
	v_dual_fmac_f32 v36, v1, v2 :: v_dual_fmac_f32 v35, v0, v3
	ds_load_b128 v[0:3], v9 offset:272
	v_and_b32_e32 v5, 0xffff, v118
	v_and_b32_e32 v7, 0xffff, v132
	s_waitcnt lgkmcnt(0)
	v_lshrrev_b32_e32 v4, 16, v0
	v_and_b32_e32 v0, 0xffff, v0
	;;#ASMSTART
	v_cvt_f32_f16 v0, v0;
	;;#ASMEND
	;;#ASMSTART
	v_cvt_f32_f16 v4, v4;
	;;#ASMEND
	;; [unrolled: 3-line block ×3, first 2 shown]
	s_delay_alu instid0(VALU_DEP_1)
	v_fmac_f32_e32 v16, v0, v5
	v_lshrrev_b32_e32 v0, 16, v1
	v_and_b32_e32 v1, 0xffff, v1
	;;#ASMSTART
	v_cvt_f32_f16 v7, v7;
	;;#ASMEND
	v_fmac_f32_e32 v17, v4, v7
	;;#ASMSTART
	v_cvt_f32_f16 v1, v1;
	;;#ASMEND
	;;#ASMSTART
	v_cvt_f32_f16 v0, v0;
	;;#ASMEND
	v_and_b32_e32 v4, 0xffff, v133
	v_and_b32_e32 v5, 0xffff, v135
	;;#ASMSTART
	v_cvt_f32_f16 v4, v4;
	;;#ASMEND
	;;#ASMSTART
	v_cvt_f32_f16 v5, v5;
	;;#ASMEND
	s_delay_alu instid0(VALU_DEP_1)
	v_dual_fmac_f32 v19, v1, v4 :: v_dual_fmac_f32 v18, v0, v5
	v_lshrrev_b32_e32 v0, 16, v2
	v_and_b32_e32 v1, 0xffff, v2
	v_and_b32_e32 v2, 0xffff, v144
	;;#ASMSTART
	v_cvt_f32_f16 v1, v1;
	;;#ASMEND
	;;#ASMSTART
	v_cvt_f32_f16 v0, v0;
	;;#ASMEND
	;; [unrolled: 3-line block ×3, first 2 shown]
	v_and_b32_e32 v4, 0xffff, v145
	;;#ASMSTART
	v_cvt_f32_f16 v4, v4;
	;;#ASMEND
	s_delay_alu instid0(VALU_DEP_1)
	v_dual_fmac_f32 v34, v1, v2 :: v_dual_fmac_f32 v23, v0, v4
	v_lshrrev_b32_e32 v0, 16, v3
	v_and_b32_e32 v1, 0xffff, v3
	v_and_b32_e32 v2, 0xffff, v182
	;; [unrolled: 1-line block ×3, first 2 shown]
	;;#ASMSTART
	v_cvt_f32_f16 v1, v1;
	;;#ASMEND
	;;#ASMSTART
	v_cvt_f32_f16 v0, v0;
	;;#ASMEND
	;; [unrolled: 3-line block ×4, first 2 shown]
	v_dual_fmac_f32 v36, v1, v2 :: v_dual_fmac_f32 v35, v0, v3
	ds_load_b128 v[0:3], v9 offset:288
	v_and_b32_e32 v5, 0xffff, v147
	v_and_b32_e32 v7, 0xffff, v148
	s_waitcnt lgkmcnt(0)
	v_lshrrev_b32_e32 v4, 16, v0
	v_and_b32_e32 v0, 0xffff, v0
	;;#ASMSTART
	v_cvt_f32_f16 v0, v0;
	;;#ASMEND
	;;#ASMSTART
	v_cvt_f32_f16 v4, v4;
	;;#ASMEND
	;; [unrolled: 3-line block ×3, first 2 shown]
	s_delay_alu instid0(VALU_DEP_1)
	v_fmac_f32_e32 v16, v0, v5
	v_lshrrev_b32_e32 v0, 16, v1
	v_and_b32_e32 v1, 0xffff, v1
	;;#ASMSTART
	v_cvt_f32_f16 v7, v7;
	;;#ASMEND
	v_fmac_f32_e32 v17, v4, v7
	;;#ASMSTART
	v_cvt_f32_f16 v1, v1;
	;;#ASMEND
	;;#ASMSTART
	v_cvt_f32_f16 v0, v0;
	;;#ASMEND
	v_and_b32_e32 v4, 0xffff, v149
	v_and_b32_e32 v5, 0xffff, v160
	;;#ASMSTART
	v_cvt_f32_f16 v4, v4;
	;;#ASMEND
	;;#ASMSTART
	v_cvt_f32_f16 v5, v5;
	;;#ASMEND
	s_delay_alu instid0(VALU_DEP_1)
	v_dual_fmac_f32 v19, v1, v4 :: v_dual_fmac_f32 v18, v0, v5
	v_lshrrev_b32_e32 v0, 16, v2
	v_and_b32_e32 v1, 0xffff, v2
	v_and_b32_e32 v2, 0xffff, v161
	;;#ASMSTART
	v_cvt_f32_f16 v1, v1;
	;;#ASMEND
	;;#ASMSTART
	v_cvt_f32_f16 v0, v0;
	;;#ASMEND
	;; [unrolled: 3-line block ×3, first 2 shown]
	v_and_b32_e32 v4, 0xffff, v162
	;;#ASMSTART
	v_cvt_f32_f16 v4, v4;
	;;#ASMEND
	s_delay_alu instid0(VALU_DEP_1)
	v_dual_fmac_f32 v34, v1, v2 :: v_dual_fmac_f32 v23, v0, v4
	v_lshrrev_b32_e32 v0, 16, v3
	v_and_b32_e32 v1, 0xffff, v3
	v_and_b32_e32 v2, 0xffff, v163
	;; [unrolled: 1-line block ×3, first 2 shown]
	;;#ASMSTART
	v_cvt_f32_f16 v1, v1;
	;;#ASMEND
	;;#ASMSTART
	v_cvt_f32_f16 v0, v0;
	;;#ASMEND
	;; [unrolled: 3-line block ×4, first 2 shown]
	v_dual_fmac_f32 v36, v1, v2 :: v_dual_fmac_f32 v35, v0, v3
	ds_load_b128 v[0:3], v9 offset:304
	v_and_b32_e32 v5, 0xffff, v165
	v_and_b32_e32 v7, 0xffff, v177
	s_waitcnt lgkmcnt(0)
	v_lshrrev_b32_e32 v4, 16, v0
	v_and_b32_e32 v0, 0xffff, v0
	;;#ASMSTART
	v_cvt_f32_f16 v0, v0;
	;;#ASMEND
	;;#ASMSTART
	v_cvt_f32_f16 v4, v4;
	;;#ASMEND
	;; [unrolled: 3-line block ×3, first 2 shown]
	s_delay_alu instid0(VALU_DEP_1)
	v_fmac_f32_e32 v16, v0, v5
	v_lshrrev_b32_e32 v0, 16, v1
	v_and_b32_e32 v1, 0xffff, v1
	;;#ASMSTART
	v_cvt_f32_f16 v7, v7;
	;;#ASMEND
	v_fmac_f32_e32 v17, v4, v7
	;;#ASMSTART
	v_cvt_f32_f16 v1, v1;
	;;#ASMEND
	;;#ASMSTART
	v_cvt_f32_f16 v0, v0;
	;;#ASMEND
	v_and_b32_e32 v4, 0xffff, v178
	v_and_b32_e32 v5, 0xffff, v179
	;;#ASMSTART
	v_cvt_f32_f16 v4, v4;
	;;#ASMEND
	;;#ASMSTART
	v_cvt_f32_f16 v5, v5;
	;;#ASMEND
	s_delay_alu instid0(VALU_DEP_1)
	v_dual_fmac_f32 v19, v1, v4 :: v_dual_fmac_f32 v18, v0, v5
	v_lshrrev_b32_e32 v0, 16, v2
	v_and_b32_e32 v1, 0xffff, v2
	v_and_b32_e32 v2, 0xffff, v180
	;;#ASMSTART
	v_cvt_f32_f16 v1, v1;
	;;#ASMEND
	;;#ASMSTART
	v_cvt_f32_f16 v0, v0;
	;;#ASMEND
	;; [unrolled: 3-line block ×3, first 2 shown]
	v_and_b32_e32 v4, 0xffff, v181
	;;#ASMSTART
	v_cvt_f32_f16 v4, v4;
	;;#ASMEND
	s_delay_alu instid0(VALU_DEP_1)
	v_dual_fmac_f32 v34, v1, v2 :: v_dual_fmac_f32 v23, v0, v4
	v_lshrrev_b32_e32 v0, 16, v3
	v_and_b32_e32 v1, 0xffff, v3
	v_and_b32_e32 v2, 0xffff, v40
	;; [unrolled: 1-line block ×3, first 2 shown]
	;;#ASMSTART
	v_cvt_f32_f16 v1, v1;
	;;#ASMEND
	;;#ASMSTART
	v_cvt_f32_f16 v0, v0;
	;;#ASMEND
	;; [unrolled: 3-line block ×4, first 2 shown]
	v_dual_fmac_f32 v36, v1, v2 :: v_dual_fmac_f32 v35, v0, v3
	ds_load_b128 v[0:3], v9 offset:320
	v_and_b32_e32 v5, 0xffff, v43
	v_and_b32_e32 v7, 0xffff, v44
	s_waitcnt lgkmcnt(0)
	v_lshrrev_b32_e32 v4, 16, v0
	v_and_b32_e32 v0, 0xffff, v0
	;;#ASMSTART
	v_cvt_f32_f16 v0, v0;
	;;#ASMEND
	;;#ASMSTART
	v_cvt_f32_f16 v4, v4;
	;;#ASMEND
	;; [unrolled: 3-line block ×3, first 2 shown]
	s_delay_alu instid0(VALU_DEP_1)
	v_fmac_f32_e32 v16, v0, v5
	v_lshrrev_b32_e32 v0, 16, v1
	v_and_b32_e32 v1, 0xffff, v1
	;;#ASMSTART
	v_cvt_f32_f16 v7, v7;
	;;#ASMEND
	v_fmac_f32_e32 v17, v4, v7
	;;#ASMSTART
	v_cvt_f32_f16 v1, v1;
	;;#ASMEND
	;;#ASMSTART
	v_cvt_f32_f16 v0, v0;
	;;#ASMEND
	v_and_b32_e32 v4, 0xffff, v45
	v_and_b32_e32 v5, 0xffff, v47
	;;#ASMSTART
	v_cvt_f32_f16 v4, v4;
	;;#ASMEND
	;;#ASMSTART
	v_cvt_f32_f16 v5, v5;
	;;#ASMEND
	s_delay_alu instid0(VALU_DEP_1)
	v_dual_fmac_f32 v19, v1, v4 :: v_dual_fmac_f32 v18, v0, v5
	v_lshrrev_b32_e32 v0, 16, v2
	v_and_b32_e32 v1, 0xffff, v2
	;;#ASMSTART
	v_cvt_f32_f16 v1, v1;
	;;#ASMEND
	;;#ASMSTART
	v_cvt_f32_f16 v0, v0;
	;;#ASMEND
	scratch_load_b32 v2, off, s32 offset:1000 ; 4-byte Folded Reload
	s_waitcnt vmcnt(0)
	v_and_b32_e32 v2, 0xffff, v2
	;;#ASMSTART
	v_cvt_f32_f16 v2, v2;
	;;#ASMEND
	scratch_load_b32 v4, off, s32 offset:996 ; 4-byte Folded Reload
	v_dual_fmac_f32 v34, v1, v2 :: v_dual_and_b32 v1, 0xffff, v3
	s_waitcnt vmcnt(0)
	v_and_b32_e32 v4, 0xffff, v4
	;;#ASMSTART
	v_cvt_f32_f16 v4, v4;
	;;#ASMEND
	s_delay_alu instid0(VALU_DEP_1)
	v_fmac_f32_e32 v23, v0, v4
	v_lshrrev_b32_e32 v0, 16, v3
	;;#ASMSTART
	v_cvt_f32_f16 v1, v1;
	;;#ASMEND
	;;#ASMSTART
	v_cvt_f32_f16 v0, v0;
	;;#ASMEND
	scratch_load_b32 v2, off, s32 offset:992 ; 4-byte Folded Reload
	s_waitcnt vmcnt(0)
	v_and_b32_e32 v2, 0xffff, v2
	;;#ASMSTART
	v_cvt_f32_f16 v2, v2;
	;;#ASMEND
	scratch_load_b32 v3, off, s32 offset:988 ; 4-byte Folded Reload
	s_waitcnt vmcnt(0)
	v_dual_fmac_f32 v36, v1, v2 :: v_dual_and_b32 v3, 0xffff, v3
	;;#ASMSTART
	v_cvt_f32_f16 v3, v3;
	;;#ASMEND
	s_delay_alu instid0(VALU_DEP_1)
	v_fmac_f32_e32 v35, v0, v3
	ds_load_b128 v[0:3], v9 offset:336
	s_waitcnt lgkmcnt(0)
	v_lshrrev_b32_e32 v4, 16, v0
	v_and_b32_e32 v0, 0xffff, v0
	;;#ASMSTART
	v_cvt_f32_f16 v0, v0;
	;;#ASMEND
	;;#ASMSTART
	v_cvt_f32_f16 v4, v4;
	;;#ASMEND
	scratch_load_b32 v5, off, s32 offset:984 ; 4-byte Folded Reload
	s_waitcnt vmcnt(0)
	v_and_b32_e32 v5, 0xffff, v5
	;;#ASMSTART
	v_cvt_f32_f16 v5, v5;
	;;#ASMEND
	scratch_load_b32 v7, off, s32 offset:980 ; 4-byte Folded Reload
	v_fmac_f32_e32 v16, v0, v5
	v_lshrrev_b32_e32 v0, 16, v1
	v_and_b32_e32 v1, 0xffff, v1
	s_waitcnt vmcnt(0)
	v_and_b32_e32 v7, 0xffff, v7
	;;#ASMSTART
	v_cvt_f32_f16 v7, v7;
	;;#ASMEND
	s_delay_alu instid0(VALU_DEP_1)
	v_fmac_f32_e32 v17, v4, v7
	;;#ASMSTART
	v_cvt_f32_f16 v1, v1;
	;;#ASMEND
	;;#ASMSTART
	v_cvt_f32_f16 v0, v0;
	;;#ASMEND
	scratch_load_b32 v4, off, s32 offset:976 ; 4-byte Folded Reload
	s_waitcnt vmcnt(0)
	v_and_b32_e32 v4, 0xffff, v4
	;;#ASMSTART
	v_cvt_f32_f16 v4, v4;
	;;#ASMEND
	scratch_load_b32 v5, off, s32 offset:972 ; 4-byte Folded Reload
	v_fmac_f32_e32 v19, v1, v4
	v_and_b32_e32 v1, 0xffff, v2
	s_waitcnt vmcnt(0)
	v_and_b32_e32 v5, 0xffff, v5
	;;#ASMSTART
	v_cvt_f32_f16 v5, v5;
	;;#ASMEND
	s_delay_alu instid0(VALU_DEP_1)
	v_fmac_f32_e32 v18, v0, v5
	v_lshrrev_b32_e32 v0, 16, v2
	;;#ASMSTART
	v_cvt_f32_f16 v1, v1;
	;;#ASMEND
	;;#ASMSTART
	v_cvt_f32_f16 v0, v0;
	;;#ASMEND
	scratch_load_b32 v2, off, s32 offset:968 ; 4-byte Folded Reload
	s_waitcnt vmcnt(0)
	v_and_b32_e32 v2, 0xffff, v2
	;;#ASMSTART
	v_cvt_f32_f16 v2, v2;
	;;#ASMEND
	scratch_load_b32 v4, off, s32 offset:964 ; 4-byte Folded Reload
	v_dual_fmac_f32 v34, v1, v2 :: v_dual_and_b32 v1, 0xffff, v3
	s_waitcnt vmcnt(0)
	v_and_b32_e32 v4, 0xffff, v4
	;;#ASMSTART
	v_cvt_f32_f16 v4, v4;
	;;#ASMEND
	s_delay_alu instid0(VALU_DEP_1)
	v_fmac_f32_e32 v23, v0, v4
	v_lshrrev_b32_e32 v0, 16, v3
	;;#ASMSTART
	v_cvt_f32_f16 v1, v1;
	;;#ASMEND
	;;#ASMSTART
	v_cvt_f32_f16 v0, v0;
	;;#ASMEND
	scratch_load_b32 v2, off, s32 offset:960 ; 4-byte Folded Reload
	s_waitcnt vmcnt(0)
	v_and_b32_e32 v2, 0xffff, v2
	;;#ASMSTART
	v_cvt_f32_f16 v2, v2;
	;;#ASMEND
	scratch_load_b32 v3, off, s32 offset:956 ; 4-byte Folded Reload
	s_waitcnt vmcnt(0)
	v_dual_fmac_f32 v36, v1, v2 :: v_dual_and_b32 v3, 0xffff, v3
	;;#ASMSTART
	v_cvt_f32_f16 v3, v3;
	;;#ASMEND
	s_delay_alu instid0(VALU_DEP_1)
	v_fmac_f32_e32 v35, v0, v3
	ds_load_b128 v[0:3], v9 offset:352
	s_waitcnt lgkmcnt(0)
	v_lshrrev_b32_e32 v4, 16, v0
	v_and_b32_e32 v0, 0xffff, v0
	;;#ASMSTART
	v_cvt_f32_f16 v0, v0;
	;;#ASMEND
	;;#ASMSTART
	v_cvt_f32_f16 v4, v4;
	;;#ASMEND
	scratch_load_b32 v5, off, s32 offset:952 ; 4-byte Folded Reload
	s_waitcnt vmcnt(0)
	v_and_b32_e32 v5, 0xffff, v5
	;;#ASMSTART
	v_cvt_f32_f16 v5, v5;
	;;#ASMEND
	scratch_load_b32 v7, off, s32 offset:948 ; 4-byte Folded Reload
	v_fmac_f32_e32 v16, v0, v5
	v_lshrrev_b32_e32 v0, 16, v1
	v_and_b32_e32 v1, 0xffff, v1
	s_waitcnt vmcnt(0)
	v_and_b32_e32 v7, 0xffff, v7
	;;#ASMSTART
	v_cvt_f32_f16 v7, v7;
	;;#ASMEND
	s_delay_alu instid0(VALU_DEP_1)
	v_fmac_f32_e32 v17, v4, v7
	;;#ASMSTART
	v_cvt_f32_f16 v1, v1;
	;;#ASMEND
	;;#ASMSTART
	v_cvt_f32_f16 v0, v0;
	;;#ASMEND
	scratch_load_b32 v4, off, s32 offset:944 ; 4-byte Folded Reload
	s_waitcnt vmcnt(0)
	v_and_b32_e32 v4, 0xffff, v4
	;;#ASMSTART
	v_cvt_f32_f16 v4, v4;
	;;#ASMEND
	scratch_load_b32 v5, off, s32 offset:940 ; 4-byte Folded Reload
	v_fmac_f32_e32 v19, v1, v4
	v_and_b32_e32 v1, 0xffff, v2
	s_waitcnt vmcnt(0)
	v_and_b32_e32 v5, 0xffff, v5
	;;#ASMSTART
	v_cvt_f32_f16 v5, v5;
	;;#ASMEND
	s_delay_alu instid0(VALU_DEP_1)
	v_fmac_f32_e32 v18, v0, v5
	v_lshrrev_b32_e32 v0, 16, v2
	;;#ASMSTART
	v_cvt_f32_f16 v1, v1;
	;;#ASMEND
	;;#ASMSTART
	v_cvt_f32_f16 v0, v0;
	;;#ASMEND
	scratch_load_b32 v2, off, s32 offset:936 ; 4-byte Folded Reload
	s_waitcnt vmcnt(0)
	v_and_b32_e32 v2, 0xffff, v2
	;;#ASMSTART
	v_cvt_f32_f16 v2, v2;
	;;#ASMEND
	scratch_load_b32 v4, off, s32 offset:932 ; 4-byte Folded Reload
	v_dual_fmac_f32 v34, v1, v2 :: v_dual_and_b32 v1, 0xffff, v3
	s_waitcnt vmcnt(0)
	v_and_b32_e32 v4, 0xffff, v4
	;;#ASMSTART
	v_cvt_f32_f16 v4, v4;
	;;#ASMEND
	s_delay_alu instid0(VALU_DEP_1)
	v_fmac_f32_e32 v23, v0, v4
	v_lshrrev_b32_e32 v0, 16, v3
	;;#ASMSTART
	v_cvt_f32_f16 v1, v1;
	;;#ASMEND
	;;#ASMSTART
	v_cvt_f32_f16 v0, v0;
	;;#ASMEND
	scratch_load_b32 v2, off, s32 offset:928 ; 4-byte Folded Reload
	s_waitcnt vmcnt(0)
	v_and_b32_e32 v2, 0xffff, v2
	;;#ASMSTART
	v_cvt_f32_f16 v2, v2;
	;;#ASMEND
	scratch_load_b32 v3, off, s32 offset:924 ; 4-byte Folded Reload
	s_waitcnt vmcnt(0)
	v_dual_fmac_f32 v36, v1, v2 :: v_dual_and_b32 v3, 0xffff, v3
	;;#ASMSTART
	v_cvt_f32_f16 v3, v3;
	;;#ASMEND
	s_delay_alu instid0(VALU_DEP_1)
	v_fmac_f32_e32 v35, v0, v3
	ds_load_b128 v[0:3], v9 offset:368
	s_waitcnt lgkmcnt(0)
	v_lshrrev_b32_e32 v4, 16, v0
	v_and_b32_e32 v0, 0xffff, v0
	;;#ASMSTART
	v_cvt_f32_f16 v0, v0;
	;;#ASMEND
	;;#ASMSTART
	v_cvt_f32_f16 v4, v4;
	;;#ASMEND
	scratch_load_b32 v5, off, s32 offset:920 ; 4-byte Folded Reload
	s_waitcnt vmcnt(0)
	v_and_b32_e32 v5, 0xffff, v5
	;;#ASMSTART
	v_cvt_f32_f16 v5, v5;
	;;#ASMEND
	scratch_load_b32 v7, off, s32 offset:916 ; 4-byte Folded Reload
	v_fmac_f32_e32 v16, v0, v5
	v_lshrrev_b32_e32 v0, 16, v1
	v_and_b32_e32 v1, 0xffff, v1
	s_waitcnt vmcnt(0)
	v_and_b32_e32 v7, 0xffff, v7
	;;#ASMSTART
	v_cvt_f32_f16 v7, v7;
	;;#ASMEND
	s_delay_alu instid0(VALU_DEP_1)
	v_fmac_f32_e32 v17, v4, v7
	;;#ASMSTART
	v_cvt_f32_f16 v1, v1;
	;;#ASMEND
	;;#ASMSTART
	v_cvt_f32_f16 v0, v0;
	;;#ASMEND
	scratch_load_b32 v4, off, s32 offset:912 ; 4-byte Folded Reload
	s_waitcnt vmcnt(0)
	v_and_b32_e32 v4, 0xffff, v4
	;;#ASMSTART
	v_cvt_f32_f16 v4, v4;
	;;#ASMEND
	scratch_load_b32 v5, off, s32 offset:908 ; 4-byte Folded Reload
	v_fmac_f32_e32 v19, v1, v4
	v_and_b32_e32 v1, 0xffff, v2
	s_waitcnt vmcnt(0)
	v_and_b32_e32 v5, 0xffff, v5
	;;#ASMSTART
	v_cvt_f32_f16 v5, v5;
	;;#ASMEND
	s_delay_alu instid0(VALU_DEP_1)
	v_fmac_f32_e32 v18, v0, v5
	v_lshrrev_b32_e32 v0, 16, v2
	;;#ASMSTART
	v_cvt_f32_f16 v1, v1;
	;;#ASMEND
	;;#ASMSTART
	v_cvt_f32_f16 v0, v0;
	;;#ASMEND
	scratch_load_b32 v2, off, s32 offset:904 ; 4-byte Folded Reload
	s_waitcnt vmcnt(0)
	v_and_b32_e32 v2, 0xffff, v2
	;;#ASMSTART
	v_cvt_f32_f16 v2, v2;
	;;#ASMEND
	scratch_load_b32 v4, off, s32 offset:900 ; 4-byte Folded Reload
	v_dual_fmac_f32 v34, v1, v2 :: v_dual_and_b32 v1, 0xffff, v3
	s_waitcnt vmcnt(0)
	v_and_b32_e32 v4, 0xffff, v4
	;;#ASMSTART
	v_cvt_f32_f16 v4, v4;
	;;#ASMEND
	s_delay_alu instid0(VALU_DEP_1)
	v_fmac_f32_e32 v23, v0, v4
	v_lshrrev_b32_e32 v0, 16, v3
	;;#ASMSTART
	v_cvt_f32_f16 v1, v1;
	;;#ASMEND
	;;#ASMSTART
	v_cvt_f32_f16 v0, v0;
	;;#ASMEND
	scratch_load_b32 v2, off, s32 offset:896 ; 4-byte Folded Reload
	s_waitcnt vmcnt(0)
	v_and_b32_e32 v2, 0xffff, v2
	;;#ASMSTART
	v_cvt_f32_f16 v2, v2;
	;;#ASMEND
	scratch_load_b32 v3, off, s32 offset:892 ; 4-byte Folded Reload
	s_waitcnt vmcnt(0)
	v_dual_fmac_f32 v36, v1, v2 :: v_dual_and_b32 v3, 0xffff, v3
	;;#ASMSTART
	v_cvt_f32_f16 v3, v3;
	;;#ASMEND
	s_delay_alu instid0(VALU_DEP_1)
	v_fmac_f32_e32 v35, v0, v3
	ds_load_b128 v[0:3], v9 offset:384
	s_waitcnt lgkmcnt(0)
	v_lshrrev_b32_e32 v4, 16, v0
	v_and_b32_e32 v0, 0xffff, v0
	;;#ASMSTART
	v_cvt_f32_f16 v0, v0;
	;;#ASMEND
	;;#ASMSTART
	v_cvt_f32_f16 v4, v4;
	;;#ASMEND
	scratch_load_b32 v5, off, s32 offset:888 ; 4-byte Folded Reload
	s_waitcnt vmcnt(0)
	v_and_b32_e32 v5, 0xffff, v5
	;;#ASMSTART
	v_cvt_f32_f16 v5, v5;
	;;#ASMEND
	scratch_load_b32 v7, off, s32 offset:884 ; 4-byte Folded Reload
	v_fmac_f32_e32 v16, v0, v5
	v_lshrrev_b32_e32 v0, 16, v1
	v_and_b32_e32 v1, 0xffff, v1
	s_waitcnt vmcnt(0)
	v_and_b32_e32 v7, 0xffff, v7
	;;#ASMSTART
	v_cvt_f32_f16 v7, v7;
	;;#ASMEND
	s_delay_alu instid0(VALU_DEP_1)
	v_fmac_f32_e32 v17, v4, v7
	;;#ASMSTART
	v_cvt_f32_f16 v1, v1;
	;;#ASMEND
	;;#ASMSTART
	v_cvt_f32_f16 v0, v0;
	;;#ASMEND
	scratch_load_b32 v4, off, s32 offset:880 ; 4-byte Folded Reload
	s_waitcnt vmcnt(0)
	v_and_b32_e32 v4, 0xffff, v4
	;;#ASMSTART
	v_cvt_f32_f16 v4, v4;
	;;#ASMEND
	scratch_load_b32 v5, off, s32 offset:876 ; 4-byte Folded Reload
	v_fmac_f32_e32 v19, v1, v4
	v_and_b32_e32 v1, 0xffff, v2
	s_waitcnt vmcnt(0)
	v_and_b32_e32 v5, 0xffff, v5
	;;#ASMSTART
	v_cvt_f32_f16 v5, v5;
	;;#ASMEND
	s_delay_alu instid0(VALU_DEP_1)
	v_fmac_f32_e32 v18, v0, v5
	v_lshrrev_b32_e32 v0, 16, v2
	;;#ASMSTART
	v_cvt_f32_f16 v1, v1;
	;;#ASMEND
	;;#ASMSTART
	v_cvt_f32_f16 v0, v0;
	;;#ASMEND
	scratch_load_b32 v2, off, s32 offset:872 ; 4-byte Folded Reload
	s_waitcnt vmcnt(0)
	v_and_b32_e32 v2, 0xffff, v2
	;;#ASMSTART
	v_cvt_f32_f16 v2, v2;
	;;#ASMEND
	scratch_load_b32 v4, off, s32 offset:868 ; 4-byte Folded Reload
	v_dual_fmac_f32 v34, v1, v2 :: v_dual_and_b32 v1, 0xffff, v3
	s_waitcnt vmcnt(0)
	v_and_b32_e32 v4, 0xffff, v4
	;;#ASMSTART
	v_cvt_f32_f16 v4, v4;
	;;#ASMEND
	s_delay_alu instid0(VALU_DEP_1)
	v_fmac_f32_e32 v23, v0, v4
	v_lshrrev_b32_e32 v0, 16, v3
	;;#ASMSTART
	v_cvt_f32_f16 v1, v1;
	;;#ASMEND
	;;#ASMSTART
	v_cvt_f32_f16 v0, v0;
	;;#ASMEND
	scratch_load_b32 v2, off, s32 offset:864 ; 4-byte Folded Reload
	s_waitcnt vmcnt(0)
	v_and_b32_e32 v2, 0xffff, v2
	;;#ASMSTART
	v_cvt_f32_f16 v2, v2;
	;;#ASMEND
	scratch_load_b32 v3, off, s32 offset:860 ; 4-byte Folded Reload
	s_waitcnt vmcnt(0)
	v_dual_fmac_f32 v36, v1, v2 :: v_dual_and_b32 v3, 0xffff, v3
	;;#ASMSTART
	v_cvt_f32_f16 v3, v3;
	;;#ASMEND
	s_delay_alu instid0(VALU_DEP_1)
	v_fmac_f32_e32 v35, v0, v3
	ds_load_b128 v[0:3], v9 offset:400
	s_waitcnt lgkmcnt(0)
	v_lshrrev_b32_e32 v4, 16, v0
	v_and_b32_e32 v0, 0xffff, v0
	;;#ASMSTART
	v_cvt_f32_f16 v0, v0;
	;;#ASMEND
	;;#ASMSTART
	v_cvt_f32_f16 v4, v4;
	;;#ASMEND
	scratch_load_b32 v5, off, s32 offset:856 ; 4-byte Folded Reload
	s_waitcnt vmcnt(0)
	v_and_b32_e32 v5, 0xffff, v5
	;;#ASMSTART
	v_cvt_f32_f16 v5, v5;
	;;#ASMEND
	scratch_load_b32 v7, off, s32 offset:852 ; 4-byte Folded Reload
	v_fmac_f32_e32 v16, v0, v5
	v_lshrrev_b32_e32 v0, 16, v1
	v_and_b32_e32 v1, 0xffff, v1
	s_waitcnt vmcnt(0)
	v_and_b32_e32 v7, 0xffff, v7
	;;#ASMSTART
	v_cvt_f32_f16 v7, v7;
	;;#ASMEND
	s_delay_alu instid0(VALU_DEP_1)
	v_fmac_f32_e32 v17, v4, v7
	;;#ASMSTART
	v_cvt_f32_f16 v1, v1;
	;;#ASMEND
	;;#ASMSTART
	v_cvt_f32_f16 v0, v0;
	;;#ASMEND
	scratch_load_b32 v4, off, s32 offset:848 ; 4-byte Folded Reload
	s_waitcnt vmcnt(0)
	v_and_b32_e32 v4, 0xffff, v4
	;;#ASMSTART
	v_cvt_f32_f16 v4, v4;
	;;#ASMEND
	scratch_load_b32 v5, off, s32 offset:844 ; 4-byte Folded Reload
	v_fmac_f32_e32 v19, v1, v4
	v_and_b32_e32 v1, 0xffff, v2
	s_waitcnt vmcnt(0)
	v_and_b32_e32 v5, 0xffff, v5
	;;#ASMSTART
	v_cvt_f32_f16 v5, v5;
	;;#ASMEND
	s_delay_alu instid0(VALU_DEP_1)
	v_fmac_f32_e32 v18, v0, v5
	v_lshrrev_b32_e32 v0, 16, v2
	;;#ASMSTART
	v_cvt_f32_f16 v1, v1;
	;;#ASMEND
	;;#ASMSTART
	v_cvt_f32_f16 v0, v0;
	;;#ASMEND
	scratch_load_b32 v2, off, s32 offset:840 ; 4-byte Folded Reload
	s_waitcnt vmcnt(0)
	v_and_b32_e32 v2, 0xffff, v2
	;;#ASMSTART
	v_cvt_f32_f16 v2, v2;
	;;#ASMEND
	scratch_load_b32 v4, off, s32 offset:836 ; 4-byte Folded Reload
	v_dual_fmac_f32 v34, v1, v2 :: v_dual_and_b32 v1, 0xffff, v3
	s_waitcnt vmcnt(0)
	v_and_b32_e32 v4, 0xffff, v4
	;;#ASMSTART
	v_cvt_f32_f16 v4, v4;
	;;#ASMEND
	s_delay_alu instid0(VALU_DEP_1)
	v_fmac_f32_e32 v23, v0, v4
	v_lshrrev_b32_e32 v0, 16, v3
	;;#ASMSTART
	v_cvt_f32_f16 v1, v1;
	;;#ASMEND
	;;#ASMSTART
	v_cvt_f32_f16 v0, v0;
	;;#ASMEND
	scratch_load_b32 v2, off, s32 offset:832 ; 4-byte Folded Reload
	s_waitcnt vmcnt(0)
	v_and_b32_e32 v2, 0xffff, v2
	;;#ASMSTART
	v_cvt_f32_f16 v2, v2;
	;;#ASMEND
	scratch_load_b32 v3, off, s32 offset:828 ; 4-byte Folded Reload
	s_waitcnt vmcnt(0)
	v_dual_fmac_f32 v36, v1, v2 :: v_dual_and_b32 v3, 0xffff, v3
	;;#ASMSTART
	v_cvt_f32_f16 v3, v3;
	;;#ASMEND
	s_delay_alu instid0(VALU_DEP_1)
	v_fmac_f32_e32 v35, v0, v3
	ds_load_b128 v[0:3], v9 offset:416
	s_waitcnt lgkmcnt(0)
	v_lshrrev_b32_e32 v4, 16, v0
	v_and_b32_e32 v0, 0xffff, v0
	;;#ASMSTART
	v_cvt_f32_f16 v0, v0;
	;;#ASMEND
	;;#ASMSTART
	v_cvt_f32_f16 v4, v4;
	;;#ASMEND
	scratch_load_b32 v5, off, s32 offset:824 ; 4-byte Folded Reload
	s_waitcnt vmcnt(0)
	v_and_b32_e32 v5, 0xffff, v5
	;;#ASMSTART
	v_cvt_f32_f16 v5, v5;
	;;#ASMEND
	scratch_load_b32 v7, off, s32 offset:820 ; 4-byte Folded Reload
	v_fmac_f32_e32 v16, v0, v5
	v_lshrrev_b32_e32 v0, 16, v1
	v_and_b32_e32 v1, 0xffff, v1
	s_waitcnt vmcnt(0)
	v_and_b32_e32 v7, 0xffff, v7
	;;#ASMSTART
	v_cvt_f32_f16 v7, v7;
	;;#ASMEND
	s_delay_alu instid0(VALU_DEP_1)
	v_fmac_f32_e32 v17, v4, v7
	;;#ASMSTART
	v_cvt_f32_f16 v1, v1;
	;;#ASMEND
	;;#ASMSTART
	v_cvt_f32_f16 v0, v0;
	;;#ASMEND
	scratch_load_b32 v4, off, s32 offset:816 ; 4-byte Folded Reload
	s_waitcnt vmcnt(0)
	v_and_b32_e32 v4, 0xffff, v4
	;;#ASMSTART
	v_cvt_f32_f16 v4, v4;
	;;#ASMEND
	scratch_load_b32 v5, off, s32 offset:812 ; 4-byte Folded Reload
	v_fmac_f32_e32 v19, v1, v4
	v_and_b32_e32 v1, 0xffff, v2
	s_waitcnt vmcnt(0)
	v_and_b32_e32 v5, 0xffff, v5
	;;#ASMSTART
	v_cvt_f32_f16 v5, v5;
	;;#ASMEND
	s_delay_alu instid0(VALU_DEP_1)
	v_fmac_f32_e32 v18, v0, v5
	v_lshrrev_b32_e32 v0, 16, v2
	;;#ASMSTART
	v_cvt_f32_f16 v1, v1;
	;;#ASMEND
	;;#ASMSTART
	v_cvt_f32_f16 v0, v0;
	;;#ASMEND
	scratch_load_b32 v2, off, s32 offset:808 ; 4-byte Folded Reload
	s_waitcnt vmcnt(0)
	v_and_b32_e32 v2, 0xffff, v2
	;;#ASMSTART
	v_cvt_f32_f16 v2, v2;
	;;#ASMEND
	scratch_load_b32 v4, off, s32 offset:804 ; 4-byte Folded Reload
	v_dual_fmac_f32 v34, v1, v2 :: v_dual_and_b32 v1, 0xffff, v3
	s_waitcnt vmcnt(0)
	v_and_b32_e32 v4, 0xffff, v4
	;;#ASMSTART
	v_cvt_f32_f16 v4, v4;
	;;#ASMEND
	s_delay_alu instid0(VALU_DEP_1)
	v_fmac_f32_e32 v23, v0, v4
	v_lshrrev_b32_e32 v0, 16, v3
	;;#ASMSTART
	v_cvt_f32_f16 v1, v1;
	;;#ASMEND
	;;#ASMSTART
	v_cvt_f32_f16 v0, v0;
	;;#ASMEND
	scratch_load_b32 v2, off, s32 offset:800 ; 4-byte Folded Reload
	s_waitcnt vmcnt(0)
	v_and_b32_e32 v2, 0xffff, v2
	;;#ASMSTART
	v_cvt_f32_f16 v2, v2;
	;;#ASMEND
	scratch_load_b32 v3, off, s32 offset:796 ; 4-byte Folded Reload
	s_waitcnt vmcnt(0)
	v_dual_fmac_f32 v36, v1, v2 :: v_dual_and_b32 v3, 0xffff, v3
	;;#ASMSTART
	v_cvt_f32_f16 v3, v3;
	;;#ASMEND
	s_delay_alu instid0(VALU_DEP_1)
	v_fmac_f32_e32 v35, v0, v3
	ds_load_b128 v[0:3], v9 offset:432
	s_waitcnt lgkmcnt(0)
	v_lshrrev_b32_e32 v4, 16, v0
	v_and_b32_e32 v0, 0xffff, v0
	;;#ASMSTART
	v_cvt_f32_f16 v0, v0;
	;;#ASMEND
	;;#ASMSTART
	v_cvt_f32_f16 v4, v4;
	;;#ASMEND
	scratch_load_b32 v5, off, s32 offset:792 ; 4-byte Folded Reload
	s_waitcnt vmcnt(0)
	v_and_b32_e32 v5, 0xffff, v5
	;;#ASMSTART
	v_cvt_f32_f16 v5, v5;
	;;#ASMEND
	scratch_load_b32 v7, off, s32 offset:788 ; 4-byte Folded Reload
	v_fmac_f32_e32 v16, v0, v5
	v_lshrrev_b32_e32 v0, 16, v1
	v_and_b32_e32 v1, 0xffff, v1
	s_waitcnt vmcnt(0)
	v_and_b32_e32 v7, 0xffff, v7
	;;#ASMSTART
	v_cvt_f32_f16 v7, v7;
	;;#ASMEND
	s_delay_alu instid0(VALU_DEP_1)
	v_fmac_f32_e32 v17, v4, v7
	;;#ASMSTART
	v_cvt_f32_f16 v1, v1;
	;;#ASMEND
	;;#ASMSTART
	v_cvt_f32_f16 v0, v0;
	;;#ASMEND
	scratch_load_b32 v4, off, s32 offset:784 ; 4-byte Folded Reload
	s_waitcnt vmcnt(0)
	v_and_b32_e32 v4, 0xffff, v4
	;;#ASMSTART
	v_cvt_f32_f16 v4, v4;
	;;#ASMEND
	scratch_load_b32 v5, off, s32 offset:780 ; 4-byte Folded Reload
	v_fmac_f32_e32 v19, v1, v4
	v_and_b32_e32 v1, 0xffff, v2
	s_waitcnt vmcnt(0)
	v_and_b32_e32 v5, 0xffff, v5
	;;#ASMSTART
	v_cvt_f32_f16 v5, v5;
	;;#ASMEND
	s_delay_alu instid0(VALU_DEP_1)
	v_fmac_f32_e32 v18, v0, v5
	v_lshrrev_b32_e32 v0, 16, v2
	;;#ASMSTART
	v_cvt_f32_f16 v1, v1;
	;;#ASMEND
	;;#ASMSTART
	v_cvt_f32_f16 v0, v0;
	;;#ASMEND
	scratch_load_b32 v2, off, s32 offset:776 ; 4-byte Folded Reload
	s_waitcnt vmcnt(0)
	v_and_b32_e32 v2, 0xffff, v2
	;;#ASMSTART
	v_cvt_f32_f16 v2, v2;
	;;#ASMEND
	scratch_load_b32 v4, off, s32 offset:772 ; 4-byte Folded Reload
	v_dual_fmac_f32 v34, v1, v2 :: v_dual_and_b32 v1, 0xffff, v3
	s_waitcnt vmcnt(0)
	v_and_b32_e32 v4, 0xffff, v4
	;;#ASMSTART
	v_cvt_f32_f16 v4, v4;
	;;#ASMEND
	s_delay_alu instid0(VALU_DEP_1)
	v_fmac_f32_e32 v23, v0, v4
	v_lshrrev_b32_e32 v0, 16, v3
	;;#ASMSTART
	v_cvt_f32_f16 v1, v1;
	;;#ASMEND
	;;#ASMSTART
	v_cvt_f32_f16 v0, v0;
	;;#ASMEND
	scratch_load_b32 v2, off, s32 offset:768 ; 4-byte Folded Reload
	s_waitcnt vmcnt(0)
	v_and_b32_e32 v2, 0xffff, v2
	;;#ASMSTART
	v_cvt_f32_f16 v2, v2;
	;;#ASMEND
	scratch_load_b32 v3, off, s32 offset:764 ; 4-byte Folded Reload
	s_waitcnt vmcnt(0)
	v_dual_fmac_f32 v36, v1, v2 :: v_dual_and_b32 v3, 0xffff, v3
	;;#ASMSTART
	v_cvt_f32_f16 v3, v3;
	;;#ASMEND
	s_delay_alu instid0(VALU_DEP_1)
	v_fmac_f32_e32 v35, v0, v3
	ds_load_b128 v[0:3], v9 offset:448
	s_waitcnt lgkmcnt(0)
	v_lshrrev_b32_e32 v4, 16, v0
	v_and_b32_e32 v0, 0xffff, v0
	;;#ASMSTART
	v_cvt_f32_f16 v0, v0;
	;;#ASMEND
	;;#ASMSTART
	v_cvt_f32_f16 v4, v4;
	;;#ASMEND
	scratch_load_b32 v5, off, s32 offset:760 ; 4-byte Folded Reload
	s_waitcnt vmcnt(0)
	v_and_b32_e32 v5, 0xffff, v5
	;;#ASMSTART
	v_cvt_f32_f16 v5, v5;
	;;#ASMEND
	scratch_load_b32 v7, off, s32 offset:756 ; 4-byte Folded Reload
	v_fmac_f32_e32 v16, v0, v5
	v_lshrrev_b32_e32 v0, 16, v1
	v_and_b32_e32 v1, 0xffff, v1
	s_waitcnt vmcnt(0)
	v_and_b32_e32 v7, 0xffff, v7
	;;#ASMSTART
	v_cvt_f32_f16 v7, v7;
	;;#ASMEND
	s_delay_alu instid0(VALU_DEP_1)
	v_fmac_f32_e32 v17, v4, v7
	;;#ASMSTART
	v_cvt_f32_f16 v1, v1;
	;;#ASMEND
	;;#ASMSTART
	v_cvt_f32_f16 v0, v0;
	;;#ASMEND
	scratch_load_b32 v4, off, s32 offset:752 ; 4-byte Folded Reload
	s_waitcnt vmcnt(0)
	v_and_b32_e32 v4, 0xffff, v4
	;;#ASMSTART
	v_cvt_f32_f16 v4, v4;
	;;#ASMEND
	scratch_load_b32 v5, off, s32 offset:748 ; 4-byte Folded Reload
	v_fmac_f32_e32 v19, v1, v4
	v_and_b32_e32 v1, 0xffff, v2
	s_waitcnt vmcnt(0)
	v_and_b32_e32 v5, 0xffff, v5
	;;#ASMSTART
	v_cvt_f32_f16 v5, v5;
	;;#ASMEND
	s_delay_alu instid0(VALU_DEP_1)
	v_fmac_f32_e32 v18, v0, v5
	v_lshrrev_b32_e32 v0, 16, v2
	;;#ASMSTART
	v_cvt_f32_f16 v1, v1;
	;;#ASMEND
	;;#ASMSTART
	v_cvt_f32_f16 v0, v0;
	;;#ASMEND
	scratch_load_b32 v2, off, s32 offset:744 ; 4-byte Folded Reload
	s_waitcnt vmcnt(0)
	v_and_b32_e32 v2, 0xffff, v2
	;;#ASMSTART
	v_cvt_f32_f16 v2, v2;
	;;#ASMEND
	scratch_load_b32 v4, off, s32 offset:740 ; 4-byte Folded Reload
	v_dual_fmac_f32 v34, v1, v2 :: v_dual_and_b32 v1, 0xffff, v3
	s_waitcnt vmcnt(0)
	v_and_b32_e32 v4, 0xffff, v4
	;;#ASMSTART
	v_cvt_f32_f16 v4, v4;
	;;#ASMEND
	s_delay_alu instid0(VALU_DEP_1)
	v_fmac_f32_e32 v23, v0, v4
	v_lshrrev_b32_e32 v0, 16, v3
	;;#ASMSTART
	v_cvt_f32_f16 v1, v1;
	;;#ASMEND
	;;#ASMSTART
	v_cvt_f32_f16 v0, v0;
	;;#ASMEND
	scratch_load_b32 v2, off, s32 offset:736 ; 4-byte Folded Reload
	s_waitcnt vmcnt(0)
	v_and_b32_e32 v2, 0xffff, v2
	;;#ASMSTART
	v_cvt_f32_f16 v2, v2;
	;;#ASMEND
	scratch_load_b32 v3, off, s32 offset:732 ; 4-byte Folded Reload
	s_waitcnt vmcnt(0)
	v_dual_fmac_f32 v36, v1, v2 :: v_dual_and_b32 v3, 0xffff, v3
	;;#ASMSTART
	v_cvt_f32_f16 v3, v3;
	;;#ASMEND
	s_delay_alu instid0(VALU_DEP_1)
	v_fmac_f32_e32 v35, v0, v3
	ds_load_b128 v[0:3], v9 offset:464
	s_waitcnt lgkmcnt(0)
	v_lshrrev_b32_e32 v4, 16, v0
	v_and_b32_e32 v0, 0xffff, v0
	;;#ASMSTART
	v_cvt_f32_f16 v0, v0;
	;;#ASMEND
	;;#ASMSTART
	v_cvt_f32_f16 v4, v4;
	;;#ASMEND
	scratch_load_b32 v5, off, s32 offset:728 ; 4-byte Folded Reload
	s_waitcnt vmcnt(0)
	v_and_b32_e32 v5, 0xffff, v5
	;;#ASMSTART
	v_cvt_f32_f16 v5, v5;
	;;#ASMEND
	scratch_load_b32 v7, off, s32 offset:724 ; 4-byte Folded Reload
	v_fmac_f32_e32 v16, v0, v5
	v_lshrrev_b32_e32 v0, 16, v1
	v_and_b32_e32 v1, 0xffff, v1
	s_waitcnt vmcnt(0)
	v_and_b32_e32 v7, 0xffff, v7
	;;#ASMSTART
	v_cvt_f32_f16 v7, v7;
	;;#ASMEND
	s_delay_alu instid0(VALU_DEP_1)
	v_fmac_f32_e32 v17, v4, v7
	;;#ASMSTART
	v_cvt_f32_f16 v1, v1;
	;;#ASMEND
	;;#ASMSTART
	v_cvt_f32_f16 v0, v0;
	;;#ASMEND
	scratch_load_b32 v4, off, s32 offset:720 ; 4-byte Folded Reload
	s_waitcnt vmcnt(0)
	v_and_b32_e32 v4, 0xffff, v4
	;;#ASMSTART
	v_cvt_f32_f16 v4, v4;
	;;#ASMEND
	scratch_load_b32 v5, off, s32 offset:716 ; 4-byte Folded Reload
	v_fmac_f32_e32 v19, v1, v4
	v_and_b32_e32 v1, 0xffff, v2
	s_waitcnt vmcnt(0)
	v_and_b32_e32 v5, 0xffff, v5
	;;#ASMSTART
	v_cvt_f32_f16 v5, v5;
	;;#ASMEND
	s_delay_alu instid0(VALU_DEP_1)
	v_fmac_f32_e32 v18, v0, v5
	v_lshrrev_b32_e32 v0, 16, v2
	;;#ASMSTART
	v_cvt_f32_f16 v1, v1;
	;;#ASMEND
	;;#ASMSTART
	v_cvt_f32_f16 v0, v0;
	;;#ASMEND
	scratch_load_b32 v2, off, s32 offset:712 ; 4-byte Folded Reload
	s_waitcnt vmcnt(0)
	v_and_b32_e32 v2, 0xffff, v2
	;;#ASMSTART
	v_cvt_f32_f16 v2, v2;
	;;#ASMEND
	scratch_load_b32 v4, off, s32 offset:708 ; 4-byte Folded Reload
	v_dual_fmac_f32 v34, v1, v2 :: v_dual_and_b32 v1, 0xffff, v3
	s_waitcnt vmcnt(0)
	v_and_b32_e32 v4, 0xffff, v4
	;;#ASMSTART
	v_cvt_f32_f16 v4, v4;
	;;#ASMEND
	s_delay_alu instid0(VALU_DEP_1)
	v_fmac_f32_e32 v23, v0, v4
	v_lshrrev_b32_e32 v0, 16, v3
	;;#ASMSTART
	v_cvt_f32_f16 v1, v1;
	;;#ASMEND
	;;#ASMSTART
	v_cvt_f32_f16 v0, v0;
	;;#ASMEND
	scratch_load_b32 v2, off, s32 offset:704 ; 4-byte Folded Reload
	s_waitcnt vmcnt(0)
	v_and_b32_e32 v2, 0xffff, v2
	;;#ASMSTART
	v_cvt_f32_f16 v2, v2;
	;;#ASMEND
	scratch_load_b32 v3, off, s32 offset:700 ; 4-byte Folded Reload
	s_waitcnt vmcnt(0)
	v_dual_fmac_f32 v36, v1, v2 :: v_dual_and_b32 v3, 0xffff, v3
	;;#ASMSTART
	v_cvt_f32_f16 v3, v3;
	;;#ASMEND
	s_delay_alu instid0(VALU_DEP_1)
	v_fmac_f32_e32 v35, v0, v3
	ds_load_b128 v[0:3], v9 offset:480
	s_waitcnt lgkmcnt(0)
	v_lshrrev_b32_e32 v4, 16, v0
	v_and_b32_e32 v0, 0xffff, v0
	;;#ASMSTART
	v_cvt_f32_f16 v0, v0;
	;;#ASMEND
	;;#ASMSTART
	v_cvt_f32_f16 v4, v4;
	;;#ASMEND
	scratch_load_b32 v5, off, s32 offset:696 ; 4-byte Folded Reload
	s_waitcnt vmcnt(0)
	v_and_b32_e32 v5, 0xffff, v5
	;;#ASMSTART
	v_cvt_f32_f16 v5, v5;
	;;#ASMEND
	scratch_load_b32 v7, off, s32 offset:692 ; 4-byte Folded Reload
	v_fmac_f32_e32 v16, v0, v5
	v_lshrrev_b32_e32 v0, 16, v1
	v_and_b32_e32 v1, 0xffff, v1
	s_waitcnt vmcnt(0)
	v_and_b32_e32 v7, 0xffff, v7
	;;#ASMSTART
	v_cvt_f32_f16 v7, v7;
	;;#ASMEND
	s_delay_alu instid0(VALU_DEP_1)
	v_fmac_f32_e32 v17, v4, v7
	;;#ASMSTART
	v_cvt_f32_f16 v1, v1;
	;;#ASMEND
	;;#ASMSTART
	v_cvt_f32_f16 v0, v0;
	;;#ASMEND
	scratch_load_b32 v4, off, s32 offset:688 ; 4-byte Folded Reload
	s_waitcnt vmcnt(0)
	v_and_b32_e32 v4, 0xffff, v4
	;;#ASMSTART
	v_cvt_f32_f16 v4, v4;
	;;#ASMEND
	scratch_load_b32 v5, off, s32 offset:684 ; 4-byte Folded Reload
	v_fmac_f32_e32 v19, v1, v4
	v_and_b32_e32 v1, 0xffff, v2
	s_waitcnt vmcnt(0)
	v_and_b32_e32 v5, 0xffff, v5
	;;#ASMSTART
	v_cvt_f32_f16 v5, v5;
	;;#ASMEND
	s_delay_alu instid0(VALU_DEP_1)
	v_fmac_f32_e32 v18, v0, v5
	v_lshrrev_b32_e32 v0, 16, v2
	;;#ASMSTART
	v_cvt_f32_f16 v1, v1;
	;;#ASMEND
	;;#ASMSTART
	v_cvt_f32_f16 v0, v0;
	;;#ASMEND
	scratch_load_b32 v2, off, s32 offset:680 ; 4-byte Folded Reload
	s_waitcnt vmcnt(0)
	v_and_b32_e32 v2, 0xffff, v2
	;;#ASMSTART
	v_cvt_f32_f16 v2, v2;
	;;#ASMEND
	scratch_load_b32 v4, off, s32 offset:676 ; 4-byte Folded Reload
	v_dual_fmac_f32 v34, v1, v2 :: v_dual_and_b32 v1, 0xffff, v3
	s_waitcnt vmcnt(0)
	v_and_b32_e32 v4, 0xffff, v4
	;;#ASMSTART
	v_cvt_f32_f16 v4, v4;
	;;#ASMEND
	s_delay_alu instid0(VALU_DEP_1)
	v_fmac_f32_e32 v23, v0, v4
	v_lshrrev_b32_e32 v0, 16, v3
	;;#ASMSTART
	v_cvt_f32_f16 v1, v1;
	;;#ASMEND
	;;#ASMSTART
	v_cvt_f32_f16 v0, v0;
	;;#ASMEND
	scratch_load_b32 v2, off, s32 offset:672 ; 4-byte Folded Reload
	s_waitcnt vmcnt(0)
	v_and_b32_e32 v2, 0xffff, v2
	;;#ASMSTART
	v_cvt_f32_f16 v2, v2;
	;;#ASMEND
	scratch_load_b32 v3, off, s32 offset:668 ; 4-byte Folded Reload
	s_waitcnt vmcnt(0)
	v_dual_fmac_f32 v36, v1, v2 :: v_dual_and_b32 v3, 0xffff, v3
	;;#ASMSTART
	v_cvt_f32_f16 v3, v3;
	;;#ASMEND
	s_delay_alu instid0(VALU_DEP_1)
	v_fmac_f32_e32 v35, v0, v3
	ds_load_b128 v[0:3], v9 offset:496
	s_waitcnt lgkmcnt(0)
	v_lshrrev_b32_e32 v4, 16, v0
	v_and_b32_e32 v0, 0xffff, v0
	;;#ASMSTART
	v_cvt_f32_f16 v0, v0;
	;;#ASMEND
	;;#ASMSTART
	v_cvt_f32_f16 v4, v4;
	;;#ASMEND
	scratch_load_b32 v5, off, s32 offset:332 ; 4-byte Folded Reload
	s_waitcnt vmcnt(0)
	v_and_b32_e32 v5, 0xffff, v5
	;;#ASMSTART
	v_cvt_f32_f16 v5, v5;
	;;#ASMEND
	scratch_load_b32 v7, off, s32 offset:328 ; 4-byte Folded Reload
	v_fmac_f32_e32 v16, v0, v5
	v_lshrrev_b32_e32 v0, 16, v1
	v_and_b32_e32 v1, 0xffff, v1
	v_and_b32_e32 v5, 0xffff, v131
	s_waitcnt vmcnt(0)
	v_and_b32_e32 v7, 0xffff, v7
	;;#ASMSTART
	v_cvt_f32_f16 v7, v7;
	;;#ASMEND
	s_delay_alu instid0(VALU_DEP_1) | instskip(SKIP_4) | instid1(VALU_DEP_1)
	v_fmac_f32_e32 v17, v4, v7
	;;#ASMSTART
	v_cvt_f32_f16 v1, v1;
	;;#ASMEND
	v_and_b32_e32 v4, 0xffff, v141
	;;#ASMSTART
	v_cvt_f32_f16 v0, v0;
	;;#ASMEND
	;;#ASMSTART
	v_cvt_f32_f16 v4, v4;
	;;#ASMEND
	v_fmac_f32_e32 v19, v1, v4
	v_and_b32_e32 v1, 0xffff, v2
	;;#ASMSTART
	v_cvt_f32_f16 v5, v5;
	;;#ASMEND
	v_fmac_f32_e32 v18, v0, v5
	v_lshrrev_b32_e32 v0, 16, v2
	;;#ASMSTART
	v_cvt_f32_f16 v1, v1;
	;;#ASMEND
	v_and_b32_e32 v2, 0xffff, v119
	;;#ASMSTART
	v_cvt_f32_f16 v0, v0;
	;;#ASMEND
	;;#ASMSTART
	v_cvt_f32_f16 v2, v2;
	;;#ASMEND
	v_and_b32_e32 v4, 0xffff, v67
	s_delay_alu instid0(VALU_DEP_2) | instskip(SKIP_1) | instid1(VALU_DEP_2)
	v_dual_fmac_f32 v34, v1, v2 :: v_dual_and_b32 v1, 0xffff, v3
	;;#ASMSTART
	v_cvt_f32_f16 v4, v4;
	;;#ASMEND
	v_fmac_f32_e32 v23, v0, v4
	v_lshrrev_b32_e32 v0, 16, v3
	;;#ASMSTART
	v_cvt_f32_f16 v1, v1;
	;;#ASMEND
	v_and_b32_e32 v2, 0xffff, v39
	v_and_b32_e32 v3, 0xffff, v64
	;;#ASMSTART
	v_cvt_f32_f16 v0, v0;
	;;#ASMEND
	;;#ASMSTART
	v_cvt_f32_f16 v2, v2;
	;;#ASMEND
	;; [unrolled: 3-line block ×3, first 2 shown]
	v_fmac_f32_e32 v36, v1, v2
	s_clause 0x1
	scratch_load_b32 v1, off, s32 offset:1012
	scratch_load_b32 v10, off, s32 offset:656
	v_fmac_f32_e32 v35, v0, v3
	scratch_load_b64 v[3:4], off, s32 offset:660 ; 8-byte Folded Reload
	v_add_f32_e32 v0, v16, v17
	s_delay_alu instid0(VALU_DEP_1) | instskip(NEXT) | instid1(VALU_DEP_1)
	v_add_f32_e32 v0, v0, v19
	v_add_f32_e32 v0, v18, v0
	s_delay_alu instid0(VALU_DEP_1) | instskip(NEXT) | instid1(VALU_DEP_1)
	v_add_f32_e32 v0, v0, v34
	;; [unrolled: 3-line block ×3, first 2 shown]
	v_add_f32_e32 v0, v35, v0
	s_waitcnt vmcnt(2)
	s_delay_alu instid0(VALU_DEP_1) | instskip(NEXT) | instid1(VALU_DEP_1)
	v_fmac_f32_e32 v6, v0, v1
	v_cndmask_b32_e64 v0, 0, v6, s1
	ds_store_b32 v175, v0
	s_waitcnt vmcnt(1)
	v_dual_max_f32 v0, v10, v10 :: v_dual_add_nc_u32 v175, 0x200, v175
	s_delay_alu instid0(VALU_DEP_1) | instskip(NEXT) | instid1(VALU_DEP_1)
	v_max_f32_e32 v0, v0, v6
	v_cndmask_b32_e64 v10, v10, v0, s1
	scratch_load_b32 v0, off, s32 offset:1020 ; 4-byte Folded Reload
	s_waitcnt vmcnt(1)
	v_add_co_u32 v3, s1, v3, 16
	s_delay_alu instid0(VALU_DEP_1) | instskip(SKIP_3) | instid1(VALU_DEP_2)
	v_add_co_ci_u32_e64 v4, s1, 0, v4, s1
	s_waitcnt vmcnt(0)
	v_cmp_ge_i32_e64 s1, v191, v0
	v_mov_b32_e32 v95, v0
	s_or_b32 s13, s1, s13
	s_delay_alu instid0(SALU_CYCLE_1)
	s_and_not1_b32 exec_lo, exec_lo, s13
	s_cbranch_execz .LBB373_2056
.LBB373_11:                             ; =>This Inner Loop Header: Depth=1
	s_clause 0x4
	scratch_store_b32 off, v63, s32 offset:636
	scratch_store_b32 off, v175, s32 offset:632
	;; [unrolled: 1-line block ×4, first 2 shown]
	scratch_store_b64 off, v[3:4], s32 offset:660
	flat_load_b32 v0, v[3:4]
	s_clause 0x1
	scratch_load_b32 v1, off, s32 offset:652
	scratch_load_b64 v[2:3], off, s32 offset:1024
	s_mov_b32 s15, exec_lo
	v_mov_b32_e32 v119, 0
	s_waitcnt vmcnt(0) lgkmcnt(0)
	v_mad_i64_i32 v[28:29], null, v0, v1, v[2:3]
	flat_load_b64 v[30:31], v[28:29]
	scratch_load_b64 v[0:1], off, s32 offset:1004 ; 8-byte Folded Reload
	s_waitcnt vmcnt(0)
	flat_load_b32 v64, v[0:1]
	s_waitcnt lgkmcnt(1)
	v_and_b32_e32 v0, 0xff, v30
	s_delay_alu instid0(VALU_DEP_1)
	v_cmpx_ne_u16_e32 0, v0
	s_cbranch_execz .LBB373_19
; %bb.12:                               ;   in Loop: Header=BB373_11 Depth=1
	v_bfrev_b32_e32 v119, 1
	s_mov_b32 s17, exec_lo
	v_cmpx_ne_u16_e32 0x80, v0
	s_cbranch_execz .LBB373_18
; %bb.13:                               ;   in Loop: Header=BB373_11 Depth=1
	v_and_b32_e32 v1, 0x7f, v30
	v_mov_b32_e32 v119, 0x7fc02000
	s_mov_b32 s18, exec_lo
	s_delay_alu instid0(VALU_DEP_2)
	v_cmpx_ne_u32_e32 0x7f, v1
	s_cbranch_execz .LBB373_17
; %bb.14:                               ;   in Loop: Header=BB373_11 Depth=1
	v_lshrrev_b32_e32 v0, 3, v1
	v_dual_mov_b32 v33, v31 :: v_dual_mov_b32 v32, v30
	s_mov_b32 s19, exec_lo
	v_cmpx_gt_u32_e32 8, v1
; %bb.15:                               ;   in Loop: Header=BB373_11 Depth=1
	v_and_b32_e32 v0, 7, v30
	s_delay_alu instid0(VALU_DEP_1) | instskip(NEXT) | instid1(VALU_DEP_1)
	v_clz_i32_u32_e32 v0, v0
	v_min_u32_e32 v0, 32, v0
	s_delay_alu instid0(VALU_DEP_1) | instskip(SKIP_1) | instid1(VALU_DEP_2)
	v_subrev_nc_u32_e32 v1, 28, v0
	v_sub_nc_u32_e32 v0, 29, v0
	v_lshlrev_b64 v[32:33], v1, v[30:31]
; %bb.16:                               ;   in Loop: Header=BB373_11 Depth=1
	s_or_b32 exec_lo, exec_lo, s19
	v_lshlrev_b32_e32 v1, 8, v30
	s_delay_alu instid0(VALU_DEP_3) | instskip(NEXT) | instid1(VALU_DEP_3)
	v_lshl_add_u32 v0, v0, 10, 0x2000
	v_lshlrev_b32_e32 v2, 7, v32
	s_delay_alu instid0(VALU_DEP_2) | instskip(NEXT) | instid1(VALU_DEP_1)
	v_and_or_b32 v0, 0x8000, v1, v0
	v_and_or_b32 v0, 0x380, v2, v0
	s_delay_alu instid0(VALU_DEP_1)
	v_cvt_f32_f16_e32 v119, v0
.LBB373_17:                             ;   in Loop: Header=BB373_11 Depth=1
	s_or_b32 exec_lo, exec_lo, s18
.LBB373_18:                             ;   in Loop: Header=BB373_11 Depth=1
	s_delay_alu instid0(SALU_CYCLE_1)
	s_or_b32 exec_lo, exec_lo, s17
.LBB373_19:                             ;   in Loop: Header=BB373_11 Depth=1
	s_delay_alu instid0(SALU_CYCLE_1) | instskip(SKIP_4) | instid1(VALU_DEP_3)
	s_or_b32 exec_lo, exec_lo, s15
	v_lshrrev_b16 v0, 8, v30
	v_mov_b32_e32 v131, 0
	v_mov_b32_e32 v67, 0
	s_mov_b32 s15, exec_lo
	v_cmpx_ne_u16_e32 0, v0
	s_cbranch_execz .LBB373_27
; %bb.20:                               ;   in Loop: Header=BB373_11 Depth=1
	v_bfrev_b32_e32 v67, 1
	s_mov_b32 s17, exec_lo
	v_cmpx_ne_u16_e32 0x80, v0
	s_cbranch_execz .LBB373_26
; %bb.21:                               ;   in Loop: Header=BB373_11 Depth=1
	v_and_b32_e32 v0, 0xffff, v0
	v_mov_b32_e32 v67, 0x7fc02000
	s_mov_b32 s18, exec_lo
	s_delay_alu instid0(VALU_DEP_2) | instskip(NEXT) | instid1(VALU_DEP_1)
	v_and_b32_e32 v2, 0x7f, v0
	v_cmpx_ne_u32_e32 0x7f, v2
	s_cbranch_execz .LBB373_25
; %bb.22:                               ;   in Loop: Header=BB373_11 Depth=1
	v_and_b32_e32 v8, 7, v0
	v_lshrrev_b32_e32 v1, 3, v2
	v_mov_b32_e32 v33, v9
	s_mov_b32 s19, exec_lo
	s_delay_alu instid0(VALU_DEP_3)
	v_mov_b32_e32 v32, v8
	v_cmpx_gt_u32_e32 8, v2
; %bb.23:                               ;   in Loop: Header=BB373_11 Depth=1
	v_clz_i32_u32_e32 v1, v8
	s_delay_alu instid0(VALU_DEP_1) | instskip(NEXT) | instid1(VALU_DEP_1)
	v_min_u32_e32 v1, 32, v1
	v_subrev_nc_u32_e32 v2, 28, v1
	v_sub_nc_u32_e32 v1, 29, v1
	s_delay_alu instid0(VALU_DEP_2) | instskip(NEXT) | instid1(VALU_DEP_1)
	v_lshlrev_b64 v[2:3], v2, v[8:9]
	v_and_b32_e32 v32, 7, v2
; %bb.24:                               ;   in Loop: Header=BB373_11 Depth=1
	s_or_b32 exec_lo, exec_lo, s19
	v_lshlrev_b32_e32 v0, 8, v0
	v_lshl_add_u32 v1, v1, 10, 0x2000
	s_delay_alu instid0(VALU_DEP_1) | instskip(NEXT) | instid1(VALU_DEP_1)
	v_and_or_b32 v0, 0x8000, v0, v1
	v_lshl_or_b32 v0, v32, 7, v0
	s_delay_alu instid0(VALU_DEP_1)
	v_cvt_f32_f16_e32 v67, v0
.LBB373_25:                             ;   in Loop: Header=BB373_11 Depth=1
	s_or_b32 exec_lo, exec_lo, s18
.LBB373_26:                             ;   in Loop: Header=BB373_11 Depth=1
	s_delay_alu instid0(SALU_CYCLE_1)
	s_or_b32 exec_lo, exec_lo, s17
.LBB373_27:                             ;   in Loop: Header=BB373_11 Depth=1
	s_delay_alu instid0(SALU_CYCLE_1) | instskip(SKIP_2) | instid1(VALU_DEP_1)
	s_or_b32 exec_lo, exec_lo, s15
	v_lshrrev_b32_e32 v0, 16, v30
	s_mov_b32 s15, exec_lo
	v_and_b32_e32 v1, 0xff, v0
	s_delay_alu instid0(VALU_DEP_1)
	v_cmpx_ne_u16_e32 0, v1
	s_cbranch_execz .LBB373_35
; %bb.28:                               ;   in Loop: Header=BB373_11 Depth=1
	v_bfrev_b32_e32 v131, 1
	s_mov_b32 s17, exec_lo
	v_cmpx_ne_u16_e32 0x80, v1
	s_cbranch_execz .LBB373_34
; %bb.29:                               ;   in Loop: Header=BB373_11 Depth=1
	v_bfe_u32 v2, v30, 16, 7
	v_mov_b32_e32 v131, 0x7fc02000
	s_mov_b32 s18, exec_lo
	s_delay_alu instid0(VALU_DEP_2)
	v_cmpx_ne_u32_e32 0x7f, v2
	s_cbranch_execz .LBB373_33
; %bb.30:                               ;   in Loop: Header=BB373_11 Depth=1
	v_and_b32_e32 v8, 7, v0
	v_lshrrev_b32_e32 v1, 3, v2
	v_mov_b32_e32 v33, v9
	s_mov_b32 s19, exec_lo
	s_delay_alu instid0(VALU_DEP_3)
	v_mov_b32_e32 v32, v8
	v_cmpx_gt_u32_e32 8, v2
; %bb.31:                               ;   in Loop: Header=BB373_11 Depth=1
	v_clz_i32_u32_e32 v1, v8
	s_delay_alu instid0(VALU_DEP_1) | instskip(NEXT) | instid1(VALU_DEP_1)
	v_min_u32_e32 v1, 32, v1
	v_subrev_nc_u32_e32 v2, 28, v1
	v_sub_nc_u32_e32 v1, 29, v1
	s_delay_alu instid0(VALU_DEP_2) | instskip(NEXT) | instid1(VALU_DEP_1)
	v_lshlrev_b64 v[2:3], v2, v[8:9]
	v_and_b32_e32 v32, 7, v2
; %bb.32:                               ;   in Loop: Header=BB373_11 Depth=1
	s_or_b32 exec_lo, exec_lo, s19
	v_lshlrev_b32_e32 v0, 8, v0
	v_lshl_add_u32 v1, v1, 10, 0x2000
	s_delay_alu instid0(VALU_DEP_1) | instskip(NEXT) | instid1(VALU_DEP_1)
	v_and_or_b32 v0, 0x8000, v0, v1
	v_lshl_or_b32 v0, v32, 7, v0
	s_delay_alu instid0(VALU_DEP_1)
	v_cvt_f32_f16_e64 v131, v0
.LBB373_33:                             ;   in Loop: Header=BB373_11 Depth=1
	s_or_b32 exec_lo, exec_lo, s18
.LBB373_34:                             ;   in Loop: Header=BB373_11 Depth=1
	s_delay_alu instid0(SALU_CYCLE_1)
	s_or_b32 exec_lo, exec_lo, s17
.LBB373_35:                             ;   in Loop: Header=BB373_11 Depth=1
	s_delay_alu instid0(SALU_CYCLE_1)
	s_or_b32 exec_lo, exec_lo, s15
	v_mov_b32_e32 v141, 0
	v_mov_b32_e32 v39, 0
	s_mov_b32 s15, exec_lo
	v_cmpx_lt_u32_e32 0xffffff, v30
	s_cbranch_execz .LBB373_43
; %bb.36:                               ;   in Loop: Header=BB373_11 Depth=1
	v_lshrrev_b32_e32 v0, 24, v30
	v_bfrev_b32_e32 v39, 1
	s_mov_b32 s17, exec_lo
	s_delay_alu instid0(VALU_DEP_2)
	v_cmpx_ne_u32_e32 0x80, v0
	s_cbranch_execz .LBB373_42
; %bb.37:                               ;   in Loop: Header=BB373_11 Depth=1
	v_and_b32_e32 v2, 0x7f, v0
	v_mov_b32_e32 v39, 0x7fc02000
	s_mov_b32 s18, exec_lo
	s_delay_alu instid0(VALU_DEP_2)
	v_cmpx_ne_u32_e32 0x7f, v2
	s_cbranch_execz .LBB373_41
; %bb.38:                               ;   in Loop: Header=BB373_11 Depth=1
	v_and_b32_e32 v8, 7, v0
	v_lshrrev_b32_e32 v1, 3, v2
	v_mov_b32_e32 v33, v9
	s_mov_b32 s19, exec_lo
	s_delay_alu instid0(VALU_DEP_3)
	v_mov_b32_e32 v32, v8
	v_cmpx_gt_u32_e32 8, v2
; %bb.39:                               ;   in Loop: Header=BB373_11 Depth=1
	v_clz_i32_u32_e32 v1, v8
	s_delay_alu instid0(VALU_DEP_1) | instskip(NEXT) | instid1(VALU_DEP_1)
	v_min_u32_e32 v1, 32, v1
	v_subrev_nc_u32_e32 v2, 28, v1
	v_sub_nc_u32_e32 v1, 29, v1
	s_delay_alu instid0(VALU_DEP_2) | instskip(NEXT) | instid1(VALU_DEP_1)
	v_lshlrev_b64 v[2:3], v2, v[8:9]
	v_and_b32_e32 v32, 7, v2
; %bb.40:                               ;   in Loop: Header=BB373_11 Depth=1
	s_or_b32 exec_lo, exec_lo, s19
	v_lshlrev_b32_e32 v0, 8, v0
	v_lshl_add_u32 v1, v1, 10, 0x2000
	s_delay_alu instid0(VALU_DEP_1) | instskip(NEXT) | instid1(VALU_DEP_1)
	v_and_or_b32 v0, 0x8000, v0, v1
	v_lshl_or_b32 v0, v32, 7, v0
	s_delay_alu instid0(VALU_DEP_1)
	v_cvt_f32_f16_e32 v39, v0
.LBB373_41:                             ;   in Loop: Header=BB373_11 Depth=1
	s_or_b32 exec_lo, exec_lo, s18
.LBB373_42:                             ;   in Loop: Header=BB373_11 Depth=1
	s_delay_alu instid0(SALU_CYCLE_1)
	s_or_b32 exec_lo, exec_lo, s17
.LBB373_43:                             ;   in Loop: Header=BB373_11 Depth=1
	s_delay_alu instid0(SALU_CYCLE_1) | instskip(SKIP_3) | instid1(VALU_DEP_2)
	s_or_b32 exec_lo, exec_lo, s15
	v_and_b32_e32 v0, 0xff, v31
	v_mov_b32_e32 v8, v31
	s_mov_b32 s15, exec_lo
	v_cmpx_ne_u16_e32 0, v0
	s_cbranch_execz .LBB373_51
; %bb.44:                               ;   in Loop: Header=BB373_11 Depth=1
	v_bfrev_b32_e32 v141, 1
	s_mov_b32 s17, exec_lo
	v_cmpx_ne_u16_e32 0x80, v0
	s_cbranch_execz .LBB373_50
; %bb.45:                               ;   in Loop: Header=BB373_11 Depth=1
	v_and_b32_e32 v1, 0x7f, v31
	v_mov_b32_e32 v141, 0x7fc02000
	s_mov_b32 s18, exec_lo
	s_delay_alu instid0(VALU_DEP_2)
	v_cmpx_ne_u32_e32 0x7f, v1
	s_cbranch_execz .LBB373_49
; %bb.46:                               ;   in Loop: Header=BB373_11 Depth=1
	v_lshrrev_b32_e32 v0, 3, v1
	v_dual_mov_b32 v33, v9 :: v_dual_mov_b32 v32, v8
	s_mov_b32 s19, exec_lo
	v_cmpx_gt_u32_e32 8, v1
; %bb.47:                               ;   in Loop: Header=BB373_11 Depth=1
	v_and_b32_e32 v0, 7, v31
	s_delay_alu instid0(VALU_DEP_1) | instskip(NEXT) | instid1(VALU_DEP_1)
	v_clz_i32_u32_e32 v0, v0
	v_min_u32_e32 v0, 32, v0
	s_delay_alu instid0(VALU_DEP_1) | instskip(SKIP_1) | instid1(VALU_DEP_2)
	v_subrev_nc_u32_e32 v1, 28, v0
	v_sub_nc_u32_e32 v0, 29, v0
	v_lshlrev_b64 v[32:33], v1, v[8:9]
; %bb.48:                               ;   in Loop: Header=BB373_11 Depth=1
	s_or_b32 exec_lo, exec_lo, s19
	v_lshlrev_b32_e32 v1, 8, v31
	s_delay_alu instid0(VALU_DEP_3) | instskip(NEXT) | instid1(VALU_DEP_3)
	v_lshl_add_u32 v0, v0, 10, 0x2000
	v_lshlrev_b32_e32 v2, 7, v32
	s_delay_alu instid0(VALU_DEP_2) | instskip(NEXT) | instid1(VALU_DEP_1)
	v_and_or_b32 v0, 0x8000, v1, v0
	v_and_or_b32 v0, 0x380, v2, v0
	s_delay_alu instid0(VALU_DEP_1)
	v_cvt_f32_f16_e64 v141, v0
.LBB373_49:                             ;   in Loop: Header=BB373_11 Depth=1
	s_or_b32 exec_lo, exec_lo, s18
.LBB373_50:                             ;   in Loop: Header=BB373_11 Depth=1
	s_delay_alu instid0(SALU_CYCLE_1)
	s_or_b32 exec_lo, exec_lo, s17
.LBB373_51:                             ;   in Loop: Header=BB373_11 Depth=1
	s_delay_alu instid0(SALU_CYCLE_1)
	s_or_b32 exec_lo, exec_lo, s15
	v_mov_b32_e32 v1, 0
	v_lshrrev_b16 v0, 8, v8
	s_mov_b32 s15, exec_lo
	scratch_store_b32 off, v1, s32 offset:328 ; 4-byte Folded Spill
	v_mov_b32_e32 v1, 0
	scratch_store_b32 off, v1, s32 offset:332 ; 4-byte Folded Spill
	v_cmpx_ne_u16_e32 0, v0
	s_cbranch_execz .LBB373_59
; %bb.52:                               ;   in Loop: Header=BB373_11 Depth=1
	v_bfrev_b32_e32 v1, 1
	s_mov_b32 s17, exec_lo
	scratch_store_b32 off, v1, s32 offset:332 ; 4-byte Folded Spill
	v_cmpx_ne_u16_e32 0x80, v0
	s_cbranch_execz .LBB373_58
; %bb.53:                               ;   in Loop: Header=BB373_11 Depth=1
	v_and_b32_e32 v0, 0xffff, v0
	v_mov_b32_e32 v1, 0x7fc02000
	s_mov_b32 s18, exec_lo
	s_delay_alu instid0(VALU_DEP_2)
	v_and_b32_e32 v2, 0x7f, v0
	scratch_store_b32 off, v1, s32 offset:332 ; 4-byte Folded Spill
	v_cmpx_ne_u32_e32 0x7f, v2
	s_cbranch_execz .LBB373_57
; %bb.54:                               ;   in Loop: Header=BB373_11 Depth=1
	v_and_b32_e32 v8, 7, v0
	v_lshrrev_b32_e32 v1, 3, v2
	v_mov_b32_e32 v33, v9
	s_mov_b32 s19, exec_lo
	s_delay_alu instid0(VALU_DEP_3)
	v_mov_b32_e32 v32, v8
	v_cmpx_gt_u32_e32 8, v2
; %bb.55:                               ;   in Loop: Header=BB373_11 Depth=1
	v_clz_i32_u32_e32 v1, v8
	s_delay_alu instid0(VALU_DEP_1) | instskip(NEXT) | instid1(VALU_DEP_1)
	v_min_u32_e32 v1, 32, v1
	v_subrev_nc_u32_e32 v2, 28, v1
	v_sub_nc_u32_e32 v1, 29, v1
	s_delay_alu instid0(VALU_DEP_2) | instskip(NEXT) | instid1(VALU_DEP_1)
	v_lshlrev_b64 v[2:3], v2, v[8:9]
	v_and_b32_e32 v32, 7, v2
; %bb.56:                               ;   in Loop: Header=BB373_11 Depth=1
	s_or_b32 exec_lo, exec_lo, s19
	v_lshlrev_b32_e32 v0, 8, v0
	v_lshl_add_u32 v1, v1, 10, 0x2000
	s_delay_alu instid0(VALU_DEP_1) | instskip(NEXT) | instid1(VALU_DEP_1)
	v_and_or_b32 v0, 0x8000, v0, v1
	v_lshl_or_b32 v0, v32, 7, v0
	s_delay_alu instid0(VALU_DEP_1)
	v_cvt_f32_f16_e32 v0, v0
	scratch_store_b32 off, v0, s32 offset:332 ; 4-byte Folded Spill
.LBB373_57:                             ;   in Loop: Header=BB373_11 Depth=1
	s_or_b32 exec_lo, exec_lo, s18
.LBB373_58:                             ;   in Loop: Header=BB373_11 Depth=1
	s_delay_alu instid0(SALU_CYCLE_1)
	s_or_b32 exec_lo, exec_lo, s17
.LBB373_59:                             ;   in Loop: Header=BB373_11 Depth=1
	s_delay_alu instid0(SALU_CYCLE_1) | instskip(SKIP_2) | instid1(VALU_DEP_1)
	s_or_b32 exec_lo, exec_lo, s15
	v_lshrrev_b32_e32 v0, 16, v31
	s_mov_b32 s15, exec_lo
	v_and_b32_e32 v1, 0xff, v0
	s_delay_alu instid0(VALU_DEP_1)
	v_cmpx_ne_u16_e32 0, v1
	s_cbranch_execz .LBB373_67
; %bb.60:                               ;   in Loop: Header=BB373_11 Depth=1
	v_cmp_ne_u16_e64 s1, 0x80, v1
	v_bfrev_b32_e32 v1, 1
	scratch_store_b32 off, v1, s32 offset:328 ; 4-byte Folded Spill
	s_and_saveexec_b32 s17, s1
	s_cbranch_execz .LBB373_66
; %bb.61:                               ;   in Loop: Header=BB373_11 Depth=1
	v_bfe_u32 v2, v31, 16, 7
	v_mov_b32_e32 v1, 0x7fc02000
	s_mov_b32 s18, exec_lo
	scratch_store_b32 off, v1, s32 offset:328 ; 4-byte Folded Spill
	v_cmpx_ne_u32_e32 0x7f, v2
	s_cbranch_execz .LBB373_65
; %bb.62:                               ;   in Loop: Header=BB373_11 Depth=1
	v_and_b32_e32 v8, 7, v0
	v_lshrrev_b32_e32 v1, 3, v2
	v_mov_b32_e32 v33, v9
	s_mov_b32 s19, exec_lo
	s_delay_alu instid0(VALU_DEP_3)
	v_mov_b32_e32 v32, v8
	v_cmpx_gt_u32_e32 8, v2
; %bb.63:                               ;   in Loop: Header=BB373_11 Depth=1
	v_clz_i32_u32_e32 v1, v8
	s_delay_alu instid0(VALU_DEP_1) | instskip(NEXT) | instid1(VALU_DEP_1)
	v_min_u32_e32 v1, 32, v1
	v_subrev_nc_u32_e32 v2, 28, v1
	v_sub_nc_u32_e32 v1, 29, v1
	s_delay_alu instid0(VALU_DEP_2) | instskip(NEXT) | instid1(VALU_DEP_1)
	v_lshlrev_b64 v[2:3], v2, v[8:9]
	v_and_b32_e32 v32, 7, v2
; %bb.64:                               ;   in Loop: Header=BB373_11 Depth=1
	s_or_b32 exec_lo, exec_lo, s19
	v_lshlrev_b32_e32 v0, 8, v0
	v_lshl_add_u32 v1, v1, 10, 0x2000
	s_delay_alu instid0(VALU_DEP_1) | instskip(NEXT) | instid1(VALU_DEP_1)
	v_and_or_b32 v0, 0x8000, v0, v1
	v_lshl_or_b32 v0, v32, 7, v0
	s_delay_alu instid0(VALU_DEP_1)
	v_cvt_f32_f16_e32 v0, v0
	scratch_store_b32 off, v0, s32 offset:328 ; 4-byte Folded Spill
.LBB373_65:                             ;   in Loop: Header=BB373_11 Depth=1
	s_or_b32 exec_lo, exec_lo, s18
.LBB373_66:                             ;   in Loop: Header=BB373_11 Depth=1
	s_delay_alu instid0(SALU_CYCLE_1)
	s_or_b32 exec_lo, exec_lo, s17
.LBB373_67:                             ;   in Loop: Header=BB373_11 Depth=1
	s_delay_alu instid0(SALU_CYCLE_1)
	s_or_b32 exec_lo, exec_lo, s15
	v_mov_b32_e32 v0, 0
	s_mov_b32 s15, exec_lo
	scratch_store_b32 off, v0, s32 offset:336 ; 4-byte Folded Spill
	v_mov_b32_e32 v0, 0
	scratch_store_b32 off, v0, s32 offset:616 ; 4-byte Folded Spill
	v_cmpx_lt_u64_e64 s[2:3], v[30:31]
	s_cbranch_execz .LBB373_75
; %bb.68:                               ;   in Loop: Header=BB373_11 Depth=1
	v_lshrrev_b32_e32 v0, 24, v31
	v_bfrev_b32_e32 v1, 1
	s_mov_b32 s17, exec_lo
	s_delay_alu instid0(VALU_DEP_2)
	v_cmpx_ne_u32_e32 0x80, v0
	s_cbranch_execz .LBB373_74
; %bb.69:                               ;   in Loop: Header=BB373_11 Depth=1
	v_and_b32_e32 v2, 0x7f, v0
	v_mov_b32_e32 v1, 0x7fc02000
	s_mov_b32 s18, exec_lo
	s_delay_alu instid0(VALU_DEP_2)
	v_cmpx_ne_u32_e32 0x7f, v2
	s_cbranch_execz .LBB373_73
; %bb.70:                               ;   in Loop: Header=BB373_11 Depth=1
	v_and_b32_e32 v8, 7, v0
	v_lshrrev_b32_e32 v1, 3, v2
	v_mov_b32_e32 v31, v9
	s_mov_b32 s19, exec_lo
	s_delay_alu instid0(VALU_DEP_3)
	v_mov_b32_e32 v30, v8
	v_cmpx_gt_u32_e32 8, v2
; %bb.71:                               ;   in Loop: Header=BB373_11 Depth=1
	v_clz_i32_u32_e32 v1, v8
	s_delay_alu instid0(VALU_DEP_1) | instskip(NEXT) | instid1(VALU_DEP_1)
	v_min_u32_e32 v1, 32, v1
	v_subrev_nc_u32_e32 v2, 28, v1
	v_sub_nc_u32_e32 v1, 29, v1
	s_delay_alu instid0(VALU_DEP_2) | instskip(NEXT) | instid1(VALU_DEP_1)
	v_lshlrev_b64 v[2:3], v2, v[8:9]
	v_and_b32_e32 v30, 7, v2
; %bb.72:                               ;   in Loop: Header=BB373_11 Depth=1
	s_or_b32 exec_lo, exec_lo, s19
	v_lshlrev_b32_e32 v0, 8, v0
	v_lshl_add_u32 v1, v1, 10, 0x2000
	s_delay_alu instid0(VALU_DEP_1) | instskip(NEXT) | instid1(VALU_DEP_1)
	v_and_or_b32 v0, 0x8000, v0, v1
	v_lshl_or_b32 v0, v30, 7, v0
	s_delay_alu instid0(VALU_DEP_1)
	v_cvt_f32_f16_e32 v1, v0
.LBB373_73:                             ;   in Loop: Header=BB373_11 Depth=1
	s_or_b32 exec_lo, exec_lo, s18
.LBB373_74:                             ;   in Loop: Header=BB373_11 Depth=1
	s_delay_alu instid0(SALU_CYCLE_1)
	s_or_b32 exec_lo, exec_lo, s17
	scratch_store_b32 off, v1, s32 offset:616 ; 4-byte Folded Spill
.LBB373_75:                             ;   in Loop: Header=BB373_11 Depth=1
	s_or_b32 exec_lo, exec_lo, s15
	flat_load_b64 v[30:31], v[28:29] offset:8
	s_mov_b32 s15, exec_lo
	s_waitcnt vmcnt(0) lgkmcnt(0)
	v_and_b32_e32 v0, 0xff, v30
	s_delay_alu instid0(VALU_DEP_1)
	v_cmpx_ne_u16_e32 0, v0
	s_cbranch_execz .LBB373_83
; %bb.76:                               ;   in Loop: Header=BB373_11 Depth=1
	v_cmp_ne_u16_e64 s1, 0x80, v0
	v_bfrev_b32_e32 v0, 1
	scratch_store_b32 off, v0, s32 offset:336 ; 4-byte Folded Spill
	s_and_saveexec_b32 s17, s1
	s_cbranch_execz .LBB373_82
; %bb.77:                               ;   in Loop: Header=BB373_11 Depth=1
	v_and_b32_e32 v1, 0x7f, v30
	v_mov_b32_e32 v0, 0x7fc02000
	s_mov_b32 s18, exec_lo
	scratch_store_b32 off, v0, s32 offset:336 ; 4-byte Folded Spill
	v_cmpx_ne_u32_e32 0x7f, v1
	s_cbranch_execz .LBB373_81
; %bb.78:                               ;   in Loop: Header=BB373_11 Depth=1
	v_lshrrev_b32_e32 v0, 3, v1
	v_dual_mov_b32 v33, v31 :: v_dual_mov_b32 v32, v30
	s_mov_b32 s19, exec_lo
	v_cmpx_gt_u32_e32 8, v1
; %bb.79:                               ;   in Loop: Header=BB373_11 Depth=1
	v_and_b32_e32 v0, 7, v30
	s_delay_alu instid0(VALU_DEP_1) | instskip(NEXT) | instid1(VALU_DEP_1)
	v_clz_i32_u32_e32 v0, v0
	v_min_u32_e32 v0, 32, v0
	s_delay_alu instid0(VALU_DEP_1) | instskip(SKIP_1) | instid1(VALU_DEP_2)
	v_subrev_nc_u32_e32 v1, 28, v0
	v_sub_nc_u32_e32 v0, 29, v0
	v_lshlrev_b64 v[32:33], v1, v[30:31]
; %bb.80:                               ;   in Loop: Header=BB373_11 Depth=1
	s_or_b32 exec_lo, exec_lo, s19
	v_lshlrev_b32_e32 v1, 8, v30
	s_delay_alu instid0(VALU_DEP_3) | instskip(NEXT) | instid1(VALU_DEP_3)
	v_lshl_add_u32 v0, v0, 10, 0x2000
	v_lshlrev_b32_e32 v2, 7, v32
	s_delay_alu instid0(VALU_DEP_2) | instskip(NEXT) | instid1(VALU_DEP_1)
	v_and_or_b32 v0, 0x8000, v1, v0
	v_and_or_b32 v0, 0x380, v2, v0
	s_delay_alu instid0(VALU_DEP_1)
	v_cvt_f32_f16_e32 v0, v0
	scratch_store_b32 off, v0, s32 offset:336 ; 4-byte Folded Spill
.LBB373_81:                             ;   in Loop: Header=BB373_11 Depth=1
	s_or_b32 exec_lo, exec_lo, s18
.LBB373_82:                             ;   in Loop: Header=BB373_11 Depth=1
	s_delay_alu instid0(SALU_CYCLE_1)
	s_or_b32 exec_lo, exec_lo, s17
.LBB373_83:                             ;   in Loop: Header=BB373_11 Depth=1
	s_delay_alu instid0(SALU_CYCLE_1)
	s_or_b32 exec_lo, exec_lo, s15
	v_mov_b32_e32 v1, 0
	v_lshrrev_b16 v0, 8, v30
	s_mov_b32 s15, exec_lo
	scratch_store_b32 off, v1, s32 offset:340 ; 4-byte Folded Spill
	v_mov_b32_e32 v1, 0
	scratch_store_b32 off, v1, s32 offset:344 ; 4-byte Folded Spill
	v_cmpx_ne_u16_e32 0, v0
	s_cbranch_execz .LBB373_91
; %bb.84:                               ;   in Loop: Header=BB373_11 Depth=1
	v_bfrev_b32_e32 v1, 1
	s_mov_b32 s17, exec_lo
	scratch_store_b32 off, v1, s32 offset:344 ; 4-byte Folded Spill
	v_cmpx_ne_u16_e32 0x80, v0
	s_cbranch_execz .LBB373_90
; %bb.85:                               ;   in Loop: Header=BB373_11 Depth=1
	v_and_b32_e32 v0, 0xffff, v0
	v_mov_b32_e32 v1, 0x7fc02000
	s_mov_b32 s18, exec_lo
	s_delay_alu instid0(VALU_DEP_2)
	v_and_b32_e32 v2, 0x7f, v0
	scratch_store_b32 off, v1, s32 offset:344 ; 4-byte Folded Spill
	v_cmpx_ne_u32_e32 0x7f, v2
	s_cbranch_execz .LBB373_89
; %bb.86:                               ;   in Loop: Header=BB373_11 Depth=1
	v_and_b32_e32 v8, 7, v0
	v_lshrrev_b32_e32 v1, 3, v2
	v_mov_b32_e32 v33, v9
	s_mov_b32 s19, exec_lo
	s_delay_alu instid0(VALU_DEP_3)
	v_mov_b32_e32 v32, v8
	v_cmpx_gt_u32_e32 8, v2
; %bb.87:                               ;   in Loop: Header=BB373_11 Depth=1
	v_clz_i32_u32_e32 v1, v8
	s_delay_alu instid0(VALU_DEP_1) | instskip(NEXT) | instid1(VALU_DEP_1)
	v_min_u32_e32 v1, 32, v1
	v_subrev_nc_u32_e32 v2, 28, v1
	v_sub_nc_u32_e32 v1, 29, v1
	s_delay_alu instid0(VALU_DEP_2) | instskip(NEXT) | instid1(VALU_DEP_1)
	v_lshlrev_b64 v[2:3], v2, v[8:9]
	v_and_b32_e32 v32, 7, v2
; %bb.88:                               ;   in Loop: Header=BB373_11 Depth=1
	s_or_b32 exec_lo, exec_lo, s19
	v_lshlrev_b32_e32 v0, 8, v0
	v_lshl_add_u32 v1, v1, 10, 0x2000
	s_delay_alu instid0(VALU_DEP_1) | instskip(NEXT) | instid1(VALU_DEP_1)
	v_and_or_b32 v0, 0x8000, v0, v1
	v_lshl_or_b32 v0, v32, 7, v0
	s_delay_alu instid0(VALU_DEP_1)
	v_cvt_f32_f16_e32 v0, v0
	scratch_store_b32 off, v0, s32 offset:344 ; 4-byte Folded Spill
.LBB373_89:                             ;   in Loop: Header=BB373_11 Depth=1
	s_or_b32 exec_lo, exec_lo, s18
.LBB373_90:                             ;   in Loop: Header=BB373_11 Depth=1
	s_delay_alu instid0(SALU_CYCLE_1)
	s_or_b32 exec_lo, exec_lo, s17
.LBB373_91:                             ;   in Loop: Header=BB373_11 Depth=1
	s_delay_alu instid0(SALU_CYCLE_1) | instskip(SKIP_2) | instid1(VALU_DEP_1)
	s_or_b32 exec_lo, exec_lo, s15
	v_lshrrev_b32_e32 v0, 16, v30
	s_mov_b32 s15, exec_lo
	v_and_b32_e32 v1, 0xff, v0
	s_delay_alu instid0(VALU_DEP_1)
	v_cmpx_ne_u16_e32 0, v1
	s_cbranch_execz .LBB373_99
; %bb.92:                               ;   in Loop: Header=BB373_11 Depth=1
	v_cmp_ne_u16_e64 s1, 0x80, v1
	v_bfrev_b32_e32 v1, 1
	scratch_store_b32 off, v1, s32 offset:340 ; 4-byte Folded Spill
	s_and_saveexec_b32 s17, s1
	s_cbranch_execz .LBB373_98
; %bb.93:                               ;   in Loop: Header=BB373_11 Depth=1
	v_bfe_u32 v2, v30, 16, 7
	v_mov_b32_e32 v1, 0x7fc02000
	s_mov_b32 s18, exec_lo
	scratch_store_b32 off, v1, s32 offset:340 ; 4-byte Folded Spill
	v_cmpx_ne_u32_e32 0x7f, v2
	s_cbranch_execz .LBB373_97
; %bb.94:                               ;   in Loop: Header=BB373_11 Depth=1
	v_and_b32_e32 v8, 7, v0
	v_lshrrev_b32_e32 v1, 3, v2
	v_mov_b32_e32 v33, v9
	s_mov_b32 s19, exec_lo
	s_delay_alu instid0(VALU_DEP_3)
	v_mov_b32_e32 v32, v8
	v_cmpx_gt_u32_e32 8, v2
; %bb.95:                               ;   in Loop: Header=BB373_11 Depth=1
	v_clz_i32_u32_e32 v1, v8
	s_delay_alu instid0(VALU_DEP_1) | instskip(NEXT) | instid1(VALU_DEP_1)
	v_min_u32_e32 v1, 32, v1
	v_subrev_nc_u32_e32 v2, 28, v1
	v_sub_nc_u32_e32 v1, 29, v1
	s_delay_alu instid0(VALU_DEP_2) | instskip(NEXT) | instid1(VALU_DEP_1)
	v_lshlrev_b64 v[2:3], v2, v[8:9]
	v_and_b32_e32 v32, 7, v2
; %bb.96:                               ;   in Loop: Header=BB373_11 Depth=1
	s_or_b32 exec_lo, exec_lo, s19
	v_lshlrev_b32_e32 v0, 8, v0
	v_lshl_add_u32 v1, v1, 10, 0x2000
	s_delay_alu instid0(VALU_DEP_1) | instskip(NEXT) | instid1(VALU_DEP_1)
	v_and_or_b32 v0, 0x8000, v0, v1
	v_lshl_or_b32 v0, v32, 7, v0
	s_delay_alu instid0(VALU_DEP_1)
	v_cvt_f32_f16_e32 v0, v0
	scratch_store_b32 off, v0, s32 offset:340 ; 4-byte Folded Spill
.LBB373_97:                             ;   in Loop: Header=BB373_11 Depth=1
	s_or_b32 exec_lo, exec_lo, s18
.LBB373_98:                             ;   in Loop: Header=BB373_11 Depth=1
	s_delay_alu instid0(SALU_CYCLE_1)
	s_or_b32 exec_lo, exec_lo, s17
.LBB373_99:                             ;   in Loop: Header=BB373_11 Depth=1
	s_delay_alu instid0(SALU_CYCLE_1)
	s_or_b32 exec_lo, exec_lo, s15
	v_mov_b32_e32 v0, 0
	s_mov_b32 s15, exec_lo
	scratch_store_b32 off, v0, s32 offset:348 ; 4-byte Folded Spill
	v_mov_b32_e32 v0, 0
	scratch_store_b32 off, v0, s32 offset:352 ; 4-byte Folded Spill
	v_cmpx_lt_u32_e32 0xffffff, v30
	s_cbranch_execz .LBB373_107
; %bb.100:                              ;   in Loop: Header=BB373_11 Depth=1
	v_lshrrev_b32_e32 v0, 24, v30
	v_bfrev_b32_e32 v1, 1
	s_mov_b32 s17, exec_lo
	scratch_store_b32 off, v1, s32 offset:352 ; 4-byte Folded Spill
	v_cmpx_ne_u32_e32 0x80, v0
	s_cbranch_execz .LBB373_106
; %bb.101:                              ;   in Loop: Header=BB373_11 Depth=1
	v_and_b32_e32 v2, 0x7f, v0
	v_mov_b32_e32 v1, 0x7fc02000
	s_mov_b32 s18, exec_lo
	scratch_store_b32 off, v1, s32 offset:352 ; 4-byte Folded Spill
	v_cmpx_ne_u32_e32 0x7f, v2
	s_cbranch_execz .LBB373_105
; %bb.102:                              ;   in Loop: Header=BB373_11 Depth=1
	v_and_b32_e32 v8, 7, v0
	v_lshrrev_b32_e32 v1, 3, v2
	v_mov_b32_e32 v33, v9
	s_mov_b32 s19, exec_lo
	s_delay_alu instid0(VALU_DEP_3)
	v_mov_b32_e32 v32, v8
	v_cmpx_gt_u32_e32 8, v2
; %bb.103:                              ;   in Loop: Header=BB373_11 Depth=1
	v_clz_i32_u32_e32 v1, v8
	s_delay_alu instid0(VALU_DEP_1) | instskip(NEXT) | instid1(VALU_DEP_1)
	v_min_u32_e32 v1, 32, v1
	v_subrev_nc_u32_e32 v2, 28, v1
	v_sub_nc_u32_e32 v1, 29, v1
	s_delay_alu instid0(VALU_DEP_2) | instskip(NEXT) | instid1(VALU_DEP_1)
	v_lshlrev_b64 v[2:3], v2, v[8:9]
	v_and_b32_e32 v32, 7, v2
; %bb.104:                              ;   in Loop: Header=BB373_11 Depth=1
	s_or_b32 exec_lo, exec_lo, s19
	v_lshlrev_b32_e32 v0, 8, v0
	v_lshl_add_u32 v1, v1, 10, 0x2000
	s_delay_alu instid0(VALU_DEP_1) | instskip(NEXT) | instid1(VALU_DEP_1)
	v_and_or_b32 v0, 0x8000, v0, v1
	v_lshl_or_b32 v0, v32, 7, v0
	s_delay_alu instid0(VALU_DEP_1)
	v_cvt_f32_f16_e32 v0, v0
	scratch_store_b32 off, v0, s32 offset:352 ; 4-byte Folded Spill
.LBB373_105:                            ;   in Loop: Header=BB373_11 Depth=1
	s_or_b32 exec_lo, exec_lo, s18
.LBB373_106:                            ;   in Loop: Header=BB373_11 Depth=1
	s_delay_alu instid0(SALU_CYCLE_1)
	s_or_b32 exec_lo, exec_lo, s17
.LBB373_107:                            ;   in Loop: Header=BB373_11 Depth=1
	s_delay_alu instid0(SALU_CYCLE_1) | instskip(SKIP_3) | instid1(VALU_DEP_2)
	s_or_b32 exec_lo, exec_lo, s15
	v_and_b32_e32 v0, 0xff, v31
	v_mov_b32_e32 v8, v31
	s_mov_b32 s15, exec_lo
	v_cmpx_ne_u16_e32 0, v0
	s_cbranch_execz .LBB373_115
; %bb.108:                              ;   in Loop: Header=BB373_11 Depth=1
	v_cmp_ne_u16_e64 s1, 0x80, v0
	v_bfrev_b32_e32 v0, 1
	scratch_store_b32 off, v0, s32 offset:348 ; 4-byte Folded Spill
	s_and_saveexec_b32 s17, s1
	s_cbranch_execz .LBB373_114
; %bb.109:                              ;   in Loop: Header=BB373_11 Depth=1
	v_and_b32_e32 v1, 0x7f, v31
	v_mov_b32_e32 v0, 0x7fc02000
	s_mov_b32 s18, exec_lo
	scratch_store_b32 off, v0, s32 offset:348 ; 4-byte Folded Spill
	v_cmpx_ne_u32_e32 0x7f, v1
	s_cbranch_execz .LBB373_113
; %bb.110:                              ;   in Loop: Header=BB373_11 Depth=1
	v_lshrrev_b32_e32 v0, 3, v1
	v_dual_mov_b32 v33, v9 :: v_dual_mov_b32 v32, v8
	s_mov_b32 s19, exec_lo
	v_cmpx_gt_u32_e32 8, v1
; %bb.111:                              ;   in Loop: Header=BB373_11 Depth=1
	v_and_b32_e32 v0, 7, v31
	s_delay_alu instid0(VALU_DEP_1) | instskip(NEXT) | instid1(VALU_DEP_1)
	v_clz_i32_u32_e32 v0, v0
	v_min_u32_e32 v0, 32, v0
	s_delay_alu instid0(VALU_DEP_1) | instskip(SKIP_1) | instid1(VALU_DEP_2)
	v_subrev_nc_u32_e32 v1, 28, v0
	v_sub_nc_u32_e32 v0, 29, v0
	v_lshlrev_b64 v[32:33], v1, v[8:9]
; %bb.112:                              ;   in Loop: Header=BB373_11 Depth=1
	s_or_b32 exec_lo, exec_lo, s19
	v_lshlrev_b32_e32 v1, 8, v31
	s_delay_alu instid0(VALU_DEP_3) | instskip(NEXT) | instid1(VALU_DEP_3)
	v_lshl_add_u32 v0, v0, 10, 0x2000
	v_lshlrev_b32_e32 v2, 7, v32
	s_delay_alu instid0(VALU_DEP_2) | instskip(NEXT) | instid1(VALU_DEP_1)
	v_and_or_b32 v0, 0x8000, v1, v0
	v_and_or_b32 v0, 0x380, v2, v0
	s_delay_alu instid0(VALU_DEP_1)
	v_cvt_f32_f16_e32 v0, v0
	scratch_store_b32 off, v0, s32 offset:348 ; 4-byte Folded Spill
.LBB373_113:                            ;   in Loop: Header=BB373_11 Depth=1
	s_or_b32 exec_lo, exec_lo, s18
.LBB373_114:                            ;   in Loop: Header=BB373_11 Depth=1
	s_delay_alu instid0(SALU_CYCLE_1)
	s_or_b32 exec_lo, exec_lo, s17
.LBB373_115:                            ;   in Loop: Header=BB373_11 Depth=1
	s_delay_alu instid0(SALU_CYCLE_1)
	s_or_b32 exec_lo, exec_lo, s15
	v_mov_b32_e32 v1, 0
	v_lshrrev_b16 v0, 8, v8
	s_mov_b32 s15, exec_lo
	scratch_store_b32 off, v1, s32 offset:356 ; 4-byte Folded Spill
	v_mov_b32_e32 v1, 0
	scratch_store_b32 off, v1, s32 offset:360 ; 4-byte Folded Spill
	v_cmpx_ne_u16_e32 0, v0
	s_cbranch_execz .LBB373_123
; %bb.116:                              ;   in Loop: Header=BB373_11 Depth=1
	v_bfrev_b32_e32 v1, 1
	s_mov_b32 s17, exec_lo
	scratch_store_b32 off, v1, s32 offset:360 ; 4-byte Folded Spill
	v_cmpx_ne_u16_e32 0x80, v0
	s_cbranch_execz .LBB373_122
; %bb.117:                              ;   in Loop: Header=BB373_11 Depth=1
	v_and_b32_e32 v0, 0xffff, v0
	v_mov_b32_e32 v1, 0x7fc02000
	s_mov_b32 s18, exec_lo
	s_delay_alu instid0(VALU_DEP_2)
	v_and_b32_e32 v2, 0x7f, v0
	scratch_store_b32 off, v1, s32 offset:360 ; 4-byte Folded Spill
	v_cmpx_ne_u32_e32 0x7f, v2
	s_cbranch_execz .LBB373_121
; %bb.118:                              ;   in Loop: Header=BB373_11 Depth=1
	v_and_b32_e32 v8, 7, v0
	v_lshrrev_b32_e32 v1, 3, v2
	v_mov_b32_e32 v33, v9
	s_mov_b32 s19, exec_lo
	s_delay_alu instid0(VALU_DEP_3)
	v_mov_b32_e32 v32, v8
	v_cmpx_gt_u32_e32 8, v2
; %bb.119:                              ;   in Loop: Header=BB373_11 Depth=1
	v_clz_i32_u32_e32 v1, v8
	s_delay_alu instid0(VALU_DEP_1) | instskip(NEXT) | instid1(VALU_DEP_1)
	v_min_u32_e32 v1, 32, v1
	v_subrev_nc_u32_e32 v2, 28, v1
	v_sub_nc_u32_e32 v1, 29, v1
	s_delay_alu instid0(VALU_DEP_2) | instskip(NEXT) | instid1(VALU_DEP_1)
	v_lshlrev_b64 v[2:3], v2, v[8:9]
	v_and_b32_e32 v32, 7, v2
; %bb.120:                              ;   in Loop: Header=BB373_11 Depth=1
	s_or_b32 exec_lo, exec_lo, s19
	v_lshlrev_b32_e32 v0, 8, v0
	v_lshl_add_u32 v1, v1, 10, 0x2000
	s_delay_alu instid0(VALU_DEP_1) | instskip(NEXT) | instid1(VALU_DEP_1)
	v_and_or_b32 v0, 0x8000, v0, v1
	v_lshl_or_b32 v0, v32, 7, v0
	s_delay_alu instid0(VALU_DEP_1)
	v_cvt_f32_f16_e32 v0, v0
	scratch_store_b32 off, v0, s32 offset:360 ; 4-byte Folded Spill
.LBB373_121:                            ;   in Loop: Header=BB373_11 Depth=1
	s_or_b32 exec_lo, exec_lo, s18
.LBB373_122:                            ;   in Loop: Header=BB373_11 Depth=1
	s_delay_alu instid0(SALU_CYCLE_1)
	s_or_b32 exec_lo, exec_lo, s17
.LBB373_123:                            ;   in Loop: Header=BB373_11 Depth=1
	s_delay_alu instid0(SALU_CYCLE_1) | instskip(SKIP_2) | instid1(VALU_DEP_1)
	s_or_b32 exec_lo, exec_lo, s15
	v_lshrrev_b32_e32 v0, 16, v31
	s_mov_b32 s15, exec_lo
	v_and_b32_e32 v1, 0xff, v0
	s_delay_alu instid0(VALU_DEP_1)
	v_cmpx_ne_u16_e32 0, v1
	s_cbranch_execz .LBB373_131
; %bb.124:                              ;   in Loop: Header=BB373_11 Depth=1
	v_cmp_ne_u16_e64 s1, 0x80, v1
	v_bfrev_b32_e32 v1, 1
	scratch_store_b32 off, v1, s32 offset:356 ; 4-byte Folded Spill
	s_and_saveexec_b32 s17, s1
	s_cbranch_execz .LBB373_130
; %bb.125:                              ;   in Loop: Header=BB373_11 Depth=1
	v_bfe_u32 v2, v31, 16, 7
	v_mov_b32_e32 v1, 0x7fc02000
	s_mov_b32 s18, exec_lo
	scratch_store_b32 off, v1, s32 offset:356 ; 4-byte Folded Spill
	v_cmpx_ne_u32_e32 0x7f, v2
	s_cbranch_execz .LBB373_129
; %bb.126:                              ;   in Loop: Header=BB373_11 Depth=1
	v_and_b32_e32 v8, 7, v0
	v_lshrrev_b32_e32 v1, 3, v2
	v_mov_b32_e32 v33, v9
	s_mov_b32 s19, exec_lo
	s_delay_alu instid0(VALU_DEP_3)
	v_mov_b32_e32 v32, v8
	v_cmpx_gt_u32_e32 8, v2
; %bb.127:                              ;   in Loop: Header=BB373_11 Depth=1
	v_clz_i32_u32_e32 v1, v8
	s_delay_alu instid0(VALU_DEP_1) | instskip(NEXT) | instid1(VALU_DEP_1)
	v_min_u32_e32 v1, 32, v1
	v_subrev_nc_u32_e32 v2, 28, v1
	v_sub_nc_u32_e32 v1, 29, v1
	s_delay_alu instid0(VALU_DEP_2) | instskip(NEXT) | instid1(VALU_DEP_1)
	v_lshlrev_b64 v[2:3], v2, v[8:9]
	v_and_b32_e32 v32, 7, v2
; %bb.128:                              ;   in Loop: Header=BB373_11 Depth=1
	s_or_b32 exec_lo, exec_lo, s19
	v_lshlrev_b32_e32 v0, 8, v0
	v_lshl_add_u32 v1, v1, 10, 0x2000
	s_delay_alu instid0(VALU_DEP_1) | instskip(NEXT) | instid1(VALU_DEP_1)
	v_and_or_b32 v0, 0x8000, v0, v1
	v_lshl_or_b32 v0, v32, 7, v0
	s_delay_alu instid0(VALU_DEP_1)
	v_cvt_f32_f16_e32 v0, v0
	scratch_store_b32 off, v0, s32 offset:356 ; 4-byte Folded Spill
.LBB373_129:                            ;   in Loop: Header=BB373_11 Depth=1
	s_or_b32 exec_lo, exec_lo, s18
.LBB373_130:                            ;   in Loop: Header=BB373_11 Depth=1
	s_delay_alu instid0(SALU_CYCLE_1)
	s_or_b32 exec_lo, exec_lo, s17
.LBB373_131:                            ;   in Loop: Header=BB373_11 Depth=1
	s_delay_alu instid0(SALU_CYCLE_1)
	s_or_b32 exec_lo, exec_lo, s15
	v_mov_b32_e32 v0, 0
	s_mov_b32 s15, exec_lo
	scratch_store_b32 off, v0, s32 offset:364 ; 4-byte Folded Spill
	v_mov_b32_e32 v0, 0
	scratch_store_b32 off, v0, s32 offset:624 ; 4-byte Folded Spill
	v_cmpx_lt_u64_e64 s[2:3], v[30:31]
	s_cbranch_execz .LBB373_139
; %bb.132:                              ;   in Loop: Header=BB373_11 Depth=1
	v_lshrrev_b32_e32 v0, 24, v31
	v_bfrev_b32_e32 v1, 1
	s_mov_b32 s17, exec_lo
	s_delay_alu instid0(VALU_DEP_2)
	v_cmpx_ne_u32_e32 0x80, v0
	s_cbranch_execz .LBB373_138
; %bb.133:                              ;   in Loop: Header=BB373_11 Depth=1
	v_and_b32_e32 v2, 0x7f, v0
	v_mov_b32_e32 v1, 0x7fc02000
	s_mov_b32 s18, exec_lo
	s_delay_alu instid0(VALU_DEP_2)
	v_cmpx_ne_u32_e32 0x7f, v2
	s_cbranch_execz .LBB373_137
; %bb.134:                              ;   in Loop: Header=BB373_11 Depth=1
	v_and_b32_e32 v8, 7, v0
	v_lshrrev_b32_e32 v1, 3, v2
	v_mov_b32_e32 v31, v9
	s_mov_b32 s19, exec_lo
	s_delay_alu instid0(VALU_DEP_3)
	v_mov_b32_e32 v30, v8
	v_cmpx_gt_u32_e32 8, v2
; %bb.135:                              ;   in Loop: Header=BB373_11 Depth=1
	v_clz_i32_u32_e32 v1, v8
	s_delay_alu instid0(VALU_DEP_1) | instskip(NEXT) | instid1(VALU_DEP_1)
	v_min_u32_e32 v1, 32, v1
	v_subrev_nc_u32_e32 v2, 28, v1
	v_sub_nc_u32_e32 v1, 29, v1
	s_delay_alu instid0(VALU_DEP_2) | instskip(NEXT) | instid1(VALU_DEP_1)
	v_lshlrev_b64 v[2:3], v2, v[8:9]
	v_and_b32_e32 v30, 7, v2
; %bb.136:                              ;   in Loop: Header=BB373_11 Depth=1
	s_or_b32 exec_lo, exec_lo, s19
	v_lshlrev_b32_e32 v0, 8, v0
	v_lshl_add_u32 v1, v1, 10, 0x2000
	s_delay_alu instid0(VALU_DEP_1) | instskip(NEXT) | instid1(VALU_DEP_1)
	v_and_or_b32 v0, 0x8000, v0, v1
	v_lshl_or_b32 v0, v30, 7, v0
	s_delay_alu instid0(VALU_DEP_1)
	v_cvt_f32_f16_e32 v1, v0
.LBB373_137:                            ;   in Loop: Header=BB373_11 Depth=1
	s_or_b32 exec_lo, exec_lo, s18
.LBB373_138:                            ;   in Loop: Header=BB373_11 Depth=1
	s_delay_alu instid0(SALU_CYCLE_1)
	s_or_b32 exec_lo, exec_lo, s17
	scratch_store_b32 off, v1, s32 offset:624 ; 4-byte Folded Spill
.LBB373_139:                            ;   in Loop: Header=BB373_11 Depth=1
	s_or_b32 exec_lo, exec_lo, s15
	flat_load_b64 v[30:31], v[28:29] offset:512
	s_mov_b32 s15, exec_lo
	s_waitcnt vmcnt(0) lgkmcnt(0)
	v_and_b32_e32 v0, 0xff, v30
	s_delay_alu instid0(VALU_DEP_1)
	v_cmpx_ne_u16_e32 0, v0
	s_cbranch_execz .LBB373_147
; %bb.140:                              ;   in Loop: Header=BB373_11 Depth=1
	v_cmp_ne_u16_e64 s1, 0x80, v0
	v_bfrev_b32_e32 v0, 1
	scratch_store_b32 off, v0, s32 offset:364 ; 4-byte Folded Spill
	s_and_saveexec_b32 s17, s1
	s_cbranch_execz .LBB373_146
; %bb.141:                              ;   in Loop: Header=BB373_11 Depth=1
	v_and_b32_e32 v1, 0x7f, v30
	v_mov_b32_e32 v0, 0x7fc02000
	s_mov_b32 s18, exec_lo
	scratch_store_b32 off, v0, s32 offset:364 ; 4-byte Folded Spill
	v_cmpx_ne_u32_e32 0x7f, v1
	s_cbranch_execz .LBB373_145
; %bb.142:                              ;   in Loop: Header=BB373_11 Depth=1
	v_lshrrev_b32_e32 v0, 3, v1
	v_dual_mov_b32 v33, v31 :: v_dual_mov_b32 v32, v30
	s_mov_b32 s19, exec_lo
	v_cmpx_gt_u32_e32 8, v1
; %bb.143:                              ;   in Loop: Header=BB373_11 Depth=1
	v_and_b32_e32 v0, 7, v30
	s_delay_alu instid0(VALU_DEP_1) | instskip(NEXT) | instid1(VALU_DEP_1)
	v_clz_i32_u32_e32 v0, v0
	v_min_u32_e32 v0, 32, v0
	s_delay_alu instid0(VALU_DEP_1) | instskip(SKIP_1) | instid1(VALU_DEP_2)
	v_subrev_nc_u32_e32 v1, 28, v0
	v_sub_nc_u32_e32 v0, 29, v0
	v_lshlrev_b64 v[32:33], v1, v[30:31]
; %bb.144:                              ;   in Loop: Header=BB373_11 Depth=1
	s_or_b32 exec_lo, exec_lo, s19
	v_lshlrev_b32_e32 v1, 8, v30
	s_delay_alu instid0(VALU_DEP_3) | instskip(NEXT) | instid1(VALU_DEP_3)
	v_lshl_add_u32 v0, v0, 10, 0x2000
	v_lshlrev_b32_e32 v2, 7, v32
	s_delay_alu instid0(VALU_DEP_2) | instskip(NEXT) | instid1(VALU_DEP_1)
	v_and_or_b32 v0, 0x8000, v1, v0
	v_and_or_b32 v0, 0x380, v2, v0
	s_delay_alu instid0(VALU_DEP_1)
	v_cvt_f32_f16_e32 v0, v0
	scratch_store_b32 off, v0, s32 offset:364 ; 4-byte Folded Spill
.LBB373_145:                            ;   in Loop: Header=BB373_11 Depth=1
	s_or_b32 exec_lo, exec_lo, s18
.LBB373_146:                            ;   in Loop: Header=BB373_11 Depth=1
	s_delay_alu instid0(SALU_CYCLE_1)
	s_or_b32 exec_lo, exec_lo, s17
.LBB373_147:                            ;   in Loop: Header=BB373_11 Depth=1
	s_delay_alu instid0(SALU_CYCLE_1)
	s_or_b32 exec_lo, exec_lo, s15
	v_mov_b32_e32 v1, 0
	v_lshrrev_b16 v0, 8, v30
	s_mov_b32 s15, exec_lo
	scratch_store_b32 off, v1, s32 offset:368 ; 4-byte Folded Spill
	v_mov_b32_e32 v1, 0
	scratch_store_b32 off, v1, s32 offset:372 ; 4-byte Folded Spill
	v_cmpx_ne_u16_e32 0, v0
	s_cbranch_execz .LBB373_155
; %bb.148:                              ;   in Loop: Header=BB373_11 Depth=1
	v_bfrev_b32_e32 v1, 1
	s_mov_b32 s17, exec_lo
	scratch_store_b32 off, v1, s32 offset:372 ; 4-byte Folded Spill
	v_cmpx_ne_u16_e32 0x80, v0
	s_cbranch_execz .LBB373_154
; %bb.149:                              ;   in Loop: Header=BB373_11 Depth=1
	v_and_b32_e32 v0, 0xffff, v0
	v_mov_b32_e32 v1, 0x7fc02000
	s_mov_b32 s18, exec_lo
	s_delay_alu instid0(VALU_DEP_2)
	v_and_b32_e32 v2, 0x7f, v0
	scratch_store_b32 off, v1, s32 offset:372 ; 4-byte Folded Spill
	v_cmpx_ne_u32_e32 0x7f, v2
	s_cbranch_execz .LBB373_153
; %bb.150:                              ;   in Loop: Header=BB373_11 Depth=1
	v_and_b32_e32 v8, 7, v0
	v_lshrrev_b32_e32 v1, 3, v2
	v_mov_b32_e32 v33, v9
	s_mov_b32 s19, exec_lo
	s_delay_alu instid0(VALU_DEP_3)
	v_mov_b32_e32 v32, v8
	v_cmpx_gt_u32_e32 8, v2
; %bb.151:                              ;   in Loop: Header=BB373_11 Depth=1
	v_clz_i32_u32_e32 v1, v8
	s_delay_alu instid0(VALU_DEP_1) | instskip(NEXT) | instid1(VALU_DEP_1)
	v_min_u32_e32 v1, 32, v1
	v_subrev_nc_u32_e32 v2, 28, v1
	v_sub_nc_u32_e32 v1, 29, v1
	s_delay_alu instid0(VALU_DEP_2) | instskip(NEXT) | instid1(VALU_DEP_1)
	v_lshlrev_b64 v[2:3], v2, v[8:9]
	v_and_b32_e32 v32, 7, v2
; %bb.152:                              ;   in Loop: Header=BB373_11 Depth=1
	s_or_b32 exec_lo, exec_lo, s19
	v_lshlrev_b32_e32 v0, 8, v0
	v_lshl_add_u32 v1, v1, 10, 0x2000
	s_delay_alu instid0(VALU_DEP_1) | instskip(NEXT) | instid1(VALU_DEP_1)
	v_and_or_b32 v0, 0x8000, v0, v1
	v_lshl_or_b32 v0, v32, 7, v0
	s_delay_alu instid0(VALU_DEP_1)
	v_cvt_f32_f16_e32 v0, v0
	scratch_store_b32 off, v0, s32 offset:372 ; 4-byte Folded Spill
.LBB373_153:                            ;   in Loop: Header=BB373_11 Depth=1
	s_or_b32 exec_lo, exec_lo, s18
.LBB373_154:                            ;   in Loop: Header=BB373_11 Depth=1
	s_delay_alu instid0(SALU_CYCLE_1)
	s_or_b32 exec_lo, exec_lo, s17
.LBB373_155:                            ;   in Loop: Header=BB373_11 Depth=1
	s_delay_alu instid0(SALU_CYCLE_1) | instskip(SKIP_2) | instid1(VALU_DEP_1)
	s_or_b32 exec_lo, exec_lo, s15
	v_lshrrev_b32_e32 v0, 16, v30
	s_mov_b32 s15, exec_lo
	v_and_b32_e32 v1, 0xff, v0
	s_delay_alu instid0(VALU_DEP_1)
	v_cmpx_ne_u16_e32 0, v1
	s_cbranch_execz .LBB373_163
; %bb.156:                              ;   in Loop: Header=BB373_11 Depth=1
	v_cmp_ne_u16_e64 s1, 0x80, v1
	v_bfrev_b32_e32 v1, 1
	scratch_store_b32 off, v1, s32 offset:368 ; 4-byte Folded Spill
	s_and_saveexec_b32 s17, s1
	s_cbranch_execz .LBB373_162
; %bb.157:                              ;   in Loop: Header=BB373_11 Depth=1
	v_bfe_u32 v2, v30, 16, 7
	v_mov_b32_e32 v1, 0x7fc02000
	s_mov_b32 s18, exec_lo
	scratch_store_b32 off, v1, s32 offset:368 ; 4-byte Folded Spill
	v_cmpx_ne_u32_e32 0x7f, v2
	s_cbranch_execz .LBB373_161
; %bb.158:                              ;   in Loop: Header=BB373_11 Depth=1
	v_and_b32_e32 v8, 7, v0
	v_lshrrev_b32_e32 v1, 3, v2
	v_mov_b32_e32 v33, v9
	s_mov_b32 s19, exec_lo
	s_delay_alu instid0(VALU_DEP_3)
	v_mov_b32_e32 v32, v8
	v_cmpx_gt_u32_e32 8, v2
; %bb.159:                              ;   in Loop: Header=BB373_11 Depth=1
	v_clz_i32_u32_e32 v1, v8
	s_delay_alu instid0(VALU_DEP_1) | instskip(NEXT) | instid1(VALU_DEP_1)
	v_min_u32_e32 v1, 32, v1
	v_subrev_nc_u32_e32 v2, 28, v1
	v_sub_nc_u32_e32 v1, 29, v1
	s_delay_alu instid0(VALU_DEP_2) | instskip(NEXT) | instid1(VALU_DEP_1)
	v_lshlrev_b64 v[2:3], v2, v[8:9]
	v_and_b32_e32 v32, 7, v2
; %bb.160:                              ;   in Loop: Header=BB373_11 Depth=1
	s_or_b32 exec_lo, exec_lo, s19
	v_lshlrev_b32_e32 v0, 8, v0
	v_lshl_add_u32 v1, v1, 10, 0x2000
	s_delay_alu instid0(VALU_DEP_1) | instskip(NEXT) | instid1(VALU_DEP_1)
	v_and_or_b32 v0, 0x8000, v0, v1
	v_lshl_or_b32 v0, v32, 7, v0
	s_delay_alu instid0(VALU_DEP_1)
	v_cvt_f32_f16_e32 v0, v0
	scratch_store_b32 off, v0, s32 offset:368 ; 4-byte Folded Spill
.LBB373_161:                            ;   in Loop: Header=BB373_11 Depth=1
	s_or_b32 exec_lo, exec_lo, s18
.LBB373_162:                            ;   in Loop: Header=BB373_11 Depth=1
	s_delay_alu instid0(SALU_CYCLE_1)
	s_or_b32 exec_lo, exec_lo, s17
.LBB373_163:                            ;   in Loop: Header=BB373_11 Depth=1
	s_delay_alu instid0(SALU_CYCLE_1)
	s_or_b32 exec_lo, exec_lo, s15
	v_mov_b32_e32 v0, 0
	s_mov_b32 s15, exec_lo
	scratch_store_b32 off, v0, s32 offset:376 ; 4-byte Folded Spill
	v_mov_b32_e32 v0, 0
	scratch_store_b32 off, v0, s32 offset:380 ; 4-byte Folded Spill
	v_cmpx_lt_u32_e32 0xffffff, v30
	s_cbranch_execz .LBB373_171
; %bb.164:                              ;   in Loop: Header=BB373_11 Depth=1
	v_lshrrev_b32_e32 v0, 24, v30
	v_bfrev_b32_e32 v1, 1
	s_mov_b32 s17, exec_lo
	scratch_store_b32 off, v1, s32 offset:380 ; 4-byte Folded Spill
	v_cmpx_ne_u32_e32 0x80, v0
	s_cbranch_execz .LBB373_170
; %bb.165:                              ;   in Loop: Header=BB373_11 Depth=1
	v_and_b32_e32 v2, 0x7f, v0
	v_mov_b32_e32 v1, 0x7fc02000
	s_mov_b32 s18, exec_lo
	scratch_store_b32 off, v1, s32 offset:380 ; 4-byte Folded Spill
	v_cmpx_ne_u32_e32 0x7f, v2
	s_cbranch_execz .LBB373_169
; %bb.166:                              ;   in Loop: Header=BB373_11 Depth=1
	v_and_b32_e32 v8, 7, v0
	v_lshrrev_b32_e32 v1, 3, v2
	v_mov_b32_e32 v33, v9
	s_mov_b32 s19, exec_lo
	s_delay_alu instid0(VALU_DEP_3)
	v_mov_b32_e32 v32, v8
	v_cmpx_gt_u32_e32 8, v2
; %bb.167:                              ;   in Loop: Header=BB373_11 Depth=1
	v_clz_i32_u32_e32 v1, v8
	s_delay_alu instid0(VALU_DEP_1) | instskip(NEXT) | instid1(VALU_DEP_1)
	v_min_u32_e32 v1, 32, v1
	v_subrev_nc_u32_e32 v2, 28, v1
	v_sub_nc_u32_e32 v1, 29, v1
	s_delay_alu instid0(VALU_DEP_2) | instskip(NEXT) | instid1(VALU_DEP_1)
	v_lshlrev_b64 v[2:3], v2, v[8:9]
	v_and_b32_e32 v32, 7, v2
; %bb.168:                              ;   in Loop: Header=BB373_11 Depth=1
	s_or_b32 exec_lo, exec_lo, s19
	v_lshlrev_b32_e32 v0, 8, v0
	v_lshl_add_u32 v1, v1, 10, 0x2000
	s_delay_alu instid0(VALU_DEP_1) | instskip(NEXT) | instid1(VALU_DEP_1)
	v_and_or_b32 v0, 0x8000, v0, v1
	v_lshl_or_b32 v0, v32, 7, v0
	s_delay_alu instid0(VALU_DEP_1)
	v_cvt_f32_f16_e32 v0, v0
	scratch_store_b32 off, v0, s32 offset:380 ; 4-byte Folded Spill
.LBB373_169:                            ;   in Loop: Header=BB373_11 Depth=1
	s_or_b32 exec_lo, exec_lo, s18
.LBB373_170:                            ;   in Loop: Header=BB373_11 Depth=1
	s_delay_alu instid0(SALU_CYCLE_1)
	s_or_b32 exec_lo, exec_lo, s17
.LBB373_171:                            ;   in Loop: Header=BB373_11 Depth=1
	s_delay_alu instid0(SALU_CYCLE_1) | instskip(SKIP_3) | instid1(VALU_DEP_2)
	s_or_b32 exec_lo, exec_lo, s15
	v_and_b32_e32 v0, 0xff, v31
	v_mov_b32_e32 v8, v31
	s_mov_b32 s15, exec_lo
	v_cmpx_ne_u16_e32 0, v0
	s_cbranch_execz .LBB373_179
; %bb.172:                              ;   in Loop: Header=BB373_11 Depth=1
	v_cmp_ne_u16_e64 s1, 0x80, v0
	v_bfrev_b32_e32 v0, 1
	scratch_store_b32 off, v0, s32 offset:376 ; 4-byte Folded Spill
	s_and_saveexec_b32 s17, s1
	s_cbranch_execz .LBB373_178
; %bb.173:                              ;   in Loop: Header=BB373_11 Depth=1
	v_and_b32_e32 v1, 0x7f, v31
	v_mov_b32_e32 v0, 0x7fc02000
	s_mov_b32 s18, exec_lo
	scratch_store_b32 off, v0, s32 offset:376 ; 4-byte Folded Spill
	v_cmpx_ne_u32_e32 0x7f, v1
	s_cbranch_execz .LBB373_177
; %bb.174:                              ;   in Loop: Header=BB373_11 Depth=1
	v_lshrrev_b32_e32 v0, 3, v1
	v_dual_mov_b32 v33, v9 :: v_dual_mov_b32 v32, v8
	s_mov_b32 s19, exec_lo
	v_cmpx_gt_u32_e32 8, v1
; %bb.175:                              ;   in Loop: Header=BB373_11 Depth=1
	v_and_b32_e32 v0, 7, v31
	s_delay_alu instid0(VALU_DEP_1) | instskip(NEXT) | instid1(VALU_DEP_1)
	v_clz_i32_u32_e32 v0, v0
	v_min_u32_e32 v0, 32, v0
	s_delay_alu instid0(VALU_DEP_1) | instskip(SKIP_1) | instid1(VALU_DEP_2)
	v_subrev_nc_u32_e32 v1, 28, v0
	v_sub_nc_u32_e32 v0, 29, v0
	v_lshlrev_b64 v[32:33], v1, v[8:9]
; %bb.176:                              ;   in Loop: Header=BB373_11 Depth=1
	s_or_b32 exec_lo, exec_lo, s19
	v_lshlrev_b32_e32 v1, 8, v31
	s_delay_alu instid0(VALU_DEP_3) | instskip(NEXT) | instid1(VALU_DEP_3)
	v_lshl_add_u32 v0, v0, 10, 0x2000
	v_lshlrev_b32_e32 v2, 7, v32
	s_delay_alu instid0(VALU_DEP_2) | instskip(NEXT) | instid1(VALU_DEP_1)
	v_and_or_b32 v0, 0x8000, v1, v0
	v_and_or_b32 v0, 0x380, v2, v0
	s_delay_alu instid0(VALU_DEP_1)
	v_cvt_f32_f16_e32 v0, v0
	scratch_store_b32 off, v0, s32 offset:376 ; 4-byte Folded Spill
.LBB373_177:                            ;   in Loop: Header=BB373_11 Depth=1
	s_or_b32 exec_lo, exec_lo, s18
.LBB373_178:                            ;   in Loop: Header=BB373_11 Depth=1
	s_delay_alu instid0(SALU_CYCLE_1)
	s_or_b32 exec_lo, exec_lo, s17
.LBB373_179:                            ;   in Loop: Header=BB373_11 Depth=1
	s_delay_alu instid0(SALU_CYCLE_1)
	s_or_b32 exec_lo, exec_lo, s15
	v_mov_b32_e32 v1, 0
	v_lshrrev_b16 v0, 8, v8
	s_mov_b32 s15, exec_lo
	scratch_store_b32 off, v1, s32 offset:384 ; 4-byte Folded Spill
	v_mov_b32_e32 v1, 0
	scratch_store_b32 off, v1, s32 offset:388 ; 4-byte Folded Spill
	v_cmpx_ne_u16_e32 0, v0
	s_cbranch_execz .LBB373_187
; %bb.180:                              ;   in Loop: Header=BB373_11 Depth=1
	v_bfrev_b32_e32 v1, 1
	s_mov_b32 s17, exec_lo
	scratch_store_b32 off, v1, s32 offset:388 ; 4-byte Folded Spill
	v_cmpx_ne_u16_e32 0x80, v0
	s_cbranch_execz .LBB373_186
; %bb.181:                              ;   in Loop: Header=BB373_11 Depth=1
	v_and_b32_e32 v0, 0xffff, v0
	v_mov_b32_e32 v1, 0x7fc02000
	s_mov_b32 s18, exec_lo
	s_delay_alu instid0(VALU_DEP_2)
	v_and_b32_e32 v2, 0x7f, v0
	scratch_store_b32 off, v1, s32 offset:388 ; 4-byte Folded Spill
	v_cmpx_ne_u32_e32 0x7f, v2
	s_cbranch_execz .LBB373_185
; %bb.182:                              ;   in Loop: Header=BB373_11 Depth=1
	v_and_b32_e32 v8, 7, v0
	v_lshrrev_b32_e32 v1, 3, v2
	v_mov_b32_e32 v33, v9
	s_mov_b32 s19, exec_lo
	s_delay_alu instid0(VALU_DEP_3)
	v_mov_b32_e32 v32, v8
	v_cmpx_gt_u32_e32 8, v2
; %bb.183:                              ;   in Loop: Header=BB373_11 Depth=1
	v_clz_i32_u32_e32 v1, v8
	s_delay_alu instid0(VALU_DEP_1) | instskip(NEXT) | instid1(VALU_DEP_1)
	v_min_u32_e32 v1, 32, v1
	v_subrev_nc_u32_e32 v2, 28, v1
	v_sub_nc_u32_e32 v1, 29, v1
	s_delay_alu instid0(VALU_DEP_2) | instskip(NEXT) | instid1(VALU_DEP_1)
	v_lshlrev_b64 v[2:3], v2, v[8:9]
	v_and_b32_e32 v32, 7, v2
; %bb.184:                              ;   in Loop: Header=BB373_11 Depth=1
	s_or_b32 exec_lo, exec_lo, s19
	v_lshlrev_b32_e32 v0, 8, v0
	v_lshl_add_u32 v1, v1, 10, 0x2000
	s_delay_alu instid0(VALU_DEP_1) | instskip(NEXT) | instid1(VALU_DEP_1)
	v_and_or_b32 v0, 0x8000, v0, v1
	v_lshl_or_b32 v0, v32, 7, v0
	s_delay_alu instid0(VALU_DEP_1)
	v_cvt_f32_f16_e32 v0, v0
	scratch_store_b32 off, v0, s32 offset:388 ; 4-byte Folded Spill
.LBB373_185:                            ;   in Loop: Header=BB373_11 Depth=1
	s_or_b32 exec_lo, exec_lo, s18
.LBB373_186:                            ;   in Loop: Header=BB373_11 Depth=1
	s_delay_alu instid0(SALU_CYCLE_1)
	s_or_b32 exec_lo, exec_lo, s17
.LBB373_187:                            ;   in Loop: Header=BB373_11 Depth=1
	s_delay_alu instid0(SALU_CYCLE_1) | instskip(SKIP_2) | instid1(VALU_DEP_1)
	s_or_b32 exec_lo, exec_lo, s15
	v_lshrrev_b32_e32 v0, 16, v31
	s_mov_b32 s15, exec_lo
	v_and_b32_e32 v1, 0xff, v0
	s_delay_alu instid0(VALU_DEP_1)
	v_cmpx_ne_u16_e32 0, v1
	s_cbranch_execz .LBB373_195
; %bb.188:                              ;   in Loop: Header=BB373_11 Depth=1
	v_cmp_ne_u16_e64 s1, 0x80, v1
	v_bfrev_b32_e32 v1, 1
	scratch_store_b32 off, v1, s32 offset:384 ; 4-byte Folded Spill
	s_and_saveexec_b32 s17, s1
	s_cbranch_execz .LBB373_194
; %bb.189:                              ;   in Loop: Header=BB373_11 Depth=1
	v_bfe_u32 v2, v31, 16, 7
	v_mov_b32_e32 v1, 0x7fc02000
	s_mov_b32 s18, exec_lo
	scratch_store_b32 off, v1, s32 offset:384 ; 4-byte Folded Spill
	v_cmpx_ne_u32_e32 0x7f, v2
	s_cbranch_execz .LBB373_193
; %bb.190:                              ;   in Loop: Header=BB373_11 Depth=1
	v_and_b32_e32 v8, 7, v0
	v_lshrrev_b32_e32 v1, 3, v2
	v_mov_b32_e32 v33, v9
	s_mov_b32 s19, exec_lo
	s_delay_alu instid0(VALU_DEP_3)
	v_mov_b32_e32 v32, v8
	v_cmpx_gt_u32_e32 8, v2
; %bb.191:                              ;   in Loop: Header=BB373_11 Depth=1
	v_clz_i32_u32_e32 v1, v8
	s_delay_alu instid0(VALU_DEP_1) | instskip(NEXT) | instid1(VALU_DEP_1)
	v_min_u32_e32 v1, 32, v1
	v_subrev_nc_u32_e32 v2, 28, v1
	v_sub_nc_u32_e32 v1, 29, v1
	s_delay_alu instid0(VALU_DEP_2) | instskip(NEXT) | instid1(VALU_DEP_1)
	v_lshlrev_b64 v[2:3], v2, v[8:9]
	v_and_b32_e32 v32, 7, v2
; %bb.192:                              ;   in Loop: Header=BB373_11 Depth=1
	s_or_b32 exec_lo, exec_lo, s19
	v_lshlrev_b32_e32 v0, 8, v0
	v_lshl_add_u32 v1, v1, 10, 0x2000
	s_delay_alu instid0(VALU_DEP_1) | instskip(NEXT) | instid1(VALU_DEP_1)
	v_and_or_b32 v0, 0x8000, v0, v1
	v_lshl_or_b32 v0, v32, 7, v0
	s_delay_alu instid0(VALU_DEP_1)
	v_cvt_f32_f16_e32 v0, v0
	scratch_store_b32 off, v0, s32 offset:384 ; 4-byte Folded Spill
.LBB373_193:                            ;   in Loop: Header=BB373_11 Depth=1
	s_or_b32 exec_lo, exec_lo, s18
.LBB373_194:                            ;   in Loop: Header=BB373_11 Depth=1
	s_delay_alu instid0(SALU_CYCLE_1)
	s_or_b32 exec_lo, exec_lo, s17
.LBB373_195:                            ;   in Loop: Header=BB373_11 Depth=1
	s_delay_alu instid0(SALU_CYCLE_1)
	s_or_b32 exec_lo, exec_lo, s15
	v_mov_b32_e32 v0, 0
	s_mov_b32 s15, exec_lo
	scratch_store_b32 off, v0, s32 offset:392 ; 4-byte Folded Spill
	v_mov_b32_e32 v0, 0
	scratch_store_b32 off, v0, s32 offset:628 ; 4-byte Folded Spill
	v_cmpx_lt_u64_e64 s[2:3], v[30:31]
	s_cbranch_execz .LBB373_203
; %bb.196:                              ;   in Loop: Header=BB373_11 Depth=1
	v_lshrrev_b32_e32 v0, 24, v31
	v_bfrev_b32_e32 v1, 1
	s_mov_b32 s17, exec_lo
	s_delay_alu instid0(VALU_DEP_2)
	v_cmpx_ne_u32_e32 0x80, v0
	s_cbranch_execz .LBB373_202
; %bb.197:                              ;   in Loop: Header=BB373_11 Depth=1
	v_and_b32_e32 v2, 0x7f, v0
	v_mov_b32_e32 v1, 0x7fc02000
	s_mov_b32 s18, exec_lo
	s_delay_alu instid0(VALU_DEP_2)
	v_cmpx_ne_u32_e32 0x7f, v2
	s_cbranch_execz .LBB373_201
; %bb.198:                              ;   in Loop: Header=BB373_11 Depth=1
	v_and_b32_e32 v8, 7, v0
	v_lshrrev_b32_e32 v1, 3, v2
	v_mov_b32_e32 v31, v9
	s_mov_b32 s19, exec_lo
	s_delay_alu instid0(VALU_DEP_3)
	v_mov_b32_e32 v30, v8
	v_cmpx_gt_u32_e32 8, v2
; %bb.199:                              ;   in Loop: Header=BB373_11 Depth=1
	v_clz_i32_u32_e32 v1, v8
	s_delay_alu instid0(VALU_DEP_1) | instskip(NEXT) | instid1(VALU_DEP_1)
	v_min_u32_e32 v1, 32, v1
	v_subrev_nc_u32_e32 v2, 28, v1
	v_sub_nc_u32_e32 v1, 29, v1
	s_delay_alu instid0(VALU_DEP_2) | instskip(NEXT) | instid1(VALU_DEP_1)
	v_lshlrev_b64 v[2:3], v2, v[8:9]
	v_and_b32_e32 v30, 7, v2
; %bb.200:                              ;   in Loop: Header=BB373_11 Depth=1
	s_or_b32 exec_lo, exec_lo, s19
	v_lshlrev_b32_e32 v0, 8, v0
	v_lshl_add_u32 v1, v1, 10, 0x2000
	s_delay_alu instid0(VALU_DEP_1) | instskip(NEXT) | instid1(VALU_DEP_1)
	v_and_or_b32 v0, 0x8000, v0, v1
	v_lshl_or_b32 v0, v30, 7, v0
	s_delay_alu instid0(VALU_DEP_1)
	v_cvt_f32_f16_e32 v1, v0
.LBB373_201:                            ;   in Loop: Header=BB373_11 Depth=1
	s_or_b32 exec_lo, exec_lo, s18
.LBB373_202:                            ;   in Loop: Header=BB373_11 Depth=1
	s_delay_alu instid0(SALU_CYCLE_1)
	s_or_b32 exec_lo, exec_lo, s17
	scratch_store_b32 off, v1, s32 offset:628 ; 4-byte Folded Spill
.LBB373_203:                            ;   in Loop: Header=BB373_11 Depth=1
	s_or_b32 exec_lo, exec_lo, s15
	flat_load_b64 v[30:31], v[28:29] offset:520
	s_mov_b32 s15, exec_lo
	s_waitcnt vmcnt(0) lgkmcnt(0)
	v_and_b32_e32 v0, 0xff, v30
	s_delay_alu instid0(VALU_DEP_1)
	v_cmpx_ne_u16_e32 0, v0
	s_cbranch_execz .LBB373_211
; %bb.204:                              ;   in Loop: Header=BB373_11 Depth=1
	v_cmp_ne_u16_e64 s1, 0x80, v0
	v_bfrev_b32_e32 v0, 1
	scratch_store_b32 off, v0, s32 offset:392 ; 4-byte Folded Spill
	s_and_saveexec_b32 s17, s1
	s_cbranch_execz .LBB373_210
; %bb.205:                              ;   in Loop: Header=BB373_11 Depth=1
	v_and_b32_e32 v1, 0x7f, v30
	v_mov_b32_e32 v0, 0x7fc02000
	s_mov_b32 s18, exec_lo
	scratch_store_b32 off, v0, s32 offset:392 ; 4-byte Folded Spill
	v_cmpx_ne_u32_e32 0x7f, v1
	s_cbranch_execz .LBB373_209
; %bb.206:                              ;   in Loop: Header=BB373_11 Depth=1
	v_lshrrev_b32_e32 v0, 3, v1
	v_dual_mov_b32 v33, v31 :: v_dual_mov_b32 v32, v30
	s_mov_b32 s19, exec_lo
	v_cmpx_gt_u32_e32 8, v1
; %bb.207:                              ;   in Loop: Header=BB373_11 Depth=1
	v_and_b32_e32 v0, 7, v30
	s_delay_alu instid0(VALU_DEP_1) | instskip(NEXT) | instid1(VALU_DEP_1)
	v_clz_i32_u32_e32 v0, v0
	v_min_u32_e32 v0, 32, v0
	s_delay_alu instid0(VALU_DEP_1) | instskip(SKIP_1) | instid1(VALU_DEP_2)
	v_subrev_nc_u32_e32 v1, 28, v0
	v_sub_nc_u32_e32 v0, 29, v0
	v_lshlrev_b64 v[32:33], v1, v[30:31]
; %bb.208:                              ;   in Loop: Header=BB373_11 Depth=1
	s_or_b32 exec_lo, exec_lo, s19
	v_lshlrev_b32_e32 v1, 8, v30
	s_delay_alu instid0(VALU_DEP_3) | instskip(NEXT) | instid1(VALU_DEP_3)
	v_lshl_add_u32 v0, v0, 10, 0x2000
	v_lshlrev_b32_e32 v2, 7, v32
	s_delay_alu instid0(VALU_DEP_2) | instskip(NEXT) | instid1(VALU_DEP_1)
	v_and_or_b32 v0, 0x8000, v1, v0
	v_and_or_b32 v0, 0x380, v2, v0
	s_delay_alu instid0(VALU_DEP_1)
	v_cvt_f32_f16_e32 v0, v0
	scratch_store_b32 off, v0, s32 offset:392 ; 4-byte Folded Spill
.LBB373_209:                            ;   in Loop: Header=BB373_11 Depth=1
	s_or_b32 exec_lo, exec_lo, s18
.LBB373_210:                            ;   in Loop: Header=BB373_11 Depth=1
	s_delay_alu instid0(SALU_CYCLE_1)
	s_or_b32 exec_lo, exec_lo, s17
.LBB373_211:                            ;   in Loop: Header=BB373_11 Depth=1
	s_delay_alu instid0(SALU_CYCLE_1)
	s_or_b32 exec_lo, exec_lo, s15
	v_mov_b32_e32 v1, 0
	v_lshrrev_b16 v0, 8, v30
	s_mov_b32 s15, exec_lo
	scratch_store_b32 off, v1, s32 offset:396 ; 4-byte Folded Spill
	v_mov_b32_e32 v1, 0
	scratch_store_b32 off, v1, s32 offset:400 ; 4-byte Folded Spill
	v_cmpx_ne_u16_e32 0, v0
	s_cbranch_execz .LBB373_219
; %bb.212:                              ;   in Loop: Header=BB373_11 Depth=1
	v_bfrev_b32_e32 v1, 1
	s_mov_b32 s17, exec_lo
	scratch_store_b32 off, v1, s32 offset:400 ; 4-byte Folded Spill
	v_cmpx_ne_u16_e32 0x80, v0
	s_cbranch_execz .LBB373_218
; %bb.213:                              ;   in Loop: Header=BB373_11 Depth=1
	v_and_b32_e32 v0, 0xffff, v0
	v_mov_b32_e32 v1, 0x7fc02000
	s_mov_b32 s18, exec_lo
	s_delay_alu instid0(VALU_DEP_2)
	v_and_b32_e32 v2, 0x7f, v0
	scratch_store_b32 off, v1, s32 offset:400 ; 4-byte Folded Spill
	v_cmpx_ne_u32_e32 0x7f, v2
	s_cbranch_execz .LBB373_217
; %bb.214:                              ;   in Loop: Header=BB373_11 Depth=1
	v_and_b32_e32 v8, 7, v0
	v_lshrrev_b32_e32 v1, 3, v2
	v_mov_b32_e32 v33, v9
	s_mov_b32 s19, exec_lo
	s_delay_alu instid0(VALU_DEP_3)
	v_mov_b32_e32 v32, v8
	v_cmpx_gt_u32_e32 8, v2
; %bb.215:                              ;   in Loop: Header=BB373_11 Depth=1
	v_clz_i32_u32_e32 v1, v8
	s_delay_alu instid0(VALU_DEP_1) | instskip(NEXT) | instid1(VALU_DEP_1)
	v_min_u32_e32 v1, 32, v1
	v_subrev_nc_u32_e32 v2, 28, v1
	v_sub_nc_u32_e32 v1, 29, v1
	s_delay_alu instid0(VALU_DEP_2) | instskip(NEXT) | instid1(VALU_DEP_1)
	v_lshlrev_b64 v[2:3], v2, v[8:9]
	v_and_b32_e32 v32, 7, v2
; %bb.216:                              ;   in Loop: Header=BB373_11 Depth=1
	s_or_b32 exec_lo, exec_lo, s19
	v_lshlrev_b32_e32 v0, 8, v0
	v_lshl_add_u32 v1, v1, 10, 0x2000
	s_delay_alu instid0(VALU_DEP_1) | instskip(NEXT) | instid1(VALU_DEP_1)
	v_and_or_b32 v0, 0x8000, v0, v1
	v_lshl_or_b32 v0, v32, 7, v0
	s_delay_alu instid0(VALU_DEP_1)
	v_cvt_f32_f16_e32 v0, v0
	scratch_store_b32 off, v0, s32 offset:400 ; 4-byte Folded Spill
.LBB373_217:                            ;   in Loop: Header=BB373_11 Depth=1
	s_or_b32 exec_lo, exec_lo, s18
.LBB373_218:                            ;   in Loop: Header=BB373_11 Depth=1
	s_delay_alu instid0(SALU_CYCLE_1)
	s_or_b32 exec_lo, exec_lo, s17
.LBB373_219:                            ;   in Loop: Header=BB373_11 Depth=1
	s_delay_alu instid0(SALU_CYCLE_1) | instskip(SKIP_2) | instid1(VALU_DEP_1)
	s_or_b32 exec_lo, exec_lo, s15
	v_lshrrev_b32_e32 v0, 16, v30
	s_mov_b32 s15, exec_lo
	v_and_b32_e32 v1, 0xff, v0
	s_delay_alu instid0(VALU_DEP_1)
	v_cmpx_ne_u16_e32 0, v1
	s_cbranch_execz .LBB373_227
; %bb.220:                              ;   in Loop: Header=BB373_11 Depth=1
	v_cmp_ne_u16_e64 s1, 0x80, v1
	v_bfrev_b32_e32 v1, 1
	scratch_store_b32 off, v1, s32 offset:396 ; 4-byte Folded Spill
	s_and_saveexec_b32 s17, s1
	s_cbranch_execz .LBB373_226
; %bb.221:                              ;   in Loop: Header=BB373_11 Depth=1
	v_bfe_u32 v2, v30, 16, 7
	v_mov_b32_e32 v1, 0x7fc02000
	s_mov_b32 s18, exec_lo
	scratch_store_b32 off, v1, s32 offset:396 ; 4-byte Folded Spill
	v_cmpx_ne_u32_e32 0x7f, v2
	s_cbranch_execz .LBB373_225
; %bb.222:                              ;   in Loop: Header=BB373_11 Depth=1
	v_and_b32_e32 v8, 7, v0
	v_lshrrev_b32_e32 v1, 3, v2
	v_mov_b32_e32 v33, v9
	s_mov_b32 s19, exec_lo
	s_delay_alu instid0(VALU_DEP_3)
	v_mov_b32_e32 v32, v8
	v_cmpx_gt_u32_e32 8, v2
; %bb.223:                              ;   in Loop: Header=BB373_11 Depth=1
	v_clz_i32_u32_e32 v1, v8
	s_delay_alu instid0(VALU_DEP_1) | instskip(NEXT) | instid1(VALU_DEP_1)
	v_min_u32_e32 v1, 32, v1
	v_subrev_nc_u32_e32 v2, 28, v1
	v_sub_nc_u32_e32 v1, 29, v1
	s_delay_alu instid0(VALU_DEP_2) | instskip(NEXT) | instid1(VALU_DEP_1)
	v_lshlrev_b64 v[2:3], v2, v[8:9]
	v_and_b32_e32 v32, 7, v2
; %bb.224:                              ;   in Loop: Header=BB373_11 Depth=1
	s_or_b32 exec_lo, exec_lo, s19
	v_lshlrev_b32_e32 v0, 8, v0
	v_lshl_add_u32 v1, v1, 10, 0x2000
	s_delay_alu instid0(VALU_DEP_1) | instskip(NEXT) | instid1(VALU_DEP_1)
	v_and_or_b32 v0, 0x8000, v0, v1
	v_lshl_or_b32 v0, v32, 7, v0
	s_delay_alu instid0(VALU_DEP_1)
	v_cvt_f32_f16_e32 v0, v0
	scratch_store_b32 off, v0, s32 offset:396 ; 4-byte Folded Spill
.LBB373_225:                            ;   in Loop: Header=BB373_11 Depth=1
	s_or_b32 exec_lo, exec_lo, s18
.LBB373_226:                            ;   in Loop: Header=BB373_11 Depth=1
	s_delay_alu instid0(SALU_CYCLE_1)
	s_or_b32 exec_lo, exec_lo, s17
.LBB373_227:                            ;   in Loop: Header=BB373_11 Depth=1
	s_delay_alu instid0(SALU_CYCLE_1)
	s_or_b32 exec_lo, exec_lo, s15
	v_mov_b32_e32 v0, 0
	s_mov_b32 s15, exec_lo
	scratch_store_b32 off, v0, s32 offset:404 ; 4-byte Folded Spill
	v_mov_b32_e32 v0, 0
	scratch_store_b32 off, v0, s32 offset:408 ; 4-byte Folded Spill
	v_cmpx_lt_u32_e32 0xffffff, v30
	s_cbranch_execz .LBB373_235
; %bb.228:                              ;   in Loop: Header=BB373_11 Depth=1
	v_lshrrev_b32_e32 v0, 24, v30
	v_bfrev_b32_e32 v1, 1
	s_mov_b32 s17, exec_lo
	scratch_store_b32 off, v1, s32 offset:408 ; 4-byte Folded Spill
	v_cmpx_ne_u32_e32 0x80, v0
	s_cbranch_execz .LBB373_234
; %bb.229:                              ;   in Loop: Header=BB373_11 Depth=1
	v_and_b32_e32 v2, 0x7f, v0
	v_mov_b32_e32 v1, 0x7fc02000
	s_mov_b32 s18, exec_lo
	scratch_store_b32 off, v1, s32 offset:408 ; 4-byte Folded Spill
	v_cmpx_ne_u32_e32 0x7f, v2
	s_cbranch_execz .LBB373_233
; %bb.230:                              ;   in Loop: Header=BB373_11 Depth=1
	v_and_b32_e32 v8, 7, v0
	v_lshrrev_b32_e32 v1, 3, v2
	v_mov_b32_e32 v33, v9
	s_mov_b32 s19, exec_lo
	s_delay_alu instid0(VALU_DEP_3)
	v_mov_b32_e32 v32, v8
	v_cmpx_gt_u32_e32 8, v2
; %bb.231:                              ;   in Loop: Header=BB373_11 Depth=1
	v_clz_i32_u32_e32 v1, v8
	s_delay_alu instid0(VALU_DEP_1) | instskip(NEXT) | instid1(VALU_DEP_1)
	v_min_u32_e32 v1, 32, v1
	v_subrev_nc_u32_e32 v2, 28, v1
	v_sub_nc_u32_e32 v1, 29, v1
	s_delay_alu instid0(VALU_DEP_2) | instskip(NEXT) | instid1(VALU_DEP_1)
	v_lshlrev_b64 v[2:3], v2, v[8:9]
	v_and_b32_e32 v32, 7, v2
; %bb.232:                              ;   in Loop: Header=BB373_11 Depth=1
	s_or_b32 exec_lo, exec_lo, s19
	v_lshlrev_b32_e32 v0, 8, v0
	v_lshl_add_u32 v1, v1, 10, 0x2000
	s_delay_alu instid0(VALU_DEP_1) | instskip(NEXT) | instid1(VALU_DEP_1)
	v_and_or_b32 v0, 0x8000, v0, v1
	v_lshl_or_b32 v0, v32, 7, v0
	s_delay_alu instid0(VALU_DEP_1)
	v_cvt_f32_f16_e32 v0, v0
	scratch_store_b32 off, v0, s32 offset:408 ; 4-byte Folded Spill
.LBB373_233:                            ;   in Loop: Header=BB373_11 Depth=1
	s_or_b32 exec_lo, exec_lo, s18
.LBB373_234:                            ;   in Loop: Header=BB373_11 Depth=1
	s_delay_alu instid0(SALU_CYCLE_1)
	s_or_b32 exec_lo, exec_lo, s17
.LBB373_235:                            ;   in Loop: Header=BB373_11 Depth=1
	s_delay_alu instid0(SALU_CYCLE_1) | instskip(SKIP_3) | instid1(VALU_DEP_2)
	s_or_b32 exec_lo, exec_lo, s15
	v_and_b32_e32 v0, 0xff, v31
	v_mov_b32_e32 v8, v31
	s_mov_b32 s15, exec_lo
	v_cmpx_ne_u16_e32 0, v0
	s_cbranch_execz .LBB373_243
; %bb.236:                              ;   in Loop: Header=BB373_11 Depth=1
	v_cmp_ne_u16_e64 s1, 0x80, v0
	v_bfrev_b32_e32 v0, 1
	scratch_store_b32 off, v0, s32 offset:404 ; 4-byte Folded Spill
	s_and_saveexec_b32 s17, s1
	s_cbranch_execz .LBB373_242
; %bb.237:                              ;   in Loop: Header=BB373_11 Depth=1
	v_and_b32_e32 v1, 0x7f, v31
	v_mov_b32_e32 v0, 0x7fc02000
	s_mov_b32 s18, exec_lo
	scratch_store_b32 off, v0, s32 offset:404 ; 4-byte Folded Spill
	v_cmpx_ne_u32_e32 0x7f, v1
	s_cbranch_execz .LBB373_241
; %bb.238:                              ;   in Loop: Header=BB373_11 Depth=1
	v_lshrrev_b32_e32 v0, 3, v1
	v_dual_mov_b32 v33, v9 :: v_dual_mov_b32 v32, v8
	s_mov_b32 s19, exec_lo
	v_cmpx_gt_u32_e32 8, v1
; %bb.239:                              ;   in Loop: Header=BB373_11 Depth=1
	v_and_b32_e32 v0, 7, v31
	s_delay_alu instid0(VALU_DEP_1) | instskip(NEXT) | instid1(VALU_DEP_1)
	v_clz_i32_u32_e32 v0, v0
	v_min_u32_e32 v0, 32, v0
	s_delay_alu instid0(VALU_DEP_1) | instskip(SKIP_1) | instid1(VALU_DEP_2)
	v_subrev_nc_u32_e32 v1, 28, v0
	v_sub_nc_u32_e32 v0, 29, v0
	v_lshlrev_b64 v[32:33], v1, v[8:9]
; %bb.240:                              ;   in Loop: Header=BB373_11 Depth=1
	s_or_b32 exec_lo, exec_lo, s19
	v_lshlrev_b32_e32 v1, 8, v31
	s_delay_alu instid0(VALU_DEP_3) | instskip(NEXT) | instid1(VALU_DEP_3)
	v_lshl_add_u32 v0, v0, 10, 0x2000
	v_lshlrev_b32_e32 v2, 7, v32
	s_delay_alu instid0(VALU_DEP_2) | instskip(NEXT) | instid1(VALU_DEP_1)
	v_and_or_b32 v0, 0x8000, v1, v0
	v_and_or_b32 v0, 0x380, v2, v0
	s_delay_alu instid0(VALU_DEP_1)
	v_cvt_f32_f16_e32 v0, v0
	scratch_store_b32 off, v0, s32 offset:404 ; 4-byte Folded Spill
.LBB373_241:                            ;   in Loop: Header=BB373_11 Depth=1
	s_or_b32 exec_lo, exec_lo, s18
.LBB373_242:                            ;   in Loop: Header=BB373_11 Depth=1
	s_delay_alu instid0(SALU_CYCLE_1)
	s_or_b32 exec_lo, exec_lo, s17
.LBB373_243:                            ;   in Loop: Header=BB373_11 Depth=1
	s_delay_alu instid0(SALU_CYCLE_1)
	s_or_b32 exec_lo, exec_lo, s15
	v_mov_b32_e32 v1, 0
	v_lshrrev_b16 v0, 8, v8
	s_mov_b32 s15, exec_lo
	scratch_store_b32 off, v1, s32 offset:412 ; 4-byte Folded Spill
	v_mov_b32_e32 v1, 0
	scratch_store_b32 off, v1, s32 offset:416 ; 4-byte Folded Spill
	v_cmpx_ne_u16_e32 0, v0
	s_cbranch_execz .LBB373_251
; %bb.244:                              ;   in Loop: Header=BB373_11 Depth=1
	v_bfrev_b32_e32 v1, 1
	s_mov_b32 s17, exec_lo
	scratch_store_b32 off, v1, s32 offset:416 ; 4-byte Folded Spill
	v_cmpx_ne_u16_e32 0x80, v0
	s_cbranch_execz .LBB373_250
; %bb.245:                              ;   in Loop: Header=BB373_11 Depth=1
	v_and_b32_e32 v0, 0xffff, v0
	v_mov_b32_e32 v1, 0x7fc02000
	s_mov_b32 s18, exec_lo
	s_delay_alu instid0(VALU_DEP_2)
	v_and_b32_e32 v2, 0x7f, v0
	scratch_store_b32 off, v1, s32 offset:416 ; 4-byte Folded Spill
	v_cmpx_ne_u32_e32 0x7f, v2
	s_cbranch_execz .LBB373_249
; %bb.246:                              ;   in Loop: Header=BB373_11 Depth=1
	v_and_b32_e32 v8, 7, v0
	v_lshrrev_b32_e32 v1, 3, v2
	v_mov_b32_e32 v33, v9
	s_mov_b32 s19, exec_lo
	s_delay_alu instid0(VALU_DEP_3)
	v_mov_b32_e32 v32, v8
	v_cmpx_gt_u32_e32 8, v2
; %bb.247:                              ;   in Loop: Header=BB373_11 Depth=1
	v_clz_i32_u32_e32 v1, v8
	s_delay_alu instid0(VALU_DEP_1) | instskip(NEXT) | instid1(VALU_DEP_1)
	v_min_u32_e32 v1, 32, v1
	v_subrev_nc_u32_e32 v2, 28, v1
	v_sub_nc_u32_e32 v1, 29, v1
	s_delay_alu instid0(VALU_DEP_2) | instskip(NEXT) | instid1(VALU_DEP_1)
	v_lshlrev_b64 v[2:3], v2, v[8:9]
	v_and_b32_e32 v32, 7, v2
; %bb.248:                              ;   in Loop: Header=BB373_11 Depth=1
	s_or_b32 exec_lo, exec_lo, s19
	v_lshlrev_b32_e32 v0, 8, v0
	v_lshl_add_u32 v1, v1, 10, 0x2000
	s_delay_alu instid0(VALU_DEP_1) | instskip(NEXT) | instid1(VALU_DEP_1)
	v_and_or_b32 v0, 0x8000, v0, v1
	v_lshl_or_b32 v0, v32, 7, v0
	s_delay_alu instid0(VALU_DEP_1)
	v_cvt_f32_f16_e32 v0, v0
	scratch_store_b32 off, v0, s32 offset:416 ; 4-byte Folded Spill
.LBB373_249:                            ;   in Loop: Header=BB373_11 Depth=1
	s_or_b32 exec_lo, exec_lo, s18
.LBB373_250:                            ;   in Loop: Header=BB373_11 Depth=1
	s_delay_alu instid0(SALU_CYCLE_1)
	s_or_b32 exec_lo, exec_lo, s17
.LBB373_251:                            ;   in Loop: Header=BB373_11 Depth=1
	s_delay_alu instid0(SALU_CYCLE_1) | instskip(SKIP_2) | instid1(VALU_DEP_1)
	s_or_b32 exec_lo, exec_lo, s15
	v_lshrrev_b32_e32 v0, 16, v31
	s_mov_b32 s15, exec_lo
	v_and_b32_e32 v1, 0xff, v0
	s_delay_alu instid0(VALU_DEP_1)
	v_cmpx_ne_u16_e32 0, v1
	s_cbranch_execz .LBB373_259
; %bb.252:                              ;   in Loop: Header=BB373_11 Depth=1
	v_cmp_ne_u16_e64 s1, 0x80, v1
	v_bfrev_b32_e32 v1, 1
	scratch_store_b32 off, v1, s32 offset:412 ; 4-byte Folded Spill
	s_and_saveexec_b32 s17, s1
	s_cbranch_execz .LBB373_258
; %bb.253:                              ;   in Loop: Header=BB373_11 Depth=1
	v_bfe_u32 v2, v31, 16, 7
	v_mov_b32_e32 v1, 0x7fc02000
	s_mov_b32 s18, exec_lo
	scratch_store_b32 off, v1, s32 offset:412 ; 4-byte Folded Spill
	v_cmpx_ne_u32_e32 0x7f, v2
	s_cbranch_execz .LBB373_257
; %bb.254:                              ;   in Loop: Header=BB373_11 Depth=1
	v_and_b32_e32 v8, 7, v0
	v_lshrrev_b32_e32 v1, 3, v2
	v_mov_b32_e32 v33, v9
	s_mov_b32 s19, exec_lo
	s_delay_alu instid0(VALU_DEP_3)
	v_mov_b32_e32 v32, v8
	v_cmpx_gt_u32_e32 8, v2
; %bb.255:                              ;   in Loop: Header=BB373_11 Depth=1
	v_clz_i32_u32_e32 v1, v8
	s_delay_alu instid0(VALU_DEP_1) | instskip(NEXT) | instid1(VALU_DEP_1)
	v_min_u32_e32 v1, 32, v1
	v_subrev_nc_u32_e32 v2, 28, v1
	v_sub_nc_u32_e32 v1, 29, v1
	s_delay_alu instid0(VALU_DEP_2) | instskip(NEXT) | instid1(VALU_DEP_1)
	v_lshlrev_b64 v[2:3], v2, v[8:9]
	v_and_b32_e32 v32, 7, v2
; %bb.256:                              ;   in Loop: Header=BB373_11 Depth=1
	s_or_b32 exec_lo, exec_lo, s19
	v_lshlrev_b32_e32 v0, 8, v0
	v_lshl_add_u32 v1, v1, 10, 0x2000
	s_delay_alu instid0(VALU_DEP_1) | instskip(NEXT) | instid1(VALU_DEP_1)
	v_and_or_b32 v0, 0x8000, v0, v1
	v_lshl_or_b32 v0, v32, 7, v0
	s_delay_alu instid0(VALU_DEP_1)
	v_cvt_f32_f16_e32 v0, v0
	scratch_store_b32 off, v0, s32 offset:412 ; 4-byte Folded Spill
.LBB373_257:                            ;   in Loop: Header=BB373_11 Depth=1
	s_or_b32 exec_lo, exec_lo, s18
.LBB373_258:                            ;   in Loop: Header=BB373_11 Depth=1
	s_delay_alu instid0(SALU_CYCLE_1)
	s_or_b32 exec_lo, exec_lo, s17
.LBB373_259:                            ;   in Loop: Header=BB373_11 Depth=1
	s_delay_alu instid0(SALU_CYCLE_1)
	s_or_b32 exec_lo, exec_lo, s15
	v_mov_b32_e32 v0, 0
	s_mov_b32 s15, exec_lo
	scratch_store_b32 off, v0, s32 offset:420 ; 4-byte Folded Spill
	v_mov_b32_e32 v0, 0
	scratch_store_b32 off, v0, s32 offset:640 ; 4-byte Folded Spill
	v_cmpx_lt_u64_e64 s[2:3], v[30:31]
	s_cbranch_execz .LBB373_267
; %bb.260:                              ;   in Loop: Header=BB373_11 Depth=1
	v_lshrrev_b32_e32 v0, 24, v31
	v_bfrev_b32_e32 v1, 1
	s_mov_b32 s17, exec_lo
	s_delay_alu instid0(VALU_DEP_2)
	v_cmpx_ne_u32_e32 0x80, v0
	s_cbranch_execz .LBB373_266
; %bb.261:                              ;   in Loop: Header=BB373_11 Depth=1
	v_and_b32_e32 v2, 0x7f, v0
	v_mov_b32_e32 v1, 0x7fc02000
	s_mov_b32 s18, exec_lo
	s_delay_alu instid0(VALU_DEP_2)
	v_cmpx_ne_u32_e32 0x7f, v2
	s_cbranch_execz .LBB373_265
; %bb.262:                              ;   in Loop: Header=BB373_11 Depth=1
	v_and_b32_e32 v8, 7, v0
	v_lshrrev_b32_e32 v1, 3, v2
	v_mov_b32_e32 v31, v9
	s_mov_b32 s19, exec_lo
	s_delay_alu instid0(VALU_DEP_3)
	v_mov_b32_e32 v30, v8
	v_cmpx_gt_u32_e32 8, v2
; %bb.263:                              ;   in Loop: Header=BB373_11 Depth=1
	v_clz_i32_u32_e32 v1, v8
	s_delay_alu instid0(VALU_DEP_1) | instskip(NEXT) | instid1(VALU_DEP_1)
	v_min_u32_e32 v1, 32, v1
	v_subrev_nc_u32_e32 v2, 28, v1
	v_sub_nc_u32_e32 v1, 29, v1
	s_delay_alu instid0(VALU_DEP_2) | instskip(NEXT) | instid1(VALU_DEP_1)
	v_lshlrev_b64 v[2:3], v2, v[8:9]
	v_and_b32_e32 v30, 7, v2
; %bb.264:                              ;   in Loop: Header=BB373_11 Depth=1
	s_or_b32 exec_lo, exec_lo, s19
	v_lshlrev_b32_e32 v0, 8, v0
	v_lshl_add_u32 v1, v1, 10, 0x2000
	s_delay_alu instid0(VALU_DEP_1) | instskip(NEXT) | instid1(VALU_DEP_1)
	v_and_or_b32 v0, 0x8000, v0, v1
	v_lshl_or_b32 v0, v30, 7, v0
	s_delay_alu instid0(VALU_DEP_1)
	v_cvt_f32_f16_e32 v1, v0
.LBB373_265:                            ;   in Loop: Header=BB373_11 Depth=1
	s_or_b32 exec_lo, exec_lo, s18
.LBB373_266:                            ;   in Loop: Header=BB373_11 Depth=1
	s_delay_alu instid0(SALU_CYCLE_1)
	s_or_b32 exec_lo, exec_lo, s17
	scratch_store_b32 off, v1, s32 offset:640 ; 4-byte Folded Spill
.LBB373_267:                            ;   in Loop: Header=BB373_11 Depth=1
	s_or_b32 exec_lo, exec_lo, s15
	flat_load_b64 v[30:31], v[28:29] offset:1024
	s_mov_b32 s15, exec_lo
	s_waitcnt vmcnt(0) lgkmcnt(0)
	v_and_b32_e32 v0, 0xff, v30
	s_delay_alu instid0(VALU_DEP_1)
	v_cmpx_ne_u16_e32 0, v0
	s_cbranch_execz .LBB373_275
; %bb.268:                              ;   in Loop: Header=BB373_11 Depth=1
	v_cmp_ne_u16_e64 s1, 0x80, v0
	v_bfrev_b32_e32 v0, 1
	scratch_store_b32 off, v0, s32 offset:420 ; 4-byte Folded Spill
	s_and_saveexec_b32 s17, s1
	s_cbranch_execz .LBB373_274
; %bb.269:                              ;   in Loop: Header=BB373_11 Depth=1
	v_and_b32_e32 v1, 0x7f, v30
	v_mov_b32_e32 v0, 0x7fc02000
	s_mov_b32 s18, exec_lo
	scratch_store_b32 off, v0, s32 offset:420 ; 4-byte Folded Spill
	v_cmpx_ne_u32_e32 0x7f, v1
	s_cbranch_execz .LBB373_273
; %bb.270:                              ;   in Loop: Header=BB373_11 Depth=1
	v_lshrrev_b32_e32 v0, 3, v1
	v_dual_mov_b32 v33, v31 :: v_dual_mov_b32 v32, v30
	s_mov_b32 s19, exec_lo
	v_cmpx_gt_u32_e32 8, v1
; %bb.271:                              ;   in Loop: Header=BB373_11 Depth=1
	v_and_b32_e32 v0, 7, v30
	s_delay_alu instid0(VALU_DEP_1) | instskip(NEXT) | instid1(VALU_DEP_1)
	v_clz_i32_u32_e32 v0, v0
	v_min_u32_e32 v0, 32, v0
	s_delay_alu instid0(VALU_DEP_1) | instskip(SKIP_1) | instid1(VALU_DEP_2)
	v_subrev_nc_u32_e32 v1, 28, v0
	v_sub_nc_u32_e32 v0, 29, v0
	v_lshlrev_b64 v[32:33], v1, v[30:31]
; %bb.272:                              ;   in Loop: Header=BB373_11 Depth=1
	s_or_b32 exec_lo, exec_lo, s19
	v_lshlrev_b32_e32 v1, 8, v30
	s_delay_alu instid0(VALU_DEP_3) | instskip(NEXT) | instid1(VALU_DEP_3)
	v_lshl_add_u32 v0, v0, 10, 0x2000
	v_lshlrev_b32_e32 v2, 7, v32
	s_delay_alu instid0(VALU_DEP_2) | instskip(NEXT) | instid1(VALU_DEP_1)
	v_and_or_b32 v0, 0x8000, v1, v0
	v_and_or_b32 v0, 0x380, v2, v0
	s_delay_alu instid0(VALU_DEP_1)
	v_cvt_f32_f16_e32 v0, v0
	scratch_store_b32 off, v0, s32 offset:420 ; 4-byte Folded Spill
.LBB373_273:                            ;   in Loop: Header=BB373_11 Depth=1
	s_or_b32 exec_lo, exec_lo, s18
.LBB373_274:                            ;   in Loop: Header=BB373_11 Depth=1
	s_delay_alu instid0(SALU_CYCLE_1)
	s_or_b32 exec_lo, exec_lo, s17
.LBB373_275:                            ;   in Loop: Header=BB373_11 Depth=1
	s_delay_alu instid0(SALU_CYCLE_1)
	s_or_b32 exec_lo, exec_lo, s15
	v_mov_b32_e32 v1, 0
	v_lshrrev_b16 v0, 8, v30
	s_mov_b32 s15, exec_lo
	scratch_store_b32 off, v1, s32 offset:424 ; 4-byte Folded Spill
	v_mov_b32_e32 v1, 0
	scratch_store_b32 off, v1, s32 offset:428 ; 4-byte Folded Spill
	v_cmpx_ne_u16_e32 0, v0
	s_cbranch_execz .LBB373_283
; %bb.276:                              ;   in Loop: Header=BB373_11 Depth=1
	v_bfrev_b32_e32 v1, 1
	s_mov_b32 s17, exec_lo
	scratch_store_b32 off, v1, s32 offset:428 ; 4-byte Folded Spill
	v_cmpx_ne_u16_e32 0x80, v0
	s_cbranch_execz .LBB373_282
; %bb.277:                              ;   in Loop: Header=BB373_11 Depth=1
	v_and_b32_e32 v0, 0xffff, v0
	v_mov_b32_e32 v1, 0x7fc02000
	s_mov_b32 s18, exec_lo
	s_delay_alu instid0(VALU_DEP_2)
	v_and_b32_e32 v2, 0x7f, v0
	scratch_store_b32 off, v1, s32 offset:428 ; 4-byte Folded Spill
	v_cmpx_ne_u32_e32 0x7f, v2
	s_cbranch_execz .LBB373_281
; %bb.278:                              ;   in Loop: Header=BB373_11 Depth=1
	v_and_b32_e32 v8, 7, v0
	v_lshrrev_b32_e32 v1, 3, v2
	v_mov_b32_e32 v33, v9
	s_mov_b32 s19, exec_lo
	s_delay_alu instid0(VALU_DEP_3)
	v_mov_b32_e32 v32, v8
	v_cmpx_gt_u32_e32 8, v2
; %bb.279:                              ;   in Loop: Header=BB373_11 Depth=1
	v_clz_i32_u32_e32 v1, v8
	s_delay_alu instid0(VALU_DEP_1) | instskip(NEXT) | instid1(VALU_DEP_1)
	v_min_u32_e32 v1, 32, v1
	v_subrev_nc_u32_e32 v2, 28, v1
	v_sub_nc_u32_e32 v1, 29, v1
	s_delay_alu instid0(VALU_DEP_2) | instskip(NEXT) | instid1(VALU_DEP_1)
	v_lshlrev_b64 v[2:3], v2, v[8:9]
	v_and_b32_e32 v32, 7, v2
; %bb.280:                              ;   in Loop: Header=BB373_11 Depth=1
	s_or_b32 exec_lo, exec_lo, s19
	v_lshlrev_b32_e32 v0, 8, v0
	v_lshl_add_u32 v1, v1, 10, 0x2000
	s_delay_alu instid0(VALU_DEP_1) | instskip(NEXT) | instid1(VALU_DEP_1)
	v_and_or_b32 v0, 0x8000, v0, v1
	v_lshl_or_b32 v0, v32, 7, v0
	s_delay_alu instid0(VALU_DEP_1)
	v_cvt_f32_f16_e32 v0, v0
	scratch_store_b32 off, v0, s32 offset:428 ; 4-byte Folded Spill
.LBB373_281:                            ;   in Loop: Header=BB373_11 Depth=1
	s_or_b32 exec_lo, exec_lo, s18
.LBB373_282:                            ;   in Loop: Header=BB373_11 Depth=1
	s_delay_alu instid0(SALU_CYCLE_1)
	s_or_b32 exec_lo, exec_lo, s17
.LBB373_283:                            ;   in Loop: Header=BB373_11 Depth=1
	s_delay_alu instid0(SALU_CYCLE_1) | instskip(SKIP_2) | instid1(VALU_DEP_1)
	s_or_b32 exec_lo, exec_lo, s15
	v_lshrrev_b32_e32 v0, 16, v30
	s_mov_b32 s15, exec_lo
	v_and_b32_e32 v1, 0xff, v0
	s_delay_alu instid0(VALU_DEP_1)
	v_cmpx_ne_u16_e32 0, v1
	s_cbranch_execz .LBB373_291
; %bb.284:                              ;   in Loop: Header=BB373_11 Depth=1
	v_cmp_ne_u16_e64 s1, 0x80, v1
	v_bfrev_b32_e32 v1, 1
	scratch_store_b32 off, v1, s32 offset:424 ; 4-byte Folded Spill
	s_and_saveexec_b32 s17, s1
	s_cbranch_execz .LBB373_290
; %bb.285:                              ;   in Loop: Header=BB373_11 Depth=1
	v_bfe_u32 v2, v30, 16, 7
	v_mov_b32_e32 v1, 0x7fc02000
	s_mov_b32 s18, exec_lo
	scratch_store_b32 off, v1, s32 offset:424 ; 4-byte Folded Spill
	v_cmpx_ne_u32_e32 0x7f, v2
	s_cbranch_execz .LBB373_289
; %bb.286:                              ;   in Loop: Header=BB373_11 Depth=1
	v_and_b32_e32 v8, 7, v0
	v_lshrrev_b32_e32 v1, 3, v2
	v_mov_b32_e32 v33, v9
	s_mov_b32 s19, exec_lo
	s_delay_alu instid0(VALU_DEP_3)
	v_mov_b32_e32 v32, v8
	v_cmpx_gt_u32_e32 8, v2
; %bb.287:                              ;   in Loop: Header=BB373_11 Depth=1
	v_clz_i32_u32_e32 v1, v8
	s_delay_alu instid0(VALU_DEP_1) | instskip(NEXT) | instid1(VALU_DEP_1)
	v_min_u32_e32 v1, 32, v1
	v_subrev_nc_u32_e32 v2, 28, v1
	v_sub_nc_u32_e32 v1, 29, v1
	s_delay_alu instid0(VALU_DEP_2) | instskip(NEXT) | instid1(VALU_DEP_1)
	v_lshlrev_b64 v[2:3], v2, v[8:9]
	v_and_b32_e32 v32, 7, v2
; %bb.288:                              ;   in Loop: Header=BB373_11 Depth=1
	s_or_b32 exec_lo, exec_lo, s19
	v_lshlrev_b32_e32 v0, 8, v0
	v_lshl_add_u32 v1, v1, 10, 0x2000
	s_delay_alu instid0(VALU_DEP_1) | instskip(NEXT) | instid1(VALU_DEP_1)
	v_and_or_b32 v0, 0x8000, v0, v1
	v_lshl_or_b32 v0, v32, 7, v0
	s_delay_alu instid0(VALU_DEP_1)
	v_cvt_f32_f16_e32 v0, v0
	scratch_store_b32 off, v0, s32 offset:424 ; 4-byte Folded Spill
.LBB373_289:                            ;   in Loop: Header=BB373_11 Depth=1
	s_or_b32 exec_lo, exec_lo, s18
.LBB373_290:                            ;   in Loop: Header=BB373_11 Depth=1
	s_delay_alu instid0(SALU_CYCLE_1)
	s_or_b32 exec_lo, exec_lo, s17
.LBB373_291:                            ;   in Loop: Header=BB373_11 Depth=1
	s_delay_alu instid0(SALU_CYCLE_1)
	s_or_b32 exec_lo, exec_lo, s15
	v_mov_b32_e32 v0, 0
	s_mov_b32 s15, exec_lo
	scratch_store_b32 off, v0, s32 offset:432 ; 4-byte Folded Spill
	v_mov_b32_e32 v0, 0
	scratch_store_b32 off, v0, s32 offset:436 ; 4-byte Folded Spill
	v_cmpx_lt_u32_e32 0xffffff, v30
	s_cbranch_execz .LBB373_299
; %bb.292:                              ;   in Loop: Header=BB373_11 Depth=1
	v_lshrrev_b32_e32 v0, 24, v30
	v_bfrev_b32_e32 v1, 1
	s_mov_b32 s17, exec_lo
	scratch_store_b32 off, v1, s32 offset:436 ; 4-byte Folded Spill
	v_cmpx_ne_u32_e32 0x80, v0
	s_cbranch_execz .LBB373_298
; %bb.293:                              ;   in Loop: Header=BB373_11 Depth=1
	v_and_b32_e32 v2, 0x7f, v0
	v_mov_b32_e32 v1, 0x7fc02000
	s_mov_b32 s18, exec_lo
	scratch_store_b32 off, v1, s32 offset:436 ; 4-byte Folded Spill
	v_cmpx_ne_u32_e32 0x7f, v2
	s_cbranch_execz .LBB373_297
; %bb.294:                              ;   in Loop: Header=BB373_11 Depth=1
	v_and_b32_e32 v8, 7, v0
	v_lshrrev_b32_e32 v1, 3, v2
	v_mov_b32_e32 v33, v9
	s_mov_b32 s19, exec_lo
	s_delay_alu instid0(VALU_DEP_3)
	v_mov_b32_e32 v32, v8
	v_cmpx_gt_u32_e32 8, v2
; %bb.295:                              ;   in Loop: Header=BB373_11 Depth=1
	v_clz_i32_u32_e32 v1, v8
	s_delay_alu instid0(VALU_DEP_1) | instskip(NEXT) | instid1(VALU_DEP_1)
	v_min_u32_e32 v1, 32, v1
	v_subrev_nc_u32_e32 v2, 28, v1
	v_sub_nc_u32_e32 v1, 29, v1
	s_delay_alu instid0(VALU_DEP_2) | instskip(NEXT) | instid1(VALU_DEP_1)
	v_lshlrev_b64 v[2:3], v2, v[8:9]
	v_and_b32_e32 v32, 7, v2
; %bb.296:                              ;   in Loop: Header=BB373_11 Depth=1
	s_or_b32 exec_lo, exec_lo, s19
	v_lshlrev_b32_e32 v0, 8, v0
	v_lshl_add_u32 v1, v1, 10, 0x2000
	s_delay_alu instid0(VALU_DEP_1) | instskip(NEXT) | instid1(VALU_DEP_1)
	v_and_or_b32 v0, 0x8000, v0, v1
	v_lshl_or_b32 v0, v32, 7, v0
	s_delay_alu instid0(VALU_DEP_1)
	v_cvt_f32_f16_e32 v0, v0
	scratch_store_b32 off, v0, s32 offset:436 ; 4-byte Folded Spill
.LBB373_297:                            ;   in Loop: Header=BB373_11 Depth=1
	s_or_b32 exec_lo, exec_lo, s18
.LBB373_298:                            ;   in Loop: Header=BB373_11 Depth=1
	s_delay_alu instid0(SALU_CYCLE_1)
	s_or_b32 exec_lo, exec_lo, s17
.LBB373_299:                            ;   in Loop: Header=BB373_11 Depth=1
	s_delay_alu instid0(SALU_CYCLE_1) | instskip(SKIP_3) | instid1(VALU_DEP_2)
	s_or_b32 exec_lo, exec_lo, s15
	v_and_b32_e32 v0, 0xff, v31
	v_mov_b32_e32 v8, v31
	s_mov_b32 s15, exec_lo
	v_cmpx_ne_u16_e32 0, v0
	s_cbranch_execz .LBB373_307
; %bb.300:                              ;   in Loop: Header=BB373_11 Depth=1
	v_cmp_ne_u16_e64 s1, 0x80, v0
	v_bfrev_b32_e32 v0, 1
	scratch_store_b32 off, v0, s32 offset:432 ; 4-byte Folded Spill
	s_and_saveexec_b32 s17, s1
	s_cbranch_execz .LBB373_306
; %bb.301:                              ;   in Loop: Header=BB373_11 Depth=1
	v_and_b32_e32 v1, 0x7f, v31
	v_mov_b32_e32 v0, 0x7fc02000
	s_mov_b32 s18, exec_lo
	scratch_store_b32 off, v0, s32 offset:432 ; 4-byte Folded Spill
	v_cmpx_ne_u32_e32 0x7f, v1
	s_cbranch_execz .LBB373_305
; %bb.302:                              ;   in Loop: Header=BB373_11 Depth=1
	v_lshrrev_b32_e32 v0, 3, v1
	v_dual_mov_b32 v33, v9 :: v_dual_mov_b32 v32, v8
	s_mov_b32 s19, exec_lo
	v_cmpx_gt_u32_e32 8, v1
; %bb.303:                              ;   in Loop: Header=BB373_11 Depth=1
	v_and_b32_e32 v0, 7, v31
	s_delay_alu instid0(VALU_DEP_1) | instskip(NEXT) | instid1(VALU_DEP_1)
	v_clz_i32_u32_e32 v0, v0
	v_min_u32_e32 v0, 32, v0
	s_delay_alu instid0(VALU_DEP_1) | instskip(SKIP_1) | instid1(VALU_DEP_2)
	v_subrev_nc_u32_e32 v1, 28, v0
	v_sub_nc_u32_e32 v0, 29, v0
	v_lshlrev_b64 v[32:33], v1, v[8:9]
; %bb.304:                              ;   in Loop: Header=BB373_11 Depth=1
	s_or_b32 exec_lo, exec_lo, s19
	v_lshlrev_b32_e32 v1, 8, v31
	s_delay_alu instid0(VALU_DEP_3) | instskip(NEXT) | instid1(VALU_DEP_3)
	v_lshl_add_u32 v0, v0, 10, 0x2000
	v_lshlrev_b32_e32 v2, 7, v32
	s_delay_alu instid0(VALU_DEP_2) | instskip(NEXT) | instid1(VALU_DEP_1)
	v_and_or_b32 v0, 0x8000, v1, v0
	v_and_or_b32 v0, 0x380, v2, v0
	s_delay_alu instid0(VALU_DEP_1)
	v_cvt_f32_f16_e32 v0, v0
	scratch_store_b32 off, v0, s32 offset:432 ; 4-byte Folded Spill
.LBB373_305:                            ;   in Loop: Header=BB373_11 Depth=1
	s_or_b32 exec_lo, exec_lo, s18
.LBB373_306:                            ;   in Loop: Header=BB373_11 Depth=1
	s_delay_alu instid0(SALU_CYCLE_1)
	s_or_b32 exec_lo, exec_lo, s17
.LBB373_307:                            ;   in Loop: Header=BB373_11 Depth=1
	s_delay_alu instid0(SALU_CYCLE_1)
	s_or_b32 exec_lo, exec_lo, s15
	v_mov_b32_e32 v1, 0
	v_lshrrev_b16 v0, 8, v8
	s_mov_b32 s15, exec_lo
	scratch_store_b32 off, v1, s32 offset:440 ; 4-byte Folded Spill
	v_mov_b32_e32 v1, 0
	scratch_store_b32 off, v1, s32 offset:444 ; 4-byte Folded Spill
	v_cmpx_ne_u16_e32 0, v0
	s_cbranch_execz .LBB373_315
; %bb.308:                              ;   in Loop: Header=BB373_11 Depth=1
	v_bfrev_b32_e32 v1, 1
	s_mov_b32 s17, exec_lo
	scratch_store_b32 off, v1, s32 offset:444 ; 4-byte Folded Spill
	v_cmpx_ne_u16_e32 0x80, v0
	s_cbranch_execz .LBB373_314
; %bb.309:                              ;   in Loop: Header=BB373_11 Depth=1
	v_and_b32_e32 v0, 0xffff, v0
	v_mov_b32_e32 v1, 0x7fc02000
	s_mov_b32 s18, exec_lo
	s_delay_alu instid0(VALU_DEP_2)
	v_and_b32_e32 v2, 0x7f, v0
	scratch_store_b32 off, v1, s32 offset:444 ; 4-byte Folded Spill
	v_cmpx_ne_u32_e32 0x7f, v2
	s_cbranch_execz .LBB373_313
; %bb.310:                              ;   in Loop: Header=BB373_11 Depth=1
	v_and_b32_e32 v8, 7, v0
	v_lshrrev_b32_e32 v1, 3, v2
	v_mov_b32_e32 v33, v9
	s_mov_b32 s19, exec_lo
	s_delay_alu instid0(VALU_DEP_3)
	v_mov_b32_e32 v32, v8
	v_cmpx_gt_u32_e32 8, v2
; %bb.311:                              ;   in Loop: Header=BB373_11 Depth=1
	v_clz_i32_u32_e32 v1, v8
	s_delay_alu instid0(VALU_DEP_1) | instskip(NEXT) | instid1(VALU_DEP_1)
	v_min_u32_e32 v1, 32, v1
	v_subrev_nc_u32_e32 v2, 28, v1
	v_sub_nc_u32_e32 v1, 29, v1
	s_delay_alu instid0(VALU_DEP_2) | instskip(NEXT) | instid1(VALU_DEP_1)
	v_lshlrev_b64 v[2:3], v2, v[8:9]
	v_and_b32_e32 v32, 7, v2
; %bb.312:                              ;   in Loop: Header=BB373_11 Depth=1
	s_or_b32 exec_lo, exec_lo, s19
	v_lshlrev_b32_e32 v0, 8, v0
	v_lshl_add_u32 v1, v1, 10, 0x2000
	s_delay_alu instid0(VALU_DEP_1) | instskip(NEXT) | instid1(VALU_DEP_1)
	v_and_or_b32 v0, 0x8000, v0, v1
	v_lshl_or_b32 v0, v32, 7, v0
	s_delay_alu instid0(VALU_DEP_1)
	v_cvt_f32_f16_e32 v0, v0
	scratch_store_b32 off, v0, s32 offset:444 ; 4-byte Folded Spill
.LBB373_313:                            ;   in Loop: Header=BB373_11 Depth=1
	s_or_b32 exec_lo, exec_lo, s18
.LBB373_314:                            ;   in Loop: Header=BB373_11 Depth=1
	s_delay_alu instid0(SALU_CYCLE_1)
	s_or_b32 exec_lo, exec_lo, s17
.LBB373_315:                            ;   in Loop: Header=BB373_11 Depth=1
	s_delay_alu instid0(SALU_CYCLE_1) | instskip(SKIP_2) | instid1(VALU_DEP_1)
	s_or_b32 exec_lo, exec_lo, s15
	v_lshrrev_b32_e32 v0, 16, v31
	s_mov_b32 s15, exec_lo
	v_and_b32_e32 v1, 0xff, v0
	s_delay_alu instid0(VALU_DEP_1)
	v_cmpx_ne_u16_e32 0, v1
	s_cbranch_execz .LBB373_323
; %bb.316:                              ;   in Loop: Header=BB373_11 Depth=1
	v_cmp_ne_u16_e64 s1, 0x80, v1
	v_bfrev_b32_e32 v1, 1
	scratch_store_b32 off, v1, s32 offset:440 ; 4-byte Folded Spill
	s_and_saveexec_b32 s17, s1
	s_cbranch_execz .LBB373_322
; %bb.317:                              ;   in Loop: Header=BB373_11 Depth=1
	v_bfe_u32 v2, v31, 16, 7
	v_mov_b32_e32 v1, 0x7fc02000
	s_mov_b32 s18, exec_lo
	scratch_store_b32 off, v1, s32 offset:440 ; 4-byte Folded Spill
	v_cmpx_ne_u32_e32 0x7f, v2
	s_cbranch_execz .LBB373_321
; %bb.318:                              ;   in Loop: Header=BB373_11 Depth=1
	v_and_b32_e32 v8, 7, v0
	v_lshrrev_b32_e32 v1, 3, v2
	v_mov_b32_e32 v33, v9
	s_mov_b32 s19, exec_lo
	s_delay_alu instid0(VALU_DEP_3)
	v_mov_b32_e32 v32, v8
	v_cmpx_gt_u32_e32 8, v2
; %bb.319:                              ;   in Loop: Header=BB373_11 Depth=1
	v_clz_i32_u32_e32 v1, v8
	s_delay_alu instid0(VALU_DEP_1) | instskip(NEXT) | instid1(VALU_DEP_1)
	v_min_u32_e32 v1, 32, v1
	v_subrev_nc_u32_e32 v2, 28, v1
	v_sub_nc_u32_e32 v1, 29, v1
	s_delay_alu instid0(VALU_DEP_2) | instskip(NEXT) | instid1(VALU_DEP_1)
	v_lshlrev_b64 v[2:3], v2, v[8:9]
	v_and_b32_e32 v32, 7, v2
; %bb.320:                              ;   in Loop: Header=BB373_11 Depth=1
	s_or_b32 exec_lo, exec_lo, s19
	v_lshlrev_b32_e32 v0, 8, v0
	v_lshl_add_u32 v1, v1, 10, 0x2000
	s_delay_alu instid0(VALU_DEP_1) | instskip(NEXT) | instid1(VALU_DEP_1)
	v_and_or_b32 v0, 0x8000, v0, v1
	v_lshl_or_b32 v0, v32, 7, v0
	s_delay_alu instid0(VALU_DEP_1)
	v_cvt_f32_f16_e32 v0, v0
	scratch_store_b32 off, v0, s32 offset:440 ; 4-byte Folded Spill
.LBB373_321:                            ;   in Loop: Header=BB373_11 Depth=1
	s_or_b32 exec_lo, exec_lo, s18
.LBB373_322:                            ;   in Loop: Header=BB373_11 Depth=1
	s_delay_alu instid0(SALU_CYCLE_1)
	s_or_b32 exec_lo, exec_lo, s17
.LBB373_323:                            ;   in Loop: Header=BB373_11 Depth=1
	s_delay_alu instid0(SALU_CYCLE_1)
	s_or_b32 exec_lo, exec_lo, s15
	v_mov_b32_e32 v0, 0
	s_mov_b32 s15, exec_lo
	scratch_store_b32 off, v0, s32 offset:448 ; 4-byte Folded Spill
	v_mov_b32_e32 v0, 0
	scratch_store_b32 off, v0, s32 offset:644 ; 4-byte Folded Spill
	v_cmpx_lt_u64_e64 s[2:3], v[30:31]
	s_cbranch_execz .LBB373_331
; %bb.324:                              ;   in Loop: Header=BB373_11 Depth=1
	v_lshrrev_b32_e32 v0, 24, v31
	v_bfrev_b32_e32 v1, 1
	s_mov_b32 s17, exec_lo
	s_delay_alu instid0(VALU_DEP_2)
	v_cmpx_ne_u32_e32 0x80, v0
	s_cbranch_execz .LBB373_330
; %bb.325:                              ;   in Loop: Header=BB373_11 Depth=1
	v_and_b32_e32 v2, 0x7f, v0
	v_mov_b32_e32 v1, 0x7fc02000
	s_mov_b32 s18, exec_lo
	s_delay_alu instid0(VALU_DEP_2)
	v_cmpx_ne_u32_e32 0x7f, v2
	s_cbranch_execz .LBB373_329
; %bb.326:                              ;   in Loop: Header=BB373_11 Depth=1
	v_and_b32_e32 v8, 7, v0
	v_lshrrev_b32_e32 v1, 3, v2
	v_mov_b32_e32 v31, v9
	s_mov_b32 s19, exec_lo
	s_delay_alu instid0(VALU_DEP_3)
	v_mov_b32_e32 v30, v8
	v_cmpx_gt_u32_e32 8, v2
; %bb.327:                              ;   in Loop: Header=BB373_11 Depth=1
	v_clz_i32_u32_e32 v1, v8
	s_delay_alu instid0(VALU_DEP_1) | instskip(NEXT) | instid1(VALU_DEP_1)
	v_min_u32_e32 v1, 32, v1
	v_subrev_nc_u32_e32 v2, 28, v1
	v_sub_nc_u32_e32 v1, 29, v1
	s_delay_alu instid0(VALU_DEP_2) | instskip(NEXT) | instid1(VALU_DEP_1)
	v_lshlrev_b64 v[2:3], v2, v[8:9]
	v_and_b32_e32 v30, 7, v2
; %bb.328:                              ;   in Loop: Header=BB373_11 Depth=1
	s_or_b32 exec_lo, exec_lo, s19
	v_lshlrev_b32_e32 v0, 8, v0
	v_lshl_add_u32 v1, v1, 10, 0x2000
	s_delay_alu instid0(VALU_DEP_1) | instskip(NEXT) | instid1(VALU_DEP_1)
	v_and_or_b32 v0, 0x8000, v0, v1
	v_lshl_or_b32 v0, v30, 7, v0
	s_delay_alu instid0(VALU_DEP_1)
	v_cvt_f32_f16_e32 v1, v0
.LBB373_329:                            ;   in Loop: Header=BB373_11 Depth=1
	s_or_b32 exec_lo, exec_lo, s18
.LBB373_330:                            ;   in Loop: Header=BB373_11 Depth=1
	s_delay_alu instid0(SALU_CYCLE_1)
	s_or_b32 exec_lo, exec_lo, s17
	scratch_store_b32 off, v1, s32 offset:644 ; 4-byte Folded Spill
.LBB373_331:                            ;   in Loop: Header=BB373_11 Depth=1
	s_or_b32 exec_lo, exec_lo, s15
	flat_load_b64 v[30:31], v[28:29] offset:1032
	s_mov_b32 s15, exec_lo
	s_waitcnt vmcnt(0) lgkmcnt(0)
	v_and_b32_e32 v0, 0xff, v30
	s_delay_alu instid0(VALU_DEP_1)
	v_cmpx_ne_u16_e32 0, v0
	s_cbranch_execz .LBB373_339
; %bb.332:                              ;   in Loop: Header=BB373_11 Depth=1
	v_cmp_ne_u16_e64 s1, 0x80, v0
	v_bfrev_b32_e32 v0, 1
	scratch_store_b32 off, v0, s32 offset:448 ; 4-byte Folded Spill
	s_and_saveexec_b32 s17, s1
	s_cbranch_execz .LBB373_338
; %bb.333:                              ;   in Loop: Header=BB373_11 Depth=1
	v_and_b32_e32 v1, 0x7f, v30
	v_mov_b32_e32 v0, 0x7fc02000
	s_mov_b32 s18, exec_lo
	scratch_store_b32 off, v0, s32 offset:448 ; 4-byte Folded Spill
	v_cmpx_ne_u32_e32 0x7f, v1
	s_cbranch_execz .LBB373_337
; %bb.334:                              ;   in Loop: Header=BB373_11 Depth=1
	v_lshrrev_b32_e32 v0, 3, v1
	v_dual_mov_b32 v33, v31 :: v_dual_mov_b32 v32, v30
	s_mov_b32 s19, exec_lo
	v_cmpx_gt_u32_e32 8, v1
; %bb.335:                              ;   in Loop: Header=BB373_11 Depth=1
	v_and_b32_e32 v0, 7, v30
	s_delay_alu instid0(VALU_DEP_1) | instskip(NEXT) | instid1(VALU_DEP_1)
	v_clz_i32_u32_e32 v0, v0
	v_min_u32_e32 v0, 32, v0
	s_delay_alu instid0(VALU_DEP_1) | instskip(SKIP_1) | instid1(VALU_DEP_2)
	v_subrev_nc_u32_e32 v1, 28, v0
	v_sub_nc_u32_e32 v0, 29, v0
	v_lshlrev_b64 v[32:33], v1, v[30:31]
; %bb.336:                              ;   in Loop: Header=BB373_11 Depth=1
	s_or_b32 exec_lo, exec_lo, s19
	v_lshlrev_b32_e32 v1, 8, v30
	s_delay_alu instid0(VALU_DEP_3) | instskip(NEXT) | instid1(VALU_DEP_3)
	v_lshl_add_u32 v0, v0, 10, 0x2000
	v_lshlrev_b32_e32 v2, 7, v32
	s_delay_alu instid0(VALU_DEP_2) | instskip(NEXT) | instid1(VALU_DEP_1)
	v_and_or_b32 v0, 0x8000, v1, v0
	v_and_or_b32 v0, 0x380, v2, v0
	s_delay_alu instid0(VALU_DEP_1)
	v_cvt_f32_f16_e32 v0, v0
	scratch_store_b32 off, v0, s32 offset:448 ; 4-byte Folded Spill
.LBB373_337:                            ;   in Loop: Header=BB373_11 Depth=1
	s_or_b32 exec_lo, exec_lo, s18
.LBB373_338:                            ;   in Loop: Header=BB373_11 Depth=1
	s_delay_alu instid0(SALU_CYCLE_1)
	s_or_b32 exec_lo, exec_lo, s17
.LBB373_339:                            ;   in Loop: Header=BB373_11 Depth=1
	s_delay_alu instid0(SALU_CYCLE_1)
	s_or_b32 exec_lo, exec_lo, s15
	v_mov_b32_e32 v1, 0
	v_lshrrev_b16 v0, 8, v30
	s_mov_b32 s15, exec_lo
	scratch_store_b32 off, v1, s32 offset:452 ; 4-byte Folded Spill
	v_mov_b32_e32 v1, 0
	scratch_store_b32 off, v1, s32 offset:456 ; 4-byte Folded Spill
	v_cmpx_ne_u16_e32 0, v0
	s_cbranch_execz .LBB373_347
; %bb.340:                              ;   in Loop: Header=BB373_11 Depth=1
	v_bfrev_b32_e32 v1, 1
	s_mov_b32 s17, exec_lo
	scratch_store_b32 off, v1, s32 offset:456 ; 4-byte Folded Spill
	v_cmpx_ne_u16_e32 0x80, v0
	s_cbranch_execz .LBB373_346
; %bb.341:                              ;   in Loop: Header=BB373_11 Depth=1
	v_and_b32_e32 v0, 0xffff, v0
	v_mov_b32_e32 v1, 0x7fc02000
	s_mov_b32 s18, exec_lo
	s_delay_alu instid0(VALU_DEP_2)
	v_and_b32_e32 v2, 0x7f, v0
	scratch_store_b32 off, v1, s32 offset:456 ; 4-byte Folded Spill
	v_cmpx_ne_u32_e32 0x7f, v2
	s_cbranch_execz .LBB373_345
; %bb.342:                              ;   in Loop: Header=BB373_11 Depth=1
	v_and_b32_e32 v8, 7, v0
	v_lshrrev_b32_e32 v1, 3, v2
	v_mov_b32_e32 v33, v9
	s_mov_b32 s19, exec_lo
	s_delay_alu instid0(VALU_DEP_3)
	v_mov_b32_e32 v32, v8
	v_cmpx_gt_u32_e32 8, v2
; %bb.343:                              ;   in Loop: Header=BB373_11 Depth=1
	v_clz_i32_u32_e32 v1, v8
	s_delay_alu instid0(VALU_DEP_1) | instskip(NEXT) | instid1(VALU_DEP_1)
	v_min_u32_e32 v1, 32, v1
	v_subrev_nc_u32_e32 v2, 28, v1
	v_sub_nc_u32_e32 v1, 29, v1
	s_delay_alu instid0(VALU_DEP_2) | instskip(NEXT) | instid1(VALU_DEP_1)
	v_lshlrev_b64 v[2:3], v2, v[8:9]
	v_and_b32_e32 v32, 7, v2
; %bb.344:                              ;   in Loop: Header=BB373_11 Depth=1
	s_or_b32 exec_lo, exec_lo, s19
	v_lshlrev_b32_e32 v0, 8, v0
	v_lshl_add_u32 v1, v1, 10, 0x2000
	s_delay_alu instid0(VALU_DEP_1) | instskip(NEXT) | instid1(VALU_DEP_1)
	v_and_or_b32 v0, 0x8000, v0, v1
	v_lshl_or_b32 v0, v32, 7, v0
	s_delay_alu instid0(VALU_DEP_1)
	v_cvt_f32_f16_e32 v0, v0
	scratch_store_b32 off, v0, s32 offset:456 ; 4-byte Folded Spill
.LBB373_345:                            ;   in Loop: Header=BB373_11 Depth=1
	s_or_b32 exec_lo, exec_lo, s18
.LBB373_346:                            ;   in Loop: Header=BB373_11 Depth=1
	s_delay_alu instid0(SALU_CYCLE_1)
	s_or_b32 exec_lo, exec_lo, s17
.LBB373_347:                            ;   in Loop: Header=BB373_11 Depth=1
	s_delay_alu instid0(SALU_CYCLE_1) | instskip(SKIP_2) | instid1(VALU_DEP_1)
	s_or_b32 exec_lo, exec_lo, s15
	v_lshrrev_b32_e32 v0, 16, v30
	s_mov_b32 s15, exec_lo
	v_and_b32_e32 v1, 0xff, v0
	s_delay_alu instid0(VALU_DEP_1)
	v_cmpx_ne_u16_e32 0, v1
	s_cbranch_execz .LBB373_355
; %bb.348:                              ;   in Loop: Header=BB373_11 Depth=1
	v_cmp_ne_u16_e64 s1, 0x80, v1
	v_bfrev_b32_e32 v1, 1
	scratch_store_b32 off, v1, s32 offset:452 ; 4-byte Folded Spill
	s_and_saveexec_b32 s17, s1
	s_cbranch_execz .LBB373_354
; %bb.349:                              ;   in Loop: Header=BB373_11 Depth=1
	v_bfe_u32 v2, v30, 16, 7
	v_mov_b32_e32 v1, 0x7fc02000
	s_mov_b32 s18, exec_lo
	scratch_store_b32 off, v1, s32 offset:452 ; 4-byte Folded Spill
	v_cmpx_ne_u32_e32 0x7f, v2
	s_cbranch_execz .LBB373_353
; %bb.350:                              ;   in Loop: Header=BB373_11 Depth=1
	v_and_b32_e32 v8, 7, v0
	v_lshrrev_b32_e32 v1, 3, v2
	v_mov_b32_e32 v33, v9
	s_mov_b32 s19, exec_lo
	s_delay_alu instid0(VALU_DEP_3)
	v_mov_b32_e32 v32, v8
	v_cmpx_gt_u32_e32 8, v2
; %bb.351:                              ;   in Loop: Header=BB373_11 Depth=1
	v_clz_i32_u32_e32 v1, v8
	s_delay_alu instid0(VALU_DEP_1) | instskip(NEXT) | instid1(VALU_DEP_1)
	v_min_u32_e32 v1, 32, v1
	v_subrev_nc_u32_e32 v2, 28, v1
	v_sub_nc_u32_e32 v1, 29, v1
	s_delay_alu instid0(VALU_DEP_2) | instskip(NEXT) | instid1(VALU_DEP_1)
	v_lshlrev_b64 v[2:3], v2, v[8:9]
	v_and_b32_e32 v32, 7, v2
; %bb.352:                              ;   in Loop: Header=BB373_11 Depth=1
	s_or_b32 exec_lo, exec_lo, s19
	v_lshlrev_b32_e32 v0, 8, v0
	v_lshl_add_u32 v1, v1, 10, 0x2000
	s_delay_alu instid0(VALU_DEP_1) | instskip(NEXT) | instid1(VALU_DEP_1)
	v_and_or_b32 v0, 0x8000, v0, v1
	v_lshl_or_b32 v0, v32, 7, v0
	s_delay_alu instid0(VALU_DEP_1)
	v_cvt_f32_f16_e32 v0, v0
	scratch_store_b32 off, v0, s32 offset:452 ; 4-byte Folded Spill
.LBB373_353:                            ;   in Loop: Header=BB373_11 Depth=1
	s_or_b32 exec_lo, exec_lo, s18
.LBB373_354:                            ;   in Loop: Header=BB373_11 Depth=1
	s_delay_alu instid0(SALU_CYCLE_1)
	s_or_b32 exec_lo, exec_lo, s17
.LBB373_355:                            ;   in Loop: Header=BB373_11 Depth=1
	s_delay_alu instid0(SALU_CYCLE_1)
	s_or_b32 exec_lo, exec_lo, s15
	v_mov_b32_e32 v0, 0
	s_mov_b32 s15, exec_lo
	scratch_store_b32 off, v0, s32 offset:460 ; 4-byte Folded Spill
	v_mov_b32_e32 v0, 0
	scratch_store_b32 off, v0, s32 offset:464 ; 4-byte Folded Spill
	v_cmpx_lt_u32_e32 0xffffff, v30
	s_cbranch_execz .LBB373_363
; %bb.356:                              ;   in Loop: Header=BB373_11 Depth=1
	v_lshrrev_b32_e32 v0, 24, v30
	v_bfrev_b32_e32 v1, 1
	s_mov_b32 s17, exec_lo
	scratch_store_b32 off, v1, s32 offset:464 ; 4-byte Folded Spill
	v_cmpx_ne_u32_e32 0x80, v0
	s_cbranch_execz .LBB373_362
; %bb.357:                              ;   in Loop: Header=BB373_11 Depth=1
	v_and_b32_e32 v2, 0x7f, v0
	v_mov_b32_e32 v1, 0x7fc02000
	s_mov_b32 s18, exec_lo
	scratch_store_b32 off, v1, s32 offset:464 ; 4-byte Folded Spill
	v_cmpx_ne_u32_e32 0x7f, v2
	s_cbranch_execz .LBB373_361
; %bb.358:                              ;   in Loop: Header=BB373_11 Depth=1
	v_and_b32_e32 v8, 7, v0
	v_lshrrev_b32_e32 v1, 3, v2
	v_mov_b32_e32 v33, v9
	s_mov_b32 s19, exec_lo
	s_delay_alu instid0(VALU_DEP_3)
	v_mov_b32_e32 v32, v8
	v_cmpx_gt_u32_e32 8, v2
; %bb.359:                              ;   in Loop: Header=BB373_11 Depth=1
	v_clz_i32_u32_e32 v1, v8
	s_delay_alu instid0(VALU_DEP_1) | instskip(NEXT) | instid1(VALU_DEP_1)
	v_min_u32_e32 v1, 32, v1
	v_subrev_nc_u32_e32 v2, 28, v1
	v_sub_nc_u32_e32 v1, 29, v1
	s_delay_alu instid0(VALU_DEP_2) | instskip(NEXT) | instid1(VALU_DEP_1)
	v_lshlrev_b64 v[2:3], v2, v[8:9]
	v_and_b32_e32 v32, 7, v2
; %bb.360:                              ;   in Loop: Header=BB373_11 Depth=1
	s_or_b32 exec_lo, exec_lo, s19
	v_lshlrev_b32_e32 v0, 8, v0
	v_lshl_add_u32 v1, v1, 10, 0x2000
	s_delay_alu instid0(VALU_DEP_1) | instskip(NEXT) | instid1(VALU_DEP_1)
	v_and_or_b32 v0, 0x8000, v0, v1
	v_lshl_or_b32 v0, v32, 7, v0
	s_delay_alu instid0(VALU_DEP_1)
	v_cvt_f32_f16_e32 v0, v0
	scratch_store_b32 off, v0, s32 offset:464 ; 4-byte Folded Spill
.LBB373_361:                            ;   in Loop: Header=BB373_11 Depth=1
	s_or_b32 exec_lo, exec_lo, s18
.LBB373_362:                            ;   in Loop: Header=BB373_11 Depth=1
	s_delay_alu instid0(SALU_CYCLE_1)
	s_or_b32 exec_lo, exec_lo, s17
.LBB373_363:                            ;   in Loop: Header=BB373_11 Depth=1
	s_delay_alu instid0(SALU_CYCLE_1) | instskip(SKIP_3) | instid1(VALU_DEP_2)
	s_or_b32 exec_lo, exec_lo, s15
	v_and_b32_e32 v0, 0xff, v31
	v_mov_b32_e32 v8, v31
	s_mov_b32 s15, exec_lo
	v_cmpx_ne_u16_e32 0, v0
	s_cbranch_execz .LBB373_371
; %bb.364:                              ;   in Loop: Header=BB373_11 Depth=1
	v_cmp_ne_u16_e64 s1, 0x80, v0
	v_bfrev_b32_e32 v0, 1
	scratch_store_b32 off, v0, s32 offset:460 ; 4-byte Folded Spill
	s_and_saveexec_b32 s17, s1
	s_cbranch_execz .LBB373_370
; %bb.365:                              ;   in Loop: Header=BB373_11 Depth=1
	v_and_b32_e32 v1, 0x7f, v31
	v_mov_b32_e32 v0, 0x7fc02000
	s_mov_b32 s18, exec_lo
	scratch_store_b32 off, v0, s32 offset:460 ; 4-byte Folded Spill
	v_cmpx_ne_u32_e32 0x7f, v1
	s_cbranch_execz .LBB373_369
; %bb.366:                              ;   in Loop: Header=BB373_11 Depth=1
	v_lshrrev_b32_e32 v0, 3, v1
	v_dual_mov_b32 v33, v9 :: v_dual_mov_b32 v32, v8
	s_mov_b32 s19, exec_lo
	v_cmpx_gt_u32_e32 8, v1
; %bb.367:                              ;   in Loop: Header=BB373_11 Depth=1
	v_and_b32_e32 v0, 7, v31
	s_delay_alu instid0(VALU_DEP_1) | instskip(NEXT) | instid1(VALU_DEP_1)
	v_clz_i32_u32_e32 v0, v0
	v_min_u32_e32 v0, 32, v0
	s_delay_alu instid0(VALU_DEP_1) | instskip(SKIP_1) | instid1(VALU_DEP_2)
	v_subrev_nc_u32_e32 v1, 28, v0
	v_sub_nc_u32_e32 v0, 29, v0
	v_lshlrev_b64 v[32:33], v1, v[8:9]
; %bb.368:                              ;   in Loop: Header=BB373_11 Depth=1
	s_or_b32 exec_lo, exec_lo, s19
	v_lshlrev_b32_e32 v1, 8, v31
	s_delay_alu instid0(VALU_DEP_3) | instskip(NEXT) | instid1(VALU_DEP_3)
	v_lshl_add_u32 v0, v0, 10, 0x2000
	v_lshlrev_b32_e32 v2, 7, v32
	s_delay_alu instid0(VALU_DEP_2) | instskip(NEXT) | instid1(VALU_DEP_1)
	v_and_or_b32 v0, 0x8000, v1, v0
	v_and_or_b32 v0, 0x380, v2, v0
	s_delay_alu instid0(VALU_DEP_1)
	v_cvt_f32_f16_e32 v0, v0
	scratch_store_b32 off, v0, s32 offset:460 ; 4-byte Folded Spill
.LBB373_369:                            ;   in Loop: Header=BB373_11 Depth=1
	s_or_b32 exec_lo, exec_lo, s18
.LBB373_370:                            ;   in Loop: Header=BB373_11 Depth=1
	s_delay_alu instid0(SALU_CYCLE_1)
	s_or_b32 exec_lo, exec_lo, s17
.LBB373_371:                            ;   in Loop: Header=BB373_11 Depth=1
	s_delay_alu instid0(SALU_CYCLE_1)
	s_or_b32 exec_lo, exec_lo, s15
	v_mov_b32_e32 v1, 0
	v_lshrrev_b16 v0, 8, v8
	s_mov_b32 s15, exec_lo
	scratch_store_b32 off, v1, s32 offset:468 ; 4-byte Folded Spill
	v_mov_b32_e32 v1, 0
	scratch_store_b32 off, v1, s32 offset:472 ; 4-byte Folded Spill
	v_cmpx_ne_u16_e32 0, v0
	s_cbranch_execz .LBB373_379
; %bb.372:                              ;   in Loop: Header=BB373_11 Depth=1
	v_bfrev_b32_e32 v1, 1
	s_mov_b32 s17, exec_lo
	scratch_store_b32 off, v1, s32 offset:472 ; 4-byte Folded Spill
	v_cmpx_ne_u16_e32 0x80, v0
	s_cbranch_execz .LBB373_378
; %bb.373:                              ;   in Loop: Header=BB373_11 Depth=1
	v_and_b32_e32 v0, 0xffff, v0
	v_mov_b32_e32 v1, 0x7fc02000
	s_mov_b32 s18, exec_lo
	s_delay_alu instid0(VALU_DEP_2)
	v_and_b32_e32 v2, 0x7f, v0
	scratch_store_b32 off, v1, s32 offset:472 ; 4-byte Folded Spill
	v_cmpx_ne_u32_e32 0x7f, v2
	s_cbranch_execz .LBB373_377
; %bb.374:                              ;   in Loop: Header=BB373_11 Depth=1
	v_and_b32_e32 v8, 7, v0
	v_lshrrev_b32_e32 v1, 3, v2
	v_mov_b32_e32 v33, v9
	s_mov_b32 s19, exec_lo
	s_delay_alu instid0(VALU_DEP_3)
	v_mov_b32_e32 v32, v8
	v_cmpx_gt_u32_e32 8, v2
; %bb.375:                              ;   in Loop: Header=BB373_11 Depth=1
	v_clz_i32_u32_e32 v1, v8
	s_delay_alu instid0(VALU_DEP_1) | instskip(NEXT) | instid1(VALU_DEP_1)
	v_min_u32_e32 v1, 32, v1
	v_subrev_nc_u32_e32 v2, 28, v1
	v_sub_nc_u32_e32 v1, 29, v1
	s_delay_alu instid0(VALU_DEP_2) | instskip(NEXT) | instid1(VALU_DEP_1)
	v_lshlrev_b64 v[2:3], v2, v[8:9]
	v_and_b32_e32 v32, 7, v2
; %bb.376:                              ;   in Loop: Header=BB373_11 Depth=1
	s_or_b32 exec_lo, exec_lo, s19
	v_lshlrev_b32_e32 v0, 8, v0
	v_lshl_add_u32 v1, v1, 10, 0x2000
	s_delay_alu instid0(VALU_DEP_1) | instskip(NEXT) | instid1(VALU_DEP_1)
	v_and_or_b32 v0, 0x8000, v0, v1
	v_lshl_or_b32 v0, v32, 7, v0
	s_delay_alu instid0(VALU_DEP_1)
	v_cvt_f32_f16_e32 v0, v0
	scratch_store_b32 off, v0, s32 offset:472 ; 4-byte Folded Spill
.LBB373_377:                            ;   in Loop: Header=BB373_11 Depth=1
	s_or_b32 exec_lo, exec_lo, s18
.LBB373_378:                            ;   in Loop: Header=BB373_11 Depth=1
	s_delay_alu instid0(SALU_CYCLE_1)
	s_or_b32 exec_lo, exec_lo, s17
.LBB373_379:                            ;   in Loop: Header=BB373_11 Depth=1
	s_delay_alu instid0(SALU_CYCLE_1) | instskip(SKIP_2) | instid1(VALU_DEP_1)
	s_or_b32 exec_lo, exec_lo, s15
	v_lshrrev_b32_e32 v0, 16, v31
	s_mov_b32 s15, exec_lo
	v_and_b32_e32 v1, 0xff, v0
	s_delay_alu instid0(VALU_DEP_1)
	v_cmpx_ne_u16_e32 0, v1
	s_cbranch_execz .LBB373_387
; %bb.380:                              ;   in Loop: Header=BB373_11 Depth=1
	v_cmp_ne_u16_e64 s1, 0x80, v1
	v_bfrev_b32_e32 v1, 1
	scratch_store_b32 off, v1, s32 offset:468 ; 4-byte Folded Spill
	s_and_saveexec_b32 s17, s1
	s_cbranch_execz .LBB373_386
; %bb.381:                              ;   in Loop: Header=BB373_11 Depth=1
	v_bfe_u32 v2, v31, 16, 7
	v_mov_b32_e32 v1, 0x7fc02000
	s_mov_b32 s18, exec_lo
	scratch_store_b32 off, v1, s32 offset:468 ; 4-byte Folded Spill
	v_cmpx_ne_u32_e32 0x7f, v2
	s_cbranch_execz .LBB373_385
; %bb.382:                              ;   in Loop: Header=BB373_11 Depth=1
	v_and_b32_e32 v8, 7, v0
	v_lshrrev_b32_e32 v1, 3, v2
	v_mov_b32_e32 v33, v9
	s_mov_b32 s19, exec_lo
	s_delay_alu instid0(VALU_DEP_3)
	v_mov_b32_e32 v32, v8
	v_cmpx_gt_u32_e32 8, v2
; %bb.383:                              ;   in Loop: Header=BB373_11 Depth=1
	v_clz_i32_u32_e32 v1, v8
	s_delay_alu instid0(VALU_DEP_1) | instskip(NEXT) | instid1(VALU_DEP_1)
	v_min_u32_e32 v1, 32, v1
	v_subrev_nc_u32_e32 v2, 28, v1
	v_sub_nc_u32_e32 v1, 29, v1
	s_delay_alu instid0(VALU_DEP_2) | instskip(NEXT) | instid1(VALU_DEP_1)
	v_lshlrev_b64 v[2:3], v2, v[8:9]
	v_and_b32_e32 v32, 7, v2
; %bb.384:                              ;   in Loop: Header=BB373_11 Depth=1
	s_or_b32 exec_lo, exec_lo, s19
	v_lshlrev_b32_e32 v0, 8, v0
	v_lshl_add_u32 v1, v1, 10, 0x2000
	s_delay_alu instid0(VALU_DEP_1) | instskip(NEXT) | instid1(VALU_DEP_1)
	v_and_or_b32 v0, 0x8000, v0, v1
	v_lshl_or_b32 v0, v32, 7, v0
	s_delay_alu instid0(VALU_DEP_1)
	v_cvt_f32_f16_e32 v0, v0
	scratch_store_b32 off, v0, s32 offset:468 ; 4-byte Folded Spill
.LBB373_385:                            ;   in Loop: Header=BB373_11 Depth=1
	s_or_b32 exec_lo, exec_lo, s18
.LBB373_386:                            ;   in Loop: Header=BB373_11 Depth=1
	s_delay_alu instid0(SALU_CYCLE_1)
	s_or_b32 exec_lo, exec_lo, s17
.LBB373_387:                            ;   in Loop: Header=BB373_11 Depth=1
	s_delay_alu instid0(SALU_CYCLE_1)
	s_or_b32 exec_lo, exec_lo, s15
	v_mov_b32_e32 v0, 0
	s_mov_b32 s15, exec_lo
	scratch_store_b32 off, v0, s32 offset:476 ; 4-byte Folded Spill
	v_mov_b32_e32 v0, 0
	scratch_store_b32 off, v0, s32 offset:648 ; 4-byte Folded Spill
	v_cmpx_lt_u64_e64 s[2:3], v[30:31]
	s_cbranch_execz .LBB373_395
; %bb.388:                              ;   in Loop: Header=BB373_11 Depth=1
	v_lshrrev_b32_e32 v0, 24, v31
	v_bfrev_b32_e32 v1, 1
	s_mov_b32 s17, exec_lo
	s_delay_alu instid0(VALU_DEP_2)
	v_cmpx_ne_u32_e32 0x80, v0
	s_cbranch_execz .LBB373_394
; %bb.389:                              ;   in Loop: Header=BB373_11 Depth=1
	v_and_b32_e32 v2, 0x7f, v0
	v_mov_b32_e32 v1, 0x7fc02000
	s_mov_b32 s18, exec_lo
	s_delay_alu instid0(VALU_DEP_2)
	v_cmpx_ne_u32_e32 0x7f, v2
	s_cbranch_execz .LBB373_393
; %bb.390:                              ;   in Loop: Header=BB373_11 Depth=1
	v_and_b32_e32 v8, 7, v0
	v_lshrrev_b32_e32 v1, 3, v2
	v_mov_b32_e32 v31, v9
	s_mov_b32 s19, exec_lo
	s_delay_alu instid0(VALU_DEP_3)
	v_mov_b32_e32 v30, v8
	v_cmpx_gt_u32_e32 8, v2
; %bb.391:                              ;   in Loop: Header=BB373_11 Depth=1
	v_clz_i32_u32_e32 v1, v8
	s_delay_alu instid0(VALU_DEP_1) | instskip(NEXT) | instid1(VALU_DEP_1)
	v_min_u32_e32 v1, 32, v1
	v_subrev_nc_u32_e32 v2, 28, v1
	v_sub_nc_u32_e32 v1, 29, v1
	s_delay_alu instid0(VALU_DEP_2) | instskip(NEXT) | instid1(VALU_DEP_1)
	v_lshlrev_b64 v[2:3], v2, v[8:9]
	v_and_b32_e32 v30, 7, v2
; %bb.392:                              ;   in Loop: Header=BB373_11 Depth=1
	s_or_b32 exec_lo, exec_lo, s19
	v_lshlrev_b32_e32 v0, 8, v0
	v_lshl_add_u32 v1, v1, 10, 0x2000
	s_delay_alu instid0(VALU_DEP_1) | instskip(NEXT) | instid1(VALU_DEP_1)
	v_and_or_b32 v0, 0x8000, v0, v1
	v_lshl_or_b32 v0, v30, 7, v0
	s_delay_alu instid0(VALU_DEP_1)
	v_cvt_f32_f16_e32 v1, v0
.LBB373_393:                            ;   in Loop: Header=BB373_11 Depth=1
	s_or_b32 exec_lo, exec_lo, s18
.LBB373_394:                            ;   in Loop: Header=BB373_11 Depth=1
	s_delay_alu instid0(SALU_CYCLE_1)
	s_or_b32 exec_lo, exec_lo, s17
	scratch_store_b32 off, v1, s32 offset:648 ; 4-byte Folded Spill
.LBB373_395:                            ;   in Loop: Header=BB373_11 Depth=1
	s_or_b32 exec_lo, exec_lo, s15
	flat_load_b64 v[30:31], v[28:29] offset:1536
	s_mov_b32 s15, exec_lo
	s_waitcnt vmcnt(0) lgkmcnt(0)
	v_and_b32_e32 v0, 0xff, v30
	s_delay_alu instid0(VALU_DEP_1)
	v_cmpx_ne_u16_e32 0, v0
	s_cbranch_execz .LBB373_403
; %bb.396:                              ;   in Loop: Header=BB373_11 Depth=1
	v_cmp_ne_u16_e64 s1, 0x80, v0
	v_bfrev_b32_e32 v0, 1
	scratch_store_b32 off, v0, s32 offset:476 ; 4-byte Folded Spill
	s_and_saveexec_b32 s17, s1
	s_cbranch_execz .LBB373_402
; %bb.397:                              ;   in Loop: Header=BB373_11 Depth=1
	v_and_b32_e32 v1, 0x7f, v30
	v_mov_b32_e32 v0, 0x7fc02000
	s_mov_b32 s18, exec_lo
	scratch_store_b32 off, v0, s32 offset:476 ; 4-byte Folded Spill
	v_cmpx_ne_u32_e32 0x7f, v1
	s_cbranch_execz .LBB373_401
; %bb.398:                              ;   in Loop: Header=BB373_11 Depth=1
	v_lshrrev_b32_e32 v0, 3, v1
	v_dual_mov_b32 v33, v31 :: v_dual_mov_b32 v32, v30
	s_mov_b32 s19, exec_lo
	v_cmpx_gt_u32_e32 8, v1
; %bb.399:                              ;   in Loop: Header=BB373_11 Depth=1
	v_and_b32_e32 v0, 7, v30
	s_delay_alu instid0(VALU_DEP_1) | instskip(NEXT) | instid1(VALU_DEP_1)
	v_clz_i32_u32_e32 v0, v0
	v_min_u32_e32 v0, 32, v0
	s_delay_alu instid0(VALU_DEP_1) | instskip(SKIP_1) | instid1(VALU_DEP_2)
	v_subrev_nc_u32_e32 v1, 28, v0
	v_sub_nc_u32_e32 v0, 29, v0
	v_lshlrev_b64 v[32:33], v1, v[30:31]
; %bb.400:                              ;   in Loop: Header=BB373_11 Depth=1
	s_or_b32 exec_lo, exec_lo, s19
	v_lshlrev_b32_e32 v1, 8, v30
	s_delay_alu instid0(VALU_DEP_3) | instskip(NEXT) | instid1(VALU_DEP_3)
	v_lshl_add_u32 v0, v0, 10, 0x2000
	v_lshlrev_b32_e32 v2, 7, v32
	s_delay_alu instid0(VALU_DEP_2) | instskip(NEXT) | instid1(VALU_DEP_1)
	v_and_or_b32 v0, 0x8000, v1, v0
	v_and_or_b32 v0, 0x380, v2, v0
	s_delay_alu instid0(VALU_DEP_1)
	v_cvt_f32_f16_e32 v0, v0
	scratch_store_b32 off, v0, s32 offset:476 ; 4-byte Folded Spill
.LBB373_401:                            ;   in Loop: Header=BB373_11 Depth=1
	s_or_b32 exec_lo, exec_lo, s18
.LBB373_402:                            ;   in Loop: Header=BB373_11 Depth=1
	s_delay_alu instid0(SALU_CYCLE_1)
	s_or_b32 exec_lo, exec_lo, s17
.LBB373_403:                            ;   in Loop: Header=BB373_11 Depth=1
	s_delay_alu instid0(SALU_CYCLE_1)
	s_or_b32 exec_lo, exec_lo, s15
	v_mov_b32_e32 v1, 0
	v_lshrrev_b16 v0, 8, v30
	s_mov_b32 s15, exec_lo
	scratch_store_b32 off, v1, s32 offset:480 ; 4-byte Folded Spill
	v_mov_b32_e32 v1, 0
	scratch_store_b32 off, v1, s32 offset:484 ; 4-byte Folded Spill
	v_cmpx_ne_u16_e32 0, v0
	s_cbranch_execz .LBB373_411
; %bb.404:                              ;   in Loop: Header=BB373_11 Depth=1
	v_bfrev_b32_e32 v1, 1
	s_mov_b32 s17, exec_lo
	scratch_store_b32 off, v1, s32 offset:484 ; 4-byte Folded Spill
	v_cmpx_ne_u16_e32 0x80, v0
	s_cbranch_execz .LBB373_410
; %bb.405:                              ;   in Loop: Header=BB373_11 Depth=1
	v_and_b32_e32 v0, 0xffff, v0
	v_mov_b32_e32 v1, 0x7fc02000
	s_mov_b32 s18, exec_lo
	s_delay_alu instid0(VALU_DEP_2)
	v_and_b32_e32 v2, 0x7f, v0
	scratch_store_b32 off, v1, s32 offset:484 ; 4-byte Folded Spill
	v_cmpx_ne_u32_e32 0x7f, v2
	s_cbranch_execz .LBB373_409
; %bb.406:                              ;   in Loop: Header=BB373_11 Depth=1
	v_and_b32_e32 v8, 7, v0
	v_lshrrev_b32_e32 v1, 3, v2
	v_mov_b32_e32 v33, v9
	s_mov_b32 s19, exec_lo
	s_delay_alu instid0(VALU_DEP_3)
	v_mov_b32_e32 v32, v8
	v_cmpx_gt_u32_e32 8, v2
; %bb.407:                              ;   in Loop: Header=BB373_11 Depth=1
	v_clz_i32_u32_e32 v1, v8
	s_delay_alu instid0(VALU_DEP_1) | instskip(NEXT) | instid1(VALU_DEP_1)
	v_min_u32_e32 v1, 32, v1
	v_subrev_nc_u32_e32 v2, 28, v1
	v_sub_nc_u32_e32 v1, 29, v1
	s_delay_alu instid0(VALU_DEP_2) | instskip(NEXT) | instid1(VALU_DEP_1)
	v_lshlrev_b64 v[2:3], v2, v[8:9]
	v_and_b32_e32 v32, 7, v2
; %bb.408:                              ;   in Loop: Header=BB373_11 Depth=1
	s_or_b32 exec_lo, exec_lo, s19
	v_lshlrev_b32_e32 v0, 8, v0
	v_lshl_add_u32 v1, v1, 10, 0x2000
	s_delay_alu instid0(VALU_DEP_1) | instskip(NEXT) | instid1(VALU_DEP_1)
	v_and_or_b32 v0, 0x8000, v0, v1
	v_lshl_or_b32 v0, v32, 7, v0
	s_delay_alu instid0(VALU_DEP_1)
	v_cvt_f32_f16_e32 v0, v0
	scratch_store_b32 off, v0, s32 offset:484 ; 4-byte Folded Spill
.LBB373_409:                            ;   in Loop: Header=BB373_11 Depth=1
	s_or_b32 exec_lo, exec_lo, s18
.LBB373_410:                            ;   in Loop: Header=BB373_11 Depth=1
	s_delay_alu instid0(SALU_CYCLE_1)
	s_or_b32 exec_lo, exec_lo, s17
.LBB373_411:                            ;   in Loop: Header=BB373_11 Depth=1
	s_delay_alu instid0(SALU_CYCLE_1) | instskip(SKIP_2) | instid1(VALU_DEP_1)
	s_or_b32 exec_lo, exec_lo, s15
	v_lshrrev_b32_e32 v0, 16, v30
	s_mov_b32 s15, exec_lo
	v_and_b32_e32 v1, 0xff, v0
	s_delay_alu instid0(VALU_DEP_1)
	v_cmpx_ne_u16_e32 0, v1
	s_cbranch_execz .LBB373_419
; %bb.412:                              ;   in Loop: Header=BB373_11 Depth=1
	v_cmp_ne_u16_e64 s1, 0x80, v1
	v_bfrev_b32_e32 v1, 1
	scratch_store_b32 off, v1, s32 offset:480 ; 4-byte Folded Spill
	s_and_saveexec_b32 s17, s1
	s_cbranch_execz .LBB373_418
; %bb.413:                              ;   in Loop: Header=BB373_11 Depth=1
	v_bfe_u32 v2, v30, 16, 7
	v_mov_b32_e32 v1, 0x7fc02000
	s_mov_b32 s18, exec_lo
	scratch_store_b32 off, v1, s32 offset:480 ; 4-byte Folded Spill
	v_cmpx_ne_u32_e32 0x7f, v2
	s_cbranch_execz .LBB373_417
; %bb.414:                              ;   in Loop: Header=BB373_11 Depth=1
	v_and_b32_e32 v8, 7, v0
	v_lshrrev_b32_e32 v1, 3, v2
	v_mov_b32_e32 v33, v9
	s_mov_b32 s19, exec_lo
	s_delay_alu instid0(VALU_DEP_3)
	v_mov_b32_e32 v32, v8
	v_cmpx_gt_u32_e32 8, v2
; %bb.415:                              ;   in Loop: Header=BB373_11 Depth=1
	v_clz_i32_u32_e32 v1, v8
	s_delay_alu instid0(VALU_DEP_1) | instskip(NEXT) | instid1(VALU_DEP_1)
	v_min_u32_e32 v1, 32, v1
	v_subrev_nc_u32_e32 v2, 28, v1
	v_sub_nc_u32_e32 v1, 29, v1
	s_delay_alu instid0(VALU_DEP_2) | instskip(NEXT) | instid1(VALU_DEP_1)
	v_lshlrev_b64 v[2:3], v2, v[8:9]
	v_and_b32_e32 v32, 7, v2
; %bb.416:                              ;   in Loop: Header=BB373_11 Depth=1
	s_or_b32 exec_lo, exec_lo, s19
	v_lshlrev_b32_e32 v0, 8, v0
	v_lshl_add_u32 v1, v1, 10, 0x2000
	s_delay_alu instid0(VALU_DEP_1) | instskip(NEXT) | instid1(VALU_DEP_1)
	v_and_or_b32 v0, 0x8000, v0, v1
	v_lshl_or_b32 v0, v32, 7, v0
	s_delay_alu instid0(VALU_DEP_1)
	v_cvt_f32_f16_e32 v0, v0
	scratch_store_b32 off, v0, s32 offset:480 ; 4-byte Folded Spill
.LBB373_417:                            ;   in Loop: Header=BB373_11 Depth=1
	s_or_b32 exec_lo, exec_lo, s18
.LBB373_418:                            ;   in Loop: Header=BB373_11 Depth=1
	s_delay_alu instid0(SALU_CYCLE_1)
	s_or_b32 exec_lo, exec_lo, s17
.LBB373_419:                            ;   in Loop: Header=BB373_11 Depth=1
	s_delay_alu instid0(SALU_CYCLE_1)
	s_or_b32 exec_lo, exec_lo, s15
	v_mov_b32_e32 v0, 0
	s_mov_b32 s15, exec_lo
	scratch_store_b32 off, v0, s32 offset:488 ; 4-byte Folded Spill
	v_mov_b32_e32 v0, 0
	scratch_store_b32 off, v0, s32 offset:492 ; 4-byte Folded Spill
	v_cmpx_lt_u32_e32 0xffffff, v30
	s_cbranch_execz .LBB373_427
; %bb.420:                              ;   in Loop: Header=BB373_11 Depth=1
	v_lshrrev_b32_e32 v0, 24, v30
	v_bfrev_b32_e32 v1, 1
	s_mov_b32 s17, exec_lo
	scratch_store_b32 off, v1, s32 offset:492 ; 4-byte Folded Spill
	v_cmpx_ne_u32_e32 0x80, v0
	s_cbranch_execz .LBB373_426
; %bb.421:                              ;   in Loop: Header=BB373_11 Depth=1
	v_and_b32_e32 v2, 0x7f, v0
	v_mov_b32_e32 v1, 0x7fc02000
	s_mov_b32 s18, exec_lo
	scratch_store_b32 off, v1, s32 offset:492 ; 4-byte Folded Spill
	v_cmpx_ne_u32_e32 0x7f, v2
	s_cbranch_execz .LBB373_425
; %bb.422:                              ;   in Loop: Header=BB373_11 Depth=1
	v_and_b32_e32 v8, 7, v0
	v_lshrrev_b32_e32 v1, 3, v2
	v_mov_b32_e32 v33, v9
	s_mov_b32 s19, exec_lo
	s_delay_alu instid0(VALU_DEP_3)
	v_mov_b32_e32 v32, v8
	v_cmpx_gt_u32_e32 8, v2
; %bb.423:                              ;   in Loop: Header=BB373_11 Depth=1
	v_clz_i32_u32_e32 v1, v8
	s_delay_alu instid0(VALU_DEP_1) | instskip(NEXT) | instid1(VALU_DEP_1)
	v_min_u32_e32 v1, 32, v1
	v_subrev_nc_u32_e32 v2, 28, v1
	v_sub_nc_u32_e32 v1, 29, v1
	s_delay_alu instid0(VALU_DEP_2) | instskip(NEXT) | instid1(VALU_DEP_1)
	v_lshlrev_b64 v[2:3], v2, v[8:9]
	v_and_b32_e32 v32, 7, v2
; %bb.424:                              ;   in Loop: Header=BB373_11 Depth=1
	s_or_b32 exec_lo, exec_lo, s19
	v_lshlrev_b32_e32 v0, 8, v0
	v_lshl_add_u32 v1, v1, 10, 0x2000
	s_delay_alu instid0(VALU_DEP_1) | instskip(NEXT) | instid1(VALU_DEP_1)
	v_and_or_b32 v0, 0x8000, v0, v1
	v_lshl_or_b32 v0, v32, 7, v0
	s_delay_alu instid0(VALU_DEP_1)
	v_cvt_f32_f16_e32 v0, v0
	scratch_store_b32 off, v0, s32 offset:492 ; 4-byte Folded Spill
.LBB373_425:                            ;   in Loop: Header=BB373_11 Depth=1
	s_or_b32 exec_lo, exec_lo, s18
.LBB373_426:                            ;   in Loop: Header=BB373_11 Depth=1
	s_delay_alu instid0(SALU_CYCLE_1)
	s_or_b32 exec_lo, exec_lo, s17
.LBB373_427:                            ;   in Loop: Header=BB373_11 Depth=1
	s_delay_alu instid0(SALU_CYCLE_1) | instskip(SKIP_3) | instid1(VALU_DEP_2)
	s_or_b32 exec_lo, exec_lo, s15
	v_and_b32_e32 v0, 0xff, v31
	v_mov_b32_e32 v8, v31
	s_mov_b32 s15, exec_lo
	v_cmpx_ne_u16_e32 0, v0
	s_cbranch_execz .LBB373_435
; %bb.428:                              ;   in Loop: Header=BB373_11 Depth=1
	v_cmp_ne_u16_e64 s1, 0x80, v0
	v_bfrev_b32_e32 v0, 1
	scratch_store_b32 off, v0, s32 offset:488 ; 4-byte Folded Spill
	s_and_saveexec_b32 s17, s1
	s_cbranch_execz .LBB373_434
; %bb.429:                              ;   in Loop: Header=BB373_11 Depth=1
	v_and_b32_e32 v1, 0x7f, v31
	v_mov_b32_e32 v0, 0x7fc02000
	s_mov_b32 s18, exec_lo
	scratch_store_b32 off, v0, s32 offset:488 ; 4-byte Folded Spill
	v_cmpx_ne_u32_e32 0x7f, v1
	s_cbranch_execz .LBB373_433
; %bb.430:                              ;   in Loop: Header=BB373_11 Depth=1
	v_lshrrev_b32_e32 v0, 3, v1
	v_dual_mov_b32 v33, v9 :: v_dual_mov_b32 v32, v8
	s_mov_b32 s19, exec_lo
	v_cmpx_gt_u32_e32 8, v1
; %bb.431:                              ;   in Loop: Header=BB373_11 Depth=1
	v_and_b32_e32 v0, 7, v31
	s_delay_alu instid0(VALU_DEP_1) | instskip(NEXT) | instid1(VALU_DEP_1)
	v_clz_i32_u32_e32 v0, v0
	v_min_u32_e32 v0, 32, v0
	s_delay_alu instid0(VALU_DEP_1) | instskip(SKIP_1) | instid1(VALU_DEP_2)
	v_subrev_nc_u32_e32 v1, 28, v0
	v_sub_nc_u32_e32 v0, 29, v0
	v_lshlrev_b64 v[32:33], v1, v[8:9]
; %bb.432:                              ;   in Loop: Header=BB373_11 Depth=1
	s_or_b32 exec_lo, exec_lo, s19
	v_lshlrev_b32_e32 v1, 8, v31
	s_delay_alu instid0(VALU_DEP_3) | instskip(NEXT) | instid1(VALU_DEP_3)
	v_lshl_add_u32 v0, v0, 10, 0x2000
	v_lshlrev_b32_e32 v2, 7, v32
	s_delay_alu instid0(VALU_DEP_2) | instskip(NEXT) | instid1(VALU_DEP_1)
	v_and_or_b32 v0, 0x8000, v1, v0
	v_and_or_b32 v0, 0x380, v2, v0
	s_delay_alu instid0(VALU_DEP_1)
	v_cvt_f32_f16_e32 v0, v0
	scratch_store_b32 off, v0, s32 offset:488 ; 4-byte Folded Spill
.LBB373_433:                            ;   in Loop: Header=BB373_11 Depth=1
	s_or_b32 exec_lo, exec_lo, s18
.LBB373_434:                            ;   in Loop: Header=BB373_11 Depth=1
	s_delay_alu instid0(SALU_CYCLE_1)
	s_or_b32 exec_lo, exec_lo, s17
.LBB373_435:                            ;   in Loop: Header=BB373_11 Depth=1
	s_delay_alu instid0(SALU_CYCLE_1)
	s_or_b32 exec_lo, exec_lo, s15
	v_mov_b32_e32 v1, 0
	v_lshrrev_b16 v0, 8, v8
	s_mov_b32 s15, exec_lo
	scratch_store_b32 off, v1, s32 offset:496 ; 4-byte Folded Spill
	v_mov_b32_e32 v1, 0
	scratch_store_b32 off, v1, s32 offset:500 ; 4-byte Folded Spill
	v_cmpx_ne_u16_e32 0, v0
	s_cbranch_execz .LBB373_443
; %bb.436:                              ;   in Loop: Header=BB373_11 Depth=1
	v_bfrev_b32_e32 v1, 1
	s_mov_b32 s17, exec_lo
	scratch_store_b32 off, v1, s32 offset:500 ; 4-byte Folded Spill
	v_cmpx_ne_u16_e32 0x80, v0
	s_cbranch_execz .LBB373_442
; %bb.437:                              ;   in Loop: Header=BB373_11 Depth=1
	v_and_b32_e32 v0, 0xffff, v0
	v_mov_b32_e32 v1, 0x7fc02000
	s_mov_b32 s18, exec_lo
	s_delay_alu instid0(VALU_DEP_2)
	v_and_b32_e32 v2, 0x7f, v0
	scratch_store_b32 off, v1, s32 offset:500 ; 4-byte Folded Spill
	v_cmpx_ne_u32_e32 0x7f, v2
	s_cbranch_execz .LBB373_441
; %bb.438:                              ;   in Loop: Header=BB373_11 Depth=1
	v_and_b32_e32 v8, 7, v0
	v_lshrrev_b32_e32 v1, 3, v2
	v_mov_b32_e32 v33, v9
	s_mov_b32 s19, exec_lo
	s_delay_alu instid0(VALU_DEP_3)
	v_mov_b32_e32 v32, v8
	v_cmpx_gt_u32_e32 8, v2
; %bb.439:                              ;   in Loop: Header=BB373_11 Depth=1
	v_clz_i32_u32_e32 v1, v8
	s_delay_alu instid0(VALU_DEP_1) | instskip(NEXT) | instid1(VALU_DEP_1)
	v_min_u32_e32 v1, 32, v1
	v_subrev_nc_u32_e32 v2, 28, v1
	v_sub_nc_u32_e32 v1, 29, v1
	s_delay_alu instid0(VALU_DEP_2) | instskip(NEXT) | instid1(VALU_DEP_1)
	v_lshlrev_b64 v[2:3], v2, v[8:9]
	v_and_b32_e32 v32, 7, v2
; %bb.440:                              ;   in Loop: Header=BB373_11 Depth=1
	s_or_b32 exec_lo, exec_lo, s19
	v_lshlrev_b32_e32 v0, 8, v0
	v_lshl_add_u32 v1, v1, 10, 0x2000
	s_delay_alu instid0(VALU_DEP_1) | instskip(NEXT) | instid1(VALU_DEP_1)
	v_and_or_b32 v0, 0x8000, v0, v1
	v_lshl_or_b32 v0, v32, 7, v0
	s_delay_alu instid0(VALU_DEP_1)
	v_cvt_f32_f16_e32 v0, v0
	scratch_store_b32 off, v0, s32 offset:500 ; 4-byte Folded Spill
.LBB373_441:                            ;   in Loop: Header=BB373_11 Depth=1
	s_or_b32 exec_lo, exec_lo, s18
.LBB373_442:                            ;   in Loop: Header=BB373_11 Depth=1
	s_delay_alu instid0(SALU_CYCLE_1)
	s_or_b32 exec_lo, exec_lo, s17
.LBB373_443:                            ;   in Loop: Header=BB373_11 Depth=1
	s_delay_alu instid0(SALU_CYCLE_1) | instskip(SKIP_2) | instid1(VALU_DEP_1)
	s_or_b32 exec_lo, exec_lo, s15
	v_lshrrev_b32_e32 v0, 16, v31
	s_mov_b32 s15, exec_lo
	v_and_b32_e32 v1, 0xff, v0
	s_delay_alu instid0(VALU_DEP_1)
	v_cmpx_ne_u16_e32 0, v1
	s_cbranch_execz .LBB373_451
; %bb.444:                              ;   in Loop: Header=BB373_11 Depth=1
	v_cmp_ne_u16_e64 s1, 0x80, v1
	v_bfrev_b32_e32 v1, 1
	scratch_store_b32 off, v1, s32 offset:496 ; 4-byte Folded Spill
	s_and_saveexec_b32 s17, s1
	s_cbranch_execz .LBB373_450
; %bb.445:                              ;   in Loop: Header=BB373_11 Depth=1
	v_bfe_u32 v2, v31, 16, 7
	v_mov_b32_e32 v1, 0x7fc02000
	s_mov_b32 s18, exec_lo
	scratch_store_b32 off, v1, s32 offset:496 ; 4-byte Folded Spill
	v_cmpx_ne_u32_e32 0x7f, v2
	s_cbranch_execz .LBB373_449
; %bb.446:                              ;   in Loop: Header=BB373_11 Depth=1
	v_and_b32_e32 v8, 7, v0
	v_lshrrev_b32_e32 v1, 3, v2
	v_mov_b32_e32 v33, v9
	s_mov_b32 s19, exec_lo
	s_delay_alu instid0(VALU_DEP_3)
	v_mov_b32_e32 v32, v8
	v_cmpx_gt_u32_e32 8, v2
; %bb.447:                              ;   in Loop: Header=BB373_11 Depth=1
	v_clz_i32_u32_e32 v1, v8
	s_delay_alu instid0(VALU_DEP_1) | instskip(NEXT) | instid1(VALU_DEP_1)
	v_min_u32_e32 v1, 32, v1
	v_subrev_nc_u32_e32 v2, 28, v1
	v_sub_nc_u32_e32 v1, 29, v1
	s_delay_alu instid0(VALU_DEP_2) | instskip(NEXT) | instid1(VALU_DEP_1)
	v_lshlrev_b64 v[2:3], v2, v[8:9]
	v_and_b32_e32 v32, 7, v2
; %bb.448:                              ;   in Loop: Header=BB373_11 Depth=1
	s_or_b32 exec_lo, exec_lo, s19
	v_lshlrev_b32_e32 v0, 8, v0
	v_lshl_add_u32 v1, v1, 10, 0x2000
	s_delay_alu instid0(VALU_DEP_1) | instskip(NEXT) | instid1(VALU_DEP_1)
	v_and_or_b32 v0, 0x8000, v0, v1
	v_lshl_or_b32 v0, v32, 7, v0
	s_delay_alu instid0(VALU_DEP_1)
	v_cvt_f32_f16_e32 v0, v0
	scratch_store_b32 off, v0, s32 offset:496 ; 4-byte Folded Spill
.LBB373_449:                            ;   in Loop: Header=BB373_11 Depth=1
	s_or_b32 exec_lo, exec_lo, s18
.LBB373_450:                            ;   in Loop: Header=BB373_11 Depth=1
	s_delay_alu instid0(SALU_CYCLE_1)
	s_or_b32 exec_lo, exec_lo, s17
.LBB373_451:                            ;   in Loop: Header=BB373_11 Depth=1
	s_delay_alu instid0(SALU_CYCLE_1)
	s_or_b32 exec_lo, exec_lo, s15
	v_mov_b32_e32 v0, 0
	v_mov_b32_e32 v172, 0
	s_mov_b32 s15, exec_lo
	scratch_store_b32 off, v0, s32 offset:504 ; 4-byte Folded Spill
	v_cmpx_lt_u64_e64 s[2:3], v[30:31]
	s_cbranch_execz .LBB373_459
; %bb.452:                              ;   in Loop: Header=BB373_11 Depth=1
	v_lshrrev_b32_e32 v0, 24, v31
	v_bfrev_b32_e32 v172, 1
	s_mov_b32 s17, exec_lo
	s_delay_alu instid0(VALU_DEP_2)
	v_cmpx_ne_u32_e32 0x80, v0
	s_cbranch_execz .LBB373_458
; %bb.453:                              ;   in Loop: Header=BB373_11 Depth=1
	v_and_b32_e32 v2, 0x7f, v0
	v_mov_b32_e32 v172, 0x7fc02000
	s_mov_b32 s18, exec_lo
	s_delay_alu instid0(VALU_DEP_2)
	v_cmpx_ne_u32_e32 0x7f, v2
	s_cbranch_execz .LBB373_457
; %bb.454:                              ;   in Loop: Header=BB373_11 Depth=1
	v_and_b32_e32 v8, 7, v0
	v_lshrrev_b32_e32 v1, 3, v2
	v_mov_b32_e32 v31, v9
	s_mov_b32 s19, exec_lo
	s_delay_alu instid0(VALU_DEP_3)
	v_mov_b32_e32 v30, v8
	v_cmpx_gt_u32_e32 8, v2
; %bb.455:                              ;   in Loop: Header=BB373_11 Depth=1
	v_clz_i32_u32_e32 v1, v8
	s_delay_alu instid0(VALU_DEP_1) | instskip(NEXT) | instid1(VALU_DEP_1)
	v_min_u32_e32 v1, 32, v1
	v_subrev_nc_u32_e32 v2, 28, v1
	v_sub_nc_u32_e32 v1, 29, v1
	s_delay_alu instid0(VALU_DEP_2) | instskip(NEXT) | instid1(VALU_DEP_1)
	v_lshlrev_b64 v[2:3], v2, v[8:9]
	v_and_b32_e32 v30, 7, v2
; %bb.456:                              ;   in Loop: Header=BB373_11 Depth=1
	s_or_b32 exec_lo, exec_lo, s19
	v_lshlrev_b32_e32 v0, 8, v0
	v_lshl_add_u32 v1, v1, 10, 0x2000
	s_delay_alu instid0(VALU_DEP_1) | instskip(NEXT) | instid1(VALU_DEP_1)
	v_and_or_b32 v0, 0x8000, v0, v1
	v_lshl_or_b32 v0, v30, 7, v0
	s_delay_alu instid0(VALU_DEP_1)
	v_cvt_f32_f16_e64 v172, v0
.LBB373_457:                            ;   in Loop: Header=BB373_11 Depth=1
	s_or_b32 exec_lo, exec_lo, s18
.LBB373_458:                            ;   in Loop: Header=BB373_11 Depth=1
	s_delay_alu instid0(SALU_CYCLE_1)
	s_or_b32 exec_lo, exec_lo, s17
.LBB373_459:                            ;   in Loop: Header=BB373_11 Depth=1
	s_delay_alu instid0(SALU_CYCLE_1) | instskip(SKIP_4) | instid1(VALU_DEP_1)
	s_or_b32 exec_lo, exec_lo, s15
	flat_load_b64 v[30:31], v[28:29] offset:1544
	s_mov_b32 s15, exec_lo
	s_waitcnt vmcnt(0) lgkmcnt(0)
	v_and_b32_e32 v0, 0xff, v30
	v_cmpx_ne_u16_e32 0, v0
	s_cbranch_execz .LBB373_467
; %bb.460:                              ;   in Loop: Header=BB373_11 Depth=1
	v_cmp_ne_u16_e64 s1, 0x80, v0
	v_bfrev_b32_e32 v0, 1
	scratch_store_b32 off, v0, s32 offset:504 ; 4-byte Folded Spill
	s_and_saveexec_b32 s17, s1
	s_cbranch_execz .LBB373_466
; %bb.461:                              ;   in Loop: Header=BB373_11 Depth=1
	v_and_b32_e32 v1, 0x7f, v30
	v_mov_b32_e32 v0, 0x7fc02000
	s_mov_b32 s18, exec_lo
	scratch_store_b32 off, v0, s32 offset:504 ; 4-byte Folded Spill
	v_cmpx_ne_u32_e32 0x7f, v1
	s_cbranch_execz .LBB373_465
; %bb.462:                              ;   in Loop: Header=BB373_11 Depth=1
	v_lshrrev_b32_e32 v0, 3, v1
	v_dual_mov_b32 v33, v31 :: v_dual_mov_b32 v32, v30
	s_mov_b32 s19, exec_lo
	v_cmpx_gt_u32_e32 8, v1
; %bb.463:                              ;   in Loop: Header=BB373_11 Depth=1
	v_and_b32_e32 v0, 7, v30
	s_delay_alu instid0(VALU_DEP_1) | instskip(NEXT) | instid1(VALU_DEP_1)
	v_clz_i32_u32_e32 v0, v0
	v_min_u32_e32 v0, 32, v0
	s_delay_alu instid0(VALU_DEP_1) | instskip(SKIP_1) | instid1(VALU_DEP_2)
	v_subrev_nc_u32_e32 v1, 28, v0
	v_sub_nc_u32_e32 v0, 29, v0
	v_lshlrev_b64 v[32:33], v1, v[30:31]
; %bb.464:                              ;   in Loop: Header=BB373_11 Depth=1
	s_or_b32 exec_lo, exec_lo, s19
	v_lshlrev_b32_e32 v1, 8, v30
	s_delay_alu instid0(VALU_DEP_3) | instskip(NEXT) | instid1(VALU_DEP_3)
	v_lshl_add_u32 v0, v0, 10, 0x2000
	v_lshlrev_b32_e32 v2, 7, v32
	s_delay_alu instid0(VALU_DEP_2) | instskip(NEXT) | instid1(VALU_DEP_1)
	v_and_or_b32 v0, 0x8000, v1, v0
	v_and_or_b32 v0, 0x380, v2, v0
	s_delay_alu instid0(VALU_DEP_1)
	v_cvt_f32_f16_e32 v0, v0
	scratch_store_b32 off, v0, s32 offset:504 ; 4-byte Folded Spill
.LBB373_465:                            ;   in Loop: Header=BB373_11 Depth=1
	s_or_b32 exec_lo, exec_lo, s18
.LBB373_466:                            ;   in Loop: Header=BB373_11 Depth=1
	s_delay_alu instid0(SALU_CYCLE_1)
	s_or_b32 exec_lo, exec_lo, s17
.LBB373_467:                            ;   in Loop: Header=BB373_11 Depth=1
	s_delay_alu instid0(SALU_CYCLE_1)
	s_or_b32 exec_lo, exec_lo, s15
	v_mov_b32_e32 v1, 0
	v_lshrrev_b16 v0, 8, v30
	s_mov_b32 s15, exec_lo
	scratch_store_b32 off, v1, s32 offset:508 ; 4-byte Folded Spill
	v_mov_b32_e32 v1, 0
	scratch_store_b32 off, v1, s32 offset:512 ; 4-byte Folded Spill
	v_cmpx_ne_u16_e32 0, v0
	s_cbranch_execz .LBB373_475
; %bb.468:                              ;   in Loop: Header=BB373_11 Depth=1
	v_bfrev_b32_e32 v1, 1
	s_mov_b32 s17, exec_lo
	scratch_store_b32 off, v1, s32 offset:512 ; 4-byte Folded Spill
	v_cmpx_ne_u16_e32 0x80, v0
	s_cbranch_execz .LBB373_474
; %bb.469:                              ;   in Loop: Header=BB373_11 Depth=1
	v_and_b32_e32 v0, 0xffff, v0
	v_mov_b32_e32 v1, 0x7fc02000
	s_mov_b32 s18, exec_lo
	s_delay_alu instid0(VALU_DEP_2)
	v_and_b32_e32 v2, 0x7f, v0
	scratch_store_b32 off, v1, s32 offset:512 ; 4-byte Folded Spill
	v_cmpx_ne_u32_e32 0x7f, v2
	s_cbranch_execz .LBB373_473
; %bb.470:                              ;   in Loop: Header=BB373_11 Depth=1
	v_and_b32_e32 v8, 7, v0
	v_lshrrev_b32_e32 v1, 3, v2
	v_mov_b32_e32 v33, v9
	s_mov_b32 s19, exec_lo
	s_delay_alu instid0(VALU_DEP_3)
	v_mov_b32_e32 v32, v8
	v_cmpx_gt_u32_e32 8, v2
; %bb.471:                              ;   in Loop: Header=BB373_11 Depth=1
	v_clz_i32_u32_e32 v1, v8
	s_delay_alu instid0(VALU_DEP_1) | instskip(NEXT) | instid1(VALU_DEP_1)
	v_min_u32_e32 v1, 32, v1
	v_subrev_nc_u32_e32 v2, 28, v1
	v_sub_nc_u32_e32 v1, 29, v1
	s_delay_alu instid0(VALU_DEP_2) | instskip(NEXT) | instid1(VALU_DEP_1)
	v_lshlrev_b64 v[2:3], v2, v[8:9]
	v_and_b32_e32 v32, 7, v2
; %bb.472:                              ;   in Loop: Header=BB373_11 Depth=1
	s_or_b32 exec_lo, exec_lo, s19
	v_lshlrev_b32_e32 v0, 8, v0
	v_lshl_add_u32 v1, v1, 10, 0x2000
	s_delay_alu instid0(VALU_DEP_1) | instskip(NEXT) | instid1(VALU_DEP_1)
	v_and_or_b32 v0, 0x8000, v0, v1
	v_lshl_or_b32 v0, v32, 7, v0
	s_delay_alu instid0(VALU_DEP_1)
	v_cvt_f32_f16_e32 v0, v0
	scratch_store_b32 off, v0, s32 offset:512 ; 4-byte Folded Spill
.LBB373_473:                            ;   in Loop: Header=BB373_11 Depth=1
	s_or_b32 exec_lo, exec_lo, s18
.LBB373_474:                            ;   in Loop: Header=BB373_11 Depth=1
	s_delay_alu instid0(SALU_CYCLE_1)
	s_or_b32 exec_lo, exec_lo, s17
.LBB373_475:                            ;   in Loop: Header=BB373_11 Depth=1
	s_delay_alu instid0(SALU_CYCLE_1) | instskip(SKIP_2) | instid1(VALU_DEP_1)
	s_or_b32 exec_lo, exec_lo, s15
	v_lshrrev_b32_e32 v0, 16, v30
	s_mov_b32 s15, exec_lo
	v_and_b32_e32 v1, 0xff, v0
	s_delay_alu instid0(VALU_DEP_1)
	v_cmpx_ne_u16_e32 0, v1
	s_cbranch_execz .LBB373_483
; %bb.476:                              ;   in Loop: Header=BB373_11 Depth=1
	v_cmp_ne_u16_e64 s1, 0x80, v1
	v_bfrev_b32_e32 v1, 1
	scratch_store_b32 off, v1, s32 offset:508 ; 4-byte Folded Spill
	s_and_saveexec_b32 s17, s1
	s_cbranch_execz .LBB373_482
; %bb.477:                              ;   in Loop: Header=BB373_11 Depth=1
	v_bfe_u32 v2, v30, 16, 7
	v_mov_b32_e32 v1, 0x7fc02000
	s_mov_b32 s18, exec_lo
	scratch_store_b32 off, v1, s32 offset:508 ; 4-byte Folded Spill
	v_cmpx_ne_u32_e32 0x7f, v2
	s_cbranch_execz .LBB373_481
; %bb.478:                              ;   in Loop: Header=BB373_11 Depth=1
	v_and_b32_e32 v8, 7, v0
	v_lshrrev_b32_e32 v1, 3, v2
	v_mov_b32_e32 v33, v9
	s_mov_b32 s19, exec_lo
	s_delay_alu instid0(VALU_DEP_3)
	v_mov_b32_e32 v32, v8
	v_cmpx_gt_u32_e32 8, v2
; %bb.479:                              ;   in Loop: Header=BB373_11 Depth=1
	v_clz_i32_u32_e32 v1, v8
	s_delay_alu instid0(VALU_DEP_1) | instskip(NEXT) | instid1(VALU_DEP_1)
	v_min_u32_e32 v1, 32, v1
	v_subrev_nc_u32_e32 v2, 28, v1
	v_sub_nc_u32_e32 v1, 29, v1
	s_delay_alu instid0(VALU_DEP_2) | instskip(NEXT) | instid1(VALU_DEP_1)
	v_lshlrev_b64 v[2:3], v2, v[8:9]
	v_and_b32_e32 v32, 7, v2
; %bb.480:                              ;   in Loop: Header=BB373_11 Depth=1
	s_or_b32 exec_lo, exec_lo, s19
	v_lshlrev_b32_e32 v0, 8, v0
	v_lshl_add_u32 v1, v1, 10, 0x2000
	s_delay_alu instid0(VALU_DEP_1) | instskip(NEXT) | instid1(VALU_DEP_1)
	v_and_or_b32 v0, 0x8000, v0, v1
	v_lshl_or_b32 v0, v32, 7, v0
	s_delay_alu instid0(VALU_DEP_1)
	v_cvt_f32_f16_e32 v0, v0
	scratch_store_b32 off, v0, s32 offset:508 ; 4-byte Folded Spill
.LBB373_481:                            ;   in Loop: Header=BB373_11 Depth=1
	s_or_b32 exec_lo, exec_lo, s18
.LBB373_482:                            ;   in Loop: Header=BB373_11 Depth=1
	s_delay_alu instid0(SALU_CYCLE_1)
	s_or_b32 exec_lo, exec_lo, s17
.LBB373_483:                            ;   in Loop: Header=BB373_11 Depth=1
	s_delay_alu instid0(SALU_CYCLE_1)
	s_or_b32 exec_lo, exec_lo, s15
	v_mov_b32_e32 v0, 0
	s_mov_b32 s15, exec_lo
	scratch_store_b32 off, v0, s32 offset:516 ; 4-byte Folded Spill
	v_mov_b32_e32 v0, 0
	scratch_store_b32 off, v0, s32 offset:520 ; 4-byte Folded Spill
	v_cmpx_lt_u32_e32 0xffffff, v30
	s_cbranch_execz .LBB373_491
; %bb.484:                              ;   in Loop: Header=BB373_11 Depth=1
	v_lshrrev_b32_e32 v0, 24, v30
	v_bfrev_b32_e32 v1, 1
	s_mov_b32 s17, exec_lo
	scratch_store_b32 off, v1, s32 offset:520 ; 4-byte Folded Spill
	v_cmpx_ne_u32_e32 0x80, v0
	s_cbranch_execz .LBB373_490
; %bb.485:                              ;   in Loop: Header=BB373_11 Depth=1
	v_and_b32_e32 v2, 0x7f, v0
	v_mov_b32_e32 v1, 0x7fc02000
	s_mov_b32 s18, exec_lo
	scratch_store_b32 off, v1, s32 offset:520 ; 4-byte Folded Spill
	v_cmpx_ne_u32_e32 0x7f, v2
	s_cbranch_execz .LBB373_489
; %bb.486:                              ;   in Loop: Header=BB373_11 Depth=1
	v_and_b32_e32 v8, 7, v0
	v_lshrrev_b32_e32 v1, 3, v2
	v_mov_b32_e32 v33, v9
	s_mov_b32 s19, exec_lo
	s_delay_alu instid0(VALU_DEP_3)
	v_mov_b32_e32 v32, v8
	v_cmpx_gt_u32_e32 8, v2
; %bb.487:                              ;   in Loop: Header=BB373_11 Depth=1
	v_clz_i32_u32_e32 v1, v8
	s_delay_alu instid0(VALU_DEP_1) | instskip(NEXT) | instid1(VALU_DEP_1)
	v_min_u32_e32 v1, 32, v1
	v_subrev_nc_u32_e32 v2, 28, v1
	v_sub_nc_u32_e32 v1, 29, v1
	s_delay_alu instid0(VALU_DEP_2) | instskip(NEXT) | instid1(VALU_DEP_1)
	v_lshlrev_b64 v[2:3], v2, v[8:9]
	v_and_b32_e32 v32, 7, v2
; %bb.488:                              ;   in Loop: Header=BB373_11 Depth=1
	s_or_b32 exec_lo, exec_lo, s19
	v_lshlrev_b32_e32 v0, 8, v0
	v_lshl_add_u32 v1, v1, 10, 0x2000
	s_delay_alu instid0(VALU_DEP_1) | instskip(NEXT) | instid1(VALU_DEP_1)
	v_and_or_b32 v0, 0x8000, v0, v1
	v_lshl_or_b32 v0, v32, 7, v0
	s_delay_alu instid0(VALU_DEP_1)
	v_cvt_f32_f16_e32 v0, v0
	scratch_store_b32 off, v0, s32 offset:520 ; 4-byte Folded Spill
.LBB373_489:                            ;   in Loop: Header=BB373_11 Depth=1
	s_or_b32 exec_lo, exec_lo, s18
.LBB373_490:                            ;   in Loop: Header=BB373_11 Depth=1
	s_delay_alu instid0(SALU_CYCLE_1)
	s_or_b32 exec_lo, exec_lo, s17
.LBB373_491:                            ;   in Loop: Header=BB373_11 Depth=1
	s_delay_alu instid0(SALU_CYCLE_1) | instskip(SKIP_3) | instid1(VALU_DEP_2)
	s_or_b32 exec_lo, exec_lo, s15
	v_and_b32_e32 v0, 0xff, v31
	v_mov_b32_e32 v8, v31
	s_mov_b32 s15, exec_lo
	v_cmpx_ne_u16_e32 0, v0
	s_cbranch_execz .LBB373_499
; %bb.492:                              ;   in Loop: Header=BB373_11 Depth=1
	v_cmp_ne_u16_e64 s1, 0x80, v0
	v_bfrev_b32_e32 v0, 1
	scratch_store_b32 off, v0, s32 offset:516 ; 4-byte Folded Spill
	s_and_saveexec_b32 s17, s1
	s_cbranch_execz .LBB373_498
; %bb.493:                              ;   in Loop: Header=BB373_11 Depth=1
	v_and_b32_e32 v1, 0x7f, v31
	v_mov_b32_e32 v0, 0x7fc02000
	s_mov_b32 s18, exec_lo
	scratch_store_b32 off, v0, s32 offset:516 ; 4-byte Folded Spill
	v_cmpx_ne_u32_e32 0x7f, v1
	s_cbranch_execz .LBB373_497
; %bb.494:                              ;   in Loop: Header=BB373_11 Depth=1
	v_lshrrev_b32_e32 v0, 3, v1
	v_dual_mov_b32 v33, v9 :: v_dual_mov_b32 v32, v8
	s_mov_b32 s19, exec_lo
	v_cmpx_gt_u32_e32 8, v1
; %bb.495:                              ;   in Loop: Header=BB373_11 Depth=1
	v_and_b32_e32 v0, 7, v31
	s_delay_alu instid0(VALU_DEP_1) | instskip(NEXT) | instid1(VALU_DEP_1)
	v_clz_i32_u32_e32 v0, v0
	v_min_u32_e32 v0, 32, v0
	s_delay_alu instid0(VALU_DEP_1) | instskip(SKIP_1) | instid1(VALU_DEP_2)
	v_subrev_nc_u32_e32 v1, 28, v0
	v_sub_nc_u32_e32 v0, 29, v0
	v_lshlrev_b64 v[32:33], v1, v[8:9]
; %bb.496:                              ;   in Loop: Header=BB373_11 Depth=1
	s_or_b32 exec_lo, exec_lo, s19
	v_lshlrev_b32_e32 v1, 8, v31
	s_delay_alu instid0(VALU_DEP_3) | instskip(NEXT) | instid1(VALU_DEP_3)
	v_lshl_add_u32 v0, v0, 10, 0x2000
	v_lshlrev_b32_e32 v2, 7, v32
	s_delay_alu instid0(VALU_DEP_2) | instskip(NEXT) | instid1(VALU_DEP_1)
	v_and_or_b32 v0, 0x8000, v1, v0
	v_and_or_b32 v0, 0x380, v2, v0
	s_delay_alu instid0(VALU_DEP_1)
	v_cvt_f32_f16_e32 v0, v0
	scratch_store_b32 off, v0, s32 offset:516 ; 4-byte Folded Spill
.LBB373_497:                            ;   in Loop: Header=BB373_11 Depth=1
	s_or_b32 exec_lo, exec_lo, s18
.LBB373_498:                            ;   in Loop: Header=BB373_11 Depth=1
	s_delay_alu instid0(SALU_CYCLE_1)
	s_or_b32 exec_lo, exec_lo, s17
.LBB373_499:                            ;   in Loop: Header=BB373_11 Depth=1
	s_delay_alu instid0(SALU_CYCLE_1)
	s_or_b32 exec_lo, exec_lo, s15
	v_mov_b32_e32 v1, 0
	v_lshrrev_b16 v0, 8, v8
	s_mov_b32 s15, exec_lo
	scratch_store_b32 off, v1, s32 offset:524 ; 4-byte Folded Spill
	v_mov_b32_e32 v1, 0
	scratch_store_b32 off, v1, s32 offset:528 ; 4-byte Folded Spill
	v_cmpx_ne_u16_e32 0, v0
	s_cbranch_execz .LBB373_507
; %bb.500:                              ;   in Loop: Header=BB373_11 Depth=1
	v_bfrev_b32_e32 v1, 1
	s_mov_b32 s17, exec_lo
	scratch_store_b32 off, v1, s32 offset:528 ; 4-byte Folded Spill
	v_cmpx_ne_u16_e32 0x80, v0
	s_cbranch_execz .LBB373_506
; %bb.501:                              ;   in Loop: Header=BB373_11 Depth=1
	v_and_b32_e32 v0, 0xffff, v0
	v_mov_b32_e32 v1, 0x7fc02000
	s_mov_b32 s18, exec_lo
	s_delay_alu instid0(VALU_DEP_2)
	v_and_b32_e32 v2, 0x7f, v0
	scratch_store_b32 off, v1, s32 offset:528 ; 4-byte Folded Spill
	v_cmpx_ne_u32_e32 0x7f, v2
	s_cbranch_execz .LBB373_505
; %bb.502:                              ;   in Loop: Header=BB373_11 Depth=1
	v_and_b32_e32 v8, 7, v0
	v_lshrrev_b32_e32 v1, 3, v2
	v_mov_b32_e32 v33, v9
	s_mov_b32 s19, exec_lo
	s_delay_alu instid0(VALU_DEP_3)
	v_mov_b32_e32 v32, v8
	v_cmpx_gt_u32_e32 8, v2
; %bb.503:                              ;   in Loop: Header=BB373_11 Depth=1
	v_clz_i32_u32_e32 v1, v8
	s_delay_alu instid0(VALU_DEP_1) | instskip(NEXT) | instid1(VALU_DEP_1)
	v_min_u32_e32 v1, 32, v1
	v_subrev_nc_u32_e32 v2, 28, v1
	v_sub_nc_u32_e32 v1, 29, v1
	s_delay_alu instid0(VALU_DEP_2) | instskip(NEXT) | instid1(VALU_DEP_1)
	v_lshlrev_b64 v[2:3], v2, v[8:9]
	v_and_b32_e32 v32, 7, v2
; %bb.504:                              ;   in Loop: Header=BB373_11 Depth=1
	s_or_b32 exec_lo, exec_lo, s19
	v_lshlrev_b32_e32 v0, 8, v0
	v_lshl_add_u32 v1, v1, 10, 0x2000
	s_delay_alu instid0(VALU_DEP_1) | instskip(NEXT) | instid1(VALU_DEP_1)
	v_and_or_b32 v0, 0x8000, v0, v1
	v_lshl_or_b32 v0, v32, 7, v0
	s_delay_alu instid0(VALU_DEP_1)
	v_cvt_f32_f16_e32 v0, v0
	scratch_store_b32 off, v0, s32 offset:528 ; 4-byte Folded Spill
.LBB373_505:                            ;   in Loop: Header=BB373_11 Depth=1
	s_or_b32 exec_lo, exec_lo, s18
.LBB373_506:                            ;   in Loop: Header=BB373_11 Depth=1
	s_delay_alu instid0(SALU_CYCLE_1)
	s_or_b32 exec_lo, exec_lo, s17
.LBB373_507:                            ;   in Loop: Header=BB373_11 Depth=1
	s_delay_alu instid0(SALU_CYCLE_1) | instskip(SKIP_2) | instid1(VALU_DEP_1)
	s_or_b32 exec_lo, exec_lo, s15
	v_lshrrev_b32_e32 v0, 16, v31
	s_mov_b32 s15, exec_lo
	v_and_b32_e32 v1, 0xff, v0
	s_delay_alu instid0(VALU_DEP_1)
	v_cmpx_ne_u16_e32 0, v1
	s_cbranch_execz .LBB373_515
; %bb.508:                              ;   in Loop: Header=BB373_11 Depth=1
	v_cmp_ne_u16_e64 s1, 0x80, v1
	v_bfrev_b32_e32 v1, 1
	scratch_store_b32 off, v1, s32 offset:524 ; 4-byte Folded Spill
	s_and_saveexec_b32 s17, s1
	s_cbranch_execz .LBB373_514
; %bb.509:                              ;   in Loop: Header=BB373_11 Depth=1
	v_bfe_u32 v2, v31, 16, 7
	v_mov_b32_e32 v1, 0x7fc02000
	s_mov_b32 s18, exec_lo
	scratch_store_b32 off, v1, s32 offset:524 ; 4-byte Folded Spill
	v_cmpx_ne_u32_e32 0x7f, v2
	s_cbranch_execz .LBB373_513
; %bb.510:                              ;   in Loop: Header=BB373_11 Depth=1
	v_and_b32_e32 v8, 7, v0
	v_lshrrev_b32_e32 v1, 3, v2
	v_mov_b32_e32 v33, v9
	s_mov_b32 s19, exec_lo
	s_delay_alu instid0(VALU_DEP_3)
	v_mov_b32_e32 v32, v8
	v_cmpx_gt_u32_e32 8, v2
; %bb.511:                              ;   in Loop: Header=BB373_11 Depth=1
	v_clz_i32_u32_e32 v1, v8
	s_delay_alu instid0(VALU_DEP_1) | instskip(NEXT) | instid1(VALU_DEP_1)
	v_min_u32_e32 v1, 32, v1
	v_subrev_nc_u32_e32 v2, 28, v1
	v_sub_nc_u32_e32 v1, 29, v1
	s_delay_alu instid0(VALU_DEP_2) | instskip(NEXT) | instid1(VALU_DEP_1)
	v_lshlrev_b64 v[2:3], v2, v[8:9]
	v_and_b32_e32 v32, 7, v2
; %bb.512:                              ;   in Loop: Header=BB373_11 Depth=1
	s_or_b32 exec_lo, exec_lo, s19
	v_lshlrev_b32_e32 v0, 8, v0
	v_lshl_add_u32 v1, v1, 10, 0x2000
	s_delay_alu instid0(VALU_DEP_1) | instskip(NEXT) | instid1(VALU_DEP_1)
	v_and_or_b32 v0, 0x8000, v0, v1
	v_lshl_or_b32 v0, v32, 7, v0
	s_delay_alu instid0(VALU_DEP_1)
	v_cvt_f32_f16_e32 v0, v0
	scratch_store_b32 off, v0, s32 offset:524 ; 4-byte Folded Spill
.LBB373_513:                            ;   in Loop: Header=BB373_11 Depth=1
	s_or_b32 exec_lo, exec_lo, s18
.LBB373_514:                            ;   in Loop: Header=BB373_11 Depth=1
	s_delay_alu instid0(SALU_CYCLE_1)
	s_or_b32 exec_lo, exec_lo, s17
.LBB373_515:                            ;   in Loop: Header=BB373_11 Depth=1
	s_delay_alu instid0(SALU_CYCLE_1)
	s_or_b32 exec_lo, exec_lo, s15
	v_mov_b32_e32 v0, 0
	v_mov_b32_e32 v174, 0
	s_mov_b32 s15, exec_lo
	scratch_store_b32 off, v0, s32 offset:532 ; 4-byte Folded Spill
	v_cmpx_lt_u64_e64 s[2:3], v[30:31]
	s_cbranch_execz .LBB373_523
; %bb.516:                              ;   in Loop: Header=BB373_11 Depth=1
	v_lshrrev_b32_e32 v0, 24, v31
	v_bfrev_b32_e32 v174, 1
	s_mov_b32 s17, exec_lo
	s_delay_alu instid0(VALU_DEP_2)
	v_cmpx_ne_u32_e32 0x80, v0
	s_cbranch_execz .LBB373_522
; %bb.517:                              ;   in Loop: Header=BB373_11 Depth=1
	v_and_b32_e32 v2, 0x7f, v0
	v_mov_b32_e32 v174, 0x7fc02000
	s_mov_b32 s18, exec_lo
	s_delay_alu instid0(VALU_DEP_2)
	v_cmpx_ne_u32_e32 0x7f, v2
	s_cbranch_execz .LBB373_521
; %bb.518:                              ;   in Loop: Header=BB373_11 Depth=1
	v_and_b32_e32 v8, 7, v0
	v_lshrrev_b32_e32 v1, 3, v2
	v_mov_b32_e32 v31, v9
	s_mov_b32 s19, exec_lo
	s_delay_alu instid0(VALU_DEP_3)
	v_mov_b32_e32 v30, v8
	v_cmpx_gt_u32_e32 8, v2
; %bb.519:                              ;   in Loop: Header=BB373_11 Depth=1
	v_clz_i32_u32_e32 v1, v8
	s_delay_alu instid0(VALU_DEP_1) | instskip(NEXT) | instid1(VALU_DEP_1)
	v_min_u32_e32 v1, 32, v1
	v_subrev_nc_u32_e32 v2, 28, v1
	v_sub_nc_u32_e32 v1, 29, v1
	s_delay_alu instid0(VALU_DEP_2) | instskip(NEXT) | instid1(VALU_DEP_1)
	v_lshlrev_b64 v[2:3], v2, v[8:9]
	v_and_b32_e32 v30, 7, v2
; %bb.520:                              ;   in Loop: Header=BB373_11 Depth=1
	s_or_b32 exec_lo, exec_lo, s19
	v_lshlrev_b32_e32 v0, 8, v0
	v_lshl_add_u32 v1, v1, 10, 0x2000
	s_delay_alu instid0(VALU_DEP_1) | instskip(NEXT) | instid1(VALU_DEP_1)
	v_and_or_b32 v0, 0x8000, v0, v1
	v_lshl_or_b32 v0, v30, 7, v0
	s_delay_alu instid0(VALU_DEP_1)
	v_cvt_f32_f16_e64 v174, v0
.LBB373_521:                            ;   in Loop: Header=BB373_11 Depth=1
	s_or_b32 exec_lo, exec_lo, s18
.LBB373_522:                            ;   in Loop: Header=BB373_11 Depth=1
	s_delay_alu instid0(SALU_CYCLE_1)
	s_or_b32 exec_lo, exec_lo, s17
.LBB373_523:                            ;   in Loop: Header=BB373_11 Depth=1
	s_delay_alu instid0(SALU_CYCLE_1) | instskip(SKIP_4) | instid1(VALU_DEP_1)
	s_or_b32 exec_lo, exec_lo, s15
	flat_load_b64 v[30:31], v[28:29] offset:2048
	s_mov_b32 s15, exec_lo
	s_waitcnt vmcnt(0) lgkmcnt(0)
	v_and_b32_e32 v0, 0xff, v30
	v_cmpx_ne_u16_e32 0, v0
	s_cbranch_execz .LBB373_531
; %bb.524:                              ;   in Loop: Header=BB373_11 Depth=1
	v_cmp_ne_u16_e64 s1, 0x80, v0
	v_bfrev_b32_e32 v0, 1
	scratch_store_b32 off, v0, s32 offset:532 ; 4-byte Folded Spill
	s_and_saveexec_b32 s17, s1
	s_cbranch_execz .LBB373_530
; %bb.525:                              ;   in Loop: Header=BB373_11 Depth=1
	v_and_b32_e32 v1, 0x7f, v30
	v_mov_b32_e32 v0, 0x7fc02000
	s_mov_b32 s18, exec_lo
	scratch_store_b32 off, v0, s32 offset:532 ; 4-byte Folded Spill
	v_cmpx_ne_u32_e32 0x7f, v1
	s_cbranch_execz .LBB373_529
; %bb.526:                              ;   in Loop: Header=BB373_11 Depth=1
	v_lshrrev_b32_e32 v0, 3, v1
	v_dual_mov_b32 v33, v31 :: v_dual_mov_b32 v32, v30
	s_mov_b32 s19, exec_lo
	v_cmpx_gt_u32_e32 8, v1
; %bb.527:                              ;   in Loop: Header=BB373_11 Depth=1
	v_and_b32_e32 v0, 7, v30
	s_delay_alu instid0(VALU_DEP_1) | instskip(NEXT) | instid1(VALU_DEP_1)
	v_clz_i32_u32_e32 v0, v0
	v_min_u32_e32 v0, 32, v0
	s_delay_alu instid0(VALU_DEP_1) | instskip(SKIP_1) | instid1(VALU_DEP_2)
	v_subrev_nc_u32_e32 v1, 28, v0
	v_sub_nc_u32_e32 v0, 29, v0
	v_lshlrev_b64 v[32:33], v1, v[30:31]
; %bb.528:                              ;   in Loop: Header=BB373_11 Depth=1
	s_or_b32 exec_lo, exec_lo, s19
	v_lshlrev_b32_e32 v1, 8, v30
	s_delay_alu instid0(VALU_DEP_3) | instskip(NEXT) | instid1(VALU_DEP_3)
	v_lshl_add_u32 v0, v0, 10, 0x2000
	v_lshlrev_b32_e32 v2, 7, v32
	s_delay_alu instid0(VALU_DEP_2) | instskip(NEXT) | instid1(VALU_DEP_1)
	v_and_or_b32 v0, 0x8000, v1, v0
	v_and_or_b32 v0, 0x380, v2, v0
	s_delay_alu instid0(VALU_DEP_1)
	v_cvt_f32_f16_e32 v0, v0
	scratch_store_b32 off, v0, s32 offset:532 ; 4-byte Folded Spill
.LBB373_529:                            ;   in Loop: Header=BB373_11 Depth=1
	s_or_b32 exec_lo, exec_lo, s18
.LBB373_530:                            ;   in Loop: Header=BB373_11 Depth=1
	s_delay_alu instid0(SALU_CYCLE_1)
	s_or_b32 exec_lo, exec_lo, s17
.LBB373_531:                            ;   in Loop: Header=BB373_11 Depth=1
	s_delay_alu instid0(SALU_CYCLE_1)
	s_or_b32 exec_lo, exec_lo, s15
	v_mov_b32_e32 v1, 0
	v_lshrrev_b16 v0, 8, v30
	s_mov_b32 s15, exec_lo
	scratch_store_b32 off, v1, s32 offset:536 ; 4-byte Folded Spill
	v_mov_b32_e32 v1, 0
	scratch_store_b32 off, v1, s32 offset:540 ; 4-byte Folded Spill
	v_cmpx_ne_u16_e32 0, v0
	s_cbranch_execz .LBB373_539
; %bb.532:                              ;   in Loop: Header=BB373_11 Depth=1
	v_bfrev_b32_e32 v1, 1
	s_mov_b32 s17, exec_lo
	scratch_store_b32 off, v1, s32 offset:540 ; 4-byte Folded Spill
	v_cmpx_ne_u16_e32 0x80, v0
	s_cbranch_execz .LBB373_538
; %bb.533:                              ;   in Loop: Header=BB373_11 Depth=1
	v_and_b32_e32 v0, 0xffff, v0
	v_mov_b32_e32 v1, 0x7fc02000
	s_mov_b32 s18, exec_lo
	s_delay_alu instid0(VALU_DEP_2)
	v_and_b32_e32 v2, 0x7f, v0
	scratch_store_b32 off, v1, s32 offset:540 ; 4-byte Folded Spill
	v_cmpx_ne_u32_e32 0x7f, v2
	s_cbranch_execz .LBB373_537
; %bb.534:                              ;   in Loop: Header=BB373_11 Depth=1
	v_and_b32_e32 v8, 7, v0
	v_lshrrev_b32_e32 v1, 3, v2
	v_mov_b32_e32 v33, v9
	s_mov_b32 s19, exec_lo
	s_delay_alu instid0(VALU_DEP_3)
	v_mov_b32_e32 v32, v8
	v_cmpx_gt_u32_e32 8, v2
; %bb.535:                              ;   in Loop: Header=BB373_11 Depth=1
	v_clz_i32_u32_e32 v1, v8
	s_delay_alu instid0(VALU_DEP_1) | instskip(NEXT) | instid1(VALU_DEP_1)
	v_min_u32_e32 v1, 32, v1
	v_subrev_nc_u32_e32 v2, 28, v1
	v_sub_nc_u32_e32 v1, 29, v1
	s_delay_alu instid0(VALU_DEP_2) | instskip(NEXT) | instid1(VALU_DEP_1)
	v_lshlrev_b64 v[2:3], v2, v[8:9]
	v_and_b32_e32 v32, 7, v2
; %bb.536:                              ;   in Loop: Header=BB373_11 Depth=1
	s_or_b32 exec_lo, exec_lo, s19
	v_lshlrev_b32_e32 v0, 8, v0
	v_lshl_add_u32 v1, v1, 10, 0x2000
	s_delay_alu instid0(VALU_DEP_1) | instskip(NEXT) | instid1(VALU_DEP_1)
	v_and_or_b32 v0, 0x8000, v0, v1
	v_lshl_or_b32 v0, v32, 7, v0
	s_delay_alu instid0(VALU_DEP_1)
	v_cvt_f32_f16_e32 v0, v0
	scratch_store_b32 off, v0, s32 offset:540 ; 4-byte Folded Spill
.LBB373_537:                            ;   in Loop: Header=BB373_11 Depth=1
	s_or_b32 exec_lo, exec_lo, s18
.LBB373_538:                            ;   in Loop: Header=BB373_11 Depth=1
	s_delay_alu instid0(SALU_CYCLE_1)
	s_or_b32 exec_lo, exec_lo, s17
.LBB373_539:                            ;   in Loop: Header=BB373_11 Depth=1
	s_delay_alu instid0(SALU_CYCLE_1) | instskip(SKIP_2) | instid1(VALU_DEP_1)
	s_or_b32 exec_lo, exec_lo, s15
	v_lshrrev_b32_e32 v0, 16, v30
	s_mov_b32 s15, exec_lo
	v_and_b32_e32 v1, 0xff, v0
	s_delay_alu instid0(VALU_DEP_1)
	v_cmpx_ne_u16_e32 0, v1
	s_cbranch_execz .LBB373_547
; %bb.540:                              ;   in Loop: Header=BB373_11 Depth=1
	v_cmp_ne_u16_e64 s1, 0x80, v1
	v_bfrev_b32_e32 v1, 1
	scratch_store_b32 off, v1, s32 offset:536 ; 4-byte Folded Spill
	s_and_saveexec_b32 s17, s1
	s_cbranch_execz .LBB373_546
; %bb.541:                              ;   in Loop: Header=BB373_11 Depth=1
	v_bfe_u32 v2, v30, 16, 7
	v_mov_b32_e32 v1, 0x7fc02000
	s_mov_b32 s18, exec_lo
	scratch_store_b32 off, v1, s32 offset:536 ; 4-byte Folded Spill
	v_cmpx_ne_u32_e32 0x7f, v2
	s_cbranch_execz .LBB373_545
; %bb.542:                              ;   in Loop: Header=BB373_11 Depth=1
	v_and_b32_e32 v8, 7, v0
	v_lshrrev_b32_e32 v1, 3, v2
	v_mov_b32_e32 v33, v9
	s_mov_b32 s19, exec_lo
	s_delay_alu instid0(VALU_DEP_3)
	v_mov_b32_e32 v32, v8
	v_cmpx_gt_u32_e32 8, v2
; %bb.543:                              ;   in Loop: Header=BB373_11 Depth=1
	v_clz_i32_u32_e32 v1, v8
	s_delay_alu instid0(VALU_DEP_1) | instskip(NEXT) | instid1(VALU_DEP_1)
	v_min_u32_e32 v1, 32, v1
	v_subrev_nc_u32_e32 v2, 28, v1
	v_sub_nc_u32_e32 v1, 29, v1
	s_delay_alu instid0(VALU_DEP_2) | instskip(NEXT) | instid1(VALU_DEP_1)
	v_lshlrev_b64 v[2:3], v2, v[8:9]
	v_and_b32_e32 v32, 7, v2
; %bb.544:                              ;   in Loop: Header=BB373_11 Depth=1
	s_or_b32 exec_lo, exec_lo, s19
	v_lshlrev_b32_e32 v0, 8, v0
	v_lshl_add_u32 v1, v1, 10, 0x2000
	s_delay_alu instid0(VALU_DEP_1) | instskip(NEXT) | instid1(VALU_DEP_1)
	v_and_or_b32 v0, 0x8000, v0, v1
	v_lshl_or_b32 v0, v32, 7, v0
	s_delay_alu instid0(VALU_DEP_1)
	v_cvt_f32_f16_e32 v0, v0
	scratch_store_b32 off, v0, s32 offset:536 ; 4-byte Folded Spill
.LBB373_545:                            ;   in Loop: Header=BB373_11 Depth=1
	s_or_b32 exec_lo, exec_lo, s18
.LBB373_546:                            ;   in Loop: Header=BB373_11 Depth=1
	s_delay_alu instid0(SALU_CYCLE_1)
	s_or_b32 exec_lo, exec_lo, s17
.LBB373_547:                            ;   in Loop: Header=BB373_11 Depth=1
	s_delay_alu instid0(SALU_CYCLE_1)
	s_or_b32 exec_lo, exec_lo, s15
	v_mov_b32_e32 v0, 0
	s_mov_b32 s15, exec_lo
	scratch_store_b32 off, v0, s32 offset:544 ; 4-byte Folded Spill
	v_mov_b32_e32 v0, 0
	scratch_store_b32 off, v0, s32 offset:548 ; 4-byte Folded Spill
	v_cmpx_lt_u32_e32 0xffffff, v30
	s_cbranch_execz .LBB373_555
; %bb.548:                              ;   in Loop: Header=BB373_11 Depth=1
	v_lshrrev_b32_e32 v0, 24, v30
	v_bfrev_b32_e32 v1, 1
	s_mov_b32 s17, exec_lo
	scratch_store_b32 off, v1, s32 offset:548 ; 4-byte Folded Spill
	v_cmpx_ne_u32_e32 0x80, v0
	s_cbranch_execz .LBB373_554
; %bb.549:                              ;   in Loop: Header=BB373_11 Depth=1
	v_and_b32_e32 v2, 0x7f, v0
	v_mov_b32_e32 v1, 0x7fc02000
	s_mov_b32 s18, exec_lo
	scratch_store_b32 off, v1, s32 offset:548 ; 4-byte Folded Spill
	v_cmpx_ne_u32_e32 0x7f, v2
	s_cbranch_execz .LBB373_553
; %bb.550:                              ;   in Loop: Header=BB373_11 Depth=1
	v_and_b32_e32 v8, 7, v0
	v_lshrrev_b32_e32 v1, 3, v2
	v_mov_b32_e32 v33, v9
	s_mov_b32 s19, exec_lo
	s_delay_alu instid0(VALU_DEP_3)
	v_mov_b32_e32 v32, v8
	v_cmpx_gt_u32_e32 8, v2
; %bb.551:                              ;   in Loop: Header=BB373_11 Depth=1
	v_clz_i32_u32_e32 v1, v8
	s_delay_alu instid0(VALU_DEP_1) | instskip(NEXT) | instid1(VALU_DEP_1)
	v_min_u32_e32 v1, 32, v1
	v_subrev_nc_u32_e32 v2, 28, v1
	v_sub_nc_u32_e32 v1, 29, v1
	s_delay_alu instid0(VALU_DEP_2) | instskip(NEXT) | instid1(VALU_DEP_1)
	v_lshlrev_b64 v[2:3], v2, v[8:9]
	v_and_b32_e32 v32, 7, v2
; %bb.552:                              ;   in Loop: Header=BB373_11 Depth=1
	s_or_b32 exec_lo, exec_lo, s19
	v_lshlrev_b32_e32 v0, 8, v0
	v_lshl_add_u32 v1, v1, 10, 0x2000
	s_delay_alu instid0(VALU_DEP_1) | instskip(NEXT) | instid1(VALU_DEP_1)
	v_and_or_b32 v0, 0x8000, v0, v1
	v_lshl_or_b32 v0, v32, 7, v0
	s_delay_alu instid0(VALU_DEP_1)
	v_cvt_f32_f16_e32 v0, v0
	scratch_store_b32 off, v0, s32 offset:548 ; 4-byte Folded Spill
.LBB373_553:                            ;   in Loop: Header=BB373_11 Depth=1
	s_or_b32 exec_lo, exec_lo, s18
.LBB373_554:                            ;   in Loop: Header=BB373_11 Depth=1
	s_delay_alu instid0(SALU_CYCLE_1)
	s_or_b32 exec_lo, exec_lo, s17
.LBB373_555:                            ;   in Loop: Header=BB373_11 Depth=1
	s_delay_alu instid0(SALU_CYCLE_1) | instskip(SKIP_3) | instid1(VALU_DEP_2)
	s_or_b32 exec_lo, exec_lo, s15
	v_and_b32_e32 v0, 0xff, v31
	v_mov_b32_e32 v8, v31
	s_mov_b32 s15, exec_lo
	v_cmpx_ne_u16_e32 0, v0
	s_cbranch_execz .LBB373_563
; %bb.556:                              ;   in Loop: Header=BB373_11 Depth=1
	v_cmp_ne_u16_e64 s1, 0x80, v0
	v_bfrev_b32_e32 v0, 1
	scratch_store_b32 off, v0, s32 offset:544 ; 4-byte Folded Spill
	s_and_saveexec_b32 s17, s1
	s_cbranch_execz .LBB373_562
; %bb.557:                              ;   in Loop: Header=BB373_11 Depth=1
	v_and_b32_e32 v1, 0x7f, v31
	v_mov_b32_e32 v0, 0x7fc02000
	s_mov_b32 s18, exec_lo
	scratch_store_b32 off, v0, s32 offset:544 ; 4-byte Folded Spill
	v_cmpx_ne_u32_e32 0x7f, v1
	s_cbranch_execz .LBB373_561
; %bb.558:                              ;   in Loop: Header=BB373_11 Depth=1
	v_lshrrev_b32_e32 v0, 3, v1
	v_dual_mov_b32 v33, v9 :: v_dual_mov_b32 v32, v8
	s_mov_b32 s19, exec_lo
	v_cmpx_gt_u32_e32 8, v1
; %bb.559:                              ;   in Loop: Header=BB373_11 Depth=1
	v_and_b32_e32 v0, 7, v31
	s_delay_alu instid0(VALU_DEP_1) | instskip(NEXT) | instid1(VALU_DEP_1)
	v_clz_i32_u32_e32 v0, v0
	v_min_u32_e32 v0, 32, v0
	s_delay_alu instid0(VALU_DEP_1) | instskip(SKIP_1) | instid1(VALU_DEP_2)
	v_subrev_nc_u32_e32 v1, 28, v0
	v_sub_nc_u32_e32 v0, 29, v0
	v_lshlrev_b64 v[32:33], v1, v[8:9]
; %bb.560:                              ;   in Loop: Header=BB373_11 Depth=1
	s_or_b32 exec_lo, exec_lo, s19
	v_lshlrev_b32_e32 v1, 8, v31
	s_delay_alu instid0(VALU_DEP_3) | instskip(NEXT) | instid1(VALU_DEP_3)
	v_lshl_add_u32 v0, v0, 10, 0x2000
	v_lshlrev_b32_e32 v2, 7, v32
	s_delay_alu instid0(VALU_DEP_2) | instskip(NEXT) | instid1(VALU_DEP_1)
	v_and_or_b32 v0, 0x8000, v1, v0
	v_and_or_b32 v0, 0x380, v2, v0
	s_delay_alu instid0(VALU_DEP_1)
	v_cvt_f32_f16_e32 v0, v0
	scratch_store_b32 off, v0, s32 offset:544 ; 4-byte Folded Spill
.LBB373_561:                            ;   in Loop: Header=BB373_11 Depth=1
	s_or_b32 exec_lo, exec_lo, s18
.LBB373_562:                            ;   in Loop: Header=BB373_11 Depth=1
	s_delay_alu instid0(SALU_CYCLE_1)
	s_or_b32 exec_lo, exec_lo, s17
.LBB373_563:                            ;   in Loop: Header=BB373_11 Depth=1
	s_delay_alu instid0(SALU_CYCLE_1)
	s_or_b32 exec_lo, exec_lo, s15
	v_mov_b32_e32 v1, 0
	v_lshrrev_b16 v0, 8, v8
	s_mov_b32 s15, exec_lo
	scratch_store_b32 off, v1, s32 offset:552 ; 4-byte Folded Spill
	v_mov_b32_e32 v1, 0
	scratch_store_b32 off, v1, s32 offset:556 ; 4-byte Folded Spill
	v_cmpx_ne_u16_e32 0, v0
	s_cbranch_execz .LBB373_571
; %bb.564:                              ;   in Loop: Header=BB373_11 Depth=1
	v_bfrev_b32_e32 v1, 1
	s_mov_b32 s17, exec_lo
	scratch_store_b32 off, v1, s32 offset:556 ; 4-byte Folded Spill
	v_cmpx_ne_u16_e32 0x80, v0
	s_cbranch_execz .LBB373_570
; %bb.565:                              ;   in Loop: Header=BB373_11 Depth=1
	v_and_b32_e32 v0, 0xffff, v0
	v_mov_b32_e32 v1, 0x7fc02000
	s_mov_b32 s18, exec_lo
	s_delay_alu instid0(VALU_DEP_2)
	v_and_b32_e32 v2, 0x7f, v0
	scratch_store_b32 off, v1, s32 offset:556 ; 4-byte Folded Spill
	v_cmpx_ne_u32_e32 0x7f, v2
	s_cbranch_execz .LBB373_569
; %bb.566:                              ;   in Loop: Header=BB373_11 Depth=1
	v_and_b32_e32 v8, 7, v0
	v_lshrrev_b32_e32 v1, 3, v2
	v_mov_b32_e32 v33, v9
	s_mov_b32 s19, exec_lo
	s_delay_alu instid0(VALU_DEP_3)
	v_mov_b32_e32 v32, v8
	v_cmpx_gt_u32_e32 8, v2
; %bb.567:                              ;   in Loop: Header=BB373_11 Depth=1
	v_clz_i32_u32_e32 v1, v8
	s_delay_alu instid0(VALU_DEP_1) | instskip(NEXT) | instid1(VALU_DEP_1)
	v_min_u32_e32 v1, 32, v1
	v_subrev_nc_u32_e32 v2, 28, v1
	v_sub_nc_u32_e32 v1, 29, v1
	s_delay_alu instid0(VALU_DEP_2) | instskip(NEXT) | instid1(VALU_DEP_1)
	v_lshlrev_b64 v[2:3], v2, v[8:9]
	v_and_b32_e32 v32, 7, v2
; %bb.568:                              ;   in Loop: Header=BB373_11 Depth=1
	s_or_b32 exec_lo, exec_lo, s19
	v_lshlrev_b32_e32 v0, 8, v0
	v_lshl_add_u32 v1, v1, 10, 0x2000
	s_delay_alu instid0(VALU_DEP_1) | instskip(NEXT) | instid1(VALU_DEP_1)
	v_and_or_b32 v0, 0x8000, v0, v1
	v_lshl_or_b32 v0, v32, 7, v0
	s_delay_alu instid0(VALU_DEP_1)
	v_cvt_f32_f16_e32 v0, v0
	scratch_store_b32 off, v0, s32 offset:556 ; 4-byte Folded Spill
.LBB373_569:                            ;   in Loop: Header=BB373_11 Depth=1
	s_or_b32 exec_lo, exec_lo, s18
.LBB373_570:                            ;   in Loop: Header=BB373_11 Depth=1
	s_delay_alu instid0(SALU_CYCLE_1)
	s_or_b32 exec_lo, exec_lo, s17
.LBB373_571:                            ;   in Loop: Header=BB373_11 Depth=1
	s_delay_alu instid0(SALU_CYCLE_1) | instskip(SKIP_2) | instid1(VALU_DEP_1)
	s_or_b32 exec_lo, exec_lo, s15
	v_lshrrev_b32_e32 v0, 16, v31
	s_mov_b32 s15, exec_lo
	v_and_b32_e32 v1, 0xff, v0
	s_delay_alu instid0(VALU_DEP_1)
	v_cmpx_ne_u16_e32 0, v1
	s_cbranch_execz .LBB373_579
; %bb.572:                              ;   in Loop: Header=BB373_11 Depth=1
	v_cmp_ne_u16_e64 s1, 0x80, v1
	v_bfrev_b32_e32 v1, 1
	scratch_store_b32 off, v1, s32 offset:552 ; 4-byte Folded Spill
	s_and_saveexec_b32 s17, s1
	s_cbranch_execz .LBB373_578
; %bb.573:                              ;   in Loop: Header=BB373_11 Depth=1
	v_bfe_u32 v2, v31, 16, 7
	v_mov_b32_e32 v1, 0x7fc02000
	s_mov_b32 s18, exec_lo
	scratch_store_b32 off, v1, s32 offset:552 ; 4-byte Folded Spill
	v_cmpx_ne_u32_e32 0x7f, v2
	s_cbranch_execz .LBB373_577
; %bb.574:                              ;   in Loop: Header=BB373_11 Depth=1
	v_and_b32_e32 v8, 7, v0
	v_lshrrev_b32_e32 v1, 3, v2
	v_mov_b32_e32 v33, v9
	s_mov_b32 s19, exec_lo
	s_delay_alu instid0(VALU_DEP_3)
	v_mov_b32_e32 v32, v8
	v_cmpx_gt_u32_e32 8, v2
; %bb.575:                              ;   in Loop: Header=BB373_11 Depth=1
	v_clz_i32_u32_e32 v1, v8
	s_delay_alu instid0(VALU_DEP_1) | instskip(NEXT) | instid1(VALU_DEP_1)
	v_min_u32_e32 v1, 32, v1
	v_subrev_nc_u32_e32 v2, 28, v1
	v_sub_nc_u32_e32 v1, 29, v1
	s_delay_alu instid0(VALU_DEP_2) | instskip(NEXT) | instid1(VALU_DEP_1)
	v_lshlrev_b64 v[2:3], v2, v[8:9]
	v_and_b32_e32 v32, 7, v2
; %bb.576:                              ;   in Loop: Header=BB373_11 Depth=1
	s_or_b32 exec_lo, exec_lo, s19
	v_lshlrev_b32_e32 v0, 8, v0
	v_lshl_add_u32 v1, v1, 10, 0x2000
	s_delay_alu instid0(VALU_DEP_1) | instskip(NEXT) | instid1(VALU_DEP_1)
	v_and_or_b32 v0, 0x8000, v0, v1
	v_lshl_or_b32 v0, v32, 7, v0
	s_delay_alu instid0(VALU_DEP_1)
	v_cvt_f32_f16_e32 v0, v0
	scratch_store_b32 off, v0, s32 offset:552 ; 4-byte Folded Spill
.LBB373_577:                            ;   in Loop: Header=BB373_11 Depth=1
	s_or_b32 exec_lo, exec_lo, s18
.LBB373_578:                            ;   in Loop: Header=BB373_11 Depth=1
	s_delay_alu instid0(SALU_CYCLE_1)
	s_or_b32 exec_lo, exec_lo, s17
.LBB373_579:                            ;   in Loop: Header=BB373_11 Depth=1
	s_delay_alu instid0(SALU_CYCLE_1)
	s_or_b32 exec_lo, exec_lo, s15
	v_dual_mov_b32 v0, 0 :: v_dual_mov_b32 v171, 0
	s_mov_b32 s15, exec_lo
	scratch_store_b32 off, v0, s32 offset:560 ; 4-byte Folded Spill
	v_cmpx_lt_u64_e64 s[2:3], v[30:31]
	s_cbranch_execz .LBB373_587
; %bb.580:                              ;   in Loop: Header=BB373_11 Depth=1
	v_lshrrev_b32_e32 v0, 24, v31
	v_bfrev_b32_e32 v171, 1
	s_mov_b32 s17, exec_lo
	s_delay_alu instid0(VALU_DEP_2)
	v_cmpx_ne_u32_e32 0x80, v0
	s_cbranch_execz .LBB373_586
; %bb.581:                              ;   in Loop: Header=BB373_11 Depth=1
	v_and_b32_e32 v2, 0x7f, v0
	v_mov_b32_e32 v171, 0x7fc02000
	s_mov_b32 s18, exec_lo
	s_delay_alu instid0(VALU_DEP_2)
	v_cmpx_ne_u32_e32 0x7f, v2
	s_cbranch_execz .LBB373_585
; %bb.582:                              ;   in Loop: Header=BB373_11 Depth=1
	v_and_b32_e32 v8, 7, v0
	v_lshrrev_b32_e32 v1, 3, v2
	v_mov_b32_e32 v31, v9
	s_mov_b32 s19, exec_lo
	s_delay_alu instid0(VALU_DEP_3)
	v_mov_b32_e32 v30, v8
	v_cmpx_gt_u32_e32 8, v2
; %bb.583:                              ;   in Loop: Header=BB373_11 Depth=1
	v_clz_i32_u32_e32 v1, v8
	s_delay_alu instid0(VALU_DEP_1) | instskip(NEXT) | instid1(VALU_DEP_1)
	v_min_u32_e32 v1, 32, v1
	v_subrev_nc_u32_e32 v2, 28, v1
	v_sub_nc_u32_e32 v1, 29, v1
	s_delay_alu instid0(VALU_DEP_2) | instskip(NEXT) | instid1(VALU_DEP_1)
	v_lshlrev_b64 v[2:3], v2, v[8:9]
	v_and_b32_e32 v30, 7, v2
; %bb.584:                              ;   in Loop: Header=BB373_11 Depth=1
	s_or_b32 exec_lo, exec_lo, s19
	v_lshlrev_b32_e32 v0, 8, v0
	v_lshl_add_u32 v1, v1, 10, 0x2000
	s_delay_alu instid0(VALU_DEP_1) | instskip(NEXT) | instid1(VALU_DEP_1)
	v_and_or_b32 v0, 0x8000, v0, v1
	v_lshl_or_b32 v0, v30, 7, v0
	s_delay_alu instid0(VALU_DEP_1)
	v_cvt_f32_f16_e64 v171, v0
.LBB373_585:                            ;   in Loop: Header=BB373_11 Depth=1
	s_or_b32 exec_lo, exec_lo, s18
.LBB373_586:                            ;   in Loop: Header=BB373_11 Depth=1
	s_delay_alu instid0(SALU_CYCLE_1)
	s_or_b32 exec_lo, exec_lo, s17
.LBB373_587:                            ;   in Loop: Header=BB373_11 Depth=1
	s_delay_alu instid0(SALU_CYCLE_1) | instskip(SKIP_4) | instid1(VALU_DEP_1)
	s_or_b32 exec_lo, exec_lo, s15
	flat_load_b64 v[30:31], v[28:29] offset:2056
	s_mov_b32 s15, exec_lo
	s_waitcnt vmcnt(0) lgkmcnt(0)
	v_and_b32_e32 v0, 0xff, v30
	v_cmpx_ne_u16_e32 0, v0
	s_cbranch_execz .LBB373_595
; %bb.588:                              ;   in Loop: Header=BB373_11 Depth=1
	v_cmp_ne_u16_e64 s1, 0x80, v0
	v_bfrev_b32_e32 v0, 1
	scratch_store_b32 off, v0, s32 offset:560 ; 4-byte Folded Spill
	s_and_saveexec_b32 s17, s1
	s_cbranch_execz .LBB373_594
; %bb.589:                              ;   in Loop: Header=BB373_11 Depth=1
	v_and_b32_e32 v1, 0x7f, v30
	v_mov_b32_e32 v0, 0x7fc02000
	s_mov_b32 s18, exec_lo
	scratch_store_b32 off, v0, s32 offset:560 ; 4-byte Folded Spill
	v_cmpx_ne_u32_e32 0x7f, v1
	s_cbranch_execz .LBB373_593
; %bb.590:                              ;   in Loop: Header=BB373_11 Depth=1
	v_lshrrev_b32_e32 v0, 3, v1
	v_dual_mov_b32 v33, v31 :: v_dual_mov_b32 v32, v30
	s_mov_b32 s19, exec_lo
	v_cmpx_gt_u32_e32 8, v1
; %bb.591:                              ;   in Loop: Header=BB373_11 Depth=1
	v_and_b32_e32 v0, 7, v30
	s_delay_alu instid0(VALU_DEP_1) | instskip(NEXT) | instid1(VALU_DEP_1)
	v_clz_i32_u32_e32 v0, v0
	v_min_u32_e32 v0, 32, v0
	s_delay_alu instid0(VALU_DEP_1) | instskip(SKIP_1) | instid1(VALU_DEP_2)
	v_subrev_nc_u32_e32 v1, 28, v0
	v_sub_nc_u32_e32 v0, 29, v0
	v_lshlrev_b64 v[32:33], v1, v[30:31]
; %bb.592:                              ;   in Loop: Header=BB373_11 Depth=1
	s_or_b32 exec_lo, exec_lo, s19
	v_lshlrev_b32_e32 v1, 8, v30
	s_delay_alu instid0(VALU_DEP_3) | instskip(NEXT) | instid1(VALU_DEP_3)
	v_lshl_add_u32 v0, v0, 10, 0x2000
	v_lshlrev_b32_e32 v2, 7, v32
	s_delay_alu instid0(VALU_DEP_2) | instskip(NEXT) | instid1(VALU_DEP_1)
	v_and_or_b32 v0, 0x8000, v1, v0
	v_and_or_b32 v0, 0x380, v2, v0
	s_delay_alu instid0(VALU_DEP_1)
	v_cvt_f32_f16_e32 v0, v0
	scratch_store_b32 off, v0, s32 offset:560 ; 4-byte Folded Spill
.LBB373_593:                            ;   in Loop: Header=BB373_11 Depth=1
	s_or_b32 exec_lo, exec_lo, s18
.LBB373_594:                            ;   in Loop: Header=BB373_11 Depth=1
	s_delay_alu instid0(SALU_CYCLE_1)
	s_or_b32 exec_lo, exec_lo, s17
.LBB373_595:                            ;   in Loop: Header=BB373_11 Depth=1
	s_delay_alu instid0(SALU_CYCLE_1)
	s_or_b32 exec_lo, exec_lo, s15
	v_mov_b32_e32 v1, 0
	v_lshrrev_b16 v0, 8, v30
	s_mov_b32 s15, exec_lo
	scratch_store_b32 off, v1, s32 offset:564 ; 4-byte Folded Spill
	v_mov_b32_e32 v1, 0
	scratch_store_b32 off, v1, s32 offset:568 ; 4-byte Folded Spill
	v_cmpx_ne_u16_e32 0, v0
	s_cbranch_execz .LBB373_603
; %bb.596:                              ;   in Loop: Header=BB373_11 Depth=1
	v_bfrev_b32_e32 v1, 1
	s_mov_b32 s17, exec_lo
	scratch_store_b32 off, v1, s32 offset:568 ; 4-byte Folded Spill
	v_cmpx_ne_u16_e32 0x80, v0
	s_cbranch_execz .LBB373_602
; %bb.597:                              ;   in Loop: Header=BB373_11 Depth=1
	v_and_b32_e32 v0, 0xffff, v0
	v_mov_b32_e32 v1, 0x7fc02000
	s_mov_b32 s18, exec_lo
	s_delay_alu instid0(VALU_DEP_2)
	v_and_b32_e32 v2, 0x7f, v0
	scratch_store_b32 off, v1, s32 offset:568 ; 4-byte Folded Spill
	v_cmpx_ne_u32_e32 0x7f, v2
	s_cbranch_execz .LBB373_601
; %bb.598:                              ;   in Loop: Header=BB373_11 Depth=1
	v_and_b32_e32 v8, 7, v0
	v_lshrrev_b32_e32 v1, 3, v2
	v_mov_b32_e32 v33, v9
	s_mov_b32 s19, exec_lo
	s_delay_alu instid0(VALU_DEP_3)
	v_mov_b32_e32 v32, v8
	v_cmpx_gt_u32_e32 8, v2
; %bb.599:                              ;   in Loop: Header=BB373_11 Depth=1
	v_clz_i32_u32_e32 v1, v8
	s_delay_alu instid0(VALU_DEP_1) | instskip(NEXT) | instid1(VALU_DEP_1)
	v_min_u32_e32 v1, 32, v1
	v_subrev_nc_u32_e32 v2, 28, v1
	v_sub_nc_u32_e32 v1, 29, v1
	s_delay_alu instid0(VALU_DEP_2) | instskip(NEXT) | instid1(VALU_DEP_1)
	v_lshlrev_b64 v[2:3], v2, v[8:9]
	v_and_b32_e32 v32, 7, v2
; %bb.600:                              ;   in Loop: Header=BB373_11 Depth=1
	s_or_b32 exec_lo, exec_lo, s19
	v_lshlrev_b32_e32 v0, 8, v0
	v_lshl_add_u32 v1, v1, 10, 0x2000
	s_delay_alu instid0(VALU_DEP_1) | instskip(NEXT) | instid1(VALU_DEP_1)
	v_and_or_b32 v0, 0x8000, v0, v1
	v_lshl_or_b32 v0, v32, 7, v0
	s_delay_alu instid0(VALU_DEP_1)
	v_cvt_f32_f16_e32 v0, v0
	scratch_store_b32 off, v0, s32 offset:568 ; 4-byte Folded Spill
.LBB373_601:                            ;   in Loop: Header=BB373_11 Depth=1
	s_or_b32 exec_lo, exec_lo, s18
.LBB373_602:                            ;   in Loop: Header=BB373_11 Depth=1
	s_delay_alu instid0(SALU_CYCLE_1)
	s_or_b32 exec_lo, exec_lo, s17
.LBB373_603:                            ;   in Loop: Header=BB373_11 Depth=1
	s_delay_alu instid0(SALU_CYCLE_1) | instskip(SKIP_2) | instid1(VALU_DEP_1)
	s_or_b32 exec_lo, exec_lo, s15
	v_lshrrev_b32_e32 v0, 16, v30
	s_mov_b32 s15, exec_lo
	v_and_b32_e32 v1, 0xff, v0
	s_delay_alu instid0(VALU_DEP_1)
	v_cmpx_ne_u16_e32 0, v1
	s_cbranch_execz .LBB373_611
; %bb.604:                              ;   in Loop: Header=BB373_11 Depth=1
	v_cmp_ne_u16_e64 s1, 0x80, v1
	v_bfrev_b32_e32 v1, 1
	scratch_store_b32 off, v1, s32 offset:564 ; 4-byte Folded Spill
	s_and_saveexec_b32 s17, s1
	s_cbranch_execz .LBB373_610
; %bb.605:                              ;   in Loop: Header=BB373_11 Depth=1
	v_bfe_u32 v2, v30, 16, 7
	v_mov_b32_e32 v1, 0x7fc02000
	s_mov_b32 s18, exec_lo
	scratch_store_b32 off, v1, s32 offset:564 ; 4-byte Folded Spill
	v_cmpx_ne_u32_e32 0x7f, v2
	s_cbranch_execz .LBB373_609
; %bb.606:                              ;   in Loop: Header=BB373_11 Depth=1
	v_and_b32_e32 v8, 7, v0
	v_lshrrev_b32_e32 v1, 3, v2
	v_mov_b32_e32 v33, v9
	s_mov_b32 s19, exec_lo
	s_delay_alu instid0(VALU_DEP_3)
	v_mov_b32_e32 v32, v8
	v_cmpx_gt_u32_e32 8, v2
; %bb.607:                              ;   in Loop: Header=BB373_11 Depth=1
	v_clz_i32_u32_e32 v1, v8
	s_delay_alu instid0(VALU_DEP_1) | instskip(NEXT) | instid1(VALU_DEP_1)
	v_min_u32_e32 v1, 32, v1
	v_subrev_nc_u32_e32 v2, 28, v1
	v_sub_nc_u32_e32 v1, 29, v1
	s_delay_alu instid0(VALU_DEP_2) | instskip(NEXT) | instid1(VALU_DEP_1)
	v_lshlrev_b64 v[2:3], v2, v[8:9]
	v_and_b32_e32 v32, 7, v2
; %bb.608:                              ;   in Loop: Header=BB373_11 Depth=1
	s_or_b32 exec_lo, exec_lo, s19
	v_lshlrev_b32_e32 v0, 8, v0
	v_lshl_add_u32 v1, v1, 10, 0x2000
	s_delay_alu instid0(VALU_DEP_1) | instskip(NEXT) | instid1(VALU_DEP_1)
	v_and_or_b32 v0, 0x8000, v0, v1
	v_lshl_or_b32 v0, v32, 7, v0
	s_delay_alu instid0(VALU_DEP_1)
	v_cvt_f32_f16_e32 v0, v0
	scratch_store_b32 off, v0, s32 offset:564 ; 4-byte Folded Spill
.LBB373_609:                            ;   in Loop: Header=BB373_11 Depth=1
	s_or_b32 exec_lo, exec_lo, s18
.LBB373_610:                            ;   in Loop: Header=BB373_11 Depth=1
	s_delay_alu instid0(SALU_CYCLE_1)
	s_or_b32 exec_lo, exec_lo, s17
.LBB373_611:                            ;   in Loop: Header=BB373_11 Depth=1
	s_delay_alu instid0(SALU_CYCLE_1)
	s_or_b32 exec_lo, exec_lo, s15
	v_mov_b32_e32 v0, 0
	s_mov_b32 s15, exec_lo
	scratch_store_b32 off, v0, s32 offset:572 ; 4-byte Folded Spill
	v_mov_b32_e32 v0, 0
	scratch_store_b32 off, v0, s32 offset:576 ; 4-byte Folded Spill
	v_cmpx_lt_u32_e32 0xffffff, v30
	s_cbranch_execz .LBB373_619
; %bb.612:                              ;   in Loop: Header=BB373_11 Depth=1
	v_lshrrev_b32_e32 v0, 24, v30
	v_bfrev_b32_e32 v1, 1
	s_mov_b32 s17, exec_lo
	scratch_store_b32 off, v1, s32 offset:576 ; 4-byte Folded Spill
	v_cmpx_ne_u32_e32 0x80, v0
	s_cbranch_execz .LBB373_618
; %bb.613:                              ;   in Loop: Header=BB373_11 Depth=1
	v_and_b32_e32 v2, 0x7f, v0
	v_mov_b32_e32 v1, 0x7fc02000
	s_mov_b32 s18, exec_lo
	scratch_store_b32 off, v1, s32 offset:576 ; 4-byte Folded Spill
	v_cmpx_ne_u32_e32 0x7f, v2
	s_cbranch_execz .LBB373_617
; %bb.614:                              ;   in Loop: Header=BB373_11 Depth=1
	v_and_b32_e32 v8, 7, v0
	v_lshrrev_b32_e32 v1, 3, v2
	v_mov_b32_e32 v33, v9
	s_mov_b32 s19, exec_lo
	s_delay_alu instid0(VALU_DEP_3)
	v_mov_b32_e32 v32, v8
	v_cmpx_gt_u32_e32 8, v2
; %bb.615:                              ;   in Loop: Header=BB373_11 Depth=1
	v_clz_i32_u32_e32 v1, v8
	s_delay_alu instid0(VALU_DEP_1) | instskip(NEXT) | instid1(VALU_DEP_1)
	v_min_u32_e32 v1, 32, v1
	v_subrev_nc_u32_e32 v2, 28, v1
	v_sub_nc_u32_e32 v1, 29, v1
	s_delay_alu instid0(VALU_DEP_2) | instskip(NEXT) | instid1(VALU_DEP_1)
	v_lshlrev_b64 v[2:3], v2, v[8:9]
	v_and_b32_e32 v32, 7, v2
; %bb.616:                              ;   in Loop: Header=BB373_11 Depth=1
	s_or_b32 exec_lo, exec_lo, s19
	v_lshlrev_b32_e32 v0, 8, v0
	v_lshl_add_u32 v1, v1, 10, 0x2000
	s_delay_alu instid0(VALU_DEP_1) | instskip(NEXT) | instid1(VALU_DEP_1)
	v_and_or_b32 v0, 0x8000, v0, v1
	v_lshl_or_b32 v0, v32, 7, v0
	s_delay_alu instid0(VALU_DEP_1)
	v_cvt_f32_f16_e32 v0, v0
	scratch_store_b32 off, v0, s32 offset:576 ; 4-byte Folded Spill
.LBB373_617:                            ;   in Loop: Header=BB373_11 Depth=1
	s_or_b32 exec_lo, exec_lo, s18
.LBB373_618:                            ;   in Loop: Header=BB373_11 Depth=1
	s_delay_alu instid0(SALU_CYCLE_1)
	s_or_b32 exec_lo, exec_lo, s17
.LBB373_619:                            ;   in Loop: Header=BB373_11 Depth=1
	s_delay_alu instid0(SALU_CYCLE_1) | instskip(SKIP_3) | instid1(VALU_DEP_2)
	s_or_b32 exec_lo, exec_lo, s15
	v_and_b32_e32 v0, 0xff, v31
	v_mov_b32_e32 v8, v31
	s_mov_b32 s15, exec_lo
	v_cmpx_ne_u16_e32 0, v0
	s_cbranch_execz .LBB373_627
; %bb.620:                              ;   in Loop: Header=BB373_11 Depth=1
	v_cmp_ne_u16_e64 s1, 0x80, v0
	v_bfrev_b32_e32 v0, 1
	scratch_store_b32 off, v0, s32 offset:572 ; 4-byte Folded Spill
	s_and_saveexec_b32 s17, s1
	s_cbranch_execz .LBB373_626
; %bb.621:                              ;   in Loop: Header=BB373_11 Depth=1
	v_and_b32_e32 v1, 0x7f, v31
	v_mov_b32_e32 v0, 0x7fc02000
	s_mov_b32 s18, exec_lo
	scratch_store_b32 off, v0, s32 offset:572 ; 4-byte Folded Spill
	v_cmpx_ne_u32_e32 0x7f, v1
	s_cbranch_execz .LBB373_625
; %bb.622:                              ;   in Loop: Header=BB373_11 Depth=1
	v_lshrrev_b32_e32 v0, 3, v1
	v_dual_mov_b32 v33, v9 :: v_dual_mov_b32 v32, v8
	s_mov_b32 s19, exec_lo
	v_cmpx_gt_u32_e32 8, v1
; %bb.623:                              ;   in Loop: Header=BB373_11 Depth=1
	v_and_b32_e32 v0, 7, v31
	s_delay_alu instid0(VALU_DEP_1) | instskip(NEXT) | instid1(VALU_DEP_1)
	v_clz_i32_u32_e32 v0, v0
	v_min_u32_e32 v0, 32, v0
	s_delay_alu instid0(VALU_DEP_1) | instskip(SKIP_1) | instid1(VALU_DEP_2)
	v_subrev_nc_u32_e32 v1, 28, v0
	v_sub_nc_u32_e32 v0, 29, v0
	v_lshlrev_b64 v[32:33], v1, v[8:9]
; %bb.624:                              ;   in Loop: Header=BB373_11 Depth=1
	s_or_b32 exec_lo, exec_lo, s19
	v_lshlrev_b32_e32 v1, 8, v31
	s_delay_alu instid0(VALU_DEP_3) | instskip(NEXT) | instid1(VALU_DEP_3)
	v_lshl_add_u32 v0, v0, 10, 0x2000
	v_lshlrev_b32_e32 v2, 7, v32
	s_delay_alu instid0(VALU_DEP_2) | instskip(NEXT) | instid1(VALU_DEP_1)
	v_and_or_b32 v0, 0x8000, v1, v0
	v_and_or_b32 v0, 0x380, v2, v0
	s_delay_alu instid0(VALU_DEP_1)
	v_cvt_f32_f16_e32 v0, v0
	scratch_store_b32 off, v0, s32 offset:572 ; 4-byte Folded Spill
.LBB373_625:                            ;   in Loop: Header=BB373_11 Depth=1
	s_or_b32 exec_lo, exec_lo, s18
.LBB373_626:                            ;   in Loop: Header=BB373_11 Depth=1
	s_delay_alu instid0(SALU_CYCLE_1)
	s_or_b32 exec_lo, exec_lo, s17
.LBB373_627:                            ;   in Loop: Header=BB373_11 Depth=1
	s_delay_alu instid0(SALU_CYCLE_1)
	s_or_b32 exec_lo, exec_lo, s15
	v_mov_b32_e32 v1, 0
	v_lshrrev_b16 v0, 8, v8
	s_mov_b32 s15, exec_lo
	scratch_store_b32 off, v1, s32 offset:580 ; 4-byte Folded Spill
	v_mov_b32_e32 v1, 0
	scratch_store_b32 off, v1, s32 offset:584 ; 4-byte Folded Spill
	v_cmpx_ne_u16_e32 0, v0
	s_cbranch_execz .LBB373_635
; %bb.628:                              ;   in Loop: Header=BB373_11 Depth=1
	v_bfrev_b32_e32 v1, 1
	s_mov_b32 s17, exec_lo
	scratch_store_b32 off, v1, s32 offset:584 ; 4-byte Folded Spill
	v_cmpx_ne_u16_e32 0x80, v0
	s_cbranch_execz .LBB373_634
; %bb.629:                              ;   in Loop: Header=BB373_11 Depth=1
	v_and_b32_e32 v0, 0xffff, v0
	v_mov_b32_e32 v1, 0x7fc02000
	s_mov_b32 s18, exec_lo
	s_delay_alu instid0(VALU_DEP_2)
	v_and_b32_e32 v2, 0x7f, v0
	scratch_store_b32 off, v1, s32 offset:584 ; 4-byte Folded Spill
	v_cmpx_ne_u32_e32 0x7f, v2
	s_cbranch_execz .LBB373_633
; %bb.630:                              ;   in Loop: Header=BB373_11 Depth=1
	v_and_b32_e32 v8, 7, v0
	v_lshrrev_b32_e32 v1, 3, v2
	v_mov_b32_e32 v33, v9
	s_mov_b32 s19, exec_lo
	s_delay_alu instid0(VALU_DEP_3)
	v_mov_b32_e32 v32, v8
	v_cmpx_gt_u32_e32 8, v2
; %bb.631:                              ;   in Loop: Header=BB373_11 Depth=1
	v_clz_i32_u32_e32 v1, v8
	s_delay_alu instid0(VALU_DEP_1) | instskip(NEXT) | instid1(VALU_DEP_1)
	v_min_u32_e32 v1, 32, v1
	v_subrev_nc_u32_e32 v2, 28, v1
	v_sub_nc_u32_e32 v1, 29, v1
	s_delay_alu instid0(VALU_DEP_2) | instskip(NEXT) | instid1(VALU_DEP_1)
	v_lshlrev_b64 v[2:3], v2, v[8:9]
	v_and_b32_e32 v32, 7, v2
; %bb.632:                              ;   in Loop: Header=BB373_11 Depth=1
	s_or_b32 exec_lo, exec_lo, s19
	v_lshlrev_b32_e32 v0, 8, v0
	v_lshl_add_u32 v1, v1, 10, 0x2000
	s_delay_alu instid0(VALU_DEP_1) | instskip(NEXT) | instid1(VALU_DEP_1)
	v_and_or_b32 v0, 0x8000, v0, v1
	v_lshl_or_b32 v0, v32, 7, v0
	s_delay_alu instid0(VALU_DEP_1)
	v_cvt_f32_f16_e32 v0, v0
	scratch_store_b32 off, v0, s32 offset:584 ; 4-byte Folded Spill
.LBB373_633:                            ;   in Loop: Header=BB373_11 Depth=1
	s_or_b32 exec_lo, exec_lo, s18
.LBB373_634:                            ;   in Loop: Header=BB373_11 Depth=1
	s_delay_alu instid0(SALU_CYCLE_1)
	s_or_b32 exec_lo, exec_lo, s17
.LBB373_635:                            ;   in Loop: Header=BB373_11 Depth=1
	s_delay_alu instid0(SALU_CYCLE_1) | instskip(SKIP_2) | instid1(VALU_DEP_1)
	s_or_b32 exec_lo, exec_lo, s15
	v_lshrrev_b32_e32 v0, 16, v31
	s_mov_b32 s15, exec_lo
	v_and_b32_e32 v1, 0xff, v0
	s_delay_alu instid0(VALU_DEP_1)
	v_cmpx_ne_u16_e32 0, v1
	s_cbranch_execz .LBB373_643
; %bb.636:                              ;   in Loop: Header=BB373_11 Depth=1
	v_cmp_ne_u16_e64 s1, 0x80, v1
	v_bfrev_b32_e32 v1, 1
	scratch_store_b32 off, v1, s32 offset:580 ; 4-byte Folded Spill
	s_and_saveexec_b32 s17, s1
	s_cbranch_execz .LBB373_642
; %bb.637:                              ;   in Loop: Header=BB373_11 Depth=1
	v_bfe_u32 v2, v31, 16, 7
	v_mov_b32_e32 v1, 0x7fc02000
	s_mov_b32 s18, exec_lo
	scratch_store_b32 off, v1, s32 offset:580 ; 4-byte Folded Spill
	v_cmpx_ne_u32_e32 0x7f, v2
	s_cbranch_execz .LBB373_641
; %bb.638:                              ;   in Loop: Header=BB373_11 Depth=1
	v_and_b32_e32 v8, 7, v0
	v_lshrrev_b32_e32 v1, 3, v2
	v_mov_b32_e32 v33, v9
	s_mov_b32 s19, exec_lo
	s_delay_alu instid0(VALU_DEP_3)
	v_mov_b32_e32 v32, v8
	v_cmpx_gt_u32_e32 8, v2
; %bb.639:                              ;   in Loop: Header=BB373_11 Depth=1
	v_clz_i32_u32_e32 v1, v8
	s_delay_alu instid0(VALU_DEP_1) | instskip(NEXT) | instid1(VALU_DEP_1)
	v_min_u32_e32 v1, 32, v1
	v_subrev_nc_u32_e32 v2, 28, v1
	v_sub_nc_u32_e32 v1, 29, v1
	s_delay_alu instid0(VALU_DEP_2) | instskip(NEXT) | instid1(VALU_DEP_1)
	v_lshlrev_b64 v[2:3], v2, v[8:9]
	v_and_b32_e32 v32, 7, v2
; %bb.640:                              ;   in Loop: Header=BB373_11 Depth=1
	s_or_b32 exec_lo, exec_lo, s19
	v_lshlrev_b32_e32 v0, 8, v0
	v_lshl_add_u32 v1, v1, 10, 0x2000
	s_delay_alu instid0(VALU_DEP_1) | instskip(NEXT) | instid1(VALU_DEP_1)
	v_and_or_b32 v0, 0x8000, v0, v1
	v_lshl_or_b32 v0, v32, 7, v0
	s_delay_alu instid0(VALU_DEP_1)
	v_cvt_f32_f16_e32 v0, v0
	scratch_store_b32 off, v0, s32 offset:580 ; 4-byte Folded Spill
.LBB373_641:                            ;   in Loop: Header=BB373_11 Depth=1
	s_or_b32 exec_lo, exec_lo, s18
.LBB373_642:                            ;   in Loop: Header=BB373_11 Depth=1
	s_delay_alu instid0(SALU_CYCLE_1)
	s_or_b32 exec_lo, exec_lo, s17
.LBB373_643:                            ;   in Loop: Header=BB373_11 Depth=1
	s_delay_alu instid0(SALU_CYCLE_1)
	s_or_b32 exec_lo, exec_lo, s15
	v_dual_mov_b32 v0, 0 :: v_dual_mov_b32 v185, 0
	s_mov_b32 s15, exec_lo
	scratch_store_b32 off, v0, s32 offset:588 ; 4-byte Folded Spill
	v_cmpx_lt_u64_e64 s[2:3], v[30:31]
	s_cbranch_execz .LBB373_651
; %bb.644:                              ;   in Loop: Header=BB373_11 Depth=1
	v_lshrrev_b32_e32 v0, 24, v31
	v_bfrev_b32_e32 v185, 1
	s_mov_b32 s17, exec_lo
	s_delay_alu instid0(VALU_DEP_2)
	v_cmpx_ne_u32_e32 0x80, v0
	s_cbranch_execz .LBB373_650
; %bb.645:                              ;   in Loop: Header=BB373_11 Depth=1
	v_and_b32_e32 v2, 0x7f, v0
	v_mov_b32_e32 v185, 0x7fc02000
	s_mov_b32 s18, exec_lo
	s_delay_alu instid0(VALU_DEP_2)
	v_cmpx_ne_u32_e32 0x7f, v2
	s_cbranch_execz .LBB373_649
; %bb.646:                              ;   in Loop: Header=BB373_11 Depth=1
	v_and_b32_e32 v8, 7, v0
	v_lshrrev_b32_e32 v1, 3, v2
	v_mov_b32_e32 v31, v9
	s_mov_b32 s19, exec_lo
	s_delay_alu instid0(VALU_DEP_3)
	v_mov_b32_e32 v30, v8
	v_cmpx_gt_u32_e32 8, v2
; %bb.647:                              ;   in Loop: Header=BB373_11 Depth=1
	v_clz_i32_u32_e32 v1, v8
	s_delay_alu instid0(VALU_DEP_1) | instskip(NEXT) | instid1(VALU_DEP_1)
	v_min_u32_e32 v1, 32, v1
	v_subrev_nc_u32_e32 v2, 28, v1
	v_sub_nc_u32_e32 v1, 29, v1
	s_delay_alu instid0(VALU_DEP_2) | instskip(NEXT) | instid1(VALU_DEP_1)
	v_lshlrev_b64 v[2:3], v2, v[8:9]
	v_and_b32_e32 v30, 7, v2
; %bb.648:                              ;   in Loop: Header=BB373_11 Depth=1
	s_or_b32 exec_lo, exec_lo, s19
	v_lshlrev_b32_e32 v0, 8, v0
	v_lshl_add_u32 v1, v1, 10, 0x2000
	s_delay_alu instid0(VALU_DEP_1) | instskip(NEXT) | instid1(VALU_DEP_1)
	v_and_or_b32 v0, 0x8000, v0, v1
	v_lshl_or_b32 v0, v30, 7, v0
	s_delay_alu instid0(VALU_DEP_1)
	v_cvt_f32_f16_e64 v185, v0
.LBB373_649:                            ;   in Loop: Header=BB373_11 Depth=1
	s_or_b32 exec_lo, exec_lo, s18
.LBB373_650:                            ;   in Loop: Header=BB373_11 Depth=1
	s_delay_alu instid0(SALU_CYCLE_1)
	s_or_b32 exec_lo, exec_lo, s17
.LBB373_651:                            ;   in Loop: Header=BB373_11 Depth=1
	s_delay_alu instid0(SALU_CYCLE_1) | instskip(SKIP_4) | instid1(VALU_DEP_1)
	s_or_b32 exec_lo, exec_lo, s15
	flat_load_b64 v[30:31], v[28:29] offset:2560
	s_mov_b32 s15, exec_lo
	s_waitcnt vmcnt(0) lgkmcnt(0)
	v_and_b32_e32 v0, 0xff, v30
	v_cmpx_ne_u16_e32 0, v0
	s_cbranch_execz .LBB373_659
; %bb.652:                              ;   in Loop: Header=BB373_11 Depth=1
	v_cmp_ne_u16_e64 s1, 0x80, v0
	v_bfrev_b32_e32 v0, 1
	scratch_store_b32 off, v0, s32 offset:588 ; 4-byte Folded Spill
	s_and_saveexec_b32 s17, s1
	s_cbranch_execz .LBB373_658
; %bb.653:                              ;   in Loop: Header=BB373_11 Depth=1
	v_and_b32_e32 v1, 0x7f, v30
	v_mov_b32_e32 v0, 0x7fc02000
	s_mov_b32 s18, exec_lo
	scratch_store_b32 off, v0, s32 offset:588 ; 4-byte Folded Spill
	v_cmpx_ne_u32_e32 0x7f, v1
	s_cbranch_execz .LBB373_657
; %bb.654:                              ;   in Loop: Header=BB373_11 Depth=1
	v_lshrrev_b32_e32 v0, 3, v1
	v_dual_mov_b32 v33, v31 :: v_dual_mov_b32 v32, v30
	s_mov_b32 s19, exec_lo
	v_cmpx_gt_u32_e32 8, v1
; %bb.655:                              ;   in Loop: Header=BB373_11 Depth=1
	v_and_b32_e32 v0, 7, v30
	s_delay_alu instid0(VALU_DEP_1) | instskip(NEXT) | instid1(VALU_DEP_1)
	v_clz_i32_u32_e32 v0, v0
	v_min_u32_e32 v0, 32, v0
	s_delay_alu instid0(VALU_DEP_1) | instskip(SKIP_1) | instid1(VALU_DEP_2)
	v_subrev_nc_u32_e32 v1, 28, v0
	v_sub_nc_u32_e32 v0, 29, v0
	v_lshlrev_b64 v[32:33], v1, v[30:31]
; %bb.656:                              ;   in Loop: Header=BB373_11 Depth=1
	s_or_b32 exec_lo, exec_lo, s19
	v_lshlrev_b32_e32 v1, 8, v30
	s_delay_alu instid0(VALU_DEP_3) | instskip(NEXT) | instid1(VALU_DEP_3)
	v_lshl_add_u32 v0, v0, 10, 0x2000
	v_lshlrev_b32_e32 v2, 7, v32
	s_delay_alu instid0(VALU_DEP_2) | instskip(NEXT) | instid1(VALU_DEP_1)
	v_and_or_b32 v0, 0x8000, v1, v0
	v_and_or_b32 v0, 0x380, v2, v0
	s_delay_alu instid0(VALU_DEP_1)
	v_cvt_f32_f16_e32 v0, v0
	scratch_store_b32 off, v0, s32 offset:588 ; 4-byte Folded Spill
.LBB373_657:                            ;   in Loop: Header=BB373_11 Depth=1
	s_or_b32 exec_lo, exec_lo, s18
.LBB373_658:                            ;   in Loop: Header=BB373_11 Depth=1
	s_delay_alu instid0(SALU_CYCLE_1)
	s_or_b32 exec_lo, exec_lo, s17
.LBB373_659:                            ;   in Loop: Header=BB373_11 Depth=1
	s_delay_alu instid0(SALU_CYCLE_1)
	s_or_b32 exec_lo, exec_lo, s15
	v_mov_b32_e32 v1, 0
	v_lshrrev_b16 v0, 8, v30
	s_mov_b32 s15, exec_lo
	scratch_store_b32 off, v1, s32 offset:592 ; 4-byte Folded Spill
	v_mov_b32_e32 v1, 0
	scratch_store_b32 off, v1, s32 offset:596 ; 4-byte Folded Spill
	v_cmpx_ne_u16_e32 0, v0
	s_cbranch_execz .LBB373_667
; %bb.660:                              ;   in Loop: Header=BB373_11 Depth=1
	v_bfrev_b32_e32 v1, 1
	s_mov_b32 s17, exec_lo
	scratch_store_b32 off, v1, s32 offset:596 ; 4-byte Folded Spill
	v_cmpx_ne_u16_e32 0x80, v0
	s_cbranch_execz .LBB373_666
; %bb.661:                              ;   in Loop: Header=BB373_11 Depth=1
	v_and_b32_e32 v0, 0xffff, v0
	v_mov_b32_e32 v1, 0x7fc02000
	s_mov_b32 s18, exec_lo
	s_delay_alu instid0(VALU_DEP_2)
	v_and_b32_e32 v2, 0x7f, v0
	scratch_store_b32 off, v1, s32 offset:596 ; 4-byte Folded Spill
	v_cmpx_ne_u32_e32 0x7f, v2
	s_cbranch_execz .LBB373_665
; %bb.662:                              ;   in Loop: Header=BB373_11 Depth=1
	v_and_b32_e32 v8, 7, v0
	v_lshrrev_b32_e32 v1, 3, v2
	v_mov_b32_e32 v33, v9
	s_mov_b32 s19, exec_lo
	s_delay_alu instid0(VALU_DEP_3)
	v_mov_b32_e32 v32, v8
	v_cmpx_gt_u32_e32 8, v2
; %bb.663:                              ;   in Loop: Header=BB373_11 Depth=1
	v_clz_i32_u32_e32 v1, v8
	s_delay_alu instid0(VALU_DEP_1) | instskip(NEXT) | instid1(VALU_DEP_1)
	v_min_u32_e32 v1, 32, v1
	v_subrev_nc_u32_e32 v2, 28, v1
	v_sub_nc_u32_e32 v1, 29, v1
	s_delay_alu instid0(VALU_DEP_2) | instskip(NEXT) | instid1(VALU_DEP_1)
	v_lshlrev_b64 v[2:3], v2, v[8:9]
	v_and_b32_e32 v32, 7, v2
; %bb.664:                              ;   in Loop: Header=BB373_11 Depth=1
	s_or_b32 exec_lo, exec_lo, s19
	v_lshlrev_b32_e32 v0, 8, v0
	v_lshl_add_u32 v1, v1, 10, 0x2000
	s_delay_alu instid0(VALU_DEP_1) | instskip(NEXT) | instid1(VALU_DEP_1)
	v_and_or_b32 v0, 0x8000, v0, v1
	v_lshl_or_b32 v0, v32, 7, v0
	s_delay_alu instid0(VALU_DEP_1)
	v_cvt_f32_f16_e32 v0, v0
	scratch_store_b32 off, v0, s32 offset:596 ; 4-byte Folded Spill
.LBB373_665:                            ;   in Loop: Header=BB373_11 Depth=1
	s_or_b32 exec_lo, exec_lo, s18
.LBB373_666:                            ;   in Loop: Header=BB373_11 Depth=1
	s_delay_alu instid0(SALU_CYCLE_1)
	s_or_b32 exec_lo, exec_lo, s17
.LBB373_667:                            ;   in Loop: Header=BB373_11 Depth=1
	s_delay_alu instid0(SALU_CYCLE_1) | instskip(SKIP_2) | instid1(VALU_DEP_1)
	s_or_b32 exec_lo, exec_lo, s15
	v_lshrrev_b32_e32 v0, 16, v30
	s_mov_b32 s15, exec_lo
	v_and_b32_e32 v1, 0xff, v0
	s_delay_alu instid0(VALU_DEP_1)
	v_cmpx_ne_u16_e32 0, v1
	s_cbranch_execz .LBB373_675
; %bb.668:                              ;   in Loop: Header=BB373_11 Depth=1
	v_cmp_ne_u16_e64 s1, 0x80, v1
	v_bfrev_b32_e32 v1, 1
	scratch_store_b32 off, v1, s32 offset:592 ; 4-byte Folded Spill
	s_and_saveexec_b32 s17, s1
	s_cbranch_execz .LBB373_674
; %bb.669:                              ;   in Loop: Header=BB373_11 Depth=1
	v_bfe_u32 v2, v30, 16, 7
	v_mov_b32_e32 v1, 0x7fc02000
	s_mov_b32 s18, exec_lo
	scratch_store_b32 off, v1, s32 offset:592 ; 4-byte Folded Spill
	v_cmpx_ne_u32_e32 0x7f, v2
	s_cbranch_execz .LBB373_673
; %bb.670:                              ;   in Loop: Header=BB373_11 Depth=1
	v_and_b32_e32 v8, 7, v0
	v_lshrrev_b32_e32 v1, 3, v2
	v_mov_b32_e32 v33, v9
	s_mov_b32 s19, exec_lo
	s_delay_alu instid0(VALU_DEP_3)
	v_mov_b32_e32 v32, v8
	v_cmpx_gt_u32_e32 8, v2
; %bb.671:                              ;   in Loop: Header=BB373_11 Depth=1
	v_clz_i32_u32_e32 v1, v8
	s_delay_alu instid0(VALU_DEP_1) | instskip(NEXT) | instid1(VALU_DEP_1)
	v_min_u32_e32 v1, 32, v1
	v_subrev_nc_u32_e32 v2, 28, v1
	v_sub_nc_u32_e32 v1, 29, v1
	s_delay_alu instid0(VALU_DEP_2) | instskip(NEXT) | instid1(VALU_DEP_1)
	v_lshlrev_b64 v[2:3], v2, v[8:9]
	v_and_b32_e32 v32, 7, v2
; %bb.672:                              ;   in Loop: Header=BB373_11 Depth=1
	s_or_b32 exec_lo, exec_lo, s19
	v_lshlrev_b32_e32 v0, 8, v0
	v_lshl_add_u32 v1, v1, 10, 0x2000
	s_delay_alu instid0(VALU_DEP_1) | instskip(NEXT) | instid1(VALU_DEP_1)
	v_and_or_b32 v0, 0x8000, v0, v1
	v_lshl_or_b32 v0, v32, 7, v0
	s_delay_alu instid0(VALU_DEP_1)
	v_cvt_f32_f16_e32 v0, v0
	scratch_store_b32 off, v0, s32 offset:592 ; 4-byte Folded Spill
.LBB373_673:                            ;   in Loop: Header=BB373_11 Depth=1
	s_or_b32 exec_lo, exec_lo, s18
.LBB373_674:                            ;   in Loop: Header=BB373_11 Depth=1
	s_delay_alu instid0(SALU_CYCLE_1)
	s_or_b32 exec_lo, exec_lo, s17
.LBB373_675:                            ;   in Loop: Header=BB373_11 Depth=1
	s_delay_alu instid0(SALU_CYCLE_1)
	s_or_b32 exec_lo, exec_lo, s15
	v_mov_b32_e32 v0, 0
	s_mov_b32 s15, exec_lo
	scratch_store_b32 off, v0, s32 offset:600 ; 4-byte Folded Spill
	v_mov_b32_e32 v0, 0
	scratch_store_b32 off, v0, s32 offset:604 ; 4-byte Folded Spill
	v_cmpx_lt_u32_e32 0xffffff, v30
	s_cbranch_execz .LBB373_683
; %bb.676:                              ;   in Loop: Header=BB373_11 Depth=1
	v_lshrrev_b32_e32 v0, 24, v30
	v_bfrev_b32_e32 v1, 1
	s_mov_b32 s17, exec_lo
	scratch_store_b32 off, v1, s32 offset:604 ; 4-byte Folded Spill
	v_cmpx_ne_u32_e32 0x80, v0
	s_cbranch_execz .LBB373_682
; %bb.677:                              ;   in Loop: Header=BB373_11 Depth=1
	v_and_b32_e32 v2, 0x7f, v0
	v_mov_b32_e32 v1, 0x7fc02000
	s_mov_b32 s18, exec_lo
	scratch_store_b32 off, v1, s32 offset:604 ; 4-byte Folded Spill
	v_cmpx_ne_u32_e32 0x7f, v2
	s_cbranch_execz .LBB373_681
; %bb.678:                              ;   in Loop: Header=BB373_11 Depth=1
	v_and_b32_e32 v8, 7, v0
	v_lshrrev_b32_e32 v1, 3, v2
	v_mov_b32_e32 v33, v9
	s_mov_b32 s19, exec_lo
	s_delay_alu instid0(VALU_DEP_3)
	v_mov_b32_e32 v32, v8
	v_cmpx_gt_u32_e32 8, v2
; %bb.679:                              ;   in Loop: Header=BB373_11 Depth=1
	v_clz_i32_u32_e32 v1, v8
	s_delay_alu instid0(VALU_DEP_1) | instskip(NEXT) | instid1(VALU_DEP_1)
	v_min_u32_e32 v1, 32, v1
	v_subrev_nc_u32_e32 v2, 28, v1
	v_sub_nc_u32_e32 v1, 29, v1
	s_delay_alu instid0(VALU_DEP_2) | instskip(NEXT) | instid1(VALU_DEP_1)
	v_lshlrev_b64 v[2:3], v2, v[8:9]
	v_and_b32_e32 v32, 7, v2
; %bb.680:                              ;   in Loop: Header=BB373_11 Depth=1
	s_or_b32 exec_lo, exec_lo, s19
	v_lshlrev_b32_e32 v0, 8, v0
	v_lshl_add_u32 v1, v1, 10, 0x2000
	s_delay_alu instid0(VALU_DEP_1) | instskip(NEXT) | instid1(VALU_DEP_1)
	v_and_or_b32 v0, 0x8000, v0, v1
	v_lshl_or_b32 v0, v32, 7, v0
	s_delay_alu instid0(VALU_DEP_1)
	v_cvt_f32_f16_e32 v0, v0
	scratch_store_b32 off, v0, s32 offset:604 ; 4-byte Folded Spill
.LBB373_681:                            ;   in Loop: Header=BB373_11 Depth=1
	s_or_b32 exec_lo, exec_lo, s18
.LBB373_682:                            ;   in Loop: Header=BB373_11 Depth=1
	s_delay_alu instid0(SALU_CYCLE_1)
	s_or_b32 exec_lo, exec_lo, s17
.LBB373_683:                            ;   in Loop: Header=BB373_11 Depth=1
	s_delay_alu instid0(SALU_CYCLE_1) | instskip(SKIP_3) | instid1(VALU_DEP_2)
	s_or_b32 exec_lo, exec_lo, s15
	v_and_b32_e32 v0, 0xff, v31
	v_mov_b32_e32 v8, v31
	s_mov_b32 s15, exec_lo
	v_cmpx_ne_u16_e32 0, v0
	s_cbranch_execz .LBB373_691
; %bb.684:                              ;   in Loop: Header=BB373_11 Depth=1
	v_cmp_ne_u16_e64 s1, 0x80, v0
	v_bfrev_b32_e32 v0, 1
	scratch_store_b32 off, v0, s32 offset:600 ; 4-byte Folded Spill
	s_and_saveexec_b32 s17, s1
	s_cbranch_execz .LBB373_690
; %bb.685:                              ;   in Loop: Header=BB373_11 Depth=1
	v_and_b32_e32 v1, 0x7f, v31
	v_mov_b32_e32 v0, 0x7fc02000
	s_mov_b32 s18, exec_lo
	scratch_store_b32 off, v0, s32 offset:600 ; 4-byte Folded Spill
	v_cmpx_ne_u32_e32 0x7f, v1
	s_cbranch_execz .LBB373_689
; %bb.686:                              ;   in Loop: Header=BB373_11 Depth=1
	v_lshrrev_b32_e32 v0, 3, v1
	v_dual_mov_b32 v33, v9 :: v_dual_mov_b32 v32, v8
	s_mov_b32 s19, exec_lo
	v_cmpx_gt_u32_e32 8, v1
; %bb.687:                              ;   in Loop: Header=BB373_11 Depth=1
	v_and_b32_e32 v0, 7, v31
	s_delay_alu instid0(VALU_DEP_1) | instskip(NEXT) | instid1(VALU_DEP_1)
	v_clz_i32_u32_e32 v0, v0
	v_min_u32_e32 v0, 32, v0
	s_delay_alu instid0(VALU_DEP_1) | instskip(SKIP_1) | instid1(VALU_DEP_2)
	v_subrev_nc_u32_e32 v1, 28, v0
	v_sub_nc_u32_e32 v0, 29, v0
	v_lshlrev_b64 v[32:33], v1, v[8:9]
; %bb.688:                              ;   in Loop: Header=BB373_11 Depth=1
	s_or_b32 exec_lo, exec_lo, s19
	v_lshlrev_b32_e32 v1, 8, v31
	s_delay_alu instid0(VALU_DEP_3) | instskip(NEXT) | instid1(VALU_DEP_3)
	v_lshl_add_u32 v0, v0, 10, 0x2000
	v_lshlrev_b32_e32 v2, 7, v32
	s_delay_alu instid0(VALU_DEP_2) | instskip(NEXT) | instid1(VALU_DEP_1)
	v_and_or_b32 v0, 0x8000, v1, v0
	v_and_or_b32 v0, 0x380, v2, v0
	s_delay_alu instid0(VALU_DEP_1)
	v_cvt_f32_f16_e32 v0, v0
	scratch_store_b32 off, v0, s32 offset:600 ; 4-byte Folded Spill
.LBB373_689:                            ;   in Loop: Header=BB373_11 Depth=1
	s_or_b32 exec_lo, exec_lo, s18
.LBB373_690:                            ;   in Loop: Header=BB373_11 Depth=1
	s_delay_alu instid0(SALU_CYCLE_1)
	s_or_b32 exec_lo, exec_lo, s17
.LBB373_691:                            ;   in Loop: Header=BB373_11 Depth=1
	s_delay_alu instid0(SALU_CYCLE_1)
	s_or_b32 exec_lo, exec_lo, s15
	v_mov_b32_e32 v1, 0
	v_lshrrev_b16 v0, 8, v8
	s_mov_b32 s15, exec_lo
	scratch_store_b32 off, v1, s32 offset:608 ; 4-byte Folded Spill
	v_mov_b32_e32 v1, 0
	scratch_store_b32 off, v1, s32 offset:612 ; 4-byte Folded Spill
	v_cmpx_ne_u16_e32 0, v0
	s_cbranch_execz .LBB373_699
; %bb.692:                              ;   in Loop: Header=BB373_11 Depth=1
	v_bfrev_b32_e32 v1, 1
	s_mov_b32 s17, exec_lo
	scratch_store_b32 off, v1, s32 offset:612 ; 4-byte Folded Spill
	v_cmpx_ne_u16_e32 0x80, v0
	s_cbranch_execz .LBB373_698
; %bb.693:                              ;   in Loop: Header=BB373_11 Depth=1
	v_and_b32_e32 v0, 0xffff, v0
	v_mov_b32_e32 v1, 0x7fc02000
	s_mov_b32 s18, exec_lo
	s_delay_alu instid0(VALU_DEP_2)
	v_and_b32_e32 v2, 0x7f, v0
	scratch_store_b32 off, v1, s32 offset:612 ; 4-byte Folded Spill
	v_cmpx_ne_u32_e32 0x7f, v2
	s_cbranch_execz .LBB373_697
; %bb.694:                              ;   in Loop: Header=BB373_11 Depth=1
	v_and_b32_e32 v8, 7, v0
	v_lshrrev_b32_e32 v1, 3, v2
	v_mov_b32_e32 v33, v9
	s_mov_b32 s19, exec_lo
	s_delay_alu instid0(VALU_DEP_3)
	v_mov_b32_e32 v32, v8
	v_cmpx_gt_u32_e32 8, v2
; %bb.695:                              ;   in Loop: Header=BB373_11 Depth=1
	v_clz_i32_u32_e32 v1, v8
	s_delay_alu instid0(VALU_DEP_1) | instskip(NEXT) | instid1(VALU_DEP_1)
	v_min_u32_e32 v1, 32, v1
	v_subrev_nc_u32_e32 v2, 28, v1
	v_sub_nc_u32_e32 v1, 29, v1
	s_delay_alu instid0(VALU_DEP_2) | instskip(NEXT) | instid1(VALU_DEP_1)
	v_lshlrev_b64 v[2:3], v2, v[8:9]
	v_and_b32_e32 v32, 7, v2
; %bb.696:                              ;   in Loop: Header=BB373_11 Depth=1
	s_or_b32 exec_lo, exec_lo, s19
	v_lshlrev_b32_e32 v0, 8, v0
	v_lshl_add_u32 v1, v1, 10, 0x2000
	s_delay_alu instid0(VALU_DEP_1) | instskip(NEXT) | instid1(VALU_DEP_1)
	v_and_or_b32 v0, 0x8000, v0, v1
	v_lshl_or_b32 v0, v32, 7, v0
	s_delay_alu instid0(VALU_DEP_1)
	v_cvt_f32_f16_e32 v0, v0
	scratch_store_b32 off, v0, s32 offset:612 ; 4-byte Folded Spill
.LBB373_697:                            ;   in Loop: Header=BB373_11 Depth=1
	s_or_b32 exec_lo, exec_lo, s18
.LBB373_698:                            ;   in Loop: Header=BB373_11 Depth=1
	s_delay_alu instid0(SALU_CYCLE_1)
	s_or_b32 exec_lo, exec_lo, s17
.LBB373_699:                            ;   in Loop: Header=BB373_11 Depth=1
	s_delay_alu instid0(SALU_CYCLE_1) | instskip(SKIP_2) | instid1(VALU_DEP_1)
	s_or_b32 exec_lo, exec_lo, s15
	v_lshrrev_b32_e32 v0, 16, v31
	s_mov_b32 s15, exec_lo
	v_and_b32_e32 v1, 0xff, v0
	s_delay_alu instid0(VALU_DEP_1)
	v_cmpx_ne_u16_e32 0, v1
	s_cbranch_execz .LBB373_707
; %bb.700:                              ;   in Loop: Header=BB373_11 Depth=1
	v_cmp_ne_u16_e64 s1, 0x80, v1
	v_bfrev_b32_e32 v1, 1
	scratch_store_b32 off, v1, s32 offset:608 ; 4-byte Folded Spill
	s_and_saveexec_b32 s17, s1
	s_cbranch_execz .LBB373_706
; %bb.701:                              ;   in Loop: Header=BB373_11 Depth=1
	v_bfe_u32 v2, v31, 16, 7
	v_mov_b32_e32 v1, 0x7fc02000
	s_mov_b32 s18, exec_lo
	scratch_store_b32 off, v1, s32 offset:608 ; 4-byte Folded Spill
	v_cmpx_ne_u32_e32 0x7f, v2
	s_cbranch_execz .LBB373_705
; %bb.702:                              ;   in Loop: Header=BB373_11 Depth=1
	v_and_b32_e32 v8, 7, v0
	v_lshrrev_b32_e32 v1, 3, v2
	v_mov_b32_e32 v33, v9
	s_mov_b32 s19, exec_lo
	s_delay_alu instid0(VALU_DEP_3)
	v_mov_b32_e32 v32, v8
	v_cmpx_gt_u32_e32 8, v2
; %bb.703:                              ;   in Loop: Header=BB373_11 Depth=1
	v_clz_i32_u32_e32 v1, v8
	s_delay_alu instid0(VALU_DEP_1) | instskip(NEXT) | instid1(VALU_DEP_1)
	v_min_u32_e32 v1, 32, v1
	v_subrev_nc_u32_e32 v2, 28, v1
	v_sub_nc_u32_e32 v1, 29, v1
	s_delay_alu instid0(VALU_DEP_2) | instskip(NEXT) | instid1(VALU_DEP_1)
	v_lshlrev_b64 v[2:3], v2, v[8:9]
	v_and_b32_e32 v32, 7, v2
; %bb.704:                              ;   in Loop: Header=BB373_11 Depth=1
	s_or_b32 exec_lo, exec_lo, s19
	v_lshlrev_b32_e32 v0, 8, v0
	v_lshl_add_u32 v1, v1, 10, 0x2000
	s_delay_alu instid0(VALU_DEP_1) | instskip(NEXT) | instid1(VALU_DEP_1)
	v_and_or_b32 v0, 0x8000, v0, v1
	v_lshl_or_b32 v0, v32, 7, v0
	s_delay_alu instid0(VALU_DEP_1)
	v_cvt_f32_f16_e32 v0, v0
	scratch_store_b32 off, v0, s32 offset:608 ; 4-byte Folded Spill
.LBB373_705:                            ;   in Loop: Header=BB373_11 Depth=1
	s_or_b32 exec_lo, exec_lo, s18
.LBB373_706:                            ;   in Loop: Header=BB373_11 Depth=1
	s_delay_alu instid0(SALU_CYCLE_1)
	s_or_b32 exec_lo, exec_lo, s17
.LBB373_707:                            ;   in Loop: Header=BB373_11 Depth=1
	s_delay_alu instid0(SALU_CYCLE_1)
	s_or_b32 exec_lo, exec_lo, s15
	v_mov_b32_e32 v89, 0
	v_mov_b32_e32 v79, 0
	s_mov_b32 s15, exec_lo
	v_cmpx_lt_u64_e64 s[2:3], v[30:31]
	s_cbranch_execz .LBB373_715
; %bb.708:                              ;   in Loop: Header=BB373_11 Depth=1
	v_lshrrev_b32_e32 v0, 24, v31
	v_bfrev_b32_e32 v79, 1
	s_mov_b32 s17, exec_lo
	s_delay_alu instid0(VALU_DEP_2)
	v_cmpx_ne_u32_e32 0x80, v0
	s_cbranch_execz .LBB373_714
; %bb.709:                              ;   in Loop: Header=BB373_11 Depth=1
	v_and_b32_e32 v2, 0x7f, v0
	v_mov_b32_e32 v79, 0x7fc02000
	s_mov_b32 s18, exec_lo
	s_delay_alu instid0(VALU_DEP_2)
	v_cmpx_ne_u32_e32 0x7f, v2
	s_cbranch_execz .LBB373_713
; %bb.710:                              ;   in Loop: Header=BB373_11 Depth=1
	v_and_b32_e32 v8, 7, v0
	v_lshrrev_b32_e32 v1, 3, v2
	v_mov_b32_e32 v31, v9
	s_mov_b32 s19, exec_lo
	s_delay_alu instid0(VALU_DEP_3)
	v_mov_b32_e32 v30, v8
	v_cmpx_gt_u32_e32 8, v2
; %bb.711:                              ;   in Loop: Header=BB373_11 Depth=1
	v_clz_i32_u32_e32 v1, v8
	s_delay_alu instid0(VALU_DEP_1) | instskip(NEXT) | instid1(VALU_DEP_1)
	v_min_u32_e32 v1, 32, v1
	v_subrev_nc_u32_e32 v2, 28, v1
	v_sub_nc_u32_e32 v1, 29, v1
	s_delay_alu instid0(VALU_DEP_2) | instskip(NEXT) | instid1(VALU_DEP_1)
	v_lshlrev_b64 v[2:3], v2, v[8:9]
	v_and_b32_e32 v30, 7, v2
; %bb.712:                              ;   in Loop: Header=BB373_11 Depth=1
	s_or_b32 exec_lo, exec_lo, s19
	v_lshlrev_b32_e32 v0, 8, v0
	v_lshl_add_u32 v1, v1, 10, 0x2000
	s_delay_alu instid0(VALU_DEP_1) | instskip(NEXT) | instid1(VALU_DEP_1)
	v_and_or_b32 v0, 0x8000, v0, v1
	v_lshl_or_b32 v0, v30, 7, v0
	s_delay_alu instid0(VALU_DEP_1)
	v_cvt_f32_f16_e32 v79, v0
.LBB373_713:                            ;   in Loop: Header=BB373_11 Depth=1
	s_or_b32 exec_lo, exec_lo, s18
.LBB373_714:                            ;   in Loop: Header=BB373_11 Depth=1
	s_delay_alu instid0(SALU_CYCLE_1)
	s_or_b32 exec_lo, exec_lo, s17
.LBB373_715:                            ;   in Loop: Header=BB373_11 Depth=1
	s_delay_alu instid0(SALU_CYCLE_1) | instskip(SKIP_4) | instid1(VALU_DEP_1)
	s_or_b32 exec_lo, exec_lo, s15
	flat_load_b64 v[30:31], v[28:29] offset:2568
	s_mov_b32 s15, exec_lo
	s_waitcnt vmcnt(0) lgkmcnt(0)
	v_and_b32_e32 v0, 0xff, v30
	v_cmpx_ne_u16_e32 0, v0
	s_cbranch_execz .LBB373_723
; %bb.716:                              ;   in Loop: Header=BB373_11 Depth=1
	v_bfrev_b32_e32 v89, 1
	s_mov_b32 s17, exec_lo
	v_cmpx_ne_u16_e32 0x80, v0
	s_cbranch_execz .LBB373_722
; %bb.717:                              ;   in Loop: Header=BB373_11 Depth=1
	v_and_b32_e32 v1, 0x7f, v30
	v_mov_b32_e32 v89, 0x7fc02000
	s_mov_b32 s18, exec_lo
	s_delay_alu instid0(VALU_DEP_2)
	v_cmpx_ne_u32_e32 0x7f, v1
	s_cbranch_execz .LBB373_721
; %bb.718:                              ;   in Loop: Header=BB373_11 Depth=1
	v_lshrrev_b32_e32 v0, 3, v1
	v_dual_mov_b32 v33, v31 :: v_dual_mov_b32 v32, v30
	s_mov_b32 s19, exec_lo
	v_cmpx_gt_u32_e32 8, v1
; %bb.719:                              ;   in Loop: Header=BB373_11 Depth=1
	v_and_b32_e32 v0, 7, v30
	s_delay_alu instid0(VALU_DEP_1) | instskip(NEXT) | instid1(VALU_DEP_1)
	v_clz_i32_u32_e32 v0, v0
	v_min_u32_e32 v0, 32, v0
	s_delay_alu instid0(VALU_DEP_1) | instskip(SKIP_1) | instid1(VALU_DEP_2)
	v_subrev_nc_u32_e32 v1, 28, v0
	v_sub_nc_u32_e32 v0, 29, v0
	v_lshlrev_b64 v[32:33], v1, v[30:31]
; %bb.720:                              ;   in Loop: Header=BB373_11 Depth=1
	s_or_b32 exec_lo, exec_lo, s19
	v_lshlrev_b32_e32 v1, 8, v30
	s_delay_alu instid0(VALU_DEP_3) | instskip(NEXT) | instid1(VALU_DEP_3)
	v_lshl_add_u32 v0, v0, 10, 0x2000
	v_lshlrev_b32_e32 v2, 7, v32
	s_delay_alu instid0(VALU_DEP_2) | instskip(NEXT) | instid1(VALU_DEP_1)
	v_and_or_b32 v0, 0x8000, v1, v0
	v_and_or_b32 v0, 0x380, v2, v0
	s_delay_alu instid0(VALU_DEP_1)
	v_cvt_f32_f16_e32 v89, v0
.LBB373_721:                            ;   in Loop: Header=BB373_11 Depth=1
	s_or_b32 exec_lo, exec_lo, s18
.LBB373_722:                            ;   in Loop: Header=BB373_11 Depth=1
	s_delay_alu instid0(SALU_CYCLE_1)
	s_or_b32 exec_lo, exec_lo, s17
.LBB373_723:                            ;   in Loop: Header=BB373_11 Depth=1
	s_delay_alu instid0(SALU_CYCLE_1) | instskip(SKIP_3) | instid1(VALU_DEP_2)
	s_or_b32 exec_lo, exec_lo, s15
	v_lshrrev_b16 v0, 8, v30
	v_dual_mov_b32 v90, 0 :: v_dual_mov_b32 v91, 0
	s_mov_b32 s15, exec_lo
	v_cmpx_ne_u16_e32 0, v0
	s_cbranch_execz .LBB373_731
; %bb.724:                              ;   in Loop: Header=BB373_11 Depth=1
	v_bfrev_b32_e32 v91, 1
	s_mov_b32 s17, exec_lo
	v_cmpx_ne_u16_e32 0x80, v0
	s_cbranch_execz .LBB373_730
; %bb.725:                              ;   in Loop: Header=BB373_11 Depth=1
	v_and_b32_e32 v0, 0xffff, v0
	v_mov_b32_e32 v91, 0x7fc02000
	s_mov_b32 s18, exec_lo
	s_delay_alu instid0(VALU_DEP_2) | instskip(NEXT) | instid1(VALU_DEP_1)
	v_and_b32_e32 v2, 0x7f, v0
	v_cmpx_ne_u32_e32 0x7f, v2
	s_cbranch_execz .LBB373_729
; %bb.726:                              ;   in Loop: Header=BB373_11 Depth=1
	v_and_b32_e32 v8, 7, v0
	v_lshrrev_b32_e32 v1, 3, v2
	v_mov_b32_e32 v33, v9
	s_mov_b32 s19, exec_lo
	s_delay_alu instid0(VALU_DEP_3)
	v_mov_b32_e32 v32, v8
	v_cmpx_gt_u32_e32 8, v2
; %bb.727:                              ;   in Loop: Header=BB373_11 Depth=1
	v_clz_i32_u32_e32 v1, v8
	s_delay_alu instid0(VALU_DEP_1) | instskip(NEXT) | instid1(VALU_DEP_1)
	v_min_u32_e32 v1, 32, v1
	v_subrev_nc_u32_e32 v2, 28, v1
	v_sub_nc_u32_e32 v1, 29, v1
	s_delay_alu instid0(VALU_DEP_2) | instskip(NEXT) | instid1(VALU_DEP_1)
	v_lshlrev_b64 v[2:3], v2, v[8:9]
	v_and_b32_e32 v32, 7, v2
; %bb.728:                              ;   in Loop: Header=BB373_11 Depth=1
	s_or_b32 exec_lo, exec_lo, s19
	v_lshlrev_b32_e32 v0, 8, v0
	v_lshl_add_u32 v1, v1, 10, 0x2000
	s_delay_alu instid0(VALU_DEP_1) | instskip(NEXT) | instid1(VALU_DEP_1)
	v_and_or_b32 v0, 0x8000, v0, v1
	v_lshl_or_b32 v0, v32, 7, v0
	s_delay_alu instid0(VALU_DEP_1)
	v_cvt_f32_f16_e32 v91, v0
.LBB373_729:                            ;   in Loop: Header=BB373_11 Depth=1
	s_or_b32 exec_lo, exec_lo, s18
.LBB373_730:                            ;   in Loop: Header=BB373_11 Depth=1
	s_delay_alu instid0(SALU_CYCLE_1)
	s_or_b32 exec_lo, exec_lo, s17
.LBB373_731:                            ;   in Loop: Header=BB373_11 Depth=1
	s_delay_alu instid0(SALU_CYCLE_1) | instskip(SKIP_2) | instid1(VALU_DEP_1)
	s_or_b32 exec_lo, exec_lo, s15
	v_lshrrev_b32_e32 v0, 16, v30
	s_mov_b32 s15, exec_lo
	v_and_b32_e32 v1, 0xff, v0
	s_delay_alu instid0(VALU_DEP_1)
	v_cmpx_ne_u16_e32 0, v1
	s_cbranch_execz .LBB373_739
; %bb.732:                              ;   in Loop: Header=BB373_11 Depth=1
	v_bfrev_b32_e32 v90, 1
	s_mov_b32 s17, exec_lo
	v_cmpx_ne_u16_e32 0x80, v1
	s_cbranch_execz .LBB373_738
; %bb.733:                              ;   in Loop: Header=BB373_11 Depth=1
	v_bfe_u32 v2, v30, 16, 7
	v_mov_b32_e32 v90, 0x7fc02000
	s_mov_b32 s18, exec_lo
	s_delay_alu instid0(VALU_DEP_2)
	v_cmpx_ne_u32_e32 0x7f, v2
	s_cbranch_execz .LBB373_737
; %bb.734:                              ;   in Loop: Header=BB373_11 Depth=1
	v_and_b32_e32 v8, 7, v0
	v_lshrrev_b32_e32 v1, 3, v2
	v_mov_b32_e32 v33, v9
	s_mov_b32 s19, exec_lo
	s_delay_alu instid0(VALU_DEP_3)
	v_mov_b32_e32 v32, v8
	v_cmpx_gt_u32_e32 8, v2
; %bb.735:                              ;   in Loop: Header=BB373_11 Depth=1
	v_clz_i32_u32_e32 v1, v8
	s_delay_alu instid0(VALU_DEP_1) | instskip(NEXT) | instid1(VALU_DEP_1)
	v_min_u32_e32 v1, 32, v1
	v_subrev_nc_u32_e32 v2, 28, v1
	v_sub_nc_u32_e32 v1, 29, v1
	s_delay_alu instid0(VALU_DEP_2) | instskip(NEXT) | instid1(VALU_DEP_1)
	v_lshlrev_b64 v[2:3], v2, v[8:9]
	v_and_b32_e32 v32, 7, v2
; %bb.736:                              ;   in Loop: Header=BB373_11 Depth=1
	s_or_b32 exec_lo, exec_lo, s19
	v_lshlrev_b32_e32 v0, 8, v0
	v_lshl_add_u32 v1, v1, 10, 0x2000
	s_delay_alu instid0(VALU_DEP_1) | instskip(NEXT) | instid1(VALU_DEP_1)
	v_and_or_b32 v0, 0x8000, v0, v1
	v_lshl_or_b32 v0, v32, 7, v0
	s_delay_alu instid0(VALU_DEP_1)
	v_cvt_f32_f16_e32 v90, v0
.LBB373_737:                            ;   in Loop: Header=BB373_11 Depth=1
	s_or_b32 exec_lo, exec_lo, s18
.LBB373_738:                            ;   in Loop: Header=BB373_11 Depth=1
	s_delay_alu instid0(SALU_CYCLE_1)
	s_or_b32 exec_lo, exec_lo, s17
.LBB373_739:                            ;   in Loop: Header=BB373_11 Depth=1
	s_delay_alu instid0(SALU_CYCLE_1)
	s_or_b32 exec_lo, exec_lo, s15
	v_dual_mov_b32 v92, 0 :: v_dual_mov_b32 v93, 0
	s_mov_b32 s15, exec_lo
	v_cmpx_lt_u32_e32 0xffffff, v30
	s_cbranch_execz .LBB373_747
; %bb.740:                              ;   in Loop: Header=BB373_11 Depth=1
	v_lshrrev_b32_e32 v0, 24, v30
	v_bfrev_b32_e32 v93, 1
	s_mov_b32 s17, exec_lo
	s_delay_alu instid0(VALU_DEP_2)
	v_cmpx_ne_u32_e32 0x80, v0
	s_cbranch_execz .LBB373_746
; %bb.741:                              ;   in Loop: Header=BB373_11 Depth=1
	v_and_b32_e32 v2, 0x7f, v0
	v_mov_b32_e32 v93, 0x7fc02000
	s_mov_b32 s18, exec_lo
	s_delay_alu instid0(VALU_DEP_2)
	v_cmpx_ne_u32_e32 0x7f, v2
	s_cbranch_execz .LBB373_745
; %bb.742:                              ;   in Loop: Header=BB373_11 Depth=1
	v_and_b32_e32 v8, 7, v0
	v_lshrrev_b32_e32 v1, 3, v2
	v_mov_b32_e32 v33, v9
	s_mov_b32 s19, exec_lo
	s_delay_alu instid0(VALU_DEP_3)
	v_mov_b32_e32 v32, v8
	v_cmpx_gt_u32_e32 8, v2
; %bb.743:                              ;   in Loop: Header=BB373_11 Depth=1
	v_clz_i32_u32_e32 v1, v8
	s_delay_alu instid0(VALU_DEP_1) | instskip(NEXT) | instid1(VALU_DEP_1)
	v_min_u32_e32 v1, 32, v1
	v_subrev_nc_u32_e32 v2, 28, v1
	v_sub_nc_u32_e32 v1, 29, v1
	s_delay_alu instid0(VALU_DEP_2) | instskip(NEXT) | instid1(VALU_DEP_1)
	v_lshlrev_b64 v[2:3], v2, v[8:9]
	v_and_b32_e32 v32, 7, v2
; %bb.744:                              ;   in Loop: Header=BB373_11 Depth=1
	s_or_b32 exec_lo, exec_lo, s19
	v_lshlrev_b32_e32 v0, 8, v0
	v_lshl_add_u32 v1, v1, 10, 0x2000
	s_delay_alu instid0(VALU_DEP_1) | instskip(NEXT) | instid1(VALU_DEP_1)
	v_and_or_b32 v0, 0x8000, v0, v1
	v_lshl_or_b32 v0, v32, 7, v0
	s_delay_alu instid0(VALU_DEP_1)
	v_cvt_f32_f16_e32 v93, v0
.LBB373_745:                            ;   in Loop: Header=BB373_11 Depth=1
	s_or_b32 exec_lo, exec_lo, s18
.LBB373_746:                            ;   in Loop: Header=BB373_11 Depth=1
	s_delay_alu instid0(SALU_CYCLE_1)
	s_or_b32 exec_lo, exec_lo, s17
.LBB373_747:                            ;   in Loop: Header=BB373_11 Depth=1
	s_delay_alu instid0(SALU_CYCLE_1) | instskip(SKIP_3) | instid1(VALU_DEP_2)
	s_or_b32 exec_lo, exec_lo, s15
	v_and_b32_e32 v0, 0xff, v31
	v_mov_b32_e32 v8, v31
	s_mov_b32 s15, exec_lo
	v_cmpx_ne_u16_e32 0, v0
	s_cbranch_execz .LBB373_755
; %bb.748:                              ;   in Loop: Header=BB373_11 Depth=1
	v_bfrev_b32_e32 v92, 1
	s_mov_b32 s17, exec_lo
	v_cmpx_ne_u16_e32 0x80, v0
	s_cbranch_execz .LBB373_754
; %bb.749:                              ;   in Loop: Header=BB373_11 Depth=1
	v_and_b32_e32 v1, 0x7f, v31
	v_mov_b32_e32 v92, 0x7fc02000
	s_mov_b32 s18, exec_lo
	s_delay_alu instid0(VALU_DEP_2)
	v_cmpx_ne_u32_e32 0x7f, v1
	s_cbranch_execz .LBB373_753
; %bb.750:                              ;   in Loop: Header=BB373_11 Depth=1
	v_lshrrev_b32_e32 v0, 3, v1
	v_dual_mov_b32 v33, v9 :: v_dual_mov_b32 v32, v8
	s_mov_b32 s19, exec_lo
	v_cmpx_gt_u32_e32 8, v1
; %bb.751:                              ;   in Loop: Header=BB373_11 Depth=1
	v_and_b32_e32 v0, 7, v31
	s_delay_alu instid0(VALU_DEP_1) | instskip(NEXT) | instid1(VALU_DEP_1)
	v_clz_i32_u32_e32 v0, v0
	v_min_u32_e32 v0, 32, v0
	s_delay_alu instid0(VALU_DEP_1) | instskip(SKIP_1) | instid1(VALU_DEP_2)
	v_subrev_nc_u32_e32 v1, 28, v0
	v_sub_nc_u32_e32 v0, 29, v0
	v_lshlrev_b64 v[32:33], v1, v[8:9]
; %bb.752:                              ;   in Loop: Header=BB373_11 Depth=1
	s_or_b32 exec_lo, exec_lo, s19
	v_lshlrev_b32_e32 v1, 8, v31
	s_delay_alu instid0(VALU_DEP_3) | instskip(NEXT) | instid1(VALU_DEP_3)
	v_lshl_add_u32 v0, v0, 10, 0x2000
	v_lshlrev_b32_e32 v2, 7, v32
	s_delay_alu instid0(VALU_DEP_2) | instskip(NEXT) | instid1(VALU_DEP_1)
	v_and_or_b32 v0, 0x8000, v1, v0
	v_and_or_b32 v0, 0x380, v2, v0
	s_delay_alu instid0(VALU_DEP_1)
	v_cvt_f32_f16_e32 v92, v0
.LBB373_753:                            ;   in Loop: Header=BB373_11 Depth=1
	s_or_b32 exec_lo, exec_lo, s18
.LBB373_754:                            ;   in Loop: Header=BB373_11 Depth=1
	s_delay_alu instid0(SALU_CYCLE_1)
	s_or_b32 exec_lo, exec_lo, s17
.LBB373_755:                            ;   in Loop: Header=BB373_11 Depth=1
	s_delay_alu instid0(SALU_CYCLE_1) | instskip(SKIP_3) | instid1(VALU_DEP_2)
	s_or_b32 exec_lo, exec_lo, s15
	v_lshrrev_b16 v0, 8, v8
	v_dual_mov_b32 v94, 0 :: v_dual_mov_b32 v95, 0
	s_mov_b32 s15, exec_lo
	v_cmpx_ne_u16_e32 0, v0
	s_cbranch_execz .LBB373_763
; %bb.756:                              ;   in Loop: Header=BB373_11 Depth=1
	v_bfrev_b32_e32 v95, 1
	s_mov_b32 s17, exec_lo
	v_cmpx_ne_u16_e32 0x80, v0
	s_cbranch_execz .LBB373_762
; %bb.757:                              ;   in Loop: Header=BB373_11 Depth=1
	v_and_b32_e32 v0, 0xffff, v0
	v_mov_b32_e32 v95, 0x7fc02000
	s_mov_b32 s18, exec_lo
	s_delay_alu instid0(VALU_DEP_2) | instskip(NEXT) | instid1(VALU_DEP_1)
	v_and_b32_e32 v2, 0x7f, v0
	v_cmpx_ne_u32_e32 0x7f, v2
	s_cbranch_execz .LBB373_761
; %bb.758:                              ;   in Loop: Header=BB373_11 Depth=1
	v_and_b32_e32 v8, 7, v0
	v_lshrrev_b32_e32 v1, 3, v2
	v_mov_b32_e32 v33, v9
	s_mov_b32 s19, exec_lo
	s_delay_alu instid0(VALU_DEP_3)
	v_mov_b32_e32 v32, v8
	v_cmpx_gt_u32_e32 8, v2
; %bb.759:                              ;   in Loop: Header=BB373_11 Depth=1
	v_clz_i32_u32_e32 v1, v8
	s_delay_alu instid0(VALU_DEP_1) | instskip(NEXT) | instid1(VALU_DEP_1)
	v_min_u32_e32 v1, 32, v1
	v_subrev_nc_u32_e32 v2, 28, v1
	v_sub_nc_u32_e32 v1, 29, v1
	s_delay_alu instid0(VALU_DEP_2) | instskip(NEXT) | instid1(VALU_DEP_1)
	v_lshlrev_b64 v[2:3], v2, v[8:9]
	v_and_b32_e32 v32, 7, v2
; %bb.760:                              ;   in Loop: Header=BB373_11 Depth=1
	s_or_b32 exec_lo, exec_lo, s19
	v_lshlrev_b32_e32 v0, 8, v0
	v_lshl_add_u32 v1, v1, 10, 0x2000
	s_delay_alu instid0(VALU_DEP_1) | instskip(NEXT) | instid1(VALU_DEP_1)
	v_and_or_b32 v0, 0x8000, v0, v1
	v_lshl_or_b32 v0, v32, 7, v0
	s_delay_alu instid0(VALU_DEP_1)
	v_cvt_f32_f16_e32 v95, v0
.LBB373_761:                            ;   in Loop: Header=BB373_11 Depth=1
	s_or_b32 exec_lo, exec_lo, s18
.LBB373_762:                            ;   in Loop: Header=BB373_11 Depth=1
	s_delay_alu instid0(SALU_CYCLE_1)
	s_or_b32 exec_lo, exec_lo, s17
.LBB373_763:                            ;   in Loop: Header=BB373_11 Depth=1
	s_delay_alu instid0(SALU_CYCLE_1) | instskip(SKIP_2) | instid1(VALU_DEP_1)
	s_or_b32 exec_lo, exec_lo, s15
	v_lshrrev_b32_e32 v0, 16, v31
	s_mov_b32 s15, exec_lo
	v_and_b32_e32 v1, 0xff, v0
	s_delay_alu instid0(VALU_DEP_1)
	v_cmpx_ne_u16_e32 0, v1
	s_cbranch_execz .LBB373_771
; %bb.764:                              ;   in Loop: Header=BB373_11 Depth=1
	v_bfrev_b32_e32 v94, 1
	s_mov_b32 s17, exec_lo
	v_cmpx_ne_u16_e32 0x80, v1
	s_cbranch_execz .LBB373_770
; %bb.765:                              ;   in Loop: Header=BB373_11 Depth=1
	v_bfe_u32 v2, v31, 16, 7
	v_mov_b32_e32 v94, 0x7fc02000
	s_mov_b32 s18, exec_lo
	s_delay_alu instid0(VALU_DEP_2)
	v_cmpx_ne_u32_e32 0x7f, v2
	s_cbranch_execz .LBB373_769
; %bb.766:                              ;   in Loop: Header=BB373_11 Depth=1
	v_and_b32_e32 v8, 7, v0
	v_lshrrev_b32_e32 v1, 3, v2
	v_mov_b32_e32 v33, v9
	s_mov_b32 s19, exec_lo
	s_delay_alu instid0(VALU_DEP_3)
	v_mov_b32_e32 v32, v8
	v_cmpx_gt_u32_e32 8, v2
; %bb.767:                              ;   in Loop: Header=BB373_11 Depth=1
	v_clz_i32_u32_e32 v1, v8
	s_delay_alu instid0(VALU_DEP_1) | instskip(NEXT) | instid1(VALU_DEP_1)
	v_min_u32_e32 v1, 32, v1
	v_subrev_nc_u32_e32 v2, 28, v1
	v_sub_nc_u32_e32 v1, 29, v1
	s_delay_alu instid0(VALU_DEP_2) | instskip(NEXT) | instid1(VALU_DEP_1)
	v_lshlrev_b64 v[2:3], v2, v[8:9]
	v_and_b32_e32 v32, 7, v2
; %bb.768:                              ;   in Loop: Header=BB373_11 Depth=1
	s_or_b32 exec_lo, exec_lo, s19
	v_lshlrev_b32_e32 v0, 8, v0
	v_lshl_add_u32 v1, v1, 10, 0x2000
	s_delay_alu instid0(VALU_DEP_1) | instskip(NEXT) | instid1(VALU_DEP_1)
	v_and_or_b32 v0, 0x8000, v0, v1
	v_lshl_or_b32 v0, v32, 7, v0
	s_delay_alu instid0(VALU_DEP_1)
	v_cvt_f32_f16_e32 v94, v0
.LBB373_769:                            ;   in Loop: Header=BB373_11 Depth=1
	s_or_b32 exec_lo, exec_lo, s18
.LBB373_770:                            ;   in Loop: Header=BB373_11 Depth=1
	s_delay_alu instid0(SALU_CYCLE_1)
	s_or_b32 exec_lo, exec_lo, s17
.LBB373_771:                            ;   in Loop: Header=BB373_11 Depth=1
	s_delay_alu instid0(SALU_CYCLE_1)
	s_or_b32 exec_lo, exec_lo, s15
	v_dual_mov_b32 v105, 0 :: v_dual_mov_b32 v104, 0
	s_mov_b32 s15, exec_lo
	v_cmpx_lt_u64_e64 s[2:3], v[30:31]
	s_cbranch_execz .LBB373_779
; %bb.772:                              ;   in Loop: Header=BB373_11 Depth=1
	v_lshrrev_b32_e32 v0, 24, v31
	v_bfrev_b32_e32 v104, 1
	s_mov_b32 s17, exec_lo
	s_delay_alu instid0(VALU_DEP_2)
	v_cmpx_ne_u32_e32 0x80, v0
	s_cbranch_execz .LBB373_778
; %bb.773:                              ;   in Loop: Header=BB373_11 Depth=1
	v_and_b32_e32 v2, 0x7f, v0
	v_mov_b32_e32 v104, 0x7fc02000
	s_mov_b32 s18, exec_lo
	s_delay_alu instid0(VALU_DEP_2)
	v_cmpx_ne_u32_e32 0x7f, v2
	s_cbranch_execz .LBB373_777
; %bb.774:                              ;   in Loop: Header=BB373_11 Depth=1
	v_and_b32_e32 v8, 7, v0
	v_lshrrev_b32_e32 v1, 3, v2
	v_mov_b32_e32 v31, v9
	s_mov_b32 s19, exec_lo
	s_delay_alu instid0(VALU_DEP_3)
	v_mov_b32_e32 v30, v8
	v_cmpx_gt_u32_e32 8, v2
; %bb.775:                              ;   in Loop: Header=BB373_11 Depth=1
	v_clz_i32_u32_e32 v1, v8
	s_delay_alu instid0(VALU_DEP_1) | instskip(NEXT) | instid1(VALU_DEP_1)
	v_min_u32_e32 v1, 32, v1
	v_subrev_nc_u32_e32 v2, 28, v1
	v_sub_nc_u32_e32 v1, 29, v1
	s_delay_alu instid0(VALU_DEP_2) | instskip(NEXT) | instid1(VALU_DEP_1)
	v_lshlrev_b64 v[2:3], v2, v[8:9]
	v_and_b32_e32 v30, 7, v2
; %bb.776:                              ;   in Loop: Header=BB373_11 Depth=1
	s_or_b32 exec_lo, exec_lo, s19
	v_lshlrev_b32_e32 v0, 8, v0
	v_lshl_add_u32 v1, v1, 10, 0x2000
	s_delay_alu instid0(VALU_DEP_1) | instskip(NEXT) | instid1(VALU_DEP_1)
	v_and_or_b32 v0, 0x8000, v0, v1
	v_lshl_or_b32 v0, v30, 7, v0
	s_delay_alu instid0(VALU_DEP_1)
	v_cvt_f32_f16_e32 v104, v0
.LBB373_777:                            ;   in Loop: Header=BB373_11 Depth=1
	s_or_b32 exec_lo, exec_lo, s18
.LBB373_778:                            ;   in Loop: Header=BB373_11 Depth=1
	s_delay_alu instid0(SALU_CYCLE_1)
	s_or_b32 exec_lo, exec_lo, s17
.LBB373_779:                            ;   in Loop: Header=BB373_11 Depth=1
	s_delay_alu instid0(SALU_CYCLE_1) | instskip(SKIP_4) | instid1(VALU_DEP_1)
	s_or_b32 exec_lo, exec_lo, s15
	flat_load_b64 v[30:31], v[28:29] offset:3072
	s_mov_b32 s15, exec_lo
	s_waitcnt vmcnt(0) lgkmcnt(0)
	v_and_b32_e32 v0, 0xff, v30
	v_cmpx_ne_u16_e32 0, v0
	s_cbranch_execz .LBB373_787
; %bb.780:                              ;   in Loop: Header=BB373_11 Depth=1
	v_bfrev_b32_e32 v105, 1
	s_mov_b32 s17, exec_lo
	v_cmpx_ne_u16_e32 0x80, v0
	s_cbranch_execz .LBB373_786
; %bb.781:                              ;   in Loop: Header=BB373_11 Depth=1
	v_and_b32_e32 v1, 0x7f, v30
	v_mov_b32_e32 v105, 0x7fc02000
	s_mov_b32 s18, exec_lo
	s_delay_alu instid0(VALU_DEP_2)
	v_cmpx_ne_u32_e32 0x7f, v1
	s_cbranch_execz .LBB373_785
; %bb.782:                              ;   in Loop: Header=BB373_11 Depth=1
	v_lshrrev_b32_e32 v0, 3, v1
	v_dual_mov_b32 v33, v31 :: v_dual_mov_b32 v32, v30
	s_mov_b32 s19, exec_lo
	v_cmpx_gt_u32_e32 8, v1
; %bb.783:                              ;   in Loop: Header=BB373_11 Depth=1
	v_and_b32_e32 v0, 7, v30
	s_delay_alu instid0(VALU_DEP_1) | instskip(NEXT) | instid1(VALU_DEP_1)
	v_clz_i32_u32_e32 v0, v0
	v_min_u32_e32 v0, 32, v0
	s_delay_alu instid0(VALU_DEP_1) | instskip(SKIP_1) | instid1(VALU_DEP_2)
	v_subrev_nc_u32_e32 v1, 28, v0
	v_sub_nc_u32_e32 v0, 29, v0
	v_lshlrev_b64 v[32:33], v1, v[30:31]
; %bb.784:                              ;   in Loop: Header=BB373_11 Depth=1
	s_or_b32 exec_lo, exec_lo, s19
	v_lshlrev_b32_e32 v1, 8, v30
	s_delay_alu instid0(VALU_DEP_3) | instskip(NEXT) | instid1(VALU_DEP_3)
	v_lshl_add_u32 v0, v0, 10, 0x2000
	v_lshlrev_b32_e32 v2, 7, v32
	s_delay_alu instid0(VALU_DEP_2) | instskip(NEXT) | instid1(VALU_DEP_1)
	v_and_or_b32 v0, 0x8000, v1, v0
	v_and_or_b32 v0, 0x380, v2, v0
	s_delay_alu instid0(VALU_DEP_1)
	v_cvt_f32_f16_e32 v105, v0
.LBB373_785:                            ;   in Loop: Header=BB373_11 Depth=1
	s_or_b32 exec_lo, exec_lo, s18
.LBB373_786:                            ;   in Loop: Header=BB373_11 Depth=1
	s_delay_alu instid0(SALU_CYCLE_1)
	s_or_b32 exec_lo, exec_lo, s17
.LBB373_787:                            ;   in Loop: Header=BB373_11 Depth=1
	s_delay_alu instid0(SALU_CYCLE_1) | instskip(SKIP_3) | instid1(VALU_DEP_2)
	s_or_b32 exec_lo, exec_lo, s15
	v_lshrrev_b16 v0, 8, v30
	v_dual_mov_b32 v106, 0 :: v_dual_mov_b32 v107, 0
	s_mov_b32 s15, exec_lo
	v_cmpx_ne_u16_e32 0, v0
	s_cbranch_execz .LBB373_795
; %bb.788:                              ;   in Loop: Header=BB373_11 Depth=1
	v_bfrev_b32_e32 v107, 1
	s_mov_b32 s17, exec_lo
	v_cmpx_ne_u16_e32 0x80, v0
	s_cbranch_execz .LBB373_794
; %bb.789:                              ;   in Loop: Header=BB373_11 Depth=1
	v_and_b32_e32 v0, 0xffff, v0
	v_mov_b32_e32 v107, 0x7fc02000
	s_mov_b32 s18, exec_lo
	s_delay_alu instid0(VALU_DEP_2) | instskip(NEXT) | instid1(VALU_DEP_1)
	v_and_b32_e32 v2, 0x7f, v0
	v_cmpx_ne_u32_e32 0x7f, v2
	s_cbranch_execz .LBB373_793
; %bb.790:                              ;   in Loop: Header=BB373_11 Depth=1
	v_and_b32_e32 v8, 7, v0
	v_lshrrev_b32_e32 v1, 3, v2
	v_mov_b32_e32 v33, v9
	s_mov_b32 s19, exec_lo
	s_delay_alu instid0(VALU_DEP_3)
	v_mov_b32_e32 v32, v8
	v_cmpx_gt_u32_e32 8, v2
; %bb.791:                              ;   in Loop: Header=BB373_11 Depth=1
	v_clz_i32_u32_e32 v1, v8
	s_delay_alu instid0(VALU_DEP_1) | instskip(NEXT) | instid1(VALU_DEP_1)
	v_min_u32_e32 v1, 32, v1
	v_subrev_nc_u32_e32 v2, 28, v1
	v_sub_nc_u32_e32 v1, 29, v1
	s_delay_alu instid0(VALU_DEP_2) | instskip(NEXT) | instid1(VALU_DEP_1)
	v_lshlrev_b64 v[2:3], v2, v[8:9]
	v_and_b32_e32 v32, 7, v2
; %bb.792:                              ;   in Loop: Header=BB373_11 Depth=1
	s_or_b32 exec_lo, exec_lo, s19
	v_lshlrev_b32_e32 v0, 8, v0
	v_lshl_add_u32 v1, v1, 10, 0x2000
	s_delay_alu instid0(VALU_DEP_1) | instskip(NEXT) | instid1(VALU_DEP_1)
	v_and_or_b32 v0, 0x8000, v0, v1
	v_lshl_or_b32 v0, v32, 7, v0
	s_delay_alu instid0(VALU_DEP_1)
	v_cvt_f32_f16_e32 v107, v0
.LBB373_793:                            ;   in Loop: Header=BB373_11 Depth=1
	s_or_b32 exec_lo, exec_lo, s18
.LBB373_794:                            ;   in Loop: Header=BB373_11 Depth=1
	s_delay_alu instid0(SALU_CYCLE_1)
	s_or_b32 exec_lo, exec_lo, s17
.LBB373_795:                            ;   in Loop: Header=BB373_11 Depth=1
	s_delay_alu instid0(SALU_CYCLE_1) | instskip(SKIP_2) | instid1(VALU_DEP_1)
	s_or_b32 exec_lo, exec_lo, s15
	v_lshrrev_b32_e32 v0, 16, v30
	s_mov_b32 s15, exec_lo
	v_and_b32_e32 v1, 0xff, v0
	s_delay_alu instid0(VALU_DEP_1)
	v_cmpx_ne_u16_e32 0, v1
	s_cbranch_execz .LBB373_803
; %bb.796:                              ;   in Loop: Header=BB373_11 Depth=1
	v_bfrev_b32_e32 v106, 1
	s_mov_b32 s17, exec_lo
	v_cmpx_ne_u16_e32 0x80, v1
	s_cbranch_execz .LBB373_802
; %bb.797:                              ;   in Loop: Header=BB373_11 Depth=1
	v_bfe_u32 v2, v30, 16, 7
	v_mov_b32_e32 v106, 0x7fc02000
	s_mov_b32 s18, exec_lo
	s_delay_alu instid0(VALU_DEP_2)
	v_cmpx_ne_u32_e32 0x7f, v2
	s_cbranch_execz .LBB373_801
; %bb.798:                              ;   in Loop: Header=BB373_11 Depth=1
	v_and_b32_e32 v8, 7, v0
	v_lshrrev_b32_e32 v1, 3, v2
	v_mov_b32_e32 v33, v9
	s_mov_b32 s19, exec_lo
	s_delay_alu instid0(VALU_DEP_3)
	v_mov_b32_e32 v32, v8
	v_cmpx_gt_u32_e32 8, v2
; %bb.799:                              ;   in Loop: Header=BB373_11 Depth=1
	v_clz_i32_u32_e32 v1, v8
	s_delay_alu instid0(VALU_DEP_1) | instskip(NEXT) | instid1(VALU_DEP_1)
	v_min_u32_e32 v1, 32, v1
	v_subrev_nc_u32_e32 v2, 28, v1
	v_sub_nc_u32_e32 v1, 29, v1
	s_delay_alu instid0(VALU_DEP_2) | instskip(NEXT) | instid1(VALU_DEP_1)
	v_lshlrev_b64 v[2:3], v2, v[8:9]
	v_and_b32_e32 v32, 7, v2
; %bb.800:                              ;   in Loop: Header=BB373_11 Depth=1
	s_or_b32 exec_lo, exec_lo, s19
	v_lshlrev_b32_e32 v0, 8, v0
	v_lshl_add_u32 v1, v1, 10, 0x2000
	s_delay_alu instid0(VALU_DEP_1) | instskip(NEXT) | instid1(VALU_DEP_1)
	v_and_or_b32 v0, 0x8000, v0, v1
	v_lshl_or_b32 v0, v32, 7, v0
	s_delay_alu instid0(VALU_DEP_1)
	v_cvt_f32_f16_e32 v106, v0
.LBB373_801:                            ;   in Loop: Header=BB373_11 Depth=1
	s_or_b32 exec_lo, exec_lo, s18
.LBB373_802:                            ;   in Loop: Header=BB373_11 Depth=1
	s_delay_alu instid0(SALU_CYCLE_1)
	s_or_b32 exec_lo, exec_lo, s17
.LBB373_803:                            ;   in Loop: Header=BB373_11 Depth=1
	s_delay_alu instid0(SALU_CYCLE_1)
	s_or_b32 exec_lo, exec_lo, s15
	v_dual_mov_b32 v108, 0 :: v_dual_mov_b32 v109, 0
	s_mov_b32 s15, exec_lo
	v_cmpx_lt_u32_e32 0xffffff, v30
	s_cbranch_execz .LBB373_811
; %bb.804:                              ;   in Loop: Header=BB373_11 Depth=1
	v_lshrrev_b32_e32 v0, 24, v30
	v_bfrev_b32_e32 v109, 1
	s_mov_b32 s17, exec_lo
	s_delay_alu instid0(VALU_DEP_2)
	v_cmpx_ne_u32_e32 0x80, v0
	s_cbranch_execz .LBB373_810
; %bb.805:                              ;   in Loop: Header=BB373_11 Depth=1
	v_and_b32_e32 v2, 0x7f, v0
	v_mov_b32_e32 v109, 0x7fc02000
	s_mov_b32 s18, exec_lo
	s_delay_alu instid0(VALU_DEP_2)
	v_cmpx_ne_u32_e32 0x7f, v2
	s_cbranch_execz .LBB373_809
; %bb.806:                              ;   in Loop: Header=BB373_11 Depth=1
	v_and_b32_e32 v8, 7, v0
	v_lshrrev_b32_e32 v1, 3, v2
	v_mov_b32_e32 v33, v9
	s_mov_b32 s19, exec_lo
	s_delay_alu instid0(VALU_DEP_3)
	v_mov_b32_e32 v32, v8
	v_cmpx_gt_u32_e32 8, v2
; %bb.807:                              ;   in Loop: Header=BB373_11 Depth=1
	v_clz_i32_u32_e32 v1, v8
	s_delay_alu instid0(VALU_DEP_1) | instskip(NEXT) | instid1(VALU_DEP_1)
	v_min_u32_e32 v1, 32, v1
	v_subrev_nc_u32_e32 v2, 28, v1
	v_sub_nc_u32_e32 v1, 29, v1
	s_delay_alu instid0(VALU_DEP_2) | instskip(NEXT) | instid1(VALU_DEP_1)
	v_lshlrev_b64 v[2:3], v2, v[8:9]
	v_and_b32_e32 v32, 7, v2
; %bb.808:                              ;   in Loop: Header=BB373_11 Depth=1
	s_or_b32 exec_lo, exec_lo, s19
	v_lshlrev_b32_e32 v0, 8, v0
	v_lshl_add_u32 v1, v1, 10, 0x2000
	s_delay_alu instid0(VALU_DEP_1) | instskip(NEXT) | instid1(VALU_DEP_1)
	v_and_or_b32 v0, 0x8000, v0, v1
	v_lshl_or_b32 v0, v32, 7, v0
	s_delay_alu instid0(VALU_DEP_1)
	v_cvt_f32_f16_e32 v109, v0
.LBB373_809:                            ;   in Loop: Header=BB373_11 Depth=1
	s_or_b32 exec_lo, exec_lo, s18
.LBB373_810:                            ;   in Loop: Header=BB373_11 Depth=1
	s_delay_alu instid0(SALU_CYCLE_1)
	s_or_b32 exec_lo, exec_lo, s17
.LBB373_811:                            ;   in Loop: Header=BB373_11 Depth=1
	s_delay_alu instid0(SALU_CYCLE_1) | instskip(SKIP_3) | instid1(VALU_DEP_2)
	s_or_b32 exec_lo, exec_lo, s15
	v_and_b32_e32 v0, 0xff, v31
	v_mov_b32_e32 v8, v31
	s_mov_b32 s15, exec_lo
	v_cmpx_ne_u16_e32 0, v0
	s_cbranch_execz .LBB373_819
; %bb.812:                              ;   in Loop: Header=BB373_11 Depth=1
	v_bfrev_b32_e32 v108, 1
	s_mov_b32 s17, exec_lo
	v_cmpx_ne_u16_e32 0x80, v0
	s_cbranch_execz .LBB373_818
; %bb.813:                              ;   in Loop: Header=BB373_11 Depth=1
	v_and_b32_e32 v1, 0x7f, v31
	v_mov_b32_e32 v108, 0x7fc02000
	s_mov_b32 s18, exec_lo
	s_delay_alu instid0(VALU_DEP_2)
	v_cmpx_ne_u32_e32 0x7f, v1
	s_cbranch_execz .LBB373_817
; %bb.814:                              ;   in Loop: Header=BB373_11 Depth=1
	v_lshrrev_b32_e32 v0, 3, v1
	v_dual_mov_b32 v33, v9 :: v_dual_mov_b32 v32, v8
	s_mov_b32 s19, exec_lo
	v_cmpx_gt_u32_e32 8, v1
; %bb.815:                              ;   in Loop: Header=BB373_11 Depth=1
	v_and_b32_e32 v0, 7, v31
	s_delay_alu instid0(VALU_DEP_1) | instskip(NEXT) | instid1(VALU_DEP_1)
	v_clz_i32_u32_e32 v0, v0
	v_min_u32_e32 v0, 32, v0
	s_delay_alu instid0(VALU_DEP_1) | instskip(SKIP_1) | instid1(VALU_DEP_2)
	v_subrev_nc_u32_e32 v1, 28, v0
	v_sub_nc_u32_e32 v0, 29, v0
	v_lshlrev_b64 v[32:33], v1, v[8:9]
; %bb.816:                              ;   in Loop: Header=BB373_11 Depth=1
	s_or_b32 exec_lo, exec_lo, s19
	v_lshlrev_b32_e32 v1, 8, v31
	s_delay_alu instid0(VALU_DEP_3) | instskip(NEXT) | instid1(VALU_DEP_3)
	v_lshl_add_u32 v0, v0, 10, 0x2000
	v_lshlrev_b32_e32 v2, 7, v32
	s_delay_alu instid0(VALU_DEP_2) | instskip(NEXT) | instid1(VALU_DEP_1)
	v_and_or_b32 v0, 0x8000, v1, v0
	v_and_or_b32 v0, 0x380, v2, v0
	s_delay_alu instid0(VALU_DEP_1)
	v_cvt_f32_f16_e32 v108, v0
.LBB373_817:                            ;   in Loop: Header=BB373_11 Depth=1
	s_or_b32 exec_lo, exec_lo, s18
.LBB373_818:                            ;   in Loop: Header=BB373_11 Depth=1
	s_delay_alu instid0(SALU_CYCLE_1)
	s_or_b32 exec_lo, exec_lo, s17
.LBB373_819:                            ;   in Loop: Header=BB373_11 Depth=1
	s_delay_alu instid0(SALU_CYCLE_1) | instskip(SKIP_3) | instid1(VALU_DEP_2)
	s_or_b32 exec_lo, exec_lo, s15
	v_lshrrev_b16 v0, 8, v8
	v_dual_mov_b32 v110, 0 :: v_dual_mov_b32 v111, 0
	s_mov_b32 s15, exec_lo
	v_cmpx_ne_u16_e32 0, v0
	s_cbranch_execz .LBB373_827
; %bb.820:                              ;   in Loop: Header=BB373_11 Depth=1
	v_bfrev_b32_e32 v111, 1
	s_mov_b32 s17, exec_lo
	v_cmpx_ne_u16_e32 0x80, v0
	s_cbranch_execz .LBB373_826
; %bb.821:                              ;   in Loop: Header=BB373_11 Depth=1
	v_and_b32_e32 v0, 0xffff, v0
	v_mov_b32_e32 v111, 0x7fc02000
	s_mov_b32 s18, exec_lo
	s_delay_alu instid0(VALU_DEP_2) | instskip(NEXT) | instid1(VALU_DEP_1)
	v_and_b32_e32 v2, 0x7f, v0
	v_cmpx_ne_u32_e32 0x7f, v2
	s_cbranch_execz .LBB373_825
; %bb.822:                              ;   in Loop: Header=BB373_11 Depth=1
	v_and_b32_e32 v8, 7, v0
	v_lshrrev_b32_e32 v1, 3, v2
	v_mov_b32_e32 v33, v9
	s_mov_b32 s19, exec_lo
	s_delay_alu instid0(VALU_DEP_3)
	v_mov_b32_e32 v32, v8
	v_cmpx_gt_u32_e32 8, v2
; %bb.823:                              ;   in Loop: Header=BB373_11 Depth=1
	v_clz_i32_u32_e32 v1, v8
	s_delay_alu instid0(VALU_DEP_1) | instskip(NEXT) | instid1(VALU_DEP_1)
	v_min_u32_e32 v1, 32, v1
	v_subrev_nc_u32_e32 v2, 28, v1
	v_sub_nc_u32_e32 v1, 29, v1
	s_delay_alu instid0(VALU_DEP_2) | instskip(NEXT) | instid1(VALU_DEP_1)
	v_lshlrev_b64 v[2:3], v2, v[8:9]
	v_and_b32_e32 v32, 7, v2
; %bb.824:                              ;   in Loop: Header=BB373_11 Depth=1
	s_or_b32 exec_lo, exec_lo, s19
	v_lshlrev_b32_e32 v0, 8, v0
	v_lshl_add_u32 v1, v1, 10, 0x2000
	s_delay_alu instid0(VALU_DEP_1) | instskip(NEXT) | instid1(VALU_DEP_1)
	v_and_or_b32 v0, 0x8000, v0, v1
	v_lshl_or_b32 v0, v32, 7, v0
	s_delay_alu instid0(VALU_DEP_1)
	v_cvt_f32_f16_e32 v111, v0
.LBB373_825:                            ;   in Loop: Header=BB373_11 Depth=1
	s_or_b32 exec_lo, exec_lo, s18
.LBB373_826:                            ;   in Loop: Header=BB373_11 Depth=1
	s_delay_alu instid0(SALU_CYCLE_1)
	s_or_b32 exec_lo, exec_lo, s17
.LBB373_827:                            ;   in Loop: Header=BB373_11 Depth=1
	s_delay_alu instid0(SALU_CYCLE_1) | instskip(SKIP_2) | instid1(VALU_DEP_1)
	s_or_b32 exec_lo, exec_lo, s15
	v_lshrrev_b32_e32 v0, 16, v31
	s_mov_b32 s15, exec_lo
	v_and_b32_e32 v1, 0xff, v0
	s_delay_alu instid0(VALU_DEP_1)
	v_cmpx_ne_u16_e32 0, v1
	s_cbranch_execz .LBB373_835
; %bb.828:                              ;   in Loop: Header=BB373_11 Depth=1
	v_bfrev_b32_e32 v110, 1
	s_mov_b32 s17, exec_lo
	v_cmpx_ne_u16_e32 0x80, v1
	s_cbranch_execz .LBB373_834
; %bb.829:                              ;   in Loop: Header=BB373_11 Depth=1
	v_bfe_u32 v2, v31, 16, 7
	v_mov_b32_e32 v110, 0x7fc02000
	s_mov_b32 s18, exec_lo
	s_delay_alu instid0(VALU_DEP_2)
	v_cmpx_ne_u32_e32 0x7f, v2
	s_cbranch_execz .LBB373_833
; %bb.830:                              ;   in Loop: Header=BB373_11 Depth=1
	v_and_b32_e32 v8, 7, v0
	v_lshrrev_b32_e32 v1, 3, v2
	v_mov_b32_e32 v33, v9
	s_mov_b32 s19, exec_lo
	s_delay_alu instid0(VALU_DEP_3)
	v_mov_b32_e32 v32, v8
	v_cmpx_gt_u32_e32 8, v2
; %bb.831:                              ;   in Loop: Header=BB373_11 Depth=1
	v_clz_i32_u32_e32 v1, v8
	s_delay_alu instid0(VALU_DEP_1) | instskip(NEXT) | instid1(VALU_DEP_1)
	v_min_u32_e32 v1, 32, v1
	v_subrev_nc_u32_e32 v2, 28, v1
	v_sub_nc_u32_e32 v1, 29, v1
	s_delay_alu instid0(VALU_DEP_2) | instskip(NEXT) | instid1(VALU_DEP_1)
	v_lshlrev_b64 v[2:3], v2, v[8:9]
	v_and_b32_e32 v32, 7, v2
; %bb.832:                              ;   in Loop: Header=BB373_11 Depth=1
	s_or_b32 exec_lo, exec_lo, s19
	v_lshlrev_b32_e32 v0, 8, v0
	v_lshl_add_u32 v1, v1, 10, 0x2000
	s_delay_alu instid0(VALU_DEP_1) | instskip(NEXT) | instid1(VALU_DEP_1)
	v_and_or_b32 v0, 0x8000, v0, v1
	v_lshl_or_b32 v0, v32, 7, v0
	s_delay_alu instid0(VALU_DEP_1)
	v_cvt_f32_f16_e32 v110, v0
.LBB373_833:                            ;   in Loop: Header=BB373_11 Depth=1
	s_or_b32 exec_lo, exec_lo, s18
.LBB373_834:                            ;   in Loop: Header=BB373_11 Depth=1
	s_delay_alu instid0(SALU_CYCLE_1)
	s_or_b32 exec_lo, exec_lo, s17
.LBB373_835:                            ;   in Loop: Header=BB373_11 Depth=1
	s_delay_alu instid0(SALU_CYCLE_1)
	s_or_b32 exec_lo, exec_lo, s15
	v_mov_b32_e32 v158, 0
	v_mov_b32_e32 v120, 0
	s_mov_b32 s15, exec_lo
	v_cmpx_lt_u64_e64 s[2:3], v[30:31]
	s_cbranch_execz .LBB373_843
; %bb.836:                              ;   in Loop: Header=BB373_11 Depth=1
	v_lshrrev_b32_e32 v0, 24, v31
	v_bfrev_b32_e32 v120, 1
	s_mov_b32 s17, exec_lo
	s_delay_alu instid0(VALU_DEP_2)
	v_cmpx_ne_u32_e32 0x80, v0
	s_cbranch_execz .LBB373_842
; %bb.837:                              ;   in Loop: Header=BB373_11 Depth=1
	v_and_b32_e32 v2, 0x7f, v0
	v_mov_b32_e32 v120, 0x7fc02000
	s_mov_b32 s18, exec_lo
	s_delay_alu instid0(VALU_DEP_2)
	v_cmpx_ne_u32_e32 0x7f, v2
	s_cbranch_execz .LBB373_841
; %bb.838:                              ;   in Loop: Header=BB373_11 Depth=1
	v_and_b32_e32 v8, 7, v0
	v_lshrrev_b32_e32 v1, 3, v2
	v_mov_b32_e32 v31, v9
	s_mov_b32 s19, exec_lo
	s_delay_alu instid0(VALU_DEP_3)
	v_mov_b32_e32 v30, v8
	v_cmpx_gt_u32_e32 8, v2
; %bb.839:                              ;   in Loop: Header=BB373_11 Depth=1
	v_clz_i32_u32_e32 v1, v8
	s_delay_alu instid0(VALU_DEP_1) | instskip(NEXT) | instid1(VALU_DEP_1)
	v_min_u32_e32 v1, 32, v1
	v_subrev_nc_u32_e32 v2, 28, v1
	v_sub_nc_u32_e32 v1, 29, v1
	s_delay_alu instid0(VALU_DEP_2) | instskip(NEXT) | instid1(VALU_DEP_1)
	v_lshlrev_b64 v[2:3], v2, v[8:9]
	v_and_b32_e32 v30, 7, v2
; %bb.840:                              ;   in Loop: Header=BB373_11 Depth=1
	s_or_b32 exec_lo, exec_lo, s19
	v_lshlrev_b32_e32 v0, 8, v0
	v_lshl_add_u32 v1, v1, 10, 0x2000
	s_delay_alu instid0(VALU_DEP_1) | instskip(NEXT) | instid1(VALU_DEP_1)
	v_and_or_b32 v0, 0x8000, v0, v1
	v_lshl_or_b32 v0, v30, 7, v0
	s_delay_alu instid0(VALU_DEP_1)
	v_cvt_f32_f16_e32 v120, v0
.LBB373_841:                            ;   in Loop: Header=BB373_11 Depth=1
	s_or_b32 exec_lo, exec_lo, s18
.LBB373_842:                            ;   in Loop: Header=BB373_11 Depth=1
	s_delay_alu instid0(SALU_CYCLE_1)
	s_or_b32 exec_lo, exec_lo, s17
.LBB373_843:                            ;   in Loop: Header=BB373_11 Depth=1
	s_delay_alu instid0(SALU_CYCLE_1) | instskip(SKIP_4) | instid1(VALU_DEP_1)
	s_or_b32 exec_lo, exec_lo, s15
	flat_load_b64 v[30:31], v[28:29] offset:3080
	s_mov_b32 s15, exec_lo
	s_waitcnt vmcnt(0) lgkmcnt(0)
	v_and_b32_e32 v0, 0xff, v30
	v_cmpx_ne_u16_e32 0, v0
	s_cbranch_execz .LBB373_851
; %bb.844:                              ;   in Loop: Header=BB373_11 Depth=1
	v_bfrev_b32_e32 v158, 1
	s_mov_b32 s17, exec_lo
	v_cmpx_ne_u16_e32 0x80, v0
	s_cbranch_execz .LBB373_850
; %bb.845:                              ;   in Loop: Header=BB373_11 Depth=1
	v_and_b32_e32 v1, 0x7f, v30
	v_mov_b32_e32 v158, 0x7fc02000
	s_mov_b32 s18, exec_lo
	s_delay_alu instid0(VALU_DEP_2)
	v_cmpx_ne_u32_e32 0x7f, v1
	s_cbranch_execz .LBB373_849
; %bb.846:                              ;   in Loop: Header=BB373_11 Depth=1
	v_lshrrev_b32_e32 v0, 3, v1
	v_dual_mov_b32 v33, v31 :: v_dual_mov_b32 v32, v30
	s_mov_b32 s19, exec_lo
	v_cmpx_gt_u32_e32 8, v1
; %bb.847:                              ;   in Loop: Header=BB373_11 Depth=1
	v_and_b32_e32 v0, 7, v30
	s_delay_alu instid0(VALU_DEP_1) | instskip(NEXT) | instid1(VALU_DEP_1)
	v_clz_i32_u32_e32 v0, v0
	v_min_u32_e32 v0, 32, v0
	s_delay_alu instid0(VALU_DEP_1) | instskip(SKIP_1) | instid1(VALU_DEP_2)
	v_subrev_nc_u32_e32 v1, 28, v0
	v_sub_nc_u32_e32 v0, 29, v0
	v_lshlrev_b64 v[32:33], v1, v[30:31]
; %bb.848:                              ;   in Loop: Header=BB373_11 Depth=1
	s_or_b32 exec_lo, exec_lo, s19
	v_lshlrev_b32_e32 v1, 8, v30
	s_delay_alu instid0(VALU_DEP_3) | instskip(NEXT) | instid1(VALU_DEP_3)
	v_lshl_add_u32 v0, v0, 10, 0x2000
	v_lshlrev_b32_e32 v2, 7, v32
	s_delay_alu instid0(VALU_DEP_2) | instskip(NEXT) | instid1(VALU_DEP_1)
	v_and_or_b32 v0, 0x8000, v1, v0
	v_and_or_b32 v0, 0x380, v2, v0
	s_delay_alu instid0(VALU_DEP_1)
	v_cvt_f32_f16_e64 v158, v0
.LBB373_849:                            ;   in Loop: Header=BB373_11 Depth=1
	s_or_b32 exec_lo, exec_lo, s18
.LBB373_850:                            ;   in Loop: Header=BB373_11 Depth=1
	s_delay_alu instid0(SALU_CYCLE_1)
	s_or_b32 exec_lo, exec_lo, s17
.LBB373_851:                            ;   in Loop: Header=BB373_11 Depth=1
	s_delay_alu instid0(SALU_CYCLE_1) | instskip(SKIP_4) | instid1(VALU_DEP_3)
	s_or_b32 exec_lo, exec_lo, s15
	v_lshrrev_b16 v0, 8, v30
	v_mov_b32_e32 v159, 0
	v_mov_b32_e32 v123, 0
	s_mov_b32 s15, exec_lo
	v_cmpx_ne_u16_e32 0, v0
	s_cbranch_execz .LBB373_859
; %bb.852:                              ;   in Loop: Header=BB373_11 Depth=1
	v_bfrev_b32_e32 v123, 1
	s_mov_b32 s17, exec_lo
	v_cmpx_ne_u16_e32 0x80, v0
	s_cbranch_execz .LBB373_858
; %bb.853:                              ;   in Loop: Header=BB373_11 Depth=1
	v_and_b32_e32 v0, 0xffff, v0
	v_mov_b32_e32 v123, 0x7fc02000
	s_mov_b32 s18, exec_lo
	s_delay_alu instid0(VALU_DEP_2) | instskip(NEXT) | instid1(VALU_DEP_1)
	v_and_b32_e32 v2, 0x7f, v0
	v_cmpx_ne_u32_e32 0x7f, v2
	s_cbranch_execz .LBB373_857
; %bb.854:                              ;   in Loop: Header=BB373_11 Depth=1
	v_and_b32_e32 v8, 7, v0
	v_lshrrev_b32_e32 v1, 3, v2
	v_mov_b32_e32 v33, v9
	s_mov_b32 s19, exec_lo
	s_delay_alu instid0(VALU_DEP_3)
	v_mov_b32_e32 v32, v8
	v_cmpx_gt_u32_e32 8, v2
; %bb.855:                              ;   in Loop: Header=BB373_11 Depth=1
	v_clz_i32_u32_e32 v1, v8
	s_delay_alu instid0(VALU_DEP_1) | instskip(NEXT) | instid1(VALU_DEP_1)
	v_min_u32_e32 v1, 32, v1
	v_subrev_nc_u32_e32 v2, 28, v1
	v_sub_nc_u32_e32 v1, 29, v1
	s_delay_alu instid0(VALU_DEP_2) | instskip(NEXT) | instid1(VALU_DEP_1)
	v_lshlrev_b64 v[2:3], v2, v[8:9]
	v_and_b32_e32 v32, 7, v2
; %bb.856:                              ;   in Loop: Header=BB373_11 Depth=1
	s_or_b32 exec_lo, exec_lo, s19
	v_lshlrev_b32_e32 v0, 8, v0
	v_lshl_add_u32 v1, v1, 10, 0x2000
	s_delay_alu instid0(VALU_DEP_1) | instskip(NEXT) | instid1(VALU_DEP_1)
	v_and_or_b32 v0, 0x8000, v0, v1
	v_lshl_or_b32 v0, v32, 7, v0
	s_delay_alu instid0(VALU_DEP_1)
	v_cvt_f32_f16_e32 v123, v0
.LBB373_857:                            ;   in Loop: Header=BB373_11 Depth=1
	s_or_b32 exec_lo, exec_lo, s18
.LBB373_858:                            ;   in Loop: Header=BB373_11 Depth=1
	s_delay_alu instid0(SALU_CYCLE_1)
	s_or_b32 exec_lo, exec_lo, s17
.LBB373_859:                            ;   in Loop: Header=BB373_11 Depth=1
	s_delay_alu instid0(SALU_CYCLE_1) | instskip(SKIP_2) | instid1(VALU_DEP_1)
	s_or_b32 exec_lo, exec_lo, s15
	v_lshrrev_b32_e32 v0, 16, v30
	s_mov_b32 s15, exec_lo
	v_and_b32_e32 v1, 0xff, v0
	s_delay_alu instid0(VALU_DEP_1)
	v_cmpx_ne_u16_e32 0, v1
	s_cbranch_execz .LBB373_867
; %bb.860:                              ;   in Loop: Header=BB373_11 Depth=1
	v_bfrev_b32_e32 v159, 1
	s_mov_b32 s17, exec_lo
	v_cmpx_ne_u16_e32 0x80, v1
	s_cbranch_execz .LBB373_866
; %bb.861:                              ;   in Loop: Header=BB373_11 Depth=1
	v_bfe_u32 v2, v30, 16, 7
	v_mov_b32_e32 v159, 0x7fc02000
	s_mov_b32 s18, exec_lo
	s_delay_alu instid0(VALU_DEP_2)
	v_cmpx_ne_u32_e32 0x7f, v2
	s_cbranch_execz .LBB373_865
; %bb.862:                              ;   in Loop: Header=BB373_11 Depth=1
	v_and_b32_e32 v8, 7, v0
	v_lshrrev_b32_e32 v1, 3, v2
	v_mov_b32_e32 v33, v9
	s_mov_b32 s19, exec_lo
	s_delay_alu instid0(VALU_DEP_3)
	v_mov_b32_e32 v32, v8
	v_cmpx_gt_u32_e32 8, v2
; %bb.863:                              ;   in Loop: Header=BB373_11 Depth=1
	v_clz_i32_u32_e32 v1, v8
	s_delay_alu instid0(VALU_DEP_1) | instskip(NEXT) | instid1(VALU_DEP_1)
	v_min_u32_e32 v1, 32, v1
	v_subrev_nc_u32_e32 v2, 28, v1
	v_sub_nc_u32_e32 v1, 29, v1
	s_delay_alu instid0(VALU_DEP_2) | instskip(NEXT) | instid1(VALU_DEP_1)
	v_lshlrev_b64 v[2:3], v2, v[8:9]
	v_and_b32_e32 v32, 7, v2
; %bb.864:                              ;   in Loop: Header=BB373_11 Depth=1
	s_or_b32 exec_lo, exec_lo, s19
	v_lshlrev_b32_e32 v0, 8, v0
	v_lshl_add_u32 v1, v1, 10, 0x2000
	s_delay_alu instid0(VALU_DEP_1) | instskip(NEXT) | instid1(VALU_DEP_1)
	v_and_or_b32 v0, 0x8000, v0, v1
	v_lshl_or_b32 v0, v32, 7, v0
	s_delay_alu instid0(VALU_DEP_1)
	v_cvt_f32_f16_e64 v159, v0
.LBB373_865:                            ;   in Loop: Header=BB373_11 Depth=1
	s_or_b32 exec_lo, exec_lo, s18
.LBB373_866:                            ;   in Loop: Header=BB373_11 Depth=1
	s_delay_alu instid0(SALU_CYCLE_1)
	s_or_b32 exec_lo, exec_lo, s17
.LBB373_867:                            ;   in Loop: Header=BB373_11 Depth=1
	s_delay_alu instid0(SALU_CYCLE_1)
	s_or_b32 exec_lo, exec_lo, s15
	v_dual_mov_b32 v124, 0 :: v_dual_mov_b32 v125, 0
	s_mov_b32 s15, exec_lo
	v_cmpx_lt_u32_e32 0xffffff, v30
	s_cbranch_execz .LBB373_875
; %bb.868:                              ;   in Loop: Header=BB373_11 Depth=1
	v_lshrrev_b32_e32 v0, 24, v30
	v_bfrev_b32_e32 v125, 1
	s_mov_b32 s17, exec_lo
	s_delay_alu instid0(VALU_DEP_2)
	v_cmpx_ne_u32_e32 0x80, v0
	s_cbranch_execz .LBB373_874
; %bb.869:                              ;   in Loop: Header=BB373_11 Depth=1
	v_and_b32_e32 v2, 0x7f, v0
	v_mov_b32_e32 v125, 0x7fc02000
	s_mov_b32 s18, exec_lo
	s_delay_alu instid0(VALU_DEP_2)
	v_cmpx_ne_u32_e32 0x7f, v2
	s_cbranch_execz .LBB373_873
; %bb.870:                              ;   in Loop: Header=BB373_11 Depth=1
	v_and_b32_e32 v8, 7, v0
	v_lshrrev_b32_e32 v1, 3, v2
	v_mov_b32_e32 v33, v9
	s_mov_b32 s19, exec_lo
	s_delay_alu instid0(VALU_DEP_3)
	v_mov_b32_e32 v32, v8
	v_cmpx_gt_u32_e32 8, v2
; %bb.871:                              ;   in Loop: Header=BB373_11 Depth=1
	v_clz_i32_u32_e32 v1, v8
	s_delay_alu instid0(VALU_DEP_1) | instskip(NEXT) | instid1(VALU_DEP_1)
	v_min_u32_e32 v1, 32, v1
	v_subrev_nc_u32_e32 v2, 28, v1
	v_sub_nc_u32_e32 v1, 29, v1
	s_delay_alu instid0(VALU_DEP_2) | instskip(NEXT) | instid1(VALU_DEP_1)
	v_lshlrev_b64 v[2:3], v2, v[8:9]
	v_and_b32_e32 v32, 7, v2
; %bb.872:                              ;   in Loop: Header=BB373_11 Depth=1
	s_or_b32 exec_lo, exec_lo, s19
	v_lshlrev_b32_e32 v0, 8, v0
	v_lshl_add_u32 v1, v1, 10, 0x2000
	s_delay_alu instid0(VALU_DEP_1) | instskip(NEXT) | instid1(VALU_DEP_1)
	v_and_or_b32 v0, 0x8000, v0, v1
	v_lshl_or_b32 v0, v32, 7, v0
	s_delay_alu instid0(VALU_DEP_1)
	v_cvt_f32_f16_e32 v125, v0
.LBB373_873:                            ;   in Loop: Header=BB373_11 Depth=1
	s_or_b32 exec_lo, exec_lo, s18
.LBB373_874:                            ;   in Loop: Header=BB373_11 Depth=1
	s_delay_alu instid0(SALU_CYCLE_1)
	s_or_b32 exec_lo, exec_lo, s17
.LBB373_875:                            ;   in Loop: Header=BB373_11 Depth=1
	s_delay_alu instid0(SALU_CYCLE_1) | instskip(SKIP_3) | instid1(VALU_DEP_2)
	s_or_b32 exec_lo, exec_lo, s15
	v_and_b32_e32 v0, 0xff, v31
	v_mov_b32_e32 v8, v31
	s_mov_b32 s15, exec_lo
	v_cmpx_ne_u16_e32 0, v0
	s_cbranch_execz .LBB373_883
; %bb.876:                              ;   in Loop: Header=BB373_11 Depth=1
	v_bfrev_b32_e32 v124, 1
	s_mov_b32 s17, exec_lo
	v_cmpx_ne_u16_e32 0x80, v0
	s_cbranch_execz .LBB373_882
; %bb.877:                              ;   in Loop: Header=BB373_11 Depth=1
	v_and_b32_e32 v1, 0x7f, v31
	v_mov_b32_e32 v124, 0x7fc02000
	s_mov_b32 s18, exec_lo
	s_delay_alu instid0(VALU_DEP_2)
	v_cmpx_ne_u32_e32 0x7f, v1
	s_cbranch_execz .LBB373_881
; %bb.878:                              ;   in Loop: Header=BB373_11 Depth=1
	v_dual_mov_b32 v33, v9 :: v_dual_mov_b32 v32, v8
	v_lshrrev_b32_e32 v0, 3, v1
	s_mov_b32 s19, exec_lo
	v_cmpx_gt_u32_e32 8, v1
; %bb.879:                              ;   in Loop: Header=BB373_11 Depth=1
	v_and_b32_e32 v0, 7, v31
	s_delay_alu instid0(VALU_DEP_1) | instskip(NEXT) | instid1(VALU_DEP_1)
	v_clz_i32_u32_e32 v0, v0
	v_min_u32_e32 v0, 32, v0
	s_delay_alu instid0(VALU_DEP_1) | instskip(SKIP_1) | instid1(VALU_DEP_2)
	v_subrev_nc_u32_e32 v1, 28, v0
	v_sub_nc_u32_e32 v0, 29, v0
	v_lshlrev_b64 v[32:33], v1, v[8:9]
; %bb.880:                              ;   in Loop: Header=BB373_11 Depth=1
	s_or_b32 exec_lo, exec_lo, s19
	v_lshlrev_b32_e32 v1, 8, v31
	s_delay_alu instid0(VALU_DEP_3) | instskip(NEXT) | instid1(VALU_DEP_3)
	v_lshl_add_u32 v0, v0, 10, 0x2000
	v_lshlrev_b32_e32 v2, 7, v32
	s_delay_alu instid0(VALU_DEP_2) | instskip(NEXT) | instid1(VALU_DEP_1)
	v_and_or_b32 v0, 0x8000, v1, v0
	v_and_or_b32 v0, 0x380, v2, v0
	s_delay_alu instid0(VALU_DEP_1)
	v_cvt_f32_f16_e32 v124, v0
.LBB373_881:                            ;   in Loop: Header=BB373_11 Depth=1
	s_or_b32 exec_lo, exec_lo, s18
.LBB373_882:                            ;   in Loop: Header=BB373_11 Depth=1
	s_delay_alu instid0(SALU_CYCLE_1)
	s_or_b32 exec_lo, exec_lo, s17
.LBB373_883:                            ;   in Loop: Header=BB373_11 Depth=1
	s_delay_alu instid0(SALU_CYCLE_1) | instskip(SKIP_3) | instid1(VALU_DEP_2)
	s_or_b32 exec_lo, exec_lo, s15
	v_lshrrev_b16 v0, 8, v8
	v_dual_mov_b32 v126, 0 :: v_dual_mov_b32 v127, 0
	s_mov_b32 s15, exec_lo
	v_cmpx_ne_u16_e32 0, v0
	s_cbranch_execz .LBB373_891
; %bb.884:                              ;   in Loop: Header=BB373_11 Depth=1
	v_bfrev_b32_e32 v127, 1
	s_mov_b32 s17, exec_lo
	v_cmpx_ne_u16_e32 0x80, v0
	s_cbranch_execz .LBB373_890
; %bb.885:                              ;   in Loop: Header=BB373_11 Depth=1
	v_and_b32_e32 v0, 0xffff, v0
	v_mov_b32_e32 v127, 0x7fc02000
	s_mov_b32 s18, exec_lo
	s_delay_alu instid0(VALU_DEP_2) | instskip(NEXT) | instid1(VALU_DEP_1)
	v_and_b32_e32 v2, 0x7f, v0
	v_cmpx_ne_u32_e32 0x7f, v2
	s_cbranch_execz .LBB373_889
; %bb.886:                              ;   in Loop: Header=BB373_11 Depth=1
	v_and_b32_e32 v8, 7, v0
	v_lshrrev_b32_e32 v1, 3, v2
	v_mov_b32_e32 v33, v9
	s_mov_b32 s19, exec_lo
	s_delay_alu instid0(VALU_DEP_3)
	v_mov_b32_e32 v32, v8
	v_cmpx_gt_u32_e32 8, v2
; %bb.887:                              ;   in Loop: Header=BB373_11 Depth=1
	v_clz_i32_u32_e32 v1, v8
	s_delay_alu instid0(VALU_DEP_1) | instskip(NEXT) | instid1(VALU_DEP_1)
	v_min_u32_e32 v1, 32, v1
	v_subrev_nc_u32_e32 v2, 28, v1
	v_sub_nc_u32_e32 v1, 29, v1
	s_delay_alu instid0(VALU_DEP_2) | instskip(NEXT) | instid1(VALU_DEP_1)
	v_lshlrev_b64 v[2:3], v2, v[8:9]
	v_and_b32_e32 v32, 7, v2
; %bb.888:                              ;   in Loop: Header=BB373_11 Depth=1
	s_or_b32 exec_lo, exec_lo, s19
	v_lshlrev_b32_e32 v0, 8, v0
	v_lshl_add_u32 v1, v1, 10, 0x2000
	s_delay_alu instid0(VALU_DEP_1) | instskip(NEXT) | instid1(VALU_DEP_1)
	v_and_or_b32 v0, 0x8000, v0, v1
	v_lshl_or_b32 v0, v32, 7, v0
	s_delay_alu instid0(VALU_DEP_1)
	v_cvt_f32_f16_e32 v127, v0
.LBB373_889:                            ;   in Loop: Header=BB373_11 Depth=1
	s_or_b32 exec_lo, exec_lo, s18
.LBB373_890:                            ;   in Loop: Header=BB373_11 Depth=1
	s_delay_alu instid0(SALU_CYCLE_1)
	s_or_b32 exec_lo, exec_lo, s17
.LBB373_891:                            ;   in Loop: Header=BB373_11 Depth=1
	s_delay_alu instid0(SALU_CYCLE_1) | instskip(SKIP_2) | instid1(VALU_DEP_1)
	s_or_b32 exec_lo, exec_lo, s15
	v_lshrrev_b32_e32 v0, 16, v31
	s_mov_b32 s15, exec_lo
	v_and_b32_e32 v1, 0xff, v0
	s_delay_alu instid0(VALU_DEP_1)
	v_cmpx_ne_u16_e32 0, v1
	s_cbranch_execz .LBB373_899
; %bb.892:                              ;   in Loop: Header=BB373_11 Depth=1
	v_bfrev_b32_e32 v126, 1
	s_mov_b32 s17, exec_lo
	v_cmpx_ne_u16_e32 0x80, v1
	s_cbranch_execz .LBB373_898
; %bb.893:                              ;   in Loop: Header=BB373_11 Depth=1
	v_bfe_u32 v2, v31, 16, 7
	v_mov_b32_e32 v126, 0x7fc02000
	s_mov_b32 s18, exec_lo
	s_delay_alu instid0(VALU_DEP_2)
	v_cmpx_ne_u32_e32 0x7f, v2
	s_cbranch_execz .LBB373_897
; %bb.894:                              ;   in Loop: Header=BB373_11 Depth=1
	v_and_b32_e32 v8, 7, v0
	v_lshrrev_b32_e32 v1, 3, v2
	v_mov_b32_e32 v33, v9
	s_mov_b32 s19, exec_lo
	s_delay_alu instid0(VALU_DEP_3)
	v_mov_b32_e32 v32, v8
	v_cmpx_gt_u32_e32 8, v2
; %bb.895:                              ;   in Loop: Header=BB373_11 Depth=1
	v_clz_i32_u32_e32 v1, v8
	s_delay_alu instid0(VALU_DEP_1) | instskip(NEXT) | instid1(VALU_DEP_1)
	v_min_u32_e32 v1, 32, v1
	v_subrev_nc_u32_e32 v2, 28, v1
	v_sub_nc_u32_e32 v1, 29, v1
	s_delay_alu instid0(VALU_DEP_2) | instskip(NEXT) | instid1(VALU_DEP_1)
	v_lshlrev_b64 v[2:3], v2, v[8:9]
	v_and_b32_e32 v32, 7, v2
; %bb.896:                              ;   in Loop: Header=BB373_11 Depth=1
	s_or_b32 exec_lo, exec_lo, s19
	v_lshlrev_b32_e32 v0, 8, v0
	v_lshl_add_u32 v1, v1, 10, 0x2000
	s_delay_alu instid0(VALU_DEP_1) | instskip(NEXT) | instid1(VALU_DEP_1)
	v_and_or_b32 v0, 0x8000, v0, v1
	v_lshl_or_b32 v0, v32, 7, v0
	s_delay_alu instid0(VALU_DEP_1)
	v_cvt_f32_f16_e32 v126, v0
.LBB373_897:                            ;   in Loop: Header=BB373_11 Depth=1
	s_or_b32 exec_lo, exec_lo, s18
.LBB373_898:                            ;   in Loop: Header=BB373_11 Depth=1
	s_delay_alu instid0(SALU_CYCLE_1)
	s_or_b32 exec_lo, exec_lo, s17
.LBB373_899:                            ;   in Loop: Header=BB373_11 Depth=1
	s_delay_alu instid0(SALU_CYCLE_1)
	s_or_b32 exec_lo, exec_lo, s15
	v_mov_b32_e32 v156, 0
	v_mov_b32_e32 v136, 0
	s_mov_b32 s15, exec_lo
	v_cmpx_lt_u64_e64 s[2:3], v[30:31]
	s_cbranch_execz .LBB373_907
; %bb.900:                              ;   in Loop: Header=BB373_11 Depth=1
	v_lshrrev_b32_e32 v0, 24, v31
	v_bfrev_b32_e32 v136, 1
	s_mov_b32 s17, exec_lo
	s_delay_alu instid0(VALU_DEP_2)
	v_cmpx_ne_u32_e32 0x80, v0
	s_cbranch_execz .LBB373_906
; %bb.901:                              ;   in Loop: Header=BB373_11 Depth=1
	v_and_b32_e32 v2, 0x7f, v0
	v_mov_b32_e32 v136, 0x7fc02000
	s_mov_b32 s18, exec_lo
	s_delay_alu instid0(VALU_DEP_2)
	v_cmpx_ne_u32_e32 0x7f, v2
	s_cbranch_execz .LBB373_905
; %bb.902:                              ;   in Loop: Header=BB373_11 Depth=1
	v_and_b32_e32 v8, 7, v0
	v_lshrrev_b32_e32 v1, 3, v2
	v_mov_b32_e32 v31, v9
	s_mov_b32 s19, exec_lo
	s_delay_alu instid0(VALU_DEP_3)
	v_mov_b32_e32 v30, v8
	v_cmpx_gt_u32_e32 8, v2
; %bb.903:                              ;   in Loop: Header=BB373_11 Depth=1
	v_clz_i32_u32_e32 v1, v8
	s_delay_alu instid0(VALU_DEP_1) | instskip(NEXT) | instid1(VALU_DEP_1)
	v_min_u32_e32 v1, 32, v1
	v_subrev_nc_u32_e32 v2, 28, v1
	v_sub_nc_u32_e32 v1, 29, v1
	s_delay_alu instid0(VALU_DEP_2) | instskip(NEXT) | instid1(VALU_DEP_1)
	v_lshlrev_b64 v[2:3], v2, v[8:9]
	v_and_b32_e32 v30, 7, v2
; %bb.904:                              ;   in Loop: Header=BB373_11 Depth=1
	s_or_b32 exec_lo, exec_lo, s19
	v_lshlrev_b32_e32 v0, 8, v0
	v_lshl_add_u32 v1, v1, 10, 0x2000
	s_delay_alu instid0(VALU_DEP_1) | instskip(NEXT) | instid1(VALU_DEP_1)
	v_and_or_b32 v0, 0x8000, v0, v1
	v_lshl_or_b32 v0, v30, 7, v0
	s_delay_alu instid0(VALU_DEP_1)
	v_cvt_f32_f16_e64 v136, v0
.LBB373_905:                            ;   in Loop: Header=BB373_11 Depth=1
	s_or_b32 exec_lo, exec_lo, s18
.LBB373_906:                            ;   in Loop: Header=BB373_11 Depth=1
	s_delay_alu instid0(SALU_CYCLE_1)
	s_or_b32 exec_lo, exec_lo, s17
.LBB373_907:                            ;   in Loop: Header=BB373_11 Depth=1
	s_delay_alu instid0(SALU_CYCLE_1) | instskip(SKIP_4) | instid1(VALU_DEP_1)
	s_or_b32 exec_lo, exec_lo, s15
	flat_load_b64 v[30:31], v[28:29] offset:3584
	s_mov_b32 s15, exec_lo
	s_waitcnt vmcnt(0) lgkmcnt(0)
	v_and_b32_e32 v0, 0xff, v30
	v_cmpx_ne_u16_e32 0, v0
	s_cbranch_execz .LBB373_915
; %bb.908:                              ;   in Loop: Header=BB373_11 Depth=1
	v_bfrev_b32_e32 v156, 1
	s_mov_b32 s17, exec_lo
	v_cmpx_ne_u16_e32 0x80, v0
	s_cbranch_execz .LBB373_914
; %bb.909:                              ;   in Loop: Header=BB373_11 Depth=1
	v_and_b32_e32 v1, 0x7f, v30
	v_mov_b32_e32 v156, 0x7fc02000
	s_mov_b32 s18, exec_lo
	s_delay_alu instid0(VALU_DEP_2)
	v_cmpx_ne_u32_e32 0x7f, v1
	s_cbranch_execz .LBB373_913
; %bb.910:                              ;   in Loop: Header=BB373_11 Depth=1
	v_lshrrev_b32_e32 v0, 3, v1
	v_dual_mov_b32 v33, v31 :: v_dual_mov_b32 v32, v30
	s_mov_b32 s19, exec_lo
	v_cmpx_gt_u32_e32 8, v1
; %bb.911:                              ;   in Loop: Header=BB373_11 Depth=1
	v_and_b32_e32 v0, 7, v30
	s_delay_alu instid0(VALU_DEP_1) | instskip(NEXT) | instid1(VALU_DEP_1)
	v_clz_i32_u32_e32 v0, v0
	v_min_u32_e32 v0, 32, v0
	s_delay_alu instid0(VALU_DEP_1) | instskip(SKIP_1) | instid1(VALU_DEP_2)
	v_subrev_nc_u32_e32 v1, 28, v0
	v_sub_nc_u32_e32 v0, 29, v0
	v_lshlrev_b64 v[32:33], v1, v[30:31]
; %bb.912:                              ;   in Loop: Header=BB373_11 Depth=1
	s_or_b32 exec_lo, exec_lo, s19
	v_lshlrev_b32_e32 v1, 8, v30
	s_delay_alu instid0(VALU_DEP_3) | instskip(NEXT) | instid1(VALU_DEP_3)
	v_lshl_add_u32 v0, v0, 10, 0x2000
	v_lshlrev_b32_e32 v2, 7, v32
	s_delay_alu instid0(VALU_DEP_2) | instskip(NEXT) | instid1(VALU_DEP_1)
	v_and_or_b32 v0, 0x8000, v1, v0
	v_and_or_b32 v0, 0x380, v2, v0
	s_delay_alu instid0(VALU_DEP_1)
	v_cvt_f32_f16_e64 v156, v0
.LBB373_913:                            ;   in Loop: Header=BB373_11 Depth=1
	s_or_b32 exec_lo, exec_lo, s18
.LBB373_914:                            ;   in Loop: Header=BB373_11 Depth=1
	s_delay_alu instid0(SALU_CYCLE_1)
	s_or_b32 exec_lo, exec_lo, s17
.LBB373_915:                            ;   in Loop: Header=BB373_11 Depth=1
	s_delay_alu instid0(SALU_CYCLE_1) | instskip(SKIP_4) | instid1(VALU_DEP_3)
	s_or_b32 exec_lo, exec_lo, s15
	v_lshrrev_b16 v0, 8, v30
	v_mov_b32_e32 v169, 0
	v_mov_b32_e32 v137, 0
	s_mov_b32 s15, exec_lo
	v_cmpx_ne_u16_e32 0, v0
	s_cbranch_execz .LBB373_923
; %bb.916:                              ;   in Loop: Header=BB373_11 Depth=1
	v_bfrev_b32_e32 v137, 1
	s_mov_b32 s17, exec_lo
	v_cmpx_ne_u16_e32 0x80, v0
	s_cbranch_execz .LBB373_922
; %bb.917:                              ;   in Loop: Header=BB373_11 Depth=1
	v_and_b32_e32 v0, 0xffff, v0
	v_mov_b32_e32 v137, 0x7fc02000
	s_mov_b32 s18, exec_lo
	s_delay_alu instid0(VALU_DEP_2) | instskip(NEXT) | instid1(VALU_DEP_1)
	v_and_b32_e32 v2, 0x7f, v0
	v_cmpx_ne_u32_e32 0x7f, v2
	s_cbranch_execz .LBB373_921
; %bb.918:                              ;   in Loop: Header=BB373_11 Depth=1
	v_and_b32_e32 v8, 7, v0
	v_lshrrev_b32_e32 v1, 3, v2
	v_mov_b32_e32 v33, v9
	s_mov_b32 s19, exec_lo
	s_delay_alu instid0(VALU_DEP_3)
	v_mov_b32_e32 v32, v8
	v_cmpx_gt_u32_e32 8, v2
; %bb.919:                              ;   in Loop: Header=BB373_11 Depth=1
	v_clz_i32_u32_e32 v1, v8
	s_delay_alu instid0(VALU_DEP_1) | instskip(NEXT) | instid1(VALU_DEP_1)
	v_min_u32_e32 v1, 32, v1
	v_subrev_nc_u32_e32 v2, 28, v1
	v_sub_nc_u32_e32 v1, 29, v1
	s_delay_alu instid0(VALU_DEP_2) | instskip(NEXT) | instid1(VALU_DEP_1)
	v_lshlrev_b64 v[2:3], v2, v[8:9]
	v_and_b32_e32 v32, 7, v2
; %bb.920:                              ;   in Loop: Header=BB373_11 Depth=1
	s_or_b32 exec_lo, exec_lo, s19
	v_lshlrev_b32_e32 v0, 8, v0
	v_lshl_add_u32 v1, v1, 10, 0x2000
	s_delay_alu instid0(VALU_DEP_1) | instskip(NEXT) | instid1(VALU_DEP_1)
	v_and_or_b32 v0, 0x8000, v0, v1
	v_lshl_or_b32 v0, v32, 7, v0
	s_delay_alu instid0(VALU_DEP_1)
	v_cvt_f32_f16_e64 v137, v0
.LBB373_921:                            ;   in Loop: Header=BB373_11 Depth=1
	s_or_b32 exec_lo, exec_lo, s18
.LBB373_922:                            ;   in Loop: Header=BB373_11 Depth=1
	s_delay_alu instid0(SALU_CYCLE_1)
	s_or_b32 exec_lo, exec_lo, s17
.LBB373_923:                            ;   in Loop: Header=BB373_11 Depth=1
	s_delay_alu instid0(SALU_CYCLE_1) | instskip(SKIP_2) | instid1(VALU_DEP_1)
	s_or_b32 exec_lo, exec_lo, s15
	v_lshrrev_b32_e32 v0, 16, v30
	s_mov_b32 s15, exec_lo
	v_and_b32_e32 v1, 0xff, v0
	s_delay_alu instid0(VALU_DEP_1)
	v_cmpx_ne_u16_e32 0, v1
	s_cbranch_execz .LBB373_931
; %bb.924:                              ;   in Loop: Header=BB373_11 Depth=1
	v_bfrev_b32_e32 v169, 1
	s_mov_b32 s17, exec_lo
	v_cmpx_ne_u16_e32 0x80, v1
	s_cbranch_execz .LBB373_930
; %bb.925:                              ;   in Loop: Header=BB373_11 Depth=1
	v_bfe_u32 v2, v30, 16, 7
	v_mov_b32_e32 v169, 0x7fc02000
	s_mov_b32 s18, exec_lo
	s_delay_alu instid0(VALU_DEP_2)
	v_cmpx_ne_u32_e32 0x7f, v2
	s_cbranch_execz .LBB373_929
; %bb.926:                              ;   in Loop: Header=BB373_11 Depth=1
	v_and_b32_e32 v8, 7, v0
	v_lshrrev_b32_e32 v1, 3, v2
	v_mov_b32_e32 v33, v9
	s_mov_b32 s19, exec_lo
	s_delay_alu instid0(VALU_DEP_3)
	v_mov_b32_e32 v32, v8
	v_cmpx_gt_u32_e32 8, v2
; %bb.927:                              ;   in Loop: Header=BB373_11 Depth=1
	v_clz_i32_u32_e32 v1, v8
	s_delay_alu instid0(VALU_DEP_1) | instskip(NEXT) | instid1(VALU_DEP_1)
	v_min_u32_e32 v1, 32, v1
	v_subrev_nc_u32_e32 v2, 28, v1
	v_sub_nc_u32_e32 v1, 29, v1
	s_delay_alu instid0(VALU_DEP_2) | instskip(NEXT) | instid1(VALU_DEP_1)
	v_lshlrev_b64 v[2:3], v2, v[8:9]
	v_and_b32_e32 v32, 7, v2
; %bb.928:                              ;   in Loop: Header=BB373_11 Depth=1
	s_or_b32 exec_lo, exec_lo, s19
	v_lshlrev_b32_e32 v0, 8, v0
	v_lshl_add_u32 v1, v1, 10, 0x2000
	s_delay_alu instid0(VALU_DEP_1) | instskip(NEXT) | instid1(VALU_DEP_1)
	v_and_or_b32 v0, 0x8000, v0, v1
	v_lshl_or_b32 v0, v32, 7, v0
	s_delay_alu instid0(VALU_DEP_1)
	v_cvt_f32_f16_e64 v169, v0
.LBB373_929:                            ;   in Loop: Header=BB373_11 Depth=1
	s_or_b32 exec_lo, exec_lo, s18
.LBB373_930:                            ;   in Loop: Header=BB373_11 Depth=1
	s_delay_alu instid0(SALU_CYCLE_1)
	s_or_b32 exec_lo, exec_lo, s17
.LBB373_931:                            ;   in Loop: Header=BB373_11 Depth=1
	s_delay_alu instid0(SALU_CYCLE_1)
	s_or_b32 exec_lo, exec_lo, s15
	v_dual_mov_b32 v138, 0 :: v_dual_mov_b32 v139, 0
	s_mov_b32 s15, exec_lo
	v_cmpx_lt_u32_e32 0xffffff, v30
	s_cbranch_execz .LBB373_939
; %bb.932:                              ;   in Loop: Header=BB373_11 Depth=1
	v_lshrrev_b32_e32 v0, 24, v30
	v_bfrev_b32_e32 v139, 1
	s_mov_b32 s17, exec_lo
	s_delay_alu instid0(VALU_DEP_2)
	v_cmpx_ne_u32_e32 0x80, v0
	s_cbranch_execz .LBB373_938
; %bb.933:                              ;   in Loop: Header=BB373_11 Depth=1
	v_and_b32_e32 v2, 0x7f, v0
	v_mov_b32_e32 v139, 0x7fc02000
	s_mov_b32 s18, exec_lo
	s_delay_alu instid0(VALU_DEP_2)
	v_cmpx_ne_u32_e32 0x7f, v2
	s_cbranch_execz .LBB373_937
; %bb.934:                              ;   in Loop: Header=BB373_11 Depth=1
	v_and_b32_e32 v8, 7, v0
	v_lshrrev_b32_e32 v1, 3, v2
	v_mov_b32_e32 v33, v9
	s_mov_b32 s19, exec_lo
	s_delay_alu instid0(VALU_DEP_3)
	v_mov_b32_e32 v32, v8
	v_cmpx_gt_u32_e32 8, v2
; %bb.935:                              ;   in Loop: Header=BB373_11 Depth=1
	v_clz_i32_u32_e32 v1, v8
	s_delay_alu instid0(VALU_DEP_1) | instskip(NEXT) | instid1(VALU_DEP_1)
	v_min_u32_e32 v1, 32, v1
	v_subrev_nc_u32_e32 v2, 28, v1
	v_sub_nc_u32_e32 v1, 29, v1
	s_delay_alu instid0(VALU_DEP_2) | instskip(NEXT) | instid1(VALU_DEP_1)
	v_lshlrev_b64 v[2:3], v2, v[8:9]
	v_and_b32_e32 v32, 7, v2
; %bb.936:                              ;   in Loop: Header=BB373_11 Depth=1
	s_or_b32 exec_lo, exec_lo, s19
	v_lshlrev_b32_e32 v0, 8, v0
	v_lshl_add_u32 v1, v1, 10, 0x2000
	s_delay_alu instid0(VALU_DEP_1) | instskip(NEXT) | instid1(VALU_DEP_1)
	v_and_or_b32 v0, 0x8000, v0, v1
	v_lshl_or_b32 v0, v32, 7, v0
	s_delay_alu instid0(VALU_DEP_1)
	v_cvt_f32_f16_e64 v139, v0
.LBB373_937:                            ;   in Loop: Header=BB373_11 Depth=1
	s_or_b32 exec_lo, exec_lo, s18
.LBB373_938:                            ;   in Loop: Header=BB373_11 Depth=1
	s_delay_alu instid0(SALU_CYCLE_1)
	s_or_b32 exec_lo, exec_lo, s17
.LBB373_939:                            ;   in Loop: Header=BB373_11 Depth=1
	s_delay_alu instid0(SALU_CYCLE_1) | instskip(SKIP_3) | instid1(VALU_DEP_2)
	s_or_b32 exec_lo, exec_lo, s15
	v_and_b32_e32 v0, 0xff, v31
	v_mov_b32_e32 v8, v31
	s_mov_b32 s15, exec_lo
	v_cmpx_ne_u16_e32 0, v0
	s_cbranch_execz .LBB373_947
; %bb.940:                              ;   in Loop: Header=BB373_11 Depth=1
	v_bfrev_b32_e32 v138, 1
	s_mov_b32 s17, exec_lo
	v_cmpx_ne_u16_e32 0x80, v0
	s_cbranch_execz .LBB373_946
; %bb.941:                              ;   in Loop: Header=BB373_11 Depth=1
	v_and_b32_e32 v1, 0x7f, v31
	v_mov_b32_e32 v138, 0x7fc02000
	s_mov_b32 s18, exec_lo
	s_delay_alu instid0(VALU_DEP_2)
	v_cmpx_ne_u32_e32 0x7f, v1
	s_cbranch_execz .LBB373_945
; %bb.942:                              ;   in Loop: Header=BB373_11 Depth=1
	v_dual_mov_b32 v33, v9 :: v_dual_mov_b32 v32, v8
	v_lshrrev_b32_e32 v0, 3, v1
	s_mov_b32 s19, exec_lo
	v_cmpx_gt_u32_e32 8, v1
; %bb.943:                              ;   in Loop: Header=BB373_11 Depth=1
	v_and_b32_e32 v0, 7, v31
	s_delay_alu instid0(VALU_DEP_1) | instskip(NEXT) | instid1(VALU_DEP_1)
	v_clz_i32_u32_e32 v0, v0
	v_min_u32_e32 v0, 32, v0
	s_delay_alu instid0(VALU_DEP_1) | instskip(SKIP_1) | instid1(VALU_DEP_2)
	v_subrev_nc_u32_e32 v1, 28, v0
	v_sub_nc_u32_e32 v0, 29, v0
	v_lshlrev_b64 v[32:33], v1, v[8:9]
; %bb.944:                              ;   in Loop: Header=BB373_11 Depth=1
	s_or_b32 exec_lo, exec_lo, s19
	v_lshlrev_b32_e32 v1, 8, v31
	s_delay_alu instid0(VALU_DEP_3) | instskip(NEXT) | instid1(VALU_DEP_3)
	v_lshl_add_u32 v0, v0, 10, 0x2000
	v_lshlrev_b32_e32 v2, 7, v32
	s_delay_alu instid0(VALU_DEP_2) | instskip(NEXT) | instid1(VALU_DEP_1)
	v_and_or_b32 v0, 0x8000, v1, v0
	v_and_or_b32 v0, 0x380, v2, v0
	s_delay_alu instid0(VALU_DEP_1)
	v_cvt_f32_f16_e64 v138, v0
.LBB373_945:                            ;   in Loop: Header=BB373_11 Depth=1
	s_or_b32 exec_lo, exec_lo, s18
.LBB373_946:                            ;   in Loop: Header=BB373_11 Depth=1
	s_delay_alu instid0(SALU_CYCLE_1)
	s_or_b32 exec_lo, exec_lo, s17
.LBB373_947:                            ;   in Loop: Header=BB373_11 Depth=1
	s_delay_alu instid0(SALU_CYCLE_1) | instskip(SKIP_3) | instid1(VALU_DEP_2)
	s_or_b32 exec_lo, exec_lo, s15
	v_lshrrev_b16 v0, 8, v8
	v_dual_mov_b32 v142, 0 :: v_dual_mov_b32 v143, 0
	s_mov_b32 s15, exec_lo
	v_cmpx_ne_u16_e32 0, v0
	s_cbranch_execz .LBB373_955
; %bb.948:                              ;   in Loop: Header=BB373_11 Depth=1
	v_bfrev_b32_e32 v143, 1
	s_mov_b32 s17, exec_lo
	v_cmpx_ne_u16_e32 0x80, v0
	s_cbranch_execz .LBB373_954
; %bb.949:                              ;   in Loop: Header=BB373_11 Depth=1
	v_and_b32_e32 v0, 0xffff, v0
	v_mov_b32_e32 v143, 0x7fc02000
	s_mov_b32 s18, exec_lo
	s_delay_alu instid0(VALU_DEP_2) | instskip(NEXT) | instid1(VALU_DEP_1)
	v_and_b32_e32 v2, 0x7f, v0
	v_cmpx_ne_u32_e32 0x7f, v2
	s_cbranch_execz .LBB373_953
; %bb.950:                              ;   in Loop: Header=BB373_11 Depth=1
	v_and_b32_e32 v8, 7, v0
	v_lshrrev_b32_e32 v1, 3, v2
	v_mov_b32_e32 v33, v9
	s_mov_b32 s19, exec_lo
	s_delay_alu instid0(VALU_DEP_3)
	v_mov_b32_e32 v32, v8
	v_cmpx_gt_u32_e32 8, v2
; %bb.951:                              ;   in Loop: Header=BB373_11 Depth=1
	v_clz_i32_u32_e32 v1, v8
	s_delay_alu instid0(VALU_DEP_1) | instskip(NEXT) | instid1(VALU_DEP_1)
	v_min_u32_e32 v1, 32, v1
	v_subrev_nc_u32_e32 v2, 28, v1
	v_sub_nc_u32_e32 v1, 29, v1
	s_delay_alu instid0(VALU_DEP_2) | instskip(NEXT) | instid1(VALU_DEP_1)
	v_lshlrev_b64 v[2:3], v2, v[8:9]
	v_and_b32_e32 v32, 7, v2
; %bb.952:                              ;   in Loop: Header=BB373_11 Depth=1
	s_or_b32 exec_lo, exec_lo, s19
	v_lshlrev_b32_e32 v0, 8, v0
	v_lshl_add_u32 v1, v1, 10, 0x2000
	s_delay_alu instid0(VALU_DEP_1) | instskip(NEXT) | instid1(VALU_DEP_1)
	v_and_or_b32 v0, 0x8000, v0, v1
	v_lshl_or_b32 v0, v32, 7, v0
	s_delay_alu instid0(VALU_DEP_1)
	v_cvt_f32_f16_e64 v143, v0
.LBB373_953:                            ;   in Loop: Header=BB373_11 Depth=1
	s_or_b32 exec_lo, exec_lo, s18
.LBB373_954:                            ;   in Loop: Header=BB373_11 Depth=1
	s_delay_alu instid0(SALU_CYCLE_1)
	s_or_b32 exec_lo, exec_lo, s17
.LBB373_955:                            ;   in Loop: Header=BB373_11 Depth=1
	s_delay_alu instid0(SALU_CYCLE_1) | instskip(SKIP_2) | instid1(VALU_DEP_1)
	s_or_b32 exec_lo, exec_lo, s15
	v_lshrrev_b32_e32 v0, 16, v31
	s_mov_b32 s15, exec_lo
	v_and_b32_e32 v1, 0xff, v0
	s_delay_alu instid0(VALU_DEP_1)
	v_cmpx_ne_u16_e32 0, v1
	s_cbranch_execz .LBB373_963
; %bb.956:                              ;   in Loop: Header=BB373_11 Depth=1
	v_bfrev_b32_e32 v142, 1
	s_mov_b32 s17, exec_lo
	v_cmpx_ne_u16_e32 0x80, v1
	s_cbranch_execz .LBB373_962
; %bb.957:                              ;   in Loop: Header=BB373_11 Depth=1
	v_bfe_u32 v2, v31, 16, 7
	v_mov_b32_e32 v142, 0x7fc02000
	s_mov_b32 s18, exec_lo
	s_delay_alu instid0(VALU_DEP_2)
	v_cmpx_ne_u32_e32 0x7f, v2
	s_cbranch_execz .LBB373_961
; %bb.958:                              ;   in Loop: Header=BB373_11 Depth=1
	v_and_b32_e32 v8, 7, v0
	v_lshrrev_b32_e32 v1, 3, v2
	v_mov_b32_e32 v33, v9
	s_mov_b32 s19, exec_lo
	s_delay_alu instid0(VALU_DEP_3)
	v_mov_b32_e32 v32, v8
	v_cmpx_gt_u32_e32 8, v2
; %bb.959:                              ;   in Loop: Header=BB373_11 Depth=1
	v_clz_i32_u32_e32 v1, v8
	s_delay_alu instid0(VALU_DEP_1) | instskip(NEXT) | instid1(VALU_DEP_1)
	v_min_u32_e32 v1, 32, v1
	v_subrev_nc_u32_e32 v2, 28, v1
	v_sub_nc_u32_e32 v1, 29, v1
	s_delay_alu instid0(VALU_DEP_2) | instskip(NEXT) | instid1(VALU_DEP_1)
	v_lshlrev_b64 v[2:3], v2, v[8:9]
	v_and_b32_e32 v32, 7, v2
; %bb.960:                              ;   in Loop: Header=BB373_11 Depth=1
	s_or_b32 exec_lo, exec_lo, s19
	v_lshlrev_b32_e32 v0, 8, v0
	v_lshl_add_u32 v1, v1, 10, 0x2000
	s_delay_alu instid0(VALU_DEP_1) | instskip(NEXT) | instid1(VALU_DEP_1)
	v_and_or_b32 v0, 0x8000, v0, v1
	v_lshl_or_b32 v0, v32, 7, v0
	s_delay_alu instid0(VALU_DEP_1)
	v_cvt_f32_f16_e64 v142, v0
.LBB373_961:                            ;   in Loop: Header=BB373_11 Depth=1
	s_or_b32 exec_lo, exec_lo, s18
.LBB373_962:                            ;   in Loop: Header=BB373_11 Depth=1
	s_delay_alu instid0(SALU_CYCLE_1)
	s_or_b32 exec_lo, exec_lo, s17
.LBB373_963:                            ;   in Loop: Header=BB373_11 Depth=1
	s_delay_alu instid0(SALU_CYCLE_1)
	s_or_b32 exec_lo, exec_lo, s15
	v_mov_b32_e32 v62, 0
	v_mov_b32_e32 v152, 0
	s_mov_b32 s15, exec_lo
	v_cmpx_lt_u64_e64 s[2:3], v[30:31]
	s_cbranch_execz .LBB373_971
; %bb.964:                              ;   in Loop: Header=BB373_11 Depth=1
	v_lshrrev_b32_e32 v0, 24, v31
	v_bfrev_b32_e32 v152, 1
	s_mov_b32 s17, exec_lo
	s_delay_alu instid0(VALU_DEP_2)
	v_cmpx_ne_u32_e32 0x80, v0
	s_cbranch_execz .LBB373_970
; %bb.965:                              ;   in Loop: Header=BB373_11 Depth=1
	v_and_b32_e32 v2, 0x7f, v0
	v_mov_b32_e32 v152, 0x7fc02000
	s_mov_b32 s18, exec_lo
	s_delay_alu instid0(VALU_DEP_2)
	v_cmpx_ne_u32_e32 0x7f, v2
	s_cbranch_execz .LBB373_969
; %bb.966:                              ;   in Loop: Header=BB373_11 Depth=1
	v_and_b32_e32 v8, 7, v0
	v_lshrrev_b32_e32 v1, 3, v2
	v_mov_b32_e32 v31, v9
	s_mov_b32 s19, exec_lo
	s_delay_alu instid0(VALU_DEP_3)
	v_mov_b32_e32 v30, v8
	v_cmpx_gt_u32_e32 8, v2
; %bb.967:                              ;   in Loop: Header=BB373_11 Depth=1
	v_clz_i32_u32_e32 v1, v8
	s_delay_alu instid0(VALU_DEP_1) | instskip(NEXT) | instid1(VALU_DEP_1)
	v_min_u32_e32 v1, 32, v1
	v_subrev_nc_u32_e32 v2, 28, v1
	v_sub_nc_u32_e32 v1, 29, v1
	s_delay_alu instid0(VALU_DEP_2) | instskip(NEXT) | instid1(VALU_DEP_1)
	v_lshlrev_b64 v[2:3], v2, v[8:9]
	v_and_b32_e32 v30, 7, v2
; %bb.968:                              ;   in Loop: Header=BB373_11 Depth=1
	s_or_b32 exec_lo, exec_lo, s19
	v_lshlrev_b32_e32 v0, 8, v0
	v_lshl_add_u32 v1, v1, 10, 0x2000
	s_delay_alu instid0(VALU_DEP_1) | instskip(NEXT) | instid1(VALU_DEP_1)
	v_and_or_b32 v0, 0x8000, v0, v1
	v_lshl_or_b32 v0, v30, 7, v0
	s_delay_alu instid0(VALU_DEP_1)
	v_cvt_f32_f16_e64 v152, v0
.LBB373_969:                            ;   in Loop: Header=BB373_11 Depth=1
	s_or_b32 exec_lo, exec_lo, s18
.LBB373_970:                            ;   in Loop: Header=BB373_11 Depth=1
	s_delay_alu instid0(SALU_CYCLE_1)
	s_or_b32 exec_lo, exec_lo, s17
.LBB373_971:                            ;   in Loop: Header=BB373_11 Depth=1
	s_delay_alu instid0(SALU_CYCLE_1) | instskip(SKIP_4) | instid1(VALU_DEP_1)
	s_or_b32 exec_lo, exec_lo, s15
	flat_load_b64 v[30:31], v[28:29] offset:3592
	s_mov_b32 s15, exec_lo
	s_waitcnt vmcnt(0) lgkmcnt(0)
	v_and_b32_e32 v0, 0xff, v30
	v_cmpx_ne_u16_e32 0, v0
	s_cbranch_execz .LBB373_979
; %bb.972:                              ;   in Loop: Header=BB373_11 Depth=1
	v_bfrev_b32_e32 v62, 1
	s_mov_b32 s17, exec_lo
	v_cmpx_ne_u16_e32 0x80, v0
	s_cbranch_execz .LBB373_978
; %bb.973:                              ;   in Loop: Header=BB373_11 Depth=1
	v_and_b32_e32 v1, 0x7f, v30
	v_mov_b32_e32 v62, 0x7fc02000
	s_mov_b32 s18, exec_lo
	s_delay_alu instid0(VALU_DEP_2)
	v_cmpx_ne_u32_e32 0x7f, v1
	s_cbranch_execz .LBB373_977
; %bb.974:                              ;   in Loop: Header=BB373_11 Depth=1
	v_lshrrev_b32_e32 v0, 3, v1
	v_dual_mov_b32 v33, v31 :: v_dual_mov_b32 v32, v30
	s_mov_b32 s19, exec_lo
	v_cmpx_gt_u32_e32 8, v1
; %bb.975:                              ;   in Loop: Header=BB373_11 Depth=1
	v_and_b32_e32 v0, 7, v30
	s_delay_alu instid0(VALU_DEP_1) | instskip(NEXT) | instid1(VALU_DEP_1)
	v_clz_i32_u32_e32 v0, v0
	v_min_u32_e32 v0, 32, v0
	s_delay_alu instid0(VALU_DEP_1) | instskip(SKIP_1) | instid1(VALU_DEP_2)
	v_subrev_nc_u32_e32 v1, 28, v0
	v_sub_nc_u32_e32 v0, 29, v0
	v_lshlrev_b64 v[32:33], v1, v[30:31]
; %bb.976:                              ;   in Loop: Header=BB373_11 Depth=1
	s_or_b32 exec_lo, exec_lo, s19
	v_lshlrev_b32_e32 v1, 8, v30
	s_delay_alu instid0(VALU_DEP_3) | instskip(NEXT) | instid1(VALU_DEP_3)
	v_lshl_add_u32 v0, v0, 10, 0x2000
	v_lshlrev_b32_e32 v2, 7, v32
	s_delay_alu instid0(VALU_DEP_2) | instskip(NEXT) | instid1(VALU_DEP_1)
	v_and_or_b32 v0, 0x8000, v1, v0
	v_and_or_b32 v0, 0x380, v2, v0
	s_delay_alu instid0(VALU_DEP_1)
	v_cvt_f32_f16_e32 v62, v0
.LBB373_977:                            ;   in Loop: Header=BB373_11 Depth=1
	s_or_b32 exec_lo, exec_lo, s18
.LBB373_978:                            ;   in Loop: Header=BB373_11 Depth=1
	s_delay_alu instid0(SALU_CYCLE_1)
	s_or_b32 exec_lo, exec_lo, s17
.LBB373_979:                            ;   in Loop: Header=BB373_11 Depth=1
	s_delay_alu instid0(SALU_CYCLE_1) | instskip(SKIP_4) | instid1(VALU_DEP_3)
	s_or_b32 exec_lo, exec_lo, s15
	v_lshrrev_b16 v0, 8, v30
	v_mov_b32_e32 v72, 0
	v_mov_b32_e32 v26, 0
	s_mov_b32 s15, exec_lo
	v_cmpx_ne_u16_e32 0, v0
	s_cbranch_execz .LBB373_987
; %bb.980:                              ;   in Loop: Header=BB373_11 Depth=1
	v_bfrev_b32_e32 v26, 1
	s_mov_b32 s17, exec_lo
	v_cmpx_ne_u16_e32 0x80, v0
	s_cbranch_execz .LBB373_986
; %bb.981:                              ;   in Loop: Header=BB373_11 Depth=1
	v_and_b32_e32 v0, 0xffff, v0
	v_mov_b32_e32 v26, 0x7fc02000
	s_mov_b32 s18, exec_lo
	s_delay_alu instid0(VALU_DEP_2) | instskip(NEXT) | instid1(VALU_DEP_1)
	v_and_b32_e32 v2, 0x7f, v0
	v_cmpx_ne_u32_e32 0x7f, v2
	s_cbranch_execz .LBB373_985
; %bb.982:                              ;   in Loop: Header=BB373_11 Depth=1
	v_and_b32_e32 v8, 7, v0
	v_lshrrev_b32_e32 v1, 3, v2
	v_mov_b32_e32 v33, v9
	s_mov_b32 s19, exec_lo
	s_delay_alu instid0(VALU_DEP_3)
	v_mov_b32_e32 v32, v8
	v_cmpx_gt_u32_e32 8, v2
; %bb.983:                              ;   in Loop: Header=BB373_11 Depth=1
	v_clz_i32_u32_e32 v1, v8
	s_delay_alu instid0(VALU_DEP_1) | instskip(NEXT) | instid1(VALU_DEP_1)
	v_min_u32_e32 v1, 32, v1
	v_subrev_nc_u32_e32 v2, 28, v1
	v_sub_nc_u32_e32 v1, 29, v1
	s_delay_alu instid0(VALU_DEP_2) | instskip(NEXT) | instid1(VALU_DEP_1)
	v_lshlrev_b64 v[2:3], v2, v[8:9]
	v_and_b32_e32 v32, 7, v2
; %bb.984:                              ;   in Loop: Header=BB373_11 Depth=1
	s_or_b32 exec_lo, exec_lo, s19
	v_lshlrev_b32_e32 v0, 8, v0
	v_lshl_add_u32 v1, v1, 10, 0x2000
	s_delay_alu instid0(VALU_DEP_1) | instskip(NEXT) | instid1(VALU_DEP_1)
	v_and_or_b32 v0, 0x8000, v0, v1
	v_lshl_or_b32 v0, v32, 7, v0
	s_delay_alu instid0(VALU_DEP_1)
	v_cvt_f32_f16_e32 v26, v0
.LBB373_985:                            ;   in Loop: Header=BB373_11 Depth=1
	s_or_b32 exec_lo, exec_lo, s18
.LBB373_986:                            ;   in Loop: Header=BB373_11 Depth=1
	s_delay_alu instid0(SALU_CYCLE_1)
	s_or_b32 exec_lo, exec_lo, s17
.LBB373_987:                            ;   in Loop: Header=BB373_11 Depth=1
	s_delay_alu instid0(SALU_CYCLE_1) | instskip(SKIP_2) | instid1(VALU_DEP_1)
	s_or_b32 exec_lo, exec_lo, s15
	v_lshrrev_b32_e32 v0, 16, v30
	s_mov_b32 s15, exec_lo
	v_and_b32_e32 v1, 0xff, v0
	s_delay_alu instid0(VALU_DEP_1)
	v_cmpx_ne_u16_e32 0, v1
	s_cbranch_execz .LBB373_995
; %bb.988:                              ;   in Loop: Header=BB373_11 Depth=1
	v_bfrev_b32_e32 v72, 1
	s_mov_b32 s17, exec_lo
	v_cmpx_ne_u16_e32 0x80, v1
	s_cbranch_execz .LBB373_994
; %bb.989:                              ;   in Loop: Header=BB373_11 Depth=1
	v_bfe_u32 v2, v30, 16, 7
	v_mov_b32_e32 v72, 0x7fc02000
	s_mov_b32 s18, exec_lo
	s_delay_alu instid0(VALU_DEP_2)
	v_cmpx_ne_u32_e32 0x7f, v2
	s_cbranch_execz .LBB373_993
; %bb.990:                              ;   in Loop: Header=BB373_11 Depth=1
	v_and_b32_e32 v8, 7, v0
	v_lshrrev_b32_e32 v1, 3, v2
	v_mov_b32_e32 v33, v9
	s_mov_b32 s19, exec_lo
	s_delay_alu instid0(VALU_DEP_3)
	v_mov_b32_e32 v32, v8
	v_cmpx_gt_u32_e32 8, v2
; %bb.991:                              ;   in Loop: Header=BB373_11 Depth=1
	v_clz_i32_u32_e32 v1, v8
	s_delay_alu instid0(VALU_DEP_1) | instskip(NEXT) | instid1(VALU_DEP_1)
	v_min_u32_e32 v1, 32, v1
	v_subrev_nc_u32_e32 v2, 28, v1
	v_sub_nc_u32_e32 v1, 29, v1
	s_delay_alu instid0(VALU_DEP_2) | instskip(NEXT) | instid1(VALU_DEP_1)
	v_lshlrev_b64 v[2:3], v2, v[8:9]
	v_and_b32_e32 v32, 7, v2
; %bb.992:                              ;   in Loop: Header=BB373_11 Depth=1
	s_or_b32 exec_lo, exec_lo, s19
	v_lshlrev_b32_e32 v0, 8, v0
	v_lshl_add_u32 v1, v1, 10, 0x2000
	s_delay_alu instid0(VALU_DEP_1) | instskip(NEXT) | instid1(VALU_DEP_1)
	v_and_or_b32 v0, 0x8000, v0, v1
	v_lshl_or_b32 v0, v32, 7, v0
	s_delay_alu instid0(VALU_DEP_1)
	v_cvt_f32_f16_e32 v72, v0
.LBB373_993:                            ;   in Loop: Header=BB373_11 Depth=1
	s_or_b32 exec_lo, exec_lo, s18
.LBB373_994:                            ;   in Loop: Header=BB373_11 Depth=1
	s_delay_alu instid0(SALU_CYCLE_1)
	s_or_b32 exec_lo, exec_lo, s17
.LBB373_995:                            ;   in Loop: Header=BB373_11 Depth=1
	s_delay_alu instid0(SALU_CYCLE_1)
	s_or_b32 exec_lo, exec_lo, s15
	v_mov_b32_e32 v170, 0
	v_mov_b32_e32 v88, 0
	s_mov_b32 s15, exec_lo
	v_cmpx_lt_u32_e32 0xffffff, v30
	s_cbranch_execz .LBB373_1003
; %bb.996:                              ;   in Loop: Header=BB373_11 Depth=1
	v_lshrrev_b32_e32 v0, 24, v30
	v_bfrev_b32_e32 v88, 1
	s_mov_b32 s17, exec_lo
	s_delay_alu instid0(VALU_DEP_2)
	v_cmpx_ne_u32_e32 0x80, v0
	s_cbranch_execz .LBB373_1002
; %bb.997:                              ;   in Loop: Header=BB373_11 Depth=1
	v_and_b32_e32 v2, 0x7f, v0
	v_mov_b32_e32 v88, 0x7fc02000
	s_mov_b32 s18, exec_lo
	s_delay_alu instid0(VALU_DEP_2)
	v_cmpx_ne_u32_e32 0x7f, v2
	s_cbranch_execz .LBB373_1001
; %bb.998:                              ;   in Loop: Header=BB373_11 Depth=1
	v_and_b32_e32 v8, 7, v0
	v_lshrrev_b32_e32 v1, 3, v2
	v_mov_b32_e32 v33, v9
	s_mov_b32 s19, exec_lo
	s_delay_alu instid0(VALU_DEP_3)
	v_mov_b32_e32 v32, v8
	v_cmpx_gt_u32_e32 8, v2
; %bb.999:                              ;   in Loop: Header=BB373_11 Depth=1
	v_clz_i32_u32_e32 v1, v8
	s_delay_alu instid0(VALU_DEP_1) | instskip(NEXT) | instid1(VALU_DEP_1)
	v_min_u32_e32 v1, 32, v1
	v_subrev_nc_u32_e32 v2, 28, v1
	v_sub_nc_u32_e32 v1, 29, v1
	s_delay_alu instid0(VALU_DEP_2) | instskip(NEXT) | instid1(VALU_DEP_1)
	v_lshlrev_b64 v[2:3], v2, v[8:9]
	v_and_b32_e32 v32, 7, v2
; %bb.1000:                             ;   in Loop: Header=BB373_11 Depth=1
	s_or_b32 exec_lo, exec_lo, s19
	v_lshlrev_b32_e32 v0, 8, v0
	v_lshl_add_u32 v1, v1, 10, 0x2000
	s_delay_alu instid0(VALU_DEP_1) | instskip(NEXT) | instid1(VALU_DEP_1)
	v_and_or_b32 v0, 0x8000, v0, v1
	v_lshl_or_b32 v0, v32, 7, v0
	s_delay_alu instid0(VALU_DEP_1)
	v_cvt_f32_f16_e32 v88, v0
.LBB373_1001:                           ;   in Loop: Header=BB373_11 Depth=1
	s_or_b32 exec_lo, exec_lo, s18
.LBB373_1002:                           ;   in Loop: Header=BB373_11 Depth=1
	s_delay_alu instid0(SALU_CYCLE_1)
	s_or_b32 exec_lo, exec_lo, s17
.LBB373_1003:                           ;   in Loop: Header=BB373_11 Depth=1
	s_delay_alu instid0(SALU_CYCLE_1) | instskip(SKIP_3) | instid1(VALU_DEP_2)
	s_or_b32 exec_lo, exec_lo, s15
	v_and_b32_e32 v0, 0xff, v31
	v_mov_b32_e32 v8, v31
	s_mov_b32 s15, exec_lo
	v_cmpx_ne_u16_e32 0, v0
	s_cbranch_execz .LBB373_1011
; %bb.1004:                             ;   in Loop: Header=BB373_11 Depth=1
	v_bfrev_b32_e32 v170, 1
	s_mov_b32 s17, exec_lo
	v_cmpx_ne_u16_e32 0x80, v0
	s_cbranch_execz .LBB373_1010
; %bb.1005:                             ;   in Loop: Header=BB373_11 Depth=1
	v_and_b32_e32 v1, 0x7f, v31
	v_mov_b32_e32 v170, 0x7fc02000
	s_mov_b32 s18, exec_lo
	s_delay_alu instid0(VALU_DEP_2)
	v_cmpx_ne_u32_e32 0x7f, v1
	s_cbranch_execz .LBB373_1009
; %bb.1006:                             ;   in Loop: Header=BB373_11 Depth=1
	v_dual_mov_b32 v33, v9 :: v_dual_mov_b32 v32, v8
	v_lshrrev_b32_e32 v0, 3, v1
	s_mov_b32 s19, exec_lo
	v_cmpx_gt_u32_e32 8, v1
; %bb.1007:                             ;   in Loop: Header=BB373_11 Depth=1
	v_and_b32_e32 v0, 7, v31
	s_delay_alu instid0(VALU_DEP_1) | instskip(NEXT) | instid1(VALU_DEP_1)
	v_clz_i32_u32_e32 v0, v0
	v_min_u32_e32 v0, 32, v0
	s_delay_alu instid0(VALU_DEP_1) | instskip(SKIP_1) | instid1(VALU_DEP_2)
	v_subrev_nc_u32_e32 v1, 28, v0
	v_sub_nc_u32_e32 v0, 29, v0
	v_lshlrev_b64 v[32:33], v1, v[8:9]
; %bb.1008:                             ;   in Loop: Header=BB373_11 Depth=1
	s_or_b32 exec_lo, exec_lo, s19
	v_lshlrev_b32_e32 v1, 8, v31
	s_delay_alu instid0(VALU_DEP_3) | instskip(NEXT) | instid1(VALU_DEP_3)
	v_lshl_add_u32 v0, v0, 10, 0x2000
	v_lshlrev_b32_e32 v2, 7, v32
	s_delay_alu instid0(VALU_DEP_2) | instskip(NEXT) | instid1(VALU_DEP_1)
	v_and_or_b32 v0, 0x8000, v1, v0
	v_and_or_b32 v0, 0x380, v2, v0
	s_delay_alu instid0(VALU_DEP_1)
	v_cvt_f32_f16_e64 v170, v0
.LBB373_1009:                           ;   in Loop: Header=BB373_11 Depth=1
	s_or_b32 exec_lo, exec_lo, s18
.LBB373_1010:                           ;   in Loop: Header=BB373_11 Depth=1
	s_delay_alu instid0(SALU_CYCLE_1)
	s_or_b32 exec_lo, exec_lo, s17
.LBB373_1011:                           ;   in Loop: Header=BB373_11 Depth=1
	s_delay_alu instid0(SALU_CYCLE_1) | instskip(SKIP_4) | instid1(VALU_DEP_3)
	s_or_b32 exec_lo, exec_lo, s15
	v_lshrrev_b16 v0, 8, v8
	v_mov_b32_e32 v140, 0
	v_mov_b32_e32 v176, 0
	s_mov_b32 s15, exec_lo
	v_cmpx_ne_u16_e32 0, v0
	s_cbranch_execz .LBB373_1019
; %bb.1012:                             ;   in Loop: Header=BB373_11 Depth=1
	v_bfrev_b32_e32 v176, 1
	s_mov_b32 s17, exec_lo
	v_cmpx_ne_u16_e32 0x80, v0
	s_cbranch_execz .LBB373_1018
; %bb.1013:                             ;   in Loop: Header=BB373_11 Depth=1
	v_and_b32_e32 v0, 0xffff, v0
	v_mov_b32_e32 v176, 0x7fc02000
	s_mov_b32 s18, exec_lo
	s_delay_alu instid0(VALU_DEP_2) | instskip(NEXT) | instid1(VALU_DEP_1)
	v_and_b32_e32 v2, 0x7f, v0
	v_cmpx_ne_u32_e32 0x7f, v2
	s_cbranch_execz .LBB373_1017
; %bb.1014:                             ;   in Loop: Header=BB373_11 Depth=1
	v_and_b32_e32 v8, 7, v0
	v_lshrrev_b32_e32 v1, 3, v2
	v_mov_b32_e32 v33, v9
	s_mov_b32 s19, exec_lo
	s_delay_alu instid0(VALU_DEP_3)
	v_mov_b32_e32 v32, v8
	v_cmpx_gt_u32_e32 8, v2
; %bb.1015:                             ;   in Loop: Header=BB373_11 Depth=1
	v_clz_i32_u32_e32 v1, v8
	s_delay_alu instid0(VALU_DEP_1) | instskip(NEXT) | instid1(VALU_DEP_1)
	v_min_u32_e32 v1, 32, v1
	v_subrev_nc_u32_e32 v2, 28, v1
	v_sub_nc_u32_e32 v1, 29, v1
	s_delay_alu instid0(VALU_DEP_2) | instskip(NEXT) | instid1(VALU_DEP_1)
	v_lshlrev_b64 v[2:3], v2, v[8:9]
	v_and_b32_e32 v32, 7, v2
; %bb.1016:                             ;   in Loop: Header=BB373_11 Depth=1
	s_or_b32 exec_lo, exec_lo, s19
	v_lshlrev_b32_e32 v0, 8, v0
	v_lshl_add_u32 v1, v1, 10, 0x2000
	s_delay_alu instid0(VALU_DEP_1) | instskip(NEXT) | instid1(VALU_DEP_1)
	v_and_or_b32 v0, 0x8000, v0, v1
	v_lshl_or_b32 v0, v32, 7, v0
	s_delay_alu instid0(VALU_DEP_1)
	v_cvt_f32_f16_e64 v176, v0
.LBB373_1017:                           ;   in Loop: Header=BB373_11 Depth=1
	s_or_b32 exec_lo, exec_lo, s18
.LBB373_1018:                           ;   in Loop: Header=BB373_11 Depth=1
	s_delay_alu instid0(SALU_CYCLE_1)
	s_or_b32 exec_lo, exec_lo, s17
.LBB373_1019:                           ;   in Loop: Header=BB373_11 Depth=1
	s_delay_alu instid0(SALU_CYCLE_1) | instskip(SKIP_2) | instid1(VALU_DEP_1)
	s_or_b32 exec_lo, exec_lo, s15
	v_lshrrev_b32_e32 v0, 16, v31
	s_mov_b32 s15, exec_lo
	v_and_b32_e32 v1, 0xff, v0
	s_delay_alu instid0(VALU_DEP_1)
	v_cmpx_ne_u16_e32 0, v1
	s_cbranch_execz .LBB373_1027
; %bb.1020:                             ;   in Loop: Header=BB373_11 Depth=1
	v_bfrev_b32_e32 v140, 1
	s_mov_b32 s17, exec_lo
	v_cmpx_ne_u16_e32 0x80, v1
	s_cbranch_execz .LBB373_1026
; %bb.1021:                             ;   in Loop: Header=BB373_11 Depth=1
	v_bfe_u32 v2, v31, 16, 7
	v_mov_b32_e32 v140, 0x7fc02000
	s_mov_b32 s18, exec_lo
	s_delay_alu instid0(VALU_DEP_2)
	v_cmpx_ne_u32_e32 0x7f, v2
	s_cbranch_execz .LBB373_1025
; %bb.1022:                             ;   in Loop: Header=BB373_11 Depth=1
	v_and_b32_e32 v8, 7, v0
	v_lshrrev_b32_e32 v1, 3, v2
	v_mov_b32_e32 v33, v9
	s_mov_b32 s19, exec_lo
	s_delay_alu instid0(VALU_DEP_3)
	v_mov_b32_e32 v32, v8
	v_cmpx_gt_u32_e32 8, v2
; %bb.1023:                             ;   in Loop: Header=BB373_11 Depth=1
	v_clz_i32_u32_e32 v1, v8
	s_delay_alu instid0(VALU_DEP_1) | instskip(NEXT) | instid1(VALU_DEP_1)
	v_min_u32_e32 v1, 32, v1
	v_subrev_nc_u32_e32 v2, 28, v1
	v_sub_nc_u32_e32 v1, 29, v1
	s_delay_alu instid0(VALU_DEP_2) | instskip(NEXT) | instid1(VALU_DEP_1)
	v_lshlrev_b64 v[2:3], v2, v[8:9]
	v_and_b32_e32 v32, 7, v2
; %bb.1024:                             ;   in Loop: Header=BB373_11 Depth=1
	s_or_b32 exec_lo, exec_lo, s19
	v_lshlrev_b32_e32 v0, 8, v0
	v_lshl_add_u32 v1, v1, 10, 0x2000
	s_delay_alu instid0(VALU_DEP_1) | instskip(NEXT) | instid1(VALU_DEP_1)
	v_and_or_b32 v0, 0x8000, v0, v1
	v_lshl_or_b32 v0, v32, 7, v0
	s_delay_alu instid0(VALU_DEP_1)
	v_cvt_f32_f16_e64 v140, v0
.LBB373_1025:                           ;   in Loop: Header=BB373_11 Depth=1
	s_or_b32 exec_lo, exec_lo, s18
.LBB373_1026:                           ;   in Loop: Header=BB373_11 Depth=1
	s_delay_alu instid0(SALU_CYCLE_1)
	s_or_b32 exec_lo, exec_lo, s17
.LBB373_1027:                           ;   in Loop: Header=BB373_11 Depth=1
	s_delay_alu instid0(SALU_CYCLE_1)
	s_or_b32 exec_lo, exec_lo, s15
	v_dual_mov_b32 v99, 0 :: v_dual_mov_b32 v168, 0
	s_mov_b32 s15, exec_lo
	v_cmpx_lt_u64_e64 s[2:3], v[30:31]
	s_cbranch_execz .LBB373_1035
; %bb.1028:                             ;   in Loop: Header=BB373_11 Depth=1
	v_lshrrev_b32_e32 v0, 24, v31
	v_bfrev_b32_e32 v168, 1
	s_mov_b32 s17, exec_lo
	s_delay_alu instid0(VALU_DEP_2)
	v_cmpx_ne_u32_e32 0x80, v0
	s_cbranch_execz .LBB373_1034
; %bb.1029:                             ;   in Loop: Header=BB373_11 Depth=1
	v_and_b32_e32 v2, 0x7f, v0
	v_mov_b32_e32 v168, 0x7fc02000
	s_mov_b32 s18, exec_lo
	s_delay_alu instid0(VALU_DEP_2)
	v_cmpx_ne_u32_e32 0x7f, v2
	s_cbranch_execz .LBB373_1033
; %bb.1030:                             ;   in Loop: Header=BB373_11 Depth=1
	v_and_b32_e32 v8, 7, v0
	v_lshrrev_b32_e32 v1, 3, v2
	v_mov_b32_e32 v31, v9
	s_mov_b32 s19, exec_lo
	s_delay_alu instid0(VALU_DEP_3)
	v_mov_b32_e32 v30, v8
	v_cmpx_gt_u32_e32 8, v2
; %bb.1031:                             ;   in Loop: Header=BB373_11 Depth=1
	v_clz_i32_u32_e32 v1, v8
	s_delay_alu instid0(VALU_DEP_1) | instskip(NEXT) | instid1(VALU_DEP_1)
	v_min_u32_e32 v1, 32, v1
	v_subrev_nc_u32_e32 v2, 28, v1
	v_sub_nc_u32_e32 v1, 29, v1
	s_delay_alu instid0(VALU_DEP_2) | instskip(NEXT) | instid1(VALU_DEP_1)
	v_lshlrev_b64 v[2:3], v2, v[8:9]
	v_and_b32_e32 v30, 7, v2
; %bb.1032:                             ;   in Loop: Header=BB373_11 Depth=1
	s_or_b32 exec_lo, exec_lo, s19
	v_lshlrev_b32_e32 v0, 8, v0
	v_lshl_add_u32 v1, v1, 10, 0x2000
	s_delay_alu instid0(VALU_DEP_1) | instskip(NEXT) | instid1(VALU_DEP_1)
	v_and_or_b32 v0, 0x8000, v0, v1
	v_lshl_or_b32 v0, v30, 7, v0
	s_delay_alu instid0(VALU_DEP_1)
	v_cvt_f32_f16_e64 v168, v0
.LBB373_1033:                           ;   in Loop: Header=BB373_11 Depth=1
	s_or_b32 exec_lo, exec_lo, s18
.LBB373_1034:                           ;   in Loop: Header=BB373_11 Depth=1
	s_delay_alu instid0(SALU_CYCLE_1)
	s_or_b32 exec_lo, exec_lo, s17
.LBB373_1035:                           ;   in Loop: Header=BB373_11 Depth=1
	s_delay_alu instid0(SALU_CYCLE_1) | instskip(SKIP_1) | instid1(VALU_DEP_1)
	s_or_b32 exec_lo, exec_lo, s15
	v_add_co_u32 v28, s1, 0x1000, v28
	v_add_co_ci_u32_e64 v29, s1, 0, v29, s1
	s_mov_b32 s15, exec_lo
	flat_load_b64 v[30:31], v[28:29]
	s_waitcnt vmcnt(0) lgkmcnt(0)
	v_and_b32_e32 v0, 0xff, v30
	s_delay_alu instid0(VALU_DEP_1)
	v_cmpx_ne_u16_e32 0, v0
	s_cbranch_execz .LBB373_1043
; %bb.1036:                             ;   in Loop: Header=BB373_11 Depth=1
	v_bfrev_b32_e32 v99, 1
	s_mov_b32 s17, exec_lo
	v_cmpx_ne_u16_e32 0x80, v0
	s_cbranch_execz .LBB373_1042
; %bb.1037:                             ;   in Loop: Header=BB373_11 Depth=1
	v_and_b32_e32 v1, 0x7f, v30
	v_mov_b32_e32 v99, 0x7fc02000
	s_mov_b32 s18, exec_lo
	s_delay_alu instid0(VALU_DEP_2)
	v_cmpx_ne_u32_e32 0x7f, v1
	s_cbranch_execz .LBB373_1041
; %bb.1038:                             ;   in Loop: Header=BB373_11 Depth=1
	v_lshrrev_b32_e32 v0, 3, v1
	v_dual_mov_b32 v33, v31 :: v_dual_mov_b32 v32, v30
	s_mov_b32 s19, exec_lo
	v_cmpx_gt_u32_e32 8, v1
; %bb.1039:                             ;   in Loop: Header=BB373_11 Depth=1
	v_and_b32_e32 v0, 7, v30
	s_delay_alu instid0(VALU_DEP_1) | instskip(NEXT) | instid1(VALU_DEP_1)
	v_clz_i32_u32_e32 v0, v0
	v_min_u32_e32 v0, 32, v0
	s_delay_alu instid0(VALU_DEP_1) | instskip(SKIP_1) | instid1(VALU_DEP_2)
	v_subrev_nc_u32_e32 v1, 28, v0
	v_sub_nc_u32_e32 v0, 29, v0
	v_lshlrev_b64 v[32:33], v1, v[30:31]
; %bb.1040:                             ;   in Loop: Header=BB373_11 Depth=1
	s_or_b32 exec_lo, exec_lo, s19
	v_lshlrev_b32_e32 v1, 8, v30
	s_delay_alu instid0(VALU_DEP_3) | instskip(NEXT) | instid1(VALU_DEP_3)
	v_lshl_add_u32 v0, v0, 10, 0x2000
	v_lshlrev_b32_e32 v2, 7, v32
	s_delay_alu instid0(VALU_DEP_2) | instskip(NEXT) | instid1(VALU_DEP_1)
	v_and_or_b32 v0, 0x8000, v1, v0
	v_and_or_b32 v0, 0x380, v2, v0
	s_delay_alu instid0(VALU_DEP_1)
	v_cvt_f32_f16_e32 v99, v0
.LBB373_1041:                           ;   in Loop: Header=BB373_11 Depth=1
	s_or_b32 exec_lo, exec_lo, s18
.LBB373_1042:                           ;   in Loop: Header=BB373_11 Depth=1
	s_delay_alu instid0(SALU_CYCLE_1)
	s_or_b32 exec_lo, exec_lo, s17
.LBB373_1043:                           ;   in Loop: Header=BB373_11 Depth=1
	s_delay_alu instid0(SALU_CYCLE_1) | instskip(SKIP_4) | instid1(VALU_DEP_3)
	s_or_b32 exec_lo, exec_lo, s15
	v_lshrrev_b16 v0, 8, v30
	v_mov_b32_e32 v100, 0
	v_mov_b32_e32 v114, 0
	s_mov_b32 s15, exec_lo
	v_cmpx_ne_u16_e32 0, v0
	s_cbranch_execz .LBB373_1051
; %bb.1044:                             ;   in Loop: Header=BB373_11 Depth=1
	v_bfrev_b32_e32 v114, 1
	s_mov_b32 s17, exec_lo
	v_cmpx_ne_u16_e32 0x80, v0
	s_cbranch_execz .LBB373_1050
; %bb.1045:                             ;   in Loop: Header=BB373_11 Depth=1
	v_and_b32_e32 v0, 0xffff, v0
	v_mov_b32_e32 v114, 0x7fc02000
	s_mov_b32 s18, exec_lo
	s_delay_alu instid0(VALU_DEP_2) | instskip(NEXT) | instid1(VALU_DEP_1)
	v_and_b32_e32 v2, 0x7f, v0
	v_cmpx_ne_u32_e32 0x7f, v2
	s_cbranch_execz .LBB373_1049
; %bb.1046:                             ;   in Loop: Header=BB373_11 Depth=1
	v_and_b32_e32 v8, 7, v0
	v_lshrrev_b32_e32 v1, 3, v2
	v_mov_b32_e32 v33, v9
	s_mov_b32 s19, exec_lo
	s_delay_alu instid0(VALU_DEP_3)
	v_mov_b32_e32 v32, v8
	v_cmpx_gt_u32_e32 8, v2
; %bb.1047:                             ;   in Loop: Header=BB373_11 Depth=1
	v_clz_i32_u32_e32 v1, v8
	s_delay_alu instid0(VALU_DEP_1) | instskip(NEXT) | instid1(VALU_DEP_1)
	v_min_u32_e32 v1, 32, v1
	v_subrev_nc_u32_e32 v2, 28, v1
	v_sub_nc_u32_e32 v1, 29, v1
	s_delay_alu instid0(VALU_DEP_2) | instskip(NEXT) | instid1(VALU_DEP_1)
	v_lshlrev_b64 v[2:3], v2, v[8:9]
	v_and_b32_e32 v32, 7, v2
; %bb.1048:                             ;   in Loop: Header=BB373_11 Depth=1
	s_or_b32 exec_lo, exec_lo, s19
	v_lshlrev_b32_e32 v0, 8, v0
	v_lshl_add_u32 v1, v1, 10, 0x2000
	s_delay_alu instid0(VALU_DEP_1) | instskip(NEXT) | instid1(VALU_DEP_1)
	v_and_or_b32 v0, 0x8000, v0, v1
	v_lshl_or_b32 v0, v32, 7, v0
	s_delay_alu instid0(VALU_DEP_1)
	v_cvt_f32_f16_e32 v114, v0
.LBB373_1049:                           ;   in Loop: Header=BB373_11 Depth=1
	s_or_b32 exec_lo, exec_lo, s18
.LBB373_1050:                           ;   in Loop: Header=BB373_11 Depth=1
	s_delay_alu instid0(SALU_CYCLE_1)
	s_or_b32 exec_lo, exec_lo, s17
.LBB373_1051:                           ;   in Loop: Header=BB373_11 Depth=1
	s_delay_alu instid0(SALU_CYCLE_1) | instskip(SKIP_2) | instid1(VALU_DEP_1)
	s_or_b32 exec_lo, exec_lo, s15
	v_lshrrev_b32_e32 v0, 16, v30
	s_mov_b32 s15, exec_lo
	v_and_b32_e32 v1, 0xff, v0
	s_delay_alu instid0(VALU_DEP_1)
	v_cmpx_ne_u16_e32 0, v1
	s_cbranch_execz .LBB373_1059
; %bb.1052:                             ;   in Loop: Header=BB373_11 Depth=1
	v_bfrev_b32_e32 v100, 1
	s_mov_b32 s17, exec_lo
	v_cmpx_ne_u16_e32 0x80, v1
	s_cbranch_execz .LBB373_1058
; %bb.1053:                             ;   in Loop: Header=BB373_11 Depth=1
	v_bfe_u32 v2, v30, 16, 7
	v_mov_b32_e32 v100, 0x7fc02000
	s_mov_b32 s18, exec_lo
	s_delay_alu instid0(VALU_DEP_2)
	v_cmpx_ne_u32_e32 0x7f, v2
	s_cbranch_execz .LBB373_1057
; %bb.1054:                             ;   in Loop: Header=BB373_11 Depth=1
	v_and_b32_e32 v8, 7, v0
	v_lshrrev_b32_e32 v1, 3, v2
	v_mov_b32_e32 v33, v9
	s_mov_b32 s19, exec_lo
	s_delay_alu instid0(VALU_DEP_3)
	v_mov_b32_e32 v32, v8
	v_cmpx_gt_u32_e32 8, v2
; %bb.1055:                             ;   in Loop: Header=BB373_11 Depth=1
	v_clz_i32_u32_e32 v1, v8
	s_delay_alu instid0(VALU_DEP_1) | instskip(NEXT) | instid1(VALU_DEP_1)
	v_min_u32_e32 v1, 32, v1
	v_subrev_nc_u32_e32 v2, 28, v1
	v_sub_nc_u32_e32 v1, 29, v1
	s_delay_alu instid0(VALU_DEP_2) | instskip(NEXT) | instid1(VALU_DEP_1)
	v_lshlrev_b64 v[2:3], v2, v[8:9]
	v_and_b32_e32 v32, 7, v2
; %bb.1056:                             ;   in Loop: Header=BB373_11 Depth=1
	s_or_b32 exec_lo, exec_lo, s19
	v_lshlrev_b32_e32 v0, 8, v0
	v_lshl_add_u32 v1, v1, 10, 0x2000
	s_delay_alu instid0(VALU_DEP_1) | instskip(NEXT) | instid1(VALU_DEP_1)
	v_and_or_b32 v0, 0x8000, v0, v1
	v_lshl_or_b32 v0, v32, 7, v0
	s_delay_alu instid0(VALU_DEP_1)
	v_cvt_f32_f16_e32 v100, v0
.LBB373_1057:                           ;   in Loop: Header=BB373_11 Depth=1
	s_or_b32 exec_lo, exec_lo, s18
.LBB373_1058:                           ;   in Loop: Header=BB373_11 Depth=1
	s_delay_alu instid0(SALU_CYCLE_1)
	s_or_b32 exec_lo, exec_lo, s17
.LBB373_1059:                           ;   in Loop: Header=BB373_11 Depth=1
	s_delay_alu instid0(SALU_CYCLE_1)
	s_or_b32 exec_lo, exec_lo, s15
	v_mov_b32_e32 v46, 0
	v_mov_b32_e32 v134, 0
	s_mov_b32 s15, exec_lo
	v_cmpx_lt_u32_e32 0xffffff, v30
	s_cbranch_execz .LBB373_1067
; %bb.1060:                             ;   in Loop: Header=BB373_11 Depth=1
	v_lshrrev_b32_e32 v0, 24, v30
	v_bfrev_b32_e32 v134, 1
	s_mov_b32 s17, exec_lo
	s_delay_alu instid0(VALU_DEP_2)
	v_cmpx_ne_u32_e32 0x80, v0
	s_cbranch_execz .LBB373_1066
; %bb.1061:                             ;   in Loop: Header=BB373_11 Depth=1
	v_and_b32_e32 v2, 0x7f, v0
	v_mov_b32_e32 v134, 0x7fc02000
	s_mov_b32 s18, exec_lo
	s_delay_alu instid0(VALU_DEP_2)
	v_cmpx_ne_u32_e32 0x7f, v2
	s_cbranch_execz .LBB373_1065
; %bb.1062:                             ;   in Loop: Header=BB373_11 Depth=1
	v_and_b32_e32 v8, 7, v0
	v_lshrrev_b32_e32 v1, 3, v2
	v_mov_b32_e32 v33, v9
	s_mov_b32 s19, exec_lo
	s_delay_alu instid0(VALU_DEP_3)
	v_mov_b32_e32 v32, v8
	v_cmpx_gt_u32_e32 8, v2
; %bb.1063:                             ;   in Loop: Header=BB373_11 Depth=1
	v_clz_i32_u32_e32 v1, v8
	s_delay_alu instid0(VALU_DEP_1) | instskip(NEXT) | instid1(VALU_DEP_1)
	v_min_u32_e32 v1, 32, v1
	v_subrev_nc_u32_e32 v2, 28, v1
	v_sub_nc_u32_e32 v1, 29, v1
	s_delay_alu instid0(VALU_DEP_2) | instskip(NEXT) | instid1(VALU_DEP_1)
	v_lshlrev_b64 v[2:3], v2, v[8:9]
	v_and_b32_e32 v32, 7, v2
; %bb.1064:                             ;   in Loop: Header=BB373_11 Depth=1
	s_or_b32 exec_lo, exec_lo, s19
	v_lshlrev_b32_e32 v0, 8, v0
	v_lshl_add_u32 v1, v1, 10, 0x2000
	s_delay_alu instid0(VALU_DEP_1) | instskip(NEXT) | instid1(VALU_DEP_1)
	v_and_or_b32 v0, 0x8000, v0, v1
	v_lshl_or_b32 v0, v32, 7, v0
	s_delay_alu instid0(VALU_DEP_1)
	v_cvt_f32_f16_e64 v134, v0
.LBB373_1065:                           ;   in Loop: Header=BB373_11 Depth=1
	s_or_b32 exec_lo, exec_lo, s18
.LBB373_1066:                           ;   in Loop: Header=BB373_11 Depth=1
	s_delay_alu instid0(SALU_CYCLE_1)
	s_or_b32 exec_lo, exec_lo, s17
.LBB373_1067:                           ;   in Loop: Header=BB373_11 Depth=1
	s_delay_alu instid0(SALU_CYCLE_1) | instskip(SKIP_3) | instid1(VALU_DEP_2)
	s_or_b32 exec_lo, exec_lo, s15
	v_and_b32_e32 v0, 0xff, v31
	v_mov_b32_e32 v8, v31
	s_mov_b32 s15, exec_lo
	v_cmpx_ne_u16_e32 0, v0
	s_cbranch_execz .LBB373_1075
; %bb.1068:                             ;   in Loop: Header=BB373_11 Depth=1
	v_bfrev_b32_e32 v46, 1
	s_mov_b32 s17, exec_lo
	v_cmpx_ne_u16_e32 0x80, v0
	s_cbranch_execz .LBB373_1074
; %bb.1069:                             ;   in Loop: Header=BB373_11 Depth=1
	v_and_b32_e32 v1, 0x7f, v31
	v_mov_b32_e32 v46, 0x7fc02000
	s_mov_b32 s18, exec_lo
	s_delay_alu instid0(VALU_DEP_2)
	v_cmpx_ne_u32_e32 0x7f, v1
	s_cbranch_execz .LBB373_1073
; %bb.1070:                             ;   in Loop: Header=BB373_11 Depth=1
	v_dual_mov_b32 v33, v9 :: v_dual_mov_b32 v32, v8
	v_lshrrev_b32_e32 v0, 3, v1
	s_mov_b32 s19, exec_lo
	v_cmpx_gt_u32_e32 8, v1
; %bb.1071:                             ;   in Loop: Header=BB373_11 Depth=1
	v_and_b32_e32 v0, 7, v31
	s_delay_alu instid0(VALU_DEP_1) | instskip(NEXT) | instid1(VALU_DEP_1)
	v_clz_i32_u32_e32 v0, v0
	v_min_u32_e32 v0, 32, v0
	s_delay_alu instid0(VALU_DEP_1) | instskip(SKIP_1) | instid1(VALU_DEP_2)
	v_subrev_nc_u32_e32 v1, 28, v0
	v_sub_nc_u32_e32 v0, 29, v0
	v_lshlrev_b64 v[32:33], v1, v[8:9]
; %bb.1072:                             ;   in Loop: Header=BB373_11 Depth=1
	s_or_b32 exec_lo, exec_lo, s19
	v_lshlrev_b32_e32 v1, 8, v31
	s_delay_alu instid0(VALU_DEP_3) | instskip(NEXT) | instid1(VALU_DEP_3)
	v_lshl_add_u32 v0, v0, 10, 0x2000
	v_lshlrev_b32_e32 v2, 7, v32
	s_delay_alu instid0(VALU_DEP_2) | instskip(NEXT) | instid1(VALU_DEP_1)
	v_and_or_b32 v0, 0x8000, v1, v0
	v_and_or_b32 v0, 0x380, v2, v0
	s_delay_alu instid0(VALU_DEP_1)
	v_cvt_f32_f16_e32 v46, v0
.LBB373_1073:                           ;   in Loop: Header=BB373_11 Depth=1
	s_or_b32 exec_lo, exec_lo, s18
.LBB373_1074:                           ;   in Loop: Header=BB373_11 Depth=1
	s_delay_alu instid0(SALU_CYCLE_1)
	s_or_b32 exec_lo, exec_lo, s17
.LBB373_1075:                           ;   in Loop: Header=BB373_11 Depth=1
	s_delay_alu instid0(SALU_CYCLE_1) | instskip(SKIP_3) | instid1(VALU_DEP_2)
	s_or_b32 exec_lo, exec_lo, s15
	v_lshrrev_b16 v0, 8, v8
	v_dual_mov_b32 v166, 0 :: v_dual_mov_b32 v167, 0
	s_mov_b32 s15, exec_lo
	v_cmpx_ne_u16_e32 0, v0
	s_cbranch_execz .LBB373_1083
; %bb.1076:                             ;   in Loop: Header=BB373_11 Depth=1
	v_bfrev_b32_e32 v167, 1
	s_mov_b32 s17, exec_lo
	v_cmpx_ne_u16_e32 0x80, v0
	s_cbranch_execz .LBB373_1082
; %bb.1077:                             ;   in Loop: Header=BB373_11 Depth=1
	v_and_b32_e32 v0, 0xffff, v0
	v_mov_b32_e32 v167, 0x7fc02000
	s_mov_b32 s18, exec_lo
	s_delay_alu instid0(VALU_DEP_2) | instskip(NEXT) | instid1(VALU_DEP_1)
	v_and_b32_e32 v2, 0x7f, v0
	v_cmpx_ne_u32_e32 0x7f, v2
	s_cbranch_execz .LBB373_1081
; %bb.1078:                             ;   in Loop: Header=BB373_11 Depth=1
	v_and_b32_e32 v8, 7, v0
	v_lshrrev_b32_e32 v1, 3, v2
	v_mov_b32_e32 v33, v9
	s_mov_b32 s19, exec_lo
	s_delay_alu instid0(VALU_DEP_3)
	v_mov_b32_e32 v32, v8
	v_cmpx_gt_u32_e32 8, v2
; %bb.1079:                             ;   in Loop: Header=BB373_11 Depth=1
	v_clz_i32_u32_e32 v1, v8
	s_delay_alu instid0(VALU_DEP_1) | instskip(NEXT) | instid1(VALU_DEP_1)
	v_min_u32_e32 v1, 32, v1
	v_subrev_nc_u32_e32 v2, 28, v1
	v_sub_nc_u32_e32 v1, 29, v1
	s_delay_alu instid0(VALU_DEP_2) | instskip(NEXT) | instid1(VALU_DEP_1)
	v_lshlrev_b64 v[2:3], v2, v[8:9]
	v_and_b32_e32 v32, 7, v2
; %bb.1080:                             ;   in Loop: Header=BB373_11 Depth=1
	s_or_b32 exec_lo, exec_lo, s19
	v_lshlrev_b32_e32 v0, 8, v0
	v_lshl_add_u32 v1, v1, 10, 0x2000
	s_delay_alu instid0(VALU_DEP_1) | instskip(NEXT) | instid1(VALU_DEP_1)
	v_and_or_b32 v0, 0x8000, v0, v1
	v_lshl_or_b32 v0, v32, 7, v0
	s_delay_alu instid0(VALU_DEP_1)
	v_cvt_f32_f16_e64 v167, v0
.LBB373_1081:                           ;   in Loop: Header=BB373_11 Depth=1
	s_or_b32 exec_lo, exec_lo, s18
.LBB373_1082:                           ;   in Loop: Header=BB373_11 Depth=1
	s_delay_alu instid0(SALU_CYCLE_1)
	s_or_b32 exec_lo, exec_lo, s17
.LBB373_1083:                           ;   in Loop: Header=BB373_11 Depth=1
	s_delay_alu instid0(SALU_CYCLE_1) | instskip(SKIP_2) | instid1(VALU_DEP_1)
	s_or_b32 exec_lo, exec_lo, s15
	v_lshrrev_b32_e32 v0, 16, v31
	s_mov_b32 s15, exec_lo
	v_and_b32_e32 v1, 0xff, v0
	s_delay_alu instid0(VALU_DEP_1)
	v_cmpx_ne_u16_e32 0, v1
	s_cbranch_execz .LBB373_1091
; %bb.1084:                             ;   in Loop: Header=BB373_11 Depth=1
	v_bfrev_b32_e32 v166, 1
	s_mov_b32 s17, exec_lo
	v_cmpx_ne_u16_e32 0x80, v1
	s_cbranch_execz .LBB373_1090
; %bb.1085:                             ;   in Loop: Header=BB373_11 Depth=1
	v_bfe_u32 v2, v31, 16, 7
	v_mov_b32_e32 v166, 0x7fc02000
	s_mov_b32 s18, exec_lo
	s_delay_alu instid0(VALU_DEP_2)
	v_cmpx_ne_u32_e32 0x7f, v2
	s_cbranch_execz .LBB373_1089
; %bb.1086:                             ;   in Loop: Header=BB373_11 Depth=1
	v_and_b32_e32 v8, 7, v0
	v_lshrrev_b32_e32 v1, 3, v2
	v_mov_b32_e32 v33, v9
	s_mov_b32 s19, exec_lo
	s_delay_alu instid0(VALU_DEP_3)
	v_mov_b32_e32 v32, v8
	v_cmpx_gt_u32_e32 8, v2
; %bb.1087:                             ;   in Loop: Header=BB373_11 Depth=1
	v_clz_i32_u32_e32 v1, v8
	s_delay_alu instid0(VALU_DEP_1) | instskip(NEXT) | instid1(VALU_DEP_1)
	v_min_u32_e32 v1, 32, v1
	v_subrev_nc_u32_e32 v2, 28, v1
	v_sub_nc_u32_e32 v1, 29, v1
	s_delay_alu instid0(VALU_DEP_2) | instskip(NEXT) | instid1(VALU_DEP_1)
	v_lshlrev_b64 v[2:3], v2, v[8:9]
	v_and_b32_e32 v32, 7, v2
; %bb.1088:                             ;   in Loop: Header=BB373_11 Depth=1
	s_or_b32 exec_lo, exec_lo, s19
	v_lshlrev_b32_e32 v0, 8, v0
	v_lshl_add_u32 v1, v1, 10, 0x2000
	s_delay_alu instid0(VALU_DEP_1) | instskip(NEXT) | instid1(VALU_DEP_1)
	v_and_or_b32 v0, 0x8000, v0, v1
	v_lshl_or_b32 v0, v32, 7, v0
	s_delay_alu instid0(VALU_DEP_1)
	v_cvt_f32_f16_e64 v166, v0
.LBB373_1089:                           ;   in Loop: Header=BB373_11 Depth=1
	s_or_b32 exec_lo, exec_lo, s18
.LBB373_1090:                           ;   in Loop: Header=BB373_11 Depth=1
	s_delay_alu instid0(SALU_CYCLE_1)
	s_or_b32 exec_lo, exec_lo, s17
.LBB373_1091:                           ;   in Loop: Header=BB373_11 Depth=1
	s_delay_alu instid0(SALU_CYCLE_1)
	s_or_b32 exec_lo, exec_lo, s15
	v_dual_mov_b32 v81, 0 :: v_dual_mov_b32 v184, 0
	s_mov_b32 s15, exec_lo
	v_cmpx_lt_u64_e64 s[2:3], v[30:31]
	s_cbranch_execz .LBB373_1099
; %bb.1092:                             ;   in Loop: Header=BB373_11 Depth=1
	v_lshrrev_b32_e32 v0, 24, v31
	v_bfrev_b32_e32 v184, 1
	s_mov_b32 s17, exec_lo
	s_delay_alu instid0(VALU_DEP_2)
	v_cmpx_ne_u32_e32 0x80, v0
	s_cbranch_execz .LBB373_1098
; %bb.1093:                             ;   in Loop: Header=BB373_11 Depth=1
	v_and_b32_e32 v2, 0x7f, v0
	v_mov_b32_e32 v184, 0x7fc02000
	s_mov_b32 s18, exec_lo
	s_delay_alu instid0(VALU_DEP_2)
	v_cmpx_ne_u32_e32 0x7f, v2
	s_cbranch_execz .LBB373_1097
; %bb.1094:                             ;   in Loop: Header=BB373_11 Depth=1
	v_and_b32_e32 v8, 7, v0
	v_lshrrev_b32_e32 v1, 3, v2
	v_mov_b32_e32 v31, v9
	s_mov_b32 s19, exec_lo
	s_delay_alu instid0(VALU_DEP_3)
	v_mov_b32_e32 v30, v8
	v_cmpx_gt_u32_e32 8, v2
; %bb.1095:                             ;   in Loop: Header=BB373_11 Depth=1
	v_clz_i32_u32_e32 v1, v8
	s_delay_alu instid0(VALU_DEP_1) | instskip(NEXT) | instid1(VALU_DEP_1)
	v_min_u32_e32 v1, 32, v1
	v_subrev_nc_u32_e32 v2, 28, v1
	v_sub_nc_u32_e32 v1, 29, v1
	s_delay_alu instid0(VALU_DEP_2) | instskip(NEXT) | instid1(VALU_DEP_1)
	v_lshlrev_b64 v[2:3], v2, v[8:9]
	v_and_b32_e32 v30, 7, v2
; %bb.1096:                             ;   in Loop: Header=BB373_11 Depth=1
	s_or_b32 exec_lo, exec_lo, s19
	v_lshlrev_b32_e32 v0, 8, v0
	v_lshl_add_u32 v1, v1, 10, 0x2000
	s_delay_alu instid0(VALU_DEP_1) | instskip(NEXT) | instid1(VALU_DEP_1)
	v_and_or_b32 v0, 0x8000, v0, v1
	v_lshl_or_b32 v0, v30, 7, v0
	s_delay_alu instid0(VALU_DEP_1)
	v_cvt_f32_f16_e64 v184, v0
.LBB373_1097:                           ;   in Loop: Header=BB373_11 Depth=1
	s_or_b32 exec_lo, exec_lo, s18
.LBB373_1098:                           ;   in Loop: Header=BB373_11 Depth=1
	s_delay_alu instid0(SALU_CYCLE_1)
	s_or_b32 exec_lo, exec_lo, s17
.LBB373_1099:                           ;   in Loop: Header=BB373_11 Depth=1
	s_delay_alu instid0(SALU_CYCLE_1) | instskip(SKIP_4) | instid1(VALU_DEP_1)
	s_or_b32 exec_lo, exec_lo, s15
	flat_load_b64 v[30:31], v[28:29] offset:8
	s_mov_b32 s15, exec_lo
	s_waitcnt vmcnt(0) lgkmcnt(0)
	v_and_b32_e32 v0, 0xff, v30
	v_cmpx_ne_u16_e32 0, v0
	s_cbranch_execz .LBB373_1107
; %bb.1100:                             ;   in Loop: Header=BB373_11 Depth=1
	v_bfrev_b32_e32 v81, 1
	s_mov_b32 s17, exec_lo
	v_cmpx_ne_u16_e32 0x80, v0
	s_cbranch_execz .LBB373_1106
; %bb.1101:                             ;   in Loop: Header=BB373_11 Depth=1
	v_and_b32_e32 v1, 0x7f, v30
	v_mov_b32_e32 v81, 0x7fc02000
	s_mov_b32 s18, exec_lo
	s_delay_alu instid0(VALU_DEP_2)
	v_cmpx_ne_u32_e32 0x7f, v1
	s_cbranch_execz .LBB373_1105
; %bb.1102:                             ;   in Loop: Header=BB373_11 Depth=1
	v_lshrrev_b32_e32 v0, 3, v1
	v_dual_mov_b32 v33, v31 :: v_dual_mov_b32 v32, v30
	s_mov_b32 s19, exec_lo
	v_cmpx_gt_u32_e32 8, v1
; %bb.1103:                             ;   in Loop: Header=BB373_11 Depth=1
	v_and_b32_e32 v0, 7, v30
	s_delay_alu instid0(VALU_DEP_1) | instskip(NEXT) | instid1(VALU_DEP_1)
	v_clz_i32_u32_e32 v0, v0
	v_min_u32_e32 v0, 32, v0
	s_delay_alu instid0(VALU_DEP_1) | instskip(SKIP_1) | instid1(VALU_DEP_2)
	v_subrev_nc_u32_e32 v1, 28, v0
	v_sub_nc_u32_e32 v0, 29, v0
	v_lshlrev_b64 v[32:33], v1, v[30:31]
; %bb.1104:                             ;   in Loop: Header=BB373_11 Depth=1
	s_or_b32 exec_lo, exec_lo, s19
	v_lshlrev_b32_e32 v1, 8, v30
	s_delay_alu instid0(VALU_DEP_3) | instskip(NEXT) | instid1(VALU_DEP_3)
	v_lshl_add_u32 v0, v0, 10, 0x2000
	v_lshlrev_b32_e32 v2, 7, v32
	s_delay_alu instid0(VALU_DEP_2) | instskip(NEXT) | instid1(VALU_DEP_1)
	v_and_or_b32 v0, 0x8000, v1, v0
	v_and_or_b32 v0, 0x380, v2, v0
	s_delay_alu instid0(VALU_DEP_1)
	v_cvt_f32_f16_e32 v81, v0
.LBB373_1105:                           ;   in Loop: Header=BB373_11 Depth=1
	s_or_b32 exec_lo, exec_lo, s18
.LBB373_1106:                           ;   in Loop: Header=BB373_11 Depth=1
	s_delay_alu instid0(SALU_CYCLE_1)
	s_or_b32 exec_lo, exec_lo, s17
.LBB373_1107:                           ;   in Loop: Header=BB373_11 Depth=1
	s_delay_alu instid0(SALU_CYCLE_1) | instskip(SKIP_4) | instid1(VALU_DEP_3)
	s_or_b32 exec_lo, exec_lo, s15
	v_lshrrev_b16 v0, 8, v30
	v_mov_b32_e32 v82, 0
	v_mov_b32_e32 v84, 0
	s_mov_b32 s15, exec_lo
	v_cmpx_ne_u16_e32 0, v0
	s_cbranch_execz .LBB373_1115
; %bb.1108:                             ;   in Loop: Header=BB373_11 Depth=1
	v_bfrev_b32_e32 v84, 1
	s_mov_b32 s17, exec_lo
	v_cmpx_ne_u16_e32 0x80, v0
	s_cbranch_execz .LBB373_1114
; %bb.1109:                             ;   in Loop: Header=BB373_11 Depth=1
	v_and_b32_e32 v0, 0xffff, v0
	v_mov_b32_e32 v84, 0x7fc02000
	s_mov_b32 s18, exec_lo
	s_delay_alu instid0(VALU_DEP_2) | instskip(NEXT) | instid1(VALU_DEP_1)
	v_and_b32_e32 v2, 0x7f, v0
	v_cmpx_ne_u32_e32 0x7f, v2
	s_cbranch_execz .LBB373_1113
; %bb.1110:                             ;   in Loop: Header=BB373_11 Depth=1
	v_and_b32_e32 v8, 7, v0
	v_lshrrev_b32_e32 v1, 3, v2
	v_mov_b32_e32 v33, v9
	s_mov_b32 s19, exec_lo
	s_delay_alu instid0(VALU_DEP_3)
	v_mov_b32_e32 v32, v8
	v_cmpx_gt_u32_e32 8, v2
; %bb.1111:                             ;   in Loop: Header=BB373_11 Depth=1
	v_clz_i32_u32_e32 v1, v8
	s_delay_alu instid0(VALU_DEP_1) | instskip(NEXT) | instid1(VALU_DEP_1)
	v_min_u32_e32 v1, 32, v1
	v_subrev_nc_u32_e32 v2, 28, v1
	v_sub_nc_u32_e32 v1, 29, v1
	s_delay_alu instid0(VALU_DEP_2) | instskip(NEXT) | instid1(VALU_DEP_1)
	v_lshlrev_b64 v[2:3], v2, v[8:9]
	v_and_b32_e32 v32, 7, v2
; %bb.1112:                             ;   in Loop: Header=BB373_11 Depth=1
	s_or_b32 exec_lo, exec_lo, s19
	v_lshlrev_b32_e32 v0, 8, v0
	v_lshl_add_u32 v1, v1, 10, 0x2000
	s_delay_alu instid0(VALU_DEP_1) | instskip(NEXT) | instid1(VALU_DEP_1)
	v_and_or_b32 v0, 0x8000, v0, v1
	v_lshl_or_b32 v0, v32, 7, v0
	s_delay_alu instid0(VALU_DEP_1)
	v_cvt_f32_f16_e32 v84, v0
.LBB373_1113:                           ;   in Loop: Header=BB373_11 Depth=1
	s_or_b32 exec_lo, exec_lo, s18
.LBB373_1114:                           ;   in Loop: Header=BB373_11 Depth=1
	s_delay_alu instid0(SALU_CYCLE_1)
	s_or_b32 exec_lo, exec_lo, s17
.LBB373_1115:                           ;   in Loop: Header=BB373_11 Depth=1
	s_delay_alu instid0(SALU_CYCLE_1) | instskip(SKIP_2) | instid1(VALU_DEP_1)
	s_or_b32 exec_lo, exec_lo, s15
	v_lshrrev_b32_e32 v0, 16, v30
	s_mov_b32 s15, exec_lo
	v_and_b32_e32 v1, 0xff, v0
	s_delay_alu instid0(VALU_DEP_1)
	v_cmpx_ne_u16_e32 0, v1
	s_cbranch_execz .LBB373_1123
; %bb.1116:                             ;   in Loop: Header=BB373_11 Depth=1
	v_bfrev_b32_e32 v82, 1
	s_mov_b32 s17, exec_lo
	v_cmpx_ne_u16_e32 0x80, v1
	s_cbranch_execz .LBB373_1122
; %bb.1117:                             ;   in Loop: Header=BB373_11 Depth=1
	v_bfe_u32 v2, v30, 16, 7
	v_mov_b32_e32 v82, 0x7fc02000
	s_mov_b32 s18, exec_lo
	s_delay_alu instid0(VALU_DEP_2)
	v_cmpx_ne_u32_e32 0x7f, v2
	s_cbranch_execz .LBB373_1121
; %bb.1118:                             ;   in Loop: Header=BB373_11 Depth=1
	v_and_b32_e32 v8, 7, v0
	v_lshrrev_b32_e32 v1, 3, v2
	v_mov_b32_e32 v33, v9
	s_mov_b32 s19, exec_lo
	s_delay_alu instid0(VALU_DEP_3)
	v_mov_b32_e32 v32, v8
	v_cmpx_gt_u32_e32 8, v2
; %bb.1119:                             ;   in Loop: Header=BB373_11 Depth=1
	v_clz_i32_u32_e32 v1, v8
	s_delay_alu instid0(VALU_DEP_1) | instskip(NEXT) | instid1(VALU_DEP_1)
	v_min_u32_e32 v1, 32, v1
	v_subrev_nc_u32_e32 v2, 28, v1
	v_sub_nc_u32_e32 v1, 29, v1
	s_delay_alu instid0(VALU_DEP_2) | instskip(NEXT) | instid1(VALU_DEP_1)
	v_lshlrev_b64 v[2:3], v2, v[8:9]
	v_and_b32_e32 v32, 7, v2
; %bb.1120:                             ;   in Loop: Header=BB373_11 Depth=1
	s_or_b32 exec_lo, exec_lo, s19
	v_lshlrev_b32_e32 v0, 8, v0
	v_lshl_add_u32 v1, v1, 10, 0x2000
	s_delay_alu instid0(VALU_DEP_1) | instskip(NEXT) | instid1(VALU_DEP_1)
	v_and_or_b32 v0, 0x8000, v0, v1
	v_lshl_or_b32 v0, v32, 7, v0
	s_delay_alu instid0(VALU_DEP_1)
	v_cvt_f32_f16_e32 v82, v0
.LBB373_1121:                           ;   in Loop: Header=BB373_11 Depth=1
	s_or_b32 exec_lo, exec_lo, s18
.LBB373_1122:                           ;   in Loop: Header=BB373_11 Depth=1
	s_delay_alu instid0(SALU_CYCLE_1)
	s_or_b32 exec_lo, exec_lo, s17
.LBB373_1123:                           ;   in Loop: Header=BB373_11 Depth=1
	s_delay_alu instid0(SALU_CYCLE_1)
	s_or_b32 exec_lo, exec_lo, s15
	v_dual_mov_b32 v56, 0 :: v_dual_mov_b32 v59, 0
	s_mov_b32 s15, exec_lo
	v_cmpx_lt_u32_e32 0xffffff, v30
	s_cbranch_execz .LBB373_1131
; %bb.1124:                             ;   in Loop: Header=BB373_11 Depth=1
	v_lshrrev_b32_e32 v0, 24, v30
	v_bfrev_b32_e32 v59, 1
	s_mov_b32 s17, exec_lo
	s_delay_alu instid0(VALU_DEP_2)
	v_cmpx_ne_u32_e32 0x80, v0
	s_cbranch_execz .LBB373_1130
; %bb.1125:                             ;   in Loop: Header=BB373_11 Depth=1
	v_and_b32_e32 v2, 0x7f, v0
	v_mov_b32_e32 v59, 0x7fc02000
	s_mov_b32 s18, exec_lo
	s_delay_alu instid0(VALU_DEP_2)
	v_cmpx_ne_u32_e32 0x7f, v2
	s_cbranch_execz .LBB373_1129
; %bb.1126:                             ;   in Loop: Header=BB373_11 Depth=1
	v_and_b32_e32 v8, 7, v0
	v_lshrrev_b32_e32 v1, 3, v2
	v_mov_b32_e32 v33, v9
	s_mov_b32 s19, exec_lo
	s_delay_alu instid0(VALU_DEP_3)
	v_mov_b32_e32 v32, v8
	v_cmpx_gt_u32_e32 8, v2
; %bb.1127:                             ;   in Loop: Header=BB373_11 Depth=1
	v_clz_i32_u32_e32 v1, v8
	s_delay_alu instid0(VALU_DEP_1) | instskip(NEXT) | instid1(VALU_DEP_1)
	v_min_u32_e32 v1, 32, v1
	v_subrev_nc_u32_e32 v2, 28, v1
	v_sub_nc_u32_e32 v1, 29, v1
	s_delay_alu instid0(VALU_DEP_2) | instskip(NEXT) | instid1(VALU_DEP_1)
	v_lshlrev_b64 v[2:3], v2, v[8:9]
	v_and_b32_e32 v32, 7, v2
; %bb.1128:                             ;   in Loop: Header=BB373_11 Depth=1
	s_or_b32 exec_lo, exec_lo, s19
	v_lshlrev_b32_e32 v0, 8, v0
	v_lshl_add_u32 v1, v1, 10, 0x2000
	s_delay_alu instid0(VALU_DEP_1) | instskip(NEXT) | instid1(VALU_DEP_1)
	v_and_or_b32 v0, 0x8000, v0, v1
	v_lshl_or_b32 v0, v32, 7, v0
	s_delay_alu instid0(VALU_DEP_1)
	v_cvt_f32_f16_e32 v59, v0
.LBB373_1129:                           ;   in Loop: Header=BB373_11 Depth=1
	s_or_b32 exec_lo, exec_lo, s18
.LBB373_1130:                           ;   in Loop: Header=BB373_11 Depth=1
	s_delay_alu instid0(SALU_CYCLE_1)
	s_or_b32 exec_lo, exec_lo, s17
.LBB373_1131:                           ;   in Loop: Header=BB373_11 Depth=1
	s_delay_alu instid0(SALU_CYCLE_1) | instskip(SKIP_3) | instid1(VALU_DEP_2)
	s_or_b32 exec_lo, exec_lo, s15
	v_and_b32_e32 v0, 0xff, v31
	v_mov_b32_e32 v8, v31
	s_mov_b32 s15, exec_lo
	v_cmpx_ne_u16_e32 0, v0
	s_cbranch_execz .LBB373_1139
; %bb.1132:                             ;   in Loop: Header=BB373_11 Depth=1
	v_bfrev_b32_e32 v56, 1
	s_mov_b32 s17, exec_lo
	v_cmpx_ne_u16_e32 0x80, v0
	s_cbranch_execz .LBB373_1138
; %bb.1133:                             ;   in Loop: Header=BB373_11 Depth=1
	v_and_b32_e32 v1, 0x7f, v31
	v_mov_b32_e32 v56, 0x7fc02000
	s_mov_b32 s18, exec_lo
	s_delay_alu instid0(VALU_DEP_2)
	v_cmpx_ne_u32_e32 0x7f, v1
	s_cbranch_execz .LBB373_1137
; %bb.1134:                             ;   in Loop: Header=BB373_11 Depth=1
	v_dual_mov_b32 v33, v9 :: v_dual_mov_b32 v32, v8
	v_lshrrev_b32_e32 v0, 3, v1
	s_mov_b32 s19, exec_lo
	v_cmpx_gt_u32_e32 8, v1
; %bb.1135:                             ;   in Loop: Header=BB373_11 Depth=1
	v_and_b32_e32 v0, 7, v31
	s_delay_alu instid0(VALU_DEP_1) | instskip(NEXT) | instid1(VALU_DEP_1)
	v_clz_i32_u32_e32 v0, v0
	v_min_u32_e32 v0, 32, v0
	s_delay_alu instid0(VALU_DEP_1) | instskip(SKIP_1) | instid1(VALU_DEP_2)
	v_subrev_nc_u32_e32 v1, 28, v0
	v_sub_nc_u32_e32 v0, 29, v0
	v_lshlrev_b64 v[32:33], v1, v[8:9]
; %bb.1136:                             ;   in Loop: Header=BB373_11 Depth=1
	s_or_b32 exec_lo, exec_lo, s19
	v_lshlrev_b32_e32 v1, 8, v31
	s_delay_alu instid0(VALU_DEP_3) | instskip(NEXT) | instid1(VALU_DEP_3)
	v_lshl_add_u32 v0, v0, 10, 0x2000
	v_lshlrev_b32_e32 v2, 7, v32
	s_delay_alu instid0(VALU_DEP_2) | instskip(NEXT) | instid1(VALU_DEP_1)
	v_and_or_b32 v0, 0x8000, v1, v0
	v_and_or_b32 v0, 0x380, v2, v0
	s_delay_alu instid0(VALU_DEP_1)
	v_cvt_f32_f16_e32 v56, v0
.LBB373_1137:                           ;   in Loop: Header=BB373_11 Depth=1
	s_or_b32 exec_lo, exec_lo, s18
.LBB373_1138:                           ;   in Loop: Header=BB373_11 Depth=1
	s_delay_alu instid0(SALU_CYCLE_1)
	s_or_b32 exec_lo, exec_lo, s17
.LBB373_1139:                           ;   in Loop: Header=BB373_11 Depth=1
	s_delay_alu instid0(SALU_CYCLE_1) | instskip(SKIP_3) | instid1(VALU_DEP_2)
	s_or_b32 exec_lo, exec_lo, s15
	v_lshrrev_b16 v0, 8, v8
	v_dual_mov_b32 v60, 0 :: v_dual_mov_b32 v61, 0
	s_mov_b32 s15, exec_lo
	v_cmpx_ne_u16_e32 0, v0
	s_cbranch_execz .LBB373_1147
; %bb.1140:                             ;   in Loop: Header=BB373_11 Depth=1
	v_bfrev_b32_e32 v61, 1
	s_mov_b32 s17, exec_lo
	v_cmpx_ne_u16_e32 0x80, v0
	s_cbranch_execz .LBB373_1146
; %bb.1141:                             ;   in Loop: Header=BB373_11 Depth=1
	v_and_b32_e32 v0, 0xffff, v0
	v_mov_b32_e32 v61, 0x7fc02000
	s_mov_b32 s18, exec_lo
	s_delay_alu instid0(VALU_DEP_2) | instskip(NEXT) | instid1(VALU_DEP_1)
	v_and_b32_e32 v2, 0x7f, v0
	v_cmpx_ne_u32_e32 0x7f, v2
	s_cbranch_execz .LBB373_1145
; %bb.1142:                             ;   in Loop: Header=BB373_11 Depth=1
	v_and_b32_e32 v8, 7, v0
	v_mov_b32_e32 v33, v9
	v_lshrrev_b32_e32 v1, 3, v2
	s_mov_b32 s19, exec_lo
	s_delay_alu instid0(VALU_DEP_3)
	v_mov_b32_e32 v32, v8
	v_cmpx_gt_u32_e32 8, v2
; %bb.1143:                             ;   in Loop: Header=BB373_11 Depth=1
	v_clz_i32_u32_e32 v1, v8
	s_delay_alu instid0(VALU_DEP_1) | instskip(NEXT) | instid1(VALU_DEP_1)
	v_min_u32_e32 v1, 32, v1
	v_subrev_nc_u32_e32 v2, 28, v1
	v_sub_nc_u32_e32 v1, 29, v1
	s_delay_alu instid0(VALU_DEP_2) | instskip(NEXT) | instid1(VALU_DEP_1)
	v_lshlrev_b64 v[2:3], v2, v[8:9]
	v_and_b32_e32 v32, 7, v2
; %bb.1144:                             ;   in Loop: Header=BB373_11 Depth=1
	s_or_b32 exec_lo, exec_lo, s19
	v_lshlrev_b32_e32 v0, 8, v0
	v_lshl_add_u32 v1, v1, 10, 0x2000
	s_delay_alu instid0(VALU_DEP_1) | instskip(NEXT) | instid1(VALU_DEP_1)
	v_and_or_b32 v0, 0x8000, v0, v1
	v_lshl_or_b32 v0, v32, 7, v0
	s_delay_alu instid0(VALU_DEP_1)
	v_cvt_f32_f16_e32 v61, v0
.LBB373_1145:                           ;   in Loop: Header=BB373_11 Depth=1
	s_or_b32 exec_lo, exec_lo, s18
.LBB373_1146:                           ;   in Loop: Header=BB373_11 Depth=1
	s_delay_alu instid0(SALU_CYCLE_1)
	s_or_b32 exec_lo, exec_lo, s17
.LBB373_1147:                           ;   in Loop: Header=BB373_11 Depth=1
	s_delay_alu instid0(SALU_CYCLE_1) | instskip(SKIP_2) | instid1(VALU_DEP_1)
	s_or_b32 exec_lo, exec_lo, s15
	v_lshrrev_b32_e32 v0, 16, v31
	s_mov_b32 s15, exec_lo
	v_and_b32_e32 v1, 0xff, v0
	s_delay_alu instid0(VALU_DEP_1)
	v_cmpx_ne_u16_e32 0, v1
	s_cbranch_execz .LBB373_1155
; %bb.1148:                             ;   in Loop: Header=BB373_11 Depth=1
	v_bfrev_b32_e32 v60, 1
	s_mov_b32 s17, exec_lo
	v_cmpx_ne_u16_e32 0x80, v1
	s_cbranch_execz .LBB373_1154
; %bb.1149:                             ;   in Loop: Header=BB373_11 Depth=1
	v_bfe_u32 v2, v31, 16, 7
	v_mov_b32_e32 v60, 0x7fc02000
	s_mov_b32 s18, exec_lo
	s_delay_alu instid0(VALU_DEP_2)
	v_cmpx_ne_u32_e32 0x7f, v2
	s_cbranch_execz .LBB373_1153
; %bb.1150:                             ;   in Loop: Header=BB373_11 Depth=1
	v_and_b32_e32 v8, 7, v0
	v_mov_b32_e32 v33, v9
	v_lshrrev_b32_e32 v1, 3, v2
	s_mov_b32 s19, exec_lo
	s_delay_alu instid0(VALU_DEP_3)
	v_mov_b32_e32 v32, v8
	v_cmpx_gt_u32_e32 8, v2
; %bb.1151:                             ;   in Loop: Header=BB373_11 Depth=1
	v_clz_i32_u32_e32 v1, v8
	s_delay_alu instid0(VALU_DEP_1) | instskip(NEXT) | instid1(VALU_DEP_1)
	v_min_u32_e32 v1, 32, v1
	v_subrev_nc_u32_e32 v2, 28, v1
	v_sub_nc_u32_e32 v1, 29, v1
	s_delay_alu instid0(VALU_DEP_2) | instskip(NEXT) | instid1(VALU_DEP_1)
	v_lshlrev_b64 v[2:3], v2, v[8:9]
	v_and_b32_e32 v32, 7, v2
; %bb.1152:                             ;   in Loop: Header=BB373_11 Depth=1
	s_or_b32 exec_lo, exec_lo, s19
	v_lshlrev_b32_e32 v0, 8, v0
	v_lshl_add_u32 v1, v1, 10, 0x2000
	s_delay_alu instid0(VALU_DEP_1) | instskip(NEXT) | instid1(VALU_DEP_1)
	v_and_or_b32 v0, 0x8000, v0, v1
	v_lshl_or_b32 v0, v32, 7, v0
	s_delay_alu instid0(VALU_DEP_1)
	v_cvt_f32_f16_e32 v60, v0
.LBB373_1153:                           ;   in Loop: Header=BB373_11 Depth=1
	s_or_b32 exec_lo, exec_lo, s18
.LBB373_1154:                           ;   in Loop: Header=BB373_11 Depth=1
	s_delay_alu instid0(SALU_CYCLE_1)
	s_or_b32 exec_lo, exec_lo, s17
.LBB373_1155:                           ;   in Loop: Header=BB373_11 Depth=1
	s_delay_alu instid0(SALU_CYCLE_1)
	s_or_b32 exec_lo, exec_lo, s15
	v_dual_mov_b32 v128, 0 :: v_dual_mov_b32 v71, 0
	s_mov_b32 s15, exec_lo
	v_cmpx_lt_u64_e64 s[2:3], v[30:31]
	s_cbranch_execz .LBB373_1163
; %bb.1156:                             ;   in Loop: Header=BB373_11 Depth=1
	v_lshrrev_b32_e32 v0, 24, v31
	v_bfrev_b32_e32 v71, 1
	s_mov_b32 s17, exec_lo
	s_delay_alu instid0(VALU_DEP_2)
	v_cmpx_ne_u32_e32 0x80, v0
	s_cbranch_execz .LBB373_1162
; %bb.1157:                             ;   in Loop: Header=BB373_11 Depth=1
	v_and_b32_e32 v2, 0x7f, v0
	v_mov_b32_e32 v71, 0x7fc02000
	s_mov_b32 s18, exec_lo
	s_delay_alu instid0(VALU_DEP_2)
	v_cmpx_ne_u32_e32 0x7f, v2
	s_cbranch_execz .LBB373_1161
; %bb.1158:                             ;   in Loop: Header=BB373_11 Depth=1
	v_and_b32_e32 v8, 7, v0
	v_mov_b32_e32 v31, v9
	v_lshrrev_b32_e32 v1, 3, v2
	s_mov_b32 s19, exec_lo
	s_delay_alu instid0(VALU_DEP_3)
	v_mov_b32_e32 v30, v8
	v_cmpx_gt_u32_e32 8, v2
; %bb.1159:                             ;   in Loop: Header=BB373_11 Depth=1
	v_clz_i32_u32_e32 v1, v8
	s_delay_alu instid0(VALU_DEP_1) | instskip(NEXT) | instid1(VALU_DEP_1)
	v_min_u32_e32 v1, 32, v1
	v_subrev_nc_u32_e32 v2, 28, v1
	v_sub_nc_u32_e32 v1, 29, v1
	s_delay_alu instid0(VALU_DEP_2) | instskip(NEXT) | instid1(VALU_DEP_1)
	v_lshlrev_b64 v[2:3], v2, v[8:9]
	v_and_b32_e32 v30, 7, v2
; %bb.1160:                             ;   in Loop: Header=BB373_11 Depth=1
	s_or_b32 exec_lo, exec_lo, s19
	v_lshlrev_b32_e32 v0, 8, v0
	v_lshl_add_u32 v1, v1, 10, 0x2000
	s_delay_alu instid0(VALU_DEP_1) | instskip(NEXT) | instid1(VALU_DEP_1)
	v_and_or_b32 v0, 0x8000, v0, v1
	v_lshl_or_b32 v0, v30, 7, v0
	s_delay_alu instid0(VALU_DEP_1)
	v_cvt_f32_f16_e32 v71, v0
.LBB373_1161:                           ;   in Loop: Header=BB373_11 Depth=1
	s_or_b32 exec_lo, exec_lo, s18
.LBB373_1162:                           ;   in Loop: Header=BB373_11 Depth=1
	s_delay_alu instid0(SALU_CYCLE_1)
	s_or_b32 exec_lo, exec_lo, s17
.LBB373_1163:                           ;   in Loop: Header=BB373_11 Depth=1
	s_delay_alu instid0(SALU_CYCLE_1) | instskip(SKIP_4) | instid1(VALU_DEP_1)
	s_or_b32 exec_lo, exec_lo, s15
	flat_load_b64 v[30:31], v[28:29] offset:512
	s_mov_b32 s15, exec_lo
	s_waitcnt vmcnt(0) lgkmcnt(0)
	v_and_b32_e32 v0, 0xff, v30
	v_cmpx_ne_u16_e32 0, v0
	s_cbranch_execz .LBB373_1171
; %bb.1164:                             ;   in Loop: Header=BB373_11 Depth=1
	v_bfrev_b32_e32 v128, 1
	s_mov_b32 s17, exec_lo
	v_cmpx_ne_u16_e32 0x80, v0
	s_cbranch_execz .LBB373_1170
; %bb.1165:                             ;   in Loop: Header=BB373_11 Depth=1
	v_and_b32_e32 v1, 0x7f, v30
	v_mov_b32_e32 v128, 0x7fc02000
	s_mov_b32 s18, exec_lo
	s_delay_alu instid0(VALU_DEP_2)
	v_cmpx_ne_u32_e32 0x7f, v1
	s_cbranch_execz .LBB373_1169
; %bb.1166:                             ;   in Loop: Header=BB373_11 Depth=1
	v_lshrrev_b32_e32 v0, 3, v1
	v_dual_mov_b32 v33, v31 :: v_dual_mov_b32 v32, v30
	s_mov_b32 s19, exec_lo
	v_cmpx_gt_u32_e32 8, v1
; %bb.1167:                             ;   in Loop: Header=BB373_11 Depth=1
	v_and_b32_e32 v0, 7, v30
	s_delay_alu instid0(VALU_DEP_1) | instskip(NEXT) | instid1(VALU_DEP_1)
	v_clz_i32_u32_e32 v0, v0
	v_min_u32_e32 v0, 32, v0
	s_delay_alu instid0(VALU_DEP_1) | instskip(SKIP_1) | instid1(VALU_DEP_2)
	v_subrev_nc_u32_e32 v1, 28, v0
	v_sub_nc_u32_e32 v0, 29, v0
	v_lshlrev_b64 v[32:33], v1, v[30:31]
; %bb.1168:                             ;   in Loop: Header=BB373_11 Depth=1
	s_or_b32 exec_lo, exec_lo, s19
	v_lshlrev_b32_e32 v1, 8, v30
	s_delay_alu instid0(VALU_DEP_3) | instskip(NEXT) | instid1(VALU_DEP_3)
	v_lshl_add_u32 v0, v0, 10, 0x2000
	v_lshlrev_b32_e32 v2, 7, v32
	s_delay_alu instid0(VALU_DEP_2) | instskip(NEXT) | instid1(VALU_DEP_1)
	v_and_or_b32 v0, 0x8000, v1, v0
	v_and_or_b32 v0, 0x380, v2, v0
	s_delay_alu instid0(VALU_DEP_1)
	v_cvt_f32_f16_e64 v128, v0
.LBB373_1169:                           ;   in Loop: Header=BB373_11 Depth=1
	s_or_b32 exec_lo, exec_lo, s18
.LBB373_1170:                           ;   in Loop: Header=BB373_11 Depth=1
	s_delay_alu instid0(SALU_CYCLE_1)
	s_or_b32 exec_lo, exec_lo, s17
.LBB373_1171:                           ;   in Loop: Header=BB373_11 Depth=1
	s_delay_alu instid0(SALU_CYCLE_1) | instskip(SKIP_3) | instid1(VALU_DEP_2)
	s_or_b32 exec_lo, exec_lo, s15
	v_lshrrev_b16 v0, 8, v30
	v_dual_mov_b32 v20, 0 :: v_dual_mov_b32 v37, 0
	s_mov_b32 s15, exec_lo
	v_cmpx_ne_u16_e32 0, v0
	s_cbranch_execz .LBB373_1179
; %bb.1172:                             ;   in Loop: Header=BB373_11 Depth=1
	v_bfrev_b32_e32 v37, 1
	s_mov_b32 s17, exec_lo
	v_cmpx_ne_u16_e32 0x80, v0
	s_cbranch_execz .LBB373_1178
; %bb.1173:                             ;   in Loop: Header=BB373_11 Depth=1
	v_and_b32_e32 v0, 0xffff, v0
	v_mov_b32_e32 v37, 0x7fc02000
	s_mov_b32 s18, exec_lo
	s_delay_alu instid0(VALU_DEP_2) | instskip(NEXT) | instid1(VALU_DEP_1)
	v_and_b32_e32 v2, 0x7f, v0
	v_cmpx_ne_u32_e32 0x7f, v2
	s_cbranch_execz .LBB373_1177
; %bb.1174:                             ;   in Loop: Header=BB373_11 Depth=1
	v_and_b32_e32 v8, 7, v0
	v_mov_b32_e32 v33, v9
	v_lshrrev_b32_e32 v1, 3, v2
	s_mov_b32 s19, exec_lo
	s_delay_alu instid0(VALU_DEP_3)
	v_mov_b32_e32 v32, v8
	v_cmpx_gt_u32_e32 8, v2
; %bb.1175:                             ;   in Loop: Header=BB373_11 Depth=1
	v_clz_i32_u32_e32 v1, v8
	s_delay_alu instid0(VALU_DEP_1) | instskip(NEXT) | instid1(VALU_DEP_1)
	v_min_u32_e32 v1, 32, v1
	v_subrev_nc_u32_e32 v2, 28, v1
	v_sub_nc_u32_e32 v1, 29, v1
	s_delay_alu instid0(VALU_DEP_2) | instskip(NEXT) | instid1(VALU_DEP_1)
	v_lshlrev_b64 v[2:3], v2, v[8:9]
	v_and_b32_e32 v32, 7, v2
; %bb.1176:                             ;   in Loop: Header=BB373_11 Depth=1
	s_or_b32 exec_lo, exec_lo, s19
	v_lshlrev_b32_e32 v0, 8, v0
	v_lshl_add_u32 v1, v1, 10, 0x2000
	s_delay_alu instid0(VALU_DEP_1) | instskip(NEXT) | instid1(VALU_DEP_1)
	v_and_or_b32 v0, 0x8000, v0, v1
	v_lshl_or_b32 v0, v32, 7, v0
	s_delay_alu instid0(VALU_DEP_1)
	v_cvt_f32_f16_e32 v37, v0
.LBB373_1177:                           ;   in Loop: Header=BB373_11 Depth=1
	s_or_b32 exec_lo, exec_lo, s18
.LBB373_1178:                           ;   in Loop: Header=BB373_11 Depth=1
	s_delay_alu instid0(SALU_CYCLE_1)
	s_or_b32 exec_lo, exec_lo, s17
.LBB373_1179:                           ;   in Loop: Header=BB373_11 Depth=1
	s_delay_alu instid0(SALU_CYCLE_1) | instskip(SKIP_2) | instid1(VALU_DEP_1)
	s_or_b32 exec_lo, exec_lo, s15
	v_lshrrev_b32_e32 v0, 16, v30
	s_mov_b32 s15, exec_lo
	v_and_b32_e32 v1, 0xff, v0
	s_delay_alu instid0(VALU_DEP_1)
	v_cmpx_ne_u16_e32 0, v1
	s_cbranch_execz .LBB373_1187
; %bb.1180:                             ;   in Loop: Header=BB373_11 Depth=1
	v_bfrev_b32_e32 v20, 1
	s_mov_b32 s17, exec_lo
	v_cmpx_ne_u16_e32 0x80, v1
	s_cbranch_execz .LBB373_1186
; %bb.1181:                             ;   in Loop: Header=BB373_11 Depth=1
	v_bfe_u32 v2, v30, 16, 7
	v_mov_b32_e32 v20, 0x7fc02000
	s_mov_b32 s18, exec_lo
	s_delay_alu instid0(VALU_DEP_2)
	v_cmpx_ne_u32_e32 0x7f, v2
	s_cbranch_execz .LBB373_1185
; %bb.1182:                             ;   in Loop: Header=BB373_11 Depth=1
	v_and_b32_e32 v8, 7, v0
	v_mov_b32_e32 v33, v9
	v_lshrrev_b32_e32 v1, 3, v2
	s_mov_b32 s19, exec_lo
	s_delay_alu instid0(VALU_DEP_3)
	v_mov_b32_e32 v32, v8
	v_cmpx_gt_u32_e32 8, v2
; %bb.1183:                             ;   in Loop: Header=BB373_11 Depth=1
	v_clz_i32_u32_e32 v1, v8
	s_delay_alu instid0(VALU_DEP_1) | instskip(NEXT) | instid1(VALU_DEP_1)
	v_min_u32_e32 v1, 32, v1
	v_subrev_nc_u32_e32 v2, 28, v1
	v_sub_nc_u32_e32 v1, 29, v1
	s_delay_alu instid0(VALU_DEP_2) | instskip(NEXT) | instid1(VALU_DEP_1)
	v_lshlrev_b64 v[2:3], v2, v[8:9]
	v_and_b32_e32 v32, 7, v2
; %bb.1184:                             ;   in Loop: Header=BB373_11 Depth=1
	s_or_b32 exec_lo, exec_lo, s19
	v_lshlrev_b32_e32 v0, 8, v0
	v_lshl_add_u32 v1, v1, 10, 0x2000
	s_delay_alu instid0(VALU_DEP_1) | instskip(NEXT) | instid1(VALU_DEP_1)
	v_and_or_b32 v0, 0x8000, v0, v1
	v_lshl_or_b32 v0, v32, 7, v0
	s_delay_alu instid0(VALU_DEP_1)
	v_cvt_f32_f16_e32 v20, v0
.LBB373_1185:                           ;   in Loop: Header=BB373_11 Depth=1
	s_or_b32 exec_lo, exec_lo, s18
.LBB373_1186:                           ;   in Loop: Header=BB373_11 Depth=1
	s_delay_alu instid0(SALU_CYCLE_1)
	s_or_b32 exec_lo, exec_lo, s17
.LBB373_1187:                           ;   in Loop: Header=BB373_11 Depth=1
	s_delay_alu instid0(SALU_CYCLE_1)
	s_or_b32 exec_lo, exec_lo, s15
	v_mov_b32_e32 v130, 0
	v_mov_b32_e32 v10, 0
	s_mov_b32 s15, exec_lo
	v_cmpx_lt_u32_e32 0xffffff, v30
	s_cbranch_execz .LBB373_1195
; %bb.1188:                             ;   in Loop: Header=BB373_11 Depth=1
	v_lshrrev_b32_e32 v0, 24, v30
	v_bfrev_b32_e32 v10, 1
	s_mov_b32 s17, exec_lo
	s_delay_alu instid0(VALU_DEP_2)
	v_cmpx_ne_u32_e32 0x80, v0
	s_cbranch_execz .LBB373_1194
; %bb.1189:                             ;   in Loop: Header=BB373_11 Depth=1
	v_and_b32_e32 v2, 0x7f, v0
	v_mov_b32_e32 v10, 0x7fc02000
	s_mov_b32 s18, exec_lo
	s_delay_alu instid0(VALU_DEP_2)
	v_cmpx_ne_u32_e32 0x7f, v2
	s_cbranch_execz .LBB373_1193
; %bb.1190:                             ;   in Loop: Header=BB373_11 Depth=1
	v_and_b32_e32 v8, 7, v0
	v_mov_b32_e32 v33, v9
	v_lshrrev_b32_e32 v1, 3, v2
	s_mov_b32 s19, exec_lo
	s_delay_alu instid0(VALU_DEP_3)
	v_mov_b32_e32 v32, v8
	v_cmpx_gt_u32_e32 8, v2
; %bb.1191:                             ;   in Loop: Header=BB373_11 Depth=1
	v_clz_i32_u32_e32 v1, v8
	s_delay_alu instid0(VALU_DEP_1) | instskip(NEXT) | instid1(VALU_DEP_1)
	v_min_u32_e32 v1, 32, v1
	v_subrev_nc_u32_e32 v2, 28, v1
	v_sub_nc_u32_e32 v1, 29, v1
	s_delay_alu instid0(VALU_DEP_2) | instskip(NEXT) | instid1(VALU_DEP_1)
	v_lshlrev_b64 v[2:3], v2, v[8:9]
	v_and_b32_e32 v32, 7, v2
; %bb.1192:                             ;   in Loop: Header=BB373_11 Depth=1
	s_or_b32 exec_lo, exec_lo, s19
	v_lshlrev_b32_e32 v0, 8, v0
	v_lshl_add_u32 v1, v1, 10, 0x2000
	s_delay_alu instid0(VALU_DEP_1) | instskip(NEXT) | instid1(VALU_DEP_1)
	v_and_or_b32 v0, 0x8000, v0, v1
	v_lshl_or_b32 v0, v32, 7, v0
	s_delay_alu instid0(VALU_DEP_1)
	v_cvt_f32_f16_e32 v10, v0
.LBB373_1193:                           ;   in Loop: Header=BB373_11 Depth=1
	s_or_b32 exec_lo, exec_lo, s18
.LBB373_1194:                           ;   in Loop: Header=BB373_11 Depth=1
	s_delay_alu instid0(SALU_CYCLE_1)
	s_or_b32 exec_lo, exec_lo, s17
.LBB373_1195:                           ;   in Loop: Header=BB373_11 Depth=1
	s_delay_alu instid0(SALU_CYCLE_1) | instskip(SKIP_3) | instid1(VALU_DEP_2)
	s_or_b32 exec_lo, exec_lo, s15
	v_and_b32_e32 v0, 0xff, v31
	v_mov_b32_e32 v8, v31
	s_mov_b32 s15, exec_lo
	v_cmpx_ne_u16_e32 0, v0
	s_cbranch_execz .LBB373_1203
; %bb.1196:                             ;   in Loop: Header=BB373_11 Depth=1
	v_bfrev_b32_e32 v130, 1
	s_mov_b32 s17, exec_lo
	v_cmpx_ne_u16_e32 0x80, v0
	s_cbranch_execz .LBB373_1202
; %bb.1197:                             ;   in Loop: Header=BB373_11 Depth=1
	v_and_b32_e32 v1, 0x7f, v31
	v_mov_b32_e32 v130, 0x7fc02000
	s_mov_b32 s18, exec_lo
	s_delay_alu instid0(VALU_DEP_2)
	v_cmpx_ne_u32_e32 0x7f, v1
	s_cbranch_execz .LBB373_1201
; %bb.1198:                             ;   in Loop: Header=BB373_11 Depth=1
	v_dual_mov_b32 v33, v9 :: v_dual_mov_b32 v32, v8
	v_lshrrev_b32_e32 v0, 3, v1
	s_mov_b32 s19, exec_lo
	v_cmpx_gt_u32_e32 8, v1
; %bb.1199:                             ;   in Loop: Header=BB373_11 Depth=1
	v_and_b32_e32 v0, 7, v31
	s_delay_alu instid0(VALU_DEP_1) | instskip(NEXT) | instid1(VALU_DEP_1)
	v_clz_i32_u32_e32 v0, v0
	v_min_u32_e32 v0, 32, v0
	s_delay_alu instid0(VALU_DEP_1) | instskip(SKIP_1) | instid1(VALU_DEP_2)
	v_subrev_nc_u32_e32 v1, 28, v0
	v_sub_nc_u32_e32 v0, 29, v0
	v_lshlrev_b64 v[32:33], v1, v[8:9]
; %bb.1200:                             ;   in Loop: Header=BB373_11 Depth=1
	s_or_b32 exec_lo, exec_lo, s19
	v_lshlrev_b32_e32 v1, 8, v31
	s_delay_alu instid0(VALU_DEP_3) | instskip(NEXT) | instid1(VALU_DEP_3)
	v_lshl_add_u32 v0, v0, 10, 0x2000
	v_lshlrev_b32_e32 v2, 7, v32
	s_delay_alu instid0(VALU_DEP_2) | instskip(NEXT) | instid1(VALU_DEP_1)
	v_and_or_b32 v0, 0x8000, v1, v0
	v_and_or_b32 v0, 0x380, v2, v0
	s_delay_alu instid0(VALU_DEP_1)
	v_cvt_f32_f16_e64 v130, v0
.LBB373_1201:                           ;   in Loop: Header=BB373_11 Depth=1
	s_or_b32 exec_lo, exec_lo, s18
.LBB373_1202:                           ;   in Loop: Header=BB373_11 Depth=1
	s_delay_alu instid0(SALU_CYCLE_1)
	s_or_b32 exec_lo, exec_lo, s17
.LBB373_1203:                           ;   in Loop: Header=BB373_11 Depth=1
	s_delay_alu instid0(SALU_CYCLE_1) | instskip(SKIP_4) | instid1(VALU_DEP_3)
	s_or_b32 exec_lo, exec_lo, s15
	v_lshrrev_b16 v0, 8, v8
	v_mov_b32_e32 v38, 0
	v_mov_b32_e32 v66, 0
	s_mov_b32 s15, exec_lo
	v_cmpx_ne_u16_e32 0, v0
	s_cbranch_execz .LBB373_1211
; %bb.1204:                             ;   in Loop: Header=BB373_11 Depth=1
	v_bfrev_b32_e32 v66, 1
	s_mov_b32 s17, exec_lo
	v_cmpx_ne_u16_e32 0x80, v0
	s_cbranch_execz .LBB373_1210
; %bb.1205:                             ;   in Loop: Header=BB373_11 Depth=1
	v_and_b32_e32 v0, 0xffff, v0
	v_mov_b32_e32 v66, 0x7fc02000
	s_mov_b32 s18, exec_lo
	s_delay_alu instid0(VALU_DEP_2) | instskip(NEXT) | instid1(VALU_DEP_1)
	v_and_b32_e32 v2, 0x7f, v0
	v_cmpx_ne_u32_e32 0x7f, v2
	s_cbranch_execz .LBB373_1209
; %bb.1206:                             ;   in Loop: Header=BB373_11 Depth=1
	v_and_b32_e32 v8, 7, v0
	v_mov_b32_e32 v33, v9
	v_lshrrev_b32_e32 v1, 3, v2
	s_mov_b32 s19, exec_lo
	s_delay_alu instid0(VALU_DEP_3)
	v_mov_b32_e32 v32, v8
	v_cmpx_gt_u32_e32 8, v2
; %bb.1207:                             ;   in Loop: Header=BB373_11 Depth=1
	v_clz_i32_u32_e32 v1, v8
	s_delay_alu instid0(VALU_DEP_1) | instskip(NEXT) | instid1(VALU_DEP_1)
	v_min_u32_e32 v1, 32, v1
	v_subrev_nc_u32_e32 v2, 28, v1
	v_sub_nc_u32_e32 v1, 29, v1
	s_delay_alu instid0(VALU_DEP_2) | instskip(NEXT) | instid1(VALU_DEP_1)
	v_lshlrev_b64 v[2:3], v2, v[8:9]
	v_and_b32_e32 v32, 7, v2
; %bb.1208:                             ;   in Loop: Header=BB373_11 Depth=1
	s_or_b32 exec_lo, exec_lo, s19
	v_lshlrev_b32_e32 v0, 8, v0
	v_lshl_add_u32 v1, v1, 10, 0x2000
	s_delay_alu instid0(VALU_DEP_1) | instskip(NEXT) | instid1(VALU_DEP_1)
	v_and_or_b32 v0, 0x8000, v0, v1
	v_lshl_or_b32 v0, v32, 7, v0
	s_delay_alu instid0(VALU_DEP_1)
	v_cvt_f32_f16_e32 v66, v0
.LBB373_1209:                           ;   in Loop: Header=BB373_11 Depth=1
	s_or_b32 exec_lo, exec_lo, s18
.LBB373_1210:                           ;   in Loop: Header=BB373_11 Depth=1
	s_delay_alu instid0(SALU_CYCLE_1)
	s_or_b32 exec_lo, exec_lo, s17
.LBB373_1211:                           ;   in Loop: Header=BB373_11 Depth=1
	s_delay_alu instid0(SALU_CYCLE_1) | instskip(SKIP_2) | instid1(VALU_DEP_1)
	s_or_b32 exec_lo, exec_lo, s15
	v_lshrrev_b32_e32 v0, 16, v31
	s_mov_b32 s15, exec_lo
	v_and_b32_e32 v1, 0xff, v0
	s_delay_alu instid0(VALU_DEP_1)
	v_cmpx_ne_u16_e32 0, v1
	s_cbranch_execz .LBB373_1219
; %bb.1212:                             ;   in Loop: Header=BB373_11 Depth=1
	v_bfrev_b32_e32 v38, 1
	s_mov_b32 s17, exec_lo
	v_cmpx_ne_u16_e32 0x80, v1
	s_cbranch_execz .LBB373_1218
; %bb.1213:                             ;   in Loop: Header=BB373_11 Depth=1
	v_bfe_u32 v2, v31, 16, 7
	v_mov_b32_e32 v38, 0x7fc02000
	s_mov_b32 s18, exec_lo
	s_delay_alu instid0(VALU_DEP_2)
	v_cmpx_ne_u32_e32 0x7f, v2
	s_cbranch_execz .LBB373_1217
; %bb.1214:                             ;   in Loop: Header=BB373_11 Depth=1
	v_and_b32_e32 v8, 7, v0
	v_mov_b32_e32 v33, v9
	v_lshrrev_b32_e32 v1, 3, v2
	s_mov_b32 s19, exec_lo
	s_delay_alu instid0(VALU_DEP_3)
	v_mov_b32_e32 v32, v8
	v_cmpx_gt_u32_e32 8, v2
; %bb.1215:                             ;   in Loop: Header=BB373_11 Depth=1
	v_clz_i32_u32_e32 v1, v8
	s_delay_alu instid0(VALU_DEP_1) | instskip(NEXT) | instid1(VALU_DEP_1)
	v_min_u32_e32 v1, 32, v1
	v_subrev_nc_u32_e32 v2, 28, v1
	v_sub_nc_u32_e32 v1, 29, v1
	s_delay_alu instid0(VALU_DEP_2) | instskip(NEXT) | instid1(VALU_DEP_1)
	v_lshlrev_b64 v[2:3], v2, v[8:9]
	v_and_b32_e32 v32, 7, v2
; %bb.1216:                             ;   in Loop: Header=BB373_11 Depth=1
	s_or_b32 exec_lo, exec_lo, s19
	v_lshlrev_b32_e32 v0, 8, v0
	v_lshl_add_u32 v1, v1, 10, 0x2000
	s_delay_alu instid0(VALU_DEP_1) | instskip(NEXT) | instid1(VALU_DEP_1)
	v_and_or_b32 v0, 0x8000, v0, v1
	v_lshl_or_b32 v0, v32, 7, v0
	s_delay_alu instid0(VALU_DEP_1)
	v_cvt_f32_f16_e32 v38, v0
.LBB373_1217:                           ;   in Loop: Header=BB373_11 Depth=1
	s_or_b32 exec_lo, exec_lo, s18
.LBB373_1218:                           ;   in Loop: Header=BB373_11 Depth=1
	s_delay_alu instid0(SALU_CYCLE_1)
	s_or_b32 exec_lo, exec_lo, s17
.LBB373_1219:                           ;   in Loop: Header=BB373_11 Depth=1
	s_delay_alu instid0(SALU_CYCLE_1)
	s_or_b32 exec_lo, exec_lo, s15
	v_dual_mov_b32 v58, 0 :: v_dual_mov_b32 v57, 0
	s_mov_b32 s15, exec_lo
	v_cmpx_lt_u64_e64 s[2:3], v[30:31]
	s_cbranch_execz .LBB373_1227
; %bb.1220:                             ;   in Loop: Header=BB373_11 Depth=1
	v_lshrrev_b32_e32 v0, 24, v31
	v_bfrev_b32_e32 v57, 1
	s_mov_b32 s17, exec_lo
	s_delay_alu instid0(VALU_DEP_2)
	v_cmpx_ne_u32_e32 0x80, v0
	s_cbranch_execz .LBB373_1226
; %bb.1221:                             ;   in Loop: Header=BB373_11 Depth=1
	v_and_b32_e32 v2, 0x7f, v0
	v_mov_b32_e32 v57, 0x7fc02000
	s_mov_b32 s18, exec_lo
	s_delay_alu instid0(VALU_DEP_2)
	v_cmpx_ne_u32_e32 0x7f, v2
	s_cbranch_execz .LBB373_1225
; %bb.1222:                             ;   in Loop: Header=BB373_11 Depth=1
	v_and_b32_e32 v8, 7, v0
	v_mov_b32_e32 v31, v9
	v_lshrrev_b32_e32 v1, 3, v2
	s_mov_b32 s19, exec_lo
	s_delay_alu instid0(VALU_DEP_3)
	v_mov_b32_e32 v30, v8
	v_cmpx_gt_u32_e32 8, v2
; %bb.1223:                             ;   in Loop: Header=BB373_11 Depth=1
	v_clz_i32_u32_e32 v1, v8
	s_delay_alu instid0(VALU_DEP_1) | instskip(NEXT) | instid1(VALU_DEP_1)
	v_min_u32_e32 v1, 32, v1
	v_subrev_nc_u32_e32 v2, 28, v1
	v_sub_nc_u32_e32 v1, 29, v1
	s_delay_alu instid0(VALU_DEP_2) | instskip(NEXT) | instid1(VALU_DEP_1)
	v_lshlrev_b64 v[2:3], v2, v[8:9]
	v_and_b32_e32 v30, 7, v2
; %bb.1224:                             ;   in Loop: Header=BB373_11 Depth=1
	s_or_b32 exec_lo, exec_lo, s19
	v_lshlrev_b32_e32 v0, 8, v0
	v_lshl_add_u32 v1, v1, 10, 0x2000
	s_delay_alu instid0(VALU_DEP_1) | instskip(NEXT) | instid1(VALU_DEP_1)
	v_and_or_b32 v0, 0x8000, v0, v1
	v_lshl_or_b32 v0, v30, 7, v0
	s_delay_alu instid0(VALU_DEP_1)
	v_cvt_f32_f16_e32 v57, v0
.LBB373_1225:                           ;   in Loop: Header=BB373_11 Depth=1
	s_or_b32 exec_lo, exec_lo, s18
.LBB373_1226:                           ;   in Loop: Header=BB373_11 Depth=1
	s_delay_alu instid0(SALU_CYCLE_1)
	s_or_b32 exec_lo, exec_lo, s17
.LBB373_1227:                           ;   in Loop: Header=BB373_11 Depth=1
	s_delay_alu instid0(SALU_CYCLE_1) | instskip(SKIP_4) | instid1(VALU_DEP_1)
	s_or_b32 exec_lo, exec_lo, s15
	flat_load_b64 v[30:31], v[28:29] offset:520
	s_mov_b32 s15, exec_lo
	s_waitcnt vmcnt(0) lgkmcnt(0)
	v_and_b32_e32 v0, 0xff, v30
	v_cmpx_ne_u16_e32 0, v0
	s_cbranch_execz .LBB373_1235
; %bb.1228:                             ;   in Loop: Header=BB373_11 Depth=1
	v_bfrev_b32_e32 v58, 1
	s_mov_b32 s17, exec_lo
	v_cmpx_ne_u16_e32 0x80, v0
	s_cbranch_execz .LBB373_1234
; %bb.1229:                             ;   in Loop: Header=BB373_11 Depth=1
	v_and_b32_e32 v1, 0x7f, v30
	v_mov_b32_e32 v58, 0x7fc02000
	s_mov_b32 s18, exec_lo
	s_delay_alu instid0(VALU_DEP_2)
	v_cmpx_ne_u32_e32 0x7f, v1
	s_cbranch_execz .LBB373_1233
; %bb.1230:                             ;   in Loop: Header=BB373_11 Depth=1
	v_lshrrev_b32_e32 v0, 3, v1
	v_dual_mov_b32 v33, v31 :: v_dual_mov_b32 v32, v30
	s_mov_b32 s19, exec_lo
	v_cmpx_gt_u32_e32 8, v1
; %bb.1231:                             ;   in Loop: Header=BB373_11 Depth=1
	v_and_b32_e32 v0, 7, v30
	s_delay_alu instid0(VALU_DEP_1) | instskip(NEXT) | instid1(VALU_DEP_1)
	v_clz_i32_u32_e32 v0, v0
	v_min_u32_e32 v0, 32, v0
	s_delay_alu instid0(VALU_DEP_1) | instskip(SKIP_1) | instid1(VALU_DEP_2)
	v_subrev_nc_u32_e32 v1, 28, v0
	v_sub_nc_u32_e32 v0, 29, v0
	v_lshlrev_b64 v[32:33], v1, v[30:31]
; %bb.1232:                             ;   in Loop: Header=BB373_11 Depth=1
	s_or_b32 exec_lo, exec_lo, s19
	v_lshlrev_b32_e32 v1, 8, v30
	s_delay_alu instid0(VALU_DEP_3) | instskip(NEXT) | instid1(VALU_DEP_3)
	v_lshl_add_u32 v0, v0, 10, 0x2000
	v_lshlrev_b32_e32 v2, 7, v32
	s_delay_alu instid0(VALU_DEP_2) | instskip(NEXT) | instid1(VALU_DEP_1)
	v_and_or_b32 v0, 0x8000, v1, v0
	v_and_or_b32 v0, 0x380, v2, v0
	s_delay_alu instid0(VALU_DEP_1)
	v_cvt_f32_f16_e32 v58, v0
.LBB373_1233:                           ;   in Loop: Header=BB373_11 Depth=1
	s_or_b32 exec_lo, exec_lo, s18
.LBB373_1234:                           ;   in Loop: Header=BB373_11 Depth=1
	s_delay_alu instid0(SALU_CYCLE_1)
	s_or_b32 exec_lo, exec_lo, s17
.LBB373_1235:                           ;   in Loop: Header=BB373_11 Depth=1
	s_delay_alu instid0(SALU_CYCLE_1) | instskip(SKIP_4) | instid1(VALU_DEP_3)
	s_or_b32 exec_lo, exec_lo, s15
	v_lshrrev_b16 v0, 8, v30
	v_mov_b32_e32 v4, 0
	v_mov_b32_e32 v2, 0
	s_mov_b32 s15, exec_lo
	v_cmpx_ne_u16_e32 0, v0
	s_cbranch_execz .LBB373_1243
; %bb.1236:                             ;   in Loop: Header=BB373_11 Depth=1
	v_bfrev_b32_e32 v2, 1
	s_mov_b32 s17, exec_lo
	v_cmpx_ne_u16_e32 0x80, v0
	s_cbranch_execz .LBB373_1242
; %bb.1237:                             ;   in Loop: Header=BB373_11 Depth=1
	v_and_b32_e32 v0, 0xffff, v0
	v_mov_b32_e32 v2, 0x7fc02000
	s_mov_b32 s18, exec_lo
	s_delay_alu instid0(VALU_DEP_2) | instskip(NEXT) | instid1(VALU_DEP_1)
	v_and_b32_e32 v3, 0x7f, v0
	v_cmpx_ne_u32_e32 0x7f, v3
	s_cbranch_execz .LBB373_1241
; %bb.1238:                             ;   in Loop: Header=BB373_11 Depth=1
	v_and_b32_e32 v8, 7, v0
	v_mov_b32_e32 v33, v9
	v_lshrrev_b32_e32 v1, 3, v3
	s_mov_b32 s19, exec_lo
	s_delay_alu instid0(VALU_DEP_3)
	v_mov_b32_e32 v32, v8
	v_cmpx_gt_u32_e32 8, v3
; %bb.1239:                             ;   in Loop: Header=BB373_11 Depth=1
	v_clz_i32_u32_e32 v1, v8
	s_delay_alu instid0(VALU_DEP_1) | instskip(NEXT) | instid1(VALU_DEP_1)
	v_min_u32_e32 v1, 32, v1
	v_subrev_nc_u32_e32 v2, 28, v1
	v_sub_nc_u32_e32 v1, 29, v1
	s_delay_alu instid0(VALU_DEP_2) | instskip(NEXT) | instid1(VALU_DEP_1)
	v_lshlrev_b64 v[2:3], v2, v[8:9]
	v_and_b32_e32 v32, 7, v2
; %bb.1240:                             ;   in Loop: Header=BB373_11 Depth=1
	s_or_b32 exec_lo, exec_lo, s19
	v_lshlrev_b32_e32 v0, 8, v0
	v_lshl_add_u32 v1, v1, 10, 0x2000
	s_delay_alu instid0(VALU_DEP_1) | instskip(NEXT) | instid1(VALU_DEP_1)
	v_and_or_b32 v0, 0x8000, v0, v1
	v_lshl_or_b32 v0, v32, 7, v0
	s_delay_alu instid0(VALU_DEP_1)
	v_cvt_f32_f16_e32 v2, v0
.LBB373_1241:                           ;   in Loop: Header=BB373_11 Depth=1
	s_or_b32 exec_lo, exec_lo, s18
.LBB373_1242:                           ;   in Loop: Header=BB373_11 Depth=1
	s_delay_alu instid0(SALU_CYCLE_1)
	s_or_b32 exec_lo, exec_lo, s17
.LBB373_1243:                           ;   in Loop: Header=BB373_11 Depth=1
	s_delay_alu instid0(SALU_CYCLE_1) | instskip(SKIP_2) | instid1(VALU_DEP_1)
	s_or_b32 exec_lo, exec_lo, s15
	v_lshrrev_b32_e32 v0, 16, v30
	s_mov_b32 s15, exec_lo
	v_and_b32_e32 v1, 0xff, v0
	s_delay_alu instid0(VALU_DEP_1)
	v_cmpx_ne_u16_e32 0, v1
	s_cbranch_execz .LBB373_1251
; %bb.1244:                             ;   in Loop: Header=BB373_11 Depth=1
	v_bfrev_b32_e32 v4, 1
	s_mov_b32 s17, exec_lo
	v_cmpx_ne_u16_e32 0x80, v1
	s_cbranch_execz .LBB373_1250
; %bb.1245:                             ;   in Loop: Header=BB373_11 Depth=1
	v_bfe_u32 v3, v30, 16, 7
	v_mov_b32_e32 v4, 0x7fc02000
	s_mov_b32 s18, exec_lo
	s_delay_alu instid0(VALU_DEP_2)
	v_cmpx_ne_u32_e32 0x7f, v3
	s_cbranch_execz .LBB373_1249
; %bb.1246:                             ;   in Loop: Header=BB373_11 Depth=1
	v_and_b32_e32 v8, 7, v0
	v_mov_b32_e32 v33, v9
	v_lshrrev_b32_e32 v1, 3, v3
	s_mov_b32 s19, exec_lo
	s_delay_alu instid0(VALU_DEP_3)
	v_mov_b32_e32 v32, v8
	v_cmpx_gt_u32_e32 8, v3
; %bb.1247:                             ;   in Loop: Header=BB373_11 Depth=1
	v_clz_i32_u32_e32 v1, v8
	s_delay_alu instid0(VALU_DEP_1) | instskip(NEXT) | instid1(VALU_DEP_1)
	v_min_u32_e32 v1, 32, v1
	v_subrev_nc_u32_e32 v3, 28, v1
	v_sub_nc_u32_e32 v1, 29, v1
	s_delay_alu instid0(VALU_DEP_2) | instskip(NEXT) | instid1(VALU_DEP_1)
	v_lshlrev_b64 v[3:4], v3, v[8:9]
	v_and_b32_e32 v32, 7, v3
; %bb.1248:                             ;   in Loop: Header=BB373_11 Depth=1
	s_or_b32 exec_lo, exec_lo, s19
	v_lshlrev_b32_e32 v0, 8, v0
	v_lshl_add_u32 v1, v1, 10, 0x2000
	s_delay_alu instid0(VALU_DEP_1) | instskip(NEXT) | instid1(VALU_DEP_1)
	v_and_or_b32 v0, 0x8000, v0, v1
	v_lshl_or_b32 v0, v32, 7, v0
	s_delay_alu instid0(VALU_DEP_1)
	v_cvt_f32_f16_e32 v4, v0
.LBB373_1249:                           ;   in Loop: Header=BB373_11 Depth=1
	s_or_b32 exec_lo, exec_lo, s18
.LBB373_1250:                           ;   in Loop: Header=BB373_11 Depth=1
	s_delay_alu instid0(SALU_CYCLE_1)
	s_or_b32 exec_lo, exec_lo, s17
.LBB373_1251:                           ;   in Loop: Header=BB373_11 Depth=1
	s_delay_alu instid0(SALU_CYCLE_1)
	s_or_b32 exec_lo, exec_lo, s15
	v_mov_b32_e32 v75, 0
	v_mov_b32_e32 v11, 0
	s_mov_b32 s15, exec_lo
	v_cmpx_lt_u32_e32 0xffffff, v30
	s_cbranch_execz .LBB373_1259
; %bb.1252:                             ;   in Loop: Header=BB373_11 Depth=1
	v_lshrrev_b32_e32 v0, 24, v30
	v_bfrev_b32_e32 v11, 1
	s_mov_b32 s17, exec_lo
	s_delay_alu instid0(VALU_DEP_2)
	v_cmpx_ne_u32_e32 0x80, v0
	s_cbranch_execz .LBB373_1258
; %bb.1253:                             ;   in Loop: Header=BB373_11 Depth=1
	v_and_b32_e32 v3, 0x7f, v0
	v_mov_b32_e32 v11, 0x7fc02000
	s_mov_b32 s18, exec_lo
	s_delay_alu instid0(VALU_DEP_2)
	v_cmpx_ne_u32_e32 0x7f, v3
	s_cbranch_execz .LBB373_1257
; %bb.1254:                             ;   in Loop: Header=BB373_11 Depth=1
	v_and_b32_e32 v8, 7, v0
	v_mov_b32_e32 v33, v9
	v_lshrrev_b32_e32 v1, 3, v3
	s_mov_b32 s19, exec_lo
	s_delay_alu instid0(VALU_DEP_3)
	v_mov_b32_e32 v32, v8
	v_cmpx_gt_u32_e32 8, v3
; %bb.1255:                             ;   in Loop: Header=BB373_11 Depth=1
	v_clz_i32_u32_e32 v1, v8
	s_delay_alu instid0(VALU_DEP_1) | instskip(NEXT) | instid1(VALU_DEP_1)
	v_min_u32_e32 v1, 32, v1
	v_subrev_nc_u32_e32 v3, 28, v1
	v_sub_nc_u32_e32 v1, 29, v1
	s_delay_alu instid0(VALU_DEP_2) | instskip(NEXT) | instid1(VALU_DEP_1)
	v_lshlrev_b64 v[5:6], v3, v[8:9]
	v_and_b32_e32 v32, 7, v5
; %bb.1256:                             ;   in Loop: Header=BB373_11 Depth=1
	s_or_b32 exec_lo, exec_lo, s19
	v_lshlrev_b32_e32 v0, 8, v0
	v_lshl_add_u32 v1, v1, 10, 0x2000
	s_delay_alu instid0(VALU_DEP_1) | instskip(NEXT) | instid1(VALU_DEP_1)
	v_and_or_b32 v0, 0x8000, v0, v1
	v_lshl_or_b32 v0, v32, 7, v0
	s_delay_alu instid0(VALU_DEP_1)
	v_cvt_f32_f16_e32 v11, v0
.LBB373_1257:                           ;   in Loop: Header=BB373_11 Depth=1
	s_or_b32 exec_lo, exec_lo, s18
.LBB373_1258:                           ;   in Loop: Header=BB373_11 Depth=1
	s_delay_alu instid0(SALU_CYCLE_1)
	s_or_b32 exec_lo, exec_lo, s17
.LBB373_1259:                           ;   in Loop: Header=BB373_11 Depth=1
	s_delay_alu instid0(SALU_CYCLE_1) | instskip(SKIP_3) | instid1(VALU_DEP_2)
	s_or_b32 exec_lo, exec_lo, s15
	v_and_b32_e32 v0, 0xff, v31
	v_mov_b32_e32 v8, v31
	s_mov_b32 s15, exec_lo
	v_cmpx_ne_u16_e32 0, v0
	s_cbranch_execz .LBB373_1267
; %bb.1260:                             ;   in Loop: Header=BB373_11 Depth=1
	v_bfrev_b32_e32 v75, 1
	s_mov_b32 s17, exec_lo
	v_cmpx_ne_u16_e32 0x80, v0
	s_cbranch_execz .LBB373_1266
; %bb.1261:                             ;   in Loop: Header=BB373_11 Depth=1
	v_and_b32_e32 v1, 0x7f, v31
	v_mov_b32_e32 v75, 0x7fc02000
	s_mov_b32 s18, exec_lo
	s_delay_alu instid0(VALU_DEP_2)
	v_cmpx_ne_u32_e32 0x7f, v1
	s_cbranch_execz .LBB373_1265
; %bb.1262:                             ;   in Loop: Header=BB373_11 Depth=1
	v_dual_mov_b32 v33, v9 :: v_dual_mov_b32 v32, v8
	v_lshrrev_b32_e32 v0, 3, v1
	s_mov_b32 s19, exec_lo
	v_cmpx_gt_u32_e32 8, v1
; %bb.1263:                             ;   in Loop: Header=BB373_11 Depth=1
	v_and_b32_e32 v0, 7, v31
	s_delay_alu instid0(VALU_DEP_1) | instskip(NEXT) | instid1(VALU_DEP_1)
	v_clz_i32_u32_e32 v0, v0
	v_min_u32_e32 v0, 32, v0
	s_delay_alu instid0(VALU_DEP_1) | instskip(SKIP_1) | instid1(VALU_DEP_2)
	v_subrev_nc_u32_e32 v1, 28, v0
	v_sub_nc_u32_e32 v0, 29, v0
	v_lshlrev_b64 v[32:33], v1, v[8:9]
; %bb.1264:                             ;   in Loop: Header=BB373_11 Depth=1
	s_or_b32 exec_lo, exec_lo, s19
	v_lshlrev_b32_e32 v1, 8, v31
	s_delay_alu instid0(VALU_DEP_3) | instskip(NEXT) | instid1(VALU_DEP_3)
	v_lshl_add_u32 v0, v0, 10, 0x2000
	v_lshlrev_b32_e32 v3, 7, v32
	s_delay_alu instid0(VALU_DEP_2) | instskip(NEXT) | instid1(VALU_DEP_1)
	v_and_or_b32 v0, 0x8000, v1, v0
	v_and_or_b32 v0, 0x380, v3, v0
	s_delay_alu instid0(VALU_DEP_1)
	v_cvt_f32_f16_e32 v75, v0
.LBB373_1265:                           ;   in Loop: Header=BB373_11 Depth=1
	s_or_b32 exec_lo, exec_lo, s18
.LBB373_1266:                           ;   in Loop: Header=BB373_11 Depth=1
	s_delay_alu instid0(SALU_CYCLE_1)
	s_or_b32 exec_lo, exec_lo, s17
.LBB373_1267:                           ;   in Loop: Header=BB373_11 Depth=1
	s_delay_alu instid0(SALU_CYCLE_1) | instskip(SKIP_4) | instid1(VALU_DEP_3)
	s_or_b32 exec_lo, exec_lo, s15
	v_lshrrev_b16 v0, 8, v8
	v_mov_b32_e32 v54, 0
	v_mov_b32_e32 v34, 0
	s_mov_b32 s15, exec_lo
	v_cmpx_ne_u16_e32 0, v0
	s_cbranch_execz .LBB373_1275
; %bb.1268:                             ;   in Loop: Header=BB373_11 Depth=1
	v_bfrev_b32_e32 v34, 1
	s_mov_b32 s17, exec_lo
	v_cmpx_ne_u16_e32 0x80, v0
	s_cbranch_execz .LBB373_1274
; %bb.1269:                             ;   in Loop: Header=BB373_11 Depth=1
	v_and_b32_e32 v0, 0xffff, v0
	v_mov_b32_e32 v34, 0x7fc02000
	s_mov_b32 s18, exec_lo
	s_delay_alu instid0(VALU_DEP_2) | instskip(NEXT) | instid1(VALU_DEP_1)
	v_and_b32_e32 v3, 0x7f, v0
	v_cmpx_ne_u32_e32 0x7f, v3
	s_cbranch_execz .LBB373_1273
; %bb.1270:                             ;   in Loop: Header=BB373_11 Depth=1
	v_and_b32_e32 v8, 7, v0
	v_mov_b32_e32 v33, v9
	v_lshrrev_b32_e32 v1, 3, v3
	s_mov_b32 s19, exec_lo
	s_delay_alu instid0(VALU_DEP_3)
	v_mov_b32_e32 v32, v8
	v_cmpx_gt_u32_e32 8, v3
; %bb.1271:                             ;   in Loop: Header=BB373_11 Depth=1
	v_clz_i32_u32_e32 v1, v8
	s_delay_alu instid0(VALU_DEP_1) | instskip(NEXT) | instid1(VALU_DEP_1)
	v_min_u32_e32 v1, 32, v1
	v_subrev_nc_u32_e32 v3, 28, v1
	v_sub_nc_u32_e32 v1, 29, v1
	s_delay_alu instid0(VALU_DEP_2) | instskip(NEXT) | instid1(VALU_DEP_1)
	v_lshlrev_b64 v[5:6], v3, v[8:9]
	v_and_b32_e32 v32, 7, v5
; %bb.1272:                             ;   in Loop: Header=BB373_11 Depth=1
	s_or_b32 exec_lo, exec_lo, s19
	v_lshlrev_b32_e32 v0, 8, v0
	v_lshl_add_u32 v1, v1, 10, 0x2000
	s_delay_alu instid0(VALU_DEP_1) | instskip(NEXT) | instid1(VALU_DEP_1)
	v_and_or_b32 v0, 0x8000, v0, v1
	v_lshl_or_b32 v0, v32, 7, v0
	s_delay_alu instid0(VALU_DEP_1)
	v_cvt_f32_f16_e32 v34, v0
.LBB373_1273:                           ;   in Loop: Header=BB373_11 Depth=1
	s_or_b32 exec_lo, exec_lo, s18
.LBB373_1274:                           ;   in Loop: Header=BB373_11 Depth=1
	s_delay_alu instid0(SALU_CYCLE_1)
	s_or_b32 exec_lo, exec_lo, s17
.LBB373_1275:                           ;   in Loop: Header=BB373_11 Depth=1
	s_delay_alu instid0(SALU_CYCLE_1) | instskip(SKIP_2) | instid1(VALU_DEP_1)
	s_or_b32 exec_lo, exec_lo, s15
	v_lshrrev_b32_e32 v0, 16, v31
	s_mov_b32 s15, exec_lo
	v_and_b32_e32 v1, 0xff, v0
	s_delay_alu instid0(VALU_DEP_1)
	v_cmpx_ne_u16_e32 0, v1
	s_cbranch_execz .LBB373_1283
; %bb.1276:                             ;   in Loop: Header=BB373_11 Depth=1
	v_bfrev_b32_e32 v54, 1
	s_mov_b32 s17, exec_lo
	v_cmpx_ne_u16_e32 0x80, v1
	s_cbranch_execz .LBB373_1282
; %bb.1277:                             ;   in Loop: Header=BB373_11 Depth=1
	v_bfe_u32 v3, v31, 16, 7
	v_mov_b32_e32 v54, 0x7fc02000
	s_mov_b32 s18, exec_lo
	s_delay_alu instid0(VALU_DEP_2)
	v_cmpx_ne_u32_e32 0x7f, v3
	s_cbranch_execz .LBB373_1281
; %bb.1278:                             ;   in Loop: Header=BB373_11 Depth=1
	v_and_b32_e32 v8, 7, v0
	v_mov_b32_e32 v33, v9
	v_lshrrev_b32_e32 v1, 3, v3
	s_mov_b32 s19, exec_lo
	s_delay_alu instid0(VALU_DEP_3)
	v_mov_b32_e32 v32, v8
	v_cmpx_gt_u32_e32 8, v3
; %bb.1279:                             ;   in Loop: Header=BB373_11 Depth=1
	v_clz_i32_u32_e32 v1, v8
	s_delay_alu instid0(VALU_DEP_1) | instskip(NEXT) | instid1(VALU_DEP_1)
	v_min_u32_e32 v1, 32, v1
	v_subrev_nc_u32_e32 v3, 28, v1
	v_sub_nc_u32_e32 v1, 29, v1
	s_delay_alu instid0(VALU_DEP_2) | instskip(NEXT) | instid1(VALU_DEP_1)
	v_lshlrev_b64 v[5:6], v3, v[8:9]
	v_and_b32_e32 v32, 7, v5
; %bb.1280:                             ;   in Loop: Header=BB373_11 Depth=1
	s_or_b32 exec_lo, exec_lo, s19
	v_lshlrev_b32_e32 v0, 8, v0
	v_lshl_add_u32 v1, v1, 10, 0x2000
	s_delay_alu instid0(VALU_DEP_1) | instskip(NEXT) | instid1(VALU_DEP_1)
	v_and_or_b32 v0, 0x8000, v0, v1
	v_lshl_or_b32 v0, v32, 7, v0
	s_delay_alu instid0(VALU_DEP_1)
	v_cvt_f32_f16_e32 v54, v0
.LBB373_1281:                           ;   in Loop: Header=BB373_11 Depth=1
	s_or_b32 exec_lo, exec_lo, s18
.LBB373_1282:                           ;   in Loop: Header=BB373_11 Depth=1
	s_delay_alu instid0(SALU_CYCLE_1)
	s_or_b32 exec_lo, exec_lo, s17
.LBB373_1283:                           ;   in Loop: Header=BB373_11 Depth=1
	s_delay_alu instid0(SALU_CYCLE_1)
	s_or_b32 exec_lo, exec_lo, s15
	v_dual_mov_b32 v0, 0 :: v_dual_mov_b32 v1, 0
	s_mov_b32 s15, exec_lo
	v_cmpx_lt_u64_e64 s[2:3], v[30:31]
	s_cbranch_execz .LBB373_1291
; %bb.1284:                             ;   in Loop: Header=BB373_11 Depth=1
	v_lshrrev_b32_e32 v3, 24, v31
	v_bfrev_b32_e32 v1, 1
	s_mov_b32 s17, exec_lo
	s_delay_alu instid0(VALU_DEP_2)
	v_cmpx_ne_u32_e32 0x80, v3
	s_cbranch_execz .LBB373_1290
; %bb.1285:                             ;   in Loop: Header=BB373_11 Depth=1
	v_and_b32_e32 v5, 0x7f, v3
	v_mov_b32_e32 v1, 0x7fc02000
	s_mov_b32 s18, exec_lo
	s_delay_alu instid0(VALU_DEP_2)
	v_cmpx_ne_u32_e32 0x7f, v5
	s_cbranch_execz .LBB373_1289
; %bb.1286:                             ;   in Loop: Header=BB373_11 Depth=1
	v_and_b32_e32 v8, 7, v3
	v_mov_b32_e32 v31, v9
	v_lshrrev_b32_e32 v1, 3, v5
	s_mov_b32 s19, exec_lo
	s_delay_alu instid0(VALU_DEP_3)
	v_mov_b32_e32 v30, v8
	v_cmpx_gt_u32_e32 8, v5
; %bb.1287:                             ;   in Loop: Header=BB373_11 Depth=1
	v_clz_i32_u32_e32 v1, v8
	s_delay_alu instid0(VALU_DEP_1) | instskip(NEXT) | instid1(VALU_DEP_1)
	v_min_u32_e32 v1, 32, v1
	v_subrev_nc_u32_e32 v5, 28, v1
	v_sub_nc_u32_e32 v1, 29, v1
	s_delay_alu instid0(VALU_DEP_2) | instskip(NEXT) | instid1(VALU_DEP_1)
	v_lshlrev_b64 v[5:6], v5, v[8:9]
	v_and_b32_e32 v30, 7, v5
; %bb.1288:                             ;   in Loop: Header=BB373_11 Depth=1
	s_or_b32 exec_lo, exec_lo, s19
	v_lshlrev_b32_e32 v3, 8, v3
	v_lshl_add_u32 v1, v1, 10, 0x2000
	s_delay_alu instid0(VALU_DEP_1) | instskip(NEXT) | instid1(VALU_DEP_1)
	v_and_or_b32 v1, 0x8000, v3, v1
	v_lshl_or_b32 v1, v30, 7, v1
	s_delay_alu instid0(VALU_DEP_1)
	v_cvt_f32_f16_e32 v1, v1
.LBB373_1289:                           ;   in Loop: Header=BB373_11 Depth=1
	s_or_b32 exec_lo, exec_lo, s18
.LBB373_1290:                           ;   in Loop: Header=BB373_11 Depth=1
	s_delay_alu instid0(SALU_CYCLE_1)
	s_or_b32 exec_lo, exec_lo, s17
.LBB373_1291:                           ;   in Loop: Header=BB373_11 Depth=1
	s_delay_alu instid0(SALU_CYCLE_1) | instskip(SKIP_4) | instid1(VALU_DEP_1)
	s_or_b32 exec_lo, exec_lo, s15
	flat_load_b64 v[30:31], v[28:29] offset:1024
	s_mov_b32 s15, exec_lo
	s_waitcnt vmcnt(0) lgkmcnt(0)
	v_and_b32_e32 v3, 0xff, v30
	v_cmpx_ne_u16_e32 0, v3
	s_cbranch_execz .LBB373_1299
; %bb.1292:                             ;   in Loop: Header=BB373_11 Depth=1
	v_bfrev_b32_e32 v0, 1
	s_mov_b32 s17, exec_lo
	v_cmpx_ne_u16_e32 0x80, v3
	s_cbranch_execz .LBB373_1298
; %bb.1293:                             ;   in Loop: Header=BB373_11 Depth=1
	v_and_b32_e32 v3, 0x7f, v30
	v_mov_b32_e32 v0, 0x7fc02000
	s_mov_b32 s18, exec_lo
	s_delay_alu instid0(VALU_DEP_2)
	v_cmpx_ne_u32_e32 0x7f, v3
	s_cbranch_execz .LBB373_1297
; %bb.1294:                             ;   in Loop: Header=BB373_11 Depth=1
	v_lshrrev_b32_e32 v0, 3, v3
	v_dual_mov_b32 v33, v31 :: v_dual_mov_b32 v32, v30
	s_mov_b32 s19, exec_lo
	v_cmpx_gt_u32_e32 8, v3
; %bb.1295:                             ;   in Loop: Header=BB373_11 Depth=1
	v_and_b32_e32 v0, 7, v30
	s_delay_alu instid0(VALU_DEP_1) | instskip(NEXT) | instid1(VALU_DEP_1)
	v_clz_i32_u32_e32 v0, v0
	v_min_u32_e32 v0, 32, v0
	s_delay_alu instid0(VALU_DEP_1) | instskip(SKIP_1) | instid1(VALU_DEP_2)
	v_subrev_nc_u32_e32 v3, 28, v0
	v_sub_nc_u32_e32 v0, 29, v0
	v_lshlrev_b64 v[32:33], v3, v[30:31]
; %bb.1296:                             ;   in Loop: Header=BB373_11 Depth=1
	s_or_b32 exec_lo, exec_lo, s19
	v_lshlrev_b32_e32 v3, 8, v30
	s_delay_alu instid0(VALU_DEP_3) | instskip(NEXT) | instid1(VALU_DEP_3)
	v_lshl_add_u32 v0, v0, 10, 0x2000
	v_lshlrev_b32_e32 v5, 7, v32
	s_delay_alu instid0(VALU_DEP_2) | instskip(NEXT) | instid1(VALU_DEP_1)
	v_and_or_b32 v0, 0x8000, v3, v0
	v_and_or_b32 v0, 0x380, v5, v0
	s_delay_alu instid0(VALU_DEP_1)
	v_cvt_f32_f16_e32 v0, v0
.LBB373_1297:                           ;   in Loop: Header=BB373_11 Depth=1
	s_or_b32 exec_lo, exec_lo, s18
.LBB373_1298:                           ;   in Loop: Header=BB373_11 Depth=1
	s_delay_alu instid0(SALU_CYCLE_1)
	s_or_b32 exec_lo, exec_lo, s17
.LBB373_1299:                           ;   in Loop: Header=BB373_11 Depth=1
	s_delay_alu instid0(SALU_CYCLE_1) | instskip(SKIP_3) | instid1(VALU_DEP_2)
	s_or_b32 exec_lo, exec_lo, s15
	v_lshrrev_b16 v3, 8, v30
	v_dual_mov_b32 v18, 0 :: v_dual_mov_b32 v19, 0
	s_mov_b32 s15, exec_lo
	v_cmpx_ne_u16_e32 0, v3
	s_cbranch_execz .LBB373_1307
; %bb.1300:                             ;   in Loop: Header=BB373_11 Depth=1
	v_bfrev_b32_e32 v19, 1
	s_mov_b32 s17, exec_lo
	v_cmpx_ne_u16_e32 0x80, v3
	s_cbranch_execz .LBB373_1306
; %bb.1301:                             ;   in Loop: Header=BB373_11 Depth=1
	v_and_b32_e32 v3, 0xffff, v3
	v_mov_b32_e32 v19, 0x7fc02000
	s_mov_b32 s18, exec_lo
	s_delay_alu instid0(VALU_DEP_2) | instskip(NEXT) | instid1(VALU_DEP_1)
	v_and_b32_e32 v6, 0x7f, v3
	v_cmpx_ne_u32_e32 0x7f, v6
	s_cbranch_execz .LBB373_1305
; %bb.1302:                             ;   in Loop: Header=BB373_11 Depth=1
	v_and_b32_e32 v8, 7, v3
	v_mov_b32_e32 v33, v9
	v_lshrrev_b32_e32 v5, 3, v6
	s_mov_b32 s19, exec_lo
	s_delay_alu instid0(VALU_DEP_3)
	v_mov_b32_e32 v32, v8
	v_cmpx_gt_u32_e32 8, v6
; %bb.1303:                             ;   in Loop: Header=BB373_11 Depth=1
	v_clz_i32_u32_e32 v5, v8
	s_delay_alu instid0(VALU_DEP_1) | instskip(NEXT) | instid1(VALU_DEP_1)
	v_min_u32_e32 v5, 32, v5
	v_subrev_nc_u32_e32 v6, 28, v5
	v_sub_nc_u32_e32 v5, 29, v5
	s_delay_alu instid0(VALU_DEP_2) | instskip(NEXT) | instid1(VALU_DEP_1)
	v_lshlrev_b64 v[6:7], v6, v[8:9]
	v_and_b32_e32 v32, 7, v6
; %bb.1304:                             ;   in Loop: Header=BB373_11 Depth=1
	s_or_b32 exec_lo, exec_lo, s19
	v_lshlrev_b32_e32 v3, 8, v3
	v_lshl_add_u32 v5, v5, 10, 0x2000
	s_delay_alu instid0(VALU_DEP_1) | instskip(NEXT) | instid1(VALU_DEP_1)
	v_and_or_b32 v3, 0x8000, v3, v5
	v_lshl_or_b32 v3, v32, 7, v3
	s_delay_alu instid0(VALU_DEP_1)
	v_cvt_f32_f16_e32 v19, v3
.LBB373_1305:                           ;   in Loop: Header=BB373_11 Depth=1
	s_or_b32 exec_lo, exec_lo, s18
.LBB373_1306:                           ;   in Loop: Header=BB373_11 Depth=1
	s_delay_alu instid0(SALU_CYCLE_1)
	s_or_b32 exec_lo, exec_lo, s17
.LBB373_1307:                           ;   in Loop: Header=BB373_11 Depth=1
	s_delay_alu instid0(SALU_CYCLE_1) | instskip(SKIP_2) | instid1(VALU_DEP_1)
	s_or_b32 exec_lo, exec_lo, s15
	v_lshrrev_b32_e32 v3, 16, v30
	s_mov_b32 s15, exec_lo
	v_and_b32_e32 v5, 0xff, v3
	s_delay_alu instid0(VALU_DEP_1)
	v_cmpx_ne_u16_e32 0, v5
	s_cbranch_execz .LBB373_1315
; %bb.1308:                             ;   in Loop: Header=BB373_11 Depth=1
	v_bfrev_b32_e32 v18, 1
	s_mov_b32 s17, exec_lo
	v_cmpx_ne_u16_e32 0x80, v5
	s_cbranch_execz .LBB373_1314
; %bb.1309:                             ;   in Loop: Header=BB373_11 Depth=1
	v_bfe_u32 v6, v30, 16, 7
	v_mov_b32_e32 v18, 0x7fc02000
	s_mov_b32 s18, exec_lo
	s_delay_alu instid0(VALU_DEP_2)
	v_cmpx_ne_u32_e32 0x7f, v6
	s_cbranch_execz .LBB373_1313
; %bb.1310:                             ;   in Loop: Header=BB373_11 Depth=1
	v_and_b32_e32 v8, 7, v3
	v_mov_b32_e32 v33, v9
	v_lshrrev_b32_e32 v5, 3, v6
	s_mov_b32 s19, exec_lo
	s_delay_alu instid0(VALU_DEP_3)
	v_mov_b32_e32 v32, v8
	v_cmpx_gt_u32_e32 8, v6
; %bb.1311:                             ;   in Loop: Header=BB373_11 Depth=1
	v_clz_i32_u32_e32 v5, v8
	s_delay_alu instid0(VALU_DEP_1) | instskip(NEXT) | instid1(VALU_DEP_1)
	v_min_u32_e32 v5, 32, v5
	v_subrev_nc_u32_e32 v6, 28, v5
	v_sub_nc_u32_e32 v5, 29, v5
	s_delay_alu instid0(VALU_DEP_2) | instskip(NEXT) | instid1(VALU_DEP_1)
	v_lshlrev_b64 v[6:7], v6, v[8:9]
	v_and_b32_e32 v32, 7, v6
; %bb.1312:                             ;   in Loop: Header=BB373_11 Depth=1
	s_or_b32 exec_lo, exec_lo, s19
	v_lshlrev_b32_e32 v3, 8, v3
	v_lshl_add_u32 v5, v5, 10, 0x2000
	s_delay_alu instid0(VALU_DEP_1) | instskip(NEXT) | instid1(VALU_DEP_1)
	v_and_or_b32 v3, 0x8000, v3, v5
	v_lshl_or_b32 v3, v32, 7, v3
	s_delay_alu instid0(VALU_DEP_1)
	v_cvt_f32_f16_e32 v18, v3
.LBB373_1313:                           ;   in Loop: Header=BB373_11 Depth=1
	s_or_b32 exec_lo, exec_lo, s18
.LBB373_1314:                           ;   in Loop: Header=BB373_11 Depth=1
	s_delay_alu instid0(SALU_CYCLE_1)
	s_or_b32 exec_lo, exec_lo, s17
.LBB373_1315:                           ;   in Loop: Header=BB373_11 Depth=1
	s_delay_alu instid0(SALU_CYCLE_1)
	s_or_b32 exec_lo, exec_lo, s15
	v_dual_mov_b32 v80, 0 :: v_dual_mov_b32 v23, 0
	s_mov_b32 s15, exec_lo
	v_cmpx_lt_u32_e32 0xffffff, v30
	s_cbranch_execz .LBB373_1323
; %bb.1316:                             ;   in Loop: Header=BB373_11 Depth=1
	v_lshrrev_b32_e32 v3, 24, v30
	v_bfrev_b32_e32 v23, 1
	s_mov_b32 s17, exec_lo
	s_delay_alu instid0(VALU_DEP_2)
	v_cmpx_ne_u32_e32 0x80, v3
	s_cbranch_execz .LBB373_1322
; %bb.1317:                             ;   in Loop: Header=BB373_11 Depth=1
	v_and_b32_e32 v6, 0x7f, v3
	v_mov_b32_e32 v23, 0x7fc02000
	s_mov_b32 s18, exec_lo
	s_delay_alu instid0(VALU_DEP_2)
	v_cmpx_ne_u32_e32 0x7f, v6
	s_cbranch_execz .LBB373_1321
; %bb.1318:                             ;   in Loop: Header=BB373_11 Depth=1
	v_and_b32_e32 v8, 7, v3
	v_mov_b32_e32 v33, v9
	v_lshrrev_b32_e32 v5, 3, v6
	s_mov_b32 s19, exec_lo
	s_delay_alu instid0(VALU_DEP_3)
	v_mov_b32_e32 v32, v8
	v_cmpx_gt_u32_e32 8, v6
; %bb.1319:                             ;   in Loop: Header=BB373_11 Depth=1
	v_clz_i32_u32_e32 v5, v8
	s_delay_alu instid0(VALU_DEP_1) | instskip(NEXT) | instid1(VALU_DEP_1)
	v_min_u32_e32 v5, 32, v5
	v_subrev_nc_u32_e32 v6, 28, v5
	v_sub_nc_u32_e32 v5, 29, v5
	s_delay_alu instid0(VALU_DEP_2) | instskip(NEXT) | instid1(VALU_DEP_1)
	v_lshlrev_b64 v[6:7], v6, v[8:9]
	v_and_b32_e32 v32, 7, v6
; %bb.1320:                             ;   in Loop: Header=BB373_11 Depth=1
	s_or_b32 exec_lo, exec_lo, s19
	v_lshlrev_b32_e32 v3, 8, v3
	v_lshl_add_u32 v5, v5, 10, 0x2000
	s_delay_alu instid0(VALU_DEP_1) | instskip(NEXT) | instid1(VALU_DEP_1)
	v_and_or_b32 v3, 0x8000, v3, v5
	v_lshl_or_b32 v3, v32, 7, v3
	s_delay_alu instid0(VALU_DEP_1)
	v_cvt_f32_f16_e32 v23, v3
.LBB373_1321:                           ;   in Loop: Header=BB373_11 Depth=1
	s_or_b32 exec_lo, exec_lo, s18
.LBB373_1322:                           ;   in Loop: Header=BB373_11 Depth=1
	s_delay_alu instid0(SALU_CYCLE_1)
	s_or_b32 exec_lo, exec_lo, s17
.LBB373_1323:                           ;   in Loop: Header=BB373_11 Depth=1
	s_delay_alu instid0(SALU_CYCLE_1) | instskip(SKIP_2) | instid1(VALU_DEP_1)
	s_or_b32 exec_lo, exec_lo, s15
	v_dual_mov_b32 v8, v31 :: v_dual_and_b32 v3, 0xff, v31
	s_mov_b32 s15, exec_lo
	v_cmpx_ne_u16_e32 0, v3
	s_cbranch_execz .LBB373_1331
; %bb.1324:                             ;   in Loop: Header=BB373_11 Depth=1
	v_bfrev_b32_e32 v80, 1
	s_mov_b32 s17, exec_lo
	v_cmpx_ne_u16_e32 0x80, v3
	s_cbranch_execz .LBB373_1330
; %bb.1325:                             ;   in Loop: Header=BB373_11 Depth=1
	v_and_b32_e32 v5, 0x7f, v31
	v_mov_b32_e32 v80, 0x7fc02000
	s_mov_b32 s18, exec_lo
	s_delay_alu instid0(VALU_DEP_2)
	v_cmpx_ne_u32_e32 0x7f, v5
	s_cbranch_execz .LBB373_1329
; %bb.1326:                             ;   in Loop: Header=BB373_11 Depth=1
	v_dual_mov_b32 v33, v9 :: v_dual_mov_b32 v32, v8
	v_lshrrev_b32_e32 v3, 3, v5
	s_mov_b32 s19, exec_lo
	v_cmpx_gt_u32_e32 8, v5
; %bb.1327:                             ;   in Loop: Header=BB373_11 Depth=1
	v_and_b32_e32 v3, 7, v31
	s_delay_alu instid0(VALU_DEP_1) | instskip(NEXT) | instid1(VALU_DEP_1)
	v_clz_i32_u32_e32 v3, v3
	v_min_u32_e32 v3, 32, v3
	s_delay_alu instid0(VALU_DEP_1) | instskip(SKIP_1) | instid1(VALU_DEP_2)
	v_subrev_nc_u32_e32 v5, 28, v3
	v_sub_nc_u32_e32 v3, 29, v3
	v_lshlrev_b64 v[32:33], v5, v[8:9]
; %bb.1328:                             ;   in Loop: Header=BB373_11 Depth=1
	s_or_b32 exec_lo, exec_lo, s19
	v_lshlrev_b32_e32 v5, 8, v31
	s_delay_alu instid0(VALU_DEP_3) | instskip(NEXT) | instid1(VALU_DEP_3)
	v_lshl_add_u32 v3, v3, 10, 0x2000
	v_lshlrev_b32_e32 v6, 7, v32
	s_delay_alu instid0(VALU_DEP_2) | instskip(NEXT) | instid1(VALU_DEP_1)
	v_and_or_b32 v3, 0x8000, v5, v3
	v_and_or_b32 v3, 0x380, v6, v3
	s_delay_alu instid0(VALU_DEP_1)
	v_cvt_f32_f16_e32 v80, v3
.LBB373_1329:                           ;   in Loop: Header=BB373_11 Depth=1
	s_or_b32 exec_lo, exec_lo, s18
.LBB373_1330:                           ;   in Loop: Header=BB373_11 Depth=1
	s_delay_alu instid0(SALU_CYCLE_1)
	s_or_b32 exec_lo, exec_lo, s17
.LBB373_1331:                           ;   in Loop: Header=BB373_11 Depth=1
	s_delay_alu instid0(SALU_CYCLE_1) | instskip(SKIP_4) | instid1(VALU_DEP_3)
	s_or_b32 exec_lo, exec_lo, s15
	v_lshrrev_b16 v3, 8, v8
	v_mov_b32_e32 v55, 0
	v_mov_b32_e32 v65, 0
	s_mov_b32 s15, exec_lo
	v_cmpx_ne_u16_e32 0, v3
	s_cbranch_execz .LBB373_1339
; %bb.1332:                             ;   in Loop: Header=BB373_11 Depth=1
	v_bfrev_b32_e32 v65, 1
	s_mov_b32 s17, exec_lo
	v_cmpx_ne_u16_e32 0x80, v3
	s_cbranch_execz .LBB373_1338
; %bb.1333:                             ;   in Loop: Header=BB373_11 Depth=1
	v_and_b32_e32 v3, 0xffff, v3
	v_mov_b32_e32 v65, 0x7fc02000
	s_mov_b32 s18, exec_lo
	s_delay_alu instid0(VALU_DEP_2) | instskip(NEXT) | instid1(VALU_DEP_1)
	v_and_b32_e32 v6, 0x7f, v3
	v_cmpx_ne_u32_e32 0x7f, v6
	s_cbranch_execz .LBB373_1337
; %bb.1334:                             ;   in Loop: Header=BB373_11 Depth=1
	v_and_b32_e32 v8, 7, v3
	v_mov_b32_e32 v33, v9
	v_lshrrev_b32_e32 v5, 3, v6
	s_mov_b32 s19, exec_lo
	s_delay_alu instid0(VALU_DEP_3)
	v_mov_b32_e32 v32, v8
	v_cmpx_gt_u32_e32 8, v6
; %bb.1335:                             ;   in Loop: Header=BB373_11 Depth=1
	v_clz_i32_u32_e32 v5, v8
	s_delay_alu instid0(VALU_DEP_1) | instskip(NEXT) | instid1(VALU_DEP_1)
	v_min_u32_e32 v5, 32, v5
	v_subrev_nc_u32_e32 v6, 28, v5
	v_sub_nc_u32_e32 v5, 29, v5
	s_delay_alu instid0(VALU_DEP_2) | instskip(NEXT) | instid1(VALU_DEP_1)
	v_lshlrev_b64 v[6:7], v6, v[8:9]
	v_and_b32_e32 v32, 7, v6
; %bb.1336:                             ;   in Loop: Header=BB373_11 Depth=1
	s_or_b32 exec_lo, exec_lo, s19
	v_lshlrev_b32_e32 v3, 8, v3
	v_lshl_add_u32 v5, v5, 10, 0x2000
	s_delay_alu instid0(VALU_DEP_1) | instskip(NEXT) | instid1(VALU_DEP_1)
	v_and_or_b32 v3, 0x8000, v3, v5
	v_lshl_or_b32 v3, v32, 7, v3
	s_delay_alu instid0(VALU_DEP_1)
	v_cvt_f32_f16_e32 v65, v3
.LBB373_1337:                           ;   in Loop: Header=BB373_11 Depth=1
	s_or_b32 exec_lo, exec_lo, s18
.LBB373_1338:                           ;   in Loop: Header=BB373_11 Depth=1
	s_delay_alu instid0(SALU_CYCLE_1)
	s_or_b32 exec_lo, exec_lo, s17
.LBB373_1339:                           ;   in Loop: Header=BB373_11 Depth=1
	s_delay_alu instid0(SALU_CYCLE_1) | instskip(SKIP_2) | instid1(VALU_DEP_1)
	s_or_b32 exec_lo, exec_lo, s15
	v_lshrrev_b32_e32 v3, 16, v31
	s_mov_b32 s15, exec_lo
	v_and_b32_e32 v5, 0xff, v3
	s_delay_alu instid0(VALU_DEP_1)
	v_cmpx_ne_u16_e32 0, v5
	s_cbranch_execz .LBB373_1347
; %bb.1340:                             ;   in Loop: Header=BB373_11 Depth=1
	v_bfrev_b32_e32 v55, 1
	s_mov_b32 s17, exec_lo
	v_cmpx_ne_u16_e32 0x80, v5
	s_cbranch_execz .LBB373_1346
; %bb.1341:                             ;   in Loop: Header=BB373_11 Depth=1
	v_bfe_u32 v6, v31, 16, 7
	v_mov_b32_e32 v55, 0x7fc02000
	s_mov_b32 s18, exec_lo
	s_delay_alu instid0(VALU_DEP_2)
	v_cmpx_ne_u32_e32 0x7f, v6
	s_cbranch_execz .LBB373_1345
; %bb.1342:                             ;   in Loop: Header=BB373_11 Depth=1
	v_and_b32_e32 v8, 7, v3
	v_mov_b32_e32 v33, v9
	v_lshrrev_b32_e32 v5, 3, v6
	s_mov_b32 s19, exec_lo
	s_delay_alu instid0(VALU_DEP_3)
	v_mov_b32_e32 v32, v8
	v_cmpx_gt_u32_e32 8, v6
; %bb.1343:                             ;   in Loop: Header=BB373_11 Depth=1
	v_clz_i32_u32_e32 v5, v8
	s_delay_alu instid0(VALU_DEP_1) | instskip(NEXT) | instid1(VALU_DEP_1)
	v_min_u32_e32 v5, 32, v5
	v_subrev_nc_u32_e32 v6, 28, v5
	v_sub_nc_u32_e32 v5, 29, v5
	s_delay_alu instid0(VALU_DEP_2) | instskip(NEXT) | instid1(VALU_DEP_1)
	v_lshlrev_b64 v[6:7], v6, v[8:9]
	v_and_b32_e32 v32, 7, v6
; %bb.1344:                             ;   in Loop: Header=BB373_11 Depth=1
	s_or_b32 exec_lo, exec_lo, s19
	v_lshlrev_b32_e32 v3, 8, v3
	v_lshl_add_u32 v5, v5, 10, 0x2000
	s_delay_alu instid0(VALU_DEP_1) | instskip(NEXT) | instid1(VALU_DEP_1)
	v_and_or_b32 v3, 0x8000, v3, v5
	v_lshl_or_b32 v3, v32, 7, v3
	s_delay_alu instid0(VALU_DEP_1)
	v_cvt_f32_f16_e32 v55, v3
.LBB373_1345:                           ;   in Loop: Header=BB373_11 Depth=1
	s_or_b32 exec_lo, exec_lo, s18
.LBB373_1346:                           ;   in Loop: Header=BB373_11 Depth=1
	s_delay_alu instid0(SALU_CYCLE_1)
	s_or_b32 exec_lo, exec_lo, s17
.LBB373_1347:                           ;   in Loop: Header=BB373_11 Depth=1
	s_delay_alu instid0(SALU_CYCLE_1)
	s_or_b32 exec_lo, exec_lo, s15
	v_dual_mov_b32 v48, 0 :: v_dual_mov_b32 v189, 0
	s_mov_b32 s15, exec_lo
	v_cmpx_lt_u64_e64 s[2:3], v[30:31]
	s_cbranch_execz .LBB373_1355
; %bb.1348:                             ;   in Loop: Header=BB373_11 Depth=1
	v_lshrrev_b32_e32 v3, 24, v31
	v_bfrev_b32_e32 v189, 1
	s_mov_b32 s17, exec_lo
	s_delay_alu instid0(VALU_DEP_2)
	v_cmpx_ne_u32_e32 0x80, v3
	s_cbranch_execz .LBB373_1354
; %bb.1349:                             ;   in Loop: Header=BB373_11 Depth=1
	v_and_b32_e32 v6, 0x7f, v3
	v_mov_b32_e32 v189, 0x7fc02000
	s_mov_b32 s18, exec_lo
	s_delay_alu instid0(VALU_DEP_2)
	v_cmpx_ne_u32_e32 0x7f, v6
	s_cbranch_execz .LBB373_1353
; %bb.1350:                             ;   in Loop: Header=BB373_11 Depth=1
	v_and_b32_e32 v8, 7, v3
	v_mov_b32_e32 v31, v9
	v_lshrrev_b32_e32 v5, 3, v6
	s_mov_b32 s19, exec_lo
	s_delay_alu instid0(VALU_DEP_3)
	v_mov_b32_e32 v30, v8
	v_cmpx_gt_u32_e32 8, v6
; %bb.1351:                             ;   in Loop: Header=BB373_11 Depth=1
	v_clz_i32_u32_e32 v5, v8
	s_delay_alu instid0(VALU_DEP_1) | instskip(NEXT) | instid1(VALU_DEP_1)
	v_min_u32_e32 v5, 32, v5
	v_subrev_nc_u32_e32 v6, 28, v5
	v_sub_nc_u32_e32 v5, 29, v5
	s_delay_alu instid0(VALU_DEP_2) | instskip(NEXT) | instid1(VALU_DEP_1)
	v_lshlrev_b64 v[6:7], v6, v[8:9]
	v_and_b32_e32 v30, 7, v6
; %bb.1352:                             ;   in Loop: Header=BB373_11 Depth=1
	s_or_b32 exec_lo, exec_lo, s19
	v_lshlrev_b32_e32 v3, 8, v3
	v_lshl_add_u32 v5, v5, 10, 0x2000
	s_delay_alu instid0(VALU_DEP_1) | instskip(NEXT) | instid1(VALU_DEP_1)
	v_and_or_b32 v3, 0x8000, v3, v5
	v_lshl_or_b32 v3, v30, 7, v3
	s_delay_alu instid0(VALU_DEP_1)
	v_cvt_f32_f16_e64 v189, v3
.LBB373_1353:                           ;   in Loop: Header=BB373_11 Depth=1
	s_or_b32 exec_lo, exec_lo, s18
.LBB373_1354:                           ;   in Loop: Header=BB373_11 Depth=1
	s_delay_alu instid0(SALU_CYCLE_1)
	s_or_b32 exec_lo, exec_lo, s17
.LBB373_1355:                           ;   in Loop: Header=BB373_11 Depth=1
	s_delay_alu instid0(SALU_CYCLE_1) | instskip(SKIP_4) | instid1(VALU_DEP_1)
	s_or_b32 exec_lo, exec_lo, s15
	flat_load_b64 v[30:31], v[28:29] offset:1032
	s_mov_b32 s15, exec_lo
	s_waitcnt vmcnt(0) lgkmcnt(0)
	v_and_b32_e32 v3, 0xff, v30
	v_cmpx_ne_u16_e32 0, v3
	s_cbranch_execz .LBB373_1363
; %bb.1356:                             ;   in Loop: Header=BB373_11 Depth=1
	v_bfrev_b32_e32 v48, 1
	s_mov_b32 s17, exec_lo
	v_cmpx_ne_u16_e32 0x80, v3
	s_cbranch_execz .LBB373_1362
; %bb.1357:                             ;   in Loop: Header=BB373_11 Depth=1
	v_and_b32_e32 v5, 0x7f, v30
	v_mov_b32_e32 v48, 0x7fc02000
	s_mov_b32 s18, exec_lo
	s_delay_alu instid0(VALU_DEP_2)
	v_cmpx_ne_u32_e32 0x7f, v5
	s_cbranch_execz .LBB373_1361
; %bb.1358:                             ;   in Loop: Header=BB373_11 Depth=1
	v_lshrrev_b32_e32 v3, 3, v5
	v_dual_mov_b32 v33, v31 :: v_dual_mov_b32 v32, v30
	s_mov_b32 s19, exec_lo
	v_cmpx_gt_u32_e32 8, v5
; %bb.1359:                             ;   in Loop: Header=BB373_11 Depth=1
	v_and_b32_e32 v3, 7, v30
	s_delay_alu instid0(VALU_DEP_1) | instskip(NEXT) | instid1(VALU_DEP_1)
	v_clz_i32_u32_e32 v3, v3
	v_min_u32_e32 v3, 32, v3
	s_delay_alu instid0(VALU_DEP_1) | instskip(SKIP_1) | instid1(VALU_DEP_2)
	v_subrev_nc_u32_e32 v5, 28, v3
	v_sub_nc_u32_e32 v3, 29, v3
	v_lshlrev_b64 v[32:33], v5, v[30:31]
; %bb.1360:                             ;   in Loop: Header=BB373_11 Depth=1
	s_or_b32 exec_lo, exec_lo, s19
	v_lshlrev_b32_e32 v5, 8, v30
	s_delay_alu instid0(VALU_DEP_3) | instskip(NEXT) | instid1(VALU_DEP_3)
	v_lshl_add_u32 v3, v3, 10, 0x2000
	v_lshlrev_b32_e32 v6, 7, v32
	s_delay_alu instid0(VALU_DEP_2) | instskip(NEXT) | instid1(VALU_DEP_1)
	v_and_or_b32 v3, 0x8000, v5, v3
	v_and_or_b32 v3, 0x380, v6, v3
	s_delay_alu instid0(VALU_DEP_1)
	v_cvt_f32_f16_e32 v48, v3
.LBB373_1361:                           ;   in Loop: Header=BB373_11 Depth=1
	s_or_b32 exec_lo, exec_lo, s18
.LBB373_1362:                           ;   in Loop: Header=BB373_11 Depth=1
	s_delay_alu instid0(SALU_CYCLE_1)
	s_or_b32 exec_lo, exec_lo, s17
.LBB373_1363:                           ;   in Loop: Header=BB373_11 Depth=1
	s_delay_alu instid0(SALU_CYCLE_1) | instskip(SKIP_4) | instid1(VALU_DEP_3)
	s_or_b32 exec_lo, exec_lo, s15
	v_lshrrev_b16 v3, 8, v30
	v_mov_b32_e32 v49, 0
	v_mov_b32_e32 v129, 0
	s_mov_b32 s15, exec_lo
	v_cmpx_ne_u16_e32 0, v3
	s_cbranch_execz .LBB373_1371
; %bb.1364:                             ;   in Loop: Header=BB373_11 Depth=1
	v_bfrev_b32_e32 v129, 1
	s_mov_b32 s17, exec_lo
	v_cmpx_ne_u16_e32 0x80, v3
	s_cbranch_execz .LBB373_1370
; %bb.1365:                             ;   in Loop: Header=BB373_11 Depth=1
	v_and_b32_e32 v3, 0xffff, v3
	v_mov_b32_e32 v129, 0x7fc02000
	s_mov_b32 s18, exec_lo
	s_delay_alu instid0(VALU_DEP_2) | instskip(NEXT) | instid1(VALU_DEP_1)
	v_and_b32_e32 v6, 0x7f, v3
	v_cmpx_ne_u32_e32 0x7f, v6
	s_cbranch_execz .LBB373_1369
; %bb.1366:                             ;   in Loop: Header=BB373_11 Depth=1
	v_and_b32_e32 v8, 7, v3
	v_mov_b32_e32 v33, v9
	v_lshrrev_b32_e32 v5, 3, v6
	s_mov_b32 s19, exec_lo
	s_delay_alu instid0(VALU_DEP_3)
	v_mov_b32_e32 v32, v8
	v_cmpx_gt_u32_e32 8, v6
; %bb.1367:                             ;   in Loop: Header=BB373_11 Depth=1
	v_clz_i32_u32_e32 v5, v8
	s_delay_alu instid0(VALU_DEP_1) | instskip(NEXT) | instid1(VALU_DEP_1)
	v_min_u32_e32 v5, 32, v5
	v_subrev_nc_u32_e32 v6, 28, v5
	v_sub_nc_u32_e32 v5, 29, v5
	s_delay_alu instid0(VALU_DEP_2) | instskip(NEXT) | instid1(VALU_DEP_1)
	v_lshlrev_b64 v[6:7], v6, v[8:9]
	v_and_b32_e32 v32, 7, v6
; %bb.1368:                             ;   in Loop: Header=BB373_11 Depth=1
	s_or_b32 exec_lo, exec_lo, s19
	v_lshlrev_b32_e32 v3, 8, v3
	v_lshl_add_u32 v5, v5, 10, 0x2000
	s_delay_alu instid0(VALU_DEP_1) | instskip(NEXT) | instid1(VALU_DEP_1)
	v_and_or_b32 v3, 0x8000, v3, v5
	v_lshl_or_b32 v3, v32, 7, v3
	s_delay_alu instid0(VALU_DEP_1)
	v_cvt_f32_f16_e64 v129, v3
.LBB373_1369:                           ;   in Loop: Header=BB373_11 Depth=1
	s_or_b32 exec_lo, exec_lo, s18
.LBB373_1370:                           ;   in Loop: Header=BB373_11 Depth=1
	s_delay_alu instid0(SALU_CYCLE_1)
	s_or_b32 exec_lo, exec_lo, s17
.LBB373_1371:                           ;   in Loop: Header=BB373_11 Depth=1
	s_delay_alu instid0(SALU_CYCLE_1) | instskip(SKIP_2) | instid1(VALU_DEP_1)
	s_or_b32 exec_lo, exec_lo, s15
	v_lshrrev_b32_e32 v3, 16, v30
	s_mov_b32 s15, exec_lo
	v_and_b32_e32 v5, 0xff, v3
	s_delay_alu instid0(VALU_DEP_1)
	v_cmpx_ne_u16_e32 0, v5
	s_cbranch_execz .LBB373_1379
; %bb.1372:                             ;   in Loop: Header=BB373_11 Depth=1
	v_bfrev_b32_e32 v49, 1
	s_mov_b32 s17, exec_lo
	v_cmpx_ne_u16_e32 0x80, v5
	s_cbranch_execz .LBB373_1378
; %bb.1373:                             ;   in Loop: Header=BB373_11 Depth=1
	v_bfe_u32 v6, v30, 16, 7
	v_mov_b32_e32 v49, 0x7fc02000
	s_mov_b32 s18, exec_lo
	s_delay_alu instid0(VALU_DEP_2)
	v_cmpx_ne_u32_e32 0x7f, v6
	s_cbranch_execz .LBB373_1377
; %bb.1374:                             ;   in Loop: Header=BB373_11 Depth=1
	v_and_b32_e32 v8, 7, v3
	v_mov_b32_e32 v33, v9
	v_lshrrev_b32_e32 v5, 3, v6
	s_mov_b32 s19, exec_lo
	s_delay_alu instid0(VALU_DEP_3)
	v_mov_b32_e32 v32, v8
	v_cmpx_gt_u32_e32 8, v6
; %bb.1375:                             ;   in Loop: Header=BB373_11 Depth=1
	v_clz_i32_u32_e32 v5, v8
	s_delay_alu instid0(VALU_DEP_1) | instskip(NEXT) | instid1(VALU_DEP_1)
	v_min_u32_e32 v5, 32, v5
	v_subrev_nc_u32_e32 v6, 28, v5
	v_sub_nc_u32_e32 v5, 29, v5
	s_delay_alu instid0(VALU_DEP_2) | instskip(NEXT) | instid1(VALU_DEP_1)
	v_lshlrev_b64 v[6:7], v6, v[8:9]
	v_and_b32_e32 v32, 7, v6
; %bb.1376:                             ;   in Loop: Header=BB373_11 Depth=1
	s_or_b32 exec_lo, exec_lo, s19
	v_lshlrev_b32_e32 v3, 8, v3
	v_lshl_add_u32 v5, v5, 10, 0x2000
	s_delay_alu instid0(VALU_DEP_1) | instskip(NEXT) | instid1(VALU_DEP_1)
	v_and_or_b32 v3, 0x8000, v3, v5
	v_lshl_or_b32 v3, v32, 7, v3
	s_delay_alu instid0(VALU_DEP_1)
	v_cvt_f32_f16_e32 v49, v3
.LBB373_1377:                           ;   in Loop: Header=BB373_11 Depth=1
	s_or_b32 exec_lo, exec_lo, s18
.LBB373_1378:                           ;   in Loop: Header=BB373_11 Depth=1
	s_delay_alu instid0(SALU_CYCLE_1)
	s_or_b32 exec_lo, exec_lo, s17
.LBB373_1379:                           ;   in Loop: Header=BB373_11 Depth=1
	s_delay_alu instid0(SALU_CYCLE_1)
	s_or_b32 exec_lo, exec_lo, s15
	v_dual_mov_b32 v188, 0 :: v_dual_mov_b32 v85, 0
	s_mov_b32 s15, exec_lo
	v_cmpx_lt_u32_e32 0xffffff, v30
	s_cbranch_execz .LBB373_1387
; %bb.1380:                             ;   in Loop: Header=BB373_11 Depth=1
	v_lshrrev_b32_e32 v3, 24, v30
	v_bfrev_b32_e32 v85, 1
	s_mov_b32 s17, exec_lo
	s_delay_alu instid0(VALU_DEP_2)
	v_cmpx_ne_u32_e32 0x80, v3
	s_cbranch_execz .LBB373_1386
; %bb.1381:                             ;   in Loop: Header=BB373_11 Depth=1
	v_and_b32_e32 v6, 0x7f, v3
	v_mov_b32_e32 v85, 0x7fc02000
	s_mov_b32 s18, exec_lo
	s_delay_alu instid0(VALU_DEP_2)
	v_cmpx_ne_u32_e32 0x7f, v6
	s_cbranch_execz .LBB373_1385
; %bb.1382:                             ;   in Loop: Header=BB373_11 Depth=1
	v_and_b32_e32 v8, 7, v3
	v_mov_b32_e32 v33, v9
	v_lshrrev_b32_e32 v5, 3, v6
	s_mov_b32 s19, exec_lo
	s_delay_alu instid0(VALU_DEP_3)
	v_mov_b32_e32 v32, v8
	v_cmpx_gt_u32_e32 8, v6
; %bb.1383:                             ;   in Loop: Header=BB373_11 Depth=1
	v_clz_i32_u32_e32 v5, v8
	s_delay_alu instid0(VALU_DEP_1) | instskip(NEXT) | instid1(VALU_DEP_1)
	v_min_u32_e32 v5, 32, v5
	v_subrev_nc_u32_e32 v6, 28, v5
	v_sub_nc_u32_e32 v5, 29, v5
	s_delay_alu instid0(VALU_DEP_2) | instskip(NEXT) | instid1(VALU_DEP_1)
	v_lshlrev_b64 v[6:7], v6, v[8:9]
	v_and_b32_e32 v32, 7, v6
; %bb.1384:                             ;   in Loop: Header=BB373_11 Depth=1
	s_or_b32 exec_lo, exec_lo, s19
	v_lshlrev_b32_e32 v3, 8, v3
	v_lshl_add_u32 v5, v5, 10, 0x2000
	s_delay_alu instid0(VALU_DEP_1) | instskip(NEXT) | instid1(VALU_DEP_1)
	v_and_or_b32 v3, 0x8000, v3, v5
	v_lshl_or_b32 v3, v32, 7, v3
	s_delay_alu instid0(VALU_DEP_1)
	v_cvt_f32_f16_e32 v85, v3
.LBB373_1385:                           ;   in Loop: Header=BB373_11 Depth=1
	s_or_b32 exec_lo, exec_lo, s18
.LBB373_1386:                           ;   in Loop: Header=BB373_11 Depth=1
	s_delay_alu instid0(SALU_CYCLE_1)
	s_or_b32 exec_lo, exec_lo, s17
.LBB373_1387:                           ;   in Loop: Header=BB373_11 Depth=1
	s_delay_alu instid0(SALU_CYCLE_1) | instskip(SKIP_2) | instid1(VALU_DEP_1)
	s_or_b32 exec_lo, exec_lo, s15
	v_dual_mov_b32 v8, v31 :: v_dual_and_b32 v3, 0xff, v31
	s_mov_b32 s15, exec_lo
	v_cmpx_ne_u16_e32 0, v3
	s_cbranch_execz .LBB373_1395
; %bb.1388:                             ;   in Loop: Header=BB373_11 Depth=1
	v_bfrev_b32_e32 v188, 1
	s_mov_b32 s17, exec_lo
	v_cmpx_ne_u16_e32 0x80, v3
	s_cbranch_execz .LBB373_1394
; %bb.1389:                             ;   in Loop: Header=BB373_11 Depth=1
	v_and_b32_e32 v5, 0x7f, v31
	v_mov_b32_e32 v188, 0x7fc02000
	s_mov_b32 s18, exec_lo
	s_delay_alu instid0(VALU_DEP_2)
	v_cmpx_ne_u32_e32 0x7f, v5
	s_cbranch_execz .LBB373_1393
; %bb.1390:                             ;   in Loop: Header=BB373_11 Depth=1
	v_dual_mov_b32 v33, v9 :: v_dual_mov_b32 v32, v8
	v_lshrrev_b32_e32 v3, 3, v5
	s_mov_b32 s19, exec_lo
	v_cmpx_gt_u32_e32 8, v5
; %bb.1391:                             ;   in Loop: Header=BB373_11 Depth=1
	v_and_b32_e32 v3, 7, v31
	s_delay_alu instid0(VALU_DEP_1) | instskip(NEXT) | instid1(VALU_DEP_1)
	v_clz_i32_u32_e32 v3, v3
	v_min_u32_e32 v3, 32, v3
	s_delay_alu instid0(VALU_DEP_1) | instskip(SKIP_1) | instid1(VALU_DEP_2)
	v_subrev_nc_u32_e32 v5, 28, v3
	v_sub_nc_u32_e32 v3, 29, v3
	v_lshlrev_b64 v[32:33], v5, v[8:9]
; %bb.1392:                             ;   in Loop: Header=BB373_11 Depth=1
	s_or_b32 exec_lo, exec_lo, s19
	v_lshlrev_b32_e32 v5, 8, v31
	s_delay_alu instid0(VALU_DEP_3) | instskip(NEXT) | instid1(VALU_DEP_3)
	v_lshl_add_u32 v3, v3, 10, 0x2000
	v_lshlrev_b32_e32 v6, 7, v32
	s_delay_alu instid0(VALU_DEP_2) | instskip(NEXT) | instid1(VALU_DEP_1)
	v_and_or_b32 v3, 0x8000, v5, v3
	v_and_or_b32 v3, 0x380, v6, v3
	s_delay_alu instid0(VALU_DEP_1)
	v_cvt_f32_f16_e64 v188, v3
.LBB373_1393:                           ;   in Loop: Header=BB373_11 Depth=1
	s_or_b32 exec_lo, exec_lo, s18
.LBB373_1394:                           ;   in Loop: Header=BB373_11 Depth=1
	s_delay_alu instid0(SALU_CYCLE_1)
	s_or_b32 exec_lo, exec_lo, s17
.LBB373_1395:                           ;   in Loop: Header=BB373_11 Depth=1
	s_delay_alu instid0(SALU_CYCLE_1) | instskip(SKIP_3) | instid1(VALU_DEP_2)
	s_or_b32 exec_lo, exec_lo, s15
	v_lshrrev_b16 v3, 8, v8
	v_dual_mov_b32 v101, 0 :: v_dual_mov_b32 v102, 0
	s_mov_b32 s15, exec_lo
	v_cmpx_ne_u16_e32 0, v3
	s_cbranch_execz .LBB373_1403
; %bb.1396:                             ;   in Loop: Header=BB373_11 Depth=1
	v_bfrev_b32_e32 v102, 1
	s_mov_b32 s17, exec_lo
	v_cmpx_ne_u16_e32 0x80, v3
	s_cbranch_execz .LBB373_1402
; %bb.1397:                             ;   in Loop: Header=BB373_11 Depth=1
	v_and_b32_e32 v3, 0xffff, v3
	v_mov_b32_e32 v102, 0x7fc02000
	s_mov_b32 s18, exec_lo
	s_delay_alu instid0(VALU_DEP_2) | instskip(NEXT) | instid1(VALU_DEP_1)
	v_and_b32_e32 v6, 0x7f, v3
	v_cmpx_ne_u32_e32 0x7f, v6
	s_cbranch_execz .LBB373_1401
; %bb.1398:                             ;   in Loop: Header=BB373_11 Depth=1
	v_and_b32_e32 v8, 7, v3
	v_mov_b32_e32 v33, v9
	v_lshrrev_b32_e32 v5, 3, v6
	s_mov_b32 s19, exec_lo
	s_delay_alu instid0(VALU_DEP_3)
	v_mov_b32_e32 v32, v8
	v_cmpx_gt_u32_e32 8, v6
; %bb.1399:                             ;   in Loop: Header=BB373_11 Depth=1
	v_clz_i32_u32_e32 v5, v8
	s_delay_alu instid0(VALU_DEP_1) | instskip(NEXT) | instid1(VALU_DEP_1)
	v_min_u32_e32 v5, 32, v5
	v_subrev_nc_u32_e32 v6, 28, v5
	v_sub_nc_u32_e32 v5, 29, v5
	s_delay_alu instid0(VALU_DEP_2) | instskip(NEXT) | instid1(VALU_DEP_1)
	v_lshlrev_b64 v[6:7], v6, v[8:9]
	v_and_b32_e32 v32, 7, v6
; %bb.1400:                             ;   in Loop: Header=BB373_11 Depth=1
	s_or_b32 exec_lo, exec_lo, s19
	v_lshlrev_b32_e32 v3, 8, v3
	v_lshl_add_u32 v5, v5, 10, 0x2000
	s_delay_alu instid0(VALU_DEP_1) | instskip(NEXT) | instid1(VALU_DEP_1)
	v_and_or_b32 v3, 0x8000, v3, v5
	v_lshl_or_b32 v3, v32, 7, v3
	s_delay_alu instid0(VALU_DEP_1)
	v_cvt_f32_f16_e32 v102, v3
.LBB373_1401:                           ;   in Loop: Header=BB373_11 Depth=1
	s_or_b32 exec_lo, exec_lo, s18
.LBB373_1402:                           ;   in Loop: Header=BB373_11 Depth=1
	s_delay_alu instid0(SALU_CYCLE_1)
	s_or_b32 exec_lo, exec_lo, s17
.LBB373_1403:                           ;   in Loop: Header=BB373_11 Depth=1
	s_delay_alu instid0(SALU_CYCLE_1) | instskip(SKIP_2) | instid1(VALU_DEP_1)
	s_or_b32 exec_lo, exec_lo, s15
	v_lshrrev_b32_e32 v3, 16, v31
	s_mov_b32 s15, exec_lo
	v_and_b32_e32 v5, 0xff, v3
	s_delay_alu instid0(VALU_DEP_1)
	v_cmpx_ne_u16_e32 0, v5
	s_cbranch_execz .LBB373_1411
; %bb.1404:                             ;   in Loop: Header=BB373_11 Depth=1
	v_bfrev_b32_e32 v101, 1
	s_mov_b32 s17, exec_lo
	v_cmpx_ne_u16_e32 0x80, v5
	s_cbranch_execz .LBB373_1410
; %bb.1405:                             ;   in Loop: Header=BB373_11 Depth=1
	v_bfe_u32 v6, v31, 16, 7
	v_mov_b32_e32 v101, 0x7fc02000
	s_mov_b32 s18, exec_lo
	s_delay_alu instid0(VALU_DEP_2)
	v_cmpx_ne_u32_e32 0x7f, v6
	s_cbranch_execz .LBB373_1409
; %bb.1406:                             ;   in Loop: Header=BB373_11 Depth=1
	v_and_b32_e32 v8, 7, v3
	v_mov_b32_e32 v33, v9
	v_lshrrev_b32_e32 v5, 3, v6
	s_mov_b32 s19, exec_lo
	s_delay_alu instid0(VALU_DEP_3)
	v_mov_b32_e32 v32, v8
	v_cmpx_gt_u32_e32 8, v6
; %bb.1407:                             ;   in Loop: Header=BB373_11 Depth=1
	v_clz_i32_u32_e32 v5, v8
	s_delay_alu instid0(VALU_DEP_1) | instskip(NEXT) | instid1(VALU_DEP_1)
	v_min_u32_e32 v5, 32, v5
	v_subrev_nc_u32_e32 v6, 28, v5
	v_sub_nc_u32_e32 v5, 29, v5
	s_delay_alu instid0(VALU_DEP_2) | instskip(NEXT) | instid1(VALU_DEP_1)
	v_lshlrev_b64 v[6:7], v6, v[8:9]
	v_and_b32_e32 v32, 7, v6
; %bb.1408:                             ;   in Loop: Header=BB373_11 Depth=1
	s_or_b32 exec_lo, exec_lo, s19
	v_lshlrev_b32_e32 v3, 8, v3
	v_lshl_add_u32 v5, v5, 10, 0x2000
	s_delay_alu instid0(VALU_DEP_1) | instskip(NEXT) | instid1(VALU_DEP_1)
	v_and_or_b32 v3, 0x8000, v3, v5
	v_lshl_or_b32 v3, v32, 7, v3
	s_delay_alu instid0(VALU_DEP_1)
	v_cvt_f32_f16_e32 v101, v3
.LBB373_1409:                           ;   in Loop: Header=BB373_11 Depth=1
	s_or_b32 exec_lo, exec_lo, s18
.LBB373_1410:                           ;   in Loop: Header=BB373_11 Depth=1
	s_delay_alu instid0(SALU_CYCLE_1)
	s_or_b32 exec_lo, exec_lo, s17
.LBB373_1411:                           ;   in Loop: Header=BB373_11 Depth=1
	s_delay_alu instid0(SALU_CYCLE_1)
	s_or_b32 exec_lo, exec_lo, s15
	v_dual_mov_b32 v187, 0 :: v_dual_mov_b32 v186, 0
	s_mov_b32 s15, exec_lo
	v_cmpx_lt_u64_e64 s[2:3], v[30:31]
	s_cbranch_execz .LBB373_1419
; %bb.1412:                             ;   in Loop: Header=BB373_11 Depth=1
	v_lshrrev_b32_e32 v3, 24, v31
	v_bfrev_b32_e32 v186, 1
	s_mov_b32 s17, exec_lo
	s_delay_alu instid0(VALU_DEP_2)
	v_cmpx_ne_u32_e32 0x80, v3
	s_cbranch_execz .LBB373_1418
; %bb.1413:                             ;   in Loop: Header=BB373_11 Depth=1
	v_and_b32_e32 v6, 0x7f, v3
	v_mov_b32_e32 v186, 0x7fc02000
	s_mov_b32 s18, exec_lo
	s_delay_alu instid0(VALU_DEP_2)
	v_cmpx_ne_u32_e32 0x7f, v6
	s_cbranch_execz .LBB373_1417
; %bb.1414:                             ;   in Loop: Header=BB373_11 Depth=1
	v_and_b32_e32 v8, 7, v3
	v_mov_b32_e32 v31, v9
	v_lshrrev_b32_e32 v5, 3, v6
	s_mov_b32 s19, exec_lo
	s_delay_alu instid0(VALU_DEP_3)
	v_mov_b32_e32 v30, v8
	v_cmpx_gt_u32_e32 8, v6
; %bb.1415:                             ;   in Loop: Header=BB373_11 Depth=1
	v_clz_i32_u32_e32 v5, v8
	s_delay_alu instid0(VALU_DEP_1) | instskip(NEXT) | instid1(VALU_DEP_1)
	v_min_u32_e32 v5, 32, v5
	v_subrev_nc_u32_e32 v6, 28, v5
	v_sub_nc_u32_e32 v5, 29, v5
	s_delay_alu instid0(VALU_DEP_2) | instskip(NEXT) | instid1(VALU_DEP_1)
	v_lshlrev_b64 v[6:7], v6, v[8:9]
	v_and_b32_e32 v30, 7, v6
; %bb.1416:                             ;   in Loop: Header=BB373_11 Depth=1
	s_or_b32 exec_lo, exec_lo, s19
	v_lshlrev_b32_e32 v3, 8, v3
	v_lshl_add_u32 v5, v5, 10, 0x2000
	s_delay_alu instid0(VALU_DEP_1) | instskip(NEXT) | instid1(VALU_DEP_1)
	v_and_or_b32 v3, 0x8000, v3, v5
	v_lshl_or_b32 v3, v30, 7, v3
	s_delay_alu instid0(VALU_DEP_1)
	v_cvt_f32_f16_e64 v186, v3
.LBB373_1417:                           ;   in Loop: Header=BB373_11 Depth=1
	s_or_b32 exec_lo, exec_lo, s18
.LBB373_1418:                           ;   in Loop: Header=BB373_11 Depth=1
	s_delay_alu instid0(SALU_CYCLE_1)
	s_or_b32 exec_lo, exec_lo, s17
.LBB373_1419:                           ;   in Loop: Header=BB373_11 Depth=1
	s_delay_alu instid0(SALU_CYCLE_1) | instskip(SKIP_4) | instid1(VALU_DEP_1)
	s_or_b32 exec_lo, exec_lo, s15
	flat_load_b64 v[30:31], v[28:29] offset:1536
	s_mov_b32 s15, exec_lo
	s_waitcnt vmcnt(0) lgkmcnt(0)
	v_and_b32_e32 v3, 0xff, v30
	v_cmpx_ne_u16_e32 0, v3
	s_cbranch_execz .LBB373_1427
; %bb.1420:                             ;   in Loop: Header=BB373_11 Depth=1
	v_bfrev_b32_e32 v187, 1
	s_mov_b32 s17, exec_lo
	v_cmpx_ne_u16_e32 0x80, v3
	s_cbranch_execz .LBB373_1426
; %bb.1421:                             ;   in Loop: Header=BB373_11 Depth=1
	v_and_b32_e32 v5, 0x7f, v30
	v_mov_b32_e32 v187, 0x7fc02000
	s_mov_b32 s18, exec_lo
	s_delay_alu instid0(VALU_DEP_2)
	v_cmpx_ne_u32_e32 0x7f, v5
	s_cbranch_execz .LBB373_1425
; %bb.1422:                             ;   in Loop: Header=BB373_11 Depth=1
	v_lshrrev_b32_e32 v3, 3, v5
	v_dual_mov_b32 v33, v31 :: v_dual_mov_b32 v32, v30
	s_mov_b32 s19, exec_lo
	v_cmpx_gt_u32_e32 8, v5
; %bb.1423:                             ;   in Loop: Header=BB373_11 Depth=1
	v_and_b32_e32 v3, 7, v30
	s_delay_alu instid0(VALU_DEP_1) | instskip(NEXT) | instid1(VALU_DEP_1)
	v_clz_i32_u32_e32 v3, v3
	v_min_u32_e32 v3, 32, v3
	s_delay_alu instid0(VALU_DEP_1) | instskip(SKIP_1) | instid1(VALU_DEP_2)
	v_subrev_nc_u32_e32 v5, 28, v3
	v_sub_nc_u32_e32 v3, 29, v3
	v_lshlrev_b64 v[32:33], v5, v[30:31]
; %bb.1424:                             ;   in Loop: Header=BB373_11 Depth=1
	s_or_b32 exec_lo, exec_lo, s19
	v_lshlrev_b32_e32 v5, 8, v30
	s_delay_alu instid0(VALU_DEP_3) | instskip(NEXT) | instid1(VALU_DEP_3)
	v_lshl_add_u32 v3, v3, 10, 0x2000
	v_lshlrev_b32_e32 v6, 7, v32
	s_delay_alu instid0(VALU_DEP_2) | instskip(NEXT) | instid1(VALU_DEP_1)
	v_and_or_b32 v3, 0x8000, v5, v3
	v_and_or_b32 v3, 0x380, v6, v3
	s_delay_alu instid0(VALU_DEP_1)
	v_cvt_f32_f16_e64 v187, v3
.LBB373_1425:                           ;   in Loop: Header=BB373_11 Depth=1
	s_or_b32 exec_lo, exec_lo, s18
.LBB373_1426:                           ;   in Loop: Header=BB373_11 Depth=1
	s_delay_alu instid0(SALU_CYCLE_1)
	s_or_b32 exec_lo, exec_lo, s17
.LBB373_1427:                           ;   in Loop: Header=BB373_11 Depth=1
	s_delay_alu instid0(SALU_CYCLE_1) | instskip(SKIP_3) | instid1(VALU_DEP_2)
	s_or_b32 exec_lo, exec_lo, s15
	v_lshrrev_b16 v3, 8, v30
	v_dual_mov_b32 v190, 0 :: v_dual_mov_b32 v73, 0
	s_mov_b32 s15, exec_lo
	v_cmpx_ne_u16_e32 0, v3
	s_cbranch_execz .LBB373_1435
; %bb.1428:                             ;   in Loop: Header=BB373_11 Depth=1
	v_bfrev_b32_e32 v73, 1
	s_mov_b32 s17, exec_lo
	v_cmpx_ne_u16_e32 0x80, v3
	s_cbranch_execz .LBB373_1434
; %bb.1429:                             ;   in Loop: Header=BB373_11 Depth=1
	v_and_b32_e32 v3, 0xffff, v3
	v_mov_b32_e32 v73, 0x7fc02000
	s_mov_b32 s18, exec_lo
	s_delay_alu instid0(VALU_DEP_2) | instskip(NEXT) | instid1(VALU_DEP_1)
	v_and_b32_e32 v6, 0x7f, v3
	v_cmpx_ne_u32_e32 0x7f, v6
	s_cbranch_execz .LBB373_1433
; %bb.1430:                             ;   in Loop: Header=BB373_11 Depth=1
	v_and_b32_e32 v8, 7, v3
	v_mov_b32_e32 v33, v9
	v_lshrrev_b32_e32 v5, 3, v6
	s_mov_b32 s19, exec_lo
	s_delay_alu instid0(VALU_DEP_3)
	v_mov_b32_e32 v32, v8
	v_cmpx_gt_u32_e32 8, v6
; %bb.1431:                             ;   in Loop: Header=BB373_11 Depth=1
	v_clz_i32_u32_e32 v5, v8
	s_delay_alu instid0(VALU_DEP_1) | instskip(NEXT) | instid1(VALU_DEP_1)
	v_min_u32_e32 v5, 32, v5
	v_subrev_nc_u32_e32 v6, 28, v5
	v_sub_nc_u32_e32 v5, 29, v5
	s_delay_alu instid0(VALU_DEP_2) | instskip(NEXT) | instid1(VALU_DEP_1)
	v_lshlrev_b64 v[6:7], v6, v[8:9]
	v_and_b32_e32 v32, 7, v6
; %bb.1432:                             ;   in Loop: Header=BB373_11 Depth=1
	s_or_b32 exec_lo, exec_lo, s19
	v_lshlrev_b32_e32 v3, 8, v3
	v_lshl_add_u32 v5, v5, 10, 0x2000
	s_delay_alu instid0(VALU_DEP_1) | instskip(NEXT) | instid1(VALU_DEP_1)
	v_and_or_b32 v3, 0x8000, v3, v5
	v_lshl_or_b32 v3, v32, 7, v3
	s_delay_alu instid0(VALU_DEP_1)
	v_cvt_f32_f16_e32 v73, v3
.LBB373_1433:                           ;   in Loop: Header=BB373_11 Depth=1
	s_or_b32 exec_lo, exec_lo, s18
.LBB373_1434:                           ;   in Loop: Header=BB373_11 Depth=1
	s_delay_alu instid0(SALU_CYCLE_1)
	s_or_b32 exec_lo, exec_lo, s17
.LBB373_1435:                           ;   in Loop: Header=BB373_11 Depth=1
	s_delay_alu instid0(SALU_CYCLE_1) | instskip(SKIP_2) | instid1(VALU_DEP_1)
	s_or_b32 exec_lo, exec_lo, s15
	v_lshrrev_b32_e32 v3, 16, v30
	s_mov_b32 s15, exec_lo
	v_and_b32_e32 v5, 0xff, v3
	s_delay_alu instid0(VALU_DEP_1)
	v_cmpx_ne_u16_e32 0, v5
	s_cbranch_execz .LBB373_1443
; %bb.1436:                             ;   in Loop: Header=BB373_11 Depth=1
	v_bfrev_b32_e32 v190, 1
	s_mov_b32 s17, exec_lo
	v_cmpx_ne_u16_e32 0x80, v5
	s_cbranch_execz .LBB373_1442
; %bb.1437:                             ;   in Loop: Header=BB373_11 Depth=1
	v_bfe_u32 v6, v30, 16, 7
	v_mov_b32_e32 v190, 0x7fc02000
	s_mov_b32 s18, exec_lo
	s_delay_alu instid0(VALU_DEP_2)
	v_cmpx_ne_u32_e32 0x7f, v6
	s_cbranch_execz .LBB373_1441
; %bb.1438:                             ;   in Loop: Header=BB373_11 Depth=1
	v_and_b32_e32 v8, 7, v3
	v_mov_b32_e32 v33, v9
	v_lshrrev_b32_e32 v5, 3, v6
	s_mov_b32 s19, exec_lo
	s_delay_alu instid0(VALU_DEP_3)
	v_mov_b32_e32 v32, v8
	v_cmpx_gt_u32_e32 8, v6
; %bb.1439:                             ;   in Loop: Header=BB373_11 Depth=1
	v_clz_i32_u32_e32 v5, v8
	s_delay_alu instid0(VALU_DEP_1) | instskip(NEXT) | instid1(VALU_DEP_1)
	v_min_u32_e32 v5, 32, v5
	v_subrev_nc_u32_e32 v6, 28, v5
	v_sub_nc_u32_e32 v5, 29, v5
	s_delay_alu instid0(VALU_DEP_2) | instskip(NEXT) | instid1(VALU_DEP_1)
	v_lshlrev_b64 v[6:7], v6, v[8:9]
	v_and_b32_e32 v32, 7, v6
; %bb.1440:                             ;   in Loop: Header=BB373_11 Depth=1
	s_or_b32 exec_lo, exec_lo, s19
	v_lshlrev_b32_e32 v3, 8, v3
	v_lshl_add_u32 v5, v5, 10, 0x2000
	s_delay_alu instid0(VALU_DEP_1) | instskip(NEXT) | instid1(VALU_DEP_1)
	v_and_or_b32 v3, 0x8000, v3, v5
	v_lshl_or_b32 v3, v32, 7, v3
	s_delay_alu instid0(VALU_DEP_1)
	v_cvt_f32_f16_e64 v190, v3
.LBB373_1441:                           ;   in Loop: Header=BB373_11 Depth=1
	s_or_b32 exec_lo, exec_lo, s18
.LBB373_1442:                           ;   in Loop: Header=BB373_11 Depth=1
	s_delay_alu instid0(SALU_CYCLE_1)
	s_or_b32 exec_lo, exec_lo, s17
.LBB373_1443:                           ;   in Loop: Header=BB373_11 Depth=1
	s_delay_alu instid0(SALU_CYCLE_1)
	s_or_b32 exec_lo, exec_lo, s15
	v_mov_b32_e32 v153, 0
	v_mov_b32_e32 v155, 0
	s_mov_b32 s15, exec_lo
	v_cmpx_lt_u32_e32 0xffffff, v30
	s_cbranch_execz .LBB373_1451
; %bb.1444:                             ;   in Loop: Header=BB373_11 Depth=1
	v_lshrrev_b32_e32 v3, 24, v30
	v_bfrev_b32_e32 v155, 1
	s_mov_b32 s17, exec_lo
	s_delay_alu instid0(VALU_DEP_2)
	v_cmpx_ne_u32_e32 0x80, v3
	s_cbranch_execz .LBB373_1450
; %bb.1445:                             ;   in Loop: Header=BB373_11 Depth=1
	v_and_b32_e32 v6, 0x7f, v3
	v_mov_b32_e32 v155, 0x7fc02000
	s_mov_b32 s18, exec_lo
	s_delay_alu instid0(VALU_DEP_2)
	v_cmpx_ne_u32_e32 0x7f, v6
	s_cbranch_execz .LBB373_1449
; %bb.1446:                             ;   in Loop: Header=BB373_11 Depth=1
	v_and_b32_e32 v8, 7, v3
	v_mov_b32_e32 v33, v9
	v_lshrrev_b32_e32 v5, 3, v6
	s_mov_b32 s19, exec_lo
	s_delay_alu instid0(VALU_DEP_3)
	v_mov_b32_e32 v32, v8
	v_cmpx_gt_u32_e32 8, v6
; %bb.1447:                             ;   in Loop: Header=BB373_11 Depth=1
	v_clz_i32_u32_e32 v5, v8
	s_delay_alu instid0(VALU_DEP_1) | instskip(NEXT) | instid1(VALU_DEP_1)
	v_min_u32_e32 v5, 32, v5
	v_subrev_nc_u32_e32 v6, 28, v5
	v_sub_nc_u32_e32 v5, 29, v5
	s_delay_alu instid0(VALU_DEP_2) | instskip(NEXT) | instid1(VALU_DEP_1)
	v_lshlrev_b64 v[6:7], v6, v[8:9]
	v_and_b32_e32 v32, 7, v6
; %bb.1448:                             ;   in Loop: Header=BB373_11 Depth=1
	s_or_b32 exec_lo, exec_lo, s19
	v_lshlrev_b32_e32 v3, 8, v3
	v_lshl_add_u32 v5, v5, 10, 0x2000
	s_delay_alu instid0(VALU_DEP_1) | instskip(NEXT) | instid1(VALU_DEP_1)
	v_and_or_b32 v3, 0x8000, v3, v5
	v_lshl_or_b32 v3, v32, 7, v3
	s_delay_alu instid0(VALU_DEP_1)
	v_cvt_f32_f16_e64 v155, v3
.LBB373_1449:                           ;   in Loop: Header=BB373_11 Depth=1
	s_or_b32 exec_lo, exec_lo, s18
.LBB373_1450:                           ;   in Loop: Header=BB373_11 Depth=1
	s_delay_alu instid0(SALU_CYCLE_1)
	s_or_b32 exec_lo, exec_lo, s17
.LBB373_1451:                           ;   in Loop: Header=BB373_11 Depth=1
	s_delay_alu instid0(SALU_CYCLE_1) | instskip(SKIP_2) | instid1(VALU_DEP_1)
	s_or_b32 exec_lo, exec_lo, s15
	v_dual_mov_b32 v8, v31 :: v_dual_and_b32 v3, 0xff, v31
	s_mov_b32 s15, exec_lo
	v_cmpx_ne_u16_e32 0, v3
	s_cbranch_execz .LBB373_1459
; %bb.1452:                             ;   in Loop: Header=BB373_11 Depth=1
	v_bfrev_b32_e32 v153, 1
	s_mov_b32 s17, exec_lo
	v_cmpx_ne_u16_e32 0x80, v3
	s_cbranch_execz .LBB373_1458
; %bb.1453:                             ;   in Loop: Header=BB373_11 Depth=1
	v_and_b32_e32 v5, 0x7f, v31
	v_mov_b32_e32 v153, 0x7fc02000
	s_mov_b32 s18, exec_lo
	s_delay_alu instid0(VALU_DEP_2)
	v_cmpx_ne_u32_e32 0x7f, v5
	s_cbranch_execz .LBB373_1457
; %bb.1454:                             ;   in Loop: Header=BB373_11 Depth=1
	v_dual_mov_b32 v33, v9 :: v_dual_mov_b32 v32, v8
	v_lshrrev_b32_e32 v3, 3, v5
	s_mov_b32 s19, exec_lo
	v_cmpx_gt_u32_e32 8, v5
; %bb.1455:                             ;   in Loop: Header=BB373_11 Depth=1
	v_and_b32_e32 v3, 7, v31
	s_delay_alu instid0(VALU_DEP_1) | instskip(NEXT) | instid1(VALU_DEP_1)
	v_clz_i32_u32_e32 v3, v3
	v_min_u32_e32 v3, 32, v3
	s_delay_alu instid0(VALU_DEP_1) | instskip(SKIP_1) | instid1(VALU_DEP_2)
	v_subrev_nc_u32_e32 v5, 28, v3
	v_sub_nc_u32_e32 v3, 29, v3
	v_lshlrev_b64 v[32:33], v5, v[8:9]
; %bb.1456:                             ;   in Loop: Header=BB373_11 Depth=1
	s_or_b32 exec_lo, exec_lo, s19
	v_lshlrev_b32_e32 v5, 8, v31
	s_delay_alu instid0(VALU_DEP_3) | instskip(NEXT) | instid1(VALU_DEP_3)
	v_lshl_add_u32 v3, v3, 10, 0x2000
	v_lshlrev_b32_e32 v6, 7, v32
	s_delay_alu instid0(VALU_DEP_2) | instskip(NEXT) | instid1(VALU_DEP_1)
	v_and_or_b32 v3, 0x8000, v5, v3
	v_and_or_b32 v3, 0x380, v6, v3
	s_delay_alu instid0(VALU_DEP_1)
	v_cvt_f32_f16_e64 v153, v3
.LBB373_1457:                           ;   in Loop: Header=BB373_11 Depth=1
	s_or_b32 exec_lo, exec_lo, s18
.LBB373_1458:                           ;   in Loop: Header=BB373_11 Depth=1
	s_delay_alu instid0(SALU_CYCLE_1)
	s_or_b32 exec_lo, exec_lo, s17
.LBB373_1459:                           ;   in Loop: Header=BB373_11 Depth=1
	s_delay_alu instid0(SALU_CYCLE_1) | instskip(SKIP_3) | instid1(VALU_DEP_2)
	s_or_b32 exec_lo, exec_lo, s15
	v_lshrrev_b16 v3, 8, v8
	v_dual_mov_b32 v182, 0 :: v_dual_mov_b32 v183, 0
	s_mov_b32 s15, exec_lo
	v_cmpx_ne_u16_e32 0, v3
	s_cbranch_execz .LBB373_1467
; %bb.1460:                             ;   in Loop: Header=BB373_11 Depth=1
	v_bfrev_b32_e32 v183, 1
	s_mov_b32 s17, exec_lo
	v_cmpx_ne_u16_e32 0x80, v3
	s_cbranch_execz .LBB373_1466
; %bb.1461:                             ;   in Loop: Header=BB373_11 Depth=1
	v_and_b32_e32 v3, 0xffff, v3
	v_mov_b32_e32 v183, 0x7fc02000
	s_mov_b32 s18, exec_lo
	s_delay_alu instid0(VALU_DEP_2) | instskip(NEXT) | instid1(VALU_DEP_1)
	v_and_b32_e32 v6, 0x7f, v3
	v_cmpx_ne_u32_e32 0x7f, v6
	s_cbranch_execz .LBB373_1465
; %bb.1462:                             ;   in Loop: Header=BB373_11 Depth=1
	v_and_b32_e32 v8, 7, v3
	v_mov_b32_e32 v33, v9
	v_lshrrev_b32_e32 v5, 3, v6
	s_mov_b32 s19, exec_lo
	s_delay_alu instid0(VALU_DEP_3)
	v_mov_b32_e32 v32, v8
	v_cmpx_gt_u32_e32 8, v6
; %bb.1463:                             ;   in Loop: Header=BB373_11 Depth=1
	v_clz_i32_u32_e32 v5, v8
	s_delay_alu instid0(VALU_DEP_1) | instskip(NEXT) | instid1(VALU_DEP_1)
	v_min_u32_e32 v5, 32, v5
	v_subrev_nc_u32_e32 v6, 28, v5
	v_sub_nc_u32_e32 v5, 29, v5
	s_delay_alu instid0(VALU_DEP_2) | instskip(NEXT) | instid1(VALU_DEP_1)
	v_lshlrev_b64 v[6:7], v6, v[8:9]
	v_and_b32_e32 v32, 7, v6
; %bb.1464:                             ;   in Loop: Header=BB373_11 Depth=1
	s_or_b32 exec_lo, exec_lo, s19
	v_lshlrev_b32_e32 v3, 8, v3
	v_lshl_add_u32 v5, v5, 10, 0x2000
	s_delay_alu instid0(VALU_DEP_1) | instskip(NEXT) | instid1(VALU_DEP_1)
	v_and_or_b32 v3, 0x8000, v3, v5
	v_lshl_or_b32 v3, v32, 7, v3
	s_delay_alu instid0(VALU_DEP_1)
	v_cvt_f32_f16_e64 v183, v3
.LBB373_1465:                           ;   in Loop: Header=BB373_11 Depth=1
	s_or_b32 exec_lo, exec_lo, s18
.LBB373_1466:                           ;   in Loop: Header=BB373_11 Depth=1
	s_delay_alu instid0(SALU_CYCLE_1)
	s_or_b32 exec_lo, exec_lo, s17
.LBB373_1467:                           ;   in Loop: Header=BB373_11 Depth=1
	s_delay_alu instid0(SALU_CYCLE_1) | instskip(SKIP_2) | instid1(VALU_DEP_1)
	s_or_b32 exec_lo, exec_lo, s15
	v_lshrrev_b32_e32 v3, 16, v31
	s_mov_b32 s15, exec_lo
	v_and_b32_e32 v5, 0xff, v3
	s_delay_alu instid0(VALU_DEP_1)
	v_cmpx_ne_u16_e32 0, v5
	s_cbranch_execz .LBB373_1475
; %bb.1468:                             ;   in Loop: Header=BB373_11 Depth=1
	v_bfrev_b32_e32 v182, 1
	s_mov_b32 s17, exec_lo
	v_cmpx_ne_u16_e32 0x80, v5
	s_cbranch_execz .LBB373_1474
; %bb.1469:                             ;   in Loop: Header=BB373_11 Depth=1
	v_bfe_u32 v6, v31, 16, 7
	v_mov_b32_e32 v182, 0x7fc02000
	s_mov_b32 s18, exec_lo
	s_delay_alu instid0(VALU_DEP_2)
	v_cmpx_ne_u32_e32 0x7f, v6
	s_cbranch_execz .LBB373_1473
; %bb.1470:                             ;   in Loop: Header=BB373_11 Depth=1
	v_and_b32_e32 v8, 7, v3
	v_mov_b32_e32 v33, v9
	v_lshrrev_b32_e32 v5, 3, v6
	s_mov_b32 s19, exec_lo
	s_delay_alu instid0(VALU_DEP_3)
	v_mov_b32_e32 v32, v8
	v_cmpx_gt_u32_e32 8, v6
; %bb.1471:                             ;   in Loop: Header=BB373_11 Depth=1
	v_clz_i32_u32_e32 v5, v8
	s_delay_alu instid0(VALU_DEP_1) | instskip(NEXT) | instid1(VALU_DEP_1)
	v_min_u32_e32 v5, 32, v5
	v_subrev_nc_u32_e32 v6, 28, v5
	v_sub_nc_u32_e32 v5, 29, v5
	s_delay_alu instid0(VALU_DEP_2) | instskip(NEXT) | instid1(VALU_DEP_1)
	v_lshlrev_b64 v[6:7], v6, v[8:9]
	v_and_b32_e32 v32, 7, v6
; %bb.1472:                             ;   in Loop: Header=BB373_11 Depth=1
	s_or_b32 exec_lo, exec_lo, s19
	v_lshlrev_b32_e32 v3, 8, v3
	v_lshl_add_u32 v5, v5, 10, 0x2000
	s_delay_alu instid0(VALU_DEP_1) | instskip(NEXT) | instid1(VALU_DEP_1)
	v_and_or_b32 v3, 0x8000, v3, v5
	v_lshl_or_b32 v3, v32, 7, v3
	s_delay_alu instid0(VALU_DEP_1)
	v_cvt_f32_f16_e64 v182, v3
.LBB373_1473:                           ;   in Loop: Header=BB373_11 Depth=1
	s_or_b32 exec_lo, exec_lo, s18
.LBB373_1474:                           ;   in Loop: Header=BB373_11 Depth=1
	s_delay_alu instid0(SALU_CYCLE_1)
	s_or_b32 exec_lo, exec_lo, s17
.LBB373_1475:                           ;   in Loop: Header=BB373_11 Depth=1
	s_delay_alu instid0(SALU_CYCLE_1)
	s_or_b32 exec_lo, exec_lo, s15
	v_dual_mov_b32 v27, 0 :: v_dual_mov_b32 v42, 0
	s_mov_b32 s15, exec_lo
	v_cmpx_lt_u64_e64 s[2:3], v[30:31]
	s_cbranch_execz .LBB373_1483
; %bb.1476:                             ;   in Loop: Header=BB373_11 Depth=1
	v_lshrrev_b32_e32 v3, 24, v31
	v_bfrev_b32_e32 v42, 1
	s_mov_b32 s17, exec_lo
	s_delay_alu instid0(VALU_DEP_2)
	v_cmpx_ne_u32_e32 0x80, v3
	s_cbranch_execz .LBB373_1482
; %bb.1477:                             ;   in Loop: Header=BB373_11 Depth=1
	v_and_b32_e32 v6, 0x7f, v3
	v_mov_b32_e32 v42, 0x7fc02000
	s_mov_b32 s18, exec_lo
	s_delay_alu instid0(VALU_DEP_2)
	v_cmpx_ne_u32_e32 0x7f, v6
	s_cbranch_execz .LBB373_1481
; %bb.1478:                             ;   in Loop: Header=BB373_11 Depth=1
	v_and_b32_e32 v8, 7, v3
	v_mov_b32_e32 v31, v9
	v_lshrrev_b32_e32 v5, 3, v6
	s_mov_b32 s19, exec_lo
	s_delay_alu instid0(VALU_DEP_3)
	v_mov_b32_e32 v30, v8
	v_cmpx_gt_u32_e32 8, v6
; %bb.1479:                             ;   in Loop: Header=BB373_11 Depth=1
	v_clz_i32_u32_e32 v5, v8
	s_delay_alu instid0(VALU_DEP_1) | instskip(NEXT) | instid1(VALU_DEP_1)
	v_min_u32_e32 v5, 32, v5
	v_subrev_nc_u32_e32 v6, 28, v5
	v_sub_nc_u32_e32 v5, 29, v5
	s_delay_alu instid0(VALU_DEP_2) | instskip(NEXT) | instid1(VALU_DEP_1)
	v_lshlrev_b64 v[6:7], v6, v[8:9]
	v_and_b32_e32 v30, 7, v6
; %bb.1480:                             ;   in Loop: Header=BB373_11 Depth=1
	s_or_b32 exec_lo, exec_lo, s19
	v_lshlrev_b32_e32 v3, 8, v3
	v_lshl_add_u32 v5, v5, 10, 0x2000
	s_delay_alu instid0(VALU_DEP_1) | instskip(NEXT) | instid1(VALU_DEP_1)
	v_and_or_b32 v3, 0x8000, v3, v5
	v_lshl_or_b32 v3, v30, 7, v3
	s_delay_alu instid0(VALU_DEP_1)
	v_cvt_f32_f16_e32 v42, v3
.LBB373_1481:                           ;   in Loop: Header=BB373_11 Depth=1
	s_or_b32 exec_lo, exec_lo, s18
.LBB373_1482:                           ;   in Loop: Header=BB373_11 Depth=1
	s_delay_alu instid0(SALU_CYCLE_1)
	s_or_b32 exec_lo, exec_lo, s17
.LBB373_1483:                           ;   in Loop: Header=BB373_11 Depth=1
	s_delay_alu instid0(SALU_CYCLE_1) | instskip(SKIP_4) | instid1(VALU_DEP_1)
	s_or_b32 exec_lo, exec_lo, s15
	flat_load_b64 v[30:31], v[28:29] offset:1544
	s_mov_b32 s15, exec_lo
	s_waitcnt vmcnt(0) lgkmcnt(0)
	v_and_b32_e32 v3, 0xff, v30
	v_cmpx_ne_u16_e32 0, v3
	s_cbranch_execz .LBB373_1491
; %bb.1484:                             ;   in Loop: Header=BB373_11 Depth=1
	v_bfrev_b32_e32 v27, 1
	s_mov_b32 s17, exec_lo
	v_cmpx_ne_u16_e32 0x80, v3
	s_cbranch_execz .LBB373_1490
; %bb.1485:                             ;   in Loop: Header=BB373_11 Depth=1
	v_and_b32_e32 v5, 0x7f, v30
	v_mov_b32_e32 v27, 0x7fc02000
	s_mov_b32 s18, exec_lo
	s_delay_alu instid0(VALU_DEP_2)
	v_cmpx_ne_u32_e32 0x7f, v5
	s_cbranch_execz .LBB373_1489
; %bb.1486:                             ;   in Loop: Header=BB373_11 Depth=1
	v_lshrrev_b32_e32 v3, 3, v5
	v_dual_mov_b32 v33, v31 :: v_dual_mov_b32 v32, v30
	s_mov_b32 s19, exec_lo
	v_cmpx_gt_u32_e32 8, v5
; %bb.1487:                             ;   in Loop: Header=BB373_11 Depth=1
	v_and_b32_e32 v3, 7, v30
	s_delay_alu instid0(VALU_DEP_1) | instskip(NEXT) | instid1(VALU_DEP_1)
	v_clz_i32_u32_e32 v3, v3
	v_min_u32_e32 v3, 32, v3
	s_delay_alu instid0(VALU_DEP_1) | instskip(SKIP_1) | instid1(VALU_DEP_2)
	v_subrev_nc_u32_e32 v5, 28, v3
	v_sub_nc_u32_e32 v3, 29, v3
	v_lshlrev_b64 v[32:33], v5, v[30:31]
; %bb.1488:                             ;   in Loop: Header=BB373_11 Depth=1
	s_or_b32 exec_lo, exec_lo, s19
	v_lshlrev_b32_e32 v5, 8, v30
	s_delay_alu instid0(VALU_DEP_3) | instskip(NEXT) | instid1(VALU_DEP_3)
	v_lshl_add_u32 v3, v3, 10, 0x2000
	v_lshlrev_b32_e32 v6, 7, v32
	s_delay_alu instid0(VALU_DEP_2) | instskip(NEXT) | instid1(VALU_DEP_1)
	v_and_or_b32 v3, 0x8000, v5, v3
	v_and_or_b32 v3, 0x380, v6, v3
	s_delay_alu instid0(VALU_DEP_1)
	v_cvt_f32_f16_e32 v27, v3
.LBB373_1489:                           ;   in Loop: Header=BB373_11 Depth=1
	s_or_b32 exec_lo, exec_lo, s18
.LBB373_1490:                           ;   in Loop: Header=BB373_11 Depth=1
	s_delay_alu instid0(SALU_CYCLE_1)
	s_or_b32 exec_lo, exec_lo, s17
.LBB373_1491:                           ;   in Loop: Header=BB373_11 Depth=1
	s_delay_alu instid0(SALU_CYCLE_1) | instskip(SKIP_3) | instid1(VALU_DEP_2)
	s_or_b32 exec_lo, exec_lo, s15
	v_lshrrev_b16 v3, 8, v30
	v_dual_mov_b32 v177, 0 :: v_dual_mov_b32 v178, 0
	s_mov_b32 s15, exec_lo
	v_cmpx_ne_u16_e32 0, v3
	s_cbranch_execz .LBB373_1499
; %bb.1492:                             ;   in Loop: Header=BB373_11 Depth=1
	v_bfrev_b32_e32 v178, 1
	s_mov_b32 s17, exec_lo
	v_cmpx_ne_u16_e32 0x80, v3
	s_cbranch_execz .LBB373_1498
; %bb.1493:                             ;   in Loop: Header=BB373_11 Depth=1
	v_and_b32_e32 v3, 0xffff, v3
	v_mov_b32_e32 v178, 0x7fc02000
	s_mov_b32 s18, exec_lo
	s_delay_alu instid0(VALU_DEP_2) | instskip(NEXT) | instid1(VALU_DEP_1)
	v_and_b32_e32 v6, 0x7f, v3
	v_cmpx_ne_u32_e32 0x7f, v6
	s_cbranch_execz .LBB373_1497
; %bb.1494:                             ;   in Loop: Header=BB373_11 Depth=1
	v_and_b32_e32 v8, 7, v3
	v_mov_b32_e32 v33, v9
	v_lshrrev_b32_e32 v5, 3, v6
	s_mov_b32 s19, exec_lo
	s_delay_alu instid0(VALU_DEP_3)
	v_mov_b32_e32 v32, v8
	v_cmpx_gt_u32_e32 8, v6
; %bb.1495:                             ;   in Loop: Header=BB373_11 Depth=1
	v_clz_i32_u32_e32 v5, v8
	s_delay_alu instid0(VALU_DEP_1) | instskip(NEXT) | instid1(VALU_DEP_1)
	v_min_u32_e32 v5, 32, v5
	v_subrev_nc_u32_e32 v6, 28, v5
	v_sub_nc_u32_e32 v5, 29, v5
	s_delay_alu instid0(VALU_DEP_2) | instskip(NEXT) | instid1(VALU_DEP_1)
	v_lshlrev_b64 v[6:7], v6, v[8:9]
	v_and_b32_e32 v32, 7, v6
; %bb.1496:                             ;   in Loop: Header=BB373_11 Depth=1
	s_or_b32 exec_lo, exec_lo, s19
	v_lshlrev_b32_e32 v3, 8, v3
	v_lshl_add_u32 v5, v5, 10, 0x2000
	s_delay_alu instid0(VALU_DEP_1) | instskip(NEXT) | instid1(VALU_DEP_1)
	v_and_or_b32 v3, 0x8000, v3, v5
	v_lshl_or_b32 v3, v32, 7, v3
	s_delay_alu instid0(VALU_DEP_1)
	v_cvt_f32_f16_e64 v178, v3
.LBB373_1497:                           ;   in Loop: Header=BB373_11 Depth=1
	s_or_b32 exec_lo, exec_lo, s18
.LBB373_1498:                           ;   in Loop: Header=BB373_11 Depth=1
	s_delay_alu instid0(SALU_CYCLE_1)
	s_or_b32 exec_lo, exec_lo, s17
.LBB373_1499:                           ;   in Loop: Header=BB373_11 Depth=1
	s_delay_alu instid0(SALU_CYCLE_1) | instskip(SKIP_2) | instid1(VALU_DEP_1)
	s_or_b32 exec_lo, exec_lo, s15
	v_lshrrev_b32_e32 v3, 16, v30
	s_mov_b32 s15, exec_lo
	v_and_b32_e32 v5, 0xff, v3
	s_delay_alu instid0(VALU_DEP_1)
	v_cmpx_ne_u16_e32 0, v5
	s_cbranch_execz .LBB373_1507
; %bb.1500:                             ;   in Loop: Header=BB373_11 Depth=1
	v_bfrev_b32_e32 v177, 1
	s_mov_b32 s17, exec_lo
	v_cmpx_ne_u16_e32 0x80, v5
	s_cbranch_execz .LBB373_1506
; %bb.1501:                             ;   in Loop: Header=BB373_11 Depth=1
	v_bfe_u32 v6, v30, 16, 7
	v_mov_b32_e32 v177, 0x7fc02000
	s_mov_b32 s18, exec_lo
	s_delay_alu instid0(VALU_DEP_2)
	v_cmpx_ne_u32_e32 0x7f, v6
	s_cbranch_execz .LBB373_1505
; %bb.1502:                             ;   in Loop: Header=BB373_11 Depth=1
	v_and_b32_e32 v8, 7, v3
	v_mov_b32_e32 v33, v9
	v_lshrrev_b32_e32 v5, 3, v6
	s_mov_b32 s19, exec_lo
	s_delay_alu instid0(VALU_DEP_3)
	v_mov_b32_e32 v32, v8
	v_cmpx_gt_u32_e32 8, v6
; %bb.1503:                             ;   in Loop: Header=BB373_11 Depth=1
	v_clz_i32_u32_e32 v5, v8
	s_delay_alu instid0(VALU_DEP_1) | instskip(NEXT) | instid1(VALU_DEP_1)
	v_min_u32_e32 v5, 32, v5
	v_subrev_nc_u32_e32 v6, 28, v5
	v_sub_nc_u32_e32 v5, 29, v5
	s_delay_alu instid0(VALU_DEP_2) | instskip(NEXT) | instid1(VALU_DEP_1)
	v_lshlrev_b64 v[6:7], v6, v[8:9]
	v_and_b32_e32 v32, 7, v6
; %bb.1504:                             ;   in Loop: Header=BB373_11 Depth=1
	s_or_b32 exec_lo, exec_lo, s19
	v_lshlrev_b32_e32 v3, 8, v3
	v_lshl_add_u32 v5, v5, 10, 0x2000
	s_delay_alu instid0(VALU_DEP_1) | instskip(NEXT) | instid1(VALU_DEP_1)
	v_and_or_b32 v3, 0x8000, v3, v5
	v_lshl_or_b32 v3, v32, 7, v3
	s_delay_alu instid0(VALU_DEP_1)
	v_cvt_f32_f16_e64 v177, v3
.LBB373_1505:                           ;   in Loop: Header=BB373_11 Depth=1
	s_or_b32 exec_lo, exec_lo, s18
.LBB373_1506:                           ;   in Loop: Header=BB373_11 Depth=1
	s_delay_alu instid0(SALU_CYCLE_1)
	s_or_b32 exec_lo, exec_lo, s17
.LBB373_1507:                           ;   in Loop: Header=BB373_11 Depth=1
	s_delay_alu instid0(SALU_CYCLE_1)
	s_or_b32 exec_lo, exec_lo, s15
	v_dual_mov_b32 v179, 0 :: v_dual_mov_b32 v180, 0
	s_mov_b32 s15, exec_lo
	v_cmpx_lt_u32_e32 0xffffff, v30
	s_cbranch_execz .LBB373_1515
; %bb.1508:                             ;   in Loop: Header=BB373_11 Depth=1
	v_lshrrev_b32_e32 v3, 24, v30
	v_bfrev_b32_e32 v180, 1
	s_mov_b32 s17, exec_lo
	s_delay_alu instid0(VALU_DEP_2)
	v_cmpx_ne_u32_e32 0x80, v3
	s_cbranch_execz .LBB373_1514
; %bb.1509:                             ;   in Loop: Header=BB373_11 Depth=1
	v_and_b32_e32 v6, 0x7f, v3
	v_mov_b32_e32 v180, 0x7fc02000
	s_mov_b32 s18, exec_lo
	s_delay_alu instid0(VALU_DEP_2)
	v_cmpx_ne_u32_e32 0x7f, v6
	s_cbranch_execz .LBB373_1513
; %bb.1510:                             ;   in Loop: Header=BB373_11 Depth=1
	v_and_b32_e32 v8, 7, v3
	v_mov_b32_e32 v33, v9
	v_lshrrev_b32_e32 v5, 3, v6
	s_mov_b32 s19, exec_lo
	s_delay_alu instid0(VALU_DEP_3)
	v_mov_b32_e32 v32, v8
	v_cmpx_gt_u32_e32 8, v6
; %bb.1511:                             ;   in Loop: Header=BB373_11 Depth=1
	v_clz_i32_u32_e32 v5, v8
	s_delay_alu instid0(VALU_DEP_1) | instskip(NEXT) | instid1(VALU_DEP_1)
	v_min_u32_e32 v5, 32, v5
	v_subrev_nc_u32_e32 v6, 28, v5
	v_sub_nc_u32_e32 v5, 29, v5
	s_delay_alu instid0(VALU_DEP_2) | instskip(NEXT) | instid1(VALU_DEP_1)
	v_lshlrev_b64 v[6:7], v6, v[8:9]
	v_and_b32_e32 v32, 7, v6
; %bb.1512:                             ;   in Loop: Header=BB373_11 Depth=1
	s_or_b32 exec_lo, exec_lo, s19
	v_lshlrev_b32_e32 v3, 8, v3
	v_lshl_add_u32 v5, v5, 10, 0x2000
	s_delay_alu instid0(VALU_DEP_1) | instskip(NEXT) | instid1(VALU_DEP_1)
	v_and_or_b32 v3, 0x8000, v3, v5
	v_lshl_or_b32 v3, v32, 7, v3
	s_delay_alu instid0(VALU_DEP_1)
	v_cvt_f32_f16_e64 v180, v3
.LBB373_1513:                           ;   in Loop: Header=BB373_11 Depth=1
	s_or_b32 exec_lo, exec_lo, s18
.LBB373_1514:                           ;   in Loop: Header=BB373_11 Depth=1
	s_delay_alu instid0(SALU_CYCLE_1)
	s_or_b32 exec_lo, exec_lo, s17
.LBB373_1515:                           ;   in Loop: Header=BB373_11 Depth=1
	s_delay_alu instid0(SALU_CYCLE_1) | instskip(SKIP_2) | instid1(VALU_DEP_1)
	s_or_b32 exec_lo, exec_lo, s15
	v_dual_mov_b32 v8, v31 :: v_dual_and_b32 v3, 0xff, v31
	s_mov_b32 s15, exec_lo
	v_cmpx_ne_u16_e32 0, v3
	s_cbranch_execz .LBB373_1523
; %bb.1516:                             ;   in Loop: Header=BB373_11 Depth=1
	v_bfrev_b32_e32 v179, 1
	s_mov_b32 s17, exec_lo
	v_cmpx_ne_u16_e32 0x80, v3
	s_cbranch_execz .LBB373_1522
; %bb.1517:                             ;   in Loop: Header=BB373_11 Depth=1
	v_and_b32_e32 v5, 0x7f, v31
	v_mov_b32_e32 v179, 0x7fc02000
	s_mov_b32 s18, exec_lo
	s_delay_alu instid0(VALU_DEP_2)
	v_cmpx_ne_u32_e32 0x7f, v5
	s_cbranch_execz .LBB373_1521
; %bb.1518:                             ;   in Loop: Header=BB373_11 Depth=1
	v_dual_mov_b32 v33, v9 :: v_dual_mov_b32 v32, v8
	v_lshrrev_b32_e32 v3, 3, v5
	s_mov_b32 s19, exec_lo
	v_cmpx_gt_u32_e32 8, v5
; %bb.1519:                             ;   in Loop: Header=BB373_11 Depth=1
	v_and_b32_e32 v3, 7, v31
	s_delay_alu instid0(VALU_DEP_1) | instskip(NEXT) | instid1(VALU_DEP_1)
	v_clz_i32_u32_e32 v3, v3
	v_min_u32_e32 v3, 32, v3
	s_delay_alu instid0(VALU_DEP_1) | instskip(SKIP_1) | instid1(VALU_DEP_2)
	v_subrev_nc_u32_e32 v5, 28, v3
	v_sub_nc_u32_e32 v3, 29, v3
	v_lshlrev_b64 v[32:33], v5, v[8:9]
; %bb.1520:                             ;   in Loop: Header=BB373_11 Depth=1
	s_or_b32 exec_lo, exec_lo, s19
	v_lshlrev_b32_e32 v5, 8, v31
	s_delay_alu instid0(VALU_DEP_3) | instskip(NEXT) | instid1(VALU_DEP_3)
	v_lshl_add_u32 v3, v3, 10, 0x2000
	v_lshlrev_b32_e32 v6, 7, v32
	s_delay_alu instid0(VALU_DEP_2) | instskip(NEXT) | instid1(VALU_DEP_1)
	v_and_or_b32 v3, 0x8000, v5, v3
	v_and_or_b32 v3, 0x380, v6, v3
	s_delay_alu instid0(VALU_DEP_1)
	v_cvt_f32_f16_e64 v179, v3
.LBB373_1521:                           ;   in Loop: Header=BB373_11 Depth=1
	s_or_b32 exec_lo, exec_lo, s18
.LBB373_1522:                           ;   in Loop: Header=BB373_11 Depth=1
	s_delay_alu instid0(SALU_CYCLE_1)
	s_or_b32 exec_lo, exec_lo, s17
.LBB373_1523:                           ;   in Loop: Header=BB373_11 Depth=1
	s_delay_alu instid0(SALU_CYCLE_1) | instskip(SKIP_3) | instid1(VALU_DEP_2)
	s_or_b32 exec_lo, exec_lo, s15
	v_lshrrev_b16 v3, 8, v8
	v_dual_mov_b32 v43, 0 :: v_dual_mov_b32 v44, 0
	s_mov_b32 s15, exec_lo
	v_cmpx_ne_u16_e32 0, v3
	s_cbranch_execz .LBB373_1531
; %bb.1524:                             ;   in Loop: Header=BB373_11 Depth=1
	v_bfrev_b32_e32 v44, 1
	s_mov_b32 s17, exec_lo
	v_cmpx_ne_u16_e32 0x80, v3
	s_cbranch_execz .LBB373_1530
; %bb.1525:                             ;   in Loop: Header=BB373_11 Depth=1
	v_and_b32_e32 v3, 0xffff, v3
	v_mov_b32_e32 v44, 0x7fc02000
	s_mov_b32 s18, exec_lo
	s_delay_alu instid0(VALU_DEP_2) | instskip(NEXT) | instid1(VALU_DEP_1)
	v_and_b32_e32 v6, 0x7f, v3
	v_cmpx_ne_u32_e32 0x7f, v6
	s_cbranch_execz .LBB373_1529
; %bb.1526:                             ;   in Loop: Header=BB373_11 Depth=1
	v_and_b32_e32 v8, 7, v3
	v_mov_b32_e32 v33, v9
	v_lshrrev_b32_e32 v5, 3, v6
	s_mov_b32 s19, exec_lo
	s_delay_alu instid0(VALU_DEP_3)
	v_mov_b32_e32 v32, v8
	v_cmpx_gt_u32_e32 8, v6
; %bb.1527:                             ;   in Loop: Header=BB373_11 Depth=1
	v_clz_i32_u32_e32 v5, v8
	s_delay_alu instid0(VALU_DEP_1) | instskip(NEXT) | instid1(VALU_DEP_1)
	v_min_u32_e32 v5, 32, v5
	v_subrev_nc_u32_e32 v6, 28, v5
	v_sub_nc_u32_e32 v5, 29, v5
	s_delay_alu instid0(VALU_DEP_2) | instskip(NEXT) | instid1(VALU_DEP_1)
	v_lshlrev_b64 v[6:7], v6, v[8:9]
	v_and_b32_e32 v32, 7, v6
; %bb.1528:                             ;   in Loop: Header=BB373_11 Depth=1
	s_or_b32 exec_lo, exec_lo, s19
	v_lshlrev_b32_e32 v3, 8, v3
	v_lshl_add_u32 v5, v5, 10, 0x2000
	s_delay_alu instid0(VALU_DEP_1) | instskip(NEXT) | instid1(VALU_DEP_1)
	v_and_or_b32 v3, 0x8000, v3, v5
	v_lshl_or_b32 v3, v32, 7, v3
	s_delay_alu instid0(VALU_DEP_1)
	v_cvt_f32_f16_e32 v44, v3
.LBB373_1529:                           ;   in Loop: Header=BB373_11 Depth=1
	s_or_b32 exec_lo, exec_lo, s18
.LBB373_1530:                           ;   in Loop: Header=BB373_11 Depth=1
	s_delay_alu instid0(SALU_CYCLE_1)
	s_or_b32 exec_lo, exec_lo, s17
.LBB373_1531:                           ;   in Loop: Header=BB373_11 Depth=1
	s_delay_alu instid0(SALU_CYCLE_1) | instskip(SKIP_2) | instid1(VALU_DEP_1)
	s_or_b32 exec_lo, exec_lo, s15
	v_lshrrev_b32_e32 v3, 16, v31
	s_mov_b32 s15, exec_lo
	v_and_b32_e32 v5, 0xff, v3
	s_delay_alu instid0(VALU_DEP_1)
	v_cmpx_ne_u16_e32 0, v5
	s_cbranch_execz .LBB373_1539
; %bb.1532:                             ;   in Loop: Header=BB373_11 Depth=1
	v_bfrev_b32_e32 v43, 1
	s_mov_b32 s17, exec_lo
	v_cmpx_ne_u16_e32 0x80, v5
	s_cbranch_execz .LBB373_1538
; %bb.1533:                             ;   in Loop: Header=BB373_11 Depth=1
	v_bfe_u32 v6, v31, 16, 7
	v_mov_b32_e32 v43, 0x7fc02000
	s_mov_b32 s18, exec_lo
	s_delay_alu instid0(VALU_DEP_2)
	v_cmpx_ne_u32_e32 0x7f, v6
	s_cbranch_execz .LBB373_1537
; %bb.1534:                             ;   in Loop: Header=BB373_11 Depth=1
	v_and_b32_e32 v8, 7, v3
	v_mov_b32_e32 v33, v9
	v_lshrrev_b32_e32 v5, 3, v6
	s_mov_b32 s19, exec_lo
	s_delay_alu instid0(VALU_DEP_3)
	v_mov_b32_e32 v32, v8
	v_cmpx_gt_u32_e32 8, v6
; %bb.1535:                             ;   in Loop: Header=BB373_11 Depth=1
	v_clz_i32_u32_e32 v5, v8
	s_delay_alu instid0(VALU_DEP_1) | instskip(NEXT) | instid1(VALU_DEP_1)
	v_min_u32_e32 v5, 32, v5
	v_subrev_nc_u32_e32 v6, 28, v5
	v_sub_nc_u32_e32 v5, 29, v5
	s_delay_alu instid0(VALU_DEP_2) | instskip(NEXT) | instid1(VALU_DEP_1)
	v_lshlrev_b64 v[6:7], v6, v[8:9]
	v_and_b32_e32 v32, 7, v6
; %bb.1536:                             ;   in Loop: Header=BB373_11 Depth=1
	s_or_b32 exec_lo, exec_lo, s19
	v_lshlrev_b32_e32 v3, 8, v3
	v_lshl_add_u32 v5, v5, 10, 0x2000
	s_delay_alu instid0(VALU_DEP_1) | instskip(NEXT) | instid1(VALU_DEP_1)
	v_and_or_b32 v3, 0x8000, v3, v5
	v_lshl_or_b32 v3, v32, 7, v3
	s_delay_alu instid0(VALU_DEP_1)
	v_cvt_f32_f16_e32 v43, v3
.LBB373_1537:                           ;   in Loop: Header=BB373_11 Depth=1
	s_or_b32 exec_lo, exec_lo, s18
.LBB373_1538:                           ;   in Loop: Header=BB373_11 Depth=1
	s_delay_alu instid0(SALU_CYCLE_1)
	s_or_b32 exec_lo, exec_lo, s17
.LBB373_1539:                           ;   in Loop: Header=BB373_11 Depth=1
	s_delay_alu instid0(SALU_CYCLE_1)
	s_or_b32 exec_lo, exec_lo, s15
	v_dual_mov_b32 v148, 0 :: v_dual_mov_b32 v45, 0
	s_mov_b32 s15, exec_lo
	v_cmpx_lt_u64_e64 s[2:3], v[30:31]
	s_cbranch_execz .LBB373_1547
; %bb.1540:                             ;   in Loop: Header=BB373_11 Depth=1
	v_lshrrev_b32_e32 v3, 24, v31
	v_bfrev_b32_e32 v45, 1
	s_mov_b32 s17, exec_lo
	s_delay_alu instid0(VALU_DEP_2)
	v_cmpx_ne_u32_e32 0x80, v3
	s_cbranch_execz .LBB373_1546
; %bb.1541:                             ;   in Loop: Header=BB373_11 Depth=1
	v_and_b32_e32 v6, 0x7f, v3
	v_mov_b32_e32 v45, 0x7fc02000
	s_mov_b32 s18, exec_lo
	s_delay_alu instid0(VALU_DEP_2)
	v_cmpx_ne_u32_e32 0x7f, v6
	s_cbranch_execz .LBB373_1545
; %bb.1542:                             ;   in Loop: Header=BB373_11 Depth=1
	v_and_b32_e32 v8, 7, v3
	v_mov_b32_e32 v31, v9
	v_lshrrev_b32_e32 v5, 3, v6
	s_mov_b32 s19, exec_lo
	s_delay_alu instid0(VALU_DEP_3)
	v_mov_b32_e32 v30, v8
	v_cmpx_gt_u32_e32 8, v6
; %bb.1543:                             ;   in Loop: Header=BB373_11 Depth=1
	v_clz_i32_u32_e32 v5, v8
	s_delay_alu instid0(VALU_DEP_1) | instskip(NEXT) | instid1(VALU_DEP_1)
	v_min_u32_e32 v5, 32, v5
	v_subrev_nc_u32_e32 v6, 28, v5
	v_sub_nc_u32_e32 v5, 29, v5
	s_delay_alu instid0(VALU_DEP_2) | instskip(NEXT) | instid1(VALU_DEP_1)
	v_lshlrev_b64 v[6:7], v6, v[8:9]
	v_and_b32_e32 v30, 7, v6
; %bb.1544:                             ;   in Loop: Header=BB373_11 Depth=1
	s_or_b32 exec_lo, exec_lo, s19
	v_lshlrev_b32_e32 v3, 8, v3
	v_lshl_add_u32 v5, v5, 10, 0x2000
	s_delay_alu instid0(VALU_DEP_1) | instskip(NEXT) | instid1(VALU_DEP_1)
	v_and_or_b32 v3, 0x8000, v3, v5
	v_lshl_or_b32 v3, v30, 7, v3
	s_delay_alu instid0(VALU_DEP_1)
	v_cvt_f32_f16_e32 v45, v3
.LBB373_1545:                           ;   in Loop: Header=BB373_11 Depth=1
	s_or_b32 exec_lo, exec_lo, s18
.LBB373_1546:                           ;   in Loop: Header=BB373_11 Depth=1
	s_delay_alu instid0(SALU_CYCLE_1)
	s_or_b32 exec_lo, exec_lo, s17
.LBB373_1547:                           ;   in Loop: Header=BB373_11 Depth=1
	s_delay_alu instid0(SALU_CYCLE_1) | instskip(SKIP_4) | instid1(VALU_DEP_1)
	s_or_b32 exec_lo, exec_lo, s15
	flat_load_b64 v[30:31], v[28:29] offset:2048
	s_mov_b32 s15, exec_lo
	s_waitcnt vmcnt(0) lgkmcnt(0)
	v_and_b32_e32 v3, 0xff, v30
	v_cmpx_ne_u16_e32 0, v3
	s_cbranch_execz .LBB373_1555
; %bb.1548:                             ;   in Loop: Header=BB373_11 Depth=1
	v_bfrev_b32_e32 v148, 1
	s_mov_b32 s17, exec_lo
	v_cmpx_ne_u16_e32 0x80, v3
	s_cbranch_execz .LBB373_1554
; %bb.1549:                             ;   in Loop: Header=BB373_11 Depth=1
	v_and_b32_e32 v5, 0x7f, v30
	v_mov_b32_e32 v148, 0x7fc02000
	s_mov_b32 s18, exec_lo
	s_delay_alu instid0(VALU_DEP_2)
	v_cmpx_ne_u32_e32 0x7f, v5
	s_cbranch_execz .LBB373_1553
; %bb.1550:                             ;   in Loop: Header=BB373_11 Depth=1
	v_lshrrev_b32_e32 v3, 3, v5
	v_dual_mov_b32 v33, v31 :: v_dual_mov_b32 v32, v30
	s_mov_b32 s19, exec_lo
	v_cmpx_gt_u32_e32 8, v5
; %bb.1551:                             ;   in Loop: Header=BB373_11 Depth=1
	v_and_b32_e32 v3, 7, v30
	s_delay_alu instid0(VALU_DEP_1) | instskip(NEXT) | instid1(VALU_DEP_1)
	v_clz_i32_u32_e32 v3, v3
	v_min_u32_e32 v3, 32, v3
	s_delay_alu instid0(VALU_DEP_1) | instskip(SKIP_1) | instid1(VALU_DEP_2)
	v_subrev_nc_u32_e32 v5, 28, v3
	v_sub_nc_u32_e32 v3, 29, v3
	v_lshlrev_b64 v[32:33], v5, v[30:31]
; %bb.1552:                             ;   in Loop: Header=BB373_11 Depth=1
	s_or_b32 exec_lo, exec_lo, s19
	v_lshlrev_b32_e32 v5, 8, v30
	s_delay_alu instid0(VALU_DEP_3) | instskip(NEXT) | instid1(VALU_DEP_3)
	v_lshl_add_u32 v3, v3, 10, 0x2000
	v_lshlrev_b32_e32 v6, 7, v32
	s_delay_alu instid0(VALU_DEP_2) | instskip(NEXT) | instid1(VALU_DEP_1)
	v_and_or_b32 v3, 0x8000, v5, v3
	v_and_or_b32 v3, 0x380, v6, v3
	s_delay_alu instid0(VALU_DEP_1)
	v_cvt_f32_f16_e64 v148, v3
.LBB373_1553:                           ;   in Loop: Header=BB373_11 Depth=1
	s_or_b32 exec_lo, exec_lo, s18
.LBB373_1554:                           ;   in Loop: Header=BB373_11 Depth=1
	s_delay_alu instid0(SALU_CYCLE_1)
	s_or_b32 exec_lo, exec_lo, s17
.LBB373_1555:                           ;   in Loop: Header=BB373_11 Depth=1
	s_delay_alu instid0(SALU_CYCLE_1) | instskip(SKIP_3) | instid1(VALU_DEP_2)
	s_or_b32 exec_lo, exec_lo, s15
	v_lshrrev_b16 v3, 8, v30
	v_dual_mov_b32 v149, 0 :: v_dual_mov_b32 v160, 0
	s_mov_b32 s15, exec_lo
	v_cmpx_ne_u16_e32 0, v3
	s_cbranch_execz .LBB373_1563
; %bb.1556:                             ;   in Loop: Header=BB373_11 Depth=1
	v_bfrev_b32_e32 v160, 1
	s_mov_b32 s17, exec_lo
	v_cmpx_ne_u16_e32 0x80, v3
	s_cbranch_execz .LBB373_1562
; %bb.1557:                             ;   in Loop: Header=BB373_11 Depth=1
	v_and_b32_e32 v3, 0xffff, v3
	v_mov_b32_e32 v160, 0x7fc02000
	s_mov_b32 s18, exec_lo
	s_delay_alu instid0(VALU_DEP_2) | instskip(NEXT) | instid1(VALU_DEP_1)
	v_and_b32_e32 v6, 0x7f, v3
	v_cmpx_ne_u32_e32 0x7f, v6
	s_cbranch_execz .LBB373_1561
; %bb.1558:                             ;   in Loop: Header=BB373_11 Depth=1
	v_and_b32_e32 v8, 7, v3
	v_mov_b32_e32 v33, v9
	v_lshrrev_b32_e32 v5, 3, v6
	s_mov_b32 s19, exec_lo
	s_delay_alu instid0(VALU_DEP_3)
	v_mov_b32_e32 v32, v8
	v_cmpx_gt_u32_e32 8, v6
; %bb.1559:                             ;   in Loop: Header=BB373_11 Depth=1
	v_clz_i32_u32_e32 v5, v8
	s_delay_alu instid0(VALU_DEP_1) | instskip(NEXT) | instid1(VALU_DEP_1)
	v_min_u32_e32 v5, 32, v5
	v_subrev_nc_u32_e32 v6, 28, v5
	v_sub_nc_u32_e32 v5, 29, v5
	s_delay_alu instid0(VALU_DEP_2) | instskip(NEXT) | instid1(VALU_DEP_1)
	v_lshlrev_b64 v[6:7], v6, v[8:9]
	v_and_b32_e32 v32, 7, v6
; %bb.1560:                             ;   in Loop: Header=BB373_11 Depth=1
	s_or_b32 exec_lo, exec_lo, s19
	v_lshlrev_b32_e32 v3, 8, v3
	v_lshl_add_u32 v5, v5, 10, 0x2000
	s_delay_alu instid0(VALU_DEP_1) | instskip(NEXT) | instid1(VALU_DEP_1)
	v_and_or_b32 v3, 0x8000, v3, v5
	v_lshl_or_b32 v3, v32, 7, v3
	s_delay_alu instid0(VALU_DEP_1)
	v_cvt_f32_f16_e64 v160, v3
.LBB373_1561:                           ;   in Loop: Header=BB373_11 Depth=1
	s_or_b32 exec_lo, exec_lo, s18
.LBB373_1562:                           ;   in Loop: Header=BB373_11 Depth=1
	s_delay_alu instid0(SALU_CYCLE_1)
	s_or_b32 exec_lo, exec_lo, s17
.LBB373_1563:                           ;   in Loop: Header=BB373_11 Depth=1
	s_delay_alu instid0(SALU_CYCLE_1) | instskip(SKIP_2) | instid1(VALU_DEP_1)
	s_or_b32 exec_lo, exec_lo, s15
	v_lshrrev_b32_e32 v3, 16, v30
	s_mov_b32 s15, exec_lo
	v_and_b32_e32 v5, 0xff, v3
	s_delay_alu instid0(VALU_DEP_1)
	v_cmpx_ne_u16_e32 0, v5
	s_cbranch_execz .LBB373_1571
; %bb.1564:                             ;   in Loop: Header=BB373_11 Depth=1
	v_bfrev_b32_e32 v149, 1
	s_mov_b32 s17, exec_lo
	v_cmpx_ne_u16_e32 0x80, v5
	s_cbranch_execz .LBB373_1570
; %bb.1565:                             ;   in Loop: Header=BB373_11 Depth=1
	v_bfe_u32 v6, v30, 16, 7
	v_mov_b32_e32 v149, 0x7fc02000
	s_mov_b32 s18, exec_lo
	s_delay_alu instid0(VALU_DEP_2)
	v_cmpx_ne_u32_e32 0x7f, v6
	s_cbranch_execz .LBB373_1569
; %bb.1566:                             ;   in Loop: Header=BB373_11 Depth=1
	v_and_b32_e32 v8, 7, v3
	v_mov_b32_e32 v33, v9
	v_lshrrev_b32_e32 v5, 3, v6
	s_mov_b32 s19, exec_lo
	s_delay_alu instid0(VALU_DEP_3)
	v_mov_b32_e32 v32, v8
	v_cmpx_gt_u32_e32 8, v6
; %bb.1567:                             ;   in Loop: Header=BB373_11 Depth=1
	v_clz_i32_u32_e32 v5, v8
	s_delay_alu instid0(VALU_DEP_1) | instskip(NEXT) | instid1(VALU_DEP_1)
	v_min_u32_e32 v5, 32, v5
	v_subrev_nc_u32_e32 v6, 28, v5
	v_sub_nc_u32_e32 v5, 29, v5
	s_delay_alu instid0(VALU_DEP_2) | instskip(NEXT) | instid1(VALU_DEP_1)
	v_lshlrev_b64 v[6:7], v6, v[8:9]
	v_and_b32_e32 v32, 7, v6
; %bb.1568:                             ;   in Loop: Header=BB373_11 Depth=1
	s_or_b32 exec_lo, exec_lo, s19
	v_lshlrev_b32_e32 v3, 8, v3
	v_lshl_add_u32 v5, v5, 10, 0x2000
	s_delay_alu instid0(VALU_DEP_1) | instskip(NEXT) | instid1(VALU_DEP_1)
	v_and_or_b32 v3, 0x8000, v3, v5
	v_lshl_or_b32 v3, v32, 7, v3
	s_delay_alu instid0(VALU_DEP_1)
	v_cvt_f32_f16_e64 v149, v3
.LBB373_1569:                           ;   in Loop: Header=BB373_11 Depth=1
	s_or_b32 exec_lo, exec_lo, s18
.LBB373_1570:                           ;   in Loop: Header=BB373_11 Depth=1
	s_delay_alu instid0(SALU_CYCLE_1)
	s_or_b32 exec_lo, exec_lo, s17
.LBB373_1571:                           ;   in Loop: Header=BB373_11 Depth=1
	s_delay_alu instid0(SALU_CYCLE_1)
	s_or_b32 exec_lo, exec_lo, s15
	v_dual_mov_b32 v161, 0 :: v_dual_mov_b32 v162, 0
	s_mov_b32 s15, exec_lo
	v_cmpx_lt_u32_e32 0xffffff, v30
	s_cbranch_execz .LBB373_1579
; %bb.1572:                             ;   in Loop: Header=BB373_11 Depth=1
	v_lshrrev_b32_e32 v3, 24, v30
	v_bfrev_b32_e32 v162, 1
	s_mov_b32 s17, exec_lo
	s_delay_alu instid0(VALU_DEP_2)
	v_cmpx_ne_u32_e32 0x80, v3
	s_cbranch_execz .LBB373_1578
; %bb.1573:                             ;   in Loop: Header=BB373_11 Depth=1
	v_and_b32_e32 v6, 0x7f, v3
	v_mov_b32_e32 v162, 0x7fc02000
	s_mov_b32 s18, exec_lo
	s_delay_alu instid0(VALU_DEP_2)
	v_cmpx_ne_u32_e32 0x7f, v6
	s_cbranch_execz .LBB373_1577
; %bb.1574:                             ;   in Loop: Header=BB373_11 Depth=1
	v_and_b32_e32 v8, 7, v3
	v_mov_b32_e32 v33, v9
	v_lshrrev_b32_e32 v5, 3, v6
	s_mov_b32 s19, exec_lo
	s_delay_alu instid0(VALU_DEP_3)
	v_mov_b32_e32 v32, v8
	v_cmpx_gt_u32_e32 8, v6
; %bb.1575:                             ;   in Loop: Header=BB373_11 Depth=1
	v_clz_i32_u32_e32 v5, v8
	s_delay_alu instid0(VALU_DEP_1) | instskip(NEXT) | instid1(VALU_DEP_1)
	v_min_u32_e32 v5, 32, v5
	v_subrev_nc_u32_e32 v6, 28, v5
	v_sub_nc_u32_e32 v5, 29, v5
	s_delay_alu instid0(VALU_DEP_2) | instskip(NEXT) | instid1(VALU_DEP_1)
	v_lshlrev_b64 v[6:7], v6, v[8:9]
	v_and_b32_e32 v32, 7, v6
; %bb.1576:                             ;   in Loop: Header=BB373_11 Depth=1
	s_or_b32 exec_lo, exec_lo, s19
	v_lshlrev_b32_e32 v3, 8, v3
	v_lshl_add_u32 v5, v5, 10, 0x2000
	s_delay_alu instid0(VALU_DEP_1) | instskip(NEXT) | instid1(VALU_DEP_1)
	v_and_or_b32 v3, 0x8000, v3, v5
	v_lshl_or_b32 v3, v32, 7, v3
	s_delay_alu instid0(VALU_DEP_1)
	v_cvt_f32_f16_e64 v162, v3
.LBB373_1577:                           ;   in Loop: Header=BB373_11 Depth=1
	s_or_b32 exec_lo, exec_lo, s18
.LBB373_1578:                           ;   in Loop: Header=BB373_11 Depth=1
	s_delay_alu instid0(SALU_CYCLE_1)
	s_or_b32 exec_lo, exec_lo, s17
.LBB373_1579:                           ;   in Loop: Header=BB373_11 Depth=1
	s_delay_alu instid0(SALU_CYCLE_1) | instskip(SKIP_2) | instid1(VALU_DEP_1)
	s_or_b32 exec_lo, exec_lo, s15
	v_dual_mov_b32 v8, v31 :: v_dual_and_b32 v3, 0xff, v31
	s_mov_b32 s15, exec_lo
	v_cmpx_ne_u16_e32 0, v3
	s_cbranch_execz .LBB373_1587
; %bb.1580:                             ;   in Loop: Header=BB373_11 Depth=1
	v_bfrev_b32_e32 v161, 1
	s_mov_b32 s17, exec_lo
	v_cmpx_ne_u16_e32 0x80, v3
	s_cbranch_execz .LBB373_1586
; %bb.1581:                             ;   in Loop: Header=BB373_11 Depth=1
	v_and_b32_e32 v5, 0x7f, v31
	v_mov_b32_e32 v161, 0x7fc02000
	s_mov_b32 s18, exec_lo
	s_delay_alu instid0(VALU_DEP_2)
	v_cmpx_ne_u32_e32 0x7f, v5
	s_cbranch_execz .LBB373_1585
; %bb.1582:                             ;   in Loop: Header=BB373_11 Depth=1
	v_dual_mov_b32 v33, v9 :: v_dual_mov_b32 v32, v8
	v_lshrrev_b32_e32 v3, 3, v5
	s_mov_b32 s19, exec_lo
	v_cmpx_gt_u32_e32 8, v5
; %bb.1583:                             ;   in Loop: Header=BB373_11 Depth=1
	v_and_b32_e32 v3, 7, v31
	s_delay_alu instid0(VALU_DEP_1) | instskip(NEXT) | instid1(VALU_DEP_1)
	v_clz_i32_u32_e32 v3, v3
	v_min_u32_e32 v3, 32, v3
	s_delay_alu instid0(VALU_DEP_1) | instskip(SKIP_1) | instid1(VALU_DEP_2)
	v_subrev_nc_u32_e32 v5, 28, v3
	v_sub_nc_u32_e32 v3, 29, v3
	v_lshlrev_b64 v[32:33], v5, v[8:9]
; %bb.1584:                             ;   in Loop: Header=BB373_11 Depth=1
	s_or_b32 exec_lo, exec_lo, s19
	v_lshlrev_b32_e32 v5, 8, v31
	s_delay_alu instid0(VALU_DEP_3) | instskip(NEXT) | instid1(VALU_DEP_3)
	v_lshl_add_u32 v3, v3, 10, 0x2000
	v_lshlrev_b32_e32 v6, 7, v32
	s_delay_alu instid0(VALU_DEP_2) | instskip(NEXT) | instid1(VALU_DEP_1)
	v_and_or_b32 v3, 0x8000, v5, v3
	v_and_or_b32 v3, 0x380, v6, v3
	s_delay_alu instid0(VALU_DEP_1)
	v_cvt_f32_f16_e64 v161, v3
.LBB373_1585:                           ;   in Loop: Header=BB373_11 Depth=1
	s_or_b32 exec_lo, exec_lo, s18
.LBB373_1586:                           ;   in Loop: Header=BB373_11 Depth=1
	s_delay_alu instid0(SALU_CYCLE_1)
	s_or_b32 exec_lo, exec_lo, s17
.LBB373_1587:                           ;   in Loop: Header=BB373_11 Depth=1
	s_delay_alu instid0(SALU_CYCLE_1) | instskip(SKIP_3) | instid1(VALU_DEP_2)
	s_or_b32 exec_lo, exec_lo, s15
	v_lshrrev_b16 v3, 8, v8
	v_dual_mov_b32 v181, 0 :: v_dual_mov_b32 v40, 0
	s_mov_b32 s15, exec_lo
	v_cmpx_ne_u16_e32 0, v3
	s_cbranch_execz .LBB373_1595
; %bb.1588:                             ;   in Loop: Header=BB373_11 Depth=1
	v_bfrev_b32_e32 v40, 1
	s_mov_b32 s17, exec_lo
	v_cmpx_ne_u16_e32 0x80, v3
	s_cbranch_execz .LBB373_1594
; %bb.1589:                             ;   in Loop: Header=BB373_11 Depth=1
	v_and_b32_e32 v3, 0xffff, v3
	v_mov_b32_e32 v40, 0x7fc02000
	s_mov_b32 s18, exec_lo
	s_delay_alu instid0(VALU_DEP_2) | instskip(NEXT) | instid1(VALU_DEP_1)
	v_and_b32_e32 v6, 0x7f, v3
	v_cmpx_ne_u32_e32 0x7f, v6
	s_cbranch_execz .LBB373_1593
; %bb.1590:                             ;   in Loop: Header=BB373_11 Depth=1
	v_and_b32_e32 v8, 7, v3
	v_mov_b32_e32 v33, v9
	v_lshrrev_b32_e32 v5, 3, v6
	s_mov_b32 s19, exec_lo
	s_delay_alu instid0(VALU_DEP_3)
	v_mov_b32_e32 v32, v8
	v_cmpx_gt_u32_e32 8, v6
; %bb.1591:                             ;   in Loop: Header=BB373_11 Depth=1
	v_clz_i32_u32_e32 v5, v8
	s_delay_alu instid0(VALU_DEP_1) | instskip(NEXT) | instid1(VALU_DEP_1)
	v_min_u32_e32 v5, 32, v5
	v_subrev_nc_u32_e32 v6, 28, v5
	v_sub_nc_u32_e32 v5, 29, v5
	s_delay_alu instid0(VALU_DEP_2) | instskip(NEXT) | instid1(VALU_DEP_1)
	v_lshlrev_b64 v[6:7], v6, v[8:9]
	v_and_b32_e32 v32, 7, v6
; %bb.1592:                             ;   in Loop: Header=BB373_11 Depth=1
	s_or_b32 exec_lo, exec_lo, s19
	v_lshlrev_b32_e32 v3, 8, v3
	v_lshl_add_u32 v5, v5, 10, 0x2000
	s_delay_alu instid0(VALU_DEP_1) | instskip(NEXT) | instid1(VALU_DEP_1)
	v_and_or_b32 v3, 0x8000, v3, v5
	v_lshl_or_b32 v3, v32, 7, v3
	s_delay_alu instid0(VALU_DEP_1)
	v_cvt_f32_f16_e32 v40, v3
.LBB373_1593:                           ;   in Loop: Header=BB373_11 Depth=1
	s_or_b32 exec_lo, exec_lo, s18
.LBB373_1594:                           ;   in Loop: Header=BB373_11 Depth=1
	s_delay_alu instid0(SALU_CYCLE_1)
	s_or_b32 exec_lo, exec_lo, s17
.LBB373_1595:                           ;   in Loop: Header=BB373_11 Depth=1
	s_delay_alu instid0(SALU_CYCLE_1) | instskip(SKIP_2) | instid1(VALU_DEP_1)
	s_or_b32 exec_lo, exec_lo, s15
	v_lshrrev_b32_e32 v3, 16, v31
	s_mov_b32 s15, exec_lo
	v_and_b32_e32 v5, 0xff, v3
	s_delay_alu instid0(VALU_DEP_1)
	v_cmpx_ne_u16_e32 0, v5
	s_cbranch_execz .LBB373_1603
; %bb.1596:                             ;   in Loop: Header=BB373_11 Depth=1
	v_bfrev_b32_e32 v181, 1
	s_mov_b32 s17, exec_lo
	v_cmpx_ne_u16_e32 0x80, v5
	s_cbranch_execz .LBB373_1602
; %bb.1597:                             ;   in Loop: Header=BB373_11 Depth=1
	v_bfe_u32 v6, v31, 16, 7
	v_mov_b32_e32 v181, 0x7fc02000
	s_mov_b32 s18, exec_lo
	s_delay_alu instid0(VALU_DEP_2)
	v_cmpx_ne_u32_e32 0x7f, v6
	s_cbranch_execz .LBB373_1601
; %bb.1598:                             ;   in Loop: Header=BB373_11 Depth=1
	v_and_b32_e32 v8, 7, v3
	v_mov_b32_e32 v33, v9
	v_lshrrev_b32_e32 v5, 3, v6
	s_mov_b32 s19, exec_lo
	s_delay_alu instid0(VALU_DEP_3)
	v_mov_b32_e32 v32, v8
	v_cmpx_gt_u32_e32 8, v6
; %bb.1599:                             ;   in Loop: Header=BB373_11 Depth=1
	v_clz_i32_u32_e32 v5, v8
	s_delay_alu instid0(VALU_DEP_1) | instskip(NEXT) | instid1(VALU_DEP_1)
	v_min_u32_e32 v5, 32, v5
	v_subrev_nc_u32_e32 v6, 28, v5
	v_sub_nc_u32_e32 v5, 29, v5
	s_delay_alu instid0(VALU_DEP_2) | instskip(NEXT) | instid1(VALU_DEP_1)
	v_lshlrev_b64 v[6:7], v6, v[8:9]
	v_and_b32_e32 v32, 7, v6
; %bb.1600:                             ;   in Loop: Header=BB373_11 Depth=1
	s_or_b32 exec_lo, exec_lo, s19
	v_lshlrev_b32_e32 v3, 8, v3
	v_lshl_add_u32 v5, v5, 10, 0x2000
	s_delay_alu instid0(VALU_DEP_1) | instskip(NEXT) | instid1(VALU_DEP_1)
	v_and_or_b32 v3, 0x8000, v3, v5
	v_lshl_or_b32 v3, v32, 7, v3
	s_delay_alu instid0(VALU_DEP_1)
	v_cvt_f32_f16_e64 v181, v3
.LBB373_1601:                           ;   in Loop: Header=BB373_11 Depth=1
	s_or_b32 exec_lo, exec_lo, s18
.LBB373_1602:                           ;   in Loop: Header=BB373_11 Depth=1
	s_delay_alu instid0(SALU_CYCLE_1)
	s_or_b32 exec_lo, exec_lo, s17
.LBB373_1603:                           ;   in Loop: Header=BB373_11 Depth=1
	s_delay_alu instid0(SALU_CYCLE_1)
	s_or_b32 exec_lo, exec_lo, s15
	v_dual_mov_b32 v6, 0 :: v_dual_mov_b32 v41, 0
	s_mov_b32 s15, exec_lo
	v_cmpx_lt_u64_e64 s[2:3], v[30:31]
	s_cbranch_execz .LBB373_1611
; %bb.1604:                             ;   in Loop: Header=BB373_11 Depth=1
	v_lshrrev_b32_e32 v3, 24, v31
	v_bfrev_b32_e32 v41, 1
	s_mov_b32 s17, exec_lo
	s_delay_alu instid0(VALU_DEP_2)
	v_cmpx_ne_u32_e32 0x80, v3
	s_cbranch_execz .LBB373_1610
; %bb.1605:                             ;   in Loop: Header=BB373_11 Depth=1
	v_and_b32_e32 v7, 0x7f, v3
	v_mov_b32_e32 v41, 0x7fc02000
	s_mov_b32 s18, exec_lo
	s_delay_alu instid0(VALU_DEP_2)
	v_cmpx_ne_u32_e32 0x7f, v7
	s_cbranch_execz .LBB373_1609
; %bb.1606:                             ;   in Loop: Header=BB373_11 Depth=1
	v_and_b32_e32 v8, 7, v3
	v_mov_b32_e32 v31, v9
	v_lshrrev_b32_e32 v5, 3, v7
	s_mov_b32 s19, exec_lo
	s_delay_alu instid0(VALU_DEP_3)
	v_mov_b32_e32 v30, v8
	v_cmpx_gt_u32_e32 8, v7
; %bb.1607:                             ;   in Loop: Header=BB373_11 Depth=1
	v_clz_i32_u32_e32 v5, v8
	s_delay_alu instid0(VALU_DEP_1) | instskip(NEXT) | instid1(VALU_DEP_1)
	v_min_u32_e32 v5, 32, v5
	v_subrev_nc_u32_e32 v7, 28, v5
	v_sub_nc_u32_e32 v5, 29, v5
	s_delay_alu instid0(VALU_DEP_2) | instskip(NEXT) | instid1(VALU_DEP_1)
	v_lshlrev_b64 v[7:8], v7, v[8:9]
	v_and_b32_e32 v30, 7, v7
; %bb.1608:                             ;   in Loop: Header=BB373_11 Depth=1
	s_or_b32 exec_lo, exec_lo, s19
	v_lshlrev_b32_e32 v3, 8, v3
	v_lshl_add_u32 v5, v5, 10, 0x2000
	s_delay_alu instid0(VALU_DEP_1) | instskip(NEXT) | instid1(VALU_DEP_1)
	v_and_or_b32 v3, 0x8000, v3, v5
	v_lshl_or_b32 v3, v30, 7, v3
	s_delay_alu instid0(VALU_DEP_1)
	v_cvt_f32_f16_e32 v41, v3
.LBB373_1609:                           ;   in Loop: Header=BB373_11 Depth=1
	s_or_b32 exec_lo, exec_lo, s18
.LBB373_1610:                           ;   in Loop: Header=BB373_11 Depth=1
	s_delay_alu instid0(SALU_CYCLE_1)
	s_or_b32 exec_lo, exec_lo, s17
.LBB373_1611:                           ;   in Loop: Header=BB373_11 Depth=1
	s_delay_alu instid0(SALU_CYCLE_1) | instskip(SKIP_4) | instid1(VALU_DEP_1)
	s_or_b32 exec_lo, exec_lo, s15
	flat_load_b64 v[30:31], v[28:29] offset:2056
	s_mov_b32 s15, exec_lo
	s_waitcnt vmcnt(0) lgkmcnt(0)
	v_and_b32_e32 v3, 0xff, v30
	v_cmpx_ne_u16_e32 0, v3
	s_cbranch_execz .LBB373_1619
; %bb.1612:                             ;   in Loop: Header=BB373_11 Depth=1
	v_bfrev_b32_e32 v6, 1
	s_mov_b32 s17, exec_lo
	v_cmpx_ne_u16_e32 0x80, v3
	s_cbranch_execz .LBB373_1618
; %bb.1613:                             ;   in Loop: Header=BB373_11 Depth=1
	v_and_b32_e32 v5, 0x7f, v30
	v_mov_b32_e32 v6, 0x7fc02000
	s_mov_b32 s18, exec_lo
	s_delay_alu instid0(VALU_DEP_2)
	v_cmpx_ne_u32_e32 0x7f, v5
	s_cbranch_execz .LBB373_1617
; %bb.1614:                             ;   in Loop: Header=BB373_11 Depth=1
	v_lshrrev_b32_e32 v3, 3, v5
	v_dual_mov_b32 v33, v31 :: v_dual_mov_b32 v32, v30
	s_mov_b32 s19, exec_lo
	v_cmpx_gt_u32_e32 8, v5
; %bb.1615:                             ;   in Loop: Header=BB373_11 Depth=1
	v_and_b32_e32 v3, 7, v30
	s_delay_alu instid0(VALU_DEP_1) | instskip(NEXT) | instid1(VALU_DEP_1)
	v_clz_i32_u32_e32 v3, v3
	v_min_u32_e32 v3, 32, v3
	s_delay_alu instid0(VALU_DEP_1) | instskip(SKIP_1) | instid1(VALU_DEP_2)
	v_subrev_nc_u32_e32 v5, 28, v3
	v_sub_nc_u32_e32 v3, 29, v3
	v_lshlrev_b64 v[32:33], v5, v[30:31]
; %bb.1616:                             ;   in Loop: Header=BB373_11 Depth=1
	s_or_b32 exec_lo, exec_lo, s19
	v_lshlrev_b32_e32 v5, 8, v30
	s_delay_alu instid0(VALU_DEP_3) | instskip(NEXT) | instid1(VALU_DEP_3)
	v_lshl_add_u32 v3, v3, 10, 0x2000
	v_lshlrev_b32_e32 v6, 7, v32
	s_delay_alu instid0(VALU_DEP_2) | instskip(NEXT) | instid1(VALU_DEP_1)
	v_and_or_b32 v3, 0x8000, v5, v3
	v_and_or_b32 v3, 0x380, v6, v3
	s_delay_alu instid0(VALU_DEP_1)
	v_cvt_f32_f16_e32 v6, v3
.LBB373_1617:                           ;   in Loop: Header=BB373_11 Depth=1
	s_or_b32 exec_lo, exec_lo, s18
.LBB373_1618:                           ;   in Loop: Header=BB373_11 Depth=1
	s_delay_alu instid0(SALU_CYCLE_1)
	s_or_b32 exec_lo, exec_lo, s17
.LBB373_1619:                           ;   in Loop: Header=BB373_11 Depth=1
	s_delay_alu instid0(SALU_CYCLE_1) | instskip(SKIP_3) | instid1(VALU_DEP_2)
	s_or_b32 exec_lo, exec_lo, s15
	v_lshrrev_b16 v3, 8, v30
	v_dual_mov_b32 v7, 0 :: v_dual_mov_b32 v132, 0
	s_mov_b32 s15, exec_lo
	v_cmpx_ne_u16_e32 0, v3
	s_cbranch_execz .LBB373_1627
; %bb.1620:                             ;   in Loop: Header=BB373_11 Depth=1
	v_bfrev_b32_e32 v132, 1
	s_mov_b32 s17, exec_lo
	v_cmpx_ne_u16_e32 0x80, v3
	s_cbranch_execz .LBB373_1626
; %bb.1621:                             ;   in Loop: Header=BB373_11 Depth=1
	v_and_b32_e32 v3, 0xffff, v3
	v_mov_b32_e32 v132, 0x7fc02000
	s_mov_b32 s18, exec_lo
	s_delay_alu instid0(VALU_DEP_2) | instskip(NEXT) | instid1(VALU_DEP_1)
	v_and_b32_e32 v12, 0x7f, v3
	v_cmpx_ne_u32_e32 0x7f, v12
	s_cbranch_execz .LBB373_1625
; %bb.1622:                             ;   in Loop: Header=BB373_11 Depth=1
	v_and_b32_e32 v8, 7, v3
	v_mov_b32_e32 v33, v9
	v_lshrrev_b32_e32 v5, 3, v12
	s_mov_b32 s19, exec_lo
	s_delay_alu instid0(VALU_DEP_3)
	v_mov_b32_e32 v32, v8
	v_cmpx_gt_u32_e32 8, v12
; %bb.1623:                             ;   in Loop: Header=BB373_11 Depth=1
	v_clz_i32_u32_e32 v5, v8
	s_delay_alu instid0(VALU_DEP_1) | instskip(NEXT) | instid1(VALU_DEP_1)
	v_min_u32_e32 v5, 32, v5
	v_subrev_nc_u32_e32 v12, 28, v5
	v_sub_nc_u32_e32 v5, 29, v5
	s_delay_alu instid0(VALU_DEP_2) | instskip(NEXT) | instid1(VALU_DEP_1)
	v_lshlrev_b64 v[12:13], v12, v[8:9]
	v_and_b32_e32 v32, 7, v12
; %bb.1624:                             ;   in Loop: Header=BB373_11 Depth=1
	s_or_b32 exec_lo, exec_lo, s19
	v_lshlrev_b32_e32 v3, 8, v3
	v_lshl_add_u32 v5, v5, 10, 0x2000
	s_delay_alu instid0(VALU_DEP_1) | instskip(NEXT) | instid1(VALU_DEP_1)
	v_and_or_b32 v3, 0x8000, v3, v5
	v_lshl_or_b32 v3, v32, 7, v3
	s_delay_alu instid0(VALU_DEP_1)
	v_cvt_f32_f16_e64 v132, v3
.LBB373_1625:                           ;   in Loop: Header=BB373_11 Depth=1
	s_or_b32 exec_lo, exec_lo, s18
.LBB373_1626:                           ;   in Loop: Header=BB373_11 Depth=1
	s_delay_alu instid0(SALU_CYCLE_1)
	s_or_b32 exec_lo, exec_lo, s17
.LBB373_1627:                           ;   in Loop: Header=BB373_11 Depth=1
	s_delay_alu instid0(SALU_CYCLE_1) | instskip(SKIP_2) | instid1(VALU_DEP_1)
	s_or_b32 exec_lo, exec_lo, s15
	v_lshrrev_b32_e32 v3, 16, v30
	s_mov_b32 s15, exec_lo
	v_and_b32_e32 v5, 0xff, v3
	s_delay_alu instid0(VALU_DEP_1)
	v_cmpx_ne_u16_e32 0, v5
	s_cbranch_execz .LBB373_1635
; %bb.1628:                             ;   in Loop: Header=BB373_11 Depth=1
	v_bfrev_b32_e32 v7, 1
	s_mov_b32 s17, exec_lo
	v_cmpx_ne_u16_e32 0x80, v5
	s_cbranch_execz .LBB373_1634
; %bb.1629:                             ;   in Loop: Header=BB373_11 Depth=1
	v_bfe_u32 v12, v30, 16, 7
	v_mov_b32_e32 v7, 0x7fc02000
	s_mov_b32 s18, exec_lo
	s_delay_alu instid0(VALU_DEP_2)
	v_cmpx_ne_u32_e32 0x7f, v12
	s_cbranch_execz .LBB373_1633
; %bb.1630:                             ;   in Loop: Header=BB373_11 Depth=1
	v_and_b32_e32 v8, 7, v3
	v_mov_b32_e32 v33, v9
	v_lshrrev_b32_e32 v5, 3, v12
	s_mov_b32 s19, exec_lo
	s_delay_alu instid0(VALU_DEP_3)
	v_mov_b32_e32 v32, v8
	v_cmpx_gt_u32_e32 8, v12
; %bb.1631:                             ;   in Loop: Header=BB373_11 Depth=1
	v_clz_i32_u32_e32 v5, v8
	s_delay_alu instid0(VALU_DEP_1) | instskip(NEXT) | instid1(VALU_DEP_1)
	v_min_u32_e32 v5, 32, v5
	v_subrev_nc_u32_e32 v7, 28, v5
	v_sub_nc_u32_e32 v5, 29, v5
	s_delay_alu instid0(VALU_DEP_2) | instskip(NEXT) | instid1(VALU_DEP_1)
	v_lshlrev_b64 v[7:8], v7, v[8:9]
	v_and_b32_e32 v32, 7, v7
; %bb.1632:                             ;   in Loop: Header=BB373_11 Depth=1
	s_or_b32 exec_lo, exec_lo, s19
	v_lshlrev_b32_e32 v3, 8, v3
	v_lshl_add_u32 v5, v5, 10, 0x2000
	s_delay_alu instid0(VALU_DEP_1) | instskip(NEXT) | instid1(VALU_DEP_1)
	v_and_or_b32 v3, 0x8000, v3, v5
	v_lshl_or_b32 v3, v32, 7, v3
	s_delay_alu instid0(VALU_DEP_1)
	v_cvt_f32_f16_e32 v7, v3
.LBB373_1633:                           ;   in Loop: Header=BB373_11 Depth=1
	s_or_b32 exec_lo, exec_lo, s18
.LBB373_1634:                           ;   in Loop: Header=BB373_11 Depth=1
	s_delay_alu instid0(SALU_CYCLE_1)
	s_or_b32 exec_lo, exec_lo, s17
.LBB373_1635:                           ;   in Loop: Header=BB373_11 Depth=1
	s_delay_alu instid0(SALU_CYCLE_1)
	s_or_b32 exec_lo, exec_lo, s15
	v_dual_mov_b32 v133, 0 :: v_dual_mov_b32 v144, 0
	s_mov_b32 s15, exec_lo
	v_cmpx_lt_u32_e32 0xffffff, v30
	s_cbranch_execz .LBB373_1643
; %bb.1636:                             ;   in Loop: Header=BB373_11 Depth=1
	v_lshrrev_b32_e32 v3, 24, v30
	v_bfrev_b32_e32 v144, 1
	s_mov_b32 s17, exec_lo
	s_delay_alu instid0(VALU_DEP_2)
	v_cmpx_ne_u32_e32 0x80, v3
	s_cbranch_execz .LBB373_1642
; %bb.1637:                             ;   in Loop: Header=BB373_11 Depth=1
	v_and_b32_e32 v12, 0x7f, v3
	v_mov_b32_e32 v144, 0x7fc02000
	s_mov_b32 s18, exec_lo
	s_delay_alu instid0(VALU_DEP_2)
	v_cmpx_ne_u32_e32 0x7f, v12
	s_cbranch_execz .LBB373_1641
; %bb.1638:                             ;   in Loop: Header=BB373_11 Depth=1
	v_and_b32_e32 v8, 7, v3
	v_mov_b32_e32 v33, v9
	v_lshrrev_b32_e32 v5, 3, v12
	s_mov_b32 s19, exec_lo
	s_delay_alu instid0(VALU_DEP_3)
	v_mov_b32_e32 v32, v8
	v_cmpx_gt_u32_e32 8, v12
; %bb.1639:                             ;   in Loop: Header=BB373_11 Depth=1
	v_clz_i32_u32_e32 v5, v8
	s_delay_alu instid0(VALU_DEP_1) | instskip(NEXT) | instid1(VALU_DEP_1)
	v_min_u32_e32 v5, 32, v5
	v_subrev_nc_u32_e32 v12, 28, v5
	v_sub_nc_u32_e32 v5, 29, v5
	s_delay_alu instid0(VALU_DEP_2) | instskip(NEXT) | instid1(VALU_DEP_1)
	v_lshlrev_b64 v[12:13], v12, v[8:9]
	v_and_b32_e32 v32, 7, v12
; %bb.1640:                             ;   in Loop: Header=BB373_11 Depth=1
	s_or_b32 exec_lo, exec_lo, s19
	v_lshlrev_b32_e32 v3, 8, v3
	v_lshl_add_u32 v5, v5, 10, 0x2000
	s_delay_alu instid0(VALU_DEP_1) | instskip(NEXT) | instid1(VALU_DEP_1)
	v_and_or_b32 v3, 0x8000, v3, v5
	v_lshl_or_b32 v3, v32, 7, v3
	s_delay_alu instid0(VALU_DEP_1)
	v_cvt_f32_f16_e64 v144, v3
.LBB373_1641:                           ;   in Loop: Header=BB373_11 Depth=1
	s_or_b32 exec_lo, exec_lo, s18
.LBB373_1642:                           ;   in Loop: Header=BB373_11 Depth=1
	s_delay_alu instid0(SALU_CYCLE_1)
	s_or_b32 exec_lo, exec_lo, s17
.LBB373_1643:                           ;   in Loop: Header=BB373_11 Depth=1
	s_delay_alu instid0(SALU_CYCLE_1) | instskip(SKIP_2) | instid1(VALU_DEP_1)
	s_or_b32 exec_lo, exec_lo, s15
	v_dual_mov_b32 v8, v31 :: v_dual_and_b32 v3, 0xff, v31
	s_mov_b32 s15, exec_lo
	v_cmpx_ne_u16_e32 0, v3
	s_cbranch_execz .LBB373_1651
; %bb.1644:                             ;   in Loop: Header=BB373_11 Depth=1
	v_bfrev_b32_e32 v133, 1
	s_mov_b32 s17, exec_lo
	v_cmpx_ne_u16_e32 0x80, v3
	s_cbranch_execz .LBB373_1650
; %bb.1645:                             ;   in Loop: Header=BB373_11 Depth=1
	v_and_b32_e32 v5, 0x7f, v31
	v_mov_b32_e32 v133, 0x7fc02000
	s_mov_b32 s18, exec_lo
	s_delay_alu instid0(VALU_DEP_2)
	v_cmpx_ne_u32_e32 0x7f, v5
	s_cbranch_execz .LBB373_1649
; %bb.1646:                             ;   in Loop: Header=BB373_11 Depth=1
	v_dual_mov_b32 v33, v9 :: v_dual_mov_b32 v32, v8
	v_lshrrev_b32_e32 v3, 3, v5
	s_mov_b32 s19, exec_lo
	v_cmpx_gt_u32_e32 8, v5
; %bb.1647:                             ;   in Loop: Header=BB373_11 Depth=1
	v_and_b32_e32 v3, 7, v31
	s_delay_alu instid0(VALU_DEP_1) | instskip(NEXT) | instid1(VALU_DEP_1)
	v_clz_i32_u32_e32 v3, v3
	v_min_u32_e32 v3, 32, v3
	s_delay_alu instid0(VALU_DEP_1) | instskip(SKIP_1) | instid1(VALU_DEP_2)
	v_subrev_nc_u32_e32 v5, 28, v3
	v_sub_nc_u32_e32 v3, 29, v3
	v_lshlrev_b64 v[32:33], v5, v[8:9]
; %bb.1648:                             ;   in Loop: Header=BB373_11 Depth=1
	s_or_b32 exec_lo, exec_lo, s19
	v_lshlrev_b32_e32 v5, 8, v31
	s_delay_alu instid0(VALU_DEP_3) | instskip(NEXT) | instid1(VALU_DEP_3)
	v_lshl_add_u32 v3, v3, 10, 0x2000
	v_lshlrev_b32_e32 v12, 7, v32
	s_delay_alu instid0(VALU_DEP_2) | instskip(NEXT) | instid1(VALU_DEP_1)
	v_and_or_b32 v3, 0x8000, v5, v3
	v_and_or_b32 v3, 0x380, v12, v3
	s_delay_alu instid0(VALU_DEP_1)
	v_cvt_f32_f16_e64 v133, v3
.LBB373_1649:                           ;   in Loop: Header=BB373_11 Depth=1
	s_or_b32 exec_lo, exec_lo, s18
.LBB373_1650:                           ;   in Loop: Header=BB373_11 Depth=1
	s_delay_alu instid0(SALU_CYCLE_1)
	s_or_b32 exec_lo, exec_lo, s17
.LBB373_1651:                           ;   in Loop: Header=BB373_11 Depth=1
	s_delay_alu instid0(SALU_CYCLE_1) | instskip(SKIP_3) | instid1(VALU_DEP_2)
	s_or_b32 exec_lo, exec_lo, s15
	v_lshrrev_b16 v3, 8, v8
	v_dual_mov_b32 v163, 0 :: v_dual_mov_b32 v164, 0
	s_mov_b32 s15, exec_lo
	v_cmpx_ne_u16_e32 0, v3
	s_cbranch_execz .LBB373_1659
; %bb.1652:                             ;   in Loop: Header=BB373_11 Depth=1
	v_bfrev_b32_e32 v164, 1
	s_mov_b32 s17, exec_lo
	v_cmpx_ne_u16_e32 0x80, v3
	s_cbranch_execz .LBB373_1658
; %bb.1653:                             ;   in Loop: Header=BB373_11 Depth=1
	v_and_b32_e32 v3, 0xffff, v3
	v_mov_b32_e32 v164, 0x7fc02000
	s_mov_b32 s18, exec_lo
	s_delay_alu instid0(VALU_DEP_2) | instskip(NEXT) | instid1(VALU_DEP_1)
	v_and_b32_e32 v12, 0x7f, v3
	v_cmpx_ne_u32_e32 0x7f, v12
	s_cbranch_execz .LBB373_1657
; %bb.1654:                             ;   in Loop: Header=BB373_11 Depth=1
	v_and_b32_e32 v8, 7, v3
	v_mov_b32_e32 v33, v9
	v_lshrrev_b32_e32 v5, 3, v12
	s_mov_b32 s19, exec_lo
	s_delay_alu instid0(VALU_DEP_3)
	v_mov_b32_e32 v32, v8
	v_cmpx_gt_u32_e32 8, v12
; %bb.1655:                             ;   in Loop: Header=BB373_11 Depth=1
	v_clz_i32_u32_e32 v5, v8
	s_delay_alu instid0(VALU_DEP_1) | instskip(NEXT) | instid1(VALU_DEP_1)
	v_min_u32_e32 v5, 32, v5
	v_subrev_nc_u32_e32 v12, 28, v5
	v_sub_nc_u32_e32 v5, 29, v5
	s_delay_alu instid0(VALU_DEP_2) | instskip(NEXT) | instid1(VALU_DEP_1)
	v_lshlrev_b64 v[12:13], v12, v[8:9]
	v_and_b32_e32 v32, 7, v12
; %bb.1656:                             ;   in Loop: Header=BB373_11 Depth=1
	s_or_b32 exec_lo, exec_lo, s19
	v_lshlrev_b32_e32 v3, 8, v3
	v_lshl_add_u32 v5, v5, 10, 0x2000
	s_delay_alu instid0(VALU_DEP_1) | instskip(NEXT) | instid1(VALU_DEP_1)
	v_and_or_b32 v3, 0x8000, v3, v5
	v_lshl_or_b32 v3, v32, 7, v3
	s_delay_alu instid0(VALU_DEP_1)
	v_cvt_f32_f16_e64 v164, v3
.LBB373_1657:                           ;   in Loop: Header=BB373_11 Depth=1
	s_or_b32 exec_lo, exec_lo, s18
.LBB373_1658:                           ;   in Loop: Header=BB373_11 Depth=1
	s_delay_alu instid0(SALU_CYCLE_1)
	s_or_b32 exec_lo, exec_lo, s17
.LBB373_1659:                           ;   in Loop: Header=BB373_11 Depth=1
	s_delay_alu instid0(SALU_CYCLE_1) | instskip(SKIP_2) | instid1(VALU_DEP_1)
	s_or_b32 exec_lo, exec_lo, s15
	v_lshrrev_b32_e32 v3, 16, v31
	s_mov_b32 s15, exec_lo
	v_and_b32_e32 v5, 0xff, v3
	s_delay_alu instid0(VALU_DEP_1)
	v_cmpx_ne_u16_e32 0, v5
	s_cbranch_execz .LBB373_1667
; %bb.1660:                             ;   in Loop: Header=BB373_11 Depth=1
	v_bfrev_b32_e32 v163, 1
	s_mov_b32 s17, exec_lo
	v_cmpx_ne_u16_e32 0x80, v5
	s_cbranch_execz .LBB373_1666
; %bb.1661:                             ;   in Loop: Header=BB373_11 Depth=1
	v_bfe_u32 v12, v31, 16, 7
	v_mov_b32_e32 v163, 0x7fc02000
	s_mov_b32 s18, exec_lo
	s_delay_alu instid0(VALU_DEP_2)
	v_cmpx_ne_u32_e32 0x7f, v12
	s_cbranch_execz .LBB373_1665
; %bb.1662:                             ;   in Loop: Header=BB373_11 Depth=1
	v_and_b32_e32 v8, 7, v3
	v_mov_b32_e32 v33, v9
	v_lshrrev_b32_e32 v5, 3, v12
	s_mov_b32 s19, exec_lo
	s_delay_alu instid0(VALU_DEP_3)
	v_mov_b32_e32 v32, v8
	v_cmpx_gt_u32_e32 8, v12
; %bb.1663:                             ;   in Loop: Header=BB373_11 Depth=1
	v_clz_i32_u32_e32 v5, v8
	s_delay_alu instid0(VALU_DEP_1) | instskip(NEXT) | instid1(VALU_DEP_1)
	v_min_u32_e32 v5, 32, v5
	v_subrev_nc_u32_e32 v12, 28, v5
	v_sub_nc_u32_e32 v5, 29, v5
	s_delay_alu instid0(VALU_DEP_2) | instskip(NEXT) | instid1(VALU_DEP_1)
	v_lshlrev_b64 v[12:13], v12, v[8:9]
	v_and_b32_e32 v32, 7, v12
; %bb.1664:                             ;   in Loop: Header=BB373_11 Depth=1
	s_or_b32 exec_lo, exec_lo, s19
	v_lshlrev_b32_e32 v3, 8, v3
	v_lshl_add_u32 v5, v5, 10, 0x2000
	s_delay_alu instid0(VALU_DEP_1) | instskip(NEXT) | instid1(VALU_DEP_1)
	v_and_or_b32 v3, 0x8000, v3, v5
	v_lshl_or_b32 v3, v32, 7, v3
	s_delay_alu instid0(VALU_DEP_1)
	v_cvt_f32_f16_e64 v163, v3
.LBB373_1665:                           ;   in Loop: Header=BB373_11 Depth=1
	s_or_b32 exec_lo, exec_lo, s18
.LBB373_1666:                           ;   in Loop: Header=BB373_11 Depth=1
	s_delay_alu instid0(SALU_CYCLE_1)
	s_or_b32 exec_lo, exec_lo, s17
.LBB373_1667:                           ;   in Loop: Header=BB373_11 Depth=1
	s_delay_alu instid0(SALU_CYCLE_1)
	s_or_b32 exec_lo, exec_lo, s15
	v_dual_mov_b32 v112, 0 :: v_dual_mov_b32 v165, 0
	s_mov_b32 s15, exec_lo
	v_cmpx_lt_u64_e64 s[2:3], v[30:31]
	s_cbranch_execz .LBB373_1675
; %bb.1668:                             ;   in Loop: Header=BB373_11 Depth=1
	v_lshrrev_b32_e32 v3, 24, v31
	v_bfrev_b32_e32 v165, 1
	s_mov_b32 s17, exec_lo
	s_delay_alu instid0(VALU_DEP_2)
	v_cmpx_ne_u32_e32 0x80, v3
	s_cbranch_execz .LBB373_1674
; %bb.1669:                             ;   in Loop: Header=BB373_11 Depth=1
	v_and_b32_e32 v12, 0x7f, v3
	v_mov_b32_e32 v165, 0x7fc02000
	s_mov_b32 s18, exec_lo
	s_delay_alu instid0(VALU_DEP_2)
	v_cmpx_ne_u32_e32 0x7f, v12
	s_cbranch_execz .LBB373_1673
; %bb.1670:                             ;   in Loop: Header=BB373_11 Depth=1
	v_and_b32_e32 v8, 7, v3
	v_mov_b32_e32 v31, v9
	v_lshrrev_b32_e32 v5, 3, v12
	s_mov_b32 s19, exec_lo
	s_delay_alu instid0(VALU_DEP_3)
	v_mov_b32_e32 v30, v8
	v_cmpx_gt_u32_e32 8, v12
; %bb.1671:                             ;   in Loop: Header=BB373_11 Depth=1
	v_clz_i32_u32_e32 v5, v8
	s_delay_alu instid0(VALU_DEP_1) | instskip(NEXT) | instid1(VALU_DEP_1)
	v_min_u32_e32 v5, 32, v5
	v_subrev_nc_u32_e32 v12, 28, v5
	v_sub_nc_u32_e32 v5, 29, v5
	s_delay_alu instid0(VALU_DEP_2) | instskip(NEXT) | instid1(VALU_DEP_1)
	v_lshlrev_b64 v[12:13], v12, v[8:9]
	v_and_b32_e32 v30, 7, v12
; %bb.1672:                             ;   in Loop: Header=BB373_11 Depth=1
	s_or_b32 exec_lo, exec_lo, s19
	v_lshlrev_b32_e32 v3, 8, v3
	v_lshl_add_u32 v5, v5, 10, 0x2000
	s_delay_alu instid0(VALU_DEP_1) | instskip(NEXT) | instid1(VALU_DEP_1)
	v_and_or_b32 v3, 0x8000, v3, v5
	v_lshl_or_b32 v3, v30, 7, v3
	s_delay_alu instid0(VALU_DEP_1)
	v_cvt_f32_f16_e64 v165, v3
.LBB373_1673:                           ;   in Loop: Header=BB373_11 Depth=1
	s_or_b32 exec_lo, exec_lo, s18
.LBB373_1674:                           ;   in Loop: Header=BB373_11 Depth=1
	s_delay_alu instid0(SALU_CYCLE_1)
	s_or_b32 exec_lo, exec_lo, s17
.LBB373_1675:                           ;   in Loop: Header=BB373_11 Depth=1
	s_delay_alu instid0(SALU_CYCLE_1) | instskip(SKIP_4) | instid1(VALU_DEP_1)
	s_or_b32 exec_lo, exec_lo, s15
	flat_load_b64 v[30:31], v[28:29] offset:2560
	s_mov_b32 s15, exec_lo
	s_waitcnt vmcnt(0) lgkmcnt(0)
	v_and_b32_e32 v3, 0xff, v30
	v_cmpx_ne_u16_e32 0, v3
	s_cbranch_execz .LBB373_1683
; %bb.1676:                             ;   in Loop: Header=BB373_11 Depth=1
	v_bfrev_b32_e32 v112, 1
	s_mov_b32 s17, exec_lo
	v_cmpx_ne_u16_e32 0x80, v3
	s_cbranch_execz .LBB373_1682
; %bb.1677:                             ;   in Loop: Header=BB373_11 Depth=1
	v_and_b32_e32 v5, 0x7f, v30
	v_mov_b32_e32 v112, 0x7fc02000
	s_mov_b32 s18, exec_lo
	s_delay_alu instid0(VALU_DEP_2)
	v_cmpx_ne_u32_e32 0x7f, v5
	s_cbranch_execz .LBB373_1681
; %bb.1678:                             ;   in Loop: Header=BB373_11 Depth=1
	v_lshrrev_b32_e32 v3, 3, v5
	v_dual_mov_b32 v33, v31 :: v_dual_mov_b32 v32, v30
	s_mov_b32 s19, exec_lo
	v_cmpx_gt_u32_e32 8, v5
; %bb.1679:                             ;   in Loop: Header=BB373_11 Depth=1
	v_and_b32_e32 v3, 7, v30
	s_delay_alu instid0(VALU_DEP_1) | instskip(NEXT) | instid1(VALU_DEP_1)
	v_clz_i32_u32_e32 v3, v3
	v_min_u32_e32 v3, 32, v3
	s_delay_alu instid0(VALU_DEP_1) | instskip(SKIP_1) | instid1(VALU_DEP_2)
	v_subrev_nc_u32_e32 v5, 28, v3
	v_sub_nc_u32_e32 v3, 29, v3
	v_lshlrev_b64 v[32:33], v5, v[30:31]
; %bb.1680:                             ;   in Loop: Header=BB373_11 Depth=1
	s_or_b32 exec_lo, exec_lo, s19
	v_lshlrev_b32_e32 v5, 8, v30
	s_delay_alu instid0(VALU_DEP_3) | instskip(NEXT) | instid1(VALU_DEP_3)
	v_lshl_add_u32 v3, v3, 10, 0x2000
	v_lshlrev_b32_e32 v8, 7, v32
	s_delay_alu instid0(VALU_DEP_2) | instskip(NEXT) | instid1(VALU_DEP_1)
	v_and_or_b32 v3, 0x8000, v5, v3
	v_and_or_b32 v3, 0x380, v8, v3
	s_delay_alu instid0(VALU_DEP_1)
	v_cvt_f32_f16_e32 v112, v3
.LBB373_1681:                           ;   in Loop: Header=BB373_11 Depth=1
	s_or_b32 exec_lo, exec_lo, s18
.LBB373_1682:                           ;   in Loop: Header=BB373_11 Depth=1
	s_delay_alu instid0(SALU_CYCLE_1)
	s_or_b32 exec_lo, exec_lo, s17
.LBB373_1683:                           ;   in Loop: Header=BB373_11 Depth=1
	s_delay_alu instid0(SALU_CYCLE_1) | instskip(SKIP_3) | instid1(VALU_DEP_2)
	s_or_b32 exec_lo, exec_lo, s15
	v_lshrrev_b16 v3, 8, v30
	v_dual_mov_b32 v113, 0 :: v_dual_mov_b32 v116, 0
	s_mov_b32 s15, exec_lo
	v_cmpx_ne_u16_e32 0, v3
	s_cbranch_execz .LBB373_1691
; %bb.1684:                             ;   in Loop: Header=BB373_11 Depth=1
	v_bfrev_b32_e32 v116, 1
	s_mov_b32 s17, exec_lo
	v_cmpx_ne_u16_e32 0x80, v3
	s_cbranch_execz .LBB373_1690
; %bb.1685:                             ;   in Loop: Header=BB373_11 Depth=1
	v_and_b32_e32 v3, 0xffff, v3
	v_mov_b32_e32 v116, 0x7fc02000
	s_mov_b32 s18, exec_lo
	s_delay_alu instid0(VALU_DEP_2) | instskip(NEXT) | instid1(VALU_DEP_1)
	v_and_b32_e32 v12, 0x7f, v3
	v_cmpx_ne_u32_e32 0x7f, v12
	s_cbranch_execz .LBB373_1689
; %bb.1686:                             ;   in Loop: Header=BB373_11 Depth=1
	v_and_b32_e32 v8, 7, v3
	v_mov_b32_e32 v33, v9
	v_lshrrev_b32_e32 v5, 3, v12
	s_mov_b32 s19, exec_lo
	s_delay_alu instid0(VALU_DEP_3)
	v_mov_b32_e32 v32, v8
	v_cmpx_gt_u32_e32 8, v12
; %bb.1687:                             ;   in Loop: Header=BB373_11 Depth=1
	v_clz_i32_u32_e32 v5, v8
	s_delay_alu instid0(VALU_DEP_1) | instskip(NEXT) | instid1(VALU_DEP_1)
	v_min_u32_e32 v5, 32, v5
	v_subrev_nc_u32_e32 v12, 28, v5
	v_sub_nc_u32_e32 v5, 29, v5
	s_delay_alu instid0(VALU_DEP_2) | instskip(NEXT) | instid1(VALU_DEP_1)
	v_lshlrev_b64 v[12:13], v12, v[8:9]
	v_and_b32_e32 v32, 7, v12
; %bb.1688:                             ;   in Loop: Header=BB373_11 Depth=1
	s_or_b32 exec_lo, exec_lo, s19
	v_lshlrev_b32_e32 v3, 8, v3
	v_lshl_add_u32 v5, v5, 10, 0x2000
	s_delay_alu instid0(VALU_DEP_1) | instskip(NEXT) | instid1(VALU_DEP_1)
	v_and_or_b32 v3, 0x8000, v3, v5
	v_lshl_or_b32 v3, v32, 7, v3
	s_delay_alu instid0(VALU_DEP_1)
	v_cvt_f32_f16_e32 v116, v3
.LBB373_1689:                           ;   in Loop: Header=BB373_11 Depth=1
	s_or_b32 exec_lo, exec_lo, s18
.LBB373_1690:                           ;   in Loop: Header=BB373_11 Depth=1
	s_delay_alu instid0(SALU_CYCLE_1)
	s_or_b32 exec_lo, exec_lo, s17
.LBB373_1691:                           ;   in Loop: Header=BB373_11 Depth=1
	s_delay_alu instid0(SALU_CYCLE_1) | instskip(SKIP_2) | instid1(VALU_DEP_1)
	s_or_b32 exec_lo, exec_lo, s15
	v_lshrrev_b32_e32 v3, 16, v30
	s_mov_b32 s15, exec_lo
	v_and_b32_e32 v5, 0xff, v3
	s_delay_alu instid0(VALU_DEP_1)
	v_cmpx_ne_u16_e32 0, v5
	s_cbranch_execz .LBB373_1699
; %bb.1692:                             ;   in Loop: Header=BB373_11 Depth=1
	v_bfrev_b32_e32 v113, 1
	s_mov_b32 s17, exec_lo
	v_cmpx_ne_u16_e32 0x80, v5
	s_cbranch_execz .LBB373_1698
; %bb.1693:                             ;   in Loop: Header=BB373_11 Depth=1
	v_bfe_u32 v12, v30, 16, 7
	v_mov_b32_e32 v113, 0x7fc02000
	s_mov_b32 s18, exec_lo
	s_delay_alu instid0(VALU_DEP_2)
	v_cmpx_ne_u32_e32 0x7f, v12
	s_cbranch_execz .LBB373_1697
; %bb.1694:                             ;   in Loop: Header=BB373_11 Depth=1
	v_and_b32_e32 v8, 7, v3
	v_mov_b32_e32 v33, v9
	v_lshrrev_b32_e32 v5, 3, v12
	s_mov_b32 s19, exec_lo
	s_delay_alu instid0(VALU_DEP_3)
	v_mov_b32_e32 v32, v8
	v_cmpx_gt_u32_e32 8, v12
; %bb.1695:                             ;   in Loop: Header=BB373_11 Depth=1
	v_clz_i32_u32_e32 v5, v8
	s_delay_alu instid0(VALU_DEP_1) | instskip(NEXT) | instid1(VALU_DEP_1)
	v_min_u32_e32 v5, 32, v5
	v_subrev_nc_u32_e32 v12, 28, v5
	v_sub_nc_u32_e32 v5, 29, v5
	s_delay_alu instid0(VALU_DEP_2) | instskip(NEXT) | instid1(VALU_DEP_1)
	v_lshlrev_b64 v[12:13], v12, v[8:9]
	v_and_b32_e32 v32, 7, v12
; %bb.1696:                             ;   in Loop: Header=BB373_11 Depth=1
	s_or_b32 exec_lo, exec_lo, s19
	v_lshlrev_b32_e32 v3, 8, v3
	v_lshl_add_u32 v5, v5, 10, 0x2000
	s_delay_alu instid0(VALU_DEP_1) | instskip(NEXT) | instid1(VALU_DEP_1)
	v_and_or_b32 v3, 0x8000, v3, v5
	v_lshl_or_b32 v3, v32, 7, v3
	s_delay_alu instid0(VALU_DEP_1)
	v_cvt_f32_f16_e32 v113, v3
.LBB373_1697:                           ;   in Loop: Header=BB373_11 Depth=1
	s_or_b32 exec_lo, exec_lo, s18
.LBB373_1698:                           ;   in Loop: Header=BB373_11 Depth=1
	s_delay_alu instid0(SALU_CYCLE_1)
	s_or_b32 exec_lo, exec_lo, s17
.LBB373_1699:                           ;   in Loop: Header=BB373_11 Depth=1
	s_delay_alu instid0(SALU_CYCLE_1)
	s_or_b32 exec_lo, exec_lo, s15
	v_dual_mov_b32 v117, 0 :: v_dual_mov_b32 v118, 0
	s_mov_b32 s15, exec_lo
	v_cmpx_lt_u32_e32 0xffffff, v30
	s_cbranch_execz .LBB373_1707
; %bb.1700:                             ;   in Loop: Header=BB373_11 Depth=1
	v_lshrrev_b32_e32 v3, 24, v30
	v_bfrev_b32_e32 v118, 1
	s_mov_b32 s17, exec_lo
	s_delay_alu instid0(VALU_DEP_2)
	v_cmpx_ne_u32_e32 0x80, v3
	s_cbranch_execz .LBB373_1706
; %bb.1701:                             ;   in Loop: Header=BB373_11 Depth=1
	v_and_b32_e32 v12, 0x7f, v3
	v_mov_b32_e32 v118, 0x7fc02000
	s_mov_b32 s18, exec_lo
	s_delay_alu instid0(VALU_DEP_2)
	v_cmpx_ne_u32_e32 0x7f, v12
	s_cbranch_execz .LBB373_1705
; %bb.1702:                             ;   in Loop: Header=BB373_11 Depth=1
	v_and_b32_e32 v8, 7, v3
	v_mov_b32_e32 v33, v9
	v_lshrrev_b32_e32 v5, 3, v12
	s_mov_b32 s19, exec_lo
	s_delay_alu instid0(VALU_DEP_3)
	v_mov_b32_e32 v32, v8
	v_cmpx_gt_u32_e32 8, v12
; %bb.1703:                             ;   in Loop: Header=BB373_11 Depth=1
	v_clz_i32_u32_e32 v5, v8
	s_delay_alu instid0(VALU_DEP_1) | instskip(NEXT) | instid1(VALU_DEP_1)
	v_min_u32_e32 v5, 32, v5
	v_subrev_nc_u32_e32 v12, 28, v5
	v_sub_nc_u32_e32 v5, 29, v5
	s_delay_alu instid0(VALU_DEP_2) | instskip(NEXT) | instid1(VALU_DEP_1)
	v_lshlrev_b64 v[12:13], v12, v[8:9]
	v_and_b32_e32 v32, 7, v12
; %bb.1704:                             ;   in Loop: Header=BB373_11 Depth=1
	s_or_b32 exec_lo, exec_lo, s19
	v_lshlrev_b32_e32 v3, 8, v3
	v_lshl_add_u32 v5, v5, 10, 0x2000
	s_delay_alu instid0(VALU_DEP_1) | instskip(NEXT) | instid1(VALU_DEP_1)
	v_and_or_b32 v3, 0x8000, v3, v5
	v_lshl_or_b32 v3, v32, 7, v3
	s_delay_alu instid0(VALU_DEP_1)
	v_cvt_f32_f16_e32 v118, v3
.LBB373_1705:                           ;   in Loop: Header=BB373_11 Depth=1
	s_or_b32 exec_lo, exec_lo, s18
.LBB373_1706:                           ;   in Loop: Header=BB373_11 Depth=1
	s_delay_alu instid0(SALU_CYCLE_1)
	s_or_b32 exec_lo, exec_lo, s17
.LBB373_1707:                           ;   in Loop: Header=BB373_11 Depth=1
	s_delay_alu instid0(SALU_CYCLE_1) | instskip(SKIP_2) | instid1(VALU_DEP_1)
	s_or_b32 exec_lo, exec_lo, s15
	v_dual_mov_b32 v8, v31 :: v_dual_and_b32 v3, 0xff, v31
	s_mov_b32 s15, exec_lo
	v_cmpx_ne_u16_e32 0, v3
	s_cbranch_execz .LBB373_1715
; %bb.1708:                             ;   in Loop: Header=BB373_11 Depth=1
	v_bfrev_b32_e32 v117, 1
	s_mov_b32 s17, exec_lo
	v_cmpx_ne_u16_e32 0x80, v3
	s_cbranch_execz .LBB373_1714
; %bb.1709:                             ;   in Loop: Header=BB373_11 Depth=1
	v_and_b32_e32 v5, 0x7f, v31
	v_mov_b32_e32 v117, 0x7fc02000
	s_mov_b32 s18, exec_lo
	s_delay_alu instid0(VALU_DEP_2)
	v_cmpx_ne_u32_e32 0x7f, v5
	s_cbranch_execz .LBB373_1713
; %bb.1710:                             ;   in Loop: Header=BB373_11 Depth=1
	v_dual_mov_b32 v33, v9 :: v_dual_mov_b32 v32, v8
	v_lshrrev_b32_e32 v3, 3, v5
	s_mov_b32 s19, exec_lo
	v_cmpx_gt_u32_e32 8, v5
; %bb.1711:                             ;   in Loop: Header=BB373_11 Depth=1
	v_and_b32_e32 v3, 7, v31
	s_delay_alu instid0(VALU_DEP_1) | instskip(NEXT) | instid1(VALU_DEP_1)
	v_clz_i32_u32_e32 v3, v3
	v_min_u32_e32 v3, 32, v3
	s_delay_alu instid0(VALU_DEP_1) | instskip(SKIP_1) | instid1(VALU_DEP_2)
	v_subrev_nc_u32_e32 v5, 28, v3
	v_sub_nc_u32_e32 v3, 29, v3
	v_lshlrev_b64 v[32:33], v5, v[8:9]
; %bb.1712:                             ;   in Loop: Header=BB373_11 Depth=1
	s_or_b32 exec_lo, exec_lo, s19
	v_lshlrev_b32_e32 v5, 8, v31
	s_delay_alu instid0(VALU_DEP_3) | instskip(NEXT) | instid1(VALU_DEP_3)
	v_lshl_add_u32 v3, v3, 10, 0x2000
	v_lshlrev_b32_e32 v12, 7, v32
	s_delay_alu instid0(VALU_DEP_2) | instskip(NEXT) | instid1(VALU_DEP_1)
	v_and_or_b32 v3, 0x8000, v5, v3
	v_and_or_b32 v3, 0x380, v12, v3
	s_delay_alu instid0(VALU_DEP_1)
	v_cvt_f32_f16_e32 v117, v3
.LBB373_1713:                           ;   in Loop: Header=BB373_11 Depth=1
	s_or_b32 exec_lo, exec_lo, s18
.LBB373_1714:                           ;   in Loop: Header=BB373_11 Depth=1
	s_delay_alu instid0(SALU_CYCLE_1)
	s_or_b32 exec_lo, exec_lo, s17
.LBB373_1715:                           ;   in Loop: Header=BB373_11 Depth=1
	s_delay_alu instid0(SALU_CYCLE_1) | instskip(SKIP_3) | instid1(VALU_DEP_2)
	s_or_b32 exec_lo, exec_lo, s15
	v_lshrrev_b16 v3, 8, v8
	v_dual_mov_b32 v145, 0 :: v_dual_mov_b32 v146, 0
	s_mov_b32 s15, exec_lo
	v_cmpx_ne_u16_e32 0, v3
	s_cbranch_execz .LBB373_1723
; %bb.1716:                             ;   in Loop: Header=BB373_11 Depth=1
	v_bfrev_b32_e32 v146, 1
	s_mov_b32 s17, exec_lo
	v_cmpx_ne_u16_e32 0x80, v3
	s_cbranch_execz .LBB373_1722
; %bb.1717:                             ;   in Loop: Header=BB373_11 Depth=1
	v_and_b32_e32 v3, 0xffff, v3
	v_mov_b32_e32 v146, 0x7fc02000
	s_mov_b32 s18, exec_lo
	s_delay_alu instid0(VALU_DEP_2) | instskip(NEXT) | instid1(VALU_DEP_1)
	v_and_b32_e32 v12, 0x7f, v3
	v_cmpx_ne_u32_e32 0x7f, v12
	s_cbranch_execz .LBB373_1721
; %bb.1718:                             ;   in Loop: Header=BB373_11 Depth=1
	v_and_b32_e32 v8, 7, v3
	v_mov_b32_e32 v33, v9
	v_lshrrev_b32_e32 v5, 3, v12
	s_mov_b32 s19, exec_lo
	s_delay_alu instid0(VALU_DEP_3)
	v_mov_b32_e32 v32, v8
	v_cmpx_gt_u32_e32 8, v12
; %bb.1719:                             ;   in Loop: Header=BB373_11 Depth=1
	v_clz_i32_u32_e32 v5, v8
	s_delay_alu instid0(VALU_DEP_1) | instskip(NEXT) | instid1(VALU_DEP_1)
	v_min_u32_e32 v5, 32, v5
	v_subrev_nc_u32_e32 v12, 28, v5
	v_sub_nc_u32_e32 v5, 29, v5
	s_delay_alu instid0(VALU_DEP_2) | instskip(NEXT) | instid1(VALU_DEP_1)
	v_lshlrev_b64 v[12:13], v12, v[8:9]
	v_and_b32_e32 v32, 7, v12
; %bb.1720:                             ;   in Loop: Header=BB373_11 Depth=1
	s_or_b32 exec_lo, exec_lo, s19
	v_lshlrev_b32_e32 v3, 8, v3
	v_lshl_add_u32 v5, v5, 10, 0x2000
	s_delay_alu instid0(VALU_DEP_1) | instskip(NEXT) | instid1(VALU_DEP_1)
	v_and_or_b32 v3, 0x8000, v3, v5
	v_lshl_or_b32 v3, v32, 7, v3
	s_delay_alu instid0(VALU_DEP_1)
	v_cvt_f32_f16_e64 v146, v3
.LBB373_1721:                           ;   in Loop: Header=BB373_11 Depth=1
	s_or_b32 exec_lo, exec_lo, s18
.LBB373_1722:                           ;   in Loop: Header=BB373_11 Depth=1
	s_delay_alu instid0(SALU_CYCLE_1)
	s_or_b32 exec_lo, exec_lo, s17
.LBB373_1723:                           ;   in Loop: Header=BB373_11 Depth=1
	s_delay_alu instid0(SALU_CYCLE_1) | instskip(SKIP_2) | instid1(VALU_DEP_1)
	s_or_b32 exec_lo, exec_lo, s15
	v_lshrrev_b32_e32 v3, 16, v31
	s_mov_b32 s15, exec_lo
	v_and_b32_e32 v5, 0xff, v3
	s_delay_alu instid0(VALU_DEP_1)
	v_cmpx_ne_u16_e32 0, v5
	s_cbranch_execz .LBB373_1731
; %bb.1724:                             ;   in Loop: Header=BB373_11 Depth=1
	v_bfrev_b32_e32 v145, 1
	s_mov_b32 s17, exec_lo
	v_cmpx_ne_u16_e32 0x80, v5
	s_cbranch_execz .LBB373_1730
; %bb.1725:                             ;   in Loop: Header=BB373_11 Depth=1
	v_bfe_u32 v12, v31, 16, 7
	v_mov_b32_e32 v145, 0x7fc02000
	s_mov_b32 s18, exec_lo
	s_delay_alu instid0(VALU_DEP_2)
	v_cmpx_ne_u32_e32 0x7f, v12
	s_cbranch_execz .LBB373_1729
; %bb.1726:                             ;   in Loop: Header=BB373_11 Depth=1
	v_and_b32_e32 v8, 7, v3
	v_mov_b32_e32 v33, v9
	v_lshrrev_b32_e32 v5, 3, v12
	s_mov_b32 s19, exec_lo
	s_delay_alu instid0(VALU_DEP_3)
	v_mov_b32_e32 v32, v8
	v_cmpx_gt_u32_e32 8, v12
; %bb.1727:                             ;   in Loop: Header=BB373_11 Depth=1
	v_clz_i32_u32_e32 v5, v8
	s_delay_alu instid0(VALU_DEP_1) | instskip(NEXT) | instid1(VALU_DEP_1)
	v_min_u32_e32 v5, 32, v5
	v_subrev_nc_u32_e32 v12, 28, v5
	v_sub_nc_u32_e32 v5, 29, v5
	s_delay_alu instid0(VALU_DEP_2) | instskip(NEXT) | instid1(VALU_DEP_1)
	v_lshlrev_b64 v[12:13], v12, v[8:9]
	v_and_b32_e32 v32, 7, v12
; %bb.1728:                             ;   in Loop: Header=BB373_11 Depth=1
	s_or_b32 exec_lo, exec_lo, s19
	v_lshlrev_b32_e32 v3, 8, v3
	v_lshl_add_u32 v5, v5, 10, 0x2000
	s_delay_alu instid0(VALU_DEP_1) | instskip(NEXT) | instid1(VALU_DEP_1)
	v_and_or_b32 v3, 0x8000, v3, v5
	v_lshl_or_b32 v3, v32, 7, v3
	s_delay_alu instid0(VALU_DEP_1)
	v_cvt_f32_f16_e64 v145, v3
.LBB373_1729:                           ;   in Loop: Header=BB373_11 Depth=1
	s_or_b32 exec_lo, exec_lo, s18
.LBB373_1730:                           ;   in Loop: Header=BB373_11 Depth=1
	s_delay_alu instid0(SALU_CYCLE_1)
	s_or_b32 exec_lo, exec_lo, s17
.LBB373_1731:                           ;   in Loop: Header=BB373_11 Depth=1
	s_delay_alu instid0(SALU_CYCLE_1)
	s_or_b32 exec_lo, exec_lo, s15
	v_dual_mov_b32 v86, 0 :: v_dual_mov_b32 v147, 0
	s_mov_b32 s15, exec_lo
	v_cmpx_lt_u64_e64 s[2:3], v[30:31]
	s_cbranch_execz .LBB373_1739
; %bb.1732:                             ;   in Loop: Header=BB373_11 Depth=1
	v_lshrrev_b32_e32 v3, 24, v31
	v_bfrev_b32_e32 v147, 1
	s_mov_b32 s17, exec_lo
	s_delay_alu instid0(VALU_DEP_2)
	v_cmpx_ne_u32_e32 0x80, v3
	s_cbranch_execz .LBB373_1738
; %bb.1733:                             ;   in Loop: Header=BB373_11 Depth=1
	v_and_b32_e32 v12, 0x7f, v3
	v_mov_b32_e32 v147, 0x7fc02000
	s_mov_b32 s18, exec_lo
	s_delay_alu instid0(VALU_DEP_2)
	v_cmpx_ne_u32_e32 0x7f, v12
	s_cbranch_execz .LBB373_1737
; %bb.1734:                             ;   in Loop: Header=BB373_11 Depth=1
	v_and_b32_e32 v8, 7, v3
	v_mov_b32_e32 v31, v9
	v_lshrrev_b32_e32 v5, 3, v12
	s_mov_b32 s19, exec_lo
	s_delay_alu instid0(VALU_DEP_3)
	v_mov_b32_e32 v30, v8
	v_cmpx_gt_u32_e32 8, v12
; %bb.1735:                             ;   in Loop: Header=BB373_11 Depth=1
	v_clz_i32_u32_e32 v5, v8
	s_delay_alu instid0(VALU_DEP_1) | instskip(NEXT) | instid1(VALU_DEP_1)
	v_min_u32_e32 v5, 32, v5
	v_subrev_nc_u32_e32 v12, 28, v5
	v_sub_nc_u32_e32 v5, 29, v5
	s_delay_alu instid0(VALU_DEP_2) | instskip(NEXT) | instid1(VALU_DEP_1)
	v_lshlrev_b64 v[12:13], v12, v[8:9]
	v_and_b32_e32 v30, 7, v12
; %bb.1736:                             ;   in Loop: Header=BB373_11 Depth=1
	s_or_b32 exec_lo, exec_lo, s19
	v_lshlrev_b32_e32 v3, 8, v3
	v_lshl_add_u32 v5, v5, 10, 0x2000
	s_delay_alu instid0(VALU_DEP_1) | instskip(NEXT) | instid1(VALU_DEP_1)
	v_and_or_b32 v3, 0x8000, v3, v5
	v_lshl_or_b32 v3, v30, 7, v3
	s_delay_alu instid0(VALU_DEP_1)
	v_cvt_f32_f16_e64 v147, v3
.LBB373_1737:                           ;   in Loop: Header=BB373_11 Depth=1
	s_or_b32 exec_lo, exec_lo, s18
.LBB373_1738:                           ;   in Loop: Header=BB373_11 Depth=1
	s_delay_alu instid0(SALU_CYCLE_1)
	s_or_b32 exec_lo, exec_lo, s17
.LBB373_1739:                           ;   in Loop: Header=BB373_11 Depth=1
	s_delay_alu instid0(SALU_CYCLE_1) | instskip(SKIP_4) | instid1(VALU_DEP_1)
	s_or_b32 exec_lo, exec_lo, s15
	flat_load_b64 v[30:31], v[28:29] offset:2568
	s_mov_b32 s15, exec_lo
	s_waitcnt vmcnt(0) lgkmcnt(0)
	v_and_b32_e32 v3, 0xff, v30
	v_cmpx_ne_u16_e32 0, v3
	s_cbranch_execz .LBB373_1747
; %bb.1740:                             ;   in Loop: Header=BB373_11 Depth=1
	v_bfrev_b32_e32 v86, 1
	s_mov_b32 s17, exec_lo
	v_cmpx_ne_u16_e32 0x80, v3
	s_cbranch_execz .LBB373_1746
; %bb.1741:                             ;   in Loop: Header=BB373_11 Depth=1
	v_and_b32_e32 v5, 0x7f, v30
	v_mov_b32_e32 v86, 0x7fc02000
	s_mov_b32 s18, exec_lo
	s_delay_alu instid0(VALU_DEP_2)
	v_cmpx_ne_u32_e32 0x7f, v5
	s_cbranch_execz .LBB373_1745
; %bb.1742:                             ;   in Loop: Header=BB373_11 Depth=1
	v_lshrrev_b32_e32 v3, 3, v5
	v_dual_mov_b32 v33, v31 :: v_dual_mov_b32 v32, v30
	s_mov_b32 s19, exec_lo
	v_cmpx_gt_u32_e32 8, v5
; %bb.1743:                             ;   in Loop: Header=BB373_11 Depth=1
	v_and_b32_e32 v3, 7, v30
	s_delay_alu instid0(VALU_DEP_1) | instskip(NEXT) | instid1(VALU_DEP_1)
	v_clz_i32_u32_e32 v3, v3
	v_min_u32_e32 v3, 32, v3
	s_delay_alu instid0(VALU_DEP_1) | instskip(SKIP_1) | instid1(VALU_DEP_2)
	v_subrev_nc_u32_e32 v5, 28, v3
	v_sub_nc_u32_e32 v3, 29, v3
	v_lshlrev_b64 v[32:33], v5, v[30:31]
; %bb.1744:                             ;   in Loop: Header=BB373_11 Depth=1
	s_or_b32 exec_lo, exec_lo, s19
	v_lshlrev_b32_e32 v5, 8, v30
	s_delay_alu instid0(VALU_DEP_3) | instskip(NEXT) | instid1(VALU_DEP_3)
	v_lshl_add_u32 v3, v3, 10, 0x2000
	v_lshlrev_b32_e32 v8, 7, v32
	s_delay_alu instid0(VALU_DEP_2) | instskip(NEXT) | instid1(VALU_DEP_1)
	v_and_or_b32 v3, 0x8000, v5, v3
	v_and_or_b32 v3, 0x380, v8, v3
	s_delay_alu instid0(VALU_DEP_1)
	v_cvt_f32_f16_e32 v86, v3
.LBB373_1745:                           ;   in Loop: Header=BB373_11 Depth=1
	s_or_b32 exec_lo, exec_lo, s18
.LBB373_1746:                           ;   in Loop: Header=BB373_11 Depth=1
	s_delay_alu instid0(SALU_CYCLE_1)
	s_or_b32 exec_lo, exec_lo, s17
.LBB373_1747:                           ;   in Loop: Header=BB373_11 Depth=1
	s_delay_alu instid0(SALU_CYCLE_1) | instskip(SKIP_3) | instid1(VALU_DEP_2)
	s_or_b32 exec_lo, exec_lo, s15
	v_lshrrev_b16 v3, 8, v30
	v_dual_mov_b32 v87, 0 :: v_dual_mov_b32 v98, 0
	s_mov_b32 s15, exec_lo
	v_cmpx_ne_u16_e32 0, v3
	s_cbranch_execz .LBB373_1755
; %bb.1748:                             ;   in Loop: Header=BB373_11 Depth=1
	v_bfrev_b32_e32 v98, 1
	s_mov_b32 s17, exec_lo
	v_cmpx_ne_u16_e32 0x80, v3
	s_cbranch_execz .LBB373_1754
; %bb.1749:                             ;   in Loop: Header=BB373_11 Depth=1
	v_and_b32_e32 v3, 0xffff, v3
	v_mov_b32_e32 v98, 0x7fc02000
	s_mov_b32 s18, exec_lo
	s_delay_alu instid0(VALU_DEP_2) | instskip(NEXT) | instid1(VALU_DEP_1)
	v_and_b32_e32 v12, 0x7f, v3
	v_cmpx_ne_u32_e32 0x7f, v12
	s_cbranch_execz .LBB373_1753
; %bb.1750:                             ;   in Loop: Header=BB373_11 Depth=1
	v_and_b32_e32 v8, 7, v3
	v_mov_b32_e32 v33, v9
	v_lshrrev_b32_e32 v5, 3, v12
	s_mov_b32 s19, exec_lo
	s_delay_alu instid0(VALU_DEP_3)
	v_mov_b32_e32 v32, v8
	v_cmpx_gt_u32_e32 8, v12
; %bb.1751:                             ;   in Loop: Header=BB373_11 Depth=1
	v_clz_i32_u32_e32 v5, v8
	s_delay_alu instid0(VALU_DEP_1) | instskip(NEXT) | instid1(VALU_DEP_1)
	v_min_u32_e32 v5, 32, v5
	v_subrev_nc_u32_e32 v12, 28, v5
	v_sub_nc_u32_e32 v5, 29, v5
	s_delay_alu instid0(VALU_DEP_2) | instskip(NEXT) | instid1(VALU_DEP_1)
	v_lshlrev_b64 v[12:13], v12, v[8:9]
	v_and_b32_e32 v32, 7, v12
; %bb.1752:                             ;   in Loop: Header=BB373_11 Depth=1
	s_or_b32 exec_lo, exec_lo, s19
	v_lshlrev_b32_e32 v3, 8, v3
	v_lshl_add_u32 v5, v5, 10, 0x2000
	s_delay_alu instid0(VALU_DEP_1) | instskip(NEXT) | instid1(VALU_DEP_1)
	v_and_or_b32 v3, 0x8000, v3, v5
	v_lshl_or_b32 v3, v32, 7, v3
	s_delay_alu instid0(VALU_DEP_1)
	v_cvt_f32_f16_e32 v98, v3
.LBB373_1753:                           ;   in Loop: Header=BB373_11 Depth=1
	s_or_b32 exec_lo, exec_lo, s18
.LBB373_1754:                           ;   in Loop: Header=BB373_11 Depth=1
	s_delay_alu instid0(SALU_CYCLE_1)
	s_or_b32 exec_lo, exec_lo, s17
.LBB373_1755:                           ;   in Loop: Header=BB373_11 Depth=1
	s_delay_alu instid0(SALU_CYCLE_1) | instskip(SKIP_2) | instid1(VALU_DEP_1)
	s_or_b32 exec_lo, exec_lo, s15
	v_lshrrev_b32_e32 v3, 16, v30
	s_mov_b32 s15, exec_lo
	v_and_b32_e32 v5, 0xff, v3
	s_delay_alu instid0(VALU_DEP_1)
	v_cmpx_ne_u16_e32 0, v5
	s_cbranch_execz .LBB373_1763
; %bb.1756:                             ;   in Loop: Header=BB373_11 Depth=1
	v_bfrev_b32_e32 v87, 1
	s_mov_b32 s17, exec_lo
	v_cmpx_ne_u16_e32 0x80, v5
	s_cbranch_execz .LBB373_1762
; %bb.1757:                             ;   in Loop: Header=BB373_11 Depth=1
	v_bfe_u32 v12, v30, 16, 7
	v_mov_b32_e32 v87, 0x7fc02000
	s_mov_b32 s18, exec_lo
	s_delay_alu instid0(VALU_DEP_2)
	v_cmpx_ne_u32_e32 0x7f, v12
	s_cbranch_execz .LBB373_1761
; %bb.1758:                             ;   in Loop: Header=BB373_11 Depth=1
	v_and_b32_e32 v8, 7, v3
	v_mov_b32_e32 v33, v9
	v_lshrrev_b32_e32 v5, 3, v12
	s_mov_b32 s19, exec_lo
	s_delay_alu instid0(VALU_DEP_3)
	v_mov_b32_e32 v32, v8
	v_cmpx_gt_u32_e32 8, v12
; %bb.1759:                             ;   in Loop: Header=BB373_11 Depth=1
	v_clz_i32_u32_e32 v5, v8
	s_delay_alu instid0(VALU_DEP_1) | instskip(NEXT) | instid1(VALU_DEP_1)
	v_min_u32_e32 v5, 32, v5
	v_subrev_nc_u32_e32 v12, 28, v5
	v_sub_nc_u32_e32 v5, 29, v5
	s_delay_alu instid0(VALU_DEP_2) | instskip(NEXT) | instid1(VALU_DEP_1)
	v_lshlrev_b64 v[12:13], v12, v[8:9]
	v_and_b32_e32 v32, 7, v12
; %bb.1760:                             ;   in Loop: Header=BB373_11 Depth=1
	s_or_b32 exec_lo, exec_lo, s19
	v_lshlrev_b32_e32 v3, 8, v3
	v_lshl_add_u32 v5, v5, 10, 0x2000
	s_delay_alu instid0(VALU_DEP_1) | instskip(NEXT) | instid1(VALU_DEP_1)
	v_and_or_b32 v3, 0x8000, v3, v5
	v_lshl_or_b32 v3, v32, 7, v3
	s_delay_alu instid0(VALU_DEP_1)
	v_cvt_f32_f16_e32 v87, v3
.LBB373_1761:                           ;   in Loop: Header=BB373_11 Depth=1
	s_or_b32 exec_lo, exec_lo, s18
.LBB373_1762:                           ;   in Loop: Header=BB373_11 Depth=1
	s_delay_alu instid0(SALU_CYCLE_1)
	s_or_b32 exec_lo, exec_lo, s17
.LBB373_1763:                           ;   in Loop: Header=BB373_11 Depth=1
	s_delay_alu instid0(SALU_CYCLE_1)
	s_or_b32 exec_lo, exec_lo, s15
	v_mov_b32_e32 v51, 0
	v_mov_b32_e32 v53, 0
	s_mov_b32 s15, exec_lo
	v_cmpx_lt_u32_e32 0xffffff, v30
	s_cbranch_execz .LBB373_1771
; %bb.1764:                             ;   in Loop: Header=BB373_11 Depth=1
	v_lshrrev_b32_e32 v3, 24, v30
	v_bfrev_b32_e32 v53, 1
	s_mov_b32 s17, exec_lo
	s_delay_alu instid0(VALU_DEP_2)
	v_cmpx_ne_u32_e32 0x80, v3
	s_cbranch_execz .LBB373_1770
; %bb.1765:                             ;   in Loop: Header=BB373_11 Depth=1
	v_and_b32_e32 v12, 0x7f, v3
	v_mov_b32_e32 v53, 0x7fc02000
	s_mov_b32 s18, exec_lo
	s_delay_alu instid0(VALU_DEP_2)
	v_cmpx_ne_u32_e32 0x7f, v12
	s_cbranch_execz .LBB373_1769
; %bb.1766:                             ;   in Loop: Header=BB373_11 Depth=1
	v_and_b32_e32 v8, 7, v3
	v_mov_b32_e32 v33, v9
	v_lshrrev_b32_e32 v5, 3, v12
	s_mov_b32 s19, exec_lo
	s_delay_alu instid0(VALU_DEP_3)
	v_mov_b32_e32 v32, v8
	v_cmpx_gt_u32_e32 8, v12
; %bb.1767:                             ;   in Loop: Header=BB373_11 Depth=1
	v_clz_i32_u32_e32 v5, v8
	s_delay_alu instid0(VALU_DEP_1) | instskip(NEXT) | instid1(VALU_DEP_1)
	v_min_u32_e32 v5, 32, v5
	v_subrev_nc_u32_e32 v12, 28, v5
	v_sub_nc_u32_e32 v5, 29, v5
	s_delay_alu instid0(VALU_DEP_2) | instskip(NEXT) | instid1(VALU_DEP_1)
	v_lshlrev_b64 v[12:13], v12, v[8:9]
	v_and_b32_e32 v32, 7, v12
; %bb.1768:                             ;   in Loop: Header=BB373_11 Depth=1
	s_or_b32 exec_lo, exec_lo, s19
	v_lshlrev_b32_e32 v3, 8, v3
	v_lshl_add_u32 v5, v5, 10, 0x2000
	s_delay_alu instid0(VALU_DEP_1) | instskip(NEXT) | instid1(VALU_DEP_1)
	v_and_or_b32 v3, 0x8000, v3, v5
	v_lshl_or_b32 v3, v32, 7, v3
	s_delay_alu instid0(VALU_DEP_1)
	v_cvt_f32_f16_e32 v53, v3
.LBB373_1769:                           ;   in Loop: Header=BB373_11 Depth=1
	s_or_b32 exec_lo, exec_lo, s18
.LBB373_1770:                           ;   in Loop: Header=BB373_11 Depth=1
	s_delay_alu instid0(SALU_CYCLE_1)
	s_or_b32 exec_lo, exec_lo, s17
.LBB373_1771:                           ;   in Loop: Header=BB373_11 Depth=1
	s_delay_alu instid0(SALU_CYCLE_1) | instskip(SKIP_2) | instid1(VALU_DEP_1)
	s_or_b32 exec_lo, exec_lo, s15
	v_dual_mov_b32 v8, v31 :: v_dual_and_b32 v3, 0xff, v31
	s_mov_b32 s15, exec_lo
	v_cmpx_ne_u16_e32 0, v3
	s_cbranch_execz .LBB373_1779
; %bb.1772:                             ;   in Loop: Header=BB373_11 Depth=1
	v_bfrev_b32_e32 v51, 1
	s_mov_b32 s17, exec_lo
	v_cmpx_ne_u16_e32 0x80, v3
	s_cbranch_execz .LBB373_1778
; %bb.1773:                             ;   in Loop: Header=BB373_11 Depth=1
	v_and_b32_e32 v5, 0x7f, v31
	v_mov_b32_e32 v51, 0x7fc02000
	s_mov_b32 s18, exec_lo
	s_delay_alu instid0(VALU_DEP_2)
	v_cmpx_ne_u32_e32 0x7f, v5
	s_cbranch_execz .LBB373_1777
; %bb.1774:                             ;   in Loop: Header=BB373_11 Depth=1
	v_dual_mov_b32 v33, v9 :: v_dual_mov_b32 v32, v8
	v_lshrrev_b32_e32 v3, 3, v5
	s_mov_b32 s19, exec_lo
	v_cmpx_gt_u32_e32 8, v5
; %bb.1775:                             ;   in Loop: Header=BB373_11 Depth=1
	v_and_b32_e32 v3, 7, v31
	s_delay_alu instid0(VALU_DEP_1) | instskip(NEXT) | instid1(VALU_DEP_1)
	v_clz_i32_u32_e32 v3, v3
	v_min_u32_e32 v3, 32, v3
	s_delay_alu instid0(VALU_DEP_1) | instskip(SKIP_1) | instid1(VALU_DEP_2)
	v_subrev_nc_u32_e32 v5, 28, v3
	v_sub_nc_u32_e32 v3, 29, v3
	v_lshlrev_b64 v[32:33], v5, v[8:9]
; %bb.1776:                             ;   in Loop: Header=BB373_11 Depth=1
	s_or_b32 exec_lo, exec_lo, s19
	v_lshlrev_b32_e32 v5, 8, v31
	s_delay_alu instid0(VALU_DEP_3) | instskip(NEXT) | instid1(VALU_DEP_3)
	v_lshl_add_u32 v3, v3, 10, 0x2000
	v_lshlrev_b32_e32 v12, 7, v32
	s_delay_alu instid0(VALU_DEP_2) | instskip(NEXT) | instid1(VALU_DEP_1)
	v_and_or_b32 v3, 0x8000, v5, v3
	v_and_or_b32 v3, 0x380, v12, v3
	s_delay_alu instid0(VALU_DEP_1)
	v_cvt_f32_f16_e32 v51, v3
.LBB373_1777:                           ;   in Loop: Header=BB373_11 Depth=1
	s_or_b32 exec_lo, exec_lo, s18
.LBB373_1778:                           ;   in Loop: Header=BB373_11 Depth=1
	s_delay_alu instid0(SALU_CYCLE_1)
	s_or_b32 exec_lo, exec_lo, s17
.LBB373_1779:                           ;   in Loop: Header=BB373_11 Depth=1
	s_delay_alu instid0(SALU_CYCLE_1) | instskip(SKIP_3) | instid1(VALU_DEP_2)
	s_or_b32 exec_lo, exec_lo, s15
	v_lshrrev_b16 v3, 8, v8
	v_dual_mov_b32 v14, 0 :: v_dual_mov_b32 v15, 0
	s_mov_b32 s15, exec_lo
	v_cmpx_ne_u16_e32 0, v3
	s_cbranch_execz .LBB373_1787
; %bb.1780:                             ;   in Loop: Header=BB373_11 Depth=1
	v_bfrev_b32_e32 v15, 1
	s_mov_b32 s17, exec_lo
	v_cmpx_ne_u16_e32 0x80, v3
	s_cbranch_execz .LBB373_1786
; %bb.1781:                             ;   in Loop: Header=BB373_11 Depth=1
	v_and_b32_e32 v3, 0xffff, v3
	v_mov_b32_e32 v15, 0x7fc02000
	s_mov_b32 s18, exec_lo
	s_delay_alu instid0(VALU_DEP_2) | instskip(NEXT) | instid1(VALU_DEP_1)
	v_and_b32_e32 v12, 0x7f, v3
	v_cmpx_ne_u32_e32 0x7f, v12
	s_cbranch_execz .LBB373_1785
; %bb.1782:                             ;   in Loop: Header=BB373_11 Depth=1
	v_and_b32_e32 v8, 7, v3
	v_mov_b32_e32 v33, v9
	v_lshrrev_b32_e32 v5, 3, v12
	s_mov_b32 s19, exec_lo
	s_delay_alu instid0(VALU_DEP_3)
	v_mov_b32_e32 v32, v8
	v_cmpx_gt_u32_e32 8, v12
; %bb.1783:                             ;   in Loop: Header=BB373_11 Depth=1
	v_clz_i32_u32_e32 v5, v8
	s_delay_alu instid0(VALU_DEP_1) | instskip(NEXT) | instid1(VALU_DEP_1)
	v_min_u32_e32 v5, 32, v5
	v_subrev_nc_u32_e32 v12, 28, v5
	v_sub_nc_u32_e32 v5, 29, v5
	s_delay_alu instid0(VALU_DEP_2) | instskip(NEXT) | instid1(VALU_DEP_1)
	v_lshlrev_b64 v[12:13], v12, v[8:9]
	v_and_b32_e32 v32, 7, v12
; %bb.1784:                             ;   in Loop: Header=BB373_11 Depth=1
	s_or_b32 exec_lo, exec_lo, s19
	v_lshlrev_b32_e32 v3, 8, v3
	v_lshl_add_u32 v5, v5, 10, 0x2000
	s_delay_alu instid0(VALU_DEP_1) | instskip(NEXT) | instid1(VALU_DEP_1)
	v_and_or_b32 v3, 0x8000, v3, v5
	v_lshl_or_b32 v3, v32, 7, v3
	s_delay_alu instid0(VALU_DEP_1)
	v_cvt_f32_f16_e32 v15, v3
.LBB373_1785:                           ;   in Loop: Header=BB373_11 Depth=1
	s_or_b32 exec_lo, exec_lo, s18
.LBB373_1786:                           ;   in Loop: Header=BB373_11 Depth=1
	s_delay_alu instid0(SALU_CYCLE_1)
	s_or_b32 exec_lo, exec_lo, s17
.LBB373_1787:                           ;   in Loop: Header=BB373_11 Depth=1
	s_delay_alu instid0(SALU_CYCLE_1) | instskip(SKIP_2) | instid1(VALU_DEP_1)
	s_or_b32 exec_lo, exec_lo, s15
	v_lshrrev_b32_e32 v3, 16, v31
	s_mov_b32 s15, exec_lo
	v_and_b32_e32 v5, 0xff, v3
	s_delay_alu instid0(VALU_DEP_1)
	v_cmpx_ne_u16_e32 0, v5
	s_cbranch_execz .LBB373_1795
; %bb.1788:                             ;   in Loop: Header=BB373_11 Depth=1
	v_bfrev_b32_e32 v14, 1
	s_mov_b32 s17, exec_lo
	v_cmpx_ne_u16_e32 0x80, v5
	s_cbranch_execz .LBB373_1794
; %bb.1789:                             ;   in Loop: Header=BB373_11 Depth=1
	v_bfe_u32 v12, v31, 16, 7
	v_mov_b32_e32 v14, 0x7fc02000
	s_mov_b32 s18, exec_lo
	s_delay_alu instid0(VALU_DEP_2)
	v_cmpx_ne_u32_e32 0x7f, v12
	s_cbranch_execz .LBB373_1793
; %bb.1790:                             ;   in Loop: Header=BB373_11 Depth=1
	v_and_b32_e32 v8, 7, v3
	v_mov_b32_e32 v33, v9
	v_lshrrev_b32_e32 v5, 3, v12
	s_mov_b32 s19, exec_lo
	s_delay_alu instid0(VALU_DEP_3)
	v_mov_b32_e32 v32, v8
	v_cmpx_gt_u32_e32 8, v12
; %bb.1791:                             ;   in Loop: Header=BB373_11 Depth=1
	v_clz_i32_u32_e32 v5, v8
	s_delay_alu instid0(VALU_DEP_1) | instskip(NEXT) | instid1(VALU_DEP_1)
	v_min_u32_e32 v5, 32, v5
	v_subrev_nc_u32_e32 v12, 28, v5
	v_sub_nc_u32_e32 v5, 29, v5
	s_delay_alu instid0(VALU_DEP_2) | instskip(NEXT) | instid1(VALU_DEP_1)
	v_lshlrev_b64 v[12:13], v12, v[8:9]
	v_and_b32_e32 v32, 7, v12
; %bb.1792:                             ;   in Loop: Header=BB373_11 Depth=1
	s_or_b32 exec_lo, exec_lo, s19
	v_lshlrev_b32_e32 v3, 8, v3
	v_lshl_add_u32 v5, v5, 10, 0x2000
	s_delay_alu instid0(VALU_DEP_1) | instskip(NEXT) | instid1(VALU_DEP_1)
	v_and_or_b32 v3, 0x8000, v3, v5
	v_lshl_or_b32 v3, v32, 7, v3
	s_delay_alu instid0(VALU_DEP_1)
	v_cvt_f32_f16_e32 v14, v3
.LBB373_1793:                           ;   in Loop: Header=BB373_11 Depth=1
	s_or_b32 exec_lo, exec_lo, s18
.LBB373_1794:                           ;   in Loop: Header=BB373_11 Depth=1
	s_delay_alu instid0(SALU_CYCLE_1)
	s_or_b32 exec_lo, exec_lo, s17
.LBB373_1795:                           ;   in Loop: Header=BB373_11 Depth=1
	s_delay_alu instid0(SALU_CYCLE_1)
	s_or_b32 exec_lo, exec_lo, s15
	v_dual_mov_b32 v22, 0 :: v_dual_mov_b32 v13, 0
	s_mov_b32 s15, exec_lo
	v_cmpx_lt_u64_e64 s[2:3], v[30:31]
	s_cbranch_execz .LBB373_1803
; %bb.1796:                             ;   in Loop: Header=BB373_11 Depth=1
	v_lshrrev_b32_e32 v3, 24, v31
	v_bfrev_b32_e32 v13, 1
	s_mov_b32 s17, exec_lo
	s_delay_alu instid0(VALU_DEP_2)
	v_cmpx_ne_u32_e32 0x80, v3
	s_cbranch_execz .LBB373_1802
; %bb.1797:                             ;   in Loop: Header=BB373_11 Depth=1
	v_and_b32_e32 v12, 0x7f, v3
	v_mov_b32_e32 v13, 0x7fc02000
	s_mov_b32 s18, exec_lo
	s_delay_alu instid0(VALU_DEP_2)
	v_cmpx_ne_u32_e32 0x7f, v12
	s_cbranch_execz .LBB373_1801
; %bb.1798:                             ;   in Loop: Header=BB373_11 Depth=1
	v_and_b32_e32 v8, 7, v3
	v_mov_b32_e32 v31, v9
	v_lshrrev_b32_e32 v5, 3, v12
	s_mov_b32 s19, exec_lo
	s_delay_alu instid0(VALU_DEP_3)
	v_mov_b32_e32 v30, v8
	v_cmpx_gt_u32_e32 8, v12
; %bb.1799:                             ;   in Loop: Header=BB373_11 Depth=1
	v_clz_i32_u32_e32 v5, v8
	s_delay_alu instid0(VALU_DEP_1) | instskip(NEXT) | instid1(VALU_DEP_1)
	v_min_u32_e32 v5, 32, v5
	v_subrev_nc_u32_e32 v12, 28, v5
	v_sub_nc_u32_e32 v5, 29, v5
	s_delay_alu instid0(VALU_DEP_2) | instskip(NEXT) | instid1(VALU_DEP_1)
	v_lshlrev_b64 v[12:13], v12, v[8:9]
	v_and_b32_e32 v30, 7, v12
; %bb.1800:                             ;   in Loop: Header=BB373_11 Depth=1
	s_or_b32 exec_lo, exec_lo, s19
	v_lshlrev_b32_e32 v3, 8, v3
	v_lshl_add_u32 v5, v5, 10, 0x2000
	s_delay_alu instid0(VALU_DEP_1) | instskip(NEXT) | instid1(VALU_DEP_1)
	v_and_or_b32 v3, 0x8000, v3, v5
	v_lshl_or_b32 v3, v30, 7, v3
	s_delay_alu instid0(VALU_DEP_1)
	v_cvt_f32_f16_e32 v13, v3
.LBB373_1801:                           ;   in Loop: Header=BB373_11 Depth=1
	s_or_b32 exec_lo, exec_lo, s18
.LBB373_1802:                           ;   in Loop: Header=BB373_11 Depth=1
	s_delay_alu instid0(SALU_CYCLE_1)
	s_or_b32 exec_lo, exec_lo, s17
.LBB373_1803:                           ;   in Loop: Header=BB373_11 Depth=1
	s_delay_alu instid0(SALU_CYCLE_1) | instskip(SKIP_4) | instid1(VALU_DEP_1)
	s_or_b32 exec_lo, exec_lo, s15
	flat_load_b64 v[30:31], v[28:29] offset:3072
	s_mov_b32 s15, exec_lo
	s_waitcnt vmcnt(0) lgkmcnt(0)
	v_and_b32_e32 v3, 0xff, v30
	v_cmpx_ne_u16_e32 0, v3
	s_cbranch_execz .LBB373_1811
; %bb.1804:                             ;   in Loop: Header=BB373_11 Depth=1
	v_bfrev_b32_e32 v22, 1
	s_mov_b32 s17, exec_lo
	v_cmpx_ne_u16_e32 0x80, v3
	s_cbranch_execz .LBB373_1810
; %bb.1805:                             ;   in Loop: Header=BB373_11 Depth=1
	v_and_b32_e32 v5, 0x7f, v30
	v_mov_b32_e32 v22, 0x7fc02000
	s_mov_b32 s18, exec_lo
	s_delay_alu instid0(VALU_DEP_2)
	v_cmpx_ne_u32_e32 0x7f, v5
	s_cbranch_execz .LBB373_1809
; %bb.1806:                             ;   in Loop: Header=BB373_11 Depth=1
	v_lshrrev_b32_e32 v3, 3, v5
	v_dual_mov_b32 v33, v31 :: v_dual_mov_b32 v32, v30
	s_mov_b32 s19, exec_lo
	v_cmpx_gt_u32_e32 8, v5
; %bb.1807:                             ;   in Loop: Header=BB373_11 Depth=1
	v_and_b32_e32 v3, 7, v30
	s_delay_alu instid0(VALU_DEP_1) | instskip(NEXT) | instid1(VALU_DEP_1)
	v_clz_i32_u32_e32 v3, v3
	v_min_u32_e32 v3, 32, v3
	s_delay_alu instid0(VALU_DEP_1) | instskip(SKIP_1) | instid1(VALU_DEP_2)
	v_subrev_nc_u32_e32 v5, 28, v3
	v_sub_nc_u32_e32 v3, 29, v3
	v_lshlrev_b64 v[32:33], v5, v[30:31]
; %bb.1808:                             ;   in Loop: Header=BB373_11 Depth=1
	s_or_b32 exec_lo, exec_lo, s19
	v_lshlrev_b32_e32 v5, 8, v30
	s_delay_alu instid0(VALU_DEP_3) | instskip(NEXT) | instid1(VALU_DEP_3)
	v_lshl_add_u32 v3, v3, 10, 0x2000
	v_lshlrev_b32_e32 v8, 7, v32
	s_delay_alu instid0(VALU_DEP_2) | instskip(NEXT) | instid1(VALU_DEP_1)
	v_and_or_b32 v3, 0x8000, v5, v3
	v_and_or_b32 v3, 0x380, v8, v3
	s_delay_alu instid0(VALU_DEP_1)
	v_cvt_f32_f16_e32 v22, v3
.LBB373_1809:                           ;   in Loop: Header=BB373_11 Depth=1
	s_or_b32 exec_lo, exec_lo, s18
.LBB373_1810:                           ;   in Loop: Header=BB373_11 Depth=1
	s_delay_alu instid0(SALU_CYCLE_1)
	s_or_b32 exec_lo, exec_lo, s17
.LBB373_1811:                           ;   in Loop: Header=BB373_11 Depth=1
	s_delay_alu instid0(SALU_CYCLE_1) | instskip(SKIP_3) | instid1(VALU_DEP_2)
	s_or_b32 exec_lo, exec_lo, s15
	v_lshrrev_b16 v3, 8, v30
	v_dual_mov_b32 v24, 0 :: v_dual_mov_b32 v25, 0
	s_mov_b32 s15, exec_lo
	v_cmpx_ne_u16_e32 0, v3
	s_cbranch_execz .LBB373_1819
; %bb.1812:                             ;   in Loop: Header=BB373_11 Depth=1
	v_bfrev_b32_e32 v25, 1
	s_mov_b32 s17, exec_lo
	v_cmpx_ne_u16_e32 0x80, v3
	s_cbranch_execz .LBB373_1818
; %bb.1813:                             ;   in Loop: Header=BB373_11 Depth=1
	v_and_b32_e32 v3, 0xffff, v3
	v_mov_b32_e32 v25, 0x7fc02000
	s_mov_b32 s18, exec_lo
	s_delay_alu instid0(VALU_DEP_2) | instskip(NEXT) | instid1(VALU_DEP_1)
	v_and_b32_e32 v12, 0x7f, v3
	v_cmpx_ne_u32_e32 0x7f, v12
	s_cbranch_execz .LBB373_1817
; %bb.1814:                             ;   in Loop: Header=BB373_11 Depth=1
	v_and_b32_e32 v8, 7, v3
	v_mov_b32_e32 v33, v9
	v_lshrrev_b32_e32 v5, 3, v12
	s_mov_b32 s19, exec_lo
	s_delay_alu instid0(VALU_DEP_3)
	v_mov_b32_e32 v32, v8
	v_cmpx_gt_u32_e32 8, v12
; %bb.1815:                             ;   in Loop: Header=BB373_11 Depth=1
	v_clz_i32_u32_e32 v5, v8
	s_delay_alu instid0(VALU_DEP_1) | instskip(NEXT) | instid1(VALU_DEP_1)
	v_min_u32_e32 v5, 32, v5
	v_subrev_nc_u32_e32 v12, 28, v5
	v_sub_nc_u32_e32 v5, 29, v5
	s_delay_alu instid0(VALU_DEP_2) | instskip(NEXT) | instid1(VALU_DEP_1)
	v_lshlrev_b64 v[16:17], v12, v[8:9]
	v_and_b32_e32 v32, 7, v16
; %bb.1816:                             ;   in Loop: Header=BB373_11 Depth=1
	s_or_b32 exec_lo, exec_lo, s19
	v_lshlrev_b32_e32 v3, 8, v3
	v_lshl_add_u32 v5, v5, 10, 0x2000
	s_delay_alu instid0(VALU_DEP_1) | instskip(NEXT) | instid1(VALU_DEP_1)
	v_and_or_b32 v3, 0x8000, v3, v5
	v_lshl_or_b32 v3, v32, 7, v3
	s_delay_alu instid0(VALU_DEP_1)
	v_cvt_f32_f16_e32 v25, v3
.LBB373_1817:                           ;   in Loop: Header=BB373_11 Depth=1
	s_or_b32 exec_lo, exec_lo, s18
.LBB373_1818:                           ;   in Loop: Header=BB373_11 Depth=1
	s_delay_alu instid0(SALU_CYCLE_1)
	s_or_b32 exec_lo, exec_lo, s17
.LBB373_1819:                           ;   in Loop: Header=BB373_11 Depth=1
	s_delay_alu instid0(SALU_CYCLE_1) | instskip(SKIP_2) | instid1(VALU_DEP_1)
	s_or_b32 exec_lo, exec_lo, s15
	v_lshrrev_b32_e32 v3, 16, v30
	s_mov_b32 s15, exec_lo
	v_and_b32_e32 v5, 0xff, v3
	s_delay_alu instid0(VALU_DEP_1)
	v_cmpx_ne_u16_e32 0, v5
	s_cbranch_execz .LBB373_1827
; %bb.1820:                             ;   in Loop: Header=BB373_11 Depth=1
	v_bfrev_b32_e32 v24, 1
	s_mov_b32 s17, exec_lo
	v_cmpx_ne_u16_e32 0x80, v5
	s_cbranch_execz .LBB373_1826
; %bb.1821:                             ;   in Loop: Header=BB373_11 Depth=1
	v_bfe_u32 v12, v30, 16, 7
	v_mov_b32_e32 v24, 0x7fc02000
	s_mov_b32 s18, exec_lo
	s_delay_alu instid0(VALU_DEP_2)
	v_cmpx_ne_u32_e32 0x7f, v12
	s_cbranch_execz .LBB373_1825
; %bb.1822:                             ;   in Loop: Header=BB373_11 Depth=1
	v_and_b32_e32 v8, 7, v3
	v_mov_b32_e32 v33, v9
	v_lshrrev_b32_e32 v5, 3, v12
	s_mov_b32 s19, exec_lo
	s_delay_alu instid0(VALU_DEP_3)
	v_mov_b32_e32 v32, v8
	v_cmpx_gt_u32_e32 8, v12
; %bb.1823:                             ;   in Loop: Header=BB373_11 Depth=1
	v_clz_i32_u32_e32 v5, v8
	s_delay_alu instid0(VALU_DEP_1) | instskip(NEXT) | instid1(VALU_DEP_1)
	v_min_u32_e32 v5, 32, v5
	v_subrev_nc_u32_e32 v12, 28, v5
	v_sub_nc_u32_e32 v5, 29, v5
	s_delay_alu instid0(VALU_DEP_2) | instskip(NEXT) | instid1(VALU_DEP_1)
	v_lshlrev_b64 v[16:17], v12, v[8:9]
	v_and_b32_e32 v32, 7, v16
; %bb.1824:                             ;   in Loop: Header=BB373_11 Depth=1
	s_or_b32 exec_lo, exec_lo, s19
	v_lshlrev_b32_e32 v3, 8, v3
	v_lshl_add_u32 v5, v5, 10, 0x2000
	s_delay_alu instid0(VALU_DEP_1) | instskip(NEXT) | instid1(VALU_DEP_1)
	v_and_or_b32 v3, 0x8000, v3, v5
	v_lshl_or_b32 v3, v32, 7, v3
	s_delay_alu instid0(VALU_DEP_1)
	v_cvt_f32_f16_e32 v24, v3
.LBB373_1825:                           ;   in Loop: Header=BB373_11 Depth=1
	s_or_b32 exec_lo, exec_lo, s18
.LBB373_1826:                           ;   in Loop: Header=BB373_11 Depth=1
	s_delay_alu instid0(SALU_CYCLE_1)
	s_or_b32 exec_lo, exec_lo, s17
.LBB373_1827:                           ;   in Loop: Header=BB373_11 Depth=1
	s_delay_alu instid0(SALU_CYCLE_1)
	s_or_b32 exec_lo, exec_lo, s15
	v_dual_mov_b32 v21, 0 :: v_dual_mov_b32 v52, 0
	s_mov_b32 s15, exec_lo
	v_cmpx_lt_u32_e32 0xffffff, v30
	s_cbranch_execz .LBB373_1835
; %bb.1828:                             ;   in Loop: Header=BB373_11 Depth=1
	v_lshrrev_b32_e32 v3, 24, v30
	v_bfrev_b32_e32 v52, 1
	s_mov_b32 s17, exec_lo
	s_delay_alu instid0(VALU_DEP_2)
	v_cmpx_ne_u32_e32 0x80, v3
	s_cbranch_execz .LBB373_1834
; %bb.1829:                             ;   in Loop: Header=BB373_11 Depth=1
	v_and_b32_e32 v12, 0x7f, v3
	v_mov_b32_e32 v52, 0x7fc02000
	s_mov_b32 s18, exec_lo
	s_delay_alu instid0(VALU_DEP_2)
	v_cmpx_ne_u32_e32 0x7f, v12
	s_cbranch_execz .LBB373_1833
; %bb.1830:                             ;   in Loop: Header=BB373_11 Depth=1
	v_and_b32_e32 v8, 7, v3
	v_mov_b32_e32 v33, v9
	v_lshrrev_b32_e32 v5, 3, v12
	s_mov_b32 s19, exec_lo
	s_delay_alu instid0(VALU_DEP_3)
	v_mov_b32_e32 v32, v8
	v_cmpx_gt_u32_e32 8, v12
; %bb.1831:                             ;   in Loop: Header=BB373_11 Depth=1
	v_clz_i32_u32_e32 v5, v8
	s_delay_alu instid0(VALU_DEP_1) | instskip(NEXT) | instid1(VALU_DEP_1)
	v_min_u32_e32 v5, 32, v5
	v_subrev_nc_u32_e32 v12, 28, v5
	v_sub_nc_u32_e32 v5, 29, v5
	s_delay_alu instid0(VALU_DEP_2) | instskip(NEXT) | instid1(VALU_DEP_1)
	v_lshlrev_b64 v[16:17], v12, v[8:9]
	v_and_b32_e32 v32, 7, v16
; %bb.1832:                             ;   in Loop: Header=BB373_11 Depth=1
	s_or_b32 exec_lo, exec_lo, s19
	v_lshlrev_b32_e32 v3, 8, v3
	v_lshl_add_u32 v5, v5, 10, 0x2000
	s_delay_alu instid0(VALU_DEP_1) | instskip(NEXT) | instid1(VALU_DEP_1)
	v_and_or_b32 v3, 0x8000, v3, v5
	v_lshl_or_b32 v3, v32, 7, v3
	s_delay_alu instid0(VALU_DEP_1)
	v_cvt_f32_f16_e32 v52, v3
.LBB373_1833:                           ;   in Loop: Header=BB373_11 Depth=1
	s_or_b32 exec_lo, exec_lo, s18
.LBB373_1834:                           ;   in Loop: Header=BB373_11 Depth=1
	s_delay_alu instid0(SALU_CYCLE_1)
	s_or_b32 exec_lo, exec_lo, s17
.LBB373_1835:                           ;   in Loop: Header=BB373_11 Depth=1
	s_delay_alu instid0(SALU_CYCLE_1) | instskip(SKIP_2) | instid1(VALU_DEP_1)
	s_or_b32 exec_lo, exec_lo, s15
	v_dual_mov_b32 v8, v31 :: v_dual_and_b32 v3, 0xff, v31
	s_mov_b32 s15, exec_lo
	v_cmpx_ne_u16_e32 0, v3
	s_cbranch_execz .LBB373_1843
; %bb.1836:                             ;   in Loop: Header=BB373_11 Depth=1
	v_bfrev_b32_e32 v21, 1
	s_mov_b32 s17, exec_lo
	v_cmpx_ne_u16_e32 0x80, v3
	s_cbranch_execz .LBB373_1842
; %bb.1837:                             ;   in Loop: Header=BB373_11 Depth=1
	v_and_b32_e32 v5, 0x7f, v31
	v_mov_b32_e32 v21, 0x7fc02000
	s_mov_b32 s18, exec_lo
	s_delay_alu instid0(VALU_DEP_2)
	v_cmpx_ne_u32_e32 0x7f, v5
	s_cbranch_execz .LBB373_1841
; %bb.1838:                             ;   in Loop: Header=BB373_11 Depth=1
	v_dual_mov_b32 v33, v9 :: v_dual_mov_b32 v32, v8
	v_lshrrev_b32_e32 v3, 3, v5
	s_mov_b32 s19, exec_lo
	v_cmpx_gt_u32_e32 8, v5
; %bb.1839:                             ;   in Loop: Header=BB373_11 Depth=1
	v_and_b32_e32 v3, 7, v31
	s_delay_alu instid0(VALU_DEP_1) | instskip(NEXT) | instid1(VALU_DEP_1)
	v_clz_i32_u32_e32 v3, v3
	v_min_u32_e32 v3, 32, v3
	s_delay_alu instid0(VALU_DEP_1) | instskip(SKIP_1) | instid1(VALU_DEP_2)
	v_subrev_nc_u32_e32 v5, 28, v3
	v_sub_nc_u32_e32 v3, 29, v3
	v_lshlrev_b64 v[32:33], v5, v[8:9]
; %bb.1840:                             ;   in Loop: Header=BB373_11 Depth=1
	s_or_b32 exec_lo, exec_lo, s19
	v_lshlrev_b32_e32 v5, 8, v31
	s_delay_alu instid0(VALU_DEP_3) | instskip(NEXT) | instid1(VALU_DEP_3)
	v_lshl_add_u32 v3, v3, 10, 0x2000
	v_lshlrev_b32_e32 v12, 7, v32
	s_delay_alu instid0(VALU_DEP_2) | instskip(NEXT) | instid1(VALU_DEP_1)
	v_and_or_b32 v3, 0x8000, v5, v3
	v_and_or_b32 v3, 0x380, v12, v3
	s_delay_alu instid0(VALU_DEP_1)
	v_cvt_f32_f16_e32 v21, v3
.LBB373_1841:                           ;   in Loop: Header=BB373_11 Depth=1
	s_or_b32 exec_lo, exec_lo, s18
.LBB373_1842:                           ;   in Loop: Header=BB373_11 Depth=1
	s_delay_alu instid0(SALU_CYCLE_1)
	s_or_b32 exec_lo, exec_lo, s17
.LBB373_1843:                           ;   in Loop: Header=BB373_11 Depth=1
	s_delay_alu instid0(SALU_CYCLE_1) | instskip(SKIP_4) | instid1(VALU_DEP_3)
	s_or_b32 exec_lo, exec_lo, s15
	v_lshrrev_b16 v8, 8, v8
	v_mov_b32_e32 v3, 0
	v_mov_b32_e32 v5, 0
	s_mov_b32 s15, exec_lo
	v_cmpx_ne_u16_e32 0, v8
	s_cbranch_execz .LBB373_1851
; %bb.1844:                             ;   in Loop: Header=BB373_11 Depth=1
	v_bfrev_b32_e32 v5, 1
	s_mov_b32 s17, exec_lo
	v_cmpx_ne_u16_e32 0x80, v8
	s_cbranch_execz .LBB373_1850
; %bb.1845:                             ;   in Loop: Header=BB373_11 Depth=1
	v_and_b32_e32 v12, 0xffff, v8
	v_mov_b32_e32 v5, 0x7fc02000
	s_mov_b32 s18, exec_lo
	s_delay_alu instid0(VALU_DEP_2) | instskip(NEXT) | instid1(VALU_DEP_1)
	v_and_b32_e32 v16, 0x7f, v12
	v_cmpx_ne_u32_e32 0x7f, v16
	s_cbranch_execz .LBB373_1849
; %bb.1846:                             ;   in Loop: Header=BB373_11 Depth=1
	v_and_b32_e32 v8, 7, v12
	v_mov_b32_e32 v33, v9
	v_lshrrev_b32_e32 v5, 3, v16
	s_mov_b32 s19, exec_lo
	s_delay_alu instid0(VALU_DEP_3)
	v_mov_b32_e32 v32, v8
	v_cmpx_gt_u32_e32 8, v16
; %bb.1847:                             ;   in Loop: Header=BB373_11 Depth=1
	v_clz_i32_u32_e32 v5, v8
	s_delay_alu instid0(VALU_DEP_1) | instskip(NEXT) | instid1(VALU_DEP_1)
	v_min_u32_e32 v5, 32, v5
	v_subrev_nc_u32_e32 v16, 28, v5
	v_sub_nc_u32_e32 v5, 29, v5
	s_delay_alu instid0(VALU_DEP_2) | instskip(NEXT) | instid1(VALU_DEP_1)
	v_lshlrev_b64 v[16:17], v16, v[8:9]
	v_and_b32_e32 v32, 7, v16
; %bb.1848:                             ;   in Loop: Header=BB373_11 Depth=1
	s_or_b32 exec_lo, exec_lo, s19
	v_lshlrev_b32_e32 v8, 8, v12
	v_lshl_add_u32 v5, v5, 10, 0x2000
	s_delay_alu instid0(VALU_DEP_1) | instskip(NEXT) | instid1(VALU_DEP_1)
	v_and_or_b32 v5, 0x8000, v8, v5
	v_lshl_or_b32 v5, v32, 7, v5
	s_delay_alu instid0(VALU_DEP_1)
	v_cvt_f32_f16_e32 v5, v5
.LBB373_1849:                           ;   in Loop: Header=BB373_11 Depth=1
	s_or_b32 exec_lo, exec_lo, s18
.LBB373_1850:                           ;   in Loop: Header=BB373_11 Depth=1
	s_delay_alu instid0(SALU_CYCLE_1)
	s_or_b32 exec_lo, exec_lo, s17
.LBB373_1851:                           ;   in Loop: Header=BB373_11 Depth=1
	s_delay_alu instid0(SALU_CYCLE_1) | instskip(SKIP_2) | instid1(VALU_DEP_1)
	s_or_b32 exec_lo, exec_lo, s15
	v_lshrrev_b32_e32 v12, 16, v31
	s_mov_b32 s15, exec_lo
	v_and_b32_e32 v8, 0xff, v12
	s_delay_alu instid0(VALU_DEP_1)
	v_cmpx_ne_u16_e32 0, v8
	s_cbranch_execz .LBB373_1859
; %bb.1852:                             ;   in Loop: Header=BB373_11 Depth=1
	v_bfrev_b32_e32 v3, 1
	s_mov_b32 s17, exec_lo
	v_cmpx_ne_u16_e32 0x80, v8
	s_cbranch_execz .LBB373_1858
; %bb.1853:                             ;   in Loop: Header=BB373_11 Depth=1
	v_bfe_u32 v16, v31, 16, 7
	v_mov_b32_e32 v3, 0x7fc02000
	s_mov_b32 s18, exec_lo
	s_delay_alu instid0(VALU_DEP_2)
	v_cmpx_ne_u32_e32 0x7f, v16
	s_cbranch_execz .LBB373_1857
; %bb.1854:                             ;   in Loop: Header=BB373_11 Depth=1
	v_and_b32_e32 v8, 7, v12
	v_mov_b32_e32 v33, v9
	v_lshrrev_b32_e32 v3, 3, v16
	s_mov_b32 s19, exec_lo
	s_delay_alu instid0(VALU_DEP_3)
	v_mov_b32_e32 v32, v8
	v_cmpx_gt_u32_e32 8, v16
; %bb.1855:                             ;   in Loop: Header=BB373_11 Depth=1
	v_clz_i32_u32_e32 v3, v8
	s_delay_alu instid0(VALU_DEP_1) | instskip(NEXT) | instid1(VALU_DEP_1)
	v_min_u32_e32 v3, 32, v3
	v_subrev_nc_u32_e32 v16, 28, v3
	v_sub_nc_u32_e32 v3, 29, v3
	s_delay_alu instid0(VALU_DEP_2) | instskip(NEXT) | instid1(VALU_DEP_1)
	v_lshlrev_b64 v[16:17], v16, v[8:9]
	v_and_b32_e32 v32, 7, v16
; %bb.1856:                             ;   in Loop: Header=BB373_11 Depth=1
	s_or_b32 exec_lo, exec_lo, s19
	v_lshlrev_b32_e32 v8, 8, v12
	v_lshl_add_u32 v3, v3, 10, 0x2000
	s_delay_alu instid0(VALU_DEP_1) | instskip(NEXT) | instid1(VALU_DEP_1)
	v_and_or_b32 v3, 0x8000, v8, v3
	v_lshl_or_b32 v3, v32, 7, v3
	s_delay_alu instid0(VALU_DEP_1)
	v_cvt_f32_f16_e32 v3, v3
.LBB373_1857:                           ;   in Loop: Header=BB373_11 Depth=1
	s_or_b32 exec_lo, exec_lo, s18
.LBB373_1858:                           ;   in Loop: Header=BB373_11 Depth=1
	s_delay_alu instid0(SALU_CYCLE_1)
	s_or_b32 exec_lo, exec_lo, s17
.LBB373_1859:                           ;   in Loop: Header=BB373_11 Depth=1
	s_delay_alu instid0(SALU_CYCLE_1)
	s_or_b32 exec_lo, exec_lo, s15
	v_mov_b32_e32 v68, 0
	v_mov_b32_e32 v12, 0
	s_mov_b32 s15, exec_lo
	v_cmpx_lt_u64_e64 s[2:3], v[30:31]
	s_cbranch_execz .LBB373_1867
; %bb.1860:                             ;   in Loop: Header=BB373_11 Depth=1
	v_lshrrev_b32_e32 v16, 24, v31
	v_bfrev_b32_e32 v12, 1
	s_mov_b32 s17, exec_lo
	s_delay_alu instid0(VALU_DEP_2)
	v_cmpx_ne_u32_e32 0x80, v16
	s_cbranch_execz .LBB373_1866
; %bb.1861:                             ;   in Loop: Header=BB373_11 Depth=1
	v_and_b32_e32 v17, 0x7f, v16
	v_mov_b32_e32 v12, 0x7fc02000
	s_mov_b32 s18, exec_lo
	s_delay_alu instid0(VALU_DEP_2)
	v_cmpx_ne_u32_e32 0x7f, v17
	s_cbranch_execz .LBB373_1865
; %bb.1862:                             ;   in Loop: Header=BB373_11 Depth=1
	v_and_b32_e32 v8, 7, v16
	v_mov_b32_e32 v31, v9
	v_lshrrev_b32_e32 v12, 3, v17
	s_mov_b32 s19, exec_lo
	s_delay_alu instid0(VALU_DEP_3)
	v_mov_b32_e32 v30, v8
	v_cmpx_gt_u32_e32 8, v17
; %bb.1863:                             ;   in Loop: Header=BB373_11 Depth=1
	v_clz_i32_u32_e32 v12, v8
	s_delay_alu instid0(VALU_DEP_1) | instskip(NEXT) | instid1(VALU_DEP_1)
	v_min_u32_e32 v12, 32, v12
	v_subrev_nc_u32_e32 v17, 28, v12
	v_sub_nc_u32_e32 v12, 29, v12
	s_delay_alu instid0(VALU_DEP_2) | instskip(NEXT) | instid1(VALU_DEP_1)
	v_lshlrev_b64 v[30:31], v17, v[8:9]
	v_and_b32_e32 v30, 7, v30
; %bb.1864:                             ;   in Loop: Header=BB373_11 Depth=1
	s_or_b32 exec_lo, exec_lo, s19
	v_lshlrev_b32_e32 v8, 8, v16
	v_lshl_add_u32 v12, v12, 10, 0x2000
	s_delay_alu instid0(VALU_DEP_1) | instskip(NEXT) | instid1(VALU_DEP_1)
	v_and_or_b32 v8, 0x8000, v8, v12
	v_lshl_or_b32 v8, v30, 7, v8
	s_delay_alu instid0(VALU_DEP_1)
	v_cvt_f32_f16_e32 v12, v8
.LBB373_1865:                           ;   in Loop: Header=BB373_11 Depth=1
	s_or_b32 exec_lo, exec_lo, s18
.LBB373_1866:                           ;   in Loop: Header=BB373_11 Depth=1
	s_delay_alu instid0(SALU_CYCLE_1)
	s_or_b32 exec_lo, exec_lo, s17
.LBB373_1867:                           ;   in Loop: Header=BB373_11 Depth=1
	s_delay_alu instid0(SALU_CYCLE_1) | instskip(SKIP_4) | instid1(VALU_DEP_1)
	s_or_b32 exec_lo, exec_lo, s15
	flat_load_b64 v[30:31], v[28:29] offset:3080
	s_mov_b32 s15, exec_lo
	s_waitcnt vmcnt(0) lgkmcnt(0)
	v_and_b32_e32 v8, 0xff, v30
	v_cmpx_ne_u16_e32 0, v8
	s_cbranch_execz .LBB373_1875
; %bb.1868:                             ;   in Loop: Header=BB373_11 Depth=1
	v_bfrev_b32_e32 v68, 1
	s_mov_b32 s17, exec_lo
	v_cmpx_ne_u16_e32 0x80, v8
	s_cbranch_execz .LBB373_1874
; %bb.1869:                             ;   in Loop: Header=BB373_11 Depth=1
	v_and_b32_e32 v16, 0x7f, v30
	v_mov_b32_e32 v68, 0x7fc02000
	s_mov_b32 s18, exec_lo
	s_delay_alu instid0(VALU_DEP_2)
	v_cmpx_ne_u32_e32 0x7f, v16
	s_cbranch_execz .LBB373_1873
; %bb.1870:                             ;   in Loop: Header=BB373_11 Depth=1
	v_lshrrev_b32_e32 v8, 3, v16
	v_dual_mov_b32 v33, v31 :: v_dual_mov_b32 v32, v30
	s_mov_b32 s19, exec_lo
	v_cmpx_gt_u32_e32 8, v16
; %bb.1871:                             ;   in Loop: Header=BB373_11 Depth=1
	v_and_b32_e32 v8, 7, v30
	s_delay_alu instid0(VALU_DEP_1) | instskip(NEXT) | instid1(VALU_DEP_1)
	v_clz_i32_u32_e32 v8, v8
	v_min_u32_e32 v8, 32, v8
	s_delay_alu instid0(VALU_DEP_1) | instskip(SKIP_1) | instid1(VALU_DEP_2)
	v_subrev_nc_u32_e32 v16, 28, v8
	v_sub_nc_u32_e32 v8, 29, v8
	v_lshlrev_b64 v[32:33], v16, v[30:31]
; %bb.1872:                             ;   in Loop: Header=BB373_11 Depth=1
	s_or_b32 exec_lo, exec_lo, s19
	v_lshlrev_b32_e32 v16, 8, v30
	s_delay_alu instid0(VALU_DEP_3) | instskip(NEXT) | instid1(VALU_DEP_3)
	v_lshl_add_u32 v8, v8, 10, 0x2000
	v_lshlrev_b32_e32 v17, 7, v32
	s_delay_alu instid0(VALU_DEP_2) | instskip(NEXT) | instid1(VALU_DEP_1)
	v_and_or_b32 v8, 0x8000, v16, v8
	v_and_or_b32 v8, 0x380, v17, v8
	s_delay_alu instid0(VALU_DEP_1)
	v_cvt_f32_f16_e32 v68, v8
.LBB373_1873:                           ;   in Loop: Header=BB373_11 Depth=1
	s_or_b32 exec_lo, exec_lo, s18
.LBB373_1874:                           ;   in Loop: Header=BB373_11 Depth=1
	s_delay_alu instid0(SALU_CYCLE_1)
	s_or_b32 exec_lo, exec_lo, s17
.LBB373_1875:                           ;   in Loop: Header=BB373_11 Depth=1
	s_delay_alu instid0(SALU_CYCLE_1) | instskip(SKIP_3) | instid1(VALU_DEP_2)
	s_or_b32 exec_lo, exec_lo, s15
	v_lshrrev_b16 v8, 8, v30
	v_dual_mov_b32 v69, 0 :: v_dual_mov_b32 v70, 0
	s_mov_b32 s15, exec_lo
	v_cmpx_ne_u16_e32 0, v8
	s_cbranch_execz .LBB373_1883
; %bb.1876:                             ;   in Loop: Header=BB373_11 Depth=1
	v_bfrev_b32_e32 v70, 1
	s_mov_b32 s17, exec_lo
	v_cmpx_ne_u16_e32 0x80, v8
	s_cbranch_execz .LBB373_1882
; %bb.1877:                             ;   in Loop: Header=BB373_11 Depth=1
	v_and_b32_e32 v16, 0xffff, v8
	v_mov_b32_e32 v70, 0x7fc02000
	s_mov_b32 s18, exec_lo
	s_delay_alu instid0(VALU_DEP_2) | instskip(NEXT) | instid1(VALU_DEP_1)
	v_and_b32_e32 v35, 0x7f, v16
	v_cmpx_ne_u32_e32 0x7f, v35
	s_cbranch_execz .LBB373_1881
; %bb.1878:                             ;   in Loop: Header=BB373_11 Depth=1
	v_and_b32_e32 v8, 7, v16
	v_mov_b32_e32 v33, v9
	v_lshrrev_b32_e32 v17, 3, v35
	s_mov_b32 s19, exec_lo
	s_delay_alu instid0(VALU_DEP_3)
	v_mov_b32_e32 v32, v8
	v_cmpx_gt_u32_e32 8, v35
; %bb.1879:                             ;   in Loop: Header=BB373_11 Depth=1
	v_clz_i32_u32_e32 v17, v8
	s_delay_alu instid0(VALU_DEP_1) | instskip(NEXT) | instid1(VALU_DEP_1)
	v_min_u32_e32 v17, 32, v17
	v_subrev_nc_u32_e32 v32, 28, v17
	v_sub_nc_u32_e32 v17, 29, v17
	s_delay_alu instid0(VALU_DEP_2) | instskip(NEXT) | instid1(VALU_DEP_1)
	v_lshlrev_b64 v[32:33], v32, v[8:9]
	v_and_b32_e32 v32, 7, v32
; %bb.1880:                             ;   in Loop: Header=BB373_11 Depth=1
	s_or_b32 exec_lo, exec_lo, s19
	v_lshlrev_b32_e32 v8, 8, v16
	v_lshl_add_u32 v16, v17, 10, 0x2000
	s_delay_alu instid0(VALU_DEP_1) | instskip(NEXT) | instid1(VALU_DEP_1)
	v_and_or_b32 v8, 0x8000, v8, v16
	v_lshl_or_b32 v8, v32, 7, v8
	s_delay_alu instid0(VALU_DEP_1)
	v_cvt_f32_f16_e32 v70, v8
.LBB373_1881:                           ;   in Loop: Header=BB373_11 Depth=1
	s_or_b32 exec_lo, exec_lo, s18
.LBB373_1882:                           ;   in Loop: Header=BB373_11 Depth=1
	s_delay_alu instid0(SALU_CYCLE_1)
	s_or_b32 exec_lo, exec_lo, s17
.LBB373_1883:                           ;   in Loop: Header=BB373_11 Depth=1
	s_delay_alu instid0(SALU_CYCLE_1) | instskip(SKIP_2) | instid1(VALU_DEP_1)
	s_or_b32 exec_lo, exec_lo, s15
	v_lshrrev_b32_e32 v16, 16, v30
	s_mov_b32 s15, exec_lo
	v_and_b32_e32 v8, 0xff, v16
	s_delay_alu instid0(VALU_DEP_1)
	v_cmpx_ne_u16_e32 0, v8
	s_cbranch_execz .LBB373_1891
; %bb.1884:                             ;   in Loop: Header=BB373_11 Depth=1
	v_bfrev_b32_e32 v69, 1
	s_mov_b32 s17, exec_lo
	v_cmpx_ne_u16_e32 0x80, v8
	s_cbranch_execz .LBB373_1890
; %bb.1885:                             ;   in Loop: Header=BB373_11 Depth=1
	v_bfe_u32 v35, v30, 16, 7
	v_mov_b32_e32 v69, 0x7fc02000
	s_mov_b32 s18, exec_lo
	s_delay_alu instid0(VALU_DEP_2)
	v_cmpx_ne_u32_e32 0x7f, v35
	s_cbranch_execz .LBB373_1889
; %bb.1886:                             ;   in Loop: Header=BB373_11 Depth=1
	v_and_b32_e32 v8, 7, v16
	v_mov_b32_e32 v33, v9
	v_lshrrev_b32_e32 v17, 3, v35
	s_mov_b32 s19, exec_lo
	s_delay_alu instid0(VALU_DEP_3)
	v_mov_b32_e32 v32, v8
	v_cmpx_gt_u32_e32 8, v35
; %bb.1887:                             ;   in Loop: Header=BB373_11 Depth=1
	v_clz_i32_u32_e32 v17, v8
	s_delay_alu instid0(VALU_DEP_1) | instskip(NEXT) | instid1(VALU_DEP_1)
	v_min_u32_e32 v17, 32, v17
	v_subrev_nc_u32_e32 v32, 28, v17
	v_sub_nc_u32_e32 v17, 29, v17
	s_delay_alu instid0(VALU_DEP_2) | instskip(NEXT) | instid1(VALU_DEP_1)
	v_lshlrev_b64 v[32:33], v32, v[8:9]
	v_and_b32_e32 v32, 7, v32
; %bb.1888:                             ;   in Loop: Header=BB373_11 Depth=1
	s_or_b32 exec_lo, exec_lo, s19
	v_lshlrev_b32_e32 v8, 8, v16
	v_lshl_add_u32 v16, v17, 10, 0x2000
	s_delay_alu instid0(VALU_DEP_1) | instskip(NEXT) | instid1(VALU_DEP_1)
	v_and_or_b32 v8, 0x8000, v8, v16
	v_lshl_or_b32 v8, v32, 7, v8
	s_delay_alu instid0(VALU_DEP_1)
	v_cvt_f32_f16_e32 v69, v8
.LBB373_1889:                           ;   in Loop: Header=BB373_11 Depth=1
	s_or_b32 exec_lo, exec_lo, s18
.LBB373_1890:                           ;   in Loop: Header=BB373_11 Depth=1
	s_delay_alu instid0(SALU_CYCLE_1)
	s_or_b32 exec_lo, exec_lo, s17
.LBB373_1891:                           ;   in Loop: Header=BB373_11 Depth=1
	s_delay_alu instid0(SALU_CYCLE_1)
	s_or_b32 exec_lo, exec_lo, s15
	v_dual_mov_b32 v96, 0 :: v_dual_mov_b32 v97, 0
	s_mov_b32 s15, exec_lo
	v_cmpx_lt_u32_e32 0xffffff, v30
	s_cbranch_execz .LBB373_1899
; %bb.1892:                             ;   in Loop: Header=BB373_11 Depth=1
	v_lshrrev_b32_e32 v16, 24, v30
	v_bfrev_b32_e32 v97, 1
	s_mov_b32 s17, exec_lo
	s_delay_alu instid0(VALU_DEP_2)
	v_cmpx_ne_u32_e32 0x80, v16
	s_cbranch_execz .LBB373_1898
; %bb.1893:                             ;   in Loop: Header=BB373_11 Depth=1
	v_and_b32_e32 v35, 0x7f, v16
	v_mov_b32_e32 v97, 0x7fc02000
	s_mov_b32 s18, exec_lo
	s_delay_alu instid0(VALU_DEP_2)
	v_cmpx_ne_u32_e32 0x7f, v35
	s_cbranch_execz .LBB373_1897
; %bb.1894:                             ;   in Loop: Header=BB373_11 Depth=1
	v_and_b32_e32 v8, 7, v16
	v_mov_b32_e32 v33, v9
	v_lshrrev_b32_e32 v17, 3, v35
	s_mov_b32 s19, exec_lo
	s_delay_alu instid0(VALU_DEP_3)
	v_mov_b32_e32 v32, v8
	v_cmpx_gt_u32_e32 8, v35
; %bb.1895:                             ;   in Loop: Header=BB373_11 Depth=1
	v_clz_i32_u32_e32 v17, v8
	s_delay_alu instid0(VALU_DEP_1) | instskip(NEXT) | instid1(VALU_DEP_1)
	v_min_u32_e32 v17, 32, v17
	v_subrev_nc_u32_e32 v32, 28, v17
	v_sub_nc_u32_e32 v17, 29, v17
	s_delay_alu instid0(VALU_DEP_2) | instskip(NEXT) | instid1(VALU_DEP_1)
	v_lshlrev_b64 v[32:33], v32, v[8:9]
	v_and_b32_e32 v32, 7, v32
; %bb.1896:                             ;   in Loop: Header=BB373_11 Depth=1
	s_or_b32 exec_lo, exec_lo, s19
	v_lshlrev_b32_e32 v8, 8, v16
	v_lshl_add_u32 v16, v17, 10, 0x2000
	s_delay_alu instid0(VALU_DEP_1) | instskip(NEXT) | instid1(VALU_DEP_1)
	v_and_or_b32 v8, 0x8000, v8, v16
	v_lshl_or_b32 v8, v32, 7, v8
	s_delay_alu instid0(VALU_DEP_1)
	v_cvt_f32_f16_e32 v97, v8
.LBB373_1897:                           ;   in Loop: Header=BB373_11 Depth=1
	s_or_b32 exec_lo, exec_lo, s18
.LBB373_1898:                           ;   in Loop: Header=BB373_11 Depth=1
	s_delay_alu instid0(SALU_CYCLE_1)
	s_or_b32 exec_lo, exec_lo, s17
.LBB373_1899:                           ;   in Loop: Header=BB373_11 Depth=1
	s_delay_alu instid0(SALU_CYCLE_1) | instskip(SKIP_3) | instid1(VALU_DEP_2)
	s_or_b32 exec_lo, exec_lo, s15
	v_and_b32_e32 v16, 0xff, v31
	v_mov_b32_e32 v8, v31
	s_mov_b32 s15, exec_lo
	v_cmpx_ne_u16_e32 0, v16
	s_cbranch_execz .LBB373_1907
; %bb.1900:                             ;   in Loop: Header=BB373_11 Depth=1
	v_bfrev_b32_e32 v96, 1
	s_mov_b32 s17, exec_lo
	v_cmpx_ne_u16_e32 0x80, v16
	s_cbranch_execz .LBB373_1906
; %bb.1901:                             ;   in Loop: Header=BB373_11 Depth=1
	v_and_b32_e32 v17, 0x7f, v31
	v_mov_b32_e32 v96, 0x7fc02000
	s_mov_b32 s18, exec_lo
	s_delay_alu instid0(VALU_DEP_2)
	v_cmpx_ne_u32_e32 0x7f, v17
	s_cbranch_execz .LBB373_1905
; %bb.1902:                             ;   in Loop: Header=BB373_11 Depth=1
	v_dual_mov_b32 v33, v9 :: v_dual_mov_b32 v32, v8
	v_lshrrev_b32_e32 v16, 3, v17
	s_mov_b32 s19, exec_lo
	v_cmpx_gt_u32_e32 8, v17
; %bb.1903:                             ;   in Loop: Header=BB373_11 Depth=1
	v_and_b32_e32 v16, 7, v31
	s_delay_alu instid0(VALU_DEP_1) | instskip(NEXT) | instid1(VALU_DEP_1)
	v_clz_i32_u32_e32 v16, v16
	v_min_u32_e32 v16, 32, v16
	s_delay_alu instid0(VALU_DEP_1) | instskip(SKIP_1) | instid1(VALU_DEP_2)
	v_subrev_nc_u32_e32 v17, 28, v16
	v_sub_nc_u32_e32 v16, 29, v16
	v_lshlrev_b64 v[32:33], v17, v[8:9]
; %bb.1904:                             ;   in Loop: Header=BB373_11 Depth=1
	s_or_b32 exec_lo, exec_lo, s19
	v_lshlrev_b32_e32 v17, 8, v31
	s_delay_alu instid0(VALU_DEP_3) | instskip(NEXT) | instid1(VALU_DEP_3)
	v_lshl_add_u32 v16, v16, 10, 0x2000
	v_lshlrev_b32_e32 v32, 7, v32
	s_delay_alu instid0(VALU_DEP_2) | instskip(NEXT) | instid1(VALU_DEP_1)
	v_and_or_b32 v16, 0x8000, v17, v16
	v_and_or_b32 v16, 0x380, v32, v16
	s_delay_alu instid0(VALU_DEP_1)
	v_cvt_f32_f16_e32 v96, v16
.LBB373_1905:                           ;   in Loop: Header=BB373_11 Depth=1
	s_or_b32 exec_lo, exec_lo, s18
.LBB373_1906:                           ;   in Loop: Header=BB373_11 Depth=1
	s_delay_alu instid0(SALU_CYCLE_1)
	s_or_b32 exec_lo, exec_lo, s17
.LBB373_1907:                           ;   in Loop: Header=BB373_11 Depth=1
	s_delay_alu instid0(SALU_CYCLE_1) | instskip(SKIP_4) | instid1(VALU_DEP_3)
	s_or_b32 exec_lo, exec_lo, s15
	v_lshrrev_b16 v8, 8, v8
	v_mov_b32_e32 v103, 0
	v_mov_b32_e32 v115, 0
	s_mov_b32 s15, exec_lo
	v_cmpx_ne_u16_e32 0, v8
	s_cbranch_execz .LBB373_1915
; %bb.1908:                             ;   in Loop: Header=BB373_11 Depth=1
	v_bfrev_b32_e32 v115, 1
	s_mov_b32 s17, exec_lo
	v_cmpx_ne_u16_e32 0x80, v8
	s_cbranch_execz .LBB373_1914
; %bb.1909:                             ;   in Loop: Header=BB373_11 Depth=1
	v_and_b32_e32 v16, 0xffff, v8
	v_mov_b32_e32 v115, 0x7fc02000
	s_mov_b32 s18, exec_lo
	s_delay_alu instid0(VALU_DEP_2) | instskip(NEXT) | instid1(VALU_DEP_1)
	v_and_b32_e32 v35, 0x7f, v16
	v_cmpx_ne_u32_e32 0x7f, v35
	s_cbranch_execz .LBB373_1913
; %bb.1910:                             ;   in Loop: Header=BB373_11 Depth=1
	v_and_b32_e32 v8, 7, v16
	v_mov_b32_e32 v33, v9
	v_lshrrev_b32_e32 v17, 3, v35
	s_mov_b32 s19, exec_lo
	s_delay_alu instid0(VALU_DEP_3)
	v_mov_b32_e32 v32, v8
	v_cmpx_gt_u32_e32 8, v35
; %bb.1911:                             ;   in Loop: Header=BB373_11 Depth=1
	v_clz_i32_u32_e32 v17, v8
	s_delay_alu instid0(VALU_DEP_1) | instskip(NEXT) | instid1(VALU_DEP_1)
	v_min_u32_e32 v17, 32, v17
	v_subrev_nc_u32_e32 v32, 28, v17
	v_sub_nc_u32_e32 v17, 29, v17
	s_delay_alu instid0(VALU_DEP_2) | instskip(NEXT) | instid1(VALU_DEP_1)
	v_lshlrev_b64 v[32:33], v32, v[8:9]
	v_and_b32_e32 v32, 7, v32
; %bb.1912:                             ;   in Loop: Header=BB373_11 Depth=1
	s_or_b32 exec_lo, exec_lo, s19
	v_lshlrev_b32_e32 v8, 8, v16
	v_lshl_add_u32 v16, v17, 10, 0x2000
	s_delay_alu instid0(VALU_DEP_1) | instskip(NEXT) | instid1(VALU_DEP_1)
	v_and_or_b32 v8, 0x8000, v8, v16
	v_lshl_or_b32 v8, v32, 7, v8
	s_delay_alu instid0(VALU_DEP_1)
	v_cvt_f32_f16_e32 v115, v8
.LBB373_1913:                           ;   in Loop: Header=BB373_11 Depth=1
	s_or_b32 exec_lo, exec_lo, s18
.LBB373_1914:                           ;   in Loop: Header=BB373_11 Depth=1
	s_delay_alu instid0(SALU_CYCLE_1)
	s_or_b32 exec_lo, exec_lo, s17
.LBB373_1915:                           ;   in Loop: Header=BB373_11 Depth=1
	s_delay_alu instid0(SALU_CYCLE_1) | instskip(SKIP_2) | instid1(VALU_DEP_1)
	s_or_b32 exec_lo, exec_lo, s15
	v_lshrrev_b32_e32 v16, 16, v31
	s_mov_b32 s15, exec_lo
	v_and_b32_e32 v8, 0xff, v16
	s_delay_alu instid0(VALU_DEP_1)
	v_cmpx_ne_u16_e32 0, v8
	s_cbranch_execz .LBB373_1923
; %bb.1916:                             ;   in Loop: Header=BB373_11 Depth=1
	v_bfrev_b32_e32 v103, 1
	s_mov_b32 s17, exec_lo
	v_cmpx_ne_u16_e32 0x80, v8
	s_cbranch_execz .LBB373_1922
; %bb.1917:                             ;   in Loop: Header=BB373_11 Depth=1
	v_bfe_u32 v35, v31, 16, 7
	v_mov_b32_e32 v103, 0x7fc02000
	s_mov_b32 s18, exec_lo
	s_delay_alu instid0(VALU_DEP_2)
	v_cmpx_ne_u32_e32 0x7f, v35
	s_cbranch_execz .LBB373_1921
; %bb.1918:                             ;   in Loop: Header=BB373_11 Depth=1
	v_and_b32_e32 v8, 7, v16
	v_mov_b32_e32 v33, v9
	v_lshrrev_b32_e32 v17, 3, v35
	s_mov_b32 s19, exec_lo
	s_delay_alu instid0(VALU_DEP_3)
	v_mov_b32_e32 v32, v8
	v_cmpx_gt_u32_e32 8, v35
; %bb.1919:                             ;   in Loop: Header=BB373_11 Depth=1
	v_clz_i32_u32_e32 v17, v8
	s_delay_alu instid0(VALU_DEP_1) | instskip(NEXT) | instid1(VALU_DEP_1)
	v_min_u32_e32 v17, 32, v17
	v_subrev_nc_u32_e32 v32, 28, v17
	v_sub_nc_u32_e32 v17, 29, v17
	s_delay_alu instid0(VALU_DEP_2) | instskip(NEXT) | instid1(VALU_DEP_1)
	v_lshlrev_b64 v[32:33], v32, v[8:9]
	v_and_b32_e32 v32, 7, v32
; %bb.1920:                             ;   in Loop: Header=BB373_11 Depth=1
	s_or_b32 exec_lo, exec_lo, s19
	v_lshlrev_b32_e32 v8, 8, v16
	v_lshl_add_u32 v16, v17, 10, 0x2000
	s_delay_alu instid0(VALU_DEP_1) | instskip(NEXT) | instid1(VALU_DEP_1)
	v_and_or_b32 v8, 0x8000, v8, v16
	v_lshl_or_b32 v8, v32, 7, v8
	s_delay_alu instid0(VALU_DEP_1)
	v_cvt_f32_f16_e32 v103, v8
.LBB373_1921:                           ;   in Loop: Header=BB373_11 Depth=1
	s_or_b32 exec_lo, exec_lo, s18
.LBB373_1922:                           ;   in Loop: Header=BB373_11 Depth=1
	s_delay_alu instid0(SALU_CYCLE_1)
	s_or_b32 exec_lo, exec_lo, s17
.LBB373_1923:                           ;   in Loop: Header=BB373_11 Depth=1
	s_delay_alu instid0(SALU_CYCLE_1)
	s_or_b32 exec_lo, exec_lo, s15
	v_mov_b32_e32 v47, 0
	v_mov_b32_e32 v135, 0
	s_mov_b32 s15, exec_lo
	v_cmpx_lt_u64_e64 s[2:3], v[30:31]
	s_cbranch_execz .LBB373_1931
; %bb.1924:                             ;   in Loop: Header=BB373_11 Depth=1
	v_lshrrev_b32_e32 v16, 24, v31
	v_bfrev_b32_e32 v135, 1
	s_mov_b32 s17, exec_lo
	s_delay_alu instid0(VALU_DEP_2)
	v_cmpx_ne_u32_e32 0x80, v16
	s_cbranch_execz .LBB373_1930
; %bb.1925:                             ;   in Loop: Header=BB373_11 Depth=1
	v_and_b32_e32 v32, 0x7f, v16
	v_mov_b32_e32 v135, 0x7fc02000
	s_mov_b32 s18, exec_lo
	s_delay_alu instid0(VALU_DEP_2)
	v_cmpx_ne_u32_e32 0x7f, v32
	s_cbranch_execz .LBB373_1929
; %bb.1926:                             ;   in Loop: Header=BB373_11 Depth=1
	v_and_b32_e32 v8, 7, v16
	v_mov_b32_e32 v31, v9
	v_lshrrev_b32_e32 v17, 3, v32
	s_mov_b32 s19, exec_lo
	s_delay_alu instid0(VALU_DEP_3)
	v_mov_b32_e32 v30, v8
	v_cmpx_gt_u32_e32 8, v32
; %bb.1927:                             ;   in Loop: Header=BB373_11 Depth=1
	v_clz_i32_u32_e32 v17, v8
	s_delay_alu instid0(VALU_DEP_1) | instskip(NEXT) | instid1(VALU_DEP_1)
	v_min_u32_e32 v17, 32, v17
	v_subrev_nc_u32_e32 v30, 28, v17
	v_sub_nc_u32_e32 v17, 29, v17
	s_delay_alu instid0(VALU_DEP_2) | instskip(NEXT) | instid1(VALU_DEP_1)
	v_lshlrev_b64 v[30:31], v30, v[8:9]
	v_and_b32_e32 v30, 7, v30
; %bb.1928:                             ;   in Loop: Header=BB373_11 Depth=1
	s_or_b32 exec_lo, exec_lo, s19
	v_lshlrev_b32_e32 v8, 8, v16
	v_lshl_add_u32 v16, v17, 10, 0x2000
	s_delay_alu instid0(VALU_DEP_1) | instskip(NEXT) | instid1(VALU_DEP_1)
	v_and_or_b32 v8, 0x8000, v8, v16
	v_lshl_or_b32 v8, v30, 7, v8
	s_delay_alu instid0(VALU_DEP_1)
	v_cvt_f32_f16_e64 v135, v8
.LBB373_1929:                           ;   in Loop: Header=BB373_11 Depth=1
	s_or_b32 exec_lo, exec_lo, s18
.LBB373_1930:                           ;   in Loop: Header=BB373_11 Depth=1
	s_delay_alu instid0(SALU_CYCLE_1)
	s_or_b32 exec_lo, exec_lo, s17
.LBB373_1931:                           ;   in Loop: Header=BB373_11 Depth=1
	s_delay_alu instid0(SALU_CYCLE_1) | instskip(SKIP_4) | instid1(VALU_DEP_1)
	s_or_b32 exec_lo, exec_lo, s15
	flat_load_b64 v[30:31], v[28:29] offset:3584
	s_mov_b32 s15, exec_lo
	s_waitcnt vmcnt(0) lgkmcnt(0)
	v_and_b32_e32 v8, 0xff, v30
	v_cmpx_ne_u16_e32 0, v8
	s_cbranch_execz .LBB373_1939
; %bb.1932:                             ;   in Loop: Header=BB373_11 Depth=1
	v_bfrev_b32_e32 v47, 1
	s_mov_b32 s17, exec_lo
	v_cmpx_ne_u16_e32 0x80, v8
	s_cbranch_execz .LBB373_1938
; %bb.1933:                             ;   in Loop: Header=BB373_11 Depth=1
	v_and_b32_e32 v16, 0x7f, v30
	v_mov_b32_e32 v47, 0x7fc02000
	s_mov_b32 s18, exec_lo
	s_delay_alu instid0(VALU_DEP_2)
	v_cmpx_ne_u32_e32 0x7f, v16
	s_cbranch_execz .LBB373_1937
; %bb.1934:                             ;   in Loop: Header=BB373_11 Depth=1
	v_lshrrev_b32_e32 v8, 3, v16
	v_dual_mov_b32 v33, v31 :: v_dual_mov_b32 v32, v30
	s_mov_b32 s19, exec_lo
	v_cmpx_gt_u32_e32 8, v16
; %bb.1935:                             ;   in Loop: Header=BB373_11 Depth=1
	v_and_b32_e32 v8, 7, v30
	s_delay_alu instid0(VALU_DEP_1) | instskip(NEXT) | instid1(VALU_DEP_1)
	v_clz_i32_u32_e32 v8, v8
	v_min_u32_e32 v8, 32, v8
	s_delay_alu instid0(VALU_DEP_1) | instskip(SKIP_1) | instid1(VALU_DEP_2)
	v_subrev_nc_u32_e32 v16, 28, v8
	v_sub_nc_u32_e32 v8, 29, v8
	v_lshlrev_b64 v[32:33], v16, v[30:31]
; %bb.1936:                             ;   in Loop: Header=BB373_11 Depth=1
	s_or_b32 exec_lo, exec_lo, s19
	v_lshlrev_b32_e32 v16, 8, v30
	s_delay_alu instid0(VALU_DEP_3) | instskip(NEXT) | instid1(VALU_DEP_3)
	v_lshl_add_u32 v8, v8, 10, 0x2000
	v_lshlrev_b32_e32 v17, 7, v32
	s_delay_alu instid0(VALU_DEP_2) | instskip(NEXT) | instid1(VALU_DEP_1)
	v_and_or_b32 v8, 0x8000, v16, v8
	v_and_or_b32 v8, 0x380, v17, v8
	s_delay_alu instid0(VALU_DEP_1)
	v_cvt_f32_f16_e32 v47, v8
.LBB373_1937:                           ;   in Loop: Header=BB373_11 Depth=1
	s_or_b32 exec_lo, exec_lo, s18
.LBB373_1938:                           ;   in Loop: Header=BB373_11 Depth=1
	s_delay_alu instid0(SALU_CYCLE_1)
	s_or_b32 exec_lo, exec_lo, s17
.LBB373_1939:                           ;   in Loop: Header=BB373_11 Depth=1
	s_delay_alu instid0(SALU_CYCLE_1) | instskip(SKIP_3) | instid1(VALU_DEP_2)
	s_or_b32 exec_lo, exec_lo, s15
	v_lshrrev_b16 v8, 8, v30
	v_dual_mov_b32 v150, 0 :: v_dual_mov_b32 v151, 0
	s_mov_b32 s15, exec_lo
	v_cmpx_ne_u16_e32 0, v8
	s_cbranch_execz .LBB373_1947
; %bb.1940:                             ;   in Loop: Header=BB373_11 Depth=1
	v_bfrev_b32_e32 v151, 1
	s_mov_b32 s17, exec_lo
	v_cmpx_ne_u16_e32 0x80, v8
	s_cbranch_execz .LBB373_1946
; %bb.1941:                             ;   in Loop: Header=BB373_11 Depth=1
	v_and_b32_e32 v16, 0xffff, v8
	v_mov_b32_e32 v151, 0x7fc02000
	s_mov_b32 s18, exec_lo
	s_delay_alu instid0(VALU_DEP_2) | instskip(NEXT) | instid1(VALU_DEP_1)
	v_and_b32_e32 v35, 0x7f, v16
	v_cmpx_ne_u32_e32 0x7f, v35
	s_cbranch_execz .LBB373_1945
; %bb.1942:                             ;   in Loop: Header=BB373_11 Depth=1
	v_and_b32_e32 v8, 7, v16
	v_mov_b32_e32 v33, v9
	v_lshrrev_b32_e32 v17, 3, v35
	s_mov_b32 s19, exec_lo
	s_delay_alu instid0(VALU_DEP_3)
	v_mov_b32_e32 v32, v8
	v_cmpx_gt_u32_e32 8, v35
; %bb.1943:                             ;   in Loop: Header=BB373_11 Depth=1
	v_clz_i32_u32_e32 v17, v8
	s_delay_alu instid0(VALU_DEP_1) | instskip(NEXT) | instid1(VALU_DEP_1)
	v_min_u32_e32 v17, 32, v17
	v_subrev_nc_u32_e32 v32, 28, v17
	v_sub_nc_u32_e32 v17, 29, v17
	s_delay_alu instid0(VALU_DEP_2) | instskip(NEXT) | instid1(VALU_DEP_1)
	v_lshlrev_b64 v[32:33], v32, v[8:9]
	v_and_b32_e32 v32, 7, v32
; %bb.1944:                             ;   in Loop: Header=BB373_11 Depth=1
	s_or_b32 exec_lo, exec_lo, s19
	v_lshlrev_b32_e32 v8, 8, v16
	v_lshl_add_u32 v16, v17, 10, 0x2000
	s_delay_alu instid0(VALU_DEP_1) | instskip(NEXT) | instid1(VALU_DEP_1)
	v_and_or_b32 v8, 0x8000, v8, v16
	v_lshl_or_b32 v8, v32, 7, v8
	s_delay_alu instid0(VALU_DEP_1)
	v_cvt_f32_f16_e64 v151, v8
.LBB373_1945:                           ;   in Loop: Header=BB373_11 Depth=1
	s_or_b32 exec_lo, exec_lo, s18
.LBB373_1946:                           ;   in Loop: Header=BB373_11 Depth=1
	s_delay_alu instid0(SALU_CYCLE_1)
	s_or_b32 exec_lo, exec_lo, s17
.LBB373_1947:                           ;   in Loop: Header=BB373_11 Depth=1
	s_delay_alu instid0(SALU_CYCLE_1) | instskip(SKIP_2) | instid1(VALU_DEP_1)
	s_or_b32 exec_lo, exec_lo, s15
	v_lshrrev_b32_e32 v16, 16, v30
	s_mov_b32 s15, exec_lo
	v_and_b32_e32 v8, 0xff, v16
	s_delay_alu instid0(VALU_DEP_1)
	v_cmpx_ne_u16_e32 0, v8
	s_cbranch_execz .LBB373_1955
; %bb.1948:                             ;   in Loop: Header=BB373_11 Depth=1
	v_bfrev_b32_e32 v150, 1
	s_mov_b32 s17, exec_lo
	v_cmpx_ne_u16_e32 0x80, v8
	s_cbranch_execz .LBB373_1954
; %bb.1949:                             ;   in Loop: Header=BB373_11 Depth=1
	v_bfe_u32 v35, v30, 16, 7
	v_mov_b32_e32 v150, 0x7fc02000
	s_mov_b32 s18, exec_lo
	s_delay_alu instid0(VALU_DEP_2)
	v_cmpx_ne_u32_e32 0x7f, v35
	s_cbranch_execz .LBB373_1953
; %bb.1950:                             ;   in Loop: Header=BB373_11 Depth=1
	v_and_b32_e32 v8, 7, v16
	v_mov_b32_e32 v33, v9
	v_lshrrev_b32_e32 v17, 3, v35
	s_mov_b32 s19, exec_lo
	s_delay_alu instid0(VALU_DEP_3)
	v_mov_b32_e32 v32, v8
	v_cmpx_gt_u32_e32 8, v35
; %bb.1951:                             ;   in Loop: Header=BB373_11 Depth=1
	v_clz_i32_u32_e32 v17, v8
	s_delay_alu instid0(VALU_DEP_1) | instskip(NEXT) | instid1(VALU_DEP_1)
	v_min_u32_e32 v17, 32, v17
	v_subrev_nc_u32_e32 v32, 28, v17
	v_sub_nc_u32_e32 v17, 29, v17
	s_delay_alu instid0(VALU_DEP_2) | instskip(NEXT) | instid1(VALU_DEP_1)
	v_lshlrev_b64 v[32:33], v32, v[8:9]
	v_and_b32_e32 v32, 7, v32
; %bb.1952:                             ;   in Loop: Header=BB373_11 Depth=1
	s_or_b32 exec_lo, exec_lo, s19
	v_lshlrev_b32_e32 v8, 8, v16
	v_lshl_add_u32 v16, v17, 10, 0x2000
	s_delay_alu instid0(VALU_DEP_1) | instskip(NEXT) | instid1(VALU_DEP_1)
	v_and_or_b32 v8, 0x8000, v8, v16
	v_lshl_or_b32 v8, v32, 7, v8
	s_delay_alu instid0(VALU_DEP_1)
	v_cvt_f32_f16_e64 v150, v8
.LBB373_1953:                           ;   in Loop: Header=BB373_11 Depth=1
	s_or_b32 exec_lo, exec_lo, s18
.LBB373_1954:                           ;   in Loop: Header=BB373_11 Depth=1
	s_delay_alu instid0(SALU_CYCLE_1)
	s_or_b32 exec_lo, exec_lo, s17
.LBB373_1955:                           ;   in Loop: Header=BB373_11 Depth=1
	s_delay_alu instid0(SALU_CYCLE_1)
	s_or_b32 exec_lo, exec_lo, s15
	v_mov_b32_e32 v74, 0
	v_mov_b32_e32 v76, 0
	s_mov_b32 s15, exec_lo
	v_cmpx_lt_u32_e32 0xffffff, v30
	s_cbranch_execz .LBB373_1963
; %bb.1956:                             ;   in Loop: Header=BB373_11 Depth=1
	v_lshrrev_b32_e32 v16, 24, v30
	v_bfrev_b32_e32 v76, 1
	s_mov_b32 s17, exec_lo
	s_delay_alu instid0(VALU_DEP_2)
	v_cmpx_ne_u32_e32 0x80, v16
	s_cbranch_execz .LBB373_1962
; %bb.1957:                             ;   in Loop: Header=BB373_11 Depth=1
	v_and_b32_e32 v35, 0x7f, v16
	v_mov_b32_e32 v76, 0x7fc02000
	s_mov_b32 s18, exec_lo
	s_delay_alu instid0(VALU_DEP_2)
	v_cmpx_ne_u32_e32 0x7f, v35
	s_cbranch_execz .LBB373_1961
; %bb.1958:                             ;   in Loop: Header=BB373_11 Depth=1
	v_and_b32_e32 v8, 7, v16
	v_mov_b32_e32 v33, v9
	v_lshrrev_b32_e32 v17, 3, v35
	s_mov_b32 s19, exec_lo
	s_delay_alu instid0(VALU_DEP_3)
	v_mov_b32_e32 v32, v8
	v_cmpx_gt_u32_e32 8, v35
; %bb.1959:                             ;   in Loop: Header=BB373_11 Depth=1
	v_clz_i32_u32_e32 v17, v8
	s_delay_alu instid0(VALU_DEP_1) | instskip(NEXT) | instid1(VALU_DEP_1)
	v_min_u32_e32 v17, 32, v17
	v_subrev_nc_u32_e32 v32, 28, v17
	v_sub_nc_u32_e32 v17, 29, v17
	s_delay_alu instid0(VALU_DEP_2) | instskip(NEXT) | instid1(VALU_DEP_1)
	v_lshlrev_b64 v[32:33], v32, v[8:9]
	v_and_b32_e32 v32, 7, v32
; %bb.1960:                             ;   in Loop: Header=BB373_11 Depth=1
	s_or_b32 exec_lo, exec_lo, s19
	v_lshlrev_b32_e32 v8, 8, v16
	v_lshl_add_u32 v16, v17, 10, 0x2000
	s_delay_alu instid0(VALU_DEP_1) | instskip(NEXT) | instid1(VALU_DEP_1)
	v_and_or_b32 v8, 0x8000, v8, v16
	v_lshl_or_b32 v8, v32, 7, v8
	s_delay_alu instid0(VALU_DEP_1)
	v_cvt_f32_f16_e32 v76, v8
.LBB373_1961:                           ;   in Loop: Header=BB373_11 Depth=1
	s_or_b32 exec_lo, exec_lo, s18
.LBB373_1962:                           ;   in Loop: Header=BB373_11 Depth=1
	s_delay_alu instid0(SALU_CYCLE_1)
	s_or_b32 exec_lo, exec_lo, s17
.LBB373_1963:                           ;   in Loop: Header=BB373_11 Depth=1
	s_delay_alu instid0(SALU_CYCLE_1) | instskip(SKIP_3) | instid1(VALU_DEP_2)
	s_or_b32 exec_lo, exec_lo, s15
	v_and_b32_e32 v16, 0xff, v31
	v_mov_b32_e32 v8, v31
	s_mov_b32 s15, exec_lo
	v_cmpx_ne_u16_e32 0, v16
	s_cbranch_execz .LBB373_1971
; %bb.1964:                             ;   in Loop: Header=BB373_11 Depth=1
	v_bfrev_b32_e32 v74, 1
	s_mov_b32 s17, exec_lo
	v_cmpx_ne_u16_e32 0x80, v16
	s_cbranch_execz .LBB373_1970
; %bb.1965:                             ;   in Loop: Header=BB373_11 Depth=1
	v_and_b32_e32 v17, 0x7f, v31
	v_mov_b32_e32 v74, 0x7fc02000
	s_mov_b32 s18, exec_lo
	s_delay_alu instid0(VALU_DEP_2)
	v_cmpx_ne_u32_e32 0x7f, v17
	s_cbranch_execz .LBB373_1969
; %bb.1966:                             ;   in Loop: Header=BB373_11 Depth=1
	v_dual_mov_b32 v33, v9 :: v_dual_mov_b32 v32, v8
	v_lshrrev_b32_e32 v16, 3, v17
	s_mov_b32 s19, exec_lo
	v_cmpx_gt_u32_e32 8, v17
; %bb.1967:                             ;   in Loop: Header=BB373_11 Depth=1
	v_and_b32_e32 v16, 7, v31
	s_delay_alu instid0(VALU_DEP_1) | instskip(NEXT) | instid1(VALU_DEP_1)
	v_clz_i32_u32_e32 v16, v16
	v_min_u32_e32 v16, 32, v16
	s_delay_alu instid0(VALU_DEP_1) | instskip(SKIP_1) | instid1(VALU_DEP_2)
	v_subrev_nc_u32_e32 v17, 28, v16
	v_sub_nc_u32_e32 v16, 29, v16
	v_lshlrev_b64 v[32:33], v17, v[8:9]
; %bb.1968:                             ;   in Loop: Header=BB373_11 Depth=1
	s_or_b32 exec_lo, exec_lo, s19
	v_lshlrev_b32_e32 v17, 8, v31
	s_delay_alu instid0(VALU_DEP_3) | instskip(NEXT) | instid1(VALU_DEP_3)
	v_lshl_add_u32 v16, v16, 10, 0x2000
	v_lshlrev_b32_e32 v32, 7, v32
	s_delay_alu instid0(VALU_DEP_2) | instskip(NEXT) | instid1(VALU_DEP_1)
	v_and_or_b32 v16, 0x8000, v17, v16
	v_and_or_b32 v16, 0x380, v32, v16
	s_delay_alu instid0(VALU_DEP_1)
	v_cvt_f32_f16_e32 v74, v16
.LBB373_1969:                           ;   in Loop: Header=BB373_11 Depth=1
	s_or_b32 exec_lo, exec_lo, s18
.LBB373_1970:                           ;   in Loop: Header=BB373_11 Depth=1
	s_delay_alu instid0(SALU_CYCLE_1)
	s_or_b32 exec_lo, exec_lo, s17
.LBB373_1971:                           ;   in Loop: Header=BB373_11 Depth=1
	s_delay_alu instid0(SALU_CYCLE_1) | instskip(SKIP_3) | instid1(VALU_DEP_2)
	s_or_b32 exec_lo, exec_lo, s15
	v_lshrrev_b16 v8, 8, v8
	v_dual_mov_b32 v77, 0 :: v_dual_mov_b32 v78, 0
	s_mov_b32 s15, exec_lo
	v_cmpx_ne_u16_e32 0, v8
	s_cbranch_execz .LBB373_1979
; %bb.1972:                             ;   in Loop: Header=BB373_11 Depth=1
	v_bfrev_b32_e32 v78, 1
	s_mov_b32 s17, exec_lo
	v_cmpx_ne_u16_e32 0x80, v8
	s_cbranch_execz .LBB373_1978
; %bb.1973:                             ;   in Loop: Header=BB373_11 Depth=1
	v_and_b32_e32 v16, 0xffff, v8
	v_mov_b32_e32 v78, 0x7fc02000
	s_mov_b32 s18, exec_lo
	s_delay_alu instid0(VALU_DEP_2) | instskip(NEXT) | instid1(VALU_DEP_1)
	v_and_b32_e32 v35, 0x7f, v16
	v_cmpx_ne_u32_e32 0x7f, v35
	s_cbranch_execz .LBB373_1977
; %bb.1974:                             ;   in Loop: Header=BB373_11 Depth=1
	v_and_b32_e32 v8, 7, v16
	v_mov_b32_e32 v33, v9
	v_lshrrev_b32_e32 v17, 3, v35
	s_mov_b32 s19, exec_lo
	s_delay_alu instid0(VALU_DEP_3)
	v_mov_b32_e32 v32, v8
	v_cmpx_gt_u32_e32 8, v35
; %bb.1975:                             ;   in Loop: Header=BB373_11 Depth=1
	v_clz_i32_u32_e32 v17, v8
	s_delay_alu instid0(VALU_DEP_1) | instskip(NEXT) | instid1(VALU_DEP_1)
	v_min_u32_e32 v17, 32, v17
	v_subrev_nc_u32_e32 v32, 28, v17
	v_sub_nc_u32_e32 v17, 29, v17
	s_delay_alu instid0(VALU_DEP_2) | instskip(NEXT) | instid1(VALU_DEP_1)
	v_lshlrev_b64 v[32:33], v32, v[8:9]
	v_and_b32_e32 v32, 7, v32
; %bb.1976:                             ;   in Loop: Header=BB373_11 Depth=1
	s_or_b32 exec_lo, exec_lo, s19
	v_lshlrev_b32_e32 v8, 8, v16
	v_lshl_add_u32 v16, v17, 10, 0x2000
	s_delay_alu instid0(VALU_DEP_1) | instskip(NEXT) | instid1(VALU_DEP_1)
	v_and_or_b32 v8, 0x8000, v8, v16
	v_lshl_or_b32 v8, v32, 7, v8
	s_delay_alu instid0(VALU_DEP_1)
	v_cvt_f32_f16_e32 v78, v8
.LBB373_1977:                           ;   in Loop: Header=BB373_11 Depth=1
	s_or_b32 exec_lo, exec_lo, s18
.LBB373_1978:                           ;   in Loop: Header=BB373_11 Depth=1
	s_delay_alu instid0(SALU_CYCLE_1)
	s_or_b32 exec_lo, exec_lo, s17
.LBB373_1979:                           ;   in Loop: Header=BB373_11 Depth=1
	s_delay_alu instid0(SALU_CYCLE_1) | instskip(SKIP_2) | instid1(VALU_DEP_1)
	s_or_b32 exec_lo, exec_lo, s15
	v_lshrrev_b32_e32 v16, 16, v31
	s_mov_b32 s15, exec_lo
	v_and_b32_e32 v8, 0xff, v16
	s_delay_alu instid0(VALU_DEP_1)
	v_cmpx_ne_u16_e32 0, v8
	s_cbranch_execz .LBB373_1987
; %bb.1980:                             ;   in Loop: Header=BB373_11 Depth=1
	v_bfrev_b32_e32 v77, 1
	s_mov_b32 s17, exec_lo
	v_cmpx_ne_u16_e32 0x80, v8
	s_cbranch_execz .LBB373_1986
; %bb.1981:                             ;   in Loop: Header=BB373_11 Depth=1
	v_bfe_u32 v35, v31, 16, 7
	v_mov_b32_e32 v77, 0x7fc02000
	s_mov_b32 s18, exec_lo
	s_delay_alu instid0(VALU_DEP_2)
	v_cmpx_ne_u32_e32 0x7f, v35
	s_cbranch_execz .LBB373_1985
; %bb.1982:                             ;   in Loop: Header=BB373_11 Depth=1
	v_and_b32_e32 v8, 7, v16
	v_mov_b32_e32 v33, v9
	v_lshrrev_b32_e32 v17, 3, v35
	s_mov_b32 s19, exec_lo
	s_delay_alu instid0(VALU_DEP_3)
	v_mov_b32_e32 v32, v8
	v_cmpx_gt_u32_e32 8, v35
; %bb.1983:                             ;   in Loop: Header=BB373_11 Depth=1
	v_clz_i32_u32_e32 v17, v8
	s_delay_alu instid0(VALU_DEP_1) | instskip(NEXT) | instid1(VALU_DEP_1)
	v_min_u32_e32 v17, 32, v17
	v_subrev_nc_u32_e32 v32, 28, v17
	v_sub_nc_u32_e32 v17, 29, v17
	s_delay_alu instid0(VALU_DEP_2) | instskip(NEXT) | instid1(VALU_DEP_1)
	v_lshlrev_b64 v[32:33], v32, v[8:9]
	v_and_b32_e32 v32, 7, v32
; %bb.1984:                             ;   in Loop: Header=BB373_11 Depth=1
	s_or_b32 exec_lo, exec_lo, s19
	v_lshlrev_b32_e32 v8, 8, v16
	v_lshl_add_u32 v16, v17, 10, 0x2000
	s_delay_alu instid0(VALU_DEP_1) | instskip(NEXT) | instid1(VALU_DEP_1)
	v_and_or_b32 v8, 0x8000, v8, v16
	v_lshl_or_b32 v8, v32, 7, v8
	s_delay_alu instid0(VALU_DEP_1)
	v_cvt_f32_f16_e32 v77, v8
.LBB373_1985:                           ;   in Loop: Header=BB373_11 Depth=1
	s_or_b32 exec_lo, exec_lo, s18
.LBB373_1986:                           ;   in Loop: Header=BB373_11 Depth=1
	s_delay_alu instid0(SALU_CYCLE_1)
	s_or_b32 exec_lo, exec_lo, s17
.LBB373_1987:                           ;   in Loop: Header=BB373_11 Depth=1
	s_delay_alu instid0(SALU_CYCLE_1)
	s_or_b32 exec_lo, exec_lo, s15
	v_mov_b32_e32 v50, 0
	v_mov_b32_e32 v32, 0
	s_mov_b32 s15, exec_lo
	v_cmpx_lt_u64_e64 s[2:3], v[30:31]
	s_cbranch_execz .LBB373_1995
; %bb.1988:                             ;   in Loop: Header=BB373_11 Depth=1
	v_lshrrev_b32_e32 v16, 24, v31
	v_bfrev_b32_e32 v32, 1
	s_mov_b32 s17, exec_lo
	s_delay_alu instid0(VALU_DEP_2)
	v_cmpx_ne_u32_e32 0x80, v16
	s_cbranch_execz .LBB373_1994
; %bb.1989:                             ;   in Loop: Header=BB373_11 Depth=1
	v_and_b32_e32 v33, 0x7f, v16
	v_mov_b32_e32 v32, 0x7fc02000
	s_mov_b32 s18, exec_lo
	s_delay_alu instid0(VALU_DEP_2)
	v_cmpx_ne_u32_e32 0x7f, v33
	s_cbranch_execz .LBB373_1993
; %bb.1990:                             ;   in Loop: Header=BB373_11 Depth=1
	v_and_b32_e32 v8, 7, v16
	v_mov_b32_e32 v31, v9
	v_lshrrev_b32_e32 v17, 3, v33
	s_mov_b32 s19, exec_lo
	s_delay_alu instid0(VALU_DEP_3)
	v_mov_b32_e32 v30, v8
	v_cmpx_gt_u32_e32 8, v33
; %bb.1991:                             ;   in Loop: Header=BB373_11 Depth=1
	v_clz_i32_u32_e32 v17, v8
	s_delay_alu instid0(VALU_DEP_1) | instskip(NEXT) | instid1(VALU_DEP_1)
	v_min_u32_e32 v17, 32, v17
	v_subrev_nc_u32_e32 v30, 28, v17
	v_sub_nc_u32_e32 v17, 29, v17
	s_delay_alu instid0(VALU_DEP_2) | instskip(NEXT) | instid1(VALU_DEP_1)
	v_lshlrev_b64 v[30:31], v30, v[8:9]
	v_and_b32_e32 v30, 7, v30
; %bb.1992:                             ;   in Loop: Header=BB373_11 Depth=1
	s_or_b32 exec_lo, exec_lo, s19
	v_lshlrev_b32_e32 v8, 8, v16
	v_lshl_add_u32 v16, v17, 10, 0x2000
	s_delay_alu instid0(VALU_DEP_1) | instskip(NEXT) | instid1(VALU_DEP_1)
	v_and_or_b32 v8, 0x8000, v8, v16
	v_lshl_or_b32 v8, v30, 7, v8
	s_delay_alu instid0(VALU_DEP_1)
	v_cvt_f32_f16_e32 v32, v8
.LBB373_1993:                           ;   in Loop: Header=BB373_11 Depth=1
	s_or_b32 exec_lo, exec_lo, s18
.LBB373_1994:                           ;   in Loop: Header=BB373_11 Depth=1
	s_delay_alu instid0(SALU_CYCLE_1)
	s_or_b32 exec_lo, exec_lo, s17
.LBB373_1995:                           ;   in Loop: Header=BB373_11 Depth=1
	s_delay_alu instid0(SALU_CYCLE_1) | instskip(SKIP_4) | instid1(VALU_DEP_1)
	s_or_b32 exec_lo, exec_lo, s15
	flat_load_b64 v[28:29], v[28:29] offset:3592
	s_mov_b32 s15, exec_lo
	s_waitcnt vmcnt(0) lgkmcnt(0)
	v_and_b32_e32 v8, 0xff, v28
	v_cmpx_ne_u16_e32 0, v8
	s_cbranch_execz .LBB373_2003
; %bb.1996:                             ;   in Loop: Header=BB373_11 Depth=1
	v_bfrev_b32_e32 v50, 1
	s_mov_b32 s17, exec_lo
	v_cmpx_ne_u16_e32 0x80, v8
	s_cbranch_execz .LBB373_2002
; %bb.1997:                             ;   in Loop: Header=BB373_11 Depth=1
	v_and_b32_e32 v16, 0x7f, v28
	v_mov_b32_e32 v50, 0x7fc02000
	s_mov_b32 s18, exec_lo
	s_delay_alu instid0(VALU_DEP_2)
	v_cmpx_ne_u32_e32 0x7f, v16
	s_cbranch_execz .LBB373_2001
; %bb.1998:                             ;   in Loop: Header=BB373_11 Depth=1
	v_lshrrev_b32_e32 v8, 3, v16
	v_dual_mov_b32 v31, v29 :: v_dual_mov_b32 v30, v28
	s_mov_b32 s19, exec_lo
	v_cmpx_gt_u32_e32 8, v16
; %bb.1999:                             ;   in Loop: Header=BB373_11 Depth=1
	v_and_b32_e32 v8, 7, v28
	s_delay_alu instid0(VALU_DEP_1) | instskip(NEXT) | instid1(VALU_DEP_1)
	v_clz_i32_u32_e32 v8, v8
	v_min_u32_e32 v8, 32, v8
	s_delay_alu instid0(VALU_DEP_1) | instskip(SKIP_1) | instid1(VALU_DEP_2)
	v_subrev_nc_u32_e32 v16, 28, v8
	v_sub_nc_u32_e32 v8, 29, v8
	v_lshlrev_b64 v[30:31], v16, v[28:29]
; %bb.2000:                             ;   in Loop: Header=BB373_11 Depth=1
	s_or_b32 exec_lo, exec_lo, s19
	v_lshlrev_b32_e32 v16, 8, v28
	s_delay_alu instid0(VALU_DEP_3) | instskip(NEXT) | instid1(VALU_DEP_3)
	v_lshl_add_u32 v8, v8, 10, 0x2000
	v_lshlrev_b32_e32 v17, 7, v30
	s_delay_alu instid0(VALU_DEP_2) | instskip(NEXT) | instid1(VALU_DEP_1)
	v_and_or_b32 v8, 0x8000, v16, v8
	v_and_or_b32 v8, 0x380, v17, v8
	s_delay_alu instid0(VALU_DEP_1)
	v_cvt_f32_f16_e32 v50, v8
.LBB373_2001:                           ;   in Loop: Header=BB373_11 Depth=1
	s_or_b32 exec_lo, exec_lo, s18
.LBB373_2002:                           ;   in Loop: Header=BB373_11 Depth=1
	s_delay_alu instid0(SALU_CYCLE_1)
	s_or_b32 exec_lo, exec_lo, s17
.LBB373_2003:                           ;   in Loop: Header=BB373_11 Depth=1
	s_delay_alu instid0(SALU_CYCLE_1) | instskip(SKIP_3) | instid1(VALU_DEP_2)
	s_or_b32 exec_lo, exec_lo, s15
	v_lshrrev_b16 v8, 8, v28
	v_dual_mov_b32 v35, 0 :: v_dual_mov_b32 v36, 0
	s_mov_b32 s15, exec_lo
	v_cmpx_ne_u16_e32 0, v8
	s_cbranch_execz .LBB373_2011
; %bb.2004:                             ;   in Loop: Header=BB373_11 Depth=1
	v_bfrev_b32_e32 v36, 1
	s_mov_b32 s17, exec_lo
	v_cmpx_ne_u16_e32 0x80, v8
	s_cbranch_execz .LBB373_2010
; %bb.2005:                             ;   in Loop: Header=BB373_11 Depth=1
	v_and_b32_e32 v16, 0xffff, v8
	v_mov_b32_e32 v36, 0x7fc02000
	s_mov_b32 s18, exec_lo
	s_delay_alu instid0(VALU_DEP_2) | instskip(NEXT) | instid1(VALU_DEP_1)
	v_and_b32_e32 v33, 0x7f, v16
	v_cmpx_ne_u32_e32 0x7f, v33
	s_cbranch_execz .LBB373_2009
; %bb.2006:                             ;   in Loop: Header=BB373_11 Depth=1
	v_and_b32_e32 v8, 7, v16
	v_mov_b32_e32 v31, v9
	v_lshrrev_b32_e32 v17, 3, v33
	s_mov_b32 s19, exec_lo
	s_delay_alu instid0(VALU_DEP_3)
	v_mov_b32_e32 v30, v8
	v_cmpx_gt_u32_e32 8, v33
; %bb.2007:                             ;   in Loop: Header=BB373_11 Depth=1
	v_clz_i32_u32_e32 v17, v8
	s_delay_alu instid0(VALU_DEP_1) | instskip(NEXT) | instid1(VALU_DEP_1)
	v_min_u32_e32 v17, 32, v17
	v_subrev_nc_u32_e32 v30, 28, v17
	v_sub_nc_u32_e32 v17, 29, v17
	s_delay_alu instid0(VALU_DEP_2) | instskip(NEXT) | instid1(VALU_DEP_1)
	v_lshlrev_b64 v[30:31], v30, v[8:9]
	v_and_b32_e32 v30, 7, v30
; %bb.2008:                             ;   in Loop: Header=BB373_11 Depth=1
	s_or_b32 exec_lo, exec_lo, s19
	v_lshlrev_b32_e32 v8, 8, v16
	v_lshl_add_u32 v16, v17, 10, 0x2000
	s_delay_alu instid0(VALU_DEP_1) | instskip(NEXT) | instid1(VALU_DEP_1)
	v_and_or_b32 v8, 0x8000, v8, v16
	v_lshl_or_b32 v8, v30, 7, v8
	s_delay_alu instid0(VALU_DEP_1)
	v_cvt_f32_f16_e32 v36, v8
.LBB373_2009:                           ;   in Loop: Header=BB373_11 Depth=1
	s_or_b32 exec_lo, exec_lo, s18
.LBB373_2010:                           ;   in Loop: Header=BB373_11 Depth=1
	s_delay_alu instid0(SALU_CYCLE_1)
	s_or_b32 exec_lo, exec_lo, s17
.LBB373_2011:                           ;   in Loop: Header=BB373_11 Depth=1
	s_delay_alu instid0(SALU_CYCLE_1) | instskip(SKIP_2) | instid1(VALU_DEP_1)
	s_or_b32 exec_lo, exec_lo, s15
	v_lshrrev_b32_e32 v16, 16, v28
	s_mov_b32 s15, exec_lo
	v_and_b32_e32 v8, 0xff, v16
	s_delay_alu instid0(VALU_DEP_1)
	v_cmpx_ne_u16_e32 0, v8
	s_cbranch_execz .LBB373_2019
; %bb.2012:                             ;   in Loop: Header=BB373_11 Depth=1
	v_bfrev_b32_e32 v35, 1
	s_mov_b32 s17, exec_lo
	v_cmpx_ne_u16_e32 0x80, v8
	s_cbranch_execz .LBB373_2018
; %bb.2013:                             ;   in Loop: Header=BB373_11 Depth=1
	v_bfe_u32 v33, v28, 16, 7
	v_mov_b32_e32 v35, 0x7fc02000
	s_mov_b32 s18, exec_lo
	s_delay_alu instid0(VALU_DEP_2)
	v_cmpx_ne_u32_e32 0x7f, v33
	s_cbranch_execz .LBB373_2017
; %bb.2014:                             ;   in Loop: Header=BB373_11 Depth=1
	v_and_b32_e32 v8, 7, v16
	v_mov_b32_e32 v31, v9
	v_lshrrev_b32_e32 v17, 3, v33
	s_mov_b32 s19, exec_lo
	s_delay_alu instid0(VALU_DEP_3)
	v_mov_b32_e32 v30, v8
	v_cmpx_gt_u32_e32 8, v33
; %bb.2015:                             ;   in Loop: Header=BB373_11 Depth=1
	v_clz_i32_u32_e32 v17, v8
	s_delay_alu instid0(VALU_DEP_1) | instskip(NEXT) | instid1(VALU_DEP_1)
	v_min_u32_e32 v17, 32, v17
	v_subrev_nc_u32_e32 v30, 28, v17
	v_sub_nc_u32_e32 v17, 29, v17
	s_delay_alu instid0(VALU_DEP_2) | instskip(NEXT) | instid1(VALU_DEP_1)
	v_lshlrev_b64 v[30:31], v30, v[8:9]
	v_and_b32_e32 v30, 7, v30
; %bb.2016:                             ;   in Loop: Header=BB373_11 Depth=1
	s_or_b32 exec_lo, exec_lo, s19
	v_lshlrev_b32_e32 v8, 8, v16
	v_lshl_add_u32 v16, v17, 10, 0x2000
	s_delay_alu instid0(VALU_DEP_1) | instskip(NEXT) | instid1(VALU_DEP_1)
	v_and_or_b32 v8, 0x8000, v8, v16
	v_lshl_or_b32 v8, v30, 7, v8
	s_delay_alu instid0(VALU_DEP_1)
	v_cvt_f32_f16_e32 v35, v8
.LBB373_2017:                           ;   in Loop: Header=BB373_11 Depth=1
	s_or_b32 exec_lo, exec_lo, s18
.LBB373_2018:                           ;   in Loop: Header=BB373_11 Depth=1
	s_delay_alu instid0(SALU_CYCLE_1)
	s_or_b32 exec_lo, exec_lo, s17
.LBB373_2019:                           ;   in Loop: Header=BB373_11 Depth=1
	s_delay_alu instid0(SALU_CYCLE_1)
	s_or_b32 exec_lo, exec_lo, s15
	v_dual_mov_b32 v16, 0 :: v_dual_mov_b32 v17, 0
	s_mov_b32 s15, exec_lo
	v_cmpx_lt_u32_e32 0xffffff, v28
	s_cbranch_execz .LBB373_2027
; %bb.2020:                             ;   in Loop: Header=BB373_11 Depth=1
	v_lshrrev_b32_e32 v33, 24, v28
	v_bfrev_b32_e32 v17, 1
	s_mov_b32 s17, exec_lo
	s_delay_alu instid0(VALU_DEP_2)
	v_cmpx_ne_u32_e32 0x80, v33
	s_cbranch_execz .LBB373_2026
; %bb.2021:                             ;   in Loop: Header=BB373_11 Depth=1
	v_and_b32_e32 v83, 0x7f, v33
	v_mov_b32_e32 v17, 0x7fc02000
	s_mov_b32 s18, exec_lo
	s_delay_alu instid0(VALU_DEP_2)
	v_cmpx_ne_u32_e32 0x7f, v83
	s_cbranch_execz .LBB373_2025
; %bb.2022:                             ;   in Loop: Header=BB373_11 Depth=1
	v_and_b32_e32 v8, 7, v33
	v_mov_b32_e32 v31, v9
	v_lshrrev_b32_e32 v17, 3, v83
	s_mov_b32 s19, exec_lo
	s_delay_alu instid0(VALU_DEP_3)
	v_mov_b32_e32 v30, v8
	v_cmpx_gt_u32_e32 8, v83
; %bb.2023:                             ;   in Loop: Header=BB373_11 Depth=1
	v_clz_i32_u32_e32 v17, v8
	s_delay_alu instid0(VALU_DEP_1) | instskip(NEXT) | instid1(VALU_DEP_1)
	v_min_u32_e32 v17, 32, v17
	v_subrev_nc_u32_e32 v30, 28, v17
	v_sub_nc_u32_e32 v17, 29, v17
	s_delay_alu instid0(VALU_DEP_2) | instskip(NEXT) | instid1(VALU_DEP_1)
	v_lshlrev_b64 v[30:31], v30, v[8:9]
	v_and_b32_e32 v30, 7, v30
; %bb.2024:                             ;   in Loop: Header=BB373_11 Depth=1
	s_or_b32 exec_lo, exec_lo, s19
	v_lshlrev_b32_e32 v8, 8, v33
	v_lshl_add_u32 v17, v17, 10, 0x2000
	s_delay_alu instid0(VALU_DEP_1) | instskip(NEXT) | instid1(VALU_DEP_1)
	v_and_or_b32 v8, 0x8000, v8, v17
	v_lshl_or_b32 v8, v30, 7, v8
	s_delay_alu instid0(VALU_DEP_1)
	v_cvt_f32_f16_e32 v17, v8
.LBB373_2025:                           ;   in Loop: Header=BB373_11 Depth=1
	s_or_b32 exec_lo, exec_lo, s18
.LBB373_2026:                           ;   in Loop: Header=BB373_11 Depth=1
	s_delay_alu instid0(SALU_CYCLE_1)
	s_or_b32 exec_lo, exec_lo, s17
.LBB373_2027:                           ;   in Loop: Header=BB373_11 Depth=1
	s_delay_alu instid0(SALU_CYCLE_1) | instskip(SKIP_3) | instid1(VALU_DEP_2)
	s_or_b32 exec_lo, exec_lo, s15
	v_and_b32_e32 v30, 0xff, v29
	v_mov_b32_e32 v8, v29
	s_mov_b32 s15, exec_lo
	v_cmpx_ne_u16_e32 0, v30
	s_cbranch_execz .LBB373_2035
; %bb.2028:                             ;   in Loop: Header=BB373_11 Depth=1
	v_bfrev_b32_e32 v16, 1
	s_mov_b32 s17, exec_lo
	v_cmpx_ne_u16_e32 0x80, v30
	s_cbranch_execz .LBB373_2034
; %bb.2029:                             ;   in Loop: Header=BB373_11 Depth=1
	v_and_b32_e32 v33, 0x7f, v29
	v_mov_b32_e32 v16, 0x7fc02000
	s_mov_b32 s18, exec_lo
	s_delay_alu instid0(VALU_DEP_2)
	v_cmpx_ne_u32_e32 0x7f, v33
	s_cbranch_execz .LBB373_2033
; %bb.2030:                             ;   in Loop: Header=BB373_11 Depth=1
	v_dual_mov_b32 v31, v9 :: v_dual_mov_b32 v30, v8
	v_lshrrev_b32_e32 v16, 3, v33
	s_mov_b32 s19, exec_lo
	v_cmpx_gt_u32_e32 8, v33
; %bb.2031:                             ;   in Loop: Header=BB373_11 Depth=1
	v_and_b32_e32 v16, 7, v29
	s_delay_alu instid0(VALU_DEP_1) | instskip(NEXT) | instid1(VALU_DEP_1)
	v_clz_i32_u32_e32 v16, v16
	v_min_u32_e32 v16, 32, v16
	s_delay_alu instid0(VALU_DEP_1) | instskip(SKIP_1) | instid1(VALU_DEP_2)
	v_subrev_nc_u32_e32 v30, 28, v16
	v_sub_nc_u32_e32 v16, 29, v16
	v_lshlrev_b64 v[30:31], v30, v[8:9]
; %bb.2032:                             ;   in Loop: Header=BB373_11 Depth=1
	s_or_b32 exec_lo, exec_lo, s19
	v_lshlrev_b32_e32 v31, 8, v29
	s_delay_alu instid0(VALU_DEP_3) | instskip(NEXT) | instid1(VALU_DEP_3)
	v_lshl_add_u32 v16, v16, 10, 0x2000
	v_lshlrev_b32_e32 v30, 7, v30
	s_delay_alu instid0(VALU_DEP_2) | instskip(NEXT) | instid1(VALU_DEP_1)
	v_and_or_b32 v16, 0x8000, v31, v16
	v_and_or_b32 v16, 0x380, v30, v16
	s_delay_alu instid0(VALU_DEP_1)
	v_cvt_f32_f16_e32 v16, v16
.LBB373_2033:                           ;   in Loop: Header=BB373_11 Depth=1
	s_or_b32 exec_lo, exec_lo, s18
.LBB373_2034:                           ;   in Loop: Header=BB373_11 Depth=1
	s_delay_alu instid0(SALU_CYCLE_1)
	s_or_b32 exec_lo, exec_lo, s17
.LBB373_2035:                           ;   in Loop: Header=BB373_11 Depth=1
	s_delay_alu instid0(SALU_CYCLE_1) | instskip(SKIP_3) | instid1(VALU_DEP_2)
	s_or_b32 exec_lo, exec_lo, s15
	v_lshrrev_b16 v8, 8, v8
	v_dual_mov_b32 v154, 0 :: v_dual_mov_b32 v173, 0
	s_mov_b32 s15, exec_lo
	v_cmpx_ne_u16_e32 0, v8
	s_cbranch_execz .LBB373_2043
; %bb.2036:                             ;   in Loop: Header=BB373_11 Depth=1
	v_bfrev_b32_e32 v173, 1
	s_mov_b32 s17, exec_lo
	v_cmpx_ne_u16_e32 0x80, v8
	s_cbranch_execz .LBB373_2042
; %bb.2037:                             ;   in Loop: Header=BB373_11 Depth=1
	v_and_b32_e32 v33, 0xffff, v8
	v_mov_b32_e32 v173, 0x7fc02000
	s_mov_b32 s18, exec_lo
	s_delay_alu instid0(VALU_DEP_2) | instskip(NEXT) | instid1(VALU_DEP_1)
	v_and_b32_e32 v83, 0x7f, v33
	v_cmpx_ne_u32_e32 0x7f, v83
	s_cbranch_execz .LBB373_2041
; %bb.2038:                             ;   in Loop: Header=BB373_11 Depth=1
	v_and_b32_e32 v8, 7, v33
	v_mov_b32_e32 v31, v9
	v_lshrrev_b32_e32 v31, 3, v83
	s_mov_b32 s19, exec_lo
	s_delay_alu instid0(VALU_DEP_3)
	v_mov_b32_e32 v30, v8
	v_cmpx_gt_u32_e32 8, v83
; %bb.2039:                             ;   in Loop: Header=BB373_11 Depth=1
	v_clz_i32_u32_e32 v30, v8
	s_delay_alu instid0(VALU_DEP_1) | instskip(NEXT) | instid1(VALU_DEP_1)
	v_min_u32_e32 v83, 32, v30
	v_subrev_nc_u32_e32 v30, 28, v83
	s_delay_alu instid0(VALU_DEP_1) | instskip(SKIP_1) | instid1(VALU_DEP_2)
	v_lshlrev_b64 v[30:31], v30, v[8:9]
	v_sub_nc_u32_e32 v31, 29, v83
	v_and_b32_e32 v30, 7, v30
; %bb.2040:                             ;   in Loop: Header=BB373_11 Depth=1
	s_or_b32 exec_lo, exec_lo, s19
	v_lshlrev_b32_e32 v8, 8, v33
	s_delay_alu instid0(VALU_DEP_3) | instskip(NEXT) | instid1(VALU_DEP_1)
	v_lshl_add_u32 v31, v31, 10, 0x2000
	v_and_or_b32 v8, 0x8000, v8, v31
	s_delay_alu instid0(VALU_DEP_1) | instskip(NEXT) | instid1(VALU_DEP_1)
	v_lshl_or_b32 v8, v30, 7, v8
	v_cvt_f32_f16_e64 v173, v8
.LBB373_2041:                           ;   in Loop: Header=BB373_11 Depth=1
	s_or_b32 exec_lo, exec_lo, s18
.LBB373_2042:                           ;   in Loop: Header=BB373_11 Depth=1
	s_delay_alu instid0(SALU_CYCLE_1)
	s_or_b32 exec_lo, exec_lo, s17
.LBB373_2043:                           ;   in Loop: Header=BB373_11 Depth=1
	s_delay_alu instid0(SALU_CYCLE_1) | instskip(SKIP_2) | instid1(VALU_DEP_1)
	s_or_b32 exec_lo, exec_lo, s15
	v_lshrrev_b32_e32 v33, 16, v29
	s_mov_b32 s15, exec_lo
	v_and_b32_e32 v8, 0xff, v33
	s_delay_alu instid0(VALU_DEP_1)
	v_cmpx_ne_u16_e32 0, v8
	s_cbranch_execz .LBB373_2051
; %bb.2044:                             ;   in Loop: Header=BB373_11 Depth=1
	v_bfrev_b32_e32 v154, 1
	s_mov_b32 s17, exec_lo
	v_cmpx_ne_u16_e32 0x80, v8
	s_cbranch_execz .LBB373_2050
; %bb.2045:                             ;   in Loop: Header=BB373_11 Depth=1
	v_bfe_u32 v83, v29, 16, 7
	v_mov_b32_e32 v154, 0x7fc02000
	s_mov_b32 s18, exec_lo
	s_delay_alu instid0(VALU_DEP_2)
	v_cmpx_ne_u32_e32 0x7f, v83
	s_cbranch_execz .LBB373_2049
; %bb.2046:                             ;   in Loop: Header=BB373_11 Depth=1
	v_and_b32_e32 v8, 7, v33
	v_mov_b32_e32 v31, v9
	v_lshrrev_b32_e32 v31, 3, v83
	s_mov_b32 s19, exec_lo
	s_delay_alu instid0(VALU_DEP_3)
	v_mov_b32_e32 v30, v8
	v_cmpx_gt_u32_e32 8, v83
; %bb.2047:                             ;   in Loop: Header=BB373_11 Depth=1
	v_clz_i32_u32_e32 v30, v8
	s_delay_alu instid0(VALU_DEP_1) | instskip(NEXT) | instid1(VALU_DEP_1)
	v_min_u32_e32 v83, 32, v30
	v_subrev_nc_u32_e32 v30, 28, v83
	s_delay_alu instid0(VALU_DEP_1) | instskip(SKIP_1) | instid1(VALU_DEP_2)
	v_lshlrev_b64 v[30:31], v30, v[8:9]
	v_sub_nc_u32_e32 v31, 29, v83
	v_and_b32_e32 v30, 7, v30
; %bb.2048:                             ;   in Loop: Header=BB373_11 Depth=1
	s_or_b32 exec_lo, exec_lo, s19
	v_lshlrev_b32_e32 v8, 8, v33
	s_delay_alu instid0(VALU_DEP_3) | instskip(NEXT) | instid1(VALU_DEP_1)
	v_lshl_add_u32 v31, v31, 10, 0x2000
	v_and_or_b32 v8, 0x8000, v8, v31
	s_delay_alu instid0(VALU_DEP_1) | instskip(NEXT) | instid1(VALU_DEP_1)
	v_lshl_or_b32 v8, v30, 7, v8
	v_cvt_f32_f16_e64 v154, v8
.LBB373_2049:                           ;   in Loop: Header=BB373_11 Depth=1
	s_or_b32 exec_lo, exec_lo, s18
.LBB373_2050:                           ;   in Loop: Header=BB373_11 Depth=1
	s_delay_alu instid0(SALU_CYCLE_1)
	s_or_b32 exec_lo, exec_lo, s17
.LBB373_2051:                           ;   in Loop: Header=BB373_11 Depth=1
	s_delay_alu instid0(SALU_CYCLE_1)
	s_or_b32 exec_lo, exec_lo, s15
	v_mov_b32_e32 v83, 0
	v_cmp_lt_u64_e64 s1, s[2:3], v[28:29]
	s_mov_b32 s15, exec_lo
	s_clause 0x2
	scratch_load_b32 v63, off, s32 offset:636
	scratch_load_b32 v175, off, s32 offset:632
	;; [unrolled: 1-line block ×3, first 2 shown]
	s_and_b32 s1, s15, s1
	s_delay_alu instid0(SALU_CYCLE_1)
	s_mov_b32 exec_lo, s1
	s_cbranch_execz .LBB373_10
; %bb.2052:                             ;   in Loop: Header=BB373_11 Depth=1
	v_lshrrev_b32_e32 v30, 24, v29
	v_bfrev_b32_e32 v83, 1
	s_mov_b32 s17, exec_lo
	s_delay_alu instid0(VALU_DEP_2)
	v_cmpx_ne_u32_e32 0x80, v30
	s_cbranch_execz .LBB373_9
; %bb.2053:                             ;   in Loop: Header=BB373_11 Depth=1
	v_and_b32_e32 v31, 0x7f, v30
	v_mov_b32_e32 v83, 0x7fc02000
	s_mov_b32 s18, exec_lo
	s_delay_alu instid0(VALU_DEP_2)
	v_cmpx_ne_u32_e32 0x7f, v31
	s_cbranch_execz .LBB373_8
; %bb.2054:                             ;   in Loop: Header=BB373_11 Depth=1
	v_and_b32_e32 v8, 7, v30
	v_mov_b32_e32 v29, v9
	v_lshrrev_b32_e32 v29, 3, v31
	s_mov_b32 s19, exec_lo
	s_delay_alu instid0(VALU_DEP_3)
	v_mov_b32_e32 v28, v8
	v_cmpx_gt_u32_e32 8, v31
	s_cbranch_execz .LBB373_7
; %bb.2055:                             ;   in Loop: Header=BB373_11 Depth=1
	v_clz_i32_u32_e32 v28, v8
	s_delay_alu instid0(VALU_DEP_1) | instskip(NEXT) | instid1(VALU_DEP_1)
	v_min_u32_e32 v31, 32, v28
	v_subrev_nc_u32_e32 v28, 28, v31
	s_delay_alu instid0(VALU_DEP_1) | instskip(SKIP_1) | instid1(VALU_DEP_2)
	v_lshlrev_b64 v[28:29], v28, v[8:9]
	v_sub_nc_u32_e32 v29, 29, v31
	v_and_b32_e32 v28, 7, v28
	s_branch .LBB373_7
.LBB373_2056:
	s_or_b32 exec_lo, exec_lo, s13
.LBB373_2057:
	s_delay_alu instid0(SALU_CYCLE_1) | instskip(SKIP_3) | instid1(VALU_DEP_2)
	s_or_b32 exec_lo, exec_lo, s9
	v_mbcnt_lo_u32_b32 v0, -1, 0
	s_lshr_b32 s9, s11, 16
	v_max_f32_e32 v4, v10, v10
	v_xor_b32_e32 v1, 16, v0
	v_xor_b32_e32 v3, 8, v0
	;; [unrolled: 1-line block ×3, first 2 shown]
	s_delay_alu instid0(VALU_DEP_3) | instskip(SKIP_1) | instid1(VALU_DEP_4)
	v_cmp_gt_i32_e32 vcc_lo, 32, v1
	v_cndmask_b32_e32 v1, v0, v1, vcc_lo
	v_cmp_gt_i32_e32 vcc_lo, 32, v3
	s_delay_alu instid0(VALU_DEP_2)
	v_dual_cndmask_b32 v3, v0, v3 :: v_dual_lshlrev_b32 v2, 2, v1
	v_cmp_gt_i32_e32 vcc_lo, 32, v5
	ds_bpermute_b32 v1, v2, v10
	v_lshlrev_b32_e32 v3, 2, v3
	v_cndmask_b32_e32 v5, v0, v5, vcc_lo
	s_waitcnt lgkmcnt(0)
	v_max_f32_e32 v1, v1, v1
	s_delay_alu instid0(VALU_DEP_1) | instskip(SKIP_3) | instid1(VALU_DEP_1)
	v_max_f32_e32 v1, v4, v1
	ds_bpermute_b32 v4, v3, v1
	s_waitcnt lgkmcnt(0)
	v_max_f32_e32 v6, v4, v4
	v_dual_max_f32 v1, v1, v6 :: v_dual_lshlrev_b32 v4, 2, v5
	v_xor_b32_e32 v6, 2, v0
	ds_bpermute_b32 v5, v4, v1
	v_cmp_gt_i32_e32 vcc_lo, 32, v6
	v_cndmask_b32_e32 v6, v0, v6, vcc_lo
	s_delay_alu instid0(VALU_DEP_1) | instskip(SKIP_1) | instid1(VALU_DEP_1)
	v_lshlrev_b32_e32 v19, 2, v6
	v_xor_b32_e32 v6, 1, v0
	v_cmp_gt_i32_e32 vcc_lo, 32, v6
	s_waitcnt lgkmcnt(0)
	v_dual_max_f32 v5, v5, v5 :: v_dual_cndmask_b32 v6, v0, v6
	s_delay_alu instid0(VALU_DEP_1) | instskip(SKIP_3) | instid1(VALU_DEP_1)
	v_dual_max_f32 v1, v1, v5 :: v_dual_lshlrev_b32 v18, 2, v6
	ds_bpermute_b32 v5, v19, v1
	s_waitcnt lgkmcnt(0)
	v_max_f32_e32 v5, v5, v5
	v_max_f32_e32 v0, v1, v5
	scratch_load_b32 v5, off, s32 offset:1040 ; 4-byte Folded Reload
	ds_bpermute_b32 v1, v18, v0
	s_waitcnt vmcnt(0)
	v_cmp_eq_u32_e32 vcc_lo, 0, v5
	scratch_load_b32 v5, off, s32 offset:1044 ; 4-byte Folded Reload
	s_waitcnt vmcnt(0)
	v_lshlrev_b32_e32 v5, 2, v5
	s_and_saveexec_b32 s1, vcc_lo
	s_cbranch_execz .LBB373_2059
; %bb.2058:
	s_waitcnt lgkmcnt(0)
	v_dual_max_f32 v1, v1, v1 :: v_dual_max_f32 v0, v0, v0
	s_delay_alu instid0(VALU_DEP_1)
	v_max_f32_e32 v0, v0, v1
	ds_store_b32 v5, v0 offset:512
.LBB373_2059:
	s_or_b32 exec_lo, exec_lo, s1
	scratch_load_b32 v0, off, s32 offset:1040 ; 4-byte Folded Reload
	s_waitcnt vmcnt(0) lgkmcnt(0)
	s_waitcnt_vscnt null, 0x0
	s_barrier
	buffer_gl0_inv
	v_cmp_gt_u32_e64 s1, 4, v0
	v_mov_b32_e32 v0, 0xff7fffff
	s_delay_alu instid0(VALU_DEP_2)
	s_and_saveexec_b32 s2, s1
	s_cbranch_execz .LBB373_2061
; %bb.2060:
	scratch_load_b32 v0, off, s32 offset:1072 ; 4-byte Folded Reload
	s_waitcnt vmcnt(0)
	ds_load_b32 v0, v0 offset:512
.LBB373_2061:
	s_or_b32 exec_lo, exec_lo, s2
	s_waitcnt lgkmcnt(0)
	ds_bpermute_b32 v1, v19, v0
	v_max_f32_e32 v0, v0, v0
	v_subrev_nc_u32_e32 v7, s8, v95
	s_waitcnt lgkmcnt(0)
	v_dual_mov_b32 v6, 0 :: v_dual_max_f32 v1, v1, v1
	s_delay_alu instid0(VALU_DEP_1) | instskip(SKIP_3) | instid1(VALU_DEP_1)
	v_max_f32_e32 v0, v0, v1
	ds_bpermute_b32 v1, v18, v0
	s_waitcnt lgkmcnt(0)
	v_max_f32_e32 v1, v1, v1
	v_max_f32_e32 v0, v0, v1
	v_lshl_add_u32 v1, v7, 5, s5
	scratch_load_b32 v7, off, s32 offset:1036 ; 4-byte Folded Reload
	ds_bpermute_b32 v0, v6, v0
	v_min_i32_e32 v1, v1, v157
	s_delay_alu instid0(VALU_DEP_1) | instskip(SKIP_1) | instid1(VALU_DEP_1)
	v_subrev_nc_u32_e32 v1, s5, v1
	s_waitcnt vmcnt(0)
	v_cmp_lt_i32_e64 s2, v7, v1
	s_delay_alu instid0(VALU_DEP_1)
	s_and_saveexec_b32 s8, s2
	s_cbranch_execz .LBB373_2065
; %bb.2062:
	scratch_load_b32 v8, off, s32 offset:1036 ; 4-byte Folded Reload
	s_getpc_b64 s[18:19]
	s_add_u32 s18, s18, llvm.amdgcn.dynlds.offset.table@rel32@lo+4
	s_addc_u32 s19, s19, llvm.amdgcn.dynlds.offset.table@rel32@hi+12
	s_ashr_i32 s17, s16, 31
	v_mov_b32_e32 v6, 0
	s_lshl_b64 s[22:23], s[16:17], 2
	s_mov_b32 s11, 0
	s_add_u32 s18, s22, s18
	s_addc_u32 s19, s23, s19
	s_load_b32 s3, s[18:19], 0x0
	s_waitcnt vmcnt(0) lgkmcnt(0)
	v_lshl_add_u32 v7, v8, 2, s3
	.p2align	6
.LBB373_2063:                           ; =>This Inner Loop Header: Depth=1
	ds_load_b32 v9, v7
	v_add_nc_u32_e32 v8, 0x80, v8
	s_delay_alu instid0(VALU_DEP_1) | instskip(NEXT) | instid1(VALU_DEP_1)
	v_cmp_ge_i32_e64 s3, v8, v1
	s_or_b32 s11, s3, s11
	s_waitcnt lgkmcnt(0)
	v_sub_f32_e32 v9, v9, v0
	s_delay_alu instid0(VALU_DEP_1) | instskip(NEXT) | instid1(VALU_DEP_1)
	v_mul_f32_e32 v9, 0x3fb8aa3b, v9
	v_exp_f32_e32 v9, v9
	ds_store_b32 v7, v9
	v_dual_add_f32 v6, v6, v9 :: v_dual_add_nc_u32 v7, 0x200, v7
	s_and_not1_b32 exec_lo, exec_lo, s11
	s_cbranch_execnz .LBB373_2063
; %bb.2064:
	s_or_b32 exec_lo, exec_lo, s11
.LBB373_2065:
	s_delay_alu instid0(SALU_CYCLE_1)
	s_or_b32 exec_lo, exec_lo, s8
	ds_bpermute_b32 v2, v2, v6
	s_waitcnt lgkmcnt(0)
	v_add_f32_e32 v2, v6, v2
	ds_bpermute_b32 v3, v3, v2
	s_waitcnt lgkmcnt(0)
	v_add_f32_e32 v2, v2, v3
	;; [unrolled: 3-line block ×5, first 2 shown]
	s_and_saveexec_b32 s3, vcc_lo
	s_cbranch_execz .LBB373_2067
; %bb.2066:
	ds_store_b32 v5, v2 offset:528
.LBB373_2067:
	s_or_b32 exec_lo, exec_lo, s3
	s_waitcnt lgkmcnt(0)
	s_barrier
	buffer_gl0_inv
	s_and_saveexec_b32 s3, s1
	s_cbranch_execz .LBB373_2069
; %bb.2068:
	scratch_load_b32 v2, off, s32 offset:1072 ; 4-byte Folded Reload
	s_waitcnt vmcnt(0)
	ds_load_b32 v2, v2 offset:528
.LBB373_2069:
	s_or_b32 exec_lo, exec_lo, s3
	s_waitcnt lgkmcnt(0)
	ds_bpermute_b32 v3, v19, v2
	s_waitcnt lgkmcnt(0)
	v_add_f32_e32 v2, v2, v3
	ds_bpermute_b32 v3, v18, v2
	s_waitcnt lgkmcnt(0)
	v_dual_add_f32 v2, v2, v3 :: v_dual_mov_b32 v3, 0
	ds_bpermute_b32 v2, v3, v2
	s_and_saveexec_b32 s1, s2
	s_cbranch_execz .LBB373_2072
; %bb.2070:
	s_waitcnt lgkmcnt(0)
	v_add_f32_e32 v4, 0x358637bd, v2
	s_getpc_b64 s[2:3]
	s_add_u32 s2, s2, llvm.amdgcn.dynlds.offset.table@rel32@lo+4
	s_addc_u32 s3, s3, llvm.amdgcn.dynlds.offset.table@rel32@hi+12
	s_ashr_i32 s17, s16, 31
	s_delay_alu instid0(SALU_CYCLE_1) | instskip(SKIP_4) | instid1(VALU_DEP_1)
	s_lshl_b64 s[18:19], s[16:17], 2
	v_div_scale_f32 v3, null, v4, v4, 1.0
	s_add_u32 s2, s18, s2
	s_addc_u32 s3, s19, s3
	s_load_b32 s2, s[2:3], 0x0
	v_rcp_f32_e32 v5, v3
	s_waitcnt_depctr 0xfff
	v_fma_f32 v6, -v3, v5, 1.0
	s_delay_alu instid0(VALU_DEP_1) | instskip(SKIP_1) | instid1(VALU_DEP_1)
	v_fmac_f32_e32 v5, v6, v5
	v_div_scale_f32 v7, vcc_lo, 1.0, v4, 1.0
	v_mul_f32_e32 v6, v7, v5
	s_delay_alu instid0(VALU_DEP_1) | instskip(NEXT) | instid1(VALU_DEP_1)
	v_fma_f32 v8, -v3, v6, v7
	v_fmac_f32_e32 v6, v8, v5
	s_delay_alu instid0(VALU_DEP_1) | instskip(NEXT) | instid1(VALU_DEP_1)
	v_fma_f32 v3, -v3, v6, v7
	v_div_fmas_f32 v5, v3, v5, v6
	scratch_load_b32 v6, off, s32 offset:1036 ; 4-byte Folded Reload
	v_div_fixup_f32 v4, v5, v4, 1.0
	s_waitcnt vmcnt(0) lgkmcnt(0)
	v_lshl_add_u32 v3, v6, 2, s2
	v_mov_b32_e32 v5, v6
	s_mov_b32 s2, 0
.LBB373_2071:                           ; =>This Inner Loop Header: Depth=1
	ds_load_b32 v6, v3
	s_waitcnt lgkmcnt(0)
	v_dual_mul_f32 v6, v4, v6 :: v_dual_add_nc_u32 v5, 0x80, v5
	s_delay_alu instid0(VALU_DEP_1) | instskip(SKIP_3) | instid1(SALU_CYCLE_1)
	v_cmp_ge_i32_e32 vcc_lo, v5, v1
	ds_store_b32 v3, v6
	v_add_nc_u32_e32 v3, 0x200, v3
	s_or_b32 s2, vcc_lo, s2
	s_and_not1_b32 exec_lo, exec_lo, s2
	s_cbranch_execnz .LBB373_2071
.LBB373_2072:
	s_or_b32 exec_lo, exec_lo, s1
	s_waitcnt lgkmcnt(0)
	scratch_load_b32 v1, off, s32 offset:1036 ; 4-byte Folded Reload
	v_cmp_ne_u16_e64 s1, s9, 0
	s_waitcnt vmcnt(0)
	s_barrier
	buffer_gl0_inv
	s_cmp_lg_u32 s1, 0
	s_addc_u32 s9, s7, 0
	s_delay_alu instid0(SALU_CYCLE_1) | instskip(NEXT) | instid1(SALU_CYCLE_1)
	s_mul_i32 s1, s9, s4
	s_mul_i32 s18, s1, s6
	v_cmp_eq_u32_e32 vcc_lo, 0, v1
	s_mov_b32 s1, exec_lo
	scratch_load_b32 v1, off, s32 offset:1076 ; 4-byte Folded Reload
	s_and_b32 s2, s1, vcc_lo
	s_delay_alu instid0(SALU_CYCLE_1)
	s_mov_b32 exec_lo, s2
	s_cbranch_execz .LBB373_2074
; %bb.2073:
	scratch_load_b32 v3, off, s32 offset:1108 ; 4-byte Folded Reload
	s_mul_i32 s2, s9, s12
	s_ashr_i32 s15, s14, 31
	s_ashr_i32 s3, s2, 31
	;; [unrolled: 1-line block ×3, first 2 shown]
	s_lshl_b64 s[2:3], s[2:3], 2
	s_lshl_b64 s[6:7], s[14:15], 2
	;; [unrolled: 1-line block ×3, first 2 shown]
	s_add_u32 s2, s6, s2
	s_addc_u32 s3, s7, s3
	s_add_u32 s2, s2, s12
	s_addc_u32 s3, s3, s13
	s_waitcnt vmcnt(0)
	v_add_co_u32 v3, vcc_lo, s2, v3
	v_add_co_ci_u32_e32 v4, vcc_lo, s3, v1, vcc_lo
	scratch_load_b32 v1, off, s32 offset:1104 ; 4-byte Folded Reload
	s_waitcnt vmcnt(0)
	v_add_co_u32 v5, vcc_lo, s2, v1
	scratch_load_b32 v1, off, s32 offset:1100 ; 4-byte Folded Reload
	s_waitcnt vmcnt(0)
	v_add_co_ci_u32_e32 v6, vcc_lo, s3, v1, vcc_lo
	flat_store_b32 v[3:4], v0
	flat_store_b32 v[5:6], v2
.LBB373_2074:
	s_or_b32 exec_lo, exec_lo, s1
                                        ; implicit-def: $sgpr1
	s_and_saveexec_b32 s2, s0
	s_delay_alu instid0(SALU_CYCLE_1)
	s_xor_b32 s0, exec_lo, s2
	s_cbranch_execz .LBB373_2076
; %bb.2075:
                                        ; implicit-def: $vgpr0
                                        ; kill: killed $vgpr0
	s_ashr_i32 s17, s16, 31
                                        ; implicit-def: $vgpr0
	s_waitcnt vmcnt(0)
	scratch_store_b64 off, v[0:1], s32 offset:320 ; 8-byte Folded Spill
                                        ; implicit-def: $vgpr0
                                        ; kill: killed $vgpr0
	s_mov_b32 s1, 0
                                        ; implicit-def: $vgpr0
                                        ; kill: killed $vgpr0
                                        ; implicit-def: $vgpr157
                                        ; implicit-def: $vgpr95
                                        ; implicit-def: $vgpr121_vgpr122
                                        ; implicit-def: $vgpr0
                                        ; kill: killed $vgpr0
                                        ; implicit-def: $vgpr0
                                        ; kill: killed $vgpr0
	;; [unrolled: 2-line block ×5, first 2 shown]
                                        ; implicit-def: $vgpr0_vgpr1
                                        ; kill: killed $vgpr0_vgpr1
                                        ; implicit-def: $vgpr0
                                        ; kill: killed $vgpr0
.LBB373_2076:
	s_or_saveexec_b32 s11, s0
	s_waitcnt vmcnt(0)
	v_dual_mov_b32 v0, s16 :: v_dual_mov_b32 v85, s1
	v_dual_mov_b32 v84, s1 :: v_dual_mov_b32 v1, s17
	;; [unrolled: 1-line block ×17, first 2 shown]
	s_xor_b32 exec_lo, exec_lo, s11
	s_cbranch_execz .LBB373_4128
; %bb.2077:
	s_getpc_b64 s[0:1]
	s_add_u32 s0, s0, llvm.amdgcn.dynlds.offset.table@rel32@lo+4
	s_addc_u32 s1, s1, llvm.amdgcn.dynlds.offset.table@rel32@hi+12
	s_ashr_i32 s17, s16, 31
	scratch_load_b32 v4, off, s32 offset:1036 ; 4-byte Folded Reload
	s_lshl_b64 s[2:3], s[16:17], 2
	v_dual_mov_b32 v28, 0 :: v_dual_mov_b32 v31, 0
	s_add_u32 s0, s2, s0
	s_addc_u32 s1, s3, s1
	v_dual_mov_b32 v30, 0 :: v_dual_mov_b32 v33, 0
	s_load_b32 s0, s[0:1], 0x0
	s_clause 0x1
	scratch_load_b32 v0, off, s32 offset:1068
	scratch_load_b32 v1, off, s32 offset:1092
	v_dual_mov_b32 v32, 0 :: v_dual_mov_b32 v49, 0
	v_dual_mov_b32 v50, 0 :: v_dual_mov_b32 v51, 0
	;; [unrolled: 1-line block ×11, first 2 shown]
	v_mov_b32_e32 v84, 0
	s_mov_b32 s12, -1
	s_mov_b32 s13, 0xffffff
	s_mov_b32 s15, 0
	v_dual_mov_b32 v20, 0 :: v_dual_mov_b32 v29, 0
	v_dual_mov_b32 v48, v157 :: v_dual_mov_b32 v21, 0
	;; [unrolled: 1-line block ×3, first 2 shown]
	s_waitcnt vmcnt(2)
	v_lshlrev_b32_e32 v2, 3, v4
	v_and_b32_e32 v7, 3, v4
	s_delay_alu instid0(VALU_DEP_2) | instskip(SKIP_2) | instid1(VALU_DEP_4)
	v_and_b32_e32 v6, 24, v2
	v_and_b32_e32 v39, 0xf8, v2
	v_or_b32_e32 v118, 0x1f00, v2
	v_lshlrev_b32_e32 v2, 5, v7
	s_waitcnt vmcnt(0)
	v_add_co_u32 v0, vcc_lo, v0, v1
	s_clause 0x3
	scratch_load_b32 v1, off, s32 offset:1064
	scratch_load_b32 v3, off, s32 offset:1096
	scratch_load_b64 v[4:5], off, s32 offset:320
	scratch_load_b64 v[7:8], off, s32 offset:1084
	v_or_b32_e32 v87, 0x1000, v39
	v_or_b32_e32 v96, 0x1100, v39
	;; [unrolled: 1-line block ×15, first 2 shown]
	s_waitcnt vmcnt(2)
	v_add_co_ci_u32_e32 v1, vcc_lo, v1, v3, vcc_lo
	s_waitcnt vmcnt(1)
	v_lshlrev_b64 v[4:5], 2, v[4:5]
	scratch_load_b32 v3, off, s32 offset:1112 ; 4-byte Folded Reload
	s_waitcnt vmcnt(1)
	v_add_co_u32 v4, vcc_lo, v7, v4
	scratch_load_b32 v7, off, s32 offset:1044 ; 4-byte Folded Reload
	v_add_co_ci_u32_e32 v5, vcc_lo, v8, v5, vcc_lo
	s_waitcnt vmcnt(1)
	v_dual_mov_b32 v3, 0 :: v_dual_add_nc_u32 v38, -1, v3
	s_waitcnt vmcnt(0)
	v_lshl_or_b32 v2, v7, 7, v2
	scratch_load_b32 v7, off, s32 offset:1052 ; 4-byte Folded Reload
	s_waitcnt lgkmcnt(0)
	v_add_nc_u32_e32 v119, s0, v2
	s_waitcnt vmcnt(0)
	v_add_co_u32 v7, vcc_lo, v7, v4
	scratch_load_b32 v4, off, s32 offset:1048 ; 4-byte Folded Reload
	s_waitcnt vmcnt(0)
	v_add_co_ci_u32_e32 v8, vcc_lo, v4, v5, vcc_lo
	scratch_load_b32 v4, off, s32 offset:1080 ; 4-byte Folded Reload
	s_waitcnt vmcnt(0)
	v_add3_u32 v17, s5, v4, v6
	s_branch .LBB373_2082
.LBB373_2078:                           ;   in Loop: Header=BB373_2082 Depth=1
	s_or_b32 exec_lo, exec_lo, s23
	v_lshlrev_b32_e32 v2, 8, v11
	v_lshl_add_u32 v10, v12, 10, 0x2000
	s_delay_alu instid0(VALU_DEP_1) | instskip(NEXT) | instid1(VALU_DEP_1)
	v_and_or_b32 v2, 0x8000, v2, v10
	v_lshl_or_b32 v2, v9, 7, v2
	s_delay_alu instid0(VALU_DEP_1)
	v_cvt_f32_f16_e32 v2, v2
.LBB373_2079:                           ;   in Loop: Header=BB373_2082 Depth=1
	s_or_b32 exec_lo, exec_lo, s22
.LBB373_2080:                           ;   in Loop: Header=BB373_2082 Depth=1
	s_delay_alu instid0(SALU_CYCLE_1)
	s_or_b32 exec_lo, exec_lo, s21
.LBB373_2081:                           ;   in Loop: Header=BB373_2082 Depth=1
	s_delay_alu instid0(SALU_CYCLE_1) | instskip(SKIP_4) | instid1(VALU_DEP_3)
	s_or_b32 exec_lo, exec_lo, s19
	v_dual_add_f32 v9, v77, v78 :: v_dual_add_f32 v10, v75, v76
	s_waitcnt vmcnt(0) lgkmcnt(0)
	v_fma_mixlo_f16 v2, v14, v2, 0
	v_add_f32_e32 v12, v57, v58
	v_dual_add_f32 v6, v6, v46 :: v_dual_add_f32 v21, v21, v9
	v_dual_add_f32 v24, v24, v10 :: v_dual_add_f32 v9, v63, v72
	v_add_f32_e32 v10, v61, v62
	v_add_f32_e32 v11, v73, v74
	v_dual_add_f32 v31, v31, v12 :: v_dual_add_f32 v4, v4, v5
	s_delay_alu instid0(VALU_DEP_4) | instskip(SKIP_1) | instid1(VALU_DEP_4)
	v_add_f32_e32 v28, v28, v9
	v_add_f32_e32 v9, v22, v37
	;; [unrolled: 1-line block ×5, first 2 shown]
	v_dual_add_f32 v33, v33, v6 :: v_dual_add_f32 v52, v52, v4
	v_add_f32_e32 v4, v44, v45
	s_delay_alu instid0(VALU_DEP_4) | instskip(NEXT) | instid1(VALU_DEP_4)
	v_dual_add_f32 v30, v30, v11 :: v_dual_add_f32 v29, v29, v10
	v_add_f32_e32 v32, v32, v167
	v_add_f32_e32 v10, v23, v34
	;; [unrolled: 1-line block ×3, first 2 shown]
	v_dual_add_f32 v5, v42, v43 :: v_dual_add_f32 v6, v40, v41
	s_delay_alu instid0(VALU_DEP_3) | instskip(SKIP_1) | instid1(VALU_DEP_4)
	v_dual_add_f32 v49, v49, v9 :: v_dual_add_f32 v50, v50, v10
	v_add_f32_e32 v10, v182, v183
	v_add_f32_e32 v51, v51, v11
	s_delay_alu instid0(VALU_DEP_4) | instskip(SKIP_2) | instid1(VALU_DEP_3)
	v_dual_add_f32 v9, v15, v16 :: v_dual_add_f32 v54, v54, v5
	v_add_f32_e32 v53, v53, v4
	v_dual_add_f32 v55, v55, v6 :: v_dual_add_f32 v4, v180, v181
	v_dual_add_f32 v5, v178, v179 :: v_dual_add_f32 v64, v64, v9
	v_dual_add_f32 v65, v65, v10 :: v_dual_add_f32 v6, v166, v177
	v_dual_add_f32 v9, v26, v27 :: v_dual_add_f32 v10, v164, v165
	s_delay_alu instid0(VALU_DEP_3) | instskip(SKIP_1) | instid1(VALU_DEP_3)
	v_dual_add_f32 v66, v66, v4 :: v_dual_add_f32 v67, v67, v5
	v_dual_add_f32 v4, v162, v163 :: v_dual_add_f32 v5, v160, v161
	;; [unrolled: 1-line block ×3, first 2 shown]
	s_delay_alu instid0(VALU_DEP_4) | instskip(SKIP_4) | instid1(VALU_DEP_4)
	v_add_f32_e32 v70, v70, v10
	v_dual_add_f32 v6, v150, v151 :: v_dual_add_f32 v9, v148, v149
	v_fma_mixlo_f16 v10, v14, v90, 0
	v_dual_add_f32 v71, v71, v4 :: v_dual_add_f32 v80, v80, v5
	v_fma_mixlo_f16 v5, v14, v88, 0
	;; [unrolled: 2-line block ×3, first 2 shown]
	v_fma_mixlo_f16 v9, v14, v13, 0
	v_lshlrev_b32_e32 v4, 16, v10
	v_fma_mixlo_f16 v11, v14, v92, 0
	v_fma_mixlo_f16 v12, v14, v89, 0
	v_and_b32_e32 v13, 0xffff, v5
	v_cndmask_b32_e64 v5, 0, v5, s2
	v_cndmask_b32_e64 v10, 0, v10, s4
	v_lshlrev_b32_e32 v15, 16, v6
	v_lshlrev_b32_e32 v22, 16, v11
	v_and_b32_e32 v23, 0xffff, v12
	v_fma_mixlo_f16 v14, v14, v91, 0
	v_cndmask_b32_e64 v6, 0, v6, s0
	v_cndmask_b32_e64 v12, 0, v12, s6
	;; [unrolled: 1-line block ×3, first 2 shown]
	v_perm_b32 v5, v10, v5, 0x5040100
	v_add_f32_e32 v10, v146, v147
	v_and_b32_e32 v16, 0xffff, v9
	v_cndmask_b32_e32 v9, 0, v9, vcc_lo
	v_or_b32_e32 v4, v4, v13
	v_add_co_u32 v7, s0, v7, 16
	v_add_f32_e32 v83, v83, v10
	v_or_b32_e32 v13, v15, v16
	v_or_b32_e32 v15, v22, v23
	v_lshlrev_b32_e32 v16, 16, v2
	v_and_b32_e32 v22, 0xffff, v14
	v_cndmask_b32_e64 v14, 0, v14, s3
	v_cndmask_b32_e64 v2, 0, v2, s5
	v_perm_b32 v6, v6, v9, 0x5040100
	v_perm_b32 v9, v11, v12, 0x5040100
	v_cndmask_b32_e64 v4, v4, v5, s1
	v_add_co_ci_u32_e64 v8, s0, 0, v8, s0
	v_perm_b32 v2, v2, v14, 0x5040100
	s_delay_alu instid0(VALU_DEP_4)
	v_cndmask_b32_e64 v5, v15, v9, s1
	v_add_f32_e32 v9, v132, v133
	v_or_b32_e32 v16, v16, v22
	v_cndmask_b32_e64 v6, v13, v6, s1
	;;#ASMSTART
	v_pk_mul_f16 v6, v130, v6;

	;;#ASMEND
	;;#ASMSTART
	v_pk_mul_f16 v4, v129, v4;

	;;#ASMEND
	;; [unrolled: 4-line block ×3, first 2 shown]
	v_cndmask_b32_e64 v2, v16, v2, s1
	;;#ASMSTART
	v_pk_mul_f16 v2, v131, v2;

	;;#ASMEND
	;;#ASMSTART
	v_pk_add_f16 v4, v6, v4;

	;;#ASMEND
	;;#ASMSTART
	v_pk_add_f16 v4, v4, v5;
	;; [unrolled: 4-line block ×3, first 2 shown]

	;;#ASMEND
	v_and_b32_e32 v4, 0xffff, v2
	v_lshrrev_b32_e32 v2, 16, v2
	;;#ASMSTART
	v_cvt_f32_f16 v4, v4;
	;;#ASMEND
	;;#ASMSTART
	v_cvt_f32_f16 v2, v2;
	;;#ASMEND
	scratch_load_b64 v[10:11], off, s32 offset:320 ; 8-byte Folded Reload
	v_add_f32_e32 v2, v4, v2
	v_dual_add_f32 v5, v144, v145 :: v_dual_add_f32 v6, v134, v135
	v_dual_add_f32 v84, v84, v9 :: v_dual_add_nc_u32 v119, 0x200, v119
	s_delay_alu instid0(VALU_DEP_2) | instskip(NEXT) | instid1(VALU_DEP_3)
	v_dual_add_f32 v20, v20, v2 :: v_dual_add_f32 v85, v85, v5
	v_dual_add_f32 v86, v86, v6 :: v_dual_add_nc_u32 v17, 0x80, v17
	s_waitcnt vmcnt(0)
	v_mov_b32_e32 v4, v10
	s_delay_alu instid0(VALU_DEP_1) | instskip(NEXT) | instid1(VALU_DEP_1)
	v_add_nc_u32_e32 v4, 4, v4
	v_cmp_ge_i32_e32 vcc_lo, v4, v95
	v_mov_b32_e32 v2, v4
	s_or_b32 s15, vcc_lo, s15
	scratch_store_b64 off, v[2:3], s32 offset:320 ; 8-byte Folded Spill
	s_and_not1_b32 exec_lo, exec_lo, s15
	s_cbranch_execz .LBB373_4127
.LBB373_2082:                           ; =>This Inner Loop Header: Depth=1
	flat_load_b32 v2, v[7:8]
	ds_load_2addr_b64 v[11:14], v119 offset1:1
	ds_load_2addr_b64 v[128:131], v119 offset0:2 offset1:3
	scratch_load_b32 v4, off, s32 offset:652 ; 4-byte Folded Reload
	s_mov_b32 s0, exec_lo
	s_waitcnt lgkmcnt(1)
	;;#ASMSTART
	v_cvt_f16_f32 v35, v11;

	;;#ASMEND
	;;#ASMSTART
	v_cvt_f16_f32 v23, v12;

	;;#ASMEND
	;; [unrolled: 4-line block ×4, first 2 shown]
	s_waitcnt lgkmcnt(0)
	;;#ASMSTART
	v_cvt_f16_f32 v128, v128;

	;;#ASMEND
	;;#ASMSTART
	v_cvt_f16_f32 v37, v129;

	;;#ASMEND
	;; [unrolled: 4-line block ×4, first 2 shown]
	v_mov_b32_e32 v131, 0
	s_waitcnt vmcnt(0)
	v_mad_i64_i32 v[9:10], null, v2, v4, v[0:1]
	s_delay_alu instid0(VALU_DEP_1) | instskip(NEXT) | instid1(VALU_DEP_2)
	v_add_co_u32 v11, vcc_lo, v9, v39
	v_add_co_ci_u32_e32 v12, vcc_lo, 0, v10, vcc_lo
	flat_load_b64 v[13:14], v[11:12]
	flat_load_b32 v22, v[121:122]
	s_waitcnt vmcnt(1) lgkmcnt(1)
	v_and_b32_e32 v2, 0xff, v13
	s_delay_alu instid0(VALU_DEP_1)
	v_cmpx_ne_u16_e32 0, v2
	s_cbranch_execz .LBB373_2090
; %bb.2083:                             ;   in Loop: Header=BB373_2082 Depth=1
	v_bfrev_b32_e32 v131, 1
	s_mov_b32 s1, exec_lo
	v_cmpx_ne_u16_e32 0x80, v2
	s_cbranch_execz .LBB373_2089
; %bb.2084:                             ;   in Loop: Header=BB373_2082 Depth=1
	v_and_b32_e32 v4, 0x7f, v13
	v_mov_b32_e32 v131, 0x7fc02000
	s_mov_b32 s2, exec_lo
	s_delay_alu instid0(VALU_DEP_2)
	v_cmpx_ne_u32_e32 0x7f, v4
	s_cbranch_execz .LBB373_2088
; %bb.2085:                             ;   in Loop: Header=BB373_2082 Depth=1
	v_lshrrev_b32_e32 v2, 3, v4
	v_dual_mov_b32 v16, v14 :: v_dual_mov_b32 v15, v13
	s_mov_b32 s3, exec_lo
	v_cmpx_gt_u32_e32 8, v4
; %bb.2086:                             ;   in Loop: Header=BB373_2082 Depth=1
	v_and_b32_e32 v2, 7, v13
	s_delay_alu instid0(VALU_DEP_1) | instskip(NEXT) | instid1(VALU_DEP_1)
	v_clz_i32_u32_e32 v2, v2
	v_min_u32_e32 v2, 32, v2
	s_delay_alu instid0(VALU_DEP_1) | instskip(SKIP_1) | instid1(VALU_DEP_2)
	v_subrev_nc_u32_e32 v4, 28, v2
	v_sub_nc_u32_e32 v2, 29, v2
	v_lshlrev_b64 v[15:16], v4, v[13:14]
; %bb.2087:                             ;   in Loop: Header=BB373_2082 Depth=1
	s_or_b32 exec_lo, exec_lo, s3
	v_lshlrev_b32_e32 v4, 8, v13
	s_delay_alu instid0(VALU_DEP_3) | instskip(NEXT) | instid1(VALU_DEP_3)
	v_lshl_add_u32 v2, v2, 10, 0x2000
	v_lshlrev_b32_e32 v15, 7, v15
	s_delay_alu instid0(VALU_DEP_2) | instskip(NEXT) | instid1(VALU_DEP_1)
	v_and_or_b32 v2, 0x8000, v4, v2
	v_and_or_b32 v2, 0x380, v15, v2
	s_delay_alu instid0(VALU_DEP_1)
	v_cvt_f32_f16_e64 v131, v2
.LBB373_2088:                           ;   in Loop: Header=BB373_2082 Depth=1
	s_or_b32 exec_lo, exec_lo, s2
.LBB373_2089:                           ;   in Loop: Header=BB373_2082 Depth=1
	s_delay_alu instid0(SALU_CYCLE_1)
	s_or_b32 exec_lo, exec_lo, s1
.LBB373_2090:                           ;   in Loop: Header=BB373_2082 Depth=1
	s_delay_alu instid0(SALU_CYCLE_1) | instskip(SKIP_3) | instid1(VALU_DEP_2)
	s_or_b32 exec_lo, exec_lo, s0
	v_lshrrev_b16 v2, 8, v13
	v_dual_mov_b32 v133, 0 :: v_dual_mov_b32 v132, 0
	s_mov_b32 s0, exec_lo
	v_cmpx_ne_u16_e32 0, v2
	s_cbranch_execz .LBB373_2098
; %bb.2091:                             ;   in Loop: Header=BB373_2082 Depth=1
	v_bfrev_b32_e32 v132, 1
	s_mov_b32 s1, exec_lo
	v_cmpx_ne_u16_e32 0x80, v2
	s_cbranch_execz .LBB373_2097
; %bb.2092:                             ;   in Loop: Header=BB373_2082 Depth=1
	v_and_b32_e32 v4, 0xffff, v2
	v_mov_b32_e32 v132, 0x7fc02000
	s_mov_b32 s2, exec_lo
	s_delay_alu instid0(VALU_DEP_2) | instskip(NEXT) | instid1(VALU_DEP_1)
	v_and_b32_e32 v15, 0x7f, v4
	v_cmpx_ne_u32_e32 0x7f, v15
	s_cbranch_execz .LBB373_2096
; %bb.2093:                             ;   in Loop: Header=BB373_2082 Depth=1
	v_and_b32_e32 v2, 7, v4
	v_lshrrev_b32_e32 v129, 3, v15
	v_cmp_gt_u32_e32 vcc_lo, 8, v15
	s_delay_alu instid0(VALU_DEP_3)
	v_dual_mov_b32 v16, v3 :: v_dual_mov_b32 v15, v2
	s_and_saveexec_b32 s3, vcc_lo
; %bb.2094:                             ;   in Loop: Header=BB373_2082 Depth=1
	v_clz_i32_u32_e32 v15, v2
	s_delay_alu instid0(VALU_DEP_1) | instskip(NEXT) | instid1(VALU_DEP_1)
	v_min_u32_e32 v26, 32, v15
	v_subrev_nc_u32_e32 v15, 28, v26
	v_sub_nc_u32_e32 v129, 29, v26
	s_delay_alu instid0(VALU_DEP_2) | instskip(NEXT) | instid1(VALU_DEP_1)
	v_lshlrev_b64 v[15:16], v15, v[2:3]
	v_and_b32_e32 v15, 7, v15
; %bb.2095:                             ;   in Loop: Header=BB373_2082 Depth=1
	s_or_b32 exec_lo, exec_lo, s3
	v_lshlrev_b32_e32 v2, 8, v4
	v_lshl_add_u32 v4, v129, 10, 0x2000
	s_delay_alu instid0(VALU_DEP_1) | instskip(NEXT) | instid1(VALU_DEP_1)
	v_and_or_b32 v2, 0x8000, v2, v4
	v_lshl_or_b32 v2, v15, 7, v2
	s_delay_alu instid0(VALU_DEP_1)
	v_cvt_f32_f16_e64 v132, v2
.LBB373_2096:                           ;   in Loop: Header=BB373_2082 Depth=1
	s_or_b32 exec_lo, exec_lo, s2
.LBB373_2097:                           ;   in Loop: Header=BB373_2082 Depth=1
	s_delay_alu instid0(SALU_CYCLE_1)
	s_or_b32 exec_lo, exec_lo, s1
.LBB373_2098:                           ;   in Loop: Header=BB373_2082 Depth=1
	s_delay_alu instid0(SALU_CYCLE_1) | instskip(SKIP_2) | instid1(VALU_DEP_1)
	s_or_b32 exec_lo, exec_lo, s0
	v_lshrrev_b32_e32 v4, 16, v13
	s_mov_b32 s0, exec_lo
	v_and_b32_e32 v2, 0xff, v4
	s_delay_alu instid0(VALU_DEP_1)
	v_cmpx_ne_u16_e32 0, v2
	s_cbranch_execz .LBB373_2106
; %bb.2099:                             ;   in Loop: Header=BB373_2082 Depth=1
	v_bfrev_b32_e32 v133, 1
	s_mov_b32 s1, exec_lo
	v_cmpx_ne_u16_e32 0x80, v2
	s_cbranch_execz .LBB373_2105
; %bb.2100:                             ;   in Loop: Header=BB373_2082 Depth=1
	v_bfe_u32 v15, v13, 16, 7
	v_mov_b32_e32 v133, 0x7fc02000
	s_mov_b32 s2, exec_lo
	s_delay_alu instid0(VALU_DEP_2)
	v_cmpx_ne_u32_e32 0x7f, v15
	s_cbranch_execz .LBB373_2104
; %bb.2101:                             ;   in Loop: Header=BB373_2082 Depth=1
	v_and_b32_e32 v2, 7, v4
	v_lshrrev_b32_e32 v129, 3, v15
	v_cmp_gt_u32_e32 vcc_lo, 8, v15
	s_delay_alu instid0(VALU_DEP_3)
	v_dual_mov_b32 v16, v3 :: v_dual_mov_b32 v15, v2
	s_and_saveexec_b32 s3, vcc_lo
; %bb.2102:                             ;   in Loop: Header=BB373_2082 Depth=1
	v_clz_i32_u32_e32 v15, v2
	s_delay_alu instid0(VALU_DEP_1) | instskip(NEXT) | instid1(VALU_DEP_1)
	v_min_u32_e32 v26, 32, v15
	v_subrev_nc_u32_e32 v15, 28, v26
	v_sub_nc_u32_e32 v129, 29, v26
	s_delay_alu instid0(VALU_DEP_2) | instskip(NEXT) | instid1(VALU_DEP_1)
	v_lshlrev_b64 v[15:16], v15, v[2:3]
	v_and_b32_e32 v15, 7, v15
; %bb.2103:                             ;   in Loop: Header=BB373_2082 Depth=1
	s_or_b32 exec_lo, exec_lo, s3
	v_lshlrev_b32_e32 v2, 8, v4
	v_lshl_add_u32 v4, v129, 10, 0x2000
	s_delay_alu instid0(VALU_DEP_1) | instskip(NEXT) | instid1(VALU_DEP_1)
	v_and_or_b32 v2, 0x8000, v2, v4
	v_lshl_or_b32 v2, v15, 7, v2
	s_delay_alu instid0(VALU_DEP_1)
	v_cvt_f32_f16_e64 v133, v2
.LBB373_2104:                           ;   in Loop: Header=BB373_2082 Depth=1
	s_or_b32 exec_lo, exec_lo, s2
.LBB373_2105:                           ;   in Loop: Header=BB373_2082 Depth=1
	s_delay_alu instid0(SALU_CYCLE_1)
	s_or_b32 exec_lo, exec_lo, s1
.LBB373_2106:                           ;   in Loop: Header=BB373_2082 Depth=1
	s_delay_alu instid0(SALU_CYCLE_1)
	s_or_b32 exec_lo, exec_lo, s0
	v_dual_mov_b32 v134, 0 :: v_dual_mov_b32 v135, 0
	s_mov_b32 s0, exec_lo
	v_cmpx_lt_u32_e32 0xffffff, v13
	s_cbranch_execz .LBB373_2114
; %bb.2107:                             ;   in Loop: Header=BB373_2082 Depth=1
	v_lshrrev_b32_e32 v4, 24, v13
	v_bfrev_b32_e32 v135, 1
	s_mov_b32 s1, exec_lo
	s_delay_alu instid0(VALU_DEP_2)
	v_cmpx_ne_u32_e32 0x80, v4
	s_cbranch_execz .LBB373_2113
; %bb.2108:                             ;   in Loop: Header=BB373_2082 Depth=1
	v_and_b32_e32 v15, 0x7f, v4
	v_mov_b32_e32 v135, 0x7fc02000
	s_mov_b32 s2, exec_lo
	s_delay_alu instid0(VALU_DEP_2)
	v_cmpx_ne_u32_e32 0x7f, v15
	s_cbranch_execz .LBB373_2112
; %bb.2109:                             ;   in Loop: Header=BB373_2082 Depth=1
	v_and_b32_e32 v2, 7, v4
	v_lshrrev_b32_e32 v129, 3, v15
	v_cmp_gt_u32_e32 vcc_lo, 8, v15
	s_delay_alu instid0(VALU_DEP_3)
	v_dual_mov_b32 v16, v3 :: v_dual_mov_b32 v15, v2
	s_and_saveexec_b32 s3, vcc_lo
; %bb.2110:                             ;   in Loop: Header=BB373_2082 Depth=1
	v_clz_i32_u32_e32 v15, v2
	s_delay_alu instid0(VALU_DEP_1) | instskip(NEXT) | instid1(VALU_DEP_1)
	v_min_u32_e32 v26, 32, v15
	v_subrev_nc_u32_e32 v15, 28, v26
	v_sub_nc_u32_e32 v129, 29, v26
	s_delay_alu instid0(VALU_DEP_2) | instskip(NEXT) | instid1(VALU_DEP_1)
	v_lshlrev_b64 v[15:16], v15, v[2:3]
	v_and_b32_e32 v15, 7, v15
; %bb.2111:                             ;   in Loop: Header=BB373_2082 Depth=1
	s_or_b32 exec_lo, exec_lo, s3
	v_lshlrev_b32_e32 v2, 8, v4
	v_lshl_add_u32 v4, v129, 10, 0x2000
	s_delay_alu instid0(VALU_DEP_1) | instskip(NEXT) | instid1(VALU_DEP_1)
	v_and_or_b32 v2, 0x8000, v2, v4
	v_lshl_or_b32 v2, v15, 7, v2
	s_delay_alu instid0(VALU_DEP_1)
	v_cvt_f32_f16_e64 v135, v2
.LBB373_2112:                           ;   in Loop: Header=BB373_2082 Depth=1
	s_or_b32 exec_lo, exec_lo, s2
.LBB373_2113:                           ;   in Loop: Header=BB373_2082 Depth=1
	s_delay_alu instid0(SALU_CYCLE_1)
	s_or_b32 exec_lo, exec_lo, s1
.LBB373_2114:                           ;   in Loop: Header=BB373_2082 Depth=1
	s_delay_alu instid0(SALU_CYCLE_1) | instskip(SKIP_3) | instid1(VALU_DEP_2)
	s_or_b32 exec_lo, exec_lo, s0
	v_and_b32_e32 v4, 0xff, v14
	v_mov_b32_e32 v2, v14
	s_mov_b32 s0, exec_lo
	v_cmpx_ne_u16_e32 0, v4
	s_cbranch_execz .LBB373_2122
; %bb.2115:                             ;   in Loop: Header=BB373_2082 Depth=1
	v_bfrev_b32_e32 v134, 1
	s_mov_b32 s1, exec_lo
	v_cmpx_ne_u16_e32 0x80, v4
	s_cbranch_execz .LBB373_2121
; %bb.2116:                             ;   in Loop: Header=BB373_2082 Depth=1
	v_and_b32_e32 v15, 0x7f, v14
	v_mov_b32_e32 v134, 0x7fc02000
	s_mov_b32 s2, exec_lo
	s_delay_alu instid0(VALU_DEP_2)
	v_cmpx_ne_u32_e32 0x7f, v15
	s_cbranch_execz .LBB373_2120
; %bb.2117:                             ;   in Loop: Header=BB373_2082 Depth=1
	v_lshrrev_b32_e32 v4, 3, v15
	v_cmp_gt_u32_e32 vcc_lo, 8, v15
	v_dual_mov_b32 v16, v3 :: v_dual_mov_b32 v15, v2
	s_and_saveexec_b32 s3, vcc_lo
; %bb.2118:                             ;   in Loop: Header=BB373_2082 Depth=1
	v_and_b32_e32 v4, 7, v14
	s_delay_alu instid0(VALU_DEP_1) | instskip(NEXT) | instid1(VALU_DEP_1)
	v_clz_i32_u32_e32 v4, v4
	v_min_u32_e32 v4, 32, v4
	s_delay_alu instid0(VALU_DEP_1) | instskip(SKIP_1) | instid1(VALU_DEP_2)
	v_subrev_nc_u32_e32 v15, 28, v4
	v_sub_nc_u32_e32 v4, 29, v4
	v_lshlrev_b64 v[15:16], v15, v[2:3]
; %bb.2119:                             ;   in Loop: Header=BB373_2082 Depth=1
	s_or_b32 exec_lo, exec_lo, s3
	v_lshlrev_b32_e32 v16, 8, v14
	s_delay_alu instid0(VALU_DEP_3) | instskip(NEXT) | instid1(VALU_DEP_3)
	v_lshl_add_u32 v4, v4, 10, 0x2000
	v_lshlrev_b32_e32 v15, 7, v15
	s_delay_alu instid0(VALU_DEP_2) | instskip(NEXT) | instid1(VALU_DEP_1)
	v_and_or_b32 v4, 0x8000, v16, v4
	v_and_or_b32 v4, 0x380, v15, v4
	s_delay_alu instid0(VALU_DEP_1)
	v_cvt_f32_f16_e64 v134, v4
.LBB373_2120:                           ;   in Loop: Header=BB373_2082 Depth=1
	s_or_b32 exec_lo, exec_lo, s2
.LBB373_2121:                           ;   in Loop: Header=BB373_2082 Depth=1
	s_delay_alu instid0(SALU_CYCLE_1)
	s_or_b32 exec_lo, exec_lo, s1
.LBB373_2122:                           ;   in Loop: Header=BB373_2082 Depth=1
	s_delay_alu instid0(SALU_CYCLE_1) | instskip(SKIP_3) | instid1(VALU_DEP_2)
	s_or_b32 exec_lo, exec_lo, s0
	v_lshrrev_b16 v2, 8, v2
	v_dual_mov_b32 v144, 0 :: v_dual_mov_b32 v145, 0
	s_mov_b32 s0, exec_lo
	v_cmpx_ne_u16_e32 0, v2
	s_cbranch_execz .LBB373_2130
; %bb.2123:                             ;   in Loop: Header=BB373_2082 Depth=1
	v_bfrev_b32_e32 v145, 1
	s_mov_b32 s1, exec_lo
	v_cmpx_ne_u16_e32 0x80, v2
	s_cbranch_execz .LBB373_2129
; %bb.2124:                             ;   in Loop: Header=BB373_2082 Depth=1
	v_and_b32_e32 v4, 0xffff, v2
	v_mov_b32_e32 v145, 0x7fc02000
	s_mov_b32 s2, exec_lo
	s_delay_alu instid0(VALU_DEP_2) | instskip(NEXT) | instid1(VALU_DEP_1)
	v_and_b32_e32 v15, 0x7f, v4
	v_cmpx_ne_u32_e32 0x7f, v15
	s_cbranch_execz .LBB373_2128
; %bb.2125:                             ;   in Loop: Header=BB373_2082 Depth=1
	v_and_b32_e32 v2, 7, v4
	v_lshrrev_b32_e32 v129, 3, v15
	v_cmp_gt_u32_e32 vcc_lo, 8, v15
	s_delay_alu instid0(VALU_DEP_3)
	v_dual_mov_b32 v16, v3 :: v_dual_mov_b32 v15, v2
	s_and_saveexec_b32 s3, vcc_lo
; %bb.2126:                             ;   in Loop: Header=BB373_2082 Depth=1
	v_clz_i32_u32_e32 v15, v2
	s_delay_alu instid0(VALU_DEP_1) | instskip(NEXT) | instid1(VALU_DEP_1)
	v_min_u32_e32 v26, 32, v15
	v_subrev_nc_u32_e32 v15, 28, v26
	v_sub_nc_u32_e32 v129, 29, v26
	s_delay_alu instid0(VALU_DEP_2) | instskip(NEXT) | instid1(VALU_DEP_1)
	v_lshlrev_b64 v[15:16], v15, v[2:3]
	v_and_b32_e32 v15, 7, v15
; %bb.2127:                             ;   in Loop: Header=BB373_2082 Depth=1
	s_or_b32 exec_lo, exec_lo, s3
	v_lshlrev_b32_e32 v2, 8, v4
	v_lshl_add_u32 v4, v129, 10, 0x2000
	s_delay_alu instid0(VALU_DEP_1) | instskip(NEXT) | instid1(VALU_DEP_1)
	v_and_or_b32 v2, 0x8000, v2, v4
	v_lshl_or_b32 v2, v15, 7, v2
	s_delay_alu instid0(VALU_DEP_1)
	v_cvt_f32_f16_e64 v145, v2
.LBB373_2128:                           ;   in Loop: Header=BB373_2082 Depth=1
	s_or_b32 exec_lo, exec_lo, s2
.LBB373_2129:                           ;   in Loop: Header=BB373_2082 Depth=1
	s_delay_alu instid0(SALU_CYCLE_1)
	s_or_b32 exec_lo, exec_lo, s1
.LBB373_2130:                           ;   in Loop: Header=BB373_2082 Depth=1
	s_delay_alu instid0(SALU_CYCLE_1) | instskip(SKIP_2) | instid1(VALU_DEP_1)
	s_or_b32 exec_lo, exec_lo, s0
	v_lshrrev_b32_e32 v4, 16, v14
	s_mov_b32 s0, exec_lo
	v_and_b32_e32 v2, 0xff, v4
	s_delay_alu instid0(VALU_DEP_1)
	v_cmpx_ne_u16_e32 0, v2
	s_cbranch_execz .LBB373_2138
; %bb.2131:                             ;   in Loop: Header=BB373_2082 Depth=1
	v_bfrev_b32_e32 v144, 1
	s_mov_b32 s1, exec_lo
	v_cmpx_ne_u16_e32 0x80, v2
	s_cbranch_execz .LBB373_2137
; %bb.2132:                             ;   in Loop: Header=BB373_2082 Depth=1
	v_bfe_u32 v15, v14, 16, 7
	v_mov_b32_e32 v144, 0x7fc02000
	s_mov_b32 s2, exec_lo
	s_delay_alu instid0(VALU_DEP_2)
	v_cmpx_ne_u32_e32 0x7f, v15
	s_cbranch_execz .LBB373_2136
; %bb.2133:                             ;   in Loop: Header=BB373_2082 Depth=1
	v_and_b32_e32 v2, 7, v4
	v_lshrrev_b32_e32 v129, 3, v15
	v_cmp_gt_u32_e32 vcc_lo, 8, v15
	s_delay_alu instid0(VALU_DEP_3)
	v_dual_mov_b32 v16, v3 :: v_dual_mov_b32 v15, v2
	s_and_saveexec_b32 s3, vcc_lo
; %bb.2134:                             ;   in Loop: Header=BB373_2082 Depth=1
	v_clz_i32_u32_e32 v15, v2
	s_delay_alu instid0(VALU_DEP_1) | instskip(NEXT) | instid1(VALU_DEP_1)
	v_min_u32_e32 v26, 32, v15
	v_subrev_nc_u32_e32 v15, 28, v26
	v_sub_nc_u32_e32 v129, 29, v26
	s_delay_alu instid0(VALU_DEP_2) | instskip(NEXT) | instid1(VALU_DEP_1)
	v_lshlrev_b64 v[15:16], v15, v[2:3]
	v_and_b32_e32 v15, 7, v15
; %bb.2135:                             ;   in Loop: Header=BB373_2082 Depth=1
	s_or_b32 exec_lo, exec_lo, s3
	v_lshlrev_b32_e32 v2, 8, v4
	v_lshl_add_u32 v4, v129, 10, 0x2000
	s_delay_alu instid0(VALU_DEP_1) | instskip(NEXT) | instid1(VALU_DEP_1)
	v_and_or_b32 v2, 0x8000, v2, v4
	v_lshl_or_b32 v2, v15, 7, v2
	s_delay_alu instid0(VALU_DEP_1)
	v_cvt_f32_f16_e64 v144, v2
.LBB373_2136:                           ;   in Loop: Header=BB373_2082 Depth=1
	s_or_b32 exec_lo, exec_lo, s2
.LBB373_2137:                           ;   in Loop: Header=BB373_2082 Depth=1
	s_delay_alu instid0(SALU_CYCLE_1)
	s_or_b32 exec_lo, exec_lo, s1
.LBB373_2138:                           ;   in Loop: Header=BB373_2082 Depth=1
	s_delay_alu instid0(SALU_CYCLE_1)
	s_or_b32 exec_lo, exec_lo, s0
	v_mov_b32_e32 v4, 0
	v_mov_b32_e32 v2, 0
	s_mov_b32 s0, exec_lo
	v_cmpx_lt_u64_e64 s[12:13], v[13:14]
	s_cbranch_execz .LBB373_2146
; %bb.2139:                             ;   in Loop: Header=BB373_2082 Depth=1
	v_lshrrev_b32_e32 v15, 24, v14
	v_bfrev_b32_e32 v2, 1
	s_mov_b32 s1, exec_lo
	s_delay_alu instid0(VALU_DEP_2)
	v_cmpx_ne_u32_e32 0x80, v15
	s_cbranch_execz .LBB373_2145
; %bb.2140:                             ;   in Loop: Header=BB373_2082 Depth=1
	v_and_b32_e32 v13, 0x7f, v15
	v_mov_b32_e32 v2, 0x7fc02000
	s_mov_b32 s2, exec_lo
	s_delay_alu instid0(VALU_DEP_2)
	v_cmpx_ne_u32_e32 0x7f, v13
	s_cbranch_execz .LBB373_2144
; %bb.2141:                             ;   in Loop: Header=BB373_2082 Depth=1
	v_and_b32_e32 v2, 7, v15
	v_lshrrev_b32_e32 v16, 3, v13
	v_cmp_gt_u32_e32 vcc_lo, 8, v13
	s_delay_alu instid0(VALU_DEP_3)
	v_dual_mov_b32 v14, v3 :: v_dual_mov_b32 v13, v2
	s_and_saveexec_b32 s3, vcc_lo
; %bb.2142:                             ;   in Loop: Header=BB373_2082 Depth=1
	v_clz_i32_u32_e32 v13, v2
	s_delay_alu instid0(VALU_DEP_1) | instskip(NEXT) | instid1(VALU_DEP_1)
	v_min_u32_e32 v16, 32, v13
	v_subrev_nc_u32_e32 v13, 28, v16
	v_sub_nc_u32_e32 v16, 29, v16
	s_delay_alu instid0(VALU_DEP_2) | instskip(NEXT) | instid1(VALU_DEP_1)
	v_lshlrev_b64 v[13:14], v13, v[2:3]
	v_and_b32_e32 v13, 7, v13
; %bb.2143:                             ;   in Loop: Header=BB373_2082 Depth=1
	s_or_b32 exec_lo, exec_lo, s3
	v_lshlrev_b32_e32 v2, 8, v15
	v_lshl_add_u32 v14, v16, 10, 0x2000
	s_delay_alu instid0(VALU_DEP_1) | instskip(NEXT) | instid1(VALU_DEP_1)
	v_and_or_b32 v2, 0x8000, v2, v14
	v_lshl_or_b32 v2, v13, 7, v2
	s_delay_alu instid0(VALU_DEP_1)
	v_cvt_f32_f16_e32 v2, v2
.LBB373_2144:                           ;   in Loop: Header=BB373_2082 Depth=1
	s_or_b32 exec_lo, exec_lo, s2
.LBB373_2145:                           ;   in Loop: Header=BB373_2082 Depth=1
	s_delay_alu instid0(SALU_CYCLE_1)
	s_or_b32 exec_lo, exec_lo, s1
.LBB373_2146:                           ;   in Loop: Header=BB373_2082 Depth=1
	s_delay_alu instid0(SALU_CYCLE_1)
	s_or_b32 exec_lo, exec_lo, s0
	v_and_b32_e32 v13, 0xffff, v35
	s_waitcnt vmcnt(0) lgkmcnt(0)
	v_fma_mixlo_f16 v131, v22, v131, 0
	v_cmp_lt_i32_e32 vcc_lo, v17, v157
	v_and_b32_e32 v14, 0xffff, v36
	v_and_b32_e32 v15, 0xffff, v128
	v_lshl_or_b32 v130, v23, 16, v13
	v_add_nc_u32_e32 v13, 1, v17
	v_fma_mixlo_f16 v23, v22, v135, 0
	v_and_b32_e32 v135, 0xffff, v131
	v_cndmask_b32_e32 v131, 0, v131, vcc_lo
	v_lshl_or_b32 v129, v34, 16, v14
	v_or_b32_e32 v14, 2, v17
	v_fma_mixlo_f16 v26, v22, v133, 0
	v_fma_mixlo_f16 v27, v22, v132, 0
	v_cmp_lt_i32_e64 s0, v13, v48
	v_lshl_or_b32 v128, v37, 16, v15
	v_cmp_lt_i32_e64 s2, v14, v157
	v_and_b32_e32 v37, 0xffff, v26
	v_lshlrev_b32_e32 v132, 16, v27
	v_cndmask_b32_e64 v13, 0, v27, s0
	v_or_b32_e32 v35, 6, v17
	v_cndmask_b32_e64 v14, 0, v26, s2
	scratch_load_b64 v[26:27], off, s32 offset:320 ; 8-byte Folded Reload
	v_or_b32_e32 v148, 7, v17
	v_or_b32_e32 v15, 3, v17
	;; [unrolled: 1-line block ×4, first 2 shown]
	v_fma_mixlo_f16 v133, v22, v145, 0
	v_fma_mixlo_f16 v134, v22, v134, 0
	;; [unrolled: 1-line block ×4, first 2 shown]
	v_cmp_lt_i32_e64 s3, v35, v157
	v_cmp_lt_i32_e64 s5, v148, v48
	;; [unrolled: 1-line block ×5, first 2 shown]
	v_lshlrev_b32_e32 v36, 16, v23
	v_lshlrev_b32_e32 v146, 16, v2
	v_and_b32_e32 v147, 0xffff, v22
	v_cndmask_b32_e64 v22, 0, v22, s3
	v_cndmask_b32_e64 v2, 0, v2, s5
	v_lshlrev_b32_e32 v144, 16, v133
	v_and_b32_e32 v145, 0xffff, v134
	v_cndmask_b32_e64 v15, 0, v23, s4
	v_cndmask_b32_e64 v16, 0, v134, s6
	;; [unrolled: 1-line block ×3, first 2 shown]
	v_or_b32_e32 v36, v36, v37
	v_or_b32_e32 v37, v132, v135
	;; [unrolled: 1-line block ×3, first 2 shown]
	v_perm_b32 v2, v2, v22, 0x5040100
	v_perm_b32 v13, v13, v131, 0x5040100
	v_and_b32_e32 v6, 0xffff, v6
	v_or_b32_e32 v132, v144, v145
	v_perm_b32 v14, v15, v14, 0x5040100
	v_perm_b32 v15, v23, v16, 0x5040100
	s_mov_b32 s19, exec_lo
	v_lshl_or_b32 v131, v5, 16, v6
	s_waitcnt vmcnt(0)
	v_cmp_eq_u32_e64 s1, v38, v26
	s_delay_alu instid0(VALU_DEP_1)
	v_cndmask_b32_e64 v2, v135, v2, s1
	v_cndmask_b32_e64 v13, v37, v13, s1
	;;#ASMSTART
	v_pk_mul_f16 v5, v130, v13;

	;;#ASMEND
	v_cndmask_b32_e64 v14, v36, v14, s1
	v_cndmask_b32_e64 v15, v132, v15, s1
	;;#ASMSTART
	v_pk_mul_f16 v6, v129, v14;

	;;#ASMEND
	;;#ASMSTART
	v_pk_mul_f16 v13, v128, v15;

	;;#ASMEND
	;; [unrolled: 4-line block ×3, first 2 shown]
	;;#ASMSTART
	v_pk_add_f16 v5, v5, v6;

	;;#ASMEND
	;;#ASMSTART
	v_pk_add_f16 v5, v5, v13;

	;;#ASMEND
	;; [unrolled: 4-line block ×3, first 2 shown]
	v_and_b32_e32 v5, 0xffff, v2
	v_lshrrev_b32_e32 v2, 16, v2
	;;#ASMSTART
	v_cvt_f32_f16 v132, v5;
	;;#ASMEND
	;;#ASMSTART
	v_cvt_f32_f16 v133, v2;
	;;#ASMEND
	flat_load_b64 v[13:14], v[11:12] offset:256
	flat_load_b32 v6, v[121:122]
	s_waitcnt vmcnt(1) lgkmcnt(1)
	v_and_b32_e32 v2, 0xff, v13
	s_delay_alu instid0(VALU_DEP_1)
	v_cmpx_ne_u16_e32 0, v2
	s_cbranch_execz .LBB373_2154
; %bb.2147:                             ;   in Loop: Header=BB373_2082 Depth=1
	v_bfrev_b32_e32 v4, 1
	s_mov_b32 s21, exec_lo
	v_cmpx_ne_u16_e32 0x80, v2
	s_cbranch_execz .LBB373_2153
; %bb.2148:                             ;   in Loop: Header=BB373_2082 Depth=1
	v_and_b32_e32 v5, 0x7f, v13
	v_mov_b32_e32 v4, 0x7fc02000
	s_mov_b32 s22, exec_lo
	s_delay_alu instid0(VALU_DEP_2)
	v_cmpx_ne_u32_e32 0x7f, v5
	s_cbranch_execz .LBB373_2152
; %bb.2149:                             ;   in Loop: Header=BB373_2082 Depth=1
	v_lshrrev_b32_e32 v2, 3, v5
	v_dual_mov_b32 v16, v14 :: v_dual_mov_b32 v15, v13
	s_mov_b32 s23, exec_lo
	v_cmpx_gt_u32_e32 8, v5
; %bb.2150:                             ;   in Loop: Header=BB373_2082 Depth=1
	v_and_b32_e32 v2, 7, v13
	s_delay_alu instid0(VALU_DEP_1) | instskip(NEXT) | instid1(VALU_DEP_1)
	v_clz_i32_u32_e32 v2, v2
	v_min_u32_e32 v2, 32, v2
	s_delay_alu instid0(VALU_DEP_1) | instskip(SKIP_1) | instid1(VALU_DEP_2)
	v_subrev_nc_u32_e32 v4, 28, v2
	v_sub_nc_u32_e32 v2, 29, v2
	v_lshlrev_b64 v[15:16], v4, v[13:14]
; %bb.2151:                             ;   in Loop: Header=BB373_2082 Depth=1
	s_or_b32 exec_lo, exec_lo, s23
	v_lshlrev_b32_e32 v4, 8, v13
	s_delay_alu instid0(VALU_DEP_3) | instskip(NEXT) | instid1(VALU_DEP_3)
	v_lshl_add_u32 v2, v2, 10, 0x2000
	v_lshlrev_b32_e32 v5, 7, v15
	s_delay_alu instid0(VALU_DEP_2) | instskip(NEXT) | instid1(VALU_DEP_1)
	v_and_or_b32 v2, 0x8000, v4, v2
	v_and_or_b32 v2, 0x380, v5, v2
	s_delay_alu instid0(VALU_DEP_1)
	v_cvt_f32_f16_e32 v4, v2
.LBB373_2152:                           ;   in Loop: Header=BB373_2082 Depth=1
	s_or_b32 exec_lo, exec_lo, s22
.LBB373_2153:                           ;   in Loop: Header=BB373_2082 Depth=1
	s_delay_alu instid0(SALU_CYCLE_1)
	s_or_b32 exec_lo, exec_lo, s21
.LBB373_2154:                           ;   in Loop: Header=BB373_2082 Depth=1
	s_delay_alu instid0(SALU_CYCLE_1) | instskip(SKIP_3) | instid1(VALU_DEP_2)
	s_or_b32 exec_lo, exec_lo, s19
	v_lshrrev_b16 v2, 8, v13
	v_dual_mov_b32 v23, 0 :: v_dual_mov_b32 v22, 0
	s_mov_b32 s19, exec_lo
	v_cmpx_ne_u16_e32 0, v2
	s_cbranch_execz .LBB373_2162
; %bb.2155:                             ;   in Loop: Header=BB373_2082 Depth=1
	v_bfrev_b32_e32 v22, 1
	s_mov_b32 s21, exec_lo
	v_cmpx_ne_u16_e32 0x80, v2
	s_cbranch_execz .LBB373_2161
; %bb.2156:                             ;   in Loop: Header=BB373_2082 Depth=1
	v_and_b32_e32 v5, 0xffff, v2
	v_mov_b32_e32 v22, 0x7fc02000
	s_mov_b32 s22, exec_lo
	s_delay_alu instid0(VALU_DEP_2) | instskip(NEXT) | instid1(VALU_DEP_1)
	v_and_b32_e32 v15, 0x7f, v5
	v_cmpx_ne_u32_e32 0x7f, v15
	s_cbranch_execz .LBB373_2160
; %bb.2157:                             ;   in Loop: Header=BB373_2082 Depth=1
	v_and_b32_e32 v2, 7, v5
	v_lshrrev_b32_e32 v22, 3, v15
	v_cmp_gt_u32_e64 s8, 8, v15
	s_delay_alu instid0(VALU_DEP_3) | instskip(NEXT) | instid1(VALU_DEP_2)
	v_dual_mov_b32 v16, v3 :: v_dual_mov_b32 v15, v2
	s_and_saveexec_b32 s23, s8
; %bb.2158:                             ;   in Loop: Header=BB373_2082 Depth=1
	v_clz_i32_u32_e32 v15, v2
	s_delay_alu instid0(VALU_DEP_1) | instskip(NEXT) | instid1(VALU_DEP_1)
	v_min_u32_e32 v22, 32, v15
	v_subrev_nc_u32_e32 v15, 28, v22
	v_sub_nc_u32_e32 v22, 29, v22
	s_delay_alu instid0(VALU_DEP_2) | instskip(NEXT) | instid1(VALU_DEP_1)
	v_lshlrev_b64 v[15:16], v15, v[2:3]
	v_and_b32_e32 v15, 7, v15
; %bb.2159:                             ;   in Loop: Header=BB373_2082 Depth=1
	s_or_b32 exec_lo, exec_lo, s23
	v_lshlrev_b32_e32 v2, 8, v5
	v_lshl_add_u32 v5, v22, 10, 0x2000
	s_delay_alu instid0(VALU_DEP_1) | instskip(NEXT) | instid1(VALU_DEP_1)
	v_and_or_b32 v2, 0x8000, v2, v5
	v_lshl_or_b32 v2, v15, 7, v2
	s_delay_alu instid0(VALU_DEP_1)
	v_cvt_f32_f16_e32 v22, v2
.LBB373_2160:                           ;   in Loop: Header=BB373_2082 Depth=1
	s_or_b32 exec_lo, exec_lo, s22
.LBB373_2161:                           ;   in Loop: Header=BB373_2082 Depth=1
	s_delay_alu instid0(SALU_CYCLE_1)
	s_or_b32 exec_lo, exec_lo, s21
.LBB373_2162:                           ;   in Loop: Header=BB373_2082 Depth=1
	s_delay_alu instid0(SALU_CYCLE_1) | instskip(SKIP_2) | instid1(VALU_DEP_1)
	s_or_b32 exec_lo, exec_lo, s19
	v_lshrrev_b32_e32 v5, 16, v13
	s_mov_b32 s19, exec_lo
	v_and_b32_e32 v2, 0xff, v5
	s_delay_alu instid0(VALU_DEP_1)
	v_cmpx_ne_u16_e32 0, v2
	s_cbranch_execz .LBB373_2170
; %bb.2163:                             ;   in Loop: Header=BB373_2082 Depth=1
	v_bfrev_b32_e32 v23, 1
	s_mov_b32 s21, exec_lo
	v_cmpx_ne_u16_e32 0x80, v2
	s_cbranch_execz .LBB373_2169
; %bb.2164:                             ;   in Loop: Header=BB373_2082 Depth=1
	v_bfe_u32 v15, v13, 16, 7
	v_mov_b32_e32 v23, 0x7fc02000
	s_mov_b32 s22, exec_lo
	s_delay_alu instid0(VALU_DEP_2)
	v_cmpx_ne_u32_e32 0x7f, v15
	s_cbranch_execz .LBB373_2168
; %bb.2165:                             ;   in Loop: Header=BB373_2082 Depth=1
	v_and_b32_e32 v2, 7, v5
	v_lshrrev_b32_e32 v23, 3, v15
	v_cmp_gt_u32_e64 s8, 8, v15
	s_delay_alu instid0(VALU_DEP_3) | instskip(NEXT) | instid1(VALU_DEP_2)
	v_dual_mov_b32 v16, v3 :: v_dual_mov_b32 v15, v2
	s_and_saveexec_b32 s23, s8
; %bb.2166:                             ;   in Loop: Header=BB373_2082 Depth=1
	v_clz_i32_u32_e32 v15, v2
	s_delay_alu instid0(VALU_DEP_1) | instskip(NEXT) | instid1(VALU_DEP_1)
	v_min_u32_e32 v23, 32, v15
	v_subrev_nc_u32_e32 v15, 28, v23
	v_sub_nc_u32_e32 v23, 29, v23
	s_delay_alu instid0(VALU_DEP_2) | instskip(NEXT) | instid1(VALU_DEP_1)
	v_lshlrev_b64 v[15:16], v15, v[2:3]
	v_and_b32_e32 v15, 7, v15
; %bb.2167:                             ;   in Loop: Header=BB373_2082 Depth=1
	s_or_b32 exec_lo, exec_lo, s23
	v_lshlrev_b32_e32 v2, 8, v5
	v_lshl_add_u32 v5, v23, 10, 0x2000
	s_delay_alu instid0(VALU_DEP_1) | instskip(NEXT) | instid1(VALU_DEP_1)
	v_and_or_b32 v2, 0x8000, v2, v5
	v_lshl_or_b32 v2, v15, 7, v2
	s_delay_alu instid0(VALU_DEP_1)
	v_cvt_f32_f16_e32 v23, v2
.LBB373_2168:                           ;   in Loop: Header=BB373_2082 Depth=1
	s_or_b32 exec_lo, exec_lo, s22
.LBB373_2169:                           ;   in Loop: Header=BB373_2082 Depth=1
	s_delay_alu instid0(SALU_CYCLE_1)
	s_or_b32 exec_lo, exec_lo, s21
.LBB373_2170:                           ;   in Loop: Header=BB373_2082 Depth=1
	s_delay_alu instid0(SALU_CYCLE_1)
	s_or_b32 exec_lo, exec_lo, s19
	v_dual_mov_b32 v34, 0 :: v_dual_mov_b32 v35, 0
	s_mov_b32 s19, exec_lo
	v_cmpx_lt_u32_e32 0xffffff, v13
	s_cbranch_execz .LBB373_2178
; %bb.2171:                             ;   in Loop: Header=BB373_2082 Depth=1
	v_lshrrev_b32_e32 v5, 24, v13
	v_bfrev_b32_e32 v35, 1
	s_mov_b32 s21, exec_lo
	s_delay_alu instid0(VALU_DEP_2)
	v_cmpx_ne_u32_e32 0x80, v5
	s_cbranch_execz .LBB373_2177
; %bb.2172:                             ;   in Loop: Header=BB373_2082 Depth=1
	v_and_b32_e32 v15, 0x7f, v5
	v_mov_b32_e32 v35, 0x7fc02000
	s_mov_b32 s22, exec_lo
	s_delay_alu instid0(VALU_DEP_2)
	v_cmpx_ne_u32_e32 0x7f, v15
	s_cbranch_execz .LBB373_2176
; %bb.2173:                             ;   in Loop: Header=BB373_2082 Depth=1
	v_and_b32_e32 v2, 7, v5
	v_lshrrev_b32_e32 v35, 3, v15
	v_cmp_gt_u32_e64 s8, 8, v15
	s_delay_alu instid0(VALU_DEP_3) | instskip(NEXT) | instid1(VALU_DEP_2)
	v_dual_mov_b32 v16, v3 :: v_dual_mov_b32 v15, v2
	s_and_saveexec_b32 s23, s8
; %bb.2174:                             ;   in Loop: Header=BB373_2082 Depth=1
	v_clz_i32_u32_e32 v15, v2
	s_delay_alu instid0(VALU_DEP_1) | instskip(NEXT) | instid1(VALU_DEP_1)
	v_min_u32_e32 v26, 32, v15
	v_subrev_nc_u32_e32 v15, 28, v26
	v_sub_nc_u32_e32 v35, 29, v26
	s_delay_alu instid0(VALU_DEP_2) | instskip(NEXT) | instid1(VALU_DEP_1)
	v_lshlrev_b64 v[15:16], v15, v[2:3]
	v_and_b32_e32 v15, 7, v15
; %bb.2175:                             ;   in Loop: Header=BB373_2082 Depth=1
	s_or_b32 exec_lo, exec_lo, s23
	v_lshlrev_b32_e32 v2, 8, v5
	v_lshl_add_u32 v5, v35, 10, 0x2000
	s_delay_alu instid0(VALU_DEP_1) | instskip(NEXT) | instid1(VALU_DEP_1)
	v_and_or_b32 v2, 0x8000, v2, v5
	v_lshl_or_b32 v2, v15, 7, v2
	s_delay_alu instid0(VALU_DEP_1)
	v_cvt_f32_f16_e32 v35, v2
.LBB373_2176:                           ;   in Loop: Header=BB373_2082 Depth=1
	s_or_b32 exec_lo, exec_lo, s22
.LBB373_2177:                           ;   in Loop: Header=BB373_2082 Depth=1
	s_delay_alu instid0(SALU_CYCLE_1)
	s_or_b32 exec_lo, exec_lo, s21
.LBB373_2178:                           ;   in Loop: Header=BB373_2082 Depth=1
	s_delay_alu instid0(SALU_CYCLE_1) | instskip(SKIP_2) | instid1(VALU_DEP_1)
	s_or_b32 exec_lo, exec_lo, s19
	v_dual_mov_b32 v2, v14 :: v_dual_and_b32 v5, 0xff, v14
	s_mov_b32 s19, exec_lo
	v_cmpx_ne_u16_e32 0, v5
	s_cbranch_execz .LBB373_2186
; %bb.2179:                             ;   in Loop: Header=BB373_2082 Depth=1
	v_bfrev_b32_e32 v34, 1
	s_mov_b32 s21, exec_lo
	v_cmpx_ne_u16_e32 0x80, v5
	s_cbranch_execz .LBB373_2185
; %bb.2180:                             ;   in Loop: Header=BB373_2082 Depth=1
	v_and_b32_e32 v15, 0x7f, v14
	v_mov_b32_e32 v34, 0x7fc02000
	s_mov_b32 s22, exec_lo
	s_delay_alu instid0(VALU_DEP_2)
	v_cmpx_ne_u32_e32 0x7f, v15
	s_cbranch_execz .LBB373_2184
; %bb.2181:                             ;   in Loop: Header=BB373_2082 Depth=1
	v_lshrrev_b32_e32 v5, 3, v15
	v_cmp_gt_u32_e64 s8, 8, v15
	v_dual_mov_b32 v16, v3 :: v_dual_mov_b32 v15, v2
	s_delay_alu instid0(VALU_DEP_2)
	s_and_saveexec_b32 s23, s8
; %bb.2182:                             ;   in Loop: Header=BB373_2082 Depth=1
	v_and_b32_e32 v5, 7, v14
	s_delay_alu instid0(VALU_DEP_1) | instskip(NEXT) | instid1(VALU_DEP_1)
	v_clz_i32_u32_e32 v5, v5
	v_min_u32_e32 v5, 32, v5
	s_delay_alu instid0(VALU_DEP_1) | instskip(SKIP_1) | instid1(VALU_DEP_2)
	v_subrev_nc_u32_e32 v15, 28, v5
	v_sub_nc_u32_e32 v5, 29, v5
	v_lshlrev_b64 v[15:16], v15, v[2:3]
; %bb.2183:                             ;   in Loop: Header=BB373_2082 Depth=1
	s_or_b32 exec_lo, exec_lo, s23
	v_lshlrev_b32_e32 v16, 8, v14
	s_delay_alu instid0(VALU_DEP_3) | instskip(NEXT) | instid1(VALU_DEP_3)
	v_lshl_add_u32 v5, v5, 10, 0x2000
	v_lshlrev_b32_e32 v15, 7, v15
	s_delay_alu instid0(VALU_DEP_2) | instskip(NEXT) | instid1(VALU_DEP_1)
	v_and_or_b32 v5, 0x8000, v16, v5
	v_and_or_b32 v5, 0x380, v15, v5
	s_delay_alu instid0(VALU_DEP_1)
	v_cvt_f32_f16_e32 v34, v5
.LBB373_2184:                           ;   in Loop: Header=BB373_2082 Depth=1
	s_or_b32 exec_lo, exec_lo, s22
.LBB373_2185:                           ;   in Loop: Header=BB373_2082 Depth=1
	s_delay_alu instid0(SALU_CYCLE_1)
	s_or_b32 exec_lo, exec_lo, s21
.LBB373_2186:                           ;   in Loop: Header=BB373_2082 Depth=1
	s_delay_alu instid0(SALU_CYCLE_1) | instskip(SKIP_3) | instid1(VALU_DEP_2)
	s_or_b32 exec_lo, exec_lo, s19
	v_lshrrev_b16 v2, 8, v2
	v_dual_mov_b32 v36, 0 :: v_dual_mov_b32 v37, 0
	s_mov_b32 s19, exec_lo
	v_cmpx_ne_u16_e32 0, v2
	s_cbranch_execz .LBB373_2194
; %bb.2187:                             ;   in Loop: Header=BB373_2082 Depth=1
	v_bfrev_b32_e32 v37, 1
	s_mov_b32 s21, exec_lo
	v_cmpx_ne_u16_e32 0x80, v2
	s_cbranch_execz .LBB373_2193
; %bb.2188:                             ;   in Loop: Header=BB373_2082 Depth=1
	v_and_b32_e32 v5, 0xffff, v2
	v_mov_b32_e32 v37, 0x7fc02000
	s_mov_b32 s22, exec_lo
	s_delay_alu instid0(VALU_DEP_2) | instskip(NEXT) | instid1(VALU_DEP_1)
	v_and_b32_e32 v15, 0x7f, v5
	v_cmpx_ne_u32_e32 0x7f, v15
	s_cbranch_execz .LBB373_2192
; %bb.2189:                             ;   in Loop: Header=BB373_2082 Depth=1
	v_and_b32_e32 v2, 7, v5
	v_lshrrev_b32_e32 v37, 3, v15
	v_cmp_gt_u32_e64 s8, 8, v15
	s_delay_alu instid0(VALU_DEP_3) | instskip(NEXT) | instid1(VALU_DEP_2)
	v_dual_mov_b32 v16, v3 :: v_dual_mov_b32 v15, v2
	s_and_saveexec_b32 s23, s8
; %bb.2190:                             ;   in Loop: Header=BB373_2082 Depth=1
	v_clz_i32_u32_e32 v15, v2
	s_delay_alu instid0(VALU_DEP_1) | instskip(NEXT) | instid1(VALU_DEP_1)
	v_min_u32_e32 v26, 32, v15
	v_subrev_nc_u32_e32 v15, 28, v26
	v_sub_nc_u32_e32 v37, 29, v26
	s_delay_alu instid0(VALU_DEP_2) | instskip(NEXT) | instid1(VALU_DEP_1)
	v_lshlrev_b64 v[15:16], v15, v[2:3]
	v_and_b32_e32 v15, 7, v15
; %bb.2191:                             ;   in Loop: Header=BB373_2082 Depth=1
	s_or_b32 exec_lo, exec_lo, s23
	v_lshlrev_b32_e32 v2, 8, v5
	v_lshl_add_u32 v5, v37, 10, 0x2000
	s_delay_alu instid0(VALU_DEP_1) | instskip(NEXT) | instid1(VALU_DEP_1)
	v_and_or_b32 v2, 0x8000, v2, v5
	v_lshl_or_b32 v2, v15, 7, v2
	s_delay_alu instid0(VALU_DEP_1)
	v_cvt_f32_f16_e32 v37, v2
.LBB373_2192:                           ;   in Loop: Header=BB373_2082 Depth=1
	s_or_b32 exec_lo, exec_lo, s22
.LBB373_2193:                           ;   in Loop: Header=BB373_2082 Depth=1
	s_delay_alu instid0(SALU_CYCLE_1)
	s_or_b32 exec_lo, exec_lo, s21
.LBB373_2194:                           ;   in Loop: Header=BB373_2082 Depth=1
	s_delay_alu instid0(SALU_CYCLE_1) | instskip(SKIP_2) | instid1(VALU_DEP_1)
	s_or_b32 exec_lo, exec_lo, s19
	v_lshrrev_b32_e32 v5, 16, v14
	s_mov_b32 s19, exec_lo
	v_and_b32_e32 v2, 0xff, v5
	s_delay_alu instid0(VALU_DEP_1)
	v_cmpx_ne_u16_e32 0, v2
	s_cbranch_execz .LBB373_2202
; %bb.2195:                             ;   in Loop: Header=BB373_2082 Depth=1
	v_bfrev_b32_e32 v36, 1
	s_mov_b32 s21, exec_lo
	v_cmpx_ne_u16_e32 0x80, v2
	s_cbranch_execz .LBB373_2201
; %bb.2196:                             ;   in Loop: Header=BB373_2082 Depth=1
	v_bfe_u32 v15, v14, 16, 7
	v_mov_b32_e32 v36, 0x7fc02000
	s_mov_b32 s22, exec_lo
	s_delay_alu instid0(VALU_DEP_2)
	v_cmpx_ne_u32_e32 0x7f, v15
	s_cbranch_execz .LBB373_2200
; %bb.2197:                             ;   in Loop: Header=BB373_2082 Depth=1
	v_and_b32_e32 v2, 7, v5
	v_lshrrev_b32_e32 v36, 3, v15
	v_cmp_gt_u32_e64 s8, 8, v15
	s_delay_alu instid0(VALU_DEP_3) | instskip(NEXT) | instid1(VALU_DEP_2)
	v_dual_mov_b32 v16, v3 :: v_dual_mov_b32 v15, v2
	s_and_saveexec_b32 s23, s8
; %bb.2198:                             ;   in Loop: Header=BB373_2082 Depth=1
	v_clz_i32_u32_e32 v15, v2
	s_delay_alu instid0(VALU_DEP_1) | instskip(NEXT) | instid1(VALU_DEP_1)
	v_min_u32_e32 v26, 32, v15
	v_subrev_nc_u32_e32 v15, 28, v26
	v_sub_nc_u32_e32 v36, 29, v26
	s_delay_alu instid0(VALU_DEP_2) | instskip(NEXT) | instid1(VALU_DEP_1)
	v_lshlrev_b64 v[15:16], v15, v[2:3]
	v_and_b32_e32 v15, 7, v15
; %bb.2199:                             ;   in Loop: Header=BB373_2082 Depth=1
	s_or_b32 exec_lo, exec_lo, s23
	v_lshlrev_b32_e32 v2, 8, v5
	v_lshl_add_u32 v5, v36, 10, 0x2000
	s_delay_alu instid0(VALU_DEP_1) | instskip(NEXT) | instid1(VALU_DEP_1)
	v_and_or_b32 v2, 0x8000, v2, v5
	v_lshl_or_b32 v2, v15, 7, v2
	s_delay_alu instid0(VALU_DEP_1)
	v_cvt_f32_f16_e32 v36, v2
.LBB373_2200:                           ;   in Loop: Header=BB373_2082 Depth=1
	s_or_b32 exec_lo, exec_lo, s22
.LBB373_2201:                           ;   in Loop: Header=BB373_2082 Depth=1
	s_delay_alu instid0(SALU_CYCLE_1)
	s_or_b32 exec_lo, exec_lo, s21
.LBB373_2202:                           ;   in Loop: Header=BB373_2082 Depth=1
	s_delay_alu instid0(SALU_CYCLE_1)
	s_or_b32 exec_lo, exec_lo, s19
	v_dual_mov_b32 v5, 0 :: v_dual_mov_b32 v2, 0
	s_mov_b32 s19, exec_lo
	v_cmpx_lt_u64_e64 s[12:13], v[13:14]
	s_cbranch_execz .LBB373_2210
; %bb.2203:                             ;   in Loop: Header=BB373_2082 Depth=1
	v_lshrrev_b32_e32 v15, 24, v14
	v_bfrev_b32_e32 v2, 1
	s_mov_b32 s21, exec_lo
	s_delay_alu instid0(VALU_DEP_2)
	v_cmpx_ne_u32_e32 0x80, v15
	s_cbranch_execz .LBB373_2209
; %bb.2204:                             ;   in Loop: Header=BB373_2082 Depth=1
	v_and_b32_e32 v13, 0x7f, v15
	v_mov_b32_e32 v2, 0x7fc02000
	s_mov_b32 s22, exec_lo
	s_delay_alu instid0(VALU_DEP_2)
	v_cmpx_ne_u32_e32 0x7f, v13
	s_cbranch_execz .LBB373_2208
; %bb.2205:                             ;   in Loop: Header=BB373_2082 Depth=1
	v_and_b32_e32 v2, 7, v15
	v_lshrrev_b32_e32 v16, 3, v13
	v_cmp_gt_u32_e64 s8, 8, v13
	s_delay_alu instid0(VALU_DEP_3) | instskip(NEXT) | instid1(VALU_DEP_2)
	v_dual_mov_b32 v14, v3 :: v_dual_mov_b32 v13, v2
	s_and_saveexec_b32 s23, s8
; %bb.2206:                             ;   in Loop: Header=BB373_2082 Depth=1
	v_clz_i32_u32_e32 v13, v2
	s_delay_alu instid0(VALU_DEP_1) | instskip(NEXT) | instid1(VALU_DEP_1)
	v_min_u32_e32 v16, 32, v13
	v_subrev_nc_u32_e32 v13, 28, v16
	v_sub_nc_u32_e32 v16, 29, v16
	s_delay_alu instid0(VALU_DEP_2) | instskip(NEXT) | instid1(VALU_DEP_1)
	v_lshlrev_b64 v[13:14], v13, v[2:3]
	v_and_b32_e32 v13, 7, v13
; %bb.2207:                             ;   in Loop: Header=BB373_2082 Depth=1
	s_or_b32 exec_lo, exec_lo, s23
	v_lshlrev_b32_e32 v2, 8, v15
	v_lshl_add_u32 v14, v16, 10, 0x2000
	s_delay_alu instid0(VALU_DEP_1) | instskip(NEXT) | instid1(VALU_DEP_1)
	v_and_or_b32 v2, 0x8000, v2, v14
	v_lshl_or_b32 v2, v13, 7, v2
	s_delay_alu instid0(VALU_DEP_1)
	v_cvt_f32_f16_e32 v2, v2
.LBB373_2208:                           ;   in Loop: Header=BB373_2082 Depth=1
	s_or_b32 exec_lo, exec_lo, s22
.LBB373_2209:                           ;   in Loop: Header=BB373_2082 Depth=1
	s_delay_alu instid0(SALU_CYCLE_1)
	s_or_b32 exec_lo, exec_lo, s21
.LBB373_2210:                           ;   in Loop: Header=BB373_2082 Depth=1
	s_delay_alu instid0(SALU_CYCLE_1)
	s_or_b32 exec_lo, exec_lo, s19
	s_waitcnt vmcnt(0) lgkmcnt(0)
	v_fma_mixlo_f16 v13, v6, v35, 0
	v_fma_mixlo_f16 v14, v6, v23, 0
	;; [unrolled: 1-line block ×6, first 2 shown]
	v_lshlrev_b32_e32 v22, 16, v13
	v_and_b32_e32 v26, 0xffff, v14
	v_lshlrev_b32_e32 v27, 16, v15
	v_and_b32_e32 v34, 0xffff, v4
	v_cndmask_b32_e32 v4, 0, v4, vcc_lo
	v_lshlrev_b32_e32 v35, 16, v16
	v_and_b32_e32 v37, 0xffff, v23
	v_fma_mixlo_f16 v2, v6, v2, 0
	v_fma_mixlo_f16 v6, v6, v36, 0
	v_cndmask_b32_e64 v15, 0, v15, s0
	v_or_b32_e32 v22, v22, v26
	v_or_b32_e32 v26, v27, v34
	;; [unrolled: 1-line block ×3, first 2 shown]
	v_lshlrev_b32_e32 v34, 16, v2
	v_and_b32_e32 v35, 0xffff, v6
	v_cndmask_b32_e64 v14, 0, v14, s2
	v_cndmask_b32_e64 v13, 0, v13, s4
	;; [unrolled: 1-line block ×6, first 2 shown]
	v_perm_b32 v4, v15, v4, 0x5040100
	v_or_b32_e32 v34, v34, v35
	v_perm_b32 v13, v13, v14, 0x5040100
	v_perm_b32 v14, v16, v23, 0x5040100
	;; [unrolled: 1-line block ×3, first 2 shown]
	v_cndmask_b32_e64 v4, v26, v4, s1
	;;#ASMSTART
	v_pk_mul_f16 v4, v130, v4;

	;;#ASMEND
	v_cndmask_b32_e64 v6, v22, v13, s1
	v_cndmask_b32_e64 v13, v27, v14, s1
	v_cndmask_b32_e64 v2, v34, v2, s1
	;;#ASMSTART
	v_pk_mul_f16 v6, v129, v6;

	;;#ASMEND
	;;#ASMSTART
	v_pk_mul_f16 v13, v128, v13;

	;;#ASMEND
	;; [unrolled: 4-line block ×3, first 2 shown]
	;;#ASMSTART
	v_pk_add_f16 v4, v4, v6;

	;;#ASMEND
	;;#ASMSTART
	v_pk_add_f16 v4, v4, v13;

	;;#ASMEND
	;; [unrolled: 4-line block ×3, first 2 shown]
	v_and_b32_e32 v4, 0xffff, v2
	v_lshrrev_b32_e32 v2, 16, v2
	;;#ASMSTART
	v_cvt_f32_f16 v134, v4;
	;;#ASMEND
	;;#ASMSTART
	v_cvt_f32_f16 v135, v2;
	;;#ASMEND
	flat_load_b64 v[13:14], v[11:12] offset:512
	flat_load_b32 v6, v[121:122]
	s_mov_b32 s19, exec_lo
	s_waitcnt vmcnt(1) lgkmcnt(1)
	v_and_b32_e32 v2, 0xff, v13
	s_delay_alu instid0(VALU_DEP_1)
	v_cmpx_ne_u16_e32 0, v2
	s_cbranch_execz .LBB373_2218
; %bb.2211:                             ;   in Loop: Header=BB373_2082 Depth=1
	v_bfrev_b32_e32 v5, 1
	s_mov_b32 s21, exec_lo
	v_cmpx_ne_u16_e32 0x80, v2
	s_cbranch_execz .LBB373_2217
; %bb.2212:                             ;   in Loop: Header=BB373_2082 Depth=1
	v_and_b32_e32 v4, 0x7f, v13
	v_mov_b32_e32 v5, 0x7fc02000
	s_mov_b32 s22, exec_lo
	s_delay_alu instid0(VALU_DEP_2)
	v_cmpx_ne_u32_e32 0x7f, v4
	s_cbranch_execz .LBB373_2216
; %bb.2213:                             ;   in Loop: Header=BB373_2082 Depth=1
	v_lshrrev_b32_e32 v2, 3, v4
	v_dual_mov_b32 v16, v14 :: v_dual_mov_b32 v15, v13
	s_mov_b32 s23, exec_lo
	v_cmpx_gt_u32_e32 8, v4
; %bb.2214:                             ;   in Loop: Header=BB373_2082 Depth=1
	v_and_b32_e32 v2, 7, v13
	s_delay_alu instid0(VALU_DEP_1) | instskip(NEXT) | instid1(VALU_DEP_1)
	v_clz_i32_u32_e32 v2, v2
	v_min_u32_e32 v2, 32, v2
	s_delay_alu instid0(VALU_DEP_1) | instskip(SKIP_1) | instid1(VALU_DEP_2)
	v_subrev_nc_u32_e32 v4, 28, v2
	v_sub_nc_u32_e32 v2, 29, v2
	v_lshlrev_b64 v[15:16], v4, v[13:14]
; %bb.2215:                             ;   in Loop: Header=BB373_2082 Depth=1
	s_or_b32 exec_lo, exec_lo, s23
	v_lshlrev_b32_e32 v4, 8, v13
	s_delay_alu instid0(VALU_DEP_3) | instskip(NEXT) | instid1(VALU_DEP_3)
	v_lshl_add_u32 v2, v2, 10, 0x2000
	v_lshlrev_b32_e32 v5, 7, v15
	s_delay_alu instid0(VALU_DEP_2) | instskip(NEXT) | instid1(VALU_DEP_1)
	v_and_or_b32 v2, 0x8000, v4, v2
	v_and_or_b32 v2, 0x380, v5, v2
	s_delay_alu instid0(VALU_DEP_1)
	v_cvt_f32_f16_e32 v5, v2
.LBB373_2216:                           ;   in Loop: Header=BB373_2082 Depth=1
	s_or_b32 exec_lo, exec_lo, s22
.LBB373_2217:                           ;   in Loop: Header=BB373_2082 Depth=1
	s_delay_alu instid0(SALU_CYCLE_1)
	s_or_b32 exec_lo, exec_lo, s21
.LBB373_2218:                           ;   in Loop: Header=BB373_2082 Depth=1
	s_delay_alu instid0(SALU_CYCLE_1) | instskip(SKIP_3) | instid1(VALU_DEP_2)
	s_or_b32 exec_lo, exec_lo, s19
	v_lshrrev_b16 v2, 8, v13
	v_dual_mov_b32 v23, 0 :: v_dual_mov_b32 v22, 0
	s_mov_b32 s19, exec_lo
	v_cmpx_ne_u16_e32 0, v2
	s_cbranch_execz .LBB373_2226
; %bb.2219:                             ;   in Loop: Header=BB373_2082 Depth=1
	v_bfrev_b32_e32 v22, 1
	s_mov_b32 s21, exec_lo
	v_cmpx_ne_u16_e32 0x80, v2
	s_cbranch_execz .LBB373_2225
; %bb.2220:                             ;   in Loop: Header=BB373_2082 Depth=1
	v_and_b32_e32 v4, 0xffff, v2
	v_mov_b32_e32 v22, 0x7fc02000
	s_mov_b32 s22, exec_lo
	s_delay_alu instid0(VALU_DEP_2) | instskip(NEXT) | instid1(VALU_DEP_1)
	v_and_b32_e32 v15, 0x7f, v4
	v_cmpx_ne_u32_e32 0x7f, v15
	s_cbranch_execz .LBB373_2224
; %bb.2221:                             ;   in Loop: Header=BB373_2082 Depth=1
	v_and_b32_e32 v2, 7, v4
	v_lshrrev_b32_e32 v22, 3, v15
	v_cmp_gt_u32_e64 s8, 8, v15
	s_delay_alu instid0(VALU_DEP_3) | instskip(NEXT) | instid1(VALU_DEP_2)
	v_dual_mov_b32 v16, v3 :: v_dual_mov_b32 v15, v2
	s_and_saveexec_b32 s23, s8
; %bb.2222:                             ;   in Loop: Header=BB373_2082 Depth=1
	v_clz_i32_u32_e32 v15, v2
	s_delay_alu instid0(VALU_DEP_1) | instskip(NEXT) | instid1(VALU_DEP_1)
	v_min_u32_e32 v22, 32, v15
	v_subrev_nc_u32_e32 v15, 28, v22
	v_sub_nc_u32_e32 v22, 29, v22
	s_delay_alu instid0(VALU_DEP_2) | instskip(NEXT) | instid1(VALU_DEP_1)
	v_lshlrev_b64 v[15:16], v15, v[2:3]
	v_and_b32_e32 v15, 7, v15
; %bb.2223:                             ;   in Loop: Header=BB373_2082 Depth=1
	s_or_b32 exec_lo, exec_lo, s23
	v_lshlrev_b32_e32 v2, 8, v4
	v_lshl_add_u32 v4, v22, 10, 0x2000
	s_delay_alu instid0(VALU_DEP_1) | instskip(NEXT) | instid1(VALU_DEP_1)
	v_and_or_b32 v2, 0x8000, v2, v4
	v_lshl_or_b32 v2, v15, 7, v2
	s_delay_alu instid0(VALU_DEP_1)
	v_cvt_f32_f16_e32 v22, v2
.LBB373_2224:                           ;   in Loop: Header=BB373_2082 Depth=1
	s_or_b32 exec_lo, exec_lo, s22
.LBB373_2225:                           ;   in Loop: Header=BB373_2082 Depth=1
	s_delay_alu instid0(SALU_CYCLE_1)
	s_or_b32 exec_lo, exec_lo, s21
.LBB373_2226:                           ;   in Loop: Header=BB373_2082 Depth=1
	s_delay_alu instid0(SALU_CYCLE_1) | instskip(SKIP_2) | instid1(VALU_DEP_1)
	s_or_b32 exec_lo, exec_lo, s19
	v_lshrrev_b32_e32 v4, 16, v13
	s_mov_b32 s19, exec_lo
	v_and_b32_e32 v2, 0xff, v4
	s_delay_alu instid0(VALU_DEP_1)
	v_cmpx_ne_u16_e32 0, v2
	s_cbranch_execz .LBB373_2234
; %bb.2227:                             ;   in Loop: Header=BB373_2082 Depth=1
	v_bfrev_b32_e32 v23, 1
	s_mov_b32 s21, exec_lo
	v_cmpx_ne_u16_e32 0x80, v2
	s_cbranch_execz .LBB373_2233
; %bb.2228:                             ;   in Loop: Header=BB373_2082 Depth=1
	v_bfe_u32 v15, v13, 16, 7
	v_mov_b32_e32 v23, 0x7fc02000
	s_mov_b32 s22, exec_lo
	s_delay_alu instid0(VALU_DEP_2)
	v_cmpx_ne_u32_e32 0x7f, v15
	s_cbranch_execz .LBB373_2232
; %bb.2229:                             ;   in Loop: Header=BB373_2082 Depth=1
	v_and_b32_e32 v2, 7, v4
	v_lshrrev_b32_e32 v23, 3, v15
	v_cmp_gt_u32_e64 s8, 8, v15
	s_delay_alu instid0(VALU_DEP_3) | instskip(NEXT) | instid1(VALU_DEP_2)
	v_dual_mov_b32 v16, v3 :: v_dual_mov_b32 v15, v2
	s_and_saveexec_b32 s23, s8
; %bb.2230:                             ;   in Loop: Header=BB373_2082 Depth=1
	v_clz_i32_u32_e32 v15, v2
	s_delay_alu instid0(VALU_DEP_1) | instskip(NEXT) | instid1(VALU_DEP_1)
	v_min_u32_e32 v23, 32, v15
	v_subrev_nc_u32_e32 v15, 28, v23
	v_sub_nc_u32_e32 v23, 29, v23
	s_delay_alu instid0(VALU_DEP_2) | instskip(NEXT) | instid1(VALU_DEP_1)
	v_lshlrev_b64 v[15:16], v15, v[2:3]
	v_and_b32_e32 v15, 7, v15
; %bb.2231:                             ;   in Loop: Header=BB373_2082 Depth=1
	s_or_b32 exec_lo, exec_lo, s23
	v_lshlrev_b32_e32 v2, 8, v4
	v_lshl_add_u32 v4, v23, 10, 0x2000
	s_delay_alu instid0(VALU_DEP_1) | instskip(NEXT) | instid1(VALU_DEP_1)
	v_and_or_b32 v2, 0x8000, v2, v4
	v_lshl_or_b32 v2, v15, 7, v2
	s_delay_alu instid0(VALU_DEP_1)
	v_cvt_f32_f16_e32 v23, v2
.LBB373_2232:                           ;   in Loop: Header=BB373_2082 Depth=1
	s_or_b32 exec_lo, exec_lo, s22
.LBB373_2233:                           ;   in Loop: Header=BB373_2082 Depth=1
	s_delay_alu instid0(SALU_CYCLE_1)
	s_or_b32 exec_lo, exec_lo, s21
.LBB373_2234:                           ;   in Loop: Header=BB373_2082 Depth=1
	s_delay_alu instid0(SALU_CYCLE_1)
	s_or_b32 exec_lo, exec_lo, s19
	v_dual_mov_b32 v34, 0 :: v_dual_mov_b32 v35, 0
	s_mov_b32 s19, exec_lo
	v_cmpx_lt_u32_e32 0xffffff, v13
	s_cbranch_execz .LBB373_2242
; %bb.2235:                             ;   in Loop: Header=BB373_2082 Depth=1
	v_lshrrev_b32_e32 v4, 24, v13
	v_bfrev_b32_e32 v35, 1
	s_mov_b32 s21, exec_lo
	s_delay_alu instid0(VALU_DEP_2)
	v_cmpx_ne_u32_e32 0x80, v4
	s_cbranch_execz .LBB373_2241
; %bb.2236:                             ;   in Loop: Header=BB373_2082 Depth=1
	v_and_b32_e32 v15, 0x7f, v4
	v_mov_b32_e32 v35, 0x7fc02000
	s_mov_b32 s22, exec_lo
	s_delay_alu instid0(VALU_DEP_2)
	v_cmpx_ne_u32_e32 0x7f, v15
	s_cbranch_execz .LBB373_2240
; %bb.2237:                             ;   in Loop: Header=BB373_2082 Depth=1
	v_and_b32_e32 v2, 7, v4
	v_lshrrev_b32_e32 v35, 3, v15
	v_cmp_gt_u32_e64 s8, 8, v15
	s_delay_alu instid0(VALU_DEP_3) | instskip(NEXT) | instid1(VALU_DEP_2)
	v_dual_mov_b32 v16, v3 :: v_dual_mov_b32 v15, v2
	s_and_saveexec_b32 s23, s8
; %bb.2238:                             ;   in Loop: Header=BB373_2082 Depth=1
	v_clz_i32_u32_e32 v15, v2
	s_delay_alu instid0(VALU_DEP_1) | instskip(NEXT) | instid1(VALU_DEP_1)
	v_min_u32_e32 v26, 32, v15
	v_subrev_nc_u32_e32 v15, 28, v26
	v_sub_nc_u32_e32 v35, 29, v26
	s_delay_alu instid0(VALU_DEP_2) | instskip(NEXT) | instid1(VALU_DEP_1)
	v_lshlrev_b64 v[15:16], v15, v[2:3]
	v_and_b32_e32 v15, 7, v15
; %bb.2239:                             ;   in Loop: Header=BB373_2082 Depth=1
	s_or_b32 exec_lo, exec_lo, s23
	v_lshlrev_b32_e32 v2, 8, v4
	v_lshl_add_u32 v4, v35, 10, 0x2000
	s_delay_alu instid0(VALU_DEP_1) | instskip(NEXT) | instid1(VALU_DEP_1)
	v_and_or_b32 v2, 0x8000, v2, v4
	v_lshl_or_b32 v2, v15, 7, v2
	s_delay_alu instid0(VALU_DEP_1)
	v_cvt_f32_f16_e32 v35, v2
.LBB373_2240:                           ;   in Loop: Header=BB373_2082 Depth=1
	s_or_b32 exec_lo, exec_lo, s22
.LBB373_2241:                           ;   in Loop: Header=BB373_2082 Depth=1
	s_delay_alu instid0(SALU_CYCLE_1)
	s_or_b32 exec_lo, exec_lo, s21
.LBB373_2242:                           ;   in Loop: Header=BB373_2082 Depth=1
	s_delay_alu instid0(SALU_CYCLE_1) | instskip(SKIP_3) | instid1(VALU_DEP_2)
	s_or_b32 exec_lo, exec_lo, s19
	v_and_b32_e32 v4, 0xff, v14
	v_mov_b32_e32 v2, v14
	s_mov_b32 s19, exec_lo
	v_cmpx_ne_u16_e32 0, v4
	s_cbranch_execz .LBB373_2250
; %bb.2243:                             ;   in Loop: Header=BB373_2082 Depth=1
	v_bfrev_b32_e32 v34, 1
	s_mov_b32 s21, exec_lo
	v_cmpx_ne_u16_e32 0x80, v4
	s_cbranch_execz .LBB373_2249
; %bb.2244:                             ;   in Loop: Header=BB373_2082 Depth=1
	v_and_b32_e32 v15, 0x7f, v14
	v_mov_b32_e32 v34, 0x7fc02000
	s_mov_b32 s22, exec_lo
	s_delay_alu instid0(VALU_DEP_2)
	v_cmpx_ne_u32_e32 0x7f, v15
	s_cbranch_execz .LBB373_2248
; %bb.2245:                             ;   in Loop: Header=BB373_2082 Depth=1
	v_lshrrev_b32_e32 v4, 3, v15
	v_cmp_gt_u32_e64 s8, 8, v15
	v_dual_mov_b32 v16, v3 :: v_dual_mov_b32 v15, v2
	s_delay_alu instid0(VALU_DEP_2)
	s_and_saveexec_b32 s23, s8
; %bb.2246:                             ;   in Loop: Header=BB373_2082 Depth=1
	v_and_b32_e32 v4, 7, v14
	s_delay_alu instid0(VALU_DEP_1) | instskip(NEXT) | instid1(VALU_DEP_1)
	v_clz_i32_u32_e32 v4, v4
	v_min_u32_e32 v4, 32, v4
	s_delay_alu instid0(VALU_DEP_1) | instskip(SKIP_1) | instid1(VALU_DEP_2)
	v_subrev_nc_u32_e32 v15, 28, v4
	v_sub_nc_u32_e32 v4, 29, v4
	v_lshlrev_b64 v[15:16], v15, v[2:3]
; %bb.2247:                             ;   in Loop: Header=BB373_2082 Depth=1
	s_or_b32 exec_lo, exec_lo, s23
	v_lshlrev_b32_e32 v16, 8, v14
	s_delay_alu instid0(VALU_DEP_3) | instskip(NEXT) | instid1(VALU_DEP_3)
	v_lshl_add_u32 v4, v4, 10, 0x2000
	v_lshlrev_b32_e32 v15, 7, v15
	s_delay_alu instid0(VALU_DEP_2) | instskip(NEXT) | instid1(VALU_DEP_1)
	v_and_or_b32 v4, 0x8000, v16, v4
	v_and_or_b32 v4, 0x380, v15, v4
	s_delay_alu instid0(VALU_DEP_1)
	v_cvt_f32_f16_e32 v34, v4
.LBB373_2248:                           ;   in Loop: Header=BB373_2082 Depth=1
	s_or_b32 exec_lo, exec_lo, s22
.LBB373_2249:                           ;   in Loop: Header=BB373_2082 Depth=1
	s_delay_alu instid0(SALU_CYCLE_1)
	s_or_b32 exec_lo, exec_lo, s21
.LBB373_2250:                           ;   in Loop: Header=BB373_2082 Depth=1
	s_delay_alu instid0(SALU_CYCLE_1) | instskip(SKIP_3) | instid1(VALU_DEP_2)
	s_or_b32 exec_lo, exec_lo, s19
	v_lshrrev_b16 v2, 8, v2
	v_dual_mov_b32 v36, 0 :: v_dual_mov_b32 v37, 0
	s_mov_b32 s19, exec_lo
	v_cmpx_ne_u16_e32 0, v2
	s_cbranch_execz .LBB373_2258
; %bb.2251:                             ;   in Loop: Header=BB373_2082 Depth=1
	v_bfrev_b32_e32 v37, 1
	s_mov_b32 s21, exec_lo
	v_cmpx_ne_u16_e32 0x80, v2
	s_cbranch_execz .LBB373_2257
; %bb.2252:                             ;   in Loop: Header=BB373_2082 Depth=1
	v_and_b32_e32 v4, 0xffff, v2
	v_mov_b32_e32 v37, 0x7fc02000
	s_mov_b32 s22, exec_lo
	s_delay_alu instid0(VALU_DEP_2) | instskip(NEXT) | instid1(VALU_DEP_1)
	v_and_b32_e32 v15, 0x7f, v4
	v_cmpx_ne_u32_e32 0x7f, v15
	s_cbranch_execz .LBB373_2256
; %bb.2253:                             ;   in Loop: Header=BB373_2082 Depth=1
	v_and_b32_e32 v2, 7, v4
	v_lshrrev_b32_e32 v37, 3, v15
	v_cmp_gt_u32_e64 s8, 8, v15
	s_delay_alu instid0(VALU_DEP_3) | instskip(NEXT) | instid1(VALU_DEP_2)
	v_dual_mov_b32 v16, v3 :: v_dual_mov_b32 v15, v2
	s_and_saveexec_b32 s23, s8
; %bb.2254:                             ;   in Loop: Header=BB373_2082 Depth=1
	v_clz_i32_u32_e32 v15, v2
	s_delay_alu instid0(VALU_DEP_1) | instskip(NEXT) | instid1(VALU_DEP_1)
	v_min_u32_e32 v26, 32, v15
	v_subrev_nc_u32_e32 v15, 28, v26
	v_sub_nc_u32_e32 v37, 29, v26
	s_delay_alu instid0(VALU_DEP_2) | instskip(NEXT) | instid1(VALU_DEP_1)
	v_lshlrev_b64 v[15:16], v15, v[2:3]
	v_and_b32_e32 v15, 7, v15
; %bb.2255:                             ;   in Loop: Header=BB373_2082 Depth=1
	s_or_b32 exec_lo, exec_lo, s23
	v_lshlrev_b32_e32 v2, 8, v4
	v_lshl_add_u32 v4, v37, 10, 0x2000
	s_delay_alu instid0(VALU_DEP_1) | instskip(NEXT) | instid1(VALU_DEP_1)
	v_and_or_b32 v2, 0x8000, v2, v4
	v_lshl_or_b32 v2, v15, 7, v2
	s_delay_alu instid0(VALU_DEP_1)
	v_cvt_f32_f16_e32 v37, v2
.LBB373_2256:                           ;   in Loop: Header=BB373_2082 Depth=1
	s_or_b32 exec_lo, exec_lo, s22
.LBB373_2257:                           ;   in Loop: Header=BB373_2082 Depth=1
	s_delay_alu instid0(SALU_CYCLE_1)
	s_or_b32 exec_lo, exec_lo, s21
.LBB373_2258:                           ;   in Loop: Header=BB373_2082 Depth=1
	s_delay_alu instid0(SALU_CYCLE_1) | instskip(SKIP_2) | instid1(VALU_DEP_1)
	s_or_b32 exec_lo, exec_lo, s19
	v_lshrrev_b32_e32 v4, 16, v14
	s_mov_b32 s19, exec_lo
	v_and_b32_e32 v2, 0xff, v4
	s_delay_alu instid0(VALU_DEP_1)
	v_cmpx_ne_u16_e32 0, v2
	s_cbranch_execz .LBB373_2266
; %bb.2259:                             ;   in Loop: Header=BB373_2082 Depth=1
	v_bfrev_b32_e32 v36, 1
	s_mov_b32 s21, exec_lo
	v_cmpx_ne_u16_e32 0x80, v2
	s_cbranch_execz .LBB373_2265
; %bb.2260:                             ;   in Loop: Header=BB373_2082 Depth=1
	v_bfe_u32 v15, v14, 16, 7
	v_mov_b32_e32 v36, 0x7fc02000
	s_mov_b32 s22, exec_lo
	s_delay_alu instid0(VALU_DEP_2)
	v_cmpx_ne_u32_e32 0x7f, v15
	s_cbranch_execz .LBB373_2264
; %bb.2261:                             ;   in Loop: Header=BB373_2082 Depth=1
	v_and_b32_e32 v2, 7, v4
	v_lshrrev_b32_e32 v36, 3, v15
	v_cmp_gt_u32_e64 s8, 8, v15
	s_delay_alu instid0(VALU_DEP_3) | instskip(NEXT) | instid1(VALU_DEP_2)
	v_dual_mov_b32 v16, v3 :: v_dual_mov_b32 v15, v2
	s_and_saveexec_b32 s23, s8
; %bb.2262:                             ;   in Loop: Header=BB373_2082 Depth=1
	v_clz_i32_u32_e32 v15, v2
	s_delay_alu instid0(VALU_DEP_1) | instskip(NEXT) | instid1(VALU_DEP_1)
	v_min_u32_e32 v26, 32, v15
	v_subrev_nc_u32_e32 v15, 28, v26
	v_sub_nc_u32_e32 v36, 29, v26
	s_delay_alu instid0(VALU_DEP_2) | instskip(NEXT) | instid1(VALU_DEP_1)
	v_lshlrev_b64 v[15:16], v15, v[2:3]
	v_and_b32_e32 v15, 7, v15
; %bb.2263:                             ;   in Loop: Header=BB373_2082 Depth=1
	s_or_b32 exec_lo, exec_lo, s23
	v_lshlrev_b32_e32 v2, 8, v4
	v_lshl_add_u32 v4, v36, 10, 0x2000
	s_delay_alu instid0(VALU_DEP_1) | instskip(NEXT) | instid1(VALU_DEP_1)
	v_and_or_b32 v2, 0x8000, v2, v4
	v_lshl_or_b32 v2, v15, 7, v2
	s_delay_alu instid0(VALU_DEP_1)
	v_cvt_f32_f16_e32 v36, v2
.LBB373_2264:                           ;   in Loop: Header=BB373_2082 Depth=1
	s_or_b32 exec_lo, exec_lo, s22
.LBB373_2265:                           ;   in Loop: Header=BB373_2082 Depth=1
	s_delay_alu instid0(SALU_CYCLE_1)
	s_or_b32 exec_lo, exec_lo, s21
.LBB373_2266:                           ;   in Loop: Header=BB373_2082 Depth=1
	s_delay_alu instid0(SALU_CYCLE_1)
	s_or_b32 exec_lo, exec_lo, s19
	v_mov_b32_e32 v4, 0
	v_mov_b32_e32 v2, 0
	s_mov_b32 s19, exec_lo
	v_cmpx_lt_u64_e64 s[12:13], v[13:14]
	s_cbranch_execz .LBB373_2274
; %bb.2267:                             ;   in Loop: Header=BB373_2082 Depth=1
	v_lshrrev_b32_e32 v15, 24, v14
	v_bfrev_b32_e32 v2, 1
	s_mov_b32 s21, exec_lo
	s_delay_alu instid0(VALU_DEP_2)
	v_cmpx_ne_u32_e32 0x80, v15
	s_cbranch_execz .LBB373_2273
; %bb.2268:                             ;   in Loop: Header=BB373_2082 Depth=1
	v_and_b32_e32 v13, 0x7f, v15
	v_mov_b32_e32 v2, 0x7fc02000
	s_mov_b32 s22, exec_lo
	s_delay_alu instid0(VALU_DEP_2)
	v_cmpx_ne_u32_e32 0x7f, v13
	s_cbranch_execz .LBB373_2272
; %bb.2269:                             ;   in Loop: Header=BB373_2082 Depth=1
	v_and_b32_e32 v2, 7, v15
	v_lshrrev_b32_e32 v16, 3, v13
	v_cmp_gt_u32_e64 s8, 8, v13
	s_delay_alu instid0(VALU_DEP_3) | instskip(NEXT) | instid1(VALU_DEP_2)
	v_dual_mov_b32 v14, v3 :: v_dual_mov_b32 v13, v2
	s_and_saveexec_b32 s23, s8
; %bb.2270:                             ;   in Loop: Header=BB373_2082 Depth=1
	v_clz_i32_u32_e32 v13, v2
	s_delay_alu instid0(VALU_DEP_1) | instskip(NEXT) | instid1(VALU_DEP_1)
	v_min_u32_e32 v16, 32, v13
	v_subrev_nc_u32_e32 v13, 28, v16
	v_sub_nc_u32_e32 v16, 29, v16
	s_delay_alu instid0(VALU_DEP_2) | instskip(NEXT) | instid1(VALU_DEP_1)
	v_lshlrev_b64 v[13:14], v13, v[2:3]
	v_and_b32_e32 v13, 7, v13
; %bb.2271:                             ;   in Loop: Header=BB373_2082 Depth=1
	s_or_b32 exec_lo, exec_lo, s23
	v_lshlrev_b32_e32 v2, 8, v15
	v_lshl_add_u32 v14, v16, 10, 0x2000
	s_delay_alu instid0(VALU_DEP_1) | instskip(NEXT) | instid1(VALU_DEP_1)
	v_and_or_b32 v2, 0x8000, v2, v14
	v_lshl_or_b32 v2, v13, 7, v2
	s_delay_alu instid0(VALU_DEP_1)
	v_cvt_f32_f16_e32 v2, v2
.LBB373_2272:                           ;   in Loop: Header=BB373_2082 Depth=1
	s_or_b32 exec_lo, exec_lo, s22
.LBB373_2273:                           ;   in Loop: Header=BB373_2082 Depth=1
	s_delay_alu instid0(SALU_CYCLE_1)
	s_or_b32 exec_lo, exec_lo, s21
.LBB373_2274:                           ;   in Loop: Header=BB373_2082 Depth=1
	s_delay_alu instid0(SALU_CYCLE_1)
	s_or_b32 exec_lo, exec_lo, s19
	s_waitcnt vmcnt(0) lgkmcnt(0)
	v_fma_mixlo_f16 v13, v6, v35, 0
	v_fma_mixlo_f16 v14, v6, v23, 0
	;; [unrolled: 1-line block ×6, first 2 shown]
	v_lshlrev_b32_e32 v22, 16, v13
	v_and_b32_e32 v26, 0xffff, v14
	v_lshlrev_b32_e32 v27, 16, v15
	v_and_b32_e32 v34, 0xffff, v5
	v_cndmask_b32_e32 v5, 0, v5, vcc_lo
	v_lshlrev_b32_e32 v35, 16, v16
	v_and_b32_e32 v37, 0xffff, v23
	v_fma_mixlo_f16 v2, v6, v2, 0
	v_fma_mixlo_f16 v6, v6, v36, 0
	v_cndmask_b32_e64 v15, 0, v15, s0
	v_or_b32_e32 v22, v22, v26
	v_or_b32_e32 v26, v27, v34
	;; [unrolled: 1-line block ×3, first 2 shown]
	v_lshlrev_b32_e32 v34, 16, v2
	v_and_b32_e32 v35, 0xffff, v6
	v_cndmask_b32_e64 v14, 0, v14, s2
	v_cndmask_b32_e64 v13, 0, v13, s4
	;; [unrolled: 1-line block ×6, first 2 shown]
	v_perm_b32 v5, v15, v5, 0x5040100
	v_or_b32_e32 v34, v34, v35
	v_perm_b32 v13, v13, v14, 0x5040100
	v_perm_b32 v14, v16, v23, 0x5040100
	;; [unrolled: 1-line block ×3, first 2 shown]
	v_cndmask_b32_e64 v5, v26, v5, s1
	;;#ASMSTART
	v_pk_mul_f16 v5, v130, v5;

	;;#ASMEND
	v_cndmask_b32_e64 v6, v22, v13, s1
	v_cndmask_b32_e64 v13, v27, v14, s1
	;; [unrolled: 1-line block ×3, first 2 shown]
	;;#ASMSTART
	v_pk_mul_f16 v6, v129, v6;

	;;#ASMEND
	;;#ASMSTART
	v_pk_mul_f16 v13, v128, v13;

	;;#ASMEND
	;; [unrolled: 4-line block ×3, first 2 shown]
	;;#ASMSTART
	v_pk_add_f16 v5, v5, v6;

	;;#ASMEND
	;;#ASMSTART
	v_pk_add_f16 v5, v5, v13;

	;;#ASMEND
	;; [unrolled: 4-line block ×3, first 2 shown]
	v_and_b32_e32 v5, 0xffff, v2
	v_lshrrev_b32_e32 v2, 16, v2
	;;#ASMSTART
	v_cvt_f32_f16 v144, v5;
	;;#ASMEND
	;;#ASMSTART
	v_cvt_f32_f16 v145, v2;
	;;#ASMEND
	flat_load_b64 v[13:14], v[11:12] offset:768
	flat_load_b32 v6, v[121:122]
	s_mov_b32 s19, exec_lo
	s_waitcnt vmcnt(1) lgkmcnt(1)
	v_and_b32_e32 v2, 0xff, v13
	s_delay_alu instid0(VALU_DEP_1)
	v_cmpx_ne_u16_e32 0, v2
	s_cbranch_execz .LBB373_2282
; %bb.2275:                             ;   in Loop: Header=BB373_2082 Depth=1
	v_bfrev_b32_e32 v4, 1
	s_mov_b32 s21, exec_lo
	v_cmpx_ne_u16_e32 0x80, v2
	s_cbranch_execz .LBB373_2281
; %bb.2276:                             ;   in Loop: Header=BB373_2082 Depth=1
	v_and_b32_e32 v5, 0x7f, v13
	v_mov_b32_e32 v4, 0x7fc02000
	s_mov_b32 s22, exec_lo
	s_delay_alu instid0(VALU_DEP_2)
	v_cmpx_ne_u32_e32 0x7f, v5
	s_cbranch_execz .LBB373_2280
; %bb.2277:                             ;   in Loop: Header=BB373_2082 Depth=1
	v_lshrrev_b32_e32 v2, 3, v5
	v_dual_mov_b32 v16, v14 :: v_dual_mov_b32 v15, v13
	s_mov_b32 s23, exec_lo
	v_cmpx_gt_u32_e32 8, v5
; %bb.2278:                             ;   in Loop: Header=BB373_2082 Depth=1
	v_and_b32_e32 v2, 7, v13
	s_delay_alu instid0(VALU_DEP_1) | instskip(NEXT) | instid1(VALU_DEP_1)
	v_clz_i32_u32_e32 v2, v2
	v_min_u32_e32 v2, 32, v2
	s_delay_alu instid0(VALU_DEP_1) | instskip(SKIP_1) | instid1(VALU_DEP_2)
	v_subrev_nc_u32_e32 v4, 28, v2
	v_sub_nc_u32_e32 v2, 29, v2
	v_lshlrev_b64 v[15:16], v4, v[13:14]
; %bb.2279:                             ;   in Loop: Header=BB373_2082 Depth=1
	s_or_b32 exec_lo, exec_lo, s23
	v_lshlrev_b32_e32 v4, 8, v13
	s_delay_alu instid0(VALU_DEP_3) | instskip(NEXT) | instid1(VALU_DEP_3)
	v_lshl_add_u32 v2, v2, 10, 0x2000
	v_lshlrev_b32_e32 v5, 7, v15
	s_delay_alu instid0(VALU_DEP_2) | instskip(NEXT) | instid1(VALU_DEP_1)
	v_and_or_b32 v2, 0x8000, v4, v2
	v_and_or_b32 v2, 0x380, v5, v2
	s_delay_alu instid0(VALU_DEP_1)
	v_cvt_f32_f16_e32 v4, v2
.LBB373_2280:                           ;   in Loop: Header=BB373_2082 Depth=1
	s_or_b32 exec_lo, exec_lo, s22
.LBB373_2281:                           ;   in Loop: Header=BB373_2082 Depth=1
	s_delay_alu instid0(SALU_CYCLE_1)
	s_or_b32 exec_lo, exec_lo, s21
.LBB373_2282:                           ;   in Loop: Header=BB373_2082 Depth=1
	s_delay_alu instid0(SALU_CYCLE_1) | instskip(SKIP_3) | instid1(VALU_DEP_2)
	s_or_b32 exec_lo, exec_lo, s19
	v_lshrrev_b16 v2, 8, v13
	v_dual_mov_b32 v23, 0 :: v_dual_mov_b32 v22, 0
	s_mov_b32 s19, exec_lo
	v_cmpx_ne_u16_e32 0, v2
	s_cbranch_execz .LBB373_2290
; %bb.2283:                             ;   in Loop: Header=BB373_2082 Depth=1
	v_bfrev_b32_e32 v22, 1
	s_mov_b32 s21, exec_lo
	v_cmpx_ne_u16_e32 0x80, v2
	s_cbranch_execz .LBB373_2289
; %bb.2284:                             ;   in Loop: Header=BB373_2082 Depth=1
	v_and_b32_e32 v5, 0xffff, v2
	v_mov_b32_e32 v22, 0x7fc02000
	s_mov_b32 s22, exec_lo
	s_delay_alu instid0(VALU_DEP_2) | instskip(NEXT) | instid1(VALU_DEP_1)
	v_and_b32_e32 v15, 0x7f, v5
	v_cmpx_ne_u32_e32 0x7f, v15
	s_cbranch_execz .LBB373_2288
; %bb.2285:                             ;   in Loop: Header=BB373_2082 Depth=1
	v_and_b32_e32 v2, 7, v5
	v_lshrrev_b32_e32 v22, 3, v15
	v_cmp_gt_u32_e64 s8, 8, v15
	s_delay_alu instid0(VALU_DEP_3) | instskip(NEXT) | instid1(VALU_DEP_2)
	v_dual_mov_b32 v16, v3 :: v_dual_mov_b32 v15, v2
	s_and_saveexec_b32 s23, s8
; %bb.2286:                             ;   in Loop: Header=BB373_2082 Depth=1
	v_clz_i32_u32_e32 v15, v2
	s_delay_alu instid0(VALU_DEP_1) | instskip(NEXT) | instid1(VALU_DEP_1)
	v_min_u32_e32 v22, 32, v15
	v_subrev_nc_u32_e32 v15, 28, v22
	v_sub_nc_u32_e32 v22, 29, v22
	s_delay_alu instid0(VALU_DEP_2) | instskip(NEXT) | instid1(VALU_DEP_1)
	v_lshlrev_b64 v[15:16], v15, v[2:3]
	v_and_b32_e32 v15, 7, v15
; %bb.2287:                             ;   in Loop: Header=BB373_2082 Depth=1
	s_or_b32 exec_lo, exec_lo, s23
	v_lshlrev_b32_e32 v2, 8, v5
	v_lshl_add_u32 v5, v22, 10, 0x2000
	s_delay_alu instid0(VALU_DEP_1) | instskip(NEXT) | instid1(VALU_DEP_1)
	v_and_or_b32 v2, 0x8000, v2, v5
	v_lshl_or_b32 v2, v15, 7, v2
	s_delay_alu instid0(VALU_DEP_1)
	v_cvt_f32_f16_e32 v22, v2
.LBB373_2288:                           ;   in Loop: Header=BB373_2082 Depth=1
	s_or_b32 exec_lo, exec_lo, s22
.LBB373_2289:                           ;   in Loop: Header=BB373_2082 Depth=1
	s_delay_alu instid0(SALU_CYCLE_1)
	s_or_b32 exec_lo, exec_lo, s21
.LBB373_2290:                           ;   in Loop: Header=BB373_2082 Depth=1
	s_delay_alu instid0(SALU_CYCLE_1) | instskip(SKIP_2) | instid1(VALU_DEP_1)
	s_or_b32 exec_lo, exec_lo, s19
	v_lshrrev_b32_e32 v5, 16, v13
	s_mov_b32 s19, exec_lo
	v_and_b32_e32 v2, 0xff, v5
	s_delay_alu instid0(VALU_DEP_1)
	v_cmpx_ne_u16_e32 0, v2
	s_cbranch_execz .LBB373_2298
; %bb.2291:                             ;   in Loop: Header=BB373_2082 Depth=1
	v_bfrev_b32_e32 v23, 1
	s_mov_b32 s21, exec_lo
	v_cmpx_ne_u16_e32 0x80, v2
	s_cbranch_execz .LBB373_2297
; %bb.2292:                             ;   in Loop: Header=BB373_2082 Depth=1
	v_bfe_u32 v15, v13, 16, 7
	v_mov_b32_e32 v23, 0x7fc02000
	s_mov_b32 s22, exec_lo
	s_delay_alu instid0(VALU_DEP_2)
	v_cmpx_ne_u32_e32 0x7f, v15
	s_cbranch_execz .LBB373_2296
; %bb.2293:                             ;   in Loop: Header=BB373_2082 Depth=1
	v_and_b32_e32 v2, 7, v5
	v_lshrrev_b32_e32 v23, 3, v15
	v_cmp_gt_u32_e64 s8, 8, v15
	s_delay_alu instid0(VALU_DEP_3) | instskip(NEXT) | instid1(VALU_DEP_2)
	v_dual_mov_b32 v16, v3 :: v_dual_mov_b32 v15, v2
	s_and_saveexec_b32 s23, s8
; %bb.2294:                             ;   in Loop: Header=BB373_2082 Depth=1
	v_clz_i32_u32_e32 v15, v2
	s_delay_alu instid0(VALU_DEP_1) | instskip(NEXT) | instid1(VALU_DEP_1)
	v_min_u32_e32 v23, 32, v15
	v_subrev_nc_u32_e32 v15, 28, v23
	v_sub_nc_u32_e32 v23, 29, v23
	s_delay_alu instid0(VALU_DEP_2) | instskip(NEXT) | instid1(VALU_DEP_1)
	v_lshlrev_b64 v[15:16], v15, v[2:3]
	v_and_b32_e32 v15, 7, v15
; %bb.2295:                             ;   in Loop: Header=BB373_2082 Depth=1
	s_or_b32 exec_lo, exec_lo, s23
	v_lshlrev_b32_e32 v2, 8, v5
	v_lshl_add_u32 v5, v23, 10, 0x2000
	s_delay_alu instid0(VALU_DEP_1) | instskip(NEXT) | instid1(VALU_DEP_1)
	v_and_or_b32 v2, 0x8000, v2, v5
	v_lshl_or_b32 v2, v15, 7, v2
	s_delay_alu instid0(VALU_DEP_1)
	v_cvt_f32_f16_e32 v23, v2
.LBB373_2296:                           ;   in Loop: Header=BB373_2082 Depth=1
	s_or_b32 exec_lo, exec_lo, s22
.LBB373_2297:                           ;   in Loop: Header=BB373_2082 Depth=1
	s_delay_alu instid0(SALU_CYCLE_1)
	s_or_b32 exec_lo, exec_lo, s21
.LBB373_2298:                           ;   in Loop: Header=BB373_2082 Depth=1
	s_delay_alu instid0(SALU_CYCLE_1)
	s_or_b32 exec_lo, exec_lo, s19
	v_dual_mov_b32 v34, 0 :: v_dual_mov_b32 v35, 0
	s_mov_b32 s19, exec_lo
	v_cmpx_lt_u32_e32 0xffffff, v13
	s_cbranch_execz .LBB373_2306
; %bb.2299:                             ;   in Loop: Header=BB373_2082 Depth=1
	v_lshrrev_b32_e32 v5, 24, v13
	v_bfrev_b32_e32 v35, 1
	s_mov_b32 s21, exec_lo
	s_delay_alu instid0(VALU_DEP_2)
	v_cmpx_ne_u32_e32 0x80, v5
	s_cbranch_execz .LBB373_2305
; %bb.2300:                             ;   in Loop: Header=BB373_2082 Depth=1
	v_and_b32_e32 v15, 0x7f, v5
	v_mov_b32_e32 v35, 0x7fc02000
	s_mov_b32 s22, exec_lo
	s_delay_alu instid0(VALU_DEP_2)
	v_cmpx_ne_u32_e32 0x7f, v15
	s_cbranch_execz .LBB373_2304
; %bb.2301:                             ;   in Loop: Header=BB373_2082 Depth=1
	v_and_b32_e32 v2, 7, v5
	v_lshrrev_b32_e32 v35, 3, v15
	v_cmp_gt_u32_e64 s8, 8, v15
	s_delay_alu instid0(VALU_DEP_3) | instskip(NEXT) | instid1(VALU_DEP_2)
	v_dual_mov_b32 v16, v3 :: v_dual_mov_b32 v15, v2
	s_and_saveexec_b32 s23, s8
; %bb.2302:                             ;   in Loop: Header=BB373_2082 Depth=1
	v_clz_i32_u32_e32 v15, v2
	s_delay_alu instid0(VALU_DEP_1) | instskip(NEXT) | instid1(VALU_DEP_1)
	v_min_u32_e32 v26, 32, v15
	v_subrev_nc_u32_e32 v15, 28, v26
	v_sub_nc_u32_e32 v35, 29, v26
	s_delay_alu instid0(VALU_DEP_2) | instskip(NEXT) | instid1(VALU_DEP_1)
	v_lshlrev_b64 v[15:16], v15, v[2:3]
	v_and_b32_e32 v15, 7, v15
; %bb.2303:                             ;   in Loop: Header=BB373_2082 Depth=1
	s_or_b32 exec_lo, exec_lo, s23
	v_lshlrev_b32_e32 v2, 8, v5
	v_lshl_add_u32 v5, v35, 10, 0x2000
	s_delay_alu instid0(VALU_DEP_1) | instskip(NEXT) | instid1(VALU_DEP_1)
	v_and_or_b32 v2, 0x8000, v2, v5
	v_lshl_or_b32 v2, v15, 7, v2
	s_delay_alu instid0(VALU_DEP_1)
	v_cvt_f32_f16_e32 v35, v2
.LBB373_2304:                           ;   in Loop: Header=BB373_2082 Depth=1
	s_or_b32 exec_lo, exec_lo, s22
.LBB373_2305:                           ;   in Loop: Header=BB373_2082 Depth=1
	s_delay_alu instid0(SALU_CYCLE_1)
	s_or_b32 exec_lo, exec_lo, s21
.LBB373_2306:                           ;   in Loop: Header=BB373_2082 Depth=1
	s_delay_alu instid0(SALU_CYCLE_1) | instskip(SKIP_2) | instid1(VALU_DEP_1)
	s_or_b32 exec_lo, exec_lo, s19
	v_dual_mov_b32 v2, v14 :: v_dual_and_b32 v5, 0xff, v14
	s_mov_b32 s19, exec_lo
	v_cmpx_ne_u16_e32 0, v5
	s_cbranch_execz .LBB373_2314
; %bb.2307:                             ;   in Loop: Header=BB373_2082 Depth=1
	v_bfrev_b32_e32 v34, 1
	s_mov_b32 s21, exec_lo
	v_cmpx_ne_u16_e32 0x80, v5
	s_cbranch_execz .LBB373_2313
; %bb.2308:                             ;   in Loop: Header=BB373_2082 Depth=1
	v_and_b32_e32 v15, 0x7f, v14
	v_mov_b32_e32 v34, 0x7fc02000
	s_mov_b32 s22, exec_lo
	s_delay_alu instid0(VALU_DEP_2)
	v_cmpx_ne_u32_e32 0x7f, v15
	s_cbranch_execz .LBB373_2312
; %bb.2309:                             ;   in Loop: Header=BB373_2082 Depth=1
	v_lshrrev_b32_e32 v5, 3, v15
	v_cmp_gt_u32_e64 s8, 8, v15
	v_dual_mov_b32 v16, v3 :: v_dual_mov_b32 v15, v2
	s_delay_alu instid0(VALU_DEP_2)
	s_and_saveexec_b32 s23, s8
; %bb.2310:                             ;   in Loop: Header=BB373_2082 Depth=1
	v_and_b32_e32 v5, 7, v14
	s_delay_alu instid0(VALU_DEP_1) | instskip(NEXT) | instid1(VALU_DEP_1)
	v_clz_i32_u32_e32 v5, v5
	v_min_u32_e32 v5, 32, v5
	s_delay_alu instid0(VALU_DEP_1) | instskip(SKIP_1) | instid1(VALU_DEP_2)
	v_subrev_nc_u32_e32 v15, 28, v5
	v_sub_nc_u32_e32 v5, 29, v5
	v_lshlrev_b64 v[15:16], v15, v[2:3]
; %bb.2311:                             ;   in Loop: Header=BB373_2082 Depth=1
	s_or_b32 exec_lo, exec_lo, s23
	v_lshlrev_b32_e32 v16, 8, v14
	s_delay_alu instid0(VALU_DEP_3) | instskip(NEXT) | instid1(VALU_DEP_3)
	v_lshl_add_u32 v5, v5, 10, 0x2000
	v_lshlrev_b32_e32 v15, 7, v15
	s_delay_alu instid0(VALU_DEP_2) | instskip(NEXT) | instid1(VALU_DEP_1)
	v_and_or_b32 v5, 0x8000, v16, v5
	v_and_or_b32 v5, 0x380, v15, v5
	s_delay_alu instid0(VALU_DEP_1)
	v_cvt_f32_f16_e32 v34, v5
.LBB373_2312:                           ;   in Loop: Header=BB373_2082 Depth=1
	s_or_b32 exec_lo, exec_lo, s22
.LBB373_2313:                           ;   in Loop: Header=BB373_2082 Depth=1
	s_delay_alu instid0(SALU_CYCLE_1)
	s_or_b32 exec_lo, exec_lo, s21
.LBB373_2314:                           ;   in Loop: Header=BB373_2082 Depth=1
	s_delay_alu instid0(SALU_CYCLE_1) | instskip(SKIP_3) | instid1(VALU_DEP_2)
	s_or_b32 exec_lo, exec_lo, s19
	v_lshrrev_b16 v2, 8, v2
	v_dual_mov_b32 v36, 0 :: v_dual_mov_b32 v37, 0
	s_mov_b32 s19, exec_lo
	v_cmpx_ne_u16_e32 0, v2
	s_cbranch_execz .LBB373_2322
; %bb.2315:                             ;   in Loop: Header=BB373_2082 Depth=1
	v_bfrev_b32_e32 v37, 1
	s_mov_b32 s21, exec_lo
	v_cmpx_ne_u16_e32 0x80, v2
	s_cbranch_execz .LBB373_2321
; %bb.2316:                             ;   in Loop: Header=BB373_2082 Depth=1
	v_and_b32_e32 v5, 0xffff, v2
	v_mov_b32_e32 v37, 0x7fc02000
	s_mov_b32 s22, exec_lo
	s_delay_alu instid0(VALU_DEP_2) | instskip(NEXT) | instid1(VALU_DEP_1)
	v_and_b32_e32 v15, 0x7f, v5
	v_cmpx_ne_u32_e32 0x7f, v15
	s_cbranch_execz .LBB373_2320
; %bb.2317:                             ;   in Loop: Header=BB373_2082 Depth=1
	v_and_b32_e32 v2, 7, v5
	v_lshrrev_b32_e32 v37, 3, v15
	v_cmp_gt_u32_e64 s8, 8, v15
	s_delay_alu instid0(VALU_DEP_3) | instskip(NEXT) | instid1(VALU_DEP_2)
	v_dual_mov_b32 v16, v3 :: v_dual_mov_b32 v15, v2
	s_and_saveexec_b32 s23, s8
; %bb.2318:                             ;   in Loop: Header=BB373_2082 Depth=1
	v_clz_i32_u32_e32 v15, v2
	s_delay_alu instid0(VALU_DEP_1) | instskip(NEXT) | instid1(VALU_DEP_1)
	v_min_u32_e32 v26, 32, v15
	v_subrev_nc_u32_e32 v15, 28, v26
	v_sub_nc_u32_e32 v37, 29, v26
	s_delay_alu instid0(VALU_DEP_2) | instskip(NEXT) | instid1(VALU_DEP_1)
	v_lshlrev_b64 v[15:16], v15, v[2:3]
	v_and_b32_e32 v15, 7, v15
; %bb.2319:                             ;   in Loop: Header=BB373_2082 Depth=1
	s_or_b32 exec_lo, exec_lo, s23
	v_lshlrev_b32_e32 v2, 8, v5
	v_lshl_add_u32 v5, v37, 10, 0x2000
	s_delay_alu instid0(VALU_DEP_1) | instskip(NEXT) | instid1(VALU_DEP_1)
	v_and_or_b32 v2, 0x8000, v2, v5
	v_lshl_or_b32 v2, v15, 7, v2
	s_delay_alu instid0(VALU_DEP_1)
	v_cvt_f32_f16_e32 v37, v2
.LBB373_2320:                           ;   in Loop: Header=BB373_2082 Depth=1
	s_or_b32 exec_lo, exec_lo, s22
.LBB373_2321:                           ;   in Loop: Header=BB373_2082 Depth=1
	s_delay_alu instid0(SALU_CYCLE_1)
	s_or_b32 exec_lo, exec_lo, s21
.LBB373_2322:                           ;   in Loop: Header=BB373_2082 Depth=1
	s_delay_alu instid0(SALU_CYCLE_1) | instskip(SKIP_2) | instid1(VALU_DEP_1)
	s_or_b32 exec_lo, exec_lo, s19
	v_lshrrev_b32_e32 v5, 16, v14
	s_mov_b32 s19, exec_lo
	v_and_b32_e32 v2, 0xff, v5
	s_delay_alu instid0(VALU_DEP_1)
	v_cmpx_ne_u16_e32 0, v2
	s_cbranch_execz .LBB373_2330
; %bb.2323:                             ;   in Loop: Header=BB373_2082 Depth=1
	v_bfrev_b32_e32 v36, 1
	s_mov_b32 s21, exec_lo
	v_cmpx_ne_u16_e32 0x80, v2
	s_cbranch_execz .LBB373_2329
; %bb.2324:                             ;   in Loop: Header=BB373_2082 Depth=1
	v_bfe_u32 v15, v14, 16, 7
	v_mov_b32_e32 v36, 0x7fc02000
	s_mov_b32 s22, exec_lo
	s_delay_alu instid0(VALU_DEP_2)
	v_cmpx_ne_u32_e32 0x7f, v15
	s_cbranch_execz .LBB373_2328
; %bb.2325:                             ;   in Loop: Header=BB373_2082 Depth=1
	v_and_b32_e32 v2, 7, v5
	v_lshrrev_b32_e32 v36, 3, v15
	v_cmp_gt_u32_e64 s8, 8, v15
	s_delay_alu instid0(VALU_DEP_3) | instskip(NEXT) | instid1(VALU_DEP_2)
	v_dual_mov_b32 v16, v3 :: v_dual_mov_b32 v15, v2
	s_and_saveexec_b32 s23, s8
; %bb.2326:                             ;   in Loop: Header=BB373_2082 Depth=1
	v_clz_i32_u32_e32 v15, v2
	s_delay_alu instid0(VALU_DEP_1) | instskip(NEXT) | instid1(VALU_DEP_1)
	v_min_u32_e32 v26, 32, v15
	v_subrev_nc_u32_e32 v15, 28, v26
	v_sub_nc_u32_e32 v36, 29, v26
	s_delay_alu instid0(VALU_DEP_2) | instskip(NEXT) | instid1(VALU_DEP_1)
	v_lshlrev_b64 v[15:16], v15, v[2:3]
	v_and_b32_e32 v15, 7, v15
; %bb.2327:                             ;   in Loop: Header=BB373_2082 Depth=1
	s_or_b32 exec_lo, exec_lo, s23
	v_lshlrev_b32_e32 v2, 8, v5
	v_lshl_add_u32 v5, v36, 10, 0x2000
	s_delay_alu instid0(VALU_DEP_1) | instskip(NEXT) | instid1(VALU_DEP_1)
	v_and_or_b32 v2, 0x8000, v2, v5
	v_lshl_or_b32 v2, v15, 7, v2
	s_delay_alu instid0(VALU_DEP_1)
	v_cvt_f32_f16_e32 v36, v2
.LBB373_2328:                           ;   in Loop: Header=BB373_2082 Depth=1
	s_or_b32 exec_lo, exec_lo, s22
.LBB373_2329:                           ;   in Loop: Header=BB373_2082 Depth=1
	s_delay_alu instid0(SALU_CYCLE_1)
	s_or_b32 exec_lo, exec_lo, s21
.LBB373_2330:                           ;   in Loop: Header=BB373_2082 Depth=1
	s_delay_alu instid0(SALU_CYCLE_1)
	s_or_b32 exec_lo, exec_lo, s19
	v_dual_mov_b32 v5, 0 :: v_dual_mov_b32 v2, 0
	s_mov_b32 s19, exec_lo
	v_cmpx_lt_u64_e64 s[12:13], v[13:14]
	s_cbranch_execz .LBB373_2338
; %bb.2331:                             ;   in Loop: Header=BB373_2082 Depth=1
	v_lshrrev_b32_e32 v15, 24, v14
	v_bfrev_b32_e32 v2, 1
	s_mov_b32 s21, exec_lo
	s_delay_alu instid0(VALU_DEP_2)
	v_cmpx_ne_u32_e32 0x80, v15
	s_cbranch_execz .LBB373_2337
; %bb.2332:                             ;   in Loop: Header=BB373_2082 Depth=1
	v_and_b32_e32 v13, 0x7f, v15
	v_mov_b32_e32 v2, 0x7fc02000
	s_mov_b32 s22, exec_lo
	s_delay_alu instid0(VALU_DEP_2)
	v_cmpx_ne_u32_e32 0x7f, v13
	s_cbranch_execz .LBB373_2336
; %bb.2333:                             ;   in Loop: Header=BB373_2082 Depth=1
	v_and_b32_e32 v2, 7, v15
	v_lshrrev_b32_e32 v16, 3, v13
	v_cmp_gt_u32_e64 s8, 8, v13
	s_delay_alu instid0(VALU_DEP_3) | instskip(NEXT) | instid1(VALU_DEP_2)
	v_dual_mov_b32 v14, v3 :: v_dual_mov_b32 v13, v2
	s_and_saveexec_b32 s23, s8
; %bb.2334:                             ;   in Loop: Header=BB373_2082 Depth=1
	v_clz_i32_u32_e32 v13, v2
	s_delay_alu instid0(VALU_DEP_1) | instskip(NEXT) | instid1(VALU_DEP_1)
	v_min_u32_e32 v16, 32, v13
	v_subrev_nc_u32_e32 v13, 28, v16
	v_sub_nc_u32_e32 v16, 29, v16
	s_delay_alu instid0(VALU_DEP_2) | instskip(NEXT) | instid1(VALU_DEP_1)
	v_lshlrev_b64 v[13:14], v13, v[2:3]
	v_and_b32_e32 v13, 7, v13
; %bb.2335:                             ;   in Loop: Header=BB373_2082 Depth=1
	s_or_b32 exec_lo, exec_lo, s23
	v_lshlrev_b32_e32 v2, 8, v15
	v_lshl_add_u32 v14, v16, 10, 0x2000
	s_delay_alu instid0(VALU_DEP_1) | instskip(NEXT) | instid1(VALU_DEP_1)
	v_and_or_b32 v2, 0x8000, v2, v14
	v_lshl_or_b32 v2, v13, 7, v2
	s_delay_alu instid0(VALU_DEP_1)
	v_cvt_f32_f16_e32 v2, v2
.LBB373_2336:                           ;   in Loop: Header=BB373_2082 Depth=1
	s_or_b32 exec_lo, exec_lo, s22
.LBB373_2337:                           ;   in Loop: Header=BB373_2082 Depth=1
	s_delay_alu instid0(SALU_CYCLE_1)
	s_or_b32 exec_lo, exec_lo, s21
.LBB373_2338:                           ;   in Loop: Header=BB373_2082 Depth=1
	s_delay_alu instid0(SALU_CYCLE_1)
	s_or_b32 exec_lo, exec_lo, s19
	s_waitcnt vmcnt(0) lgkmcnt(0)
	v_fma_mixlo_f16 v13, v6, v35, 0
	v_fma_mixlo_f16 v14, v6, v23, 0
	v_fma_mixlo_f16 v15, v6, v22, 0
	v_fma_mixlo_f16 v4, v6, v4, 0
	v_fma_mixlo_f16 v16, v6, v37, 0
	v_fma_mixlo_f16 v23, v6, v34, 0
	v_lshlrev_b32_e32 v22, 16, v13
	v_and_b32_e32 v26, 0xffff, v14
	v_lshlrev_b32_e32 v27, 16, v15
	v_and_b32_e32 v34, 0xffff, v4
	v_cndmask_b32_e32 v4, 0, v4, vcc_lo
	v_lshlrev_b32_e32 v35, 16, v16
	v_and_b32_e32 v37, 0xffff, v23
	v_fma_mixlo_f16 v2, v6, v2, 0
	v_fma_mixlo_f16 v6, v6, v36, 0
	v_cndmask_b32_e64 v15, 0, v15, s0
	v_or_b32_e32 v22, v22, v26
	v_or_b32_e32 v26, v27, v34
	;; [unrolled: 1-line block ×3, first 2 shown]
	v_lshlrev_b32_e32 v34, 16, v2
	v_and_b32_e32 v35, 0xffff, v6
	v_cndmask_b32_e64 v14, 0, v14, s2
	v_cndmask_b32_e64 v13, 0, v13, s4
	;; [unrolled: 1-line block ×6, first 2 shown]
	v_perm_b32 v4, v15, v4, 0x5040100
	v_or_b32_e32 v34, v34, v35
	v_perm_b32 v13, v13, v14, 0x5040100
	v_perm_b32 v14, v16, v23, 0x5040100
	;; [unrolled: 1-line block ×3, first 2 shown]
	v_cndmask_b32_e64 v4, v26, v4, s1
	;;#ASMSTART
	v_pk_mul_f16 v4, v130, v4;

	;;#ASMEND
	v_cndmask_b32_e64 v6, v22, v13, s1
	v_cndmask_b32_e64 v13, v27, v14, s1
	;; [unrolled: 1-line block ×3, first 2 shown]
	;;#ASMSTART
	v_pk_mul_f16 v6, v129, v6;

	;;#ASMEND
	;;#ASMSTART
	v_pk_mul_f16 v13, v128, v13;

	;;#ASMEND
	;; [unrolled: 4-line block ×3, first 2 shown]
	;;#ASMSTART
	v_pk_add_f16 v4, v4, v6;

	;;#ASMEND
	;;#ASMSTART
	v_pk_add_f16 v4, v4, v13;

	;;#ASMEND
	;; [unrolled: 4-line block ×3, first 2 shown]
	v_and_b32_e32 v4, 0xffff, v2
	v_lshrrev_b32_e32 v2, 16, v2
	;;#ASMSTART
	v_cvt_f32_f16 v146, v4;
	;;#ASMEND
	;;#ASMSTART
	v_cvt_f32_f16 v147, v2;
	;;#ASMEND
	flat_load_b64 v[13:14], v[11:12] offset:1024
	flat_load_b32 v6, v[121:122]
	s_mov_b32 s19, exec_lo
	s_waitcnt vmcnt(1) lgkmcnt(1)
	v_and_b32_e32 v2, 0xff, v13
	s_delay_alu instid0(VALU_DEP_1)
	v_cmpx_ne_u16_e32 0, v2
	s_cbranch_execz .LBB373_2346
; %bb.2339:                             ;   in Loop: Header=BB373_2082 Depth=1
	v_bfrev_b32_e32 v5, 1
	s_mov_b32 s21, exec_lo
	v_cmpx_ne_u16_e32 0x80, v2
	s_cbranch_execz .LBB373_2345
; %bb.2340:                             ;   in Loop: Header=BB373_2082 Depth=1
	v_and_b32_e32 v4, 0x7f, v13
	v_mov_b32_e32 v5, 0x7fc02000
	s_mov_b32 s22, exec_lo
	s_delay_alu instid0(VALU_DEP_2)
	v_cmpx_ne_u32_e32 0x7f, v4
	s_cbranch_execz .LBB373_2344
; %bb.2341:                             ;   in Loop: Header=BB373_2082 Depth=1
	v_lshrrev_b32_e32 v2, 3, v4
	v_dual_mov_b32 v16, v14 :: v_dual_mov_b32 v15, v13
	s_mov_b32 s23, exec_lo
	v_cmpx_gt_u32_e32 8, v4
; %bb.2342:                             ;   in Loop: Header=BB373_2082 Depth=1
	v_and_b32_e32 v2, 7, v13
	s_delay_alu instid0(VALU_DEP_1) | instskip(NEXT) | instid1(VALU_DEP_1)
	v_clz_i32_u32_e32 v2, v2
	v_min_u32_e32 v2, 32, v2
	s_delay_alu instid0(VALU_DEP_1) | instskip(SKIP_1) | instid1(VALU_DEP_2)
	v_subrev_nc_u32_e32 v4, 28, v2
	v_sub_nc_u32_e32 v2, 29, v2
	v_lshlrev_b64 v[15:16], v4, v[13:14]
; %bb.2343:                             ;   in Loop: Header=BB373_2082 Depth=1
	s_or_b32 exec_lo, exec_lo, s23
	v_lshlrev_b32_e32 v4, 8, v13
	s_delay_alu instid0(VALU_DEP_3) | instskip(NEXT) | instid1(VALU_DEP_3)
	v_lshl_add_u32 v2, v2, 10, 0x2000
	v_lshlrev_b32_e32 v5, 7, v15
	s_delay_alu instid0(VALU_DEP_2) | instskip(NEXT) | instid1(VALU_DEP_1)
	v_and_or_b32 v2, 0x8000, v4, v2
	v_and_or_b32 v2, 0x380, v5, v2
	s_delay_alu instid0(VALU_DEP_1)
	v_cvt_f32_f16_e32 v5, v2
.LBB373_2344:                           ;   in Loop: Header=BB373_2082 Depth=1
	s_or_b32 exec_lo, exec_lo, s22
.LBB373_2345:                           ;   in Loop: Header=BB373_2082 Depth=1
	s_delay_alu instid0(SALU_CYCLE_1)
	s_or_b32 exec_lo, exec_lo, s21
.LBB373_2346:                           ;   in Loop: Header=BB373_2082 Depth=1
	s_delay_alu instid0(SALU_CYCLE_1) | instskip(SKIP_3) | instid1(VALU_DEP_2)
	s_or_b32 exec_lo, exec_lo, s19
	v_lshrrev_b16 v2, 8, v13
	v_dual_mov_b32 v23, 0 :: v_dual_mov_b32 v22, 0
	s_mov_b32 s19, exec_lo
	v_cmpx_ne_u16_e32 0, v2
	s_cbranch_execz .LBB373_2354
; %bb.2347:                             ;   in Loop: Header=BB373_2082 Depth=1
	v_bfrev_b32_e32 v22, 1
	s_mov_b32 s21, exec_lo
	v_cmpx_ne_u16_e32 0x80, v2
	s_cbranch_execz .LBB373_2353
; %bb.2348:                             ;   in Loop: Header=BB373_2082 Depth=1
	v_and_b32_e32 v4, 0xffff, v2
	v_mov_b32_e32 v22, 0x7fc02000
	s_mov_b32 s22, exec_lo
	s_delay_alu instid0(VALU_DEP_2) | instskip(NEXT) | instid1(VALU_DEP_1)
	v_and_b32_e32 v15, 0x7f, v4
	v_cmpx_ne_u32_e32 0x7f, v15
	s_cbranch_execz .LBB373_2352
; %bb.2349:                             ;   in Loop: Header=BB373_2082 Depth=1
	v_and_b32_e32 v2, 7, v4
	v_lshrrev_b32_e32 v22, 3, v15
	v_cmp_gt_u32_e64 s8, 8, v15
	s_delay_alu instid0(VALU_DEP_3) | instskip(NEXT) | instid1(VALU_DEP_2)
	v_dual_mov_b32 v16, v3 :: v_dual_mov_b32 v15, v2
	s_and_saveexec_b32 s23, s8
; %bb.2350:                             ;   in Loop: Header=BB373_2082 Depth=1
	v_clz_i32_u32_e32 v15, v2
	s_delay_alu instid0(VALU_DEP_1) | instskip(NEXT) | instid1(VALU_DEP_1)
	v_min_u32_e32 v22, 32, v15
	v_subrev_nc_u32_e32 v15, 28, v22
	v_sub_nc_u32_e32 v22, 29, v22
	s_delay_alu instid0(VALU_DEP_2) | instskip(NEXT) | instid1(VALU_DEP_1)
	v_lshlrev_b64 v[15:16], v15, v[2:3]
	v_and_b32_e32 v15, 7, v15
; %bb.2351:                             ;   in Loop: Header=BB373_2082 Depth=1
	s_or_b32 exec_lo, exec_lo, s23
	v_lshlrev_b32_e32 v2, 8, v4
	v_lshl_add_u32 v4, v22, 10, 0x2000
	s_delay_alu instid0(VALU_DEP_1) | instskip(NEXT) | instid1(VALU_DEP_1)
	v_and_or_b32 v2, 0x8000, v2, v4
	v_lshl_or_b32 v2, v15, 7, v2
	s_delay_alu instid0(VALU_DEP_1)
	v_cvt_f32_f16_e32 v22, v2
.LBB373_2352:                           ;   in Loop: Header=BB373_2082 Depth=1
	s_or_b32 exec_lo, exec_lo, s22
.LBB373_2353:                           ;   in Loop: Header=BB373_2082 Depth=1
	s_delay_alu instid0(SALU_CYCLE_1)
	s_or_b32 exec_lo, exec_lo, s21
.LBB373_2354:                           ;   in Loop: Header=BB373_2082 Depth=1
	s_delay_alu instid0(SALU_CYCLE_1) | instskip(SKIP_2) | instid1(VALU_DEP_1)
	s_or_b32 exec_lo, exec_lo, s19
	v_lshrrev_b32_e32 v4, 16, v13
	s_mov_b32 s19, exec_lo
	v_and_b32_e32 v2, 0xff, v4
	s_delay_alu instid0(VALU_DEP_1)
	v_cmpx_ne_u16_e32 0, v2
	s_cbranch_execz .LBB373_2362
; %bb.2355:                             ;   in Loop: Header=BB373_2082 Depth=1
	v_bfrev_b32_e32 v23, 1
	s_mov_b32 s21, exec_lo
	v_cmpx_ne_u16_e32 0x80, v2
	s_cbranch_execz .LBB373_2361
; %bb.2356:                             ;   in Loop: Header=BB373_2082 Depth=1
	v_bfe_u32 v15, v13, 16, 7
	v_mov_b32_e32 v23, 0x7fc02000
	s_mov_b32 s22, exec_lo
	s_delay_alu instid0(VALU_DEP_2)
	v_cmpx_ne_u32_e32 0x7f, v15
	s_cbranch_execz .LBB373_2360
; %bb.2357:                             ;   in Loop: Header=BB373_2082 Depth=1
	v_and_b32_e32 v2, 7, v4
	v_lshrrev_b32_e32 v23, 3, v15
	v_cmp_gt_u32_e64 s8, 8, v15
	s_delay_alu instid0(VALU_DEP_3) | instskip(NEXT) | instid1(VALU_DEP_2)
	v_dual_mov_b32 v16, v3 :: v_dual_mov_b32 v15, v2
	s_and_saveexec_b32 s23, s8
; %bb.2358:                             ;   in Loop: Header=BB373_2082 Depth=1
	v_clz_i32_u32_e32 v15, v2
	s_delay_alu instid0(VALU_DEP_1) | instskip(NEXT) | instid1(VALU_DEP_1)
	v_min_u32_e32 v23, 32, v15
	v_subrev_nc_u32_e32 v15, 28, v23
	v_sub_nc_u32_e32 v23, 29, v23
	s_delay_alu instid0(VALU_DEP_2) | instskip(NEXT) | instid1(VALU_DEP_1)
	v_lshlrev_b64 v[15:16], v15, v[2:3]
	v_and_b32_e32 v15, 7, v15
; %bb.2359:                             ;   in Loop: Header=BB373_2082 Depth=1
	s_or_b32 exec_lo, exec_lo, s23
	v_lshlrev_b32_e32 v2, 8, v4
	v_lshl_add_u32 v4, v23, 10, 0x2000
	s_delay_alu instid0(VALU_DEP_1) | instskip(NEXT) | instid1(VALU_DEP_1)
	v_and_or_b32 v2, 0x8000, v2, v4
	v_lshl_or_b32 v2, v15, 7, v2
	s_delay_alu instid0(VALU_DEP_1)
	v_cvt_f32_f16_e32 v23, v2
.LBB373_2360:                           ;   in Loop: Header=BB373_2082 Depth=1
	s_or_b32 exec_lo, exec_lo, s22
.LBB373_2361:                           ;   in Loop: Header=BB373_2082 Depth=1
	s_delay_alu instid0(SALU_CYCLE_1)
	s_or_b32 exec_lo, exec_lo, s21
.LBB373_2362:                           ;   in Loop: Header=BB373_2082 Depth=1
	s_delay_alu instid0(SALU_CYCLE_1)
	s_or_b32 exec_lo, exec_lo, s19
	v_dual_mov_b32 v34, 0 :: v_dual_mov_b32 v35, 0
	s_mov_b32 s19, exec_lo
	v_cmpx_lt_u32_e32 0xffffff, v13
	s_cbranch_execz .LBB373_2370
; %bb.2363:                             ;   in Loop: Header=BB373_2082 Depth=1
	v_lshrrev_b32_e32 v4, 24, v13
	v_bfrev_b32_e32 v35, 1
	s_mov_b32 s21, exec_lo
	s_delay_alu instid0(VALU_DEP_2)
	v_cmpx_ne_u32_e32 0x80, v4
	s_cbranch_execz .LBB373_2369
; %bb.2364:                             ;   in Loop: Header=BB373_2082 Depth=1
	v_and_b32_e32 v15, 0x7f, v4
	v_mov_b32_e32 v35, 0x7fc02000
	s_mov_b32 s22, exec_lo
	s_delay_alu instid0(VALU_DEP_2)
	v_cmpx_ne_u32_e32 0x7f, v15
	s_cbranch_execz .LBB373_2368
; %bb.2365:                             ;   in Loop: Header=BB373_2082 Depth=1
	v_and_b32_e32 v2, 7, v4
	v_lshrrev_b32_e32 v35, 3, v15
	v_cmp_gt_u32_e64 s8, 8, v15
	s_delay_alu instid0(VALU_DEP_3) | instskip(NEXT) | instid1(VALU_DEP_2)
	v_dual_mov_b32 v16, v3 :: v_dual_mov_b32 v15, v2
	s_and_saveexec_b32 s23, s8
; %bb.2366:                             ;   in Loop: Header=BB373_2082 Depth=1
	v_clz_i32_u32_e32 v15, v2
	s_delay_alu instid0(VALU_DEP_1) | instskip(NEXT) | instid1(VALU_DEP_1)
	v_min_u32_e32 v26, 32, v15
	v_subrev_nc_u32_e32 v15, 28, v26
	v_sub_nc_u32_e32 v35, 29, v26
	s_delay_alu instid0(VALU_DEP_2) | instskip(NEXT) | instid1(VALU_DEP_1)
	v_lshlrev_b64 v[15:16], v15, v[2:3]
	v_and_b32_e32 v15, 7, v15
; %bb.2367:                             ;   in Loop: Header=BB373_2082 Depth=1
	s_or_b32 exec_lo, exec_lo, s23
	v_lshlrev_b32_e32 v2, 8, v4
	v_lshl_add_u32 v4, v35, 10, 0x2000
	s_delay_alu instid0(VALU_DEP_1) | instskip(NEXT) | instid1(VALU_DEP_1)
	v_and_or_b32 v2, 0x8000, v2, v4
	v_lshl_or_b32 v2, v15, 7, v2
	s_delay_alu instid0(VALU_DEP_1)
	v_cvt_f32_f16_e32 v35, v2
.LBB373_2368:                           ;   in Loop: Header=BB373_2082 Depth=1
	s_or_b32 exec_lo, exec_lo, s22
.LBB373_2369:                           ;   in Loop: Header=BB373_2082 Depth=1
	s_delay_alu instid0(SALU_CYCLE_1)
	s_or_b32 exec_lo, exec_lo, s21
.LBB373_2370:                           ;   in Loop: Header=BB373_2082 Depth=1
	s_delay_alu instid0(SALU_CYCLE_1) | instskip(SKIP_3) | instid1(VALU_DEP_2)
	s_or_b32 exec_lo, exec_lo, s19
	v_and_b32_e32 v4, 0xff, v14
	v_mov_b32_e32 v2, v14
	s_mov_b32 s19, exec_lo
	v_cmpx_ne_u16_e32 0, v4
	s_cbranch_execz .LBB373_2378
; %bb.2371:                             ;   in Loop: Header=BB373_2082 Depth=1
	v_bfrev_b32_e32 v34, 1
	s_mov_b32 s21, exec_lo
	v_cmpx_ne_u16_e32 0x80, v4
	s_cbranch_execz .LBB373_2377
; %bb.2372:                             ;   in Loop: Header=BB373_2082 Depth=1
	v_and_b32_e32 v15, 0x7f, v14
	v_mov_b32_e32 v34, 0x7fc02000
	s_mov_b32 s22, exec_lo
	s_delay_alu instid0(VALU_DEP_2)
	v_cmpx_ne_u32_e32 0x7f, v15
	s_cbranch_execz .LBB373_2376
; %bb.2373:                             ;   in Loop: Header=BB373_2082 Depth=1
	v_lshrrev_b32_e32 v4, 3, v15
	v_cmp_gt_u32_e64 s8, 8, v15
	v_dual_mov_b32 v16, v3 :: v_dual_mov_b32 v15, v2
	s_delay_alu instid0(VALU_DEP_2)
	s_and_saveexec_b32 s23, s8
; %bb.2374:                             ;   in Loop: Header=BB373_2082 Depth=1
	v_and_b32_e32 v4, 7, v14
	s_delay_alu instid0(VALU_DEP_1) | instskip(NEXT) | instid1(VALU_DEP_1)
	v_clz_i32_u32_e32 v4, v4
	v_min_u32_e32 v4, 32, v4
	s_delay_alu instid0(VALU_DEP_1) | instskip(SKIP_1) | instid1(VALU_DEP_2)
	v_subrev_nc_u32_e32 v15, 28, v4
	v_sub_nc_u32_e32 v4, 29, v4
	v_lshlrev_b64 v[15:16], v15, v[2:3]
; %bb.2375:                             ;   in Loop: Header=BB373_2082 Depth=1
	s_or_b32 exec_lo, exec_lo, s23
	v_lshlrev_b32_e32 v16, 8, v14
	s_delay_alu instid0(VALU_DEP_3) | instskip(NEXT) | instid1(VALU_DEP_3)
	v_lshl_add_u32 v4, v4, 10, 0x2000
	v_lshlrev_b32_e32 v15, 7, v15
	s_delay_alu instid0(VALU_DEP_2) | instskip(NEXT) | instid1(VALU_DEP_1)
	v_and_or_b32 v4, 0x8000, v16, v4
	v_and_or_b32 v4, 0x380, v15, v4
	s_delay_alu instid0(VALU_DEP_1)
	v_cvt_f32_f16_e32 v34, v4
.LBB373_2376:                           ;   in Loop: Header=BB373_2082 Depth=1
	s_or_b32 exec_lo, exec_lo, s22
.LBB373_2377:                           ;   in Loop: Header=BB373_2082 Depth=1
	s_delay_alu instid0(SALU_CYCLE_1)
	s_or_b32 exec_lo, exec_lo, s21
.LBB373_2378:                           ;   in Loop: Header=BB373_2082 Depth=1
	s_delay_alu instid0(SALU_CYCLE_1) | instskip(SKIP_3) | instid1(VALU_DEP_2)
	s_or_b32 exec_lo, exec_lo, s19
	v_lshrrev_b16 v2, 8, v2
	v_dual_mov_b32 v36, 0 :: v_dual_mov_b32 v37, 0
	s_mov_b32 s19, exec_lo
	v_cmpx_ne_u16_e32 0, v2
	s_cbranch_execz .LBB373_2386
; %bb.2379:                             ;   in Loop: Header=BB373_2082 Depth=1
	v_bfrev_b32_e32 v37, 1
	s_mov_b32 s21, exec_lo
	v_cmpx_ne_u16_e32 0x80, v2
	s_cbranch_execz .LBB373_2385
; %bb.2380:                             ;   in Loop: Header=BB373_2082 Depth=1
	v_and_b32_e32 v4, 0xffff, v2
	v_mov_b32_e32 v37, 0x7fc02000
	s_mov_b32 s22, exec_lo
	s_delay_alu instid0(VALU_DEP_2) | instskip(NEXT) | instid1(VALU_DEP_1)
	v_and_b32_e32 v15, 0x7f, v4
	v_cmpx_ne_u32_e32 0x7f, v15
	s_cbranch_execz .LBB373_2384
; %bb.2381:                             ;   in Loop: Header=BB373_2082 Depth=1
	v_and_b32_e32 v2, 7, v4
	v_lshrrev_b32_e32 v37, 3, v15
	v_cmp_gt_u32_e64 s8, 8, v15
	s_delay_alu instid0(VALU_DEP_3) | instskip(NEXT) | instid1(VALU_DEP_2)
	v_dual_mov_b32 v16, v3 :: v_dual_mov_b32 v15, v2
	s_and_saveexec_b32 s23, s8
; %bb.2382:                             ;   in Loop: Header=BB373_2082 Depth=1
	v_clz_i32_u32_e32 v15, v2
	s_delay_alu instid0(VALU_DEP_1) | instskip(NEXT) | instid1(VALU_DEP_1)
	v_min_u32_e32 v26, 32, v15
	v_subrev_nc_u32_e32 v15, 28, v26
	v_sub_nc_u32_e32 v37, 29, v26
	s_delay_alu instid0(VALU_DEP_2) | instskip(NEXT) | instid1(VALU_DEP_1)
	v_lshlrev_b64 v[15:16], v15, v[2:3]
	v_and_b32_e32 v15, 7, v15
; %bb.2383:                             ;   in Loop: Header=BB373_2082 Depth=1
	s_or_b32 exec_lo, exec_lo, s23
	v_lshlrev_b32_e32 v2, 8, v4
	v_lshl_add_u32 v4, v37, 10, 0x2000
	s_delay_alu instid0(VALU_DEP_1) | instskip(NEXT) | instid1(VALU_DEP_1)
	v_and_or_b32 v2, 0x8000, v2, v4
	v_lshl_or_b32 v2, v15, 7, v2
	s_delay_alu instid0(VALU_DEP_1)
	v_cvt_f32_f16_e32 v37, v2
.LBB373_2384:                           ;   in Loop: Header=BB373_2082 Depth=1
	s_or_b32 exec_lo, exec_lo, s22
.LBB373_2385:                           ;   in Loop: Header=BB373_2082 Depth=1
	s_delay_alu instid0(SALU_CYCLE_1)
	s_or_b32 exec_lo, exec_lo, s21
.LBB373_2386:                           ;   in Loop: Header=BB373_2082 Depth=1
	s_delay_alu instid0(SALU_CYCLE_1) | instskip(SKIP_2) | instid1(VALU_DEP_1)
	s_or_b32 exec_lo, exec_lo, s19
	v_lshrrev_b32_e32 v4, 16, v14
	s_mov_b32 s19, exec_lo
	v_and_b32_e32 v2, 0xff, v4
	s_delay_alu instid0(VALU_DEP_1)
	v_cmpx_ne_u16_e32 0, v2
	s_cbranch_execz .LBB373_2394
; %bb.2387:                             ;   in Loop: Header=BB373_2082 Depth=1
	v_bfrev_b32_e32 v36, 1
	s_mov_b32 s21, exec_lo
	v_cmpx_ne_u16_e32 0x80, v2
	s_cbranch_execz .LBB373_2393
; %bb.2388:                             ;   in Loop: Header=BB373_2082 Depth=1
	v_bfe_u32 v15, v14, 16, 7
	v_mov_b32_e32 v36, 0x7fc02000
	s_mov_b32 s22, exec_lo
	s_delay_alu instid0(VALU_DEP_2)
	v_cmpx_ne_u32_e32 0x7f, v15
	s_cbranch_execz .LBB373_2392
; %bb.2389:                             ;   in Loop: Header=BB373_2082 Depth=1
	v_and_b32_e32 v2, 7, v4
	v_lshrrev_b32_e32 v36, 3, v15
	v_cmp_gt_u32_e64 s8, 8, v15
	s_delay_alu instid0(VALU_DEP_3) | instskip(NEXT) | instid1(VALU_DEP_2)
	v_dual_mov_b32 v16, v3 :: v_dual_mov_b32 v15, v2
	s_and_saveexec_b32 s23, s8
; %bb.2390:                             ;   in Loop: Header=BB373_2082 Depth=1
	v_clz_i32_u32_e32 v15, v2
	s_delay_alu instid0(VALU_DEP_1) | instskip(NEXT) | instid1(VALU_DEP_1)
	v_min_u32_e32 v26, 32, v15
	v_subrev_nc_u32_e32 v15, 28, v26
	v_sub_nc_u32_e32 v36, 29, v26
	s_delay_alu instid0(VALU_DEP_2) | instskip(NEXT) | instid1(VALU_DEP_1)
	v_lshlrev_b64 v[15:16], v15, v[2:3]
	v_and_b32_e32 v15, 7, v15
; %bb.2391:                             ;   in Loop: Header=BB373_2082 Depth=1
	s_or_b32 exec_lo, exec_lo, s23
	v_lshlrev_b32_e32 v2, 8, v4
	v_lshl_add_u32 v4, v36, 10, 0x2000
	s_delay_alu instid0(VALU_DEP_1) | instskip(NEXT) | instid1(VALU_DEP_1)
	v_and_or_b32 v2, 0x8000, v2, v4
	v_lshl_or_b32 v2, v15, 7, v2
	s_delay_alu instid0(VALU_DEP_1)
	v_cvt_f32_f16_e32 v36, v2
.LBB373_2392:                           ;   in Loop: Header=BB373_2082 Depth=1
	s_or_b32 exec_lo, exec_lo, s22
.LBB373_2393:                           ;   in Loop: Header=BB373_2082 Depth=1
	s_delay_alu instid0(SALU_CYCLE_1)
	s_or_b32 exec_lo, exec_lo, s21
.LBB373_2394:                           ;   in Loop: Header=BB373_2082 Depth=1
	s_delay_alu instid0(SALU_CYCLE_1)
	s_or_b32 exec_lo, exec_lo, s19
	v_mov_b32_e32 v4, 0
	v_mov_b32_e32 v2, 0
	s_mov_b32 s19, exec_lo
	v_cmpx_lt_u64_e64 s[12:13], v[13:14]
	s_cbranch_execz .LBB373_2402
; %bb.2395:                             ;   in Loop: Header=BB373_2082 Depth=1
	v_lshrrev_b32_e32 v15, 24, v14
	v_bfrev_b32_e32 v2, 1
	s_mov_b32 s21, exec_lo
	s_delay_alu instid0(VALU_DEP_2)
	v_cmpx_ne_u32_e32 0x80, v15
	s_cbranch_execz .LBB373_2401
; %bb.2396:                             ;   in Loop: Header=BB373_2082 Depth=1
	v_and_b32_e32 v13, 0x7f, v15
	v_mov_b32_e32 v2, 0x7fc02000
	s_mov_b32 s22, exec_lo
	s_delay_alu instid0(VALU_DEP_2)
	v_cmpx_ne_u32_e32 0x7f, v13
	s_cbranch_execz .LBB373_2400
; %bb.2397:                             ;   in Loop: Header=BB373_2082 Depth=1
	v_and_b32_e32 v2, 7, v15
	v_lshrrev_b32_e32 v16, 3, v13
	v_cmp_gt_u32_e64 s8, 8, v13
	s_delay_alu instid0(VALU_DEP_3) | instskip(NEXT) | instid1(VALU_DEP_2)
	v_dual_mov_b32 v14, v3 :: v_dual_mov_b32 v13, v2
	s_and_saveexec_b32 s23, s8
; %bb.2398:                             ;   in Loop: Header=BB373_2082 Depth=1
	v_clz_i32_u32_e32 v13, v2
	s_delay_alu instid0(VALU_DEP_1) | instskip(NEXT) | instid1(VALU_DEP_1)
	v_min_u32_e32 v16, 32, v13
	v_subrev_nc_u32_e32 v13, 28, v16
	v_sub_nc_u32_e32 v16, 29, v16
	s_delay_alu instid0(VALU_DEP_2) | instskip(NEXT) | instid1(VALU_DEP_1)
	v_lshlrev_b64 v[13:14], v13, v[2:3]
	v_and_b32_e32 v13, 7, v13
; %bb.2399:                             ;   in Loop: Header=BB373_2082 Depth=1
	s_or_b32 exec_lo, exec_lo, s23
	v_lshlrev_b32_e32 v2, 8, v15
	v_lshl_add_u32 v14, v16, 10, 0x2000
	s_delay_alu instid0(VALU_DEP_1) | instskip(NEXT) | instid1(VALU_DEP_1)
	v_and_or_b32 v2, 0x8000, v2, v14
	v_lshl_or_b32 v2, v13, 7, v2
	s_delay_alu instid0(VALU_DEP_1)
	v_cvt_f32_f16_e32 v2, v2
.LBB373_2400:                           ;   in Loop: Header=BB373_2082 Depth=1
	s_or_b32 exec_lo, exec_lo, s22
.LBB373_2401:                           ;   in Loop: Header=BB373_2082 Depth=1
	s_delay_alu instid0(SALU_CYCLE_1)
	s_or_b32 exec_lo, exec_lo, s21
.LBB373_2402:                           ;   in Loop: Header=BB373_2082 Depth=1
	s_delay_alu instid0(SALU_CYCLE_1)
	s_or_b32 exec_lo, exec_lo, s19
	s_waitcnt vmcnt(0) lgkmcnt(0)
	v_fma_mixlo_f16 v13, v6, v35, 0
	v_fma_mixlo_f16 v14, v6, v23, 0
	v_fma_mixlo_f16 v15, v6, v22, 0
	v_fma_mixlo_f16 v5, v6, v5, 0
	v_fma_mixlo_f16 v16, v6, v37, 0
	v_fma_mixlo_f16 v23, v6, v34, 0
	v_lshlrev_b32_e32 v22, 16, v13
	v_and_b32_e32 v26, 0xffff, v14
	v_lshlrev_b32_e32 v27, 16, v15
	v_and_b32_e32 v34, 0xffff, v5
	v_cndmask_b32_e32 v5, 0, v5, vcc_lo
	v_lshlrev_b32_e32 v35, 16, v16
	v_and_b32_e32 v37, 0xffff, v23
	v_fma_mixlo_f16 v2, v6, v2, 0
	v_fma_mixlo_f16 v6, v6, v36, 0
	v_cndmask_b32_e64 v15, 0, v15, s0
	v_or_b32_e32 v22, v22, v26
	v_or_b32_e32 v26, v27, v34
	v_or_b32_e32 v27, v35, v37
	v_lshlrev_b32_e32 v34, 16, v2
	v_and_b32_e32 v35, 0xffff, v6
	v_cndmask_b32_e64 v14, 0, v14, s2
	v_cndmask_b32_e64 v13, 0, v13, s4
	;; [unrolled: 1-line block ×6, first 2 shown]
	v_perm_b32 v5, v15, v5, 0x5040100
	v_or_b32_e32 v34, v34, v35
	v_perm_b32 v13, v13, v14, 0x5040100
	v_perm_b32 v14, v16, v23, 0x5040100
	;; [unrolled: 1-line block ×3, first 2 shown]
	v_cndmask_b32_e64 v5, v26, v5, s1
	;;#ASMSTART
	v_pk_mul_f16 v5, v130, v5;

	;;#ASMEND
	v_cndmask_b32_e64 v6, v22, v13, s1
	v_cndmask_b32_e64 v13, v27, v14, s1
	;; [unrolled: 1-line block ×3, first 2 shown]
	;;#ASMSTART
	v_pk_mul_f16 v6, v129, v6;

	;;#ASMEND
	;;#ASMSTART
	v_pk_mul_f16 v13, v128, v13;

	;;#ASMEND
	;; [unrolled: 4-line block ×3, first 2 shown]
	;;#ASMSTART
	v_pk_add_f16 v5, v5, v6;

	;;#ASMEND
	;;#ASMSTART
	v_pk_add_f16 v5, v5, v13;

	;;#ASMEND
	;; [unrolled: 4-line block ×3, first 2 shown]
	v_and_b32_e32 v5, 0xffff, v2
	v_lshrrev_b32_e32 v2, 16, v2
	;;#ASMSTART
	v_cvt_f32_f16 v148, v5;
	;;#ASMEND
	;;#ASMSTART
	v_cvt_f32_f16 v149, v2;
	;;#ASMEND
	flat_load_b64 v[13:14], v[11:12] offset:1280
	flat_load_b32 v6, v[121:122]
	s_mov_b32 s19, exec_lo
	s_waitcnt vmcnt(1) lgkmcnt(1)
	v_and_b32_e32 v2, 0xff, v13
	s_delay_alu instid0(VALU_DEP_1)
	v_cmpx_ne_u16_e32 0, v2
	s_cbranch_execz .LBB373_2410
; %bb.2403:                             ;   in Loop: Header=BB373_2082 Depth=1
	v_bfrev_b32_e32 v4, 1
	s_mov_b32 s21, exec_lo
	v_cmpx_ne_u16_e32 0x80, v2
	s_cbranch_execz .LBB373_2409
; %bb.2404:                             ;   in Loop: Header=BB373_2082 Depth=1
	v_and_b32_e32 v5, 0x7f, v13
	v_mov_b32_e32 v4, 0x7fc02000
	s_mov_b32 s22, exec_lo
	s_delay_alu instid0(VALU_DEP_2)
	v_cmpx_ne_u32_e32 0x7f, v5
	s_cbranch_execz .LBB373_2408
; %bb.2405:                             ;   in Loop: Header=BB373_2082 Depth=1
	v_lshrrev_b32_e32 v2, 3, v5
	v_dual_mov_b32 v16, v14 :: v_dual_mov_b32 v15, v13
	s_mov_b32 s23, exec_lo
	v_cmpx_gt_u32_e32 8, v5
; %bb.2406:                             ;   in Loop: Header=BB373_2082 Depth=1
	v_and_b32_e32 v2, 7, v13
	s_delay_alu instid0(VALU_DEP_1) | instskip(NEXT) | instid1(VALU_DEP_1)
	v_clz_i32_u32_e32 v2, v2
	v_min_u32_e32 v2, 32, v2
	s_delay_alu instid0(VALU_DEP_1) | instskip(SKIP_1) | instid1(VALU_DEP_2)
	v_subrev_nc_u32_e32 v4, 28, v2
	v_sub_nc_u32_e32 v2, 29, v2
	v_lshlrev_b64 v[15:16], v4, v[13:14]
; %bb.2407:                             ;   in Loop: Header=BB373_2082 Depth=1
	s_or_b32 exec_lo, exec_lo, s23
	v_lshlrev_b32_e32 v4, 8, v13
	s_delay_alu instid0(VALU_DEP_3) | instskip(NEXT) | instid1(VALU_DEP_3)
	v_lshl_add_u32 v2, v2, 10, 0x2000
	v_lshlrev_b32_e32 v5, 7, v15
	s_delay_alu instid0(VALU_DEP_2) | instskip(NEXT) | instid1(VALU_DEP_1)
	v_and_or_b32 v2, 0x8000, v4, v2
	v_and_or_b32 v2, 0x380, v5, v2
	s_delay_alu instid0(VALU_DEP_1)
	v_cvt_f32_f16_e32 v4, v2
.LBB373_2408:                           ;   in Loop: Header=BB373_2082 Depth=1
	s_or_b32 exec_lo, exec_lo, s22
.LBB373_2409:                           ;   in Loop: Header=BB373_2082 Depth=1
	s_delay_alu instid0(SALU_CYCLE_1)
	s_or_b32 exec_lo, exec_lo, s21
.LBB373_2410:                           ;   in Loop: Header=BB373_2082 Depth=1
	s_delay_alu instid0(SALU_CYCLE_1) | instskip(SKIP_3) | instid1(VALU_DEP_2)
	s_or_b32 exec_lo, exec_lo, s19
	v_lshrrev_b16 v2, 8, v13
	v_dual_mov_b32 v23, 0 :: v_dual_mov_b32 v22, 0
	s_mov_b32 s19, exec_lo
	v_cmpx_ne_u16_e32 0, v2
	s_cbranch_execz .LBB373_2418
; %bb.2411:                             ;   in Loop: Header=BB373_2082 Depth=1
	v_bfrev_b32_e32 v22, 1
	s_mov_b32 s21, exec_lo
	v_cmpx_ne_u16_e32 0x80, v2
	s_cbranch_execz .LBB373_2417
; %bb.2412:                             ;   in Loop: Header=BB373_2082 Depth=1
	v_and_b32_e32 v5, 0xffff, v2
	v_mov_b32_e32 v22, 0x7fc02000
	s_mov_b32 s22, exec_lo
	s_delay_alu instid0(VALU_DEP_2) | instskip(NEXT) | instid1(VALU_DEP_1)
	v_and_b32_e32 v15, 0x7f, v5
	v_cmpx_ne_u32_e32 0x7f, v15
	s_cbranch_execz .LBB373_2416
; %bb.2413:                             ;   in Loop: Header=BB373_2082 Depth=1
	v_and_b32_e32 v2, 7, v5
	v_lshrrev_b32_e32 v22, 3, v15
	v_cmp_gt_u32_e64 s8, 8, v15
	s_delay_alu instid0(VALU_DEP_3) | instskip(NEXT) | instid1(VALU_DEP_2)
	v_dual_mov_b32 v16, v3 :: v_dual_mov_b32 v15, v2
	s_and_saveexec_b32 s23, s8
; %bb.2414:                             ;   in Loop: Header=BB373_2082 Depth=1
	v_clz_i32_u32_e32 v15, v2
	s_delay_alu instid0(VALU_DEP_1) | instskip(NEXT) | instid1(VALU_DEP_1)
	v_min_u32_e32 v22, 32, v15
	v_subrev_nc_u32_e32 v15, 28, v22
	v_sub_nc_u32_e32 v22, 29, v22
	s_delay_alu instid0(VALU_DEP_2) | instskip(NEXT) | instid1(VALU_DEP_1)
	v_lshlrev_b64 v[15:16], v15, v[2:3]
	v_and_b32_e32 v15, 7, v15
; %bb.2415:                             ;   in Loop: Header=BB373_2082 Depth=1
	s_or_b32 exec_lo, exec_lo, s23
	v_lshlrev_b32_e32 v2, 8, v5
	v_lshl_add_u32 v5, v22, 10, 0x2000
	s_delay_alu instid0(VALU_DEP_1) | instskip(NEXT) | instid1(VALU_DEP_1)
	v_and_or_b32 v2, 0x8000, v2, v5
	v_lshl_or_b32 v2, v15, 7, v2
	s_delay_alu instid0(VALU_DEP_1)
	v_cvt_f32_f16_e32 v22, v2
.LBB373_2416:                           ;   in Loop: Header=BB373_2082 Depth=1
	s_or_b32 exec_lo, exec_lo, s22
.LBB373_2417:                           ;   in Loop: Header=BB373_2082 Depth=1
	s_delay_alu instid0(SALU_CYCLE_1)
	s_or_b32 exec_lo, exec_lo, s21
.LBB373_2418:                           ;   in Loop: Header=BB373_2082 Depth=1
	s_delay_alu instid0(SALU_CYCLE_1) | instskip(SKIP_2) | instid1(VALU_DEP_1)
	s_or_b32 exec_lo, exec_lo, s19
	v_lshrrev_b32_e32 v5, 16, v13
	s_mov_b32 s19, exec_lo
	v_and_b32_e32 v2, 0xff, v5
	s_delay_alu instid0(VALU_DEP_1)
	v_cmpx_ne_u16_e32 0, v2
	s_cbranch_execz .LBB373_2426
; %bb.2419:                             ;   in Loop: Header=BB373_2082 Depth=1
	v_bfrev_b32_e32 v23, 1
	s_mov_b32 s21, exec_lo
	v_cmpx_ne_u16_e32 0x80, v2
	s_cbranch_execz .LBB373_2425
; %bb.2420:                             ;   in Loop: Header=BB373_2082 Depth=1
	v_bfe_u32 v15, v13, 16, 7
	v_mov_b32_e32 v23, 0x7fc02000
	s_mov_b32 s22, exec_lo
	s_delay_alu instid0(VALU_DEP_2)
	v_cmpx_ne_u32_e32 0x7f, v15
	s_cbranch_execz .LBB373_2424
; %bb.2421:                             ;   in Loop: Header=BB373_2082 Depth=1
	v_and_b32_e32 v2, 7, v5
	v_lshrrev_b32_e32 v23, 3, v15
	v_cmp_gt_u32_e64 s8, 8, v15
	s_delay_alu instid0(VALU_DEP_3) | instskip(NEXT) | instid1(VALU_DEP_2)
	v_dual_mov_b32 v16, v3 :: v_dual_mov_b32 v15, v2
	s_and_saveexec_b32 s23, s8
; %bb.2422:                             ;   in Loop: Header=BB373_2082 Depth=1
	v_clz_i32_u32_e32 v15, v2
	s_delay_alu instid0(VALU_DEP_1) | instskip(NEXT) | instid1(VALU_DEP_1)
	v_min_u32_e32 v23, 32, v15
	v_subrev_nc_u32_e32 v15, 28, v23
	v_sub_nc_u32_e32 v23, 29, v23
	s_delay_alu instid0(VALU_DEP_2) | instskip(NEXT) | instid1(VALU_DEP_1)
	v_lshlrev_b64 v[15:16], v15, v[2:3]
	v_and_b32_e32 v15, 7, v15
; %bb.2423:                             ;   in Loop: Header=BB373_2082 Depth=1
	s_or_b32 exec_lo, exec_lo, s23
	v_lshlrev_b32_e32 v2, 8, v5
	v_lshl_add_u32 v5, v23, 10, 0x2000
	s_delay_alu instid0(VALU_DEP_1) | instskip(NEXT) | instid1(VALU_DEP_1)
	v_and_or_b32 v2, 0x8000, v2, v5
	v_lshl_or_b32 v2, v15, 7, v2
	s_delay_alu instid0(VALU_DEP_1)
	v_cvt_f32_f16_e32 v23, v2
.LBB373_2424:                           ;   in Loop: Header=BB373_2082 Depth=1
	s_or_b32 exec_lo, exec_lo, s22
.LBB373_2425:                           ;   in Loop: Header=BB373_2082 Depth=1
	s_delay_alu instid0(SALU_CYCLE_1)
	s_or_b32 exec_lo, exec_lo, s21
.LBB373_2426:                           ;   in Loop: Header=BB373_2082 Depth=1
	s_delay_alu instid0(SALU_CYCLE_1)
	s_or_b32 exec_lo, exec_lo, s19
	v_dual_mov_b32 v34, 0 :: v_dual_mov_b32 v35, 0
	s_mov_b32 s19, exec_lo
	v_cmpx_lt_u32_e32 0xffffff, v13
	s_cbranch_execz .LBB373_2434
; %bb.2427:                             ;   in Loop: Header=BB373_2082 Depth=1
	v_lshrrev_b32_e32 v5, 24, v13
	v_bfrev_b32_e32 v35, 1
	s_mov_b32 s21, exec_lo
	s_delay_alu instid0(VALU_DEP_2)
	v_cmpx_ne_u32_e32 0x80, v5
	s_cbranch_execz .LBB373_2433
; %bb.2428:                             ;   in Loop: Header=BB373_2082 Depth=1
	v_and_b32_e32 v15, 0x7f, v5
	v_mov_b32_e32 v35, 0x7fc02000
	s_mov_b32 s22, exec_lo
	s_delay_alu instid0(VALU_DEP_2)
	v_cmpx_ne_u32_e32 0x7f, v15
	s_cbranch_execz .LBB373_2432
; %bb.2429:                             ;   in Loop: Header=BB373_2082 Depth=1
	v_and_b32_e32 v2, 7, v5
	v_lshrrev_b32_e32 v35, 3, v15
	v_cmp_gt_u32_e64 s8, 8, v15
	s_delay_alu instid0(VALU_DEP_3) | instskip(NEXT) | instid1(VALU_DEP_2)
	v_dual_mov_b32 v16, v3 :: v_dual_mov_b32 v15, v2
	s_and_saveexec_b32 s23, s8
; %bb.2430:                             ;   in Loop: Header=BB373_2082 Depth=1
	v_clz_i32_u32_e32 v15, v2
	s_delay_alu instid0(VALU_DEP_1) | instskip(NEXT) | instid1(VALU_DEP_1)
	v_min_u32_e32 v26, 32, v15
	v_subrev_nc_u32_e32 v15, 28, v26
	v_sub_nc_u32_e32 v35, 29, v26
	s_delay_alu instid0(VALU_DEP_2) | instskip(NEXT) | instid1(VALU_DEP_1)
	v_lshlrev_b64 v[15:16], v15, v[2:3]
	v_and_b32_e32 v15, 7, v15
; %bb.2431:                             ;   in Loop: Header=BB373_2082 Depth=1
	s_or_b32 exec_lo, exec_lo, s23
	v_lshlrev_b32_e32 v2, 8, v5
	v_lshl_add_u32 v5, v35, 10, 0x2000
	s_delay_alu instid0(VALU_DEP_1) | instskip(NEXT) | instid1(VALU_DEP_1)
	v_and_or_b32 v2, 0x8000, v2, v5
	v_lshl_or_b32 v2, v15, 7, v2
	s_delay_alu instid0(VALU_DEP_1)
	v_cvt_f32_f16_e32 v35, v2
.LBB373_2432:                           ;   in Loop: Header=BB373_2082 Depth=1
	s_or_b32 exec_lo, exec_lo, s22
.LBB373_2433:                           ;   in Loop: Header=BB373_2082 Depth=1
	s_delay_alu instid0(SALU_CYCLE_1)
	s_or_b32 exec_lo, exec_lo, s21
.LBB373_2434:                           ;   in Loop: Header=BB373_2082 Depth=1
	s_delay_alu instid0(SALU_CYCLE_1) | instskip(SKIP_2) | instid1(VALU_DEP_1)
	s_or_b32 exec_lo, exec_lo, s19
	v_dual_mov_b32 v2, v14 :: v_dual_and_b32 v5, 0xff, v14
	s_mov_b32 s19, exec_lo
	v_cmpx_ne_u16_e32 0, v5
	s_cbranch_execz .LBB373_2442
; %bb.2435:                             ;   in Loop: Header=BB373_2082 Depth=1
	v_bfrev_b32_e32 v34, 1
	s_mov_b32 s21, exec_lo
	v_cmpx_ne_u16_e32 0x80, v5
	s_cbranch_execz .LBB373_2441
; %bb.2436:                             ;   in Loop: Header=BB373_2082 Depth=1
	v_and_b32_e32 v15, 0x7f, v14
	v_mov_b32_e32 v34, 0x7fc02000
	s_mov_b32 s22, exec_lo
	s_delay_alu instid0(VALU_DEP_2)
	v_cmpx_ne_u32_e32 0x7f, v15
	s_cbranch_execz .LBB373_2440
; %bb.2437:                             ;   in Loop: Header=BB373_2082 Depth=1
	v_lshrrev_b32_e32 v5, 3, v15
	v_cmp_gt_u32_e64 s8, 8, v15
	v_dual_mov_b32 v16, v3 :: v_dual_mov_b32 v15, v2
	s_delay_alu instid0(VALU_DEP_2)
	s_and_saveexec_b32 s23, s8
; %bb.2438:                             ;   in Loop: Header=BB373_2082 Depth=1
	v_and_b32_e32 v5, 7, v14
	s_delay_alu instid0(VALU_DEP_1) | instskip(NEXT) | instid1(VALU_DEP_1)
	v_clz_i32_u32_e32 v5, v5
	v_min_u32_e32 v5, 32, v5
	s_delay_alu instid0(VALU_DEP_1) | instskip(SKIP_1) | instid1(VALU_DEP_2)
	v_subrev_nc_u32_e32 v15, 28, v5
	v_sub_nc_u32_e32 v5, 29, v5
	v_lshlrev_b64 v[15:16], v15, v[2:3]
; %bb.2439:                             ;   in Loop: Header=BB373_2082 Depth=1
	s_or_b32 exec_lo, exec_lo, s23
	v_lshlrev_b32_e32 v16, 8, v14
	s_delay_alu instid0(VALU_DEP_3) | instskip(NEXT) | instid1(VALU_DEP_3)
	v_lshl_add_u32 v5, v5, 10, 0x2000
	v_lshlrev_b32_e32 v15, 7, v15
	s_delay_alu instid0(VALU_DEP_2) | instskip(NEXT) | instid1(VALU_DEP_1)
	v_and_or_b32 v5, 0x8000, v16, v5
	v_and_or_b32 v5, 0x380, v15, v5
	s_delay_alu instid0(VALU_DEP_1)
	v_cvt_f32_f16_e32 v34, v5
.LBB373_2440:                           ;   in Loop: Header=BB373_2082 Depth=1
	s_or_b32 exec_lo, exec_lo, s22
.LBB373_2441:                           ;   in Loop: Header=BB373_2082 Depth=1
	s_delay_alu instid0(SALU_CYCLE_1)
	s_or_b32 exec_lo, exec_lo, s21
.LBB373_2442:                           ;   in Loop: Header=BB373_2082 Depth=1
	s_delay_alu instid0(SALU_CYCLE_1) | instskip(SKIP_3) | instid1(VALU_DEP_2)
	s_or_b32 exec_lo, exec_lo, s19
	v_lshrrev_b16 v2, 8, v2
	v_dual_mov_b32 v36, 0 :: v_dual_mov_b32 v37, 0
	s_mov_b32 s19, exec_lo
	v_cmpx_ne_u16_e32 0, v2
	s_cbranch_execz .LBB373_2450
; %bb.2443:                             ;   in Loop: Header=BB373_2082 Depth=1
	v_bfrev_b32_e32 v37, 1
	s_mov_b32 s21, exec_lo
	v_cmpx_ne_u16_e32 0x80, v2
	s_cbranch_execz .LBB373_2449
; %bb.2444:                             ;   in Loop: Header=BB373_2082 Depth=1
	v_and_b32_e32 v5, 0xffff, v2
	v_mov_b32_e32 v37, 0x7fc02000
	s_mov_b32 s22, exec_lo
	s_delay_alu instid0(VALU_DEP_2) | instskip(NEXT) | instid1(VALU_DEP_1)
	v_and_b32_e32 v15, 0x7f, v5
	v_cmpx_ne_u32_e32 0x7f, v15
	s_cbranch_execz .LBB373_2448
; %bb.2445:                             ;   in Loop: Header=BB373_2082 Depth=1
	v_and_b32_e32 v2, 7, v5
	v_lshrrev_b32_e32 v37, 3, v15
	v_cmp_gt_u32_e64 s8, 8, v15
	s_delay_alu instid0(VALU_DEP_3) | instskip(NEXT) | instid1(VALU_DEP_2)
	v_dual_mov_b32 v16, v3 :: v_dual_mov_b32 v15, v2
	s_and_saveexec_b32 s23, s8
; %bb.2446:                             ;   in Loop: Header=BB373_2082 Depth=1
	v_clz_i32_u32_e32 v15, v2
	s_delay_alu instid0(VALU_DEP_1) | instskip(NEXT) | instid1(VALU_DEP_1)
	v_min_u32_e32 v26, 32, v15
	v_subrev_nc_u32_e32 v15, 28, v26
	v_sub_nc_u32_e32 v37, 29, v26
	s_delay_alu instid0(VALU_DEP_2) | instskip(NEXT) | instid1(VALU_DEP_1)
	v_lshlrev_b64 v[15:16], v15, v[2:3]
	v_and_b32_e32 v15, 7, v15
; %bb.2447:                             ;   in Loop: Header=BB373_2082 Depth=1
	s_or_b32 exec_lo, exec_lo, s23
	v_lshlrev_b32_e32 v2, 8, v5
	v_lshl_add_u32 v5, v37, 10, 0x2000
	s_delay_alu instid0(VALU_DEP_1) | instskip(NEXT) | instid1(VALU_DEP_1)
	v_and_or_b32 v2, 0x8000, v2, v5
	v_lshl_or_b32 v2, v15, 7, v2
	s_delay_alu instid0(VALU_DEP_1)
	v_cvt_f32_f16_e32 v37, v2
.LBB373_2448:                           ;   in Loop: Header=BB373_2082 Depth=1
	s_or_b32 exec_lo, exec_lo, s22
.LBB373_2449:                           ;   in Loop: Header=BB373_2082 Depth=1
	s_delay_alu instid0(SALU_CYCLE_1)
	s_or_b32 exec_lo, exec_lo, s21
.LBB373_2450:                           ;   in Loop: Header=BB373_2082 Depth=1
	s_delay_alu instid0(SALU_CYCLE_1) | instskip(SKIP_2) | instid1(VALU_DEP_1)
	s_or_b32 exec_lo, exec_lo, s19
	v_lshrrev_b32_e32 v5, 16, v14
	s_mov_b32 s19, exec_lo
	v_and_b32_e32 v2, 0xff, v5
	s_delay_alu instid0(VALU_DEP_1)
	v_cmpx_ne_u16_e32 0, v2
	s_cbranch_execz .LBB373_2458
; %bb.2451:                             ;   in Loop: Header=BB373_2082 Depth=1
	v_bfrev_b32_e32 v36, 1
	s_mov_b32 s21, exec_lo
	v_cmpx_ne_u16_e32 0x80, v2
	s_cbranch_execz .LBB373_2457
; %bb.2452:                             ;   in Loop: Header=BB373_2082 Depth=1
	v_bfe_u32 v15, v14, 16, 7
	v_mov_b32_e32 v36, 0x7fc02000
	s_mov_b32 s22, exec_lo
	s_delay_alu instid0(VALU_DEP_2)
	v_cmpx_ne_u32_e32 0x7f, v15
	s_cbranch_execz .LBB373_2456
; %bb.2453:                             ;   in Loop: Header=BB373_2082 Depth=1
	v_and_b32_e32 v2, 7, v5
	v_lshrrev_b32_e32 v36, 3, v15
	v_cmp_gt_u32_e64 s8, 8, v15
	s_delay_alu instid0(VALU_DEP_3) | instskip(NEXT) | instid1(VALU_DEP_2)
	v_dual_mov_b32 v16, v3 :: v_dual_mov_b32 v15, v2
	s_and_saveexec_b32 s23, s8
; %bb.2454:                             ;   in Loop: Header=BB373_2082 Depth=1
	v_clz_i32_u32_e32 v15, v2
	s_delay_alu instid0(VALU_DEP_1) | instskip(NEXT) | instid1(VALU_DEP_1)
	v_min_u32_e32 v26, 32, v15
	v_subrev_nc_u32_e32 v15, 28, v26
	v_sub_nc_u32_e32 v36, 29, v26
	s_delay_alu instid0(VALU_DEP_2) | instskip(NEXT) | instid1(VALU_DEP_1)
	v_lshlrev_b64 v[15:16], v15, v[2:3]
	v_and_b32_e32 v15, 7, v15
; %bb.2455:                             ;   in Loop: Header=BB373_2082 Depth=1
	s_or_b32 exec_lo, exec_lo, s23
	v_lshlrev_b32_e32 v2, 8, v5
	v_lshl_add_u32 v5, v36, 10, 0x2000
	s_delay_alu instid0(VALU_DEP_1) | instskip(NEXT) | instid1(VALU_DEP_1)
	v_and_or_b32 v2, 0x8000, v2, v5
	v_lshl_or_b32 v2, v15, 7, v2
	s_delay_alu instid0(VALU_DEP_1)
	v_cvt_f32_f16_e32 v36, v2
.LBB373_2456:                           ;   in Loop: Header=BB373_2082 Depth=1
	s_or_b32 exec_lo, exec_lo, s22
.LBB373_2457:                           ;   in Loop: Header=BB373_2082 Depth=1
	s_delay_alu instid0(SALU_CYCLE_1)
	s_or_b32 exec_lo, exec_lo, s21
.LBB373_2458:                           ;   in Loop: Header=BB373_2082 Depth=1
	s_delay_alu instid0(SALU_CYCLE_1)
	s_or_b32 exec_lo, exec_lo, s19
	v_dual_mov_b32 v5, 0 :: v_dual_mov_b32 v2, 0
	s_mov_b32 s19, exec_lo
	v_cmpx_lt_u64_e64 s[12:13], v[13:14]
	s_cbranch_execz .LBB373_2466
; %bb.2459:                             ;   in Loop: Header=BB373_2082 Depth=1
	v_lshrrev_b32_e32 v15, 24, v14
	v_bfrev_b32_e32 v2, 1
	s_mov_b32 s21, exec_lo
	s_delay_alu instid0(VALU_DEP_2)
	v_cmpx_ne_u32_e32 0x80, v15
	s_cbranch_execz .LBB373_2465
; %bb.2460:                             ;   in Loop: Header=BB373_2082 Depth=1
	v_and_b32_e32 v13, 0x7f, v15
	v_mov_b32_e32 v2, 0x7fc02000
	s_mov_b32 s22, exec_lo
	s_delay_alu instid0(VALU_DEP_2)
	v_cmpx_ne_u32_e32 0x7f, v13
	s_cbranch_execz .LBB373_2464
; %bb.2461:                             ;   in Loop: Header=BB373_2082 Depth=1
	v_and_b32_e32 v2, 7, v15
	v_lshrrev_b32_e32 v16, 3, v13
	v_cmp_gt_u32_e64 s8, 8, v13
	s_delay_alu instid0(VALU_DEP_3) | instskip(NEXT) | instid1(VALU_DEP_2)
	v_dual_mov_b32 v14, v3 :: v_dual_mov_b32 v13, v2
	s_and_saveexec_b32 s23, s8
; %bb.2462:                             ;   in Loop: Header=BB373_2082 Depth=1
	v_clz_i32_u32_e32 v13, v2
	s_delay_alu instid0(VALU_DEP_1) | instskip(NEXT) | instid1(VALU_DEP_1)
	v_min_u32_e32 v16, 32, v13
	v_subrev_nc_u32_e32 v13, 28, v16
	v_sub_nc_u32_e32 v16, 29, v16
	s_delay_alu instid0(VALU_DEP_2) | instskip(NEXT) | instid1(VALU_DEP_1)
	v_lshlrev_b64 v[13:14], v13, v[2:3]
	v_and_b32_e32 v13, 7, v13
; %bb.2463:                             ;   in Loop: Header=BB373_2082 Depth=1
	s_or_b32 exec_lo, exec_lo, s23
	v_lshlrev_b32_e32 v2, 8, v15
	v_lshl_add_u32 v14, v16, 10, 0x2000
	s_delay_alu instid0(VALU_DEP_1) | instskip(NEXT) | instid1(VALU_DEP_1)
	v_and_or_b32 v2, 0x8000, v2, v14
	v_lshl_or_b32 v2, v13, 7, v2
	s_delay_alu instid0(VALU_DEP_1)
	v_cvt_f32_f16_e32 v2, v2
.LBB373_2464:                           ;   in Loop: Header=BB373_2082 Depth=1
	s_or_b32 exec_lo, exec_lo, s22
.LBB373_2465:                           ;   in Loop: Header=BB373_2082 Depth=1
	s_delay_alu instid0(SALU_CYCLE_1)
	s_or_b32 exec_lo, exec_lo, s21
.LBB373_2466:                           ;   in Loop: Header=BB373_2082 Depth=1
	s_delay_alu instid0(SALU_CYCLE_1)
	s_or_b32 exec_lo, exec_lo, s19
	s_waitcnt vmcnt(0) lgkmcnt(0)
	v_fma_mixlo_f16 v13, v6, v35, 0
	v_fma_mixlo_f16 v14, v6, v23, 0
	;; [unrolled: 1-line block ×6, first 2 shown]
	v_lshlrev_b32_e32 v22, 16, v13
	v_and_b32_e32 v26, 0xffff, v14
	v_lshlrev_b32_e32 v27, 16, v15
	v_and_b32_e32 v34, 0xffff, v4
	v_cndmask_b32_e32 v4, 0, v4, vcc_lo
	v_lshlrev_b32_e32 v35, 16, v16
	v_and_b32_e32 v37, 0xffff, v23
	v_fma_mixlo_f16 v2, v6, v2, 0
	v_fma_mixlo_f16 v6, v6, v36, 0
	v_cndmask_b32_e64 v15, 0, v15, s0
	v_or_b32_e32 v22, v22, v26
	v_or_b32_e32 v26, v27, v34
	v_or_b32_e32 v27, v35, v37
	v_lshlrev_b32_e32 v34, 16, v2
	v_and_b32_e32 v35, 0xffff, v6
	v_cndmask_b32_e64 v14, 0, v14, s2
	v_cndmask_b32_e64 v13, 0, v13, s4
	;; [unrolled: 1-line block ×6, first 2 shown]
	v_perm_b32 v4, v15, v4, 0x5040100
	v_or_b32_e32 v34, v34, v35
	v_perm_b32 v13, v13, v14, 0x5040100
	v_perm_b32 v14, v16, v23, 0x5040100
	;; [unrolled: 1-line block ×3, first 2 shown]
	v_cndmask_b32_e64 v4, v26, v4, s1
	;;#ASMSTART
	v_pk_mul_f16 v4, v130, v4;

	;;#ASMEND
	v_cndmask_b32_e64 v6, v22, v13, s1
	v_cndmask_b32_e64 v13, v27, v14, s1
	;; [unrolled: 1-line block ×3, first 2 shown]
	;;#ASMSTART
	v_pk_mul_f16 v6, v129, v6;

	;;#ASMEND
	;;#ASMSTART
	v_pk_mul_f16 v13, v128, v13;

	;;#ASMEND
	;; [unrolled: 4-line block ×3, first 2 shown]
	;;#ASMSTART
	v_pk_add_f16 v4, v4, v6;

	;;#ASMEND
	;;#ASMSTART
	v_pk_add_f16 v4, v4, v13;

	;;#ASMEND
	;; [unrolled: 4-line block ×3, first 2 shown]
	v_and_b32_e32 v4, 0xffff, v2
	v_lshrrev_b32_e32 v2, 16, v2
	;;#ASMSTART
	v_cvt_f32_f16 v150, v4;
	;;#ASMEND
	;;#ASMSTART
	v_cvt_f32_f16 v151, v2;
	;;#ASMEND
	flat_load_b64 v[13:14], v[11:12] offset:1536
	flat_load_b32 v6, v[121:122]
	s_mov_b32 s19, exec_lo
	s_waitcnt vmcnt(1) lgkmcnt(1)
	v_and_b32_e32 v2, 0xff, v13
	s_delay_alu instid0(VALU_DEP_1)
	v_cmpx_ne_u16_e32 0, v2
	s_cbranch_execz .LBB373_2474
; %bb.2467:                             ;   in Loop: Header=BB373_2082 Depth=1
	v_bfrev_b32_e32 v5, 1
	s_mov_b32 s21, exec_lo
	v_cmpx_ne_u16_e32 0x80, v2
	s_cbranch_execz .LBB373_2473
; %bb.2468:                             ;   in Loop: Header=BB373_2082 Depth=1
	v_and_b32_e32 v4, 0x7f, v13
	v_mov_b32_e32 v5, 0x7fc02000
	s_mov_b32 s22, exec_lo
	s_delay_alu instid0(VALU_DEP_2)
	v_cmpx_ne_u32_e32 0x7f, v4
	s_cbranch_execz .LBB373_2472
; %bb.2469:                             ;   in Loop: Header=BB373_2082 Depth=1
	v_lshrrev_b32_e32 v2, 3, v4
	v_dual_mov_b32 v16, v14 :: v_dual_mov_b32 v15, v13
	s_mov_b32 s23, exec_lo
	v_cmpx_gt_u32_e32 8, v4
; %bb.2470:                             ;   in Loop: Header=BB373_2082 Depth=1
	v_and_b32_e32 v2, 7, v13
	s_delay_alu instid0(VALU_DEP_1) | instskip(NEXT) | instid1(VALU_DEP_1)
	v_clz_i32_u32_e32 v2, v2
	v_min_u32_e32 v2, 32, v2
	s_delay_alu instid0(VALU_DEP_1) | instskip(SKIP_1) | instid1(VALU_DEP_2)
	v_subrev_nc_u32_e32 v4, 28, v2
	v_sub_nc_u32_e32 v2, 29, v2
	v_lshlrev_b64 v[15:16], v4, v[13:14]
; %bb.2471:                             ;   in Loop: Header=BB373_2082 Depth=1
	s_or_b32 exec_lo, exec_lo, s23
	v_lshlrev_b32_e32 v4, 8, v13
	s_delay_alu instid0(VALU_DEP_3) | instskip(NEXT) | instid1(VALU_DEP_3)
	v_lshl_add_u32 v2, v2, 10, 0x2000
	v_lshlrev_b32_e32 v5, 7, v15
	s_delay_alu instid0(VALU_DEP_2) | instskip(NEXT) | instid1(VALU_DEP_1)
	v_and_or_b32 v2, 0x8000, v4, v2
	v_and_or_b32 v2, 0x380, v5, v2
	s_delay_alu instid0(VALU_DEP_1)
	v_cvt_f32_f16_e32 v5, v2
.LBB373_2472:                           ;   in Loop: Header=BB373_2082 Depth=1
	s_or_b32 exec_lo, exec_lo, s22
.LBB373_2473:                           ;   in Loop: Header=BB373_2082 Depth=1
	s_delay_alu instid0(SALU_CYCLE_1)
	s_or_b32 exec_lo, exec_lo, s21
.LBB373_2474:                           ;   in Loop: Header=BB373_2082 Depth=1
	s_delay_alu instid0(SALU_CYCLE_1) | instskip(SKIP_3) | instid1(VALU_DEP_2)
	s_or_b32 exec_lo, exec_lo, s19
	v_lshrrev_b16 v2, 8, v13
	v_dual_mov_b32 v23, 0 :: v_dual_mov_b32 v22, 0
	s_mov_b32 s19, exec_lo
	v_cmpx_ne_u16_e32 0, v2
	s_cbranch_execz .LBB373_2482
; %bb.2475:                             ;   in Loop: Header=BB373_2082 Depth=1
	v_bfrev_b32_e32 v22, 1
	s_mov_b32 s21, exec_lo
	v_cmpx_ne_u16_e32 0x80, v2
	s_cbranch_execz .LBB373_2481
; %bb.2476:                             ;   in Loop: Header=BB373_2082 Depth=1
	v_and_b32_e32 v4, 0xffff, v2
	v_mov_b32_e32 v22, 0x7fc02000
	s_mov_b32 s22, exec_lo
	s_delay_alu instid0(VALU_DEP_2) | instskip(NEXT) | instid1(VALU_DEP_1)
	v_and_b32_e32 v15, 0x7f, v4
	v_cmpx_ne_u32_e32 0x7f, v15
	s_cbranch_execz .LBB373_2480
; %bb.2477:                             ;   in Loop: Header=BB373_2082 Depth=1
	v_and_b32_e32 v2, 7, v4
	v_lshrrev_b32_e32 v22, 3, v15
	v_cmp_gt_u32_e64 s8, 8, v15
	s_delay_alu instid0(VALU_DEP_3) | instskip(NEXT) | instid1(VALU_DEP_2)
	v_dual_mov_b32 v16, v3 :: v_dual_mov_b32 v15, v2
	s_and_saveexec_b32 s23, s8
; %bb.2478:                             ;   in Loop: Header=BB373_2082 Depth=1
	v_clz_i32_u32_e32 v15, v2
	s_delay_alu instid0(VALU_DEP_1) | instskip(NEXT) | instid1(VALU_DEP_1)
	v_min_u32_e32 v22, 32, v15
	v_subrev_nc_u32_e32 v15, 28, v22
	v_sub_nc_u32_e32 v22, 29, v22
	s_delay_alu instid0(VALU_DEP_2) | instskip(NEXT) | instid1(VALU_DEP_1)
	v_lshlrev_b64 v[15:16], v15, v[2:3]
	v_and_b32_e32 v15, 7, v15
; %bb.2479:                             ;   in Loop: Header=BB373_2082 Depth=1
	s_or_b32 exec_lo, exec_lo, s23
	v_lshlrev_b32_e32 v2, 8, v4
	v_lshl_add_u32 v4, v22, 10, 0x2000
	s_delay_alu instid0(VALU_DEP_1) | instskip(NEXT) | instid1(VALU_DEP_1)
	v_and_or_b32 v2, 0x8000, v2, v4
	v_lshl_or_b32 v2, v15, 7, v2
	s_delay_alu instid0(VALU_DEP_1)
	v_cvt_f32_f16_e32 v22, v2
.LBB373_2480:                           ;   in Loop: Header=BB373_2082 Depth=1
	s_or_b32 exec_lo, exec_lo, s22
.LBB373_2481:                           ;   in Loop: Header=BB373_2082 Depth=1
	s_delay_alu instid0(SALU_CYCLE_1)
	s_or_b32 exec_lo, exec_lo, s21
.LBB373_2482:                           ;   in Loop: Header=BB373_2082 Depth=1
	s_delay_alu instid0(SALU_CYCLE_1) | instskip(SKIP_2) | instid1(VALU_DEP_1)
	s_or_b32 exec_lo, exec_lo, s19
	v_lshrrev_b32_e32 v4, 16, v13
	s_mov_b32 s19, exec_lo
	v_and_b32_e32 v2, 0xff, v4
	s_delay_alu instid0(VALU_DEP_1)
	v_cmpx_ne_u16_e32 0, v2
	s_cbranch_execz .LBB373_2490
; %bb.2483:                             ;   in Loop: Header=BB373_2082 Depth=1
	v_bfrev_b32_e32 v23, 1
	s_mov_b32 s21, exec_lo
	v_cmpx_ne_u16_e32 0x80, v2
	s_cbranch_execz .LBB373_2489
; %bb.2484:                             ;   in Loop: Header=BB373_2082 Depth=1
	v_bfe_u32 v15, v13, 16, 7
	v_mov_b32_e32 v23, 0x7fc02000
	s_mov_b32 s22, exec_lo
	s_delay_alu instid0(VALU_DEP_2)
	v_cmpx_ne_u32_e32 0x7f, v15
	s_cbranch_execz .LBB373_2488
; %bb.2485:                             ;   in Loop: Header=BB373_2082 Depth=1
	v_and_b32_e32 v2, 7, v4
	v_lshrrev_b32_e32 v23, 3, v15
	v_cmp_gt_u32_e64 s8, 8, v15
	s_delay_alu instid0(VALU_DEP_3) | instskip(NEXT) | instid1(VALU_DEP_2)
	v_dual_mov_b32 v16, v3 :: v_dual_mov_b32 v15, v2
	s_and_saveexec_b32 s23, s8
; %bb.2486:                             ;   in Loop: Header=BB373_2082 Depth=1
	v_clz_i32_u32_e32 v15, v2
	s_delay_alu instid0(VALU_DEP_1) | instskip(NEXT) | instid1(VALU_DEP_1)
	v_min_u32_e32 v23, 32, v15
	v_subrev_nc_u32_e32 v15, 28, v23
	v_sub_nc_u32_e32 v23, 29, v23
	s_delay_alu instid0(VALU_DEP_2) | instskip(NEXT) | instid1(VALU_DEP_1)
	v_lshlrev_b64 v[15:16], v15, v[2:3]
	v_and_b32_e32 v15, 7, v15
; %bb.2487:                             ;   in Loop: Header=BB373_2082 Depth=1
	s_or_b32 exec_lo, exec_lo, s23
	v_lshlrev_b32_e32 v2, 8, v4
	v_lshl_add_u32 v4, v23, 10, 0x2000
	s_delay_alu instid0(VALU_DEP_1) | instskip(NEXT) | instid1(VALU_DEP_1)
	v_and_or_b32 v2, 0x8000, v2, v4
	v_lshl_or_b32 v2, v15, 7, v2
	s_delay_alu instid0(VALU_DEP_1)
	v_cvt_f32_f16_e32 v23, v2
.LBB373_2488:                           ;   in Loop: Header=BB373_2082 Depth=1
	s_or_b32 exec_lo, exec_lo, s22
.LBB373_2489:                           ;   in Loop: Header=BB373_2082 Depth=1
	s_delay_alu instid0(SALU_CYCLE_1)
	s_or_b32 exec_lo, exec_lo, s21
.LBB373_2490:                           ;   in Loop: Header=BB373_2082 Depth=1
	s_delay_alu instid0(SALU_CYCLE_1)
	s_or_b32 exec_lo, exec_lo, s19
	v_dual_mov_b32 v34, 0 :: v_dual_mov_b32 v35, 0
	s_mov_b32 s19, exec_lo
	v_cmpx_lt_u32_e32 0xffffff, v13
	s_cbranch_execz .LBB373_2498
; %bb.2491:                             ;   in Loop: Header=BB373_2082 Depth=1
	v_lshrrev_b32_e32 v4, 24, v13
	v_bfrev_b32_e32 v35, 1
	s_mov_b32 s21, exec_lo
	s_delay_alu instid0(VALU_DEP_2)
	v_cmpx_ne_u32_e32 0x80, v4
	s_cbranch_execz .LBB373_2497
; %bb.2492:                             ;   in Loop: Header=BB373_2082 Depth=1
	v_and_b32_e32 v15, 0x7f, v4
	v_mov_b32_e32 v35, 0x7fc02000
	s_mov_b32 s22, exec_lo
	s_delay_alu instid0(VALU_DEP_2)
	v_cmpx_ne_u32_e32 0x7f, v15
	s_cbranch_execz .LBB373_2496
; %bb.2493:                             ;   in Loop: Header=BB373_2082 Depth=1
	v_and_b32_e32 v2, 7, v4
	v_lshrrev_b32_e32 v35, 3, v15
	v_cmp_gt_u32_e64 s8, 8, v15
	s_delay_alu instid0(VALU_DEP_3) | instskip(NEXT) | instid1(VALU_DEP_2)
	v_dual_mov_b32 v16, v3 :: v_dual_mov_b32 v15, v2
	s_and_saveexec_b32 s23, s8
; %bb.2494:                             ;   in Loop: Header=BB373_2082 Depth=1
	v_clz_i32_u32_e32 v15, v2
	s_delay_alu instid0(VALU_DEP_1) | instskip(NEXT) | instid1(VALU_DEP_1)
	v_min_u32_e32 v26, 32, v15
	v_subrev_nc_u32_e32 v15, 28, v26
	v_sub_nc_u32_e32 v35, 29, v26
	s_delay_alu instid0(VALU_DEP_2) | instskip(NEXT) | instid1(VALU_DEP_1)
	v_lshlrev_b64 v[15:16], v15, v[2:3]
	v_and_b32_e32 v15, 7, v15
; %bb.2495:                             ;   in Loop: Header=BB373_2082 Depth=1
	s_or_b32 exec_lo, exec_lo, s23
	v_lshlrev_b32_e32 v2, 8, v4
	v_lshl_add_u32 v4, v35, 10, 0x2000
	s_delay_alu instid0(VALU_DEP_1) | instskip(NEXT) | instid1(VALU_DEP_1)
	v_and_or_b32 v2, 0x8000, v2, v4
	v_lshl_or_b32 v2, v15, 7, v2
	s_delay_alu instid0(VALU_DEP_1)
	v_cvt_f32_f16_e32 v35, v2
.LBB373_2496:                           ;   in Loop: Header=BB373_2082 Depth=1
	s_or_b32 exec_lo, exec_lo, s22
.LBB373_2497:                           ;   in Loop: Header=BB373_2082 Depth=1
	s_delay_alu instid0(SALU_CYCLE_1)
	s_or_b32 exec_lo, exec_lo, s21
.LBB373_2498:                           ;   in Loop: Header=BB373_2082 Depth=1
	s_delay_alu instid0(SALU_CYCLE_1) | instskip(SKIP_3) | instid1(VALU_DEP_2)
	s_or_b32 exec_lo, exec_lo, s19
	v_and_b32_e32 v4, 0xff, v14
	v_mov_b32_e32 v2, v14
	s_mov_b32 s19, exec_lo
	v_cmpx_ne_u16_e32 0, v4
	s_cbranch_execz .LBB373_2506
; %bb.2499:                             ;   in Loop: Header=BB373_2082 Depth=1
	v_bfrev_b32_e32 v34, 1
	s_mov_b32 s21, exec_lo
	v_cmpx_ne_u16_e32 0x80, v4
	s_cbranch_execz .LBB373_2505
; %bb.2500:                             ;   in Loop: Header=BB373_2082 Depth=1
	v_and_b32_e32 v15, 0x7f, v14
	v_mov_b32_e32 v34, 0x7fc02000
	s_mov_b32 s22, exec_lo
	s_delay_alu instid0(VALU_DEP_2)
	v_cmpx_ne_u32_e32 0x7f, v15
	s_cbranch_execz .LBB373_2504
; %bb.2501:                             ;   in Loop: Header=BB373_2082 Depth=1
	v_lshrrev_b32_e32 v4, 3, v15
	v_cmp_gt_u32_e64 s8, 8, v15
	v_dual_mov_b32 v16, v3 :: v_dual_mov_b32 v15, v2
	s_delay_alu instid0(VALU_DEP_2)
	s_and_saveexec_b32 s23, s8
; %bb.2502:                             ;   in Loop: Header=BB373_2082 Depth=1
	v_and_b32_e32 v4, 7, v14
	s_delay_alu instid0(VALU_DEP_1) | instskip(NEXT) | instid1(VALU_DEP_1)
	v_clz_i32_u32_e32 v4, v4
	v_min_u32_e32 v4, 32, v4
	s_delay_alu instid0(VALU_DEP_1) | instskip(SKIP_1) | instid1(VALU_DEP_2)
	v_subrev_nc_u32_e32 v15, 28, v4
	v_sub_nc_u32_e32 v4, 29, v4
	v_lshlrev_b64 v[15:16], v15, v[2:3]
; %bb.2503:                             ;   in Loop: Header=BB373_2082 Depth=1
	s_or_b32 exec_lo, exec_lo, s23
	v_lshlrev_b32_e32 v16, 8, v14
	s_delay_alu instid0(VALU_DEP_3) | instskip(NEXT) | instid1(VALU_DEP_3)
	v_lshl_add_u32 v4, v4, 10, 0x2000
	v_lshlrev_b32_e32 v15, 7, v15
	s_delay_alu instid0(VALU_DEP_2) | instskip(NEXT) | instid1(VALU_DEP_1)
	v_and_or_b32 v4, 0x8000, v16, v4
	v_and_or_b32 v4, 0x380, v15, v4
	s_delay_alu instid0(VALU_DEP_1)
	v_cvt_f32_f16_e32 v34, v4
.LBB373_2504:                           ;   in Loop: Header=BB373_2082 Depth=1
	s_or_b32 exec_lo, exec_lo, s22
.LBB373_2505:                           ;   in Loop: Header=BB373_2082 Depth=1
	s_delay_alu instid0(SALU_CYCLE_1)
	s_or_b32 exec_lo, exec_lo, s21
.LBB373_2506:                           ;   in Loop: Header=BB373_2082 Depth=1
	s_delay_alu instid0(SALU_CYCLE_1) | instskip(SKIP_3) | instid1(VALU_DEP_2)
	s_or_b32 exec_lo, exec_lo, s19
	v_lshrrev_b16 v2, 8, v2
	v_dual_mov_b32 v36, 0 :: v_dual_mov_b32 v37, 0
	s_mov_b32 s19, exec_lo
	v_cmpx_ne_u16_e32 0, v2
	s_cbranch_execz .LBB373_2514
; %bb.2507:                             ;   in Loop: Header=BB373_2082 Depth=1
	v_bfrev_b32_e32 v37, 1
	s_mov_b32 s21, exec_lo
	v_cmpx_ne_u16_e32 0x80, v2
	s_cbranch_execz .LBB373_2513
; %bb.2508:                             ;   in Loop: Header=BB373_2082 Depth=1
	v_and_b32_e32 v4, 0xffff, v2
	v_mov_b32_e32 v37, 0x7fc02000
	s_mov_b32 s22, exec_lo
	s_delay_alu instid0(VALU_DEP_2) | instskip(NEXT) | instid1(VALU_DEP_1)
	v_and_b32_e32 v15, 0x7f, v4
	v_cmpx_ne_u32_e32 0x7f, v15
	s_cbranch_execz .LBB373_2512
; %bb.2509:                             ;   in Loop: Header=BB373_2082 Depth=1
	v_and_b32_e32 v2, 7, v4
	v_lshrrev_b32_e32 v37, 3, v15
	v_cmp_gt_u32_e64 s8, 8, v15
	s_delay_alu instid0(VALU_DEP_3) | instskip(NEXT) | instid1(VALU_DEP_2)
	v_dual_mov_b32 v16, v3 :: v_dual_mov_b32 v15, v2
	s_and_saveexec_b32 s23, s8
; %bb.2510:                             ;   in Loop: Header=BB373_2082 Depth=1
	v_clz_i32_u32_e32 v15, v2
	s_delay_alu instid0(VALU_DEP_1) | instskip(NEXT) | instid1(VALU_DEP_1)
	v_min_u32_e32 v26, 32, v15
	v_subrev_nc_u32_e32 v15, 28, v26
	v_sub_nc_u32_e32 v37, 29, v26
	s_delay_alu instid0(VALU_DEP_2) | instskip(NEXT) | instid1(VALU_DEP_1)
	v_lshlrev_b64 v[15:16], v15, v[2:3]
	v_and_b32_e32 v15, 7, v15
; %bb.2511:                             ;   in Loop: Header=BB373_2082 Depth=1
	s_or_b32 exec_lo, exec_lo, s23
	v_lshlrev_b32_e32 v2, 8, v4
	v_lshl_add_u32 v4, v37, 10, 0x2000
	s_delay_alu instid0(VALU_DEP_1) | instskip(NEXT) | instid1(VALU_DEP_1)
	v_and_or_b32 v2, 0x8000, v2, v4
	v_lshl_or_b32 v2, v15, 7, v2
	s_delay_alu instid0(VALU_DEP_1)
	v_cvt_f32_f16_e32 v37, v2
.LBB373_2512:                           ;   in Loop: Header=BB373_2082 Depth=1
	s_or_b32 exec_lo, exec_lo, s22
.LBB373_2513:                           ;   in Loop: Header=BB373_2082 Depth=1
	s_delay_alu instid0(SALU_CYCLE_1)
	s_or_b32 exec_lo, exec_lo, s21
.LBB373_2514:                           ;   in Loop: Header=BB373_2082 Depth=1
	s_delay_alu instid0(SALU_CYCLE_1) | instskip(SKIP_2) | instid1(VALU_DEP_1)
	s_or_b32 exec_lo, exec_lo, s19
	v_lshrrev_b32_e32 v4, 16, v14
	s_mov_b32 s19, exec_lo
	v_and_b32_e32 v2, 0xff, v4
	s_delay_alu instid0(VALU_DEP_1)
	v_cmpx_ne_u16_e32 0, v2
	s_cbranch_execz .LBB373_2522
; %bb.2515:                             ;   in Loop: Header=BB373_2082 Depth=1
	v_bfrev_b32_e32 v36, 1
	s_mov_b32 s21, exec_lo
	v_cmpx_ne_u16_e32 0x80, v2
	s_cbranch_execz .LBB373_2521
; %bb.2516:                             ;   in Loop: Header=BB373_2082 Depth=1
	v_bfe_u32 v15, v14, 16, 7
	v_mov_b32_e32 v36, 0x7fc02000
	s_mov_b32 s22, exec_lo
	s_delay_alu instid0(VALU_DEP_2)
	v_cmpx_ne_u32_e32 0x7f, v15
	s_cbranch_execz .LBB373_2520
; %bb.2517:                             ;   in Loop: Header=BB373_2082 Depth=1
	v_and_b32_e32 v2, 7, v4
	v_lshrrev_b32_e32 v36, 3, v15
	v_cmp_gt_u32_e64 s8, 8, v15
	s_delay_alu instid0(VALU_DEP_3) | instskip(NEXT) | instid1(VALU_DEP_2)
	v_dual_mov_b32 v16, v3 :: v_dual_mov_b32 v15, v2
	s_and_saveexec_b32 s23, s8
; %bb.2518:                             ;   in Loop: Header=BB373_2082 Depth=1
	v_clz_i32_u32_e32 v15, v2
	s_delay_alu instid0(VALU_DEP_1) | instskip(NEXT) | instid1(VALU_DEP_1)
	v_min_u32_e32 v26, 32, v15
	v_subrev_nc_u32_e32 v15, 28, v26
	v_sub_nc_u32_e32 v36, 29, v26
	s_delay_alu instid0(VALU_DEP_2) | instskip(NEXT) | instid1(VALU_DEP_1)
	v_lshlrev_b64 v[15:16], v15, v[2:3]
	v_and_b32_e32 v15, 7, v15
; %bb.2519:                             ;   in Loop: Header=BB373_2082 Depth=1
	s_or_b32 exec_lo, exec_lo, s23
	v_lshlrev_b32_e32 v2, 8, v4
	v_lshl_add_u32 v4, v36, 10, 0x2000
	s_delay_alu instid0(VALU_DEP_1) | instskip(NEXT) | instid1(VALU_DEP_1)
	v_and_or_b32 v2, 0x8000, v2, v4
	v_lshl_or_b32 v2, v15, 7, v2
	s_delay_alu instid0(VALU_DEP_1)
	v_cvt_f32_f16_e32 v36, v2
.LBB373_2520:                           ;   in Loop: Header=BB373_2082 Depth=1
	s_or_b32 exec_lo, exec_lo, s22
.LBB373_2521:                           ;   in Loop: Header=BB373_2082 Depth=1
	s_delay_alu instid0(SALU_CYCLE_1)
	s_or_b32 exec_lo, exec_lo, s21
.LBB373_2522:                           ;   in Loop: Header=BB373_2082 Depth=1
	s_delay_alu instid0(SALU_CYCLE_1)
	s_or_b32 exec_lo, exec_lo, s19
	v_mov_b32_e32 v4, 0
	v_mov_b32_e32 v2, 0
	s_mov_b32 s19, exec_lo
	v_cmpx_lt_u64_e64 s[12:13], v[13:14]
	s_cbranch_execz .LBB373_2530
; %bb.2523:                             ;   in Loop: Header=BB373_2082 Depth=1
	v_lshrrev_b32_e32 v15, 24, v14
	v_bfrev_b32_e32 v2, 1
	s_mov_b32 s21, exec_lo
	s_delay_alu instid0(VALU_DEP_2)
	v_cmpx_ne_u32_e32 0x80, v15
	s_cbranch_execz .LBB373_2529
; %bb.2524:                             ;   in Loop: Header=BB373_2082 Depth=1
	v_and_b32_e32 v13, 0x7f, v15
	v_mov_b32_e32 v2, 0x7fc02000
	s_mov_b32 s22, exec_lo
	s_delay_alu instid0(VALU_DEP_2)
	v_cmpx_ne_u32_e32 0x7f, v13
	s_cbranch_execz .LBB373_2528
; %bb.2525:                             ;   in Loop: Header=BB373_2082 Depth=1
	v_and_b32_e32 v2, 7, v15
	v_lshrrev_b32_e32 v16, 3, v13
	v_cmp_gt_u32_e64 s8, 8, v13
	s_delay_alu instid0(VALU_DEP_3) | instskip(NEXT) | instid1(VALU_DEP_2)
	v_dual_mov_b32 v14, v3 :: v_dual_mov_b32 v13, v2
	s_and_saveexec_b32 s23, s8
; %bb.2526:                             ;   in Loop: Header=BB373_2082 Depth=1
	v_clz_i32_u32_e32 v13, v2
	s_delay_alu instid0(VALU_DEP_1) | instskip(NEXT) | instid1(VALU_DEP_1)
	v_min_u32_e32 v16, 32, v13
	v_subrev_nc_u32_e32 v13, 28, v16
	v_sub_nc_u32_e32 v16, 29, v16
	s_delay_alu instid0(VALU_DEP_2) | instskip(NEXT) | instid1(VALU_DEP_1)
	v_lshlrev_b64 v[13:14], v13, v[2:3]
	v_and_b32_e32 v13, 7, v13
; %bb.2527:                             ;   in Loop: Header=BB373_2082 Depth=1
	s_or_b32 exec_lo, exec_lo, s23
	v_lshlrev_b32_e32 v2, 8, v15
	v_lshl_add_u32 v14, v16, 10, 0x2000
	s_delay_alu instid0(VALU_DEP_1) | instskip(NEXT) | instid1(VALU_DEP_1)
	v_and_or_b32 v2, 0x8000, v2, v14
	v_lshl_or_b32 v2, v13, 7, v2
	s_delay_alu instid0(VALU_DEP_1)
	v_cvt_f32_f16_e32 v2, v2
.LBB373_2528:                           ;   in Loop: Header=BB373_2082 Depth=1
	s_or_b32 exec_lo, exec_lo, s22
.LBB373_2529:                           ;   in Loop: Header=BB373_2082 Depth=1
	s_delay_alu instid0(SALU_CYCLE_1)
	s_or_b32 exec_lo, exec_lo, s21
.LBB373_2530:                           ;   in Loop: Header=BB373_2082 Depth=1
	s_delay_alu instid0(SALU_CYCLE_1)
	s_or_b32 exec_lo, exec_lo, s19
	s_waitcnt vmcnt(0) lgkmcnt(0)
	v_fma_mixlo_f16 v13, v6, v35, 0
	v_fma_mixlo_f16 v14, v6, v23, 0
	;; [unrolled: 1-line block ×6, first 2 shown]
	v_lshlrev_b32_e32 v22, 16, v13
	v_and_b32_e32 v26, 0xffff, v14
	v_lshlrev_b32_e32 v27, 16, v15
	v_and_b32_e32 v34, 0xffff, v5
	v_cndmask_b32_e32 v5, 0, v5, vcc_lo
	v_lshlrev_b32_e32 v35, 16, v16
	v_and_b32_e32 v37, 0xffff, v23
	v_fma_mixlo_f16 v2, v6, v2, 0
	v_fma_mixlo_f16 v6, v6, v36, 0
	v_cndmask_b32_e64 v15, 0, v15, s0
	v_or_b32_e32 v22, v22, v26
	v_or_b32_e32 v26, v27, v34
	;; [unrolled: 1-line block ×3, first 2 shown]
	v_lshlrev_b32_e32 v34, 16, v2
	v_and_b32_e32 v35, 0xffff, v6
	v_cndmask_b32_e64 v14, 0, v14, s2
	v_cndmask_b32_e64 v13, 0, v13, s4
	;; [unrolled: 1-line block ×6, first 2 shown]
	v_perm_b32 v5, v15, v5, 0x5040100
	v_or_b32_e32 v34, v34, v35
	v_perm_b32 v13, v13, v14, 0x5040100
	v_perm_b32 v14, v16, v23, 0x5040100
	;; [unrolled: 1-line block ×3, first 2 shown]
	v_cndmask_b32_e64 v5, v26, v5, s1
	;;#ASMSTART
	v_pk_mul_f16 v5, v130, v5;

	;;#ASMEND
	v_cndmask_b32_e64 v6, v22, v13, s1
	v_cndmask_b32_e64 v13, v27, v14, s1
	;; [unrolled: 1-line block ×3, first 2 shown]
	;;#ASMSTART
	v_pk_mul_f16 v6, v129, v6;

	;;#ASMEND
	;;#ASMSTART
	v_pk_mul_f16 v13, v128, v13;

	;;#ASMEND
	;; [unrolled: 4-line block ×3, first 2 shown]
	;;#ASMSTART
	v_pk_add_f16 v5, v5, v6;

	;;#ASMEND
	;;#ASMSTART
	v_pk_add_f16 v5, v5, v13;

	;;#ASMEND
	;; [unrolled: 4-line block ×3, first 2 shown]
	v_and_b32_e32 v5, 0xffff, v2
	v_lshrrev_b32_e32 v2, 16, v2
	;;#ASMSTART
	v_cvt_f32_f16 v160, v5;
	;;#ASMEND
	;;#ASMSTART
	v_cvt_f32_f16 v161, v2;
	;;#ASMEND
	flat_load_b64 v[13:14], v[11:12] offset:1792
	flat_load_b32 v6, v[121:122]
	s_mov_b32 s19, exec_lo
	s_waitcnt vmcnt(1) lgkmcnt(1)
	v_and_b32_e32 v2, 0xff, v13
	s_delay_alu instid0(VALU_DEP_1)
	v_cmpx_ne_u16_e32 0, v2
	s_cbranch_execz .LBB373_2538
; %bb.2531:                             ;   in Loop: Header=BB373_2082 Depth=1
	v_bfrev_b32_e32 v4, 1
	s_mov_b32 s21, exec_lo
	v_cmpx_ne_u16_e32 0x80, v2
	s_cbranch_execz .LBB373_2537
; %bb.2532:                             ;   in Loop: Header=BB373_2082 Depth=1
	v_and_b32_e32 v5, 0x7f, v13
	v_mov_b32_e32 v4, 0x7fc02000
	s_mov_b32 s22, exec_lo
	s_delay_alu instid0(VALU_DEP_2)
	v_cmpx_ne_u32_e32 0x7f, v5
	s_cbranch_execz .LBB373_2536
; %bb.2533:                             ;   in Loop: Header=BB373_2082 Depth=1
	v_lshrrev_b32_e32 v2, 3, v5
	v_dual_mov_b32 v16, v14 :: v_dual_mov_b32 v15, v13
	s_mov_b32 s23, exec_lo
	v_cmpx_gt_u32_e32 8, v5
; %bb.2534:                             ;   in Loop: Header=BB373_2082 Depth=1
	v_and_b32_e32 v2, 7, v13
	s_delay_alu instid0(VALU_DEP_1) | instskip(NEXT) | instid1(VALU_DEP_1)
	v_clz_i32_u32_e32 v2, v2
	v_min_u32_e32 v2, 32, v2
	s_delay_alu instid0(VALU_DEP_1) | instskip(SKIP_1) | instid1(VALU_DEP_2)
	v_subrev_nc_u32_e32 v4, 28, v2
	v_sub_nc_u32_e32 v2, 29, v2
	v_lshlrev_b64 v[15:16], v4, v[13:14]
; %bb.2535:                             ;   in Loop: Header=BB373_2082 Depth=1
	s_or_b32 exec_lo, exec_lo, s23
	v_lshlrev_b32_e32 v4, 8, v13
	s_delay_alu instid0(VALU_DEP_3) | instskip(NEXT) | instid1(VALU_DEP_3)
	v_lshl_add_u32 v2, v2, 10, 0x2000
	v_lshlrev_b32_e32 v5, 7, v15
	s_delay_alu instid0(VALU_DEP_2) | instskip(NEXT) | instid1(VALU_DEP_1)
	v_and_or_b32 v2, 0x8000, v4, v2
	v_and_or_b32 v2, 0x380, v5, v2
	s_delay_alu instid0(VALU_DEP_1)
	v_cvt_f32_f16_e32 v4, v2
.LBB373_2536:                           ;   in Loop: Header=BB373_2082 Depth=1
	s_or_b32 exec_lo, exec_lo, s22
.LBB373_2537:                           ;   in Loop: Header=BB373_2082 Depth=1
	s_delay_alu instid0(SALU_CYCLE_1)
	s_or_b32 exec_lo, exec_lo, s21
.LBB373_2538:                           ;   in Loop: Header=BB373_2082 Depth=1
	s_delay_alu instid0(SALU_CYCLE_1) | instskip(SKIP_3) | instid1(VALU_DEP_2)
	s_or_b32 exec_lo, exec_lo, s19
	v_lshrrev_b16 v2, 8, v13
	v_dual_mov_b32 v23, 0 :: v_dual_mov_b32 v22, 0
	s_mov_b32 s19, exec_lo
	v_cmpx_ne_u16_e32 0, v2
	s_cbranch_execz .LBB373_2546
; %bb.2539:                             ;   in Loop: Header=BB373_2082 Depth=1
	v_bfrev_b32_e32 v22, 1
	s_mov_b32 s21, exec_lo
	v_cmpx_ne_u16_e32 0x80, v2
	s_cbranch_execz .LBB373_2545
; %bb.2540:                             ;   in Loop: Header=BB373_2082 Depth=1
	v_and_b32_e32 v5, 0xffff, v2
	v_mov_b32_e32 v22, 0x7fc02000
	s_mov_b32 s22, exec_lo
	s_delay_alu instid0(VALU_DEP_2) | instskip(NEXT) | instid1(VALU_DEP_1)
	v_and_b32_e32 v15, 0x7f, v5
	v_cmpx_ne_u32_e32 0x7f, v15
	s_cbranch_execz .LBB373_2544
; %bb.2541:                             ;   in Loop: Header=BB373_2082 Depth=1
	v_and_b32_e32 v2, 7, v5
	v_lshrrev_b32_e32 v22, 3, v15
	v_cmp_gt_u32_e64 s8, 8, v15
	s_delay_alu instid0(VALU_DEP_3) | instskip(NEXT) | instid1(VALU_DEP_2)
	v_dual_mov_b32 v16, v3 :: v_dual_mov_b32 v15, v2
	s_and_saveexec_b32 s23, s8
; %bb.2542:                             ;   in Loop: Header=BB373_2082 Depth=1
	v_clz_i32_u32_e32 v15, v2
	s_delay_alu instid0(VALU_DEP_1) | instskip(NEXT) | instid1(VALU_DEP_1)
	v_min_u32_e32 v22, 32, v15
	v_subrev_nc_u32_e32 v15, 28, v22
	v_sub_nc_u32_e32 v22, 29, v22
	s_delay_alu instid0(VALU_DEP_2) | instskip(NEXT) | instid1(VALU_DEP_1)
	v_lshlrev_b64 v[15:16], v15, v[2:3]
	v_and_b32_e32 v15, 7, v15
; %bb.2543:                             ;   in Loop: Header=BB373_2082 Depth=1
	s_or_b32 exec_lo, exec_lo, s23
	v_lshlrev_b32_e32 v2, 8, v5
	v_lshl_add_u32 v5, v22, 10, 0x2000
	s_delay_alu instid0(VALU_DEP_1) | instskip(NEXT) | instid1(VALU_DEP_1)
	v_and_or_b32 v2, 0x8000, v2, v5
	v_lshl_or_b32 v2, v15, 7, v2
	s_delay_alu instid0(VALU_DEP_1)
	v_cvt_f32_f16_e32 v22, v2
.LBB373_2544:                           ;   in Loop: Header=BB373_2082 Depth=1
	s_or_b32 exec_lo, exec_lo, s22
.LBB373_2545:                           ;   in Loop: Header=BB373_2082 Depth=1
	s_delay_alu instid0(SALU_CYCLE_1)
	s_or_b32 exec_lo, exec_lo, s21
.LBB373_2546:                           ;   in Loop: Header=BB373_2082 Depth=1
	s_delay_alu instid0(SALU_CYCLE_1) | instskip(SKIP_2) | instid1(VALU_DEP_1)
	s_or_b32 exec_lo, exec_lo, s19
	v_lshrrev_b32_e32 v5, 16, v13
	s_mov_b32 s19, exec_lo
	v_and_b32_e32 v2, 0xff, v5
	s_delay_alu instid0(VALU_DEP_1)
	v_cmpx_ne_u16_e32 0, v2
	s_cbranch_execz .LBB373_2554
; %bb.2547:                             ;   in Loop: Header=BB373_2082 Depth=1
	v_bfrev_b32_e32 v23, 1
	s_mov_b32 s21, exec_lo
	v_cmpx_ne_u16_e32 0x80, v2
	s_cbranch_execz .LBB373_2553
; %bb.2548:                             ;   in Loop: Header=BB373_2082 Depth=1
	v_bfe_u32 v15, v13, 16, 7
	v_mov_b32_e32 v23, 0x7fc02000
	s_mov_b32 s22, exec_lo
	s_delay_alu instid0(VALU_DEP_2)
	v_cmpx_ne_u32_e32 0x7f, v15
	s_cbranch_execz .LBB373_2552
; %bb.2549:                             ;   in Loop: Header=BB373_2082 Depth=1
	v_and_b32_e32 v2, 7, v5
	v_lshrrev_b32_e32 v23, 3, v15
	v_cmp_gt_u32_e64 s8, 8, v15
	s_delay_alu instid0(VALU_DEP_3) | instskip(NEXT) | instid1(VALU_DEP_2)
	v_dual_mov_b32 v16, v3 :: v_dual_mov_b32 v15, v2
	s_and_saveexec_b32 s23, s8
; %bb.2550:                             ;   in Loop: Header=BB373_2082 Depth=1
	v_clz_i32_u32_e32 v15, v2
	s_delay_alu instid0(VALU_DEP_1) | instskip(NEXT) | instid1(VALU_DEP_1)
	v_min_u32_e32 v23, 32, v15
	v_subrev_nc_u32_e32 v15, 28, v23
	v_sub_nc_u32_e32 v23, 29, v23
	s_delay_alu instid0(VALU_DEP_2) | instskip(NEXT) | instid1(VALU_DEP_1)
	v_lshlrev_b64 v[15:16], v15, v[2:3]
	v_and_b32_e32 v15, 7, v15
; %bb.2551:                             ;   in Loop: Header=BB373_2082 Depth=1
	s_or_b32 exec_lo, exec_lo, s23
	v_lshlrev_b32_e32 v2, 8, v5
	v_lshl_add_u32 v5, v23, 10, 0x2000
	s_delay_alu instid0(VALU_DEP_1) | instskip(NEXT) | instid1(VALU_DEP_1)
	v_and_or_b32 v2, 0x8000, v2, v5
	v_lshl_or_b32 v2, v15, 7, v2
	s_delay_alu instid0(VALU_DEP_1)
	v_cvt_f32_f16_e32 v23, v2
.LBB373_2552:                           ;   in Loop: Header=BB373_2082 Depth=1
	s_or_b32 exec_lo, exec_lo, s22
.LBB373_2553:                           ;   in Loop: Header=BB373_2082 Depth=1
	s_delay_alu instid0(SALU_CYCLE_1)
	s_or_b32 exec_lo, exec_lo, s21
.LBB373_2554:                           ;   in Loop: Header=BB373_2082 Depth=1
	s_delay_alu instid0(SALU_CYCLE_1)
	s_or_b32 exec_lo, exec_lo, s19
	v_dual_mov_b32 v34, 0 :: v_dual_mov_b32 v35, 0
	s_mov_b32 s19, exec_lo
	v_cmpx_lt_u32_e32 0xffffff, v13
	s_cbranch_execz .LBB373_2562
; %bb.2555:                             ;   in Loop: Header=BB373_2082 Depth=1
	v_lshrrev_b32_e32 v5, 24, v13
	v_bfrev_b32_e32 v35, 1
	s_mov_b32 s21, exec_lo
	s_delay_alu instid0(VALU_DEP_2)
	v_cmpx_ne_u32_e32 0x80, v5
	s_cbranch_execz .LBB373_2561
; %bb.2556:                             ;   in Loop: Header=BB373_2082 Depth=1
	v_and_b32_e32 v15, 0x7f, v5
	v_mov_b32_e32 v35, 0x7fc02000
	s_mov_b32 s22, exec_lo
	s_delay_alu instid0(VALU_DEP_2)
	v_cmpx_ne_u32_e32 0x7f, v15
	s_cbranch_execz .LBB373_2560
; %bb.2557:                             ;   in Loop: Header=BB373_2082 Depth=1
	v_and_b32_e32 v2, 7, v5
	v_lshrrev_b32_e32 v35, 3, v15
	v_cmp_gt_u32_e64 s8, 8, v15
	s_delay_alu instid0(VALU_DEP_3) | instskip(NEXT) | instid1(VALU_DEP_2)
	v_dual_mov_b32 v16, v3 :: v_dual_mov_b32 v15, v2
	s_and_saveexec_b32 s23, s8
; %bb.2558:                             ;   in Loop: Header=BB373_2082 Depth=1
	v_clz_i32_u32_e32 v15, v2
	s_delay_alu instid0(VALU_DEP_1) | instskip(NEXT) | instid1(VALU_DEP_1)
	v_min_u32_e32 v26, 32, v15
	v_subrev_nc_u32_e32 v15, 28, v26
	v_sub_nc_u32_e32 v35, 29, v26
	s_delay_alu instid0(VALU_DEP_2) | instskip(NEXT) | instid1(VALU_DEP_1)
	v_lshlrev_b64 v[15:16], v15, v[2:3]
	v_and_b32_e32 v15, 7, v15
; %bb.2559:                             ;   in Loop: Header=BB373_2082 Depth=1
	s_or_b32 exec_lo, exec_lo, s23
	v_lshlrev_b32_e32 v2, 8, v5
	v_lshl_add_u32 v5, v35, 10, 0x2000
	s_delay_alu instid0(VALU_DEP_1) | instskip(NEXT) | instid1(VALU_DEP_1)
	v_and_or_b32 v2, 0x8000, v2, v5
	v_lshl_or_b32 v2, v15, 7, v2
	s_delay_alu instid0(VALU_DEP_1)
	v_cvt_f32_f16_e32 v35, v2
.LBB373_2560:                           ;   in Loop: Header=BB373_2082 Depth=1
	s_or_b32 exec_lo, exec_lo, s22
.LBB373_2561:                           ;   in Loop: Header=BB373_2082 Depth=1
	s_delay_alu instid0(SALU_CYCLE_1)
	s_or_b32 exec_lo, exec_lo, s21
.LBB373_2562:                           ;   in Loop: Header=BB373_2082 Depth=1
	s_delay_alu instid0(SALU_CYCLE_1) | instskip(SKIP_2) | instid1(VALU_DEP_1)
	s_or_b32 exec_lo, exec_lo, s19
	v_dual_mov_b32 v2, v14 :: v_dual_and_b32 v5, 0xff, v14
	s_mov_b32 s19, exec_lo
	v_cmpx_ne_u16_e32 0, v5
	s_cbranch_execz .LBB373_2570
; %bb.2563:                             ;   in Loop: Header=BB373_2082 Depth=1
	v_bfrev_b32_e32 v34, 1
	s_mov_b32 s21, exec_lo
	v_cmpx_ne_u16_e32 0x80, v5
	s_cbranch_execz .LBB373_2569
; %bb.2564:                             ;   in Loop: Header=BB373_2082 Depth=1
	v_and_b32_e32 v15, 0x7f, v14
	v_mov_b32_e32 v34, 0x7fc02000
	s_mov_b32 s22, exec_lo
	s_delay_alu instid0(VALU_DEP_2)
	v_cmpx_ne_u32_e32 0x7f, v15
	s_cbranch_execz .LBB373_2568
; %bb.2565:                             ;   in Loop: Header=BB373_2082 Depth=1
	v_lshrrev_b32_e32 v5, 3, v15
	v_cmp_gt_u32_e64 s8, 8, v15
	v_dual_mov_b32 v16, v3 :: v_dual_mov_b32 v15, v2
	s_delay_alu instid0(VALU_DEP_2)
	s_and_saveexec_b32 s23, s8
; %bb.2566:                             ;   in Loop: Header=BB373_2082 Depth=1
	v_and_b32_e32 v5, 7, v14
	s_delay_alu instid0(VALU_DEP_1) | instskip(NEXT) | instid1(VALU_DEP_1)
	v_clz_i32_u32_e32 v5, v5
	v_min_u32_e32 v5, 32, v5
	s_delay_alu instid0(VALU_DEP_1) | instskip(SKIP_1) | instid1(VALU_DEP_2)
	v_subrev_nc_u32_e32 v15, 28, v5
	v_sub_nc_u32_e32 v5, 29, v5
	v_lshlrev_b64 v[15:16], v15, v[2:3]
; %bb.2567:                             ;   in Loop: Header=BB373_2082 Depth=1
	s_or_b32 exec_lo, exec_lo, s23
	v_lshlrev_b32_e32 v16, 8, v14
	s_delay_alu instid0(VALU_DEP_3) | instskip(NEXT) | instid1(VALU_DEP_3)
	v_lshl_add_u32 v5, v5, 10, 0x2000
	v_lshlrev_b32_e32 v15, 7, v15
	s_delay_alu instid0(VALU_DEP_2) | instskip(NEXT) | instid1(VALU_DEP_1)
	v_and_or_b32 v5, 0x8000, v16, v5
	v_and_or_b32 v5, 0x380, v15, v5
	s_delay_alu instid0(VALU_DEP_1)
	v_cvt_f32_f16_e32 v34, v5
.LBB373_2568:                           ;   in Loop: Header=BB373_2082 Depth=1
	s_or_b32 exec_lo, exec_lo, s22
.LBB373_2569:                           ;   in Loop: Header=BB373_2082 Depth=1
	s_delay_alu instid0(SALU_CYCLE_1)
	s_or_b32 exec_lo, exec_lo, s21
.LBB373_2570:                           ;   in Loop: Header=BB373_2082 Depth=1
	s_delay_alu instid0(SALU_CYCLE_1) | instskip(SKIP_3) | instid1(VALU_DEP_2)
	s_or_b32 exec_lo, exec_lo, s19
	v_lshrrev_b16 v2, 8, v2
	v_dual_mov_b32 v36, 0 :: v_dual_mov_b32 v37, 0
	s_mov_b32 s19, exec_lo
	v_cmpx_ne_u16_e32 0, v2
	s_cbranch_execz .LBB373_2578
; %bb.2571:                             ;   in Loop: Header=BB373_2082 Depth=1
	v_bfrev_b32_e32 v37, 1
	s_mov_b32 s21, exec_lo
	v_cmpx_ne_u16_e32 0x80, v2
	s_cbranch_execz .LBB373_2577
; %bb.2572:                             ;   in Loop: Header=BB373_2082 Depth=1
	v_and_b32_e32 v5, 0xffff, v2
	v_mov_b32_e32 v37, 0x7fc02000
	s_mov_b32 s22, exec_lo
	s_delay_alu instid0(VALU_DEP_2) | instskip(NEXT) | instid1(VALU_DEP_1)
	v_and_b32_e32 v15, 0x7f, v5
	v_cmpx_ne_u32_e32 0x7f, v15
	s_cbranch_execz .LBB373_2576
; %bb.2573:                             ;   in Loop: Header=BB373_2082 Depth=1
	v_and_b32_e32 v2, 7, v5
	v_lshrrev_b32_e32 v37, 3, v15
	v_cmp_gt_u32_e64 s8, 8, v15
	s_delay_alu instid0(VALU_DEP_3) | instskip(NEXT) | instid1(VALU_DEP_2)
	v_dual_mov_b32 v16, v3 :: v_dual_mov_b32 v15, v2
	s_and_saveexec_b32 s23, s8
; %bb.2574:                             ;   in Loop: Header=BB373_2082 Depth=1
	v_clz_i32_u32_e32 v15, v2
	s_delay_alu instid0(VALU_DEP_1) | instskip(NEXT) | instid1(VALU_DEP_1)
	v_min_u32_e32 v26, 32, v15
	v_subrev_nc_u32_e32 v15, 28, v26
	v_sub_nc_u32_e32 v37, 29, v26
	s_delay_alu instid0(VALU_DEP_2) | instskip(NEXT) | instid1(VALU_DEP_1)
	v_lshlrev_b64 v[15:16], v15, v[2:3]
	v_and_b32_e32 v15, 7, v15
; %bb.2575:                             ;   in Loop: Header=BB373_2082 Depth=1
	s_or_b32 exec_lo, exec_lo, s23
	v_lshlrev_b32_e32 v2, 8, v5
	v_lshl_add_u32 v5, v37, 10, 0x2000
	s_delay_alu instid0(VALU_DEP_1) | instskip(NEXT) | instid1(VALU_DEP_1)
	v_and_or_b32 v2, 0x8000, v2, v5
	v_lshl_or_b32 v2, v15, 7, v2
	s_delay_alu instid0(VALU_DEP_1)
	v_cvt_f32_f16_e32 v37, v2
.LBB373_2576:                           ;   in Loop: Header=BB373_2082 Depth=1
	s_or_b32 exec_lo, exec_lo, s22
.LBB373_2577:                           ;   in Loop: Header=BB373_2082 Depth=1
	s_delay_alu instid0(SALU_CYCLE_1)
	s_or_b32 exec_lo, exec_lo, s21
.LBB373_2578:                           ;   in Loop: Header=BB373_2082 Depth=1
	s_delay_alu instid0(SALU_CYCLE_1) | instskip(SKIP_2) | instid1(VALU_DEP_1)
	s_or_b32 exec_lo, exec_lo, s19
	v_lshrrev_b32_e32 v5, 16, v14
	s_mov_b32 s19, exec_lo
	v_and_b32_e32 v2, 0xff, v5
	s_delay_alu instid0(VALU_DEP_1)
	v_cmpx_ne_u16_e32 0, v2
	s_cbranch_execz .LBB373_2586
; %bb.2579:                             ;   in Loop: Header=BB373_2082 Depth=1
	v_bfrev_b32_e32 v36, 1
	s_mov_b32 s21, exec_lo
	v_cmpx_ne_u16_e32 0x80, v2
	s_cbranch_execz .LBB373_2585
; %bb.2580:                             ;   in Loop: Header=BB373_2082 Depth=1
	v_bfe_u32 v15, v14, 16, 7
	v_mov_b32_e32 v36, 0x7fc02000
	s_mov_b32 s22, exec_lo
	s_delay_alu instid0(VALU_DEP_2)
	v_cmpx_ne_u32_e32 0x7f, v15
	s_cbranch_execz .LBB373_2584
; %bb.2581:                             ;   in Loop: Header=BB373_2082 Depth=1
	v_and_b32_e32 v2, 7, v5
	v_lshrrev_b32_e32 v36, 3, v15
	v_cmp_gt_u32_e64 s8, 8, v15
	s_delay_alu instid0(VALU_DEP_3) | instskip(NEXT) | instid1(VALU_DEP_2)
	v_dual_mov_b32 v16, v3 :: v_dual_mov_b32 v15, v2
	s_and_saveexec_b32 s23, s8
; %bb.2582:                             ;   in Loop: Header=BB373_2082 Depth=1
	v_clz_i32_u32_e32 v15, v2
	s_delay_alu instid0(VALU_DEP_1) | instskip(NEXT) | instid1(VALU_DEP_1)
	v_min_u32_e32 v26, 32, v15
	v_subrev_nc_u32_e32 v15, 28, v26
	v_sub_nc_u32_e32 v36, 29, v26
	s_delay_alu instid0(VALU_DEP_2) | instskip(NEXT) | instid1(VALU_DEP_1)
	v_lshlrev_b64 v[15:16], v15, v[2:3]
	v_and_b32_e32 v15, 7, v15
; %bb.2583:                             ;   in Loop: Header=BB373_2082 Depth=1
	s_or_b32 exec_lo, exec_lo, s23
	v_lshlrev_b32_e32 v2, 8, v5
	v_lshl_add_u32 v5, v36, 10, 0x2000
	s_delay_alu instid0(VALU_DEP_1) | instskip(NEXT) | instid1(VALU_DEP_1)
	v_and_or_b32 v2, 0x8000, v2, v5
	v_lshl_or_b32 v2, v15, 7, v2
	s_delay_alu instid0(VALU_DEP_1)
	v_cvt_f32_f16_e32 v36, v2
.LBB373_2584:                           ;   in Loop: Header=BB373_2082 Depth=1
	s_or_b32 exec_lo, exec_lo, s22
.LBB373_2585:                           ;   in Loop: Header=BB373_2082 Depth=1
	s_delay_alu instid0(SALU_CYCLE_1)
	s_or_b32 exec_lo, exec_lo, s21
.LBB373_2586:                           ;   in Loop: Header=BB373_2082 Depth=1
	s_delay_alu instid0(SALU_CYCLE_1)
	s_or_b32 exec_lo, exec_lo, s19
	v_dual_mov_b32 v5, 0 :: v_dual_mov_b32 v2, 0
	s_mov_b32 s19, exec_lo
	v_cmpx_lt_u64_e64 s[12:13], v[13:14]
	s_cbranch_execz .LBB373_2594
; %bb.2587:                             ;   in Loop: Header=BB373_2082 Depth=1
	v_lshrrev_b32_e32 v15, 24, v14
	v_bfrev_b32_e32 v2, 1
	s_mov_b32 s21, exec_lo
	s_delay_alu instid0(VALU_DEP_2)
	v_cmpx_ne_u32_e32 0x80, v15
	s_cbranch_execz .LBB373_2593
; %bb.2588:                             ;   in Loop: Header=BB373_2082 Depth=1
	v_and_b32_e32 v13, 0x7f, v15
	v_mov_b32_e32 v2, 0x7fc02000
	s_mov_b32 s22, exec_lo
	s_delay_alu instid0(VALU_DEP_2)
	v_cmpx_ne_u32_e32 0x7f, v13
	s_cbranch_execz .LBB373_2592
; %bb.2589:                             ;   in Loop: Header=BB373_2082 Depth=1
	v_and_b32_e32 v2, 7, v15
	v_lshrrev_b32_e32 v16, 3, v13
	v_cmp_gt_u32_e64 s8, 8, v13
	s_delay_alu instid0(VALU_DEP_3) | instskip(NEXT) | instid1(VALU_DEP_2)
	v_dual_mov_b32 v14, v3 :: v_dual_mov_b32 v13, v2
	s_and_saveexec_b32 s23, s8
; %bb.2590:                             ;   in Loop: Header=BB373_2082 Depth=1
	v_clz_i32_u32_e32 v13, v2
	s_delay_alu instid0(VALU_DEP_1) | instskip(NEXT) | instid1(VALU_DEP_1)
	v_min_u32_e32 v16, 32, v13
	v_subrev_nc_u32_e32 v13, 28, v16
	v_sub_nc_u32_e32 v16, 29, v16
	s_delay_alu instid0(VALU_DEP_2) | instskip(NEXT) | instid1(VALU_DEP_1)
	v_lshlrev_b64 v[13:14], v13, v[2:3]
	v_and_b32_e32 v13, 7, v13
; %bb.2591:                             ;   in Loop: Header=BB373_2082 Depth=1
	s_or_b32 exec_lo, exec_lo, s23
	v_lshlrev_b32_e32 v2, 8, v15
	v_lshl_add_u32 v14, v16, 10, 0x2000
	s_delay_alu instid0(VALU_DEP_1) | instskip(NEXT) | instid1(VALU_DEP_1)
	v_and_or_b32 v2, 0x8000, v2, v14
	v_lshl_or_b32 v2, v13, 7, v2
	s_delay_alu instid0(VALU_DEP_1)
	v_cvt_f32_f16_e32 v2, v2
.LBB373_2592:                           ;   in Loop: Header=BB373_2082 Depth=1
	s_or_b32 exec_lo, exec_lo, s22
.LBB373_2593:                           ;   in Loop: Header=BB373_2082 Depth=1
	s_delay_alu instid0(SALU_CYCLE_1)
	s_or_b32 exec_lo, exec_lo, s21
.LBB373_2594:                           ;   in Loop: Header=BB373_2082 Depth=1
	s_delay_alu instid0(SALU_CYCLE_1)
	s_or_b32 exec_lo, exec_lo, s19
	s_waitcnt vmcnt(0) lgkmcnt(0)
	v_fma_mixlo_f16 v13, v6, v35, 0
	v_fma_mixlo_f16 v14, v6, v23, 0
	;; [unrolled: 1-line block ×6, first 2 shown]
	v_lshlrev_b32_e32 v22, 16, v13
	v_and_b32_e32 v26, 0xffff, v14
	v_lshlrev_b32_e32 v27, 16, v15
	v_and_b32_e32 v34, 0xffff, v4
	v_cndmask_b32_e32 v4, 0, v4, vcc_lo
	v_lshlrev_b32_e32 v35, 16, v16
	v_and_b32_e32 v37, 0xffff, v23
	v_fma_mixlo_f16 v2, v6, v2, 0
	v_fma_mixlo_f16 v6, v6, v36, 0
	v_cndmask_b32_e64 v15, 0, v15, s0
	v_or_b32_e32 v22, v22, v26
	v_or_b32_e32 v26, v27, v34
	;; [unrolled: 1-line block ×3, first 2 shown]
	v_lshlrev_b32_e32 v34, 16, v2
	v_and_b32_e32 v35, 0xffff, v6
	v_cndmask_b32_e64 v14, 0, v14, s2
	v_cndmask_b32_e64 v13, 0, v13, s4
	;; [unrolled: 1-line block ×6, first 2 shown]
	v_perm_b32 v4, v15, v4, 0x5040100
	v_or_b32_e32 v34, v34, v35
	v_perm_b32 v13, v13, v14, 0x5040100
	v_perm_b32 v14, v16, v23, 0x5040100
	;; [unrolled: 1-line block ×3, first 2 shown]
	v_cndmask_b32_e64 v4, v26, v4, s1
	;;#ASMSTART
	v_pk_mul_f16 v4, v130, v4;

	;;#ASMEND
	v_cndmask_b32_e64 v6, v22, v13, s1
	v_cndmask_b32_e64 v13, v27, v14, s1
	;; [unrolled: 1-line block ×3, first 2 shown]
	;;#ASMSTART
	v_pk_mul_f16 v6, v129, v6;

	;;#ASMEND
	;;#ASMSTART
	v_pk_mul_f16 v13, v128, v13;

	;;#ASMEND
	;; [unrolled: 4-line block ×3, first 2 shown]
	;;#ASMSTART
	v_pk_add_f16 v4, v4, v6;

	;;#ASMEND
	;;#ASMSTART
	v_pk_add_f16 v4, v4, v13;

	;;#ASMEND
	;; [unrolled: 4-line block ×3, first 2 shown]
	v_and_b32_e32 v4, 0xffff, v2
	v_lshrrev_b32_e32 v2, 16, v2
	;;#ASMSTART
	v_cvt_f32_f16 v162, v4;
	;;#ASMEND
	;;#ASMSTART
	v_cvt_f32_f16 v163, v2;
	;;#ASMEND
	flat_load_b64 v[13:14], v[11:12] offset:2048
	flat_load_b32 v6, v[121:122]
	s_mov_b32 s19, exec_lo
	s_waitcnt vmcnt(1) lgkmcnt(1)
	v_and_b32_e32 v2, 0xff, v13
	s_delay_alu instid0(VALU_DEP_1)
	v_cmpx_ne_u16_e32 0, v2
	s_cbranch_execz .LBB373_2602
; %bb.2595:                             ;   in Loop: Header=BB373_2082 Depth=1
	v_bfrev_b32_e32 v5, 1
	s_mov_b32 s21, exec_lo
	v_cmpx_ne_u16_e32 0x80, v2
	s_cbranch_execz .LBB373_2601
; %bb.2596:                             ;   in Loop: Header=BB373_2082 Depth=1
	v_and_b32_e32 v4, 0x7f, v13
	v_mov_b32_e32 v5, 0x7fc02000
	s_mov_b32 s22, exec_lo
	s_delay_alu instid0(VALU_DEP_2)
	v_cmpx_ne_u32_e32 0x7f, v4
	s_cbranch_execz .LBB373_2600
; %bb.2597:                             ;   in Loop: Header=BB373_2082 Depth=1
	v_lshrrev_b32_e32 v2, 3, v4
	v_dual_mov_b32 v16, v14 :: v_dual_mov_b32 v15, v13
	s_mov_b32 s23, exec_lo
	v_cmpx_gt_u32_e32 8, v4
; %bb.2598:                             ;   in Loop: Header=BB373_2082 Depth=1
	v_and_b32_e32 v2, 7, v13
	s_delay_alu instid0(VALU_DEP_1) | instskip(NEXT) | instid1(VALU_DEP_1)
	v_clz_i32_u32_e32 v2, v2
	v_min_u32_e32 v2, 32, v2
	s_delay_alu instid0(VALU_DEP_1) | instskip(SKIP_1) | instid1(VALU_DEP_2)
	v_subrev_nc_u32_e32 v4, 28, v2
	v_sub_nc_u32_e32 v2, 29, v2
	v_lshlrev_b64 v[15:16], v4, v[13:14]
; %bb.2599:                             ;   in Loop: Header=BB373_2082 Depth=1
	s_or_b32 exec_lo, exec_lo, s23
	v_lshlrev_b32_e32 v4, 8, v13
	s_delay_alu instid0(VALU_DEP_3) | instskip(NEXT) | instid1(VALU_DEP_3)
	v_lshl_add_u32 v2, v2, 10, 0x2000
	v_lshlrev_b32_e32 v5, 7, v15
	s_delay_alu instid0(VALU_DEP_2) | instskip(NEXT) | instid1(VALU_DEP_1)
	v_and_or_b32 v2, 0x8000, v4, v2
	v_and_or_b32 v2, 0x380, v5, v2
	s_delay_alu instid0(VALU_DEP_1)
	v_cvt_f32_f16_e32 v5, v2
.LBB373_2600:                           ;   in Loop: Header=BB373_2082 Depth=1
	s_or_b32 exec_lo, exec_lo, s22
.LBB373_2601:                           ;   in Loop: Header=BB373_2082 Depth=1
	s_delay_alu instid0(SALU_CYCLE_1)
	s_or_b32 exec_lo, exec_lo, s21
.LBB373_2602:                           ;   in Loop: Header=BB373_2082 Depth=1
	s_delay_alu instid0(SALU_CYCLE_1) | instskip(SKIP_3) | instid1(VALU_DEP_2)
	s_or_b32 exec_lo, exec_lo, s19
	v_lshrrev_b16 v2, 8, v13
	v_dual_mov_b32 v23, 0 :: v_dual_mov_b32 v22, 0
	s_mov_b32 s19, exec_lo
	v_cmpx_ne_u16_e32 0, v2
	s_cbranch_execz .LBB373_2610
; %bb.2603:                             ;   in Loop: Header=BB373_2082 Depth=1
	v_bfrev_b32_e32 v22, 1
	s_mov_b32 s21, exec_lo
	v_cmpx_ne_u16_e32 0x80, v2
	s_cbranch_execz .LBB373_2609
; %bb.2604:                             ;   in Loop: Header=BB373_2082 Depth=1
	v_and_b32_e32 v4, 0xffff, v2
	v_mov_b32_e32 v22, 0x7fc02000
	s_mov_b32 s22, exec_lo
	s_delay_alu instid0(VALU_DEP_2) | instskip(NEXT) | instid1(VALU_DEP_1)
	v_and_b32_e32 v15, 0x7f, v4
	v_cmpx_ne_u32_e32 0x7f, v15
	s_cbranch_execz .LBB373_2608
; %bb.2605:                             ;   in Loop: Header=BB373_2082 Depth=1
	v_and_b32_e32 v2, 7, v4
	v_lshrrev_b32_e32 v22, 3, v15
	v_cmp_gt_u32_e64 s8, 8, v15
	s_delay_alu instid0(VALU_DEP_3) | instskip(NEXT) | instid1(VALU_DEP_2)
	v_dual_mov_b32 v16, v3 :: v_dual_mov_b32 v15, v2
	s_and_saveexec_b32 s23, s8
; %bb.2606:                             ;   in Loop: Header=BB373_2082 Depth=1
	v_clz_i32_u32_e32 v15, v2
	s_delay_alu instid0(VALU_DEP_1) | instskip(NEXT) | instid1(VALU_DEP_1)
	v_min_u32_e32 v22, 32, v15
	v_subrev_nc_u32_e32 v15, 28, v22
	v_sub_nc_u32_e32 v22, 29, v22
	s_delay_alu instid0(VALU_DEP_2) | instskip(NEXT) | instid1(VALU_DEP_1)
	v_lshlrev_b64 v[15:16], v15, v[2:3]
	v_and_b32_e32 v15, 7, v15
; %bb.2607:                             ;   in Loop: Header=BB373_2082 Depth=1
	s_or_b32 exec_lo, exec_lo, s23
	v_lshlrev_b32_e32 v2, 8, v4
	v_lshl_add_u32 v4, v22, 10, 0x2000
	s_delay_alu instid0(VALU_DEP_1) | instskip(NEXT) | instid1(VALU_DEP_1)
	v_and_or_b32 v2, 0x8000, v2, v4
	v_lshl_or_b32 v2, v15, 7, v2
	s_delay_alu instid0(VALU_DEP_1)
	v_cvt_f32_f16_e32 v22, v2
.LBB373_2608:                           ;   in Loop: Header=BB373_2082 Depth=1
	s_or_b32 exec_lo, exec_lo, s22
.LBB373_2609:                           ;   in Loop: Header=BB373_2082 Depth=1
	s_delay_alu instid0(SALU_CYCLE_1)
	s_or_b32 exec_lo, exec_lo, s21
.LBB373_2610:                           ;   in Loop: Header=BB373_2082 Depth=1
	s_delay_alu instid0(SALU_CYCLE_1) | instskip(SKIP_2) | instid1(VALU_DEP_1)
	s_or_b32 exec_lo, exec_lo, s19
	v_lshrrev_b32_e32 v4, 16, v13
	s_mov_b32 s19, exec_lo
	v_and_b32_e32 v2, 0xff, v4
	s_delay_alu instid0(VALU_DEP_1)
	v_cmpx_ne_u16_e32 0, v2
	s_cbranch_execz .LBB373_2618
; %bb.2611:                             ;   in Loop: Header=BB373_2082 Depth=1
	v_bfrev_b32_e32 v23, 1
	s_mov_b32 s21, exec_lo
	v_cmpx_ne_u16_e32 0x80, v2
	s_cbranch_execz .LBB373_2617
; %bb.2612:                             ;   in Loop: Header=BB373_2082 Depth=1
	v_bfe_u32 v15, v13, 16, 7
	v_mov_b32_e32 v23, 0x7fc02000
	s_mov_b32 s22, exec_lo
	s_delay_alu instid0(VALU_DEP_2)
	v_cmpx_ne_u32_e32 0x7f, v15
	s_cbranch_execz .LBB373_2616
; %bb.2613:                             ;   in Loop: Header=BB373_2082 Depth=1
	v_and_b32_e32 v2, 7, v4
	v_lshrrev_b32_e32 v23, 3, v15
	v_cmp_gt_u32_e64 s8, 8, v15
	s_delay_alu instid0(VALU_DEP_3) | instskip(NEXT) | instid1(VALU_DEP_2)
	v_dual_mov_b32 v16, v3 :: v_dual_mov_b32 v15, v2
	s_and_saveexec_b32 s23, s8
; %bb.2614:                             ;   in Loop: Header=BB373_2082 Depth=1
	v_clz_i32_u32_e32 v15, v2
	s_delay_alu instid0(VALU_DEP_1) | instskip(NEXT) | instid1(VALU_DEP_1)
	v_min_u32_e32 v23, 32, v15
	v_subrev_nc_u32_e32 v15, 28, v23
	v_sub_nc_u32_e32 v23, 29, v23
	s_delay_alu instid0(VALU_DEP_2) | instskip(NEXT) | instid1(VALU_DEP_1)
	v_lshlrev_b64 v[15:16], v15, v[2:3]
	v_and_b32_e32 v15, 7, v15
; %bb.2615:                             ;   in Loop: Header=BB373_2082 Depth=1
	s_or_b32 exec_lo, exec_lo, s23
	v_lshlrev_b32_e32 v2, 8, v4
	v_lshl_add_u32 v4, v23, 10, 0x2000
	s_delay_alu instid0(VALU_DEP_1) | instskip(NEXT) | instid1(VALU_DEP_1)
	v_and_or_b32 v2, 0x8000, v2, v4
	v_lshl_or_b32 v2, v15, 7, v2
	s_delay_alu instid0(VALU_DEP_1)
	v_cvt_f32_f16_e32 v23, v2
.LBB373_2616:                           ;   in Loop: Header=BB373_2082 Depth=1
	s_or_b32 exec_lo, exec_lo, s22
.LBB373_2617:                           ;   in Loop: Header=BB373_2082 Depth=1
	s_delay_alu instid0(SALU_CYCLE_1)
	s_or_b32 exec_lo, exec_lo, s21
.LBB373_2618:                           ;   in Loop: Header=BB373_2082 Depth=1
	s_delay_alu instid0(SALU_CYCLE_1)
	s_or_b32 exec_lo, exec_lo, s19
	v_dual_mov_b32 v34, 0 :: v_dual_mov_b32 v35, 0
	s_mov_b32 s19, exec_lo
	v_cmpx_lt_u32_e32 0xffffff, v13
	s_cbranch_execz .LBB373_2626
; %bb.2619:                             ;   in Loop: Header=BB373_2082 Depth=1
	v_lshrrev_b32_e32 v4, 24, v13
	v_bfrev_b32_e32 v35, 1
	s_mov_b32 s21, exec_lo
	s_delay_alu instid0(VALU_DEP_2)
	v_cmpx_ne_u32_e32 0x80, v4
	s_cbranch_execz .LBB373_2625
; %bb.2620:                             ;   in Loop: Header=BB373_2082 Depth=1
	v_and_b32_e32 v15, 0x7f, v4
	v_mov_b32_e32 v35, 0x7fc02000
	s_mov_b32 s22, exec_lo
	s_delay_alu instid0(VALU_DEP_2)
	v_cmpx_ne_u32_e32 0x7f, v15
	s_cbranch_execz .LBB373_2624
; %bb.2621:                             ;   in Loop: Header=BB373_2082 Depth=1
	v_and_b32_e32 v2, 7, v4
	v_lshrrev_b32_e32 v35, 3, v15
	v_cmp_gt_u32_e64 s8, 8, v15
	s_delay_alu instid0(VALU_DEP_3) | instskip(NEXT) | instid1(VALU_DEP_2)
	v_dual_mov_b32 v16, v3 :: v_dual_mov_b32 v15, v2
	s_and_saveexec_b32 s23, s8
; %bb.2622:                             ;   in Loop: Header=BB373_2082 Depth=1
	v_clz_i32_u32_e32 v15, v2
	s_delay_alu instid0(VALU_DEP_1) | instskip(NEXT) | instid1(VALU_DEP_1)
	v_min_u32_e32 v26, 32, v15
	v_subrev_nc_u32_e32 v15, 28, v26
	v_sub_nc_u32_e32 v35, 29, v26
	s_delay_alu instid0(VALU_DEP_2) | instskip(NEXT) | instid1(VALU_DEP_1)
	v_lshlrev_b64 v[15:16], v15, v[2:3]
	v_and_b32_e32 v15, 7, v15
; %bb.2623:                             ;   in Loop: Header=BB373_2082 Depth=1
	s_or_b32 exec_lo, exec_lo, s23
	v_lshlrev_b32_e32 v2, 8, v4
	v_lshl_add_u32 v4, v35, 10, 0x2000
	s_delay_alu instid0(VALU_DEP_1) | instskip(NEXT) | instid1(VALU_DEP_1)
	v_and_or_b32 v2, 0x8000, v2, v4
	v_lshl_or_b32 v2, v15, 7, v2
	s_delay_alu instid0(VALU_DEP_1)
	v_cvt_f32_f16_e32 v35, v2
.LBB373_2624:                           ;   in Loop: Header=BB373_2082 Depth=1
	s_or_b32 exec_lo, exec_lo, s22
.LBB373_2625:                           ;   in Loop: Header=BB373_2082 Depth=1
	s_delay_alu instid0(SALU_CYCLE_1)
	s_or_b32 exec_lo, exec_lo, s21
.LBB373_2626:                           ;   in Loop: Header=BB373_2082 Depth=1
	s_delay_alu instid0(SALU_CYCLE_1) | instskip(SKIP_3) | instid1(VALU_DEP_2)
	s_or_b32 exec_lo, exec_lo, s19
	v_and_b32_e32 v4, 0xff, v14
	v_mov_b32_e32 v2, v14
	s_mov_b32 s19, exec_lo
	v_cmpx_ne_u16_e32 0, v4
	s_cbranch_execz .LBB373_2634
; %bb.2627:                             ;   in Loop: Header=BB373_2082 Depth=1
	v_bfrev_b32_e32 v34, 1
	s_mov_b32 s21, exec_lo
	v_cmpx_ne_u16_e32 0x80, v4
	s_cbranch_execz .LBB373_2633
; %bb.2628:                             ;   in Loop: Header=BB373_2082 Depth=1
	v_and_b32_e32 v15, 0x7f, v14
	v_mov_b32_e32 v34, 0x7fc02000
	s_mov_b32 s22, exec_lo
	s_delay_alu instid0(VALU_DEP_2)
	v_cmpx_ne_u32_e32 0x7f, v15
	s_cbranch_execz .LBB373_2632
; %bb.2629:                             ;   in Loop: Header=BB373_2082 Depth=1
	v_lshrrev_b32_e32 v4, 3, v15
	v_cmp_gt_u32_e64 s8, 8, v15
	v_dual_mov_b32 v16, v3 :: v_dual_mov_b32 v15, v2
	s_delay_alu instid0(VALU_DEP_2)
	s_and_saveexec_b32 s23, s8
; %bb.2630:                             ;   in Loop: Header=BB373_2082 Depth=1
	v_and_b32_e32 v4, 7, v14
	s_delay_alu instid0(VALU_DEP_1) | instskip(NEXT) | instid1(VALU_DEP_1)
	v_clz_i32_u32_e32 v4, v4
	v_min_u32_e32 v4, 32, v4
	s_delay_alu instid0(VALU_DEP_1) | instskip(SKIP_1) | instid1(VALU_DEP_2)
	v_subrev_nc_u32_e32 v15, 28, v4
	v_sub_nc_u32_e32 v4, 29, v4
	v_lshlrev_b64 v[15:16], v15, v[2:3]
; %bb.2631:                             ;   in Loop: Header=BB373_2082 Depth=1
	s_or_b32 exec_lo, exec_lo, s23
	v_lshlrev_b32_e32 v16, 8, v14
	s_delay_alu instid0(VALU_DEP_3) | instskip(NEXT) | instid1(VALU_DEP_3)
	v_lshl_add_u32 v4, v4, 10, 0x2000
	v_lshlrev_b32_e32 v15, 7, v15
	s_delay_alu instid0(VALU_DEP_2) | instskip(NEXT) | instid1(VALU_DEP_1)
	v_and_or_b32 v4, 0x8000, v16, v4
	v_and_or_b32 v4, 0x380, v15, v4
	s_delay_alu instid0(VALU_DEP_1)
	v_cvt_f32_f16_e32 v34, v4
.LBB373_2632:                           ;   in Loop: Header=BB373_2082 Depth=1
	s_or_b32 exec_lo, exec_lo, s22
.LBB373_2633:                           ;   in Loop: Header=BB373_2082 Depth=1
	s_delay_alu instid0(SALU_CYCLE_1)
	s_or_b32 exec_lo, exec_lo, s21
.LBB373_2634:                           ;   in Loop: Header=BB373_2082 Depth=1
	s_delay_alu instid0(SALU_CYCLE_1) | instskip(SKIP_3) | instid1(VALU_DEP_2)
	s_or_b32 exec_lo, exec_lo, s19
	v_lshrrev_b16 v2, 8, v2
	v_dual_mov_b32 v36, 0 :: v_dual_mov_b32 v37, 0
	s_mov_b32 s19, exec_lo
	v_cmpx_ne_u16_e32 0, v2
	s_cbranch_execz .LBB373_2642
; %bb.2635:                             ;   in Loop: Header=BB373_2082 Depth=1
	v_bfrev_b32_e32 v37, 1
	s_mov_b32 s21, exec_lo
	v_cmpx_ne_u16_e32 0x80, v2
	s_cbranch_execz .LBB373_2641
; %bb.2636:                             ;   in Loop: Header=BB373_2082 Depth=1
	v_and_b32_e32 v4, 0xffff, v2
	v_mov_b32_e32 v37, 0x7fc02000
	s_mov_b32 s22, exec_lo
	s_delay_alu instid0(VALU_DEP_2) | instskip(NEXT) | instid1(VALU_DEP_1)
	v_and_b32_e32 v15, 0x7f, v4
	v_cmpx_ne_u32_e32 0x7f, v15
	s_cbranch_execz .LBB373_2640
; %bb.2637:                             ;   in Loop: Header=BB373_2082 Depth=1
	v_and_b32_e32 v2, 7, v4
	v_lshrrev_b32_e32 v37, 3, v15
	v_cmp_gt_u32_e64 s8, 8, v15
	s_delay_alu instid0(VALU_DEP_3) | instskip(NEXT) | instid1(VALU_DEP_2)
	v_dual_mov_b32 v16, v3 :: v_dual_mov_b32 v15, v2
	s_and_saveexec_b32 s23, s8
; %bb.2638:                             ;   in Loop: Header=BB373_2082 Depth=1
	v_clz_i32_u32_e32 v15, v2
	s_delay_alu instid0(VALU_DEP_1) | instskip(NEXT) | instid1(VALU_DEP_1)
	v_min_u32_e32 v26, 32, v15
	v_subrev_nc_u32_e32 v15, 28, v26
	v_sub_nc_u32_e32 v37, 29, v26
	s_delay_alu instid0(VALU_DEP_2) | instskip(NEXT) | instid1(VALU_DEP_1)
	v_lshlrev_b64 v[15:16], v15, v[2:3]
	v_and_b32_e32 v15, 7, v15
; %bb.2639:                             ;   in Loop: Header=BB373_2082 Depth=1
	s_or_b32 exec_lo, exec_lo, s23
	v_lshlrev_b32_e32 v2, 8, v4
	v_lshl_add_u32 v4, v37, 10, 0x2000
	s_delay_alu instid0(VALU_DEP_1) | instskip(NEXT) | instid1(VALU_DEP_1)
	v_and_or_b32 v2, 0x8000, v2, v4
	v_lshl_or_b32 v2, v15, 7, v2
	s_delay_alu instid0(VALU_DEP_1)
	v_cvt_f32_f16_e32 v37, v2
.LBB373_2640:                           ;   in Loop: Header=BB373_2082 Depth=1
	s_or_b32 exec_lo, exec_lo, s22
.LBB373_2641:                           ;   in Loop: Header=BB373_2082 Depth=1
	s_delay_alu instid0(SALU_CYCLE_1)
	s_or_b32 exec_lo, exec_lo, s21
.LBB373_2642:                           ;   in Loop: Header=BB373_2082 Depth=1
	s_delay_alu instid0(SALU_CYCLE_1) | instskip(SKIP_2) | instid1(VALU_DEP_1)
	s_or_b32 exec_lo, exec_lo, s19
	v_lshrrev_b32_e32 v4, 16, v14
	s_mov_b32 s19, exec_lo
	v_and_b32_e32 v2, 0xff, v4
	s_delay_alu instid0(VALU_DEP_1)
	v_cmpx_ne_u16_e32 0, v2
	s_cbranch_execz .LBB373_2650
; %bb.2643:                             ;   in Loop: Header=BB373_2082 Depth=1
	v_bfrev_b32_e32 v36, 1
	s_mov_b32 s21, exec_lo
	v_cmpx_ne_u16_e32 0x80, v2
	s_cbranch_execz .LBB373_2649
; %bb.2644:                             ;   in Loop: Header=BB373_2082 Depth=1
	v_bfe_u32 v15, v14, 16, 7
	v_mov_b32_e32 v36, 0x7fc02000
	s_mov_b32 s22, exec_lo
	s_delay_alu instid0(VALU_DEP_2)
	v_cmpx_ne_u32_e32 0x7f, v15
	s_cbranch_execz .LBB373_2648
; %bb.2645:                             ;   in Loop: Header=BB373_2082 Depth=1
	v_and_b32_e32 v2, 7, v4
	v_lshrrev_b32_e32 v36, 3, v15
	v_cmp_gt_u32_e64 s8, 8, v15
	s_delay_alu instid0(VALU_DEP_3) | instskip(NEXT) | instid1(VALU_DEP_2)
	v_dual_mov_b32 v16, v3 :: v_dual_mov_b32 v15, v2
	s_and_saveexec_b32 s23, s8
; %bb.2646:                             ;   in Loop: Header=BB373_2082 Depth=1
	v_clz_i32_u32_e32 v15, v2
	s_delay_alu instid0(VALU_DEP_1) | instskip(NEXT) | instid1(VALU_DEP_1)
	v_min_u32_e32 v26, 32, v15
	v_subrev_nc_u32_e32 v15, 28, v26
	v_sub_nc_u32_e32 v36, 29, v26
	s_delay_alu instid0(VALU_DEP_2) | instskip(NEXT) | instid1(VALU_DEP_1)
	v_lshlrev_b64 v[15:16], v15, v[2:3]
	v_and_b32_e32 v15, 7, v15
; %bb.2647:                             ;   in Loop: Header=BB373_2082 Depth=1
	s_or_b32 exec_lo, exec_lo, s23
	v_lshlrev_b32_e32 v2, 8, v4
	v_lshl_add_u32 v4, v36, 10, 0x2000
	s_delay_alu instid0(VALU_DEP_1) | instskip(NEXT) | instid1(VALU_DEP_1)
	v_and_or_b32 v2, 0x8000, v2, v4
	v_lshl_or_b32 v2, v15, 7, v2
	s_delay_alu instid0(VALU_DEP_1)
	v_cvt_f32_f16_e32 v36, v2
.LBB373_2648:                           ;   in Loop: Header=BB373_2082 Depth=1
	s_or_b32 exec_lo, exec_lo, s22
.LBB373_2649:                           ;   in Loop: Header=BB373_2082 Depth=1
	s_delay_alu instid0(SALU_CYCLE_1)
	s_or_b32 exec_lo, exec_lo, s21
.LBB373_2650:                           ;   in Loop: Header=BB373_2082 Depth=1
	s_delay_alu instid0(SALU_CYCLE_1)
	s_or_b32 exec_lo, exec_lo, s19
	v_mov_b32_e32 v4, 0
	v_mov_b32_e32 v2, 0
	s_mov_b32 s19, exec_lo
	v_cmpx_lt_u64_e64 s[12:13], v[13:14]
	s_cbranch_execz .LBB373_2658
; %bb.2651:                             ;   in Loop: Header=BB373_2082 Depth=1
	v_lshrrev_b32_e32 v15, 24, v14
	v_bfrev_b32_e32 v2, 1
	s_mov_b32 s21, exec_lo
	s_delay_alu instid0(VALU_DEP_2)
	v_cmpx_ne_u32_e32 0x80, v15
	s_cbranch_execz .LBB373_2657
; %bb.2652:                             ;   in Loop: Header=BB373_2082 Depth=1
	v_and_b32_e32 v13, 0x7f, v15
	v_mov_b32_e32 v2, 0x7fc02000
	s_mov_b32 s22, exec_lo
	s_delay_alu instid0(VALU_DEP_2)
	v_cmpx_ne_u32_e32 0x7f, v13
	s_cbranch_execz .LBB373_2656
; %bb.2653:                             ;   in Loop: Header=BB373_2082 Depth=1
	v_and_b32_e32 v2, 7, v15
	v_lshrrev_b32_e32 v16, 3, v13
	v_cmp_gt_u32_e64 s8, 8, v13
	s_delay_alu instid0(VALU_DEP_3) | instskip(NEXT) | instid1(VALU_DEP_2)
	v_dual_mov_b32 v14, v3 :: v_dual_mov_b32 v13, v2
	s_and_saveexec_b32 s23, s8
; %bb.2654:                             ;   in Loop: Header=BB373_2082 Depth=1
	v_clz_i32_u32_e32 v13, v2
	s_delay_alu instid0(VALU_DEP_1) | instskip(NEXT) | instid1(VALU_DEP_1)
	v_min_u32_e32 v16, 32, v13
	v_subrev_nc_u32_e32 v13, 28, v16
	v_sub_nc_u32_e32 v16, 29, v16
	s_delay_alu instid0(VALU_DEP_2) | instskip(NEXT) | instid1(VALU_DEP_1)
	v_lshlrev_b64 v[13:14], v13, v[2:3]
	v_and_b32_e32 v13, 7, v13
; %bb.2655:                             ;   in Loop: Header=BB373_2082 Depth=1
	s_or_b32 exec_lo, exec_lo, s23
	v_lshlrev_b32_e32 v2, 8, v15
	v_lshl_add_u32 v14, v16, 10, 0x2000
	s_delay_alu instid0(VALU_DEP_1) | instskip(NEXT) | instid1(VALU_DEP_1)
	v_and_or_b32 v2, 0x8000, v2, v14
	v_lshl_or_b32 v2, v13, 7, v2
	s_delay_alu instid0(VALU_DEP_1)
	v_cvt_f32_f16_e32 v2, v2
.LBB373_2656:                           ;   in Loop: Header=BB373_2082 Depth=1
	s_or_b32 exec_lo, exec_lo, s22
.LBB373_2657:                           ;   in Loop: Header=BB373_2082 Depth=1
	s_delay_alu instid0(SALU_CYCLE_1)
	s_or_b32 exec_lo, exec_lo, s21
.LBB373_2658:                           ;   in Loop: Header=BB373_2082 Depth=1
	s_delay_alu instid0(SALU_CYCLE_1)
	s_or_b32 exec_lo, exec_lo, s19
	s_waitcnt vmcnt(0) lgkmcnt(0)
	v_fma_mixlo_f16 v13, v6, v35, 0
	v_fma_mixlo_f16 v14, v6, v23, 0
	v_fma_mixlo_f16 v15, v6, v22, 0
	v_fma_mixlo_f16 v5, v6, v5, 0
	v_fma_mixlo_f16 v16, v6, v37, 0
	v_fma_mixlo_f16 v23, v6, v34, 0
	v_lshlrev_b32_e32 v22, 16, v13
	v_and_b32_e32 v26, 0xffff, v14
	v_lshlrev_b32_e32 v27, 16, v15
	v_and_b32_e32 v34, 0xffff, v5
	v_cndmask_b32_e32 v5, 0, v5, vcc_lo
	v_lshlrev_b32_e32 v35, 16, v16
	v_and_b32_e32 v37, 0xffff, v23
	v_fma_mixlo_f16 v2, v6, v2, 0
	v_fma_mixlo_f16 v6, v6, v36, 0
	v_cndmask_b32_e64 v15, 0, v15, s0
	v_or_b32_e32 v22, v22, v26
	v_or_b32_e32 v26, v27, v34
	;; [unrolled: 1-line block ×3, first 2 shown]
	v_lshlrev_b32_e32 v34, 16, v2
	v_and_b32_e32 v35, 0xffff, v6
	v_cndmask_b32_e64 v14, 0, v14, s2
	v_cndmask_b32_e64 v13, 0, v13, s4
	;; [unrolled: 1-line block ×6, first 2 shown]
	v_perm_b32 v5, v15, v5, 0x5040100
	v_or_b32_e32 v34, v34, v35
	v_perm_b32 v13, v13, v14, 0x5040100
	v_perm_b32 v14, v16, v23, 0x5040100
	;; [unrolled: 1-line block ×3, first 2 shown]
	v_cndmask_b32_e64 v5, v26, v5, s1
	;;#ASMSTART
	v_pk_mul_f16 v5, v130, v5;

	;;#ASMEND
	v_cndmask_b32_e64 v6, v22, v13, s1
	v_cndmask_b32_e64 v13, v27, v14, s1
	;; [unrolled: 1-line block ×3, first 2 shown]
	;;#ASMSTART
	v_pk_mul_f16 v6, v129, v6;

	;;#ASMEND
	;;#ASMSTART
	v_pk_mul_f16 v13, v128, v13;

	;;#ASMEND
	;; [unrolled: 4-line block ×3, first 2 shown]
	;;#ASMSTART
	v_pk_add_f16 v5, v5, v6;

	;;#ASMEND
	;;#ASMSTART
	v_pk_add_f16 v5, v5, v13;

	;;#ASMEND
	;; [unrolled: 4-line block ×3, first 2 shown]
	v_and_b32_e32 v5, 0xffff, v2
	v_lshrrev_b32_e32 v2, 16, v2
	;;#ASMSTART
	v_cvt_f32_f16 v164, v5;
	;;#ASMEND
	;;#ASMSTART
	v_cvt_f32_f16 v165, v2;
	;;#ASMEND
	flat_load_b64 v[13:14], v[11:12] offset:2304
	flat_load_b32 v6, v[121:122]
	s_mov_b32 s19, exec_lo
	s_waitcnt vmcnt(1) lgkmcnt(1)
	v_and_b32_e32 v2, 0xff, v13
	s_delay_alu instid0(VALU_DEP_1)
	v_cmpx_ne_u16_e32 0, v2
	s_cbranch_execz .LBB373_2666
; %bb.2659:                             ;   in Loop: Header=BB373_2082 Depth=1
	v_bfrev_b32_e32 v4, 1
	s_mov_b32 s21, exec_lo
	v_cmpx_ne_u16_e32 0x80, v2
	s_cbranch_execz .LBB373_2665
; %bb.2660:                             ;   in Loop: Header=BB373_2082 Depth=1
	v_and_b32_e32 v5, 0x7f, v13
	v_mov_b32_e32 v4, 0x7fc02000
	s_mov_b32 s22, exec_lo
	s_delay_alu instid0(VALU_DEP_2)
	v_cmpx_ne_u32_e32 0x7f, v5
	s_cbranch_execz .LBB373_2664
; %bb.2661:                             ;   in Loop: Header=BB373_2082 Depth=1
	v_lshrrev_b32_e32 v2, 3, v5
	v_dual_mov_b32 v16, v14 :: v_dual_mov_b32 v15, v13
	s_mov_b32 s23, exec_lo
	v_cmpx_gt_u32_e32 8, v5
; %bb.2662:                             ;   in Loop: Header=BB373_2082 Depth=1
	v_and_b32_e32 v2, 7, v13
	s_delay_alu instid0(VALU_DEP_1) | instskip(NEXT) | instid1(VALU_DEP_1)
	v_clz_i32_u32_e32 v2, v2
	v_min_u32_e32 v2, 32, v2
	s_delay_alu instid0(VALU_DEP_1) | instskip(SKIP_1) | instid1(VALU_DEP_2)
	v_subrev_nc_u32_e32 v4, 28, v2
	v_sub_nc_u32_e32 v2, 29, v2
	v_lshlrev_b64 v[15:16], v4, v[13:14]
; %bb.2663:                             ;   in Loop: Header=BB373_2082 Depth=1
	s_or_b32 exec_lo, exec_lo, s23
	v_lshlrev_b32_e32 v4, 8, v13
	s_delay_alu instid0(VALU_DEP_3) | instskip(NEXT) | instid1(VALU_DEP_3)
	v_lshl_add_u32 v2, v2, 10, 0x2000
	v_lshlrev_b32_e32 v5, 7, v15
	s_delay_alu instid0(VALU_DEP_2) | instskip(NEXT) | instid1(VALU_DEP_1)
	v_and_or_b32 v2, 0x8000, v4, v2
	v_and_or_b32 v2, 0x380, v5, v2
	s_delay_alu instid0(VALU_DEP_1)
	v_cvt_f32_f16_e32 v4, v2
.LBB373_2664:                           ;   in Loop: Header=BB373_2082 Depth=1
	s_or_b32 exec_lo, exec_lo, s22
.LBB373_2665:                           ;   in Loop: Header=BB373_2082 Depth=1
	s_delay_alu instid0(SALU_CYCLE_1)
	s_or_b32 exec_lo, exec_lo, s21
.LBB373_2666:                           ;   in Loop: Header=BB373_2082 Depth=1
	s_delay_alu instid0(SALU_CYCLE_1) | instskip(SKIP_3) | instid1(VALU_DEP_2)
	s_or_b32 exec_lo, exec_lo, s19
	v_lshrrev_b16 v2, 8, v13
	v_dual_mov_b32 v23, 0 :: v_dual_mov_b32 v22, 0
	s_mov_b32 s19, exec_lo
	v_cmpx_ne_u16_e32 0, v2
	s_cbranch_execz .LBB373_2674
; %bb.2667:                             ;   in Loop: Header=BB373_2082 Depth=1
	v_bfrev_b32_e32 v22, 1
	s_mov_b32 s21, exec_lo
	v_cmpx_ne_u16_e32 0x80, v2
	s_cbranch_execz .LBB373_2673
; %bb.2668:                             ;   in Loop: Header=BB373_2082 Depth=1
	v_and_b32_e32 v5, 0xffff, v2
	v_mov_b32_e32 v22, 0x7fc02000
	s_mov_b32 s22, exec_lo
	s_delay_alu instid0(VALU_DEP_2) | instskip(NEXT) | instid1(VALU_DEP_1)
	v_and_b32_e32 v15, 0x7f, v5
	v_cmpx_ne_u32_e32 0x7f, v15
	s_cbranch_execz .LBB373_2672
; %bb.2669:                             ;   in Loop: Header=BB373_2082 Depth=1
	v_and_b32_e32 v2, 7, v5
	v_lshrrev_b32_e32 v22, 3, v15
	v_cmp_gt_u32_e64 s8, 8, v15
	s_delay_alu instid0(VALU_DEP_3) | instskip(NEXT) | instid1(VALU_DEP_2)
	v_dual_mov_b32 v16, v3 :: v_dual_mov_b32 v15, v2
	s_and_saveexec_b32 s23, s8
; %bb.2670:                             ;   in Loop: Header=BB373_2082 Depth=1
	v_clz_i32_u32_e32 v15, v2
	s_delay_alu instid0(VALU_DEP_1) | instskip(NEXT) | instid1(VALU_DEP_1)
	v_min_u32_e32 v22, 32, v15
	v_subrev_nc_u32_e32 v15, 28, v22
	v_sub_nc_u32_e32 v22, 29, v22
	s_delay_alu instid0(VALU_DEP_2) | instskip(NEXT) | instid1(VALU_DEP_1)
	v_lshlrev_b64 v[15:16], v15, v[2:3]
	v_and_b32_e32 v15, 7, v15
; %bb.2671:                             ;   in Loop: Header=BB373_2082 Depth=1
	s_or_b32 exec_lo, exec_lo, s23
	v_lshlrev_b32_e32 v2, 8, v5
	v_lshl_add_u32 v5, v22, 10, 0x2000
	s_delay_alu instid0(VALU_DEP_1) | instskip(NEXT) | instid1(VALU_DEP_1)
	v_and_or_b32 v2, 0x8000, v2, v5
	v_lshl_or_b32 v2, v15, 7, v2
	s_delay_alu instid0(VALU_DEP_1)
	v_cvt_f32_f16_e32 v22, v2
.LBB373_2672:                           ;   in Loop: Header=BB373_2082 Depth=1
	s_or_b32 exec_lo, exec_lo, s22
.LBB373_2673:                           ;   in Loop: Header=BB373_2082 Depth=1
	s_delay_alu instid0(SALU_CYCLE_1)
	s_or_b32 exec_lo, exec_lo, s21
.LBB373_2674:                           ;   in Loop: Header=BB373_2082 Depth=1
	s_delay_alu instid0(SALU_CYCLE_1) | instskip(SKIP_2) | instid1(VALU_DEP_1)
	s_or_b32 exec_lo, exec_lo, s19
	v_lshrrev_b32_e32 v5, 16, v13
	s_mov_b32 s19, exec_lo
	v_and_b32_e32 v2, 0xff, v5
	s_delay_alu instid0(VALU_DEP_1)
	v_cmpx_ne_u16_e32 0, v2
	s_cbranch_execz .LBB373_2682
; %bb.2675:                             ;   in Loop: Header=BB373_2082 Depth=1
	v_bfrev_b32_e32 v23, 1
	s_mov_b32 s21, exec_lo
	v_cmpx_ne_u16_e32 0x80, v2
	s_cbranch_execz .LBB373_2681
; %bb.2676:                             ;   in Loop: Header=BB373_2082 Depth=1
	v_bfe_u32 v15, v13, 16, 7
	v_mov_b32_e32 v23, 0x7fc02000
	s_mov_b32 s22, exec_lo
	s_delay_alu instid0(VALU_DEP_2)
	v_cmpx_ne_u32_e32 0x7f, v15
	s_cbranch_execz .LBB373_2680
; %bb.2677:                             ;   in Loop: Header=BB373_2082 Depth=1
	v_and_b32_e32 v2, 7, v5
	v_lshrrev_b32_e32 v23, 3, v15
	v_cmp_gt_u32_e64 s8, 8, v15
	s_delay_alu instid0(VALU_DEP_3) | instskip(NEXT) | instid1(VALU_DEP_2)
	v_dual_mov_b32 v16, v3 :: v_dual_mov_b32 v15, v2
	s_and_saveexec_b32 s23, s8
; %bb.2678:                             ;   in Loop: Header=BB373_2082 Depth=1
	v_clz_i32_u32_e32 v15, v2
	s_delay_alu instid0(VALU_DEP_1) | instskip(NEXT) | instid1(VALU_DEP_1)
	v_min_u32_e32 v23, 32, v15
	v_subrev_nc_u32_e32 v15, 28, v23
	v_sub_nc_u32_e32 v23, 29, v23
	s_delay_alu instid0(VALU_DEP_2) | instskip(NEXT) | instid1(VALU_DEP_1)
	v_lshlrev_b64 v[15:16], v15, v[2:3]
	v_and_b32_e32 v15, 7, v15
; %bb.2679:                             ;   in Loop: Header=BB373_2082 Depth=1
	s_or_b32 exec_lo, exec_lo, s23
	v_lshlrev_b32_e32 v2, 8, v5
	v_lshl_add_u32 v5, v23, 10, 0x2000
	s_delay_alu instid0(VALU_DEP_1) | instskip(NEXT) | instid1(VALU_DEP_1)
	v_and_or_b32 v2, 0x8000, v2, v5
	v_lshl_or_b32 v2, v15, 7, v2
	s_delay_alu instid0(VALU_DEP_1)
	v_cvt_f32_f16_e32 v23, v2
.LBB373_2680:                           ;   in Loop: Header=BB373_2082 Depth=1
	s_or_b32 exec_lo, exec_lo, s22
.LBB373_2681:                           ;   in Loop: Header=BB373_2082 Depth=1
	s_delay_alu instid0(SALU_CYCLE_1)
	s_or_b32 exec_lo, exec_lo, s21
.LBB373_2682:                           ;   in Loop: Header=BB373_2082 Depth=1
	s_delay_alu instid0(SALU_CYCLE_1)
	s_or_b32 exec_lo, exec_lo, s19
	v_dual_mov_b32 v34, 0 :: v_dual_mov_b32 v35, 0
	s_mov_b32 s19, exec_lo
	v_cmpx_lt_u32_e32 0xffffff, v13
	s_cbranch_execz .LBB373_2690
; %bb.2683:                             ;   in Loop: Header=BB373_2082 Depth=1
	v_lshrrev_b32_e32 v5, 24, v13
	v_bfrev_b32_e32 v35, 1
	s_mov_b32 s21, exec_lo
	s_delay_alu instid0(VALU_DEP_2)
	v_cmpx_ne_u32_e32 0x80, v5
	s_cbranch_execz .LBB373_2689
; %bb.2684:                             ;   in Loop: Header=BB373_2082 Depth=1
	v_and_b32_e32 v15, 0x7f, v5
	v_mov_b32_e32 v35, 0x7fc02000
	s_mov_b32 s22, exec_lo
	s_delay_alu instid0(VALU_DEP_2)
	v_cmpx_ne_u32_e32 0x7f, v15
	s_cbranch_execz .LBB373_2688
; %bb.2685:                             ;   in Loop: Header=BB373_2082 Depth=1
	v_and_b32_e32 v2, 7, v5
	v_lshrrev_b32_e32 v35, 3, v15
	v_cmp_gt_u32_e64 s8, 8, v15
	s_delay_alu instid0(VALU_DEP_3) | instskip(NEXT) | instid1(VALU_DEP_2)
	v_dual_mov_b32 v16, v3 :: v_dual_mov_b32 v15, v2
	s_and_saveexec_b32 s23, s8
; %bb.2686:                             ;   in Loop: Header=BB373_2082 Depth=1
	v_clz_i32_u32_e32 v15, v2
	s_delay_alu instid0(VALU_DEP_1) | instskip(NEXT) | instid1(VALU_DEP_1)
	v_min_u32_e32 v26, 32, v15
	v_subrev_nc_u32_e32 v15, 28, v26
	v_sub_nc_u32_e32 v35, 29, v26
	s_delay_alu instid0(VALU_DEP_2) | instskip(NEXT) | instid1(VALU_DEP_1)
	v_lshlrev_b64 v[15:16], v15, v[2:3]
	v_and_b32_e32 v15, 7, v15
; %bb.2687:                             ;   in Loop: Header=BB373_2082 Depth=1
	s_or_b32 exec_lo, exec_lo, s23
	v_lshlrev_b32_e32 v2, 8, v5
	v_lshl_add_u32 v5, v35, 10, 0x2000
	s_delay_alu instid0(VALU_DEP_1) | instskip(NEXT) | instid1(VALU_DEP_1)
	v_and_or_b32 v2, 0x8000, v2, v5
	v_lshl_or_b32 v2, v15, 7, v2
	s_delay_alu instid0(VALU_DEP_1)
	v_cvt_f32_f16_e32 v35, v2
.LBB373_2688:                           ;   in Loop: Header=BB373_2082 Depth=1
	s_or_b32 exec_lo, exec_lo, s22
.LBB373_2689:                           ;   in Loop: Header=BB373_2082 Depth=1
	s_delay_alu instid0(SALU_CYCLE_1)
	s_or_b32 exec_lo, exec_lo, s21
.LBB373_2690:                           ;   in Loop: Header=BB373_2082 Depth=1
	s_delay_alu instid0(SALU_CYCLE_1) | instskip(SKIP_2) | instid1(VALU_DEP_1)
	s_or_b32 exec_lo, exec_lo, s19
	v_dual_mov_b32 v2, v14 :: v_dual_and_b32 v5, 0xff, v14
	s_mov_b32 s19, exec_lo
	v_cmpx_ne_u16_e32 0, v5
	s_cbranch_execz .LBB373_2698
; %bb.2691:                             ;   in Loop: Header=BB373_2082 Depth=1
	v_bfrev_b32_e32 v34, 1
	s_mov_b32 s21, exec_lo
	v_cmpx_ne_u16_e32 0x80, v5
	s_cbranch_execz .LBB373_2697
; %bb.2692:                             ;   in Loop: Header=BB373_2082 Depth=1
	v_and_b32_e32 v15, 0x7f, v14
	v_mov_b32_e32 v34, 0x7fc02000
	s_mov_b32 s22, exec_lo
	s_delay_alu instid0(VALU_DEP_2)
	v_cmpx_ne_u32_e32 0x7f, v15
	s_cbranch_execz .LBB373_2696
; %bb.2693:                             ;   in Loop: Header=BB373_2082 Depth=1
	v_lshrrev_b32_e32 v5, 3, v15
	v_cmp_gt_u32_e64 s8, 8, v15
	v_dual_mov_b32 v16, v3 :: v_dual_mov_b32 v15, v2
	s_delay_alu instid0(VALU_DEP_2)
	s_and_saveexec_b32 s23, s8
; %bb.2694:                             ;   in Loop: Header=BB373_2082 Depth=1
	v_and_b32_e32 v5, 7, v14
	s_delay_alu instid0(VALU_DEP_1) | instskip(NEXT) | instid1(VALU_DEP_1)
	v_clz_i32_u32_e32 v5, v5
	v_min_u32_e32 v5, 32, v5
	s_delay_alu instid0(VALU_DEP_1) | instskip(SKIP_1) | instid1(VALU_DEP_2)
	v_subrev_nc_u32_e32 v15, 28, v5
	v_sub_nc_u32_e32 v5, 29, v5
	v_lshlrev_b64 v[15:16], v15, v[2:3]
; %bb.2695:                             ;   in Loop: Header=BB373_2082 Depth=1
	s_or_b32 exec_lo, exec_lo, s23
	v_lshlrev_b32_e32 v16, 8, v14
	s_delay_alu instid0(VALU_DEP_3) | instskip(NEXT) | instid1(VALU_DEP_3)
	v_lshl_add_u32 v5, v5, 10, 0x2000
	v_lshlrev_b32_e32 v15, 7, v15
	s_delay_alu instid0(VALU_DEP_2) | instskip(NEXT) | instid1(VALU_DEP_1)
	v_and_or_b32 v5, 0x8000, v16, v5
	v_and_or_b32 v5, 0x380, v15, v5
	s_delay_alu instid0(VALU_DEP_1)
	v_cvt_f32_f16_e32 v34, v5
.LBB373_2696:                           ;   in Loop: Header=BB373_2082 Depth=1
	s_or_b32 exec_lo, exec_lo, s22
.LBB373_2697:                           ;   in Loop: Header=BB373_2082 Depth=1
	s_delay_alu instid0(SALU_CYCLE_1)
	s_or_b32 exec_lo, exec_lo, s21
.LBB373_2698:                           ;   in Loop: Header=BB373_2082 Depth=1
	s_delay_alu instid0(SALU_CYCLE_1) | instskip(SKIP_3) | instid1(VALU_DEP_2)
	s_or_b32 exec_lo, exec_lo, s19
	v_lshrrev_b16 v2, 8, v2
	v_dual_mov_b32 v36, 0 :: v_dual_mov_b32 v37, 0
	s_mov_b32 s19, exec_lo
	v_cmpx_ne_u16_e32 0, v2
	s_cbranch_execz .LBB373_2706
; %bb.2699:                             ;   in Loop: Header=BB373_2082 Depth=1
	v_bfrev_b32_e32 v37, 1
	s_mov_b32 s21, exec_lo
	v_cmpx_ne_u16_e32 0x80, v2
	s_cbranch_execz .LBB373_2705
; %bb.2700:                             ;   in Loop: Header=BB373_2082 Depth=1
	v_and_b32_e32 v5, 0xffff, v2
	v_mov_b32_e32 v37, 0x7fc02000
	s_mov_b32 s22, exec_lo
	s_delay_alu instid0(VALU_DEP_2) | instskip(NEXT) | instid1(VALU_DEP_1)
	v_and_b32_e32 v15, 0x7f, v5
	v_cmpx_ne_u32_e32 0x7f, v15
	s_cbranch_execz .LBB373_2704
; %bb.2701:                             ;   in Loop: Header=BB373_2082 Depth=1
	v_and_b32_e32 v2, 7, v5
	v_lshrrev_b32_e32 v37, 3, v15
	v_cmp_gt_u32_e64 s8, 8, v15
	s_delay_alu instid0(VALU_DEP_3) | instskip(NEXT) | instid1(VALU_DEP_2)
	v_dual_mov_b32 v16, v3 :: v_dual_mov_b32 v15, v2
	s_and_saveexec_b32 s23, s8
; %bb.2702:                             ;   in Loop: Header=BB373_2082 Depth=1
	v_clz_i32_u32_e32 v15, v2
	s_delay_alu instid0(VALU_DEP_1) | instskip(NEXT) | instid1(VALU_DEP_1)
	v_min_u32_e32 v26, 32, v15
	v_subrev_nc_u32_e32 v15, 28, v26
	v_sub_nc_u32_e32 v37, 29, v26
	s_delay_alu instid0(VALU_DEP_2) | instskip(NEXT) | instid1(VALU_DEP_1)
	v_lshlrev_b64 v[15:16], v15, v[2:3]
	v_and_b32_e32 v15, 7, v15
; %bb.2703:                             ;   in Loop: Header=BB373_2082 Depth=1
	s_or_b32 exec_lo, exec_lo, s23
	v_lshlrev_b32_e32 v2, 8, v5
	v_lshl_add_u32 v5, v37, 10, 0x2000
	s_delay_alu instid0(VALU_DEP_1) | instskip(NEXT) | instid1(VALU_DEP_1)
	v_and_or_b32 v2, 0x8000, v2, v5
	v_lshl_or_b32 v2, v15, 7, v2
	s_delay_alu instid0(VALU_DEP_1)
	v_cvt_f32_f16_e32 v37, v2
.LBB373_2704:                           ;   in Loop: Header=BB373_2082 Depth=1
	s_or_b32 exec_lo, exec_lo, s22
.LBB373_2705:                           ;   in Loop: Header=BB373_2082 Depth=1
	s_delay_alu instid0(SALU_CYCLE_1)
	s_or_b32 exec_lo, exec_lo, s21
.LBB373_2706:                           ;   in Loop: Header=BB373_2082 Depth=1
	s_delay_alu instid0(SALU_CYCLE_1) | instskip(SKIP_2) | instid1(VALU_DEP_1)
	s_or_b32 exec_lo, exec_lo, s19
	v_lshrrev_b32_e32 v5, 16, v14
	s_mov_b32 s19, exec_lo
	v_and_b32_e32 v2, 0xff, v5
	s_delay_alu instid0(VALU_DEP_1)
	v_cmpx_ne_u16_e32 0, v2
	s_cbranch_execz .LBB373_2714
; %bb.2707:                             ;   in Loop: Header=BB373_2082 Depth=1
	v_bfrev_b32_e32 v36, 1
	s_mov_b32 s21, exec_lo
	v_cmpx_ne_u16_e32 0x80, v2
	s_cbranch_execz .LBB373_2713
; %bb.2708:                             ;   in Loop: Header=BB373_2082 Depth=1
	v_bfe_u32 v15, v14, 16, 7
	v_mov_b32_e32 v36, 0x7fc02000
	s_mov_b32 s22, exec_lo
	s_delay_alu instid0(VALU_DEP_2)
	v_cmpx_ne_u32_e32 0x7f, v15
	s_cbranch_execz .LBB373_2712
; %bb.2709:                             ;   in Loop: Header=BB373_2082 Depth=1
	v_and_b32_e32 v2, 7, v5
	v_lshrrev_b32_e32 v36, 3, v15
	v_cmp_gt_u32_e64 s8, 8, v15
	s_delay_alu instid0(VALU_DEP_3) | instskip(NEXT) | instid1(VALU_DEP_2)
	v_dual_mov_b32 v16, v3 :: v_dual_mov_b32 v15, v2
	s_and_saveexec_b32 s23, s8
; %bb.2710:                             ;   in Loop: Header=BB373_2082 Depth=1
	v_clz_i32_u32_e32 v15, v2
	s_delay_alu instid0(VALU_DEP_1) | instskip(NEXT) | instid1(VALU_DEP_1)
	v_min_u32_e32 v26, 32, v15
	v_subrev_nc_u32_e32 v15, 28, v26
	v_sub_nc_u32_e32 v36, 29, v26
	s_delay_alu instid0(VALU_DEP_2) | instskip(NEXT) | instid1(VALU_DEP_1)
	v_lshlrev_b64 v[15:16], v15, v[2:3]
	v_and_b32_e32 v15, 7, v15
; %bb.2711:                             ;   in Loop: Header=BB373_2082 Depth=1
	s_or_b32 exec_lo, exec_lo, s23
	v_lshlrev_b32_e32 v2, 8, v5
	v_lshl_add_u32 v5, v36, 10, 0x2000
	s_delay_alu instid0(VALU_DEP_1) | instskip(NEXT) | instid1(VALU_DEP_1)
	v_and_or_b32 v2, 0x8000, v2, v5
	v_lshl_or_b32 v2, v15, 7, v2
	s_delay_alu instid0(VALU_DEP_1)
	v_cvt_f32_f16_e32 v36, v2
.LBB373_2712:                           ;   in Loop: Header=BB373_2082 Depth=1
	s_or_b32 exec_lo, exec_lo, s22
.LBB373_2713:                           ;   in Loop: Header=BB373_2082 Depth=1
	s_delay_alu instid0(SALU_CYCLE_1)
	s_or_b32 exec_lo, exec_lo, s21
.LBB373_2714:                           ;   in Loop: Header=BB373_2082 Depth=1
	s_delay_alu instid0(SALU_CYCLE_1)
	s_or_b32 exec_lo, exec_lo, s19
	v_dual_mov_b32 v5, 0 :: v_dual_mov_b32 v2, 0
	s_mov_b32 s19, exec_lo
	v_cmpx_lt_u64_e64 s[12:13], v[13:14]
	s_cbranch_execz .LBB373_2722
; %bb.2715:                             ;   in Loop: Header=BB373_2082 Depth=1
	v_lshrrev_b32_e32 v15, 24, v14
	v_bfrev_b32_e32 v2, 1
	s_mov_b32 s21, exec_lo
	s_delay_alu instid0(VALU_DEP_2)
	v_cmpx_ne_u32_e32 0x80, v15
	s_cbranch_execz .LBB373_2721
; %bb.2716:                             ;   in Loop: Header=BB373_2082 Depth=1
	v_and_b32_e32 v13, 0x7f, v15
	v_mov_b32_e32 v2, 0x7fc02000
	s_mov_b32 s22, exec_lo
	s_delay_alu instid0(VALU_DEP_2)
	v_cmpx_ne_u32_e32 0x7f, v13
	s_cbranch_execz .LBB373_2720
; %bb.2717:                             ;   in Loop: Header=BB373_2082 Depth=1
	v_and_b32_e32 v2, 7, v15
	v_lshrrev_b32_e32 v16, 3, v13
	v_cmp_gt_u32_e64 s8, 8, v13
	s_delay_alu instid0(VALU_DEP_3) | instskip(NEXT) | instid1(VALU_DEP_2)
	v_dual_mov_b32 v14, v3 :: v_dual_mov_b32 v13, v2
	s_and_saveexec_b32 s23, s8
; %bb.2718:                             ;   in Loop: Header=BB373_2082 Depth=1
	v_clz_i32_u32_e32 v13, v2
	s_delay_alu instid0(VALU_DEP_1) | instskip(NEXT) | instid1(VALU_DEP_1)
	v_min_u32_e32 v16, 32, v13
	v_subrev_nc_u32_e32 v13, 28, v16
	v_sub_nc_u32_e32 v16, 29, v16
	s_delay_alu instid0(VALU_DEP_2) | instskip(NEXT) | instid1(VALU_DEP_1)
	v_lshlrev_b64 v[13:14], v13, v[2:3]
	v_and_b32_e32 v13, 7, v13
; %bb.2719:                             ;   in Loop: Header=BB373_2082 Depth=1
	s_or_b32 exec_lo, exec_lo, s23
	v_lshlrev_b32_e32 v2, 8, v15
	v_lshl_add_u32 v14, v16, 10, 0x2000
	s_delay_alu instid0(VALU_DEP_1) | instskip(NEXT) | instid1(VALU_DEP_1)
	v_and_or_b32 v2, 0x8000, v2, v14
	v_lshl_or_b32 v2, v13, 7, v2
	s_delay_alu instid0(VALU_DEP_1)
	v_cvt_f32_f16_e32 v2, v2
.LBB373_2720:                           ;   in Loop: Header=BB373_2082 Depth=1
	s_or_b32 exec_lo, exec_lo, s22
.LBB373_2721:                           ;   in Loop: Header=BB373_2082 Depth=1
	s_delay_alu instid0(SALU_CYCLE_1)
	s_or_b32 exec_lo, exec_lo, s21
.LBB373_2722:                           ;   in Loop: Header=BB373_2082 Depth=1
	s_delay_alu instid0(SALU_CYCLE_1)
	s_or_b32 exec_lo, exec_lo, s19
	s_waitcnt vmcnt(0) lgkmcnt(0)
	v_fma_mixlo_f16 v13, v6, v35, 0
	v_fma_mixlo_f16 v14, v6, v23, 0
	v_fma_mixlo_f16 v15, v6, v22, 0
	v_fma_mixlo_f16 v4, v6, v4, 0
	v_fma_mixlo_f16 v16, v6, v37, 0
	v_fma_mixlo_f16 v23, v6, v34, 0
	v_lshlrev_b32_e32 v22, 16, v13
	v_and_b32_e32 v26, 0xffff, v14
	v_lshlrev_b32_e32 v27, 16, v15
	v_and_b32_e32 v34, 0xffff, v4
	v_cndmask_b32_e32 v4, 0, v4, vcc_lo
	v_lshlrev_b32_e32 v35, 16, v16
	v_and_b32_e32 v37, 0xffff, v23
	v_fma_mixlo_f16 v2, v6, v2, 0
	v_fma_mixlo_f16 v6, v6, v36, 0
	v_cndmask_b32_e64 v15, 0, v15, s0
	v_or_b32_e32 v22, v22, v26
	v_or_b32_e32 v26, v27, v34
	;; [unrolled: 1-line block ×3, first 2 shown]
	v_lshlrev_b32_e32 v34, 16, v2
	v_and_b32_e32 v35, 0xffff, v6
	v_cndmask_b32_e64 v14, 0, v14, s2
	v_cndmask_b32_e64 v13, 0, v13, s4
	;; [unrolled: 1-line block ×6, first 2 shown]
	v_perm_b32 v4, v15, v4, 0x5040100
	v_or_b32_e32 v34, v34, v35
	v_perm_b32 v13, v13, v14, 0x5040100
	v_perm_b32 v14, v16, v23, 0x5040100
	;; [unrolled: 1-line block ×3, first 2 shown]
	v_cndmask_b32_e64 v4, v26, v4, s1
	;;#ASMSTART
	v_pk_mul_f16 v4, v130, v4;

	;;#ASMEND
	v_cndmask_b32_e64 v6, v22, v13, s1
	v_cndmask_b32_e64 v13, v27, v14, s1
	;; [unrolled: 1-line block ×3, first 2 shown]
	;;#ASMSTART
	v_pk_mul_f16 v6, v129, v6;

	;;#ASMEND
	;;#ASMSTART
	v_pk_mul_f16 v13, v128, v13;

	;;#ASMEND
	;; [unrolled: 4-line block ×3, first 2 shown]
	;;#ASMSTART
	v_pk_add_f16 v4, v4, v6;

	;;#ASMEND
	;;#ASMSTART
	v_pk_add_f16 v4, v4, v13;

	;;#ASMEND
	;; [unrolled: 4-line block ×3, first 2 shown]
	v_and_b32_e32 v4, 0xffff, v2
	v_lshrrev_b32_e32 v2, 16, v2
	;;#ASMSTART
	v_cvt_f32_f16 v26, v4;
	;;#ASMEND
	;;#ASMSTART
	v_cvt_f32_f16 v27, v2;
	;;#ASMEND
	flat_load_b64 v[13:14], v[11:12] offset:2560
	flat_load_b32 v6, v[121:122]
	s_mov_b32 s19, exec_lo
	s_waitcnt vmcnt(1) lgkmcnt(1)
	v_and_b32_e32 v2, 0xff, v13
	s_delay_alu instid0(VALU_DEP_1)
	v_cmpx_ne_u16_e32 0, v2
	s_cbranch_execz .LBB373_2730
; %bb.2723:                             ;   in Loop: Header=BB373_2082 Depth=1
	v_bfrev_b32_e32 v5, 1
	s_mov_b32 s21, exec_lo
	v_cmpx_ne_u16_e32 0x80, v2
	s_cbranch_execz .LBB373_2729
; %bb.2724:                             ;   in Loop: Header=BB373_2082 Depth=1
	v_and_b32_e32 v4, 0x7f, v13
	v_mov_b32_e32 v5, 0x7fc02000
	s_mov_b32 s22, exec_lo
	s_delay_alu instid0(VALU_DEP_2)
	v_cmpx_ne_u32_e32 0x7f, v4
	s_cbranch_execz .LBB373_2728
; %bb.2725:                             ;   in Loop: Header=BB373_2082 Depth=1
	v_lshrrev_b32_e32 v2, 3, v4
	v_dual_mov_b32 v16, v14 :: v_dual_mov_b32 v15, v13
	s_mov_b32 s23, exec_lo
	v_cmpx_gt_u32_e32 8, v4
; %bb.2726:                             ;   in Loop: Header=BB373_2082 Depth=1
	v_and_b32_e32 v2, 7, v13
	s_delay_alu instid0(VALU_DEP_1) | instskip(NEXT) | instid1(VALU_DEP_1)
	v_clz_i32_u32_e32 v2, v2
	v_min_u32_e32 v2, 32, v2
	s_delay_alu instid0(VALU_DEP_1) | instskip(SKIP_1) | instid1(VALU_DEP_2)
	v_subrev_nc_u32_e32 v4, 28, v2
	v_sub_nc_u32_e32 v2, 29, v2
	v_lshlrev_b64 v[15:16], v4, v[13:14]
; %bb.2727:                             ;   in Loop: Header=BB373_2082 Depth=1
	s_or_b32 exec_lo, exec_lo, s23
	v_lshlrev_b32_e32 v4, 8, v13
	s_delay_alu instid0(VALU_DEP_3) | instskip(NEXT) | instid1(VALU_DEP_3)
	v_lshl_add_u32 v2, v2, 10, 0x2000
	v_lshlrev_b32_e32 v5, 7, v15
	s_delay_alu instid0(VALU_DEP_2) | instskip(NEXT) | instid1(VALU_DEP_1)
	v_and_or_b32 v2, 0x8000, v4, v2
	v_and_or_b32 v2, 0x380, v5, v2
	s_delay_alu instid0(VALU_DEP_1)
	v_cvt_f32_f16_e32 v5, v2
.LBB373_2728:                           ;   in Loop: Header=BB373_2082 Depth=1
	s_or_b32 exec_lo, exec_lo, s22
.LBB373_2729:                           ;   in Loop: Header=BB373_2082 Depth=1
	s_delay_alu instid0(SALU_CYCLE_1)
	s_or_b32 exec_lo, exec_lo, s21
.LBB373_2730:                           ;   in Loop: Header=BB373_2082 Depth=1
	s_delay_alu instid0(SALU_CYCLE_1) | instskip(SKIP_3) | instid1(VALU_DEP_2)
	s_or_b32 exec_lo, exec_lo, s19
	v_lshrrev_b16 v2, 8, v13
	v_dual_mov_b32 v23, 0 :: v_dual_mov_b32 v22, 0
	s_mov_b32 s19, exec_lo
	v_cmpx_ne_u16_e32 0, v2
	s_cbranch_execz .LBB373_2738
; %bb.2731:                             ;   in Loop: Header=BB373_2082 Depth=1
	v_bfrev_b32_e32 v22, 1
	s_mov_b32 s21, exec_lo
	v_cmpx_ne_u16_e32 0x80, v2
	s_cbranch_execz .LBB373_2737
; %bb.2732:                             ;   in Loop: Header=BB373_2082 Depth=1
	v_and_b32_e32 v4, 0xffff, v2
	v_mov_b32_e32 v22, 0x7fc02000
	s_mov_b32 s22, exec_lo
	s_delay_alu instid0(VALU_DEP_2) | instskip(NEXT) | instid1(VALU_DEP_1)
	v_and_b32_e32 v15, 0x7f, v4
	v_cmpx_ne_u32_e32 0x7f, v15
	s_cbranch_execz .LBB373_2736
; %bb.2733:                             ;   in Loop: Header=BB373_2082 Depth=1
	v_and_b32_e32 v2, 7, v4
	v_lshrrev_b32_e32 v22, 3, v15
	v_cmp_gt_u32_e64 s8, 8, v15
	s_delay_alu instid0(VALU_DEP_3) | instskip(NEXT) | instid1(VALU_DEP_2)
	v_dual_mov_b32 v16, v3 :: v_dual_mov_b32 v15, v2
	s_and_saveexec_b32 s23, s8
; %bb.2734:                             ;   in Loop: Header=BB373_2082 Depth=1
	v_clz_i32_u32_e32 v15, v2
	s_delay_alu instid0(VALU_DEP_1) | instskip(NEXT) | instid1(VALU_DEP_1)
	v_min_u32_e32 v22, 32, v15
	v_subrev_nc_u32_e32 v15, 28, v22
	v_sub_nc_u32_e32 v22, 29, v22
	s_delay_alu instid0(VALU_DEP_2) | instskip(NEXT) | instid1(VALU_DEP_1)
	v_lshlrev_b64 v[15:16], v15, v[2:3]
	v_and_b32_e32 v15, 7, v15
; %bb.2735:                             ;   in Loop: Header=BB373_2082 Depth=1
	s_or_b32 exec_lo, exec_lo, s23
	v_lshlrev_b32_e32 v2, 8, v4
	v_lshl_add_u32 v4, v22, 10, 0x2000
	s_delay_alu instid0(VALU_DEP_1) | instskip(NEXT) | instid1(VALU_DEP_1)
	v_and_or_b32 v2, 0x8000, v2, v4
	v_lshl_or_b32 v2, v15, 7, v2
	s_delay_alu instid0(VALU_DEP_1)
	v_cvt_f32_f16_e32 v22, v2
.LBB373_2736:                           ;   in Loop: Header=BB373_2082 Depth=1
	s_or_b32 exec_lo, exec_lo, s22
.LBB373_2737:                           ;   in Loop: Header=BB373_2082 Depth=1
	s_delay_alu instid0(SALU_CYCLE_1)
	s_or_b32 exec_lo, exec_lo, s21
.LBB373_2738:                           ;   in Loop: Header=BB373_2082 Depth=1
	s_delay_alu instid0(SALU_CYCLE_1) | instskip(SKIP_2) | instid1(VALU_DEP_1)
	s_or_b32 exec_lo, exec_lo, s19
	v_lshrrev_b32_e32 v4, 16, v13
	s_mov_b32 s19, exec_lo
	v_and_b32_e32 v2, 0xff, v4
	s_delay_alu instid0(VALU_DEP_1)
	v_cmpx_ne_u16_e32 0, v2
	s_cbranch_execz .LBB373_2746
; %bb.2739:                             ;   in Loop: Header=BB373_2082 Depth=1
	v_bfrev_b32_e32 v23, 1
	s_mov_b32 s21, exec_lo
	v_cmpx_ne_u16_e32 0x80, v2
	s_cbranch_execz .LBB373_2745
; %bb.2740:                             ;   in Loop: Header=BB373_2082 Depth=1
	v_bfe_u32 v15, v13, 16, 7
	v_mov_b32_e32 v23, 0x7fc02000
	s_mov_b32 s22, exec_lo
	s_delay_alu instid0(VALU_DEP_2)
	v_cmpx_ne_u32_e32 0x7f, v15
	s_cbranch_execz .LBB373_2744
; %bb.2741:                             ;   in Loop: Header=BB373_2082 Depth=1
	v_and_b32_e32 v2, 7, v4
	v_lshrrev_b32_e32 v23, 3, v15
	v_cmp_gt_u32_e64 s8, 8, v15
	s_delay_alu instid0(VALU_DEP_3) | instskip(NEXT) | instid1(VALU_DEP_2)
	v_dual_mov_b32 v16, v3 :: v_dual_mov_b32 v15, v2
	s_and_saveexec_b32 s23, s8
; %bb.2742:                             ;   in Loop: Header=BB373_2082 Depth=1
	v_clz_i32_u32_e32 v15, v2
	s_delay_alu instid0(VALU_DEP_1) | instskip(NEXT) | instid1(VALU_DEP_1)
	v_min_u32_e32 v23, 32, v15
	v_subrev_nc_u32_e32 v15, 28, v23
	v_sub_nc_u32_e32 v23, 29, v23
	s_delay_alu instid0(VALU_DEP_2) | instskip(NEXT) | instid1(VALU_DEP_1)
	v_lshlrev_b64 v[15:16], v15, v[2:3]
	v_and_b32_e32 v15, 7, v15
; %bb.2743:                             ;   in Loop: Header=BB373_2082 Depth=1
	s_or_b32 exec_lo, exec_lo, s23
	v_lshlrev_b32_e32 v2, 8, v4
	v_lshl_add_u32 v4, v23, 10, 0x2000
	s_delay_alu instid0(VALU_DEP_1) | instskip(NEXT) | instid1(VALU_DEP_1)
	v_and_or_b32 v2, 0x8000, v2, v4
	v_lshl_or_b32 v2, v15, 7, v2
	s_delay_alu instid0(VALU_DEP_1)
	v_cvt_f32_f16_e32 v23, v2
.LBB373_2744:                           ;   in Loop: Header=BB373_2082 Depth=1
	s_or_b32 exec_lo, exec_lo, s22
.LBB373_2745:                           ;   in Loop: Header=BB373_2082 Depth=1
	s_delay_alu instid0(SALU_CYCLE_1)
	s_or_b32 exec_lo, exec_lo, s21
.LBB373_2746:                           ;   in Loop: Header=BB373_2082 Depth=1
	s_delay_alu instid0(SALU_CYCLE_1)
	s_or_b32 exec_lo, exec_lo, s19
	v_dual_mov_b32 v34, 0 :: v_dual_mov_b32 v35, 0
	s_mov_b32 s19, exec_lo
	v_cmpx_lt_u32_e32 0xffffff, v13
	s_cbranch_execz .LBB373_2754
; %bb.2747:                             ;   in Loop: Header=BB373_2082 Depth=1
	v_lshrrev_b32_e32 v4, 24, v13
	v_bfrev_b32_e32 v35, 1
	s_mov_b32 s21, exec_lo
	s_delay_alu instid0(VALU_DEP_2)
	v_cmpx_ne_u32_e32 0x80, v4
	s_cbranch_execz .LBB373_2753
; %bb.2748:                             ;   in Loop: Header=BB373_2082 Depth=1
	v_and_b32_e32 v15, 0x7f, v4
	v_mov_b32_e32 v35, 0x7fc02000
	s_mov_b32 s22, exec_lo
	s_delay_alu instid0(VALU_DEP_2)
	v_cmpx_ne_u32_e32 0x7f, v15
	s_cbranch_execz .LBB373_2752
; %bb.2749:                             ;   in Loop: Header=BB373_2082 Depth=1
	v_and_b32_e32 v2, 7, v4
	v_lshrrev_b32_e32 v35, 3, v15
	v_cmp_gt_u32_e64 s8, 8, v15
	s_delay_alu instid0(VALU_DEP_3) | instskip(NEXT) | instid1(VALU_DEP_2)
	v_dual_mov_b32 v16, v3 :: v_dual_mov_b32 v15, v2
	s_and_saveexec_b32 s23, s8
; %bb.2750:                             ;   in Loop: Header=BB373_2082 Depth=1
	v_clz_i32_u32_e32 v15, v2
	s_delay_alu instid0(VALU_DEP_1) | instskip(NEXT) | instid1(VALU_DEP_1)
	v_min_u32_e32 v35, 32, v15
	v_subrev_nc_u32_e32 v15, 28, v35
	v_sub_nc_u32_e32 v35, 29, v35
	s_delay_alu instid0(VALU_DEP_2) | instskip(NEXT) | instid1(VALU_DEP_1)
	v_lshlrev_b64 v[15:16], v15, v[2:3]
	v_and_b32_e32 v15, 7, v15
; %bb.2751:                             ;   in Loop: Header=BB373_2082 Depth=1
	s_or_b32 exec_lo, exec_lo, s23
	v_lshlrev_b32_e32 v2, 8, v4
	v_lshl_add_u32 v4, v35, 10, 0x2000
	s_delay_alu instid0(VALU_DEP_1) | instskip(NEXT) | instid1(VALU_DEP_1)
	v_and_or_b32 v2, 0x8000, v2, v4
	v_lshl_or_b32 v2, v15, 7, v2
	s_delay_alu instid0(VALU_DEP_1)
	v_cvt_f32_f16_e32 v35, v2
.LBB373_2752:                           ;   in Loop: Header=BB373_2082 Depth=1
	s_or_b32 exec_lo, exec_lo, s22
.LBB373_2753:                           ;   in Loop: Header=BB373_2082 Depth=1
	s_delay_alu instid0(SALU_CYCLE_1)
	s_or_b32 exec_lo, exec_lo, s21
.LBB373_2754:                           ;   in Loop: Header=BB373_2082 Depth=1
	s_delay_alu instid0(SALU_CYCLE_1) | instskip(SKIP_3) | instid1(VALU_DEP_2)
	s_or_b32 exec_lo, exec_lo, s19
	v_and_b32_e32 v4, 0xff, v14
	v_mov_b32_e32 v2, v14
	s_mov_b32 s19, exec_lo
	v_cmpx_ne_u16_e32 0, v4
	s_cbranch_execz .LBB373_2762
; %bb.2755:                             ;   in Loop: Header=BB373_2082 Depth=1
	v_bfrev_b32_e32 v34, 1
	s_mov_b32 s21, exec_lo
	v_cmpx_ne_u16_e32 0x80, v4
	s_cbranch_execz .LBB373_2761
; %bb.2756:                             ;   in Loop: Header=BB373_2082 Depth=1
	v_and_b32_e32 v15, 0x7f, v14
	v_mov_b32_e32 v34, 0x7fc02000
	s_mov_b32 s22, exec_lo
	s_delay_alu instid0(VALU_DEP_2)
	v_cmpx_ne_u32_e32 0x7f, v15
	s_cbranch_execz .LBB373_2760
; %bb.2757:                             ;   in Loop: Header=BB373_2082 Depth=1
	v_lshrrev_b32_e32 v4, 3, v15
	v_cmp_gt_u32_e64 s8, 8, v15
	v_dual_mov_b32 v16, v3 :: v_dual_mov_b32 v15, v2
	s_delay_alu instid0(VALU_DEP_2)
	s_and_saveexec_b32 s23, s8
; %bb.2758:                             ;   in Loop: Header=BB373_2082 Depth=1
	v_and_b32_e32 v4, 7, v14
	s_delay_alu instid0(VALU_DEP_1) | instskip(NEXT) | instid1(VALU_DEP_1)
	v_clz_i32_u32_e32 v4, v4
	v_min_u32_e32 v4, 32, v4
	s_delay_alu instid0(VALU_DEP_1) | instskip(SKIP_1) | instid1(VALU_DEP_2)
	v_subrev_nc_u32_e32 v15, 28, v4
	v_sub_nc_u32_e32 v4, 29, v4
	v_lshlrev_b64 v[15:16], v15, v[2:3]
; %bb.2759:                             ;   in Loop: Header=BB373_2082 Depth=1
	s_or_b32 exec_lo, exec_lo, s23
	v_lshlrev_b32_e32 v16, 8, v14
	s_delay_alu instid0(VALU_DEP_3) | instskip(NEXT) | instid1(VALU_DEP_3)
	v_lshl_add_u32 v4, v4, 10, 0x2000
	v_lshlrev_b32_e32 v15, 7, v15
	s_delay_alu instid0(VALU_DEP_2) | instskip(NEXT) | instid1(VALU_DEP_1)
	v_and_or_b32 v4, 0x8000, v16, v4
	v_and_or_b32 v4, 0x380, v15, v4
	s_delay_alu instid0(VALU_DEP_1)
	v_cvt_f32_f16_e32 v34, v4
.LBB373_2760:                           ;   in Loop: Header=BB373_2082 Depth=1
	s_or_b32 exec_lo, exec_lo, s22
.LBB373_2761:                           ;   in Loop: Header=BB373_2082 Depth=1
	s_delay_alu instid0(SALU_CYCLE_1)
	s_or_b32 exec_lo, exec_lo, s21
.LBB373_2762:                           ;   in Loop: Header=BB373_2082 Depth=1
	s_delay_alu instid0(SALU_CYCLE_1) | instskip(SKIP_3) | instid1(VALU_DEP_2)
	s_or_b32 exec_lo, exec_lo, s19
	v_lshrrev_b16 v2, 8, v2
	v_dual_mov_b32 v36, 0 :: v_dual_mov_b32 v37, 0
	s_mov_b32 s19, exec_lo
	v_cmpx_ne_u16_e32 0, v2
	s_cbranch_execz .LBB373_2770
; %bb.2763:                             ;   in Loop: Header=BB373_2082 Depth=1
	v_bfrev_b32_e32 v37, 1
	s_mov_b32 s21, exec_lo
	v_cmpx_ne_u16_e32 0x80, v2
	s_cbranch_execz .LBB373_2769
; %bb.2764:                             ;   in Loop: Header=BB373_2082 Depth=1
	v_and_b32_e32 v4, 0xffff, v2
	v_mov_b32_e32 v37, 0x7fc02000
	s_mov_b32 s22, exec_lo
	s_delay_alu instid0(VALU_DEP_2) | instskip(NEXT) | instid1(VALU_DEP_1)
	v_and_b32_e32 v15, 0x7f, v4
	v_cmpx_ne_u32_e32 0x7f, v15
	s_cbranch_execz .LBB373_2768
; %bb.2765:                             ;   in Loop: Header=BB373_2082 Depth=1
	v_and_b32_e32 v2, 7, v4
	v_lshrrev_b32_e32 v37, 3, v15
	v_cmp_gt_u32_e64 s8, 8, v15
	s_delay_alu instid0(VALU_DEP_3) | instskip(NEXT) | instid1(VALU_DEP_2)
	v_dual_mov_b32 v16, v3 :: v_dual_mov_b32 v15, v2
	s_and_saveexec_b32 s23, s8
; %bb.2766:                             ;   in Loop: Header=BB373_2082 Depth=1
	v_clz_i32_u32_e32 v15, v2
	s_delay_alu instid0(VALU_DEP_1) | instskip(NEXT) | instid1(VALU_DEP_1)
	v_min_u32_e32 v37, 32, v15
	v_subrev_nc_u32_e32 v15, 28, v37
	v_sub_nc_u32_e32 v37, 29, v37
	s_delay_alu instid0(VALU_DEP_2) | instskip(NEXT) | instid1(VALU_DEP_1)
	v_lshlrev_b64 v[15:16], v15, v[2:3]
	v_and_b32_e32 v15, 7, v15
; %bb.2767:                             ;   in Loop: Header=BB373_2082 Depth=1
	s_or_b32 exec_lo, exec_lo, s23
	v_lshlrev_b32_e32 v2, 8, v4
	v_lshl_add_u32 v4, v37, 10, 0x2000
	s_delay_alu instid0(VALU_DEP_1) | instskip(NEXT) | instid1(VALU_DEP_1)
	v_and_or_b32 v2, 0x8000, v2, v4
	v_lshl_or_b32 v2, v15, 7, v2
	s_delay_alu instid0(VALU_DEP_1)
	v_cvt_f32_f16_e32 v37, v2
.LBB373_2768:                           ;   in Loop: Header=BB373_2082 Depth=1
	s_or_b32 exec_lo, exec_lo, s22
.LBB373_2769:                           ;   in Loop: Header=BB373_2082 Depth=1
	s_delay_alu instid0(SALU_CYCLE_1)
	s_or_b32 exec_lo, exec_lo, s21
.LBB373_2770:                           ;   in Loop: Header=BB373_2082 Depth=1
	s_delay_alu instid0(SALU_CYCLE_1) | instskip(SKIP_2) | instid1(VALU_DEP_1)
	s_or_b32 exec_lo, exec_lo, s19
	v_lshrrev_b32_e32 v4, 16, v14
	s_mov_b32 s19, exec_lo
	v_and_b32_e32 v2, 0xff, v4
	s_delay_alu instid0(VALU_DEP_1)
	v_cmpx_ne_u16_e32 0, v2
	s_cbranch_execz .LBB373_2778
; %bb.2771:                             ;   in Loop: Header=BB373_2082 Depth=1
	v_bfrev_b32_e32 v36, 1
	s_mov_b32 s21, exec_lo
	v_cmpx_ne_u16_e32 0x80, v2
	s_cbranch_execz .LBB373_2777
; %bb.2772:                             ;   in Loop: Header=BB373_2082 Depth=1
	v_bfe_u32 v15, v14, 16, 7
	v_mov_b32_e32 v36, 0x7fc02000
	s_mov_b32 s22, exec_lo
	s_delay_alu instid0(VALU_DEP_2)
	v_cmpx_ne_u32_e32 0x7f, v15
	s_cbranch_execz .LBB373_2776
; %bb.2773:                             ;   in Loop: Header=BB373_2082 Depth=1
	v_and_b32_e32 v2, 7, v4
	v_lshrrev_b32_e32 v36, 3, v15
	v_cmp_gt_u32_e64 s8, 8, v15
	s_delay_alu instid0(VALU_DEP_3) | instskip(NEXT) | instid1(VALU_DEP_2)
	v_dual_mov_b32 v16, v3 :: v_dual_mov_b32 v15, v2
	s_and_saveexec_b32 s23, s8
; %bb.2774:                             ;   in Loop: Header=BB373_2082 Depth=1
	v_clz_i32_u32_e32 v15, v2
	s_delay_alu instid0(VALU_DEP_1) | instskip(NEXT) | instid1(VALU_DEP_1)
	v_min_u32_e32 v36, 32, v15
	v_subrev_nc_u32_e32 v15, 28, v36
	v_sub_nc_u32_e32 v36, 29, v36
	s_delay_alu instid0(VALU_DEP_2) | instskip(NEXT) | instid1(VALU_DEP_1)
	v_lshlrev_b64 v[15:16], v15, v[2:3]
	v_and_b32_e32 v15, 7, v15
; %bb.2775:                             ;   in Loop: Header=BB373_2082 Depth=1
	s_or_b32 exec_lo, exec_lo, s23
	v_lshlrev_b32_e32 v2, 8, v4
	v_lshl_add_u32 v4, v36, 10, 0x2000
	s_delay_alu instid0(VALU_DEP_1) | instskip(NEXT) | instid1(VALU_DEP_1)
	v_and_or_b32 v2, 0x8000, v2, v4
	v_lshl_or_b32 v2, v15, 7, v2
	s_delay_alu instid0(VALU_DEP_1)
	v_cvt_f32_f16_e32 v36, v2
.LBB373_2776:                           ;   in Loop: Header=BB373_2082 Depth=1
	s_or_b32 exec_lo, exec_lo, s22
.LBB373_2777:                           ;   in Loop: Header=BB373_2082 Depth=1
	s_delay_alu instid0(SALU_CYCLE_1)
	s_or_b32 exec_lo, exec_lo, s21
.LBB373_2778:                           ;   in Loop: Header=BB373_2082 Depth=1
	s_delay_alu instid0(SALU_CYCLE_1)
	s_or_b32 exec_lo, exec_lo, s19
	v_mov_b32_e32 v4, 0
	v_mov_b32_e32 v2, 0
	s_mov_b32 s19, exec_lo
	v_cmpx_lt_u64_e64 s[12:13], v[13:14]
	s_cbranch_execz .LBB373_2786
; %bb.2779:                             ;   in Loop: Header=BB373_2082 Depth=1
	v_lshrrev_b32_e32 v15, 24, v14
	v_bfrev_b32_e32 v2, 1
	s_mov_b32 s21, exec_lo
	s_delay_alu instid0(VALU_DEP_2)
	v_cmpx_ne_u32_e32 0x80, v15
	s_cbranch_execz .LBB373_2785
; %bb.2780:                             ;   in Loop: Header=BB373_2082 Depth=1
	v_and_b32_e32 v13, 0x7f, v15
	v_mov_b32_e32 v2, 0x7fc02000
	s_mov_b32 s22, exec_lo
	s_delay_alu instid0(VALU_DEP_2)
	v_cmpx_ne_u32_e32 0x7f, v13
	s_cbranch_execz .LBB373_2784
; %bb.2781:                             ;   in Loop: Header=BB373_2082 Depth=1
	v_and_b32_e32 v2, 7, v15
	v_lshrrev_b32_e32 v16, 3, v13
	v_cmp_gt_u32_e64 s8, 8, v13
	s_delay_alu instid0(VALU_DEP_3) | instskip(NEXT) | instid1(VALU_DEP_2)
	v_dual_mov_b32 v14, v3 :: v_dual_mov_b32 v13, v2
	s_and_saveexec_b32 s23, s8
; %bb.2782:                             ;   in Loop: Header=BB373_2082 Depth=1
	v_clz_i32_u32_e32 v13, v2
	s_delay_alu instid0(VALU_DEP_1) | instskip(NEXT) | instid1(VALU_DEP_1)
	v_min_u32_e32 v16, 32, v13
	v_subrev_nc_u32_e32 v13, 28, v16
	v_sub_nc_u32_e32 v16, 29, v16
	s_delay_alu instid0(VALU_DEP_2) | instskip(NEXT) | instid1(VALU_DEP_1)
	v_lshlrev_b64 v[13:14], v13, v[2:3]
	v_and_b32_e32 v13, 7, v13
; %bb.2783:                             ;   in Loop: Header=BB373_2082 Depth=1
	s_or_b32 exec_lo, exec_lo, s23
	v_lshlrev_b32_e32 v2, 8, v15
	v_lshl_add_u32 v14, v16, 10, 0x2000
	s_delay_alu instid0(VALU_DEP_1) | instskip(NEXT) | instid1(VALU_DEP_1)
	v_and_or_b32 v2, 0x8000, v2, v14
	v_lshl_or_b32 v2, v13, 7, v2
	s_delay_alu instid0(VALU_DEP_1)
	v_cvt_f32_f16_e32 v2, v2
.LBB373_2784:                           ;   in Loop: Header=BB373_2082 Depth=1
	s_or_b32 exec_lo, exec_lo, s22
.LBB373_2785:                           ;   in Loop: Header=BB373_2082 Depth=1
	s_delay_alu instid0(SALU_CYCLE_1)
	s_or_b32 exec_lo, exec_lo, s21
.LBB373_2786:                           ;   in Loop: Header=BB373_2082 Depth=1
	s_delay_alu instid0(SALU_CYCLE_1)
	s_or_b32 exec_lo, exec_lo, s19
	s_waitcnt vmcnt(0) lgkmcnt(0)
	v_fma_mixlo_f16 v13, v6, v35, 0
	v_fma_mixlo_f16 v14, v6, v23, 0
	;; [unrolled: 1-line block ×5, first 2 shown]
	v_lshlrev_b32_e32 v22, 16, v13
	v_fma_mixlo_f16 v23, v6, v34, 0
	v_and_b32_e32 v34, 0xffff, v14
	v_lshlrev_b32_e32 v35, 16, v15
	v_and_b32_e32 v37, 0xffff, v5
	v_cndmask_b32_e32 v5, 0, v5, vcc_lo
	v_fma_mixlo_f16 v2, v6, v2, 0
	v_fma_mixlo_f16 v6, v6, v36, 0
	v_cndmask_b32_e64 v15, 0, v15, s0
	v_lshlrev_b32_e32 v166, 16, v16
	v_and_b32_e32 v167, 0xffff, v23
	v_or_b32_e32 v22, v22, v34
	v_or_b32_e32 v34, v35, v37
	v_lshlrev_b32_e32 v36, 16, v2
	v_and_b32_e32 v37, 0xffff, v6
	v_cndmask_b32_e64 v14, 0, v14, s2
	v_cndmask_b32_e64 v13, 0, v13, s4
	;; [unrolled: 1-line block ×6, first 2 shown]
	v_perm_b32 v5, v15, v5, 0x5040100
	v_or_b32_e32 v35, v166, v167
	v_or_b32_e32 v36, v36, v37
	v_perm_b32 v13, v13, v14, 0x5040100
	v_perm_b32 v14, v16, v23, 0x5040100
	;; [unrolled: 1-line block ×3, first 2 shown]
	v_cndmask_b32_e64 v5, v34, v5, s1
	;;#ASMSTART
	v_pk_mul_f16 v5, v130, v5;

	;;#ASMEND
	v_cndmask_b32_e64 v6, v22, v13, s1
	v_cndmask_b32_e64 v13, v35, v14, s1
	;; [unrolled: 1-line block ×3, first 2 shown]
	;;#ASMSTART
	v_pk_mul_f16 v6, v129, v6;

	;;#ASMEND
	;;#ASMSTART
	v_pk_mul_f16 v13, v128, v13;

	;;#ASMEND
	;; [unrolled: 4-line block ×3, first 2 shown]
	;;#ASMSTART
	v_pk_add_f16 v5, v5, v6;

	;;#ASMEND
	;;#ASMSTART
	v_pk_add_f16 v5, v5, v13;

	;;#ASMEND
	;; [unrolled: 4-line block ×3, first 2 shown]
	v_and_b32_e32 v5, 0xffff, v2
	v_lshrrev_b32_e32 v2, 16, v2
	;;#ASMSTART
	v_cvt_f32_f16 v166, v5;
	;;#ASMEND
	;;#ASMSTART
	v_cvt_f32_f16 v177, v2;
	;;#ASMEND
	flat_load_b64 v[13:14], v[11:12] offset:2816
	flat_load_b32 v6, v[121:122]
	s_mov_b32 s19, exec_lo
	s_waitcnt vmcnt(1) lgkmcnt(1)
	v_and_b32_e32 v2, 0xff, v13
	s_delay_alu instid0(VALU_DEP_1)
	v_cmpx_ne_u16_e32 0, v2
	s_cbranch_execz .LBB373_2794
; %bb.2787:                             ;   in Loop: Header=BB373_2082 Depth=1
	v_bfrev_b32_e32 v4, 1
	s_mov_b32 s21, exec_lo
	v_cmpx_ne_u16_e32 0x80, v2
	s_cbranch_execz .LBB373_2793
; %bb.2788:                             ;   in Loop: Header=BB373_2082 Depth=1
	v_and_b32_e32 v5, 0x7f, v13
	v_mov_b32_e32 v4, 0x7fc02000
	s_mov_b32 s22, exec_lo
	s_delay_alu instid0(VALU_DEP_2)
	v_cmpx_ne_u32_e32 0x7f, v5
	s_cbranch_execz .LBB373_2792
; %bb.2789:                             ;   in Loop: Header=BB373_2082 Depth=1
	v_lshrrev_b32_e32 v2, 3, v5
	v_dual_mov_b32 v16, v14 :: v_dual_mov_b32 v15, v13
	s_mov_b32 s23, exec_lo
	v_cmpx_gt_u32_e32 8, v5
; %bb.2790:                             ;   in Loop: Header=BB373_2082 Depth=1
	v_and_b32_e32 v2, 7, v13
	s_delay_alu instid0(VALU_DEP_1) | instskip(NEXT) | instid1(VALU_DEP_1)
	v_clz_i32_u32_e32 v2, v2
	v_min_u32_e32 v2, 32, v2
	s_delay_alu instid0(VALU_DEP_1) | instskip(SKIP_1) | instid1(VALU_DEP_2)
	v_subrev_nc_u32_e32 v4, 28, v2
	v_sub_nc_u32_e32 v2, 29, v2
	v_lshlrev_b64 v[15:16], v4, v[13:14]
; %bb.2791:                             ;   in Loop: Header=BB373_2082 Depth=1
	s_or_b32 exec_lo, exec_lo, s23
	v_lshlrev_b32_e32 v4, 8, v13
	s_delay_alu instid0(VALU_DEP_3) | instskip(NEXT) | instid1(VALU_DEP_3)
	v_lshl_add_u32 v2, v2, 10, 0x2000
	v_lshlrev_b32_e32 v5, 7, v15
	s_delay_alu instid0(VALU_DEP_2) | instskip(NEXT) | instid1(VALU_DEP_1)
	v_and_or_b32 v2, 0x8000, v4, v2
	v_and_or_b32 v2, 0x380, v5, v2
	s_delay_alu instid0(VALU_DEP_1)
	v_cvt_f32_f16_e32 v4, v2
.LBB373_2792:                           ;   in Loop: Header=BB373_2082 Depth=1
	s_or_b32 exec_lo, exec_lo, s22
.LBB373_2793:                           ;   in Loop: Header=BB373_2082 Depth=1
	s_delay_alu instid0(SALU_CYCLE_1)
	s_or_b32 exec_lo, exec_lo, s21
.LBB373_2794:                           ;   in Loop: Header=BB373_2082 Depth=1
	s_delay_alu instid0(SALU_CYCLE_1) | instskip(SKIP_3) | instid1(VALU_DEP_2)
	s_or_b32 exec_lo, exec_lo, s19
	v_lshrrev_b16 v2, 8, v13
	v_dual_mov_b32 v23, 0 :: v_dual_mov_b32 v22, 0
	s_mov_b32 s19, exec_lo
	v_cmpx_ne_u16_e32 0, v2
	s_cbranch_execz .LBB373_2802
; %bb.2795:                             ;   in Loop: Header=BB373_2082 Depth=1
	v_bfrev_b32_e32 v22, 1
	s_mov_b32 s21, exec_lo
	v_cmpx_ne_u16_e32 0x80, v2
	s_cbranch_execz .LBB373_2801
; %bb.2796:                             ;   in Loop: Header=BB373_2082 Depth=1
	v_and_b32_e32 v5, 0xffff, v2
	v_mov_b32_e32 v22, 0x7fc02000
	s_mov_b32 s22, exec_lo
	s_delay_alu instid0(VALU_DEP_2) | instskip(NEXT) | instid1(VALU_DEP_1)
	v_and_b32_e32 v15, 0x7f, v5
	v_cmpx_ne_u32_e32 0x7f, v15
	s_cbranch_execz .LBB373_2800
; %bb.2797:                             ;   in Loop: Header=BB373_2082 Depth=1
	v_and_b32_e32 v2, 7, v5
	v_lshrrev_b32_e32 v22, 3, v15
	v_cmp_gt_u32_e64 s8, 8, v15
	s_delay_alu instid0(VALU_DEP_3) | instskip(NEXT) | instid1(VALU_DEP_2)
	v_dual_mov_b32 v16, v3 :: v_dual_mov_b32 v15, v2
	s_and_saveexec_b32 s23, s8
; %bb.2798:                             ;   in Loop: Header=BB373_2082 Depth=1
	v_clz_i32_u32_e32 v15, v2
	s_delay_alu instid0(VALU_DEP_1) | instskip(NEXT) | instid1(VALU_DEP_1)
	v_min_u32_e32 v22, 32, v15
	v_subrev_nc_u32_e32 v15, 28, v22
	v_sub_nc_u32_e32 v22, 29, v22
	s_delay_alu instid0(VALU_DEP_2) | instskip(NEXT) | instid1(VALU_DEP_1)
	v_lshlrev_b64 v[15:16], v15, v[2:3]
	v_and_b32_e32 v15, 7, v15
; %bb.2799:                             ;   in Loop: Header=BB373_2082 Depth=1
	s_or_b32 exec_lo, exec_lo, s23
	v_lshlrev_b32_e32 v2, 8, v5
	v_lshl_add_u32 v5, v22, 10, 0x2000
	s_delay_alu instid0(VALU_DEP_1) | instskip(NEXT) | instid1(VALU_DEP_1)
	v_and_or_b32 v2, 0x8000, v2, v5
	v_lshl_or_b32 v2, v15, 7, v2
	s_delay_alu instid0(VALU_DEP_1)
	v_cvt_f32_f16_e32 v22, v2
.LBB373_2800:                           ;   in Loop: Header=BB373_2082 Depth=1
	s_or_b32 exec_lo, exec_lo, s22
.LBB373_2801:                           ;   in Loop: Header=BB373_2082 Depth=1
	s_delay_alu instid0(SALU_CYCLE_1)
	s_or_b32 exec_lo, exec_lo, s21
.LBB373_2802:                           ;   in Loop: Header=BB373_2082 Depth=1
	s_delay_alu instid0(SALU_CYCLE_1) | instskip(SKIP_2) | instid1(VALU_DEP_1)
	s_or_b32 exec_lo, exec_lo, s19
	v_lshrrev_b32_e32 v5, 16, v13
	s_mov_b32 s19, exec_lo
	v_and_b32_e32 v2, 0xff, v5
	s_delay_alu instid0(VALU_DEP_1)
	v_cmpx_ne_u16_e32 0, v2
	s_cbranch_execz .LBB373_2810
; %bb.2803:                             ;   in Loop: Header=BB373_2082 Depth=1
	v_bfrev_b32_e32 v23, 1
	s_mov_b32 s21, exec_lo
	v_cmpx_ne_u16_e32 0x80, v2
	s_cbranch_execz .LBB373_2809
; %bb.2804:                             ;   in Loop: Header=BB373_2082 Depth=1
	v_bfe_u32 v15, v13, 16, 7
	v_mov_b32_e32 v23, 0x7fc02000
	s_mov_b32 s22, exec_lo
	s_delay_alu instid0(VALU_DEP_2)
	v_cmpx_ne_u32_e32 0x7f, v15
	s_cbranch_execz .LBB373_2808
; %bb.2805:                             ;   in Loop: Header=BB373_2082 Depth=1
	v_and_b32_e32 v2, 7, v5
	v_lshrrev_b32_e32 v23, 3, v15
	v_cmp_gt_u32_e64 s8, 8, v15
	s_delay_alu instid0(VALU_DEP_3) | instskip(NEXT) | instid1(VALU_DEP_2)
	v_dual_mov_b32 v16, v3 :: v_dual_mov_b32 v15, v2
	s_and_saveexec_b32 s23, s8
; %bb.2806:                             ;   in Loop: Header=BB373_2082 Depth=1
	v_clz_i32_u32_e32 v15, v2
	s_delay_alu instid0(VALU_DEP_1) | instskip(NEXT) | instid1(VALU_DEP_1)
	v_min_u32_e32 v23, 32, v15
	v_subrev_nc_u32_e32 v15, 28, v23
	v_sub_nc_u32_e32 v23, 29, v23
	s_delay_alu instid0(VALU_DEP_2) | instskip(NEXT) | instid1(VALU_DEP_1)
	v_lshlrev_b64 v[15:16], v15, v[2:3]
	v_and_b32_e32 v15, 7, v15
; %bb.2807:                             ;   in Loop: Header=BB373_2082 Depth=1
	s_or_b32 exec_lo, exec_lo, s23
	v_lshlrev_b32_e32 v2, 8, v5
	v_lshl_add_u32 v5, v23, 10, 0x2000
	s_delay_alu instid0(VALU_DEP_1) | instskip(NEXT) | instid1(VALU_DEP_1)
	v_and_or_b32 v2, 0x8000, v2, v5
	v_lshl_or_b32 v2, v15, 7, v2
	s_delay_alu instid0(VALU_DEP_1)
	v_cvt_f32_f16_e32 v23, v2
.LBB373_2808:                           ;   in Loop: Header=BB373_2082 Depth=1
	s_or_b32 exec_lo, exec_lo, s22
.LBB373_2809:                           ;   in Loop: Header=BB373_2082 Depth=1
	s_delay_alu instid0(SALU_CYCLE_1)
	s_or_b32 exec_lo, exec_lo, s21
.LBB373_2810:                           ;   in Loop: Header=BB373_2082 Depth=1
	s_delay_alu instid0(SALU_CYCLE_1)
	s_or_b32 exec_lo, exec_lo, s19
	v_dual_mov_b32 v34, 0 :: v_dual_mov_b32 v35, 0
	s_mov_b32 s19, exec_lo
	v_cmpx_lt_u32_e32 0xffffff, v13
	s_cbranch_execz .LBB373_2818
; %bb.2811:                             ;   in Loop: Header=BB373_2082 Depth=1
	v_lshrrev_b32_e32 v5, 24, v13
	v_bfrev_b32_e32 v35, 1
	s_mov_b32 s21, exec_lo
	s_delay_alu instid0(VALU_DEP_2)
	v_cmpx_ne_u32_e32 0x80, v5
	s_cbranch_execz .LBB373_2817
; %bb.2812:                             ;   in Loop: Header=BB373_2082 Depth=1
	v_and_b32_e32 v15, 0x7f, v5
	v_mov_b32_e32 v35, 0x7fc02000
	s_mov_b32 s22, exec_lo
	s_delay_alu instid0(VALU_DEP_2)
	v_cmpx_ne_u32_e32 0x7f, v15
	s_cbranch_execz .LBB373_2816
; %bb.2813:                             ;   in Loop: Header=BB373_2082 Depth=1
	v_and_b32_e32 v2, 7, v5
	v_lshrrev_b32_e32 v35, 3, v15
	v_cmp_gt_u32_e64 s8, 8, v15
	s_delay_alu instid0(VALU_DEP_3) | instskip(NEXT) | instid1(VALU_DEP_2)
	v_dual_mov_b32 v16, v3 :: v_dual_mov_b32 v15, v2
	s_and_saveexec_b32 s23, s8
; %bb.2814:                             ;   in Loop: Header=BB373_2082 Depth=1
	v_clz_i32_u32_e32 v15, v2
	s_delay_alu instid0(VALU_DEP_1) | instskip(NEXT) | instid1(VALU_DEP_1)
	v_min_u32_e32 v35, 32, v15
	v_subrev_nc_u32_e32 v15, 28, v35
	v_sub_nc_u32_e32 v35, 29, v35
	s_delay_alu instid0(VALU_DEP_2) | instskip(NEXT) | instid1(VALU_DEP_1)
	v_lshlrev_b64 v[15:16], v15, v[2:3]
	v_and_b32_e32 v15, 7, v15
; %bb.2815:                             ;   in Loop: Header=BB373_2082 Depth=1
	s_or_b32 exec_lo, exec_lo, s23
	v_lshlrev_b32_e32 v2, 8, v5
	v_lshl_add_u32 v5, v35, 10, 0x2000
	s_delay_alu instid0(VALU_DEP_1) | instskip(NEXT) | instid1(VALU_DEP_1)
	v_and_or_b32 v2, 0x8000, v2, v5
	v_lshl_or_b32 v2, v15, 7, v2
	s_delay_alu instid0(VALU_DEP_1)
	v_cvt_f32_f16_e32 v35, v2
.LBB373_2816:                           ;   in Loop: Header=BB373_2082 Depth=1
	s_or_b32 exec_lo, exec_lo, s22
.LBB373_2817:                           ;   in Loop: Header=BB373_2082 Depth=1
	s_delay_alu instid0(SALU_CYCLE_1)
	s_or_b32 exec_lo, exec_lo, s21
.LBB373_2818:                           ;   in Loop: Header=BB373_2082 Depth=1
	s_delay_alu instid0(SALU_CYCLE_1) | instskip(SKIP_2) | instid1(VALU_DEP_1)
	s_or_b32 exec_lo, exec_lo, s19
	v_dual_mov_b32 v2, v14 :: v_dual_and_b32 v5, 0xff, v14
	s_mov_b32 s19, exec_lo
	v_cmpx_ne_u16_e32 0, v5
	s_cbranch_execz .LBB373_2826
; %bb.2819:                             ;   in Loop: Header=BB373_2082 Depth=1
	v_bfrev_b32_e32 v34, 1
	s_mov_b32 s21, exec_lo
	v_cmpx_ne_u16_e32 0x80, v5
	s_cbranch_execz .LBB373_2825
; %bb.2820:                             ;   in Loop: Header=BB373_2082 Depth=1
	v_and_b32_e32 v15, 0x7f, v14
	v_mov_b32_e32 v34, 0x7fc02000
	s_mov_b32 s22, exec_lo
	s_delay_alu instid0(VALU_DEP_2)
	v_cmpx_ne_u32_e32 0x7f, v15
	s_cbranch_execz .LBB373_2824
; %bb.2821:                             ;   in Loop: Header=BB373_2082 Depth=1
	v_lshrrev_b32_e32 v5, 3, v15
	v_cmp_gt_u32_e64 s8, 8, v15
	v_dual_mov_b32 v16, v3 :: v_dual_mov_b32 v15, v2
	s_delay_alu instid0(VALU_DEP_2)
	s_and_saveexec_b32 s23, s8
; %bb.2822:                             ;   in Loop: Header=BB373_2082 Depth=1
	v_and_b32_e32 v5, 7, v14
	s_delay_alu instid0(VALU_DEP_1) | instskip(NEXT) | instid1(VALU_DEP_1)
	v_clz_i32_u32_e32 v5, v5
	v_min_u32_e32 v5, 32, v5
	s_delay_alu instid0(VALU_DEP_1) | instskip(SKIP_1) | instid1(VALU_DEP_2)
	v_subrev_nc_u32_e32 v15, 28, v5
	v_sub_nc_u32_e32 v5, 29, v5
	v_lshlrev_b64 v[15:16], v15, v[2:3]
; %bb.2823:                             ;   in Loop: Header=BB373_2082 Depth=1
	s_or_b32 exec_lo, exec_lo, s23
	v_lshlrev_b32_e32 v16, 8, v14
	s_delay_alu instid0(VALU_DEP_3) | instskip(NEXT) | instid1(VALU_DEP_3)
	v_lshl_add_u32 v5, v5, 10, 0x2000
	v_lshlrev_b32_e32 v15, 7, v15
	s_delay_alu instid0(VALU_DEP_2) | instskip(NEXT) | instid1(VALU_DEP_1)
	v_and_or_b32 v5, 0x8000, v16, v5
	v_and_or_b32 v5, 0x380, v15, v5
	s_delay_alu instid0(VALU_DEP_1)
	v_cvt_f32_f16_e32 v34, v5
.LBB373_2824:                           ;   in Loop: Header=BB373_2082 Depth=1
	s_or_b32 exec_lo, exec_lo, s22
.LBB373_2825:                           ;   in Loop: Header=BB373_2082 Depth=1
	s_delay_alu instid0(SALU_CYCLE_1)
	s_or_b32 exec_lo, exec_lo, s21
.LBB373_2826:                           ;   in Loop: Header=BB373_2082 Depth=1
	s_delay_alu instid0(SALU_CYCLE_1) | instskip(SKIP_3) | instid1(VALU_DEP_2)
	s_or_b32 exec_lo, exec_lo, s19
	v_lshrrev_b16 v2, 8, v2
	v_dual_mov_b32 v36, 0 :: v_dual_mov_b32 v37, 0
	s_mov_b32 s19, exec_lo
	v_cmpx_ne_u16_e32 0, v2
	s_cbranch_execz .LBB373_2834
; %bb.2827:                             ;   in Loop: Header=BB373_2082 Depth=1
	v_bfrev_b32_e32 v37, 1
	s_mov_b32 s21, exec_lo
	v_cmpx_ne_u16_e32 0x80, v2
	s_cbranch_execz .LBB373_2833
; %bb.2828:                             ;   in Loop: Header=BB373_2082 Depth=1
	v_and_b32_e32 v5, 0xffff, v2
	v_mov_b32_e32 v37, 0x7fc02000
	s_mov_b32 s22, exec_lo
	s_delay_alu instid0(VALU_DEP_2) | instskip(NEXT) | instid1(VALU_DEP_1)
	v_and_b32_e32 v15, 0x7f, v5
	v_cmpx_ne_u32_e32 0x7f, v15
	s_cbranch_execz .LBB373_2832
; %bb.2829:                             ;   in Loop: Header=BB373_2082 Depth=1
	v_and_b32_e32 v2, 7, v5
	v_lshrrev_b32_e32 v37, 3, v15
	v_cmp_gt_u32_e64 s8, 8, v15
	s_delay_alu instid0(VALU_DEP_3) | instskip(NEXT) | instid1(VALU_DEP_2)
	v_dual_mov_b32 v16, v3 :: v_dual_mov_b32 v15, v2
	s_and_saveexec_b32 s23, s8
; %bb.2830:                             ;   in Loop: Header=BB373_2082 Depth=1
	v_clz_i32_u32_e32 v15, v2
	s_delay_alu instid0(VALU_DEP_1) | instskip(NEXT) | instid1(VALU_DEP_1)
	v_min_u32_e32 v37, 32, v15
	v_subrev_nc_u32_e32 v15, 28, v37
	v_sub_nc_u32_e32 v37, 29, v37
	s_delay_alu instid0(VALU_DEP_2) | instskip(NEXT) | instid1(VALU_DEP_1)
	v_lshlrev_b64 v[15:16], v15, v[2:3]
	v_and_b32_e32 v15, 7, v15
; %bb.2831:                             ;   in Loop: Header=BB373_2082 Depth=1
	s_or_b32 exec_lo, exec_lo, s23
	v_lshlrev_b32_e32 v2, 8, v5
	v_lshl_add_u32 v5, v37, 10, 0x2000
	s_delay_alu instid0(VALU_DEP_1) | instskip(NEXT) | instid1(VALU_DEP_1)
	v_and_or_b32 v2, 0x8000, v2, v5
	v_lshl_or_b32 v2, v15, 7, v2
	s_delay_alu instid0(VALU_DEP_1)
	v_cvt_f32_f16_e32 v37, v2
.LBB373_2832:                           ;   in Loop: Header=BB373_2082 Depth=1
	s_or_b32 exec_lo, exec_lo, s22
.LBB373_2833:                           ;   in Loop: Header=BB373_2082 Depth=1
	s_delay_alu instid0(SALU_CYCLE_1)
	s_or_b32 exec_lo, exec_lo, s21
.LBB373_2834:                           ;   in Loop: Header=BB373_2082 Depth=1
	s_delay_alu instid0(SALU_CYCLE_1) | instskip(SKIP_2) | instid1(VALU_DEP_1)
	s_or_b32 exec_lo, exec_lo, s19
	v_lshrrev_b32_e32 v5, 16, v14
	s_mov_b32 s19, exec_lo
	v_and_b32_e32 v2, 0xff, v5
	s_delay_alu instid0(VALU_DEP_1)
	v_cmpx_ne_u16_e32 0, v2
	s_cbranch_execz .LBB373_2842
; %bb.2835:                             ;   in Loop: Header=BB373_2082 Depth=1
	v_bfrev_b32_e32 v36, 1
	s_mov_b32 s21, exec_lo
	v_cmpx_ne_u16_e32 0x80, v2
	s_cbranch_execz .LBB373_2841
; %bb.2836:                             ;   in Loop: Header=BB373_2082 Depth=1
	v_bfe_u32 v15, v14, 16, 7
	v_mov_b32_e32 v36, 0x7fc02000
	s_mov_b32 s22, exec_lo
	s_delay_alu instid0(VALU_DEP_2)
	v_cmpx_ne_u32_e32 0x7f, v15
	s_cbranch_execz .LBB373_2840
; %bb.2837:                             ;   in Loop: Header=BB373_2082 Depth=1
	v_and_b32_e32 v2, 7, v5
	v_lshrrev_b32_e32 v36, 3, v15
	v_cmp_gt_u32_e64 s8, 8, v15
	s_delay_alu instid0(VALU_DEP_3) | instskip(NEXT) | instid1(VALU_DEP_2)
	v_dual_mov_b32 v16, v3 :: v_dual_mov_b32 v15, v2
	s_and_saveexec_b32 s23, s8
; %bb.2838:                             ;   in Loop: Header=BB373_2082 Depth=1
	v_clz_i32_u32_e32 v15, v2
	s_delay_alu instid0(VALU_DEP_1) | instskip(NEXT) | instid1(VALU_DEP_1)
	v_min_u32_e32 v36, 32, v15
	v_subrev_nc_u32_e32 v15, 28, v36
	v_sub_nc_u32_e32 v36, 29, v36
	s_delay_alu instid0(VALU_DEP_2) | instskip(NEXT) | instid1(VALU_DEP_1)
	v_lshlrev_b64 v[15:16], v15, v[2:3]
	v_and_b32_e32 v15, 7, v15
; %bb.2839:                             ;   in Loop: Header=BB373_2082 Depth=1
	s_or_b32 exec_lo, exec_lo, s23
	v_lshlrev_b32_e32 v2, 8, v5
	v_lshl_add_u32 v5, v36, 10, 0x2000
	s_delay_alu instid0(VALU_DEP_1) | instskip(NEXT) | instid1(VALU_DEP_1)
	v_and_or_b32 v2, 0x8000, v2, v5
	v_lshl_or_b32 v2, v15, 7, v2
	s_delay_alu instid0(VALU_DEP_1)
	v_cvt_f32_f16_e32 v36, v2
.LBB373_2840:                           ;   in Loop: Header=BB373_2082 Depth=1
	s_or_b32 exec_lo, exec_lo, s22
.LBB373_2841:                           ;   in Loop: Header=BB373_2082 Depth=1
	s_delay_alu instid0(SALU_CYCLE_1)
	s_or_b32 exec_lo, exec_lo, s21
.LBB373_2842:                           ;   in Loop: Header=BB373_2082 Depth=1
	s_delay_alu instid0(SALU_CYCLE_1)
	s_or_b32 exec_lo, exec_lo, s19
	v_dual_mov_b32 v5, 0 :: v_dual_mov_b32 v2, 0
	s_mov_b32 s19, exec_lo
	v_cmpx_lt_u64_e64 s[12:13], v[13:14]
	s_cbranch_execz .LBB373_2850
; %bb.2843:                             ;   in Loop: Header=BB373_2082 Depth=1
	v_lshrrev_b32_e32 v15, 24, v14
	v_bfrev_b32_e32 v2, 1
	s_mov_b32 s21, exec_lo
	s_delay_alu instid0(VALU_DEP_2)
	v_cmpx_ne_u32_e32 0x80, v15
	s_cbranch_execz .LBB373_2849
; %bb.2844:                             ;   in Loop: Header=BB373_2082 Depth=1
	v_and_b32_e32 v13, 0x7f, v15
	v_mov_b32_e32 v2, 0x7fc02000
	s_mov_b32 s22, exec_lo
	s_delay_alu instid0(VALU_DEP_2)
	v_cmpx_ne_u32_e32 0x7f, v13
	s_cbranch_execz .LBB373_2848
; %bb.2845:                             ;   in Loop: Header=BB373_2082 Depth=1
	v_and_b32_e32 v2, 7, v15
	v_lshrrev_b32_e32 v16, 3, v13
	v_cmp_gt_u32_e64 s8, 8, v13
	s_delay_alu instid0(VALU_DEP_3) | instskip(NEXT) | instid1(VALU_DEP_2)
	v_dual_mov_b32 v14, v3 :: v_dual_mov_b32 v13, v2
	s_and_saveexec_b32 s23, s8
; %bb.2846:                             ;   in Loop: Header=BB373_2082 Depth=1
	v_clz_i32_u32_e32 v13, v2
	s_delay_alu instid0(VALU_DEP_1) | instskip(NEXT) | instid1(VALU_DEP_1)
	v_min_u32_e32 v16, 32, v13
	v_subrev_nc_u32_e32 v13, 28, v16
	v_sub_nc_u32_e32 v16, 29, v16
	s_delay_alu instid0(VALU_DEP_2) | instskip(NEXT) | instid1(VALU_DEP_1)
	v_lshlrev_b64 v[13:14], v13, v[2:3]
	v_and_b32_e32 v13, 7, v13
; %bb.2847:                             ;   in Loop: Header=BB373_2082 Depth=1
	s_or_b32 exec_lo, exec_lo, s23
	v_lshlrev_b32_e32 v2, 8, v15
	v_lshl_add_u32 v14, v16, 10, 0x2000
	s_delay_alu instid0(VALU_DEP_1) | instskip(NEXT) | instid1(VALU_DEP_1)
	v_and_or_b32 v2, 0x8000, v2, v14
	v_lshl_or_b32 v2, v13, 7, v2
	s_delay_alu instid0(VALU_DEP_1)
	v_cvt_f32_f16_e32 v2, v2
.LBB373_2848:                           ;   in Loop: Header=BB373_2082 Depth=1
	s_or_b32 exec_lo, exec_lo, s22
.LBB373_2849:                           ;   in Loop: Header=BB373_2082 Depth=1
	s_delay_alu instid0(SALU_CYCLE_1)
	s_or_b32 exec_lo, exec_lo, s21
.LBB373_2850:                           ;   in Loop: Header=BB373_2082 Depth=1
	s_delay_alu instid0(SALU_CYCLE_1)
	s_or_b32 exec_lo, exec_lo, s19
	s_waitcnt vmcnt(0) lgkmcnt(0)
	v_fma_mixlo_f16 v13, v6, v35, 0
	v_fma_mixlo_f16 v14, v6, v23, 0
	;; [unrolled: 1-line block ×5, first 2 shown]
	v_lshlrev_b32_e32 v22, 16, v13
	v_fma_mixlo_f16 v23, v6, v34, 0
	v_and_b32_e32 v34, 0xffff, v14
	v_lshlrev_b32_e32 v35, 16, v15
	v_and_b32_e32 v37, 0xffff, v4
	v_cndmask_b32_e32 v4, 0, v4, vcc_lo
	v_fma_mixlo_f16 v2, v6, v2, 0
	v_fma_mixlo_f16 v6, v6, v36, 0
	v_cndmask_b32_e64 v15, 0, v15, s0
	v_lshlrev_b32_e32 v167, 16, v16
	v_and_b32_e32 v176, 0xffff, v23
	v_or_b32_e32 v22, v22, v34
	v_or_b32_e32 v34, v35, v37
	v_lshlrev_b32_e32 v36, 16, v2
	v_and_b32_e32 v37, 0xffff, v6
	v_cndmask_b32_e64 v14, 0, v14, s2
	v_cndmask_b32_e64 v13, 0, v13, s4
	v_cndmask_b32_e64 v23, 0, v23, s6
	v_cndmask_b32_e64 v16, 0, v16, s7
	v_cndmask_b32_e64 v6, 0, v6, s3
	v_cndmask_b32_e64 v2, 0, v2, s5
	v_perm_b32 v4, v15, v4, 0x5040100
	v_or_b32_e32 v35, v167, v176
	v_or_b32_e32 v36, v36, v37
	v_perm_b32 v13, v13, v14, 0x5040100
	v_perm_b32 v14, v16, v23, 0x5040100
	;; [unrolled: 1-line block ×3, first 2 shown]
	v_cndmask_b32_e64 v4, v34, v4, s1
	;;#ASMSTART
	v_pk_mul_f16 v4, v130, v4;

	;;#ASMEND
	v_cndmask_b32_e64 v6, v22, v13, s1
	v_cndmask_b32_e64 v13, v35, v14, s1
	;; [unrolled: 1-line block ×3, first 2 shown]
	;;#ASMSTART
	v_pk_mul_f16 v6, v129, v6;

	;;#ASMEND
	;;#ASMSTART
	v_pk_mul_f16 v13, v128, v13;

	;;#ASMEND
	;; [unrolled: 4-line block ×3, first 2 shown]
	;;#ASMSTART
	v_pk_add_f16 v4, v4, v6;

	;;#ASMEND
	;;#ASMSTART
	v_pk_add_f16 v4, v4, v13;

	;;#ASMEND
	;; [unrolled: 4-line block ×3, first 2 shown]
	v_and_b32_e32 v4, 0xffff, v2
	v_lshrrev_b32_e32 v2, 16, v2
	;;#ASMSTART
	v_cvt_f32_f16 v178, v4;
	;;#ASMEND
	;;#ASMSTART
	v_cvt_f32_f16 v179, v2;
	;;#ASMEND
	flat_load_b64 v[13:14], v[11:12] offset:3072
	flat_load_b32 v6, v[121:122]
	s_mov_b32 s19, exec_lo
	s_waitcnt vmcnt(1) lgkmcnt(1)
	v_and_b32_e32 v2, 0xff, v13
	s_delay_alu instid0(VALU_DEP_1)
	v_cmpx_ne_u16_e32 0, v2
	s_cbranch_execz .LBB373_2858
; %bb.2851:                             ;   in Loop: Header=BB373_2082 Depth=1
	v_bfrev_b32_e32 v5, 1
	s_mov_b32 s21, exec_lo
	v_cmpx_ne_u16_e32 0x80, v2
	s_cbranch_execz .LBB373_2857
; %bb.2852:                             ;   in Loop: Header=BB373_2082 Depth=1
	v_and_b32_e32 v4, 0x7f, v13
	v_mov_b32_e32 v5, 0x7fc02000
	s_mov_b32 s22, exec_lo
	s_delay_alu instid0(VALU_DEP_2)
	v_cmpx_ne_u32_e32 0x7f, v4
	s_cbranch_execz .LBB373_2856
; %bb.2853:                             ;   in Loop: Header=BB373_2082 Depth=1
	v_lshrrev_b32_e32 v2, 3, v4
	v_dual_mov_b32 v16, v14 :: v_dual_mov_b32 v15, v13
	s_mov_b32 s23, exec_lo
	v_cmpx_gt_u32_e32 8, v4
; %bb.2854:                             ;   in Loop: Header=BB373_2082 Depth=1
	v_and_b32_e32 v2, 7, v13
	s_delay_alu instid0(VALU_DEP_1) | instskip(NEXT) | instid1(VALU_DEP_1)
	v_clz_i32_u32_e32 v2, v2
	v_min_u32_e32 v2, 32, v2
	s_delay_alu instid0(VALU_DEP_1) | instskip(SKIP_1) | instid1(VALU_DEP_2)
	v_subrev_nc_u32_e32 v4, 28, v2
	v_sub_nc_u32_e32 v2, 29, v2
	v_lshlrev_b64 v[15:16], v4, v[13:14]
; %bb.2855:                             ;   in Loop: Header=BB373_2082 Depth=1
	s_or_b32 exec_lo, exec_lo, s23
	v_lshlrev_b32_e32 v4, 8, v13
	s_delay_alu instid0(VALU_DEP_3) | instskip(NEXT) | instid1(VALU_DEP_3)
	v_lshl_add_u32 v2, v2, 10, 0x2000
	v_lshlrev_b32_e32 v5, 7, v15
	s_delay_alu instid0(VALU_DEP_2) | instskip(NEXT) | instid1(VALU_DEP_1)
	v_and_or_b32 v2, 0x8000, v4, v2
	v_and_or_b32 v2, 0x380, v5, v2
	s_delay_alu instid0(VALU_DEP_1)
	v_cvt_f32_f16_e32 v5, v2
.LBB373_2856:                           ;   in Loop: Header=BB373_2082 Depth=1
	s_or_b32 exec_lo, exec_lo, s22
.LBB373_2857:                           ;   in Loop: Header=BB373_2082 Depth=1
	s_delay_alu instid0(SALU_CYCLE_1)
	s_or_b32 exec_lo, exec_lo, s21
.LBB373_2858:                           ;   in Loop: Header=BB373_2082 Depth=1
	s_delay_alu instid0(SALU_CYCLE_1) | instskip(SKIP_3) | instid1(VALU_DEP_2)
	s_or_b32 exec_lo, exec_lo, s19
	v_lshrrev_b16 v2, 8, v13
	v_dual_mov_b32 v23, 0 :: v_dual_mov_b32 v22, 0
	s_mov_b32 s19, exec_lo
	v_cmpx_ne_u16_e32 0, v2
	s_cbranch_execz .LBB373_2866
; %bb.2859:                             ;   in Loop: Header=BB373_2082 Depth=1
	v_bfrev_b32_e32 v22, 1
	s_mov_b32 s21, exec_lo
	v_cmpx_ne_u16_e32 0x80, v2
	s_cbranch_execz .LBB373_2865
; %bb.2860:                             ;   in Loop: Header=BB373_2082 Depth=1
	v_and_b32_e32 v4, 0xffff, v2
	v_mov_b32_e32 v22, 0x7fc02000
	s_mov_b32 s22, exec_lo
	s_delay_alu instid0(VALU_DEP_2) | instskip(NEXT) | instid1(VALU_DEP_1)
	v_and_b32_e32 v15, 0x7f, v4
	v_cmpx_ne_u32_e32 0x7f, v15
	s_cbranch_execz .LBB373_2864
; %bb.2861:                             ;   in Loop: Header=BB373_2082 Depth=1
	v_and_b32_e32 v2, 7, v4
	v_lshrrev_b32_e32 v22, 3, v15
	v_cmp_gt_u32_e64 s8, 8, v15
	s_delay_alu instid0(VALU_DEP_3) | instskip(NEXT) | instid1(VALU_DEP_2)
	v_dual_mov_b32 v16, v3 :: v_dual_mov_b32 v15, v2
	s_and_saveexec_b32 s23, s8
; %bb.2862:                             ;   in Loop: Header=BB373_2082 Depth=1
	v_clz_i32_u32_e32 v15, v2
	s_delay_alu instid0(VALU_DEP_1) | instskip(NEXT) | instid1(VALU_DEP_1)
	v_min_u32_e32 v22, 32, v15
	v_subrev_nc_u32_e32 v15, 28, v22
	v_sub_nc_u32_e32 v22, 29, v22
	s_delay_alu instid0(VALU_DEP_2) | instskip(NEXT) | instid1(VALU_DEP_1)
	v_lshlrev_b64 v[15:16], v15, v[2:3]
	v_and_b32_e32 v15, 7, v15
; %bb.2863:                             ;   in Loop: Header=BB373_2082 Depth=1
	s_or_b32 exec_lo, exec_lo, s23
	v_lshlrev_b32_e32 v2, 8, v4
	v_lshl_add_u32 v4, v22, 10, 0x2000
	s_delay_alu instid0(VALU_DEP_1) | instskip(NEXT) | instid1(VALU_DEP_1)
	v_and_or_b32 v2, 0x8000, v2, v4
	v_lshl_or_b32 v2, v15, 7, v2
	s_delay_alu instid0(VALU_DEP_1)
	v_cvt_f32_f16_e32 v22, v2
.LBB373_2864:                           ;   in Loop: Header=BB373_2082 Depth=1
	s_or_b32 exec_lo, exec_lo, s22
.LBB373_2865:                           ;   in Loop: Header=BB373_2082 Depth=1
	s_delay_alu instid0(SALU_CYCLE_1)
	s_or_b32 exec_lo, exec_lo, s21
.LBB373_2866:                           ;   in Loop: Header=BB373_2082 Depth=1
	s_delay_alu instid0(SALU_CYCLE_1) | instskip(SKIP_2) | instid1(VALU_DEP_1)
	s_or_b32 exec_lo, exec_lo, s19
	v_lshrrev_b32_e32 v4, 16, v13
	s_mov_b32 s19, exec_lo
	v_and_b32_e32 v2, 0xff, v4
	s_delay_alu instid0(VALU_DEP_1)
	v_cmpx_ne_u16_e32 0, v2
	s_cbranch_execz .LBB373_2874
; %bb.2867:                             ;   in Loop: Header=BB373_2082 Depth=1
	v_bfrev_b32_e32 v23, 1
	s_mov_b32 s21, exec_lo
	v_cmpx_ne_u16_e32 0x80, v2
	s_cbranch_execz .LBB373_2873
; %bb.2868:                             ;   in Loop: Header=BB373_2082 Depth=1
	v_bfe_u32 v15, v13, 16, 7
	v_mov_b32_e32 v23, 0x7fc02000
	s_mov_b32 s22, exec_lo
	s_delay_alu instid0(VALU_DEP_2)
	v_cmpx_ne_u32_e32 0x7f, v15
	s_cbranch_execz .LBB373_2872
; %bb.2869:                             ;   in Loop: Header=BB373_2082 Depth=1
	v_and_b32_e32 v2, 7, v4
	v_lshrrev_b32_e32 v23, 3, v15
	v_cmp_gt_u32_e64 s8, 8, v15
	s_delay_alu instid0(VALU_DEP_3) | instskip(NEXT) | instid1(VALU_DEP_2)
	v_dual_mov_b32 v16, v3 :: v_dual_mov_b32 v15, v2
	s_and_saveexec_b32 s23, s8
; %bb.2870:                             ;   in Loop: Header=BB373_2082 Depth=1
	v_clz_i32_u32_e32 v15, v2
	s_delay_alu instid0(VALU_DEP_1) | instskip(NEXT) | instid1(VALU_DEP_1)
	v_min_u32_e32 v23, 32, v15
	v_subrev_nc_u32_e32 v15, 28, v23
	v_sub_nc_u32_e32 v23, 29, v23
	s_delay_alu instid0(VALU_DEP_2) | instskip(NEXT) | instid1(VALU_DEP_1)
	v_lshlrev_b64 v[15:16], v15, v[2:3]
	v_and_b32_e32 v15, 7, v15
; %bb.2871:                             ;   in Loop: Header=BB373_2082 Depth=1
	s_or_b32 exec_lo, exec_lo, s23
	v_lshlrev_b32_e32 v2, 8, v4
	v_lshl_add_u32 v4, v23, 10, 0x2000
	s_delay_alu instid0(VALU_DEP_1) | instskip(NEXT) | instid1(VALU_DEP_1)
	v_and_or_b32 v2, 0x8000, v2, v4
	v_lshl_or_b32 v2, v15, 7, v2
	s_delay_alu instid0(VALU_DEP_1)
	v_cvt_f32_f16_e32 v23, v2
.LBB373_2872:                           ;   in Loop: Header=BB373_2082 Depth=1
	s_or_b32 exec_lo, exec_lo, s22
.LBB373_2873:                           ;   in Loop: Header=BB373_2082 Depth=1
	s_delay_alu instid0(SALU_CYCLE_1)
	s_or_b32 exec_lo, exec_lo, s21
.LBB373_2874:                           ;   in Loop: Header=BB373_2082 Depth=1
	s_delay_alu instid0(SALU_CYCLE_1)
	s_or_b32 exec_lo, exec_lo, s19
	v_dual_mov_b32 v34, 0 :: v_dual_mov_b32 v35, 0
	s_mov_b32 s19, exec_lo
	v_cmpx_lt_u32_e32 0xffffff, v13
	s_cbranch_execz .LBB373_2882
; %bb.2875:                             ;   in Loop: Header=BB373_2082 Depth=1
	v_lshrrev_b32_e32 v4, 24, v13
	v_bfrev_b32_e32 v35, 1
	s_mov_b32 s21, exec_lo
	s_delay_alu instid0(VALU_DEP_2)
	v_cmpx_ne_u32_e32 0x80, v4
	s_cbranch_execz .LBB373_2881
; %bb.2876:                             ;   in Loop: Header=BB373_2082 Depth=1
	v_and_b32_e32 v15, 0x7f, v4
	v_mov_b32_e32 v35, 0x7fc02000
	s_mov_b32 s22, exec_lo
	s_delay_alu instid0(VALU_DEP_2)
	v_cmpx_ne_u32_e32 0x7f, v15
	s_cbranch_execz .LBB373_2880
; %bb.2877:                             ;   in Loop: Header=BB373_2082 Depth=1
	v_and_b32_e32 v2, 7, v4
	v_lshrrev_b32_e32 v35, 3, v15
	v_cmp_gt_u32_e64 s8, 8, v15
	s_delay_alu instid0(VALU_DEP_3) | instskip(NEXT) | instid1(VALU_DEP_2)
	v_dual_mov_b32 v16, v3 :: v_dual_mov_b32 v15, v2
	s_and_saveexec_b32 s23, s8
; %bb.2878:                             ;   in Loop: Header=BB373_2082 Depth=1
	v_clz_i32_u32_e32 v15, v2
	s_delay_alu instid0(VALU_DEP_1) | instskip(NEXT) | instid1(VALU_DEP_1)
	v_min_u32_e32 v35, 32, v15
	v_subrev_nc_u32_e32 v15, 28, v35
	v_sub_nc_u32_e32 v35, 29, v35
	s_delay_alu instid0(VALU_DEP_2) | instskip(NEXT) | instid1(VALU_DEP_1)
	v_lshlrev_b64 v[15:16], v15, v[2:3]
	v_and_b32_e32 v15, 7, v15
; %bb.2879:                             ;   in Loop: Header=BB373_2082 Depth=1
	s_or_b32 exec_lo, exec_lo, s23
	v_lshlrev_b32_e32 v2, 8, v4
	v_lshl_add_u32 v4, v35, 10, 0x2000
	s_delay_alu instid0(VALU_DEP_1) | instskip(NEXT) | instid1(VALU_DEP_1)
	v_and_or_b32 v2, 0x8000, v2, v4
	v_lshl_or_b32 v2, v15, 7, v2
	s_delay_alu instid0(VALU_DEP_1)
	v_cvt_f32_f16_e32 v35, v2
.LBB373_2880:                           ;   in Loop: Header=BB373_2082 Depth=1
	s_or_b32 exec_lo, exec_lo, s22
.LBB373_2881:                           ;   in Loop: Header=BB373_2082 Depth=1
	s_delay_alu instid0(SALU_CYCLE_1)
	s_or_b32 exec_lo, exec_lo, s21
.LBB373_2882:                           ;   in Loop: Header=BB373_2082 Depth=1
	s_delay_alu instid0(SALU_CYCLE_1) | instskip(SKIP_3) | instid1(VALU_DEP_2)
	s_or_b32 exec_lo, exec_lo, s19
	v_and_b32_e32 v4, 0xff, v14
	v_mov_b32_e32 v2, v14
	s_mov_b32 s19, exec_lo
	v_cmpx_ne_u16_e32 0, v4
	s_cbranch_execz .LBB373_2890
; %bb.2883:                             ;   in Loop: Header=BB373_2082 Depth=1
	v_bfrev_b32_e32 v34, 1
	s_mov_b32 s21, exec_lo
	v_cmpx_ne_u16_e32 0x80, v4
	s_cbranch_execz .LBB373_2889
; %bb.2884:                             ;   in Loop: Header=BB373_2082 Depth=1
	v_and_b32_e32 v15, 0x7f, v14
	v_mov_b32_e32 v34, 0x7fc02000
	s_mov_b32 s22, exec_lo
	s_delay_alu instid0(VALU_DEP_2)
	v_cmpx_ne_u32_e32 0x7f, v15
	s_cbranch_execz .LBB373_2888
; %bb.2885:                             ;   in Loop: Header=BB373_2082 Depth=1
	v_lshrrev_b32_e32 v4, 3, v15
	v_cmp_gt_u32_e64 s8, 8, v15
	v_dual_mov_b32 v16, v3 :: v_dual_mov_b32 v15, v2
	s_delay_alu instid0(VALU_DEP_2)
	s_and_saveexec_b32 s23, s8
; %bb.2886:                             ;   in Loop: Header=BB373_2082 Depth=1
	v_and_b32_e32 v4, 7, v14
	s_delay_alu instid0(VALU_DEP_1) | instskip(NEXT) | instid1(VALU_DEP_1)
	v_clz_i32_u32_e32 v4, v4
	v_min_u32_e32 v4, 32, v4
	s_delay_alu instid0(VALU_DEP_1) | instskip(SKIP_1) | instid1(VALU_DEP_2)
	v_subrev_nc_u32_e32 v15, 28, v4
	v_sub_nc_u32_e32 v4, 29, v4
	v_lshlrev_b64 v[15:16], v15, v[2:3]
; %bb.2887:                             ;   in Loop: Header=BB373_2082 Depth=1
	s_or_b32 exec_lo, exec_lo, s23
	v_lshlrev_b32_e32 v16, 8, v14
	s_delay_alu instid0(VALU_DEP_3) | instskip(NEXT) | instid1(VALU_DEP_3)
	v_lshl_add_u32 v4, v4, 10, 0x2000
	v_lshlrev_b32_e32 v15, 7, v15
	s_delay_alu instid0(VALU_DEP_2) | instskip(NEXT) | instid1(VALU_DEP_1)
	v_and_or_b32 v4, 0x8000, v16, v4
	v_and_or_b32 v4, 0x380, v15, v4
	s_delay_alu instid0(VALU_DEP_1)
	v_cvt_f32_f16_e32 v34, v4
.LBB373_2888:                           ;   in Loop: Header=BB373_2082 Depth=1
	s_or_b32 exec_lo, exec_lo, s22
.LBB373_2889:                           ;   in Loop: Header=BB373_2082 Depth=1
	s_delay_alu instid0(SALU_CYCLE_1)
	s_or_b32 exec_lo, exec_lo, s21
.LBB373_2890:                           ;   in Loop: Header=BB373_2082 Depth=1
	s_delay_alu instid0(SALU_CYCLE_1) | instskip(SKIP_3) | instid1(VALU_DEP_2)
	s_or_b32 exec_lo, exec_lo, s19
	v_lshrrev_b16 v2, 8, v2
	v_dual_mov_b32 v36, 0 :: v_dual_mov_b32 v37, 0
	s_mov_b32 s19, exec_lo
	v_cmpx_ne_u16_e32 0, v2
	s_cbranch_execz .LBB373_2898
; %bb.2891:                             ;   in Loop: Header=BB373_2082 Depth=1
	v_bfrev_b32_e32 v37, 1
	s_mov_b32 s21, exec_lo
	v_cmpx_ne_u16_e32 0x80, v2
	s_cbranch_execz .LBB373_2897
; %bb.2892:                             ;   in Loop: Header=BB373_2082 Depth=1
	v_and_b32_e32 v4, 0xffff, v2
	v_mov_b32_e32 v37, 0x7fc02000
	s_mov_b32 s22, exec_lo
	s_delay_alu instid0(VALU_DEP_2) | instskip(NEXT) | instid1(VALU_DEP_1)
	v_and_b32_e32 v15, 0x7f, v4
	v_cmpx_ne_u32_e32 0x7f, v15
	s_cbranch_execz .LBB373_2896
; %bb.2893:                             ;   in Loop: Header=BB373_2082 Depth=1
	v_and_b32_e32 v2, 7, v4
	v_lshrrev_b32_e32 v37, 3, v15
	v_cmp_gt_u32_e64 s8, 8, v15
	s_delay_alu instid0(VALU_DEP_3) | instskip(NEXT) | instid1(VALU_DEP_2)
	v_dual_mov_b32 v16, v3 :: v_dual_mov_b32 v15, v2
	s_and_saveexec_b32 s23, s8
; %bb.2894:                             ;   in Loop: Header=BB373_2082 Depth=1
	v_clz_i32_u32_e32 v15, v2
	s_delay_alu instid0(VALU_DEP_1) | instskip(NEXT) | instid1(VALU_DEP_1)
	v_min_u32_e32 v37, 32, v15
	v_subrev_nc_u32_e32 v15, 28, v37
	v_sub_nc_u32_e32 v37, 29, v37
	s_delay_alu instid0(VALU_DEP_2) | instskip(NEXT) | instid1(VALU_DEP_1)
	v_lshlrev_b64 v[15:16], v15, v[2:3]
	v_and_b32_e32 v15, 7, v15
; %bb.2895:                             ;   in Loop: Header=BB373_2082 Depth=1
	s_or_b32 exec_lo, exec_lo, s23
	v_lshlrev_b32_e32 v2, 8, v4
	v_lshl_add_u32 v4, v37, 10, 0x2000
	s_delay_alu instid0(VALU_DEP_1) | instskip(NEXT) | instid1(VALU_DEP_1)
	v_and_or_b32 v2, 0x8000, v2, v4
	v_lshl_or_b32 v2, v15, 7, v2
	s_delay_alu instid0(VALU_DEP_1)
	v_cvt_f32_f16_e32 v37, v2
.LBB373_2896:                           ;   in Loop: Header=BB373_2082 Depth=1
	s_or_b32 exec_lo, exec_lo, s22
.LBB373_2897:                           ;   in Loop: Header=BB373_2082 Depth=1
	s_delay_alu instid0(SALU_CYCLE_1)
	s_or_b32 exec_lo, exec_lo, s21
.LBB373_2898:                           ;   in Loop: Header=BB373_2082 Depth=1
	s_delay_alu instid0(SALU_CYCLE_1) | instskip(SKIP_2) | instid1(VALU_DEP_1)
	s_or_b32 exec_lo, exec_lo, s19
	v_lshrrev_b32_e32 v4, 16, v14
	s_mov_b32 s19, exec_lo
	v_and_b32_e32 v2, 0xff, v4
	s_delay_alu instid0(VALU_DEP_1)
	v_cmpx_ne_u16_e32 0, v2
	s_cbranch_execz .LBB373_2906
; %bb.2899:                             ;   in Loop: Header=BB373_2082 Depth=1
	v_bfrev_b32_e32 v36, 1
	s_mov_b32 s21, exec_lo
	v_cmpx_ne_u16_e32 0x80, v2
	s_cbranch_execz .LBB373_2905
; %bb.2900:                             ;   in Loop: Header=BB373_2082 Depth=1
	v_bfe_u32 v15, v14, 16, 7
	v_mov_b32_e32 v36, 0x7fc02000
	s_mov_b32 s22, exec_lo
	s_delay_alu instid0(VALU_DEP_2)
	v_cmpx_ne_u32_e32 0x7f, v15
	s_cbranch_execz .LBB373_2904
; %bb.2901:                             ;   in Loop: Header=BB373_2082 Depth=1
	v_and_b32_e32 v2, 7, v4
	v_lshrrev_b32_e32 v36, 3, v15
	v_cmp_gt_u32_e64 s8, 8, v15
	s_delay_alu instid0(VALU_DEP_3) | instskip(NEXT) | instid1(VALU_DEP_2)
	v_dual_mov_b32 v16, v3 :: v_dual_mov_b32 v15, v2
	s_and_saveexec_b32 s23, s8
; %bb.2902:                             ;   in Loop: Header=BB373_2082 Depth=1
	v_clz_i32_u32_e32 v15, v2
	s_delay_alu instid0(VALU_DEP_1) | instskip(NEXT) | instid1(VALU_DEP_1)
	v_min_u32_e32 v36, 32, v15
	v_subrev_nc_u32_e32 v15, 28, v36
	v_sub_nc_u32_e32 v36, 29, v36
	s_delay_alu instid0(VALU_DEP_2) | instskip(NEXT) | instid1(VALU_DEP_1)
	v_lshlrev_b64 v[15:16], v15, v[2:3]
	v_and_b32_e32 v15, 7, v15
; %bb.2903:                             ;   in Loop: Header=BB373_2082 Depth=1
	s_or_b32 exec_lo, exec_lo, s23
	v_lshlrev_b32_e32 v2, 8, v4
	v_lshl_add_u32 v4, v36, 10, 0x2000
	s_delay_alu instid0(VALU_DEP_1) | instskip(NEXT) | instid1(VALU_DEP_1)
	v_and_or_b32 v2, 0x8000, v2, v4
	v_lshl_or_b32 v2, v15, 7, v2
	s_delay_alu instid0(VALU_DEP_1)
	v_cvt_f32_f16_e32 v36, v2
.LBB373_2904:                           ;   in Loop: Header=BB373_2082 Depth=1
	s_or_b32 exec_lo, exec_lo, s22
.LBB373_2905:                           ;   in Loop: Header=BB373_2082 Depth=1
	s_delay_alu instid0(SALU_CYCLE_1)
	s_or_b32 exec_lo, exec_lo, s21
.LBB373_2906:                           ;   in Loop: Header=BB373_2082 Depth=1
	s_delay_alu instid0(SALU_CYCLE_1)
	s_or_b32 exec_lo, exec_lo, s19
	v_mov_b32_e32 v4, 0
	v_mov_b32_e32 v2, 0
	s_mov_b32 s19, exec_lo
	v_cmpx_lt_u64_e64 s[12:13], v[13:14]
	s_cbranch_execz .LBB373_2914
; %bb.2907:                             ;   in Loop: Header=BB373_2082 Depth=1
	v_lshrrev_b32_e32 v15, 24, v14
	v_bfrev_b32_e32 v2, 1
	s_mov_b32 s21, exec_lo
	s_delay_alu instid0(VALU_DEP_2)
	v_cmpx_ne_u32_e32 0x80, v15
	s_cbranch_execz .LBB373_2913
; %bb.2908:                             ;   in Loop: Header=BB373_2082 Depth=1
	v_and_b32_e32 v180, 0x7f, v15
	v_mov_b32_e32 v2, 0x7fc02000
	s_mov_b32 s22, exec_lo
	s_delay_alu instid0(VALU_DEP_2)
	v_cmpx_ne_u32_e32 0x7f, v180
	s_cbranch_execz .LBB373_2912
; %bb.2909:                             ;   in Loop: Header=BB373_2082 Depth=1
	v_and_b32_e32 v2, 7, v15
	v_lshrrev_b32_e32 v16, 3, v180
	v_mov_b32_e32 v14, v3
	s_mov_b32 s23, exec_lo
	s_delay_alu instid0(VALU_DEP_3)
	v_mov_b32_e32 v13, v2
	v_cmpx_gt_u32_e32 8, v180
; %bb.2910:                             ;   in Loop: Header=BB373_2082 Depth=1
	v_clz_i32_u32_e32 v13, v2
	s_delay_alu instid0(VALU_DEP_1) | instskip(NEXT) | instid1(VALU_DEP_1)
	v_min_u32_e32 v16, 32, v13
	v_subrev_nc_u32_e32 v13, 28, v16
	v_sub_nc_u32_e32 v16, 29, v16
	s_delay_alu instid0(VALU_DEP_2) | instskip(NEXT) | instid1(VALU_DEP_1)
	v_lshlrev_b64 v[13:14], v13, v[2:3]
	v_and_b32_e32 v13, 7, v13
; %bb.2911:                             ;   in Loop: Header=BB373_2082 Depth=1
	s_or_b32 exec_lo, exec_lo, s23
	v_lshlrev_b32_e32 v2, 8, v15
	v_lshl_add_u32 v14, v16, 10, 0x2000
	s_delay_alu instid0(VALU_DEP_1) | instskip(NEXT) | instid1(VALU_DEP_1)
	v_and_or_b32 v2, 0x8000, v2, v14
	v_lshl_or_b32 v2, v13, 7, v2
	s_delay_alu instid0(VALU_DEP_1)
	v_cvt_f32_f16_e32 v2, v2
.LBB373_2912:                           ;   in Loop: Header=BB373_2082 Depth=1
	s_or_b32 exec_lo, exec_lo, s22
.LBB373_2913:                           ;   in Loop: Header=BB373_2082 Depth=1
	s_delay_alu instid0(SALU_CYCLE_1)
	s_or_b32 exec_lo, exec_lo, s21
.LBB373_2914:                           ;   in Loop: Header=BB373_2082 Depth=1
	s_delay_alu instid0(SALU_CYCLE_1)
	s_or_b32 exec_lo, exec_lo, s19
	s_waitcnt vmcnt(0) lgkmcnt(0)
	v_fma_mixlo_f16 v13, v6, v35, 0
	v_fma_mixlo_f16 v14, v6, v23, 0
	;; [unrolled: 1-line block ×5, first 2 shown]
	v_lshlrev_b32_e32 v22, 16, v13
	v_fma_mixlo_f16 v23, v6, v34, 0
	v_and_b32_e32 v34, 0xffff, v14
	v_lshlrev_b32_e32 v35, 16, v15
	v_and_b32_e32 v37, 0xffff, v5
	v_cndmask_b32_e32 v5, 0, v5, vcc_lo
	v_fma_mixlo_f16 v2, v6, v2, 0
	v_fma_mixlo_f16 v6, v6, v36, 0
	v_cndmask_b32_e64 v15, 0, v15, s0
	v_lshlrev_b32_e32 v167, 16, v16
	v_and_b32_e32 v176, 0xffff, v23
	v_or_b32_e32 v22, v22, v34
	v_or_b32_e32 v34, v35, v37
	v_lshlrev_b32_e32 v36, 16, v2
	v_and_b32_e32 v37, 0xffff, v6
	v_cndmask_b32_e64 v14, 0, v14, s2
	v_cndmask_b32_e64 v13, 0, v13, s4
	;; [unrolled: 1-line block ×6, first 2 shown]
	v_perm_b32 v5, v15, v5, 0x5040100
	v_or_b32_e32 v35, v167, v176
	v_or_b32_e32 v36, v36, v37
	v_perm_b32 v13, v13, v14, 0x5040100
	v_perm_b32 v14, v16, v23, 0x5040100
	v_perm_b32 v2, v2, v6, 0x5040100
	v_cndmask_b32_e64 v5, v34, v5, s1
	;;#ASMSTART
	v_pk_mul_f16 v5, v130, v5;

	;;#ASMEND
	v_cndmask_b32_e64 v6, v22, v13, s1
	v_cndmask_b32_e64 v13, v35, v14, s1
	;; [unrolled: 1-line block ×3, first 2 shown]
	;;#ASMSTART
	v_pk_mul_f16 v6, v129, v6;

	;;#ASMEND
	;;#ASMSTART
	v_pk_mul_f16 v13, v128, v13;

	;;#ASMEND
	;; [unrolled: 4-line block ×3, first 2 shown]
	;;#ASMSTART
	v_pk_add_f16 v5, v5, v6;

	;;#ASMEND
	;;#ASMSTART
	v_pk_add_f16 v5, v5, v13;

	;;#ASMEND
	;; [unrolled: 4-line block ×3, first 2 shown]
	v_and_b32_e32 v5, 0xffff, v2
	v_lshrrev_b32_e32 v2, 16, v2
	;;#ASMSTART
	v_cvt_f32_f16 v180, v5;
	;;#ASMEND
	;;#ASMSTART
	v_cvt_f32_f16 v181, v2;
	;;#ASMEND
	flat_load_b64 v[13:14], v[11:12] offset:3328
	flat_load_b32 v6, v[121:122]
	s_mov_b32 s19, exec_lo
	s_waitcnt vmcnt(1) lgkmcnt(1)
	v_and_b32_e32 v2, 0xff, v13
	s_delay_alu instid0(VALU_DEP_1)
	v_cmpx_ne_u16_e32 0, v2
	s_cbranch_execz .LBB373_2922
; %bb.2915:                             ;   in Loop: Header=BB373_2082 Depth=1
	v_bfrev_b32_e32 v4, 1
	s_mov_b32 s21, exec_lo
	v_cmpx_ne_u16_e32 0x80, v2
	s_cbranch_execz .LBB373_2921
; %bb.2916:                             ;   in Loop: Header=BB373_2082 Depth=1
	v_and_b32_e32 v5, 0x7f, v13
	v_mov_b32_e32 v4, 0x7fc02000
	s_mov_b32 s22, exec_lo
	s_delay_alu instid0(VALU_DEP_2)
	v_cmpx_ne_u32_e32 0x7f, v5
	s_cbranch_execz .LBB373_2920
; %bb.2917:                             ;   in Loop: Header=BB373_2082 Depth=1
	v_lshrrev_b32_e32 v2, 3, v5
	v_dual_mov_b32 v16, v14 :: v_dual_mov_b32 v15, v13
	s_mov_b32 s23, exec_lo
	v_cmpx_gt_u32_e32 8, v5
; %bb.2918:                             ;   in Loop: Header=BB373_2082 Depth=1
	v_and_b32_e32 v2, 7, v13
	s_delay_alu instid0(VALU_DEP_1) | instskip(NEXT) | instid1(VALU_DEP_1)
	v_clz_i32_u32_e32 v2, v2
	v_min_u32_e32 v2, 32, v2
	s_delay_alu instid0(VALU_DEP_1) | instskip(SKIP_1) | instid1(VALU_DEP_2)
	v_subrev_nc_u32_e32 v4, 28, v2
	v_sub_nc_u32_e32 v2, 29, v2
	v_lshlrev_b64 v[15:16], v4, v[13:14]
; %bb.2919:                             ;   in Loop: Header=BB373_2082 Depth=1
	s_or_b32 exec_lo, exec_lo, s23
	v_lshlrev_b32_e32 v4, 8, v13
	s_delay_alu instid0(VALU_DEP_3) | instskip(NEXT) | instid1(VALU_DEP_3)
	v_lshl_add_u32 v2, v2, 10, 0x2000
	v_lshlrev_b32_e32 v5, 7, v15
	s_delay_alu instid0(VALU_DEP_2) | instskip(NEXT) | instid1(VALU_DEP_1)
	v_and_or_b32 v2, 0x8000, v4, v2
	v_and_or_b32 v2, 0x380, v5, v2
	s_delay_alu instid0(VALU_DEP_1)
	v_cvt_f32_f16_e32 v4, v2
.LBB373_2920:                           ;   in Loop: Header=BB373_2082 Depth=1
	s_or_b32 exec_lo, exec_lo, s22
.LBB373_2921:                           ;   in Loop: Header=BB373_2082 Depth=1
	s_delay_alu instid0(SALU_CYCLE_1)
	s_or_b32 exec_lo, exec_lo, s21
.LBB373_2922:                           ;   in Loop: Header=BB373_2082 Depth=1
	s_delay_alu instid0(SALU_CYCLE_1) | instskip(SKIP_3) | instid1(VALU_DEP_2)
	s_or_b32 exec_lo, exec_lo, s19
	v_lshrrev_b16 v2, 8, v13
	v_dual_mov_b32 v23, 0 :: v_dual_mov_b32 v22, 0
	s_mov_b32 s19, exec_lo
	v_cmpx_ne_u16_e32 0, v2
	s_cbranch_execz .LBB373_2930
; %bb.2923:                             ;   in Loop: Header=BB373_2082 Depth=1
	v_bfrev_b32_e32 v22, 1
	s_mov_b32 s21, exec_lo
	v_cmpx_ne_u16_e32 0x80, v2
	s_cbranch_execz .LBB373_2929
; %bb.2924:                             ;   in Loop: Header=BB373_2082 Depth=1
	v_and_b32_e32 v5, 0xffff, v2
	v_mov_b32_e32 v22, 0x7fc02000
	s_mov_b32 s22, exec_lo
	s_delay_alu instid0(VALU_DEP_2) | instskip(NEXT) | instid1(VALU_DEP_1)
	v_and_b32_e32 v34, 0x7f, v5
	v_cmpx_ne_u32_e32 0x7f, v34
	s_cbranch_execz .LBB373_2928
; %bb.2925:                             ;   in Loop: Header=BB373_2082 Depth=1
	v_and_b32_e32 v2, 7, v5
	v_lshrrev_b32_e32 v22, 3, v34
	v_mov_b32_e32 v16, v3
	s_mov_b32 s23, exec_lo
	s_delay_alu instid0(VALU_DEP_3)
	v_mov_b32_e32 v15, v2
	v_cmpx_gt_u32_e32 8, v34
; %bb.2926:                             ;   in Loop: Header=BB373_2082 Depth=1
	v_clz_i32_u32_e32 v15, v2
	s_delay_alu instid0(VALU_DEP_1) | instskip(NEXT) | instid1(VALU_DEP_1)
	v_min_u32_e32 v22, 32, v15
	v_subrev_nc_u32_e32 v15, 28, v22
	v_sub_nc_u32_e32 v22, 29, v22
	s_delay_alu instid0(VALU_DEP_2) | instskip(NEXT) | instid1(VALU_DEP_1)
	v_lshlrev_b64 v[15:16], v15, v[2:3]
	v_and_b32_e32 v15, 7, v15
; %bb.2927:                             ;   in Loop: Header=BB373_2082 Depth=1
	s_or_b32 exec_lo, exec_lo, s23
	v_lshlrev_b32_e32 v2, 8, v5
	v_lshl_add_u32 v5, v22, 10, 0x2000
	s_delay_alu instid0(VALU_DEP_1) | instskip(NEXT) | instid1(VALU_DEP_1)
	v_and_or_b32 v2, 0x8000, v2, v5
	v_lshl_or_b32 v2, v15, 7, v2
	s_delay_alu instid0(VALU_DEP_1)
	v_cvt_f32_f16_e32 v22, v2
.LBB373_2928:                           ;   in Loop: Header=BB373_2082 Depth=1
	s_or_b32 exec_lo, exec_lo, s22
.LBB373_2929:                           ;   in Loop: Header=BB373_2082 Depth=1
	s_delay_alu instid0(SALU_CYCLE_1)
	s_or_b32 exec_lo, exec_lo, s21
.LBB373_2930:                           ;   in Loop: Header=BB373_2082 Depth=1
	s_delay_alu instid0(SALU_CYCLE_1) | instskip(SKIP_2) | instid1(VALU_DEP_1)
	s_or_b32 exec_lo, exec_lo, s19
	v_lshrrev_b32_e32 v5, 16, v13
	s_mov_b32 s19, exec_lo
	v_and_b32_e32 v2, 0xff, v5
	s_delay_alu instid0(VALU_DEP_1)
	v_cmpx_ne_u16_e32 0, v2
	s_cbranch_execz .LBB373_2938
; %bb.2931:                             ;   in Loop: Header=BB373_2082 Depth=1
	v_bfrev_b32_e32 v23, 1
	s_mov_b32 s21, exec_lo
	v_cmpx_ne_u16_e32 0x80, v2
	s_cbranch_execz .LBB373_2937
; %bb.2932:                             ;   in Loop: Header=BB373_2082 Depth=1
	v_bfe_u32 v34, v13, 16, 7
	v_mov_b32_e32 v23, 0x7fc02000
	s_mov_b32 s22, exec_lo
	s_delay_alu instid0(VALU_DEP_2)
	v_cmpx_ne_u32_e32 0x7f, v34
	s_cbranch_execz .LBB373_2936
; %bb.2933:                             ;   in Loop: Header=BB373_2082 Depth=1
	v_and_b32_e32 v2, 7, v5
	v_lshrrev_b32_e32 v23, 3, v34
	v_mov_b32_e32 v16, v3
	s_mov_b32 s23, exec_lo
	s_delay_alu instid0(VALU_DEP_3)
	v_mov_b32_e32 v15, v2
	v_cmpx_gt_u32_e32 8, v34
; %bb.2934:                             ;   in Loop: Header=BB373_2082 Depth=1
	v_clz_i32_u32_e32 v15, v2
	s_delay_alu instid0(VALU_DEP_1) | instskip(NEXT) | instid1(VALU_DEP_1)
	v_min_u32_e32 v23, 32, v15
	v_subrev_nc_u32_e32 v15, 28, v23
	v_sub_nc_u32_e32 v23, 29, v23
	s_delay_alu instid0(VALU_DEP_2) | instskip(NEXT) | instid1(VALU_DEP_1)
	v_lshlrev_b64 v[15:16], v15, v[2:3]
	v_and_b32_e32 v15, 7, v15
; %bb.2935:                             ;   in Loop: Header=BB373_2082 Depth=1
	s_or_b32 exec_lo, exec_lo, s23
	v_lshlrev_b32_e32 v2, 8, v5
	v_lshl_add_u32 v5, v23, 10, 0x2000
	s_delay_alu instid0(VALU_DEP_1) | instskip(NEXT) | instid1(VALU_DEP_1)
	v_and_or_b32 v2, 0x8000, v2, v5
	v_lshl_or_b32 v2, v15, 7, v2
	s_delay_alu instid0(VALU_DEP_1)
	v_cvt_f32_f16_e32 v23, v2
.LBB373_2936:                           ;   in Loop: Header=BB373_2082 Depth=1
	s_or_b32 exec_lo, exec_lo, s22
.LBB373_2937:                           ;   in Loop: Header=BB373_2082 Depth=1
	s_delay_alu instid0(SALU_CYCLE_1)
	s_or_b32 exec_lo, exec_lo, s21
.LBB373_2938:                           ;   in Loop: Header=BB373_2082 Depth=1
	s_delay_alu instid0(SALU_CYCLE_1)
	s_or_b32 exec_lo, exec_lo, s19
	v_dual_mov_b32 v34, 0 :: v_dual_mov_b32 v35, 0
	s_mov_b32 s19, exec_lo
	v_cmpx_lt_u32_e32 0xffffff, v13
	s_cbranch_execz .LBB373_2946
; %bb.2939:                             ;   in Loop: Header=BB373_2082 Depth=1
	v_lshrrev_b32_e32 v5, 24, v13
	v_bfrev_b32_e32 v35, 1
	s_mov_b32 s21, exec_lo
	s_delay_alu instid0(VALU_DEP_2)
	v_cmpx_ne_u32_e32 0x80, v5
	s_cbranch_execz .LBB373_2945
; %bb.2940:                             ;   in Loop: Header=BB373_2082 Depth=1
	v_and_b32_e32 v36, 0x7f, v5
	v_mov_b32_e32 v35, 0x7fc02000
	s_mov_b32 s22, exec_lo
	s_delay_alu instid0(VALU_DEP_2)
	v_cmpx_ne_u32_e32 0x7f, v36
	s_cbranch_execz .LBB373_2944
; %bb.2941:                             ;   in Loop: Header=BB373_2082 Depth=1
	v_and_b32_e32 v2, 7, v5
	v_lshrrev_b32_e32 v35, 3, v36
	v_mov_b32_e32 v16, v3
	s_mov_b32 s23, exec_lo
	s_delay_alu instid0(VALU_DEP_3)
	v_mov_b32_e32 v15, v2
	v_cmpx_gt_u32_e32 8, v36
; %bb.2942:                             ;   in Loop: Header=BB373_2082 Depth=1
	v_clz_i32_u32_e32 v15, v2
	s_delay_alu instid0(VALU_DEP_1) | instskip(NEXT) | instid1(VALU_DEP_1)
	v_min_u32_e32 v35, 32, v15
	v_subrev_nc_u32_e32 v15, 28, v35
	v_sub_nc_u32_e32 v35, 29, v35
	s_delay_alu instid0(VALU_DEP_2) | instskip(NEXT) | instid1(VALU_DEP_1)
	v_lshlrev_b64 v[15:16], v15, v[2:3]
	v_and_b32_e32 v15, 7, v15
; %bb.2943:                             ;   in Loop: Header=BB373_2082 Depth=1
	s_or_b32 exec_lo, exec_lo, s23
	v_lshlrev_b32_e32 v2, 8, v5
	v_lshl_add_u32 v5, v35, 10, 0x2000
	s_delay_alu instid0(VALU_DEP_1) | instskip(NEXT) | instid1(VALU_DEP_1)
	v_and_or_b32 v2, 0x8000, v2, v5
	v_lshl_or_b32 v2, v15, 7, v2
	s_delay_alu instid0(VALU_DEP_1)
	v_cvt_f32_f16_e32 v35, v2
.LBB373_2944:                           ;   in Loop: Header=BB373_2082 Depth=1
	s_or_b32 exec_lo, exec_lo, s22
.LBB373_2945:                           ;   in Loop: Header=BB373_2082 Depth=1
	s_delay_alu instid0(SALU_CYCLE_1)
	s_or_b32 exec_lo, exec_lo, s21
.LBB373_2946:                           ;   in Loop: Header=BB373_2082 Depth=1
	s_delay_alu instid0(SALU_CYCLE_1) | instskip(SKIP_2) | instid1(VALU_DEP_1)
	s_or_b32 exec_lo, exec_lo, s19
	v_dual_mov_b32 v2, v14 :: v_dual_and_b32 v5, 0xff, v14
	s_mov_b32 s19, exec_lo
	v_cmpx_ne_u16_e32 0, v5
	s_cbranch_execz .LBB373_2954
; %bb.2947:                             ;   in Loop: Header=BB373_2082 Depth=1
	v_bfrev_b32_e32 v34, 1
	s_mov_b32 s21, exec_lo
	v_cmpx_ne_u16_e32 0x80, v5
	s_cbranch_execz .LBB373_2953
; %bb.2948:                             ;   in Loop: Header=BB373_2082 Depth=1
	v_and_b32_e32 v36, 0x7f, v14
	v_mov_b32_e32 v34, 0x7fc02000
	s_mov_b32 s22, exec_lo
	s_delay_alu instid0(VALU_DEP_2)
	v_cmpx_ne_u32_e32 0x7f, v36
	s_cbranch_execz .LBB373_2952
; %bb.2949:                             ;   in Loop: Header=BB373_2082 Depth=1
	v_dual_mov_b32 v16, v3 :: v_dual_mov_b32 v15, v2
	v_lshrrev_b32_e32 v5, 3, v36
	s_mov_b32 s23, exec_lo
	v_cmpx_gt_u32_e32 8, v36
; %bb.2950:                             ;   in Loop: Header=BB373_2082 Depth=1
	v_and_b32_e32 v5, 7, v14
	s_delay_alu instid0(VALU_DEP_1) | instskip(NEXT) | instid1(VALU_DEP_1)
	v_clz_i32_u32_e32 v5, v5
	v_min_u32_e32 v5, 32, v5
	s_delay_alu instid0(VALU_DEP_1) | instskip(SKIP_1) | instid1(VALU_DEP_2)
	v_subrev_nc_u32_e32 v15, 28, v5
	v_sub_nc_u32_e32 v5, 29, v5
	v_lshlrev_b64 v[15:16], v15, v[2:3]
; %bb.2951:                             ;   in Loop: Header=BB373_2082 Depth=1
	s_or_b32 exec_lo, exec_lo, s23
	v_lshlrev_b32_e32 v16, 8, v14
	s_delay_alu instid0(VALU_DEP_3) | instskip(NEXT) | instid1(VALU_DEP_3)
	v_lshl_add_u32 v5, v5, 10, 0x2000
	v_lshlrev_b32_e32 v15, 7, v15
	s_delay_alu instid0(VALU_DEP_2) | instskip(NEXT) | instid1(VALU_DEP_1)
	v_and_or_b32 v5, 0x8000, v16, v5
	v_and_or_b32 v5, 0x380, v15, v5
	s_delay_alu instid0(VALU_DEP_1)
	v_cvt_f32_f16_e32 v34, v5
.LBB373_2952:                           ;   in Loop: Header=BB373_2082 Depth=1
	s_or_b32 exec_lo, exec_lo, s22
.LBB373_2953:                           ;   in Loop: Header=BB373_2082 Depth=1
	s_delay_alu instid0(SALU_CYCLE_1)
	s_or_b32 exec_lo, exec_lo, s21
.LBB373_2954:                           ;   in Loop: Header=BB373_2082 Depth=1
	s_delay_alu instid0(SALU_CYCLE_1) | instskip(SKIP_3) | instid1(VALU_DEP_2)
	s_or_b32 exec_lo, exec_lo, s19
	v_lshrrev_b16 v2, 8, v2
	v_dual_mov_b32 v36, 0 :: v_dual_mov_b32 v37, 0
	s_mov_b32 s19, exec_lo
	v_cmpx_ne_u16_e32 0, v2
	s_cbranch_execz .LBB373_2962
; %bb.2955:                             ;   in Loop: Header=BB373_2082 Depth=1
	v_bfrev_b32_e32 v37, 1
	s_mov_b32 s21, exec_lo
	v_cmpx_ne_u16_e32 0x80, v2
	s_cbranch_execz .LBB373_2961
; %bb.2956:                             ;   in Loop: Header=BB373_2082 Depth=1
	v_and_b32_e32 v5, 0xffff, v2
	v_mov_b32_e32 v37, 0x7fc02000
	s_mov_b32 s22, exec_lo
	s_delay_alu instid0(VALU_DEP_2) | instskip(NEXT) | instid1(VALU_DEP_1)
	v_and_b32_e32 v182, 0x7f, v5
	v_cmpx_ne_u32_e32 0x7f, v182
	s_cbranch_execz .LBB373_2960
; %bb.2957:                             ;   in Loop: Header=BB373_2082 Depth=1
	v_and_b32_e32 v2, 7, v5
	v_lshrrev_b32_e32 v37, 3, v182
	v_mov_b32_e32 v16, v3
	s_mov_b32 s23, exec_lo
	s_delay_alu instid0(VALU_DEP_3)
	v_mov_b32_e32 v15, v2
	v_cmpx_gt_u32_e32 8, v182
; %bb.2958:                             ;   in Loop: Header=BB373_2082 Depth=1
	v_clz_i32_u32_e32 v15, v2
	s_delay_alu instid0(VALU_DEP_1) | instskip(NEXT) | instid1(VALU_DEP_1)
	v_min_u32_e32 v37, 32, v15
	v_subrev_nc_u32_e32 v15, 28, v37
	v_sub_nc_u32_e32 v37, 29, v37
	s_delay_alu instid0(VALU_DEP_2) | instskip(NEXT) | instid1(VALU_DEP_1)
	v_lshlrev_b64 v[15:16], v15, v[2:3]
	v_and_b32_e32 v15, 7, v15
; %bb.2959:                             ;   in Loop: Header=BB373_2082 Depth=1
	s_or_b32 exec_lo, exec_lo, s23
	v_lshlrev_b32_e32 v2, 8, v5
	v_lshl_add_u32 v5, v37, 10, 0x2000
	s_delay_alu instid0(VALU_DEP_1) | instskip(NEXT) | instid1(VALU_DEP_1)
	v_and_or_b32 v2, 0x8000, v2, v5
	v_lshl_or_b32 v2, v15, 7, v2
	s_delay_alu instid0(VALU_DEP_1)
	v_cvt_f32_f16_e32 v37, v2
.LBB373_2960:                           ;   in Loop: Header=BB373_2082 Depth=1
	s_or_b32 exec_lo, exec_lo, s22
.LBB373_2961:                           ;   in Loop: Header=BB373_2082 Depth=1
	s_delay_alu instid0(SALU_CYCLE_1)
	s_or_b32 exec_lo, exec_lo, s21
.LBB373_2962:                           ;   in Loop: Header=BB373_2082 Depth=1
	s_delay_alu instid0(SALU_CYCLE_1) | instskip(SKIP_2) | instid1(VALU_DEP_1)
	s_or_b32 exec_lo, exec_lo, s19
	v_lshrrev_b32_e32 v5, 16, v14
	s_mov_b32 s19, exec_lo
	v_and_b32_e32 v2, 0xff, v5
	s_delay_alu instid0(VALU_DEP_1)
	v_cmpx_ne_u16_e32 0, v2
	s_cbranch_execz .LBB373_2970
; %bb.2963:                             ;   in Loop: Header=BB373_2082 Depth=1
	v_bfrev_b32_e32 v36, 1
	s_mov_b32 s21, exec_lo
	v_cmpx_ne_u16_e32 0x80, v2
	s_cbranch_execz .LBB373_2969
; %bb.2964:                             ;   in Loop: Header=BB373_2082 Depth=1
	v_bfe_u32 v182, v14, 16, 7
	v_mov_b32_e32 v36, 0x7fc02000
	s_mov_b32 s22, exec_lo
	s_delay_alu instid0(VALU_DEP_2)
	v_cmpx_ne_u32_e32 0x7f, v182
	s_cbranch_execz .LBB373_2968
; %bb.2965:                             ;   in Loop: Header=BB373_2082 Depth=1
	v_and_b32_e32 v2, 7, v5
	v_lshrrev_b32_e32 v36, 3, v182
	v_mov_b32_e32 v16, v3
	s_mov_b32 s23, exec_lo
	s_delay_alu instid0(VALU_DEP_3)
	v_mov_b32_e32 v15, v2
	v_cmpx_gt_u32_e32 8, v182
; %bb.2966:                             ;   in Loop: Header=BB373_2082 Depth=1
	v_clz_i32_u32_e32 v15, v2
	s_delay_alu instid0(VALU_DEP_1) | instskip(NEXT) | instid1(VALU_DEP_1)
	v_min_u32_e32 v36, 32, v15
	v_subrev_nc_u32_e32 v15, 28, v36
	v_sub_nc_u32_e32 v36, 29, v36
	s_delay_alu instid0(VALU_DEP_2) | instskip(NEXT) | instid1(VALU_DEP_1)
	v_lshlrev_b64 v[15:16], v15, v[2:3]
	v_and_b32_e32 v15, 7, v15
; %bb.2967:                             ;   in Loop: Header=BB373_2082 Depth=1
	s_or_b32 exec_lo, exec_lo, s23
	v_lshlrev_b32_e32 v2, 8, v5
	v_lshl_add_u32 v5, v36, 10, 0x2000
	s_delay_alu instid0(VALU_DEP_1) | instskip(NEXT) | instid1(VALU_DEP_1)
	v_and_or_b32 v2, 0x8000, v2, v5
	v_lshl_or_b32 v2, v15, 7, v2
	s_delay_alu instid0(VALU_DEP_1)
	v_cvt_f32_f16_e32 v36, v2
.LBB373_2968:                           ;   in Loop: Header=BB373_2082 Depth=1
	s_or_b32 exec_lo, exec_lo, s22
.LBB373_2969:                           ;   in Loop: Header=BB373_2082 Depth=1
	s_delay_alu instid0(SALU_CYCLE_1)
	s_or_b32 exec_lo, exec_lo, s21
.LBB373_2970:                           ;   in Loop: Header=BB373_2082 Depth=1
	s_delay_alu instid0(SALU_CYCLE_1)
	s_or_b32 exec_lo, exec_lo, s19
	v_dual_mov_b32 v5, 0 :: v_dual_mov_b32 v2, 0
	s_mov_b32 s19, exec_lo
	v_cmpx_lt_u64_e64 s[12:13], v[13:14]
	s_cbranch_execz .LBB373_2978
; %bb.2971:                             ;   in Loop: Header=BB373_2082 Depth=1
	v_lshrrev_b32_e32 v15, 24, v14
	v_bfrev_b32_e32 v2, 1
	s_mov_b32 s21, exec_lo
	s_delay_alu instid0(VALU_DEP_2)
	v_cmpx_ne_u32_e32 0x80, v15
	s_cbranch_execz .LBB373_2977
; %bb.2972:                             ;   in Loop: Header=BB373_2082 Depth=1
	v_and_b32_e32 v182, 0x7f, v15
	v_mov_b32_e32 v2, 0x7fc02000
	s_mov_b32 s22, exec_lo
	s_delay_alu instid0(VALU_DEP_2)
	v_cmpx_ne_u32_e32 0x7f, v182
	s_cbranch_execz .LBB373_2976
; %bb.2973:                             ;   in Loop: Header=BB373_2082 Depth=1
	v_and_b32_e32 v2, 7, v15
	v_lshrrev_b32_e32 v16, 3, v182
	v_mov_b32_e32 v14, v3
	s_mov_b32 s23, exec_lo
	s_delay_alu instid0(VALU_DEP_3)
	v_mov_b32_e32 v13, v2
	v_cmpx_gt_u32_e32 8, v182
; %bb.2974:                             ;   in Loop: Header=BB373_2082 Depth=1
	v_clz_i32_u32_e32 v13, v2
	s_delay_alu instid0(VALU_DEP_1) | instskip(NEXT) | instid1(VALU_DEP_1)
	v_min_u32_e32 v16, 32, v13
	v_subrev_nc_u32_e32 v13, 28, v16
	v_sub_nc_u32_e32 v16, 29, v16
	s_delay_alu instid0(VALU_DEP_2) | instskip(NEXT) | instid1(VALU_DEP_1)
	v_lshlrev_b64 v[13:14], v13, v[2:3]
	v_and_b32_e32 v13, 7, v13
; %bb.2975:                             ;   in Loop: Header=BB373_2082 Depth=1
	s_or_b32 exec_lo, exec_lo, s23
	v_lshlrev_b32_e32 v2, 8, v15
	v_lshl_add_u32 v14, v16, 10, 0x2000
	s_delay_alu instid0(VALU_DEP_1) | instskip(NEXT) | instid1(VALU_DEP_1)
	v_and_or_b32 v2, 0x8000, v2, v14
	v_lshl_or_b32 v2, v13, 7, v2
	s_delay_alu instid0(VALU_DEP_1)
	v_cvt_f32_f16_e32 v2, v2
.LBB373_2976:                           ;   in Loop: Header=BB373_2082 Depth=1
	s_or_b32 exec_lo, exec_lo, s22
.LBB373_2977:                           ;   in Loop: Header=BB373_2082 Depth=1
	s_delay_alu instid0(SALU_CYCLE_1)
	s_or_b32 exec_lo, exec_lo, s21
.LBB373_2978:                           ;   in Loop: Header=BB373_2082 Depth=1
	s_delay_alu instid0(SALU_CYCLE_1)
	s_or_b32 exec_lo, exec_lo, s19
	s_waitcnt vmcnt(0) lgkmcnt(0)
	v_fma_mixlo_f16 v13, v6, v35, 0
	v_fma_mixlo_f16 v14, v6, v23, 0
	;; [unrolled: 1-line block ×5, first 2 shown]
	v_lshlrev_b32_e32 v22, 16, v13
	v_fma_mixlo_f16 v23, v6, v34, 0
	v_and_b32_e32 v34, 0xffff, v14
	v_lshlrev_b32_e32 v35, 16, v15
	v_and_b32_e32 v37, 0xffff, v4
	v_cndmask_b32_e32 v4, 0, v4, vcc_lo
	v_fma_mixlo_f16 v2, v6, v2, 0
	v_fma_mixlo_f16 v6, v6, v36, 0
	v_cndmask_b32_e64 v15, 0, v15, s0
	v_lshlrev_b32_e32 v167, 16, v16
	v_and_b32_e32 v176, 0xffff, v23
	v_or_b32_e32 v22, v22, v34
	v_or_b32_e32 v34, v35, v37
	v_lshlrev_b32_e32 v36, 16, v2
	v_and_b32_e32 v37, 0xffff, v6
	v_cndmask_b32_e64 v14, 0, v14, s2
	v_cndmask_b32_e64 v13, 0, v13, s4
	;; [unrolled: 1-line block ×6, first 2 shown]
	v_perm_b32 v4, v15, v4, 0x5040100
	v_or_b32_e32 v35, v167, v176
	v_or_b32_e32 v36, v36, v37
	v_perm_b32 v13, v13, v14, 0x5040100
	v_perm_b32 v14, v16, v23, 0x5040100
	;; [unrolled: 1-line block ×3, first 2 shown]
	v_cndmask_b32_e64 v4, v34, v4, s1
	;;#ASMSTART
	v_pk_mul_f16 v4, v130, v4;

	;;#ASMEND
	v_cndmask_b32_e64 v6, v22, v13, s1
	v_cndmask_b32_e64 v13, v35, v14, s1
	;; [unrolled: 1-line block ×3, first 2 shown]
	;;#ASMSTART
	v_pk_mul_f16 v6, v129, v6;

	;;#ASMEND
	;;#ASMSTART
	v_pk_mul_f16 v13, v128, v13;

	;;#ASMEND
	;;#ASMSTART
	v_pk_mul_f16 v2, v131, v2;

	;;#ASMEND
	;;#ASMSTART
	v_pk_add_f16 v4, v4, v6;

	;;#ASMEND
	;;#ASMSTART
	v_pk_add_f16 v4, v4, v13;

	;;#ASMEND
	;;#ASMSTART
	v_pk_add_f16 v2, v4, v2;

	;;#ASMEND
	v_and_b32_e32 v4, 0xffff, v2
	v_lshrrev_b32_e32 v2, 16, v2
	;;#ASMSTART
	v_cvt_f32_f16 v182, v4;
	;;#ASMEND
	;;#ASMSTART
	v_cvt_f32_f16 v183, v2;
	;;#ASMEND
	flat_load_b64 v[13:14], v[11:12] offset:3584
	flat_load_b32 v4, v[121:122]
	s_mov_b32 s19, exec_lo
	s_waitcnt vmcnt(1) lgkmcnt(1)
	v_and_b32_e32 v2, 0xff, v13
	s_delay_alu instid0(VALU_DEP_1)
	v_cmpx_ne_u16_e32 0, v2
	s_cbranch_execz .LBB373_2986
; %bb.2979:                             ;   in Loop: Header=BB373_2082 Depth=1
	v_bfrev_b32_e32 v5, 1
	s_mov_b32 s21, exec_lo
	v_cmpx_ne_u16_e32 0x80, v2
	s_cbranch_execz .LBB373_2985
; %bb.2980:                             ;   in Loop: Header=BB373_2082 Depth=1
	v_and_b32_e32 v6, 0x7f, v13
	v_mov_b32_e32 v5, 0x7fc02000
	s_mov_b32 s22, exec_lo
	s_delay_alu instid0(VALU_DEP_2)
	v_cmpx_ne_u32_e32 0x7f, v6
	s_cbranch_execz .LBB373_2984
; %bb.2981:                             ;   in Loop: Header=BB373_2082 Depth=1
	v_lshrrev_b32_e32 v2, 3, v6
	v_dual_mov_b32 v16, v14 :: v_dual_mov_b32 v15, v13
	s_mov_b32 s23, exec_lo
	v_cmpx_gt_u32_e32 8, v6
; %bb.2982:                             ;   in Loop: Header=BB373_2082 Depth=1
	v_and_b32_e32 v2, 7, v13
	s_delay_alu instid0(VALU_DEP_1) | instskip(NEXT) | instid1(VALU_DEP_1)
	v_clz_i32_u32_e32 v2, v2
	v_min_u32_e32 v2, 32, v2
	s_delay_alu instid0(VALU_DEP_1) | instskip(SKIP_1) | instid1(VALU_DEP_2)
	v_subrev_nc_u32_e32 v5, 28, v2
	v_sub_nc_u32_e32 v2, 29, v2
	v_lshlrev_b64 v[15:16], v5, v[13:14]
; %bb.2983:                             ;   in Loop: Header=BB373_2082 Depth=1
	s_or_b32 exec_lo, exec_lo, s23
	v_lshlrev_b32_e32 v5, 8, v13
	s_delay_alu instid0(VALU_DEP_3) | instskip(NEXT) | instid1(VALU_DEP_3)
	v_lshl_add_u32 v2, v2, 10, 0x2000
	v_lshlrev_b32_e32 v6, 7, v15
	s_delay_alu instid0(VALU_DEP_2) | instskip(NEXT) | instid1(VALU_DEP_1)
	v_and_or_b32 v2, 0x8000, v5, v2
	v_and_or_b32 v2, 0x380, v6, v2
	s_delay_alu instid0(VALU_DEP_1)
	v_cvt_f32_f16_e32 v5, v2
.LBB373_2984:                           ;   in Loop: Header=BB373_2082 Depth=1
	s_or_b32 exec_lo, exec_lo, s22
.LBB373_2985:                           ;   in Loop: Header=BB373_2082 Depth=1
	s_delay_alu instid0(SALU_CYCLE_1)
	s_or_b32 exec_lo, exec_lo, s21
.LBB373_2986:                           ;   in Loop: Header=BB373_2082 Depth=1
	s_delay_alu instid0(SALU_CYCLE_1) | instskip(SKIP_3) | instid1(VALU_DEP_2)
	s_or_b32 exec_lo, exec_lo, s19
	v_lshrrev_b16 v2, 8, v13
	v_dual_mov_b32 v23, 0 :: v_dual_mov_b32 v22, 0
	s_mov_b32 s19, exec_lo
	v_cmpx_ne_u16_e32 0, v2
	s_cbranch_execz .LBB373_2994
; %bb.2987:                             ;   in Loop: Header=BB373_2082 Depth=1
	v_bfrev_b32_e32 v22, 1
	s_mov_b32 s21, exec_lo
	v_cmpx_ne_u16_e32 0x80, v2
	s_cbranch_execz .LBB373_2993
; %bb.2988:                             ;   in Loop: Header=BB373_2082 Depth=1
	v_and_b32_e32 v6, 0xffff, v2
	v_mov_b32_e32 v22, 0x7fc02000
	s_mov_b32 s22, exec_lo
	s_delay_alu instid0(VALU_DEP_2) | instskip(NEXT) | instid1(VALU_DEP_1)
	v_and_b32_e32 v34, 0x7f, v6
	v_cmpx_ne_u32_e32 0x7f, v34
	s_cbranch_execz .LBB373_2992
; %bb.2989:                             ;   in Loop: Header=BB373_2082 Depth=1
	v_and_b32_e32 v2, 7, v6
	v_lshrrev_b32_e32 v22, 3, v34
	v_mov_b32_e32 v16, v3
	s_mov_b32 s23, exec_lo
	s_delay_alu instid0(VALU_DEP_3)
	v_mov_b32_e32 v15, v2
	v_cmpx_gt_u32_e32 8, v34
; %bb.2990:                             ;   in Loop: Header=BB373_2082 Depth=1
	v_clz_i32_u32_e32 v15, v2
	s_delay_alu instid0(VALU_DEP_1) | instskip(NEXT) | instid1(VALU_DEP_1)
	v_min_u32_e32 v22, 32, v15
	v_subrev_nc_u32_e32 v15, 28, v22
	v_sub_nc_u32_e32 v22, 29, v22
	s_delay_alu instid0(VALU_DEP_2) | instskip(NEXT) | instid1(VALU_DEP_1)
	v_lshlrev_b64 v[15:16], v15, v[2:3]
	v_and_b32_e32 v15, 7, v15
; %bb.2991:                             ;   in Loop: Header=BB373_2082 Depth=1
	s_or_b32 exec_lo, exec_lo, s23
	v_lshlrev_b32_e32 v2, 8, v6
	v_lshl_add_u32 v6, v22, 10, 0x2000
	s_delay_alu instid0(VALU_DEP_1) | instskip(NEXT) | instid1(VALU_DEP_1)
	v_and_or_b32 v2, 0x8000, v2, v6
	v_lshl_or_b32 v2, v15, 7, v2
	s_delay_alu instid0(VALU_DEP_1)
	v_cvt_f32_f16_e32 v22, v2
.LBB373_2992:                           ;   in Loop: Header=BB373_2082 Depth=1
	s_or_b32 exec_lo, exec_lo, s22
.LBB373_2993:                           ;   in Loop: Header=BB373_2082 Depth=1
	s_delay_alu instid0(SALU_CYCLE_1)
	s_or_b32 exec_lo, exec_lo, s21
.LBB373_2994:                           ;   in Loop: Header=BB373_2082 Depth=1
	s_delay_alu instid0(SALU_CYCLE_1) | instskip(SKIP_2) | instid1(VALU_DEP_1)
	s_or_b32 exec_lo, exec_lo, s19
	v_lshrrev_b32_e32 v6, 16, v13
	s_mov_b32 s19, exec_lo
	v_and_b32_e32 v2, 0xff, v6
	s_delay_alu instid0(VALU_DEP_1)
	v_cmpx_ne_u16_e32 0, v2
	s_cbranch_execz .LBB373_3002
; %bb.2995:                             ;   in Loop: Header=BB373_2082 Depth=1
	v_bfrev_b32_e32 v23, 1
	s_mov_b32 s21, exec_lo
	v_cmpx_ne_u16_e32 0x80, v2
	s_cbranch_execz .LBB373_3001
; %bb.2996:                             ;   in Loop: Header=BB373_2082 Depth=1
	v_bfe_u32 v34, v13, 16, 7
	v_mov_b32_e32 v23, 0x7fc02000
	s_mov_b32 s22, exec_lo
	s_delay_alu instid0(VALU_DEP_2)
	v_cmpx_ne_u32_e32 0x7f, v34
	s_cbranch_execz .LBB373_3000
; %bb.2997:                             ;   in Loop: Header=BB373_2082 Depth=1
	v_and_b32_e32 v2, 7, v6
	v_lshrrev_b32_e32 v23, 3, v34
	v_mov_b32_e32 v16, v3
	s_mov_b32 s23, exec_lo
	s_delay_alu instid0(VALU_DEP_3)
	v_mov_b32_e32 v15, v2
	v_cmpx_gt_u32_e32 8, v34
; %bb.2998:                             ;   in Loop: Header=BB373_2082 Depth=1
	v_clz_i32_u32_e32 v15, v2
	s_delay_alu instid0(VALU_DEP_1) | instskip(NEXT) | instid1(VALU_DEP_1)
	v_min_u32_e32 v23, 32, v15
	v_subrev_nc_u32_e32 v15, 28, v23
	v_sub_nc_u32_e32 v23, 29, v23
	s_delay_alu instid0(VALU_DEP_2) | instskip(NEXT) | instid1(VALU_DEP_1)
	v_lshlrev_b64 v[15:16], v15, v[2:3]
	v_and_b32_e32 v15, 7, v15
; %bb.2999:                             ;   in Loop: Header=BB373_2082 Depth=1
	s_or_b32 exec_lo, exec_lo, s23
	v_lshlrev_b32_e32 v2, 8, v6
	v_lshl_add_u32 v6, v23, 10, 0x2000
	s_delay_alu instid0(VALU_DEP_1) | instskip(NEXT) | instid1(VALU_DEP_1)
	v_and_or_b32 v2, 0x8000, v2, v6
	v_lshl_or_b32 v2, v15, 7, v2
	s_delay_alu instid0(VALU_DEP_1)
	v_cvt_f32_f16_e32 v23, v2
.LBB373_3000:                           ;   in Loop: Header=BB373_2082 Depth=1
	s_or_b32 exec_lo, exec_lo, s22
.LBB373_3001:                           ;   in Loop: Header=BB373_2082 Depth=1
	s_delay_alu instid0(SALU_CYCLE_1)
	s_or_b32 exec_lo, exec_lo, s21
.LBB373_3002:                           ;   in Loop: Header=BB373_2082 Depth=1
	s_delay_alu instid0(SALU_CYCLE_1)
	s_or_b32 exec_lo, exec_lo, s19
	v_dual_mov_b32 v34, 0 :: v_dual_mov_b32 v35, 0
	s_mov_b32 s19, exec_lo
	v_cmpx_lt_u32_e32 0xffffff, v13
	s_cbranch_execz .LBB373_3010
; %bb.3003:                             ;   in Loop: Header=BB373_2082 Depth=1
	v_lshrrev_b32_e32 v6, 24, v13
	v_bfrev_b32_e32 v35, 1
	s_mov_b32 s21, exec_lo
	s_delay_alu instid0(VALU_DEP_2)
	v_cmpx_ne_u32_e32 0x80, v6
	s_cbranch_execz .LBB373_3009
; %bb.3004:                             ;   in Loop: Header=BB373_2082 Depth=1
	v_and_b32_e32 v36, 0x7f, v6
	v_mov_b32_e32 v35, 0x7fc02000
	s_mov_b32 s22, exec_lo
	s_delay_alu instid0(VALU_DEP_2)
	v_cmpx_ne_u32_e32 0x7f, v36
	s_cbranch_execz .LBB373_3008
; %bb.3005:                             ;   in Loop: Header=BB373_2082 Depth=1
	v_and_b32_e32 v2, 7, v6
	v_lshrrev_b32_e32 v35, 3, v36
	v_mov_b32_e32 v16, v3
	s_mov_b32 s23, exec_lo
	s_delay_alu instid0(VALU_DEP_3)
	v_mov_b32_e32 v15, v2
	v_cmpx_gt_u32_e32 8, v36
; %bb.3006:                             ;   in Loop: Header=BB373_2082 Depth=1
	v_clz_i32_u32_e32 v15, v2
	s_delay_alu instid0(VALU_DEP_1) | instskip(NEXT) | instid1(VALU_DEP_1)
	v_min_u32_e32 v35, 32, v15
	v_subrev_nc_u32_e32 v15, 28, v35
	v_sub_nc_u32_e32 v35, 29, v35
	s_delay_alu instid0(VALU_DEP_2) | instskip(NEXT) | instid1(VALU_DEP_1)
	v_lshlrev_b64 v[15:16], v15, v[2:3]
	v_and_b32_e32 v15, 7, v15
; %bb.3007:                             ;   in Loop: Header=BB373_2082 Depth=1
	s_or_b32 exec_lo, exec_lo, s23
	v_lshlrev_b32_e32 v2, 8, v6
	v_lshl_add_u32 v6, v35, 10, 0x2000
	s_delay_alu instid0(VALU_DEP_1) | instskip(NEXT) | instid1(VALU_DEP_1)
	v_and_or_b32 v2, 0x8000, v2, v6
	v_lshl_or_b32 v2, v15, 7, v2
	s_delay_alu instid0(VALU_DEP_1)
	v_cvt_f32_f16_e32 v35, v2
.LBB373_3008:                           ;   in Loop: Header=BB373_2082 Depth=1
	s_or_b32 exec_lo, exec_lo, s22
.LBB373_3009:                           ;   in Loop: Header=BB373_2082 Depth=1
	s_delay_alu instid0(SALU_CYCLE_1)
	s_or_b32 exec_lo, exec_lo, s21
.LBB373_3010:                           ;   in Loop: Header=BB373_2082 Depth=1
	s_delay_alu instid0(SALU_CYCLE_1) | instskip(SKIP_3) | instid1(VALU_DEP_2)
	s_or_b32 exec_lo, exec_lo, s19
	v_and_b32_e32 v6, 0xff, v14
	v_mov_b32_e32 v2, v14
	s_mov_b32 s19, exec_lo
	v_cmpx_ne_u16_e32 0, v6
	s_cbranch_execz .LBB373_3018
; %bb.3011:                             ;   in Loop: Header=BB373_2082 Depth=1
	v_bfrev_b32_e32 v34, 1
	s_mov_b32 s21, exec_lo
	v_cmpx_ne_u16_e32 0x80, v6
	s_cbranch_execz .LBB373_3017
; %bb.3012:                             ;   in Loop: Header=BB373_2082 Depth=1
	v_and_b32_e32 v36, 0x7f, v14
	v_mov_b32_e32 v34, 0x7fc02000
	s_mov_b32 s22, exec_lo
	s_delay_alu instid0(VALU_DEP_2)
	v_cmpx_ne_u32_e32 0x7f, v36
	s_cbranch_execz .LBB373_3016
; %bb.3013:                             ;   in Loop: Header=BB373_2082 Depth=1
	v_dual_mov_b32 v16, v3 :: v_dual_mov_b32 v15, v2
	v_lshrrev_b32_e32 v6, 3, v36
	s_mov_b32 s23, exec_lo
	v_cmpx_gt_u32_e32 8, v36
; %bb.3014:                             ;   in Loop: Header=BB373_2082 Depth=1
	v_and_b32_e32 v6, 7, v14
	s_delay_alu instid0(VALU_DEP_1) | instskip(NEXT) | instid1(VALU_DEP_1)
	v_clz_i32_u32_e32 v6, v6
	v_min_u32_e32 v6, 32, v6
	s_delay_alu instid0(VALU_DEP_1) | instskip(SKIP_1) | instid1(VALU_DEP_2)
	v_subrev_nc_u32_e32 v15, 28, v6
	v_sub_nc_u32_e32 v6, 29, v6
	v_lshlrev_b64 v[15:16], v15, v[2:3]
; %bb.3015:                             ;   in Loop: Header=BB373_2082 Depth=1
	s_or_b32 exec_lo, exec_lo, s23
	v_lshlrev_b32_e32 v16, 8, v14
	s_delay_alu instid0(VALU_DEP_3) | instskip(NEXT) | instid1(VALU_DEP_3)
	v_lshl_add_u32 v6, v6, 10, 0x2000
	v_lshlrev_b32_e32 v15, 7, v15
	s_delay_alu instid0(VALU_DEP_2) | instskip(NEXT) | instid1(VALU_DEP_1)
	v_and_or_b32 v6, 0x8000, v16, v6
	v_and_or_b32 v6, 0x380, v15, v6
	s_delay_alu instid0(VALU_DEP_1)
	v_cvt_f32_f16_e32 v34, v6
.LBB373_3016:                           ;   in Loop: Header=BB373_2082 Depth=1
	s_or_b32 exec_lo, exec_lo, s22
.LBB373_3017:                           ;   in Loop: Header=BB373_2082 Depth=1
	s_delay_alu instid0(SALU_CYCLE_1)
	s_or_b32 exec_lo, exec_lo, s21
.LBB373_3018:                           ;   in Loop: Header=BB373_2082 Depth=1
	s_delay_alu instid0(SALU_CYCLE_1) | instskip(SKIP_3) | instid1(VALU_DEP_2)
	s_or_b32 exec_lo, exec_lo, s19
	v_lshrrev_b16 v2, 8, v2
	v_dual_mov_b32 v36, 0 :: v_dual_mov_b32 v37, 0
	s_mov_b32 s19, exec_lo
	v_cmpx_ne_u16_e32 0, v2
	s_cbranch_execz .LBB373_3026
; %bb.3019:                             ;   in Loop: Header=BB373_2082 Depth=1
	v_bfrev_b32_e32 v37, 1
	s_mov_b32 s21, exec_lo
	v_cmpx_ne_u16_e32 0x80, v2
	s_cbranch_execz .LBB373_3025
; %bb.3020:                             ;   in Loop: Header=BB373_2082 Depth=1
	v_and_b32_e32 v6, 0xffff, v2
	v_mov_b32_e32 v37, 0x7fc02000
	s_mov_b32 s22, exec_lo
	s_delay_alu instid0(VALU_DEP_2) | instskip(NEXT) | instid1(VALU_DEP_1)
	v_and_b32_e32 v40, 0x7f, v6
	v_cmpx_ne_u32_e32 0x7f, v40
	s_cbranch_execz .LBB373_3024
; %bb.3021:                             ;   in Loop: Header=BB373_2082 Depth=1
	v_and_b32_e32 v2, 7, v6
	v_lshrrev_b32_e32 v37, 3, v40
	v_mov_b32_e32 v16, v3
	s_mov_b32 s23, exec_lo
	s_delay_alu instid0(VALU_DEP_3)
	v_mov_b32_e32 v15, v2
	v_cmpx_gt_u32_e32 8, v40
; %bb.3022:                             ;   in Loop: Header=BB373_2082 Depth=1
	v_clz_i32_u32_e32 v15, v2
	s_delay_alu instid0(VALU_DEP_1) | instskip(NEXT) | instid1(VALU_DEP_1)
	v_min_u32_e32 v37, 32, v15
	v_subrev_nc_u32_e32 v15, 28, v37
	v_sub_nc_u32_e32 v37, 29, v37
	s_delay_alu instid0(VALU_DEP_2) | instskip(NEXT) | instid1(VALU_DEP_1)
	v_lshlrev_b64 v[15:16], v15, v[2:3]
	v_and_b32_e32 v15, 7, v15
; %bb.3023:                             ;   in Loop: Header=BB373_2082 Depth=1
	s_or_b32 exec_lo, exec_lo, s23
	v_lshlrev_b32_e32 v2, 8, v6
	v_lshl_add_u32 v6, v37, 10, 0x2000
	s_delay_alu instid0(VALU_DEP_1) | instskip(NEXT) | instid1(VALU_DEP_1)
	v_and_or_b32 v2, 0x8000, v2, v6
	v_lshl_or_b32 v2, v15, 7, v2
	s_delay_alu instid0(VALU_DEP_1)
	v_cvt_f32_f16_e32 v37, v2
.LBB373_3024:                           ;   in Loop: Header=BB373_2082 Depth=1
	s_or_b32 exec_lo, exec_lo, s22
.LBB373_3025:                           ;   in Loop: Header=BB373_2082 Depth=1
	s_delay_alu instid0(SALU_CYCLE_1)
	s_or_b32 exec_lo, exec_lo, s21
.LBB373_3026:                           ;   in Loop: Header=BB373_2082 Depth=1
	s_delay_alu instid0(SALU_CYCLE_1) | instskip(SKIP_2) | instid1(VALU_DEP_1)
	s_or_b32 exec_lo, exec_lo, s19
	v_lshrrev_b32_e32 v6, 16, v14
	s_mov_b32 s19, exec_lo
	v_and_b32_e32 v2, 0xff, v6
	s_delay_alu instid0(VALU_DEP_1)
	v_cmpx_ne_u16_e32 0, v2
	s_cbranch_execz .LBB373_3034
; %bb.3027:                             ;   in Loop: Header=BB373_2082 Depth=1
	v_bfrev_b32_e32 v36, 1
	s_mov_b32 s21, exec_lo
	v_cmpx_ne_u16_e32 0x80, v2
	s_cbranch_execz .LBB373_3033
; %bb.3028:                             ;   in Loop: Header=BB373_2082 Depth=1
	v_bfe_u32 v40, v14, 16, 7
	v_mov_b32_e32 v36, 0x7fc02000
	s_mov_b32 s22, exec_lo
	s_delay_alu instid0(VALU_DEP_2)
	v_cmpx_ne_u32_e32 0x7f, v40
	s_cbranch_execz .LBB373_3032
; %bb.3029:                             ;   in Loop: Header=BB373_2082 Depth=1
	v_and_b32_e32 v2, 7, v6
	v_lshrrev_b32_e32 v36, 3, v40
	v_mov_b32_e32 v16, v3
	s_mov_b32 s23, exec_lo
	s_delay_alu instid0(VALU_DEP_3)
	v_mov_b32_e32 v15, v2
	v_cmpx_gt_u32_e32 8, v40
; %bb.3030:                             ;   in Loop: Header=BB373_2082 Depth=1
	v_clz_i32_u32_e32 v15, v2
	s_delay_alu instid0(VALU_DEP_1) | instskip(NEXT) | instid1(VALU_DEP_1)
	v_min_u32_e32 v36, 32, v15
	v_subrev_nc_u32_e32 v15, 28, v36
	v_sub_nc_u32_e32 v36, 29, v36
	s_delay_alu instid0(VALU_DEP_2) | instskip(NEXT) | instid1(VALU_DEP_1)
	v_lshlrev_b64 v[15:16], v15, v[2:3]
	v_and_b32_e32 v15, 7, v15
; %bb.3031:                             ;   in Loop: Header=BB373_2082 Depth=1
	s_or_b32 exec_lo, exec_lo, s23
	v_lshlrev_b32_e32 v2, 8, v6
	v_lshl_add_u32 v6, v36, 10, 0x2000
	s_delay_alu instid0(VALU_DEP_1) | instskip(NEXT) | instid1(VALU_DEP_1)
	v_and_or_b32 v2, 0x8000, v2, v6
	v_lshl_or_b32 v2, v15, 7, v2
	s_delay_alu instid0(VALU_DEP_1)
	v_cvt_f32_f16_e32 v36, v2
.LBB373_3032:                           ;   in Loop: Header=BB373_2082 Depth=1
	s_or_b32 exec_lo, exec_lo, s22
.LBB373_3033:                           ;   in Loop: Header=BB373_2082 Depth=1
	s_delay_alu instid0(SALU_CYCLE_1)
	s_or_b32 exec_lo, exec_lo, s21
.LBB373_3034:                           ;   in Loop: Header=BB373_2082 Depth=1
	s_delay_alu instid0(SALU_CYCLE_1)
	s_or_b32 exec_lo, exec_lo, s19
	v_mov_b32_e32 v6, 0
	v_mov_b32_e32 v2, 0
	s_mov_b32 s19, exec_lo
	v_cmpx_lt_u64_e64 s[12:13], v[13:14]
	s_cbranch_execz .LBB373_3042
; %bb.3035:                             ;   in Loop: Header=BB373_2082 Depth=1
	v_lshrrev_b32_e32 v15, 24, v14
	v_bfrev_b32_e32 v2, 1
	s_mov_b32 s21, exec_lo
	s_delay_alu instid0(VALU_DEP_2)
	v_cmpx_ne_u32_e32 0x80, v15
	s_cbranch_execz .LBB373_3041
; %bb.3036:                             ;   in Loop: Header=BB373_2082 Depth=1
	v_and_b32_e32 v40, 0x7f, v15
	v_mov_b32_e32 v2, 0x7fc02000
	s_mov_b32 s22, exec_lo
	s_delay_alu instid0(VALU_DEP_2)
	v_cmpx_ne_u32_e32 0x7f, v40
	s_cbranch_execz .LBB373_3040
; %bb.3037:                             ;   in Loop: Header=BB373_2082 Depth=1
	v_and_b32_e32 v2, 7, v15
	v_lshrrev_b32_e32 v16, 3, v40
	v_mov_b32_e32 v14, v3
	s_mov_b32 s23, exec_lo
	s_delay_alu instid0(VALU_DEP_3)
	v_mov_b32_e32 v13, v2
	v_cmpx_gt_u32_e32 8, v40
; %bb.3038:                             ;   in Loop: Header=BB373_2082 Depth=1
	v_clz_i32_u32_e32 v13, v2
	s_delay_alu instid0(VALU_DEP_1) | instskip(NEXT) | instid1(VALU_DEP_1)
	v_min_u32_e32 v16, 32, v13
	v_subrev_nc_u32_e32 v13, 28, v16
	v_sub_nc_u32_e32 v16, 29, v16
	s_delay_alu instid0(VALU_DEP_2) | instskip(NEXT) | instid1(VALU_DEP_1)
	v_lshlrev_b64 v[13:14], v13, v[2:3]
	v_and_b32_e32 v13, 7, v13
; %bb.3039:                             ;   in Loop: Header=BB373_2082 Depth=1
	s_or_b32 exec_lo, exec_lo, s23
	v_lshlrev_b32_e32 v2, 8, v15
	v_lshl_add_u32 v14, v16, 10, 0x2000
	s_delay_alu instid0(VALU_DEP_1) | instskip(NEXT) | instid1(VALU_DEP_1)
	v_and_or_b32 v2, 0x8000, v2, v14
	v_lshl_or_b32 v2, v13, 7, v2
	s_delay_alu instid0(VALU_DEP_1)
	v_cvt_f32_f16_e32 v2, v2
.LBB373_3040:                           ;   in Loop: Header=BB373_2082 Depth=1
	s_or_b32 exec_lo, exec_lo, s22
.LBB373_3041:                           ;   in Loop: Header=BB373_2082 Depth=1
	s_delay_alu instid0(SALU_CYCLE_1)
	s_or_b32 exec_lo, exec_lo, s21
.LBB373_3042:                           ;   in Loop: Header=BB373_2082 Depth=1
	s_delay_alu instid0(SALU_CYCLE_1)
	s_or_b32 exec_lo, exec_lo, s19
	s_waitcnt vmcnt(0) lgkmcnt(0)
	v_fma_mixlo_f16 v13, v4, v35, 0
	v_fma_mixlo_f16 v14, v4, v23, 0
	;; [unrolled: 1-line block ×5, first 2 shown]
	v_lshlrev_b32_e32 v22, 16, v13
	v_fma_mixlo_f16 v23, v4, v34, 0
	v_and_b32_e32 v34, 0xffff, v14
	v_lshlrev_b32_e32 v35, 16, v15
	v_and_b32_e32 v37, 0xffff, v5
	v_cndmask_b32_e32 v5, 0, v5, vcc_lo
	v_fma_mixlo_f16 v2, v4, v2, 0
	v_fma_mixlo_f16 v4, v4, v36, 0
	v_cndmask_b32_e64 v15, 0, v15, s0
	v_lshlrev_b32_e32 v167, 16, v16
	v_and_b32_e32 v176, 0xffff, v23
	v_or_b32_e32 v22, v22, v34
	v_or_b32_e32 v34, v35, v37
	v_lshlrev_b32_e32 v36, 16, v2
	v_and_b32_e32 v37, 0xffff, v4
	v_cndmask_b32_e64 v14, 0, v14, s2
	v_cndmask_b32_e64 v13, 0, v13, s4
	;; [unrolled: 1-line block ×6, first 2 shown]
	v_perm_b32 v5, v15, v5, 0x5040100
	v_or_b32_e32 v35, v167, v176
	v_or_b32_e32 v36, v36, v37
	v_perm_b32 v13, v13, v14, 0x5040100
	v_perm_b32 v14, v16, v23, 0x5040100
	;; [unrolled: 1-line block ×3, first 2 shown]
	v_cndmask_b32_e64 v4, v34, v5, s1
	;;#ASMSTART
	v_pk_mul_f16 v4, v130, v4;

	;;#ASMEND
	v_cndmask_b32_e64 v5, v22, v13, s1
	v_cndmask_b32_e64 v13, v35, v14, s1
	;; [unrolled: 1-line block ×3, first 2 shown]
	;;#ASMSTART
	v_pk_mul_f16 v5, v129, v5;

	;;#ASMEND
	;;#ASMSTART
	v_pk_mul_f16 v13, v128, v13;

	;;#ASMEND
	;; [unrolled: 4-line block ×3, first 2 shown]
	;;#ASMSTART
	v_pk_add_f16 v4, v4, v5;

	;;#ASMEND
	;;#ASMSTART
	v_pk_add_f16 v4, v4, v13;

	;;#ASMEND
	;; [unrolled: 4-line block ×3, first 2 shown]
	v_and_b32_e32 v4, 0xffff, v2
	v_lshrrev_b32_e32 v2, 16, v2
	;;#ASMSTART
	v_cvt_f32_f16 v15, v4;
	;;#ASMEND
	;;#ASMSTART
	v_cvt_f32_f16 v16, v2;
	;;#ASMEND
	flat_load_b64 v[11:12], v[11:12] offset:3840
	flat_load_b32 v5, v[121:122]
	s_mov_b32 s19, exec_lo
	s_waitcnt vmcnt(1) lgkmcnt(1)
	v_and_b32_e32 v2, 0xff, v11
	s_delay_alu instid0(VALU_DEP_1)
	v_cmpx_ne_u16_e32 0, v2
	s_cbranch_execz .LBB373_3050
; %bb.3043:                             ;   in Loop: Header=BB373_2082 Depth=1
	v_bfrev_b32_e32 v6, 1
	s_mov_b32 s21, exec_lo
	v_cmpx_ne_u16_e32 0x80, v2
	s_cbranch_execz .LBB373_3049
; %bb.3044:                             ;   in Loop: Header=BB373_2082 Depth=1
	v_and_b32_e32 v4, 0x7f, v11
	v_mov_b32_e32 v6, 0x7fc02000
	s_mov_b32 s22, exec_lo
	s_delay_alu instid0(VALU_DEP_2)
	v_cmpx_ne_u32_e32 0x7f, v4
	s_cbranch_execz .LBB373_3048
; %bb.3045:                             ;   in Loop: Header=BB373_2082 Depth=1
	v_lshrrev_b32_e32 v2, 3, v4
	v_dual_mov_b32 v14, v12 :: v_dual_mov_b32 v13, v11
	s_mov_b32 s23, exec_lo
	v_cmpx_gt_u32_e32 8, v4
; %bb.3046:                             ;   in Loop: Header=BB373_2082 Depth=1
	v_and_b32_e32 v2, 7, v11
	s_delay_alu instid0(VALU_DEP_1) | instskip(NEXT) | instid1(VALU_DEP_1)
	v_clz_i32_u32_e32 v2, v2
	v_min_u32_e32 v2, 32, v2
	s_delay_alu instid0(VALU_DEP_1) | instskip(SKIP_1) | instid1(VALU_DEP_2)
	v_subrev_nc_u32_e32 v4, 28, v2
	v_sub_nc_u32_e32 v2, 29, v2
	v_lshlrev_b64 v[13:14], v4, v[11:12]
; %bb.3047:                             ;   in Loop: Header=BB373_2082 Depth=1
	s_or_b32 exec_lo, exec_lo, s23
	v_lshlrev_b32_e32 v4, 8, v11
	s_delay_alu instid0(VALU_DEP_3) | instskip(NEXT) | instid1(VALU_DEP_3)
	v_lshl_add_u32 v2, v2, 10, 0x2000
	v_lshlrev_b32_e32 v6, 7, v13
	s_delay_alu instid0(VALU_DEP_2) | instskip(NEXT) | instid1(VALU_DEP_1)
	v_and_or_b32 v2, 0x8000, v4, v2
	v_and_or_b32 v2, 0x380, v6, v2
	s_delay_alu instid0(VALU_DEP_1)
	v_cvt_f32_f16_e32 v6, v2
.LBB373_3048:                           ;   in Loop: Header=BB373_2082 Depth=1
	s_or_b32 exec_lo, exec_lo, s22
.LBB373_3049:                           ;   in Loop: Header=BB373_2082 Depth=1
	s_delay_alu instid0(SALU_CYCLE_1)
	s_or_b32 exec_lo, exec_lo, s21
.LBB373_3050:                           ;   in Loop: Header=BB373_2082 Depth=1
	s_delay_alu instid0(SALU_CYCLE_1) | instskip(SKIP_3) | instid1(VALU_DEP_2)
	s_or_b32 exec_lo, exec_lo, s19
	v_lshrrev_b16 v2, 8, v11
	v_dual_mov_b32 v23, 0 :: v_dual_mov_b32 v22, 0
	s_mov_b32 s19, exec_lo
	v_cmpx_ne_u16_e32 0, v2
	s_cbranch_execz .LBB373_3058
; %bb.3051:                             ;   in Loop: Header=BB373_2082 Depth=1
	v_bfrev_b32_e32 v22, 1
	s_mov_b32 s21, exec_lo
	v_cmpx_ne_u16_e32 0x80, v2
	s_cbranch_execz .LBB373_3057
; %bb.3052:                             ;   in Loop: Header=BB373_2082 Depth=1
	v_and_b32_e32 v4, 0xffff, v2
	v_mov_b32_e32 v22, 0x7fc02000
	s_mov_b32 s22, exec_lo
	s_delay_alu instid0(VALU_DEP_2) | instskip(NEXT) | instid1(VALU_DEP_1)
	v_and_b32_e32 v34, 0x7f, v4
	v_cmpx_ne_u32_e32 0x7f, v34
	s_cbranch_execz .LBB373_3056
; %bb.3053:                             ;   in Loop: Header=BB373_2082 Depth=1
	v_and_b32_e32 v2, 7, v4
	v_lshrrev_b32_e32 v22, 3, v34
	v_mov_b32_e32 v14, v3
	s_mov_b32 s23, exec_lo
	s_delay_alu instid0(VALU_DEP_3)
	v_mov_b32_e32 v13, v2
	v_cmpx_gt_u32_e32 8, v34
; %bb.3054:                             ;   in Loop: Header=BB373_2082 Depth=1
	v_clz_i32_u32_e32 v13, v2
	s_delay_alu instid0(VALU_DEP_1) | instskip(NEXT) | instid1(VALU_DEP_1)
	v_min_u32_e32 v22, 32, v13
	v_subrev_nc_u32_e32 v13, 28, v22
	v_sub_nc_u32_e32 v22, 29, v22
	s_delay_alu instid0(VALU_DEP_2) | instskip(NEXT) | instid1(VALU_DEP_1)
	v_lshlrev_b64 v[13:14], v13, v[2:3]
	v_and_b32_e32 v13, 7, v13
; %bb.3055:                             ;   in Loop: Header=BB373_2082 Depth=1
	s_or_b32 exec_lo, exec_lo, s23
	v_lshlrev_b32_e32 v2, 8, v4
	v_lshl_add_u32 v4, v22, 10, 0x2000
	s_delay_alu instid0(VALU_DEP_1) | instskip(NEXT) | instid1(VALU_DEP_1)
	v_and_or_b32 v2, 0x8000, v2, v4
	v_lshl_or_b32 v2, v13, 7, v2
	s_delay_alu instid0(VALU_DEP_1)
	v_cvt_f32_f16_e32 v22, v2
.LBB373_3056:                           ;   in Loop: Header=BB373_2082 Depth=1
	s_or_b32 exec_lo, exec_lo, s22
.LBB373_3057:                           ;   in Loop: Header=BB373_2082 Depth=1
	s_delay_alu instid0(SALU_CYCLE_1)
	s_or_b32 exec_lo, exec_lo, s21
.LBB373_3058:                           ;   in Loop: Header=BB373_2082 Depth=1
	s_delay_alu instid0(SALU_CYCLE_1) | instskip(SKIP_2) | instid1(VALU_DEP_1)
	s_or_b32 exec_lo, exec_lo, s19
	v_lshrrev_b32_e32 v4, 16, v11
	s_mov_b32 s19, exec_lo
	v_and_b32_e32 v2, 0xff, v4
	s_delay_alu instid0(VALU_DEP_1)
	v_cmpx_ne_u16_e32 0, v2
	s_cbranch_execz .LBB373_3066
; %bb.3059:                             ;   in Loop: Header=BB373_2082 Depth=1
	v_bfrev_b32_e32 v23, 1
	s_mov_b32 s21, exec_lo
	v_cmpx_ne_u16_e32 0x80, v2
	s_cbranch_execz .LBB373_3065
; %bb.3060:                             ;   in Loop: Header=BB373_2082 Depth=1
	v_bfe_u32 v34, v11, 16, 7
	v_mov_b32_e32 v23, 0x7fc02000
	s_mov_b32 s22, exec_lo
	s_delay_alu instid0(VALU_DEP_2)
	v_cmpx_ne_u32_e32 0x7f, v34
	s_cbranch_execz .LBB373_3064
; %bb.3061:                             ;   in Loop: Header=BB373_2082 Depth=1
	v_and_b32_e32 v2, 7, v4
	v_lshrrev_b32_e32 v23, 3, v34
	v_mov_b32_e32 v14, v3
	s_mov_b32 s23, exec_lo
	s_delay_alu instid0(VALU_DEP_3)
	v_mov_b32_e32 v13, v2
	v_cmpx_gt_u32_e32 8, v34
; %bb.3062:                             ;   in Loop: Header=BB373_2082 Depth=1
	v_clz_i32_u32_e32 v13, v2
	s_delay_alu instid0(VALU_DEP_1) | instskip(NEXT) | instid1(VALU_DEP_1)
	v_min_u32_e32 v23, 32, v13
	v_subrev_nc_u32_e32 v13, 28, v23
	v_sub_nc_u32_e32 v23, 29, v23
	s_delay_alu instid0(VALU_DEP_2) | instskip(NEXT) | instid1(VALU_DEP_1)
	v_lshlrev_b64 v[13:14], v13, v[2:3]
	v_and_b32_e32 v13, 7, v13
; %bb.3063:                             ;   in Loop: Header=BB373_2082 Depth=1
	s_or_b32 exec_lo, exec_lo, s23
	v_lshlrev_b32_e32 v2, 8, v4
	v_lshl_add_u32 v4, v23, 10, 0x2000
	s_delay_alu instid0(VALU_DEP_1) | instskip(NEXT) | instid1(VALU_DEP_1)
	v_and_or_b32 v2, 0x8000, v2, v4
	v_lshl_or_b32 v2, v13, 7, v2
	s_delay_alu instid0(VALU_DEP_1)
	v_cvt_f32_f16_e32 v23, v2
.LBB373_3064:                           ;   in Loop: Header=BB373_2082 Depth=1
	s_or_b32 exec_lo, exec_lo, s22
.LBB373_3065:                           ;   in Loop: Header=BB373_2082 Depth=1
	s_delay_alu instid0(SALU_CYCLE_1)
	s_or_b32 exec_lo, exec_lo, s21
.LBB373_3066:                           ;   in Loop: Header=BB373_2082 Depth=1
	s_delay_alu instid0(SALU_CYCLE_1)
	s_or_b32 exec_lo, exec_lo, s19
	v_dual_mov_b32 v34, 0 :: v_dual_mov_b32 v35, 0
	s_mov_b32 s19, exec_lo
	v_cmpx_lt_u32_e32 0xffffff, v11
	s_cbranch_execz .LBB373_3074
; %bb.3067:                             ;   in Loop: Header=BB373_2082 Depth=1
	v_lshrrev_b32_e32 v4, 24, v11
	v_bfrev_b32_e32 v35, 1
	s_mov_b32 s21, exec_lo
	s_delay_alu instid0(VALU_DEP_2)
	v_cmpx_ne_u32_e32 0x80, v4
	s_cbranch_execz .LBB373_3073
; %bb.3068:                             ;   in Loop: Header=BB373_2082 Depth=1
	v_and_b32_e32 v36, 0x7f, v4
	v_mov_b32_e32 v35, 0x7fc02000
	s_mov_b32 s22, exec_lo
	s_delay_alu instid0(VALU_DEP_2)
	v_cmpx_ne_u32_e32 0x7f, v36
	s_cbranch_execz .LBB373_3072
; %bb.3069:                             ;   in Loop: Header=BB373_2082 Depth=1
	v_and_b32_e32 v2, 7, v4
	v_lshrrev_b32_e32 v35, 3, v36
	v_mov_b32_e32 v14, v3
	s_mov_b32 s23, exec_lo
	s_delay_alu instid0(VALU_DEP_3)
	v_mov_b32_e32 v13, v2
	v_cmpx_gt_u32_e32 8, v36
; %bb.3070:                             ;   in Loop: Header=BB373_2082 Depth=1
	v_clz_i32_u32_e32 v13, v2
	s_delay_alu instid0(VALU_DEP_1) | instskip(NEXT) | instid1(VALU_DEP_1)
	v_min_u32_e32 v35, 32, v13
	v_subrev_nc_u32_e32 v13, 28, v35
	v_sub_nc_u32_e32 v35, 29, v35
	s_delay_alu instid0(VALU_DEP_2) | instskip(NEXT) | instid1(VALU_DEP_1)
	v_lshlrev_b64 v[13:14], v13, v[2:3]
	v_and_b32_e32 v13, 7, v13
; %bb.3071:                             ;   in Loop: Header=BB373_2082 Depth=1
	s_or_b32 exec_lo, exec_lo, s23
	v_lshlrev_b32_e32 v2, 8, v4
	v_lshl_add_u32 v4, v35, 10, 0x2000
	s_delay_alu instid0(VALU_DEP_1) | instskip(NEXT) | instid1(VALU_DEP_1)
	v_and_or_b32 v2, 0x8000, v2, v4
	v_lshl_or_b32 v2, v13, 7, v2
	s_delay_alu instid0(VALU_DEP_1)
	v_cvt_f32_f16_e32 v35, v2
.LBB373_3072:                           ;   in Loop: Header=BB373_2082 Depth=1
	s_or_b32 exec_lo, exec_lo, s22
.LBB373_3073:                           ;   in Loop: Header=BB373_2082 Depth=1
	s_delay_alu instid0(SALU_CYCLE_1)
	s_or_b32 exec_lo, exec_lo, s21
.LBB373_3074:                           ;   in Loop: Header=BB373_2082 Depth=1
	s_delay_alu instid0(SALU_CYCLE_1) | instskip(SKIP_3) | instid1(VALU_DEP_2)
	s_or_b32 exec_lo, exec_lo, s19
	v_and_b32_e32 v4, 0xff, v12
	v_mov_b32_e32 v2, v12
	s_mov_b32 s19, exec_lo
	v_cmpx_ne_u16_e32 0, v4
	s_cbranch_execz .LBB373_3082
; %bb.3075:                             ;   in Loop: Header=BB373_2082 Depth=1
	v_bfrev_b32_e32 v34, 1
	s_mov_b32 s21, exec_lo
	v_cmpx_ne_u16_e32 0x80, v4
	s_cbranch_execz .LBB373_3081
; %bb.3076:                             ;   in Loop: Header=BB373_2082 Depth=1
	v_and_b32_e32 v36, 0x7f, v12
	v_mov_b32_e32 v34, 0x7fc02000
	s_mov_b32 s22, exec_lo
	s_delay_alu instid0(VALU_DEP_2)
	v_cmpx_ne_u32_e32 0x7f, v36
	s_cbranch_execz .LBB373_3080
; %bb.3077:                             ;   in Loop: Header=BB373_2082 Depth=1
	v_dual_mov_b32 v14, v3 :: v_dual_mov_b32 v13, v2
	v_lshrrev_b32_e32 v4, 3, v36
	s_mov_b32 s23, exec_lo
	v_cmpx_gt_u32_e32 8, v36
; %bb.3078:                             ;   in Loop: Header=BB373_2082 Depth=1
	v_and_b32_e32 v4, 7, v12
	s_delay_alu instid0(VALU_DEP_1) | instskip(NEXT) | instid1(VALU_DEP_1)
	v_clz_i32_u32_e32 v4, v4
	v_min_u32_e32 v4, 32, v4
	s_delay_alu instid0(VALU_DEP_1) | instskip(SKIP_1) | instid1(VALU_DEP_2)
	v_subrev_nc_u32_e32 v13, 28, v4
	v_sub_nc_u32_e32 v4, 29, v4
	v_lshlrev_b64 v[13:14], v13, v[2:3]
; %bb.3079:                             ;   in Loop: Header=BB373_2082 Depth=1
	s_or_b32 exec_lo, exec_lo, s23
	v_lshlrev_b32_e32 v14, 8, v12
	s_delay_alu instid0(VALU_DEP_3) | instskip(NEXT) | instid1(VALU_DEP_3)
	v_lshl_add_u32 v4, v4, 10, 0x2000
	v_lshlrev_b32_e32 v13, 7, v13
	s_delay_alu instid0(VALU_DEP_2) | instskip(NEXT) | instid1(VALU_DEP_1)
	v_and_or_b32 v4, 0x8000, v14, v4
	v_and_or_b32 v4, 0x380, v13, v4
	s_delay_alu instid0(VALU_DEP_1)
	v_cvt_f32_f16_e32 v34, v4
.LBB373_3080:                           ;   in Loop: Header=BB373_2082 Depth=1
	s_or_b32 exec_lo, exec_lo, s22
.LBB373_3081:                           ;   in Loop: Header=BB373_2082 Depth=1
	s_delay_alu instid0(SALU_CYCLE_1)
	s_or_b32 exec_lo, exec_lo, s21
.LBB373_3082:                           ;   in Loop: Header=BB373_2082 Depth=1
	s_delay_alu instid0(SALU_CYCLE_1) | instskip(SKIP_3) | instid1(VALU_DEP_2)
	s_or_b32 exec_lo, exec_lo, s19
	v_lshrrev_b16 v2, 8, v2
	v_dual_mov_b32 v36, 0 :: v_dual_mov_b32 v37, 0
	s_mov_b32 s19, exec_lo
	v_cmpx_ne_u16_e32 0, v2
	s_cbranch_execz .LBB373_3090
; %bb.3083:                             ;   in Loop: Header=BB373_2082 Depth=1
	v_bfrev_b32_e32 v37, 1
	s_mov_b32 s21, exec_lo
	v_cmpx_ne_u16_e32 0x80, v2
	s_cbranch_execz .LBB373_3089
; %bb.3084:                             ;   in Loop: Header=BB373_2082 Depth=1
	v_and_b32_e32 v4, 0xffff, v2
	v_mov_b32_e32 v37, 0x7fc02000
	s_mov_b32 s22, exec_lo
	s_delay_alu instid0(VALU_DEP_2) | instskip(NEXT) | instid1(VALU_DEP_1)
	v_and_b32_e32 v40, 0x7f, v4
	v_cmpx_ne_u32_e32 0x7f, v40
	s_cbranch_execz .LBB373_3088
; %bb.3085:                             ;   in Loop: Header=BB373_2082 Depth=1
	v_and_b32_e32 v2, 7, v4
	v_lshrrev_b32_e32 v37, 3, v40
	v_mov_b32_e32 v14, v3
	s_mov_b32 s23, exec_lo
	s_delay_alu instid0(VALU_DEP_3)
	v_mov_b32_e32 v13, v2
	v_cmpx_gt_u32_e32 8, v40
; %bb.3086:                             ;   in Loop: Header=BB373_2082 Depth=1
	v_clz_i32_u32_e32 v13, v2
	s_delay_alu instid0(VALU_DEP_1) | instskip(NEXT) | instid1(VALU_DEP_1)
	v_min_u32_e32 v37, 32, v13
	v_subrev_nc_u32_e32 v13, 28, v37
	v_sub_nc_u32_e32 v37, 29, v37
	s_delay_alu instid0(VALU_DEP_2) | instskip(NEXT) | instid1(VALU_DEP_1)
	v_lshlrev_b64 v[13:14], v13, v[2:3]
	v_and_b32_e32 v13, 7, v13
; %bb.3087:                             ;   in Loop: Header=BB373_2082 Depth=1
	s_or_b32 exec_lo, exec_lo, s23
	v_lshlrev_b32_e32 v2, 8, v4
	v_lshl_add_u32 v4, v37, 10, 0x2000
	s_delay_alu instid0(VALU_DEP_1) | instskip(NEXT) | instid1(VALU_DEP_1)
	v_and_or_b32 v2, 0x8000, v2, v4
	v_lshl_or_b32 v2, v13, 7, v2
	s_delay_alu instid0(VALU_DEP_1)
	v_cvt_f32_f16_e32 v37, v2
.LBB373_3088:                           ;   in Loop: Header=BB373_2082 Depth=1
	s_or_b32 exec_lo, exec_lo, s22
.LBB373_3089:                           ;   in Loop: Header=BB373_2082 Depth=1
	s_delay_alu instid0(SALU_CYCLE_1)
	s_or_b32 exec_lo, exec_lo, s21
.LBB373_3090:                           ;   in Loop: Header=BB373_2082 Depth=1
	s_delay_alu instid0(SALU_CYCLE_1) | instskip(SKIP_2) | instid1(VALU_DEP_1)
	s_or_b32 exec_lo, exec_lo, s19
	v_lshrrev_b32_e32 v4, 16, v12
	s_mov_b32 s19, exec_lo
	v_and_b32_e32 v2, 0xff, v4
	s_delay_alu instid0(VALU_DEP_1)
	v_cmpx_ne_u16_e32 0, v2
	s_cbranch_execz .LBB373_3098
; %bb.3091:                             ;   in Loop: Header=BB373_2082 Depth=1
	v_bfrev_b32_e32 v36, 1
	s_mov_b32 s21, exec_lo
	v_cmpx_ne_u16_e32 0x80, v2
	s_cbranch_execz .LBB373_3097
; %bb.3092:                             ;   in Loop: Header=BB373_2082 Depth=1
	v_bfe_u32 v40, v12, 16, 7
	v_mov_b32_e32 v36, 0x7fc02000
	s_mov_b32 s22, exec_lo
	s_delay_alu instid0(VALU_DEP_2)
	v_cmpx_ne_u32_e32 0x7f, v40
	s_cbranch_execz .LBB373_3096
; %bb.3093:                             ;   in Loop: Header=BB373_2082 Depth=1
	v_and_b32_e32 v2, 7, v4
	v_lshrrev_b32_e32 v36, 3, v40
	v_mov_b32_e32 v14, v3
	s_mov_b32 s23, exec_lo
	s_delay_alu instid0(VALU_DEP_3)
	v_mov_b32_e32 v13, v2
	v_cmpx_gt_u32_e32 8, v40
; %bb.3094:                             ;   in Loop: Header=BB373_2082 Depth=1
	v_clz_i32_u32_e32 v13, v2
	s_delay_alu instid0(VALU_DEP_1) | instskip(NEXT) | instid1(VALU_DEP_1)
	v_min_u32_e32 v36, 32, v13
	v_subrev_nc_u32_e32 v13, 28, v36
	v_sub_nc_u32_e32 v36, 29, v36
	s_delay_alu instid0(VALU_DEP_2) | instskip(NEXT) | instid1(VALU_DEP_1)
	v_lshlrev_b64 v[13:14], v13, v[2:3]
	v_and_b32_e32 v13, 7, v13
; %bb.3095:                             ;   in Loop: Header=BB373_2082 Depth=1
	s_or_b32 exec_lo, exec_lo, s23
	v_lshlrev_b32_e32 v2, 8, v4
	v_lshl_add_u32 v4, v36, 10, 0x2000
	s_delay_alu instid0(VALU_DEP_1) | instskip(NEXT) | instid1(VALU_DEP_1)
	v_and_or_b32 v2, 0x8000, v2, v4
	v_lshl_or_b32 v2, v13, 7, v2
	s_delay_alu instid0(VALU_DEP_1)
	v_cvt_f32_f16_e32 v36, v2
.LBB373_3096:                           ;   in Loop: Header=BB373_2082 Depth=1
	s_or_b32 exec_lo, exec_lo, s22
.LBB373_3097:                           ;   in Loop: Header=BB373_2082 Depth=1
	s_delay_alu instid0(SALU_CYCLE_1)
	s_or_b32 exec_lo, exec_lo, s21
.LBB373_3098:                           ;   in Loop: Header=BB373_2082 Depth=1
	s_delay_alu instid0(SALU_CYCLE_1)
	s_or_b32 exec_lo, exec_lo, s19
	v_mov_b32_e32 v4, 0
	v_mov_b32_e32 v2, 0
	s_mov_b32 s19, exec_lo
	v_cmpx_lt_u64_e64 s[12:13], v[11:12]
	s_cbranch_execz .LBB373_3106
; %bb.3099:                             ;   in Loop: Header=BB373_2082 Depth=1
	v_lshrrev_b32_e32 v13, 24, v12
	v_bfrev_b32_e32 v2, 1
	s_mov_b32 s21, exec_lo
	s_delay_alu instid0(VALU_DEP_2)
	v_cmpx_ne_u32_e32 0x80, v13
	s_cbranch_execz .LBB373_3105
; %bb.3100:                             ;   in Loop: Header=BB373_2082 Depth=1
	v_and_b32_e32 v40, 0x7f, v13
	v_mov_b32_e32 v2, 0x7fc02000
	s_mov_b32 s22, exec_lo
	s_delay_alu instid0(VALU_DEP_2)
	v_cmpx_ne_u32_e32 0x7f, v40
	s_cbranch_execz .LBB373_3104
; %bb.3101:                             ;   in Loop: Header=BB373_2082 Depth=1
	v_and_b32_e32 v2, 7, v13
	v_lshrrev_b32_e32 v14, 3, v40
	v_mov_b32_e32 v12, v3
	s_mov_b32 s23, exec_lo
	s_delay_alu instid0(VALU_DEP_3)
	v_mov_b32_e32 v11, v2
	v_cmpx_gt_u32_e32 8, v40
; %bb.3102:                             ;   in Loop: Header=BB373_2082 Depth=1
	v_clz_i32_u32_e32 v11, v2
	s_delay_alu instid0(VALU_DEP_1) | instskip(NEXT) | instid1(VALU_DEP_1)
	v_min_u32_e32 v14, 32, v11
	v_subrev_nc_u32_e32 v11, 28, v14
	v_sub_nc_u32_e32 v14, 29, v14
	s_delay_alu instid0(VALU_DEP_2) | instskip(NEXT) | instid1(VALU_DEP_1)
	v_lshlrev_b64 v[11:12], v11, v[2:3]
	v_and_b32_e32 v11, 7, v11
; %bb.3103:                             ;   in Loop: Header=BB373_2082 Depth=1
	s_or_b32 exec_lo, exec_lo, s23
	v_lshlrev_b32_e32 v2, 8, v13
	v_lshl_add_u32 v12, v14, 10, 0x2000
	s_delay_alu instid0(VALU_DEP_1) | instskip(NEXT) | instid1(VALU_DEP_1)
	v_and_or_b32 v2, 0x8000, v2, v12
	v_lshl_or_b32 v2, v11, 7, v2
	s_delay_alu instid0(VALU_DEP_1)
	v_cvt_f32_f16_e32 v2, v2
.LBB373_3104:                           ;   in Loop: Header=BB373_2082 Depth=1
	s_or_b32 exec_lo, exec_lo, s22
.LBB373_3105:                           ;   in Loop: Header=BB373_2082 Depth=1
	s_delay_alu instid0(SALU_CYCLE_1)
	s_or_b32 exec_lo, exec_lo, s21
.LBB373_3106:                           ;   in Loop: Header=BB373_2082 Depth=1
	s_delay_alu instid0(SALU_CYCLE_1)
	s_or_b32 exec_lo, exec_lo, s19
	s_waitcnt vmcnt(0) lgkmcnt(0)
	v_fma_mixlo_f16 v11, v5, v35, 0
	v_fma_mixlo_f16 v12, v5, v23, 0
	;; [unrolled: 1-line block ×5, first 2 shown]
	v_lshlrev_b32_e32 v22, 16, v11
	v_fma_mixlo_f16 v23, v5, v34, 0
	v_and_b32_e32 v34, 0xffff, v12
	v_lshlrev_b32_e32 v35, 16, v13
	v_and_b32_e32 v37, 0xffff, v6
	v_cndmask_b32_e32 v6, 0, v6, vcc_lo
	v_fma_mixlo_f16 v2, v5, v2, 0
	v_fma_mixlo_f16 v5, v5, v36, 0
	v_cndmask_b32_e64 v13, 0, v13, s0
	v_lshlrev_b32_e32 v167, 16, v14
	v_and_b32_e32 v176, 0xffff, v23
	v_or_b32_e32 v22, v22, v34
	v_or_b32_e32 v34, v35, v37
	v_lshlrev_b32_e32 v36, 16, v2
	v_and_b32_e32 v37, 0xffff, v5
	v_cndmask_b32_e64 v12, 0, v12, s2
	v_cndmask_b32_e64 v11, 0, v11, s4
	;; [unrolled: 1-line block ×6, first 2 shown]
	v_perm_b32 v6, v13, v6, 0x5040100
	v_or_b32_e32 v35, v167, v176
	v_or_b32_e32 v36, v36, v37
	v_perm_b32 v11, v11, v12, 0x5040100
	v_perm_b32 v12, v14, v23, 0x5040100
	;; [unrolled: 1-line block ×3, first 2 shown]
	v_cndmask_b32_e64 v5, v34, v6, s1
	;;#ASMSTART
	v_pk_mul_f16 v5, v130, v5;

	;;#ASMEND
	v_cndmask_b32_e64 v6, v22, v11, s1
	v_cndmask_b32_e64 v11, v35, v12, s1
	;; [unrolled: 1-line block ×3, first 2 shown]
	;;#ASMSTART
	v_pk_mul_f16 v6, v129, v6;

	;;#ASMEND
	;;#ASMSTART
	v_pk_mul_f16 v11, v128, v11;

	;;#ASMEND
	;; [unrolled: 4-line block ×3, first 2 shown]
	;;#ASMSTART
	v_pk_add_f16 v5, v5, v6;

	;;#ASMEND
	;;#ASMSTART
	v_pk_add_f16 v5, v5, v11;

	;;#ASMEND
	;; [unrolled: 4-line block ×3, first 2 shown]
	v_add_co_u32 v5, s8, v9, v87
	s_delay_alu instid0(VALU_DEP_1)
	v_add_co_ci_u32_e64 v6, s8, 0, v10, s8
	v_lshrrev_b32_e32 v11, 16, v2
	v_and_b32_e32 v2, 0xffff, v2
	;;#ASMSTART
	v_cvt_f32_f16 v40, v2;
	;;#ASMEND
	;;#ASMSTART
	v_cvt_f32_f16 v41, v11;
	;;#ASMEND
	flat_load_b64 v[11:12], v[5:6]
	flat_load_b32 v6, v[121:122]
	s_mov_b32 s19, exec_lo
	s_waitcnt vmcnt(1) lgkmcnt(1)
	v_and_b32_e32 v2, 0xff, v11
	s_delay_alu instid0(VALU_DEP_1)
	v_cmpx_ne_u16_e32 0, v2
	s_cbranch_execz .LBB373_3114
; %bb.3107:                             ;   in Loop: Header=BB373_2082 Depth=1
	v_bfrev_b32_e32 v4, 1
	s_mov_b32 s21, exec_lo
	v_cmpx_ne_u16_e32 0x80, v2
	s_cbranch_execz .LBB373_3113
; %bb.3108:                             ;   in Loop: Header=BB373_2082 Depth=1
	v_and_b32_e32 v5, 0x7f, v11
	v_mov_b32_e32 v4, 0x7fc02000
	s_mov_b32 s22, exec_lo
	s_delay_alu instid0(VALU_DEP_2)
	v_cmpx_ne_u32_e32 0x7f, v5
	s_cbranch_execz .LBB373_3112
; %bb.3109:                             ;   in Loop: Header=BB373_2082 Depth=1
	v_lshrrev_b32_e32 v2, 3, v5
	v_dual_mov_b32 v14, v12 :: v_dual_mov_b32 v13, v11
	s_mov_b32 s23, exec_lo
	v_cmpx_gt_u32_e32 8, v5
; %bb.3110:                             ;   in Loop: Header=BB373_2082 Depth=1
	v_and_b32_e32 v2, 7, v11
	s_delay_alu instid0(VALU_DEP_1) | instskip(NEXT) | instid1(VALU_DEP_1)
	v_clz_i32_u32_e32 v2, v2
	v_min_u32_e32 v2, 32, v2
	s_delay_alu instid0(VALU_DEP_1) | instskip(SKIP_1) | instid1(VALU_DEP_2)
	v_subrev_nc_u32_e32 v4, 28, v2
	v_sub_nc_u32_e32 v2, 29, v2
	v_lshlrev_b64 v[13:14], v4, v[11:12]
; %bb.3111:                             ;   in Loop: Header=BB373_2082 Depth=1
	s_or_b32 exec_lo, exec_lo, s23
	v_lshlrev_b32_e32 v4, 8, v11
	s_delay_alu instid0(VALU_DEP_3) | instskip(NEXT) | instid1(VALU_DEP_3)
	v_lshl_add_u32 v2, v2, 10, 0x2000
	v_lshlrev_b32_e32 v5, 7, v13
	s_delay_alu instid0(VALU_DEP_2) | instskip(NEXT) | instid1(VALU_DEP_1)
	v_and_or_b32 v2, 0x8000, v4, v2
	v_and_or_b32 v2, 0x380, v5, v2
	s_delay_alu instid0(VALU_DEP_1)
	v_cvt_f32_f16_e32 v4, v2
.LBB373_3112:                           ;   in Loop: Header=BB373_2082 Depth=1
	s_or_b32 exec_lo, exec_lo, s22
.LBB373_3113:                           ;   in Loop: Header=BB373_2082 Depth=1
	s_delay_alu instid0(SALU_CYCLE_1)
	s_or_b32 exec_lo, exec_lo, s21
.LBB373_3114:                           ;   in Loop: Header=BB373_2082 Depth=1
	s_delay_alu instid0(SALU_CYCLE_1) | instskip(SKIP_3) | instid1(VALU_DEP_2)
	s_or_b32 exec_lo, exec_lo, s19
	v_lshrrev_b16 v2, 8, v11
	v_dual_mov_b32 v23, 0 :: v_dual_mov_b32 v22, 0
	s_mov_b32 s19, exec_lo
	v_cmpx_ne_u16_e32 0, v2
	s_cbranch_execz .LBB373_3122
; %bb.3115:                             ;   in Loop: Header=BB373_2082 Depth=1
	v_bfrev_b32_e32 v22, 1
	s_mov_b32 s21, exec_lo
	v_cmpx_ne_u16_e32 0x80, v2
	s_cbranch_execz .LBB373_3121
; %bb.3116:                             ;   in Loop: Header=BB373_2082 Depth=1
	v_and_b32_e32 v5, 0xffff, v2
	v_mov_b32_e32 v22, 0x7fc02000
	s_mov_b32 s22, exec_lo
	s_delay_alu instid0(VALU_DEP_2) | instskip(NEXT) | instid1(VALU_DEP_1)
	v_and_b32_e32 v34, 0x7f, v5
	v_cmpx_ne_u32_e32 0x7f, v34
	s_cbranch_execz .LBB373_3120
; %bb.3117:                             ;   in Loop: Header=BB373_2082 Depth=1
	v_and_b32_e32 v2, 7, v5
	v_lshrrev_b32_e32 v22, 3, v34
	v_mov_b32_e32 v14, v3
	s_mov_b32 s23, exec_lo
	s_delay_alu instid0(VALU_DEP_3)
	v_mov_b32_e32 v13, v2
	v_cmpx_gt_u32_e32 8, v34
; %bb.3118:                             ;   in Loop: Header=BB373_2082 Depth=1
	v_clz_i32_u32_e32 v13, v2
	s_delay_alu instid0(VALU_DEP_1) | instskip(NEXT) | instid1(VALU_DEP_1)
	v_min_u32_e32 v22, 32, v13
	v_subrev_nc_u32_e32 v13, 28, v22
	v_sub_nc_u32_e32 v22, 29, v22
	s_delay_alu instid0(VALU_DEP_2) | instskip(NEXT) | instid1(VALU_DEP_1)
	v_lshlrev_b64 v[13:14], v13, v[2:3]
	v_and_b32_e32 v13, 7, v13
; %bb.3119:                             ;   in Loop: Header=BB373_2082 Depth=1
	s_or_b32 exec_lo, exec_lo, s23
	v_lshlrev_b32_e32 v2, 8, v5
	v_lshl_add_u32 v5, v22, 10, 0x2000
	s_delay_alu instid0(VALU_DEP_1) | instskip(NEXT) | instid1(VALU_DEP_1)
	v_and_or_b32 v2, 0x8000, v2, v5
	v_lshl_or_b32 v2, v13, 7, v2
	s_delay_alu instid0(VALU_DEP_1)
	v_cvt_f32_f16_e32 v22, v2
.LBB373_3120:                           ;   in Loop: Header=BB373_2082 Depth=1
	s_or_b32 exec_lo, exec_lo, s22
.LBB373_3121:                           ;   in Loop: Header=BB373_2082 Depth=1
	s_delay_alu instid0(SALU_CYCLE_1)
	s_or_b32 exec_lo, exec_lo, s21
.LBB373_3122:                           ;   in Loop: Header=BB373_2082 Depth=1
	s_delay_alu instid0(SALU_CYCLE_1) | instskip(SKIP_2) | instid1(VALU_DEP_1)
	s_or_b32 exec_lo, exec_lo, s19
	v_lshrrev_b32_e32 v5, 16, v11
	s_mov_b32 s19, exec_lo
	v_and_b32_e32 v2, 0xff, v5
	s_delay_alu instid0(VALU_DEP_1)
	v_cmpx_ne_u16_e32 0, v2
	s_cbranch_execz .LBB373_3130
; %bb.3123:                             ;   in Loop: Header=BB373_2082 Depth=1
	v_bfrev_b32_e32 v23, 1
	s_mov_b32 s21, exec_lo
	v_cmpx_ne_u16_e32 0x80, v2
	s_cbranch_execz .LBB373_3129
; %bb.3124:                             ;   in Loop: Header=BB373_2082 Depth=1
	v_bfe_u32 v34, v11, 16, 7
	v_mov_b32_e32 v23, 0x7fc02000
	s_mov_b32 s22, exec_lo
	s_delay_alu instid0(VALU_DEP_2)
	v_cmpx_ne_u32_e32 0x7f, v34
	s_cbranch_execz .LBB373_3128
; %bb.3125:                             ;   in Loop: Header=BB373_2082 Depth=1
	v_and_b32_e32 v2, 7, v5
	v_lshrrev_b32_e32 v23, 3, v34
	v_mov_b32_e32 v14, v3
	s_mov_b32 s23, exec_lo
	s_delay_alu instid0(VALU_DEP_3)
	v_mov_b32_e32 v13, v2
	v_cmpx_gt_u32_e32 8, v34
; %bb.3126:                             ;   in Loop: Header=BB373_2082 Depth=1
	v_clz_i32_u32_e32 v13, v2
	s_delay_alu instid0(VALU_DEP_1) | instskip(NEXT) | instid1(VALU_DEP_1)
	v_min_u32_e32 v23, 32, v13
	v_subrev_nc_u32_e32 v13, 28, v23
	v_sub_nc_u32_e32 v23, 29, v23
	s_delay_alu instid0(VALU_DEP_2) | instskip(NEXT) | instid1(VALU_DEP_1)
	v_lshlrev_b64 v[13:14], v13, v[2:3]
	v_and_b32_e32 v13, 7, v13
; %bb.3127:                             ;   in Loop: Header=BB373_2082 Depth=1
	s_or_b32 exec_lo, exec_lo, s23
	v_lshlrev_b32_e32 v2, 8, v5
	v_lshl_add_u32 v5, v23, 10, 0x2000
	s_delay_alu instid0(VALU_DEP_1) | instskip(NEXT) | instid1(VALU_DEP_1)
	v_and_or_b32 v2, 0x8000, v2, v5
	v_lshl_or_b32 v2, v13, 7, v2
	s_delay_alu instid0(VALU_DEP_1)
	v_cvt_f32_f16_e32 v23, v2
.LBB373_3128:                           ;   in Loop: Header=BB373_2082 Depth=1
	s_or_b32 exec_lo, exec_lo, s22
.LBB373_3129:                           ;   in Loop: Header=BB373_2082 Depth=1
	s_delay_alu instid0(SALU_CYCLE_1)
	s_or_b32 exec_lo, exec_lo, s21
.LBB373_3130:                           ;   in Loop: Header=BB373_2082 Depth=1
	s_delay_alu instid0(SALU_CYCLE_1)
	s_or_b32 exec_lo, exec_lo, s19
	v_dual_mov_b32 v34, 0 :: v_dual_mov_b32 v35, 0
	s_mov_b32 s19, exec_lo
	v_cmpx_lt_u32_e32 0xffffff, v11
	s_cbranch_execz .LBB373_3138
; %bb.3131:                             ;   in Loop: Header=BB373_2082 Depth=1
	v_lshrrev_b32_e32 v5, 24, v11
	v_bfrev_b32_e32 v35, 1
	s_mov_b32 s21, exec_lo
	s_delay_alu instid0(VALU_DEP_2)
	v_cmpx_ne_u32_e32 0x80, v5
	s_cbranch_execz .LBB373_3137
; %bb.3132:                             ;   in Loop: Header=BB373_2082 Depth=1
	v_and_b32_e32 v36, 0x7f, v5
	v_mov_b32_e32 v35, 0x7fc02000
	s_mov_b32 s22, exec_lo
	s_delay_alu instid0(VALU_DEP_2)
	v_cmpx_ne_u32_e32 0x7f, v36
	s_cbranch_execz .LBB373_3136
; %bb.3133:                             ;   in Loop: Header=BB373_2082 Depth=1
	v_and_b32_e32 v2, 7, v5
	v_lshrrev_b32_e32 v35, 3, v36
	v_mov_b32_e32 v14, v3
	s_mov_b32 s23, exec_lo
	s_delay_alu instid0(VALU_DEP_3)
	v_mov_b32_e32 v13, v2
	v_cmpx_gt_u32_e32 8, v36
; %bb.3134:                             ;   in Loop: Header=BB373_2082 Depth=1
	v_clz_i32_u32_e32 v13, v2
	s_delay_alu instid0(VALU_DEP_1) | instskip(NEXT) | instid1(VALU_DEP_1)
	v_min_u32_e32 v35, 32, v13
	v_subrev_nc_u32_e32 v13, 28, v35
	v_sub_nc_u32_e32 v35, 29, v35
	s_delay_alu instid0(VALU_DEP_2) | instskip(NEXT) | instid1(VALU_DEP_1)
	v_lshlrev_b64 v[13:14], v13, v[2:3]
	v_and_b32_e32 v13, 7, v13
; %bb.3135:                             ;   in Loop: Header=BB373_2082 Depth=1
	s_or_b32 exec_lo, exec_lo, s23
	v_lshlrev_b32_e32 v2, 8, v5
	v_lshl_add_u32 v5, v35, 10, 0x2000
	s_delay_alu instid0(VALU_DEP_1) | instskip(NEXT) | instid1(VALU_DEP_1)
	v_and_or_b32 v2, 0x8000, v2, v5
	v_lshl_or_b32 v2, v13, 7, v2
	s_delay_alu instid0(VALU_DEP_1)
	v_cvt_f32_f16_e32 v35, v2
.LBB373_3136:                           ;   in Loop: Header=BB373_2082 Depth=1
	s_or_b32 exec_lo, exec_lo, s22
.LBB373_3137:                           ;   in Loop: Header=BB373_2082 Depth=1
	s_delay_alu instid0(SALU_CYCLE_1)
	s_or_b32 exec_lo, exec_lo, s21
.LBB373_3138:                           ;   in Loop: Header=BB373_2082 Depth=1
	s_delay_alu instid0(SALU_CYCLE_1) | instskip(SKIP_2) | instid1(VALU_DEP_1)
	s_or_b32 exec_lo, exec_lo, s19
	v_dual_mov_b32 v2, v12 :: v_dual_and_b32 v5, 0xff, v12
	s_mov_b32 s19, exec_lo
	v_cmpx_ne_u16_e32 0, v5
	s_cbranch_execz .LBB373_3146
; %bb.3139:                             ;   in Loop: Header=BB373_2082 Depth=1
	v_bfrev_b32_e32 v34, 1
	s_mov_b32 s21, exec_lo
	v_cmpx_ne_u16_e32 0x80, v5
	s_cbranch_execz .LBB373_3145
; %bb.3140:                             ;   in Loop: Header=BB373_2082 Depth=1
	v_and_b32_e32 v36, 0x7f, v12
	v_mov_b32_e32 v34, 0x7fc02000
	s_mov_b32 s22, exec_lo
	s_delay_alu instid0(VALU_DEP_2)
	v_cmpx_ne_u32_e32 0x7f, v36
	s_cbranch_execz .LBB373_3144
; %bb.3141:                             ;   in Loop: Header=BB373_2082 Depth=1
	v_dual_mov_b32 v14, v3 :: v_dual_mov_b32 v13, v2
	v_lshrrev_b32_e32 v5, 3, v36
	s_mov_b32 s23, exec_lo
	v_cmpx_gt_u32_e32 8, v36
; %bb.3142:                             ;   in Loop: Header=BB373_2082 Depth=1
	v_and_b32_e32 v5, 7, v12
	s_delay_alu instid0(VALU_DEP_1) | instskip(NEXT) | instid1(VALU_DEP_1)
	v_clz_i32_u32_e32 v5, v5
	v_min_u32_e32 v5, 32, v5
	s_delay_alu instid0(VALU_DEP_1) | instskip(SKIP_1) | instid1(VALU_DEP_2)
	v_subrev_nc_u32_e32 v13, 28, v5
	v_sub_nc_u32_e32 v5, 29, v5
	v_lshlrev_b64 v[13:14], v13, v[2:3]
; %bb.3143:                             ;   in Loop: Header=BB373_2082 Depth=1
	s_or_b32 exec_lo, exec_lo, s23
	v_lshlrev_b32_e32 v14, 8, v12
	s_delay_alu instid0(VALU_DEP_3) | instskip(NEXT) | instid1(VALU_DEP_3)
	v_lshl_add_u32 v5, v5, 10, 0x2000
	v_lshlrev_b32_e32 v13, 7, v13
	s_delay_alu instid0(VALU_DEP_2) | instskip(NEXT) | instid1(VALU_DEP_1)
	v_and_or_b32 v5, 0x8000, v14, v5
	v_and_or_b32 v5, 0x380, v13, v5
	s_delay_alu instid0(VALU_DEP_1)
	v_cvt_f32_f16_e32 v34, v5
.LBB373_3144:                           ;   in Loop: Header=BB373_2082 Depth=1
	s_or_b32 exec_lo, exec_lo, s22
.LBB373_3145:                           ;   in Loop: Header=BB373_2082 Depth=1
	s_delay_alu instid0(SALU_CYCLE_1)
	s_or_b32 exec_lo, exec_lo, s21
.LBB373_3146:                           ;   in Loop: Header=BB373_2082 Depth=1
	s_delay_alu instid0(SALU_CYCLE_1) | instskip(SKIP_3) | instid1(VALU_DEP_2)
	s_or_b32 exec_lo, exec_lo, s19
	v_lshrrev_b16 v2, 8, v2
	v_dual_mov_b32 v36, 0 :: v_dual_mov_b32 v37, 0
	s_mov_b32 s19, exec_lo
	v_cmpx_ne_u16_e32 0, v2
	s_cbranch_execz .LBB373_3154
; %bb.3147:                             ;   in Loop: Header=BB373_2082 Depth=1
	v_bfrev_b32_e32 v37, 1
	s_mov_b32 s21, exec_lo
	v_cmpx_ne_u16_e32 0x80, v2
	s_cbranch_execz .LBB373_3153
; %bb.3148:                             ;   in Loop: Header=BB373_2082 Depth=1
	v_and_b32_e32 v5, 0xffff, v2
	v_mov_b32_e32 v37, 0x7fc02000
	s_mov_b32 s22, exec_lo
	s_delay_alu instid0(VALU_DEP_2) | instskip(NEXT) | instid1(VALU_DEP_1)
	v_and_b32_e32 v42, 0x7f, v5
	v_cmpx_ne_u32_e32 0x7f, v42
	s_cbranch_execz .LBB373_3152
; %bb.3149:                             ;   in Loop: Header=BB373_2082 Depth=1
	v_and_b32_e32 v2, 7, v5
	v_lshrrev_b32_e32 v37, 3, v42
	v_mov_b32_e32 v14, v3
	s_mov_b32 s23, exec_lo
	s_delay_alu instid0(VALU_DEP_3)
	v_mov_b32_e32 v13, v2
	v_cmpx_gt_u32_e32 8, v42
; %bb.3150:                             ;   in Loop: Header=BB373_2082 Depth=1
	v_clz_i32_u32_e32 v13, v2
	s_delay_alu instid0(VALU_DEP_1) | instskip(NEXT) | instid1(VALU_DEP_1)
	v_min_u32_e32 v37, 32, v13
	v_subrev_nc_u32_e32 v13, 28, v37
	v_sub_nc_u32_e32 v37, 29, v37
	s_delay_alu instid0(VALU_DEP_2) | instskip(NEXT) | instid1(VALU_DEP_1)
	v_lshlrev_b64 v[13:14], v13, v[2:3]
	v_and_b32_e32 v13, 7, v13
; %bb.3151:                             ;   in Loop: Header=BB373_2082 Depth=1
	s_or_b32 exec_lo, exec_lo, s23
	v_lshlrev_b32_e32 v2, 8, v5
	v_lshl_add_u32 v5, v37, 10, 0x2000
	s_delay_alu instid0(VALU_DEP_1) | instskip(NEXT) | instid1(VALU_DEP_1)
	v_and_or_b32 v2, 0x8000, v2, v5
	v_lshl_or_b32 v2, v13, 7, v2
	s_delay_alu instid0(VALU_DEP_1)
	v_cvt_f32_f16_e32 v37, v2
.LBB373_3152:                           ;   in Loop: Header=BB373_2082 Depth=1
	s_or_b32 exec_lo, exec_lo, s22
.LBB373_3153:                           ;   in Loop: Header=BB373_2082 Depth=1
	s_delay_alu instid0(SALU_CYCLE_1)
	s_or_b32 exec_lo, exec_lo, s21
.LBB373_3154:                           ;   in Loop: Header=BB373_2082 Depth=1
	s_delay_alu instid0(SALU_CYCLE_1) | instskip(SKIP_2) | instid1(VALU_DEP_1)
	s_or_b32 exec_lo, exec_lo, s19
	v_lshrrev_b32_e32 v5, 16, v12
	s_mov_b32 s19, exec_lo
	v_and_b32_e32 v2, 0xff, v5
	s_delay_alu instid0(VALU_DEP_1)
	v_cmpx_ne_u16_e32 0, v2
	s_cbranch_execz .LBB373_3162
; %bb.3155:                             ;   in Loop: Header=BB373_2082 Depth=1
	v_bfrev_b32_e32 v36, 1
	s_mov_b32 s21, exec_lo
	v_cmpx_ne_u16_e32 0x80, v2
	s_cbranch_execz .LBB373_3161
; %bb.3156:                             ;   in Loop: Header=BB373_2082 Depth=1
	v_bfe_u32 v42, v12, 16, 7
	v_mov_b32_e32 v36, 0x7fc02000
	s_mov_b32 s22, exec_lo
	s_delay_alu instid0(VALU_DEP_2)
	v_cmpx_ne_u32_e32 0x7f, v42
	s_cbranch_execz .LBB373_3160
; %bb.3157:                             ;   in Loop: Header=BB373_2082 Depth=1
	v_and_b32_e32 v2, 7, v5
	v_lshrrev_b32_e32 v36, 3, v42
	v_mov_b32_e32 v14, v3
	s_mov_b32 s23, exec_lo
	s_delay_alu instid0(VALU_DEP_3)
	v_mov_b32_e32 v13, v2
	v_cmpx_gt_u32_e32 8, v42
; %bb.3158:                             ;   in Loop: Header=BB373_2082 Depth=1
	v_clz_i32_u32_e32 v13, v2
	s_delay_alu instid0(VALU_DEP_1) | instskip(NEXT) | instid1(VALU_DEP_1)
	v_min_u32_e32 v36, 32, v13
	v_subrev_nc_u32_e32 v13, 28, v36
	v_sub_nc_u32_e32 v36, 29, v36
	s_delay_alu instid0(VALU_DEP_2) | instskip(NEXT) | instid1(VALU_DEP_1)
	v_lshlrev_b64 v[13:14], v13, v[2:3]
	v_and_b32_e32 v13, 7, v13
; %bb.3159:                             ;   in Loop: Header=BB373_2082 Depth=1
	s_or_b32 exec_lo, exec_lo, s23
	v_lshlrev_b32_e32 v2, 8, v5
	v_lshl_add_u32 v5, v36, 10, 0x2000
	s_delay_alu instid0(VALU_DEP_1) | instskip(NEXT) | instid1(VALU_DEP_1)
	v_and_or_b32 v2, 0x8000, v2, v5
	v_lshl_or_b32 v2, v13, 7, v2
	s_delay_alu instid0(VALU_DEP_1)
	v_cvt_f32_f16_e32 v36, v2
.LBB373_3160:                           ;   in Loop: Header=BB373_2082 Depth=1
	s_or_b32 exec_lo, exec_lo, s22
.LBB373_3161:                           ;   in Loop: Header=BB373_2082 Depth=1
	s_delay_alu instid0(SALU_CYCLE_1)
	s_or_b32 exec_lo, exec_lo, s21
.LBB373_3162:                           ;   in Loop: Header=BB373_2082 Depth=1
	s_delay_alu instid0(SALU_CYCLE_1)
	s_or_b32 exec_lo, exec_lo, s19
	v_dual_mov_b32 v5, 0 :: v_dual_mov_b32 v2, 0
	s_mov_b32 s19, exec_lo
	v_cmpx_lt_u64_e64 s[12:13], v[11:12]
	s_cbranch_execz .LBB373_3170
; %bb.3163:                             ;   in Loop: Header=BB373_2082 Depth=1
	v_lshrrev_b32_e32 v13, 24, v12
	v_bfrev_b32_e32 v2, 1
	s_mov_b32 s21, exec_lo
	s_delay_alu instid0(VALU_DEP_2)
	v_cmpx_ne_u32_e32 0x80, v13
	s_cbranch_execz .LBB373_3169
; %bb.3164:                             ;   in Loop: Header=BB373_2082 Depth=1
	v_and_b32_e32 v42, 0x7f, v13
	v_mov_b32_e32 v2, 0x7fc02000
	s_mov_b32 s22, exec_lo
	s_delay_alu instid0(VALU_DEP_2)
	v_cmpx_ne_u32_e32 0x7f, v42
	s_cbranch_execz .LBB373_3168
; %bb.3165:                             ;   in Loop: Header=BB373_2082 Depth=1
	v_and_b32_e32 v2, 7, v13
	v_lshrrev_b32_e32 v14, 3, v42
	v_mov_b32_e32 v12, v3
	s_mov_b32 s23, exec_lo
	s_delay_alu instid0(VALU_DEP_3)
	v_mov_b32_e32 v11, v2
	v_cmpx_gt_u32_e32 8, v42
; %bb.3166:                             ;   in Loop: Header=BB373_2082 Depth=1
	v_clz_i32_u32_e32 v11, v2
	s_delay_alu instid0(VALU_DEP_1) | instskip(NEXT) | instid1(VALU_DEP_1)
	v_min_u32_e32 v14, 32, v11
	v_subrev_nc_u32_e32 v11, 28, v14
	v_sub_nc_u32_e32 v14, 29, v14
	s_delay_alu instid0(VALU_DEP_2) | instskip(NEXT) | instid1(VALU_DEP_1)
	v_lshlrev_b64 v[11:12], v11, v[2:3]
	v_and_b32_e32 v11, 7, v11
; %bb.3167:                             ;   in Loop: Header=BB373_2082 Depth=1
	s_or_b32 exec_lo, exec_lo, s23
	v_lshlrev_b32_e32 v2, 8, v13
	v_lshl_add_u32 v12, v14, 10, 0x2000
	s_delay_alu instid0(VALU_DEP_1) | instskip(NEXT) | instid1(VALU_DEP_1)
	v_and_or_b32 v2, 0x8000, v2, v12
	v_lshl_or_b32 v2, v11, 7, v2
	s_delay_alu instid0(VALU_DEP_1)
	v_cvt_f32_f16_e32 v2, v2
.LBB373_3168:                           ;   in Loop: Header=BB373_2082 Depth=1
	s_or_b32 exec_lo, exec_lo, s22
.LBB373_3169:                           ;   in Loop: Header=BB373_2082 Depth=1
	s_delay_alu instid0(SALU_CYCLE_1)
	s_or_b32 exec_lo, exec_lo, s21
.LBB373_3170:                           ;   in Loop: Header=BB373_2082 Depth=1
	s_delay_alu instid0(SALU_CYCLE_1)
	s_or_b32 exec_lo, exec_lo, s19
	s_waitcnt vmcnt(0) lgkmcnt(0)
	v_fma_mixlo_f16 v11, v6, v35, 0
	v_fma_mixlo_f16 v12, v6, v23, 0
	;; [unrolled: 1-line block ×5, first 2 shown]
	v_lshlrev_b32_e32 v22, 16, v11
	v_fma_mixlo_f16 v23, v6, v34, 0
	v_and_b32_e32 v34, 0xffff, v12
	v_lshlrev_b32_e32 v35, 16, v13
	v_and_b32_e32 v37, 0xffff, v4
	v_cndmask_b32_e32 v4, 0, v4, vcc_lo
	v_fma_mixlo_f16 v2, v6, v2, 0
	v_fma_mixlo_f16 v6, v6, v36, 0
	v_cndmask_b32_e64 v13, 0, v13, s0
	v_lshlrev_b32_e32 v167, 16, v14
	v_and_b32_e32 v176, 0xffff, v23
	v_or_b32_e32 v22, v22, v34
	v_or_b32_e32 v34, v35, v37
	v_lshlrev_b32_e32 v36, 16, v2
	v_and_b32_e32 v37, 0xffff, v6
	v_cndmask_b32_e64 v12, 0, v12, s2
	v_cndmask_b32_e64 v11, 0, v11, s4
	;; [unrolled: 1-line block ×6, first 2 shown]
	v_perm_b32 v4, v13, v4, 0x5040100
	v_or_b32_e32 v35, v167, v176
	v_or_b32_e32 v36, v36, v37
	v_perm_b32 v11, v11, v12, 0x5040100
	v_perm_b32 v12, v14, v23, 0x5040100
	;; [unrolled: 1-line block ×3, first 2 shown]
	v_cndmask_b32_e64 v4, v34, v4, s1
	;;#ASMSTART
	v_pk_mul_f16 v4, v130, v4;

	;;#ASMEND
	v_cndmask_b32_e64 v6, v22, v11, s1
	v_cndmask_b32_e64 v11, v35, v12, s1
	;; [unrolled: 1-line block ×3, first 2 shown]
	;;#ASMSTART
	v_pk_mul_f16 v6, v129, v6;

	;;#ASMEND
	;;#ASMSTART
	v_pk_mul_f16 v11, v128, v11;

	;;#ASMEND
	;; [unrolled: 4-line block ×3, first 2 shown]
	;;#ASMSTART
	v_pk_add_f16 v4, v4, v6;

	;;#ASMEND
	;;#ASMSTART
	v_pk_add_f16 v4, v4, v11;

	;;#ASMEND
	v_add_co_u32 v11, s8, v9, v96
	s_delay_alu instid0(VALU_DEP_1)
	v_add_co_ci_u32_e64 v12, s8, 0, v10, s8
	;;#ASMSTART
	v_pk_add_f16 v2, v4, v2;

	;;#ASMEND
	v_lshrrev_b32_e32 v4, 16, v2
	v_and_b32_e32 v2, 0xffff, v2
	;;#ASMSTART
	v_cvt_f32_f16 v42, v2;
	;;#ASMEND
	;;#ASMSTART
	v_cvt_f32_f16 v43, v4;
	;;#ASMEND
	flat_load_b64 v[11:12], v[11:12]
	flat_load_b32 v6, v[121:122]
	s_mov_b32 s19, exec_lo
	s_waitcnt vmcnt(1) lgkmcnt(1)
	v_and_b32_e32 v2, 0xff, v11
	s_delay_alu instid0(VALU_DEP_1)
	v_cmpx_ne_u16_e32 0, v2
	s_cbranch_execz .LBB373_3178
; %bb.3171:                             ;   in Loop: Header=BB373_2082 Depth=1
	v_bfrev_b32_e32 v5, 1
	s_mov_b32 s21, exec_lo
	v_cmpx_ne_u16_e32 0x80, v2
	s_cbranch_execz .LBB373_3177
; %bb.3172:                             ;   in Loop: Header=BB373_2082 Depth=1
	v_and_b32_e32 v4, 0x7f, v11
	v_mov_b32_e32 v5, 0x7fc02000
	s_mov_b32 s22, exec_lo
	s_delay_alu instid0(VALU_DEP_2)
	v_cmpx_ne_u32_e32 0x7f, v4
	s_cbranch_execz .LBB373_3176
; %bb.3173:                             ;   in Loop: Header=BB373_2082 Depth=1
	v_lshrrev_b32_e32 v2, 3, v4
	v_dual_mov_b32 v14, v12 :: v_dual_mov_b32 v13, v11
	s_mov_b32 s23, exec_lo
	v_cmpx_gt_u32_e32 8, v4
; %bb.3174:                             ;   in Loop: Header=BB373_2082 Depth=1
	v_and_b32_e32 v2, 7, v11
	s_delay_alu instid0(VALU_DEP_1) | instskip(NEXT) | instid1(VALU_DEP_1)
	v_clz_i32_u32_e32 v2, v2
	v_min_u32_e32 v2, 32, v2
	s_delay_alu instid0(VALU_DEP_1) | instskip(SKIP_1) | instid1(VALU_DEP_2)
	v_subrev_nc_u32_e32 v4, 28, v2
	v_sub_nc_u32_e32 v2, 29, v2
	v_lshlrev_b64 v[13:14], v4, v[11:12]
; %bb.3175:                             ;   in Loop: Header=BB373_2082 Depth=1
	s_or_b32 exec_lo, exec_lo, s23
	v_lshlrev_b32_e32 v4, 8, v11
	s_delay_alu instid0(VALU_DEP_3) | instskip(NEXT) | instid1(VALU_DEP_3)
	v_lshl_add_u32 v2, v2, 10, 0x2000
	v_lshlrev_b32_e32 v5, 7, v13
	s_delay_alu instid0(VALU_DEP_2) | instskip(NEXT) | instid1(VALU_DEP_1)
	v_and_or_b32 v2, 0x8000, v4, v2
	v_and_or_b32 v2, 0x380, v5, v2
	s_delay_alu instid0(VALU_DEP_1)
	v_cvt_f32_f16_e32 v5, v2
.LBB373_3176:                           ;   in Loop: Header=BB373_2082 Depth=1
	s_or_b32 exec_lo, exec_lo, s22
.LBB373_3177:                           ;   in Loop: Header=BB373_2082 Depth=1
	s_delay_alu instid0(SALU_CYCLE_1)
	s_or_b32 exec_lo, exec_lo, s21
.LBB373_3178:                           ;   in Loop: Header=BB373_2082 Depth=1
	s_delay_alu instid0(SALU_CYCLE_1) | instskip(SKIP_3) | instid1(VALU_DEP_2)
	s_or_b32 exec_lo, exec_lo, s19
	v_lshrrev_b16 v2, 8, v11
	v_dual_mov_b32 v23, 0 :: v_dual_mov_b32 v22, 0
	s_mov_b32 s19, exec_lo
	v_cmpx_ne_u16_e32 0, v2
	s_cbranch_execz .LBB373_3186
; %bb.3179:                             ;   in Loop: Header=BB373_2082 Depth=1
	v_bfrev_b32_e32 v22, 1
	s_mov_b32 s21, exec_lo
	v_cmpx_ne_u16_e32 0x80, v2
	s_cbranch_execz .LBB373_3185
; %bb.3180:                             ;   in Loop: Header=BB373_2082 Depth=1
	v_and_b32_e32 v4, 0xffff, v2
	v_mov_b32_e32 v22, 0x7fc02000
	s_mov_b32 s22, exec_lo
	s_delay_alu instid0(VALU_DEP_2) | instskip(NEXT) | instid1(VALU_DEP_1)
	v_and_b32_e32 v34, 0x7f, v4
	v_cmpx_ne_u32_e32 0x7f, v34
	s_cbranch_execz .LBB373_3184
; %bb.3181:                             ;   in Loop: Header=BB373_2082 Depth=1
	v_and_b32_e32 v2, 7, v4
	v_lshrrev_b32_e32 v22, 3, v34
	v_mov_b32_e32 v14, v3
	s_mov_b32 s23, exec_lo
	s_delay_alu instid0(VALU_DEP_3)
	v_mov_b32_e32 v13, v2
	v_cmpx_gt_u32_e32 8, v34
; %bb.3182:                             ;   in Loop: Header=BB373_2082 Depth=1
	v_clz_i32_u32_e32 v13, v2
	s_delay_alu instid0(VALU_DEP_1) | instskip(NEXT) | instid1(VALU_DEP_1)
	v_min_u32_e32 v22, 32, v13
	v_subrev_nc_u32_e32 v13, 28, v22
	v_sub_nc_u32_e32 v22, 29, v22
	s_delay_alu instid0(VALU_DEP_2) | instskip(NEXT) | instid1(VALU_DEP_1)
	v_lshlrev_b64 v[13:14], v13, v[2:3]
	v_and_b32_e32 v13, 7, v13
; %bb.3183:                             ;   in Loop: Header=BB373_2082 Depth=1
	s_or_b32 exec_lo, exec_lo, s23
	v_lshlrev_b32_e32 v2, 8, v4
	v_lshl_add_u32 v4, v22, 10, 0x2000
	s_delay_alu instid0(VALU_DEP_1) | instskip(NEXT) | instid1(VALU_DEP_1)
	v_and_or_b32 v2, 0x8000, v2, v4
	v_lshl_or_b32 v2, v13, 7, v2
	s_delay_alu instid0(VALU_DEP_1)
	v_cvt_f32_f16_e32 v22, v2
.LBB373_3184:                           ;   in Loop: Header=BB373_2082 Depth=1
	s_or_b32 exec_lo, exec_lo, s22
.LBB373_3185:                           ;   in Loop: Header=BB373_2082 Depth=1
	s_delay_alu instid0(SALU_CYCLE_1)
	s_or_b32 exec_lo, exec_lo, s21
.LBB373_3186:                           ;   in Loop: Header=BB373_2082 Depth=1
	s_delay_alu instid0(SALU_CYCLE_1) | instskip(SKIP_2) | instid1(VALU_DEP_1)
	s_or_b32 exec_lo, exec_lo, s19
	v_lshrrev_b32_e32 v4, 16, v11
	s_mov_b32 s19, exec_lo
	v_and_b32_e32 v2, 0xff, v4
	s_delay_alu instid0(VALU_DEP_1)
	v_cmpx_ne_u16_e32 0, v2
	s_cbranch_execz .LBB373_3194
; %bb.3187:                             ;   in Loop: Header=BB373_2082 Depth=1
	v_bfrev_b32_e32 v23, 1
	s_mov_b32 s21, exec_lo
	v_cmpx_ne_u16_e32 0x80, v2
	s_cbranch_execz .LBB373_3193
; %bb.3188:                             ;   in Loop: Header=BB373_2082 Depth=1
	v_bfe_u32 v34, v11, 16, 7
	v_mov_b32_e32 v23, 0x7fc02000
	s_mov_b32 s22, exec_lo
	s_delay_alu instid0(VALU_DEP_2)
	v_cmpx_ne_u32_e32 0x7f, v34
	s_cbranch_execz .LBB373_3192
; %bb.3189:                             ;   in Loop: Header=BB373_2082 Depth=1
	v_and_b32_e32 v2, 7, v4
	v_lshrrev_b32_e32 v23, 3, v34
	v_mov_b32_e32 v14, v3
	s_mov_b32 s23, exec_lo
	s_delay_alu instid0(VALU_DEP_3)
	v_mov_b32_e32 v13, v2
	v_cmpx_gt_u32_e32 8, v34
; %bb.3190:                             ;   in Loop: Header=BB373_2082 Depth=1
	v_clz_i32_u32_e32 v13, v2
	s_delay_alu instid0(VALU_DEP_1) | instskip(NEXT) | instid1(VALU_DEP_1)
	v_min_u32_e32 v23, 32, v13
	v_subrev_nc_u32_e32 v13, 28, v23
	v_sub_nc_u32_e32 v23, 29, v23
	s_delay_alu instid0(VALU_DEP_2) | instskip(NEXT) | instid1(VALU_DEP_1)
	v_lshlrev_b64 v[13:14], v13, v[2:3]
	v_and_b32_e32 v13, 7, v13
; %bb.3191:                             ;   in Loop: Header=BB373_2082 Depth=1
	s_or_b32 exec_lo, exec_lo, s23
	v_lshlrev_b32_e32 v2, 8, v4
	v_lshl_add_u32 v4, v23, 10, 0x2000
	s_delay_alu instid0(VALU_DEP_1) | instskip(NEXT) | instid1(VALU_DEP_1)
	v_and_or_b32 v2, 0x8000, v2, v4
	v_lshl_or_b32 v2, v13, 7, v2
	s_delay_alu instid0(VALU_DEP_1)
	v_cvt_f32_f16_e32 v23, v2
.LBB373_3192:                           ;   in Loop: Header=BB373_2082 Depth=1
	s_or_b32 exec_lo, exec_lo, s22
.LBB373_3193:                           ;   in Loop: Header=BB373_2082 Depth=1
	s_delay_alu instid0(SALU_CYCLE_1)
	s_or_b32 exec_lo, exec_lo, s21
.LBB373_3194:                           ;   in Loop: Header=BB373_2082 Depth=1
	s_delay_alu instid0(SALU_CYCLE_1)
	s_or_b32 exec_lo, exec_lo, s19
	v_dual_mov_b32 v34, 0 :: v_dual_mov_b32 v35, 0
	s_mov_b32 s19, exec_lo
	v_cmpx_lt_u32_e32 0xffffff, v11
	s_cbranch_execz .LBB373_3202
; %bb.3195:                             ;   in Loop: Header=BB373_2082 Depth=1
	v_lshrrev_b32_e32 v4, 24, v11
	v_bfrev_b32_e32 v35, 1
	s_mov_b32 s21, exec_lo
	s_delay_alu instid0(VALU_DEP_2)
	v_cmpx_ne_u32_e32 0x80, v4
	s_cbranch_execz .LBB373_3201
; %bb.3196:                             ;   in Loop: Header=BB373_2082 Depth=1
	v_and_b32_e32 v36, 0x7f, v4
	v_mov_b32_e32 v35, 0x7fc02000
	s_mov_b32 s22, exec_lo
	s_delay_alu instid0(VALU_DEP_2)
	v_cmpx_ne_u32_e32 0x7f, v36
	s_cbranch_execz .LBB373_3200
; %bb.3197:                             ;   in Loop: Header=BB373_2082 Depth=1
	v_and_b32_e32 v2, 7, v4
	v_lshrrev_b32_e32 v35, 3, v36
	v_mov_b32_e32 v14, v3
	s_mov_b32 s23, exec_lo
	s_delay_alu instid0(VALU_DEP_3)
	v_mov_b32_e32 v13, v2
	v_cmpx_gt_u32_e32 8, v36
; %bb.3198:                             ;   in Loop: Header=BB373_2082 Depth=1
	v_clz_i32_u32_e32 v13, v2
	s_delay_alu instid0(VALU_DEP_1) | instskip(NEXT) | instid1(VALU_DEP_1)
	v_min_u32_e32 v35, 32, v13
	v_subrev_nc_u32_e32 v13, 28, v35
	v_sub_nc_u32_e32 v35, 29, v35
	s_delay_alu instid0(VALU_DEP_2) | instskip(NEXT) | instid1(VALU_DEP_1)
	v_lshlrev_b64 v[13:14], v13, v[2:3]
	v_and_b32_e32 v13, 7, v13
; %bb.3199:                             ;   in Loop: Header=BB373_2082 Depth=1
	s_or_b32 exec_lo, exec_lo, s23
	v_lshlrev_b32_e32 v2, 8, v4
	v_lshl_add_u32 v4, v35, 10, 0x2000
	s_delay_alu instid0(VALU_DEP_1) | instskip(NEXT) | instid1(VALU_DEP_1)
	v_and_or_b32 v2, 0x8000, v2, v4
	v_lshl_or_b32 v2, v13, 7, v2
	s_delay_alu instid0(VALU_DEP_1)
	v_cvt_f32_f16_e32 v35, v2
.LBB373_3200:                           ;   in Loop: Header=BB373_2082 Depth=1
	s_or_b32 exec_lo, exec_lo, s22
.LBB373_3201:                           ;   in Loop: Header=BB373_2082 Depth=1
	s_delay_alu instid0(SALU_CYCLE_1)
	s_or_b32 exec_lo, exec_lo, s21
.LBB373_3202:                           ;   in Loop: Header=BB373_2082 Depth=1
	s_delay_alu instid0(SALU_CYCLE_1) | instskip(SKIP_3) | instid1(VALU_DEP_2)
	s_or_b32 exec_lo, exec_lo, s19
	v_and_b32_e32 v4, 0xff, v12
	v_mov_b32_e32 v2, v12
	s_mov_b32 s19, exec_lo
	v_cmpx_ne_u16_e32 0, v4
	s_cbranch_execz .LBB373_3210
; %bb.3203:                             ;   in Loop: Header=BB373_2082 Depth=1
	v_bfrev_b32_e32 v34, 1
	s_mov_b32 s21, exec_lo
	v_cmpx_ne_u16_e32 0x80, v4
	s_cbranch_execz .LBB373_3209
; %bb.3204:                             ;   in Loop: Header=BB373_2082 Depth=1
	v_and_b32_e32 v36, 0x7f, v12
	v_mov_b32_e32 v34, 0x7fc02000
	s_mov_b32 s22, exec_lo
	s_delay_alu instid0(VALU_DEP_2)
	v_cmpx_ne_u32_e32 0x7f, v36
	s_cbranch_execz .LBB373_3208
; %bb.3205:                             ;   in Loop: Header=BB373_2082 Depth=1
	v_dual_mov_b32 v14, v3 :: v_dual_mov_b32 v13, v2
	v_lshrrev_b32_e32 v4, 3, v36
	s_mov_b32 s23, exec_lo
	v_cmpx_gt_u32_e32 8, v36
; %bb.3206:                             ;   in Loop: Header=BB373_2082 Depth=1
	v_and_b32_e32 v4, 7, v12
	s_delay_alu instid0(VALU_DEP_1) | instskip(NEXT) | instid1(VALU_DEP_1)
	v_clz_i32_u32_e32 v4, v4
	v_min_u32_e32 v4, 32, v4
	s_delay_alu instid0(VALU_DEP_1) | instskip(SKIP_1) | instid1(VALU_DEP_2)
	v_subrev_nc_u32_e32 v13, 28, v4
	v_sub_nc_u32_e32 v4, 29, v4
	v_lshlrev_b64 v[13:14], v13, v[2:3]
; %bb.3207:                             ;   in Loop: Header=BB373_2082 Depth=1
	s_or_b32 exec_lo, exec_lo, s23
	v_lshlrev_b32_e32 v14, 8, v12
	s_delay_alu instid0(VALU_DEP_3) | instskip(NEXT) | instid1(VALU_DEP_3)
	v_lshl_add_u32 v4, v4, 10, 0x2000
	v_lshlrev_b32_e32 v13, 7, v13
	s_delay_alu instid0(VALU_DEP_2) | instskip(NEXT) | instid1(VALU_DEP_1)
	v_and_or_b32 v4, 0x8000, v14, v4
	v_and_or_b32 v4, 0x380, v13, v4
	s_delay_alu instid0(VALU_DEP_1)
	v_cvt_f32_f16_e32 v34, v4
.LBB373_3208:                           ;   in Loop: Header=BB373_2082 Depth=1
	s_or_b32 exec_lo, exec_lo, s22
.LBB373_3209:                           ;   in Loop: Header=BB373_2082 Depth=1
	s_delay_alu instid0(SALU_CYCLE_1)
	s_or_b32 exec_lo, exec_lo, s21
.LBB373_3210:                           ;   in Loop: Header=BB373_2082 Depth=1
	s_delay_alu instid0(SALU_CYCLE_1) | instskip(SKIP_3) | instid1(VALU_DEP_2)
	s_or_b32 exec_lo, exec_lo, s19
	v_lshrrev_b16 v2, 8, v2
	v_dual_mov_b32 v36, 0 :: v_dual_mov_b32 v37, 0
	s_mov_b32 s19, exec_lo
	v_cmpx_ne_u16_e32 0, v2
	s_cbranch_execz .LBB373_3218
; %bb.3211:                             ;   in Loop: Header=BB373_2082 Depth=1
	v_bfrev_b32_e32 v37, 1
	s_mov_b32 s21, exec_lo
	v_cmpx_ne_u16_e32 0x80, v2
	s_cbranch_execz .LBB373_3217
; %bb.3212:                             ;   in Loop: Header=BB373_2082 Depth=1
	v_and_b32_e32 v4, 0xffff, v2
	v_mov_b32_e32 v37, 0x7fc02000
	s_mov_b32 s22, exec_lo
	s_delay_alu instid0(VALU_DEP_2) | instskip(NEXT) | instid1(VALU_DEP_1)
	v_and_b32_e32 v44, 0x7f, v4
	v_cmpx_ne_u32_e32 0x7f, v44
	s_cbranch_execz .LBB373_3216
; %bb.3213:                             ;   in Loop: Header=BB373_2082 Depth=1
	v_and_b32_e32 v2, 7, v4
	v_lshrrev_b32_e32 v37, 3, v44
	v_mov_b32_e32 v14, v3
	s_mov_b32 s23, exec_lo
	s_delay_alu instid0(VALU_DEP_3)
	v_mov_b32_e32 v13, v2
	v_cmpx_gt_u32_e32 8, v44
; %bb.3214:                             ;   in Loop: Header=BB373_2082 Depth=1
	v_clz_i32_u32_e32 v13, v2
	s_delay_alu instid0(VALU_DEP_1) | instskip(NEXT) | instid1(VALU_DEP_1)
	v_min_u32_e32 v37, 32, v13
	v_subrev_nc_u32_e32 v13, 28, v37
	v_sub_nc_u32_e32 v37, 29, v37
	s_delay_alu instid0(VALU_DEP_2) | instskip(NEXT) | instid1(VALU_DEP_1)
	v_lshlrev_b64 v[13:14], v13, v[2:3]
	v_and_b32_e32 v13, 7, v13
; %bb.3215:                             ;   in Loop: Header=BB373_2082 Depth=1
	s_or_b32 exec_lo, exec_lo, s23
	v_lshlrev_b32_e32 v2, 8, v4
	v_lshl_add_u32 v4, v37, 10, 0x2000
	s_delay_alu instid0(VALU_DEP_1) | instskip(NEXT) | instid1(VALU_DEP_1)
	v_and_or_b32 v2, 0x8000, v2, v4
	v_lshl_or_b32 v2, v13, 7, v2
	s_delay_alu instid0(VALU_DEP_1)
	v_cvt_f32_f16_e32 v37, v2
.LBB373_3216:                           ;   in Loop: Header=BB373_2082 Depth=1
	s_or_b32 exec_lo, exec_lo, s22
.LBB373_3217:                           ;   in Loop: Header=BB373_2082 Depth=1
	s_delay_alu instid0(SALU_CYCLE_1)
	s_or_b32 exec_lo, exec_lo, s21
.LBB373_3218:                           ;   in Loop: Header=BB373_2082 Depth=1
	s_delay_alu instid0(SALU_CYCLE_1) | instskip(SKIP_2) | instid1(VALU_DEP_1)
	s_or_b32 exec_lo, exec_lo, s19
	v_lshrrev_b32_e32 v4, 16, v12
	s_mov_b32 s19, exec_lo
	v_and_b32_e32 v2, 0xff, v4
	s_delay_alu instid0(VALU_DEP_1)
	v_cmpx_ne_u16_e32 0, v2
	s_cbranch_execz .LBB373_3226
; %bb.3219:                             ;   in Loop: Header=BB373_2082 Depth=1
	v_bfrev_b32_e32 v36, 1
	s_mov_b32 s21, exec_lo
	v_cmpx_ne_u16_e32 0x80, v2
	s_cbranch_execz .LBB373_3225
; %bb.3220:                             ;   in Loop: Header=BB373_2082 Depth=1
	v_bfe_u32 v44, v12, 16, 7
	v_mov_b32_e32 v36, 0x7fc02000
	s_mov_b32 s22, exec_lo
	s_delay_alu instid0(VALU_DEP_2)
	v_cmpx_ne_u32_e32 0x7f, v44
	s_cbranch_execz .LBB373_3224
; %bb.3221:                             ;   in Loop: Header=BB373_2082 Depth=1
	v_and_b32_e32 v2, 7, v4
	v_lshrrev_b32_e32 v36, 3, v44
	v_mov_b32_e32 v14, v3
	s_mov_b32 s23, exec_lo
	s_delay_alu instid0(VALU_DEP_3)
	v_mov_b32_e32 v13, v2
	v_cmpx_gt_u32_e32 8, v44
; %bb.3222:                             ;   in Loop: Header=BB373_2082 Depth=1
	v_clz_i32_u32_e32 v13, v2
	s_delay_alu instid0(VALU_DEP_1) | instskip(NEXT) | instid1(VALU_DEP_1)
	v_min_u32_e32 v36, 32, v13
	v_subrev_nc_u32_e32 v13, 28, v36
	v_sub_nc_u32_e32 v36, 29, v36
	s_delay_alu instid0(VALU_DEP_2) | instskip(NEXT) | instid1(VALU_DEP_1)
	v_lshlrev_b64 v[13:14], v13, v[2:3]
	v_and_b32_e32 v13, 7, v13
; %bb.3223:                             ;   in Loop: Header=BB373_2082 Depth=1
	s_or_b32 exec_lo, exec_lo, s23
	v_lshlrev_b32_e32 v2, 8, v4
	v_lshl_add_u32 v4, v36, 10, 0x2000
	s_delay_alu instid0(VALU_DEP_1) | instskip(NEXT) | instid1(VALU_DEP_1)
	v_and_or_b32 v2, 0x8000, v2, v4
	v_lshl_or_b32 v2, v13, 7, v2
	s_delay_alu instid0(VALU_DEP_1)
	v_cvt_f32_f16_e32 v36, v2
.LBB373_3224:                           ;   in Loop: Header=BB373_2082 Depth=1
	s_or_b32 exec_lo, exec_lo, s22
.LBB373_3225:                           ;   in Loop: Header=BB373_2082 Depth=1
	s_delay_alu instid0(SALU_CYCLE_1)
	s_or_b32 exec_lo, exec_lo, s21
.LBB373_3226:                           ;   in Loop: Header=BB373_2082 Depth=1
	s_delay_alu instid0(SALU_CYCLE_1)
	s_or_b32 exec_lo, exec_lo, s19
	v_mov_b32_e32 v4, 0
	v_mov_b32_e32 v2, 0
	s_mov_b32 s19, exec_lo
	v_cmpx_lt_u64_e64 s[12:13], v[11:12]
	s_cbranch_execz .LBB373_3234
; %bb.3227:                             ;   in Loop: Header=BB373_2082 Depth=1
	v_lshrrev_b32_e32 v13, 24, v12
	v_bfrev_b32_e32 v2, 1
	s_mov_b32 s21, exec_lo
	s_delay_alu instid0(VALU_DEP_2)
	v_cmpx_ne_u32_e32 0x80, v13
	s_cbranch_execz .LBB373_3233
; %bb.3228:                             ;   in Loop: Header=BB373_2082 Depth=1
	v_and_b32_e32 v44, 0x7f, v13
	v_mov_b32_e32 v2, 0x7fc02000
	s_mov_b32 s22, exec_lo
	s_delay_alu instid0(VALU_DEP_2)
	v_cmpx_ne_u32_e32 0x7f, v44
	s_cbranch_execz .LBB373_3232
; %bb.3229:                             ;   in Loop: Header=BB373_2082 Depth=1
	v_and_b32_e32 v2, 7, v13
	v_lshrrev_b32_e32 v14, 3, v44
	v_mov_b32_e32 v12, v3
	s_mov_b32 s23, exec_lo
	s_delay_alu instid0(VALU_DEP_3)
	v_mov_b32_e32 v11, v2
	v_cmpx_gt_u32_e32 8, v44
; %bb.3230:                             ;   in Loop: Header=BB373_2082 Depth=1
	v_clz_i32_u32_e32 v11, v2
	s_delay_alu instid0(VALU_DEP_1) | instskip(NEXT) | instid1(VALU_DEP_1)
	v_min_u32_e32 v14, 32, v11
	v_subrev_nc_u32_e32 v11, 28, v14
	v_sub_nc_u32_e32 v14, 29, v14
	s_delay_alu instid0(VALU_DEP_2) | instskip(NEXT) | instid1(VALU_DEP_1)
	v_lshlrev_b64 v[11:12], v11, v[2:3]
	v_and_b32_e32 v11, 7, v11
; %bb.3231:                             ;   in Loop: Header=BB373_2082 Depth=1
	s_or_b32 exec_lo, exec_lo, s23
	v_lshlrev_b32_e32 v2, 8, v13
	v_lshl_add_u32 v12, v14, 10, 0x2000
	s_delay_alu instid0(VALU_DEP_1) | instskip(NEXT) | instid1(VALU_DEP_1)
	v_and_or_b32 v2, 0x8000, v2, v12
	v_lshl_or_b32 v2, v11, 7, v2
	s_delay_alu instid0(VALU_DEP_1)
	v_cvt_f32_f16_e32 v2, v2
.LBB373_3232:                           ;   in Loop: Header=BB373_2082 Depth=1
	s_or_b32 exec_lo, exec_lo, s22
.LBB373_3233:                           ;   in Loop: Header=BB373_2082 Depth=1
	s_delay_alu instid0(SALU_CYCLE_1)
	s_or_b32 exec_lo, exec_lo, s21
.LBB373_3234:                           ;   in Loop: Header=BB373_2082 Depth=1
	s_delay_alu instid0(SALU_CYCLE_1)
	s_or_b32 exec_lo, exec_lo, s19
	s_waitcnt vmcnt(0) lgkmcnt(0)
	v_fma_mixlo_f16 v11, v6, v35, 0
	v_fma_mixlo_f16 v12, v6, v23, 0
	;; [unrolled: 1-line block ×5, first 2 shown]
	v_lshlrev_b32_e32 v22, 16, v11
	v_fma_mixlo_f16 v23, v6, v34, 0
	v_and_b32_e32 v34, 0xffff, v12
	v_lshlrev_b32_e32 v35, 16, v13
	v_and_b32_e32 v37, 0xffff, v5
	v_cndmask_b32_e32 v5, 0, v5, vcc_lo
	v_fma_mixlo_f16 v2, v6, v2, 0
	v_fma_mixlo_f16 v6, v6, v36, 0
	v_cndmask_b32_e64 v13, 0, v13, s0
	v_lshlrev_b32_e32 v167, 16, v14
	v_and_b32_e32 v176, 0xffff, v23
	v_or_b32_e32 v22, v22, v34
	v_or_b32_e32 v34, v35, v37
	v_lshlrev_b32_e32 v36, 16, v2
	v_and_b32_e32 v37, 0xffff, v6
	v_cndmask_b32_e64 v12, 0, v12, s2
	v_cndmask_b32_e64 v11, 0, v11, s4
	;; [unrolled: 1-line block ×6, first 2 shown]
	v_perm_b32 v5, v13, v5, 0x5040100
	v_or_b32_e32 v35, v167, v176
	v_or_b32_e32 v36, v36, v37
	v_perm_b32 v11, v11, v12, 0x5040100
	v_perm_b32 v12, v14, v23, 0x5040100
	;; [unrolled: 1-line block ×3, first 2 shown]
	v_cndmask_b32_e64 v5, v34, v5, s1
	;;#ASMSTART
	v_pk_mul_f16 v5, v130, v5;

	;;#ASMEND
	v_cndmask_b32_e64 v6, v22, v11, s1
	v_cndmask_b32_e64 v11, v35, v12, s1
	;; [unrolled: 1-line block ×3, first 2 shown]
	;;#ASMSTART
	v_pk_mul_f16 v6, v129, v6;

	;;#ASMEND
	;;#ASMSTART
	v_pk_mul_f16 v11, v128, v11;

	;;#ASMEND
	;; [unrolled: 4-line block ×3, first 2 shown]
	;;#ASMSTART
	v_pk_add_f16 v5, v5, v6;

	;;#ASMEND
	;;#ASMSTART
	v_pk_add_f16 v5, v5, v11;

	;;#ASMEND
	;; [unrolled: 4-line block ×3, first 2 shown]
	v_add_co_u32 v5, s8, v9, v97
	s_delay_alu instid0(VALU_DEP_1)
	v_add_co_ci_u32_e64 v6, s8, 0, v10, s8
	v_lshrrev_b32_e32 v11, 16, v2
	v_and_b32_e32 v2, 0xffff, v2
	;;#ASMSTART
	v_cvt_f32_f16 v44, v2;
	;;#ASMEND
	;;#ASMSTART
	v_cvt_f32_f16 v45, v11;
	;;#ASMEND
	flat_load_b64 v[11:12], v[5:6]
	flat_load_b32 v5, v[121:122]
	s_mov_b32 s19, exec_lo
	s_waitcnt vmcnt(1) lgkmcnt(1)
	v_and_b32_e32 v2, 0xff, v11
	s_delay_alu instid0(VALU_DEP_1)
	v_cmpx_ne_u16_e32 0, v2
	s_cbranch_execz .LBB373_3242
; %bb.3235:                             ;   in Loop: Header=BB373_2082 Depth=1
	v_bfrev_b32_e32 v4, 1
	s_mov_b32 s21, exec_lo
	v_cmpx_ne_u16_e32 0x80, v2
	s_cbranch_execz .LBB373_3241
; %bb.3236:                             ;   in Loop: Header=BB373_2082 Depth=1
	v_and_b32_e32 v6, 0x7f, v11
	v_mov_b32_e32 v4, 0x7fc02000
	s_mov_b32 s22, exec_lo
	s_delay_alu instid0(VALU_DEP_2)
	v_cmpx_ne_u32_e32 0x7f, v6
	s_cbranch_execz .LBB373_3240
; %bb.3237:                             ;   in Loop: Header=BB373_2082 Depth=1
	v_lshrrev_b32_e32 v2, 3, v6
	v_dual_mov_b32 v14, v12 :: v_dual_mov_b32 v13, v11
	s_mov_b32 s23, exec_lo
	v_cmpx_gt_u32_e32 8, v6
; %bb.3238:                             ;   in Loop: Header=BB373_2082 Depth=1
	v_and_b32_e32 v2, 7, v11
	s_delay_alu instid0(VALU_DEP_1) | instskip(NEXT) | instid1(VALU_DEP_1)
	v_clz_i32_u32_e32 v2, v2
	v_min_u32_e32 v2, 32, v2
	s_delay_alu instid0(VALU_DEP_1) | instskip(SKIP_1) | instid1(VALU_DEP_2)
	v_subrev_nc_u32_e32 v4, 28, v2
	v_sub_nc_u32_e32 v2, 29, v2
	v_lshlrev_b64 v[13:14], v4, v[11:12]
; %bb.3239:                             ;   in Loop: Header=BB373_2082 Depth=1
	s_or_b32 exec_lo, exec_lo, s23
	v_lshlrev_b32_e32 v4, 8, v11
	s_delay_alu instid0(VALU_DEP_3) | instskip(NEXT) | instid1(VALU_DEP_3)
	v_lshl_add_u32 v2, v2, 10, 0x2000
	v_lshlrev_b32_e32 v6, 7, v13
	s_delay_alu instid0(VALU_DEP_2) | instskip(NEXT) | instid1(VALU_DEP_1)
	v_and_or_b32 v2, 0x8000, v4, v2
	v_and_or_b32 v2, 0x380, v6, v2
	s_delay_alu instid0(VALU_DEP_1)
	v_cvt_f32_f16_e32 v4, v2
.LBB373_3240:                           ;   in Loop: Header=BB373_2082 Depth=1
	s_or_b32 exec_lo, exec_lo, s22
.LBB373_3241:                           ;   in Loop: Header=BB373_2082 Depth=1
	s_delay_alu instid0(SALU_CYCLE_1)
	s_or_b32 exec_lo, exec_lo, s21
.LBB373_3242:                           ;   in Loop: Header=BB373_2082 Depth=1
	s_delay_alu instid0(SALU_CYCLE_1) | instskip(SKIP_3) | instid1(VALU_DEP_2)
	s_or_b32 exec_lo, exec_lo, s19
	v_lshrrev_b16 v2, 8, v11
	v_dual_mov_b32 v23, 0 :: v_dual_mov_b32 v22, 0
	s_mov_b32 s19, exec_lo
	v_cmpx_ne_u16_e32 0, v2
	s_cbranch_execz .LBB373_3250
; %bb.3243:                             ;   in Loop: Header=BB373_2082 Depth=1
	v_bfrev_b32_e32 v22, 1
	s_mov_b32 s21, exec_lo
	v_cmpx_ne_u16_e32 0x80, v2
	s_cbranch_execz .LBB373_3249
; %bb.3244:                             ;   in Loop: Header=BB373_2082 Depth=1
	v_and_b32_e32 v6, 0xffff, v2
	v_mov_b32_e32 v22, 0x7fc02000
	s_mov_b32 s22, exec_lo
	s_delay_alu instid0(VALU_DEP_2) | instskip(NEXT) | instid1(VALU_DEP_1)
	v_and_b32_e32 v34, 0x7f, v6
	v_cmpx_ne_u32_e32 0x7f, v34
	s_cbranch_execz .LBB373_3248
; %bb.3245:                             ;   in Loop: Header=BB373_2082 Depth=1
	v_and_b32_e32 v2, 7, v6
	v_lshrrev_b32_e32 v22, 3, v34
	v_mov_b32_e32 v14, v3
	s_mov_b32 s23, exec_lo
	s_delay_alu instid0(VALU_DEP_3)
	v_mov_b32_e32 v13, v2
	v_cmpx_gt_u32_e32 8, v34
; %bb.3246:                             ;   in Loop: Header=BB373_2082 Depth=1
	v_clz_i32_u32_e32 v13, v2
	s_delay_alu instid0(VALU_DEP_1) | instskip(NEXT) | instid1(VALU_DEP_1)
	v_min_u32_e32 v22, 32, v13
	v_subrev_nc_u32_e32 v13, 28, v22
	v_sub_nc_u32_e32 v22, 29, v22
	s_delay_alu instid0(VALU_DEP_2) | instskip(NEXT) | instid1(VALU_DEP_1)
	v_lshlrev_b64 v[13:14], v13, v[2:3]
	v_and_b32_e32 v13, 7, v13
; %bb.3247:                             ;   in Loop: Header=BB373_2082 Depth=1
	s_or_b32 exec_lo, exec_lo, s23
	v_lshlrev_b32_e32 v2, 8, v6
	v_lshl_add_u32 v6, v22, 10, 0x2000
	s_delay_alu instid0(VALU_DEP_1) | instskip(NEXT) | instid1(VALU_DEP_1)
	v_and_or_b32 v2, 0x8000, v2, v6
	v_lshl_or_b32 v2, v13, 7, v2
	s_delay_alu instid0(VALU_DEP_1)
	v_cvt_f32_f16_e32 v22, v2
.LBB373_3248:                           ;   in Loop: Header=BB373_2082 Depth=1
	s_or_b32 exec_lo, exec_lo, s22
.LBB373_3249:                           ;   in Loop: Header=BB373_2082 Depth=1
	s_delay_alu instid0(SALU_CYCLE_1)
	s_or_b32 exec_lo, exec_lo, s21
.LBB373_3250:                           ;   in Loop: Header=BB373_2082 Depth=1
	s_delay_alu instid0(SALU_CYCLE_1) | instskip(SKIP_2) | instid1(VALU_DEP_1)
	s_or_b32 exec_lo, exec_lo, s19
	v_lshrrev_b32_e32 v6, 16, v11
	s_mov_b32 s19, exec_lo
	v_and_b32_e32 v2, 0xff, v6
	s_delay_alu instid0(VALU_DEP_1)
	v_cmpx_ne_u16_e32 0, v2
	s_cbranch_execz .LBB373_3258
; %bb.3251:                             ;   in Loop: Header=BB373_2082 Depth=1
	v_bfrev_b32_e32 v23, 1
	s_mov_b32 s21, exec_lo
	v_cmpx_ne_u16_e32 0x80, v2
	s_cbranch_execz .LBB373_3257
; %bb.3252:                             ;   in Loop: Header=BB373_2082 Depth=1
	v_bfe_u32 v34, v11, 16, 7
	v_mov_b32_e32 v23, 0x7fc02000
	s_mov_b32 s22, exec_lo
	s_delay_alu instid0(VALU_DEP_2)
	v_cmpx_ne_u32_e32 0x7f, v34
	s_cbranch_execz .LBB373_3256
; %bb.3253:                             ;   in Loop: Header=BB373_2082 Depth=1
	v_and_b32_e32 v2, 7, v6
	v_lshrrev_b32_e32 v23, 3, v34
	v_mov_b32_e32 v14, v3
	s_mov_b32 s23, exec_lo
	s_delay_alu instid0(VALU_DEP_3)
	v_mov_b32_e32 v13, v2
	v_cmpx_gt_u32_e32 8, v34
; %bb.3254:                             ;   in Loop: Header=BB373_2082 Depth=1
	v_clz_i32_u32_e32 v13, v2
	s_delay_alu instid0(VALU_DEP_1) | instskip(NEXT) | instid1(VALU_DEP_1)
	v_min_u32_e32 v23, 32, v13
	v_subrev_nc_u32_e32 v13, 28, v23
	v_sub_nc_u32_e32 v23, 29, v23
	s_delay_alu instid0(VALU_DEP_2) | instskip(NEXT) | instid1(VALU_DEP_1)
	v_lshlrev_b64 v[13:14], v13, v[2:3]
	v_and_b32_e32 v13, 7, v13
; %bb.3255:                             ;   in Loop: Header=BB373_2082 Depth=1
	s_or_b32 exec_lo, exec_lo, s23
	v_lshlrev_b32_e32 v2, 8, v6
	v_lshl_add_u32 v6, v23, 10, 0x2000
	s_delay_alu instid0(VALU_DEP_1) | instskip(NEXT) | instid1(VALU_DEP_1)
	v_and_or_b32 v2, 0x8000, v2, v6
	v_lshl_or_b32 v2, v13, 7, v2
	s_delay_alu instid0(VALU_DEP_1)
	v_cvt_f32_f16_e32 v23, v2
.LBB373_3256:                           ;   in Loop: Header=BB373_2082 Depth=1
	s_or_b32 exec_lo, exec_lo, s22
.LBB373_3257:                           ;   in Loop: Header=BB373_2082 Depth=1
	s_delay_alu instid0(SALU_CYCLE_1)
	s_or_b32 exec_lo, exec_lo, s21
.LBB373_3258:                           ;   in Loop: Header=BB373_2082 Depth=1
	s_delay_alu instid0(SALU_CYCLE_1)
	s_or_b32 exec_lo, exec_lo, s19
	v_dual_mov_b32 v34, 0 :: v_dual_mov_b32 v35, 0
	s_mov_b32 s19, exec_lo
	v_cmpx_lt_u32_e32 0xffffff, v11
	s_cbranch_execz .LBB373_3266
; %bb.3259:                             ;   in Loop: Header=BB373_2082 Depth=1
	v_lshrrev_b32_e32 v6, 24, v11
	v_bfrev_b32_e32 v35, 1
	s_mov_b32 s21, exec_lo
	s_delay_alu instid0(VALU_DEP_2)
	v_cmpx_ne_u32_e32 0x80, v6
	s_cbranch_execz .LBB373_3265
; %bb.3260:                             ;   in Loop: Header=BB373_2082 Depth=1
	v_and_b32_e32 v36, 0x7f, v6
	v_mov_b32_e32 v35, 0x7fc02000
	s_mov_b32 s22, exec_lo
	s_delay_alu instid0(VALU_DEP_2)
	v_cmpx_ne_u32_e32 0x7f, v36
	s_cbranch_execz .LBB373_3264
; %bb.3261:                             ;   in Loop: Header=BB373_2082 Depth=1
	v_and_b32_e32 v2, 7, v6
	v_lshrrev_b32_e32 v35, 3, v36
	v_mov_b32_e32 v14, v3
	s_mov_b32 s23, exec_lo
	s_delay_alu instid0(VALU_DEP_3)
	v_mov_b32_e32 v13, v2
	v_cmpx_gt_u32_e32 8, v36
; %bb.3262:                             ;   in Loop: Header=BB373_2082 Depth=1
	v_clz_i32_u32_e32 v13, v2
	s_delay_alu instid0(VALU_DEP_1) | instskip(NEXT) | instid1(VALU_DEP_1)
	v_min_u32_e32 v35, 32, v13
	v_subrev_nc_u32_e32 v13, 28, v35
	v_sub_nc_u32_e32 v35, 29, v35
	s_delay_alu instid0(VALU_DEP_2) | instskip(NEXT) | instid1(VALU_DEP_1)
	v_lshlrev_b64 v[13:14], v13, v[2:3]
	v_and_b32_e32 v13, 7, v13
; %bb.3263:                             ;   in Loop: Header=BB373_2082 Depth=1
	s_or_b32 exec_lo, exec_lo, s23
	v_lshlrev_b32_e32 v2, 8, v6
	v_lshl_add_u32 v6, v35, 10, 0x2000
	s_delay_alu instid0(VALU_DEP_1) | instskip(NEXT) | instid1(VALU_DEP_1)
	v_and_or_b32 v2, 0x8000, v2, v6
	v_lshl_or_b32 v2, v13, 7, v2
	s_delay_alu instid0(VALU_DEP_1)
	v_cvt_f32_f16_e32 v35, v2
.LBB373_3264:                           ;   in Loop: Header=BB373_2082 Depth=1
	s_or_b32 exec_lo, exec_lo, s22
.LBB373_3265:                           ;   in Loop: Header=BB373_2082 Depth=1
	s_delay_alu instid0(SALU_CYCLE_1)
	s_or_b32 exec_lo, exec_lo, s21
.LBB373_3266:                           ;   in Loop: Header=BB373_2082 Depth=1
	s_delay_alu instid0(SALU_CYCLE_1) | instskip(SKIP_3) | instid1(VALU_DEP_2)
	s_or_b32 exec_lo, exec_lo, s19
	v_and_b32_e32 v6, 0xff, v12
	v_mov_b32_e32 v2, v12
	s_mov_b32 s19, exec_lo
	v_cmpx_ne_u16_e32 0, v6
	s_cbranch_execz .LBB373_3274
; %bb.3267:                             ;   in Loop: Header=BB373_2082 Depth=1
	v_bfrev_b32_e32 v34, 1
	s_mov_b32 s21, exec_lo
	v_cmpx_ne_u16_e32 0x80, v6
	s_cbranch_execz .LBB373_3273
; %bb.3268:                             ;   in Loop: Header=BB373_2082 Depth=1
	v_and_b32_e32 v36, 0x7f, v12
	v_mov_b32_e32 v34, 0x7fc02000
	s_mov_b32 s22, exec_lo
	s_delay_alu instid0(VALU_DEP_2)
	v_cmpx_ne_u32_e32 0x7f, v36
	s_cbranch_execz .LBB373_3272
; %bb.3269:                             ;   in Loop: Header=BB373_2082 Depth=1
	v_dual_mov_b32 v14, v3 :: v_dual_mov_b32 v13, v2
	v_lshrrev_b32_e32 v6, 3, v36
	s_mov_b32 s23, exec_lo
	v_cmpx_gt_u32_e32 8, v36
; %bb.3270:                             ;   in Loop: Header=BB373_2082 Depth=1
	v_and_b32_e32 v6, 7, v12
	s_delay_alu instid0(VALU_DEP_1) | instskip(NEXT) | instid1(VALU_DEP_1)
	v_clz_i32_u32_e32 v6, v6
	v_min_u32_e32 v6, 32, v6
	s_delay_alu instid0(VALU_DEP_1) | instskip(SKIP_1) | instid1(VALU_DEP_2)
	v_subrev_nc_u32_e32 v13, 28, v6
	v_sub_nc_u32_e32 v6, 29, v6
	v_lshlrev_b64 v[13:14], v13, v[2:3]
; %bb.3271:                             ;   in Loop: Header=BB373_2082 Depth=1
	s_or_b32 exec_lo, exec_lo, s23
	v_lshlrev_b32_e32 v14, 8, v12
	s_delay_alu instid0(VALU_DEP_3) | instskip(NEXT) | instid1(VALU_DEP_3)
	v_lshl_add_u32 v6, v6, 10, 0x2000
	v_lshlrev_b32_e32 v13, 7, v13
	s_delay_alu instid0(VALU_DEP_2) | instskip(NEXT) | instid1(VALU_DEP_1)
	v_and_or_b32 v6, 0x8000, v14, v6
	v_and_or_b32 v6, 0x380, v13, v6
	s_delay_alu instid0(VALU_DEP_1)
	v_cvt_f32_f16_e32 v34, v6
.LBB373_3272:                           ;   in Loop: Header=BB373_2082 Depth=1
	s_or_b32 exec_lo, exec_lo, s22
.LBB373_3273:                           ;   in Loop: Header=BB373_2082 Depth=1
	s_delay_alu instid0(SALU_CYCLE_1)
	s_or_b32 exec_lo, exec_lo, s21
.LBB373_3274:                           ;   in Loop: Header=BB373_2082 Depth=1
	s_delay_alu instid0(SALU_CYCLE_1) | instskip(SKIP_3) | instid1(VALU_DEP_2)
	s_or_b32 exec_lo, exec_lo, s19
	v_lshrrev_b16 v2, 8, v2
	v_dual_mov_b32 v36, 0 :: v_dual_mov_b32 v37, 0
	s_mov_b32 s19, exec_lo
	v_cmpx_ne_u16_e32 0, v2
	s_cbranch_execz .LBB373_3282
; %bb.3275:                             ;   in Loop: Header=BB373_2082 Depth=1
	v_bfrev_b32_e32 v37, 1
	s_mov_b32 s21, exec_lo
	v_cmpx_ne_u16_e32 0x80, v2
	s_cbranch_execz .LBB373_3281
; %bb.3276:                             ;   in Loop: Header=BB373_2082 Depth=1
	v_and_b32_e32 v6, 0xffff, v2
	v_mov_b32_e32 v37, 0x7fc02000
	s_mov_b32 s22, exec_lo
	s_delay_alu instid0(VALU_DEP_2) | instskip(NEXT) | instid1(VALU_DEP_1)
	v_and_b32_e32 v46, 0x7f, v6
	v_cmpx_ne_u32_e32 0x7f, v46
	s_cbranch_execz .LBB373_3280
; %bb.3277:                             ;   in Loop: Header=BB373_2082 Depth=1
	v_and_b32_e32 v2, 7, v6
	v_lshrrev_b32_e32 v37, 3, v46
	v_mov_b32_e32 v14, v3
	s_mov_b32 s23, exec_lo
	s_delay_alu instid0(VALU_DEP_3)
	v_mov_b32_e32 v13, v2
	v_cmpx_gt_u32_e32 8, v46
; %bb.3278:                             ;   in Loop: Header=BB373_2082 Depth=1
	v_clz_i32_u32_e32 v13, v2
	s_delay_alu instid0(VALU_DEP_1) | instskip(NEXT) | instid1(VALU_DEP_1)
	v_min_u32_e32 v37, 32, v13
	v_subrev_nc_u32_e32 v13, 28, v37
	v_sub_nc_u32_e32 v37, 29, v37
	s_delay_alu instid0(VALU_DEP_2) | instskip(NEXT) | instid1(VALU_DEP_1)
	v_lshlrev_b64 v[13:14], v13, v[2:3]
	v_and_b32_e32 v13, 7, v13
; %bb.3279:                             ;   in Loop: Header=BB373_2082 Depth=1
	s_or_b32 exec_lo, exec_lo, s23
	v_lshlrev_b32_e32 v2, 8, v6
	v_lshl_add_u32 v6, v37, 10, 0x2000
	s_delay_alu instid0(VALU_DEP_1) | instskip(NEXT) | instid1(VALU_DEP_1)
	v_and_or_b32 v2, 0x8000, v2, v6
	v_lshl_or_b32 v2, v13, 7, v2
	s_delay_alu instid0(VALU_DEP_1)
	v_cvt_f32_f16_e32 v37, v2
.LBB373_3280:                           ;   in Loop: Header=BB373_2082 Depth=1
	s_or_b32 exec_lo, exec_lo, s22
.LBB373_3281:                           ;   in Loop: Header=BB373_2082 Depth=1
	s_delay_alu instid0(SALU_CYCLE_1)
	s_or_b32 exec_lo, exec_lo, s21
.LBB373_3282:                           ;   in Loop: Header=BB373_2082 Depth=1
	s_delay_alu instid0(SALU_CYCLE_1) | instskip(SKIP_2) | instid1(VALU_DEP_1)
	s_or_b32 exec_lo, exec_lo, s19
	v_lshrrev_b32_e32 v6, 16, v12
	s_mov_b32 s19, exec_lo
	v_and_b32_e32 v2, 0xff, v6
	s_delay_alu instid0(VALU_DEP_1)
	v_cmpx_ne_u16_e32 0, v2
	s_cbranch_execz .LBB373_3290
; %bb.3283:                             ;   in Loop: Header=BB373_2082 Depth=1
	v_bfrev_b32_e32 v36, 1
	s_mov_b32 s21, exec_lo
	v_cmpx_ne_u16_e32 0x80, v2
	s_cbranch_execz .LBB373_3289
; %bb.3284:                             ;   in Loop: Header=BB373_2082 Depth=1
	v_bfe_u32 v46, v12, 16, 7
	v_mov_b32_e32 v36, 0x7fc02000
	s_mov_b32 s22, exec_lo
	s_delay_alu instid0(VALU_DEP_2)
	v_cmpx_ne_u32_e32 0x7f, v46
	s_cbranch_execz .LBB373_3288
; %bb.3285:                             ;   in Loop: Header=BB373_2082 Depth=1
	v_and_b32_e32 v2, 7, v6
	v_lshrrev_b32_e32 v36, 3, v46
	v_mov_b32_e32 v14, v3
	s_mov_b32 s23, exec_lo
	s_delay_alu instid0(VALU_DEP_3)
	v_mov_b32_e32 v13, v2
	v_cmpx_gt_u32_e32 8, v46
; %bb.3286:                             ;   in Loop: Header=BB373_2082 Depth=1
	v_clz_i32_u32_e32 v13, v2
	s_delay_alu instid0(VALU_DEP_1) | instskip(NEXT) | instid1(VALU_DEP_1)
	v_min_u32_e32 v36, 32, v13
	v_subrev_nc_u32_e32 v13, 28, v36
	v_sub_nc_u32_e32 v36, 29, v36
	s_delay_alu instid0(VALU_DEP_2) | instskip(NEXT) | instid1(VALU_DEP_1)
	v_lshlrev_b64 v[13:14], v13, v[2:3]
	v_and_b32_e32 v13, 7, v13
; %bb.3287:                             ;   in Loop: Header=BB373_2082 Depth=1
	s_or_b32 exec_lo, exec_lo, s23
	v_lshlrev_b32_e32 v2, 8, v6
	v_lshl_add_u32 v6, v36, 10, 0x2000
	s_delay_alu instid0(VALU_DEP_1) | instskip(NEXT) | instid1(VALU_DEP_1)
	v_and_or_b32 v2, 0x8000, v2, v6
	v_lshl_or_b32 v2, v13, 7, v2
	s_delay_alu instid0(VALU_DEP_1)
	v_cvt_f32_f16_e32 v36, v2
.LBB373_3288:                           ;   in Loop: Header=BB373_2082 Depth=1
	s_or_b32 exec_lo, exec_lo, s22
.LBB373_3289:                           ;   in Loop: Header=BB373_2082 Depth=1
	s_delay_alu instid0(SALU_CYCLE_1)
	s_or_b32 exec_lo, exec_lo, s21
.LBB373_3290:                           ;   in Loop: Header=BB373_2082 Depth=1
	s_delay_alu instid0(SALU_CYCLE_1)
	s_or_b32 exec_lo, exec_lo, s19
	v_mov_b32_e32 v6, 0
	v_mov_b32_e32 v2, 0
	s_mov_b32 s19, exec_lo
	v_cmpx_lt_u64_e64 s[12:13], v[11:12]
	s_cbranch_execz .LBB373_3298
; %bb.3291:                             ;   in Loop: Header=BB373_2082 Depth=1
	v_lshrrev_b32_e32 v13, 24, v12
	v_bfrev_b32_e32 v2, 1
	s_mov_b32 s21, exec_lo
	s_delay_alu instid0(VALU_DEP_2)
	v_cmpx_ne_u32_e32 0x80, v13
	s_cbranch_execz .LBB373_3297
; %bb.3292:                             ;   in Loop: Header=BB373_2082 Depth=1
	v_and_b32_e32 v46, 0x7f, v13
	v_mov_b32_e32 v2, 0x7fc02000
	s_mov_b32 s22, exec_lo
	s_delay_alu instid0(VALU_DEP_2)
	v_cmpx_ne_u32_e32 0x7f, v46
	s_cbranch_execz .LBB373_3296
; %bb.3293:                             ;   in Loop: Header=BB373_2082 Depth=1
	v_and_b32_e32 v2, 7, v13
	v_lshrrev_b32_e32 v14, 3, v46
	v_mov_b32_e32 v12, v3
	s_mov_b32 s23, exec_lo
	s_delay_alu instid0(VALU_DEP_3)
	v_mov_b32_e32 v11, v2
	v_cmpx_gt_u32_e32 8, v46
; %bb.3294:                             ;   in Loop: Header=BB373_2082 Depth=1
	v_clz_i32_u32_e32 v11, v2
	s_delay_alu instid0(VALU_DEP_1) | instskip(NEXT) | instid1(VALU_DEP_1)
	v_min_u32_e32 v14, 32, v11
	v_subrev_nc_u32_e32 v11, 28, v14
	v_sub_nc_u32_e32 v14, 29, v14
	s_delay_alu instid0(VALU_DEP_2) | instskip(NEXT) | instid1(VALU_DEP_1)
	v_lshlrev_b64 v[11:12], v11, v[2:3]
	v_and_b32_e32 v11, 7, v11
; %bb.3295:                             ;   in Loop: Header=BB373_2082 Depth=1
	s_or_b32 exec_lo, exec_lo, s23
	v_lshlrev_b32_e32 v2, 8, v13
	v_lshl_add_u32 v12, v14, 10, 0x2000
	s_delay_alu instid0(VALU_DEP_1) | instskip(NEXT) | instid1(VALU_DEP_1)
	v_and_or_b32 v2, 0x8000, v2, v12
	v_lshl_or_b32 v2, v11, 7, v2
	s_delay_alu instid0(VALU_DEP_1)
	v_cvt_f32_f16_e32 v2, v2
.LBB373_3296:                           ;   in Loop: Header=BB373_2082 Depth=1
	s_or_b32 exec_lo, exec_lo, s22
.LBB373_3297:                           ;   in Loop: Header=BB373_2082 Depth=1
	s_delay_alu instid0(SALU_CYCLE_1)
	s_or_b32 exec_lo, exec_lo, s21
.LBB373_3298:                           ;   in Loop: Header=BB373_2082 Depth=1
	s_delay_alu instid0(SALU_CYCLE_1)
	s_or_b32 exec_lo, exec_lo, s19
	s_waitcnt vmcnt(0) lgkmcnt(0)
	v_fma_mixlo_f16 v11, v5, v35, 0
	v_fma_mixlo_f16 v12, v5, v23, 0
	;; [unrolled: 1-line block ×5, first 2 shown]
	v_lshlrev_b32_e32 v22, 16, v11
	v_fma_mixlo_f16 v23, v5, v34, 0
	v_and_b32_e32 v34, 0xffff, v12
	v_lshlrev_b32_e32 v35, 16, v13
	v_and_b32_e32 v37, 0xffff, v4
	v_cndmask_b32_e32 v4, 0, v4, vcc_lo
	v_fma_mixlo_f16 v2, v5, v2, 0
	v_fma_mixlo_f16 v5, v5, v36, 0
	v_cndmask_b32_e64 v13, 0, v13, s0
	v_lshlrev_b32_e32 v167, 16, v14
	v_and_b32_e32 v176, 0xffff, v23
	v_or_b32_e32 v22, v22, v34
	v_or_b32_e32 v34, v35, v37
	v_lshlrev_b32_e32 v36, 16, v2
	v_and_b32_e32 v37, 0xffff, v5
	v_cndmask_b32_e64 v12, 0, v12, s2
	v_cndmask_b32_e64 v11, 0, v11, s4
	;; [unrolled: 1-line block ×6, first 2 shown]
	v_perm_b32 v4, v13, v4, 0x5040100
	v_or_b32_e32 v35, v167, v176
	v_or_b32_e32 v36, v36, v37
	v_perm_b32 v11, v11, v12, 0x5040100
	v_perm_b32 v12, v14, v23, 0x5040100
	v_perm_b32 v2, v2, v5, 0x5040100
	v_cndmask_b32_e64 v4, v34, v4, s1
	;;#ASMSTART
	v_pk_mul_f16 v4, v130, v4;

	;;#ASMEND
	v_cndmask_b32_e64 v5, v22, v11, s1
	v_cndmask_b32_e64 v11, v35, v12, s1
	;; [unrolled: 1-line block ×3, first 2 shown]
	;;#ASMSTART
	v_pk_mul_f16 v5, v129, v5;

	;;#ASMEND
	;;#ASMSTART
	v_pk_mul_f16 v11, v128, v11;

	;;#ASMEND
	;; [unrolled: 4-line block ×3, first 2 shown]
	;;#ASMSTART
	v_pk_add_f16 v4, v4, v5;

	;;#ASMEND
	;;#ASMSTART
	v_pk_add_f16 v4, v4, v11;

	;;#ASMEND
	v_add_co_u32 v11, s8, v9, v98
	s_delay_alu instid0(VALU_DEP_1)
	v_add_co_ci_u32_e64 v12, s8, 0, v10, s8
	;;#ASMSTART
	v_pk_add_f16 v2, v4, v2;

	;;#ASMEND
	v_lshrrev_b32_e32 v5, 16, v2
	v_and_b32_e32 v2, 0xffff, v2
	;;#ASMSTART
	v_cvt_f32_f16 v4, v2;
	;;#ASMEND
	;;#ASMSTART
	v_cvt_f32_f16 v5, v5;
	;;#ASMEND
	flat_load_b64 v[11:12], v[11:12]
	flat_load_b32 v23, v[121:122]
	s_mov_b32 s19, exec_lo
	s_waitcnt vmcnt(1) lgkmcnt(1)
	v_and_b32_e32 v2, 0xff, v11
	s_delay_alu instid0(VALU_DEP_1)
	v_cmpx_ne_u16_e32 0, v2
	s_cbranch_execz .LBB373_3306
; %bb.3299:                             ;   in Loop: Header=BB373_2082 Depth=1
	v_bfrev_b32_e32 v6, 1
	s_mov_b32 s21, exec_lo
	v_cmpx_ne_u16_e32 0x80, v2
	s_cbranch_execz .LBB373_3305
; %bb.3300:                             ;   in Loop: Header=BB373_2082 Depth=1
	v_and_b32_e32 v13, 0x7f, v11
	v_mov_b32_e32 v6, 0x7fc02000
	s_mov_b32 s22, exec_lo
	s_delay_alu instid0(VALU_DEP_2)
	v_cmpx_ne_u32_e32 0x7f, v13
	s_cbranch_execz .LBB373_3304
; %bb.3301:                             ;   in Loop: Header=BB373_2082 Depth=1
	v_lshrrev_b32_e32 v2, 3, v13
	v_cmp_gt_u32_e64 s8, 8, v13
	v_dual_mov_b32 v14, v12 :: v_dual_mov_b32 v13, v11
	s_delay_alu instid0(VALU_DEP_2)
	s_and_saveexec_b32 s23, s8
; %bb.3302:                             ;   in Loop: Header=BB373_2082 Depth=1
	v_and_b32_e32 v2, 7, v11
	s_delay_alu instid0(VALU_DEP_1) | instskip(NEXT) | instid1(VALU_DEP_1)
	v_clz_i32_u32_e32 v2, v2
	v_min_u32_e32 v2, 32, v2
	s_delay_alu instid0(VALU_DEP_1) | instskip(SKIP_1) | instid1(VALU_DEP_2)
	v_subrev_nc_u32_e32 v6, 28, v2
	v_sub_nc_u32_e32 v2, 29, v2
	v_lshlrev_b64 v[13:14], v6, v[11:12]
; %bb.3303:                             ;   in Loop: Header=BB373_2082 Depth=1
	s_or_b32 exec_lo, exec_lo, s23
	v_lshlrev_b32_e32 v6, 8, v11
	s_delay_alu instid0(VALU_DEP_3) | instskip(NEXT) | instid1(VALU_DEP_3)
	v_lshl_add_u32 v2, v2, 10, 0x2000
	v_lshlrev_b32_e32 v13, 7, v13
	s_delay_alu instid0(VALU_DEP_2) | instskip(NEXT) | instid1(VALU_DEP_1)
	v_and_or_b32 v2, 0x8000, v6, v2
	v_and_or_b32 v2, 0x380, v13, v2
	s_delay_alu instid0(VALU_DEP_1)
	v_cvt_f32_f16_e32 v6, v2
.LBB373_3304:                           ;   in Loop: Header=BB373_2082 Depth=1
	s_or_b32 exec_lo, exec_lo, s22
.LBB373_3305:                           ;   in Loop: Header=BB373_2082 Depth=1
	s_delay_alu instid0(SALU_CYCLE_1)
	s_or_b32 exec_lo, exec_lo, s21
.LBB373_3306:                           ;   in Loop: Header=BB373_2082 Depth=1
	s_delay_alu instid0(SALU_CYCLE_1) | instskip(SKIP_3) | instid1(VALU_DEP_2)
	s_or_b32 exec_lo, exec_lo, s19
	v_lshrrev_b16 v2, 8, v11
	v_dual_mov_b32 v35, 0 :: v_dual_mov_b32 v34, 0
	s_mov_b32 s19, exec_lo
	v_cmpx_ne_u16_e32 0, v2
	s_cbranch_execz .LBB373_3314
; %bb.3307:                             ;   in Loop: Header=BB373_2082 Depth=1
	v_bfrev_b32_e32 v34, 1
	s_mov_b32 s21, exec_lo
	v_cmpx_ne_u16_e32 0x80, v2
	s_cbranch_execz .LBB373_3313
; %bb.3308:                             ;   in Loop: Header=BB373_2082 Depth=1
	v_and_b32_e32 v22, 0xffff, v2
	v_mov_b32_e32 v34, 0x7fc02000
	s_mov_b32 s22, exec_lo
	s_delay_alu instid0(VALU_DEP_2) | instskip(NEXT) | instid1(VALU_DEP_1)
	v_and_b32_e32 v36, 0x7f, v22
	v_cmpx_ne_u32_e32 0x7f, v36
	s_cbranch_execz .LBB373_3312
; %bb.3309:                             ;   in Loop: Header=BB373_2082 Depth=1
	v_and_b32_e32 v2, 7, v22
	v_lshrrev_b32_e32 v34, 3, v36
	v_mov_b32_e32 v14, v3
	s_mov_b32 s23, exec_lo
	s_delay_alu instid0(VALU_DEP_3)
	v_mov_b32_e32 v13, v2
	v_cmpx_gt_u32_e32 8, v36
; %bb.3310:                             ;   in Loop: Header=BB373_2082 Depth=1
	v_clz_i32_u32_e32 v13, v2
	s_delay_alu instid0(VALU_DEP_1) | instskip(NEXT) | instid1(VALU_DEP_1)
	v_min_u32_e32 v34, 32, v13
	v_subrev_nc_u32_e32 v13, 28, v34
	v_sub_nc_u32_e32 v34, 29, v34
	s_delay_alu instid0(VALU_DEP_2) | instskip(NEXT) | instid1(VALU_DEP_1)
	v_lshlrev_b64 v[13:14], v13, v[2:3]
	v_and_b32_e32 v13, 7, v13
; %bb.3311:                             ;   in Loop: Header=BB373_2082 Depth=1
	s_or_b32 exec_lo, exec_lo, s23
	v_lshlrev_b32_e32 v2, 8, v22
	v_lshl_add_u32 v14, v34, 10, 0x2000
	s_delay_alu instid0(VALU_DEP_1) | instskip(NEXT) | instid1(VALU_DEP_1)
	v_and_or_b32 v2, 0x8000, v2, v14
	v_lshl_or_b32 v2, v13, 7, v2
	s_delay_alu instid0(VALU_DEP_1)
	v_cvt_f32_f16_e32 v34, v2
.LBB373_3312:                           ;   in Loop: Header=BB373_2082 Depth=1
	s_or_b32 exec_lo, exec_lo, s22
.LBB373_3313:                           ;   in Loop: Header=BB373_2082 Depth=1
	s_delay_alu instid0(SALU_CYCLE_1)
	s_or_b32 exec_lo, exec_lo, s21
.LBB373_3314:                           ;   in Loop: Header=BB373_2082 Depth=1
	s_delay_alu instid0(SALU_CYCLE_1) | instskip(SKIP_2) | instid1(VALU_DEP_1)
	s_or_b32 exec_lo, exec_lo, s19
	v_lshrrev_b32_e32 v22, 16, v11
	s_mov_b32 s19, exec_lo
	v_and_b32_e32 v2, 0xff, v22
	s_delay_alu instid0(VALU_DEP_1)
	v_cmpx_ne_u16_e32 0, v2
	s_cbranch_execz .LBB373_3322
; %bb.3315:                             ;   in Loop: Header=BB373_2082 Depth=1
	v_bfrev_b32_e32 v35, 1
	s_mov_b32 s21, exec_lo
	v_cmpx_ne_u16_e32 0x80, v2
	s_cbranch_execz .LBB373_3321
; %bb.3316:                             ;   in Loop: Header=BB373_2082 Depth=1
	v_bfe_u32 v36, v11, 16, 7
	v_mov_b32_e32 v35, 0x7fc02000
	s_mov_b32 s22, exec_lo
	s_delay_alu instid0(VALU_DEP_2)
	v_cmpx_ne_u32_e32 0x7f, v36
	s_cbranch_execz .LBB373_3320
; %bb.3317:                             ;   in Loop: Header=BB373_2082 Depth=1
	v_and_b32_e32 v2, 7, v22
	v_lshrrev_b32_e32 v35, 3, v36
	v_mov_b32_e32 v14, v3
	s_mov_b32 s23, exec_lo
	s_delay_alu instid0(VALU_DEP_3)
	v_mov_b32_e32 v13, v2
	v_cmpx_gt_u32_e32 8, v36
; %bb.3318:                             ;   in Loop: Header=BB373_2082 Depth=1
	v_clz_i32_u32_e32 v13, v2
	s_delay_alu instid0(VALU_DEP_1) | instskip(NEXT) | instid1(VALU_DEP_1)
	v_min_u32_e32 v35, 32, v13
	v_subrev_nc_u32_e32 v13, 28, v35
	v_sub_nc_u32_e32 v35, 29, v35
	s_delay_alu instid0(VALU_DEP_2) | instskip(NEXT) | instid1(VALU_DEP_1)
	v_lshlrev_b64 v[13:14], v13, v[2:3]
	v_and_b32_e32 v13, 7, v13
; %bb.3319:                             ;   in Loop: Header=BB373_2082 Depth=1
	s_or_b32 exec_lo, exec_lo, s23
	v_lshlrev_b32_e32 v2, 8, v22
	v_lshl_add_u32 v14, v35, 10, 0x2000
	s_delay_alu instid0(VALU_DEP_1) | instskip(NEXT) | instid1(VALU_DEP_1)
	v_and_or_b32 v2, 0x8000, v2, v14
	v_lshl_or_b32 v2, v13, 7, v2
	s_delay_alu instid0(VALU_DEP_1)
	v_cvt_f32_f16_e32 v35, v2
.LBB373_3320:                           ;   in Loop: Header=BB373_2082 Depth=1
	s_or_b32 exec_lo, exec_lo, s22
.LBB373_3321:                           ;   in Loop: Header=BB373_2082 Depth=1
	s_delay_alu instid0(SALU_CYCLE_1)
	s_or_b32 exec_lo, exec_lo, s21
.LBB373_3322:                           ;   in Loop: Header=BB373_2082 Depth=1
	s_delay_alu instid0(SALU_CYCLE_1)
	s_or_b32 exec_lo, exec_lo, s19
	v_dual_mov_b32 v36, 0 :: v_dual_mov_b32 v37, 0
	s_mov_b32 s19, exec_lo
	v_cmpx_lt_u32_e32 0xffffff, v11
	s_cbranch_execz .LBB373_3330
; %bb.3323:                             ;   in Loop: Header=BB373_2082 Depth=1
	v_lshrrev_b32_e32 v22, 24, v11
	v_bfrev_b32_e32 v37, 1
	s_mov_b32 s21, exec_lo
	s_delay_alu instid0(VALU_DEP_2)
	v_cmpx_ne_u32_e32 0x80, v22
	s_cbranch_execz .LBB373_3329
; %bb.3324:                             ;   in Loop: Header=BB373_2082 Depth=1
	v_and_b32_e32 v46, 0x7f, v22
	v_mov_b32_e32 v37, 0x7fc02000
	s_mov_b32 s22, exec_lo
	s_delay_alu instid0(VALU_DEP_2)
	v_cmpx_ne_u32_e32 0x7f, v46
	s_cbranch_execz .LBB373_3328
; %bb.3325:                             ;   in Loop: Header=BB373_2082 Depth=1
	v_and_b32_e32 v2, 7, v22
	v_lshrrev_b32_e32 v37, 3, v46
	v_mov_b32_e32 v14, v3
	s_mov_b32 s23, exec_lo
	s_delay_alu instid0(VALU_DEP_3)
	v_mov_b32_e32 v13, v2
	v_cmpx_gt_u32_e32 8, v46
; %bb.3326:                             ;   in Loop: Header=BB373_2082 Depth=1
	v_clz_i32_u32_e32 v13, v2
	s_delay_alu instid0(VALU_DEP_1) | instskip(NEXT) | instid1(VALU_DEP_1)
	v_min_u32_e32 v37, 32, v13
	v_subrev_nc_u32_e32 v13, 28, v37
	v_sub_nc_u32_e32 v37, 29, v37
	s_delay_alu instid0(VALU_DEP_2) | instskip(NEXT) | instid1(VALU_DEP_1)
	v_lshlrev_b64 v[13:14], v13, v[2:3]
	v_and_b32_e32 v13, 7, v13
; %bb.3327:                             ;   in Loop: Header=BB373_2082 Depth=1
	s_or_b32 exec_lo, exec_lo, s23
	v_lshlrev_b32_e32 v2, 8, v22
	v_lshl_add_u32 v14, v37, 10, 0x2000
	s_delay_alu instid0(VALU_DEP_1) | instskip(NEXT) | instid1(VALU_DEP_1)
	v_and_or_b32 v2, 0x8000, v2, v14
	v_lshl_or_b32 v2, v13, 7, v2
	s_delay_alu instid0(VALU_DEP_1)
	v_cvt_f32_f16_e32 v37, v2
.LBB373_3328:                           ;   in Loop: Header=BB373_2082 Depth=1
	s_or_b32 exec_lo, exec_lo, s22
.LBB373_3329:                           ;   in Loop: Header=BB373_2082 Depth=1
	s_delay_alu instid0(SALU_CYCLE_1)
	s_or_b32 exec_lo, exec_lo, s21
.LBB373_3330:                           ;   in Loop: Header=BB373_2082 Depth=1
	s_delay_alu instid0(SALU_CYCLE_1) | instskip(SKIP_2) | instid1(VALU_DEP_1)
	s_or_b32 exec_lo, exec_lo, s19
	v_dual_mov_b32 v2, v12 :: v_dual_and_b32 v13, 0xff, v12
	s_mov_b32 s19, exec_lo
	v_cmpx_ne_u16_e32 0, v13
	s_cbranch_execz .LBB373_3338
; %bb.3331:                             ;   in Loop: Header=BB373_2082 Depth=1
	v_bfrev_b32_e32 v36, 1
	s_mov_b32 s21, exec_lo
	v_cmpx_ne_u16_e32 0x80, v13
	s_cbranch_execz .LBB373_3337
; %bb.3332:                             ;   in Loop: Header=BB373_2082 Depth=1
	v_and_b32_e32 v22, 0x7f, v12
	v_mov_b32_e32 v36, 0x7fc02000
	s_mov_b32 s22, exec_lo
	s_delay_alu instid0(VALU_DEP_2)
	v_cmpx_ne_u32_e32 0x7f, v22
	s_cbranch_execz .LBB373_3336
; %bb.3333:                             ;   in Loop: Header=BB373_2082 Depth=1
	v_dual_mov_b32 v14, v3 :: v_dual_mov_b32 v13, v2
	v_lshrrev_b32_e32 v14, 3, v22
	s_mov_b32 s23, exec_lo
	v_cmpx_gt_u32_e32 8, v22
; %bb.3334:                             ;   in Loop: Header=BB373_2082 Depth=1
	v_and_b32_e32 v13, 7, v12
	s_delay_alu instid0(VALU_DEP_1) | instskip(NEXT) | instid1(VALU_DEP_1)
	v_clz_i32_u32_e32 v13, v13
	v_min_u32_e32 v22, 32, v13
	s_delay_alu instid0(VALU_DEP_1) | instskip(NEXT) | instid1(VALU_DEP_1)
	v_subrev_nc_u32_e32 v13, 28, v22
	v_lshlrev_b64 v[13:14], v13, v[2:3]
	v_sub_nc_u32_e32 v14, 29, v22
; %bb.3335:                             ;   in Loop: Header=BB373_2082 Depth=1
	s_or_b32 exec_lo, exec_lo, s23
	v_lshlrev_b32_e32 v22, 8, v12
	s_delay_alu instid0(VALU_DEP_2) | instskip(NEXT) | instid1(VALU_DEP_4)
	v_lshl_add_u32 v14, v14, 10, 0x2000
	v_lshlrev_b32_e32 v13, 7, v13
	s_delay_alu instid0(VALU_DEP_2) | instskip(NEXT) | instid1(VALU_DEP_1)
	v_and_or_b32 v14, 0x8000, v22, v14
	v_and_or_b32 v13, 0x380, v13, v14
	s_delay_alu instid0(VALU_DEP_1)
	v_cvt_f32_f16_e32 v36, v13
.LBB373_3336:                           ;   in Loop: Header=BB373_2082 Depth=1
	s_or_b32 exec_lo, exec_lo, s22
.LBB373_3337:                           ;   in Loop: Header=BB373_2082 Depth=1
	s_delay_alu instid0(SALU_CYCLE_1)
	s_or_b32 exec_lo, exec_lo, s21
.LBB373_3338:                           ;   in Loop: Header=BB373_2082 Depth=1
	s_delay_alu instid0(SALU_CYCLE_1) | instskip(SKIP_3) | instid1(VALU_DEP_2)
	s_or_b32 exec_lo, exec_lo, s19
	v_lshrrev_b16 v2, 8, v2
	v_dual_mov_b32 v46, 0 :: v_dual_mov_b32 v47, 0
	s_mov_b32 s19, exec_lo
	v_cmpx_ne_u16_e32 0, v2
	s_cbranch_execz .LBB373_3346
; %bb.3339:                             ;   in Loop: Header=BB373_2082 Depth=1
	v_bfrev_b32_e32 v47, 1
	s_mov_b32 s21, exec_lo
	v_cmpx_ne_u16_e32 0x80, v2
	s_cbranch_execz .LBB373_3345
; %bb.3340:                             ;   in Loop: Header=BB373_2082 Depth=1
	v_and_b32_e32 v22, 0xffff, v2
	v_mov_b32_e32 v47, 0x7fc02000
	s_mov_b32 s22, exec_lo
	s_delay_alu instid0(VALU_DEP_2) | instskip(NEXT) | instid1(VALU_DEP_1)
	v_and_b32_e32 v56, 0x7f, v22
	v_cmpx_ne_u32_e32 0x7f, v56
	s_cbranch_execz .LBB373_3344
; %bb.3341:                             ;   in Loop: Header=BB373_2082 Depth=1
	v_and_b32_e32 v2, 7, v22
	v_lshrrev_b32_e32 v47, 3, v56
	v_mov_b32_e32 v14, v3
	s_mov_b32 s23, exec_lo
	s_delay_alu instid0(VALU_DEP_3)
	v_mov_b32_e32 v13, v2
	v_cmpx_gt_u32_e32 8, v56
; %bb.3342:                             ;   in Loop: Header=BB373_2082 Depth=1
	v_clz_i32_u32_e32 v13, v2
	s_delay_alu instid0(VALU_DEP_1) | instskip(NEXT) | instid1(VALU_DEP_1)
	v_min_u32_e32 v167, 32, v13
	v_subrev_nc_u32_e32 v13, 28, v167
	v_sub_nc_u32_e32 v47, 29, v167
	s_delay_alu instid0(VALU_DEP_2) | instskip(NEXT) | instid1(VALU_DEP_1)
	v_lshlrev_b64 v[13:14], v13, v[2:3]
	v_and_b32_e32 v13, 7, v13
; %bb.3343:                             ;   in Loop: Header=BB373_2082 Depth=1
	s_or_b32 exec_lo, exec_lo, s23
	v_lshlrev_b32_e32 v2, 8, v22
	v_lshl_add_u32 v14, v47, 10, 0x2000
	s_delay_alu instid0(VALU_DEP_1) | instskip(NEXT) | instid1(VALU_DEP_1)
	v_and_or_b32 v2, 0x8000, v2, v14
	v_lshl_or_b32 v2, v13, 7, v2
	s_delay_alu instid0(VALU_DEP_1)
	v_cvt_f32_f16_e32 v47, v2
.LBB373_3344:                           ;   in Loop: Header=BB373_2082 Depth=1
	s_or_b32 exec_lo, exec_lo, s22
.LBB373_3345:                           ;   in Loop: Header=BB373_2082 Depth=1
	s_delay_alu instid0(SALU_CYCLE_1)
	s_or_b32 exec_lo, exec_lo, s21
.LBB373_3346:                           ;   in Loop: Header=BB373_2082 Depth=1
	s_delay_alu instid0(SALU_CYCLE_1) | instskip(SKIP_2) | instid1(VALU_DEP_1)
	s_or_b32 exec_lo, exec_lo, s19
	v_lshrrev_b32_e32 v22, 16, v12
	s_mov_b32 s19, exec_lo
	v_and_b32_e32 v2, 0xff, v22
	s_delay_alu instid0(VALU_DEP_1)
	v_cmpx_ne_u16_e32 0, v2
	s_cbranch_execz .LBB373_3354
; %bb.3347:                             ;   in Loop: Header=BB373_2082 Depth=1
	v_bfrev_b32_e32 v46, 1
	s_mov_b32 s21, exec_lo
	v_cmpx_ne_u16_e32 0x80, v2
	s_cbranch_execz .LBB373_3353
; %bb.3348:                             ;   in Loop: Header=BB373_2082 Depth=1
	v_bfe_u32 v56, v12, 16, 7
	v_mov_b32_e32 v46, 0x7fc02000
	s_mov_b32 s22, exec_lo
	s_delay_alu instid0(VALU_DEP_2)
	v_cmpx_ne_u32_e32 0x7f, v56
	s_cbranch_execz .LBB373_3352
; %bb.3349:                             ;   in Loop: Header=BB373_2082 Depth=1
	v_and_b32_e32 v2, 7, v22
	v_lshrrev_b32_e32 v46, 3, v56
	v_mov_b32_e32 v14, v3
	s_mov_b32 s23, exec_lo
	s_delay_alu instid0(VALU_DEP_3)
	v_mov_b32_e32 v13, v2
	v_cmpx_gt_u32_e32 8, v56
; %bb.3350:                             ;   in Loop: Header=BB373_2082 Depth=1
	v_clz_i32_u32_e32 v13, v2
	s_delay_alu instid0(VALU_DEP_1) | instskip(NEXT) | instid1(VALU_DEP_1)
	v_min_u32_e32 v167, 32, v13
	v_subrev_nc_u32_e32 v13, 28, v167
	v_sub_nc_u32_e32 v46, 29, v167
	s_delay_alu instid0(VALU_DEP_2) | instskip(NEXT) | instid1(VALU_DEP_1)
	v_lshlrev_b64 v[13:14], v13, v[2:3]
	v_and_b32_e32 v13, 7, v13
; %bb.3351:                             ;   in Loop: Header=BB373_2082 Depth=1
	s_or_b32 exec_lo, exec_lo, s23
	v_lshlrev_b32_e32 v2, 8, v22
	v_lshl_add_u32 v14, v46, 10, 0x2000
	s_delay_alu instid0(VALU_DEP_1) | instskip(NEXT) | instid1(VALU_DEP_1)
	v_and_or_b32 v2, 0x8000, v2, v14
	v_lshl_or_b32 v2, v13, 7, v2
	s_delay_alu instid0(VALU_DEP_1)
	v_cvt_f32_f16_e32 v46, v2
.LBB373_3352:                           ;   in Loop: Header=BB373_2082 Depth=1
	s_or_b32 exec_lo, exec_lo, s22
.LBB373_3353:                           ;   in Loop: Header=BB373_2082 Depth=1
	s_delay_alu instid0(SALU_CYCLE_1)
	s_or_b32 exec_lo, exec_lo, s21
.LBB373_3354:                           ;   in Loop: Header=BB373_2082 Depth=1
	s_delay_alu instid0(SALU_CYCLE_1)
	s_or_b32 exec_lo, exec_lo, s19
	v_mov_b32_e32 v22, 0
	v_mov_b32_e32 v2, 0
	s_mov_b32 s19, exec_lo
	v_cmpx_lt_u64_e64 s[12:13], v[11:12]
	s_cbranch_execz .LBB373_3362
; %bb.3355:                             ;   in Loop: Header=BB373_2082 Depth=1
	v_lshrrev_b32_e32 v13, 24, v12
	v_bfrev_b32_e32 v2, 1
	s_mov_b32 s21, exec_lo
	s_delay_alu instid0(VALU_DEP_2)
	v_cmpx_ne_u32_e32 0x80, v13
	s_cbranch_execz .LBB373_3361
; %bb.3356:                             ;   in Loop: Header=BB373_2082 Depth=1
	v_and_b32_e32 v56, 0x7f, v13
	v_mov_b32_e32 v2, 0x7fc02000
	s_mov_b32 s22, exec_lo
	s_delay_alu instid0(VALU_DEP_2)
	v_cmpx_ne_u32_e32 0x7f, v56
	s_cbranch_execz .LBB373_3360
; %bb.3357:                             ;   in Loop: Header=BB373_2082 Depth=1
	v_and_b32_e32 v2, 7, v13
	v_lshrrev_b32_e32 v14, 3, v56
	v_mov_b32_e32 v12, v3
	s_mov_b32 s23, exec_lo
	s_delay_alu instid0(VALU_DEP_3)
	v_mov_b32_e32 v11, v2
	v_cmpx_gt_u32_e32 8, v56
; %bb.3358:                             ;   in Loop: Header=BB373_2082 Depth=1
	v_clz_i32_u32_e32 v11, v2
	s_delay_alu instid0(VALU_DEP_1) | instskip(NEXT) | instid1(VALU_DEP_1)
	v_min_u32_e32 v14, 32, v11
	v_subrev_nc_u32_e32 v11, 28, v14
	v_sub_nc_u32_e32 v14, 29, v14
	s_delay_alu instid0(VALU_DEP_2) | instskip(NEXT) | instid1(VALU_DEP_1)
	v_lshlrev_b64 v[11:12], v11, v[2:3]
	v_and_b32_e32 v11, 7, v11
; %bb.3359:                             ;   in Loop: Header=BB373_2082 Depth=1
	s_or_b32 exec_lo, exec_lo, s23
	v_lshlrev_b32_e32 v2, 8, v13
	v_lshl_add_u32 v12, v14, 10, 0x2000
	s_delay_alu instid0(VALU_DEP_1) | instskip(NEXT) | instid1(VALU_DEP_1)
	v_and_or_b32 v2, 0x8000, v2, v12
	v_lshl_or_b32 v2, v11, 7, v2
	s_delay_alu instid0(VALU_DEP_1)
	v_cvt_f32_f16_e32 v2, v2
.LBB373_3360:                           ;   in Loop: Header=BB373_2082 Depth=1
	s_or_b32 exec_lo, exec_lo, s22
.LBB373_3361:                           ;   in Loop: Header=BB373_2082 Depth=1
	s_delay_alu instid0(SALU_CYCLE_1)
	s_or_b32 exec_lo, exec_lo, s21
.LBB373_3362:                           ;   in Loop: Header=BB373_2082 Depth=1
	s_delay_alu instid0(SALU_CYCLE_1)
	s_or_b32 exec_lo, exec_lo, s19
	s_waitcnt vmcnt(0) lgkmcnt(0)
	v_fma_mixlo_f16 v11, v23, v37, 0
	v_fma_mixlo_f16 v12, v23, v35, 0
	;; [unrolled: 1-line block ×6, first 2 shown]
	v_lshlrev_b32_e32 v34, 16, v11
	v_and_b32_e32 v36, 0xffff, v12
	v_lshlrev_b32_e32 v37, 16, v13
	v_and_b32_e32 v167, 0xffff, v6
	v_cndmask_b32_e32 v6, 0, v6, vcc_lo
	v_lshlrev_b32_e32 v176, 16, v14
	v_and_b32_e32 v47, 0xffff, v35
	v_fma_mixlo_f16 v2, v23, v2, 0
	v_fma_mixlo_f16 v23, v23, v46, 0
	v_cndmask_b32_e64 v13, 0, v13, s0
	v_cndmask_b32_e64 v12, 0, v12, s2
	v_cndmask_b32_e64 v11, 0, v11, s4
	v_or_b32_e32 v34, v34, v36
	v_or_b32_e32 v36, v37, v167
	;; [unrolled: 1-line block ×3, first 2 shown]
	v_lshlrev_b32_e32 v167, 16, v2
	v_and_b32_e32 v176, 0xffff, v23
	v_cndmask_b32_e64 v35, 0, v35, s6
	v_cndmask_b32_e64 v14, 0, v14, s7
	;; [unrolled: 1-line block ×4, first 2 shown]
	v_perm_b32 v6, v13, v6, 0x5040100
	v_perm_b32 v11, v11, v12, 0x5040100
	v_or_b32_e32 v167, v167, v176
	v_perm_b32 v12, v14, v35, 0x5040100
	v_perm_b32 v2, v2, v23, 0x5040100
	v_cndmask_b32_e64 v6, v36, v6, s1
	v_cndmask_b32_e64 v11, v34, v11, s1
	;;#ASMSTART
	v_pk_mul_f16 v6, v130, v6;

	;;#ASMEND
	v_cndmask_b32_e64 v12, v37, v12, s1
	v_cndmask_b32_e64 v2, v167, v2, s1
	;;#ASMSTART
	v_pk_mul_f16 v11, v129, v11;

	;;#ASMEND
	;;#ASMSTART
	v_pk_mul_f16 v12, v128, v12;

	;;#ASMEND
	;; [unrolled: 4-line block ×3, first 2 shown]
	;;#ASMSTART
	v_pk_add_f16 v6, v6, v11;

	;;#ASMEND
	v_add_co_u32 v11, s8, v9, v99
	;;#ASMSTART
	v_pk_add_f16 v6, v6, v12;

	;;#ASMEND
	v_add_co_ci_u32_e64 v12, s8, 0, v10, s8
	;;#ASMSTART
	v_pk_add_f16 v2, v6, v2;

	;;#ASMEND
	v_lshrrev_b32_e32 v6, 16, v2
	v_and_b32_e32 v2, 0xffff, v2
	;;#ASMSTART
	v_cvt_f32_f16 v35, v2;
	;;#ASMEND
	;;#ASMSTART
	v_cvt_f32_f16 v36, v6;
	;;#ASMEND
	flat_load_b64 v[11:12], v[11:12]
	flat_load_b32 v23, v[121:122]
	s_mov_b32 s19, exec_lo
	s_waitcnt vmcnt(1) lgkmcnt(1)
	v_and_b32_e32 v2, 0xff, v11
	s_delay_alu instid0(VALU_DEP_1)
	v_cmpx_ne_u16_e32 0, v2
	s_cbranch_execz .LBB373_3370
; %bb.3363:                             ;   in Loop: Header=BB373_2082 Depth=1
	v_bfrev_b32_e32 v22, 1
	s_mov_b32 s21, exec_lo
	v_cmpx_ne_u16_e32 0x80, v2
	s_cbranch_execz .LBB373_3369
; %bb.3364:                             ;   in Loop: Header=BB373_2082 Depth=1
	v_and_b32_e32 v6, 0x7f, v11
	v_mov_b32_e32 v22, 0x7fc02000
	s_mov_b32 s22, exec_lo
	s_delay_alu instid0(VALU_DEP_2)
	v_cmpx_ne_u32_e32 0x7f, v6
	s_cbranch_execz .LBB373_3368
; %bb.3365:                             ;   in Loop: Header=BB373_2082 Depth=1
	v_lshrrev_b32_e32 v2, 3, v6
	v_dual_mov_b32 v14, v12 :: v_dual_mov_b32 v13, v11
	s_mov_b32 s23, exec_lo
	v_cmpx_gt_u32_e32 8, v6
; %bb.3366:                             ;   in Loop: Header=BB373_2082 Depth=1
	v_and_b32_e32 v2, 7, v11
	s_delay_alu instid0(VALU_DEP_1) | instskip(NEXT) | instid1(VALU_DEP_1)
	v_clz_i32_u32_e32 v2, v2
	v_min_u32_e32 v2, 32, v2
	s_delay_alu instid0(VALU_DEP_1) | instskip(SKIP_1) | instid1(VALU_DEP_2)
	v_subrev_nc_u32_e32 v6, 28, v2
	v_sub_nc_u32_e32 v2, 29, v2
	v_lshlrev_b64 v[13:14], v6, v[11:12]
; %bb.3367:                             ;   in Loop: Header=BB373_2082 Depth=1
	s_or_b32 exec_lo, exec_lo, s23
	v_lshlrev_b32_e32 v6, 8, v11
	s_delay_alu instid0(VALU_DEP_3) | instskip(NEXT) | instid1(VALU_DEP_3)
	v_lshl_add_u32 v2, v2, 10, 0x2000
	v_lshlrev_b32_e32 v13, 7, v13
	s_delay_alu instid0(VALU_DEP_2) | instskip(NEXT) | instid1(VALU_DEP_1)
	v_and_or_b32 v2, 0x8000, v6, v2
	v_and_or_b32 v2, 0x380, v13, v2
	s_delay_alu instid0(VALU_DEP_1)
	v_cvt_f32_f16_e32 v22, v2
.LBB373_3368:                           ;   in Loop: Header=BB373_2082 Depth=1
	s_or_b32 exec_lo, exec_lo, s22
.LBB373_3369:                           ;   in Loop: Header=BB373_2082 Depth=1
	s_delay_alu instid0(SALU_CYCLE_1)
	s_or_b32 exec_lo, exec_lo, s21
.LBB373_3370:                           ;   in Loop: Header=BB373_2082 Depth=1
	s_delay_alu instid0(SALU_CYCLE_1) | instskip(SKIP_3) | instid1(VALU_DEP_2)
	s_or_b32 exec_lo, exec_lo, s19
	v_lshrrev_b16 v2, 8, v11
	v_dual_mov_b32 v37, 0 :: v_dual_mov_b32 v34, 0
	s_mov_b32 s19, exec_lo
	v_cmpx_ne_u16_e32 0, v2
	s_cbranch_execz .LBB373_3378
; %bb.3371:                             ;   in Loop: Header=BB373_2082 Depth=1
	v_bfrev_b32_e32 v34, 1
	s_mov_b32 s21, exec_lo
	v_cmpx_ne_u16_e32 0x80, v2
	s_cbranch_execz .LBB373_3377
; %bb.3372:                             ;   in Loop: Header=BB373_2082 Depth=1
	v_and_b32_e32 v6, 0xffff, v2
	v_mov_b32_e32 v34, 0x7fc02000
	s_mov_b32 s22, exec_lo
	s_delay_alu instid0(VALU_DEP_2) | instskip(NEXT) | instid1(VALU_DEP_1)
	v_and_b32_e32 v46, 0x7f, v6
	v_cmpx_ne_u32_e32 0x7f, v46
	s_cbranch_execz .LBB373_3376
; %bb.3373:                             ;   in Loop: Header=BB373_2082 Depth=1
	v_and_b32_e32 v2, 7, v6
	v_lshrrev_b32_e32 v34, 3, v46
	v_mov_b32_e32 v14, v3
	s_mov_b32 s23, exec_lo
	s_delay_alu instid0(VALU_DEP_3)
	v_mov_b32_e32 v13, v2
	v_cmpx_gt_u32_e32 8, v46
; %bb.3374:                             ;   in Loop: Header=BB373_2082 Depth=1
	v_clz_i32_u32_e32 v13, v2
	s_delay_alu instid0(VALU_DEP_1) | instskip(NEXT) | instid1(VALU_DEP_1)
	v_min_u32_e32 v34, 32, v13
	v_subrev_nc_u32_e32 v13, 28, v34
	v_sub_nc_u32_e32 v34, 29, v34
	s_delay_alu instid0(VALU_DEP_2) | instskip(NEXT) | instid1(VALU_DEP_1)
	v_lshlrev_b64 v[13:14], v13, v[2:3]
	v_and_b32_e32 v13, 7, v13
; %bb.3375:                             ;   in Loop: Header=BB373_2082 Depth=1
	s_or_b32 exec_lo, exec_lo, s23
	v_lshlrev_b32_e32 v2, 8, v6
	v_lshl_add_u32 v6, v34, 10, 0x2000
	s_delay_alu instid0(VALU_DEP_1) | instskip(NEXT) | instid1(VALU_DEP_1)
	v_and_or_b32 v2, 0x8000, v2, v6
	v_lshl_or_b32 v2, v13, 7, v2
	s_delay_alu instid0(VALU_DEP_1)
	v_cvt_f32_f16_e32 v34, v2
.LBB373_3376:                           ;   in Loop: Header=BB373_2082 Depth=1
	s_or_b32 exec_lo, exec_lo, s22
.LBB373_3377:                           ;   in Loop: Header=BB373_2082 Depth=1
	s_delay_alu instid0(SALU_CYCLE_1)
	s_or_b32 exec_lo, exec_lo, s21
.LBB373_3378:                           ;   in Loop: Header=BB373_2082 Depth=1
	s_delay_alu instid0(SALU_CYCLE_1) | instskip(SKIP_2) | instid1(VALU_DEP_1)
	s_or_b32 exec_lo, exec_lo, s19
	v_lshrrev_b32_e32 v6, 16, v11
	s_mov_b32 s19, exec_lo
	v_and_b32_e32 v2, 0xff, v6
	s_delay_alu instid0(VALU_DEP_1)
	v_cmpx_ne_u16_e32 0, v2
	s_cbranch_execz .LBB373_3386
; %bb.3379:                             ;   in Loop: Header=BB373_2082 Depth=1
	v_bfrev_b32_e32 v37, 1
	s_mov_b32 s21, exec_lo
	v_cmpx_ne_u16_e32 0x80, v2
	s_cbranch_execz .LBB373_3385
; %bb.3380:                             ;   in Loop: Header=BB373_2082 Depth=1
	v_bfe_u32 v46, v11, 16, 7
	v_mov_b32_e32 v37, 0x7fc02000
	s_mov_b32 s22, exec_lo
	s_delay_alu instid0(VALU_DEP_2)
	v_cmpx_ne_u32_e32 0x7f, v46
	s_cbranch_execz .LBB373_3384
; %bb.3381:                             ;   in Loop: Header=BB373_2082 Depth=1
	v_and_b32_e32 v2, 7, v6
	v_lshrrev_b32_e32 v37, 3, v46
	v_mov_b32_e32 v14, v3
	s_mov_b32 s23, exec_lo
	s_delay_alu instid0(VALU_DEP_3)
	v_mov_b32_e32 v13, v2
	v_cmpx_gt_u32_e32 8, v46
; %bb.3382:                             ;   in Loop: Header=BB373_2082 Depth=1
	v_clz_i32_u32_e32 v13, v2
	s_delay_alu instid0(VALU_DEP_1) | instskip(NEXT) | instid1(VALU_DEP_1)
	v_min_u32_e32 v37, 32, v13
	v_subrev_nc_u32_e32 v13, 28, v37
	v_sub_nc_u32_e32 v37, 29, v37
	s_delay_alu instid0(VALU_DEP_2) | instskip(NEXT) | instid1(VALU_DEP_1)
	v_lshlrev_b64 v[13:14], v13, v[2:3]
	v_and_b32_e32 v13, 7, v13
; %bb.3383:                             ;   in Loop: Header=BB373_2082 Depth=1
	s_or_b32 exec_lo, exec_lo, s23
	v_lshlrev_b32_e32 v2, 8, v6
	v_lshl_add_u32 v6, v37, 10, 0x2000
	s_delay_alu instid0(VALU_DEP_1) | instskip(NEXT) | instid1(VALU_DEP_1)
	v_and_or_b32 v2, 0x8000, v2, v6
	v_lshl_or_b32 v2, v13, 7, v2
	s_delay_alu instid0(VALU_DEP_1)
	v_cvt_f32_f16_e32 v37, v2
.LBB373_3384:                           ;   in Loop: Header=BB373_2082 Depth=1
	s_or_b32 exec_lo, exec_lo, s22
.LBB373_3385:                           ;   in Loop: Header=BB373_2082 Depth=1
	s_delay_alu instid0(SALU_CYCLE_1)
	s_or_b32 exec_lo, exec_lo, s21
.LBB373_3386:                           ;   in Loop: Header=BB373_2082 Depth=1
	s_delay_alu instid0(SALU_CYCLE_1)
	s_or_b32 exec_lo, exec_lo, s19
	v_dual_mov_b32 v46, 0 :: v_dual_mov_b32 v47, 0
	s_mov_b32 s19, exec_lo
	v_cmpx_lt_u32_e32 0xffffff, v11
	s_cbranch_execz .LBB373_3394
; %bb.3387:                             ;   in Loop: Header=BB373_2082 Depth=1
	v_lshrrev_b32_e32 v6, 24, v11
	v_bfrev_b32_e32 v47, 1
	s_mov_b32 s21, exec_lo
	s_delay_alu instid0(VALU_DEP_2)
	v_cmpx_ne_u32_e32 0x80, v6
	s_cbranch_execz .LBB373_3393
; %bb.3388:                             ;   in Loop: Header=BB373_2082 Depth=1
	v_and_b32_e32 v56, 0x7f, v6
	v_mov_b32_e32 v47, 0x7fc02000
	s_mov_b32 s22, exec_lo
	s_delay_alu instid0(VALU_DEP_2)
	v_cmpx_ne_u32_e32 0x7f, v56
	s_cbranch_execz .LBB373_3392
; %bb.3389:                             ;   in Loop: Header=BB373_2082 Depth=1
	v_and_b32_e32 v2, 7, v6
	v_lshrrev_b32_e32 v47, 3, v56
	v_mov_b32_e32 v14, v3
	s_mov_b32 s23, exec_lo
	s_delay_alu instid0(VALU_DEP_3)
	v_mov_b32_e32 v13, v2
	v_cmpx_gt_u32_e32 8, v56
; %bb.3390:                             ;   in Loop: Header=BB373_2082 Depth=1
	v_clz_i32_u32_e32 v13, v2
	s_delay_alu instid0(VALU_DEP_1) | instskip(NEXT) | instid1(VALU_DEP_1)
	v_min_u32_e32 v167, 32, v13
	v_subrev_nc_u32_e32 v13, 28, v167
	v_sub_nc_u32_e32 v47, 29, v167
	s_delay_alu instid0(VALU_DEP_2) | instskip(NEXT) | instid1(VALU_DEP_1)
	v_lshlrev_b64 v[13:14], v13, v[2:3]
	v_and_b32_e32 v13, 7, v13
; %bb.3391:                             ;   in Loop: Header=BB373_2082 Depth=1
	s_or_b32 exec_lo, exec_lo, s23
	v_lshlrev_b32_e32 v2, 8, v6
	v_lshl_add_u32 v6, v47, 10, 0x2000
	s_delay_alu instid0(VALU_DEP_1) | instskip(NEXT) | instid1(VALU_DEP_1)
	v_and_or_b32 v2, 0x8000, v2, v6
	v_lshl_or_b32 v2, v13, 7, v2
	s_delay_alu instid0(VALU_DEP_1)
	v_cvt_f32_f16_e32 v47, v2
.LBB373_3392:                           ;   in Loop: Header=BB373_2082 Depth=1
	s_or_b32 exec_lo, exec_lo, s22
.LBB373_3393:                           ;   in Loop: Header=BB373_2082 Depth=1
	s_delay_alu instid0(SALU_CYCLE_1)
	s_or_b32 exec_lo, exec_lo, s21
.LBB373_3394:                           ;   in Loop: Header=BB373_2082 Depth=1
	s_delay_alu instid0(SALU_CYCLE_1) | instskip(SKIP_3) | instid1(VALU_DEP_2)
	s_or_b32 exec_lo, exec_lo, s19
	v_and_b32_e32 v6, 0xff, v12
	v_mov_b32_e32 v2, v12
	s_mov_b32 s19, exec_lo
	v_cmpx_ne_u16_e32 0, v6
	s_cbranch_execz .LBB373_3402
; %bb.3395:                             ;   in Loop: Header=BB373_2082 Depth=1
	v_bfrev_b32_e32 v46, 1
	s_mov_b32 s21, exec_lo
	v_cmpx_ne_u16_e32 0x80, v6
	s_cbranch_execz .LBB373_3401
; %bb.3396:                             ;   in Loop: Header=BB373_2082 Depth=1
	v_and_b32_e32 v56, 0x7f, v12
	v_mov_b32_e32 v46, 0x7fc02000
	s_mov_b32 s22, exec_lo
	s_delay_alu instid0(VALU_DEP_2)
	v_cmpx_ne_u32_e32 0x7f, v56
	s_cbranch_execz .LBB373_3400
; %bb.3397:                             ;   in Loop: Header=BB373_2082 Depth=1
	v_dual_mov_b32 v14, v3 :: v_dual_mov_b32 v13, v2
	v_lshrrev_b32_e32 v6, 3, v56
	s_mov_b32 s23, exec_lo
	v_cmpx_gt_u32_e32 8, v56
; %bb.3398:                             ;   in Loop: Header=BB373_2082 Depth=1
	v_and_b32_e32 v6, 7, v12
	s_delay_alu instid0(VALU_DEP_1) | instskip(NEXT) | instid1(VALU_DEP_1)
	v_clz_i32_u32_e32 v6, v6
	v_min_u32_e32 v6, 32, v6
	s_delay_alu instid0(VALU_DEP_1) | instskip(SKIP_1) | instid1(VALU_DEP_2)
	v_subrev_nc_u32_e32 v13, 28, v6
	v_sub_nc_u32_e32 v6, 29, v6
	v_lshlrev_b64 v[13:14], v13, v[2:3]
; %bb.3399:                             ;   in Loop: Header=BB373_2082 Depth=1
	s_or_b32 exec_lo, exec_lo, s23
	v_lshlrev_b32_e32 v14, 8, v12
	s_delay_alu instid0(VALU_DEP_3) | instskip(NEXT) | instid1(VALU_DEP_3)
	v_lshl_add_u32 v6, v6, 10, 0x2000
	v_lshlrev_b32_e32 v13, 7, v13
	s_delay_alu instid0(VALU_DEP_2) | instskip(NEXT) | instid1(VALU_DEP_1)
	v_and_or_b32 v6, 0x8000, v14, v6
	v_and_or_b32 v6, 0x380, v13, v6
	s_delay_alu instid0(VALU_DEP_1)
	v_cvt_f32_f16_e32 v46, v6
.LBB373_3400:                           ;   in Loop: Header=BB373_2082 Depth=1
	s_or_b32 exec_lo, exec_lo, s22
.LBB373_3401:                           ;   in Loop: Header=BB373_2082 Depth=1
	s_delay_alu instid0(SALU_CYCLE_1)
	s_or_b32 exec_lo, exec_lo, s21
.LBB373_3402:                           ;   in Loop: Header=BB373_2082 Depth=1
	s_delay_alu instid0(SALU_CYCLE_1) | instskip(SKIP_3) | instid1(VALU_DEP_2)
	s_or_b32 exec_lo, exec_lo, s19
	v_lshrrev_b16 v2, 8, v2
	v_dual_mov_b32 v56, 0 :: v_dual_mov_b32 v57, 0
	s_mov_b32 s19, exec_lo
	v_cmpx_ne_u16_e32 0, v2
	s_cbranch_execz .LBB373_3410
; %bb.3403:                             ;   in Loop: Header=BB373_2082 Depth=1
	v_bfrev_b32_e32 v57, 1
	s_mov_b32 s21, exec_lo
	v_cmpx_ne_u16_e32 0x80, v2
	s_cbranch_execz .LBB373_3409
; %bb.3404:                             ;   in Loop: Header=BB373_2082 Depth=1
	v_and_b32_e32 v6, 0xffff, v2
	v_mov_b32_e32 v57, 0x7fc02000
	s_mov_b32 s22, exec_lo
	s_delay_alu instid0(VALU_DEP_2) | instskip(NEXT) | instid1(VALU_DEP_1)
	v_and_b32_e32 v58, 0x7f, v6
	v_cmpx_ne_u32_e32 0x7f, v58
	s_cbranch_execz .LBB373_3408
; %bb.3405:                             ;   in Loop: Header=BB373_2082 Depth=1
	v_and_b32_e32 v2, 7, v6
	v_lshrrev_b32_e32 v57, 3, v58
	v_mov_b32_e32 v14, v3
	s_mov_b32 s23, exec_lo
	s_delay_alu instid0(VALU_DEP_3)
	v_mov_b32_e32 v13, v2
	v_cmpx_gt_u32_e32 8, v58
; %bb.3406:                             ;   in Loop: Header=BB373_2082 Depth=1
	v_clz_i32_u32_e32 v13, v2
	s_delay_alu instid0(VALU_DEP_1) | instskip(NEXT) | instid1(VALU_DEP_1)
	v_min_u32_e32 v167, 32, v13
	v_subrev_nc_u32_e32 v13, 28, v167
	v_sub_nc_u32_e32 v57, 29, v167
	s_delay_alu instid0(VALU_DEP_2) | instskip(NEXT) | instid1(VALU_DEP_1)
	v_lshlrev_b64 v[13:14], v13, v[2:3]
	v_and_b32_e32 v13, 7, v13
; %bb.3407:                             ;   in Loop: Header=BB373_2082 Depth=1
	s_or_b32 exec_lo, exec_lo, s23
	v_lshlrev_b32_e32 v2, 8, v6
	v_lshl_add_u32 v6, v57, 10, 0x2000
	s_delay_alu instid0(VALU_DEP_1) | instskip(NEXT) | instid1(VALU_DEP_1)
	v_and_or_b32 v2, 0x8000, v2, v6
	v_lshl_or_b32 v2, v13, 7, v2
	s_delay_alu instid0(VALU_DEP_1)
	v_cvt_f32_f16_e32 v57, v2
.LBB373_3408:                           ;   in Loop: Header=BB373_2082 Depth=1
	s_or_b32 exec_lo, exec_lo, s22
.LBB373_3409:                           ;   in Loop: Header=BB373_2082 Depth=1
	s_delay_alu instid0(SALU_CYCLE_1)
	s_or_b32 exec_lo, exec_lo, s21
.LBB373_3410:                           ;   in Loop: Header=BB373_2082 Depth=1
	s_delay_alu instid0(SALU_CYCLE_1) | instskip(SKIP_2) | instid1(VALU_DEP_1)
	s_or_b32 exec_lo, exec_lo, s19
	v_lshrrev_b32_e32 v6, 16, v12
	s_mov_b32 s19, exec_lo
	v_and_b32_e32 v2, 0xff, v6
	s_delay_alu instid0(VALU_DEP_1)
	v_cmpx_ne_u16_e32 0, v2
	s_cbranch_execz .LBB373_3418
; %bb.3411:                             ;   in Loop: Header=BB373_2082 Depth=1
	v_bfrev_b32_e32 v56, 1
	s_mov_b32 s21, exec_lo
	v_cmpx_ne_u16_e32 0x80, v2
	s_cbranch_execz .LBB373_3417
; %bb.3412:                             ;   in Loop: Header=BB373_2082 Depth=1
	v_bfe_u32 v58, v12, 16, 7
	v_mov_b32_e32 v56, 0x7fc02000
	s_mov_b32 s22, exec_lo
	s_delay_alu instid0(VALU_DEP_2)
	v_cmpx_ne_u32_e32 0x7f, v58
	s_cbranch_execz .LBB373_3416
; %bb.3413:                             ;   in Loop: Header=BB373_2082 Depth=1
	v_and_b32_e32 v2, 7, v6
	v_lshrrev_b32_e32 v56, 3, v58
	v_mov_b32_e32 v14, v3
	s_mov_b32 s23, exec_lo
	s_delay_alu instid0(VALU_DEP_3)
	v_mov_b32_e32 v13, v2
	v_cmpx_gt_u32_e32 8, v58
; %bb.3414:                             ;   in Loop: Header=BB373_2082 Depth=1
	v_clz_i32_u32_e32 v13, v2
	s_delay_alu instid0(VALU_DEP_1) | instskip(NEXT) | instid1(VALU_DEP_1)
	v_min_u32_e32 v167, 32, v13
	v_subrev_nc_u32_e32 v13, 28, v167
	v_sub_nc_u32_e32 v56, 29, v167
	s_delay_alu instid0(VALU_DEP_2) | instskip(NEXT) | instid1(VALU_DEP_1)
	v_lshlrev_b64 v[13:14], v13, v[2:3]
	v_and_b32_e32 v13, 7, v13
; %bb.3415:                             ;   in Loop: Header=BB373_2082 Depth=1
	s_or_b32 exec_lo, exec_lo, s23
	v_lshlrev_b32_e32 v2, 8, v6
	v_lshl_add_u32 v6, v56, 10, 0x2000
	s_delay_alu instid0(VALU_DEP_1) | instskip(NEXT) | instid1(VALU_DEP_1)
	v_and_or_b32 v2, 0x8000, v2, v6
	v_lshl_or_b32 v2, v13, 7, v2
	s_delay_alu instid0(VALU_DEP_1)
	v_cvt_f32_f16_e32 v56, v2
.LBB373_3416:                           ;   in Loop: Header=BB373_2082 Depth=1
	s_or_b32 exec_lo, exec_lo, s22
.LBB373_3417:                           ;   in Loop: Header=BB373_2082 Depth=1
	s_delay_alu instid0(SALU_CYCLE_1)
	s_or_b32 exec_lo, exec_lo, s21
.LBB373_3418:                           ;   in Loop: Header=BB373_2082 Depth=1
	s_delay_alu instid0(SALU_CYCLE_1)
	s_or_b32 exec_lo, exec_lo, s19
	v_mov_b32_e32 v6, 0
	v_mov_b32_e32 v2, 0
	s_mov_b32 s19, exec_lo
	v_cmpx_lt_u64_e64 s[12:13], v[11:12]
	s_cbranch_execz .LBB373_3426
; %bb.3419:                             ;   in Loop: Header=BB373_2082 Depth=1
	v_lshrrev_b32_e32 v13, 24, v12
	v_bfrev_b32_e32 v2, 1
	s_mov_b32 s21, exec_lo
	s_delay_alu instid0(VALU_DEP_2)
	v_cmpx_ne_u32_e32 0x80, v13
	s_cbranch_execz .LBB373_3425
; %bb.3420:                             ;   in Loop: Header=BB373_2082 Depth=1
	v_and_b32_e32 v58, 0x7f, v13
	v_mov_b32_e32 v2, 0x7fc02000
	s_mov_b32 s22, exec_lo
	s_delay_alu instid0(VALU_DEP_2)
	v_cmpx_ne_u32_e32 0x7f, v58
	s_cbranch_execz .LBB373_3424
; %bb.3421:                             ;   in Loop: Header=BB373_2082 Depth=1
	v_and_b32_e32 v2, 7, v13
	v_lshrrev_b32_e32 v14, 3, v58
	v_mov_b32_e32 v12, v3
	s_mov_b32 s23, exec_lo
	s_delay_alu instid0(VALU_DEP_3)
	v_mov_b32_e32 v11, v2
	v_cmpx_gt_u32_e32 8, v58
; %bb.3422:                             ;   in Loop: Header=BB373_2082 Depth=1
	v_clz_i32_u32_e32 v11, v2
	s_delay_alu instid0(VALU_DEP_1) | instskip(NEXT) | instid1(VALU_DEP_1)
	v_min_u32_e32 v14, 32, v11
	v_subrev_nc_u32_e32 v11, 28, v14
	v_sub_nc_u32_e32 v14, 29, v14
	s_delay_alu instid0(VALU_DEP_2) | instskip(NEXT) | instid1(VALU_DEP_1)
	v_lshlrev_b64 v[11:12], v11, v[2:3]
	v_and_b32_e32 v11, 7, v11
; %bb.3423:                             ;   in Loop: Header=BB373_2082 Depth=1
	s_or_b32 exec_lo, exec_lo, s23
	v_lshlrev_b32_e32 v2, 8, v13
	v_lshl_add_u32 v12, v14, 10, 0x2000
	s_delay_alu instid0(VALU_DEP_1) | instskip(NEXT) | instid1(VALU_DEP_1)
	v_and_or_b32 v2, 0x8000, v2, v12
	v_lshl_or_b32 v2, v11, 7, v2
	s_delay_alu instid0(VALU_DEP_1)
	v_cvt_f32_f16_e32 v2, v2
.LBB373_3424:                           ;   in Loop: Header=BB373_2082 Depth=1
	s_or_b32 exec_lo, exec_lo, s22
.LBB373_3425:                           ;   in Loop: Header=BB373_2082 Depth=1
	s_delay_alu instid0(SALU_CYCLE_1)
	s_or_b32 exec_lo, exec_lo, s21
.LBB373_3426:                           ;   in Loop: Header=BB373_2082 Depth=1
	s_delay_alu instid0(SALU_CYCLE_1)
	s_or_b32 exec_lo, exec_lo, s19
	s_waitcnt vmcnt(0) lgkmcnt(0)
	v_fma_mixlo_f16 v11, v23, v47, 0
	v_fma_mixlo_f16 v12, v23, v37, 0
	;; [unrolled: 1-line block ×6, first 2 shown]
	v_lshlrev_b32_e32 v34, 16, v11
	v_and_b32_e32 v167, 0xffff, v12
	v_lshlrev_b32_e32 v176, 16, v13
	v_and_b32_e32 v46, 0xffff, v14
	v_cndmask_b32_e32 v14, 0, v14, vcc_lo
	v_lshlrev_b32_e32 v47, 16, v22
	v_and_b32_e32 v57, 0xffff, v37
	v_fma_mixlo_f16 v2, v23, v2, 0
	v_fma_mixlo_f16 v23, v23, v56, 0
	v_cndmask_b32_e64 v13, 0, v13, s0
	v_cndmask_b32_e64 v12, 0, v12, s2
	;; [unrolled: 1-line block ×3, first 2 shown]
	v_or_b32_e32 v34, v34, v167
	v_or_b32_e32 v167, v176, v46
	;; [unrolled: 1-line block ×3, first 2 shown]
	v_lshlrev_b32_e32 v46, 16, v2
	v_and_b32_e32 v47, 0xffff, v23
	v_cndmask_b32_e64 v37, 0, v37, s6
	v_cndmask_b32_e64 v22, 0, v22, s7
	;; [unrolled: 1-line block ×4, first 2 shown]
	v_perm_b32 v13, v13, v14, 0x5040100
	v_perm_b32 v11, v11, v12, 0x5040100
	v_or_b32_e32 v46, v46, v47
	v_perm_b32 v12, v22, v37, 0x5040100
	v_perm_b32 v2, v2, v23, 0x5040100
	v_cndmask_b32_e64 v13, v167, v13, s1
	v_cndmask_b32_e64 v11, v34, v11, s1
	;;#ASMSTART
	v_pk_mul_f16 v13, v130, v13;

	;;#ASMEND
	v_cndmask_b32_e64 v12, v176, v12, s1
	v_cndmask_b32_e64 v2, v46, v2, s1
	;;#ASMSTART
	v_pk_mul_f16 v11, v129, v11;

	;;#ASMEND
	;;#ASMSTART
	v_pk_mul_f16 v12, v128, v12;

	;;#ASMEND
	;; [unrolled: 4-line block ×3, first 2 shown]
	;;#ASMSTART
	v_pk_add_f16 v11, v13, v11;

	;;#ASMEND
	;;#ASMSTART
	v_pk_add_f16 v11, v11, v12;

	;;#ASMEND
	;; [unrolled: 4-line block ×3, first 2 shown]
	v_add_co_u32 v11, s8, v9, v100
	s_delay_alu instid0(VALU_DEP_1)
	v_add_co_ci_u32_e64 v12, s8, 0, v10, s8
	v_lshrrev_b32_e32 v13, 16, v2
	v_and_b32_e32 v2, 0xffff, v2
	;;#ASMSTART
	v_cvt_f32_f16 v23, v2;
	;;#ASMEND
	;;#ASMSTART
	v_cvt_f32_f16 v34, v13;
	;;#ASMEND
	flat_load_b64 v[11:12], v[11:12]
	flat_load_b32 v22, v[121:122]
	s_mov_b32 s19, exec_lo
	s_waitcnt vmcnt(1) lgkmcnt(1)
	v_and_b32_e32 v2, 0xff, v11
	s_delay_alu instid0(VALU_DEP_1)
	v_cmpx_ne_u16_e32 0, v2
	s_cbranch_execz .LBB373_3434
; %bb.3427:                             ;   in Loop: Header=BB373_2082 Depth=1
	v_bfrev_b32_e32 v6, 1
	s_mov_b32 s21, exec_lo
	v_cmpx_ne_u16_e32 0x80, v2
	s_cbranch_execz .LBB373_3433
; %bb.3428:                             ;   in Loop: Header=BB373_2082 Depth=1
	v_and_b32_e32 v13, 0x7f, v11
	v_mov_b32_e32 v6, 0x7fc02000
	s_mov_b32 s22, exec_lo
	s_delay_alu instid0(VALU_DEP_2)
	v_cmpx_ne_u32_e32 0x7f, v13
	s_cbranch_execz .LBB373_3432
; %bb.3429:                             ;   in Loop: Header=BB373_2082 Depth=1
	v_lshrrev_b32_e32 v2, 3, v13
	v_cmp_gt_u32_e64 s8, 8, v13
	v_dual_mov_b32 v14, v12 :: v_dual_mov_b32 v13, v11
	s_delay_alu instid0(VALU_DEP_2)
	s_and_saveexec_b32 s23, s8
; %bb.3430:                             ;   in Loop: Header=BB373_2082 Depth=1
	v_and_b32_e32 v2, 7, v11
	s_delay_alu instid0(VALU_DEP_1) | instskip(NEXT) | instid1(VALU_DEP_1)
	v_clz_i32_u32_e32 v2, v2
	v_min_u32_e32 v2, 32, v2
	s_delay_alu instid0(VALU_DEP_1) | instskip(SKIP_1) | instid1(VALU_DEP_2)
	v_subrev_nc_u32_e32 v6, 28, v2
	v_sub_nc_u32_e32 v2, 29, v2
	v_lshlrev_b64 v[13:14], v6, v[11:12]
; %bb.3431:                             ;   in Loop: Header=BB373_2082 Depth=1
	s_or_b32 exec_lo, exec_lo, s23
	v_lshlrev_b32_e32 v6, 8, v11
	s_delay_alu instid0(VALU_DEP_3) | instskip(NEXT) | instid1(VALU_DEP_3)
	v_lshl_add_u32 v2, v2, 10, 0x2000
	v_lshlrev_b32_e32 v13, 7, v13
	s_delay_alu instid0(VALU_DEP_2) | instskip(NEXT) | instid1(VALU_DEP_1)
	v_and_or_b32 v2, 0x8000, v6, v2
	v_and_or_b32 v2, 0x380, v13, v2
	s_delay_alu instid0(VALU_DEP_1)
	v_cvt_f32_f16_e32 v6, v2
.LBB373_3432:                           ;   in Loop: Header=BB373_2082 Depth=1
	s_or_b32 exec_lo, exec_lo, s22
.LBB373_3433:                           ;   in Loop: Header=BB373_2082 Depth=1
	s_delay_alu instid0(SALU_CYCLE_1)
	s_or_b32 exec_lo, exec_lo, s21
.LBB373_3434:                           ;   in Loop: Header=BB373_2082 Depth=1
	s_delay_alu instid0(SALU_CYCLE_1) | instskip(SKIP_4) | instid1(VALU_DEP_3)
	s_or_b32 exec_lo, exec_lo, s19
	v_lshrrev_b16 v2, 8, v11
	v_mov_b32_e32 v47, 0
	v_mov_b32_e32 v37, 0
	s_mov_b32 s19, exec_lo
	v_cmpx_ne_u16_e32 0, v2
	s_cbranch_execz .LBB373_3442
; %bb.3435:                             ;   in Loop: Header=BB373_2082 Depth=1
	v_bfrev_b32_e32 v37, 1
	s_mov_b32 s21, exec_lo
	v_cmpx_ne_u16_e32 0x80, v2
	s_cbranch_execz .LBB373_3441
; %bb.3436:                             ;   in Loop: Header=BB373_2082 Depth=1
	v_and_b32_e32 v46, 0xffff, v2
	v_mov_b32_e32 v37, 0x7fc02000
	s_mov_b32 s22, exec_lo
	s_delay_alu instid0(VALU_DEP_2) | instskip(NEXT) | instid1(VALU_DEP_1)
	v_and_b32_e32 v56, 0x7f, v46
	v_cmpx_ne_u32_e32 0x7f, v56
	s_cbranch_execz .LBB373_3440
; %bb.3437:                             ;   in Loop: Header=BB373_2082 Depth=1
	v_and_b32_e32 v2, 7, v46
	v_lshrrev_b32_e32 v37, 3, v56
	v_mov_b32_e32 v14, v3
	s_mov_b32 s23, exec_lo
	s_delay_alu instid0(VALU_DEP_3)
	v_mov_b32_e32 v13, v2
	v_cmpx_gt_u32_e32 8, v56
; %bb.3438:                             ;   in Loop: Header=BB373_2082 Depth=1
	v_clz_i32_u32_e32 v13, v2
	s_delay_alu instid0(VALU_DEP_1) | instskip(NEXT) | instid1(VALU_DEP_1)
	v_min_u32_e32 v37, 32, v13
	v_subrev_nc_u32_e32 v13, 28, v37
	v_sub_nc_u32_e32 v37, 29, v37
	s_delay_alu instid0(VALU_DEP_2) | instskip(NEXT) | instid1(VALU_DEP_1)
	v_lshlrev_b64 v[13:14], v13, v[2:3]
	v_and_b32_e32 v13, 7, v13
; %bb.3439:                             ;   in Loop: Header=BB373_2082 Depth=1
	s_or_b32 exec_lo, exec_lo, s23
	v_lshlrev_b32_e32 v2, 8, v46
	v_lshl_add_u32 v14, v37, 10, 0x2000
	s_delay_alu instid0(VALU_DEP_1) | instskip(NEXT) | instid1(VALU_DEP_1)
	v_and_or_b32 v2, 0x8000, v2, v14
	v_lshl_or_b32 v2, v13, 7, v2
	s_delay_alu instid0(VALU_DEP_1)
	v_cvt_f32_f16_e32 v37, v2
.LBB373_3440:                           ;   in Loop: Header=BB373_2082 Depth=1
	s_or_b32 exec_lo, exec_lo, s22
.LBB373_3441:                           ;   in Loop: Header=BB373_2082 Depth=1
	s_delay_alu instid0(SALU_CYCLE_1)
	s_or_b32 exec_lo, exec_lo, s21
.LBB373_3442:                           ;   in Loop: Header=BB373_2082 Depth=1
	s_delay_alu instid0(SALU_CYCLE_1) | instskip(SKIP_2) | instid1(VALU_DEP_1)
	s_or_b32 exec_lo, exec_lo, s19
	v_lshrrev_b32_e32 v46, 16, v11
	s_mov_b32 s19, exec_lo
	v_and_b32_e32 v2, 0xff, v46
	s_delay_alu instid0(VALU_DEP_1)
	v_cmpx_ne_u16_e32 0, v2
	s_cbranch_execz .LBB373_3450
; %bb.3443:                             ;   in Loop: Header=BB373_2082 Depth=1
	v_bfrev_b32_e32 v47, 1
	s_mov_b32 s21, exec_lo
	v_cmpx_ne_u16_e32 0x80, v2
	s_cbranch_execz .LBB373_3449
; %bb.3444:                             ;   in Loop: Header=BB373_2082 Depth=1
	v_bfe_u32 v56, v11, 16, 7
	v_mov_b32_e32 v47, 0x7fc02000
	s_mov_b32 s22, exec_lo
	s_delay_alu instid0(VALU_DEP_2)
	v_cmpx_ne_u32_e32 0x7f, v56
	s_cbranch_execz .LBB373_3448
; %bb.3445:                             ;   in Loop: Header=BB373_2082 Depth=1
	v_and_b32_e32 v2, 7, v46
	v_lshrrev_b32_e32 v47, 3, v56
	v_mov_b32_e32 v14, v3
	s_mov_b32 s23, exec_lo
	s_delay_alu instid0(VALU_DEP_3)
	v_mov_b32_e32 v13, v2
	v_cmpx_gt_u32_e32 8, v56
; %bb.3446:                             ;   in Loop: Header=BB373_2082 Depth=1
	v_clz_i32_u32_e32 v13, v2
	s_delay_alu instid0(VALU_DEP_1) | instskip(NEXT) | instid1(VALU_DEP_1)
	v_min_u32_e32 v167, 32, v13
	v_subrev_nc_u32_e32 v13, 28, v167
	v_sub_nc_u32_e32 v47, 29, v167
	s_delay_alu instid0(VALU_DEP_2) | instskip(NEXT) | instid1(VALU_DEP_1)
	v_lshlrev_b64 v[13:14], v13, v[2:3]
	v_and_b32_e32 v13, 7, v13
; %bb.3447:                             ;   in Loop: Header=BB373_2082 Depth=1
	s_or_b32 exec_lo, exec_lo, s23
	v_lshlrev_b32_e32 v2, 8, v46
	v_lshl_add_u32 v14, v47, 10, 0x2000
	s_delay_alu instid0(VALU_DEP_1) | instskip(NEXT) | instid1(VALU_DEP_1)
	v_and_or_b32 v2, 0x8000, v2, v14
	v_lshl_or_b32 v2, v13, 7, v2
	s_delay_alu instid0(VALU_DEP_1)
	v_cvt_f32_f16_e32 v47, v2
.LBB373_3448:                           ;   in Loop: Header=BB373_2082 Depth=1
	s_or_b32 exec_lo, exec_lo, s22
.LBB373_3449:                           ;   in Loop: Header=BB373_2082 Depth=1
	s_delay_alu instid0(SALU_CYCLE_1)
	s_or_b32 exec_lo, exec_lo, s21
.LBB373_3450:                           ;   in Loop: Header=BB373_2082 Depth=1
	s_delay_alu instid0(SALU_CYCLE_1)
	s_or_b32 exec_lo, exec_lo, s19
	v_dual_mov_b32 v56, 0 :: v_dual_mov_b32 v57, 0
	s_mov_b32 s19, exec_lo
	v_cmpx_lt_u32_e32 0xffffff, v11
	s_cbranch_execz .LBB373_3458
; %bb.3451:                             ;   in Loop: Header=BB373_2082 Depth=1
	v_lshrrev_b32_e32 v46, 24, v11
	v_bfrev_b32_e32 v57, 1
	s_mov_b32 s21, exec_lo
	s_delay_alu instid0(VALU_DEP_2)
	v_cmpx_ne_u32_e32 0x80, v46
	s_cbranch_execz .LBB373_3457
; %bb.3452:                             ;   in Loop: Header=BB373_2082 Depth=1
	v_and_b32_e32 v58, 0x7f, v46
	v_mov_b32_e32 v57, 0x7fc02000
	s_mov_b32 s22, exec_lo
	s_delay_alu instid0(VALU_DEP_2)
	v_cmpx_ne_u32_e32 0x7f, v58
	s_cbranch_execz .LBB373_3456
; %bb.3453:                             ;   in Loop: Header=BB373_2082 Depth=1
	v_and_b32_e32 v2, 7, v46
	v_lshrrev_b32_e32 v57, 3, v58
	v_mov_b32_e32 v14, v3
	s_mov_b32 s23, exec_lo
	s_delay_alu instid0(VALU_DEP_3)
	v_mov_b32_e32 v13, v2
	v_cmpx_gt_u32_e32 8, v58
; %bb.3454:                             ;   in Loop: Header=BB373_2082 Depth=1
	v_clz_i32_u32_e32 v13, v2
	s_delay_alu instid0(VALU_DEP_1) | instskip(NEXT) | instid1(VALU_DEP_1)
	v_min_u32_e32 v167, 32, v13
	v_subrev_nc_u32_e32 v13, 28, v167
	v_sub_nc_u32_e32 v57, 29, v167
	s_delay_alu instid0(VALU_DEP_2) | instskip(NEXT) | instid1(VALU_DEP_1)
	v_lshlrev_b64 v[13:14], v13, v[2:3]
	v_and_b32_e32 v13, 7, v13
; %bb.3455:                             ;   in Loop: Header=BB373_2082 Depth=1
	s_or_b32 exec_lo, exec_lo, s23
	v_lshlrev_b32_e32 v2, 8, v46
	v_lshl_add_u32 v14, v57, 10, 0x2000
	s_delay_alu instid0(VALU_DEP_1) | instskip(NEXT) | instid1(VALU_DEP_1)
	v_and_or_b32 v2, 0x8000, v2, v14
	v_lshl_or_b32 v2, v13, 7, v2
	s_delay_alu instid0(VALU_DEP_1)
	v_cvt_f32_f16_e32 v57, v2
.LBB373_3456:                           ;   in Loop: Header=BB373_2082 Depth=1
	s_or_b32 exec_lo, exec_lo, s22
.LBB373_3457:                           ;   in Loop: Header=BB373_2082 Depth=1
	s_delay_alu instid0(SALU_CYCLE_1)
	s_or_b32 exec_lo, exec_lo, s21
.LBB373_3458:                           ;   in Loop: Header=BB373_2082 Depth=1
	s_delay_alu instid0(SALU_CYCLE_1) | instskip(SKIP_2) | instid1(VALU_DEP_1)
	s_or_b32 exec_lo, exec_lo, s19
	v_dual_mov_b32 v2, v12 :: v_dual_and_b32 v13, 0xff, v12
	s_mov_b32 s19, exec_lo
	v_cmpx_ne_u16_e32 0, v13
	s_cbranch_execz .LBB373_3466
; %bb.3459:                             ;   in Loop: Header=BB373_2082 Depth=1
	v_bfrev_b32_e32 v56, 1
	s_mov_b32 s21, exec_lo
	v_cmpx_ne_u16_e32 0x80, v13
	s_cbranch_execz .LBB373_3465
; %bb.3460:                             ;   in Loop: Header=BB373_2082 Depth=1
	v_and_b32_e32 v46, 0x7f, v12
	v_mov_b32_e32 v56, 0x7fc02000
	s_mov_b32 s22, exec_lo
	s_delay_alu instid0(VALU_DEP_2)
	v_cmpx_ne_u32_e32 0x7f, v46
	s_cbranch_execz .LBB373_3464
; %bb.3461:                             ;   in Loop: Header=BB373_2082 Depth=1
	v_dual_mov_b32 v14, v3 :: v_dual_mov_b32 v13, v2
	v_lshrrev_b32_e32 v14, 3, v46
	s_mov_b32 s23, exec_lo
	v_cmpx_gt_u32_e32 8, v46
; %bb.3462:                             ;   in Loop: Header=BB373_2082 Depth=1
	v_and_b32_e32 v13, 7, v12
	s_delay_alu instid0(VALU_DEP_1) | instskip(NEXT) | instid1(VALU_DEP_1)
	v_clz_i32_u32_e32 v13, v13
	v_min_u32_e32 v167, 32, v13
	s_delay_alu instid0(VALU_DEP_1) | instskip(NEXT) | instid1(VALU_DEP_1)
	v_subrev_nc_u32_e32 v13, 28, v167
	v_lshlrev_b64 v[13:14], v13, v[2:3]
	v_sub_nc_u32_e32 v14, 29, v167
; %bb.3463:                             ;   in Loop: Header=BB373_2082 Depth=1
	s_or_b32 exec_lo, exec_lo, s23
	v_lshlrev_b32_e32 v167, 8, v12
	s_delay_alu instid0(VALU_DEP_2) | instskip(NEXT) | instid1(VALU_DEP_4)
	v_lshl_add_u32 v14, v14, 10, 0x2000
	v_lshlrev_b32_e32 v13, 7, v13
	s_delay_alu instid0(VALU_DEP_2) | instskip(NEXT) | instid1(VALU_DEP_1)
	v_and_or_b32 v14, 0x8000, v167, v14
	v_and_or_b32 v13, 0x380, v13, v14
	s_delay_alu instid0(VALU_DEP_1)
	v_cvt_f32_f16_e32 v56, v13
.LBB373_3464:                           ;   in Loop: Header=BB373_2082 Depth=1
	s_or_b32 exec_lo, exec_lo, s22
.LBB373_3465:                           ;   in Loop: Header=BB373_2082 Depth=1
	s_delay_alu instid0(SALU_CYCLE_1)
	s_or_b32 exec_lo, exec_lo, s21
.LBB373_3466:                           ;   in Loop: Header=BB373_2082 Depth=1
	s_delay_alu instid0(SALU_CYCLE_1) | instskip(SKIP_3) | instid1(VALU_DEP_2)
	s_or_b32 exec_lo, exec_lo, s19
	v_lshrrev_b16 v2, 8, v2
	v_dual_mov_b32 v58, 0 :: v_dual_mov_b32 v59, 0
	s_mov_b32 s19, exec_lo
	v_cmpx_ne_u16_e32 0, v2
	s_cbranch_execz .LBB373_3474
; %bb.3467:                             ;   in Loop: Header=BB373_2082 Depth=1
	v_bfrev_b32_e32 v59, 1
	s_mov_b32 s21, exec_lo
	v_cmpx_ne_u16_e32 0x80, v2
	s_cbranch_execz .LBB373_3473
; %bb.3468:                             ;   in Loop: Header=BB373_2082 Depth=1
	v_and_b32_e32 v46, 0xffff, v2
	v_mov_b32_e32 v59, 0x7fc02000
	s_mov_b32 s22, exec_lo
	s_delay_alu instid0(VALU_DEP_2) | instskip(NEXT) | instid1(VALU_DEP_1)
	v_and_b32_e32 v60, 0x7f, v46
	v_cmpx_ne_u32_e32 0x7f, v60
	s_cbranch_execz .LBB373_3472
; %bb.3469:                             ;   in Loop: Header=BB373_2082 Depth=1
	v_and_b32_e32 v2, 7, v46
	v_lshrrev_b32_e32 v59, 3, v60
	v_mov_b32_e32 v14, v3
	s_mov_b32 s23, exec_lo
	s_delay_alu instid0(VALU_DEP_3)
	v_mov_b32_e32 v13, v2
	v_cmpx_gt_u32_e32 8, v60
; %bb.3470:                             ;   in Loop: Header=BB373_2082 Depth=1
	v_clz_i32_u32_e32 v13, v2
	s_delay_alu instid0(VALU_DEP_1) | instskip(NEXT) | instid1(VALU_DEP_1)
	v_min_u32_e32 v167, 32, v13
	v_subrev_nc_u32_e32 v13, 28, v167
	v_sub_nc_u32_e32 v59, 29, v167
	s_delay_alu instid0(VALU_DEP_2) | instskip(NEXT) | instid1(VALU_DEP_1)
	v_lshlrev_b64 v[13:14], v13, v[2:3]
	v_and_b32_e32 v13, 7, v13
; %bb.3471:                             ;   in Loop: Header=BB373_2082 Depth=1
	s_or_b32 exec_lo, exec_lo, s23
	v_lshlrev_b32_e32 v2, 8, v46
	v_lshl_add_u32 v14, v59, 10, 0x2000
	s_delay_alu instid0(VALU_DEP_1) | instskip(NEXT) | instid1(VALU_DEP_1)
	v_and_or_b32 v2, 0x8000, v2, v14
	v_lshl_or_b32 v2, v13, 7, v2
	s_delay_alu instid0(VALU_DEP_1)
	v_cvt_f32_f16_e32 v59, v2
.LBB373_3472:                           ;   in Loop: Header=BB373_2082 Depth=1
	s_or_b32 exec_lo, exec_lo, s22
.LBB373_3473:                           ;   in Loop: Header=BB373_2082 Depth=1
	s_delay_alu instid0(SALU_CYCLE_1)
	s_or_b32 exec_lo, exec_lo, s21
.LBB373_3474:                           ;   in Loop: Header=BB373_2082 Depth=1
	s_delay_alu instid0(SALU_CYCLE_1) | instskip(SKIP_2) | instid1(VALU_DEP_1)
	s_or_b32 exec_lo, exec_lo, s19
	v_lshrrev_b32_e32 v46, 16, v12
	s_mov_b32 s19, exec_lo
	v_and_b32_e32 v2, 0xff, v46
	s_delay_alu instid0(VALU_DEP_1)
	v_cmpx_ne_u16_e32 0, v2
	s_cbranch_execz .LBB373_3482
; %bb.3475:                             ;   in Loop: Header=BB373_2082 Depth=1
	v_bfrev_b32_e32 v58, 1
	s_mov_b32 s21, exec_lo
	v_cmpx_ne_u16_e32 0x80, v2
	s_cbranch_execz .LBB373_3481
; %bb.3476:                             ;   in Loop: Header=BB373_2082 Depth=1
	v_bfe_u32 v60, v12, 16, 7
	v_mov_b32_e32 v58, 0x7fc02000
	s_mov_b32 s22, exec_lo
	s_delay_alu instid0(VALU_DEP_2)
	v_cmpx_ne_u32_e32 0x7f, v60
	s_cbranch_execz .LBB373_3480
; %bb.3477:                             ;   in Loop: Header=BB373_2082 Depth=1
	v_and_b32_e32 v2, 7, v46
	v_lshrrev_b32_e32 v58, 3, v60
	v_mov_b32_e32 v14, v3
	s_mov_b32 s23, exec_lo
	s_delay_alu instid0(VALU_DEP_3)
	v_mov_b32_e32 v13, v2
	v_cmpx_gt_u32_e32 8, v60
; %bb.3478:                             ;   in Loop: Header=BB373_2082 Depth=1
	v_clz_i32_u32_e32 v13, v2
	s_delay_alu instid0(VALU_DEP_1) | instskip(NEXT) | instid1(VALU_DEP_1)
	v_min_u32_e32 v167, 32, v13
	v_subrev_nc_u32_e32 v13, 28, v167
	v_sub_nc_u32_e32 v58, 29, v167
	s_delay_alu instid0(VALU_DEP_2) | instskip(NEXT) | instid1(VALU_DEP_1)
	v_lshlrev_b64 v[13:14], v13, v[2:3]
	v_and_b32_e32 v13, 7, v13
; %bb.3479:                             ;   in Loop: Header=BB373_2082 Depth=1
	s_or_b32 exec_lo, exec_lo, s23
	v_lshlrev_b32_e32 v2, 8, v46
	v_lshl_add_u32 v14, v58, 10, 0x2000
	s_delay_alu instid0(VALU_DEP_1) | instskip(NEXT) | instid1(VALU_DEP_1)
	v_and_or_b32 v2, 0x8000, v2, v14
	v_lshl_or_b32 v2, v13, 7, v2
	s_delay_alu instid0(VALU_DEP_1)
	v_cvt_f32_f16_e32 v58, v2
.LBB373_3480:                           ;   in Loop: Header=BB373_2082 Depth=1
	s_or_b32 exec_lo, exec_lo, s22
.LBB373_3481:                           ;   in Loop: Header=BB373_2082 Depth=1
	s_delay_alu instid0(SALU_CYCLE_1)
	s_or_b32 exec_lo, exec_lo, s21
.LBB373_3482:                           ;   in Loop: Header=BB373_2082 Depth=1
	s_delay_alu instid0(SALU_CYCLE_1)
	s_or_b32 exec_lo, exec_lo, s19
	v_mov_b32_e32 v46, 0
	v_mov_b32_e32 v2, 0
	s_mov_b32 s19, exec_lo
	v_cmpx_lt_u64_e64 s[12:13], v[11:12]
	s_cbranch_execz .LBB373_3490
; %bb.3483:                             ;   in Loop: Header=BB373_2082 Depth=1
	v_lshrrev_b32_e32 v13, 24, v12
	v_bfrev_b32_e32 v2, 1
	s_mov_b32 s21, exec_lo
	s_delay_alu instid0(VALU_DEP_2)
	v_cmpx_ne_u32_e32 0x80, v13
	s_cbranch_execz .LBB373_3489
; %bb.3484:                             ;   in Loop: Header=BB373_2082 Depth=1
	v_and_b32_e32 v60, 0x7f, v13
	v_mov_b32_e32 v2, 0x7fc02000
	s_mov_b32 s22, exec_lo
	s_delay_alu instid0(VALU_DEP_2)
	v_cmpx_ne_u32_e32 0x7f, v60
	s_cbranch_execz .LBB373_3488
; %bb.3485:                             ;   in Loop: Header=BB373_2082 Depth=1
	v_and_b32_e32 v2, 7, v13
	v_lshrrev_b32_e32 v14, 3, v60
	v_mov_b32_e32 v12, v3
	s_mov_b32 s23, exec_lo
	s_delay_alu instid0(VALU_DEP_3)
	v_mov_b32_e32 v11, v2
	v_cmpx_gt_u32_e32 8, v60
; %bb.3486:                             ;   in Loop: Header=BB373_2082 Depth=1
	v_clz_i32_u32_e32 v11, v2
	s_delay_alu instid0(VALU_DEP_1) | instskip(NEXT) | instid1(VALU_DEP_1)
	v_min_u32_e32 v14, 32, v11
	v_subrev_nc_u32_e32 v11, 28, v14
	v_sub_nc_u32_e32 v14, 29, v14
	s_delay_alu instid0(VALU_DEP_2) | instskip(NEXT) | instid1(VALU_DEP_1)
	v_lshlrev_b64 v[11:12], v11, v[2:3]
	v_and_b32_e32 v11, 7, v11
; %bb.3487:                             ;   in Loop: Header=BB373_2082 Depth=1
	s_or_b32 exec_lo, exec_lo, s23
	v_lshlrev_b32_e32 v2, 8, v13
	v_lshl_add_u32 v12, v14, 10, 0x2000
	s_delay_alu instid0(VALU_DEP_1) | instskip(NEXT) | instid1(VALU_DEP_1)
	v_and_or_b32 v2, 0x8000, v2, v12
	v_lshl_or_b32 v2, v11, 7, v2
	s_delay_alu instid0(VALU_DEP_1)
	v_cvt_f32_f16_e32 v2, v2
.LBB373_3488:                           ;   in Loop: Header=BB373_2082 Depth=1
	s_or_b32 exec_lo, exec_lo, s22
.LBB373_3489:                           ;   in Loop: Header=BB373_2082 Depth=1
	s_delay_alu instid0(SALU_CYCLE_1)
	s_or_b32 exec_lo, exec_lo, s21
.LBB373_3490:                           ;   in Loop: Header=BB373_2082 Depth=1
	s_delay_alu instid0(SALU_CYCLE_1)
	s_or_b32 exec_lo, exec_lo, s19
	s_waitcnt vmcnt(0) lgkmcnt(0)
	v_fma_mixlo_f16 v11, v22, v57, 0
	v_fma_mixlo_f16 v12, v22, v47, 0
	;; [unrolled: 1-line block ×6, first 2 shown]
	v_lshlrev_b32_e32 v37, 16, v11
	v_and_b32_e32 v176, 0xffff, v12
	v_lshlrev_b32_e32 v47, 16, v13
	v_and_b32_e32 v56, 0xffff, v6
	v_cndmask_b32_e32 v6, 0, v6, vcc_lo
	v_lshlrev_b32_e32 v57, 16, v14
	v_and_b32_e32 v59, 0xffff, v167
	v_fma_mixlo_f16 v2, v22, v2, 0
	v_fma_mixlo_f16 v22, v22, v58, 0
	v_cndmask_b32_e64 v13, 0, v13, s0
	v_cndmask_b32_e64 v12, 0, v12, s2
	;; [unrolled: 1-line block ×3, first 2 shown]
	v_or_b32_e32 v37, v37, v176
	v_or_b32_e32 v176, v47, v56
	;; [unrolled: 1-line block ×3, first 2 shown]
	v_lshlrev_b32_e32 v56, 16, v2
	v_and_b32_e32 v57, 0xffff, v22
	v_cndmask_b32_e64 v167, 0, v167, s6
	v_cndmask_b32_e64 v14, 0, v14, s7
	;; [unrolled: 1-line block ×4, first 2 shown]
	v_perm_b32 v6, v13, v6, 0x5040100
	v_perm_b32 v11, v11, v12, 0x5040100
	v_or_b32_e32 v56, v56, v57
	v_perm_b32 v12, v14, v167, 0x5040100
	v_perm_b32 v2, v2, v22, 0x5040100
	v_cndmask_b32_e64 v6, v176, v6, s1
	v_cndmask_b32_e64 v11, v37, v11, s1
	;;#ASMSTART
	v_pk_mul_f16 v6, v130, v6;

	;;#ASMEND
	v_cndmask_b32_e64 v12, v47, v12, s1
	v_cndmask_b32_e64 v2, v56, v2, s1
	;;#ASMSTART
	v_pk_mul_f16 v11, v129, v11;

	;;#ASMEND
	;;#ASMSTART
	v_pk_mul_f16 v12, v128, v12;

	;;#ASMEND
	;; [unrolled: 4-line block ×3, first 2 shown]
	;;#ASMSTART
	v_pk_add_f16 v6, v6, v11;

	;;#ASMEND
	v_add_co_u32 v11, s8, v9, v101
	;;#ASMSTART
	v_pk_add_f16 v6, v6, v12;

	;;#ASMEND
	v_add_co_ci_u32_e64 v12, s8, 0, v10, s8
	;;#ASMSTART
	v_pk_add_f16 v2, v6, v2;

	;;#ASMEND
	v_lshrrev_b32_e32 v6, 16, v2
	v_and_b32_e32 v2, 0xffff, v2
	;;#ASMSTART
	v_cvt_f32_f16 v22, v2;
	;;#ASMEND
	;;#ASMSTART
	v_cvt_f32_f16 v37, v6;
	;;#ASMEND
	flat_load_b64 v[11:12], v[11:12]
	flat_load_b32 v6, v[121:122]
	s_mov_b32 s19, exec_lo
	s_waitcnt vmcnt(1) lgkmcnt(1)
	v_and_b32_e32 v2, 0xff, v11
	s_delay_alu instid0(VALU_DEP_1)
	v_cmpx_ne_u16_e32 0, v2
	s_cbranch_execz .LBB373_3498
; %bb.3491:                             ;   in Loop: Header=BB373_2082 Depth=1
	v_bfrev_b32_e32 v46, 1
	s_mov_b32 s21, exec_lo
	v_cmpx_ne_u16_e32 0x80, v2
	s_cbranch_execz .LBB373_3497
; %bb.3492:                             ;   in Loop: Header=BB373_2082 Depth=1
	v_and_b32_e32 v13, 0x7f, v11
	v_mov_b32_e32 v46, 0x7fc02000
	s_mov_b32 s22, exec_lo
	s_delay_alu instid0(VALU_DEP_2)
	v_cmpx_ne_u32_e32 0x7f, v13
	s_cbranch_execz .LBB373_3496
; %bb.3493:                             ;   in Loop: Header=BB373_2082 Depth=1
	v_lshrrev_b32_e32 v2, 3, v13
	v_cmp_gt_u32_e64 s8, 8, v13
	v_dual_mov_b32 v14, v12 :: v_dual_mov_b32 v13, v11
	s_delay_alu instid0(VALU_DEP_2)
	s_and_saveexec_b32 s23, s8
; %bb.3494:                             ;   in Loop: Header=BB373_2082 Depth=1
	v_and_b32_e32 v2, 7, v11
	s_delay_alu instid0(VALU_DEP_1) | instskip(NEXT) | instid1(VALU_DEP_1)
	v_clz_i32_u32_e32 v2, v2
	v_min_u32_e32 v2, 32, v2
	s_delay_alu instid0(VALU_DEP_1) | instskip(SKIP_1) | instid1(VALU_DEP_2)
	v_subrev_nc_u32_e32 v13, 28, v2
	v_sub_nc_u32_e32 v2, 29, v2
	v_lshlrev_b64 v[13:14], v13, v[11:12]
; %bb.3495:                             ;   in Loop: Header=BB373_2082 Depth=1
	s_or_b32 exec_lo, exec_lo, s23
	v_lshlrev_b32_e32 v14, 8, v11
	s_delay_alu instid0(VALU_DEP_3) | instskip(NEXT) | instid1(VALU_DEP_3)
	v_lshl_add_u32 v2, v2, 10, 0x2000
	v_lshlrev_b32_e32 v13, 7, v13
	s_delay_alu instid0(VALU_DEP_2) | instskip(NEXT) | instid1(VALU_DEP_1)
	v_and_or_b32 v2, 0x8000, v14, v2
	v_and_or_b32 v2, 0x380, v13, v2
	s_delay_alu instid0(VALU_DEP_1)
	v_cvt_f32_f16_e32 v46, v2
.LBB373_3496:                           ;   in Loop: Header=BB373_2082 Depth=1
	s_or_b32 exec_lo, exec_lo, s22
.LBB373_3497:                           ;   in Loop: Header=BB373_2082 Depth=1
	s_delay_alu instid0(SALU_CYCLE_1)
	s_or_b32 exec_lo, exec_lo, s21
.LBB373_3498:                           ;   in Loop: Header=BB373_2082 Depth=1
	s_delay_alu instid0(SALU_CYCLE_1) | instskip(SKIP_3) | instid1(VALU_DEP_2)
	s_or_b32 exec_lo, exec_lo, s19
	v_lshrrev_b16 v2, 8, v11
	v_dual_mov_b32 v57, 0 :: v_dual_mov_b32 v56, 0
	s_mov_b32 s19, exec_lo
	v_cmpx_ne_u16_e32 0, v2
	s_cbranch_execz .LBB373_3506
; %bb.3499:                             ;   in Loop: Header=BB373_2082 Depth=1
	v_bfrev_b32_e32 v56, 1
	s_mov_b32 s21, exec_lo
	v_cmpx_ne_u16_e32 0x80, v2
	s_cbranch_execz .LBB373_3505
; %bb.3500:                             ;   in Loop: Header=BB373_2082 Depth=1
	v_and_b32_e32 v47, 0xffff, v2
	v_mov_b32_e32 v56, 0x7fc02000
	s_mov_b32 s22, exec_lo
	s_delay_alu instid0(VALU_DEP_2) | instskip(NEXT) | instid1(VALU_DEP_1)
	v_and_b32_e32 v58, 0x7f, v47
	v_cmpx_ne_u32_e32 0x7f, v58
	s_cbranch_execz .LBB373_3504
; %bb.3501:                             ;   in Loop: Header=BB373_2082 Depth=1
	v_and_b32_e32 v2, 7, v47
	v_lshrrev_b32_e32 v56, 3, v58
	v_mov_b32_e32 v14, v3
	s_mov_b32 s23, exec_lo
	s_delay_alu instid0(VALU_DEP_3)
	v_mov_b32_e32 v13, v2
	v_cmpx_gt_u32_e32 8, v58
; %bb.3502:                             ;   in Loop: Header=BB373_2082 Depth=1
	v_clz_i32_u32_e32 v13, v2
	s_delay_alu instid0(VALU_DEP_1) | instskip(NEXT) | instid1(VALU_DEP_1)
	v_min_u32_e32 v167, 32, v13
	v_subrev_nc_u32_e32 v13, 28, v167
	v_sub_nc_u32_e32 v56, 29, v167
	s_delay_alu instid0(VALU_DEP_2) | instskip(NEXT) | instid1(VALU_DEP_1)
	v_lshlrev_b64 v[13:14], v13, v[2:3]
	v_and_b32_e32 v13, 7, v13
; %bb.3503:                             ;   in Loop: Header=BB373_2082 Depth=1
	s_or_b32 exec_lo, exec_lo, s23
	v_lshlrev_b32_e32 v2, 8, v47
	v_lshl_add_u32 v14, v56, 10, 0x2000
	s_delay_alu instid0(VALU_DEP_1) | instskip(NEXT) | instid1(VALU_DEP_1)
	v_and_or_b32 v2, 0x8000, v2, v14
	v_lshl_or_b32 v2, v13, 7, v2
	s_delay_alu instid0(VALU_DEP_1)
	v_cvt_f32_f16_e32 v56, v2
.LBB373_3504:                           ;   in Loop: Header=BB373_2082 Depth=1
	s_or_b32 exec_lo, exec_lo, s22
.LBB373_3505:                           ;   in Loop: Header=BB373_2082 Depth=1
	s_delay_alu instid0(SALU_CYCLE_1)
	s_or_b32 exec_lo, exec_lo, s21
.LBB373_3506:                           ;   in Loop: Header=BB373_2082 Depth=1
	s_delay_alu instid0(SALU_CYCLE_1) | instskip(SKIP_2) | instid1(VALU_DEP_1)
	s_or_b32 exec_lo, exec_lo, s19
	v_lshrrev_b32_e32 v47, 16, v11
	s_mov_b32 s19, exec_lo
	v_and_b32_e32 v2, 0xff, v47
	s_delay_alu instid0(VALU_DEP_1)
	v_cmpx_ne_u16_e32 0, v2
	s_cbranch_execz .LBB373_3514
; %bb.3507:                             ;   in Loop: Header=BB373_2082 Depth=1
	v_bfrev_b32_e32 v57, 1
	s_mov_b32 s21, exec_lo
	v_cmpx_ne_u16_e32 0x80, v2
	s_cbranch_execz .LBB373_3513
; %bb.3508:                             ;   in Loop: Header=BB373_2082 Depth=1
	v_bfe_u32 v58, v11, 16, 7
	v_mov_b32_e32 v57, 0x7fc02000
	s_mov_b32 s22, exec_lo
	s_delay_alu instid0(VALU_DEP_2)
	v_cmpx_ne_u32_e32 0x7f, v58
	s_cbranch_execz .LBB373_3512
; %bb.3509:                             ;   in Loop: Header=BB373_2082 Depth=1
	v_and_b32_e32 v2, 7, v47
	v_lshrrev_b32_e32 v57, 3, v58
	v_mov_b32_e32 v14, v3
	s_mov_b32 s23, exec_lo
	s_delay_alu instid0(VALU_DEP_3)
	v_mov_b32_e32 v13, v2
	v_cmpx_gt_u32_e32 8, v58
; %bb.3510:                             ;   in Loop: Header=BB373_2082 Depth=1
	v_clz_i32_u32_e32 v13, v2
	s_delay_alu instid0(VALU_DEP_1) | instskip(NEXT) | instid1(VALU_DEP_1)
	v_min_u32_e32 v167, 32, v13
	v_subrev_nc_u32_e32 v13, 28, v167
	v_sub_nc_u32_e32 v57, 29, v167
	s_delay_alu instid0(VALU_DEP_2) | instskip(NEXT) | instid1(VALU_DEP_1)
	v_lshlrev_b64 v[13:14], v13, v[2:3]
	v_and_b32_e32 v13, 7, v13
; %bb.3511:                             ;   in Loop: Header=BB373_2082 Depth=1
	s_or_b32 exec_lo, exec_lo, s23
	v_lshlrev_b32_e32 v2, 8, v47
	v_lshl_add_u32 v14, v57, 10, 0x2000
	s_delay_alu instid0(VALU_DEP_1) | instskip(NEXT) | instid1(VALU_DEP_1)
	v_and_or_b32 v2, 0x8000, v2, v14
	v_lshl_or_b32 v2, v13, 7, v2
	s_delay_alu instid0(VALU_DEP_1)
	v_cvt_f32_f16_e32 v57, v2
.LBB373_3512:                           ;   in Loop: Header=BB373_2082 Depth=1
	s_or_b32 exec_lo, exec_lo, s22
.LBB373_3513:                           ;   in Loop: Header=BB373_2082 Depth=1
	s_delay_alu instid0(SALU_CYCLE_1)
	s_or_b32 exec_lo, exec_lo, s21
.LBB373_3514:                           ;   in Loop: Header=BB373_2082 Depth=1
	s_delay_alu instid0(SALU_CYCLE_1)
	s_or_b32 exec_lo, exec_lo, s19
	v_dual_mov_b32 v58, 0 :: v_dual_mov_b32 v59, 0
	s_mov_b32 s19, exec_lo
	v_cmpx_lt_u32_e32 0xffffff, v11
	s_cbranch_execz .LBB373_3522
; %bb.3515:                             ;   in Loop: Header=BB373_2082 Depth=1
	v_lshrrev_b32_e32 v47, 24, v11
	v_bfrev_b32_e32 v59, 1
	s_mov_b32 s21, exec_lo
	s_delay_alu instid0(VALU_DEP_2)
	v_cmpx_ne_u32_e32 0x80, v47
	s_cbranch_execz .LBB373_3521
; %bb.3516:                             ;   in Loop: Header=BB373_2082 Depth=1
	v_and_b32_e32 v60, 0x7f, v47
	v_mov_b32_e32 v59, 0x7fc02000
	s_mov_b32 s22, exec_lo
	s_delay_alu instid0(VALU_DEP_2)
	v_cmpx_ne_u32_e32 0x7f, v60
	s_cbranch_execz .LBB373_3520
; %bb.3517:                             ;   in Loop: Header=BB373_2082 Depth=1
	v_and_b32_e32 v2, 7, v47
	v_lshrrev_b32_e32 v59, 3, v60
	v_mov_b32_e32 v14, v3
	s_mov_b32 s23, exec_lo
	s_delay_alu instid0(VALU_DEP_3)
	v_mov_b32_e32 v13, v2
	v_cmpx_gt_u32_e32 8, v60
; %bb.3518:                             ;   in Loop: Header=BB373_2082 Depth=1
	v_clz_i32_u32_e32 v13, v2
	s_delay_alu instid0(VALU_DEP_1) | instskip(NEXT) | instid1(VALU_DEP_1)
	v_min_u32_e32 v167, 32, v13
	v_subrev_nc_u32_e32 v13, 28, v167
	v_sub_nc_u32_e32 v59, 29, v167
	s_delay_alu instid0(VALU_DEP_2) | instskip(NEXT) | instid1(VALU_DEP_1)
	v_lshlrev_b64 v[13:14], v13, v[2:3]
	v_and_b32_e32 v13, 7, v13
; %bb.3519:                             ;   in Loop: Header=BB373_2082 Depth=1
	s_or_b32 exec_lo, exec_lo, s23
	v_lshlrev_b32_e32 v2, 8, v47
	v_lshl_add_u32 v14, v59, 10, 0x2000
	s_delay_alu instid0(VALU_DEP_1) | instskip(NEXT) | instid1(VALU_DEP_1)
	v_and_or_b32 v2, 0x8000, v2, v14
	v_lshl_or_b32 v2, v13, 7, v2
	s_delay_alu instid0(VALU_DEP_1)
	v_cvt_f32_f16_e32 v59, v2
.LBB373_3520:                           ;   in Loop: Header=BB373_2082 Depth=1
	s_or_b32 exec_lo, exec_lo, s22
.LBB373_3521:                           ;   in Loop: Header=BB373_2082 Depth=1
	s_delay_alu instid0(SALU_CYCLE_1)
	s_or_b32 exec_lo, exec_lo, s21
.LBB373_3522:                           ;   in Loop: Header=BB373_2082 Depth=1
	s_delay_alu instid0(SALU_CYCLE_1) | instskip(SKIP_2) | instid1(VALU_DEP_1)
	s_or_b32 exec_lo, exec_lo, s19
	v_dual_mov_b32 v2, v12 :: v_dual_and_b32 v13, 0xff, v12
	s_mov_b32 s19, exec_lo
	v_cmpx_ne_u16_e32 0, v13
	s_cbranch_execz .LBB373_3530
; %bb.3523:                             ;   in Loop: Header=BB373_2082 Depth=1
	v_bfrev_b32_e32 v58, 1
	s_mov_b32 s21, exec_lo
	v_cmpx_ne_u16_e32 0x80, v13
	s_cbranch_execz .LBB373_3529
; %bb.3524:                             ;   in Loop: Header=BB373_2082 Depth=1
	v_and_b32_e32 v47, 0x7f, v12
	v_mov_b32_e32 v58, 0x7fc02000
	s_mov_b32 s22, exec_lo
	s_delay_alu instid0(VALU_DEP_2)
	v_cmpx_ne_u32_e32 0x7f, v47
	s_cbranch_execz .LBB373_3528
; %bb.3525:                             ;   in Loop: Header=BB373_2082 Depth=1
	v_dual_mov_b32 v14, v3 :: v_dual_mov_b32 v13, v2
	v_lshrrev_b32_e32 v14, 3, v47
	s_mov_b32 s23, exec_lo
	v_cmpx_gt_u32_e32 8, v47
; %bb.3526:                             ;   in Loop: Header=BB373_2082 Depth=1
	v_and_b32_e32 v13, 7, v12
	s_delay_alu instid0(VALU_DEP_1) | instskip(NEXT) | instid1(VALU_DEP_1)
	v_clz_i32_u32_e32 v13, v13
	v_min_u32_e32 v167, 32, v13
	s_delay_alu instid0(VALU_DEP_1) | instskip(NEXT) | instid1(VALU_DEP_1)
	v_subrev_nc_u32_e32 v13, 28, v167
	v_lshlrev_b64 v[13:14], v13, v[2:3]
	v_sub_nc_u32_e32 v14, 29, v167
; %bb.3527:                             ;   in Loop: Header=BB373_2082 Depth=1
	s_or_b32 exec_lo, exec_lo, s23
	v_lshlrev_b32_e32 v167, 8, v12
	s_delay_alu instid0(VALU_DEP_2) | instskip(NEXT) | instid1(VALU_DEP_4)
	v_lshl_add_u32 v14, v14, 10, 0x2000
	v_lshlrev_b32_e32 v13, 7, v13
	s_delay_alu instid0(VALU_DEP_2) | instskip(NEXT) | instid1(VALU_DEP_1)
	v_and_or_b32 v14, 0x8000, v167, v14
	v_and_or_b32 v13, 0x380, v13, v14
	s_delay_alu instid0(VALU_DEP_1)
	v_cvt_f32_f16_e32 v58, v13
.LBB373_3528:                           ;   in Loop: Header=BB373_2082 Depth=1
	s_or_b32 exec_lo, exec_lo, s22
.LBB373_3529:                           ;   in Loop: Header=BB373_2082 Depth=1
	s_delay_alu instid0(SALU_CYCLE_1)
	s_or_b32 exec_lo, exec_lo, s21
.LBB373_3530:                           ;   in Loop: Header=BB373_2082 Depth=1
	s_delay_alu instid0(SALU_CYCLE_1) | instskip(SKIP_3) | instid1(VALU_DEP_2)
	s_or_b32 exec_lo, exec_lo, s19
	v_lshrrev_b16 v2, 8, v2
	v_dual_mov_b32 v60, 0 :: v_dual_mov_b32 v61, 0
	s_mov_b32 s19, exec_lo
	v_cmpx_ne_u16_e32 0, v2
	s_cbranch_execz .LBB373_3538
; %bb.3531:                             ;   in Loop: Header=BB373_2082 Depth=1
	v_bfrev_b32_e32 v61, 1
	s_mov_b32 s21, exec_lo
	v_cmpx_ne_u16_e32 0x80, v2
	s_cbranch_execz .LBB373_3537
; %bb.3532:                             ;   in Loop: Header=BB373_2082 Depth=1
	v_and_b32_e32 v47, 0xffff, v2
	v_mov_b32_e32 v61, 0x7fc02000
	s_mov_b32 s22, exec_lo
	s_delay_alu instid0(VALU_DEP_2) | instskip(NEXT) | instid1(VALU_DEP_1)
	v_and_b32_e32 v62, 0x7f, v47
	v_cmpx_ne_u32_e32 0x7f, v62
	s_cbranch_execz .LBB373_3536
; %bb.3533:                             ;   in Loop: Header=BB373_2082 Depth=1
	v_and_b32_e32 v2, 7, v47
	v_lshrrev_b32_e32 v61, 3, v62
	v_mov_b32_e32 v14, v3
	s_mov_b32 s23, exec_lo
	s_delay_alu instid0(VALU_DEP_3)
	v_mov_b32_e32 v13, v2
	v_cmpx_gt_u32_e32 8, v62
; %bb.3534:                             ;   in Loop: Header=BB373_2082 Depth=1
	v_clz_i32_u32_e32 v13, v2
	s_delay_alu instid0(VALU_DEP_1) | instskip(NEXT) | instid1(VALU_DEP_1)
	v_min_u32_e32 v167, 32, v13
	v_subrev_nc_u32_e32 v13, 28, v167
	v_sub_nc_u32_e32 v61, 29, v167
	s_delay_alu instid0(VALU_DEP_2) | instskip(NEXT) | instid1(VALU_DEP_1)
	v_lshlrev_b64 v[13:14], v13, v[2:3]
	v_and_b32_e32 v13, 7, v13
; %bb.3535:                             ;   in Loop: Header=BB373_2082 Depth=1
	s_or_b32 exec_lo, exec_lo, s23
	v_lshlrev_b32_e32 v2, 8, v47
	v_lshl_add_u32 v14, v61, 10, 0x2000
	s_delay_alu instid0(VALU_DEP_1) | instskip(NEXT) | instid1(VALU_DEP_1)
	v_and_or_b32 v2, 0x8000, v2, v14
	v_lshl_or_b32 v2, v13, 7, v2
	s_delay_alu instid0(VALU_DEP_1)
	v_cvt_f32_f16_e32 v61, v2
.LBB373_3536:                           ;   in Loop: Header=BB373_2082 Depth=1
	s_or_b32 exec_lo, exec_lo, s22
.LBB373_3537:                           ;   in Loop: Header=BB373_2082 Depth=1
	s_delay_alu instid0(SALU_CYCLE_1)
	s_or_b32 exec_lo, exec_lo, s21
.LBB373_3538:                           ;   in Loop: Header=BB373_2082 Depth=1
	s_delay_alu instid0(SALU_CYCLE_1) | instskip(SKIP_2) | instid1(VALU_DEP_1)
	s_or_b32 exec_lo, exec_lo, s19
	v_lshrrev_b32_e32 v47, 16, v12
	s_mov_b32 s19, exec_lo
	v_and_b32_e32 v2, 0xff, v47
	s_delay_alu instid0(VALU_DEP_1)
	v_cmpx_ne_u16_e32 0, v2
	s_cbranch_execz .LBB373_3546
; %bb.3539:                             ;   in Loop: Header=BB373_2082 Depth=1
	v_bfrev_b32_e32 v60, 1
	s_mov_b32 s21, exec_lo
	v_cmpx_ne_u16_e32 0x80, v2
	s_cbranch_execz .LBB373_3545
; %bb.3540:                             ;   in Loop: Header=BB373_2082 Depth=1
	v_bfe_u32 v62, v12, 16, 7
	v_mov_b32_e32 v60, 0x7fc02000
	s_mov_b32 s22, exec_lo
	s_delay_alu instid0(VALU_DEP_2)
	v_cmpx_ne_u32_e32 0x7f, v62
	s_cbranch_execz .LBB373_3544
; %bb.3541:                             ;   in Loop: Header=BB373_2082 Depth=1
	v_and_b32_e32 v2, 7, v47
	v_lshrrev_b32_e32 v60, 3, v62
	v_mov_b32_e32 v14, v3
	s_mov_b32 s23, exec_lo
	s_delay_alu instid0(VALU_DEP_3)
	v_mov_b32_e32 v13, v2
	v_cmpx_gt_u32_e32 8, v62
; %bb.3542:                             ;   in Loop: Header=BB373_2082 Depth=1
	v_clz_i32_u32_e32 v13, v2
	s_delay_alu instid0(VALU_DEP_1) | instskip(NEXT) | instid1(VALU_DEP_1)
	v_min_u32_e32 v167, 32, v13
	v_subrev_nc_u32_e32 v13, 28, v167
	v_sub_nc_u32_e32 v60, 29, v167
	s_delay_alu instid0(VALU_DEP_2) | instskip(NEXT) | instid1(VALU_DEP_1)
	v_lshlrev_b64 v[13:14], v13, v[2:3]
	v_and_b32_e32 v13, 7, v13
; %bb.3543:                             ;   in Loop: Header=BB373_2082 Depth=1
	s_or_b32 exec_lo, exec_lo, s23
	v_lshlrev_b32_e32 v2, 8, v47
	v_lshl_add_u32 v14, v60, 10, 0x2000
	s_delay_alu instid0(VALU_DEP_1) | instskip(NEXT) | instid1(VALU_DEP_1)
	v_and_or_b32 v2, 0x8000, v2, v14
	v_lshl_or_b32 v2, v13, 7, v2
	s_delay_alu instid0(VALU_DEP_1)
	v_cvt_f32_f16_e32 v60, v2
.LBB373_3544:                           ;   in Loop: Header=BB373_2082 Depth=1
	s_or_b32 exec_lo, exec_lo, s22
.LBB373_3545:                           ;   in Loop: Header=BB373_2082 Depth=1
	s_delay_alu instid0(SALU_CYCLE_1)
	s_or_b32 exec_lo, exec_lo, s21
.LBB373_3546:                           ;   in Loop: Header=BB373_2082 Depth=1
	s_delay_alu instid0(SALU_CYCLE_1)
	s_or_b32 exec_lo, exec_lo, s19
	v_dual_mov_b32 v47, 0 :: v_dual_mov_b32 v2, 0
	s_mov_b32 s19, exec_lo
	v_cmpx_lt_u64_e64 s[12:13], v[11:12]
	s_cbranch_execz .LBB373_3554
; %bb.3547:                             ;   in Loop: Header=BB373_2082 Depth=1
	v_lshrrev_b32_e32 v13, 24, v12
	v_bfrev_b32_e32 v2, 1
	s_mov_b32 s21, exec_lo
	s_delay_alu instid0(VALU_DEP_2)
	v_cmpx_ne_u32_e32 0x80, v13
	s_cbranch_execz .LBB373_3553
; %bb.3548:                             ;   in Loop: Header=BB373_2082 Depth=1
	v_and_b32_e32 v62, 0x7f, v13
	v_mov_b32_e32 v2, 0x7fc02000
	s_mov_b32 s22, exec_lo
	s_delay_alu instid0(VALU_DEP_2)
	v_cmpx_ne_u32_e32 0x7f, v62
	s_cbranch_execz .LBB373_3552
; %bb.3549:                             ;   in Loop: Header=BB373_2082 Depth=1
	v_and_b32_e32 v2, 7, v13
	v_lshrrev_b32_e32 v14, 3, v62
	v_mov_b32_e32 v12, v3
	s_mov_b32 s23, exec_lo
	s_delay_alu instid0(VALU_DEP_3)
	v_mov_b32_e32 v11, v2
	v_cmpx_gt_u32_e32 8, v62
; %bb.3550:                             ;   in Loop: Header=BB373_2082 Depth=1
	v_clz_i32_u32_e32 v11, v2
	s_delay_alu instid0(VALU_DEP_1) | instskip(NEXT) | instid1(VALU_DEP_1)
	v_min_u32_e32 v14, 32, v11
	v_subrev_nc_u32_e32 v11, 28, v14
	v_sub_nc_u32_e32 v14, 29, v14
	s_delay_alu instid0(VALU_DEP_2) | instskip(NEXT) | instid1(VALU_DEP_1)
	v_lshlrev_b64 v[11:12], v11, v[2:3]
	v_and_b32_e32 v11, 7, v11
; %bb.3551:                             ;   in Loop: Header=BB373_2082 Depth=1
	s_or_b32 exec_lo, exec_lo, s23
	v_lshlrev_b32_e32 v2, 8, v13
	v_lshl_add_u32 v12, v14, 10, 0x2000
	s_delay_alu instid0(VALU_DEP_1) | instskip(NEXT) | instid1(VALU_DEP_1)
	v_and_or_b32 v2, 0x8000, v2, v12
	v_lshl_or_b32 v2, v11, 7, v2
	s_delay_alu instid0(VALU_DEP_1)
	v_cvt_f32_f16_e32 v2, v2
.LBB373_3552:                           ;   in Loop: Header=BB373_2082 Depth=1
	s_or_b32 exec_lo, exec_lo, s22
.LBB373_3553:                           ;   in Loop: Header=BB373_2082 Depth=1
	s_delay_alu instid0(SALU_CYCLE_1)
	s_or_b32 exec_lo, exec_lo, s21
.LBB373_3554:                           ;   in Loop: Header=BB373_2082 Depth=1
	s_delay_alu instid0(SALU_CYCLE_1)
	s_or_b32 exec_lo, exec_lo, s19
	s_waitcnt vmcnt(0) lgkmcnt(0)
	v_fma_mixlo_f16 v11, v6, v59, 0
	v_fma_mixlo_f16 v12, v6, v57, 0
	;; [unrolled: 1-line block ×6, first 2 shown]
	v_lshlrev_b32_e32 v176, 16, v11
	v_and_b32_e32 v56, 0xffff, v12
	v_lshlrev_b32_e32 v57, 16, v13
	v_and_b32_e32 v58, 0xffff, v14
	v_dual_cndmask_b32 v14, 0, v14 :: v_dual_lshlrev_b32 v59, 16, v167
	v_and_b32_e32 v61, 0xffff, v46
	v_fma_mixlo_f16 v2, v6, v2, 0
	v_fma_mixlo_f16 v6, v6, v60, 0
	v_cndmask_b32_e64 v13, 0, v13, s0
	v_cndmask_b32_e64 v12, 0, v12, s2
	;; [unrolled: 1-line block ×3, first 2 shown]
	v_or_b32_e32 v176, v176, v56
	v_or_b32_e32 v56, v57, v58
	;; [unrolled: 1-line block ×3, first 2 shown]
	v_lshlrev_b32_e32 v58, 16, v2
	v_and_b32_e32 v59, 0xffff, v6
	v_cndmask_b32_e64 v46, 0, v46, s6
	v_cndmask_b32_e64 v167, 0, v167, s7
	v_cndmask_b32_e64 v6, 0, v6, s3
	v_cndmask_b32_e64 v2, 0, v2, s5
	v_perm_b32 v13, v13, v14, 0x5040100
	v_perm_b32 v11, v11, v12, 0x5040100
	v_or_b32_e32 v58, v58, v59
	v_perm_b32 v12, v167, v46, 0x5040100
	v_perm_b32 v2, v2, v6, 0x5040100
	v_cndmask_b32_e64 v6, v56, v13, s1
	v_cndmask_b32_e64 v11, v176, v11, s1
	;;#ASMSTART
	v_pk_mul_f16 v6, v130, v6;

	;;#ASMEND
	v_cndmask_b32_e64 v12, v57, v12, s1
	v_cndmask_b32_e64 v2, v58, v2, s1
	;;#ASMSTART
	v_pk_mul_f16 v11, v129, v11;

	;;#ASMEND
	;;#ASMSTART
	v_pk_mul_f16 v12, v128, v12;

	;;#ASMEND
	;;#ASMSTART
	v_pk_mul_f16 v2, v131, v2;

	;;#ASMEND
	;;#ASMSTART
	v_pk_add_f16 v6, v6, v11;

	;;#ASMEND
	v_add_co_u32 v11, s8, v9, v102
	;;#ASMSTART
	v_pk_add_f16 v6, v6, v12;

	;;#ASMEND
	v_add_co_ci_u32_e64 v12, s8, 0, v10, s8
	;;#ASMSTART
	v_pk_add_f16 v2, v6, v2;

	;;#ASMEND
	v_lshrrev_b32_e32 v13, 16, v2
	v_and_b32_e32 v2, 0xffff, v2
	;;#ASMSTART
	v_cvt_f32_f16 v6, v2;
	;;#ASMEND
	;;#ASMSTART
	v_cvt_f32_f16 v46, v13;
	;;#ASMEND
	flat_load_b64 v[11:12], v[11:12]
	flat_load_b32 v56, v[121:122]
	s_mov_b32 s19, exec_lo
	s_waitcnt vmcnt(1) lgkmcnt(1)
	v_and_b32_e32 v2, 0xff, v11
	s_delay_alu instid0(VALU_DEP_1)
	v_cmpx_ne_u16_e32 0, v2
	s_cbranch_execz .LBB373_3562
; %bb.3555:                             ;   in Loop: Header=BB373_2082 Depth=1
	v_bfrev_b32_e32 v47, 1
	s_mov_b32 s21, exec_lo
	v_cmpx_ne_u16_e32 0x80, v2
	s_cbranch_execz .LBB373_3561
; %bb.3556:                             ;   in Loop: Header=BB373_2082 Depth=1
	v_and_b32_e32 v13, 0x7f, v11
	v_mov_b32_e32 v47, 0x7fc02000
	s_mov_b32 s22, exec_lo
	s_delay_alu instid0(VALU_DEP_2)
	v_cmpx_ne_u32_e32 0x7f, v13
	s_cbranch_execz .LBB373_3560
; %bb.3557:                             ;   in Loop: Header=BB373_2082 Depth=1
	v_lshrrev_b32_e32 v2, 3, v13
	v_cmp_gt_u32_e64 s8, 8, v13
	v_dual_mov_b32 v14, v12 :: v_dual_mov_b32 v13, v11
	s_delay_alu instid0(VALU_DEP_2)
	s_and_saveexec_b32 s23, s8
; %bb.3558:                             ;   in Loop: Header=BB373_2082 Depth=1
	v_and_b32_e32 v2, 7, v11
	s_delay_alu instid0(VALU_DEP_1) | instskip(NEXT) | instid1(VALU_DEP_1)
	v_clz_i32_u32_e32 v2, v2
	v_min_u32_e32 v2, 32, v2
	s_delay_alu instid0(VALU_DEP_1) | instskip(SKIP_1) | instid1(VALU_DEP_2)
	v_subrev_nc_u32_e32 v13, 28, v2
	v_sub_nc_u32_e32 v2, 29, v2
	v_lshlrev_b64 v[13:14], v13, v[11:12]
; %bb.3559:                             ;   in Loop: Header=BB373_2082 Depth=1
	s_or_b32 exec_lo, exec_lo, s23
	v_lshlrev_b32_e32 v14, 8, v11
	s_delay_alu instid0(VALU_DEP_3) | instskip(NEXT) | instid1(VALU_DEP_3)
	v_lshl_add_u32 v2, v2, 10, 0x2000
	v_lshlrev_b32_e32 v13, 7, v13
	s_delay_alu instid0(VALU_DEP_2) | instskip(NEXT) | instid1(VALU_DEP_1)
	v_and_or_b32 v2, 0x8000, v14, v2
	v_and_or_b32 v2, 0x380, v13, v2
	s_delay_alu instid0(VALU_DEP_1)
	v_cvt_f32_f16_e32 v47, v2
.LBB373_3560:                           ;   in Loop: Header=BB373_2082 Depth=1
	s_or_b32 exec_lo, exec_lo, s22
.LBB373_3561:                           ;   in Loop: Header=BB373_2082 Depth=1
	s_delay_alu instid0(SALU_CYCLE_1)
	s_or_b32 exec_lo, exec_lo, s21
.LBB373_3562:                           ;   in Loop: Header=BB373_2082 Depth=1
	s_delay_alu instid0(SALU_CYCLE_1) | instskip(SKIP_3) | instid1(VALU_DEP_2)
	s_or_b32 exec_lo, exec_lo, s19
	v_lshrrev_b16 v2, 8, v11
	v_dual_mov_b32 v59, 0 :: v_dual_mov_b32 v58, 0
	s_mov_b32 s19, exec_lo
	v_cmpx_ne_u16_e32 0, v2
	s_cbranch_execz .LBB373_3570
; %bb.3563:                             ;   in Loop: Header=BB373_2082 Depth=1
	v_bfrev_b32_e32 v58, 1
	s_mov_b32 s21, exec_lo
	v_cmpx_ne_u16_e32 0x80, v2
	s_cbranch_execz .LBB373_3569
; %bb.3564:                             ;   in Loop: Header=BB373_2082 Depth=1
	v_and_b32_e32 v57, 0xffff, v2
	v_mov_b32_e32 v58, 0x7fc02000
	s_mov_b32 s22, exec_lo
	s_delay_alu instid0(VALU_DEP_2) | instskip(NEXT) | instid1(VALU_DEP_1)
	v_and_b32_e32 v60, 0x7f, v57
	v_cmpx_ne_u32_e32 0x7f, v60
	s_cbranch_execz .LBB373_3568
; %bb.3565:                             ;   in Loop: Header=BB373_2082 Depth=1
	v_and_b32_e32 v2, 7, v57
	v_lshrrev_b32_e32 v58, 3, v60
	v_mov_b32_e32 v14, v3
	s_mov_b32 s23, exec_lo
	s_delay_alu instid0(VALU_DEP_3)
	v_mov_b32_e32 v13, v2
	v_cmpx_gt_u32_e32 8, v60
; %bb.3566:                             ;   in Loop: Header=BB373_2082 Depth=1
	v_clz_i32_u32_e32 v13, v2
	s_delay_alu instid0(VALU_DEP_1) | instskip(NEXT) | instid1(VALU_DEP_1)
	v_min_u32_e32 v167, 32, v13
	v_subrev_nc_u32_e32 v13, 28, v167
	v_sub_nc_u32_e32 v58, 29, v167
	s_delay_alu instid0(VALU_DEP_2) | instskip(NEXT) | instid1(VALU_DEP_1)
	v_lshlrev_b64 v[13:14], v13, v[2:3]
	v_and_b32_e32 v13, 7, v13
; %bb.3567:                             ;   in Loop: Header=BB373_2082 Depth=1
	s_or_b32 exec_lo, exec_lo, s23
	v_lshlrev_b32_e32 v2, 8, v57
	v_lshl_add_u32 v14, v58, 10, 0x2000
	s_delay_alu instid0(VALU_DEP_1) | instskip(NEXT) | instid1(VALU_DEP_1)
	v_and_or_b32 v2, 0x8000, v2, v14
	v_lshl_or_b32 v2, v13, 7, v2
	s_delay_alu instid0(VALU_DEP_1)
	v_cvt_f32_f16_e32 v58, v2
.LBB373_3568:                           ;   in Loop: Header=BB373_2082 Depth=1
	s_or_b32 exec_lo, exec_lo, s22
.LBB373_3569:                           ;   in Loop: Header=BB373_2082 Depth=1
	s_delay_alu instid0(SALU_CYCLE_1)
	s_or_b32 exec_lo, exec_lo, s21
.LBB373_3570:                           ;   in Loop: Header=BB373_2082 Depth=1
	s_delay_alu instid0(SALU_CYCLE_1) | instskip(SKIP_2) | instid1(VALU_DEP_1)
	s_or_b32 exec_lo, exec_lo, s19
	v_lshrrev_b32_e32 v57, 16, v11
	s_mov_b32 s19, exec_lo
	v_and_b32_e32 v2, 0xff, v57
	s_delay_alu instid0(VALU_DEP_1)
	v_cmpx_ne_u16_e32 0, v2
	s_cbranch_execz .LBB373_3578
; %bb.3571:                             ;   in Loop: Header=BB373_2082 Depth=1
	v_bfrev_b32_e32 v59, 1
	s_mov_b32 s21, exec_lo
	v_cmpx_ne_u16_e32 0x80, v2
	s_cbranch_execz .LBB373_3577
; %bb.3572:                             ;   in Loop: Header=BB373_2082 Depth=1
	v_bfe_u32 v60, v11, 16, 7
	v_mov_b32_e32 v59, 0x7fc02000
	s_mov_b32 s22, exec_lo
	s_delay_alu instid0(VALU_DEP_2)
	v_cmpx_ne_u32_e32 0x7f, v60
	s_cbranch_execz .LBB373_3576
; %bb.3573:                             ;   in Loop: Header=BB373_2082 Depth=1
	v_and_b32_e32 v2, 7, v57
	v_lshrrev_b32_e32 v59, 3, v60
	v_mov_b32_e32 v14, v3
	s_mov_b32 s23, exec_lo
	s_delay_alu instid0(VALU_DEP_3)
	v_mov_b32_e32 v13, v2
	v_cmpx_gt_u32_e32 8, v60
; %bb.3574:                             ;   in Loop: Header=BB373_2082 Depth=1
	v_clz_i32_u32_e32 v13, v2
	s_delay_alu instid0(VALU_DEP_1) | instskip(NEXT) | instid1(VALU_DEP_1)
	v_min_u32_e32 v167, 32, v13
	v_subrev_nc_u32_e32 v13, 28, v167
	v_sub_nc_u32_e32 v59, 29, v167
	s_delay_alu instid0(VALU_DEP_2) | instskip(NEXT) | instid1(VALU_DEP_1)
	v_lshlrev_b64 v[13:14], v13, v[2:3]
	v_and_b32_e32 v13, 7, v13
; %bb.3575:                             ;   in Loop: Header=BB373_2082 Depth=1
	s_or_b32 exec_lo, exec_lo, s23
	v_lshlrev_b32_e32 v2, 8, v57
	v_lshl_add_u32 v14, v59, 10, 0x2000
	s_delay_alu instid0(VALU_DEP_1) | instskip(NEXT) | instid1(VALU_DEP_1)
	v_and_or_b32 v2, 0x8000, v2, v14
	v_lshl_or_b32 v2, v13, 7, v2
	s_delay_alu instid0(VALU_DEP_1)
	v_cvt_f32_f16_e32 v59, v2
.LBB373_3576:                           ;   in Loop: Header=BB373_2082 Depth=1
	s_or_b32 exec_lo, exec_lo, s22
.LBB373_3577:                           ;   in Loop: Header=BB373_2082 Depth=1
	s_delay_alu instid0(SALU_CYCLE_1)
	s_or_b32 exec_lo, exec_lo, s21
.LBB373_3578:                           ;   in Loop: Header=BB373_2082 Depth=1
	s_delay_alu instid0(SALU_CYCLE_1)
	s_or_b32 exec_lo, exec_lo, s19
	v_dual_mov_b32 v60, 0 :: v_dual_mov_b32 v61, 0
	s_mov_b32 s19, exec_lo
	v_cmpx_lt_u32_e32 0xffffff, v11
	s_cbranch_execz .LBB373_3586
; %bb.3579:                             ;   in Loop: Header=BB373_2082 Depth=1
	v_lshrrev_b32_e32 v57, 24, v11
	v_bfrev_b32_e32 v61, 1
	s_mov_b32 s21, exec_lo
	s_delay_alu instid0(VALU_DEP_2)
	v_cmpx_ne_u32_e32 0x80, v57
	s_cbranch_execz .LBB373_3585
; %bb.3580:                             ;   in Loop: Header=BB373_2082 Depth=1
	v_and_b32_e32 v62, 0x7f, v57
	v_mov_b32_e32 v61, 0x7fc02000
	s_mov_b32 s22, exec_lo
	s_delay_alu instid0(VALU_DEP_2)
	v_cmpx_ne_u32_e32 0x7f, v62
	s_cbranch_execz .LBB373_3584
; %bb.3581:                             ;   in Loop: Header=BB373_2082 Depth=1
	v_and_b32_e32 v2, 7, v57
	v_lshrrev_b32_e32 v61, 3, v62
	v_mov_b32_e32 v14, v3
	s_mov_b32 s23, exec_lo
	s_delay_alu instid0(VALU_DEP_3)
	v_mov_b32_e32 v13, v2
	v_cmpx_gt_u32_e32 8, v62
; %bb.3582:                             ;   in Loop: Header=BB373_2082 Depth=1
	v_clz_i32_u32_e32 v13, v2
	s_delay_alu instid0(VALU_DEP_1) | instskip(NEXT) | instid1(VALU_DEP_1)
	v_min_u32_e32 v167, 32, v13
	v_subrev_nc_u32_e32 v13, 28, v167
	v_sub_nc_u32_e32 v61, 29, v167
	s_delay_alu instid0(VALU_DEP_2) | instskip(NEXT) | instid1(VALU_DEP_1)
	v_lshlrev_b64 v[13:14], v13, v[2:3]
	v_and_b32_e32 v13, 7, v13
; %bb.3583:                             ;   in Loop: Header=BB373_2082 Depth=1
	s_or_b32 exec_lo, exec_lo, s23
	v_lshlrev_b32_e32 v2, 8, v57
	v_lshl_add_u32 v14, v61, 10, 0x2000
	s_delay_alu instid0(VALU_DEP_1) | instskip(NEXT) | instid1(VALU_DEP_1)
	v_and_or_b32 v2, 0x8000, v2, v14
	v_lshl_or_b32 v2, v13, 7, v2
	s_delay_alu instid0(VALU_DEP_1)
	v_cvt_f32_f16_e32 v61, v2
.LBB373_3584:                           ;   in Loop: Header=BB373_2082 Depth=1
	s_or_b32 exec_lo, exec_lo, s22
.LBB373_3585:                           ;   in Loop: Header=BB373_2082 Depth=1
	s_delay_alu instid0(SALU_CYCLE_1)
	s_or_b32 exec_lo, exec_lo, s21
.LBB373_3586:                           ;   in Loop: Header=BB373_2082 Depth=1
	s_delay_alu instid0(SALU_CYCLE_1) | instskip(SKIP_2) | instid1(VALU_DEP_1)
	s_or_b32 exec_lo, exec_lo, s19
	v_dual_mov_b32 v2, v12 :: v_dual_and_b32 v13, 0xff, v12
	s_mov_b32 s19, exec_lo
	v_cmpx_ne_u16_e32 0, v13
	s_cbranch_execz .LBB373_3594
; %bb.3587:                             ;   in Loop: Header=BB373_2082 Depth=1
	v_bfrev_b32_e32 v60, 1
	s_mov_b32 s21, exec_lo
	v_cmpx_ne_u16_e32 0x80, v13
	s_cbranch_execz .LBB373_3593
; %bb.3588:                             ;   in Loop: Header=BB373_2082 Depth=1
	v_and_b32_e32 v57, 0x7f, v12
	v_mov_b32_e32 v60, 0x7fc02000
	s_mov_b32 s22, exec_lo
	s_delay_alu instid0(VALU_DEP_2)
	v_cmpx_ne_u32_e32 0x7f, v57
	s_cbranch_execz .LBB373_3592
; %bb.3589:                             ;   in Loop: Header=BB373_2082 Depth=1
	v_dual_mov_b32 v14, v3 :: v_dual_mov_b32 v13, v2
	v_lshrrev_b32_e32 v14, 3, v57
	s_mov_b32 s23, exec_lo
	v_cmpx_gt_u32_e32 8, v57
; %bb.3590:                             ;   in Loop: Header=BB373_2082 Depth=1
	v_and_b32_e32 v13, 7, v12
	s_delay_alu instid0(VALU_DEP_1) | instskip(NEXT) | instid1(VALU_DEP_1)
	v_clz_i32_u32_e32 v13, v13
	v_min_u32_e32 v167, 32, v13
	s_delay_alu instid0(VALU_DEP_1) | instskip(NEXT) | instid1(VALU_DEP_1)
	v_subrev_nc_u32_e32 v13, 28, v167
	v_lshlrev_b64 v[13:14], v13, v[2:3]
	v_sub_nc_u32_e32 v14, 29, v167
; %bb.3591:                             ;   in Loop: Header=BB373_2082 Depth=1
	s_or_b32 exec_lo, exec_lo, s23
	v_lshlrev_b32_e32 v167, 8, v12
	s_delay_alu instid0(VALU_DEP_2) | instskip(NEXT) | instid1(VALU_DEP_4)
	v_lshl_add_u32 v14, v14, 10, 0x2000
	v_lshlrev_b32_e32 v13, 7, v13
	s_delay_alu instid0(VALU_DEP_2) | instskip(NEXT) | instid1(VALU_DEP_1)
	v_and_or_b32 v14, 0x8000, v167, v14
	v_and_or_b32 v13, 0x380, v13, v14
	s_delay_alu instid0(VALU_DEP_1)
	v_cvt_f32_f16_e32 v60, v13
.LBB373_3592:                           ;   in Loop: Header=BB373_2082 Depth=1
	s_or_b32 exec_lo, exec_lo, s22
.LBB373_3593:                           ;   in Loop: Header=BB373_2082 Depth=1
	s_delay_alu instid0(SALU_CYCLE_1)
	s_or_b32 exec_lo, exec_lo, s21
.LBB373_3594:                           ;   in Loop: Header=BB373_2082 Depth=1
	s_delay_alu instid0(SALU_CYCLE_1) | instskip(SKIP_3) | instid1(VALU_DEP_2)
	s_or_b32 exec_lo, exec_lo, s19
	v_lshrrev_b16 v2, 8, v2
	v_dual_mov_b32 v62, 0 :: v_dual_mov_b32 v63, 0
	s_mov_b32 s19, exec_lo
	v_cmpx_ne_u16_e32 0, v2
	s_cbranch_execz .LBB373_3602
; %bb.3595:                             ;   in Loop: Header=BB373_2082 Depth=1
	v_bfrev_b32_e32 v63, 1
	s_mov_b32 s21, exec_lo
	v_cmpx_ne_u16_e32 0x80, v2
	s_cbranch_execz .LBB373_3601
; %bb.3596:                             ;   in Loop: Header=BB373_2082 Depth=1
	v_and_b32_e32 v57, 0xffff, v2
	v_mov_b32_e32 v63, 0x7fc02000
	s_mov_b32 s22, exec_lo
	s_delay_alu instid0(VALU_DEP_2) | instskip(NEXT) | instid1(VALU_DEP_1)
	v_and_b32_e32 v72, 0x7f, v57
	v_cmpx_ne_u32_e32 0x7f, v72
	s_cbranch_execz .LBB373_3600
; %bb.3597:                             ;   in Loop: Header=BB373_2082 Depth=1
	v_and_b32_e32 v2, 7, v57
	v_lshrrev_b32_e32 v63, 3, v72
	v_mov_b32_e32 v14, v3
	s_mov_b32 s23, exec_lo
	s_delay_alu instid0(VALU_DEP_3)
	v_mov_b32_e32 v13, v2
	v_cmpx_gt_u32_e32 8, v72
; %bb.3598:                             ;   in Loop: Header=BB373_2082 Depth=1
	v_clz_i32_u32_e32 v13, v2
	s_delay_alu instid0(VALU_DEP_1) | instskip(NEXT) | instid1(VALU_DEP_1)
	v_min_u32_e32 v167, 32, v13
	v_subrev_nc_u32_e32 v13, 28, v167
	v_sub_nc_u32_e32 v63, 29, v167
	s_delay_alu instid0(VALU_DEP_2) | instskip(NEXT) | instid1(VALU_DEP_1)
	v_lshlrev_b64 v[13:14], v13, v[2:3]
	v_and_b32_e32 v13, 7, v13
; %bb.3599:                             ;   in Loop: Header=BB373_2082 Depth=1
	s_or_b32 exec_lo, exec_lo, s23
	v_lshlrev_b32_e32 v2, 8, v57
	v_lshl_add_u32 v14, v63, 10, 0x2000
	s_delay_alu instid0(VALU_DEP_1) | instskip(NEXT) | instid1(VALU_DEP_1)
	v_and_or_b32 v2, 0x8000, v2, v14
	v_lshl_or_b32 v2, v13, 7, v2
	s_delay_alu instid0(VALU_DEP_1)
	v_cvt_f32_f16_e32 v63, v2
.LBB373_3600:                           ;   in Loop: Header=BB373_2082 Depth=1
	s_or_b32 exec_lo, exec_lo, s22
.LBB373_3601:                           ;   in Loop: Header=BB373_2082 Depth=1
	s_delay_alu instid0(SALU_CYCLE_1)
	s_or_b32 exec_lo, exec_lo, s21
.LBB373_3602:                           ;   in Loop: Header=BB373_2082 Depth=1
	s_delay_alu instid0(SALU_CYCLE_1) | instskip(SKIP_2) | instid1(VALU_DEP_1)
	s_or_b32 exec_lo, exec_lo, s19
	v_lshrrev_b32_e32 v57, 16, v12
	s_mov_b32 s19, exec_lo
	v_and_b32_e32 v2, 0xff, v57
	s_delay_alu instid0(VALU_DEP_1)
	v_cmpx_ne_u16_e32 0, v2
	s_cbranch_execz .LBB373_3610
; %bb.3603:                             ;   in Loop: Header=BB373_2082 Depth=1
	v_bfrev_b32_e32 v62, 1
	s_mov_b32 s21, exec_lo
	v_cmpx_ne_u16_e32 0x80, v2
	s_cbranch_execz .LBB373_3609
; %bb.3604:                             ;   in Loop: Header=BB373_2082 Depth=1
	v_bfe_u32 v72, v12, 16, 7
	v_mov_b32_e32 v62, 0x7fc02000
	s_mov_b32 s22, exec_lo
	s_delay_alu instid0(VALU_DEP_2)
	v_cmpx_ne_u32_e32 0x7f, v72
	s_cbranch_execz .LBB373_3608
; %bb.3605:                             ;   in Loop: Header=BB373_2082 Depth=1
	v_and_b32_e32 v2, 7, v57
	v_lshrrev_b32_e32 v62, 3, v72
	v_mov_b32_e32 v14, v3
	s_mov_b32 s23, exec_lo
	s_delay_alu instid0(VALU_DEP_3)
	v_mov_b32_e32 v13, v2
	v_cmpx_gt_u32_e32 8, v72
; %bb.3606:                             ;   in Loop: Header=BB373_2082 Depth=1
	v_clz_i32_u32_e32 v13, v2
	s_delay_alu instid0(VALU_DEP_1) | instskip(NEXT) | instid1(VALU_DEP_1)
	v_min_u32_e32 v167, 32, v13
	v_subrev_nc_u32_e32 v13, 28, v167
	v_sub_nc_u32_e32 v62, 29, v167
	s_delay_alu instid0(VALU_DEP_2) | instskip(NEXT) | instid1(VALU_DEP_1)
	v_lshlrev_b64 v[13:14], v13, v[2:3]
	v_and_b32_e32 v13, 7, v13
; %bb.3607:                             ;   in Loop: Header=BB373_2082 Depth=1
	s_or_b32 exec_lo, exec_lo, s23
	v_lshlrev_b32_e32 v2, 8, v57
	v_lshl_add_u32 v14, v62, 10, 0x2000
	s_delay_alu instid0(VALU_DEP_1) | instskip(NEXT) | instid1(VALU_DEP_1)
	v_and_or_b32 v2, 0x8000, v2, v14
	v_lshl_or_b32 v2, v13, 7, v2
	s_delay_alu instid0(VALU_DEP_1)
	v_cvt_f32_f16_e32 v62, v2
.LBB373_3608:                           ;   in Loop: Header=BB373_2082 Depth=1
	s_or_b32 exec_lo, exec_lo, s22
.LBB373_3609:                           ;   in Loop: Header=BB373_2082 Depth=1
	s_delay_alu instid0(SALU_CYCLE_1)
	s_or_b32 exec_lo, exec_lo, s21
.LBB373_3610:                           ;   in Loop: Header=BB373_2082 Depth=1
	s_delay_alu instid0(SALU_CYCLE_1)
	s_or_b32 exec_lo, exec_lo, s19
	v_dual_mov_b32 v57, 0 :: v_dual_mov_b32 v2, 0
	s_mov_b32 s19, exec_lo
	v_cmpx_lt_u64_e64 s[12:13], v[11:12]
	s_cbranch_execz .LBB373_3618
; %bb.3611:                             ;   in Loop: Header=BB373_2082 Depth=1
	v_lshrrev_b32_e32 v13, 24, v12
	v_bfrev_b32_e32 v2, 1
	s_mov_b32 s21, exec_lo
	s_delay_alu instid0(VALU_DEP_2)
	v_cmpx_ne_u32_e32 0x80, v13
	s_cbranch_execz .LBB373_3617
; %bb.3612:                             ;   in Loop: Header=BB373_2082 Depth=1
	v_and_b32_e32 v72, 0x7f, v13
	v_mov_b32_e32 v2, 0x7fc02000
	s_mov_b32 s22, exec_lo
	s_delay_alu instid0(VALU_DEP_2)
	v_cmpx_ne_u32_e32 0x7f, v72
	s_cbranch_execz .LBB373_3616
; %bb.3613:                             ;   in Loop: Header=BB373_2082 Depth=1
	v_and_b32_e32 v2, 7, v13
	v_lshrrev_b32_e32 v14, 3, v72
	v_mov_b32_e32 v12, v3
	s_mov_b32 s23, exec_lo
	s_delay_alu instid0(VALU_DEP_3)
	v_mov_b32_e32 v11, v2
	v_cmpx_gt_u32_e32 8, v72
; %bb.3614:                             ;   in Loop: Header=BB373_2082 Depth=1
	v_clz_i32_u32_e32 v11, v2
	s_delay_alu instid0(VALU_DEP_1) | instskip(NEXT) | instid1(VALU_DEP_1)
	v_min_u32_e32 v14, 32, v11
	v_subrev_nc_u32_e32 v11, 28, v14
	v_sub_nc_u32_e32 v14, 29, v14
	s_delay_alu instid0(VALU_DEP_2) | instskip(NEXT) | instid1(VALU_DEP_1)
	v_lshlrev_b64 v[11:12], v11, v[2:3]
	v_and_b32_e32 v11, 7, v11
; %bb.3615:                             ;   in Loop: Header=BB373_2082 Depth=1
	s_or_b32 exec_lo, exec_lo, s23
	v_lshlrev_b32_e32 v2, 8, v13
	v_lshl_add_u32 v12, v14, 10, 0x2000
	s_delay_alu instid0(VALU_DEP_1) | instskip(NEXT) | instid1(VALU_DEP_1)
	v_and_or_b32 v2, 0x8000, v2, v12
	v_lshl_or_b32 v2, v11, 7, v2
	s_delay_alu instid0(VALU_DEP_1)
	v_cvt_f32_f16_e32 v2, v2
.LBB373_3616:                           ;   in Loop: Header=BB373_2082 Depth=1
	s_or_b32 exec_lo, exec_lo, s22
.LBB373_3617:                           ;   in Loop: Header=BB373_2082 Depth=1
	s_delay_alu instid0(SALU_CYCLE_1)
	s_or_b32 exec_lo, exec_lo, s21
.LBB373_3618:                           ;   in Loop: Header=BB373_2082 Depth=1
	s_delay_alu instid0(SALU_CYCLE_1)
	s_or_b32 exec_lo, exec_lo, s19
	s_waitcnt vmcnt(0) lgkmcnt(0)
	v_fma_mixlo_f16 v11, v56, v61, 0
	v_fma_mixlo_f16 v12, v56, v59, 0
	;; [unrolled: 1-line block ×6, first 2 shown]
	v_lshlrev_b32_e32 v176, 16, v11
	v_and_b32_e32 v58, 0xffff, v12
	v_lshlrev_b32_e32 v59, 16, v13
	v_and_b32_e32 v60, 0xffff, v14
	v_dual_cndmask_b32 v14, 0, v14 :: v_dual_lshlrev_b32 v61, 16, v167
	v_and_b32_e32 v63, 0xffff, v47
	v_fma_mixlo_f16 v2, v56, v2, 0
	v_fma_mixlo_f16 v56, v56, v62, 0
	v_cndmask_b32_e64 v13, 0, v13, s0
	v_cndmask_b32_e64 v12, 0, v12, s2
	;; [unrolled: 1-line block ×3, first 2 shown]
	v_or_b32_e32 v176, v176, v58
	v_or_b32_e32 v58, v59, v60
	;; [unrolled: 1-line block ×3, first 2 shown]
	v_lshlrev_b32_e32 v60, 16, v2
	v_and_b32_e32 v61, 0xffff, v56
	v_cndmask_b32_e64 v47, 0, v47, s6
	v_cndmask_b32_e64 v167, 0, v167, s7
	;; [unrolled: 1-line block ×4, first 2 shown]
	v_perm_b32 v13, v13, v14, 0x5040100
	v_perm_b32 v11, v11, v12, 0x5040100
	v_or_b32_e32 v60, v60, v61
	v_perm_b32 v12, v167, v47, 0x5040100
	v_perm_b32 v2, v2, v56, 0x5040100
	v_cndmask_b32_e64 v13, v58, v13, s1
	v_cndmask_b32_e64 v11, v176, v11, s1
	;;#ASMSTART
	v_pk_mul_f16 v13, v130, v13;

	;;#ASMEND
	v_cndmask_b32_e64 v12, v59, v12, s1
	v_cndmask_b32_e64 v2, v60, v2, s1
	;;#ASMSTART
	v_pk_mul_f16 v11, v129, v11;

	;;#ASMEND
	;;#ASMSTART
	v_pk_mul_f16 v12, v128, v12;

	;;#ASMEND
	;; [unrolled: 4-line block ×3, first 2 shown]
	;;#ASMSTART
	v_pk_add_f16 v11, v13, v11;

	;;#ASMEND
	;;#ASMSTART
	v_pk_add_f16 v11, v11, v12;

	;;#ASMEND
	;; [unrolled: 4-line block ×3, first 2 shown]
	v_add_co_u32 v11, s8, v9, v103
	s_delay_alu instid0(VALU_DEP_1)
	v_add_co_ci_u32_e64 v12, s8, 0, v10, s8
	v_lshrrev_b32_e32 v13, 16, v2
	v_and_b32_e32 v2, 0xffff, v2
	;;#ASMSTART
	v_cvt_f32_f16 v47, v2;
	;;#ASMEND
	;;#ASMSTART
	v_cvt_f32_f16 v56, v13;
	;;#ASMEND
	flat_load_b64 v[11:12], v[11:12]
	flat_load_b32 v58, v[121:122]
	s_mov_b32 s19, exec_lo
	s_waitcnt vmcnt(1) lgkmcnt(1)
	v_and_b32_e32 v2, 0xff, v11
	s_delay_alu instid0(VALU_DEP_1)
	v_cmpx_ne_u16_e32 0, v2
	s_cbranch_execz .LBB373_3626
; %bb.3619:                             ;   in Loop: Header=BB373_2082 Depth=1
	v_bfrev_b32_e32 v57, 1
	s_mov_b32 s21, exec_lo
	v_cmpx_ne_u16_e32 0x80, v2
	s_cbranch_execz .LBB373_3625
; %bb.3620:                             ;   in Loop: Header=BB373_2082 Depth=1
	v_and_b32_e32 v13, 0x7f, v11
	v_mov_b32_e32 v57, 0x7fc02000
	s_mov_b32 s22, exec_lo
	s_delay_alu instid0(VALU_DEP_2)
	v_cmpx_ne_u32_e32 0x7f, v13
	s_cbranch_execz .LBB373_3624
; %bb.3621:                             ;   in Loop: Header=BB373_2082 Depth=1
	v_lshrrev_b32_e32 v2, 3, v13
	v_cmp_gt_u32_e64 s8, 8, v13
	v_dual_mov_b32 v14, v12 :: v_dual_mov_b32 v13, v11
	s_delay_alu instid0(VALU_DEP_2)
	s_and_saveexec_b32 s23, s8
; %bb.3622:                             ;   in Loop: Header=BB373_2082 Depth=1
	v_and_b32_e32 v2, 7, v11
	s_delay_alu instid0(VALU_DEP_1) | instskip(NEXT) | instid1(VALU_DEP_1)
	v_clz_i32_u32_e32 v2, v2
	v_min_u32_e32 v2, 32, v2
	s_delay_alu instid0(VALU_DEP_1) | instskip(SKIP_1) | instid1(VALU_DEP_2)
	v_subrev_nc_u32_e32 v13, 28, v2
	v_sub_nc_u32_e32 v2, 29, v2
	v_lshlrev_b64 v[13:14], v13, v[11:12]
; %bb.3623:                             ;   in Loop: Header=BB373_2082 Depth=1
	s_or_b32 exec_lo, exec_lo, s23
	v_lshlrev_b32_e32 v14, 8, v11
	s_delay_alu instid0(VALU_DEP_3) | instskip(NEXT) | instid1(VALU_DEP_3)
	v_lshl_add_u32 v2, v2, 10, 0x2000
	v_lshlrev_b32_e32 v13, 7, v13
	s_delay_alu instid0(VALU_DEP_2) | instskip(NEXT) | instid1(VALU_DEP_1)
	v_and_or_b32 v2, 0x8000, v14, v2
	v_and_or_b32 v2, 0x380, v13, v2
	s_delay_alu instid0(VALU_DEP_1)
	v_cvt_f32_f16_e32 v57, v2
.LBB373_3624:                           ;   in Loop: Header=BB373_2082 Depth=1
	s_or_b32 exec_lo, exec_lo, s22
.LBB373_3625:                           ;   in Loop: Header=BB373_2082 Depth=1
	s_delay_alu instid0(SALU_CYCLE_1)
	s_or_b32 exec_lo, exec_lo, s21
.LBB373_3626:                           ;   in Loop: Header=BB373_2082 Depth=1
	s_delay_alu instid0(SALU_CYCLE_1) | instskip(SKIP_3) | instid1(VALU_DEP_2)
	s_or_b32 exec_lo, exec_lo, s19
	v_lshrrev_b16 v2, 8, v11
	v_dual_mov_b32 v61, 0 :: v_dual_mov_b32 v60, 0
	s_mov_b32 s19, exec_lo
	v_cmpx_ne_u16_e32 0, v2
	s_cbranch_execz .LBB373_3634
; %bb.3627:                             ;   in Loop: Header=BB373_2082 Depth=1
	v_bfrev_b32_e32 v60, 1
	s_mov_b32 s21, exec_lo
	v_cmpx_ne_u16_e32 0x80, v2
	s_cbranch_execz .LBB373_3633
; %bb.3628:                             ;   in Loop: Header=BB373_2082 Depth=1
	v_and_b32_e32 v59, 0xffff, v2
	v_mov_b32_e32 v60, 0x7fc02000
	s_mov_b32 s22, exec_lo
	s_delay_alu instid0(VALU_DEP_2) | instskip(NEXT) | instid1(VALU_DEP_1)
	v_and_b32_e32 v62, 0x7f, v59
	v_cmpx_ne_u32_e32 0x7f, v62
	s_cbranch_execz .LBB373_3632
; %bb.3629:                             ;   in Loop: Header=BB373_2082 Depth=1
	v_and_b32_e32 v2, 7, v59
	v_lshrrev_b32_e32 v60, 3, v62
	v_mov_b32_e32 v14, v3
	s_mov_b32 s23, exec_lo
	s_delay_alu instid0(VALU_DEP_3)
	v_mov_b32_e32 v13, v2
	v_cmpx_gt_u32_e32 8, v62
; %bb.3630:                             ;   in Loop: Header=BB373_2082 Depth=1
	v_clz_i32_u32_e32 v13, v2
	s_delay_alu instid0(VALU_DEP_1) | instskip(NEXT) | instid1(VALU_DEP_1)
	v_min_u32_e32 v167, 32, v13
	v_subrev_nc_u32_e32 v13, 28, v167
	v_sub_nc_u32_e32 v60, 29, v167
	s_delay_alu instid0(VALU_DEP_2) | instskip(NEXT) | instid1(VALU_DEP_1)
	v_lshlrev_b64 v[13:14], v13, v[2:3]
	v_and_b32_e32 v13, 7, v13
; %bb.3631:                             ;   in Loop: Header=BB373_2082 Depth=1
	s_or_b32 exec_lo, exec_lo, s23
	v_lshlrev_b32_e32 v2, 8, v59
	v_lshl_add_u32 v14, v60, 10, 0x2000
	s_delay_alu instid0(VALU_DEP_1) | instskip(NEXT) | instid1(VALU_DEP_1)
	v_and_or_b32 v2, 0x8000, v2, v14
	v_lshl_or_b32 v2, v13, 7, v2
	s_delay_alu instid0(VALU_DEP_1)
	v_cvt_f32_f16_e32 v60, v2
.LBB373_3632:                           ;   in Loop: Header=BB373_2082 Depth=1
	s_or_b32 exec_lo, exec_lo, s22
.LBB373_3633:                           ;   in Loop: Header=BB373_2082 Depth=1
	s_delay_alu instid0(SALU_CYCLE_1)
	s_or_b32 exec_lo, exec_lo, s21
.LBB373_3634:                           ;   in Loop: Header=BB373_2082 Depth=1
	s_delay_alu instid0(SALU_CYCLE_1) | instskip(SKIP_2) | instid1(VALU_DEP_1)
	s_or_b32 exec_lo, exec_lo, s19
	v_lshrrev_b32_e32 v59, 16, v11
	s_mov_b32 s19, exec_lo
	v_and_b32_e32 v2, 0xff, v59
	s_delay_alu instid0(VALU_DEP_1)
	v_cmpx_ne_u16_e32 0, v2
	s_cbranch_execz .LBB373_3642
; %bb.3635:                             ;   in Loop: Header=BB373_2082 Depth=1
	v_bfrev_b32_e32 v61, 1
	s_mov_b32 s21, exec_lo
	v_cmpx_ne_u16_e32 0x80, v2
	s_cbranch_execz .LBB373_3641
; %bb.3636:                             ;   in Loop: Header=BB373_2082 Depth=1
	v_bfe_u32 v62, v11, 16, 7
	v_mov_b32_e32 v61, 0x7fc02000
	s_mov_b32 s22, exec_lo
	s_delay_alu instid0(VALU_DEP_2)
	v_cmpx_ne_u32_e32 0x7f, v62
	s_cbranch_execz .LBB373_3640
; %bb.3637:                             ;   in Loop: Header=BB373_2082 Depth=1
	v_and_b32_e32 v2, 7, v59
	v_lshrrev_b32_e32 v61, 3, v62
	v_mov_b32_e32 v14, v3
	s_mov_b32 s23, exec_lo
	s_delay_alu instid0(VALU_DEP_3)
	v_mov_b32_e32 v13, v2
	v_cmpx_gt_u32_e32 8, v62
; %bb.3638:                             ;   in Loop: Header=BB373_2082 Depth=1
	v_clz_i32_u32_e32 v13, v2
	s_delay_alu instid0(VALU_DEP_1) | instskip(NEXT) | instid1(VALU_DEP_1)
	v_min_u32_e32 v167, 32, v13
	v_subrev_nc_u32_e32 v13, 28, v167
	v_sub_nc_u32_e32 v61, 29, v167
	s_delay_alu instid0(VALU_DEP_2) | instskip(NEXT) | instid1(VALU_DEP_1)
	v_lshlrev_b64 v[13:14], v13, v[2:3]
	v_and_b32_e32 v13, 7, v13
; %bb.3639:                             ;   in Loop: Header=BB373_2082 Depth=1
	s_or_b32 exec_lo, exec_lo, s23
	v_lshlrev_b32_e32 v2, 8, v59
	v_lshl_add_u32 v14, v61, 10, 0x2000
	s_delay_alu instid0(VALU_DEP_1) | instskip(NEXT) | instid1(VALU_DEP_1)
	v_and_or_b32 v2, 0x8000, v2, v14
	v_lshl_or_b32 v2, v13, 7, v2
	s_delay_alu instid0(VALU_DEP_1)
	v_cvt_f32_f16_e32 v61, v2
.LBB373_3640:                           ;   in Loop: Header=BB373_2082 Depth=1
	s_or_b32 exec_lo, exec_lo, s22
.LBB373_3641:                           ;   in Loop: Header=BB373_2082 Depth=1
	s_delay_alu instid0(SALU_CYCLE_1)
	s_or_b32 exec_lo, exec_lo, s21
.LBB373_3642:                           ;   in Loop: Header=BB373_2082 Depth=1
	s_delay_alu instid0(SALU_CYCLE_1)
	s_or_b32 exec_lo, exec_lo, s19
	v_dual_mov_b32 v62, 0 :: v_dual_mov_b32 v63, 0
	s_mov_b32 s19, exec_lo
	v_cmpx_lt_u32_e32 0xffffff, v11
	s_cbranch_execz .LBB373_3650
; %bb.3643:                             ;   in Loop: Header=BB373_2082 Depth=1
	v_lshrrev_b32_e32 v59, 24, v11
	v_bfrev_b32_e32 v63, 1
	s_mov_b32 s21, exec_lo
	s_delay_alu instid0(VALU_DEP_2)
	v_cmpx_ne_u32_e32 0x80, v59
	s_cbranch_execz .LBB373_3649
; %bb.3644:                             ;   in Loop: Header=BB373_2082 Depth=1
	v_and_b32_e32 v72, 0x7f, v59
	v_mov_b32_e32 v63, 0x7fc02000
	s_mov_b32 s22, exec_lo
	s_delay_alu instid0(VALU_DEP_2)
	v_cmpx_ne_u32_e32 0x7f, v72
	s_cbranch_execz .LBB373_3648
; %bb.3645:                             ;   in Loop: Header=BB373_2082 Depth=1
	v_and_b32_e32 v2, 7, v59
	v_lshrrev_b32_e32 v63, 3, v72
	v_mov_b32_e32 v14, v3
	s_mov_b32 s23, exec_lo
	s_delay_alu instid0(VALU_DEP_3)
	v_mov_b32_e32 v13, v2
	v_cmpx_gt_u32_e32 8, v72
; %bb.3646:                             ;   in Loop: Header=BB373_2082 Depth=1
	v_clz_i32_u32_e32 v13, v2
	s_delay_alu instid0(VALU_DEP_1) | instskip(NEXT) | instid1(VALU_DEP_1)
	v_min_u32_e32 v167, 32, v13
	v_subrev_nc_u32_e32 v13, 28, v167
	v_sub_nc_u32_e32 v63, 29, v167
	s_delay_alu instid0(VALU_DEP_2) | instskip(NEXT) | instid1(VALU_DEP_1)
	v_lshlrev_b64 v[13:14], v13, v[2:3]
	v_and_b32_e32 v13, 7, v13
; %bb.3647:                             ;   in Loop: Header=BB373_2082 Depth=1
	s_or_b32 exec_lo, exec_lo, s23
	v_lshlrev_b32_e32 v2, 8, v59
	v_lshl_add_u32 v14, v63, 10, 0x2000
	s_delay_alu instid0(VALU_DEP_1) | instskip(NEXT) | instid1(VALU_DEP_1)
	v_and_or_b32 v2, 0x8000, v2, v14
	v_lshl_or_b32 v2, v13, 7, v2
	s_delay_alu instid0(VALU_DEP_1)
	v_cvt_f32_f16_e32 v63, v2
.LBB373_3648:                           ;   in Loop: Header=BB373_2082 Depth=1
	s_or_b32 exec_lo, exec_lo, s22
.LBB373_3649:                           ;   in Loop: Header=BB373_2082 Depth=1
	s_delay_alu instid0(SALU_CYCLE_1)
	s_or_b32 exec_lo, exec_lo, s21
.LBB373_3650:                           ;   in Loop: Header=BB373_2082 Depth=1
	s_delay_alu instid0(SALU_CYCLE_1) | instskip(SKIP_2) | instid1(VALU_DEP_1)
	s_or_b32 exec_lo, exec_lo, s19
	v_dual_mov_b32 v2, v12 :: v_dual_and_b32 v13, 0xff, v12
	s_mov_b32 s19, exec_lo
	v_cmpx_ne_u16_e32 0, v13
	s_cbranch_execz .LBB373_3658
; %bb.3651:                             ;   in Loop: Header=BB373_2082 Depth=1
	v_bfrev_b32_e32 v62, 1
	s_mov_b32 s21, exec_lo
	v_cmpx_ne_u16_e32 0x80, v13
	s_cbranch_execz .LBB373_3657
; %bb.3652:                             ;   in Loop: Header=BB373_2082 Depth=1
	v_and_b32_e32 v59, 0x7f, v12
	v_mov_b32_e32 v62, 0x7fc02000
	s_mov_b32 s22, exec_lo
	s_delay_alu instid0(VALU_DEP_2)
	v_cmpx_ne_u32_e32 0x7f, v59
	s_cbranch_execz .LBB373_3656
; %bb.3653:                             ;   in Loop: Header=BB373_2082 Depth=1
	v_dual_mov_b32 v14, v3 :: v_dual_mov_b32 v13, v2
	v_lshrrev_b32_e32 v14, 3, v59
	s_mov_b32 s23, exec_lo
	v_cmpx_gt_u32_e32 8, v59
; %bb.3654:                             ;   in Loop: Header=BB373_2082 Depth=1
	v_and_b32_e32 v13, 7, v12
	s_delay_alu instid0(VALU_DEP_1) | instskip(NEXT) | instid1(VALU_DEP_1)
	v_clz_i32_u32_e32 v13, v13
	v_min_u32_e32 v167, 32, v13
	s_delay_alu instid0(VALU_DEP_1) | instskip(NEXT) | instid1(VALU_DEP_1)
	v_subrev_nc_u32_e32 v13, 28, v167
	v_lshlrev_b64 v[13:14], v13, v[2:3]
	v_sub_nc_u32_e32 v14, 29, v167
; %bb.3655:                             ;   in Loop: Header=BB373_2082 Depth=1
	s_or_b32 exec_lo, exec_lo, s23
	v_lshlrev_b32_e32 v167, 8, v12
	s_delay_alu instid0(VALU_DEP_2) | instskip(NEXT) | instid1(VALU_DEP_4)
	v_lshl_add_u32 v14, v14, 10, 0x2000
	v_lshlrev_b32_e32 v13, 7, v13
	s_delay_alu instid0(VALU_DEP_2) | instskip(NEXT) | instid1(VALU_DEP_1)
	v_and_or_b32 v14, 0x8000, v167, v14
	v_and_or_b32 v13, 0x380, v13, v14
	s_delay_alu instid0(VALU_DEP_1)
	v_cvt_f32_f16_e32 v62, v13
.LBB373_3656:                           ;   in Loop: Header=BB373_2082 Depth=1
	s_or_b32 exec_lo, exec_lo, s22
.LBB373_3657:                           ;   in Loop: Header=BB373_2082 Depth=1
	s_delay_alu instid0(SALU_CYCLE_1)
	s_or_b32 exec_lo, exec_lo, s21
.LBB373_3658:                           ;   in Loop: Header=BB373_2082 Depth=1
	s_delay_alu instid0(SALU_CYCLE_1) | instskip(SKIP_3) | instid1(VALU_DEP_2)
	s_or_b32 exec_lo, exec_lo, s19
	v_lshrrev_b16 v2, 8, v2
	v_dual_mov_b32 v72, 0 :: v_dual_mov_b32 v73, 0
	s_mov_b32 s19, exec_lo
	v_cmpx_ne_u16_e32 0, v2
	s_cbranch_execz .LBB373_3666
; %bb.3659:                             ;   in Loop: Header=BB373_2082 Depth=1
	v_bfrev_b32_e32 v73, 1
	s_mov_b32 s21, exec_lo
	v_cmpx_ne_u16_e32 0x80, v2
	s_cbranch_execz .LBB373_3665
; %bb.3660:                             ;   in Loop: Header=BB373_2082 Depth=1
	v_and_b32_e32 v59, 0xffff, v2
	v_mov_b32_e32 v73, 0x7fc02000
	s_mov_b32 s22, exec_lo
	s_delay_alu instid0(VALU_DEP_2) | instskip(NEXT) | instid1(VALU_DEP_1)
	v_and_b32_e32 v74, 0x7f, v59
	v_cmpx_ne_u32_e32 0x7f, v74
	s_cbranch_execz .LBB373_3664
; %bb.3661:                             ;   in Loop: Header=BB373_2082 Depth=1
	v_and_b32_e32 v2, 7, v59
	v_lshrrev_b32_e32 v73, 3, v74
	v_mov_b32_e32 v14, v3
	s_mov_b32 s23, exec_lo
	s_delay_alu instid0(VALU_DEP_3)
	v_mov_b32_e32 v13, v2
	v_cmpx_gt_u32_e32 8, v74
; %bb.3662:                             ;   in Loop: Header=BB373_2082 Depth=1
	v_clz_i32_u32_e32 v13, v2
	s_delay_alu instid0(VALU_DEP_1) | instskip(NEXT) | instid1(VALU_DEP_1)
	v_min_u32_e32 v167, 32, v13
	v_subrev_nc_u32_e32 v13, 28, v167
	v_sub_nc_u32_e32 v73, 29, v167
	s_delay_alu instid0(VALU_DEP_2) | instskip(NEXT) | instid1(VALU_DEP_1)
	v_lshlrev_b64 v[13:14], v13, v[2:3]
	v_and_b32_e32 v13, 7, v13
; %bb.3663:                             ;   in Loop: Header=BB373_2082 Depth=1
	s_or_b32 exec_lo, exec_lo, s23
	v_lshlrev_b32_e32 v2, 8, v59
	v_lshl_add_u32 v14, v73, 10, 0x2000
	s_delay_alu instid0(VALU_DEP_1) | instskip(NEXT) | instid1(VALU_DEP_1)
	v_and_or_b32 v2, 0x8000, v2, v14
	v_lshl_or_b32 v2, v13, 7, v2
	s_delay_alu instid0(VALU_DEP_1)
	v_cvt_f32_f16_e32 v73, v2
.LBB373_3664:                           ;   in Loop: Header=BB373_2082 Depth=1
	s_or_b32 exec_lo, exec_lo, s22
.LBB373_3665:                           ;   in Loop: Header=BB373_2082 Depth=1
	s_delay_alu instid0(SALU_CYCLE_1)
	s_or_b32 exec_lo, exec_lo, s21
.LBB373_3666:                           ;   in Loop: Header=BB373_2082 Depth=1
	s_delay_alu instid0(SALU_CYCLE_1) | instskip(SKIP_2) | instid1(VALU_DEP_1)
	s_or_b32 exec_lo, exec_lo, s19
	v_lshrrev_b32_e32 v59, 16, v12
	s_mov_b32 s19, exec_lo
	v_and_b32_e32 v2, 0xff, v59
	s_delay_alu instid0(VALU_DEP_1)
	v_cmpx_ne_u16_e32 0, v2
	s_cbranch_execz .LBB373_3674
; %bb.3667:                             ;   in Loop: Header=BB373_2082 Depth=1
	v_bfrev_b32_e32 v72, 1
	s_mov_b32 s21, exec_lo
	v_cmpx_ne_u16_e32 0x80, v2
	s_cbranch_execz .LBB373_3673
; %bb.3668:                             ;   in Loop: Header=BB373_2082 Depth=1
	v_bfe_u32 v74, v12, 16, 7
	v_mov_b32_e32 v72, 0x7fc02000
	s_mov_b32 s22, exec_lo
	s_delay_alu instid0(VALU_DEP_2)
	v_cmpx_ne_u32_e32 0x7f, v74
	s_cbranch_execz .LBB373_3672
; %bb.3669:                             ;   in Loop: Header=BB373_2082 Depth=1
	v_and_b32_e32 v2, 7, v59
	v_lshrrev_b32_e32 v72, 3, v74
	v_mov_b32_e32 v14, v3
	s_mov_b32 s23, exec_lo
	s_delay_alu instid0(VALU_DEP_3)
	v_mov_b32_e32 v13, v2
	v_cmpx_gt_u32_e32 8, v74
; %bb.3670:                             ;   in Loop: Header=BB373_2082 Depth=1
	v_clz_i32_u32_e32 v13, v2
	s_delay_alu instid0(VALU_DEP_1) | instskip(NEXT) | instid1(VALU_DEP_1)
	v_min_u32_e32 v167, 32, v13
	v_subrev_nc_u32_e32 v13, 28, v167
	v_sub_nc_u32_e32 v72, 29, v167
	s_delay_alu instid0(VALU_DEP_2) | instskip(NEXT) | instid1(VALU_DEP_1)
	v_lshlrev_b64 v[13:14], v13, v[2:3]
	v_and_b32_e32 v13, 7, v13
; %bb.3671:                             ;   in Loop: Header=BB373_2082 Depth=1
	s_or_b32 exec_lo, exec_lo, s23
	v_lshlrev_b32_e32 v2, 8, v59
	v_lshl_add_u32 v14, v72, 10, 0x2000
	s_delay_alu instid0(VALU_DEP_1) | instskip(NEXT) | instid1(VALU_DEP_1)
	v_and_or_b32 v2, 0x8000, v2, v14
	v_lshl_or_b32 v2, v13, 7, v2
	s_delay_alu instid0(VALU_DEP_1)
	v_cvt_f32_f16_e32 v72, v2
.LBB373_3672:                           ;   in Loop: Header=BB373_2082 Depth=1
	s_or_b32 exec_lo, exec_lo, s22
.LBB373_3673:                           ;   in Loop: Header=BB373_2082 Depth=1
	s_delay_alu instid0(SALU_CYCLE_1)
	s_or_b32 exec_lo, exec_lo, s21
.LBB373_3674:                           ;   in Loop: Header=BB373_2082 Depth=1
	s_delay_alu instid0(SALU_CYCLE_1)
	s_or_b32 exec_lo, exec_lo, s19
	v_dual_mov_b32 v59, 0 :: v_dual_mov_b32 v2, 0
	s_mov_b32 s19, exec_lo
	v_cmpx_lt_u64_e64 s[12:13], v[11:12]
	s_cbranch_execz .LBB373_3682
; %bb.3675:                             ;   in Loop: Header=BB373_2082 Depth=1
	v_lshrrev_b32_e32 v13, 24, v12
	v_bfrev_b32_e32 v2, 1
	s_mov_b32 s21, exec_lo
	s_delay_alu instid0(VALU_DEP_2)
	v_cmpx_ne_u32_e32 0x80, v13
	s_cbranch_execz .LBB373_3681
; %bb.3676:                             ;   in Loop: Header=BB373_2082 Depth=1
	v_and_b32_e32 v74, 0x7f, v13
	v_mov_b32_e32 v2, 0x7fc02000
	s_mov_b32 s22, exec_lo
	s_delay_alu instid0(VALU_DEP_2)
	v_cmpx_ne_u32_e32 0x7f, v74
	s_cbranch_execz .LBB373_3680
; %bb.3677:                             ;   in Loop: Header=BB373_2082 Depth=1
	v_and_b32_e32 v2, 7, v13
	v_lshrrev_b32_e32 v14, 3, v74
	v_mov_b32_e32 v12, v3
	s_mov_b32 s23, exec_lo
	s_delay_alu instid0(VALU_DEP_3)
	v_mov_b32_e32 v11, v2
	v_cmpx_gt_u32_e32 8, v74
; %bb.3678:                             ;   in Loop: Header=BB373_2082 Depth=1
	v_clz_i32_u32_e32 v11, v2
	s_delay_alu instid0(VALU_DEP_1) | instskip(NEXT) | instid1(VALU_DEP_1)
	v_min_u32_e32 v14, 32, v11
	v_subrev_nc_u32_e32 v11, 28, v14
	v_sub_nc_u32_e32 v14, 29, v14
	s_delay_alu instid0(VALU_DEP_2) | instskip(NEXT) | instid1(VALU_DEP_1)
	v_lshlrev_b64 v[11:12], v11, v[2:3]
	v_and_b32_e32 v11, 7, v11
; %bb.3679:                             ;   in Loop: Header=BB373_2082 Depth=1
	s_or_b32 exec_lo, exec_lo, s23
	v_lshlrev_b32_e32 v2, 8, v13
	v_lshl_add_u32 v12, v14, 10, 0x2000
	s_delay_alu instid0(VALU_DEP_1) | instskip(NEXT) | instid1(VALU_DEP_1)
	v_and_or_b32 v2, 0x8000, v2, v12
	v_lshl_or_b32 v2, v11, 7, v2
	s_delay_alu instid0(VALU_DEP_1)
	v_cvt_f32_f16_e32 v2, v2
.LBB373_3680:                           ;   in Loop: Header=BB373_2082 Depth=1
	s_or_b32 exec_lo, exec_lo, s22
.LBB373_3681:                           ;   in Loop: Header=BB373_2082 Depth=1
	s_delay_alu instid0(SALU_CYCLE_1)
	s_or_b32 exec_lo, exec_lo, s21
.LBB373_3682:                           ;   in Loop: Header=BB373_2082 Depth=1
	s_delay_alu instid0(SALU_CYCLE_1)
	s_or_b32 exec_lo, exec_lo, s19
	s_waitcnt vmcnt(0) lgkmcnt(0)
	v_fma_mixlo_f16 v11, v58, v63, 0
	v_fma_mixlo_f16 v12, v58, v61, 0
	;; [unrolled: 1-line block ×6, first 2 shown]
	v_lshlrev_b32_e32 v176, 16, v11
	v_and_b32_e32 v60, 0xffff, v12
	v_lshlrev_b32_e32 v61, 16, v13
	v_and_b32_e32 v62, 0xffff, v14
	v_dual_cndmask_b32 v14, 0, v14 :: v_dual_lshlrev_b32 v63, 16, v167
	v_and_b32_e32 v73, 0xffff, v57
	v_fma_mixlo_f16 v2, v58, v2, 0
	v_fma_mixlo_f16 v58, v58, v72, 0
	v_cndmask_b32_e64 v13, 0, v13, s0
	v_cndmask_b32_e64 v12, 0, v12, s2
	;; [unrolled: 1-line block ×3, first 2 shown]
	v_or_b32_e32 v176, v176, v60
	v_or_b32_e32 v60, v61, v62
	;; [unrolled: 1-line block ×3, first 2 shown]
	v_lshlrev_b32_e32 v62, 16, v2
	v_and_b32_e32 v63, 0xffff, v58
	v_cndmask_b32_e64 v57, 0, v57, s6
	v_cndmask_b32_e64 v167, 0, v167, s7
	;; [unrolled: 1-line block ×4, first 2 shown]
	v_perm_b32 v13, v13, v14, 0x5040100
	v_perm_b32 v11, v11, v12, 0x5040100
	v_or_b32_e32 v62, v62, v63
	v_perm_b32 v12, v167, v57, 0x5040100
	v_perm_b32 v2, v2, v58, 0x5040100
	v_cndmask_b32_e64 v13, v60, v13, s1
	v_cndmask_b32_e64 v11, v176, v11, s1
	;;#ASMSTART
	v_pk_mul_f16 v13, v130, v13;

	;;#ASMEND
	v_cndmask_b32_e64 v12, v61, v12, s1
	v_cndmask_b32_e64 v2, v62, v2, s1
	;;#ASMSTART
	v_pk_mul_f16 v11, v129, v11;

	;;#ASMEND
	;;#ASMSTART
	v_pk_mul_f16 v12, v128, v12;

	;;#ASMEND
	;; [unrolled: 4-line block ×3, first 2 shown]
	;;#ASMSTART
	v_pk_add_f16 v11, v13, v11;

	;;#ASMEND
	;;#ASMSTART
	v_pk_add_f16 v11, v11, v12;

	;;#ASMEND
	;; [unrolled: 4-line block ×3, first 2 shown]
	v_add_co_u32 v11, s8, v9, v112
	s_delay_alu instid0(VALU_DEP_1)
	v_add_co_ci_u32_e64 v12, s8, 0, v10, s8
	v_lshrrev_b32_e32 v13, 16, v2
	v_and_b32_e32 v2, 0xffff, v2
	;;#ASMSTART
	v_cvt_f32_f16 v57, v2;
	;;#ASMEND
	;;#ASMSTART
	v_cvt_f32_f16 v58, v13;
	;;#ASMEND
	flat_load_b64 v[11:12], v[11:12]
	flat_load_b32 v60, v[121:122]
	s_mov_b32 s19, exec_lo
	s_waitcnt vmcnt(1) lgkmcnt(1)
	v_and_b32_e32 v2, 0xff, v11
	s_delay_alu instid0(VALU_DEP_1)
	v_cmpx_ne_u16_e32 0, v2
	s_cbranch_execz .LBB373_3690
; %bb.3683:                             ;   in Loop: Header=BB373_2082 Depth=1
	v_bfrev_b32_e32 v59, 1
	s_mov_b32 s21, exec_lo
	v_cmpx_ne_u16_e32 0x80, v2
	s_cbranch_execz .LBB373_3689
; %bb.3684:                             ;   in Loop: Header=BB373_2082 Depth=1
	v_and_b32_e32 v13, 0x7f, v11
	v_mov_b32_e32 v59, 0x7fc02000
	s_mov_b32 s22, exec_lo
	s_delay_alu instid0(VALU_DEP_2)
	v_cmpx_ne_u32_e32 0x7f, v13
	s_cbranch_execz .LBB373_3688
; %bb.3685:                             ;   in Loop: Header=BB373_2082 Depth=1
	v_lshrrev_b32_e32 v2, 3, v13
	v_cmp_gt_u32_e64 s8, 8, v13
	v_dual_mov_b32 v14, v12 :: v_dual_mov_b32 v13, v11
	s_delay_alu instid0(VALU_DEP_2)
	s_and_saveexec_b32 s23, s8
; %bb.3686:                             ;   in Loop: Header=BB373_2082 Depth=1
	v_and_b32_e32 v2, 7, v11
	s_delay_alu instid0(VALU_DEP_1) | instskip(NEXT) | instid1(VALU_DEP_1)
	v_clz_i32_u32_e32 v2, v2
	v_min_u32_e32 v2, 32, v2
	s_delay_alu instid0(VALU_DEP_1) | instskip(SKIP_1) | instid1(VALU_DEP_2)
	v_subrev_nc_u32_e32 v13, 28, v2
	v_sub_nc_u32_e32 v2, 29, v2
	v_lshlrev_b64 v[13:14], v13, v[11:12]
; %bb.3687:                             ;   in Loop: Header=BB373_2082 Depth=1
	s_or_b32 exec_lo, exec_lo, s23
	v_lshlrev_b32_e32 v14, 8, v11
	s_delay_alu instid0(VALU_DEP_3) | instskip(NEXT) | instid1(VALU_DEP_3)
	v_lshl_add_u32 v2, v2, 10, 0x2000
	v_lshlrev_b32_e32 v13, 7, v13
	s_delay_alu instid0(VALU_DEP_2) | instskip(NEXT) | instid1(VALU_DEP_1)
	v_and_or_b32 v2, 0x8000, v14, v2
	v_and_or_b32 v2, 0x380, v13, v2
	s_delay_alu instid0(VALU_DEP_1)
	v_cvt_f32_f16_e32 v59, v2
.LBB373_3688:                           ;   in Loop: Header=BB373_2082 Depth=1
	s_or_b32 exec_lo, exec_lo, s22
.LBB373_3689:                           ;   in Loop: Header=BB373_2082 Depth=1
	s_delay_alu instid0(SALU_CYCLE_1)
	s_or_b32 exec_lo, exec_lo, s21
.LBB373_3690:                           ;   in Loop: Header=BB373_2082 Depth=1
	s_delay_alu instid0(SALU_CYCLE_1) | instskip(SKIP_3) | instid1(VALU_DEP_2)
	s_or_b32 exec_lo, exec_lo, s19
	v_lshrrev_b16 v2, 8, v11
	v_dual_mov_b32 v63, 0 :: v_dual_mov_b32 v62, 0
	s_mov_b32 s19, exec_lo
	v_cmpx_ne_u16_e32 0, v2
	s_cbranch_execz .LBB373_3698
; %bb.3691:                             ;   in Loop: Header=BB373_2082 Depth=1
	v_bfrev_b32_e32 v62, 1
	s_mov_b32 s21, exec_lo
	v_cmpx_ne_u16_e32 0x80, v2
	s_cbranch_execz .LBB373_3697
; %bb.3692:                             ;   in Loop: Header=BB373_2082 Depth=1
	v_and_b32_e32 v61, 0xffff, v2
	v_mov_b32_e32 v62, 0x7fc02000
	s_mov_b32 s22, exec_lo
	s_delay_alu instid0(VALU_DEP_2) | instskip(NEXT) | instid1(VALU_DEP_1)
	v_and_b32_e32 v72, 0x7f, v61
	v_cmpx_ne_u32_e32 0x7f, v72
	s_cbranch_execz .LBB373_3696
; %bb.3693:                             ;   in Loop: Header=BB373_2082 Depth=1
	v_and_b32_e32 v2, 7, v61
	v_lshrrev_b32_e32 v62, 3, v72
	v_mov_b32_e32 v14, v3
	s_mov_b32 s23, exec_lo
	s_delay_alu instid0(VALU_DEP_3)
	v_mov_b32_e32 v13, v2
	v_cmpx_gt_u32_e32 8, v72
; %bb.3694:                             ;   in Loop: Header=BB373_2082 Depth=1
	v_clz_i32_u32_e32 v13, v2
	s_delay_alu instid0(VALU_DEP_1) | instskip(NEXT) | instid1(VALU_DEP_1)
	v_min_u32_e32 v167, 32, v13
	v_subrev_nc_u32_e32 v13, 28, v167
	v_sub_nc_u32_e32 v62, 29, v167
	s_delay_alu instid0(VALU_DEP_2) | instskip(NEXT) | instid1(VALU_DEP_1)
	v_lshlrev_b64 v[13:14], v13, v[2:3]
	v_and_b32_e32 v13, 7, v13
; %bb.3695:                             ;   in Loop: Header=BB373_2082 Depth=1
	s_or_b32 exec_lo, exec_lo, s23
	v_lshlrev_b32_e32 v2, 8, v61
	v_lshl_add_u32 v14, v62, 10, 0x2000
	s_delay_alu instid0(VALU_DEP_1) | instskip(NEXT) | instid1(VALU_DEP_1)
	v_and_or_b32 v2, 0x8000, v2, v14
	v_lshl_or_b32 v2, v13, 7, v2
	s_delay_alu instid0(VALU_DEP_1)
	v_cvt_f32_f16_e32 v62, v2
.LBB373_3696:                           ;   in Loop: Header=BB373_2082 Depth=1
	s_or_b32 exec_lo, exec_lo, s22
.LBB373_3697:                           ;   in Loop: Header=BB373_2082 Depth=1
	s_delay_alu instid0(SALU_CYCLE_1)
	s_or_b32 exec_lo, exec_lo, s21
.LBB373_3698:                           ;   in Loop: Header=BB373_2082 Depth=1
	s_delay_alu instid0(SALU_CYCLE_1) | instskip(SKIP_2) | instid1(VALU_DEP_1)
	s_or_b32 exec_lo, exec_lo, s19
	v_lshrrev_b32_e32 v61, 16, v11
	s_mov_b32 s19, exec_lo
	v_and_b32_e32 v2, 0xff, v61
	s_delay_alu instid0(VALU_DEP_1)
	v_cmpx_ne_u16_e32 0, v2
	s_cbranch_execz .LBB373_3706
; %bb.3699:                             ;   in Loop: Header=BB373_2082 Depth=1
	v_bfrev_b32_e32 v63, 1
	s_mov_b32 s21, exec_lo
	v_cmpx_ne_u16_e32 0x80, v2
	s_cbranch_execz .LBB373_3705
; %bb.3700:                             ;   in Loop: Header=BB373_2082 Depth=1
	v_bfe_u32 v72, v11, 16, 7
	v_mov_b32_e32 v63, 0x7fc02000
	s_mov_b32 s22, exec_lo
	s_delay_alu instid0(VALU_DEP_2)
	v_cmpx_ne_u32_e32 0x7f, v72
	s_cbranch_execz .LBB373_3704
; %bb.3701:                             ;   in Loop: Header=BB373_2082 Depth=1
	v_and_b32_e32 v2, 7, v61
	v_lshrrev_b32_e32 v63, 3, v72
	v_mov_b32_e32 v14, v3
	s_mov_b32 s23, exec_lo
	s_delay_alu instid0(VALU_DEP_3)
	v_mov_b32_e32 v13, v2
	v_cmpx_gt_u32_e32 8, v72
; %bb.3702:                             ;   in Loop: Header=BB373_2082 Depth=1
	v_clz_i32_u32_e32 v13, v2
	s_delay_alu instid0(VALU_DEP_1) | instskip(NEXT) | instid1(VALU_DEP_1)
	v_min_u32_e32 v167, 32, v13
	v_subrev_nc_u32_e32 v13, 28, v167
	v_sub_nc_u32_e32 v63, 29, v167
	s_delay_alu instid0(VALU_DEP_2) | instskip(NEXT) | instid1(VALU_DEP_1)
	v_lshlrev_b64 v[13:14], v13, v[2:3]
	v_and_b32_e32 v13, 7, v13
; %bb.3703:                             ;   in Loop: Header=BB373_2082 Depth=1
	s_or_b32 exec_lo, exec_lo, s23
	v_lshlrev_b32_e32 v2, 8, v61
	v_lshl_add_u32 v14, v63, 10, 0x2000
	s_delay_alu instid0(VALU_DEP_1) | instskip(NEXT) | instid1(VALU_DEP_1)
	v_and_or_b32 v2, 0x8000, v2, v14
	v_lshl_or_b32 v2, v13, 7, v2
	s_delay_alu instid0(VALU_DEP_1)
	v_cvt_f32_f16_e32 v63, v2
.LBB373_3704:                           ;   in Loop: Header=BB373_2082 Depth=1
	s_or_b32 exec_lo, exec_lo, s22
.LBB373_3705:                           ;   in Loop: Header=BB373_2082 Depth=1
	s_delay_alu instid0(SALU_CYCLE_1)
	s_or_b32 exec_lo, exec_lo, s21
.LBB373_3706:                           ;   in Loop: Header=BB373_2082 Depth=1
	s_delay_alu instid0(SALU_CYCLE_1)
	s_or_b32 exec_lo, exec_lo, s19
	v_dual_mov_b32 v72, 0 :: v_dual_mov_b32 v73, 0
	s_mov_b32 s19, exec_lo
	v_cmpx_lt_u32_e32 0xffffff, v11
	s_cbranch_execz .LBB373_3714
; %bb.3707:                             ;   in Loop: Header=BB373_2082 Depth=1
	v_lshrrev_b32_e32 v61, 24, v11
	v_bfrev_b32_e32 v73, 1
	s_mov_b32 s21, exec_lo
	s_delay_alu instid0(VALU_DEP_2)
	v_cmpx_ne_u32_e32 0x80, v61
	s_cbranch_execz .LBB373_3713
; %bb.3708:                             ;   in Loop: Header=BB373_2082 Depth=1
	v_and_b32_e32 v74, 0x7f, v61
	v_mov_b32_e32 v73, 0x7fc02000
	s_mov_b32 s22, exec_lo
	s_delay_alu instid0(VALU_DEP_2)
	v_cmpx_ne_u32_e32 0x7f, v74
	s_cbranch_execz .LBB373_3712
; %bb.3709:                             ;   in Loop: Header=BB373_2082 Depth=1
	v_and_b32_e32 v2, 7, v61
	v_lshrrev_b32_e32 v73, 3, v74
	v_mov_b32_e32 v14, v3
	s_mov_b32 s23, exec_lo
	s_delay_alu instid0(VALU_DEP_3)
	v_mov_b32_e32 v13, v2
	v_cmpx_gt_u32_e32 8, v74
; %bb.3710:                             ;   in Loop: Header=BB373_2082 Depth=1
	v_clz_i32_u32_e32 v13, v2
	s_delay_alu instid0(VALU_DEP_1) | instskip(NEXT) | instid1(VALU_DEP_1)
	v_min_u32_e32 v167, 32, v13
	v_subrev_nc_u32_e32 v13, 28, v167
	v_sub_nc_u32_e32 v73, 29, v167
	s_delay_alu instid0(VALU_DEP_2) | instskip(NEXT) | instid1(VALU_DEP_1)
	v_lshlrev_b64 v[13:14], v13, v[2:3]
	v_and_b32_e32 v13, 7, v13
; %bb.3711:                             ;   in Loop: Header=BB373_2082 Depth=1
	s_or_b32 exec_lo, exec_lo, s23
	v_lshlrev_b32_e32 v2, 8, v61
	v_lshl_add_u32 v14, v73, 10, 0x2000
	s_delay_alu instid0(VALU_DEP_1) | instskip(NEXT) | instid1(VALU_DEP_1)
	v_and_or_b32 v2, 0x8000, v2, v14
	v_lshl_or_b32 v2, v13, 7, v2
	s_delay_alu instid0(VALU_DEP_1)
	v_cvt_f32_f16_e32 v73, v2
.LBB373_3712:                           ;   in Loop: Header=BB373_2082 Depth=1
	s_or_b32 exec_lo, exec_lo, s22
.LBB373_3713:                           ;   in Loop: Header=BB373_2082 Depth=1
	s_delay_alu instid0(SALU_CYCLE_1)
	s_or_b32 exec_lo, exec_lo, s21
.LBB373_3714:                           ;   in Loop: Header=BB373_2082 Depth=1
	s_delay_alu instid0(SALU_CYCLE_1) | instskip(SKIP_2) | instid1(VALU_DEP_1)
	s_or_b32 exec_lo, exec_lo, s19
	v_dual_mov_b32 v2, v12 :: v_dual_and_b32 v13, 0xff, v12
	s_mov_b32 s19, exec_lo
	v_cmpx_ne_u16_e32 0, v13
	s_cbranch_execz .LBB373_3722
; %bb.3715:                             ;   in Loop: Header=BB373_2082 Depth=1
	v_bfrev_b32_e32 v72, 1
	s_mov_b32 s21, exec_lo
	v_cmpx_ne_u16_e32 0x80, v13
	s_cbranch_execz .LBB373_3721
; %bb.3716:                             ;   in Loop: Header=BB373_2082 Depth=1
	v_and_b32_e32 v61, 0x7f, v12
	v_mov_b32_e32 v72, 0x7fc02000
	s_mov_b32 s22, exec_lo
	s_delay_alu instid0(VALU_DEP_2)
	v_cmpx_ne_u32_e32 0x7f, v61
	s_cbranch_execz .LBB373_3720
; %bb.3717:                             ;   in Loop: Header=BB373_2082 Depth=1
	v_dual_mov_b32 v14, v3 :: v_dual_mov_b32 v13, v2
	v_lshrrev_b32_e32 v14, 3, v61
	s_mov_b32 s23, exec_lo
	v_cmpx_gt_u32_e32 8, v61
; %bb.3718:                             ;   in Loop: Header=BB373_2082 Depth=1
	v_and_b32_e32 v13, 7, v12
	s_delay_alu instid0(VALU_DEP_1) | instskip(NEXT) | instid1(VALU_DEP_1)
	v_clz_i32_u32_e32 v13, v13
	v_min_u32_e32 v167, 32, v13
	s_delay_alu instid0(VALU_DEP_1) | instskip(NEXT) | instid1(VALU_DEP_1)
	v_subrev_nc_u32_e32 v13, 28, v167
	v_lshlrev_b64 v[13:14], v13, v[2:3]
	v_sub_nc_u32_e32 v14, 29, v167
; %bb.3719:                             ;   in Loop: Header=BB373_2082 Depth=1
	s_or_b32 exec_lo, exec_lo, s23
	v_lshlrev_b32_e32 v167, 8, v12
	s_delay_alu instid0(VALU_DEP_2) | instskip(NEXT) | instid1(VALU_DEP_4)
	v_lshl_add_u32 v14, v14, 10, 0x2000
	v_lshlrev_b32_e32 v13, 7, v13
	s_delay_alu instid0(VALU_DEP_2) | instskip(NEXT) | instid1(VALU_DEP_1)
	v_and_or_b32 v14, 0x8000, v167, v14
	v_and_or_b32 v13, 0x380, v13, v14
	s_delay_alu instid0(VALU_DEP_1)
	v_cvt_f32_f16_e32 v72, v13
.LBB373_3720:                           ;   in Loop: Header=BB373_2082 Depth=1
	s_or_b32 exec_lo, exec_lo, s22
.LBB373_3721:                           ;   in Loop: Header=BB373_2082 Depth=1
	s_delay_alu instid0(SALU_CYCLE_1)
	s_or_b32 exec_lo, exec_lo, s21
.LBB373_3722:                           ;   in Loop: Header=BB373_2082 Depth=1
	s_delay_alu instid0(SALU_CYCLE_1) | instskip(SKIP_3) | instid1(VALU_DEP_2)
	s_or_b32 exec_lo, exec_lo, s19
	v_lshrrev_b16 v2, 8, v2
	v_dual_mov_b32 v74, 0 :: v_dual_mov_b32 v75, 0
	s_mov_b32 s19, exec_lo
	v_cmpx_ne_u16_e32 0, v2
	s_cbranch_execz .LBB373_3730
; %bb.3723:                             ;   in Loop: Header=BB373_2082 Depth=1
	v_bfrev_b32_e32 v75, 1
	s_mov_b32 s21, exec_lo
	v_cmpx_ne_u16_e32 0x80, v2
	s_cbranch_execz .LBB373_3729
; %bb.3724:                             ;   in Loop: Header=BB373_2082 Depth=1
	v_and_b32_e32 v61, 0xffff, v2
	v_mov_b32_e32 v75, 0x7fc02000
	s_mov_b32 s22, exec_lo
	s_delay_alu instid0(VALU_DEP_2) | instskip(NEXT) | instid1(VALU_DEP_1)
	v_and_b32_e32 v76, 0x7f, v61
	v_cmpx_ne_u32_e32 0x7f, v76
	s_cbranch_execz .LBB373_3728
; %bb.3725:                             ;   in Loop: Header=BB373_2082 Depth=1
	v_and_b32_e32 v2, 7, v61
	v_lshrrev_b32_e32 v75, 3, v76
	v_mov_b32_e32 v14, v3
	s_mov_b32 s23, exec_lo
	s_delay_alu instid0(VALU_DEP_3)
	v_mov_b32_e32 v13, v2
	v_cmpx_gt_u32_e32 8, v76
; %bb.3726:                             ;   in Loop: Header=BB373_2082 Depth=1
	v_clz_i32_u32_e32 v13, v2
	s_delay_alu instid0(VALU_DEP_1) | instskip(NEXT) | instid1(VALU_DEP_1)
	v_min_u32_e32 v167, 32, v13
	v_subrev_nc_u32_e32 v13, 28, v167
	v_sub_nc_u32_e32 v75, 29, v167
	s_delay_alu instid0(VALU_DEP_2) | instskip(NEXT) | instid1(VALU_DEP_1)
	v_lshlrev_b64 v[13:14], v13, v[2:3]
	v_and_b32_e32 v13, 7, v13
; %bb.3727:                             ;   in Loop: Header=BB373_2082 Depth=1
	s_or_b32 exec_lo, exec_lo, s23
	v_lshlrev_b32_e32 v2, 8, v61
	v_lshl_add_u32 v14, v75, 10, 0x2000
	s_delay_alu instid0(VALU_DEP_1) | instskip(NEXT) | instid1(VALU_DEP_1)
	v_and_or_b32 v2, 0x8000, v2, v14
	v_lshl_or_b32 v2, v13, 7, v2
	s_delay_alu instid0(VALU_DEP_1)
	v_cvt_f32_f16_e32 v75, v2
.LBB373_3728:                           ;   in Loop: Header=BB373_2082 Depth=1
	s_or_b32 exec_lo, exec_lo, s22
.LBB373_3729:                           ;   in Loop: Header=BB373_2082 Depth=1
	s_delay_alu instid0(SALU_CYCLE_1)
	s_or_b32 exec_lo, exec_lo, s21
.LBB373_3730:                           ;   in Loop: Header=BB373_2082 Depth=1
	s_delay_alu instid0(SALU_CYCLE_1) | instskip(SKIP_2) | instid1(VALU_DEP_1)
	s_or_b32 exec_lo, exec_lo, s19
	v_lshrrev_b32_e32 v61, 16, v12
	s_mov_b32 s19, exec_lo
	v_and_b32_e32 v2, 0xff, v61
	s_delay_alu instid0(VALU_DEP_1)
	v_cmpx_ne_u16_e32 0, v2
	s_cbranch_execz .LBB373_3738
; %bb.3731:                             ;   in Loop: Header=BB373_2082 Depth=1
	v_bfrev_b32_e32 v74, 1
	s_mov_b32 s21, exec_lo
	v_cmpx_ne_u16_e32 0x80, v2
	s_cbranch_execz .LBB373_3737
; %bb.3732:                             ;   in Loop: Header=BB373_2082 Depth=1
	v_bfe_u32 v76, v12, 16, 7
	v_mov_b32_e32 v74, 0x7fc02000
	s_mov_b32 s22, exec_lo
	s_delay_alu instid0(VALU_DEP_2)
	v_cmpx_ne_u32_e32 0x7f, v76
	s_cbranch_execz .LBB373_3736
; %bb.3733:                             ;   in Loop: Header=BB373_2082 Depth=1
	v_and_b32_e32 v2, 7, v61
	v_lshrrev_b32_e32 v74, 3, v76
	v_mov_b32_e32 v14, v3
	s_mov_b32 s23, exec_lo
	s_delay_alu instid0(VALU_DEP_3)
	v_mov_b32_e32 v13, v2
	v_cmpx_gt_u32_e32 8, v76
; %bb.3734:                             ;   in Loop: Header=BB373_2082 Depth=1
	v_clz_i32_u32_e32 v13, v2
	s_delay_alu instid0(VALU_DEP_1) | instskip(NEXT) | instid1(VALU_DEP_1)
	v_min_u32_e32 v167, 32, v13
	v_subrev_nc_u32_e32 v13, 28, v167
	v_sub_nc_u32_e32 v74, 29, v167
	s_delay_alu instid0(VALU_DEP_2) | instskip(NEXT) | instid1(VALU_DEP_1)
	v_lshlrev_b64 v[13:14], v13, v[2:3]
	v_and_b32_e32 v13, 7, v13
; %bb.3735:                             ;   in Loop: Header=BB373_2082 Depth=1
	s_or_b32 exec_lo, exec_lo, s23
	v_lshlrev_b32_e32 v2, 8, v61
	v_lshl_add_u32 v14, v74, 10, 0x2000
	s_delay_alu instid0(VALU_DEP_1) | instskip(NEXT) | instid1(VALU_DEP_1)
	v_and_or_b32 v2, 0x8000, v2, v14
	v_lshl_or_b32 v2, v13, 7, v2
	s_delay_alu instid0(VALU_DEP_1)
	v_cvt_f32_f16_e32 v74, v2
.LBB373_3736:                           ;   in Loop: Header=BB373_2082 Depth=1
	s_or_b32 exec_lo, exec_lo, s22
.LBB373_3737:                           ;   in Loop: Header=BB373_2082 Depth=1
	s_delay_alu instid0(SALU_CYCLE_1)
	s_or_b32 exec_lo, exec_lo, s21
.LBB373_3738:                           ;   in Loop: Header=BB373_2082 Depth=1
	s_delay_alu instid0(SALU_CYCLE_1)
	s_or_b32 exec_lo, exec_lo, s19
	v_dual_mov_b32 v61, 0 :: v_dual_mov_b32 v2, 0
	s_mov_b32 s19, exec_lo
	v_cmpx_lt_u64_e64 s[12:13], v[11:12]
	s_cbranch_execz .LBB373_3746
; %bb.3739:                             ;   in Loop: Header=BB373_2082 Depth=1
	v_lshrrev_b32_e32 v13, 24, v12
	v_bfrev_b32_e32 v2, 1
	s_mov_b32 s21, exec_lo
	s_delay_alu instid0(VALU_DEP_2)
	v_cmpx_ne_u32_e32 0x80, v13
	s_cbranch_execz .LBB373_3745
; %bb.3740:                             ;   in Loop: Header=BB373_2082 Depth=1
	v_and_b32_e32 v76, 0x7f, v13
	v_mov_b32_e32 v2, 0x7fc02000
	s_mov_b32 s22, exec_lo
	s_delay_alu instid0(VALU_DEP_2)
	v_cmpx_ne_u32_e32 0x7f, v76
	s_cbranch_execz .LBB373_3744
; %bb.3741:                             ;   in Loop: Header=BB373_2082 Depth=1
	v_and_b32_e32 v2, 7, v13
	v_lshrrev_b32_e32 v14, 3, v76
	v_mov_b32_e32 v12, v3
	s_mov_b32 s23, exec_lo
	s_delay_alu instid0(VALU_DEP_3)
	v_mov_b32_e32 v11, v2
	v_cmpx_gt_u32_e32 8, v76
; %bb.3742:                             ;   in Loop: Header=BB373_2082 Depth=1
	v_clz_i32_u32_e32 v11, v2
	s_delay_alu instid0(VALU_DEP_1) | instskip(NEXT) | instid1(VALU_DEP_1)
	v_min_u32_e32 v14, 32, v11
	v_subrev_nc_u32_e32 v11, 28, v14
	v_sub_nc_u32_e32 v14, 29, v14
	s_delay_alu instid0(VALU_DEP_2) | instskip(NEXT) | instid1(VALU_DEP_1)
	v_lshlrev_b64 v[11:12], v11, v[2:3]
	v_and_b32_e32 v11, 7, v11
; %bb.3743:                             ;   in Loop: Header=BB373_2082 Depth=1
	s_or_b32 exec_lo, exec_lo, s23
	v_lshlrev_b32_e32 v2, 8, v13
	v_lshl_add_u32 v12, v14, 10, 0x2000
	s_delay_alu instid0(VALU_DEP_1) | instskip(NEXT) | instid1(VALU_DEP_1)
	v_and_or_b32 v2, 0x8000, v2, v12
	v_lshl_or_b32 v2, v11, 7, v2
	s_delay_alu instid0(VALU_DEP_1)
	v_cvt_f32_f16_e32 v2, v2
.LBB373_3744:                           ;   in Loop: Header=BB373_2082 Depth=1
	s_or_b32 exec_lo, exec_lo, s22
.LBB373_3745:                           ;   in Loop: Header=BB373_2082 Depth=1
	s_delay_alu instid0(SALU_CYCLE_1)
	s_or_b32 exec_lo, exec_lo, s21
.LBB373_3746:                           ;   in Loop: Header=BB373_2082 Depth=1
	s_delay_alu instid0(SALU_CYCLE_1)
	s_or_b32 exec_lo, exec_lo, s19
	s_waitcnt vmcnt(0) lgkmcnt(0)
	v_fma_mixlo_f16 v11, v60, v73, 0
	v_fma_mixlo_f16 v12, v60, v63, 0
	;; [unrolled: 1-line block ×6, first 2 shown]
	v_lshlrev_b32_e32 v176, 16, v11
	v_and_b32_e32 v62, 0xffff, v12
	v_lshlrev_b32_e32 v63, 16, v13
	v_and_b32_e32 v72, 0xffff, v14
	v_dual_cndmask_b32 v14, 0, v14 :: v_dual_lshlrev_b32 v73, 16, v167
	v_and_b32_e32 v75, 0xffff, v59
	v_fma_mixlo_f16 v2, v60, v2, 0
	v_fma_mixlo_f16 v60, v60, v74, 0
	v_cndmask_b32_e64 v13, 0, v13, s0
	v_cndmask_b32_e64 v12, 0, v12, s2
	;; [unrolled: 1-line block ×3, first 2 shown]
	v_or_b32_e32 v176, v176, v62
	v_or_b32_e32 v62, v63, v72
	v_or_b32_e32 v63, v73, v75
	v_lshlrev_b32_e32 v72, 16, v2
	v_and_b32_e32 v73, 0xffff, v60
	v_cndmask_b32_e64 v59, 0, v59, s6
	v_cndmask_b32_e64 v167, 0, v167, s7
	;; [unrolled: 1-line block ×4, first 2 shown]
	v_perm_b32 v13, v13, v14, 0x5040100
	v_perm_b32 v11, v11, v12, 0x5040100
	v_or_b32_e32 v72, v72, v73
	v_perm_b32 v12, v167, v59, 0x5040100
	v_perm_b32 v2, v2, v60, 0x5040100
	v_cndmask_b32_e64 v13, v62, v13, s1
	v_cndmask_b32_e64 v11, v176, v11, s1
	;;#ASMSTART
	v_pk_mul_f16 v13, v130, v13;

	;;#ASMEND
	v_cndmask_b32_e64 v12, v63, v12, s1
	v_cndmask_b32_e64 v2, v72, v2, s1
	;;#ASMSTART
	v_pk_mul_f16 v11, v129, v11;

	;;#ASMEND
	;;#ASMSTART
	v_pk_mul_f16 v12, v128, v12;

	;;#ASMEND
	;;#ASMSTART
	v_pk_mul_f16 v2, v131, v2;

	;;#ASMEND
	;;#ASMSTART
	v_pk_add_f16 v11, v13, v11;

	;;#ASMEND
	;;#ASMSTART
	v_pk_add_f16 v11, v11, v12;

	;;#ASMEND
	;; [unrolled: 4-line block ×3, first 2 shown]
	v_add_co_u32 v11, s8, v9, v113
	s_delay_alu instid0(VALU_DEP_1)
	v_add_co_ci_u32_e64 v12, s8, 0, v10, s8
	v_lshrrev_b32_e32 v13, 16, v2
	v_and_b32_e32 v2, 0xffff, v2
	;;#ASMSTART
	v_cvt_f32_f16 v59, v2;
	;;#ASMEND
	;;#ASMSTART
	v_cvt_f32_f16 v60, v13;
	;;#ASMEND
	flat_load_b64 v[11:12], v[11:12]
	flat_load_b32 v62, v[121:122]
	s_mov_b32 s19, exec_lo
	s_waitcnt vmcnt(1) lgkmcnt(1)
	v_and_b32_e32 v2, 0xff, v11
	s_delay_alu instid0(VALU_DEP_1)
	v_cmpx_ne_u16_e32 0, v2
	s_cbranch_execz .LBB373_3754
; %bb.3747:                             ;   in Loop: Header=BB373_2082 Depth=1
	v_bfrev_b32_e32 v61, 1
	s_mov_b32 s21, exec_lo
	v_cmpx_ne_u16_e32 0x80, v2
	s_cbranch_execz .LBB373_3753
; %bb.3748:                             ;   in Loop: Header=BB373_2082 Depth=1
	v_and_b32_e32 v13, 0x7f, v11
	v_mov_b32_e32 v61, 0x7fc02000
	s_mov_b32 s22, exec_lo
	s_delay_alu instid0(VALU_DEP_2)
	v_cmpx_ne_u32_e32 0x7f, v13
	s_cbranch_execz .LBB373_3752
; %bb.3749:                             ;   in Loop: Header=BB373_2082 Depth=1
	v_lshrrev_b32_e32 v2, 3, v13
	v_cmp_gt_u32_e64 s8, 8, v13
	v_dual_mov_b32 v14, v12 :: v_dual_mov_b32 v13, v11
	s_delay_alu instid0(VALU_DEP_2)
	s_and_saveexec_b32 s23, s8
; %bb.3750:                             ;   in Loop: Header=BB373_2082 Depth=1
	v_and_b32_e32 v2, 7, v11
	s_delay_alu instid0(VALU_DEP_1) | instskip(NEXT) | instid1(VALU_DEP_1)
	v_clz_i32_u32_e32 v2, v2
	v_min_u32_e32 v2, 32, v2
	s_delay_alu instid0(VALU_DEP_1) | instskip(SKIP_1) | instid1(VALU_DEP_2)
	v_subrev_nc_u32_e32 v13, 28, v2
	v_sub_nc_u32_e32 v2, 29, v2
	v_lshlrev_b64 v[13:14], v13, v[11:12]
; %bb.3751:                             ;   in Loop: Header=BB373_2082 Depth=1
	s_or_b32 exec_lo, exec_lo, s23
	v_lshlrev_b32_e32 v14, 8, v11
	s_delay_alu instid0(VALU_DEP_3) | instskip(NEXT) | instid1(VALU_DEP_3)
	v_lshl_add_u32 v2, v2, 10, 0x2000
	v_lshlrev_b32_e32 v13, 7, v13
	s_delay_alu instid0(VALU_DEP_2) | instskip(NEXT) | instid1(VALU_DEP_1)
	v_and_or_b32 v2, 0x8000, v14, v2
	v_and_or_b32 v2, 0x380, v13, v2
	s_delay_alu instid0(VALU_DEP_1)
	v_cvt_f32_f16_e32 v61, v2
.LBB373_3752:                           ;   in Loop: Header=BB373_2082 Depth=1
	s_or_b32 exec_lo, exec_lo, s22
.LBB373_3753:                           ;   in Loop: Header=BB373_2082 Depth=1
	s_delay_alu instid0(SALU_CYCLE_1)
	s_or_b32 exec_lo, exec_lo, s21
.LBB373_3754:                           ;   in Loop: Header=BB373_2082 Depth=1
	s_delay_alu instid0(SALU_CYCLE_1) | instskip(SKIP_3) | instid1(VALU_DEP_2)
	s_or_b32 exec_lo, exec_lo, s19
	v_lshrrev_b16 v2, 8, v11
	v_dual_mov_b32 v73, 0 :: v_dual_mov_b32 v72, 0
	s_mov_b32 s19, exec_lo
	v_cmpx_ne_u16_e32 0, v2
	s_cbranch_execz .LBB373_3762
; %bb.3755:                             ;   in Loop: Header=BB373_2082 Depth=1
	v_bfrev_b32_e32 v72, 1
	s_mov_b32 s21, exec_lo
	v_cmpx_ne_u16_e32 0x80, v2
	s_cbranch_execz .LBB373_3761
; %bb.3756:                             ;   in Loop: Header=BB373_2082 Depth=1
	v_and_b32_e32 v63, 0xffff, v2
	v_mov_b32_e32 v72, 0x7fc02000
	s_mov_b32 s22, exec_lo
	s_delay_alu instid0(VALU_DEP_2) | instskip(NEXT) | instid1(VALU_DEP_1)
	v_and_b32_e32 v74, 0x7f, v63
	v_cmpx_ne_u32_e32 0x7f, v74
	s_cbranch_execz .LBB373_3760
; %bb.3757:                             ;   in Loop: Header=BB373_2082 Depth=1
	v_and_b32_e32 v2, 7, v63
	v_lshrrev_b32_e32 v72, 3, v74
	v_mov_b32_e32 v14, v3
	s_mov_b32 s23, exec_lo
	s_delay_alu instid0(VALU_DEP_3)
	v_mov_b32_e32 v13, v2
	v_cmpx_gt_u32_e32 8, v74
; %bb.3758:                             ;   in Loop: Header=BB373_2082 Depth=1
	v_clz_i32_u32_e32 v13, v2
	s_delay_alu instid0(VALU_DEP_1) | instskip(NEXT) | instid1(VALU_DEP_1)
	v_min_u32_e32 v167, 32, v13
	v_subrev_nc_u32_e32 v13, 28, v167
	v_sub_nc_u32_e32 v72, 29, v167
	s_delay_alu instid0(VALU_DEP_2) | instskip(NEXT) | instid1(VALU_DEP_1)
	v_lshlrev_b64 v[13:14], v13, v[2:3]
	v_and_b32_e32 v13, 7, v13
; %bb.3759:                             ;   in Loop: Header=BB373_2082 Depth=1
	s_or_b32 exec_lo, exec_lo, s23
	v_lshlrev_b32_e32 v2, 8, v63
	v_lshl_add_u32 v14, v72, 10, 0x2000
	s_delay_alu instid0(VALU_DEP_1) | instskip(NEXT) | instid1(VALU_DEP_1)
	v_and_or_b32 v2, 0x8000, v2, v14
	v_lshl_or_b32 v2, v13, 7, v2
	s_delay_alu instid0(VALU_DEP_1)
	v_cvt_f32_f16_e32 v72, v2
.LBB373_3760:                           ;   in Loop: Header=BB373_2082 Depth=1
	s_or_b32 exec_lo, exec_lo, s22
.LBB373_3761:                           ;   in Loop: Header=BB373_2082 Depth=1
	s_delay_alu instid0(SALU_CYCLE_1)
	s_or_b32 exec_lo, exec_lo, s21
.LBB373_3762:                           ;   in Loop: Header=BB373_2082 Depth=1
	s_delay_alu instid0(SALU_CYCLE_1) | instskip(SKIP_2) | instid1(VALU_DEP_1)
	s_or_b32 exec_lo, exec_lo, s19
	v_lshrrev_b32_e32 v63, 16, v11
	s_mov_b32 s19, exec_lo
	v_and_b32_e32 v2, 0xff, v63
	s_delay_alu instid0(VALU_DEP_1)
	v_cmpx_ne_u16_e32 0, v2
	s_cbranch_execz .LBB373_3770
; %bb.3763:                             ;   in Loop: Header=BB373_2082 Depth=1
	v_bfrev_b32_e32 v73, 1
	s_mov_b32 s21, exec_lo
	v_cmpx_ne_u16_e32 0x80, v2
	s_cbranch_execz .LBB373_3769
; %bb.3764:                             ;   in Loop: Header=BB373_2082 Depth=1
	v_bfe_u32 v74, v11, 16, 7
	v_mov_b32_e32 v73, 0x7fc02000
	s_mov_b32 s22, exec_lo
	s_delay_alu instid0(VALU_DEP_2)
	v_cmpx_ne_u32_e32 0x7f, v74
	s_cbranch_execz .LBB373_3768
; %bb.3765:                             ;   in Loop: Header=BB373_2082 Depth=1
	v_and_b32_e32 v2, 7, v63
	v_lshrrev_b32_e32 v73, 3, v74
	v_mov_b32_e32 v14, v3
	s_mov_b32 s23, exec_lo
	s_delay_alu instid0(VALU_DEP_3)
	v_mov_b32_e32 v13, v2
	v_cmpx_gt_u32_e32 8, v74
; %bb.3766:                             ;   in Loop: Header=BB373_2082 Depth=1
	v_clz_i32_u32_e32 v13, v2
	s_delay_alu instid0(VALU_DEP_1) | instskip(NEXT) | instid1(VALU_DEP_1)
	v_min_u32_e32 v167, 32, v13
	v_subrev_nc_u32_e32 v13, 28, v167
	v_sub_nc_u32_e32 v73, 29, v167
	s_delay_alu instid0(VALU_DEP_2) | instskip(NEXT) | instid1(VALU_DEP_1)
	v_lshlrev_b64 v[13:14], v13, v[2:3]
	v_and_b32_e32 v13, 7, v13
; %bb.3767:                             ;   in Loop: Header=BB373_2082 Depth=1
	s_or_b32 exec_lo, exec_lo, s23
	v_lshlrev_b32_e32 v2, 8, v63
	v_lshl_add_u32 v14, v73, 10, 0x2000
	s_delay_alu instid0(VALU_DEP_1) | instskip(NEXT) | instid1(VALU_DEP_1)
	v_and_or_b32 v2, 0x8000, v2, v14
	v_lshl_or_b32 v2, v13, 7, v2
	s_delay_alu instid0(VALU_DEP_1)
	v_cvt_f32_f16_e32 v73, v2
.LBB373_3768:                           ;   in Loop: Header=BB373_2082 Depth=1
	s_or_b32 exec_lo, exec_lo, s22
.LBB373_3769:                           ;   in Loop: Header=BB373_2082 Depth=1
	s_delay_alu instid0(SALU_CYCLE_1)
	s_or_b32 exec_lo, exec_lo, s21
.LBB373_3770:                           ;   in Loop: Header=BB373_2082 Depth=1
	s_delay_alu instid0(SALU_CYCLE_1)
	s_or_b32 exec_lo, exec_lo, s19
	v_dual_mov_b32 v74, 0 :: v_dual_mov_b32 v75, 0
	s_mov_b32 s19, exec_lo
	v_cmpx_lt_u32_e32 0xffffff, v11
	s_cbranch_execz .LBB373_3778
; %bb.3771:                             ;   in Loop: Header=BB373_2082 Depth=1
	v_lshrrev_b32_e32 v63, 24, v11
	v_bfrev_b32_e32 v75, 1
	s_mov_b32 s21, exec_lo
	s_delay_alu instid0(VALU_DEP_2)
	v_cmpx_ne_u32_e32 0x80, v63
	s_cbranch_execz .LBB373_3777
; %bb.3772:                             ;   in Loop: Header=BB373_2082 Depth=1
	v_and_b32_e32 v76, 0x7f, v63
	v_mov_b32_e32 v75, 0x7fc02000
	s_mov_b32 s22, exec_lo
	s_delay_alu instid0(VALU_DEP_2)
	v_cmpx_ne_u32_e32 0x7f, v76
	s_cbranch_execz .LBB373_3776
; %bb.3773:                             ;   in Loop: Header=BB373_2082 Depth=1
	v_and_b32_e32 v2, 7, v63
	v_lshrrev_b32_e32 v75, 3, v76
	v_mov_b32_e32 v14, v3
	s_mov_b32 s23, exec_lo
	s_delay_alu instid0(VALU_DEP_3)
	v_mov_b32_e32 v13, v2
	v_cmpx_gt_u32_e32 8, v76
; %bb.3774:                             ;   in Loop: Header=BB373_2082 Depth=1
	v_clz_i32_u32_e32 v13, v2
	s_delay_alu instid0(VALU_DEP_1) | instskip(NEXT) | instid1(VALU_DEP_1)
	v_min_u32_e32 v167, 32, v13
	v_subrev_nc_u32_e32 v13, 28, v167
	v_sub_nc_u32_e32 v75, 29, v167
	s_delay_alu instid0(VALU_DEP_2) | instskip(NEXT) | instid1(VALU_DEP_1)
	v_lshlrev_b64 v[13:14], v13, v[2:3]
	v_and_b32_e32 v13, 7, v13
; %bb.3775:                             ;   in Loop: Header=BB373_2082 Depth=1
	s_or_b32 exec_lo, exec_lo, s23
	v_lshlrev_b32_e32 v2, 8, v63
	v_lshl_add_u32 v14, v75, 10, 0x2000
	s_delay_alu instid0(VALU_DEP_1) | instskip(NEXT) | instid1(VALU_DEP_1)
	v_and_or_b32 v2, 0x8000, v2, v14
	v_lshl_or_b32 v2, v13, 7, v2
	s_delay_alu instid0(VALU_DEP_1)
	v_cvt_f32_f16_e32 v75, v2
.LBB373_3776:                           ;   in Loop: Header=BB373_2082 Depth=1
	s_or_b32 exec_lo, exec_lo, s22
.LBB373_3777:                           ;   in Loop: Header=BB373_2082 Depth=1
	s_delay_alu instid0(SALU_CYCLE_1)
	s_or_b32 exec_lo, exec_lo, s21
.LBB373_3778:                           ;   in Loop: Header=BB373_2082 Depth=1
	s_delay_alu instid0(SALU_CYCLE_1) | instskip(SKIP_2) | instid1(VALU_DEP_1)
	s_or_b32 exec_lo, exec_lo, s19
	v_dual_mov_b32 v2, v12 :: v_dual_and_b32 v13, 0xff, v12
	s_mov_b32 s19, exec_lo
	v_cmpx_ne_u16_e32 0, v13
	s_cbranch_execz .LBB373_3786
; %bb.3779:                             ;   in Loop: Header=BB373_2082 Depth=1
	v_bfrev_b32_e32 v74, 1
	s_mov_b32 s21, exec_lo
	v_cmpx_ne_u16_e32 0x80, v13
	s_cbranch_execz .LBB373_3785
; %bb.3780:                             ;   in Loop: Header=BB373_2082 Depth=1
	v_and_b32_e32 v63, 0x7f, v12
	v_mov_b32_e32 v74, 0x7fc02000
	s_mov_b32 s22, exec_lo
	s_delay_alu instid0(VALU_DEP_2)
	v_cmpx_ne_u32_e32 0x7f, v63
	s_cbranch_execz .LBB373_3784
; %bb.3781:                             ;   in Loop: Header=BB373_2082 Depth=1
	v_dual_mov_b32 v14, v3 :: v_dual_mov_b32 v13, v2
	v_lshrrev_b32_e32 v14, 3, v63
	s_mov_b32 s23, exec_lo
	v_cmpx_gt_u32_e32 8, v63
; %bb.3782:                             ;   in Loop: Header=BB373_2082 Depth=1
	v_and_b32_e32 v13, 7, v12
	s_delay_alu instid0(VALU_DEP_1) | instskip(NEXT) | instid1(VALU_DEP_1)
	v_clz_i32_u32_e32 v13, v13
	v_min_u32_e32 v167, 32, v13
	s_delay_alu instid0(VALU_DEP_1) | instskip(NEXT) | instid1(VALU_DEP_1)
	v_subrev_nc_u32_e32 v13, 28, v167
	v_lshlrev_b64 v[13:14], v13, v[2:3]
	v_sub_nc_u32_e32 v14, 29, v167
; %bb.3783:                             ;   in Loop: Header=BB373_2082 Depth=1
	s_or_b32 exec_lo, exec_lo, s23
	v_lshlrev_b32_e32 v167, 8, v12
	s_delay_alu instid0(VALU_DEP_2) | instskip(NEXT) | instid1(VALU_DEP_4)
	v_lshl_add_u32 v14, v14, 10, 0x2000
	v_lshlrev_b32_e32 v13, 7, v13
	s_delay_alu instid0(VALU_DEP_2) | instskip(NEXT) | instid1(VALU_DEP_1)
	v_and_or_b32 v14, 0x8000, v167, v14
	v_and_or_b32 v13, 0x380, v13, v14
	s_delay_alu instid0(VALU_DEP_1)
	v_cvt_f32_f16_e32 v74, v13
.LBB373_3784:                           ;   in Loop: Header=BB373_2082 Depth=1
	s_or_b32 exec_lo, exec_lo, s22
.LBB373_3785:                           ;   in Loop: Header=BB373_2082 Depth=1
	s_delay_alu instid0(SALU_CYCLE_1)
	s_or_b32 exec_lo, exec_lo, s21
.LBB373_3786:                           ;   in Loop: Header=BB373_2082 Depth=1
	s_delay_alu instid0(SALU_CYCLE_1) | instskip(SKIP_3) | instid1(VALU_DEP_2)
	s_or_b32 exec_lo, exec_lo, s19
	v_lshrrev_b16 v2, 8, v2
	v_dual_mov_b32 v76, 0 :: v_dual_mov_b32 v77, 0
	s_mov_b32 s19, exec_lo
	v_cmpx_ne_u16_e32 0, v2
	s_cbranch_execz .LBB373_3794
; %bb.3787:                             ;   in Loop: Header=BB373_2082 Depth=1
	v_bfrev_b32_e32 v77, 1
	s_mov_b32 s21, exec_lo
	v_cmpx_ne_u16_e32 0x80, v2
	s_cbranch_execz .LBB373_3793
; %bb.3788:                             ;   in Loop: Header=BB373_2082 Depth=1
	v_and_b32_e32 v63, 0xffff, v2
	v_mov_b32_e32 v77, 0x7fc02000
	s_mov_b32 s22, exec_lo
	s_delay_alu instid0(VALU_DEP_2) | instskip(NEXT) | instid1(VALU_DEP_1)
	v_and_b32_e32 v78, 0x7f, v63
	v_cmpx_ne_u32_e32 0x7f, v78
	s_cbranch_execz .LBB373_3792
; %bb.3789:                             ;   in Loop: Header=BB373_2082 Depth=1
	v_and_b32_e32 v2, 7, v63
	v_lshrrev_b32_e32 v77, 3, v78
	v_mov_b32_e32 v14, v3
	s_mov_b32 s23, exec_lo
	s_delay_alu instid0(VALU_DEP_3)
	v_mov_b32_e32 v13, v2
	v_cmpx_gt_u32_e32 8, v78
; %bb.3790:                             ;   in Loop: Header=BB373_2082 Depth=1
	v_clz_i32_u32_e32 v13, v2
	s_delay_alu instid0(VALU_DEP_1) | instskip(NEXT) | instid1(VALU_DEP_1)
	v_min_u32_e32 v167, 32, v13
	v_subrev_nc_u32_e32 v13, 28, v167
	v_sub_nc_u32_e32 v77, 29, v167
	s_delay_alu instid0(VALU_DEP_2) | instskip(NEXT) | instid1(VALU_DEP_1)
	v_lshlrev_b64 v[13:14], v13, v[2:3]
	v_and_b32_e32 v13, 7, v13
; %bb.3791:                             ;   in Loop: Header=BB373_2082 Depth=1
	s_or_b32 exec_lo, exec_lo, s23
	v_lshlrev_b32_e32 v2, 8, v63
	v_lshl_add_u32 v14, v77, 10, 0x2000
	s_delay_alu instid0(VALU_DEP_1) | instskip(NEXT) | instid1(VALU_DEP_1)
	v_and_or_b32 v2, 0x8000, v2, v14
	v_lshl_or_b32 v2, v13, 7, v2
	s_delay_alu instid0(VALU_DEP_1)
	v_cvt_f32_f16_e32 v77, v2
.LBB373_3792:                           ;   in Loop: Header=BB373_2082 Depth=1
	s_or_b32 exec_lo, exec_lo, s22
.LBB373_3793:                           ;   in Loop: Header=BB373_2082 Depth=1
	s_delay_alu instid0(SALU_CYCLE_1)
	s_or_b32 exec_lo, exec_lo, s21
.LBB373_3794:                           ;   in Loop: Header=BB373_2082 Depth=1
	s_delay_alu instid0(SALU_CYCLE_1) | instskip(SKIP_2) | instid1(VALU_DEP_1)
	s_or_b32 exec_lo, exec_lo, s19
	v_lshrrev_b32_e32 v63, 16, v12
	s_mov_b32 s19, exec_lo
	v_and_b32_e32 v2, 0xff, v63
	s_delay_alu instid0(VALU_DEP_1)
	v_cmpx_ne_u16_e32 0, v2
	s_cbranch_execz .LBB373_3802
; %bb.3795:                             ;   in Loop: Header=BB373_2082 Depth=1
	v_bfrev_b32_e32 v76, 1
	s_mov_b32 s21, exec_lo
	v_cmpx_ne_u16_e32 0x80, v2
	s_cbranch_execz .LBB373_3801
; %bb.3796:                             ;   in Loop: Header=BB373_2082 Depth=1
	v_bfe_u32 v78, v12, 16, 7
	v_mov_b32_e32 v76, 0x7fc02000
	s_mov_b32 s22, exec_lo
	s_delay_alu instid0(VALU_DEP_2)
	v_cmpx_ne_u32_e32 0x7f, v78
	s_cbranch_execz .LBB373_3800
; %bb.3797:                             ;   in Loop: Header=BB373_2082 Depth=1
	v_and_b32_e32 v2, 7, v63
	v_lshrrev_b32_e32 v76, 3, v78
	v_mov_b32_e32 v14, v3
	s_mov_b32 s23, exec_lo
	s_delay_alu instid0(VALU_DEP_3)
	v_mov_b32_e32 v13, v2
	v_cmpx_gt_u32_e32 8, v78
; %bb.3798:                             ;   in Loop: Header=BB373_2082 Depth=1
	v_clz_i32_u32_e32 v13, v2
	s_delay_alu instid0(VALU_DEP_1) | instskip(NEXT) | instid1(VALU_DEP_1)
	v_min_u32_e32 v167, 32, v13
	v_subrev_nc_u32_e32 v13, 28, v167
	v_sub_nc_u32_e32 v76, 29, v167
	s_delay_alu instid0(VALU_DEP_2) | instskip(NEXT) | instid1(VALU_DEP_1)
	v_lshlrev_b64 v[13:14], v13, v[2:3]
	v_and_b32_e32 v13, 7, v13
; %bb.3799:                             ;   in Loop: Header=BB373_2082 Depth=1
	s_or_b32 exec_lo, exec_lo, s23
	v_lshlrev_b32_e32 v2, 8, v63
	v_lshl_add_u32 v14, v76, 10, 0x2000
	s_delay_alu instid0(VALU_DEP_1) | instskip(NEXT) | instid1(VALU_DEP_1)
	v_and_or_b32 v2, 0x8000, v2, v14
	v_lshl_or_b32 v2, v13, 7, v2
	s_delay_alu instid0(VALU_DEP_1)
	v_cvt_f32_f16_e32 v76, v2
.LBB373_3800:                           ;   in Loop: Header=BB373_2082 Depth=1
	s_or_b32 exec_lo, exec_lo, s22
.LBB373_3801:                           ;   in Loop: Header=BB373_2082 Depth=1
	s_delay_alu instid0(SALU_CYCLE_1)
	s_or_b32 exec_lo, exec_lo, s21
.LBB373_3802:                           ;   in Loop: Header=BB373_2082 Depth=1
	s_delay_alu instid0(SALU_CYCLE_1)
	s_or_b32 exec_lo, exec_lo, s19
	v_dual_mov_b32 v63, 0 :: v_dual_mov_b32 v2, 0
	s_mov_b32 s19, exec_lo
	v_cmpx_lt_u64_e64 s[12:13], v[11:12]
	s_cbranch_execz .LBB373_3810
; %bb.3803:                             ;   in Loop: Header=BB373_2082 Depth=1
	v_lshrrev_b32_e32 v13, 24, v12
	v_bfrev_b32_e32 v2, 1
	s_mov_b32 s21, exec_lo
	s_delay_alu instid0(VALU_DEP_2)
	v_cmpx_ne_u32_e32 0x80, v13
	s_cbranch_execz .LBB373_3809
; %bb.3804:                             ;   in Loop: Header=BB373_2082 Depth=1
	v_and_b32_e32 v78, 0x7f, v13
	v_mov_b32_e32 v2, 0x7fc02000
	s_mov_b32 s22, exec_lo
	s_delay_alu instid0(VALU_DEP_2)
	v_cmpx_ne_u32_e32 0x7f, v78
	s_cbranch_execz .LBB373_3808
; %bb.3805:                             ;   in Loop: Header=BB373_2082 Depth=1
	v_and_b32_e32 v2, 7, v13
	v_lshrrev_b32_e32 v14, 3, v78
	v_mov_b32_e32 v12, v3
	s_mov_b32 s23, exec_lo
	s_delay_alu instid0(VALU_DEP_3)
	v_mov_b32_e32 v11, v2
	v_cmpx_gt_u32_e32 8, v78
; %bb.3806:                             ;   in Loop: Header=BB373_2082 Depth=1
	v_clz_i32_u32_e32 v11, v2
	s_delay_alu instid0(VALU_DEP_1) | instskip(NEXT) | instid1(VALU_DEP_1)
	v_min_u32_e32 v14, 32, v11
	v_subrev_nc_u32_e32 v11, 28, v14
	v_sub_nc_u32_e32 v14, 29, v14
	s_delay_alu instid0(VALU_DEP_2) | instskip(NEXT) | instid1(VALU_DEP_1)
	v_lshlrev_b64 v[11:12], v11, v[2:3]
	v_and_b32_e32 v11, 7, v11
; %bb.3807:                             ;   in Loop: Header=BB373_2082 Depth=1
	s_or_b32 exec_lo, exec_lo, s23
	v_lshlrev_b32_e32 v2, 8, v13
	v_lshl_add_u32 v12, v14, 10, 0x2000
	s_delay_alu instid0(VALU_DEP_1) | instskip(NEXT) | instid1(VALU_DEP_1)
	v_and_or_b32 v2, 0x8000, v2, v12
	v_lshl_or_b32 v2, v11, 7, v2
	s_delay_alu instid0(VALU_DEP_1)
	v_cvt_f32_f16_e32 v2, v2
.LBB373_3808:                           ;   in Loop: Header=BB373_2082 Depth=1
	s_or_b32 exec_lo, exec_lo, s22
.LBB373_3809:                           ;   in Loop: Header=BB373_2082 Depth=1
	s_delay_alu instid0(SALU_CYCLE_1)
	s_or_b32 exec_lo, exec_lo, s21
.LBB373_3810:                           ;   in Loop: Header=BB373_2082 Depth=1
	s_delay_alu instid0(SALU_CYCLE_1)
	s_or_b32 exec_lo, exec_lo, s19
	s_waitcnt vmcnt(0) lgkmcnt(0)
	v_fma_mixlo_f16 v11, v62, v75, 0
	v_fma_mixlo_f16 v12, v62, v73, 0
	;; [unrolled: 1-line block ×6, first 2 shown]
	v_lshlrev_b32_e32 v176, 16, v11
	v_and_b32_e32 v72, 0xffff, v12
	v_lshlrev_b32_e32 v73, 16, v13
	v_and_b32_e32 v74, 0xffff, v14
	v_dual_cndmask_b32 v14, 0, v14 :: v_dual_lshlrev_b32 v75, 16, v167
	v_and_b32_e32 v77, 0xffff, v61
	v_fma_mixlo_f16 v2, v62, v2, 0
	v_fma_mixlo_f16 v62, v62, v76, 0
	v_cndmask_b32_e64 v13, 0, v13, s0
	v_cndmask_b32_e64 v12, 0, v12, s2
	v_cndmask_b32_e64 v11, 0, v11, s4
	v_or_b32_e32 v176, v176, v72
	v_or_b32_e32 v72, v73, v74
	;; [unrolled: 1-line block ×3, first 2 shown]
	v_lshlrev_b32_e32 v74, 16, v2
	v_and_b32_e32 v75, 0xffff, v62
	v_cndmask_b32_e64 v61, 0, v61, s6
	v_cndmask_b32_e64 v167, 0, v167, s7
	;; [unrolled: 1-line block ×4, first 2 shown]
	v_perm_b32 v13, v13, v14, 0x5040100
	v_perm_b32 v11, v11, v12, 0x5040100
	v_or_b32_e32 v74, v74, v75
	v_perm_b32 v12, v167, v61, 0x5040100
	v_perm_b32 v2, v2, v62, 0x5040100
	v_cndmask_b32_e64 v13, v72, v13, s1
	v_cndmask_b32_e64 v11, v176, v11, s1
	;;#ASMSTART
	v_pk_mul_f16 v13, v130, v13;

	;;#ASMEND
	v_cndmask_b32_e64 v12, v73, v12, s1
	v_cndmask_b32_e64 v2, v74, v2, s1
	;;#ASMSTART
	v_pk_mul_f16 v11, v129, v11;

	;;#ASMEND
	;;#ASMSTART
	v_pk_mul_f16 v12, v128, v12;

	;;#ASMEND
	;;#ASMSTART
	v_pk_mul_f16 v2, v131, v2;

	;;#ASMEND
	;;#ASMSTART
	v_pk_add_f16 v11, v13, v11;

	;;#ASMEND
	;;#ASMSTART
	v_pk_add_f16 v11, v11, v12;

	;;#ASMEND
	;;#ASMSTART
	v_pk_add_f16 v2, v11, v2;

	;;#ASMEND
	v_add_co_u32 v11, s8, v9, v114
	s_delay_alu instid0(VALU_DEP_1)
	v_add_co_ci_u32_e64 v12, s8, 0, v10, s8
	v_lshrrev_b32_e32 v13, 16, v2
	v_and_b32_e32 v2, 0xffff, v2
	;;#ASMSTART
	v_cvt_f32_f16 v61, v2;
	;;#ASMEND
	;;#ASMSTART
	v_cvt_f32_f16 v62, v13;
	;;#ASMEND
	flat_load_b64 v[11:12], v[11:12]
	flat_load_b32 v72, v[121:122]
	s_mov_b32 s19, exec_lo
	s_waitcnt vmcnt(1) lgkmcnt(1)
	v_and_b32_e32 v2, 0xff, v11
	s_delay_alu instid0(VALU_DEP_1)
	v_cmpx_ne_u16_e32 0, v2
	s_cbranch_execz .LBB373_3818
; %bb.3811:                             ;   in Loop: Header=BB373_2082 Depth=1
	v_bfrev_b32_e32 v63, 1
	s_mov_b32 s21, exec_lo
	v_cmpx_ne_u16_e32 0x80, v2
	s_cbranch_execz .LBB373_3817
; %bb.3812:                             ;   in Loop: Header=BB373_2082 Depth=1
	v_and_b32_e32 v13, 0x7f, v11
	v_mov_b32_e32 v63, 0x7fc02000
	s_mov_b32 s22, exec_lo
	s_delay_alu instid0(VALU_DEP_2)
	v_cmpx_ne_u32_e32 0x7f, v13
	s_cbranch_execz .LBB373_3816
; %bb.3813:                             ;   in Loop: Header=BB373_2082 Depth=1
	v_lshrrev_b32_e32 v2, 3, v13
	v_cmp_gt_u32_e64 s8, 8, v13
	v_dual_mov_b32 v14, v12 :: v_dual_mov_b32 v13, v11
	s_delay_alu instid0(VALU_DEP_2)
	s_and_saveexec_b32 s23, s8
; %bb.3814:                             ;   in Loop: Header=BB373_2082 Depth=1
	v_and_b32_e32 v2, 7, v11
	s_delay_alu instid0(VALU_DEP_1) | instskip(NEXT) | instid1(VALU_DEP_1)
	v_clz_i32_u32_e32 v2, v2
	v_min_u32_e32 v2, 32, v2
	s_delay_alu instid0(VALU_DEP_1) | instskip(SKIP_1) | instid1(VALU_DEP_2)
	v_subrev_nc_u32_e32 v13, 28, v2
	v_sub_nc_u32_e32 v2, 29, v2
	v_lshlrev_b64 v[13:14], v13, v[11:12]
; %bb.3815:                             ;   in Loop: Header=BB373_2082 Depth=1
	s_or_b32 exec_lo, exec_lo, s23
	v_lshlrev_b32_e32 v14, 8, v11
	s_delay_alu instid0(VALU_DEP_3) | instskip(NEXT) | instid1(VALU_DEP_3)
	v_lshl_add_u32 v2, v2, 10, 0x2000
	v_lshlrev_b32_e32 v13, 7, v13
	s_delay_alu instid0(VALU_DEP_2) | instskip(NEXT) | instid1(VALU_DEP_1)
	v_and_or_b32 v2, 0x8000, v14, v2
	v_and_or_b32 v2, 0x380, v13, v2
	s_delay_alu instid0(VALU_DEP_1)
	v_cvt_f32_f16_e32 v63, v2
.LBB373_3816:                           ;   in Loop: Header=BB373_2082 Depth=1
	s_or_b32 exec_lo, exec_lo, s22
.LBB373_3817:                           ;   in Loop: Header=BB373_2082 Depth=1
	s_delay_alu instid0(SALU_CYCLE_1)
	s_or_b32 exec_lo, exec_lo, s21
.LBB373_3818:                           ;   in Loop: Header=BB373_2082 Depth=1
	s_delay_alu instid0(SALU_CYCLE_1) | instskip(SKIP_3) | instid1(VALU_DEP_2)
	s_or_b32 exec_lo, exec_lo, s19
	v_lshrrev_b16 v2, 8, v11
	v_dual_mov_b32 v75, 0 :: v_dual_mov_b32 v74, 0
	s_mov_b32 s19, exec_lo
	v_cmpx_ne_u16_e32 0, v2
	s_cbranch_execz .LBB373_3826
; %bb.3819:                             ;   in Loop: Header=BB373_2082 Depth=1
	v_bfrev_b32_e32 v74, 1
	s_mov_b32 s21, exec_lo
	v_cmpx_ne_u16_e32 0x80, v2
	s_cbranch_execz .LBB373_3825
; %bb.3820:                             ;   in Loop: Header=BB373_2082 Depth=1
	v_and_b32_e32 v73, 0xffff, v2
	v_mov_b32_e32 v74, 0x7fc02000
	s_mov_b32 s22, exec_lo
	s_delay_alu instid0(VALU_DEP_2) | instskip(NEXT) | instid1(VALU_DEP_1)
	v_and_b32_e32 v76, 0x7f, v73
	v_cmpx_ne_u32_e32 0x7f, v76
	s_cbranch_execz .LBB373_3824
; %bb.3821:                             ;   in Loop: Header=BB373_2082 Depth=1
	v_and_b32_e32 v2, 7, v73
	v_lshrrev_b32_e32 v74, 3, v76
	v_mov_b32_e32 v14, v3
	s_mov_b32 s23, exec_lo
	s_delay_alu instid0(VALU_DEP_3)
	v_mov_b32_e32 v13, v2
	v_cmpx_gt_u32_e32 8, v76
; %bb.3822:                             ;   in Loop: Header=BB373_2082 Depth=1
	v_clz_i32_u32_e32 v13, v2
	s_delay_alu instid0(VALU_DEP_1) | instskip(NEXT) | instid1(VALU_DEP_1)
	v_min_u32_e32 v167, 32, v13
	v_subrev_nc_u32_e32 v13, 28, v167
	v_sub_nc_u32_e32 v74, 29, v167
	s_delay_alu instid0(VALU_DEP_2) | instskip(NEXT) | instid1(VALU_DEP_1)
	v_lshlrev_b64 v[13:14], v13, v[2:3]
	v_and_b32_e32 v13, 7, v13
; %bb.3823:                             ;   in Loop: Header=BB373_2082 Depth=1
	s_or_b32 exec_lo, exec_lo, s23
	v_lshlrev_b32_e32 v2, 8, v73
	v_lshl_add_u32 v14, v74, 10, 0x2000
	s_delay_alu instid0(VALU_DEP_1) | instskip(NEXT) | instid1(VALU_DEP_1)
	v_and_or_b32 v2, 0x8000, v2, v14
	v_lshl_or_b32 v2, v13, 7, v2
	s_delay_alu instid0(VALU_DEP_1)
	v_cvt_f32_f16_e32 v74, v2
.LBB373_3824:                           ;   in Loop: Header=BB373_2082 Depth=1
	s_or_b32 exec_lo, exec_lo, s22
.LBB373_3825:                           ;   in Loop: Header=BB373_2082 Depth=1
	s_delay_alu instid0(SALU_CYCLE_1)
	s_or_b32 exec_lo, exec_lo, s21
.LBB373_3826:                           ;   in Loop: Header=BB373_2082 Depth=1
	s_delay_alu instid0(SALU_CYCLE_1) | instskip(SKIP_2) | instid1(VALU_DEP_1)
	s_or_b32 exec_lo, exec_lo, s19
	v_lshrrev_b32_e32 v73, 16, v11
	s_mov_b32 s19, exec_lo
	v_and_b32_e32 v2, 0xff, v73
	s_delay_alu instid0(VALU_DEP_1)
	v_cmpx_ne_u16_e32 0, v2
	s_cbranch_execz .LBB373_3834
; %bb.3827:                             ;   in Loop: Header=BB373_2082 Depth=1
	v_bfrev_b32_e32 v75, 1
	s_mov_b32 s21, exec_lo
	v_cmpx_ne_u16_e32 0x80, v2
	s_cbranch_execz .LBB373_3833
; %bb.3828:                             ;   in Loop: Header=BB373_2082 Depth=1
	v_bfe_u32 v76, v11, 16, 7
	v_mov_b32_e32 v75, 0x7fc02000
	s_mov_b32 s22, exec_lo
	s_delay_alu instid0(VALU_DEP_2)
	v_cmpx_ne_u32_e32 0x7f, v76
	s_cbranch_execz .LBB373_3832
; %bb.3829:                             ;   in Loop: Header=BB373_2082 Depth=1
	v_and_b32_e32 v2, 7, v73
	v_lshrrev_b32_e32 v75, 3, v76
	v_mov_b32_e32 v14, v3
	s_mov_b32 s23, exec_lo
	s_delay_alu instid0(VALU_DEP_3)
	v_mov_b32_e32 v13, v2
	v_cmpx_gt_u32_e32 8, v76
; %bb.3830:                             ;   in Loop: Header=BB373_2082 Depth=1
	v_clz_i32_u32_e32 v13, v2
	s_delay_alu instid0(VALU_DEP_1) | instskip(NEXT) | instid1(VALU_DEP_1)
	v_min_u32_e32 v167, 32, v13
	v_subrev_nc_u32_e32 v13, 28, v167
	v_sub_nc_u32_e32 v75, 29, v167
	s_delay_alu instid0(VALU_DEP_2) | instskip(NEXT) | instid1(VALU_DEP_1)
	v_lshlrev_b64 v[13:14], v13, v[2:3]
	v_and_b32_e32 v13, 7, v13
; %bb.3831:                             ;   in Loop: Header=BB373_2082 Depth=1
	s_or_b32 exec_lo, exec_lo, s23
	v_lshlrev_b32_e32 v2, 8, v73
	v_lshl_add_u32 v14, v75, 10, 0x2000
	s_delay_alu instid0(VALU_DEP_1) | instskip(NEXT) | instid1(VALU_DEP_1)
	v_and_or_b32 v2, 0x8000, v2, v14
	v_lshl_or_b32 v2, v13, 7, v2
	s_delay_alu instid0(VALU_DEP_1)
	v_cvt_f32_f16_e32 v75, v2
.LBB373_3832:                           ;   in Loop: Header=BB373_2082 Depth=1
	s_or_b32 exec_lo, exec_lo, s22
.LBB373_3833:                           ;   in Loop: Header=BB373_2082 Depth=1
	s_delay_alu instid0(SALU_CYCLE_1)
	s_or_b32 exec_lo, exec_lo, s21
.LBB373_3834:                           ;   in Loop: Header=BB373_2082 Depth=1
	s_delay_alu instid0(SALU_CYCLE_1)
	s_or_b32 exec_lo, exec_lo, s19
	v_dual_mov_b32 v76, 0 :: v_dual_mov_b32 v77, 0
	s_mov_b32 s19, exec_lo
	v_cmpx_lt_u32_e32 0xffffff, v11
	s_cbranch_execz .LBB373_3842
; %bb.3835:                             ;   in Loop: Header=BB373_2082 Depth=1
	v_lshrrev_b32_e32 v73, 24, v11
	v_bfrev_b32_e32 v77, 1
	s_mov_b32 s21, exec_lo
	s_delay_alu instid0(VALU_DEP_2)
	v_cmpx_ne_u32_e32 0x80, v73
	s_cbranch_execz .LBB373_3841
; %bb.3836:                             ;   in Loop: Header=BB373_2082 Depth=1
	v_and_b32_e32 v78, 0x7f, v73
	v_mov_b32_e32 v77, 0x7fc02000
	s_mov_b32 s22, exec_lo
	s_delay_alu instid0(VALU_DEP_2)
	v_cmpx_ne_u32_e32 0x7f, v78
	s_cbranch_execz .LBB373_3840
; %bb.3837:                             ;   in Loop: Header=BB373_2082 Depth=1
	v_and_b32_e32 v2, 7, v73
	v_lshrrev_b32_e32 v77, 3, v78
	v_mov_b32_e32 v14, v3
	s_mov_b32 s23, exec_lo
	s_delay_alu instid0(VALU_DEP_3)
	v_mov_b32_e32 v13, v2
	v_cmpx_gt_u32_e32 8, v78
; %bb.3838:                             ;   in Loop: Header=BB373_2082 Depth=1
	v_clz_i32_u32_e32 v13, v2
	s_delay_alu instid0(VALU_DEP_1) | instskip(NEXT) | instid1(VALU_DEP_1)
	v_min_u32_e32 v167, 32, v13
	v_subrev_nc_u32_e32 v13, 28, v167
	v_sub_nc_u32_e32 v77, 29, v167
	s_delay_alu instid0(VALU_DEP_2) | instskip(NEXT) | instid1(VALU_DEP_1)
	v_lshlrev_b64 v[13:14], v13, v[2:3]
	v_and_b32_e32 v13, 7, v13
; %bb.3839:                             ;   in Loop: Header=BB373_2082 Depth=1
	s_or_b32 exec_lo, exec_lo, s23
	v_lshlrev_b32_e32 v2, 8, v73
	v_lshl_add_u32 v14, v77, 10, 0x2000
	s_delay_alu instid0(VALU_DEP_1) | instskip(NEXT) | instid1(VALU_DEP_1)
	v_and_or_b32 v2, 0x8000, v2, v14
	v_lshl_or_b32 v2, v13, 7, v2
	s_delay_alu instid0(VALU_DEP_1)
	v_cvt_f32_f16_e32 v77, v2
.LBB373_3840:                           ;   in Loop: Header=BB373_2082 Depth=1
	s_or_b32 exec_lo, exec_lo, s22
.LBB373_3841:                           ;   in Loop: Header=BB373_2082 Depth=1
	s_delay_alu instid0(SALU_CYCLE_1)
	s_or_b32 exec_lo, exec_lo, s21
.LBB373_3842:                           ;   in Loop: Header=BB373_2082 Depth=1
	s_delay_alu instid0(SALU_CYCLE_1) | instskip(SKIP_2) | instid1(VALU_DEP_1)
	s_or_b32 exec_lo, exec_lo, s19
	v_dual_mov_b32 v2, v12 :: v_dual_and_b32 v13, 0xff, v12
	s_mov_b32 s19, exec_lo
	v_cmpx_ne_u16_e32 0, v13
	s_cbranch_execz .LBB373_3850
; %bb.3843:                             ;   in Loop: Header=BB373_2082 Depth=1
	v_bfrev_b32_e32 v76, 1
	s_mov_b32 s21, exec_lo
	v_cmpx_ne_u16_e32 0x80, v13
	s_cbranch_execz .LBB373_3849
; %bb.3844:                             ;   in Loop: Header=BB373_2082 Depth=1
	v_and_b32_e32 v73, 0x7f, v12
	v_mov_b32_e32 v76, 0x7fc02000
	s_mov_b32 s22, exec_lo
	s_delay_alu instid0(VALU_DEP_2)
	v_cmpx_ne_u32_e32 0x7f, v73
	s_cbranch_execz .LBB373_3848
; %bb.3845:                             ;   in Loop: Header=BB373_2082 Depth=1
	v_dual_mov_b32 v14, v3 :: v_dual_mov_b32 v13, v2
	v_lshrrev_b32_e32 v14, 3, v73
	s_mov_b32 s23, exec_lo
	v_cmpx_gt_u32_e32 8, v73
; %bb.3846:                             ;   in Loop: Header=BB373_2082 Depth=1
	v_and_b32_e32 v13, 7, v12
	s_delay_alu instid0(VALU_DEP_1) | instskip(NEXT) | instid1(VALU_DEP_1)
	v_clz_i32_u32_e32 v13, v13
	v_min_u32_e32 v167, 32, v13
	s_delay_alu instid0(VALU_DEP_1) | instskip(NEXT) | instid1(VALU_DEP_1)
	v_subrev_nc_u32_e32 v13, 28, v167
	v_lshlrev_b64 v[13:14], v13, v[2:3]
	v_sub_nc_u32_e32 v14, 29, v167
; %bb.3847:                             ;   in Loop: Header=BB373_2082 Depth=1
	s_or_b32 exec_lo, exec_lo, s23
	v_lshlrev_b32_e32 v167, 8, v12
	s_delay_alu instid0(VALU_DEP_2) | instskip(NEXT) | instid1(VALU_DEP_4)
	v_lshl_add_u32 v14, v14, 10, 0x2000
	v_lshlrev_b32_e32 v13, 7, v13
	s_delay_alu instid0(VALU_DEP_2) | instskip(NEXT) | instid1(VALU_DEP_1)
	v_and_or_b32 v14, 0x8000, v167, v14
	v_and_or_b32 v13, 0x380, v13, v14
	s_delay_alu instid0(VALU_DEP_1)
	v_cvt_f32_f16_e32 v76, v13
.LBB373_3848:                           ;   in Loop: Header=BB373_2082 Depth=1
	s_or_b32 exec_lo, exec_lo, s22
.LBB373_3849:                           ;   in Loop: Header=BB373_2082 Depth=1
	s_delay_alu instid0(SALU_CYCLE_1)
	s_or_b32 exec_lo, exec_lo, s21
.LBB373_3850:                           ;   in Loop: Header=BB373_2082 Depth=1
	s_delay_alu instid0(SALU_CYCLE_1) | instskip(SKIP_3) | instid1(VALU_DEP_2)
	s_or_b32 exec_lo, exec_lo, s19
	v_lshrrev_b16 v2, 8, v2
	v_dual_mov_b32 v78, 0 :: v_dual_mov_b32 v79, 0
	s_mov_b32 s19, exec_lo
	v_cmpx_ne_u16_e32 0, v2
	s_cbranch_execz .LBB373_3858
; %bb.3851:                             ;   in Loop: Header=BB373_2082 Depth=1
	v_bfrev_b32_e32 v79, 1
	s_mov_b32 s21, exec_lo
	v_cmpx_ne_u16_e32 0x80, v2
	s_cbranch_execz .LBB373_3857
; %bb.3852:                             ;   in Loop: Header=BB373_2082 Depth=1
	v_and_b32_e32 v73, 0xffff, v2
	v_mov_b32_e32 v79, 0x7fc02000
	s_mov_b32 s22, exec_lo
	s_delay_alu instid0(VALU_DEP_2) | instskip(NEXT) | instid1(VALU_DEP_1)
	v_and_b32_e32 v88, 0x7f, v73
	v_cmpx_ne_u32_e32 0x7f, v88
	s_cbranch_execz .LBB373_3856
; %bb.3853:                             ;   in Loop: Header=BB373_2082 Depth=1
	v_and_b32_e32 v2, 7, v73
	v_lshrrev_b32_e32 v79, 3, v88
	v_mov_b32_e32 v14, v3
	s_mov_b32 s23, exec_lo
	s_delay_alu instid0(VALU_DEP_3)
	v_mov_b32_e32 v13, v2
	v_cmpx_gt_u32_e32 8, v88
; %bb.3854:                             ;   in Loop: Header=BB373_2082 Depth=1
	v_clz_i32_u32_e32 v13, v2
	s_delay_alu instid0(VALU_DEP_1) | instskip(NEXT) | instid1(VALU_DEP_1)
	v_min_u32_e32 v167, 32, v13
	v_subrev_nc_u32_e32 v13, 28, v167
	v_sub_nc_u32_e32 v79, 29, v167
	s_delay_alu instid0(VALU_DEP_2) | instskip(NEXT) | instid1(VALU_DEP_1)
	v_lshlrev_b64 v[13:14], v13, v[2:3]
	v_and_b32_e32 v13, 7, v13
; %bb.3855:                             ;   in Loop: Header=BB373_2082 Depth=1
	s_or_b32 exec_lo, exec_lo, s23
	v_lshlrev_b32_e32 v2, 8, v73
	v_lshl_add_u32 v14, v79, 10, 0x2000
	s_delay_alu instid0(VALU_DEP_1) | instskip(NEXT) | instid1(VALU_DEP_1)
	v_and_or_b32 v2, 0x8000, v2, v14
	v_lshl_or_b32 v2, v13, 7, v2
	s_delay_alu instid0(VALU_DEP_1)
	v_cvt_f32_f16_e32 v79, v2
.LBB373_3856:                           ;   in Loop: Header=BB373_2082 Depth=1
	s_or_b32 exec_lo, exec_lo, s22
.LBB373_3857:                           ;   in Loop: Header=BB373_2082 Depth=1
	s_delay_alu instid0(SALU_CYCLE_1)
	s_or_b32 exec_lo, exec_lo, s21
.LBB373_3858:                           ;   in Loop: Header=BB373_2082 Depth=1
	s_delay_alu instid0(SALU_CYCLE_1) | instskip(SKIP_2) | instid1(VALU_DEP_1)
	s_or_b32 exec_lo, exec_lo, s19
	v_lshrrev_b32_e32 v73, 16, v12
	s_mov_b32 s19, exec_lo
	v_and_b32_e32 v2, 0xff, v73
	s_delay_alu instid0(VALU_DEP_1)
	v_cmpx_ne_u16_e32 0, v2
	s_cbranch_execz .LBB373_3866
; %bb.3859:                             ;   in Loop: Header=BB373_2082 Depth=1
	v_bfrev_b32_e32 v78, 1
	s_mov_b32 s21, exec_lo
	v_cmpx_ne_u16_e32 0x80, v2
	s_cbranch_execz .LBB373_3865
; %bb.3860:                             ;   in Loop: Header=BB373_2082 Depth=1
	v_bfe_u32 v88, v12, 16, 7
	v_mov_b32_e32 v78, 0x7fc02000
	s_mov_b32 s22, exec_lo
	s_delay_alu instid0(VALU_DEP_2)
	v_cmpx_ne_u32_e32 0x7f, v88
	s_cbranch_execz .LBB373_3864
; %bb.3861:                             ;   in Loop: Header=BB373_2082 Depth=1
	v_and_b32_e32 v2, 7, v73
	v_lshrrev_b32_e32 v78, 3, v88
	v_mov_b32_e32 v14, v3
	s_mov_b32 s23, exec_lo
	s_delay_alu instid0(VALU_DEP_3)
	v_mov_b32_e32 v13, v2
	v_cmpx_gt_u32_e32 8, v88
; %bb.3862:                             ;   in Loop: Header=BB373_2082 Depth=1
	v_clz_i32_u32_e32 v13, v2
	s_delay_alu instid0(VALU_DEP_1) | instskip(NEXT) | instid1(VALU_DEP_1)
	v_min_u32_e32 v167, 32, v13
	v_subrev_nc_u32_e32 v13, 28, v167
	v_sub_nc_u32_e32 v78, 29, v167
	s_delay_alu instid0(VALU_DEP_2) | instskip(NEXT) | instid1(VALU_DEP_1)
	v_lshlrev_b64 v[13:14], v13, v[2:3]
	v_and_b32_e32 v13, 7, v13
; %bb.3863:                             ;   in Loop: Header=BB373_2082 Depth=1
	s_or_b32 exec_lo, exec_lo, s23
	v_lshlrev_b32_e32 v2, 8, v73
	v_lshl_add_u32 v14, v78, 10, 0x2000
	s_delay_alu instid0(VALU_DEP_1) | instskip(NEXT) | instid1(VALU_DEP_1)
	v_and_or_b32 v2, 0x8000, v2, v14
	v_lshl_or_b32 v2, v13, 7, v2
	s_delay_alu instid0(VALU_DEP_1)
	v_cvt_f32_f16_e32 v78, v2
.LBB373_3864:                           ;   in Loop: Header=BB373_2082 Depth=1
	s_or_b32 exec_lo, exec_lo, s22
.LBB373_3865:                           ;   in Loop: Header=BB373_2082 Depth=1
	s_delay_alu instid0(SALU_CYCLE_1)
	s_or_b32 exec_lo, exec_lo, s21
.LBB373_3866:                           ;   in Loop: Header=BB373_2082 Depth=1
	s_delay_alu instid0(SALU_CYCLE_1)
	s_or_b32 exec_lo, exec_lo, s19
	v_dual_mov_b32 v73, 0 :: v_dual_mov_b32 v2, 0
	s_mov_b32 s19, exec_lo
	v_cmpx_lt_u64_e64 s[12:13], v[11:12]
	s_cbranch_execz .LBB373_3874
; %bb.3867:                             ;   in Loop: Header=BB373_2082 Depth=1
	v_lshrrev_b32_e32 v13, 24, v12
	v_bfrev_b32_e32 v2, 1
	s_mov_b32 s21, exec_lo
	s_delay_alu instid0(VALU_DEP_2)
	v_cmpx_ne_u32_e32 0x80, v13
	s_cbranch_execz .LBB373_3873
; %bb.3868:                             ;   in Loop: Header=BB373_2082 Depth=1
	v_and_b32_e32 v88, 0x7f, v13
	v_mov_b32_e32 v2, 0x7fc02000
	s_mov_b32 s22, exec_lo
	s_delay_alu instid0(VALU_DEP_2)
	v_cmpx_ne_u32_e32 0x7f, v88
	s_cbranch_execz .LBB373_3872
; %bb.3869:                             ;   in Loop: Header=BB373_2082 Depth=1
	v_and_b32_e32 v2, 7, v13
	v_lshrrev_b32_e32 v14, 3, v88
	v_mov_b32_e32 v12, v3
	s_mov_b32 s23, exec_lo
	s_delay_alu instid0(VALU_DEP_3)
	v_mov_b32_e32 v11, v2
	v_cmpx_gt_u32_e32 8, v88
; %bb.3870:                             ;   in Loop: Header=BB373_2082 Depth=1
	v_clz_i32_u32_e32 v11, v2
	s_delay_alu instid0(VALU_DEP_1) | instskip(NEXT) | instid1(VALU_DEP_1)
	v_min_u32_e32 v14, 32, v11
	v_subrev_nc_u32_e32 v11, 28, v14
	v_sub_nc_u32_e32 v14, 29, v14
	s_delay_alu instid0(VALU_DEP_2) | instskip(NEXT) | instid1(VALU_DEP_1)
	v_lshlrev_b64 v[11:12], v11, v[2:3]
	v_and_b32_e32 v11, 7, v11
; %bb.3871:                             ;   in Loop: Header=BB373_2082 Depth=1
	s_or_b32 exec_lo, exec_lo, s23
	v_lshlrev_b32_e32 v2, 8, v13
	v_lshl_add_u32 v12, v14, 10, 0x2000
	s_delay_alu instid0(VALU_DEP_1) | instskip(NEXT) | instid1(VALU_DEP_1)
	v_and_or_b32 v2, 0x8000, v2, v12
	v_lshl_or_b32 v2, v11, 7, v2
	s_delay_alu instid0(VALU_DEP_1)
	v_cvt_f32_f16_e32 v2, v2
.LBB373_3872:                           ;   in Loop: Header=BB373_2082 Depth=1
	s_or_b32 exec_lo, exec_lo, s22
.LBB373_3873:                           ;   in Loop: Header=BB373_2082 Depth=1
	s_delay_alu instid0(SALU_CYCLE_1)
	s_or_b32 exec_lo, exec_lo, s21
.LBB373_3874:                           ;   in Loop: Header=BB373_2082 Depth=1
	s_delay_alu instid0(SALU_CYCLE_1)
	s_or_b32 exec_lo, exec_lo, s19
	s_waitcnt vmcnt(0) lgkmcnt(0)
	v_fma_mixlo_f16 v11, v72, v77, 0
	v_fma_mixlo_f16 v12, v72, v75, 0
	;; [unrolled: 1-line block ×6, first 2 shown]
	v_lshlrev_b32_e32 v176, 16, v11
	v_and_b32_e32 v74, 0xffff, v12
	v_lshlrev_b32_e32 v75, 16, v13
	v_and_b32_e32 v76, 0xffff, v14
	v_dual_cndmask_b32 v14, 0, v14 :: v_dual_lshlrev_b32 v77, 16, v167
	v_and_b32_e32 v79, 0xffff, v63
	v_fma_mixlo_f16 v2, v72, v2, 0
	v_fma_mixlo_f16 v72, v72, v78, 0
	v_cndmask_b32_e64 v13, 0, v13, s0
	v_cndmask_b32_e64 v12, 0, v12, s2
	;; [unrolled: 1-line block ×3, first 2 shown]
	v_or_b32_e32 v176, v176, v74
	v_or_b32_e32 v74, v75, v76
	;; [unrolled: 1-line block ×3, first 2 shown]
	v_lshlrev_b32_e32 v76, 16, v2
	v_and_b32_e32 v77, 0xffff, v72
	v_cndmask_b32_e64 v63, 0, v63, s6
	v_cndmask_b32_e64 v167, 0, v167, s7
	;; [unrolled: 1-line block ×4, first 2 shown]
	v_perm_b32 v13, v13, v14, 0x5040100
	v_perm_b32 v11, v11, v12, 0x5040100
	v_or_b32_e32 v76, v76, v77
	v_perm_b32 v12, v167, v63, 0x5040100
	v_perm_b32 v2, v2, v72, 0x5040100
	v_cndmask_b32_e64 v13, v74, v13, s1
	v_cndmask_b32_e64 v11, v176, v11, s1
	;;#ASMSTART
	v_pk_mul_f16 v13, v130, v13;

	;;#ASMEND
	v_cndmask_b32_e64 v12, v75, v12, s1
	v_cndmask_b32_e64 v2, v76, v2, s1
	;;#ASMSTART
	v_pk_mul_f16 v11, v129, v11;

	;;#ASMEND
	;;#ASMSTART
	v_pk_mul_f16 v12, v128, v12;

	;;#ASMEND
	;; [unrolled: 4-line block ×3, first 2 shown]
	;;#ASMSTART
	v_pk_add_f16 v11, v13, v11;

	;;#ASMEND
	;;#ASMSTART
	v_pk_add_f16 v11, v11, v12;

	;;#ASMEND
	;; [unrolled: 4-line block ×3, first 2 shown]
	v_add_co_u32 v11, s8, v9, v115
	s_delay_alu instid0(VALU_DEP_1)
	v_add_co_ci_u32_e64 v12, s8, 0, v10, s8
	v_lshrrev_b32_e32 v13, 16, v2
	v_and_b32_e32 v2, 0xffff, v2
	;;#ASMSTART
	v_cvt_f32_f16 v63, v2;
	;;#ASMEND
	;;#ASMSTART
	v_cvt_f32_f16 v72, v13;
	;;#ASMEND
	flat_load_b64 v[11:12], v[11:12]
	flat_load_b32 v74, v[121:122]
	s_mov_b32 s19, exec_lo
	s_waitcnt vmcnt(1) lgkmcnt(1)
	v_and_b32_e32 v2, 0xff, v11
	s_delay_alu instid0(VALU_DEP_1)
	v_cmpx_ne_u16_e32 0, v2
	s_cbranch_execz .LBB373_3882
; %bb.3875:                             ;   in Loop: Header=BB373_2082 Depth=1
	v_bfrev_b32_e32 v73, 1
	s_mov_b32 s21, exec_lo
	v_cmpx_ne_u16_e32 0x80, v2
	s_cbranch_execz .LBB373_3881
; %bb.3876:                             ;   in Loop: Header=BB373_2082 Depth=1
	v_and_b32_e32 v13, 0x7f, v11
	v_mov_b32_e32 v73, 0x7fc02000
	s_mov_b32 s22, exec_lo
	s_delay_alu instid0(VALU_DEP_2)
	v_cmpx_ne_u32_e32 0x7f, v13
	s_cbranch_execz .LBB373_3880
; %bb.3877:                             ;   in Loop: Header=BB373_2082 Depth=1
	v_lshrrev_b32_e32 v2, 3, v13
	v_cmp_gt_u32_e64 s8, 8, v13
	v_dual_mov_b32 v14, v12 :: v_dual_mov_b32 v13, v11
	s_delay_alu instid0(VALU_DEP_2)
	s_and_saveexec_b32 s23, s8
; %bb.3878:                             ;   in Loop: Header=BB373_2082 Depth=1
	v_and_b32_e32 v2, 7, v11
	s_delay_alu instid0(VALU_DEP_1) | instskip(NEXT) | instid1(VALU_DEP_1)
	v_clz_i32_u32_e32 v2, v2
	v_min_u32_e32 v2, 32, v2
	s_delay_alu instid0(VALU_DEP_1) | instskip(SKIP_1) | instid1(VALU_DEP_2)
	v_subrev_nc_u32_e32 v13, 28, v2
	v_sub_nc_u32_e32 v2, 29, v2
	v_lshlrev_b64 v[13:14], v13, v[11:12]
; %bb.3879:                             ;   in Loop: Header=BB373_2082 Depth=1
	s_or_b32 exec_lo, exec_lo, s23
	v_lshlrev_b32_e32 v14, 8, v11
	s_delay_alu instid0(VALU_DEP_3) | instskip(NEXT) | instid1(VALU_DEP_3)
	v_lshl_add_u32 v2, v2, 10, 0x2000
	v_lshlrev_b32_e32 v13, 7, v13
	s_delay_alu instid0(VALU_DEP_2) | instskip(NEXT) | instid1(VALU_DEP_1)
	v_and_or_b32 v2, 0x8000, v14, v2
	v_and_or_b32 v2, 0x380, v13, v2
	s_delay_alu instid0(VALU_DEP_1)
	v_cvt_f32_f16_e32 v73, v2
.LBB373_3880:                           ;   in Loop: Header=BB373_2082 Depth=1
	s_or_b32 exec_lo, exec_lo, s22
.LBB373_3881:                           ;   in Loop: Header=BB373_2082 Depth=1
	s_delay_alu instid0(SALU_CYCLE_1)
	s_or_b32 exec_lo, exec_lo, s21
.LBB373_3882:                           ;   in Loop: Header=BB373_2082 Depth=1
	s_delay_alu instid0(SALU_CYCLE_1) | instskip(SKIP_3) | instid1(VALU_DEP_2)
	s_or_b32 exec_lo, exec_lo, s19
	v_lshrrev_b16 v2, 8, v11
	v_dual_mov_b32 v77, 0 :: v_dual_mov_b32 v76, 0
	s_mov_b32 s19, exec_lo
	v_cmpx_ne_u16_e32 0, v2
	s_cbranch_execz .LBB373_3890
; %bb.3883:                             ;   in Loop: Header=BB373_2082 Depth=1
	v_bfrev_b32_e32 v76, 1
	s_mov_b32 s21, exec_lo
	v_cmpx_ne_u16_e32 0x80, v2
	s_cbranch_execz .LBB373_3889
; %bb.3884:                             ;   in Loop: Header=BB373_2082 Depth=1
	v_and_b32_e32 v75, 0xffff, v2
	v_mov_b32_e32 v76, 0x7fc02000
	s_mov_b32 s22, exec_lo
	s_delay_alu instid0(VALU_DEP_2) | instskip(NEXT) | instid1(VALU_DEP_1)
	v_and_b32_e32 v78, 0x7f, v75
	v_cmpx_ne_u32_e32 0x7f, v78
	s_cbranch_execz .LBB373_3888
; %bb.3885:                             ;   in Loop: Header=BB373_2082 Depth=1
	v_and_b32_e32 v2, 7, v75
	v_lshrrev_b32_e32 v76, 3, v78
	v_mov_b32_e32 v14, v3
	s_mov_b32 s23, exec_lo
	s_delay_alu instid0(VALU_DEP_3)
	v_mov_b32_e32 v13, v2
	v_cmpx_gt_u32_e32 8, v78
; %bb.3886:                             ;   in Loop: Header=BB373_2082 Depth=1
	v_clz_i32_u32_e32 v13, v2
	s_delay_alu instid0(VALU_DEP_1) | instskip(NEXT) | instid1(VALU_DEP_1)
	v_min_u32_e32 v167, 32, v13
	v_subrev_nc_u32_e32 v13, 28, v167
	v_sub_nc_u32_e32 v76, 29, v167
	s_delay_alu instid0(VALU_DEP_2) | instskip(NEXT) | instid1(VALU_DEP_1)
	v_lshlrev_b64 v[13:14], v13, v[2:3]
	v_and_b32_e32 v13, 7, v13
; %bb.3887:                             ;   in Loop: Header=BB373_2082 Depth=1
	s_or_b32 exec_lo, exec_lo, s23
	v_lshlrev_b32_e32 v2, 8, v75
	v_lshl_add_u32 v14, v76, 10, 0x2000
	s_delay_alu instid0(VALU_DEP_1) | instskip(NEXT) | instid1(VALU_DEP_1)
	v_and_or_b32 v2, 0x8000, v2, v14
	v_lshl_or_b32 v2, v13, 7, v2
	s_delay_alu instid0(VALU_DEP_1)
	v_cvt_f32_f16_e32 v76, v2
.LBB373_3888:                           ;   in Loop: Header=BB373_2082 Depth=1
	s_or_b32 exec_lo, exec_lo, s22
.LBB373_3889:                           ;   in Loop: Header=BB373_2082 Depth=1
	s_delay_alu instid0(SALU_CYCLE_1)
	s_or_b32 exec_lo, exec_lo, s21
.LBB373_3890:                           ;   in Loop: Header=BB373_2082 Depth=1
	s_delay_alu instid0(SALU_CYCLE_1) | instskip(SKIP_2) | instid1(VALU_DEP_1)
	s_or_b32 exec_lo, exec_lo, s19
	v_lshrrev_b32_e32 v75, 16, v11
	s_mov_b32 s19, exec_lo
	v_and_b32_e32 v2, 0xff, v75
	s_delay_alu instid0(VALU_DEP_1)
	v_cmpx_ne_u16_e32 0, v2
	s_cbranch_execz .LBB373_3898
; %bb.3891:                             ;   in Loop: Header=BB373_2082 Depth=1
	v_bfrev_b32_e32 v77, 1
	s_mov_b32 s21, exec_lo
	v_cmpx_ne_u16_e32 0x80, v2
	s_cbranch_execz .LBB373_3897
; %bb.3892:                             ;   in Loop: Header=BB373_2082 Depth=1
	v_bfe_u32 v78, v11, 16, 7
	v_mov_b32_e32 v77, 0x7fc02000
	s_mov_b32 s22, exec_lo
	s_delay_alu instid0(VALU_DEP_2)
	v_cmpx_ne_u32_e32 0x7f, v78
	s_cbranch_execz .LBB373_3896
; %bb.3893:                             ;   in Loop: Header=BB373_2082 Depth=1
	v_and_b32_e32 v2, 7, v75
	v_lshrrev_b32_e32 v77, 3, v78
	v_mov_b32_e32 v14, v3
	s_mov_b32 s23, exec_lo
	s_delay_alu instid0(VALU_DEP_3)
	v_mov_b32_e32 v13, v2
	v_cmpx_gt_u32_e32 8, v78
; %bb.3894:                             ;   in Loop: Header=BB373_2082 Depth=1
	v_clz_i32_u32_e32 v13, v2
	s_delay_alu instid0(VALU_DEP_1) | instskip(NEXT) | instid1(VALU_DEP_1)
	v_min_u32_e32 v167, 32, v13
	v_subrev_nc_u32_e32 v13, 28, v167
	v_sub_nc_u32_e32 v77, 29, v167
	s_delay_alu instid0(VALU_DEP_2) | instskip(NEXT) | instid1(VALU_DEP_1)
	v_lshlrev_b64 v[13:14], v13, v[2:3]
	v_and_b32_e32 v13, 7, v13
; %bb.3895:                             ;   in Loop: Header=BB373_2082 Depth=1
	s_or_b32 exec_lo, exec_lo, s23
	v_lshlrev_b32_e32 v2, 8, v75
	v_lshl_add_u32 v14, v77, 10, 0x2000
	s_delay_alu instid0(VALU_DEP_1) | instskip(NEXT) | instid1(VALU_DEP_1)
	v_and_or_b32 v2, 0x8000, v2, v14
	v_lshl_or_b32 v2, v13, 7, v2
	s_delay_alu instid0(VALU_DEP_1)
	v_cvt_f32_f16_e32 v77, v2
.LBB373_3896:                           ;   in Loop: Header=BB373_2082 Depth=1
	s_or_b32 exec_lo, exec_lo, s22
.LBB373_3897:                           ;   in Loop: Header=BB373_2082 Depth=1
	s_delay_alu instid0(SALU_CYCLE_1)
	s_or_b32 exec_lo, exec_lo, s21
.LBB373_3898:                           ;   in Loop: Header=BB373_2082 Depth=1
	s_delay_alu instid0(SALU_CYCLE_1)
	s_or_b32 exec_lo, exec_lo, s19
	v_dual_mov_b32 v78, 0 :: v_dual_mov_b32 v79, 0
	s_mov_b32 s19, exec_lo
	v_cmpx_lt_u32_e32 0xffffff, v11
	s_cbranch_execz .LBB373_3906
; %bb.3899:                             ;   in Loop: Header=BB373_2082 Depth=1
	v_lshrrev_b32_e32 v75, 24, v11
	v_bfrev_b32_e32 v79, 1
	s_mov_b32 s21, exec_lo
	s_delay_alu instid0(VALU_DEP_2)
	v_cmpx_ne_u32_e32 0x80, v75
	s_cbranch_execz .LBB373_3905
; %bb.3900:                             ;   in Loop: Header=BB373_2082 Depth=1
	v_and_b32_e32 v88, 0x7f, v75
	v_mov_b32_e32 v79, 0x7fc02000
	s_mov_b32 s22, exec_lo
	s_delay_alu instid0(VALU_DEP_2)
	v_cmpx_ne_u32_e32 0x7f, v88
	s_cbranch_execz .LBB373_3904
; %bb.3901:                             ;   in Loop: Header=BB373_2082 Depth=1
	v_and_b32_e32 v2, 7, v75
	v_lshrrev_b32_e32 v79, 3, v88
	v_mov_b32_e32 v14, v3
	s_mov_b32 s23, exec_lo
	s_delay_alu instid0(VALU_DEP_3)
	v_mov_b32_e32 v13, v2
	v_cmpx_gt_u32_e32 8, v88
; %bb.3902:                             ;   in Loop: Header=BB373_2082 Depth=1
	v_clz_i32_u32_e32 v13, v2
	s_delay_alu instid0(VALU_DEP_1) | instskip(NEXT) | instid1(VALU_DEP_1)
	v_min_u32_e32 v167, 32, v13
	v_subrev_nc_u32_e32 v13, 28, v167
	v_sub_nc_u32_e32 v79, 29, v167
	s_delay_alu instid0(VALU_DEP_2) | instskip(NEXT) | instid1(VALU_DEP_1)
	v_lshlrev_b64 v[13:14], v13, v[2:3]
	v_and_b32_e32 v13, 7, v13
; %bb.3903:                             ;   in Loop: Header=BB373_2082 Depth=1
	s_or_b32 exec_lo, exec_lo, s23
	v_lshlrev_b32_e32 v2, 8, v75
	v_lshl_add_u32 v14, v79, 10, 0x2000
	s_delay_alu instid0(VALU_DEP_1) | instskip(NEXT) | instid1(VALU_DEP_1)
	v_and_or_b32 v2, 0x8000, v2, v14
	v_lshl_or_b32 v2, v13, 7, v2
	s_delay_alu instid0(VALU_DEP_1)
	v_cvt_f32_f16_e32 v79, v2
.LBB373_3904:                           ;   in Loop: Header=BB373_2082 Depth=1
	s_or_b32 exec_lo, exec_lo, s22
.LBB373_3905:                           ;   in Loop: Header=BB373_2082 Depth=1
	s_delay_alu instid0(SALU_CYCLE_1)
	s_or_b32 exec_lo, exec_lo, s21
.LBB373_3906:                           ;   in Loop: Header=BB373_2082 Depth=1
	s_delay_alu instid0(SALU_CYCLE_1) | instskip(SKIP_2) | instid1(VALU_DEP_1)
	s_or_b32 exec_lo, exec_lo, s19
	v_dual_mov_b32 v2, v12 :: v_dual_and_b32 v13, 0xff, v12
	s_mov_b32 s19, exec_lo
	v_cmpx_ne_u16_e32 0, v13
	s_cbranch_execz .LBB373_3914
; %bb.3907:                             ;   in Loop: Header=BB373_2082 Depth=1
	v_bfrev_b32_e32 v78, 1
	s_mov_b32 s21, exec_lo
	v_cmpx_ne_u16_e32 0x80, v13
	s_cbranch_execz .LBB373_3913
; %bb.3908:                             ;   in Loop: Header=BB373_2082 Depth=1
	v_and_b32_e32 v75, 0x7f, v12
	v_mov_b32_e32 v78, 0x7fc02000
	s_mov_b32 s22, exec_lo
	s_delay_alu instid0(VALU_DEP_2)
	v_cmpx_ne_u32_e32 0x7f, v75
	s_cbranch_execz .LBB373_3912
; %bb.3909:                             ;   in Loop: Header=BB373_2082 Depth=1
	v_dual_mov_b32 v14, v3 :: v_dual_mov_b32 v13, v2
	v_lshrrev_b32_e32 v14, 3, v75
	s_mov_b32 s23, exec_lo
	v_cmpx_gt_u32_e32 8, v75
; %bb.3910:                             ;   in Loop: Header=BB373_2082 Depth=1
	v_and_b32_e32 v13, 7, v12
	s_delay_alu instid0(VALU_DEP_1) | instskip(NEXT) | instid1(VALU_DEP_1)
	v_clz_i32_u32_e32 v13, v13
	v_min_u32_e32 v167, 32, v13
	s_delay_alu instid0(VALU_DEP_1) | instskip(NEXT) | instid1(VALU_DEP_1)
	v_subrev_nc_u32_e32 v13, 28, v167
	v_lshlrev_b64 v[13:14], v13, v[2:3]
	v_sub_nc_u32_e32 v14, 29, v167
; %bb.3911:                             ;   in Loop: Header=BB373_2082 Depth=1
	s_or_b32 exec_lo, exec_lo, s23
	v_lshlrev_b32_e32 v167, 8, v12
	s_delay_alu instid0(VALU_DEP_2) | instskip(NEXT) | instid1(VALU_DEP_4)
	v_lshl_add_u32 v14, v14, 10, 0x2000
	v_lshlrev_b32_e32 v13, 7, v13
	s_delay_alu instid0(VALU_DEP_2) | instskip(NEXT) | instid1(VALU_DEP_1)
	v_and_or_b32 v14, 0x8000, v167, v14
	v_and_or_b32 v13, 0x380, v13, v14
	s_delay_alu instid0(VALU_DEP_1)
	v_cvt_f32_f16_e32 v78, v13
.LBB373_3912:                           ;   in Loop: Header=BB373_2082 Depth=1
	s_or_b32 exec_lo, exec_lo, s22
.LBB373_3913:                           ;   in Loop: Header=BB373_2082 Depth=1
	s_delay_alu instid0(SALU_CYCLE_1)
	s_or_b32 exec_lo, exec_lo, s21
.LBB373_3914:                           ;   in Loop: Header=BB373_2082 Depth=1
	s_delay_alu instid0(SALU_CYCLE_1) | instskip(SKIP_3) | instid1(VALU_DEP_2)
	s_or_b32 exec_lo, exec_lo, s19
	v_lshrrev_b16 v2, 8, v2
	v_dual_mov_b32 v88, 0 :: v_dual_mov_b32 v89, 0
	s_mov_b32 s19, exec_lo
	v_cmpx_ne_u16_e32 0, v2
	s_cbranch_execz .LBB373_3922
; %bb.3915:                             ;   in Loop: Header=BB373_2082 Depth=1
	v_bfrev_b32_e32 v89, 1
	s_mov_b32 s21, exec_lo
	v_cmpx_ne_u16_e32 0x80, v2
	s_cbranch_execz .LBB373_3921
; %bb.3916:                             ;   in Loop: Header=BB373_2082 Depth=1
	v_and_b32_e32 v75, 0xffff, v2
	v_mov_b32_e32 v89, 0x7fc02000
	s_mov_b32 s22, exec_lo
	s_delay_alu instid0(VALU_DEP_2) | instskip(NEXT) | instid1(VALU_DEP_1)
	v_and_b32_e32 v90, 0x7f, v75
	v_cmpx_ne_u32_e32 0x7f, v90
	s_cbranch_execz .LBB373_3920
; %bb.3917:                             ;   in Loop: Header=BB373_2082 Depth=1
	v_and_b32_e32 v2, 7, v75
	v_lshrrev_b32_e32 v89, 3, v90
	v_mov_b32_e32 v14, v3
	s_mov_b32 s23, exec_lo
	s_delay_alu instid0(VALU_DEP_3)
	v_mov_b32_e32 v13, v2
	v_cmpx_gt_u32_e32 8, v90
; %bb.3918:                             ;   in Loop: Header=BB373_2082 Depth=1
	v_clz_i32_u32_e32 v13, v2
	s_delay_alu instid0(VALU_DEP_1) | instskip(NEXT) | instid1(VALU_DEP_1)
	v_min_u32_e32 v167, 32, v13
	v_subrev_nc_u32_e32 v13, 28, v167
	v_sub_nc_u32_e32 v89, 29, v167
	s_delay_alu instid0(VALU_DEP_2) | instskip(NEXT) | instid1(VALU_DEP_1)
	v_lshlrev_b64 v[13:14], v13, v[2:3]
	v_and_b32_e32 v13, 7, v13
; %bb.3919:                             ;   in Loop: Header=BB373_2082 Depth=1
	s_or_b32 exec_lo, exec_lo, s23
	v_lshlrev_b32_e32 v2, 8, v75
	v_lshl_add_u32 v14, v89, 10, 0x2000
	s_delay_alu instid0(VALU_DEP_1) | instskip(NEXT) | instid1(VALU_DEP_1)
	v_and_or_b32 v2, 0x8000, v2, v14
	v_lshl_or_b32 v2, v13, 7, v2
	s_delay_alu instid0(VALU_DEP_1)
	v_cvt_f32_f16_e32 v89, v2
.LBB373_3920:                           ;   in Loop: Header=BB373_2082 Depth=1
	s_or_b32 exec_lo, exec_lo, s22
.LBB373_3921:                           ;   in Loop: Header=BB373_2082 Depth=1
	s_delay_alu instid0(SALU_CYCLE_1)
	s_or_b32 exec_lo, exec_lo, s21
.LBB373_3922:                           ;   in Loop: Header=BB373_2082 Depth=1
	s_delay_alu instid0(SALU_CYCLE_1) | instskip(SKIP_2) | instid1(VALU_DEP_1)
	s_or_b32 exec_lo, exec_lo, s19
	v_lshrrev_b32_e32 v75, 16, v12
	s_mov_b32 s19, exec_lo
	v_and_b32_e32 v2, 0xff, v75
	s_delay_alu instid0(VALU_DEP_1)
	v_cmpx_ne_u16_e32 0, v2
	s_cbranch_execz .LBB373_3930
; %bb.3923:                             ;   in Loop: Header=BB373_2082 Depth=1
	v_bfrev_b32_e32 v88, 1
	s_mov_b32 s21, exec_lo
	v_cmpx_ne_u16_e32 0x80, v2
	s_cbranch_execz .LBB373_3929
; %bb.3924:                             ;   in Loop: Header=BB373_2082 Depth=1
	v_bfe_u32 v90, v12, 16, 7
	v_mov_b32_e32 v88, 0x7fc02000
	s_mov_b32 s22, exec_lo
	s_delay_alu instid0(VALU_DEP_2)
	v_cmpx_ne_u32_e32 0x7f, v90
	s_cbranch_execz .LBB373_3928
; %bb.3925:                             ;   in Loop: Header=BB373_2082 Depth=1
	v_and_b32_e32 v2, 7, v75
	v_lshrrev_b32_e32 v88, 3, v90
	v_mov_b32_e32 v14, v3
	s_mov_b32 s23, exec_lo
	s_delay_alu instid0(VALU_DEP_3)
	v_mov_b32_e32 v13, v2
	v_cmpx_gt_u32_e32 8, v90
; %bb.3926:                             ;   in Loop: Header=BB373_2082 Depth=1
	v_clz_i32_u32_e32 v13, v2
	s_delay_alu instid0(VALU_DEP_1) | instskip(NEXT) | instid1(VALU_DEP_1)
	v_min_u32_e32 v167, 32, v13
	v_subrev_nc_u32_e32 v13, 28, v167
	v_sub_nc_u32_e32 v88, 29, v167
	s_delay_alu instid0(VALU_DEP_2) | instskip(NEXT) | instid1(VALU_DEP_1)
	v_lshlrev_b64 v[13:14], v13, v[2:3]
	v_and_b32_e32 v13, 7, v13
; %bb.3927:                             ;   in Loop: Header=BB373_2082 Depth=1
	s_or_b32 exec_lo, exec_lo, s23
	v_lshlrev_b32_e32 v2, 8, v75
	v_lshl_add_u32 v14, v88, 10, 0x2000
	s_delay_alu instid0(VALU_DEP_1) | instskip(NEXT) | instid1(VALU_DEP_1)
	v_and_or_b32 v2, 0x8000, v2, v14
	v_lshl_or_b32 v2, v13, 7, v2
	s_delay_alu instid0(VALU_DEP_1)
	v_cvt_f32_f16_e32 v88, v2
.LBB373_3928:                           ;   in Loop: Header=BB373_2082 Depth=1
	s_or_b32 exec_lo, exec_lo, s22
.LBB373_3929:                           ;   in Loop: Header=BB373_2082 Depth=1
	s_delay_alu instid0(SALU_CYCLE_1)
	s_or_b32 exec_lo, exec_lo, s21
.LBB373_3930:                           ;   in Loop: Header=BB373_2082 Depth=1
	s_delay_alu instid0(SALU_CYCLE_1)
	s_or_b32 exec_lo, exec_lo, s19
	v_dual_mov_b32 v75, 0 :: v_dual_mov_b32 v2, 0
	s_mov_b32 s19, exec_lo
	v_cmpx_lt_u64_e64 s[12:13], v[11:12]
	s_cbranch_execz .LBB373_3938
; %bb.3931:                             ;   in Loop: Header=BB373_2082 Depth=1
	v_lshrrev_b32_e32 v13, 24, v12
	v_bfrev_b32_e32 v2, 1
	s_mov_b32 s21, exec_lo
	s_delay_alu instid0(VALU_DEP_2)
	v_cmpx_ne_u32_e32 0x80, v13
	s_cbranch_execz .LBB373_3937
; %bb.3932:                             ;   in Loop: Header=BB373_2082 Depth=1
	v_and_b32_e32 v90, 0x7f, v13
	v_mov_b32_e32 v2, 0x7fc02000
	s_mov_b32 s22, exec_lo
	s_delay_alu instid0(VALU_DEP_2)
	v_cmpx_ne_u32_e32 0x7f, v90
	s_cbranch_execz .LBB373_3936
; %bb.3933:                             ;   in Loop: Header=BB373_2082 Depth=1
	v_and_b32_e32 v2, 7, v13
	v_lshrrev_b32_e32 v14, 3, v90
	v_mov_b32_e32 v12, v3
	s_mov_b32 s23, exec_lo
	s_delay_alu instid0(VALU_DEP_3)
	v_mov_b32_e32 v11, v2
	v_cmpx_gt_u32_e32 8, v90
; %bb.3934:                             ;   in Loop: Header=BB373_2082 Depth=1
	v_clz_i32_u32_e32 v11, v2
	s_delay_alu instid0(VALU_DEP_1) | instskip(NEXT) | instid1(VALU_DEP_1)
	v_min_u32_e32 v14, 32, v11
	v_subrev_nc_u32_e32 v11, 28, v14
	v_sub_nc_u32_e32 v14, 29, v14
	s_delay_alu instid0(VALU_DEP_2) | instskip(NEXT) | instid1(VALU_DEP_1)
	v_lshlrev_b64 v[11:12], v11, v[2:3]
	v_and_b32_e32 v11, 7, v11
; %bb.3935:                             ;   in Loop: Header=BB373_2082 Depth=1
	s_or_b32 exec_lo, exec_lo, s23
	v_lshlrev_b32_e32 v2, 8, v13
	v_lshl_add_u32 v12, v14, 10, 0x2000
	s_delay_alu instid0(VALU_DEP_1) | instskip(NEXT) | instid1(VALU_DEP_1)
	v_and_or_b32 v2, 0x8000, v2, v12
	v_lshl_or_b32 v2, v11, 7, v2
	s_delay_alu instid0(VALU_DEP_1)
	v_cvt_f32_f16_e32 v2, v2
.LBB373_3936:                           ;   in Loop: Header=BB373_2082 Depth=1
	s_or_b32 exec_lo, exec_lo, s22
.LBB373_3937:                           ;   in Loop: Header=BB373_2082 Depth=1
	s_delay_alu instid0(SALU_CYCLE_1)
	s_or_b32 exec_lo, exec_lo, s21
.LBB373_3938:                           ;   in Loop: Header=BB373_2082 Depth=1
	s_delay_alu instid0(SALU_CYCLE_1)
	s_or_b32 exec_lo, exec_lo, s19
	s_waitcnt vmcnt(0) lgkmcnt(0)
	v_fma_mixlo_f16 v11, v74, v79, 0
	v_fma_mixlo_f16 v12, v74, v77, 0
	;; [unrolled: 1-line block ×6, first 2 shown]
	v_lshlrev_b32_e32 v176, 16, v11
	v_and_b32_e32 v76, 0xffff, v12
	v_lshlrev_b32_e32 v77, 16, v13
	v_and_b32_e32 v78, 0xffff, v14
	v_dual_cndmask_b32 v14, 0, v14 :: v_dual_lshlrev_b32 v79, 16, v167
	v_and_b32_e32 v89, 0xffff, v73
	v_fma_mixlo_f16 v2, v74, v2, 0
	v_fma_mixlo_f16 v74, v74, v88, 0
	v_cndmask_b32_e64 v13, 0, v13, s0
	v_cndmask_b32_e64 v12, 0, v12, s2
	;; [unrolled: 1-line block ×3, first 2 shown]
	v_or_b32_e32 v176, v176, v76
	v_or_b32_e32 v76, v77, v78
	;; [unrolled: 1-line block ×3, first 2 shown]
	v_lshlrev_b32_e32 v78, 16, v2
	v_and_b32_e32 v79, 0xffff, v74
	v_cndmask_b32_e64 v73, 0, v73, s6
	v_cndmask_b32_e64 v167, 0, v167, s7
	;; [unrolled: 1-line block ×4, first 2 shown]
	v_perm_b32 v13, v13, v14, 0x5040100
	v_perm_b32 v11, v11, v12, 0x5040100
	v_or_b32_e32 v78, v78, v79
	v_perm_b32 v12, v167, v73, 0x5040100
	v_perm_b32 v2, v2, v74, 0x5040100
	v_cndmask_b32_e64 v13, v76, v13, s1
	v_cndmask_b32_e64 v11, v176, v11, s1
	;;#ASMSTART
	v_pk_mul_f16 v13, v130, v13;

	;;#ASMEND
	v_cndmask_b32_e64 v12, v77, v12, s1
	v_cndmask_b32_e64 v2, v78, v2, s1
	;;#ASMSTART
	v_pk_mul_f16 v11, v129, v11;

	;;#ASMEND
	;;#ASMSTART
	v_pk_mul_f16 v12, v128, v12;

	;;#ASMEND
	;; [unrolled: 4-line block ×3, first 2 shown]
	;;#ASMSTART
	v_pk_add_f16 v11, v13, v11;

	;;#ASMEND
	;;#ASMSTART
	v_pk_add_f16 v11, v11, v12;

	;;#ASMEND
	;;#ASMSTART
	v_pk_add_f16 v2, v11, v2;

	;;#ASMEND
	v_add_co_u32 v11, s8, v9, v116
	s_delay_alu instid0(VALU_DEP_1)
	v_add_co_ci_u32_e64 v12, s8, 0, v10, s8
	v_lshrrev_b32_e32 v13, 16, v2
	v_and_b32_e32 v2, 0xffff, v2
	;;#ASMSTART
	v_cvt_f32_f16 v73, v2;
	;;#ASMEND
	;;#ASMSTART
	v_cvt_f32_f16 v74, v13;
	;;#ASMEND
	flat_load_b64 v[11:12], v[11:12]
	flat_load_b32 v76, v[121:122]
	s_mov_b32 s19, exec_lo
	s_waitcnt vmcnt(1) lgkmcnt(1)
	v_and_b32_e32 v2, 0xff, v11
	s_delay_alu instid0(VALU_DEP_1)
	v_cmpx_ne_u16_e32 0, v2
	s_cbranch_execz .LBB373_3946
; %bb.3939:                             ;   in Loop: Header=BB373_2082 Depth=1
	v_bfrev_b32_e32 v75, 1
	s_mov_b32 s21, exec_lo
	v_cmpx_ne_u16_e32 0x80, v2
	s_cbranch_execz .LBB373_3945
; %bb.3940:                             ;   in Loop: Header=BB373_2082 Depth=1
	v_and_b32_e32 v13, 0x7f, v11
	v_mov_b32_e32 v75, 0x7fc02000
	s_mov_b32 s22, exec_lo
	s_delay_alu instid0(VALU_DEP_2)
	v_cmpx_ne_u32_e32 0x7f, v13
	s_cbranch_execz .LBB373_3944
; %bb.3941:                             ;   in Loop: Header=BB373_2082 Depth=1
	v_lshrrev_b32_e32 v2, 3, v13
	v_cmp_gt_u32_e64 s8, 8, v13
	v_dual_mov_b32 v14, v12 :: v_dual_mov_b32 v13, v11
	s_delay_alu instid0(VALU_DEP_2)
	s_and_saveexec_b32 s23, s8
; %bb.3942:                             ;   in Loop: Header=BB373_2082 Depth=1
	v_and_b32_e32 v2, 7, v11
	s_delay_alu instid0(VALU_DEP_1) | instskip(NEXT) | instid1(VALU_DEP_1)
	v_clz_i32_u32_e32 v2, v2
	v_min_u32_e32 v2, 32, v2
	s_delay_alu instid0(VALU_DEP_1) | instskip(SKIP_1) | instid1(VALU_DEP_2)
	v_subrev_nc_u32_e32 v13, 28, v2
	v_sub_nc_u32_e32 v2, 29, v2
	v_lshlrev_b64 v[13:14], v13, v[11:12]
; %bb.3943:                             ;   in Loop: Header=BB373_2082 Depth=1
	s_or_b32 exec_lo, exec_lo, s23
	v_lshlrev_b32_e32 v14, 8, v11
	s_delay_alu instid0(VALU_DEP_3) | instskip(NEXT) | instid1(VALU_DEP_3)
	v_lshl_add_u32 v2, v2, 10, 0x2000
	v_lshlrev_b32_e32 v13, 7, v13
	s_delay_alu instid0(VALU_DEP_2) | instskip(NEXT) | instid1(VALU_DEP_1)
	v_and_or_b32 v2, 0x8000, v14, v2
	v_and_or_b32 v2, 0x380, v13, v2
	s_delay_alu instid0(VALU_DEP_1)
	v_cvt_f32_f16_e32 v75, v2
.LBB373_3944:                           ;   in Loop: Header=BB373_2082 Depth=1
	s_or_b32 exec_lo, exec_lo, s22
.LBB373_3945:                           ;   in Loop: Header=BB373_2082 Depth=1
	s_delay_alu instid0(SALU_CYCLE_1)
	s_or_b32 exec_lo, exec_lo, s21
.LBB373_3946:                           ;   in Loop: Header=BB373_2082 Depth=1
	s_delay_alu instid0(SALU_CYCLE_1) | instskip(SKIP_3) | instid1(VALU_DEP_2)
	s_or_b32 exec_lo, exec_lo, s19
	v_lshrrev_b16 v2, 8, v11
	v_dual_mov_b32 v79, 0 :: v_dual_mov_b32 v78, 0
	s_mov_b32 s19, exec_lo
	v_cmpx_ne_u16_e32 0, v2
	s_cbranch_execz .LBB373_3954
; %bb.3947:                             ;   in Loop: Header=BB373_2082 Depth=1
	v_bfrev_b32_e32 v78, 1
	s_mov_b32 s21, exec_lo
	v_cmpx_ne_u16_e32 0x80, v2
	s_cbranch_execz .LBB373_3953
; %bb.3948:                             ;   in Loop: Header=BB373_2082 Depth=1
	v_and_b32_e32 v77, 0xffff, v2
	v_mov_b32_e32 v78, 0x7fc02000
	s_mov_b32 s22, exec_lo
	s_delay_alu instid0(VALU_DEP_2) | instskip(NEXT) | instid1(VALU_DEP_1)
	v_and_b32_e32 v88, 0x7f, v77
	v_cmpx_ne_u32_e32 0x7f, v88
	s_cbranch_execz .LBB373_3952
; %bb.3949:                             ;   in Loop: Header=BB373_2082 Depth=1
	v_and_b32_e32 v2, 7, v77
	v_lshrrev_b32_e32 v78, 3, v88
	v_mov_b32_e32 v14, v3
	s_mov_b32 s23, exec_lo
	s_delay_alu instid0(VALU_DEP_3)
	v_mov_b32_e32 v13, v2
	v_cmpx_gt_u32_e32 8, v88
; %bb.3950:                             ;   in Loop: Header=BB373_2082 Depth=1
	v_clz_i32_u32_e32 v13, v2
	s_delay_alu instid0(VALU_DEP_1) | instskip(NEXT) | instid1(VALU_DEP_1)
	v_min_u32_e32 v167, 32, v13
	v_subrev_nc_u32_e32 v13, 28, v167
	v_sub_nc_u32_e32 v78, 29, v167
	s_delay_alu instid0(VALU_DEP_2) | instskip(NEXT) | instid1(VALU_DEP_1)
	v_lshlrev_b64 v[13:14], v13, v[2:3]
	v_and_b32_e32 v13, 7, v13
; %bb.3951:                             ;   in Loop: Header=BB373_2082 Depth=1
	s_or_b32 exec_lo, exec_lo, s23
	v_lshlrev_b32_e32 v2, 8, v77
	v_lshl_add_u32 v14, v78, 10, 0x2000
	s_delay_alu instid0(VALU_DEP_1) | instskip(NEXT) | instid1(VALU_DEP_1)
	v_and_or_b32 v2, 0x8000, v2, v14
	v_lshl_or_b32 v2, v13, 7, v2
	s_delay_alu instid0(VALU_DEP_1)
	v_cvt_f32_f16_e32 v78, v2
.LBB373_3952:                           ;   in Loop: Header=BB373_2082 Depth=1
	s_or_b32 exec_lo, exec_lo, s22
.LBB373_3953:                           ;   in Loop: Header=BB373_2082 Depth=1
	s_delay_alu instid0(SALU_CYCLE_1)
	s_or_b32 exec_lo, exec_lo, s21
.LBB373_3954:                           ;   in Loop: Header=BB373_2082 Depth=1
	s_delay_alu instid0(SALU_CYCLE_1) | instskip(SKIP_2) | instid1(VALU_DEP_1)
	s_or_b32 exec_lo, exec_lo, s19
	v_lshrrev_b32_e32 v77, 16, v11
	s_mov_b32 s19, exec_lo
	v_and_b32_e32 v2, 0xff, v77
	s_delay_alu instid0(VALU_DEP_1)
	v_cmpx_ne_u16_e32 0, v2
	s_cbranch_execz .LBB373_3962
; %bb.3955:                             ;   in Loop: Header=BB373_2082 Depth=1
	v_bfrev_b32_e32 v79, 1
	s_mov_b32 s21, exec_lo
	v_cmpx_ne_u16_e32 0x80, v2
	s_cbranch_execz .LBB373_3961
; %bb.3956:                             ;   in Loop: Header=BB373_2082 Depth=1
	v_bfe_u32 v88, v11, 16, 7
	v_mov_b32_e32 v79, 0x7fc02000
	s_mov_b32 s22, exec_lo
	s_delay_alu instid0(VALU_DEP_2)
	v_cmpx_ne_u32_e32 0x7f, v88
	s_cbranch_execz .LBB373_3960
; %bb.3957:                             ;   in Loop: Header=BB373_2082 Depth=1
	v_and_b32_e32 v2, 7, v77
	v_lshrrev_b32_e32 v79, 3, v88
	v_mov_b32_e32 v14, v3
	s_mov_b32 s23, exec_lo
	s_delay_alu instid0(VALU_DEP_3)
	v_mov_b32_e32 v13, v2
	v_cmpx_gt_u32_e32 8, v88
; %bb.3958:                             ;   in Loop: Header=BB373_2082 Depth=1
	v_clz_i32_u32_e32 v13, v2
	s_delay_alu instid0(VALU_DEP_1) | instskip(NEXT) | instid1(VALU_DEP_1)
	v_min_u32_e32 v167, 32, v13
	v_subrev_nc_u32_e32 v13, 28, v167
	v_sub_nc_u32_e32 v79, 29, v167
	s_delay_alu instid0(VALU_DEP_2) | instskip(NEXT) | instid1(VALU_DEP_1)
	v_lshlrev_b64 v[13:14], v13, v[2:3]
	v_and_b32_e32 v13, 7, v13
; %bb.3959:                             ;   in Loop: Header=BB373_2082 Depth=1
	s_or_b32 exec_lo, exec_lo, s23
	v_lshlrev_b32_e32 v2, 8, v77
	v_lshl_add_u32 v14, v79, 10, 0x2000
	s_delay_alu instid0(VALU_DEP_1) | instskip(NEXT) | instid1(VALU_DEP_1)
	v_and_or_b32 v2, 0x8000, v2, v14
	v_lshl_or_b32 v2, v13, 7, v2
	s_delay_alu instid0(VALU_DEP_1)
	v_cvt_f32_f16_e32 v79, v2
.LBB373_3960:                           ;   in Loop: Header=BB373_2082 Depth=1
	s_or_b32 exec_lo, exec_lo, s22
.LBB373_3961:                           ;   in Loop: Header=BB373_2082 Depth=1
	s_delay_alu instid0(SALU_CYCLE_1)
	s_or_b32 exec_lo, exec_lo, s21
.LBB373_3962:                           ;   in Loop: Header=BB373_2082 Depth=1
	s_delay_alu instid0(SALU_CYCLE_1)
	s_or_b32 exec_lo, exec_lo, s19
	v_dual_mov_b32 v88, 0 :: v_dual_mov_b32 v89, 0
	s_mov_b32 s19, exec_lo
	v_cmpx_lt_u32_e32 0xffffff, v11
	s_cbranch_execz .LBB373_3970
; %bb.3963:                             ;   in Loop: Header=BB373_2082 Depth=1
	v_lshrrev_b32_e32 v77, 24, v11
	v_bfrev_b32_e32 v89, 1
	s_mov_b32 s21, exec_lo
	s_delay_alu instid0(VALU_DEP_2)
	v_cmpx_ne_u32_e32 0x80, v77
	s_cbranch_execz .LBB373_3969
; %bb.3964:                             ;   in Loop: Header=BB373_2082 Depth=1
	v_and_b32_e32 v90, 0x7f, v77
	v_mov_b32_e32 v89, 0x7fc02000
	s_mov_b32 s22, exec_lo
	s_delay_alu instid0(VALU_DEP_2)
	v_cmpx_ne_u32_e32 0x7f, v90
	s_cbranch_execz .LBB373_3968
; %bb.3965:                             ;   in Loop: Header=BB373_2082 Depth=1
	v_and_b32_e32 v2, 7, v77
	v_lshrrev_b32_e32 v89, 3, v90
	v_mov_b32_e32 v14, v3
	s_mov_b32 s23, exec_lo
	s_delay_alu instid0(VALU_DEP_3)
	v_mov_b32_e32 v13, v2
	v_cmpx_gt_u32_e32 8, v90
; %bb.3966:                             ;   in Loop: Header=BB373_2082 Depth=1
	v_clz_i32_u32_e32 v13, v2
	s_delay_alu instid0(VALU_DEP_1) | instskip(NEXT) | instid1(VALU_DEP_1)
	v_min_u32_e32 v167, 32, v13
	v_subrev_nc_u32_e32 v13, 28, v167
	v_sub_nc_u32_e32 v89, 29, v167
	s_delay_alu instid0(VALU_DEP_2) | instskip(NEXT) | instid1(VALU_DEP_1)
	v_lshlrev_b64 v[13:14], v13, v[2:3]
	v_and_b32_e32 v13, 7, v13
; %bb.3967:                             ;   in Loop: Header=BB373_2082 Depth=1
	s_or_b32 exec_lo, exec_lo, s23
	v_lshlrev_b32_e32 v2, 8, v77
	v_lshl_add_u32 v14, v89, 10, 0x2000
	s_delay_alu instid0(VALU_DEP_1) | instskip(NEXT) | instid1(VALU_DEP_1)
	v_and_or_b32 v2, 0x8000, v2, v14
	v_lshl_or_b32 v2, v13, 7, v2
	s_delay_alu instid0(VALU_DEP_1)
	v_cvt_f32_f16_e32 v89, v2
.LBB373_3968:                           ;   in Loop: Header=BB373_2082 Depth=1
	s_or_b32 exec_lo, exec_lo, s22
.LBB373_3969:                           ;   in Loop: Header=BB373_2082 Depth=1
	s_delay_alu instid0(SALU_CYCLE_1)
	s_or_b32 exec_lo, exec_lo, s21
.LBB373_3970:                           ;   in Loop: Header=BB373_2082 Depth=1
	s_delay_alu instid0(SALU_CYCLE_1) | instskip(SKIP_2) | instid1(VALU_DEP_1)
	s_or_b32 exec_lo, exec_lo, s19
	v_dual_mov_b32 v2, v12 :: v_dual_and_b32 v13, 0xff, v12
	s_mov_b32 s19, exec_lo
	v_cmpx_ne_u16_e32 0, v13
	s_cbranch_execz .LBB373_3978
; %bb.3971:                             ;   in Loop: Header=BB373_2082 Depth=1
	v_bfrev_b32_e32 v88, 1
	s_mov_b32 s21, exec_lo
	v_cmpx_ne_u16_e32 0x80, v13
	s_cbranch_execz .LBB373_3977
; %bb.3972:                             ;   in Loop: Header=BB373_2082 Depth=1
	v_and_b32_e32 v77, 0x7f, v12
	v_mov_b32_e32 v88, 0x7fc02000
	s_mov_b32 s22, exec_lo
	s_delay_alu instid0(VALU_DEP_2)
	v_cmpx_ne_u32_e32 0x7f, v77
	s_cbranch_execz .LBB373_3976
; %bb.3973:                             ;   in Loop: Header=BB373_2082 Depth=1
	v_dual_mov_b32 v14, v3 :: v_dual_mov_b32 v13, v2
	v_lshrrev_b32_e32 v14, 3, v77
	s_mov_b32 s23, exec_lo
	v_cmpx_gt_u32_e32 8, v77
; %bb.3974:                             ;   in Loop: Header=BB373_2082 Depth=1
	v_and_b32_e32 v13, 7, v12
	s_delay_alu instid0(VALU_DEP_1) | instskip(NEXT) | instid1(VALU_DEP_1)
	v_clz_i32_u32_e32 v13, v13
	v_min_u32_e32 v167, 32, v13
	s_delay_alu instid0(VALU_DEP_1) | instskip(NEXT) | instid1(VALU_DEP_1)
	v_subrev_nc_u32_e32 v13, 28, v167
	v_lshlrev_b64 v[13:14], v13, v[2:3]
	v_sub_nc_u32_e32 v14, 29, v167
; %bb.3975:                             ;   in Loop: Header=BB373_2082 Depth=1
	s_or_b32 exec_lo, exec_lo, s23
	v_lshlrev_b32_e32 v167, 8, v12
	s_delay_alu instid0(VALU_DEP_2) | instskip(NEXT) | instid1(VALU_DEP_4)
	v_lshl_add_u32 v14, v14, 10, 0x2000
	v_lshlrev_b32_e32 v13, 7, v13
	s_delay_alu instid0(VALU_DEP_2) | instskip(NEXT) | instid1(VALU_DEP_1)
	v_and_or_b32 v14, 0x8000, v167, v14
	v_and_or_b32 v13, 0x380, v13, v14
	s_delay_alu instid0(VALU_DEP_1)
	v_cvt_f32_f16_e32 v88, v13
.LBB373_3976:                           ;   in Loop: Header=BB373_2082 Depth=1
	s_or_b32 exec_lo, exec_lo, s22
.LBB373_3977:                           ;   in Loop: Header=BB373_2082 Depth=1
	s_delay_alu instid0(SALU_CYCLE_1)
	s_or_b32 exec_lo, exec_lo, s21
.LBB373_3978:                           ;   in Loop: Header=BB373_2082 Depth=1
	s_delay_alu instid0(SALU_CYCLE_1) | instskip(SKIP_3) | instid1(VALU_DEP_2)
	s_or_b32 exec_lo, exec_lo, s19
	v_lshrrev_b16 v2, 8, v2
	v_dual_mov_b32 v90, 0 :: v_dual_mov_b32 v91, 0
	s_mov_b32 s19, exec_lo
	v_cmpx_ne_u16_e32 0, v2
	s_cbranch_execz .LBB373_3986
; %bb.3979:                             ;   in Loop: Header=BB373_2082 Depth=1
	v_bfrev_b32_e32 v91, 1
	s_mov_b32 s21, exec_lo
	v_cmpx_ne_u16_e32 0x80, v2
	s_cbranch_execz .LBB373_3985
; %bb.3980:                             ;   in Loop: Header=BB373_2082 Depth=1
	v_and_b32_e32 v77, 0xffff, v2
	v_mov_b32_e32 v91, 0x7fc02000
	s_mov_b32 s22, exec_lo
	s_delay_alu instid0(VALU_DEP_2) | instskip(NEXT) | instid1(VALU_DEP_1)
	v_and_b32_e32 v92, 0x7f, v77
	v_cmpx_ne_u32_e32 0x7f, v92
	s_cbranch_execz .LBB373_3984
; %bb.3981:                             ;   in Loop: Header=BB373_2082 Depth=1
	v_and_b32_e32 v2, 7, v77
	v_lshrrev_b32_e32 v91, 3, v92
	v_mov_b32_e32 v14, v3
	s_mov_b32 s23, exec_lo
	s_delay_alu instid0(VALU_DEP_3)
	v_mov_b32_e32 v13, v2
	v_cmpx_gt_u32_e32 8, v92
; %bb.3982:                             ;   in Loop: Header=BB373_2082 Depth=1
	v_clz_i32_u32_e32 v13, v2
	s_delay_alu instid0(VALU_DEP_1) | instskip(NEXT) | instid1(VALU_DEP_1)
	v_min_u32_e32 v167, 32, v13
	v_subrev_nc_u32_e32 v13, 28, v167
	v_sub_nc_u32_e32 v91, 29, v167
	s_delay_alu instid0(VALU_DEP_2) | instskip(NEXT) | instid1(VALU_DEP_1)
	v_lshlrev_b64 v[13:14], v13, v[2:3]
	v_and_b32_e32 v13, 7, v13
; %bb.3983:                             ;   in Loop: Header=BB373_2082 Depth=1
	s_or_b32 exec_lo, exec_lo, s23
	v_lshlrev_b32_e32 v2, 8, v77
	v_lshl_add_u32 v14, v91, 10, 0x2000
	s_delay_alu instid0(VALU_DEP_1) | instskip(NEXT) | instid1(VALU_DEP_1)
	v_and_or_b32 v2, 0x8000, v2, v14
	v_lshl_or_b32 v2, v13, 7, v2
	s_delay_alu instid0(VALU_DEP_1)
	v_cvt_f32_f16_e32 v91, v2
.LBB373_3984:                           ;   in Loop: Header=BB373_2082 Depth=1
	s_or_b32 exec_lo, exec_lo, s22
.LBB373_3985:                           ;   in Loop: Header=BB373_2082 Depth=1
	s_delay_alu instid0(SALU_CYCLE_1)
	s_or_b32 exec_lo, exec_lo, s21
.LBB373_3986:                           ;   in Loop: Header=BB373_2082 Depth=1
	s_delay_alu instid0(SALU_CYCLE_1) | instskip(SKIP_2) | instid1(VALU_DEP_1)
	s_or_b32 exec_lo, exec_lo, s19
	v_lshrrev_b32_e32 v77, 16, v12
	s_mov_b32 s19, exec_lo
	v_and_b32_e32 v2, 0xff, v77
	s_delay_alu instid0(VALU_DEP_1)
	v_cmpx_ne_u16_e32 0, v2
	s_cbranch_execz .LBB373_3994
; %bb.3987:                             ;   in Loop: Header=BB373_2082 Depth=1
	v_bfrev_b32_e32 v90, 1
	s_mov_b32 s21, exec_lo
	v_cmpx_ne_u16_e32 0x80, v2
	s_cbranch_execz .LBB373_3993
; %bb.3988:                             ;   in Loop: Header=BB373_2082 Depth=1
	v_bfe_u32 v92, v12, 16, 7
	v_mov_b32_e32 v90, 0x7fc02000
	s_mov_b32 s22, exec_lo
	s_delay_alu instid0(VALU_DEP_2)
	v_cmpx_ne_u32_e32 0x7f, v92
	s_cbranch_execz .LBB373_3992
; %bb.3989:                             ;   in Loop: Header=BB373_2082 Depth=1
	v_and_b32_e32 v2, 7, v77
	v_lshrrev_b32_e32 v90, 3, v92
	v_mov_b32_e32 v14, v3
	s_mov_b32 s23, exec_lo
	s_delay_alu instid0(VALU_DEP_3)
	v_mov_b32_e32 v13, v2
	v_cmpx_gt_u32_e32 8, v92
; %bb.3990:                             ;   in Loop: Header=BB373_2082 Depth=1
	v_clz_i32_u32_e32 v13, v2
	s_delay_alu instid0(VALU_DEP_1) | instskip(NEXT) | instid1(VALU_DEP_1)
	v_min_u32_e32 v167, 32, v13
	v_subrev_nc_u32_e32 v13, 28, v167
	v_sub_nc_u32_e32 v90, 29, v167
	s_delay_alu instid0(VALU_DEP_2) | instskip(NEXT) | instid1(VALU_DEP_1)
	v_lshlrev_b64 v[13:14], v13, v[2:3]
	v_and_b32_e32 v13, 7, v13
; %bb.3991:                             ;   in Loop: Header=BB373_2082 Depth=1
	s_or_b32 exec_lo, exec_lo, s23
	v_lshlrev_b32_e32 v2, 8, v77
	v_lshl_add_u32 v14, v90, 10, 0x2000
	s_delay_alu instid0(VALU_DEP_1) | instskip(NEXT) | instid1(VALU_DEP_1)
	v_and_or_b32 v2, 0x8000, v2, v14
	v_lshl_or_b32 v2, v13, 7, v2
	s_delay_alu instid0(VALU_DEP_1)
	v_cvt_f32_f16_e32 v90, v2
.LBB373_3992:                           ;   in Loop: Header=BB373_2082 Depth=1
	s_or_b32 exec_lo, exec_lo, s22
.LBB373_3993:                           ;   in Loop: Header=BB373_2082 Depth=1
	s_delay_alu instid0(SALU_CYCLE_1)
	s_or_b32 exec_lo, exec_lo, s21
.LBB373_3994:                           ;   in Loop: Header=BB373_2082 Depth=1
	s_delay_alu instid0(SALU_CYCLE_1)
	s_or_b32 exec_lo, exec_lo, s19
	v_dual_mov_b32 v77, 0 :: v_dual_mov_b32 v2, 0
	s_mov_b32 s19, exec_lo
	v_cmpx_lt_u64_e64 s[12:13], v[11:12]
	s_cbranch_execz .LBB373_4002
; %bb.3995:                             ;   in Loop: Header=BB373_2082 Depth=1
	v_lshrrev_b32_e32 v13, 24, v12
	v_bfrev_b32_e32 v2, 1
	s_mov_b32 s21, exec_lo
	s_delay_alu instid0(VALU_DEP_2)
	v_cmpx_ne_u32_e32 0x80, v13
	s_cbranch_execz .LBB373_4001
; %bb.3996:                             ;   in Loop: Header=BB373_2082 Depth=1
	v_and_b32_e32 v92, 0x7f, v13
	v_mov_b32_e32 v2, 0x7fc02000
	s_mov_b32 s22, exec_lo
	s_delay_alu instid0(VALU_DEP_2)
	v_cmpx_ne_u32_e32 0x7f, v92
	s_cbranch_execz .LBB373_4000
; %bb.3997:                             ;   in Loop: Header=BB373_2082 Depth=1
	v_and_b32_e32 v2, 7, v13
	v_lshrrev_b32_e32 v14, 3, v92
	v_mov_b32_e32 v12, v3
	s_mov_b32 s23, exec_lo
	s_delay_alu instid0(VALU_DEP_3)
	v_mov_b32_e32 v11, v2
	v_cmpx_gt_u32_e32 8, v92
; %bb.3998:                             ;   in Loop: Header=BB373_2082 Depth=1
	v_clz_i32_u32_e32 v11, v2
	s_delay_alu instid0(VALU_DEP_1) | instskip(NEXT) | instid1(VALU_DEP_1)
	v_min_u32_e32 v14, 32, v11
	v_subrev_nc_u32_e32 v11, 28, v14
	v_sub_nc_u32_e32 v14, 29, v14
	s_delay_alu instid0(VALU_DEP_2) | instskip(NEXT) | instid1(VALU_DEP_1)
	v_lshlrev_b64 v[11:12], v11, v[2:3]
	v_and_b32_e32 v11, 7, v11
; %bb.3999:                             ;   in Loop: Header=BB373_2082 Depth=1
	s_or_b32 exec_lo, exec_lo, s23
	v_lshlrev_b32_e32 v2, 8, v13
	v_lshl_add_u32 v12, v14, 10, 0x2000
	s_delay_alu instid0(VALU_DEP_1) | instskip(NEXT) | instid1(VALU_DEP_1)
	v_and_or_b32 v2, 0x8000, v2, v12
	v_lshl_or_b32 v2, v11, 7, v2
	s_delay_alu instid0(VALU_DEP_1)
	v_cvt_f32_f16_e32 v2, v2
.LBB373_4000:                           ;   in Loop: Header=BB373_2082 Depth=1
	s_or_b32 exec_lo, exec_lo, s22
.LBB373_4001:                           ;   in Loop: Header=BB373_2082 Depth=1
	s_delay_alu instid0(SALU_CYCLE_1)
	s_or_b32 exec_lo, exec_lo, s21
.LBB373_4002:                           ;   in Loop: Header=BB373_2082 Depth=1
	s_delay_alu instid0(SALU_CYCLE_1)
	s_or_b32 exec_lo, exec_lo, s19
	s_waitcnt vmcnt(0) lgkmcnt(0)
	v_fma_mixlo_f16 v11, v76, v89, 0
	v_fma_mixlo_f16 v12, v76, v79, 0
	;; [unrolled: 1-line block ×6, first 2 shown]
	v_lshlrev_b32_e32 v176, 16, v11
	v_and_b32_e32 v78, 0xffff, v12
	v_lshlrev_b32_e32 v79, 16, v13
	v_and_b32_e32 v88, 0xffff, v14
	v_dual_cndmask_b32 v14, 0, v14 :: v_dual_lshlrev_b32 v89, 16, v167
	v_and_b32_e32 v91, 0xffff, v75
	v_fma_mixlo_f16 v2, v76, v2, 0
	v_fma_mixlo_f16 v76, v76, v90, 0
	v_cndmask_b32_e64 v13, 0, v13, s0
	v_cndmask_b32_e64 v12, 0, v12, s2
	;; [unrolled: 1-line block ×3, first 2 shown]
	v_or_b32_e32 v176, v176, v78
	v_or_b32_e32 v78, v79, v88
	;; [unrolled: 1-line block ×3, first 2 shown]
	v_lshlrev_b32_e32 v88, 16, v2
	v_and_b32_e32 v89, 0xffff, v76
	v_cndmask_b32_e64 v75, 0, v75, s6
	v_cndmask_b32_e64 v167, 0, v167, s7
	;; [unrolled: 1-line block ×4, first 2 shown]
	v_perm_b32 v13, v13, v14, 0x5040100
	v_perm_b32 v11, v11, v12, 0x5040100
	v_or_b32_e32 v88, v88, v89
	v_perm_b32 v12, v167, v75, 0x5040100
	v_perm_b32 v2, v2, v76, 0x5040100
	v_cndmask_b32_e64 v13, v78, v13, s1
	v_cndmask_b32_e64 v11, v176, v11, s1
	;;#ASMSTART
	v_pk_mul_f16 v13, v130, v13;

	;;#ASMEND
	v_cndmask_b32_e64 v12, v79, v12, s1
	v_cndmask_b32_e64 v2, v88, v2, s1
	;;#ASMSTART
	v_pk_mul_f16 v11, v129, v11;

	;;#ASMEND
	;;#ASMSTART
	v_pk_mul_f16 v12, v128, v12;

	;;#ASMEND
	;; [unrolled: 4-line block ×3, first 2 shown]
	;;#ASMSTART
	v_pk_add_f16 v11, v13, v11;

	;;#ASMEND
	;;#ASMSTART
	v_pk_add_f16 v11, v11, v12;

	;;#ASMEND
	;; [unrolled: 4-line block ×3, first 2 shown]
	v_add_co_u32 v11, s8, v9, v117
	s_delay_alu instid0(VALU_DEP_1)
	v_add_co_ci_u32_e64 v12, s8, 0, v10, s8
	v_lshrrev_b32_e32 v13, 16, v2
	v_and_b32_e32 v2, 0xffff, v2
	;;#ASMSTART
	v_cvt_f32_f16 v75, v2;
	;;#ASMEND
	;;#ASMSTART
	v_cvt_f32_f16 v76, v13;
	;;#ASMEND
	flat_load_b64 v[11:12], v[11:12]
	flat_load_b32 v78, v[121:122]
	s_mov_b32 s19, exec_lo
	s_waitcnt vmcnt(1) lgkmcnt(1)
	v_and_b32_e32 v2, 0xff, v11
	s_delay_alu instid0(VALU_DEP_1)
	v_cmpx_ne_u16_e32 0, v2
	s_cbranch_execz .LBB373_4010
; %bb.4003:                             ;   in Loop: Header=BB373_2082 Depth=1
	v_bfrev_b32_e32 v77, 1
	s_mov_b32 s21, exec_lo
	v_cmpx_ne_u16_e32 0x80, v2
	s_cbranch_execz .LBB373_4009
; %bb.4004:                             ;   in Loop: Header=BB373_2082 Depth=1
	v_and_b32_e32 v13, 0x7f, v11
	v_mov_b32_e32 v77, 0x7fc02000
	s_mov_b32 s22, exec_lo
	s_delay_alu instid0(VALU_DEP_2)
	v_cmpx_ne_u32_e32 0x7f, v13
	s_cbranch_execz .LBB373_4008
; %bb.4005:                             ;   in Loop: Header=BB373_2082 Depth=1
	v_lshrrev_b32_e32 v2, 3, v13
	v_cmp_gt_u32_e64 s8, 8, v13
	v_dual_mov_b32 v14, v12 :: v_dual_mov_b32 v13, v11
	s_delay_alu instid0(VALU_DEP_2)
	s_and_saveexec_b32 s23, s8
; %bb.4006:                             ;   in Loop: Header=BB373_2082 Depth=1
	v_and_b32_e32 v2, 7, v11
	s_delay_alu instid0(VALU_DEP_1) | instskip(NEXT) | instid1(VALU_DEP_1)
	v_clz_i32_u32_e32 v2, v2
	v_min_u32_e32 v2, 32, v2
	s_delay_alu instid0(VALU_DEP_1) | instskip(SKIP_1) | instid1(VALU_DEP_2)
	v_subrev_nc_u32_e32 v13, 28, v2
	v_sub_nc_u32_e32 v2, 29, v2
	v_lshlrev_b64 v[13:14], v13, v[11:12]
; %bb.4007:                             ;   in Loop: Header=BB373_2082 Depth=1
	s_or_b32 exec_lo, exec_lo, s23
	v_lshlrev_b32_e32 v14, 8, v11
	s_delay_alu instid0(VALU_DEP_3) | instskip(NEXT) | instid1(VALU_DEP_3)
	v_lshl_add_u32 v2, v2, 10, 0x2000
	v_lshlrev_b32_e32 v13, 7, v13
	s_delay_alu instid0(VALU_DEP_2) | instskip(NEXT) | instid1(VALU_DEP_1)
	v_and_or_b32 v2, 0x8000, v14, v2
	v_and_or_b32 v2, 0x380, v13, v2
	s_delay_alu instid0(VALU_DEP_1)
	v_cvt_f32_f16_e32 v77, v2
.LBB373_4008:                           ;   in Loop: Header=BB373_2082 Depth=1
	s_or_b32 exec_lo, exec_lo, s22
.LBB373_4009:                           ;   in Loop: Header=BB373_2082 Depth=1
	s_delay_alu instid0(SALU_CYCLE_1)
	s_or_b32 exec_lo, exec_lo, s21
.LBB373_4010:                           ;   in Loop: Header=BB373_2082 Depth=1
	s_delay_alu instid0(SALU_CYCLE_1) | instskip(SKIP_3) | instid1(VALU_DEP_2)
	s_or_b32 exec_lo, exec_lo, s19
	v_lshrrev_b16 v2, 8, v11
	v_dual_mov_b32 v88, 0 :: v_dual_mov_b32 v79, 0
	s_mov_b32 s19, exec_lo
	v_cmpx_ne_u16_e32 0, v2
	s_cbranch_execz .LBB373_4018
; %bb.4011:                             ;   in Loop: Header=BB373_2082 Depth=1
	v_bfrev_b32_e32 v79, 1
	s_mov_b32 s21, exec_lo
	v_cmpx_ne_u16_e32 0x80, v2
	s_cbranch_execz .LBB373_4017
; %bb.4012:                             ;   in Loop: Header=BB373_2082 Depth=1
	v_and_b32_e32 v89, 0xffff, v2
	v_mov_b32_e32 v79, 0x7fc02000
	s_mov_b32 s22, exec_lo
	s_delay_alu instid0(VALU_DEP_2) | instskip(NEXT) | instid1(VALU_DEP_1)
	v_and_b32_e32 v90, 0x7f, v89
	v_cmpx_ne_u32_e32 0x7f, v90
	s_cbranch_execz .LBB373_4016
; %bb.4013:                             ;   in Loop: Header=BB373_2082 Depth=1
	v_and_b32_e32 v2, 7, v89
	v_lshrrev_b32_e32 v79, 3, v90
	v_mov_b32_e32 v14, v3
	s_mov_b32 s23, exec_lo
	s_delay_alu instid0(VALU_DEP_3)
	v_mov_b32_e32 v13, v2
	v_cmpx_gt_u32_e32 8, v90
; %bb.4014:                             ;   in Loop: Header=BB373_2082 Depth=1
	v_clz_i32_u32_e32 v13, v2
	s_delay_alu instid0(VALU_DEP_1) | instskip(NEXT) | instid1(VALU_DEP_1)
	v_min_u32_e32 v167, 32, v13
	v_subrev_nc_u32_e32 v13, 28, v167
	v_sub_nc_u32_e32 v79, 29, v167
	s_delay_alu instid0(VALU_DEP_2) | instskip(NEXT) | instid1(VALU_DEP_1)
	v_lshlrev_b64 v[13:14], v13, v[2:3]
	v_and_b32_e32 v13, 7, v13
; %bb.4015:                             ;   in Loop: Header=BB373_2082 Depth=1
	s_or_b32 exec_lo, exec_lo, s23
	v_lshlrev_b32_e32 v2, 8, v89
	v_lshl_add_u32 v14, v79, 10, 0x2000
	s_delay_alu instid0(VALU_DEP_1) | instskip(NEXT) | instid1(VALU_DEP_1)
	v_and_or_b32 v2, 0x8000, v2, v14
	v_lshl_or_b32 v2, v13, 7, v2
	s_delay_alu instid0(VALU_DEP_1)
	v_cvt_f32_f16_e32 v79, v2
.LBB373_4016:                           ;   in Loop: Header=BB373_2082 Depth=1
	s_or_b32 exec_lo, exec_lo, s22
.LBB373_4017:                           ;   in Loop: Header=BB373_2082 Depth=1
	s_delay_alu instid0(SALU_CYCLE_1)
	s_or_b32 exec_lo, exec_lo, s21
.LBB373_4018:                           ;   in Loop: Header=BB373_2082 Depth=1
	s_delay_alu instid0(SALU_CYCLE_1) | instskip(SKIP_2) | instid1(VALU_DEP_1)
	s_or_b32 exec_lo, exec_lo, s19
	v_lshrrev_b32_e32 v89, 16, v11
	s_mov_b32 s19, exec_lo
	v_and_b32_e32 v2, 0xff, v89
	s_delay_alu instid0(VALU_DEP_1)
	v_cmpx_ne_u16_e32 0, v2
	s_cbranch_execz .LBB373_4026
; %bb.4019:                             ;   in Loop: Header=BB373_2082 Depth=1
	v_bfrev_b32_e32 v88, 1
	s_mov_b32 s21, exec_lo
	v_cmpx_ne_u16_e32 0x80, v2
	s_cbranch_execz .LBB373_4025
; %bb.4020:                             ;   in Loop: Header=BB373_2082 Depth=1
	v_bfe_u32 v90, v11, 16, 7
	v_mov_b32_e32 v88, 0x7fc02000
	s_mov_b32 s22, exec_lo
	s_delay_alu instid0(VALU_DEP_2)
	v_cmpx_ne_u32_e32 0x7f, v90
	s_cbranch_execz .LBB373_4024
; %bb.4021:                             ;   in Loop: Header=BB373_2082 Depth=1
	v_and_b32_e32 v2, 7, v89
	v_lshrrev_b32_e32 v88, 3, v90
	v_mov_b32_e32 v14, v3
	s_mov_b32 s23, exec_lo
	s_delay_alu instid0(VALU_DEP_3)
	v_mov_b32_e32 v13, v2
	v_cmpx_gt_u32_e32 8, v90
; %bb.4022:                             ;   in Loop: Header=BB373_2082 Depth=1
	v_clz_i32_u32_e32 v13, v2
	s_delay_alu instid0(VALU_DEP_1) | instskip(NEXT) | instid1(VALU_DEP_1)
	v_min_u32_e32 v167, 32, v13
	v_subrev_nc_u32_e32 v13, 28, v167
	v_sub_nc_u32_e32 v88, 29, v167
	s_delay_alu instid0(VALU_DEP_2) | instskip(NEXT) | instid1(VALU_DEP_1)
	v_lshlrev_b64 v[13:14], v13, v[2:3]
	v_and_b32_e32 v13, 7, v13
; %bb.4023:                             ;   in Loop: Header=BB373_2082 Depth=1
	s_or_b32 exec_lo, exec_lo, s23
	v_lshlrev_b32_e32 v2, 8, v89
	v_lshl_add_u32 v14, v88, 10, 0x2000
	s_delay_alu instid0(VALU_DEP_1) | instskip(NEXT) | instid1(VALU_DEP_1)
	v_and_or_b32 v2, 0x8000, v2, v14
	v_lshl_or_b32 v2, v13, 7, v2
	s_delay_alu instid0(VALU_DEP_1)
	v_cvt_f32_f16_e32 v88, v2
.LBB373_4024:                           ;   in Loop: Header=BB373_2082 Depth=1
	s_or_b32 exec_lo, exec_lo, s22
.LBB373_4025:                           ;   in Loop: Header=BB373_2082 Depth=1
	s_delay_alu instid0(SALU_CYCLE_1)
	s_or_b32 exec_lo, exec_lo, s21
.LBB373_4026:                           ;   in Loop: Header=BB373_2082 Depth=1
	s_delay_alu instid0(SALU_CYCLE_1)
	s_or_b32 exec_lo, exec_lo, s19
	v_dual_mov_b32 v89, 0 :: v_dual_mov_b32 v90, 0
	s_mov_b32 s19, exec_lo
	v_cmpx_lt_u32_e32 0xffffff, v11
	s_cbranch_execz .LBB373_4034
; %bb.4027:                             ;   in Loop: Header=BB373_2082 Depth=1
	v_lshrrev_b32_e32 v91, 24, v11
	v_bfrev_b32_e32 v90, 1
	s_mov_b32 s21, exec_lo
	s_delay_alu instid0(VALU_DEP_2)
	v_cmpx_ne_u32_e32 0x80, v91
	s_cbranch_execz .LBB373_4033
; %bb.4028:                             ;   in Loop: Header=BB373_2082 Depth=1
	v_and_b32_e32 v92, 0x7f, v91
	v_mov_b32_e32 v90, 0x7fc02000
	s_mov_b32 s22, exec_lo
	s_delay_alu instid0(VALU_DEP_2)
	v_cmpx_ne_u32_e32 0x7f, v92
	s_cbranch_execz .LBB373_4032
; %bb.4029:                             ;   in Loop: Header=BB373_2082 Depth=1
	v_and_b32_e32 v2, 7, v91
	v_lshrrev_b32_e32 v90, 3, v92
	v_mov_b32_e32 v14, v3
	s_mov_b32 s23, exec_lo
	s_delay_alu instid0(VALU_DEP_3)
	v_mov_b32_e32 v13, v2
	v_cmpx_gt_u32_e32 8, v92
; %bb.4030:                             ;   in Loop: Header=BB373_2082 Depth=1
	v_clz_i32_u32_e32 v13, v2
	s_delay_alu instid0(VALU_DEP_1) | instskip(NEXT) | instid1(VALU_DEP_1)
	v_min_u32_e32 v167, 32, v13
	v_subrev_nc_u32_e32 v13, 28, v167
	v_sub_nc_u32_e32 v90, 29, v167
	s_delay_alu instid0(VALU_DEP_2) | instskip(NEXT) | instid1(VALU_DEP_1)
	v_lshlrev_b64 v[13:14], v13, v[2:3]
	v_and_b32_e32 v13, 7, v13
; %bb.4031:                             ;   in Loop: Header=BB373_2082 Depth=1
	s_or_b32 exec_lo, exec_lo, s23
	v_lshlrev_b32_e32 v2, 8, v91
	v_lshl_add_u32 v14, v90, 10, 0x2000
	s_delay_alu instid0(VALU_DEP_1) | instskip(NEXT) | instid1(VALU_DEP_1)
	v_and_or_b32 v2, 0x8000, v2, v14
	v_lshl_or_b32 v2, v13, 7, v2
	s_delay_alu instid0(VALU_DEP_1)
	v_cvt_f32_f16_e32 v90, v2
.LBB373_4032:                           ;   in Loop: Header=BB373_2082 Depth=1
	s_or_b32 exec_lo, exec_lo, s22
.LBB373_4033:                           ;   in Loop: Header=BB373_2082 Depth=1
	s_delay_alu instid0(SALU_CYCLE_1)
	s_or_b32 exec_lo, exec_lo, s21
.LBB373_4034:                           ;   in Loop: Header=BB373_2082 Depth=1
	s_delay_alu instid0(SALU_CYCLE_1) | instskip(SKIP_2) | instid1(VALU_DEP_1)
	s_or_b32 exec_lo, exec_lo, s19
	v_dual_mov_b32 v2, v12 :: v_dual_and_b32 v13, 0xff, v12
	s_mov_b32 s19, exec_lo
	v_cmpx_ne_u16_e32 0, v13
	s_cbranch_execz .LBB373_4042
; %bb.4035:                             ;   in Loop: Header=BB373_2082 Depth=1
	v_bfrev_b32_e32 v89, 1
	s_mov_b32 s21, exec_lo
	v_cmpx_ne_u16_e32 0x80, v13
	s_cbranch_execz .LBB373_4041
; %bb.4036:                             ;   in Loop: Header=BB373_2082 Depth=1
	v_and_b32_e32 v91, 0x7f, v12
	v_mov_b32_e32 v89, 0x7fc02000
	s_mov_b32 s22, exec_lo
	s_delay_alu instid0(VALU_DEP_2)
	v_cmpx_ne_u32_e32 0x7f, v91
	s_cbranch_execz .LBB373_4040
; %bb.4037:                             ;   in Loop: Header=BB373_2082 Depth=1
	v_dual_mov_b32 v14, v3 :: v_dual_mov_b32 v13, v2
	v_lshrrev_b32_e32 v14, 3, v91
	s_mov_b32 s23, exec_lo
	v_cmpx_gt_u32_e32 8, v91
; %bb.4038:                             ;   in Loop: Header=BB373_2082 Depth=1
	v_and_b32_e32 v13, 7, v12
	s_delay_alu instid0(VALU_DEP_1) | instskip(NEXT) | instid1(VALU_DEP_1)
	v_clz_i32_u32_e32 v13, v13
	v_min_u32_e32 v167, 32, v13
	s_delay_alu instid0(VALU_DEP_1) | instskip(NEXT) | instid1(VALU_DEP_1)
	v_subrev_nc_u32_e32 v13, 28, v167
	v_lshlrev_b64 v[13:14], v13, v[2:3]
	v_sub_nc_u32_e32 v14, 29, v167
; %bb.4039:                             ;   in Loop: Header=BB373_2082 Depth=1
	s_or_b32 exec_lo, exec_lo, s23
	v_lshlrev_b32_e32 v167, 8, v12
	s_delay_alu instid0(VALU_DEP_2) | instskip(NEXT) | instid1(VALU_DEP_4)
	v_lshl_add_u32 v14, v14, 10, 0x2000
	v_lshlrev_b32_e32 v13, 7, v13
	s_delay_alu instid0(VALU_DEP_2) | instskip(NEXT) | instid1(VALU_DEP_1)
	v_and_or_b32 v14, 0x8000, v167, v14
	v_and_or_b32 v13, 0x380, v13, v14
	s_delay_alu instid0(VALU_DEP_1)
	v_cvt_f32_f16_e32 v89, v13
.LBB373_4040:                           ;   in Loop: Header=BB373_2082 Depth=1
	s_or_b32 exec_lo, exec_lo, s22
.LBB373_4041:                           ;   in Loop: Header=BB373_2082 Depth=1
	s_delay_alu instid0(SALU_CYCLE_1)
	s_or_b32 exec_lo, exec_lo, s21
.LBB373_4042:                           ;   in Loop: Header=BB373_2082 Depth=1
	s_delay_alu instid0(SALU_CYCLE_1) | instskip(SKIP_3) | instid1(VALU_DEP_2)
	s_or_b32 exec_lo, exec_lo, s19
	v_lshrrev_b16 v2, 8, v2
	v_dual_mov_b32 v91, 0 :: v_dual_mov_b32 v92, 0
	s_mov_b32 s19, exec_lo
	v_cmpx_ne_u16_e32 0, v2
	s_cbranch_execz .LBB373_4050
; %bb.4043:                             ;   in Loop: Header=BB373_2082 Depth=1
	v_bfrev_b32_e32 v92, 1
	s_mov_b32 s21, exec_lo
	v_cmpx_ne_u16_e32 0x80, v2
	s_cbranch_execz .LBB373_4049
; %bb.4044:                             ;   in Loop: Header=BB373_2082 Depth=1
	v_and_b32_e32 v93, 0xffff, v2
	v_mov_b32_e32 v92, 0x7fc02000
	s_mov_b32 s22, exec_lo
	s_delay_alu instid0(VALU_DEP_2) | instskip(NEXT) | instid1(VALU_DEP_1)
	v_and_b32_e32 v94, 0x7f, v93
	v_cmpx_ne_u32_e32 0x7f, v94
	s_cbranch_execz .LBB373_4048
; %bb.4045:                             ;   in Loop: Header=BB373_2082 Depth=1
	v_and_b32_e32 v2, 7, v93
	v_lshrrev_b32_e32 v92, 3, v94
	v_mov_b32_e32 v14, v3
	s_mov_b32 s23, exec_lo
	s_delay_alu instid0(VALU_DEP_3)
	v_mov_b32_e32 v13, v2
	v_cmpx_gt_u32_e32 8, v94
; %bb.4046:                             ;   in Loop: Header=BB373_2082 Depth=1
	v_clz_i32_u32_e32 v13, v2
	s_delay_alu instid0(VALU_DEP_1) | instskip(NEXT) | instid1(VALU_DEP_1)
	v_min_u32_e32 v167, 32, v13
	v_subrev_nc_u32_e32 v13, 28, v167
	v_sub_nc_u32_e32 v92, 29, v167
	s_delay_alu instid0(VALU_DEP_2) | instskip(NEXT) | instid1(VALU_DEP_1)
	v_lshlrev_b64 v[13:14], v13, v[2:3]
	v_and_b32_e32 v13, 7, v13
; %bb.4047:                             ;   in Loop: Header=BB373_2082 Depth=1
	s_or_b32 exec_lo, exec_lo, s23
	v_lshlrev_b32_e32 v2, 8, v93
	v_lshl_add_u32 v14, v92, 10, 0x2000
	s_delay_alu instid0(VALU_DEP_1) | instskip(NEXT) | instid1(VALU_DEP_1)
	v_and_or_b32 v2, 0x8000, v2, v14
	v_lshl_or_b32 v2, v13, 7, v2
	s_delay_alu instid0(VALU_DEP_1)
	v_cvt_f32_f16_e32 v92, v2
.LBB373_4048:                           ;   in Loop: Header=BB373_2082 Depth=1
	s_or_b32 exec_lo, exec_lo, s22
.LBB373_4049:                           ;   in Loop: Header=BB373_2082 Depth=1
	s_delay_alu instid0(SALU_CYCLE_1)
	s_or_b32 exec_lo, exec_lo, s21
.LBB373_4050:                           ;   in Loop: Header=BB373_2082 Depth=1
	s_delay_alu instid0(SALU_CYCLE_1) | instskip(SKIP_2) | instid1(VALU_DEP_1)
	s_or_b32 exec_lo, exec_lo, s19
	v_lshrrev_b32_e32 v93, 16, v12
	s_mov_b32 s19, exec_lo
	v_and_b32_e32 v2, 0xff, v93
	s_delay_alu instid0(VALU_DEP_1)
	v_cmpx_ne_u16_e32 0, v2
	s_cbranch_execz .LBB373_4058
; %bb.4051:                             ;   in Loop: Header=BB373_2082 Depth=1
	v_bfrev_b32_e32 v91, 1
	s_mov_b32 s21, exec_lo
	v_cmpx_ne_u16_e32 0x80, v2
	s_cbranch_execz .LBB373_4057
; %bb.4052:                             ;   in Loop: Header=BB373_2082 Depth=1
	v_bfe_u32 v94, v12, 16, 7
	v_mov_b32_e32 v91, 0x7fc02000
	s_mov_b32 s22, exec_lo
	s_delay_alu instid0(VALU_DEP_2)
	v_cmpx_ne_u32_e32 0x7f, v94
	s_cbranch_execz .LBB373_4056
; %bb.4053:                             ;   in Loop: Header=BB373_2082 Depth=1
	v_and_b32_e32 v2, 7, v93
	v_lshrrev_b32_e32 v91, 3, v94
	v_mov_b32_e32 v14, v3
	s_mov_b32 s23, exec_lo
	s_delay_alu instid0(VALU_DEP_3)
	v_mov_b32_e32 v13, v2
	v_cmpx_gt_u32_e32 8, v94
; %bb.4054:                             ;   in Loop: Header=BB373_2082 Depth=1
	v_clz_i32_u32_e32 v13, v2
	s_delay_alu instid0(VALU_DEP_1) | instskip(NEXT) | instid1(VALU_DEP_1)
	v_min_u32_e32 v167, 32, v13
	v_subrev_nc_u32_e32 v13, 28, v167
	v_sub_nc_u32_e32 v91, 29, v167
	s_delay_alu instid0(VALU_DEP_2) | instskip(NEXT) | instid1(VALU_DEP_1)
	v_lshlrev_b64 v[13:14], v13, v[2:3]
	v_and_b32_e32 v13, 7, v13
; %bb.4055:                             ;   in Loop: Header=BB373_2082 Depth=1
	s_or_b32 exec_lo, exec_lo, s23
	v_lshlrev_b32_e32 v2, 8, v93
	v_lshl_add_u32 v14, v91, 10, 0x2000
	s_delay_alu instid0(VALU_DEP_1) | instskip(NEXT) | instid1(VALU_DEP_1)
	v_and_or_b32 v2, 0x8000, v2, v14
	v_lshl_or_b32 v2, v13, 7, v2
	s_delay_alu instid0(VALU_DEP_1)
	v_cvt_f32_f16_e32 v91, v2
.LBB373_4056:                           ;   in Loop: Header=BB373_2082 Depth=1
	s_or_b32 exec_lo, exec_lo, s22
.LBB373_4057:                           ;   in Loop: Header=BB373_2082 Depth=1
	s_delay_alu instid0(SALU_CYCLE_1)
	s_or_b32 exec_lo, exec_lo, s21
.LBB373_4058:                           ;   in Loop: Header=BB373_2082 Depth=1
	s_delay_alu instid0(SALU_CYCLE_1)
	s_or_b32 exec_lo, exec_lo, s19
	v_dual_mov_b32 v13, 0 :: v_dual_mov_b32 v2, 0
	s_mov_b32 s19, exec_lo
	v_cmpx_lt_u64_e64 s[12:13], v[11:12]
	s_cbranch_execz .LBB373_4066
; %bb.4059:                             ;   in Loop: Header=BB373_2082 Depth=1
	v_lshrrev_b32_e32 v14, 24, v12
	v_bfrev_b32_e32 v2, 1
	s_mov_b32 s21, exec_lo
	s_delay_alu instid0(VALU_DEP_2)
	v_cmpx_ne_u32_e32 0x80, v14
	s_cbranch_execz .LBB373_4065
; %bb.4060:                             ;   in Loop: Header=BB373_2082 Depth=1
	v_and_b32_e32 v94, 0x7f, v14
	v_mov_b32_e32 v2, 0x7fc02000
	s_mov_b32 s22, exec_lo
	s_delay_alu instid0(VALU_DEP_2)
	v_cmpx_ne_u32_e32 0x7f, v94
	s_cbranch_execz .LBB373_4064
; %bb.4061:                             ;   in Loop: Header=BB373_2082 Depth=1
	v_and_b32_e32 v2, 7, v14
	v_lshrrev_b32_e32 v93, 3, v94
	v_mov_b32_e32 v12, v3
	s_mov_b32 s23, exec_lo
	s_delay_alu instid0(VALU_DEP_3)
	v_mov_b32_e32 v11, v2
	v_cmpx_gt_u32_e32 8, v94
; %bb.4062:                             ;   in Loop: Header=BB373_2082 Depth=1
	v_clz_i32_u32_e32 v11, v2
	s_delay_alu instid0(VALU_DEP_1) | instskip(NEXT) | instid1(VALU_DEP_1)
	v_min_u32_e32 v167, 32, v11
	v_subrev_nc_u32_e32 v11, 28, v167
	v_sub_nc_u32_e32 v93, 29, v167
	s_delay_alu instid0(VALU_DEP_2) | instskip(NEXT) | instid1(VALU_DEP_1)
	v_lshlrev_b64 v[11:12], v11, v[2:3]
	v_and_b32_e32 v11, 7, v11
; %bb.4063:                             ;   in Loop: Header=BB373_2082 Depth=1
	s_or_b32 exec_lo, exec_lo, s23
	v_lshlrev_b32_e32 v2, 8, v14
	v_lshl_add_u32 v12, v93, 10, 0x2000
	s_delay_alu instid0(VALU_DEP_1) | instskip(NEXT) | instid1(VALU_DEP_1)
	v_and_or_b32 v2, 0x8000, v2, v12
	v_lshl_or_b32 v2, v11, 7, v2
	s_delay_alu instid0(VALU_DEP_1)
	v_cvt_f32_f16_e32 v2, v2
.LBB373_4064:                           ;   in Loop: Header=BB373_2082 Depth=1
	s_or_b32 exec_lo, exec_lo, s22
.LBB373_4065:                           ;   in Loop: Header=BB373_2082 Depth=1
	s_delay_alu instid0(SALU_CYCLE_1)
	s_or_b32 exec_lo, exec_lo, s21
.LBB373_4066:                           ;   in Loop: Header=BB373_2082 Depth=1
	s_delay_alu instid0(SALU_CYCLE_1)
	s_or_b32 exec_lo, exec_lo, s19
	s_waitcnt vmcnt(0) lgkmcnt(0)
	v_fma_mixlo_f16 v11, v78, v90, 0
	v_fma_mixlo_f16 v12, v78, v88, 0
	v_fma_mixlo_f16 v14, v78, v79, 0
	v_fma_mixlo_f16 v167, v78, v77, 0
	v_fma_mixlo_f16 v176, v78, v92, 0
	v_lshlrev_b32_e32 v77, 16, v11
	v_fma_mixlo_f16 v79, v78, v89, 0
	v_and_b32_e32 v88, 0xffff, v12
	v_lshlrev_b32_e32 v89, 16, v14
	v_and_b32_e32 v90, 0xffff, v167
	v_cndmask_b32_e32 v167, 0, v167, vcc_lo
	v_fma_mixlo_f16 v2, v78, v2, 0
	v_fma_mixlo_f16 v78, v78, v91, 0
	v_cndmask_b32_e64 v14, 0, v14, s0
	v_cndmask_b32_e64 v12, 0, v12, s2
	;; [unrolled: 1-line block ×3, first 2 shown]
	v_lshlrev_b32_e32 v92, 16, v176
	v_and_b32_e32 v93, 0xffff, v79
	v_or_b32_e32 v77, v77, v88
	v_or_b32_e32 v88, v89, v90
	v_lshlrev_b32_e32 v90, 16, v2
	v_and_b32_e32 v91, 0xffff, v78
	v_cndmask_b32_e64 v79, 0, v79, s6
	v_cndmask_b32_e64 v176, 0, v176, s7
	;; [unrolled: 1-line block ×4, first 2 shown]
	v_perm_b32 v14, v14, v167, 0x5040100
	v_perm_b32 v11, v11, v12, 0x5040100
	v_or_b32_e32 v89, v92, v93
	v_or_b32_e32 v90, v90, v91
	v_perm_b32 v12, v176, v79, 0x5040100
	v_perm_b32 v2, v2, v78, 0x5040100
	v_add_co_u32 v9, s8, v9, v118
	s_delay_alu instid0(VALU_DEP_1)
	v_add_co_ci_u32_e64 v10, s8, 0, v10, s8
	v_cndmask_b32_e64 v14, v88, v14, s1
	v_cndmask_b32_e64 v11, v77, v11, s1
	;; [unrolled: 1-line block ×4, first 2 shown]
	;;#ASMSTART
	v_pk_mul_f16 v14, v130, v14;

	;;#ASMEND
	;;#ASMSTART
	v_pk_mul_f16 v11, v129, v11;

	;;#ASMEND
	;; [unrolled: 4-line block ×4, first 2 shown]
	;;#ASMSTART
	v_pk_add_f16 v11, v14, v11;

	;;#ASMEND
	;;#ASMSTART
	v_pk_add_f16 v11, v11, v12;

	;;#ASMEND
	;; [unrolled: 4-line block ×3, first 2 shown]
	v_lshrrev_b32_e32 v11, 16, v2
	v_and_b32_e32 v2, 0xffff, v2
	;;#ASMSTART
	v_cvt_f32_f16 v77, v2;
	;;#ASMEND
	;;#ASMSTART
	v_cvt_f32_f16 v78, v11;
	;;#ASMEND
	flat_load_b64 v[9:10], v[9:10]
	flat_load_b32 v14, v[121:122]
	s_mov_b32 s19, exec_lo
	s_waitcnt vmcnt(1) lgkmcnt(1)
	v_and_b32_e32 v2, 0xff, v9
	s_delay_alu instid0(VALU_DEP_1)
	v_cmpx_ne_u16_e32 0, v2
	s_cbranch_execz .LBB373_4074
; %bb.4067:                             ;   in Loop: Header=BB373_2082 Depth=1
	v_bfrev_b32_e32 v13, 1
	s_mov_b32 s21, exec_lo
	v_cmpx_ne_u16_e32 0x80, v2
	s_cbranch_execz .LBB373_4073
; %bb.4068:                             ;   in Loop: Header=BB373_2082 Depth=1
	v_and_b32_e32 v11, 0x7f, v9
	v_mov_b32_e32 v13, 0x7fc02000
	s_mov_b32 s22, exec_lo
	s_delay_alu instid0(VALU_DEP_2)
	v_cmpx_ne_u32_e32 0x7f, v11
	s_cbranch_execz .LBB373_4072
; %bb.4069:                             ;   in Loop: Header=BB373_2082 Depth=1
	v_lshrrev_b32_e32 v2, 3, v11
	v_cmp_gt_u32_e64 s8, 8, v11
	v_dual_mov_b32 v12, v10 :: v_dual_mov_b32 v11, v9
	s_delay_alu instid0(VALU_DEP_2)
	s_and_saveexec_b32 s23, s8
; %bb.4070:                             ;   in Loop: Header=BB373_2082 Depth=1
	v_and_b32_e32 v2, 7, v9
	s_delay_alu instid0(VALU_DEP_1) | instskip(NEXT) | instid1(VALU_DEP_1)
	v_clz_i32_u32_e32 v2, v2
	v_min_u32_e32 v2, 32, v2
	s_delay_alu instid0(VALU_DEP_1) | instskip(SKIP_1) | instid1(VALU_DEP_2)
	v_subrev_nc_u32_e32 v11, 28, v2
	v_sub_nc_u32_e32 v2, 29, v2
	v_lshlrev_b64 v[11:12], v11, v[9:10]
; %bb.4071:                             ;   in Loop: Header=BB373_2082 Depth=1
	s_or_b32 exec_lo, exec_lo, s23
	v_lshlrev_b32_e32 v12, 8, v9
	s_delay_alu instid0(VALU_DEP_3) | instskip(NEXT) | instid1(VALU_DEP_3)
	v_lshl_add_u32 v2, v2, 10, 0x2000
	v_lshlrev_b32_e32 v11, 7, v11
	s_delay_alu instid0(VALU_DEP_2) | instskip(NEXT) | instid1(VALU_DEP_1)
	v_and_or_b32 v2, 0x8000, v12, v2
	v_and_or_b32 v2, 0x380, v11, v2
	s_delay_alu instid0(VALU_DEP_1)
	v_cvt_f32_f16_e32 v13, v2
.LBB373_4072:                           ;   in Loop: Header=BB373_2082 Depth=1
	s_or_b32 exec_lo, exec_lo, s22
.LBB373_4073:                           ;   in Loop: Header=BB373_2082 Depth=1
	s_delay_alu instid0(SALU_CYCLE_1)
	s_or_b32 exec_lo, exec_lo, s21
.LBB373_4074:                           ;   in Loop: Header=BB373_2082 Depth=1
	s_delay_alu instid0(SALU_CYCLE_1) | instskip(SKIP_3) | instid1(VALU_DEP_2)
	s_or_b32 exec_lo, exec_lo, s19
	v_lshrrev_b16 v2, 8, v9
	v_dual_mov_b32 v88, 0 :: v_dual_mov_b32 v79, 0
	s_mov_b32 s19, exec_lo
	v_cmpx_ne_u16_e32 0, v2
	s_cbranch_execz .LBB373_4082
; %bb.4075:                             ;   in Loop: Header=BB373_2082 Depth=1
	v_bfrev_b32_e32 v79, 1
	s_mov_b32 s21, exec_lo
	v_cmpx_ne_u16_e32 0x80, v2
	s_cbranch_execz .LBB373_4081
; %bb.4076:                             ;   in Loop: Header=BB373_2082 Depth=1
	v_and_b32_e32 v89, 0xffff, v2
	v_mov_b32_e32 v79, 0x7fc02000
	s_mov_b32 s22, exec_lo
	s_delay_alu instid0(VALU_DEP_2) | instskip(NEXT) | instid1(VALU_DEP_1)
	v_and_b32_e32 v90, 0x7f, v89
	v_cmpx_ne_u32_e32 0x7f, v90
	s_cbranch_execz .LBB373_4080
; %bb.4077:                             ;   in Loop: Header=BB373_2082 Depth=1
	v_and_b32_e32 v2, 7, v89
	v_lshrrev_b32_e32 v79, 3, v90
	v_mov_b32_e32 v12, v3
	s_mov_b32 s23, exec_lo
	s_delay_alu instid0(VALU_DEP_3)
	v_mov_b32_e32 v11, v2
	v_cmpx_gt_u32_e32 8, v90
; %bb.4078:                             ;   in Loop: Header=BB373_2082 Depth=1
	v_clz_i32_u32_e32 v11, v2
	s_delay_alu instid0(VALU_DEP_1) | instskip(NEXT) | instid1(VALU_DEP_1)
	v_min_u32_e32 v167, 32, v11
	v_subrev_nc_u32_e32 v11, 28, v167
	v_sub_nc_u32_e32 v79, 29, v167
	s_delay_alu instid0(VALU_DEP_2) | instskip(NEXT) | instid1(VALU_DEP_1)
	v_lshlrev_b64 v[11:12], v11, v[2:3]
	v_and_b32_e32 v11, 7, v11
; %bb.4079:                             ;   in Loop: Header=BB373_2082 Depth=1
	s_or_b32 exec_lo, exec_lo, s23
	v_lshlrev_b32_e32 v2, 8, v89
	v_lshl_add_u32 v12, v79, 10, 0x2000
	s_delay_alu instid0(VALU_DEP_1) | instskip(NEXT) | instid1(VALU_DEP_1)
	v_and_or_b32 v2, 0x8000, v2, v12
	v_lshl_or_b32 v2, v11, 7, v2
	s_delay_alu instid0(VALU_DEP_1)
	v_cvt_f32_f16_e32 v79, v2
.LBB373_4080:                           ;   in Loop: Header=BB373_2082 Depth=1
	s_or_b32 exec_lo, exec_lo, s22
.LBB373_4081:                           ;   in Loop: Header=BB373_2082 Depth=1
	s_delay_alu instid0(SALU_CYCLE_1)
	s_or_b32 exec_lo, exec_lo, s21
.LBB373_4082:                           ;   in Loop: Header=BB373_2082 Depth=1
	s_delay_alu instid0(SALU_CYCLE_1) | instskip(SKIP_2) | instid1(VALU_DEP_1)
	s_or_b32 exec_lo, exec_lo, s19
	v_lshrrev_b32_e32 v89, 16, v9
	s_mov_b32 s19, exec_lo
	v_and_b32_e32 v2, 0xff, v89
	s_delay_alu instid0(VALU_DEP_1)
	v_cmpx_ne_u16_e32 0, v2
	s_cbranch_execz .LBB373_4090
; %bb.4083:                             ;   in Loop: Header=BB373_2082 Depth=1
	v_bfrev_b32_e32 v88, 1
	s_mov_b32 s21, exec_lo
	v_cmpx_ne_u16_e32 0x80, v2
	s_cbranch_execz .LBB373_4089
; %bb.4084:                             ;   in Loop: Header=BB373_2082 Depth=1
	v_bfe_u32 v90, v9, 16, 7
	v_mov_b32_e32 v88, 0x7fc02000
	s_mov_b32 s22, exec_lo
	s_delay_alu instid0(VALU_DEP_2)
	v_cmpx_ne_u32_e32 0x7f, v90
	s_cbranch_execz .LBB373_4088
; %bb.4085:                             ;   in Loop: Header=BB373_2082 Depth=1
	v_and_b32_e32 v2, 7, v89
	v_lshrrev_b32_e32 v88, 3, v90
	v_mov_b32_e32 v12, v3
	s_mov_b32 s23, exec_lo
	s_delay_alu instid0(VALU_DEP_3)
	v_mov_b32_e32 v11, v2
	v_cmpx_gt_u32_e32 8, v90
; %bb.4086:                             ;   in Loop: Header=BB373_2082 Depth=1
	v_clz_i32_u32_e32 v11, v2
	s_delay_alu instid0(VALU_DEP_1) | instskip(NEXT) | instid1(VALU_DEP_1)
	v_min_u32_e32 v167, 32, v11
	v_subrev_nc_u32_e32 v11, 28, v167
	v_sub_nc_u32_e32 v88, 29, v167
	s_delay_alu instid0(VALU_DEP_2) | instskip(NEXT) | instid1(VALU_DEP_1)
	v_lshlrev_b64 v[11:12], v11, v[2:3]
	v_and_b32_e32 v11, 7, v11
; %bb.4087:                             ;   in Loop: Header=BB373_2082 Depth=1
	s_or_b32 exec_lo, exec_lo, s23
	v_lshlrev_b32_e32 v2, 8, v89
	v_lshl_add_u32 v12, v88, 10, 0x2000
	s_delay_alu instid0(VALU_DEP_1) | instskip(NEXT) | instid1(VALU_DEP_1)
	v_and_or_b32 v2, 0x8000, v2, v12
	v_lshl_or_b32 v2, v11, 7, v2
	s_delay_alu instid0(VALU_DEP_1)
	v_cvt_f32_f16_e32 v88, v2
.LBB373_4088:                           ;   in Loop: Header=BB373_2082 Depth=1
	s_or_b32 exec_lo, exec_lo, s22
.LBB373_4089:                           ;   in Loop: Header=BB373_2082 Depth=1
	s_delay_alu instid0(SALU_CYCLE_1)
	s_or_b32 exec_lo, exec_lo, s21
.LBB373_4090:                           ;   in Loop: Header=BB373_2082 Depth=1
	s_delay_alu instid0(SALU_CYCLE_1)
	s_or_b32 exec_lo, exec_lo, s19
	v_dual_mov_b32 v89, 0 :: v_dual_mov_b32 v90, 0
	s_mov_b32 s19, exec_lo
	v_cmpx_lt_u32_e32 0xffffff, v9
	s_cbranch_execz .LBB373_4098
; %bb.4091:                             ;   in Loop: Header=BB373_2082 Depth=1
	v_lshrrev_b32_e32 v91, 24, v9
	v_bfrev_b32_e32 v90, 1
	s_mov_b32 s21, exec_lo
	s_delay_alu instid0(VALU_DEP_2)
	v_cmpx_ne_u32_e32 0x80, v91
	s_cbranch_execz .LBB373_4097
; %bb.4092:                             ;   in Loop: Header=BB373_2082 Depth=1
	v_and_b32_e32 v92, 0x7f, v91
	v_mov_b32_e32 v90, 0x7fc02000
	s_mov_b32 s22, exec_lo
	s_delay_alu instid0(VALU_DEP_2)
	v_cmpx_ne_u32_e32 0x7f, v92
	s_cbranch_execz .LBB373_4096
; %bb.4093:                             ;   in Loop: Header=BB373_2082 Depth=1
	v_and_b32_e32 v2, 7, v91
	v_lshrrev_b32_e32 v90, 3, v92
	v_mov_b32_e32 v12, v3
	s_mov_b32 s23, exec_lo
	s_delay_alu instid0(VALU_DEP_3)
	v_mov_b32_e32 v11, v2
	v_cmpx_gt_u32_e32 8, v92
; %bb.4094:                             ;   in Loop: Header=BB373_2082 Depth=1
	v_clz_i32_u32_e32 v11, v2
	s_delay_alu instid0(VALU_DEP_1) | instskip(NEXT) | instid1(VALU_DEP_1)
	v_min_u32_e32 v167, 32, v11
	v_subrev_nc_u32_e32 v11, 28, v167
	v_sub_nc_u32_e32 v90, 29, v167
	s_delay_alu instid0(VALU_DEP_2) | instskip(NEXT) | instid1(VALU_DEP_1)
	v_lshlrev_b64 v[11:12], v11, v[2:3]
	v_and_b32_e32 v11, 7, v11
; %bb.4095:                             ;   in Loop: Header=BB373_2082 Depth=1
	s_or_b32 exec_lo, exec_lo, s23
	v_lshlrev_b32_e32 v2, 8, v91
	v_lshl_add_u32 v12, v90, 10, 0x2000
	s_delay_alu instid0(VALU_DEP_1) | instskip(NEXT) | instid1(VALU_DEP_1)
	v_and_or_b32 v2, 0x8000, v2, v12
	v_lshl_or_b32 v2, v11, 7, v2
	s_delay_alu instid0(VALU_DEP_1)
	v_cvt_f32_f16_e32 v90, v2
.LBB373_4096:                           ;   in Loop: Header=BB373_2082 Depth=1
	s_or_b32 exec_lo, exec_lo, s22
.LBB373_4097:                           ;   in Loop: Header=BB373_2082 Depth=1
	s_delay_alu instid0(SALU_CYCLE_1)
	s_or_b32 exec_lo, exec_lo, s21
.LBB373_4098:                           ;   in Loop: Header=BB373_2082 Depth=1
	s_delay_alu instid0(SALU_CYCLE_1) | instskip(SKIP_2) | instid1(VALU_DEP_1)
	s_or_b32 exec_lo, exec_lo, s19
	v_dual_mov_b32 v2, v10 :: v_dual_and_b32 v11, 0xff, v10
	s_mov_b32 s19, exec_lo
	v_cmpx_ne_u16_e32 0, v11
	s_cbranch_execz .LBB373_4106
; %bb.4099:                             ;   in Loop: Header=BB373_2082 Depth=1
	v_bfrev_b32_e32 v89, 1
	s_mov_b32 s21, exec_lo
	v_cmpx_ne_u16_e32 0x80, v11
	s_cbranch_execz .LBB373_4105
; %bb.4100:                             ;   in Loop: Header=BB373_2082 Depth=1
	v_and_b32_e32 v91, 0x7f, v10
	v_mov_b32_e32 v89, 0x7fc02000
	s_mov_b32 s22, exec_lo
	s_delay_alu instid0(VALU_DEP_2)
	v_cmpx_ne_u32_e32 0x7f, v91
	s_cbranch_execz .LBB373_4104
; %bb.4101:                             ;   in Loop: Header=BB373_2082 Depth=1
	v_dual_mov_b32 v12, v3 :: v_dual_mov_b32 v11, v2
	v_lshrrev_b32_e32 v12, 3, v91
	s_mov_b32 s23, exec_lo
	v_cmpx_gt_u32_e32 8, v91
; %bb.4102:                             ;   in Loop: Header=BB373_2082 Depth=1
	v_and_b32_e32 v11, 7, v10
	s_delay_alu instid0(VALU_DEP_1) | instskip(NEXT) | instid1(VALU_DEP_1)
	v_clz_i32_u32_e32 v11, v11
	v_min_u32_e32 v167, 32, v11
	s_delay_alu instid0(VALU_DEP_1) | instskip(NEXT) | instid1(VALU_DEP_1)
	v_subrev_nc_u32_e32 v11, 28, v167
	v_lshlrev_b64 v[11:12], v11, v[2:3]
	v_sub_nc_u32_e32 v12, 29, v167
; %bb.4103:                             ;   in Loop: Header=BB373_2082 Depth=1
	s_or_b32 exec_lo, exec_lo, s23
	v_lshlrev_b32_e32 v167, 8, v10
	s_delay_alu instid0(VALU_DEP_2) | instskip(NEXT) | instid1(VALU_DEP_4)
	v_lshl_add_u32 v12, v12, 10, 0x2000
	v_lshlrev_b32_e32 v11, 7, v11
	s_delay_alu instid0(VALU_DEP_2) | instskip(NEXT) | instid1(VALU_DEP_1)
	v_and_or_b32 v12, 0x8000, v167, v12
	v_and_or_b32 v11, 0x380, v11, v12
	s_delay_alu instid0(VALU_DEP_1)
	v_cvt_f32_f16_e32 v89, v11
.LBB373_4104:                           ;   in Loop: Header=BB373_2082 Depth=1
	s_or_b32 exec_lo, exec_lo, s22
.LBB373_4105:                           ;   in Loop: Header=BB373_2082 Depth=1
	s_delay_alu instid0(SALU_CYCLE_1)
	s_or_b32 exec_lo, exec_lo, s21
.LBB373_4106:                           ;   in Loop: Header=BB373_2082 Depth=1
	s_delay_alu instid0(SALU_CYCLE_1) | instskip(SKIP_3) | instid1(VALU_DEP_2)
	s_or_b32 exec_lo, exec_lo, s19
	v_lshrrev_b16 v2, 8, v2
	v_dual_mov_b32 v91, 0 :: v_dual_mov_b32 v92, 0
	s_mov_b32 s19, exec_lo
	v_cmpx_ne_u16_e32 0, v2
	s_cbranch_execz .LBB373_4114
; %bb.4107:                             ;   in Loop: Header=BB373_2082 Depth=1
	v_bfrev_b32_e32 v92, 1
	s_mov_b32 s21, exec_lo
	v_cmpx_ne_u16_e32 0x80, v2
	s_cbranch_execz .LBB373_4113
; %bb.4108:                             ;   in Loop: Header=BB373_2082 Depth=1
	v_and_b32_e32 v93, 0xffff, v2
	v_mov_b32_e32 v92, 0x7fc02000
	s_mov_b32 s22, exec_lo
	s_delay_alu instid0(VALU_DEP_2) | instskip(NEXT) | instid1(VALU_DEP_1)
	v_and_b32_e32 v94, 0x7f, v93
	v_cmpx_ne_u32_e32 0x7f, v94
	s_cbranch_execz .LBB373_4112
; %bb.4109:                             ;   in Loop: Header=BB373_2082 Depth=1
	v_and_b32_e32 v2, 7, v93
	v_lshrrev_b32_e32 v92, 3, v94
	v_mov_b32_e32 v12, v3
	s_mov_b32 s23, exec_lo
	s_delay_alu instid0(VALU_DEP_3)
	v_mov_b32_e32 v11, v2
	v_cmpx_gt_u32_e32 8, v94
; %bb.4110:                             ;   in Loop: Header=BB373_2082 Depth=1
	v_clz_i32_u32_e32 v11, v2
	s_delay_alu instid0(VALU_DEP_1) | instskip(NEXT) | instid1(VALU_DEP_1)
	v_min_u32_e32 v167, 32, v11
	v_subrev_nc_u32_e32 v11, 28, v167
	v_sub_nc_u32_e32 v92, 29, v167
	s_delay_alu instid0(VALU_DEP_2) | instskip(NEXT) | instid1(VALU_DEP_1)
	v_lshlrev_b64 v[11:12], v11, v[2:3]
	v_and_b32_e32 v11, 7, v11
; %bb.4111:                             ;   in Loop: Header=BB373_2082 Depth=1
	s_or_b32 exec_lo, exec_lo, s23
	v_lshlrev_b32_e32 v2, 8, v93
	v_lshl_add_u32 v12, v92, 10, 0x2000
	s_delay_alu instid0(VALU_DEP_1) | instskip(NEXT) | instid1(VALU_DEP_1)
	v_and_or_b32 v2, 0x8000, v2, v12
	v_lshl_or_b32 v2, v11, 7, v2
	s_delay_alu instid0(VALU_DEP_1)
	v_cvt_f32_f16_e32 v92, v2
.LBB373_4112:                           ;   in Loop: Header=BB373_2082 Depth=1
	s_or_b32 exec_lo, exec_lo, s22
.LBB373_4113:                           ;   in Loop: Header=BB373_2082 Depth=1
	s_delay_alu instid0(SALU_CYCLE_1)
	s_or_b32 exec_lo, exec_lo, s21
.LBB373_4114:                           ;   in Loop: Header=BB373_2082 Depth=1
	s_delay_alu instid0(SALU_CYCLE_1) | instskip(SKIP_2) | instid1(VALU_DEP_1)
	s_or_b32 exec_lo, exec_lo, s19
	v_lshrrev_b32_e32 v93, 16, v10
	s_mov_b32 s19, exec_lo
	v_and_b32_e32 v2, 0xff, v93
	s_delay_alu instid0(VALU_DEP_1)
	v_cmpx_ne_u16_e32 0, v2
	s_cbranch_execz .LBB373_4122
; %bb.4115:                             ;   in Loop: Header=BB373_2082 Depth=1
	v_bfrev_b32_e32 v91, 1
	s_mov_b32 s21, exec_lo
	v_cmpx_ne_u16_e32 0x80, v2
	s_cbranch_execz .LBB373_4121
; %bb.4116:                             ;   in Loop: Header=BB373_2082 Depth=1
	v_bfe_u32 v94, v10, 16, 7
	v_mov_b32_e32 v91, 0x7fc02000
	s_mov_b32 s22, exec_lo
	s_delay_alu instid0(VALU_DEP_2)
	v_cmpx_ne_u32_e32 0x7f, v94
	s_cbranch_execz .LBB373_4120
; %bb.4117:                             ;   in Loop: Header=BB373_2082 Depth=1
	v_and_b32_e32 v2, 7, v93
	v_lshrrev_b32_e32 v91, 3, v94
	v_mov_b32_e32 v12, v3
	s_mov_b32 s23, exec_lo
	s_delay_alu instid0(VALU_DEP_3)
	v_mov_b32_e32 v11, v2
	v_cmpx_gt_u32_e32 8, v94
; %bb.4118:                             ;   in Loop: Header=BB373_2082 Depth=1
	v_clz_i32_u32_e32 v11, v2
	s_delay_alu instid0(VALU_DEP_1) | instskip(NEXT) | instid1(VALU_DEP_1)
	v_min_u32_e32 v167, 32, v11
	v_subrev_nc_u32_e32 v11, 28, v167
	v_sub_nc_u32_e32 v91, 29, v167
	s_delay_alu instid0(VALU_DEP_2) | instskip(NEXT) | instid1(VALU_DEP_1)
	v_lshlrev_b64 v[11:12], v11, v[2:3]
	v_and_b32_e32 v11, 7, v11
; %bb.4119:                             ;   in Loop: Header=BB373_2082 Depth=1
	s_or_b32 exec_lo, exec_lo, s23
	v_lshlrev_b32_e32 v2, 8, v93
	v_lshl_add_u32 v12, v91, 10, 0x2000
	s_delay_alu instid0(VALU_DEP_1) | instskip(NEXT) | instid1(VALU_DEP_1)
	v_and_or_b32 v2, 0x8000, v2, v12
	v_lshl_or_b32 v2, v11, 7, v2
	s_delay_alu instid0(VALU_DEP_1)
	v_cvt_f32_f16_e32 v91, v2
.LBB373_4120:                           ;   in Loop: Header=BB373_2082 Depth=1
	s_or_b32 exec_lo, exec_lo, s22
.LBB373_4121:                           ;   in Loop: Header=BB373_2082 Depth=1
	s_delay_alu instid0(SALU_CYCLE_1)
	s_or_b32 exec_lo, exec_lo, s21
.LBB373_4122:                           ;   in Loop: Header=BB373_2082 Depth=1
	s_delay_alu instid0(SALU_CYCLE_1)
	s_or_b32 exec_lo, exec_lo, s19
	v_mov_b32_e32 v2, 0
	s_mov_b32 s19, exec_lo
	v_cmpx_lt_u64_e64 s[12:13], v[9:10]
	s_cbranch_execz .LBB373_2081
; %bb.4123:                             ;   in Loop: Header=BB373_2082 Depth=1
	v_lshrrev_b32_e32 v11, 24, v10
	v_bfrev_b32_e32 v2, 1
	s_mov_b32 s21, exec_lo
	s_delay_alu instid0(VALU_DEP_2)
	v_cmpx_ne_u32_e32 0x80, v11
	s_cbranch_execz .LBB373_2080
; %bb.4124:                             ;   in Loop: Header=BB373_2082 Depth=1
	v_and_b32_e32 v93, 0x7f, v11
	v_mov_b32_e32 v2, 0x7fc02000
	s_mov_b32 s22, exec_lo
	s_delay_alu instid0(VALU_DEP_2)
	v_cmpx_ne_u32_e32 0x7f, v93
	s_cbranch_execz .LBB373_2079
; %bb.4125:                             ;   in Loop: Header=BB373_2082 Depth=1
	v_and_b32_e32 v2, 7, v11
	v_lshrrev_b32_e32 v12, 3, v93
	v_mov_b32_e32 v10, v3
	s_mov_b32 s23, exec_lo
	s_delay_alu instid0(VALU_DEP_3)
	v_mov_b32_e32 v9, v2
	v_cmpx_gt_u32_e32 8, v93
	s_cbranch_execz .LBB373_2078
; %bb.4126:                             ;   in Loop: Header=BB373_2082 Depth=1
	v_clz_i32_u32_e32 v9, v2
	s_delay_alu instid0(VALU_DEP_1) | instskip(NEXT) | instid1(VALU_DEP_1)
	v_min_u32_e32 v12, 32, v9
	v_subrev_nc_u32_e32 v9, 28, v12
	v_sub_nc_u32_e32 v12, 29, v12
	s_delay_alu instid0(VALU_DEP_2) | instskip(NEXT) | instid1(VALU_DEP_1)
	v_lshlrev_b64 v[9:10], v9, v[2:3]
	v_and_b32_e32 v9, 7, v9
	s_branch .LBB373_2078
.LBB373_4127:
	s_or_b32 exec_lo, exec_lo, s15
	v_dual_mov_b32 v0, s16 :: v_dual_mov_b32 v1, s17
.LBB373_4128:
	s_or_b32 exec_lo, exec_lo, s11
	ds_bpermute_b32 v4, v19, v82
	ds_bpermute_b32 v5, v19, v81
	;; [unrolled: 1-line block ×25, first 2 shown]
	s_waitcnt lgkmcnt(23)
	v_dual_add_f32 v4, v82, v4 :: v_dual_add_f32 v5, v81, v5
	s_waitcnt lgkmcnt(20)
	v_dual_add_f32 v6, v80, v6 :: v_dual_add_f32 v9, v69, v9
	;; [unrolled: 2-line block ×3, first 2 shown]
	v_dual_add_f32 v50, v50, v26 :: v_dual_add_f32 v33, v33, v37
	v_add_f32_e32 v32, v32, v38
	ds_bpermute_b32 v17, v19, v53
	ds_bpermute_b32 v27, v19, v49
	;; [unrolled: 1-line block ×3, first 2 shown]
	s_waitcnt lgkmcnt(10)
	v_dual_add_f32 v37, v31, v39 :: v_dual_add_f32 v10, v68, v10
	v_dual_add_f32 v13, v65, v13 :: v_dual_add_f32 v12, v66, v12
	;; [unrolled: 1-line block ×4, first 2 shown]
	v_add_f32_e32 v52, v52, v22
	s_waitcnt lgkmcnt(9)
	v_add_f32_e32 v38, v30, v48
	s_waitcnt lgkmcnt(7)
	v_dual_add_f32 v48, v28, v96 :: v_dual_add_f32 v55, v25, v97
	s_waitcnt lgkmcnt(5)
	v_dual_add_f32 v64, v24, v98 :: v_dual_add_f32 v65, v21, v99
	ds_bpermute_b32 v21, v18, v4
	ds_bpermute_b32 v22, v18, v5
	;; [unrolled: 1-line block ×7, first 2 shown]
	s_waitcnt lgkmcnt(10)
	v_dual_add_f32 v2, v85, v2 :: v_dual_add_f32 v7, v71, v7
	s_waitcnt lgkmcnt(0)
	s_waitcnt_vscnt null, 0x0
	s_barrier
	buffer_gl0_inv
	scratch_load_b32 v35, off, s32 offset:1040 ; 4-byte Folded Reload
	v_add_f32_e32 v49, v49, v27
	ds_bpermute_b32 v24, v18, v7
	v_lshlrev_b64 v[0:1], 2, v[0:1]
	s_getpc_b64 s[0:1]
	s_add_u32 s0, s0, llvm.amdgcn.dynlds.offset.table@rel32@lo+4
	s_addc_u32 s1, s1, llvm.amdgcn.dynlds.offset.table@rel32@hi+12
	ds_bpermute_b32 v3, v19, v83
	ds_bpermute_b32 v69, v18, v10
	v_add_f32_e32 v53, v53, v17
	v_dual_add_f32 v27, v4, v21 :: v_dual_add_f32 v26, v5, v22
	v_add_f32_e32 v25, v6, v23
	v_dual_add_f32 v23, v8, v67 :: v_dual_add_f32 v22, v9, v68
	v_dual_add_f32 v9, v33, v97 :: v_dual_add_f32 v8, v32, v98
	s_clause 0x1
	scratch_load_b32 v32, off, s32 offset:1044
	scratch_load_b32 v115, off, s32 offset:1036
	v_add_co_u32 v0, vcc_lo, v0, s0
	v_add_co_ci_u32_e32 v1, vcc_lo, s1, v1, vcc_lo
	v_add_f32_e32 v39, v29, v87
	ds_bpermute_b32 v70, v18, v11
	ds_bpermute_b32 v71, v18, v12
	global_load_b32 v34, v[0:1], off
	ds_bpermute_b32 v0, v19, v84
	ds_bpermute_b32 v1, v19, v86
	;; [unrolled: 1-line block ×3, first 2 shown]
	s_waitcnt lgkmcnt(6)
	v_add_f32_e32 v3, v83, v3
	ds_bpermute_b32 v80, v18, v13
	ds_bpermute_b32 v81, v18, v14
	;; [unrolled: 1-line block ×14, first 2 shown]
	s_waitcnt lgkmcnt(19)
	v_dual_add_f32 v21, v10, v69 :: v_dual_add_f32 v24, v7, v24
	s_waitcnt lgkmcnt(16)
	v_add_f32_e32 v0, v84, v0
	ds_bpermute_b32 v84, v18, v53
	s_waitcnt lgkmcnt(15)
	v_add_f32_e32 v66, v20, v19
	ds_bpermute_b32 v19, v18, v2
	ds_bpermute_b32 v20, v18, v3
	ds_bpermute_b32 v16, v18, v0
	s_mov_b32 s0, exec_lo
	ds_bpermute_b32 v114, v18, v66
	v_add_f32_e32 v1, v86, v1
	ds_bpermute_b32 v86, v18, v51
	s_waitcnt lgkmcnt(13)
	v_add_f32_e32 v10, v49, v96
	s_waitcnt lgkmcnt(11)
	v_dual_add_f32 v7, v37, v99 :: v_dual_add_f32 v6, v38, v100
	s_waitcnt lgkmcnt(9)
	v_dual_add_f32 v5, v39, v101 :: v_dual_add_f32 v4, v48, v102
	ds_bpermute_b32 v17, v18, v1
	v_dual_add_f32 v18, v13, v80 :: v_dual_add_f32 v13, v52, v85
	s_waitcnt lgkmcnt(4)
	v_dual_add_f32 v29, v2, v19 :: v_dual_add_f32 v28, v3, v20
	s_waitcnt lgkmcnt(3)
	v_dual_add_f32 v31, v0, v16 :: v_dual_add_f32 v20, v11, v70
	v_dual_add_f32 v19, v12, v71 :: v_dual_add_f32 v16, v15, v82
	s_waitcnt lgkmcnt(1)
	v_dual_add_f32 v15, v54, v83 :: v_dual_add_f32 v12, v51, v86
	v_add_f32_e32 v11, v50, v87
	v_dual_add_f32 v3, v55, v103 :: v_dual_add_f32 v2, v64, v112
	v_add_f32_e32 v0, v66, v114
	s_waitcnt lgkmcnt(0)
	v_add_f32_e32 v30, v1, v17
	v_add_f32_e32 v1, v65, v113
	v_dual_add_f32 v17, v14, v81 :: v_dual_add_f32 v14, v53, v84
	s_waitcnt vmcnt(3)
	v_lshrrev_b32_e32 v35, 2, v35
	s_waitcnt vmcnt(1)
	v_and_b32_e32 v36, 0x3c3, v115
	s_waitcnt vmcnt(0)
	v_lshl_add_u32 v32, v32, 10, v34
	s_delay_alu instid0(VALU_DEP_2)
	v_cmpx_eq_u32_e32 64, v36
	s_cbranch_execz .LBB373_4130
; %bb.4129:
	v_lshlrev_b32_e32 v33, 2, v35
	s_delay_alu instid0(VALU_DEP_1)
	v_add3_u32 v33, v32, v33, 0xfffff800
	ds_store_2addr_b32 v33, v31, v30 offset1:8
	ds_store_2addr_b32 v33, v29, v28 offset0:16 offset1:24
	ds_store_2addr_b32 v33, v27, v26 offset0:32 offset1:40
	;; [unrolled: 1-line block ×15, first 2 shown]
.LBB373_4130:
	s_or_b32 exec_lo, exec_lo, s0
	s_delay_alu instid0(VALU_DEP_2)
	v_lshl_add_u32 v32, v35, 2, v32
	s_mov_b32 s0, exec_lo
	s_waitcnt lgkmcnt(0)
	s_barrier
	buffer_gl0_inv
	v_cmpx_eq_u32_e32 0, v36
	s_cbranch_execz .LBB373_4132
; %bb.4131:
	ds_load_2addr_b32 v[36:37], v32 offset1:8
	ds_load_2addr_b32 v[38:39], v32 offset0:16 offset1:24
	ds_load_2addr_b32 v[48:49], v32 offset0:32 offset1:40
	;; [unrolled: 1-line block ×12, first 2 shown]
	s_waitcnt lgkmcnt(12)
	v_dual_add_f32 v31, v36, v31 :: v_dual_add_f32 v30, v37, v30
	s_waitcnt lgkmcnt(11)
	v_dual_add_f32 v29, v38, v29 :: v_dual_add_f32 v28, v39, v28
	;; [unrolled: 2-line block ×3, first 2 shown]
	ds_load_2addr_b32 v[36:37], v32 offset0:208 offset1:216
	ds_load_2addr_b32 v[38:39], v32 offset0:224 offset1:232
	;; [unrolled: 1-line block ×3, first 2 shown]
	s_waitcnt lgkmcnt(12)
	v_dual_add_f32 v25, v50, v25 :: v_dual_add_f32 v24, v51, v24
	s_waitcnt lgkmcnt(11)
	v_dual_add_f32 v23, v52, v23 :: v_dual_add_f32 v22, v53, v22
	;; [unrolled: 2-line block ×13, first 2 shown]
.LBB373_4132:
	s_or_b32 exec_lo, exec_lo, s0
	v_and_b32_e32 v33, 0x3e3, v115
	s_mov_b32 s0, exec_lo
	s_barrier
	buffer_gl0_inv
	v_cmpx_eq_u32_e32 32, v33
	s_cbranch_execz .LBB373_4134
; %bb.4133:
	v_lshl_add_u32 v34, v35, 2, v34
	ds_store_2addr_b32 v34, v31, v30 offset1:8
	ds_store_2addr_b32 v34, v29, v28 offset0:16 offset1:24
	ds_store_2addr_b32 v34, v27, v26 offset0:32 offset1:40
	;; [unrolled: 1-line block ×15, first 2 shown]
.LBB373_4134:
	s_or_b32 exec_lo, exec_lo, s0
	v_cmp_eq_u32_e32 vcc_lo, 0, v33
	s_waitcnt lgkmcnt(0)
	s_barrier
	buffer_gl0_inv
	s_and_saveexec_b32 s0, vcc_lo
	s_cbranch_execz .LBB373_4136
; %bb.4135:
	ds_load_2addr_b32 v[33:34], v32 offset1:8
	ds_load_2addr_b32 v[35:36], v32 offset0:16 offset1:24
	ds_load_2addr_b32 v[37:38], v32 offset0:32 offset1:40
	;; [unrolled: 1-line block ×12, first 2 shown]
	s_waitcnt lgkmcnt(12)
	v_dual_add_f32 v31, v33, v31 :: v_dual_add_f32 v30, v34, v30
	s_waitcnt lgkmcnt(11)
	v_dual_add_f32 v29, v35, v29 :: v_dual_add_f32 v28, v36, v28
	;; [unrolled: 2-line block ×3, first 2 shown]
	ds_load_2addr_b32 v[33:34], v32 offset0:208 offset1:216
	ds_load_2addr_b32 v[35:36], v32 offset0:224 offset1:232
	ds_load_2addr_b32 v[37:38], v32 offset0:240 offset1:248
	s_waitcnt lgkmcnt(12)
	v_dual_add_f32 v25, v48, v25 :: v_dual_add_f32 v24, v49, v24
	s_waitcnt lgkmcnt(11)
	v_dual_add_f32 v23, v50, v23 :: v_dual_add_f32 v22, v51, v22
	;; [unrolled: 2-line block ×13, first 2 shown]
.LBB373_4136:
	s_or_b32 exec_lo, exec_lo, s0
	s_barrier
	buffer_gl0_inv
	s_and_b32 exec_lo, exec_lo, vcc_lo
	s_cbranch_execz .LBB373_4138
; %bb.4137:
	s_clause 0x1
	scratch_load_b32 v33, off, s32 offset:1060
	scratch_load_b32 v34, off, s32 offset:1056
	s_mul_i32 s2, s10, s9
	s_lshl_b32 s4, s14, 8
	s_lshl_b32 s0, s18, 8
	s_ashr_i32 s3, s2, 31
	s_ashr_i32 s5, s4, 31
	;; [unrolled: 1-line block ×3, first 2 shown]
	s_lshl_b64 s[2:3], s[2:3], 1
	s_lshl_b64 s[4:5], s[4:5], 1
	;; [unrolled: 1-line block ×3, first 2 shown]
	s_add_u32 s2, s4, s2
	s_addc_u32 s3, s5, s3
	s_add_u32 s0, s2, s0
	s_addc_u32 s1, s3, s1
	v_lshrrev_b32_e32 v32, 1, v115
	;;#ASMSTART
	v_cvt_f16_f32 v31, v31;

	;;#ASMEND
	s_waitcnt vmcnt(1)
	v_add_co_u32 v33, vcc_lo, s0, v33
	s_waitcnt vmcnt(0)
	v_add_co_ci_u32_e32 v34, vcc_lo, s1, v34, vcc_lo
	s_delay_alu instid0(VALU_DEP_2) | instskip(NEXT) | instid1(VALU_DEP_2)
	v_add_co_u32 v32, vcc_lo, v33, v32
	v_add_co_ci_u32_e32 v33, vcc_lo, 0, v34, vcc_lo
	flat_store_b16 v[32:33], v31
	;;#ASMSTART
	v_cvt_f16_f32 v30, v30;

	;;#ASMEND
	flat_store_b16 v[32:33], v30 offset:16
	;;#ASMSTART
	v_cvt_f16_f32 v29, v29;

	;;#ASMEND
	flat_store_b16 v[32:33], v29 offset:32
	;; [unrolled: 5-line block ×31, first 2 shown]
.LBB373_4138:
	s_or_b32 exec_lo, exec_lo, s20
	s_clause 0x1f
	scratch_load_b32 v191, off, s32
	scratch_load_b32 v190, off, s32 offset:4
	scratch_load_b32 v189, off, s32 offset:8
	;; [unrolled: 1-line block ×31, first 2 shown]
	s_clause 0x1f
	scratch_load_b32 v127, off, s32 offset:128
	scratch_load_b32 v126, off, s32 offset:132
	;; [unrolled: 1-line block ×32, first 2 shown]
	s_clause 0xf
	scratch_load_b32 v63, off, s32 offset:256
	scratch_load_b32 v62, off, s32 offset:260
	scratch_load_b32 v61, off, s32 offset:264
	scratch_load_b32 v60, off, s32 offset:268
	scratch_load_b32 v59, off, s32 offset:272
	scratch_load_b32 v58, off, s32 offset:276
	scratch_load_b32 v57, off, s32 offset:280
	scratch_load_b32 v56, off, s32 offset:284
	scratch_load_b32 v47, off, s32 offset:288
	scratch_load_b32 v46, off, s32 offset:292
	scratch_load_b32 v45, off, s32 offset:296
	scratch_load_b32 v44, off, s32 offset:300
	scratch_load_b32 v43, off, s32 offset:304
	scratch_load_b32 v42, off, s32 offset:308
	scratch_load_b32 v41, off, s32 offset:312
	scratch_load_b32 v40, off, s32 offset:316
	s_waitcnt vmcnt(0) lgkmcnt(0)
	s_setpc_b64 s[30:31]
.Lfunc_end373:
	.size	_ZN4vllm22paged_attention_kernelIthLi256ELi32ELi128ELNS_18Fp8KVCacheDataTypeE1ELb0ELi512EEEvPfS2_PT_PKS3_PKT0_S9_ifPKiSB_iPKfiiiSD_SD_iiiii, .Lfunc_end373-_ZN4vllm22paged_attention_kernelIthLi256ELi32ELi128ELNS_18Fp8KVCacheDataTypeE1ELb0ELi512EEEvPfS2_PT_PKS3_PKT0_S9_ifPKiSB_iPKfiiiSD_SD_iiiii
                                        ; -- End function
	.section	.AMDGPU.csdata,"",@progbits
; Function info:
; codeLenInByte = 162784
; NumSgprs: 35
; NumVgprs: 192
; ScratchSize: 1120
; MemoryBound: 0
	.section	.text._ZN4vllm25paged_attention_v2_kernelIthLi256ELi32ELi128ELNS_18Fp8KVCacheDataTypeE1ELb0ELi512EEEvPfS2_PT_PKS3_PKT0_S9_ifPKiSB_iPKfiiiSD_SD_iiiii,"axG",@progbits,_ZN4vllm25paged_attention_v2_kernelIthLi256ELi32ELi128ELNS_18Fp8KVCacheDataTypeE1ELb0ELi512EEEvPfS2_PT_PKS3_PKT0_S9_ifPKiSB_iPKfiiiSD_SD_iiiii,comdat
	.protected	_ZN4vllm25paged_attention_v2_kernelIthLi256ELi32ELi128ELNS_18Fp8KVCacheDataTypeE1ELb0ELi512EEEvPfS2_PT_PKS3_PKT0_S9_ifPKiSB_iPKfiiiSD_SD_iiiii ; -- Begin function _ZN4vllm25paged_attention_v2_kernelIthLi256ELi32ELi128ELNS_18Fp8KVCacheDataTypeE1ELb0ELi512EEEvPfS2_PT_PKS3_PKT0_S9_ifPKiSB_iPKfiiiSD_SD_iiiii
	.globl	_ZN4vllm25paged_attention_v2_kernelIthLi256ELi32ELi128ELNS_18Fp8KVCacheDataTypeE1ELb0ELi512EEEvPfS2_PT_PKS3_PKT0_S9_ifPKiSB_iPKfiiiSD_SD_iiiii
	.p2align	8
	.type	_ZN4vllm25paged_attention_v2_kernelIthLi256ELi32ELi128ELNS_18Fp8KVCacheDataTypeE1ELb0ELi512EEEvPfS2_PT_PKS3_PKT0_S9_ifPKiSB_iPKfiiiSD_SD_iiiii,@function
_ZN4vllm25paged_attention_v2_kernelIthLi256ELi32ELi128ELNS_18Fp8KVCacheDataTypeE1ELb0ELi512EEEvPfS2_PT_PKS3_PKT0_S9_ifPKiSB_iPKfiiiSD_SD_iiiii: ; @_ZN4vllm25paged_attention_v2_kernelIthLi256ELi32ELi128ELNS_18Fp8KVCacheDataTypeE1ELb0ELi512EEEvPfS2_PT_PKS3_PKT0_S9_ifPKiSB_iPKfiiiSD_SD_iiiii
; %bb.0:
	s_clause 0x5
	s_load_b256 s[24:31], s[0:1], 0x0
	s_load_b256 s[16:23], s[0:1], 0x20
	s_load_b64 s[2:3], s[0:1], 0x40
	s_load_b64 s[4:5], s[0:1], 0x50
	s_load_b32 s6, s[0:1], 0x48
	s_load_b256 s[36:43], s[0:1], 0x58
	v_mov_b32_e32 v31, v0
	s_add_u32 s8, s0, 0x90
	s_mov_b32 s12, s13
	s_addc_u32 s9, s1, 0
	s_mov_b32 s13, s14
	s_mov_b32 s14, s15
	s_movk_i32 s15, 0x67
	s_mov_b32 s32, 0
	s_getpc_b64 s[0:1]
	s_add_u32 s0, s0, _ZN4vllm22paged_attention_kernelIthLi256ELi32ELi128ELNS_18Fp8KVCacheDataTypeE1ELb0ELi512EEEvPfS2_PT_PKS3_PKT0_S9_ifPKiSB_iPKfiiiSD_SD_iiiii@rel32@lo+4
	s_addc_u32 s1, s1, _ZN4vllm22paged_attention_kernelIthLi256ELi32ELi128ELNS_18Fp8KVCacheDataTypeE1ELb0ELi512EEEvPfS2_PT_PKS3_PKT0_S9_ifPKiSB_iPKfiiiSD_SD_iiiii@rel32@hi+12
	s_waitcnt lgkmcnt(0)
	v_dual_mov_b32 v0, s24 :: v_dual_mov_b32 v1, s25
	v_dual_mov_b32 v2, s26 :: v_dual_mov_b32 v3, s27
	;; [unrolled: 1-line block ×14, first 2 shown]
	s_swappc_b64 s[30:31], s[0:1]
	s_endpgm
	.section	.rodata,"a",@progbits
	.p2align	6, 0x0
	.amdhsa_kernel _ZN4vllm25paged_attention_v2_kernelIthLi256ELi32ELi128ELNS_18Fp8KVCacheDataTypeE1ELb0ELi512EEEvPfS2_PT_PKS3_PKT0_S9_ifPKiSB_iPKfiiiSD_SD_iiiii
		.amdhsa_group_segment_fixed_size 544
		.amdhsa_private_segment_fixed_size 1120
		.amdhsa_kernarg_size 400
		.amdhsa_user_sgpr_count 13
		.amdhsa_user_sgpr_dispatch_ptr 0
		.amdhsa_user_sgpr_queue_ptr 0
		.amdhsa_user_sgpr_kernarg_segment_ptr 1
		.amdhsa_user_sgpr_dispatch_id 0
		.amdhsa_user_sgpr_private_segment_size 0
		.amdhsa_wavefront_size32 1
		.amdhsa_uses_dynamic_stack 0
		.amdhsa_enable_private_segment 1
		.amdhsa_system_sgpr_workgroup_id_x 1
		.amdhsa_system_sgpr_workgroup_id_y 1
		.amdhsa_system_sgpr_workgroup_id_z 1
		.amdhsa_system_sgpr_workgroup_info 0
		.amdhsa_system_vgpr_workitem_id 0
		.amdhsa_next_free_vgpr 192
		.amdhsa_next_free_sgpr 44
		.amdhsa_reserve_vcc 1
		.amdhsa_float_round_mode_32 0
		.amdhsa_float_round_mode_16_64 0
		.amdhsa_float_denorm_mode_32 3
		.amdhsa_float_denorm_mode_16_64 3
		.amdhsa_dx10_clamp 1
		.amdhsa_ieee_mode 1
		.amdhsa_fp16_overflow 0
		.amdhsa_workgroup_processor_mode 1
		.amdhsa_memory_ordered 1
		.amdhsa_forward_progress 0
		.amdhsa_shared_vgpr_count 0
		.amdhsa_exception_fp_ieee_invalid_op 0
		.amdhsa_exception_fp_denorm_src 0
		.amdhsa_exception_fp_ieee_div_zero 0
		.amdhsa_exception_fp_ieee_overflow 0
		.amdhsa_exception_fp_ieee_underflow 0
		.amdhsa_exception_fp_ieee_inexact 0
		.amdhsa_exception_int_div_zero 0
	.end_amdhsa_kernel
	.section	.text._ZN4vllm25paged_attention_v2_kernelIthLi256ELi32ELi128ELNS_18Fp8KVCacheDataTypeE1ELb0ELi512EEEvPfS2_PT_PKS3_PKT0_S9_ifPKiSB_iPKfiiiSD_SD_iiiii,"axG",@progbits,_ZN4vllm25paged_attention_v2_kernelIthLi256ELi32ELi128ELNS_18Fp8KVCacheDataTypeE1ELb0ELi512EEEvPfS2_PT_PKS3_PKT0_S9_ifPKiSB_iPKfiiiSD_SD_iiiii,comdat
.Lfunc_end374:
	.size	_ZN4vllm25paged_attention_v2_kernelIthLi256ELi32ELi128ELNS_18Fp8KVCacheDataTypeE1ELb0ELi512EEEvPfS2_PT_PKS3_PKT0_S9_ifPKiSB_iPKfiiiSD_SD_iiiii, .Lfunc_end374-_ZN4vllm25paged_attention_v2_kernelIthLi256ELi32ELi128ELNS_18Fp8KVCacheDataTypeE1ELb0ELi512EEEvPfS2_PT_PKS3_PKT0_S9_ifPKiSB_iPKfiiiSD_SD_iiiii
                                        ; -- End function
	.section	.AMDGPU.csdata,"",@progbits
; Kernel info:
; codeLenInByte = 232
; NumSgprs: 46
; NumVgprs: 192
; ScratchSize: 1120
; MemoryBound: 0
; FloatMode: 240
; IeeeMode: 1
; LDSByteSize: 544 bytes/workgroup (compile time only)
; SGPRBlocks: 5
; VGPRBlocks: 23
; NumSGPRsForWavesPerEU: 46
; NumVGPRsForWavesPerEU: 192
; Occupancy: 8
; WaveLimiterHint : 1
; COMPUTE_PGM_RSRC2:SCRATCH_EN: 1
; COMPUTE_PGM_RSRC2:USER_SGPR: 13
; COMPUTE_PGM_RSRC2:TRAP_HANDLER: 0
; COMPUTE_PGM_RSRC2:TGID_X_EN: 1
; COMPUTE_PGM_RSRC2:TGID_Y_EN: 1
; COMPUTE_PGM_RSRC2:TGID_Z_EN: 1
; COMPUTE_PGM_RSRC2:TIDIG_COMP_CNT: 0
	.section	.text._ZN4vllm25paged_attention_v2_kernelI14__hip_bfloat16hLi32ELi8ELi128ELNS_18Fp8KVCacheDataTypeE1ELb1ELi512EEEvPfS3_PT_PKS4_PKT0_SA_ifPKiSC_iPKfiiiSE_SE_iiiii,"axG",@progbits,_ZN4vllm25paged_attention_v2_kernelI14__hip_bfloat16hLi32ELi8ELi128ELNS_18Fp8KVCacheDataTypeE1ELb1ELi512EEEvPfS3_PT_PKS4_PKT0_SA_ifPKiSC_iPKfiiiSE_SE_iiiii,comdat
	.protected	_ZN4vllm25paged_attention_v2_kernelI14__hip_bfloat16hLi32ELi8ELi128ELNS_18Fp8KVCacheDataTypeE1ELb1ELi512EEEvPfS3_PT_PKS4_PKT0_SA_ifPKiSC_iPKfiiiSE_SE_iiiii ; -- Begin function _ZN4vllm25paged_attention_v2_kernelI14__hip_bfloat16hLi32ELi8ELi128ELNS_18Fp8KVCacheDataTypeE1ELb1ELi512EEEvPfS3_PT_PKS4_PKT0_SA_ifPKiSC_iPKfiiiSE_SE_iiiii
	.globl	_ZN4vllm25paged_attention_v2_kernelI14__hip_bfloat16hLi32ELi8ELi128ELNS_18Fp8KVCacheDataTypeE1ELb1ELi512EEEvPfS3_PT_PKS4_PKT0_SA_ifPKiSC_iPKfiiiSE_SE_iiiii
	.p2align	8
	.type	_ZN4vllm25paged_attention_v2_kernelI14__hip_bfloat16hLi32ELi8ELi128ELNS_18Fp8KVCacheDataTypeE1ELb1ELi512EEEvPfS3_PT_PKS4_PKT0_SA_ifPKiSC_iPKfiiiSE_SE_iiiii,@function
_ZN4vllm25paged_attention_v2_kernelI14__hip_bfloat16hLi32ELi8ELi128ELNS_18Fp8KVCacheDataTypeE1ELb1ELi512EEEvPfS3_PT_PKS4_PKT0_SA_ifPKiSC_iPKfiiiSE_SE_iiiii: ; @_ZN4vllm25paged_attention_v2_kernelI14__hip_bfloat16hLi32ELi8ELi128ELNS_18Fp8KVCacheDataTypeE1ELb1ELi512EEEvPfS3_PT_PKS4_PKT0_SA_ifPKiSC_iPKfiiiSE_SE_iiiii
; %bb.0:
	s_load_b64 s[2:3], s[0:1], 0x40
	s_mov_b32 s12, s15
	s_ashr_i32 s15, s14, 31
	s_delay_alu instid0(SALU_CYCLE_1)
	s_lshl_b64 s[4:5], s[14:15], 2
	s_waitcnt lgkmcnt(0)
	s_add_u32 s2, s2, s4
	s_addc_u32 s3, s3, s5
	s_lshl_b32 s33, s12, 9
	s_load_b32 s15, s[2:3], 0x0
	s_waitcnt lgkmcnt(0)
	s_cmp_ge_i32 s33, s15
	s_cbranch_scc1 .LBB375_310
; %bb.1:
	s_mov_b32 s28, s13
	s_clause 0x1
	s_load_b32 s13, s[0:1], 0x90
	s_load_b64 s[38:39], s[0:1], 0x30
	s_mov_b32 s41, 0
	s_waitcnt lgkmcnt(0)
	s_abs_i32 s5, s13
	s_abs_i32 s2, s38
	s_delay_alu instid0(SALU_CYCLE_1) | instskip(SKIP_1) | instid1(VALU_DEP_1)
	v_cvt_f32_u32_e32 v1, s2
	s_sub_i32 s4, 0, s2
	v_rcp_iflag_f32_e32 v1, v1
	s_waitcnt_depctr 0xfff
	v_mul_f32_e32 v1, 0x4f7ffffe, v1
	s_delay_alu instid0(VALU_DEP_1) | instskip(NEXT) | instid1(VALU_DEP_1)
	v_cvt_u32_f32_e32 v1, v1
	v_readfirstlane_b32 s3, v1
	s_delay_alu instid0(VALU_DEP_1) | instskip(NEXT) | instid1(SALU_CYCLE_1)
	s_mul_i32 s4, s4, s3
	s_mul_hi_u32 s4, s3, s4
	s_delay_alu instid0(SALU_CYCLE_1) | instskip(SKIP_4) | instid1(SALU_CYCLE_1)
	s_add_i32 s3, s3, s4
	s_xor_b32 s4, s13, s38
	s_mul_hi_u32 s3, s5, s3
	s_ashr_i32 s4, s4, 31
	s_mul_i32 s6, s3, s2
	s_sub_i32 s5, s5, s6
	s_add_i32 s6, s3, 1
	s_sub_i32 s7, s5, s2
	s_cmp_ge_u32 s5, s2
	s_cselect_b32 s3, s6, s3
	s_cselect_b32 s5, s7, s5
	s_add_i32 s6, s3, 1
	s_cmp_ge_u32 s5, s2
	s_cselect_b32 s2, s6, s3
	s_delay_alu instid0(SALU_CYCLE_1) | instskip(NEXT) | instid1(SALU_CYCLE_1)
	s_xor_b32 s2, s2, s4
	s_sub_i32 s7, s2, s4
	s_load_b64 s[2:3], s[0:1], 0x50
	s_abs_i32 s4, s7
	s_delay_alu instid0(SALU_CYCLE_1) | instskip(SKIP_1) | instid1(VALU_DEP_1)
	v_cvt_f32_u32_e32 v1, s4
	s_sub_i32 s5, 0, s4
	v_rcp_iflag_f32_e32 v1, v1
	s_waitcnt_depctr 0xfff
	v_mul_f32_e32 v1, 0x4f7ffffe, v1
	s_delay_alu instid0(VALU_DEP_1) | instskip(NEXT) | instid1(VALU_DEP_1)
	v_cvt_u32_f32_e32 v1, v1
	v_readfirstlane_b32 s6, v1
	s_delay_alu instid0(VALU_DEP_1) | instskip(NEXT) | instid1(SALU_CYCLE_1)
	s_mul_i32 s5, s5, s6
	s_mul_hi_u32 s8, s6, s5
	s_abs_i32 s5, s28
	s_add_i32 s6, s6, s8
	s_waitcnt lgkmcnt(0)
	s_cmp_eq_u64 s[2:3], 0
	s_mul_hi_u32 s6, s5, s6
	s_cbranch_scc1 .LBB375_3
; %bb.2:
	s_ashr_i32 s29, s28, 31
	s_delay_alu instid0(SALU_CYCLE_1) | instskip(NEXT) | instid1(SALU_CYCLE_1)
	s_lshl_b64 s[8:9], s[28:29], 2
	s_add_u32 s2, s2, s8
	s_addc_u32 s3, s3, s9
	s_load_b32 s41, s[2:3], 0x0
.LBB375_3:
	s_load_b128 s[8:11], s[0:1], 0x58
	v_and_b32_e32 v1, 3, v0
	s_ashr_i32 s2, s28, 31
	s_ashr_i32 s3, s7, 31
	s_lshl_b32 s24, s28, 5
	s_mov_b32 s7, exec_lo
	v_cmpx_gt_u32_e32 16, v0
	s_cbranch_execz .LBB375_5
; %bb.4:
	s_load_b64 s[16:17], s[0:1], 0x18
	s_waitcnt lgkmcnt(0)
	s_mul_i32 s18, s14, s8
	v_lshlrev_b32_e32 v2, 2, v0
	s_ashr_i32 s19, s18, 31
	v_and_b32_e32 v3, 0x3fc, v0
	s_lshl_b64 s[18:19], s[18:19], 1
	s_delay_alu instid0(VALU_DEP_1) | instskip(SKIP_3) | instid1(SALU_CYCLE_1)
	v_lshl_add_u32 v3, v1, 4, v3
	s_add_u32 s8, s16, s18
	s_addc_u32 s11, s17, s19
	s_ashr_i32 s25, s24, 31
	s_lshl_b64 s[16:17], s[24:25], 1
	s_delay_alu instid0(SALU_CYCLE_1)
	s_add_u32 s16, s8, s16
	s_addc_u32 s17, s11, s17
	global_load_b32 v2, v2, s[16:17]
	s_waitcnt vmcnt(0)
	ds_store_b32 v3, v2
.LBB375_5:
	s_or_b32 exec_lo, exec_lo, s7
	s_load_b128 s[16:19], s[0:1], 0x78
	s_mul_i32 s7, s6, s4
	s_xor_b32 s2, s2, s3
	s_sub_i32 s3, s5, s7
	s_add_i32 s5, s6, 1
	s_sub_i32 s7, s3, s4
	s_cmp_ge_u32 s3, s4
	s_waitcnt lgkmcnt(0)
	s_cselect_b32 s5, s5, s6
	s_cselect_b32 s3, s7, s3
	s_add_i32 s6, s5, 1
	s_cmp_ge_u32 s3, s4
	s_load_b32 s4, s[0:1], 0x88
	s_cselect_b32 s3, s6, s5
	s_add_i32 s5, s15, -1
	s_xor_b32 s3, s3, s2
	s_abs_i32 s34, s5
	s_sub_i32 s3, s3, s2
	s_mov_b32 s6, -1
	s_waitcnt lgkmcnt(0)
	s_barrier
	s_abs_i32 s11, s19
	buffer_gl0_inv
	v_cvt_f32_u32_e32 v2, s11
	s_sub_i32 s2, 0, s11
                                        ; implicit-def: $sgpr29
	s_delay_alu instid0(VALU_DEP_1) | instskip(SKIP_2) | instid1(VALU_DEP_1)
	v_rcp_iflag_f32_e32 v2, v2
	s_waitcnt_depctr 0xfff
	v_mul_f32_e32 v2, 0x4f7ffffe, v2
	v_cvt_u32_f32_e32 v2, v2
	s_delay_alu instid0(VALU_DEP_1) | instskip(NEXT) | instid1(VALU_DEP_1)
	v_readfirstlane_b32 s25, v2
	s_mul_i32 s2, s2, s25
	s_delay_alu instid0(SALU_CYCLE_1) | instskip(NEXT) | instid1(SALU_CYCLE_1)
	s_mul_hi_u32 s2, s25, s2
	s_add_i32 s25, s25, s2
	s_cmp_lt_i32 s4, 0
	s_mul_hi_u32 s2, s34, s25
	s_cbranch_scc0 .LBB375_7
; %bb.6:
	s_mul_i32 s6, s16, s38
	s_delay_alu instid0(SALU_CYCLE_1) | instskip(NEXT) | instid1(SALU_CYCLE_1)
	s_add_i32 s6, s3, s6
	s_mul_i32 s6, s6, s4
	s_delay_alu instid0(SALU_CYCLE_1)
	s_sub_i32 s29, 1, s6
	s_mov_b32 s6, 0
.LBB375_7:
	s_load_b64 s[30:31], s[0:1], 0x38
	s_ashr_i32 s35, s5, 31
	s_and_not1_b32 vcc_lo, exec_lo, s6
	s_ashr_i32 s19, s19, 31
	s_cbranch_vccnz .LBB375_9
; %bb.8:
	s_mul_i32 s5, s13, s16
	s_delay_alu instid0(SALU_CYCLE_1) | instskip(NEXT) | instid1(SALU_CYCLE_1)
	s_add_i32 s5, s5, s28
	s_mul_i32 s4, s5, s4
	s_delay_alu instid0(SALU_CYCLE_1)
	s_add_i32 s29, s4, 1
.LBB375_9:
	s_clause 0x5
	s_load_b32 s16, s[0:1], 0x48
	s_load_b64 s[36:37], s[0:1], 0x28
	s_load_b128 s[20:23], s[0:1], 0x0
	s_load_b64 s[26:27], s[0:1], 0x10
	s_load_b32 s8, s[0:1], 0x98
	s_load_b128 s[4:7], s[0:1], 0x68
	s_xor_b32 s40, s35, s19
	s_mul_i32 s35, s2, s11
	s_add_i32 s38, s2, 1
	s_sub_i32 s42, s34, s35
	v_lshrrev_b32_e32 v16, 5, v0
	v_mov_b32_e32 v18, 0xff7fffff
	v_mbcnt_lo_u32_b32 v15, -1, 0
	s_mul_i32 s10, s3, s10
	s_delay_alu instid0(VALU_DEP_3)
	v_lshl_add_u32 v17, v16, 3, s33
	s_waitcnt lgkmcnt(0)
	s_mul_i32 s34, s14, s16
	s_sub_i32 s16, s42, s11
	s_ashr_i32 s35, s34, 31
	s_cmp_ge_u32 s42, s11
	s_cselect_b32 s2, s38, s2
	s_cselect_b32 s16, s16, s42
	s_add_i32 s38, s2, 1
	s_cmp_ge_u32 s16, s11
	s_cselect_b32 s2, s38, s2
	s_add_i32 s16, s15, 7
	s_lshl_b32 s42, s12, 6
	s_ashr_i32 s38, s16, 31
	v_or_b32_e32 v9, s42, v16
	s_lshr_b32 s38, s38, 29
	s_add_i32 s43, s42, 64
	s_add_i32 s16, s16, s38
	s_xor_b32 s44, s2, s40
	s_ashr_i32 s38, s16, 3
	v_ashrrev_i32_e32 v10, 31, v9
	s_min_i32 s16, s43, s38
	s_sub_i32 s40, s44, s40
	v_cmp_gt_i32_e64 s2, s16, v9
	s_delay_alu instid0(VALU_DEP_1)
	s_and_saveexec_b32 s43, s2
	s_cbranch_execz .LBB375_115
; %bb.10:
	s_load_b64 s[0:1], s[0:1], 0x20
	s_sub_i32 s44, s40, s17
	s_ashr_i32 s3, s10, 31
	v_bfe_u32 v19, v0, 2, 3
	v_cmp_eq_u32_e32 vcc_lo, 0, v1
	v_dual_mov_b32 v27, v9 :: v_dual_lshlrev_b32 v20, 1, v1
	s_delay_alu instid0(VALU_DEP_3) | instskip(SKIP_3) | instid1(VALU_DEP_4)
	v_dual_mov_b32 v23, 0xff7fffff :: v_dual_lshlrev_b32 v4, 2, v19
	v_lshlrev_b32_e32 v8, 4, v19
	v_dual_mov_b32 v18, 0xff7fffff :: v_dual_lshlrev_b32 v21, 4, v1
	v_subrev_nc_u32_e32 v5, s15, v19
	v_lshl_or_b32 v4, v16, 5, v4
	v_lshl_add_u32 v22, v16, 3, s33
	s_delay_alu instid0(VALU_DEP_3) | instskip(NEXT) | instid1(VALU_DEP_3)
	v_add_nc_u32_e32 v24, 1, v5
	v_add_nc_u32_e32 v25, 0x60, v4
	s_waitcnt lgkmcnt(0)
	s_add_u32 s48, s0, s10
	s_addc_u32 s1, s1, s3
	s_abs_i32 s45, s18
	s_lshl_b64 s[46:47], s[34:35], 2
	v_cvt_f32_u32_e32 v2, s45
	s_sub_i32 s3, 0, s45
	v_cmp_neq_f32_e64 s0, s41, 0
	s_delay_alu instid0(VALU_DEP_2) | instskip(SKIP_3) | instid1(VALU_DEP_2)
	v_rcp_iflag_f32_e32 v2, v2
	s_waitcnt_depctr 0xfff
	v_dual_mov_b32 v6, 0 :: v_dual_mul_f32 v3, 0x4f7ffffe, v2
	v_lshlrev_b64 v[1:2], 2, v[9:10]
	v_cvt_u32_f32_e32 v3, v3
	s_delay_alu instid0(VALU_DEP_1) | instskip(NEXT) | instid1(VALU_DEP_1)
	v_mul_lo_u32 v7, s3, v3
	v_mul_hi_u32 v4, v3, v7
	v_add_co_u32 v7, s3, s48, v8
	s_delay_alu instid0(VALU_DEP_1) | instskip(SKIP_3) | instid1(VALU_DEP_1)
	v_add_co_ci_u32_e64 v8, null, s1, 0, s3
	s_add_u32 s1, s30, s46
	s_addc_u32 s3, s31, s47
	v_add_co_u32 v11, s1, s1, v1
	v_add_co_ci_u32_e64 v12, s1, s3, v2, s1
	v_add_nc_u32_e32 v26, v3, v4
	s_mov_b32 s46, 0
	s_mov_b32 s47, s9
	s_branch .LBB375_13
.LBB375_11:                             ;   in Loop: Header=BB375_13 Depth=1
	s_or_b32 exec_lo, exec_lo, s48
.LBB375_12:                             ;   in Loop: Header=BB375_13 Depth=1
	s_delay_alu instid0(SALU_CYCLE_1) | instskip(SKIP_2) | instid1(VALU_DEP_1)
	s_or_b32 exec_lo, exec_lo, s3
	v_add_nc_u32_e32 v27, 4, v27
	v_add_co_u32 v11, s3, v11, 16
	v_add_co_ci_u32_e64 v12, s3, 0, v12, s3
	s_delay_alu instid0(VALU_DEP_3) | instskip(SKIP_2) | instid1(VALU_DEP_3)
	v_cmp_le_i32_e64 s1, s16, v27
	v_add_nc_u32_e32 v22, 32, v22
	v_add_nc_u32_e32 v25, 0x80, v25
	s_or_b32 s46, s1, s46
	s_delay_alu instid0(SALU_CYCLE_1)
	s_and_not1_b32 exec_lo, exec_lo, s46
	s_cbranch_execz .LBB375_114
.LBB375_13:                             ; =>This Inner Loop Header: Depth=1
	v_sub_nc_u32_e32 v1, 0, v22
	s_delay_alu instid0(VALU_DEP_1) | instskip(SKIP_1) | instid1(VALU_DEP_1)
	v_max_i32_e32 v1, v22, v1
	s_waitcnt lgkmcnt(0)
	v_mul_hi_u32 v2, v1, s25
	s_delay_alu instid0(VALU_DEP_1) | instskip(NEXT) | instid1(VALU_DEP_1)
	v_mul_lo_u32 v3, v2, s11
	v_sub_nc_u32_e32 v1, v1, v3
	v_add_nc_u32_e32 v3, 1, v2
	s_delay_alu instid0(VALU_DEP_2) | instskip(SKIP_1) | instid1(VALU_DEP_1)
	v_subrev_nc_u32_e32 v4, s11, v1
	v_cmp_le_u32_e64 s1, s11, v1
	v_cndmask_b32_e64 v2, v2, v3, s1
	s_delay_alu instid0(VALU_DEP_3) | instskip(SKIP_1) | instid1(VALU_DEP_3)
	v_cndmask_b32_e64 v1, v1, v4, s1
	v_ashrrev_i32_e32 v3, 31, v22
	v_add_nc_u32_e32 v4, 1, v2
	s_delay_alu instid0(VALU_DEP_3) | instskip(NEXT) | instid1(VALU_DEP_3)
	v_cmp_le_u32_e64 s1, s11, v1
	v_xor_b32_e32 v3, s19, v3
	s_delay_alu instid0(VALU_DEP_2) | instskip(NEXT) | instid1(VALU_DEP_1)
	v_cndmask_b32_e64 v1, v2, v4, s1
	v_xor_b32_e32 v1, v1, v3
	s_delay_alu instid0(VALU_DEP_1) | instskip(NEXT) | instid1(VALU_DEP_1)
	v_sub_nc_u32_e32 v1, v1, v3
	v_add_nc_u32_e32 v2, s29, v1
	v_cmp_ge_i32_e64 s3, s44, v1
	s_delay_alu instid0(VALU_DEP_2) | instskip(NEXT) | instid1(VALU_DEP_1)
	v_sub_nc_u32_e32 v3, 0, v2
	v_max_i32_e32 v3, v2, v3
	v_ashrrev_i32_e32 v2, 31, v2
	s_delay_alu instid0(VALU_DEP_2) | instskip(NEXT) | instid1(VALU_DEP_1)
	v_mul_hi_u32 v4, v3, v26
	v_mul_lo_u32 v4, v4, s45
	s_delay_alu instid0(VALU_DEP_1) | instskip(NEXT) | instid1(VALU_DEP_1)
	v_sub_nc_u32_e32 v3, v3, v4
	v_subrev_nc_u32_e32 v4, s45, v3
	v_cmp_le_u32_e64 s1, s45, v3
	s_delay_alu instid0(VALU_DEP_1) | instskip(NEXT) | instid1(VALU_DEP_1)
	v_cndmask_b32_e64 v3, v3, v4, s1
	v_subrev_nc_u32_e32 v4, s45, v3
	v_cmp_le_u32_e64 s1, s45, v3
	s_delay_alu instid0(VALU_DEP_1) | instskip(NEXT) | instid1(VALU_DEP_1)
	v_cndmask_b32_e64 v3, v3, v4, s1
	v_xor_b32_e32 v3, v3, v2
	s_delay_alu instid0(VALU_DEP_1) | instskip(NEXT) | instid1(VALU_DEP_1)
	v_sub_nc_u32_e32 v2, v3, v2
	v_cmp_ne_u32_e64 s1, 0, v2
	s_delay_alu instid0(VALU_DEP_1) | instskip(NEXT) | instid1(SALU_CYCLE_1)
	s_and_b32 s1, s1, s3
	s_and_b32 s48, vcc_lo, s1
	s_delay_alu instid0(SALU_CYCLE_1)
	s_and_saveexec_b32 s3, s48
	s_cbranch_execz .LBB375_15
; %bb.14:                               ;   in Loop: Header=BB375_13 Depth=1
	ds_store_b32 v25, v23
.LBB375_15:                             ;   in Loop: Header=BB375_13 Depth=1
	s_or_b32 exec_lo, exec_lo, s3
	s_xor_b32 s1, s1, -1
	s_delay_alu instid0(SALU_CYCLE_1)
	s_and_saveexec_b32 s3, s1
	s_cbranch_execz .LBB375_12
; %bb.16:                               ;   in Loop: Header=BB375_13 Depth=1
	global_load_b32 v3, v[11:12], off
	s_load_b32 s48, s[4:5], 0x0
	s_mov_b32 s49, exec_lo
	s_waitcnt vmcnt(0)
	v_mad_i64_i32 v[1:2], null, v3, s47, v[7:8]
	s_delay_alu instid0(VALU_DEP_1) | instskip(NEXT) | instid1(VALU_DEP_1)
	v_add_co_u32 v13, s1, v1, v20
	v_add_co_ci_u32_e64 v14, s1, 0, v2, s1
	ds_load_b128 v[1:4], v21
	global_load_u16 v5, v[13:14], off
	s_waitcnt vmcnt(0)
	v_and_b32_e32 v28, 0xff, v5
	v_and_b32_e32 v29, 0xffff, v5
	v_mov_b32_e32 v5, 0
	s_delay_alu instid0(VALU_DEP_3)
	v_cmpx_ne_u16_e32 0, v28
	s_cbranch_execz .LBB375_24
; %bb.17:                               ;   in Loop: Header=BB375_13 Depth=1
	s_delay_alu instid0(VALU_DEP_3) | instskip(NEXT) | instid1(VALU_DEP_1)
	v_and_b32_e32 v5, 0xff, v29
	v_cmp_ne_u16_e64 s1, 0x80, v5
	v_bfrev_b32_e32 v5, 1
	s_delay_alu instid0(VALU_DEP_2)
	s_and_saveexec_b32 s50, s1
	s_cbranch_execz .LBB375_23
; %bb.18:                               ;   in Loop: Header=BB375_13 Depth=1
	v_and_b32_e32 v30, 0x7f, v29
	v_mov_b32_e32 v5, 0x7f800001
	s_mov_b32 s51, exec_lo
	s_delay_alu instid0(VALU_DEP_2)
	v_cmpx_ne_u32_e32 0x7f, v30
	s_cbranch_execz .LBB375_22
; %bb.19:                               ;   in Loop: Header=BB375_13 Depth=1
	v_and_b32_e32 v5, 7, v29
	v_lshrrev_b32_e32 v28, 3, v30
	s_mov_b32 s52, exec_lo
	v_cmpx_gt_u32_e32 8, v30
; %bb.20:                               ;   in Loop: Header=BB375_13 Depth=1
	s_delay_alu instid0(VALU_DEP_3) | instskip(NEXT) | instid1(VALU_DEP_1)
	v_clz_i32_u32_e32 v28, v5
	v_min_u32_e32 v28, 32, v28
	s_delay_alu instid0(VALU_DEP_1) | instskip(SKIP_1) | instid1(VALU_DEP_2)
	v_subrev_nc_u32_e32 v30, 28, v28
	v_sub_nc_u32_e32 v28, 29, v28
	v_lshlrev_b64 v[30:31], v30, v[5:6]
	s_delay_alu instid0(VALU_DEP_1)
	v_and_b32_e32 v5, 7, v30
; %bb.21:                               ;   in Loop: Header=BB375_13 Depth=1
	s_or_b32 exec_lo, exec_lo, s52
	v_lshlrev_b32_e32 v30, 24, v29
	s_delay_alu instid0(VALU_DEP_2) | instskip(SKIP_1) | instid1(VALU_DEP_3)
	v_lshlrev_b32_e32 v5, 20, v5
	v_lshl_add_u32 v28, v28, 23, 0x3c000000
	v_and_b32_e32 v30, 0x80000000, v30
	s_delay_alu instid0(VALU_DEP_1)
	v_or3_b32 v5, v5, v30, v28
.LBB375_22:                             ;   in Loop: Header=BB375_13 Depth=1
	s_or_b32 exec_lo, exec_lo, s51
.LBB375_23:                             ;   in Loop: Header=BB375_13 Depth=1
	s_delay_alu instid0(SALU_CYCLE_1)
	s_or_b32 exec_lo, exec_lo, s50
.LBB375_24:                             ;   in Loop: Header=BB375_13 Depth=1
	s_delay_alu instid0(SALU_CYCLE_1) | instskip(SKIP_2) | instid1(VALU_DEP_1)
	s_or_b32 exec_lo, exec_lo, s49
	s_waitcnt lgkmcnt(0)
	v_mul_f32_e32 v5, s48, v5
	v_and_b32_e32 v28, 0x7f800000, v5
	s_delay_alu instid0(VALU_DEP_1) | instskip(NEXT) | instid1(VALU_DEP_1)
	v_cmp_ne_u32_e64 s1, 0x7f800000, v28
                                        ; implicit-def: $vgpr28
	s_and_saveexec_b32 s49, s1
	s_delay_alu instid0(SALU_CYCLE_1)
	s_xor_b32 s1, exec_lo, s49
; %bb.25:                               ;   in Loop: Header=BB375_13 Depth=1
	v_bfe_u32 v28, v5, 16, 1
	s_delay_alu instid0(VALU_DEP_1)
	v_add3_u32 v28, v5, v28, 0x7fff
                                        ; implicit-def: $vgpr5
; %bb.26:                               ;   in Loop: Header=BB375_13 Depth=1
	s_and_not1_saveexec_b32 s49, s1
; %bb.27:                               ;   in Loop: Header=BB375_13 Depth=1
	v_and_b32_e32 v28, 0xffff, v5
	v_or_b32_e32 v30, 0x10000, v5
	s_delay_alu instid0(VALU_DEP_2) | instskip(NEXT) | instid1(VALU_DEP_1)
	v_cmp_eq_u32_e64 s1, 0, v28
	v_cndmask_b32_e64 v28, v30, v5, s1
; %bb.28:                               ;   in Loop: Header=BB375_13 Depth=1
	s_or_b32 exec_lo, exec_lo, s49
	v_lshrrev_b16 v30, 8, v29
	v_mov_b32_e32 v5, 0
	s_mov_b32 s49, exec_lo
	s_delay_alu instid0(VALU_DEP_2)
	v_cmpx_ne_u16_e32 0, v30
	s_cbranch_execz .LBB375_36
; %bb.29:                               ;   in Loop: Header=BB375_13 Depth=1
	v_bfrev_b32_e32 v5, 1
	s_mov_b32 s50, exec_lo
	v_cmpx_ne_u16_e32 0x80, v30
	s_cbranch_execz .LBB375_35
; %bb.30:                               ;   in Loop: Header=BB375_13 Depth=1
	v_and_b32_e32 v30, 0xffff, v30
	v_mov_b32_e32 v5, 0x7f800001
	s_mov_b32 s51, exec_lo
	s_delay_alu instid0(VALU_DEP_2) | instskip(NEXT) | instid1(VALU_DEP_1)
	v_and_b32_e32 v31, 0x7f, v30
	v_cmpx_ne_u32_e32 0x7f, v31
	s_cbranch_execz .LBB375_34
; %bb.31:                               ;   in Loop: Header=BB375_13 Depth=1
	v_and_b32_e32 v5, 7, v30
	v_lshrrev_b32_e32 v30, 3, v31
	s_mov_b32 s52, exec_lo
	v_cmpx_gt_u32_e32 8, v31
; %bb.32:                               ;   in Loop: Header=BB375_13 Depth=1
	s_delay_alu instid0(VALU_DEP_3) | instskip(NEXT) | instid1(VALU_DEP_1)
	v_clz_i32_u32_e32 v30, v5
	v_min_u32_e32 v30, 32, v30
	s_delay_alu instid0(VALU_DEP_1) | instskip(SKIP_1) | instid1(VALU_DEP_2)
	v_subrev_nc_u32_e32 v31, 28, v30
	v_sub_nc_u32_e32 v30, 29, v30
	v_lshlrev_b64 v[31:32], v31, v[5:6]
	s_delay_alu instid0(VALU_DEP_1)
	v_and_b32_e32 v5, 7, v31
; %bb.33:                               ;   in Loop: Header=BB375_13 Depth=1
	s_or_b32 exec_lo, exec_lo, s52
	v_lshlrev_b32_e32 v29, 16, v29
	s_delay_alu instid0(VALU_DEP_2) | instskip(SKIP_1) | instid1(VALU_DEP_3)
	v_lshlrev_b32_e32 v5, 20, v5
	v_lshl_add_u32 v30, v30, 23, 0x3c000000
	v_and_b32_e32 v29, 0x80000000, v29
	s_delay_alu instid0(VALU_DEP_1)
	v_or3_b32 v5, v5, v29, v30
.LBB375_34:                             ;   in Loop: Header=BB375_13 Depth=1
	s_or_b32 exec_lo, exec_lo, s51
.LBB375_35:                             ;   in Loop: Header=BB375_13 Depth=1
	s_delay_alu instid0(SALU_CYCLE_1)
	s_or_b32 exec_lo, exec_lo, s50
.LBB375_36:                             ;   in Loop: Header=BB375_13 Depth=1
	s_delay_alu instid0(SALU_CYCLE_1) | instskip(NEXT) | instid1(VALU_DEP_1)
	s_or_b32 exec_lo, exec_lo, s49
	v_mul_f32_e32 v5, s48, v5
	s_delay_alu instid0(VALU_DEP_1) | instskip(NEXT) | instid1(VALU_DEP_1)
	v_and_b32_e32 v29, 0x7f800000, v5
	v_cmp_ne_u32_e64 s1, 0x7f800000, v29
                                        ; implicit-def: $vgpr29
	s_delay_alu instid0(VALU_DEP_1) | instskip(NEXT) | instid1(SALU_CYCLE_1)
	s_and_saveexec_b32 s49, s1
	s_xor_b32 s1, exec_lo, s49
; %bb.37:                               ;   in Loop: Header=BB375_13 Depth=1
	v_bfe_u32 v29, v5, 16, 1
	s_delay_alu instid0(VALU_DEP_1)
	v_add3_u32 v29, v5, v29, 0x7fff
                                        ; implicit-def: $vgpr5
; %bb.38:                               ;   in Loop: Header=BB375_13 Depth=1
	s_and_not1_saveexec_b32 s49, s1
; %bb.39:                               ;   in Loop: Header=BB375_13 Depth=1
	v_and_b32_e32 v29, 0xffff, v5
	v_or_b32_e32 v30, 0x10000, v5
	s_delay_alu instid0(VALU_DEP_2) | instskip(NEXT) | instid1(VALU_DEP_1)
	v_cmp_eq_u32_e64 s1, 0, v29
	v_cndmask_b32_e64 v29, v30, v5, s1
; %bb.40:                               ;   in Loop: Header=BB375_13 Depth=1
	s_or_b32 exec_lo, exec_lo, s49
	global_load_u16 v5, v[13:14], off offset:8
	s_mov_b32 s49, exec_lo
	s_waitcnt vmcnt(0)
	v_and_b32_e32 v30, 0xff, v5
	v_and_b32_e32 v31, 0xffff, v5
	v_mov_b32_e32 v5, 0
	s_delay_alu instid0(VALU_DEP_3)
	v_cmpx_ne_u16_e32 0, v30
	s_cbranch_execz .LBB375_48
; %bb.41:                               ;   in Loop: Header=BB375_13 Depth=1
	s_delay_alu instid0(VALU_DEP_3) | instskip(NEXT) | instid1(VALU_DEP_1)
	v_and_b32_e32 v5, 0xff, v31
	v_cmp_ne_u16_e64 s1, 0x80, v5
	v_bfrev_b32_e32 v5, 1
	s_delay_alu instid0(VALU_DEP_2)
	s_and_saveexec_b32 s50, s1
	s_cbranch_execz .LBB375_47
; %bb.42:                               ;   in Loop: Header=BB375_13 Depth=1
	v_and_b32_e32 v32, 0x7f, v31
	v_mov_b32_e32 v5, 0x7f800001
	s_mov_b32 s51, exec_lo
	s_delay_alu instid0(VALU_DEP_2)
	v_cmpx_ne_u32_e32 0x7f, v32
	s_cbranch_execz .LBB375_46
; %bb.43:                               ;   in Loop: Header=BB375_13 Depth=1
	v_and_b32_e32 v5, 7, v31
	v_lshrrev_b32_e32 v30, 3, v32
	s_mov_b32 s52, exec_lo
	v_cmpx_gt_u32_e32 8, v32
; %bb.44:                               ;   in Loop: Header=BB375_13 Depth=1
	s_delay_alu instid0(VALU_DEP_3) | instskip(NEXT) | instid1(VALU_DEP_1)
	v_clz_i32_u32_e32 v30, v5
	v_min_u32_e32 v30, 32, v30
	s_delay_alu instid0(VALU_DEP_1) | instskip(SKIP_1) | instid1(VALU_DEP_2)
	v_subrev_nc_u32_e32 v32, 28, v30
	v_sub_nc_u32_e32 v30, 29, v30
	v_lshlrev_b64 v[32:33], v32, v[5:6]
	s_delay_alu instid0(VALU_DEP_1)
	v_and_b32_e32 v5, 7, v32
; %bb.45:                               ;   in Loop: Header=BB375_13 Depth=1
	s_or_b32 exec_lo, exec_lo, s52
	v_lshlrev_b32_e32 v32, 24, v31
	s_delay_alu instid0(VALU_DEP_2) | instskip(SKIP_1) | instid1(VALU_DEP_3)
	v_lshlrev_b32_e32 v5, 20, v5
	v_lshl_add_u32 v30, v30, 23, 0x3c000000
	v_and_b32_e32 v32, 0x80000000, v32
	s_delay_alu instid0(VALU_DEP_1)
	v_or3_b32 v5, v5, v32, v30
.LBB375_46:                             ;   in Loop: Header=BB375_13 Depth=1
	s_or_b32 exec_lo, exec_lo, s51
.LBB375_47:                             ;   in Loop: Header=BB375_13 Depth=1
	s_delay_alu instid0(SALU_CYCLE_1)
	s_or_b32 exec_lo, exec_lo, s50
.LBB375_48:                             ;   in Loop: Header=BB375_13 Depth=1
	s_delay_alu instid0(SALU_CYCLE_1) | instskip(NEXT) | instid1(VALU_DEP_1)
	s_or_b32 exec_lo, exec_lo, s49
	v_mul_f32_e32 v5, s48, v5
	s_delay_alu instid0(VALU_DEP_1) | instskip(NEXT) | instid1(VALU_DEP_1)
	v_and_b32_e32 v30, 0x7f800000, v5
	v_cmp_ne_u32_e64 s1, 0x7f800000, v30
                                        ; implicit-def: $vgpr30
	s_delay_alu instid0(VALU_DEP_1) | instskip(NEXT) | instid1(SALU_CYCLE_1)
	s_and_saveexec_b32 s49, s1
	s_xor_b32 s1, exec_lo, s49
; %bb.49:                               ;   in Loop: Header=BB375_13 Depth=1
	v_bfe_u32 v30, v5, 16, 1
	s_delay_alu instid0(VALU_DEP_1)
	v_add3_u32 v30, v5, v30, 0x7fff
                                        ; implicit-def: $vgpr5
; %bb.50:                               ;   in Loop: Header=BB375_13 Depth=1
	s_and_not1_saveexec_b32 s49, s1
; %bb.51:                               ;   in Loop: Header=BB375_13 Depth=1
	v_and_b32_e32 v30, 0xffff, v5
	v_or_b32_e32 v32, 0x10000, v5
	s_delay_alu instid0(VALU_DEP_2) | instskip(NEXT) | instid1(VALU_DEP_1)
	v_cmp_eq_u32_e64 s1, 0, v30
	v_cndmask_b32_e64 v30, v32, v5, s1
; %bb.52:                               ;   in Loop: Header=BB375_13 Depth=1
	s_or_b32 exec_lo, exec_lo, s49
	v_lshrrev_b16 v32, 8, v31
	v_mov_b32_e32 v5, 0
	s_mov_b32 s49, exec_lo
	s_delay_alu instid0(VALU_DEP_2)
	v_cmpx_ne_u16_e32 0, v32
	s_cbranch_execz .LBB375_60
; %bb.53:                               ;   in Loop: Header=BB375_13 Depth=1
	v_bfrev_b32_e32 v5, 1
	s_mov_b32 s50, exec_lo
	v_cmpx_ne_u16_e32 0x80, v32
	s_cbranch_execz .LBB375_59
; %bb.54:                               ;   in Loop: Header=BB375_13 Depth=1
	v_and_b32_e32 v32, 0xffff, v32
	v_mov_b32_e32 v5, 0x7f800001
	s_mov_b32 s51, exec_lo
	s_delay_alu instid0(VALU_DEP_2) | instskip(NEXT) | instid1(VALU_DEP_1)
	v_and_b32_e32 v33, 0x7f, v32
	v_cmpx_ne_u32_e32 0x7f, v33
	s_cbranch_execz .LBB375_58
; %bb.55:                               ;   in Loop: Header=BB375_13 Depth=1
	v_and_b32_e32 v5, 7, v32
	v_lshrrev_b32_e32 v32, 3, v33
	s_mov_b32 s52, exec_lo
	v_cmpx_gt_u32_e32 8, v33
; %bb.56:                               ;   in Loop: Header=BB375_13 Depth=1
	s_delay_alu instid0(VALU_DEP_3) | instskip(NEXT) | instid1(VALU_DEP_1)
	v_clz_i32_u32_e32 v32, v5
	v_min_u32_e32 v32, 32, v32
	s_delay_alu instid0(VALU_DEP_1) | instskip(SKIP_1) | instid1(VALU_DEP_2)
	v_subrev_nc_u32_e32 v33, 28, v32
	v_sub_nc_u32_e32 v32, 29, v32
	v_lshlrev_b64 v[33:34], v33, v[5:6]
	s_delay_alu instid0(VALU_DEP_1)
	v_and_b32_e32 v5, 7, v33
; %bb.57:                               ;   in Loop: Header=BB375_13 Depth=1
	s_or_b32 exec_lo, exec_lo, s52
	v_lshlrev_b32_e32 v31, 16, v31
	s_delay_alu instid0(VALU_DEP_2) | instskip(SKIP_1) | instid1(VALU_DEP_3)
	v_lshlrev_b32_e32 v5, 20, v5
	v_lshl_add_u32 v32, v32, 23, 0x3c000000
	v_and_b32_e32 v31, 0x80000000, v31
	s_delay_alu instid0(VALU_DEP_1)
	v_or3_b32 v5, v5, v31, v32
.LBB375_58:                             ;   in Loop: Header=BB375_13 Depth=1
	s_or_b32 exec_lo, exec_lo, s51
.LBB375_59:                             ;   in Loop: Header=BB375_13 Depth=1
	s_delay_alu instid0(SALU_CYCLE_1)
	s_or_b32 exec_lo, exec_lo, s50
.LBB375_60:                             ;   in Loop: Header=BB375_13 Depth=1
	s_delay_alu instid0(SALU_CYCLE_1) | instskip(NEXT) | instid1(VALU_DEP_1)
	s_or_b32 exec_lo, exec_lo, s49
	v_mul_f32_e32 v5, s48, v5
	s_delay_alu instid0(VALU_DEP_1) | instskip(NEXT) | instid1(VALU_DEP_1)
	v_and_b32_e32 v31, 0x7f800000, v5
	v_cmp_ne_u32_e64 s1, 0x7f800000, v31
                                        ; implicit-def: $vgpr31
	s_delay_alu instid0(VALU_DEP_1) | instskip(NEXT) | instid1(SALU_CYCLE_1)
	s_and_saveexec_b32 s49, s1
	s_xor_b32 s1, exec_lo, s49
; %bb.61:                               ;   in Loop: Header=BB375_13 Depth=1
	v_bfe_u32 v31, v5, 16, 1
	s_delay_alu instid0(VALU_DEP_1)
	v_add3_u32 v31, v5, v31, 0x7fff
                                        ; implicit-def: $vgpr5
; %bb.62:                               ;   in Loop: Header=BB375_13 Depth=1
	s_and_not1_saveexec_b32 s49, s1
; %bb.63:                               ;   in Loop: Header=BB375_13 Depth=1
	v_and_b32_e32 v31, 0xffff, v5
	v_or_b32_e32 v32, 0x10000, v5
	s_delay_alu instid0(VALU_DEP_2) | instskip(NEXT) | instid1(VALU_DEP_1)
	v_cmp_eq_u32_e64 s1, 0, v31
	v_cndmask_b32_e64 v31, v32, v5, s1
; %bb.64:                               ;   in Loop: Header=BB375_13 Depth=1
	s_or_b32 exec_lo, exec_lo, s49
	global_load_u16 v5, v[13:14], off offset:128
	s_mov_b32 s49, exec_lo
	s_waitcnt vmcnt(0)
	v_and_b32_e32 v32, 0xff, v5
	v_and_b32_e32 v33, 0xffff, v5
	v_mov_b32_e32 v5, 0
	s_delay_alu instid0(VALU_DEP_3)
	v_cmpx_ne_u16_e32 0, v32
	s_cbranch_execz .LBB375_72
; %bb.65:                               ;   in Loop: Header=BB375_13 Depth=1
	s_delay_alu instid0(VALU_DEP_3) | instskip(NEXT) | instid1(VALU_DEP_1)
	v_and_b32_e32 v5, 0xff, v33
	v_cmp_ne_u16_e64 s1, 0x80, v5
	v_bfrev_b32_e32 v5, 1
	s_delay_alu instid0(VALU_DEP_2)
	s_and_saveexec_b32 s50, s1
	s_cbranch_execz .LBB375_71
; %bb.66:                               ;   in Loop: Header=BB375_13 Depth=1
	v_and_b32_e32 v34, 0x7f, v33
	v_mov_b32_e32 v5, 0x7f800001
	s_mov_b32 s51, exec_lo
	s_delay_alu instid0(VALU_DEP_2)
	v_cmpx_ne_u32_e32 0x7f, v34
	s_cbranch_execz .LBB375_70
; %bb.67:                               ;   in Loop: Header=BB375_13 Depth=1
	v_and_b32_e32 v5, 7, v33
	v_lshrrev_b32_e32 v32, 3, v34
	s_mov_b32 s52, exec_lo
	v_cmpx_gt_u32_e32 8, v34
; %bb.68:                               ;   in Loop: Header=BB375_13 Depth=1
	s_delay_alu instid0(VALU_DEP_3) | instskip(NEXT) | instid1(VALU_DEP_1)
	v_clz_i32_u32_e32 v32, v5
	v_min_u32_e32 v32, 32, v32
	s_delay_alu instid0(VALU_DEP_1) | instskip(SKIP_1) | instid1(VALU_DEP_2)
	v_subrev_nc_u32_e32 v34, 28, v32
	v_sub_nc_u32_e32 v32, 29, v32
	v_lshlrev_b64 v[34:35], v34, v[5:6]
	s_delay_alu instid0(VALU_DEP_1)
	v_and_b32_e32 v5, 7, v34
; %bb.69:                               ;   in Loop: Header=BB375_13 Depth=1
	s_or_b32 exec_lo, exec_lo, s52
	v_lshlrev_b32_e32 v34, 24, v33
	s_delay_alu instid0(VALU_DEP_2) | instskip(SKIP_1) | instid1(VALU_DEP_3)
	v_lshlrev_b32_e32 v5, 20, v5
	v_lshl_add_u32 v32, v32, 23, 0x3c000000
	v_and_b32_e32 v34, 0x80000000, v34
	s_delay_alu instid0(VALU_DEP_1)
	v_or3_b32 v5, v5, v34, v32
.LBB375_70:                             ;   in Loop: Header=BB375_13 Depth=1
	s_or_b32 exec_lo, exec_lo, s51
.LBB375_71:                             ;   in Loop: Header=BB375_13 Depth=1
	s_delay_alu instid0(SALU_CYCLE_1)
	s_or_b32 exec_lo, exec_lo, s50
.LBB375_72:                             ;   in Loop: Header=BB375_13 Depth=1
	s_delay_alu instid0(SALU_CYCLE_1) | instskip(NEXT) | instid1(VALU_DEP_1)
	s_or_b32 exec_lo, exec_lo, s49
	v_mul_f32_e32 v5, s48, v5
	s_delay_alu instid0(VALU_DEP_1) | instskip(NEXT) | instid1(VALU_DEP_1)
	v_and_b32_e32 v32, 0x7f800000, v5
	v_cmp_ne_u32_e64 s1, 0x7f800000, v32
                                        ; implicit-def: $vgpr32
	s_delay_alu instid0(VALU_DEP_1) | instskip(NEXT) | instid1(SALU_CYCLE_1)
	s_and_saveexec_b32 s49, s1
	s_xor_b32 s1, exec_lo, s49
; %bb.73:                               ;   in Loop: Header=BB375_13 Depth=1
	v_bfe_u32 v32, v5, 16, 1
	s_delay_alu instid0(VALU_DEP_1)
	v_add3_u32 v32, v5, v32, 0x7fff
                                        ; implicit-def: $vgpr5
; %bb.74:                               ;   in Loop: Header=BB375_13 Depth=1
	s_and_not1_saveexec_b32 s49, s1
; %bb.75:                               ;   in Loop: Header=BB375_13 Depth=1
	v_and_b32_e32 v32, 0xffff, v5
	v_or_b32_e32 v34, 0x10000, v5
	s_delay_alu instid0(VALU_DEP_2) | instskip(NEXT) | instid1(VALU_DEP_1)
	v_cmp_eq_u32_e64 s1, 0, v32
	v_cndmask_b32_e64 v32, v34, v5, s1
; %bb.76:                               ;   in Loop: Header=BB375_13 Depth=1
	s_or_b32 exec_lo, exec_lo, s49
	v_lshrrev_b16 v34, 8, v33
	v_mov_b32_e32 v5, 0
	s_mov_b32 s49, exec_lo
	s_delay_alu instid0(VALU_DEP_2)
	v_cmpx_ne_u16_e32 0, v34
	s_cbranch_execz .LBB375_84
; %bb.77:                               ;   in Loop: Header=BB375_13 Depth=1
	v_bfrev_b32_e32 v5, 1
	s_mov_b32 s50, exec_lo
	v_cmpx_ne_u16_e32 0x80, v34
	s_cbranch_execz .LBB375_83
; %bb.78:                               ;   in Loop: Header=BB375_13 Depth=1
	v_and_b32_e32 v34, 0xffff, v34
	v_mov_b32_e32 v5, 0x7f800001
	s_mov_b32 s51, exec_lo
	s_delay_alu instid0(VALU_DEP_2) | instskip(NEXT) | instid1(VALU_DEP_1)
	v_and_b32_e32 v35, 0x7f, v34
	v_cmpx_ne_u32_e32 0x7f, v35
	s_cbranch_execz .LBB375_82
; %bb.79:                               ;   in Loop: Header=BB375_13 Depth=1
	v_and_b32_e32 v5, 7, v34
	v_lshrrev_b32_e32 v34, 3, v35
	s_mov_b32 s52, exec_lo
	v_cmpx_gt_u32_e32 8, v35
; %bb.80:                               ;   in Loop: Header=BB375_13 Depth=1
	s_delay_alu instid0(VALU_DEP_3) | instskip(NEXT) | instid1(VALU_DEP_1)
	v_clz_i32_u32_e32 v34, v5
	v_min_u32_e32 v34, 32, v34
	s_delay_alu instid0(VALU_DEP_1) | instskip(SKIP_1) | instid1(VALU_DEP_2)
	v_subrev_nc_u32_e32 v35, 28, v34
	v_sub_nc_u32_e32 v34, 29, v34
	v_lshlrev_b64 v[35:36], v35, v[5:6]
	s_delay_alu instid0(VALU_DEP_1)
	v_and_b32_e32 v5, 7, v35
; %bb.81:                               ;   in Loop: Header=BB375_13 Depth=1
	s_or_b32 exec_lo, exec_lo, s52
	v_lshlrev_b32_e32 v33, 16, v33
	s_delay_alu instid0(VALU_DEP_2) | instskip(SKIP_1) | instid1(VALU_DEP_3)
	v_lshlrev_b32_e32 v5, 20, v5
	v_lshl_add_u32 v34, v34, 23, 0x3c000000
	v_and_b32_e32 v33, 0x80000000, v33
	s_delay_alu instid0(VALU_DEP_1)
	v_or3_b32 v5, v5, v33, v34
.LBB375_82:                             ;   in Loop: Header=BB375_13 Depth=1
	s_or_b32 exec_lo, exec_lo, s51
.LBB375_83:                             ;   in Loop: Header=BB375_13 Depth=1
	s_delay_alu instid0(SALU_CYCLE_1)
	s_or_b32 exec_lo, exec_lo, s50
.LBB375_84:                             ;   in Loop: Header=BB375_13 Depth=1
	s_delay_alu instid0(SALU_CYCLE_1) | instskip(NEXT) | instid1(VALU_DEP_1)
	s_or_b32 exec_lo, exec_lo, s49
	v_mul_f32_e32 v5, s48, v5
	s_delay_alu instid0(VALU_DEP_1) | instskip(NEXT) | instid1(VALU_DEP_1)
	v_and_b32_e32 v33, 0x7f800000, v5
	v_cmp_ne_u32_e64 s1, 0x7f800000, v33
                                        ; implicit-def: $vgpr33
	s_delay_alu instid0(VALU_DEP_1) | instskip(NEXT) | instid1(SALU_CYCLE_1)
	s_and_saveexec_b32 s49, s1
	s_xor_b32 s1, exec_lo, s49
; %bb.85:                               ;   in Loop: Header=BB375_13 Depth=1
	v_bfe_u32 v33, v5, 16, 1
	s_delay_alu instid0(VALU_DEP_1)
	v_add3_u32 v33, v5, v33, 0x7fff
                                        ; implicit-def: $vgpr5
; %bb.86:                               ;   in Loop: Header=BB375_13 Depth=1
	s_and_not1_saveexec_b32 s49, s1
; %bb.87:                               ;   in Loop: Header=BB375_13 Depth=1
	v_and_b32_e32 v33, 0xffff, v5
	v_or_b32_e32 v34, 0x10000, v5
	s_delay_alu instid0(VALU_DEP_2) | instskip(NEXT) | instid1(VALU_DEP_1)
	v_cmp_eq_u32_e64 s1, 0, v33
	v_cndmask_b32_e64 v33, v34, v5, s1
; %bb.88:                               ;   in Loop: Header=BB375_13 Depth=1
	s_or_b32 exec_lo, exec_lo, s49
	global_load_u16 v5, v[13:14], off offset:136
	s_mov_b32 s49, exec_lo
	s_waitcnt vmcnt(0)
	v_and_b32_e32 v14, 0xff, v5
	v_and_b32_e32 v13, 0xffff, v5
	v_mov_b32_e32 v5, 0
	s_delay_alu instid0(VALU_DEP_3)
	v_cmpx_ne_u16_e32 0, v14
	s_cbranch_execz .LBB375_96
; %bb.89:                               ;   in Loop: Header=BB375_13 Depth=1
	s_delay_alu instid0(VALU_DEP_3) | instskip(NEXT) | instid1(VALU_DEP_1)
	v_and_b32_e32 v5, 0xff, v13
	v_cmp_ne_u16_e64 s1, 0x80, v5
	v_bfrev_b32_e32 v5, 1
	s_delay_alu instid0(VALU_DEP_2)
	s_and_saveexec_b32 s50, s1
	s_cbranch_execz .LBB375_95
; %bb.90:                               ;   in Loop: Header=BB375_13 Depth=1
	v_and_b32_e32 v34, 0x7f, v13
	v_mov_b32_e32 v5, 0x7f800001
	s_mov_b32 s51, exec_lo
	s_delay_alu instid0(VALU_DEP_2)
	v_cmpx_ne_u32_e32 0x7f, v34
	s_cbranch_execz .LBB375_94
; %bb.91:                               ;   in Loop: Header=BB375_13 Depth=1
	v_and_b32_e32 v5, 7, v13
	v_lshrrev_b32_e32 v14, 3, v34
	s_mov_b32 s52, exec_lo
	v_cmpx_gt_u32_e32 8, v34
; %bb.92:                               ;   in Loop: Header=BB375_13 Depth=1
	s_delay_alu instid0(VALU_DEP_3) | instskip(NEXT) | instid1(VALU_DEP_1)
	v_clz_i32_u32_e32 v14, v5
	v_min_u32_e32 v14, 32, v14
	s_delay_alu instid0(VALU_DEP_1) | instskip(SKIP_1) | instid1(VALU_DEP_2)
	v_subrev_nc_u32_e32 v34, 28, v14
	v_sub_nc_u32_e32 v14, 29, v14
	v_lshlrev_b64 v[34:35], v34, v[5:6]
	s_delay_alu instid0(VALU_DEP_1)
	v_and_b32_e32 v5, 7, v34
; %bb.93:                               ;   in Loop: Header=BB375_13 Depth=1
	s_or_b32 exec_lo, exec_lo, s52
	v_lshlrev_b32_e32 v34, 24, v13
	s_delay_alu instid0(VALU_DEP_2) | instskip(SKIP_1) | instid1(VALU_DEP_3)
	v_lshlrev_b32_e32 v5, 20, v5
	v_lshl_add_u32 v14, v14, 23, 0x3c000000
	v_and_b32_e32 v34, 0x80000000, v34
	s_delay_alu instid0(VALU_DEP_1)
	v_or3_b32 v5, v5, v34, v14
.LBB375_94:                             ;   in Loop: Header=BB375_13 Depth=1
	s_or_b32 exec_lo, exec_lo, s51
.LBB375_95:                             ;   in Loop: Header=BB375_13 Depth=1
	s_delay_alu instid0(SALU_CYCLE_1)
	s_or_b32 exec_lo, exec_lo, s50
.LBB375_96:                             ;   in Loop: Header=BB375_13 Depth=1
	s_delay_alu instid0(SALU_CYCLE_1) | instskip(NEXT) | instid1(VALU_DEP_1)
	s_or_b32 exec_lo, exec_lo, s49
	v_mul_f32_e32 v5, s48, v5
	s_delay_alu instid0(VALU_DEP_1) | instskip(NEXT) | instid1(VALU_DEP_1)
	v_and_b32_e32 v14, 0x7f800000, v5
	v_cmp_ne_u32_e64 s1, 0x7f800000, v14
                                        ; implicit-def: $vgpr14
	s_delay_alu instid0(VALU_DEP_1) | instskip(NEXT) | instid1(SALU_CYCLE_1)
	s_and_saveexec_b32 s49, s1
	s_xor_b32 s1, exec_lo, s49
; %bb.97:                               ;   in Loop: Header=BB375_13 Depth=1
	v_bfe_u32 v14, v5, 16, 1
	s_delay_alu instid0(VALU_DEP_1)
	v_add3_u32 v14, v5, v14, 0x7fff
                                        ; implicit-def: $vgpr5
; %bb.98:                               ;   in Loop: Header=BB375_13 Depth=1
	s_and_not1_saveexec_b32 s49, s1
; %bb.99:                               ;   in Loop: Header=BB375_13 Depth=1
	v_and_b32_e32 v14, 0xffff, v5
	v_or_b32_e32 v34, 0x10000, v5
	s_delay_alu instid0(VALU_DEP_2) | instskip(NEXT) | instid1(VALU_DEP_1)
	v_cmp_eq_u32_e64 s1, 0, v14
	v_cndmask_b32_e64 v14, v34, v5, s1
; %bb.100:                              ;   in Loop: Header=BB375_13 Depth=1
	s_or_b32 exec_lo, exec_lo, s49
	v_lshrrev_b16 v34, 8, v13
	v_mov_b32_e32 v5, 0
	s_mov_b32 s49, exec_lo
	s_delay_alu instid0(VALU_DEP_2)
	v_cmpx_ne_u16_e32 0, v34
	s_cbranch_execz .LBB375_108
; %bb.101:                              ;   in Loop: Header=BB375_13 Depth=1
	v_bfrev_b32_e32 v5, 1
	s_mov_b32 s50, exec_lo
	v_cmpx_ne_u16_e32 0x80, v34
	s_cbranch_execz .LBB375_107
; %bb.102:                              ;   in Loop: Header=BB375_13 Depth=1
	v_and_b32_e32 v34, 0xffff, v34
	v_mov_b32_e32 v5, 0x7f800001
	s_mov_b32 s51, exec_lo
	s_delay_alu instid0(VALU_DEP_2) | instskip(NEXT) | instid1(VALU_DEP_1)
	v_and_b32_e32 v35, 0x7f, v34
	v_cmpx_ne_u32_e32 0x7f, v35
	s_cbranch_execz .LBB375_106
; %bb.103:                              ;   in Loop: Header=BB375_13 Depth=1
	v_and_b32_e32 v5, 7, v34
	v_lshrrev_b32_e32 v34, 3, v35
	s_mov_b32 s52, exec_lo
	v_cmpx_gt_u32_e32 8, v35
; %bb.104:                              ;   in Loop: Header=BB375_13 Depth=1
	s_delay_alu instid0(VALU_DEP_3) | instskip(NEXT) | instid1(VALU_DEP_1)
	v_clz_i32_u32_e32 v34, v5
	v_min_u32_e32 v34, 32, v34
	s_delay_alu instid0(VALU_DEP_1) | instskip(SKIP_1) | instid1(VALU_DEP_2)
	v_subrev_nc_u32_e32 v35, 28, v34
	v_sub_nc_u32_e32 v34, 29, v34
	v_lshlrev_b64 v[35:36], v35, v[5:6]
	s_delay_alu instid0(VALU_DEP_1)
	v_and_b32_e32 v5, 7, v35
; %bb.105:                              ;   in Loop: Header=BB375_13 Depth=1
	s_or_b32 exec_lo, exec_lo, s52
	v_lshlrev_b32_e32 v13, 16, v13
	s_delay_alu instid0(VALU_DEP_2) | instskip(SKIP_1) | instid1(VALU_DEP_3)
	v_lshlrev_b32_e32 v5, 20, v5
	v_lshl_add_u32 v34, v34, 23, 0x3c000000
	v_and_b32_e32 v13, 0x80000000, v13
	s_delay_alu instid0(VALU_DEP_1)
	v_or3_b32 v5, v5, v13, v34
.LBB375_106:                            ;   in Loop: Header=BB375_13 Depth=1
	s_or_b32 exec_lo, exec_lo, s51
.LBB375_107:                            ;   in Loop: Header=BB375_13 Depth=1
	s_delay_alu instid0(SALU_CYCLE_1)
	s_or_b32 exec_lo, exec_lo, s50
.LBB375_108:                            ;   in Loop: Header=BB375_13 Depth=1
	s_delay_alu instid0(SALU_CYCLE_1) | instskip(NEXT) | instid1(VALU_DEP_1)
	s_or_b32 exec_lo, exec_lo, s49
	v_mul_f32_e32 v13, s48, v5
	s_delay_alu instid0(VALU_DEP_1) | instskip(NEXT) | instid1(VALU_DEP_1)
	v_and_b32_e32 v5, 0x7f800000, v13
	v_cmp_ne_u32_e64 s1, 0x7f800000, v5
                                        ; implicit-def: $vgpr5
	s_delay_alu instid0(VALU_DEP_1) | instskip(NEXT) | instid1(SALU_CYCLE_1)
	s_and_saveexec_b32 s48, s1
	s_xor_b32 s1, exec_lo, s48
; %bb.109:                              ;   in Loop: Header=BB375_13 Depth=1
	v_bfe_u32 v5, v13, 16, 1
	s_delay_alu instid0(VALU_DEP_1)
	v_add3_u32 v5, v13, v5, 0x7fff
                                        ; implicit-def: $vgpr13
; %bb.110:                              ;   in Loop: Header=BB375_13 Depth=1
	s_and_not1_saveexec_b32 s48, s1
; %bb.111:                              ;   in Loop: Header=BB375_13 Depth=1
	v_and_b32_e32 v5, 0xffff, v13
	v_or_b32_e32 v34, 0x10000, v13
	s_delay_alu instid0(VALU_DEP_2) | instskip(NEXT) | instid1(VALU_DEP_1)
	v_cmp_eq_u32_e64 s1, 0, v5
	v_cndmask_b32_e64 v5, v34, v13, s1
; %bb.112:                              ;   in Loop: Header=BB375_13 Depth=1
	s_or_b32 exec_lo, exec_lo, s48
	v_and_b32_e32 v32, 0xffff0000, v32
	v_and_b32_e32 v30, 0xffff0000, v30
	;; [unrolled: 1-line block ×5, first 2 shown]
	v_lshlrev_b32_e32 v34, 16, v1
	v_and_b32_e32 v1, 0xffff0000, v1
	v_lshlrev_b32_e32 v33, 16, v2
	v_and_b32_e32 v2, 0xffff0000, v2
	v_and_b32_e32 v28, 0xffff0000, v28
	s_delay_alu instid0(VALU_DEP_3) | instskip(NEXT) | instid1(VALU_DEP_3)
	v_dual_mul_f32 v30, v33, v30 :: v_dual_and_b32 v5, 0xffff0000, v5
	v_dual_mul_f32 v2, v2, v31 :: v_dual_and_b32 v29, 0xffff0000, v29
	s_delay_alu instid0(VALU_DEP_2) | instskip(NEXT) | instid1(VALU_DEP_1)
	v_dual_fmac_f32 v30, v34, v28 :: v_dual_lshlrev_b32 v31, 16, v3
	v_dual_fmac_f32 v30, v31, v32 :: v_dual_and_b32 v3, 0xffff0000, v3
	s_delay_alu instid0(VALU_DEP_3) | instskip(SKIP_1) | instid1(VALU_DEP_2)
	v_fmac_f32_e32 v2, v1, v29
	v_xor_b32_e32 v1, 2, v15
	v_dual_fmac_f32 v2, v3, v14 :: v_dual_lshlrev_b32 v33, 16, v4
	v_and_b32_e32 v4, 0xffff0000, v4
	s_delay_alu instid0(VALU_DEP_3) | instskip(SKIP_1) | instid1(VALU_DEP_3)
	v_cmp_gt_i32_e64 s1, 32, v1
	v_xor_b32_e32 v3, 1, v15
	v_fmac_f32_e32 v2, v4, v5
	s_delay_alu instid0(VALU_DEP_3) | instskip(SKIP_1) | instid1(VALU_DEP_4)
	v_cndmask_b32_e64 v1, v15, v1, s1
	v_fmac_f32_e32 v30, v33, v13
	v_cmp_gt_i32_e64 s1, 32, v3
	s_delay_alu instid0(VALU_DEP_2) | instskip(NEXT) | instid1(VALU_DEP_2)
	v_dual_add_f32 v2, v30, v2 :: v_dual_lshlrev_b32 v1, 2, v1
	v_cndmask_b32_e64 v3, v15, v3, s1
	ds_bpermute_b32 v1, v1, v2
	v_lshlrev_b32_e32 v3, 2, v3
	s_waitcnt lgkmcnt(0)
	v_add_f32_e32 v1, v2, v1
	ds_bpermute_b32 v2, v3, v1
	s_and_saveexec_b32 s48, vcc_lo
	s_cbranch_execz .LBB375_11
; %bb.113:                              ;   in Loop: Header=BB375_13 Depth=1
	s_waitcnt lgkmcnt(0)
	v_add_f32_e32 v1, v1, v2
	v_add_nc_u32_e32 v3, v24, v22
	s_delay_alu instid0(VALU_DEP_1) | instskip(NEXT) | instid1(VALU_DEP_1)
	v_cvt_f32_i32_e32 v3, v3
	v_mul_f32_e32 v3, s41, v3
	s_delay_alu instid0(VALU_DEP_1) | instskip(NEXT) | instid1(VALU_DEP_1)
	v_cndmask_b32_e64 v2, 0, v3, s0
	v_dual_max_f32 v3, v18, v18 :: v_dual_fmac_f32 v2, s39, v1
	v_add_nc_u32_e32 v1, v19, v22
	s_delay_alu instid0(VALU_DEP_2) | instskip(NEXT) | instid1(VALU_DEP_2)
	v_max_f32_e32 v3, v3, v2
	v_cmp_gt_i32_e64 s1, s15, v1
	s_delay_alu instid0(VALU_DEP_1) | instskip(NEXT) | instid1(VALU_DEP_3)
	v_cndmask_b32_e64 v1, 0, v2, s1
	v_cndmask_b32_e64 v18, v18, v3, s1
	ds_store_b32 v25, v1
	s_branch .LBB375_11
.LBB375_114:
	s_or_b32 exec_lo, exec_lo, s46
.LBB375_115:
	s_delay_alu instid0(SALU_CYCLE_1) | instskip(SKIP_3) | instid1(VALU_DEP_3)
	s_or_b32 exec_lo, exec_lo, s43
	v_xor_b32_e32 v1, 16, v15
	v_xor_b32_e32 v3, 8, v15
	v_max_f32_e32 v5, v18, v18
	v_cmp_gt_i32_e32 vcc_lo, 32, v1
	v_cndmask_b32_e32 v1, v15, v1, vcc_lo
	s_delay_alu instid0(VALU_DEP_4) | instskip(SKIP_1) | instid1(VALU_DEP_1)
	v_cmp_gt_i32_e32 vcc_lo, 32, v3
	v_cndmask_b32_e32 v3, v15, v3, vcc_lo
	v_lshlrev_b32_e32 v4, 2, v3
	s_waitcnt lgkmcnt(0)
	v_lshlrev_b32_e32 v2, 2, v1
	ds_bpermute_b32 v1, v2, v18
	s_waitcnt lgkmcnt(0)
	v_dual_max_f32 v1, v1, v1 :: v_dual_and_b32 v18, 31, v0
	s_delay_alu instid0(VALU_DEP_1)
	v_max_f32_e32 v1, v5, v1
	v_xor_b32_e32 v5, 4, v15
	ds_bpermute_b32 v3, v4, v1
	v_cmp_gt_i32_e32 vcc_lo, 32, v5
	v_cndmask_b32_e32 v5, v15, v5, vcc_lo
	v_cmp_eq_u32_e32 vcc_lo, 0, v18
	s_delay_alu instid0(VALU_DEP_2) | instskip(SKIP_3) | instid1(VALU_DEP_1)
	v_lshlrev_b32_e32 v7, 2, v5
	v_lshlrev_b32_e32 v5, 2, v16
	s_waitcnt lgkmcnt(0)
	v_max_f32_e32 v3, v3, v3
	v_max_f32_e32 v1, v1, v3
	ds_bpermute_b32 v3, v7, v1
	s_and_saveexec_b32 s0, vcc_lo
	s_cbranch_execz .LBB375_117
; %bb.116:
	s_waitcnt lgkmcnt(0)
	v_max_f32_e32 v3, v3, v3
	v_max_f32_e32 v1, v1, v1
	s_delay_alu instid0(VALU_DEP_1)
	v_max_f32_e32 v1, v1, v3
	ds_store_b32 v5, v1 offset:64
.LBB375_117:
	s_or_b32 exec_lo, exec_lo, s0
	v_cmp_gt_u32_e64 s0, 4, v18
	v_dual_mov_b32 v1, 0xff7fffff :: v_dual_lshlrev_b32 v6, 2, v18
	s_waitcnt lgkmcnt(0)
	s_barrier
	buffer_gl0_inv
	s_and_saveexec_b32 s1, s0
	s_cbranch_execz .LBB375_119
; %bb.118:
	ds_load_b32 v1, v6 offset:64
.LBB375_119:
	s_or_b32 exec_lo, exec_lo, s1
	v_xor_b32_e32 v3, 2, v15
	v_xor_b32_e32 v11, 1, v15
	v_mov_b32_e32 v12, 0
	s_delay_alu instid0(VALU_DEP_3) | instskip(NEXT) | instid1(VALU_DEP_1)
	v_cmp_gt_i32_e64 s1, 32, v3
	v_cndmask_b32_e64 v3, v15, v3, s1
	s_delay_alu instid0(VALU_DEP_4) | instskip(NEXT) | instid1(VALU_DEP_2)
	v_cmp_gt_i32_e64 s1, 32, v11
	v_lshlrev_b32_e32 v8, 2, v3
	s_delay_alu instid0(VALU_DEP_2) | instskip(SKIP_1) | instid1(SALU_CYCLE_1)
	v_cndmask_b32_e64 v11, v15, v11, s1
	s_sub_i32 s1, s16, s42
	s_lshl_b32 s1, s1, 3
	s_waitcnt lgkmcnt(0)
	ds_bpermute_b32 v3, v8, v1
	v_max_f32_e32 v1, v1, v1
	v_lshlrev_b32_e32 v11, 2, v11
	s_add_i32 s1, s1, s33
	s_delay_alu instid0(SALU_CYCLE_1) | instskip(NEXT) | instid1(SALU_CYCLE_1)
	s_min_i32 s1, s1, s15
	s_sub_i32 s4, s1, s33
	s_delay_alu instid0(SALU_CYCLE_1) | instskip(SKIP_2) | instid1(VALU_DEP_1)
	v_cmp_gt_i32_e64 s1, s4, v0
	s_waitcnt lgkmcnt(0)
	v_max_f32_e32 v3, v3, v3
	v_max_f32_e32 v1, v1, v3
	ds_bpermute_b32 v3, v11, v1
	s_waitcnt lgkmcnt(0)
	v_max_f32_e32 v3, v3, v3
	s_delay_alu instid0(VALU_DEP_1)
	v_max_f32_e32 v1, v1, v3
	v_lshl_add_u32 v3, v0, 2, 0x60
	ds_bpermute_b32 v1, v12, v1
	s_and_saveexec_b32 s5, s1
	s_cbranch_execz .LBB375_123
; %bb.120:
	v_lshl_add_u32 v13, v0, 2, 0x60
	v_mov_b32_e32 v12, 0
	v_mov_b32_e32 v14, v0
	s_mov_b32 s33, 0
	.p2align	6
.LBB375_121:                            ; =>This Inner Loop Header: Depth=1
	ds_load_b32 v15, v13
	v_add_nc_u32_e32 v14, 0x80, v14
	s_delay_alu instid0(VALU_DEP_1) | instskip(NEXT) | instid1(VALU_DEP_1)
	v_cmp_le_i32_e64 s3, s4, v14
	s_or_b32 s33, s3, s33
	s_waitcnt lgkmcnt(0)
	v_sub_f32_e32 v15, v15, v1
	s_delay_alu instid0(VALU_DEP_1) | instskip(NEXT) | instid1(VALU_DEP_1)
	v_mul_f32_e32 v15, 0x3fb8aa3b, v15
	v_exp_f32_e32 v15, v15
	ds_store_b32 v13, v15
	v_dual_add_f32 v12, v12, v15 :: v_dual_add_nc_u32 v13, 0x200, v13
	s_and_not1_b32 exec_lo, exec_lo, s33
	s_cbranch_execnz .LBB375_121
; %bb.122:
	s_or_b32 exec_lo, exec_lo, s33
.LBB375_123:
	s_delay_alu instid0(SALU_CYCLE_1)
	s_or_b32 exec_lo, exec_lo, s5
	ds_bpermute_b32 v2, v2, v12
	s_waitcnt lgkmcnt(0)
	v_add_f32_e32 v2, v12, v2
	ds_bpermute_b32 v4, v4, v2
	s_waitcnt lgkmcnt(0)
	v_add_f32_e32 v2, v2, v4
	;; [unrolled: 3-line block ×5, first 2 shown]
	s_and_saveexec_b32 s3, vcc_lo
	s_cbranch_execz .LBB375_125
; %bb.124:
	ds_store_b32 v5, v2 offset:80
.LBB375_125:
	s_or_b32 exec_lo, exec_lo, s3
	s_waitcnt lgkmcnt(0)
	s_barrier
	buffer_gl0_inv
	s_and_saveexec_b32 s3, s0
	s_cbranch_execz .LBB375_127
; %bb.126:
	ds_load_b32 v2, v6 offset:80
.LBB375_127:
	s_or_b32 exec_lo, exec_lo, s3
	s_waitcnt lgkmcnt(0)
	ds_bpermute_b32 v4, v8, v2
	s_waitcnt lgkmcnt(0)
	v_add_f32_e32 v2, v2, v4
	ds_bpermute_b32 v4, v11, v2
	s_waitcnt lgkmcnt(0)
	v_add_f32_e32 v2, v2, v4
	v_mov_b32_e32 v4, 0
	ds_bpermute_b32 v2, v4, v2
	s_and_saveexec_b32 s0, s1
	s_cbranch_execz .LBB375_130
; %bb.128:
	s_waitcnt lgkmcnt(0)
	v_add_f32_e32 v4, 0x358637bd, v2
	s_mov_b32 s1, 0
	s_delay_alu instid0(VALU_DEP_1) | instskip(SKIP_1) | instid1(VALU_DEP_2)
	v_div_scale_f32 v5, null, v4, v4, 1.0
	v_div_scale_f32 v8, vcc_lo, 1.0, v4, 1.0
	v_rcp_f32_e32 v6, v5
	s_waitcnt_depctr 0xfff
	v_fma_f32 v7, -v5, v6, 1.0
	s_delay_alu instid0(VALU_DEP_1) | instskip(NEXT) | instid1(VALU_DEP_1)
	v_fmac_f32_e32 v6, v7, v6
	v_mul_f32_e32 v7, v8, v6
	s_delay_alu instid0(VALU_DEP_1) | instskip(NEXT) | instid1(VALU_DEP_1)
	v_fma_f32 v11, -v5, v7, v8
	v_fmac_f32_e32 v7, v11, v6
	s_delay_alu instid0(VALU_DEP_1) | instskip(NEXT) | instid1(VALU_DEP_1)
	v_fma_f32 v5, -v5, v7, v8
	v_div_fmas_f32 v5, v5, v6, v7
	s_delay_alu instid0(VALU_DEP_1)
	v_div_fixup_f32 v4, v5, v4, 1.0
	v_mov_b32_e32 v5, v0
.LBB375_129:                            ; =>This Inner Loop Header: Depth=1
	ds_load_b32 v6, v3
	s_waitcnt lgkmcnt(0)
	v_dual_mul_f32 v6, v4, v6 :: v_dual_add_nc_u32 v5, 0x80, v5
	s_delay_alu instid0(VALU_DEP_1) | instskip(SKIP_3) | instid1(SALU_CYCLE_1)
	v_cmp_le_i32_e32 vcc_lo, s4, v5
	ds_store_b32 v3, v6
	v_add_nc_u32_e32 v3, 0x200, v3
	s_or_b32 s1, vcc_lo, s1
	s_and_not1_b32 exec_lo, exec_lo, s1
	s_cbranch_execnz .LBB375_129
.LBB375_130:
	s_or_b32 exec_lo, exec_lo, s0
	s_mul_i32 s0, s8, s14
	s_waitcnt lgkmcnt(0)
	s_mul_i32 s4, s0, s13
	s_mov_b32 s0, exec_lo
	s_barrier
	buffer_gl0_inv
	v_cmpx_eq_u32_e32 0, v0
	s_cbranch_execz .LBB375_132
; %bb.131:
	s_ashr_i32 s5, s4, 31
	s_mul_i32 s44, s8, s28
	s_lshl_b64 s[42:43], s[4:5], 2
	v_mov_b32_e32 v3, 0
	s_add_u32 s1, s22, s42
	s_addc_u32 s3, s23, s43
	s_ashr_i32 s45, s44, 31
	s_delay_alu instid0(SALU_CYCLE_1) | instskip(NEXT) | instid1(SALU_CYCLE_1)
	s_lshl_b64 s[22:23], s[44:45], 2
	s_add_u32 s1, s1, s22
	s_addc_u32 s3, s3, s23
	s_ashr_i32 s13, s12, 31
	s_delay_alu instid0(SALU_CYCLE_1) | instskip(NEXT) | instid1(SALU_CYCLE_1)
	s_lshl_b64 s[44:45], s[12:13], 2
	s_add_u32 s46, s1, s44
	s_addc_u32 s47, s3, s45
	s_add_u32 s1, s20, s42
	s_addc_u32 s3, s21, s43
	;; [unrolled: 2-line block ×4, first 2 shown]
	s_clause 0x1
	global_store_b32 v3, v1, s[46:47]
	global_store_b32 v3, v2, s[20:21]
.LBB375_132:
	s_or_b32 exec_lo, exec_lo, s0
	v_mov_b32_e32 v19, 0
	s_and_saveexec_b32 s1, s2
	s_cbranch_execz .LBB375_296
; %bb.133:
	s_sub_i32 s5, s40, s17
	s_ashr_i32 s0, s10, 31
	s_add_u32 s14, s36, s10
	s_addc_u32 s0, s37, s0
	s_abs_i32 s10, s18
	s_lshl_b64 s[20:21], s[34:35], 2
	v_cvt_f32_u32_e32 v1, s10
	s_sub_i32 s2, 0, s10
	s_add_i32 s13, s38, -1
	v_lshl_add_u32 v20, v16, 5, 0x60
	v_mov_b32_e32 v11, 0
	v_rcp_iflag_f32_e32 v1, v1
	v_dual_mov_b32 v19, 0 :: v_dual_lshlrev_b32 v4, 3, v18
	s_delay_alu instid0(VALU_DEP_1) | instskip(NEXT) | instid1(VALU_DEP_1)
	v_add_co_u32 v12, s14, s14, v4
	v_add_co_ci_u32_e64 v13, null, s0, 0, s14
	s_waitcnt_depctr 0xfff
	v_mul_f32_e32 v1, 0x4f7ffffe, v1
	s_add_u32 s0, s30, s20
	s_addc_u32 s14, s31, s21
	s_delay_alu instid0(VALU_DEP_1) | instskip(SKIP_1) | instid1(VALU_DEP_2)
	v_cvt_u32_f32_e32 v3, v1
	v_lshlrev_b64 v[1:2], 2, v[9:10]
	v_mul_lo_u32 v5, s2, v3
	s_mov_b32 s2, -1
	s_delay_alu instid0(VALU_DEP_2) | instskip(NEXT) | instid1(VALU_DEP_3)
	v_add_co_u32 v14, vcc_lo, s0, v1
	v_add_co_ci_u32_e32 v15, vcc_lo, s14, v2, vcc_lo
	s_mov_b32 s3, 0xffffff
	s_mov_b32 s14, s9
	s_delay_alu instid0(VALU_DEP_3) | instskip(SKIP_1) | instid1(VALU_DEP_1)
	v_mul_hi_u32 v5, v3, v5
	s_mov_b32 s9, 0
	v_add_nc_u32_e32 v21, v3, v5
	s_branch .LBB375_136
.LBB375_134:                            ;   in Loop: Header=BB375_136 Depth=1
	s_or_b32 exec_lo, exec_lo, s17
	v_and_b32_e32 v3, 0xffff0000, v3
	v_and_b32_e32 v4, 0xffff0000, v4
	;; [unrolled: 1-line block ×5, first 2 shown]
	s_delay_alu instid0(VALU_DEP_3) | instskip(NEXT) | instid1(VALU_DEP_2)
	v_dual_add_f32 v4, v8, v4 :: v_dual_and_b32 v1, 0xffff0000, v1
	v_dual_add_f32 v5, v7, v5 :: v_dual_and_b32 v6, 0xffff0000, v10
	s_delay_alu instid0(VALU_DEP_1) | instskip(NEXT) | instid1(VALU_DEP_1)
	v_add_f32_e32 v3, v3, v6
	v_dual_add_f32 v3, v3, v5 :: v_dual_and_b32 v2, 0xffff0000, v2
	s_delay_alu instid0(VALU_DEP_1) | instskip(NEXT) | instid1(VALU_DEP_2)
	v_add_f32_e32 v3, v3, v4
	v_add_f32_e32 v1, v2, v1
	s_delay_alu instid0(VALU_DEP_1) | instskip(NEXT) | instid1(VALU_DEP_1)
	v_add_f32_e32 v1, v3, v1
	v_add_f32_e32 v19, v19, v1
.LBB375_135:                            ;   in Loop: Header=BB375_136 Depth=1
	s_or_b32 exec_lo, exec_lo, s0
	v_add_nc_u32_e32 v9, 4, v9
	v_add_co_u32 v14, s0, v14, 16
	s_delay_alu instid0(VALU_DEP_1) | instskip(NEXT) | instid1(VALU_DEP_3)
	v_add_co_ci_u32_e64 v15, s0, 0, v15, s0
	v_cmp_le_i32_e32 vcc_lo, s16, v9
	v_add_nc_u32_e32 v17, 32, v17
	v_add_nc_u32_e32 v20, 0x80, v20
	s_or_b32 s9, vcc_lo, s9
	s_delay_alu instid0(SALU_CYCLE_1)
	s_and_not1_b32 exec_lo, exec_lo, s9
	s_cbranch_execz .LBB375_295
.LBB375_136:                            ; =>This Inner Loop Header: Depth=1
	v_sub_nc_u32_e32 v1, 0, v17
	s_delay_alu instid0(VALU_DEP_1) | instskip(NEXT) | instid1(VALU_DEP_1)
	v_max_i32_e32 v1, v17, v1
	v_mul_hi_u32 v2, v1, s25
	s_delay_alu instid0(VALU_DEP_1) | instskip(NEXT) | instid1(VALU_DEP_1)
	v_mul_lo_u32 v3, v2, s11
	v_sub_nc_u32_e32 v1, v1, v3
	v_add_nc_u32_e32 v3, 1, v2
	s_delay_alu instid0(VALU_DEP_2) | instskip(SKIP_1) | instid1(VALU_DEP_2)
	v_subrev_nc_u32_e32 v4, s11, v1
	v_cmp_le_u32_e32 vcc_lo, s11, v1
	v_dual_cndmask_b32 v2, v2, v3 :: v_dual_cndmask_b32 v1, v1, v4
	v_ashrrev_i32_e32 v3, 31, v17
	s_delay_alu instid0(VALU_DEP_2) | instskip(NEXT) | instid1(VALU_DEP_3)
	v_add_nc_u32_e32 v4, 1, v2
	v_cmp_le_u32_e32 vcc_lo, s11, v1
	s_delay_alu instid0(VALU_DEP_3) | instskip(NEXT) | instid1(VALU_DEP_3)
	v_xor_b32_e32 v3, s19, v3
	v_cndmask_b32_e32 v1, v2, v4, vcc_lo
	s_delay_alu instid0(VALU_DEP_1) | instskip(NEXT) | instid1(VALU_DEP_1)
	v_xor_b32_e32 v1, v1, v3
	v_sub_nc_u32_e32 v1, v1, v3
	s_delay_alu instid0(VALU_DEP_1) | instskip(SKIP_1) | instid1(VALU_DEP_2)
	v_add_nc_u32_e32 v2, s29, v1
	v_cmp_lt_i32_e64 s0, s5, v1
	v_sub_nc_u32_e32 v3, 0, v2
	s_delay_alu instid0(VALU_DEP_1) | instskip(NEXT) | instid1(VALU_DEP_1)
	v_max_i32_e32 v3, v2, v3
	v_mul_hi_u32 v4, v3, v21
	s_delay_alu instid0(VALU_DEP_1) | instskip(NEXT) | instid1(VALU_DEP_1)
	v_mul_lo_u32 v4, v4, s10
	v_sub_nc_u32_e32 v3, v3, v4
	s_delay_alu instid0(VALU_DEP_1) | instskip(SKIP_1) | instid1(VALU_DEP_2)
	v_subrev_nc_u32_e32 v4, s10, v3
	v_cmp_le_u32_e32 vcc_lo, s10, v3
	v_cndmask_b32_e32 v3, v3, v4, vcc_lo
	v_ashrrev_i32_e32 v2, 31, v2
	s_delay_alu instid0(VALU_DEP_2) | instskip(SKIP_1) | instid1(VALU_DEP_2)
	v_subrev_nc_u32_e32 v4, s10, v3
	v_cmp_le_u32_e32 vcc_lo, s10, v3
	v_cndmask_b32_e32 v3, v3, v4, vcc_lo
	s_delay_alu instid0(VALU_DEP_1) | instskip(NEXT) | instid1(VALU_DEP_1)
	v_xor_b32_e32 v3, v3, v2
	v_sub_nc_u32_e32 v2, v3, v2
	s_delay_alu instid0(VALU_DEP_1) | instskip(SKIP_1) | instid1(SALU_CYCLE_1)
	v_cmp_eq_u32_e32 vcc_lo, 0, v2
	s_or_b32 s17, vcc_lo, s0
	s_and_saveexec_b32 s0, s17
	s_cbranch_execz .LBB375_135
; %bb.137:                              ;   in Loop: Header=BB375_136 Depth=1
	global_load_b32 v10, v[14:15], off
	ds_load_2addr_b64 v[5:8], v20 offset1:1
	ds_load_2addr_b64 v[1:4], v20 offset0:2 offset1:3
	s_mov_b32 s17, exec_lo
                                        ; implicit-def: $vgpr25
	s_waitcnt lgkmcnt(1)
	v_and_b32_e32 v22, 0x7f800000, v5
	s_delay_alu instid0(VALU_DEP_1)
	v_cmpx_ne_u32_e32 0x7f800000, v22
	s_xor_b32 s17, exec_lo, s17
; %bb.138:                              ;   in Loop: Header=BB375_136 Depth=1
	v_bfe_u32 v22, v5, 16, 1
	s_delay_alu instid0(VALU_DEP_1)
	v_add3_u32 v25, v5, v22, 0x7fff
; %bb.139:                              ;   in Loop: Header=BB375_136 Depth=1
	s_and_not1_saveexec_b32 s17, s17
; %bb.140:                              ;   in Loop: Header=BB375_136 Depth=1
	v_and_b32_e32 v22, 0xffff, v5
	v_or_b32_e32 v23, 0x10000, v5
	s_delay_alu instid0(VALU_DEP_2) | instskip(NEXT) | instid1(VALU_DEP_2)
	v_cmp_eq_u32_e32 vcc_lo, 0, v22
	v_cndmask_b32_e32 v25, v23, v5, vcc_lo
; %bb.141:                              ;   in Loop: Header=BB375_136 Depth=1
	s_or_b32 exec_lo, exec_lo, s17
	v_and_b32_e32 v5, 0x7f800000, v6
	s_mov_b32 s17, exec_lo
                                        ; implicit-def: $vgpr24
	s_delay_alu instid0(VALU_DEP_1)
	v_cmpx_ne_u32_e32 0x7f800000, v5
	s_xor_b32 s17, exec_lo, s17
; %bb.142:                              ;   in Loop: Header=BB375_136 Depth=1
	v_bfe_u32 v5, v6, 16, 1
	s_delay_alu instid0(VALU_DEP_1)
	v_add3_u32 v24, v6, v5, 0x7fff
; %bb.143:                              ;   in Loop: Header=BB375_136 Depth=1
	s_and_not1_saveexec_b32 s17, s17
; %bb.144:                              ;   in Loop: Header=BB375_136 Depth=1
	v_and_b32_e32 v5, 0xffff, v6
	v_or_b32_e32 v22, 0x10000, v6
	s_delay_alu instid0(VALU_DEP_2) | instskip(NEXT) | instid1(VALU_DEP_2)
	v_cmp_eq_u32_e32 vcc_lo, 0, v5
	v_cndmask_b32_e32 v24, v22, v6, vcc_lo
; %bb.145:                              ;   in Loop: Header=BB375_136 Depth=1
	s_or_b32 exec_lo, exec_lo, s17
	v_and_b32_e32 v5, 0x7f800000, v7
	s_mov_b32 s17, exec_lo
                                        ; implicit-def: $vgpr23
	s_delay_alu instid0(VALU_DEP_1)
	v_cmpx_ne_u32_e32 0x7f800000, v5
	s_xor_b32 s17, exec_lo, s17
; %bb.146:                              ;   in Loop: Header=BB375_136 Depth=1
	v_bfe_u32 v5, v7, 16, 1
	s_delay_alu instid0(VALU_DEP_1)
	v_add3_u32 v23, v7, v5, 0x7fff
; %bb.147:                              ;   in Loop: Header=BB375_136 Depth=1
	s_and_not1_saveexec_b32 s17, s17
; %bb.148:                              ;   in Loop: Header=BB375_136 Depth=1
	v_and_b32_e32 v5, 0xffff, v7
	v_or_b32_e32 v6, 0x10000, v7
	s_delay_alu instid0(VALU_DEP_2) | instskip(NEXT) | instid1(VALU_DEP_2)
	v_cmp_eq_u32_e32 vcc_lo, 0, v5
	v_cndmask_b32_e32 v23, v6, v7, vcc_lo
; %bb.149:                              ;   in Loop: Header=BB375_136 Depth=1
	s_or_b32 exec_lo, exec_lo, s17
	v_and_b32_e32 v5, 0x7f800000, v8
	s_mov_b32 s17, exec_lo
                                        ; implicit-def: $vgpr22
	s_delay_alu instid0(VALU_DEP_1)
	v_cmpx_ne_u32_e32 0x7f800000, v5
	s_xor_b32 s17, exec_lo, s17
; %bb.150:                              ;   in Loop: Header=BB375_136 Depth=1
	v_bfe_u32 v5, v8, 16, 1
	s_delay_alu instid0(VALU_DEP_1)
	v_add3_u32 v22, v8, v5, 0x7fff
                                        ; implicit-def: $vgpr5_vgpr6_vgpr7_vgpr8
; %bb.151:                              ;   in Loop: Header=BB375_136 Depth=1
	s_and_not1_saveexec_b32 s17, s17
; %bb.152:                              ;   in Loop: Header=BB375_136 Depth=1
	v_and_b32_e32 v5, 0xffff, v8
	v_or_b32_e32 v6, 0x10000, v8
	s_delay_alu instid0(VALU_DEP_2) | instskip(NEXT) | instid1(VALU_DEP_2)
	v_cmp_eq_u32_e32 vcc_lo, 0, v5
	v_cndmask_b32_e32 v22, v6, v8, vcc_lo
; %bb.153:                              ;   in Loop: Header=BB375_136 Depth=1
	s_or_b32 exec_lo, exec_lo, s17
	s_waitcnt lgkmcnt(0)
	v_and_b32_e32 v5, 0x7f800000, v1
	s_mov_b32 s17, exec_lo
                                        ; implicit-def: $vgpr8
	s_delay_alu instid0(VALU_DEP_1)
	v_cmpx_ne_u32_e32 0x7f800000, v5
	s_xor_b32 s17, exec_lo, s17
; %bb.154:                              ;   in Loop: Header=BB375_136 Depth=1
	v_bfe_u32 v5, v1, 16, 1
	s_delay_alu instid0(VALU_DEP_1)
	v_add3_u32 v8, v1, v5, 0x7fff
; %bb.155:                              ;   in Loop: Header=BB375_136 Depth=1
	s_and_not1_saveexec_b32 s17, s17
; %bb.156:                              ;   in Loop: Header=BB375_136 Depth=1
	v_and_b32_e32 v5, 0xffff, v1
	v_or_b32_e32 v6, 0x10000, v1
	s_delay_alu instid0(VALU_DEP_2) | instskip(NEXT) | instid1(VALU_DEP_2)
	v_cmp_eq_u32_e32 vcc_lo, 0, v5
	v_cndmask_b32_e32 v8, v6, v1, vcc_lo
; %bb.157:                              ;   in Loop: Header=BB375_136 Depth=1
	s_or_b32 exec_lo, exec_lo, s17
	v_and_b32_e32 v1, 0x7f800000, v2
	s_mov_b32 s17, exec_lo
                                        ; implicit-def: $vgpr7
	s_delay_alu instid0(VALU_DEP_1)
	v_cmpx_ne_u32_e32 0x7f800000, v1
	s_xor_b32 s17, exec_lo, s17
; %bb.158:                              ;   in Loop: Header=BB375_136 Depth=1
	v_bfe_u32 v1, v2, 16, 1
	s_delay_alu instid0(VALU_DEP_1)
	v_add3_u32 v7, v2, v1, 0x7fff
; %bb.159:                              ;   in Loop: Header=BB375_136 Depth=1
	s_and_not1_saveexec_b32 s17, s17
; %bb.160:                              ;   in Loop: Header=BB375_136 Depth=1
	v_and_b32_e32 v1, 0xffff, v2
	v_or_b32_e32 v5, 0x10000, v2
	s_delay_alu instid0(VALU_DEP_2) | instskip(NEXT) | instid1(VALU_DEP_2)
	v_cmp_eq_u32_e32 vcc_lo, 0, v1
	v_cndmask_b32_e32 v7, v5, v2, vcc_lo
; %bb.161:                              ;   in Loop: Header=BB375_136 Depth=1
	s_or_b32 exec_lo, exec_lo, s17
	v_and_b32_e32 v1, 0x7f800000, v3
	s_mov_b32 s17, exec_lo
                                        ; implicit-def: $vgpr6
	s_delay_alu instid0(VALU_DEP_1)
	v_cmpx_ne_u32_e32 0x7f800000, v1
	s_xor_b32 s17, exec_lo, s17
; %bb.162:                              ;   in Loop: Header=BB375_136 Depth=1
	v_bfe_u32 v1, v3, 16, 1
	s_delay_alu instid0(VALU_DEP_1)
	v_add3_u32 v6, v3, v1, 0x7fff
; %bb.163:                              ;   in Loop: Header=BB375_136 Depth=1
	s_and_not1_saveexec_b32 s17, s17
; %bb.164:                              ;   in Loop: Header=BB375_136 Depth=1
	v_and_b32_e32 v1, 0xffff, v3
	v_or_b32_e32 v2, 0x10000, v3
	s_delay_alu instid0(VALU_DEP_2) | instskip(NEXT) | instid1(VALU_DEP_2)
	v_cmp_eq_u32_e32 vcc_lo, 0, v1
	v_cndmask_b32_e32 v6, v2, v3, vcc_lo
; %bb.165:                              ;   in Loop: Header=BB375_136 Depth=1
	s_or_b32 exec_lo, exec_lo, s17
	v_and_b32_e32 v1, 0x7f800000, v4
	s_mov_b32 s17, exec_lo
                                        ; implicit-def: $vgpr5
	s_delay_alu instid0(VALU_DEP_1)
	v_cmpx_ne_u32_e32 0x7f800000, v1
	s_xor_b32 s17, exec_lo, s17
; %bb.166:                              ;   in Loop: Header=BB375_136 Depth=1
	v_bfe_u32 v1, v4, 16, 1
	s_delay_alu instid0(VALU_DEP_1)
	v_add3_u32 v5, v4, v1, 0x7fff
                                        ; implicit-def: $vgpr1_vgpr2_vgpr3_vgpr4
; %bb.167:                              ;   in Loop: Header=BB375_136 Depth=1
	s_and_not1_saveexec_b32 s17, s17
; %bb.168:                              ;   in Loop: Header=BB375_136 Depth=1
	v_and_b32_e32 v1, 0xffff, v4
	v_or_b32_e32 v2, 0x10000, v4
	s_delay_alu instid0(VALU_DEP_2) | instskip(NEXT) | instid1(VALU_DEP_2)
	v_cmp_eq_u32_e32 vcc_lo, 0, v1
	v_cndmask_b32_e32 v5, v2, v4, vcc_lo
; %bb.169:                              ;   in Loop: Header=BB375_136 Depth=1
	s_or_b32 exec_lo, exec_lo, s17
	s_waitcnt vmcnt(0)
	v_mad_i64_i32 v[1:2], null, v10, s14, v[12:13]
	s_load_b32 s17, s[6:7], 0x0
	s_mov_b32 s18, exec_lo
	v_mov_b32_e32 v3, 0
	global_load_b64 v[1:2], v[1:2], off
	s_waitcnt vmcnt(0)
	v_and_b32_e32 v4, 0xff, v1
	s_delay_alu instid0(VALU_DEP_1)
	v_cmpx_ne_u16_e32 0, v4
	s_cbranch_execz .LBB375_175
; %bb.170:                              ;   in Loop: Header=BB375_136 Depth=1
	v_bfrev_b32_e32 v3, 1
	s_mov_b32 s20, exec_lo
	v_cmpx_ne_u16_e32 0x80, v4
	s_cbranch_execz .LBB375_174
; %bb.171:                              ;   in Loop: Header=BB375_136 Depth=1
	v_and_b32_e32 v4, 0x7f, v1
	v_mov_b32_e32 v3, 0x7f800001
	s_mov_b32 s21, exec_lo
	s_delay_alu instid0(VALU_DEP_2)
	v_cmpx_ne_u32_e32 0x7f, v4
	s_cbranch_execz .LBB375_173
; %bb.172:                              ;   in Loop: Header=BB375_136 Depth=1
	v_and_b32_e32 v3, 7, v1
	v_lshrrev_b32_e32 v10, 3, v4
	v_cmp_gt_u32_e32 vcc_lo, 8, v4
	s_delay_alu instid0(VALU_DEP_3) | instskip(NEXT) | instid1(VALU_DEP_1)
	v_clz_i32_u32_e32 v3, v3
	v_min_u32_e32 v3, 32, v3
	s_delay_alu instid0(VALU_DEP_1) | instskip(SKIP_1) | instid1(VALU_DEP_1)
	v_subrev_nc_u32_e32 v26, 28, v3
	v_sub_nc_u32_e32 v3, 29, v3
	v_dual_cndmask_b32 v10, v10, v3 :: v_dual_cndmask_b32 v3, 0, v26
	s_delay_alu instid0(VALU_DEP_1) | instskip(NEXT) | instid1(VALU_DEP_2)
	v_lshl_add_u32 v10, v10, 23, 0x3c000000
	v_lshlrev_b64 v[3:4], v3, v[1:2]
	v_lshlrev_b32_e32 v4, 24, v1
	s_delay_alu instid0(VALU_DEP_2) | instskip(NEXT) | instid1(VALU_DEP_2)
	v_lshlrev_b32_e32 v3, 20, v3
	v_and_b32_e32 v4, 0x80000000, v4
	s_delay_alu instid0(VALU_DEP_2) | instskip(NEXT) | instid1(VALU_DEP_1)
	v_and_b32_e32 v3, 0x700000, v3
	v_or3_b32 v3, v3, v4, v10
.LBB375_173:                            ;   in Loop: Header=BB375_136 Depth=1
	s_or_b32 exec_lo, exec_lo, s21
.LBB375_174:                            ;   in Loop: Header=BB375_136 Depth=1
	s_delay_alu instid0(SALU_CYCLE_1)
	s_or_b32 exec_lo, exec_lo, s20
.LBB375_175:                            ;   in Loop: Header=BB375_136 Depth=1
	s_delay_alu instid0(SALU_CYCLE_1) | instskip(SKIP_3) | instid1(VALU_DEP_1)
	s_or_b32 exec_lo, exec_lo, s18
	s_waitcnt lgkmcnt(0)
	v_mul_f32_e32 v3, s17, v3
	s_mov_b32 s18, exec_lo
                                        ; implicit-def: $vgpr26
	v_and_b32_e32 v4, 0x7f800000, v3
	s_delay_alu instid0(VALU_DEP_1)
	v_cmpx_ne_u32_e32 0x7f800000, v4
	s_xor_b32 s18, exec_lo, s18
; %bb.176:                              ;   in Loop: Header=BB375_136 Depth=1
	v_bfe_u32 v4, v3, 16, 1
	s_delay_alu instid0(VALU_DEP_1)
	v_add3_u32 v26, v3, v4, 0x7fff
                                        ; implicit-def: $vgpr3
; %bb.177:                              ;   in Loop: Header=BB375_136 Depth=1
	s_and_not1_saveexec_b32 s18, s18
; %bb.178:                              ;   in Loop: Header=BB375_136 Depth=1
	v_and_b32_e32 v4, 0xffff, v3
	v_or_b32_e32 v10, 0x10000, v3
	s_delay_alu instid0(VALU_DEP_2) | instskip(NEXT) | instid1(VALU_DEP_2)
	v_cmp_eq_u32_e32 vcc_lo, 0, v4
	v_cndmask_b32_e32 v26, v10, v3, vcc_lo
; %bb.179:                              ;   in Loop: Header=BB375_136 Depth=1
	s_or_b32 exec_lo, exec_lo, s18
	v_lshrrev_b16 v4, 8, v1
	v_mov_b32_e32 v3, 0
	s_mov_b32 s18, exec_lo
	s_delay_alu instid0(VALU_DEP_2)
	v_cmpx_ne_u16_e32 0, v4
	s_cbranch_execz .LBB375_187
; %bb.180:                              ;   in Loop: Header=BB375_136 Depth=1
	v_bfrev_b32_e32 v3, 1
	s_mov_b32 s20, exec_lo
	v_cmpx_ne_u16_e32 0x80, v4
	s_cbranch_execz .LBB375_186
; %bb.181:                              ;   in Loop: Header=BB375_136 Depth=1
	v_and_b32_e32 v10, 0xffff, v4
	v_mov_b32_e32 v3, 0x7f800001
	s_mov_b32 s21, exec_lo
	s_delay_alu instid0(VALU_DEP_2) | instskip(NEXT) | instid1(VALU_DEP_1)
	v_and_b32_e32 v4, 0x7f, v10
	v_cmpx_ne_u32_e32 0x7f, v4
	s_cbranch_execz .LBB375_185
; %bb.182:                              ;   in Loop: Header=BB375_136 Depth=1
	v_and_b32_e32 v10, 7, v10
	v_lshrrev_b32_e32 v3, 3, v4
	s_mov_b32 s22, exec_lo
	v_cmpx_gt_u32_e32 8, v4
; %bb.183:                              ;   in Loop: Header=BB375_136 Depth=1
	s_delay_alu instid0(VALU_DEP_3) | instskip(NEXT) | instid1(VALU_DEP_1)
	v_clz_i32_u32_e32 v3, v10
	v_min_u32_e32 v3, 32, v3
	s_delay_alu instid0(VALU_DEP_1) | instskip(SKIP_1) | instid1(VALU_DEP_2)
	v_subrev_nc_u32_e32 v4, 28, v3
	v_sub_nc_u32_e32 v3, 29, v3
	v_lshlrev_b64 v[27:28], v4, v[10:11]
	s_delay_alu instid0(VALU_DEP_1)
	v_and_b32_e32 v10, 7, v27
; %bb.184:                              ;   in Loop: Header=BB375_136 Depth=1
	s_or_b32 exec_lo, exec_lo, s22
	v_lshlrev_b32_e32 v4, 16, v1
	s_delay_alu instid0(VALU_DEP_2) | instskip(SKIP_1) | instid1(VALU_DEP_3)
	v_lshlrev_b32_e32 v10, 20, v10
	v_lshl_add_u32 v3, v3, 23, 0x3c000000
	v_and_b32_e32 v4, 0x80000000, v4
	s_delay_alu instid0(VALU_DEP_1)
	v_or3_b32 v3, v10, v4, v3
.LBB375_185:                            ;   in Loop: Header=BB375_136 Depth=1
	s_or_b32 exec_lo, exec_lo, s21
.LBB375_186:                            ;   in Loop: Header=BB375_136 Depth=1
	s_delay_alu instid0(SALU_CYCLE_1)
	s_or_b32 exec_lo, exec_lo, s20
.LBB375_187:                            ;   in Loop: Header=BB375_136 Depth=1
	s_delay_alu instid0(SALU_CYCLE_1) | instskip(NEXT) | instid1(VALU_DEP_1)
	s_or_b32 exec_lo, exec_lo, s18
	v_mul_f32_e32 v3, s17, v3
	s_mov_b32 s18, exec_lo
                                        ; implicit-def: $vgpr27
	s_delay_alu instid0(VALU_DEP_1) | instskip(NEXT) | instid1(VALU_DEP_1)
	v_and_b32_e32 v4, 0x7f800000, v3
	v_cmpx_ne_u32_e32 0x7f800000, v4
	s_xor_b32 s18, exec_lo, s18
; %bb.188:                              ;   in Loop: Header=BB375_136 Depth=1
	v_bfe_u32 v4, v3, 16, 1
	s_delay_alu instid0(VALU_DEP_1)
	v_add3_u32 v27, v3, v4, 0x7fff
                                        ; implicit-def: $vgpr3
; %bb.189:                              ;   in Loop: Header=BB375_136 Depth=1
	s_and_not1_saveexec_b32 s18, s18
; %bb.190:                              ;   in Loop: Header=BB375_136 Depth=1
	v_and_b32_e32 v4, 0xffff, v3
	v_or_b32_e32 v10, 0x10000, v3
	s_delay_alu instid0(VALU_DEP_2) | instskip(NEXT) | instid1(VALU_DEP_2)
	v_cmp_eq_u32_e32 vcc_lo, 0, v4
	v_cndmask_b32_e32 v27, v10, v3, vcc_lo
; %bb.191:                              ;   in Loop: Header=BB375_136 Depth=1
	s_or_b32 exec_lo, exec_lo, s18
	v_lshrrev_b32_e32 v3, 16, v1
	v_mov_b32_e32 v4, 0
	s_mov_b32 s18, exec_lo
	s_delay_alu instid0(VALU_DEP_2) | instskip(NEXT) | instid1(VALU_DEP_1)
	v_and_b32_e32 v10, 0xff, v3
	v_cmpx_ne_u16_e32 0, v10
	s_cbranch_execz .LBB375_199
; %bb.192:                              ;   in Loop: Header=BB375_136 Depth=1
	v_bfrev_b32_e32 v4, 1
	s_mov_b32 s20, exec_lo
	v_cmpx_ne_u16_e32 0x80, v10
	s_cbranch_execz .LBB375_198
; %bb.193:                              ;   in Loop: Header=BB375_136 Depth=1
	v_bfe_u32 v28, v1, 16, 7
	v_mov_b32_e32 v4, 0x7f800001
	s_mov_b32 s21, exec_lo
	s_delay_alu instid0(VALU_DEP_2)
	v_cmpx_ne_u32_e32 0x7f, v28
	s_cbranch_execz .LBB375_197
; %bb.194:                              ;   in Loop: Header=BB375_136 Depth=1
	v_and_b32_e32 v10, 7, v3
	v_lshrrev_b32_e32 v4, 3, v28
	s_mov_b32 s22, exec_lo
	v_cmpx_gt_u32_e32 8, v28
; %bb.195:                              ;   in Loop: Header=BB375_136 Depth=1
	s_delay_alu instid0(VALU_DEP_3) | instskip(NEXT) | instid1(VALU_DEP_1)
	v_clz_i32_u32_e32 v4, v10
	v_min_u32_e32 v4, 32, v4
	s_delay_alu instid0(VALU_DEP_1) | instskip(SKIP_1) | instid1(VALU_DEP_2)
	v_subrev_nc_u32_e32 v28, 28, v4
	v_sub_nc_u32_e32 v4, 29, v4
	v_lshlrev_b64 v[28:29], v28, v[10:11]
	s_delay_alu instid0(VALU_DEP_1)
	v_and_b32_e32 v10, 7, v28
; %bb.196:                              ;   in Loop: Header=BB375_136 Depth=1
	s_or_b32 exec_lo, exec_lo, s22
	v_lshlrev_b32_e32 v3, 24, v3
	s_delay_alu instid0(VALU_DEP_2) | instskip(SKIP_1) | instid1(VALU_DEP_3)
	v_lshlrev_b32_e32 v10, 20, v10
	v_lshl_add_u32 v4, v4, 23, 0x3c000000
	v_and_b32_e32 v3, 0x80000000, v3
	s_delay_alu instid0(VALU_DEP_1)
	v_or3_b32 v4, v10, v3, v4
.LBB375_197:                            ;   in Loop: Header=BB375_136 Depth=1
	s_or_b32 exec_lo, exec_lo, s21
.LBB375_198:                            ;   in Loop: Header=BB375_136 Depth=1
	s_delay_alu instid0(SALU_CYCLE_1)
	s_or_b32 exec_lo, exec_lo, s20
.LBB375_199:                            ;   in Loop: Header=BB375_136 Depth=1
	s_delay_alu instid0(SALU_CYCLE_1) | instskip(NEXT) | instid1(VALU_DEP_1)
	s_or_b32 exec_lo, exec_lo, s18
	v_mul_f32_e32 v3, s17, v4
	s_mov_b32 s18, exec_lo
                                        ; implicit-def: $vgpr28
	s_delay_alu instid0(VALU_DEP_1) | instskip(NEXT) | instid1(VALU_DEP_1)
	v_and_b32_e32 v4, 0x7f800000, v3
	v_cmpx_ne_u32_e32 0x7f800000, v4
	s_xor_b32 s18, exec_lo, s18
; %bb.200:                              ;   in Loop: Header=BB375_136 Depth=1
	v_bfe_u32 v4, v3, 16, 1
	s_delay_alu instid0(VALU_DEP_1)
	v_add3_u32 v28, v3, v4, 0x7fff
                                        ; implicit-def: $vgpr3
; %bb.201:                              ;   in Loop: Header=BB375_136 Depth=1
	s_and_not1_saveexec_b32 s18, s18
; %bb.202:                              ;   in Loop: Header=BB375_136 Depth=1
	v_and_b32_e32 v4, 0xffff, v3
	v_or_b32_e32 v10, 0x10000, v3
	s_delay_alu instid0(VALU_DEP_2) | instskip(NEXT) | instid1(VALU_DEP_2)
	v_cmp_eq_u32_e32 vcc_lo, 0, v4
	v_cndmask_b32_e32 v28, v10, v3, vcc_lo
; %bb.203:                              ;   in Loop: Header=BB375_136 Depth=1
	s_or_b32 exec_lo, exec_lo, s18
	v_mov_b32_e32 v4, 0
	s_mov_b32 s18, exec_lo
	v_cmpx_lt_u32_e32 0xffffff, v1
	s_cbranch_execz .LBB375_211
; %bb.204:                              ;   in Loop: Header=BB375_136 Depth=1
	v_lshrrev_b32_e32 v3, 24, v1
	v_bfrev_b32_e32 v4, 1
	s_mov_b32 s20, exec_lo
	s_delay_alu instid0(VALU_DEP_2)
	v_cmpx_ne_u32_e32 0x80, v3
	s_cbranch_execz .LBB375_210
; %bb.205:                              ;   in Loop: Header=BB375_136 Depth=1
	v_bfe_u32 v29, v1, 24, 7
	v_mov_b32_e32 v4, 0x7f800001
	s_mov_b32 s21, exec_lo
	s_delay_alu instid0(VALU_DEP_2)
	v_cmpx_ne_u32_e32 0x7f, v29
	s_cbranch_execz .LBB375_209
; %bb.206:                              ;   in Loop: Header=BB375_136 Depth=1
	v_and_b32_e32 v10, 7, v3
	v_lshrrev_b32_e32 v4, 3, v29
	s_mov_b32 s22, exec_lo
	v_cmpx_gt_u32_e32 8, v29
; %bb.207:                              ;   in Loop: Header=BB375_136 Depth=1
	s_delay_alu instid0(VALU_DEP_3) | instskip(NEXT) | instid1(VALU_DEP_1)
	v_clz_i32_u32_e32 v4, v10
	v_min_u32_e32 v4, 32, v4
	s_delay_alu instid0(VALU_DEP_1) | instskip(SKIP_1) | instid1(VALU_DEP_2)
	v_subrev_nc_u32_e32 v29, 28, v4
	v_sub_nc_u32_e32 v4, 29, v4
	v_lshlrev_b64 v[29:30], v29, v[10:11]
	s_delay_alu instid0(VALU_DEP_1)
	v_and_b32_e32 v10, 7, v29
; %bb.208:                              ;   in Loop: Header=BB375_136 Depth=1
	s_or_b32 exec_lo, exec_lo, s22
	v_lshlrev_b32_e32 v3, 24, v3
	s_delay_alu instid0(VALU_DEP_2) | instskip(SKIP_1) | instid1(VALU_DEP_3)
	v_lshlrev_b32_e32 v10, 20, v10
	v_lshl_add_u32 v4, v4, 23, 0x3c000000
	v_and_b32_e32 v3, 0x80000000, v3
	s_delay_alu instid0(VALU_DEP_1)
	v_or3_b32 v4, v10, v3, v4
.LBB375_209:                            ;   in Loop: Header=BB375_136 Depth=1
	s_or_b32 exec_lo, exec_lo, s21
.LBB375_210:                            ;   in Loop: Header=BB375_136 Depth=1
	s_delay_alu instid0(SALU_CYCLE_1)
	s_or_b32 exec_lo, exec_lo, s20
.LBB375_211:                            ;   in Loop: Header=BB375_136 Depth=1
	s_delay_alu instid0(SALU_CYCLE_1) | instskip(NEXT) | instid1(VALU_DEP_1)
	s_or_b32 exec_lo, exec_lo, s18
	v_mul_f32_e32 v3, s17, v4
	s_mov_b32 s18, exec_lo
                                        ; implicit-def: $vgpr29
	s_delay_alu instid0(VALU_DEP_1) | instskip(NEXT) | instid1(VALU_DEP_1)
	v_and_b32_e32 v4, 0x7f800000, v3
	v_cmpx_ne_u32_e32 0x7f800000, v4
	s_xor_b32 s18, exec_lo, s18
; %bb.212:                              ;   in Loop: Header=BB375_136 Depth=1
	v_bfe_u32 v4, v3, 16, 1
	s_delay_alu instid0(VALU_DEP_1)
	v_add3_u32 v29, v3, v4, 0x7fff
                                        ; implicit-def: $vgpr3
; %bb.213:                              ;   in Loop: Header=BB375_136 Depth=1
	s_and_not1_saveexec_b32 s18, s18
; %bb.214:                              ;   in Loop: Header=BB375_136 Depth=1
	v_and_b32_e32 v4, 0xffff, v3
	v_or_b32_e32 v10, 0x10000, v3
	s_delay_alu instid0(VALU_DEP_2) | instskip(NEXT) | instid1(VALU_DEP_2)
	v_cmp_eq_u32_e32 vcc_lo, 0, v4
	v_cndmask_b32_e32 v29, v10, v3, vcc_lo
; %bb.215:                              ;   in Loop: Header=BB375_136 Depth=1
	s_or_b32 exec_lo, exec_lo, s18
	v_dual_mov_b32 v3, 0 :: v_dual_and_b32 v4, 0xff, v2
	v_mov_b32_e32 v10, v2
	s_mov_b32 s18, exec_lo
	s_delay_alu instid0(VALU_DEP_2)
	v_cmpx_ne_u16_e32 0, v4
	s_cbranch_execz .LBB375_221
; %bb.216:                              ;   in Loop: Header=BB375_136 Depth=1
	v_bfrev_b32_e32 v3, 1
	s_mov_b32 s20, exec_lo
	v_cmpx_ne_u16_e32 0x80, v4
	s_cbranch_execz .LBB375_220
; %bb.217:                              ;   in Loop: Header=BB375_136 Depth=1
	v_and_b32_e32 v4, 0x7f, v2
	v_mov_b32_e32 v3, 0x7f800001
	s_mov_b32 s21, exec_lo
	s_delay_alu instid0(VALU_DEP_2)
	v_cmpx_ne_u32_e32 0x7f, v4
	s_cbranch_execz .LBB375_219
; %bb.218:                              ;   in Loop: Header=BB375_136 Depth=1
	v_and_b32_e32 v3, 7, v2
	v_lshrrev_b32_e32 v30, 3, v4
	v_cmp_gt_u32_e32 vcc_lo, 8, v4
	s_delay_alu instid0(VALU_DEP_3) | instskip(NEXT) | instid1(VALU_DEP_1)
	v_clz_i32_u32_e32 v3, v3
	v_min_u32_e32 v3, 32, v3
	s_delay_alu instid0(VALU_DEP_1) | instskip(SKIP_1) | instid1(VALU_DEP_1)
	v_subrev_nc_u32_e32 v31, 28, v3
	v_sub_nc_u32_e32 v3, 29, v3
	v_cndmask_b32_e32 v30, v30, v3, vcc_lo
	s_delay_alu instid0(VALU_DEP_3) | instskip(NEXT) | instid1(VALU_DEP_2)
	v_cndmask_b32_e32 v3, 0, v31, vcc_lo
	v_lshl_add_u32 v30, v30, 23, 0x3c000000
	s_delay_alu instid0(VALU_DEP_2) | instskip(SKIP_1) | instid1(VALU_DEP_2)
	v_lshlrev_b64 v[3:4], v3, v[10:11]
	v_lshlrev_b32_e32 v4, 24, v10
	v_lshlrev_b32_e32 v3, 20, v3
	s_delay_alu instid0(VALU_DEP_2) | instskip(NEXT) | instid1(VALU_DEP_2)
	v_and_b32_e32 v4, 0x80000000, v4
	v_and_b32_e32 v3, 0x700000, v3
	s_delay_alu instid0(VALU_DEP_1)
	v_or3_b32 v3, v3, v4, v30
.LBB375_219:                            ;   in Loop: Header=BB375_136 Depth=1
	s_or_b32 exec_lo, exec_lo, s21
.LBB375_220:                            ;   in Loop: Header=BB375_136 Depth=1
	s_delay_alu instid0(SALU_CYCLE_1)
	s_or_b32 exec_lo, exec_lo, s20
.LBB375_221:                            ;   in Loop: Header=BB375_136 Depth=1
	s_delay_alu instid0(SALU_CYCLE_1) | instskip(NEXT) | instid1(VALU_DEP_1)
	s_or_b32 exec_lo, exec_lo, s18
	v_mul_f32_e32 v3, s17, v3
	s_mov_b32 s18, exec_lo
                                        ; implicit-def: $vgpr30
	s_delay_alu instid0(VALU_DEP_1) | instskip(NEXT) | instid1(VALU_DEP_1)
	v_and_b32_e32 v4, 0x7f800000, v3
	v_cmpx_ne_u32_e32 0x7f800000, v4
	s_xor_b32 s18, exec_lo, s18
; %bb.222:                              ;   in Loop: Header=BB375_136 Depth=1
	v_bfe_u32 v4, v3, 16, 1
	s_delay_alu instid0(VALU_DEP_1)
	v_add3_u32 v30, v3, v4, 0x7fff
                                        ; implicit-def: $vgpr3
; %bb.223:                              ;   in Loop: Header=BB375_136 Depth=1
	s_and_not1_saveexec_b32 s18, s18
; %bb.224:                              ;   in Loop: Header=BB375_136 Depth=1
	v_and_b32_e32 v4, 0xffff, v3
	v_or_b32_e32 v30, 0x10000, v3
	s_delay_alu instid0(VALU_DEP_2) | instskip(NEXT) | instid1(VALU_DEP_2)
	v_cmp_eq_u32_e32 vcc_lo, 0, v4
	v_cndmask_b32_e32 v30, v30, v3, vcc_lo
; %bb.225:                              ;   in Loop: Header=BB375_136 Depth=1
	s_or_b32 exec_lo, exec_lo, s18
	v_lshrrev_b16 v4, 8, v10
	v_mov_b32_e32 v3, 0
	s_mov_b32 s18, exec_lo
	s_delay_alu instid0(VALU_DEP_2)
	v_cmpx_ne_u16_e32 0, v4
	s_cbranch_execz .LBB375_233
; %bb.226:                              ;   in Loop: Header=BB375_136 Depth=1
	v_bfrev_b32_e32 v3, 1
	s_mov_b32 s20, exec_lo
	v_cmpx_ne_u16_e32 0x80, v4
	s_cbranch_execz .LBB375_232
; %bb.227:                              ;   in Loop: Header=BB375_136 Depth=1
	v_and_b32_e32 v4, 0xffff, v4
	v_mov_b32_e32 v3, 0x7f800001
	s_mov_b32 s21, exec_lo
	s_delay_alu instid0(VALU_DEP_2) | instskip(NEXT) | instid1(VALU_DEP_1)
	v_and_b32_e32 v32, 0x7f, v4
	v_cmpx_ne_u32_e32 0x7f, v32
	s_cbranch_execz .LBB375_231
; %bb.228:                              ;   in Loop: Header=BB375_136 Depth=1
	v_dual_mov_b32 v4, v11 :: v_dual_and_b32 v3, 7, v4
	v_lshrrev_b32_e32 v31, 3, v32
	s_mov_b32 s22, exec_lo
	v_cmpx_gt_u32_e32 8, v32
; %bb.229:                              ;   in Loop: Header=BB375_136 Depth=1
	s_delay_alu instid0(VALU_DEP_3) | instskip(NEXT) | instid1(VALU_DEP_1)
	v_clz_i32_u32_e32 v31, v3
	v_min_u32_e32 v31, 32, v31
	s_delay_alu instid0(VALU_DEP_1) | instskip(SKIP_1) | instid1(VALU_DEP_2)
	v_subrev_nc_u32_e32 v32, 28, v31
	v_sub_nc_u32_e32 v31, 29, v31
	v_lshlrev_b64 v[3:4], v32, v[3:4]
	s_delay_alu instid0(VALU_DEP_1)
	v_and_b32_e32 v3, 7, v3
; %bb.230:                              ;   in Loop: Header=BB375_136 Depth=1
	s_or_b32 exec_lo, exec_lo, s22
	v_lshlrev_b32_e32 v4, 16, v10
	s_delay_alu instid0(VALU_DEP_2) | instskip(SKIP_1) | instid1(VALU_DEP_3)
	v_lshlrev_b32_e32 v3, 20, v3
	v_lshl_add_u32 v10, v31, 23, 0x3c000000
	v_and_b32_e32 v4, 0x80000000, v4
	s_delay_alu instid0(VALU_DEP_1)
	v_or3_b32 v3, v3, v4, v10
.LBB375_231:                            ;   in Loop: Header=BB375_136 Depth=1
	s_or_b32 exec_lo, exec_lo, s21
.LBB375_232:                            ;   in Loop: Header=BB375_136 Depth=1
	s_delay_alu instid0(SALU_CYCLE_1)
	s_or_b32 exec_lo, exec_lo, s20
.LBB375_233:                            ;   in Loop: Header=BB375_136 Depth=1
	s_delay_alu instid0(SALU_CYCLE_1) | instskip(NEXT) | instid1(VALU_DEP_1)
	s_or_b32 exec_lo, exec_lo, s18
	v_mul_f32_e32 v4, s17, v3
	s_delay_alu instid0(VALU_DEP_1) | instskip(NEXT) | instid1(VALU_DEP_1)
	v_and_b32_e32 v3, 0x7f800000, v4
	v_cmp_ne_u32_e32 vcc_lo, 0x7f800000, v3
                                        ; implicit-def: $vgpr3
	s_and_saveexec_b32 s18, vcc_lo
	s_delay_alu instid0(SALU_CYCLE_1)
	s_xor_b32 s18, exec_lo, s18
; %bb.234:                              ;   in Loop: Header=BB375_136 Depth=1
	v_bfe_u32 v3, v4, 16, 1
	s_delay_alu instid0(VALU_DEP_1)
	v_add3_u32 v3, v4, v3, 0x7fff
                                        ; implicit-def: $vgpr4
; %bb.235:                              ;   in Loop: Header=BB375_136 Depth=1
	s_and_not1_saveexec_b32 s18, s18
; %bb.236:                              ;   in Loop: Header=BB375_136 Depth=1
	v_and_b32_e32 v3, 0xffff, v4
	v_or_b32_e32 v10, 0x10000, v4
	s_delay_alu instid0(VALU_DEP_2) | instskip(NEXT) | instid1(VALU_DEP_2)
	v_cmp_eq_u32_e32 vcc_lo, 0, v3
	v_cndmask_b32_e32 v3, v10, v4, vcc_lo
; %bb.237:                              ;   in Loop: Header=BB375_136 Depth=1
	s_or_b32 exec_lo, exec_lo, s18
	v_lshrrev_b32_e32 v4, 16, v2
	s_mov_b32 s18, exec_lo
	s_delay_alu instid0(VALU_DEP_1) | instskip(NEXT) | instid1(VALU_DEP_1)
	v_dual_mov_b32 v10, 0 :: v_dual_and_b32 v31, 0xff, v4
	v_cmpx_ne_u16_e32 0, v31
	s_cbranch_execz .LBB375_245
; %bb.238:                              ;   in Loop: Header=BB375_136 Depth=1
	v_bfrev_b32_e32 v10, 1
	s_mov_b32 s20, exec_lo
	v_cmpx_ne_u16_e32 0x80, v31
	s_cbranch_execz .LBB375_244
; %bb.239:                              ;   in Loop: Header=BB375_136 Depth=1
	v_bfe_u32 v32, v2, 16, 7
	v_mov_b32_e32 v10, 0x7f800001
	s_mov_b32 s21, exec_lo
	s_delay_alu instid0(VALU_DEP_2)
	v_cmpx_ne_u32_e32 0x7f, v32
	s_cbranch_execz .LBB375_243
; %bb.240:                              ;   in Loop: Header=BB375_136 Depth=1
	v_and_b32_e32 v10, 7, v4
	v_lshrrev_b32_e32 v31, 3, v32
	s_mov_b32 s22, exec_lo
	v_cmpx_gt_u32_e32 8, v32
; %bb.241:                              ;   in Loop: Header=BB375_136 Depth=1
	s_delay_alu instid0(VALU_DEP_3) | instskip(NEXT) | instid1(VALU_DEP_1)
	v_clz_i32_u32_e32 v31, v10
	v_min_u32_e32 v31, 32, v31
	s_delay_alu instid0(VALU_DEP_1) | instskip(SKIP_1) | instid1(VALU_DEP_2)
	v_subrev_nc_u32_e32 v32, 28, v31
	v_sub_nc_u32_e32 v31, 29, v31
	v_lshlrev_b64 v[32:33], v32, v[10:11]
	s_delay_alu instid0(VALU_DEP_1)
	v_and_b32_e32 v10, 7, v32
; %bb.242:                              ;   in Loop: Header=BB375_136 Depth=1
	s_or_b32 exec_lo, exec_lo, s22
	v_lshlrev_b32_e32 v4, 24, v4
	s_delay_alu instid0(VALU_DEP_2) | instskip(SKIP_1) | instid1(VALU_DEP_3)
	v_lshlrev_b32_e32 v10, 20, v10
	v_lshl_add_u32 v31, v31, 23, 0x3c000000
	v_and_b32_e32 v4, 0x80000000, v4
	s_delay_alu instid0(VALU_DEP_1)
	v_or3_b32 v10, v10, v4, v31
.LBB375_243:                            ;   in Loop: Header=BB375_136 Depth=1
	s_or_b32 exec_lo, exec_lo, s21
.LBB375_244:                            ;   in Loop: Header=BB375_136 Depth=1
	s_delay_alu instid0(SALU_CYCLE_1)
	s_or_b32 exec_lo, exec_lo, s20
.LBB375_245:                            ;   in Loop: Header=BB375_136 Depth=1
	s_delay_alu instid0(SALU_CYCLE_1) | instskip(NEXT) | instid1(VALU_DEP_1)
	s_or_b32 exec_lo, exec_lo, s18
	v_mul_f32_e32 v4, s17, v10
	s_mov_b32 s18, exec_lo
                                        ; implicit-def: $vgpr31
	s_delay_alu instid0(VALU_DEP_1) | instskip(NEXT) | instid1(VALU_DEP_1)
	v_and_b32_e32 v10, 0x7f800000, v4
	v_cmpx_ne_u32_e32 0x7f800000, v10
	s_xor_b32 s18, exec_lo, s18
; %bb.246:                              ;   in Loop: Header=BB375_136 Depth=1
	v_bfe_u32 v10, v4, 16, 1
	s_delay_alu instid0(VALU_DEP_1)
	v_add3_u32 v31, v4, v10, 0x7fff
                                        ; implicit-def: $vgpr4
; %bb.247:                              ;   in Loop: Header=BB375_136 Depth=1
	s_and_not1_saveexec_b32 s18, s18
; %bb.248:                              ;   in Loop: Header=BB375_136 Depth=1
	v_and_b32_e32 v10, 0xffff, v4
	v_or_b32_e32 v31, 0x10000, v4
	s_delay_alu instid0(VALU_DEP_2) | instskip(NEXT) | instid1(VALU_DEP_2)
	v_cmp_eq_u32_e32 vcc_lo, 0, v10
	v_cndmask_b32_e32 v31, v31, v4, vcc_lo
; %bb.249:                              ;   in Loop: Header=BB375_136 Depth=1
	s_or_b32 exec_lo, exec_lo, s18
	v_mov_b32_e32 v4, 0
	s_mov_b32 s18, exec_lo
	v_cmpx_lt_u64_e64 s[2:3], v[1:2]
	s_cbranch_execz .LBB375_257
; %bb.250:                              ;   in Loop: Header=BB375_136 Depth=1
	v_lshrrev_b32_e32 v1, 24, v2
	v_bfrev_b32_e32 v4, 1
	s_mov_b32 s20, exec_lo
	s_delay_alu instid0(VALU_DEP_2)
	v_cmpx_ne_u32_e32 0x80, v1
	s_cbranch_execz .LBB375_256
; %bb.251:                              ;   in Loop: Header=BB375_136 Depth=1
	v_bfe_u32 v32, v2, 24, 7
	v_mov_b32_e32 v4, 0x7f800001
	s_mov_b32 s21, exec_lo
	s_delay_alu instid0(VALU_DEP_2)
	v_cmpx_ne_u32_e32 0x7f, v32
	s_cbranch_execz .LBB375_255
; %bb.252:                              ;   in Loop: Header=BB375_136 Depth=1
	v_and_b32_e32 v10, 7, v1
	v_lshrrev_b32_e32 v2, 3, v32
	s_mov_b32 s22, exec_lo
	v_cmpx_gt_u32_e32 8, v32
; %bb.253:                              ;   in Loop: Header=BB375_136 Depth=1
	s_delay_alu instid0(VALU_DEP_3) | instskip(NEXT) | instid1(VALU_DEP_1)
	v_clz_i32_u32_e32 v2, v10
	v_min_u32_e32 v2, 32, v2
	s_delay_alu instid0(VALU_DEP_1) | instskip(SKIP_1) | instid1(VALU_DEP_2)
	v_subrev_nc_u32_e32 v4, 28, v2
	v_sub_nc_u32_e32 v2, 29, v2
	v_lshlrev_b64 v[32:33], v4, v[10:11]
	s_delay_alu instid0(VALU_DEP_1)
	v_and_b32_e32 v10, 7, v32
; %bb.254:                              ;   in Loop: Header=BB375_136 Depth=1
	s_or_b32 exec_lo, exec_lo, s22
	v_lshlrev_b32_e32 v1, 24, v1
	s_delay_alu instid0(VALU_DEP_2) | instskip(SKIP_1) | instid1(VALU_DEP_3)
	v_lshlrev_b32_e32 v4, 20, v10
	v_lshl_add_u32 v2, v2, 23, 0x3c000000
	v_and_b32_e32 v1, 0x80000000, v1
	s_delay_alu instid0(VALU_DEP_1)
	v_or3_b32 v4, v4, v1, v2
.LBB375_255:                            ;   in Loop: Header=BB375_136 Depth=1
	s_or_b32 exec_lo, exec_lo, s21
.LBB375_256:                            ;   in Loop: Header=BB375_136 Depth=1
	s_delay_alu instid0(SALU_CYCLE_1)
	s_or_b32 exec_lo, exec_lo, s20
.LBB375_257:                            ;   in Loop: Header=BB375_136 Depth=1
	s_delay_alu instid0(SALU_CYCLE_1) | instskip(NEXT) | instid1(VALU_DEP_1)
	s_or_b32 exec_lo, exec_lo, s18
	v_mul_f32_e32 v2, s17, v4
	s_delay_alu instid0(VALU_DEP_1) | instskip(NEXT) | instid1(VALU_DEP_1)
	v_and_b32_e32 v1, 0x7f800000, v2
	v_cmp_ne_u32_e32 vcc_lo, 0x7f800000, v1
                                        ; implicit-def: $vgpr1
	s_and_saveexec_b32 s17, vcc_lo
	s_delay_alu instid0(SALU_CYCLE_1)
	s_xor_b32 s17, exec_lo, s17
; %bb.258:                              ;   in Loop: Header=BB375_136 Depth=1
	v_bfe_u32 v1, v2, 16, 1
	s_delay_alu instid0(VALU_DEP_1)
	v_add3_u32 v1, v2, v1, 0x7fff
                                        ; implicit-def: $vgpr2
; %bb.259:                              ;   in Loop: Header=BB375_136 Depth=1
	s_and_not1_saveexec_b32 s17, s17
; %bb.260:                              ;   in Loop: Header=BB375_136 Depth=1
	v_and_b32_e32 v1, 0xffff, v2
	v_or_b32_e32 v4, 0x10000, v2
	s_delay_alu instid0(VALU_DEP_2) | instskip(NEXT) | instid1(VALU_DEP_2)
	v_cmp_eq_u32_e32 vcc_lo, 0, v1
	v_cndmask_b32_e32 v1, v4, v2, vcc_lo
; %bb.261:                              ;   in Loop: Header=BB375_136 Depth=1
	s_or_b32 exec_lo, exec_lo, s17
	v_lshrrev_b32_e32 v4, 16, v3
	v_lshrrev_b32_e32 v30, 16, v30
	;; [unrolled: 1-line block ×8, first 2 shown]
	s_mov_b32 s17, exec_lo
	v_cmpx_eq_u32_e64 s13, v9
	s_cbranch_execz .LBB375_263
; %bb.262:                              ;   in Loop: Header=BB375_136 Depth=1
	v_cmp_gt_i32_e32 vcc_lo, s15, v17
	v_dual_cndmask_b32 v3, 0, v3 :: v_dual_add_nc_u32 v26, 1, v17
	s_delay_alu instid0(VALU_DEP_1) | instskip(SKIP_3) | instid1(VALU_DEP_3)
	v_cmp_gt_i32_e32 vcc_lo, s15, v26
	v_add_nc_u32_e32 v27, 2, v17
	v_add_nc_u32_e32 v26, 4, v17
	v_cndmask_b32_e32 v10, 0, v10, vcc_lo
	v_cmp_gt_i32_e32 vcc_lo, s15, v27
	v_add_nc_u32_e32 v31, 3, v17
	v_dual_cndmask_b32 v28, 0, v28 :: v_dual_add_nc_u32 v27, 5, v17
	s_delay_alu instid0(VALU_DEP_2)
	v_cmp_gt_i32_e32 vcc_lo, s15, v31
	v_add_nc_u32_e32 v31, 6, v17
	v_cndmask_b32_e32 v29, 0, v29, vcc_lo
	v_cmp_gt_i32_e32 vcc_lo, s15, v26
	v_add_nc_u32_e32 v26, 7, v17
	v_cndmask_b32_e32 v30, 0, v30, vcc_lo
	v_cmp_gt_i32_e32 vcc_lo, s15, v27
	v_cndmask_b32_e32 v4, 0, v4, vcc_lo
	v_cmp_gt_i32_e32 vcc_lo, s15, v31
	;; [unrolled: 2-line block ×3, first 2 shown]
	v_cndmask_b32_e32 v1, 0, v1, vcc_lo
.LBB375_263:                            ;   in Loop: Header=BB375_136 Depth=1
	s_or_b32 exec_lo, exec_lo, s17
	v_and_b32_e32 v25, 0xffff0000, v25
	v_lshlrev_b32_e32 v3, 16, v3
	s_delay_alu instid0(VALU_DEP_1) | instskip(NEXT) | instid1(VALU_DEP_1)
	v_mul_f32_e32 v25, v25, v3
	v_and_b32_e32 v3, 0x7f800000, v25
	s_delay_alu instid0(VALU_DEP_1) | instskip(SKIP_1) | instid1(SALU_CYCLE_1)
	v_cmp_ne_u32_e32 vcc_lo, 0x7f800000, v3
                                        ; implicit-def: $vgpr3
	s_and_saveexec_b32 s17, vcc_lo
	s_xor_b32 s17, exec_lo, s17
; %bb.264:                              ;   in Loop: Header=BB375_136 Depth=1
	v_bfe_u32 v3, v25, 16, 1
	s_delay_alu instid0(VALU_DEP_1)
	v_add3_u32 v3, v25, v3, 0x7fff
                                        ; implicit-def: $vgpr25
; %bb.265:                              ;   in Loop: Header=BB375_136 Depth=1
	s_and_not1_saveexec_b32 s17, s17
; %bb.266:                              ;   in Loop: Header=BB375_136 Depth=1
	v_and_b32_e32 v3, 0xffff, v25
	v_or_b32_e32 v26, 0x10000, v25
	s_delay_alu instid0(VALU_DEP_2) | instskip(NEXT) | instid1(VALU_DEP_2)
	v_cmp_eq_u32_e32 vcc_lo, 0, v3
	v_cndmask_b32_e32 v3, v26, v25, vcc_lo
; %bb.267:                              ;   in Loop: Header=BB375_136 Depth=1
	s_or_b32 exec_lo, exec_lo, s17
	v_and_b32_e32 v24, 0xffff0000, v24
	v_lshlrev_b32_e32 v10, 16, v10
	s_delay_alu instid0(VALU_DEP_1) | instskip(NEXT) | instid1(VALU_DEP_1)
	v_mul_f32_e32 v24, v24, v10
	v_and_b32_e32 v10, 0x7f800000, v24
	s_delay_alu instid0(VALU_DEP_1) | instskip(SKIP_1) | instid1(SALU_CYCLE_1)
	v_cmp_ne_u32_e32 vcc_lo, 0x7f800000, v10
                                        ; implicit-def: $vgpr10
	s_and_saveexec_b32 s17, vcc_lo
	s_xor_b32 s17, exec_lo, s17
; %bb.268:                              ;   in Loop: Header=BB375_136 Depth=1
	v_bfe_u32 v10, v24, 16, 1
	s_delay_alu instid0(VALU_DEP_1)
	v_add3_u32 v10, v24, v10, 0x7fff
                                        ; implicit-def: $vgpr24
; %bb.269:                              ;   in Loop: Header=BB375_136 Depth=1
	s_and_not1_saveexec_b32 s17, s17
; %bb.270:                              ;   in Loop: Header=BB375_136 Depth=1
	v_and_b32_e32 v10, 0xffff, v24
	v_or_b32_e32 v25, 0x10000, v24
	s_delay_alu instid0(VALU_DEP_2) | instskip(NEXT) | instid1(VALU_DEP_2)
	v_cmp_eq_u32_e32 vcc_lo, 0, v10
	v_cndmask_b32_e32 v10, v25, v24, vcc_lo
; %bb.271:                              ;   in Loop: Header=BB375_136 Depth=1
	s_or_b32 exec_lo, exec_lo, s17
	v_and_b32_e32 v23, 0xffff0000, v23
	v_lshlrev_b32_e32 v24, 16, v28
	s_delay_alu instid0(VALU_DEP_1) | instskip(NEXT) | instid1(VALU_DEP_1)
	v_mul_f32_e32 v24, v23, v24
	v_and_b32_e32 v23, 0x7f800000, v24
	s_delay_alu instid0(VALU_DEP_1) | instskip(SKIP_1) | instid1(SALU_CYCLE_1)
	v_cmp_ne_u32_e32 vcc_lo, 0x7f800000, v23
                                        ; implicit-def: $vgpr23
	s_and_saveexec_b32 s17, vcc_lo
	s_xor_b32 s17, exec_lo, s17
; %bb.272:                              ;   in Loop: Header=BB375_136 Depth=1
	v_bfe_u32 v23, v24, 16, 1
	s_delay_alu instid0(VALU_DEP_1)
	v_add3_u32 v23, v24, v23, 0x7fff
                                        ; implicit-def: $vgpr24
; %bb.273:                              ;   in Loop: Header=BB375_136 Depth=1
	s_and_not1_saveexec_b32 s17, s17
; %bb.274:                              ;   in Loop: Header=BB375_136 Depth=1
	v_and_b32_e32 v23, 0xffff, v24
	v_or_b32_e32 v25, 0x10000, v24
	s_delay_alu instid0(VALU_DEP_2) | instskip(NEXT) | instid1(VALU_DEP_2)
	v_cmp_eq_u32_e32 vcc_lo, 0, v23
	v_cndmask_b32_e32 v23, v25, v24, vcc_lo
; %bb.275:                              ;   in Loop: Header=BB375_136 Depth=1
	s_or_b32 exec_lo, exec_lo, s17
	v_and_b32_e32 v22, 0xffff0000, v22
	v_lshlrev_b32_e32 v24, 16, v29
	s_delay_alu instid0(VALU_DEP_1) | instskip(NEXT) | instid1(VALU_DEP_1)
	v_mul_f32_e32 v24, v22, v24
	v_and_b32_e32 v22, 0x7f800000, v24
	s_delay_alu instid0(VALU_DEP_1) | instskip(SKIP_1) | instid1(SALU_CYCLE_1)
	v_cmp_ne_u32_e32 vcc_lo, 0x7f800000, v22
                                        ; implicit-def: $vgpr22
	s_and_saveexec_b32 s17, vcc_lo
	s_xor_b32 s17, exec_lo, s17
; %bb.276:                              ;   in Loop: Header=BB375_136 Depth=1
	v_bfe_u32 v22, v24, 16, 1
	s_delay_alu instid0(VALU_DEP_1)
	v_add3_u32 v22, v24, v22, 0x7fff
                                        ; implicit-def: $vgpr24
; %bb.277:                              ;   in Loop: Header=BB375_136 Depth=1
	s_and_not1_saveexec_b32 s17, s17
; %bb.278:                              ;   in Loop: Header=BB375_136 Depth=1
	v_and_b32_e32 v22, 0xffff, v24
	v_or_b32_e32 v25, 0x10000, v24
	s_delay_alu instid0(VALU_DEP_2) | instskip(NEXT) | instid1(VALU_DEP_2)
	v_cmp_eq_u32_e32 vcc_lo, 0, v22
	v_cndmask_b32_e32 v22, v25, v24, vcc_lo
; %bb.279:                              ;   in Loop: Header=BB375_136 Depth=1
	s_or_b32 exec_lo, exec_lo, s17
	v_and_b32_e32 v8, 0xffff0000, v8
	v_lshlrev_b32_e32 v24, 16, v30
	s_delay_alu instid0(VALU_DEP_1) | instskip(NEXT) | instid1(VALU_DEP_1)
	v_mul_f32_e32 v24, v8, v24
	v_and_b32_e32 v8, 0x7f800000, v24
	s_delay_alu instid0(VALU_DEP_1) | instskip(SKIP_1) | instid1(SALU_CYCLE_1)
	v_cmp_ne_u32_e32 vcc_lo, 0x7f800000, v8
                                        ; implicit-def: $vgpr8
	s_and_saveexec_b32 s17, vcc_lo
	s_xor_b32 s17, exec_lo, s17
; %bb.280:                              ;   in Loop: Header=BB375_136 Depth=1
	v_bfe_u32 v8, v24, 16, 1
	s_delay_alu instid0(VALU_DEP_1)
	v_add3_u32 v8, v24, v8, 0x7fff
                                        ; implicit-def: $vgpr24
; %bb.281:                              ;   in Loop: Header=BB375_136 Depth=1
	s_and_not1_saveexec_b32 s17, s17
; %bb.282:                              ;   in Loop: Header=BB375_136 Depth=1
	v_and_b32_e32 v8, 0xffff, v24
	v_or_b32_e32 v25, 0x10000, v24
	s_delay_alu instid0(VALU_DEP_2) | instskip(NEXT) | instid1(VALU_DEP_2)
	v_cmp_eq_u32_e32 vcc_lo, 0, v8
	v_cndmask_b32_e32 v8, v25, v24, vcc_lo
; %bb.283:                              ;   in Loop: Header=BB375_136 Depth=1
	s_or_b32 exec_lo, exec_lo, s17
	v_and_b32_e32 v7, 0xffff0000, v7
	v_lshlrev_b32_e32 v4, 16, v4
	s_delay_alu instid0(VALU_DEP_1) | instskip(NEXT) | instid1(VALU_DEP_1)
	v_mul_f32_e32 v7, v7, v4
	v_and_b32_e32 v4, 0x7f800000, v7
	s_delay_alu instid0(VALU_DEP_1) | instskip(SKIP_1) | instid1(SALU_CYCLE_1)
	v_cmp_ne_u32_e32 vcc_lo, 0x7f800000, v4
                                        ; implicit-def: $vgpr4
	s_and_saveexec_b32 s17, vcc_lo
	s_xor_b32 s17, exec_lo, s17
; %bb.284:                              ;   in Loop: Header=BB375_136 Depth=1
	v_bfe_u32 v4, v7, 16, 1
	s_delay_alu instid0(VALU_DEP_1)
	v_add3_u32 v4, v7, v4, 0x7fff
                                        ; implicit-def: $vgpr7
; %bb.285:                              ;   in Loop: Header=BB375_136 Depth=1
	s_and_not1_saveexec_b32 s17, s17
; %bb.286:                              ;   in Loop: Header=BB375_136 Depth=1
	v_and_b32_e32 v4, 0xffff, v7
	v_or_b32_e32 v24, 0x10000, v7
	s_delay_alu instid0(VALU_DEP_2) | instskip(NEXT) | instid1(VALU_DEP_2)
	v_cmp_eq_u32_e32 vcc_lo, 0, v4
	v_cndmask_b32_e32 v4, v24, v7, vcc_lo
; %bb.287:                              ;   in Loop: Header=BB375_136 Depth=1
	s_or_b32 exec_lo, exec_lo, s17
	v_and_b32_e32 v6, 0xffff0000, v6
	v_lshlrev_b32_e32 v2, 16, v2
	s_delay_alu instid0(VALU_DEP_1) | instskip(NEXT) | instid1(VALU_DEP_1)
	v_mul_f32_e32 v6, v6, v2
	v_and_b32_e32 v2, 0x7f800000, v6
	s_delay_alu instid0(VALU_DEP_1) | instskip(SKIP_1) | instid1(SALU_CYCLE_1)
	v_cmp_ne_u32_e32 vcc_lo, 0x7f800000, v2
                                        ; implicit-def: $vgpr2
	s_and_saveexec_b32 s17, vcc_lo
	s_xor_b32 s17, exec_lo, s17
; %bb.288:                              ;   in Loop: Header=BB375_136 Depth=1
	v_bfe_u32 v2, v6, 16, 1
	s_delay_alu instid0(VALU_DEP_1)
	v_add3_u32 v2, v6, v2, 0x7fff
                                        ; implicit-def: $vgpr6
; %bb.289:                              ;   in Loop: Header=BB375_136 Depth=1
	s_and_not1_saveexec_b32 s17, s17
; %bb.290:                              ;   in Loop: Header=BB375_136 Depth=1
	v_and_b32_e32 v2, 0xffff, v6
	v_or_b32_e32 v7, 0x10000, v6
	s_delay_alu instid0(VALU_DEP_2) | instskip(NEXT) | instid1(VALU_DEP_2)
	v_cmp_eq_u32_e32 vcc_lo, 0, v2
	v_cndmask_b32_e32 v2, v7, v6, vcc_lo
; %bb.291:                              ;   in Loop: Header=BB375_136 Depth=1
	s_or_b32 exec_lo, exec_lo, s17
	v_and_b32_e32 v5, 0xffff0000, v5
	v_lshlrev_b32_e32 v1, 16, v1
	s_delay_alu instid0(VALU_DEP_1) | instskip(NEXT) | instid1(VALU_DEP_1)
	v_mul_f32_e32 v5, v5, v1
	v_and_b32_e32 v1, 0x7f800000, v5
	s_delay_alu instid0(VALU_DEP_1) | instskip(SKIP_1) | instid1(SALU_CYCLE_1)
	v_cmp_ne_u32_e32 vcc_lo, 0x7f800000, v1
                                        ; implicit-def: $vgpr1
	s_and_saveexec_b32 s17, vcc_lo
	s_xor_b32 s17, exec_lo, s17
; %bb.292:                              ;   in Loop: Header=BB375_136 Depth=1
	v_bfe_u32 v1, v5, 16, 1
	s_delay_alu instid0(VALU_DEP_1)
	v_add3_u32 v1, v5, v1, 0x7fff
                                        ; implicit-def: $vgpr5
; %bb.293:                              ;   in Loop: Header=BB375_136 Depth=1
	s_and_not1_saveexec_b32 s17, s17
	s_cbranch_execz .LBB375_134
; %bb.294:                              ;   in Loop: Header=BB375_136 Depth=1
	v_and_b32_e32 v1, 0xffff, v5
	v_or_b32_e32 v6, 0x10000, v5
	s_delay_alu instid0(VALU_DEP_2) | instskip(NEXT) | instid1(VALU_DEP_2)
	v_cmp_eq_u32_e32 vcc_lo, 0, v1
	v_cndmask_b32_e32 v1, v6, v5, vcc_lo
	s_branch .LBB375_134
.LBB375_295:
	s_or_b32 exec_lo, exec_lo, s9
.LBB375_296:
	s_delay_alu instid0(SALU_CYCLE_1)
	s_or_b32 exec_lo, exec_lo, s1
	v_and_b32_e32 v2, 0x3c0, v0
	v_lshl_add_u32 v1, v18, 2, 0x60
	s_mov_b32 s0, exec_lo
	s_waitcnt_vscnt null, 0x0
	s_barrier
	buffer_gl0_inv
	v_cmpx_eq_u32_e32 64, v2
	s_cbranch_execz .LBB375_298
; %bb.297:
	v_lshlrev_b32_e32 v2, 7, v16
	s_delay_alu instid0(VALU_DEP_1)
	v_add3_u32 v2, v1, v2, 0xffffff00
	ds_store_b32 v2, v19
.LBB375_298:
	s_or_b32 exec_lo, exec_lo, s0
	v_and_b32_e32 v3, 0x3e0, v0
	s_mov_b32 s0, exec_lo
	s_waitcnt lgkmcnt(0)
	s_barrier
	buffer_gl0_inv
	v_lshl_add_u32 v2, v3, 2, v1
	v_cmpx_gt_u32_e32 64, v0
	s_cbranch_execz .LBB375_300
; %bb.299:
	ds_load_b32 v4, v2
	s_waitcnt lgkmcnt(0)
	v_add_f32_e32 v19, v19, v4
.LBB375_300:
	s_or_b32 exec_lo, exec_lo, s0
	s_delay_alu instid0(SALU_CYCLE_1)
	s_mov_b32 s0, exec_lo
	s_barrier
	buffer_gl0_inv
	v_cmpx_eq_u32_e32 32, v3
	s_cbranch_execz .LBB375_302
; %bb.301:
	ds_store_b32 v1, v19
.LBB375_302:
	s_or_b32 exec_lo, exec_lo, s0
	v_cmp_gt_u32_e32 vcc_lo, 32, v0
	s_waitcnt lgkmcnt(0)
	s_barrier
	buffer_gl0_inv
	s_and_saveexec_b32 s0, vcc_lo
	s_cbranch_execz .LBB375_304
; %bb.303:
	ds_load_b32 v0, v2
	s_waitcnt lgkmcnt(0)
	v_add_f32_e32 v19, v19, v0
.LBB375_304:
	s_or_b32 exec_lo, exec_lo, s0
	s_barrier
	buffer_gl0_inv
	s_and_saveexec_b32 s0, vcc_lo
	s_cbranch_execz .LBB375_310
; %bb.305:
	v_and_b32_e32 v0, 0x7f800000, v19
	s_delay_alu instid0(VALU_DEP_1) | instskip(SKIP_1) | instid1(SALU_CYCLE_1)
	v_cmp_ne_u32_e32 vcc_lo, 0x7f800000, v0
                                        ; implicit-def: $vgpr0
	s_and_saveexec_b32 s0, vcc_lo
	s_xor_b32 s0, exec_lo, s0
; %bb.306:
	v_bfe_u32 v0, v19, 16, 1
	s_delay_alu instid0(VALU_DEP_1)
	v_add3_u32 v0, v19, v0, 0x7fff
                                        ; implicit-def: $vgpr19
; %bb.307:
	s_and_not1_saveexec_b32 s0, s0
; %bb.308:
	v_and_b32_e32 v0, 0xffff, v19
	v_or_b32_e32 v1, 0x10000, v19
	s_delay_alu instid0(VALU_DEP_2) | instskip(NEXT) | instid1(VALU_DEP_2)
	v_cmp_eq_u32_e32 vcc_lo, 0, v0
	v_cndmask_b32_e32 v0, v1, v19, vcc_lo
; %bb.309:
	s_or_b32 exec_lo, exec_lo, s0
	s_lshl_b32 s0, s4, 5
	s_mul_i32 s2, s8, s24
	s_ashr_i32 s1, s0, 31
	v_lshlrev_b32_e32 v1, 1, v18
	s_lshl_b64 s[0:1], s[0:1], 1
	s_delay_alu instid0(SALU_CYCLE_1) | instskip(SKIP_2) | instid1(SALU_CYCLE_1)
	s_add_u32 s4, s26, s0
	s_addc_u32 s5, s27, s1
	s_ashr_i32 s3, s2, 31
	s_lshl_b64 s[0:1], s[2:3], 1
	s_delay_alu instid0(SALU_CYCLE_1) | instskip(SKIP_2) | instid1(SALU_CYCLE_1)
	s_add_u32 s2, s4, s0
	s_addc_u32 s3, s5, s1
	s_lshl_b32 s0, s12, 5
	s_ashr_i32 s1, s0, 31
	s_delay_alu instid0(SALU_CYCLE_1) | instskip(NEXT) | instid1(SALU_CYCLE_1)
	s_lshl_b64 s[0:1], s[0:1], 1
	s_add_u32 s0, s2, s0
	s_addc_u32 s1, s3, s1
	global_store_d16_hi_b16 v1, v0, s[0:1]
.LBB375_310:
	s_nop 0
	s_sendmsg sendmsg(MSG_DEALLOC_VGPRS)
	s_endpgm
	.section	.rodata,"a",@progbits
	.p2align	6, 0x0
	.amdhsa_kernel _ZN4vllm25paged_attention_v2_kernelI14__hip_bfloat16hLi32ELi8ELi128ELNS_18Fp8KVCacheDataTypeE1ELb1ELi512EEEvPfS3_PT_PKS4_PKT0_SA_ifPKiSC_iPKfiiiSE_SE_iiiii
		.amdhsa_group_segment_fixed_size 96
		.amdhsa_private_segment_fixed_size 0
		.amdhsa_kernarg_size 400
		.amdhsa_user_sgpr_count 13
		.amdhsa_user_sgpr_dispatch_ptr 0
		.amdhsa_user_sgpr_queue_ptr 0
		.amdhsa_user_sgpr_kernarg_segment_ptr 1
		.amdhsa_user_sgpr_dispatch_id 0
		.amdhsa_user_sgpr_private_segment_size 0
		.amdhsa_wavefront_size32 1
		.amdhsa_uses_dynamic_stack 0
		.amdhsa_enable_private_segment 0
		.amdhsa_system_sgpr_workgroup_id_x 1
		.amdhsa_system_sgpr_workgroup_id_y 1
		.amdhsa_system_sgpr_workgroup_id_z 1
		.amdhsa_system_sgpr_workgroup_info 0
		.amdhsa_system_vgpr_workitem_id 0
		.amdhsa_next_free_vgpr 37
		.amdhsa_next_free_sgpr 53
		.amdhsa_reserve_vcc 1
		.amdhsa_float_round_mode_32 0
		.amdhsa_float_round_mode_16_64 0
		.amdhsa_float_denorm_mode_32 3
		.amdhsa_float_denorm_mode_16_64 3
		.amdhsa_dx10_clamp 1
		.amdhsa_ieee_mode 1
		.amdhsa_fp16_overflow 0
		.amdhsa_workgroup_processor_mode 1
		.amdhsa_memory_ordered 1
		.amdhsa_forward_progress 0
		.amdhsa_shared_vgpr_count 0
		.amdhsa_exception_fp_ieee_invalid_op 0
		.amdhsa_exception_fp_denorm_src 0
		.amdhsa_exception_fp_ieee_div_zero 0
		.amdhsa_exception_fp_ieee_overflow 0
		.amdhsa_exception_fp_ieee_underflow 0
		.amdhsa_exception_fp_ieee_inexact 0
		.amdhsa_exception_int_div_zero 0
	.end_amdhsa_kernel
	.section	.text._ZN4vllm25paged_attention_v2_kernelI14__hip_bfloat16hLi32ELi8ELi128ELNS_18Fp8KVCacheDataTypeE1ELb1ELi512EEEvPfS3_PT_PKS4_PKT0_SA_ifPKiSC_iPKfiiiSE_SE_iiiii,"axG",@progbits,_ZN4vllm25paged_attention_v2_kernelI14__hip_bfloat16hLi32ELi8ELi128ELNS_18Fp8KVCacheDataTypeE1ELb1ELi512EEEvPfS3_PT_PKS4_PKT0_SA_ifPKiSC_iPKfiiiSE_SE_iiiii,comdat
.Lfunc_end375:
	.size	_ZN4vllm25paged_attention_v2_kernelI14__hip_bfloat16hLi32ELi8ELi128ELNS_18Fp8KVCacheDataTypeE1ELb1ELi512EEEvPfS3_PT_PKS4_PKT0_SA_ifPKiSC_iPKfiiiSE_SE_iiiii, .Lfunc_end375-_ZN4vllm25paged_attention_v2_kernelI14__hip_bfloat16hLi32ELi8ELi128ELNS_18Fp8KVCacheDataTypeE1ELb1ELi512EEEvPfS3_PT_PKS4_PKT0_SA_ifPKiSC_iPKfiiiSE_SE_iiiii
                                        ; -- End function
	.section	.AMDGPU.csdata,"",@progbits
; Kernel info:
; codeLenInByte = 11036
; NumSgprs: 55
; NumVgprs: 37
; ScratchSize: 0
; MemoryBound: 0
; FloatMode: 240
; IeeeMode: 1
; LDSByteSize: 96 bytes/workgroup (compile time only)
; SGPRBlocks: 6
; VGPRBlocks: 4
; NumSGPRsForWavesPerEU: 55
; NumVGPRsForWavesPerEU: 37
; Occupancy: 16
; WaveLimiterHint : 1
; COMPUTE_PGM_RSRC2:SCRATCH_EN: 0
; COMPUTE_PGM_RSRC2:USER_SGPR: 13
; COMPUTE_PGM_RSRC2:TRAP_HANDLER: 0
; COMPUTE_PGM_RSRC2:TGID_X_EN: 1
; COMPUTE_PGM_RSRC2:TGID_Y_EN: 1
; COMPUTE_PGM_RSRC2:TGID_Z_EN: 1
; COMPUTE_PGM_RSRC2:TIDIG_COMP_CNT: 0
	.section	.text._ZN4vllm25paged_attention_v2_kernelI14__hip_bfloat16hLi64ELi8ELi128ELNS_18Fp8KVCacheDataTypeE1ELb1ELi512EEEvPfS3_PT_PKS4_PKT0_SA_ifPKiSC_iPKfiiiSE_SE_iiiii,"axG",@progbits,_ZN4vllm25paged_attention_v2_kernelI14__hip_bfloat16hLi64ELi8ELi128ELNS_18Fp8KVCacheDataTypeE1ELb1ELi512EEEvPfS3_PT_PKS4_PKT0_SA_ifPKiSC_iPKfiiiSE_SE_iiiii,comdat
	.protected	_ZN4vllm25paged_attention_v2_kernelI14__hip_bfloat16hLi64ELi8ELi128ELNS_18Fp8KVCacheDataTypeE1ELb1ELi512EEEvPfS3_PT_PKS4_PKT0_SA_ifPKiSC_iPKfiiiSE_SE_iiiii ; -- Begin function _ZN4vllm25paged_attention_v2_kernelI14__hip_bfloat16hLi64ELi8ELi128ELNS_18Fp8KVCacheDataTypeE1ELb1ELi512EEEvPfS3_PT_PKS4_PKT0_SA_ifPKiSC_iPKfiiiSE_SE_iiiii
	.globl	_ZN4vllm25paged_attention_v2_kernelI14__hip_bfloat16hLi64ELi8ELi128ELNS_18Fp8KVCacheDataTypeE1ELb1ELi512EEEvPfS3_PT_PKS4_PKT0_SA_ifPKiSC_iPKfiiiSE_SE_iiiii
	.p2align	8
	.type	_ZN4vllm25paged_attention_v2_kernelI14__hip_bfloat16hLi64ELi8ELi128ELNS_18Fp8KVCacheDataTypeE1ELb1ELi512EEEvPfS3_PT_PKS4_PKT0_SA_ifPKiSC_iPKfiiiSE_SE_iiiii,@function
_ZN4vllm25paged_attention_v2_kernelI14__hip_bfloat16hLi64ELi8ELi128ELNS_18Fp8KVCacheDataTypeE1ELb1ELi512EEEvPfS3_PT_PKS4_PKT0_SA_ifPKiSC_iPKfiiiSE_SE_iiiii: ; @_ZN4vllm25paged_attention_v2_kernelI14__hip_bfloat16hLi64ELi8ELi128ELNS_18Fp8KVCacheDataTypeE1ELb1ELi512EEEvPfS3_PT_PKS4_PKT0_SA_ifPKiSC_iPKfiiiSE_SE_iiiii
; %bb.0:
	s_load_b64 s[2:3], s[0:1], 0x40
	s_mov_b32 s26, s15
	s_ashr_i32 s15, s14, 31
	s_delay_alu instid0(SALU_CYCLE_1)
	s_lshl_b64 s[4:5], s[14:15], 2
	s_waitcnt lgkmcnt(0)
	s_add_u32 s2, s2, s4
	s_addc_u32 s3, s3, s5
	s_lshl_b32 s41, s26, 9
	s_load_b32 s15, s[2:3], 0x0
	s_waitcnt lgkmcnt(0)
	s_cmp_ge_i32 s41, s15
	s_cbranch_scc1 .LBB376_536
; %bb.1:
	s_clause 0x1
	s_load_b32 s27, s[0:1], 0x90
	s_load_b64 s[38:39], s[0:1], 0x30
	s_mov_b32 s28, s13
	s_mov_b32 s45, 0
	s_waitcnt lgkmcnt(0)
	s_abs_i32 s5, s27
	s_abs_i32 s2, s38
	s_delay_alu instid0(SALU_CYCLE_1) | instskip(SKIP_1) | instid1(VALU_DEP_1)
	v_cvt_f32_u32_e32 v1, s2
	s_sub_i32 s4, 0, s2
	v_rcp_iflag_f32_e32 v1, v1
	s_waitcnt_depctr 0xfff
	v_mul_f32_e32 v1, 0x4f7ffffe, v1
	s_delay_alu instid0(VALU_DEP_1) | instskip(NEXT) | instid1(VALU_DEP_1)
	v_cvt_u32_f32_e32 v1, v1
	v_readfirstlane_b32 s3, v1
	s_delay_alu instid0(VALU_DEP_1) | instskip(NEXT) | instid1(SALU_CYCLE_1)
	s_mul_i32 s4, s4, s3
	s_mul_hi_u32 s4, s3, s4
	s_delay_alu instid0(SALU_CYCLE_1) | instskip(SKIP_4) | instid1(SALU_CYCLE_1)
	s_add_i32 s3, s3, s4
	s_xor_b32 s4, s27, s38
	s_mul_hi_u32 s3, s5, s3
	s_ashr_i32 s4, s4, 31
	s_mul_i32 s6, s3, s2
	s_sub_i32 s5, s5, s6
	s_add_i32 s6, s3, 1
	s_sub_i32 s7, s5, s2
	s_cmp_ge_u32 s5, s2
	s_cselect_b32 s3, s6, s3
	s_cselect_b32 s5, s7, s5
	s_add_i32 s6, s3, 1
	s_cmp_ge_u32 s5, s2
	s_cselect_b32 s2, s6, s3
	s_abs_i32 s9, s13
	s_xor_b32 s2, s2, s4
	s_delay_alu instid0(SALU_CYCLE_1) | instskip(SKIP_2) | instid1(SALU_CYCLE_1)
	s_sub_i32 s11, s2, s4
	s_load_b64 s[2:3], s[0:1], 0x50
	s_abs_i32 s8, s11
	v_cvt_f32_u32_e32 v1, s8
	s_sub_i32 s5, 0, s8
	s_delay_alu instid0(VALU_DEP_1) | instskip(SKIP_2) | instid1(VALU_DEP_1)
	v_rcp_iflag_f32_e32 v1, v1
	s_waitcnt_depctr 0xfff
	v_mul_f32_e32 v1, 0x4f7ffffe, v1
	v_cvt_u32_f32_e32 v1, v1
	s_delay_alu instid0(VALU_DEP_1) | instskip(NEXT) | instid1(VALU_DEP_1)
	v_readfirstlane_b32 s4, v1
	s_mul_i32 s5, s5, s4
	s_delay_alu instid0(SALU_CYCLE_1) | instskip(NEXT) | instid1(SALU_CYCLE_1)
	s_mul_hi_u32 s5, s4, s5
	s_add_i32 s4, s4, s5
	s_waitcnt lgkmcnt(0)
	s_cmp_eq_u64 s[2:3], 0
	s_mul_hi_u32 s10, s9, s4
	s_cbranch_scc1 .LBB376_3
; %bb.2:
	s_ashr_i32 s29, s28, 31
	s_delay_alu instid0(SALU_CYCLE_1) | instskip(NEXT) | instid1(SALU_CYCLE_1)
	s_lshl_b64 s[4:5], s[28:29], 2
	s_add_u32 s2, s2, s4
	s_addc_u32 s3, s3, s5
	s_load_b32 s45, s[2:3], 0x0
.LBB376_3:
	s_load_b128 s[4:7], s[0:1], 0x58
	v_and_b32_e32 v1, 3, v0
	v_cmp_gt_u32_e64 s2, 32, v0
	s_ashr_i32 s3, s28, 31
	s_waitcnt lgkmcnt(0)
	s_ashr_i32 s7, s11, 31
	s_lshl_b32 s12, s28, 6
	s_and_saveexec_b32 s11, s2
	s_cbranch_execz .LBB376_5
; %bb.4:
	s_load_b64 s[16:17], s[0:1], 0x18
	s_mul_i32 s18, s14, s4
	v_lshlrev_b32_e32 v2, 2, v0
	s_ashr_i32 s19, s18, 31
	v_and_b32_e32 v3, 0x3fc, v0
	s_lshl_b64 s[18:19], s[18:19], 1
	s_delay_alu instid0(VALU_DEP_1) | instskip(SKIP_4) | instid1(SALU_CYCLE_1)
	v_lshl_add_u32 v3, v1, 5, v3
	s_waitcnt lgkmcnt(0)
	s_add_u32 s4, s16, s18
	s_addc_u32 s18, s17, s19
	s_ashr_i32 s13, s12, 31
	s_lshl_b64 s[16:17], s[12:13], 1
	s_delay_alu instid0(SALU_CYCLE_1)
	s_add_u32 s16, s4, s16
	s_addc_u32 s17, s18, s17
	global_load_b32 v2, v2, s[16:17]
	s_waitcnt vmcnt(0)
	ds_store_b32 v3, v2
.LBB376_5:
	s_or_b32 exec_lo, exec_lo, s11
	s_load_b128 s[16:19], s[0:1], 0x78
	s_mul_i32 s4, s10, s8
	s_xor_b32 s3, s3, s7
	s_sub_i32 s4, s9, s4
	s_add_i32 s7, s10, 1
	s_sub_i32 s9, s4, s8
	s_cmp_ge_u32 s4, s8
	s_waitcnt lgkmcnt(0)
	s_cselect_b32 s7, s7, s10
	s_cselect_b32 s4, s9, s4
	s_add_i32 s9, s7, 1
	s_cmp_ge_u32 s4, s8
	s_barrier
	s_cselect_b32 s4, s9, s7
	s_load_b32 s7, s[0:1], 0x88
	s_xor_b32 s4, s4, s3
	s_add_i32 s8, s15, -1
	s_sub_i32 s43, s4, s3
	s_abs_i32 s4, s8
	s_mov_b32 s9, -1
	s_abs_i32 s29, s19
	s_waitcnt lgkmcnt(0)
	buffer_gl0_inv
	v_cvt_f32_u32_e32 v2, s29
	s_sub_i32 s3, 0, s29
                                        ; implicit-def: $sgpr40
	s_delay_alu instid0(VALU_DEP_1) | instskip(SKIP_2) | instid1(VALU_DEP_1)
	v_rcp_iflag_f32_e32 v2, v2
	s_waitcnt_depctr 0xfff
	v_mul_f32_e32 v2, 0x4f7ffffe, v2
	v_cvt_u32_f32_e32 v2, v2
	s_delay_alu instid0(VALU_DEP_1) | instskip(NEXT) | instid1(VALU_DEP_1)
	v_readfirstlane_b32 s33, v2
	s_mul_i32 s3, s3, s33
	s_delay_alu instid0(SALU_CYCLE_1) | instskip(NEXT) | instid1(SALU_CYCLE_1)
	s_mul_hi_u32 s3, s33, s3
	s_add_i32 s33, s33, s3
	s_cmp_lt_i32 s7, 0
	s_mul_hi_u32 s3, s4, s33
	s_cbranch_scc0 .LBB376_7
; %bb.6:
	s_mul_i32 s9, s16, s38
	s_delay_alu instid0(SALU_CYCLE_1) | instskip(NEXT) | instid1(SALU_CYCLE_1)
	s_add_i32 s9, s43, s9
	s_mul_i32 s9, s9, s7
	s_delay_alu instid0(SALU_CYCLE_1)
	s_sub_i32 s40, 1, s9
	s_mov_b32 s9, 0
.LBB376_7:
	s_load_b64 s[30:31], s[0:1], 0x38
	s_ashr_i32 s34, s8, 31
	s_and_not1_b32 vcc_lo, exec_lo, s9
	s_ashr_i32 s19, s19, 31
	s_cbranch_vccnz .LBB376_9
; %bb.8:
	s_mul_i32 s8, s27, s16
	s_delay_alu instid0(SALU_CYCLE_1) | instskip(NEXT) | instid1(SALU_CYCLE_1)
	s_add_i32 s8, s8, s28
	s_mul_i32 s7, s8, s7
	s_delay_alu instid0(SALU_CYCLE_1)
	s_add_i32 s40, s7, 1
.LBB376_9:
	s_clause 0x5
	s_load_b32 s7, s[0:1], 0x48
	s_load_b64 s[36:37], s[0:1], 0x28
	s_load_b128 s[20:23], s[0:1], 0x0
	s_load_b64 s[24:25], s[0:1], 0x10
	s_load_b32 s13, s[0:1], 0x98
	s_load_b128 s[8:11], s[0:1], 0x68
	s_mul_i32 s16, s3, s29
	s_xor_b32 s44, s34, s19
	s_sub_i32 s4, s4, s16
	s_add_i32 s38, s3, 1
	v_lshrrev_b32_e32 v19, 5, v0
	v_mov_b32_e32 v22, 0xff7fffff
	v_mbcnt_lo_u32_b32 v21, -1, 0
	s_mul_i32 s43, s43, s6
	s_delay_alu instid0(VALU_DEP_3)
	v_lshl_add_u32 v20, v19, 3, s41
	s_waitcnt lgkmcnt(0)
	s_mul_i32 s34, s14, s7
	s_sub_i32 s7, s4, s29
	s_ashr_i32 s35, s34, 31
	s_cmp_ge_u32 s4, s29
	s_cselect_b32 s3, s38, s3
	s_cselect_b32 s4, s7, s4
	s_add_i32 s7, s3, 1
	s_cmp_ge_u32 s4, s29
	s_cselect_b32 s3, s7, s3
	s_add_i32 s4, s15, 7
	s_lshl_b32 s16, s26, 6
	s_ashr_i32 s7, s4, 31
	v_or_b32_e32 v9, s16, v19
	s_lshr_b32 s7, s7, 29
	s_delay_alu instid0(SALU_CYCLE_1)
	s_add_i32 s4, s4, s7
	s_add_i32 s7, s16, 64
	s_ashr_i32 s42, s4, 3
	s_xor_b32 s4, s3, s44
	s_min_i32 s38, s7, s42
	v_ashrrev_i32_e32 v10, 31, v9
	v_cmp_gt_i32_e64 s3, s38, v9
	s_sub_i32 s44, s4, s44
	s_delay_alu instid0(VALU_DEP_1)
	s_and_saveexec_b32 s6, s3
	s_cbranch_execz .LBB376_211
; %bb.10:
	s_load_b64 s[0:1], s[0:1], 0x20
	s_sub_i32 s7, s44, s17
	s_ashr_i32 s4, s43, 31
	v_bfe_u32 v23, v0, 2, 3
	v_cmp_eq_u32_e32 vcc_lo, 0, v1
	v_dual_mov_b32 v31, v9 :: v_dual_lshlrev_b32 v24, 1, v1
	s_delay_alu instid0(VALU_DEP_3) | instskip(SKIP_3) | instid1(VALU_DEP_4)
	v_dual_mov_b32 v27, 0xff7fffff :: v_dual_lshlrev_b32 v4, 2, v23
	v_lshlrev_b32_e32 v7, 4, v23
	v_dual_mov_b32 v22, 0xff7fffff :: v_dual_lshlrev_b32 v25, 5, v1
	v_subrev_nc_u32_e32 v5, s15, v23
	v_lshl_or_b32 v4, v19, 5, v4
	v_lshl_add_u32 v26, v19, 3, s41
	s_delay_alu instid0(VALU_DEP_3) | instskip(NEXT) | instid1(VALU_DEP_3)
	v_add_nc_u32_e32 v28, 1, v5
	v_add_nc_u32_e32 v29, 0xa0, v4
	s_waitcnt lgkmcnt(0)
	s_add_u32 s47, s0, s43
	s_addc_u32 s1, s1, s4
	s_abs_i32 s46, s18
	s_lshl_b64 s[48:49], s[34:35], 2
	v_cvt_f32_u32_e32 v2, s46
	s_sub_i32 s4, 0, s46
	v_cmp_neq_f32_e64 s0, s45, 0
	s_delay_alu instid0(VALU_DEP_2) | instskip(SKIP_3) | instid1(VALU_DEP_2)
	v_rcp_iflag_f32_e32 v2, v2
	s_waitcnt_depctr 0xfff
	v_dual_mov_b32 v12, 0 :: v_dual_mul_f32 v3, 0x4f7ffffe, v2
	v_lshlrev_b64 v[1:2], 2, v[9:10]
	v_cvt_u32_f32_e32 v3, v3
	s_delay_alu instid0(VALU_DEP_1) | instskip(SKIP_1) | instid1(VALU_DEP_1)
	v_mul_lo_u32 v6, s4, v3
	v_add_co_u32 v13, s4, s47, v7
	v_add_co_ci_u32_e64 v14, null, s1, 0, s4
	s_add_u32 s1, s30, s48
	s_addc_u32 s4, s31, s49
	v_add_co_u32 v15, s1, s1, v1
	s_delay_alu instid0(VALU_DEP_4) | instskip(SKIP_3) | instid1(VALU_DEP_2)
	v_mul_hi_u32 v4, v3, v6
	v_add_co_ci_u32_e64 v16, s1, s4, v2, s1
	s_mov_b32 s47, 0
	s_mov_b32 s48, s5
	v_add_nc_u32_e32 v30, v3, v4
	s_branch .LBB376_13
.LBB376_11:                             ;   in Loop: Header=BB376_13 Depth=1
	s_or_b32 exec_lo, exec_lo, s49
.LBB376_12:                             ;   in Loop: Header=BB376_13 Depth=1
	s_delay_alu instid0(SALU_CYCLE_1) | instskip(SKIP_2) | instid1(VALU_DEP_1)
	s_or_b32 exec_lo, exec_lo, s4
	v_add_nc_u32_e32 v31, 4, v31
	v_add_co_u32 v15, s4, v15, 16
	v_add_co_ci_u32_e64 v16, s4, 0, v16, s4
	s_delay_alu instid0(VALU_DEP_3) | instskip(SKIP_2) | instid1(VALU_DEP_3)
	v_cmp_le_i32_e64 s1, s38, v31
	v_add_nc_u32_e32 v26, 32, v26
	v_add_nc_u32_e32 v29, 0x80, v29
	s_or_b32 s47, s1, s47
	s_delay_alu instid0(SALU_CYCLE_1)
	s_and_not1_b32 exec_lo, exec_lo, s47
	s_cbranch_execz .LBB376_210
.LBB376_13:                             ; =>This Inner Loop Header: Depth=1
	v_sub_nc_u32_e32 v1, 0, v26
	s_delay_alu instid0(VALU_DEP_1) | instskip(SKIP_1) | instid1(VALU_DEP_1)
	v_max_i32_e32 v1, v26, v1
	s_waitcnt lgkmcnt(0)
	v_mul_hi_u32 v2, v1, s33
	s_delay_alu instid0(VALU_DEP_1) | instskip(NEXT) | instid1(VALU_DEP_1)
	v_mul_lo_u32 v3, v2, s29
	v_sub_nc_u32_e32 v1, v1, v3
	v_add_nc_u32_e32 v3, 1, v2
	s_delay_alu instid0(VALU_DEP_2) | instskip(SKIP_1) | instid1(VALU_DEP_1)
	v_subrev_nc_u32_e32 v4, s29, v1
	v_cmp_le_u32_e64 s1, s29, v1
	v_cndmask_b32_e64 v2, v2, v3, s1
	s_delay_alu instid0(VALU_DEP_3) | instskip(SKIP_1) | instid1(VALU_DEP_3)
	v_cndmask_b32_e64 v1, v1, v4, s1
	v_ashrrev_i32_e32 v3, 31, v26
	v_add_nc_u32_e32 v4, 1, v2
	s_delay_alu instid0(VALU_DEP_3) | instskip(NEXT) | instid1(VALU_DEP_3)
	v_cmp_le_u32_e64 s1, s29, v1
	v_xor_b32_e32 v3, s19, v3
	s_delay_alu instid0(VALU_DEP_2) | instskip(NEXT) | instid1(VALU_DEP_1)
	v_cndmask_b32_e64 v1, v2, v4, s1
	v_xor_b32_e32 v1, v1, v3
	s_delay_alu instid0(VALU_DEP_1) | instskip(NEXT) | instid1(VALU_DEP_1)
	v_sub_nc_u32_e32 v1, v1, v3
	v_add_nc_u32_e32 v2, s40, v1
	v_cmp_ge_i32_e64 s4, s7, v1
	s_delay_alu instid0(VALU_DEP_2) | instskip(NEXT) | instid1(VALU_DEP_1)
	v_sub_nc_u32_e32 v3, 0, v2
	v_max_i32_e32 v3, v2, v3
	v_ashrrev_i32_e32 v2, 31, v2
	s_delay_alu instid0(VALU_DEP_2) | instskip(NEXT) | instid1(VALU_DEP_1)
	v_mul_hi_u32 v4, v3, v30
	v_mul_lo_u32 v4, v4, s46
	s_delay_alu instid0(VALU_DEP_1) | instskip(NEXT) | instid1(VALU_DEP_1)
	v_sub_nc_u32_e32 v3, v3, v4
	v_subrev_nc_u32_e32 v4, s46, v3
	v_cmp_le_u32_e64 s1, s46, v3
	s_delay_alu instid0(VALU_DEP_1) | instskip(NEXT) | instid1(VALU_DEP_1)
	v_cndmask_b32_e64 v3, v3, v4, s1
	v_subrev_nc_u32_e32 v4, s46, v3
	v_cmp_le_u32_e64 s1, s46, v3
	s_delay_alu instid0(VALU_DEP_1) | instskip(NEXT) | instid1(VALU_DEP_1)
	v_cndmask_b32_e64 v3, v3, v4, s1
	v_xor_b32_e32 v3, v3, v2
	s_delay_alu instid0(VALU_DEP_1) | instskip(NEXT) | instid1(VALU_DEP_1)
	v_sub_nc_u32_e32 v2, v3, v2
	v_cmp_ne_u32_e64 s1, 0, v2
	s_delay_alu instid0(VALU_DEP_1) | instskip(NEXT) | instid1(SALU_CYCLE_1)
	s_and_b32 s1, s1, s4
	s_and_b32 s49, vcc_lo, s1
	s_delay_alu instid0(SALU_CYCLE_1)
	s_and_saveexec_b32 s4, s49
	s_cbranch_execz .LBB376_15
; %bb.14:                               ;   in Loop: Header=BB376_13 Depth=1
	ds_store_b32 v29, v27
.LBB376_15:                             ;   in Loop: Header=BB376_13 Depth=1
	s_or_b32 exec_lo, exec_lo, s4
	s_xor_b32 s1, s1, -1
	s_delay_alu instid0(SALU_CYCLE_1)
	s_and_saveexec_b32 s4, s1
	s_cbranch_execz .LBB376_12
; %bb.16:                               ;   in Loop: Header=BB376_13 Depth=1
	global_load_b32 v3, v[15:16], off
	s_mov_b32 s50, exec_lo
	s_waitcnt vmcnt(0)
	v_mad_i64_i32 v[1:2], null, v3, s48, v[13:14]
	s_delay_alu instid0(VALU_DEP_1) | instskip(NEXT) | instid1(VALU_DEP_1)
	v_add_co_u32 v17, s1, v1, v24
	v_add_co_ci_u32_e64 v18, s1, 0, v2, s1
	global_load_u16 v11, v[17:18], off
	ds_load_b128 v[5:8], v25
	ds_load_b128 v[1:4], v25 offset:16
	s_load_b32 s49, s[8:9], 0x0
	s_waitcnt vmcnt(0)
	v_and_b32_e32 v32, 0xff, v11
	v_and_b32_e32 v33, 0xffff, v11
	v_mov_b32_e32 v11, 0
	s_delay_alu instid0(VALU_DEP_3)
	v_cmpx_ne_u16_e32 0, v32
	s_cbranch_execz .LBB376_24
; %bb.17:                               ;   in Loop: Header=BB376_13 Depth=1
	s_delay_alu instid0(VALU_DEP_3) | instskip(NEXT) | instid1(VALU_DEP_1)
	v_and_b32_e32 v11, 0xff, v33
	v_cmp_ne_u16_e64 s1, 0x80, v11
	v_bfrev_b32_e32 v11, 1
	s_delay_alu instid0(VALU_DEP_2)
	s_and_saveexec_b32 s51, s1
	s_cbranch_execz .LBB376_23
; %bb.18:                               ;   in Loop: Header=BB376_13 Depth=1
	v_and_b32_e32 v34, 0x7f, v33
	v_mov_b32_e32 v11, 0x7f800001
	s_mov_b32 s52, exec_lo
	s_delay_alu instid0(VALU_DEP_2)
	v_cmpx_ne_u32_e32 0x7f, v34
	s_cbranch_execz .LBB376_22
; %bb.19:                               ;   in Loop: Header=BB376_13 Depth=1
	v_and_b32_e32 v11, 7, v33
	v_lshrrev_b32_e32 v32, 3, v34
	s_mov_b32 s53, exec_lo
	v_cmpx_gt_u32_e32 8, v34
; %bb.20:                               ;   in Loop: Header=BB376_13 Depth=1
	s_delay_alu instid0(VALU_DEP_3) | instskip(NEXT) | instid1(VALU_DEP_1)
	v_clz_i32_u32_e32 v32, v11
	v_min_u32_e32 v32, 32, v32
	s_delay_alu instid0(VALU_DEP_1) | instskip(SKIP_1) | instid1(VALU_DEP_2)
	v_subrev_nc_u32_e32 v34, 28, v32
	v_sub_nc_u32_e32 v32, 29, v32
	v_lshlrev_b64 v[34:35], v34, v[11:12]
	s_delay_alu instid0(VALU_DEP_1)
	v_and_b32_e32 v11, 7, v34
; %bb.21:                               ;   in Loop: Header=BB376_13 Depth=1
	s_or_b32 exec_lo, exec_lo, s53
	v_lshlrev_b32_e32 v34, 24, v33
	s_delay_alu instid0(VALU_DEP_2) | instskip(SKIP_1) | instid1(VALU_DEP_3)
	v_lshlrev_b32_e32 v11, 20, v11
	v_lshl_add_u32 v32, v32, 23, 0x3c000000
	v_and_b32_e32 v34, 0x80000000, v34
	s_delay_alu instid0(VALU_DEP_1)
	v_or3_b32 v11, v11, v34, v32
.LBB376_22:                             ;   in Loop: Header=BB376_13 Depth=1
	s_or_b32 exec_lo, exec_lo, s52
.LBB376_23:                             ;   in Loop: Header=BB376_13 Depth=1
	s_delay_alu instid0(SALU_CYCLE_1)
	s_or_b32 exec_lo, exec_lo, s51
.LBB376_24:                             ;   in Loop: Header=BB376_13 Depth=1
	s_delay_alu instid0(SALU_CYCLE_1) | instskip(SKIP_2) | instid1(VALU_DEP_1)
	s_or_b32 exec_lo, exec_lo, s50
	s_waitcnt lgkmcnt(0)
	v_mul_f32_e32 v11, s49, v11
	v_and_b32_e32 v32, 0x7f800000, v11
	s_delay_alu instid0(VALU_DEP_1) | instskip(NEXT) | instid1(VALU_DEP_1)
	v_cmp_ne_u32_e64 s1, 0x7f800000, v32
                                        ; implicit-def: $vgpr32
	s_and_saveexec_b32 s50, s1
	s_delay_alu instid0(SALU_CYCLE_1)
	s_xor_b32 s1, exec_lo, s50
; %bb.25:                               ;   in Loop: Header=BB376_13 Depth=1
	v_bfe_u32 v32, v11, 16, 1
	s_delay_alu instid0(VALU_DEP_1)
	v_add3_u32 v32, v11, v32, 0x7fff
                                        ; implicit-def: $vgpr11
; %bb.26:                               ;   in Loop: Header=BB376_13 Depth=1
	s_and_not1_saveexec_b32 s50, s1
; %bb.27:                               ;   in Loop: Header=BB376_13 Depth=1
	v_and_b32_e32 v32, 0xffff, v11
	v_or_b32_e32 v34, 0x10000, v11
	s_delay_alu instid0(VALU_DEP_2) | instskip(NEXT) | instid1(VALU_DEP_1)
	v_cmp_eq_u32_e64 s1, 0, v32
	v_cndmask_b32_e64 v32, v34, v11, s1
; %bb.28:                               ;   in Loop: Header=BB376_13 Depth=1
	s_or_b32 exec_lo, exec_lo, s50
	v_lshrrev_b16 v34, 8, v33
	v_mov_b32_e32 v11, 0
	s_mov_b32 s50, exec_lo
	s_delay_alu instid0(VALU_DEP_2)
	v_cmpx_ne_u16_e32 0, v34
	s_cbranch_execz .LBB376_36
; %bb.29:                               ;   in Loop: Header=BB376_13 Depth=1
	v_bfrev_b32_e32 v11, 1
	s_mov_b32 s51, exec_lo
	v_cmpx_ne_u16_e32 0x80, v34
	s_cbranch_execz .LBB376_35
; %bb.30:                               ;   in Loop: Header=BB376_13 Depth=1
	v_and_b32_e32 v34, 0xffff, v34
	v_mov_b32_e32 v11, 0x7f800001
	s_mov_b32 s52, exec_lo
	s_delay_alu instid0(VALU_DEP_2) | instskip(NEXT) | instid1(VALU_DEP_1)
	v_and_b32_e32 v35, 0x7f, v34
	v_cmpx_ne_u32_e32 0x7f, v35
	s_cbranch_execz .LBB376_34
; %bb.31:                               ;   in Loop: Header=BB376_13 Depth=1
	v_and_b32_e32 v11, 7, v34
	v_lshrrev_b32_e32 v34, 3, v35
	s_mov_b32 s53, exec_lo
	v_cmpx_gt_u32_e32 8, v35
; %bb.32:                               ;   in Loop: Header=BB376_13 Depth=1
	s_delay_alu instid0(VALU_DEP_3) | instskip(NEXT) | instid1(VALU_DEP_1)
	v_clz_i32_u32_e32 v34, v11
	v_min_u32_e32 v34, 32, v34
	s_delay_alu instid0(VALU_DEP_1) | instskip(SKIP_1) | instid1(VALU_DEP_2)
	v_subrev_nc_u32_e32 v35, 28, v34
	v_sub_nc_u32_e32 v34, 29, v34
	v_lshlrev_b64 v[35:36], v35, v[11:12]
	s_delay_alu instid0(VALU_DEP_1)
	v_and_b32_e32 v11, 7, v35
; %bb.33:                               ;   in Loop: Header=BB376_13 Depth=1
	s_or_b32 exec_lo, exec_lo, s53
	v_lshlrev_b32_e32 v33, 16, v33
	s_delay_alu instid0(VALU_DEP_2) | instskip(SKIP_1) | instid1(VALU_DEP_3)
	v_lshlrev_b32_e32 v11, 20, v11
	v_lshl_add_u32 v34, v34, 23, 0x3c000000
	v_and_b32_e32 v33, 0x80000000, v33
	s_delay_alu instid0(VALU_DEP_1)
	v_or3_b32 v11, v11, v33, v34
.LBB376_34:                             ;   in Loop: Header=BB376_13 Depth=1
	s_or_b32 exec_lo, exec_lo, s52
.LBB376_35:                             ;   in Loop: Header=BB376_13 Depth=1
	s_delay_alu instid0(SALU_CYCLE_1)
	s_or_b32 exec_lo, exec_lo, s51
.LBB376_36:                             ;   in Loop: Header=BB376_13 Depth=1
	s_delay_alu instid0(SALU_CYCLE_1) | instskip(NEXT) | instid1(VALU_DEP_1)
	s_or_b32 exec_lo, exec_lo, s50
	v_mul_f32_e32 v11, s49, v11
	s_delay_alu instid0(VALU_DEP_1) | instskip(NEXT) | instid1(VALU_DEP_1)
	v_and_b32_e32 v33, 0x7f800000, v11
	v_cmp_ne_u32_e64 s1, 0x7f800000, v33
                                        ; implicit-def: $vgpr33
	s_delay_alu instid0(VALU_DEP_1) | instskip(NEXT) | instid1(SALU_CYCLE_1)
	s_and_saveexec_b32 s50, s1
	s_xor_b32 s1, exec_lo, s50
; %bb.37:                               ;   in Loop: Header=BB376_13 Depth=1
	v_bfe_u32 v33, v11, 16, 1
	s_delay_alu instid0(VALU_DEP_1)
	v_add3_u32 v33, v11, v33, 0x7fff
                                        ; implicit-def: $vgpr11
; %bb.38:                               ;   in Loop: Header=BB376_13 Depth=1
	s_and_not1_saveexec_b32 s50, s1
; %bb.39:                               ;   in Loop: Header=BB376_13 Depth=1
	v_and_b32_e32 v33, 0xffff, v11
	v_or_b32_e32 v34, 0x10000, v11
	s_delay_alu instid0(VALU_DEP_2) | instskip(NEXT) | instid1(VALU_DEP_1)
	v_cmp_eq_u32_e64 s1, 0, v33
	v_cndmask_b32_e64 v33, v34, v11, s1
; %bb.40:                               ;   in Loop: Header=BB376_13 Depth=1
	s_or_b32 exec_lo, exec_lo, s50
	global_load_u16 v11, v[17:18], off offset:8
	s_mov_b32 s50, exec_lo
	s_waitcnt vmcnt(0)
	v_and_b32_e32 v34, 0xff, v11
	v_and_b32_e32 v35, 0xffff, v11
	v_mov_b32_e32 v11, 0
	s_delay_alu instid0(VALU_DEP_3)
	v_cmpx_ne_u16_e32 0, v34
	s_cbranch_execz .LBB376_48
; %bb.41:                               ;   in Loop: Header=BB376_13 Depth=1
	s_delay_alu instid0(VALU_DEP_3) | instskip(NEXT) | instid1(VALU_DEP_1)
	v_and_b32_e32 v11, 0xff, v35
	v_cmp_ne_u16_e64 s1, 0x80, v11
	v_bfrev_b32_e32 v11, 1
	s_delay_alu instid0(VALU_DEP_2)
	s_and_saveexec_b32 s51, s1
	s_cbranch_execz .LBB376_47
; %bb.42:                               ;   in Loop: Header=BB376_13 Depth=1
	v_and_b32_e32 v36, 0x7f, v35
	v_mov_b32_e32 v11, 0x7f800001
	s_mov_b32 s52, exec_lo
	s_delay_alu instid0(VALU_DEP_2)
	v_cmpx_ne_u32_e32 0x7f, v36
	s_cbranch_execz .LBB376_46
; %bb.43:                               ;   in Loop: Header=BB376_13 Depth=1
	v_and_b32_e32 v11, 7, v35
	v_lshrrev_b32_e32 v34, 3, v36
	s_mov_b32 s53, exec_lo
	v_cmpx_gt_u32_e32 8, v36
; %bb.44:                               ;   in Loop: Header=BB376_13 Depth=1
	s_delay_alu instid0(VALU_DEP_3) | instskip(NEXT) | instid1(VALU_DEP_1)
	v_clz_i32_u32_e32 v34, v11
	v_min_u32_e32 v34, 32, v34
	s_delay_alu instid0(VALU_DEP_1) | instskip(SKIP_1) | instid1(VALU_DEP_2)
	v_subrev_nc_u32_e32 v36, 28, v34
	v_sub_nc_u32_e32 v34, 29, v34
	v_lshlrev_b64 v[36:37], v36, v[11:12]
	s_delay_alu instid0(VALU_DEP_1)
	v_and_b32_e32 v11, 7, v36
; %bb.45:                               ;   in Loop: Header=BB376_13 Depth=1
	s_or_b32 exec_lo, exec_lo, s53
	v_lshlrev_b32_e32 v36, 24, v35
	s_delay_alu instid0(VALU_DEP_2) | instskip(SKIP_1) | instid1(VALU_DEP_3)
	v_lshlrev_b32_e32 v11, 20, v11
	v_lshl_add_u32 v34, v34, 23, 0x3c000000
	v_and_b32_e32 v36, 0x80000000, v36
	s_delay_alu instid0(VALU_DEP_1)
	v_or3_b32 v11, v11, v36, v34
.LBB376_46:                             ;   in Loop: Header=BB376_13 Depth=1
	s_or_b32 exec_lo, exec_lo, s52
.LBB376_47:                             ;   in Loop: Header=BB376_13 Depth=1
	s_delay_alu instid0(SALU_CYCLE_1)
	s_or_b32 exec_lo, exec_lo, s51
.LBB376_48:                             ;   in Loop: Header=BB376_13 Depth=1
	s_delay_alu instid0(SALU_CYCLE_1) | instskip(NEXT) | instid1(VALU_DEP_1)
	s_or_b32 exec_lo, exec_lo, s50
	v_mul_f32_e32 v11, s49, v11
	s_delay_alu instid0(VALU_DEP_1) | instskip(NEXT) | instid1(VALU_DEP_1)
	v_and_b32_e32 v34, 0x7f800000, v11
	v_cmp_ne_u32_e64 s1, 0x7f800000, v34
                                        ; implicit-def: $vgpr34
	s_delay_alu instid0(VALU_DEP_1) | instskip(NEXT) | instid1(SALU_CYCLE_1)
	s_and_saveexec_b32 s50, s1
	s_xor_b32 s1, exec_lo, s50
; %bb.49:                               ;   in Loop: Header=BB376_13 Depth=1
	v_bfe_u32 v34, v11, 16, 1
	s_delay_alu instid0(VALU_DEP_1)
	v_add3_u32 v34, v11, v34, 0x7fff
                                        ; implicit-def: $vgpr11
; %bb.50:                               ;   in Loop: Header=BB376_13 Depth=1
	s_and_not1_saveexec_b32 s50, s1
; %bb.51:                               ;   in Loop: Header=BB376_13 Depth=1
	v_and_b32_e32 v34, 0xffff, v11
	v_or_b32_e32 v36, 0x10000, v11
	s_delay_alu instid0(VALU_DEP_2) | instskip(NEXT) | instid1(VALU_DEP_1)
	v_cmp_eq_u32_e64 s1, 0, v34
	v_cndmask_b32_e64 v34, v36, v11, s1
; %bb.52:                               ;   in Loop: Header=BB376_13 Depth=1
	s_or_b32 exec_lo, exec_lo, s50
	v_lshrrev_b16 v36, 8, v35
	v_mov_b32_e32 v11, 0
	s_mov_b32 s50, exec_lo
	s_delay_alu instid0(VALU_DEP_2)
	v_cmpx_ne_u16_e32 0, v36
	s_cbranch_execz .LBB376_60
; %bb.53:                               ;   in Loop: Header=BB376_13 Depth=1
	v_bfrev_b32_e32 v11, 1
	s_mov_b32 s51, exec_lo
	v_cmpx_ne_u16_e32 0x80, v36
	s_cbranch_execz .LBB376_59
; %bb.54:                               ;   in Loop: Header=BB376_13 Depth=1
	v_and_b32_e32 v36, 0xffff, v36
	v_mov_b32_e32 v11, 0x7f800001
	s_mov_b32 s52, exec_lo
	s_delay_alu instid0(VALU_DEP_2) | instskip(NEXT) | instid1(VALU_DEP_1)
	v_and_b32_e32 v37, 0x7f, v36
	v_cmpx_ne_u32_e32 0x7f, v37
	s_cbranch_execz .LBB376_58
; %bb.55:                               ;   in Loop: Header=BB376_13 Depth=1
	v_and_b32_e32 v11, 7, v36
	v_lshrrev_b32_e32 v36, 3, v37
	s_mov_b32 s53, exec_lo
	v_cmpx_gt_u32_e32 8, v37
; %bb.56:                               ;   in Loop: Header=BB376_13 Depth=1
	s_delay_alu instid0(VALU_DEP_3) | instskip(NEXT) | instid1(VALU_DEP_1)
	v_clz_i32_u32_e32 v36, v11
	v_min_u32_e32 v36, 32, v36
	s_delay_alu instid0(VALU_DEP_1) | instskip(SKIP_1) | instid1(VALU_DEP_2)
	v_subrev_nc_u32_e32 v37, 28, v36
	v_sub_nc_u32_e32 v36, 29, v36
	v_lshlrev_b64 v[37:38], v37, v[11:12]
	s_delay_alu instid0(VALU_DEP_1)
	v_and_b32_e32 v11, 7, v37
; %bb.57:                               ;   in Loop: Header=BB376_13 Depth=1
	s_or_b32 exec_lo, exec_lo, s53
	v_lshlrev_b32_e32 v35, 16, v35
	s_delay_alu instid0(VALU_DEP_2) | instskip(SKIP_1) | instid1(VALU_DEP_3)
	v_lshlrev_b32_e32 v11, 20, v11
	v_lshl_add_u32 v36, v36, 23, 0x3c000000
	v_and_b32_e32 v35, 0x80000000, v35
	s_delay_alu instid0(VALU_DEP_1)
	v_or3_b32 v11, v11, v35, v36
.LBB376_58:                             ;   in Loop: Header=BB376_13 Depth=1
	s_or_b32 exec_lo, exec_lo, s52
.LBB376_59:                             ;   in Loop: Header=BB376_13 Depth=1
	s_delay_alu instid0(SALU_CYCLE_1)
	s_or_b32 exec_lo, exec_lo, s51
.LBB376_60:                             ;   in Loop: Header=BB376_13 Depth=1
	s_delay_alu instid0(SALU_CYCLE_1) | instskip(NEXT) | instid1(VALU_DEP_1)
	s_or_b32 exec_lo, exec_lo, s50
	v_mul_f32_e32 v11, s49, v11
	s_delay_alu instid0(VALU_DEP_1) | instskip(NEXT) | instid1(VALU_DEP_1)
	v_and_b32_e32 v35, 0x7f800000, v11
	v_cmp_ne_u32_e64 s1, 0x7f800000, v35
                                        ; implicit-def: $vgpr35
	s_delay_alu instid0(VALU_DEP_1) | instskip(NEXT) | instid1(SALU_CYCLE_1)
	s_and_saveexec_b32 s50, s1
	s_xor_b32 s1, exec_lo, s50
; %bb.61:                               ;   in Loop: Header=BB376_13 Depth=1
	v_bfe_u32 v35, v11, 16, 1
	s_delay_alu instid0(VALU_DEP_1)
	v_add3_u32 v35, v11, v35, 0x7fff
                                        ; implicit-def: $vgpr11
; %bb.62:                               ;   in Loop: Header=BB376_13 Depth=1
	s_and_not1_saveexec_b32 s50, s1
; %bb.63:                               ;   in Loop: Header=BB376_13 Depth=1
	v_and_b32_e32 v35, 0xffff, v11
	v_or_b32_e32 v36, 0x10000, v11
	s_delay_alu instid0(VALU_DEP_2) | instskip(NEXT) | instid1(VALU_DEP_1)
	v_cmp_eq_u32_e64 s1, 0, v35
	v_cndmask_b32_e64 v35, v36, v11, s1
; %bb.64:                               ;   in Loop: Header=BB376_13 Depth=1
	s_or_b32 exec_lo, exec_lo, s50
	global_load_u16 v11, v[17:18], off offset:128
	s_mov_b32 s50, exec_lo
	s_waitcnt vmcnt(0)
	v_and_b32_e32 v36, 0xff, v11
	v_and_b32_e32 v37, 0xffff, v11
	v_mov_b32_e32 v11, 0
	s_delay_alu instid0(VALU_DEP_3)
	v_cmpx_ne_u16_e32 0, v36
	s_cbranch_execz .LBB376_72
; %bb.65:                               ;   in Loop: Header=BB376_13 Depth=1
	s_delay_alu instid0(VALU_DEP_3) | instskip(NEXT) | instid1(VALU_DEP_1)
	v_and_b32_e32 v11, 0xff, v37
	v_cmp_ne_u16_e64 s1, 0x80, v11
	v_bfrev_b32_e32 v11, 1
	s_delay_alu instid0(VALU_DEP_2)
	s_and_saveexec_b32 s51, s1
	s_cbranch_execz .LBB376_71
; %bb.66:                               ;   in Loop: Header=BB376_13 Depth=1
	v_and_b32_e32 v38, 0x7f, v37
	v_mov_b32_e32 v11, 0x7f800001
	s_mov_b32 s52, exec_lo
	s_delay_alu instid0(VALU_DEP_2)
	v_cmpx_ne_u32_e32 0x7f, v38
	s_cbranch_execz .LBB376_70
; %bb.67:                               ;   in Loop: Header=BB376_13 Depth=1
	v_and_b32_e32 v11, 7, v37
	v_lshrrev_b32_e32 v36, 3, v38
	s_mov_b32 s53, exec_lo
	v_cmpx_gt_u32_e32 8, v38
; %bb.68:                               ;   in Loop: Header=BB376_13 Depth=1
	s_delay_alu instid0(VALU_DEP_3) | instskip(NEXT) | instid1(VALU_DEP_1)
	v_clz_i32_u32_e32 v36, v11
	v_min_u32_e32 v36, 32, v36
	s_delay_alu instid0(VALU_DEP_1) | instskip(SKIP_1) | instid1(VALU_DEP_2)
	v_subrev_nc_u32_e32 v38, 28, v36
	v_sub_nc_u32_e32 v36, 29, v36
	v_lshlrev_b64 v[38:39], v38, v[11:12]
	s_delay_alu instid0(VALU_DEP_1)
	v_and_b32_e32 v11, 7, v38
; %bb.69:                               ;   in Loop: Header=BB376_13 Depth=1
	s_or_b32 exec_lo, exec_lo, s53
	v_lshlrev_b32_e32 v38, 24, v37
	s_delay_alu instid0(VALU_DEP_2) | instskip(SKIP_1) | instid1(VALU_DEP_3)
	v_lshlrev_b32_e32 v11, 20, v11
	v_lshl_add_u32 v36, v36, 23, 0x3c000000
	v_and_b32_e32 v38, 0x80000000, v38
	s_delay_alu instid0(VALU_DEP_1)
	v_or3_b32 v11, v11, v38, v36
.LBB376_70:                             ;   in Loop: Header=BB376_13 Depth=1
	s_or_b32 exec_lo, exec_lo, s52
.LBB376_71:                             ;   in Loop: Header=BB376_13 Depth=1
	s_delay_alu instid0(SALU_CYCLE_1)
	s_or_b32 exec_lo, exec_lo, s51
.LBB376_72:                             ;   in Loop: Header=BB376_13 Depth=1
	s_delay_alu instid0(SALU_CYCLE_1) | instskip(NEXT) | instid1(VALU_DEP_1)
	s_or_b32 exec_lo, exec_lo, s50
	v_mul_f32_e32 v11, s49, v11
	s_delay_alu instid0(VALU_DEP_1) | instskip(NEXT) | instid1(VALU_DEP_1)
	v_and_b32_e32 v36, 0x7f800000, v11
	v_cmp_ne_u32_e64 s1, 0x7f800000, v36
                                        ; implicit-def: $vgpr36
	s_delay_alu instid0(VALU_DEP_1) | instskip(NEXT) | instid1(SALU_CYCLE_1)
	s_and_saveexec_b32 s50, s1
	s_xor_b32 s1, exec_lo, s50
; %bb.73:                               ;   in Loop: Header=BB376_13 Depth=1
	v_bfe_u32 v36, v11, 16, 1
	s_delay_alu instid0(VALU_DEP_1)
	v_add3_u32 v36, v11, v36, 0x7fff
                                        ; implicit-def: $vgpr11
; %bb.74:                               ;   in Loop: Header=BB376_13 Depth=1
	s_and_not1_saveexec_b32 s50, s1
; %bb.75:                               ;   in Loop: Header=BB376_13 Depth=1
	v_and_b32_e32 v36, 0xffff, v11
	v_or_b32_e32 v38, 0x10000, v11
	s_delay_alu instid0(VALU_DEP_2) | instskip(NEXT) | instid1(VALU_DEP_1)
	v_cmp_eq_u32_e64 s1, 0, v36
	v_cndmask_b32_e64 v36, v38, v11, s1
; %bb.76:                               ;   in Loop: Header=BB376_13 Depth=1
	s_or_b32 exec_lo, exec_lo, s50
	v_lshrrev_b16 v38, 8, v37
	v_mov_b32_e32 v11, 0
	s_mov_b32 s50, exec_lo
	s_delay_alu instid0(VALU_DEP_2)
	v_cmpx_ne_u16_e32 0, v38
	s_cbranch_execz .LBB376_84
; %bb.77:                               ;   in Loop: Header=BB376_13 Depth=1
	v_bfrev_b32_e32 v11, 1
	s_mov_b32 s51, exec_lo
	v_cmpx_ne_u16_e32 0x80, v38
	s_cbranch_execz .LBB376_83
; %bb.78:                               ;   in Loop: Header=BB376_13 Depth=1
	v_and_b32_e32 v38, 0xffff, v38
	v_mov_b32_e32 v11, 0x7f800001
	s_mov_b32 s52, exec_lo
	s_delay_alu instid0(VALU_DEP_2) | instskip(NEXT) | instid1(VALU_DEP_1)
	v_and_b32_e32 v39, 0x7f, v38
	v_cmpx_ne_u32_e32 0x7f, v39
	s_cbranch_execz .LBB376_82
; %bb.79:                               ;   in Loop: Header=BB376_13 Depth=1
	v_and_b32_e32 v11, 7, v38
	v_lshrrev_b32_e32 v38, 3, v39
	s_mov_b32 s53, exec_lo
	v_cmpx_gt_u32_e32 8, v39
; %bb.80:                               ;   in Loop: Header=BB376_13 Depth=1
	s_delay_alu instid0(VALU_DEP_3) | instskip(NEXT) | instid1(VALU_DEP_1)
	v_clz_i32_u32_e32 v38, v11
	v_min_u32_e32 v38, 32, v38
	s_delay_alu instid0(VALU_DEP_1) | instskip(SKIP_1) | instid1(VALU_DEP_2)
	v_subrev_nc_u32_e32 v39, 28, v38
	v_sub_nc_u32_e32 v38, 29, v38
	v_lshlrev_b64 v[39:40], v39, v[11:12]
	s_delay_alu instid0(VALU_DEP_1)
	v_and_b32_e32 v11, 7, v39
; %bb.81:                               ;   in Loop: Header=BB376_13 Depth=1
	s_or_b32 exec_lo, exec_lo, s53
	v_lshlrev_b32_e32 v37, 16, v37
	s_delay_alu instid0(VALU_DEP_2) | instskip(SKIP_1) | instid1(VALU_DEP_3)
	v_lshlrev_b32_e32 v11, 20, v11
	v_lshl_add_u32 v38, v38, 23, 0x3c000000
	v_and_b32_e32 v37, 0x80000000, v37
	s_delay_alu instid0(VALU_DEP_1)
	v_or3_b32 v11, v11, v37, v38
.LBB376_82:                             ;   in Loop: Header=BB376_13 Depth=1
	s_or_b32 exec_lo, exec_lo, s52
.LBB376_83:                             ;   in Loop: Header=BB376_13 Depth=1
	s_delay_alu instid0(SALU_CYCLE_1)
	s_or_b32 exec_lo, exec_lo, s51
.LBB376_84:                             ;   in Loop: Header=BB376_13 Depth=1
	s_delay_alu instid0(SALU_CYCLE_1) | instskip(NEXT) | instid1(VALU_DEP_1)
	s_or_b32 exec_lo, exec_lo, s50
	v_mul_f32_e32 v11, s49, v11
	s_delay_alu instid0(VALU_DEP_1) | instskip(NEXT) | instid1(VALU_DEP_1)
	v_and_b32_e32 v37, 0x7f800000, v11
	v_cmp_ne_u32_e64 s1, 0x7f800000, v37
                                        ; implicit-def: $vgpr37
	s_delay_alu instid0(VALU_DEP_1) | instskip(NEXT) | instid1(SALU_CYCLE_1)
	s_and_saveexec_b32 s50, s1
	s_xor_b32 s1, exec_lo, s50
; %bb.85:                               ;   in Loop: Header=BB376_13 Depth=1
	v_bfe_u32 v37, v11, 16, 1
	s_delay_alu instid0(VALU_DEP_1)
	v_add3_u32 v37, v11, v37, 0x7fff
                                        ; implicit-def: $vgpr11
; %bb.86:                               ;   in Loop: Header=BB376_13 Depth=1
	s_and_not1_saveexec_b32 s50, s1
; %bb.87:                               ;   in Loop: Header=BB376_13 Depth=1
	v_and_b32_e32 v37, 0xffff, v11
	v_or_b32_e32 v38, 0x10000, v11
	s_delay_alu instid0(VALU_DEP_2) | instskip(NEXT) | instid1(VALU_DEP_1)
	v_cmp_eq_u32_e64 s1, 0, v37
	v_cndmask_b32_e64 v37, v38, v11, s1
; %bb.88:                               ;   in Loop: Header=BB376_13 Depth=1
	s_or_b32 exec_lo, exec_lo, s50
	global_load_u16 v11, v[17:18], off offset:136
	s_mov_b32 s50, exec_lo
	s_waitcnt vmcnt(0)
	v_and_b32_e32 v38, 0xff, v11
	v_and_b32_e32 v39, 0xffff, v11
	v_mov_b32_e32 v11, 0
	s_delay_alu instid0(VALU_DEP_3)
	v_cmpx_ne_u16_e32 0, v38
	s_cbranch_execz .LBB376_96
; %bb.89:                               ;   in Loop: Header=BB376_13 Depth=1
	s_delay_alu instid0(VALU_DEP_3) | instskip(NEXT) | instid1(VALU_DEP_1)
	v_and_b32_e32 v11, 0xff, v39
	v_cmp_ne_u16_e64 s1, 0x80, v11
	v_bfrev_b32_e32 v11, 1
	s_delay_alu instid0(VALU_DEP_2)
	s_and_saveexec_b32 s51, s1
	s_cbranch_execz .LBB376_95
; %bb.90:                               ;   in Loop: Header=BB376_13 Depth=1
	v_and_b32_e32 v40, 0x7f, v39
	v_mov_b32_e32 v11, 0x7f800001
	s_mov_b32 s52, exec_lo
	s_delay_alu instid0(VALU_DEP_2)
	v_cmpx_ne_u32_e32 0x7f, v40
	s_cbranch_execz .LBB376_94
; %bb.91:                               ;   in Loop: Header=BB376_13 Depth=1
	v_and_b32_e32 v11, 7, v39
	v_lshrrev_b32_e32 v38, 3, v40
	s_mov_b32 s53, exec_lo
	v_cmpx_gt_u32_e32 8, v40
; %bb.92:                               ;   in Loop: Header=BB376_13 Depth=1
	s_delay_alu instid0(VALU_DEP_3) | instskip(NEXT) | instid1(VALU_DEP_1)
	v_clz_i32_u32_e32 v38, v11
	v_min_u32_e32 v38, 32, v38
	s_delay_alu instid0(VALU_DEP_1) | instskip(SKIP_1) | instid1(VALU_DEP_2)
	v_subrev_nc_u32_e32 v40, 28, v38
	v_sub_nc_u32_e32 v38, 29, v38
	v_lshlrev_b64 v[40:41], v40, v[11:12]
	s_delay_alu instid0(VALU_DEP_1)
	v_and_b32_e32 v11, 7, v40
; %bb.93:                               ;   in Loop: Header=BB376_13 Depth=1
	s_or_b32 exec_lo, exec_lo, s53
	v_lshlrev_b32_e32 v40, 24, v39
	s_delay_alu instid0(VALU_DEP_2) | instskip(SKIP_1) | instid1(VALU_DEP_3)
	v_lshlrev_b32_e32 v11, 20, v11
	v_lshl_add_u32 v38, v38, 23, 0x3c000000
	v_and_b32_e32 v40, 0x80000000, v40
	s_delay_alu instid0(VALU_DEP_1)
	v_or3_b32 v11, v11, v40, v38
.LBB376_94:                             ;   in Loop: Header=BB376_13 Depth=1
	s_or_b32 exec_lo, exec_lo, s52
.LBB376_95:                             ;   in Loop: Header=BB376_13 Depth=1
	s_delay_alu instid0(SALU_CYCLE_1)
	s_or_b32 exec_lo, exec_lo, s51
.LBB376_96:                             ;   in Loop: Header=BB376_13 Depth=1
	s_delay_alu instid0(SALU_CYCLE_1) | instskip(NEXT) | instid1(VALU_DEP_1)
	s_or_b32 exec_lo, exec_lo, s50
	v_mul_f32_e32 v11, s49, v11
	s_delay_alu instid0(VALU_DEP_1) | instskip(NEXT) | instid1(VALU_DEP_1)
	v_and_b32_e32 v38, 0x7f800000, v11
	v_cmp_ne_u32_e64 s1, 0x7f800000, v38
                                        ; implicit-def: $vgpr38
	s_delay_alu instid0(VALU_DEP_1) | instskip(NEXT) | instid1(SALU_CYCLE_1)
	s_and_saveexec_b32 s50, s1
	s_xor_b32 s1, exec_lo, s50
; %bb.97:                               ;   in Loop: Header=BB376_13 Depth=1
	v_bfe_u32 v38, v11, 16, 1
	s_delay_alu instid0(VALU_DEP_1)
	v_add3_u32 v38, v11, v38, 0x7fff
                                        ; implicit-def: $vgpr11
; %bb.98:                               ;   in Loop: Header=BB376_13 Depth=1
	s_and_not1_saveexec_b32 s50, s1
; %bb.99:                               ;   in Loop: Header=BB376_13 Depth=1
	v_and_b32_e32 v38, 0xffff, v11
	v_or_b32_e32 v40, 0x10000, v11
	s_delay_alu instid0(VALU_DEP_2) | instskip(NEXT) | instid1(VALU_DEP_1)
	v_cmp_eq_u32_e64 s1, 0, v38
	v_cndmask_b32_e64 v38, v40, v11, s1
; %bb.100:                              ;   in Loop: Header=BB376_13 Depth=1
	s_or_b32 exec_lo, exec_lo, s50
	v_lshrrev_b16 v40, 8, v39
	v_mov_b32_e32 v11, 0
	s_mov_b32 s50, exec_lo
	s_delay_alu instid0(VALU_DEP_2)
	v_cmpx_ne_u16_e32 0, v40
	s_cbranch_execz .LBB376_108
; %bb.101:                              ;   in Loop: Header=BB376_13 Depth=1
	v_bfrev_b32_e32 v11, 1
	s_mov_b32 s51, exec_lo
	v_cmpx_ne_u16_e32 0x80, v40
	s_cbranch_execz .LBB376_107
; %bb.102:                              ;   in Loop: Header=BB376_13 Depth=1
	v_and_b32_e32 v40, 0xffff, v40
	v_mov_b32_e32 v11, 0x7f800001
	s_mov_b32 s52, exec_lo
	s_delay_alu instid0(VALU_DEP_2) | instskip(NEXT) | instid1(VALU_DEP_1)
	v_and_b32_e32 v41, 0x7f, v40
	v_cmpx_ne_u32_e32 0x7f, v41
	s_cbranch_execz .LBB376_106
; %bb.103:                              ;   in Loop: Header=BB376_13 Depth=1
	v_and_b32_e32 v11, 7, v40
	v_lshrrev_b32_e32 v40, 3, v41
	s_mov_b32 s53, exec_lo
	v_cmpx_gt_u32_e32 8, v41
; %bb.104:                              ;   in Loop: Header=BB376_13 Depth=1
	s_delay_alu instid0(VALU_DEP_3) | instskip(NEXT) | instid1(VALU_DEP_1)
	v_clz_i32_u32_e32 v40, v11
	v_min_u32_e32 v40, 32, v40
	s_delay_alu instid0(VALU_DEP_1) | instskip(SKIP_1) | instid1(VALU_DEP_2)
	v_subrev_nc_u32_e32 v41, 28, v40
	v_sub_nc_u32_e32 v40, 29, v40
	v_lshlrev_b64 v[41:42], v41, v[11:12]
	s_delay_alu instid0(VALU_DEP_1)
	v_and_b32_e32 v11, 7, v41
; %bb.105:                              ;   in Loop: Header=BB376_13 Depth=1
	s_or_b32 exec_lo, exec_lo, s53
	v_lshlrev_b32_e32 v39, 16, v39
	s_delay_alu instid0(VALU_DEP_2) | instskip(SKIP_1) | instid1(VALU_DEP_3)
	v_lshlrev_b32_e32 v11, 20, v11
	v_lshl_add_u32 v40, v40, 23, 0x3c000000
	v_and_b32_e32 v39, 0x80000000, v39
	s_delay_alu instid0(VALU_DEP_1)
	v_or3_b32 v11, v11, v39, v40
.LBB376_106:                            ;   in Loop: Header=BB376_13 Depth=1
	s_or_b32 exec_lo, exec_lo, s52
.LBB376_107:                            ;   in Loop: Header=BB376_13 Depth=1
	s_delay_alu instid0(SALU_CYCLE_1)
	s_or_b32 exec_lo, exec_lo, s51
.LBB376_108:                            ;   in Loop: Header=BB376_13 Depth=1
	s_delay_alu instid0(SALU_CYCLE_1) | instskip(NEXT) | instid1(VALU_DEP_1)
	s_or_b32 exec_lo, exec_lo, s50
	v_mul_f32_e32 v11, s49, v11
	s_delay_alu instid0(VALU_DEP_1) | instskip(NEXT) | instid1(VALU_DEP_1)
	v_and_b32_e32 v39, 0x7f800000, v11
	v_cmp_ne_u32_e64 s1, 0x7f800000, v39
                                        ; implicit-def: $vgpr39
	s_delay_alu instid0(VALU_DEP_1) | instskip(NEXT) | instid1(SALU_CYCLE_1)
	s_and_saveexec_b32 s50, s1
	s_xor_b32 s1, exec_lo, s50
; %bb.109:                              ;   in Loop: Header=BB376_13 Depth=1
	v_bfe_u32 v39, v11, 16, 1
	s_delay_alu instid0(VALU_DEP_1)
	v_add3_u32 v39, v11, v39, 0x7fff
                                        ; implicit-def: $vgpr11
; %bb.110:                              ;   in Loop: Header=BB376_13 Depth=1
	s_and_not1_saveexec_b32 s50, s1
; %bb.111:                              ;   in Loop: Header=BB376_13 Depth=1
	v_and_b32_e32 v39, 0xffff, v11
	v_or_b32_e32 v40, 0x10000, v11
	s_delay_alu instid0(VALU_DEP_2) | instskip(NEXT) | instid1(VALU_DEP_1)
	v_cmp_eq_u32_e64 s1, 0, v39
	v_cndmask_b32_e64 v39, v40, v11, s1
; %bb.112:                              ;   in Loop: Header=BB376_13 Depth=1
	s_or_b32 exec_lo, exec_lo, s50
	global_load_u16 v11, v[17:18], off offset:256
	s_mov_b32 s50, exec_lo
	s_waitcnt vmcnt(0)
	v_and_b32_e32 v40, 0xff, v11
	v_and_b32_e32 v41, 0xffff, v11
	v_mov_b32_e32 v11, 0
	s_delay_alu instid0(VALU_DEP_3)
	v_cmpx_ne_u16_e32 0, v40
	s_cbranch_execz .LBB376_120
; %bb.113:                              ;   in Loop: Header=BB376_13 Depth=1
	s_delay_alu instid0(VALU_DEP_3) | instskip(NEXT) | instid1(VALU_DEP_1)
	v_and_b32_e32 v11, 0xff, v41
	v_cmp_ne_u16_e64 s1, 0x80, v11
	v_bfrev_b32_e32 v11, 1
	s_delay_alu instid0(VALU_DEP_2)
	s_and_saveexec_b32 s51, s1
	s_cbranch_execz .LBB376_119
; %bb.114:                              ;   in Loop: Header=BB376_13 Depth=1
	v_and_b32_e32 v42, 0x7f, v41
	v_mov_b32_e32 v11, 0x7f800001
	s_mov_b32 s52, exec_lo
	s_delay_alu instid0(VALU_DEP_2)
	v_cmpx_ne_u32_e32 0x7f, v42
	s_cbranch_execz .LBB376_118
; %bb.115:                              ;   in Loop: Header=BB376_13 Depth=1
	v_and_b32_e32 v11, 7, v41
	v_lshrrev_b32_e32 v40, 3, v42
	s_mov_b32 s53, exec_lo
	v_cmpx_gt_u32_e32 8, v42
; %bb.116:                              ;   in Loop: Header=BB376_13 Depth=1
	s_delay_alu instid0(VALU_DEP_3) | instskip(NEXT) | instid1(VALU_DEP_1)
	v_clz_i32_u32_e32 v40, v11
	v_min_u32_e32 v40, 32, v40
	s_delay_alu instid0(VALU_DEP_1) | instskip(SKIP_1) | instid1(VALU_DEP_2)
	v_subrev_nc_u32_e32 v42, 28, v40
	v_sub_nc_u32_e32 v40, 29, v40
	v_lshlrev_b64 v[42:43], v42, v[11:12]
	s_delay_alu instid0(VALU_DEP_1)
	v_and_b32_e32 v11, 7, v42
; %bb.117:                              ;   in Loop: Header=BB376_13 Depth=1
	s_or_b32 exec_lo, exec_lo, s53
	v_lshlrev_b32_e32 v42, 24, v41
	s_delay_alu instid0(VALU_DEP_2) | instskip(SKIP_1) | instid1(VALU_DEP_3)
	v_lshlrev_b32_e32 v11, 20, v11
	v_lshl_add_u32 v40, v40, 23, 0x3c000000
	v_and_b32_e32 v42, 0x80000000, v42
	s_delay_alu instid0(VALU_DEP_1)
	v_or3_b32 v11, v11, v42, v40
.LBB376_118:                            ;   in Loop: Header=BB376_13 Depth=1
	s_or_b32 exec_lo, exec_lo, s52
.LBB376_119:                            ;   in Loop: Header=BB376_13 Depth=1
	s_delay_alu instid0(SALU_CYCLE_1)
	s_or_b32 exec_lo, exec_lo, s51
.LBB376_120:                            ;   in Loop: Header=BB376_13 Depth=1
	s_delay_alu instid0(SALU_CYCLE_1) | instskip(NEXT) | instid1(VALU_DEP_1)
	s_or_b32 exec_lo, exec_lo, s50
	v_mul_f32_e32 v11, s49, v11
	s_delay_alu instid0(VALU_DEP_1) | instskip(NEXT) | instid1(VALU_DEP_1)
	v_and_b32_e32 v40, 0x7f800000, v11
	v_cmp_ne_u32_e64 s1, 0x7f800000, v40
                                        ; implicit-def: $vgpr40
	s_delay_alu instid0(VALU_DEP_1) | instskip(NEXT) | instid1(SALU_CYCLE_1)
	s_and_saveexec_b32 s50, s1
	s_xor_b32 s1, exec_lo, s50
; %bb.121:                              ;   in Loop: Header=BB376_13 Depth=1
	v_bfe_u32 v40, v11, 16, 1
	s_delay_alu instid0(VALU_DEP_1)
	v_add3_u32 v40, v11, v40, 0x7fff
                                        ; implicit-def: $vgpr11
; %bb.122:                              ;   in Loop: Header=BB376_13 Depth=1
	s_and_not1_saveexec_b32 s50, s1
; %bb.123:                              ;   in Loop: Header=BB376_13 Depth=1
	v_and_b32_e32 v40, 0xffff, v11
	v_or_b32_e32 v42, 0x10000, v11
	s_delay_alu instid0(VALU_DEP_2) | instskip(NEXT) | instid1(VALU_DEP_1)
	v_cmp_eq_u32_e64 s1, 0, v40
	v_cndmask_b32_e64 v40, v42, v11, s1
; %bb.124:                              ;   in Loop: Header=BB376_13 Depth=1
	s_or_b32 exec_lo, exec_lo, s50
	v_lshrrev_b16 v42, 8, v41
	v_mov_b32_e32 v11, 0
	s_mov_b32 s50, exec_lo
	s_delay_alu instid0(VALU_DEP_2)
	v_cmpx_ne_u16_e32 0, v42
	s_cbranch_execz .LBB376_132
; %bb.125:                              ;   in Loop: Header=BB376_13 Depth=1
	v_bfrev_b32_e32 v11, 1
	s_mov_b32 s51, exec_lo
	v_cmpx_ne_u16_e32 0x80, v42
	s_cbranch_execz .LBB376_131
; %bb.126:                              ;   in Loop: Header=BB376_13 Depth=1
	v_and_b32_e32 v42, 0xffff, v42
	v_mov_b32_e32 v11, 0x7f800001
	s_mov_b32 s52, exec_lo
	s_delay_alu instid0(VALU_DEP_2) | instskip(NEXT) | instid1(VALU_DEP_1)
	v_and_b32_e32 v43, 0x7f, v42
	v_cmpx_ne_u32_e32 0x7f, v43
	s_cbranch_execz .LBB376_130
; %bb.127:                              ;   in Loop: Header=BB376_13 Depth=1
	v_and_b32_e32 v11, 7, v42
	v_lshrrev_b32_e32 v42, 3, v43
	s_mov_b32 s53, exec_lo
	v_cmpx_gt_u32_e32 8, v43
; %bb.128:                              ;   in Loop: Header=BB376_13 Depth=1
	s_delay_alu instid0(VALU_DEP_3) | instskip(NEXT) | instid1(VALU_DEP_1)
	v_clz_i32_u32_e32 v42, v11
	v_min_u32_e32 v42, 32, v42
	s_delay_alu instid0(VALU_DEP_1) | instskip(SKIP_1) | instid1(VALU_DEP_2)
	v_subrev_nc_u32_e32 v43, 28, v42
	v_sub_nc_u32_e32 v42, 29, v42
	v_lshlrev_b64 v[43:44], v43, v[11:12]
	s_delay_alu instid0(VALU_DEP_1)
	v_and_b32_e32 v11, 7, v43
; %bb.129:                              ;   in Loop: Header=BB376_13 Depth=1
	s_or_b32 exec_lo, exec_lo, s53
	v_lshlrev_b32_e32 v41, 16, v41
	s_delay_alu instid0(VALU_DEP_2) | instskip(SKIP_1) | instid1(VALU_DEP_3)
	v_lshlrev_b32_e32 v11, 20, v11
	v_lshl_add_u32 v42, v42, 23, 0x3c000000
	v_and_b32_e32 v41, 0x80000000, v41
	s_delay_alu instid0(VALU_DEP_1)
	v_or3_b32 v11, v11, v41, v42
.LBB376_130:                            ;   in Loop: Header=BB376_13 Depth=1
	s_or_b32 exec_lo, exec_lo, s52
.LBB376_131:                            ;   in Loop: Header=BB376_13 Depth=1
	s_delay_alu instid0(SALU_CYCLE_1)
	s_or_b32 exec_lo, exec_lo, s51
.LBB376_132:                            ;   in Loop: Header=BB376_13 Depth=1
	s_delay_alu instid0(SALU_CYCLE_1) | instskip(NEXT) | instid1(VALU_DEP_1)
	s_or_b32 exec_lo, exec_lo, s50
	v_mul_f32_e32 v11, s49, v11
	s_delay_alu instid0(VALU_DEP_1) | instskip(NEXT) | instid1(VALU_DEP_1)
	v_and_b32_e32 v41, 0x7f800000, v11
	v_cmp_ne_u32_e64 s1, 0x7f800000, v41
                                        ; implicit-def: $vgpr41
	s_delay_alu instid0(VALU_DEP_1) | instskip(NEXT) | instid1(SALU_CYCLE_1)
	s_and_saveexec_b32 s50, s1
	s_xor_b32 s1, exec_lo, s50
; %bb.133:                              ;   in Loop: Header=BB376_13 Depth=1
	v_bfe_u32 v41, v11, 16, 1
	s_delay_alu instid0(VALU_DEP_1)
	v_add3_u32 v41, v11, v41, 0x7fff
                                        ; implicit-def: $vgpr11
; %bb.134:                              ;   in Loop: Header=BB376_13 Depth=1
	s_and_not1_saveexec_b32 s50, s1
; %bb.135:                              ;   in Loop: Header=BB376_13 Depth=1
	v_and_b32_e32 v41, 0xffff, v11
	v_or_b32_e32 v42, 0x10000, v11
	s_delay_alu instid0(VALU_DEP_2) | instskip(NEXT) | instid1(VALU_DEP_1)
	v_cmp_eq_u32_e64 s1, 0, v41
	v_cndmask_b32_e64 v41, v42, v11, s1
; %bb.136:                              ;   in Loop: Header=BB376_13 Depth=1
	s_or_b32 exec_lo, exec_lo, s50
	global_load_u16 v11, v[17:18], off offset:264
	s_mov_b32 s50, exec_lo
	s_waitcnt vmcnt(0)
	v_and_b32_e32 v42, 0xff, v11
	v_and_b32_e32 v43, 0xffff, v11
	v_mov_b32_e32 v11, 0
	s_delay_alu instid0(VALU_DEP_3)
	v_cmpx_ne_u16_e32 0, v42
	s_cbranch_execz .LBB376_144
; %bb.137:                              ;   in Loop: Header=BB376_13 Depth=1
	s_delay_alu instid0(VALU_DEP_3) | instskip(NEXT) | instid1(VALU_DEP_1)
	v_and_b32_e32 v11, 0xff, v43
	v_cmp_ne_u16_e64 s1, 0x80, v11
	v_bfrev_b32_e32 v11, 1
	s_delay_alu instid0(VALU_DEP_2)
	s_and_saveexec_b32 s51, s1
	s_cbranch_execz .LBB376_143
; %bb.138:                              ;   in Loop: Header=BB376_13 Depth=1
	v_and_b32_e32 v44, 0x7f, v43
	v_mov_b32_e32 v11, 0x7f800001
	s_mov_b32 s52, exec_lo
	s_delay_alu instid0(VALU_DEP_2)
	v_cmpx_ne_u32_e32 0x7f, v44
	s_cbranch_execz .LBB376_142
; %bb.139:                              ;   in Loop: Header=BB376_13 Depth=1
	v_and_b32_e32 v11, 7, v43
	v_lshrrev_b32_e32 v42, 3, v44
	s_mov_b32 s53, exec_lo
	v_cmpx_gt_u32_e32 8, v44
; %bb.140:                              ;   in Loop: Header=BB376_13 Depth=1
	s_delay_alu instid0(VALU_DEP_3) | instskip(NEXT) | instid1(VALU_DEP_1)
	v_clz_i32_u32_e32 v42, v11
	v_min_u32_e32 v42, 32, v42
	s_delay_alu instid0(VALU_DEP_1) | instskip(SKIP_1) | instid1(VALU_DEP_2)
	v_subrev_nc_u32_e32 v44, 28, v42
	v_sub_nc_u32_e32 v42, 29, v42
	v_lshlrev_b64 v[44:45], v44, v[11:12]
	s_delay_alu instid0(VALU_DEP_1)
	v_and_b32_e32 v11, 7, v44
; %bb.141:                              ;   in Loop: Header=BB376_13 Depth=1
	s_or_b32 exec_lo, exec_lo, s53
	v_lshlrev_b32_e32 v44, 24, v43
	s_delay_alu instid0(VALU_DEP_2) | instskip(SKIP_1) | instid1(VALU_DEP_3)
	v_lshlrev_b32_e32 v11, 20, v11
	v_lshl_add_u32 v42, v42, 23, 0x3c000000
	v_and_b32_e32 v44, 0x80000000, v44
	s_delay_alu instid0(VALU_DEP_1)
	v_or3_b32 v11, v11, v44, v42
.LBB376_142:                            ;   in Loop: Header=BB376_13 Depth=1
	s_or_b32 exec_lo, exec_lo, s52
.LBB376_143:                            ;   in Loop: Header=BB376_13 Depth=1
	s_delay_alu instid0(SALU_CYCLE_1)
	s_or_b32 exec_lo, exec_lo, s51
.LBB376_144:                            ;   in Loop: Header=BB376_13 Depth=1
	s_delay_alu instid0(SALU_CYCLE_1) | instskip(NEXT) | instid1(VALU_DEP_1)
	s_or_b32 exec_lo, exec_lo, s50
	v_mul_f32_e32 v11, s49, v11
	s_delay_alu instid0(VALU_DEP_1) | instskip(NEXT) | instid1(VALU_DEP_1)
	v_and_b32_e32 v42, 0x7f800000, v11
	v_cmp_ne_u32_e64 s1, 0x7f800000, v42
                                        ; implicit-def: $vgpr42
	s_delay_alu instid0(VALU_DEP_1) | instskip(NEXT) | instid1(SALU_CYCLE_1)
	s_and_saveexec_b32 s50, s1
	s_xor_b32 s1, exec_lo, s50
; %bb.145:                              ;   in Loop: Header=BB376_13 Depth=1
	v_bfe_u32 v42, v11, 16, 1
	s_delay_alu instid0(VALU_DEP_1)
	v_add3_u32 v42, v11, v42, 0x7fff
                                        ; implicit-def: $vgpr11
; %bb.146:                              ;   in Loop: Header=BB376_13 Depth=1
	s_and_not1_saveexec_b32 s50, s1
; %bb.147:                              ;   in Loop: Header=BB376_13 Depth=1
	v_and_b32_e32 v42, 0xffff, v11
	v_or_b32_e32 v44, 0x10000, v11
	s_delay_alu instid0(VALU_DEP_2) | instskip(NEXT) | instid1(VALU_DEP_1)
	v_cmp_eq_u32_e64 s1, 0, v42
	v_cndmask_b32_e64 v42, v44, v11, s1
; %bb.148:                              ;   in Loop: Header=BB376_13 Depth=1
	s_or_b32 exec_lo, exec_lo, s50
	v_lshrrev_b16 v44, 8, v43
	v_mov_b32_e32 v11, 0
	s_mov_b32 s50, exec_lo
	s_delay_alu instid0(VALU_DEP_2)
	v_cmpx_ne_u16_e32 0, v44
	s_cbranch_execz .LBB376_156
; %bb.149:                              ;   in Loop: Header=BB376_13 Depth=1
	v_bfrev_b32_e32 v11, 1
	s_mov_b32 s51, exec_lo
	v_cmpx_ne_u16_e32 0x80, v44
	s_cbranch_execz .LBB376_155
; %bb.150:                              ;   in Loop: Header=BB376_13 Depth=1
	v_and_b32_e32 v44, 0xffff, v44
	v_mov_b32_e32 v11, 0x7f800001
	s_mov_b32 s52, exec_lo
	s_delay_alu instid0(VALU_DEP_2) | instskip(NEXT) | instid1(VALU_DEP_1)
	v_and_b32_e32 v45, 0x7f, v44
	v_cmpx_ne_u32_e32 0x7f, v45
	s_cbranch_execz .LBB376_154
; %bb.151:                              ;   in Loop: Header=BB376_13 Depth=1
	v_and_b32_e32 v11, 7, v44
	v_lshrrev_b32_e32 v44, 3, v45
	s_mov_b32 s53, exec_lo
	v_cmpx_gt_u32_e32 8, v45
; %bb.152:                              ;   in Loop: Header=BB376_13 Depth=1
	s_delay_alu instid0(VALU_DEP_3) | instskip(NEXT) | instid1(VALU_DEP_1)
	v_clz_i32_u32_e32 v44, v11
	v_min_u32_e32 v44, 32, v44
	s_delay_alu instid0(VALU_DEP_1) | instskip(SKIP_1) | instid1(VALU_DEP_2)
	v_subrev_nc_u32_e32 v45, 28, v44
	v_sub_nc_u32_e32 v44, 29, v44
	v_lshlrev_b64 v[45:46], v45, v[11:12]
	s_delay_alu instid0(VALU_DEP_1)
	v_and_b32_e32 v11, 7, v45
; %bb.153:                              ;   in Loop: Header=BB376_13 Depth=1
	s_or_b32 exec_lo, exec_lo, s53
	v_lshlrev_b32_e32 v43, 16, v43
	s_delay_alu instid0(VALU_DEP_2) | instskip(SKIP_1) | instid1(VALU_DEP_3)
	v_lshlrev_b32_e32 v11, 20, v11
	v_lshl_add_u32 v44, v44, 23, 0x3c000000
	v_and_b32_e32 v43, 0x80000000, v43
	s_delay_alu instid0(VALU_DEP_1)
	v_or3_b32 v11, v11, v43, v44
.LBB376_154:                            ;   in Loop: Header=BB376_13 Depth=1
	s_or_b32 exec_lo, exec_lo, s52
.LBB376_155:                            ;   in Loop: Header=BB376_13 Depth=1
	s_delay_alu instid0(SALU_CYCLE_1)
	s_or_b32 exec_lo, exec_lo, s51
.LBB376_156:                            ;   in Loop: Header=BB376_13 Depth=1
	s_delay_alu instid0(SALU_CYCLE_1) | instskip(NEXT) | instid1(VALU_DEP_1)
	s_or_b32 exec_lo, exec_lo, s50
	v_mul_f32_e32 v11, s49, v11
	s_delay_alu instid0(VALU_DEP_1) | instskip(NEXT) | instid1(VALU_DEP_1)
	v_and_b32_e32 v43, 0x7f800000, v11
	v_cmp_ne_u32_e64 s1, 0x7f800000, v43
                                        ; implicit-def: $vgpr43
	s_delay_alu instid0(VALU_DEP_1) | instskip(NEXT) | instid1(SALU_CYCLE_1)
	s_and_saveexec_b32 s50, s1
	s_xor_b32 s1, exec_lo, s50
; %bb.157:                              ;   in Loop: Header=BB376_13 Depth=1
	v_bfe_u32 v43, v11, 16, 1
	s_delay_alu instid0(VALU_DEP_1)
	v_add3_u32 v43, v11, v43, 0x7fff
                                        ; implicit-def: $vgpr11
; %bb.158:                              ;   in Loop: Header=BB376_13 Depth=1
	s_and_not1_saveexec_b32 s50, s1
; %bb.159:                              ;   in Loop: Header=BB376_13 Depth=1
	v_and_b32_e32 v43, 0xffff, v11
	v_or_b32_e32 v44, 0x10000, v11
	s_delay_alu instid0(VALU_DEP_2) | instskip(NEXT) | instid1(VALU_DEP_1)
	v_cmp_eq_u32_e64 s1, 0, v43
	v_cndmask_b32_e64 v43, v44, v11, s1
; %bb.160:                              ;   in Loop: Header=BB376_13 Depth=1
	s_or_b32 exec_lo, exec_lo, s50
	global_load_u16 v11, v[17:18], off offset:384
	s_mov_b32 s50, exec_lo
	s_waitcnt vmcnt(0)
	v_and_b32_e32 v44, 0xff, v11
	v_and_b32_e32 v45, 0xffff, v11
	v_mov_b32_e32 v11, 0
	s_delay_alu instid0(VALU_DEP_3)
	v_cmpx_ne_u16_e32 0, v44
	s_cbranch_execz .LBB376_168
; %bb.161:                              ;   in Loop: Header=BB376_13 Depth=1
	s_delay_alu instid0(VALU_DEP_3) | instskip(NEXT) | instid1(VALU_DEP_1)
	v_and_b32_e32 v11, 0xff, v45
	v_cmp_ne_u16_e64 s1, 0x80, v11
	v_bfrev_b32_e32 v11, 1
	s_delay_alu instid0(VALU_DEP_2)
	s_and_saveexec_b32 s51, s1
	s_cbranch_execz .LBB376_167
; %bb.162:                              ;   in Loop: Header=BB376_13 Depth=1
	v_and_b32_e32 v46, 0x7f, v45
	v_mov_b32_e32 v11, 0x7f800001
	s_mov_b32 s52, exec_lo
	s_delay_alu instid0(VALU_DEP_2)
	v_cmpx_ne_u32_e32 0x7f, v46
	s_cbranch_execz .LBB376_166
; %bb.163:                              ;   in Loop: Header=BB376_13 Depth=1
	v_and_b32_e32 v11, 7, v45
	v_lshrrev_b32_e32 v44, 3, v46
	s_mov_b32 s53, exec_lo
	v_cmpx_gt_u32_e32 8, v46
; %bb.164:                              ;   in Loop: Header=BB376_13 Depth=1
	s_delay_alu instid0(VALU_DEP_3) | instskip(NEXT) | instid1(VALU_DEP_1)
	v_clz_i32_u32_e32 v44, v11
	v_min_u32_e32 v44, 32, v44
	s_delay_alu instid0(VALU_DEP_1) | instskip(SKIP_1) | instid1(VALU_DEP_2)
	v_subrev_nc_u32_e32 v46, 28, v44
	v_sub_nc_u32_e32 v44, 29, v44
	v_lshlrev_b64 v[46:47], v46, v[11:12]
	s_delay_alu instid0(VALU_DEP_1)
	v_and_b32_e32 v11, 7, v46
; %bb.165:                              ;   in Loop: Header=BB376_13 Depth=1
	s_or_b32 exec_lo, exec_lo, s53
	v_lshlrev_b32_e32 v46, 24, v45
	s_delay_alu instid0(VALU_DEP_2) | instskip(SKIP_1) | instid1(VALU_DEP_3)
	v_lshlrev_b32_e32 v11, 20, v11
	v_lshl_add_u32 v44, v44, 23, 0x3c000000
	v_and_b32_e32 v46, 0x80000000, v46
	s_delay_alu instid0(VALU_DEP_1)
	v_or3_b32 v11, v11, v46, v44
.LBB376_166:                            ;   in Loop: Header=BB376_13 Depth=1
	s_or_b32 exec_lo, exec_lo, s52
.LBB376_167:                            ;   in Loop: Header=BB376_13 Depth=1
	s_delay_alu instid0(SALU_CYCLE_1)
	s_or_b32 exec_lo, exec_lo, s51
.LBB376_168:                            ;   in Loop: Header=BB376_13 Depth=1
	s_delay_alu instid0(SALU_CYCLE_1) | instskip(NEXT) | instid1(VALU_DEP_1)
	s_or_b32 exec_lo, exec_lo, s50
	v_mul_f32_e32 v11, s49, v11
	s_delay_alu instid0(VALU_DEP_1) | instskip(NEXT) | instid1(VALU_DEP_1)
	v_and_b32_e32 v44, 0x7f800000, v11
	v_cmp_ne_u32_e64 s1, 0x7f800000, v44
                                        ; implicit-def: $vgpr44
	s_delay_alu instid0(VALU_DEP_1) | instskip(NEXT) | instid1(SALU_CYCLE_1)
	s_and_saveexec_b32 s50, s1
	s_xor_b32 s1, exec_lo, s50
; %bb.169:                              ;   in Loop: Header=BB376_13 Depth=1
	v_bfe_u32 v44, v11, 16, 1
	s_delay_alu instid0(VALU_DEP_1)
	v_add3_u32 v44, v11, v44, 0x7fff
                                        ; implicit-def: $vgpr11
; %bb.170:                              ;   in Loop: Header=BB376_13 Depth=1
	s_and_not1_saveexec_b32 s50, s1
; %bb.171:                              ;   in Loop: Header=BB376_13 Depth=1
	v_and_b32_e32 v44, 0xffff, v11
	v_or_b32_e32 v46, 0x10000, v11
	s_delay_alu instid0(VALU_DEP_2) | instskip(NEXT) | instid1(VALU_DEP_1)
	v_cmp_eq_u32_e64 s1, 0, v44
	v_cndmask_b32_e64 v44, v46, v11, s1
; %bb.172:                              ;   in Loop: Header=BB376_13 Depth=1
	s_or_b32 exec_lo, exec_lo, s50
	v_lshrrev_b16 v46, 8, v45
	v_mov_b32_e32 v11, 0
	s_mov_b32 s50, exec_lo
	s_delay_alu instid0(VALU_DEP_2)
	v_cmpx_ne_u16_e32 0, v46
	s_cbranch_execz .LBB376_180
; %bb.173:                              ;   in Loop: Header=BB376_13 Depth=1
	v_bfrev_b32_e32 v11, 1
	s_mov_b32 s51, exec_lo
	v_cmpx_ne_u16_e32 0x80, v46
	s_cbranch_execz .LBB376_179
; %bb.174:                              ;   in Loop: Header=BB376_13 Depth=1
	v_and_b32_e32 v46, 0xffff, v46
	v_mov_b32_e32 v11, 0x7f800001
	s_mov_b32 s52, exec_lo
	s_delay_alu instid0(VALU_DEP_2) | instskip(NEXT) | instid1(VALU_DEP_1)
	v_and_b32_e32 v47, 0x7f, v46
	v_cmpx_ne_u32_e32 0x7f, v47
	s_cbranch_execz .LBB376_178
; %bb.175:                              ;   in Loop: Header=BB376_13 Depth=1
	v_and_b32_e32 v11, 7, v46
	v_lshrrev_b32_e32 v46, 3, v47
	s_mov_b32 s53, exec_lo
	v_cmpx_gt_u32_e32 8, v47
; %bb.176:                              ;   in Loop: Header=BB376_13 Depth=1
	s_delay_alu instid0(VALU_DEP_3) | instskip(NEXT) | instid1(VALU_DEP_1)
	v_clz_i32_u32_e32 v46, v11
	v_min_u32_e32 v46, 32, v46
	s_delay_alu instid0(VALU_DEP_1) | instskip(SKIP_1) | instid1(VALU_DEP_2)
	v_subrev_nc_u32_e32 v47, 28, v46
	v_sub_nc_u32_e32 v46, 29, v46
	v_lshlrev_b64 v[47:48], v47, v[11:12]
	s_delay_alu instid0(VALU_DEP_1)
	v_and_b32_e32 v11, 7, v47
; %bb.177:                              ;   in Loop: Header=BB376_13 Depth=1
	s_or_b32 exec_lo, exec_lo, s53
	v_lshlrev_b32_e32 v45, 16, v45
	s_delay_alu instid0(VALU_DEP_2) | instskip(SKIP_1) | instid1(VALU_DEP_3)
	v_lshlrev_b32_e32 v11, 20, v11
	v_lshl_add_u32 v46, v46, 23, 0x3c000000
	v_and_b32_e32 v45, 0x80000000, v45
	s_delay_alu instid0(VALU_DEP_1)
	v_or3_b32 v11, v11, v45, v46
.LBB376_178:                            ;   in Loop: Header=BB376_13 Depth=1
	s_or_b32 exec_lo, exec_lo, s52
.LBB376_179:                            ;   in Loop: Header=BB376_13 Depth=1
	s_delay_alu instid0(SALU_CYCLE_1)
	s_or_b32 exec_lo, exec_lo, s51
.LBB376_180:                            ;   in Loop: Header=BB376_13 Depth=1
	s_delay_alu instid0(SALU_CYCLE_1) | instskip(NEXT) | instid1(VALU_DEP_1)
	s_or_b32 exec_lo, exec_lo, s50
	v_mul_f32_e32 v11, s49, v11
	s_delay_alu instid0(VALU_DEP_1) | instskip(NEXT) | instid1(VALU_DEP_1)
	v_and_b32_e32 v45, 0x7f800000, v11
	v_cmp_ne_u32_e64 s1, 0x7f800000, v45
                                        ; implicit-def: $vgpr45
	s_delay_alu instid0(VALU_DEP_1) | instskip(NEXT) | instid1(SALU_CYCLE_1)
	s_and_saveexec_b32 s50, s1
	s_xor_b32 s1, exec_lo, s50
; %bb.181:                              ;   in Loop: Header=BB376_13 Depth=1
	v_bfe_u32 v45, v11, 16, 1
	s_delay_alu instid0(VALU_DEP_1)
	v_add3_u32 v45, v11, v45, 0x7fff
                                        ; implicit-def: $vgpr11
; %bb.182:                              ;   in Loop: Header=BB376_13 Depth=1
	s_and_not1_saveexec_b32 s50, s1
; %bb.183:                              ;   in Loop: Header=BB376_13 Depth=1
	v_and_b32_e32 v45, 0xffff, v11
	v_or_b32_e32 v46, 0x10000, v11
	s_delay_alu instid0(VALU_DEP_2) | instskip(NEXT) | instid1(VALU_DEP_1)
	v_cmp_eq_u32_e64 s1, 0, v45
	v_cndmask_b32_e64 v45, v46, v11, s1
; %bb.184:                              ;   in Loop: Header=BB376_13 Depth=1
	s_or_b32 exec_lo, exec_lo, s50
	global_load_u16 v11, v[17:18], off offset:392
	s_mov_b32 s50, exec_lo
	s_waitcnt vmcnt(0)
	v_and_b32_e32 v18, 0xff, v11
	v_and_b32_e32 v17, 0xffff, v11
	v_mov_b32_e32 v11, 0
	s_delay_alu instid0(VALU_DEP_3)
	v_cmpx_ne_u16_e32 0, v18
	s_cbranch_execz .LBB376_192
; %bb.185:                              ;   in Loop: Header=BB376_13 Depth=1
	s_delay_alu instid0(VALU_DEP_3) | instskip(NEXT) | instid1(VALU_DEP_1)
	v_and_b32_e32 v11, 0xff, v17
	v_cmp_ne_u16_e64 s1, 0x80, v11
	v_bfrev_b32_e32 v11, 1
	s_delay_alu instid0(VALU_DEP_2)
	s_and_saveexec_b32 s51, s1
	s_cbranch_execz .LBB376_191
; %bb.186:                              ;   in Loop: Header=BB376_13 Depth=1
	v_and_b32_e32 v46, 0x7f, v17
	v_mov_b32_e32 v11, 0x7f800001
	s_mov_b32 s52, exec_lo
	s_delay_alu instid0(VALU_DEP_2)
	v_cmpx_ne_u32_e32 0x7f, v46
	s_cbranch_execz .LBB376_190
; %bb.187:                              ;   in Loop: Header=BB376_13 Depth=1
	v_and_b32_e32 v11, 7, v17
	v_lshrrev_b32_e32 v18, 3, v46
	s_mov_b32 s53, exec_lo
	v_cmpx_gt_u32_e32 8, v46
; %bb.188:                              ;   in Loop: Header=BB376_13 Depth=1
	s_delay_alu instid0(VALU_DEP_3) | instskip(NEXT) | instid1(VALU_DEP_1)
	v_clz_i32_u32_e32 v18, v11
	v_min_u32_e32 v18, 32, v18
	s_delay_alu instid0(VALU_DEP_1) | instskip(SKIP_1) | instid1(VALU_DEP_2)
	v_subrev_nc_u32_e32 v46, 28, v18
	v_sub_nc_u32_e32 v18, 29, v18
	v_lshlrev_b64 v[46:47], v46, v[11:12]
	s_delay_alu instid0(VALU_DEP_1)
	v_and_b32_e32 v11, 7, v46
; %bb.189:                              ;   in Loop: Header=BB376_13 Depth=1
	s_or_b32 exec_lo, exec_lo, s53
	v_lshlrev_b32_e32 v46, 24, v17
	s_delay_alu instid0(VALU_DEP_2) | instskip(SKIP_1) | instid1(VALU_DEP_3)
	v_lshlrev_b32_e32 v11, 20, v11
	v_lshl_add_u32 v18, v18, 23, 0x3c000000
	v_and_b32_e32 v46, 0x80000000, v46
	s_delay_alu instid0(VALU_DEP_1)
	v_or3_b32 v11, v11, v46, v18
.LBB376_190:                            ;   in Loop: Header=BB376_13 Depth=1
	s_or_b32 exec_lo, exec_lo, s52
.LBB376_191:                            ;   in Loop: Header=BB376_13 Depth=1
	s_delay_alu instid0(SALU_CYCLE_1)
	s_or_b32 exec_lo, exec_lo, s51
.LBB376_192:                            ;   in Loop: Header=BB376_13 Depth=1
	s_delay_alu instid0(SALU_CYCLE_1) | instskip(NEXT) | instid1(VALU_DEP_1)
	s_or_b32 exec_lo, exec_lo, s50
	v_mul_f32_e32 v11, s49, v11
	s_delay_alu instid0(VALU_DEP_1) | instskip(NEXT) | instid1(VALU_DEP_1)
	v_and_b32_e32 v18, 0x7f800000, v11
	v_cmp_ne_u32_e64 s1, 0x7f800000, v18
                                        ; implicit-def: $vgpr18
	s_delay_alu instid0(VALU_DEP_1) | instskip(NEXT) | instid1(SALU_CYCLE_1)
	s_and_saveexec_b32 s50, s1
	s_xor_b32 s1, exec_lo, s50
; %bb.193:                              ;   in Loop: Header=BB376_13 Depth=1
	v_bfe_u32 v18, v11, 16, 1
	s_delay_alu instid0(VALU_DEP_1)
	v_add3_u32 v18, v11, v18, 0x7fff
                                        ; implicit-def: $vgpr11
; %bb.194:                              ;   in Loop: Header=BB376_13 Depth=1
	s_and_not1_saveexec_b32 s50, s1
; %bb.195:                              ;   in Loop: Header=BB376_13 Depth=1
	v_and_b32_e32 v18, 0xffff, v11
	v_or_b32_e32 v46, 0x10000, v11
	s_delay_alu instid0(VALU_DEP_2) | instskip(NEXT) | instid1(VALU_DEP_1)
	v_cmp_eq_u32_e64 s1, 0, v18
	v_cndmask_b32_e64 v18, v46, v11, s1
; %bb.196:                              ;   in Loop: Header=BB376_13 Depth=1
	s_or_b32 exec_lo, exec_lo, s50
	v_lshrrev_b16 v46, 8, v17
	v_mov_b32_e32 v11, 0
	s_mov_b32 s50, exec_lo
	s_delay_alu instid0(VALU_DEP_2)
	v_cmpx_ne_u16_e32 0, v46
	s_cbranch_execz .LBB376_204
; %bb.197:                              ;   in Loop: Header=BB376_13 Depth=1
	v_bfrev_b32_e32 v11, 1
	s_mov_b32 s51, exec_lo
	v_cmpx_ne_u16_e32 0x80, v46
	s_cbranch_execz .LBB376_203
; %bb.198:                              ;   in Loop: Header=BB376_13 Depth=1
	v_and_b32_e32 v46, 0xffff, v46
	v_mov_b32_e32 v11, 0x7f800001
	s_mov_b32 s52, exec_lo
	s_delay_alu instid0(VALU_DEP_2) | instskip(NEXT) | instid1(VALU_DEP_1)
	v_and_b32_e32 v47, 0x7f, v46
	v_cmpx_ne_u32_e32 0x7f, v47
	s_cbranch_execz .LBB376_202
; %bb.199:                              ;   in Loop: Header=BB376_13 Depth=1
	v_and_b32_e32 v11, 7, v46
	v_lshrrev_b32_e32 v46, 3, v47
	s_mov_b32 s53, exec_lo
	v_cmpx_gt_u32_e32 8, v47
; %bb.200:                              ;   in Loop: Header=BB376_13 Depth=1
	s_delay_alu instid0(VALU_DEP_3) | instskip(NEXT) | instid1(VALU_DEP_1)
	v_clz_i32_u32_e32 v46, v11
	v_min_u32_e32 v46, 32, v46
	s_delay_alu instid0(VALU_DEP_1) | instskip(SKIP_1) | instid1(VALU_DEP_2)
	v_subrev_nc_u32_e32 v47, 28, v46
	v_sub_nc_u32_e32 v46, 29, v46
	v_lshlrev_b64 v[47:48], v47, v[11:12]
	s_delay_alu instid0(VALU_DEP_1)
	v_and_b32_e32 v11, 7, v47
; %bb.201:                              ;   in Loop: Header=BB376_13 Depth=1
	s_or_b32 exec_lo, exec_lo, s53
	v_lshlrev_b32_e32 v17, 16, v17
	s_delay_alu instid0(VALU_DEP_2) | instskip(SKIP_1) | instid1(VALU_DEP_3)
	v_lshlrev_b32_e32 v11, 20, v11
	v_lshl_add_u32 v46, v46, 23, 0x3c000000
	v_and_b32_e32 v17, 0x80000000, v17
	s_delay_alu instid0(VALU_DEP_1)
	v_or3_b32 v11, v11, v17, v46
.LBB376_202:                            ;   in Loop: Header=BB376_13 Depth=1
	s_or_b32 exec_lo, exec_lo, s52
.LBB376_203:                            ;   in Loop: Header=BB376_13 Depth=1
	s_delay_alu instid0(SALU_CYCLE_1)
	s_or_b32 exec_lo, exec_lo, s51
.LBB376_204:                            ;   in Loop: Header=BB376_13 Depth=1
	s_delay_alu instid0(SALU_CYCLE_1) | instskip(NEXT) | instid1(VALU_DEP_1)
	s_or_b32 exec_lo, exec_lo, s50
	v_mul_f32_e32 v17, s49, v11
	s_delay_alu instid0(VALU_DEP_1) | instskip(NEXT) | instid1(VALU_DEP_1)
	v_and_b32_e32 v11, 0x7f800000, v17
	v_cmp_ne_u32_e64 s1, 0x7f800000, v11
                                        ; implicit-def: $vgpr11
	s_delay_alu instid0(VALU_DEP_1) | instskip(NEXT) | instid1(SALU_CYCLE_1)
	s_and_saveexec_b32 s49, s1
	s_xor_b32 s1, exec_lo, s49
; %bb.205:                              ;   in Loop: Header=BB376_13 Depth=1
	v_bfe_u32 v11, v17, 16, 1
	s_delay_alu instid0(VALU_DEP_1)
	v_add3_u32 v11, v17, v11, 0x7fff
                                        ; implicit-def: $vgpr17
; %bb.206:                              ;   in Loop: Header=BB376_13 Depth=1
	s_and_not1_saveexec_b32 s49, s1
; %bb.207:                              ;   in Loop: Header=BB376_13 Depth=1
	v_and_b32_e32 v11, 0xffff, v17
	v_or_b32_e32 v46, 0x10000, v17
	s_delay_alu instid0(VALU_DEP_2) | instskip(NEXT) | instid1(VALU_DEP_1)
	v_cmp_eq_u32_e64 s1, 0, v11
	v_cndmask_b32_e64 v11, v46, v17, s1
; %bb.208:                              ;   in Loop: Header=BB376_13 Depth=1
	s_or_b32 exec_lo, exec_lo, s49
	v_and_b32_e32 v35, 0xffff0000, v35
	v_and_b32_e32 v17, 0xffff0000, v18
	;; [unrolled: 1-line block ×4, first 2 shown]
	v_lshlrev_b32_e32 v45, 16, v6
	v_and_b32_e32 v43, 0xffff0000, v43
	v_and_b32_e32 v6, 0xffff0000, v6
	;; [unrolled: 1-line block ×3, first 2 shown]
	v_lshlrev_b32_e32 v46, 16, v5
	v_dual_mul_f32 v34, v45, v34 :: v_dual_and_b32 v41, 0xffff0000, v41
	s_delay_alu instid0(VALU_DEP_4) | instskip(SKIP_1) | instid1(VALU_DEP_3)
	v_dual_mul_f32 v6, v6, v35 :: v_dual_and_b32 v5, 0xffff0000, v5
	v_and_b32_e32 v44, 0xffff0000, v44
	v_fmac_f32_e32 v34, v46, v32
	v_lshlrev_b32_e32 v32, 16, v8
	v_and_b32_e32 v8, 0xffff0000, v8
	v_and_b32_e32 v33, 0xffff0000, v33
	s_delay_alu instid0(VALU_DEP_1)
	v_dual_fmac_f32 v6, v5, v33 :: v_dual_and_b32 v39, 0xffff0000, v39
	v_lshlrev_b32_e32 v33, 16, v1
	v_and_b32_e32 v1, 0xffff0000, v1
	v_and_b32_e32 v35, 0xffff0000, v36
	v_lshlrev_b32_e32 v36, 16, v7
	v_and_b32_e32 v37, 0xffff0000, v37
	s_delay_alu instid0(VALU_DEP_2) | instskip(NEXT) | instid1(VALU_DEP_1)
	v_dual_fmac_f32 v34, v36, v35 :: v_dual_and_b32 v5, 0xffff0000, v38
	v_dual_fmac_f32 v34, v32, v5 :: v_dual_and_b32 v5, 0xffff0000, v42
	v_and_b32_e32 v7, 0xffff0000, v7
	s_delay_alu instid0(VALU_DEP_1) | instskip(NEXT) | instid1(VALU_DEP_1)
	v_fmac_f32_e32 v6, v7, v37
	v_fmac_f32_e32 v6, v8, v39
	v_lshlrev_b32_e32 v8, 16, v2
	v_and_b32_e32 v2, 0xffff0000, v2
	s_delay_alu instid0(VALU_DEP_3) | instskip(SKIP_1) | instid1(VALU_DEP_2)
	v_dual_fmac_f32 v6, v1, v41 :: v_dual_lshlrev_b32 v1, 16, v3
	v_and_b32_e32 v3, 0xffff0000, v3
	v_dual_fmac_f32 v6, v2, v43 :: v_dual_and_b32 v7, 0xffff0000, v40
	v_xor_b32_e32 v2, 2, v21
	s_delay_alu instid0(VALU_DEP_2) | instskip(NEXT) | instid1(VALU_DEP_3)
	v_fmac_f32_e32 v6, v3, v18
	v_dual_fmac_f32 v34, v33, v7 :: v_dual_lshlrev_b32 v7, 16, v4
	v_and_b32_e32 v4, 0xffff0000, v4
	s_delay_alu instid0(VALU_DEP_4) | instskip(SKIP_1) | instid1(VALU_DEP_4)
	v_cmp_gt_i32_e64 s1, 32, v2
	v_xor_b32_e32 v3, 1, v21
	v_dual_fmac_f32 v34, v8, v5 :: v_dual_and_b32 v5, 0xffff0000, v11
	s_delay_alu instid0(VALU_DEP_1) | instskip(NEXT) | instid1(VALU_DEP_2)
	v_fmac_f32_e32 v6, v4, v5
	v_fmac_f32_e32 v34, v1, v44
	v_cndmask_b32_e64 v1, v21, v2, s1
	v_cmp_gt_i32_e64 s1, 32, v3
	s_delay_alu instid0(VALU_DEP_3) | instskip(NEXT) | instid1(VALU_DEP_3)
	v_fmac_f32_e32 v34, v7, v17
	v_lshlrev_b32_e32 v1, 2, v1
	s_delay_alu instid0(VALU_DEP_3) | instskip(NEXT) | instid1(VALU_DEP_1)
	v_cndmask_b32_e64 v3, v21, v3, s1
	v_dual_add_f32 v2, v34, v6 :: v_dual_lshlrev_b32 v3, 2, v3
	ds_bpermute_b32 v1, v1, v2
	s_waitcnt lgkmcnt(0)
	v_add_f32_e32 v1, v2, v1
	ds_bpermute_b32 v2, v3, v1
	s_and_saveexec_b32 s49, vcc_lo
	s_cbranch_execz .LBB376_11
; %bb.209:                              ;   in Loop: Header=BB376_13 Depth=1
	s_waitcnt lgkmcnt(0)
	v_add_f32_e32 v1, v1, v2
	v_add_nc_u32_e32 v3, v28, v26
	s_delay_alu instid0(VALU_DEP_1) | instskip(NEXT) | instid1(VALU_DEP_1)
	v_cvt_f32_i32_e32 v3, v3
	v_mul_f32_e32 v3, s45, v3
	s_delay_alu instid0(VALU_DEP_1) | instskip(NEXT) | instid1(VALU_DEP_1)
	v_cndmask_b32_e64 v2, 0, v3, s0
	v_dual_max_f32 v3, v22, v22 :: v_dual_fmac_f32 v2, s39, v1
	v_add_nc_u32_e32 v1, v23, v26
	s_delay_alu instid0(VALU_DEP_2) | instskip(NEXT) | instid1(VALU_DEP_2)
	v_max_f32_e32 v3, v3, v2
	v_cmp_gt_i32_e64 s1, s15, v1
	s_delay_alu instid0(VALU_DEP_1) | instskip(NEXT) | instid1(VALU_DEP_3)
	v_cndmask_b32_e64 v1, 0, v2, s1
	v_cndmask_b32_e64 v22, v22, v3, s1
	ds_store_b32 v29, v1
	s_branch .LBB376_11
.LBB376_210:
	s_or_b32 exec_lo, exec_lo, s47
.LBB376_211:
	s_delay_alu instid0(SALU_CYCLE_1)
	s_or_b32 exec_lo, exec_lo, s6
	v_xor_b32_e32 v1, 16, v21
	v_xor_b32_e32 v3, 8, v21
	;; [unrolled: 1-line block ×3, first 2 shown]
	v_max_f32_e32 v4, v22, v22
	v_and_b32_e32 v18, 31, v0
	v_cmp_gt_i32_e32 vcc_lo, 32, v1
	v_cndmask_b32_e32 v1, v21, v1, vcc_lo
	v_cmp_gt_i32_e32 vcc_lo, 32, v3
	s_waitcnt lgkmcnt(0)
	s_delay_alu instid0(VALU_DEP_2)
	v_dual_cndmask_b32 v3, v21, v3 :: v_dual_lshlrev_b32 v2, 2, v1
	v_cmp_gt_i32_e32 vcc_lo, 32, v5
	ds_bpermute_b32 v1, v2, v22
	v_lshlrev_b32_e32 v3, 2, v3
	v_cndmask_b32_e32 v5, v21, v5, vcc_lo
	v_cmp_eq_u32_e32 vcc_lo, 0, v18
	s_waitcnt lgkmcnt(0)
	v_max_f32_e32 v1, v1, v1
	s_delay_alu instid0(VALU_DEP_1) | instskip(SKIP_3) | instid1(VALU_DEP_1)
	v_max_f32_e32 v1, v4, v1
	ds_bpermute_b32 v4, v3, v1
	s_waitcnt lgkmcnt(0)
	v_max_f32_e32 v4, v4, v4
	v_dual_max_f32 v1, v1, v4 :: v_dual_lshlrev_b32 v4, 2, v19
	v_lshlrev_b32_e32 v5, 2, v5
	ds_bpermute_b32 v6, v5, v1
	s_and_saveexec_b32 s0, vcc_lo
	s_cbranch_execz .LBB376_213
; %bb.212:
	s_waitcnt lgkmcnt(0)
	v_dual_max_f32 v6, v6, v6 :: v_dual_max_f32 v1, v1, v1
	s_delay_alu instid0(VALU_DEP_1)
	v_max_f32_e32 v1, v1, v6
	ds_store_b32 v4, v1 offset:128
.LBB376_213:
	s_or_b32 exec_lo, exec_lo, s0
	v_cmp_gt_u32_e64 s0, 4, v18
	v_dual_mov_b32 v1, 0xff7fffff :: v_dual_lshlrev_b32 v22, 2, v18
	s_waitcnt lgkmcnt(0)
	s_barrier
	buffer_gl0_inv
	s_and_saveexec_b32 s1, s0
	s_cbranch_execz .LBB376_215
; %bb.214:
	ds_load_b32 v1, v22 offset:128
.LBB376_215:
	s_or_b32 exec_lo, exec_lo, s1
	v_xor_b32_e32 v6, 2, v21
	v_xor_b32_e32 v8, 1, v21
	s_delay_alu instid0(VALU_DEP_2) | instskip(NEXT) | instid1(VALU_DEP_1)
	v_cmp_gt_i32_e64 s1, 32, v6
	v_cndmask_b32_e64 v6, v21, v6, s1
	s_delay_alu instid0(VALU_DEP_3) | instskip(NEXT) | instid1(VALU_DEP_2)
	v_cmp_gt_i32_e64 s1, 32, v8
	v_lshlrev_b32_e32 v6, 2, v6
	s_delay_alu instid0(VALU_DEP_2)
	v_cndmask_b32_e64 v8, v21, v8, s1
	s_sub_i32 s1, s38, s16
	v_lshl_add_u32 v21, v0, 2, 0xa0
	s_lshl_b32 s1, s1, 3
	s_waitcnt lgkmcnt(0)
	ds_bpermute_b32 v7, v6, v1
	v_max_f32_e32 v1, v1, v1
	s_add_i32 s1, s1, s41
	s_delay_alu instid0(SALU_CYCLE_1) | instskip(NEXT) | instid1(SALU_CYCLE_1)
	s_min_i32 s1, s1, s15
	s_sub_i32 s6, s1, s41
	s_delay_alu instid0(SALU_CYCLE_1) | instskip(SKIP_3) | instid1(VALU_DEP_2)
	v_cmp_gt_i32_e64 s1, s6, v0
	s_waitcnt lgkmcnt(0)
	v_max_f32_e32 v11, v7, v7
	v_lshlrev_b32_e32 v7, 2, v8
	v_max_f32_e32 v1, v1, v11
	ds_bpermute_b32 v8, v7, v1
	s_waitcnt lgkmcnt(0)
	v_max_f32_e32 v8, v8, v8
	s_delay_alu instid0(VALU_DEP_1)
	v_dual_max_f32 v1, v1, v8 :: v_dual_mov_b32 v8, 0
	ds_bpermute_b32 v1, v8, v1
	s_and_saveexec_b32 s7, s1
	s_cbranch_execz .LBB376_219
; %bb.216:
	v_lshl_add_u32 v11, v0, 2, 0xa0
	v_mov_b32_e32 v8, 0
	v_mov_b32_e32 v12, v0
	s_mov_b32 s8, 0
	.p2align	6
.LBB376_217:                            ; =>This Inner Loop Header: Depth=1
	ds_load_b32 v13, v11
	v_add_nc_u32_e32 v12, 0x80, v12
	s_delay_alu instid0(VALU_DEP_1) | instskip(NEXT) | instid1(VALU_DEP_1)
	v_cmp_le_i32_e64 s4, s6, v12
	s_or_b32 s8, s4, s8
	s_waitcnt lgkmcnt(0)
	v_sub_f32_e32 v13, v13, v1
	s_delay_alu instid0(VALU_DEP_1) | instskip(NEXT) | instid1(VALU_DEP_1)
	v_mul_f32_e32 v13, 0x3fb8aa3b, v13
	v_exp_f32_e32 v13, v13
	ds_store_b32 v11, v13
	v_dual_add_f32 v8, v8, v13 :: v_dual_add_nc_u32 v11, 0x200, v11
	s_and_not1_b32 exec_lo, exec_lo, s8
	s_cbranch_execnz .LBB376_217
; %bb.218:
	s_or_b32 exec_lo, exec_lo, s8
.LBB376_219:
	s_delay_alu instid0(SALU_CYCLE_1)
	s_or_b32 exec_lo, exec_lo, s7
	ds_bpermute_b32 v2, v2, v8
	s_waitcnt lgkmcnt(0)
	v_add_f32_e32 v2, v8, v2
	ds_bpermute_b32 v3, v3, v2
	s_waitcnt lgkmcnt(0)
	v_add_f32_e32 v2, v2, v3
	;; [unrolled: 3-line block ×5, first 2 shown]
	s_and_saveexec_b32 s4, vcc_lo
	s_cbranch_execz .LBB376_221
; %bb.220:
	ds_store_b32 v4, v2 offset:144
.LBB376_221:
	s_or_b32 exec_lo, exec_lo, s4
	s_waitcnt lgkmcnt(0)
	s_barrier
	buffer_gl0_inv
	s_and_saveexec_b32 s4, s0
	s_cbranch_execz .LBB376_223
; %bb.222:
	ds_load_b32 v2, v22 offset:144
.LBB376_223:
	s_or_b32 exec_lo, exec_lo, s4
	s_waitcnt lgkmcnt(0)
	ds_bpermute_b32 v3, v6, v2
	s_waitcnt lgkmcnt(0)
	v_add_f32_e32 v2, v2, v3
	ds_bpermute_b32 v3, v7, v2
	s_waitcnt lgkmcnt(0)
	v_dual_add_f32 v2, v2, v3 :: v_dual_mov_b32 v3, 0
	ds_bpermute_b32 v2, v3, v2
	s_and_saveexec_b32 s0, s1
	s_cbranch_execz .LBB376_226
; %bb.224:
	s_waitcnt lgkmcnt(0)
	v_add_f32_e32 v4, 0x358637bd, v2
	s_mov_b32 s1, 0
	s_delay_alu instid0(VALU_DEP_1) | instskip(NEXT) | instid1(VALU_DEP_1)
	v_div_scale_f32 v3, null, v4, v4, 1.0
	v_rcp_f32_e32 v5, v3
	s_waitcnt_depctr 0xfff
	v_fma_f32 v6, -v3, v5, 1.0
	s_delay_alu instid0(VALU_DEP_1) | instskip(SKIP_1) | instid1(VALU_DEP_1)
	v_fmac_f32_e32 v5, v6, v5
	v_div_scale_f32 v7, vcc_lo, 1.0, v4, 1.0
	v_mul_f32_e32 v6, v7, v5
	s_delay_alu instid0(VALU_DEP_1) | instskip(NEXT) | instid1(VALU_DEP_1)
	v_fma_f32 v8, -v3, v6, v7
	v_fmac_f32_e32 v6, v8, v5
	s_delay_alu instid0(VALU_DEP_1) | instskip(NEXT) | instid1(VALU_DEP_1)
	v_fma_f32 v3, -v3, v6, v7
	v_div_fmas_f32 v5, v3, v5, v6
	v_mov_b32_e32 v3, v21
	s_delay_alu instid0(VALU_DEP_2)
	v_div_fixup_f32 v4, v5, v4, 1.0
	v_mov_b32_e32 v5, v0
.LBB376_225:                            ; =>This Inner Loop Header: Depth=1
	ds_load_b32 v6, v3
	s_waitcnt lgkmcnt(0)
	v_dual_mul_f32 v6, v4, v6 :: v_dual_add_nc_u32 v5, 0x80, v5
	s_delay_alu instid0(VALU_DEP_1) | instskip(SKIP_3) | instid1(SALU_CYCLE_1)
	v_cmp_le_i32_e32 vcc_lo, s6, v5
	ds_store_b32 v3, v6
	v_add_nc_u32_e32 v3, 0x200, v3
	s_or_b32 s1, vcc_lo, s1
	s_and_not1_b32 exec_lo, exec_lo, s1
	s_cbranch_execnz .LBB376_225
.LBB376_226:
	s_or_b32 exec_lo, exec_lo, s0
	s_mul_i32 s0, s13, s14
	s_waitcnt lgkmcnt(0)
	s_mul_i32 s6, s0, s27
	s_mov_b32 s0, exec_lo
	s_barrier
	buffer_gl0_inv
	v_cmpx_eq_u32_e32 0, v0
	s_cbranch_execz .LBB376_228
; %bb.227:
	s_ashr_i32 s7, s6, 31
	s_mul_i32 s46, s13, s28
	s_lshl_b64 s[8:9], s[6:7], 2
	v_mov_b32_e32 v3, 0
	s_add_u32 s1, s22, s8
	s_addc_u32 s4, s23, s9
	s_ashr_i32 s47, s46, 31
	s_delay_alu instid0(SALU_CYCLE_1) | instskip(NEXT) | instid1(SALU_CYCLE_1)
	s_lshl_b64 s[22:23], s[46:47], 2
	s_add_u32 s1, s1, s22
	s_addc_u32 s4, s4, s23
	s_ashr_i32 s27, s26, 31
	s_delay_alu instid0(SALU_CYCLE_1) | instskip(NEXT) | instid1(SALU_CYCLE_1)
	s_lshl_b64 s[26:27], s[26:27], 2
	s_add_u32 s46, s1, s26
	s_addc_u32 s47, s4, s27
	s_add_u32 s1, s20, s8
	s_addc_u32 s4, s21, s9
	;; [unrolled: 2-line block ×4, first 2 shown]
	s_clause 0x1
	global_store_b32 v3, v1, s[46:47]
	global_store_b32 v3, v2, s[8:9]
.LBB376_228:
	s_or_b32 exec_lo, exec_lo, s0
	v_mov_b32_e32 v11, 0
	v_mov_b32_e32 v23, 0
	s_mov_b32 s4, 0
	s_and_saveexec_b32 s1, s3
	s_cbranch_execz .LBB376_518
; %bb.229:
	s_sub_i32 s3, s44, s17
	s_ashr_i32 s0, s43, 31
	s_add_u32 s17, s36, s43
	s_addc_u32 s0, s37, s0
	s_abs_i32 s7, s18
	s_lshl_b64 s[20:21], s[34:35], 2
	v_cvt_f32_u32_e32 v1, s7
	s_sub_i32 s8, 0, s7
	s_add_i32 s14, s42, -1
	v_dual_mov_b32 v13, 0 :: v_dual_lshlrev_b32 v4, 3, v18
	s_delay_alu instid0(VALU_DEP_2) | instskip(NEXT) | instid1(VALU_DEP_1)
	v_rcp_iflag_f32_e32 v1, v1
	v_add_co_u32 v14, s17, s17, v4
	s_delay_alu instid0(VALU_DEP_1) | instskip(SKIP_4) | instid1(VALU_DEP_1)
	v_add_co_ci_u32_e64 v15, null, s0, 0, s17
	s_add_u32 s0, s30, s20
	s_addc_u32 s17, s31, s21
	s_waitcnt_depctr 0xfff
	v_mul_f32_e32 v1, 0x4f7ffffe, v1
	v_cvt_u32_f32_e32 v3, v1
	v_lshlrev_b64 v[1:2], 2, v[9:10]
	v_lshl_add_u32 v10, v19, 5, 0xa0
	s_delay_alu instid0(VALU_DEP_3) | instskip(SKIP_1) | instid1(VALU_DEP_3)
	v_mul_lo_u32 v5, s8, v3
	s_mov_b32 s8, -1
	v_add_co_u32 v16, vcc_lo, s0, v1
	s_delay_alu instid0(VALU_DEP_4) | instskip(SKIP_1) | instid1(VALU_DEP_3)
	v_add_co_ci_u32_e32 v17, vcc_lo, s17, v2, vcc_lo
	s_mov_b32 s9, 0xffffff
	v_mul_hi_u32 v5, v3, v5
	s_delay_alu instid0(VALU_DEP_1) | instskip(NEXT) | instid1(VALU_DEP_1)
	v_dual_mov_b32 v23, 0 :: v_dual_add_nc_u32 v24, v3, v5
	v_mov_b32_e32 v11, v23
	s_branch .LBB376_232
.LBB376_230:                            ;   in Loop: Header=BB376_232 Depth=1
	s_or_b32 exec_lo, exec_lo, s0
	v_and_b32_e32 v3, 0xffff0000, v3
	s_delay_alu instid0(VALU_DEP_2) | instskip(SKIP_1) | instid1(VALU_DEP_2)
	v_and_b32_e32 v1, 0xffff0000, v1
	v_and_b32_e32 v26, 0xffff0000, v26
	v_dual_add_f32 v1, v3, v1 :: v_dual_and_b32 v2, 0xffff0000, v2
	v_and_b32_e32 v6, 0xffff0000, v6
	v_and_b32_e32 v5, 0xffff0000, v5
	s_delay_alu instid0(VALU_DEP_1) | instskip(SKIP_1) | instid1(VALU_DEP_1)
	v_dual_add_f32 v5, v5, v6 :: v_dual_and_b32 v8, 0xffff0000, v8
	v_and_b32_e32 v4, 0xffff0000, v4
	v_dual_add_f32 v2, v2, v4 :: v_dual_and_b32 v7, 0xffff0000, v7
	s_delay_alu instid0(VALU_DEP_1) | instskip(SKIP_3) | instid1(VALU_DEP_4)
	v_dual_add_f32 v6, v7, v8 :: v_dual_and_b32 v25, 0xffff0000, v25
	v_and_b32_e32 v7, 0xffff0000, v12
	v_and_b32_e32 v8, 0xffff0000, v30
	;; [unrolled: 1-line block ×3, first 2 shown]
	v_add_f32_e32 v5, v5, v6
	v_add_f32_e32 v6, v25, v26
	s_delay_alu instid0(VALU_DEP_1) | instskip(NEXT) | instid1(VALU_DEP_1)
	v_dual_add_f32 v5, v5, v6 :: v_dual_and_b32 v28, 0xffff0000, v28
	v_dual_add_f32 v4, v28, v29 :: v_dual_and_b32 v27, 0xffff0000, v27
	s_delay_alu instid0(VALU_DEP_1) | instskip(NEXT) | instid1(VALU_DEP_1)
	v_dual_add_f32 v2, v2, v4 :: v_dual_and_b32 v31, 0xffff0000, v34
	v_add_f32_e32 v6, v27, v31
	s_delay_alu instid0(VALU_DEP_1) | instskip(NEXT) | instid1(VALU_DEP_1)
	v_dual_add_f32 v4, v8, v7 :: v_dual_add_f32 v3, v5, v6
	v_dual_add_f32 v2, v2, v4 :: v_dual_add_f32 v23, v23, v3
	s_delay_alu instid0(VALU_DEP_1) | instskip(NEXT) | instid1(VALU_DEP_1)
	v_add_f32_e32 v1, v2, v1
	v_add_f32_e32 v11, v11, v1
.LBB376_231:                            ;   in Loop: Header=BB376_232 Depth=1
	s_or_b32 exec_lo, exec_lo, s17
	v_add_nc_u32_e32 v9, 4, v9
	v_add_co_u32 v16, s0, v16, 16
	s_delay_alu instid0(VALU_DEP_1) | instskip(NEXT) | instid1(VALU_DEP_3)
	v_add_co_ci_u32_e64 v17, s0, 0, v17, s0
	v_cmp_le_i32_e32 vcc_lo, s38, v9
	v_add_nc_u32_e32 v20, 32, v20
	v_add_nc_u32_e32 v10, 0x80, v10
	s_or_b32 s4, vcc_lo, s4
	s_delay_alu instid0(SALU_CYCLE_1)
	s_and_not1_b32 exec_lo, exec_lo, s4
	s_cbranch_execz .LBB376_517
.LBB376_232:                            ; =>This Inner Loop Header: Depth=1
	v_sub_nc_u32_e32 v1, 0, v20
	s_delay_alu instid0(VALU_DEP_1) | instskip(NEXT) | instid1(VALU_DEP_1)
	v_max_i32_e32 v1, v20, v1
	v_mul_hi_u32 v2, v1, s33
	s_delay_alu instid0(VALU_DEP_1) | instskip(NEXT) | instid1(VALU_DEP_1)
	v_mul_lo_u32 v3, v2, s29
	v_sub_nc_u32_e32 v1, v1, v3
	v_add_nc_u32_e32 v3, 1, v2
	s_delay_alu instid0(VALU_DEP_2) | instskip(SKIP_1) | instid1(VALU_DEP_2)
	v_subrev_nc_u32_e32 v4, s29, v1
	v_cmp_le_u32_e32 vcc_lo, s29, v1
	v_dual_cndmask_b32 v2, v2, v3 :: v_dual_cndmask_b32 v1, v1, v4
	v_ashrrev_i32_e32 v3, 31, v20
	s_delay_alu instid0(VALU_DEP_2) | instskip(NEXT) | instid1(VALU_DEP_3)
	v_add_nc_u32_e32 v4, 1, v2
	v_cmp_le_u32_e32 vcc_lo, s29, v1
	s_delay_alu instid0(VALU_DEP_3) | instskip(NEXT) | instid1(VALU_DEP_3)
	v_xor_b32_e32 v3, s19, v3
	v_cndmask_b32_e32 v1, v2, v4, vcc_lo
	s_delay_alu instid0(VALU_DEP_1) | instskip(NEXT) | instid1(VALU_DEP_1)
	v_xor_b32_e32 v1, v1, v3
	v_sub_nc_u32_e32 v1, v1, v3
	s_delay_alu instid0(VALU_DEP_1) | instskip(SKIP_1) | instid1(VALU_DEP_2)
	v_add_nc_u32_e32 v2, s40, v1
	v_cmp_lt_i32_e64 s0, s3, v1
	v_sub_nc_u32_e32 v3, 0, v2
	s_delay_alu instid0(VALU_DEP_1) | instskip(NEXT) | instid1(VALU_DEP_1)
	v_max_i32_e32 v3, v2, v3
	v_mul_hi_u32 v4, v3, v24
	s_delay_alu instid0(VALU_DEP_1) | instskip(NEXT) | instid1(VALU_DEP_1)
	v_mul_lo_u32 v4, v4, s7
	v_sub_nc_u32_e32 v3, v3, v4
	s_delay_alu instid0(VALU_DEP_1) | instskip(SKIP_1) | instid1(VALU_DEP_2)
	v_subrev_nc_u32_e32 v4, s7, v3
	v_cmp_le_u32_e32 vcc_lo, s7, v3
	v_cndmask_b32_e32 v3, v3, v4, vcc_lo
	v_ashrrev_i32_e32 v2, 31, v2
	s_delay_alu instid0(VALU_DEP_2) | instskip(SKIP_1) | instid1(VALU_DEP_2)
	v_subrev_nc_u32_e32 v4, s7, v3
	v_cmp_le_u32_e32 vcc_lo, s7, v3
	v_cndmask_b32_e32 v3, v3, v4, vcc_lo
	s_delay_alu instid0(VALU_DEP_1) | instskip(NEXT) | instid1(VALU_DEP_1)
	v_xor_b32_e32 v3, v3, v2
	v_sub_nc_u32_e32 v2, v3, v2
	s_delay_alu instid0(VALU_DEP_1) | instskip(SKIP_1) | instid1(SALU_CYCLE_1)
	v_cmp_eq_u32_e32 vcc_lo, 0, v2
	s_or_b32 s0, vcc_lo, s0
	s_and_saveexec_b32 s17, s0
	s_cbranch_execz .LBB376_231
; %bb.233:                              ;   in Loop: Header=BB376_232 Depth=1
	global_load_b32 v12, v[16:17], off
	ds_load_2addr_b64 v[5:8], v10 offset1:1
	ds_load_2addr_b64 v[1:4], v10 offset0:2 offset1:3
	s_mov_b32 s0, exec_lo
                                        ; implicit-def: $vgpr36
	s_waitcnt lgkmcnt(1)
	v_and_b32_e32 v25, 0x7f800000, v5
	s_delay_alu instid0(VALU_DEP_1)
	v_cmpx_ne_u32_e32 0x7f800000, v25
	s_xor_b32 s0, exec_lo, s0
; %bb.234:                              ;   in Loop: Header=BB376_232 Depth=1
	v_bfe_u32 v25, v5, 16, 1
	s_delay_alu instid0(VALU_DEP_1)
	v_add3_u32 v36, v5, v25, 0x7fff
; %bb.235:                              ;   in Loop: Header=BB376_232 Depth=1
	s_and_not1_saveexec_b32 s0, s0
; %bb.236:                              ;   in Loop: Header=BB376_232 Depth=1
	v_and_b32_e32 v25, 0xffff, v5
	v_or_b32_e32 v26, 0x10000, v5
	s_delay_alu instid0(VALU_DEP_2) | instskip(NEXT) | instid1(VALU_DEP_2)
	v_cmp_eq_u32_e32 vcc_lo, 0, v25
	v_cndmask_b32_e32 v36, v26, v5, vcc_lo
; %bb.237:                              ;   in Loop: Header=BB376_232 Depth=1
	s_or_b32 exec_lo, exec_lo, s0
	v_and_b32_e32 v5, 0x7f800000, v6
	s_mov_b32 s0, exec_lo
                                        ; implicit-def: $vgpr37
	s_delay_alu instid0(VALU_DEP_1)
	v_cmpx_ne_u32_e32 0x7f800000, v5
	s_xor_b32 s0, exec_lo, s0
; %bb.238:                              ;   in Loop: Header=BB376_232 Depth=1
	v_bfe_u32 v5, v6, 16, 1
	s_delay_alu instid0(VALU_DEP_1)
	v_add3_u32 v37, v6, v5, 0x7fff
; %bb.239:                              ;   in Loop: Header=BB376_232 Depth=1
	s_and_not1_saveexec_b32 s0, s0
; %bb.240:                              ;   in Loop: Header=BB376_232 Depth=1
	v_and_b32_e32 v5, 0xffff, v6
	v_or_b32_e32 v25, 0x10000, v6
	s_delay_alu instid0(VALU_DEP_2) | instskip(NEXT) | instid1(VALU_DEP_2)
	v_cmp_eq_u32_e32 vcc_lo, 0, v5
	v_cndmask_b32_e32 v37, v25, v6, vcc_lo
; %bb.241:                              ;   in Loop: Header=BB376_232 Depth=1
	s_or_b32 exec_lo, exec_lo, s0
	v_and_b32_e32 v5, 0x7f800000, v7
	s_mov_b32 s0, exec_lo
                                        ; implicit-def: $vgpr38
	s_delay_alu instid0(VALU_DEP_1)
	v_cmpx_ne_u32_e32 0x7f800000, v5
	s_xor_b32 s0, exec_lo, s0
; %bb.242:                              ;   in Loop: Header=BB376_232 Depth=1
	v_bfe_u32 v5, v7, 16, 1
	s_delay_alu instid0(VALU_DEP_1)
	v_add3_u32 v38, v7, v5, 0x7fff
; %bb.243:                              ;   in Loop: Header=BB376_232 Depth=1
	s_and_not1_saveexec_b32 s0, s0
; %bb.244:                              ;   in Loop: Header=BB376_232 Depth=1
	v_and_b32_e32 v5, 0xffff, v7
	v_or_b32_e32 v6, 0x10000, v7
	s_delay_alu instid0(VALU_DEP_2) | instskip(NEXT) | instid1(VALU_DEP_2)
	v_cmp_eq_u32_e32 vcc_lo, 0, v5
	v_cndmask_b32_e32 v38, v6, v7, vcc_lo
; %bb.245:                              ;   in Loop: Header=BB376_232 Depth=1
	s_or_b32 exec_lo, exec_lo, s0
	v_and_b32_e32 v5, 0x7f800000, v8
	s_mov_b32 s0, exec_lo
                                        ; implicit-def: $vgpr39
	s_delay_alu instid0(VALU_DEP_1)
	v_cmpx_ne_u32_e32 0x7f800000, v5
	s_xor_b32 s0, exec_lo, s0
; %bb.246:                              ;   in Loop: Header=BB376_232 Depth=1
	v_bfe_u32 v5, v8, 16, 1
	s_delay_alu instid0(VALU_DEP_1)
	v_add3_u32 v39, v8, v5, 0x7fff
                                        ; implicit-def: $vgpr5_vgpr6_vgpr7_vgpr8
; %bb.247:                              ;   in Loop: Header=BB376_232 Depth=1
	s_and_not1_saveexec_b32 s0, s0
; %bb.248:                              ;   in Loop: Header=BB376_232 Depth=1
	v_and_b32_e32 v5, 0xffff, v8
	v_or_b32_e32 v6, 0x10000, v8
	s_delay_alu instid0(VALU_DEP_2) | instskip(NEXT) | instid1(VALU_DEP_2)
	v_cmp_eq_u32_e32 vcc_lo, 0, v5
	v_cndmask_b32_e32 v39, v6, v8, vcc_lo
; %bb.249:                              ;   in Loop: Header=BB376_232 Depth=1
	s_or_b32 exec_lo, exec_lo, s0
	s_waitcnt lgkmcnt(0)
	v_and_b32_e32 v5, 0x7f800000, v1
	s_mov_b32 s0, exec_lo
                                        ; implicit-def: $vgpr25
	s_delay_alu instid0(VALU_DEP_1)
	v_cmpx_ne_u32_e32 0x7f800000, v5
	s_xor_b32 s0, exec_lo, s0
; %bb.250:                              ;   in Loop: Header=BB376_232 Depth=1
	v_bfe_u32 v5, v1, 16, 1
	s_delay_alu instid0(VALU_DEP_1)
	v_add3_u32 v25, v1, v5, 0x7fff
; %bb.251:                              ;   in Loop: Header=BB376_232 Depth=1
	s_and_not1_saveexec_b32 s0, s0
; %bb.252:                              ;   in Loop: Header=BB376_232 Depth=1
	v_and_b32_e32 v5, 0xffff, v1
	v_or_b32_e32 v6, 0x10000, v1
	s_delay_alu instid0(VALU_DEP_2) | instskip(NEXT) | instid1(VALU_DEP_2)
	v_cmp_eq_u32_e32 vcc_lo, 0, v5
	v_cndmask_b32_e32 v25, v6, v1, vcc_lo
; %bb.253:                              ;   in Loop: Header=BB376_232 Depth=1
	s_or_b32 exec_lo, exec_lo, s0
	v_and_b32_e32 v1, 0x7f800000, v2
	s_mov_b32 s0, exec_lo
                                        ; implicit-def: $vgpr26
	s_delay_alu instid0(VALU_DEP_1)
	v_cmpx_ne_u32_e32 0x7f800000, v1
	s_xor_b32 s0, exec_lo, s0
; %bb.254:                              ;   in Loop: Header=BB376_232 Depth=1
	v_bfe_u32 v1, v2, 16, 1
	s_delay_alu instid0(VALU_DEP_1)
	v_add3_u32 v26, v2, v1, 0x7fff
; %bb.255:                              ;   in Loop: Header=BB376_232 Depth=1
	s_and_not1_saveexec_b32 s0, s0
; %bb.256:                              ;   in Loop: Header=BB376_232 Depth=1
	v_and_b32_e32 v1, 0xffff, v2
	v_or_b32_e32 v5, 0x10000, v2
	s_delay_alu instid0(VALU_DEP_2) | instskip(NEXT) | instid1(VALU_DEP_2)
	v_cmp_eq_u32_e32 vcc_lo, 0, v1
	v_cndmask_b32_e32 v26, v5, v2, vcc_lo
; %bb.257:                              ;   in Loop: Header=BB376_232 Depth=1
	s_or_b32 exec_lo, exec_lo, s0
	v_and_b32_e32 v1, 0x7f800000, v3
	s_mov_b32 s0, exec_lo
                                        ; implicit-def: $vgpr27
	s_delay_alu instid0(VALU_DEP_1)
	v_cmpx_ne_u32_e32 0x7f800000, v1
	s_xor_b32 s0, exec_lo, s0
; %bb.258:                              ;   in Loop: Header=BB376_232 Depth=1
	v_bfe_u32 v1, v3, 16, 1
	s_delay_alu instid0(VALU_DEP_1)
	v_add3_u32 v27, v3, v1, 0x7fff
; %bb.259:                              ;   in Loop: Header=BB376_232 Depth=1
	s_and_not1_saveexec_b32 s0, s0
; %bb.260:                              ;   in Loop: Header=BB376_232 Depth=1
	v_and_b32_e32 v1, 0xffff, v3
	v_or_b32_e32 v2, 0x10000, v3
	s_delay_alu instid0(VALU_DEP_2) | instskip(NEXT) | instid1(VALU_DEP_2)
	v_cmp_eq_u32_e32 vcc_lo, 0, v1
	v_cndmask_b32_e32 v27, v2, v3, vcc_lo
; %bb.261:                              ;   in Loop: Header=BB376_232 Depth=1
	s_or_b32 exec_lo, exec_lo, s0
	v_and_b32_e32 v1, 0x7f800000, v4
	s_mov_b32 s0, exec_lo
                                        ; implicit-def: $vgpr34
	s_delay_alu instid0(VALU_DEP_1)
	v_cmpx_ne_u32_e32 0x7f800000, v1
	s_xor_b32 s0, exec_lo, s0
; %bb.262:                              ;   in Loop: Header=BB376_232 Depth=1
	v_bfe_u32 v1, v4, 16, 1
	s_delay_alu instid0(VALU_DEP_1)
	v_add3_u32 v34, v4, v1, 0x7fff
                                        ; implicit-def: $vgpr1_vgpr2_vgpr3_vgpr4
; %bb.263:                              ;   in Loop: Header=BB376_232 Depth=1
	s_and_not1_saveexec_b32 s0, s0
; %bb.264:                              ;   in Loop: Header=BB376_232 Depth=1
	v_and_b32_e32 v1, 0xffff, v4
	v_or_b32_e32 v2, 0x10000, v4
	s_delay_alu instid0(VALU_DEP_2) | instskip(NEXT) | instid1(VALU_DEP_2)
	v_cmp_eq_u32_e32 vcc_lo, 0, v1
	v_cndmask_b32_e32 v34, v2, v4, vcc_lo
; %bb.265:                              ;   in Loop: Header=BB376_232 Depth=1
	s_or_b32 exec_lo, exec_lo, s0
	s_waitcnt vmcnt(0)
	v_mad_i64_i32 v[1:2], null, v12, s5, v[14:15]
	s_load_b32 s18, s[10:11], 0x0
	s_mov_b32 s0, exec_lo
	v_mov_b32_e32 v5, 0
	global_load_b64 v[3:4], v[1:2], off
	s_waitcnt vmcnt(0)
	v_and_b32_e32 v6, 0xff, v3
	s_delay_alu instid0(VALU_DEP_1)
	v_cmpx_ne_u16_e32 0, v6
	s_cbranch_execz .LBB376_271
; %bb.266:                              ;   in Loop: Header=BB376_232 Depth=1
	v_bfrev_b32_e32 v5, 1
	s_mov_b32 s20, exec_lo
	v_cmpx_ne_u16_e32 0x80, v6
	s_cbranch_execz .LBB376_270
; %bb.267:                              ;   in Loop: Header=BB376_232 Depth=1
	v_and_b32_e32 v6, 0x7f, v3
	v_mov_b32_e32 v5, 0x7f800001
	s_mov_b32 s21, exec_lo
	s_delay_alu instid0(VALU_DEP_2)
	v_cmpx_ne_u32_e32 0x7f, v6
	s_cbranch_execz .LBB376_269
; %bb.268:                              ;   in Loop: Header=BB376_232 Depth=1
	v_and_b32_e32 v5, 7, v3
	v_lshrrev_b32_e32 v7, 3, v6
	v_cmp_gt_u32_e32 vcc_lo, 8, v6
	s_delay_alu instid0(VALU_DEP_3) | instskip(NEXT) | instid1(VALU_DEP_1)
	v_clz_i32_u32_e32 v5, v5
	v_min_u32_e32 v5, 32, v5
	s_delay_alu instid0(VALU_DEP_1) | instskip(SKIP_1) | instid1(VALU_DEP_1)
	v_subrev_nc_u32_e32 v8, 28, v5
	v_sub_nc_u32_e32 v5, 29, v5
	v_cndmask_b32_e32 v7, v7, v5, vcc_lo
	s_delay_alu instid0(VALU_DEP_3) | instskip(NEXT) | instid1(VALU_DEP_1)
	v_cndmask_b32_e32 v5, 0, v8, vcc_lo
	v_lshlrev_b64 v[5:6], v5, v[3:4]
	v_lshlrev_b32_e32 v6, 24, v3
	s_delay_alu instid0(VALU_DEP_4) | instskip(NEXT) | instid1(VALU_DEP_2)
	v_lshl_add_u32 v7, v7, 23, 0x3c000000
	v_and_b32_e32 v6, 0x80000000, v6
	s_delay_alu instid0(VALU_DEP_4) | instskip(NEXT) | instid1(VALU_DEP_1)
	v_lshlrev_b32_e32 v5, 20, v5
	v_and_b32_e32 v5, 0x700000, v5
	s_delay_alu instid0(VALU_DEP_1)
	v_or3_b32 v5, v5, v6, v7
.LBB376_269:                            ;   in Loop: Header=BB376_232 Depth=1
	s_or_b32 exec_lo, exec_lo, s21
.LBB376_270:                            ;   in Loop: Header=BB376_232 Depth=1
	s_delay_alu instid0(SALU_CYCLE_1)
	s_or_b32 exec_lo, exec_lo, s20
.LBB376_271:                            ;   in Loop: Header=BB376_232 Depth=1
	s_delay_alu instid0(SALU_CYCLE_1) | instskip(SKIP_3) | instid1(VALU_DEP_1)
	s_or_b32 exec_lo, exec_lo, s0
	s_waitcnt lgkmcnt(0)
	v_mul_f32_e32 v5, s18, v5
	s_mov_b32 s0, exec_lo
                                        ; implicit-def: $vgpr7
	v_and_b32_e32 v6, 0x7f800000, v5
	s_delay_alu instid0(VALU_DEP_1)
	v_cmpx_ne_u32_e32 0x7f800000, v6
	s_xor_b32 s0, exec_lo, s0
; %bb.272:                              ;   in Loop: Header=BB376_232 Depth=1
	v_bfe_u32 v6, v5, 16, 1
	s_delay_alu instid0(VALU_DEP_1)
	v_add3_u32 v7, v5, v6, 0x7fff
                                        ; implicit-def: $vgpr5
; %bb.273:                              ;   in Loop: Header=BB376_232 Depth=1
	s_and_not1_saveexec_b32 s0, s0
; %bb.274:                              ;   in Loop: Header=BB376_232 Depth=1
	v_and_b32_e32 v6, 0xffff, v5
	v_or_b32_e32 v7, 0x10000, v5
	s_delay_alu instid0(VALU_DEP_2) | instskip(NEXT) | instid1(VALU_DEP_2)
	v_cmp_eq_u32_e32 vcc_lo, 0, v6
	v_cndmask_b32_e32 v7, v7, v5, vcc_lo
; %bb.275:                              ;   in Loop: Header=BB376_232 Depth=1
	s_or_b32 exec_lo, exec_lo, s0
	v_lshrrev_b16 v6, 8, v3
	v_mov_b32_e32 v5, 0
	s_mov_b32 s0, exec_lo
	s_delay_alu instid0(VALU_DEP_2)
	v_cmpx_ne_u16_e32 0, v6
	s_cbranch_execz .LBB376_283
; %bb.276:                              ;   in Loop: Header=BB376_232 Depth=1
	v_bfrev_b32_e32 v5, 1
	s_mov_b32 s20, exec_lo
	v_cmpx_ne_u16_e32 0x80, v6
	s_cbranch_execz .LBB376_282
; %bb.277:                              ;   in Loop: Header=BB376_232 Depth=1
	v_and_b32_e32 v8, 0xffff, v6
	v_mov_b32_e32 v5, 0x7f800001
	s_mov_b32 s21, exec_lo
	s_delay_alu instid0(VALU_DEP_2) | instskip(NEXT) | instid1(VALU_DEP_1)
	v_and_b32_e32 v6, 0x7f, v8
	v_cmpx_ne_u32_e32 0x7f, v6
	s_cbranch_execz .LBB376_281
; %bb.278:                              ;   in Loop: Header=BB376_232 Depth=1
	v_and_b32_e32 v12, 7, v8
	v_lshrrev_b32_e32 v5, 3, v6
	s_mov_b32 s22, exec_lo
	v_cmpx_gt_u32_e32 8, v6
; %bb.279:                              ;   in Loop: Header=BB376_232 Depth=1
	s_delay_alu instid0(VALU_DEP_3) | instskip(NEXT) | instid1(VALU_DEP_1)
	v_clz_i32_u32_e32 v5, v12
	v_min_u32_e32 v5, 32, v5
	s_delay_alu instid0(VALU_DEP_1) | instskip(SKIP_1) | instid1(VALU_DEP_2)
	v_subrev_nc_u32_e32 v6, 28, v5
	v_sub_nc_u32_e32 v5, 29, v5
	v_lshlrev_b64 v[28:29], v6, v[12:13]
	s_delay_alu instid0(VALU_DEP_1)
	v_and_b32_e32 v12, 7, v28
; %bb.280:                              ;   in Loop: Header=BB376_232 Depth=1
	s_or_b32 exec_lo, exec_lo, s22
	v_lshlrev_b32_e32 v6, 16, v3
	s_delay_alu instid0(VALU_DEP_2) | instskip(SKIP_1) | instid1(VALU_DEP_3)
	v_lshlrev_b32_e32 v8, 20, v12
	v_lshl_add_u32 v5, v5, 23, 0x3c000000
	v_and_b32_e32 v6, 0x80000000, v6
	s_delay_alu instid0(VALU_DEP_1)
	v_or3_b32 v5, v8, v6, v5
.LBB376_281:                            ;   in Loop: Header=BB376_232 Depth=1
	s_or_b32 exec_lo, exec_lo, s21
.LBB376_282:                            ;   in Loop: Header=BB376_232 Depth=1
	s_delay_alu instid0(SALU_CYCLE_1)
	s_or_b32 exec_lo, exec_lo, s20
.LBB376_283:                            ;   in Loop: Header=BB376_232 Depth=1
	s_delay_alu instid0(SALU_CYCLE_1) | instskip(NEXT) | instid1(VALU_DEP_1)
	s_or_b32 exec_lo, exec_lo, s0
	v_mul_f32_e32 v5, s18, v5
	s_mov_b32 s0, exec_lo
                                        ; implicit-def: $vgpr8
	s_delay_alu instid0(VALU_DEP_1) | instskip(NEXT) | instid1(VALU_DEP_1)
	v_and_b32_e32 v6, 0x7f800000, v5
	v_cmpx_ne_u32_e32 0x7f800000, v6
	s_xor_b32 s0, exec_lo, s0
; %bb.284:                              ;   in Loop: Header=BB376_232 Depth=1
	v_bfe_u32 v6, v5, 16, 1
	s_delay_alu instid0(VALU_DEP_1)
	v_add3_u32 v8, v5, v6, 0x7fff
                                        ; implicit-def: $vgpr5
; %bb.285:                              ;   in Loop: Header=BB376_232 Depth=1
	s_and_not1_saveexec_b32 s0, s0
; %bb.286:                              ;   in Loop: Header=BB376_232 Depth=1
	v_and_b32_e32 v6, 0xffff, v5
	v_or_b32_e32 v8, 0x10000, v5
	s_delay_alu instid0(VALU_DEP_2) | instskip(NEXT) | instid1(VALU_DEP_2)
	v_cmp_eq_u32_e32 vcc_lo, 0, v6
	v_cndmask_b32_e32 v8, v8, v5, vcc_lo
; %bb.287:                              ;   in Loop: Header=BB376_232 Depth=1
	s_or_b32 exec_lo, exec_lo, s0
	v_lshrrev_b32_e32 v5, 16, v3
	v_mov_b32_e32 v6, 0
	s_mov_b32 s0, exec_lo
	s_delay_alu instid0(VALU_DEP_2) | instskip(NEXT) | instid1(VALU_DEP_1)
	v_and_b32_e32 v12, 0xff, v5
	v_cmpx_ne_u16_e32 0, v12
	s_cbranch_execz .LBB376_295
; %bb.288:                              ;   in Loop: Header=BB376_232 Depth=1
	v_bfrev_b32_e32 v6, 1
	s_mov_b32 s20, exec_lo
	v_cmpx_ne_u16_e32 0x80, v12
	s_cbranch_execz .LBB376_294
; %bb.289:                              ;   in Loop: Header=BB376_232 Depth=1
	v_bfe_u32 v28, v3, 16, 7
	v_mov_b32_e32 v6, 0x7f800001
	s_mov_b32 s21, exec_lo
	s_delay_alu instid0(VALU_DEP_2)
	v_cmpx_ne_u32_e32 0x7f, v28
	s_cbranch_execz .LBB376_293
; %bb.290:                              ;   in Loop: Header=BB376_232 Depth=1
	v_and_b32_e32 v12, 7, v5
	v_lshrrev_b32_e32 v6, 3, v28
	s_mov_b32 s22, exec_lo
	v_cmpx_gt_u32_e32 8, v28
; %bb.291:                              ;   in Loop: Header=BB376_232 Depth=1
	s_delay_alu instid0(VALU_DEP_3) | instskip(NEXT) | instid1(VALU_DEP_1)
	v_clz_i32_u32_e32 v6, v12
	v_min_u32_e32 v6, 32, v6
	s_delay_alu instid0(VALU_DEP_1) | instskip(SKIP_1) | instid1(VALU_DEP_2)
	v_subrev_nc_u32_e32 v28, 28, v6
	v_sub_nc_u32_e32 v6, 29, v6
	v_lshlrev_b64 v[28:29], v28, v[12:13]
	s_delay_alu instid0(VALU_DEP_1)
	v_and_b32_e32 v12, 7, v28
; %bb.292:                              ;   in Loop: Header=BB376_232 Depth=1
	s_or_b32 exec_lo, exec_lo, s22
	v_lshlrev_b32_e32 v5, 24, v5
	s_delay_alu instid0(VALU_DEP_2) | instskip(SKIP_1) | instid1(VALU_DEP_3)
	v_lshlrev_b32_e32 v12, 20, v12
	v_lshl_add_u32 v6, v6, 23, 0x3c000000
	v_and_b32_e32 v5, 0x80000000, v5
	s_delay_alu instid0(VALU_DEP_1)
	v_or3_b32 v6, v12, v5, v6
.LBB376_293:                            ;   in Loop: Header=BB376_232 Depth=1
	s_or_b32 exec_lo, exec_lo, s21
.LBB376_294:                            ;   in Loop: Header=BB376_232 Depth=1
	s_delay_alu instid0(SALU_CYCLE_1)
	s_or_b32 exec_lo, exec_lo, s20
.LBB376_295:                            ;   in Loop: Header=BB376_232 Depth=1
	s_delay_alu instid0(SALU_CYCLE_1) | instskip(NEXT) | instid1(VALU_DEP_1)
	s_or_b32 exec_lo, exec_lo, s0
	v_mul_f32_e32 v5, s18, v6
	s_mov_b32 s0, exec_lo
                                        ; implicit-def: $vgpr28
	s_delay_alu instid0(VALU_DEP_1) | instskip(NEXT) | instid1(VALU_DEP_1)
	v_and_b32_e32 v6, 0x7f800000, v5
	v_cmpx_ne_u32_e32 0x7f800000, v6
	s_xor_b32 s0, exec_lo, s0
; %bb.296:                              ;   in Loop: Header=BB376_232 Depth=1
	v_bfe_u32 v6, v5, 16, 1
	s_delay_alu instid0(VALU_DEP_1)
	v_add3_u32 v28, v5, v6, 0x7fff
                                        ; implicit-def: $vgpr5
; %bb.297:                              ;   in Loop: Header=BB376_232 Depth=1
	s_and_not1_saveexec_b32 s0, s0
; %bb.298:                              ;   in Loop: Header=BB376_232 Depth=1
	v_and_b32_e32 v6, 0xffff, v5
	v_or_b32_e32 v12, 0x10000, v5
	s_delay_alu instid0(VALU_DEP_2) | instskip(NEXT) | instid1(VALU_DEP_2)
	v_cmp_eq_u32_e32 vcc_lo, 0, v6
	v_cndmask_b32_e32 v28, v12, v5, vcc_lo
; %bb.299:                              ;   in Loop: Header=BB376_232 Depth=1
	s_or_b32 exec_lo, exec_lo, s0
	v_mov_b32_e32 v6, 0
	s_mov_b32 s0, exec_lo
	v_cmpx_lt_u32_e32 0xffffff, v3
	s_cbranch_execz .LBB376_307
; %bb.300:                              ;   in Loop: Header=BB376_232 Depth=1
	v_lshrrev_b32_e32 v5, 24, v3
	v_bfrev_b32_e32 v6, 1
	s_mov_b32 s20, exec_lo
	s_delay_alu instid0(VALU_DEP_2)
	v_cmpx_ne_u32_e32 0x80, v5
	s_cbranch_execz .LBB376_306
; %bb.301:                              ;   in Loop: Header=BB376_232 Depth=1
	v_bfe_u32 v29, v3, 24, 7
	v_mov_b32_e32 v6, 0x7f800001
	s_mov_b32 s21, exec_lo
	s_delay_alu instid0(VALU_DEP_2)
	v_cmpx_ne_u32_e32 0x7f, v29
	s_cbranch_execz .LBB376_305
; %bb.302:                              ;   in Loop: Header=BB376_232 Depth=1
	v_and_b32_e32 v12, 7, v5
	v_lshrrev_b32_e32 v6, 3, v29
	s_mov_b32 s22, exec_lo
	v_cmpx_gt_u32_e32 8, v29
; %bb.303:                              ;   in Loop: Header=BB376_232 Depth=1
	s_delay_alu instid0(VALU_DEP_3) | instskip(NEXT) | instid1(VALU_DEP_1)
	v_clz_i32_u32_e32 v6, v12
	v_min_u32_e32 v6, 32, v6
	s_delay_alu instid0(VALU_DEP_1) | instskip(SKIP_1) | instid1(VALU_DEP_2)
	v_subrev_nc_u32_e32 v29, 28, v6
	v_sub_nc_u32_e32 v6, 29, v6
	v_lshlrev_b64 v[29:30], v29, v[12:13]
	s_delay_alu instid0(VALU_DEP_1)
	v_and_b32_e32 v12, 7, v29
; %bb.304:                              ;   in Loop: Header=BB376_232 Depth=1
	s_or_b32 exec_lo, exec_lo, s22
	v_lshlrev_b32_e32 v5, 24, v5
	s_delay_alu instid0(VALU_DEP_2) | instskip(SKIP_1) | instid1(VALU_DEP_3)
	v_lshlrev_b32_e32 v12, 20, v12
	v_lshl_add_u32 v6, v6, 23, 0x3c000000
	v_and_b32_e32 v5, 0x80000000, v5
	s_delay_alu instid0(VALU_DEP_1)
	v_or3_b32 v6, v12, v5, v6
.LBB376_305:                            ;   in Loop: Header=BB376_232 Depth=1
	s_or_b32 exec_lo, exec_lo, s21
.LBB376_306:                            ;   in Loop: Header=BB376_232 Depth=1
	s_delay_alu instid0(SALU_CYCLE_1)
	s_or_b32 exec_lo, exec_lo, s20
.LBB376_307:                            ;   in Loop: Header=BB376_232 Depth=1
	s_delay_alu instid0(SALU_CYCLE_1) | instskip(NEXT) | instid1(VALU_DEP_1)
	s_or_b32 exec_lo, exec_lo, s0
	v_mul_f32_e32 v5, s18, v6
	s_mov_b32 s0, exec_lo
                                        ; implicit-def: $vgpr29
	s_delay_alu instid0(VALU_DEP_1) | instskip(NEXT) | instid1(VALU_DEP_1)
	v_and_b32_e32 v6, 0x7f800000, v5
	v_cmpx_ne_u32_e32 0x7f800000, v6
	s_xor_b32 s0, exec_lo, s0
; %bb.308:                              ;   in Loop: Header=BB376_232 Depth=1
	v_bfe_u32 v6, v5, 16, 1
	s_delay_alu instid0(VALU_DEP_1)
	v_add3_u32 v29, v5, v6, 0x7fff
                                        ; implicit-def: $vgpr5
; %bb.309:                              ;   in Loop: Header=BB376_232 Depth=1
	s_and_not1_saveexec_b32 s0, s0
; %bb.310:                              ;   in Loop: Header=BB376_232 Depth=1
	v_and_b32_e32 v6, 0xffff, v5
	v_or_b32_e32 v12, 0x10000, v5
	s_delay_alu instid0(VALU_DEP_2) | instskip(NEXT) | instid1(VALU_DEP_2)
	v_cmp_eq_u32_e32 vcc_lo, 0, v6
	v_cndmask_b32_e32 v29, v12, v5, vcc_lo
; %bb.311:                              ;   in Loop: Header=BB376_232 Depth=1
	s_or_b32 exec_lo, exec_lo, s0
	v_dual_mov_b32 v5, 0 :: v_dual_and_b32 v6, 0xff, v4
	v_mov_b32_e32 v12, v4
	s_mov_b32 s0, exec_lo
	s_delay_alu instid0(VALU_DEP_2)
	v_cmpx_ne_u16_e32 0, v6
	s_cbranch_execz .LBB376_317
; %bb.312:                              ;   in Loop: Header=BB376_232 Depth=1
	v_bfrev_b32_e32 v5, 1
	s_mov_b32 s20, exec_lo
	v_cmpx_ne_u16_e32 0x80, v6
	s_cbranch_execz .LBB376_316
; %bb.313:                              ;   in Loop: Header=BB376_232 Depth=1
	v_and_b32_e32 v6, 0x7f, v4
	v_mov_b32_e32 v5, 0x7f800001
	s_mov_b32 s21, exec_lo
	s_delay_alu instid0(VALU_DEP_2)
	v_cmpx_ne_u32_e32 0x7f, v6
	s_cbranch_execz .LBB376_315
; %bb.314:                              ;   in Loop: Header=BB376_232 Depth=1
	v_and_b32_e32 v5, 7, v4
	v_lshrrev_b32_e32 v30, 3, v6
	v_cmp_gt_u32_e32 vcc_lo, 8, v6
	s_delay_alu instid0(VALU_DEP_3) | instskip(NEXT) | instid1(VALU_DEP_1)
	v_clz_i32_u32_e32 v5, v5
	v_min_u32_e32 v5, 32, v5
	s_delay_alu instid0(VALU_DEP_1) | instskip(SKIP_1) | instid1(VALU_DEP_1)
	v_subrev_nc_u32_e32 v31, 28, v5
	v_sub_nc_u32_e32 v5, 29, v5
	v_dual_cndmask_b32 v30, v30, v5 :: v_dual_cndmask_b32 v5, 0, v31
	s_delay_alu instid0(VALU_DEP_1) | instskip(NEXT) | instid1(VALU_DEP_2)
	v_lshl_add_u32 v30, v30, 23, 0x3c000000
	v_lshlrev_b64 v[5:6], v5, v[12:13]
	v_lshlrev_b32_e32 v6, 24, v12
	s_delay_alu instid0(VALU_DEP_2) | instskip(NEXT) | instid1(VALU_DEP_2)
	v_lshlrev_b32_e32 v5, 20, v5
	v_and_b32_e32 v6, 0x80000000, v6
	s_delay_alu instid0(VALU_DEP_2) | instskip(NEXT) | instid1(VALU_DEP_1)
	v_and_b32_e32 v5, 0x700000, v5
	v_or3_b32 v5, v5, v6, v30
.LBB376_315:                            ;   in Loop: Header=BB376_232 Depth=1
	s_or_b32 exec_lo, exec_lo, s21
.LBB376_316:                            ;   in Loop: Header=BB376_232 Depth=1
	s_delay_alu instid0(SALU_CYCLE_1)
	s_or_b32 exec_lo, exec_lo, s20
.LBB376_317:                            ;   in Loop: Header=BB376_232 Depth=1
	s_delay_alu instid0(SALU_CYCLE_1) | instskip(NEXT) | instid1(VALU_DEP_1)
	s_or_b32 exec_lo, exec_lo, s0
	v_mul_f32_e32 v5, s18, v5
	s_mov_b32 s0, exec_lo
                                        ; implicit-def: $vgpr30
	s_delay_alu instid0(VALU_DEP_1) | instskip(NEXT) | instid1(VALU_DEP_1)
	v_and_b32_e32 v6, 0x7f800000, v5
	v_cmpx_ne_u32_e32 0x7f800000, v6
	s_xor_b32 s0, exec_lo, s0
; %bb.318:                              ;   in Loop: Header=BB376_232 Depth=1
	v_bfe_u32 v6, v5, 16, 1
	s_delay_alu instid0(VALU_DEP_1)
	v_add3_u32 v30, v5, v6, 0x7fff
                                        ; implicit-def: $vgpr5
; %bb.319:                              ;   in Loop: Header=BB376_232 Depth=1
	s_and_not1_saveexec_b32 s0, s0
; %bb.320:                              ;   in Loop: Header=BB376_232 Depth=1
	v_and_b32_e32 v6, 0xffff, v5
	v_or_b32_e32 v30, 0x10000, v5
	s_delay_alu instid0(VALU_DEP_2) | instskip(NEXT) | instid1(VALU_DEP_2)
	v_cmp_eq_u32_e32 vcc_lo, 0, v6
	v_cndmask_b32_e32 v30, v30, v5, vcc_lo
; %bb.321:                              ;   in Loop: Header=BB376_232 Depth=1
	s_or_b32 exec_lo, exec_lo, s0
	v_lshrrev_b16 v6, 8, v12
	v_mov_b32_e32 v5, 0
	s_mov_b32 s0, exec_lo
	s_delay_alu instid0(VALU_DEP_2)
	v_cmpx_ne_u16_e32 0, v6
	s_cbranch_execz .LBB376_329
; %bb.322:                              ;   in Loop: Header=BB376_232 Depth=1
	v_bfrev_b32_e32 v5, 1
	s_mov_b32 s20, exec_lo
	v_cmpx_ne_u16_e32 0x80, v6
	s_cbranch_execz .LBB376_328
; %bb.323:                              ;   in Loop: Header=BB376_232 Depth=1
	v_and_b32_e32 v6, 0xffff, v6
	v_mov_b32_e32 v5, 0x7f800001
	s_mov_b32 s21, exec_lo
	s_delay_alu instid0(VALU_DEP_2) | instskip(NEXT) | instid1(VALU_DEP_1)
	v_and_b32_e32 v32, 0x7f, v6
	v_cmpx_ne_u32_e32 0x7f, v32
	s_cbranch_execz .LBB376_327
; %bb.324:                              ;   in Loop: Header=BB376_232 Depth=1
	v_dual_mov_b32 v6, v13 :: v_dual_and_b32 v5, 7, v6
	v_lshrrev_b32_e32 v31, 3, v32
	s_mov_b32 s22, exec_lo
	v_cmpx_gt_u32_e32 8, v32
; %bb.325:                              ;   in Loop: Header=BB376_232 Depth=1
	s_delay_alu instid0(VALU_DEP_3) | instskip(NEXT) | instid1(VALU_DEP_1)
	v_clz_i32_u32_e32 v31, v5
	v_min_u32_e32 v31, 32, v31
	s_delay_alu instid0(VALU_DEP_1) | instskip(SKIP_1) | instid1(VALU_DEP_2)
	v_subrev_nc_u32_e32 v32, 28, v31
	v_sub_nc_u32_e32 v31, 29, v31
	v_lshlrev_b64 v[5:6], v32, v[5:6]
	s_delay_alu instid0(VALU_DEP_1)
	v_and_b32_e32 v5, 7, v5
; %bb.326:                              ;   in Loop: Header=BB376_232 Depth=1
	s_or_b32 exec_lo, exec_lo, s22
	v_lshlrev_b32_e32 v6, 16, v12
	s_delay_alu instid0(VALU_DEP_2) | instskip(SKIP_1) | instid1(VALU_DEP_3)
	v_lshlrev_b32_e32 v5, 20, v5
	v_lshl_add_u32 v12, v31, 23, 0x3c000000
	v_and_b32_e32 v6, 0x80000000, v6
	s_delay_alu instid0(VALU_DEP_1)
	v_or3_b32 v5, v5, v6, v12
.LBB376_327:                            ;   in Loop: Header=BB376_232 Depth=1
	s_or_b32 exec_lo, exec_lo, s21
.LBB376_328:                            ;   in Loop: Header=BB376_232 Depth=1
	s_delay_alu instid0(SALU_CYCLE_1)
	s_or_b32 exec_lo, exec_lo, s20
.LBB376_329:                            ;   in Loop: Header=BB376_232 Depth=1
	s_delay_alu instid0(SALU_CYCLE_1) | instskip(NEXT) | instid1(VALU_DEP_1)
	s_or_b32 exec_lo, exec_lo, s0
	v_mul_f32_e32 v6, s18, v5
	s_delay_alu instid0(VALU_DEP_1) | instskip(NEXT) | instid1(VALU_DEP_1)
	v_and_b32_e32 v5, 0x7f800000, v6
	v_cmp_ne_u32_e32 vcc_lo, 0x7f800000, v5
                                        ; implicit-def: $vgpr5
	s_and_saveexec_b32 s0, vcc_lo
	s_delay_alu instid0(SALU_CYCLE_1)
	s_xor_b32 s0, exec_lo, s0
; %bb.330:                              ;   in Loop: Header=BB376_232 Depth=1
	v_bfe_u32 v5, v6, 16, 1
	s_delay_alu instid0(VALU_DEP_1)
	v_add3_u32 v5, v6, v5, 0x7fff
                                        ; implicit-def: $vgpr6
; %bb.331:                              ;   in Loop: Header=BB376_232 Depth=1
	s_and_not1_saveexec_b32 s0, s0
; %bb.332:                              ;   in Loop: Header=BB376_232 Depth=1
	v_and_b32_e32 v5, 0xffff, v6
	v_or_b32_e32 v12, 0x10000, v6
	s_delay_alu instid0(VALU_DEP_2) | instskip(NEXT) | instid1(VALU_DEP_2)
	v_cmp_eq_u32_e32 vcc_lo, 0, v5
	v_cndmask_b32_e32 v5, v12, v6, vcc_lo
; %bb.333:                              ;   in Loop: Header=BB376_232 Depth=1
	s_or_b32 exec_lo, exec_lo, s0
	v_lshrrev_b32_e32 v6, 16, v4
	s_mov_b32 s0, exec_lo
	s_delay_alu instid0(VALU_DEP_1) | instskip(NEXT) | instid1(VALU_DEP_1)
	v_dual_mov_b32 v12, 0 :: v_dual_and_b32 v31, 0xff, v6
	v_cmpx_ne_u16_e32 0, v31
	s_cbranch_execz .LBB376_341
; %bb.334:                              ;   in Loop: Header=BB376_232 Depth=1
	v_bfrev_b32_e32 v12, 1
	s_mov_b32 s20, exec_lo
	v_cmpx_ne_u16_e32 0x80, v31
	s_cbranch_execz .LBB376_340
; %bb.335:                              ;   in Loop: Header=BB376_232 Depth=1
	v_bfe_u32 v32, v4, 16, 7
	v_mov_b32_e32 v12, 0x7f800001
	s_mov_b32 s21, exec_lo
	s_delay_alu instid0(VALU_DEP_2)
	v_cmpx_ne_u32_e32 0x7f, v32
	s_cbranch_execz .LBB376_339
; %bb.336:                              ;   in Loop: Header=BB376_232 Depth=1
	v_and_b32_e32 v12, 7, v6
	v_lshrrev_b32_e32 v31, 3, v32
	s_mov_b32 s22, exec_lo
	v_cmpx_gt_u32_e32 8, v32
; %bb.337:                              ;   in Loop: Header=BB376_232 Depth=1
	s_delay_alu instid0(VALU_DEP_3) | instskip(NEXT) | instid1(VALU_DEP_1)
	v_clz_i32_u32_e32 v31, v12
	v_min_u32_e32 v31, 32, v31
	s_delay_alu instid0(VALU_DEP_1) | instskip(SKIP_1) | instid1(VALU_DEP_2)
	v_subrev_nc_u32_e32 v32, 28, v31
	v_sub_nc_u32_e32 v31, 29, v31
	v_lshlrev_b64 v[32:33], v32, v[12:13]
	s_delay_alu instid0(VALU_DEP_1)
	v_and_b32_e32 v12, 7, v32
; %bb.338:                              ;   in Loop: Header=BB376_232 Depth=1
	s_or_b32 exec_lo, exec_lo, s22
	v_lshlrev_b32_e32 v6, 24, v6
	s_delay_alu instid0(VALU_DEP_2) | instskip(SKIP_1) | instid1(VALU_DEP_3)
	v_lshlrev_b32_e32 v12, 20, v12
	v_lshl_add_u32 v31, v31, 23, 0x3c000000
	v_and_b32_e32 v6, 0x80000000, v6
	s_delay_alu instid0(VALU_DEP_1)
	v_or3_b32 v12, v12, v6, v31
.LBB376_339:                            ;   in Loop: Header=BB376_232 Depth=1
	s_or_b32 exec_lo, exec_lo, s21
.LBB376_340:                            ;   in Loop: Header=BB376_232 Depth=1
	s_delay_alu instid0(SALU_CYCLE_1)
	s_or_b32 exec_lo, exec_lo, s20
.LBB376_341:                            ;   in Loop: Header=BB376_232 Depth=1
	s_delay_alu instid0(SALU_CYCLE_1) | instskip(NEXT) | instid1(VALU_DEP_1)
	s_or_b32 exec_lo, exec_lo, s0
	v_mul_f32_e32 v12, s18, v12
	s_delay_alu instid0(VALU_DEP_1) | instskip(NEXT) | instid1(VALU_DEP_1)
	v_and_b32_e32 v6, 0x7f800000, v12
	v_cmp_ne_u32_e32 vcc_lo, 0x7f800000, v6
                                        ; implicit-def: $vgpr6
	s_and_saveexec_b32 s0, vcc_lo
	s_delay_alu instid0(SALU_CYCLE_1)
	s_xor_b32 s0, exec_lo, s0
; %bb.342:                              ;   in Loop: Header=BB376_232 Depth=1
	v_bfe_u32 v6, v12, 16, 1
	s_delay_alu instid0(VALU_DEP_1)
	v_add3_u32 v6, v12, v6, 0x7fff
                                        ; implicit-def: $vgpr12
; %bb.343:                              ;   in Loop: Header=BB376_232 Depth=1
	s_and_not1_saveexec_b32 s0, s0
; %bb.344:                              ;   in Loop: Header=BB376_232 Depth=1
	v_and_b32_e32 v6, 0xffff, v12
	v_or_b32_e32 v31, 0x10000, v12
	s_delay_alu instid0(VALU_DEP_2) | instskip(NEXT) | instid1(VALU_DEP_2)
	v_cmp_eq_u32_e32 vcc_lo, 0, v6
	v_cndmask_b32_e32 v6, v31, v12, vcc_lo
; %bb.345:                              ;   in Loop: Header=BB376_232 Depth=1
	s_or_b32 exec_lo, exec_lo, s0
	v_mov_b32_e32 v12, 0
	s_mov_b32 s0, exec_lo
	v_cmpx_lt_u64_e64 s[8:9], v[3:4]
	s_cbranch_execz .LBB376_353
; %bb.346:                              ;   in Loop: Header=BB376_232 Depth=1
	v_lshrrev_b32_e32 v3, 24, v4
	v_bfrev_b32_e32 v12, 1
	s_mov_b32 s20, exec_lo
	s_delay_alu instid0(VALU_DEP_2)
	v_cmpx_ne_u32_e32 0x80, v3
	s_cbranch_execz .LBB376_352
; %bb.347:                              ;   in Loop: Header=BB376_232 Depth=1
	v_bfe_u32 v31, v4, 24, 7
	v_mov_b32_e32 v12, 0x7f800001
	s_mov_b32 s21, exec_lo
	s_delay_alu instid0(VALU_DEP_2)
	v_cmpx_ne_u32_e32 0x7f, v31
	s_cbranch_execz .LBB376_351
; %bb.348:                              ;   in Loop: Header=BB376_232 Depth=1
	v_and_b32_e32 v12, 7, v3
	v_lshrrev_b32_e32 v4, 3, v31
	s_mov_b32 s22, exec_lo
	v_cmpx_gt_u32_e32 8, v31
; %bb.349:                              ;   in Loop: Header=BB376_232 Depth=1
	s_delay_alu instid0(VALU_DEP_3) | instskip(NEXT) | instid1(VALU_DEP_1)
	v_clz_i32_u32_e32 v4, v12
	v_min_u32_e32 v4, 32, v4
	s_delay_alu instid0(VALU_DEP_1) | instskip(SKIP_1) | instid1(VALU_DEP_2)
	v_subrev_nc_u32_e32 v31, 28, v4
	v_sub_nc_u32_e32 v4, 29, v4
	v_lshlrev_b64 v[31:32], v31, v[12:13]
	s_delay_alu instid0(VALU_DEP_1)
	v_and_b32_e32 v12, 7, v31
; %bb.350:                              ;   in Loop: Header=BB376_232 Depth=1
	s_or_b32 exec_lo, exec_lo, s22
	v_lshlrev_b32_e32 v3, 24, v3
	s_delay_alu instid0(VALU_DEP_2) | instskip(SKIP_1) | instid1(VALU_DEP_3)
	v_lshlrev_b32_e32 v12, 20, v12
	v_lshl_add_u32 v4, v4, 23, 0x3c000000
	v_and_b32_e32 v3, 0x80000000, v3
	s_delay_alu instid0(VALU_DEP_1)
	v_or3_b32 v12, v12, v3, v4
.LBB376_351:                            ;   in Loop: Header=BB376_232 Depth=1
	s_or_b32 exec_lo, exec_lo, s21
.LBB376_352:                            ;   in Loop: Header=BB376_232 Depth=1
	s_delay_alu instid0(SALU_CYCLE_1)
	s_or_b32 exec_lo, exec_lo, s20
.LBB376_353:                            ;   in Loop: Header=BB376_232 Depth=1
	s_delay_alu instid0(SALU_CYCLE_1) | instskip(NEXT) | instid1(VALU_DEP_1)
	s_or_b32 exec_lo, exec_lo, s0
	v_mul_f32_e32 v4, s18, v12
	s_delay_alu instid0(VALU_DEP_1) | instskip(NEXT) | instid1(VALU_DEP_1)
	v_and_b32_e32 v3, 0x7f800000, v4
	v_cmp_ne_u32_e32 vcc_lo, 0x7f800000, v3
                                        ; implicit-def: $vgpr3
	s_and_saveexec_b32 s0, vcc_lo
	s_delay_alu instid0(SALU_CYCLE_1)
	s_xor_b32 s0, exec_lo, s0
; %bb.354:                              ;   in Loop: Header=BB376_232 Depth=1
	v_bfe_u32 v3, v4, 16, 1
	s_delay_alu instid0(VALU_DEP_1)
	v_add3_u32 v3, v4, v3, 0x7fff
                                        ; implicit-def: $vgpr4
; %bb.355:                              ;   in Loop: Header=BB376_232 Depth=1
	s_and_not1_saveexec_b32 s0, s0
; %bb.356:                              ;   in Loop: Header=BB376_232 Depth=1
	v_and_b32_e32 v3, 0xffff, v4
	v_or_b32_e32 v12, 0x10000, v4
	s_delay_alu instid0(VALU_DEP_2) | instskip(NEXT) | instid1(VALU_DEP_2)
	v_cmp_eq_u32_e32 vcc_lo, 0, v3
	v_cndmask_b32_e32 v3, v12, v4, vcc_lo
; %bb.357:                              ;   in Loop: Header=BB376_232 Depth=1
	s_or_b32 exec_lo, exec_lo, s0
	v_cmp_eq_u32_e32 vcc_lo, s14, v9
	v_lshrrev_b32_e32 v12, 16, v5
	v_lshrrev_b32_e32 v41, 16, v30
	;; [unrolled: 1-line block ×8, first 2 shown]
	v_add_nc_u32_e32 v35, 1, v20
	v_add_nc_u32_e32 v33, 2, v20
	;; [unrolled: 1-line block ×7, first 2 shown]
	s_and_saveexec_b32 s20, vcc_lo
	s_cbranch_execz .LBB376_359
; %bb.358:                              ;   in Loop: Header=BB376_232 Depth=1
	v_cmp_gt_i32_e64 s0, s15, v20
	s_delay_alu instid0(VALU_DEP_1) | instskip(SKIP_1) | instid1(VALU_DEP_1)
	v_cndmask_b32_e64 v5, 0, v5, s0
	v_cmp_gt_i32_e64 s0, s15, v35
	v_cndmask_b32_e64 v8, 0, v8, s0
	v_cmp_gt_i32_e64 s0, s15, v33
	s_delay_alu instid0(VALU_DEP_1) | instskip(SKIP_1) | instid1(VALU_DEP_1)
	v_cndmask_b32_e64 v42, 0, v42, s0
	v_cmp_gt_i32_e64 s0, s15, v32
	v_cndmask_b32_e64 v40, 0, v40, s0
	;; [unrolled: 5-line block ×4, first 2 shown]
.LBB376_359:                            ;   in Loop: Header=BB376_232 Depth=1
	s_or_b32 exec_lo, exec_lo, s20
	v_and_b32_e32 v36, 0xffff0000, v36
	v_lshlrev_b32_e32 v5, 16, v5
	s_delay_alu instid0(VALU_DEP_1) | instskip(NEXT) | instid1(VALU_DEP_1)
	v_mul_f32_e32 v6, v36, v5
	v_and_b32_e32 v5, 0x7f800000, v6
	s_delay_alu instid0(VALU_DEP_1) | instskip(NEXT) | instid1(VALU_DEP_1)
	v_cmp_ne_u32_e64 s0, 0x7f800000, v5
                                        ; implicit-def: $vgpr5
	s_and_saveexec_b32 s20, s0
	s_delay_alu instid0(SALU_CYCLE_1)
	s_xor_b32 s0, exec_lo, s20
; %bb.360:                              ;   in Loop: Header=BB376_232 Depth=1
	v_bfe_u32 v5, v6, 16, 1
	s_delay_alu instid0(VALU_DEP_1)
	v_add3_u32 v5, v6, v5, 0x7fff
                                        ; implicit-def: $vgpr6
; %bb.361:                              ;   in Loop: Header=BB376_232 Depth=1
	s_and_not1_saveexec_b32 s20, s0
; %bb.362:                              ;   in Loop: Header=BB376_232 Depth=1
	v_and_b32_e32 v5, 0xffff, v6
	v_or_b32_e32 v7, 0x10000, v6
	s_delay_alu instid0(VALU_DEP_2) | instskip(NEXT) | instid1(VALU_DEP_1)
	v_cmp_eq_u32_e64 s0, 0, v5
	v_cndmask_b32_e64 v5, v7, v6, s0
; %bb.363:                              ;   in Loop: Header=BB376_232 Depth=1
	s_or_b32 exec_lo, exec_lo, s20
	v_and_b32_e32 v37, 0xffff0000, v37
	v_lshlrev_b32_e32 v6, 16, v8
	s_delay_alu instid0(VALU_DEP_1) | instskip(NEXT) | instid1(VALU_DEP_1)
	v_mul_f32_e32 v7, v37, v6
	v_and_b32_e32 v6, 0x7f800000, v7
	s_delay_alu instid0(VALU_DEP_1) | instskip(NEXT) | instid1(VALU_DEP_1)
	v_cmp_ne_u32_e64 s0, 0x7f800000, v6
                                        ; implicit-def: $vgpr6
	s_and_saveexec_b32 s20, s0
	s_delay_alu instid0(SALU_CYCLE_1)
	s_xor_b32 s0, exec_lo, s20
; %bb.364:                              ;   in Loop: Header=BB376_232 Depth=1
	v_bfe_u32 v6, v7, 16, 1
	s_delay_alu instid0(VALU_DEP_1)
	v_add3_u32 v6, v7, v6, 0x7fff
                                        ; implicit-def: $vgpr7
; %bb.365:                              ;   in Loop: Header=BB376_232 Depth=1
	s_and_not1_saveexec_b32 s20, s0
; %bb.366:                              ;   in Loop: Header=BB376_232 Depth=1
	v_and_b32_e32 v6, 0xffff, v7
	v_or_b32_e32 v8, 0x10000, v7
	s_delay_alu instid0(VALU_DEP_2) | instskip(NEXT) | instid1(VALU_DEP_1)
	v_cmp_eq_u32_e64 s0, 0, v6
	v_cndmask_b32_e64 v6, v8, v7, s0
; %bb.367:                              ;   in Loop: Header=BB376_232 Depth=1
	s_or_b32 exec_lo, exec_lo, s20
	v_and_b32_e32 v38, 0xffff0000, v38
	v_lshlrev_b32_e32 v7, 16, v42
	s_delay_alu instid0(VALU_DEP_1) | instskip(NEXT) | instid1(VALU_DEP_1)
	v_mul_f32_e32 v8, v38, v7
	v_and_b32_e32 v7, 0x7f800000, v8
	s_delay_alu instid0(VALU_DEP_1) | instskip(NEXT) | instid1(VALU_DEP_1)
	v_cmp_ne_u32_e64 s0, 0x7f800000, v7
                                        ; implicit-def: $vgpr7
	s_and_saveexec_b32 s20, s0
	s_delay_alu instid0(SALU_CYCLE_1)
	s_xor_b32 s0, exec_lo, s20
; %bb.368:                              ;   in Loop: Header=BB376_232 Depth=1
	v_bfe_u32 v7, v8, 16, 1
	s_delay_alu instid0(VALU_DEP_1)
	v_add3_u32 v7, v8, v7, 0x7fff
                                        ; implicit-def: $vgpr8
; %bb.369:                              ;   in Loop: Header=BB376_232 Depth=1
	s_and_not1_saveexec_b32 s20, s0
; %bb.370:                              ;   in Loop: Header=BB376_232 Depth=1
	v_and_b32_e32 v7, 0xffff, v8
	v_or_b32_e32 v42, 0x10000, v8
	s_delay_alu instid0(VALU_DEP_2) | instskip(NEXT) | instid1(VALU_DEP_1)
	v_cmp_eq_u32_e64 s0, 0, v7
	v_cndmask_b32_e64 v7, v42, v8, s0
; %bb.371:                              ;   in Loop: Header=BB376_232 Depth=1
	s_or_b32 exec_lo, exec_lo, s20
	v_and_b32_e32 v39, 0xffff0000, v39
	v_lshlrev_b32_e32 v8, 16, v40
	s_delay_alu instid0(VALU_DEP_1) | instskip(NEXT) | instid1(VALU_DEP_1)
	v_mul_f32_e32 v40, v39, v8
	v_and_b32_e32 v8, 0x7f800000, v40
	s_delay_alu instid0(VALU_DEP_1) | instskip(NEXT) | instid1(VALU_DEP_1)
	v_cmp_ne_u32_e64 s0, 0x7f800000, v8
                                        ; implicit-def: $vgpr8
	s_and_saveexec_b32 s20, s0
	s_delay_alu instid0(SALU_CYCLE_1)
	s_xor_b32 s0, exec_lo, s20
; %bb.372:                              ;   in Loop: Header=BB376_232 Depth=1
	v_bfe_u32 v8, v40, 16, 1
	s_delay_alu instid0(VALU_DEP_1)
	v_add3_u32 v8, v40, v8, 0x7fff
                                        ; implicit-def: $vgpr40
; %bb.373:                              ;   in Loop: Header=BB376_232 Depth=1
	s_and_not1_saveexec_b32 s20, s0
; %bb.374:                              ;   in Loop: Header=BB376_232 Depth=1
	v_and_b32_e32 v8, 0xffff, v40
	v_or_b32_e32 v42, 0x10000, v40
	s_delay_alu instid0(VALU_DEP_2) | instskip(NEXT) | instid1(VALU_DEP_1)
	v_cmp_eq_u32_e64 s0, 0, v8
	v_cndmask_b32_e64 v8, v42, v40, s0
; %bb.375:                              ;   in Loop: Header=BB376_232 Depth=1
	s_or_b32 exec_lo, exec_lo, s20
	v_and_b32_e32 v40, 0xffff0000, v25
	v_lshlrev_b32_e32 v25, 16, v41
	s_delay_alu instid0(VALU_DEP_1) | instskip(NEXT) | instid1(VALU_DEP_1)
	v_mul_f32_e32 v41, v40, v25
	v_and_b32_e32 v25, 0x7f800000, v41
	s_delay_alu instid0(VALU_DEP_1) | instskip(NEXT) | instid1(VALU_DEP_1)
	v_cmp_ne_u32_e64 s0, 0x7f800000, v25
                                        ; implicit-def: $vgpr25
	s_and_saveexec_b32 s20, s0
	s_delay_alu instid0(SALU_CYCLE_1)
	s_xor_b32 s0, exec_lo, s20
; %bb.376:                              ;   in Loop: Header=BB376_232 Depth=1
	v_bfe_u32 v25, v41, 16, 1
	s_delay_alu instid0(VALU_DEP_1)
	v_add3_u32 v25, v41, v25, 0x7fff
                                        ; implicit-def: $vgpr41
; %bb.377:                              ;   in Loop: Header=BB376_232 Depth=1
	s_and_not1_saveexec_b32 s20, s0
; %bb.378:                              ;   in Loop: Header=BB376_232 Depth=1
	v_and_b32_e32 v25, 0xffff, v41
	v_or_b32_e32 v42, 0x10000, v41
	s_delay_alu instid0(VALU_DEP_2) | instskip(NEXT) | instid1(VALU_DEP_1)
	v_cmp_eq_u32_e64 s0, 0, v25
	v_cndmask_b32_e64 v25, v42, v41, s0
; %bb.379:                              ;   in Loop: Header=BB376_232 Depth=1
	s_or_b32 exec_lo, exec_lo, s20
	v_and_b32_e32 v41, 0xffff0000, v26
	v_lshlrev_b32_e32 v12, 16, v12
	s_delay_alu instid0(VALU_DEP_1) | instskip(NEXT) | instid1(VALU_DEP_1)
	v_mul_f32_e32 v12, v41, v12
	v_and_b32_e32 v26, 0x7f800000, v12
	s_delay_alu instid0(VALU_DEP_1) | instskip(NEXT) | instid1(VALU_DEP_1)
	v_cmp_ne_u32_e64 s0, 0x7f800000, v26
                                        ; implicit-def: $vgpr26
	s_and_saveexec_b32 s20, s0
	s_delay_alu instid0(SALU_CYCLE_1)
	s_xor_b32 s0, exec_lo, s20
; %bb.380:                              ;   in Loop: Header=BB376_232 Depth=1
	v_bfe_u32 v26, v12, 16, 1
	s_delay_alu instid0(VALU_DEP_1)
	v_add3_u32 v26, v12, v26, 0x7fff
                                        ; implicit-def: $vgpr12
; %bb.381:                              ;   in Loop: Header=BB376_232 Depth=1
	s_and_not1_saveexec_b32 s20, s0
; %bb.382:                              ;   in Loop: Header=BB376_232 Depth=1
	v_and_b32_e32 v26, 0xffff, v12
	v_or_b32_e32 v42, 0x10000, v12
	s_delay_alu instid0(VALU_DEP_2) | instskip(NEXT) | instid1(VALU_DEP_1)
	v_cmp_eq_u32_e64 s0, 0, v26
	v_cndmask_b32_e64 v26, v42, v12, s0
; %bb.383:                              ;   in Loop: Header=BB376_232 Depth=1
	s_or_b32 exec_lo, exec_lo, s20
	v_and_b32_e32 v42, 0xffff0000, v27
	v_lshlrev_b32_e32 v4, 16, v4
                                        ; implicit-def: $vgpr27
	s_delay_alu instid0(VALU_DEP_1) | instskip(NEXT) | instid1(VALU_DEP_1)
	v_mul_f32_e32 v4, v42, v4
	v_and_b32_e32 v12, 0x7f800000, v4
	s_delay_alu instid0(VALU_DEP_1) | instskip(NEXT) | instid1(VALU_DEP_1)
	v_cmp_ne_u32_e64 s0, 0x7f800000, v12
	s_and_saveexec_b32 s20, s0
	s_delay_alu instid0(SALU_CYCLE_1)
	s_xor_b32 s0, exec_lo, s20
; %bb.384:                              ;   in Loop: Header=BB376_232 Depth=1
	v_bfe_u32 v12, v4, 16, 1
	s_delay_alu instid0(VALU_DEP_1)
	v_add3_u32 v27, v4, v12, 0x7fff
                                        ; implicit-def: $vgpr4
; %bb.385:                              ;   in Loop: Header=BB376_232 Depth=1
	s_and_not1_saveexec_b32 s20, s0
; %bb.386:                              ;   in Loop: Header=BB376_232 Depth=1
	v_and_b32_e32 v12, 0xffff, v4
	v_or_b32_e32 v27, 0x10000, v4
	s_delay_alu instid0(VALU_DEP_2) | instskip(NEXT) | instid1(VALU_DEP_1)
	v_cmp_eq_u32_e64 s0, 0, v12
	v_cndmask_b32_e64 v27, v27, v4, s0
; %bb.387:                              ;   in Loop: Header=BB376_232 Depth=1
	s_or_b32 exec_lo, exec_lo, s20
	v_and_b32_e32 v43, 0xffff0000, v34
	v_lshlrev_b32_e32 v3, 16, v3
                                        ; implicit-def: $vgpr34
	s_delay_alu instid0(VALU_DEP_1) | instskip(NEXT) | instid1(VALU_DEP_1)
	v_mul_f32_e32 v3, v43, v3
	v_and_b32_e32 v4, 0x7f800000, v3
	s_delay_alu instid0(VALU_DEP_1) | instskip(NEXT) | instid1(VALU_DEP_1)
	v_cmp_ne_u32_e64 s0, 0x7f800000, v4
	s_and_saveexec_b32 s20, s0
	s_delay_alu instid0(SALU_CYCLE_1)
	s_xor_b32 s0, exec_lo, s20
; %bb.388:                              ;   in Loop: Header=BB376_232 Depth=1
	v_bfe_u32 v4, v3, 16, 1
	s_delay_alu instid0(VALU_DEP_1)
	v_add3_u32 v34, v3, v4, 0x7fff
                                        ; implicit-def: $vgpr3
; %bb.389:                              ;   in Loop: Header=BB376_232 Depth=1
	s_and_not1_saveexec_b32 s20, s0
; %bb.390:                              ;   in Loop: Header=BB376_232 Depth=1
	v_and_b32_e32 v4, 0xffff, v3
	v_or_b32_e32 v12, 0x10000, v3
	s_delay_alu instid0(VALU_DEP_2) | instskip(NEXT) | instid1(VALU_DEP_1)
	v_cmp_eq_u32_e64 s0, 0, v4
	v_cndmask_b32_e64 v34, v12, v3, s0
; %bb.391:                              ;   in Loop: Header=BB376_232 Depth=1
	s_or_b32 exec_lo, exec_lo, s20
	global_load_b64 v[1:2], v[1:2], off offset:256
	s_mov_b32 s20, exec_lo
	s_waitcnt vmcnt(0)
	v_dual_mov_b32 v3, 0 :: v_dual_and_b32 v4, 0xff, v1
	s_delay_alu instid0(VALU_DEP_1)
	v_cmpx_ne_u16_e32 0, v4
	s_cbranch_execz .LBB376_397
; %bb.392:                              ;   in Loop: Header=BB376_232 Depth=1
	v_bfrev_b32_e32 v3, 1
	s_mov_b32 s21, exec_lo
	v_cmpx_ne_u16_e32 0x80, v4
	s_cbranch_execz .LBB376_396
; %bb.393:                              ;   in Loop: Header=BB376_232 Depth=1
	v_and_b32_e32 v4, 0x7f, v1
	v_mov_b32_e32 v3, 0x7f800001
	s_mov_b32 s22, exec_lo
	s_delay_alu instid0(VALU_DEP_2)
	v_cmpx_ne_u32_e32 0x7f, v4
	s_cbranch_execz .LBB376_395
; %bb.394:                              ;   in Loop: Header=BB376_232 Depth=1
	v_and_b32_e32 v3, 7, v1
	v_lshrrev_b32_e32 v12, 3, v4
	v_cmp_gt_u32_e64 s0, 8, v4
	s_delay_alu instid0(VALU_DEP_3) | instskip(NEXT) | instid1(VALU_DEP_1)
	v_clz_i32_u32_e32 v3, v3
	v_min_u32_e32 v3, 32, v3
	s_delay_alu instid0(VALU_DEP_1) | instskip(SKIP_1) | instid1(VALU_DEP_1)
	v_subrev_nc_u32_e32 v44, 28, v3
	v_sub_nc_u32_e32 v3, 29, v3
	v_cndmask_b32_e64 v12, v12, v3, s0
	s_delay_alu instid0(VALU_DEP_3) | instskip(NEXT) | instid1(VALU_DEP_2)
	v_cndmask_b32_e64 v3, 0, v44, s0
	v_lshl_add_u32 v12, v12, 23, 0x3c000000
	s_delay_alu instid0(VALU_DEP_2) | instskip(SKIP_1) | instid1(VALU_DEP_2)
	v_lshlrev_b64 v[3:4], v3, v[1:2]
	v_lshlrev_b32_e32 v4, 24, v1
	v_lshlrev_b32_e32 v3, 20, v3
	s_delay_alu instid0(VALU_DEP_2) | instskip(NEXT) | instid1(VALU_DEP_2)
	v_and_b32_e32 v4, 0x80000000, v4
	v_and_b32_e32 v3, 0x700000, v3
	s_delay_alu instid0(VALU_DEP_1)
	v_or3_b32 v3, v3, v4, v12
.LBB376_395:                            ;   in Loop: Header=BB376_232 Depth=1
	s_or_b32 exec_lo, exec_lo, s22
.LBB376_396:                            ;   in Loop: Header=BB376_232 Depth=1
	s_delay_alu instid0(SALU_CYCLE_1)
	s_or_b32 exec_lo, exec_lo, s21
.LBB376_397:                            ;   in Loop: Header=BB376_232 Depth=1
	s_delay_alu instid0(SALU_CYCLE_1) | instskip(NEXT) | instid1(VALU_DEP_1)
	s_or_b32 exec_lo, exec_lo, s20
	v_mul_f32_e32 v3, s18, v3
                                        ; implicit-def: $vgpr44
	s_delay_alu instid0(VALU_DEP_1) | instskip(NEXT) | instid1(VALU_DEP_1)
	v_and_b32_e32 v4, 0x7f800000, v3
	v_cmp_ne_u32_e64 s0, 0x7f800000, v4
	s_delay_alu instid0(VALU_DEP_1) | instskip(NEXT) | instid1(SALU_CYCLE_1)
	s_and_saveexec_b32 s20, s0
	s_xor_b32 s0, exec_lo, s20
; %bb.398:                              ;   in Loop: Header=BB376_232 Depth=1
	v_bfe_u32 v4, v3, 16, 1
	s_delay_alu instid0(VALU_DEP_1)
	v_add3_u32 v44, v3, v4, 0x7fff
                                        ; implicit-def: $vgpr3
; %bb.399:                              ;   in Loop: Header=BB376_232 Depth=1
	s_and_not1_saveexec_b32 s20, s0
; %bb.400:                              ;   in Loop: Header=BB376_232 Depth=1
	v_and_b32_e32 v4, 0xffff, v3
	v_or_b32_e32 v12, 0x10000, v3
	s_delay_alu instid0(VALU_DEP_2) | instskip(NEXT) | instid1(VALU_DEP_1)
	v_cmp_eq_u32_e64 s0, 0, v4
	v_cndmask_b32_e64 v44, v12, v3, s0
; %bb.401:                              ;   in Loop: Header=BB376_232 Depth=1
	s_or_b32 exec_lo, exec_lo, s20
	v_lshrrev_b16 v4, 8, v1
	v_mov_b32_e32 v3, 0
	s_mov_b32 s20, exec_lo
	s_delay_alu instid0(VALU_DEP_2)
	v_cmpx_ne_u16_e32 0, v4
	s_cbranch_execz .LBB376_409
; %bb.402:                              ;   in Loop: Header=BB376_232 Depth=1
	v_bfrev_b32_e32 v3, 1
	s_mov_b32 s21, exec_lo
	v_cmpx_ne_u16_e32 0x80, v4
	s_cbranch_execz .LBB376_408
; %bb.403:                              ;   in Loop: Header=BB376_232 Depth=1
	v_and_b32_e32 v12, 0xffff, v4
	v_mov_b32_e32 v3, 0x7f800001
	s_mov_b32 s22, exec_lo
	s_delay_alu instid0(VALU_DEP_2) | instskip(NEXT) | instid1(VALU_DEP_1)
	v_and_b32_e32 v4, 0x7f, v12
	v_cmpx_ne_u32_e32 0x7f, v4
	s_cbranch_execz .LBB376_407
; %bb.404:                              ;   in Loop: Header=BB376_232 Depth=1
	v_and_b32_e32 v12, 7, v12
	v_lshrrev_b32_e32 v3, 3, v4
	s_mov_b32 s23, exec_lo
	v_cmpx_gt_u32_e32 8, v4
; %bb.405:                              ;   in Loop: Header=BB376_232 Depth=1
	s_delay_alu instid0(VALU_DEP_3) | instskip(NEXT) | instid1(VALU_DEP_1)
	v_clz_i32_u32_e32 v3, v12
	v_min_u32_e32 v3, 32, v3
	s_delay_alu instid0(VALU_DEP_1) | instskip(SKIP_1) | instid1(VALU_DEP_2)
	v_subrev_nc_u32_e32 v4, 28, v3
	v_sub_nc_u32_e32 v3, 29, v3
	v_lshlrev_b64 v[45:46], v4, v[12:13]
	s_delay_alu instid0(VALU_DEP_1)
	v_and_b32_e32 v12, 7, v45
; %bb.406:                              ;   in Loop: Header=BB376_232 Depth=1
	s_or_b32 exec_lo, exec_lo, s23
	v_lshlrev_b32_e32 v4, 16, v1
	s_delay_alu instid0(VALU_DEP_2) | instskip(SKIP_1) | instid1(VALU_DEP_3)
	v_lshlrev_b32_e32 v12, 20, v12
	v_lshl_add_u32 v3, v3, 23, 0x3c000000
	v_and_b32_e32 v4, 0x80000000, v4
	s_delay_alu instid0(VALU_DEP_1)
	v_or3_b32 v3, v12, v4, v3
.LBB376_407:                            ;   in Loop: Header=BB376_232 Depth=1
	s_or_b32 exec_lo, exec_lo, s22
.LBB376_408:                            ;   in Loop: Header=BB376_232 Depth=1
	s_delay_alu instid0(SALU_CYCLE_1)
	s_or_b32 exec_lo, exec_lo, s21
.LBB376_409:                            ;   in Loop: Header=BB376_232 Depth=1
	s_delay_alu instid0(SALU_CYCLE_1) | instskip(NEXT) | instid1(VALU_DEP_1)
	s_or_b32 exec_lo, exec_lo, s20
	v_mul_f32_e32 v3, s18, v3
                                        ; implicit-def: $vgpr45
	s_delay_alu instid0(VALU_DEP_1) | instskip(NEXT) | instid1(VALU_DEP_1)
	v_and_b32_e32 v4, 0x7f800000, v3
	v_cmp_ne_u32_e64 s0, 0x7f800000, v4
	s_delay_alu instid0(VALU_DEP_1) | instskip(NEXT) | instid1(SALU_CYCLE_1)
	s_and_saveexec_b32 s20, s0
	s_xor_b32 s0, exec_lo, s20
; %bb.410:                              ;   in Loop: Header=BB376_232 Depth=1
	v_bfe_u32 v4, v3, 16, 1
	s_delay_alu instid0(VALU_DEP_1)
	v_add3_u32 v45, v3, v4, 0x7fff
                                        ; implicit-def: $vgpr3
; %bb.411:                              ;   in Loop: Header=BB376_232 Depth=1
	s_and_not1_saveexec_b32 s20, s0
; %bb.412:                              ;   in Loop: Header=BB376_232 Depth=1
	v_and_b32_e32 v4, 0xffff, v3
	v_or_b32_e32 v12, 0x10000, v3
	s_delay_alu instid0(VALU_DEP_2) | instskip(NEXT) | instid1(VALU_DEP_1)
	v_cmp_eq_u32_e64 s0, 0, v4
	v_cndmask_b32_e64 v45, v12, v3, s0
; %bb.413:                              ;   in Loop: Header=BB376_232 Depth=1
	s_or_b32 exec_lo, exec_lo, s20
	v_lshrrev_b32_e32 v3, 16, v1
	v_mov_b32_e32 v4, 0
	s_mov_b32 s20, exec_lo
	s_delay_alu instid0(VALU_DEP_2) | instskip(NEXT) | instid1(VALU_DEP_1)
	v_and_b32_e32 v12, 0xff, v3
	v_cmpx_ne_u16_e32 0, v12
	s_cbranch_execz .LBB376_421
; %bb.414:                              ;   in Loop: Header=BB376_232 Depth=1
	v_bfrev_b32_e32 v4, 1
	s_mov_b32 s21, exec_lo
	v_cmpx_ne_u16_e32 0x80, v12
	s_cbranch_execz .LBB376_420
; %bb.415:                              ;   in Loop: Header=BB376_232 Depth=1
	v_bfe_u32 v46, v1, 16, 7
	v_mov_b32_e32 v4, 0x7f800001
	s_mov_b32 s22, exec_lo
	s_delay_alu instid0(VALU_DEP_2)
	v_cmpx_ne_u32_e32 0x7f, v46
	s_cbranch_execz .LBB376_419
; %bb.416:                              ;   in Loop: Header=BB376_232 Depth=1
	v_and_b32_e32 v12, 7, v3
	v_lshrrev_b32_e32 v4, 3, v46
	s_mov_b32 s23, exec_lo
	v_cmpx_gt_u32_e32 8, v46
; %bb.417:                              ;   in Loop: Header=BB376_232 Depth=1
	s_delay_alu instid0(VALU_DEP_3) | instskip(NEXT) | instid1(VALU_DEP_1)
	v_clz_i32_u32_e32 v4, v12
	v_min_u32_e32 v4, 32, v4
	s_delay_alu instid0(VALU_DEP_1) | instskip(SKIP_1) | instid1(VALU_DEP_2)
	v_subrev_nc_u32_e32 v46, 28, v4
	v_sub_nc_u32_e32 v4, 29, v4
	v_lshlrev_b64 v[46:47], v46, v[12:13]
	s_delay_alu instid0(VALU_DEP_1)
	v_and_b32_e32 v12, 7, v46
; %bb.418:                              ;   in Loop: Header=BB376_232 Depth=1
	s_or_b32 exec_lo, exec_lo, s23
	v_lshlrev_b32_e32 v3, 24, v3
	s_delay_alu instid0(VALU_DEP_2) | instskip(SKIP_1) | instid1(VALU_DEP_3)
	v_lshlrev_b32_e32 v12, 20, v12
	v_lshl_add_u32 v4, v4, 23, 0x3c000000
	v_and_b32_e32 v3, 0x80000000, v3
	s_delay_alu instid0(VALU_DEP_1)
	v_or3_b32 v4, v12, v3, v4
.LBB376_419:                            ;   in Loop: Header=BB376_232 Depth=1
	s_or_b32 exec_lo, exec_lo, s22
.LBB376_420:                            ;   in Loop: Header=BB376_232 Depth=1
	s_delay_alu instid0(SALU_CYCLE_1)
	s_or_b32 exec_lo, exec_lo, s21
.LBB376_421:                            ;   in Loop: Header=BB376_232 Depth=1
	s_delay_alu instid0(SALU_CYCLE_1) | instskip(NEXT) | instid1(VALU_DEP_1)
	s_or_b32 exec_lo, exec_lo, s20
	v_mul_f32_e32 v3, s18, v4
                                        ; implicit-def: $vgpr46
	s_delay_alu instid0(VALU_DEP_1) | instskip(NEXT) | instid1(VALU_DEP_1)
	v_and_b32_e32 v4, 0x7f800000, v3
	v_cmp_ne_u32_e64 s0, 0x7f800000, v4
	s_delay_alu instid0(VALU_DEP_1) | instskip(NEXT) | instid1(SALU_CYCLE_1)
	s_and_saveexec_b32 s20, s0
	s_xor_b32 s0, exec_lo, s20
; %bb.422:                              ;   in Loop: Header=BB376_232 Depth=1
	v_bfe_u32 v4, v3, 16, 1
	s_delay_alu instid0(VALU_DEP_1)
	v_add3_u32 v46, v3, v4, 0x7fff
                                        ; implicit-def: $vgpr3
; %bb.423:                              ;   in Loop: Header=BB376_232 Depth=1
	s_and_not1_saveexec_b32 s20, s0
; %bb.424:                              ;   in Loop: Header=BB376_232 Depth=1
	v_and_b32_e32 v4, 0xffff, v3
	v_or_b32_e32 v12, 0x10000, v3
	s_delay_alu instid0(VALU_DEP_2) | instskip(NEXT) | instid1(VALU_DEP_1)
	v_cmp_eq_u32_e64 s0, 0, v4
	v_cndmask_b32_e64 v46, v12, v3, s0
; %bb.425:                              ;   in Loop: Header=BB376_232 Depth=1
	s_or_b32 exec_lo, exec_lo, s20
	v_mov_b32_e32 v4, 0
	s_mov_b32 s20, exec_lo
	v_cmpx_lt_u32_e32 0xffffff, v1
	s_cbranch_execz .LBB376_433
; %bb.426:                              ;   in Loop: Header=BB376_232 Depth=1
	v_lshrrev_b32_e32 v3, 24, v1
	v_bfrev_b32_e32 v4, 1
	s_mov_b32 s21, exec_lo
	s_delay_alu instid0(VALU_DEP_2)
	v_cmpx_ne_u32_e32 0x80, v3
	s_cbranch_execz .LBB376_432
; %bb.427:                              ;   in Loop: Header=BB376_232 Depth=1
	v_bfe_u32 v47, v1, 24, 7
	v_mov_b32_e32 v4, 0x7f800001
	s_mov_b32 s22, exec_lo
	s_delay_alu instid0(VALU_DEP_2)
	v_cmpx_ne_u32_e32 0x7f, v47
	s_cbranch_execz .LBB376_431
; %bb.428:                              ;   in Loop: Header=BB376_232 Depth=1
	v_and_b32_e32 v12, 7, v3
	v_lshrrev_b32_e32 v4, 3, v47
	s_mov_b32 s23, exec_lo
	v_cmpx_gt_u32_e32 8, v47
; %bb.429:                              ;   in Loop: Header=BB376_232 Depth=1
	s_delay_alu instid0(VALU_DEP_3) | instskip(NEXT) | instid1(VALU_DEP_1)
	v_clz_i32_u32_e32 v4, v12
	v_min_u32_e32 v4, 32, v4
	s_delay_alu instid0(VALU_DEP_1) | instskip(SKIP_1) | instid1(VALU_DEP_2)
	v_subrev_nc_u32_e32 v47, 28, v4
	v_sub_nc_u32_e32 v4, 29, v4
	v_lshlrev_b64 v[47:48], v47, v[12:13]
	s_delay_alu instid0(VALU_DEP_1)
	v_and_b32_e32 v12, 7, v47
; %bb.430:                              ;   in Loop: Header=BB376_232 Depth=1
	s_or_b32 exec_lo, exec_lo, s23
	v_lshlrev_b32_e32 v3, 24, v3
	s_delay_alu instid0(VALU_DEP_2) | instskip(SKIP_1) | instid1(VALU_DEP_3)
	v_lshlrev_b32_e32 v12, 20, v12
	v_lshl_add_u32 v4, v4, 23, 0x3c000000
	v_and_b32_e32 v3, 0x80000000, v3
	s_delay_alu instid0(VALU_DEP_1)
	v_or3_b32 v4, v12, v3, v4
.LBB376_431:                            ;   in Loop: Header=BB376_232 Depth=1
	s_or_b32 exec_lo, exec_lo, s22
.LBB376_432:                            ;   in Loop: Header=BB376_232 Depth=1
	s_delay_alu instid0(SALU_CYCLE_1)
	s_or_b32 exec_lo, exec_lo, s21
.LBB376_433:                            ;   in Loop: Header=BB376_232 Depth=1
	s_delay_alu instid0(SALU_CYCLE_1) | instskip(NEXT) | instid1(VALU_DEP_1)
	s_or_b32 exec_lo, exec_lo, s20
	v_mul_f32_e32 v3, s18, v4
                                        ; implicit-def: $vgpr47
	s_delay_alu instid0(VALU_DEP_1) | instskip(NEXT) | instid1(VALU_DEP_1)
	v_and_b32_e32 v4, 0x7f800000, v3
	v_cmp_ne_u32_e64 s0, 0x7f800000, v4
	s_delay_alu instid0(VALU_DEP_1) | instskip(NEXT) | instid1(SALU_CYCLE_1)
	s_and_saveexec_b32 s20, s0
	s_xor_b32 s0, exec_lo, s20
; %bb.434:                              ;   in Loop: Header=BB376_232 Depth=1
	v_bfe_u32 v4, v3, 16, 1
	s_delay_alu instid0(VALU_DEP_1)
	v_add3_u32 v47, v3, v4, 0x7fff
                                        ; implicit-def: $vgpr3
; %bb.435:                              ;   in Loop: Header=BB376_232 Depth=1
	s_and_not1_saveexec_b32 s20, s0
; %bb.436:                              ;   in Loop: Header=BB376_232 Depth=1
	v_and_b32_e32 v4, 0xffff, v3
	v_or_b32_e32 v12, 0x10000, v3
	s_delay_alu instid0(VALU_DEP_2) | instskip(NEXT) | instid1(VALU_DEP_1)
	v_cmp_eq_u32_e64 s0, 0, v4
	v_cndmask_b32_e64 v47, v12, v3, s0
; %bb.437:                              ;   in Loop: Header=BB376_232 Depth=1
	s_or_b32 exec_lo, exec_lo, s20
	v_dual_mov_b32 v3, 0 :: v_dual_and_b32 v4, 0xff, v2
	v_mov_b32_e32 v12, v2
	s_mov_b32 s20, exec_lo
	s_delay_alu instid0(VALU_DEP_2)
	v_cmpx_ne_u16_e32 0, v4
	s_cbranch_execz .LBB376_443
; %bb.438:                              ;   in Loop: Header=BB376_232 Depth=1
	v_bfrev_b32_e32 v3, 1
	s_mov_b32 s21, exec_lo
	v_cmpx_ne_u16_e32 0x80, v4
	s_cbranch_execz .LBB376_442
; %bb.439:                              ;   in Loop: Header=BB376_232 Depth=1
	v_and_b32_e32 v4, 0x7f, v2
	v_mov_b32_e32 v3, 0x7f800001
	s_mov_b32 s22, exec_lo
	s_delay_alu instid0(VALU_DEP_2)
	v_cmpx_ne_u32_e32 0x7f, v4
	s_cbranch_execz .LBB376_441
; %bb.440:                              ;   in Loop: Header=BB376_232 Depth=1
	v_and_b32_e32 v3, 7, v2
	v_lshrrev_b32_e32 v48, 3, v4
	v_cmp_gt_u32_e64 s0, 8, v4
	s_delay_alu instid0(VALU_DEP_3) | instskip(NEXT) | instid1(VALU_DEP_1)
	v_clz_i32_u32_e32 v3, v3
	v_min_u32_e32 v3, 32, v3
	s_delay_alu instid0(VALU_DEP_1) | instskip(SKIP_1) | instid1(VALU_DEP_1)
	v_subrev_nc_u32_e32 v49, 28, v3
	v_sub_nc_u32_e32 v3, 29, v3
	v_cndmask_b32_e64 v48, v48, v3, s0
	s_delay_alu instid0(VALU_DEP_3) | instskip(NEXT) | instid1(VALU_DEP_2)
	v_cndmask_b32_e64 v3, 0, v49, s0
	v_lshl_add_u32 v48, v48, 23, 0x3c000000
	s_delay_alu instid0(VALU_DEP_2) | instskip(SKIP_1) | instid1(VALU_DEP_2)
	v_lshlrev_b64 v[3:4], v3, v[12:13]
	v_lshlrev_b32_e32 v4, 24, v12
	v_lshlrev_b32_e32 v3, 20, v3
	s_delay_alu instid0(VALU_DEP_2) | instskip(NEXT) | instid1(VALU_DEP_2)
	v_and_b32_e32 v4, 0x80000000, v4
	v_and_b32_e32 v3, 0x700000, v3
	s_delay_alu instid0(VALU_DEP_1)
	v_or3_b32 v3, v3, v4, v48
.LBB376_441:                            ;   in Loop: Header=BB376_232 Depth=1
	s_or_b32 exec_lo, exec_lo, s22
.LBB376_442:                            ;   in Loop: Header=BB376_232 Depth=1
	s_delay_alu instid0(SALU_CYCLE_1)
	s_or_b32 exec_lo, exec_lo, s21
.LBB376_443:                            ;   in Loop: Header=BB376_232 Depth=1
	s_delay_alu instid0(SALU_CYCLE_1) | instskip(NEXT) | instid1(VALU_DEP_1)
	s_or_b32 exec_lo, exec_lo, s20
	v_mul_f32_e32 v3, s18, v3
                                        ; implicit-def: $vgpr48
	s_delay_alu instid0(VALU_DEP_1) | instskip(NEXT) | instid1(VALU_DEP_1)
	v_and_b32_e32 v4, 0x7f800000, v3
	v_cmp_ne_u32_e64 s0, 0x7f800000, v4
	s_delay_alu instid0(VALU_DEP_1) | instskip(NEXT) | instid1(SALU_CYCLE_1)
	s_and_saveexec_b32 s20, s0
	s_xor_b32 s0, exec_lo, s20
; %bb.444:                              ;   in Loop: Header=BB376_232 Depth=1
	v_bfe_u32 v4, v3, 16, 1
	s_delay_alu instid0(VALU_DEP_1)
	v_add3_u32 v48, v3, v4, 0x7fff
                                        ; implicit-def: $vgpr3
; %bb.445:                              ;   in Loop: Header=BB376_232 Depth=1
	s_and_not1_saveexec_b32 s20, s0
; %bb.446:                              ;   in Loop: Header=BB376_232 Depth=1
	v_and_b32_e32 v4, 0xffff, v3
	v_or_b32_e32 v48, 0x10000, v3
	s_delay_alu instid0(VALU_DEP_2) | instskip(NEXT) | instid1(VALU_DEP_1)
	v_cmp_eq_u32_e64 s0, 0, v4
	v_cndmask_b32_e64 v48, v48, v3, s0
; %bb.447:                              ;   in Loop: Header=BB376_232 Depth=1
	s_or_b32 exec_lo, exec_lo, s20
	v_lshrrev_b16 v4, 8, v12
	v_mov_b32_e32 v3, 0
	s_mov_b32 s20, exec_lo
	s_delay_alu instid0(VALU_DEP_2)
	v_cmpx_ne_u16_e32 0, v4
	s_cbranch_execz .LBB376_455
; %bb.448:                              ;   in Loop: Header=BB376_232 Depth=1
	v_bfrev_b32_e32 v3, 1
	s_mov_b32 s21, exec_lo
	v_cmpx_ne_u16_e32 0x80, v4
	s_cbranch_execz .LBB376_454
; %bb.449:                              ;   in Loop: Header=BB376_232 Depth=1
	v_and_b32_e32 v4, 0xffff, v4
	v_mov_b32_e32 v3, 0x7f800001
	s_mov_b32 s22, exec_lo
	s_delay_alu instid0(VALU_DEP_2) | instskip(NEXT) | instid1(VALU_DEP_1)
	v_and_b32_e32 v50, 0x7f, v4
	v_cmpx_ne_u32_e32 0x7f, v50
	s_cbranch_execz .LBB376_453
; %bb.450:                              ;   in Loop: Header=BB376_232 Depth=1
	v_dual_mov_b32 v4, v13 :: v_dual_and_b32 v3, 7, v4
	v_lshrrev_b32_e32 v49, 3, v50
	s_mov_b32 s23, exec_lo
	v_cmpx_gt_u32_e32 8, v50
; %bb.451:                              ;   in Loop: Header=BB376_232 Depth=1
	s_delay_alu instid0(VALU_DEP_3) | instskip(NEXT) | instid1(VALU_DEP_1)
	v_clz_i32_u32_e32 v49, v3
	v_min_u32_e32 v49, 32, v49
	s_delay_alu instid0(VALU_DEP_1) | instskip(SKIP_1) | instid1(VALU_DEP_2)
	v_subrev_nc_u32_e32 v50, 28, v49
	v_sub_nc_u32_e32 v49, 29, v49
	v_lshlrev_b64 v[3:4], v50, v[3:4]
	s_delay_alu instid0(VALU_DEP_1)
	v_and_b32_e32 v3, 7, v3
; %bb.452:                              ;   in Loop: Header=BB376_232 Depth=1
	s_or_b32 exec_lo, exec_lo, s23
	v_lshlrev_b32_e32 v4, 16, v12
	s_delay_alu instid0(VALU_DEP_2) | instskip(SKIP_1) | instid1(VALU_DEP_3)
	v_lshlrev_b32_e32 v3, 20, v3
	v_lshl_add_u32 v12, v49, 23, 0x3c000000
	v_and_b32_e32 v4, 0x80000000, v4
	s_delay_alu instid0(VALU_DEP_1)
	v_or3_b32 v3, v3, v4, v12
.LBB376_453:                            ;   in Loop: Header=BB376_232 Depth=1
	s_or_b32 exec_lo, exec_lo, s22
.LBB376_454:                            ;   in Loop: Header=BB376_232 Depth=1
	s_delay_alu instid0(SALU_CYCLE_1)
	s_or_b32 exec_lo, exec_lo, s21
.LBB376_455:                            ;   in Loop: Header=BB376_232 Depth=1
	s_delay_alu instid0(SALU_CYCLE_1) | instskip(NEXT) | instid1(VALU_DEP_1)
	s_or_b32 exec_lo, exec_lo, s20
	v_mul_f32_e32 v4, s18, v3
	s_delay_alu instid0(VALU_DEP_1) | instskip(NEXT) | instid1(VALU_DEP_1)
	v_and_b32_e32 v3, 0x7f800000, v4
	v_cmp_ne_u32_e64 s0, 0x7f800000, v3
                                        ; implicit-def: $vgpr3
	s_delay_alu instid0(VALU_DEP_1) | instskip(NEXT) | instid1(SALU_CYCLE_1)
	s_and_saveexec_b32 s20, s0
	s_xor_b32 s0, exec_lo, s20
; %bb.456:                              ;   in Loop: Header=BB376_232 Depth=1
	v_bfe_u32 v3, v4, 16, 1
	s_delay_alu instid0(VALU_DEP_1)
	v_add3_u32 v3, v4, v3, 0x7fff
                                        ; implicit-def: $vgpr4
; %bb.457:                              ;   in Loop: Header=BB376_232 Depth=1
	s_and_not1_saveexec_b32 s20, s0
; %bb.458:                              ;   in Loop: Header=BB376_232 Depth=1
	v_and_b32_e32 v3, 0xffff, v4
	v_or_b32_e32 v12, 0x10000, v4
	s_delay_alu instid0(VALU_DEP_2) | instskip(NEXT) | instid1(VALU_DEP_1)
	v_cmp_eq_u32_e64 s0, 0, v3
	v_cndmask_b32_e64 v3, v12, v4, s0
; %bb.459:                              ;   in Loop: Header=BB376_232 Depth=1
	s_or_b32 exec_lo, exec_lo, s20
	v_lshrrev_b32_e32 v4, 16, v2
	s_mov_b32 s20, exec_lo
	s_delay_alu instid0(VALU_DEP_1) | instskip(NEXT) | instid1(VALU_DEP_1)
	v_dual_mov_b32 v12, 0 :: v_dual_and_b32 v49, 0xff, v4
	v_cmpx_ne_u16_e32 0, v49
	s_cbranch_execz .LBB376_467
; %bb.460:                              ;   in Loop: Header=BB376_232 Depth=1
	v_bfrev_b32_e32 v12, 1
	s_mov_b32 s21, exec_lo
	v_cmpx_ne_u16_e32 0x80, v49
	s_cbranch_execz .LBB376_466
; %bb.461:                              ;   in Loop: Header=BB376_232 Depth=1
	v_bfe_u32 v50, v2, 16, 7
	v_mov_b32_e32 v12, 0x7f800001
	s_mov_b32 s22, exec_lo
	s_delay_alu instid0(VALU_DEP_2)
	v_cmpx_ne_u32_e32 0x7f, v50
	s_cbranch_execz .LBB376_465
; %bb.462:                              ;   in Loop: Header=BB376_232 Depth=1
	v_and_b32_e32 v12, 7, v4
	v_lshrrev_b32_e32 v49, 3, v50
	s_mov_b32 s23, exec_lo
	v_cmpx_gt_u32_e32 8, v50
; %bb.463:                              ;   in Loop: Header=BB376_232 Depth=1
	s_delay_alu instid0(VALU_DEP_3) | instskip(NEXT) | instid1(VALU_DEP_1)
	v_clz_i32_u32_e32 v49, v12
	v_min_u32_e32 v49, 32, v49
	s_delay_alu instid0(VALU_DEP_1) | instskip(SKIP_1) | instid1(VALU_DEP_2)
	v_subrev_nc_u32_e32 v50, 28, v49
	v_sub_nc_u32_e32 v49, 29, v49
	v_lshlrev_b64 v[50:51], v50, v[12:13]
	s_delay_alu instid0(VALU_DEP_1)
	v_and_b32_e32 v12, 7, v50
; %bb.464:                              ;   in Loop: Header=BB376_232 Depth=1
	s_or_b32 exec_lo, exec_lo, s23
	v_lshlrev_b32_e32 v4, 24, v4
	s_delay_alu instid0(VALU_DEP_2) | instskip(SKIP_1) | instid1(VALU_DEP_3)
	v_lshlrev_b32_e32 v12, 20, v12
	v_lshl_add_u32 v49, v49, 23, 0x3c000000
	v_and_b32_e32 v4, 0x80000000, v4
	s_delay_alu instid0(VALU_DEP_1)
	v_or3_b32 v12, v12, v4, v49
.LBB376_465:                            ;   in Loop: Header=BB376_232 Depth=1
	s_or_b32 exec_lo, exec_lo, s22
.LBB376_466:                            ;   in Loop: Header=BB376_232 Depth=1
	s_delay_alu instid0(SALU_CYCLE_1)
	s_or_b32 exec_lo, exec_lo, s21
.LBB376_467:                            ;   in Loop: Header=BB376_232 Depth=1
	s_delay_alu instid0(SALU_CYCLE_1) | instskip(NEXT) | instid1(VALU_DEP_1)
	s_or_b32 exec_lo, exec_lo, s20
	v_mul_f32_e32 v12, s18, v12
	s_delay_alu instid0(VALU_DEP_1) | instskip(NEXT) | instid1(VALU_DEP_1)
	v_and_b32_e32 v4, 0x7f800000, v12
	v_cmp_ne_u32_e64 s0, 0x7f800000, v4
                                        ; implicit-def: $vgpr4
	s_delay_alu instid0(VALU_DEP_1) | instskip(NEXT) | instid1(SALU_CYCLE_1)
	s_and_saveexec_b32 s20, s0
	s_xor_b32 s0, exec_lo, s20
; %bb.468:                              ;   in Loop: Header=BB376_232 Depth=1
	v_bfe_u32 v4, v12, 16, 1
	s_delay_alu instid0(VALU_DEP_1)
	v_add3_u32 v4, v12, v4, 0x7fff
                                        ; implicit-def: $vgpr12
; %bb.469:                              ;   in Loop: Header=BB376_232 Depth=1
	s_and_not1_saveexec_b32 s20, s0
; %bb.470:                              ;   in Loop: Header=BB376_232 Depth=1
	v_and_b32_e32 v4, 0xffff, v12
	v_or_b32_e32 v49, 0x10000, v12
	s_delay_alu instid0(VALU_DEP_2) | instskip(NEXT) | instid1(VALU_DEP_1)
	v_cmp_eq_u32_e64 s0, 0, v4
	v_cndmask_b32_e64 v4, v49, v12, s0
; %bb.471:                              ;   in Loop: Header=BB376_232 Depth=1
	s_or_b32 exec_lo, exec_lo, s20
	v_mov_b32_e32 v12, 0
	s_mov_b32 s20, exec_lo
	v_cmpx_lt_u64_e64 s[8:9], v[1:2]
	s_cbranch_execz .LBB376_479
; %bb.472:                              ;   in Loop: Header=BB376_232 Depth=1
	v_lshrrev_b32_e32 v1, 24, v2
	v_bfrev_b32_e32 v12, 1
	s_mov_b32 s21, exec_lo
	s_delay_alu instid0(VALU_DEP_2)
	v_cmpx_ne_u32_e32 0x80, v1
	s_cbranch_execz .LBB376_478
; %bb.473:                              ;   in Loop: Header=BB376_232 Depth=1
	v_bfe_u32 v49, v2, 24, 7
	v_mov_b32_e32 v12, 0x7f800001
	s_mov_b32 s22, exec_lo
	s_delay_alu instid0(VALU_DEP_2)
	v_cmpx_ne_u32_e32 0x7f, v49
	s_cbranch_execz .LBB376_477
; %bb.474:                              ;   in Loop: Header=BB376_232 Depth=1
	v_and_b32_e32 v12, 7, v1
	v_lshrrev_b32_e32 v2, 3, v49
	s_mov_b32 s23, exec_lo
	v_cmpx_gt_u32_e32 8, v49
; %bb.475:                              ;   in Loop: Header=BB376_232 Depth=1
	s_delay_alu instid0(VALU_DEP_3) | instskip(NEXT) | instid1(VALU_DEP_1)
	v_clz_i32_u32_e32 v2, v12
	v_min_u32_e32 v2, 32, v2
	s_delay_alu instid0(VALU_DEP_1) | instskip(SKIP_1) | instid1(VALU_DEP_2)
	v_subrev_nc_u32_e32 v49, 28, v2
	v_sub_nc_u32_e32 v2, 29, v2
	v_lshlrev_b64 v[49:50], v49, v[12:13]
	s_delay_alu instid0(VALU_DEP_1)
	v_and_b32_e32 v12, 7, v49
; %bb.476:                              ;   in Loop: Header=BB376_232 Depth=1
	s_or_b32 exec_lo, exec_lo, s23
	v_lshlrev_b32_e32 v1, 24, v1
	s_delay_alu instid0(VALU_DEP_2) | instskip(SKIP_1) | instid1(VALU_DEP_3)
	v_lshlrev_b32_e32 v12, 20, v12
	v_lshl_add_u32 v2, v2, 23, 0x3c000000
	v_and_b32_e32 v1, 0x80000000, v1
	s_delay_alu instid0(VALU_DEP_1)
	v_or3_b32 v12, v12, v1, v2
.LBB376_477:                            ;   in Loop: Header=BB376_232 Depth=1
	s_or_b32 exec_lo, exec_lo, s22
.LBB376_478:                            ;   in Loop: Header=BB376_232 Depth=1
	s_delay_alu instid0(SALU_CYCLE_1)
	s_or_b32 exec_lo, exec_lo, s21
.LBB376_479:                            ;   in Loop: Header=BB376_232 Depth=1
	s_delay_alu instid0(SALU_CYCLE_1) | instskip(NEXT) | instid1(VALU_DEP_1)
	s_or_b32 exec_lo, exec_lo, s20
	v_mul_f32_e32 v2, s18, v12
	s_delay_alu instid0(VALU_DEP_1) | instskip(NEXT) | instid1(VALU_DEP_1)
	v_and_b32_e32 v1, 0x7f800000, v2
	v_cmp_ne_u32_e64 s0, 0x7f800000, v1
                                        ; implicit-def: $vgpr1
	s_delay_alu instid0(VALU_DEP_1) | instskip(NEXT) | instid1(SALU_CYCLE_1)
	s_and_saveexec_b32 s18, s0
	s_xor_b32 s0, exec_lo, s18
; %bb.480:                              ;   in Loop: Header=BB376_232 Depth=1
	v_bfe_u32 v1, v2, 16, 1
	s_delay_alu instid0(VALU_DEP_1)
	v_add3_u32 v1, v2, v1, 0x7fff
                                        ; implicit-def: $vgpr2
; %bb.481:                              ;   in Loop: Header=BB376_232 Depth=1
	s_and_not1_saveexec_b32 s18, s0
; %bb.482:                              ;   in Loop: Header=BB376_232 Depth=1
	v_and_b32_e32 v1, 0xffff, v2
	v_or_b32_e32 v12, 0x10000, v2
	s_delay_alu instid0(VALU_DEP_2) | instskip(NEXT) | instid1(VALU_DEP_1)
	v_cmp_eq_u32_e64 s0, 0, v1
	v_cndmask_b32_e64 v1, v12, v2, s0
; %bb.483:                              ;   in Loop: Header=BB376_232 Depth=1
	s_or_b32 exec_lo, exec_lo, s18
	v_lshrrev_b32_e32 v12, 16, v3
	v_lshrrev_b32_e32 v48, 16, v48
	;; [unrolled: 1-line block ×8, first 2 shown]
	s_and_saveexec_b32 s0, vcc_lo
	s_cbranch_execz .LBB376_485
; %bb.484:                              ;   in Loop: Header=BB376_232 Depth=1
	v_cmp_gt_i32_e32 vcc_lo, s15, v20
	v_cndmask_b32_e32 v2, 0, v2, vcc_lo
	v_cmp_gt_i32_e32 vcc_lo, s15, v35
	v_cndmask_b32_e32 v45, 0, v45, vcc_lo
	;; [unrolled: 2-line block ×8, first 2 shown]
.LBB376_485:                            ;   in Loop: Header=BB376_232 Depth=1
	s_or_b32 exec_lo, exec_lo, s0
	v_lshlrev_b32_e32 v2, 16, v2
	s_delay_alu instid0(VALU_DEP_1) | instskip(NEXT) | instid1(VALU_DEP_1)
	v_mul_f32_e32 v4, v36, v2
	v_and_b32_e32 v2, 0x7f800000, v4
	s_delay_alu instid0(VALU_DEP_1) | instskip(SKIP_1) | instid1(SALU_CYCLE_1)
	v_cmp_ne_u32_e32 vcc_lo, 0x7f800000, v2
                                        ; implicit-def: $vgpr2
	s_and_saveexec_b32 s0, vcc_lo
	s_xor_b32 s0, exec_lo, s0
; %bb.486:                              ;   in Loop: Header=BB376_232 Depth=1
	v_bfe_u32 v2, v4, 16, 1
	s_delay_alu instid0(VALU_DEP_1)
	v_add3_u32 v2, v4, v2, 0x7fff
                                        ; implicit-def: $vgpr4
; %bb.487:                              ;   in Loop: Header=BB376_232 Depth=1
	s_and_not1_saveexec_b32 s0, s0
; %bb.488:                              ;   in Loop: Header=BB376_232 Depth=1
	v_and_b32_e32 v2, 0xffff, v4
	v_or_b32_e32 v28, 0x10000, v4
	s_delay_alu instid0(VALU_DEP_2) | instskip(NEXT) | instid1(VALU_DEP_2)
	v_cmp_eq_u32_e32 vcc_lo, 0, v2
	v_cndmask_b32_e32 v2, v28, v4, vcc_lo
; %bb.489:                              ;   in Loop: Header=BB376_232 Depth=1
	s_or_b32 exec_lo, exec_lo, s0
	v_lshlrev_b32_e32 v4, 16, v45
	s_delay_alu instid0(VALU_DEP_1) | instskip(NEXT) | instid1(VALU_DEP_1)
	v_mul_f32_e32 v28, v37, v4
	v_and_b32_e32 v4, 0x7f800000, v28
	s_delay_alu instid0(VALU_DEP_1) | instskip(SKIP_1) | instid1(SALU_CYCLE_1)
	v_cmp_ne_u32_e32 vcc_lo, 0x7f800000, v4
                                        ; implicit-def: $vgpr4
	s_and_saveexec_b32 s0, vcc_lo
	s_xor_b32 s0, exec_lo, s0
; %bb.490:                              ;   in Loop: Header=BB376_232 Depth=1
	v_bfe_u32 v4, v28, 16, 1
	s_delay_alu instid0(VALU_DEP_1)
	v_add3_u32 v4, v28, v4, 0x7fff
                                        ; implicit-def: $vgpr28
; %bb.491:                              ;   in Loop: Header=BB376_232 Depth=1
	s_and_not1_saveexec_b32 s0, s0
; %bb.492:                              ;   in Loop: Header=BB376_232 Depth=1
	v_and_b32_e32 v4, 0xffff, v28
	v_or_b32_e32 v29, 0x10000, v28
	s_delay_alu instid0(VALU_DEP_2) | instskip(NEXT) | instid1(VALU_DEP_2)
	v_cmp_eq_u32_e32 vcc_lo, 0, v4
	v_cndmask_b32_e32 v4, v29, v28, vcc_lo
; %bb.493:                              ;   in Loop: Header=BB376_232 Depth=1
	s_or_b32 exec_lo, exec_lo, s0
	v_lshlrev_b32_e32 v28, 16, v46
	s_delay_alu instid0(VALU_DEP_1) | instskip(NEXT) | instid1(VALU_DEP_1)
	v_mul_f32_e32 v29, v38, v28
	v_and_b32_e32 v28, 0x7f800000, v29
	s_delay_alu instid0(VALU_DEP_1) | instskip(SKIP_1) | instid1(SALU_CYCLE_1)
	v_cmp_ne_u32_e32 vcc_lo, 0x7f800000, v28
                                        ; implicit-def: $vgpr28
	s_and_saveexec_b32 s0, vcc_lo
	s_xor_b32 s0, exec_lo, s0
; %bb.494:                              ;   in Loop: Header=BB376_232 Depth=1
	v_bfe_u32 v28, v29, 16, 1
	s_delay_alu instid0(VALU_DEP_1)
	v_add3_u32 v28, v29, v28, 0x7fff
                                        ; implicit-def: $vgpr29
; %bb.495:                              ;   in Loop: Header=BB376_232 Depth=1
	s_and_not1_saveexec_b32 s0, s0
; %bb.496:                              ;   in Loop: Header=BB376_232 Depth=1
	v_and_b32_e32 v28, 0xffff, v29
	v_or_b32_e32 v30, 0x10000, v29
	s_delay_alu instid0(VALU_DEP_2) | instskip(NEXT) | instid1(VALU_DEP_2)
	v_cmp_eq_u32_e32 vcc_lo, 0, v28
	v_cndmask_b32_e32 v28, v30, v29, vcc_lo
; %bb.497:                              ;   in Loop: Header=BB376_232 Depth=1
	s_or_b32 exec_lo, exec_lo, s0
	v_lshlrev_b32_e32 v29, 16, v47
	s_delay_alu instid0(VALU_DEP_1) | instskip(NEXT) | instid1(VALU_DEP_1)
	v_mul_f32_e32 v30, v39, v29
	v_and_b32_e32 v29, 0x7f800000, v30
	s_delay_alu instid0(VALU_DEP_1) | instskip(SKIP_1) | instid1(SALU_CYCLE_1)
	v_cmp_ne_u32_e32 vcc_lo, 0x7f800000, v29
                                        ; implicit-def: $vgpr29
	s_and_saveexec_b32 s0, vcc_lo
	s_xor_b32 s0, exec_lo, s0
; %bb.498:                              ;   in Loop: Header=BB376_232 Depth=1
	v_bfe_u32 v29, v30, 16, 1
	s_delay_alu instid0(VALU_DEP_1)
	v_add3_u32 v29, v30, v29, 0x7fff
                                        ; implicit-def: $vgpr30
; %bb.499:                              ;   in Loop: Header=BB376_232 Depth=1
	s_and_not1_saveexec_b32 s0, s0
; %bb.500:                              ;   in Loop: Header=BB376_232 Depth=1
	v_and_b32_e32 v29, 0xffff, v30
	v_or_b32_e32 v31, 0x10000, v30
	s_delay_alu instid0(VALU_DEP_2) | instskip(NEXT) | instid1(VALU_DEP_2)
	v_cmp_eq_u32_e32 vcc_lo, 0, v29
	v_cndmask_b32_e32 v29, v31, v30, vcc_lo
; %bb.501:                              ;   in Loop: Header=BB376_232 Depth=1
	s_or_b32 exec_lo, exec_lo, s0
	v_lshlrev_b32_e32 v30, 16, v48
	s_delay_alu instid0(VALU_DEP_1) | instskip(NEXT) | instid1(VALU_DEP_1)
	v_mul_f32_e32 v31, v40, v30
	v_and_b32_e32 v30, 0x7f800000, v31
	s_delay_alu instid0(VALU_DEP_1) | instskip(SKIP_1) | instid1(SALU_CYCLE_1)
	v_cmp_ne_u32_e32 vcc_lo, 0x7f800000, v30
                                        ; implicit-def: $vgpr30
	s_and_saveexec_b32 s0, vcc_lo
	s_xor_b32 s0, exec_lo, s0
; %bb.502:                              ;   in Loop: Header=BB376_232 Depth=1
	v_bfe_u32 v30, v31, 16, 1
	s_delay_alu instid0(VALU_DEP_1)
	v_add3_u32 v30, v31, v30, 0x7fff
                                        ; implicit-def: $vgpr31
; %bb.503:                              ;   in Loop: Header=BB376_232 Depth=1
	s_and_not1_saveexec_b32 s0, s0
; %bb.504:                              ;   in Loop: Header=BB376_232 Depth=1
	v_and_b32_e32 v30, 0xffff, v31
	v_or_b32_e32 v32, 0x10000, v31
	s_delay_alu instid0(VALU_DEP_2) | instskip(NEXT) | instid1(VALU_DEP_2)
	v_cmp_eq_u32_e32 vcc_lo, 0, v30
	v_cndmask_b32_e32 v30, v32, v31, vcc_lo
; %bb.505:                              ;   in Loop: Header=BB376_232 Depth=1
	s_or_b32 exec_lo, exec_lo, s0
	v_lshlrev_b32_e32 v12, 16, v12
	s_delay_alu instid0(VALU_DEP_1) | instskip(NEXT) | instid1(VALU_DEP_1)
	v_mul_f32_e32 v31, v41, v12
	v_and_b32_e32 v12, 0x7f800000, v31
	s_delay_alu instid0(VALU_DEP_1) | instskip(SKIP_1) | instid1(SALU_CYCLE_1)
	v_cmp_ne_u32_e32 vcc_lo, 0x7f800000, v12
                                        ; implicit-def: $vgpr12
	s_and_saveexec_b32 s0, vcc_lo
	s_xor_b32 s0, exec_lo, s0
; %bb.506:                              ;   in Loop: Header=BB376_232 Depth=1
	v_bfe_u32 v12, v31, 16, 1
	s_delay_alu instid0(VALU_DEP_1)
	v_add3_u32 v12, v31, v12, 0x7fff
                                        ; implicit-def: $vgpr31
; %bb.507:                              ;   in Loop: Header=BB376_232 Depth=1
	s_and_not1_saveexec_b32 s0, s0
; %bb.508:                              ;   in Loop: Header=BB376_232 Depth=1
	v_and_b32_e32 v12, 0xffff, v31
	v_or_b32_e32 v32, 0x10000, v31
	s_delay_alu instid0(VALU_DEP_2) | instskip(NEXT) | instid1(VALU_DEP_2)
	v_cmp_eq_u32_e32 vcc_lo, 0, v12
	v_cndmask_b32_e32 v12, v32, v31, vcc_lo
; %bb.509:                              ;   in Loop: Header=BB376_232 Depth=1
	s_or_b32 exec_lo, exec_lo, s0
	v_lshlrev_b32_e32 v3, 16, v3
	s_delay_alu instid0(VALU_DEP_1) | instskip(NEXT) | instid1(VALU_DEP_1)
	v_mul_f32_e32 v31, v42, v3
	v_and_b32_e32 v3, 0x7f800000, v31
	s_delay_alu instid0(VALU_DEP_1) | instskip(SKIP_1) | instid1(SALU_CYCLE_1)
	v_cmp_ne_u32_e32 vcc_lo, 0x7f800000, v3
                                        ; implicit-def: $vgpr3
	s_and_saveexec_b32 s0, vcc_lo
	s_xor_b32 s0, exec_lo, s0
; %bb.510:                              ;   in Loop: Header=BB376_232 Depth=1
	v_bfe_u32 v3, v31, 16, 1
	s_delay_alu instid0(VALU_DEP_1)
	v_add3_u32 v3, v31, v3, 0x7fff
                                        ; implicit-def: $vgpr31
; %bb.511:                              ;   in Loop: Header=BB376_232 Depth=1
	s_and_not1_saveexec_b32 s0, s0
; %bb.512:                              ;   in Loop: Header=BB376_232 Depth=1
	v_and_b32_e32 v3, 0xffff, v31
	v_or_b32_e32 v32, 0x10000, v31
	s_delay_alu instid0(VALU_DEP_2) | instskip(NEXT) | instid1(VALU_DEP_2)
	v_cmp_eq_u32_e32 vcc_lo, 0, v3
	v_cndmask_b32_e32 v3, v32, v31, vcc_lo
; %bb.513:                              ;   in Loop: Header=BB376_232 Depth=1
	s_or_b32 exec_lo, exec_lo, s0
	v_lshlrev_b32_e32 v1, 16, v1
	s_delay_alu instid0(VALU_DEP_1) | instskip(NEXT) | instid1(VALU_DEP_1)
	v_mul_f32_e32 v31, v43, v1
	v_and_b32_e32 v1, 0x7f800000, v31
	s_delay_alu instid0(VALU_DEP_1) | instskip(SKIP_1) | instid1(SALU_CYCLE_1)
	v_cmp_ne_u32_e32 vcc_lo, 0x7f800000, v1
                                        ; implicit-def: $vgpr1
	s_and_saveexec_b32 s0, vcc_lo
	s_xor_b32 s0, exec_lo, s0
; %bb.514:                              ;   in Loop: Header=BB376_232 Depth=1
	v_bfe_u32 v1, v31, 16, 1
	s_delay_alu instid0(VALU_DEP_1)
	v_add3_u32 v1, v31, v1, 0x7fff
                                        ; implicit-def: $vgpr31
; %bb.515:                              ;   in Loop: Header=BB376_232 Depth=1
	s_and_not1_saveexec_b32 s0, s0
	s_cbranch_execz .LBB376_230
; %bb.516:                              ;   in Loop: Header=BB376_232 Depth=1
	v_and_b32_e32 v1, 0xffff, v31
	v_or_b32_e32 v32, 0x10000, v31
	s_delay_alu instid0(VALU_DEP_2) | instskip(NEXT) | instid1(VALU_DEP_2)
	v_cmp_eq_u32_e32 vcc_lo, 0, v1
	v_cndmask_b32_e32 v1, v32, v31, vcc_lo
	s_branch .LBB376_230
.LBB376_517:
	s_or_b32 exec_lo, exec_lo, s4
.LBB376_518:
	s_delay_alu instid0(SALU_CYCLE_1)
	s_or_b32 exec_lo, exec_lo, s1
	v_and_b32_e32 v2, 0x3c0, v0
	v_lshl_add_u32 v1, v19, 8, 0xa0
	s_mov_b32 s0, exec_lo
	s_waitcnt_vscnt null, 0x0
	s_barrier
	buffer_gl0_inv
	v_cmpx_eq_u32_e32 64, v2
	s_cbranch_execz .LBB376_520
; %bb.519:
	v_add3_u32 v2, v1, v22, 0xfffffe00
	ds_store_2addr_b32 v2, v23, v11 offset1:32
.LBB376_520:
	s_or_b32 exec_lo, exec_lo, s0
	v_lshl_add_u32 v2, v18, 2, v1
	s_mov_b32 s0, exec_lo
	s_waitcnt lgkmcnt(0)
	s_barrier
	buffer_gl0_inv
	v_cmpx_gt_u32_e32 64, v0
	s_cbranch_execz .LBB376_522
; %bb.521:
	v_lshl_or_b32 v3, v0, 2, 0x80
	s_delay_alu instid0(VALU_DEP_1)
	v_add_nc_u32_e32 v3, v1, v3
	ds_load_b32 v4, v2
	ds_load_b32 v3, v3
	s_waitcnt lgkmcnt(1)
	v_add_f32_e32 v23, v23, v4
	s_waitcnt lgkmcnt(0)
	v_add_f32_e32 v11, v11, v3
.LBB376_522:
	s_or_b32 exec_lo, exec_lo, s0
	v_and_b32_e32 v3, 0x3e0, v0
	s_mov_b32 s0, exec_lo
	s_barrier
	buffer_gl0_inv
	v_cmpx_eq_u32_e32 32, v3
	s_cbranch_execz .LBB376_524
; %bb.523:
	v_lshl_add_u32 v3, v18, 2, 0xa0
	ds_store_b32 v3, v23
	ds_store_b32 v21, v11
.LBB376_524:
	s_or_b32 exec_lo, exec_lo, s0
	s_waitcnt lgkmcnt(0)
	s_barrier
	buffer_gl0_inv
	s_and_saveexec_b32 s0, s2
	s_cbranch_execz .LBB376_526
; %bb.525:
	v_lshl_add_u32 v1, v0, 2, v1
	ds_load_b32 v2, v2
	ds_load_b32 v1, v1 offset:128
	s_waitcnt lgkmcnt(1)
	v_add_f32_e32 v23, v23, v2
	s_waitcnt lgkmcnt(0)
	v_add_f32_e32 v11, v11, v1
.LBB376_526:
	s_or_b32 exec_lo, exec_lo, s0
	s_barrier
	buffer_gl0_inv
	s_and_saveexec_b32 s0, s2
	s_cbranch_execz .LBB376_536
; %bb.527:
	v_and_b32_e32 v1, 0x7f800000, v23
	s_mov_b32 s0, exec_lo
                                        ; implicit-def: $vgpr2
	s_delay_alu instid0(VALU_DEP_1)
	v_cmpx_ne_u32_e32 0x7f800000, v1
	s_xor_b32 s0, exec_lo, s0
; %bb.528:
	v_bfe_u32 v1, v23, 16, 1
	s_delay_alu instid0(VALU_DEP_1)
	v_add3_u32 v2, v23, v1, 0x7fff
; %bb.529:
	s_and_not1_saveexec_b32 s0, s0
; %bb.530:
	v_and_b32_e32 v1, 0xffff, v23
	v_or_b32_e32 v2, 0x10000, v23
	s_delay_alu instid0(VALU_DEP_2) | instskip(NEXT) | instid1(VALU_DEP_2)
	v_cmp_eq_u32_e32 vcc_lo, 0, v1
	v_cndmask_b32_e32 v2, v2, v23, vcc_lo
; %bb.531:
	s_or_b32 exec_lo, exec_lo, s0
	s_lshl_b32 s0, s6, 6
	s_mul_i32 s2, s13, s12
	s_ashr_i32 s1, s0, 31
	v_lshlrev_b32_e32 v3, 1, v0
	s_lshl_b64 s[0:1], s[0:1], 1
	v_and_b32_e32 v4, 0x7f800000, v11
	s_add_u32 s4, s24, s0
	s_addc_u32 s5, s25, s1
	s_ashr_i32 s3, s2, 31
	s_delay_alu instid0(SALU_CYCLE_1) | instskip(NEXT) | instid1(SALU_CYCLE_1)
	s_lshl_b64 s[0:1], s[2:3], 1
	s_add_u32 s2, s4, s0
	s_addc_u32 s3, s5, s1
	s_ashr_i32 s17, s16, 31
	s_delay_alu instid0(SALU_CYCLE_1) | instskip(NEXT) | instid1(SALU_CYCLE_1)
	s_lshl_b64 s[0:1], s[16:17], 1
	s_add_u32 s0, s2, s0
	s_addc_u32 s1, s3, s1
	v_add_co_u32 v0, s2, s0, v3
	s_delay_alu instid0(VALU_DEP_1)
	v_add_co_ci_u32_e64 v1, null, s1, 0, s2
	global_store_d16_hi_b16 v3, v2, s[0:1]
	s_mov_b32 s0, exec_lo
                                        ; implicit-def: $vgpr2
	v_cmpx_ne_u32_e32 0x7f800000, v4
	s_xor_b32 s0, exec_lo, s0
; %bb.532:
	v_bfe_u32 v2, v11, 16, 1
	s_delay_alu instid0(VALU_DEP_1)
	v_add3_u32 v2, v11, v2, 0x7fff
                                        ; implicit-def: $vgpr10_vgpr11
; %bb.533:
	s_and_not1_saveexec_b32 s0, s0
; %bb.534:
	v_and_b32_e32 v2, 0xffff, v11
	v_or_b32_e32 v3, 0x10000, v11
	s_delay_alu instid0(VALU_DEP_2) | instskip(NEXT) | instid1(VALU_DEP_2)
	v_cmp_eq_u32_e32 vcc_lo, 0, v2
	v_cndmask_b32_e32 v2, v3, v11, vcc_lo
; %bb.535:
	s_or_b32 exec_lo, exec_lo, s0
	global_store_d16_hi_b16 v[0:1], v2, off offset:64
.LBB376_536:
	s_nop 0
	s_sendmsg sendmsg(MSG_DEALLOC_VGPRS)
	s_endpgm
	.section	.rodata,"a",@progbits
	.p2align	6, 0x0
	.amdhsa_kernel _ZN4vllm25paged_attention_v2_kernelI14__hip_bfloat16hLi64ELi8ELi128ELNS_18Fp8KVCacheDataTypeE1ELb1ELi512EEEvPfS3_PT_PKS4_PKT0_SA_ifPKiSC_iPKfiiiSE_SE_iiiii
		.amdhsa_group_segment_fixed_size 160
		.amdhsa_private_segment_fixed_size 0
		.amdhsa_kernarg_size 400
		.amdhsa_user_sgpr_count 13
		.amdhsa_user_sgpr_dispatch_ptr 0
		.amdhsa_user_sgpr_queue_ptr 0
		.amdhsa_user_sgpr_kernarg_segment_ptr 1
		.amdhsa_user_sgpr_dispatch_id 0
		.amdhsa_user_sgpr_private_segment_size 0
		.amdhsa_wavefront_size32 1
		.amdhsa_uses_dynamic_stack 0
		.amdhsa_enable_private_segment 0
		.amdhsa_system_sgpr_workgroup_id_x 1
		.amdhsa_system_sgpr_workgroup_id_y 1
		.amdhsa_system_sgpr_workgroup_id_z 1
		.amdhsa_system_sgpr_workgroup_info 0
		.amdhsa_system_vgpr_workitem_id 0
		.amdhsa_next_free_vgpr 52
		.amdhsa_next_free_sgpr 54
		.amdhsa_reserve_vcc 1
		.amdhsa_float_round_mode_32 0
		.amdhsa_float_round_mode_16_64 0
		.amdhsa_float_denorm_mode_32 3
		.amdhsa_float_denorm_mode_16_64 3
		.amdhsa_dx10_clamp 1
		.amdhsa_ieee_mode 1
		.amdhsa_fp16_overflow 0
		.amdhsa_workgroup_processor_mode 1
		.amdhsa_memory_ordered 1
		.amdhsa_forward_progress 0
		.amdhsa_shared_vgpr_count 0
		.amdhsa_exception_fp_ieee_invalid_op 0
		.amdhsa_exception_fp_denorm_src 0
		.amdhsa_exception_fp_ieee_div_zero 0
		.amdhsa_exception_fp_ieee_overflow 0
		.amdhsa_exception_fp_ieee_underflow 0
		.amdhsa_exception_fp_ieee_inexact 0
		.amdhsa_exception_int_div_zero 0
	.end_amdhsa_kernel
	.section	.text._ZN4vllm25paged_attention_v2_kernelI14__hip_bfloat16hLi64ELi8ELi128ELNS_18Fp8KVCacheDataTypeE1ELb1ELi512EEEvPfS3_PT_PKS4_PKT0_SA_ifPKiSC_iPKfiiiSE_SE_iiiii,"axG",@progbits,_ZN4vllm25paged_attention_v2_kernelI14__hip_bfloat16hLi64ELi8ELi128ELNS_18Fp8KVCacheDataTypeE1ELb1ELi512EEEvPfS3_PT_PKS4_PKT0_SA_ifPKiSC_iPKfiiiSE_SE_iiiii,comdat
.Lfunc_end376:
	.size	_ZN4vllm25paged_attention_v2_kernelI14__hip_bfloat16hLi64ELi8ELi128ELNS_18Fp8KVCacheDataTypeE1ELb1ELi512EEEvPfS3_PT_PKS4_PKT0_SA_ifPKiSC_iPKfiiiSE_SE_iiiii, .Lfunc_end376-_ZN4vllm25paged_attention_v2_kernelI14__hip_bfloat16hLi64ELi8ELi128ELNS_18Fp8KVCacheDataTypeE1ELb1ELi512EEEvPfS3_PT_PKS4_PKT0_SA_ifPKiSC_iPKfiiiSE_SE_iiiii
                                        ; -- End function
	.section	.AMDGPU.csdata,"",@progbits
; Kernel info:
; codeLenInByte = 17940
; NumSgprs: 56
; NumVgprs: 52
; ScratchSize: 0
; MemoryBound: 0
; FloatMode: 240
; IeeeMode: 1
; LDSByteSize: 160 bytes/workgroup (compile time only)
; SGPRBlocks: 6
; VGPRBlocks: 6
; NumSGPRsForWavesPerEU: 56
; NumVGPRsForWavesPerEU: 52
; Occupancy: 16
; WaveLimiterHint : 1
; COMPUTE_PGM_RSRC2:SCRATCH_EN: 0
; COMPUTE_PGM_RSRC2:USER_SGPR: 13
; COMPUTE_PGM_RSRC2:TRAP_HANDLER: 0
; COMPUTE_PGM_RSRC2:TGID_X_EN: 1
; COMPUTE_PGM_RSRC2:TGID_Y_EN: 1
; COMPUTE_PGM_RSRC2:TGID_Z_EN: 1
; COMPUTE_PGM_RSRC2:TIDIG_COMP_CNT: 0
	.section	.text._ZN4vllm25paged_attention_v2_kernelI14__hip_bfloat16hLi80ELi8ELi128ELNS_18Fp8KVCacheDataTypeE1ELb1ELi512EEEvPfS3_PT_PKS4_PKT0_SA_ifPKiSC_iPKfiiiSE_SE_iiiii,"axG",@progbits,_ZN4vllm25paged_attention_v2_kernelI14__hip_bfloat16hLi80ELi8ELi128ELNS_18Fp8KVCacheDataTypeE1ELb1ELi512EEEvPfS3_PT_PKS4_PKT0_SA_ifPKiSC_iPKfiiiSE_SE_iiiii,comdat
	.protected	_ZN4vllm25paged_attention_v2_kernelI14__hip_bfloat16hLi80ELi8ELi128ELNS_18Fp8KVCacheDataTypeE1ELb1ELi512EEEvPfS3_PT_PKS4_PKT0_SA_ifPKiSC_iPKfiiiSE_SE_iiiii ; -- Begin function _ZN4vllm25paged_attention_v2_kernelI14__hip_bfloat16hLi80ELi8ELi128ELNS_18Fp8KVCacheDataTypeE1ELb1ELi512EEEvPfS3_PT_PKS4_PKT0_SA_ifPKiSC_iPKfiiiSE_SE_iiiii
	.globl	_ZN4vllm25paged_attention_v2_kernelI14__hip_bfloat16hLi80ELi8ELi128ELNS_18Fp8KVCacheDataTypeE1ELb1ELi512EEEvPfS3_PT_PKS4_PKT0_SA_ifPKiSC_iPKfiiiSE_SE_iiiii
	.p2align	8
	.type	_ZN4vllm25paged_attention_v2_kernelI14__hip_bfloat16hLi80ELi8ELi128ELNS_18Fp8KVCacheDataTypeE1ELb1ELi512EEEvPfS3_PT_PKS4_PKT0_SA_ifPKiSC_iPKfiiiSE_SE_iiiii,@function
_ZN4vllm25paged_attention_v2_kernelI14__hip_bfloat16hLi80ELi8ELi128ELNS_18Fp8KVCacheDataTypeE1ELb1ELi512EEEvPfS3_PT_PKS4_PKT0_SA_ifPKiSC_iPKfiiiSE_SE_iiiii: ; @_ZN4vllm25paged_attention_v2_kernelI14__hip_bfloat16hLi80ELi8ELi128ELNS_18Fp8KVCacheDataTypeE1ELb1ELi512EEEvPfS3_PT_PKS4_PKT0_SA_ifPKiSC_iPKfiiiSE_SE_iiiii
; %bb.0:
	s_load_b64 s[2:3], s[0:1], 0x40
	s_mov_b32 s24, s15
	s_ashr_i32 s15, s14, 31
	s_delay_alu instid0(SALU_CYCLE_1)
	s_lshl_b64 s[4:5], s[14:15], 2
	s_waitcnt lgkmcnt(0)
	s_add_u32 s2, s2, s4
	s_addc_u32 s3, s3, s5
	s_lshl_b32 s40, s24, 9
	s_load_b32 s15, s[2:3], 0x0
	s_waitcnt lgkmcnt(0)
	s_cmp_ge_i32 s40, s15
	s_cbranch_scc1 .LBB377_723
; %bb.1:
	s_mov_b32 s30, s13
	s_clause 0x1
	s_load_b32 s25, s[0:1], 0x90
	s_load_b64 s[12:13], s[0:1], 0x30
	s_mov_b32 s42, 0
	s_waitcnt lgkmcnt(0)
	s_abs_i32 s5, s25
	s_abs_i32 s2, s12
	s_delay_alu instid0(SALU_CYCLE_1) | instskip(SKIP_1) | instid1(VALU_DEP_1)
	v_cvt_f32_u32_e32 v1, s2
	s_sub_i32 s4, 0, s2
	v_rcp_iflag_f32_e32 v1, v1
	s_waitcnt_depctr 0xfff
	v_mul_f32_e32 v1, 0x4f7ffffe, v1
	s_delay_alu instid0(VALU_DEP_1) | instskip(NEXT) | instid1(VALU_DEP_1)
	v_cvt_u32_f32_e32 v1, v1
	v_readfirstlane_b32 s3, v1
	s_delay_alu instid0(VALU_DEP_1) | instskip(NEXT) | instid1(SALU_CYCLE_1)
	s_mul_i32 s4, s4, s3
	s_mul_hi_u32 s4, s3, s4
	s_delay_alu instid0(SALU_CYCLE_1) | instskip(SKIP_4) | instid1(SALU_CYCLE_1)
	s_add_i32 s3, s3, s4
	s_xor_b32 s4, s25, s12
	s_mul_hi_u32 s3, s5, s3
	s_ashr_i32 s4, s4, 31
	s_mul_i32 s6, s3, s2
	s_sub_i32 s5, s5, s6
	s_add_i32 s6, s3, 1
	s_sub_i32 s7, s5, s2
	s_cmp_ge_u32 s5, s2
	s_cselect_b32 s3, s6, s3
	s_cselect_b32 s5, s7, s5
	s_add_i32 s6, s3, 1
	s_cmp_ge_u32 s5, s2
	s_cselect_b32 s2, s6, s3
	s_delay_alu instid0(SALU_CYCLE_1) | instskip(NEXT) | instid1(SALU_CYCLE_1)
	s_xor_b32 s2, s2, s4
	s_sub_i32 s7, s2, s4
	s_load_b64 s[2:3], s[0:1], 0x50
	s_abs_i32 s4, s7
	s_delay_alu instid0(SALU_CYCLE_1) | instskip(SKIP_1) | instid1(VALU_DEP_1)
	v_cvt_f32_u32_e32 v1, s4
	s_sub_i32 s5, 0, s4
	v_rcp_iflag_f32_e32 v1, v1
	s_waitcnt_depctr 0xfff
	v_mul_f32_e32 v1, 0x4f7ffffe, v1
	s_delay_alu instid0(VALU_DEP_1) | instskip(NEXT) | instid1(VALU_DEP_1)
	v_cvt_u32_f32_e32 v1, v1
	v_readfirstlane_b32 s6, v1
	s_delay_alu instid0(VALU_DEP_1) | instskip(NEXT) | instid1(SALU_CYCLE_1)
	s_mul_i32 s5, s5, s6
	s_mul_hi_u32 s8, s6, s5
	s_abs_i32 s5, s30
	s_add_i32 s6, s6, s8
	s_waitcnt lgkmcnt(0)
	s_cmp_eq_u64 s[2:3], 0
	s_mul_hi_u32 s6, s5, s6
	s_cbranch_scc1 .LBB377_3
; %bb.2:
	s_ashr_i32 s31, s30, 31
	s_delay_alu instid0(SALU_CYCLE_1) | instskip(NEXT) | instid1(SALU_CYCLE_1)
	s_lshl_b64 s[8:9], s[30:31], 2
	s_add_u32 s2, s2, s8
	s_addc_u32 s3, s3, s9
	s_load_b32 s42, s[2:3], 0x0
.LBB377_3:
	s_load_b128 s[8:11], s[0:1], 0x58
	v_and_b32_e32 v1, 3, v0
	s_ashr_i32 s2, s30, 31
	s_ashr_i32 s3, s7, 31
	s_mul_i32 s26, s30, 0x50
	s_mov_b32 s7, exec_lo
	v_cmpx_gt_u32_e32 40, v0
	s_cbranch_execz .LBB377_5
; %bb.4:
	s_load_b64 s[16:17], s[0:1], 0x18
	s_waitcnt lgkmcnt(0)
	s_mul_i32 s18, s14, s8
	v_lshlrev_b32_e32 v2, 2, v0
	s_ashr_i32 s19, s18, 31
	v_and_b32_e32 v3, 0x3fc, v0
	s_lshl_b64 s[18:19], s[18:19], 1
	s_delay_alu instid0(VALU_DEP_1) | instskip(SKIP_3) | instid1(SALU_CYCLE_1)
	v_mad_u32_u24 v3, v1, 40, v3
	s_add_u32 s8, s16, s18
	s_addc_u32 s11, s17, s19
	s_ashr_i32 s27, s26, 31
	s_lshl_b64 s[16:17], s[26:27], 1
	s_delay_alu instid0(SALU_CYCLE_1)
	s_add_u32 s16, s8, s16
	s_addc_u32 s17, s11, s17
	global_load_b32 v2, v2, s[16:17]
	s_waitcnt vmcnt(0)
	ds_store_b32 v3, v2
.LBB377_5:
	s_or_b32 exec_lo, exec_lo, s7
	s_load_b128 s[16:19], s[0:1], 0x78
	s_mul_i32 s7, s6, s4
	s_xor_b32 s2, s2, s3
	s_sub_i32 s3, s5, s7
	s_add_i32 s5, s6, 1
	s_sub_i32 s7, s3, s4
	s_cmp_ge_u32 s3, s4
	s_waitcnt lgkmcnt(0)
	s_cselect_b32 s5, s5, s6
	s_cselect_b32 s3, s7, s3
	s_add_i32 s6, s5, 1
	s_cmp_ge_u32 s3, s4
	s_load_b32 s4, s[0:1], 0x88
	s_cselect_b32 s3, s6, s5
	s_add_i32 s5, s15, -1
	s_xor_b32 s3, s3, s2
	s_abs_i32 s11, s5
	s_sub_i32 s3, s3, s2
	s_mov_b32 s6, -1
	s_waitcnt lgkmcnt(0)
	s_barrier
	s_abs_i32 s27, s19
	buffer_gl0_inv
	v_cvt_f32_u32_e32 v2, s27
	s_sub_i32 s2, 0, s27
                                        ; implicit-def: $sgpr33
	s_delay_alu instid0(VALU_DEP_1) | instskip(SKIP_2) | instid1(VALU_DEP_1)
	v_rcp_iflag_f32_e32 v2, v2
	s_waitcnt_depctr 0xfff
	v_mul_f32_e32 v2, 0x4f7ffffe, v2
	v_cvt_u32_f32_e32 v2, v2
	s_delay_alu instid0(VALU_DEP_1) | instskip(NEXT) | instid1(VALU_DEP_1)
	v_readfirstlane_b32 s31, v2
	s_mul_i32 s2, s2, s31
	s_delay_alu instid0(SALU_CYCLE_1) | instskip(NEXT) | instid1(SALU_CYCLE_1)
	s_mul_hi_u32 s2, s31, s2
	s_add_i32 s31, s31, s2
	s_cmp_lt_i32 s4, 0
	s_mul_hi_u32 s2, s11, s31
	s_cbranch_scc0 .LBB377_7
; %bb.6:
	s_mul_i32 s6, s16, s12
	s_delay_alu instid0(SALU_CYCLE_1) | instskip(NEXT) | instid1(SALU_CYCLE_1)
	s_add_i32 s6, s3, s6
	s_mul_i32 s6, s6, s4
	s_delay_alu instid0(SALU_CYCLE_1)
	s_sub_i32 s33, 1, s6
	s_mov_b32 s6, 0
.LBB377_7:
	s_load_b64 s[34:35], s[0:1], 0x38
	s_ashr_i32 s12, s5, 31
	s_and_not1_b32 vcc_lo, exec_lo, s6
	s_ashr_i32 s19, s19, 31
	s_cbranch_vccnz .LBB377_9
; %bb.8:
	s_mul_i32 s5, s25, s16
	s_delay_alu instid0(SALU_CYCLE_1) | instskip(NEXT) | instid1(SALU_CYCLE_1)
	s_add_i32 s5, s5, s30
	s_mul_i32 s4, s5, s4
	s_delay_alu instid0(SALU_CYCLE_1)
	s_add_i32 s33, s4, 1
.LBB377_9:
	s_clause 0x5
	s_load_b32 s16, s[0:1], 0x48
	s_load_b64 s[38:39], s[0:1], 0x28
	s_load_b128 s[20:23], s[0:1], 0x0
	s_load_b64 s[28:29], s[0:1], 0x10
	s_load_b32 s8, s[0:1], 0x98
	s_load_b128 s[4:7], s[0:1], 0x68
	s_xor_b32 s43, s12, s19
	s_mul_i32 s12, s2, s27
	s_add_i32 s41, s2, 1
	s_sub_i32 s11, s11, s12
	v_lshrrev_b32_e32 v22, 5, v0
	s_sub_i32 s12, s11, s27
	v_mov_b32_e32 v24, 0xff7fffff
	v_mbcnt_lo_u32_b32 v11, -1, 0
	s_mul_i32 s10, s3, s10
	v_lshl_add_u32 v23, v22, 3, s40
	s_waitcnt lgkmcnt(0)
	s_mul_i32 s36, s14, s16
	s_delay_alu instid0(SALU_CYCLE_1)
	s_ashr_i32 s37, s36, 31
	s_cmp_ge_u32 s11, s27
	s_cselect_b32 s2, s41, s2
	s_cselect_b32 s11, s12, s11
	s_add_i32 s12, s2, 1
	s_cmp_ge_u32 s11, s27
	s_cselect_b32 s2, s12, s2
	s_add_i32 s11, s15, 7
	s_lshl_b32 s12, s24, 6
	s_ashr_i32 s16, s11, 31
	v_or_b32_e32 v12, s12, v22
	s_lshr_b32 s16, s16, 29
	s_delay_alu instid0(SALU_CYCLE_1)
	s_add_i32 s11, s11, s16
	s_add_i32 s16, s12, 64
	s_ashr_i32 s41, s11, 3
	s_xor_b32 s11, s2, s43
	s_min_i32 s16, s16, s41
	v_ashrrev_i32_e32 v13, 31, v12
	v_cmp_gt_i32_e64 s2, s16, v12
	s_sub_i32 s11, s11, s43
	s_delay_alu instid0(VALU_DEP_1)
	s_and_saveexec_b32 s43, s2
	s_cbranch_execz .LBB377_259
; %bb.10:
	s_load_b64 s[0:1], s[0:1], 0x20
	s_sub_i32 s44, s11, s17
	s_ashr_i32 s3, s10, 31
	v_bfe_u32 v25, v0, 2, 3
	v_dual_mov_b32 v24, 0xff7fffff :: v_dual_mov_b32 v33, v12
	v_cmp_eq_u32_e32 vcc_lo, 0, v1
	v_dual_mov_b32 v29, 0xff7fffff :: v_dual_lshlrev_b32 v26, 1, v1
	s_delay_alu instid0(VALU_DEP_4)
	v_lshlrev_b32_e32 v4, 2, v25
	v_lshlrev_b32_e32 v7, 4, v25
	v_mul_u32_u24_e32 v27, 40, v1
	v_subrev_nc_u32_e32 v5, s15, v25
	v_lshl_add_u32 v28, v22, 3, s40
	v_lshl_or_b32 v4, v22, 5, v4
	s_delay_alu instid0(VALU_DEP_3) | instskip(NEXT) | instid1(VALU_DEP_2)
	v_add_nc_u32_e32 v30, 1, v5
	v_add_nc_u32_e32 v31, 0xc0, v4
	s_waitcnt lgkmcnt(0)
	s_add_u32 s48, s0, s10
	s_addc_u32 s1, s1, s3
	s_abs_i32 s45, s18
	s_lshl_b64 s[46:47], s[36:37], 2
	v_cvt_f32_u32_e32 v2, s45
	s_sub_i32 s3, 0, s45
	v_cmp_neq_f32_e64 s0, s42, 0
	s_delay_alu instid0(VALU_DEP_2) | instskip(SKIP_3) | instid1(VALU_DEP_2)
	v_rcp_iflag_f32_e32 v2, v2
	s_waitcnt_depctr 0xfff
	v_dual_mov_b32 v10, 0 :: v_dual_mul_f32 v3, 0x4f7ffffe, v2
	v_lshlrev_b64 v[1:2], 2, v[12:13]
	v_cvt_u32_f32_e32 v3, v3
	s_delay_alu instid0(VALU_DEP_1) | instskip(SKIP_1) | instid1(VALU_DEP_1)
	v_mul_lo_u32 v6, s3, v3
	v_add_co_u32 v14, s3, s48, v7
	v_add_co_ci_u32_e64 v15, null, s1, 0, s3
	s_add_u32 s1, s34, s46
	s_addc_u32 s3, s35, s47
	v_add_co_u32 v16, s1, s1, v1
	s_delay_alu instid0(VALU_DEP_4) | instskip(SKIP_3) | instid1(VALU_DEP_2)
	v_mul_hi_u32 v4, v3, v6
	v_add_co_ci_u32_e64 v17, s1, s3, v2, s1
	s_mov_b32 s46, 0
	s_mov_b32 s47, s9
	v_add_nc_u32_e32 v32, v3, v4
	s_branch .LBB377_13
.LBB377_11:                             ;   in Loop: Header=BB377_13 Depth=1
	s_or_b32 exec_lo, exec_lo, s48
.LBB377_12:                             ;   in Loop: Header=BB377_13 Depth=1
	s_delay_alu instid0(SALU_CYCLE_1) | instskip(SKIP_2) | instid1(VALU_DEP_1)
	s_or_b32 exec_lo, exec_lo, s3
	v_add_nc_u32_e32 v33, 4, v33
	v_add_co_u32 v16, s3, v16, 16
	v_add_co_ci_u32_e64 v17, s3, 0, v17, s3
	s_delay_alu instid0(VALU_DEP_3) | instskip(SKIP_2) | instid1(VALU_DEP_3)
	v_cmp_le_i32_e64 s1, s16, v33
	v_add_nc_u32_e32 v28, 32, v28
	v_add_nc_u32_e32 v31, 0x80, v31
	s_or_b32 s46, s1, s46
	s_delay_alu instid0(SALU_CYCLE_1)
	s_and_not1_b32 exec_lo, exec_lo, s46
	s_cbranch_execz .LBB377_258
.LBB377_13:                             ; =>This Inner Loop Header: Depth=1
	v_sub_nc_u32_e32 v1, 0, v28
	s_delay_alu instid0(VALU_DEP_1) | instskip(SKIP_1) | instid1(VALU_DEP_1)
	v_max_i32_e32 v1, v28, v1
	s_waitcnt lgkmcnt(0)
	v_mul_hi_u32 v2, v1, s31
	s_delay_alu instid0(VALU_DEP_1) | instskip(NEXT) | instid1(VALU_DEP_1)
	v_mul_lo_u32 v3, v2, s27
	v_sub_nc_u32_e32 v1, v1, v3
	v_add_nc_u32_e32 v3, 1, v2
	s_delay_alu instid0(VALU_DEP_2) | instskip(SKIP_1) | instid1(VALU_DEP_1)
	v_subrev_nc_u32_e32 v4, s27, v1
	v_cmp_le_u32_e64 s1, s27, v1
	v_cndmask_b32_e64 v2, v2, v3, s1
	s_delay_alu instid0(VALU_DEP_3) | instskip(SKIP_1) | instid1(VALU_DEP_3)
	v_cndmask_b32_e64 v1, v1, v4, s1
	v_ashrrev_i32_e32 v3, 31, v28
	v_add_nc_u32_e32 v4, 1, v2
	s_delay_alu instid0(VALU_DEP_3) | instskip(NEXT) | instid1(VALU_DEP_3)
	v_cmp_le_u32_e64 s1, s27, v1
	v_xor_b32_e32 v3, s19, v3
	s_delay_alu instid0(VALU_DEP_2) | instskip(NEXT) | instid1(VALU_DEP_1)
	v_cndmask_b32_e64 v1, v2, v4, s1
	v_xor_b32_e32 v1, v1, v3
	s_delay_alu instid0(VALU_DEP_1) | instskip(NEXT) | instid1(VALU_DEP_1)
	v_sub_nc_u32_e32 v1, v1, v3
	v_add_nc_u32_e32 v2, s33, v1
	v_cmp_ge_i32_e64 s3, s44, v1
	s_delay_alu instid0(VALU_DEP_2) | instskip(NEXT) | instid1(VALU_DEP_1)
	v_sub_nc_u32_e32 v3, 0, v2
	v_max_i32_e32 v3, v2, v3
	v_ashrrev_i32_e32 v2, 31, v2
	s_delay_alu instid0(VALU_DEP_2) | instskip(NEXT) | instid1(VALU_DEP_1)
	v_mul_hi_u32 v4, v3, v32
	v_mul_lo_u32 v4, v4, s45
	s_delay_alu instid0(VALU_DEP_1) | instskip(NEXT) | instid1(VALU_DEP_1)
	v_sub_nc_u32_e32 v3, v3, v4
	v_subrev_nc_u32_e32 v4, s45, v3
	v_cmp_le_u32_e64 s1, s45, v3
	s_delay_alu instid0(VALU_DEP_1) | instskip(NEXT) | instid1(VALU_DEP_1)
	v_cndmask_b32_e64 v3, v3, v4, s1
	v_subrev_nc_u32_e32 v4, s45, v3
	v_cmp_le_u32_e64 s1, s45, v3
	s_delay_alu instid0(VALU_DEP_1) | instskip(NEXT) | instid1(VALU_DEP_1)
	v_cndmask_b32_e64 v3, v3, v4, s1
	v_xor_b32_e32 v3, v3, v2
	s_delay_alu instid0(VALU_DEP_1) | instskip(NEXT) | instid1(VALU_DEP_1)
	v_sub_nc_u32_e32 v2, v3, v2
	v_cmp_ne_u32_e64 s1, 0, v2
	s_delay_alu instid0(VALU_DEP_1) | instskip(NEXT) | instid1(SALU_CYCLE_1)
	s_and_b32 s1, s1, s3
	s_and_b32 s48, vcc_lo, s1
	s_delay_alu instid0(SALU_CYCLE_1)
	s_and_saveexec_b32 s3, s48
	s_cbranch_execz .LBB377_15
; %bb.14:                               ;   in Loop: Header=BB377_13 Depth=1
	ds_store_b32 v31, v29
.LBB377_15:                             ;   in Loop: Header=BB377_13 Depth=1
	s_or_b32 exec_lo, exec_lo, s3
	s_xor_b32 s1, s1, -1
	s_delay_alu instid0(SALU_CYCLE_1)
	s_and_saveexec_b32 s3, s1
	s_cbranch_execz .LBB377_12
; %bb.16:                               ;   in Loop: Header=BB377_13 Depth=1
	global_load_b32 v3, v[16:17], off
	s_mov_b32 s49, exec_lo
	s_waitcnt vmcnt(0)
	v_mad_i64_i32 v[1:2], null, v3, s47, v[14:15]
	s_delay_alu instid0(VALU_DEP_1) | instskip(NEXT) | instid1(VALU_DEP_1)
	v_add_co_u32 v20, s1, v1, v26
	v_add_co_ci_u32_e64 v21, s1, 0, v2, s1
	global_load_u16 v9, v[20:21], off
	ds_load_2addr_b64 v[5:8], v27 offset1:1
	ds_load_2addr_b64 v[1:4], v27 offset0:2 offset1:3
	ds_load_b64 v[18:19], v27 offset:32
	s_load_b32 s48, s[4:5], 0x0
	s_waitcnt vmcnt(0)
	v_and_b32_e32 v34, 0xff, v9
	v_and_b32_e32 v35, 0xffff, v9
	v_mov_b32_e32 v9, 0
	s_delay_alu instid0(VALU_DEP_3)
	v_cmpx_ne_u16_e32 0, v34
	s_cbranch_execz .LBB377_24
; %bb.17:                               ;   in Loop: Header=BB377_13 Depth=1
	s_delay_alu instid0(VALU_DEP_3) | instskip(NEXT) | instid1(VALU_DEP_1)
	v_and_b32_e32 v9, 0xff, v35
	v_cmp_ne_u16_e64 s1, 0x80, v9
	v_bfrev_b32_e32 v9, 1
	s_delay_alu instid0(VALU_DEP_2)
	s_and_saveexec_b32 s50, s1
	s_cbranch_execz .LBB377_23
; %bb.18:                               ;   in Loop: Header=BB377_13 Depth=1
	v_and_b32_e32 v36, 0x7f, v35
	v_mov_b32_e32 v9, 0x7f800001
	s_mov_b32 s51, exec_lo
	s_delay_alu instid0(VALU_DEP_2)
	v_cmpx_ne_u32_e32 0x7f, v36
	s_cbranch_execz .LBB377_22
; %bb.19:                               ;   in Loop: Header=BB377_13 Depth=1
	v_and_b32_e32 v9, 7, v35
	v_lshrrev_b32_e32 v34, 3, v36
	s_mov_b32 s52, exec_lo
	v_cmpx_gt_u32_e32 8, v36
; %bb.20:                               ;   in Loop: Header=BB377_13 Depth=1
	s_delay_alu instid0(VALU_DEP_3) | instskip(NEXT) | instid1(VALU_DEP_1)
	v_clz_i32_u32_e32 v34, v9
	v_min_u32_e32 v34, 32, v34
	s_delay_alu instid0(VALU_DEP_1) | instskip(SKIP_1) | instid1(VALU_DEP_2)
	v_subrev_nc_u32_e32 v36, 28, v34
	v_sub_nc_u32_e32 v34, 29, v34
	v_lshlrev_b64 v[36:37], v36, v[9:10]
	s_delay_alu instid0(VALU_DEP_1)
	v_and_b32_e32 v9, 7, v36
; %bb.21:                               ;   in Loop: Header=BB377_13 Depth=1
	s_or_b32 exec_lo, exec_lo, s52
	v_lshlrev_b32_e32 v36, 24, v35
	s_delay_alu instid0(VALU_DEP_2) | instskip(SKIP_1) | instid1(VALU_DEP_3)
	v_lshlrev_b32_e32 v9, 20, v9
	v_lshl_add_u32 v34, v34, 23, 0x3c000000
	v_and_b32_e32 v36, 0x80000000, v36
	s_delay_alu instid0(VALU_DEP_1)
	v_or3_b32 v9, v9, v36, v34
.LBB377_22:                             ;   in Loop: Header=BB377_13 Depth=1
	s_or_b32 exec_lo, exec_lo, s51
.LBB377_23:                             ;   in Loop: Header=BB377_13 Depth=1
	s_delay_alu instid0(SALU_CYCLE_1)
	s_or_b32 exec_lo, exec_lo, s50
.LBB377_24:                             ;   in Loop: Header=BB377_13 Depth=1
	s_delay_alu instid0(SALU_CYCLE_1) | instskip(SKIP_2) | instid1(VALU_DEP_1)
	s_or_b32 exec_lo, exec_lo, s49
	s_waitcnt lgkmcnt(0)
	v_mul_f32_e32 v9, s48, v9
	v_and_b32_e32 v34, 0x7f800000, v9
	s_delay_alu instid0(VALU_DEP_1) | instskip(NEXT) | instid1(VALU_DEP_1)
	v_cmp_ne_u32_e64 s1, 0x7f800000, v34
                                        ; implicit-def: $vgpr34
	s_and_saveexec_b32 s49, s1
	s_delay_alu instid0(SALU_CYCLE_1)
	s_xor_b32 s1, exec_lo, s49
; %bb.25:                               ;   in Loop: Header=BB377_13 Depth=1
	v_bfe_u32 v34, v9, 16, 1
	s_delay_alu instid0(VALU_DEP_1)
	v_add3_u32 v34, v9, v34, 0x7fff
                                        ; implicit-def: $vgpr9
; %bb.26:                               ;   in Loop: Header=BB377_13 Depth=1
	s_and_not1_saveexec_b32 s49, s1
; %bb.27:                               ;   in Loop: Header=BB377_13 Depth=1
	v_and_b32_e32 v34, 0xffff, v9
	v_or_b32_e32 v36, 0x10000, v9
	s_delay_alu instid0(VALU_DEP_2) | instskip(NEXT) | instid1(VALU_DEP_1)
	v_cmp_eq_u32_e64 s1, 0, v34
	v_cndmask_b32_e64 v34, v36, v9, s1
; %bb.28:                               ;   in Loop: Header=BB377_13 Depth=1
	s_or_b32 exec_lo, exec_lo, s49
	v_lshrrev_b16 v36, 8, v35
	v_mov_b32_e32 v9, 0
	s_mov_b32 s49, exec_lo
	s_delay_alu instid0(VALU_DEP_2)
	v_cmpx_ne_u16_e32 0, v36
	s_cbranch_execz .LBB377_36
; %bb.29:                               ;   in Loop: Header=BB377_13 Depth=1
	v_bfrev_b32_e32 v9, 1
	s_mov_b32 s50, exec_lo
	v_cmpx_ne_u16_e32 0x80, v36
	s_cbranch_execz .LBB377_35
; %bb.30:                               ;   in Loop: Header=BB377_13 Depth=1
	v_and_b32_e32 v36, 0xffff, v36
	v_mov_b32_e32 v9, 0x7f800001
	s_mov_b32 s51, exec_lo
	s_delay_alu instid0(VALU_DEP_2) | instskip(NEXT) | instid1(VALU_DEP_1)
	v_and_b32_e32 v37, 0x7f, v36
	v_cmpx_ne_u32_e32 0x7f, v37
	s_cbranch_execz .LBB377_34
; %bb.31:                               ;   in Loop: Header=BB377_13 Depth=1
	v_and_b32_e32 v9, 7, v36
	v_lshrrev_b32_e32 v36, 3, v37
	s_mov_b32 s52, exec_lo
	v_cmpx_gt_u32_e32 8, v37
; %bb.32:                               ;   in Loop: Header=BB377_13 Depth=1
	s_delay_alu instid0(VALU_DEP_3) | instskip(NEXT) | instid1(VALU_DEP_1)
	v_clz_i32_u32_e32 v36, v9
	v_min_u32_e32 v36, 32, v36
	s_delay_alu instid0(VALU_DEP_1) | instskip(SKIP_1) | instid1(VALU_DEP_2)
	v_subrev_nc_u32_e32 v37, 28, v36
	v_sub_nc_u32_e32 v36, 29, v36
	v_lshlrev_b64 v[37:38], v37, v[9:10]
	s_delay_alu instid0(VALU_DEP_1)
	v_and_b32_e32 v9, 7, v37
; %bb.33:                               ;   in Loop: Header=BB377_13 Depth=1
	s_or_b32 exec_lo, exec_lo, s52
	v_lshlrev_b32_e32 v35, 16, v35
	s_delay_alu instid0(VALU_DEP_2) | instskip(SKIP_1) | instid1(VALU_DEP_3)
	v_lshlrev_b32_e32 v9, 20, v9
	v_lshl_add_u32 v36, v36, 23, 0x3c000000
	v_and_b32_e32 v35, 0x80000000, v35
	s_delay_alu instid0(VALU_DEP_1)
	v_or3_b32 v9, v9, v35, v36
.LBB377_34:                             ;   in Loop: Header=BB377_13 Depth=1
	s_or_b32 exec_lo, exec_lo, s51
.LBB377_35:                             ;   in Loop: Header=BB377_13 Depth=1
	s_delay_alu instid0(SALU_CYCLE_1)
	s_or_b32 exec_lo, exec_lo, s50
.LBB377_36:                             ;   in Loop: Header=BB377_13 Depth=1
	s_delay_alu instid0(SALU_CYCLE_1) | instskip(NEXT) | instid1(VALU_DEP_1)
	s_or_b32 exec_lo, exec_lo, s49
	v_mul_f32_e32 v9, s48, v9
	s_delay_alu instid0(VALU_DEP_1) | instskip(NEXT) | instid1(VALU_DEP_1)
	v_and_b32_e32 v35, 0x7f800000, v9
	v_cmp_ne_u32_e64 s1, 0x7f800000, v35
                                        ; implicit-def: $vgpr35
	s_delay_alu instid0(VALU_DEP_1) | instskip(NEXT) | instid1(SALU_CYCLE_1)
	s_and_saveexec_b32 s49, s1
	s_xor_b32 s1, exec_lo, s49
; %bb.37:                               ;   in Loop: Header=BB377_13 Depth=1
	v_bfe_u32 v35, v9, 16, 1
	s_delay_alu instid0(VALU_DEP_1)
	v_add3_u32 v35, v9, v35, 0x7fff
                                        ; implicit-def: $vgpr9
; %bb.38:                               ;   in Loop: Header=BB377_13 Depth=1
	s_and_not1_saveexec_b32 s49, s1
; %bb.39:                               ;   in Loop: Header=BB377_13 Depth=1
	v_and_b32_e32 v35, 0xffff, v9
	v_or_b32_e32 v36, 0x10000, v9
	s_delay_alu instid0(VALU_DEP_2) | instskip(NEXT) | instid1(VALU_DEP_1)
	v_cmp_eq_u32_e64 s1, 0, v35
	v_cndmask_b32_e64 v35, v36, v9, s1
; %bb.40:                               ;   in Loop: Header=BB377_13 Depth=1
	s_or_b32 exec_lo, exec_lo, s49
	global_load_u16 v9, v[20:21], off offset:8
	s_mov_b32 s49, exec_lo
	s_waitcnt vmcnt(0)
	v_and_b32_e32 v36, 0xff, v9
	v_and_b32_e32 v37, 0xffff, v9
	v_mov_b32_e32 v9, 0
	s_delay_alu instid0(VALU_DEP_3)
	v_cmpx_ne_u16_e32 0, v36
	s_cbranch_execz .LBB377_48
; %bb.41:                               ;   in Loop: Header=BB377_13 Depth=1
	s_delay_alu instid0(VALU_DEP_3) | instskip(NEXT) | instid1(VALU_DEP_1)
	v_and_b32_e32 v9, 0xff, v37
	v_cmp_ne_u16_e64 s1, 0x80, v9
	v_bfrev_b32_e32 v9, 1
	s_delay_alu instid0(VALU_DEP_2)
	s_and_saveexec_b32 s50, s1
	s_cbranch_execz .LBB377_47
; %bb.42:                               ;   in Loop: Header=BB377_13 Depth=1
	v_and_b32_e32 v38, 0x7f, v37
	v_mov_b32_e32 v9, 0x7f800001
	s_mov_b32 s51, exec_lo
	s_delay_alu instid0(VALU_DEP_2)
	v_cmpx_ne_u32_e32 0x7f, v38
	s_cbranch_execz .LBB377_46
; %bb.43:                               ;   in Loop: Header=BB377_13 Depth=1
	v_and_b32_e32 v9, 7, v37
	v_lshrrev_b32_e32 v36, 3, v38
	s_mov_b32 s52, exec_lo
	v_cmpx_gt_u32_e32 8, v38
; %bb.44:                               ;   in Loop: Header=BB377_13 Depth=1
	s_delay_alu instid0(VALU_DEP_3) | instskip(NEXT) | instid1(VALU_DEP_1)
	v_clz_i32_u32_e32 v36, v9
	v_min_u32_e32 v36, 32, v36
	s_delay_alu instid0(VALU_DEP_1) | instskip(SKIP_1) | instid1(VALU_DEP_2)
	v_subrev_nc_u32_e32 v38, 28, v36
	v_sub_nc_u32_e32 v36, 29, v36
	v_lshlrev_b64 v[38:39], v38, v[9:10]
	s_delay_alu instid0(VALU_DEP_1)
	v_and_b32_e32 v9, 7, v38
; %bb.45:                               ;   in Loop: Header=BB377_13 Depth=1
	s_or_b32 exec_lo, exec_lo, s52
	v_lshlrev_b32_e32 v38, 24, v37
	s_delay_alu instid0(VALU_DEP_2) | instskip(SKIP_1) | instid1(VALU_DEP_3)
	v_lshlrev_b32_e32 v9, 20, v9
	v_lshl_add_u32 v36, v36, 23, 0x3c000000
	v_and_b32_e32 v38, 0x80000000, v38
	s_delay_alu instid0(VALU_DEP_1)
	v_or3_b32 v9, v9, v38, v36
.LBB377_46:                             ;   in Loop: Header=BB377_13 Depth=1
	s_or_b32 exec_lo, exec_lo, s51
.LBB377_47:                             ;   in Loop: Header=BB377_13 Depth=1
	s_delay_alu instid0(SALU_CYCLE_1)
	s_or_b32 exec_lo, exec_lo, s50
.LBB377_48:                             ;   in Loop: Header=BB377_13 Depth=1
	s_delay_alu instid0(SALU_CYCLE_1) | instskip(NEXT) | instid1(VALU_DEP_1)
	s_or_b32 exec_lo, exec_lo, s49
	v_mul_f32_e32 v9, s48, v9
	s_delay_alu instid0(VALU_DEP_1) | instskip(NEXT) | instid1(VALU_DEP_1)
	v_and_b32_e32 v36, 0x7f800000, v9
	v_cmp_ne_u32_e64 s1, 0x7f800000, v36
                                        ; implicit-def: $vgpr36
	s_delay_alu instid0(VALU_DEP_1) | instskip(NEXT) | instid1(SALU_CYCLE_1)
	s_and_saveexec_b32 s49, s1
	s_xor_b32 s1, exec_lo, s49
; %bb.49:                               ;   in Loop: Header=BB377_13 Depth=1
	v_bfe_u32 v36, v9, 16, 1
	s_delay_alu instid0(VALU_DEP_1)
	v_add3_u32 v36, v9, v36, 0x7fff
                                        ; implicit-def: $vgpr9
; %bb.50:                               ;   in Loop: Header=BB377_13 Depth=1
	s_and_not1_saveexec_b32 s49, s1
; %bb.51:                               ;   in Loop: Header=BB377_13 Depth=1
	v_and_b32_e32 v36, 0xffff, v9
	v_or_b32_e32 v38, 0x10000, v9
	s_delay_alu instid0(VALU_DEP_2) | instskip(NEXT) | instid1(VALU_DEP_1)
	v_cmp_eq_u32_e64 s1, 0, v36
	v_cndmask_b32_e64 v36, v38, v9, s1
; %bb.52:                               ;   in Loop: Header=BB377_13 Depth=1
	s_or_b32 exec_lo, exec_lo, s49
	v_lshrrev_b16 v38, 8, v37
	v_mov_b32_e32 v9, 0
	s_mov_b32 s49, exec_lo
	s_delay_alu instid0(VALU_DEP_2)
	v_cmpx_ne_u16_e32 0, v38
	s_cbranch_execz .LBB377_60
; %bb.53:                               ;   in Loop: Header=BB377_13 Depth=1
	v_bfrev_b32_e32 v9, 1
	s_mov_b32 s50, exec_lo
	v_cmpx_ne_u16_e32 0x80, v38
	s_cbranch_execz .LBB377_59
; %bb.54:                               ;   in Loop: Header=BB377_13 Depth=1
	v_and_b32_e32 v38, 0xffff, v38
	v_mov_b32_e32 v9, 0x7f800001
	s_mov_b32 s51, exec_lo
	s_delay_alu instid0(VALU_DEP_2) | instskip(NEXT) | instid1(VALU_DEP_1)
	v_and_b32_e32 v39, 0x7f, v38
	v_cmpx_ne_u32_e32 0x7f, v39
	s_cbranch_execz .LBB377_58
; %bb.55:                               ;   in Loop: Header=BB377_13 Depth=1
	v_and_b32_e32 v9, 7, v38
	v_lshrrev_b32_e32 v38, 3, v39
	s_mov_b32 s52, exec_lo
	v_cmpx_gt_u32_e32 8, v39
; %bb.56:                               ;   in Loop: Header=BB377_13 Depth=1
	s_delay_alu instid0(VALU_DEP_3) | instskip(NEXT) | instid1(VALU_DEP_1)
	v_clz_i32_u32_e32 v38, v9
	v_min_u32_e32 v38, 32, v38
	s_delay_alu instid0(VALU_DEP_1) | instskip(SKIP_1) | instid1(VALU_DEP_2)
	v_subrev_nc_u32_e32 v39, 28, v38
	v_sub_nc_u32_e32 v38, 29, v38
	v_lshlrev_b64 v[39:40], v39, v[9:10]
	s_delay_alu instid0(VALU_DEP_1)
	v_and_b32_e32 v9, 7, v39
; %bb.57:                               ;   in Loop: Header=BB377_13 Depth=1
	s_or_b32 exec_lo, exec_lo, s52
	v_lshlrev_b32_e32 v37, 16, v37
	s_delay_alu instid0(VALU_DEP_2) | instskip(SKIP_1) | instid1(VALU_DEP_3)
	v_lshlrev_b32_e32 v9, 20, v9
	v_lshl_add_u32 v38, v38, 23, 0x3c000000
	v_and_b32_e32 v37, 0x80000000, v37
	s_delay_alu instid0(VALU_DEP_1)
	v_or3_b32 v9, v9, v37, v38
.LBB377_58:                             ;   in Loop: Header=BB377_13 Depth=1
	s_or_b32 exec_lo, exec_lo, s51
.LBB377_59:                             ;   in Loop: Header=BB377_13 Depth=1
	s_delay_alu instid0(SALU_CYCLE_1)
	s_or_b32 exec_lo, exec_lo, s50
.LBB377_60:                             ;   in Loop: Header=BB377_13 Depth=1
	s_delay_alu instid0(SALU_CYCLE_1) | instskip(NEXT) | instid1(VALU_DEP_1)
	s_or_b32 exec_lo, exec_lo, s49
	v_mul_f32_e32 v9, s48, v9
	s_delay_alu instid0(VALU_DEP_1) | instskip(NEXT) | instid1(VALU_DEP_1)
	v_and_b32_e32 v37, 0x7f800000, v9
	v_cmp_ne_u32_e64 s1, 0x7f800000, v37
                                        ; implicit-def: $vgpr37
	s_delay_alu instid0(VALU_DEP_1) | instskip(NEXT) | instid1(SALU_CYCLE_1)
	s_and_saveexec_b32 s49, s1
	s_xor_b32 s1, exec_lo, s49
; %bb.61:                               ;   in Loop: Header=BB377_13 Depth=1
	v_bfe_u32 v37, v9, 16, 1
	s_delay_alu instid0(VALU_DEP_1)
	v_add3_u32 v37, v9, v37, 0x7fff
                                        ; implicit-def: $vgpr9
; %bb.62:                               ;   in Loop: Header=BB377_13 Depth=1
	s_and_not1_saveexec_b32 s49, s1
; %bb.63:                               ;   in Loop: Header=BB377_13 Depth=1
	v_and_b32_e32 v37, 0xffff, v9
	v_or_b32_e32 v38, 0x10000, v9
	s_delay_alu instid0(VALU_DEP_2) | instskip(NEXT) | instid1(VALU_DEP_1)
	v_cmp_eq_u32_e64 s1, 0, v37
	v_cndmask_b32_e64 v37, v38, v9, s1
; %bb.64:                               ;   in Loop: Header=BB377_13 Depth=1
	s_or_b32 exec_lo, exec_lo, s49
	global_load_u16 v9, v[20:21], off offset:128
	s_mov_b32 s49, exec_lo
	s_waitcnt vmcnt(0)
	v_and_b32_e32 v38, 0xff, v9
	v_and_b32_e32 v39, 0xffff, v9
	v_mov_b32_e32 v9, 0
	s_delay_alu instid0(VALU_DEP_3)
	v_cmpx_ne_u16_e32 0, v38
	s_cbranch_execz .LBB377_72
; %bb.65:                               ;   in Loop: Header=BB377_13 Depth=1
	s_delay_alu instid0(VALU_DEP_3) | instskip(NEXT) | instid1(VALU_DEP_1)
	v_and_b32_e32 v9, 0xff, v39
	v_cmp_ne_u16_e64 s1, 0x80, v9
	v_bfrev_b32_e32 v9, 1
	s_delay_alu instid0(VALU_DEP_2)
	s_and_saveexec_b32 s50, s1
	s_cbranch_execz .LBB377_71
; %bb.66:                               ;   in Loop: Header=BB377_13 Depth=1
	v_and_b32_e32 v40, 0x7f, v39
	v_mov_b32_e32 v9, 0x7f800001
	s_mov_b32 s51, exec_lo
	s_delay_alu instid0(VALU_DEP_2)
	v_cmpx_ne_u32_e32 0x7f, v40
	s_cbranch_execz .LBB377_70
; %bb.67:                               ;   in Loop: Header=BB377_13 Depth=1
	v_and_b32_e32 v9, 7, v39
	v_lshrrev_b32_e32 v38, 3, v40
	s_mov_b32 s52, exec_lo
	v_cmpx_gt_u32_e32 8, v40
; %bb.68:                               ;   in Loop: Header=BB377_13 Depth=1
	s_delay_alu instid0(VALU_DEP_3) | instskip(NEXT) | instid1(VALU_DEP_1)
	v_clz_i32_u32_e32 v38, v9
	v_min_u32_e32 v38, 32, v38
	s_delay_alu instid0(VALU_DEP_1) | instskip(SKIP_1) | instid1(VALU_DEP_2)
	v_subrev_nc_u32_e32 v40, 28, v38
	v_sub_nc_u32_e32 v38, 29, v38
	v_lshlrev_b64 v[40:41], v40, v[9:10]
	s_delay_alu instid0(VALU_DEP_1)
	v_and_b32_e32 v9, 7, v40
; %bb.69:                               ;   in Loop: Header=BB377_13 Depth=1
	s_or_b32 exec_lo, exec_lo, s52
	v_lshlrev_b32_e32 v40, 24, v39
	s_delay_alu instid0(VALU_DEP_2) | instskip(SKIP_1) | instid1(VALU_DEP_3)
	v_lshlrev_b32_e32 v9, 20, v9
	v_lshl_add_u32 v38, v38, 23, 0x3c000000
	v_and_b32_e32 v40, 0x80000000, v40
	s_delay_alu instid0(VALU_DEP_1)
	v_or3_b32 v9, v9, v40, v38
.LBB377_70:                             ;   in Loop: Header=BB377_13 Depth=1
	s_or_b32 exec_lo, exec_lo, s51
.LBB377_71:                             ;   in Loop: Header=BB377_13 Depth=1
	s_delay_alu instid0(SALU_CYCLE_1)
	s_or_b32 exec_lo, exec_lo, s50
.LBB377_72:                             ;   in Loop: Header=BB377_13 Depth=1
	s_delay_alu instid0(SALU_CYCLE_1) | instskip(NEXT) | instid1(VALU_DEP_1)
	s_or_b32 exec_lo, exec_lo, s49
	v_mul_f32_e32 v9, s48, v9
	s_delay_alu instid0(VALU_DEP_1) | instskip(NEXT) | instid1(VALU_DEP_1)
	v_and_b32_e32 v38, 0x7f800000, v9
	v_cmp_ne_u32_e64 s1, 0x7f800000, v38
                                        ; implicit-def: $vgpr38
	s_delay_alu instid0(VALU_DEP_1) | instskip(NEXT) | instid1(SALU_CYCLE_1)
	s_and_saveexec_b32 s49, s1
	s_xor_b32 s1, exec_lo, s49
; %bb.73:                               ;   in Loop: Header=BB377_13 Depth=1
	v_bfe_u32 v38, v9, 16, 1
	s_delay_alu instid0(VALU_DEP_1)
	v_add3_u32 v38, v9, v38, 0x7fff
                                        ; implicit-def: $vgpr9
; %bb.74:                               ;   in Loop: Header=BB377_13 Depth=1
	s_and_not1_saveexec_b32 s49, s1
; %bb.75:                               ;   in Loop: Header=BB377_13 Depth=1
	v_and_b32_e32 v38, 0xffff, v9
	v_or_b32_e32 v40, 0x10000, v9
	s_delay_alu instid0(VALU_DEP_2) | instskip(NEXT) | instid1(VALU_DEP_1)
	v_cmp_eq_u32_e64 s1, 0, v38
	v_cndmask_b32_e64 v38, v40, v9, s1
; %bb.76:                               ;   in Loop: Header=BB377_13 Depth=1
	s_or_b32 exec_lo, exec_lo, s49
	v_lshrrev_b16 v40, 8, v39
	v_mov_b32_e32 v9, 0
	s_mov_b32 s49, exec_lo
	s_delay_alu instid0(VALU_DEP_2)
	v_cmpx_ne_u16_e32 0, v40
	s_cbranch_execz .LBB377_84
; %bb.77:                               ;   in Loop: Header=BB377_13 Depth=1
	v_bfrev_b32_e32 v9, 1
	s_mov_b32 s50, exec_lo
	v_cmpx_ne_u16_e32 0x80, v40
	s_cbranch_execz .LBB377_83
; %bb.78:                               ;   in Loop: Header=BB377_13 Depth=1
	v_and_b32_e32 v40, 0xffff, v40
	v_mov_b32_e32 v9, 0x7f800001
	s_mov_b32 s51, exec_lo
	s_delay_alu instid0(VALU_DEP_2) | instskip(NEXT) | instid1(VALU_DEP_1)
	v_and_b32_e32 v41, 0x7f, v40
	v_cmpx_ne_u32_e32 0x7f, v41
	s_cbranch_execz .LBB377_82
; %bb.79:                               ;   in Loop: Header=BB377_13 Depth=1
	v_and_b32_e32 v9, 7, v40
	v_lshrrev_b32_e32 v40, 3, v41
	s_mov_b32 s52, exec_lo
	v_cmpx_gt_u32_e32 8, v41
; %bb.80:                               ;   in Loop: Header=BB377_13 Depth=1
	s_delay_alu instid0(VALU_DEP_3) | instskip(NEXT) | instid1(VALU_DEP_1)
	v_clz_i32_u32_e32 v40, v9
	v_min_u32_e32 v40, 32, v40
	s_delay_alu instid0(VALU_DEP_1) | instskip(SKIP_1) | instid1(VALU_DEP_2)
	v_subrev_nc_u32_e32 v41, 28, v40
	v_sub_nc_u32_e32 v40, 29, v40
	v_lshlrev_b64 v[41:42], v41, v[9:10]
	s_delay_alu instid0(VALU_DEP_1)
	v_and_b32_e32 v9, 7, v41
; %bb.81:                               ;   in Loop: Header=BB377_13 Depth=1
	s_or_b32 exec_lo, exec_lo, s52
	v_lshlrev_b32_e32 v39, 16, v39
	s_delay_alu instid0(VALU_DEP_2) | instskip(SKIP_1) | instid1(VALU_DEP_3)
	v_lshlrev_b32_e32 v9, 20, v9
	v_lshl_add_u32 v40, v40, 23, 0x3c000000
	v_and_b32_e32 v39, 0x80000000, v39
	s_delay_alu instid0(VALU_DEP_1)
	v_or3_b32 v9, v9, v39, v40
.LBB377_82:                             ;   in Loop: Header=BB377_13 Depth=1
	s_or_b32 exec_lo, exec_lo, s51
.LBB377_83:                             ;   in Loop: Header=BB377_13 Depth=1
	s_delay_alu instid0(SALU_CYCLE_1)
	s_or_b32 exec_lo, exec_lo, s50
.LBB377_84:                             ;   in Loop: Header=BB377_13 Depth=1
	s_delay_alu instid0(SALU_CYCLE_1) | instskip(NEXT) | instid1(VALU_DEP_1)
	s_or_b32 exec_lo, exec_lo, s49
	v_mul_f32_e32 v9, s48, v9
	s_delay_alu instid0(VALU_DEP_1) | instskip(NEXT) | instid1(VALU_DEP_1)
	v_and_b32_e32 v39, 0x7f800000, v9
	v_cmp_ne_u32_e64 s1, 0x7f800000, v39
                                        ; implicit-def: $vgpr39
	s_delay_alu instid0(VALU_DEP_1) | instskip(NEXT) | instid1(SALU_CYCLE_1)
	s_and_saveexec_b32 s49, s1
	s_xor_b32 s1, exec_lo, s49
; %bb.85:                               ;   in Loop: Header=BB377_13 Depth=1
	v_bfe_u32 v39, v9, 16, 1
	s_delay_alu instid0(VALU_DEP_1)
	v_add3_u32 v39, v9, v39, 0x7fff
                                        ; implicit-def: $vgpr9
; %bb.86:                               ;   in Loop: Header=BB377_13 Depth=1
	s_and_not1_saveexec_b32 s49, s1
; %bb.87:                               ;   in Loop: Header=BB377_13 Depth=1
	v_and_b32_e32 v39, 0xffff, v9
	v_or_b32_e32 v40, 0x10000, v9
	s_delay_alu instid0(VALU_DEP_2) | instskip(NEXT) | instid1(VALU_DEP_1)
	v_cmp_eq_u32_e64 s1, 0, v39
	v_cndmask_b32_e64 v39, v40, v9, s1
; %bb.88:                               ;   in Loop: Header=BB377_13 Depth=1
	s_or_b32 exec_lo, exec_lo, s49
	global_load_u16 v9, v[20:21], off offset:136
	s_mov_b32 s49, exec_lo
	s_waitcnt vmcnt(0)
	v_and_b32_e32 v40, 0xff, v9
	v_and_b32_e32 v41, 0xffff, v9
	v_mov_b32_e32 v9, 0
	s_delay_alu instid0(VALU_DEP_3)
	v_cmpx_ne_u16_e32 0, v40
	s_cbranch_execz .LBB377_96
; %bb.89:                               ;   in Loop: Header=BB377_13 Depth=1
	s_delay_alu instid0(VALU_DEP_3) | instskip(NEXT) | instid1(VALU_DEP_1)
	v_and_b32_e32 v9, 0xff, v41
	v_cmp_ne_u16_e64 s1, 0x80, v9
	v_bfrev_b32_e32 v9, 1
	s_delay_alu instid0(VALU_DEP_2)
	s_and_saveexec_b32 s50, s1
	s_cbranch_execz .LBB377_95
; %bb.90:                               ;   in Loop: Header=BB377_13 Depth=1
	v_and_b32_e32 v42, 0x7f, v41
	v_mov_b32_e32 v9, 0x7f800001
	s_mov_b32 s51, exec_lo
	s_delay_alu instid0(VALU_DEP_2)
	v_cmpx_ne_u32_e32 0x7f, v42
	s_cbranch_execz .LBB377_94
; %bb.91:                               ;   in Loop: Header=BB377_13 Depth=1
	v_and_b32_e32 v9, 7, v41
	v_lshrrev_b32_e32 v40, 3, v42
	s_mov_b32 s52, exec_lo
	v_cmpx_gt_u32_e32 8, v42
; %bb.92:                               ;   in Loop: Header=BB377_13 Depth=1
	s_delay_alu instid0(VALU_DEP_3) | instskip(NEXT) | instid1(VALU_DEP_1)
	v_clz_i32_u32_e32 v40, v9
	v_min_u32_e32 v40, 32, v40
	s_delay_alu instid0(VALU_DEP_1) | instskip(SKIP_1) | instid1(VALU_DEP_2)
	v_subrev_nc_u32_e32 v42, 28, v40
	v_sub_nc_u32_e32 v40, 29, v40
	v_lshlrev_b64 v[42:43], v42, v[9:10]
	s_delay_alu instid0(VALU_DEP_1)
	v_and_b32_e32 v9, 7, v42
; %bb.93:                               ;   in Loop: Header=BB377_13 Depth=1
	s_or_b32 exec_lo, exec_lo, s52
	v_lshlrev_b32_e32 v42, 24, v41
	s_delay_alu instid0(VALU_DEP_2) | instskip(SKIP_1) | instid1(VALU_DEP_3)
	v_lshlrev_b32_e32 v9, 20, v9
	v_lshl_add_u32 v40, v40, 23, 0x3c000000
	v_and_b32_e32 v42, 0x80000000, v42
	s_delay_alu instid0(VALU_DEP_1)
	v_or3_b32 v9, v9, v42, v40
.LBB377_94:                             ;   in Loop: Header=BB377_13 Depth=1
	s_or_b32 exec_lo, exec_lo, s51
.LBB377_95:                             ;   in Loop: Header=BB377_13 Depth=1
	s_delay_alu instid0(SALU_CYCLE_1)
	s_or_b32 exec_lo, exec_lo, s50
.LBB377_96:                             ;   in Loop: Header=BB377_13 Depth=1
	s_delay_alu instid0(SALU_CYCLE_1) | instskip(NEXT) | instid1(VALU_DEP_1)
	s_or_b32 exec_lo, exec_lo, s49
	v_mul_f32_e32 v9, s48, v9
	s_delay_alu instid0(VALU_DEP_1) | instskip(NEXT) | instid1(VALU_DEP_1)
	v_and_b32_e32 v40, 0x7f800000, v9
	v_cmp_ne_u32_e64 s1, 0x7f800000, v40
                                        ; implicit-def: $vgpr40
	s_delay_alu instid0(VALU_DEP_1) | instskip(NEXT) | instid1(SALU_CYCLE_1)
	s_and_saveexec_b32 s49, s1
	s_xor_b32 s1, exec_lo, s49
; %bb.97:                               ;   in Loop: Header=BB377_13 Depth=1
	v_bfe_u32 v40, v9, 16, 1
	s_delay_alu instid0(VALU_DEP_1)
	v_add3_u32 v40, v9, v40, 0x7fff
                                        ; implicit-def: $vgpr9
; %bb.98:                               ;   in Loop: Header=BB377_13 Depth=1
	s_and_not1_saveexec_b32 s49, s1
; %bb.99:                               ;   in Loop: Header=BB377_13 Depth=1
	v_and_b32_e32 v40, 0xffff, v9
	v_or_b32_e32 v42, 0x10000, v9
	s_delay_alu instid0(VALU_DEP_2) | instskip(NEXT) | instid1(VALU_DEP_1)
	v_cmp_eq_u32_e64 s1, 0, v40
	v_cndmask_b32_e64 v40, v42, v9, s1
; %bb.100:                              ;   in Loop: Header=BB377_13 Depth=1
	s_or_b32 exec_lo, exec_lo, s49
	v_lshrrev_b16 v42, 8, v41
	v_mov_b32_e32 v9, 0
	s_mov_b32 s49, exec_lo
	s_delay_alu instid0(VALU_DEP_2)
	v_cmpx_ne_u16_e32 0, v42
	s_cbranch_execz .LBB377_108
; %bb.101:                              ;   in Loop: Header=BB377_13 Depth=1
	v_bfrev_b32_e32 v9, 1
	s_mov_b32 s50, exec_lo
	v_cmpx_ne_u16_e32 0x80, v42
	s_cbranch_execz .LBB377_107
; %bb.102:                              ;   in Loop: Header=BB377_13 Depth=1
	v_and_b32_e32 v42, 0xffff, v42
	v_mov_b32_e32 v9, 0x7f800001
	s_mov_b32 s51, exec_lo
	s_delay_alu instid0(VALU_DEP_2) | instskip(NEXT) | instid1(VALU_DEP_1)
	v_and_b32_e32 v43, 0x7f, v42
	v_cmpx_ne_u32_e32 0x7f, v43
	s_cbranch_execz .LBB377_106
; %bb.103:                              ;   in Loop: Header=BB377_13 Depth=1
	v_and_b32_e32 v9, 7, v42
	v_lshrrev_b32_e32 v42, 3, v43
	s_mov_b32 s52, exec_lo
	v_cmpx_gt_u32_e32 8, v43
; %bb.104:                              ;   in Loop: Header=BB377_13 Depth=1
	s_delay_alu instid0(VALU_DEP_3) | instskip(NEXT) | instid1(VALU_DEP_1)
	v_clz_i32_u32_e32 v42, v9
	v_min_u32_e32 v42, 32, v42
	s_delay_alu instid0(VALU_DEP_1) | instskip(SKIP_1) | instid1(VALU_DEP_2)
	v_subrev_nc_u32_e32 v43, 28, v42
	v_sub_nc_u32_e32 v42, 29, v42
	v_lshlrev_b64 v[43:44], v43, v[9:10]
	s_delay_alu instid0(VALU_DEP_1)
	v_and_b32_e32 v9, 7, v43
; %bb.105:                              ;   in Loop: Header=BB377_13 Depth=1
	s_or_b32 exec_lo, exec_lo, s52
	v_lshlrev_b32_e32 v41, 16, v41
	s_delay_alu instid0(VALU_DEP_2) | instskip(SKIP_1) | instid1(VALU_DEP_3)
	v_lshlrev_b32_e32 v9, 20, v9
	v_lshl_add_u32 v42, v42, 23, 0x3c000000
	v_and_b32_e32 v41, 0x80000000, v41
	s_delay_alu instid0(VALU_DEP_1)
	v_or3_b32 v9, v9, v41, v42
.LBB377_106:                            ;   in Loop: Header=BB377_13 Depth=1
	s_or_b32 exec_lo, exec_lo, s51
.LBB377_107:                            ;   in Loop: Header=BB377_13 Depth=1
	s_delay_alu instid0(SALU_CYCLE_1)
	s_or_b32 exec_lo, exec_lo, s50
.LBB377_108:                            ;   in Loop: Header=BB377_13 Depth=1
	s_delay_alu instid0(SALU_CYCLE_1) | instskip(NEXT) | instid1(VALU_DEP_1)
	s_or_b32 exec_lo, exec_lo, s49
	v_mul_f32_e32 v9, s48, v9
	s_delay_alu instid0(VALU_DEP_1) | instskip(NEXT) | instid1(VALU_DEP_1)
	v_and_b32_e32 v41, 0x7f800000, v9
	v_cmp_ne_u32_e64 s1, 0x7f800000, v41
                                        ; implicit-def: $vgpr41
	s_delay_alu instid0(VALU_DEP_1) | instskip(NEXT) | instid1(SALU_CYCLE_1)
	s_and_saveexec_b32 s49, s1
	s_xor_b32 s1, exec_lo, s49
; %bb.109:                              ;   in Loop: Header=BB377_13 Depth=1
	v_bfe_u32 v41, v9, 16, 1
	s_delay_alu instid0(VALU_DEP_1)
	v_add3_u32 v41, v9, v41, 0x7fff
                                        ; implicit-def: $vgpr9
; %bb.110:                              ;   in Loop: Header=BB377_13 Depth=1
	s_and_not1_saveexec_b32 s49, s1
; %bb.111:                              ;   in Loop: Header=BB377_13 Depth=1
	v_and_b32_e32 v41, 0xffff, v9
	v_or_b32_e32 v42, 0x10000, v9
	s_delay_alu instid0(VALU_DEP_2) | instskip(NEXT) | instid1(VALU_DEP_1)
	v_cmp_eq_u32_e64 s1, 0, v41
	v_cndmask_b32_e64 v41, v42, v9, s1
; %bb.112:                              ;   in Loop: Header=BB377_13 Depth=1
	s_or_b32 exec_lo, exec_lo, s49
	global_load_u16 v9, v[20:21], off offset:256
	s_mov_b32 s49, exec_lo
	s_waitcnt vmcnt(0)
	v_and_b32_e32 v42, 0xff, v9
	v_and_b32_e32 v43, 0xffff, v9
	v_mov_b32_e32 v9, 0
	s_delay_alu instid0(VALU_DEP_3)
	v_cmpx_ne_u16_e32 0, v42
	s_cbranch_execz .LBB377_120
; %bb.113:                              ;   in Loop: Header=BB377_13 Depth=1
	s_delay_alu instid0(VALU_DEP_3) | instskip(NEXT) | instid1(VALU_DEP_1)
	v_and_b32_e32 v9, 0xff, v43
	v_cmp_ne_u16_e64 s1, 0x80, v9
	v_bfrev_b32_e32 v9, 1
	s_delay_alu instid0(VALU_DEP_2)
	s_and_saveexec_b32 s50, s1
	s_cbranch_execz .LBB377_119
; %bb.114:                              ;   in Loop: Header=BB377_13 Depth=1
	v_and_b32_e32 v44, 0x7f, v43
	v_mov_b32_e32 v9, 0x7f800001
	s_mov_b32 s51, exec_lo
	s_delay_alu instid0(VALU_DEP_2)
	v_cmpx_ne_u32_e32 0x7f, v44
	s_cbranch_execz .LBB377_118
; %bb.115:                              ;   in Loop: Header=BB377_13 Depth=1
	v_and_b32_e32 v9, 7, v43
	v_lshrrev_b32_e32 v42, 3, v44
	s_mov_b32 s52, exec_lo
	v_cmpx_gt_u32_e32 8, v44
; %bb.116:                              ;   in Loop: Header=BB377_13 Depth=1
	s_delay_alu instid0(VALU_DEP_3) | instskip(NEXT) | instid1(VALU_DEP_1)
	v_clz_i32_u32_e32 v42, v9
	v_min_u32_e32 v42, 32, v42
	s_delay_alu instid0(VALU_DEP_1) | instskip(SKIP_1) | instid1(VALU_DEP_2)
	v_subrev_nc_u32_e32 v44, 28, v42
	v_sub_nc_u32_e32 v42, 29, v42
	v_lshlrev_b64 v[44:45], v44, v[9:10]
	s_delay_alu instid0(VALU_DEP_1)
	v_and_b32_e32 v9, 7, v44
; %bb.117:                              ;   in Loop: Header=BB377_13 Depth=1
	s_or_b32 exec_lo, exec_lo, s52
	v_lshlrev_b32_e32 v44, 24, v43
	s_delay_alu instid0(VALU_DEP_2) | instskip(SKIP_1) | instid1(VALU_DEP_3)
	v_lshlrev_b32_e32 v9, 20, v9
	v_lshl_add_u32 v42, v42, 23, 0x3c000000
	v_and_b32_e32 v44, 0x80000000, v44
	s_delay_alu instid0(VALU_DEP_1)
	v_or3_b32 v9, v9, v44, v42
.LBB377_118:                            ;   in Loop: Header=BB377_13 Depth=1
	s_or_b32 exec_lo, exec_lo, s51
.LBB377_119:                            ;   in Loop: Header=BB377_13 Depth=1
	s_delay_alu instid0(SALU_CYCLE_1)
	s_or_b32 exec_lo, exec_lo, s50
.LBB377_120:                            ;   in Loop: Header=BB377_13 Depth=1
	s_delay_alu instid0(SALU_CYCLE_1) | instskip(NEXT) | instid1(VALU_DEP_1)
	s_or_b32 exec_lo, exec_lo, s49
	v_mul_f32_e32 v9, s48, v9
	s_delay_alu instid0(VALU_DEP_1) | instskip(NEXT) | instid1(VALU_DEP_1)
	v_and_b32_e32 v42, 0x7f800000, v9
	v_cmp_ne_u32_e64 s1, 0x7f800000, v42
                                        ; implicit-def: $vgpr42
	s_delay_alu instid0(VALU_DEP_1) | instskip(NEXT) | instid1(SALU_CYCLE_1)
	s_and_saveexec_b32 s49, s1
	s_xor_b32 s1, exec_lo, s49
; %bb.121:                              ;   in Loop: Header=BB377_13 Depth=1
	v_bfe_u32 v42, v9, 16, 1
	s_delay_alu instid0(VALU_DEP_1)
	v_add3_u32 v42, v9, v42, 0x7fff
                                        ; implicit-def: $vgpr9
; %bb.122:                              ;   in Loop: Header=BB377_13 Depth=1
	s_and_not1_saveexec_b32 s49, s1
; %bb.123:                              ;   in Loop: Header=BB377_13 Depth=1
	v_and_b32_e32 v42, 0xffff, v9
	v_or_b32_e32 v44, 0x10000, v9
	s_delay_alu instid0(VALU_DEP_2) | instskip(NEXT) | instid1(VALU_DEP_1)
	v_cmp_eq_u32_e64 s1, 0, v42
	v_cndmask_b32_e64 v42, v44, v9, s1
; %bb.124:                              ;   in Loop: Header=BB377_13 Depth=1
	s_or_b32 exec_lo, exec_lo, s49
	v_lshrrev_b16 v44, 8, v43
	v_mov_b32_e32 v9, 0
	s_mov_b32 s49, exec_lo
	s_delay_alu instid0(VALU_DEP_2)
	v_cmpx_ne_u16_e32 0, v44
	s_cbranch_execz .LBB377_132
; %bb.125:                              ;   in Loop: Header=BB377_13 Depth=1
	v_bfrev_b32_e32 v9, 1
	s_mov_b32 s50, exec_lo
	v_cmpx_ne_u16_e32 0x80, v44
	s_cbranch_execz .LBB377_131
; %bb.126:                              ;   in Loop: Header=BB377_13 Depth=1
	v_and_b32_e32 v44, 0xffff, v44
	v_mov_b32_e32 v9, 0x7f800001
	s_mov_b32 s51, exec_lo
	s_delay_alu instid0(VALU_DEP_2) | instskip(NEXT) | instid1(VALU_DEP_1)
	v_and_b32_e32 v45, 0x7f, v44
	v_cmpx_ne_u32_e32 0x7f, v45
	s_cbranch_execz .LBB377_130
; %bb.127:                              ;   in Loop: Header=BB377_13 Depth=1
	v_and_b32_e32 v9, 7, v44
	v_lshrrev_b32_e32 v44, 3, v45
	s_mov_b32 s52, exec_lo
	v_cmpx_gt_u32_e32 8, v45
; %bb.128:                              ;   in Loop: Header=BB377_13 Depth=1
	s_delay_alu instid0(VALU_DEP_3) | instskip(NEXT) | instid1(VALU_DEP_1)
	v_clz_i32_u32_e32 v44, v9
	v_min_u32_e32 v44, 32, v44
	s_delay_alu instid0(VALU_DEP_1) | instskip(SKIP_1) | instid1(VALU_DEP_2)
	v_subrev_nc_u32_e32 v45, 28, v44
	v_sub_nc_u32_e32 v44, 29, v44
	v_lshlrev_b64 v[45:46], v45, v[9:10]
	s_delay_alu instid0(VALU_DEP_1)
	v_and_b32_e32 v9, 7, v45
; %bb.129:                              ;   in Loop: Header=BB377_13 Depth=1
	s_or_b32 exec_lo, exec_lo, s52
	v_lshlrev_b32_e32 v43, 16, v43
	s_delay_alu instid0(VALU_DEP_2) | instskip(SKIP_1) | instid1(VALU_DEP_3)
	v_lshlrev_b32_e32 v9, 20, v9
	v_lshl_add_u32 v44, v44, 23, 0x3c000000
	v_and_b32_e32 v43, 0x80000000, v43
	s_delay_alu instid0(VALU_DEP_1)
	v_or3_b32 v9, v9, v43, v44
.LBB377_130:                            ;   in Loop: Header=BB377_13 Depth=1
	s_or_b32 exec_lo, exec_lo, s51
.LBB377_131:                            ;   in Loop: Header=BB377_13 Depth=1
	s_delay_alu instid0(SALU_CYCLE_1)
	s_or_b32 exec_lo, exec_lo, s50
.LBB377_132:                            ;   in Loop: Header=BB377_13 Depth=1
	s_delay_alu instid0(SALU_CYCLE_1) | instskip(NEXT) | instid1(VALU_DEP_1)
	s_or_b32 exec_lo, exec_lo, s49
	v_mul_f32_e32 v9, s48, v9
	s_delay_alu instid0(VALU_DEP_1) | instskip(NEXT) | instid1(VALU_DEP_1)
	v_and_b32_e32 v43, 0x7f800000, v9
	v_cmp_ne_u32_e64 s1, 0x7f800000, v43
                                        ; implicit-def: $vgpr43
	s_delay_alu instid0(VALU_DEP_1) | instskip(NEXT) | instid1(SALU_CYCLE_1)
	s_and_saveexec_b32 s49, s1
	s_xor_b32 s1, exec_lo, s49
; %bb.133:                              ;   in Loop: Header=BB377_13 Depth=1
	v_bfe_u32 v43, v9, 16, 1
	s_delay_alu instid0(VALU_DEP_1)
	v_add3_u32 v43, v9, v43, 0x7fff
                                        ; implicit-def: $vgpr9
; %bb.134:                              ;   in Loop: Header=BB377_13 Depth=1
	s_and_not1_saveexec_b32 s49, s1
; %bb.135:                              ;   in Loop: Header=BB377_13 Depth=1
	v_and_b32_e32 v43, 0xffff, v9
	v_or_b32_e32 v44, 0x10000, v9
	s_delay_alu instid0(VALU_DEP_2) | instskip(NEXT) | instid1(VALU_DEP_1)
	v_cmp_eq_u32_e64 s1, 0, v43
	v_cndmask_b32_e64 v43, v44, v9, s1
; %bb.136:                              ;   in Loop: Header=BB377_13 Depth=1
	s_or_b32 exec_lo, exec_lo, s49
	global_load_u16 v9, v[20:21], off offset:264
	s_mov_b32 s49, exec_lo
	s_waitcnt vmcnt(0)
	v_and_b32_e32 v44, 0xff, v9
	v_and_b32_e32 v45, 0xffff, v9
	v_mov_b32_e32 v9, 0
	s_delay_alu instid0(VALU_DEP_3)
	v_cmpx_ne_u16_e32 0, v44
	s_cbranch_execz .LBB377_144
; %bb.137:                              ;   in Loop: Header=BB377_13 Depth=1
	s_delay_alu instid0(VALU_DEP_3) | instskip(NEXT) | instid1(VALU_DEP_1)
	v_and_b32_e32 v9, 0xff, v45
	v_cmp_ne_u16_e64 s1, 0x80, v9
	v_bfrev_b32_e32 v9, 1
	s_delay_alu instid0(VALU_DEP_2)
	s_and_saveexec_b32 s50, s1
	s_cbranch_execz .LBB377_143
; %bb.138:                              ;   in Loop: Header=BB377_13 Depth=1
	v_and_b32_e32 v46, 0x7f, v45
	v_mov_b32_e32 v9, 0x7f800001
	s_mov_b32 s51, exec_lo
	s_delay_alu instid0(VALU_DEP_2)
	v_cmpx_ne_u32_e32 0x7f, v46
	s_cbranch_execz .LBB377_142
; %bb.139:                              ;   in Loop: Header=BB377_13 Depth=1
	v_and_b32_e32 v9, 7, v45
	v_lshrrev_b32_e32 v44, 3, v46
	s_mov_b32 s52, exec_lo
	v_cmpx_gt_u32_e32 8, v46
; %bb.140:                              ;   in Loop: Header=BB377_13 Depth=1
	s_delay_alu instid0(VALU_DEP_3) | instskip(NEXT) | instid1(VALU_DEP_1)
	v_clz_i32_u32_e32 v44, v9
	v_min_u32_e32 v44, 32, v44
	s_delay_alu instid0(VALU_DEP_1) | instskip(SKIP_1) | instid1(VALU_DEP_2)
	v_subrev_nc_u32_e32 v46, 28, v44
	v_sub_nc_u32_e32 v44, 29, v44
	v_lshlrev_b64 v[46:47], v46, v[9:10]
	s_delay_alu instid0(VALU_DEP_1)
	v_and_b32_e32 v9, 7, v46
; %bb.141:                              ;   in Loop: Header=BB377_13 Depth=1
	s_or_b32 exec_lo, exec_lo, s52
	v_lshlrev_b32_e32 v46, 24, v45
	s_delay_alu instid0(VALU_DEP_2) | instskip(SKIP_1) | instid1(VALU_DEP_3)
	v_lshlrev_b32_e32 v9, 20, v9
	v_lshl_add_u32 v44, v44, 23, 0x3c000000
	v_and_b32_e32 v46, 0x80000000, v46
	s_delay_alu instid0(VALU_DEP_1)
	v_or3_b32 v9, v9, v46, v44
.LBB377_142:                            ;   in Loop: Header=BB377_13 Depth=1
	s_or_b32 exec_lo, exec_lo, s51
.LBB377_143:                            ;   in Loop: Header=BB377_13 Depth=1
	s_delay_alu instid0(SALU_CYCLE_1)
	s_or_b32 exec_lo, exec_lo, s50
.LBB377_144:                            ;   in Loop: Header=BB377_13 Depth=1
	s_delay_alu instid0(SALU_CYCLE_1) | instskip(NEXT) | instid1(VALU_DEP_1)
	s_or_b32 exec_lo, exec_lo, s49
	v_mul_f32_e32 v9, s48, v9
	s_delay_alu instid0(VALU_DEP_1) | instskip(NEXT) | instid1(VALU_DEP_1)
	v_and_b32_e32 v44, 0x7f800000, v9
	v_cmp_ne_u32_e64 s1, 0x7f800000, v44
                                        ; implicit-def: $vgpr44
	s_delay_alu instid0(VALU_DEP_1) | instskip(NEXT) | instid1(SALU_CYCLE_1)
	s_and_saveexec_b32 s49, s1
	s_xor_b32 s1, exec_lo, s49
; %bb.145:                              ;   in Loop: Header=BB377_13 Depth=1
	v_bfe_u32 v44, v9, 16, 1
	s_delay_alu instid0(VALU_DEP_1)
	v_add3_u32 v44, v9, v44, 0x7fff
                                        ; implicit-def: $vgpr9
; %bb.146:                              ;   in Loop: Header=BB377_13 Depth=1
	s_and_not1_saveexec_b32 s49, s1
; %bb.147:                              ;   in Loop: Header=BB377_13 Depth=1
	v_and_b32_e32 v44, 0xffff, v9
	v_or_b32_e32 v46, 0x10000, v9
	s_delay_alu instid0(VALU_DEP_2) | instskip(NEXT) | instid1(VALU_DEP_1)
	v_cmp_eq_u32_e64 s1, 0, v44
	v_cndmask_b32_e64 v44, v46, v9, s1
; %bb.148:                              ;   in Loop: Header=BB377_13 Depth=1
	s_or_b32 exec_lo, exec_lo, s49
	v_lshrrev_b16 v46, 8, v45
	v_mov_b32_e32 v9, 0
	s_mov_b32 s49, exec_lo
	s_delay_alu instid0(VALU_DEP_2)
	v_cmpx_ne_u16_e32 0, v46
	s_cbranch_execz .LBB377_156
; %bb.149:                              ;   in Loop: Header=BB377_13 Depth=1
	v_bfrev_b32_e32 v9, 1
	s_mov_b32 s50, exec_lo
	v_cmpx_ne_u16_e32 0x80, v46
	s_cbranch_execz .LBB377_155
; %bb.150:                              ;   in Loop: Header=BB377_13 Depth=1
	v_and_b32_e32 v46, 0xffff, v46
	v_mov_b32_e32 v9, 0x7f800001
	s_mov_b32 s51, exec_lo
	s_delay_alu instid0(VALU_DEP_2) | instskip(NEXT) | instid1(VALU_DEP_1)
	v_and_b32_e32 v47, 0x7f, v46
	v_cmpx_ne_u32_e32 0x7f, v47
	s_cbranch_execz .LBB377_154
; %bb.151:                              ;   in Loop: Header=BB377_13 Depth=1
	v_and_b32_e32 v9, 7, v46
	v_lshrrev_b32_e32 v46, 3, v47
	s_mov_b32 s52, exec_lo
	v_cmpx_gt_u32_e32 8, v47
; %bb.152:                              ;   in Loop: Header=BB377_13 Depth=1
	s_delay_alu instid0(VALU_DEP_3) | instskip(NEXT) | instid1(VALU_DEP_1)
	v_clz_i32_u32_e32 v46, v9
	v_min_u32_e32 v46, 32, v46
	s_delay_alu instid0(VALU_DEP_1) | instskip(SKIP_1) | instid1(VALU_DEP_2)
	v_subrev_nc_u32_e32 v47, 28, v46
	v_sub_nc_u32_e32 v46, 29, v46
	v_lshlrev_b64 v[47:48], v47, v[9:10]
	s_delay_alu instid0(VALU_DEP_1)
	v_and_b32_e32 v9, 7, v47
; %bb.153:                              ;   in Loop: Header=BB377_13 Depth=1
	s_or_b32 exec_lo, exec_lo, s52
	v_lshlrev_b32_e32 v45, 16, v45
	s_delay_alu instid0(VALU_DEP_2) | instskip(SKIP_1) | instid1(VALU_DEP_3)
	v_lshlrev_b32_e32 v9, 20, v9
	v_lshl_add_u32 v46, v46, 23, 0x3c000000
	v_and_b32_e32 v45, 0x80000000, v45
	s_delay_alu instid0(VALU_DEP_1)
	v_or3_b32 v9, v9, v45, v46
.LBB377_154:                            ;   in Loop: Header=BB377_13 Depth=1
	s_or_b32 exec_lo, exec_lo, s51
.LBB377_155:                            ;   in Loop: Header=BB377_13 Depth=1
	s_delay_alu instid0(SALU_CYCLE_1)
	s_or_b32 exec_lo, exec_lo, s50
.LBB377_156:                            ;   in Loop: Header=BB377_13 Depth=1
	s_delay_alu instid0(SALU_CYCLE_1) | instskip(NEXT) | instid1(VALU_DEP_1)
	s_or_b32 exec_lo, exec_lo, s49
	v_mul_f32_e32 v9, s48, v9
	s_delay_alu instid0(VALU_DEP_1) | instskip(NEXT) | instid1(VALU_DEP_1)
	v_and_b32_e32 v45, 0x7f800000, v9
	v_cmp_ne_u32_e64 s1, 0x7f800000, v45
                                        ; implicit-def: $vgpr45
	s_delay_alu instid0(VALU_DEP_1) | instskip(NEXT) | instid1(SALU_CYCLE_1)
	s_and_saveexec_b32 s49, s1
	s_xor_b32 s1, exec_lo, s49
; %bb.157:                              ;   in Loop: Header=BB377_13 Depth=1
	v_bfe_u32 v45, v9, 16, 1
	s_delay_alu instid0(VALU_DEP_1)
	v_add3_u32 v45, v9, v45, 0x7fff
                                        ; implicit-def: $vgpr9
; %bb.158:                              ;   in Loop: Header=BB377_13 Depth=1
	s_and_not1_saveexec_b32 s49, s1
; %bb.159:                              ;   in Loop: Header=BB377_13 Depth=1
	v_and_b32_e32 v45, 0xffff, v9
	v_or_b32_e32 v46, 0x10000, v9
	s_delay_alu instid0(VALU_DEP_2) | instskip(NEXT) | instid1(VALU_DEP_1)
	v_cmp_eq_u32_e64 s1, 0, v45
	v_cndmask_b32_e64 v45, v46, v9, s1
; %bb.160:                              ;   in Loop: Header=BB377_13 Depth=1
	s_or_b32 exec_lo, exec_lo, s49
	global_load_u16 v9, v[20:21], off offset:384
	s_mov_b32 s49, exec_lo
	s_waitcnt vmcnt(0)
	v_and_b32_e32 v46, 0xff, v9
	v_and_b32_e32 v47, 0xffff, v9
	v_mov_b32_e32 v9, 0
	s_delay_alu instid0(VALU_DEP_3)
	v_cmpx_ne_u16_e32 0, v46
	s_cbranch_execz .LBB377_168
; %bb.161:                              ;   in Loop: Header=BB377_13 Depth=1
	s_delay_alu instid0(VALU_DEP_3) | instskip(NEXT) | instid1(VALU_DEP_1)
	v_and_b32_e32 v9, 0xff, v47
	v_cmp_ne_u16_e64 s1, 0x80, v9
	v_bfrev_b32_e32 v9, 1
	s_delay_alu instid0(VALU_DEP_2)
	s_and_saveexec_b32 s50, s1
	s_cbranch_execz .LBB377_167
; %bb.162:                              ;   in Loop: Header=BB377_13 Depth=1
	v_and_b32_e32 v48, 0x7f, v47
	v_mov_b32_e32 v9, 0x7f800001
	s_mov_b32 s51, exec_lo
	s_delay_alu instid0(VALU_DEP_2)
	v_cmpx_ne_u32_e32 0x7f, v48
	s_cbranch_execz .LBB377_166
; %bb.163:                              ;   in Loop: Header=BB377_13 Depth=1
	v_and_b32_e32 v9, 7, v47
	v_lshrrev_b32_e32 v46, 3, v48
	s_mov_b32 s52, exec_lo
	v_cmpx_gt_u32_e32 8, v48
; %bb.164:                              ;   in Loop: Header=BB377_13 Depth=1
	s_delay_alu instid0(VALU_DEP_3) | instskip(NEXT) | instid1(VALU_DEP_1)
	v_clz_i32_u32_e32 v46, v9
	v_min_u32_e32 v46, 32, v46
	s_delay_alu instid0(VALU_DEP_1) | instskip(SKIP_1) | instid1(VALU_DEP_2)
	v_subrev_nc_u32_e32 v48, 28, v46
	v_sub_nc_u32_e32 v46, 29, v46
	v_lshlrev_b64 v[48:49], v48, v[9:10]
	s_delay_alu instid0(VALU_DEP_1)
	v_and_b32_e32 v9, 7, v48
; %bb.165:                              ;   in Loop: Header=BB377_13 Depth=1
	s_or_b32 exec_lo, exec_lo, s52
	v_lshlrev_b32_e32 v48, 24, v47
	s_delay_alu instid0(VALU_DEP_2) | instskip(SKIP_1) | instid1(VALU_DEP_3)
	v_lshlrev_b32_e32 v9, 20, v9
	v_lshl_add_u32 v46, v46, 23, 0x3c000000
	v_and_b32_e32 v48, 0x80000000, v48
	s_delay_alu instid0(VALU_DEP_1)
	v_or3_b32 v9, v9, v48, v46
.LBB377_166:                            ;   in Loop: Header=BB377_13 Depth=1
	s_or_b32 exec_lo, exec_lo, s51
.LBB377_167:                            ;   in Loop: Header=BB377_13 Depth=1
	s_delay_alu instid0(SALU_CYCLE_1)
	s_or_b32 exec_lo, exec_lo, s50
.LBB377_168:                            ;   in Loop: Header=BB377_13 Depth=1
	s_delay_alu instid0(SALU_CYCLE_1) | instskip(NEXT) | instid1(VALU_DEP_1)
	s_or_b32 exec_lo, exec_lo, s49
	v_mul_f32_e32 v9, s48, v9
	s_delay_alu instid0(VALU_DEP_1) | instskip(NEXT) | instid1(VALU_DEP_1)
	v_and_b32_e32 v46, 0x7f800000, v9
	v_cmp_ne_u32_e64 s1, 0x7f800000, v46
                                        ; implicit-def: $vgpr46
	s_delay_alu instid0(VALU_DEP_1) | instskip(NEXT) | instid1(SALU_CYCLE_1)
	s_and_saveexec_b32 s49, s1
	s_xor_b32 s1, exec_lo, s49
; %bb.169:                              ;   in Loop: Header=BB377_13 Depth=1
	v_bfe_u32 v46, v9, 16, 1
	s_delay_alu instid0(VALU_DEP_1)
	v_add3_u32 v46, v9, v46, 0x7fff
                                        ; implicit-def: $vgpr9
; %bb.170:                              ;   in Loop: Header=BB377_13 Depth=1
	s_and_not1_saveexec_b32 s49, s1
; %bb.171:                              ;   in Loop: Header=BB377_13 Depth=1
	v_and_b32_e32 v46, 0xffff, v9
	v_or_b32_e32 v48, 0x10000, v9
	s_delay_alu instid0(VALU_DEP_2) | instskip(NEXT) | instid1(VALU_DEP_1)
	v_cmp_eq_u32_e64 s1, 0, v46
	v_cndmask_b32_e64 v46, v48, v9, s1
; %bb.172:                              ;   in Loop: Header=BB377_13 Depth=1
	s_or_b32 exec_lo, exec_lo, s49
	v_lshrrev_b16 v48, 8, v47
	v_mov_b32_e32 v9, 0
	s_mov_b32 s49, exec_lo
	s_delay_alu instid0(VALU_DEP_2)
	v_cmpx_ne_u16_e32 0, v48
	s_cbranch_execz .LBB377_180
; %bb.173:                              ;   in Loop: Header=BB377_13 Depth=1
	v_bfrev_b32_e32 v9, 1
	s_mov_b32 s50, exec_lo
	v_cmpx_ne_u16_e32 0x80, v48
	s_cbranch_execz .LBB377_179
; %bb.174:                              ;   in Loop: Header=BB377_13 Depth=1
	v_and_b32_e32 v48, 0xffff, v48
	v_mov_b32_e32 v9, 0x7f800001
	s_mov_b32 s51, exec_lo
	s_delay_alu instid0(VALU_DEP_2) | instskip(NEXT) | instid1(VALU_DEP_1)
	v_and_b32_e32 v49, 0x7f, v48
	v_cmpx_ne_u32_e32 0x7f, v49
	s_cbranch_execz .LBB377_178
; %bb.175:                              ;   in Loop: Header=BB377_13 Depth=1
	v_and_b32_e32 v9, 7, v48
	v_lshrrev_b32_e32 v48, 3, v49
	s_mov_b32 s52, exec_lo
	v_cmpx_gt_u32_e32 8, v49
; %bb.176:                              ;   in Loop: Header=BB377_13 Depth=1
	s_delay_alu instid0(VALU_DEP_3) | instskip(NEXT) | instid1(VALU_DEP_1)
	v_clz_i32_u32_e32 v48, v9
	v_min_u32_e32 v48, 32, v48
	s_delay_alu instid0(VALU_DEP_1) | instskip(SKIP_1) | instid1(VALU_DEP_2)
	v_subrev_nc_u32_e32 v49, 28, v48
	v_sub_nc_u32_e32 v48, 29, v48
	v_lshlrev_b64 v[49:50], v49, v[9:10]
	s_delay_alu instid0(VALU_DEP_1)
	v_and_b32_e32 v9, 7, v49
; %bb.177:                              ;   in Loop: Header=BB377_13 Depth=1
	s_or_b32 exec_lo, exec_lo, s52
	v_lshlrev_b32_e32 v47, 16, v47
	s_delay_alu instid0(VALU_DEP_2) | instskip(SKIP_1) | instid1(VALU_DEP_3)
	v_lshlrev_b32_e32 v9, 20, v9
	v_lshl_add_u32 v48, v48, 23, 0x3c000000
	v_and_b32_e32 v47, 0x80000000, v47
	s_delay_alu instid0(VALU_DEP_1)
	v_or3_b32 v9, v9, v47, v48
.LBB377_178:                            ;   in Loop: Header=BB377_13 Depth=1
	s_or_b32 exec_lo, exec_lo, s51
.LBB377_179:                            ;   in Loop: Header=BB377_13 Depth=1
	s_delay_alu instid0(SALU_CYCLE_1)
	s_or_b32 exec_lo, exec_lo, s50
.LBB377_180:                            ;   in Loop: Header=BB377_13 Depth=1
	s_delay_alu instid0(SALU_CYCLE_1) | instskip(NEXT) | instid1(VALU_DEP_1)
	s_or_b32 exec_lo, exec_lo, s49
	v_mul_f32_e32 v9, s48, v9
	s_delay_alu instid0(VALU_DEP_1) | instskip(NEXT) | instid1(VALU_DEP_1)
	v_and_b32_e32 v47, 0x7f800000, v9
	v_cmp_ne_u32_e64 s1, 0x7f800000, v47
                                        ; implicit-def: $vgpr47
	s_delay_alu instid0(VALU_DEP_1) | instskip(NEXT) | instid1(SALU_CYCLE_1)
	s_and_saveexec_b32 s49, s1
	s_xor_b32 s1, exec_lo, s49
; %bb.181:                              ;   in Loop: Header=BB377_13 Depth=1
	v_bfe_u32 v47, v9, 16, 1
	s_delay_alu instid0(VALU_DEP_1)
	v_add3_u32 v47, v9, v47, 0x7fff
                                        ; implicit-def: $vgpr9
; %bb.182:                              ;   in Loop: Header=BB377_13 Depth=1
	s_and_not1_saveexec_b32 s49, s1
; %bb.183:                              ;   in Loop: Header=BB377_13 Depth=1
	v_and_b32_e32 v47, 0xffff, v9
	v_or_b32_e32 v48, 0x10000, v9
	s_delay_alu instid0(VALU_DEP_2) | instskip(NEXT) | instid1(VALU_DEP_1)
	v_cmp_eq_u32_e64 s1, 0, v47
	v_cndmask_b32_e64 v47, v48, v9, s1
; %bb.184:                              ;   in Loop: Header=BB377_13 Depth=1
	s_or_b32 exec_lo, exec_lo, s49
	global_load_u16 v9, v[20:21], off offset:392
	s_mov_b32 s49, exec_lo
	s_waitcnt vmcnt(0)
	v_and_b32_e32 v48, 0xff, v9
	v_and_b32_e32 v49, 0xffff, v9
	v_mov_b32_e32 v9, 0
	s_delay_alu instid0(VALU_DEP_3)
	v_cmpx_ne_u16_e32 0, v48
	s_cbranch_execz .LBB377_192
; %bb.185:                              ;   in Loop: Header=BB377_13 Depth=1
	s_delay_alu instid0(VALU_DEP_3) | instskip(NEXT) | instid1(VALU_DEP_1)
	v_and_b32_e32 v9, 0xff, v49
	v_cmp_ne_u16_e64 s1, 0x80, v9
	v_bfrev_b32_e32 v9, 1
	s_delay_alu instid0(VALU_DEP_2)
	s_and_saveexec_b32 s50, s1
	s_cbranch_execz .LBB377_191
; %bb.186:                              ;   in Loop: Header=BB377_13 Depth=1
	v_and_b32_e32 v50, 0x7f, v49
	v_mov_b32_e32 v9, 0x7f800001
	s_mov_b32 s51, exec_lo
	s_delay_alu instid0(VALU_DEP_2)
	v_cmpx_ne_u32_e32 0x7f, v50
	s_cbranch_execz .LBB377_190
; %bb.187:                              ;   in Loop: Header=BB377_13 Depth=1
	v_and_b32_e32 v9, 7, v49
	v_lshrrev_b32_e32 v48, 3, v50
	s_mov_b32 s52, exec_lo
	v_cmpx_gt_u32_e32 8, v50
; %bb.188:                              ;   in Loop: Header=BB377_13 Depth=1
	s_delay_alu instid0(VALU_DEP_3) | instskip(NEXT) | instid1(VALU_DEP_1)
	v_clz_i32_u32_e32 v48, v9
	v_min_u32_e32 v48, 32, v48
	s_delay_alu instid0(VALU_DEP_1) | instskip(SKIP_1) | instid1(VALU_DEP_2)
	v_subrev_nc_u32_e32 v50, 28, v48
	v_sub_nc_u32_e32 v48, 29, v48
	v_lshlrev_b64 v[50:51], v50, v[9:10]
	s_delay_alu instid0(VALU_DEP_1)
	v_and_b32_e32 v9, 7, v50
; %bb.189:                              ;   in Loop: Header=BB377_13 Depth=1
	s_or_b32 exec_lo, exec_lo, s52
	v_lshlrev_b32_e32 v50, 24, v49
	s_delay_alu instid0(VALU_DEP_2) | instskip(SKIP_1) | instid1(VALU_DEP_3)
	v_lshlrev_b32_e32 v9, 20, v9
	v_lshl_add_u32 v48, v48, 23, 0x3c000000
	v_and_b32_e32 v50, 0x80000000, v50
	s_delay_alu instid0(VALU_DEP_1)
	v_or3_b32 v9, v9, v50, v48
.LBB377_190:                            ;   in Loop: Header=BB377_13 Depth=1
	s_or_b32 exec_lo, exec_lo, s51
.LBB377_191:                            ;   in Loop: Header=BB377_13 Depth=1
	s_delay_alu instid0(SALU_CYCLE_1)
	s_or_b32 exec_lo, exec_lo, s50
.LBB377_192:                            ;   in Loop: Header=BB377_13 Depth=1
	s_delay_alu instid0(SALU_CYCLE_1) | instskip(NEXT) | instid1(VALU_DEP_1)
	s_or_b32 exec_lo, exec_lo, s49
	v_mul_f32_e32 v9, s48, v9
	s_delay_alu instid0(VALU_DEP_1) | instskip(NEXT) | instid1(VALU_DEP_1)
	v_and_b32_e32 v48, 0x7f800000, v9
	v_cmp_ne_u32_e64 s1, 0x7f800000, v48
                                        ; implicit-def: $vgpr48
	s_delay_alu instid0(VALU_DEP_1) | instskip(NEXT) | instid1(SALU_CYCLE_1)
	s_and_saveexec_b32 s49, s1
	s_xor_b32 s1, exec_lo, s49
; %bb.193:                              ;   in Loop: Header=BB377_13 Depth=1
	v_bfe_u32 v48, v9, 16, 1
	s_delay_alu instid0(VALU_DEP_1)
	v_add3_u32 v48, v9, v48, 0x7fff
                                        ; implicit-def: $vgpr9
; %bb.194:                              ;   in Loop: Header=BB377_13 Depth=1
	s_and_not1_saveexec_b32 s49, s1
; %bb.195:                              ;   in Loop: Header=BB377_13 Depth=1
	v_and_b32_e32 v48, 0xffff, v9
	v_or_b32_e32 v50, 0x10000, v9
	s_delay_alu instid0(VALU_DEP_2) | instskip(NEXT) | instid1(VALU_DEP_1)
	v_cmp_eq_u32_e64 s1, 0, v48
	v_cndmask_b32_e64 v48, v50, v9, s1
; %bb.196:                              ;   in Loop: Header=BB377_13 Depth=1
	s_or_b32 exec_lo, exec_lo, s49
	v_lshrrev_b16 v50, 8, v49
	v_mov_b32_e32 v9, 0
	s_mov_b32 s49, exec_lo
	s_delay_alu instid0(VALU_DEP_2)
	v_cmpx_ne_u16_e32 0, v50
	s_cbranch_execz .LBB377_204
; %bb.197:                              ;   in Loop: Header=BB377_13 Depth=1
	v_bfrev_b32_e32 v9, 1
	s_mov_b32 s50, exec_lo
	v_cmpx_ne_u16_e32 0x80, v50
	s_cbranch_execz .LBB377_203
; %bb.198:                              ;   in Loop: Header=BB377_13 Depth=1
	v_and_b32_e32 v50, 0xffff, v50
	v_mov_b32_e32 v9, 0x7f800001
	s_mov_b32 s51, exec_lo
	s_delay_alu instid0(VALU_DEP_2) | instskip(NEXT) | instid1(VALU_DEP_1)
	v_and_b32_e32 v51, 0x7f, v50
	v_cmpx_ne_u32_e32 0x7f, v51
	s_cbranch_execz .LBB377_202
; %bb.199:                              ;   in Loop: Header=BB377_13 Depth=1
	v_and_b32_e32 v9, 7, v50
	v_lshrrev_b32_e32 v50, 3, v51
	s_mov_b32 s52, exec_lo
	v_cmpx_gt_u32_e32 8, v51
; %bb.200:                              ;   in Loop: Header=BB377_13 Depth=1
	s_delay_alu instid0(VALU_DEP_3) | instskip(NEXT) | instid1(VALU_DEP_1)
	v_clz_i32_u32_e32 v50, v9
	v_min_u32_e32 v50, 32, v50
	s_delay_alu instid0(VALU_DEP_1) | instskip(SKIP_1) | instid1(VALU_DEP_2)
	v_subrev_nc_u32_e32 v51, 28, v50
	v_sub_nc_u32_e32 v50, 29, v50
	v_lshlrev_b64 v[51:52], v51, v[9:10]
	s_delay_alu instid0(VALU_DEP_1)
	v_and_b32_e32 v9, 7, v51
; %bb.201:                              ;   in Loop: Header=BB377_13 Depth=1
	s_or_b32 exec_lo, exec_lo, s52
	v_lshlrev_b32_e32 v49, 16, v49
	s_delay_alu instid0(VALU_DEP_2) | instskip(SKIP_1) | instid1(VALU_DEP_3)
	v_lshlrev_b32_e32 v9, 20, v9
	v_lshl_add_u32 v50, v50, 23, 0x3c000000
	v_and_b32_e32 v49, 0x80000000, v49
	s_delay_alu instid0(VALU_DEP_1)
	v_or3_b32 v9, v9, v49, v50
.LBB377_202:                            ;   in Loop: Header=BB377_13 Depth=1
	s_or_b32 exec_lo, exec_lo, s51
.LBB377_203:                            ;   in Loop: Header=BB377_13 Depth=1
	s_delay_alu instid0(SALU_CYCLE_1)
	s_or_b32 exec_lo, exec_lo, s50
.LBB377_204:                            ;   in Loop: Header=BB377_13 Depth=1
	s_delay_alu instid0(SALU_CYCLE_1) | instskip(NEXT) | instid1(VALU_DEP_1)
	s_or_b32 exec_lo, exec_lo, s49
	v_mul_f32_e32 v9, s48, v9
	s_delay_alu instid0(VALU_DEP_1) | instskip(NEXT) | instid1(VALU_DEP_1)
	v_and_b32_e32 v49, 0x7f800000, v9
	v_cmp_ne_u32_e64 s1, 0x7f800000, v49
                                        ; implicit-def: $vgpr49
	s_delay_alu instid0(VALU_DEP_1) | instskip(NEXT) | instid1(SALU_CYCLE_1)
	s_and_saveexec_b32 s49, s1
	s_xor_b32 s1, exec_lo, s49
; %bb.205:                              ;   in Loop: Header=BB377_13 Depth=1
	v_bfe_u32 v49, v9, 16, 1
	s_delay_alu instid0(VALU_DEP_1)
	v_add3_u32 v49, v9, v49, 0x7fff
                                        ; implicit-def: $vgpr9
; %bb.206:                              ;   in Loop: Header=BB377_13 Depth=1
	s_and_not1_saveexec_b32 s49, s1
; %bb.207:                              ;   in Loop: Header=BB377_13 Depth=1
	v_and_b32_e32 v49, 0xffff, v9
	v_or_b32_e32 v50, 0x10000, v9
	s_delay_alu instid0(VALU_DEP_2) | instskip(NEXT) | instid1(VALU_DEP_1)
	v_cmp_eq_u32_e64 s1, 0, v49
	v_cndmask_b32_e64 v49, v50, v9, s1
; %bb.208:                              ;   in Loop: Header=BB377_13 Depth=1
	s_or_b32 exec_lo, exec_lo, s49
	global_load_u16 v9, v[20:21], off offset:512
	s_mov_b32 s49, exec_lo
	s_waitcnt vmcnt(0)
	v_and_b32_e32 v50, 0xff, v9
	v_and_b32_e32 v51, 0xffff, v9
	v_mov_b32_e32 v9, 0
	s_delay_alu instid0(VALU_DEP_3)
	v_cmpx_ne_u16_e32 0, v50
	s_cbranch_execz .LBB377_216
; %bb.209:                              ;   in Loop: Header=BB377_13 Depth=1
	s_delay_alu instid0(VALU_DEP_3) | instskip(NEXT) | instid1(VALU_DEP_1)
	v_and_b32_e32 v9, 0xff, v51
	v_cmp_ne_u16_e64 s1, 0x80, v9
	v_bfrev_b32_e32 v9, 1
	s_delay_alu instid0(VALU_DEP_2)
	s_and_saveexec_b32 s50, s1
	s_cbranch_execz .LBB377_215
; %bb.210:                              ;   in Loop: Header=BB377_13 Depth=1
	v_and_b32_e32 v52, 0x7f, v51
	v_mov_b32_e32 v9, 0x7f800001
	s_mov_b32 s51, exec_lo
	s_delay_alu instid0(VALU_DEP_2)
	v_cmpx_ne_u32_e32 0x7f, v52
	s_cbranch_execz .LBB377_214
; %bb.211:                              ;   in Loop: Header=BB377_13 Depth=1
	v_and_b32_e32 v9, 7, v51
	v_lshrrev_b32_e32 v50, 3, v52
	s_mov_b32 s52, exec_lo
	v_cmpx_gt_u32_e32 8, v52
; %bb.212:                              ;   in Loop: Header=BB377_13 Depth=1
	s_delay_alu instid0(VALU_DEP_3) | instskip(NEXT) | instid1(VALU_DEP_1)
	v_clz_i32_u32_e32 v50, v9
	v_min_u32_e32 v50, 32, v50
	s_delay_alu instid0(VALU_DEP_1) | instskip(SKIP_1) | instid1(VALU_DEP_2)
	v_subrev_nc_u32_e32 v52, 28, v50
	v_sub_nc_u32_e32 v50, 29, v50
	v_lshlrev_b64 v[52:53], v52, v[9:10]
	s_delay_alu instid0(VALU_DEP_1)
	v_and_b32_e32 v9, 7, v52
; %bb.213:                              ;   in Loop: Header=BB377_13 Depth=1
	s_or_b32 exec_lo, exec_lo, s52
	v_lshlrev_b32_e32 v52, 24, v51
	s_delay_alu instid0(VALU_DEP_2) | instskip(SKIP_1) | instid1(VALU_DEP_3)
	v_lshlrev_b32_e32 v9, 20, v9
	v_lshl_add_u32 v50, v50, 23, 0x3c000000
	v_and_b32_e32 v52, 0x80000000, v52
	s_delay_alu instid0(VALU_DEP_1)
	v_or3_b32 v9, v9, v52, v50
.LBB377_214:                            ;   in Loop: Header=BB377_13 Depth=1
	s_or_b32 exec_lo, exec_lo, s51
.LBB377_215:                            ;   in Loop: Header=BB377_13 Depth=1
	s_delay_alu instid0(SALU_CYCLE_1)
	s_or_b32 exec_lo, exec_lo, s50
.LBB377_216:                            ;   in Loop: Header=BB377_13 Depth=1
	s_delay_alu instid0(SALU_CYCLE_1) | instskip(NEXT) | instid1(VALU_DEP_1)
	s_or_b32 exec_lo, exec_lo, s49
	v_mul_f32_e32 v9, s48, v9
	s_delay_alu instid0(VALU_DEP_1) | instskip(NEXT) | instid1(VALU_DEP_1)
	v_and_b32_e32 v50, 0x7f800000, v9
	v_cmp_ne_u32_e64 s1, 0x7f800000, v50
                                        ; implicit-def: $vgpr50
	s_delay_alu instid0(VALU_DEP_1) | instskip(NEXT) | instid1(SALU_CYCLE_1)
	s_and_saveexec_b32 s49, s1
	s_xor_b32 s1, exec_lo, s49
; %bb.217:                              ;   in Loop: Header=BB377_13 Depth=1
	v_bfe_u32 v50, v9, 16, 1
	s_delay_alu instid0(VALU_DEP_1)
	v_add3_u32 v50, v9, v50, 0x7fff
                                        ; implicit-def: $vgpr9
; %bb.218:                              ;   in Loop: Header=BB377_13 Depth=1
	s_and_not1_saveexec_b32 s49, s1
; %bb.219:                              ;   in Loop: Header=BB377_13 Depth=1
	v_and_b32_e32 v50, 0xffff, v9
	v_or_b32_e32 v52, 0x10000, v9
	s_delay_alu instid0(VALU_DEP_2) | instskip(NEXT) | instid1(VALU_DEP_1)
	v_cmp_eq_u32_e64 s1, 0, v50
	v_cndmask_b32_e64 v50, v52, v9, s1
; %bb.220:                              ;   in Loop: Header=BB377_13 Depth=1
	s_or_b32 exec_lo, exec_lo, s49
	v_lshrrev_b16 v52, 8, v51
	v_mov_b32_e32 v9, 0
	s_mov_b32 s49, exec_lo
	s_delay_alu instid0(VALU_DEP_2)
	v_cmpx_ne_u16_e32 0, v52
	s_cbranch_execz .LBB377_228
; %bb.221:                              ;   in Loop: Header=BB377_13 Depth=1
	v_bfrev_b32_e32 v9, 1
	s_mov_b32 s50, exec_lo
	v_cmpx_ne_u16_e32 0x80, v52
	s_cbranch_execz .LBB377_227
; %bb.222:                              ;   in Loop: Header=BB377_13 Depth=1
	v_and_b32_e32 v52, 0xffff, v52
	v_mov_b32_e32 v9, 0x7f800001
	s_mov_b32 s51, exec_lo
	s_delay_alu instid0(VALU_DEP_2) | instskip(NEXT) | instid1(VALU_DEP_1)
	v_and_b32_e32 v53, 0x7f, v52
	v_cmpx_ne_u32_e32 0x7f, v53
	s_cbranch_execz .LBB377_226
; %bb.223:                              ;   in Loop: Header=BB377_13 Depth=1
	v_and_b32_e32 v9, 7, v52
	v_lshrrev_b32_e32 v52, 3, v53
	s_mov_b32 s52, exec_lo
	v_cmpx_gt_u32_e32 8, v53
; %bb.224:                              ;   in Loop: Header=BB377_13 Depth=1
	s_delay_alu instid0(VALU_DEP_3) | instskip(NEXT) | instid1(VALU_DEP_1)
	v_clz_i32_u32_e32 v52, v9
	v_min_u32_e32 v52, 32, v52
	s_delay_alu instid0(VALU_DEP_1) | instskip(SKIP_1) | instid1(VALU_DEP_2)
	v_subrev_nc_u32_e32 v53, 28, v52
	v_sub_nc_u32_e32 v52, 29, v52
	v_lshlrev_b64 v[53:54], v53, v[9:10]
	s_delay_alu instid0(VALU_DEP_1)
	v_and_b32_e32 v9, 7, v53
; %bb.225:                              ;   in Loop: Header=BB377_13 Depth=1
	s_or_b32 exec_lo, exec_lo, s52
	v_lshlrev_b32_e32 v51, 16, v51
	s_delay_alu instid0(VALU_DEP_2) | instskip(SKIP_1) | instid1(VALU_DEP_3)
	v_lshlrev_b32_e32 v9, 20, v9
	v_lshl_add_u32 v52, v52, 23, 0x3c000000
	v_and_b32_e32 v51, 0x80000000, v51
	s_delay_alu instid0(VALU_DEP_1)
	v_or3_b32 v9, v9, v51, v52
.LBB377_226:                            ;   in Loop: Header=BB377_13 Depth=1
	s_or_b32 exec_lo, exec_lo, s51
.LBB377_227:                            ;   in Loop: Header=BB377_13 Depth=1
	s_delay_alu instid0(SALU_CYCLE_1)
	s_or_b32 exec_lo, exec_lo, s50
.LBB377_228:                            ;   in Loop: Header=BB377_13 Depth=1
	s_delay_alu instid0(SALU_CYCLE_1) | instskip(NEXT) | instid1(VALU_DEP_1)
	s_or_b32 exec_lo, exec_lo, s49
	v_mul_f32_e32 v9, s48, v9
	s_delay_alu instid0(VALU_DEP_1) | instskip(NEXT) | instid1(VALU_DEP_1)
	v_and_b32_e32 v51, 0x7f800000, v9
	v_cmp_ne_u32_e64 s1, 0x7f800000, v51
                                        ; implicit-def: $vgpr51
	s_delay_alu instid0(VALU_DEP_1) | instskip(NEXT) | instid1(SALU_CYCLE_1)
	s_and_saveexec_b32 s49, s1
	s_xor_b32 s1, exec_lo, s49
; %bb.229:                              ;   in Loop: Header=BB377_13 Depth=1
	v_bfe_u32 v51, v9, 16, 1
	s_delay_alu instid0(VALU_DEP_1)
	v_add3_u32 v51, v9, v51, 0x7fff
                                        ; implicit-def: $vgpr9
; %bb.230:                              ;   in Loop: Header=BB377_13 Depth=1
	s_and_not1_saveexec_b32 s49, s1
; %bb.231:                              ;   in Loop: Header=BB377_13 Depth=1
	v_and_b32_e32 v51, 0xffff, v9
	v_or_b32_e32 v52, 0x10000, v9
	s_delay_alu instid0(VALU_DEP_2) | instskip(NEXT) | instid1(VALU_DEP_1)
	v_cmp_eq_u32_e64 s1, 0, v51
	v_cndmask_b32_e64 v51, v52, v9, s1
; %bb.232:                              ;   in Loop: Header=BB377_13 Depth=1
	s_or_b32 exec_lo, exec_lo, s49
	global_load_u16 v9, v[20:21], off offset:520
	s_mov_b32 s49, exec_lo
	s_waitcnt vmcnt(0)
	v_and_b32_e32 v21, 0xff, v9
	v_dual_mov_b32 v9, 0 :: v_dual_and_b32 v20, 0xffff, v9
	s_delay_alu instid0(VALU_DEP_2)
	v_cmpx_ne_u16_e32 0, v21
	s_cbranch_execz .LBB377_240
; %bb.233:                              ;   in Loop: Header=BB377_13 Depth=1
	s_delay_alu instid0(VALU_DEP_2) | instskip(NEXT) | instid1(VALU_DEP_1)
	v_and_b32_e32 v9, 0xff, v20
	v_cmp_ne_u16_e64 s1, 0x80, v9
	v_bfrev_b32_e32 v9, 1
	s_delay_alu instid0(VALU_DEP_2)
	s_and_saveexec_b32 s50, s1
	s_cbranch_execz .LBB377_239
; %bb.234:                              ;   in Loop: Header=BB377_13 Depth=1
	v_and_b32_e32 v52, 0x7f, v20
	v_mov_b32_e32 v9, 0x7f800001
	s_mov_b32 s51, exec_lo
	s_delay_alu instid0(VALU_DEP_2)
	v_cmpx_ne_u32_e32 0x7f, v52
	s_cbranch_execz .LBB377_238
; %bb.235:                              ;   in Loop: Header=BB377_13 Depth=1
	v_and_b32_e32 v9, 7, v20
	v_lshrrev_b32_e32 v21, 3, v52
	s_mov_b32 s52, exec_lo
	v_cmpx_gt_u32_e32 8, v52
; %bb.236:                              ;   in Loop: Header=BB377_13 Depth=1
	s_delay_alu instid0(VALU_DEP_3) | instskip(NEXT) | instid1(VALU_DEP_1)
	v_clz_i32_u32_e32 v21, v9
	v_min_u32_e32 v21, 32, v21
	s_delay_alu instid0(VALU_DEP_1) | instskip(SKIP_1) | instid1(VALU_DEP_2)
	v_subrev_nc_u32_e32 v52, 28, v21
	v_sub_nc_u32_e32 v21, 29, v21
	v_lshlrev_b64 v[52:53], v52, v[9:10]
	s_delay_alu instid0(VALU_DEP_1)
	v_and_b32_e32 v9, 7, v52
; %bb.237:                              ;   in Loop: Header=BB377_13 Depth=1
	s_or_b32 exec_lo, exec_lo, s52
	v_lshlrev_b32_e32 v52, 24, v20
	s_delay_alu instid0(VALU_DEP_2) | instskip(SKIP_1) | instid1(VALU_DEP_3)
	v_lshlrev_b32_e32 v9, 20, v9
	v_lshl_add_u32 v21, v21, 23, 0x3c000000
	v_and_b32_e32 v52, 0x80000000, v52
	s_delay_alu instid0(VALU_DEP_1)
	v_or3_b32 v9, v9, v52, v21
.LBB377_238:                            ;   in Loop: Header=BB377_13 Depth=1
	s_or_b32 exec_lo, exec_lo, s51
.LBB377_239:                            ;   in Loop: Header=BB377_13 Depth=1
	s_delay_alu instid0(SALU_CYCLE_1)
	s_or_b32 exec_lo, exec_lo, s50
.LBB377_240:                            ;   in Loop: Header=BB377_13 Depth=1
	s_delay_alu instid0(SALU_CYCLE_1) | instskip(NEXT) | instid1(VALU_DEP_1)
	s_or_b32 exec_lo, exec_lo, s49
	v_mul_f32_e32 v9, s48, v9
	s_delay_alu instid0(VALU_DEP_1) | instskip(NEXT) | instid1(VALU_DEP_1)
	v_and_b32_e32 v21, 0x7f800000, v9
	v_cmp_ne_u32_e64 s1, 0x7f800000, v21
                                        ; implicit-def: $vgpr21
	s_delay_alu instid0(VALU_DEP_1) | instskip(NEXT) | instid1(SALU_CYCLE_1)
	s_and_saveexec_b32 s49, s1
	s_xor_b32 s1, exec_lo, s49
; %bb.241:                              ;   in Loop: Header=BB377_13 Depth=1
	v_bfe_u32 v21, v9, 16, 1
	s_delay_alu instid0(VALU_DEP_1)
	v_add3_u32 v21, v9, v21, 0x7fff
                                        ; implicit-def: $vgpr9
; %bb.242:                              ;   in Loop: Header=BB377_13 Depth=1
	s_and_not1_saveexec_b32 s49, s1
; %bb.243:                              ;   in Loop: Header=BB377_13 Depth=1
	v_and_b32_e32 v21, 0xffff, v9
	v_or_b32_e32 v52, 0x10000, v9
	s_delay_alu instid0(VALU_DEP_2) | instskip(NEXT) | instid1(VALU_DEP_1)
	v_cmp_eq_u32_e64 s1, 0, v21
	v_cndmask_b32_e64 v21, v52, v9, s1
; %bb.244:                              ;   in Loop: Header=BB377_13 Depth=1
	s_or_b32 exec_lo, exec_lo, s49
	v_lshrrev_b16 v52, 8, v20
	v_mov_b32_e32 v9, 0
	s_mov_b32 s49, exec_lo
	s_delay_alu instid0(VALU_DEP_2)
	v_cmpx_ne_u16_e32 0, v52
	s_cbranch_execz .LBB377_252
; %bb.245:                              ;   in Loop: Header=BB377_13 Depth=1
	v_bfrev_b32_e32 v9, 1
	s_mov_b32 s50, exec_lo
	v_cmpx_ne_u16_e32 0x80, v52
	s_cbranch_execz .LBB377_251
; %bb.246:                              ;   in Loop: Header=BB377_13 Depth=1
	v_and_b32_e32 v52, 0xffff, v52
	v_mov_b32_e32 v9, 0x7f800001
	s_mov_b32 s51, exec_lo
	s_delay_alu instid0(VALU_DEP_2) | instskip(NEXT) | instid1(VALU_DEP_1)
	v_and_b32_e32 v53, 0x7f, v52
	v_cmpx_ne_u32_e32 0x7f, v53
	s_cbranch_execz .LBB377_250
; %bb.247:                              ;   in Loop: Header=BB377_13 Depth=1
	v_and_b32_e32 v9, 7, v52
	v_lshrrev_b32_e32 v52, 3, v53
	s_mov_b32 s52, exec_lo
	v_cmpx_gt_u32_e32 8, v53
; %bb.248:                              ;   in Loop: Header=BB377_13 Depth=1
	s_delay_alu instid0(VALU_DEP_3) | instskip(NEXT) | instid1(VALU_DEP_1)
	v_clz_i32_u32_e32 v52, v9
	v_min_u32_e32 v52, 32, v52
	s_delay_alu instid0(VALU_DEP_1) | instskip(SKIP_1) | instid1(VALU_DEP_2)
	v_subrev_nc_u32_e32 v53, 28, v52
	v_sub_nc_u32_e32 v52, 29, v52
	v_lshlrev_b64 v[53:54], v53, v[9:10]
	s_delay_alu instid0(VALU_DEP_1)
	v_and_b32_e32 v9, 7, v53
; %bb.249:                              ;   in Loop: Header=BB377_13 Depth=1
	s_or_b32 exec_lo, exec_lo, s52
	v_lshlrev_b32_e32 v20, 16, v20
	s_delay_alu instid0(VALU_DEP_2) | instskip(SKIP_1) | instid1(VALU_DEP_3)
	v_lshlrev_b32_e32 v9, 20, v9
	v_lshl_add_u32 v52, v52, 23, 0x3c000000
	v_and_b32_e32 v20, 0x80000000, v20
	s_delay_alu instid0(VALU_DEP_1)
	v_or3_b32 v9, v9, v20, v52
.LBB377_250:                            ;   in Loop: Header=BB377_13 Depth=1
	s_or_b32 exec_lo, exec_lo, s51
.LBB377_251:                            ;   in Loop: Header=BB377_13 Depth=1
	s_delay_alu instid0(SALU_CYCLE_1)
	s_or_b32 exec_lo, exec_lo, s50
.LBB377_252:                            ;   in Loop: Header=BB377_13 Depth=1
	s_delay_alu instid0(SALU_CYCLE_1) | instskip(NEXT) | instid1(VALU_DEP_1)
	s_or_b32 exec_lo, exec_lo, s49
	v_mul_f32_e32 v20, s48, v9
	s_delay_alu instid0(VALU_DEP_1) | instskip(NEXT) | instid1(VALU_DEP_1)
	v_and_b32_e32 v9, 0x7f800000, v20
	v_cmp_ne_u32_e64 s1, 0x7f800000, v9
                                        ; implicit-def: $vgpr9
	s_delay_alu instid0(VALU_DEP_1) | instskip(NEXT) | instid1(SALU_CYCLE_1)
	s_and_saveexec_b32 s48, s1
	s_xor_b32 s1, exec_lo, s48
; %bb.253:                              ;   in Loop: Header=BB377_13 Depth=1
	v_bfe_u32 v9, v20, 16, 1
	s_delay_alu instid0(VALU_DEP_1)
	v_add3_u32 v9, v20, v9, 0x7fff
                                        ; implicit-def: $vgpr20
; %bb.254:                              ;   in Loop: Header=BB377_13 Depth=1
	s_and_not1_saveexec_b32 s48, s1
; %bb.255:                              ;   in Loop: Header=BB377_13 Depth=1
	v_and_b32_e32 v9, 0xffff, v20
	v_or_b32_e32 v52, 0x10000, v20
	s_delay_alu instid0(VALU_DEP_2) | instskip(NEXT) | instid1(VALU_DEP_1)
	v_cmp_eq_u32_e64 s1, 0, v9
	v_cndmask_b32_e64 v9, v52, v20, s1
; %bb.256:                              ;   in Loop: Header=BB377_13 Depth=1
	s_or_b32 exec_lo, exec_lo, s48
	v_and_b32_e32 v20, 0xffff0000, v21
	v_and_b32_e32 v36, 0xffff0000, v36
	;; [unrolled: 1-line block ×3, first 2 shown]
	v_lshlrev_b32_e32 v51, 16, v6
	v_and_b32_e32 v37, 0xffff0000, v37
	v_and_b32_e32 v6, 0xffff0000, v6
	;; [unrolled: 1-line block ×3, first 2 shown]
	v_lshlrev_b32_e32 v52, 16, v5
	v_dual_mul_f32 v36, v51, v36 :: v_dual_and_b32 v49, 0xffff0000, v49
	s_delay_alu instid0(VALU_DEP_4)
	v_dual_mul_f32 v6, v6, v37 :: v_dual_and_b32 v47, 0xffff0000, v47
	v_and_b32_e32 v5, 0xffff0000, v5
	v_and_b32_e32 v37, 0xffff0000, v38
	v_lshlrev_b32_e32 v38, 16, v7
	v_fmac_f32_e32 v36, v52, v34
	v_lshlrev_b32_e32 v34, 16, v8
	v_and_b32_e32 v8, 0xffff0000, v8
	v_and_b32_e32 v35, 0xffff0000, v35
	v_and_b32_e32 v45, 0xffff0000, v45
	v_dual_fmac_f32 v36, v38, v37 :: v_dual_and_b32 v43, 0xffff0000, v43
	v_and_b32_e32 v50, 0xffff0000, v50
	s_delay_alu instid0(VALU_DEP_4)
	v_fmac_f32_e32 v6, v5, v35
	v_and_b32_e32 v7, 0xffff0000, v7
	v_and_b32_e32 v5, 0xffff0000, v40
	;; [unrolled: 1-line block ×3, first 2 shown]
	v_lshlrev_b32_e32 v35, 16, v1
	v_and_b32_e32 v1, 0xffff0000, v1
	s_delay_alu instid0(VALU_DEP_4) | instskip(NEXT) | instid1(VALU_DEP_4)
	v_fmac_f32_e32 v36, v34, v5
	v_dual_fmac_f32 v6, v7, v39 :: v_dual_and_b32 v41, 0xffff0000, v41
	v_and_b32_e32 v7, 0xffff0000, v42
	s_delay_alu instid0(VALU_DEP_2) | instskip(SKIP_2) | instid1(VALU_DEP_4)
	v_dual_fmac_f32 v6, v8, v41 :: v_dual_and_b32 v5, 0xffff0000, v44
	v_lshlrev_b32_e32 v8, 16, v2
	v_and_b32_e32 v2, 0xffff0000, v2
	v_fmac_f32_e32 v36, v35, v7
	v_lshlrev_b32_e32 v7, 16, v3
	v_fmac_f32_e32 v6, v1, v43
	s_delay_alu instid0(VALU_DEP_3) | instskip(NEXT) | instid1(VALU_DEP_2)
	v_dual_fmac_f32 v36, v8, v5 :: v_dual_and_b32 v3, 0xffff0000, v3
	v_dual_fmac_f32 v6, v2, v45 :: v_dual_lshlrev_b32 v5, 16, v4
	v_and_b32_e32 v4, 0xffff0000, v4
	v_and_b32_e32 v2, 0xffff0000, v48
	s_delay_alu instid0(VALU_DEP_3) | instskip(NEXT) | instid1(VALU_DEP_1)
	v_fmac_f32_e32 v6, v3, v47
	v_dual_fmac_f32 v6, v4, v49 :: v_dual_lshlrev_b32 v3, 16, v19
	v_and_b32_e32 v1, 0xffff0000, v46
	v_and_b32_e32 v4, 0xffff0000, v9
	s_delay_alu instid0(VALU_DEP_2) | instskip(SKIP_1) | instid1(VALU_DEP_2)
	v_dual_fmac_f32 v36, v7, v1 :: v_dual_lshlrev_b32 v1, 16, v18
	v_and_b32_e32 v7, 0xffff0000, v18
	v_fmac_f32_e32 v36, v5, v2
	v_xor_b32_e32 v2, 2, v11
	s_delay_alu instid0(VALU_DEP_3) | instskip(NEXT) | instid1(VALU_DEP_3)
	v_dual_fmac_f32 v6, v7, v21 :: v_dual_and_b32 v5, 0xffff0000, v19
	v_fmac_f32_e32 v36, v1, v50
	s_delay_alu instid0(VALU_DEP_3) | instskip(NEXT) | instid1(VALU_DEP_3)
	v_cmp_gt_i32_e64 s1, 32, v2
	v_fmac_f32_e32 v6, v5, v4
	s_delay_alu instid0(VALU_DEP_3) | instskip(NEXT) | instid1(VALU_DEP_3)
	v_fmac_f32_e32 v36, v3, v20
	v_cndmask_b32_e64 v1, v11, v2, s1
	v_xor_b32_e32 v3, 1, v11
	s_delay_alu instid0(VALU_DEP_2) | instskip(NEXT) | instid1(VALU_DEP_2)
	v_dual_add_f32 v2, v36, v6 :: v_dual_lshlrev_b32 v1, 2, v1
	v_cmp_gt_i32_e64 s1, 32, v3
	ds_bpermute_b32 v1, v1, v2
	v_cndmask_b32_e64 v3, v11, v3, s1
	s_delay_alu instid0(VALU_DEP_1)
	v_lshlrev_b32_e32 v3, 2, v3
	s_waitcnt lgkmcnt(0)
	v_add_f32_e32 v1, v2, v1
	ds_bpermute_b32 v2, v3, v1
	s_and_saveexec_b32 s48, vcc_lo
	s_cbranch_execz .LBB377_11
; %bb.257:                              ;   in Loop: Header=BB377_13 Depth=1
	s_waitcnt lgkmcnt(0)
	v_add_f32_e32 v1, v1, v2
	v_add_nc_u32_e32 v3, v30, v28
	s_delay_alu instid0(VALU_DEP_1) | instskip(NEXT) | instid1(VALU_DEP_1)
	v_cvt_f32_i32_e32 v3, v3
	v_mul_f32_e32 v3, s42, v3
	s_delay_alu instid0(VALU_DEP_1) | instskip(NEXT) | instid1(VALU_DEP_1)
	v_cndmask_b32_e64 v2, 0, v3, s0
	v_dual_max_f32 v3, v24, v24 :: v_dual_fmac_f32 v2, s13, v1
	v_add_nc_u32_e32 v1, v25, v28
	s_delay_alu instid0(VALU_DEP_2) | instskip(NEXT) | instid1(VALU_DEP_2)
	v_max_f32_e32 v3, v3, v2
	v_cmp_gt_i32_e64 s1, s15, v1
	s_delay_alu instid0(VALU_DEP_1) | instskip(NEXT) | instid1(VALU_DEP_3)
	v_cndmask_b32_e64 v1, 0, v2, s1
	v_cndmask_b32_e64 v24, v24, v3, s1
	ds_store_b32 v31, v1
	s_branch .LBB377_11
.LBB377_258:
	s_or_b32 exec_lo, exec_lo, s46
.LBB377_259:
	s_delay_alu instid0(SALU_CYCLE_1) | instskip(SKIP_4) | instid1(VALU_DEP_4)
	s_or_b32 exec_lo, exec_lo, s43
	v_xor_b32_e32 v1, 16, v11
	v_xor_b32_e32 v3, 8, v11
	v_and_b32_e32 v17, 31, v0
	v_max_f32_e32 v5, v24, v24
	v_cmp_gt_i32_e32 vcc_lo, 32, v1
	v_cndmask_b32_e32 v1, v11, v1, vcc_lo
	v_cmp_gt_i32_e32 vcc_lo, 32, v3
	v_cndmask_b32_e32 v3, v11, v3, vcc_lo
	s_delay_alu instid0(VALU_DEP_1)
	v_lshlrev_b32_e32 v4, 2, v3
	s_waitcnt lgkmcnt(0)
	v_lshlrev_b32_e32 v2, 2, v1
	ds_bpermute_b32 v1, v2, v24
	s_waitcnt lgkmcnt(0)
	v_max_f32_e32 v1, v1, v1
	s_delay_alu instid0(VALU_DEP_1)
	v_max_f32_e32 v1, v5, v1
	v_xor_b32_e32 v5, 4, v11
	ds_bpermute_b32 v3, v4, v1
	v_cmp_gt_i32_e32 vcc_lo, 32, v5
	v_cndmask_b32_e32 v5, v11, v5, vcc_lo
	v_cmp_eq_u32_e32 vcc_lo, 0, v17
	s_delay_alu instid0(VALU_DEP_2) | instskip(SKIP_3) | instid1(VALU_DEP_1)
	v_lshlrev_b32_e32 v6, 2, v5
	v_lshlrev_b32_e32 v5, 2, v22
	s_waitcnt lgkmcnt(0)
	v_max_f32_e32 v3, v3, v3
	v_max_f32_e32 v1, v1, v3
	ds_bpermute_b32 v3, v6, v1
	s_and_saveexec_b32 s0, vcc_lo
	s_cbranch_execz .LBB377_261
; %bb.260:
	s_waitcnt lgkmcnt(0)
	v_max_f32_e32 v3, v3, v3
	v_max_f32_e32 v1, v1, v1
	s_delay_alu instid0(VALU_DEP_1)
	v_max_f32_e32 v1, v1, v3
	ds_store_b32 v5, v1 offset:160
.LBB377_261:
	s_or_b32 exec_lo, exec_lo, s0
	v_cmp_gt_u32_e64 s0, 4, v17
	v_dual_mov_b32 v1, 0xff7fffff :: v_dual_lshlrev_b32 v18, 2, v17
	s_waitcnt lgkmcnt(0)
	s_barrier
	buffer_gl0_inv
	s_and_saveexec_b32 s1, s0
	s_cbranch_execz .LBB377_263
; %bb.262:
	ds_load_b32 v1, v18 offset:160
.LBB377_263:
	s_or_b32 exec_lo, exec_lo, s1
	v_xor_b32_e32 v3, 2, v11
	v_xor_b32_e32 v8, 1, v11
	v_mov_b32_e32 v9, 0
	s_delay_alu instid0(VALU_DEP_3) | instskip(NEXT) | instid1(VALU_DEP_1)
	v_cmp_gt_i32_e64 s1, 32, v3
	v_cndmask_b32_e64 v3, v11, v3, s1
	s_delay_alu instid0(VALU_DEP_4) | instskip(NEXT) | instid1(VALU_DEP_2)
	v_cmp_gt_i32_e64 s1, 32, v8
	v_lshlrev_b32_e32 v7, 2, v3
	s_delay_alu instid0(VALU_DEP_2) | instskip(SKIP_1) | instid1(SALU_CYCLE_1)
	v_cndmask_b32_e64 v8, v11, v8, s1
	s_sub_i32 s1, s16, s12
	s_lshl_b32 s1, s1, 3
	s_waitcnt lgkmcnt(0)
	ds_bpermute_b32 v3, v7, v1
	v_dual_max_f32 v1, v1, v1 :: v_dual_lshlrev_b32 v8, 2, v8
	s_add_i32 s1, s1, s40
	s_delay_alu instid0(SALU_CYCLE_1) | instskip(NEXT) | instid1(SALU_CYCLE_1)
	s_min_i32 s1, s1, s15
	s_sub_i32 s4, s1, s40
	s_delay_alu instid0(SALU_CYCLE_1) | instskip(SKIP_2) | instid1(VALU_DEP_1)
	v_cmp_gt_i32_e64 s1, s4, v0
	s_waitcnt lgkmcnt(0)
	v_max_f32_e32 v3, v3, v3
	v_max_f32_e32 v1, v1, v3
	ds_bpermute_b32 v3, v8, v1
	s_waitcnt lgkmcnt(0)
	v_max_f32_e32 v3, v3, v3
	s_delay_alu instid0(VALU_DEP_1)
	v_max_f32_e32 v1, v1, v3
	v_lshl_add_u32 v3, v0, 2, 0xc0
	ds_bpermute_b32 v1, v9, v1
	s_and_saveexec_b32 s5, s1
	s_cbranch_execz .LBB377_267
; %bb.264:
	v_lshl_add_u32 v10, v0, 2, 0xc0
	v_mov_b32_e32 v9, 0
	v_mov_b32_e32 v11, v0
	s_mov_b32 s12, 0
	.p2align	6
.LBB377_265:                            ; =>This Inner Loop Header: Depth=1
	ds_load_b32 v14, v10
	v_add_nc_u32_e32 v11, 0x80, v11
	s_delay_alu instid0(VALU_DEP_1) | instskip(NEXT) | instid1(VALU_DEP_1)
	v_cmp_le_i32_e64 s3, s4, v11
	s_or_b32 s12, s3, s12
	s_waitcnt lgkmcnt(0)
	v_sub_f32_e32 v14, v14, v1
	s_delay_alu instid0(VALU_DEP_1) | instskip(NEXT) | instid1(VALU_DEP_1)
	v_mul_f32_e32 v14, 0x3fb8aa3b, v14
	v_exp_f32_e32 v14, v14
	ds_store_b32 v10, v14
	v_add_f32_e32 v9, v9, v14
	v_add_nc_u32_e32 v10, 0x200, v10
	s_and_not1_b32 exec_lo, exec_lo, s12
	s_cbranch_execnz .LBB377_265
; %bb.266:
	s_or_b32 exec_lo, exec_lo, s12
.LBB377_267:
	s_delay_alu instid0(SALU_CYCLE_1)
	s_or_b32 exec_lo, exec_lo, s5
	ds_bpermute_b32 v2, v2, v9
	s_waitcnt lgkmcnt(0)
	v_add_f32_e32 v2, v9, v2
	ds_bpermute_b32 v4, v4, v2
	s_waitcnt lgkmcnt(0)
	v_add_f32_e32 v2, v2, v4
	;; [unrolled: 3-line block ×5, first 2 shown]
	s_and_saveexec_b32 s3, vcc_lo
	s_cbranch_execz .LBB377_269
; %bb.268:
	ds_store_b32 v5, v2 offset:176
.LBB377_269:
	s_or_b32 exec_lo, exec_lo, s3
	s_waitcnt lgkmcnt(0)
	s_barrier
	buffer_gl0_inv
	s_and_saveexec_b32 s3, s0
	s_cbranch_execz .LBB377_271
; %bb.270:
	ds_load_b32 v2, v18 offset:176
.LBB377_271:
	s_or_b32 exec_lo, exec_lo, s3
	s_waitcnt lgkmcnt(0)
	ds_bpermute_b32 v4, v7, v2
	s_waitcnt lgkmcnt(0)
	v_add_f32_e32 v2, v2, v4
	ds_bpermute_b32 v4, v8, v2
	s_waitcnt lgkmcnt(0)
	v_add_f32_e32 v2, v2, v4
	v_mov_b32_e32 v4, 0
	ds_bpermute_b32 v2, v4, v2
	s_and_saveexec_b32 s0, s1
	s_cbranch_execz .LBB377_274
; %bb.272:
	s_waitcnt lgkmcnt(0)
	v_add_f32_e32 v4, 0x358637bd, v2
	s_mov_b32 s1, 0
	s_delay_alu instid0(VALU_DEP_1) | instskip(SKIP_1) | instid1(VALU_DEP_2)
	v_div_scale_f32 v5, null, v4, v4, 1.0
	v_div_scale_f32 v8, vcc_lo, 1.0, v4, 1.0
	v_rcp_f32_e32 v6, v5
	s_waitcnt_depctr 0xfff
	v_fma_f32 v7, -v5, v6, 1.0
	s_delay_alu instid0(VALU_DEP_1) | instskip(NEXT) | instid1(VALU_DEP_1)
	v_fmac_f32_e32 v6, v7, v6
	v_mul_f32_e32 v7, v8, v6
	s_delay_alu instid0(VALU_DEP_1) | instskip(NEXT) | instid1(VALU_DEP_1)
	v_fma_f32 v9, -v5, v7, v8
	v_fmac_f32_e32 v7, v9, v6
	s_delay_alu instid0(VALU_DEP_1) | instskip(NEXT) | instid1(VALU_DEP_1)
	v_fma_f32 v5, -v5, v7, v8
	v_div_fmas_f32 v5, v5, v6, v7
	s_delay_alu instid0(VALU_DEP_1)
	v_div_fixup_f32 v4, v5, v4, 1.0
	v_mov_b32_e32 v5, v0
.LBB377_273:                            ; =>This Inner Loop Header: Depth=1
	ds_load_b32 v6, v3
	s_waitcnt lgkmcnt(0)
	v_dual_mul_f32 v6, v4, v6 :: v_dual_add_nc_u32 v5, 0x80, v5
	s_delay_alu instid0(VALU_DEP_1) | instskip(SKIP_3) | instid1(SALU_CYCLE_1)
	v_cmp_le_i32_e32 vcc_lo, s4, v5
	ds_store_b32 v3, v6
	v_add_nc_u32_e32 v3, 0x200, v3
	s_or_b32 s1, vcc_lo, s1
	s_and_not1_b32 exec_lo, exec_lo, s1
	s_cbranch_execnz .LBB377_273
.LBB377_274:
	s_or_b32 exec_lo, exec_lo, s0
	s_mul_i32 s0, s8, s14
	s_mov_b32 s12, 0
	s_mul_i32 s4, s0, s25
	s_mov_b32 s0, exec_lo
	s_waitcnt lgkmcnt(0)
	s_barrier
	buffer_gl0_inv
	v_cmpx_eq_u32_e32 0, v0
	s_cbranch_execz .LBB377_276
; %bb.275:
	s_ashr_i32 s5, s4, 31
	s_mul_i32 s44, s8, s30
	s_lshl_b64 s[42:43], s[4:5], 2
	v_mov_b32_e32 v3, 0
	s_add_u32 s1, s22, s42
	s_addc_u32 s3, s23, s43
	s_ashr_i32 s45, s44, 31
	s_delay_alu instid0(SALU_CYCLE_1) | instskip(NEXT) | instid1(SALU_CYCLE_1)
	s_lshl_b64 s[22:23], s[44:45], 2
	s_add_u32 s1, s1, s22
	s_addc_u32 s3, s3, s23
	s_ashr_i32 s25, s24, 31
	s_delay_alu instid0(SALU_CYCLE_1) | instskip(NEXT) | instid1(SALU_CYCLE_1)
	s_lshl_b64 s[44:45], s[24:25], 2
	s_add_u32 s46, s1, s44
	s_addc_u32 s47, s3, s45
	s_add_u32 s1, s20, s42
	s_addc_u32 s3, s21, s43
	;; [unrolled: 2-line block ×4, first 2 shown]
	s_clause 0x1
	global_store_b32 v3, v1, s[46:47]
	global_store_b32 v3, v2, s[20:21]
.LBB377_276:
	s_or_b32 exec_lo, exec_lo, s0
	s_mov_b32 s13, s12
	s_mov_b32 s14, s12
	v_dual_mov_b32 v9, s12 :: v_dual_mov_b32 v10, s13
	v_mov_b32_e32 v11, s14
	v_or_b32_e32 v19, 64, v17
	s_and_saveexec_b32 s5, s2
	s_cbranch_execz .LBB377_694
; %bb.277:
	s_sub_i32 s17, s11, s17
	s_ashr_i32 s0, s10, 31
	s_add_u32 s2, s38, s10
	s_addc_u32 s3, s39, s0
	s_abs_i32 s18, s18
	s_add_i32 s20, s41, -1
	v_cvt_f32_u32_e32 v1, s18
	s_sub_i32 s0, 0, s18
	s_mov_b32 s13, s12
	s_mov_b32 s14, s12
	v_dual_mov_b32 v9, s12 :: v_dual_lshlrev_b32 v20, 3, v17
	v_rcp_iflag_f32_e32 v1, v1
	v_cmp_gt_u32_e32 vcc_lo, 0x50, v19
	v_dual_mov_b32 v10, s13 :: v_dual_lshlrev_b32 v21, 3, v19
	v_lshl_add_u32 v24, v22, 5, 0xc0
	v_mov_b32_e32 v11, s14
	s_mov_b32 s10, -1
	v_mov_b32_e32 v14, 0
	s_mov_b32 s11, 0xffffff
	s_waitcnt_depctr 0xfff
	v_mul_f32_e32 v1, 0x4f7ffffe, v1
	s_delay_alu instid0(VALU_DEP_1) | instskip(SKIP_1) | instid1(VALU_DEP_2)
	v_cvt_u32_f32_e32 v3, v1
	v_lshlrev_b64 v[1:2], 2, v[12:13]
	v_mul_lo_u32 v4, s0, v3
	s_lshl_b64 s[0:1], s[36:37], 2
	s_delay_alu instid0(SALU_CYCLE_1) | instskip(SKIP_1) | instid1(VALU_DEP_2)
	s_add_u32 s0, s34, s0
	s_addc_u32 s1, s35, s1
	v_add_co_u32 v15, s0, s0, v1
	s_delay_alu instid0(VALU_DEP_1) | instskip(NEXT) | instid1(VALU_DEP_3)
	v_add_co_ci_u32_e64 v16, s0, s1, v2, s0
	v_mul_hi_u32 v4, v3, v4
	s_delay_alu instid0(VALU_DEP_1)
	v_add_nc_u32_e32 v25, v3, v4
	s_branch .LBB377_281
.LBB377_278:                            ;   in Loop: Header=BB377_281 Depth=1
	s_or_b32 exec_lo, exec_lo, s1
	v_and_b32_e32 v5, 0xffff0000, v5
	v_and_b32_e32 v3, 0xffff0000, v3
	;; [unrolled: 1-line block ×5, first 2 shown]
	s_delay_alu instid0(VALU_DEP_4) | instskip(NEXT) | instid1(VALU_DEP_1)
	v_dual_add_f32 v3, v3, v5 :: v_dual_and_b32 v8, 0xffff0000, v8
	v_dual_add_f32 v4, v8, v4 :: v_dual_and_b32 v7, 0xffff0000, v7
	s_delay_alu instid0(VALU_DEP_1) | instskip(NEXT) | instid1(VALU_DEP_1)
	v_add_f32_e32 v5, v6, v7
	v_dual_add_f32 v3, v3, v5 :: v_dual_and_b32 v2, 0xffff0000, v2
	s_delay_alu instid0(VALU_DEP_1) | instskip(NEXT) | instid1(VALU_DEP_2)
	v_add_f32_e32 v3, v3, v4
	v_add_f32_e32 v1, v2, v1
	s_delay_alu instid0(VALU_DEP_1) | instskip(NEXT) | instid1(VALU_DEP_1)
	v_add_f32_e32 v1, v3, v1
	v_add_f32_e32 v11, v11, v1
.LBB377_279:                            ;   in Loop: Header=BB377_281 Depth=1
	s_or_b32 exec_lo, exec_lo, s21
.LBB377_280:                            ;   in Loop: Header=BB377_281 Depth=1
	s_delay_alu instid0(SALU_CYCLE_1) | instskip(SKIP_2) | instid1(VALU_DEP_1)
	s_or_b32 exec_lo, exec_lo, s13
	v_add_nc_u32_e32 v12, 4, v12
	v_add_co_u32 v15, s1, v15, 16
	v_add_co_ci_u32_e64 v16, s1, 0, v16, s1
	s_delay_alu instid0(VALU_DEP_3) | instskip(SKIP_2) | instid1(VALU_DEP_3)
	v_cmp_le_i32_e64 s0, s16, v12
	v_add_nc_u32_e32 v23, 32, v23
	v_add_nc_u32_e32 v24, 0x80, v24
	s_or_b32 s12, s0, s12
	s_delay_alu instid0(SALU_CYCLE_1)
	s_and_not1_b32 exec_lo, exec_lo, s12
	s_cbranch_execz .LBB377_693
.LBB377_281:                            ; =>This Inner Loop Header: Depth=1
	v_sub_nc_u32_e32 v1, 0, v23
	s_delay_alu instid0(VALU_DEP_1) | instskip(NEXT) | instid1(VALU_DEP_1)
	v_max_i32_e32 v1, v23, v1
	v_mul_hi_u32 v2, v1, s31
	s_delay_alu instid0(VALU_DEP_1) | instskip(NEXT) | instid1(VALU_DEP_1)
	v_mul_lo_u32 v3, v2, s27
	v_sub_nc_u32_e32 v1, v1, v3
	v_add_nc_u32_e32 v3, 1, v2
	s_delay_alu instid0(VALU_DEP_2) | instskip(SKIP_1) | instid1(VALU_DEP_1)
	v_subrev_nc_u32_e32 v4, s27, v1
	v_cmp_le_u32_e64 s0, s27, v1
	v_cndmask_b32_e64 v2, v2, v3, s0
	s_delay_alu instid0(VALU_DEP_3) | instskip(SKIP_1) | instid1(VALU_DEP_3)
	v_cndmask_b32_e64 v1, v1, v4, s0
	v_ashrrev_i32_e32 v3, 31, v23
	v_add_nc_u32_e32 v4, 1, v2
	s_delay_alu instid0(VALU_DEP_3) | instskip(NEXT) | instid1(VALU_DEP_3)
	v_cmp_le_u32_e64 s0, s27, v1
	v_xor_b32_e32 v3, s19, v3
	s_delay_alu instid0(VALU_DEP_2) | instskip(NEXT) | instid1(VALU_DEP_1)
	v_cndmask_b32_e64 v1, v2, v4, s0
	v_xor_b32_e32 v1, v1, v3
	s_delay_alu instid0(VALU_DEP_1) | instskip(NEXT) | instid1(VALU_DEP_1)
	v_sub_nc_u32_e32 v1, v1, v3
	v_add_nc_u32_e32 v2, s33, v1
	v_cmp_lt_i32_e64 s1, s17, v1
	s_delay_alu instid0(VALU_DEP_2) | instskip(NEXT) | instid1(VALU_DEP_1)
	v_sub_nc_u32_e32 v3, 0, v2
	v_max_i32_e32 v3, v2, v3
	v_ashrrev_i32_e32 v2, 31, v2
	s_delay_alu instid0(VALU_DEP_2) | instskip(NEXT) | instid1(VALU_DEP_1)
	v_mul_hi_u32 v4, v3, v25
	v_mul_lo_u32 v4, v4, s18
	s_delay_alu instid0(VALU_DEP_1) | instskip(NEXT) | instid1(VALU_DEP_1)
	v_sub_nc_u32_e32 v3, v3, v4
	v_subrev_nc_u32_e32 v4, s18, v3
	v_cmp_le_u32_e64 s0, s18, v3
	s_delay_alu instid0(VALU_DEP_1) | instskip(NEXT) | instid1(VALU_DEP_1)
	v_cndmask_b32_e64 v3, v3, v4, s0
	v_subrev_nc_u32_e32 v4, s18, v3
	v_cmp_le_u32_e64 s0, s18, v3
	s_delay_alu instid0(VALU_DEP_1) | instskip(NEXT) | instid1(VALU_DEP_1)
	v_cndmask_b32_e64 v3, v3, v4, s0
	v_xor_b32_e32 v3, v3, v2
	s_delay_alu instid0(VALU_DEP_1) | instskip(NEXT) | instid1(VALU_DEP_1)
	v_sub_nc_u32_e32 v2, v3, v2
	v_cmp_eq_u32_e64 s0, 0, v2
	s_delay_alu instid0(VALU_DEP_1) | instskip(NEXT) | instid1(SALU_CYCLE_1)
	s_or_b32 s0, s0, s1
	s_and_saveexec_b32 s13, s0
	s_cbranch_execz .LBB377_280
; %bb.282:                              ;   in Loop: Header=BB377_281 Depth=1
	global_load_b32 v13, v[15:16], off
	ds_load_2addr_b64 v[5:8], v24 offset1:1
	ds_load_2addr_b64 v[1:4], v24 offset0:2 offset1:3
                                        ; implicit-def: $vgpr32
	s_waitcnt lgkmcnt(1)
	v_and_b32_e32 v26, 0x7f800000, v5
	s_delay_alu instid0(VALU_DEP_1) | instskip(NEXT) | instid1(VALU_DEP_1)
	v_cmp_ne_u32_e64 s0, 0x7f800000, v26
	s_and_saveexec_b32 s1, s0
	s_delay_alu instid0(SALU_CYCLE_1)
	s_xor_b32 s0, exec_lo, s1
; %bb.283:                              ;   in Loop: Header=BB377_281 Depth=1
	v_bfe_u32 v26, v5, 16, 1
	s_delay_alu instid0(VALU_DEP_1)
	v_add3_u32 v32, v5, v26, 0x7fff
; %bb.284:                              ;   in Loop: Header=BB377_281 Depth=1
	s_and_not1_saveexec_b32 s1, s0
; %bb.285:                              ;   in Loop: Header=BB377_281 Depth=1
	v_and_b32_e32 v26, 0xffff, v5
	v_or_b32_e32 v27, 0x10000, v5
	s_delay_alu instid0(VALU_DEP_2) | instskip(NEXT) | instid1(VALU_DEP_1)
	v_cmp_eq_u32_e64 s0, 0, v26
	v_cndmask_b32_e64 v32, v27, v5, s0
; %bb.286:                              ;   in Loop: Header=BB377_281 Depth=1
	s_or_b32 exec_lo, exec_lo, s1
	v_and_b32_e32 v5, 0x7f800000, v6
                                        ; implicit-def: $vgpr33
	s_delay_alu instid0(VALU_DEP_1) | instskip(NEXT) | instid1(VALU_DEP_1)
	v_cmp_ne_u32_e64 s0, 0x7f800000, v5
	s_and_saveexec_b32 s1, s0
	s_delay_alu instid0(SALU_CYCLE_1)
	s_xor_b32 s0, exec_lo, s1
; %bb.287:                              ;   in Loop: Header=BB377_281 Depth=1
	v_bfe_u32 v5, v6, 16, 1
	s_delay_alu instid0(VALU_DEP_1)
	v_add3_u32 v33, v6, v5, 0x7fff
; %bb.288:                              ;   in Loop: Header=BB377_281 Depth=1
	s_and_not1_saveexec_b32 s1, s0
; %bb.289:                              ;   in Loop: Header=BB377_281 Depth=1
	v_and_b32_e32 v5, 0xffff, v6
	v_or_b32_e32 v26, 0x10000, v6
	s_delay_alu instid0(VALU_DEP_2) | instskip(NEXT) | instid1(VALU_DEP_1)
	v_cmp_eq_u32_e64 s0, 0, v5
	v_cndmask_b32_e64 v33, v26, v6, s0
; %bb.290:                              ;   in Loop: Header=BB377_281 Depth=1
	s_or_b32 exec_lo, exec_lo, s1
	v_and_b32_e32 v5, 0x7f800000, v7
                                        ; implicit-def: $vgpr26
	s_delay_alu instid0(VALU_DEP_1) | instskip(NEXT) | instid1(VALU_DEP_1)
	v_cmp_ne_u32_e64 s0, 0x7f800000, v5
	s_and_saveexec_b32 s1, s0
	s_delay_alu instid0(SALU_CYCLE_1)
	s_xor_b32 s0, exec_lo, s1
; %bb.291:                              ;   in Loop: Header=BB377_281 Depth=1
	v_bfe_u32 v5, v7, 16, 1
	s_delay_alu instid0(VALU_DEP_1)
	v_add3_u32 v26, v7, v5, 0x7fff
; %bb.292:                              ;   in Loop: Header=BB377_281 Depth=1
	s_and_not1_saveexec_b32 s1, s0
; %bb.293:                              ;   in Loop: Header=BB377_281 Depth=1
	v_and_b32_e32 v5, 0xffff, v7
	v_or_b32_e32 v6, 0x10000, v7
	s_delay_alu instid0(VALU_DEP_2) | instskip(NEXT) | instid1(VALU_DEP_1)
	v_cmp_eq_u32_e64 s0, 0, v5
	v_cndmask_b32_e64 v26, v6, v7, s0
; %bb.294:                              ;   in Loop: Header=BB377_281 Depth=1
	s_or_b32 exec_lo, exec_lo, s1
	v_and_b32_e32 v5, 0x7f800000, v8
                                        ; implicit-def: $vgpr27
	s_delay_alu instid0(VALU_DEP_1) | instskip(NEXT) | instid1(VALU_DEP_1)
	v_cmp_ne_u32_e64 s0, 0x7f800000, v5
	s_and_saveexec_b32 s1, s0
	s_delay_alu instid0(SALU_CYCLE_1)
	s_xor_b32 s0, exec_lo, s1
; %bb.295:                              ;   in Loop: Header=BB377_281 Depth=1
	v_bfe_u32 v5, v8, 16, 1
	s_delay_alu instid0(VALU_DEP_1)
	v_add3_u32 v27, v8, v5, 0x7fff
                                        ; implicit-def: $vgpr5_vgpr6_vgpr7_vgpr8
; %bb.296:                              ;   in Loop: Header=BB377_281 Depth=1
	s_and_not1_saveexec_b32 s1, s0
; %bb.297:                              ;   in Loop: Header=BB377_281 Depth=1
	v_and_b32_e32 v5, 0xffff, v8
	v_or_b32_e32 v6, 0x10000, v8
	s_delay_alu instid0(VALU_DEP_2) | instskip(NEXT) | instid1(VALU_DEP_1)
	v_cmp_eq_u32_e64 s0, 0, v5
	v_cndmask_b32_e64 v27, v6, v8, s0
; %bb.298:                              ;   in Loop: Header=BB377_281 Depth=1
	s_or_b32 exec_lo, exec_lo, s1
	s_waitcnt lgkmcnt(0)
	v_and_b32_e32 v5, 0x7f800000, v1
                                        ; implicit-def: $vgpr28
	s_delay_alu instid0(VALU_DEP_1) | instskip(NEXT) | instid1(VALU_DEP_1)
	v_cmp_ne_u32_e64 s0, 0x7f800000, v5
	s_and_saveexec_b32 s1, s0
	s_delay_alu instid0(SALU_CYCLE_1)
	s_xor_b32 s0, exec_lo, s1
; %bb.299:                              ;   in Loop: Header=BB377_281 Depth=1
	v_bfe_u32 v5, v1, 16, 1
	s_delay_alu instid0(VALU_DEP_1)
	v_add3_u32 v28, v1, v5, 0x7fff
; %bb.300:                              ;   in Loop: Header=BB377_281 Depth=1
	s_and_not1_saveexec_b32 s1, s0
; %bb.301:                              ;   in Loop: Header=BB377_281 Depth=1
	v_and_b32_e32 v5, 0xffff, v1
	v_or_b32_e32 v6, 0x10000, v1
	s_delay_alu instid0(VALU_DEP_2) | instskip(NEXT) | instid1(VALU_DEP_1)
	v_cmp_eq_u32_e64 s0, 0, v5
	v_cndmask_b32_e64 v28, v6, v1, s0
; %bb.302:                              ;   in Loop: Header=BB377_281 Depth=1
	s_or_b32 exec_lo, exec_lo, s1
	v_and_b32_e32 v1, 0x7f800000, v2
                                        ; implicit-def: $vgpr29
	s_delay_alu instid0(VALU_DEP_1) | instskip(NEXT) | instid1(VALU_DEP_1)
	v_cmp_ne_u32_e64 s0, 0x7f800000, v1
	s_and_saveexec_b32 s1, s0
	s_delay_alu instid0(SALU_CYCLE_1)
	s_xor_b32 s0, exec_lo, s1
; %bb.303:                              ;   in Loop: Header=BB377_281 Depth=1
	v_bfe_u32 v1, v2, 16, 1
	s_delay_alu instid0(VALU_DEP_1)
	v_add3_u32 v29, v2, v1, 0x7fff
; %bb.304:                              ;   in Loop: Header=BB377_281 Depth=1
	s_and_not1_saveexec_b32 s1, s0
; %bb.305:                              ;   in Loop: Header=BB377_281 Depth=1
	v_and_b32_e32 v1, 0xffff, v2
	v_or_b32_e32 v5, 0x10000, v2
	s_delay_alu instid0(VALU_DEP_2) | instskip(NEXT) | instid1(VALU_DEP_1)
	v_cmp_eq_u32_e64 s0, 0, v1
	v_cndmask_b32_e64 v29, v5, v2, s0
; %bb.306:                              ;   in Loop: Header=BB377_281 Depth=1
	s_or_b32 exec_lo, exec_lo, s1
	v_and_b32_e32 v1, 0x7f800000, v3
                                        ; implicit-def: $vgpr30
	s_delay_alu instid0(VALU_DEP_1) | instskip(NEXT) | instid1(VALU_DEP_1)
	v_cmp_ne_u32_e64 s0, 0x7f800000, v1
	s_and_saveexec_b32 s1, s0
	s_delay_alu instid0(SALU_CYCLE_1)
	s_xor_b32 s0, exec_lo, s1
; %bb.307:                              ;   in Loop: Header=BB377_281 Depth=1
	v_bfe_u32 v1, v3, 16, 1
	s_delay_alu instid0(VALU_DEP_1)
	v_add3_u32 v30, v3, v1, 0x7fff
; %bb.308:                              ;   in Loop: Header=BB377_281 Depth=1
	s_and_not1_saveexec_b32 s1, s0
; %bb.309:                              ;   in Loop: Header=BB377_281 Depth=1
	v_and_b32_e32 v1, 0xffff, v3
	v_or_b32_e32 v2, 0x10000, v3
	s_delay_alu instid0(VALU_DEP_2) | instskip(NEXT) | instid1(VALU_DEP_1)
	v_cmp_eq_u32_e64 s0, 0, v1
	v_cndmask_b32_e64 v30, v2, v3, s0
; %bb.310:                              ;   in Loop: Header=BB377_281 Depth=1
	s_or_b32 exec_lo, exec_lo, s1
	v_and_b32_e32 v1, 0x7f800000, v4
                                        ; implicit-def: $vgpr31
	s_delay_alu instid0(VALU_DEP_1) | instskip(NEXT) | instid1(VALU_DEP_1)
	v_cmp_ne_u32_e64 s0, 0x7f800000, v1
	s_and_saveexec_b32 s1, s0
	s_delay_alu instid0(SALU_CYCLE_1)
	s_xor_b32 s0, exec_lo, s1
; %bb.311:                              ;   in Loop: Header=BB377_281 Depth=1
	v_bfe_u32 v1, v4, 16, 1
	s_delay_alu instid0(VALU_DEP_1)
	v_add3_u32 v31, v4, v1, 0x7fff
                                        ; implicit-def: $vgpr1_vgpr2_vgpr3_vgpr4
; %bb.312:                              ;   in Loop: Header=BB377_281 Depth=1
	s_and_not1_saveexec_b32 s1, s0
; %bb.313:                              ;   in Loop: Header=BB377_281 Depth=1
	v_and_b32_e32 v1, 0xffff, v4
	v_or_b32_e32 v2, 0x10000, v4
	s_delay_alu instid0(VALU_DEP_2) | instskip(NEXT) | instid1(VALU_DEP_1)
	v_cmp_eq_u32_e64 s0, 0, v1
	v_cndmask_b32_e64 v31, v2, v4, s0
; %bb.314:                              ;   in Loop: Header=BB377_281 Depth=1
	s_or_b32 exec_lo, exec_lo, s1
	s_waitcnt vmcnt(0)
	v_mad_i64_i32 v[1:2], null, v13, s9, s[2:3]
	s_load_b32 s14, s[6:7], 0x0
	s_mov_b32 s1, exec_lo
	v_mov_b32_e32 v7, 0
	s_delay_alu instid0(VALU_DEP_2) | instskip(NEXT) | instid1(VALU_DEP_1)
	v_add_co_u32 v3, s0, v1, v20
	v_add_co_ci_u32_e64 v4, s0, 0, v2, s0
	global_load_b64 v[5:6], v[3:4], off
	s_waitcnt vmcnt(0)
	v_and_b32_e32 v8, 0xff, v5
	s_delay_alu instid0(VALU_DEP_1)
	v_cmpx_ne_u16_e32 0, v8
	s_cbranch_execz .LBB377_320
; %bb.315:                              ;   in Loop: Header=BB377_281 Depth=1
	v_bfrev_b32_e32 v7, 1
	s_mov_b32 s21, exec_lo
	v_cmpx_ne_u16_e32 0x80, v8
	s_cbranch_execz .LBB377_319
; %bb.316:                              ;   in Loop: Header=BB377_281 Depth=1
	v_and_b32_e32 v8, 0x7f, v5
	v_mov_b32_e32 v7, 0x7f800001
	s_mov_b32 s22, exec_lo
	s_delay_alu instid0(VALU_DEP_2)
	v_cmpx_ne_u32_e32 0x7f, v8
	s_cbranch_execz .LBB377_318
; %bb.317:                              ;   in Loop: Header=BB377_281 Depth=1
	v_and_b32_e32 v7, 7, v5
	v_lshrrev_b32_e32 v13, 3, v8
	v_cmp_gt_u32_e64 s0, 8, v8
	s_delay_alu instid0(VALU_DEP_3) | instskip(NEXT) | instid1(VALU_DEP_1)
	v_clz_i32_u32_e32 v7, v7
	v_min_u32_e32 v7, 32, v7
	s_delay_alu instid0(VALU_DEP_1) | instskip(SKIP_1) | instid1(VALU_DEP_1)
	v_subrev_nc_u32_e32 v34, 28, v7
	v_sub_nc_u32_e32 v7, 29, v7
	v_cndmask_b32_e64 v13, v13, v7, s0
	s_delay_alu instid0(VALU_DEP_3) | instskip(NEXT) | instid1(VALU_DEP_2)
	v_cndmask_b32_e64 v7, 0, v34, s0
	v_lshl_add_u32 v13, v13, 23, 0x3c000000
	s_delay_alu instid0(VALU_DEP_2) | instskip(SKIP_1) | instid1(VALU_DEP_2)
	v_lshlrev_b64 v[7:8], v7, v[5:6]
	v_lshlrev_b32_e32 v8, 24, v5
	v_lshlrev_b32_e32 v7, 20, v7
	s_delay_alu instid0(VALU_DEP_2) | instskip(NEXT) | instid1(VALU_DEP_2)
	v_and_b32_e32 v8, 0x80000000, v8
	v_and_b32_e32 v7, 0x700000, v7
	s_delay_alu instid0(VALU_DEP_1)
	v_or3_b32 v7, v7, v8, v13
.LBB377_318:                            ;   in Loop: Header=BB377_281 Depth=1
	s_or_b32 exec_lo, exec_lo, s22
.LBB377_319:                            ;   in Loop: Header=BB377_281 Depth=1
	s_delay_alu instid0(SALU_CYCLE_1)
	s_or_b32 exec_lo, exec_lo, s21
.LBB377_320:                            ;   in Loop: Header=BB377_281 Depth=1
	s_delay_alu instid0(SALU_CYCLE_1) | instskip(SKIP_2) | instid1(VALU_DEP_1)
	s_or_b32 exec_lo, exec_lo, s1
	s_waitcnt lgkmcnt(0)
	v_mul_f32_e32 v7, s14, v7
                                        ; implicit-def: $vgpr34
	v_and_b32_e32 v8, 0x7f800000, v7
	s_delay_alu instid0(VALU_DEP_1) | instskip(NEXT) | instid1(VALU_DEP_1)
	v_cmp_ne_u32_e64 s0, 0x7f800000, v8
	s_and_saveexec_b32 s1, s0
	s_delay_alu instid0(SALU_CYCLE_1)
	s_xor_b32 s0, exec_lo, s1
; %bb.321:                              ;   in Loop: Header=BB377_281 Depth=1
	v_bfe_u32 v8, v7, 16, 1
	s_delay_alu instid0(VALU_DEP_1)
	v_add3_u32 v34, v7, v8, 0x7fff
                                        ; implicit-def: $vgpr7
; %bb.322:                              ;   in Loop: Header=BB377_281 Depth=1
	s_and_not1_saveexec_b32 s1, s0
; %bb.323:                              ;   in Loop: Header=BB377_281 Depth=1
	v_and_b32_e32 v8, 0xffff, v7
	v_or_b32_e32 v13, 0x10000, v7
	s_delay_alu instid0(VALU_DEP_2) | instskip(NEXT) | instid1(VALU_DEP_1)
	v_cmp_eq_u32_e64 s0, 0, v8
	v_cndmask_b32_e64 v34, v13, v7, s0
; %bb.324:                              ;   in Loop: Header=BB377_281 Depth=1
	s_or_b32 exec_lo, exec_lo, s1
	v_lshrrev_b16 v8, 8, v5
	v_mov_b32_e32 v7, 0
	s_mov_b32 s1, exec_lo
	s_delay_alu instid0(VALU_DEP_2)
	v_cmpx_ne_u16_e32 0, v8
	s_cbranch_execz .LBB377_332
; %bb.325:                              ;   in Loop: Header=BB377_281 Depth=1
	v_bfrev_b32_e32 v7, 1
	s_mov_b32 s21, exec_lo
	v_cmpx_ne_u16_e32 0x80, v8
	s_cbranch_execz .LBB377_331
; %bb.326:                              ;   in Loop: Header=BB377_281 Depth=1
	v_and_b32_e32 v13, 0xffff, v8
	v_mov_b32_e32 v7, 0x7f800001
	s_mov_b32 s22, exec_lo
	s_delay_alu instid0(VALU_DEP_2) | instskip(NEXT) | instid1(VALU_DEP_1)
	v_and_b32_e32 v8, 0x7f, v13
	v_cmpx_ne_u32_e32 0x7f, v8
	s_cbranch_execz .LBB377_330
; %bb.327:                              ;   in Loop: Header=BB377_281 Depth=1
	v_and_b32_e32 v13, 7, v13
	v_lshrrev_b32_e32 v7, 3, v8
	s_mov_b32 s23, exec_lo
	v_cmpx_gt_u32_e32 8, v8
; %bb.328:                              ;   in Loop: Header=BB377_281 Depth=1
	s_delay_alu instid0(VALU_DEP_3) | instskip(NEXT) | instid1(VALU_DEP_1)
	v_clz_i32_u32_e32 v7, v13
	v_min_u32_e32 v7, 32, v7
	s_delay_alu instid0(VALU_DEP_1) | instskip(SKIP_1) | instid1(VALU_DEP_2)
	v_subrev_nc_u32_e32 v8, 28, v7
	v_sub_nc_u32_e32 v7, 29, v7
	v_lshlrev_b64 v[35:36], v8, v[13:14]
	s_delay_alu instid0(VALU_DEP_1)
	v_and_b32_e32 v13, 7, v35
; %bb.329:                              ;   in Loop: Header=BB377_281 Depth=1
	s_or_b32 exec_lo, exec_lo, s23
	v_lshlrev_b32_e32 v8, 16, v5
	s_delay_alu instid0(VALU_DEP_2) | instskip(SKIP_1) | instid1(VALU_DEP_3)
	v_lshlrev_b32_e32 v13, 20, v13
	v_lshl_add_u32 v7, v7, 23, 0x3c000000
	v_and_b32_e32 v8, 0x80000000, v8
	s_delay_alu instid0(VALU_DEP_1)
	v_or3_b32 v7, v13, v8, v7
.LBB377_330:                            ;   in Loop: Header=BB377_281 Depth=1
	s_or_b32 exec_lo, exec_lo, s22
.LBB377_331:                            ;   in Loop: Header=BB377_281 Depth=1
	s_delay_alu instid0(SALU_CYCLE_1)
	s_or_b32 exec_lo, exec_lo, s21
.LBB377_332:                            ;   in Loop: Header=BB377_281 Depth=1
	s_delay_alu instid0(SALU_CYCLE_1) | instskip(NEXT) | instid1(VALU_DEP_1)
	s_or_b32 exec_lo, exec_lo, s1
	v_mul_f32_e32 v7, s14, v7
                                        ; implicit-def: $vgpr35
	s_delay_alu instid0(VALU_DEP_1) | instskip(NEXT) | instid1(VALU_DEP_1)
	v_and_b32_e32 v8, 0x7f800000, v7
	v_cmp_ne_u32_e64 s0, 0x7f800000, v8
	s_delay_alu instid0(VALU_DEP_1) | instskip(NEXT) | instid1(SALU_CYCLE_1)
	s_and_saveexec_b32 s1, s0
	s_xor_b32 s0, exec_lo, s1
; %bb.333:                              ;   in Loop: Header=BB377_281 Depth=1
	v_bfe_u32 v8, v7, 16, 1
	s_delay_alu instid0(VALU_DEP_1)
	v_add3_u32 v35, v7, v8, 0x7fff
                                        ; implicit-def: $vgpr7
; %bb.334:                              ;   in Loop: Header=BB377_281 Depth=1
	s_and_not1_saveexec_b32 s1, s0
; %bb.335:                              ;   in Loop: Header=BB377_281 Depth=1
	v_and_b32_e32 v8, 0xffff, v7
	v_or_b32_e32 v13, 0x10000, v7
	s_delay_alu instid0(VALU_DEP_2) | instskip(NEXT) | instid1(VALU_DEP_1)
	v_cmp_eq_u32_e64 s0, 0, v8
	v_cndmask_b32_e64 v35, v13, v7, s0
; %bb.336:                              ;   in Loop: Header=BB377_281 Depth=1
	s_or_b32 exec_lo, exec_lo, s1
	v_lshrrev_b32_e32 v7, 16, v5
	s_mov_b32 s1, exec_lo
	s_delay_alu instid0(VALU_DEP_1) | instskip(NEXT) | instid1(VALU_DEP_1)
	v_dual_mov_b32 v8, 0 :: v_dual_and_b32 v13, 0xff, v7
	v_cmpx_ne_u16_e32 0, v13
	s_cbranch_execz .LBB377_344
; %bb.337:                              ;   in Loop: Header=BB377_281 Depth=1
	v_bfrev_b32_e32 v8, 1
	s_mov_b32 s21, exec_lo
	v_cmpx_ne_u16_e32 0x80, v13
	s_cbranch_execz .LBB377_343
; %bb.338:                              ;   in Loop: Header=BB377_281 Depth=1
	v_bfe_u32 v36, v5, 16, 7
	v_mov_b32_e32 v8, 0x7f800001
	s_mov_b32 s22, exec_lo
	s_delay_alu instid0(VALU_DEP_2)
	v_cmpx_ne_u32_e32 0x7f, v36
	s_cbranch_execz .LBB377_342
; %bb.339:                              ;   in Loop: Header=BB377_281 Depth=1
	v_and_b32_e32 v13, 7, v7
	v_lshrrev_b32_e32 v8, 3, v36
	s_mov_b32 s23, exec_lo
	v_cmpx_gt_u32_e32 8, v36
; %bb.340:                              ;   in Loop: Header=BB377_281 Depth=1
	s_delay_alu instid0(VALU_DEP_3) | instskip(NEXT) | instid1(VALU_DEP_1)
	v_clz_i32_u32_e32 v8, v13
	v_min_u32_e32 v8, 32, v8
	s_delay_alu instid0(VALU_DEP_1) | instskip(SKIP_1) | instid1(VALU_DEP_2)
	v_subrev_nc_u32_e32 v36, 28, v8
	v_sub_nc_u32_e32 v8, 29, v8
	v_lshlrev_b64 v[36:37], v36, v[13:14]
	s_delay_alu instid0(VALU_DEP_1)
	v_and_b32_e32 v13, 7, v36
; %bb.341:                              ;   in Loop: Header=BB377_281 Depth=1
	s_or_b32 exec_lo, exec_lo, s23
	v_lshlrev_b32_e32 v7, 24, v7
	s_delay_alu instid0(VALU_DEP_2) | instskip(SKIP_1) | instid1(VALU_DEP_3)
	v_lshlrev_b32_e32 v13, 20, v13
	v_lshl_add_u32 v8, v8, 23, 0x3c000000
	v_and_b32_e32 v7, 0x80000000, v7
	s_delay_alu instid0(VALU_DEP_1)
	v_or3_b32 v8, v13, v7, v8
.LBB377_342:                            ;   in Loop: Header=BB377_281 Depth=1
	s_or_b32 exec_lo, exec_lo, s22
.LBB377_343:                            ;   in Loop: Header=BB377_281 Depth=1
	s_delay_alu instid0(SALU_CYCLE_1)
	s_or_b32 exec_lo, exec_lo, s21
.LBB377_344:                            ;   in Loop: Header=BB377_281 Depth=1
	s_delay_alu instid0(SALU_CYCLE_1) | instskip(NEXT) | instid1(VALU_DEP_1)
	s_or_b32 exec_lo, exec_lo, s1
	v_mul_f32_e32 v7, s14, v8
                                        ; implicit-def: $vgpr36
	s_delay_alu instid0(VALU_DEP_1) | instskip(NEXT) | instid1(VALU_DEP_1)
	v_and_b32_e32 v8, 0x7f800000, v7
	v_cmp_ne_u32_e64 s0, 0x7f800000, v8
	s_delay_alu instid0(VALU_DEP_1) | instskip(NEXT) | instid1(SALU_CYCLE_1)
	s_and_saveexec_b32 s1, s0
	s_xor_b32 s0, exec_lo, s1
; %bb.345:                              ;   in Loop: Header=BB377_281 Depth=1
	v_bfe_u32 v8, v7, 16, 1
	s_delay_alu instid0(VALU_DEP_1)
	v_add3_u32 v36, v7, v8, 0x7fff
                                        ; implicit-def: $vgpr7
; %bb.346:                              ;   in Loop: Header=BB377_281 Depth=1
	s_and_not1_saveexec_b32 s1, s0
; %bb.347:                              ;   in Loop: Header=BB377_281 Depth=1
	v_and_b32_e32 v8, 0xffff, v7
	v_or_b32_e32 v13, 0x10000, v7
	s_delay_alu instid0(VALU_DEP_2) | instskip(NEXT) | instid1(VALU_DEP_1)
	v_cmp_eq_u32_e64 s0, 0, v8
	v_cndmask_b32_e64 v36, v13, v7, s0
; %bb.348:                              ;   in Loop: Header=BB377_281 Depth=1
	s_or_b32 exec_lo, exec_lo, s1
	v_mov_b32_e32 v8, 0
	s_mov_b32 s1, exec_lo
	v_cmpx_lt_u32_e32 0xffffff, v5
	s_cbranch_execz .LBB377_356
; %bb.349:                              ;   in Loop: Header=BB377_281 Depth=1
	v_lshrrev_b32_e32 v7, 24, v5
	v_bfrev_b32_e32 v8, 1
	s_mov_b32 s21, exec_lo
	s_delay_alu instid0(VALU_DEP_2)
	v_cmpx_ne_u32_e32 0x80, v7
	s_cbranch_execz .LBB377_355
; %bb.350:                              ;   in Loop: Header=BB377_281 Depth=1
	v_bfe_u32 v37, v5, 24, 7
	v_mov_b32_e32 v8, 0x7f800001
	s_mov_b32 s22, exec_lo
	s_delay_alu instid0(VALU_DEP_2)
	v_cmpx_ne_u32_e32 0x7f, v37
	s_cbranch_execz .LBB377_354
; %bb.351:                              ;   in Loop: Header=BB377_281 Depth=1
	v_and_b32_e32 v13, 7, v7
	v_lshrrev_b32_e32 v8, 3, v37
	s_mov_b32 s23, exec_lo
	v_cmpx_gt_u32_e32 8, v37
; %bb.352:                              ;   in Loop: Header=BB377_281 Depth=1
	s_delay_alu instid0(VALU_DEP_3) | instskip(NEXT) | instid1(VALU_DEP_1)
	v_clz_i32_u32_e32 v8, v13
	v_min_u32_e32 v8, 32, v8
	s_delay_alu instid0(VALU_DEP_1) | instskip(SKIP_1) | instid1(VALU_DEP_2)
	v_subrev_nc_u32_e32 v37, 28, v8
	v_sub_nc_u32_e32 v8, 29, v8
	v_lshlrev_b64 v[37:38], v37, v[13:14]
	s_delay_alu instid0(VALU_DEP_1)
	v_and_b32_e32 v13, 7, v37
; %bb.353:                              ;   in Loop: Header=BB377_281 Depth=1
	s_or_b32 exec_lo, exec_lo, s23
	v_lshlrev_b32_e32 v7, 24, v7
	s_delay_alu instid0(VALU_DEP_2) | instskip(SKIP_1) | instid1(VALU_DEP_3)
	v_lshlrev_b32_e32 v13, 20, v13
	v_lshl_add_u32 v8, v8, 23, 0x3c000000
	v_and_b32_e32 v7, 0x80000000, v7
	s_delay_alu instid0(VALU_DEP_1)
	v_or3_b32 v8, v13, v7, v8
.LBB377_354:                            ;   in Loop: Header=BB377_281 Depth=1
	s_or_b32 exec_lo, exec_lo, s22
.LBB377_355:                            ;   in Loop: Header=BB377_281 Depth=1
	s_delay_alu instid0(SALU_CYCLE_1)
	s_or_b32 exec_lo, exec_lo, s21
.LBB377_356:                            ;   in Loop: Header=BB377_281 Depth=1
	s_delay_alu instid0(SALU_CYCLE_1) | instskip(NEXT) | instid1(VALU_DEP_1)
	s_or_b32 exec_lo, exec_lo, s1
	v_mul_f32_e32 v7, s14, v8
                                        ; implicit-def: $vgpr37
	s_delay_alu instid0(VALU_DEP_1) | instskip(NEXT) | instid1(VALU_DEP_1)
	v_and_b32_e32 v8, 0x7f800000, v7
	v_cmp_ne_u32_e64 s0, 0x7f800000, v8
	s_delay_alu instid0(VALU_DEP_1) | instskip(NEXT) | instid1(SALU_CYCLE_1)
	s_and_saveexec_b32 s1, s0
	s_xor_b32 s0, exec_lo, s1
; %bb.357:                              ;   in Loop: Header=BB377_281 Depth=1
	v_bfe_u32 v8, v7, 16, 1
	s_delay_alu instid0(VALU_DEP_1)
	v_add3_u32 v37, v7, v8, 0x7fff
                                        ; implicit-def: $vgpr7
; %bb.358:                              ;   in Loop: Header=BB377_281 Depth=1
	s_and_not1_saveexec_b32 s1, s0
; %bb.359:                              ;   in Loop: Header=BB377_281 Depth=1
	v_and_b32_e32 v8, 0xffff, v7
	v_or_b32_e32 v13, 0x10000, v7
	s_delay_alu instid0(VALU_DEP_2) | instskip(NEXT) | instid1(VALU_DEP_1)
	v_cmp_eq_u32_e64 s0, 0, v8
	v_cndmask_b32_e64 v37, v13, v7, s0
; %bb.360:                              ;   in Loop: Header=BB377_281 Depth=1
	s_or_b32 exec_lo, exec_lo, s1
	v_dual_mov_b32 v13, v6 :: v_dual_and_b32 v8, 0xff, v6
	v_mov_b32_e32 v7, 0
	s_mov_b32 s1, exec_lo
	s_delay_alu instid0(VALU_DEP_2)
	v_cmpx_ne_u16_e32 0, v8
	s_cbranch_execz .LBB377_366
; %bb.361:                              ;   in Loop: Header=BB377_281 Depth=1
	v_bfrev_b32_e32 v7, 1
	s_mov_b32 s21, exec_lo
	v_cmpx_ne_u16_e32 0x80, v8
	s_cbranch_execz .LBB377_365
; %bb.362:                              ;   in Loop: Header=BB377_281 Depth=1
	v_and_b32_e32 v8, 0x7f, v6
	v_mov_b32_e32 v7, 0x7f800001
	s_mov_b32 s22, exec_lo
	s_delay_alu instid0(VALU_DEP_2)
	v_cmpx_ne_u32_e32 0x7f, v8
	s_cbranch_execz .LBB377_364
; %bb.363:                              ;   in Loop: Header=BB377_281 Depth=1
	v_and_b32_e32 v7, 7, v6
	v_lshrrev_b32_e32 v38, 3, v8
	v_cmp_gt_u32_e64 s0, 8, v8
	s_delay_alu instid0(VALU_DEP_3) | instskip(NEXT) | instid1(VALU_DEP_1)
	v_clz_i32_u32_e32 v7, v7
	v_min_u32_e32 v7, 32, v7
	s_delay_alu instid0(VALU_DEP_1) | instskip(SKIP_1) | instid1(VALU_DEP_1)
	v_subrev_nc_u32_e32 v39, 28, v7
	v_sub_nc_u32_e32 v7, 29, v7
	v_cndmask_b32_e64 v38, v38, v7, s0
	s_delay_alu instid0(VALU_DEP_3) | instskip(NEXT) | instid1(VALU_DEP_2)
	v_cndmask_b32_e64 v7, 0, v39, s0
	v_lshl_add_u32 v38, v38, 23, 0x3c000000
	s_delay_alu instid0(VALU_DEP_2) | instskip(SKIP_1) | instid1(VALU_DEP_2)
	v_lshlrev_b64 v[7:8], v7, v[13:14]
	v_lshlrev_b32_e32 v8, 24, v13
	v_lshlrev_b32_e32 v7, 20, v7
	s_delay_alu instid0(VALU_DEP_2) | instskip(NEXT) | instid1(VALU_DEP_2)
	v_and_b32_e32 v8, 0x80000000, v8
	v_and_b32_e32 v7, 0x700000, v7
	s_delay_alu instid0(VALU_DEP_1)
	v_or3_b32 v7, v7, v8, v38
.LBB377_364:                            ;   in Loop: Header=BB377_281 Depth=1
	s_or_b32 exec_lo, exec_lo, s22
.LBB377_365:                            ;   in Loop: Header=BB377_281 Depth=1
	s_delay_alu instid0(SALU_CYCLE_1)
	s_or_b32 exec_lo, exec_lo, s21
.LBB377_366:                            ;   in Loop: Header=BB377_281 Depth=1
	s_delay_alu instid0(SALU_CYCLE_1) | instskip(NEXT) | instid1(VALU_DEP_1)
	s_or_b32 exec_lo, exec_lo, s1
	v_mul_f32_e32 v7, s14, v7
                                        ; implicit-def: $vgpr38
	s_delay_alu instid0(VALU_DEP_1) | instskip(NEXT) | instid1(VALU_DEP_1)
	v_and_b32_e32 v8, 0x7f800000, v7
	v_cmp_ne_u32_e64 s0, 0x7f800000, v8
	s_delay_alu instid0(VALU_DEP_1) | instskip(NEXT) | instid1(SALU_CYCLE_1)
	s_and_saveexec_b32 s1, s0
	s_xor_b32 s0, exec_lo, s1
; %bb.367:                              ;   in Loop: Header=BB377_281 Depth=1
	v_bfe_u32 v8, v7, 16, 1
	s_delay_alu instid0(VALU_DEP_1)
	v_add3_u32 v38, v7, v8, 0x7fff
                                        ; implicit-def: $vgpr7
; %bb.368:                              ;   in Loop: Header=BB377_281 Depth=1
	s_and_not1_saveexec_b32 s1, s0
; %bb.369:                              ;   in Loop: Header=BB377_281 Depth=1
	v_and_b32_e32 v8, 0xffff, v7
	v_or_b32_e32 v38, 0x10000, v7
	s_delay_alu instid0(VALU_DEP_2) | instskip(NEXT) | instid1(VALU_DEP_1)
	v_cmp_eq_u32_e64 s0, 0, v8
	v_cndmask_b32_e64 v38, v38, v7, s0
; %bb.370:                              ;   in Loop: Header=BB377_281 Depth=1
	s_or_b32 exec_lo, exec_lo, s1
	v_lshrrev_b16 v8, 8, v13
	v_mov_b32_e32 v7, 0
	s_mov_b32 s1, exec_lo
	s_delay_alu instid0(VALU_DEP_2)
	v_cmpx_ne_u16_e32 0, v8
	s_cbranch_execz .LBB377_378
; %bb.371:                              ;   in Loop: Header=BB377_281 Depth=1
	v_bfrev_b32_e32 v7, 1
	s_mov_b32 s21, exec_lo
	v_cmpx_ne_u16_e32 0x80, v8
	s_cbranch_execz .LBB377_377
; %bb.372:                              ;   in Loop: Header=BB377_281 Depth=1
	v_and_b32_e32 v8, 0xffff, v8
	v_mov_b32_e32 v7, 0x7f800001
	s_mov_b32 s22, exec_lo
	s_delay_alu instid0(VALU_DEP_2) | instskip(NEXT) | instid1(VALU_DEP_1)
	v_and_b32_e32 v40, 0x7f, v8
	v_cmpx_ne_u32_e32 0x7f, v40
	s_cbranch_execz .LBB377_376
; %bb.373:                              ;   in Loop: Header=BB377_281 Depth=1
	v_dual_mov_b32 v8, v14 :: v_dual_and_b32 v7, 7, v8
	v_lshrrev_b32_e32 v39, 3, v40
	s_mov_b32 s23, exec_lo
	v_cmpx_gt_u32_e32 8, v40
; %bb.374:                              ;   in Loop: Header=BB377_281 Depth=1
	s_delay_alu instid0(VALU_DEP_3) | instskip(NEXT) | instid1(VALU_DEP_1)
	v_clz_i32_u32_e32 v39, v7
	v_min_u32_e32 v39, 32, v39
	s_delay_alu instid0(VALU_DEP_1) | instskip(SKIP_1) | instid1(VALU_DEP_2)
	v_subrev_nc_u32_e32 v40, 28, v39
	v_sub_nc_u32_e32 v39, 29, v39
	v_lshlrev_b64 v[7:8], v40, v[7:8]
	s_delay_alu instid0(VALU_DEP_1)
	v_and_b32_e32 v7, 7, v7
; %bb.375:                              ;   in Loop: Header=BB377_281 Depth=1
	s_or_b32 exec_lo, exec_lo, s23
	v_lshlrev_b32_e32 v8, 16, v13
	s_delay_alu instid0(VALU_DEP_2) | instskip(SKIP_1) | instid1(VALU_DEP_3)
	v_lshlrev_b32_e32 v7, 20, v7
	v_lshl_add_u32 v13, v39, 23, 0x3c000000
	v_and_b32_e32 v8, 0x80000000, v8
	s_delay_alu instid0(VALU_DEP_1)
	v_or3_b32 v7, v7, v8, v13
.LBB377_376:                            ;   in Loop: Header=BB377_281 Depth=1
	s_or_b32 exec_lo, exec_lo, s22
.LBB377_377:                            ;   in Loop: Header=BB377_281 Depth=1
	s_delay_alu instid0(SALU_CYCLE_1)
	s_or_b32 exec_lo, exec_lo, s21
.LBB377_378:                            ;   in Loop: Header=BB377_281 Depth=1
	s_delay_alu instid0(SALU_CYCLE_1) | instskip(NEXT) | instid1(VALU_DEP_1)
	s_or_b32 exec_lo, exec_lo, s1
	v_mul_f32_e32 v8, s14, v7
	s_delay_alu instid0(VALU_DEP_1) | instskip(NEXT) | instid1(VALU_DEP_1)
	v_and_b32_e32 v7, 0x7f800000, v8
	v_cmp_ne_u32_e64 s0, 0x7f800000, v7
                                        ; implicit-def: $vgpr7
	s_delay_alu instid0(VALU_DEP_1) | instskip(NEXT) | instid1(SALU_CYCLE_1)
	s_and_saveexec_b32 s1, s0
	s_xor_b32 s0, exec_lo, s1
; %bb.379:                              ;   in Loop: Header=BB377_281 Depth=1
	v_bfe_u32 v7, v8, 16, 1
	s_delay_alu instid0(VALU_DEP_1)
	v_add3_u32 v7, v8, v7, 0x7fff
                                        ; implicit-def: $vgpr8
; %bb.380:                              ;   in Loop: Header=BB377_281 Depth=1
	s_and_not1_saveexec_b32 s1, s0
; %bb.381:                              ;   in Loop: Header=BB377_281 Depth=1
	v_and_b32_e32 v7, 0xffff, v8
	v_or_b32_e32 v13, 0x10000, v8
	s_delay_alu instid0(VALU_DEP_2) | instskip(NEXT) | instid1(VALU_DEP_1)
	v_cmp_eq_u32_e64 s0, 0, v7
	v_cndmask_b32_e64 v7, v13, v8, s0
; %bb.382:                              ;   in Loop: Header=BB377_281 Depth=1
	s_or_b32 exec_lo, exec_lo, s1
	v_lshrrev_b32_e32 v8, 16, v6
	v_mov_b32_e32 v13, 0
	s_mov_b32 s1, exec_lo
	s_delay_alu instid0(VALU_DEP_2) | instskip(NEXT) | instid1(VALU_DEP_1)
	v_and_b32_e32 v39, 0xff, v8
	v_cmpx_ne_u16_e32 0, v39
	s_cbranch_execz .LBB377_390
; %bb.383:                              ;   in Loop: Header=BB377_281 Depth=1
	v_bfrev_b32_e32 v13, 1
	s_mov_b32 s21, exec_lo
	v_cmpx_ne_u16_e32 0x80, v39
	s_cbranch_execz .LBB377_389
; %bb.384:                              ;   in Loop: Header=BB377_281 Depth=1
	v_bfe_u32 v40, v6, 16, 7
	v_mov_b32_e32 v13, 0x7f800001
	s_mov_b32 s22, exec_lo
	s_delay_alu instid0(VALU_DEP_2)
	v_cmpx_ne_u32_e32 0x7f, v40
	s_cbranch_execz .LBB377_388
; %bb.385:                              ;   in Loop: Header=BB377_281 Depth=1
	v_and_b32_e32 v13, 7, v8
	v_lshrrev_b32_e32 v39, 3, v40
	s_mov_b32 s23, exec_lo
	v_cmpx_gt_u32_e32 8, v40
; %bb.386:                              ;   in Loop: Header=BB377_281 Depth=1
	s_delay_alu instid0(VALU_DEP_3) | instskip(NEXT) | instid1(VALU_DEP_1)
	v_clz_i32_u32_e32 v39, v13
	v_min_u32_e32 v39, 32, v39
	s_delay_alu instid0(VALU_DEP_1) | instskip(SKIP_1) | instid1(VALU_DEP_2)
	v_subrev_nc_u32_e32 v40, 28, v39
	v_sub_nc_u32_e32 v39, 29, v39
	v_lshlrev_b64 v[40:41], v40, v[13:14]
	s_delay_alu instid0(VALU_DEP_1)
	v_and_b32_e32 v13, 7, v40
; %bb.387:                              ;   in Loop: Header=BB377_281 Depth=1
	s_or_b32 exec_lo, exec_lo, s23
	v_lshlrev_b32_e32 v8, 24, v8
	s_delay_alu instid0(VALU_DEP_2) | instskip(SKIP_1) | instid1(VALU_DEP_3)
	v_lshlrev_b32_e32 v13, 20, v13
	v_lshl_add_u32 v39, v39, 23, 0x3c000000
	v_and_b32_e32 v8, 0x80000000, v8
	s_delay_alu instid0(VALU_DEP_1)
	v_or3_b32 v13, v13, v8, v39
.LBB377_388:                            ;   in Loop: Header=BB377_281 Depth=1
	s_or_b32 exec_lo, exec_lo, s22
.LBB377_389:                            ;   in Loop: Header=BB377_281 Depth=1
	s_delay_alu instid0(SALU_CYCLE_1)
	s_or_b32 exec_lo, exec_lo, s21
.LBB377_390:                            ;   in Loop: Header=BB377_281 Depth=1
	s_delay_alu instid0(SALU_CYCLE_1) | instskip(NEXT) | instid1(VALU_DEP_1)
	s_or_b32 exec_lo, exec_lo, s1
	v_mul_f32_e32 v13, s14, v13
	s_delay_alu instid0(VALU_DEP_1) | instskip(NEXT) | instid1(VALU_DEP_1)
	v_and_b32_e32 v8, 0x7f800000, v13
	v_cmp_ne_u32_e64 s0, 0x7f800000, v8
                                        ; implicit-def: $vgpr8
	s_delay_alu instid0(VALU_DEP_1) | instskip(NEXT) | instid1(SALU_CYCLE_1)
	s_and_saveexec_b32 s1, s0
	s_xor_b32 s0, exec_lo, s1
; %bb.391:                              ;   in Loop: Header=BB377_281 Depth=1
	v_bfe_u32 v8, v13, 16, 1
	s_delay_alu instid0(VALU_DEP_1)
	v_add3_u32 v8, v13, v8, 0x7fff
                                        ; implicit-def: $vgpr13
; %bb.392:                              ;   in Loop: Header=BB377_281 Depth=1
	s_and_not1_saveexec_b32 s1, s0
; %bb.393:                              ;   in Loop: Header=BB377_281 Depth=1
	v_and_b32_e32 v8, 0xffff, v13
	v_or_b32_e32 v39, 0x10000, v13
	s_delay_alu instid0(VALU_DEP_2) | instskip(NEXT) | instid1(VALU_DEP_1)
	v_cmp_eq_u32_e64 s0, 0, v8
	v_cndmask_b32_e64 v8, v39, v13, s0
; %bb.394:                              ;   in Loop: Header=BB377_281 Depth=1
	s_or_b32 exec_lo, exec_lo, s1
	v_mov_b32_e32 v13, 0
	s_mov_b32 s1, exec_lo
	v_cmpx_lt_u64_e64 s[10:11], v[5:6]
	s_cbranch_execz .LBB377_402
; %bb.395:                              ;   in Loop: Header=BB377_281 Depth=1
	v_lshrrev_b32_e32 v5, 24, v6
	v_bfrev_b32_e32 v13, 1
	s_mov_b32 s21, exec_lo
	s_delay_alu instid0(VALU_DEP_2)
	v_cmpx_ne_u32_e32 0x80, v5
	s_cbranch_execz .LBB377_401
; %bb.396:                              ;   in Loop: Header=BB377_281 Depth=1
	v_bfe_u32 v39, v6, 24, 7
	v_mov_b32_e32 v13, 0x7f800001
	s_mov_b32 s22, exec_lo
	s_delay_alu instid0(VALU_DEP_2)
	v_cmpx_ne_u32_e32 0x7f, v39
	s_cbranch_execz .LBB377_400
; %bb.397:                              ;   in Loop: Header=BB377_281 Depth=1
	v_and_b32_e32 v13, 7, v5
	v_lshrrev_b32_e32 v6, 3, v39
	s_mov_b32 s23, exec_lo
	v_cmpx_gt_u32_e32 8, v39
; %bb.398:                              ;   in Loop: Header=BB377_281 Depth=1
	s_delay_alu instid0(VALU_DEP_3) | instskip(NEXT) | instid1(VALU_DEP_1)
	v_clz_i32_u32_e32 v6, v13
	v_min_u32_e32 v6, 32, v6
	s_delay_alu instid0(VALU_DEP_1) | instskip(SKIP_1) | instid1(VALU_DEP_2)
	v_subrev_nc_u32_e32 v39, 28, v6
	v_sub_nc_u32_e32 v6, 29, v6
	v_lshlrev_b64 v[39:40], v39, v[13:14]
	s_delay_alu instid0(VALU_DEP_1)
	v_and_b32_e32 v13, 7, v39
; %bb.399:                              ;   in Loop: Header=BB377_281 Depth=1
	s_or_b32 exec_lo, exec_lo, s23
	v_lshlrev_b32_e32 v5, 24, v5
	s_delay_alu instid0(VALU_DEP_2) | instskip(SKIP_1) | instid1(VALU_DEP_3)
	v_lshlrev_b32_e32 v13, 20, v13
	v_lshl_add_u32 v6, v6, 23, 0x3c000000
	v_and_b32_e32 v5, 0x80000000, v5
	s_delay_alu instid0(VALU_DEP_1)
	v_or3_b32 v13, v13, v5, v6
.LBB377_400:                            ;   in Loop: Header=BB377_281 Depth=1
	s_or_b32 exec_lo, exec_lo, s22
.LBB377_401:                            ;   in Loop: Header=BB377_281 Depth=1
	s_delay_alu instid0(SALU_CYCLE_1)
	s_or_b32 exec_lo, exec_lo, s21
.LBB377_402:                            ;   in Loop: Header=BB377_281 Depth=1
	s_delay_alu instid0(SALU_CYCLE_1) | instskip(NEXT) | instid1(VALU_DEP_1)
	s_or_b32 exec_lo, exec_lo, s1
	v_mul_f32_e32 v6, s14, v13
	s_delay_alu instid0(VALU_DEP_1) | instskip(NEXT) | instid1(VALU_DEP_1)
	v_and_b32_e32 v5, 0x7f800000, v6
	v_cmp_ne_u32_e64 s0, 0x7f800000, v5
                                        ; implicit-def: $vgpr5
	s_delay_alu instid0(VALU_DEP_1) | instskip(NEXT) | instid1(SALU_CYCLE_1)
	s_and_saveexec_b32 s1, s0
	s_xor_b32 s0, exec_lo, s1
; %bb.403:                              ;   in Loop: Header=BB377_281 Depth=1
	v_bfe_u32 v5, v6, 16, 1
	s_delay_alu instid0(VALU_DEP_1)
	v_add3_u32 v5, v6, v5, 0x7fff
                                        ; implicit-def: $vgpr6
; %bb.404:                              ;   in Loop: Header=BB377_281 Depth=1
	s_and_not1_saveexec_b32 s1, s0
; %bb.405:                              ;   in Loop: Header=BB377_281 Depth=1
	v_and_b32_e32 v5, 0xffff, v6
	v_or_b32_e32 v13, 0x10000, v6
	s_delay_alu instid0(VALU_DEP_2) | instskip(NEXT) | instid1(VALU_DEP_1)
	v_cmp_eq_u32_e64 s0, 0, v5
	v_cndmask_b32_e64 v5, v13, v6, s0
; %bb.406:                              ;   in Loop: Header=BB377_281 Depth=1
	s_or_b32 exec_lo, exec_lo, s1
	v_cmp_eq_u32_e64 s0, s20, v12
	v_lshrrev_b32_e32 v13, 16, v7
	v_lshrrev_b32_e32 v38, 16, v38
	;; [unrolled: 1-line block ×8, first 2 shown]
	s_and_saveexec_b32 s21, s0
	s_cbranch_execz .LBB377_408
; %bb.407:                              ;   in Loop: Header=BB377_281 Depth=1
	v_add_nc_u32_e32 v7, 1, v23
	v_cmp_gt_i32_e64 s1, s15, v23
	v_add_nc_u32_e32 v8, 2, v23
	v_add_nc_u32_e32 v39, 3, v23
	s_delay_alu instid0(VALU_DEP_3) | instskip(SKIP_2) | instid1(VALU_DEP_2)
	v_cndmask_b32_e64 v34, 0, v34, s1
	v_cmp_gt_i32_e64 s1, s15, v7
	v_add_nc_u32_e32 v7, 4, v23
	v_cndmask_b32_e64 v35, 0, v35, s1
	v_cmp_gt_i32_e64 s1, s15, v8
	v_add_nc_u32_e32 v8, 5, v23
	s_delay_alu instid0(VALU_DEP_2) | instskip(SKIP_2) | instid1(VALU_DEP_2)
	v_cndmask_b32_e64 v36, 0, v36, s1
	v_cmp_gt_i32_e64 s1, s15, v39
	v_add_nc_u32_e32 v39, 6, v23
	v_cndmask_b32_e64 v37, 0, v37, s1
	v_cmp_gt_i32_e64 s1, s15, v7
	v_add_nc_u32_e32 v7, 7, v23
	s_delay_alu instid0(VALU_DEP_2) | instskip(SKIP_1) | instid1(VALU_DEP_1)
	v_cndmask_b32_e64 v38, 0, v38, s1
	v_cmp_gt_i32_e64 s1, s15, v8
	v_cndmask_b32_e64 v13, 0, v13, s1
	v_cmp_gt_i32_e64 s1, s15, v39
	s_delay_alu instid0(VALU_DEP_1) | instskip(SKIP_1) | instid1(VALU_DEP_1)
	v_cndmask_b32_e64 v6, 0, v6, s1
	v_cmp_gt_i32_e64 s1, s15, v7
	v_cndmask_b32_e64 v5, 0, v5, s1
.LBB377_408:                            ;   in Loop: Header=BB377_281 Depth=1
	s_or_b32 exec_lo, exec_lo, s21
	v_and_b32_e32 v7, 0xffff0000, v32
	v_lshlrev_b32_e32 v8, 16, v34
	s_delay_alu instid0(VALU_DEP_1) | instskip(NEXT) | instid1(VALU_DEP_1)
	v_mul_f32_e32 v8, v7, v8
	v_and_b32_e32 v32, 0x7f800000, v8
	s_delay_alu instid0(VALU_DEP_1) | instskip(NEXT) | instid1(VALU_DEP_1)
	v_cmp_ne_u32_e64 s1, 0x7f800000, v32
                                        ; implicit-def: $vgpr32
	s_and_saveexec_b32 s21, s1
	s_delay_alu instid0(SALU_CYCLE_1)
	s_xor_b32 s1, exec_lo, s21
; %bb.409:                              ;   in Loop: Header=BB377_281 Depth=1
	v_bfe_u32 v32, v8, 16, 1
	s_delay_alu instid0(VALU_DEP_1)
	v_add3_u32 v32, v8, v32, 0x7fff
                                        ; implicit-def: $vgpr8
; %bb.410:                              ;   in Loop: Header=BB377_281 Depth=1
	s_and_not1_saveexec_b32 s21, s1
; %bb.411:                              ;   in Loop: Header=BB377_281 Depth=1
	v_and_b32_e32 v32, 0xffff, v8
	v_or_b32_e32 v34, 0x10000, v8
	s_delay_alu instid0(VALU_DEP_2) | instskip(NEXT) | instid1(VALU_DEP_1)
	v_cmp_eq_u32_e64 s1, 0, v32
	v_cndmask_b32_e64 v32, v34, v8, s1
; %bb.412:                              ;   in Loop: Header=BB377_281 Depth=1
	s_or_b32 exec_lo, exec_lo, s21
	v_and_b32_e32 v8, 0xffff0000, v33
	v_lshlrev_b32_e32 v33, 16, v35
	s_delay_alu instid0(VALU_DEP_1) | instskip(NEXT) | instid1(VALU_DEP_1)
	v_mul_f32_e32 v34, v8, v33
	v_and_b32_e32 v33, 0x7f800000, v34
	s_delay_alu instid0(VALU_DEP_1) | instskip(NEXT) | instid1(VALU_DEP_1)
	v_cmp_ne_u32_e64 s1, 0x7f800000, v33
                                        ; implicit-def: $vgpr33
	s_and_saveexec_b32 s21, s1
	s_delay_alu instid0(SALU_CYCLE_1)
	s_xor_b32 s1, exec_lo, s21
; %bb.413:                              ;   in Loop: Header=BB377_281 Depth=1
	v_bfe_u32 v33, v34, 16, 1
	s_delay_alu instid0(VALU_DEP_1)
	v_add3_u32 v33, v34, v33, 0x7fff
                                        ; implicit-def: $vgpr34
; %bb.414:                              ;   in Loop: Header=BB377_281 Depth=1
	s_and_not1_saveexec_b32 s21, s1
; %bb.415:                              ;   in Loop: Header=BB377_281 Depth=1
	v_and_b32_e32 v33, 0xffff, v34
	v_or_b32_e32 v35, 0x10000, v34
	s_delay_alu instid0(VALU_DEP_2) | instskip(NEXT) | instid1(VALU_DEP_1)
	v_cmp_eq_u32_e64 s1, 0, v33
	v_cndmask_b32_e64 v33, v35, v34, s1
; %bb.416:                              ;   in Loop: Header=BB377_281 Depth=1
	s_or_b32 exec_lo, exec_lo, s21
	v_and_b32_e32 v26, 0xffff0000, v26
	v_lshlrev_b32_e32 v34, 16, v36
	s_delay_alu instid0(VALU_DEP_1) | instskip(NEXT) | instid1(VALU_DEP_1)
	v_mul_f32_e32 v35, v26, v34
	v_and_b32_e32 v34, 0x7f800000, v35
	s_delay_alu instid0(VALU_DEP_1) | instskip(NEXT) | instid1(VALU_DEP_1)
	v_cmp_ne_u32_e64 s1, 0x7f800000, v34
                                        ; implicit-def: $vgpr34
	s_and_saveexec_b32 s21, s1
	s_delay_alu instid0(SALU_CYCLE_1)
	s_xor_b32 s1, exec_lo, s21
; %bb.417:                              ;   in Loop: Header=BB377_281 Depth=1
	v_bfe_u32 v34, v35, 16, 1
	s_delay_alu instid0(VALU_DEP_1)
	v_add3_u32 v34, v35, v34, 0x7fff
                                        ; implicit-def: $vgpr35
; %bb.418:                              ;   in Loop: Header=BB377_281 Depth=1
	s_and_not1_saveexec_b32 s21, s1
; %bb.419:                              ;   in Loop: Header=BB377_281 Depth=1
	v_and_b32_e32 v34, 0xffff, v35
	v_or_b32_e32 v36, 0x10000, v35
	s_delay_alu instid0(VALU_DEP_2) | instskip(NEXT) | instid1(VALU_DEP_1)
	v_cmp_eq_u32_e64 s1, 0, v34
	v_cndmask_b32_e64 v34, v36, v35, s1
; %bb.420:                              ;   in Loop: Header=BB377_281 Depth=1
	s_or_b32 exec_lo, exec_lo, s21
	v_and_b32_e32 v27, 0xffff0000, v27
	v_lshlrev_b32_e32 v35, 16, v37
	s_delay_alu instid0(VALU_DEP_1) | instskip(NEXT) | instid1(VALU_DEP_1)
	v_mul_f32_e32 v36, v27, v35
	v_and_b32_e32 v35, 0x7f800000, v36
	s_delay_alu instid0(VALU_DEP_1) | instskip(NEXT) | instid1(VALU_DEP_1)
	v_cmp_ne_u32_e64 s1, 0x7f800000, v35
                                        ; implicit-def: $vgpr35
	s_and_saveexec_b32 s21, s1
	s_delay_alu instid0(SALU_CYCLE_1)
	s_xor_b32 s1, exec_lo, s21
; %bb.421:                              ;   in Loop: Header=BB377_281 Depth=1
	v_bfe_u32 v35, v36, 16, 1
	s_delay_alu instid0(VALU_DEP_1)
	v_add3_u32 v35, v36, v35, 0x7fff
                                        ; implicit-def: $vgpr36
; %bb.422:                              ;   in Loop: Header=BB377_281 Depth=1
	s_and_not1_saveexec_b32 s21, s1
; %bb.423:                              ;   in Loop: Header=BB377_281 Depth=1
	v_and_b32_e32 v35, 0xffff, v36
	v_or_b32_e32 v37, 0x10000, v36
	s_delay_alu instid0(VALU_DEP_2) | instskip(NEXT) | instid1(VALU_DEP_1)
	v_cmp_eq_u32_e64 s1, 0, v35
	v_cndmask_b32_e64 v35, v37, v36, s1
; %bb.424:                              ;   in Loop: Header=BB377_281 Depth=1
	s_or_b32 exec_lo, exec_lo, s21
	v_and_b32_e32 v28, 0xffff0000, v28
	v_lshlrev_b32_e32 v36, 16, v38
	s_delay_alu instid0(VALU_DEP_1) | instskip(NEXT) | instid1(VALU_DEP_1)
	v_mul_f32_e32 v37, v28, v36
	v_and_b32_e32 v36, 0x7f800000, v37
	s_delay_alu instid0(VALU_DEP_1) | instskip(NEXT) | instid1(VALU_DEP_1)
	v_cmp_ne_u32_e64 s1, 0x7f800000, v36
                                        ; implicit-def: $vgpr36
	s_and_saveexec_b32 s21, s1
	s_delay_alu instid0(SALU_CYCLE_1)
	s_xor_b32 s1, exec_lo, s21
; %bb.425:                              ;   in Loop: Header=BB377_281 Depth=1
	v_bfe_u32 v36, v37, 16, 1
	s_delay_alu instid0(VALU_DEP_1)
	v_add3_u32 v36, v37, v36, 0x7fff
                                        ; implicit-def: $vgpr37
; %bb.426:                              ;   in Loop: Header=BB377_281 Depth=1
	s_and_not1_saveexec_b32 s21, s1
; %bb.427:                              ;   in Loop: Header=BB377_281 Depth=1
	v_and_b32_e32 v36, 0xffff, v37
	v_or_b32_e32 v38, 0x10000, v37
	s_delay_alu instid0(VALU_DEP_2) | instskip(NEXT) | instid1(VALU_DEP_1)
	v_cmp_eq_u32_e64 s1, 0, v36
	v_cndmask_b32_e64 v36, v38, v37, s1
; %bb.428:                              ;   in Loop: Header=BB377_281 Depth=1
	s_or_b32 exec_lo, exec_lo, s21
	v_and_b32_e32 v29, 0xffff0000, v29
	v_lshlrev_b32_e32 v13, 16, v13
	s_delay_alu instid0(VALU_DEP_1) | instskip(NEXT) | instid1(VALU_DEP_1)
	v_mul_f32_e32 v13, v29, v13
	v_and_b32_e32 v37, 0x7f800000, v13
	s_delay_alu instid0(VALU_DEP_1) | instskip(NEXT) | instid1(VALU_DEP_1)
	v_cmp_ne_u32_e64 s1, 0x7f800000, v37
                                        ; implicit-def: $vgpr37
	s_and_saveexec_b32 s21, s1
	s_delay_alu instid0(SALU_CYCLE_1)
	s_xor_b32 s1, exec_lo, s21
; %bb.429:                              ;   in Loop: Header=BB377_281 Depth=1
	v_bfe_u32 v37, v13, 16, 1
	s_delay_alu instid0(VALU_DEP_1)
	v_add3_u32 v37, v13, v37, 0x7fff
                                        ; implicit-def: $vgpr13
; %bb.430:                              ;   in Loop: Header=BB377_281 Depth=1
	s_and_not1_saveexec_b32 s21, s1
; %bb.431:                              ;   in Loop: Header=BB377_281 Depth=1
	v_and_b32_e32 v37, 0xffff, v13
	v_or_b32_e32 v38, 0x10000, v13
	s_delay_alu instid0(VALU_DEP_2) | instskip(NEXT) | instid1(VALU_DEP_1)
	v_cmp_eq_u32_e64 s1, 0, v37
	v_cndmask_b32_e64 v37, v38, v13, s1
; %bb.432:                              ;   in Loop: Header=BB377_281 Depth=1
	s_or_b32 exec_lo, exec_lo, s21
	v_and_b32_e32 v30, 0xffff0000, v30
	v_lshlrev_b32_e32 v6, 16, v6
                                        ; implicit-def: $vgpr38
	s_delay_alu instid0(VALU_DEP_1) | instskip(NEXT) | instid1(VALU_DEP_1)
	v_mul_f32_e32 v6, v30, v6
	v_and_b32_e32 v13, 0x7f800000, v6
	s_delay_alu instid0(VALU_DEP_1) | instskip(NEXT) | instid1(VALU_DEP_1)
	v_cmp_ne_u32_e64 s1, 0x7f800000, v13
	s_and_saveexec_b32 s21, s1
	s_delay_alu instid0(SALU_CYCLE_1)
	s_xor_b32 s1, exec_lo, s21
; %bb.433:                              ;   in Loop: Header=BB377_281 Depth=1
	v_bfe_u32 v13, v6, 16, 1
	s_delay_alu instid0(VALU_DEP_1)
	v_add3_u32 v38, v6, v13, 0x7fff
                                        ; implicit-def: $vgpr6
; %bb.434:                              ;   in Loop: Header=BB377_281 Depth=1
	s_and_not1_saveexec_b32 s21, s1
; %bb.435:                              ;   in Loop: Header=BB377_281 Depth=1
	v_and_b32_e32 v13, 0xffff, v6
	v_or_b32_e32 v38, 0x10000, v6
	s_delay_alu instid0(VALU_DEP_2) | instskip(NEXT) | instid1(VALU_DEP_1)
	v_cmp_eq_u32_e64 s1, 0, v13
	v_cndmask_b32_e64 v38, v38, v6, s1
; %bb.436:                              ;   in Loop: Header=BB377_281 Depth=1
	s_or_b32 exec_lo, exec_lo, s21
	v_and_b32_e32 v31, 0xffff0000, v31
	v_lshlrev_b32_e32 v5, 16, v5
                                        ; implicit-def: $vgpr39
	s_delay_alu instid0(VALU_DEP_1) | instskip(NEXT) | instid1(VALU_DEP_1)
	v_mul_f32_e32 v5, v31, v5
	v_and_b32_e32 v6, 0x7f800000, v5
	s_delay_alu instid0(VALU_DEP_1) | instskip(NEXT) | instid1(VALU_DEP_1)
	v_cmp_ne_u32_e64 s1, 0x7f800000, v6
	s_and_saveexec_b32 s21, s1
	s_delay_alu instid0(SALU_CYCLE_1)
	s_xor_b32 s1, exec_lo, s21
; %bb.437:                              ;   in Loop: Header=BB377_281 Depth=1
	v_bfe_u32 v6, v5, 16, 1
	s_delay_alu instid0(VALU_DEP_1)
	v_add3_u32 v39, v5, v6, 0x7fff
                                        ; implicit-def: $vgpr5
; %bb.438:                              ;   in Loop: Header=BB377_281 Depth=1
	s_and_not1_saveexec_b32 s21, s1
; %bb.439:                              ;   in Loop: Header=BB377_281 Depth=1
	v_and_b32_e32 v6, 0xffff, v5
	v_or_b32_e32 v13, 0x10000, v5
	s_delay_alu instid0(VALU_DEP_2) | instskip(NEXT) | instid1(VALU_DEP_1)
	v_cmp_eq_u32_e64 s1, 0, v6
	v_cndmask_b32_e64 v39, v13, v5, s1
; %bb.440:                              ;   in Loop: Header=BB377_281 Depth=1
	s_or_b32 exec_lo, exec_lo, s21
	global_load_b64 v[3:4], v[3:4], off offset:256
	s_mov_b32 s21, exec_lo
	s_waitcnt vmcnt(0)
	v_dual_mov_b32 v5, 0 :: v_dual_and_b32 v6, 0xff, v3
	s_delay_alu instid0(VALU_DEP_1)
	v_cmpx_ne_u16_e32 0, v6
	s_cbranch_execz .LBB377_446
; %bb.441:                              ;   in Loop: Header=BB377_281 Depth=1
	v_bfrev_b32_e32 v5, 1
	s_mov_b32 s22, exec_lo
	v_cmpx_ne_u16_e32 0x80, v6
	s_cbranch_execz .LBB377_445
; %bb.442:                              ;   in Loop: Header=BB377_281 Depth=1
	v_and_b32_e32 v6, 0x7f, v3
	v_mov_b32_e32 v5, 0x7f800001
	s_mov_b32 s23, exec_lo
	s_delay_alu instid0(VALU_DEP_2)
	v_cmpx_ne_u32_e32 0x7f, v6
	s_cbranch_execz .LBB377_444
; %bb.443:                              ;   in Loop: Header=BB377_281 Depth=1
	v_and_b32_e32 v5, 7, v3
	v_lshrrev_b32_e32 v13, 3, v6
	v_cmp_gt_u32_e64 s1, 8, v6
	s_delay_alu instid0(VALU_DEP_3) | instskip(NEXT) | instid1(VALU_DEP_1)
	v_clz_i32_u32_e32 v5, v5
	v_min_u32_e32 v5, 32, v5
	s_delay_alu instid0(VALU_DEP_1) | instskip(SKIP_1) | instid1(VALU_DEP_1)
	v_subrev_nc_u32_e32 v40, 28, v5
	v_sub_nc_u32_e32 v5, 29, v5
	v_cndmask_b32_e64 v13, v13, v5, s1
	s_delay_alu instid0(VALU_DEP_3) | instskip(NEXT) | instid1(VALU_DEP_2)
	v_cndmask_b32_e64 v5, 0, v40, s1
	v_lshl_add_u32 v13, v13, 23, 0x3c000000
	s_delay_alu instid0(VALU_DEP_2) | instskip(SKIP_1) | instid1(VALU_DEP_2)
	v_lshlrev_b64 v[5:6], v5, v[3:4]
	v_lshlrev_b32_e32 v6, 24, v3
	v_lshlrev_b32_e32 v5, 20, v5
	s_delay_alu instid0(VALU_DEP_2) | instskip(NEXT) | instid1(VALU_DEP_2)
	v_and_b32_e32 v6, 0x80000000, v6
	v_and_b32_e32 v5, 0x700000, v5
	s_delay_alu instid0(VALU_DEP_1)
	v_or3_b32 v5, v5, v6, v13
.LBB377_444:                            ;   in Loop: Header=BB377_281 Depth=1
	s_or_b32 exec_lo, exec_lo, s23
.LBB377_445:                            ;   in Loop: Header=BB377_281 Depth=1
	s_delay_alu instid0(SALU_CYCLE_1)
	s_or_b32 exec_lo, exec_lo, s22
.LBB377_446:                            ;   in Loop: Header=BB377_281 Depth=1
	s_delay_alu instid0(SALU_CYCLE_1) | instskip(NEXT) | instid1(VALU_DEP_1)
	s_or_b32 exec_lo, exec_lo, s21
	v_mul_f32_e32 v5, s14, v5
                                        ; implicit-def: $vgpr40
	s_delay_alu instid0(VALU_DEP_1) | instskip(NEXT) | instid1(VALU_DEP_1)
	v_and_b32_e32 v6, 0x7f800000, v5
	v_cmp_ne_u32_e64 s1, 0x7f800000, v6
	s_delay_alu instid0(VALU_DEP_1) | instskip(NEXT) | instid1(SALU_CYCLE_1)
	s_and_saveexec_b32 s21, s1
	s_xor_b32 s1, exec_lo, s21
; %bb.447:                              ;   in Loop: Header=BB377_281 Depth=1
	v_bfe_u32 v6, v5, 16, 1
	s_delay_alu instid0(VALU_DEP_1)
	v_add3_u32 v40, v5, v6, 0x7fff
                                        ; implicit-def: $vgpr5
; %bb.448:                              ;   in Loop: Header=BB377_281 Depth=1
	s_and_not1_saveexec_b32 s21, s1
; %bb.449:                              ;   in Loop: Header=BB377_281 Depth=1
	v_and_b32_e32 v6, 0xffff, v5
	v_or_b32_e32 v13, 0x10000, v5
	s_delay_alu instid0(VALU_DEP_2) | instskip(NEXT) | instid1(VALU_DEP_1)
	v_cmp_eq_u32_e64 s1, 0, v6
	v_cndmask_b32_e64 v40, v13, v5, s1
; %bb.450:                              ;   in Loop: Header=BB377_281 Depth=1
	s_or_b32 exec_lo, exec_lo, s21
	v_lshrrev_b16 v6, 8, v3
	v_mov_b32_e32 v5, 0
	s_mov_b32 s21, exec_lo
	s_delay_alu instid0(VALU_DEP_2)
	v_cmpx_ne_u16_e32 0, v6
	s_cbranch_execz .LBB377_458
; %bb.451:                              ;   in Loop: Header=BB377_281 Depth=1
	v_bfrev_b32_e32 v5, 1
	s_mov_b32 s22, exec_lo
	v_cmpx_ne_u16_e32 0x80, v6
	s_cbranch_execz .LBB377_457
; %bb.452:                              ;   in Loop: Header=BB377_281 Depth=1
	v_and_b32_e32 v13, 0xffff, v6
	v_mov_b32_e32 v5, 0x7f800001
	s_mov_b32 s23, exec_lo
	s_delay_alu instid0(VALU_DEP_2) | instskip(NEXT) | instid1(VALU_DEP_1)
	v_and_b32_e32 v6, 0x7f, v13
	v_cmpx_ne_u32_e32 0x7f, v6
	s_cbranch_execz .LBB377_456
; %bb.453:                              ;   in Loop: Header=BB377_281 Depth=1
	v_and_b32_e32 v13, 7, v13
	v_lshrrev_b32_e32 v5, 3, v6
	s_mov_b32 s25, exec_lo
	v_cmpx_gt_u32_e32 8, v6
; %bb.454:                              ;   in Loop: Header=BB377_281 Depth=1
	s_delay_alu instid0(VALU_DEP_3) | instskip(NEXT) | instid1(VALU_DEP_1)
	v_clz_i32_u32_e32 v5, v13
	v_min_u32_e32 v5, 32, v5
	s_delay_alu instid0(VALU_DEP_1) | instskip(SKIP_1) | instid1(VALU_DEP_2)
	v_subrev_nc_u32_e32 v6, 28, v5
	v_sub_nc_u32_e32 v5, 29, v5
	v_lshlrev_b64 v[41:42], v6, v[13:14]
	s_delay_alu instid0(VALU_DEP_1)
	v_and_b32_e32 v13, 7, v41
; %bb.455:                              ;   in Loop: Header=BB377_281 Depth=1
	s_or_b32 exec_lo, exec_lo, s25
	v_lshlrev_b32_e32 v6, 16, v3
	s_delay_alu instid0(VALU_DEP_2) | instskip(SKIP_1) | instid1(VALU_DEP_3)
	v_lshlrev_b32_e32 v13, 20, v13
	v_lshl_add_u32 v5, v5, 23, 0x3c000000
	v_and_b32_e32 v6, 0x80000000, v6
	s_delay_alu instid0(VALU_DEP_1)
	v_or3_b32 v5, v13, v6, v5
.LBB377_456:                            ;   in Loop: Header=BB377_281 Depth=1
	s_or_b32 exec_lo, exec_lo, s23
.LBB377_457:                            ;   in Loop: Header=BB377_281 Depth=1
	s_delay_alu instid0(SALU_CYCLE_1)
	s_or_b32 exec_lo, exec_lo, s22
.LBB377_458:                            ;   in Loop: Header=BB377_281 Depth=1
	s_delay_alu instid0(SALU_CYCLE_1) | instskip(NEXT) | instid1(VALU_DEP_1)
	s_or_b32 exec_lo, exec_lo, s21
	v_mul_f32_e32 v5, s14, v5
                                        ; implicit-def: $vgpr41
	s_delay_alu instid0(VALU_DEP_1) | instskip(NEXT) | instid1(VALU_DEP_1)
	v_and_b32_e32 v6, 0x7f800000, v5
	v_cmp_ne_u32_e64 s1, 0x7f800000, v6
	s_delay_alu instid0(VALU_DEP_1) | instskip(NEXT) | instid1(SALU_CYCLE_1)
	s_and_saveexec_b32 s21, s1
	s_xor_b32 s1, exec_lo, s21
; %bb.459:                              ;   in Loop: Header=BB377_281 Depth=1
	v_bfe_u32 v6, v5, 16, 1
	s_delay_alu instid0(VALU_DEP_1)
	v_add3_u32 v41, v5, v6, 0x7fff
                                        ; implicit-def: $vgpr5
; %bb.460:                              ;   in Loop: Header=BB377_281 Depth=1
	s_and_not1_saveexec_b32 s21, s1
; %bb.461:                              ;   in Loop: Header=BB377_281 Depth=1
	v_and_b32_e32 v6, 0xffff, v5
	v_or_b32_e32 v13, 0x10000, v5
	s_delay_alu instid0(VALU_DEP_2) | instskip(NEXT) | instid1(VALU_DEP_1)
	v_cmp_eq_u32_e64 s1, 0, v6
	v_cndmask_b32_e64 v41, v13, v5, s1
; %bb.462:                              ;   in Loop: Header=BB377_281 Depth=1
	s_or_b32 exec_lo, exec_lo, s21
	v_lshrrev_b32_e32 v5, 16, v3
	s_mov_b32 s21, exec_lo
	s_delay_alu instid0(VALU_DEP_1) | instskip(NEXT) | instid1(VALU_DEP_1)
	v_dual_mov_b32 v6, 0 :: v_dual_and_b32 v13, 0xff, v5
	v_cmpx_ne_u16_e32 0, v13
	s_cbranch_execz .LBB377_470
; %bb.463:                              ;   in Loop: Header=BB377_281 Depth=1
	v_bfrev_b32_e32 v6, 1
	s_mov_b32 s22, exec_lo
	v_cmpx_ne_u16_e32 0x80, v13
	s_cbranch_execz .LBB377_469
; %bb.464:                              ;   in Loop: Header=BB377_281 Depth=1
	v_bfe_u32 v42, v3, 16, 7
	v_mov_b32_e32 v6, 0x7f800001
	s_mov_b32 s23, exec_lo
	s_delay_alu instid0(VALU_DEP_2)
	v_cmpx_ne_u32_e32 0x7f, v42
	s_cbranch_execz .LBB377_468
; %bb.465:                              ;   in Loop: Header=BB377_281 Depth=1
	v_and_b32_e32 v13, 7, v5
	v_lshrrev_b32_e32 v6, 3, v42
	s_mov_b32 s25, exec_lo
	v_cmpx_gt_u32_e32 8, v42
; %bb.466:                              ;   in Loop: Header=BB377_281 Depth=1
	s_delay_alu instid0(VALU_DEP_3) | instskip(NEXT) | instid1(VALU_DEP_1)
	v_clz_i32_u32_e32 v6, v13
	v_min_u32_e32 v6, 32, v6
	s_delay_alu instid0(VALU_DEP_1) | instskip(SKIP_1) | instid1(VALU_DEP_2)
	v_subrev_nc_u32_e32 v42, 28, v6
	v_sub_nc_u32_e32 v6, 29, v6
	v_lshlrev_b64 v[42:43], v42, v[13:14]
	s_delay_alu instid0(VALU_DEP_1)
	v_and_b32_e32 v13, 7, v42
; %bb.467:                              ;   in Loop: Header=BB377_281 Depth=1
	s_or_b32 exec_lo, exec_lo, s25
	v_lshlrev_b32_e32 v5, 24, v5
	s_delay_alu instid0(VALU_DEP_2) | instskip(SKIP_1) | instid1(VALU_DEP_3)
	v_lshlrev_b32_e32 v13, 20, v13
	v_lshl_add_u32 v6, v6, 23, 0x3c000000
	v_and_b32_e32 v5, 0x80000000, v5
	s_delay_alu instid0(VALU_DEP_1)
	v_or3_b32 v6, v13, v5, v6
.LBB377_468:                            ;   in Loop: Header=BB377_281 Depth=1
	s_or_b32 exec_lo, exec_lo, s23
.LBB377_469:                            ;   in Loop: Header=BB377_281 Depth=1
	s_delay_alu instid0(SALU_CYCLE_1)
	s_or_b32 exec_lo, exec_lo, s22
.LBB377_470:                            ;   in Loop: Header=BB377_281 Depth=1
	s_delay_alu instid0(SALU_CYCLE_1) | instskip(NEXT) | instid1(VALU_DEP_1)
	s_or_b32 exec_lo, exec_lo, s21
	v_mul_f32_e32 v5, s14, v6
                                        ; implicit-def: $vgpr42
	s_delay_alu instid0(VALU_DEP_1) | instskip(NEXT) | instid1(VALU_DEP_1)
	v_and_b32_e32 v6, 0x7f800000, v5
	v_cmp_ne_u32_e64 s1, 0x7f800000, v6
	s_delay_alu instid0(VALU_DEP_1) | instskip(NEXT) | instid1(SALU_CYCLE_1)
	s_and_saveexec_b32 s21, s1
	s_xor_b32 s1, exec_lo, s21
; %bb.471:                              ;   in Loop: Header=BB377_281 Depth=1
	v_bfe_u32 v6, v5, 16, 1
	s_delay_alu instid0(VALU_DEP_1)
	v_add3_u32 v42, v5, v6, 0x7fff
                                        ; implicit-def: $vgpr5
; %bb.472:                              ;   in Loop: Header=BB377_281 Depth=1
	s_and_not1_saveexec_b32 s21, s1
; %bb.473:                              ;   in Loop: Header=BB377_281 Depth=1
	v_and_b32_e32 v6, 0xffff, v5
	v_or_b32_e32 v13, 0x10000, v5
	s_delay_alu instid0(VALU_DEP_2) | instskip(NEXT) | instid1(VALU_DEP_1)
	v_cmp_eq_u32_e64 s1, 0, v6
	v_cndmask_b32_e64 v42, v13, v5, s1
; %bb.474:                              ;   in Loop: Header=BB377_281 Depth=1
	s_or_b32 exec_lo, exec_lo, s21
	v_mov_b32_e32 v6, 0
	s_mov_b32 s21, exec_lo
	v_cmpx_lt_u32_e32 0xffffff, v3
	s_cbranch_execz .LBB377_482
; %bb.475:                              ;   in Loop: Header=BB377_281 Depth=1
	v_lshrrev_b32_e32 v5, 24, v3
	v_bfrev_b32_e32 v6, 1
	s_mov_b32 s22, exec_lo
	s_delay_alu instid0(VALU_DEP_2)
	v_cmpx_ne_u32_e32 0x80, v5
	s_cbranch_execz .LBB377_481
; %bb.476:                              ;   in Loop: Header=BB377_281 Depth=1
	v_bfe_u32 v43, v3, 24, 7
	v_mov_b32_e32 v6, 0x7f800001
	s_mov_b32 s23, exec_lo
	s_delay_alu instid0(VALU_DEP_2)
	v_cmpx_ne_u32_e32 0x7f, v43
	s_cbranch_execz .LBB377_480
; %bb.477:                              ;   in Loop: Header=BB377_281 Depth=1
	v_and_b32_e32 v13, 7, v5
	v_lshrrev_b32_e32 v6, 3, v43
	s_mov_b32 s25, exec_lo
	v_cmpx_gt_u32_e32 8, v43
; %bb.478:                              ;   in Loop: Header=BB377_281 Depth=1
	s_delay_alu instid0(VALU_DEP_3) | instskip(NEXT) | instid1(VALU_DEP_1)
	v_clz_i32_u32_e32 v6, v13
	v_min_u32_e32 v6, 32, v6
	s_delay_alu instid0(VALU_DEP_1) | instskip(SKIP_1) | instid1(VALU_DEP_2)
	v_subrev_nc_u32_e32 v43, 28, v6
	v_sub_nc_u32_e32 v6, 29, v6
	v_lshlrev_b64 v[43:44], v43, v[13:14]
	s_delay_alu instid0(VALU_DEP_1)
	v_and_b32_e32 v13, 7, v43
; %bb.479:                              ;   in Loop: Header=BB377_281 Depth=1
	s_or_b32 exec_lo, exec_lo, s25
	v_lshlrev_b32_e32 v5, 24, v5
	s_delay_alu instid0(VALU_DEP_2) | instskip(SKIP_1) | instid1(VALU_DEP_3)
	v_lshlrev_b32_e32 v13, 20, v13
	v_lshl_add_u32 v6, v6, 23, 0x3c000000
	v_and_b32_e32 v5, 0x80000000, v5
	s_delay_alu instid0(VALU_DEP_1)
	v_or3_b32 v6, v13, v5, v6
.LBB377_480:                            ;   in Loop: Header=BB377_281 Depth=1
	s_or_b32 exec_lo, exec_lo, s23
.LBB377_481:                            ;   in Loop: Header=BB377_281 Depth=1
	s_delay_alu instid0(SALU_CYCLE_1)
	s_or_b32 exec_lo, exec_lo, s22
.LBB377_482:                            ;   in Loop: Header=BB377_281 Depth=1
	s_delay_alu instid0(SALU_CYCLE_1) | instskip(NEXT) | instid1(VALU_DEP_1)
	s_or_b32 exec_lo, exec_lo, s21
	v_mul_f32_e32 v5, s14, v6
                                        ; implicit-def: $vgpr43
	s_delay_alu instid0(VALU_DEP_1) | instskip(NEXT) | instid1(VALU_DEP_1)
	v_and_b32_e32 v6, 0x7f800000, v5
	v_cmp_ne_u32_e64 s1, 0x7f800000, v6
	s_delay_alu instid0(VALU_DEP_1) | instskip(NEXT) | instid1(SALU_CYCLE_1)
	s_and_saveexec_b32 s21, s1
	s_xor_b32 s1, exec_lo, s21
; %bb.483:                              ;   in Loop: Header=BB377_281 Depth=1
	v_bfe_u32 v6, v5, 16, 1
	s_delay_alu instid0(VALU_DEP_1)
	v_add3_u32 v43, v5, v6, 0x7fff
                                        ; implicit-def: $vgpr5
; %bb.484:                              ;   in Loop: Header=BB377_281 Depth=1
	s_and_not1_saveexec_b32 s21, s1
; %bb.485:                              ;   in Loop: Header=BB377_281 Depth=1
	v_and_b32_e32 v6, 0xffff, v5
	v_or_b32_e32 v13, 0x10000, v5
	s_delay_alu instid0(VALU_DEP_2) | instskip(NEXT) | instid1(VALU_DEP_1)
	v_cmp_eq_u32_e64 s1, 0, v6
	v_cndmask_b32_e64 v43, v13, v5, s1
; %bb.486:                              ;   in Loop: Header=BB377_281 Depth=1
	s_or_b32 exec_lo, exec_lo, s21
	v_dual_mov_b32 v13, v4 :: v_dual_and_b32 v6, 0xff, v4
	v_mov_b32_e32 v5, 0
	s_mov_b32 s21, exec_lo
	s_delay_alu instid0(VALU_DEP_2)
	v_cmpx_ne_u16_e32 0, v6
	s_cbranch_execz .LBB377_492
; %bb.487:                              ;   in Loop: Header=BB377_281 Depth=1
	v_bfrev_b32_e32 v5, 1
	s_mov_b32 s22, exec_lo
	v_cmpx_ne_u16_e32 0x80, v6
	s_cbranch_execz .LBB377_491
; %bb.488:                              ;   in Loop: Header=BB377_281 Depth=1
	v_and_b32_e32 v6, 0x7f, v4
	v_mov_b32_e32 v5, 0x7f800001
	s_mov_b32 s23, exec_lo
	s_delay_alu instid0(VALU_DEP_2)
	v_cmpx_ne_u32_e32 0x7f, v6
	s_cbranch_execz .LBB377_490
; %bb.489:                              ;   in Loop: Header=BB377_281 Depth=1
	v_and_b32_e32 v5, 7, v4
	v_lshrrev_b32_e32 v44, 3, v6
	v_cmp_gt_u32_e64 s1, 8, v6
	s_delay_alu instid0(VALU_DEP_3) | instskip(NEXT) | instid1(VALU_DEP_1)
	v_clz_i32_u32_e32 v5, v5
	v_min_u32_e32 v5, 32, v5
	s_delay_alu instid0(VALU_DEP_1) | instskip(SKIP_1) | instid1(VALU_DEP_1)
	v_subrev_nc_u32_e32 v45, 28, v5
	v_sub_nc_u32_e32 v5, 29, v5
	v_cndmask_b32_e64 v44, v44, v5, s1
	s_delay_alu instid0(VALU_DEP_3) | instskip(NEXT) | instid1(VALU_DEP_2)
	v_cndmask_b32_e64 v5, 0, v45, s1
	v_lshl_add_u32 v44, v44, 23, 0x3c000000
	s_delay_alu instid0(VALU_DEP_2) | instskip(SKIP_1) | instid1(VALU_DEP_2)
	v_lshlrev_b64 v[5:6], v5, v[13:14]
	v_lshlrev_b32_e32 v6, 24, v13
	v_lshlrev_b32_e32 v5, 20, v5
	s_delay_alu instid0(VALU_DEP_2) | instskip(NEXT) | instid1(VALU_DEP_2)
	v_and_b32_e32 v6, 0x80000000, v6
	v_and_b32_e32 v5, 0x700000, v5
	s_delay_alu instid0(VALU_DEP_1)
	v_or3_b32 v5, v5, v6, v44
.LBB377_490:                            ;   in Loop: Header=BB377_281 Depth=1
	s_or_b32 exec_lo, exec_lo, s23
.LBB377_491:                            ;   in Loop: Header=BB377_281 Depth=1
	s_delay_alu instid0(SALU_CYCLE_1)
	s_or_b32 exec_lo, exec_lo, s22
.LBB377_492:                            ;   in Loop: Header=BB377_281 Depth=1
	s_delay_alu instid0(SALU_CYCLE_1) | instskip(NEXT) | instid1(VALU_DEP_1)
	s_or_b32 exec_lo, exec_lo, s21
	v_mul_f32_e32 v5, s14, v5
                                        ; implicit-def: $vgpr44
	s_delay_alu instid0(VALU_DEP_1) | instskip(NEXT) | instid1(VALU_DEP_1)
	v_and_b32_e32 v6, 0x7f800000, v5
	v_cmp_ne_u32_e64 s1, 0x7f800000, v6
	s_delay_alu instid0(VALU_DEP_1) | instskip(NEXT) | instid1(SALU_CYCLE_1)
	s_and_saveexec_b32 s21, s1
	s_xor_b32 s1, exec_lo, s21
; %bb.493:                              ;   in Loop: Header=BB377_281 Depth=1
	v_bfe_u32 v6, v5, 16, 1
	s_delay_alu instid0(VALU_DEP_1)
	v_add3_u32 v44, v5, v6, 0x7fff
                                        ; implicit-def: $vgpr5
; %bb.494:                              ;   in Loop: Header=BB377_281 Depth=1
	s_and_not1_saveexec_b32 s21, s1
; %bb.495:                              ;   in Loop: Header=BB377_281 Depth=1
	v_and_b32_e32 v6, 0xffff, v5
	v_or_b32_e32 v44, 0x10000, v5
	s_delay_alu instid0(VALU_DEP_2) | instskip(NEXT) | instid1(VALU_DEP_1)
	v_cmp_eq_u32_e64 s1, 0, v6
	v_cndmask_b32_e64 v44, v44, v5, s1
; %bb.496:                              ;   in Loop: Header=BB377_281 Depth=1
	s_or_b32 exec_lo, exec_lo, s21
	v_lshrrev_b16 v6, 8, v13
	v_mov_b32_e32 v5, 0
	s_mov_b32 s21, exec_lo
	s_delay_alu instid0(VALU_DEP_2)
	v_cmpx_ne_u16_e32 0, v6
	s_cbranch_execz .LBB377_504
; %bb.497:                              ;   in Loop: Header=BB377_281 Depth=1
	v_bfrev_b32_e32 v5, 1
	s_mov_b32 s22, exec_lo
	v_cmpx_ne_u16_e32 0x80, v6
	s_cbranch_execz .LBB377_503
; %bb.498:                              ;   in Loop: Header=BB377_281 Depth=1
	v_and_b32_e32 v6, 0xffff, v6
	v_mov_b32_e32 v5, 0x7f800001
	s_mov_b32 s23, exec_lo
	s_delay_alu instid0(VALU_DEP_2) | instskip(NEXT) | instid1(VALU_DEP_1)
	v_and_b32_e32 v46, 0x7f, v6
	v_cmpx_ne_u32_e32 0x7f, v46
	s_cbranch_execz .LBB377_502
; %bb.499:                              ;   in Loop: Header=BB377_281 Depth=1
	v_dual_mov_b32 v6, v14 :: v_dual_and_b32 v5, 7, v6
	v_lshrrev_b32_e32 v45, 3, v46
	s_mov_b32 s25, exec_lo
	v_cmpx_gt_u32_e32 8, v46
; %bb.500:                              ;   in Loop: Header=BB377_281 Depth=1
	s_delay_alu instid0(VALU_DEP_3) | instskip(NEXT) | instid1(VALU_DEP_1)
	v_clz_i32_u32_e32 v45, v5
	v_min_u32_e32 v45, 32, v45
	s_delay_alu instid0(VALU_DEP_1) | instskip(SKIP_1) | instid1(VALU_DEP_2)
	v_subrev_nc_u32_e32 v46, 28, v45
	v_sub_nc_u32_e32 v45, 29, v45
	v_lshlrev_b64 v[5:6], v46, v[5:6]
	s_delay_alu instid0(VALU_DEP_1)
	v_and_b32_e32 v5, 7, v5
; %bb.501:                              ;   in Loop: Header=BB377_281 Depth=1
	s_or_b32 exec_lo, exec_lo, s25
	v_lshlrev_b32_e32 v6, 16, v13
	s_delay_alu instid0(VALU_DEP_2) | instskip(SKIP_1) | instid1(VALU_DEP_3)
	v_lshlrev_b32_e32 v5, 20, v5
	v_lshl_add_u32 v13, v45, 23, 0x3c000000
	v_and_b32_e32 v6, 0x80000000, v6
	s_delay_alu instid0(VALU_DEP_1)
	v_or3_b32 v5, v5, v6, v13
.LBB377_502:                            ;   in Loop: Header=BB377_281 Depth=1
	s_or_b32 exec_lo, exec_lo, s23
.LBB377_503:                            ;   in Loop: Header=BB377_281 Depth=1
	s_delay_alu instid0(SALU_CYCLE_1)
	s_or_b32 exec_lo, exec_lo, s22
.LBB377_504:                            ;   in Loop: Header=BB377_281 Depth=1
	s_delay_alu instid0(SALU_CYCLE_1) | instskip(NEXT) | instid1(VALU_DEP_1)
	s_or_b32 exec_lo, exec_lo, s21
	v_mul_f32_e32 v6, s14, v5
	s_delay_alu instid0(VALU_DEP_1) | instskip(NEXT) | instid1(VALU_DEP_1)
	v_and_b32_e32 v5, 0x7f800000, v6
	v_cmp_ne_u32_e64 s1, 0x7f800000, v5
                                        ; implicit-def: $vgpr5
	s_delay_alu instid0(VALU_DEP_1) | instskip(NEXT) | instid1(SALU_CYCLE_1)
	s_and_saveexec_b32 s21, s1
	s_xor_b32 s1, exec_lo, s21
; %bb.505:                              ;   in Loop: Header=BB377_281 Depth=1
	v_bfe_u32 v5, v6, 16, 1
	s_delay_alu instid0(VALU_DEP_1)
	v_add3_u32 v5, v6, v5, 0x7fff
                                        ; implicit-def: $vgpr6
; %bb.506:                              ;   in Loop: Header=BB377_281 Depth=1
	s_and_not1_saveexec_b32 s21, s1
; %bb.507:                              ;   in Loop: Header=BB377_281 Depth=1
	v_and_b32_e32 v5, 0xffff, v6
	v_or_b32_e32 v13, 0x10000, v6
	s_delay_alu instid0(VALU_DEP_2) | instskip(NEXT) | instid1(VALU_DEP_1)
	v_cmp_eq_u32_e64 s1, 0, v5
	v_cndmask_b32_e64 v5, v13, v6, s1
; %bb.508:                              ;   in Loop: Header=BB377_281 Depth=1
	s_or_b32 exec_lo, exec_lo, s21
	v_lshrrev_b32_e32 v6, 16, v4
	v_mov_b32_e32 v13, 0
	s_mov_b32 s21, exec_lo
	s_delay_alu instid0(VALU_DEP_2) | instskip(NEXT) | instid1(VALU_DEP_1)
	v_and_b32_e32 v45, 0xff, v6
	v_cmpx_ne_u16_e32 0, v45
	s_cbranch_execz .LBB377_516
; %bb.509:                              ;   in Loop: Header=BB377_281 Depth=1
	v_bfrev_b32_e32 v13, 1
	s_mov_b32 s22, exec_lo
	v_cmpx_ne_u16_e32 0x80, v45
	s_cbranch_execz .LBB377_515
; %bb.510:                              ;   in Loop: Header=BB377_281 Depth=1
	v_bfe_u32 v46, v4, 16, 7
	v_mov_b32_e32 v13, 0x7f800001
	s_mov_b32 s23, exec_lo
	s_delay_alu instid0(VALU_DEP_2)
	v_cmpx_ne_u32_e32 0x7f, v46
	s_cbranch_execz .LBB377_514
; %bb.511:                              ;   in Loop: Header=BB377_281 Depth=1
	v_and_b32_e32 v13, 7, v6
	v_lshrrev_b32_e32 v45, 3, v46
	s_mov_b32 s25, exec_lo
	v_cmpx_gt_u32_e32 8, v46
; %bb.512:                              ;   in Loop: Header=BB377_281 Depth=1
	s_delay_alu instid0(VALU_DEP_3) | instskip(NEXT) | instid1(VALU_DEP_1)
	v_clz_i32_u32_e32 v45, v13
	v_min_u32_e32 v45, 32, v45
	s_delay_alu instid0(VALU_DEP_1) | instskip(SKIP_1) | instid1(VALU_DEP_2)
	v_subrev_nc_u32_e32 v46, 28, v45
	v_sub_nc_u32_e32 v45, 29, v45
	v_lshlrev_b64 v[46:47], v46, v[13:14]
	s_delay_alu instid0(VALU_DEP_1)
	v_and_b32_e32 v13, 7, v46
; %bb.513:                              ;   in Loop: Header=BB377_281 Depth=1
	s_or_b32 exec_lo, exec_lo, s25
	v_lshlrev_b32_e32 v6, 24, v6
	s_delay_alu instid0(VALU_DEP_2) | instskip(SKIP_1) | instid1(VALU_DEP_3)
	v_lshlrev_b32_e32 v13, 20, v13
	v_lshl_add_u32 v45, v45, 23, 0x3c000000
	v_and_b32_e32 v6, 0x80000000, v6
	s_delay_alu instid0(VALU_DEP_1)
	v_or3_b32 v13, v13, v6, v45
.LBB377_514:                            ;   in Loop: Header=BB377_281 Depth=1
	s_or_b32 exec_lo, exec_lo, s23
.LBB377_515:                            ;   in Loop: Header=BB377_281 Depth=1
	s_delay_alu instid0(SALU_CYCLE_1)
	s_or_b32 exec_lo, exec_lo, s22
.LBB377_516:                            ;   in Loop: Header=BB377_281 Depth=1
	s_delay_alu instid0(SALU_CYCLE_1) | instskip(NEXT) | instid1(VALU_DEP_1)
	s_or_b32 exec_lo, exec_lo, s21
	v_mul_f32_e32 v13, s14, v13
	s_delay_alu instid0(VALU_DEP_1) | instskip(NEXT) | instid1(VALU_DEP_1)
	v_and_b32_e32 v6, 0x7f800000, v13
	v_cmp_ne_u32_e64 s1, 0x7f800000, v6
                                        ; implicit-def: $vgpr6
	s_delay_alu instid0(VALU_DEP_1) | instskip(NEXT) | instid1(SALU_CYCLE_1)
	s_and_saveexec_b32 s21, s1
	s_xor_b32 s1, exec_lo, s21
; %bb.517:                              ;   in Loop: Header=BB377_281 Depth=1
	v_bfe_u32 v6, v13, 16, 1
	s_delay_alu instid0(VALU_DEP_1)
	v_add3_u32 v6, v13, v6, 0x7fff
                                        ; implicit-def: $vgpr13
; %bb.518:                              ;   in Loop: Header=BB377_281 Depth=1
	s_and_not1_saveexec_b32 s21, s1
; %bb.519:                              ;   in Loop: Header=BB377_281 Depth=1
	v_and_b32_e32 v6, 0xffff, v13
	v_or_b32_e32 v45, 0x10000, v13
	s_delay_alu instid0(VALU_DEP_2) | instskip(NEXT) | instid1(VALU_DEP_1)
	v_cmp_eq_u32_e64 s1, 0, v6
	v_cndmask_b32_e64 v6, v45, v13, s1
; %bb.520:                              ;   in Loop: Header=BB377_281 Depth=1
	s_or_b32 exec_lo, exec_lo, s21
	v_mov_b32_e32 v13, 0
	s_mov_b32 s21, exec_lo
	v_cmpx_lt_u64_e64 s[10:11], v[3:4]
	s_cbranch_execz .LBB377_528
; %bb.521:                              ;   in Loop: Header=BB377_281 Depth=1
	v_lshrrev_b32_e32 v3, 24, v4
	v_bfrev_b32_e32 v13, 1
	s_mov_b32 s22, exec_lo
	s_delay_alu instid0(VALU_DEP_2)
	v_cmpx_ne_u32_e32 0x80, v3
	s_cbranch_execz .LBB377_527
; %bb.522:                              ;   in Loop: Header=BB377_281 Depth=1
	v_bfe_u32 v45, v4, 24, 7
	v_mov_b32_e32 v13, 0x7f800001
	s_mov_b32 s23, exec_lo
	s_delay_alu instid0(VALU_DEP_2)
	v_cmpx_ne_u32_e32 0x7f, v45
	s_cbranch_execz .LBB377_526
; %bb.523:                              ;   in Loop: Header=BB377_281 Depth=1
	v_and_b32_e32 v13, 7, v3
	v_lshrrev_b32_e32 v4, 3, v45
	s_mov_b32 s25, exec_lo
	v_cmpx_gt_u32_e32 8, v45
; %bb.524:                              ;   in Loop: Header=BB377_281 Depth=1
	s_delay_alu instid0(VALU_DEP_3) | instskip(NEXT) | instid1(VALU_DEP_1)
	v_clz_i32_u32_e32 v4, v13
	v_min_u32_e32 v4, 32, v4
	s_delay_alu instid0(VALU_DEP_1) | instskip(SKIP_1) | instid1(VALU_DEP_2)
	v_subrev_nc_u32_e32 v45, 28, v4
	v_sub_nc_u32_e32 v4, 29, v4
	v_lshlrev_b64 v[45:46], v45, v[13:14]
	s_delay_alu instid0(VALU_DEP_1)
	v_and_b32_e32 v13, 7, v45
; %bb.525:                              ;   in Loop: Header=BB377_281 Depth=1
	s_or_b32 exec_lo, exec_lo, s25
	v_lshlrev_b32_e32 v3, 24, v3
	s_delay_alu instid0(VALU_DEP_2) | instskip(SKIP_1) | instid1(VALU_DEP_3)
	v_lshlrev_b32_e32 v13, 20, v13
	v_lshl_add_u32 v4, v4, 23, 0x3c000000
	v_and_b32_e32 v3, 0x80000000, v3
	s_delay_alu instid0(VALU_DEP_1)
	v_or3_b32 v13, v13, v3, v4
.LBB377_526:                            ;   in Loop: Header=BB377_281 Depth=1
	s_or_b32 exec_lo, exec_lo, s23
.LBB377_527:                            ;   in Loop: Header=BB377_281 Depth=1
	s_delay_alu instid0(SALU_CYCLE_1)
	s_or_b32 exec_lo, exec_lo, s22
.LBB377_528:                            ;   in Loop: Header=BB377_281 Depth=1
	s_delay_alu instid0(SALU_CYCLE_1) | instskip(NEXT) | instid1(VALU_DEP_1)
	s_or_b32 exec_lo, exec_lo, s21
	v_mul_f32_e32 v4, s14, v13
	s_delay_alu instid0(VALU_DEP_1) | instskip(NEXT) | instid1(VALU_DEP_1)
	v_and_b32_e32 v3, 0x7f800000, v4
	v_cmp_ne_u32_e64 s1, 0x7f800000, v3
                                        ; implicit-def: $vgpr3
	s_delay_alu instid0(VALU_DEP_1) | instskip(NEXT) | instid1(SALU_CYCLE_1)
	s_and_saveexec_b32 s21, s1
	s_xor_b32 s1, exec_lo, s21
; %bb.529:                              ;   in Loop: Header=BB377_281 Depth=1
	v_bfe_u32 v3, v4, 16, 1
	s_delay_alu instid0(VALU_DEP_1)
	v_add3_u32 v3, v4, v3, 0x7fff
                                        ; implicit-def: $vgpr4
; %bb.530:                              ;   in Loop: Header=BB377_281 Depth=1
	s_and_not1_saveexec_b32 s21, s1
; %bb.531:                              ;   in Loop: Header=BB377_281 Depth=1
	v_and_b32_e32 v3, 0xffff, v4
	v_or_b32_e32 v13, 0x10000, v4
	s_delay_alu instid0(VALU_DEP_2) | instskip(NEXT) | instid1(VALU_DEP_1)
	v_cmp_eq_u32_e64 s1, 0, v3
	v_cndmask_b32_e64 v3, v13, v4, s1
; %bb.532:                              ;   in Loop: Header=BB377_281 Depth=1
	s_or_b32 exec_lo, exec_lo, s21
	v_lshrrev_b32_e32 v13, 16, v5
	v_lshrrev_b32_e32 v44, 16, v44
	;; [unrolled: 1-line block ×8, first 2 shown]
	s_and_saveexec_b32 s21, s0
	s_cbranch_execz .LBB377_534
; %bb.533:                              ;   in Loop: Header=BB377_281 Depth=1
	v_add_nc_u32_e32 v6, 1, v23
	v_cmp_gt_i32_e64 s1, s15, v23
	v_add_nc_u32_e32 v40, 2, v23
	v_add_nc_u32_e32 v45, 3, v23
	s_delay_alu instid0(VALU_DEP_3) | instskip(SKIP_2) | instid1(VALU_DEP_2)
	v_cndmask_b32_e64 v4, 0, v4, s1
	v_cmp_gt_i32_e64 s1, s15, v6
	v_add_nc_u32_e32 v6, 4, v23
	v_cndmask_b32_e64 v41, 0, v41, s1
	v_cmp_gt_i32_e64 s1, s15, v40
	v_add_nc_u32_e32 v40, 5, v23
	s_delay_alu instid0(VALU_DEP_2) | instskip(SKIP_2) | instid1(VALU_DEP_2)
	v_cndmask_b32_e64 v42, 0, v42, s1
	v_cmp_gt_i32_e64 s1, s15, v45
	v_add_nc_u32_e32 v45, 6, v23
	v_cndmask_b32_e64 v43, 0, v43, s1
	v_cmp_gt_i32_e64 s1, s15, v6
	v_add_nc_u32_e32 v6, 7, v23
	s_delay_alu instid0(VALU_DEP_2) | instskip(SKIP_1) | instid1(VALU_DEP_1)
	v_cndmask_b32_e64 v44, 0, v44, s1
	v_cmp_gt_i32_e64 s1, s15, v40
	v_cndmask_b32_e64 v13, 0, v13, s1
	v_cmp_gt_i32_e64 s1, s15, v45
	s_delay_alu instid0(VALU_DEP_1) | instskip(SKIP_1) | instid1(VALU_DEP_1)
	v_cndmask_b32_e64 v5, 0, v5, s1
	v_cmp_gt_i32_e64 s1, s15, v6
	v_cndmask_b32_e64 v3, 0, v3, s1
.LBB377_534:                            ;   in Loop: Header=BB377_281 Depth=1
	s_or_b32 exec_lo, exec_lo, s21
	v_lshlrev_b32_e32 v4, 16, v4
	s_delay_alu instid0(VALU_DEP_1) | instskip(NEXT) | instid1(VALU_DEP_1)
	v_mul_f32_e32 v6, v7, v4
	v_and_b32_e32 v4, 0x7f800000, v6
	s_delay_alu instid0(VALU_DEP_1) | instskip(NEXT) | instid1(VALU_DEP_1)
	v_cmp_ne_u32_e64 s1, 0x7f800000, v4
                                        ; implicit-def: $vgpr4
	s_and_saveexec_b32 s21, s1
	s_delay_alu instid0(SALU_CYCLE_1)
	s_xor_b32 s1, exec_lo, s21
; %bb.535:                              ;   in Loop: Header=BB377_281 Depth=1
	v_bfe_u32 v4, v6, 16, 1
	s_delay_alu instid0(VALU_DEP_1)
	v_add3_u32 v4, v6, v4, 0x7fff
                                        ; implicit-def: $vgpr6
; %bb.536:                              ;   in Loop: Header=BB377_281 Depth=1
	s_and_not1_saveexec_b32 s21, s1
; %bb.537:                              ;   in Loop: Header=BB377_281 Depth=1
	v_and_b32_e32 v4, 0xffff, v6
	v_or_b32_e32 v40, 0x10000, v6
	s_delay_alu instid0(VALU_DEP_2) | instskip(NEXT) | instid1(VALU_DEP_1)
	v_cmp_eq_u32_e64 s1, 0, v4
	v_cndmask_b32_e64 v4, v40, v6, s1
; %bb.538:                              ;   in Loop: Header=BB377_281 Depth=1
	s_or_b32 exec_lo, exec_lo, s21
	v_lshlrev_b32_e32 v6, 16, v41
	s_delay_alu instid0(VALU_DEP_1) | instskip(NEXT) | instid1(VALU_DEP_1)
	v_mul_f32_e32 v40, v8, v6
	v_and_b32_e32 v6, 0x7f800000, v40
	s_delay_alu instid0(VALU_DEP_1) | instskip(NEXT) | instid1(VALU_DEP_1)
	v_cmp_ne_u32_e64 s1, 0x7f800000, v6
                                        ; implicit-def: $vgpr6
	s_and_saveexec_b32 s21, s1
	s_delay_alu instid0(SALU_CYCLE_1)
	s_xor_b32 s1, exec_lo, s21
; %bb.539:                              ;   in Loop: Header=BB377_281 Depth=1
	v_bfe_u32 v6, v40, 16, 1
	s_delay_alu instid0(VALU_DEP_1)
	v_add3_u32 v6, v40, v6, 0x7fff
                                        ; implicit-def: $vgpr40
; %bb.540:                              ;   in Loop: Header=BB377_281 Depth=1
	s_and_not1_saveexec_b32 s21, s1
; %bb.541:                              ;   in Loop: Header=BB377_281 Depth=1
	v_and_b32_e32 v6, 0xffff, v40
	v_or_b32_e32 v41, 0x10000, v40
	s_delay_alu instid0(VALU_DEP_2) | instskip(NEXT) | instid1(VALU_DEP_1)
	v_cmp_eq_u32_e64 s1, 0, v6
	v_cndmask_b32_e64 v6, v41, v40, s1
; %bb.542:                              ;   in Loop: Header=BB377_281 Depth=1
	s_or_b32 exec_lo, exec_lo, s21
	v_lshlrev_b32_e32 v40, 16, v42
	s_delay_alu instid0(VALU_DEP_1) | instskip(NEXT) | instid1(VALU_DEP_1)
	v_mul_f32_e32 v41, v26, v40
	v_and_b32_e32 v40, 0x7f800000, v41
	s_delay_alu instid0(VALU_DEP_1) | instskip(NEXT) | instid1(VALU_DEP_1)
	v_cmp_ne_u32_e64 s1, 0x7f800000, v40
                                        ; implicit-def: $vgpr40
	s_and_saveexec_b32 s21, s1
	s_delay_alu instid0(SALU_CYCLE_1)
	s_xor_b32 s1, exec_lo, s21
; %bb.543:                              ;   in Loop: Header=BB377_281 Depth=1
	v_bfe_u32 v40, v41, 16, 1
	s_delay_alu instid0(VALU_DEP_1)
	v_add3_u32 v40, v41, v40, 0x7fff
                                        ; implicit-def: $vgpr41
; %bb.544:                              ;   in Loop: Header=BB377_281 Depth=1
	s_and_not1_saveexec_b32 s21, s1
; %bb.545:                              ;   in Loop: Header=BB377_281 Depth=1
	v_and_b32_e32 v40, 0xffff, v41
	v_or_b32_e32 v42, 0x10000, v41
	s_delay_alu instid0(VALU_DEP_2) | instskip(NEXT) | instid1(VALU_DEP_1)
	v_cmp_eq_u32_e64 s1, 0, v40
	v_cndmask_b32_e64 v40, v42, v41, s1
; %bb.546:                              ;   in Loop: Header=BB377_281 Depth=1
	s_or_b32 exec_lo, exec_lo, s21
	v_lshlrev_b32_e32 v41, 16, v43
	s_delay_alu instid0(VALU_DEP_1) | instskip(NEXT) | instid1(VALU_DEP_1)
	v_mul_f32_e32 v42, v27, v41
	v_and_b32_e32 v41, 0x7f800000, v42
	s_delay_alu instid0(VALU_DEP_1) | instskip(NEXT) | instid1(VALU_DEP_1)
	v_cmp_ne_u32_e64 s1, 0x7f800000, v41
                                        ; implicit-def: $vgpr41
	s_and_saveexec_b32 s21, s1
	s_delay_alu instid0(SALU_CYCLE_1)
	s_xor_b32 s1, exec_lo, s21
; %bb.547:                              ;   in Loop: Header=BB377_281 Depth=1
	v_bfe_u32 v41, v42, 16, 1
	s_delay_alu instid0(VALU_DEP_1)
	v_add3_u32 v41, v42, v41, 0x7fff
                                        ; implicit-def: $vgpr42
; %bb.548:                              ;   in Loop: Header=BB377_281 Depth=1
	s_and_not1_saveexec_b32 s21, s1
; %bb.549:                              ;   in Loop: Header=BB377_281 Depth=1
	v_and_b32_e32 v41, 0xffff, v42
	v_or_b32_e32 v43, 0x10000, v42
	s_delay_alu instid0(VALU_DEP_2) | instskip(NEXT) | instid1(VALU_DEP_1)
	v_cmp_eq_u32_e64 s1, 0, v41
	v_cndmask_b32_e64 v41, v43, v42, s1
; %bb.550:                              ;   in Loop: Header=BB377_281 Depth=1
	s_or_b32 exec_lo, exec_lo, s21
	v_lshlrev_b32_e32 v42, 16, v44
	s_delay_alu instid0(VALU_DEP_1) | instskip(NEXT) | instid1(VALU_DEP_1)
	v_mul_f32_e32 v43, v28, v42
	v_and_b32_e32 v42, 0x7f800000, v43
	s_delay_alu instid0(VALU_DEP_1) | instskip(NEXT) | instid1(VALU_DEP_1)
	v_cmp_ne_u32_e64 s1, 0x7f800000, v42
                                        ; implicit-def: $vgpr42
	s_and_saveexec_b32 s21, s1
	s_delay_alu instid0(SALU_CYCLE_1)
	s_xor_b32 s1, exec_lo, s21
; %bb.551:                              ;   in Loop: Header=BB377_281 Depth=1
	v_bfe_u32 v42, v43, 16, 1
	s_delay_alu instid0(VALU_DEP_1)
	v_add3_u32 v42, v43, v42, 0x7fff
                                        ; implicit-def: $vgpr43
; %bb.552:                              ;   in Loop: Header=BB377_281 Depth=1
	s_and_not1_saveexec_b32 s21, s1
; %bb.553:                              ;   in Loop: Header=BB377_281 Depth=1
	v_and_b32_e32 v42, 0xffff, v43
	v_or_b32_e32 v44, 0x10000, v43
	s_delay_alu instid0(VALU_DEP_2) | instskip(NEXT) | instid1(VALU_DEP_1)
	v_cmp_eq_u32_e64 s1, 0, v42
	v_cndmask_b32_e64 v42, v44, v43, s1
; %bb.554:                              ;   in Loop: Header=BB377_281 Depth=1
	s_or_b32 exec_lo, exec_lo, s21
	v_lshlrev_b32_e32 v13, 16, v13
	s_delay_alu instid0(VALU_DEP_1) | instskip(NEXT) | instid1(VALU_DEP_1)
	v_mul_f32_e32 v43, v29, v13
	v_and_b32_e32 v13, 0x7f800000, v43
	s_delay_alu instid0(VALU_DEP_1) | instskip(NEXT) | instid1(VALU_DEP_1)
	v_cmp_ne_u32_e64 s1, 0x7f800000, v13
                                        ; implicit-def: $vgpr13
	s_and_saveexec_b32 s21, s1
	s_delay_alu instid0(SALU_CYCLE_1)
	s_xor_b32 s1, exec_lo, s21
; %bb.555:                              ;   in Loop: Header=BB377_281 Depth=1
	v_bfe_u32 v13, v43, 16, 1
	s_delay_alu instid0(VALU_DEP_1)
	v_add3_u32 v13, v43, v13, 0x7fff
                                        ; implicit-def: $vgpr43
; %bb.556:                              ;   in Loop: Header=BB377_281 Depth=1
	s_and_not1_saveexec_b32 s21, s1
; %bb.557:                              ;   in Loop: Header=BB377_281 Depth=1
	v_and_b32_e32 v13, 0xffff, v43
	v_or_b32_e32 v44, 0x10000, v43
	s_delay_alu instid0(VALU_DEP_2) | instskip(NEXT) | instid1(VALU_DEP_1)
	v_cmp_eq_u32_e64 s1, 0, v13
	v_cndmask_b32_e64 v13, v44, v43, s1
; %bb.558:                              ;   in Loop: Header=BB377_281 Depth=1
	s_or_b32 exec_lo, exec_lo, s21
	v_lshlrev_b32_e32 v5, 16, v5
	s_delay_alu instid0(VALU_DEP_1) | instskip(NEXT) | instid1(VALU_DEP_1)
	v_mul_f32_e32 v43, v30, v5
	v_and_b32_e32 v5, 0x7f800000, v43
	s_delay_alu instid0(VALU_DEP_1) | instskip(NEXT) | instid1(VALU_DEP_1)
	v_cmp_ne_u32_e64 s1, 0x7f800000, v5
                                        ; implicit-def: $vgpr5
	s_and_saveexec_b32 s21, s1
	s_delay_alu instid0(SALU_CYCLE_1)
	s_xor_b32 s1, exec_lo, s21
; %bb.559:                              ;   in Loop: Header=BB377_281 Depth=1
	v_bfe_u32 v5, v43, 16, 1
	s_delay_alu instid0(VALU_DEP_1)
	v_add3_u32 v5, v43, v5, 0x7fff
                                        ; implicit-def: $vgpr43
; %bb.560:                              ;   in Loop: Header=BB377_281 Depth=1
	s_and_not1_saveexec_b32 s21, s1
; %bb.561:                              ;   in Loop: Header=BB377_281 Depth=1
	v_and_b32_e32 v5, 0xffff, v43
	v_or_b32_e32 v44, 0x10000, v43
	s_delay_alu instid0(VALU_DEP_2) | instskip(NEXT) | instid1(VALU_DEP_1)
	v_cmp_eq_u32_e64 s1, 0, v5
	v_cndmask_b32_e64 v5, v44, v43, s1
; %bb.562:                              ;   in Loop: Header=BB377_281 Depth=1
	s_or_b32 exec_lo, exec_lo, s21
	v_lshlrev_b32_e32 v3, 16, v3
	s_delay_alu instid0(VALU_DEP_1) | instskip(NEXT) | instid1(VALU_DEP_1)
	v_mul_f32_e32 v43, v31, v3
	v_and_b32_e32 v3, 0x7f800000, v43
	s_delay_alu instid0(VALU_DEP_1) | instskip(NEXT) | instid1(VALU_DEP_1)
	v_cmp_ne_u32_e64 s1, 0x7f800000, v3
                                        ; implicit-def: $vgpr3
	s_and_saveexec_b32 s21, s1
	s_delay_alu instid0(SALU_CYCLE_1)
	s_xor_b32 s1, exec_lo, s21
; %bb.563:                              ;   in Loop: Header=BB377_281 Depth=1
	v_bfe_u32 v3, v43, 16, 1
	s_delay_alu instid0(VALU_DEP_1)
	v_add3_u32 v3, v43, v3, 0x7fff
                                        ; implicit-def: $vgpr43
; %bb.564:                              ;   in Loop: Header=BB377_281 Depth=1
	s_and_not1_saveexec_b32 s21, s1
; %bb.565:                              ;   in Loop: Header=BB377_281 Depth=1
	v_and_b32_e32 v3, 0xffff, v43
	v_or_b32_e32 v44, 0x10000, v43
	s_delay_alu instid0(VALU_DEP_2) | instskip(NEXT) | instid1(VALU_DEP_1)
	v_cmp_eq_u32_e64 s1, 0, v3
	v_cndmask_b32_e64 v3, v44, v43, s1
; %bb.566:                              ;   in Loop: Header=BB377_281 Depth=1
	s_or_b32 exec_lo, exec_lo, s21
	v_and_b32_e32 v5, 0xffff0000, v5
	s_delay_alu instid0(VALU_DEP_2) | instskip(SKIP_3) | instid1(VALU_DEP_4)
	v_and_b32_e32 v3, 0xffff0000, v3
	v_and_b32_e32 v32, 0xffff0000, v32
	;; [unrolled: 1-line block ×4, first 2 shown]
	v_dual_add_f32 v3, v5, v3 :: v_dual_and_b32 v4, 0xffff0000, v4
	v_and_b32_e32 v40, 0xffff0000, v40
	v_and_b32_e32 v37, 0xffff0000, v37
	s_delay_alu instid0(VALU_DEP_3) | instskip(SKIP_1) | instid1(VALU_DEP_4)
	v_dual_add_f32 v4, v4, v6 :: v_dual_and_b32 v39, 0xffff0000, v39
	v_and_b32_e32 v34, 0xffff0000, v34
	v_add_f32_e32 v6, v40, v41
	s_delay_alu instid0(VALU_DEP_1) | instskip(NEXT) | instid1(VALU_DEP_1)
	v_dual_add_f32 v4, v4, v6 :: v_dual_and_b32 v33, 0xffff0000, v33
	v_dual_add_f32 v32, v32, v33 :: v_dual_and_b32 v35, 0xffff0000, v35
	v_and_b32_e32 v36, 0xffff0000, v36
	v_and_b32_e32 v13, 0xffff0000, v13
	s_delay_alu instid0(VALU_DEP_3) | instskip(NEXT) | instid1(VALU_DEP_1)
	v_dual_add_f32 v33, v34, v35 :: v_dual_and_b32 v34, 0xffff0000, v42
	v_add_f32_e32 v32, v32, v33
	s_delay_alu instid0(VALU_DEP_4) | instskip(NEXT) | instid1(VALU_DEP_3)
	v_dual_add_f32 v33, v36, v37 :: v_dual_and_b32 v38, 0xffff0000, v38
	v_add_f32_e32 v6, v34, v13
	s_delay_alu instid0(VALU_DEP_2) | instskip(NEXT) | instid1(VALU_DEP_1)
	v_dual_add_f32 v13, v32, v33 :: v_dual_add_f32 v32, v38, v39
	v_dual_add_f32 v4, v4, v6 :: v_dual_add_f32 v5, v13, v32
	s_delay_alu instid0(VALU_DEP_1) | instskip(NEXT) | instid1(VALU_DEP_1)
	v_add_f32_e32 v3, v4, v3
	v_dual_add_f32 v9, v9, v5 :: v_dual_add_f32 v10, v10, v3
	s_and_saveexec_b32 s21, vcc_lo
	s_cbranch_execz .LBB377_279
; %bb.567:                              ;   in Loop: Header=BB377_281 Depth=1
	v_add_co_u32 v1, s1, v1, v21
	s_delay_alu instid0(VALU_DEP_1)
	v_add_co_ci_u32_e64 v2, s1, 0, v2, s1
	s_mov_b32 s22, exec_lo
	v_mov_b32_e32 v3, 0
	global_load_b64 v[1:2], v[1:2], off
	s_waitcnt vmcnt(0)
	v_and_b32_e32 v4, 0xff, v1
	s_delay_alu instid0(VALU_DEP_1)
	v_cmpx_ne_u16_e32 0, v4
	s_cbranch_execz .LBB377_573
; %bb.568:                              ;   in Loop: Header=BB377_281 Depth=1
	v_bfrev_b32_e32 v3, 1
	s_mov_b32 s23, exec_lo
	v_cmpx_ne_u16_e32 0x80, v4
	s_cbranch_execz .LBB377_572
; %bb.569:                              ;   in Loop: Header=BB377_281 Depth=1
	v_and_b32_e32 v4, 0x7f, v1
	v_mov_b32_e32 v3, 0x7f800001
	s_mov_b32 s25, exec_lo
	s_delay_alu instid0(VALU_DEP_2)
	v_cmpx_ne_u32_e32 0x7f, v4
	s_cbranch_execz .LBB377_571
; %bb.570:                              ;   in Loop: Header=BB377_281 Depth=1
	v_and_b32_e32 v3, 7, v1
	v_lshrrev_b32_e32 v5, 3, v4
	v_cmp_gt_u32_e64 s1, 8, v4
	s_delay_alu instid0(VALU_DEP_3) | instskip(NEXT) | instid1(VALU_DEP_1)
	v_clz_i32_u32_e32 v3, v3
	v_min_u32_e32 v3, 32, v3
	s_delay_alu instid0(VALU_DEP_1) | instskip(SKIP_1) | instid1(VALU_DEP_1)
	v_subrev_nc_u32_e32 v6, 28, v3
	v_sub_nc_u32_e32 v3, 29, v3
	v_cndmask_b32_e64 v5, v5, v3, s1
	s_delay_alu instid0(VALU_DEP_3) | instskip(NEXT) | instid1(VALU_DEP_2)
	v_cndmask_b32_e64 v3, 0, v6, s1
	v_lshl_add_u32 v5, v5, 23, 0x3c000000
	s_delay_alu instid0(VALU_DEP_2) | instskip(SKIP_1) | instid1(VALU_DEP_2)
	v_lshlrev_b64 v[3:4], v3, v[1:2]
	v_lshlrev_b32_e32 v4, 24, v1
	v_lshlrev_b32_e32 v3, 20, v3
	s_delay_alu instid0(VALU_DEP_2) | instskip(NEXT) | instid1(VALU_DEP_2)
	v_and_b32_e32 v4, 0x80000000, v4
	v_and_b32_e32 v3, 0x700000, v3
	s_delay_alu instid0(VALU_DEP_1)
	v_or3_b32 v3, v3, v4, v5
.LBB377_571:                            ;   in Loop: Header=BB377_281 Depth=1
	s_or_b32 exec_lo, exec_lo, s25
.LBB377_572:                            ;   in Loop: Header=BB377_281 Depth=1
	s_delay_alu instid0(SALU_CYCLE_1)
	s_or_b32 exec_lo, exec_lo, s23
.LBB377_573:                            ;   in Loop: Header=BB377_281 Depth=1
	s_delay_alu instid0(SALU_CYCLE_1) | instskip(NEXT) | instid1(VALU_DEP_1)
	s_or_b32 exec_lo, exec_lo, s22
	v_mul_f32_e32 v3, s14, v3
                                        ; implicit-def: $vgpr5
	s_delay_alu instid0(VALU_DEP_1) | instskip(NEXT) | instid1(VALU_DEP_1)
	v_and_b32_e32 v4, 0x7f800000, v3
	v_cmp_ne_u32_e64 s1, 0x7f800000, v4
	s_delay_alu instid0(VALU_DEP_1) | instskip(NEXT) | instid1(SALU_CYCLE_1)
	s_and_saveexec_b32 s22, s1
	s_xor_b32 s1, exec_lo, s22
; %bb.574:                              ;   in Loop: Header=BB377_281 Depth=1
	v_bfe_u32 v4, v3, 16, 1
	s_delay_alu instid0(VALU_DEP_1)
	v_add3_u32 v5, v3, v4, 0x7fff
                                        ; implicit-def: $vgpr3
; %bb.575:                              ;   in Loop: Header=BB377_281 Depth=1
	s_and_not1_saveexec_b32 s22, s1
; %bb.576:                              ;   in Loop: Header=BB377_281 Depth=1
	v_and_b32_e32 v4, 0xffff, v3
	v_or_b32_e32 v5, 0x10000, v3
	s_delay_alu instid0(VALU_DEP_2) | instskip(NEXT) | instid1(VALU_DEP_1)
	v_cmp_eq_u32_e64 s1, 0, v4
	v_cndmask_b32_e64 v5, v5, v3, s1
; %bb.577:                              ;   in Loop: Header=BB377_281 Depth=1
	s_or_b32 exec_lo, exec_lo, s22
	v_lshrrev_b16 v4, 8, v1
	v_mov_b32_e32 v3, 0
	s_mov_b32 s22, exec_lo
	s_delay_alu instid0(VALU_DEP_2)
	v_cmpx_ne_u16_e32 0, v4
	s_cbranch_execz .LBB377_585
; %bb.578:                              ;   in Loop: Header=BB377_281 Depth=1
	v_bfrev_b32_e32 v3, 1
	s_mov_b32 s23, exec_lo
	v_cmpx_ne_u16_e32 0x80, v4
	s_cbranch_execz .LBB377_584
; %bb.579:                              ;   in Loop: Header=BB377_281 Depth=1
	v_and_b32_e32 v6, 0xffff, v4
	v_mov_b32_e32 v3, 0x7f800001
	s_mov_b32 s25, exec_lo
	s_delay_alu instid0(VALU_DEP_2) | instskip(NEXT) | instid1(VALU_DEP_1)
	v_and_b32_e32 v4, 0x7f, v6
	v_cmpx_ne_u32_e32 0x7f, v4
	s_cbranch_execz .LBB377_583
; %bb.580:                              ;   in Loop: Header=BB377_281 Depth=1
	v_and_b32_e32 v13, 7, v6
	v_lshrrev_b32_e32 v3, 3, v4
	s_mov_b32 s30, exec_lo
	v_cmpx_gt_u32_e32 8, v4
; %bb.581:                              ;   in Loop: Header=BB377_281 Depth=1
	s_delay_alu instid0(VALU_DEP_3) | instskip(NEXT) | instid1(VALU_DEP_1)
	v_clz_i32_u32_e32 v3, v13
	v_min_u32_e32 v3, 32, v3
	s_delay_alu instid0(VALU_DEP_1) | instskip(SKIP_1) | instid1(VALU_DEP_2)
	v_subrev_nc_u32_e32 v4, 28, v3
	v_sub_nc_u32_e32 v3, 29, v3
	v_lshlrev_b64 v[32:33], v4, v[13:14]
	s_delay_alu instid0(VALU_DEP_1)
	v_and_b32_e32 v13, 7, v32
; %bb.582:                              ;   in Loop: Header=BB377_281 Depth=1
	s_or_b32 exec_lo, exec_lo, s30
	v_lshlrev_b32_e32 v4, 16, v1
	s_delay_alu instid0(VALU_DEP_2) | instskip(SKIP_1) | instid1(VALU_DEP_3)
	v_lshlrev_b32_e32 v6, 20, v13
	v_lshl_add_u32 v3, v3, 23, 0x3c000000
	v_and_b32_e32 v4, 0x80000000, v4
	s_delay_alu instid0(VALU_DEP_1)
	v_or3_b32 v3, v6, v4, v3
.LBB377_583:                            ;   in Loop: Header=BB377_281 Depth=1
	s_or_b32 exec_lo, exec_lo, s25
.LBB377_584:                            ;   in Loop: Header=BB377_281 Depth=1
	s_delay_alu instid0(SALU_CYCLE_1)
	s_or_b32 exec_lo, exec_lo, s23
.LBB377_585:                            ;   in Loop: Header=BB377_281 Depth=1
	s_delay_alu instid0(SALU_CYCLE_1) | instskip(NEXT) | instid1(VALU_DEP_1)
	s_or_b32 exec_lo, exec_lo, s22
	v_mul_f32_e32 v3, s14, v3
                                        ; implicit-def: $vgpr6
	s_delay_alu instid0(VALU_DEP_1) | instskip(NEXT) | instid1(VALU_DEP_1)
	v_and_b32_e32 v4, 0x7f800000, v3
	v_cmp_ne_u32_e64 s1, 0x7f800000, v4
	s_delay_alu instid0(VALU_DEP_1) | instskip(NEXT) | instid1(SALU_CYCLE_1)
	s_and_saveexec_b32 s22, s1
	s_xor_b32 s1, exec_lo, s22
; %bb.586:                              ;   in Loop: Header=BB377_281 Depth=1
	v_bfe_u32 v4, v3, 16, 1
	s_delay_alu instid0(VALU_DEP_1)
	v_add3_u32 v6, v3, v4, 0x7fff
                                        ; implicit-def: $vgpr3
; %bb.587:                              ;   in Loop: Header=BB377_281 Depth=1
	s_and_not1_saveexec_b32 s22, s1
; %bb.588:                              ;   in Loop: Header=BB377_281 Depth=1
	v_and_b32_e32 v4, 0xffff, v3
	v_or_b32_e32 v6, 0x10000, v3
	s_delay_alu instid0(VALU_DEP_2) | instskip(NEXT) | instid1(VALU_DEP_1)
	v_cmp_eq_u32_e64 s1, 0, v4
	v_cndmask_b32_e64 v6, v6, v3, s1
; %bb.589:                              ;   in Loop: Header=BB377_281 Depth=1
	s_or_b32 exec_lo, exec_lo, s22
	v_lshrrev_b32_e32 v3, 16, v1
	s_mov_b32 s22, exec_lo
	s_delay_alu instid0(VALU_DEP_1) | instskip(NEXT) | instid1(VALU_DEP_1)
	v_dual_mov_b32 v4, 0 :: v_dual_and_b32 v13, 0xff, v3
	v_cmpx_ne_u16_e32 0, v13
	s_cbranch_execz .LBB377_597
; %bb.590:                              ;   in Loop: Header=BB377_281 Depth=1
	v_bfrev_b32_e32 v4, 1
	s_mov_b32 s23, exec_lo
	v_cmpx_ne_u16_e32 0x80, v13
	s_cbranch_execz .LBB377_596
; %bb.591:                              ;   in Loop: Header=BB377_281 Depth=1
	v_bfe_u32 v32, v1, 16, 7
	v_mov_b32_e32 v4, 0x7f800001
	s_mov_b32 s25, exec_lo
	s_delay_alu instid0(VALU_DEP_2)
	v_cmpx_ne_u32_e32 0x7f, v32
	s_cbranch_execz .LBB377_595
; %bb.592:                              ;   in Loop: Header=BB377_281 Depth=1
	v_and_b32_e32 v13, 7, v3
	v_lshrrev_b32_e32 v4, 3, v32
	s_mov_b32 s30, exec_lo
	v_cmpx_gt_u32_e32 8, v32
; %bb.593:                              ;   in Loop: Header=BB377_281 Depth=1
	s_delay_alu instid0(VALU_DEP_3) | instskip(NEXT) | instid1(VALU_DEP_1)
	v_clz_i32_u32_e32 v4, v13
	v_min_u32_e32 v4, 32, v4
	s_delay_alu instid0(VALU_DEP_1) | instskip(SKIP_1) | instid1(VALU_DEP_2)
	v_subrev_nc_u32_e32 v32, 28, v4
	v_sub_nc_u32_e32 v4, 29, v4
	v_lshlrev_b64 v[32:33], v32, v[13:14]
	s_delay_alu instid0(VALU_DEP_1)
	v_and_b32_e32 v13, 7, v32
; %bb.594:                              ;   in Loop: Header=BB377_281 Depth=1
	s_or_b32 exec_lo, exec_lo, s30
	v_lshlrev_b32_e32 v3, 24, v3
	s_delay_alu instid0(VALU_DEP_2) | instskip(SKIP_1) | instid1(VALU_DEP_3)
	v_lshlrev_b32_e32 v13, 20, v13
	v_lshl_add_u32 v4, v4, 23, 0x3c000000
	v_and_b32_e32 v3, 0x80000000, v3
	s_delay_alu instid0(VALU_DEP_1)
	v_or3_b32 v4, v13, v3, v4
.LBB377_595:                            ;   in Loop: Header=BB377_281 Depth=1
	s_or_b32 exec_lo, exec_lo, s25
.LBB377_596:                            ;   in Loop: Header=BB377_281 Depth=1
	s_delay_alu instid0(SALU_CYCLE_1)
	s_or_b32 exec_lo, exec_lo, s23
.LBB377_597:                            ;   in Loop: Header=BB377_281 Depth=1
	s_delay_alu instid0(SALU_CYCLE_1) | instskip(NEXT) | instid1(VALU_DEP_1)
	s_or_b32 exec_lo, exec_lo, s22
	v_mul_f32_e32 v3, s14, v4
                                        ; implicit-def: $vgpr32
	s_delay_alu instid0(VALU_DEP_1) | instskip(NEXT) | instid1(VALU_DEP_1)
	v_and_b32_e32 v4, 0x7f800000, v3
	v_cmp_ne_u32_e64 s1, 0x7f800000, v4
	s_delay_alu instid0(VALU_DEP_1) | instskip(NEXT) | instid1(SALU_CYCLE_1)
	s_and_saveexec_b32 s22, s1
	s_xor_b32 s1, exec_lo, s22
; %bb.598:                              ;   in Loop: Header=BB377_281 Depth=1
	v_bfe_u32 v4, v3, 16, 1
	s_delay_alu instid0(VALU_DEP_1)
	v_add3_u32 v32, v3, v4, 0x7fff
                                        ; implicit-def: $vgpr3
; %bb.599:                              ;   in Loop: Header=BB377_281 Depth=1
	s_and_not1_saveexec_b32 s22, s1
; %bb.600:                              ;   in Loop: Header=BB377_281 Depth=1
	v_and_b32_e32 v4, 0xffff, v3
	v_or_b32_e32 v13, 0x10000, v3
	s_delay_alu instid0(VALU_DEP_2) | instskip(NEXT) | instid1(VALU_DEP_1)
	v_cmp_eq_u32_e64 s1, 0, v4
	v_cndmask_b32_e64 v32, v13, v3, s1
; %bb.601:                              ;   in Loop: Header=BB377_281 Depth=1
	s_or_b32 exec_lo, exec_lo, s22
	v_mov_b32_e32 v4, 0
	s_mov_b32 s22, exec_lo
	v_cmpx_lt_u32_e32 0xffffff, v1
	s_cbranch_execz .LBB377_609
; %bb.602:                              ;   in Loop: Header=BB377_281 Depth=1
	v_lshrrev_b32_e32 v3, 24, v1
	v_bfrev_b32_e32 v4, 1
	s_mov_b32 s23, exec_lo
	s_delay_alu instid0(VALU_DEP_2)
	v_cmpx_ne_u32_e32 0x80, v3
	s_cbranch_execz .LBB377_608
; %bb.603:                              ;   in Loop: Header=BB377_281 Depth=1
	v_bfe_u32 v33, v1, 24, 7
	v_mov_b32_e32 v4, 0x7f800001
	s_mov_b32 s25, exec_lo
	s_delay_alu instid0(VALU_DEP_2)
	v_cmpx_ne_u32_e32 0x7f, v33
	s_cbranch_execz .LBB377_607
; %bb.604:                              ;   in Loop: Header=BB377_281 Depth=1
	v_and_b32_e32 v13, 7, v3
	v_lshrrev_b32_e32 v4, 3, v33
	s_mov_b32 s30, exec_lo
	v_cmpx_gt_u32_e32 8, v33
; %bb.605:                              ;   in Loop: Header=BB377_281 Depth=1
	s_delay_alu instid0(VALU_DEP_3) | instskip(NEXT) | instid1(VALU_DEP_1)
	v_clz_i32_u32_e32 v4, v13
	v_min_u32_e32 v4, 32, v4
	s_delay_alu instid0(VALU_DEP_1) | instskip(SKIP_1) | instid1(VALU_DEP_2)
	v_subrev_nc_u32_e32 v33, 28, v4
	v_sub_nc_u32_e32 v4, 29, v4
	v_lshlrev_b64 v[33:34], v33, v[13:14]
	s_delay_alu instid0(VALU_DEP_1)
	v_and_b32_e32 v13, 7, v33
; %bb.606:                              ;   in Loop: Header=BB377_281 Depth=1
	s_or_b32 exec_lo, exec_lo, s30
	v_lshlrev_b32_e32 v3, 24, v3
	s_delay_alu instid0(VALU_DEP_2) | instskip(SKIP_1) | instid1(VALU_DEP_3)
	v_lshlrev_b32_e32 v13, 20, v13
	v_lshl_add_u32 v4, v4, 23, 0x3c000000
	v_and_b32_e32 v3, 0x80000000, v3
	s_delay_alu instid0(VALU_DEP_1)
	v_or3_b32 v4, v13, v3, v4
.LBB377_607:                            ;   in Loop: Header=BB377_281 Depth=1
	s_or_b32 exec_lo, exec_lo, s25
.LBB377_608:                            ;   in Loop: Header=BB377_281 Depth=1
	s_delay_alu instid0(SALU_CYCLE_1)
	s_or_b32 exec_lo, exec_lo, s23
.LBB377_609:                            ;   in Loop: Header=BB377_281 Depth=1
	s_delay_alu instid0(SALU_CYCLE_1) | instskip(NEXT) | instid1(VALU_DEP_1)
	s_or_b32 exec_lo, exec_lo, s22
	v_mul_f32_e32 v3, s14, v4
                                        ; implicit-def: $vgpr33
	s_delay_alu instid0(VALU_DEP_1) | instskip(NEXT) | instid1(VALU_DEP_1)
	v_and_b32_e32 v4, 0x7f800000, v3
	v_cmp_ne_u32_e64 s1, 0x7f800000, v4
	s_delay_alu instid0(VALU_DEP_1) | instskip(NEXT) | instid1(SALU_CYCLE_1)
	s_and_saveexec_b32 s22, s1
	s_xor_b32 s1, exec_lo, s22
; %bb.610:                              ;   in Loop: Header=BB377_281 Depth=1
	v_bfe_u32 v4, v3, 16, 1
	s_delay_alu instid0(VALU_DEP_1)
	v_add3_u32 v33, v3, v4, 0x7fff
                                        ; implicit-def: $vgpr3
; %bb.611:                              ;   in Loop: Header=BB377_281 Depth=1
	s_and_not1_saveexec_b32 s22, s1
; %bb.612:                              ;   in Loop: Header=BB377_281 Depth=1
	v_and_b32_e32 v4, 0xffff, v3
	v_or_b32_e32 v13, 0x10000, v3
	s_delay_alu instid0(VALU_DEP_2) | instskip(NEXT) | instid1(VALU_DEP_1)
	v_cmp_eq_u32_e64 s1, 0, v4
	v_cndmask_b32_e64 v33, v13, v3, s1
; %bb.613:                              ;   in Loop: Header=BB377_281 Depth=1
	s_or_b32 exec_lo, exec_lo, s22
	v_dual_mov_b32 v13, v2 :: v_dual_and_b32 v4, 0xff, v2
	v_mov_b32_e32 v3, 0
	s_mov_b32 s22, exec_lo
	s_delay_alu instid0(VALU_DEP_2)
	v_cmpx_ne_u16_e32 0, v4
	s_cbranch_execz .LBB377_619
; %bb.614:                              ;   in Loop: Header=BB377_281 Depth=1
	v_bfrev_b32_e32 v3, 1
	s_mov_b32 s23, exec_lo
	v_cmpx_ne_u16_e32 0x80, v4
	s_cbranch_execz .LBB377_618
; %bb.615:                              ;   in Loop: Header=BB377_281 Depth=1
	v_and_b32_e32 v4, 0x7f, v2
	v_mov_b32_e32 v3, 0x7f800001
	s_mov_b32 s25, exec_lo
	s_delay_alu instid0(VALU_DEP_2)
	v_cmpx_ne_u32_e32 0x7f, v4
	s_cbranch_execz .LBB377_617
; %bb.616:                              ;   in Loop: Header=BB377_281 Depth=1
	v_and_b32_e32 v3, 7, v2
	v_lshrrev_b32_e32 v34, 3, v4
	v_cmp_gt_u32_e64 s1, 8, v4
	s_delay_alu instid0(VALU_DEP_3) | instskip(NEXT) | instid1(VALU_DEP_1)
	v_clz_i32_u32_e32 v3, v3
	v_min_u32_e32 v3, 32, v3
	s_delay_alu instid0(VALU_DEP_1) | instskip(SKIP_1) | instid1(VALU_DEP_1)
	v_subrev_nc_u32_e32 v35, 28, v3
	v_sub_nc_u32_e32 v3, 29, v3
	v_cndmask_b32_e64 v34, v34, v3, s1
	s_delay_alu instid0(VALU_DEP_3) | instskip(NEXT) | instid1(VALU_DEP_2)
	v_cndmask_b32_e64 v3, 0, v35, s1
	v_lshl_add_u32 v34, v34, 23, 0x3c000000
	s_delay_alu instid0(VALU_DEP_2) | instskip(SKIP_1) | instid1(VALU_DEP_2)
	v_lshlrev_b64 v[3:4], v3, v[13:14]
	v_lshlrev_b32_e32 v4, 24, v13
	v_lshlrev_b32_e32 v3, 20, v3
	s_delay_alu instid0(VALU_DEP_2) | instskip(NEXT) | instid1(VALU_DEP_2)
	v_and_b32_e32 v4, 0x80000000, v4
	v_and_b32_e32 v3, 0x700000, v3
	s_delay_alu instid0(VALU_DEP_1)
	v_or3_b32 v3, v3, v4, v34
.LBB377_617:                            ;   in Loop: Header=BB377_281 Depth=1
	s_or_b32 exec_lo, exec_lo, s25
.LBB377_618:                            ;   in Loop: Header=BB377_281 Depth=1
	s_delay_alu instid0(SALU_CYCLE_1)
	s_or_b32 exec_lo, exec_lo, s23
.LBB377_619:                            ;   in Loop: Header=BB377_281 Depth=1
	s_delay_alu instid0(SALU_CYCLE_1) | instskip(NEXT) | instid1(VALU_DEP_1)
	s_or_b32 exec_lo, exec_lo, s22
	v_mul_f32_e32 v3, s14, v3
                                        ; implicit-def: $vgpr34
	s_delay_alu instid0(VALU_DEP_1) | instskip(NEXT) | instid1(VALU_DEP_1)
	v_and_b32_e32 v4, 0x7f800000, v3
	v_cmp_ne_u32_e64 s1, 0x7f800000, v4
	s_delay_alu instid0(VALU_DEP_1) | instskip(NEXT) | instid1(SALU_CYCLE_1)
	s_and_saveexec_b32 s22, s1
	s_xor_b32 s1, exec_lo, s22
; %bb.620:                              ;   in Loop: Header=BB377_281 Depth=1
	v_bfe_u32 v4, v3, 16, 1
	s_delay_alu instid0(VALU_DEP_1)
	v_add3_u32 v34, v3, v4, 0x7fff
                                        ; implicit-def: $vgpr3
; %bb.621:                              ;   in Loop: Header=BB377_281 Depth=1
	s_and_not1_saveexec_b32 s22, s1
; %bb.622:                              ;   in Loop: Header=BB377_281 Depth=1
	v_and_b32_e32 v4, 0xffff, v3
	v_or_b32_e32 v34, 0x10000, v3
	s_delay_alu instid0(VALU_DEP_2) | instskip(NEXT) | instid1(VALU_DEP_1)
	v_cmp_eq_u32_e64 s1, 0, v4
	v_cndmask_b32_e64 v34, v34, v3, s1
; %bb.623:                              ;   in Loop: Header=BB377_281 Depth=1
	s_or_b32 exec_lo, exec_lo, s22
	v_lshrrev_b16 v4, 8, v13
	v_mov_b32_e32 v3, 0
	s_mov_b32 s22, exec_lo
	s_delay_alu instid0(VALU_DEP_2)
	v_cmpx_ne_u16_e32 0, v4
	s_cbranch_execz .LBB377_631
; %bb.624:                              ;   in Loop: Header=BB377_281 Depth=1
	v_bfrev_b32_e32 v3, 1
	s_mov_b32 s23, exec_lo
	v_cmpx_ne_u16_e32 0x80, v4
	s_cbranch_execz .LBB377_630
; %bb.625:                              ;   in Loop: Header=BB377_281 Depth=1
	v_and_b32_e32 v4, 0xffff, v4
	v_mov_b32_e32 v3, 0x7f800001
	s_mov_b32 s25, exec_lo
	s_delay_alu instid0(VALU_DEP_2) | instskip(NEXT) | instid1(VALU_DEP_1)
	v_and_b32_e32 v36, 0x7f, v4
	v_cmpx_ne_u32_e32 0x7f, v36
	s_cbranch_execz .LBB377_629
; %bb.626:                              ;   in Loop: Header=BB377_281 Depth=1
	v_dual_mov_b32 v4, v14 :: v_dual_and_b32 v3, 7, v4
	v_lshrrev_b32_e32 v35, 3, v36
	s_mov_b32 s30, exec_lo
	v_cmpx_gt_u32_e32 8, v36
; %bb.627:                              ;   in Loop: Header=BB377_281 Depth=1
	s_delay_alu instid0(VALU_DEP_3) | instskip(NEXT) | instid1(VALU_DEP_1)
	v_clz_i32_u32_e32 v35, v3
	v_min_u32_e32 v35, 32, v35
	s_delay_alu instid0(VALU_DEP_1) | instskip(SKIP_1) | instid1(VALU_DEP_2)
	v_subrev_nc_u32_e32 v36, 28, v35
	v_sub_nc_u32_e32 v35, 29, v35
	v_lshlrev_b64 v[3:4], v36, v[3:4]
	s_delay_alu instid0(VALU_DEP_1)
	v_and_b32_e32 v3, 7, v3
; %bb.628:                              ;   in Loop: Header=BB377_281 Depth=1
	s_or_b32 exec_lo, exec_lo, s30
	v_lshlrev_b32_e32 v4, 16, v13
	s_delay_alu instid0(VALU_DEP_2) | instskip(SKIP_1) | instid1(VALU_DEP_3)
	v_lshlrev_b32_e32 v3, 20, v3
	v_lshl_add_u32 v13, v35, 23, 0x3c000000
	v_and_b32_e32 v4, 0x80000000, v4
	s_delay_alu instid0(VALU_DEP_1)
	v_or3_b32 v3, v3, v4, v13
.LBB377_629:                            ;   in Loop: Header=BB377_281 Depth=1
	s_or_b32 exec_lo, exec_lo, s25
.LBB377_630:                            ;   in Loop: Header=BB377_281 Depth=1
	s_delay_alu instid0(SALU_CYCLE_1)
	s_or_b32 exec_lo, exec_lo, s23
.LBB377_631:                            ;   in Loop: Header=BB377_281 Depth=1
	s_delay_alu instid0(SALU_CYCLE_1) | instskip(NEXT) | instid1(VALU_DEP_1)
	s_or_b32 exec_lo, exec_lo, s22
	v_mul_f32_e32 v4, s14, v3
	s_delay_alu instid0(VALU_DEP_1) | instskip(NEXT) | instid1(VALU_DEP_1)
	v_and_b32_e32 v3, 0x7f800000, v4
	v_cmp_ne_u32_e64 s1, 0x7f800000, v3
                                        ; implicit-def: $vgpr3
	s_delay_alu instid0(VALU_DEP_1) | instskip(NEXT) | instid1(SALU_CYCLE_1)
	s_and_saveexec_b32 s22, s1
	s_xor_b32 s1, exec_lo, s22
; %bb.632:                              ;   in Loop: Header=BB377_281 Depth=1
	v_bfe_u32 v3, v4, 16, 1
	s_delay_alu instid0(VALU_DEP_1)
	v_add3_u32 v3, v4, v3, 0x7fff
                                        ; implicit-def: $vgpr4
; %bb.633:                              ;   in Loop: Header=BB377_281 Depth=1
	s_and_not1_saveexec_b32 s22, s1
; %bb.634:                              ;   in Loop: Header=BB377_281 Depth=1
	v_and_b32_e32 v3, 0xffff, v4
	v_or_b32_e32 v13, 0x10000, v4
	s_delay_alu instid0(VALU_DEP_2) | instskip(NEXT) | instid1(VALU_DEP_1)
	v_cmp_eq_u32_e64 s1, 0, v3
	v_cndmask_b32_e64 v3, v13, v4, s1
; %bb.635:                              ;   in Loop: Header=BB377_281 Depth=1
	s_or_b32 exec_lo, exec_lo, s22
	v_lshrrev_b32_e32 v4, 16, v2
	v_mov_b32_e32 v13, 0
	s_mov_b32 s22, exec_lo
	s_delay_alu instid0(VALU_DEP_2) | instskip(NEXT) | instid1(VALU_DEP_1)
	v_and_b32_e32 v35, 0xff, v4
	v_cmpx_ne_u16_e32 0, v35
	s_cbranch_execz .LBB377_643
; %bb.636:                              ;   in Loop: Header=BB377_281 Depth=1
	v_bfrev_b32_e32 v13, 1
	s_mov_b32 s23, exec_lo
	v_cmpx_ne_u16_e32 0x80, v35
	s_cbranch_execz .LBB377_642
; %bb.637:                              ;   in Loop: Header=BB377_281 Depth=1
	v_bfe_u32 v36, v2, 16, 7
	v_mov_b32_e32 v13, 0x7f800001
	s_mov_b32 s25, exec_lo
	s_delay_alu instid0(VALU_DEP_2)
	v_cmpx_ne_u32_e32 0x7f, v36
	s_cbranch_execz .LBB377_641
; %bb.638:                              ;   in Loop: Header=BB377_281 Depth=1
	v_and_b32_e32 v13, 7, v4
	v_lshrrev_b32_e32 v35, 3, v36
	s_mov_b32 s30, exec_lo
	v_cmpx_gt_u32_e32 8, v36
; %bb.639:                              ;   in Loop: Header=BB377_281 Depth=1
	s_delay_alu instid0(VALU_DEP_3) | instskip(NEXT) | instid1(VALU_DEP_1)
	v_clz_i32_u32_e32 v35, v13
	v_min_u32_e32 v35, 32, v35
	s_delay_alu instid0(VALU_DEP_1) | instskip(SKIP_1) | instid1(VALU_DEP_2)
	v_subrev_nc_u32_e32 v36, 28, v35
	v_sub_nc_u32_e32 v35, 29, v35
	v_lshlrev_b64 v[36:37], v36, v[13:14]
	s_delay_alu instid0(VALU_DEP_1)
	v_and_b32_e32 v13, 7, v36
; %bb.640:                              ;   in Loop: Header=BB377_281 Depth=1
	s_or_b32 exec_lo, exec_lo, s30
	v_lshlrev_b32_e32 v4, 24, v4
	s_delay_alu instid0(VALU_DEP_2) | instskip(SKIP_1) | instid1(VALU_DEP_3)
	v_lshlrev_b32_e32 v13, 20, v13
	v_lshl_add_u32 v35, v35, 23, 0x3c000000
	v_and_b32_e32 v4, 0x80000000, v4
	s_delay_alu instid0(VALU_DEP_1)
	v_or3_b32 v13, v13, v4, v35
.LBB377_641:                            ;   in Loop: Header=BB377_281 Depth=1
	s_or_b32 exec_lo, exec_lo, s25
.LBB377_642:                            ;   in Loop: Header=BB377_281 Depth=1
	s_delay_alu instid0(SALU_CYCLE_1)
	s_or_b32 exec_lo, exec_lo, s23
.LBB377_643:                            ;   in Loop: Header=BB377_281 Depth=1
	s_delay_alu instid0(SALU_CYCLE_1) | instskip(NEXT) | instid1(VALU_DEP_1)
	s_or_b32 exec_lo, exec_lo, s22
	v_mul_f32_e32 v4, s14, v13
                                        ; implicit-def: $vgpr35
	s_delay_alu instid0(VALU_DEP_1) | instskip(NEXT) | instid1(VALU_DEP_1)
	v_and_b32_e32 v13, 0x7f800000, v4
	v_cmp_ne_u32_e64 s1, 0x7f800000, v13
	s_delay_alu instid0(VALU_DEP_1) | instskip(NEXT) | instid1(SALU_CYCLE_1)
	s_and_saveexec_b32 s22, s1
	s_xor_b32 s1, exec_lo, s22
; %bb.644:                              ;   in Loop: Header=BB377_281 Depth=1
	v_bfe_u32 v13, v4, 16, 1
	s_delay_alu instid0(VALU_DEP_1)
	v_add3_u32 v35, v4, v13, 0x7fff
                                        ; implicit-def: $vgpr4
; %bb.645:                              ;   in Loop: Header=BB377_281 Depth=1
	s_and_not1_saveexec_b32 s22, s1
; %bb.646:                              ;   in Loop: Header=BB377_281 Depth=1
	v_and_b32_e32 v13, 0xffff, v4
	v_or_b32_e32 v35, 0x10000, v4
	s_delay_alu instid0(VALU_DEP_2) | instskip(NEXT) | instid1(VALU_DEP_1)
	v_cmp_eq_u32_e64 s1, 0, v13
	v_cndmask_b32_e64 v35, v35, v4, s1
; %bb.647:                              ;   in Loop: Header=BB377_281 Depth=1
	s_or_b32 exec_lo, exec_lo, s22
	v_mov_b32_e32 v4, 0
	s_mov_b32 s22, exec_lo
	v_cmpx_lt_u64_e64 s[10:11], v[1:2]
	s_cbranch_execz .LBB377_655
; %bb.648:                              ;   in Loop: Header=BB377_281 Depth=1
	v_lshrrev_b32_e32 v1, 24, v2
	v_bfrev_b32_e32 v4, 1
	s_mov_b32 s23, exec_lo
	s_delay_alu instid0(VALU_DEP_2)
	v_cmpx_ne_u32_e32 0x80, v1
	s_cbranch_execz .LBB377_654
; %bb.649:                              ;   in Loop: Header=BB377_281 Depth=1
	v_bfe_u32 v36, v2, 24, 7
	v_mov_b32_e32 v4, 0x7f800001
	s_mov_b32 s25, exec_lo
	s_delay_alu instid0(VALU_DEP_2)
	v_cmpx_ne_u32_e32 0x7f, v36
	s_cbranch_execz .LBB377_653
; %bb.650:                              ;   in Loop: Header=BB377_281 Depth=1
	v_and_b32_e32 v13, 7, v1
	v_lshrrev_b32_e32 v2, 3, v36
	s_mov_b32 s30, exec_lo
	v_cmpx_gt_u32_e32 8, v36
; %bb.651:                              ;   in Loop: Header=BB377_281 Depth=1
	s_delay_alu instid0(VALU_DEP_3) | instskip(NEXT) | instid1(VALU_DEP_1)
	v_clz_i32_u32_e32 v2, v13
	v_min_u32_e32 v2, 32, v2
	s_delay_alu instid0(VALU_DEP_1) | instskip(SKIP_1) | instid1(VALU_DEP_2)
	v_subrev_nc_u32_e32 v4, 28, v2
	v_sub_nc_u32_e32 v2, 29, v2
	v_lshlrev_b64 v[36:37], v4, v[13:14]
	s_delay_alu instid0(VALU_DEP_1)
	v_and_b32_e32 v13, 7, v36
; %bb.652:                              ;   in Loop: Header=BB377_281 Depth=1
	s_or_b32 exec_lo, exec_lo, s30
	v_lshlrev_b32_e32 v1, 24, v1
	s_delay_alu instid0(VALU_DEP_2) | instskip(SKIP_1) | instid1(VALU_DEP_3)
	v_lshlrev_b32_e32 v4, 20, v13
	v_lshl_add_u32 v2, v2, 23, 0x3c000000
	v_and_b32_e32 v1, 0x80000000, v1
	s_delay_alu instid0(VALU_DEP_1)
	v_or3_b32 v4, v4, v1, v2
.LBB377_653:                            ;   in Loop: Header=BB377_281 Depth=1
	s_or_b32 exec_lo, exec_lo, s25
.LBB377_654:                            ;   in Loop: Header=BB377_281 Depth=1
	s_delay_alu instid0(SALU_CYCLE_1)
	s_or_b32 exec_lo, exec_lo, s23
.LBB377_655:                            ;   in Loop: Header=BB377_281 Depth=1
	s_delay_alu instid0(SALU_CYCLE_1) | instskip(NEXT) | instid1(VALU_DEP_1)
	s_or_b32 exec_lo, exec_lo, s22
	v_mul_f32_e32 v2, s14, v4
	s_delay_alu instid0(VALU_DEP_1) | instskip(NEXT) | instid1(VALU_DEP_1)
	v_and_b32_e32 v1, 0x7f800000, v2
	v_cmp_ne_u32_e64 s1, 0x7f800000, v1
                                        ; implicit-def: $vgpr1
	s_delay_alu instid0(VALU_DEP_1) | instskip(NEXT) | instid1(SALU_CYCLE_1)
	s_and_saveexec_b32 s14, s1
	s_xor_b32 s1, exec_lo, s14
; %bb.656:                              ;   in Loop: Header=BB377_281 Depth=1
	v_bfe_u32 v1, v2, 16, 1
	s_delay_alu instid0(VALU_DEP_1)
	v_add3_u32 v1, v2, v1, 0x7fff
                                        ; implicit-def: $vgpr2
; %bb.657:                              ;   in Loop: Header=BB377_281 Depth=1
	s_and_not1_saveexec_b32 s14, s1
; %bb.658:                              ;   in Loop: Header=BB377_281 Depth=1
	v_and_b32_e32 v1, 0xffff, v2
	v_or_b32_e32 v4, 0x10000, v2
	s_delay_alu instid0(VALU_DEP_2) | instskip(NEXT) | instid1(VALU_DEP_1)
	v_cmp_eq_u32_e64 s1, 0, v1
	v_cndmask_b32_e64 v1, v4, v2, s1
; %bb.659:                              ;   in Loop: Header=BB377_281 Depth=1
	s_or_b32 exec_lo, exec_lo, s14
	v_lshrrev_b32_e32 v4, 16, v3
	v_lshrrev_b32_e32 v13, 16, v34
	;; [unrolled: 1-line block ×8, first 2 shown]
	s_and_saveexec_b32 s1, s0
	s_cbranch_execz .LBB377_661
; %bb.660:                              ;   in Loop: Header=BB377_281 Depth=1
	v_add_nc_u32_e32 v5, 1, v23
	v_cmp_gt_i32_e64 s0, s15, v23
	v_add_nc_u32_e32 v34, 2, v23
	v_add_nc_u32_e32 v35, 3, v23
	s_delay_alu instid0(VALU_DEP_3) | instskip(SKIP_2) | instid1(VALU_DEP_2)
	v_cndmask_b32_e64 v3, 0, v3, s0
	v_cmp_gt_i32_e64 s0, s15, v5
	v_add_nc_u32_e32 v5, 4, v23
	v_cndmask_b32_e64 v6, 0, v6, s0
	v_cmp_gt_i32_e64 s0, s15, v34
	v_add_nc_u32_e32 v34, 5, v23
	s_delay_alu instid0(VALU_DEP_2) | instskip(SKIP_2) | instid1(VALU_DEP_2)
	v_cndmask_b32_e64 v32, 0, v32, s0
	v_cmp_gt_i32_e64 s0, s15, v35
	v_add_nc_u32_e32 v35, 6, v23
	v_cndmask_b32_e64 v33, 0, v33, s0
	v_cmp_gt_i32_e64 s0, s15, v5
	v_add_nc_u32_e32 v5, 7, v23
	s_delay_alu instid0(VALU_DEP_2) | instskip(SKIP_1) | instid1(VALU_DEP_1)
	v_cndmask_b32_e64 v13, 0, v13, s0
	v_cmp_gt_i32_e64 s0, s15, v34
	v_cndmask_b32_e64 v4, 0, v4, s0
	v_cmp_gt_i32_e64 s0, s15, v35
	s_delay_alu instid0(VALU_DEP_1) | instskip(SKIP_1) | instid1(VALU_DEP_1)
	v_cndmask_b32_e64 v2, 0, v2, s0
	v_cmp_gt_i32_e64 s0, s15, v5
	v_cndmask_b32_e64 v1, 0, v1, s0
.LBB377_661:                            ;   in Loop: Header=BB377_281 Depth=1
	s_or_b32 exec_lo, exec_lo, s1
	v_lshlrev_b32_e32 v3, 16, v3
	s_delay_alu instid0(VALU_DEP_1) | instskip(NEXT) | instid1(VALU_DEP_1)
	v_mul_f32_e32 v5, v7, v3
	v_and_b32_e32 v3, 0x7f800000, v5
	s_delay_alu instid0(VALU_DEP_1) | instskip(NEXT) | instid1(VALU_DEP_1)
	v_cmp_ne_u32_e64 s0, 0x7f800000, v3
                                        ; implicit-def: $vgpr3
	s_and_saveexec_b32 s1, s0
	s_delay_alu instid0(SALU_CYCLE_1)
	s_xor_b32 s0, exec_lo, s1
; %bb.662:                              ;   in Loop: Header=BB377_281 Depth=1
	v_bfe_u32 v3, v5, 16, 1
	s_delay_alu instid0(VALU_DEP_1)
	v_add3_u32 v3, v5, v3, 0x7fff
                                        ; implicit-def: $vgpr5
; %bb.663:                              ;   in Loop: Header=BB377_281 Depth=1
	s_and_not1_saveexec_b32 s1, s0
; %bb.664:                              ;   in Loop: Header=BB377_281 Depth=1
	v_and_b32_e32 v3, 0xffff, v5
	v_or_b32_e32 v7, 0x10000, v5
	s_delay_alu instid0(VALU_DEP_2) | instskip(NEXT) | instid1(VALU_DEP_1)
	v_cmp_eq_u32_e64 s0, 0, v3
	v_cndmask_b32_e64 v3, v7, v5, s0
; %bb.665:                              ;   in Loop: Header=BB377_281 Depth=1
	s_or_b32 exec_lo, exec_lo, s1
	v_lshlrev_b32_e32 v5, 16, v6
	s_delay_alu instid0(VALU_DEP_1) | instskip(NEXT) | instid1(VALU_DEP_1)
	v_mul_f32_e32 v6, v8, v5
	v_and_b32_e32 v5, 0x7f800000, v6
	s_delay_alu instid0(VALU_DEP_1) | instskip(NEXT) | instid1(VALU_DEP_1)
	v_cmp_ne_u32_e64 s0, 0x7f800000, v5
                                        ; implicit-def: $vgpr5
	s_and_saveexec_b32 s1, s0
	s_delay_alu instid0(SALU_CYCLE_1)
	s_xor_b32 s0, exec_lo, s1
; %bb.666:                              ;   in Loop: Header=BB377_281 Depth=1
	v_bfe_u32 v5, v6, 16, 1
	s_delay_alu instid0(VALU_DEP_1)
	v_add3_u32 v5, v6, v5, 0x7fff
                                        ; implicit-def: $vgpr6
; %bb.667:                              ;   in Loop: Header=BB377_281 Depth=1
	s_and_not1_saveexec_b32 s1, s0
; %bb.668:                              ;   in Loop: Header=BB377_281 Depth=1
	v_and_b32_e32 v5, 0xffff, v6
	v_or_b32_e32 v7, 0x10000, v6
	s_delay_alu instid0(VALU_DEP_2) | instskip(NEXT) | instid1(VALU_DEP_1)
	v_cmp_eq_u32_e64 s0, 0, v5
	v_cndmask_b32_e64 v5, v7, v6, s0
; %bb.669:                              ;   in Loop: Header=BB377_281 Depth=1
	s_or_b32 exec_lo, exec_lo, s1
	v_lshlrev_b32_e32 v6, 16, v32
	s_delay_alu instid0(VALU_DEP_1) | instskip(NEXT) | instid1(VALU_DEP_1)
	v_mul_f32_e32 v7, v26, v6
	v_and_b32_e32 v6, 0x7f800000, v7
	s_delay_alu instid0(VALU_DEP_1) | instskip(NEXT) | instid1(VALU_DEP_1)
	v_cmp_ne_u32_e64 s0, 0x7f800000, v6
                                        ; implicit-def: $vgpr6
	s_and_saveexec_b32 s1, s0
	s_delay_alu instid0(SALU_CYCLE_1)
	s_xor_b32 s0, exec_lo, s1
; %bb.670:                              ;   in Loop: Header=BB377_281 Depth=1
	v_bfe_u32 v6, v7, 16, 1
	s_delay_alu instid0(VALU_DEP_1)
	v_add3_u32 v6, v7, v6, 0x7fff
                                        ; implicit-def: $vgpr7
; %bb.671:                              ;   in Loop: Header=BB377_281 Depth=1
	s_and_not1_saveexec_b32 s1, s0
; %bb.672:                              ;   in Loop: Header=BB377_281 Depth=1
	v_and_b32_e32 v6, 0xffff, v7
	v_or_b32_e32 v8, 0x10000, v7
	s_delay_alu instid0(VALU_DEP_2) | instskip(NEXT) | instid1(VALU_DEP_1)
	v_cmp_eq_u32_e64 s0, 0, v6
	v_cndmask_b32_e64 v6, v8, v7, s0
; %bb.673:                              ;   in Loop: Header=BB377_281 Depth=1
	s_or_b32 exec_lo, exec_lo, s1
	v_lshlrev_b32_e32 v7, 16, v33
	s_delay_alu instid0(VALU_DEP_1) | instskip(NEXT) | instid1(VALU_DEP_1)
	v_mul_f32_e32 v8, v27, v7
	v_and_b32_e32 v7, 0x7f800000, v8
	s_delay_alu instid0(VALU_DEP_1) | instskip(NEXT) | instid1(VALU_DEP_1)
	v_cmp_ne_u32_e64 s0, 0x7f800000, v7
                                        ; implicit-def: $vgpr7
	s_and_saveexec_b32 s1, s0
	s_delay_alu instid0(SALU_CYCLE_1)
	s_xor_b32 s0, exec_lo, s1
; %bb.674:                              ;   in Loop: Header=BB377_281 Depth=1
	v_bfe_u32 v7, v8, 16, 1
	s_delay_alu instid0(VALU_DEP_1)
	v_add3_u32 v7, v8, v7, 0x7fff
                                        ; implicit-def: $vgpr8
; %bb.675:                              ;   in Loop: Header=BB377_281 Depth=1
	s_and_not1_saveexec_b32 s1, s0
; %bb.676:                              ;   in Loop: Header=BB377_281 Depth=1
	v_and_b32_e32 v7, 0xffff, v8
	v_or_b32_e32 v26, 0x10000, v8
	s_delay_alu instid0(VALU_DEP_2) | instskip(NEXT) | instid1(VALU_DEP_1)
	v_cmp_eq_u32_e64 s0, 0, v7
	v_cndmask_b32_e64 v7, v26, v8, s0
; %bb.677:                              ;   in Loop: Header=BB377_281 Depth=1
	s_or_b32 exec_lo, exec_lo, s1
	v_lshlrev_b32_e32 v8, 16, v13
	s_delay_alu instid0(VALU_DEP_1) | instskip(NEXT) | instid1(VALU_DEP_1)
	v_mul_f32_e32 v13, v28, v8
	v_and_b32_e32 v8, 0x7f800000, v13
	s_delay_alu instid0(VALU_DEP_1) | instskip(NEXT) | instid1(VALU_DEP_1)
	v_cmp_ne_u32_e64 s0, 0x7f800000, v8
                                        ; implicit-def: $vgpr8
	s_and_saveexec_b32 s1, s0
	s_delay_alu instid0(SALU_CYCLE_1)
	s_xor_b32 s0, exec_lo, s1
; %bb.678:                              ;   in Loop: Header=BB377_281 Depth=1
	v_bfe_u32 v8, v13, 16, 1
	s_delay_alu instid0(VALU_DEP_1)
	v_add3_u32 v8, v13, v8, 0x7fff
                                        ; implicit-def: $vgpr13
; %bb.679:                              ;   in Loop: Header=BB377_281 Depth=1
	s_and_not1_saveexec_b32 s1, s0
; %bb.680:                              ;   in Loop: Header=BB377_281 Depth=1
	v_and_b32_e32 v8, 0xffff, v13
	v_or_b32_e32 v26, 0x10000, v13
	s_delay_alu instid0(VALU_DEP_2) | instskip(NEXT) | instid1(VALU_DEP_1)
	v_cmp_eq_u32_e64 s0, 0, v8
	v_cndmask_b32_e64 v8, v26, v13, s0
; %bb.681:                              ;   in Loop: Header=BB377_281 Depth=1
	s_or_b32 exec_lo, exec_lo, s1
	v_lshlrev_b32_e32 v4, 16, v4
	s_delay_alu instid0(VALU_DEP_1) | instskip(NEXT) | instid1(VALU_DEP_1)
	v_mul_f32_e32 v13, v29, v4
	v_and_b32_e32 v4, 0x7f800000, v13
	s_delay_alu instid0(VALU_DEP_1) | instskip(NEXT) | instid1(VALU_DEP_1)
	v_cmp_ne_u32_e64 s0, 0x7f800000, v4
                                        ; implicit-def: $vgpr4
	s_and_saveexec_b32 s1, s0
	s_delay_alu instid0(SALU_CYCLE_1)
	s_xor_b32 s0, exec_lo, s1
; %bb.682:                              ;   in Loop: Header=BB377_281 Depth=1
	v_bfe_u32 v4, v13, 16, 1
	s_delay_alu instid0(VALU_DEP_1)
	v_add3_u32 v4, v13, v4, 0x7fff
                                        ; implicit-def: $vgpr13
; %bb.683:                              ;   in Loop: Header=BB377_281 Depth=1
	s_and_not1_saveexec_b32 s1, s0
; %bb.684:                              ;   in Loop: Header=BB377_281 Depth=1
	v_and_b32_e32 v4, 0xffff, v13
	v_or_b32_e32 v26, 0x10000, v13
	s_delay_alu instid0(VALU_DEP_2) | instskip(NEXT) | instid1(VALU_DEP_1)
	v_cmp_eq_u32_e64 s0, 0, v4
	v_cndmask_b32_e64 v4, v26, v13, s0
; %bb.685:                              ;   in Loop: Header=BB377_281 Depth=1
	s_or_b32 exec_lo, exec_lo, s1
	v_lshlrev_b32_e32 v2, 16, v2
	s_delay_alu instid0(VALU_DEP_1) | instskip(NEXT) | instid1(VALU_DEP_1)
	v_mul_f32_e32 v13, v30, v2
	v_and_b32_e32 v2, 0x7f800000, v13
	s_delay_alu instid0(VALU_DEP_1) | instskip(NEXT) | instid1(VALU_DEP_1)
	v_cmp_ne_u32_e64 s0, 0x7f800000, v2
                                        ; implicit-def: $vgpr2
	s_and_saveexec_b32 s1, s0
	s_delay_alu instid0(SALU_CYCLE_1)
	s_xor_b32 s0, exec_lo, s1
; %bb.686:                              ;   in Loop: Header=BB377_281 Depth=1
	v_bfe_u32 v2, v13, 16, 1
	s_delay_alu instid0(VALU_DEP_1)
	v_add3_u32 v2, v13, v2, 0x7fff
                                        ; implicit-def: $vgpr13
; %bb.687:                              ;   in Loop: Header=BB377_281 Depth=1
	s_and_not1_saveexec_b32 s1, s0
; %bb.688:                              ;   in Loop: Header=BB377_281 Depth=1
	v_and_b32_e32 v2, 0xffff, v13
	v_or_b32_e32 v26, 0x10000, v13
	s_delay_alu instid0(VALU_DEP_2) | instskip(NEXT) | instid1(VALU_DEP_1)
	v_cmp_eq_u32_e64 s0, 0, v2
	v_cndmask_b32_e64 v2, v26, v13, s0
; %bb.689:                              ;   in Loop: Header=BB377_281 Depth=1
	s_or_b32 exec_lo, exec_lo, s1
	v_lshlrev_b32_e32 v1, 16, v1
	s_delay_alu instid0(VALU_DEP_1) | instskip(NEXT) | instid1(VALU_DEP_1)
	v_mul_f32_e32 v13, v31, v1
	v_and_b32_e32 v1, 0x7f800000, v13
	s_delay_alu instid0(VALU_DEP_1) | instskip(NEXT) | instid1(VALU_DEP_1)
	v_cmp_ne_u32_e64 s0, 0x7f800000, v1
                                        ; implicit-def: $vgpr1
	s_and_saveexec_b32 s1, s0
	s_delay_alu instid0(SALU_CYCLE_1)
	s_xor_b32 s0, exec_lo, s1
; %bb.690:                              ;   in Loop: Header=BB377_281 Depth=1
	v_bfe_u32 v1, v13, 16, 1
	s_delay_alu instid0(VALU_DEP_1)
	v_add3_u32 v1, v13, v1, 0x7fff
                                        ; implicit-def: $vgpr13
; %bb.691:                              ;   in Loop: Header=BB377_281 Depth=1
	s_and_not1_saveexec_b32 s1, s0
	s_cbranch_execz .LBB377_278
; %bb.692:                              ;   in Loop: Header=BB377_281 Depth=1
	v_and_b32_e32 v1, 0xffff, v13
	v_or_b32_e32 v26, 0x10000, v13
	s_delay_alu instid0(VALU_DEP_2) | instskip(NEXT) | instid1(VALU_DEP_1)
	v_cmp_eq_u32_e64 s0, 0, v1
	v_cndmask_b32_e64 v1, v26, v13, s0
	s_branch .LBB377_278
.LBB377_693:
	s_or_b32 exec_lo, exec_lo, s12
.LBB377_694:
	s_delay_alu instid0(SALU_CYCLE_1)
	s_or_b32 exec_lo, exec_lo, s5
	s_movk_i32 s0, 0x140
	v_and_b32_e32 v2, 0x3c0, v0
	v_mad_u32_u24 v1, v22, s0, 0xc0
	s_mov_b32 s0, exec_lo
	s_waitcnt_vscnt null, 0x0
	s_barrier
	buffer_gl0_inv
	v_cmpx_eq_u32_e32 64, v2
	s_cbranch_execz .LBB377_697
; %bb.695:
	v_add3_u32 v2, v1, v18, 0xfffffd80
	v_cmp_gt_u32_e32 vcc_lo, 0x50, v19
	ds_store_2addr_b32 v2, v9, v10 offset1:32
	s_and_b32 exec_lo, exec_lo, vcc_lo
	s_cbranch_execz .LBB377_697
; %bb.696:
	ds_store_b32 v2, v11 offset:256
.LBB377_697:
	s_or_b32 exec_lo, exec_lo, s0
	v_lshl_add_u32 v3, v17, 2, v1
	s_mov_b32 s0, exec_lo
	s_waitcnt lgkmcnt(0)
	s_barrier
	buffer_gl0_inv
	v_cmpx_gt_u32_e32 64, v0
	s_cbranch_execz .LBB377_701
; %bb.698:
	v_lshl_or_b32 v2, v0, 2, 0x80
	s_mov_b32 s1, exec_lo
	s_delay_alu instid0(VALU_DEP_1)
	v_add_nc_u32_e32 v2, v1, v2
	ds_load_b32 v4, v3
	ds_load_b32 v2, v2
	s_waitcnt lgkmcnt(0)
	v_dual_add_f32 v9, v9, v4 :: v_dual_add_f32 v10, v10, v2
	v_cmpx_gt_u32_e32 0x50, v19
	s_cbranch_execz .LBB377_700
; %bb.699:
	ds_load_b32 v2, v3 offset:256
	s_waitcnt lgkmcnt(0)
	v_add_f32_e32 v11, v11, v2
.LBB377_700:
	s_or_b32 exec_lo, exec_lo, s1
.LBB377_701:
	s_delay_alu instid0(SALU_CYCLE_1)
	s_or_b32 exec_lo, exec_lo, s0
	v_and_b32_e32 v2, 0x3e0, v0
	s_mov_b32 s0, exec_lo
	s_barrier
	buffer_gl0_inv
	v_cmpx_eq_u32_e32 32, v2
	s_cbranch_execz .LBB377_704
; %bb.702:
	v_add_nc_u32_e32 v4, 0xfffffec0, v1
	v_cmp_gt_u32_e32 vcc_lo, 0x50, v19
	s_delay_alu instid0(VALU_DEP_2)
	v_lshl_add_u32 v2, v17, 2, v4
	v_lshl_add_u32 v4, v0, 2, v4
	ds_store_b32 v2, v9
	ds_store_b32 v4, v10
	s_and_b32 exec_lo, exec_lo, vcc_lo
	s_cbranch_execz .LBB377_704
; %bb.703:
	ds_store_b32 v2, v11 offset:256
.LBB377_704:
	s_or_b32 exec_lo, exec_lo, s0
	v_cmp_gt_u32_e32 vcc_lo, 32, v0
	v_or_b32_e32 v2, 64, v0
	s_waitcnt lgkmcnt(0)
	s_barrier
	buffer_gl0_inv
	s_and_saveexec_b32 s1, vcc_lo
	s_cbranch_execz .LBB377_708
; %bb.705:
	v_lshl_add_u32 v1, v0, 2, v1
	s_mov_b32 s2, exec_lo
	ds_load_b32 v3, v3
	ds_load_b32 v4, v1 offset:128
	s_waitcnt lgkmcnt(0)
	v_dual_add_f32 v9, v9, v3 :: v_dual_add_f32 v10, v10, v4
	v_cmpx_gt_u32_e32 0x50, v2
	s_cbranch_execz .LBB377_707
; %bb.706:
	ds_load_b32 v1, v1 offset:256
	s_waitcnt lgkmcnt(0)
	v_add_f32_e32 v11, v11, v1
.LBB377_707:
	s_or_b32 exec_lo, exec_lo, s2
.LBB377_708:
	s_delay_alu instid0(SALU_CYCLE_1)
	s_or_b32 exec_lo, exec_lo, s1
	s_barrier
	buffer_gl0_inv
	s_and_saveexec_b32 s0, vcc_lo
	s_cbranch_execz .LBB377_723
; %bb.709:
	v_and_b32_e32 v1, 0x7f800000, v9
	s_mov_b32 s0, exec_lo
                                        ; implicit-def: $vgpr3
	s_delay_alu instid0(VALU_DEP_1)
	v_cmpx_ne_u32_e32 0x7f800000, v1
	s_xor_b32 s0, exec_lo, s0
; %bb.710:
	v_bfe_u32 v1, v9, 16, 1
	s_delay_alu instid0(VALU_DEP_1)
	v_add3_u32 v3, v9, v1, 0x7fff
; %bb.711:
	s_and_not1_saveexec_b32 s0, s0
; %bb.712:
	v_and_b32_e32 v1, 0xffff, v9
	v_or_b32_e32 v3, 0x10000, v9
	s_delay_alu instid0(VALU_DEP_2) | instskip(NEXT) | instid1(VALU_DEP_2)
	v_cmp_eq_u32_e32 vcc_lo, 0, v1
	v_cndmask_b32_e32 v3, v3, v9, vcc_lo
; %bb.713:
	s_or_b32 exec_lo, exec_lo, s0
	s_mul_i32 s0, s4, 0x50
	s_mul_i32 s2, s8, s26
	s_ashr_i32 s1, s0, 31
	v_lshlrev_b32_e32 v4, 1, v0
	s_lshl_b64 s[0:1], s[0:1], 1
	v_and_b32_e32 v5, 0x7f800000, v10
	s_add_u32 s4, s28, s0
	s_addc_u32 s5, s29, s1
	s_ashr_i32 s3, s2, 31
	s_delay_alu instid0(SALU_CYCLE_1) | instskip(SKIP_4) | instid1(SALU_CYCLE_1)
	s_lshl_b64 s[0:1], s[2:3], 1
	s_mul_i32 s2, s24, 0x50
	s_add_u32 s4, s4, s0
	s_addc_u32 s5, s5, s1
	s_ashr_i32 s3, s2, 31
	s_lshl_b64 s[0:1], s[2:3], 1
	s_delay_alu instid0(SALU_CYCLE_1) | instskip(SKIP_2) | instid1(VALU_DEP_1)
	s_add_u32 s0, s4, s0
	s_addc_u32 s1, s5, s1
	v_add_co_u32 v0, s2, s0, v4
	v_add_co_ci_u32_e64 v1, null, s1, 0, s2
	global_store_d16_hi_b16 v4, v3, s[0:1]
	s_mov_b32 s0, exec_lo
                                        ; implicit-def: $vgpr3
	v_cmpx_ne_u32_e32 0x7f800000, v5
	s_xor_b32 s0, exec_lo, s0
; %bb.714:
	v_bfe_u32 v3, v10, 16, 1
	s_delay_alu instid0(VALU_DEP_1)
	v_add3_u32 v3, v10, v3, 0x7fff
; %bb.715:
	s_and_not1_saveexec_b32 s0, s0
; %bb.716:
	v_and_b32_e32 v3, 0xffff, v10
	v_or_b32_e32 v4, 0x10000, v10
	s_delay_alu instid0(VALU_DEP_2) | instskip(NEXT) | instid1(VALU_DEP_2)
	v_cmp_eq_u32_e32 vcc_lo, 0, v3
	v_cndmask_b32_e32 v3, v4, v10, vcc_lo
; %bb.717:
	s_or_b32 exec_lo, exec_lo, s0
	v_cmp_gt_u32_e32 vcc_lo, 0x50, v2
	global_store_d16_hi_b16 v[0:1], v3, off offset:64
	s_and_b32 exec_lo, exec_lo, vcc_lo
	s_cbranch_execz .LBB377_723
; %bb.718:
	v_and_b32_e32 v2, 0x7f800000, v11
	s_delay_alu instid0(VALU_DEP_1) | instskip(SKIP_1) | instid1(SALU_CYCLE_1)
	v_cmp_ne_u32_e32 vcc_lo, 0x7f800000, v2
                                        ; implicit-def: $vgpr2
	s_and_saveexec_b32 s0, vcc_lo
	s_xor_b32 s0, exec_lo, s0
; %bb.719:
	v_bfe_u32 v2, v11, 16, 1
	s_delay_alu instid0(VALU_DEP_1)
	v_add3_u32 v2, v11, v2, 0x7fff
                                        ; implicit-def: $vgpr9_vgpr10_vgpr11
; %bb.720:
	s_and_not1_saveexec_b32 s0, s0
; %bb.721:
	v_and_b32_e32 v2, 0xffff, v11
	v_or_b32_e32 v3, 0x10000, v11
	s_delay_alu instid0(VALU_DEP_2) | instskip(NEXT) | instid1(VALU_DEP_2)
	v_cmp_eq_u32_e32 vcc_lo, 0, v2
	v_cndmask_b32_e32 v2, v3, v11, vcc_lo
; %bb.722:
	s_or_b32 exec_lo, exec_lo, s0
	global_store_d16_hi_b16 v[0:1], v2, off offset:128
.LBB377_723:
	s_nop 0
	s_sendmsg sendmsg(MSG_DEALLOC_VGPRS)
	s_endpgm
	.section	.rodata,"a",@progbits
	.p2align	6, 0x0
	.amdhsa_kernel _ZN4vllm25paged_attention_v2_kernelI14__hip_bfloat16hLi80ELi8ELi128ELNS_18Fp8KVCacheDataTypeE1ELb1ELi512EEEvPfS3_PT_PKS4_PKT0_SA_ifPKiSC_iPKfiiiSE_SE_iiiii
		.amdhsa_group_segment_fixed_size 192
		.amdhsa_private_segment_fixed_size 0
		.amdhsa_kernarg_size 400
		.amdhsa_user_sgpr_count 13
		.amdhsa_user_sgpr_dispatch_ptr 0
		.amdhsa_user_sgpr_queue_ptr 0
		.amdhsa_user_sgpr_kernarg_segment_ptr 1
		.amdhsa_user_sgpr_dispatch_id 0
		.amdhsa_user_sgpr_private_segment_size 0
		.amdhsa_wavefront_size32 1
		.amdhsa_uses_dynamic_stack 0
		.amdhsa_enable_private_segment 0
		.amdhsa_system_sgpr_workgroup_id_x 1
		.amdhsa_system_sgpr_workgroup_id_y 1
		.amdhsa_system_sgpr_workgroup_id_z 1
		.amdhsa_system_sgpr_workgroup_info 0
		.amdhsa_system_vgpr_workitem_id 0
		.amdhsa_next_free_vgpr 55
		.amdhsa_next_free_sgpr 53
		.amdhsa_reserve_vcc 1
		.amdhsa_float_round_mode_32 0
		.amdhsa_float_round_mode_16_64 0
		.amdhsa_float_denorm_mode_32 3
		.amdhsa_float_denorm_mode_16_64 3
		.amdhsa_dx10_clamp 1
		.amdhsa_ieee_mode 1
		.amdhsa_fp16_overflow 0
		.amdhsa_workgroup_processor_mode 1
		.amdhsa_memory_ordered 1
		.amdhsa_forward_progress 0
		.amdhsa_shared_vgpr_count 0
		.amdhsa_exception_fp_ieee_invalid_op 0
		.amdhsa_exception_fp_denorm_src 0
		.amdhsa_exception_fp_ieee_div_zero 0
		.amdhsa_exception_fp_ieee_overflow 0
		.amdhsa_exception_fp_ieee_underflow 0
		.amdhsa_exception_fp_ieee_inexact 0
		.amdhsa_exception_int_div_zero 0
	.end_amdhsa_kernel
	.section	.text._ZN4vllm25paged_attention_v2_kernelI14__hip_bfloat16hLi80ELi8ELi128ELNS_18Fp8KVCacheDataTypeE1ELb1ELi512EEEvPfS3_PT_PKS4_PKT0_SA_ifPKiSC_iPKfiiiSE_SE_iiiii,"axG",@progbits,_ZN4vllm25paged_attention_v2_kernelI14__hip_bfloat16hLi80ELi8ELi128ELNS_18Fp8KVCacheDataTypeE1ELb1ELi512EEEvPfS3_PT_PKS4_PKT0_SA_ifPKiSC_iPKfiiiSE_SE_iiiii,comdat
.Lfunc_end377:
	.size	_ZN4vllm25paged_attention_v2_kernelI14__hip_bfloat16hLi80ELi8ELi128ELNS_18Fp8KVCacheDataTypeE1ELb1ELi512EEEvPfS3_PT_PKS4_PKT0_SA_ifPKiSC_iPKfiiiSE_SE_iiiii, .Lfunc_end377-_ZN4vllm25paged_attention_v2_kernelI14__hip_bfloat16hLi80ELi8ELi128ELNS_18Fp8KVCacheDataTypeE1ELb1ELi512EEEvPfS3_PT_PKS4_PKT0_SA_ifPKiSC_iPKfiiiSE_SE_iiiii
                                        ; -- End function
	.section	.AMDGPU.csdata,"",@progbits
; Kernel info:
; codeLenInByte = 24160
; NumSgprs: 55
; NumVgprs: 55
; ScratchSize: 0
; MemoryBound: 0
; FloatMode: 240
; IeeeMode: 1
; LDSByteSize: 192 bytes/workgroup (compile time only)
; SGPRBlocks: 6
; VGPRBlocks: 6
; NumSGPRsForWavesPerEU: 55
; NumVGPRsForWavesPerEU: 55
; Occupancy: 16
; WaveLimiterHint : 1
; COMPUTE_PGM_RSRC2:SCRATCH_EN: 0
; COMPUTE_PGM_RSRC2:USER_SGPR: 13
; COMPUTE_PGM_RSRC2:TRAP_HANDLER: 0
; COMPUTE_PGM_RSRC2:TGID_X_EN: 1
; COMPUTE_PGM_RSRC2:TGID_Y_EN: 1
; COMPUTE_PGM_RSRC2:TGID_Z_EN: 1
; COMPUTE_PGM_RSRC2:TIDIG_COMP_CNT: 0
	.section	.text._ZN4vllm25paged_attention_v2_kernelI14__hip_bfloat16hLi96ELi8ELi128ELNS_18Fp8KVCacheDataTypeE1ELb1ELi512EEEvPfS3_PT_PKS4_PKT0_SA_ifPKiSC_iPKfiiiSE_SE_iiiii,"axG",@progbits,_ZN4vllm25paged_attention_v2_kernelI14__hip_bfloat16hLi96ELi8ELi128ELNS_18Fp8KVCacheDataTypeE1ELb1ELi512EEEvPfS3_PT_PKS4_PKT0_SA_ifPKiSC_iPKfiiiSE_SE_iiiii,comdat
	.protected	_ZN4vllm25paged_attention_v2_kernelI14__hip_bfloat16hLi96ELi8ELi128ELNS_18Fp8KVCacheDataTypeE1ELb1ELi512EEEvPfS3_PT_PKS4_PKT0_SA_ifPKiSC_iPKfiiiSE_SE_iiiii ; -- Begin function _ZN4vllm25paged_attention_v2_kernelI14__hip_bfloat16hLi96ELi8ELi128ELNS_18Fp8KVCacheDataTypeE1ELb1ELi512EEEvPfS3_PT_PKS4_PKT0_SA_ifPKiSC_iPKfiiiSE_SE_iiiii
	.globl	_ZN4vllm25paged_attention_v2_kernelI14__hip_bfloat16hLi96ELi8ELi128ELNS_18Fp8KVCacheDataTypeE1ELb1ELi512EEEvPfS3_PT_PKS4_PKT0_SA_ifPKiSC_iPKfiiiSE_SE_iiiii
	.p2align	8
	.type	_ZN4vllm25paged_attention_v2_kernelI14__hip_bfloat16hLi96ELi8ELi128ELNS_18Fp8KVCacheDataTypeE1ELb1ELi512EEEvPfS3_PT_PKS4_PKT0_SA_ifPKiSC_iPKfiiiSE_SE_iiiii,@function
_ZN4vllm25paged_attention_v2_kernelI14__hip_bfloat16hLi96ELi8ELi128ELNS_18Fp8KVCacheDataTypeE1ELb1ELi512EEEvPfS3_PT_PKS4_PKT0_SA_ifPKiSC_iPKfiiiSE_SE_iiiii: ; @_ZN4vllm25paged_attention_v2_kernelI14__hip_bfloat16hLi96ELi8ELi128ELNS_18Fp8KVCacheDataTypeE1ELb1ELi512EEEvPfS3_PT_PKS4_PKT0_SA_ifPKiSC_iPKfiiiSE_SE_iiiii
; %bb.0:
	s_load_b64 s[2:3], s[0:1], 0x40
	s_mov_b32 s12, s15
	s_ashr_i32 s15, s14, 31
	s_delay_alu instid0(SALU_CYCLE_1)
	s_lshl_b64 s[4:5], s[14:15], 2
	s_waitcnt lgkmcnt(0)
	s_add_u32 s2, s2, s4
	s_addc_u32 s3, s3, s5
	s_lshl_b32 s33, s12, 9
	s_load_b32 s15, s[2:3], 0x0
	s_waitcnt lgkmcnt(0)
	s_cmp_ge_i32 s33, s15
	s_cbranch_scc1 .LBB378_762
; %bb.1:
	s_mov_b32 s28, s13
	s_clause 0x1
	s_load_b32 s13, s[0:1], 0x90
	s_load_b64 s[38:39], s[0:1], 0x30
	s_mov_b32 s42, 0
	s_waitcnt lgkmcnt(0)
	s_abs_i32 s5, s13
	s_abs_i32 s2, s38
	s_delay_alu instid0(SALU_CYCLE_1) | instskip(SKIP_1) | instid1(VALU_DEP_1)
	v_cvt_f32_u32_e32 v1, s2
	s_sub_i32 s4, 0, s2
	v_rcp_iflag_f32_e32 v1, v1
	s_waitcnt_depctr 0xfff
	v_mul_f32_e32 v1, 0x4f7ffffe, v1
	s_delay_alu instid0(VALU_DEP_1) | instskip(NEXT) | instid1(VALU_DEP_1)
	v_cvt_u32_f32_e32 v1, v1
	v_readfirstlane_b32 s3, v1
	s_delay_alu instid0(VALU_DEP_1) | instskip(NEXT) | instid1(SALU_CYCLE_1)
	s_mul_i32 s4, s4, s3
	s_mul_hi_u32 s4, s3, s4
	s_delay_alu instid0(SALU_CYCLE_1) | instskip(SKIP_4) | instid1(SALU_CYCLE_1)
	s_add_i32 s3, s3, s4
	s_xor_b32 s4, s13, s38
	s_mul_hi_u32 s3, s5, s3
	s_ashr_i32 s4, s4, 31
	s_mul_i32 s6, s3, s2
	s_sub_i32 s5, s5, s6
	s_add_i32 s6, s3, 1
	s_sub_i32 s7, s5, s2
	s_cmp_ge_u32 s5, s2
	s_cselect_b32 s3, s6, s3
	s_cselect_b32 s5, s7, s5
	s_add_i32 s6, s3, 1
	s_cmp_ge_u32 s5, s2
	s_cselect_b32 s2, s6, s3
	s_delay_alu instid0(SALU_CYCLE_1) | instskip(NEXT) | instid1(SALU_CYCLE_1)
	s_xor_b32 s2, s2, s4
	s_sub_i32 s7, s2, s4
	s_load_b64 s[2:3], s[0:1], 0x50
	s_abs_i32 s4, s7
	s_delay_alu instid0(SALU_CYCLE_1) | instskip(SKIP_1) | instid1(VALU_DEP_1)
	v_cvt_f32_u32_e32 v1, s4
	s_sub_i32 s5, 0, s4
	v_rcp_iflag_f32_e32 v1, v1
	s_waitcnt_depctr 0xfff
	v_mul_f32_e32 v1, 0x4f7ffffe, v1
	s_delay_alu instid0(VALU_DEP_1) | instskip(NEXT) | instid1(VALU_DEP_1)
	v_cvt_u32_f32_e32 v1, v1
	v_readfirstlane_b32 s6, v1
	s_delay_alu instid0(VALU_DEP_1) | instskip(NEXT) | instid1(SALU_CYCLE_1)
	s_mul_i32 s5, s5, s6
	s_mul_hi_u32 s8, s6, s5
	s_abs_i32 s5, s28
	s_add_i32 s6, s6, s8
	s_waitcnt lgkmcnt(0)
	s_cmp_eq_u64 s[2:3], 0
	s_mul_hi_u32 s6, s5, s6
	s_cbranch_scc1 .LBB378_3
; %bb.2:
	s_ashr_i32 s29, s28, 31
	s_delay_alu instid0(SALU_CYCLE_1) | instskip(NEXT) | instid1(SALU_CYCLE_1)
	s_lshl_b64 s[8:9], s[28:29], 2
	s_add_u32 s2, s2, s8
	s_addc_u32 s3, s3, s9
	s_load_b32 s42, s[2:3], 0x0
.LBB378_3:
	s_load_b128 s[8:11], s[0:1], 0x58
	v_and_b32_e32 v1, 3, v0
	s_ashr_i32 s2, s28, 31
	s_ashr_i32 s3, s7, 31
	s_mul_i32 s24, s28, 0x60
	s_mov_b32 s7, exec_lo
	v_cmpx_gt_u32_e32 48, v0
	s_cbranch_execz .LBB378_5
; %bb.4:
	s_load_b64 s[16:17], s[0:1], 0x18
	s_waitcnt lgkmcnt(0)
	s_mul_i32 s18, s14, s8
	v_lshlrev_b32_e32 v2, 2, v0
	s_ashr_i32 s19, s18, 31
	v_and_b32_e32 v3, 0x3fc, v0
	s_lshl_b64 s[18:19], s[18:19], 1
	s_delay_alu instid0(VALU_DEP_1) | instskip(SKIP_3) | instid1(SALU_CYCLE_1)
	v_mad_u32_u24 v3, v1, 48, v3
	s_add_u32 s8, s16, s18
	s_addc_u32 s11, s17, s19
	s_ashr_i32 s25, s24, 31
	s_lshl_b64 s[16:17], s[24:25], 1
	s_delay_alu instid0(SALU_CYCLE_1)
	s_add_u32 s16, s8, s16
	s_addc_u32 s17, s11, s17
	global_load_b32 v2, v2, s[16:17]
	s_waitcnt vmcnt(0)
	ds_store_b32 v3, v2
.LBB378_5:
	s_or_b32 exec_lo, exec_lo, s7
	s_load_b128 s[16:19], s[0:1], 0x78
	s_mul_i32 s7, s6, s4
	s_xor_b32 s2, s2, s3
	s_sub_i32 s3, s5, s7
	s_add_i32 s5, s6, 1
	s_sub_i32 s7, s3, s4
	s_cmp_ge_u32 s3, s4
	s_waitcnt lgkmcnt(0)
	s_cselect_b32 s5, s5, s6
	s_cselect_b32 s3, s7, s3
	s_add_i32 s6, s5, 1
	s_cmp_ge_u32 s3, s4
	s_load_b32 s4, s[0:1], 0x88
	s_cselect_b32 s3, s6, s5
	s_add_i32 s5, s15, -1
	s_xor_b32 s3, s3, s2
	s_mov_b32 s6, -1
	s_sub_i32 s40, s3, s2
	s_abs_i32 s3, s5
	s_waitcnt lgkmcnt(0)
	s_barrier
	s_abs_i32 s11, s19
	buffer_gl0_inv
	v_cvt_f32_u32_e32 v2, s11
	s_sub_i32 s2, 0, s11
                                        ; implicit-def: $sgpr29
	s_delay_alu instid0(VALU_DEP_1) | instskip(SKIP_2) | instid1(VALU_DEP_1)
	v_rcp_iflag_f32_e32 v2, v2
	s_waitcnt_depctr 0xfff
	v_mul_f32_e32 v2, 0x4f7ffffe, v2
	v_cvt_u32_f32_e32 v2, v2
	s_delay_alu instid0(VALU_DEP_1) | instskip(NEXT) | instid1(VALU_DEP_1)
	v_readfirstlane_b32 s25, v2
	s_mul_i32 s2, s2, s25
	s_delay_alu instid0(SALU_CYCLE_1) | instskip(NEXT) | instid1(SALU_CYCLE_1)
	s_mul_hi_u32 s2, s25, s2
	s_add_i32 s25, s25, s2
	s_cmp_lt_i32 s4, 0
	s_mul_hi_u32 s2, s3, s25
	s_cbranch_scc0 .LBB378_7
; %bb.6:
	s_mul_i32 s6, s16, s38
	s_delay_alu instid0(SALU_CYCLE_1) | instskip(NEXT) | instid1(SALU_CYCLE_1)
	s_add_i32 s6, s40, s6
	s_mul_i32 s6, s6, s4
	s_delay_alu instid0(SALU_CYCLE_1)
	s_sub_i32 s29, 1, s6
	s_mov_b32 s6, 0
.LBB378_7:
	s_load_b64 s[30:31], s[0:1], 0x38
	s_ashr_i32 s34, s5, 31
	s_and_not1_b32 vcc_lo, exec_lo, s6
	s_ashr_i32 s19, s19, 31
	s_cbranch_vccnz .LBB378_9
; %bb.8:
	s_mul_i32 s5, s13, s16
	s_delay_alu instid0(SALU_CYCLE_1) | instskip(NEXT) | instid1(SALU_CYCLE_1)
	s_add_i32 s5, s5, s28
	s_mul_i32 s4, s5, s4
	s_delay_alu instid0(SALU_CYCLE_1)
	s_add_i32 s29, s4, 1
.LBB378_9:
	s_clause 0x5
	s_load_b32 s16, s[0:1], 0x48
	s_load_b64 s[36:37], s[0:1], 0x28
	s_load_b128 s[20:23], s[0:1], 0x0
	s_load_b64 s[26:27], s[0:1], 0x10
	s_load_b32 s8, s[0:1], 0x98
	s_load_b128 s[4:7], s[0:1], 0x68
	s_xor_b32 s41, s34, s19
	s_mul_i32 s34, s2, s11
	s_add_i32 s38, s2, 1
	s_sub_i32 s3, s3, s34
	v_lshrrev_b32_e32 v23, 5, v0
	v_mov_b32_e32 v26, 0xff7fffff
	v_mbcnt_lo_u32_b32 v25, -1, 0
	s_mul_i32 s40, s40, s10
	s_delay_alu instid0(VALU_DEP_3)
	v_lshl_add_u32 v24, v23, 3, s33
	s_waitcnt lgkmcnt(0)
	s_mul_i32 s34, s14, s16
	s_sub_i32 s16, s3, s11
	s_ashr_i32 s35, s34, 31
	s_cmp_ge_u32 s3, s11
	s_cselect_b32 s2, s38, s2
	s_cselect_b32 s3, s16, s3
	s_add_i32 s16, s2, 1
	s_cmp_ge_u32 s3, s11
	s_cselect_b32 s2, s16, s2
	s_add_i32 s3, s15, 7
	s_lshl_b32 s43, s12, 6
	s_ashr_i32 s16, s3, 31
	v_or_b32_e32 v13, s43, v23
	s_lshr_b32 s16, s16, 29
	s_delay_alu instid0(SALU_CYCLE_1)
	s_add_i32 s3, s3, s16
	s_add_i32 s16, s43, 64
	s_ashr_i32 s38, s3, 3
	s_xor_b32 s3, s2, s41
	s_min_i32 s16, s16, s38
	v_ashrrev_i32_e32 v14, 31, v13
	v_cmp_gt_i32_e64 s2, s16, v13
	s_sub_i32 s41, s3, s41
	s_delay_alu instid0(VALU_DEP_1)
	s_and_saveexec_b32 s10, s2
	s_cbranch_execz .LBB378_307
; %bb.10:
	s_load_b64 s[0:1], s[0:1], 0x20
	s_sub_i32 s44, s41, s17
	s_ashr_i32 s3, s40, 31
	v_bfe_u32 v27, v0, 2, 3
	v_dual_mov_b32 v26, 0xff7fffff :: v_dual_mov_b32 v35, v13
	v_cmp_eq_u32_e32 vcc_lo, 0, v1
	v_dual_mov_b32 v31, 0xff7fffff :: v_dual_lshlrev_b32 v28, 1, v1
	s_delay_alu instid0(VALU_DEP_4)
	v_lshlrev_b32_e32 v4, 2, v27
	v_lshlrev_b32_e32 v7, 4, v27
	v_mul_u32_u24_e32 v29, 48, v1
	v_subrev_nc_u32_e32 v5, s15, v27
	v_lshl_add_u32 v30, v23, 3, s33
	v_lshl_or_b32 v4, v23, 5, v4
	s_delay_alu instid0(VALU_DEP_3) | instskip(NEXT) | instid1(VALU_DEP_2)
	v_add_nc_u32_e32 v32, 1, v5
	v_add_nc_u32_e32 v33, 0xe0, v4
	s_waitcnt lgkmcnt(0)
	s_add_u32 s48, s0, s40
	s_addc_u32 s1, s1, s3
	s_abs_i32 s45, s18
	s_lshl_b64 s[46:47], s[34:35], 2
	v_cvt_f32_u32_e32 v2, s45
	s_sub_i32 s3, 0, s45
	v_cmp_neq_f32_e64 s0, s42, 0
	s_delay_alu instid0(VALU_DEP_2) | instskip(SKIP_3) | instid1(VALU_DEP_2)
	v_rcp_iflag_f32_e32 v2, v2
	s_waitcnt_depctr 0xfff
	v_dual_mov_b32 v16, 0 :: v_dual_mul_f32 v3, 0x4f7ffffe, v2
	v_lshlrev_b64 v[1:2], 2, v[13:14]
	v_cvt_u32_f32_e32 v3, v3
	s_delay_alu instid0(VALU_DEP_1) | instskip(SKIP_1) | instid1(VALU_DEP_1)
	v_mul_lo_u32 v6, s3, v3
	v_add_co_u32 v17, s3, s48, v7
	v_add_co_ci_u32_e64 v18, null, s1, 0, s3
	s_add_u32 s1, s30, s46
	s_addc_u32 s3, s31, s47
	v_add_co_u32 v19, s1, s1, v1
	s_delay_alu instid0(VALU_DEP_4) | instskip(SKIP_3) | instid1(VALU_DEP_2)
	v_mul_hi_u32 v4, v3, v6
	v_add_co_ci_u32_e64 v20, s1, s3, v2, s1
	s_mov_b32 s46, 0
	s_mov_b32 s47, s9
	v_add_nc_u32_e32 v34, v3, v4
	s_branch .LBB378_13
.LBB378_11:                             ;   in Loop: Header=BB378_13 Depth=1
	s_or_b32 exec_lo, exec_lo, s48
.LBB378_12:                             ;   in Loop: Header=BB378_13 Depth=1
	s_delay_alu instid0(SALU_CYCLE_1) | instskip(SKIP_2) | instid1(VALU_DEP_1)
	s_or_b32 exec_lo, exec_lo, s3
	v_add_nc_u32_e32 v35, 4, v35
	v_add_co_u32 v19, s3, v19, 16
	v_add_co_ci_u32_e64 v20, s3, 0, v20, s3
	s_delay_alu instid0(VALU_DEP_3) | instskip(SKIP_2) | instid1(VALU_DEP_3)
	v_cmp_le_i32_e64 s1, s16, v35
	v_add_nc_u32_e32 v30, 32, v30
	v_add_nc_u32_e32 v33, 0x80, v33
	s_or_b32 s46, s1, s46
	s_delay_alu instid0(SALU_CYCLE_1)
	s_and_not1_b32 exec_lo, exec_lo, s46
	s_cbranch_execz .LBB378_306
.LBB378_13:                             ; =>This Inner Loop Header: Depth=1
	v_sub_nc_u32_e32 v1, 0, v30
	s_delay_alu instid0(VALU_DEP_1) | instskip(SKIP_1) | instid1(VALU_DEP_1)
	v_max_i32_e32 v1, v30, v1
	s_waitcnt lgkmcnt(0)
	v_mul_hi_u32 v2, v1, s25
	s_delay_alu instid0(VALU_DEP_1) | instskip(NEXT) | instid1(VALU_DEP_1)
	v_mul_lo_u32 v3, v2, s11
	v_sub_nc_u32_e32 v1, v1, v3
	v_add_nc_u32_e32 v3, 1, v2
	s_delay_alu instid0(VALU_DEP_2) | instskip(SKIP_1) | instid1(VALU_DEP_1)
	v_subrev_nc_u32_e32 v4, s11, v1
	v_cmp_le_u32_e64 s1, s11, v1
	v_cndmask_b32_e64 v2, v2, v3, s1
	s_delay_alu instid0(VALU_DEP_3) | instskip(SKIP_1) | instid1(VALU_DEP_3)
	v_cndmask_b32_e64 v1, v1, v4, s1
	v_ashrrev_i32_e32 v3, 31, v30
	v_add_nc_u32_e32 v4, 1, v2
	s_delay_alu instid0(VALU_DEP_3) | instskip(NEXT) | instid1(VALU_DEP_3)
	v_cmp_le_u32_e64 s1, s11, v1
	v_xor_b32_e32 v3, s19, v3
	s_delay_alu instid0(VALU_DEP_2) | instskip(NEXT) | instid1(VALU_DEP_1)
	v_cndmask_b32_e64 v1, v2, v4, s1
	v_xor_b32_e32 v1, v1, v3
	s_delay_alu instid0(VALU_DEP_1) | instskip(NEXT) | instid1(VALU_DEP_1)
	v_sub_nc_u32_e32 v1, v1, v3
	v_add_nc_u32_e32 v2, s29, v1
	v_cmp_ge_i32_e64 s3, s44, v1
	s_delay_alu instid0(VALU_DEP_2) | instskip(NEXT) | instid1(VALU_DEP_1)
	v_sub_nc_u32_e32 v3, 0, v2
	v_max_i32_e32 v3, v2, v3
	v_ashrrev_i32_e32 v2, 31, v2
	s_delay_alu instid0(VALU_DEP_2) | instskip(NEXT) | instid1(VALU_DEP_1)
	v_mul_hi_u32 v4, v3, v34
	v_mul_lo_u32 v4, v4, s45
	s_delay_alu instid0(VALU_DEP_1) | instskip(NEXT) | instid1(VALU_DEP_1)
	v_sub_nc_u32_e32 v3, v3, v4
	v_subrev_nc_u32_e32 v4, s45, v3
	v_cmp_le_u32_e64 s1, s45, v3
	s_delay_alu instid0(VALU_DEP_1) | instskip(NEXT) | instid1(VALU_DEP_1)
	v_cndmask_b32_e64 v3, v3, v4, s1
	v_subrev_nc_u32_e32 v4, s45, v3
	v_cmp_le_u32_e64 s1, s45, v3
	s_delay_alu instid0(VALU_DEP_1) | instskip(NEXT) | instid1(VALU_DEP_1)
	v_cndmask_b32_e64 v3, v3, v4, s1
	v_xor_b32_e32 v3, v3, v2
	s_delay_alu instid0(VALU_DEP_1) | instskip(NEXT) | instid1(VALU_DEP_1)
	v_sub_nc_u32_e32 v2, v3, v2
	v_cmp_ne_u32_e64 s1, 0, v2
	s_delay_alu instid0(VALU_DEP_1) | instskip(NEXT) | instid1(SALU_CYCLE_1)
	s_and_b32 s1, s1, s3
	s_and_b32 s48, vcc_lo, s1
	s_delay_alu instid0(SALU_CYCLE_1)
	s_and_saveexec_b32 s3, s48
	s_cbranch_execz .LBB378_15
; %bb.14:                               ;   in Loop: Header=BB378_13 Depth=1
	ds_store_b32 v33, v31
.LBB378_15:                             ;   in Loop: Header=BB378_13 Depth=1
	s_or_b32 exec_lo, exec_lo, s3
	s_xor_b32 s1, s1, -1
	s_delay_alu instid0(SALU_CYCLE_1)
	s_and_saveexec_b32 s3, s1
	s_cbranch_execz .LBB378_12
; %bb.16:                               ;   in Loop: Header=BB378_13 Depth=1
	global_load_b32 v3, v[19:20], off
	s_mov_b32 s49, exec_lo
	s_waitcnt vmcnt(0)
	v_mad_i64_i32 v[1:2], null, v3, s47, v[17:18]
	s_delay_alu instid0(VALU_DEP_1) | instskip(NEXT) | instid1(VALU_DEP_1)
	v_add_co_u32 v21, s1, v1, v28
	v_add_co_ci_u32_e64 v22, s1, 0, v2, s1
	global_load_u16 v15, v[21:22], off
	ds_load_b128 v[9:12], v29
	ds_load_b128 v[5:8], v29 offset:16
	ds_load_b128 v[1:4], v29 offset:32
	s_load_b32 s48, s[4:5], 0x0
	s_waitcnt vmcnt(0)
	v_and_b32_e32 v36, 0xff, v15
	v_and_b32_e32 v37, 0xffff, v15
	v_mov_b32_e32 v15, 0
	s_delay_alu instid0(VALU_DEP_3)
	v_cmpx_ne_u16_e32 0, v36
	s_cbranch_execz .LBB378_24
; %bb.17:                               ;   in Loop: Header=BB378_13 Depth=1
	s_delay_alu instid0(VALU_DEP_3) | instskip(NEXT) | instid1(VALU_DEP_1)
	v_and_b32_e32 v15, 0xff, v37
	v_cmp_ne_u16_e64 s1, 0x80, v15
	v_bfrev_b32_e32 v15, 1
	s_delay_alu instid0(VALU_DEP_2)
	s_and_saveexec_b32 s50, s1
	s_cbranch_execz .LBB378_23
; %bb.18:                               ;   in Loop: Header=BB378_13 Depth=1
	v_and_b32_e32 v38, 0x7f, v37
	v_mov_b32_e32 v15, 0x7f800001
	s_mov_b32 s51, exec_lo
	s_delay_alu instid0(VALU_DEP_2)
	v_cmpx_ne_u32_e32 0x7f, v38
	s_cbranch_execz .LBB378_22
; %bb.19:                               ;   in Loop: Header=BB378_13 Depth=1
	v_and_b32_e32 v15, 7, v37
	v_lshrrev_b32_e32 v36, 3, v38
	s_mov_b32 s52, exec_lo
	v_cmpx_gt_u32_e32 8, v38
; %bb.20:                               ;   in Loop: Header=BB378_13 Depth=1
	s_delay_alu instid0(VALU_DEP_3) | instskip(NEXT) | instid1(VALU_DEP_1)
	v_clz_i32_u32_e32 v36, v15
	v_min_u32_e32 v36, 32, v36
	s_delay_alu instid0(VALU_DEP_1) | instskip(SKIP_1) | instid1(VALU_DEP_2)
	v_subrev_nc_u32_e32 v38, 28, v36
	v_sub_nc_u32_e32 v36, 29, v36
	v_lshlrev_b64 v[38:39], v38, v[15:16]
	s_delay_alu instid0(VALU_DEP_1)
	v_and_b32_e32 v15, 7, v38
; %bb.21:                               ;   in Loop: Header=BB378_13 Depth=1
	s_or_b32 exec_lo, exec_lo, s52
	v_lshlrev_b32_e32 v38, 24, v37
	s_delay_alu instid0(VALU_DEP_2) | instskip(SKIP_1) | instid1(VALU_DEP_3)
	v_lshlrev_b32_e32 v15, 20, v15
	v_lshl_add_u32 v36, v36, 23, 0x3c000000
	v_and_b32_e32 v38, 0x80000000, v38
	s_delay_alu instid0(VALU_DEP_1)
	v_or3_b32 v15, v15, v38, v36
.LBB378_22:                             ;   in Loop: Header=BB378_13 Depth=1
	s_or_b32 exec_lo, exec_lo, s51
.LBB378_23:                             ;   in Loop: Header=BB378_13 Depth=1
	s_delay_alu instid0(SALU_CYCLE_1)
	s_or_b32 exec_lo, exec_lo, s50
.LBB378_24:                             ;   in Loop: Header=BB378_13 Depth=1
	s_delay_alu instid0(SALU_CYCLE_1) | instskip(SKIP_2) | instid1(VALU_DEP_1)
	s_or_b32 exec_lo, exec_lo, s49
	s_waitcnt lgkmcnt(0)
	v_mul_f32_e32 v15, s48, v15
	v_and_b32_e32 v36, 0x7f800000, v15
	s_delay_alu instid0(VALU_DEP_1) | instskip(NEXT) | instid1(VALU_DEP_1)
	v_cmp_ne_u32_e64 s1, 0x7f800000, v36
                                        ; implicit-def: $vgpr36
	s_and_saveexec_b32 s49, s1
	s_delay_alu instid0(SALU_CYCLE_1)
	s_xor_b32 s1, exec_lo, s49
; %bb.25:                               ;   in Loop: Header=BB378_13 Depth=1
	v_bfe_u32 v36, v15, 16, 1
	s_delay_alu instid0(VALU_DEP_1)
	v_add3_u32 v36, v15, v36, 0x7fff
                                        ; implicit-def: $vgpr15
; %bb.26:                               ;   in Loop: Header=BB378_13 Depth=1
	s_and_not1_saveexec_b32 s49, s1
; %bb.27:                               ;   in Loop: Header=BB378_13 Depth=1
	v_and_b32_e32 v36, 0xffff, v15
	v_or_b32_e32 v38, 0x10000, v15
	s_delay_alu instid0(VALU_DEP_2) | instskip(NEXT) | instid1(VALU_DEP_1)
	v_cmp_eq_u32_e64 s1, 0, v36
	v_cndmask_b32_e64 v36, v38, v15, s1
; %bb.28:                               ;   in Loop: Header=BB378_13 Depth=1
	s_or_b32 exec_lo, exec_lo, s49
	v_lshrrev_b16 v38, 8, v37
	v_mov_b32_e32 v15, 0
	s_mov_b32 s49, exec_lo
	s_delay_alu instid0(VALU_DEP_2)
	v_cmpx_ne_u16_e32 0, v38
	s_cbranch_execz .LBB378_36
; %bb.29:                               ;   in Loop: Header=BB378_13 Depth=1
	v_bfrev_b32_e32 v15, 1
	s_mov_b32 s50, exec_lo
	v_cmpx_ne_u16_e32 0x80, v38
	s_cbranch_execz .LBB378_35
; %bb.30:                               ;   in Loop: Header=BB378_13 Depth=1
	v_and_b32_e32 v38, 0xffff, v38
	v_mov_b32_e32 v15, 0x7f800001
	s_mov_b32 s51, exec_lo
	s_delay_alu instid0(VALU_DEP_2) | instskip(NEXT) | instid1(VALU_DEP_1)
	v_and_b32_e32 v39, 0x7f, v38
	v_cmpx_ne_u32_e32 0x7f, v39
	s_cbranch_execz .LBB378_34
; %bb.31:                               ;   in Loop: Header=BB378_13 Depth=1
	v_and_b32_e32 v15, 7, v38
	v_lshrrev_b32_e32 v38, 3, v39
	s_mov_b32 s52, exec_lo
	v_cmpx_gt_u32_e32 8, v39
; %bb.32:                               ;   in Loop: Header=BB378_13 Depth=1
	s_delay_alu instid0(VALU_DEP_3) | instskip(NEXT) | instid1(VALU_DEP_1)
	v_clz_i32_u32_e32 v38, v15
	v_min_u32_e32 v38, 32, v38
	s_delay_alu instid0(VALU_DEP_1) | instskip(SKIP_1) | instid1(VALU_DEP_2)
	v_subrev_nc_u32_e32 v39, 28, v38
	v_sub_nc_u32_e32 v38, 29, v38
	v_lshlrev_b64 v[39:40], v39, v[15:16]
	s_delay_alu instid0(VALU_DEP_1)
	v_and_b32_e32 v15, 7, v39
; %bb.33:                               ;   in Loop: Header=BB378_13 Depth=1
	s_or_b32 exec_lo, exec_lo, s52
	v_lshlrev_b32_e32 v37, 16, v37
	s_delay_alu instid0(VALU_DEP_2) | instskip(SKIP_1) | instid1(VALU_DEP_3)
	v_lshlrev_b32_e32 v15, 20, v15
	v_lshl_add_u32 v38, v38, 23, 0x3c000000
	v_and_b32_e32 v37, 0x80000000, v37
	s_delay_alu instid0(VALU_DEP_1)
	v_or3_b32 v15, v15, v37, v38
.LBB378_34:                             ;   in Loop: Header=BB378_13 Depth=1
	s_or_b32 exec_lo, exec_lo, s51
.LBB378_35:                             ;   in Loop: Header=BB378_13 Depth=1
	s_delay_alu instid0(SALU_CYCLE_1)
	s_or_b32 exec_lo, exec_lo, s50
.LBB378_36:                             ;   in Loop: Header=BB378_13 Depth=1
	s_delay_alu instid0(SALU_CYCLE_1) | instskip(NEXT) | instid1(VALU_DEP_1)
	s_or_b32 exec_lo, exec_lo, s49
	v_mul_f32_e32 v15, s48, v15
	s_delay_alu instid0(VALU_DEP_1) | instskip(NEXT) | instid1(VALU_DEP_1)
	v_and_b32_e32 v37, 0x7f800000, v15
	v_cmp_ne_u32_e64 s1, 0x7f800000, v37
                                        ; implicit-def: $vgpr37
	s_delay_alu instid0(VALU_DEP_1) | instskip(NEXT) | instid1(SALU_CYCLE_1)
	s_and_saveexec_b32 s49, s1
	s_xor_b32 s1, exec_lo, s49
; %bb.37:                               ;   in Loop: Header=BB378_13 Depth=1
	v_bfe_u32 v37, v15, 16, 1
	s_delay_alu instid0(VALU_DEP_1)
	v_add3_u32 v37, v15, v37, 0x7fff
                                        ; implicit-def: $vgpr15
; %bb.38:                               ;   in Loop: Header=BB378_13 Depth=1
	s_and_not1_saveexec_b32 s49, s1
; %bb.39:                               ;   in Loop: Header=BB378_13 Depth=1
	v_and_b32_e32 v37, 0xffff, v15
	v_or_b32_e32 v38, 0x10000, v15
	s_delay_alu instid0(VALU_DEP_2) | instskip(NEXT) | instid1(VALU_DEP_1)
	v_cmp_eq_u32_e64 s1, 0, v37
	v_cndmask_b32_e64 v37, v38, v15, s1
; %bb.40:                               ;   in Loop: Header=BB378_13 Depth=1
	s_or_b32 exec_lo, exec_lo, s49
	global_load_u16 v15, v[21:22], off offset:8
	s_mov_b32 s49, exec_lo
	s_waitcnt vmcnt(0)
	v_and_b32_e32 v38, 0xff, v15
	v_and_b32_e32 v39, 0xffff, v15
	v_mov_b32_e32 v15, 0
	s_delay_alu instid0(VALU_DEP_3)
	v_cmpx_ne_u16_e32 0, v38
	s_cbranch_execz .LBB378_48
; %bb.41:                               ;   in Loop: Header=BB378_13 Depth=1
	s_delay_alu instid0(VALU_DEP_3) | instskip(NEXT) | instid1(VALU_DEP_1)
	v_and_b32_e32 v15, 0xff, v39
	v_cmp_ne_u16_e64 s1, 0x80, v15
	v_bfrev_b32_e32 v15, 1
	s_delay_alu instid0(VALU_DEP_2)
	s_and_saveexec_b32 s50, s1
	s_cbranch_execz .LBB378_47
; %bb.42:                               ;   in Loop: Header=BB378_13 Depth=1
	v_and_b32_e32 v40, 0x7f, v39
	v_mov_b32_e32 v15, 0x7f800001
	s_mov_b32 s51, exec_lo
	s_delay_alu instid0(VALU_DEP_2)
	v_cmpx_ne_u32_e32 0x7f, v40
	s_cbranch_execz .LBB378_46
; %bb.43:                               ;   in Loop: Header=BB378_13 Depth=1
	v_and_b32_e32 v15, 7, v39
	v_lshrrev_b32_e32 v38, 3, v40
	s_mov_b32 s52, exec_lo
	v_cmpx_gt_u32_e32 8, v40
; %bb.44:                               ;   in Loop: Header=BB378_13 Depth=1
	s_delay_alu instid0(VALU_DEP_3) | instskip(NEXT) | instid1(VALU_DEP_1)
	v_clz_i32_u32_e32 v38, v15
	v_min_u32_e32 v38, 32, v38
	s_delay_alu instid0(VALU_DEP_1) | instskip(SKIP_1) | instid1(VALU_DEP_2)
	v_subrev_nc_u32_e32 v40, 28, v38
	v_sub_nc_u32_e32 v38, 29, v38
	v_lshlrev_b64 v[40:41], v40, v[15:16]
	s_delay_alu instid0(VALU_DEP_1)
	v_and_b32_e32 v15, 7, v40
; %bb.45:                               ;   in Loop: Header=BB378_13 Depth=1
	s_or_b32 exec_lo, exec_lo, s52
	v_lshlrev_b32_e32 v40, 24, v39
	s_delay_alu instid0(VALU_DEP_2) | instskip(SKIP_1) | instid1(VALU_DEP_3)
	v_lshlrev_b32_e32 v15, 20, v15
	v_lshl_add_u32 v38, v38, 23, 0x3c000000
	v_and_b32_e32 v40, 0x80000000, v40
	s_delay_alu instid0(VALU_DEP_1)
	v_or3_b32 v15, v15, v40, v38
.LBB378_46:                             ;   in Loop: Header=BB378_13 Depth=1
	s_or_b32 exec_lo, exec_lo, s51
.LBB378_47:                             ;   in Loop: Header=BB378_13 Depth=1
	s_delay_alu instid0(SALU_CYCLE_1)
	s_or_b32 exec_lo, exec_lo, s50
.LBB378_48:                             ;   in Loop: Header=BB378_13 Depth=1
	s_delay_alu instid0(SALU_CYCLE_1) | instskip(NEXT) | instid1(VALU_DEP_1)
	s_or_b32 exec_lo, exec_lo, s49
	v_mul_f32_e32 v15, s48, v15
	s_delay_alu instid0(VALU_DEP_1) | instskip(NEXT) | instid1(VALU_DEP_1)
	v_and_b32_e32 v38, 0x7f800000, v15
	v_cmp_ne_u32_e64 s1, 0x7f800000, v38
                                        ; implicit-def: $vgpr38
	s_delay_alu instid0(VALU_DEP_1) | instskip(NEXT) | instid1(SALU_CYCLE_1)
	s_and_saveexec_b32 s49, s1
	s_xor_b32 s1, exec_lo, s49
; %bb.49:                               ;   in Loop: Header=BB378_13 Depth=1
	v_bfe_u32 v38, v15, 16, 1
	s_delay_alu instid0(VALU_DEP_1)
	v_add3_u32 v38, v15, v38, 0x7fff
                                        ; implicit-def: $vgpr15
; %bb.50:                               ;   in Loop: Header=BB378_13 Depth=1
	s_and_not1_saveexec_b32 s49, s1
; %bb.51:                               ;   in Loop: Header=BB378_13 Depth=1
	v_and_b32_e32 v38, 0xffff, v15
	v_or_b32_e32 v40, 0x10000, v15
	s_delay_alu instid0(VALU_DEP_2) | instskip(NEXT) | instid1(VALU_DEP_1)
	v_cmp_eq_u32_e64 s1, 0, v38
	v_cndmask_b32_e64 v38, v40, v15, s1
; %bb.52:                               ;   in Loop: Header=BB378_13 Depth=1
	s_or_b32 exec_lo, exec_lo, s49
	v_lshrrev_b16 v40, 8, v39
	v_mov_b32_e32 v15, 0
	s_mov_b32 s49, exec_lo
	s_delay_alu instid0(VALU_DEP_2)
	v_cmpx_ne_u16_e32 0, v40
	s_cbranch_execz .LBB378_60
; %bb.53:                               ;   in Loop: Header=BB378_13 Depth=1
	v_bfrev_b32_e32 v15, 1
	s_mov_b32 s50, exec_lo
	v_cmpx_ne_u16_e32 0x80, v40
	s_cbranch_execz .LBB378_59
; %bb.54:                               ;   in Loop: Header=BB378_13 Depth=1
	v_and_b32_e32 v40, 0xffff, v40
	v_mov_b32_e32 v15, 0x7f800001
	s_mov_b32 s51, exec_lo
	s_delay_alu instid0(VALU_DEP_2) | instskip(NEXT) | instid1(VALU_DEP_1)
	v_and_b32_e32 v41, 0x7f, v40
	v_cmpx_ne_u32_e32 0x7f, v41
	s_cbranch_execz .LBB378_58
; %bb.55:                               ;   in Loop: Header=BB378_13 Depth=1
	v_and_b32_e32 v15, 7, v40
	v_lshrrev_b32_e32 v40, 3, v41
	s_mov_b32 s52, exec_lo
	v_cmpx_gt_u32_e32 8, v41
; %bb.56:                               ;   in Loop: Header=BB378_13 Depth=1
	s_delay_alu instid0(VALU_DEP_3) | instskip(NEXT) | instid1(VALU_DEP_1)
	v_clz_i32_u32_e32 v40, v15
	v_min_u32_e32 v40, 32, v40
	s_delay_alu instid0(VALU_DEP_1) | instskip(SKIP_1) | instid1(VALU_DEP_2)
	v_subrev_nc_u32_e32 v41, 28, v40
	v_sub_nc_u32_e32 v40, 29, v40
	v_lshlrev_b64 v[41:42], v41, v[15:16]
	s_delay_alu instid0(VALU_DEP_1)
	v_and_b32_e32 v15, 7, v41
; %bb.57:                               ;   in Loop: Header=BB378_13 Depth=1
	s_or_b32 exec_lo, exec_lo, s52
	v_lshlrev_b32_e32 v39, 16, v39
	s_delay_alu instid0(VALU_DEP_2) | instskip(SKIP_1) | instid1(VALU_DEP_3)
	v_lshlrev_b32_e32 v15, 20, v15
	v_lshl_add_u32 v40, v40, 23, 0x3c000000
	v_and_b32_e32 v39, 0x80000000, v39
	s_delay_alu instid0(VALU_DEP_1)
	v_or3_b32 v15, v15, v39, v40
.LBB378_58:                             ;   in Loop: Header=BB378_13 Depth=1
	s_or_b32 exec_lo, exec_lo, s51
.LBB378_59:                             ;   in Loop: Header=BB378_13 Depth=1
	s_delay_alu instid0(SALU_CYCLE_1)
	s_or_b32 exec_lo, exec_lo, s50
.LBB378_60:                             ;   in Loop: Header=BB378_13 Depth=1
	s_delay_alu instid0(SALU_CYCLE_1) | instskip(NEXT) | instid1(VALU_DEP_1)
	s_or_b32 exec_lo, exec_lo, s49
	v_mul_f32_e32 v15, s48, v15
	s_delay_alu instid0(VALU_DEP_1) | instskip(NEXT) | instid1(VALU_DEP_1)
	v_and_b32_e32 v39, 0x7f800000, v15
	v_cmp_ne_u32_e64 s1, 0x7f800000, v39
                                        ; implicit-def: $vgpr39
	s_delay_alu instid0(VALU_DEP_1) | instskip(NEXT) | instid1(SALU_CYCLE_1)
	s_and_saveexec_b32 s49, s1
	s_xor_b32 s1, exec_lo, s49
; %bb.61:                               ;   in Loop: Header=BB378_13 Depth=1
	v_bfe_u32 v39, v15, 16, 1
	s_delay_alu instid0(VALU_DEP_1)
	v_add3_u32 v39, v15, v39, 0x7fff
                                        ; implicit-def: $vgpr15
; %bb.62:                               ;   in Loop: Header=BB378_13 Depth=1
	s_and_not1_saveexec_b32 s49, s1
; %bb.63:                               ;   in Loop: Header=BB378_13 Depth=1
	v_and_b32_e32 v39, 0xffff, v15
	v_or_b32_e32 v40, 0x10000, v15
	s_delay_alu instid0(VALU_DEP_2) | instskip(NEXT) | instid1(VALU_DEP_1)
	v_cmp_eq_u32_e64 s1, 0, v39
	v_cndmask_b32_e64 v39, v40, v15, s1
; %bb.64:                               ;   in Loop: Header=BB378_13 Depth=1
	s_or_b32 exec_lo, exec_lo, s49
	global_load_u16 v15, v[21:22], off offset:128
	s_mov_b32 s49, exec_lo
	s_waitcnt vmcnt(0)
	v_and_b32_e32 v40, 0xff, v15
	v_and_b32_e32 v41, 0xffff, v15
	v_mov_b32_e32 v15, 0
	s_delay_alu instid0(VALU_DEP_3)
	v_cmpx_ne_u16_e32 0, v40
	s_cbranch_execz .LBB378_72
; %bb.65:                               ;   in Loop: Header=BB378_13 Depth=1
	s_delay_alu instid0(VALU_DEP_3) | instskip(NEXT) | instid1(VALU_DEP_1)
	v_and_b32_e32 v15, 0xff, v41
	v_cmp_ne_u16_e64 s1, 0x80, v15
	v_bfrev_b32_e32 v15, 1
	s_delay_alu instid0(VALU_DEP_2)
	s_and_saveexec_b32 s50, s1
	s_cbranch_execz .LBB378_71
; %bb.66:                               ;   in Loop: Header=BB378_13 Depth=1
	v_and_b32_e32 v42, 0x7f, v41
	v_mov_b32_e32 v15, 0x7f800001
	s_mov_b32 s51, exec_lo
	s_delay_alu instid0(VALU_DEP_2)
	v_cmpx_ne_u32_e32 0x7f, v42
	s_cbranch_execz .LBB378_70
; %bb.67:                               ;   in Loop: Header=BB378_13 Depth=1
	v_and_b32_e32 v15, 7, v41
	v_lshrrev_b32_e32 v40, 3, v42
	s_mov_b32 s52, exec_lo
	v_cmpx_gt_u32_e32 8, v42
; %bb.68:                               ;   in Loop: Header=BB378_13 Depth=1
	s_delay_alu instid0(VALU_DEP_3) | instskip(NEXT) | instid1(VALU_DEP_1)
	v_clz_i32_u32_e32 v40, v15
	v_min_u32_e32 v40, 32, v40
	s_delay_alu instid0(VALU_DEP_1) | instskip(SKIP_1) | instid1(VALU_DEP_2)
	v_subrev_nc_u32_e32 v42, 28, v40
	v_sub_nc_u32_e32 v40, 29, v40
	v_lshlrev_b64 v[42:43], v42, v[15:16]
	s_delay_alu instid0(VALU_DEP_1)
	v_and_b32_e32 v15, 7, v42
; %bb.69:                               ;   in Loop: Header=BB378_13 Depth=1
	s_or_b32 exec_lo, exec_lo, s52
	v_lshlrev_b32_e32 v42, 24, v41
	s_delay_alu instid0(VALU_DEP_2) | instskip(SKIP_1) | instid1(VALU_DEP_3)
	v_lshlrev_b32_e32 v15, 20, v15
	v_lshl_add_u32 v40, v40, 23, 0x3c000000
	v_and_b32_e32 v42, 0x80000000, v42
	s_delay_alu instid0(VALU_DEP_1)
	v_or3_b32 v15, v15, v42, v40
.LBB378_70:                             ;   in Loop: Header=BB378_13 Depth=1
	s_or_b32 exec_lo, exec_lo, s51
.LBB378_71:                             ;   in Loop: Header=BB378_13 Depth=1
	s_delay_alu instid0(SALU_CYCLE_1)
	s_or_b32 exec_lo, exec_lo, s50
.LBB378_72:                             ;   in Loop: Header=BB378_13 Depth=1
	s_delay_alu instid0(SALU_CYCLE_1) | instskip(NEXT) | instid1(VALU_DEP_1)
	s_or_b32 exec_lo, exec_lo, s49
	v_mul_f32_e32 v15, s48, v15
	s_delay_alu instid0(VALU_DEP_1) | instskip(NEXT) | instid1(VALU_DEP_1)
	v_and_b32_e32 v40, 0x7f800000, v15
	v_cmp_ne_u32_e64 s1, 0x7f800000, v40
                                        ; implicit-def: $vgpr40
	s_delay_alu instid0(VALU_DEP_1) | instskip(NEXT) | instid1(SALU_CYCLE_1)
	s_and_saveexec_b32 s49, s1
	s_xor_b32 s1, exec_lo, s49
; %bb.73:                               ;   in Loop: Header=BB378_13 Depth=1
	v_bfe_u32 v40, v15, 16, 1
	s_delay_alu instid0(VALU_DEP_1)
	v_add3_u32 v40, v15, v40, 0x7fff
                                        ; implicit-def: $vgpr15
; %bb.74:                               ;   in Loop: Header=BB378_13 Depth=1
	s_and_not1_saveexec_b32 s49, s1
; %bb.75:                               ;   in Loop: Header=BB378_13 Depth=1
	v_and_b32_e32 v40, 0xffff, v15
	v_or_b32_e32 v42, 0x10000, v15
	s_delay_alu instid0(VALU_DEP_2) | instskip(NEXT) | instid1(VALU_DEP_1)
	v_cmp_eq_u32_e64 s1, 0, v40
	v_cndmask_b32_e64 v40, v42, v15, s1
; %bb.76:                               ;   in Loop: Header=BB378_13 Depth=1
	s_or_b32 exec_lo, exec_lo, s49
	v_lshrrev_b16 v42, 8, v41
	v_mov_b32_e32 v15, 0
	s_mov_b32 s49, exec_lo
	s_delay_alu instid0(VALU_DEP_2)
	v_cmpx_ne_u16_e32 0, v42
	s_cbranch_execz .LBB378_84
; %bb.77:                               ;   in Loop: Header=BB378_13 Depth=1
	v_bfrev_b32_e32 v15, 1
	s_mov_b32 s50, exec_lo
	v_cmpx_ne_u16_e32 0x80, v42
	s_cbranch_execz .LBB378_83
; %bb.78:                               ;   in Loop: Header=BB378_13 Depth=1
	v_and_b32_e32 v42, 0xffff, v42
	v_mov_b32_e32 v15, 0x7f800001
	s_mov_b32 s51, exec_lo
	s_delay_alu instid0(VALU_DEP_2) | instskip(NEXT) | instid1(VALU_DEP_1)
	v_and_b32_e32 v43, 0x7f, v42
	v_cmpx_ne_u32_e32 0x7f, v43
	s_cbranch_execz .LBB378_82
; %bb.79:                               ;   in Loop: Header=BB378_13 Depth=1
	v_and_b32_e32 v15, 7, v42
	v_lshrrev_b32_e32 v42, 3, v43
	s_mov_b32 s52, exec_lo
	v_cmpx_gt_u32_e32 8, v43
; %bb.80:                               ;   in Loop: Header=BB378_13 Depth=1
	s_delay_alu instid0(VALU_DEP_3) | instskip(NEXT) | instid1(VALU_DEP_1)
	v_clz_i32_u32_e32 v42, v15
	v_min_u32_e32 v42, 32, v42
	s_delay_alu instid0(VALU_DEP_1) | instskip(SKIP_1) | instid1(VALU_DEP_2)
	v_subrev_nc_u32_e32 v43, 28, v42
	v_sub_nc_u32_e32 v42, 29, v42
	v_lshlrev_b64 v[43:44], v43, v[15:16]
	s_delay_alu instid0(VALU_DEP_1)
	v_and_b32_e32 v15, 7, v43
; %bb.81:                               ;   in Loop: Header=BB378_13 Depth=1
	s_or_b32 exec_lo, exec_lo, s52
	v_lshlrev_b32_e32 v41, 16, v41
	s_delay_alu instid0(VALU_DEP_2) | instskip(SKIP_1) | instid1(VALU_DEP_3)
	v_lshlrev_b32_e32 v15, 20, v15
	v_lshl_add_u32 v42, v42, 23, 0x3c000000
	v_and_b32_e32 v41, 0x80000000, v41
	s_delay_alu instid0(VALU_DEP_1)
	v_or3_b32 v15, v15, v41, v42
.LBB378_82:                             ;   in Loop: Header=BB378_13 Depth=1
	s_or_b32 exec_lo, exec_lo, s51
.LBB378_83:                             ;   in Loop: Header=BB378_13 Depth=1
	s_delay_alu instid0(SALU_CYCLE_1)
	s_or_b32 exec_lo, exec_lo, s50
.LBB378_84:                             ;   in Loop: Header=BB378_13 Depth=1
	s_delay_alu instid0(SALU_CYCLE_1) | instskip(NEXT) | instid1(VALU_DEP_1)
	s_or_b32 exec_lo, exec_lo, s49
	v_mul_f32_e32 v15, s48, v15
	s_delay_alu instid0(VALU_DEP_1) | instskip(NEXT) | instid1(VALU_DEP_1)
	v_and_b32_e32 v41, 0x7f800000, v15
	v_cmp_ne_u32_e64 s1, 0x7f800000, v41
                                        ; implicit-def: $vgpr41
	s_delay_alu instid0(VALU_DEP_1) | instskip(NEXT) | instid1(SALU_CYCLE_1)
	s_and_saveexec_b32 s49, s1
	s_xor_b32 s1, exec_lo, s49
; %bb.85:                               ;   in Loop: Header=BB378_13 Depth=1
	v_bfe_u32 v41, v15, 16, 1
	s_delay_alu instid0(VALU_DEP_1)
	v_add3_u32 v41, v15, v41, 0x7fff
                                        ; implicit-def: $vgpr15
; %bb.86:                               ;   in Loop: Header=BB378_13 Depth=1
	s_and_not1_saveexec_b32 s49, s1
; %bb.87:                               ;   in Loop: Header=BB378_13 Depth=1
	v_and_b32_e32 v41, 0xffff, v15
	v_or_b32_e32 v42, 0x10000, v15
	s_delay_alu instid0(VALU_DEP_2) | instskip(NEXT) | instid1(VALU_DEP_1)
	v_cmp_eq_u32_e64 s1, 0, v41
	v_cndmask_b32_e64 v41, v42, v15, s1
; %bb.88:                               ;   in Loop: Header=BB378_13 Depth=1
	s_or_b32 exec_lo, exec_lo, s49
	global_load_u16 v15, v[21:22], off offset:136
	s_mov_b32 s49, exec_lo
	s_waitcnt vmcnt(0)
	v_and_b32_e32 v42, 0xff, v15
	v_and_b32_e32 v43, 0xffff, v15
	v_mov_b32_e32 v15, 0
	s_delay_alu instid0(VALU_DEP_3)
	v_cmpx_ne_u16_e32 0, v42
	s_cbranch_execz .LBB378_96
; %bb.89:                               ;   in Loop: Header=BB378_13 Depth=1
	s_delay_alu instid0(VALU_DEP_3) | instskip(NEXT) | instid1(VALU_DEP_1)
	v_and_b32_e32 v15, 0xff, v43
	v_cmp_ne_u16_e64 s1, 0x80, v15
	v_bfrev_b32_e32 v15, 1
	s_delay_alu instid0(VALU_DEP_2)
	s_and_saveexec_b32 s50, s1
	s_cbranch_execz .LBB378_95
; %bb.90:                               ;   in Loop: Header=BB378_13 Depth=1
	v_and_b32_e32 v44, 0x7f, v43
	v_mov_b32_e32 v15, 0x7f800001
	s_mov_b32 s51, exec_lo
	s_delay_alu instid0(VALU_DEP_2)
	v_cmpx_ne_u32_e32 0x7f, v44
	s_cbranch_execz .LBB378_94
; %bb.91:                               ;   in Loop: Header=BB378_13 Depth=1
	v_and_b32_e32 v15, 7, v43
	v_lshrrev_b32_e32 v42, 3, v44
	s_mov_b32 s52, exec_lo
	v_cmpx_gt_u32_e32 8, v44
; %bb.92:                               ;   in Loop: Header=BB378_13 Depth=1
	s_delay_alu instid0(VALU_DEP_3) | instskip(NEXT) | instid1(VALU_DEP_1)
	v_clz_i32_u32_e32 v42, v15
	v_min_u32_e32 v42, 32, v42
	s_delay_alu instid0(VALU_DEP_1) | instskip(SKIP_1) | instid1(VALU_DEP_2)
	v_subrev_nc_u32_e32 v44, 28, v42
	v_sub_nc_u32_e32 v42, 29, v42
	v_lshlrev_b64 v[44:45], v44, v[15:16]
	s_delay_alu instid0(VALU_DEP_1)
	v_and_b32_e32 v15, 7, v44
; %bb.93:                               ;   in Loop: Header=BB378_13 Depth=1
	s_or_b32 exec_lo, exec_lo, s52
	v_lshlrev_b32_e32 v44, 24, v43
	s_delay_alu instid0(VALU_DEP_2) | instskip(SKIP_1) | instid1(VALU_DEP_3)
	v_lshlrev_b32_e32 v15, 20, v15
	v_lshl_add_u32 v42, v42, 23, 0x3c000000
	v_and_b32_e32 v44, 0x80000000, v44
	s_delay_alu instid0(VALU_DEP_1)
	v_or3_b32 v15, v15, v44, v42
.LBB378_94:                             ;   in Loop: Header=BB378_13 Depth=1
	s_or_b32 exec_lo, exec_lo, s51
.LBB378_95:                             ;   in Loop: Header=BB378_13 Depth=1
	s_delay_alu instid0(SALU_CYCLE_1)
	s_or_b32 exec_lo, exec_lo, s50
.LBB378_96:                             ;   in Loop: Header=BB378_13 Depth=1
	s_delay_alu instid0(SALU_CYCLE_1) | instskip(NEXT) | instid1(VALU_DEP_1)
	s_or_b32 exec_lo, exec_lo, s49
	v_mul_f32_e32 v15, s48, v15
	s_delay_alu instid0(VALU_DEP_1) | instskip(NEXT) | instid1(VALU_DEP_1)
	v_and_b32_e32 v42, 0x7f800000, v15
	v_cmp_ne_u32_e64 s1, 0x7f800000, v42
                                        ; implicit-def: $vgpr42
	s_delay_alu instid0(VALU_DEP_1) | instskip(NEXT) | instid1(SALU_CYCLE_1)
	s_and_saveexec_b32 s49, s1
	s_xor_b32 s1, exec_lo, s49
; %bb.97:                               ;   in Loop: Header=BB378_13 Depth=1
	v_bfe_u32 v42, v15, 16, 1
	s_delay_alu instid0(VALU_DEP_1)
	v_add3_u32 v42, v15, v42, 0x7fff
                                        ; implicit-def: $vgpr15
; %bb.98:                               ;   in Loop: Header=BB378_13 Depth=1
	s_and_not1_saveexec_b32 s49, s1
; %bb.99:                               ;   in Loop: Header=BB378_13 Depth=1
	v_and_b32_e32 v42, 0xffff, v15
	v_or_b32_e32 v44, 0x10000, v15
	s_delay_alu instid0(VALU_DEP_2) | instskip(NEXT) | instid1(VALU_DEP_1)
	v_cmp_eq_u32_e64 s1, 0, v42
	v_cndmask_b32_e64 v42, v44, v15, s1
; %bb.100:                              ;   in Loop: Header=BB378_13 Depth=1
	s_or_b32 exec_lo, exec_lo, s49
	v_lshrrev_b16 v44, 8, v43
	v_mov_b32_e32 v15, 0
	s_mov_b32 s49, exec_lo
	s_delay_alu instid0(VALU_DEP_2)
	v_cmpx_ne_u16_e32 0, v44
	s_cbranch_execz .LBB378_108
; %bb.101:                              ;   in Loop: Header=BB378_13 Depth=1
	v_bfrev_b32_e32 v15, 1
	s_mov_b32 s50, exec_lo
	v_cmpx_ne_u16_e32 0x80, v44
	s_cbranch_execz .LBB378_107
; %bb.102:                              ;   in Loop: Header=BB378_13 Depth=1
	v_and_b32_e32 v44, 0xffff, v44
	v_mov_b32_e32 v15, 0x7f800001
	s_mov_b32 s51, exec_lo
	s_delay_alu instid0(VALU_DEP_2) | instskip(NEXT) | instid1(VALU_DEP_1)
	v_and_b32_e32 v45, 0x7f, v44
	v_cmpx_ne_u32_e32 0x7f, v45
	s_cbranch_execz .LBB378_106
; %bb.103:                              ;   in Loop: Header=BB378_13 Depth=1
	v_and_b32_e32 v15, 7, v44
	v_lshrrev_b32_e32 v44, 3, v45
	s_mov_b32 s52, exec_lo
	v_cmpx_gt_u32_e32 8, v45
; %bb.104:                              ;   in Loop: Header=BB378_13 Depth=1
	s_delay_alu instid0(VALU_DEP_3) | instskip(NEXT) | instid1(VALU_DEP_1)
	v_clz_i32_u32_e32 v44, v15
	v_min_u32_e32 v44, 32, v44
	s_delay_alu instid0(VALU_DEP_1) | instskip(SKIP_1) | instid1(VALU_DEP_2)
	v_subrev_nc_u32_e32 v45, 28, v44
	v_sub_nc_u32_e32 v44, 29, v44
	v_lshlrev_b64 v[45:46], v45, v[15:16]
	s_delay_alu instid0(VALU_DEP_1)
	v_and_b32_e32 v15, 7, v45
; %bb.105:                              ;   in Loop: Header=BB378_13 Depth=1
	s_or_b32 exec_lo, exec_lo, s52
	v_lshlrev_b32_e32 v43, 16, v43
	s_delay_alu instid0(VALU_DEP_2) | instskip(SKIP_1) | instid1(VALU_DEP_3)
	v_lshlrev_b32_e32 v15, 20, v15
	v_lshl_add_u32 v44, v44, 23, 0x3c000000
	v_and_b32_e32 v43, 0x80000000, v43
	s_delay_alu instid0(VALU_DEP_1)
	v_or3_b32 v15, v15, v43, v44
.LBB378_106:                            ;   in Loop: Header=BB378_13 Depth=1
	s_or_b32 exec_lo, exec_lo, s51
.LBB378_107:                            ;   in Loop: Header=BB378_13 Depth=1
	s_delay_alu instid0(SALU_CYCLE_1)
	s_or_b32 exec_lo, exec_lo, s50
.LBB378_108:                            ;   in Loop: Header=BB378_13 Depth=1
	s_delay_alu instid0(SALU_CYCLE_1) | instskip(NEXT) | instid1(VALU_DEP_1)
	s_or_b32 exec_lo, exec_lo, s49
	v_mul_f32_e32 v15, s48, v15
	s_delay_alu instid0(VALU_DEP_1) | instskip(NEXT) | instid1(VALU_DEP_1)
	v_and_b32_e32 v43, 0x7f800000, v15
	v_cmp_ne_u32_e64 s1, 0x7f800000, v43
                                        ; implicit-def: $vgpr43
	s_delay_alu instid0(VALU_DEP_1) | instskip(NEXT) | instid1(SALU_CYCLE_1)
	s_and_saveexec_b32 s49, s1
	s_xor_b32 s1, exec_lo, s49
; %bb.109:                              ;   in Loop: Header=BB378_13 Depth=1
	v_bfe_u32 v43, v15, 16, 1
	s_delay_alu instid0(VALU_DEP_1)
	v_add3_u32 v43, v15, v43, 0x7fff
                                        ; implicit-def: $vgpr15
; %bb.110:                              ;   in Loop: Header=BB378_13 Depth=1
	s_and_not1_saveexec_b32 s49, s1
; %bb.111:                              ;   in Loop: Header=BB378_13 Depth=1
	v_and_b32_e32 v43, 0xffff, v15
	v_or_b32_e32 v44, 0x10000, v15
	s_delay_alu instid0(VALU_DEP_2) | instskip(NEXT) | instid1(VALU_DEP_1)
	v_cmp_eq_u32_e64 s1, 0, v43
	v_cndmask_b32_e64 v43, v44, v15, s1
; %bb.112:                              ;   in Loop: Header=BB378_13 Depth=1
	s_or_b32 exec_lo, exec_lo, s49
	global_load_u16 v15, v[21:22], off offset:256
	s_mov_b32 s49, exec_lo
	s_waitcnt vmcnt(0)
	v_and_b32_e32 v44, 0xff, v15
	v_and_b32_e32 v45, 0xffff, v15
	v_mov_b32_e32 v15, 0
	s_delay_alu instid0(VALU_DEP_3)
	v_cmpx_ne_u16_e32 0, v44
	s_cbranch_execz .LBB378_120
; %bb.113:                              ;   in Loop: Header=BB378_13 Depth=1
	s_delay_alu instid0(VALU_DEP_3) | instskip(NEXT) | instid1(VALU_DEP_1)
	v_and_b32_e32 v15, 0xff, v45
	v_cmp_ne_u16_e64 s1, 0x80, v15
	v_bfrev_b32_e32 v15, 1
	s_delay_alu instid0(VALU_DEP_2)
	s_and_saveexec_b32 s50, s1
	s_cbranch_execz .LBB378_119
; %bb.114:                              ;   in Loop: Header=BB378_13 Depth=1
	v_and_b32_e32 v46, 0x7f, v45
	v_mov_b32_e32 v15, 0x7f800001
	s_mov_b32 s51, exec_lo
	s_delay_alu instid0(VALU_DEP_2)
	v_cmpx_ne_u32_e32 0x7f, v46
	s_cbranch_execz .LBB378_118
; %bb.115:                              ;   in Loop: Header=BB378_13 Depth=1
	v_and_b32_e32 v15, 7, v45
	v_lshrrev_b32_e32 v44, 3, v46
	s_mov_b32 s52, exec_lo
	v_cmpx_gt_u32_e32 8, v46
; %bb.116:                              ;   in Loop: Header=BB378_13 Depth=1
	s_delay_alu instid0(VALU_DEP_3) | instskip(NEXT) | instid1(VALU_DEP_1)
	v_clz_i32_u32_e32 v44, v15
	v_min_u32_e32 v44, 32, v44
	s_delay_alu instid0(VALU_DEP_1) | instskip(SKIP_1) | instid1(VALU_DEP_2)
	v_subrev_nc_u32_e32 v46, 28, v44
	v_sub_nc_u32_e32 v44, 29, v44
	v_lshlrev_b64 v[46:47], v46, v[15:16]
	s_delay_alu instid0(VALU_DEP_1)
	v_and_b32_e32 v15, 7, v46
; %bb.117:                              ;   in Loop: Header=BB378_13 Depth=1
	s_or_b32 exec_lo, exec_lo, s52
	v_lshlrev_b32_e32 v46, 24, v45
	s_delay_alu instid0(VALU_DEP_2) | instskip(SKIP_1) | instid1(VALU_DEP_3)
	v_lshlrev_b32_e32 v15, 20, v15
	v_lshl_add_u32 v44, v44, 23, 0x3c000000
	v_and_b32_e32 v46, 0x80000000, v46
	s_delay_alu instid0(VALU_DEP_1)
	v_or3_b32 v15, v15, v46, v44
.LBB378_118:                            ;   in Loop: Header=BB378_13 Depth=1
	s_or_b32 exec_lo, exec_lo, s51
.LBB378_119:                            ;   in Loop: Header=BB378_13 Depth=1
	s_delay_alu instid0(SALU_CYCLE_1)
	s_or_b32 exec_lo, exec_lo, s50
.LBB378_120:                            ;   in Loop: Header=BB378_13 Depth=1
	s_delay_alu instid0(SALU_CYCLE_1) | instskip(NEXT) | instid1(VALU_DEP_1)
	s_or_b32 exec_lo, exec_lo, s49
	v_mul_f32_e32 v15, s48, v15
	s_delay_alu instid0(VALU_DEP_1) | instskip(NEXT) | instid1(VALU_DEP_1)
	v_and_b32_e32 v44, 0x7f800000, v15
	v_cmp_ne_u32_e64 s1, 0x7f800000, v44
                                        ; implicit-def: $vgpr44
	s_delay_alu instid0(VALU_DEP_1) | instskip(NEXT) | instid1(SALU_CYCLE_1)
	s_and_saveexec_b32 s49, s1
	s_xor_b32 s1, exec_lo, s49
; %bb.121:                              ;   in Loop: Header=BB378_13 Depth=1
	v_bfe_u32 v44, v15, 16, 1
	s_delay_alu instid0(VALU_DEP_1)
	v_add3_u32 v44, v15, v44, 0x7fff
                                        ; implicit-def: $vgpr15
; %bb.122:                              ;   in Loop: Header=BB378_13 Depth=1
	s_and_not1_saveexec_b32 s49, s1
; %bb.123:                              ;   in Loop: Header=BB378_13 Depth=1
	v_and_b32_e32 v44, 0xffff, v15
	v_or_b32_e32 v46, 0x10000, v15
	s_delay_alu instid0(VALU_DEP_2) | instskip(NEXT) | instid1(VALU_DEP_1)
	v_cmp_eq_u32_e64 s1, 0, v44
	v_cndmask_b32_e64 v44, v46, v15, s1
; %bb.124:                              ;   in Loop: Header=BB378_13 Depth=1
	s_or_b32 exec_lo, exec_lo, s49
	v_lshrrev_b16 v46, 8, v45
	v_mov_b32_e32 v15, 0
	s_mov_b32 s49, exec_lo
	s_delay_alu instid0(VALU_DEP_2)
	v_cmpx_ne_u16_e32 0, v46
	s_cbranch_execz .LBB378_132
; %bb.125:                              ;   in Loop: Header=BB378_13 Depth=1
	v_bfrev_b32_e32 v15, 1
	s_mov_b32 s50, exec_lo
	v_cmpx_ne_u16_e32 0x80, v46
	s_cbranch_execz .LBB378_131
; %bb.126:                              ;   in Loop: Header=BB378_13 Depth=1
	v_and_b32_e32 v46, 0xffff, v46
	v_mov_b32_e32 v15, 0x7f800001
	s_mov_b32 s51, exec_lo
	s_delay_alu instid0(VALU_DEP_2) | instskip(NEXT) | instid1(VALU_DEP_1)
	v_and_b32_e32 v47, 0x7f, v46
	v_cmpx_ne_u32_e32 0x7f, v47
	s_cbranch_execz .LBB378_130
; %bb.127:                              ;   in Loop: Header=BB378_13 Depth=1
	v_and_b32_e32 v15, 7, v46
	v_lshrrev_b32_e32 v46, 3, v47
	s_mov_b32 s52, exec_lo
	v_cmpx_gt_u32_e32 8, v47
; %bb.128:                              ;   in Loop: Header=BB378_13 Depth=1
	s_delay_alu instid0(VALU_DEP_3) | instskip(NEXT) | instid1(VALU_DEP_1)
	v_clz_i32_u32_e32 v46, v15
	v_min_u32_e32 v46, 32, v46
	s_delay_alu instid0(VALU_DEP_1) | instskip(SKIP_1) | instid1(VALU_DEP_2)
	v_subrev_nc_u32_e32 v47, 28, v46
	v_sub_nc_u32_e32 v46, 29, v46
	v_lshlrev_b64 v[47:48], v47, v[15:16]
	s_delay_alu instid0(VALU_DEP_1)
	v_and_b32_e32 v15, 7, v47
; %bb.129:                              ;   in Loop: Header=BB378_13 Depth=1
	s_or_b32 exec_lo, exec_lo, s52
	v_lshlrev_b32_e32 v45, 16, v45
	s_delay_alu instid0(VALU_DEP_2) | instskip(SKIP_1) | instid1(VALU_DEP_3)
	v_lshlrev_b32_e32 v15, 20, v15
	v_lshl_add_u32 v46, v46, 23, 0x3c000000
	v_and_b32_e32 v45, 0x80000000, v45
	s_delay_alu instid0(VALU_DEP_1)
	v_or3_b32 v15, v15, v45, v46
.LBB378_130:                            ;   in Loop: Header=BB378_13 Depth=1
	s_or_b32 exec_lo, exec_lo, s51
.LBB378_131:                            ;   in Loop: Header=BB378_13 Depth=1
	s_delay_alu instid0(SALU_CYCLE_1)
	s_or_b32 exec_lo, exec_lo, s50
.LBB378_132:                            ;   in Loop: Header=BB378_13 Depth=1
	s_delay_alu instid0(SALU_CYCLE_1) | instskip(NEXT) | instid1(VALU_DEP_1)
	s_or_b32 exec_lo, exec_lo, s49
	v_mul_f32_e32 v15, s48, v15
	s_delay_alu instid0(VALU_DEP_1) | instskip(NEXT) | instid1(VALU_DEP_1)
	v_and_b32_e32 v45, 0x7f800000, v15
	v_cmp_ne_u32_e64 s1, 0x7f800000, v45
                                        ; implicit-def: $vgpr45
	s_delay_alu instid0(VALU_DEP_1) | instskip(NEXT) | instid1(SALU_CYCLE_1)
	s_and_saveexec_b32 s49, s1
	s_xor_b32 s1, exec_lo, s49
; %bb.133:                              ;   in Loop: Header=BB378_13 Depth=1
	v_bfe_u32 v45, v15, 16, 1
	s_delay_alu instid0(VALU_DEP_1)
	v_add3_u32 v45, v15, v45, 0x7fff
                                        ; implicit-def: $vgpr15
; %bb.134:                              ;   in Loop: Header=BB378_13 Depth=1
	s_and_not1_saveexec_b32 s49, s1
; %bb.135:                              ;   in Loop: Header=BB378_13 Depth=1
	v_and_b32_e32 v45, 0xffff, v15
	v_or_b32_e32 v46, 0x10000, v15
	s_delay_alu instid0(VALU_DEP_2) | instskip(NEXT) | instid1(VALU_DEP_1)
	v_cmp_eq_u32_e64 s1, 0, v45
	v_cndmask_b32_e64 v45, v46, v15, s1
; %bb.136:                              ;   in Loop: Header=BB378_13 Depth=1
	s_or_b32 exec_lo, exec_lo, s49
	global_load_u16 v15, v[21:22], off offset:264
	s_mov_b32 s49, exec_lo
	s_waitcnt vmcnt(0)
	v_and_b32_e32 v46, 0xff, v15
	v_and_b32_e32 v47, 0xffff, v15
	v_mov_b32_e32 v15, 0
	s_delay_alu instid0(VALU_DEP_3)
	v_cmpx_ne_u16_e32 0, v46
	s_cbranch_execz .LBB378_144
; %bb.137:                              ;   in Loop: Header=BB378_13 Depth=1
	s_delay_alu instid0(VALU_DEP_3) | instskip(NEXT) | instid1(VALU_DEP_1)
	v_and_b32_e32 v15, 0xff, v47
	v_cmp_ne_u16_e64 s1, 0x80, v15
	v_bfrev_b32_e32 v15, 1
	s_delay_alu instid0(VALU_DEP_2)
	s_and_saveexec_b32 s50, s1
	s_cbranch_execz .LBB378_143
; %bb.138:                              ;   in Loop: Header=BB378_13 Depth=1
	v_and_b32_e32 v48, 0x7f, v47
	v_mov_b32_e32 v15, 0x7f800001
	s_mov_b32 s51, exec_lo
	s_delay_alu instid0(VALU_DEP_2)
	v_cmpx_ne_u32_e32 0x7f, v48
	s_cbranch_execz .LBB378_142
; %bb.139:                              ;   in Loop: Header=BB378_13 Depth=1
	v_and_b32_e32 v15, 7, v47
	v_lshrrev_b32_e32 v46, 3, v48
	s_mov_b32 s52, exec_lo
	v_cmpx_gt_u32_e32 8, v48
; %bb.140:                              ;   in Loop: Header=BB378_13 Depth=1
	s_delay_alu instid0(VALU_DEP_3) | instskip(NEXT) | instid1(VALU_DEP_1)
	v_clz_i32_u32_e32 v46, v15
	v_min_u32_e32 v46, 32, v46
	s_delay_alu instid0(VALU_DEP_1) | instskip(SKIP_1) | instid1(VALU_DEP_2)
	v_subrev_nc_u32_e32 v48, 28, v46
	v_sub_nc_u32_e32 v46, 29, v46
	v_lshlrev_b64 v[48:49], v48, v[15:16]
	s_delay_alu instid0(VALU_DEP_1)
	v_and_b32_e32 v15, 7, v48
; %bb.141:                              ;   in Loop: Header=BB378_13 Depth=1
	s_or_b32 exec_lo, exec_lo, s52
	v_lshlrev_b32_e32 v48, 24, v47
	s_delay_alu instid0(VALU_DEP_2) | instskip(SKIP_1) | instid1(VALU_DEP_3)
	v_lshlrev_b32_e32 v15, 20, v15
	v_lshl_add_u32 v46, v46, 23, 0x3c000000
	v_and_b32_e32 v48, 0x80000000, v48
	s_delay_alu instid0(VALU_DEP_1)
	v_or3_b32 v15, v15, v48, v46
.LBB378_142:                            ;   in Loop: Header=BB378_13 Depth=1
	s_or_b32 exec_lo, exec_lo, s51
.LBB378_143:                            ;   in Loop: Header=BB378_13 Depth=1
	s_delay_alu instid0(SALU_CYCLE_1)
	s_or_b32 exec_lo, exec_lo, s50
.LBB378_144:                            ;   in Loop: Header=BB378_13 Depth=1
	s_delay_alu instid0(SALU_CYCLE_1) | instskip(NEXT) | instid1(VALU_DEP_1)
	s_or_b32 exec_lo, exec_lo, s49
	v_mul_f32_e32 v15, s48, v15
	s_delay_alu instid0(VALU_DEP_1) | instskip(NEXT) | instid1(VALU_DEP_1)
	v_and_b32_e32 v46, 0x7f800000, v15
	v_cmp_ne_u32_e64 s1, 0x7f800000, v46
                                        ; implicit-def: $vgpr46
	s_delay_alu instid0(VALU_DEP_1) | instskip(NEXT) | instid1(SALU_CYCLE_1)
	s_and_saveexec_b32 s49, s1
	s_xor_b32 s1, exec_lo, s49
; %bb.145:                              ;   in Loop: Header=BB378_13 Depth=1
	v_bfe_u32 v46, v15, 16, 1
	s_delay_alu instid0(VALU_DEP_1)
	v_add3_u32 v46, v15, v46, 0x7fff
                                        ; implicit-def: $vgpr15
; %bb.146:                              ;   in Loop: Header=BB378_13 Depth=1
	s_and_not1_saveexec_b32 s49, s1
; %bb.147:                              ;   in Loop: Header=BB378_13 Depth=1
	v_and_b32_e32 v46, 0xffff, v15
	v_or_b32_e32 v48, 0x10000, v15
	s_delay_alu instid0(VALU_DEP_2) | instskip(NEXT) | instid1(VALU_DEP_1)
	v_cmp_eq_u32_e64 s1, 0, v46
	v_cndmask_b32_e64 v46, v48, v15, s1
; %bb.148:                              ;   in Loop: Header=BB378_13 Depth=1
	s_or_b32 exec_lo, exec_lo, s49
	v_lshrrev_b16 v48, 8, v47
	v_mov_b32_e32 v15, 0
	s_mov_b32 s49, exec_lo
	s_delay_alu instid0(VALU_DEP_2)
	v_cmpx_ne_u16_e32 0, v48
	s_cbranch_execz .LBB378_156
; %bb.149:                              ;   in Loop: Header=BB378_13 Depth=1
	v_bfrev_b32_e32 v15, 1
	s_mov_b32 s50, exec_lo
	v_cmpx_ne_u16_e32 0x80, v48
	s_cbranch_execz .LBB378_155
; %bb.150:                              ;   in Loop: Header=BB378_13 Depth=1
	v_and_b32_e32 v48, 0xffff, v48
	v_mov_b32_e32 v15, 0x7f800001
	s_mov_b32 s51, exec_lo
	s_delay_alu instid0(VALU_DEP_2) | instskip(NEXT) | instid1(VALU_DEP_1)
	v_and_b32_e32 v49, 0x7f, v48
	v_cmpx_ne_u32_e32 0x7f, v49
	s_cbranch_execz .LBB378_154
; %bb.151:                              ;   in Loop: Header=BB378_13 Depth=1
	v_and_b32_e32 v15, 7, v48
	v_lshrrev_b32_e32 v48, 3, v49
	s_mov_b32 s52, exec_lo
	v_cmpx_gt_u32_e32 8, v49
; %bb.152:                              ;   in Loop: Header=BB378_13 Depth=1
	s_delay_alu instid0(VALU_DEP_3) | instskip(NEXT) | instid1(VALU_DEP_1)
	v_clz_i32_u32_e32 v48, v15
	v_min_u32_e32 v48, 32, v48
	s_delay_alu instid0(VALU_DEP_1) | instskip(SKIP_1) | instid1(VALU_DEP_2)
	v_subrev_nc_u32_e32 v49, 28, v48
	v_sub_nc_u32_e32 v48, 29, v48
	v_lshlrev_b64 v[49:50], v49, v[15:16]
	s_delay_alu instid0(VALU_DEP_1)
	v_and_b32_e32 v15, 7, v49
; %bb.153:                              ;   in Loop: Header=BB378_13 Depth=1
	s_or_b32 exec_lo, exec_lo, s52
	v_lshlrev_b32_e32 v47, 16, v47
	s_delay_alu instid0(VALU_DEP_2) | instskip(SKIP_1) | instid1(VALU_DEP_3)
	v_lshlrev_b32_e32 v15, 20, v15
	v_lshl_add_u32 v48, v48, 23, 0x3c000000
	v_and_b32_e32 v47, 0x80000000, v47
	s_delay_alu instid0(VALU_DEP_1)
	v_or3_b32 v15, v15, v47, v48
.LBB378_154:                            ;   in Loop: Header=BB378_13 Depth=1
	s_or_b32 exec_lo, exec_lo, s51
.LBB378_155:                            ;   in Loop: Header=BB378_13 Depth=1
	s_delay_alu instid0(SALU_CYCLE_1)
	s_or_b32 exec_lo, exec_lo, s50
.LBB378_156:                            ;   in Loop: Header=BB378_13 Depth=1
	s_delay_alu instid0(SALU_CYCLE_1) | instskip(NEXT) | instid1(VALU_DEP_1)
	s_or_b32 exec_lo, exec_lo, s49
	v_mul_f32_e32 v15, s48, v15
	s_delay_alu instid0(VALU_DEP_1) | instskip(NEXT) | instid1(VALU_DEP_1)
	v_and_b32_e32 v47, 0x7f800000, v15
	v_cmp_ne_u32_e64 s1, 0x7f800000, v47
                                        ; implicit-def: $vgpr47
	s_delay_alu instid0(VALU_DEP_1) | instskip(NEXT) | instid1(SALU_CYCLE_1)
	s_and_saveexec_b32 s49, s1
	s_xor_b32 s1, exec_lo, s49
; %bb.157:                              ;   in Loop: Header=BB378_13 Depth=1
	v_bfe_u32 v47, v15, 16, 1
	s_delay_alu instid0(VALU_DEP_1)
	v_add3_u32 v47, v15, v47, 0x7fff
                                        ; implicit-def: $vgpr15
; %bb.158:                              ;   in Loop: Header=BB378_13 Depth=1
	s_and_not1_saveexec_b32 s49, s1
; %bb.159:                              ;   in Loop: Header=BB378_13 Depth=1
	v_and_b32_e32 v47, 0xffff, v15
	v_or_b32_e32 v48, 0x10000, v15
	s_delay_alu instid0(VALU_DEP_2) | instskip(NEXT) | instid1(VALU_DEP_1)
	v_cmp_eq_u32_e64 s1, 0, v47
	v_cndmask_b32_e64 v47, v48, v15, s1
; %bb.160:                              ;   in Loop: Header=BB378_13 Depth=1
	s_or_b32 exec_lo, exec_lo, s49
	global_load_u16 v15, v[21:22], off offset:384
	s_mov_b32 s49, exec_lo
	s_waitcnt vmcnt(0)
	v_and_b32_e32 v48, 0xff, v15
	v_and_b32_e32 v49, 0xffff, v15
	v_mov_b32_e32 v15, 0
	s_delay_alu instid0(VALU_DEP_3)
	v_cmpx_ne_u16_e32 0, v48
	s_cbranch_execz .LBB378_168
; %bb.161:                              ;   in Loop: Header=BB378_13 Depth=1
	s_delay_alu instid0(VALU_DEP_3) | instskip(NEXT) | instid1(VALU_DEP_1)
	v_and_b32_e32 v15, 0xff, v49
	v_cmp_ne_u16_e64 s1, 0x80, v15
	v_bfrev_b32_e32 v15, 1
	s_delay_alu instid0(VALU_DEP_2)
	s_and_saveexec_b32 s50, s1
	s_cbranch_execz .LBB378_167
; %bb.162:                              ;   in Loop: Header=BB378_13 Depth=1
	v_and_b32_e32 v50, 0x7f, v49
	v_mov_b32_e32 v15, 0x7f800001
	s_mov_b32 s51, exec_lo
	s_delay_alu instid0(VALU_DEP_2)
	v_cmpx_ne_u32_e32 0x7f, v50
	s_cbranch_execz .LBB378_166
; %bb.163:                              ;   in Loop: Header=BB378_13 Depth=1
	v_and_b32_e32 v15, 7, v49
	v_lshrrev_b32_e32 v48, 3, v50
	s_mov_b32 s52, exec_lo
	v_cmpx_gt_u32_e32 8, v50
; %bb.164:                              ;   in Loop: Header=BB378_13 Depth=1
	s_delay_alu instid0(VALU_DEP_3) | instskip(NEXT) | instid1(VALU_DEP_1)
	v_clz_i32_u32_e32 v48, v15
	v_min_u32_e32 v48, 32, v48
	s_delay_alu instid0(VALU_DEP_1) | instskip(SKIP_1) | instid1(VALU_DEP_2)
	v_subrev_nc_u32_e32 v50, 28, v48
	v_sub_nc_u32_e32 v48, 29, v48
	v_lshlrev_b64 v[50:51], v50, v[15:16]
	s_delay_alu instid0(VALU_DEP_1)
	v_and_b32_e32 v15, 7, v50
; %bb.165:                              ;   in Loop: Header=BB378_13 Depth=1
	s_or_b32 exec_lo, exec_lo, s52
	v_lshlrev_b32_e32 v50, 24, v49
	s_delay_alu instid0(VALU_DEP_2) | instskip(SKIP_1) | instid1(VALU_DEP_3)
	v_lshlrev_b32_e32 v15, 20, v15
	v_lshl_add_u32 v48, v48, 23, 0x3c000000
	v_and_b32_e32 v50, 0x80000000, v50
	s_delay_alu instid0(VALU_DEP_1)
	v_or3_b32 v15, v15, v50, v48
.LBB378_166:                            ;   in Loop: Header=BB378_13 Depth=1
	s_or_b32 exec_lo, exec_lo, s51
.LBB378_167:                            ;   in Loop: Header=BB378_13 Depth=1
	s_delay_alu instid0(SALU_CYCLE_1)
	s_or_b32 exec_lo, exec_lo, s50
.LBB378_168:                            ;   in Loop: Header=BB378_13 Depth=1
	s_delay_alu instid0(SALU_CYCLE_1) | instskip(NEXT) | instid1(VALU_DEP_1)
	s_or_b32 exec_lo, exec_lo, s49
	v_mul_f32_e32 v15, s48, v15
	s_delay_alu instid0(VALU_DEP_1) | instskip(NEXT) | instid1(VALU_DEP_1)
	v_and_b32_e32 v48, 0x7f800000, v15
	v_cmp_ne_u32_e64 s1, 0x7f800000, v48
                                        ; implicit-def: $vgpr48
	s_delay_alu instid0(VALU_DEP_1) | instskip(NEXT) | instid1(SALU_CYCLE_1)
	s_and_saveexec_b32 s49, s1
	s_xor_b32 s1, exec_lo, s49
; %bb.169:                              ;   in Loop: Header=BB378_13 Depth=1
	v_bfe_u32 v48, v15, 16, 1
	s_delay_alu instid0(VALU_DEP_1)
	v_add3_u32 v48, v15, v48, 0x7fff
                                        ; implicit-def: $vgpr15
; %bb.170:                              ;   in Loop: Header=BB378_13 Depth=1
	s_and_not1_saveexec_b32 s49, s1
; %bb.171:                              ;   in Loop: Header=BB378_13 Depth=1
	v_and_b32_e32 v48, 0xffff, v15
	v_or_b32_e32 v50, 0x10000, v15
	s_delay_alu instid0(VALU_DEP_2) | instskip(NEXT) | instid1(VALU_DEP_1)
	v_cmp_eq_u32_e64 s1, 0, v48
	v_cndmask_b32_e64 v48, v50, v15, s1
; %bb.172:                              ;   in Loop: Header=BB378_13 Depth=1
	s_or_b32 exec_lo, exec_lo, s49
	v_lshrrev_b16 v50, 8, v49
	v_mov_b32_e32 v15, 0
	s_mov_b32 s49, exec_lo
	s_delay_alu instid0(VALU_DEP_2)
	v_cmpx_ne_u16_e32 0, v50
	s_cbranch_execz .LBB378_180
; %bb.173:                              ;   in Loop: Header=BB378_13 Depth=1
	v_bfrev_b32_e32 v15, 1
	s_mov_b32 s50, exec_lo
	v_cmpx_ne_u16_e32 0x80, v50
	s_cbranch_execz .LBB378_179
; %bb.174:                              ;   in Loop: Header=BB378_13 Depth=1
	v_and_b32_e32 v50, 0xffff, v50
	v_mov_b32_e32 v15, 0x7f800001
	s_mov_b32 s51, exec_lo
	s_delay_alu instid0(VALU_DEP_2) | instskip(NEXT) | instid1(VALU_DEP_1)
	v_and_b32_e32 v51, 0x7f, v50
	v_cmpx_ne_u32_e32 0x7f, v51
	s_cbranch_execz .LBB378_178
; %bb.175:                              ;   in Loop: Header=BB378_13 Depth=1
	v_and_b32_e32 v15, 7, v50
	v_lshrrev_b32_e32 v50, 3, v51
	s_mov_b32 s52, exec_lo
	v_cmpx_gt_u32_e32 8, v51
; %bb.176:                              ;   in Loop: Header=BB378_13 Depth=1
	s_delay_alu instid0(VALU_DEP_3) | instskip(NEXT) | instid1(VALU_DEP_1)
	v_clz_i32_u32_e32 v50, v15
	v_min_u32_e32 v50, 32, v50
	s_delay_alu instid0(VALU_DEP_1) | instskip(SKIP_1) | instid1(VALU_DEP_2)
	v_subrev_nc_u32_e32 v51, 28, v50
	v_sub_nc_u32_e32 v50, 29, v50
	v_lshlrev_b64 v[51:52], v51, v[15:16]
	s_delay_alu instid0(VALU_DEP_1)
	v_and_b32_e32 v15, 7, v51
; %bb.177:                              ;   in Loop: Header=BB378_13 Depth=1
	s_or_b32 exec_lo, exec_lo, s52
	v_lshlrev_b32_e32 v49, 16, v49
	s_delay_alu instid0(VALU_DEP_2) | instskip(SKIP_1) | instid1(VALU_DEP_3)
	v_lshlrev_b32_e32 v15, 20, v15
	v_lshl_add_u32 v50, v50, 23, 0x3c000000
	v_and_b32_e32 v49, 0x80000000, v49
	s_delay_alu instid0(VALU_DEP_1)
	v_or3_b32 v15, v15, v49, v50
.LBB378_178:                            ;   in Loop: Header=BB378_13 Depth=1
	s_or_b32 exec_lo, exec_lo, s51
.LBB378_179:                            ;   in Loop: Header=BB378_13 Depth=1
	s_delay_alu instid0(SALU_CYCLE_1)
	s_or_b32 exec_lo, exec_lo, s50
.LBB378_180:                            ;   in Loop: Header=BB378_13 Depth=1
	s_delay_alu instid0(SALU_CYCLE_1) | instskip(NEXT) | instid1(VALU_DEP_1)
	s_or_b32 exec_lo, exec_lo, s49
	v_mul_f32_e32 v15, s48, v15
	s_delay_alu instid0(VALU_DEP_1) | instskip(NEXT) | instid1(VALU_DEP_1)
	v_and_b32_e32 v49, 0x7f800000, v15
	v_cmp_ne_u32_e64 s1, 0x7f800000, v49
                                        ; implicit-def: $vgpr49
	s_delay_alu instid0(VALU_DEP_1) | instskip(NEXT) | instid1(SALU_CYCLE_1)
	s_and_saveexec_b32 s49, s1
	s_xor_b32 s1, exec_lo, s49
; %bb.181:                              ;   in Loop: Header=BB378_13 Depth=1
	v_bfe_u32 v49, v15, 16, 1
	s_delay_alu instid0(VALU_DEP_1)
	v_add3_u32 v49, v15, v49, 0x7fff
                                        ; implicit-def: $vgpr15
; %bb.182:                              ;   in Loop: Header=BB378_13 Depth=1
	s_and_not1_saveexec_b32 s49, s1
; %bb.183:                              ;   in Loop: Header=BB378_13 Depth=1
	v_and_b32_e32 v49, 0xffff, v15
	v_or_b32_e32 v50, 0x10000, v15
	s_delay_alu instid0(VALU_DEP_2) | instskip(NEXT) | instid1(VALU_DEP_1)
	v_cmp_eq_u32_e64 s1, 0, v49
	v_cndmask_b32_e64 v49, v50, v15, s1
; %bb.184:                              ;   in Loop: Header=BB378_13 Depth=1
	s_or_b32 exec_lo, exec_lo, s49
	global_load_u16 v15, v[21:22], off offset:392
	s_mov_b32 s49, exec_lo
	s_waitcnt vmcnt(0)
	v_and_b32_e32 v50, 0xff, v15
	v_and_b32_e32 v51, 0xffff, v15
	v_mov_b32_e32 v15, 0
	s_delay_alu instid0(VALU_DEP_3)
	v_cmpx_ne_u16_e32 0, v50
	s_cbranch_execz .LBB378_192
; %bb.185:                              ;   in Loop: Header=BB378_13 Depth=1
	s_delay_alu instid0(VALU_DEP_3) | instskip(NEXT) | instid1(VALU_DEP_1)
	v_and_b32_e32 v15, 0xff, v51
	v_cmp_ne_u16_e64 s1, 0x80, v15
	v_bfrev_b32_e32 v15, 1
	s_delay_alu instid0(VALU_DEP_2)
	s_and_saveexec_b32 s50, s1
	s_cbranch_execz .LBB378_191
; %bb.186:                              ;   in Loop: Header=BB378_13 Depth=1
	v_and_b32_e32 v52, 0x7f, v51
	v_mov_b32_e32 v15, 0x7f800001
	s_mov_b32 s51, exec_lo
	s_delay_alu instid0(VALU_DEP_2)
	v_cmpx_ne_u32_e32 0x7f, v52
	s_cbranch_execz .LBB378_190
; %bb.187:                              ;   in Loop: Header=BB378_13 Depth=1
	v_and_b32_e32 v15, 7, v51
	v_lshrrev_b32_e32 v50, 3, v52
	s_mov_b32 s52, exec_lo
	v_cmpx_gt_u32_e32 8, v52
; %bb.188:                              ;   in Loop: Header=BB378_13 Depth=1
	s_delay_alu instid0(VALU_DEP_3) | instskip(NEXT) | instid1(VALU_DEP_1)
	v_clz_i32_u32_e32 v50, v15
	v_min_u32_e32 v50, 32, v50
	s_delay_alu instid0(VALU_DEP_1) | instskip(SKIP_1) | instid1(VALU_DEP_2)
	v_subrev_nc_u32_e32 v52, 28, v50
	v_sub_nc_u32_e32 v50, 29, v50
	v_lshlrev_b64 v[52:53], v52, v[15:16]
	s_delay_alu instid0(VALU_DEP_1)
	v_and_b32_e32 v15, 7, v52
; %bb.189:                              ;   in Loop: Header=BB378_13 Depth=1
	s_or_b32 exec_lo, exec_lo, s52
	v_lshlrev_b32_e32 v52, 24, v51
	s_delay_alu instid0(VALU_DEP_2) | instskip(SKIP_1) | instid1(VALU_DEP_3)
	v_lshlrev_b32_e32 v15, 20, v15
	v_lshl_add_u32 v50, v50, 23, 0x3c000000
	v_and_b32_e32 v52, 0x80000000, v52
	s_delay_alu instid0(VALU_DEP_1)
	v_or3_b32 v15, v15, v52, v50
.LBB378_190:                            ;   in Loop: Header=BB378_13 Depth=1
	s_or_b32 exec_lo, exec_lo, s51
.LBB378_191:                            ;   in Loop: Header=BB378_13 Depth=1
	s_delay_alu instid0(SALU_CYCLE_1)
	s_or_b32 exec_lo, exec_lo, s50
.LBB378_192:                            ;   in Loop: Header=BB378_13 Depth=1
	s_delay_alu instid0(SALU_CYCLE_1) | instskip(NEXT) | instid1(VALU_DEP_1)
	s_or_b32 exec_lo, exec_lo, s49
	v_mul_f32_e32 v15, s48, v15
	s_delay_alu instid0(VALU_DEP_1) | instskip(NEXT) | instid1(VALU_DEP_1)
	v_and_b32_e32 v50, 0x7f800000, v15
	v_cmp_ne_u32_e64 s1, 0x7f800000, v50
                                        ; implicit-def: $vgpr50
	s_delay_alu instid0(VALU_DEP_1) | instskip(NEXT) | instid1(SALU_CYCLE_1)
	s_and_saveexec_b32 s49, s1
	s_xor_b32 s1, exec_lo, s49
; %bb.193:                              ;   in Loop: Header=BB378_13 Depth=1
	v_bfe_u32 v50, v15, 16, 1
	s_delay_alu instid0(VALU_DEP_1)
	v_add3_u32 v50, v15, v50, 0x7fff
                                        ; implicit-def: $vgpr15
; %bb.194:                              ;   in Loop: Header=BB378_13 Depth=1
	s_and_not1_saveexec_b32 s49, s1
; %bb.195:                              ;   in Loop: Header=BB378_13 Depth=1
	v_and_b32_e32 v50, 0xffff, v15
	v_or_b32_e32 v52, 0x10000, v15
	s_delay_alu instid0(VALU_DEP_2) | instskip(NEXT) | instid1(VALU_DEP_1)
	v_cmp_eq_u32_e64 s1, 0, v50
	v_cndmask_b32_e64 v50, v52, v15, s1
; %bb.196:                              ;   in Loop: Header=BB378_13 Depth=1
	s_or_b32 exec_lo, exec_lo, s49
	v_lshrrev_b16 v52, 8, v51
	v_mov_b32_e32 v15, 0
	s_mov_b32 s49, exec_lo
	s_delay_alu instid0(VALU_DEP_2)
	v_cmpx_ne_u16_e32 0, v52
	s_cbranch_execz .LBB378_204
; %bb.197:                              ;   in Loop: Header=BB378_13 Depth=1
	v_bfrev_b32_e32 v15, 1
	s_mov_b32 s50, exec_lo
	v_cmpx_ne_u16_e32 0x80, v52
	s_cbranch_execz .LBB378_203
; %bb.198:                              ;   in Loop: Header=BB378_13 Depth=1
	v_and_b32_e32 v52, 0xffff, v52
	v_mov_b32_e32 v15, 0x7f800001
	s_mov_b32 s51, exec_lo
	s_delay_alu instid0(VALU_DEP_2) | instskip(NEXT) | instid1(VALU_DEP_1)
	v_and_b32_e32 v53, 0x7f, v52
	v_cmpx_ne_u32_e32 0x7f, v53
	s_cbranch_execz .LBB378_202
; %bb.199:                              ;   in Loop: Header=BB378_13 Depth=1
	v_and_b32_e32 v15, 7, v52
	v_lshrrev_b32_e32 v52, 3, v53
	s_mov_b32 s52, exec_lo
	v_cmpx_gt_u32_e32 8, v53
; %bb.200:                              ;   in Loop: Header=BB378_13 Depth=1
	s_delay_alu instid0(VALU_DEP_3) | instskip(NEXT) | instid1(VALU_DEP_1)
	v_clz_i32_u32_e32 v52, v15
	v_min_u32_e32 v52, 32, v52
	s_delay_alu instid0(VALU_DEP_1) | instskip(SKIP_1) | instid1(VALU_DEP_2)
	v_subrev_nc_u32_e32 v53, 28, v52
	v_sub_nc_u32_e32 v52, 29, v52
	v_lshlrev_b64 v[53:54], v53, v[15:16]
	s_delay_alu instid0(VALU_DEP_1)
	v_and_b32_e32 v15, 7, v53
; %bb.201:                              ;   in Loop: Header=BB378_13 Depth=1
	s_or_b32 exec_lo, exec_lo, s52
	v_lshlrev_b32_e32 v51, 16, v51
	s_delay_alu instid0(VALU_DEP_2) | instskip(SKIP_1) | instid1(VALU_DEP_3)
	v_lshlrev_b32_e32 v15, 20, v15
	v_lshl_add_u32 v52, v52, 23, 0x3c000000
	v_and_b32_e32 v51, 0x80000000, v51
	s_delay_alu instid0(VALU_DEP_1)
	v_or3_b32 v15, v15, v51, v52
.LBB378_202:                            ;   in Loop: Header=BB378_13 Depth=1
	s_or_b32 exec_lo, exec_lo, s51
.LBB378_203:                            ;   in Loop: Header=BB378_13 Depth=1
	s_delay_alu instid0(SALU_CYCLE_1)
	s_or_b32 exec_lo, exec_lo, s50
.LBB378_204:                            ;   in Loop: Header=BB378_13 Depth=1
	s_delay_alu instid0(SALU_CYCLE_1) | instskip(NEXT) | instid1(VALU_DEP_1)
	s_or_b32 exec_lo, exec_lo, s49
	v_mul_f32_e32 v15, s48, v15
	s_delay_alu instid0(VALU_DEP_1) | instskip(NEXT) | instid1(VALU_DEP_1)
	v_and_b32_e32 v51, 0x7f800000, v15
	v_cmp_ne_u32_e64 s1, 0x7f800000, v51
                                        ; implicit-def: $vgpr51
	s_delay_alu instid0(VALU_DEP_1) | instskip(NEXT) | instid1(SALU_CYCLE_1)
	s_and_saveexec_b32 s49, s1
	s_xor_b32 s1, exec_lo, s49
; %bb.205:                              ;   in Loop: Header=BB378_13 Depth=1
	v_bfe_u32 v51, v15, 16, 1
	s_delay_alu instid0(VALU_DEP_1)
	v_add3_u32 v51, v15, v51, 0x7fff
                                        ; implicit-def: $vgpr15
; %bb.206:                              ;   in Loop: Header=BB378_13 Depth=1
	s_and_not1_saveexec_b32 s49, s1
; %bb.207:                              ;   in Loop: Header=BB378_13 Depth=1
	v_and_b32_e32 v51, 0xffff, v15
	v_or_b32_e32 v52, 0x10000, v15
	s_delay_alu instid0(VALU_DEP_2) | instskip(NEXT) | instid1(VALU_DEP_1)
	v_cmp_eq_u32_e64 s1, 0, v51
	v_cndmask_b32_e64 v51, v52, v15, s1
; %bb.208:                              ;   in Loop: Header=BB378_13 Depth=1
	s_or_b32 exec_lo, exec_lo, s49
	global_load_u16 v15, v[21:22], off offset:512
	s_mov_b32 s49, exec_lo
	s_waitcnt vmcnt(0)
	v_and_b32_e32 v52, 0xff, v15
	v_and_b32_e32 v53, 0xffff, v15
	v_mov_b32_e32 v15, 0
	s_delay_alu instid0(VALU_DEP_3)
	v_cmpx_ne_u16_e32 0, v52
	s_cbranch_execz .LBB378_216
; %bb.209:                              ;   in Loop: Header=BB378_13 Depth=1
	s_delay_alu instid0(VALU_DEP_3) | instskip(NEXT) | instid1(VALU_DEP_1)
	v_and_b32_e32 v15, 0xff, v53
	v_cmp_ne_u16_e64 s1, 0x80, v15
	v_bfrev_b32_e32 v15, 1
	s_delay_alu instid0(VALU_DEP_2)
	s_and_saveexec_b32 s50, s1
	s_cbranch_execz .LBB378_215
; %bb.210:                              ;   in Loop: Header=BB378_13 Depth=1
	v_and_b32_e32 v54, 0x7f, v53
	v_mov_b32_e32 v15, 0x7f800001
	s_mov_b32 s51, exec_lo
	s_delay_alu instid0(VALU_DEP_2)
	v_cmpx_ne_u32_e32 0x7f, v54
	s_cbranch_execz .LBB378_214
; %bb.211:                              ;   in Loop: Header=BB378_13 Depth=1
	v_and_b32_e32 v15, 7, v53
	v_lshrrev_b32_e32 v52, 3, v54
	s_mov_b32 s52, exec_lo
	v_cmpx_gt_u32_e32 8, v54
; %bb.212:                              ;   in Loop: Header=BB378_13 Depth=1
	s_delay_alu instid0(VALU_DEP_3) | instskip(NEXT) | instid1(VALU_DEP_1)
	v_clz_i32_u32_e32 v52, v15
	v_min_u32_e32 v52, 32, v52
	s_delay_alu instid0(VALU_DEP_1) | instskip(SKIP_1) | instid1(VALU_DEP_2)
	v_subrev_nc_u32_e32 v54, 28, v52
	v_sub_nc_u32_e32 v52, 29, v52
	v_lshlrev_b64 v[54:55], v54, v[15:16]
	s_delay_alu instid0(VALU_DEP_1)
	v_and_b32_e32 v15, 7, v54
; %bb.213:                              ;   in Loop: Header=BB378_13 Depth=1
	s_or_b32 exec_lo, exec_lo, s52
	v_lshlrev_b32_e32 v54, 24, v53
	s_delay_alu instid0(VALU_DEP_2) | instskip(SKIP_1) | instid1(VALU_DEP_3)
	v_lshlrev_b32_e32 v15, 20, v15
	v_lshl_add_u32 v52, v52, 23, 0x3c000000
	v_and_b32_e32 v54, 0x80000000, v54
	s_delay_alu instid0(VALU_DEP_1)
	v_or3_b32 v15, v15, v54, v52
.LBB378_214:                            ;   in Loop: Header=BB378_13 Depth=1
	s_or_b32 exec_lo, exec_lo, s51
.LBB378_215:                            ;   in Loop: Header=BB378_13 Depth=1
	s_delay_alu instid0(SALU_CYCLE_1)
	s_or_b32 exec_lo, exec_lo, s50
.LBB378_216:                            ;   in Loop: Header=BB378_13 Depth=1
	s_delay_alu instid0(SALU_CYCLE_1) | instskip(NEXT) | instid1(VALU_DEP_1)
	s_or_b32 exec_lo, exec_lo, s49
	v_mul_f32_e32 v15, s48, v15
	s_delay_alu instid0(VALU_DEP_1) | instskip(NEXT) | instid1(VALU_DEP_1)
	v_and_b32_e32 v52, 0x7f800000, v15
	v_cmp_ne_u32_e64 s1, 0x7f800000, v52
                                        ; implicit-def: $vgpr52
	s_delay_alu instid0(VALU_DEP_1) | instskip(NEXT) | instid1(SALU_CYCLE_1)
	s_and_saveexec_b32 s49, s1
	s_xor_b32 s1, exec_lo, s49
; %bb.217:                              ;   in Loop: Header=BB378_13 Depth=1
	v_bfe_u32 v52, v15, 16, 1
	s_delay_alu instid0(VALU_DEP_1)
	v_add3_u32 v52, v15, v52, 0x7fff
                                        ; implicit-def: $vgpr15
; %bb.218:                              ;   in Loop: Header=BB378_13 Depth=1
	s_and_not1_saveexec_b32 s49, s1
; %bb.219:                              ;   in Loop: Header=BB378_13 Depth=1
	v_and_b32_e32 v52, 0xffff, v15
	v_or_b32_e32 v54, 0x10000, v15
	s_delay_alu instid0(VALU_DEP_2) | instskip(NEXT) | instid1(VALU_DEP_1)
	v_cmp_eq_u32_e64 s1, 0, v52
	v_cndmask_b32_e64 v52, v54, v15, s1
; %bb.220:                              ;   in Loop: Header=BB378_13 Depth=1
	s_or_b32 exec_lo, exec_lo, s49
	v_lshrrev_b16 v54, 8, v53
	v_mov_b32_e32 v15, 0
	s_mov_b32 s49, exec_lo
	s_delay_alu instid0(VALU_DEP_2)
	v_cmpx_ne_u16_e32 0, v54
	s_cbranch_execz .LBB378_228
; %bb.221:                              ;   in Loop: Header=BB378_13 Depth=1
	v_bfrev_b32_e32 v15, 1
	s_mov_b32 s50, exec_lo
	v_cmpx_ne_u16_e32 0x80, v54
	s_cbranch_execz .LBB378_227
; %bb.222:                              ;   in Loop: Header=BB378_13 Depth=1
	v_and_b32_e32 v54, 0xffff, v54
	v_mov_b32_e32 v15, 0x7f800001
	s_mov_b32 s51, exec_lo
	s_delay_alu instid0(VALU_DEP_2) | instskip(NEXT) | instid1(VALU_DEP_1)
	v_and_b32_e32 v55, 0x7f, v54
	v_cmpx_ne_u32_e32 0x7f, v55
	s_cbranch_execz .LBB378_226
; %bb.223:                              ;   in Loop: Header=BB378_13 Depth=1
	v_and_b32_e32 v15, 7, v54
	v_lshrrev_b32_e32 v54, 3, v55
	s_mov_b32 s52, exec_lo
	v_cmpx_gt_u32_e32 8, v55
; %bb.224:                              ;   in Loop: Header=BB378_13 Depth=1
	s_delay_alu instid0(VALU_DEP_3) | instskip(NEXT) | instid1(VALU_DEP_1)
	v_clz_i32_u32_e32 v54, v15
	v_min_u32_e32 v54, 32, v54
	s_delay_alu instid0(VALU_DEP_1) | instskip(SKIP_1) | instid1(VALU_DEP_2)
	v_subrev_nc_u32_e32 v55, 28, v54
	v_sub_nc_u32_e32 v54, 29, v54
	v_lshlrev_b64 v[55:56], v55, v[15:16]
	s_delay_alu instid0(VALU_DEP_1)
	v_and_b32_e32 v15, 7, v55
; %bb.225:                              ;   in Loop: Header=BB378_13 Depth=1
	s_or_b32 exec_lo, exec_lo, s52
	v_lshlrev_b32_e32 v53, 16, v53
	s_delay_alu instid0(VALU_DEP_2) | instskip(SKIP_1) | instid1(VALU_DEP_3)
	v_lshlrev_b32_e32 v15, 20, v15
	v_lshl_add_u32 v54, v54, 23, 0x3c000000
	v_and_b32_e32 v53, 0x80000000, v53
	s_delay_alu instid0(VALU_DEP_1)
	v_or3_b32 v15, v15, v53, v54
.LBB378_226:                            ;   in Loop: Header=BB378_13 Depth=1
	s_or_b32 exec_lo, exec_lo, s51
.LBB378_227:                            ;   in Loop: Header=BB378_13 Depth=1
	s_delay_alu instid0(SALU_CYCLE_1)
	s_or_b32 exec_lo, exec_lo, s50
.LBB378_228:                            ;   in Loop: Header=BB378_13 Depth=1
	s_delay_alu instid0(SALU_CYCLE_1) | instskip(NEXT) | instid1(VALU_DEP_1)
	s_or_b32 exec_lo, exec_lo, s49
	v_mul_f32_e32 v15, s48, v15
	s_delay_alu instid0(VALU_DEP_1) | instskip(NEXT) | instid1(VALU_DEP_1)
	v_and_b32_e32 v53, 0x7f800000, v15
	v_cmp_ne_u32_e64 s1, 0x7f800000, v53
                                        ; implicit-def: $vgpr53
	s_delay_alu instid0(VALU_DEP_1) | instskip(NEXT) | instid1(SALU_CYCLE_1)
	s_and_saveexec_b32 s49, s1
	s_xor_b32 s1, exec_lo, s49
; %bb.229:                              ;   in Loop: Header=BB378_13 Depth=1
	v_bfe_u32 v53, v15, 16, 1
	s_delay_alu instid0(VALU_DEP_1)
	v_add3_u32 v53, v15, v53, 0x7fff
                                        ; implicit-def: $vgpr15
; %bb.230:                              ;   in Loop: Header=BB378_13 Depth=1
	s_and_not1_saveexec_b32 s49, s1
; %bb.231:                              ;   in Loop: Header=BB378_13 Depth=1
	v_and_b32_e32 v53, 0xffff, v15
	v_or_b32_e32 v54, 0x10000, v15
	s_delay_alu instid0(VALU_DEP_2) | instskip(NEXT) | instid1(VALU_DEP_1)
	v_cmp_eq_u32_e64 s1, 0, v53
	v_cndmask_b32_e64 v53, v54, v15, s1
; %bb.232:                              ;   in Loop: Header=BB378_13 Depth=1
	s_or_b32 exec_lo, exec_lo, s49
	global_load_u16 v15, v[21:22], off offset:520
	s_mov_b32 s49, exec_lo
	s_waitcnt vmcnt(0)
	v_and_b32_e32 v54, 0xff, v15
	v_and_b32_e32 v55, 0xffff, v15
	v_mov_b32_e32 v15, 0
	s_delay_alu instid0(VALU_DEP_3)
	v_cmpx_ne_u16_e32 0, v54
	s_cbranch_execz .LBB378_240
; %bb.233:                              ;   in Loop: Header=BB378_13 Depth=1
	s_delay_alu instid0(VALU_DEP_3) | instskip(NEXT) | instid1(VALU_DEP_1)
	v_and_b32_e32 v15, 0xff, v55
	v_cmp_ne_u16_e64 s1, 0x80, v15
	v_bfrev_b32_e32 v15, 1
	s_delay_alu instid0(VALU_DEP_2)
	s_and_saveexec_b32 s50, s1
	s_cbranch_execz .LBB378_239
; %bb.234:                              ;   in Loop: Header=BB378_13 Depth=1
	v_and_b32_e32 v56, 0x7f, v55
	v_mov_b32_e32 v15, 0x7f800001
	s_mov_b32 s51, exec_lo
	s_delay_alu instid0(VALU_DEP_2)
	v_cmpx_ne_u32_e32 0x7f, v56
	s_cbranch_execz .LBB378_238
; %bb.235:                              ;   in Loop: Header=BB378_13 Depth=1
	v_and_b32_e32 v15, 7, v55
	v_lshrrev_b32_e32 v54, 3, v56
	s_mov_b32 s52, exec_lo
	v_cmpx_gt_u32_e32 8, v56
; %bb.236:                              ;   in Loop: Header=BB378_13 Depth=1
	s_delay_alu instid0(VALU_DEP_3) | instskip(NEXT) | instid1(VALU_DEP_1)
	v_clz_i32_u32_e32 v54, v15
	v_min_u32_e32 v54, 32, v54
	s_delay_alu instid0(VALU_DEP_1) | instskip(SKIP_1) | instid1(VALU_DEP_2)
	v_subrev_nc_u32_e32 v56, 28, v54
	v_sub_nc_u32_e32 v54, 29, v54
	v_lshlrev_b64 v[56:57], v56, v[15:16]
	s_delay_alu instid0(VALU_DEP_1)
	v_and_b32_e32 v15, 7, v56
; %bb.237:                              ;   in Loop: Header=BB378_13 Depth=1
	s_or_b32 exec_lo, exec_lo, s52
	v_lshlrev_b32_e32 v56, 24, v55
	s_delay_alu instid0(VALU_DEP_2) | instskip(SKIP_1) | instid1(VALU_DEP_3)
	v_lshlrev_b32_e32 v15, 20, v15
	v_lshl_add_u32 v54, v54, 23, 0x3c000000
	v_and_b32_e32 v56, 0x80000000, v56
	s_delay_alu instid0(VALU_DEP_1)
	v_or3_b32 v15, v15, v56, v54
.LBB378_238:                            ;   in Loop: Header=BB378_13 Depth=1
	s_or_b32 exec_lo, exec_lo, s51
.LBB378_239:                            ;   in Loop: Header=BB378_13 Depth=1
	s_delay_alu instid0(SALU_CYCLE_1)
	s_or_b32 exec_lo, exec_lo, s50
.LBB378_240:                            ;   in Loop: Header=BB378_13 Depth=1
	s_delay_alu instid0(SALU_CYCLE_1) | instskip(NEXT) | instid1(VALU_DEP_1)
	s_or_b32 exec_lo, exec_lo, s49
	v_mul_f32_e32 v15, s48, v15
	s_delay_alu instid0(VALU_DEP_1) | instskip(NEXT) | instid1(VALU_DEP_1)
	v_and_b32_e32 v54, 0x7f800000, v15
	v_cmp_ne_u32_e64 s1, 0x7f800000, v54
                                        ; implicit-def: $vgpr54
	s_delay_alu instid0(VALU_DEP_1) | instskip(NEXT) | instid1(SALU_CYCLE_1)
	s_and_saveexec_b32 s49, s1
	s_xor_b32 s1, exec_lo, s49
; %bb.241:                              ;   in Loop: Header=BB378_13 Depth=1
	v_bfe_u32 v54, v15, 16, 1
	s_delay_alu instid0(VALU_DEP_1)
	v_add3_u32 v54, v15, v54, 0x7fff
                                        ; implicit-def: $vgpr15
; %bb.242:                              ;   in Loop: Header=BB378_13 Depth=1
	s_and_not1_saveexec_b32 s49, s1
; %bb.243:                              ;   in Loop: Header=BB378_13 Depth=1
	v_and_b32_e32 v54, 0xffff, v15
	v_or_b32_e32 v56, 0x10000, v15
	s_delay_alu instid0(VALU_DEP_2) | instskip(NEXT) | instid1(VALU_DEP_1)
	v_cmp_eq_u32_e64 s1, 0, v54
	v_cndmask_b32_e64 v54, v56, v15, s1
; %bb.244:                              ;   in Loop: Header=BB378_13 Depth=1
	s_or_b32 exec_lo, exec_lo, s49
	v_lshrrev_b16 v56, 8, v55
	v_mov_b32_e32 v15, 0
	s_mov_b32 s49, exec_lo
	s_delay_alu instid0(VALU_DEP_2)
	v_cmpx_ne_u16_e32 0, v56
	s_cbranch_execz .LBB378_252
; %bb.245:                              ;   in Loop: Header=BB378_13 Depth=1
	v_bfrev_b32_e32 v15, 1
	s_mov_b32 s50, exec_lo
	v_cmpx_ne_u16_e32 0x80, v56
	s_cbranch_execz .LBB378_251
; %bb.246:                              ;   in Loop: Header=BB378_13 Depth=1
	v_and_b32_e32 v56, 0xffff, v56
	v_mov_b32_e32 v15, 0x7f800001
	s_mov_b32 s51, exec_lo
	s_delay_alu instid0(VALU_DEP_2) | instskip(NEXT) | instid1(VALU_DEP_1)
	v_and_b32_e32 v57, 0x7f, v56
	v_cmpx_ne_u32_e32 0x7f, v57
	s_cbranch_execz .LBB378_250
; %bb.247:                              ;   in Loop: Header=BB378_13 Depth=1
	v_and_b32_e32 v15, 7, v56
	v_lshrrev_b32_e32 v56, 3, v57
	s_mov_b32 s52, exec_lo
	v_cmpx_gt_u32_e32 8, v57
; %bb.248:                              ;   in Loop: Header=BB378_13 Depth=1
	s_delay_alu instid0(VALU_DEP_3) | instskip(NEXT) | instid1(VALU_DEP_1)
	v_clz_i32_u32_e32 v56, v15
	v_min_u32_e32 v56, 32, v56
	s_delay_alu instid0(VALU_DEP_1) | instskip(SKIP_1) | instid1(VALU_DEP_2)
	v_subrev_nc_u32_e32 v57, 28, v56
	v_sub_nc_u32_e32 v56, 29, v56
	v_lshlrev_b64 v[57:58], v57, v[15:16]
	s_delay_alu instid0(VALU_DEP_1)
	v_and_b32_e32 v15, 7, v57
; %bb.249:                              ;   in Loop: Header=BB378_13 Depth=1
	s_or_b32 exec_lo, exec_lo, s52
	v_lshlrev_b32_e32 v55, 16, v55
	s_delay_alu instid0(VALU_DEP_2) | instskip(SKIP_1) | instid1(VALU_DEP_3)
	v_lshlrev_b32_e32 v15, 20, v15
	v_lshl_add_u32 v56, v56, 23, 0x3c000000
	v_and_b32_e32 v55, 0x80000000, v55
	s_delay_alu instid0(VALU_DEP_1)
	v_or3_b32 v15, v15, v55, v56
.LBB378_250:                            ;   in Loop: Header=BB378_13 Depth=1
	s_or_b32 exec_lo, exec_lo, s51
.LBB378_251:                            ;   in Loop: Header=BB378_13 Depth=1
	s_delay_alu instid0(SALU_CYCLE_1)
	s_or_b32 exec_lo, exec_lo, s50
.LBB378_252:                            ;   in Loop: Header=BB378_13 Depth=1
	s_delay_alu instid0(SALU_CYCLE_1) | instskip(NEXT) | instid1(VALU_DEP_1)
	s_or_b32 exec_lo, exec_lo, s49
	v_mul_f32_e32 v15, s48, v15
	s_delay_alu instid0(VALU_DEP_1) | instskip(NEXT) | instid1(VALU_DEP_1)
	v_and_b32_e32 v55, 0x7f800000, v15
	v_cmp_ne_u32_e64 s1, 0x7f800000, v55
                                        ; implicit-def: $vgpr55
	s_delay_alu instid0(VALU_DEP_1) | instskip(NEXT) | instid1(SALU_CYCLE_1)
	s_and_saveexec_b32 s49, s1
	s_xor_b32 s1, exec_lo, s49
; %bb.253:                              ;   in Loop: Header=BB378_13 Depth=1
	v_bfe_u32 v55, v15, 16, 1
	s_delay_alu instid0(VALU_DEP_1)
	v_add3_u32 v55, v15, v55, 0x7fff
                                        ; implicit-def: $vgpr15
; %bb.254:                              ;   in Loop: Header=BB378_13 Depth=1
	s_and_not1_saveexec_b32 s49, s1
; %bb.255:                              ;   in Loop: Header=BB378_13 Depth=1
	v_and_b32_e32 v55, 0xffff, v15
	v_or_b32_e32 v56, 0x10000, v15
	s_delay_alu instid0(VALU_DEP_2) | instskip(NEXT) | instid1(VALU_DEP_1)
	v_cmp_eq_u32_e64 s1, 0, v55
	v_cndmask_b32_e64 v55, v56, v15, s1
; %bb.256:                              ;   in Loop: Header=BB378_13 Depth=1
	s_or_b32 exec_lo, exec_lo, s49
	global_load_u16 v15, v[21:22], off offset:640
	s_mov_b32 s49, exec_lo
	s_waitcnt vmcnt(0)
	v_and_b32_e32 v56, 0xff, v15
	v_and_b32_e32 v57, 0xffff, v15
	v_mov_b32_e32 v15, 0
	s_delay_alu instid0(VALU_DEP_3)
	v_cmpx_ne_u16_e32 0, v56
	s_cbranch_execz .LBB378_264
; %bb.257:                              ;   in Loop: Header=BB378_13 Depth=1
	s_delay_alu instid0(VALU_DEP_3) | instskip(NEXT) | instid1(VALU_DEP_1)
	v_and_b32_e32 v15, 0xff, v57
	v_cmp_ne_u16_e64 s1, 0x80, v15
	v_bfrev_b32_e32 v15, 1
	s_delay_alu instid0(VALU_DEP_2)
	s_and_saveexec_b32 s50, s1
	s_cbranch_execz .LBB378_263
; %bb.258:                              ;   in Loop: Header=BB378_13 Depth=1
	v_and_b32_e32 v58, 0x7f, v57
	v_mov_b32_e32 v15, 0x7f800001
	s_mov_b32 s51, exec_lo
	s_delay_alu instid0(VALU_DEP_2)
	v_cmpx_ne_u32_e32 0x7f, v58
	s_cbranch_execz .LBB378_262
; %bb.259:                              ;   in Loop: Header=BB378_13 Depth=1
	v_and_b32_e32 v15, 7, v57
	v_lshrrev_b32_e32 v56, 3, v58
	s_mov_b32 s52, exec_lo
	v_cmpx_gt_u32_e32 8, v58
; %bb.260:                              ;   in Loop: Header=BB378_13 Depth=1
	s_delay_alu instid0(VALU_DEP_3) | instskip(NEXT) | instid1(VALU_DEP_1)
	v_clz_i32_u32_e32 v56, v15
	v_min_u32_e32 v56, 32, v56
	s_delay_alu instid0(VALU_DEP_1) | instskip(SKIP_1) | instid1(VALU_DEP_2)
	v_subrev_nc_u32_e32 v58, 28, v56
	v_sub_nc_u32_e32 v56, 29, v56
	v_lshlrev_b64 v[58:59], v58, v[15:16]
	s_delay_alu instid0(VALU_DEP_1)
	v_and_b32_e32 v15, 7, v58
; %bb.261:                              ;   in Loop: Header=BB378_13 Depth=1
	s_or_b32 exec_lo, exec_lo, s52
	v_lshlrev_b32_e32 v58, 24, v57
	s_delay_alu instid0(VALU_DEP_2) | instskip(SKIP_1) | instid1(VALU_DEP_3)
	v_lshlrev_b32_e32 v15, 20, v15
	v_lshl_add_u32 v56, v56, 23, 0x3c000000
	v_and_b32_e32 v58, 0x80000000, v58
	s_delay_alu instid0(VALU_DEP_1)
	v_or3_b32 v15, v15, v58, v56
.LBB378_262:                            ;   in Loop: Header=BB378_13 Depth=1
	s_or_b32 exec_lo, exec_lo, s51
.LBB378_263:                            ;   in Loop: Header=BB378_13 Depth=1
	s_delay_alu instid0(SALU_CYCLE_1)
	s_or_b32 exec_lo, exec_lo, s50
.LBB378_264:                            ;   in Loop: Header=BB378_13 Depth=1
	s_delay_alu instid0(SALU_CYCLE_1) | instskip(NEXT) | instid1(VALU_DEP_1)
	s_or_b32 exec_lo, exec_lo, s49
	v_mul_f32_e32 v15, s48, v15
	s_delay_alu instid0(VALU_DEP_1) | instskip(NEXT) | instid1(VALU_DEP_1)
	v_and_b32_e32 v56, 0x7f800000, v15
	v_cmp_ne_u32_e64 s1, 0x7f800000, v56
                                        ; implicit-def: $vgpr56
	s_delay_alu instid0(VALU_DEP_1) | instskip(NEXT) | instid1(SALU_CYCLE_1)
	s_and_saveexec_b32 s49, s1
	s_xor_b32 s1, exec_lo, s49
; %bb.265:                              ;   in Loop: Header=BB378_13 Depth=1
	v_bfe_u32 v56, v15, 16, 1
	s_delay_alu instid0(VALU_DEP_1)
	v_add3_u32 v56, v15, v56, 0x7fff
                                        ; implicit-def: $vgpr15
; %bb.266:                              ;   in Loop: Header=BB378_13 Depth=1
	s_and_not1_saveexec_b32 s49, s1
; %bb.267:                              ;   in Loop: Header=BB378_13 Depth=1
	v_and_b32_e32 v56, 0xffff, v15
	v_or_b32_e32 v58, 0x10000, v15
	s_delay_alu instid0(VALU_DEP_2) | instskip(NEXT) | instid1(VALU_DEP_1)
	v_cmp_eq_u32_e64 s1, 0, v56
	v_cndmask_b32_e64 v56, v58, v15, s1
; %bb.268:                              ;   in Loop: Header=BB378_13 Depth=1
	s_or_b32 exec_lo, exec_lo, s49
	v_lshrrev_b16 v58, 8, v57
	v_mov_b32_e32 v15, 0
	s_mov_b32 s49, exec_lo
	s_delay_alu instid0(VALU_DEP_2)
	v_cmpx_ne_u16_e32 0, v58
	s_cbranch_execz .LBB378_276
; %bb.269:                              ;   in Loop: Header=BB378_13 Depth=1
	v_bfrev_b32_e32 v15, 1
	s_mov_b32 s50, exec_lo
	v_cmpx_ne_u16_e32 0x80, v58
	s_cbranch_execz .LBB378_275
; %bb.270:                              ;   in Loop: Header=BB378_13 Depth=1
	v_and_b32_e32 v58, 0xffff, v58
	v_mov_b32_e32 v15, 0x7f800001
	s_mov_b32 s51, exec_lo
	s_delay_alu instid0(VALU_DEP_2) | instskip(NEXT) | instid1(VALU_DEP_1)
	v_and_b32_e32 v59, 0x7f, v58
	v_cmpx_ne_u32_e32 0x7f, v59
	s_cbranch_execz .LBB378_274
; %bb.271:                              ;   in Loop: Header=BB378_13 Depth=1
	v_and_b32_e32 v15, 7, v58
	v_lshrrev_b32_e32 v58, 3, v59
	s_mov_b32 s52, exec_lo
	v_cmpx_gt_u32_e32 8, v59
; %bb.272:                              ;   in Loop: Header=BB378_13 Depth=1
	s_delay_alu instid0(VALU_DEP_3) | instskip(NEXT) | instid1(VALU_DEP_1)
	v_clz_i32_u32_e32 v58, v15
	v_min_u32_e32 v58, 32, v58
	s_delay_alu instid0(VALU_DEP_1) | instskip(SKIP_1) | instid1(VALU_DEP_2)
	v_subrev_nc_u32_e32 v59, 28, v58
	v_sub_nc_u32_e32 v58, 29, v58
	v_lshlrev_b64 v[59:60], v59, v[15:16]
	s_delay_alu instid0(VALU_DEP_1)
	v_and_b32_e32 v15, 7, v59
; %bb.273:                              ;   in Loop: Header=BB378_13 Depth=1
	s_or_b32 exec_lo, exec_lo, s52
	v_lshlrev_b32_e32 v57, 16, v57
	s_delay_alu instid0(VALU_DEP_2) | instskip(SKIP_1) | instid1(VALU_DEP_3)
	v_lshlrev_b32_e32 v15, 20, v15
	v_lshl_add_u32 v58, v58, 23, 0x3c000000
	v_and_b32_e32 v57, 0x80000000, v57
	s_delay_alu instid0(VALU_DEP_1)
	v_or3_b32 v15, v15, v57, v58
.LBB378_274:                            ;   in Loop: Header=BB378_13 Depth=1
	s_or_b32 exec_lo, exec_lo, s51
.LBB378_275:                            ;   in Loop: Header=BB378_13 Depth=1
	s_delay_alu instid0(SALU_CYCLE_1)
	s_or_b32 exec_lo, exec_lo, s50
.LBB378_276:                            ;   in Loop: Header=BB378_13 Depth=1
	s_delay_alu instid0(SALU_CYCLE_1) | instskip(NEXT) | instid1(VALU_DEP_1)
	s_or_b32 exec_lo, exec_lo, s49
	v_mul_f32_e32 v15, s48, v15
	s_delay_alu instid0(VALU_DEP_1) | instskip(NEXT) | instid1(VALU_DEP_1)
	v_and_b32_e32 v57, 0x7f800000, v15
	v_cmp_ne_u32_e64 s1, 0x7f800000, v57
                                        ; implicit-def: $vgpr57
	s_delay_alu instid0(VALU_DEP_1) | instskip(NEXT) | instid1(SALU_CYCLE_1)
	s_and_saveexec_b32 s49, s1
	s_xor_b32 s1, exec_lo, s49
; %bb.277:                              ;   in Loop: Header=BB378_13 Depth=1
	v_bfe_u32 v57, v15, 16, 1
	s_delay_alu instid0(VALU_DEP_1)
	v_add3_u32 v57, v15, v57, 0x7fff
                                        ; implicit-def: $vgpr15
; %bb.278:                              ;   in Loop: Header=BB378_13 Depth=1
	s_and_not1_saveexec_b32 s49, s1
; %bb.279:                              ;   in Loop: Header=BB378_13 Depth=1
	v_and_b32_e32 v57, 0xffff, v15
	v_or_b32_e32 v58, 0x10000, v15
	s_delay_alu instid0(VALU_DEP_2) | instskip(NEXT) | instid1(VALU_DEP_1)
	v_cmp_eq_u32_e64 s1, 0, v57
	v_cndmask_b32_e64 v57, v58, v15, s1
; %bb.280:                              ;   in Loop: Header=BB378_13 Depth=1
	s_or_b32 exec_lo, exec_lo, s49
	global_load_u16 v15, v[21:22], off offset:648
	s_mov_b32 s49, exec_lo
	s_waitcnt vmcnt(0)
	v_and_b32_e32 v22, 0xff, v15
	v_and_b32_e32 v21, 0xffff, v15
	v_mov_b32_e32 v15, 0
	s_delay_alu instid0(VALU_DEP_3)
	v_cmpx_ne_u16_e32 0, v22
	s_cbranch_execz .LBB378_288
; %bb.281:                              ;   in Loop: Header=BB378_13 Depth=1
	s_delay_alu instid0(VALU_DEP_3) | instskip(NEXT) | instid1(VALU_DEP_1)
	v_and_b32_e32 v15, 0xff, v21
	v_cmp_ne_u16_e64 s1, 0x80, v15
	v_bfrev_b32_e32 v15, 1
	s_delay_alu instid0(VALU_DEP_2)
	s_and_saveexec_b32 s50, s1
	s_cbranch_execz .LBB378_287
; %bb.282:                              ;   in Loop: Header=BB378_13 Depth=1
	v_and_b32_e32 v58, 0x7f, v21
	v_mov_b32_e32 v15, 0x7f800001
	s_mov_b32 s51, exec_lo
	s_delay_alu instid0(VALU_DEP_2)
	v_cmpx_ne_u32_e32 0x7f, v58
	s_cbranch_execz .LBB378_286
; %bb.283:                              ;   in Loop: Header=BB378_13 Depth=1
	v_and_b32_e32 v15, 7, v21
	v_lshrrev_b32_e32 v22, 3, v58
	s_mov_b32 s52, exec_lo
	v_cmpx_gt_u32_e32 8, v58
; %bb.284:                              ;   in Loop: Header=BB378_13 Depth=1
	s_delay_alu instid0(VALU_DEP_3) | instskip(NEXT) | instid1(VALU_DEP_1)
	v_clz_i32_u32_e32 v22, v15
	v_min_u32_e32 v22, 32, v22
	s_delay_alu instid0(VALU_DEP_1) | instskip(SKIP_1) | instid1(VALU_DEP_2)
	v_subrev_nc_u32_e32 v58, 28, v22
	v_sub_nc_u32_e32 v22, 29, v22
	v_lshlrev_b64 v[58:59], v58, v[15:16]
	s_delay_alu instid0(VALU_DEP_1)
	v_and_b32_e32 v15, 7, v58
; %bb.285:                              ;   in Loop: Header=BB378_13 Depth=1
	s_or_b32 exec_lo, exec_lo, s52
	v_lshlrev_b32_e32 v58, 24, v21
	s_delay_alu instid0(VALU_DEP_2) | instskip(SKIP_1) | instid1(VALU_DEP_3)
	v_lshlrev_b32_e32 v15, 20, v15
	v_lshl_add_u32 v22, v22, 23, 0x3c000000
	v_and_b32_e32 v58, 0x80000000, v58
	s_delay_alu instid0(VALU_DEP_1)
	v_or3_b32 v15, v15, v58, v22
.LBB378_286:                            ;   in Loop: Header=BB378_13 Depth=1
	s_or_b32 exec_lo, exec_lo, s51
.LBB378_287:                            ;   in Loop: Header=BB378_13 Depth=1
	s_delay_alu instid0(SALU_CYCLE_1)
	s_or_b32 exec_lo, exec_lo, s50
.LBB378_288:                            ;   in Loop: Header=BB378_13 Depth=1
	s_delay_alu instid0(SALU_CYCLE_1) | instskip(NEXT) | instid1(VALU_DEP_1)
	s_or_b32 exec_lo, exec_lo, s49
	v_mul_f32_e32 v15, s48, v15
	s_delay_alu instid0(VALU_DEP_1) | instskip(NEXT) | instid1(VALU_DEP_1)
	v_and_b32_e32 v22, 0x7f800000, v15
	v_cmp_ne_u32_e64 s1, 0x7f800000, v22
                                        ; implicit-def: $vgpr22
	s_delay_alu instid0(VALU_DEP_1) | instskip(NEXT) | instid1(SALU_CYCLE_1)
	s_and_saveexec_b32 s49, s1
	s_xor_b32 s1, exec_lo, s49
; %bb.289:                              ;   in Loop: Header=BB378_13 Depth=1
	v_bfe_u32 v22, v15, 16, 1
	s_delay_alu instid0(VALU_DEP_1)
	v_add3_u32 v22, v15, v22, 0x7fff
                                        ; implicit-def: $vgpr15
; %bb.290:                              ;   in Loop: Header=BB378_13 Depth=1
	s_and_not1_saveexec_b32 s49, s1
; %bb.291:                              ;   in Loop: Header=BB378_13 Depth=1
	v_and_b32_e32 v22, 0xffff, v15
	v_or_b32_e32 v58, 0x10000, v15
	s_delay_alu instid0(VALU_DEP_2) | instskip(NEXT) | instid1(VALU_DEP_1)
	v_cmp_eq_u32_e64 s1, 0, v22
	v_cndmask_b32_e64 v22, v58, v15, s1
; %bb.292:                              ;   in Loop: Header=BB378_13 Depth=1
	s_or_b32 exec_lo, exec_lo, s49
	v_lshrrev_b16 v58, 8, v21
	v_mov_b32_e32 v15, 0
	s_mov_b32 s49, exec_lo
	s_delay_alu instid0(VALU_DEP_2)
	v_cmpx_ne_u16_e32 0, v58
	s_cbranch_execz .LBB378_300
; %bb.293:                              ;   in Loop: Header=BB378_13 Depth=1
	v_bfrev_b32_e32 v15, 1
	s_mov_b32 s50, exec_lo
	v_cmpx_ne_u16_e32 0x80, v58
	s_cbranch_execz .LBB378_299
; %bb.294:                              ;   in Loop: Header=BB378_13 Depth=1
	v_and_b32_e32 v58, 0xffff, v58
	v_mov_b32_e32 v15, 0x7f800001
	s_mov_b32 s51, exec_lo
	s_delay_alu instid0(VALU_DEP_2) | instskip(NEXT) | instid1(VALU_DEP_1)
	v_and_b32_e32 v59, 0x7f, v58
	v_cmpx_ne_u32_e32 0x7f, v59
	s_cbranch_execz .LBB378_298
; %bb.295:                              ;   in Loop: Header=BB378_13 Depth=1
	v_and_b32_e32 v15, 7, v58
	v_lshrrev_b32_e32 v58, 3, v59
	s_mov_b32 s52, exec_lo
	v_cmpx_gt_u32_e32 8, v59
; %bb.296:                              ;   in Loop: Header=BB378_13 Depth=1
	s_delay_alu instid0(VALU_DEP_3) | instskip(NEXT) | instid1(VALU_DEP_1)
	v_clz_i32_u32_e32 v58, v15
	v_min_u32_e32 v58, 32, v58
	s_delay_alu instid0(VALU_DEP_1) | instskip(SKIP_1) | instid1(VALU_DEP_2)
	v_subrev_nc_u32_e32 v59, 28, v58
	v_sub_nc_u32_e32 v58, 29, v58
	v_lshlrev_b64 v[59:60], v59, v[15:16]
	s_delay_alu instid0(VALU_DEP_1)
	v_and_b32_e32 v15, 7, v59
; %bb.297:                              ;   in Loop: Header=BB378_13 Depth=1
	s_or_b32 exec_lo, exec_lo, s52
	v_lshlrev_b32_e32 v21, 16, v21
	s_delay_alu instid0(VALU_DEP_2) | instskip(SKIP_1) | instid1(VALU_DEP_3)
	v_lshlrev_b32_e32 v15, 20, v15
	v_lshl_add_u32 v58, v58, 23, 0x3c000000
	v_and_b32_e32 v21, 0x80000000, v21
	s_delay_alu instid0(VALU_DEP_1)
	v_or3_b32 v15, v15, v21, v58
.LBB378_298:                            ;   in Loop: Header=BB378_13 Depth=1
	s_or_b32 exec_lo, exec_lo, s51
.LBB378_299:                            ;   in Loop: Header=BB378_13 Depth=1
	s_delay_alu instid0(SALU_CYCLE_1)
	s_or_b32 exec_lo, exec_lo, s50
.LBB378_300:                            ;   in Loop: Header=BB378_13 Depth=1
	s_delay_alu instid0(SALU_CYCLE_1) | instskip(NEXT) | instid1(VALU_DEP_1)
	s_or_b32 exec_lo, exec_lo, s49
	v_mul_f32_e32 v21, s48, v15
	s_delay_alu instid0(VALU_DEP_1) | instskip(NEXT) | instid1(VALU_DEP_1)
	v_and_b32_e32 v15, 0x7f800000, v21
	v_cmp_ne_u32_e64 s1, 0x7f800000, v15
                                        ; implicit-def: $vgpr15
	s_delay_alu instid0(VALU_DEP_1) | instskip(NEXT) | instid1(SALU_CYCLE_1)
	s_and_saveexec_b32 s48, s1
	s_xor_b32 s1, exec_lo, s48
; %bb.301:                              ;   in Loop: Header=BB378_13 Depth=1
	v_bfe_u32 v15, v21, 16, 1
	s_delay_alu instid0(VALU_DEP_1)
	v_add3_u32 v15, v21, v15, 0x7fff
                                        ; implicit-def: $vgpr21
; %bb.302:                              ;   in Loop: Header=BB378_13 Depth=1
	s_and_not1_saveexec_b32 s48, s1
; %bb.303:                              ;   in Loop: Header=BB378_13 Depth=1
	v_and_b32_e32 v15, 0xffff, v21
	v_or_b32_e32 v58, 0x10000, v21
	s_delay_alu instid0(VALU_DEP_2) | instskip(NEXT) | instid1(VALU_DEP_1)
	v_cmp_eq_u32_e64 s1, 0, v15
	v_cndmask_b32_e64 v15, v58, v21, s1
; %bb.304:                              ;   in Loop: Header=BB378_13 Depth=1
	s_or_b32 exec_lo, exec_lo, s48
	v_and_b32_e32 v39, 0xffff0000, v39
	v_and_b32_e32 v21, 0xffff0000, v22
	;; [unrolled: 1-line block ×4, first 2 shown]
	v_lshlrev_b32_e32 v57, 16, v10
	v_and_b32_e32 v55, 0xffff0000, v55
	v_and_b32_e32 v10, 0xffff0000, v10
	;; [unrolled: 1-line block ×3, first 2 shown]
	v_lshlrev_b32_e32 v58, 16, v9
	v_dual_mul_f32 v38, v57, v38 :: v_dual_and_b32 v53, 0xffff0000, v53
	v_and_b32_e32 v37, 0xffff0000, v37
	v_dual_mul_f32 v10, v10, v39 :: v_dual_and_b32 v9, 0xffff0000, v9
	v_and_b32_e32 v39, 0xffff0000, v40
	v_lshlrev_b32_e32 v40, 16, v11
	v_dual_fmac_f32 v38, v58, v36 :: v_dual_and_b32 v51, 0xffff0000, v51
	s_delay_alu instid0(VALU_DEP_4)
	v_fmac_f32_e32 v10, v9, v37
	v_and_b32_e32 v49, 0xffff0000, v49
	v_and_b32_e32 v9, 0xffff0000, v42
	v_lshlrev_b32_e32 v36, 16, v12
	v_fmac_f32_e32 v38, v40, v39
	v_and_b32_e32 v43, 0xffff0000, v43
	v_and_b32_e32 v11, 0xffff0000, v11
	v_lshlrev_b32_e32 v37, 16, v5
	v_and_b32_e32 v12, 0xffff0000, v12
	v_fmac_f32_e32 v38, v36, v9
	v_and_b32_e32 v41, 0xffff0000, v41
	v_and_b32_e32 v47, 0xffff0000, v47
	;; [unrolled: 1-line block ×4, first 2 shown]
	s_delay_alu instid0(VALU_DEP_4) | instskip(NEXT) | instid1(VALU_DEP_1)
	v_fmac_f32_e32 v10, v11, v41
	v_dual_fmac_f32 v10, v12, v43 :: v_dual_and_b32 v45, 0xffff0000, v45
	v_lshlrev_b32_e32 v12, 16, v6
	v_and_b32_e32 v6, 0xffff0000, v6
	s_delay_alu instid0(VALU_DEP_3) | instskip(NEXT) | instid1(VALU_DEP_1)
	v_fmac_f32_e32 v10, v5, v45
	v_fmac_f32_e32 v10, v6, v47
	v_and_b32_e32 v6, 0xffff0000, v50
	v_and_b32_e32 v11, 0xffff0000, v44
	s_delay_alu instid0(VALU_DEP_1) | instskip(SKIP_2) | instid1(VALU_DEP_1)
	v_fmac_f32_e32 v38, v37, v11
	v_lshlrev_b32_e32 v11, 16, v7
	v_and_b32_e32 v7, 0xffff0000, v7
	v_fmac_f32_e32 v10, v7, v49
	v_lshlrev_b32_e32 v7, 16, v1
	v_and_b32_e32 v1, 0xffff0000, v1
	v_and_b32_e32 v9, 0xffff0000, v46
	s_delay_alu instid0(VALU_DEP_1) | instskip(SKIP_1) | instid1(VALU_DEP_1)
	v_dual_fmac_f32 v38, v12, v9 :: v_dual_lshlrev_b32 v9, 16, v8
	v_and_b32_e32 v8, 0xffff0000, v8
	v_fmac_f32_e32 v10, v8, v51
	v_lshlrev_b32_e32 v8, 16, v2
	v_and_b32_e32 v2, 0xffff0000, v2
	s_delay_alu instid0(VALU_DEP_3) | instskip(SKIP_1) | instid1(VALU_DEP_2)
	v_dual_fmac_f32 v10, v1, v53 :: v_dual_lshlrev_b32 v1, 16, v3
	v_and_b32_e32 v3, 0xffff0000, v3
	v_dual_fmac_f32 v10, v2, v55 :: v_dual_and_b32 v5, 0xffff0000, v48
	v_xor_b32_e32 v2, 2, v25
	s_delay_alu instid0(VALU_DEP_2) | instskip(NEXT) | instid1(VALU_DEP_3)
	v_fmac_f32_e32 v10, v3, v22
	v_dual_fmac_f32 v38, v11, v5 :: v_dual_and_b32 v5, 0xffff0000, v52
	s_delay_alu instid0(VALU_DEP_3) | instskip(SKIP_1) | instid1(VALU_DEP_3)
	v_cmp_gt_i32_e64 s1, 32, v2
	v_xor_b32_e32 v3, 1, v25
	v_fmac_f32_e32 v38, v9, v6
	v_and_b32_e32 v6, 0xffff0000, v54
	s_delay_alu instid0(VALU_DEP_2) | instskip(SKIP_1) | instid1(VALU_DEP_2)
	v_dual_fmac_f32 v38, v7, v5 :: v_dual_lshlrev_b32 v5, 16, v4
	v_and_b32_e32 v4, 0xffff0000, v4
	v_fmac_f32_e32 v38, v8, v6
	v_and_b32_e32 v6, 0xffff0000, v15
	s_delay_alu instid0(VALU_DEP_2) | instskip(SKIP_1) | instid1(VALU_DEP_3)
	v_fmac_f32_e32 v38, v1, v56
	v_cndmask_b32_e64 v1, v25, v2, s1
	v_fmac_f32_e32 v10, v4, v6
	v_cmp_gt_i32_e64 s1, 32, v3
	s_delay_alu instid0(VALU_DEP_4) | instskip(NEXT) | instid1(VALU_DEP_4)
	v_fmac_f32_e32 v38, v5, v21
	v_lshlrev_b32_e32 v1, 2, v1
	s_delay_alu instid0(VALU_DEP_3) | instskip(NEXT) | instid1(VALU_DEP_1)
	v_cndmask_b32_e64 v3, v25, v3, s1
	v_dual_add_f32 v2, v38, v10 :: v_dual_lshlrev_b32 v3, 2, v3
	ds_bpermute_b32 v1, v1, v2
	s_waitcnt lgkmcnt(0)
	v_add_f32_e32 v1, v2, v1
	ds_bpermute_b32 v2, v3, v1
	s_and_saveexec_b32 s48, vcc_lo
	s_cbranch_execz .LBB378_11
; %bb.305:                              ;   in Loop: Header=BB378_13 Depth=1
	s_waitcnt lgkmcnt(0)
	v_add_f32_e32 v1, v1, v2
	v_add_nc_u32_e32 v3, v32, v30
	s_delay_alu instid0(VALU_DEP_1) | instskip(NEXT) | instid1(VALU_DEP_1)
	v_cvt_f32_i32_e32 v3, v3
	v_mul_f32_e32 v3, s42, v3
	s_delay_alu instid0(VALU_DEP_1) | instskip(NEXT) | instid1(VALU_DEP_1)
	v_cndmask_b32_e64 v2, 0, v3, s0
	v_dual_max_f32 v3, v26, v26 :: v_dual_fmac_f32 v2, s39, v1
	v_add_nc_u32_e32 v1, v27, v30
	s_delay_alu instid0(VALU_DEP_2) | instskip(NEXT) | instid1(VALU_DEP_2)
	v_max_f32_e32 v3, v3, v2
	v_cmp_gt_i32_e64 s1, s15, v1
	s_delay_alu instid0(VALU_DEP_1) | instskip(NEXT) | instid1(VALU_DEP_3)
	v_cndmask_b32_e64 v1, 0, v2, s1
	v_cndmask_b32_e64 v26, v26, v3, s1
	ds_store_b32 v33, v1
	s_branch .LBB378_11
.LBB378_306:
	s_or_b32 exec_lo, exec_lo, s46
.LBB378_307:
	s_delay_alu instid0(SALU_CYCLE_1) | instskip(SKIP_3) | instid1(VALU_DEP_3)
	s_or_b32 exec_lo, exec_lo, s10
	v_xor_b32_e32 v1, 16, v25
	v_xor_b32_e32 v3, 8, v25
	v_dual_max_f32 v5, v26, v26 :: v_dual_and_b32 v12, 31, v0
	v_cmp_gt_i32_e32 vcc_lo, 32, v1
	v_cndmask_b32_e32 v1, v25, v1, vcc_lo
	s_delay_alu instid0(VALU_DEP_4) | instskip(SKIP_1) | instid1(VALU_DEP_1)
	v_cmp_gt_i32_e32 vcc_lo, 32, v3
	v_cndmask_b32_e32 v3, v25, v3, vcc_lo
	v_lshlrev_b32_e32 v4, 2, v3
	s_waitcnt lgkmcnt(0)
	v_lshlrev_b32_e32 v2, 2, v1
	ds_bpermute_b32 v1, v2, v26
	s_waitcnt lgkmcnt(0)
	v_max_f32_e32 v1, v1, v1
	s_delay_alu instid0(VALU_DEP_1)
	v_max_f32_e32 v1, v5, v1
	v_xor_b32_e32 v5, 4, v25
	ds_bpermute_b32 v3, v4, v1
	v_cmp_gt_i32_e32 vcc_lo, 32, v5
	v_cndmask_b32_e32 v5, v25, v5, vcc_lo
	v_cmp_eq_u32_e32 vcc_lo, 0, v12
	s_delay_alu instid0(VALU_DEP_2) | instskip(SKIP_3) | instid1(VALU_DEP_1)
	v_lshlrev_b32_e32 v6, 2, v5
	v_lshlrev_b32_e32 v5, 2, v23
	s_waitcnt lgkmcnt(0)
	v_max_f32_e32 v3, v3, v3
	v_max_f32_e32 v1, v1, v3
	ds_bpermute_b32 v3, v6, v1
	s_and_saveexec_b32 s0, vcc_lo
	s_cbranch_execz .LBB378_309
; %bb.308:
	s_waitcnt lgkmcnt(0)
	v_max_f32_e32 v3, v3, v3
	v_max_f32_e32 v1, v1, v1
	s_delay_alu instid0(VALU_DEP_1)
	v_max_f32_e32 v1, v1, v3
	ds_store_b32 v5, v1 offset:192
.LBB378_309:
	s_or_b32 exec_lo, exec_lo, s0
	v_cmp_gt_u32_e64 s0, 4, v12
	v_dual_mov_b32 v1, 0xff7fffff :: v_dual_lshlrev_b32 v18, 2, v12
	s_waitcnt lgkmcnt(0)
	s_barrier
	buffer_gl0_inv
	s_and_saveexec_b32 s1, s0
	s_cbranch_execz .LBB378_311
; %bb.310:
	ds_load_b32 v1, v18 offset:192
.LBB378_311:
	s_or_b32 exec_lo, exec_lo, s1
	v_xor_b32_e32 v3, 2, v25
	v_xor_b32_e32 v8, 1, v25
	v_mov_b32_e32 v9, 0
	s_delay_alu instid0(VALU_DEP_3) | instskip(NEXT) | instid1(VALU_DEP_1)
	v_cmp_gt_i32_e64 s1, 32, v3
	v_cndmask_b32_e64 v3, v25, v3, s1
	s_delay_alu instid0(VALU_DEP_4) | instskip(NEXT) | instid1(VALU_DEP_2)
	v_cmp_gt_i32_e64 s1, 32, v8
	v_lshlrev_b32_e32 v7, 2, v3
	s_delay_alu instid0(VALU_DEP_2) | instskip(SKIP_1) | instid1(SALU_CYCLE_1)
	v_cndmask_b32_e64 v8, v25, v8, s1
	s_sub_i32 s1, s16, s43
	s_lshl_b32 s1, s1, 3
	s_waitcnt lgkmcnt(0)
	ds_bpermute_b32 v3, v7, v1
	v_dual_max_f32 v1, v1, v1 :: v_dual_lshlrev_b32 v8, 2, v8
	s_add_i32 s1, s1, s33
	s_delay_alu instid0(SALU_CYCLE_1) | instskip(NEXT) | instid1(SALU_CYCLE_1)
	s_min_i32 s1, s1, s15
	s_sub_i32 s4, s1, s33
	s_delay_alu instid0(SALU_CYCLE_1) | instskip(SKIP_2) | instid1(VALU_DEP_1)
	v_cmp_gt_i32_e64 s1, s4, v0
	s_waitcnt lgkmcnt(0)
	v_max_f32_e32 v3, v3, v3
	v_max_f32_e32 v1, v1, v3
	ds_bpermute_b32 v3, v8, v1
	s_waitcnt lgkmcnt(0)
	v_max_f32_e32 v3, v3, v3
	s_delay_alu instid0(VALU_DEP_1)
	v_max_f32_e32 v1, v1, v3
	v_lshl_add_u32 v3, v0, 2, 0xe0
	ds_bpermute_b32 v1, v9, v1
	s_and_saveexec_b32 s5, s1
	s_cbranch_execz .LBB378_315
; %bb.312:
	v_lshl_add_u32 v10, v0, 2, 0xe0
	v_mov_b32_e32 v9, 0
	v_mov_b32_e32 v11, v0
	s_mov_b32 s10, 0
	.p2align	6
.LBB378_313:                            ; =>This Inner Loop Header: Depth=1
	ds_load_b32 v15, v10
	v_add_nc_u32_e32 v11, 0x80, v11
	s_delay_alu instid0(VALU_DEP_1) | instskip(NEXT) | instid1(VALU_DEP_1)
	v_cmp_le_i32_e64 s3, s4, v11
	s_or_b32 s10, s3, s10
	s_waitcnt lgkmcnt(0)
	v_sub_f32_e32 v15, v15, v1
	s_delay_alu instid0(VALU_DEP_1) | instskip(NEXT) | instid1(VALU_DEP_1)
	v_mul_f32_e32 v15, 0x3fb8aa3b, v15
	v_exp_f32_e32 v15, v15
	ds_store_b32 v10, v15
	v_dual_add_f32 v9, v9, v15 :: v_dual_add_nc_u32 v10, 0x200, v10
	s_and_not1_b32 exec_lo, exec_lo, s10
	s_cbranch_execnz .LBB378_313
; %bb.314:
	s_or_b32 exec_lo, exec_lo, s10
.LBB378_315:
	s_delay_alu instid0(SALU_CYCLE_1)
	s_or_b32 exec_lo, exec_lo, s5
	ds_bpermute_b32 v2, v2, v9
	s_waitcnt lgkmcnt(0)
	v_add_f32_e32 v2, v9, v2
	ds_bpermute_b32 v4, v4, v2
	s_waitcnt lgkmcnt(0)
	v_add_f32_e32 v2, v2, v4
	;; [unrolled: 3-line block ×5, first 2 shown]
	s_and_saveexec_b32 s3, vcc_lo
	s_cbranch_execz .LBB378_317
; %bb.316:
	ds_store_b32 v5, v2 offset:208
.LBB378_317:
	s_or_b32 exec_lo, exec_lo, s3
	s_waitcnt lgkmcnt(0)
	s_barrier
	buffer_gl0_inv
	s_and_saveexec_b32 s3, s0
	s_cbranch_execz .LBB378_319
; %bb.318:
	ds_load_b32 v2, v18 offset:208
.LBB378_319:
	s_or_b32 exec_lo, exec_lo, s3
	s_waitcnt lgkmcnt(0)
	ds_bpermute_b32 v4, v7, v2
	s_waitcnt lgkmcnt(0)
	v_add_f32_e32 v2, v2, v4
	ds_bpermute_b32 v4, v8, v2
	s_waitcnt lgkmcnt(0)
	v_add_f32_e32 v2, v2, v4
	v_mov_b32_e32 v4, 0
	ds_bpermute_b32 v2, v4, v2
	s_and_saveexec_b32 s0, s1
	s_cbranch_execz .LBB378_322
; %bb.320:
	s_waitcnt lgkmcnt(0)
	v_add_f32_e32 v4, 0x358637bd, v2
	s_mov_b32 s1, 0
	s_delay_alu instid0(VALU_DEP_1) | instskip(SKIP_1) | instid1(VALU_DEP_2)
	v_div_scale_f32 v5, null, v4, v4, 1.0
	v_div_scale_f32 v8, vcc_lo, 1.0, v4, 1.0
	v_rcp_f32_e32 v6, v5
	s_waitcnt_depctr 0xfff
	v_fma_f32 v7, -v5, v6, 1.0
	s_delay_alu instid0(VALU_DEP_1) | instskip(NEXT) | instid1(VALU_DEP_1)
	v_fmac_f32_e32 v6, v7, v6
	v_mul_f32_e32 v7, v8, v6
	s_delay_alu instid0(VALU_DEP_1) | instskip(NEXT) | instid1(VALU_DEP_1)
	v_fma_f32 v9, -v5, v7, v8
	v_fmac_f32_e32 v7, v9, v6
	s_delay_alu instid0(VALU_DEP_1) | instskip(NEXT) | instid1(VALU_DEP_1)
	v_fma_f32 v5, -v5, v7, v8
	v_div_fmas_f32 v5, v5, v6, v7
	s_delay_alu instid0(VALU_DEP_1)
	v_div_fixup_f32 v4, v5, v4, 1.0
	v_mov_b32_e32 v5, v0
.LBB378_321:                            ; =>This Inner Loop Header: Depth=1
	ds_load_b32 v6, v3
	s_waitcnt lgkmcnt(0)
	v_dual_mul_f32 v6, v4, v6 :: v_dual_add_nc_u32 v5, 0x80, v5
	s_delay_alu instid0(VALU_DEP_1) | instskip(SKIP_3) | instid1(SALU_CYCLE_1)
	v_cmp_le_i32_e32 vcc_lo, s4, v5
	ds_store_b32 v3, v6
	v_add_nc_u32_e32 v3, 0x200, v3
	s_or_b32 s1, vcc_lo, s1
	s_and_not1_b32 exec_lo, exec_lo, s1
	s_cbranch_execnz .LBB378_321
.LBB378_322:
	s_or_b32 exec_lo, exec_lo, s0
	s_mul_i32 s0, s8, s14
	s_waitcnt lgkmcnt(0)
	s_mul_i32 s4, s0, s13
	s_mov_b32 s0, exec_lo
	s_barrier
	buffer_gl0_inv
	v_cmpx_eq_u32_e32 0, v0
	s_cbranch_execz .LBB378_324
; %bb.323:
	s_ashr_i32 s5, s4, 31
	s_mul_i32 s44, s8, s28
	s_lshl_b64 s[42:43], s[4:5], 2
	v_mov_b32_e32 v3, 0
	s_add_u32 s1, s22, s42
	s_addc_u32 s3, s23, s43
	s_ashr_i32 s45, s44, 31
	s_delay_alu instid0(SALU_CYCLE_1) | instskip(NEXT) | instid1(SALU_CYCLE_1)
	s_lshl_b64 s[22:23], s[44:45], 2
	s_add_u32 s1, s1, s22
	s_addc_u32 s3, s3, s23
	s_ashr_i32 s13, s12, 31
	s_delay_alu instid0(SALU_CYCLE_1) | instskip(NEXT) | instid1(SALU_CYCLE_1)
	s_lshl_b64 s[44:45], s[12:13], 2
	s_add_u32 s46, s1, s44
	s_addc_u32 s47, s3, s45
	s_add_u32 s1, s20, s42
	s_addc_u32 s3, s21, s43
	;; [unrolled: 2-line block ×4, first 2 shown]
	s_clause 0x1
	global_store_b32 v3, v1, s[46:47]
	global_store_b32 v3, v2, s[20:21]
.LBB378_324:
	s_or_b32 exec_lo, exec_lo, s0
	v_dual_mov_b32 v9, 0 :: v_dual_mov_b32 v20, 0
	v_mov_b32_e32 v19, 0
	s_mov_b32 s5, 0
	s_and_saveexec_b32 s1, s2
	s_cbranch_execz .LBB378_740
; %bb.325:
	s_sub_i32 s10, s41, s17
	s_ashr_i32 s0, s40, 31
	s_add_u32 s17, s36, s40
	s_addc_u32 s0, s37, s0
	s_abs_i32 s13, s18
	v_lshlrev_b32_e32 v3, 3, v12
	v_cvt_f32_u32_e32 v1, s13
	s_sub_i32 s14, 0, s13
	s_lshl_b64 s[20:21], s[34:35], 2
	v_lshl_add_u32 v21, v23, 5, 0xe0
	s_mov_b32 s2, -1
	v_rcp_iflag_f32_e32 v1, v1
	s_mov_b32 s3, 0xffffff
	v_mov_b32_e32 v20, 0
	s_delay_alu instid0(VALU_DEP_1) | instskip(SKIP_3) | instid1(VALU_DEP_1)
	v_mov_b32_e32 v19, v20
	v_mov_b32_e32 v9, v20
	s_waitcnt_depctr 0xfff
	v_mul_f32_e32 v1, 0x4f7ffffe, v1
	v_cvt_u32_f32_e32 v4, v1
	v_lshlrev_b64 v[1:2], 2, v[13:14]
	v_add_co_u32 v14, s17, s17, v3
	s_delay_alu instid0(VALU_DEP_1) | instskip(NEXT) | instid1(VALU_DEP_4)
	v_add_co_ci_u32_e64 v15, null, s0, 0, s17
	v_mul_lo_u32 v5, s14, v4
	s_add_i32 s14, s38, -1
	s_add_u32 s0, s30, s20
	s_addc_u32 s17, s31, s21
	v_add_co_u32 v16, vcc_lo, s0, v1
	v_add_co_ci_u32_e32 v17, vcc_lo, s17, v2, vcc_lo
	s_delay_alu instid0(VALU_DEP_3) | instskip(NEXT) | instid1(VALU_DEP_1)
	v_mul_hi_u32 v3, v4, v5
	v_dual_mov_b32 v11, 0 :: v_dual_add_nc_u32 v22, v4, v3
	s_branch .LBB378_328
.LBB378_326:                            ;   in Loop: Header=BB378_328 Depth=1
	s_or_b32 exec_lo, exec_lo, s0
	v_and_b32_e32 v3, 0xffff0000, v3
	v_and_b32_e32 v1, 0xffff0000, v1
	;; [unrolled: 1-line block ×7, first 2 shown]
	v_dual_add_f32 v1, v1, v3 :: v_dual_and_b32 v10, 0xffff0000, v10
	v_and_b32_e32 v8, 0xffff0000, v8
	s_delay_alu instid0(VALU_DEP_4) | instskip(SKIP_1) | instid1(VALU_DEP_4)
	v_dual_add_f32 v2, v4, v2 :: v_dual_and_b32 v29, 0xffff0000, v29
	v_and_b32_e32 v27, 0xffff0000, v27
	v_dual_add_f32 v3, v10, v31 :: v_dual_and_b32 v26, 0xffff0000, v26
	s_delay_alu instid0(VALU_DEP_4) | instskip(SKIP_4) | instid1(VALU_DEP_4)
	v_dual_add_f32 v7, v7, v8 :: v_dual_and_b32 v30, 0xffff0000, v30
	v_and_b32_e32 v25, 0xffff0000, v25
	v_and_b32_e32 v37, 0xffff0000, v48
	;; [unrolled: 1-line block ×3, first 2 shown]
	v_dual_add_f32 v1, v1, v3 :: v_dual_and_b32 v36, 0xffff0000, v49
	v_add_f32_e32 v8, v25, v26
	v_and_b32_e32 v6, 0xffff0000, v6
	v_and_b32_e32 v25, 0xffff0000, v33
	v_and_b32_e32 v10, 0xffff0000, v32
	s_delay_alu instid0(VALU_DEP_4) | instskip(SKIP_1) | instid1(VALU_DEP_3)
	v_add_f32_e32 v7, v7, v8
	v_dual_add_f32 v8, v27, v28 :: v_dual_and_b32 v5, 0xffff0000, v5
	v_dual_add_f32 v3, v10, v25 :: v_dual_and_b32 v34, 0xffff0000, v47
	s_delay_alu instid0(VALU_DEP_2) | instskip(NEXT) | instid1(VALU_DEP_3)
	v_add_f32_e32 v7, v7, v8
	v_add_f32_e32 v5, v5, v6
	s_delay_alu instid0(VALU_DEP_3) | instskip(SKIP_2) | instid1(VALU_DEP_3)
	v_add_f32_e32 v6, v35, v34
	v_add_f32_e32 v8, v29, v30
	;; [unrolled: 1-line block ×4, first 2 shown]
	v_dual_add_f32 v35, v37, v36 :: v_dual_and_b32 v34, 0xffff0000, v50
	v_and_b32_e32 v6, 0xffff0000, v51
	s_delay_alu instid0(VALU_DEP_4) | instskip(NEXT) | instid1(VALU_DEP_2)
	v_dual_add_f32 v4, v7, v8 :: v_dual_add_f32 v1, v1, v2
	v_dual_add_f32 v5, v5, v35 :: v_dual_add_f32 v6, v34, v6
	s_delay_alu instid0(VALU_DEP_2) | instskip(NEXT) | instid1(VALU_DEP_2)
	v_dual_add_f32 v20, v20, v4 :: v_dual_add_f32 v9, v9, v1
	v_add_f32_e32 v3, v5, v6
	s_delay_alu instid0(VALU_DEP_1)
	v_add_f32_e32 v19, v19, v3
.LBB378_327:                            ;   in Loop: Header=BB378_328 Depth=1
	s_or_b32 exec_lo, exec_lo, s17
	v_add_nc_u32_e32 v13, 4, v13
	v_add_co_u32 v16, s0, v16, 16
	s_delay_alu instid0(VALU_DEP_1) | instskip(NEXT) | instid1(VALU_DEP_3)
	v_add_co_ci_u32_e64 v17, s0, 0, v17, s0
	v_cmp_le_i32_e32 vcc_lo, s16, v13
	v_add_nc_u32_e32 v24, 32, v24
	v_add_nc_u32_e32 v21, 0x80, v21
	s_or_b32 s5, vcc_lo, s5
	s_delay_alu instid0(SALU_CYCLE_1)
	s_and_not1_b32 exec_lo, exec_lo, s5
	s_cbranch_execz .LBB378_739
.LBB378_328:                            ; =>This Inner Loop Header: Depth=1
	v_sub_nc_u32_e32 v1, 0, v24
	s_delay_alu instid0(VALU_DEP_1) | instskip(NEXT) | instid1(VALU_DEP_1)
	v_max_i32_e32 v1, v24, v1
	v_mul_hi_u32 v2, v1, s25
	s_delay_alu instid0(VALU_DEP_1) | instskip(NEXT) | instid1(VALU_DEP_1)
	v_mul_lo_u32 v3, v2, s11
	v_sub_nc_u32_e32 v1, v1, v3
	v_add_nc_u32_e32 v3, 1, v2
	s_delay_alu instid0(VALU_DEP_2) | instskip(SKIP_1) | instid1(VALU_DEP_2)
	v_subrev_nc_u32_e32 v4, s11, v1
	v_cmp_le_u32_e32 vcc_lo, s11, v1
	v_dual_cndmask_b32 v2, v2, v3 :: v_dual_cndmask_b32 v1, v1, v4
	v_ashrrev_i32_e32 v3, 31, v24
	s_delay_alu instid0(VALU_DEP_2) | instskip(NEXT) | instid1(VALU_DEP_3)
	v_add_nc_u32_e32 v4, 1, v2
	v_cmp_le_u32_e32 vcc_lo, s11, v1
	s_delay_alu instid0(VALU_DEP_3) | instskip(NEXT) | instid1(VALU_DEP_3)
	v_xor_b32_e32 v3, s19, v3
	v_cndmask_b32_e32 v1, v2, v4, vcc_lo
	s_delay_alu instid0(VALU_DEP_1) | instskip(NEXT) | instid1(VALU_DEP_1)
	v_xor_b32_e32 v1, v1, v3
	v_sub_nc_u32_e32 v1, v1, v3
	s_delay_alu instid0(VALU_DEP_1) | instskip(SKIP_1) | instid1(VALU_DEP_2)
	v_add_nc_u32_e32 v2, s29, v1
	v_cmp_lt_i32_e64 s0, s10, v1
	v_sub_nc_u32_e32 v3, 0, v2
	s_delay_alu instid0(VALU_DEP_1) | instskip(NEXT) | instid1(VALU_DEP_1)
	v_max_i32_e32 v3, v2, v3
	v_mul_hi_u32 v4, v3, v22
	s_delay_alu instid0(VALU_DEP_1) | instskip(NEXT) | instid1(VALU_DEP_1)
	v_mul_lo_u32 v4, v4, s13
	v_sub_nc_u32_e32 v3, v3, v4
	s_delay_alu instid0(VALU_DEP_1) | instskip(SKIP_1) | instid1(VALU_DEP_2)
	v_subrev_nc_u32_e32 v4, s13, v3
	v_cmp_le_u32_e32 vcc_lo, s13, v3
	v_cndmask_b32_e32 v3, v3, v4, vcc_lo
	v_ashrrev_i32_e32 v2, 31, v2
	s_delay_alu instid0(VALU_DEP_2) | instskip(SKIP_1) | instid1(VALU_DEP_2)
	v_subrev_nc_u32_e32 v4, s13, v3
	v_cmp_le_u32_e32 vcc_lo, s13, v3
	v_cndmask_b32_e32 v3, v3, v4, vcc_lo
	s_delay_alu instid0(VALU_DEP_1) | instskip(NEXT) | instid1(VALU_DEP_1)
	v_xor_b32_e32 v3, v3, v2
	v_sub_nc_u32_e32 v2, v3, v2
	s_delay_alu instid0(VALU_DEP_1) | instskip(SKIP_1) | instid1(SALU_CYCLE_1)
	v_cmp_eq_u32_e32 vcc_lo, 0, v2
	s_or_b32 s0, vcc_lo, s0
	s_and_saveexec_b32 s17, s0
	s_cbranch_execz .LBB378_327
; %bb.329:                              ;   in Loop: Header=BB378_328 Depth=1
	global_load_b32 v10, v[16:17], off
	ds_load_2addr_b64 v[5:8], v21 offset1:1
	ds_load_2addr_b64 v[1:4], v21 offset0:2 offset1:3
	s_mov_b32 s0, exec_lo
                                        ; implicit-def: $vgpr38
	s_waitcnt lgkmcnt(1)
	v_and_b32_e32 v25, 0x7f800000, v5
	s_delay_alu instid0(VALU_DEP_1)
	v_cmpx_ne_u32_e32 0x7f800000, v25
	s_xor_b32 s0, exec_lo, s0
; %bb.330:                              ;   in Loop: Header=BB378_328 Depth=1
	v_bfe_u32 v25, v5, 16, 1
	s_delay_alu instid0(VALU_DEP_1)
	v_add3_u32 v38, v5, v25, 0x7fff
; %bb.331:                              ;   in Loop: Header=BB378_328 Depth=1
	s_and_not1_saveexec_b32 s0, s0
; %bb.332:                              ;   in Loop: Header=BB378_328 Depth=1
	v_and_b32_e32 v25, 0xffff, v5
	v_or_b32_e32 v26, 0x10000, v5
	s_delay_alu instid0(VALU_DEP_2) | instskip(NEXT) | instid1(VALU_DEP_2)
	v_cmp_eq_u32_e32 vcc_lo, 0, v25
	v_cndmask_b32_e32 v38, v26, v5, vcc_lo
; %bb.333:                              ;   in Loop: Header=BB378_328 Depth=1
	s_or_b32 exec_lo, exec_lo, s0
	v_and_b32_e32 v5, 0x7f800000, v6
	s_mov_b32 s0, exec_lo
                                        ; implicit-def: $vgpr39
	s_delay_alu instid0(VALU_DEP_1)
	v_cmpx_ne_u32_e32 0x7f800000, v5
	s_xor_b32 s0, exec_lo, s0
; %bb.334:                              ;   in Loop: Header=BB378_328 Depth=1
	v_bfe_u32 v5, v6, 16, 1
	s_delay_alu instid0(VALU_DEP_1)
	v_add3_u32 v39, v6, v5, 0x7fff
; %bb.335:                              ;   in Loop: Header=BB378_328 Depth=1
	s_and_not1_saveexec_b32 s0, s0
; %bb.336:                              ;   in Loop: Header=BB378_328 Depth=1
	v_and_b32_e32 v5, 0xffff, v6
	v_or_b32_e32 v25, 0x10000, v6
	s_delay_alu instid0(VALU_DEP_2) | instskip(NEXT) | instid1(VALU_DEP_2)
	v_cmp_eq_u32_e32 vcc_lo, 0, v5
	v_cndmask_b32_e32 v39, v25, v6, vcc_lo
; %bb.337:                              ;   in Loop: Header=BB378_328 Depth=1
	s_or_b32 exec_lo, exec_lo, s0
	v_and_b32_e32 v5, 0x7f800000, v7
	s_mov_b32 s0, exec_lo
                                        ; implicit-def: $vgpr25
	s_delay_alu instid0(VALU_DEP_1)
	v_cmpx_ne_u32_e32 0x7f800000, v5
	s_xor_b32 s0, exec_lo, s0
; %bb.338:                              ;   in Loop: Header=BB378_328 Depth=1
	v_bfe_u32 v5, v7, 16, 1
	s_delay_alu instid0(VALU_DEP_1)
	v_add3_u32 v25, v7, v5, 0x7fff
; %bb.339:                              ;   in Loop: Header=BB378_328 Depth=1
	s_and_not1_saveexec_b32 s0, s0
; %bb.340:                              ;   in Loop: Header=BB378_328 Depth=1
	v_and_b32_e32 v5, 0xffff, v7
	v_or_b32_e32 v6, 0x10000, v7
	s_delay_alu instid0(VALU_DEP_2) | instskip(NEXT) | instid1(VALU_DEP_2)
	v_cmp_eq_u32_e32 vcc_lo, 0, v5
	v_cndmask_b32_e32 v25, v6, v7, vcc_lo
; %bb.341:                              ;   in Loop: Header=BB378_328 Depth=1
	s_or_b32 exec_lo, exec_lo, s0
	v_and_b32_e32 v5, 0x7f800000, v8
	s_mov_b32 s0, exec_lo
                                        ; implicit-def: $vgpr26
	s_delay_alu instid0(VALU_DEP_1)
	v_cmpx_ne_u32_e32 0x7f800000, v5
	s_xor_b32 s0, exec_lo, s0
; %bb.342:                              ;   in Loop: Header=BB378_328 Depth=1
	v_bfe_u32 v5, v8, 16, 1
	s_delay_alu instid0(VALU_DEP_1)
	v_add3_u32 v26, v8, v5, 0x7fff
                                        ; implicit-def: $vgpr5_vgpr6_vgpr7_vgpr8
; %bb.343:                              ;   in Loop: Header=BB378_328 Depth=1
	s_and_not1_saveexec_b32 s0, s0
; %bb.344:                              ;   in Loop: Header=BB378_328 Depth=1
	v_and_b32_e32 v5, 0xffff, v8
	v_or_b32_e32 v6, 0x10000, v8
	s_delay_alu instid0(VALU_DEP_2) | instskip(NEXT) | instid1(VALU_DEP_2)
	v_cmp_eq_u32_e32 vcc_lo, 0, v5
	v_cndmask_b32_e32 v26, v6, v8, vcc_lo
; %bb.345:                              ;   in Loop: Header=BB378_328 Depth=1
	s_or_b32 exec_lo, exec_lo, s0
	s_waitcnt lgkmcnt(0)
	v_and_b32_e32 v5, 0x7f800000, v1
	s_mov_b32 s0, exec_lo
                                        ; implicit-def: $vgpr27
	s_delay_alu instid0(VALU_DEP_1)
	v_cmpx_ne_u32_e32 0x7f800000, v5
	s_xor_b32 s0, exec_lo, s0
; %bb.346:                              ;   in Loop: Header=BB378_328 Depth=1
	v_bfe_u32 v5, v1, 16, 1
	s_delay_alu instid0(VALU_DEP_1)
	v_add3_u32 v27, v1, v5, 0x7fff
; %bb.347:                              ;   in Loop: Header=BB378_328 Depth=1
	s_and_not1_saveexec_b32 s0, s0
; %bb.348:                              ;   in Loop: Header=BB378_328 Depth=1
	v_and_b32_e32 v5, 0xffff, v1
	v_or_b32_e32 v6, 0x10000, v1
	s_delay_alu instid0(VALU_DEP_2) | instskip(NEXT) | instid1(VALU_DEP_2)
	v_cmp_eq_u32_e32 vcc_lo, 0, v5
	v_cndmask_b32_e32 v27, v6, v1, vcc_lo
; %bb.349:                              ;   in Loop: Header=BB378_328 Depth=1
	s_or_b32 exec_lo, exec_lo, s0
	v_and_b32_e32 v1, 0x7f800000, v2
	s_mov_b32 s0, exec_lo
                                        ; implicit-def: $vgpr28
	s_delay_alu instid0(VALU_DEP_1)
	v_cmpx_ne_u32_e32 0x7f800000, v1
	s_xor_b32 s0, exec_lo, s0
; %bb.350:                              ;   in Loop: Header=BB378_328 Depth=1
	v_bfe_u32 v1, v2, 16, 1
	s_delay_alu instid0(VALU_DEP_1)
	v_add3_u32 v28, v2, v1, 0x7fff
; %bb.351:                              ;   in Loop: Header=BB378_328 Depth=1
	s_and_not1_saveexec_b32 s0, s0
; %bb.352:                              ;   in Loop: Header=BB378_328 Depth=1
	v_and_b32_e32 v1, 0xffff, v2
	v_or_b32_e32 v5, 0x10000, v2
	s_delay_alu instid0(VALU_DEP_2) | instskip(NEXT) | instid1(VALU_DEP_2)
	v_cmp_eq_u32_e32 vcc_lo, 0, v1
	v_cndmask_b32_e32 v28, v5, v2, vcc_lo
; %bb.353:                              ;   in Loop: Header=BB378_328 Depth=1
	s_or_b32 exec_lo, exec_lo, s0
	v_and_b32_e32 v1, 0x7f800000, v3
	s_mov_b32 s0, exec_lo
                                        ; implicit-def: $vgpr29
	s_delay_alu instid0(VALU_DEP_1)
	v_cmpx_ne_u32_e32 0x7f800000, v1
	s_xor_b32 s0, exec_lo, s0
; %bb.354:                              ;   in Loop: Header=BB378_328 Depth=1
	v_bfe_u32 v1, v3, 16, 1
	s_delay_alu instid0(VALU_DEP_1)
	v_add3_u32 v29, v3, v1, 0x7fff
; %bb.355:                              ;   in Loop: Header=BB378_328 Depth=1
	s_and_not1_saveexec_b32 s0, s0
; %bb.356:                              ;   in Loop: Header=BB378_328 Depth=1
	v_and_b32_e32 v1, 0xffff, v3
	v_or_b32_e32 v2, 0x10000, v3
	s_delay_alu instid0(VALU_DEP_2) | instskip(NEXT) | instid1(VALU_DEP_2)
	v_cmp_eq_u32_e32 vcc_lo, 0, v1
	v_cndmask_b32_e32 v29, v2, v3, vcc_lo
; %bb.357:                              ;   in Loop: Header=BB378_328 Depth=1
	s_or_b32 exec_lo, exec_lo, s0
	v_and_b32_e32 v1, 0x7f800000, v4
	s_mov_b32 s0, exec_lo
                                        ; implicit-def: $vgpr30
	s_delay_alu instid0(VALU_DEP_1)
	v_cmpx_ne_u32_e32 0x7f800000, v1
	s_xor_b32 s0, exec_lo, s0
; %bb.358:                              ;   in Loop: Header=BB378_328 Depth=1
	v_bfe_u32 v1, v4, 16, 1
	s_delay_alu instid0(VALU_DEP_1)
	v_add3_u32 v30, v4, v1, 0x7fff
                                        ; implicit-def: $vgpr1_vgpr2_vgpr3_vgpr4
; %bb.359:                              ;   in Loop: Header=BB378_328 Depth=1
	s_and_not1_saveexec_b32 s0, s0
; %bb.360:                              ;   in Loop: Header=BB378_328 Depth=1
	v_and_b32_e32 v1, 0xffff, v4
	v_or_b32_e32 v2, 0x10000, v4
	s_delay_alu instid0(VALU_DEP_2) | instskip(NEXT) | instid1(VALU_DEP_2)
	v_cmp_eq_u32_e32 vcc_lo, 0, v1
	v_cndmask_b32_e32 v30, v2, v4, vcc_lo
; %bb.361:                              ;   in Loop: Header=BB378_328 Depth=1
	s_or_b32 exec_lo, exec_lo, s0
	s_waitcnt vmcnt(0)
	v_mad_i64_i32 v[1:2], null, v10, s9, v[14:15]
	s_load_b32 s18, s[6:7], 0x0
	s_mov_b32 s0, exec_lo
	v_mov_b32_e32 v5, 0
	global_load_b64 v[3:4], v[1:2], off
	s_waitcnt vmcnt(0)
	v_and_b32_e32 v6, 0xff, v3
	s_delay_alu instid0(VALU_DEP_1)
	v_cmpx_ne_u16_e32 0, v6
	s_cbranch_execz .LBB378_367
; %bb.362:                              ;   in Loop: Header=BB378_328 Depth=1
	v_bfrev_b32_e32 v5, 1
	s_mov_b32 s20, exec_lo
	v_cmpx_ne_u16_e32 0x80, v6
	s_cbranch_execz .LBB378_366
; %bb.363:                              ;   in Loop: Header=BB378_328 Depth=1
	v_and_b32_e32 v6, 0x7f, v3
	v_mov_b32_e32 v5, 0x7f800001
	s_mov_b32 s21, exec_lo
	s_delay_alu instid0(VALU_DEP_2)
	v_cmpx_ne_u32_e32 0x7f, v6
	s_cbranch_execz .LBB378_365
; %bb.364:                              ;   in Loop: Header=BB378_328 Depth=1
	v_and_b32_e32 v5, 7, v3
	v_lshrrev_b32_e32 v7, 3, v6
	v_cmp_gt_u32_e32 vcc_lo, 8, v6
	s_delay_alu instid0(VALU_DEP_3) | instskip(NEXT) | instid1(VALU_DEP_1)
	v_clz_i32_u32_e32 v5, v5
	v_min_u32_e32 v5, 32, v5
	s_delay_alu instid0(VALU_DEP_1) | instskip(SKIP_1) | instid1(VALU_DEP_1)
	v_subrev_nc_u32_e32 v8, 28, v5
	v_sub_nc_u32_e32 v5, 29, v5
	v_cndmask_b32_e32 v7, v7, v5, vcc_lo
	s_delay_alu instid0(VALU_DEP_3) | instskip(NEXT) | instid1(VALU_DEP_1)
	v_cndmask_b32_e32 v5, 0, v8, vcc_lo
	v_lshlrev_b64 v[5:6], v5, v[3:4]
	v_lshlrev_b32_e32 v6, 24, v3
	s_delay_alu instid0(VALU_DEP_4) | instskip(NEXT) | instid1(VALU_DEP_2)
	v_lshl_add_u32 v7, v7, 23, 0x3c000000
	v_and_b32_e32 v6, 0x80000000, v6
	s_delay_alu instid0(VALU_DEP_4) | instskip(NEXT) | instid1(VALU_DEP_1)
	v_lshlrev_b32_e32 v5, 20, v5
	v_and_b32_e32 v5, 0x700000, v5
	s_delay_alu instid0(VALU_DEP_1)
	v_or3_b32 v5, v5, v6, v7
.LBB378_365:                            ;   in Loop: Header=BB378_328 Depth=1
	s_or_b32 exec_lo, exec_lo, s21
.LBB378_366:                            ;   in Loop: Header=BB378_328 Depth=1
	s_delay_alu instid0(SALU_CYCLE_1)
	s_or_b32 exec_lo, exec_lo, s20
.LBB378_367:                            ;   in Loop: Header=BB378_328 Depth=1
	s_delay_alu instid0(SALU_CYCLE_1) | instskip(SKIP_3) | instid1(VALU_DEP_1)
	s_or_b32 exec_lo, exec_lo, s0
	s_waitcnt lgkmcnt(0)
	v_mul_f32_e32 v5, s18, v5
	s_mov_b32 s0, exec_lo
                                        ; implicit-def: $vgpr7
	v_and_b32_e32 v6, 0x7f800000, v5
	s_delay_alu instid0(VALU_DEP_1)
	v_cmpx_ne_u32_e32 0x7f800000, v6
	s_xor_b32 s0, exec_lo, s0
; %bb.368:                              ;   in Loop: Header=BB378_328 Depth=1
	v_bfe_u32 v6, v5, 16, 1
	s_delay_alu instid0(VALU_DEP_1)
	v_add3_u32 v7, v5, v6, 0x7fff
                                        ; implicit-def: $vgpr5
; %bb.369:                              ;   in Loop: Header=BB378_328 Depth=1
	s_and_not1_saveexec_b32 s0, s0
; %bb.370:                              ;   in Loop: Header=BB378_328 Depth=1
	v_and_b32_e32 v6, 0xffff, v5
	v_or_b32_e32 v7, 0x10000, v5
	s_delay_alu instid0(VALU_DEP_2) | instskip(NEXT) | instid1(VALU_DEP_2)
	v_cmp_eq_u32_e32 vcc_lo, 0, v6
	v_cndmask_b32_e32 v7, v7, v5, vcc_lo
; %bb.371:                              ;   in Loop: Header=BB378_328 Depth=1
	s_or_b32 exec_lo, exec_lo, s0
	v_lshrrev_b16 v6, 8, v3
	v_mov_b32_e32 v5, 0
	s_mov_b32 s0, exec_lo
	s_delay_alu instid0(VALU_DEP_2)
	v_cmpx_ne_u16_e32 0, v6
	s_cbranch_execz .LBB378_379
; %bb.372:                              ;   in Loop: Header=BB378_328 Depth=1
	v_bfrev_b32_e32 v5, 1
	s_mov_b32 s20, exec_lo
	v_cmpx_ne_u16_e32 0x80, v6
	s_cbranch_execz .LBB378_378
; %bb.373:                              ;   in Loop: Header=BB378_328 Depth=1
	v_and_b32_e32 v8, 0xffff, v6
	v_mov_b32_e32 v5, 0x7f800001
	s_mov_b32 s21, exec_lo
	s_delay_alu instid0(VALU_DEP_2) | instskip(NEXT) | instid1(VALU_DEP_1)
	v_and_b32_e32 v6, 0x7f, v8
	v_cmpx_ne_u32_e32 0x7f, v6
	s_cbranch_execz .LBB378_377
; %bb.374:                              ;   in Loop: Header=BB378_328 Depth=1
	v_and_b32_e32 v10, 7, v8
	v_lshrrev_b32_e32 v5, 3, v6
	s_mov_b32 s22, exec_lo
	v_cmpx_gt_u32_e32 8, v6
; %bb.375:                              ;   in Loop: Header=BB378_328 Depth=1
	s_delay_alu instid0(VALU_DEP_3) | instskip(NEXT) | instid1(VALU_DEP_1)
	v_clz_i32_u32_e32 v5, v10
	v_min_u32_e32 v5, 32, v5
	s_delay_alu instid0(VALU_DEP_1) | instskip(SKIP_1) | instid1(VALU_DEP_2)
	v_subrev_nc_u32_e32 v6, 28, v5
	v_sub_nc_u32_e32 v5, 29, v5
	v_lshlrev_b64 v[31:32], v6, v[10:11]
	s_delay_alu instid0(VALU_DEP_1)
	v_and_b32_e32 v10, 7, v31
; %bb.376:                              ;   in Loop: Header=BB378_328 Depth=1
	s_or_b32 exec_lo, exec_lo, s22
	v_lshlrev_b32_e32 v6, 16, v3
	s_delay_alu instid0(VALU_DEP_2) | instskip(SKIP_1) | instid1(VALU_DEP_3)
	v_lshlrev_b32_e32 v8, 20, v10
	v_lshl_add_u32 v5, v5, 23, 0x3c000000
	v_and_b32_e32 v6, 0x80000000, v6
	s_delay_alu instid0(VALU_DEP_1)
	v_or3_b32 v5, v8, v6, v5
.LBB378_377:                            ;   in Loop: Header=BB378_328 Depth=1
	s_or_b32 exec_lo, exec_lo, s21
.LBB378_378:                            ;   in Loop: Header=BB378_328 Depth=1
	s_delay_alu instid0(SALU_CYCLE_1)
	s_or_b32 exec_lo, exec_lo, s20
.LBB378_379:                            ;   in Loop: Header=BB378_328 Depth=1
	s_delay_alu instid0(SALU_CYCLE_1) | instskip(NEXT) | instid1(VALU_DEP_1)
	s_or_b32 exec_lo, exec_lo, s0
	v_mul_f32_e32 v5, s18, v5
	s_mov_b32 s0, exec_lo
                                        ; implicit-def: $vgpr8
	s_delay_alu instid0(VALU_DEP_1) | instskip(NEXT) | instid1(VALU_DEP_1)
	v_and_b32_e32 v6, 0x7f800000, v5
	v_cmpx_ne_u32_e32 0x7f800000, v6
	s_xor_b32 s0, exec_lo, s0
; %bb.380:                              ;   in Loop: Header=BB378_328 Depth=1
	v_bfe_u32 v6, v5, 16, 1
	s_delay_alu instid0(VALU_DEP_1)
	v_add3_u32 v8, v5, v6, 0x7fff
                                        ; implicit-def: $vgpr5
; %bb.381:                              ;   in Loop: Header=BB378_328 Depth=1
	s_and_not1_saveexec_b32 s0, s0
; %bb.382:                              ;   in Loop: Header=BB378_328 Depth=1
	v_and_b32_e32 v6, 0xffff, v5
	v_or_b32_e32 v8, 0x10000, v5
	s_delay_alu instid0(VALU_DEP_2) | instskip(NEXT) | instid1(VALU_DEP_2)
	v_cmp_eq_u32_e32 vcc_lo, 0, v6
	v_cndmask_b32_e32 v8, v8, v5, vcc_lo
; %bb.383:                              ;   in Loop: Header=BB378_328 Depth=1
	s_or_b32 exec_lo, exec_lo, s0
	v_lshrrev_b32_e32 v5, 16, v3
	v_mov_b32_e32 v6, 0
	s_mov_b32 s0, exec_lo
	s_delay_alu instid0(VALU_DEP_2) | instskip(NEXT) | instid1(VALU_DEP_1)
	v_and_b32_e32 v10, 0xff, v5
	v_cmpx_ne_u16_e32 0, v10
	s_cbranch_execz .LBB378_391
; %bb.384:                              ;   in Loop: Header=BB378_328 Depth=1
	v_bfrev_b32_e32 v6, 1
	s_mov_b32 s20, exec_lo
	v_cmpx_ne_u16_e32 0x80, v10
	s_cbranch_execz .LBB378_390
; %bb.385:                              ;   in Loop: Header=BB378_328 Depth=1
	v_bfe_u32 v31, v3, 16, 7
	v_mov_b32_e32 v6, 0x7f800001
	s_mov_b32 s21, exec_lo
	s_delay_alu instid0(VALU_DEP_2)
	v_cmpx_ne_u32_e32 0x7f, v31
	s_cbranch_execz .LBB378_389
; %bb.386:                              ;   in Loop: Header=BB378_328 Depth=1
	v_and_b32_e32 v10, 7, v5
	v_lshrrev_b32_e32 v6, 3, v31
	s_mov_b32 s22, exec_lo
	v_cmpx_gt_u32_e32 8, v31
; %bb.387:                              ;   in Loop: Header=BB378_328 Depth=1
	s_delay_alu instid0(VALU_DEP_3) | instskip(NEXT) | instid1(VALU_DEP_1)
	v_clz_i32_u32_e32 v6, v10
	v_min_u32_e32 v6, 32, v6
	s_delay_alu instid0(VALU_DEP_1) | instskip(SKIP_1) | instid1(VALU_DEP_2)
	v_subrev_nc_u32_e32 v31, 28, v6
	v_sub_nc_u32_e32 v6, 29, v6
	v_lshlrev_b64 v[31:32], v31, v[10:11]
	s_delay_alu instid0(VALU_DEP_1)
	v_and_b32_e32 v10, 7, v31
; %bb.388:                              ;   in Loop: Header=BB378_328 Depth=1
	s_or_b32 exec_lo, exec_lo, s22
	v_lshlrev_b32_e32 v5, 24, v5
	s_delay_alu instid0(VALU_DEP_2) | instskip(SKIP_1) | instid1(VALU_DEP_3)
	v_lshlrev_b32_e32 v10, 20, v10
	v_lshl_add_u32 v6, v6, 23, 0x3c000000
	v_and_b32_e32 v5, 0x80000000, v5
	s_delay_alu instid0(VALU_DEP_1)
	v_or3_b32 v6, v10, v5, v6
.LBB378_389:                            ;   in Loop: Header=BB378_328 Depth=1
	s_or_b32 exec_lo, exec_lo, s21
.LBB378_390:                            ;   in Loop: Header=BB378_328 Depth=1
	s_delay_alu instid0(SALU_CYCLE_1)
	s_or_b32 exec_lo, exec_lo, s20
.LBB378_391:                            ;   in Loop: Header=BB378_328 Depth=1
	s_delay_alu instid0(SALU_CYCLE_1) | instskip(NEXT) | instid1(VALU_DEP_1)
	s_or_b32 exec_lo, exec_lo, s0
	v_mul_f32_e32 v5, s18, v6
	s_mov_b32 s0, exec_lo
                                        ; implicit-def: $vgpr31
	s_delay_alu instid0(VALU_DEP_1) | instskip(NEXT) | instid1(VALU_DEP_1)
	v_and_b32_e32 v6, 0x7f800000, v5
	v_cmpx_ne_u32_e32 0x7f800000, v6
	s_xor_b32 s0, exec_lo, s0
; %bb.392:                              ;   in Loop: Header=BB378_328 Depth=1
	v_bfe_u32 v6, v5, 16, 1
	s_delay_alu instid0(VALU_DEP_1)
	v_add3_u32 v31, v5, v6, 0x7fff
                                        ; implicit-def: $vgpr5
; %bb.393:                              ;   in Loop: Header=BB378_328 Depth=1
	s_and_not1_saveexec_b32 s0, s0
; %bb.394:                              ;   in Loop: Header=BB378_328 Depth=1
	v_and_b32_e32 v6, 0xffff, v5
	v_or_b32_e32 v10, 0x10000, v5
	s_delay_alu instid0(VALU_DEP_2) | instskip(NEXT) | instid1(VALU_DEP_2)
	v_cmp_eq_u32_e32 vcc_lo, 0, v6
	v_cndmask_b32_e32 v31, v10, v5, vcc_lo
; %bb.395:                              ;   in Loop: Header=BB378_328 Depth=1
	s_or_b32 exec_lo, exec_lo, s0
	v_mov_b32_e32 v6, 0
	s_mov_b32 s0, exec_lo
	v_cmpx_lt_u32_e32 0xffffff, v3
	s_cbranch_execz .LBB378_403
; %bb.396:                              ;   in Loop: Header=BB378_328 Depth=1
	v_lshrrev_b32_e32 v5, 24, v3
	v_bfrev_b32_e32 v6, 1
	s_mov_b32 s20, exec_lo
	s_delay_alu instid0(VALU_DEP_2)
	v_cmpx_ne_u32_e32 0x80, v5
	s_cbranch_execz .LBB378_402
; %bb.397:                              ;   in Loop: Header=BB378_328 Depth=1
	v_bfe_u32 v32, v3, 24, 7
	v_mov_b32_e32 v6, 0x7f800001
	s_mov_b32 s21, exec_lo
	s_delay_alu instid0(VALU_DEP_2)
	v_cmpx_ne_u32_e32 0x7f, v32
	s_cbranch_execz .LBB378_401
; %bb.398:                              ;   in Loop: Header=BB378_328 Depth=1
	v_and_b32_e32 v10, 7, v5
	v_lshrrev_b32_e32 v6, 3, v32
	s_mov_b32 s22, exec_lo
	v_cmpx_gt_u32_e32 8, v32
; %bb.399:                              ;   in Loop: Header=BB378_328 Depth=1
	s_delay_alu instid0(VALU_DEP_3) | instskip(NEXT) | instid1(VALU_DEP_1)
	v_clz_i32_u32_e32 v6, v10
	v_min_u32_e32 v6, 32, v6
	s_delay_alu instid0(VALU_DEP_1) | instskip(SKIP_1) | instid1(VALU_DEP_2)
	v_subrev_nc_u32_e32 v32, 28, v6
	v_sub_nc_u32_e32 v6, 29, v6
	v_lshlrev_b64 v[32:33], v32, v[10:11]
	s_delay_alu instid0(VALU_DEP_1)
	v_and_b32_e32 v10, 7, v32
; %bb.400:                              ;   in Loop: Header=BB378_328 Depth=1
	s_or_b32 exec_lo, exec_lo, s22
	v_lshlrev_b32_e32 v5, 24, v5
	s_delay_alu instid0(VALU_DEP_2) | instskip(SKIP_1) | instid1(VALU_DEP_3)
	v_lshlrev_b32_e32 v10, 20, v10
	v_lshl_add_u32 v6, v6, 23, 0x3c000000
	v_and_b32_e32 v5, 0x80000000, v5
	s_delay_alu instid0(VALU_DEP_1)
	v_or3_b32 v6, v10, v5, v6
.LBB378_401:                            ;   in Loop: Header=BB378_328 Depth=1
	s_or_b32 exec_lo, exec_lo, s21
.LBB378_402:                            ;   in Loop: Header=BB378_328 Depth=1
	s_delay_alu instid0(SALU_CYCLE_1)
	s_or_b32 exec_lo, exec_lo, s20
.LBB378_403:                            ;   in Loop: Header=BB378_328 Depth=1
	s_delay_alu instid0(SALU_CYCLE_1) | instskip(NEXT) | instid1(VALU_DEP_1)
	s_or_b32 exec_lo, exec_lo, s0
	v_mul_f32_e32 v5, s18, v6
	s_mov_b32 s0, exec_lo
                                        ; implicit-def: $vgpr32
	s_delay_alu instid0(VALU_DEP_1) | instskip(NEXT) | instid1(VALU_DEP_1)
	v_and_b32_e32 v6, 0x7f800000, v5
	v_cmpx_ne_u32_e32 0x7f800000, v6
	s_xor_b32 s0, exec_lo, s0
; %bb.404:                              ;   in Loop: Header=BB378_328 Depth=1
	v_bfe_u32 v6, v5, 16, 1
	s_delay_alu instid0(VALU_DEP_1)
	v_add3_u32 v32, v5, v6, 0x7fff
                                        ; implicit-def: $vgpr5
; %bb.405:                              ;   in Loop: Header=BB378_328 Depth=1
	s_and_not1_saveexec_b32 s0, s0
; %bb.406:                              ;   in Loop: Header=BB378_328 Depth=1
	v_and_b32_e32 v6, 0xffff, v5
	v_or_b32_e32 v10, 0x10000, v5
	s_delay_alu instid0(VALU_DEP_2) | instskip(NEXT) | instid1(VALU_DEP_2)
	v_cmp_eq_u32_e32 vcc_lo, 0, v6
	v_cndmask_b32_e32 v32, v10, v5, vcc_lo
; %bb.407:                              ;   in Loop: Header=BB378_328 Depth=1
	s_or_b32 exec_lo, exec_lo, s0
	v_dual_mov_b32 v5, 0 :: v_dual_and_b32 v6, 0xff, v4
	v_mov_b32_e32 v10, v4
	s_mov_b32 s0, exec_lo
	s_delay_alu instid0(VALU_DEP_2)
	v_cmpx_ne_u16_e32 0, v6
	s_cbranch_execz .LBB378_413
; %bb.408:                              ;   in Loop: Header=BB378_328 Depth=1
	v_bfrev_b32_e32 v5, 1
	s_mov_b32 s20, exec_lo
	v_cmpx_ne_u16_e32 0x80, v6
	s_cbranch_execz .LBB378_412
; %bb.409:                              ;   in Loop: Header=BB378_328 Depth=1
	v_and_b32_e32 v6, 0x7f, v4
	v_mov_b32_e32 v5, 0x7f800001
	s_mov_b32 s21, exec_lo
	s_delay_alu instid0(VALU_DEP_2)
	v_cmpx_ne_u32_e32 0x7f, v6
	s_cbranch_execz .LBB378_411
; %bb.410:                              ;   in Loop: Header=BB378_328 Depth=1
	v_and_b32_e32 v5, 7, v4
	v_lshrrev_b32_e32 v33, 3, v6
	v_cmp_gt_u32_e32 vcc_lo, 8, v6
	s_delay_alu instid0(VALU_DEP_3) | instskip(NEXT) | instid1(VALU_DEP_1)
	v_clz_i32_u32_e32 v5, v5
	v_min_u32_e32 v5, 32, v5
	s_delay_alu instid0(VALU_DEP_1) | instskip(SKIP_1) | instid1(VALU_DEP_1)
	v_subrev_nc_u32_e32 v34, 28, v5
	v_sub_nc_u32_e32 v5, 29, v5
	v_cndmask_b32_e32 v33, v33, v5, vcc_lo
	s_delay_alu instid0(VALU_DEP_3) | instskip(NEXT) | instid1(VALU_DEP_1)
	v_cndmask_b32_e32 v5, 0, v34, vcc_lo
	v_lshlrev_b64 v[5:6], v5, v[10:11]
	v_lshlrev_b32_e32 v6, 24, v10
	s_delay_alu instid0(VALU_DEP_4) | instskip(NEXT) | instid1(VALU_DEP_3)
	v_lshl_add_u32 v33, v33, 23, 0x3c000000
	v_lshlrev_b32_e32 v5, 20, v5
	s_delay_alu instid0(VALU_DEP_3) | instskip(NEXT) | instid1(VALU_DEP_2)
	v_and_b32_e32 v6, 0x80000000, v6
	v_and_b32_e32 v5, 0x700000, v5
	s_delay_alu instid0(VALU_DEP_1)
	v_or3_b32 v5, v5, v6, v33
.LBB378_411:                            ;   in Loop: Header=BB378_328 Depth=1
	s_or_b32 exec_lo, exec_lo, s21
.LBB378_412:                            ;   in Loop: Header=BB378_328 Depth=1
	s_delay_alu instid0(SALU_CYCLE_1)
	s_or_b32 exec_lo, exec_lo, s20
.LBB378_413:                            ;   in Loop: Header=BB378_328 Depth=1
	s_delay_alu instid0(SALU_CYCLE_1) | instskip(NEXT) | instid1(VALU_DEP_1)
	s_or_b32 exec_lo, exec_lo, s0
	v_mul_f32_e32 v5, s18, v5
	s_mov_b32 s0, exec_lo
                                        ; implicit-def: $vgpr33
	s_delay_alu instid0(VALU_DEP_1) | instskip(NEXT) | instid1(VALU_DEP_1)
	v_and_b32_e32 v6, 0x7f800000, v5
	v_cmpx_ne_u32_e32 0x7f800000, v6
	s_xor_b32 s0, exec_lo, s0
; %bb.414:                              ;   in Loop: Header=BB378_328 Depth=1
	v_bfe_u32 v6, v5, 16, 1
	s_delay_alu instid0(VALU_DEP_1)
	v_add3_u32 v33, v5, v6, 0x7fff
                                        ; implicit-def: $vgpr5
; %bb.415:                              ;   in Loop: Header=BB378_328 Depth=1
	s_and_not1_saveexec_b32 s0, s0
; %bb.416:                              ;   in Loop: Header=BB378_328 Depth=1
	v_and_b32_e32 v6, 0xffff, v5
	v_or_b32_e32 v33, 0x10000, v5
	s_delay_alu instid0(VALU_DEP_2) | instskip(NEXT) | instid1(VALU_DEP_2)
	v_cmp_eq_u32_e32 vcc_lo, 0, v6
	v_cndmask_b32_e32 v33, v33, v5, vcc_lo
; %bb.417:                              ;   in Loop: Header=BB378_328 Depth=1
	s_or_b32 exec_lo, exec_lo, s0
	v_lshrrev_b16 v6, 8, v10
	v_mov_b32_e32 v5, 0
	s_mov_b32 s0, exec_lo
	s_delay_alu instid0(VALU_DEP_2)
	v_cmpx_ne_u16_e32 0, v6
	s_cbranch_execz .LBB378_425
; %bb.418:                              ;   in Loop: Header=BB378_328 Depth=1
	v_bfrev_b32_e32 v5, 1
	s_mov_b32 s20, exec_lo
	v_cmpx_ne_u16_e32 0x80, v6
	s_cbranch_execz .LBB378_424
; %bb.419:                              ;   in Loop: Header=BB378_328 Depth=1
	v_and_b32_e32 v6, 0xffff, v6
	v_mov_b32_e32 v5, 0x7f800001
	s_mov_b32 s21, exec_lo
	s_delay_alu instid0(VALU_DEP_2) | instskip(NEXT) | instid1(VALU_DEP_1)
	v_and_b32_e32 v35, 0x7f, v6
	v_cmpx_ne_u32_e32 0x7f, v35
	s_cbranch_execz .LBB378_423
; %bb.420:                              ;   in Loop: Header=BB378_328 Depth=1
	v_dual_mov_b32 v6, v11 :: v_dual_and_b32 v5, 7, v6
	v_lshrrev_b32_e32 v34, 3, v35
	s_mov_b32 s22, exec_lo
	v_cmpx_gt_u32_e32 8, v35
; %bb.421:                              ;   in Loop: Header=BB378_328 Depth=1
	s_delay_alu instid0(VALU_DEP_3) | instskip(NEXT) | instid1(VALU_DEP_1)
	v_clz_i32_u32_e32 v34, v5
	v_min_u32_e32 v34, 32, v34
	s_delay_alu instid0(VALU_DEP_1) | instskip(SKIP_1) | instid1(VALU_DEP_2)
	v_subrev_nc_u32_e32 v35, 28, v34
	v_sub_nc_u32_e32 v34, 29, v34
	v_lshlrev_b64 v[5:6], v35, v[5:6]
	s_delay_alu instid0(VALU_DEP_1)
	v_and_b32_e32 v5, 7, v5
; %bb.422:                              ;   in Loop: Header=BB378_328 Depth=1
	s_or_b32 exec_lo, exec_lo, s22
	v_lshlrev_b32_e32 v6, 16, v10
	s_delay_alu instid0(VALU_DEP_2) | instskip(SKIP_1) | instid1(VALU_DEP_3)
	v_lshlrev_b32_e32 v5, 20, v5
	v_lshl_add_u32 v10, v34, 23, 0x3c000000
	v_and_b32_e32 v6, 0x80000000, v6
	s_delay_alu instid0(VALU_DEP_1)
	v_or3_b32 v5, v5, v6, v10
.LBB378_423:                            ;   in Loop: Header=BB378_328 Depth=1
	s_or_b32 exec_lo, exec_lo, s21
.LBB378_424:                            ;   in Loop: Header=BB378_328 Depth=1
	s_delay_alu instid0(SALU_CYCLE_1)
	s_or_b32 exec_lo, exec_lo, s20
.LBB378_425:                            ;   in Loop: Header=BB378_328 Depth=1
	s_delay_alu instid0(SALU_CYCLE_1) | instskip(NEXT) | instid1(VALU_DEP_1)
	s_or_b32 exec_lo, exec_lo, s0
	v_mul_f32_e32 v6, s18, v5
	s_delay_alu instid0(VALU_DEP_1) | instskip(NEXT) | instid1(VALU_DEP_1)
	v_and_b32_e32 v5, 0x7f800000, v6
	v_cmp_ne_u32_e32 vcc_lo, 0x7f800000, v5
                                        ; implicit-def: $vgpr5
	s_and_saveexec_b32 s0, vcc_lo
	s_delay_alu instid0(SALU_CYCLE_1)
	s_xor_b32 s0, exec_lo, s0
; %bb.426:                              ;   in Loop: Header=BB378_328 Depth=1
	v_bfe_u32 v5, v6, 16, 1
	s_delay_alu instid0(VALU_DEP_1)
	v_add3_u32 v5, v6, v5, 0x7fff
                                        ; implicit-def: $vgpr6
; %bb.427:                              ;   in Loop: Header=BB378_328 Depth=1
	s_and_not1_saveexec_b32 s0, s0
; %bb.428:                              ;   in Loop: Header=BB378_328 Depth=1
	v_and_b32_e32 v5, 0xffff, v6
	v_or_b32_e32 v10, 0x10000, v6
	s_delay_alu instid0(VALU_DEP_2) | instskip(NEXT) | instid1(VALU_DEP_2)
	v_cmp_eq_u32_e32 vcc_lo, 0, v5
	v_cndmask_b32_e32 v5, v10, v6, vcc_lo
; %bb.429:                              ;   in Loop: Header=BB378_328 Depth=1
	s_or_b32 exec_lo, exec_lo, s0
	v_lshrrev_b32_e32 v6, 16, v4
	v_mov_b32_e32 v10, 0
	s_mov_b32 s0, exec_lo
	s_delay_alu instid0(VALU_DEP_2) | instskip(NEXT) | instid1(VALU_DEP_1)
	v_and_b32_e32 v34, 0xff, v6
	v_cmpx_ne_u16_e32 0, v34
	s_cbranch_execz .LBB378_437
; %bb.430:                              ;   in Loop: Header=BB378_328 Depth=1
	v_bfrev_b32_e32 v10, 1
	s_mov_b32 s20, exec_lo
	v_cmpx_ne_u16_e32 0x80, v34
	s_cbranch_execz .LBB378_436
; %bb.431:                              ;   in Loop: Header=BB378_328 Depth=1
	v_bfe_u32 v35, v4, 16, 7
	v_mov_b32_e32 v10, 0x7f800001
	s_mov_b32 s21, exec_lo
	s_delay_alu instid0(VALU_DEP_2)
	v_cmpx_ne_u32_e32 0x7f, v35
	s_cbranch_execz .LBB378_435
; %bb.432:                              ;   in Loop: Header=BB378_328 Depth=1
	v_and_b32_e32 v10, 7, v6
	v_lshrrev_b32_e32 v34, 3, v35
	s_mov_b32 s22, exec_lo
	v_cmpx_gt_u32_e32 8, v35
; %bb.433:                              ;   in Loop: Header=BB378_328 Depth=1
	s_delay_alu instid0(VALU_DEP_3) | instskip(NEXT) | instid1(VALU_DEP_1)
	v_clz_i32_u32_e32 v34, v10
	v_min_u32_e32 v34, 32, v34
	s_delay_alu instid0(VALU_DEP_1) | instskip(SKIP_1) | instid1(VALU_DEP_2)
	v_subrev_nc_u32_e32 v35, 28, v34
	v_sub_nc_u32_e32 v34, 29, v34
	v_lshlrev_b64 v[35:36], v35, v[10:11]
	s_delay_alu instid0(VALU_DEP_1)
	v_and_b32_e32 v10, 7, v35
; %bb.434:                              ;   in Loop: Header=BB378_328 Depth=1
	s_or_b32 exec_lo, exec_lo, s22
	v_lshlrev_b32_e32 v6, 24, v6
	s_delay_alu instid0(VALU_DEP_2) | instskip(SKIP_1) | instid1(VALU_DEP_3)
	v_lshlrev_b32_e32 v10, 20, v10
	v_lshl_add_u32 v34, v34, 23, 0x3c000000
	v_and_b32_e32 v6, 0x80000000, v6
	s_delay_alu instid0(VALU_DEP_1)
	v_or3_b32 v10, v10, v6, v34
.LBB378_435:                            ;   in Loop: Header=BB378_328 Depth=1
	s_or_b32 exec_lo, exec_lo, s21
.LBB378_436:                            ;   in Loop: Header=BB378_328 Depth=1
	s_delay_alu instid0(SALU_CYCLE_1)
	s_or_b32 exec_lo, exec_lo, s20
.LBB378_437:                            ;   in Loop: Header=BB378_328 Depth=1
	s_delay_alu instid0(SALU_CYCLE_1) | instskip(NEXT) | instid1(VALU_DEP_1)
	s_or_b32 exec_lo, exec_lo, s0
	v_mul_f32_e32 v6, s18, v10
	s_mov_b32 s0, exec_lo
                                        ; implicit-def: $vgpr34
	s_delay_alu instid0(VALU_DEP_1) | instskip(NEXT) | instid1(VALU_DEP_1)
	v_and_b32_e32 v10, 0x7f800000, v6
	v_cmpx_ne_u32_e32 0x7f800000, v10
	s_xor_b32 s0, exec_lo, s0
; %bb.438:                              ;   in Loop: Header=BB378_328 Depth=1
	v_bfe_u32 v10, v6, 16, 1
	s_delay_alu instid0(VALU_DEP_1)
	v_add3_u32 v34, v6, v10, 0x7fff
                                        ; implicit-def: $vgpr6
; %bb.439:                              ;   in Loop: Header=BB378_328 Depth=1
	s_and_not1_saveexec_b32 s0, s0
; %bb.440:                              ;   in Loop: Header=BB378_328 Depth=1
	v_and_b32_e32 v10, 0xffff, v6
	v_or_b32_e32 v34, 0x10000, v6
	s_delay_alu instid0(VALU_DEP_2) | instskip(NEXT) | instid1(VALU_DEP_2)
	v_cmp_eq_u32_e32 vcc_lo, 0, v10
	v_cndmask_b32_e32 v34, v34, v6, vcc_lo
; %bb.441:                              ;   in Loop: Header=BB378_328 Depth=1
	s_or_b32 exec_lo, exec_lo, s0
	v_mov_b32_e32 v6, 0
	s_mov_b32 s0, exec_lo
	v_cmpx_lt_u64_e64 s[2:3], v[3:4]
	s_cbranch_execz .LBB378_449
; %bb.442:                              ;   in Loop: Header=BB378_328 Depth=1
	v_lshrrev_b32_e32 v3, 24, v4
	v_bfrev_b32_e32 v6, 1
	s_mov_b32 s20, exec_lo
	s_delay_alu instid0(VALU_DEP_2)
	v_cmpx_ne_u32_e32 0x80, v3
	s_cbranch_execz .LBB378_448
; %bb.443:                              ;   in Loop: Header=BB378_328 Depth=1
	v_bfe_u32 v35, v4, 24, 7
	v_mov_b32_e32 v6, 0x7f800001
	s_mov_b32 s21, exec_lo
	s_delay_alu instid0(VALU_DEP_2)
	v_cmpx_ne_u32_e32 0x7f, v35
	s_cbranch_execz .LBB378_447
; %bb.444:                              ;   in Loop: Header=BB378_328 Depth=1
	v_and_b32_e32 v10, 7, v3
	v_lshrrev_b32_e32 v4, 3, v35
	s_mov_b32 s22, exec_lo
	v_cmpx_gt_u32_e32 8, v35
; %bb.445:                              ;   in Loop: Header=BB378_328 Depth=1
	s_delay_alu instid0(VALU_DEP_3) | instskip(NEXT) | instid1(VALU_DEP_1)
	v_clz_i32_u32_e32 v4, v10
	v_min_u32_e32 v4, 32, v4
	s_delay_alu instid0(VALU_DEP_1) | instskip(SKIP_1) | instid1(VALU_DEP_2)
	v_subrev_nc_u32_e32 v6, 28, v4
	v_sub_nc_u32_e32 v4, 29, v4
	v_lshlrev_b64 v[35:36], v6, v[10:11]
	s_delay_alu instid0(VALU_DEP_1)
	v_and_b32_e32 v10, 7, v35
; %bb.446:                              ;   in Loop: Header=BB378_328 Depth=1
	s_or_b32 exec_lo, exec_lo, s22
	v_lshlrev_b32_e32 v3, 24, v3
	s_delay_alu instid0(VALU_DEP_2) | instskip(SKIP_1) | instid1(VALU_DEP_3)
	v_lshlrev_b32_e32 v6, 20, v10
	v_lshl_add_u32 v4, v4, 23, 0x3c000000
	v_and_b32_e32 v3, 0x80000000, v3
	s_delay_alu instid0(VALU_DEP_1)
	v_or3_b32 v6, v6, v3, v4
.LBB378_447:                            ;   in Loop: Header=BB378_328 Depth=1
	s_or_b32 exec_lo, exec_lo, s21
.LBB378_448:                            ;   in Loop: Header=BB378_328 Depth=1
	s_delay_alu instid0(SALU_CYCLE_1)
	s_or_b32 exec_lo, exec_lo, s20
.LBB378_449:                            ;   in Loop: Header=BB378_328 Depth=1
	s_delay_alu instid0(SALU_CYCLE_1) | instskip(NEXT) | instid1(VALU_DEP_1)
	s_or_b32 exec_lo, exec_lo, s0
	v_mul_f32_e32 v4, s18, v6
	s_delay_alu instid0(VALU_DEP_1) | instskip(NEXT) | instid1(VALU_DEP_1)
	v_and_b32_e32 v3, 0x7f800000, v4
	v_cmp_ne_u32_e32 vcc_lo, 0x7f800000, v3
                                        ; implicit-def: $vgpr3
	s_and_saveexec_b32 s0, vcc_lo
	s_delay_alu instid0(SALU_CYCLE_1)
	s_xor_b32 s0, exec_lo, s0
; %bb.450:                              ;   in Loop: Header=BB378_328 Depth=1
	v_bfe_u32 v3, v4, 16, 1
	s_delay_alu instid0(VALU_DEP_1)
	v_add3_u32 v3, v4, v3, 0x7fff
                                        ; implicit-def: $vgpr4
; %bb.451:                              ;   in Loop: Header=BB378_328 Depth=1
	s_and_not1_saveexec_b32 s0, s0
; %bb.452:                              ;   in Loop: Header=BB378_328 Depth=1
	v_and_b32_e32 v3, 0xffff, v4
	v_or_b32_e32 v6, 0x10000, v4
	s_delay_alu instid0(VALU_DEP_2) | instskip(NEXT) | instid1(VALU_DEP_2)
	v_cmp_eq_u32_e32 vcc_lo, 0, v3
	v_cndmask_b32_e32 v3, v6, v4, vcc_lo
; %bb.453:                              ;   in Loop: Header=BB378_328 Depth=1
	s_or_b32 exec_lo, exec_lo, s0
	v_cmp_eq_u32_e32 vcc_lo, s14, v13
	v_lshrrev_b32_e32 v5, 16, v5
	v_lshrrev_b32_e32 v6, 16, v33
	;; [unrolled: 1-line block ×8, first 2 shown]
	v_add_nc_u32_e32 v37, 1, v24
	v_add_nc_u32_e32 v36, 2, v24
	;; [unrolled: 1-line block ×7, first 2 shown]
	s_and_saveexec_b32 s20, vcc_lo
	s_cbranch_execz .LBB378_455
; %bb.454:                              ;   in Loop: Header=BB378_328 Depth=1
	v_cmp_gt_i32_e64 s0, s15, v24
	s_delay_alu instid0(VALU_DEP_1) | instskip(SKIP_1) | instid1(VALU_DEP_1)
	v_cndmask_b32_e64 v7, 0, v7, s0
	v_cmp_gt_i32_e64 s0, s15, v37
	v_cndmask_b32_e64 v8, 0, v8, s0
	v_cmp_gt_i32_e64 s0, s15, v36
	s_delay_alu instid0(VALU_DEP_1) | instskip(SKIP_1) | instid1(VALU_DEP_1)
	v_cndmask_b32_e64 v41, 0, v41, s0
	v_cmp_gt_i32_e64 s0, s15, v35
	v_cndmask_b32_e64 v10, 0, v10, s0
	v_cmp_gt_i32_e64 s0, s15, v34
	s_delay_alu instid0(VALU_DEP_1) | instskip(SKIP_1) | instid1(VALU_DEP_1)
	v_cndmask_b32_e64 v6, 0, v6, s0
	v_cmp_gt_i32_e64 s0, s15, v33
	v_cndmask_b32_e64 v5, 0, v5, s0
	v_cmp_gt_i32_e64 s0, s15, v32
	s_delay_alu instid0(VALU_DEP_1) | instskip(SKIP_1) | instid1(VALU_DEP_1)
	v_cndmask_b32_e64 v4, 0, v4, s0
	v_cmp_gt_i32_e64 s0, s15, v31
	v_cndmask_b32_e64 v3, 0, v3, s0
.LBB378_455:                            ;   in Loop: Header=BB378_328 Depth=1
	s_or_b32 exec_lo, exec_lo, s20
	v_and_b32_e32 v38, 0xffff0000, v38
	v_lshlrev_b32_e32 v7, 16, v7
	s_delay_alu instid0(VALU_DEP_1) | instskip(NEXT) | instid1(VALU_DEP_1)
	v_mul_f32_e32 v40, v38, v7
	v_and_b32_e32 v7, 0x7f800000, v40
	s_delay_alu instid0(VALU_DEP_1) | instskip(NEXT) | instid1(VALU_DEP_1)
	v_cmp_ne_u32_e64 s0, 0x7f800000, v7
                                        ; implicit-def: $vgpr7
	s_and_saveexec_b32 s20, s0
	s_delay_alu instid0(SALU_CYCLE_1)
	s_xor_b32 s0, exec_lo, s20
; %bb.456:                              ;   in Loop: Header=BB378_328 Depth=1
	v_bfe_u32 v7, v40, 16, 1
	s_delay_alu instid0(VALU_DEP_1)
	v_add3_u32 v7, v40, v7, 0x7fff
                                        ; implicit-def: $vgpr40
; %bb.457:                              ;   in Loop: Header=BB378_328 Depth=1
	s_and_not1_saveexec_b32 s20, s0
; %bb.458:                              ;   in Loop: Header=BB378_328 Depth=1
	v_and_b32_e32 v7, 0xffff, v40
	v_or_b32_e32 v42, 0x10000, v40
	s_delay_alu instid0(VALU_DEP_2) | instskip(NEXT) | instid1(VALU_DEP_1)
	v_cmp_eq_u32_e64 s0, 0, v7
	v_cndmask_b32_e64 v7, v42, v40, s0
; %bb.459:                              ;   in Loop: Header=BB378_328 Depth=1
	s_or_b32 exec_lo, exec_lo, s20
	v_and_b32_e32 v39, 0xffff0000, v39
	v_lshlrev_b32_e32 v8, 16, v8
	s_delay_alu instid0(VALU_DEP_1) | instskip(NEXT) | instid1(VALU_DEP_1)
	v_mul_f32_e32 v40, v39, v8
	v_and_b32_e32 v8, 0x7f800000, v40
	s_delay_alu instid0(VALU_DEP_1) | instskip(NEXT) | instid1(VALU_DEP_1)
	v_cmp_ne_u32_e64 s0, 0x7f800000, v8
                                        ; implicit-def: $vgpr8
	s_and_saveexec_b32 s20, s0
	s_delay_alu instid0(SALU_CYCLE_1)
	s_xor_b32 s0, exec_lo, s20
; %bb.460:                              ;   in Loop: Header=BB378_328 Depth=1
	v_bfe_u32 v8, v40, 16, 1
	s_delay_alu instid0(VALU_DEP_1)
	v_add3_u32 v8, v40, v8, 0x7fff
                                        ; implicit-def: $vgpr40
; %bb.461:                              ;   in Loop: Header=BB378_328 Depth=1
	s_and_not1_saveexec_b32 s20, s0
; %bb.462:                              ;   in Loop: Header=BB378_328 Depth=1
	v_and_b32_e32 v8, 0xffff, v40
	v_or_b32_e32 v42, 0x10000, v40
	s_delay_alu instid0(VALU_DEP_2) | instskip(NEXT) | instid1(VALU_DEP_1)
	v_cmp_eq_u32_e64 s0, 0, v8
	v_cndmask_b32_e64 v8, v42, v40, s0
; %bb.463:                              ;   in Loop: Header=BB378_328 Depth=1
	s_or_b32 exec_lo, exec_lo, s20
	v_and_b32_e32 v40, 0xffff0000, v25
	v_lshlrev_b32_e32 v25, 16, v41
	s_delay_alu instid0(VALU_DEP_1) | instskip(NEXT) | instid1(VALU_DEP_1)
	v_mul_f32_e32 v41, v40, v25
	v_and_b32_e32 v25, 0x7f800000, v41
	s_delay_alu instid0(VALU_DEP_1) | instskip(NEXT) | instid1(VALU_DEP_1)
	v_cmp_ne_u32_e64 s0, 0x7f800000, v25
                                        ; implicit-def: $vgpr25
	s_and_saveexec_b32 s20, s0
	s_delay_alu instid0(SALU_CYCLE_1)
	s_xor_b32 s0, exec_lo, s20
; %bb.464:                              ;   in Loop: Header=BB378_328 Depth=1
	v_bfe_u32 v25, v41, 16, 1
	s_delay_alu instid0(VALU_DEP_1)
	v_add3_u32 v25, v41, v25, 0x7fff
                                        ; implicit-def: $vgpr41
; %bb.465:                              ;   in Loop: Header=BB378_328 Depth=1
	s_and_not1_saveexec_b32 s20, s0
; %bb.466:                              ;   in Loop: Header=BB378_328 Depth=1
	v_and_b32_e32 v25, 0xffff, v41
	v_or_b32_e32 v42, 0x10000, v41
	s_delay_alu instid0(VALU_DEP_2) | instskip(NEXT) | instid1(VALU_DEP_1)
	v_cmp_eq_u32_e64 s0, 0, v25
	v_cndmask_b32_e64 v25, v42, v41, s0
; %bb.467:                              ;   in Loop: Header=BB378_328 Depth=1
	s_or_b32 exec_lo, exec_lo, s20
	v_and_b32_e32 v41, 0xffff0000, v26
	v_lshlrev_b32_e32 v10, 16, v10
	s_delay_alu instid0(VALU_DEP_1) | instskip(NEXT) | instid1(VALU_DEP_1)
	v_mul_f32_e32 v10, v41, v10
	v_and_b32_e32 v26, 0x7f800000, v10
	s_delay_alu instid0(VALU_DEP_1) | instskip(NEXT) | instid1(VALU_DEP_1)
	v_cmp_ne_u32_e64 s0, 0x7f800000, v26
                                        ; implicit-def: $vgpr26
	s_and_saveexec_b32 s20, s0
	s_delay_alu instid0(SALU_CYCLE_1)
	s_xor_b32 s0, exec_lo, s20
; %bb.468:                              ;   in Loop: Header=BB378_328 Depth=1
	v_bfe_u32 v26, v10, 16, 1
	s_delay_alu instid0(VALU_DEP_1)
	v_add3_u32 v26, v10, v26, 0x7fff
                                        ; implicit-def: $vgpr10
; %bb.469:                              ;   in Loop: Header=BB378_328 Depth=1
	s_and_not1_saveexec_b32 s20, s0
; %bb.470:                              ;   in Loop: Header=BB378_328 Depth=1
	v_and_b32_e32 v26, 0xffff, v10
	v_or_b32_e32 v42, 0x10000, v10
	s_delay_alu instid0(VALU_DEP_2) | instskip(NEXT) | instid1(VALU_DEP_1)
	v_cmp_eq_u32_e64 s0, 0, v26
	v_cndmask_b32_e64 v26, v42, v10, s0
; %bb.471:                              ;   in Loop: Header=BB378_328 Depth=1
	s_or_b32 exec_lo, exec_lo, s20
	v_and_b32_e32 v42, 0xffff0000, v27
	v_lshlrev_b32_e32 v6, 16, v6
                                        ; implicit-def: $vgpr27
	s_delay_alu instid0(VALU_DEP_1) | instskip(NEXT) | instid1(VALU_DEP_1)
	v_mul_f32_e32 v6, v42, v6
	v_and_b32_e32 v10, 0x7f800000, v6
	s_delay_alu instid0(VALU_DEP_1) | instskip(NEXT) | instid1(VALU_DEP_1)
	v_cmp_ne_u32_e64 s0, 0x7f800000, v10
	s_and_saveexec_b32 s20, s0
	s_delay_alu instid0(SALU_CYCLE_1)
	s_xor_b32 s0, exec_lo, s20
; %bb.472:                              ;   in Loop: Header=BB378_328 Depth=1
	v_bfe_u32 v10, v6, 16, 1
	s_delay_alu instid0(VALU_DEP_1)
	v_add3_u32 v27, v6, v10, 0x7fff
                                        ; implicit-def: $vgpr6
; %bb.473:                              ;   in Loop: Header=BB378_328 Depth=1
	s_and_not1_saveexec_b32 s20, s0
; %bb.474:                              ;   in Loop: Header=BB378_328 Depth=1
	v_and_b32_e32 v10, 0xffff, v6
	v_or_b32_e32 v27, 0x10000, v6
	s_delay_alu instid0(VALU_DEP_2) | instskip(NEXT) | instid1(VALU_DEP_1)
	v_cmp_eq_u32_e64 s0, 0, v10
	v_cndmask_b32_e64 v27, v27, v6, s0
; %bb.475:                              ;   in Loop: Header=BB378_328 Depth=1
	s_or_b32 exec_lo, exec_lo, s20
	v_and_b32_e32 v43, 0xffff0000, v28
	v_lshlrev_b32_e32 v5, 16, v5
                                        ; implicit-def: $vgpr28
	s_delay_alu instid0(VALU_DEP_1) | instskip(NEXT) | instid1(VALU_DEP_1)
	v_mul_f32_e32 v5, v43, v5
	v_and_b32_e32 v6, 0x7f800000, v5
	s_delay_alu instid0(VALU_DEP_1) | instskip(NEXT) | instid1(VALU_DEP_1)
	v_cmp_ne_u32_e64 s0, 0x7f800000, v6
	s_and_saveexec_b32 s20, s0
	s_delay_alu instid0(SALU_CYCLE_1)
	s_xor_b32 s0, exec_lo, s20
; %bb.476:                              ;   in Loop: Header=BB378_328 Depth=1
	v_bfe_u32 v6, v5, 16, 1
	s_delay_alu instid0(VALU_DEP_1)
	v_add3_u32 v28, v5, v6, 0x7fff
                                        ; implicit-def: $vgpr5
; %bb.477:                              ;   in Loop: Header=BB378_328 Depth=1
	s_and_not1_saveexec_b32 s20, s0
; %bb.478:                              ;   in Loop: Header=BB378_328 Depth=1
	v_and_b32_e32 v6, 0xffff, v5
	v_or_b32_e32 v10, 0x10000, v5
	s_delay_alu instid0(VALU_DEP_2) | instskip(NEXT) | instid1(VALU_DEP_1)
	v_cmp_eq_u32_e64 s0, 0, v6
	v_cndmask_b32_e64 v28, v10, v5, s0
; %bb.479:                              ;   in Loop: Header=BB378_328 Depth=1
	s_or_b32 exec_lo, exec_lo, s20
	v_and_b32_e32 v44, 0xffff0000, v29
	v_lshlrev_b32_e32 v4, 16, v4
                                        ; implicit-def: $vgpr29
	s_delay_alu instid0(VALU_DEP_1) | instskip(NEXT) | instid1(VALU_DEP_1)
	v_mul_f32_e32 v4, v44, v4
	v_and_b32_e32 v5, 0x7f800000, v4
	s_delay_alu instid0(VALU_DEP_1) | instskip(NEXT) | instid1(VALU_DEP_1)
	v_cmp_ne_u32_e64 s0, 0x7f800000, v5
	s_and_saveexec_b32 s20, s0
	s_delay_alu instid0(SALU_CYCLE_1)
	s_xor_b32 s0, exec_lo, s20
; %bb.480:                              ;   in Loop: Header=BB378_328 Depth=1
	v_bfe_u32 v5, v4, 16, 1
	s_delay_alu instid0(VALU_DEP_1)
	v_add3_u32 v29, v4, v5, 0x7fff
                                        ; implicit-def: $vgpr4
; %bb.481:                              ;   in Loop: Header=BB378_328 Depth=1
	s_and_not1_saveexec_b32 s20, s0
; %bb.482:                              ;   in Loop: Header=BB378_328 Depth=1
	v_and_b32_e32 v5, 0xffff, v4
	v_or_b32_e32 v6, 0x10000, v4
	s_delay_alu instid0(VALU_DEP_2) | instskip(NEXT) | instid1(VALU_DEP_1)
	v_cmp_eq_u32_e64 s0, 0, v5
	v_cndmask_b32_e64 v29, v6, v4, s0
; %bb.483:                              ;   in Loop: Header=BB378_328 Depth=1
	s_or_b32 exec_lo, exec_lo, s20
	v_and_b32_e32 v45, 0xffff0000, v30
	v_lshlrev_b32_e32 v3, 16, v3
                                        ; implicit-def: $vgpr30
	s_delay_alu instid0(VALU_DEP_1) | instskip(NEXT) | instid1(VALU_DEP_1)
	v_mul_f32_e32 v3, v45, v3
	v_and_b32_e32 v4, 0x7f800000, v3
	s_delay_alu instid0(VALU_DEP_1) | instskip(NEXT) | instid1(VALU_DEP_1)
	v_cmp_ne_u32_e64 s0, 0x7f800000, v4
	s_and_saveexec_b32 s20, s0
	s_delay_alu instid0(SALU_CYCLE_1)
	s_xor_b32 s0, exec_lo, s20
; %bb.484:                              ;   in Loop: Header=BB378_328 Depth=1
	v_bfe_u32 v4, v3, 16, 1
	s_delay_alu instid0(VALU_DEP_1)
	v_add3_u32 v30, v3, v4, 0x7fff
                                        ; implicit-def: $vgpr3
; %bb.485:                              ;   in Loop: Header=BB378_328 Depth=1
	s_and_not1_saveexec_b32 s20, s0
; %bb.486:                              ;   in Loop: Header=BB378_328 Depth=1
	v_and_b32_e32 v4, 0xffff, v3
	v_or_b32_e32 v5, 0x10000, v3
	s_delay_alu instid0(VALU_DEP_2) | instskip(NEXT) | instid1(VALU_DEP_1)
	v_cmp_eq_u32_e64 s0, 0, v4
	v_cndmask_b32_e64 v30, v5, v3, s0
; %bb.487:                              ;   in Loop: Header=BB378_328 Depth=1
	s_or_b32 exec_lo, exec_lo, s20
	global_load_b64 v[3:4], v[1:2], off offset:256
	s_mov_b32 s20, exec_lo
	s_waitcnt vmcnt(0)
	v_dual_mov_b32 v5, 0 :: v_dual_and_b32 v6, 0xff, v3
	s_delay_alu instid0(VALU_DEP_1)
	v_cmpx_ne_u16_e32 0, v6
	s_cbranch_execz .LBB378_493
; %bb.488:                              ;   in Loop: Header=BB378_328 Depth=1
	v_bfrev_b32_e32 v5, 1
	s_mov_b32 s21, exec_lo
	v_cmpx_ne_u16_e32 0x80, v6
	s_cbranch_execz .LBB378_492
; %bb.489:                              ;   in Loop: Header=BB378_328 Depth=1
	v_and_b32_e32 v6, 0x7f, v3
	v_mov_b32_e32 v5, 0x7f800001
	s_mov_b32 s22, exec_lo
	s_delay_alu instid0(VALU_DEP_2)
	v_cmpx_ne_u32_e32 0x7f, v6
	s_cbranch_execz .LBB378_491
; %bb.490:                              ;   in Loop: Header=BB378_328 Depth=1
	v_and_b32_e32 v5, 7, v3
	v_lshrrev_b32_e32 v10, 3, v6
	v_cmp_gt_u32_e64 s0, 8, v6
	s_delay_alu instid0(VALU_DEP_3) | instskip(NEXT) | instid1(VALU_DEP_1)
	v_clz_i32_u32_e32 v5, v5
	v_min_u32_e32 v5, 32, v5
	s_delay_alu instid0(VALU_DEP_1) | instskip(SKIP_1) | instid1(VALU_DEP_1)
	v_subrev_nc_u32_e32 v46, 28, v5
	v_sub_nc_u32_e32 v5, 29, v5
	v_cndmask_b32_e64 v10, v10, v5, s0
	s_delay_alu instid0(VALU_DEP_3) | instskip(NEXT) | instid1(VALU_DEP_2)
	v_cndmask_b32_e64 v5, 0, v46, s0
	v_lshl_add_u32 v10, v10, 23, 0x3c000000
	s_delay_alu instid0(VALU_DEP_2) | instskip(SKIP_1) | instid1(VALU_DEP_2)
	v_lshlrev_b64 v[5:6], v5, v[3:4]
	v_lshlrev_b32_e32 v6, 24, v3
	v_lshlrev_b32_e32 v5, 20, v5
	s_delay_alu instid0(VALU_DEP_2) | instskip(NEXT) | instid1(VALU_DEP_2)
	v_and_b32_e32 v6, 0x80000000, v6
	v_and_b32_e32 v5, 0x700000, v5
	s_delay_alu instid0(VALU_DEP_1)
	v_or3_b32 v5, v5, v6, v10
.LBB378_491:                            ;   in Loop: Header=BB378_328 Depth=1
	s_or_b32 exec_lo, exec_lo, s22
.LBB378_492:                            ;   in Loop: Header=BB378_328 Depth=1
	s_delay_alu instid0(SALU_CYCLE_1)
	s_or_b32 exec_lo, exec_lo, s21
.LBB378_493:                            ;   in Loop: Header=BB378_328 Depth=1
	s_delay_alu instid0(SALU_CYCLE_1) | instskip(NEXT) | instid1(VALU_DEP_1)
	s_or_b32 exec_lo, exec_lo, s20
	v_mul_f32_e32 v5, s18, v5
                                        ; implicit-def: $vgpr46
	s_delay_alu instid0(VALU_DEP_1) | instskip(NEXT) | instid1(VALU_DEP_1)
	v_and_b32_e32 v6, 0x7f800000, v5
	v_cmp_ne_u32_e64 s0, 0x7f800000, v6
	s_delay_alu instid0(VALU_DEP_1) | instskip(NEXT) | instid1(SALU_CYCLE_1)
	s_and_saveexec_b32 s20, s0
	s_xor_b32 s0, exec_lo, s20
; %bb.494:                              ;   in Loop: Header=BB378_328 Depth=1
	v_bfe_u32 v6, v5, 16, 1
	s_delay_alu instid0(VALU_DEP_1)
	v_add3_u32 v46, v5, v6, 0x7fff
                                        ; implicit-def: $vgpr5
; %bb.495:                              ;   in Loop: Header=BB378_328 Depth=1
	s_and_not1_saveexec_b32 s20, s0
; %bb.496:                              ;   in Loop: Header=BB378_328 Depth=1
	v_and_b32_e32 v6, 0xffff, v5
	v_or_b32_e32 v10, 0x10000, v5
	s_delay_alu instid0(VALU_DEP_2) | instskip(NEXT) | instid1(VALU_DEP_1)
	v_cmp_eq_u32_e64 s0, 0, v6
	v_cndmask_b32_e64 v46, v10, v5, s0
; %bb.497:                              ;   in Loop: Header=BB378_328 Depth=1
	s_or_b32 exec_lo, exec_lo, s20
	v_lshrrev_b16 v6, 8, v3
	v_mov_b32_e32 v5, 0
	s_mov_b32 s20, exec_lo
	s_delay_alu instid0(VALU_DEP_2)
	v_cmpx_ne_u16_e32 0, v6
	s_cbranch_execz .LBB378_505
; %bb.498:                              ;   in Loop: Header=BB378_328 Depth=1
	v_bfrev_b32_e32 v5, 1
	s_mov_b32 s21, exec_lo
	v_cmpx_ne_u16_e32 0x80, v6
	s_cbranch_execz .LBB378_504
; %bb.499:                              ;   in Loop: Header=BB378_328 Depth=1
	v_and_b32_e32 v10, 0xffff, v6
	v_mov_b32_e32 v5, 0x7f800001
	s_mov_b32 s22, exec_lo
	s_delay_alu instid0(VALU_DEP_2) | instskip(NEXT) | instid1(VALU_DEP_1)
	v_and_b32_e32 v6, 0x7f, v10
	v_cmpx_ne_u32_e32 0x7f, v6
	s_cbranch_execz .LBB378_503
; %bb.500:                              ;   in Loop: Header=BB378_328 Depth=1
	v_and_b32_e32 v10, 7, v10
	v_lshrrev_b32_e32 v5, 3, v6
	s_mov_b32 s23, exec_lo
	v_cmpx_gt_u32_e32 8, v6
; %bb.501:                              ;   in Loop: Header=BB378_328 Depth=1
	s_delay_alu instid0(VALU_DEP_3) | instskip(NEXT) | instid1(VALU_DEP_1)
	v_clz_i32_u32_e32 v5, v10
	v_min_u32_e32 v5, 32, v5
	s_delay_alu instid0(VALU_DEP_1) | instskip(SKIP_1) | instid1(VALU_DEP_2)
	v_subrev_nc_u32_e32 v6, 28, v5
	v_sub_nc_u32_e32 v5, 29, v5
	v_lshlrev_b64 v[47:48], v6, v[10:11]
	s_delay_alu instid0(VALU_DEP_1)
	v_and_b32_e32 v10, 7, v47
; %bb.502:                              ;   in Loop: Header=BB378_328 Depth=1
	s_or_b32 exec_lo, exec_lo, s23
	v_lshlrev_b32_e32 v6, 16, v3
	s_delay_alu instid0(VALU_DEP_2) | instskip(SKIP_1) | instid1(VALU_DEP_3)
	v_lshlrev_b32_e32 v10, 20, v10
	v_lshl_add_u32 v5, v5, 23, 0x3c000000
	v_and_b32_e32 v6, 0x80000000, v6
	s_delay_alu instid0(VALU_DEP_1)
	v_or3_b32 v5, v10, v6, v5
.LBB378_503:                            ;   in Loop: Header=BB378_328 Depth=1
	s_or_b32 exec_lo, exec_lo, s22
.LBB378_504:                            ;   in Loop: Header=BB378_328 Depth=1
	s_delay_alu instid0(SALU_CYCLE_1)
	s_or_b32 exec_lo, exec_lo, s21
.LBB378_505:                            ;   in Loop: Header=BB378_328 Depth=1
	s_delay_alu instid0(SALU_CYCLE_1) | instskip(NEXT) | instid1(VALU_DEP_1)
	s_or_b32 exec_lo, exec_lo, s20
	v_mul_f32_e32 v5, s18, v5
                                        ; implicit-def: $vgpr47
	s_delay_alu instid0(VALU_DEP_1) | instskip(NEXT) | instid1(VALU_DEP_1)
	v_and_b32_e32 v6, 0x7f800000, v5
	v_cmp_ne_u32_e64 s0, 0x7f800000, v6
	s_delay_alu instid0(VALU_DEP_1) | instskip(NEXT) | instid1(SALU_CYCLE_1)
	s_and_saveexec_b32 s20, s0
	s_xor_b32 s0, exec_lo, s20
; %bb.506:                              ;   in Loop: Header=BB378_328 Depth=1
	v_bfe_u32 v6, v5, 16, 1
	s_delay_alu instid0(VALU_DEP_1)
	v_add3_u32 v47, v5, v6, 0x7fff
                                        ; implicit-def: $vgpr5
; %bb.507:                              ;   in Loop: Header=BB378_328 Depth=1
	s_and_not1_saveexec_b32 s20, s0
; %bb.508:                              ;   in Loop: Header=BB378_328 Depth=1
	v_and_b32_e32 v6, 0xffff, v5
	v_or_b32_e32 v10, 0x10000, v5
	s_delay_alu instid0(VALU_DEP_2) | instskip(NEXT) | instid1(VALU_DEP_1)
	v_cmp_eq_u32_e64 s0, 0, v6
	v_cndmask_b32_e64 v47, v10, v5, s0
; %bb.509:                              ;   in Loop: Header=BB378_328 Depth=1
	s_or_b32 exec_lo, exec_lo, s20
	v_lshrrev_b32_e32 v5, 16, v3
	v_mov_b32_e32 v6, 0
	s_mov_b32 s20, exec_lo
	s_delay_alu instid0(VALU_DEP_2) | instskip(NEXT) | instid1(VALU_DEP_1)
	v_and_b32_e32 v10, 0xff, v5
	v_cmpx_ne_u16_e32 0, v10
	s_cbranch_execz .LBB378_517
; %bb.510:                              ;   in Loop: Header=BB378_328 Depth=1
	v_bfrev_b32_e32 v6, 1
	s_mov_b32 s21, exec_lo
	v_cmpx_ne_u16_e32 0x80, v10
	s_cbranch_execz .LBB378_516
; %bb.511:                              ;   in Loop: Header=BB378_328 Depth=1
	v_bfe_u32 v48, v3, 16, 7
	v_mov_b32_e32 v6, 0x7f800001
	s_mov_b32 s22, exec_lo
	s_delay_alu instid0(VALU_DEP_2)
	v_cmpx_ne_u32_e32 0x7f, v48
	s_cbranch_execz .LBB378_515
; %bb.512:                              ;   in Loop: Header=BB378_328 Depth=1
	v_and_b32_e32 v10, 7, v5
	v_lshrrev_b32_e32 v6, 3, v48
	s_mov_b32 s23, exec_lo
	v_cmpx_gt_u32_e32 8, v48
; %bb.513:                              ;   in Loop: Header=BB378_328 Depth=1
	s_delay_alu instid0(VALU_DEP_3) | instskip(NEXT) | instid1(VALU_DEP_1)
	v_clz_i32_u32_e32 v6, v10
	v_min_u32_e32 v6, 32, v6
	s_delay_alu instid0(VALU_DEP_1) | instskip(SKIP_1) | instid1(VALU_DEP_2)
	v_subrev_nc_u32_e32 v48, 28, v6
	v_sub_nc_u32_e32 v6, 29, v6
	v_lshlrev_b64 v[48:49], v48, v[10:11]
	s_delay_alu instid0(VALU_DEP_1)
	v_and_b32_e32 v10, 7, v48
; %bb.514:                              ;   in Loop: Header=BB378_328 Depth=1
	s_or_b32 exec_lo, exec_lo, s23
	v_lshlrev_b32_e32 v5, 24, v5
	s_delay_alu instid0(VALU_DEP_2) | instskip(SKIP_1) | instid1(VALU_DEP_3)
	v_lshlrev_b32_e32 v10, 20, v10
	v_lshl_add_u32 v6, v6, 23, 0x3c000000
	v_and_b32_e32 v5, 0x80000000, v5
	s_delay_alu instid0(VALU_DEP_1)
	v_or3_b32 v6, v10, v5, v6
.LBB378_515:                            ;   in Loop: Header=BB378_328 Depth=1
	s_or_b32 exec_lo, exec_lo, s22
.LBB378_516:                            ;   in Loop: Header=BB378_328 Depth=1
	s_delay_alu instid0(SALU_CYCLE_1)
	s_or_b32 exec_lo, exec_lo, s21
.LBB378_517:                            ;   in Loop: Header=BB378_328 Depth=1
	s_delay_alu instid0(SALU_CYCLE_1) | instskip(NEXT) | instid1(VALU_DEP_1)
	s_or_b32 exec_lo, exec_lo, s20
	v_mul_f32_e32 v5, s18, v6
                                        ; implicit-def: $vgpr48
	s_delay_alu instid0(VALU_DEP_1) | instskip(NEXT) | instid1(VALU_DEP_1)
	v_and_b32_e32 v6, 0x7f800000, v5
	v_cmp_ne_u32_e64 s0, 0x7f800000, v6
	s_delay_alu instid0(VALU_DEP_1) | instskip(NEXT) | instid1(SALU_CYCLE_1)
	s_and_saveexec_b32 s20, s0
	s_xor_b32 s0, exec_lo, s20
; %bb.518:                              ;   in Loop: Header=BB378_328 Depth=1
	v_bfe_u32 v6, v5, 16, 1
	s_delay_alu instid0(VALU_DEP_1)
	v_add3_u32 v48, v5, v6, 0x7fff
                                        ; implicit-def: $vgpr5
; %bb.519:                              ;   in Loop: Header=BB378_328 Depth=1
	s_and_not1_saveexec_b32 s20, s0
; %bb.520:                              ;   in Loop: Header=BB378_328 Depth=1
	v_and_b32_e32 v6, 0xffff, v5
	v_or_b32_e32 v10, 0x10000, v5
	s_delay_alu instid0(VALU_DEP_2) | instskip(NEXT) | instid1(VALU_DEP_1)
	v_cmp_eq_u32_e64 s0, 0, v6
	v_cndmask_b32_e64 v48, v10, v5, s0
; %bb.521:                              ;   in Loop: Header=BB378_328 Depth=1
	s_or_b32 exec_lo, exec_lo, s20
	v_mov_b32_e32 v6, 0
	s_mov_b32 s20, exec_lo
	v_cmpx_lt_u32_e32 0xffffff, v3
	s_cbranch_execz .LBB378_529
; %bb.522:                              ;   in Loop: Header=BB378_328 Depth=1
	v_lshrrev_b32_e32 v5, 24, v3
	v_bfrev_b32_e32 v6, 1
	s_mov_b32 s21, exec_lo
	s_delay_alu instid0(VALU_DEP_2)
	v_cmpx_ne_u32_e32 0x80, v5
	s_cbranch_execz .LBB378_528
; %bb.523:                              ;   in Loop: Header=BB378_328 Depth=1
	v_bfe_u32 v49, v3, 24, 7
	v_mov_b32_e32 v6, 0x7f800001
	s_mov_b32 s22, exec_lo
	s_delay_alu instid0(VALU_DEP_2)
	v_cmpx_ne_u32_e32 0x7f, v49
	s_cbranch_execz .LBB378_527
; %bb.524:                              ;   in Loop: Header=BB378_328 Depth=1
	v_and_b32_e32 v10, 7, v5
	v_lshrrev_b32_e32 v6, 3, v49
	s_mov_b32 s23, exec_lo
	v_cmpx_gt_u32_e32 8, v49
; %bb.525:                              ;   in Loop: Header=BB378_328 Depth=1
	s_delay_alu instid0(VALU_DEP_3) | instskip(NEXT) | instid1(VALU_DEP_1)
	v_clz_i32_u32_e32 v6, v10
	v_min_u32_e32 v6, 32, v6
	s_delay_alu instid0(VALU_DEP_1) | instskip(SKIP_1) | instid1(VALU_DEP_2)
	v_subrev_nc_u32_e32 v49, 28, v6
	v_sub_nc_u32_e32 v6, 29, v6
	v_lshlrev_b64 v[49:50], v49, v[10:11]
	s_delay_alu instid0(VALU_DEP_1)
	v_and_b32_e32 v10, 7, v49
; %bb.526:                              ;   in Loop: Header=BB378_328 Depth=1
	s_or_b32 exec_lo, exec_lo, s23
	v_lshlrev_b32_e32 v5, 24, v5
	s_delay_alu instid0(VALU_DEP_2) | instskip(SKIP_1) | instid1(VALU_DEP_3)
	v_lshlrev_b32_e32 v10, 20, v10
	v_lshl_add_u32 v6, v6, 23, 0x3c000000
	v_and_b32_e32 v5, 0x80000000, v5
	s_delay_alu instid0(VALU_DEP_1)
	v_or3_b32 v6, v10, v5, v6
.LBB378_527:                            ;   in Loop: Header=BB378_328 Depth=1
	s_or_b32 exec_lo, exec_lo, s22
.LBB378_528:                            ;   in Loop: Header=BB378_328 Depth=1
	s_delay_alu instid0(SALU_CYCLE_1)
	s_or_b32 exec_lo, exec_lo, s21
.LBB378_529:                            ;   in Loop: Header=BB378_328 Depth=1
	s_delay_alu instid0(SALU_CYCLE_1) | instskip(NEXT) | instid1(VALU_DEP_1)
	s_or_b32 exec_lo, exec_lo, s20
	v_mul_f32_e32 v5, s18, v6
                                        ; implicit-def: $vgpr49
	s_delay_alu instid0(VALU_DEP_1) | instskip(NEXT) | instid1(VALU_DEP_1)
	v_and_b32_e32 v6, 0x7f800000, v5
	v_cmp_ne_u32_e64 s0, 0x7f800000, v6
	s_delay_alu instid0(VALU_DEP_1) | instskip(NEXT) | instid1(SALU_CYCLE_1)
	s_and_saveexec_b32 s20, s0
	s_xor_b32 s0, exec_lo, s20
; %bb.530:                              ;   in Loop: Header=BB378_328 Depth=1
	v_bfe_u32 v6, v5, 16, 1
	s_delay_alu instid0(VALU_DEP_1)
	v_add3_u32 v49, v5, v6, 0x7fff
                                        ; implicit-def: $vgpr5
; %bb.531:                              ;   in Loop: Header=BB378_328 Depth=1
	s_and_not1_saveexec_b32 s20, s0
; %bb.532:                              ;   in Loop: Header=BB378_328 Depth=1
	v_and_b32_e32 v6, 0xffff, v5
	v_or_b32_e32 v10, 0x10000, v5
	s_delay_alu instid0(VALU_DEP_2) | instskip(NEXT) | instid1(VALU_DEP_1)
	v_cmp_eq_u32_e64 s0, 0, v6
	v_cndmask_b32_e64 v49, v10, v5, s0
; %bb.533:                              ;   in Loop: Header=BB378_328 Depth=1
	s_or_b32 exec_lo, exec_lo, s20
	v_dual_mov_b32 v5, 0 :: v_dual_and_b32 v6, 0xff, v4
	v_mov_b32_e32 v10, v4
	s_mov_b32 s20, exec_lo
	s_delay_alu instid0(VALU_DEP_2)
	v_cmpx_ne_u16_e32 0, v6
	s_cbranch_execz .LBB378_539
; %bb.534:                              ;   in Loop: Header=BB378_328 Depth=1
	v_bfrev_b32_e32 v5, 1
	s_mov_b32 s21, exec_lo
	v_cmpx_ne_u16_e32 0x80, v6
	s_cbranch_execz .LBB378_538
; %bb.535:                              ;   in Loop: Header=BB378_328 Depth=1
	v_and_b32_e32 v6, 0x7f, v4
	v_mov_b32_e32 v5, 0x7f800001
	s_mov_b32 s22, exec_lo
	s_delay_alu instid0(VALU_DEP_2)
	v_cmpx_ne_u32_e32 0x7f, v6
	s_cbranch_execz .LBB378_537
; %bb.536:                              ;   in Loop: Header=BB378_328 Depth=1
	v_and_b32_e32 v5, 7, v4
	v_lshrrev_b32_e32 v50, 3, v6
	v_cmp_gt_u32_e64 s0, 8, v6
	s_delay_alu instid0(VALU_DEP_3) | instskip(NEXT) | instid1(VALU_DEP_1)
	v_clz_i32_u32_e32 v5, v5
	v_min_u32_e32 v5, 32, v5
	s_delay_alu instid0(VALU_DEP_1) | instskip(SKIP_1) | instid1(VALU_DEP_1)
	v_subrev_nc_u32_e32 v51, 28, v5
	v_sub_nc_u32_e32 v5, 29, v5
	v_cndmask_b32_e64 v50, v50, v5, s0
	s_delay_alu instid0(VALU_DEP_3) | instskip(NEXT) | instid1(VALU_DEP_2)
	v_cndmask_b32_e64 v5, 0, v51, s0
	v_lshl_add_u32 v50, v50, 23, 0x3c000000
	s_delay_alu instid0(VALU_DEP_2) | instskip(SKIP_1) | instid1(VALU_DEP_2)
	v_lshlrev_b64 v[5:6], v5, v[10:11]
	v_lshlrev_b32_e32 v6, 24, v10
	v_lshlrev_b32_e32 v5, 20, v5
	s_delay_alu instid0(VALU_DEP_2) | instskip(NEXT) | instid1(VALU_DEP_2)
	v_and_b32_e32 v6, 0x80000000, v6
	v_and_b32_e32 v5, 0x700000, v5
	s_delay_alu instid0(VALU_DEP_1)
	v_or3_b32 v5, v5, v6, v50
.LBB378_537:                            ;   in Loop: Header=BB378_328 Depth=1
	s_or_b32 exec_lo, exec_lo, s22
.LBB378_538:                            ;   in Loop: Header=BB378_328 Depth=1
	s_delay_alu instid0(SALU_CYCLE_1)
	s_or_b32 exec_lo, exec_lo, s21
.LBB378_539:                            ;   in Loop: Header=BB378_328 Depth=1
	s_delay_alu instid0(SALU_CYCLE_1) | instskip(NEXT) | instid1(VALU_DEP_1)
	s_or_b32 exec_lo, exec_lo, s20
	v_mul_f32_e32 v5, s18, v5
                                        ; implicit-def: $vgpr50
	s_delay_alu instid0(VALU_DEP_1) | instskip(NEXT) | instid1(VALU_DEP_1)
	v_and_b32_e32 v6, 0x7f800000, v5
	v_cmp_ne_u32_e64 s0, 0x7f800000, v6
	s_delay_alu instid0(VALU_DEP_1) | instskip(NEXT) | instid1(SALU_CYCLE_1)
	s_and_saveexec_b32 s20, s0
	s_xor_b32 s0, exec_lo, s20
; %bb.540:                              ;   in Loop: Header=BB378_328 Depth=1
	v_bfe_u32 v6, v5, 16, 1
	s_delay_alu instid0(VALU_DEP_1)
	v_add3_u32 v50, v5, v6, 0x7fff
                                        ; implicit-def: $vgpr5
; %bb.541:                              ;   in Loop: Header=BB378_328 Depth=1
	s_and_not1_saveexec_b32 s20, s0
; %bb.542:                              ;   in Loop: Header=BB378_328 Depth=1
	v_and_b32_e32 v6, 0xffff, v5
	v_or_b32_e32 v50, 0x10000, v5
	s_delay_alu instid0(VALU_DEP_2) | instskip(NEXT) | instid1(VALU_DEP_1)
	v_cmp_eq_u32_e64 s0, 0, v6
	v_cndmask_b32_e64 v50, v50, v5, s0
; %bb.543:                              ;   in Loop: Header=BB378_328 Depth=1
	s_or_b32 exec_lo, exec_lo, s20
	v_lshrrev_b16 v6, 8, v10
	v_mov_b32_e32 v5, 0
	s_mov_b32 s20, exec_lo
	s_delay_alu instid0(VALU_DEP_2)
	v_cmpx_ne_u16_e32 0, v6
	s_cbranch_execz .LBB378_551
; %bb.544:                              ;   in Loop: Header=BB378_328 Depth=1
	v_bfrev_b32_e32 v5, 1
	s_mov_b32 s21, exec_lo
	v_cmpx_ne_u16_e32 0x80, v6
	s_cbranch_execz .LBB378_550
; %bb.545:                              ;   in Loop: Header=BB378_328 Depth=1
	v_and_b32_e32 v6, 0xffff, v6
	v_mov_b32_e32 v5, 0x7f800001
	s_mov_b32 s22, exec_lo
	s_delay_alu instid0(VALU_DEP_2) | instskip(NEXT) | instid1(VALU_DEP_1)
	v_and_b32_e32 v52, 0x7f, v6
	v_cmpx_ne_u32_e32 0x7f, v52
	s_cbranch_execz .LBB378_549
; %bb.546:                              ;   in Loop: Header=BB378_328 Depth=1
	v_dual_mov_b32 v6, v11 :: v_dual_and_b32 v5, 7, v6
	v_lshrrev_b32_e32 v51, 3, v52
	s_mov_b32 s23, exec_lo
	v_cmpx_gt_u32_e32 8, v52
; %bb.547:                              ;   in Loop: Header=BB378_328 Depth=1
	s_delay_alu instid0(VALU_DEP_3) | instskip(NEXT) | instid1(VALU_DEP_1)
	v_clz_i32_u32_e32 v51, v5
	v_min_u32_e32 v51, 32, v51
	s_delay_alu instid0(VALU_DEP_1) | instskip(SKIP_1) | instid1(VALU_DEP_2)
	v_subrev_nc_u32_e32 v52, 28, v51
	v_sub_nc_u32_e32 v51, 29, v51
	v_lshlrev_b64 v[5:6], v52, v[5:6]
	s_delay_alu instid0(VALU_DEP_1)
	v_and_b32_e32 v5, 7, v5
; %bb.548:                              ;   in Loop: Header=BB378_328 Depth=1
	s_or_b32 exec_lo, exec_lo, s23
	v_lshlrev_b32_e32 v6, 16, v10
	s_delay_alu instid0(VALU_DEP_2) | instskip(SKIP_1) | instid1(VALU_DEP_3)
	v_lshlrev_b32_e32 v5, 20, v5
	v_lshl_add_u32 v10, v51, 23, 0x3c000000
	v_and_b32_e32 v6, 0x80000000, v6
	s_delay_alu instid0(VALU_DEP_1)
	v_or3_b32 v5, v5, v6, v10
.LBB378_549:                            ;   in Loop: Header=BB378_328 Depth=1
	s_or_b32 exec_lo, exec_lo, s22
.LBB378_550:                            ;   in Loop: Header=BB378_328 Depth=1
	s_delay_alu instid0(SALU_CYCLE_1)
	s_or_b32 exec_lo, exec_lo, s21
.LBB378_551:                            ;   in Loop: Header=BB378_328 Depth=1
	s_delay_alu instid0(SALU_CYCLE_1) | instskip(NEXT) | instid1(VALU_DEP_1)
	s_or_b32 exec_lo, exec_lo, s20
	v_mul_f32_e32 v6, s18, v5
	s_delay_alu instid0(VALU_DEP_1) | instskip(NEXT) | instid1(VALU_DEP_1)
	v_and_b32_e32 v5, 0x7f800000, v6
	v_cmp_ne_u32_e64 s0, 0x7f800000, v5
                                        ; implicit-def: $vgpr5
	s_delay_alu instid0(VALU_DEP_1) | instskip(NEXT) | instid1(SALU_CYCLE_1)
	s_and_saveexec_b32 s20, s0
	s_xor_b32 s0, exec_lo, s20
; %bb.552:                              ;   in Loop: Header=BB378_328 Depth=1
	v_bfe_u32 v5, v6, 16, 1
	s_delay_alu instid0(VALU_DEP_1)
	v_add3_u32 v5, v6, v5, 0x7fff
                                        ; implicit-def: $vgpr6
; %bb.553:                              ;   in Loop: Header=BB378_328 Depth=1
	s_and_not1_saveexec_b32 s20, s0
; %bb.554:                              ;   in Loop: Header=BB378_328 Depth=1
	v_and_b32_e32 v5, 0xffff, v6
	v_or_b32_e32 v10, 0x10000, v6
	s_delay_alu instid0(VALU_DEP_2) | instskip(NEXT) | instid1(VALU_DEP_1)
	v_cmp_eq_u32_e64 s0, 0, v5
	v_cndmask_b32_e64 v5, v10, v6, s0
; %bb.555:                              ;   in Loop: Header=BB378_328 Depth=1
	s_or_b32 exec_lo, exec_lo, s20
	v_lshrrev_b32_e32 v6, 16, v4
	s_mov_b32 s20, exec_lo
	s_delay_alu instid0(VALU_DEP_1) | instskip(NEXT) | instid1(VALU_DEP_1)
	v_dual_mov_b32 v10, 0 :: v_dual_and_b32 v51, 0xff, v6
	v_cmpx_ne_u16_e32 0, v51
	s_cbranch_execz .LBB378_563
; %bb.556:                              ;   in Loop: Header=BB378_328 Depth=1
	v_bfrev_b32_e32 v10, 1
	s_mov_b32 s21, exec_lo
	v_cmpx_ne_u16_e32 0x80, v51
	s_cbranch_execz .LBB378_562
; %bb.557:                              ;   in Loop: Header=BB378_328 Depth=1
	v_bfe_u32 v52, v4, 16, 7
	v_mov_b32_e32 v10, 0x7f800001
	s_mov_b32 s22, exec_lo
	s_delay_alu instid0(VALU_DEP_2)
	v_cmpx_ne_u32_e32 0x7f, v52
	s_cbranch_execz .LBB378_561
; %bb.558:                              ;   in Loop: Header=BB378_328 Depth=1
	v_and_b32_e32 v10, 7, v6
	v_lshrrev_b32_e32 v51, 3, v52
	s_mov_b32 s23, exec_lo
	v_cmpx_gt_u32_e32 8, v52
; %bb.559:                              ;   in Loop: Header=BB378_328 Depth=1
	s_delay_alu instid0(VALU_DEP_3) | instskip(NEXT) | instid1(VALU_DEP_1)
	v_clz_i32_u32_e32 v51, v10
	v_min_u32_e32 v51, 32, v51
	s_delay_alu instid0(VALU_DEP_1) | instskip(SKIP_1) | instid1(VALU_DEP_2)
	v_subrev_nc_u32_e32 v52, 28, v51
	v_sub_nc_u32_e32 v51, 29, v51
	v_lshlrev_b64 v[52:53], v52, v[10:11]
	s_delay_alu instid0(VALU_DEP_1)
	v_and_b32_e32 v10, 7, v52
; %bb.560:                              ;   in Loop: Header=BB378_328 Depth=1
	s_or_b32 exec_lo, exec_lo, s23
	v_lshlrev_b32_e32 v6, 24, v6
	s_delay_alu instid0(VALU_DEP_2) | instskip(SKIP_1) | instid1(VALU_DEP_3)
	v_lshlrev_b32_e32 v10, 20, v10
	v_lshl_add_u32 v51, v51, 23, 0x3c000000
	v_and_b32_e32 v6, 0x80000000, v6
	s_delay_alu instid0(VALU_DEP_1)
	v_or3_b32 v10, v10, v6, v51
.LBB378_561:                            ;   in Loop: Header=BB378_328 Depth=1
	s_or_b32 exec_lo, exec_lo, s22
.LBB378_562:                            ;   in Loop: Header=BB378_328 Depth=1
	s_delay_alu instid0(SALU_CYCLE_1)
	s_or_b32 exec_lo, exec_lo, s21
.LBB378_563:                            ;   in Loop: Header=BB378_328 Depth=1
	s_delay_alu instid0(SALU_CYCLE_1) | instskip(NEXT) | instid1(VALU_DEP_1)
	s_or_b32 exec_lo, exec_lo, s20
	v_mul_f32_e32 v10, s18, v10
	s_delay_alu instid0(VALU_DEP_1) | instskip(NEXT) | instid1(VALU_DEP_1)
	v_and_b32_e32 v6, 0x7f800000, v10
	v_cmp_ne_u32_e64 s0, 0x7f800000, v6
                                        ; implicit-def: $vgpr6
	s_delay_alu instid0(VALU_DEP_1) | instskip(NEXT) | instid1(SALU_CYCLE_1)
	s_and_saveexec_b32 s20, s0
	s_xor_b32 s0, exec_lo, s20
; %bb.564:                              ;   in Loop: Header=BB378_328 Depth=1
	v_bfe_u32 v6, v10, 16, 1
	s_delay_alu instid0(VALU_DEP_1)
	v_add3_u32 v6, v10, v6, 0x7fff
                                        ; implicit-def: $vgpr10
; %bb.565:                              ;   in Loop: Header=BB378_328 Depth=1
	s_and_not1_saveexec_b32 s20, s0
; %bb.566:                              ;   in Loop: Header=BB378_328 Depth=1
	v_and_b32_e32 v6, 0xffff, v10
	v_or_b32_e32 v51, 0x10000, v10
	s_delay_alu instid0(VALU_DEP_2) | instskip(NEXT) | instid1(VALU_DEP_1)
	v_cmp_eq_u32_e64 s0, 0, v6
	v_cndmask_b32_e64 v6, v51, v10, s0
; %bb.567:                              ;   in Loop: Header=BB378_328 Depth=1
	s_or_b32 exec_lo, exec_lo, s20
	v_mov_b32_e32 v10, 0
	s_mov_b32 s20, exec_lo
	v_cmpx_lt_u64_e64 s[2:3], v[3:4]
	s_cbranch_execz .LBB378_575
; %bb.568:                              ;   in Loop: Header=BB378_328 Depth=1
	v_lshrrev_b32_e32 v3, 24, v4
	v_bfrev_b32_e32 v10, 1
	s_mov_b32 s21, exec_lo
	s_delay_alu instid0(VALU_DEP_2)
	v_cmpx_ne_u32_e32 0x80, v3
	s_cbranch_execz .LBB378_574
; %bb.569:                              ;   in Loop: Header=BB378_328 Depth=1
	v_bfe_u32 v51, v4, 24, 7
	v_mov_b32_e32 v10, 0x7f800001
	s_mov_b32 s22, exec_lo
	s_delay_alu instid0(VALU_DEP_2)
	v_cmpx_ne_u32_e32 0x7f, v51
	s_cbranch_execz .LBB378_573
; %bb.570:                              ;   in Loop: Header=BB378_328 Depth=1
	v_and_b32_e32 v10, 7, v3
	v_lshrrev_b32_e32 v4, 3, v51
	s_mov_b32 s23, exec_lo
	v_cmpx_gt_u32_e32 8, v51
; %bb.571:                              ;   in Loop: Header=BB378_328 Depth=1
	s_delay_alu instid0(VALU_DEP_3) | instskip(NEXT) | instid1(VALU_DEP_1)
	v_clz_i32_u32_e32 v4, v10
	v_min_u32_e32 v4, 32, v4
	s_delay_alu instid0(VALU_DEP_1) | instskip(SKIP_1) | instid1(VALU_DEP_2)
	v_subrev_nc_u32_e32 v51, 28, v4
	v_sub_nc_u32_e32 v4, 29, v4
	v_lshlrev_b64 v[51:52], v51, v[10:11]
	s_delay_alu instid0(VALU_DEP_1)
	v_and_b32_e32 v10, 7, v51
; %bb.572:                              ;   in Loop: Header=BB378_328 Depth=1
	s_or_b32 exec_lo, exec_lo, s23
	v_lshlrev_b32_e32 v3, 24, v3
	s_delay_alu instid0(VALU_DEP_2) | instskip(SKIP_1) | instid1(VALU_DEP_3)
	v_lshlrev_b32_e32 v10, 20, v10
	v_lshl_add_u32 v4, v4, 23, 0x3c000000
	v_and_b32_e32 v3, 0x80000000, v3
	s_delay_alu instid0(VALU_DEP_1)
	v_or3_b32 v10, v10, v3, v4
.LBB378_573:                            ;   in Loop: Header=BB378_328 Depth=1
	s_or_b32 exec_lo, exec_lo, s22
.LBB378_574:                            ;   in Loop: Header=BB378_328 Depth=1
	s_delay_alu instid0(SALU_CYCLE_1)
	s_or_b32 exec_lo, exec_lo, s21
.LBB378_575:                            ;   in Loop: Header=BB378_328 Depth=1
	s_delay_alu instid0(SALU_CYCLE_1) | instskip(NEXT) | instid1(VALU_DEP_1)
	s_or_b32 exec_lo, exec_lo, s20
	v_mul_f32_e32 v4, s18, v10
	s_delay_alu instid0(VALU_DEP_1) | instskip(NEXT) | instid1(VALU_DEP_1)
	v_and_b32_e32 v3, 0x7f800000, v4
	v_cmp_ne_u32_e64 s0, 0x7f800000, v3
                                        ; implicit-def: $vgpr3
	s_delay_alu instid0(VALU_DEP_1) | instskip(NEXT) | instid1(SALU_CYCLE_1)
	s_and_saveexec_b32 s20, s0
	s_xor_b32 s0, exec_lo, s20
; %bb.576:                              ;   in Loop: Header=BB378_328 Depth=1
	v_bfe_u32 v3, v4, 16, 1
	s_delay_alu instid0(VALU_DEP_1)
	v_add3_u32 v3, v4, v3, 0x7fff
                                        ; implicit-def: $vgpr4
; %bb.577:                              ;   in Loop: Header=BB378_328 Depth=1
	s_and_not1_saveexec_b32 s20, s0
; %bb.578:                              ;   in Loop: Header=BB378_328 Depth=1
	v_and_b32_e32 v3, 0xffff, v4
	v_or_b32_e32 v10, 0x10000, v4
	s_delay_alu instid0(VALU_DEP_2) | instskip(NEXT) | instid1(VALU_DEP_1)
	v_cmp_eq_u32_e64 s0, 0, v3
	v_cndmask_b32_e64 v3, v10, v4, s0
; %bb.579:                              ;   in Loop: Header=BB378_328 Depth=1
	s_or_b32 exec_lo, exec_lo, s20
	v_lshrrev_b32_e32 v10, 16, v5
	v_lshrrev_b32_e32 v50, 16, v50
	;; [unrolled: 1-line block ×8, first 2 shown]
	s_and_saveexec_b32 s20, vcc_lo
	s_cbranch_execz .LBB378_581
; %bb.580:                              ;   in Loop: Header=BB378_328 Depth=1
	v_cmp_gt_i32_e64 s0, s15, v24
	s_delay_alu instid0(VALU_DEP_1) | instskip(SKIP_1) | instid1(VALU_DEP_1)
	v_cndmask_b32_e64 v5, 0, v5, s0
	v_cmp_gt_i32_e64 s0, s15, v37
	v_cndmask_b32_e64 v47, 0, v47, s0
	v_cmp_gt_i32_e64 s0, s15, v36
	s_delay_alu instid0(VALU_DEP_1) | instskip(SKIP_1) | instid1(VALU_DEP_1)
	v_cndmask_b32_e64 v48, 0, v48, s0
	v_cmp_gt_i32_e64 s0, s15, v35
	v_cndmask_b32_e64 v49, 0, v49, s0
	v_cmp_gt_i32_e64 s0, s15, v34
	s_delay_alu instid0(VALU_DEP_1) | instskip(SKIP_1) | instid1(VALU_DEP_1)
	v_cndmask_b32_e64 v50, 0, v50, s0
	v_cmp_gt_i32_e64 s0, s15, v33
	v_cndmask_b32_e64 v10, 0, v10, s0
	v_cmp_gt_i32_e64 s0, s15, v32
	s_delay_alu instid0(VALU_DEP_1) | instskip(SKIP_1) | instid1(VALU_DEP_1)
	v_cndmask_b32_e64 v4, 0, v4, s0
	v_cmp_gt_i32_e64 s0, s15, v31
	v_cndmask_b32_e64 v3, 0, v3, s0
.LBB378_581:                            ;   in Loop: Header=BB378_328 Depth=1
	s_or_b32 exec_lo, exec_lo, s20
	v_lshlrev_b32_e32 v5, 16, v5
	s_delay_alu instid0(VALU_DEP_1) | instskip(NEXT) | instid1(VALU_DEP_1)
	v_mul_f32_e32 v6, v38, v5
	v_and_b32_e32 v5, 0x7f800000, v6
	s_delay_alu instid0(VALU_DEP_1) | instskip(NEXT) | instid1(VALU_DEP_1)
	v_cmp_ne_u32_e64 s0, 0x7f800000, v5
                                        ; implicit-def: $vgpr5
	s_and_saveexec_b32 s20, s0
	s_delay_alu instid0(SALU_CYCLE_1)
	s_xor_b32 s0, exec_lo, s20
; %bb.582:                              ;   in Loop: Header=BB378_328 Depth=1
	v_bfe_u32 v5, v6, 16, 1
	s_delay_alu instid0(VALU_DEP_1)
	v_add3_u32 v5, v6, v5, 0x7fff
                                        ; implicit-def: $vgpr6
; %bb.583:                              ;   in Loop: Header=BB378_328 Depth=1
	s_and_not1_saveexec_b32 s20, s0
; %bb.584:                              ;   in Loop: Header=BB378_328 Depth=1
	v_and_b32_e32 v5, 0xffff, v6
	v_or_b32_e32 v46, 0x10000, v6
	s_delay_alu instid0(VALU_DEP_2) | instskip(NEXT) | instid1(VALU_DEP_1)
	v_cmp_eq_u32_e64 s0, 0, v5
	v_cndmask_b32_e64 v5, v46, v6, s0
; %bb.585:                              ;   in Loop: Header=BB378_328 Depth=1
	s_or_b32 exec_lo, exec_lo, s20
	v_lshlrev_b32_e32 v6, 16, v47
	s_delay_alu instid0(VALU_DEP_1) | instskip(NEXT) | instid1(VALU_DEP_1)
	v_mul_f32_e32 v46, v39, v6
	v_and_b32_e32 v6, 0x7f800000, v46
	s_delay_alu instid0(VALU_DEP_1) | instskip(NEXT) | instid1(VALU_DEP_1)
	v_cmp_ne_u32_e64 s0, 0x7f800000, v6
                                        ; implicit-def: $vgpr6
	s_and_saveexec_b32 s20, s0
	s_delay_alu instid0(SALU_CYCLE_1)
	s_xor_b32 s0, exec_lo, s20
; %bb.586:                              ;   in Loop: Header=BB378_328 Depth=1
	v_bfe_u32 v6, v46, 16, 1
	s_delay_alu instid0(VALU_DEP_1)
	v_add3_u32 v6, v46, v6, 0x7fff
                                        ; implicit-def: $vgpr46
; %bb.587:                              ;   in Loop: Header=BB378_328 Depth=1
	s_and_not1_saveexec_b32 s20, s0
; %bb.588:                              ;   in Loop: Header=BB378_328 Depth=1
	v_and_b32_e32 v6, 0xffff, v46
	v_or_b32_e32 v47, 0x10000, v46
	s_delay_alu instid0(VALU_DEP_2) | instskip(NEXT) | instid1(VALU_DEP_1)
	v_cmp_eq_u32_e64 s0, 0, v6
	v_cndmask_b32_e64 v6, v47, v46, s0
; %bb.589:                              ;   in Loop: Header=BB378_328 Depth=1
	s_or_b32 exec_lo, exec_lo, s20
	v_lshlrev_b32_e32 v46, 16, v48
	s_delay_alu instid0(VALU_DEP_1) | instskip(NEXT) | instid1(VALU_DEP_1)
	v_mul_f32_e32 v47, v40, v46
	v_and_b32_e32 v46, 0x7f800000, v47
	s_delay_alu instid0(VALU_DEP_1) | instskip(NEXT) | instid1(VALU_DEP_1)
	v_cmp_ne_u32_e64 s0, 0x7f800000, v46
                                        ; implicit-def: $vgpr46
	s_and_saveexec_b32 s20, s0
	s_delay_alu instid0(SALU_CYCLE_1)
	s_xor_b32 s0, exec_lo, s20
; %bb.590:                              ;   in Loop: Header=BB378_328 Depth=1
	v_bfe_u32 v46, v47, 16, 1
	s_delay_alu instid0(VALU_DEP_1)
	v_add3_u32 v46, v47, v46, 0x7fff
                                        ; implicit-def: $vgpr47
; %bb.591:                              ;   in Loop: Header=BB378_328 Depth=1
	s_and_not1_saveexec_b32 s20, s0
; %bb.592:                              ;   in Loop: Header=BB378_328 Depth=1
	v_and_b32_e32 v46, 0xffff, v47
	v_or_b32_e32 v48, 0x10000, v47
	s_delay_alu instid0(VALU_DEP_2) | instskip(NEXT) | instid1(VALU_DEP_1)
	v_cmp_eq_u32_e64 s0, 0, v46
	v_cndmask_b32_e64 v46, v48, v47, s0
; %bb.593:                              ;   in Loop: Header=BB378_328 Depth=1
	s_or_b32 exec_lo, exec_lo, s20
	v_lshlrev_b32_e32 v47, 16, v49
	s_delay_alu instid0(VALU_DEP_1) | instskip(NEXT) | instid1(VALU_DEP_1)
	v_mul_f32_e32 v48, v41, v47
	v_and_b32_e32 v47, 0x7f800000, v48
	s_delay_alu instid0(VALU_DEP_1) | instskip(NEXT) | instid1(VALU_DEP_1)
	v_cmp_ne_u32_e64 s0, 0x7f800000, v47
                                        ; implicit-def: $vgpr47
	s_and_saveexec_b32 s20, s0
	s_delay_alu instid0(SALU_CYCLE_1)
	s_xor_b32 s0, exec_lo, s20
; %bb.594:                              ;   in Loop: Header=BB378_328 Depth=1
	v_bfe_u32 v47, v48, 16, 1
	s_delay_alu instid0(VALU_DEP_1)
	v_add3_u32 v47, v48, v47, 0x7fff
                                        ; implicit-def: $vgpr48
; %bb.595:                              ;   in Loop: Header=BB378_328 Depth=1
	s_and_not1_saveexec_b32 s20, s0
; %bb.596:                              ;   in Loop: Header=BB378_328 Depth=1
	v_and_b32_e32 v47, 0xffff, v48
	v_or_b32_e32 v49, 0x10000, v48
	s_delay_alu instid0(VALU_DEP_2) | instskip(NEXT) | instid1(VALU_DEP_1)
	v_cmp_eq_u32_e64 s0, 0, v47
	v_cndmask_b32_e64 v47, v49, v48, s0
; %bb.597:                              ;   in Loop: Header=BB378_328 Depth=1
	s_or_b32 exec_lo, exec_lo, s20
	v_lshlrev_b32_e32 v48, 16, v50
	s_delay_alu instid0(VALU_DEP_1) | instskip(NEXT) | instid1(VALU_DEP_1)
	v_mul_f32_e32 v49, v42, v48
	v_and_b32_e32 v48, 0x7f800000, v49
	s_delay_alu instid0(VALU_DEP_1) | instskip(NEXT) | instid1(VALU_DEP_1)
	v_cmp_ne_u32_e64 s0, 0x7f800000, v48
                                        ; implicit-def: $vgpr48
	s_and_saveexec_b32 s20, s0
	s_delay_alu instid0(SALU_CYCLE_1)
	s_xor_b32 s0, exec_lo, s20
; %bb.598:                              ;   in Loop: Header=BB378_328 Depth=1
	v_bfe_u32 v48, v49, 16, 1
	s_delay_alu instid0(VALU_DEP_1)
	v_add3_u32 v48, v49, v48, 0x7fff
                                        ; implicit-def: $vgpr49
; %bb.599:                              ;   in Loop: Header=BB378_328 Depth=1
	s_and_not1_saveexec_b32 s20, s0
; %bb.600:                              ;   in Loop: Header=BB378_328 Depth=1
	v_and_b32_e32 v48, 0xffff, v49
	v_or_b32_e32 v50, 0x10000, v49
	s_delay_alu instid0(VALU_DEP_2) | instskip(NEXT) | instid1(VALU_DEP_1)
	v_cmp_eq_u32_e64 s0, 0, v48
	v_cndmask_b32_e64 v48, v50, v49, s0
; %bb.601:                              ;   in Loop: Header=BB378_328 Depth=1
	s_or_b32 exec_lo, exec_lo, s20
	v_lshlrev_b32_e32 v10, 16, v10
	s_delay_alu instid0(VALU_DEP_1) | instskip(NEXT) | instid1(VALU_DEP_1)
	v_mul_f32_e32 v10, v43, v10
	v_and_b32_e32 v49, 0x7f800000, v10
	s_delay_alu instid0(VALU_DEP_1) | instskip(NEXT) | instid1(VALU_DEP_1)
	v_cmp_ne_u32_e64 s0, 0x7f800000, v49
                                        ; implicit-def: $vgpr49
	s_and_saveexec_b32 s20, s0
	s_delay_alu instid0(SALU_CYCLE_1)
	s_xor_b32 s0, exec_lo, s20
; %bb.602:                              ;   in Loop: Header=BB378_328 Depth=1
	v_bfe_u32 v49, v10, 16, 1
	s_delay_alu instid0(VALU_DEP_1)
	v_add3_u32 v49, v10, v49, 0x7fff
                                        ; implicit-def: $vgpr10
; %bb.603:                              ;   in Loop: Header=BB378_328 Depth=1
	s_and_not1_saveexec_b32 s20, s0
; %bb.604:                              ;   in Loop: Header=BB378_328 Depth=1
	v_and_b32_e32 v49, 0xffff, v10
	v_or_b32_e32 v50, 0x10000, v10
	s_delay_alu instid0(VALU_DEP_2) | instskip(NEXT) | instid1(VALU_DEP_1)
	v_cmp_eq_u32_e64 s0, 0, v49
	v_cndmask_b32_e64 v49, v50, v10, s0
; %bb.605:                              ;   in Loop: Header=BB378_328 Depth=1
	s_or_b32 exec_lo, exec_lo, s20
	v_lshlrev_b32_e32 v4, 16, v4
                                        ; implicit-def: $vgpr50
	s_delay_alu instid0(VALU_DEP_1) | instskip(NEXT) | instid1(VALU_DEP_1)
	v_mul_f32_e32 v4, v44, v4
	v_and_b32_e32 v10, 0x7f800000, v4
	s_delay_alu instid0(VALU_DEP_1) | instskip(NEXT) | instid1(VALU_DEP_1)
	v_cmp_ne_u32_e64 s0, 0x7f800000, v10
	s_and_saveexec_b32 s20, s0
	s_delay_alu instid0(SALU_CYCLE_1)
	s_xor_b32 s0, exec_lo, s20
; %bb.606:                              ;   in Loop: Header=BB378_328 Depth=1
	v_bfe_u32 v10, v4, 16, 1
	s_delay_alu instid0(VALU_DEP_1)
	v_add3_u32 v50, v4, v10, 0x7fff
                                        ; implicit-def: $vgpr4
; %bb.607:                              ;   in Loop: Header=BB378_328 Depth=1
	s_and_not1_saveexec_b32 s20, s0
; %bb.608:                              ;   in Loop: Header=BB378_328 Depth=1
	v_and_b32_e32 v10, 0xffff, v4
	v_or_b32_e32 v50, 0x10000, v4
	s_delay_alu instid0(VALU_DEP_2) | instskip(NEXT) | instid1(VALU_DEP_1)
	v_cmp_eq_u32_e64 s0, 0, v10
	v_cndmask_b32_e64 v50, v50, v4, s0
; %bb.609:                              ;   in Loop: Header=BB378_328 Depth=1
	s_or_b32 exec_lo, exec_lo, s20
	v_lshlrev_b32_e32 v3, 16, v3
                                        ; implicit-def: $vgpr51
	s_delay_alu instid0(VALU_DEP_1) | instskip(NEXT) | instid1(VALU_DEP_1)
	v_mul_f32_e32 v3, v45, v3
	v_and_b32_e32 v4, 0x7f800000, v3
	s_delay_alu instid0(VALU_DEP_1) | instskip(NEXT) | instid1(VALU_DEP_1)
	v_cmp_ne_u32_e64 s0, 0x7f800000, v4
	s_and_saveexec_b32 s20, s0
	s_delay_alu instid0(SALU_CYCLE_1)
	s_xor_b32 s0, exec_lo, s20
; %bb.610:                              ;   in Loop: Header=BB378_328 Depth=1
	v_bfe_u32 v4, v3, 16, 1
	s_delay_alu instid0(VALU_DEP_1)
	v_add3_u32 v51, v3, v4, 0x7fff
                                        ; implicit-def: $vgpr3
; %bb.611:                              ;   in Loop: Header=BB378_328 Depth=1
	s_and_not1_saveexec_b32 s20, s0
; %bb.612:                              ;   in Loop: Header=BB378_328 Depth=1
	v_and_b32_e32 v4, 0xffff, v3
	v_or_b32_e32 v10, 0x10000, v3
	s_delay_alu instid0(VALU_DEP_2) | instskip(NEXT) | instid1(VALU_DEP_1)
	v_cmp_eq_u32_e64 s0, 0, v4
	v_cndmask_b32_e64 v51, v10, v3, s0
; %bb.613:                              ;   in Loop: Header=BB378_328 Depth=1
	s_or_b32 exec_lo, exec_lo, s20
	global_load_b64 v[1:2], v[1:2], off offset:512
	s_mov_b32 s20, exec_lo
	s_waitcnt vmcnt(0)
	v_dual_mov_b32 v3, 0 :: v_dual_and_b32 v4, 0xff, v1
	s_delay_alu instid0(VALU_DEP_1)
	v_cmpx_ne_u16_e32 0, v4
	s_cbranch_execz .LBB378_619
; %bb.614:                              ;   in Loop: Header=BB378_328 Depth=1
	v_bfrev_b32_e32 v3, 1
	s_mov_b32 s21, exec_lo
	v_cmpx_ne_u16_e32 0x80, v4
	s_cbranch_execz .LBB378_618
; %bb.615:                              ;   in Loop: Header=BB378_328 Depth=1
	v_and_b32_e32 v4, 0x7f, v1
	v_mov_b32_e32 v3, 0x7f800001
	s_mov_b32 s22, exec_lo
	s_delay_alu instid0(VALU_DEP_2)
	v_cmpx_ne_u32_e32 0x7f, v4
	s_cbranch_execz .LBB378_617
; %bb.616:                              ;   in Loop: Header=BB378_328 Depth=1
	v_and_b32_e32 v3, 7, v1
	v_lshrrev_b32_e32 v10, 3, v4
	v_cmp_gt_u32_e64 s0, 8, v4
	s_delay_alu instid0(VALU_DEP_3) | instskip(NEXT) | instid1(VALU_DEP_1)
	v_clz_i32_u32_e32 v3, v3
	v_min_u32_e32 v3, 32, v3
	s_delay_alu instid0(VALU_DEP_1) | instskip(SKIP_1) | instid1(VALU_DEP_1)
	v_subrev_nc_u32_e32 v52, 28, v3
	v_sub_nc_u32_e32 v3, 29, v3
	v_cndmask_b32_e64 v10, v10, v3, s0
	s_delay_alu instid0(VALU_DEP_3) | instskip(NEXT) | instid1(VALU_DEP_2)
	v_cndmask_b32_e64 v3, 0, v52, s0
	v_lshl_add_u32 v10, v10, 23, 0x3c000000
	s_delay_alu instid0(VALU_DEP_2) | instskip(SKIP_1) | instid1(VALU_DEP_2)
	v_lshlrev_b64 v[3:4], v3, v[1:2]
	v_lshlrev_b32_e32 v4, 24, v1
	v_lshlrev_b32_e32 v3, 20, v3
	s_delay_alu instid0(VALU_DEP_2) | instskip(NEXT) | instid1(VALU_DEP_2)
	v_and_b32_e32 v4, 0x80000000, v4
	v_and_b32_e32 v3, 0x700000, v3
	s_delay_alu instid0(VALU_DEP_1)
	v_or3_b32 v3, v3, v4, v10
.LBB378_617:                            ;   in Loop: Header=BB378_328 Depth=1
	s_or_b32 exec_lo, exec_lo, s22
.LBB378_618:                            ;   in Loop: Header=BB378_328 Depth=1
	s_delay_alu instid0(SALU_CYCLE_1)
	s_or_b32 exec_lo, exec_lo, s21
.LBB378_619:                            ;   in Loop: Header=BB378_328 Depth=1
	s_delay_alu instid0(SALU_CYCLE_1) | instskip(NEXT) | instid1(VALU_DEP_1)
	s_or_b32 exec_lo, exec_lo, s20
	v_mul_f32_e32 v3, s18, v3
                                        ; implicit-def: $vgpr52
	s_delay_alu instid0(VALU_DEP_1) | instskip(NEXT) | instid1(VALU_DEP_1)
	v_and_b32_e32 v4, 0x7f800000, v3
	v_cmp_ne_u32_e64 s0, 0x7f800000, v4
	s_delay_alu instid0(VALU_DEP_1) | instskip(NEXT) | instid1(SALU_CYCLE_1)
	s_and_saveexec_b32 s20, s0
	s_xor_b32 s0, exec_lo, s20
; %bb.620:                              ;   in Loop: Header=BB378_328 Depth=1
	v_bfe_u32 v4, v3, 16, 1
	s_delay_alu instid0(VALU_DEP_1)
	v_add3_u32 v52, v3, v4, 0x7fff
                                        ; implicit-def: $vgpr3
; %bb.621:                              ;   in Loop: Header=BB378_328 Depth=1
	s_and_not1_saveexec_b32 s20, s0
; %bb.622:                              ;   in Loop: Header=BB378_328 Depth=1
	v_and_b32_e32 v4, 0xffff, v3
	v_or_b32_e32 v10, 0x10000, v3
	s_delay_alu instid0(VALU_DEP_2) | instskip(NEXT) | instid1(VALU_DEP_1)
	v_cmp_eq_u32_e64 s0, 0, v4
	v_cndmask_b32_e64 v52, v10, v3, s0
; %bb.623:                              ;   in Loop: Header=BB378_328 Depth=1
	s_or_b32 exec_lo, exec_lo, s20
	v_lshrrev_b16 v4, 8, v1
	v_mov_b32_e32 v3, 0
	s_mov_b32 s20, exec_lo
	s_delay_alu instid0(VALU_DEP_2)
	v_cmpx_ne_u16_e32 0, v4
	s_cbranch_execz .LBB378_631
; %bb.624:                              ;   in Loop: Header=BB378_328 Depth=1
	v_bfrev_b32_e32 v3, 1
	s_mov_b32 s21, exec_lo
	v_cmpx_ne_u16_e32 0x80, v4
	s_cbranch_execz .LBB378_630
; %bb.625:                              ;   in Loop: Header=BB378_328 Depth=1
	v_and_b32_e32 v10, 0xffff, v4
	v_mov_b32_e32 v3, 0x7f800001
	s_mov_b32 s22, exec_lo
	s_delay_alu instid0(VALU_DEP_2) | instskip(NEXT) | instid1(VALU_DEP_1)
	v_and_b32_e32 v4, 0x7f, v10
	v_cmpx_ne_u32_e32 0x7f, v4
	s_cbranch_execz .LBB378_629
; %bb.626:                              ;   in Loop: Header=BB378_328 Depth=1
	v_and_b32_e32 v10, 7, v10
	v_lshrrev_b32_e32 v3, 3, v4
	s_mov_b32 s23, exec_lo
	v_cmpx_gt_u32_e32 8, v4
; %bb.627:                              ;   in Loop: Header=BB378_328 Depth=1
	s_delay_alu instid0(VALU_DEP_3) | instskip(NEXT) | instid1(VALU_DEP_1)
	v_clz_i32_u32_e32 v3, v10
	v_min_u32_e32 v3, 32, v3
	s_delay_alu instid0(VALU_DEP_1) | instskip(SKIP_1) | instid1(VALU_DEP_2)
	v_subrev_nc_u32_e32 v4, 28, v3
	v_sub_nc_u32_e32 v3, 29, v3
	v_lshlrev_b64 v[53:54], v4, v[10:11]
	s_delay_alu instid0(VALU_DEP_1)
	v_and_b32_e32 v10, 7, v53
; %bb.628:                              ;   in Loop: Header=BB378_328 Depth=1
	s_or_b32 exec_lo, exec_lo, s23
	v_lshlrev_b32_e32 v4, 16, v1
	s_delay_alu instid0(VALU_DEP_2) | instskip(SKIP_1) | instid1(VALU_DEP_3)
	v_lshlrev_b32_e32 v10, 20, v10
	v_lshl_add_u32 v3, v3, 23, 0x3c000000
	v_and_b32_e32 v4, 0x80000000, v4
	s_delay_alu instid0(VALU_DEP_1)
	v_or3_b32 v3, v10, v4, v3
.LBB378_629:                            ;   in Loop: Header=BB378_328 Depth=1
	s_or_b32 exec_lo, exec_lo, s22
.LBB378_630:                            ;   in Loop: Header=BB378_328 Depth=1
	s_delay_alu instid0(SALU_CYCLE_1)
	s_or_b32 exec_lo, exec_lo, s21
.LBB378_631:                            ;   in Loop: Header=BB378_328 Depth=1
	s_delay_alu instid0(SALU_CYCLE_1) | instskip(NEXT) | instid1(VALU_DEP_1)
	s_or_b32 exec_lo, exec_lo, s20
	v_mul_f32_e32 v3, s18, v3
                                        ; implicit-def: $vgpr53
	s_delay_alu instid0(VALU_DEP_1) | instskip(NEXT) | instid1(VALU_DEP_1)
	v_and_b32_e32 v4, 0x7f800000, v3
	v_cmp_ne_u32_e64 s0, 0x7f800000, v4
	s_delay_alu instid0(VALU_DEP_1) | instskip(NEXT) | instid1(SALU_CYCLE_1)
	s_and_saveexec_b32 s20, s0
	s_xor_b32 s0, exec_lo, s20
; %bb.632:                              ;   in Loop: Header=BB378_328 Depth=1
	v_bfe_u32 v4, v3, 16, 1
	s_delay_alu instid0(VALU_DEP_1)
	v_add3_u32 v53, v3, v4, 0x7fff
                                        ; implicit-def: $vgpr3
; %bb.633:                              ;   in Loop: Header=BB378_328 Depth=1
	s_and_not1_saveexec_b32 s20, s0
; %bb.634:                              ;   in Loop: Header=BB378_328 Depth=1
	v_and_b32_e32 v4, 0xffff, v3
	v_or_b32_e32 v10, 0x10000, v3
	s_delay_alu instid0(VALU_DEP_2) | instskip(NEXT) | instid1(VALU_DEP_1)
	v_cmp_eq_u32_e64 s0, 0, v4
	v_cndmask_b32_e64 v53, v10, v3, s0
; %bb.635:                              ;   in Loop: Header=BB378_328 Depth=1
	s_or_b32 exec_lo, exec_lo, s20
	v_lshrrev_b32_e32 v3, 16, v1
	v_mov_b32_e32 v4, 0
	s_mov_b32 s20, exec_lo
	s_delay_alu instid0(VALU_DEP_2) | instskip(NEXT) | instid1(VALU_DEP_1)
	v_and_b32_e32 v10, 0xff, v3
	v_cmpx_ne_u16_e32 0, v10
	s_cbranch_execz .LBB378_643
; %bb.636:                              ;   in Loop: Header=BB378_328 Depth=1
	v_bfrev_b32_e32 v4, 1
	s_mov_b32 s21, exec_lo
	v_cmpx_ne_u16_e32 0x80, v10
	s_cbranch_execz .LBB378_642
; %bb.637:                              ;   in Loop: Header=BB378_328 Depth=1
	v_bfe_u32 v54, v1, 16, 7
	v_mov_b32_e32 v4, 0x7f800001
	s_mov_b32 s22, exec_lo
	s_delay_alu instid0(VALU_DEP_2)
	v_cmpx_ne_u32_e32 0x7f, v54
	s_cbranch_execz .LBB378_641
; %bb.638:                              ;   in Loop: Header=BB378_328 Depth=1
	v_and_b32_e32 v10, 7, v3
	v_lshrrev_b32_e32 v4, 3, v54
	s_mov_b32 s23, exec_lo
	v_cmpx_gt_u32_e32 8, v54
; %bb.639:                              ;   in Loop: Header=BB378_328 Depth=1
	s_delay_alu instid0(VALU_DEP_3) | instskip(NEXT) | instid1(VALU_DEP_1)
	v_clz_i32_u32_e32 v4, v10
	v_min_u32_e32 v4, 32, v4
	s_delay_alu instid0(VALU_DEP_1) | instskip(SKIP_1) | instid1(VALU_DEP_2)
	v_subrev_nc_u32_e32 v54, 28, v4
	v_sub_nc_u32_e32 v4, 29, v4
	v_lshlrev_b64 v[54:55], v54, v[10:11]
	s_delay_alu instid0(VALU_DEP_1)
	v_and_b32_e32 v10, 7, v54
; %bb.640:                              ;   in Loop: Header=BB378_328 Depth=1
	s_or_b32 exec_lo, exec_lo, s23
	v_lshlrev_b32_e32 v3, 24, v3
	s_delay_alu instid0(VALU_DEP_2) | instskip(SKIP_1) | instid1(VALU_DEP_3)
	v_lshlrev_b32_e32 v10, 20, v10
	v_lshl_add_u32 v4, v4, 23, 0x3c000000
	v_and_b32_e32 v3, 0x80000000, v3
	s_delay_alu instid0(VALU_DEP_1)
	v_or3_b32 v4, v10, v3, v4
.LBB378_641:                            ;   in Loop: Header=BB378_328 Depth=1
	s_or_b32 exec_lo, exec_lo, s22
.LBB378_642:                            ;   in Loop: Header=BB378_328 Depth=1
	s_delay_alu instid0(SALU_CYCLE_1)
	s_or_b32 exec_lo, exec_lo, s21
.LBB378_643:                            ;   in Loop: Header=BB378_328 Depth=1
	s_delay_alu instid0(SALU_CYCLE_1) | instskip(NEXT) | instid1(VALU_DEP_1)
	s_or_b32 exec_lo, exec_lo, s20
	v_mul_f32_e32 v3, s18, v4
                                        ; implicit-def: $vgpr54
	s_delay_alu instid0(VALU_DEP_1) | instskip(NEXT) | instid1(VALU_DEP_1)
	v_and_b32_e32 v4, 0x7f800000, v3
	v_cmp_ne_u32_e64 s0, 0x7f800000, v4
	s_delay_alu instid0(VALU_DEP_1) | instskip(NEXT) | instid1(SALU_CYCLE_1)
	s_and_saveexec_b32 s20, s0
	s_xor_b32 s0, exec_lo, s20
; %bb.644:                              ;   in Loop: Header=BB378_328 Depth=1
	v_bfe_u32 v4, v3, 16, 1
	s_delay_alu instid0(VALU_DEP_1)
	v_add3_u32 v54, v3, v4, 0x7fff
                                        ; implicit-def: $vgpr3
; %bb.645:                              ;   in Loop: Header=BB378_328 Depth=1
	s_and_not1_saveexec_b32 s20, s0
; %bb.646:                              ;   in Loop: Header=BB378_328 Depth=1
	v_and_b32_e32 v4, 0xffff, v3
	v_or_b32_e32 v10, 0x10000, v3
	s_delay_alu instid0(VALU_DEP_2) | instskip(NEXT) | instid1(VALU_DEP_1)
	v_cmp_eq_u32_e64 s0, 0, v4
	v_cndmask_b32_e64 v54, v10, v3, s0
; %bb.647:                              ;   in Loop: Header=BB378_328 Depth=1
	s_or_b32 exec_lo, exec_lo, s20
	v_mov_b32_e32 v4, 0
	s_mov_b32 s20, exec_lo
	v_cmpx_lt_u32_e32 0xffffff, v1
	s_cbranch_execz .LBB378_655
; %bb.648:                              ;   in Loop: Header=BB378_328 Depth=1
	v_lshrrev_b32_e32 v3, 24, v1
	v_bfrev_b32_e32 v4, 1
	s_mov_b32 s21, exec_lo
	s_delay_alu instid0(VALU_DEP_2)
	v_cmpx_ne_u32_e32 0x80, v3
	s_cbranch_execz .LBB378_654
; %bb.649:                              ;   in Loop: Header=BB378_328 Depth=1
	v_bfe_u32 v55, v1, 24, 7
	v_mov_b32_e32 v4, 0x7f800001
	s_mov_b32 s22, exec_lo
	s_delay_alu instid0(VALU_DEP_2)
	v_cmpx_ne_u32_e32 0x7f, v55
	s_cbranch_execz .LBB378_653
; %bb.650:                              ;   in Loop: Header=BB378_328 Depth=1
	v_and_b32_e32 v10, 7, v3
	v_lshrrev_b32_e32 v4, 3, v55
	s_mov_b32 s23, exec_lo
	v_cmpx_gt_u32_e32 8, v55
; %bb.651:                              ;   in Loop: Header=BB378_328 Depth=1
	s_delay_alu instid0(VALU_DEP_3) | instskip(NEXT) | instid1(VALU_DEP_1)
	v_clz_i32_u32_e32 v4, v10
	v_min_u32_e32 v4, 32, v4
	s_delay_alu instid0(VALU_DEP_1) | instskip(SKIP_1) | instid1(VALU_DEP_2)
	v_subrev_nc_u32_e32 v55, 28, v4
	v_sub_nc_u32_e32 v4, 29, v4
	v_lshlrev_b64 v[55:56], v55, v[10:11]
	s_delay_alu instid0(VALU_DEP_1)
	v_and_b32_e32 v10, 7, v55
; %bb.652:                              ;   in Loop: Header=BB378_328 Depth=1
	s_or_b32 exec_lo, exec_lo, s23
	v_lshlrev_b32_e32 v3, 24, v3
	s_delay_alu instid0(VALU_DEP_2) | instskip(SKIP_1) | instid1(VALU_DEP_3)
	v_lshlrev_b32_e32 v10, 20, v10
	v_lshl_add_u32 v4, v4, 23, 0x3c000000
	v_and_b32_e32 v3, 0x80000000, v3
	s_delay_alu instid0(VALU_DEP_1)
	v_or3_b32 v4, v10, v3, v4
.LBB378_653:                            ;   in Loop: Header=BB378_328 Depth=1
	s_or_b32 exec_lo, exec_lo, s22
.LBB378_654:                            ;   in Loop: Header=BB378_328 Depth=1
	s_delay_alu instid0(SALU_CYCLE_1)
	s_or_b32 exec_lo, exec_lo, s21
.LBB378_655:                            ;   in Loop: Header=BB378_328 Depth=1
	s_delay_alu instid0(SALU_CYCLE_1) | instskip(NEXT) | instid1(VALU_DEP_1)
	s_or_b32 exec_lo, exec_lo, s20
	v_mul_f32_e32 v3, s18, v4
                                        ; implicit-def: $vgpr55
	s_delay_alu instid0(VALU_DEP_1) | instskip(NEXT) | instid1(VALU_DEP_1)
	v_and_b32_e32 v4, 0x7f800000, v3
	v_cmp_ne_u32_e64 s0, 0x7f800000, v4
	s_delay_alu instid0(VALU_DEP_1) | instskip(NEXT) | instid1(SALU_CYCLE_1)
	s_and_saveexec_b32 s20, s0
	s_xor_b32 s0, exec_lo, s20
; %bb.656:                              ;   in Loop: Header=BB378_328 Depth=1
	v_bfe_u32 v4, v3, 16, 1
	s_delay_alu instid0(VALU_DEP_1)
	v_add3_u32 v55, v3, v4, 0x7fff
                                        ; implicit-def: $vgpr3
; %bb.657:                              ;   in Loop: Header=BB378_328 Depth=1
	s_and_not1_saveexec_b32 s20, s0
; %bb.658:                              ;   in Loop: Header=BB378_328 Depth=1
	v_and_b32_e32 v4, 0xffff, v3
	v_or_b32_e32 v10, 0x10000, v3
	s_delay_alu instid0(VALU_DEP_2) | instskip(NEXT) | instid1(VALU_DEP_1)
	v_cmp_eq_u32_e64 s0, 0, v4
	v_cndmask_b32_e64 v55, v10, v3, s0
; %bb.659:                              ;   in Loop: Header=BB378_328 Depth=1
	s_or_b32 exec_lo, exec_lo, s20
	v_dual_mov_b32 v3, 0 :: v_dual_and_b32 v4, 0xff, v2
	v_mov_b32_e32 v10, v2
	s_mov_b32 s20, exec_lo
	s_delay_alu instid0(VALU_DEP_2)
	v_cmpx_ne_u16_e32 0, v4
	s_cbranch_execz .LBB378_665
; %bb.660:                              ;   in Loop: Header=BB378_328 Depth=1
	v_bfrev_b32_e32 v3, 1
	s_mov_b32 s21, exec_lo
	v_cmpx_ne_u16_e32 0x80, v4
	s_cbranch_execz .LBB378_664
; %bb.661:                              ;   in Loop: Header=BB378_328 Depth=1
	v_and_b32_e32 v4, 0x7f, v2
	v_mov_b32_e32 v3, 0x7f800001
	s_mov_b32 s22, exec_lo
	s_delay_alu instid0(VALU_DEP_2)
	v_cmpx_ne_u32_e32 0x7f, v4
	s_cbranch_execz .LBB378_663
; %bb.662:                              ;   in Loop: Header=BB378_328 Depth=1
	v_and_b32_e32 v3, 7, v2
	v_lshrrev_b32_e32 v56, 3, v4
	v_cmp_gt_u32_e64 s0, 8, v4
	s_delay_alu instid0(VALU_DEP_3) | instskip(NEXT) | instid1(VALU_DEP_1)
	v_clz_i32_u32_e32 v3, v3
	v_min_u32_e32 v3, 32, v3
	s_delay_alu instid0(VALU_DEP_1) | instskip(SKIP_1) | instid1(VALU_DEP_1)
	v_subrev_nc_u32_e32 v57, 28, v3
	v_sub_nc_u32_e32 v3, 29, v3
	v_cndmask_b32_e64 v56, v56, v3, s0
	s_delay_alu instid0(VALU_DEP_3) | instskip(NEXT) | instid1(VALU_DEP_2)
	v_cndmask_b32_e64 v3, 0, v57, s0
	v_lshl_add_u32 v56, v56, 23, 0x3c000000
	s_delay_alu instid0(VALU_DEP_2) | instskip(SKIP_1) | instid1(VALU_DEP_2)
	v_lshlrev_b64 v[3:4], v3, v[10:11]
	v_lshlrev_b32_e32 v4, 24, v10
	v_lshlrev_b32_e32 v3, 20, v3
	s_delay_alu instid0(VALU_DEP_2) | instskip(NEXT) | instid1(VALU_DEP_2)
	v_and_b32_e32 v4, 0x80000000, v4
	v_and_b32_e32 v3, 0x700000, v3
	s_delay_alu instid0(VALU_DEP_1)
	v_or3_b32 v3, v3, v4, v56
.LBB378_663:                            ;   in Loop: Header=BB378_328 Depth=1
	s_or_b32 exec_lo, exec_lo, s22
.LBB378_664:                            ;   in Loop: Header=BB378_328 Depth=1
	s_delay_alu instid0(SALU_CYCLE_1)
	s_or_b32 exec_lo, exec_lo, s21
.LBB378_665:                            ;   in Loop: Header=BB378_328 Depth=1
	s_delay_alu instid0(SALU_CYCLE_1) | instskip(NEXT) | instid1(VALU_DEP_1)
	s_or_b32 exec_lo, exec_lo, s20
	v_mul_f32_e32 v3, s18, v3
                                        ; implicit-def: $vgpr56
	s_delay_alu instid0(VALU_DEP_1) | instskip(NEXT) | instid1(VALU_DEP_1)
	v_and_b32_e32 v4, 0x7f800000, v3
	v_cmp_ne_u32_e64 s0, 0x7f800000, v4
	s_delay_alu instid0(VALU_DEP_1) | instskip(NEXT) | instid1(SALU_CYCLE_1)
	s_and_saveexec_b32 s20, s0
	s_xor_b32 s0, exec_lo, s20
; %bb.666:                              ;   in Loop: Header=BB378_328 Depth=1
	v_bfe_u32 v4, v3, 16, 1
	s_delay_alu instid0(VALU_DEP_1)
	v_add3_u32 v56, v3, v4, 0x7fff
                                        ; implicit-def: $vgpr3
; %bb.667:                              ;   in Loop: Header=BB378_328 Depth=1
	s_and_not1_saveexec_b32 s20, s0
; %bb.668:                              ;   in Loop: Header=BB378_328 Depth=1
	v_and_b32_e32 v4, 0xffff, v3
	v_or_b32_e32 v56, 0x10000, v3
	s_delay_alu instid0(VALU_DEP_2) | instskip(NEXT) | instid1(VALU_DEP_1)
	v_cmp_eq_u32_e64 s0, 0, v4
	v_cndmask_b32_e64 v56, v56, v3, s0
; %bb.669:                              ;   in Loop: Header=BB378_328 Depth=1
	s_or_b32 exec_lo, exec_lo, s20
	v_lshrrev_b16 v4, 8, v10
	v_mov_b32_e32 v3, 0
	s_mov_b32 s20, exec_lo
	s_delay_alu instid0(VALU_DEP_2)
	v_cmpx_ne_u16_e32 0, v4
	s_cbranch_execz .LBB378_677
; %bb.670:                              ;   in Loop: Header=BB378_328 Depth=1
	v_bfrev_b32_e32 v3, 1
	s_mov_b32 s21, exec_lo
	v_cmpx_ne_u16_e32 0x80, v4
	s_cbranch_execz .LBB378_676
; %bb.671:                              ;   in Loop: Header=BB378_328 Depth=1
	v_and_b32_e32 v4, 0xffff, v4
	v_mov_b32_e32 v3, 0x7f800001
	s_mov_b32 s22, exec_lo
	s_delay_alu instid0(VALU_DEP_2) | instskip(NEXT) | instid1(VALU_DEP_1)
	v_and_b32_e32 v58, 0x7f, v4
	v_cmpx_ne_u32_e32 0x7f, v58
	s_cbranch_execz .LBB378_675
; %bb.672:                              ;   in Loop: Header=BB378_328 Depth=1
	v_dual_mov_b32 v4, v11 :: v_dual_and_b32 v3, 7, v4
	v_lshrrev_b32_e32 v57, 3, v58
	s_mov_b32 s23, exec_lo
	v_cmpx_gt_u32_e32 8, v58
; %bb.673:                              ;   in Loop: Header=BB378_328 Depth=1
	s_delay_alu instid0(VALU_DEP_3) | instskip(NEXT) | instid1(VALU_DEP_1)
	v_clz_i32_u32_e32 v57, v3
	v_min_u32_e32 v57, 32, v57
	s_delay_alu instid0(VALU_DEP_1) | instskip(SKIP_1) | instid1(VALU_DEP_2)
	v_subrev_nc_u32_e32 v58, 28, v57
	v_sub_nc_u32_e32 v57, 29, v57
	v_lshlrev_b64 v[3:4], v58, v[3:4]
	s_delay_alu instid0(VALU_DEP_1)
	v_and_b32_e32 v3, 7, v3
; %bb.674:                              ;   in Loop: Header=BB378_328 Depth=1
	s_or_b32 exec_lo, exec_lo, s23
	v_lshlrev_b32_e32 v4, 16, v10
	s_delay_alu instid0(VALU_DEP_2) | instskip(SKIP_1) | instid1(VALU_DEP_3)
	v_lshlrev_b32_e32 v3, 20, v3
	v_lshl_add_u32 v10, v57, 23, 0x3c000000
	v_and_b32_e32 v4, 0x80000000, v4
	s_delay_alu instid0(VALU_DEP_1)
	v_or3_b32 v3, v3, v4, v10
.LBB378_675:                            ;   in Loop: Header=BB378_328 Depth=1
	s_or_b32 exec_lo, exec_lo, s22
.LBB378_676:                            ;   in Loop: Header=BB378_328 Depth=1
	s_delay_alu instid0(SALU_CYCLE_1)
	s_or_b32 exec_lo, exec_lo, s21
.LBB378_677:                            ;   in Loop: Header=BB378_328 Depth=1
	s_delay_alu instid0(SALU_CYCLE_1) | instskip(NEXT) | instid1(VALU_DEP_1)
	s_or_b32 exec_lo, exec_lo, s20
	v_mul_f32_e32 v4, s18, v3
	s_delay_alu instid0(VALU_DEP_1) | instskip(NEXT) | instid1(VALU_DEP_1)
	v_and_b32_e32 v3, 0x7f800000, v4
	v_cmp_ne_u32_e64 s0, 0x7f800000, v3
                                        ; implicit-def: $vgpr3
	s_delay_alu instid0(VALU_DEP_1) | instskip(NEXT) | instid1(SALU_CYCLE_1)
	s_and_saveexec_b32 s20, s0
	s_xor_b32 s0, exec_lo, s20
; %bb.678:                              ;   in Loop: Header=BB378_328 Depth=1
	v_bfe_u32 v3, v4, 16, 1
	s_delay_alu instid0(VALU_DEP_1)
	v_add3_u32 v3, v4, v3, 0x7fff
                                        ; implicit-def: $vgpr4
; %bb.679:                              ;   in Loop: Header=BB378_328 Depth=1
	s_and_not1_saveexec_b32 s20, s0
; %bb.680:                              ;   in Loop: Header=BB378_328 Depth=1
	v_and_b32_e32 v3, 0xffff, v4
	v_or_b32_e32 v10, 0x10000, v4
	s_delay_alu instid0(VALU_DEP_2) | instskip(NEXT) | instid1(VALU_DEP_1)
	v_cmp_eq_u32_e64 s0, 0, v3
	v_cndmask_b32_e64 v3, v10, v4, s0
; %bb.681:                              ;   in Loop: Header=BB378_328 Depth=1
	s_or_b32 exec_lo, exec_lo, s20
	v_lshrrev_b32_e32 v4, 16, v2
	s_mov_b32 s20, exec_lo
	s_delay_alu instid0(VALU_DEP_1) | instskip(NEXT) | instid1(VALU_DEP_1)
	v_dual_mov_b32 v10, 0 :: v_dual_and_b32 v57, 0xff, v4
	v_cmpx_ne_u16_e32 0, v57
	s_cbranch_execz .LBB378_689
; %bb.682:                              ;   in Loop: Header=BB378_328 Depth=1
	v_bfrev_b32_e32 v10, 1
	s_mov_b32 s21, exec_lo
	v_cmpx_ne_u16_e32 0x80, v57
	s_cbranch_execz .LBB378_688
; %bb.683:                              ;   in Loop: Header=BB378_328 Depth=1
	v_bfe_u32 v58, v2, 16, 7
	v_mov_b32_e32 v10, 0x7f800001
	s_mov_b32 s22, exec_lo
	s_delay_alu instid0(VALU_DEP_2)
	v_cmpx_ne_u32_e32 0x7f, v58
	s_cbranch_execz .LBB378_687
; %bb.684:                              ;   in Loop: Header=BB378_328 Depth=1
	v_and_b32_e32 v10, 7, v4
	v_lshrrev_b32_e32 v57, 3, v58
	s_mov_b32 s23, exec_lo
	v_cmpx_gt_u32_e32 8, v58
; %bb.685:                              ;   in Loop: Header=BB378_328 Depth=1
	s_delay_alu instid0(VALU_DEP_3) | instskip(NEXT) | instid1(VALU_DEP_1)
	v_clz_i32_u32_e32 v57, v10
	v_min_u32_e32 v57, 32, v57
	s_delay_alu instid0(VALU_DEP_1) | instskip(SKIP_1) | instid1(VALU_DEP_2)
	v_subrev_nc_u32_e32 v58, 28, v57
	v_sub_nc_u32_e32 v57, 29, v57
	v_lshlrev_b64 v[58:59], v58, v[10:11]
	s_delay_alu instid0(VALU_DEP_1)
	v_and_b32_e32 v10, 7, v58
; %bb.686:                              ;   in Loop: Header=BB378_328 Depth=1
	s_or_b32 exec_lo, exec_lo, s23
	v_lshlrev_b32_e32 v4, 24, v4
	s_delay_alu instid0(VALU_DEP_2) | instskip(SKIP_1) | instid1(VALU_DEP_3)
	v_lshlrev_b32_e32 v10, 20, v10
	v_lshl_add_u32 v57, v57, 23, 0x3c000000
	v_and_b32_e32 v4, 0x80000000, v4
	s_delay_alu instid0(VALU_DEP_1)
	v_or3_b32 v10, v10, v4, v57
.LBB378_687:                            ;   in Loop: Header=BB378_328 Depth=1
	s_or_b32 exec_lo, exec_lo, s22
.LBB378_688:                            ;   in Loop: Header=BB378_328 Depth=1
	s_delay_alu instid0(SALU_CYCLE_1)
	s_or_b32 exec_lo, exec_lo, s21
.LBB378_689:                            ;   in Loop: Header=BB378_328 Depth=1
	s_delay_alu instid0(SALU_CYCLE_1) | instskip(NEXT) | instid1(VALU_DEP_1)
	s_or_b32 exec_lo, exec_lo, s20
	v_mul_f32_e32 v10, s18, v10
	s_delay_alu instid0(VALU_DEP_1) | instskip(NEXT) | instid1(VALU_DEP_1)
	v_and_b32_e32 v4, 0x7f800000, v10
	v_cmp_ne_u32_e64 s0, 0x7f800000, v4
                                        ; implicit-def: $vgpr4
	s_delay_alu instid0(VALU_DEP_1) | instskip(NEXT) | instid1(SALU_CYCLE_1)
	s_and_saveexec_b32 s20, s0
	s_xor_b32 s0, exec_lo, s20
; %bb.690:                              ;   in Loop: Header=BB378_328 Depth=1
	v_bfe_u32 v4, v10, 16, 1
	s_delay_alu instid0(VALU_DEP_1)
	v_add3_u32 v4, v10, v4, 0x7fff
                                        ; implicit-def: $vgpr10
; %bb.691:                              ;   in Loop: Header=BB378_328 Depth=1
	s_and_not1_saveexec_b32 s20, s0
; %bb.692:                              ;   in Loop: Header=BB378_328 Depth=1
	v_and_b32_e32 v4, 0xffff, v10
	v_or_b32_e32 v57, 0x10000, v10
	s_delay_alu instid0(VALU_DEP_2) | instskip(NEXT) | instid1(VALU_DEP_1)
	v_cmp_eq_u32_e64 s0, 0, v4
	v_cndmask_b32_e64 v4, v57, v10, s0
; %bb.693:                              ;   in Loop: Header=BB378_328 Depth=1
	s_or_b32 exec_lo, exec_lo, s20
	v_mov_b32_e32 v10, 0
	s_mov_b32 s20, exec_lo
	v_cmpx_lt_u64_e64 s[2:3], v[1:2]
	s_cbranch_execz .LBB378_701
; %bb.694:                              ;   in Loop: Header=BB378_328 Depth=1
	v_lshrrev_b32_e32 v1, 24, v2
	v_bfrev_b32_e32 v10, 1
	s_mov_b32 s21, exec_lo
	s_delay_alu instid0(VALU_DEP_2)
	v_cmpx_ne_u32_e32 0x80, v1
	s_cbranch_execz .LBB378_700
; %bb.695:                              ;   in Loop: Header=BB378_328 Depth=1
	v_bfe_u32 v57, v2, 24, 7
	v_mov_b32_e32 v10, 0x7f800001
	s_mov_b32 s22, exec_lo
	s_delay_alu instid0(VALU_DEP_2)
	v_cmpx_ne_u32_e32 0x7f, v57
	s_cbranch_execz .LBB378_699
; %bb.696:                              ;   in Loop: Header=BB378_328 Depth=1
	v_and_b32_e32 v10, 7, v1
	v_lshrrev_b32_e32 v2, 3, v57
	s_mov_b32 s23, exec_lo
	v_cmpx_gt_u32_e32 8, v57
; %bb.697:                              ;   in Loop: Header=BB378_328 Depth=1
	s_delay_alu instid0(VALU_DEP_3) | instskip(NEXT) | instid1(VALU_DEP_1)
	v_clz_i32_u32_e32 v2, v10
	v_min_u32_e32 v2, 32, v2
	s_delay_alu instid0(VALU_DEP_1) | instskip(SKIP_1) | instid1(VALU_DEP_2)
	v_subrev_nc_u32_e32 v57, 28, v2
	v_sub_nc_u32_e32 v2, 29, v2
	v_lshlrev_b64 v[57:58], v57, v[10:11]
	s_delay_alu instid0(VALU_DEP_1)
	v_and_b32_e32 v10, 7, v57
; %bb.698:                              ;   in Loop: Header=BB378_328 Depth=1
	s_or_b32 exec_lo, exec_lo, s23
	v_lshlrev_b32_e32 v1, 24, v1
	s_delay_alu instid0(VALU_DEP_2) | instskip(SKIP_1) | instid1(VALU_DEP_3)
	v_lshlrev_b32_e32 v10, 20, v10
	v_lshl_add_u32 v2, v2, 23, 0x3c000000
	v_and_b32_e32 v1, 0x80000000, v1
	s_delay_alu instid0(VALU_DEP_1)
	v_or3_b32 v10, v10, v1, v2
.LBB378_699:                            ;   in Loop: Header=BB378_328 Depth=1
	s_or_b32 exec_lo, exec_lo, s22
.LBB378_700:                            ;   in Loop: Header=BB378_328 Depth=1
	s_delay_alu instid0(SALU_CYCLE_1)
	s_or_b32 exec_lo, exec_lo, s21
.LBB378_701:                            ;   in Loop: Header=BB378_328 Depth=1
	s_delay_alu instid0(SALU_CYCLE_1) | instskip(NEXT) | instid1(VALU_DEP_1)
	s_or_b32 exec_lo, exec_lo, s20
	v_mul_f32_e32 v1, s18, v10
	s_delay_alu instid0(VALU_DEP_1) | instskip(NEXT) | instid1(VALU_DEP_1)
	v_and_b32_e32 v2, 0x7f800000, v1
	v_cmp_ne_u32_e64 s0, 0x7f800000, v2
                                        ; implicit-def: $vgpr2
	s_delay_alu instid0(VALU_DEP_1) | instskip(NEXT) | instid1(SALU_CYCLE_1)
	s_and_saveexec_b32 s18, s0
	s_xor_b32 s0, exec_lo, s18
; %bb.702:                              ;   in Loop: Header=BB378_328 Depth=1
	v_bfe_u32 v2, v1, 16, 1
	s_delay_alu instid0(VALU_DEP_1)
	v_add3_u32 v2, v1, v2, 0x7fff
                                        ; implicit-def: $vgpr1
; %bb.703:                              ;   in Loop: Header=BB378_328 Depth=1
	s_and_not1_saveexec_b32 s18, s0
; %bb.704:                              ;   in Loop: Header=BB378_328 Depth=1
	v_and_b32_e32 v2, 0xffff, v1
	v_or_b32_e32 v10, 0x10000, v1
	s_delay_alu instid0(VALU_DEP_2) | instskip(NEXT) | instid1(VALU_DEP_1)
	v_cmp_eq_u32_e64 s0, 0, v2
	v_cndmask_b32_e64 v2, v10, v1, s0
; %bb.705:                              ;   in Loop: Header=BB378_328 Depth=1
	s_or_b32 exec_lo, exec_lo, s18
	v_lshrrev_b32_e32 v57, 16, v3
	v_lshrrev_b32_e32 v56, 16, v56
	;; [unrolled: 1-line block ×8, first 2 shown]
	s_and_saveexec_b32 s0, vcc_lo
	s_cbranch_execz .LBB378_707
; %bb.706:                              ;   in Loop: Header=BB378_328 Depth=1
	v_cmp_gt_i32_e32 vcc_lo, s15, v24
	v_cndmask_b32_e32 v1, 0, v1, vcc_lo
	v_cmp_gt_i32_e32 vcc_lo, s15, v37
	v_cndmask_b32_e32 v3, 0, v3, vcc_lo
	;; [unrolled: 2-line block ×8, first 2 shown]
.LBB378_707:                            ;   in Loop: Header=BB378_328 Depth=1
	s_or_b32 exec_lo, exec_lo, s0
	v_lshlrev_b32_e32 v1, 16, v1
	s_delay_alu instid0(VALU_DEP_1) | instskip(NEXT) | instid1(VALU_DEP_1)
	v_mul_f32_e32 v31, v38, v1
	v_and_b32_e32 v1, 0x7f800000, v31
	s_delay_alu instid0(VALU_DEP_1) | instskip(SKIP_1) | instid1(SALU_CYCLE_1)
	v_cmp_ne_u32_e32 vcc_lo, 0x7f800000, v1
                                        ; implicit-def: $vgpr1
	s_and_saveexec_b32 s0, vcc_lo
	s_xor_b32 s0, exec_lo, s0
; %bb.708:                              ;   in Loop: Header=BB378_328 Depth=1
	v_bfe_u32 v1, v31, 16, 1
	s_delay_alu instid0(VALU_DEP_1)
	v_add3_u32 v1, v31, v1, 0x7fff
                                        ; implicit-def: $vgpr31
; %bb.709:                              ;   in Loop: Header=BB378_328 Depth=1
	s_and_not1_saveexec_b32 s0, s0
; %bb.710:                              ;   in Loop: Header=BB378_328 Depth=1
	v_and_b32_e32 v1, 0xffff, v31
	v_or_b32_e32 v32, 0x10000, v31
	s_delay_alu instid0(VALU_DEP_2) | instskip(NEXT) | instid1(VALU_DEP_2)
	v_cmp_eq_u32_e32 vcc_lo, 0, v1
	v_cndmask_b32_e32 v1, v32, v31, vcc_lo
; %bb.711:                              ;   in Loop: Header=BB378_328 Depth=1
	s_or_b32 exec_lo, exec_lo, s0
	v_lshlrev_b32_e32 v3, 16, v3
	s_delay_alu instid0(VALU_DEP_1) | instskip(NEXT) | instid1(VALU_DEP_1)
	v_mul_f32_e32 v31, v39, v3
	v_and_b32_e32 v3, 0x7f800000, v31
	s_delay_alu instid0(VALU_DEP_1) | instskip(SKIP_1) | instid1(SALU_CYCLE_1)
	v_cmp_ne_u32_e32 vcc_lo, 0x7f800000, v3
                                        ; implicit-def: $vgpr3
	s_and_saveexec_b32 s0, vcc_lo
	s_xor_b32 s0, exec_lo, s0
; %bb.712:                              ;   in Loop: Header=BB378_328 Depth=1
	v_bfe_u32 v3, v31, 16, 1
	s_delay_alu instid0(VALU_DEP_1)
	v_add3_u32 v3, v31, v3, 0x7fff
                                        ; implicit-def: $vgpr31
; %bb.713:                              ;   in Loop: Header=BB378_328 Depth=1
	s_and_not1_saveexec_b32 s0, s0
; %bb.714:                              ;   in Loop: Header=BB378_328 Depth=1
	v_and_b32_e32 v3, 0xffff, v31
	v_or_b32_e32 v32, 0x10000, v31
	s_delay_alu instid0(VALU_DEP_2) | instskip(NEXT) | instid1(VALU_DEP_2)
	v_cmp_eq_u32_e32 vcc_lo, 0, v3
	v_cndmask_b32_e32 v3, v32, v31, vcc_lo
; %bb.715:                              ;   in Loop: Header=BB378_328 Depth=1
	s_or_b32 exec_lo, exec_lo, s0
	v_lshlrev_b32_e32 v10, 16, v10
	s_delay_alu instid0(VALU_DEP_1) | instskip(NEXT) | instid1(VALU_DEP_1)
	v_mul_f32_e32 v31, v40, v10
	v_and_b32_e32 v10, 0x7f800000, v31
	s_delay_alu instid0(VALU_DEP_1) | instskip(SKIP_1) | instid1(SALU_CYCLE_1)
	v_cmp_ne_u32_e32 vcc_lo, 0x7f800000, v10
                                        ; implicit-def: $vgpr10
	s_and_saveexec_b32 s0, vcc_lo
	s_xor_b32 s0, exec_lo, s0
; %bb.716:                              ;   in Loop: Header=BB378_328 Depth=1
	v_bfe_u32 v10, v31, 16, 1
	s_delay_alu instid0(VALU_DEP_1)
	v_add3_u32 v10, v31, v10, 0x7fff
                                        ; implicit-def: $vgpr31
; %bb.717:                              ;   in Loop: Header=BB378_328 Depth=1
	s_and_not1_saveexec_b32 s0, s0
; %bb.718:                              ;   in Loop: Header=BB378_328 Depth=1
	v_and_b32_e32 v10, 0xffff, v31
	v_or_b32_e32 v32, 0x10000, v31
	s_delay_alu instid0(VALU_DEP_2) | instskip(NEXT) | instid1(VALU_DEP_2)
	v_cmp_eq_u32_e32 vcc_lo, 0, v10
	v_cndmask_b32_e32 v10, v32, v31, vcc_lo
; %bb.719:                              ;   in Loop: Header=BB378_328 Depth=1
	s_or_b32 exec_lo, exec_lo, s0
	v_lshlrev_b32_e32 v31, 16, v55
	s_delay_alu instid0(VALU_DEP_1) | instskip(NEXT) | instid1(VALU_DEP_1)
	v_mul_f32_e32 v32, v41, v31
	v_and_b32_e32 v31, 0x7f800000, v32
	s_delay_alu instid0(VALU_DEP_1) | instskip(SKIP_1) | instid1(SALU_CYCLE_1)
	v_cmp_ne_u32_e32 vcc_lo, 0x7f800000, v31
                                        ; implicit-def: $vgpr31
	s_and_saveexec_b32 s0, vcc_lo
	s_xor_b32 s0, exec_lo, s0
; %bb.720:                              ;   in Loop: Header=BB378_328 Depth=1
	v_bfe_u32 v31, v32, 16, 1
	s_delay_alu instid0(VALU_DEP_1)
	v_add3_u32 v31, v32, v31, 0x7fff
                                        ; implicit-def: $vgpr32
; %bb.721:                              ;   in Loop: Header=BB378_328 Depth=1
	s_and_not1_saveexec_b32 s0, s0
; %bb.722:                              ;   in Loop: Header=BB378_328 Depth=1
	v_and_b32_e32 v31, 0xffff, v32
	v_or_b32_e32 v33, 0x10000, v32
	s_delay_alu instid0(VALU_DEP_2) | instskip(NEXT) | instid1(VALU_DEP_2)
	v_cmp_eq_u32_e32 vcc_lo, 0, v31
	v_cndmask_b32_e32 v31, v33, v32, vcc_lo
; %bb.723:                              ;   in Loop: Header=BB378_328 Depth=1
	s_or_b32 exec_lo, exec_lo, s0
	v_lshlrev_b32_e32 v32, 16, v56
	s_delay_alu instid0(VALU_DEP_1) | instskip(NEXT) | instid1(VALU_DEP_1)
	v_mul_f32_e32 v33, v42, v32
	v_and_b32_e32 v32, 0x7f800000, v33
	s_delay_alu instid0(VALU_DEP_1) | instskip(SKIP_1) | instid1(SALU_CYCLE_1)
	v_cmp_ne_u32_e32 vcc_lo, 0x7f800000, v32
                                        ; implicit-def: $vgpr32
	s_and_saveexec_b32 s0, vcc_lo
	s_xor_b32 s0, exec_lo, s0
; %bb.724:                              ;   in Loop: Header=BB378_328 Depth=1
	v_bfe_u32 v32, v33, 16, 1
	s_delay_alu instid0(VALU_DEP_1)
	v_add3_u32 v32, v33, v32, 0x7fff
                                        ; implicit-def: $vgpr33
; %bb.725:                              ;   in Loop: Header=BB378_328 Depth=1
	s_and_not1_saveexec_b32 s0, s0
; %bb.726:                              ;   in Loop: Header=BB378_328 Depth=1
	v_and_b32_e32 v32, 0xffff, v33
	v_or_b32_e32 v34, 0x10000, v33
	s_delay_alu instid0(VALU_DEP_2) | instskip(NEXT) | instid1(VALU_DEP_2)
	v_cmp_eq_u32_e32 vcc_lo, 0, v32
	v_cndmask_b32_e32 v32, v34, v33, vcc_lo
; %bb.727:                              ;   in Loop: Header=BB378_328 Depth=1
	s_or_b32 exec_lo, exec_lo, s0
	v_lshlrev_b32_e32 v33, 16, v57
	s_delay_alu instid0(VALU_DEP_1) | instskip(NEXT) | instid1(VALU_DEP_1)
	v_mul_f32_e32 v34, v43, v33
	v_and_b32_e32 v33, 0x7f800000, v34
	s_delay_alu instid0(VALU_DEP_1) | instskip(SKIP_1) | instid1(SALU_CYCLE_1)
	v_cmp_ne_u32_e32 vcc_lo, 0x7f800000, v33
                                        ; implicit-def: $vgpr33
	s_and_saveexec_b32 s0, vcc_lo
	s_xor_b32 s0, exec_lo, s0
; %bb.728:                              ;   in Loop: Header=BB378_328 Depth=1
	v_bfe_u32 v33, v34, 16, 1
	s_delay_alu instid0(VALU_DEP_1)
	v_add3_u32 v33, v34, v33, 0x7fff
                                        ; implicit-def: $vgpr34
; %bb.729:                              ;   in Loop: Header=BB378_328 Depth=1
	s_and_not1_saveexec_b32 s0, s0
; %bb.730:                              ;   in Loop: Header=BB378_328 Depth=1
	v_and_b32_e32 v33, 0xffff, v34
	v_or_b32_e32 v35, 0x10000, v34
	s_delay_alu instid0(VALU_DEP_2) | instskip(NEXT) | instid1(VALU_DEP_2)
	v_cmp_eq_u32_e32 vcc_lo, 0, v33
	v_cndmask_b32_e32 v33, v35, v34, vcc_lo
; %bb.731:                              ;   in Loop: Header=BB378_328 Depth=1
	s_or_b32 exec_lo, exec_lo, s0
	v_lshlrev_b32_e32 v4, 16, v4
	s_delay_alu instid0(VALU_DEP_1) | instskip(NEXT) | instid1(VALU_DEP_1)
	v_mul_f32_e32 v34, v44, v4
	v_and_b32_e32 v4, 0x7f800000, v34
	s_delay_alu instid0(VALU_DEP_1) | instskip(SKIP_1) | instid1(SALU_CYCLE_1)
	v_cmp_ne_u32_e32 vcc_lo, 0x7f800000, v4
                                        ; implicit-def: $vgpr4
	s_and_saveexec_b32 s0, vcc_lo
	s_xor_b32 s0, exec_lo, s0
; %bb.732:                              ;   in Loop: Header=BB378_328 Depth=1
	v_bfe_u32 v4, v34, 16, 1
	s_delay_alu instid0(VALU_DEP_1)
	v_add3_u32 v4, v34, v4, 0x7fff
                                        ; implicit-def: $vgpr34
; %bb.733:                              ;   in Loop: Header=BB378_328 Depth=1
	s_and_not1_saveexec_b32 s0, s0
; %bb.734:                              ;   in Loop: Header=BB378_328 Depth=1
	v_and_b32_e32 v4, 0xffff, v34
	v_or_b32_e32 v35, 0x10000, v34
	s_delay_alu instid0(VALU_DEP_2) | instskip(NEXT) | instid1(VALU_DEP_2)
	v_cmp_eq_u32_e32 vcc_lo, 0, v4
	v_cndmask_b32_e32 v4, v35, v34, vcc_lo
; %bb.735:                              ;   in Loop: Header=BB378_328 Depth=1
	s_or_b32 exec_lo, exec_lo, s0
	v_lshlrev_b32_e32 v2, 16, v2
	s_delay_alu instid0(VALU_DEP_1) | instskip(NEXT) | instid1(VALU_DEP_1)
	v_mul_f32_e32 v34, v45, v2
	v_and_b32_e32 v2, 0x7f800000, v34
	s_delay_alu instid0(VALU_DEP_1) | instskip(SKIP_1) | instid1(SALU_CYCLE_1)
	v_cmp_ne_u32_e32 vcc_lo, 0x7f800000, v2
                                        ; implicit-def: $vgpr2
	s_and_saveexec_b32 s0, vcc_lo
	s_xor_b32 s0, exec_lo, s0
; %bb.736:                              ;   in Loop: Header=BB378_328 Depth=1
	v_bfe_u32 v2, v34, 16, 1
	s_delay_alu instid0(VALU_DEP_1)
	v_add3_u32 v2, v34, v2, 0x7fff
                                        ; implicit-def: $vgpr34
; %bb.737:                              ;   in Loop: Header=BB378_328 Depth=1
	s_and_not1_saveexec_b32 s0, s0
	s_cbranch_execz .LBB378_326
; %bb.738:                              ;   in Loop: Header=BB378_328 Depth=1
	v_and_b32_e32 v2, 0xffff, v34
	v_or_b32_e32 v35, 0x10000, v34
	s_delay_alu instid0(VALU_DEP_2) | instskip(NEXT) | instid1(VALU_DEP_2)
	v_cmp_eq_u32_e32 vcc_lo, 0, v2
	v_cndmask_b32_e32 v2, v35, v34, vcc_lo
	s_branch .LBB378_326
.LBB378_739:
	s_or_b32 exec_lo, exec_lo, s5
.LBB378_740:
	s_delay_alu instid0(SALU_CYCLE_1)
	s_or_b32 exec_lo, exec_lo, s1
	s_movk_i32 s0, 0x180
	v_and_b32_e32 v2, 0x3c0, v0
	v_mad_u32_u24 v1, v23, s0, 0xe0
	s_mov_b32 s0, exec_lo
	s_waitcnt_vscnt null, 0x0
	s_barrier
	buffer_gl0_inv
	v_cmpx_eq_u32_e32 64, v2
	s_cbranch_execz .LBB378_742
; %bb.741:
	v_add3_u32 v2, v1, v18, 0xfffffd00
	ds_store_2addr_b32 v2, v20, v19 offset1:32
	ds_store_b32 v2, v9 offset:256
.LBB378_742:
	s_or_b32 exec_lo, exec_lo, s0
	v_lshl_add_u32 v2, v12, 2, v1
	s_mov_b32 s0, exec_lo
	s_waitcnt lgkmcnt(0)
	s_barrier
	buffer_gl0_inv
	v_cmpx_gt_u32_e32 64, v0
	s_cbranch_execz .LBB378_744
; %bb.743:
	v_lshl_or_b32 v3, v0, 2, 0x80
	s_delay_alu instid0(VALU_DEP_1)
	v_add_nc_u32_e32 v5, v1, v3
	ds_load_2addr_stride64_b32 v[3:4], v2 offset1:1
	ds_load_b32 v5, v5
	s_waitcnt lgkmcnt(0)
	v_dual_add_f32 v20, v20, v3 :: v_dual_add_f32 v19, v19, v5
	v_add_f32_e32 v9, v9, v4
.LBB378_744:
	s_or_b32 exec_lo, exec_lo, s0
	v_and_b32_e32 v3, 0x3e0, v0
	s_mov_b32 s0, exec_lo
	s_barrier
	buffer_gl0_inv
	v_cmpx_eq_u32_e32 32, v3
	s_cbranch_execz .LBB378_746
; %bb.745:
	v_add_nc_u32_e32 v3, 0xfffffe80, v1
	s_delay_alu instid0(VALU_DEP_1)
	v_lshl_add_u32 v4, v12, 2, v3
	v_lshl_add_u32 v3, v0, 2, v3
	ds_store_b32 v4, v20
	ds_store_b32 v3, v19
	ds_store_b32 v4, v9 offset:256
.LBB378_746:
	s_or_b32 exec_lo, exec_lo, s0
	v_cmp_gt_u32_e32 vcc_lo, 32, v0
	s_waitcnt lgkmcnt(0)
	s_barrier
	buffer_gl0_inv
	s_and_saveexec_b32 s0, vcc_lo
	s_cbranch_execz .LBB378_748
; %bb.747:
	v_lshl_add_u32 v1, v0, 2, v1
	ds_load_b32 v3, v2
	ds_load_2addr_b32 v[1:2], v1 offset0:32 offset1:64
	s_waitcnt lgkmcnt(0)
	v_dual_add_f32 v20, v20, v3 :: v_dual_add_f32 v19, v19, v1
	v_add_f32_e32 v9, v9, v2
.LBB378_748:
	s_or_b32 exec_lo, exec_lo, s0
	s_barrier
	buffer_gl0_inv
	s_and_saveexec_b32 s0, vcc_lo
	s_cbranch_execz .LBB378_762
; %bb.749:
	v_and_b32_e32 v1, 0x7f800000, v20
	s_mov_b32 s0, exec_lo
                                        ; implicit-def: $vgpr2
	s_delay_alu instid0(VALU_DEP_1)
	v_cmpx_ne_u32_e32 0x7f800000, v1
	s_xor_b32 s0, exec_lo, s0
; %bb.750:
	v_bfe_u32 v1, v20, 16, 1
	s_delay_alu instid0(VALU_DEP_1)
	v_add3_u32 v2, v20, v1, 0x7fff
; %bb.751:
	s_and_not1_saveexec_b32 s0, s0
; %bb.752:
	v_and_b32_e32 v1, 0xffff, v20
	v_or_b32_e32 v2, 0x10000, v20
	s_delay_alu instid0(VALU_DEP_2) | instskip(NEXT) | instid1(VALU_DEP_2)
	v_cmp_eq_u32_e32 vcc_lo, 0, v1
	v_cndmask_b32_e32 v2, v2, v20, vcc_lo
; %bb.753:
	s_or_b32 exec_lo, exec_lo, s0
	s_mul_i32 s0, s4, 0x60
	s_mul_i32 s2, s8, s24
	s_ashr_i32 s1, s0, 31
	v_lshlrev_b32_e32 v3, 1, v0
	s_lshl_b64 s[0:1], s[0:1], 1
	v_and_b32_e32 v4, 0x7f800000, v19
	s_add_u32 s4, s26, s0
	s_addc_u32 s5, s27, s1
	s_ashr_i32 s3, s2, 31
	s_delay_alu instid0(SALU_CYCLE_1) | instskip(SKIP_4) | instid1(SALU_CYCLE_1)
	s_lshl_b64 s[0:1], s[2:3], 1
	s_mul_i32 s2, s12, 0x60
	s_add_u32 s4, s4, s0
	s_addc_u32 s5, s5, s1
	s_ashr_i32 s3, s2, 31
	s_lshl_b64 s[0:1], s[2:3], 1
	s_delay_alu instid0(SALU_CYCLE_1) | instskip(SKIP_2) | instid1(VALU_DEP_1)
	s_add_u32 s0, s4, s0
	s_addc_u32 s1, s5, s1
	v_add_co_u32 v0, s2, s0, v3
	v_add_co_ci_u32_e64 v1, null, s1, 0, s2
	global_store_d16_hi_b16 v3, v2, s[0:1]
	s_mov_b32 s0, exec_lo
                                        ; implicit-def: $vgpr2
	v_cmpx_ne_u32_e32 0x7f800000, v4
	s_xor_b32 s0, exec_lo, s0
; %bb.754:
	v_bfe_u32 v2, v19, 16, 1
	s_delay_alu instid0(VALU_DEP_1)
	v_add3_u32 v2, v19, v2, 0x7fff
; %bb.755:
	s_and_not1_saveexec_b32 s0, s0
; %bb.756:
	v_and_b32_e32 v2, 0xffff, v19
	v_or_b32_e32 v3, 0x10000, v19
	s_delay_alu instid0(VALU_DEP_2) | instskip(NEXT) | instid1(VALU_DEP_2)
	v_cmp_eq_u32_e32 vcc_lo, 0, v2
	v_cndmask_b32_e32 v2, v3, v19, vcc_lo
; %bb.757:
	s_or_b32 exec_lo, exec_lo, s0
	v_and_b32_e32 v3, 0x7f800000, v9
	s_mov_b32 s0, exec_lo
	global_store_d16_hi_b16 v[0:1], v2, off offset:64
                                        ; implicit-def: $vgpr2
	v_cmpx_ne_u32_e32 0x7f800000, v3
	s_xor_b32 s0, exec_lo, s0
; %bb.758:
	v_bfe_u32 v2, v9, 16, 1
	s_delay_alu instid0(VALU_DEP_1)
	v_add3_u32 v2, v9, v2, 0x7fff
                                        ; implicit-def: $vgpr7_vgpr8_vgpr9
; %bb.759:
	s_and_not1_saveexec_b32 s0, s0
; %bb.760:
	v_and_b32_e32 v2, 0xffff, v9
	v_or_b32_e32 v3, 0x10000, v9
	s_delay_alu instid0(VALU_DEP_2) | instskip(NEXT) | instid1(VALU_DEP_2)
	v_cmp_eq_u32_e32 vcc_lo, 0, v2
	v_cndmask_b32_e32 v2, v3, v9, vcc_lo
; %bb.761:
	s_or_b32 exec_lo, exec_lo, s0
	global_store_d16_hi_b16 v[0:1], v2, off offset:128
.LBB378_762:
	s_nop 0
	s_sendmsg sendmsg(MSG_DEALLOC_VGPRS)
	s_endpgm
	.section	.rodata,"a",@progbits
	.p2align	6, 0x0
	.amdhsa_kernel _ZN4vllm25paged_attention_v2_kernelI14__hip_bfloat16hLi96ELi8ELi128ELNS_18Fp8KVCacheDataTypeE1ELb1ELi512EEEvPfS3_PT_PKS4_PKT0_SA_ifPKiSC_iPKfiiiSE_SE_iiiii
		.amdhsa_group_segment_fixed_size 224
		.amdhsa_private_segment_fixed_size 0
		.amdhsa_kernarg_size 400
		.amdhsa_user_sgpr_count 13
		.amdhsa_user_sgpr_dispatch_ptr 0
		.amdhsa_user_sgpr_queue_ptr 0
		.amdhsa_user_sgpr_kernarg_segment_ptr 1
		.amdhsa_user_sgpr_dispatch_id 0
		.amdhsa_user_sgpr_private_segment_size 0
		.amdhsa_wavefront_size32 1
		.amdhsa_uses_dynamic_stack 0
		.amdhsa_enable_private_segment 0
		.amdhsa_system_sgpr_workgroup_id_x 1
		.amdhsa_system_sgpr_workgroup_id_y 1
		.amdhsa_system_sgpr_workgroup_id_z 1
		.amdhsa_system_sgpr_workgroup_info 0
		.amdhsa_system_vgpr_workitem_id 0
		.amdhsa_next_free_vgpr 61
		.amdhsa_next_free_sgpr 53
		.amdhsa_reserve_vcc 1
		.amdhsa_float_round_mode_32 0
		.amdhsa_float_round_mode_16_64 0
		.amdhsa_float_denorm_mode_32 3
		.amdhsa_float_denorm_mode_16_64 3
		.amdhsa_dx10_clamp 1
		.amdhsa_ieee_mode 1
		.amdhsa_fp16_overflow 0
		.amdhsa_workgroup_processor_mode 1
		.amdhsa_memory_ordered 1
		.amdhsa_forward_progress 0
		.amdhsa_shared_vgpr_count 0
		.amdhsa_exception_fp_ieee_invalid_op 0
		.amdhsa_exception_fp_denorm_src 0
		.amdhsa_exception_fp_ieee_div_zero 0
		.amdhsa_exception_fp_ieee_overflow 0
		.amdhsa_exception_fp_ieee_underflow 0
		.amdhsa_exception_fp_ieee_inexact 0
		.amdhsa_exception_int_div_zero 0
	.end_amdhsa_kernel
	.section	.text._ZN4vllm25paged_attention_v2_kernelI14__hip_bfloat16hLi96ELi8ELi128ELNS_18Fp8KVCacheDataTypeE1ELb1ELi512EEEvPfS3_PT_PKS4_PKT0_SA_ifPKiSC_iPKfiiiSE_SE_iiiii,"axG",@progbits,_ZN4vllm25paged_attention_v2_kernelI14__hip_bfloat16hLi96ELi8ELi128ELNS_18Fp8KVCacheDataTypeE1ELb1ELi512EEEvPfS3_PT_PKS4_PKT0_SA_ifPKiSC_iPKfiiiSE_SE_iiiii,comdat
.Lfunc_end378:
	.size	_ZN4vllm25paged_attention_v2_kernelI14__hip_bfloat16hLi96ELi8ELi128ELNS_18Fp8KVCacheDataTypeE1ELb1ELi512EEEvPfS3_PT_PKS4_PKT0_SA_ifPKiSC_iPKfiiiSE_SE_iiiii, .Lfunc_end378-_ZN4vllm25paged_attention_v2_kernelI14__hip_bfloat16hLi96ELi8ELi128ELNS_18Fp8KVCacheDataTypeE1ELb1ELi512EEEvPfS3_PT_PKS4_PKT0_SA_ifPKiSC_iPKfiiiSE_SE_iiiii
                                        ; -- End function
	.section	.AMDGPU.csdata,"",@progbits
; Kernel info:
; codeLenInByte = 24784
; NumSgprs: 55
; NumVgprs: 61
; ScratchSize: 0
; MemoryBound: 0
; FloatMode: 240
; IeeeMode: 1
; LDSByteSize: 224 bytes/workgroup (compile time only)
; SGPRBlocks: 6
; VGPRBlocks: 7
; NumSGPRsForWavesPerEU: 55
; NumVGPRsForWavesPerEU: 61
; Occupancy: 16
; WaveLimiterHint : 1
; COMPUTE_PGM_RSRC2:SCRATCH_EN: 0
; COMPUTE_PGM_RSRC2:USER_SGPR: 13
; COMPUTE_PGM_RSRC2:TRAP_HANDLER: 0
; COMPUTE_PGM_RSRC2:TGID_X_EN: 1
; COMPUTE_PGM_RSRC2:TGID_Y_EN: 1
; COMPUTE_PGM_RSRC2:TGID_Z_EN: 1
; COMPUTE_PGM_RSRC2:TIDIG_COMP_CNT: 0
	.section	.text._ZN4vllm25paged_attention_v2_kernelI14__hip_bfloat16hLi112ELi8ELi128ELNS_18Fp8KVCacheDataTypeE1ELb1ELi512EEEvPfS3_PT_PKS4_PKT0_SA_ifPKiSC_iPKfiiiSE_SE_iiiii,"axG",@progbits,_ZN4vllm25paged_attention_v2_kernelI14__hip_bfloat16hLi112ELi8ELi128ELNS_18Fp8KVCacheDataTypeE1ELb1ELi512EEEvPfS3_PT_PKS4_PKT0_SA_ifPKiSC_iPKfiiiSE_SE_iiiii,comdat
	.protected	_ZN4vllm25paged_attention_v2_kernelI14__hip_bfloat16hLi112ELi8ELi128ELNS_18Fp8KVCacheDataTypeE1ELb1ELi512EEEvPfS3_PT_PKS4_PKT0_SA_ifPKiSC_iPKfiiiSE_SE_iiiii ; -- Begin function _ZN4vllm25paged_attention_v2_kernelI14__hip_bfloat16hLi112ELi8ELi128ELNS_18Fp8KVCacheDataTypeE1ELb1ELi512EEEvPfS3_PT_PKS4_PKT0_SA_ifPKiSC_iPKfiiiSE_SE_iiiii
	.globl	_ZN4vllm25paged_attention_v2_kernelI14__hip_bfloat16hLi112ELi8ELi128ELNS_18Fp8KVCacheDataTypeE1ELb1ELi512EEEvPfS3_PT_PKS4_PKT0_SA_ifPKiSC_iPKfiiiSE_SE_iiiii
	.p2align	8
	.type	_ZN4vllm25paged_attention_v2_kernelI14__hip_bfloat16hLi112ELi8ELi128ELNS_18Fp8KVCacheDataTypeE1ELb1ELi512EEEvPfS3_PT_PKS4_PKT0_SA_ifPKiSC_iPKfiiiSE_SE_iiiii,@function
_ZN4vllm25paged_attention_v2_kernelI14__hip_bfloat16hLi112ELi8ELi128ELNS_18Fp8KVCacheDataTypeE1ELb1ELi512EEEvPfS3_PT_PKS4_PKT0_SA_ifPKiSC_iPKfiiiSE_SE_iiiii: ; @_ZN4vllm25paged_attention_v2_kernelI14__hip_bfloat16hLi112ELi8ELi128ELNS_18Fp8KVCacheDataTypeE1ELb1ELi512EEEvPfS3_PT_PKS4_PKT0_SA_ifPKiSC_iPKfiiiSE_SE_iiiii
; %bb.0:
	s_load_b64 s[2:3], s[0:1], 0x40
	s_mov_b32 s24, s15
	s_ashr_i32 s15, s14, 31
	s_delay_alu instid0(SALU_CYCLE_1)
	s_lshl_b64 s[4:5], s[14:15], 2
	s_waitcnt lgkmcnt(0)
	s_add_u32 s2, s2, s4
	s_addc_u32 s3, s3, s5
	s_lshl_b32 s25, s24, 9
	s_load_b32 s33, s[2:3], 0x0
	s_waitcnt lgkmcnt(0)
	s_cmp_ge_i32 s25, s33
	s_cbranch_scc1 .LBB379_949
; %bb.1:
	s_mov_b32 s30, s13
	s_clause 0x1
	s_load_b32 s15, s[0:1], 0x90
	s_load_b64 s[12:13], s[0:1], 0x30
	s_mov_b32 s43, 0
	s_waitcnt lgkmcnt(0)
	s_abs_i32 s5, s15
	s_abs_i32 s2, s12
	s_delay_alu instid0(SALU_CYCLE_1) | instskip(SKIP_1) | instid1(VALU_DEP_1)
	v_cvt_f32_u32_e32 v1, s2
	s_sub_i32 s4, 0, s2
	v_rcp_iflag_f32_e32 v1, v1
	s_waitcnt_depctr 0xfff
	v_mul_f32_e32 v1, 0x4f7ffffe, v1
	s_delay_alu instid0(VALU_DEP_1) | instskip(NEXT) | instid1(VALU_DEP_1)
	v_cvt_u32_f32_e32 v1, v1
	v_readfirstlane_b32 s3, v1
	s_delay_alu instid0(VALU_DEP_1) | instskip(NEXT) | instid1(SALU_CYCLE_1)
	s_mul_i32 s4, s4, s3
	s_mul_hi_u32 s4, s3, s4
	s_delay_alu instid0(SALU_CYCLE_1) | instskip(SKIP_4) | instid1(SALU_CYCLE_1)
	s_add_i32 s3, s3, s4
	s_xor_b32 s4, s15, s12
	s_mul_hi_u32 s3, s5, s3
	s_ashr_i32 s4, s4, 31
	s_mul_i32 s6, s3, s2
	s_sub_i32 s5, s5, s6
	s_add_i32 s6, s3, 1
	s_sub_i32 s7, s5, s2
	s_cmp_ge_u32 s5, s2
	s_cselect_b32 s3, s6, s3
	s_cselect_b32 s5, s7, s5
	s_add_i32 s6, s3, 1
	s_cmp_ge_u32 s5, s2
	s_cselect_b32 s2, s6, s3
	s_delay_alu instid0(SALU_CYCLE_1) | instskip(NEXT) | instid1(SALU_CYCLE_1)
	s_xor_b32 s2, s2, s4
	s_sub_i32 s7, s2, s4
	s_load_b64 s[2:3], s[0:1], 0x50
	s_abs_i32 s4, s7
	s_delay_alu instid0(SALU_CYCLE_1) | instskip(SKIP_1) | instid1(VALU_DEP_1)
	v_cvt_f32_u32_e32 v1, s4
	s_sub_i32 s5, 0, s4
	v_rcp_iflag_f32_e32 v1, v1
	s_waitcnt_depctr 0xfff
	v_mul_f32_e32 v1, 0x4f7ffffe, v1
	s_delay_alu instid0(VALU_DEP_1) | instskip(NEXT) | instid1(VALU_DEP_1)
	v_cvt_u32_f32_e32 v1, v1
	v_readfirstlane_b32 s6, v1
	s_delay_alu instid0(VALU_DEP_1) | instskip(NEXT) | instid1(SALU_CYCLE_1)
	s_mul_i32 s5, s5, s6
	s_mul_hi_u32 s8, s6, s5
	s_abs_i32 s5, s30
	s_add_i32 s6, s6, s8
	s_waitcnt lgkmcnt(0)
	s_cmp_eq_u64 s[2:3], 0
	s_mul_hi_u32 s6, s5, s6
	s_cbranch_scc1 .LBB379_3
; %bb.2:
	s_ashr_i32 s31, s30, 31
	s_delay_alu instid0(SALU_CYCLE_1) | instskip(NEXT) | instid1(SALU_CYCLE_1)
	s_lshl_b64 s[8:9], s[30:31], 2
	s_add_u32 s2, s2, s8
	s_addc_u32 s3, s3, s9
	s_load_b32 s43, s[2:3], 0x0
.LBB379_3:
	s_load_b128 s[16:19], s[0:1], 0x58
	v_and_b32_e32 v1, 3, v0
	s_ashr_i32 s2, s30, 31
	s_ashr_i32 s3, s7, 31
	s_mul_i32 s26, s30, 0x70
	s_mov_b32 s7, exec_lo
	v_cmpx_gt_u32_e32 56, v0
	s_cbranch_execz .LBB379_5
; %bb.4:
	s_load_b64 s[8:9], s[0:1], 0x18
	s_waitcnt lgkmcnt(0)
	s_mul_i32 s10, s14, s16
	v_lshlrev_b32_e32 v2, 2, v0
	s_ashr_i32 s11, s10, 31
	v_and_b32_e32 v3, 0x3fc, v0
	s_lshl_b64 s[10:11], s[10:11], 1
	s_delay_alu instid0(VALU_DEP_1) | instskip(SKIP_3) | instid1(SALU_CYCLE_1)
	v_mad_u32_u24 v3, v1, 56, v3
	s_add_u32 s10, s8, s10
	s_addc_u32 s11, s9, s11
	s_ashr_i32 s27, s26, 31
	s_lshl_b64 s[8:9], s[26:27], 1
	s_delay_alu instid0(SALU_CYCLE_1)
	s_add_u32 s8, s10, s8
	s_addc_u32 s9, s11, s9
	global_load_b32 v2, v2, s[8:9]
	s_waitcnt vmcnt(0)
	ds_store_b32 v3, v2
.LBB379_5:
	s_or_b32 exec_lo, exec_lo, s7
	s_load_b128 s[8:11], s[0:1], 0x78
	s_mul_i32 s7, s6, s4
	s_xor_b32 s2, s2, s3
	s_sub_i32 s3, s5, s7
	s_add_i32 s5, s6, 1
	s_sub_i32 s7, s3, s4
	s_cmp_ge_u32 s3, s4
	s_waitcnt lgkmcnt(0)
	s_cselect_b32 s5, s5, s6
	s_cselect_b32 s3, s7, s3
	s_add_i32 s6, s5, 1
	s_cmp_ge_u32 s3, s4
	s_load_b32 s4, s[0:1], 0x88
	s_cselect_b32 s3, s6, s5
	s_add_i32 s5, s33, -1
	s_xor_b32 s3, s3, s2
	s_abs_i32 s36, s5
	s_sub_i32 s3, s3, s2
	s_mov_b32 s6, -1
	s_waitcnt lgkmcnt(0)
	s_barrier
	s_abs_i32 s19, s11
	buffer_gl0_inv
	v_cvt_f32_u32_e32 v2, s19
	s_sub_i32 s2, 0, s19
                                        ; implicit-def: $sgpr31
	s_delay_alu instid0(VALU_DEP_1) | instskip(SKIP_2) | instid1(VALU_DEP_1)
	v_rcp_iflag_f32_e32 v2, v2
	s_waitcnt_depctr 0xfff
	v_mul_f32_e32 v2, 0x4f7ffffe, v2
	v_cvt_u32_f32_e32 v2, v2
	s_delay_alu instid0(VALU_DEP_1) | instskip(NEXT) | instid1(VALU_DEP_1)
	v_readfirstlane_b32 s27, v2
	s_mul_i32 s2, s2, s27
	s_delay_alu instid0(SALU_CYCLE_1) | instskip(NEXT) | instid1(SALU_CYCLE_1)
	s_mul_hi_u32 s2, s27, s2
	s_add_i32 s27, s27, s2
	s_cmp_lt_i32 s4, 0
	s_mul_hi_u32 s2, s36, s27
	s_cbranch_scc0 .LBB379_7
; %bb.6:
	s_mul_i32 s6, s8, s12
	s_delay_alu instid0(SALU_CYCLE_1) | instskip(NEXT) | instid1(SALU_CYCLE_1)
	s_add_i32 s6, s3, s6
	s_mul_i32 s6, s6, s4
	s_delay_alu instid0(SALU_CYCLE_1)
	s_sub_i32 s31, 1, s6
	s_mov_b32 s6, 0
.LBB379_7:
	s_load_b64 s[34:35], s[0:1], 0x38
	s_ashr_i32 s12, s5, 31
	s_and_not1_b32 vcc_lo, exec_lo, s6
	s_ashr_i32 s40, s11, 31
	s_cbranch_vccnz .LBB379_9
; %bb.8:
	s_mul_i32 s5, s15, s8
	s_delay_alu instid0(SALU_CYCLE_1) | instskip(NEXT) | instid1(SALU_CYCLE_1)
	s_add_i32 s5, s5, s30
	s_mul_i32 s4, s5, s4
	s_delay_alu instid0(SALU_CYCLE_1)
	s_add_i32 s31, s4, 1
.LBB379_9:
	s_clause 0x5
	s_load_b32 s8, s[0:1], 0x48
	s_load_b64 s[38:39], s[0:1], 0x28
	s_load_b128 s[20:23], s[0:1], 0x0
	s_load_b64 s[28:29], s[0:1], 0x10
	s_load_b32 s16, s[0:1], 0x98
	s_load_b128 s[4:7], s[0:1], 0x68
	s_mul_i32 s11, s2, s19
	s_xor_b32 s42, s12, s40
	s_sub_i32 s11, s36, s11
	s_add_i32 s12, s2, 1
	v_lshrrev_b32_e32 v25, 5, v0
	v_mov_b32_e32 v28, 0xff7fffff
	v_mbcnt_lo_u32_b32 v27, -1, 0
	s_delay_alu instid0(VALU_DEP_3)
	v_lshl_add_u32 v26, v25, 3, s25
	s_waitcnt lgkmcnt(0)
	s_mul_i32 s36, s14, s8
	s_sub_i32 s8, s11, s19
	s_ashr_i32 s37, s36, 31
	s_cmp_ge_u32 s11, s19
	s_cselect_b32 s2, s12, s2
	s_cselect_b32 s8, s8, s11
	s_add_i32 s11, s2, 1
	s_cmp_ge_u32 s8, s19
	s_cselect_b32 s2, s11, s2
	s_add_i32 s8, s33, 7
	s_lshl_b32 s12, s24, 6
	s_ashr_i32 s11, s8, 31
	v_or_b32_e32 v13, s12, v25
	s_lshr_b32 s11, s11, 29
	s_add_i32 s41, s12, 64
	s_add_i32 s8, s8, s11
	s_delay_alu instid0(SALU_CYCLE_1)
	s_ashr_i32 s11, s8, 3
	s_xor_b32 s8, s2, s42
	s_min_i32 s41, s41, s11
	v_ashrrev_i32_e32 v14, 31, v13
	v_cmp_gt_i32_e64 s2, s41, v13
	s_sub_i32 s42, s8, s42
	s_mul_i32 s8, s3, s18
	s_delay_alu instid0(VALU_DEP_1)
	s_and_saveexec_b32 s18, s2
	s_cbranch_execz .LBB379_355
; %bb.10:
	s_load_b64 s[0:1], s[0:1], 0x20
	s_sub_i32 s44, s42, s9
	s_ashr_i32 s3, s8, 31
	v_bfe_u32 v29, v0, 2, 3
	v_dual_mov_b32 v28, 0xff7fffff :: v_dual_mov_b32 v37, v13
	v_cmp_eq_u32_e32 vcc_lo, 0, v1
	v_dual_mov_b32 v33, 0xff7fffff :: v_dual_lshlrev_b32 v30, 1, v1
	s_delay_alu instid0(VALU_DEP_4)
	v_lshlrev_b32_e32 v4, 2, v29
	v_lshlrev_b32_e32 v7, 4, v29
	v_mul_u32_u24_e32 v31, 56, v1
	v_subrev_nc_u32_e32 v5, s33, v29
	v_lshl_add_u32 v32, v25, 3, s25
	v_lshl_or_b32 v4, v25, 5, v4
	s_delay_alu instid0(VALU_DEP_3) | instskip(NEXT) | instid1(VALU_DEP_2)
	v_add_nc_u32_e32 v34, 1, v5
	v_add_nc_u32_e32 v35, 0x100, v4
	s_waitcnt lgkmcnt(0)
	s_add_u32 s48, s0, s8
	s_addc_u32 s1, s1, s3
	s_abs_i32 s45, s10
	s_lshl_b64 s[46:47], s[36:37], 2
	v_cvt_f32_u32_e32 v2, s45
	s_sub_i32 s3, 0, s45
	v_cmp_neq_f32_e64 s0, s43, 0
	s_delay_alu instid0(VALU_DEP_2) | instskip(SKIP_3) | instid1(VALU_DEP_2)
	v_rcp_iflag_f32_e32 v2, v2
	s_waitcnt_depctr 0xfff
	v_dual_mov_b32 v16, 0 :: v_dual_mul_f32 v3, 0x4f7ffffe, v2
	v_lshlrev_b64 v[1:2], 2, v[13:14]
	v_cvt_u32_f32_e32 v3, v3
	s_delay_alu instid0(VALU_DEP_1) | instskip(SKIP_1) | instid1(VALU_DEP_1)
	v_mul_lo_u32 v6, s3, v3
	v_add_co_u32 v17, s3, s48, v7
	v_add_co_ci_u32_e64 v18, null, s1, 0, s3
	s_add_u32 s1, s34, s46
	s_addc_u32 s3, s35, s47
	v_add_co_u32 v19, s1, s1, v1
	s_delay_alu instid0(VALU_DEP_4) | instskip(SKIP_3) | instid1(VALU_DEP_2)
	v_mul_hi_u32 v4, v3, v6
	v_add_co_ci_u32_e64 v20, s1, s3, v2, s1
	s_mov_b32 s46, 0
	s_mov_b32 s47, s17
	v_add_nc_u32_e32 v36, v3, v4
	s_branch .LBB379_13
.LBB379_11:                             ;   in Loop: Header=BB379_13 Depth=1
	s_or_b32 exec_lo, exec_lo, s48
.LBB379_12:                             ;   in Loop: Header=BB379_13 Depth=1
	s_delay_alu instid0(SALU_CYCLE_1) | instskip(SKIP_2) | instid1(VALU_DEP_1)
	s_or_b32 exec_lo, exec_lo, s3
	v_add_nc_u32_e32 v37, 4, v37
	v_add_co_u32 v19, s3, v19, 16
	v_add_co_ci_u32_e64 v20, s3, 0, v20, s3
	s_delay_alu instid0(VALU_DEP_3) | instskip(SKIP_2) | instid1(VALU_DEP_3)
	v_cmp_le_i32_e64 s1, s41, v37
	v_add_nc_u32_e32 v32, 32, v32
	v_add_nc_u32_e32 v35, 0x80, v35
	s_or_b32 s46, s1, s46
	s_delay_alu instid0(SALU_CYCLE_1)
	s_and_not1_b32 exec_lo, exec_lo, s46
	s_cbranch_execz .LBB379_354
.LBB379_13:                             ; =>This Inner Loop Header: Depth=1
	v_sub_nc_u32_e32 v1, 0, v32
	s_delay_alu instid0(VALU_DEP_1) | instskip(SKIP_1) | instid1(VALU_DEP_1)
	v_max_i32_e32 v1, v32, v1
	s_waitcnt lgkmcnt(0)
	v_mul_hi_u32 v2, v1, s27
	s_delay_alu instid0(VALU_DEP_1) | instskip(NEXT) | instid1(VALU_DEP_1)
	v_mul_lo_u32 v3, v2, s19
	v_sub_nc_u32_e32 v1, v1, v3
	v_add_nc_u32_e32 v3, 1, v2
	s_delay_alu instid0(VALU_DEP_2) | instskip(SKIP_1) | instid1(VALU_DEP_1)
	v_subrev_nc_u32_e32 v4, s19, v1
	v_cmp_le_u32_e64 s1, s19, v1
	v_cndmask_b32_e64 v2, v2, v3, s1
	s_delay_alu instid0(VALU_DEP_3) | instskip(SKIP_1) | instid1(VALU_DEP_3)
	v_cndmask_b32_e64 v1, v1, v4, s1
	v_ashrrev_i32_e32 v3, 31, v32
	v_add_nc_u32_e32 v4, 1, v2
	s_delay_alu instid0(VALU_DEP_3) | instskip(NEXT) | instid1(VALU_DEP_3)
	v_cmp_le_u32_e64 s1, s19, v1
	v_xor_b32_e32 v3, s40, v3
	s_delay_alu instid0(VALU_DEP_2) | instskip(NEXT) | instid1(VALU_DEP_1)
	v_cndmask_b32_e64 v1, v2, v4, s1
	v_xor_b32_e32 v1, v1, v3
	s_delay_alu instid0(VALU_DEP_1) | instskip(NEXT) | instid1(VALU_DEP_1)
	v_sub_nc_u32_e32 v1, v1, v3
	v_add_nc_u32_e32 v2, s31, v1
	v_cmp_ge_i32_e64 s3, s44, v1
	s_delay_alu instid0(VALU_DEP_2) | instskip(NEXT) | instid1(VALU_DEP_1)
	v_sub_nc_u32_e32 v3, 0, v2
	v_max_i32_e32 v3, v2, v3
	v_ashrrev_i32_e32 v2, 31, v2
	s_delay_alu instid0(VALU_DEP_2) | instskip(NEXT) | instid1(VALU_DEP_1)
	v_mul_hi_u32 v4, v3, v36
	v_mul_lo_u32 v4, v4, s45
	s_delay_alu instid0(VALU_DEP_1) | instskip(NEXT) | instid1(VALU_DEP_1)
	v_sub_nc_u32_e32 v3, v3, v4
	v_subrev_nc_u32_e32 v4, s45, v3
	v_cmp_le_u32_e64 s1, s45, v3
	s_delay_alu instid0(VALU_DEP_1) | instskip(NEXT) | instid1(VALU_DEP_1)
	v_cndmask_b32_e64 v3, v3, v4, s1
	v_subrev_nc_u32_e32 v4, s45, v3
	v_cmp_le_u32_e64 s1, s45, v3
	s_delay_alu instid0(VALU_DEP_1) | instskip(NEXT) | instid1(VALU_DEP_1)
	v_cndmask_b32_e64 v3, v3, v4, s1
	v_xor_b32_e32 v3, v3, v2
	s_delay_alu instid0(VALU_DEP_1) | instskip(NEXT) | instid1(VALU_DEP_1)
	v_sub_nc_u32_e32 v2, v3, v2
	v_cmp_ne_u32_e64 s1, 0, v2
	s_delay_alu instid0(VALU_DEP_1) | instskip(NEXT) | instid1(SALU_CYCLE_1)
	s_and_b32 s1, s1, s3
	s_and_b32 s48, vcc_lo, s1
	s_delay_alu instid0(SALU_CYCLE_1)
	s_and_saveexec_b32 s3, s48
	s_cbranch_execz .LBB379_15
; %bb.14:                               ;   in Loop: Header=BB379_13 Depth=1
	ds_store_b32 v35, v33
.LBB379_15:                             ;   in Loop: Header=BB379_13 Depth=1
	s_or_b32 exec_lo, exec_lo, s3
	s_xor_b32 s1, s1, -1
	s_delay_alu instid0(SALU_CYCLE_1)
	s_and_saveexec_b32 s3, s1
	s_cbranch_execz .LBB379_12
; %bb.16:                               ;   in Loop: Header=BB379_13 Depth=1
	global_load_b32 v3, v[19:20], off
	s_mov_b32 s49, exec_lo
	s_waitcnt vmcnt(0)
	v_mad_i64_i32 v[1:2], null, v3, s47, v[17:18]
	s_delay_alu instid0(VALU_DEP_1) | instskip(NEXT) | instid1(VALU_DEP_1)
	v_add_co_u32 v23, s1, v1, v30
	v_add_co_ci_u32_e64 v24, s1, 0, v2, s1
	global_load_u16 v15, v[23:24], off
	ds_load_2addr_b64 v[9:12], v31 offset1:1
	ds_load_2addr_b64 v[5:8], v31 offset0:2 offset1:3
	ds_load_2addr_b64 v[1:4], v31 offset0:4 offset1:5
	ds_load_b64 v[21:22], v31 offset:48
	s_load_b32 s48, s[4:5], 0x0
	s_waitcnt vmcnt(0)
	v_and_b32_e32 v38, 0xff, v15
	v_and_b32_e32 v39, 0xffff, v15
	v_mov_b32_e32 v15, 0
	s_delay_alu instid0(VALU_DEP_3)
	v_cmpx_ne_u16_e32 0, v38
	s_cbranch_execz .LBB379_24
; %bb.17:                               ;   in Loop: Header=BB379_13 Depth=1
	s_delay_alu instid0(VALU_DEP_3) | instskip(NEXT) | instid1(VALU_DEP_1)
	v_and_b32_e32 v15, 0xff, v39
	v_cmp_ne_u16_e64 s1, 0x80, v15
	v_bfrev_b32_e32 v15, 1
	s_delay_alu instid0(VALU_DEP_2)
	s_and_saveexec_b32 s50, s1
	s_cbranch_execz .LBB379_23
; %bb.18:                               ;   in Loop: Header=BB379_13 Depth=1
	v_and_b32_e32 v40, 0x7f, v39
	v_mov_b32_e32 v15, 0x7f800001
	s_mov_b32 s51, exec_lo
	s_delay_alu instid0(VALU_DEP_2)
	v_cmpx_ne_u32_e32 0x7f, v40
	s_cbranch_execz .LBB379_22
; %bb.19:                               ;   in Loop: Header=BB379_13 Depth=1
	v_and_b32_e32 v15, 7, v39
	v_lshrrev_b32_e32 v38, 3, v40
	s_mov_b32 s52, exec_lo
	v_cmpx_gt_u32_e32 8, v40
; %bb.20:                               ;   in Loop: Header=BB379_13 Depth=1
	s_delay_alu instid0(VALU_DEP_3) | instskip(NEXT) | instid1(VALU_DEP_1)
	v_clz_i32_u32_e32 v38, v15
	v_min_u32_e32 v38, 32, v38
	s_delay_alu instid0(VALU_DEP_1) | instskip(SKIP_1) | instid1(VALU_DEP_2)
	v_subrev_nc_u32_e32 v40, 28, v38
	v_sub_nc_u32_e32 v38, 29, v38
	v_lshlrev_b64 v[40:41], v40, v[15:16]
	s_delay_alu instid0(VALU_DEP_1)
	v_and_b32_e32 v15, 7, v40
; %bb.21:                               ;   in Loop: Header=BB379_13 Depth=1
	s_or_b32 exec_lo, exec_lo, s52
	v_lshlrev_b32_e32 v40, 24, v39
	s_delay_alu instid0(VALU_DEP_2) | instskip(SKIP_1) | instid1(VALU_DEP_3)
	v_lshlrev_b32_e32 v15, 20, v15
	v_lshl_add_u32 v38, v38, 23, 0x3c000000
	v_and_b32_e32 v40, 0x80000000, v40
	s_delay_alu instid0(VALU_DEP_1)
	v_or3_b32 v15, v15, v40, v38
.LBB379_22:                             ;   in Loop: Header=BB379_13 Depth=1
	s_or_b32 exec_lo, exec_lo, s51
.LBB379_23:                             ;   in Loop: Header=BB379_13 Depth=1
	s_delay_alu instid0(SALU_CYCLE_1)
	s_or_b32 exec_lo, exec_lo, s50
.LBB379_24:                             ;   in Loop: Header=BB379_13 Depth=1
	s_delay_alu instid0(SALU_CYCLE_1) | instskip(SKIP_2) | instid1(VALU_DEP_1)
	s_or_b32 exec_lo, exec_lo, s49
	s_waitcnt lgkmcnt(0)
	v_mul_f32_e32 v15, s48, v15
	v_and_b32_e32 v38, 0x7f800000, v15
	s_delay_alu instid0(VALU_DEP_1) | instskip(NEXT) | instid1(VALU_DEP_1)
	v_cmp_ne_u32_e64 s1, 0x7f800000, v38
                                        ; implicit-def: $vgpr38
	s_and_saveexec_b32 s49, s1
	s_delay_alu instid0(SALU_CYCLE_1)
	s_xor_b32 s1, exec_lo, s49
; %bb.25:                               ;   in Loop: Header=BB379_13 Depth=1
	v_bfe_u32 v38, v15, 16, 1
	s_delay_alu instid0(VALU_DEP_1)
	v_add3_u32 v38, v15, v38, 0x7fff
                                        ; implicit-def: $vgpr15
; %bb.26:                               ;   in Loop: Header=BB379_13 Depth=1
	s_and_not1_saveexec_b32 s49, s1
; %bb.27:                               ;   in Loop: Header=BB379_13 Depth=1
	v_and_b32_e32 v38, 0xffff, v15
	v_or_b32_e32 v40, 0x10000, v15
	s_delay_alu instid0(VALU_DEP_2) | instskip(NEXT) | instid1(VALU_DEP_1)
	v_cmp_eq_u32_e64 s1, 0, v38
	v_cndmask_b32_e64 v38, v40, v15, s1
; %bb.28:                               ;   in Loop: Header=BB379_13 Depth=1
	s_or_b32 exec_lo, exec_lo, s49
	v_lshrrev_b16 v40, 8, v39
	v_mov_b32_e32 v15, 0
	s_mov_b32 s49, exec_lo
	s_delay_alu instid0(VALU_DEP_2)
	v_cmpx_ne_u16_e32 0, v40
	s_cbranch_execz .LBB379_36
; %bb.29:                               ;   in Loop: Header=BB379_13 Depth=1
	v_bfrev_b32_e32 v15, 1
	s_mov_b32 s50, exec_lo
	v_cmpx_ne_u16_e32 0x80, v40
	s_cbranch_execz .LBB379_35
; %bb.30:                               ;   in Loop: Header=BB379_13 Depth=1
	v_and_b32_e32 v40, 0xffff, v40
	v_mov_b32_e32 v15, 0x7f800001
	s_mov_b32 s51, exec_lo
	s_delay_alu instid0(VALU_DEP_2) | instskip(NEXT) | instid1(VALU_DEP_1)
	v_and_b32_e32 v41, 0x7f, v40
	v_cmpx_ne_u32_e32 0x7f, v41
	s_cbranch_execz .LBB379_34
; %bb.31:                               ;   in Loop: Header=BB379_13 Depth=1
	v_and_b32_e32 v15, 7, v40
	v_lshrrev_b32_e32 v40, 3, v41
	s_mov_b32 s52, exec_lo
	v_cmpx_gt_u32_e32 8, v41
; %bb.32:                               ;   in Loop: Header=BB379_13 Depth=1
	s_delay_alu instid0(VALU_DEP_3) | instskip(NEXT) | instid1(VALU_DEP_1)
	v_clz_i32_u32_e32 v40, v15
	v_min_u32_e32 v40, 32, v40
	s_delay_alu instid0(VALU_DEP_1) | instskip(SKIP_1) | instid1(VALU_DEP_2)
	v_subrev_nc_u32_e32 v41, 28, v40
	v_sub_nc_u32_e32 v40, 29, v40
	v_lshlrev_b64 v[41:42], v41, v[15:16]
	s_delay_alu instid0(VALU_DEP_1)
	v_and_b32_e32 v15, 7, v41
; %bb.33:                               ;   in Loop: Header=BB379_13 Depth=1
	s_or_b32 exec_lo, exec_lo, s52
	v_lshlrev_b32_e32 v39, 16, v39
	s_delay_alu instid0(VALU_DEP_2) | instskip(SKIP_1) | instid1(VALU_DEP_3)
	v_lshlrev_b32_e32 v15, 20, v15
	v_lshl_add_u32 v40, v40, 23, 0x3c000000
	v_and_b32_e32 v39, 0x80000000, v39
	s_delay_alu instid0(VALU_DEP_1)
	v_or3_b32 v15, v15, v39, v40
.LBB379_34:                             ;   in Loop: Header=BB379_13 Depth=1
	s_or_b32 exec_lo, exec_lo, s51
.LBB379_35:                             ;   in Loop: Header=BB379_13 Depth=1
	s_delay_alu instid0(SALU_CYCLE_1)
	s_or_b32 exec_lo, exec_lo, s50
.LBB379_36:                             ;   in Loop: Header=BB379_13 Depth=1
	s_delay_alu instid0(SALU_CYCLE_1) | instskip(NEXT) | instid1(VALU_DEP_1)
	s_or_b32 exec_lo, exec_lo, s49
	v_mul_f32_e32 v15, s48, v15
	s_delay_alu instid0(VALU_DEP_1) | instskip(NEXT) | instid1(VALU_DEP_1)
	v_and_b32_e32 v39, 0x7f800000, v15
	v_cmp_ne_u32_e64 s1, 0x7f800000, v39
                                        ; implicit-def: $vgpr39
	s_delay_alu instid0(VALU_DEP_1) | instskip(NEXT) | instid1(SALU_CYCLE_1)
	s_and_saveexec_b32 s49, s1
	s_xor_b32 s1, exec_lo, s49
; %bb.37:                               ;   in Loop: Header=BB379_13 Depth=1
	v_bfe_u32 v39, v15, 16, 1
	s_delay_alu instid0(VALU_DEP_1)
	v_add3_u32 v39, v15, v39, 0x7fff
                                        ; implicit-def: $vgpr15
; %bb.38:                               ;   in Loop: Header=BB379_13 Depth=1
	s_and_not1_saveexec_b32 s49, s1
; %bb.39:                               ;   in Loop: Header=BB379_13 Depth=1
	v_and_b32_e32 v39, 0xffff, v15
	v_or_b32_e32 v40, 0x10000, v15
	s_delay_alu instid0(VALU_DEP_2) | instskip(NEXT) | instid1(VALU_DEP_1)
	v_cmp_eq_u32_e64 s1, 0, v39
	v_cndmask_b32_e64 v39, v40, v15, s1
; %bb.40:                               ;   in Loop: Header=BB379_13 Depth=1
	s_or_b32 exec_lo, exec_lo, s49
	global_load_u16 v15, v[23:24], off offset:8
	s_mov_b32 s49, exec_lo
	s_waitcnt vmcnt(0)
	v_and_b32_e32 v40, 0xff, v15
	v_and_b32_e32 v41, 0xffff, v15
	v_mov_b32_e32 v15, 0
	s_delay_alu instid0(VALU_DEP_3)
	v_cmpx_ne_u16_e32 0, v40
	s_cbranch_execz .LBB379_48
; %bb.41:                               ;   in Loop: Header=BB379_13 Depth=1
	s_delay_alu instid0(VALU_DEP_3) | instskip(NEXT) | instid1(VALU_DEP_1)
	v_and_b32_e32 v15, 0xff, v41
	v_cmp_ne_u16_e64 s1, 0x80, v15
	v_bfrev_b32_e32 v15, 1
	s_delay_alu instid0(VALU_DEP_2)
	s_and_saveexec_b32 s50, s1
	s_cbranch_execz .LBB379_47
; %bb.42:                               ;   in Loop: Header=BB379_13 Depth=1
	v_and_b32_e32 v42, 0x7f, v41
	v_mov_b32_e32 v15, 0x7f800001
	s_mov_b32 s51, exec_lo
	s_delay_alu instid0(VALU_DEP_2)
	v_cmpx_ne_u32_e32 0x7f, v42
	s_cbranch_execz .LBB379_46
; %bb.43:                               ;   in Loop: Header=BB379_13 Depth=1
	v_and_b32_e32 v15, 7, v41
	v_lshrrev_b32_e32 v40, 3, v42
	s_mov_b32 s52, exec_lo
	v_cmpx_gt_u32_e32 8, v42
; %bb.44:                               ;   in Loop: Header=BB379_13 Depth=1
	s_delay_alu instid0(VALU_DEP_3) | instskip(NEXT) | instid1(VALU_DEP_1)
	v_clz_i32_u32_e32 v40, v15
	v_min_u32_e32 v40, 32, v40
	s_delay_alu instid0(VALU_DEP_1) | instskip(SKIP_1) | instid1(VALU_DEP_2)
	v_subrev_nc_u32_e32 v42, 28, v40
	v_sub_nc_u32_e32 v40, 29, v40
	v_lshlrev_b64 v[42:43], v42, v[15:16]
	s_delay_alu instid0(VALU_DEP_1)
	v_and_b32_e32 v15, 7, v42
; %bb.45:                               ;   in Loop: Header=BB379_13 Depth=1
	s_or_b32 exec_lo, exec_lo, s52
	v_lshlrev_b32_e32 v42, 24, v41
	s_delay_alu instid0(VALU_DEP_2) | instskip(SKIP_1) | instid1(VALU_DEP_3)
	v_lshlrev_b32_e32 v15, 20, v15
	v_lshl_add_u32 v40, v40, 23, 0x3c000000
	v_and_b32_e32 v42, 0x80000000, v42
	s_delay_alu instid0(VALU_DEP_1)
	v_or3_b32 v15, v15, v42, v40
.LBB379_46:                             ;   in Loop: Header=BB379_13 Depth=1
	s_or_b32 exec_lo, exec_lo, s51
.LBB379_47:                             ;   in Loop: Header=BB379_13 Depth=1
	s_delay_alu instid0(SALU_CYCLE_1)
	s_or_b32 exec_lo, exec_lo, s50
.LBB379_48:                             ;   in Loop: Header=BB379_13 Depth=1
	s_delay_alu instid0(SALU_CYCLE_1) | instskip(NEXT) | instid1(VALU_DEP_1)
	s_or_b32 exec_lo, exec_lo, s49
	v_mul_f32_e32 v15, s48, v15
	s_delay_alu instid0(VALU_DEP_1) | instskip(NEXT) | instid1(VALU_DEP_1)
	v_and_b32_e32 v40, 0x7f800000, v15
	v_cmp_ne_u32_e64 s1, 0x7f800000, v40
                                        ; implicit-def: $vgpr40
	s_delay_alu instid0(VALU_DEP_1) | instskip(NEXT) | instid1(SALU_CYCLE_1)
	s_and_saveexec_b32 s49, s1
	s_xor_b32 s1, exec_lo, s49
; %bb.49:                               ;   in Loop: Header=BB379_13 Depth=1
	v_bfe_u32 v40, v15, 16, 1
	s_delay_alu instid0(VALU_DEP_1)
	v_add3_u32 v40, v15, v40, 0x7fff
                                        ; implicit-def: $vgpr15
; %bb.50:                               ;   in Loop: Header=BB379_13 Depth=1
	s_and_not1_saveexec_b32 s49, s1
; %bb.51:                               ;   in Loop: Header=BB379_13 Depth=1
	v_and_b32_e32 v40, 0xffff, v15
	v_or_b32_e32 v42, 0x10000, v15
	s_delay_alu instid0(VALU_DEP_2) | instskip(NEXT) | instid1(VALU_DEP_1)
	v_cmp_eq_u32_e64 s1, 0, v40
	v_cndmask_b32_e64 v40, v42, v15, s1
; %bb.52:                               ;   in Loop: Header=BB379_13 Depth=1
	s_or_b32 exec_lo, exec_lo, s49
	v_lshrrev_b16 v42, 8, v41
	v_mov_b32_e32 v15, 0
	s_mov_b32 s49, exec_lo
	s_delay_alu instid0(VALU_DEP_2)
	v_cmpx_ne_u16_e32 0, v42
	s_cbranch_execz .LBB379_60
; %bb.53:                               ;   in Loop: Header=BB379_13 Depth=1
	v_bfrev_b32_e32 v15, 1
	s_mov_b32 s50, exec_lo
	v_cmpx_ne_u16_e32 0x80, v42
	s_cbranch_execz .LBB379_59
; %bb.54:                               ;   in Loop: Header=BB379_13 Depth=1
	v_and_b32_e32 v42, 0xffff, v42
	v_mov_b32_e32 v15, 0x7f800001
	s_mov_b32 s51, exec_lo
	s_delay_alu instid0(VALU_DEP_2) | instskip(NEXT) | instid1(VALU_DEP_1)
	v_and_b32_e32 v43, 0x7f, v42
	v_cmpx_ne_u32_e32 0x7f, v43
	s_cbranch_execz .LBB379_58
; %bb.55:                               ;   in Loop: Header=BB379_13 Depth=1
	v_and_b32_e32 v15, 7, v42
	v_lshrrev_b32_e32 v42, 3, v43
	s_mov_b32 s52, exec_lo
	v_cmpx_gt_u32_e32 8, v43
; %bb.56:                               ;   in Loop: Header=BB379_13 Depth=1
	s_delay_alu instid0(VALU_DEP_3) | instskip(NEXT) | instid1(VALU_DEP_1)
	v_clz_i32_u32_e32 v42, v15
	v_min_u32_e32 v42, 32, v42
	s_delay_alu instid0(VALU_DEP_1) | instskip(SKIP_1) | instid1(VALU_DEP_2)
	v_subrev_nc_u32_e32 v43, 28, v42
	v_sub_nc_u32_e32 v42, 29, v42
	v_lshlrev_b64 v[43:44], v43, v[15:16]
	s_delay_alu instid0(VALU_DEP_1)
	v_and_b32_e32 v15, 7, v43
; %bb.57:                               ;   in Loop: Header=BB379_13 Depth=1
	s_or_b32 exec_lo, exec_lo, s52
	v_lshlrev_b32_e32 v41, 16, v41
	s_delay_alu instid0(VALU_DEP_2) | instskip(SKIP_1) | instid1(VALU_DEP_3)
	v_lshlrev_b32_e32 v15, 20, v15
	v_lshl_add_u32 v42, v42, 23, 0x3c000000
	v_and_b32_e32 v41, 0x80000000, v41
	s_delay_alu instid0(VALU_DEP_1)
	v_or3_b32 v15, v15, v41, v42
.LBB379_58:                             ;   in Loop: Header=BB379_13 Depth=1
	s_or_b32 exec_lo, exec_lo, s51
.LBB379_59:                             ;   in Loop: Header=BB379_13 Depth=1
	s_delay_alu instid0(SALU_CYCLE_1)
	s_or_b32 exec_lo, exec_lo, s50
.LBB379_60:                             ;   in Loop: Header=BB379_13 Depth=1
	s_delay_alu instid0(SALU_CYCLE_1) | instskip(NEXT) | instid1(VALU_DEP_1)
	s_or_b32 exec_lo, exec_lo, s49
	v_mul_f32_e32 v15, s48, v15
	s_delay_alu instid0(VALU_DEP_1) | instskip(NEXT) | instid1(VALU_DEP_1)
	v_and_b32_e32 v41, 0x7f800000, v15
	v_cmp_ne_u32_e64 s1, 0x7f800000, v41
                                        ; implicit-def: $vgpr41
	s_delay_alu instid0(VALU_DEP_1) | instskip(NEXT) | instid1(SALU_CYCLE_1)
	s_and_saveexec_b32 s49, s1
	s_xor_b32 s1, exec_lo, s49
; %bb.61:                               ;   in Loop: Header=BB379_13 Depth=1
	v_bfe_u32 v41, v15, 16, 1
	s_delay_alu instid0(VALU_DEP_1)
	v_add3_u32 v41, v15, v41, 0x7fff
                                        ; implicit-def: $vgpr15
; %bb.62:                               ;   in Loop: Header=BB379_13 Depth=1
	s_and_not1_saveexec_b32 s49, s1
; %bb.63:                               ;   in Loop: Header=BB379_13 Depth=1
	v_and_b32_e32 v41, 0xffff, v15
	v_or_b32_e32 v42, 0x10000, v15
	s_delay_alu instid0(VALU_DEP_2) | instskip(NEXT) | instid1(VALU_DEP_1)
	v_cmp_eq_u32_e64 s1, 0, v41
	v_cndmask_b32_e64 v41, v42, v15, s1
; %bb.64:                               ;   in Loop: Header=BB379_13 Depth=1
	s_or_b32 exec_lo, exec_lo, s49
	global_load_u16 v15, v[23:24], off offset:128
	s_mov_b32 s49, exec_lo
	s_waitcnt vmcnt(0)
	v_and_b32_e32 v42, 0xff, v15
	v_and_b32_e32 v43, 0xffff, v15
	v_mov_b32_e32 v15, 0
	s_delay_alu instid0(VALU_DEP_3)
	v_cmpx_ne_u16_e32 0, v42
	s_cbranch_execz .LBB379_72
; %bb.65:                               ;   in Loop: Header=BB379_13 Depth=1
	s_delay_alu instid0(VALU_DEP_3) | instskip(NEXT) | instid1(VALU_DEP_1)
	v_and_b32_e32 v15, 0xff, v43
	v_cmp_ne_u16_e64 s1, 0x80, v15
	v_bfrev_b32_e32 v15, 1
	s_delay_alu instid0(VALU_DEP_2)
	s_and_saveexec_b32 s50, s1
	s_cbranch_execz .LBB379_71
; %bb.66:                               ;   in Loop: Header=BB379_13 Depth=1
	v_and_b32_e32 v44, 0x7f, v43
	v_mov_b32_e32 v15, 0x7f800001
	s_mov_b32 s51, exec_lo
	s_delay_alu instid0(VALU_DEP_2)
	v_cmpx_ne_u32_e32 0x7f, v44
	s_cbranch_execz .LBB379_70
; %bb.67:                               ;   in Loop: Header=BB379_13 Depth=1
	v_and_b32_e32 v15, 7, v43
	v_lshrrev_b32_e32 v42, 3, v44
	s_mov_b32 s52, exec_lo
	v_cmpx_gt_u32_e32 8, v44
; %bb.68:                               ;   in Loop: Header=BB379_13 Depth=1
	s_delay_alu instid0(VALU_DEP_3) | instskip(NEXT) | instid1(VALU_DEP_1)
	v_clz_i32_u32_e32 v42, v15
	v_min_u32_e32 v42, 32, v42
	s_delay_alu instid0(VALU_DEP_1) | instskip(SKIP_1) | instid1(VALU_DEP_2)
	v_subrev_nc_u32_e32 v44, 28, v42
	v_sub_nc_u32_e32 v42, 29, v42
	v_lshlrev_b64 v[44:45], v44, v[15:16]
	s_delay_alu instid0(VALU_DEP_1)
	v_and_b32_e32 v15, 7, v44
; %bb.69:                               ;   in Loop: Header=BB379_13 Depth=1
	s_or_b32 exec_lo, exec_lo, s52
	v_lshlrev_b32_e32 v44, 24, v43
	s_delay_alu instid0(VALU_DEP_2) | instskip(SKIP_1) | instid1(VALU_DEP_3)
	v_lshlrev_b32_e32 v15, 20, v15
	v_lshl_add_u32 v42, v42, 23, 0x3c000000
	v_and_b32_e32 v44, 0x80000000, v44
	s_delay_alu instid0(VALU_DEP_1)
	v_or3_b32 v15, v15, v44, v42
.LBB379_70:                             ;   in Loop: Header=BB379_13 Depth=1
	s_or_b32 exec_lo, exec_lo, s51
.LBB379_71:                             ;   in Loop: Header=BB379_13 Depth=1
	s_delay_alu instid0(SALU_CYCLE_1)
	s_or_b32 exec_lo, exec_lo, s50
.LBB379_72:                             ;   in Loop: Header=BB379_13 Depth=1
	s_delay_alu instid0(SALU_CYCLE_1) | instskip(NEXT) | instid1(VALU_DEP_1)
	s_or_b32 exec_lo, exec_lo, s49
	v_mul_f32_e32 v15, s48, v15
	s_delay_alu instid0(VALU_DEP_1) | instskip(NEXT) | instid1(VALU_DEP_1)
	v_and_b32_e32 v42, 0x7f800000, v15
	v_cmp_ne_u32_e64 s1, 0x7f800000, v42
                                        ; implicit-def: $vgpr42
	s_delay_alu instid0(VALU_DEP_1) | instskip(NEXT) | instid1(SALU_CYCLE_1)
	s_and_saveexec_b32 s49, s1
	s_xor_b32 s1, exec_lo, s49
; %bb.73:                               ;   in Loop: Header=BB379_13 Depth=1
	v_bfe_u32 v42, v15, 16, 1
	s_delay_alu instid0(VALU_DEP_1)
	v_add3_u32 v42, v15, v42, 0x7fff
                                        ; implicit-def: $vgpr15
; %bb.74:                               ;   in Loop: Header=BB379_13 Depth=1
	s_and_not1_saveexec_b32 s49, s1
; %bb.75:                               ;   in Loop: Header=BB379_13 Depth=1
	v_and_b32_e32 v42, 0xffff, v15
	v_or_b32_e32 v44, 0x10000, v15
	s_delay_alu instid0(VALU_DEP_2) | instskip(NEXT) | instid1(VALU_DEP_1)
	v_cmp_eq_u32_e64 s1, 0, v42
	v_cndmask_b32_e64 v42, v44, v15, s1
; %bb.76:                               ;   in Loop: Header=BB379_13 Depth=1
	s_or_b32 exec_lo, exec_lo, s49
	v_lshrrev_b16 v44, 8, v43
	v_mov_b32_e32 v15, 0
	s_mov_b32 s49, exec_lo
	s_delay_alu instid0(VALU_DEP_2)
	v_cmpx_ne_u16_e32 0, v44
	s_cbranch_execz .LBB379_84
; %bb.77:                               ;   in Loop: Header=BB379_13 Depth=1
	v_bfrev_b32_e32 v15, 1
	s_mov_b32 s50, exec_lo
	v_cmpx_ne_u16_e32 0x80, v44
	s_cbranch_execz .LBB379_83
; %bb.78:                               ;   in Loop: Header=BB379_13 Depth=1
	v_and_b32_e32 v44, 0xffff, v44
	v_mov_b32_e32 v15, 0x7f800001
	s_mov_b32 s51, exec_lo
	s_delay_alu instid0(VALU_DEP_2) | instskip(NEXT) | instid1(VALU_DEP_1)
	v_and_b32_e32 v45, 0x7f, v44
	v_cmpx_ne_u32_e32 0x7f, v45
	s_cbranch_execz .LBB379_82
; %bb.79:                               ;   in Loop: Header=BB379_13 Depth=1
	v_and_b32_e32 v15, 7, v44
	v_lshrrev_b32_e32 v44, 3, v45
	s_mov_b32 s52, exec_lo
	v_cmpx_gt_u32_e32 8, v45
; %bb.80:                               ;   in Loop: Header=BB379_13 Depth=1
	s_delay_alu instid0(VALU_DEP_3) | instskip(NEXT) | instid1(VALU_DEP_1)
	v_clz_i32_u32_e32 v44, v15
	v_min_u32_e32 v44, 32, v44
	s_delay_alu instid0(VALU_DEP_1) | instskip(SKIP_1) | instid1(VALU_DEP_2)
	v_subrev_nc_u32_e32 v45, 28, v44
	v_sub_nc_u32_e32 v44, 29, v44
	v_lshlrev_b64 v[45:46], v45, v[15:16]
	s_delay_alu instid0(VALU_DEP_1)
	v_and_b32_e32 v15, 7, v45
; %bb.81:                               ;   in Loop: Header=BB379_13 Depth=1
	s_or_b32 exec_lo, exec_lo, s52
	v_lshlrev_b32_e32 v43, 16, v43
	s_delay_alu instid0(VALU_DEP_2) | instskip(SKIP_1) | instid1(VALU_DEP_3)
	v_lshlrev_b32_e32 v15, 20, v15
	v_lshl_add_u32 v44, v44, 23, 0x3c000000
	v_and_b32_e32 v43, 0x80000000, v43
	s_delay_alu instid0(VALU_DEP_1)
	v_or3_b32 v15, v15, v43, v44
.LBB379_82:                             ;   in Loop: Header=BB379_13 Depth=1
	s_or_b32 exec_lo, exec_lo, s51
.LBB379_83:                             ;   in Loop: Header=BB379_13 Depth=1
	s_delay_alu instid0(SALU_CYCLE_1)
	s_or_b32 exec_lo, exec_lo, s50
.LBB379_84:                             ;   in Loop: Header=BB379_13 Depth=1
	s_delay_alu instid0(SALU_CYCLE_1) | instskip(NEXT) | instid1(VALU_DEP_1)
	s_or_b32 exec_lo, exec_lo, s49
	v_mul_f32_e32 v15, s48, v15
	s_delay_alu instid0(VALU_DEP_1) | instskip(NEXT) | instid1(VALU_DEP_1)
	v_and_b32_e32 v43, 0x7f800000, v15
	v_cmp_ne_u32_e64 s1, 0x7f800000, v43
                                        ; implicit-def: $vgpr43
	s_delay_alu instid0(VALU_DEP_1) | instskip(NEXT) | instid1(SALU_CYCLE_1)
	s_and_saveexec_b32 s49, s1
	s_xor_b32 s1, exec_lo, s49
; %bb.85:                               ;   in Loop: Header=BB379_13 Depth=1
	v_bfe_u32 v43, v15, 16, 1
	s_delay_alu instid0(VALU_DEP_1)
	v_add3_u32 v43, v15, v43, 0x7fff
                                        ; implicit-def: $vgpr15
; %bb.86:                               ;   in Loop: Header=BB379_13 Depth=1
	s_and_not1_saveexec_b32 s49, s1
; %bb.87:                               ;   in Loop: Header=BB379_13 Depth=1
	v_and_b32_e32 v43, 0xffff, v15
	v_or_b32_e32 v44, 0x10000, v15
	s_delay_alu instid0(VALU_DEP_2) | instskip(NEXT) | instid1(VALU_DEP_1)
	v_cmp_eq_u32_e64 s1, 0, v43
	v_cndmask_b32_e64 v43, v44, v15, s1
; %bb.88:                               ;   in Loop: Header=BB379_13 Depth=1
	s_or_b32 exec_lo, exec_lo, s49
	global_load_u16 v15, v[23:24], off offset:136
	s_mov_b32 s49, exec_lo
	s_waitcnt vmcnt(0)
	v_and_b32_e32 v44, 0xff, v15
	v_and_b32_e32 v45, 0xffff, v15
	v_mov_b32_e32 v15, 0
	s_delay_alu instid0(VALU_DEP_3)
	v_cmpx_ne_u16_e32 0, v44
	s_cbranch_execz .LBB379_96
; %bb.89:                               ;   in Loop: Header=BB379_13 Depth=1
	s_delay_alu instid0(VALU_DEP_3) | instskip(NEXT) | instid1(VALU_DEP_1)
	v_and_b32_e32 v15, 0xff, v45
	v_cmp_ne_u16_e64 s1, 0x80, v15
	v_bfrev_b32_e32 v15, 1
	s_delay_alu instid0(VALU_DEP_2)
	s_and_saveexec_b32 s50, s1
	s_cbranch_execz .LBB379_95
; %bb.90:                               ;   in Loop: Header=BB379_13 Depth=1
	v_and_b32_e32 v46, 0x7f, v45
	v_mov_b32_e32 v15, 0x7f800001
	s_mov_b32 s51, exec_lo
	s_delay_alu instid0(VALU_DEP_2)
	v_cmpx_ne_u32_e32 0x7f, v46
	s_cbranch_execz .LBB379_94
; %bb.91:                               ;   in Loop: Header=BB379_13 Depth=1
	v_and_b32_e32 v15, 7, v45
	v_lshrrev_b32_e32 v44, 3, v46
	s_mov_b32 s52, exec_lo
	v_cmpx_gt_u32_e32 8, v46
; %bb.92:                               ;   in Loop: Header=BB379_13 Depth=1
	s_delay_alu instid0(VALU_DEP_3) | instskip(NEXT) | instid1(VALU_DEP_1)
	v_clz_i32_u32_e32 v44, v15
	v_min_u32_e32 v44, 32, v44
	s_delay_alu instid0(VALU_DEP_1) | instskip(SKIP_1) | instid1(VALU_DEP_2)
	v_subrev_nc_u32_e32 v46, 28, v44
	v_sub_nc_u32_e32 v44, 29, v44
	v_lshlrev_b64 v[46:47], v46, v[15:16]
	s_delay_alu instid0(VALU_DEP_1)
	v_and_b32_e32 v15, 7, v46
; %bb.93:                               ;   in Loop: Header=BB379_13 Depth=1
	s_or_b32 exec_lo, exec_lo, s52
	v_lshlrev_b32_e32 v46, 24, v45
	s_delay_alu instid0(VALU_DEP_2) | instskip(SKIP_1) | instid1(VALU_DEP_3)
	v_lshlrev_b32_e32 v15, 20, v15
	v_lshl_add_u32 v44, v44, 23, 0x3c000000
	v_and_b32_e32 v46, 0x80000000, v46
	s_delay_alu instid0(VALU_DEP_1)
	v_or3_b32 v15, v15, v46, v44
.LBB379_94:                             ;   in Loop: Header=BB379_13 Depth=1
	s_or_b32 exec_lo, exec_lo, s51
.LBB379_95:                             ;   in Loop: Header=BB379_13 Depth=1
	s_delay_alu instid0(SALU_CYCLE_1)
	s_or_b32 exec_lo, exec_lo, s50
.LBB379_96:                             ;   in Loop: Header=BB379_13 Depth=1
	s_delay_alu instid0(SALU_CYCLE_1) | instskip(NEXT) | instid1(VALU_DEP_1)
	s_or_b32 exec_lo, exec_lo, s49
	v_mul_f32_e32 v15, s48, v15
	s_delay_alu instid0(VALU_DEP_1) | instskip(NEXT) | instid1(VALU_DEP_1)
	v_and_b32_e32 v44, 0x7f800000, v15
	v_cmp_ne_u32_e64 s1, 0x7f800000, v44
                                        ; implicit-def: $vgpr44
	s_delay_alu instid0(VALU_DEP_1) | instskip(NEXT) | instid1(SALU_CYCLE_1)
	s_and_saveexec_b32 s49, s1
	s_xor_b32 s1, exec_lo, s49
; %bb.97:                               ;   in Loop: Header=BB379_13 Depth=1
	v_bfe_u32 v44, v15, 16, 1
	s_delay_alu instid0(VALU_DEP_1)
	v_add3_u32 v44, v15, v44, 0x7fff
                                        ; implicit-def: $vgpr15
; %bb.98:                               ;   in Loop: Header=BB379_13 Depth=1
	s_and_not1_saveexec_b32 s49, s1
; %bb.99:                               ;   in Loop: Header=BB379_13 Depth=1
	v_and_b32_e32 v44, 0xffff, v15
	v_or_b32_e32 v46, 0x10000, v15
	s_delay_alu instid0(VALU_DEP_2) | instskip(NEXT) | instid1(VALU_DEP_1)
	v_cmp_eq_u32_e64 s1, 0, v44
	v_cndmask_b32_e64 v44, v46, v15, s1
; %bb.100:                              ;   in Loop: Header=BB379_13 Depth=1
	s_or_b32 exec_lo, exec_lo, s49
	v_lshrrev_b16 v46, 8, v45
	v_mov_b32_e32 v15, 0
	s_mov_b32 s49, exec_lo
	s_delay_alu instid0(VALU_DEP_2)
	v_cmpx_ne_u16_e32 0, v46
	s_cbranch_execz .LBB379_108
; %bb.101:                              ;   in Loop: Header=BB379_13 Depth=1
	v_bfrev_b32_e32 v15, 1
	s_mov_b32 s50, exec_lo
	v_cmpx_ne_u16_e32 0x80, v46
	s_cbranch_execz .LBB379_107
; %bb.102:                              ;   in Loop: Header=BB379_13 Depth=1
	v_and_b32_e32 v46, 0xffff, v46
	v_mov_b32_e32 v15, 0x7f800001
	s_mov_b32 s51, exec_lo
	s_delay_alu instid0(VALU_DEP_2) | instskip(NEXT) | instid1(VALU_DEP_1)
	v_and_b32_e32 v47, 0x7f, v46
	v_cmpx_ne_u32_e32 0x7f, v47
	s_cbranch_execz .LBB379_106
; %bb.103:                              ;   in Loop: Header=BB379_13 Depth=1
	v_and_b32_e32 v15, 7, v46
	v_lshrrev_b32_e32 v46, 3, v47
	s_mov_b32 s52, exec_lo
	v_cmpx_gt_u32_e32 8, v47
; %bb.104:                              ;   in Loop: Header=BB379_13 Depth=1
	s_delay_alu instid0(VALU_DEP_3) | instskip(NEXT) | instid1(VALU_DEP_1)
	v_clz_i32_u32_e32 v46, v15
	v_min_u32_e32 v46, 32, v46
	s_delay_alu instid0(VALU_DEP_1) | instskip(SKIP_1) | instid1(VALU_DEP_2)
	v_subrev_nc_u32_e32 v47, 28, v46
	v_sub_nc_u32_e32 v46, 29, v46
	v_lshlrev_b64 v[47:48], v47, v[15:16]
	s_delay_alu instid0(VALU_DEP_1)
	v_and_b32_e32 v15, 7, v47
; %bb.105:                              ;   in Loop: Header=BB379_13 Depth=1
	s_or_b32 exec_lo, exec_lo, s52
	v_lshlrev_b32_e32 v45, 16, v45
	s_delay_alu instid0(VALU_DEP_2) | instskip(SKIP_1) | instid1(VALU_DEP_3)
	v_lshlrev_b32_e32 v15, 20, v15
	v_lshl_add_u32 v46, v46, 23, 0x3c000000
	v_and_b32_e32 v45, 0x80000000, v45
	s_delay_alu instid0(VALU_DEP_1)
	v_or3_b32 v15, v15, v45, v46
.LBB379_106:                            ;   in Loop: Header=BB379_13 Depth=1
	s_or_b32 exec_lo, exec_lo, s51
.LBB379_107:                            ;   in Loop: Header=BB379_13 Depth=1
	s_delay_alu instid0(SALU_CYCLE_1)
	s_or_b32 exec_lo, exec_lo, s50
.LBB379_108:                            ;   in Loop: Header=BB379_13 Depth=1
	s_delay_alu instid0(SALU_CYCLE_1) | instskip(NEXT) | instid1(VALU_DEP_1)
	s_or_b32 exec_lo, exec_lo, s49
	v_mul_f32_e32 v15, s48, v15
	s_delay_alu instid0(VALU_DEP_1) | instskip(NEXT) | instid1(VALU_DEP_1)
	v_and_b32_e32 v45, 0x7f800000, v15
	v_cmp_ne_u32_e64 s1, 0x7f800000, v45
                                        ; implicit-def: $vgpr45
	s_delay_alu instid0(VALU_DEP_1) | instskip(NEXT) | instid1(SALU_CYCLE_1)
	s_and_saveexec_b32 s49, s1
	s_xor_b32 s1, exec_lo, s49
; %bb.109:                              ;   in Loop: Header=BB379_13 Depth=1
	v_bfe_u32 v45, v15, 16, 1
	s_delay_alu instid0(VALU_DEP_1)
	v_add3_u32 v45, v15, v45, 0x7fff
                                        ; implicit-def: $vgpr15
; %bb.110:                              ;   in Loop: Header=BB379_13 Depth=1
	s_and_not1_saveexec_b32 s49, s1
; %bb.111:                              ;   in Loop: Header=BB379_13 Depth=1
	v_and_b32_e32 v45, 0xffff, v15
	v_or_b32_e32 v46, 0x10000, v15
	s_delay_alu instid0(VALU_DEP_2) | instskip(NEXT) | instid1(VALU_DEP_1)
	v_cmp_eq_u32_e64 s1, 0, v45
	v_cndmask_b32_e64 v45, v46, v15, s1
; %bb.112:                              ;   in Loop: Header=BB379_13 Depth=1
	s_or_b32 exec_lo, exec_lo, s49
	global_load_u16 v15, v[23:24], off offset:256
	s_mov_b32 s49, exec_lo
	s_waitcnt vmcnt(0)
	v_and_b32_e32 v46, 0xff, v15
	v_and_b32_e32 v47, 0xffff, v15
	v_mov_b32_e32 v15, 0
	s_delay_alu instid0(VALU_DEP_3)
	v_cmpx_ne_u16_e32 0, v46
	s_cbranch_execz .LBB379_120
; %bb.113:                              ;   in Loop: Header=BB379_13 Depth=1
	s_delay_alu instid0(VALU_DEP_3) | instskip(NEXT) | instid1(VALU_DEP_1)
	v_and_b32_e32 v15, 0xff, v47
	v_cmp_ne_u16_e64 s1, 0x80, v15
	v_bfrev_b32_e32 v15, 1
	s_delay_alu instid0(VALU_DEP_2)
	s_and_saveexec_b32 s50, s1
	s_cbranch_execz .LBB379_119
; %bb.114:                              ;   in Loop: Header=BB379_13 Depth=1
	v_and_b32_e32 v48, 0x7f, v47
	v_mov_b32_e32 v15, 0x7f800001
	s_mov_b32 s51, exec_lo
	s_delay_alu instid0(VALU_DEP_2)
	v_cmpx_ne_u32_e32 0x7f, v48
	s_cbranch_execz .LBB379_118
; %bb.115:                              ;   in Loop: Header=BB379_13 Depth=1
	v_and_b32_e32 v15, 7, v47
	v_lshrrev_b32_e32 v46, 3, v48
	s_mov_b32 s52, exec_lo
	v_cmpx_gt_u32_e32 8, v48
; %bb.116:                              ;   in Loop: Header=BB379_13 Depth=1
	s_delay_alu instid0(VALU_DEP_3) | instskip(NEXT) | instid1(VALU_DEP_1)
	v_clz_i32_u32_e32 v46, v15
	v_min_u32_e32 v46, 32, v46
	s_delay_alu instid0(VALU_DEP_1) | instskip(SKIP_1) | instid1(VALU_DEP_2)
	v_subrev_nc_u32_e32 v48, 28, v46
	v_sub_nc_u32_e32 v46, 29, v46
	v_lshlrev_b64 v[48:49], v48, v[15:16]
	s_delay_alu instid0(VALU_DEP_1)
	v_and_b32_e32 v15, 7, v48
; %bb.117:                              ;   in Loop: Header=BB379_13 Depth=1
	s_or_b32 exec_lo, exec_lo, s52
	v_lshlrev_b32_e32 v48, 24, v47
	s_delay_alu instid0(VALU_DEP_2) | instskip(SKIP_1) | instid1(VALU_DEP_3)
	v_lshlrev_b32_e32 v15, 20, v15
	v_lshl_add_u32 v46, v46, 23, 0x3c000000
	v_and_b32_e32 v48, 0x80000000, v48
	s_delay_alu instid0(VALU_DEP_1)
	v_or3_b32 v15, v15, v48, v46
.LBB379_118:                            ;   in Loop: Header=BB379_13 Depth=1
	s_or_b32 exec_lo, exec_lo, s51
.LBB379_119:                            ;   in Loop: Header=BB379_13 Depth=1
	s_delay_alu instid0(SALU_CYCLE_1)
	s_or_b32 exec_lo, exec_lo, s50
.LBB379_120:                            ;   in Loop: Header=BB379_13 Depth=1
	s_delay_alu instid0(SALU_CYCLE_1) | instskip(NEXT) | instid1(VALU_DEP_1)
	s_or_b32 exec_lo, exec_lo, s49
	v_mul_f32_e32 v15, s48, v15
	s_delay_alu instid0(VALU_DEP_1) | instskip(NEXT) | instid1(VALU_DEP_1)
	v_and_b32_e32 v46, 0x7f800000, v15
	v_cmp_ne_u32_e64 s1, 0x7f800000, v46
                                        ; implicit-def: $vgpr46
	s_delay_alu instid0(VALU_DEP_1) | instskip(NEXT) | instid1(SALU_CYCLE_1)
	s_and_saveexec_b32 s49, s1
	s_xor_b32 s1, exec_lo, s49
; %bb.121:                              ;   in Loop: Header=BB379_13 Depth=1
	v_bfe_u32 v46, v15, 16, 1
	s_delay_alu instid0(VALU_DEP_1)
	v_add3_u32 v46, v15, v46, 0x7fff
                                        ; implicit-def: $vgpr15
; %bb.122:                              ;   in Loop: Header=BB379_13 Depth=1
	s_and_not1_saveexec_b32 s49, s1
; %bb.123:                              ;   in Loop: Header=BB379_13 Depth=1
	v_and_b32_e32 v46, 0xffff, v15
	v_or_b32_e32 v48, 0x10000, v15
	s_delay_alu instid0(VALU_DEP_2) | instskip(NEXT) | instid1(VALU_DEP_1)
	v_cmp_eq_u32_e64 s1, 0, v46
	v_cndmask_b32_e64 v46, v48, v15, s1
; %bb.124:                              ;   in Loop: Header=BB379_13 Depth=1
	s_or_b32 exec_lo, exec_lo, s49
	v_lshrrev_b16 v48, 8, v47
	v_mov_b32_e32 v15, 0
	s_mov_b32 s49, exec_lo
	s_delay_alu instid0(VALU_DEP_2)
	v_cmpx_ne_u16_e32 0, v48
	s_cbranch_execz .LBB379_132
; %bb.125:                              ;   in Loop: Header=BB379_13 Depth=1
	v_bfrev_b32_e32 v15, 1
	s_mov_b32 s50, exec_lo
	v_cmpx_ne_u16_e32 0x80, v48
	s_cbranch_execz .LBB379_131
; %bb.126:                              ;   in Loop: Header=BB379_13 Depth=1
	v_and_b32_e32 v48, 0xffff, v48
	v_mov_b32_e32 v15, 0x7f800001
	s_mov_b32 s51, exec_lo
	s_delay_alu instid0(VALU_DEP_2) | instskip(NEXT) | instid1(VALU_DEP_1)
	v_and_b32_e32 v49, 0x7f, v48
	v_cmpx_ne_u32_e32 0x7f, v49
	s_cbranch_execz .LBB379_130
; %bb.127:                              ;   in Loop: Header=BB379_13 Depth=1
	v_and_b32_e32 v15, 7, v48
	v_lshrrev_b32_e32 v48, 3, v49
	s_mov_b32 s52, exec_lo
	v_cmpx_gt_u32_e32 8, v49
; %bb.128:                              ;   in Loop: Header=BB379_13 Depth=1
	s_delay_alu instid0(VALU_DEP_3) | instskip(NEXT) | instid1(VALU_DEP_1)
	v_clz_i32_u32_e32 v48, v15
	v_min_u32_e32 v48, 32, v48
	s_delay_alu instid0(VALU_DEP_1) | instskip(SKIP_1) | instid1(VALU_DEP_2)
	v_subrev_nc_u32_e32 v49, 28, v48
	v_sub_nc_u32_e32 v48, 29, v48
	v_lshlrev_b64 v[49:50], v49, v[15:16]
	s_delay_alu instid0(VALU_DEP_1)
	v_and_b32_e32 v15, 7, v49
; %bb.129:                              ;   in Loop: Header=BB379_13 Depth=1
	s_or_b32 exec_lo, exec_lo, s52
	v_lshlrev_b32_e32 v47, 16, v47
	s_delay_alu instid0(VALU_DEP_2) | instskip(SKIP_1) | instid1(VALU_DEP_3)
	v_lshlrev_b32_e32 v15, 20, v15
	v_lshl_add_u32 v48, v48, 23, 0x3c000000
	v_and_b32_e32 v47, 0x80000000, v47
	s_delay_alu instid0(VALU_DEP_1)
	v_or3_b32 v15, v15, v47, v48
.LBB379_130:                            ;   in Loop: Header=BB379_13 Depth=1
	s_or_b32 exec_lo, exec_lo, s51
.LBB379_131:                            ;   in Loop: Header=BB379_13 Depth=1
	s_delay_alu instid0(SALU_CYCLE_1)
	s_or_b32 exec_lo, exec_lo, s50
.LBB379_132:                            ;   in Loop: Header=BB379_13 Depth=1
	s_delay_alu instid0(SALU_CYCLE_1) | instskip(NEXT) | instid1(VALU_DEP_1)
	s_or_b32 exec_lo, exec_lo, s49
	v_mul_f32_e32 v15, s48, v15
	s_delay_alu instid0(VALU_DEP_1) | instskip(NEXT) | instid1(VALU_DEP_1)
	v_and_b32_e32 v47, 0x7f800000, v15
	v_cmp_ne_u32_e64 s1, 0x7f800000, v47
                                        ; implicit-def: $vgpr47
	s_delay_alu instid0(VALU_DEP_1) | instskip(NEXT) | instid1(SALU_CYCLE_1)
	s_and_saveexec_b32 s49, s1
	s_xor_b32 s1, exec_lo, s49
; %bb.133:                              ;   in Loop: Header=BB379_13 Depth=1
	v_bfe_u32 v47, v15, 16, 1
	s_delay_alu instid0(VALU_DEP_1)
	v_add3_u32 v47, v15, v47, 0x7fff
                                        ; implicit-def: $vgpr15
; %bb.134:                              ;   in Loop: Header=BB379_13 Depth=1
	s_and_not1_saveexec_b32 s49, s1
; %bb.135:                              ;   in Loop: Header=BB379_13 Depth=1
	v_and_b32_e32 v47, 0xffff, v15
	v_or_b32_e32 v48, 0x10000, v15
	s_delay_alu instid0(VALU_DEP_2) | instskip(NEXT) | instid1(VALU_DEP_1)
	v_cmp_eq_u32_e64 s1, 0, v47
	v_cndmask_b32_e64 v47, v48, v15, s1
; %bb.136:                              ;   in Loop: Header=BB379_13 Depth=1
	s_or_b32 exec_lo, exec_lo, s49
	global_load_u16 v15, v[23:24], off offset:264
	s_mov_b32 s49, exec_lo
	s_waitcnt vmcnt(0)
	v_and_b32_e32 v48, 0xff, v15
	v_and_b32_e32 v49, 0xffff, v15
	v_mov_b32_e32 v15, 0
	s_delay_alu instid0(VALU_DEP_3)
	v_cmpx_ne_u16_e32 0, v48
	s_cbranch_execz .LBB379_144
; %bb.137:                              ;   in Loop: Header=BB379_13 Depth=1
	s_delay_alu instid0(VALU_DEP_3) | instskip(NEXT) | instid1(VALU_DEP_1)
	v_and_b32_e32 v15, 0xff, v49
	v_cmp_ne_u16_e64 s1, 0x80, v15
	v_bfrev_b32_e32 v15, 1
	s_delay_alu instid0(VALU_DEP_2)
	s_and_saveexec_b32 s50, s1
	s_cbranch_execz .LBB379_143
; %bb.138:                              ;   in Loop: Header=BB379_13 Depth=1
	v_and_b32_e32 v50, 0x7f, v49
	v_mov_b32_e32 v15, 0x7f800001
	s_mov_b32 s51, exec_lo
	s_delay_alu instid0(VALU_DEP_2)
	v_cmpx_ne_u32_e32 0x7f, v50
	s_cbranch_execz .LBB379_142
; %bb.139:                              ;   in Loop: Header=BB379_13 Depth=1
	v_and_b32_e32 v15, 7, v49
	v_lshrrev_b32_e32 v48, 3, v50
	s_mov_b32 s52, exec_lo
	v_cmpx_gt_u32_e32 8, v50
; %bb.140:                              ;   in Loop: Header=BB379_13 Depth=1
	s_delay_alu instid0(VALU_DEP_3) | instskip(NEXT) | instid1(VALU_DEP_1)
	v_clz_i32_u32_e32 v48, v15
	v_min_u32_e32 v48, 32, v48
	s_delay_alu instid0(VALU_DEP_1) | instskip(SKIP_1) | instid1(VALU_DEP_2)
	v_subrev_nc_u32_e32 v50, 28, v48
	v_sub_nc_u32_e32 v48, 29, v48
	v_lshlrev_b64 v[50:51], v50, v[15:16]
	s_delay_alu instid0(VALU_DEP_1)
	v_and_b32_e32 v15, 7, v50
; %bb.141:                              ;   in Loop: Header=BB379_13 Depth=1
	s_or_b32 exec_lo, exec_lo, s52
	v_lshlrev_b32_e32 v50, 24, v49
	s_delay_alu instid0(VALU_DEP_2) | instskip(SKIP_1) | instid1(VALU_DEP_3)
	v_lshlrev_b32_e32 v15, 20, v15
	v_lshl_add_u32 v48, v48, 23, 0x3c000000
	v_and_b32_e32 v50, 0x80000000, v50
	s_delay_alu instid0(VALU_DEP_1)
	v_or3_b32 v15, v15, v50, v48
.LBB379_142:                            ;   in Loop: Header=BB379_13 Depth=1
	s_or_b32 exec_lo, exec_lo, s51
.LBB379_143:                            ;   in Loop: Header=BB379_13 Depth=1
	s_delay_alu instid0(SALU_CYCLE_1)
	s_or_b32 exec_lo, exec_lo, s50
.LBB379_144:                            ;   in Loop: Header=BB379_13 Depth=1
	s_delay_alu instid0(SALU_CYCLE_1) | instskip(NEXT) | instid1(VALU_DEP_1)
	s_or_b32 exec_lo, exec_lo, s49
	v_mul_f32_e32 v15, s48, v15
	s_delay_alu instid0(VALU_DEP_1) | instskip(NEXT) | instid1(VALU_DEP_1)
	v_and_b32_e32 v48, 0x7f800000, v15
	v_cmp_ne_u32_e64 s1, 0x7f800000, v48
                                        ; implicit-def: $vgpr48
	s_delay_alu instid0(VALU_DEP_1) | instskip(NEXT) | instid1(SALU_CYCLE_1)
	s_and_saveexec_b32 s49, s1
	s_xor_b32 s1, exec_lo, s49
; %bb.145:                              ;   in Loop: Header=BB379_13 Depth=1
	v_bfe_u32 v48, v15, 16, 1
	s_delay_alu instid0(VALU_DEP_1)
	v_add3_u32 v48, v15, v48, 0x7fff
                                        ; implicit-def: $vgpr15
; %bb.146:                              ;   in Loop: Header=BB379_13 Depth=1
	s_and_not1_saveexec_b32 s49, s1
; %bb.147:                              ;   in Loop: Header=BB379_13 Depth=1
	v_and_b32_e32 v48, 0xffff, v15
	v_or_b32_e32 v50, 0x10000, v15
	s_delay_alu instid0(VALU_DEP_2) | instskip(NEXT) | instid1(VALU_DEP_1)
	v_cmp_eq_u32_e64 s1, 0, v48
	v_cndmask_b32_e64 v48, v50, v15, s1
; %bb.148:                              ;   in Loop: Header=BB379_13 Depth=1
	s_or_b32 exec_lo, exec_lo, s49
	v_lshrrev_b16 v50, 8, v49
	v_mov_b32_e32 v15, 0
	s_mov_b32 s49, exec_lo
	s_delay_alu instid0(VALU_DEP_2)
	v_cmpx_ne_u16_e32 0, v50
	s_cbranch_execz .LBB379_156
; %bb.149:                              ;   in Loop: Header=BB379_13 Depth=1
	v_bfrev_b32_e32 v15, 1
	s_mov_b32 s50, exec_lo
	v_cmpx_ne_u16_e32 0x80, v50
	s_cbranch_execz .LBB379_155
; %bb.150:                              ;   in Loop: Header=BB379_13 Depth=1
	v_and_b32_e32 v50, 0xffff, v50
	v_mov_b32_e32 v15, 0x7f800001
	s_mov_b32 s51, exec_lo
	s_delay_alu instid0(VALU_DEP_2) | instskip(NEXT) | instid1(VALU_DEP_1)
	v_and_b32_e32 v51, 0x7f, v50
	v_cmpx_ne_u32_e32 0x7f, v51
	s_cbranch_execz .LBB379_154
; %bb.151:                              ;   in Loop: Header=BB379_13 Depth=1
	v_and_b32_e32 v15, 7, v50
	v_lshrrev_b32_e32 v50, 3, v51
	s_mov_b32 s52, exec_lo
	v_cmpx_gt_u32_e32 8, v51
; %bb.152:                              ;   in Loop: Header=BB379_13 Depth=1
	s_delay_alu instid0(VALU_DEP_3) | instskip(NEXT) | instid1(VALU_DEP_1)
	v_clz_i32_u32_e32 v50, v15
	v_min_u32_e32 v50, 32, v50
	s_delay_alu instid0(VALU_DEP_1) | instskip(SKIP_1) | instid1(VALU_DEP_2)
	v_subrev_nc_u32_e32 v51, 28, v50
	v_sub_nc_u32_e32 v50, 29, v50
	v_lshlrev_b64 v[51:52], v51, v[15:16]
	s_delay_alu instid0(VALU_DEP_1)
	v_and_b32_e32 v15, 7, v51
; %bb.153:                              ;   in Loop: Header=BB379_13 Depth=1
	s_or_b32 exec_lo, exec_lo, s52
	v_lshlrev_b32_e32 v49, 16, v49
	s_delay_alu instid0(VALU_DEP_2) | instskip(SKIP_1) | instid1(VALU_DEP_3)
	v_lshlrev_b32_e32 v15, 20, v15
	v_lshl_add_u32 v50, v50, 23, 0x3c000000
	v_and_b32_e32 v49, 0x80000000, v49
	s_delay_alu instid0(VALU_DEP_1)
	v_or3_b32 v15, v15, v49, v50
.LBB379_154:                            ;   in Loop: Header=BB379_13 Depth=1
	s_or_b32 exec_lo, exec_lo, s51
.LBB379_155:                            ;   in Loop: Header=BB379_13 Depth=1
	s_delay_alu instid0(SALU_CYCLE_1)
	s_or_b32 exec_lo, exec_lo, s50
.LBB379_156:                            ;   in Loop: Header=BB379_13 Depth=1
	s_delay_alu instid0(SALU_CYCLE_1) | instskip(NEXT) | instid1(VALU_DEP_1)
	s_or_b32 exec_lo, exec_lo, s49
	v_mul_f32_e32 v15, s48, v15
	s_delay_alu instid0(VALU_DEP_1) | instskip(NEXT) | instid1(VALU_DEP_1)
	v_and_b32_e32 v49, 0x7f800000, v15
	v_cmp_ne_u32_e64 s1, 0x7f800000, v49
                                        ; implicit-def: $vgpr49
	s_delay_alu instid0(VALU_DEP_1) | instskip(NEXT) | instid1(SALU_CYCLE_1)
	s_and_saveexec_b32 s49, s1
	s_xor_b32 s1, exec_lo, s49
; %bb.157:                              ;   in Loop: Header=BB379_13 Depth=1
	v_bfe_u32 v49, v15, 16, 1
	s_delay_alu instid0(VALU_DEP_1)
	v_add3_u32 v49, v15, v49, 0x7fff
                                        ; implicit-def: $vgpr15
; %bb.158:                              ;   in Loop: Header=BB379_13 Depth=1
	s_and_not1_saveexec_b32 s49, s1
; %bb.159:                              ;   in Loop: Header=BB379_13 Depth=1
	v_and_b32_e32 v49, 0xffff, v15
	v_or_b32_e32 v50, 0x10000, v15
	s_delay_alu instid0(VALU_DEP_2) | instskip(NEXT) | instid1(VALU_DEP_1)
	v_cmp_eq_u32_e64 s1, 0, v49
	v_cndmask_b32_e64 v49, v50, v15, s1
; %bb.160:                              ;   in Loop: Header=BB379_13 Depth=1
	s_or_b32 exec_lo, exec_lo, s49
	global_load_u16 v15, v[23:24], off offset:384
	s_mov_b32 s49, exec_lo
	s_waitcnt vmcnt(0)
	v_and_b32_e32 v50, 0xff, v15
	v_and_b32_e32 v51, 0xffff, v15
	v_mov_b32_e32 v15, 0
	s_delay_alu instid0(VALU_DEP_3)
	v_cmpx_ne_u16_e32 0, v50
	s_cbranch_execz .LBB379_168
; %bb.161:                              ;   in Loop: Header=BB379_13 Depth=1
	s_delay_alu instid0(VALU_DEP_3) | instskip(NEXT) | instid1(VALU_DEP_1)
	v_and_b32_e32 v15, 0xff, v51
	v_cmp_ne_u16_e64 s1, 0x80, v15
	v_bfrev_b32_e32 v15, 1
	s_delay_alu instid0(VALU_DEP_2)
	s_and_saveexec_b32 s50, s1
	s_cbranch_execz .LBB379_167
; %bb.162:                              ;   in Loop: Header=BB379_13 Depth=1
	v_and_b32_e32 v52, 0x7f, v51
	v_mov_b32_e32 v15, 0x7f800001
	s_mov_b32 s51, exec_lo
	s_delay_alu instid0(VALU_DEP_2)
	v_cmpx_ne_u32_e32 0x7f, v52
	s_cbranch_execz .LBB379_166
; %bb.163:                              ;   in Loop: Header=BB379_13 Depth=1
	v_and_b32_e32 v15, 7, v51
	v_lshrrev_b32_e32 v50, 3, v52
	s_mov_b32 s52, exec_lo
	v_cmpx_gt_u32_e32 8, v52
; %bb.164:                              ;   in Loop: Header=BB379_13 Depth=1
	s_delay_alu instid0(VALU_DEP_3) | instskip(NEXT) | instid1(VALU_DEP_1)
	v_clz_i32_u32_e32 v50, v15
	v_min_u32_e32 v50, 32, v50
	s_delay_alu instid0(VALU_DEP_1) | instskip(SKIP_1) | instid1(VALU_DEP_2)
	v_subrev_nc_u32_e32 v52, 28, v50
	v_sub_nc_u32_e32 v50, 29, v50
	v_lshlrev_b64 v[52:53], v52, v[15:16]
	s_delay_alu instid0(VALU_DEP_1)
	v_and_b32_e32 v15, 7, v52
; %bb.165:                              ;   in Loop: Header=BB379_13 Depth=1
	s_or_b32 exec_lo, exec_lo, s52
	v_lshlrev_b32_e32 v52, 24, v51
	s_delay_alu instid0(VALU_DEP_2) | instskip(SKIP_1) | instid1(VALU_DEP_3)
	v_lshlrev_b32_e32 v15, 20, v15
	v_lshl_add_u32 v50, v50, 23, 0x3c000000
	v_and_b32_e32 v52, 0x80000000, v52
	s_delay_alu instid0(VALU_DEP_1)
	v_or3_b32 v15, v15, v52, v50
.LBB379_166:                            ;   in Loop: Header=BB379_13 Depth=1
	s_or_b32 exec_lo, exec_lo, s51
.LBB379_167:                            ;   in Loop: Header=BB379_13 Depth=1
	s_delay_alu instid0(SALU_CYCLE_1)
	s_or_b32 exec_lo, exec_lo, s50
.LBB379_168:                            ;   in Loop: Header=BB379_13 Depth=1
	s_delay_alu instid0(SALU_CYCLE_1) | instskip(NEXT) | instid1(VALU_DEP_1)
	s_or_b32 exec_lo, exec_lo, s49
	v_mul_f32_e32 v15, s48, v15
	s_delay_alu instid0(VALU_DEP_1) | instskip(NEXT) | instid1(VALU_DEP_1)
	v_and_b32_e32 v50, 0x7f800000, v15
	v_cmp_ne_u32_e64 s1, 0x7f800000, v50
                                        ; implicit-def: $vgpr50
	s_delay_alu instid0(VALU_DEP_1) | instskip(NEXT) | instid1(SALU_CYCLE_1)
	s_and_saveexec_b32 s49, s1
	s_xor_b32 s1, exec_lo, s49
; %bb.169:                              ;   in Loop: Header=BB379_13 Depth=1
	v_bfe_u32 v50, v15, 16, 1
	s_delay_alu instid0(VALU_DEP_1)
	v_add3_u32 v50, v15, v50, 0x7fff
                                        ; implicit-def: $vgpr15
; %bb.170:                              ;   in Loop: Header=BB379_13 Depth=1
	s_and_not1_saveexec_b32 s49, s1
; %bb.171:                              ;   in Loop: Header=BB379_13 Depth=1
	v_and_b32_e32 v50, 0xffff, v15
	v_or_b32_e32 v52, 0x10000, v15
	s_delay_alu instid0(VALU_DEP_2) | instskip(NEXT) | instid1(VALU_DEP_1)
	v_cmp_eq_u32_e64 s1, 0, v50
	v_cndmask_b32_e64 v50, v52, v15, s1
; %bb.172:                              ;   in Loop: Header=BB379_13 Depth=1
	s_or_b32 exec_lo, exec_lo, s49
	v_lshrrev_b16 v52, 8, v51
	v_mov_b32_e32 v15, 0
	s_mov_b32 s49, exec_lo
	s_delay_alu instid0(VALU_DEP_2)
	v_cmpx_ne_u16_e32 0, v52
	s_cbranch_execz .LBB379_180
; %bb.173:                              ;   in Loop: Header=BB379_13 Depth=1
	v_bfrev_b32_e32 v15, 1
	s_mov_b32 s50, exec_lo
	v_cmpx_ne_u16_e32 0x80, v52
	s_cbranch_execz .LBB379_179
; %bb.174:                              ;   in Loop: Header=BB379_13 Depth=1
	v_and_b32_e32 v52, 0xffff, v52
	v_mov_b32_e32 v15, 0x7f800001
	s_mov_b32 s51, exec_lo
	s_delay_alu instid0(VALU_DEP_2) | instskip(NEXT) | instid1(VALU_DEP_1)
	v_and_b32_e32 v53, 0x7f, v52
	v_cmpx_ne_u32_e32 0x7f, v53
	s_cbranch_execz .LBB379_178
; %bb.175:                              ;   in Loop: Header=BB379_13 Depth=1
	v_and_b32_e32 v15, 7, v52
	v_lshrrev_b32_e32 v52, 3, v53
	s_mov_b32 s52, exec_lo
	v_cmpx_gt_u32_e32 8, v53
; %bb.176:                              ;   in Loop: Header=BB379_13 Depth=1
	s_delay_alu instid0(VALU_DEP_3) | instskip(NEXT) | instid1(VALU_DEP_1)
	v_clz_i32_u32_e32 v52, v15
	v_min_u32_e32 v52, 32, v52
	s_delay_alu instid0(VALU_DEP_1) | instskip(SKIP_1) | instid1(VALU_DEP_2)
	v_subrev_nc_u32_e32 v53, 28, v52
	v_sub_nc_u32_e32 v52, 29, v52
	v_lshlrev_b64 v[53:54], v53, v[15:16]
	s_delay_alu instid0(VALU_DEP_1)
	v_and_b32_e32 v15, 7, v53
; %bb.177:                              ;   in Loop: Header=BB379_13 Depth=1
	s_or_b32 exec_lo, exec_lo, s52
	v_lshlrev_b32_e32 v51, 16, v51
	s_delay_alu instid0(VALU_DEP_2) | instskip(SKIP_1) | instid1(VALU_DEP_3)
	v_lshlrev_b32_e32 v15, 20, v15
	v_lshl_add_u32 v52, v52, 23, 0x3c000000
	v_and_b32_e32 v51, 0x80000000, v51
	s_delay_alu instid0(VALU_DEP_1)
	v_or3_b32 v15, v15, v51, v52
.LBB379_178:                            ;   in Loop: Header=BB379_13 Depth=1
	s_or_b32 exec_lo, exec_lo, s51
.LBB379_179:                            ;   in Loop: Header=BB379_13 Depth=1
	s_delay_alu instid0(SALU_CYCLE_1)
	s_or_b32 exec_lo, exec_lo, s50
.LBB379_180:                            ;   in Loop: Header=BB379_13 Depth=1
	s_delay_alu instid0(SALU_CYCLE_1) | instskip(NEXT) | instid1(VALU_DEP_1)
	s_or_b32 exec_lo, exec_lo, s49
	v_mul_f32_e32 v15, s48, v15
	s_delay_alu instid0(VALU_DEP_1) | instskip(NEXT) | instid1(VALU_DEP_1)
	v_and_b32_e32 v51, 0x7f800000, v15
	v_cmp_ne_u32_e64 s1, 0x7f800000, v51
                                        ; implicit-def: $vgpr51
	s_delay_alu instid0(VALU_DEP_1) | instskip(NEXT) | instid1(SALU_CYCLE_1)
	s_and_saveexec_b32 s49, s1
	s_xor_b32 s1, exec_lo, s49
; %bb.181:                              ;   in Loop: Header=BB379_13 Depth=1
	v_bfe_u32 v51, v15, 16, 1
	s_delay_alu instid0(VALU_DEP_1)
	v_add3_u32 v51, v15, v51, 0x7fff
                                        ; implicit-def: $vgpr15
; %bb.182:                              ;   in Loop: Header=BB379_13 Depth=1
	s_and_not1_saveexec_b32 s49, s1
; %bb.183:                              ;   in Loop: Header=BB379_13 Depth=1
	v_and_b32_e32 v51, 0xffff, v15
	v_or_b32_e32 v52, 0x10000, v15
	s_delay_alu instid0(VALU_DEP_2) | instskip(NEXT) | instid1(VALU_DEP_1)
	v_cmp_eq_u32_e64 s1, 0, v51
	v_cndmask_b32_e64 v51, v52, v15, s1
; %bb.184:                              ;   in Loop: Header=BB379_13 Depth=1
	s_or_b32 exec_lo, exec_lo, s49
	global_load_u16 v15, v[23:24], off offset:392
	s_mov_b32 s49, exec_lo
	s_waitcnt vmcnt(0)
	v_and_b32_e32 v52, 0xff, v15
	v_and_b32_e32 v53, 0xffff, v15
	v_mov_b32_e32 v15, 0
	s_delay_alu instid0(VALU_DEP_3)
	v_cmpx_ne_u16_e32 0, v52
	s_cbranch_execz .LBB379_192
; %bb.185:                              ;   in Loop: Header=BB379_13 Depth=1
	s_delay_alu instid0(VALU_DEP_3) | instskip(NEXT) | instid1(VALU_DEP_1)
	v_and_b32_e32 v15, 0xff, v53
	v_cmp_ne_u16_e64 s1, 0x80, v15
	v_bfrev_b32_e32 v15, 1
	s_delay_alu instid0(VALU_DEP_2)
	s_and_saveexec_b32 s50, s1
	s_cbranch_execz .LBB379_191
; %bb.186:                              ;   in Loop: Header=BB379_13 Depth=1
	v_and_b32_e32 v54, 0x7f, v53
	v_mov_b32_e32 v15, 0x7f800001
	s_mov_b32 s51, exec_lo
	s_delay_alu instid0(VALU_DEP_2)
	v_cmpx_ne_u32_e32 0x7f, v54
	s_cbranch_execz .LBB379_190
; %bb.187:                              ;   in Loop: Header=BB379_13 Depth=1
	v_and_b32_e32 v15, 7, v53
	v_lshrrev_b32_e32 v52, 3, v54
	s_mov_b32 s52, exec_lo
	v_cmpx_gt_u32_e32 8, v54
; %bb.188:                              ;   in Loop: Header=BB379_13 Depth=1
	s_delay_alu instid0(VALU_DEP_3) | instskip(NEXT) | instid1(VALU_DEP_1)
	v_clz_i32_u32_e32 v52, v15
	v_min_u32_e32 v52, 32, v52
	s_delay_alu instid0(VALU_DEP_1) | instskip(SKIP_1) | instid1(VALU_DEP_2)
	v_subrev_nc_u32_e32 v54, 28, v52
	v_sub_nc_u32_e32 v52, 29, v52
	v_lshlrev_b64 v[54:55], v54, v[15:16]
	s_delay_alu instid0(VALU_DEP_1)
	v_and_b32_e32 v15, 7, v54
; %bb.189:                              ;   in Loop: Header=BB379_13 Depth=1
	s_or_b32 exec_lo, exec_lo, s52
	v_lshlrev_b32_e32 v54, 24, v53
	s_delay_alu instid0(VALU_DEP_2) | instskip(SKIP_1) | instid1(VALU_DEP_3)
	v_lshlrev_b32_e32 v15, 20, v15
	v_lshl_add_u32 v52, v52, 23, 0x3c000000
	v_and_b32_e32 v54, 0x80000000, v54
	s_delay_alu instid0(VALU_DEP_1)
	v_or3_b32 v15, v15, v54, v52
.LBB379_190:                            ;   in Loop: Header=BB379_13 Depth=1
	s_or_b32 exec_lo, exec_lo, s51
.LBB379_191:                            ;   in Loop: Header=BB379_13 Depth=1
	s_delay_alu instid0(SALU_CYCLE_1)
	s_or_b32 exec_lo, exec_lo, s50
.LBB379_192:                            ;   in Loop: Header=BB379_13 Depth=1
	s_delay_alu instid0(SALU_CYCLE_1) | instskip(NEXT) | instid1(VALU_DEP_1)
	s_or_b32 exec_lo, exec_lo, s49
	v_mul_f32_e32 v15, s48, v15
	s_delay_alu instid0(VALU_DEP_1) | instskip(NEXT) | instid1(VALU_DEP_1)
	v_and_b32_e32 v52, 0x7f800000, v15
	v_cmp_ne_u32_e64 s1, 0x7f800000, v52
                                        ; implicit-def: $vgpr52
	s_delay_alu instid0(VALU_DEP_1) | instskip(NEXT) | instid1(SALU_CYCLE_1)
	s_and_saveexec_b32 s49, s1
	s_xor_b32 s1, exec_lo, s49
; %bb.193:                              ;   in Loop: Header=BB379_13 Depth=1
	v_bfe_u32 v52, v15, 16, 1
	s_delay_alu instid0(VALU_DEP_1)
	v_add3_u32 v52, v15, v52, 0x7fff
                                        ; implicit-def: $vgpr15
; %bb.194:                              ;   in Loop: Header=BB379_13 Depth=1
	s_and_not1_saveexec_b32 s49, s1
; %bb.195:                              ;   in Loop: Header=BB379_13 Depth=1
	v_and_b32_e32 v52, 0xffff, v15
	v_or_b32_e32 v54, 0x10000, v15
	s_delay_alu instid0(VALU_DEP_2) | instskip(NEXT) | instid1(VALU_DEP_1)
	v_cmp_eq_u32_e64 s1, 0, v52
	v_cndmask_b32_e64 v52, v54, v15, s1
; %bb.196:                              ;   in Loop: Header=BB379_13 Depth=1
	s_or_b32 exec_lo, exec_lo, s49
	v_lshrrev_b16 v54, 8, v53
	v_mov_b32_e32 v15, 0
	s_mov_b32 s49, exec_lo
	s_delay_alu instid0(VALU_DEP_2)
	v_cmpx_ne_u16_e32 0, v54
	s_cbranch_execz .LBB379_204
; %bb.197:                              ;   in Loop: Header=BB379_13 Depth=1
	v_bfrev_b32_e32 v15, 1
	s_mov_b32 s50, exec_lo
	v_cmpx_ne_u16_e32 0x80, v54
	s_cbranch_execz .LBB379_203
; %bb.198:                              ;   in Loop: Header=BB379_13 Depth=1
	v_and_b32_e32 v54, 0xffff, v54
	v_mov_b32_e32 v15, 0x7f800001
	s_mov_b32 s51, exec_lo
	s_delay_alu instid0(VALU_DEP_2) | instskip(NEXT) | instid1(VALU_DEP_1)
	v_and_b32_e32 v55, 0x7f, v54
	v_cmpx_ne_u32_e32 0x7f, v55
	s_cbranch_execz .LBB379_202
; %bb.199:                              ;   in Loop: Header=BB379_13 Depth=1
	v_and_b32_e32 v15, 7, v54
	v_lshrrev_b32_e32 v54, 3, v55
	s_mov_b32 s52, exec_lo
	v_cmpx_gt_u32_e32 8, v55
; %bb.200:                              ;   in Loop: Header=BB379_13 Depth=1
	s_delay_alu instid0(VALU_DEP_3) | instskip(NEXT) | instid1(VALU_DEP_1)
	v_clz_i32_u32_e32 v54, v15
	v_min_u32_e32 v54, 32, v54
	s_delay_alu instid0(VALU_DEP_1) | instskip(SKIP_1) | instid1(VALU_DEP_2)
	v_subrev_nc_u32_e32 v55, 28, v54
	v_sub_nc_u32_e32 v54, 29, v54
	v_lshlrev_b64 v[55:56], v55, v[15:16]
	s_delay_alu instid0(VALU_DEP_1)
	v_and_b32_e32 v15, 7, v55
; %bb.201:                              ;   in Loop: Header=BB379_13 Depth=1
	s_or_b32 exec_lo, exec_lo, s52
	v_lshlrev_b32_e32 v53, 16, v53
	s_delay_alu instid0(VALU_DEP_2) | instskip(SKIP_1) | instid1(VALU_DEP_3)
	v_lshlrev_b32_e32 v15, 20, v15
	v_lshl_add_u32 v54, v54, 23, 0x3c000000
	v_and_b32_e32 v53, 0x80000000, v53
	s_delay_alu instid0(VALU_DEP_1)
	v_or3_b32 v15, v15, v53, v54
.LBB379_202:                            ;   in Loop: Header=BB379_13 Depth=1
	s_or_b32 exec_lo, exec_lo, s51
.LBB379_203:                            ;   in Loop: Header=BB379_13 Depth=1
	s_delay_alu instid0(SALU_CYCLE_1)
	s_or_b32 exec_lo, exec_lo, s50
.LBB379_204:                            ;   in Loop: Header=BB379_13 Depth=1
	s_delay_alu instid0(SALU_CYCLE_1) | instskip(NEXT) | instid1(VALU_DEP_1)
	s_or_b32 exec_lo, exec_lo, s49
	v_mul_f32_e32 v15, s48, v15
	s_delay_alu instid0(VALU_DEP_1) | instskip(NEXT) | instid1(VALU_DEP_1)
	v_and_b32_e32 v53, 0x7f800000, v15
	v_cmp_ne_u32_e64 s1, 0x7f800000, v53
                                        ; implicit-def: $vgpr53
	s_delay_alu instid0(VALU_DEP_1) | instskip(NEXT) | instid1(SALU_CYCLE_1)
	s_and_saveexec_b32 s49, s1
	s_xor_b32 s1, exec_lo, s49
; %bb.205:                              ;   in Loop: Header=BB379_13 Depth=1
	v_bfe_u32 v53, v15, 16, 1
	s_delay_alu instid0(VALU_DEP_1)
	v_add3_u32 v53, v15, v53, 0x7fff
                                        ; implicit-def: $vgpr15
; %bb.206:                              ;   in Loop: Header=BB379_13 Depth=1
	s_and_not1_saveexec_b32 s49, s1
; %bb.207:                              ;   in Loop: Header=BB379_13 Depth=1
	v_and_b32_e32 v53, 0xffff, v15
	v_or_b32_e32 v54, 0x10000, v15
	s_delay_alu instid0(VALU_DEP_2) | instskip(NEXT) | instid1(VALU_DEP_1)
	v_cmp_eq_u32_e64 s1, 0, v53
	v_cndmask_b32_e64 v53, v54, v15, s1
; %bb.208:                              ;   in Loop: Header=BB379_13 Depth=1
	s_or_b32 exec_lo, exec_lo, s49
	global_load_u16 v15, v[23:24], off offset:512
	s_mov_b32 s49, exec_lo
	s_waitcnt vmcnt(0)
	v_and_b32_e32 v54, 0xff, v15
	v_and_b32_e32 v55, 0xffff, v15
	v_mov_b32_e32 v15, 0
	s_delay_alu instid0(VALU_DEP_3)
	v_cmpx_ne_u16_e32 0, v54
	s_cbranch_execz .LBB379_216
; %bb.209:                              ;   in Loop: Header=BB379_13 Depth=1
	s_delay_alu instid0(VALU_DEP_3) | instskip(NEXT) | instid1(VALU_DEP_1)
	v_and_b32_e32 v15, 0xff, v55
	v_cmp_ne_u16_e64 s1, 0x80, v15
	v_bfrev_b32_e32 v15, 1
	s_delay_alu instid0(VALU_DEP_2)
	s_and_saveexec_b32 s50, s1
	s_cbranch_execz .LBB379_215
; %bb.210:                              ;   in Loop: Header=BB379_13 Depth=1
	v_and_b32_e32 v56, 0x7f, v55
	v_mov_b32_e32 v15, 0x7f800001
	s_mov_b32 s51, exec_lo
	s_delay_alu instid0(VALU_DEP_2)
	v_cmpx_ne_u32_e32 0x7f, v56
	s_cbranch_execz .LBB379_214
; %bb.211:                              ;   in Loop: Header=BB379_13 Depth=1
	v_and_b32_e32 v15, 7, v55
	v_lshrrev_b32_e32 v54, 3, v56
	s_mov_b32 s52, exec_lo
	v_cmpx_gt_u32_e32 8, v56
; %bb.212:                              ;   in Loop: Header=BB379_13 Depth=1
	s_delay_alu instid0(VALU_DEP_3) | instskip(NEXT) | instid1(VALU_DEP_1)
	v_clz_i32_u32_e32 v54, v15
	v_min_u32_e32 v54, 32, v54
	s_delay_alu instid0(VALU_DEP_1) | instskip(SKIP_1) | instid1(VALU_DEP_2)
	v_subrev_nc_u32_e32 v56, 28, v54
	v_sub_nc_u32_e32 v54, 29, v54
	v_lshlrev_b64 v[56:57], v56, v[15:16]
	s_delay_alu instid0(VALU_DEP_1)
	v_and_b32_e32 v15, 7, v56
; %bb.213:                              ;   in Loop: Header=BB379_13 Depth=1
	s_or_b32 exec_lo, exec_lo, s52
	v_lshlrev_b32_e32 v56, 24, v55
	s_delay_alu instid0(VALU_DEP_2) | instskip(SKIP_1) | instid1(VALU_DEP_3)
	v_lshlrev_b32_e32 v15, 20, v15
	v_lshl_add_u32 v54, v54, 23, 0x3c000000
	v_and_b32_e32 v56, 0x80000000, v56
	s_delay_alu instid0(VALU_DEP_1)
	v_or3_b32 v15, v15, v56, v54
.LBB379_214:                            ;   in Loop: Header=BB379_13 Depth=1
	s_or_b32 exec_lo, exec_lo, s51
.LBB379_215:                            ;   in Loop: Header=BB379_13 Depth=1
	s_delay_alu instid0(SALU_CYCLE_1)
	s_or_b32 exec_lo, exec_lo, s50
.LBB379_216:                            ;   in Loop: Header=BB379_13 Depth=1
	s_delay_alu instid0(SALU_CYCLE_1) | instskip(NEXT) | instid1(VALU_DEP_1)
	s_or_b32 exec_lo, exec_lo, s49
	v_mul_f32_e32 v15, s48, v15
	s_delay_alu instid0(VALU_DEP_1) | instskip(NEXT) | instid1(VALU_DEP_1)
	v_and_b32_e32 v54, 0x7f800000, v15
	v_cmp_ne_u32_e64 s1, 0x7f800000, v54
                                        ; implicit-def: $vgpr54
	s_delay_alu instid0(VALU_DEP_1) | instskip(NEXT) | instid1(SALU_CYCLE_1)
	s_and_saveexec_b32 s49, s1
	s_xor_b32 s1, exec_lo, s49
; %bb.217:                              ;   in Loop: Header=BB379_13 Depth=1
	v_bfe_u32 v54, v15, 16, 1
	s_delay_alu instid0(VALU_DEP_1)
	v_add3_u32 v54, v15, v54, 0x7fff
                                        ; implicit-def: $vgpr15
; %bb.218:                              ;   in Loop: Header=BB379_13 Depth=1
	s_and_not1_saveexec_b32 s49, s1
; %bb.219:                              ;   in Loop: Header=BB379_13 Depth=1
	v_and_b32_e32 v54, 0xffff, v15
	v_or_b32_e32 v56, 0x10000, v15
	s_delay_alu instid0(VALU_DEP_2) | instskip(NEXT) | instid1(VALU_DEP_1)
	v_cmp_eq_u32_e64 s1, 0, v54
	v_cndmask_b32_e64 v54, v56, v15, s1
; %bb.220:                              ;   in Loop: Header=BB379_13 Depth=1
	s_or_b32 exec_lo, exec_lo, s49
	v_lshrrev_b16 v56, 8, v55
	v_mov_b32_e32 v15, 0
	s_mov_b32 s49, exec_lo
	s_delay_alu instid0(VALU_DEP_2)
	v_cmpx_ne_u16_e32 0, v56
	s_cbranch_execz .LBB379_228
; %bb.221:                              ;   in Loop: Header=BB379_13 Depth=1
	v_bfrev_b32_e32 v15, 1
	s_mov_b32 s50, exec_lo
	v_cmpx_ne_u16_e32 0x80, v56
	s_cbranch_execz .LBB379_227
; %bb.222:                              ;   in Loop: Header=BB379_13 Depth=1
	v_and_b32_e32 v56, 0xffff, v56
	v_mov_b32_e32 v15, 0x7f800001
	s_mov_b32 s51, exec_lo
	s_delay_alu instid0(VALU_DEP_2) | instskip(NEXT) | instid1(VALU_DEP_1)
	v_and_b32_e32 v57, 0x7f, v56
	v_cmpx_ne_u32_e32 0x7f, v57
	s_cbranch_execz .LBB379_226
; %bb.223:                              ;   in Loop: Header=BB379_13 Depth=1
	v_and_b32_e32 v15, 7, v56
	v_lshrrev_b32_e32 v56, 3, v57
	s_mov_b32 s52, exec_lo
	v_cmpx_gt_u32_e32 8, v57
; %bb.224:                              ;   in Loop: Header=BB379_13 Depth=1
	s_delay_alu instid0(VALU_DEP_3) | instskip(NEXT) | instid1(VALU_DEP_1)
	v_clz_i32_u32_e32 v56, v15
	v_min_u32_e32 v56, 32, v56
	s_delay_alu instid0(VALU_DEP_1) | instskip(SKIP_1) | instid1(VALU_DEP_2)
	v_subrev_nc_u32_e32 v57, 28, v56
	v_sub_nc_u32_e32 v56, 29, v56
	v_lshlrev_b64 v[57:58], v57, v[15:16]
	s_delay_alu instid0(VALU_DEP_1)
	v_and_b32_e32 v15, 7, v57
; %bb.225:                              ;   in Loop: Header=BB379_13 Depth=1
	s_or_b32 exec_lo, exec_lo, s52
	v_lshlrev_b32_e32 v55, 16, v55
	s_delay_alu instid0(VALU_DEP_2) | instskip(SKIP_1) | instid1(VALU_DEP_3)
	v_lshlrev_b32_e32 v15, 20, v15
	v_lshl_add_u32 v56, v56, 23, 0x3c000000
	v_and_b32_e32 v55, 0x80000000, v55
	s_delay_alu instid0(VALU_DEP_1)
	v_or3_b32 v15, v15, v55, v56
.LBB379_226:                            ;   in Loop: Header=BB379_13 Depth=1
	s_or_b32 exec_lo, exec_lo, s51
.LBB379_227:                            ;   in Loop: Header=BB379_13 Depth=1
	s_delay_alu instid0(SALU_CYCLE_1)
	s_or_b32 exec_lo, exec_lo, s50
.LBB379_228:                            ;   in Loop: Header=BB379_13 Depth=1
	s_delay_alu instid0(SALU_CYCLE_1) | instskip(NEXT) | instid1(VALU_DEP_1)
	s_or_b32 exec_lo, exec_lo, s49
	v_mul_f32_e32 v15, s48, v15
	s_delay_alu instid0(VALU_DEP_1) | instskip(NEXT) | instid1(VALU_DEP_1)
	v_and_b32_e32 v55, 0x7f800000, v15
	v_cmp_ne_u32_e64 s1, 0x7f800000, v55
                                        ; implicit-def: $vgpr55
	s_delay_alu instid0(VALU_DEP_1) | instskip(NEXT) | instid1(SALU_CYCLE_1)
	s_and_saveexec_b32 s49, s1
	s_xor_b32 s1, exec_lo, s49
; %bb.229:                              ;   in Loop: Header=BB379_13 Depth=1
	v_bfe_u32 v55, v15, 16, 1
	s_delay_alu instid0(VALU_DEP_1)
	v_add3_u32 v55, v15, v55, 0x7fff
                                        ; implicit-def: $vgpr15
; %bb.230:                              ;   in Loop: Header=BB379_13 Depth=1
	s_and_not1_saveexec_b32 s49, s1
; %bb.231:                              ;   in Loop: Header=BB379_13 Depth=1
	v_and_b32_e32 v55, 0xffff, v15
	v_or_b32_e32 v56, 0x10000, v15
	s_delay_alu instid0(VALU_DEP_2) | instskip(NEXT) | instid1(VALU_DEP_1)
	v_cmp_eq_u32_e64 s1, 0, v55
	v_cndmask_b32_e64 v55, v56, v15, s1
; %bb.232:                              ;   in Loop: Header=BB379_13 Depth=1
	s_or_b32 exec_lo, exec_lo, s49
	global_load_u16 v15, v[23:24], off offset:520
	s_mov_b32 s49, exec_lo
	s_waitcnt vmcnt(0)
	v_and_b32_e32 v56, 0xff, v15
	v_and_b32_e32 v57, 0xffff, v15
	v_mov_b32_e32 v15, 0
	s_delay_alu instid0(VALU_DEP_3)
	v_cmpx_ne_u16_e32 0, v56
	s_cbranch_execz .LBB379_240
; %bb.233:                              ;   in Loop: Header=BB379_13 Depth=1
	s_delay_alu instid0(VALU_DEP_3) | instskip(NEXT) | instid1(VALU_DEP_1)
	v_and_b32_e32 v15, 0xff, v57
	v_cmp_ne_u16_e64 s1, 0x80, v15
	v_bfrev_b32_e32 v15, 1
	s_delay_alu instid0(VALU_DEP_2)
	s_and_saveexec_b32 s50, s1
	s_cbranch_execz .LBB379_239
; %bb.234:                              ;   in Loop: Header=BB379_13 Depth=1
	v_and_b32_e32 v58, 0x7f, v57
	v_mov_b32_e32 v15, 0x7f800001
	s_mov_b32 s51, exec_lo
	s_delay_alu instid0(VALU_DEP_2)
	v_cmpx_ne_u32_e32 0x7f, v58
	s_cbranch_execz .LBB379_238
; %bb.235:                              ;   in Loop: Header=BB379_13 Depth=1
	v_and_b32_e32 v15, 7, v57
	v_lshrrev_b32_e32 v56, 3, v58
	s_mov_b32 s52, exec_lo
	v_cmpx_gt_u32_e32 8, v58
; %bb.236:                              ;   in Loop: Header=BB379_13 Depth=1
	s_delay_alu instid0(VALU_DEP_3) | instskip(NEXT) | instid1(VALU_DEP_1)
	v_clz_i32_u32_e32 v56, v15
	v_min_u32_e32 v56, 32, v56
	s_delay_alu instid0(VALU_DEP_1) | instskip(SKIP_1) | instid1(VALU_DEP_2)
	v_subrev_nc_u32_e32 v58, 28, v56
	v_sub_nc_u32_e32 v56, 29, v56
	v_lshlrev_b64 v[58:59], v58, v[15:16]
	s_delay_alu instid0(VALU_DEP_1)
	v_and_b32_e32 v15, 7, v58
; %bb.237:                              ;   in Loop: Header=BB379_13 Depth=1
	s_or_b32 exec_lo, exec_lo, s52
	v_lshlrev_b32_e32 v58, 24, v57
	s_delay_alu instid0(VALU_DEP_2) | instskip(SKIP_1) | instid1(VALU_DEP_3)
	v_lshlrev_b32_e32 v15, 20, v15
	v_lshl_add_u32 v56, v56, 23, 0x3c000000
	v_and_b32_e32 v58, 0x80000000, v58
	s_delay_alu instid0(VALU_DEP_1)
	v_or3_b32 v15, v15, v58, v56
.LBB379_238:                            ;   in Loop: Header=BB379_13 Depth=1
	s_or_b32 exec_lo, exec_lo, s51
.LBB379_239:                            ;   in Loop: Header=BB379_13 Depth=1
	s_delay_alu instid0(SALU_CYCLE_1)
	s_or_b32 exec_lo, exec_lo, s50
.LBB379_240:                            ;   in Loop: Header=BB379_13 Depth=1
	s_delay_alu instid0(SALU_CYCLE_1) | instskip(NEXT) | instid1(VALU_DEP_1)
	s_or_b32 exec_lo, exec_lo, s49
	v_mul_f32_e32 v15, s48, v15
	s_delay_alu instid0(VALU_DEP_1) | instskip(NEXT) | instid1(VALU_DEP_1)
	v_and_b32_e32 v56, 0x7f800000, v15
	v_cmp_ne_u32_e64 s1, 0x7f800000, v56
                                        ; implicit-def: $vgpr56
	s_delay_alu instid0(VALU_DEP_1) | instskip(NEXT) | instid1(SALU_CYCLE_1)
	s_and_saveexec_b32 s49, s1
	s_xor_b32 s1, exec_lo, s49
; %bb.241:                              ;   in Loop: Header=BB379_13 Depth=1
	v_bfe_u32 v56, v15, 16, 1
	s_delay_alu instid0(VALU_DEP_1)
	v_add3_u32 v56, v15, v56, 0x7fff
                                        ; implicit-def: $vgpr15
; %bb.242:                              ;   in Loop: Header=BB379_13 Depth=1
	s_and_not1_saveexec_b32 s49, s1
; %bb.243:                              ;   in Loop: Header=BB379_13 Depth=1
	v_and_b32_e32 v56, 0xffff, v15
	v_or_b32_e32 v58, 0x10000, v15
	s_delay_alu instid0(VALU_DEP_2) | instskip(NEXT) | instid1(VALU_DEP_1)
	v_cmp_eq_u32_e64 s1, 0, v56
	v_cndmask_b32_e64 v56, v58, v15, s1
; %bb.244:                              ;   in Loop: Header=BB379_13 Depth=1
	s_or_b32 exec_lo, exec_lo, s49
	v_lshrrev_b16 v58, 8, v57
	v_mov_b32_e32 v15, 0
	s_mov_b32 s49, exec_lo
	s_delay_alu instid0(VALU_DEP_2)
	v_cmpx_ne_u16_e32 0, v58
	s_cbranch_execz .LBB379_252
; %bb.245:                              ;   in Loop: Header=BB379_13 Depth=1
	v_bfrev_b32_e32 v15, 1
	s_mov_b32 s50, exec_lo
	v_cmpx_ne_u16_e32 0x80, v58
	s_cbranch_execz .LBB379_251
; %bb.246:                              ;   in Loop: Header=BB379_13 Depth=1
	v_and_b32_e32 v58, 0xffff, v58
	v_mov_b32_e32 v15, 0x7f800001
	s_mov_b32 s51, exec_lo
	s_delay_alu instid0(VALU_DEP_2) | instskip(NEXT) | instid1(VALU_DEP_1)
	v_and_b32_e32 v59, 0x7f, v58
	v_cmpx_ne_u32_e32 0x7f, v59
	s_cbranch_execz .LBB379_250
; %bb.247:                              ;   in Loop: Header=BB379_13 Depth=1
	v_and_b32_e32 v15, 7, v58
	v_lshrrev_b32_e32 v58, 3, v59
	s_mov_b32 s52, exec_lo
	v_cmpx_gt_u32_e32 8, v59
; %bb.248:                              ;   in Loop: Header=BB379_13 Depth=1
	s_delay_alu instid0(VALU_DEP_3) | instskip(NEXT) | instid1(VALU_DEP_1)
	v_clz_i32_u32_e32 v58, v15
	v_min_u32_e32 v58, 32, v58
	s_delay_alu instid0(VALU_DEP_1) | instskip(SKIP_1) | instid1(VALU_DEP_2)
	v_subrev_nc_u32_e32 v59, 28, v58
	v_sub_nc_u32_e32 v58, 29, v58
	v_lshlrev_b64 v[59:60], v59, v[15:16]
	s_delay_alu instid0(VALU_DEP_1)
	v_and_b32_e32 v15, 7, v59
; %bb.249:                              ;   in Loop: Header=BB379_13 Depth=1
	s_or_b32 exec_lo, exec_lo, s52
	v_lshlrev_b32_e32 v57, 16, v57
	s_delay_alu instid0(VALU_DEP_2) | instskip(SKIP_1) | instid1(VALU_DEP_3)
	v_lshlrev_b32_e32 v15, 20, v15
	v_lshl_add_u32 v58, v58, 23, 0x3c000000
	v_and_b32_e32 v57, 0x80000000, v57
	s_delay_alu instid0(VALU_DEP_1)
	v_or3_b32 v15, v15, v57, v58
.LBB379_250:                            ;   in Loop: Header=BB379_13 Depth=1
	s_or_b32 exec_lo, exec_lo, s51
.LBB379_251:                            ;   in Loop: Header=BB379_13 Depth=1
	s_delay_alu instid0(SALU_CYCLE_1)
	s_or_b32 exec_lo, exec_lo, s50
.LBB379_252:                            ;   in Loop: Header=BB379_13 Depth=1
	s_delay_alu instid0(SALU_CYCLE_1) | instskip(NEXT) | instid1(VALU_DEP_1)
	s_or_b32 exec_lo, exec_lo, s49
	v_mul_f32_e32 v15, s48, v15
                                        ; implicit-def: $vgpr58
	s_delay_alu instid0(VALU_DEP_1) | instskip(NEXT) | instid1(VALU_DEP_1)
	v_and_b32_e32 v57, 0x7f800000, v15
	v_cmp_ne_u32_e64 s1, 0x7f800000, v57
	s_delay_alu instid0(VALU_DEP_1) | instskip(NEXT) | instid1(SALU_CYCLE_1)
	s_and_saveexec_b32 s49, s1
	s_xor_b32 s1, exec_lo, s49
; %bb.253:                              ;   in Loop: Header=BB379_13 Depth=1
	v_bfe_u32 v57, v15, 16, 1
	s_delay_alu instid0(VALU_DEP_1)
	v_add3_u32 v58, v15, v57, 0x7fff
                                        ; implicit-def: $vgpr15
; %bb.254:                              ;   in Loop: Header=BB379_13 Depth=1
	s_and_not1_saveexec_b32 s49, s1
; %bb.255:                              ;   in Loop: Header=BB379_13 Depth=1
	v_and_b32_e32 v57, 0xffff, v15
	v_or_b32_e32 v58, 0x10000, v15
	s_delay_alu instid0(VALU_DEP_2) | instskip(NEXT) | instid1(VALU_DEP_1)
	v_cmp_eq_u32_e64 s1, 0, v57
	v_cndmask_b32_e64 v58, v58, v15, s1
; %bb.256:                              ;   in Loop: Header=BB379_13 Depth=1
	s_or_b32 exec_lo, exec_lo, s49
	global_load_u16 v15, v[23:24], off offset:640
	s_mov_b32 s49, exec_lo
	s_waitcnt vmcnt(0)
	v_and_b32_e32 v57, 0xff, v15
	v_and_b32_e32 v59, 0xffff, v15
	v_mov_b32_e32 v15, 0
	s_delay_alu instid0(VALU_DEP_3)
	v_cmpx_ne_u16_e32 0, v57
	s_cbranch_execz .LBB379_264
; %bb.257:                              ;   in Loop: Header=BB379_13 Depth=1
	s_delay_alu instid0(VALU_DEP_3) | instskip(NEXT) | instid1(VALU_DEP_1)
	v_and_b32_e32 v15, 0xff, v59
	v_cmp_ne_u16_e64 s1, 0x80, v15
	v_bfrev_b32_e32 v15, 1
	s_delay_alu instid0(VALU_DEP_2)
	s_and_saveexec_b32 s50, s1
	s_cbranch_execz .LBB379_263
; %bb.258:                              ;   in Loop: Header=BB379_13 Depth=1
	v_and_b32_e32 v60, 0x7f, v59
	v_mov_b32_e32 v15, 0x7f800001
	s_mov_b32 s51, exec_lo
	s_delay_alu instid0(VALU_DEP_2)
	v_cmpx_ne_u32_e32 0x7f, v60
	s_cbranch_execz .LBB379_262
; %bb.259:                              ;   in Loop: Header=BB379_13 Depth=1
	v_and_b32_e32 v15, 7, v59
	v_lshrrev_b32_e32 v57, 3, v60
	s_mov_b32 s52, exec_lo
	v_cmpx_gt_u32_e32 8, v60
; %bb.260:                              ;   in Loop: Header=BB379_13 Depth=1
	s_delay_alu instid0(VALU_DEP_3) | instskip(NEXT) | instid1(VALU_DEP_1)
	v_clz_i32_u32_e32 v57, v15
	v_min_u32_e32 v57, 32, v57
	s_delay_alu instid0(VALU_DEP_1) | instskip(SKIP_1) | instid1(VALU_DEP_2)
	v_subrev_nc_u32_e32 v60, 28, v57
	v_sub_nc_u32_e32 v57, 29, v57
	v_lshlrev_b64 v[60:61], v60, v[15:16]
	s_delay_alu instid0(VALU_DEP_1)
	v_and_b32_e32 v15, 7, v60
; %bb.261:                              ;   in Loop: Header=BB379_13 Depth=1
	s_or_b32 exec_lo, exec_lo, s52
	v_lshlrev_b32_e32 v60, 24, v59
	s_delay_alu instid0(VALU_DEP_2) | instskip(SKIP_1) | instid1(VALU_DEP_3)
	v_lshlrev_b32_e32 v15, 20, v15
	v_lshl_add_u32 v57, v57, 23, 0x3c000000
	v_and_b32_e32 v60, 0x80000000, v60
	s_delay_alu instid0(VALU_DEP_1)
	v_or3_b32 v15, v15, v60, v57
.LBB379_262:                            ;   in Loop: Header=BB379_13 Depth=1
	s_or_b32 exec_lo, exec_lo, s51
.LBB379_263:                            ;   in Loop: Header=BB379_13 Depth=1
	s_delay_alu instid0(SALU_CYCLE_1)
	s_or_b32 exec_lo, exec_lo, s50
.LBB379_264:                            ;   in Loop: Header=BB379_13 Depth=1
	s_delay_alu instid0(SALU_CYCLE_1) | instskip(NEXT) | instid1(VALU_DEP_1)
	s_or_b32 exec_lo, exec_lo, s49
	v_mul_f32_e32 v15, s48, v15
	s_delay_alu instid0(VALU_DEP_1) | instskip(NEXT) | instid1(VALU_DEP_1)
	v_and_b32_e32 v57, 0x7f800000, v15
	v_cmp_ne_u32_e64 s1, 0x7f800000, v57
                                        ; implicit-def: $vgpr57
	s_delay_alu instid0(VALU_DEP_1) | instskip(NEXT) | instid1(SALU_CYCLE_1)
	s_and_saveexec_b32 s49, s1
	s_xor_b32 s1, exec_lo, s49
; %bb.265:                              ;   in Loop: Header=BB379_13 Depth=1
	v_bfe_u32 v57, v15, 16, 1
	s_delay_alu instid0(VALU_DEP_1)
	v_add3_u32 v57, v15, v57, 0x7fff
                                        ; implicit-def: $vgpr15
; %bb.266:                              ;   in Loop: Header=BB379_13 Depth=1
	s_and_not1_saveexec_b32 s49, s1
; %bb.267:                              ;   in Loop: Header=BB379_13 Depth=1
	v_and_b32_e32 v57, 0xffff, v15
	v_or_b32_e32 v60, 0x10000, v15
	s_delay_alu instid0(VALU_DEP_2) | instskip(NEXT) | instid1(VALU_DEP_1)
	v_cmp_eq_u32_e64 s1, 0, v57
	v_cndmask_b32_e64 v57, v60, v15, s1
; %bb.268:                              ;   in Loop: Header=BB379_13 Depth=1
	s_or_b32 exec_lo, exec_lo, s49
	v_lshrrev_b16 v60, 8, v59
	v_mov_b32_e32 v15, 0
	s_mov_b32 s49, exec_lo
	s_delay_alu instid0(VALU_DEP_2)
	v_cmpx_ne_u16_e32 0, v60
	s_cbranch_execz .LBB379_276
; %bb.269:                              ;   in Loop: Header=BB379_13 Depth=1
	v_bfrev_b32_e32 v15, 1
	s_mov_b32 s50, exec_lo
	v_cmpx_ne_u16_e32 0x80, v60
	s_cbranch_execz .LBB379_275
; %bb.270:                              ;   in Loop: Header=BB379_13 Depth=1
	v_and_b32_e32 v60, 0xffff, v60
	v_mov_b32_e32 v15, 0x7f800001
	s_mov_b32 s51, exec_lo
	s_delay_alu instid0(VALU_DEP_2) | instskip(NEXT) | instid1(VALU_DEP_1)
	v_and_b32_e32 v61, 0x7f, v60
	v_cmpx_ne_u32_e32 0x7f, v61
	s_cbranch_execz .LBB379_274
; %bb.271:                              ;   in Loop: Header=BB379_13 Depth=1
	v_and_b32_e32 v15, 7, v60
	v_lshrrev_b32_e32 v60, 3, v61
	s_mov_b32 s52, exec_lo
	v_cmpx_gt_u32_e32 8, v61
; %bb.272:                              ;   in Loop: Header=BB379_13 Depth=1
	s_delay_alu instid0(VALU_DEP_3) | instskip(NEXT) | instid1(VALU_DEP_1)
	v_clz_i32_u32_e32 v60, v15
	v_min_u32_e32 v60, 32, v60
	s_delay_alu instid0(VALU_DEP_1) | instskip(SKIP_1) | instid1(VALU_DEP_2)
	v_subrev_nc_u32_e32 v61, 28, v60
	v_sub_nc_u32_e32 v60, 29, v60
	v_lshlrev_b64 v[61:62], v61, v[15:16]
	s_delay_alu instid0(VALU_DEP_1)
	v_and_b32_e32 v15, 7, v61
; %bb.273:                              ;   in Loop: Header=BB379_13 Depth=1
	s_or_b32 exec_lo, exec_lo, s52
	v_lshlrev_b32_e32 v59, 16, v59
	s_delay_alu instid0(VALU_DEP_2) | instskip(SKIP_1) | instid1(VALU_DEP_3)
	v_lshlrev_b32_e32 v15, 20, v15
	v_lshl_add_u32 v60, v60, 23, 0x3c000000
	v_and_b32_e32 v59, 0x80000000, v59
	s_delay_alu instid0(VALU_DEP_1)
	v_or3_b32 v15, v15, v59, v60
.LBB379_274:                            ;   in Loop: Header=BB379_13 Depth=1
	s_or_b32 exec_lo, exec_lo, s51
.LBB379_275:                            ;   in Loop: Header=BB379_13 Depth=1
	s_delay_alu instid0(SALU_CYCLE_1)
	s_or_b32 exec_lo, exec_lo, s50
.LBB379_276:                            ;   in Loop: Header=BB379_13 Depth=1
	s_delay_alu instid0(SALU_CYCLE_1) | instskip(NEXT) | instid1(VALU_DEP_1)
	s_or_b32 exec_lo, exec_lo, s49
	v_mul_f32_e32 v15, s48, v15
                                        ; implicit-def: $vgpr60
	s_delay_alu instid0(VALU_DEP_1) | instskip(NEXT) | instid1(VALU_DEP_1)
	v_and_b32_e32 v59, 0x7f800000, v15
	v_cmp_ne_u32_e64 s1, 0x7f800000, v59
	s_delay_alu instid0(VALU_DEP_1) | instskip(NEXT) | instid1(SALU_CYCLE_1)
	s_and_saveexec_b32 s49, s1
	s_xor_b32 s1, exec_lo, s49
; %bb.277:                              ;   in Loop: Header=BB379_13 Depth=1
	v_bfe_u32 v59, v15, 16, 1
	s_delay_alu instid0(VALU_DEP_1)
	v_add3_u32 v60, v15, v59, 0x7fff
                                        ; implicit-def: $vgpr15
; %bb.278:                              ;   in Loop: Header=BB379_13 Depth=1
	s_and_not1_saveexec_b32 s49, s1
; %bb.279:                              ;   in Loop: Header=BB379_13 Depth=1
	v_and_b32_e32 v59, 0xffff, v15
	v_or_b32_e32 v60, 0x10000, v15
	s_delay_alu instid0(VALU_DEP_2) | instskip(NEXT) | instid1(VALU_DEP_1)
	v_cmp_eq_u32_e64 s1, 0, v59
	v_cndmask_b32_e64 v60, v60, v15, s1
; %bb.280:                              ;   in Loop: Header=BB379_13 Depth=1
	s_or_b32 exec_lo, exec_lo, s49
	global_load_u16 v15, v[23:24], off offset:648
	s_mov_b32 s49, exec_lo
	s_waitcnt vmcnt(0)
	v_and_b32_e32 v59, 0xff, v15
	v_and_b32_e32 v61, 0xffff, v15
	v_mov_b32_e32 v15, 0
	s_delay_alu instid0(VALU_DEP_3)
	v_cmpx_ne_u16_e32 0, v59
	s_cbranch_execz .LBB379_288
; %bb.281:                              ;   in Loop: Header=BB379_13 Depth=1
	s_delay_alu instid0(VALU_DEP_3) | instskip(NEXT) | instid1(VALU_DEP_1)
	v_and_b32_e32 v15, 0xff, v61
	v_cmp_ne_u16_e64 s1, 0x80, v15
	v_bfrev_b32_e32 v15, 1
	s_delay_alu instid0(VALU_DEP_2)
	s_and_saveexec_b32 s50, s1
	s_cbranch_execz .LBB379_287
; %bb.282:                              ;   in Loop: Header=BB379_13 Depth=1
	v_and_b32_e32 v62, 0x7f, v61
	v_mov_b32_e32 v15, 0x7f800001
	s_mov_b32 s51, exec_lo
	s_delay_alu instid0(VALU_DEP_2)
	v_cmpx_ne_u32_e32 0x7f, v62
	s_cbranch_execz .LBB379_286
; %bb.283:                              ;   in Loop: Header=BB379_13 Depth=1
	v_and_b32_e32 v15, 7, v61
	v_lshrrev_b32_e32 v59, 3, v62
	s_mov_b32 s52, exec_lo
	v_cmpx_gt_u32_e32 8, v62
; %bb.284:                              ;   in Loop: Header=BB379_13 Depth=1
	s_delay_alu instid0(VALU_DEP_3) | instskip(NEXT) | instid1(VALU_DEP_1)
	v_clz_i32_u32_e32 v59, v15
	v_min_u32_e32 v59, 32, v59
	s_delay_alu instid0(VALU_DEP_1) | instskip(SKIP_1) | instid1(VALU_DEP_2)
	v_subrev_nc_u32_e32 v62, 28, v59
	v_sub_nc_u32_e32 v59, 29, v59
	v_lshlrev_b64 v[62:63], v62, v[15:16]
	s_delay_alu instid0(VALU_DEP_1)
	v_and_b32_e32 v15, 7, v62
; %bb.285:                              ;   in Loop: Header=BB379_13 Depth=1
	s_or_b32 exec_lo, exec_lo, s52
	v_lshlrev_b32_e32 v62, 24, v61
	s_delay_alu instid0(VALU_DEP_2) | instskip(SKIP_1) | instid1(VALU_DEP_3)
	v_lshlrev_b32_e32 v15, 20, v15
	v_lshl_add_u32 v59, v59, 23, 0x3c000000
	v_and_b32_e32 v62, 0x80000000, v62
	s_delay_alu instid0(VALU_DEP_1)
	v_or3_b32 v15, v15, v62, v59
.LBB379_286:                            ;   in Loop: Header=BB379_13 Depth=1
	s_or_b32 exec_lo, exec_lo, s51
.LBB379_287:                            ;   in Loop: Header=BB379_13 Depth=1
	s_delay_alu instid0(SALU_CYCLE_1)
	s_or_b32 exec_lo, exec_lo, s50
.LBB379_288:                            ;   in Loop: Header=BB379_13 Depth=1
	s_delay_alu instid0(SALU_CYCLE_1) | instskip(NEXT) | instid1(VALU_DEP_1)
	s_or_b32 exec_lo, exec_lo, s49
	v_mul_f32_e32 v15, s48, v15
	s_delay_alu instid0(VALU_DEP_1) | instskip(NEXT) | instid1(VALU_DEP_1)
	v_and_b32_e32 v59, 0x7f800000, v15
	v_cmp_ne_u32_e64 s1, 0x7f800000, v59
                                        ; implicit-def: $vgpr59
	s_delay_alu instid0(VALU_DEP_1) | instskip(NEXT) | instid1(SALU_CYCLE_1)
	s_and_saveexec_b32 s49, s1
	s_xor_b32 s1, exec_lo, s49
; %bb.289:                              ;   in Loop: Header=BB379_13 Depth=1
	v_bfe_u32 v59, v15, 16, 1
	s_delay_alu instid0(VALU_DEP_1)
	v_add3_u32 v59, v15, v59, 0x7fff
                                        ; implicit-def: $vgpr15
; %bb.290:                              ;   in Loop: Header=BB379_13 Depth=1
	s_and_not1_saveexec_b32 s49, s1
; %bb.291:                              ;   in Loop: Header=BB379_13 Depth=1
	v_and_b32_e32 v59, 0xffff, v15
	v_or_b32_e32 v62, 0x10000, v15
	s_delay_alu instid0(VALU_DEP_2) | instskip(NEXT) | instid1(VALU_DEP_1)
	v_cmp_eq_u32_e64 s1, 0, v59
	v_cndmask_b32_e64 v59, v62, v15, s1
; %bb.292:                              ;   in Loop: Header=BB379_13 Depth=1
	s_or_b32 exec_lo, exec_lo, s49
	v_lshrrev_b16 v62, 8, v61
	v_mov_b32_e32 v15, 0
	s_mov_b32 s49, exec_lo
	s_delay_alu instid0(VALU_DEP_2)
	v_cmpx_ne_u16_e32 0, v62
	s_cbranch_execz .LBB379_300
; %bb.293:                              ;   in Loop: Header=BB379_13 Depth=1
	v_bfrev_b32_e32 v15, 1
	s_mov_b32 s50, exec_lo
	v_cmpx_ne_u16_e32 0x80, v62
	s_cbranch_execz .LBB379_299
; %bb.294:                              ;   in Loop: Header=BB379_13 Depth=1
	v_and_b32_e32 v62, 0xffff, v62
	v_mov_b32_e32 v15, 0x7f800001
	s_mov_b32 s51, exec_lo
	s_delay_alu instid0(VALU_DEP_2) | instskip(NEXT) | instid1(VALU_DEP_1)
	v_and_b32_e32 v63, 0x7f, v62
	v_cmpx_ne_u32_e32 0x7f, v63
	s_cbranch_execz .LBB379_298
; %bb.295:                              ;   in Loop: Header=BB379_13 Depth=1
	v_and_b32_e32 v15, 7, v62
	v_lshrrev_b32_e32 v62, 3, v63
	s_mov_b32 s52, exec_lo
	v_cmpx_gt_u32_e32 8, v63
; %bb.296:                              ;   in Loop: Header=BB379_13 Depth=1
	s_delay_alu instid0(VALU_DEP_3) | instskip(NEXT) | instid1(VALU_DEP_1)
	v_clz_i32_u32_e32 v62, v15
	v_min_u32_e32 v62, 32, v62
	s_delay_alu instid0(VALU_DEP_1) | instskip(SKIP_1) | instid1(VALU_DEP_2)
	v_subrev_nc_u32_e32 v63, 28, v62
	v_sub_nc_u32_e32 v62, 29, v62
	v_lshlrev_b64 v[63:64], v63, v[15:16]
	s_delay_alu instid0(VALU_DEP_1)
	v_and_b32_e32 v15, 7, v63
; %bb.297:                              ;   in Loop: Header=BB379_13 Depth=1
	s_or_b32 exec_lo, exec_lo, s52
	v_lshlrev_b32_e32 v61, 16, v61
	s_delay_alu instid0(VALU_DEP_2) | instskip(SKIP_1) | instid1(VALU_DEP_3)
	v_lshlrev_b32_e32 v15, 20, v15
	v_lshl_add_u32 v62, v62, 23, 0x3c000000
	v_and_b32_e32 v61, 0x80000000, v61
	s_delay_alu instid0(VALU_DEP_1)
	v_or3_b32 v15, v15, v61, v62
.LBB379_298:                            ;   in Loop: Header=BB379_13 Depth=1
	s_or_b32 exec_lo, exec_lo, s51
.LBB379_299:                            ;   in Loop: Header=BB379_13 Depth=1
	s_delay_alu instid0(SALU_CYCLE_1)
	s_or_b32 exec_lo, exec_lo, s50
.LBB379_300:                            ;   in Loop: Header=BB379_13 Depth=1
	s_delay_alu instid0(SALU_CYCLE_1) | instskip(NEXT) | instid1(VALU_DEP_1)
	s_or_b32 exec_lo, exec_lo, s49
	v_mul_f32_e32 v15, s48, v15
	s_delay_alu instid0(VALU_DEP_1) | instskip(NEXT) | instid1(VALU_DEP_1)
	v_and_b32_e32 v61, 0x7f800000, v15
	v_cmp_ne_u32_e64 s1, 0x7f800000, v61
                                        ; implicit-def: $vgpr61
	s_delay_alu instid0(VALU_DEP_1) | instskip(NEXT) | instid1(SALU_CYCLE_1)
	s_and_saveexec_b32 s49, s1
	s_xor_b32 s1, exec_lo, s49
; %bb.301:                              ;   in Loop: Header=BB379_13 Depth=1
	v_bfe_u32 v61, v15, 16, 1
	s_delay_alu instid0(VALU_DEP_1)
	v_add3_u32 v61, v15, v61, 0x7fff
                                        ; implicit-def: $vgpr15
; %bb.302:                              ;   in Loop: Header=BB379_13 Depth=1
	s_and_not1_saveexec_b32 s49, s1
; %bb.303:                              ;   in Loop: Header=BB379_13 Depth=1
	v_and_b32_e32 v61, 0xffff, v15
	v_or_b32_e32 v62, 0x10000, v15
	s_delay_alu instid0(VALU_DEP_2) | instskip(NEXT) | instid1(VALU_DEP_1)
	v_cmp_eq_u32_e64 s1, 0, v61
	v_cndmask_b32_e64 v61, v62, v15, s1
; %bb.304:                              ;   in Loop: Header=BB379_13 Depth=1
	s_or_b32 exec_lo, exec_lo, s49
	global_load_u16 v15, v[23:24], off offset:768
	s_mov_b32 s49, exec_lo
	s_waitcnt vmcnt(0)
	v_and_b32_e32 v62, 0xff, v15
	v_and_b32_e32 v63, 0xffff, v15
	v_mov_b32_e32 v15, 0
	s_delay_alu instid0(VALU_DEP_3)
	v_cmpx_ne_u16_e32 0, v62
	s_cbranch_execz .LBB379_312
; %bb.305:                              ;   in Loop: Header=BB379_13 Depth=1
	s_delay_alu instid0(VALU_DEP_3) | instskip(NEXT) | instid1(VALU_DEP_1)
	v_and_b32_e32 v15, 0xff, v63
	v_cmp_ne_u16_e64 s1, 0x80, v15
	v_bfrev_b32_e32 v15, 1
	s_delay_alu instid0(VALU_DEP_2)
	s_and_saveexec_b32 s50, s1
	s_cbranch_execz .LBB379_311
; %bb.306:                              ;   in Loop: Header=BB379_13 Depth=1
	v_and_b32_e32 v64, 0x7f, v63
	v_mov_b32_e32 v15, 0x7f800001
	s_mov_b32 s51, exec_lo
	s_delay_alu instid0(VALU_DEP_2)
	v_cmpx_ne_u32_e32 0x7f, v64
	s_cbranch_execz .LBB379_310
; %bb.307:                              ;   in Loop: Header=BB379_13 Depth=1
	v_and_b32_e32 v15, 7, v63
	v_lshrrev_b32_e32 v62, 3, v64
	s_mov_b32 s52, exec_lo
	v_cmpx_gt_u32_e32 8, v64
; %bb.308:                              ;   in Loop: Header=BB379_13 Depth=1
	s_delay_alu instid0(VALU_DEP_3) | instskip(NEXT) | instid1(VALU_DEP_1)
	v_clz_i32_u32_e32 v62, v15
	v_min_u32_e32 v62, 32, v62
	s_delay_alu instid0(VALU_DEP_1) | instskip(SKIP_1) | instid1(VALU_DEP_2)
	v_subrev_nc_u32_e32 v64, 28, v62
	v_sub_nc_u32_e32 v62, 29, v62
	v_lshlrev_b64 v[64:65], v64, v[15:16]
	s_delay_alu instid0(VALU_DEP_1)
	v_and_b32_e32 v15, 7, v64
; %bb.309:                              ;   in Loop: Header=BB379_13 Depth=1
	s_or_b32 exec_lo, exec_lo, s52
	v_lshlrev_b32_e32 v64, 24, v63
	s_delay_alu instid0(VALU_DEP_2) | instskip(SKIP_1) | instid1(VALU_DEP_3)
	v_lshlrev_b32_e32 v15, 20, v15
	v_lshl_add_u32 v62, v62, 23, 0x3c000000
	v_and_b32_e32 v64, 0x80000000, v64
	s_delay_alu instid0(VALU_DEP_1)
	v_or3_b32 v15, v15, v64, v62
.LBB379_310:                            ;   in Loop: Header=BB379_13 Depth=1
	s_or_b32 exec_lo, exec_lo, s51
.LBB379_311:                            ;   in Loop: Header=BB379_13 Depth=1
	s_delay_alu instid0(SALU_CYCLE_1)
	s_or_b32 exec_lo, exec_lo, s50
.LBB379_312:                            ;   in Loop: Header=BB379_13 Depth=1
	s_delay_alu instid0(SALU_CYCLE_1) | instskip(NEXT) | instid1(VALU_DEP_1)
	s_or_b32 exec_lo, exec_lo, s49
	v_mul_f32_e32 v15, s48, v15
	s_delay_alu instid0(VALU_DEP_1) | instskip(NEXT) | instid1(VALU_DEP_1)
	v_and_b32_e32 v62, 0x7f800000, v15
	v_cmp_ne_u32_e64 s1, 0x7f800000, v62
                                        ; implicit-def: $vgpr62
	s_delay_alu instid0(VALU_DEP_1) | instskip(NEXT) | instid1(SALU_CYCLE_1)
	s_and_saveexec_b32 s49, s1
	s_xor_b32 s1, exec_lo, s49
; %bb.313:                              ;   in Loop: Header=BB379_13 Depth=1
	v_bfe_u32 v62, v15, 16, 1
	s_delay_alu instid0(VALU_DEP_1)
	v_add3_u32 v62, v15, v62, 0x7fff
                                        ; implicit-def: $vgpr15
; %bb.314:                              ;   in Loop: Header=BB379_13 Depth=1
	s_and_not1_saveexec_b32 s49, s1
; %bb.315:                              ;   in Loop: Header=BB379_13 Depth=1
	v_and_b32_e32 v62, 0xffff, v15
	v_or_b32_e32 v64, 0x10000, v15
	s_delay_alu instid0(VALU_DEP_2) | instskip(NEXT) | instid1(VALU_DEP_1)
	v_cmp_eq_u32_e64 s1, 0, v62
	v_cndmask_b32_e64 v62, v64, v15, s1
; %bb.316:                              ;   in Loop: Header=BB379_13 Depth=1
	s_or_b32 exec_lo, exec_lo, s49
	v_lshrrev_b16 v64, 8, v63
	v_mov_b32_e32 v15, 0
	s_mov_b32 s49, exec_lo
	s_delay_alu instid0(VALU_DEP_2)
	v_cmpx_ne_u16_e32 0, v64
	s_cbranch_execz .LBB379_324
; %bb.317:                              ;   in Loop: Header=BB379_13 Depth=1
	v_bfrev_b32_e32 v15, 1
	s_mov_b32 s50, exec_lo
	v_cmpx_ne_u16_e32 0x80, v64
	s_cbranch_execz .LBB379_323
; %bb.318:                              ;   in Loop: Header=BB379_13 Depth=1
	v_and_b32_e32 v64, 0xffff, v64
	v_mov_b32_e32 v15, 0x7f800001
	s_mov_b32 s51, exec_lo
	s_delay_alu instid0(VALU_DEP_2) | instskip(NEXT) | instid1(VALU_DEP_1)
	v_and_b32_e32 v65, 0x7f, v64
	v_cmpx_ne_u32_e32 0x7f, v65
	s_cbranch_execz .LBB379_322
; %bb.319:                              ;   in Loop: Header=BB379_13 Depth=1
	v_and_b32_e32 v15, 7, v64
	v_lshrrev_b32_e32 v64, 3, v65
	s_mov_b32 s52, exec_lo
	v_cmpx_gt_u32_e32 8, v65
; %bb.320:                              ;   in Loop: Header=BB379_13 Depth=1
	s_delay_alu instid0(VALU_DEP_3) | instskip(NEXT) | instid1(VALU_DEP_1)
	v_clz_i32_u32_e32 v64, v15
	v_min_u32_e32 v64, 32, v64
	s_delay_alu instid0(VALU_DEP_1) | instskip(SKIP_1) | instid1(VALU_DEP_2)
	v_subrev_nc_u32_e32 v65, 28, v64
	v_sub_nc_u32_e32 v64, 29, v64
	v_lshlrev_b64 v[65:66], v65, v[15:16]
	s_delay_alu instid0(VALU_DEP_1)
	v_and_b32_e32 v15, 7, v65
; %bb.321:                              ;   in Loop: Header=BB379_13 Depth=1
	s_or_b32 exec_lo, exec_lo, s52
	v_lshlrev_b32_e32 v63, 16, v63
	s_delay_alu instid0(VALU_DEP_2) | instskip(SKIP_1) | instid1(VALU_DEP_3)
	v_lshlrev_b32_e32 v15, 20, v15
	v_lshl_add_u32 v64, v64, 23, 0x3c000000
	v_and_b32_e32 v63, 0x80000000, v63
	s_delay_alu instid0(VALU_DEP_1)
	v_or3_b32 v15, v15, v63, v64
.LBB379_322:                            ;   in Loop: Header=BB379_13 Depth=1
	s_or_b32 exec_lo, exec_lo, s51
.LBB379_323:                            ;   in Loop: Header=BB379_13 Depth=1
	s_delay_alu instid0(SALU_CYCLE_1)
	s_or_b32 exec_lo, exec_lo, s50
.LBB379_324:                            ;   in Loop: Header=BB379_13 Depth=1
	s_delay_alu instid0(SALU_CYCLE_1) | instskip(NEXT) | instid1(VALU_DEP_1)
	s_or_b32 exec_lo, exec_lo, s49
	v_mul_f32_e32 v15, s48, v15
	s_delay_alu instid0(VALU_DEP_1) | instskip(NEXT) | instid1(VALU_DEP_1)
	v_and_b32_e32 v63, 0x7f800000, v15
	v_cmp_ne_u32_e64 s1, 0x7f800000, v63
                                        ; implicit-def: $vgpr63
	s_delay_alu instid0(VALU_DEP_1) | instskip(NEXT) | instid1(SALU_CYCLE_1)
	s_and_saveexec_b32 s49, s1
	s_xor_b32 s1, exec_lo, s49
; %bb.325:                              ;   in Loop: Header=BB379_13 Depth=1
	v_bfe_u32 v63, v15, 16, 1
	s_delay_alu instid0(VALU_DEP_1)
	v_add3_u32 v63, v15, v63, 0x7fff
                                        ; implicit-def: $vgpr15
; %bb.326:                              ;   in Loop: Header=BB379_13 Depth=1
	s_and_not1_saveexec_b32 s49, s1
; %bb.327:                              ;   in Loop: Header=BB379_13 Depth=1
	v_and_b32_e32 v63, 0xffff, v15
	v_or_b32_e32 v64, 0x10000, v15
	s_delay_alu instid0(VALU_DEP_2) | instskip(NEXT) | instid1(VALU_DEP_1)
	v_cmp_eq_u32_e64 s1, 0, v63
	v_cndmask_b32_e64 v63, v64, v15, s1
; %bb.328:                              ;   in Loop: Header=BB379_13 Depth=1
	s_or_b32 exec_lo, exec_lo, s49
	global_load_u16 v15, v[23:24], off offset:776
	s_mov_b32 s49, exec_lo
	s_waitcnt vmcnt(0)
	v_and_b32_e32 v24, 0xff, v15
	v_and_b32_e32 v23, 0xffff, v15
	v_mov_b32_e32 v15, 0
	s_delay_alu instid0(VALU_DEP_3)
	v_cmpx_ne_u16_e32 0, v24
	s_cbranch_execz .LBB379_336
; %bb.329:                              ;   in Loop: Header=BB379_13 Depth=1
	s_delay_alu instid0(VALU_DEP_3) | instskip(NEXT) | instid1(VALU_DEP_1)
	v_and_b32_e32 v15, 0xff, v23
	v_cmp_ne_u16_e64 s1, 0x80, v15
	v_bfrev_b32_e32 v15, 1
	s_delay_alu instid0(VALU_DEP_2)
	s_and_saveexec_b32 s50, s1
	s_cbranch_execz .LBB379_335
; %bb.330:                              ;   in Loop: Header=BB379_13 Depth=1
	v_and_b32_e32 v64, 0x7f, v23
	v_mov_b32_e32 v15, 0x7f800001
	s_mov_b32 s51, exec_lo
	s_delay_alu instid0(VALU_DEP_2)
	v_cmpx_ne_u32_e32 0x7f, v64
	s_cbranch_execz .LBB379_334
; %bb.331:                              ;   in Loop: Header=BB379_13 Depth=1
	v_and_b32_e32 v15, 7, v23
	v_lshrrev_b32_e32 v24, 3, v64
	s_mov_b32 s52, exec_lo
	v_cmpx_gt_u32_e32 8, v64
; %bb.332:                              ;   in Loop: Header=BB379_13 Depth=1
	s_delay_alu instid0(VALU_DEP_3) | instskip(NEXT) | instid1(VALU_DEP_1)
	v_clz_i32_u32_e32 v24, v15
	v_min_u32_e32 v24, 32, v24
	s_delay_alu instid0(VALU_DEP_1) | instskip(SKIP_1) | instid1(VALU_DEP_2)
	v_subrev_nc_u32_e32 v64, 28, v24
	v_sub_nc_u32_e32 v24, 29, v24
	v_lshlrev_b64 v[64:65], v64, v[15:16]
	s_delay_alu instid0(VALU_DEP_1)
	v_and_b32_e32 v15, 7, v64
; %bb.333:                              ;   in Loop: Header=BB379_13 Depth=1
	s_or_b32 exec_lo, exec_lo, s52
	v_lshlrev_b32_e32 v64, 24, v23
	s_delay_alu instid0(VALU_DEP_2) | instskip(SKIP_1) | instid1(VALU_DEP_3)
	v_lshlrev_b32_e32 v15, 20, v15
	v_lshl_add_u32 v24, v24, 23, 0x3c000000
	v_and_b32_e32 v64, 0x80000000, v64
	s_delay_alu instid0(VALU_DEP_1)
	v_or3_b32 v15, v15, v64, v24
.LBB379_334:                            ;   in Loop: Header=BB379_13 Depth=1
	s_or_b32 exec_lo, exec_lo, s51
.LBB379_335:                            ;   in Loop: Header=BB379_13 Depth=1
	s_delay_alu instid0(SALU_CYCLE_1)
	s_or_b32 exec_lo, exec_lo, s50
.LBB379_336:                            ;   in Loop: Header=BB379_13 Depth=1
	s_delay_alu instid0(SALU_CYCLE_1) | instskip(NEXT) | instid1(VALU_DEP_1)
	s_or_b32 exec_lo, exec_lo, s49
	v_mul_f32_e32 v15, s48, v15
	s_delay_alu instid0(VALU_DEP_1) | instskip(NEXT) | instid1(VALU_DEP_1)
	v_and_b32_e32 v24, 0x7f800000, v15
	v_cmp_ne_u32_e64 s1, 0x7f800000, v24
                                        ; implicit-def: $vgpr24
	s_delay_alu instid0(VALU_DEP_1) | instskip(NEXT) | instid1(SALU_CYCLE_1)
	s_and_saveexec_b32 s49, s1
	s_xor_b32 s1, exec_lo, s49
; %bb.337:                              ;   in Loop: Header=BB379_13 Depth=1
	v_bfe_u32 v24, v15, 16, 1
	s_delay_alu instid0(VALU_DEP_1)
	v_add3_u32 v24, v15, v24, 0x7fff
                                        ; implicit-def: $vgpr15
; %bb.338:                              ;   in Loop: Header=BB379_13 Depth=1
	s_and_not1_saveexec_b32 s49, s1
; %bb.339:                              ;   in Loop: Header=BB379_13 Depth=1
	v_and_b32_e32 v24, 0xffff, v15
	v_or_b32_e32 v64, 0x10000, v15
	s_delay_alu instid0(VALU_DEP_2) | instskip(NEXT) | instid1(VALU_DEP_1)
	v_cmp_eq_u32_e64 s1, 0, v24
	v_cndmask_b32_e64 v24, v64, v15, s1
; %bb.340:                              ;   in Loop: Header=BB379_13 Depth=1
	s_or_b32 exec_lo, exec_lo, s49
	v_lshrrev_b16 v64, 8, v23
	v_mov_b32_e32 v15, 0
	s_mov_b32 s49, exec_lo
	s_delay_alu instid0(VALU_DEP_2)
	v_cmpx_ne_u16_e32 0, v64
	s_cbranch_execz .LBB379_348
; %bb.341:                              ;   in Loop: Header=BB379_13 Depth=1
	v_bfrev_b32_e32 v15, 1
	s_mov_b32 s50, exec_lo
	v_cmpx_ne_u16_e32 0x80, v64
	s_cbranch_execz .LBB379_347
; %bb.342:                              ;   in Loop: Header=BB379_13 Depth=1
	v_and_b32_e32 v64, 0xffff, v64
	v_mov_b32_e32 v15, 0x7f800001
	s_mov_b32 s51, exec_lo
	s_delay_alu instid0(VALU_DEP_2) | instskip(NEXT) | instid1(VALU_DEP_1)
	v_and_b32_e32 v65, 0x7f, v64
	v_cmpx_ne_u32_e32 0x7f, v65
	s_cbranch_execz .LBB379_346
; %bb.343:                              ;   in Loop: Header=BB379_13 Depth=1
	v_and_b32_e32 v15, 7, v64
	v_lshrrev_b32_e32 v64, 3, v65
	s_mov_b32 s52, exec_lo
	v_cmpx_gt_u32_e32 8, v65
; %bb.344:                              ;   in Loop: Header=BB379_13 Depth=1
	s_delay_alu instid0(VALU_DEP_3) | instskip(NEXT) | instid1(VALU_DEP_1)
	v_clz_i32_u32_e32 v64, v15
	v_min_u32_e32 v64, 32, v64
	s_delay_alu instid0(VALU_DEP_1) | instskip(SKIP_1) | instid1(VALU_DEP_2)
	v_subrev_nc_u32_e32 v65, 28, v64
	v_sub_nc_u32_e32 v64, 29, v64
	v_lshlrev_b64 v[65:66], v65, v[15:16]
	s_delay_alu instid0(VALU_DEP_1)
	v_and_b32_e32 v15, 7, v65
; %bb.345:                              ;   in Loop: Header=BB379_13 Depth=1
	s_or_b32 exec_lo, exec_lo, s52
	v_lshlrev_b32_e32 v23, 16, v23
	s_delay_alu instid0(VALU_DEP_2) | instskip(SKIP_1) | instid1(VALU_DEP_3)
	v_lshlrev_b32_e32 v15, 20, v15
	v_lshl_add_u32 v64, v64, 23, 0x3c000000
	v_and_b32_e32 v23, 0x80000000, v23
	s_delay_alu instid0(VALU_DEP_1)
	v_or3_b32 v15, v15, v23, v64
.LBB379_346:                            ;   in Loop: Header=BB379_13 Depth=1
	s_or_b32 exec_lo, exec_lo, s51
.LBB379_347:                            ;   in Loop: Header=BB379_13 Depth=1
	s_delay_alu instid0(SALU_CYCLE_1)
	s_or_b32 exec_lo, exec_lo, s50
.LBB379_348:                            ;   in Loop: Header=BB379_13 Depth=1
	s_delay_alu instid0(SALU_CYCLE_1) | instskip(NEXT) | instid1(VALU_DEP_1)
	s_or_b32 exec_lo, exec_lo, s49
	v_mul_f32_e32 v23, s48, v15
	s_delay_alu instid0(VALU_DEP_1) | instskip(NEXT) | instid1(VALU_DEP_1)
	v_and_b32_e32 v15, 0x7f800000, v23
	v_cmp_ne_u32_e64 s1, 0x7f800000, v15
                                        ; implicit-def: $vgpr15
	s_delay_alu instid0(VALU_DEP_1) | instskip(NEXT) | instid1(SALU_CYCLE_1)
	s_and_saveexec_b32 s48, s1
	s_xor_b32 s1, exec_lo, s48
; %bb.349:                              ;   in Loop: Header=BB379_13 Depth=1
	v_bfe_u32 v15, v23, 16, 1
	s_delay_alu instid0(VALU_DEP_1)
	v_add3_u32 v15, v23, v15, 0x7fff
                                        ; implicit-def: $vgpr23
; %bb.350:                              ;   in Loop: Header=BB379_13 Depth=1
	s_and_not1_saveexec_b32 s48, s1
; %bb.351:                              ;   in Loop: Header=BB379_13 Depth=1
	v_and_b32_e32 v15, 0xffff, v23
	v_or_b32_e32 v64, 0x10000, v23
	s_delay_alu instid0(VALU_DEP_2) | instskip(NEXT) | instid1(VALU_DEP_1)
	v_cmp_eq_u32_e64 s1, 0, v15
	v_cndmask_b32_e64 v15, v64, v23, s1
; %bb.352:                              ;   in Loop: Header=BB379_13 Depth=1
	s_or_b32 exec_lo, exec_lo, s48
	v_and_b32_e32 v41, 0xffff0000, v41
	v_and_b32_e32 v23, 0xffff0000, v24
	;; [unrolled: 1-line block ×4, first 2 shown]
	v_lshlrev_b32_e32 v63, 16, v10
	v_and_b32_e32 v61, 0xffff0000, v61
	v_and_b32_e32 v10, 0xffff0000, v10
	;; [unrolled: 1-line block ×3, first 2 shown]
	v_lshlrev_b32_e32 v64, 16, v9
	v_dual_mul_f32 v40, v63, v40 :: v_dual_and_b32 v55, 0xffff0000, v55
	s_delay_alu instid0(VALU_DEP_4) | instskip(SKIP_1) | instid1(VALU_DEP_3)
	v_dual_mul_f32 v10, v10, v41 :: v_dual_and_b32 v41, 0xffff0000, v42
	v_lshlrev_b32_e32 v42, 16, v11
	v_dual_fmac_f32 v40, v64, v38 :: v_dual_and_b32 v51, 0xffff0000, v51
	v_and_b32_e32 v39, 0xffff0000, v39
	v_and_b32_e32 v11, 0xffff0000, v11
	v_lshlrev_b32_e32 v38, 16, v12
	s_delay_alu instid0(VALU_DEP_4)
	v_fmac_f32_e32 v40, v42, v41
	v_and_b32_e32 v9, 0xffff0000, v9
	v_and_b32_e32 v53, 0xffff0000, v53
	;; [unrolled: 1-line block ×5, first 2 shown]
	v_dual_fmac_f32 v10, v9, v39 :: v_dual_and_b32 v9, 0xffff0000, v44
	v_and_b32_e32 v49, 0xffff0000, v49
	v_and_b32_e32 v47, 0xffff0000, v47
	s_delay_alu instid0(VALU_DEP_3) | instskip(NEXT) | instid1(VALU_DEP_4)
	v_dual_fmac_f32 v10, v11, v43 :: v_dual_lshlrev_b32 v39, 16, v5
	v_dual_fmac_f32 v40, v38, v9 :: v_dual_and_b32 v11, 0xffff0000, v46
	v_and_b32_e32 v45, 0xffff0000, v45
	v_and_b32_e32 v5, 0xffff0000, v5
	;; [unrolled: 1-line block ×4, first 2 shown]
	v_fmac_f32_e32 v40, v39, v11
	v_fmac_f32_e32 v10, v12, v45
	v_lshlrev_b32_e32 v12, 16, v6
	v_and_b32_e32 v6, 0xffff0000, v6
	v_lshlrev_b32_e32 v11, 16, v7
	v_and_b32_e32 v7, 0xffff0000, v7
	v_fmac_f32_e32 v10, v5, v47
	v_dual_fmac_f32 v40, v12, v9 :: v_dual_lshlrev_b32 v9, 16, v8
	v_and_b32_e32 v8, 0xffff0000, v8
	v_and_b32_e32 v60, 0xffff0000, v60
	s_delay_alu instid0(VALU_DEP_4) | instskip(SKIP_1) | instid1(VALU_DEP_2)
	v_fmac_f32_e32 v10, v6, v49
	v_and_b32_e32 v6, 0xffff0000, v52
	v_dual_fmac_f32 v10, v7, v51 :: v_dual_lshlrev_b32 v7, 16, v1
	v_and_b32_e32 v1, 0xffff0000, v1
	s_delay_alu instid0(VALU_DEP_2) | instskip(SKIP_2) | instid1(VALU_DEP_3)
	v_fmac_f32_e32 v10, v8, v53
	v_lshlrev_b32_e32 v8, 16, v2
	v_and_b32_e32 v2, 0xffff0000, v2
	v_fmac_f32_e32 v10, v1, v55
	s_delay_alu instid0(VALU_DEP_1) | instskip(SKIP_2) | instid1(VALU_DEP_2)
	v_fmac_f32_e32 v10, v2, v58
	v_and_b32_e32 v5, 0xffff0000, v50
	v_and_b32_e32 v2, 0xffff0000, v59
	v_dual_fmac_f32 v40, v11, v5 :: v_dual_and_b32 v5, 0xffff0000, v54
	s_delay_alu instid0(VALU_DEP_1) | instskip(SKIP_1) | instid1(VALU_DEP_2)
	v_fmac_f32_e32 v40, v9, v6
	v_and_b32_e32 v6, 0xffff0000, v56
	v_dual_fmac_f32 v40, v7, v5 :: v_dual_lshlrev_b32 v5, 16, v3
	s_delay_alu instid0(VALU_DEP_1) | instskip(SKIP_2) | instid1(VALU_DEP_3)
	v_dual_fmac_f32 v40, v8, v6 :: v_dual_and_b32 v3, 0xffff0000, v3
	v_lshlrev_b32_e32 v6, 16, v4
	v_and_b32_e32 v4, 0xffff0000, v4
	v_dual_fmac_f32 v10, v3, v60 :: v_dual_lshlrev_b32 v3, 16, v22
	s_delay_alu instid0(VALU_DEP_1) | instskip(SKIP_2) | instid1(VALU_DEP_1)
	v_fmac_f32_e32 v10, v4, v61
	v_and_b32_e32 v4, 0xffff0000, v15
	v_and_b32_e32 v1, 0xffff0000, v57
	v_fmac_f32_e32 v40, v5, v1
	v_lshlrev_b32_e32 v1, 16, v21
	s_delay_alu instid0(VALU_DEP_2) | instskip(SKIP_2) | instid1(VALU_DEP_3)
	v_dual_fmac_f32 v40, v6, v2 :: v_dual_and_b32 v5, 0xffff0000, v21
	v_xor_b32_e32 v2, 2, v27
	v_and_b32_e32 v6, 0xffff0000, v22
	v_fmac_f32_e32 v10, v5, v24
	s_delay_alu instid0(VALU_DEP_4) | instskip(NEXT) | instid1(VALU_DEP_4)
	v_fmac_f32_e32 v40, v1, v62
	v_cmp_gt_i32_e64 s1, 32, v2
	s_delay_alu instid0(VALU_DEP_3) | instskip(NEXT) | instid1(VALU_DEP_3)
	v_fmac_f32_e32 v10, v6, v4
	v_fmac_f32_e32 v40, v3, v23
	s_delay_alu instid0(VALU_DEP_3) | instskip(SKIP_1) | instid1(VALU_DEP_2)
	v_cndmask_b32_e64 v1, v27, v2, s1
	v_xor_b32_e32 v3, 1, v27
	v_dual_add_f32 v2, v40, v10 :: v_dual_lshlrev_b32 v1, 2, v1
	s_delay_alu instid0(VALU_DEP_2) | instskip(SKIP_2) | instid1(VALU_DEP_1)
	v_cmp_gt_i32_e64 s1, 32, v3
	ds_bpermute_b32 v1, v1, v2
	v_cndmask_b32_e64 v3, v27, v3, s1
	v_lshlrev_b32_e32 v3, 2, v3
	s_waitcnt lgkmcnt(0)
	v_add_f32_e32 v1, v2, v1
	ds_bpermute_b32 v2, v3, v1
	s_and_saveexec_b32 s48, vcc_lo
	s_cbranch_execz .LBB379_11
; %bb.353:                              ;   in Loop: Header=BB379_13 Depth=1
	s_waitcnt lgkmcnt(0)
	v_add_f32_e32 v1, v1, v2
	v_add_nc_u32_e32 v3, v34, v32
	s_delay_alu instid0(VALU_DEP_1) | instskip(NEXT) | instid1(VALU_DEP_1)
	v_cvt_f32_i32_e32 v3, v3
	v_mul_f32_e32 v3, s43, v3
	s_delay_alu instid0(VALU_DEP_1) | instskip(NEXT) | instid1(VALU_DEP_1)
	v_cndmask_b32_e64 v2, 0, v3, s0
	v_dual_max_f32 v3, v28, v28 :: v_dual_fmac_f32 v2, s13, v1
	v_add_nc_u32_e32 v1, v29, v32
	s_delay_alu instid0(VALU_DEP_2) | instskip(NEXT) | instid1(VALU_DEP_2)
	v_max_f32_e32 v3, v3, v2
	v_cmp_gt_i32_e64 s1, s33, v1
	s_delay_alu instid0(VALU_DEP_1) | instskip(NEXT) | instid1(VALU_DEP_3)
	v_cndmask_b32_e64 v1, 0, v2, s1
	v_cndmask_b32_e64 v28, v28, v3, s1
	ds_store_b32 v35, v1
	s_branch .LBB379_11
.LBB379_354:
	s_or_b32 exec_lo, exec_lo, s46
.LBB379_355:
	s_delay_alu instid0(SALU_CYCLE_1) | instskip(SKIP_4) | instid1(VALU_DEP_4)
	s_or_b32 exec_lo, exec_lo, s18
	v_xor_b32_e32 v1, 16, v27
	v_xor_b32_e32 v3, 8, v27
	v_and_b32_e32 v18, 31, v0
	v_max_f32_e32 v5, v28, v28
	v_cmp_gt_i32_e32 vcc_lo, 32, v1
	v_cndmask_b32_e32 v1, v27, v1, vcc_lo
	v_cmp_gt_i32_e32 vcc_lo, 32, v3
	v_cndmask_b32_e32 v3, v27, v3, vcc_lo
	s_delay_alu instid0(VALU_DEP_1)
	v_lshlrev_b32_e32 v4, 2, v3
	s_waitcnt lgkmcnt(0)
	v_lshlrev_b32_e32 v2, 2, v1
	ds_bpermute_b32 v1, v2, v28
	s_waitcnt lgkmcnt(0)
	v_max_f32_e32 v1, v1, v1
	s_delay_alu instid0(VALU_DEP_1)
	v_max_f32_e32 v1, v5, v1
	v_xor_b32_e32 v5, 4, v27
	ds_bpermute_b32 v3, v4, v1
	v_cmp_gt_i32_e32 vcc_lo, 32, v5
	v_cndmask_b32_e32 v5, v27, v5, vcc_lo
	v_cmp_eq_u32_e32 vcc_lo, 0, v18
	s_delay_alu instid0(VALU_DEP_2) | instskip(SKIP_3) | instid1(VALU_DEP_1)
	v_lshlrev_b32_e32 v7, 2, v5
	v_lshlrev_b32_e32 v5, 2, v25
	s_waitcnt lgkmcnt(0)
	v_max_f32_e32 v3, v3, v3
	v_max_f32_e32 v1, v1, v3
	ds_bpermute_b32 v3, v7, v1
	s_and_saveexec_b32 s0, vcc_lo
	s_cbranch_execz .LBB379_357
; %bb.356:
	s_waitcnt lgkmcnt(0)
	v_max_f32_e32 v3, v3, v3
	v_max_f32_e32 v1, v1, v1
	s_delay_alu instid0(VALU_DEP_1)
	v_max_f32_e32 v1, v1, v3
	ds_store_b32 v5, v1 offset:224
.LBB379_357:
	s_or_b32 exec_lo, exec_lo, s0
	v_cmp_gt_u32_e64 s0, 4, v18
	v_dual_mov_b32 v1, 0xff7fffff :: v_dual_lshlrev_b32 v6, 2, v18
	s_waitcnt lgkmcnt(0)
	s_barrier
	buffer_gl0_inv
	s_and_saveexec_b32 s1, s0
	s_cbranch_execz .LBB379_359
; %bb.358:
	ds_load_b32 v1, v6 offset:224
.LBB379_359:
	s_or_b32 exec_lo, exec_lo, s1
	v_xor_b32_e32 v3, 2, v27
	v_xor_b32_e32 v9, 1, v27
	v_mov_b32_e32 v10, 0
	s_delay_alu instid0(VALU_DEP_3) | instskip(NEXT) | instid1(VALU_DEP_1)
	v_cmp_gt_i32_e64 s1, 32, v3
	v_cndmask_b32_e64 v3, v27, v3, s1
	s_delay_alu instid0(VALU_DEP_4) | instskip(NEXT) | instid1(VALU_DEP_2)
	v_cmp_gt_i32_e64 s1, 32, v9
	v_lshlrev_b32_e32 v8, 2, v3
	s_delay_alu instid0(VALU_DEP_2) | instskip(SKIP_1) | instid1(SALU_CYCLE_1)
	v_cndmask_b32_e64 v9, v27, v9, s1
	s_sub_i32 s1, s41, s12
	s_lshl_b32 s1, s1, 3
	s_waitcnt lgkmcnt(0)
	ds_bpermute_b32 v3, v8, v1
	v_max_f32_e32 v1, v1, v1
	v_lshlrev_b32_e32 v9, 2, v9
	s_add_i32 s1, s1, s25
	s_delay_alu instid0(SALU_CYCLE_1) | instskip(NEXT) | instid1(SALU_CYCLE_1)
	s_min_i32 s1, s1, s33
	s_sub_i32 s4, s1, s25
	s_delay_alu instid0(SALU_CYCLE_1) | instskip(SKIP_2) | instid1(VALU_DEP_1)
	v_cmp_gt_i32_e64 s1, s4, v0
	s_waitcnt lgkmcnt(0)
	v_max_f32_e32 v3, v3, v3
	v_max_f32_e32 v1, v1, v3
	ds_bpermute_b32 v3, v9, v1
	s_waitcnt lgkmcnt(0)
	v_max_f32_e32 v3, v3, v3
	s_delay_alu instid0(VALU_DEP_1)
	v_max_f32_e32 v1, v1, v3
	v_lshl_add_u32 v3, v0, 2, 0x100
	ds_bpermute_b32 v1, v10, v1
	s_and_saveexec_b32 s5, s1
	s_cbranch_execz .LBB379_363
; %bb.360:
	v_lshl_add_u32 v11, v0, 2, 0x100
	v_mov_b32_e32 v10, 0
	v_mov_b32_e32 v12, v0
	s_mov_b32 s12, 0
	.p2align	6
.LBB379_361:                            ; =>This Inner Loop Header: Depth=1
	ds_load_b32 v15, v11
	v_add_nc_u32_e32 v12, 0x80, v12
	s_delay_alu instid0(VALU_DEP_1) | instskip(NEXT) | instid1(VALU_DEP_1)
	v_cmp_le_i32_e64 s3, s4, v12
	s_or_b32 s12, s3, s12
	s_waitcnt lgkmcnt(0)
	v_sub_f32_e32 v15, v15, v1
	s_delay_alu instid0(VALU_DEP_1) | instskip(NEXT) | instid1(VALU_DEP_1)
	v_mul_f32_e32 v15, 0x3fb8aa3b, v15
	v_exp_f32_e32 v15, v15
	ds_store_b32 v11, v15
	v_add_f32_e32 v10, v10, v15
	v_add_nc_u32_e32 v11, 0x200, v11
	s_and_not1_b32 exec_lo, exec_lo, s12
	s_cbranch_execnz .LBB379_361
; %bb.362:
	s_or_b32 exec_lo, exec_lo, s12
.LBB379_363:
	s_delay_alu instid0(SALU_CYCLE_1)
	s_or_b32 exec_lo, exec_lo, s5
	ds_bpermute_b32 v2, v2, v10
	s_waitcnt lgkmcnt(0)
	v_add_f32_e32 v2, v10, v2
	ds_bpermute_b32 v4, v4, v2
	s_waitcnt lgkmcnt(0)
	v_add_f32_e32 v2, v2, v4
	;; [unrolled: 3-line block ×5, first 2 shown]
	s_and_saveexec_b32 s3, vcc_lo
	s_cbranch_execz .LBB379_365
; %bb.364:
	ds_store_b32 v5, v2 offset:240
.LBB379_365:
	s_or_b32 exec_lo, exec_lo, s3
	s_waitcnt lgkmcnt(0)
	s_barrier
	buffer_gl0_inv
	s_and_saveexec_b32 s3, s0
	s_cbranch_execz .LBB379_367
; %bb.366:
	ds_load_b32 v2, v6 offset:240
.LBB379_367:
	s_or_b32 exec_lo, exec_lo, s3
	s_waitcnt lgkmcnt(0)
	ds_bpermute_b32 v4, v8, v2
	s_waitcnt lgkmcnt(0)
	v_add_f32_e32 v2, v2, v4
	ds_bpermute_b32 v4, v9, v2
	s_waitcnt lgkmcnt(0)
	v_add_f32_e32 v2, v2, v4
	v_mov_b32_e32 v4, 0
	ds_bpermute_b32 v2, v4, v2
	s_and_saveexec_b32 s0, s1
	s_cbranch_execz .LBB379_370
; %bb.368:
	s_waitcnt lgkmcnt(0)
	v_add_f32_e32 v4, 0x358637bd, v2
	s_mov_b32 s1, 0
	s_delay_alu instid0(VALU_DEP_1) | instskip(SKIP_1) | instid1(VALU_DEP_2)
	v_div_scale_f32 v5, null, v4, v4, 1.0
	v_div_scale_f32 v8, vcc_lo, 1.0, v4, 1.0
	v_rcp_f32_e32 v6, v5
	s_waitcnt_depctr 0xfff
	v_fma_f32 v7, -v5, v6, 1.0
	s_delay_alu instid0(VALU_DEP_1) | instskip(NEXT) | instid1(VALU_DEP_1)
	v_fmac_f32_e32 v6, v7, v6
	v_mul_f32_e32 v7, v8, v6
	s_delay_alu instid0(VALU_DEP_1) | instskip(NEXT) | instid1(VALU_DEP_1)
	v_fma_f32 v9, -v5, v7, v8
	v_fmac_f32_e32 v7, v9, v6
	s_delay_alu instid0(VALU_DEP_1) | instskip(NEXT) | instid1(VALU_DEP_1)
	v_fma_f32 v5, -v5, v7, v8
	v_div_fmas_f32 v5, v5, v6, v7
	s_delay_alu instid0(VALU_DEP_1)
	v_div_fixup_f32 v4, v5, v4, 1.0
	v_mov_b32_e32 v5, v0
.LBB379_369:                            ; =>This Inner Loop Header: Depth=1
	ds_load_b32 v6, v3
	s_waitcnt lgkmcnt(0)
	v_dual_mul_f32 v6, v4, v6 :: v_dual_add_nc_u32 v5, 0x80, v5
	s_delay_alu instid0(VALU_DEP_1) | instskip(SKIP_3) | instid1(SALU_CYCLE_1)
	v_cmp_le_i32_e32 vcc_lo, s4, v5
	ds_store_b32 v3, v6
	v_add_nc_u32_e32 v3, 0x200, v3
	s_or_b32 s1, vcc_lo, s1
	s_and_not1_b32 exec_lo, exec_lo, s1
	s_cbranch_execnz .LBB379_369
.LBB379_370:
	s_or_b32 exec_lo, exec_lo, s0
	s_mul_i32 s0, s16, s14
	s_mov_b32 s12, 0
	s_mul_i32 s4, s0, s15
	s_mov_b32 s0, exec_lo
	s_waitcnt lgkmcnt(0)
	s_barrier
	buffer_gl0_inv
	v_cmpx_eq_u32_e32 0, v0
	s_cbranch_execz .LBB379_372
; %bb.371:
	s_ashr_i32 s5, s4, 31
	s_mul_i32 s44, s16, s30
	s_lshl_b64 s[14:15], s[4:5], 2
	v_mov_b32_e32 v3, 0
	s_add_u32 s1, s22, s14
	s_addc_u32 s3, s23, s15
	s_ashr_i32 s45, s44, 31
	s_delay_alu instid0(SALU_CYCLE_1) | instskip(NEXT) | instid1(SALU_CYCLE_1)
	s_lshl_b64 s[22:23], s[44:45], 2
	s_add_u32 s1, s1, s22
	s_addc_u32 s3, s3, s23
	s_ashr_i32 s25, s24, 31
	s_delay_alu instid0(SALU_CYCLE_1) | instskip(NEXT) | instid1(SALU_CYCLE_1)
	s_lshl_b64 s[44:45], s[24:25], 2
	s_add_u32 s46, s1, s44
	s_addc_u32 s47, s3, s45
	s_add_u32 s1, s20, s14
	s_addc_u32 s3, s21, s15
	;; [unrolled: 2-line block ×4, first 2 shown]
	s_clause 0x1
	global_store_b32 v3, v1, s[46:47]
	global_store_b32 v3, v2, s[14:15]
.LBB379_372:
	s_or_b32 exec_lo, exec_lo, s0
	s_mov_b32 s13, s12
	s_mov_b32 s14, s12
	s_mov_b32 s15, s12
	v_dual_mov_b32 v1, s12 :: v_dual_mov_b32 v2, s13
	v_dual_mov_b32 v3, s14 :: v_dual_mov_b32 v4, s15
	s_and_saveexec_b32 s5, s2
	s_cbranch_execz .LBB379_916
; %bb.373:
	s_sub_i32 s14, s42, s9
	s_ashr_i32 s0, s8, 31
	s_add_u32 s2, s38, s8
	s_addc_u32 s3, s39, s0
	s_abs_i32 s15, s10
	s_mov_b32 s8, 0
	v_cvt_f32_u32_e32 v1, s15
	s_add_i32 s18, s11, -1
	s_mov_b32 s9, s8
	s_mov_b32 s10, s8
	s_mov_b32 s11, s8
	v_rcp_iflag_f32_e32 v1, v1
	s_sub_i32 s0, 0, s15
	v_or_b32_e32 v4, 0x60, v18
	v_lshlrev_b32_e32 v19, 3, v18
	v_lshl_add_u32 v20, v25, 5, 0x100
	s_mov_b32 s12, -1
	s_mov_b32 s13, 0xffffff
	v_cmp_gt_u32_e32 vcc_lo, 0x70, v4
	v_lshlrev_b32_e32 v21, 3, v4
	s_waitcnt_depctr 0xfff
	v_mul_f32_e32 v1, 0x4f7ffffe, v1
	s_delay_alu instid0(VALU_DEP_1) | instskip(SKIP_1) | instid1(VALU_DEP_2)
	v_cvt_u32_f32_e32 v3, v1
	v_lshlrev_b64 v[1:2], 2, v[13:14]
	v_mul_lo_u32 v5, s0, v3
	s_lshl_b64 s[0:1], s[36:37], 2
	s_delay_alu instid0(SALU_CYCLE_1) | instskip(SKIP_1) | instid1(VALU_DEP_2)
	s_add_u32 s0, s34, s0
	s_addc_u32 s1, s35, s1
	v_add_co_u32 v16, s0, s0, v1
	s_delay_alu instid0(VALU_DEP_1) | instskip(NEXT) | instid1(VALU_DEP_3)
	v_add_co_ci_u32_e64 v17, s0, s1, v2, s0
	v_mul_hi_u32 v5, v3, v5
	s_delay_alu instid0(VALU_DEP_1)
	v_dual_mov_b32 v15, 0 :: v_dual_add_nc_u32 v22, v3, v5
	v_dual_mov_b32 v1, s8 :: v_dual_mov_b32 v2, s9
	v_dual_mov_b32 v3, s10 :: v_dual_mov_b32 v4, s11
	s_mov_b32 s9, s17
	s_branch .LBB379_377
.LBB379_374:                            ;   in Loop: Header=BB379_377 Depth=1
	s_or_b32 exec_lo, exec_lo, s1
	v_and_b32_e32 v9, 0xffff0000, v9
	v_and_b32_e32 v7, 0xffff0000, v7
	;; [unrolled: 1-line block ×5, first 2 shown]
	s_delay_alu instid0(VALU_DEP_4) | instskip(NEXT) | instid1(VALU_DEP_1)
	v_dual_add_f32 v7, v7, v9 :: v_dual_and_b32 v12, 0xffff0000, v12
	v_dual_add_f32 v8, v12, v8 :: v_dual_and_b32 v11, 0xffff0000, v11
	s_delay_alu instid0(VALU_DEP_1) | instskip(NEXT) | instid1(VALU_DEP_1)
	v_add_f32_e32 v9, v10, v11
	v_dual_add_f32 v7, v7, v9 :: v_dual_and_b32 v6, 0xffff0000, v6
	s_delay_alu instid0(VALU_DEP_1) | instskip(NEXT) | instid1(VALU_DEP_2)
	v_add_f32_e32 v7, v7, v8
	v_add_f32_e32 v5, v6, v5
	s_delay_alu instid0(VALU_DEP_1) | instskip(NEXT) | instid1(VALU_DEP_1)
	v_add_f32_e32 v5, v7, v5
	v_add_f32_e32 v4, v4, v5
.LBB379_375:                            ;   in Loop: Header=BB379_377 Depth=1
	s_or_b32 exec_lo, exec_lo, s17
.LBB379_376:                            ;   in Loop: Header=BB379_377 Depth=1
	s_delay_alu instid0(SALU_CYCLE_1) | instskip(SKIP_2) | instid1(VALU_DEP_1)
	s_or_b32 exec_lo, exec_lo, s10
	v_add_nc_u32_e32 v13, 4, v13
	v_add_co_u32 v16, s1, v16, 16
	v_add_co_ci_u32_e64 v17, s1, 0, v17, s1
	s_delay_alu instid0(VALU_DEP_3) | instskip(SKIP_2) | instid1(VALU_DEP_3)
	v_cmp_le_i32_e64 s0, s41, v13
	v_add_nc_u32_e32 v26, 32, v26
	v_add_nc_u32_e32 v20, 0x80, v20
	s_or_b32 s8, s0, s8
	s_delay_alu instid0(SALU_CYCLE_1)
	s_and_not1_b32 exec_lo, exec_lo, s8
	s_cbranch_execz .LBB379_915
.LBB379_377:                            ; =>This Inner Loop Header: Depth=1
	v_sub_nc_u32_e32 v5, 0, v26
	s_delay_alu instid0(VALU_DEP_1) | instskip(NEXT) | instid1(VALU_DEP_1)
	v_max_i32_e32 v5, v26, v5
	v_mul_hi_u32 v6, v5, s27
	s_delay_alu instid0(VALU_DEP_1) | instskip(NEXT) | instid1(VALU_DEP_1)
	v_mul_lo_u32 v7, v6, s19
	v_sub_nc_u32_e32 v5, v5, v7
	v_add_nc_u32_e32 v7, 1, v6
	s_delay_alu instid0(VALU_DEP_2) | instskip(SKIP_1) | instid1(VALU_DEP_1)
	v_subrev_nc_u32_e32 v8, s19, v5
	v_cmp_le_u32_e64 s0, s19, v5
	v_cndmask_b32_e64 v6, v6, v7, s0
	s_delay_alu instid0(VALU_DEP_3) | instskip(SKIP_1) | instid1(VALU_DEP_3)
	v_cndmask_b32_e64 v5, v5, v8, s0
	v_ashrrev_i32_e32 v7, 31, v26
	v_add_nc_u32_e32 v8, 1, v6
	s_delay_alu instid0(VALU_DEP_3) | instskip(NEXT) | instid1(VALU_DEP_3)
	v_cmp_le_u32_e64 s0, s19, v5
	v_xor_b32_e32 v7, s40, v7
	s_delay_alu instid0(VALU_DEP_2) | instskip(NEXT) | instid1(VALU_DEP_1)
	v_cndmask_b32_e64 v5, v6, v8, s0
	v_xor_b32_e32 v5, v5, v7
	s_delay_alu instid0(VALU_DEP_1) | instskip(NEXT) | instid1(VALU_DEP_1)
	v_sub_nc_u32_e32 v5, v5, v7
	v_add_nc_u32_e32 v6, s31, v5
	v_cmp_lt_i32_e64 s1, s14, v5
	s_delay_alu instid0(VALU_DEP_2) | instskip(NEXT) | instid1(VALU_DEP_1)
	v_sub_nc_u32_e32 v7, 0, v6
	v_max_i32_e32 v7, v6, v7
	v_ashrrev_i32_e32 v6, 31, v6
	s_delay_alu instid0(VALU_DEP_2) | instskip(NEXT) | instid1(VALU_DEP_1)
	v_mul_hi_u32 v8, v7, v22
	v_mul_lo_u32 v8, v8, s15
	s_delay_alu instid0(VALU_DEP_1) | instskip(NEXT) | instid1(VALU_DEP_1)
	v_sub_nc_u32_e32 v7, v7, v8
	v_subrev_nc_u32_e32 v8, s15, v7
	v_cmp_le_u32_e64 s0, s15, v7
	s_delay_alu instid0(VALU_DEP_1) | instskip(NEXT) | instid1(VALU_DEP_1)
	v_cndmask_b32_e64 v7, v7, v8, s0
	v_subrev_nc_u32_e32 v8, s15, v7
	v_cmp_le_u32_e64 s0, s15, v7
	s_delay_alu instid0(VALU_DEP_1) | instskip(NEXT) | instid1(VALU_DEP_1)
	v_cndmask_b32_e64 v7, v7, v8, s0
	v_xor_b32_e32 v7, v7, v6
	s_delay_alu instid0(VALU_DEP_1) | instskip(NEXT) | instid1(VALU_DEP_1)
	v_sub_nc_u32_e32 v6, v7, v6
	v_cmp_eq_u32_e64 s0, 0, v6
	s_delay_alu instid0(VALU_DEP_1) | instskip(NEXT) | instid1(SALU_CYCLE_1)
	s_or_b32 s0, s0, s1
	s_and_saveexec_b32 s10, s0
	s_cbranch_execz .LBB379_376
; %bb.378:                              ;   in Loop: Header=BB379_377 Depth=1
	global_load_b32 v14, v[16:17], off
	ds_load_2addr_b64 v[9:12], v20 offset1:1
	ds_load_2addr_b64 v[5:8], v20 offset0:2 offset1:3
	s_waitcnt lgkmcnt(1)
	v_and_b32_e32 v23, 0x7f800000, v9
	s_delay_alu instid0(VALU_DEP_1) | instskip(NEXT) | instid1(VALU_DEP_1)
	v_cmp_ne_u32_e64 s0, 0x7f800000, v23
                                        ; implicit-def: $vgpr23
	s_and_saveexec_b32 s1, s0
	s_delay_alu instid0(SALU_CYCLE_1)
	s_xor_b32 s0, exec_lo, s1
; %bb.379:                              ;   in Loop: Header=BB379_377 Depth=1
	v_bfe_u32 v23, v9, 16, 1
	s_delay_alu instid0(VALU_DEP_1)
	v_add3_u32 v23, v9, v23, 0x7fff
; %bb.380:                              ;   in Loop: Header=BB379_377 Depth=1
	s_and_not1_saveexec_b32 s1, s0
; %bb.381:                              ;   in Loop: Header=BB379_377 Depth=1
	v_and_b32_e32 v23, 0xffff, v9
	v_or_b32_e32 v24, 0x10000, v9
	s_delay_alu instid0(VALU_DEP_2) | instskip(NEXT) | instid1(VALU_DEP_1)
	v_cmp_eq_u32_e64 s0, 0, v23
	v_cndmask_b32_e64 v23, v24, v9, s0
; %bb.382:                              ;   in Loop: Header=BB379_377 Depth=1
	s_or_b32 exec_lo, exec_lo, s1
	v_and_b32_e32 v9, 0x7f800000, v10
                                        ; implicit-def: $vgpr24
	s_delay_alu instid0(VALU_DEP_1) | instskip(NEXT) | instid1(VALU_DEP_1)
	v_cmp_ne_u32_e64 s0, 0x7f800000, v9
	s_and_saveexec_b32 s1, s0
	s_delay_alu instid0(SALU_CYCLE_1)
	s_xor_b32 s0, exec_lo, s1
; %bb.383:                              ;   in Loop: Header=BB379_377 Depth=1
	v_bfe_u32 v9, v10, 16, 1
	s_delay_alu instid0(VALU_DEP_1)
	v_add3_u32 v24, v10, v9, 0x7fff
; %bb.384:                              ;   in Loop: Header=BB379_377 Depth=1
	s_and_not1_saveexec_b32 s1, s0
; %bb.385:                              ;   in Loop: Header=BB379_377 Depth=1
	v_and_b32_e32 v9, 0xffff, v10
	v_or_b32_e32 v24, 0x10000, v10
	s_delay_alu instid0(VALU_DEP_2) | instskip(NEXT) | instid1(VALU_DEP_1)
	v_cmp_eq_u32_e64 s0, 0, v9
	v_cndmask_b32_e64 v24, v24, v10, s0
; %bb.386:                              ;   in Loop: Header=BB379_377 Depth=1
	s_or_b32 exec_lo, exec_lo, s1
	v_and_b32_e32 v9, 0x7f800000, v11
                                        ; implicit-def: $vgpr27
	s_delay_alu instid0(VALU_DEP_1) | instskip(NEXT) | instid1(VALU_DEP_1)
	v_cmp_ne_u32_e64 s0, 0x7f800000, v9
	s_and_saveexec_b32 s1, s0
	s_delay_alu instid0(SALU_CYCLE_1)
	s_xor_b32 s0, exec_lo, s1
; %bb.387:                              ;   in Loop: Header=BB379_377 Depth=1
	v_bfe_u32 v9, v11, 16, 1
	s_delay_alu instid0(VALU_DEP_1)
	v_add3_u32 v27, v11, v9, 0x7fff
; %bb.388:                              ;   in Loop: Header=BB379_377 Depth=1
	s_and_not1_saveexec_b32 s1, s0
; %bb.389:                              ;   in Loop: Header=BB379_377 Depth=1
	v_and_b32_e32 v9, 0xffff, v11
	v_or_b32_e32 v10, 0x10000, v11
	s_delay_alu instid0(VALU_DEP_2) | instskip(NEXT) | instid1(VALU_DEP_1)
	v_cmp_eq_u32_e64 s0, 0, v9
	v_cndmask_b32_e64 v27, v10, v11, s0
; %bb.390:                              ;   in Loop: Header=BB379_377 Depth=1
	s_or_b32 exec_lo, exec_lo, s1
	v_and_b32_e32 v9, 0x7f800000, v12
                                        ; implicit-def: $vgpr28
	s_delay_alu instid0(VALU_DEP_1) | instskip(NEXT) | instid1(VALU_DEP_1)
	v_cmp_ne_u32_e64 s0, 0x7f800000, v9
	s_and_saveexec_b32 s1, s0
	s_delay_alu instid0(SALU_CYCLE_1)
	s_xor_b32 s0, exec_lo, s1
; %bb.391:                              ;   in Loop: Header=BB379_377 Depth=1
	v_bfe_u32 v9, v12, 16, 1
	s_delay_alu instid0(VALU_DEP_1)
	v_add3_u32 v28, v12, v9, 0x7fff
                                        ; implicit-def: $vgpr9_vgpr10_vgpr11_vgpr12
; %bb.392:                              ;   in Loop: Header=BB379_377 Depth=1
	s_and_not1_saveexec_b32 s1, s0
; %bb.393:                              ;   in Loop: Header=BB379_377 Depth=1
	v_and_b32_e32 v9, 0xffff, v12
	v_or_b32_e32 v10, 0x10000, v12
	s_delay_alu instid0(VALU_DEP_2) | instskip(NEXT) | instid1(VALU_DEP_1)
	v_cmp_eq_u32_e64 s0, 0, v9
	v_cndmask_b32_e64 v28, v10, v12, s0
; %bb.394:                              ;   in Loop: Header=BB379_377 Depth=1
	s_or_b32 exec_lo, exec_lo, s1
	s_waitcnt lgkmcnt(0)
	v_and_b32_e32 v9, 0x7f800000, v5
                                        ; implicit-def: $vgpr29
	s_delay_alu instid0(VALU_DEP_1) | instskip(NEXT) | instid1(VALU_DEP_1)
	v_cmp_ne_u32_e64 s0, 0x7f800000, v9
	s_and_saveexec_b32 s1, s0
	s_delay_alu instid0(SALU_CYCLE_1)
	s_xor_b32 s0, exec_lo, s1
; %bb.395:                              ;   in Loop: Header=BB379_377 Depth=1
	v_bfe_u32 v9, v5, 16, 1
	s_delay_alu instid0(VALU_DEP_1)
	v_add3_u32 v29, v5, v9, 0x7fff
; %bb.396:                              ;   in Loop: Header=BB379_377 Depth=1
	s_and_not1_saveexec_b32 s1, s0
; %bb.397:                              ;   in Loop: Header=BB379_377 Depth=1
	v_and_b32_e32 v9, 0xffff, v5
	v_or_b32_e32 v10, 0x10000, v5
	s_delay_alu instid0(VALU_DEP_2) | instskip(NEXT) | instid1(VALU_DEP_1)
	v_cmp_eq_u32_e64 s0, 0, v9
	v_cndmask_b32_e64 v29, v10, v5, s0
; %bb.398:                              ;   in Loop: Header=BB379_377 Depth=1
	s_or_b32 exec_lo, exec_lo, s1
	v_and_b32_e32 v5, 0x7f800000, v6
                                        ; implicit-def: $vgpr30
	s_delay_alu instid0(VALU_DEP_1) | instskip(NEXT) | instid1(VALU_DEP_1)
	v_cmp_ne_u32_e64 s0, 0x7f800000, v5
	s_and_saveexec_b32 s1, s0
	s_delay_alu instid0(SALU_CYCLE_1)
	s_xor_b32 s0, exec_lo, s1
; %bb.399:                              ;   in Loop: Header=BB379_377 Depth=1
	v_bfe_u32 v5, v6, 16, 1
	s_delay_alu instid0(VALU_DEP_1)
	v_add3_u32 v30, v6, v5, 0x7fff
; %bb.400:                              ;   in Loop: Header=BB379_377 Depth=1
	s_and_not1_saveexec_b32 s1, s0
; %bb.401:                              ;   in Loop: Header=BB379_377 Depth=1
	v_and_b32_e32 v5, 0xffff, v6
	v_or_b32_e32 v9, 0x10000, v6
	s_delay_alu instid0(VALU_DEP_2) | instskip(NEXT) | instid1(VALU_DEP_1)
	v_cmp_eq_u32_e64 s0, 0, v5
	v_cndmask_b32_e64 v30, v9, v6, s0
; %bb.402:                              ;   in Loop: Header=BB379_377 Depth=1
	s_or_b32 exec_lo, exec_lo, s1
	v_and_b32_e32 v5, 0x7f800000, v7
                                        ; implicit-def: $vgpr31
	s_delay_alu instid0(VALU_DEP_1) | instskip(NEXT) | instid1(VALU_DEP_1)
	v_cmp_ne_u32_e64 s0, 0x7f800000, v5
	s_and_saveexec_b32 s1, s0
	s_delay_alu instid0(SALU_CYCLE_1)
	s_xor_b32 s0, exec_lo, s1
; %bb.403:                              ;   in Loop: Header=BB379_377 Depth=1
	v_bfe_u32 v5, v7, 16, 1
	s_delay_alu instid0(VALU_DEP_1)
	v_add3_u32 v31, v7, v5, 0x7fff
; %bb.404:                              ;   in Loop: Header=BB379_377 Depth=1
	s_and_not1_saveexec_b32 s1, s0
; %bb.405:                              ;   in Loop: Header=BB379_377 Depth=1
	v_and_b32_e32 v5, 0xffff, v7
	v_or_b32_e32 v6, 0x10000, v7
	s_delay_alu instid0(VALU_DEP_2) | instskip(NEXT) | instid1(VALU_DEP_1)
	v_cmp_eq_u32_e64 s0, 0, v5
	v_cndmask_b32_e64 v31, v6, v7, s0
; %bb.406:                              ;   in Loop: Header=BB379_377 Depth=1
	s_or_b32 exec_lo, exec_lo, s1
	v_and_b32_e32 v5, 0x7f800000, v8
                                        ; implicit-def: $vgpr32
	s_delay_alu instid0(VALU_DEP_1) | instskip(NEXT) | instid1(VALU_DEP_1)
	v_cmp_ne_u32_e64 s0, 0x7f800000, v5
	s_and_saveexec_b32 s1, s0
	s_delay_alu instid0(SALU_CYCLE_1)
	s_xor_b32 s0, exec_lo, s1
; %bb.407:                              ;   in Loop: Header=BB379_377 Depth=1
	v_bfe_u32 v5, v8, 16, 1
	s_delay_alu instid0(VALU_DEP_1)
	v_add3_u32 v32, v8, v5, 0x7fff
                                        ; implicit-def: $vgpr5_vgpr6_vgpr7_vgpr8
; %bb.408:                              ;   in Loop: Header=BB379_377 Depth=1
	s_and_not1_saveexec_b32 s1, s0
; %bb.409:                              ;   in Loop: Header=BB379_377 Depth=1
	v_and_b32_e32 v5, 0xffff, v8
	v_or_b32_e32 v6, 0x10000, v8
	s_delay_alu instid0(VALU_DEP_2) | instskip(NEXT) | instid1(VALU_DEP_1)
	v_cmp_eq_u32_e64 s0, 0, v5
	v_cndmask_b32_e64 v32, v6, v8, s0
; %bb.410:                              ;   in Loop: Header=BB379_377 Depth=1
	s_or_b32 exec_lo, exec_lo, s1
	s_waitcnt vmcnt(0)
	v_mad_i64_i32 v[5:6], null, v14, s9, s[2:3]
	s_load_b32 s11, s[6:7], 0x0
	s_mov_b32 s1, exec_lo
	v_mov_b32_e32 v11, 0
	s_delay_alu instid0(VALU_DEP_2) | instskip(NEXT) | instid1(VALU_DEP_1)
	v_add_co_u32 v7, s0, v5, v19
	v_add_co_ci_u32_e64 v8, s0, 0, v6, s0
	global_load_b64 v[9:10], v[7:8], off
	s_waitcnt vmcnt(0)
	v_and_b32_e32 v12, 0xff, v9
	s_delay_alu instid0(VALU_DEP_1)
	v_cmpx_ne_u16_e32 0, v12
	s_cbranch_execz .LBB379_416
; %bb.411:                              ;   in Loop: Header=BB379_377 Depth=1
	v_bfrev_b32_e32 v11, 1
	s_mov_b32 s17, exec_lo
	v_cmpx_ne_u16_e32 0x80, v12
	s_cbranch_execz .LBB379_415
; %bb.412:                              ;   in Loop: Header=BB379_377 Depth=1
	v_and_b32_e32 v12, 0x7f, v9
	v_mov_b32_e32 v11, 0x7f800001
	s_mov_b32 s20, exec_lo
	s_delay_alu instid0(VALU_DEP_2)
	v_cmpx_ne_u32_e32 0x7f, v12
	s_cbranch_execz .LBB379_414
; %bb.413:                              ;   in Loop: Header=BB379_377 Depth=1
	v_and_b32_e32 v11, 7, v9
	v_lshrrev_b32_e32 v14, 3, v12
	v_cmp_gt_u32_e64 s0, 8, v12
	s_delay_alu instid0(VALU_DEP_3) | instskip(NEXT) | instid1(VALU_DEP_1)
	v_clz_i32_u32_e32 v11, v11
	v_min_u32_e32 v11, 32, v11
	s_delay_alu instid0(VALU_DEP_1) | instskip(SKIP_1) | instid1(VALU_DEP_1)
	v_subrev_nc_u32_e32 v33, 28, v11
	v_sub_nc_u32_e32 v11, 29, v11
	v_cndmask_b32_e64 v14, v14, v11, s0
	s_delay_alu instid0(VALU_DEP_3) | instskip(NEXT) | instid1(VALU_DEP_2)
	v_cndmask_b32_e64 v11, 0, v33, s0
	v_lshl_add_u32 v14, v14, 23, 0x3c000000
	s_delay_alu instid0(VALU_DEP_2) | instskip(SKIP_1) | instid1(VALU_DEP_2)
	v_lshlrev_b64 v[11:12], v11, v[9:10]
	v_lshlrev_b32_e32 v12, 24, v9
	v_lshlrev_b32_e32 v11, 20, v11
	s_delay_alu instid0(VALU_DEP_2) | instskip(NEXT) | instid1(VALU_DEP_2)
	v_and_b32_e32 v12, 0x80000000, v12
	v_and_b32_e32 v11, 0x700000, v11
	s_delay_alu instid0(VALU_DEP_1)
	v_or3_b32 v11, v11, v12, v14
.LBB379_414:                            ;   in Loop: Header=BB379_377 Depth=1
	s_or_b32 exec_lo, exec_lo, s20
.LBB379_415:                            ;   in Loop: Header=BB379_377 Depth=1
	s_delay_alu instid0(SALU_CYCLE_1)
	s_or_b32 exec_lo, exec_lo, s17
.LBB379_416:                            ;   in Loop: Header=BB379_377 Depth=1
	s_delay_alu instid0(SALU_CYCLE_1) | instskip(SKIP_2) | instid1(VALU_DEP_1)
	s_or_b32 exec_lo, exec_lo, s1
	s_waitcnt lgkmcnt(0)
	v_mul_f32_e32 v11, s11, v11
                                        ; implicit-def: $vgpr33
	v_and_b32_e32 v12, 0x7f800000, v11
	s_delay_alu instid0(VALU_DEP_1) | instskip(NEXT) | instid1(VALU_DEP_1)
	v_cmp_ne_u32_e64 s0, 0x7f800000, v12
	s_and_saveexec_b32 s1, s0
	s_delay_alu instid0(SALU_CYCLE_1)
	s_xor_b32 s0, exec_lo, s1
; %bb.417:                              ;   in Loop: Header=BB379_377 Depth=1
	v_bfe_u32 v12, v11, 16, 1
	s_delay_alu instid0(VALU_DEP_1)
	v_add3_u32 v33, v11, v12, 0x7fff
                                        ; implicit-def: $vgpr11
; %bb.418:                              ;   in Loop: Header=BB379_377 Depth=1
	s_and_not1_saveexec_b32 s1, s0
; %bb.419:                              ;   in Loop: Header=BB379_377 Depth=1
	v_and_b32_e32 v12, 0xffff, v11
	v_or_b32_e32 v14, 0x10000, v11
	s_delay_alu instid0(VALU_DEP_2) | instskip(NEXT) | instid1(VALU_DEP_1)
	v_cmp_eq_u32_e64 s0, 0, v12
	v_cndmask_b32_e64 v33, v14, v11, s0
; %bb.420:                              ;   in Loop: Header=BB379_377 Depth=1
	s_or_b32 exec_lo, exec_lo, s1
	v_lshrrev_b16 v12, 8, v9
	v_mov_b32_e32 v11, 0
	s_mov_b32 s1, exec_lo
	s_delay_alu instid0(VALU_DEP_2)
	v_cmpx_ne_u16_e32 0, v12
	s_cbranch_execz .LBB379_428
; %bb.421:                              ;   in Loop: Header=BB379_377 Depth=1
	v_bfrev_b32_e32 v11, 1
	s_mov_b32 s17, exec_lo
	v_cmpx_ne_u16_e32 0x80, v12
	s_cbranch_execz .LBB379_427
; %bb.422:                              ;   in Loop: Header=BB379_377 Depth=1
	v_and_b32_e32 v14, 0xffff, v12
	v_mov_b32_e32 v11, 0x7f800001
	s_mov_b32 s20, exec_lo
	s_delay_alu instid0(VALU_DEP_2) | instskip(NEXT) | instid1(VALU_DEP_1)
	v_and_b32_e32 v12, 0x7f, v14
	v_cmpx_ne_u32_e32 0x7f, v12
	s_cbranch_execz .LBB379_426
; %bb.423:                              ;   in Loop: Header=BB379_377 Depth=1
	v_and_b32_e32 v14, 7, v14
	v_lshrrev_b32_e32 v11, 3, v12
	s_mov_b32 s21, exec_lo
	v_cmpx_gt_u32_e32 8, v12
; %bb.424:                              ;   in Loop: Header=BB379_377 Depth=1
	s_delay_alu instid0(VALU_DEP_3) | instskip(NEXT) | instid1(VALU_DEP_1)
	v_clz_i32_u32_e32 v11, v14
	v_min_u32_e32 v11, 32, v11
	s_delay_alu instid0(VALU_DEP_1) | instskip(SKIP_1) | instid1(VALU_DEP_2)
	v_subrev_nc_u32_e32 v12, 28, v11
	v_sub_nc_u32_e32 v11, 29, v11
	v_lshlrev_b64 v[34:35], v12, v[14:15]
	s_delay_alu instid0(VALU_DEP_1)
	v_and_b32_e32 v14, 7, v34
; %bb.425:                              ;   in Loop: Header=BB379_377 Depth=1
	s_or_b32 exec_lo, exec_lo, s21
	v_lshlrev_b32_e32 v12, 16, v9
	s_delay_alu instid0(VALU_DEP_2) | instskip(SKIP_1) | instid1(VALU_DEP_3)
	v_lshlrev_b32_e32 v14, 20, v14
	v_lshl_add_u32 v11, v11, 23, 0x3c000000
	v_and_b32_e32 v12, 0x80000000, v12
	s_delay_alu instid0(VALU_DEP_1)
	v_or3_b32 v11, v14, v12, v11
.LBB379_426:                            ;   in Loop: Header=BB379_377 Depth=1
	s_or_b32 exec_lo, exec_lo, s20
.LBB379_427:                            ;   in Loop: Header=BB379_377 Depth=1
	s_delay_alu instid0(SALU_CYCLE_1)
	s_or_b32 exec_lo, exec_lo, s17
.LBB379_428:                            ;   in Loop: Header=BB379_377 Depth=1
	s_delay_alu instid0(SALU_CYCLE_1) | instskip(NEXT) | instid1(VALU_DEP_1)
	s_or_b32 exec_lo, exec_lo, s1
	v_mul_f32_e32 v11, s11, v11
                                        ; implicit-def: $vgpr34
	s_delay_alu instid0(VALU_DEP_1) | instskip(NEXT) | instid1(VALU_DEP_1)
	v_and_b32_e32 v12, 0x7f800000, v11
	v_cmp_ne_u32_e64 s0, 0x7f800000, v12
	s_delay_alu instid0(VALU_DEP_1) | instskip(NEXT) | instid1(SALU_CYCLE_1)
	s_and_saveexec_b32 s1, s0
	s_xor_b32 s0, exec_lo, s1
; %bb.429:                              ;   in Loop: Header=BB379_377 Depth=1
	v_bfe_u32 v12, v11, 16, 1
	s_delay_alu instid0(VALU_DEP_1)
	v_add3_u32 v34, v11, v12, 0x7fff
                                        ; implicit-def: $vgpr11
; %bb.430:                              ;   in Loop: Header=BB379_377 Depth=1
	s_and_not1_saveexec_b32 s1, s0
; %bb.431:                              ;   in Loop: Header=BB379_377 Depth=1
	v_and_b32_e32 v12, 0xffff, v11
	v_or_b32_e32 v14, 0x10000, v11
	s_delay_alu instid0(VALU_DEP_2) | instskip(NEXT) | instid1(VALU_DEP_1)
	v_cmp_eq_u32_e64 s0, 0, v12
	v_cndmask_b32_e64 v34, v14, v11, s0
; %bb.432:                              ;   in Loop: Header=BB379_377 Depth=1
	s_or_b32 exec_lo, exec_lo, s1
	v_lshrrev_b32_e32 v11, 16, v9
	v_mov_b32_e32 v12, 0
	s_mov_b32 s1, exec_lo
	s_delay_alu instid0(VALU_DEP_2) | instskip(NEXT) | instid1(VALU_DEP_1)
	v_and_b32_e32 v14, 0xff, v11
	v_cmpx_ne_u16_e32 0, v14
	s_cbranch_execz .LBB379_440
; %bb.433:                              ;   in Loop: Header=BB379_377 Depth=1
	v_bfrev_b32_e32 v12, 1
	s_mov_b32 s17, exec_lo
	v_cmpx_ne_u16_e32 0x80, v14
	s_cbranch_execz .LBB379_439
; %bb.434:                              ;   in Loop: Header=BB379_377 Depth=1
	v_bfe_u32 v35, v9, 16, 7
	v_mov_b32_e32 v12, 0x7f800001
	s_mov_b32 s20, exec_lo
	s_delay_alu instid0(VALU_DEP_2)
	v_cmpx_ne_u32_e32 0x7f, v35
	s_cbranch_execz .LBB379_438
; %bb.435:                              ;   in Loop: Header=BB379_377 Depth=1
	v_and_b32_e32 v14, 7, v11
	v_lshrrev_b32_e32 v12, 3, v35
	s_mov_b32 s21, exec_lo
	v_cmpx_gt_u32_e32 8, v35
; %bb.436:                              ;   in Loop: Header=BB379_377 Depth=1
	s_delay_alu instid0(VALU_DEP_3) | instskip(NEXT) | instid1(VALU_DEP_1)
	v_clz_i32_u32_e32 v12, v14
	v_min_u32_e32 v12, 32, v12
	s_delay_alu instid0(VALU_DEP_1) | instskip(SKIP_1) | instid1(VALU_DEP_2)
	v_subrev_nc_u32_e32 v35, 28, v12
	v_sub_nc_u32_e32 v12, 29, v12
	v_lshlrev_b64 v[35:36], v35, v[14:15]
	s_delay_alu instid0(VALU_DEP_1)
	v_and_b32_e32 v14, 7, v35
; %bb.437:                              ;   in Loop: Header=BB379_377 Depth=1
	s_or_b32 exec_lo, exec_lo, s21
	v_lshlrev_b32_e32 v11, 24, v11
	s_delay_alu instid0(VALU_DEP_2) | instskip(SKIP_1) | instid1(VALU_DEP_3)
	v_lshlrev_b32_e32 v14, 20, v14
	v_lshl_add_u32 v12, v12, 23, 0x3c000000
	v_and_b32_e32 v11, 0x80000000, v11
	s_delay_alu instid0(VALU_DEP_1)
	v_or3_b32 v12, v14, v11, v12
.LBB379_438:                            ;   in Loop: Header=BB379_377 Depth=1
	s_or_b32 exec_lo, exec_lo, s20
.LBB379_439:                            ;   in Loop: Header=BB379_377 Depth=1
	s_delay_alu instid0(SALU_CYCLE_1)
	s_or_b32 exec_lo, exec_lo, s17
.LBB379_440:                            ;   in Loop: Header=BB379_377 Depth=1
	s_delay_alu instid0(SALU_CYCLE_1) | instskip(NEXT) | instid1(VALU_DEP_1)
	s_or_b32 exec_lo, exec_lo, s1
	v_mul_f32_e32 v11, s11, v12
                                        ; implicit-def: $vgpr35
	s_delay_alu instid0(VALU_DEP_1) | instskip(NEXT) | instid1(VALU_DEP_1)
	v_and_b32_e32 v12, 0x7f800000, v11
	v_cmp_ne_u32_e64 s0, 0x7f800000, v12
	s_delay_alu instid0(VALU_DEP_1) | instskip(NEXT) | instid1(SALU_CYCLE_1)
	s_and_saveexec_b32 s1, s0
	s_xor_b32 s0, exec_lo, s1
; %bb.441:                              ;   in Loop: Header=BB379_377 Depth=1
	v_bfe_u32 v12, v11, 16, 1
	s_delay_alu instid0(VALU_DEP_1)
	v_add3_u32 v35, v11, v12, 0x7fff
                                        ; implicit-def: $vgpr11
; %bb.442:                              ;   in Loop: Header=BB379_377 Depth=1
	s_and_not1_saveexec_b32 s1, s0
; %bb.443:                              ;   in Loop: Header=BB379_377 Depth=1
	v_and_b32_e32 v12, 0xffff, v11
	v_or_b32_e32 v14, 0x10000, v11
	s_delay_alu instid0(VALU_DEP_2) | instskip(NEXT) | instid1(VALU_DEP_1)
	v_cmp_eq_u32_e64 s0, 0, v12
	v_cndmask_b32_e64 v35, v14, v11, s0
; %bb.444:                              ;   in Loop: Header=BB379_377 Depth=1
	s_or_b32 exec_lo, exec_lo, s1
	v_mov_b32_e32 v12, 0
	s_mov_b32 s1, exec_lo
	v_cmpx_lt_u32_e32 0xffffff, v9
	s_cbranch_execz .LBB379_452
; %bb.445:                              ;   in Loop: Header=BB379_377 Depth=1
	v_lshrrev_b32_e32 v11, 24, v9
	v_bfrev_b32_e32 v12, 1
	s_mov_b32 s17, exec_lo
	s_delay_alu instid0(VALU_DEP_2)
	v_cmpx_ne_u32_e32 0x80, v11
	s_cbranch_execz .LBB379_451
; %bb.446:                              ;   in Loop: Header=BB379_377 Depth=1
	v_bfe_u32 v36, v9, 24, 7
	v_mov_b32_e32 v12, 0x7f800001
	s_mov_b32 s20, exec_lo
	s_delay_alu instid0(VALU_DEP_2)
	v_cmpx_ne_u32_e32 0x7f, v36
	s_cbranch_execz .LBB379_450
; %bb.447:                              ;   in Loop: Header=BB379_377 Depth=1
	v_and_b32_e32 v14, 7, v11
	v_lshrrev_b32_e32 v12, 3, v36
	s_mov_b32 s21, exec_lo
	v_cmpx_gt_u32_e32 8, v36
; %bb.448:                              ;   in Loop: Header=BB379_377 Depth=1
	s_delay_alu instid0(VALU_DEP_3) | instskip(NEXT) | instid1(VALU_DEP_1)
	v_clz_i32_u32_e32 v12, v14
	v_min_u32_e32 v12, 32, v12
	s_delay_alu instid0(VALU_DEP_1) | instskip(SKIP_1) | instid1(VALU_DEP_2)
	v_subrev_nc_u32_e32 v36, 28, v12
	v_sub_nc_u32_e32 v12, 29, v12
	v_lshlrev_b64 v[36:37], v36, v[14:15]
	s_delay_alu instid0(VALU_DEP_1)
	v_and_b32_e32 v14, 7, v36
; %bb.449:                              ;   in Loop: Header=BB379_377 Depth=1
	s_or_b32 exec_lo, exec_lo, s21
	v_lshlrev_b32_e32 v11, 24, v11
	s_delay_alu instid0(VALU_DEP_2) | instskip(SKIP_1) | instid1(VALU_DEP_3)
	v_lshlrev_b32_e32 v14, 20, v14
	v_lshl_add_u32 v12, v12, 23, 0x3c000000
	v_and_b32_e32 v11, 0x80000000, v11
	s_delay_alu instid0(VALU_DEP_1)
	v_or3_b32 v12, v14, v11, v12
.LBB379_450:                            ;   in Loop: Header=BB379_377 Depth=1
	s_or_b32 exec_lo, exec_lo, s20
.LBB379_451:                            ;   in Loop: Header=BB379_377 Depth=1
	s_delay_alu instid0(SALU_CYCLE_1)
	s_or_b32 exec_lo, exec_lo, s17
.LBB379_452:                            ;   in Loop: Header=BB379_377 Depth=1
	s_delay_alu instid0(SALU_CYCLE_1) | instskip(NEXT) | instid1(VALU_DEP_1)
	s_or_b32 exec_lo, exec_lo, s1
	v_mul_f32_e32 v11, s11, v12
                                        ; implicit-def: $vgpr36
	s_delay_alu instid0(VALU_DEP_1) | instskip(NEXT) | instid1(VALU_DEP_1)
	v_and_b32_e32 v12, 0x7f800000, v11
	v_cmp_ne_u32_e64 s0, 0x7f800000, v12
	s_delay_alu instid0(VALU_DEP_1) | instskip(NEXT) | instid1(SALU_CYCLE_1)
	s_and_saveexec_b32 s1, s0
	s_xor_b32 s0, exec_lo, s1
; %bb.453:                              ;   in Loop: Header=BB379_377 Depth=1
	v_bfe_u32 v12, v11, 16, 1
	s_delay_alu instid0(VALU_DEP_1)
	v_add3_u32 v36, v11, v12, 0x7fff
                                        ; implicit-def: $vgpr11
; %bb.454:                              ;   in Loop: Header=BB379_377 Depth=1
	s_and_not1_saveexec_b32 s1, s0
; %bb.455:                              ;   in Loop: Header=BB379_377 Depth=1
	v_and_b32_e32 v12, 0xffff, v11
	v_or_b32_e32 v14, 0x10000, v11
	s_delay_alu instid0(VALU_DEP_2) | instskip(NEXT) | instid1(VALU_DEP_1)
	v_cmp_eq_u32_e64 s0, 0, v12
	v_cndmask_b32_e64 v36, v14, v11, s0
; %bb.456:                              ;   in Loop: Header=BB379_377 Depth=1
	s_or_b32 exec_lo, exec_lo, s1
	v_dual_mov_b32 v11, 0 :: v_dual_and_b32 v12, 0xff, v10
	v_mov_b32_e32 v14, v10
	s_mov_b32 s1, exec_lo
	s_delay_alu instid0(VALU_DEP_2)
	v_cmpx_ne_u16_e32 0, v12
	s_cbranch_execz .LBB379_462
; %bb.457:                              ;   in Loop: Header=BB379_377 Depth=1
	v_bfrev_b32_e32 v11, 1
	s_mov_b32 s17, exec_lo
	v_cmpx_ne_u16_e32 0x80, v12
	s_cbranch_execz .LBB379_461
; %bb.458:                              ;   in Loop: Header=BB379_377 Depth=1
	v_and_b32_e32 v12, 0x7f, v10
	v_mov_b32_e32 v11, 0x7f800001
	s_mov_b32 s20, exec_lo
	s_delay_alu instid0(VALU_DEP_2)
	v_cmpx_ne_u32_e32 0x7f, v12
	s_cbranch_execz .LBB379_460
; %bb.459:                              ;   in Loop: Header=BB379_377 Depth=1
	v_and_b32_e32 v11, 7, v10
	v_lshrrev_b32_e32 v37, 3, v12
	v_cmp_gt_u32_e64 s0, 8, v12
	s_delay_alu instid0(VALU_DEP_3) | instskip(NEXT) | instid1(VALU_DEP_1)
	v_clz_i32_u32_e32 v11, v11
	v_min_u32_e32 v11, 32, v11
	s_delay_alu instid0(VALU_DEP_1) | instskip(SKIP_1) | instid1(VALU_DEP_1)
	v_subrev_nc_u32_e32 v38, 28, v11
	v_sub_nc_u32_e32 v11, 29, v11
	v_cndmask_b32_e64 v37, v37, v11, s0
	s_delay_alu instid0(VALU_DEP_3) | instskip(NEXT) | instid1(VALU_DEP_2)
	v_cndmask_b32_e64 v11, 0, v38, s0
	v_lshl_add_u32 v37, v37, 23, 0x3c000000
	s_delay_alu instid0(VALU_DEP_2) | instskip(SKIP_1) | instid1(VALU_DEP_2)
	v_lshlrev_b64 v[11:12], v11, v[14:15]
	v_lshlrev_b32_e32 v12, 24, v14
	v_lshlrev_b32_e32 v11, 20, v11
	s_delay_alu instid0(VALU_DEP_2) | instskip(NEXT) | instid1(VALU_DEP_2)
	v_and_b32_e32 v12, 0x80000000, v12
	v_and_b32_e32 v11, 0x700000, v11
	s_delay_alu instid0(VALU_DEP_1)
	v_or3_b32 v11, v11, v12, v37
.LBB379_460:                            ;   in Loop: Header=BB379_377 Depth=1
	s_or_b32 exec_lo, exec_lo, s20
.LBB379_461:                            ;   in Loop: Header=BB379_377 Depth=1
	s_delay_alu instid0(SALU_CYCLE_1)
	s_or_b32 exec_lo, exec_lo, s17
.LBB379_462:                            ;   in Loop: Header=BB379_377 Depth=1
	s_delay_alu instid0(SALU_CYCLE_1) | instskip(NEXT) | instid1(VALU_DEP_1)
	s_or_b32 exec_lo, exec_lo, s1
	v_mul_f32_e32 v11, s11, v11
                                        ; implicit-def: $vgpr37
	s_delay_alu instid0(VALU_DEP_1) | instskip(NEXT) | instid1(VALU_DEP_1)
	v_and_b32_e32 v12, 0x7f800000, v11
	v_cmp_ne_u32_e64 s0, 0x7f800000, v12
	s_delay_alu instid0(VALU_DEP_1) | instskip(NEXT) | instid1(SALU_CYCLE_1)
	s_and_saveexec_b32 s1, s0
	s_xor_b32 s0, exec_lo, s1
; %bb.463:                              ;   in Loop: Header=BB379_377 Depth=1
	v_bfe_u32 v12, v11, 16, 1
	s_delay_alu instid0(VALU_DEP_1)
	v_add3_u32 v37, v11, v12, 0x7fff
                                        ; implicit-def: $vgpr11
; %bb.464:                              ;   in Loop: Header=BB379_377 Depth=1
	s_and_not1_saveexec_b32 s1, s0
; %bb.465:                              ;   in Loop: Header=BB379_377 Depth=1
	v_and_b32_e32 v12, 0xffff, v11
	v_or_b32_e32 v37, 0x10000, v11
	s_delay_alu instid0(VALU_DEP_2) | instskip(NEXT) | instid1(VALU_DEP_1)
	v_cmp_eq_u32_e64 s0, 0, v12
	v_cndmask_b32_e64 v37, v37, v11, s0
; %bb.466:                              ;   in Loop: Header=BB379_377 Depth=1
	s_or_b32 exec_lo, exec_lo, s1
	v_lshrrev_b16 v12, 8, v14
	v_mov_b32_e32 v11, 0
	s_mov_b32 s1, exec_lo
	s_delay_alu instid0(VALU_DEP_2)
	v_cmpx_ne_u16_e32 0, v12
	s_cbranch_execz .LBB379_474
; %bb.467:                              ;   in Loop: Header=BB379_377 Depth=1
	v_bfrev_b32_e32 v11, 1
	s_mov_b32 s17, exec_lo
	v_cmpx_ne_u16_e32 0x80, v12
	s_cbranch_execz .LBB379_473
; %bb.468:                              ;   in Loop: Header=BB379_377 Depth=1
	v_and_b32_e32 v12, 0xffff, v12
	v_mov_b32_e32 v11, 0x7f800001
	s_mov_b32 s20, exec_lo
	s_delay_alu instid0(VALU_DEP_2) | instskip(NEXT) | instid1(VALU_DEP_1)
	v_and_b32_e32 v39, 0x7f, v12
	v_cmpx_ne_u32_e32 0x7f, v39
	s_cbranch_execz .LBB379_472
; %bb.469:                              ;   in Loop: Header=BB379_377 Depth=1
	v_dual_mov_b32 v12, v15 :: v_dual_and_b32 v11, 7, v12
	v_lshrrev_b32_e32 v38, 3, v39
	s_mov_b32 s21, exec_lo
	v_cmpx_gt_u32_e32 8, v39
; %bb.470:                              ;   in Loop: Header=BB379_377 Depth=1
	s_delay_alu instid0(VALU_DEP_3) | instskip(NEXT) | instid1(VALU_DEP_1)
	v_clz_i32_u32_e32 v38, v11
	v_min_u32_e32 v38, 32, v38
	s_delay_alu instid0(VALU_DEP_1) | instskip(SKIP_1) | instid1(VALU_DEP_2)
	v_subrev_nc_u32_e32 v39, 28, v38
	v_sub_nc_u32_e32 v38, 29, v38
	v_lshlrev_b64 v[11:12], v39, v[11:12]
	s_delay_alu instid0(VALU_DEP_1)
	v_and_b32_e32 v11, 7, v11
; %bb.471:                              ;   in Loop: Header=BB379_377 Depth=1
	s_or_b32 exec_lo, exec_lo, s21
	v_lshlrev_b32_e32 v12, 16, v14
	s_delay_alu instid0(VALU_DEP_2) | instskip(SKIP_1) | instid1(VALU_DEP_3)
	v_lshlrev_b32_e32 v11, 20, v11
	v_lshl_add_u32 v14, v38, 23, 0x3c000000
	v_and_b32_e32 v12, 0x80000000, v12
	s_delay_alu instid0(VALU_DEP_1)
	v_or3_b32 v11, v11, v12, v14
.LBB379_472:                            ;   in Loop: Header=BB379_377 Depth=1
	s_or_b32 exec_lo, exec_lo, s20
.LBB379_473:                            ;   in Loop: Header=BB379_377 Depth=1
	s_delay_alu instid0(SALU_CYCLE_1)
	s_or_b32 exec_lo, exec_lo, s17
.LBB379_474:                            ;   in Loop: Header=BB379_377 Depth=1
	s_delay_alu instid0(SALU_CYCLE_1) | instskip(NEXT) | instid1(VALU_DEP_1)
	s_or_b32 exec_lo, exec_lo, s1
	v_mul_f32_e32 v12, s11, v11
	s_delay_alu instid0(VALU_DEP_1) | instskip(NEXT) | instid1(VALU_DEP_1)
	v_and_b32_e32 v11, 0x7f800000, v12
	v_cmp_ne_u32_e64 s0, 0x7f800000, v11
                                        ; implicit-def: $vgpr11
	s_delay_alu instid0(VALU_DEP_1) | instskip(NEXT) | instid1(SALU_CYCLE_1)
	s_and_saveexec_b32 s1, s0
	s_xor_b32 s0, exec_lo, s1
; %bb.475:                              ;   in Loop: Header=BB379_377 Depth=1
	v_bfe_u32 v11, v12, 16, 1
	s_delay_alu instid0(VALU_DEP_1)
	v_add3_u32 v11, v12, v11, 0x7fff
                                        ; implicit-def: $vgpr12
; %bb.476:                              ;   in Loop: Header=BB379_377 Depth=1
	s_and_not1_saveexec_b32 s1, s0
; %bb.477:                              ;   in Loop: Header=BB379_377 Depth=1
	v_and_b32_e32 v11, 0xffff, v12
	v_or_b32_e32 v14, 0x10000, v12
	s_delay_alu instid0(VALU_DEP_2) | instskip(NEXT) | instid1(VALU_DEP_1)
	v_cmp_eq_u32_e64 s0, 0, v11
	v_cndmask_b32_e64 v11, v14, v12, s0
; %bb.478:                              ;   in Loop: Header=BB379_377 Depth=1
	s_or_b32 exec_lo, exec_lo, s1
	v_lshrrev_b32_e32 v12, 16, v10
	v_mov_b32_e32 v14, 0
	s_mov_b32 s1, exec_lo
	s_delay_alu instid0(VALU_DEP_2) | instskip(NEXT) | instid1(VALU_DEP_1)
	v_and_b32_e32 v38, 0xff, v12
	v_cmpx_ne_u16_e32 0, v38
	s_cbranch_execz .LBB379_486
; %bb.479:                              ;   in Loop: Header=BB379_377 Depth=1
	v_bfrev_b32_e32 v14, 1
	s_mov_b32 s17, exec_lo
	v_cmpx_ne_u16_e32 0x80, v38
	s_cbranch_execz .LBB379_485
; %bb.480:                              ;   in Loop: Header=BB379_377 Depth=1
	v_bfe_u32 v39, v10, 16, 7
	v_mov_b32_e32 v14, 0x7f800001
	s_mov_b32 s20, exec_lo
	s_delay_alu instid0(VALU_DEP_2)
	v_cmpx_ne_u32_e32 0x7f, v39
	s_cbranch_execz .LBB379_484
; %bb.481:                              ;   in Loop: Header=BB379_377 Depth=1
	v_and_b32_e32 v14, 7, v12
	v_lshrrev_b32_e32 v38, 3, v39
	s_mov_b32 s21, exec_lo
	v_cmpx_gt_u32_e32 8, v39
; %bb.482:                              ;   in Loop: Header=BB379_377 Depth=1
	s_delay_alu instid0(VALU_DEP_3) | instskip(NEXT) | instid1(VALU_DEP_1)
	v_clz_i32_u32_e32 v38, v14
	v_min_u32_e32 v38, 32, v38
	s_delay_alu instid0(VALU_DEP_1) | instskip(SKIP_1) | instid1(VALU_DEP_2)
	v_subrev_nc_u32_e32 v39, 28, v38
	v_sub_nc_u32_e32 v38, 29, v38
	v_lshlrev_b64 v[39:40], v39, v[14:15]
	s_delay_alu instid0(VALU_DEP_1)
	v_and_b32_e32 v14, 7, v39
; %bb.483:                              ;   in Loop: Header=BB379_377 Depth=1
	s_or_b32 exec_lo, exec_lo, s21
	v_lshlrev_b32_e32 v12, 24, v12
	s_delay_alu instid0(VALU_DEP_2) | instskip(SKIP_1) | instid1(VALU_DEP_3)
	v_lshlrev_b32_e32 v14, 20, v14
	v_lshl_add_u32 v38, v38, 23, 0x3c000000
	v_and_b32_e32 v12, 0x80000000, v12
	s_delay_alu instid0(VALU_DEP_1)
	v_or3_b32 v14, v14, v12, v38
.LBB379_484:                            ;   in Loop: Header=BB379_377 Depth=1
	s_or_b32 exec_lo, exec_lo, s20
.LBB379_485:                            ;   in Loop: Header=BB379_377 Depth=1
	s_delay_alu instid0(SALU_CYCLE_1)
	s_or_b32 exec_lo, exec_lo, s17
.LBB379_486:                            ;   in Loop: Header=BB379_377 Depth=1
	s_delay_alu instid0(SALU_CYCLE_1) | instskip(NEXT) | instid1(VALU_DEP_1)
	s_or_b32 exec_lo, exec_lo, s1
	v_mul_f32_e32 v12, s11, v14
                                        ; implicit-def: $vgpr38
	s_delay_alu instid0(VALU_DEP_1) | instskip(NEXT) | instid1(VALU_DEP_1)
	v_and_b32_e32 v14, 0x7f800000, v12
	v_cmp_ne_u32_e64 s0, 0x7f800000, v14
	s_delay_alu instid0(VALU_DEP_1) | instskip(NEXT) | instid1(SALU_CYCLE_1)
	s_and_saveexec_b32 s1, s0
	s_xor_b32 s0, exec_lo, s1
; %bb.487:                              ;   in Loop: Header=BB379_377 Depth=1
	v_bfe_u32 v14, v12, 16, 1
	s_delay_alu instid0(VALU_DEP_1)
	v_add3_u32 v38, v12, v14, 0x7fff
                                        ; implicit-def: $vgpr12
; %bb.488:                              ;   in Loop: Header=BB379_377 Depth=1
	s_and_not1_saveexec_b32 s1, s0
; %bb.489:                              ;   in Loop: Header=BB379_377 Depth=1
	v_and_b32_e32 v14, 0xffff, v12
	v_or_b32_e32 v38, 0x10000, v12
	s_delay_alu instid0(VALU_DEP_2) | instskip(NEXT) | instid1(VALU_DEP_1)
	v_cmp_eq_u32_e64 s0, 0, v14
	v_cndmask_b32_e64 v38, v38, v12, s0
; %bb.490:                              ;   in Loop: Header=BB379_377 Depth=1
	s_or_b32 exec_lo, exec_lo, s1
	v_mov_b32_e32 v12, 0
	s_mov_b32 s1, exec_lo
	v_cmpx_lt_u64_e64 s[12:13], v[9:10]
	s_cbranch_execz .LBB379_498
; %bb.491:                              ;   in Loop: Header=BB379_377 Depth=1
	v_lshrrev_b32_e32 v9, 24, v10
	v_bfrev_b32_e32 v12, 1
	s_mov_b32 s17, exec_lo
	s_delay_alu instid0(VALU_DEP_2)
	v_cmpx_ne_u32_e32 0x80, v9
	s_cbranch_execz .LBB379_497
; %bb.492:                              ;   in Loop: Header=BB379_377 Depth=1
	v_bfe_u32 v39, v10, 24, 7
	v_mov_b32_e32 v12, 0x7f800001
	s_mov_b32 s20, exec_lo
	s_delay_alu instid0(VALU_DEP_2)
	v_cmpx_ne_u32_e32 0x7f, v39
	s_cbranch_execz .LBB379_496
; %bb.493:                              ;   in Loop: Header=BB379_377 Depth=1
	v_and_b32_e32 v14, 7, v9
	v_lshrrev_b32_e32 v10, 3, v39
	s_mov_b32 s21, exec_lo
	v_cmpx_gt_u32_e32 8, v39
; %bb.494:                              ;   in Loop: Header=BB379_377 Depth=1
	s_delay_alu instid0(VALU_DEP_3) | instskip(NEXT) | instid1(VALU_DEP_1)
	v_clz_i32_u32_e32 v10, v14
	v_min_u32_e32 v10, 32, v10
	s_delay_alu instid0(VALU_DEP_1) | instskip(SKIP_1) | instid1(VALU_DEP_2)
	v_subrev_nc_u32_e32 v12, 28, v10
	v_sub_nc_u32_e32 v10, 29, v10
	v_lshlrev_b64 v[39:40], v12, v[14:15]
	s_delay_alu instid0(VALU_DEP_1)
	v_and_b32_e32 v14, 7, v39
; %bb.495:                              ;   in Loop: Header=BB379_377 Depth=1
	s_or_b32 exec_lo, exec_lo, s21
	v_lshlrev_b32_e32 v9, 24, v9
	s_delay_alu instid0(VALU_DEP_2) | instskip(SKIP_1) | instid1(VALU_DEP_3)
	v_lshlrev_b32_e32 v12, 20, v14
	v_lshl_add_u32 v10, v10, 23, 0x3c000000
	v_and_b32_e32 v9, 0x80000000, v9
	s_delay_alu instid0(VALU_DEP_1)
	v_or3_b32 v12, v12, v9, v10
.LBB379_496:                            ;   in Loop: Header=BB379_377 Depth=1
	s_or_b32 exec_lo, exec_lo, s20
.LBB379_497:                            ;   in Loop: Header=BB379_377 Depth=1
	s_delay_alu instid0(SALU_CYCLE_1)
	s_or_b32 exec_lo, exec_lo, s17
.LBB379_498:                            ;   in Loop: Header=BB379_377 Depth=1
	s_delay_alu instid0(SALU_CYCLE_1) | instskip(NEXT) | instid1(VALU_DEP_1)
	s_or_b32 exec_lo, exec_lo, s1
	v_mul_f32_e32 v10, s11, v12
	s_delay_alu instid0(VALU_DEP_1) | instskip(NEXT) | instid1(VALU_DEP_1)
	v_and_b32_e32 v9, 0x7f800000, v10
	v_cmp_ne_u32_e64 s0, 0x7f800000, v9
                                        ; implicit-def: $vgpr9
	s_delay_alu instid0(VALU_DEP_1) | instskip(NEXT) | instid1(SALU_CYCLE_1)
	s_and_saveexec_b32 s1, s0
	s_xor_b32 s0, exec_lo, s1
; %bb.499:                              ;   in Loop: Header=BB379_377 Depth=1
	v_bfe_u32 v9, v10, 16, 1
	s_delay_alu instid0(VALU_DEP_1)
	v_add3_u32 v9, v10, v9, 0x7fff
                                        ; implicit-def: $vgpr10
; %bb.500:                              ;   in Loop: Header=BB379_377 Depth=1
	s_and_not1_saveexec_b32 s1, s0
; %bb.501:                              ;   in Loop: Header=BB379_377 Depth=1
	v_and_b32_e32 v9, 0xffff, v10
	v_or_b32_e32 v12, 0x10000, v10
	s_delay_alu instid0(VALU_DEP_2) | instskip(NEXT) | instid1(VALU_DEP_1)
	v_cmp_eq_u32_e64 s0, 0, v9
	v_cndmask_b32_e64 v9, v12, v10, s0
; %bb.502:                              ;   in Loop: Header=BB379_377 Depth=1
	s_or_b32 exec_lo, exec_lo, s1
	v_cmp_eq_u32_e64 s0, s18, v13
	v_lshrrev_b32_e32 v11, 16, v11
	v_lshrrev_b32_e32 v12, 16, v37
	;; [unrolled: 1-line block ×8, first 2 shown]
	s_and_saveexec_b32 s17, s0
	s_cbranch_execz .LBB379_504
; %bb.503:                              ;   in Loop: Header=BB379_377 Depth=1
	v_add_nc_u32_e32 v36, 1, v26
	v_cmp_gt_i32_e64 s1, s33, v26
	v_add_nc_u32_e32 v37, 2, v26
	v_add_nc_u32_e32 v38, 3, v26
	s_delay_alu instid0(VALU_DEP_3) | instskip(SKIP_2) | instid1(VALU_DEP_2)
	v_cndmask_b32_e64 v33, 0, v33, s1
	v_cmp_gt_i32_e64 s1, s33, v36
	v_add_nc_u32_e32 v36, 4, v26
	v_cndmask_b32_e64 v34, 0, v34, s1
	v_cmp_gt_i32_e64 s1, s33, v37
	v_add_nc_u32_e32 v37, 5, v26
	s_delay_alu instid0(VALU_DEP_2) | instskip(SKIP_2) | instid1(VALU_DEP_2)
	v_cndmask_b32_e64 v35, 0, v35, s1
	v_cmp_gt_i32_e64 s1, s33, v38
	v_add_nc_u32_e32 v38, 6, v26
	v_cndmask_b32_e64 v14, 0, v14, s1
	v_cmp_gt_i32_e64 s1, s33, v36
	v_add_nc_u32_e32 v36, 7, v26
	s_delay_alu instid0(VALU_DEP_2) | instskip(SKIP_1) | instid1(VALU_DEP_1)
	v_cndmask_b32_e64 v12, 0, v12, s1
	v_cmp_gt_i32_e64 s1, s33, v37
	v_cndmask_b32_e64 v11, 0, v11, s1
	v_cmp_gt_i32_e64 s1, s33, v38
	s_delay_alu instid0(VALU_DEP_1) | instskip(SKIP_1) | instid1(VALU_DEP_1)
	v_cndmask_b32_e64 v10, 0, v10, s1
	v_cmp_gt_i32_e64 s1, s33, v36
	v_cndmask_b32_e64 v9, 0, v9, s1
.LBB379_504:                            ;   in Loop: Header=BB379_377 Depth=1
	s_or_b32 exec_lo, exec_lo, s17
	v_and_b32_e32 v23, 0xffff0000, v23
	v_lshlrev_b32_e32 v33, 16, v33
	s_delay_alu instid0(VALU_DEP_1) | instskip(NEXT) | instid1(VALU_DEP_1)
	v_mul_f32_e32 v36, v23, v33
	v_and_b32_e32 v33, 0x7f800000, v36
	s_delay_alu instid0(VALU_DEP_1) | instskip(NEXT) | instid1(VALU_DEP_1)
	v_cmp_ne_u32_e64 s1, 0x7f800000, v33
                                        ; implicit-def: $vgpr33
	s_and_saveexec_b32 s17, s1
	s_delay_alu instid0(SALU_CYCLE_1)
	s_xor_b32 s1, exec_lo, s17
; %bb.505:                              ;   in Loop: Header=BB379_377 Depth=1
	v_bfe_u32 v33, v36, 16, 1
	s_delay_alu instid0(VALU_DEP_1)
	v_add3_u32 v33, v36, v33, 0x7fff
                                        ; implicit-def: $vgpr36
; %bb.506:                              ;   in Loop: Header=BB379_377 Depth=1
	s_and_not1_saveexec_b32 s17, s1
; %bb.507:                              ;   in Loop: Header=BB379_377 Depth=1
	v_and_b32_e32 v33, 0xffff, v36
	v_or_b32_e32 v37, 0x10000, v36
	s_delay_alu instid0(VALU_DEP_2) | instskip(NEXT) | instid1(VALU_DEP_1)
	v_cmp_eq_u32_e64 s1, 0, v33
	v_cndmask_b32_e64 v33, v37, v36, s1
; %bb.508:                              ;   in Loop: Header=BB379_377 Depth=1
	s_or_b32 exec_lo, exec_lo, s17
	v_and_b32_e32 v24, 0xffff0000, v24
	v_lshlrev_b32_e32 v34, 16, v34
	s_delay_alu instid0(VALU_DEP_1) | instskip(NEXT) | instid1(VALU_DEP_1)
	v_mul_f32_e32 v36, v24, v34
	v_and_b32_e32 v34, 0x7f800000, v36
	s_delay_alu instid0(VALU_DEP_1) | instskip(NEXT) | instid1(VALU_DEP_1)
	v_cmp_ne_u32_e64 s1, 0x7f800000, v34
                                        ; implicit-def: $vgpr34
	s_and_saveexec_b32 s17, s1
	s_delay_alu instid0(SALU_CYCLE_1)
	s_xor_b32 s1, exec_lo, s17
; %bb.509:                              ;   in Loop: Header=BB379_377 Depth=1
	v_bfe_u32 v34, v36, 16, 1
	s_delay_alu instid0(VALU_DEP_1)
	v_add3_u32 v34, v36, v34, 0x7fff
                                        ; implicit-def: $vgpr36
; %bb.510:                              ;   in Loop: Header=BB379_377 Depth=1
	s_and_not1_saveexec_b32 s17, s1
; %bb.511:                              ;   in Loop: Header=BB379_377 Depth=1
	v_and_b32_e32 v34, 0xffff, v36
	v_or_b32_e32 v37, 0x10000, v36
	s_delay_alu instid0(VALU_DEP_2) | instskip(NEXT) | instid1(VALU_DEP_1)
	v_cmp_eq_u32_e64 s1, 0, v34
	v_cndmask_b32_e64 v34, v37, v36, s1
; %bb.512:                              ;   in Loop: Header=BB379_377 Depth=1
	s_or_b32 exec_lo, exec_lo, s17
	v_and_b32_e32 v27, 0xffff0000, v27
	v_lshlrev_b32_e32 v35, 16, v35
	s_delay_alu instid0(VALU_DEP_1) | instskip(NEXT) | instid1(VALU_DEP_1)
	v_mul_f32_e32 v36, v27, v35
	v_and_b32_e32 v35, 0x7f800000, v36
	s_delay_alu instid0(VALU_DEP_1) | instskip(NEXT) | instid1(VALU_DEP_1)
	v_cmp_ne_u32_e64 s1, 0x7f800000, v35
                                        ; implicit-def: $vgpr35
	s_and_saveexec_b32 s17, s1
	s_delay_alu instid0(SALU_CYCLE_1)
	s_xor_b32 s1, exec_lo, s17
; %bb.513:                              ;   in Loop: Header=BB379_377 Depth=1
	v_bfe_u32 v35, v36, 16, 1
	s_delay_alu instid0(VALU_DEP_1)
	v_add3_u32 v35, v36, v35, 0x7fff
                                        ; implicit-def: $vgpr36
; %bb.514:                              ;   in Loop: Header=BB379_377 Depth=1
	s_and_not1_saveexec_b32 s17, s1
; %bb.515:                              ;   in Loop: Header=BB379_377 Depth=1
	v_and_b32_e32 v35, 0xffff, v36
	v_or_b32_e32 v37, 0x10000, v36
	s_delay_alu instid0(VALU_DEP_2) | instskip(NEXT) | instid1(VALU_DEP_1)
	v_cmp_eq_u32_e64 s1, 0, v35
	v_cndmask_b32_e64 v35, v37, v36, s1
; %bb.516:                              ;   in Loop: Header=BB379_377 Depth=1
	s_or_b32 exec_lo, exec_lo, s17
	v_and_b32_e32 v28, 0xffff0000, v28
	v_lshlrev_b32_e32 v14, 16, v14
	s_delay_alu instid0(VALU_DEP_1) | instskip(NEXT) | instid1(VALU_DEP_1)
	v_mul_f32_e32 v14, v28, v14
	v_and_b32_e32 v36, 0x7f800000, v14
	s_delay_alu instid0(VALU_DEP_1) | instskip(NEXT) | instid1(VALU_DEP_1)
	v_cmp_ne_u32_e64 s1, 0x7f800000, v36
                                        ; implicit-def: $vgpr36
	s_and_saveexec_b32 s17, s1
	s_delay_alu instid0(SALU_CYCLE_1)
	s_xor_b32 s1, exec_lo, s17
; %bb.517:                              ;   in Loop: Header=BB379_377 Depth=1
	v_bfe_u32 v36, v14, 16, 1
	s_delay_alu instid0(VALU_DEP_1)
	v_add3_u32 v36, v14, v36, 0x7fff
                                        ; implicit-def: $vgpr14
; %bb.518:                              ;   in Loop: Header=BB379_377 Depth=1
	s_and_not1_saveexec_b32 s17, s1
; %bb.519:                              ;   in Loop: Header=BB379_377 Depth=1
	v_and_b32_e32 v36, 0xffff, v14
	v_or_b32_e32 v37, 0x10000, v14
	s_delay_alu instid0(VALU_DEP_2) | instskip(NEXT) | instid1(VALU_DEP_1)
	v_cmp_eq_u32_e64 s1, 0, v36
	v_cndmask_b32_e64 v36, v37, v14, s1
; %bb.520:                              ;   in Loop: Header=BB379_377 Depth=1
	s_or_b32 exec_lo, exec_lo, s17
	v_and_b32_e32 v29, 0xffff0000, v29
	v_lshlrev_b32_e32 v12, 16, v12
                                        ; implicit-def: $vgpr37
	s_delay_alu instid0(VALU_DEP_1) | instskip(NEXT) | instid1(VALU_DEP_1)
	v_mul_f32_e32 v12, v29, v12
	v_and_b32_e32 v14, 0x7f800000, v12
	s_delay_alu instid0(VALU_DEP_1) | instskip(NEXT) | instid1(VALU_DEP_1)
	v_cmp_ne_u32_e64 s1, 0x7f800000, v14
	s_and_saveexec_b32 s17, s1
	s_delay_alu instid0(SALU_CYCLE_1)
	s_xor_b32 s1, exec_lo, s17
; %bb.521:                              ;   in Loop: Header=BB379_377 Depth=1
	v_bfe_u32 v14, v12, 16, 1
	s_delay_alu instid0(VALU_DEP_1)
	v_add3_u32 v37, v12, v14, 0x7fff
                                        ; implicit-def: $vgpr12
; %bb.522:                              ;   in Loop: Header=BB379_377 Depth=1
	s_and_not1_saveexec_b32 s17, s1
; %bb.523:                              ;   in Loop: Header=BB379_377 Depth=1
	v_and_b32_e32 v14, 0xffff, v12
	v_or_b32_e32 v37, 0x10000, v12
	s_delay_alu instid0(VALU_DEP_2) | instskip(NEXT) | instid1(VALU_DEP_1)
	v_cmp_eq_u32_e64 s1, 0, v14
	v_cndmask_b32_e64 v37, v37, v12, s1
; %bb.524:                              ;   in Loop: Header=BB379_377 Depth=1
	s_or_b32 exec_lo, exec_lo, s17
	v_and_b32_e32 v30, 0xffff0000, v30
	v_lshlrev_b32_e32 v11, 16, v11
                                        ; implicit-def: $vgpr38
	s_delay_alu instid0(VALU_DEP_1) | instskip(NEXT) | instid1(VALU_DEP_1)
	v_mul_f32_e32 v11, v30, v11
	v_and_b32_e32 v12, 0x7f800000, v11
	s_delay_alu instid0(VALU_DEP_1) | instskip(NEXT) | instid1(VALU_DEP_1)
	v_cmp_ne_u32_e64 s1, 0x7f800000, v12
	s_and_saveexec_b32 s17, s1
	s_delay_alu instid0(SALU_CYCLE_1)
	s_xor_b32 s1, exec_lo, s17
; %bb.525:                              ;   in Loop: Header=BB379_377 Depth=1
	v_bfe_u32 v12, v11, 16, 1
	s_delay_alu instid0(VALU_DEP_1)
	v_add3_u32 v38, v11, v12, 0x7fff
                                        ; implicit-def: $vgpr11
; %bb.526:                              ;   in Loop: Header=BB379_377 Depth=1
	s_and_not1_saveexec_b32 s17, s1
; %bb.527:                              ;   in Loop: Header=BB379_377 Depth=1
	v_and_b32_e32 v12, 0xffff, v11
	v_or_b32_e32 v14, 0x10000, v11
	s_delay_alu instid0(VALU_DEP_2) | instskip(NEXT) | instid1(VALU_DEP_1)
	v_cmp_eq_u32_e64 s1, 0, v12
	v_cndmask_b32_e64 v38, v14, v11, s1
; %bb.528:                              ;   in Loop: Header=BB379_377 Depth=1
	s_or_b32 exec_lo, exec_lo, s17
	v_and_b32_e32 v31, 0xffff0000, v31
	v_lshlrev_b32_e32 v10, 16, v10
                                        ; implicit-def: $vgpr39
	s_delay_alu instid0(VALU_DEP_1) | instskip(NEXT) | instid1(VALU_DEP_1)
	v_mul_f32_e32 v10, v31, v10
	v_and_b32_e32 v11, 0x7f800000, v10
	s_delay_alu instid0(VALU_DEP_1) | instskip(NEXT) | instid1(VALU_DEP_1)
	v_cmp_ne_u32_e64 s1, 0x7f800000, v11
	s_and_saveexec_b32 s17, s1
	s_delay_alu instid0(SALU_CYCLE_1)
	s_xor_b32 s1, exec_lo, s17
; %bb.529:                              ;   in Loop: Header=BB379_377 Depth=1
	v_bfe_u32 v11, v10, 16, 1
	s_delay_alu instid0(VALU_DEP_1)
	v_add3_u32 v39, v10, v11, 0x7fff
                                        ; implicit-def: $vgpr10
; %bb.530:                              ;   in Loop: Header=BB379_377 Depth=1
	s_and_not1_saveexec_b32 s17, s1
; %bb.531:                              ;   in Loop: Header=BB379_377 Depth=1
	v_and_b32_e32 v11, 0xffff, v10
	v_or_b32_e32 v12, 0x10000, v10
	s_delay_alu instid0(VALU_DEP_2) | instskip(NEXT) | instid1(VALU_DEP_1)
	v_cmp_eq_u32_e64 s1, 0, v11
	v_cndmask_b32_e64 v39, v12, v10, s1
; %bb.532:                              ;   in Loop: Header=BB379_377 Depth=1
	s_or_b32 exec_lo, exec_lo, s17
	v_and_b32_e32 v32, 0xffff0000, v32
	v_lshlrev_b32_e32 v9, 16, v9
                                        ; implicit-def: $vgpr40
	s_delay_alu instid0(VALU_DEP_1) | instskip(NEXT) | instid1(VALU_DEP_1)
	v_mul_f32_e32 v9, v32, v9
	v_and_b32_e32 v10, 0x7f800000, v9
	s_delay_alu instid0(VALU_DEP_1) | instskip(NEXT) | instid1(VALU_DEP_1)
	v_cmp_ne_u32_e64 s1, 0x7f800000, v10
	s_and_saveexec_b32 s17, s1
	s_delay_alu instid0(SALU_CYCLE_1)
	s_xor_b32 s1, exec_lo, s17
; %bb.533:                              ;   in Loop: Header=BB379_377 Depth=1
	v_bfe_u32 v10, v9, 16, 1
	s_delay_alu instid0(VALU_DEP_1)
	v_add3_u32 v40, v9, v10, 0x7fff
                                        ; implicit-def: $vgpr9
; %bb.534:                              ;   in Loop: Header=BB379_377 Depth=1
	s_and_not1_saveexec_b32 s17, s1
; %bb.535:                              ;   in Loop: Header=BB379_377 Depth=1
	v_and_b32_e32 v10, 0xffff, v9
	v_or_b32_e32 v11, 0x10000, v9
	s_delay_alu instid0(VALU_DEP_2) | instskip(NEXT) | instid1(VALU_DEP_1)
	v_cmp_eq_u32_e64 s1, 0, v10
	v_cndmask_b32_e64 v40, v11, v9, s1
; %bb.536:                              ;   in Loop: Header=BB379_377 Depth=1
	s_or_b32 exec_lo, exec_lo, s17
	global_load_b64 v[9:10], v[7:8], off offset:256
	s_mov_b32 s17, exec_lo
	s_waitcnt vmcnt(0)
	v_dual_mov_b32 v11, 0 :: v_dual_and_b32 v12, 0xff, v9
	s_delay_alu instid0(VALU_DEP_1)
	v_cmpx_ne_u16_e32 0, v12
	s_cbranch_execz .LBB379_542
; %bb.537:                              ;   in Loop: Header=BB379_377 Depth=1
	v_bfrev_b32_e32 v11, 1
	s_mov_b32 s20, exec_lo
	v_cmpx_ne_u16_e32 0x80, v12
	s_cbranch_execz .LBB379_541
; %bb.538:                              ;   in Loop: Header=BB379_377 Depth=1
	v_and_b32_e32 v12, 0x7f, v9
	v_mov_b32_e32 v11, 0x7f800001
	s_mov_b32 s21, exec_lo
	s_delay_alu instid0(VALU_DEP_2)
	v_cmpx_ne_u32_e32 0x7f, v12
	s_cbranch_execz .LBB379_540
; %bb.539:                              ;   in Loop: Header=BB379_377 Depth=1
	v_and_b32_e32 v11, 7, v9
	v_lshrrev_b32_e32 v14, 3, v12
	v_cmp_gt_u32_e64 s1, 8, v12
	s_delay_alu instid0(VALU_DEP_3) | instskip(NEXT) | instid1(VALU_DEP_1)
	v_clz_i32_u32_e32 v11, v11
	v_min_u32_e32 v11, 32, v11
	s_delay_alu instid0(VALU_DEP_1) | instskip(SKIP_1) | instid1(VALU_DEP_1)
	v_subrev_nc_u32_e32 v41, 28, v11
	v_sub_nc_u32_e32 v11, 29, v11
	v_cndmask_b32_e64 v14, v14, v11, s1
	s_delay_alu instid0(VALU_DEP_3) | instskip(NEXT) | instid1(VALU_DEP_2)
	v_cndmask_b32_e64 v11, 0, v41, s1
	v_lshl_add_u32 v14, v14, 23, 0x3c000000
	s_delay_alu instid0(VALU_DEP_2) | instskip(SKIP_1) | instid1(VALU_DEP_2)
	v_lshlrev_b64 v[11:12], v11, v[9:10]
	v_lshlrev_b32_e32 v12, 24, v9
	v_lshlrev_b32_e32 v11, 20, v11
	s_delay_alu instid0(VALU_DEP_2) | instskip(NEXT) | instid1(VALU_DEP_2)
	v_and_b32_e32 v12, 0x80000000, v12
	v_and_b32_e32 v11, 0x700000, v11
	s_delay_alu instid0(VALU_DEP_1)
	v_or3_b32 v11, v11, v12, v14
.LBB379_540:                            ;   in Loop: Header=BB379_377 Depth=1
	s_or_b32 exec_lo, exec_lo, s21
.LBB379_541:                            ;   in Loop: Header=BB379_377 Depth=1
	s_delay_alu instid0(SALU_CYCLE_1)
	s_or_b32 exec_lo, exec_lo, s20
.LBB379_542:                            ;   in Loop: Header=BB379_377 Depth=1
	s_delay_alu instid0(SALU_CYCLE_1) | instskip(NEXT) | instid1(VALU_DEP_1)
	s_or_b32 exec_lo, exec_lo, s17
	v_mul_f32_e32 v11, s11, v11
                                        ; implicit-def: $vgpr41
	s_delay_alu instid0(VALU_DEP_1) | instskip(NEXT) | instid1(VALU_DEP_1)
	v_and_b32_e32 v12, 0x7f800000, v11
	v_cmp_ne_u32_e64 s1, 0x7f800000, v12
	s_delay_alu instid0(VALU_DEP_1) | instskip(NEXT) | instid1(SALU_CYCLE_1)
	s_and_saveexec_b32 s17, s1
	s_xor_b32 s1, exec_lo, s17
; %bb.543:                              ;   in Loop: Header=BB379_377 Depth=1
	v_bfe_u32 v12, v11, 16, 1
	s_delay_alu instid0(VALU_DEP_1)
	v_add3_u32 v41, v11, v12, 0x7fff
                                        ; implicit-def: $vgpr11
; %bb.544:                              ;   in Loop: Header=BB379_377 Depth=1
	s_and_not1_saveexec_b32 s17, s1
; %bb.545:                              ;   in Loop: Header=BB379_377 Depth=1
	v_and_b32_e32 v12, 0xffff, v11
	v_or_b32_e32 v14, 0x10000, v11
	s_delay_alu instid0(VALU_DEP_2) | instskip(NEXT) | instid1(VALU_DEP_1)
	v_cmp_eq_u32_e64 s1, 0, v12
	v_cndmask_b32_e64 v41, v14, v11, s1
; %bb.546:                              ;   in Loop: Header=BB379_377 Depth=1
	s_or_b32 exec_lo, exec_lo, s17
	v_lshrrev_b16 v12, 8, v9
	v_mov_b32_e32 v11, 0
	s_mov_b32 s17, exec_lo
	s_delay_alu instid0(VALU_DEP_2)
	v_cmpx_ne_u16_e32 0, v12
	s_cbranch_execz .LBB379_554
; %bb.547:                              ;   in Loop: Header=BB379_377 Depth=1
	v_bfrev_b32_e32 v11, 1
	s_mov_b32 s20, exec_lo
	v_cmpx_ne_u16_e32 0x80, v12
	s_cbranch_execz .LBB379_553
; %bb.548:                              ;   in Loop: Header=BB379_377 Depth=1
	v_and_b32_e32 v14, 0xffff, v12
	v_mov_b32_e32 v11, 0x7f800001
	s_mov_b32 s21, exec_lo
	s_delay_alu instid0(VALU_DEP_2) | instskip(NEXT) | instid1(VALU_DEP_1)
	v_and_b32_e32 v12, 0x7f, v14
	v_cmpx_ne_u32_e32 0x7f, v12
	s_cbranch_execz .LBB379_552
; %bb.549:                              ;   in Loop: Header=BB379_377 Depth=1
	v_and_b32_e32 v14, 7, v14
	v_lshrrev_b32_e32 v11, 3, v12
	s_mov_b32 s22, exec_lo
	v_cmpx_gt_u32_e32 8, v12
; %bb.550:                              ;   in Loop: Header=BB379_377 Depth=1
	s_delay_alu instid0(VALU_DEP_3) | instskip(NEXT) | instid1(VALU_DEP_1)
	v_clz_i32_u32_e32 v11, v14
	v_min_u32_e32 v11, 32, v11
	s_delay_alu instid0(VALU_DEP_1) | instskip(SKIP_1) | instid1(VALU_DEP_2)
	v_subrev_nc_u32_e32 v12, 28, v11
	v_sub_nc_u32_e32 v11, 29, v11
	v_lshlrev_b64 v[42:43], v12, v[14:15]
	s_delay_alu instid0(VALU_DEP_1)
	v_and_b32_e32 v14, 7, v42
; %bb.551:                              ;   in Loop: Header=BB379_377 Depth=1
	s_or_b32 exec_lo, exec_lo, s22
	v_lshlrev_b32_e32 v12, 16, v9
	s_delay_alu instid0(VALU_DEP_2) | instskip(SKIP_1) | instid1(VALU_DEP_3)
	v_lshlrev_b32_e32 v14, 20, v14
	v_lshl_add_u32 v11, v11, 23, 0x3c000000
	v_and_b32_e32 v12, 0x80000000, v12
	s_delay_alu instid0(VALU_DEP_1)
	v_or3_b32 v11, v14, v12, v11
.LBB379_552:                            ;   in Loop: Header=BB379_377 Depth=1
	s_or_b32 exec_lo, exec_lo, s21
.LBB379_553:                            ;   in Loop: Header=BB379_377 Depth=1
	s_delay_alu instid0(SALU_CYCLE_1)
	s_or_b32 exec_lo, exec_lo, s20
.LBB379_554:                            ;   in Loop: Header=BB379_377 Depth=1
	s_delay_alu instid0(SALU_CYCLE_1) | instskip(NEXT) | instid1(VALU_DEP_1)
	s_or_b32 exec_lo, exec_lo, s17
	v_mul_f32_e32 v11, s11, v11
                                        ; implicit-def: $vgpr42
	s_delay_alu instid0(VALU_DEP_1) | instskip(NEXT) | instid1(VALU_DEP_1)
	v_and_b32_e32 v12, 0x7f800000, v11
	v_cmp_ne_u32_e64 s1, 0x7f800000, v12
	s_delay_alu instid0(VALU_DEP_1) | instskip(NEXT) | instid1(SALU_CYCLE_1)
	s_and_saveexec_b32 s17, s1
	s_xor_b32 s1, exec_lo, s17
; %bb.555:                              ;   in Loop: Header=BB379_377 Depth=1
	v_bfe_u32 v12, v11, 16, 1
	s_delay_alu instid0(VALU_DEP_1)
	v_add3_u32 v42, v11, v12, 0x7fff
                                        ; implicit-def: $vgpr11
; %bb.556:                              ;   in Loop: Header=BB379_377 Depth=1
	s_and_not1_saveexec_b32 s17, s1
; %bb.557:                              ;   in Loop: Header=BB379_377 Depth=1
	v_and_b32_e32 v12, 0xffff, v11
	v_or_b32_e32 v14, 0x10000, v11
	s_delay_alu instid0(VALU_DEP_2) | instskip(NEXT) | instid1(VALU_DEP_1)
	v_cmp_eq_u32_e64 s1, 0, v12
	v_cndmask_b32_e64 v42, v14, v11, s1
; %bb.558:                              ;   in Loop: Header=BB379_377 Depth=1
	s_or_b32 exec_lo, exec_lo, s17
	v_lshrrev_b32_e32 v11, 16, v9
	v_mov_b32_e32 v12, 0
	s_mov_b32 s17, exec_lo
	s_delay_alu instid0(VALU_DEP_2) | instskip(NEXT) | instid1(VALU_DEP_1)
	v_and_b32_e32 v14, 0xff, v11
	v_cmpx_ne_u16_e32 0, v14
	s_cbranch_execz .LBB379_566
; %bb.559:                              ;   in Loop: Header=BB379_377 Depth=1
	v_bfrev_b32_e32 v12, 1
	s_mov_b32 s20, exec_lo
	v_cmpx_ne_u16_e32 0x80, v14
	s_cbranch_execz .LBB379_565
; %bb.560:                              ;   in Loop: Header=BB379_377 Depth=1
	v_bfe_u32 v43, v9, 16, 7
	v_mov_b32_e32 v12, 0x7f800001
	s_mov_b32 s21, exec_lo
	s_delay_alu instid0(VALU_DEP_2)
	v_cmpx_ne_u32_e32 0x7f, v43
	s_cbranch_execz .LBB379_564
; %bb.561:                              ;   in Loop: Header=BB379_377 Depth=1
	v_and_b32_e32 v14, 7, v11
	v_lshrrev_b32_e32 v12, 3, v43
	s_mov_b32 s22, exec_lo
	v_cmpx_gt_u32_e32 8, v43
; %bb.562:                              ;   in Loop: Header=BB379_377 Depth=1
	s_delay_alu instid0(VALU_DEP_3) | instskip(NEXT) | instid1(VALU_DEP_1)
	v_clz_i32_u32_e32 v12, v14
	v_min_u32_e32 v12, 32, v12
	s_delay_alu instid0(VALU_DEP_1) | instskip(SKIP_1) | instid1(VALU_DEP_2)
	v_subrev_nc_u32_e32 v43, 28, v12
	v_sub_nc_u32_e32 v12, 29, v12
	v_lshlrev_b64 v[43:44], v43, v[14:15]
	s_delay_alu instid0(VALU_DEP_1)
	v_and_b32_e32 v14, 7, v43
; %bb.563:                              ;   in Loop: Header=BB379_377 Depth=1
	s_or_b32 exec_lo, exec_lo, s22
	v_lshlrev_b32_e32 v11, 24, v11
	s_delay_alu instid0(VALU_DEP_2) | instskip(SKIP_1) | instid1(VALU_DEP_3)
	v_lshlrev_b32_e32 v14, 20, v14
	v_lshl_add_u32 v12, v12, 23, 0x3c000000
	v_and_b32_e32 v11, 0x80000000, v11
	s_delay_alu instid0(VALU_DEP_1)
	v_or3_b32 v12, v14, v11, v12
.LBB379_564:                            ;   in Loop: Header=BB379_377 Depth=1
	s_or_b32 exec_lo, exec_lo, s21
.LBB379_565:                            ;   in Loop: Header=BB379_377 Depth=1
	s_delay_alu instid0(SALU_CYCLE_1)
	s_or_b32 exec_lo, exec_lo, s20
.LBB379_566:                            ;   in Loop: Header=BB379_377 Depth=1
	s_delay_alu instid0(SALU_CYCLE_1) | instskip(NEXT) | instid1(VALU_DEP_1)
	s_or_b32 exec_lo, exec_lo, s17
	v_mul_f32_e32 v11, s11, v12
                                        ; implicit-def: $vgpr43
	s_delay_alu instid0(VALU_DEP_1) | instskip(NEXT) | instid1(VALU_DEP_1)
	v_and_b32_e32 v12, 0x7f800000, v11
	v_cmp_ne_u32_e64 s1, 0x7f800000, v12
	s_delay_alu instid0(VALU_DEP_1) | instskip(NEXT) | instid1(SALU_CYCLE_1)
	s_and_saveexec_b32 s17, s1
	s_xor_b32 s1, exec_lo, s17
; %bb.567:                              ;   in Loop: Header=BB379_377 Depth=1
	v_bfe_u32 v12, v11, 16, 1
	s_delay_alu instid0(VALU_DEP_1)
	v_add3_u32 v43, v11, v12, 0x7fff
                                        ; implicit-def: $vgpr11
; %bb.568:                              ;   in Loop: Header=BB379_377 Depth=1
	s_and_not1_saveexec_b32 s17, s1
; %bb.569:                              ;   in Loop: Header=BB379_377 Depth=1
	v_and_b32_e32 v12, 0xffff, v11
	v_or_b32_e32 v14, 0x10000, v11
	s_delay_alu instid0(VALU_DEP_2) | instskip(NEXT) | instid1(VALU_DEP_1)
	v_cmp_eq_u32_e64 s1, 0, v12
	v_cndmask_b32_e64 v43, v14, v11, s1
; %bb.570:                              ;   in Loop: Header=BB379_377 Depth=1
	s_or_b32 exec_lo, exec_lo, s17
	v_mov_b32_e32 v12, 0
	s_mov_b32 s17, exec_lo
	v_cmpx_lt_u32_e32 0xffffff, v9
	s_cbranch_execz .LBB379_578
; %bb.571:                              ;   in Loop: Header=BB379_377 Depth=1
	v_lshrrev_b32_e32 v11, 24, v9
	v_bfrev_b32_e32 v12, 1
	s_mov_b32 s20, exec_lo
	s_delay_alu instid0(VALU_DEP_2)
	v_cmpx_ne_u32_e32 0x80, v11
	s_cbranch_execz .LBB379_577
; %bb.572:                              ;   in Loop: Header=BB379_377 Depth=1
	v_bfe_u32 v44, v9, 24, 7
	v_mov_b32_e32 v12, 0x7f800001
	s_mov_b32 s21, exec_lo
	s_delay_alu instid0(VALU_DEP_2)
	v_cmpx_ne_u32_e32 0x7f, v44
	s_cbranch_execz .LBB379_576
; %bb.573:                              ;   in Loop: Header=BB379_377 Depth=1
	v_and_b32_e32 v14, 7, v11
	v_lshrrev_b32_e32 v12, 3, v44
	s_mov_b32 s22, exec_lo
	v_cmpx_gt_u32_e32 8, v44
; %bb.574:                              ;   in Loop: Header=BB379_377 Depth=1
	s_delay_alu instid0(VALU_DEP_3) | instskip(NEXT) | instid1(VALU_DEP_1)
	v_clz_i32_u32_e32 v12, v14
	v_min_u32_e32 v12, 32, v12
	s_delay_alu instid0(VALU_DEP_1) | instskip(SKIP_1) | instid1(VALU_DEP_2)
	v_subrev_nc_u32_e32 v44, 28, v12
	v_sub_nc_u32_e32 v12, 29, v12
	v_lshlrev_b64 v[44:45], v44, v[14:15]
	s_delay_alu instid0(VALU_DEP_1)
	v_and_b32_e32 v14, 7, v44
; %bb.575:                              ;   in Loop: Header=BB379_377 Depth=1
	s_or_b32 exec_lo, exec_lo, s22
	v_lshlrev_b32_e32 v11, 24, v11
	s_delay_alu instid0(VALU_DEP_2) | instskip(SKIP_1) | instid1(VALU_DEP_3)
	v_lshlrev_b32_e32 v14, 20, v14
	v_lshl_add_u32 v12, v12, 23, 0x3c000000
	v_and_b32_e32 v11, 0x80000000, v11
	s_delay_alu instid0(VALU_DEP_1)
	v_or3_b32 v12, v14, v11, v12
.LBB379_576:                            ;   in Loop: Header=BB379_377 Depth=1
	s_or_b32 exec_lo, exec_lo, s21
.LBB379_577:                            ;   in Loop: Header=BB379_377 Depth=1
	s_delay_alu instid0(SALU_CYCLE_1)
	s_or_b32 exec_lo, exec_lo, s20
.LBB379_578:                            ;   in Loop: Header=BB379_377 Depth=1
	s_delay_alu instid0(SALU_CYCLE_1) | instskip(NEXT) | instid1(VALU_DEP_1)
	s_or_b32 exec_lo, exec_lo, s17
	v_mul_f32_e32 v11, s11, v12
                                        ; implicit-def: $vgpr44
	s_delay_alu instid0(VALU_DEP_1) | instskip(NEXT) | instid1(VALU_DEP_1)
	v_and_b32_e32 v12, 0x7f800000, v11
	v_cmp_ne_u32_e64 s1, 0x7f800000, v12
	s_delay_alu instid0(VALU_DEP_1) | instskip(NEXT) | instid1(SALU_CYCLE_1)
	s_and_saveexec_b32 s17, s1
	s_xor_b32 s1, exec_lo, s17
; %bb.579:                              ;   in Loop: Header=BB379_377 Depth=1
	v_bfe_u32 v12, v11, 16, 1
	s_delay_alu instid0(VALU_DEP_1)
	v_add3_u32 v44, v11, v12, 0x7fff
                                        ; implicit-def: $vgpr11
; %bb.580:                              ;   in Loop: Header=BB379_377 Depth=1
	s_and_not1_saveexec_b32 s17, s1
; %bb.581:                              ;   in Loop: Header=BB379_377 Depth=1
	v_and_b32_e32 v12, 0xffff, v11
	v_or_b32_e32 v14, 0x10000, v11
	s_delay_alu instid0(VALU_DEP_2) | instskip(NEXT) | instid1(VALU_DEP_1)
	v_cmp_eq_u32_e64 s1, 0, v12
	v_cndmask_b32_e64 v44, v14, v11, s1
; %bb.582:                              ;   in Loop: Header=BB379_377 Depth=1
	s_or_b32 exec_lo, exec_lo, s17
	v_dual_mov_b32 v11, 0 :: v_dual_and_b32 v12, 0xff, v10
	v_mov_b32_e32 v14, v10
	s_mov_b32 s17, exec_lo
	s_delay_alu instid0(VALU_DEP_2)
	v_cmpx_ne_u16_e32 0, v12
	s_cbranch_execz .LBB379_588
; %bb.583:                              ;   in Loop: Header=BB379_377 Depth=1
	v_bfrev_b32_e32 v11, 1
	s_mov_b32 s20, exec_lo
	v_cmpx_ne_u16_e32 0x80, v12
	s_cbranch_execz .LBB379_587
; %bb.584:                              ;   in Loop: Header=BB379_377 Depth=1
	v_and_b32_e32 v12, 0x7f, v10
	v_mov_b32_e32 v11, 0x7f800001
	s_mov_b32 s21, exec_lo
	s_delay_alu instid0(VALU_DEP_2)
	v_cmpx_ne_u32_e32 0x7f, v12
	s_cbranch_execz .LBB379_586
; %bb.585:                              ;   in Loop: Header=BB379_377 Depth=1
	v_and_b32_e32 v11, 7, v10
	v_lshrrev_b32_e32 v45, 3, v12
	v_cmp_gt_u32_e64 s1, 8, v12
	s_delay_alu instid0(VALU_DEP_3) | instskip(NEXT) | instid1(VALU_DEP_1)
	v_clz_i32_u32_e32 v11, v11
	v_min_u32_e32 v11, 32, v11
	s_delay_alu instid0(VALU_DEP_1) | instskip(SKIP_1) | instid1(VALU_DEP_1)
	v_subrev_nc_u32_e32 v46, 28, v11
	v_sub_nc_u32_e32 v11, 29, v11
	v_cndmask_b32_e64 v45, v45, v11, s1
	s_delay_alu instid0(VALU_DEP_3) | instskip(NEXT) | instid1(VALU_DEP_2)
	v_cndmask_b32_e64 v11, 0, v46, s1
	v_lshl_add_u32 v45, v45, 23, 0x3c000000
	s_delay_alu instid0(VALU_DEP_2) | instskip(SKIP_1) | instid1(VALU_DEP_2)
	v_lshlrev_b64 v[11:12], v11, v[14:15]
	v_lshlrev_b32_e32 v12, 24, v14
	v_lshlrev_b32_e32 v11, 20, v11
	s_delay_alu instid0(VALU_DEP_2) | instskip(NEXT) | instid1(VALU_DEP_2)
	v_and_b32_e32 v12, 0x80000000, v12
	v_and_b32_e32 v11, 0x700000, v11
	s_delay_alu instid0(VALU_DEP_1)
	v_or3_b32 v11, v11, v12, v45
.LBB379_586:                            ;   in Loop: Header=BB379_377 Depth=1
	s_or_b32 exec_lo, exec_lo, s21
.LBB379_587:                            ;   in Loop: Header=BB379_377 Depth=1
	s_delay_alu instid0(SALU_CYCLE_1)
	s_or_b32 exec_lo, exec_lo, s20
.LBB379_588:                            ;   in Loop: Header=BB379_377 Depth=1
	s_delay_alu instid0(SALU_CYCLE_1) | instskip(NEXT) | instid1(VALU_DEP_1)
	s_or_b32 exec_lo, exec_lo, s17
	v_mul_f32_e32 v11, s11, v11
                                        ; implicit-def: $vgpr45
	s_delay_alu instid0(VALU_DEP_1) | instskip(NEXT) | instid1(VALU_DEP_1)
	v_and_b32_e32 v12, 0x7f800000, v11
	v_cmp_ne_u32_e64 s1, 0x7f800000, v12
	s_delay_alu instid0(VALU_DEP_1) | instskip(NEXT) | instid1(SALU_CYCLE_1)
	s_and_saveexec_b32 s17, s1
	s_xor_b32 s1, exec_lo, s17
; %bb.589:                              ;   in Loop: Header=BB379_377 Depth=1
	v_bfe_u32 v12, v11, 16, 1
	s_delay_alu instid0(VALU_DEP_1)
	v_add3_u32 v45, v11, v12, 0x7fff
                                        ; implicit-def: $vgpr11
; %bb.590:                              ;   in Loop: Header=BB379_377 Depth=1
	s_and_not1_saveexec_b32 s17, s1
; %bb.591:                              ;   in Loop: Header=BB379_377 Depth=1
	v_and_b32_e32 v12, 0xffff, v11
	v_or_b32_e32 v45, 0x10000, v11
	s_delay_alu instid0(VALU_DEP_2) | instskip(NEXT) | instid1(VALU_DEP_1)
	v_cmp_eq_u32_e64 s1, 0, v12
	v_cndmask_b32_e64 v45, v45, v11, s1
; %bb.592:                              ;   in Loop: Header=BB379_377 Depth=1
	s_or_b32 exec_lo, exec_lo, s17
	v_lshrrev_b16 v12, 8, v14
	v_mov_b32_e32 v11, 0
	s_mov_b32 s17, exec_lo
	s_delay_alu instid0(VALU_DEP_2)
	v_cmpx_ne_u16_e32 0, v12
	s_cbranch_execz .LBB379_600
; %bb.593:                              ;   in Loop: Header=BB379_377 Depth=1
	v_bfrev_b32_e32 v11, 1
	s_mov_b32 s20, exec_lo
	v_cmpx_ne_u16_e32 0x80, v12
	s_cbranch_execz .LBB379_599
; %bb.594:                              ;   in Loop: Header=BB379_377 Depth=1
	v_and_b32_e32 v12, 0xffff, v12
	v_mov_b32_e32 v11, 0x7f800001
	s_mov_b32 s21, exec_lo
	s_delay_alu instid0(VALU_DEP_2) | instskip(NEXT) | instid1(VALU_DEP_1)
	v_and_b32_e32 v47, 0x7f, v12
	v_cmpx_ne_u32_e32 0x7f, v47
	s_cbranch_execz .LBB379_598
; %bb.595:                              ;   in Loop: Header=BB379_377 Depth=1
	v_dual_mov_b32 v12, v15 :: v_dual_and_b32 v11, 7, v12
	v_lshrrev_b32_e32 v46, 3, v47
	s_mov_b32 s22, exec_lo
	v_cmpx_gt_u32_e32 8, v47
; %bb.596:                              ;   in Loop: Header=BB379_377 Depth=1
	s_delay_alu instid0(VALU_DEP_3) | instskip(NEXT) | instid1(VALU_DEP_1)
	v_clz_i32_u32_e32 v46, v11
	v_min_u32_e32 v46, 32, v46
	s_delay_alu instid0(VALU_DEP_1) | instskip(SKIP_1) | instid1(VALU_DEP_2)
	v_subrev_nc_u32_e32 v47, 28, v46
	v_sub_nc_u32_e32 v46, 29, v46
	v_lshlrev_b64 v[11:12], v47, v[11:12]
	s_delay_alu instid0(VALU_DEP_1)
	v_and_b32_e32 v11, 7, v11
; %bb.597:                              ;   in Loop: Header=BB379_377 Depth=1
	s_or_b32 exec_lo, exec_lo, s22
	v_lshlrev_b32_e32 v12, 16, v14
	s_delay_alu instid0(VALU_DEP_2) | instskip(SKIP_1) | instid1(VALU_DEP_3)
	v_lshlrev_b32_e32 v11, 20, v11
	v_lshl_add_u32 v14, v46, 23, 0x3c000000
	v_and_b32_e32 v12, 0x80000000, v12
	s_delay_alu instid0(VALU_DEP_1)
	v_or3_b32 v11, v11, v12, v14
.LBB379_598:                            ;   in Loop: Header=BB379_377 Depth=1
	s_or_b32 exec_lo, exec_lo, s21
.LBB379_599:                            ;   in Loop: Header=BB379_377 Depth=1
	s_delay_alu instid0(SALU_CYCLE_1)
	s_or_b32 exec_lo, exec_lo, s20
.LBB379_600:                            ;   in Loop: Header=BB379_377 Depth=1
	s_delay_alu instid0(SALU_CYCLE_1) | instskip(NEXT) | instid1(VALU_DEP_1)
	s_or_b32 exec_lo, exec_lo, s17
	v_mul_f32_e32 v12, s11, v11
	s_delay_alu instid0(VALU_DEP_1) | instskip(NEXT) | instid1(VALU_DEP_1)
	v_and_b32_e32 v11, 0x7f800000, v12
	v_cmp_ne_u32_e64 s1, 0x7f800000, v11
                                        ; implicit-def: $vgpr11
	s_delay_alu instid0(VALU_DEP_1) | instskip(NEXT) | instid1(SALU_CYCLE_1)
	s_and_saveexec_b32 s17, s1
	s_xor_b32 s1, exec_lo, s17
; %bb.601:                              ;   in Loop: Header=BB379_377 Depth=1
	v_bfe_u32 v11, v12, 16, 1
	s_delay_alu instid0(VALU_DEP_1)
	v_add3_u32 v11, v12, v11, 0x7fff
                                        ; implicit-def: $vgpr12
; %bb.602:                              ;   in Loop: Header=BB379_377 Depth=1
	s_and_not1_saveexec_b32 s17, s1
; %bb.603:                              ;   in Loop: Header=BB379_377 Depth=1
	v_and_b32_e32 v11, 0xffff, v12
	v_or_b32_e32 v14, 0x10000, v12
	s_delay_alu instid0(VALU_DEP_2) | instskip(NEXT) | instid1(VALU_DEP_1)
	v_cmp_eq_u32_e64 s1, 0, v11
	v_cndmask_b32_e64 v11, v14, v12, s1
; %bb.604:                              ;   in Loop: Header=BB379_377 Depth=1
	s_or_b32 exec_lo, exec_lo, s17
	v_lshrrev_b32_e32 v12, 16, v10
	v_mov_b32_e32 v14, 0
	s_mov_b32 s17, exec_lo
	s_delay_alu instid0(VALU_DEP_2) | instskip(NEXT) | instid1(VALU_DEP_1)
	v_and_b32_e32 v46, 0xff, v12
	v_cmpx_ne_u16_e32 0, v46
	s_cbranch_execz .LBB379_612
; %bb.605:                              ;   in Loop: Header=BB379_377 Depth=1
	v_bfrev_b32_e32 v14, 1
	s_mov_b32 s20, exec_lo
	v_cmpx_ne_u16_e32 0x80, v46
	s_cbranch_execz .LBB379_611
; %bb.606:                              ;   in Loop: Header=BB379_377 Depth=1
	v_bfe_u32 v47, v10, 16, 7
	v_mov_b32_e32 v14, 0x7f800001
	s_mov_b32 s21, exec_lo
	s_delay_alu instid0(VALU_DEP_2)
	v_cmpx_ne_u32_e32 0x7f, v47
	s_cbranch_execz .LBB379_610
; %bb.607:                              ;   in Loop: Header=BB379_377 Depth=1
	v_and_b32_e32 v14, 7, v12
	v_lshrrev_b32_e32 v46, 3, v47
	s_mov_b32 s22, exec_lo
	v_cmpx_gt_u32_e32 8, v47
; %bb.608:                              ;   in Loop: Header=BB379_377 Depth=1
	s_delay_alu instid0(VALU_DEP_3) | instskip(NEXT) | instid1(VALU_DEP_1)
	v_clz_i32_u32_e32 v46, v14
	v_min_u32_e32 v46, 32, v46
	s_delay_alu instid0(VALU_DEP_1) | instskip(SKIP_1) | instid1(VALU_DEP_2)
	v_subrev_nc_u32_e32 v47, 28, v46
	v_sub_nc_u32_e32 v46, 29, v46
	v_lshlrev_b64 v[47:48], v47, v[14:15]
	s_delay_alu instid0(VALU_DEP_1)
	v_and_b32_e32 v14, 7, v47
; %bb.609:                              ;   in Loop: Header=BB379_377 Depth=1
	s_or_b32 exec_lo, exec_lo, s22
	v_lshlrev_b32_e32 v12, 24, v12
	s_delay_alu instid0(VALU_DEP_2) | instskip(SKIP_1) | instid1(VALU_DEP_3)
	v_lshlrev_b32_e32 v14, 20, v14
	v_lshl_add_u32 v46, v46, 23, 0x3c000000
	v_and_b32_e32 v12, 0x80000000, v12
	s_delay_alu instid0(VALU_DEP_1)
	v_or3_b32 v14, v14, v12, v46
.LBB379_610:                            ;   in Loop: Header=BB379_377 Depth=1
	s_or_b32 exec_lo, exec_lo, s21
.LBB379_611:                            ;   in Loop: Header=BB379_377 Depth=1
	s_delay_alu instid0(SALU_CYCLE_1)
	s_or_b32 exec_lo, exec_lo, s20
.LBB379_612:                            ;   in Loop: Header=BB379_377 Depth=1
	s_delay_alu instid0(SALU_CYCLE_1) | instskip(NEXT) | instid1(VALU_DEP_1)
	s_or_b32 exec_lo, exec_lo, s17
	v_mul_f32_e32 v14, s11, v14
	s_delay_alu instid0(VALU_DEP_1) | instskip(NEXT) | instid1(VALU_DEP_1)
	v_and_b32_e32 v12, 0x7f800000, v14
	v_cmp_ne_u32_e64 s1, 0x7f800000, v12
                                        ; implicit-def: $vgpr12
	s_delay_alu instid0(VALU_DEP_1) | instskip(NEXT) | instid1(SALU_CYCLE_1)
	s_and_saveexec_b32 s17, s1
	s_xor_b32 s1, exec_lo, s17
; %bb.613:                              ;   in Loop: Header=BB379_377 Depth=1
	v_bfe_u32 v12, v14, 16, 1
	s_delay_alu instid0(VALU_DEP_1)
	v_add3_u32 v12, v14, v12, 0x7fff
                                        ; implicit-def: $vgpr14
; %bb.614:                              ;   in Loop: Header=BB379_377 Depth=1
	s_and_not1_saveexec_b32 s17, s1
; %bb.615:                              ;   in Loop: Header=BB379_377 Depth=1
	v_and_b32_e32 v12, 0xffff, v14
	v_or_b32_e32 v46, 0x10000, v14
	s_delay_alu instid0(VALU_DEP_2) | instskip(NEXT) | instid1(VALU_DEP_1)
	v_cmp_eq_u32_e64 s1, 0, v12
	v_cndmask_b32_e64 v12, v46, v14, s1
; %bb.616:                              ;   in Loop: Header=BB379_377 Depth=1
	s_or_b32 exec_lo, exec_lo, s17
	v_mov_b32_e32 v14, 0
	s_mov_b32 s17, exec_lo
	v_cmpx_lt_u64_e64 s[12:13], v[9:10]
	s_cbranch_execz .LBB379_624
; %bb.617:                              ;   in Loop: Header=BB379_377 Depth=1
	v_lshrrev_b32_e32 v9, 24, v10
	v_bfrev_b32_e32 v14, 1
	s_mov_b32 s20, exec_lo
	s_delay_alu instid0(VALU_DEP_2)
	v_cmpx_ne_u32_e32 0x80, v9
	s_cbranch_execz .LBB379_623
; %bb.618:                              ;   in Loop: Header=BB379_377 Depth=1
	v_bfe_u32 v46, v10, 24, 7
	v_mov_b32_e32 v14, 0x7f800001
	s_mov_b32 s21, exec_lo
	s_delay_alu instid0(VALU_DEP_2)
	v_cmpx_ne_u32_e32 0x7f, v46
	s_cbranch_execz .LBB379_622
; %bb.619:                              ;   in Loop: Header=BB379_377 Depth=1
	v_and_b32_e32 v14, 7, v9
	v_lshrrev_b32_e32 v10, 3, v46
	s_mov_b32 s22, exec_lo
	v_cmpx_gt_u32_e32 8, v46
; %bb.620:                              ;   in Loop: Header=BB379_377 Depth=1
	s_delay_alu instid0(VALU_DEP_3) | instskip(NEXT) | instid1(VALU_DEP_1)
	v_clz_i32_u32_e32 v10, v14
	v_min_u32_e32 v10, 32, v10
	s_delay_alu instid0(VALU_DEP_1) | instskip(SKIP_1) | instid1(VALU_DEP_2)
	v_subrev_nc_u32_e32 v46, 28, v10
	v_sub_nc_u32_e32 v10, 29, v10
	v_lshlrev_b64 v[46:47], v46, v[14:15]
	s_delay_alu instid0(VALU_DEP_1)
	v_and_b32_e32 v14, 7, v46
; %bb.621:                              ;   in Loop: Header=BB379_377 Depth=1
	s_or_b32 exec_lo, exec_lo, s22
	v_lshlrev_b32_e32 v9, 24, v9
	s_delay_alu instid0(VALU_DEP_2) | instskip(SKIP_1) | instid1(VALU_DEP_3)
	v_lshlrev_b32_e32 v14, 20, v14
	v_lshl_add_u32 v10, v10, 23, 0x3c000000
	v_and_b32_e32 v9, 0x80000000, v9
	s_delay_alu instid0(VALU_DEP_1)
	v_or3_b32 v14, v14, v9, v10
.LBB379_622:                            ;   in Loop: Header=BB379_377 Depth=1
	s_or_b32 exec_lo, exec_lo, s21
.LBB379_623:                            ;   in Loop: Header=BB379_377 Depth=1
	s_delay_alu instid0(SALU_CYCLE_1)
	s_or_b32 exec_lo, exec_lo, s20
.LBB379_624:                            ;   in Loop: Header=BB379_377 Depth=1
	s_delay_alu instid0(SALU_CYCLE_1) | instskip(NEXT) | instid1(VALU_DEP_1)
	s_or_b32 exec_lo, exec_lo, s17
	v_mul_f32_e32 v10, s11, v14
	s_delay_alu instid0(VALU_DEP_1) | instskip(NEXT) | instid1(VALU_DEP_1)
	v_and_b32_e32 v9, 0x7f800000, v10
	v_cmp_ne_u32_e64 s1, 0x7f800000, v9
                                        ; implicit-def: $vgpr9
	s_delay_alu instid0(VALU_DEP_1) | instskip(NEXT) | instid1(SALU_CYCLE_1)
	s_and_saveexec_b32 s17, s1
	s_xor_b32 s1, exec_lo, s17
; %bb.625:                              ;   in Loop: Header=BB379_377 Depth=1
	v_bfe_u32 v9, v10, 16, 1
	s_delay_alu instid0(VALU_DEP_1)
	v_add3_u32 v9, v10, v9, 0x7fff
                                        ; implicit-def: $vgpr10
; %bb.626:                              ;   in Loop: Header=BB379_377 Depth=1
	s_and_not1_saveexec_b32 s17, s1
; %bb.627:                              ;   in Loop: Header=BB379_377 Depth=1
	v_and_b32_e32 v9, 0xffff, v10
	v_or_b32_e32 v14, 0x10000, v10
	s_delay_alu instid0(VALU_DEP_2) | instskip(NEXT) | instid1(VALU_DEP_1)
	v_cmp_eq_u32_e64 s1, 0, v9
	v_cndmask_b32_e64 v9, v14, v10, s1
; %bb.628:                              ;   in Loop: Header=BB379_377 Depth=1
	s_or_b32 exec_lo, exec_lo, s17
	v_lshrrev_b32_e32 v14, 16, v11
	v_lshrrev_b32_e32 v45, 16, v45
	;; [unrolled: 1-line block ×8, first 2 shown]
	s_and_saveexec_b32 s17, s0
	s_cbranch_execz .LBB379_630
; %bb.629:                              ;   in Loop: Header=BB379_377 Depth=1
	v_add_nc_u32_e32 v12, 1, v26
	v_cmp_gt_i32_e64 s1, s33, v26
	v_add_nc_u32_e32 v41, 2, v26
	v_add_nc_u32_e32 v46, 3, v26
	s_delay_alu instid0(VALU_DEP_3) | instskip(SKIP_2) | instid1(VALU_DEP_2)
	v_cndmask_b32_e64 v11, 0, v11, s1
	v_cmp_gt_i32_e64 s1, s33, v12
	v_add_nc_u32_e32 v12, 4, v26
	v_cndmask_b32_e64 v42, 0, v42, s1
	v_cmp_gt_i32_e64 s1, s33, v41
	v_add_nc_u32_e32 v41, 5, v26
	s_delay_alu instid0(VALU_DEP_2) | instskip(SKIP_2) | instid1(VALU_DEP_2)
	v_cndmask_b32_e64 v43, 0, v43, s1
	v_cmp_gt_i32_e64 s1, s33, v46
	v_add_nc_u32_e32 v46, 6, v26
	v_cndmask_b32_e64 v44, 0, v44, s1
	v_cmp_gt_i32_e64 s1, s33, v12
	v_add_nc_u32_e32 v12, 7, v26
	s_delay_alu instid0(VALU_DEP_2) | instskip(SKIP_1) | instid1(VALU_DEP_1)
	v_cndmask_b32_e64 v45, 0, v45, s1
	v_cmp_gt_i32_e64 s1, s33, v41
	v_cndmask_b32_e64 v14, 0, v14, s1
	v_cmp_gt_i32_e64 s1, s33, v46
	s_delay_alu instid0(VALU_DEP_1) | instskip(SKIP_1) | instid1(VALU_DEP_1)
	v_cndmask_b32_e64 v10, 0, v10, s1
	v_cmp_gt_i32_e64 s1, s33, v12
	v_cndmask_b32_e64 v9, 0, v9, s1
.LBB379_630:                            ;   in Loop: Header=BB379_377 Depth=1
	s_or_b32 exec_lo, exec_lo, s17
	v_lshlrev_b32_e32 v11, 16, v11
	s_delay_alu instid0(VALU_DEP_1) | instskip(NEXT) | instid1(VALU_DEP_1)
	v_mul_f32_e32 v12, v23, v11
	v_and_b32_e32 v11, 0x7f800000, v12
	s_delay_alu instid0(VALU_DEP_1) | instskip(NEXT) | instid1(VALU_DEP_1)
	v_cmp_ne_u32_e64 s1, 0x7f800000, v11
                                        ; implicit-def: $vgpr11
	s_and_saveexec_b32 s17, s1
	s_delay_alu instid0(SALU_CYCLE_1)
	s_xor_b32 s1, exec_lo, s17
; %bb.631:                              ;   in Loop: Header=BB379_377 Depth=1
	v_bfe_u32 v11, v12, 16, 1
	s_delay_alu instid0(VALU_DEP_1)
	v_add3_u32 v11, v12, v11, 0x7fff
                                        ; implicit-def: $vgpr12
; %bb.632:                              ;   in Loop: Header=BB379_377 Depth=1
	s_and_not1_saveexec_b32 s17, s1
; %bb.633:                              ;   in Loop: Header=BB379_377 Depth=1
	v_and_b32_e32 v11, 0xffff, v12
	v_or_b32_e32 v41, 0x10000, v12
	s_delay_alu instid0(VALU_DEP_2) | instskip(NEXT) | instid1(VALU_DEP_1)
	v_cmp_eq_u32_e64 s1, 0, v11
	v_cndmask_b32_e64 v11, v41, v12, s1
; %bb.634:                              ;   in Loop: Header=BB379_377 Depth=1
	s_or_b32 exec_lo, exec_lo, s17
	v_lshlrev_b32_e32 v12, 16, v42
	s_delay_alu instid0(VALU_DEP_1) | instskip(NEXT) | instid1(VALU_DEP_1)
	v_mul_f32_e32 v41, v24, v12
	v_and_b32_e32 v12, 0x7f800000, v41
	s_delay_alu instid0(VALU_DEP_1) | instskip(NEXT) | instid1(VALU_DEP_1)
	v_cmp_ne_u32_e64 s1, 0x7f800000, v12
                                        ; implicit-def: $vgpr12
	s_and_saveexec_b32 s17, s1
	s_delay_alu instid0(SALU_CYCLE_1)
	s_xor_b32 s1, exec_lo, s17
; %bb.635:                              ;   in Loop: Header=BB379_377 Depth=1
	v_bfe_u32 v12, v41, 16, 1
	s_delay_alu instid0(VALU_DEP_1)
	v_add3_u32 v12, v41, v12, 0x7fff
                                        ; implicit-def: $vgpr41
; %bb.636:                              ;   in Loop: Header=BB379_377 Depth=1
	s_and_not1_saveexec_b32 s17, s1
; %bb.637:                              ;   in Loop: Header=BB379_377 Depth=1
	v_and_b32_e32 v12, 0xffff, v41
	v_or_b32_e32 v42, 0x10000, v41
	s_delay_alu instid0(VALU_DEP_2) | instskip(NEXT) | instid1(VALU_DEP_1)
	v_cmp_eq_u32_e64 s1, 0, v12
	v_cndmask_b32_e64 v12, v42, v41, s1
; %bb.638:                              ;   in Loop: Header=BB379_377 Depth=1
	s_or_b32 exec_lo, exec_lo, s17
	v_lshlrev_b32_e32 v41, 16, v43
	s_delay_alu instid0(VALU_DEP_1) | instskip(NEXT) | instid1(VALU_DEP_1)
	v_mul_f32_e32 v42, v27, v41
	v_and_b32_e32 v41, 0x7f800000, v42
	s_delay_alu instid0(VALU_DEP_1) | instskip(NEXT) | instid1(VALU_DEP_1)
	v_cmp_ne_u32_e64 s1, 0x7f800000, v41
                                        ; implicit-def: $vgpr41
	s_and_saveexec_b32 s17, s1
	s_delay_alu instid0(SALU_CYCLE_1)
	s_xor_b32 s1, exec_lo, s17
; %bb.639:                              ;   in Loop: Header=BB379_377 Depth=1
	v_bfe_u32 v41, v42, 16, 1
	s_delay_alu instid0(VALU_DEP_1)
	v_add3_u32 v41, v42, v41, 0x7fff
                                        ; implicit-def: $vgpr42
; %bb.640:                              ;   in Loop: Header=BB379_377 Depth=1
	s_and_not1_saveexec_b32 s17, s1
; %bb.641:                              ;   in Loop: Header=BB379_377 Depth=1
	v_and_b32_e32 v41, 0xffff, v42
	v_or_b32_e32 v43, 0x10000, v42
	s_delay_alu instid0(VALU_DEP_2) | instskip(NEXT) | instid1(VALU_DEP_1)
	v_cmp_eq_u32_e64 s1, 0, v41
	v_cndmask_b32_e64 v41, v43, v42, s1
; %bb.642:                              ;   in Loop: Header=BB379_377 Depth=1
	s_or_b32 exec_lo, exec_lo, s17
	v_lshlrev_b32_e32 v42, 16, v44
	s_delay_alu instid0(VALU_DEP_1) | instskip(NEXT) | instid1(VALU_DEP_1)
	v_mul_f32_e32 v43, v28, v42
	v_and_b32_e32 v42, 0x7f800000, v43
	s_delay_alu instid0(VALU_DEP_1) | instskip(NEXT) | instid1(VALU_DEP_1)
	v_cmp_ne_u32_e64 s1, 0x7f800000, v42
                                        ; implicit-def: $vgpr42
	s_and_saveexec_b32 s17, s1
	s_delay_alu instid0(SALU_CYCLE_1)
	s_xor_b32 s1, exec_lo, s17
; %bb.643:                              ;   in Loop: Header=BB379_377 Depth=1
	v_bfe_u32 v42, v43, 16, 1
	s_delay_alu instid0(VALU_DEP_1)
	v_add3_u32 v42, v43, v42, 0x7fff
                                        ; implicit-def: $vgpr43
; %bb.644:                              ;   in Loop: Header=BB379_377 Depth=1
	s_and_not1_saveexec_b32 s17, s1
; %bb.645:                              ;   in Loop: Header=BB379_377 Depth=1
	v_and_b32_e32 v42, 0xffff, v43
	v_or_b32_e32 v44, 0x10000, v43
	s_delay_alu instid0(VALU_DEP_2) | instskip(NEXT) | instid1(VALU_DEP_1)
	v_cmp_eq_u32_e64 s1, 0, v42
	v_cndmask_b32_e64 v42, v44, v43, s1
; %bb.646:                              ;   in Loop: Header=BB379_377 Depth=1
	s_or_b32 exec_lo, exec_lo, s17
	v_lshlrev_b32_e32 v43, 16, v45
	s_delay_alu instid0(VALU_DEP_1) | instskip(NEXT) | instid1(VALU_DEP_1)
	v_mul_f32_e32 v44, v29, v43
	v_and_b32_e32 v43, 0x7f800000, v44
	s_delay_alu instid0(VALU_DEP_1) | instskip(NEXT) | instid1(VALU_DEP_1)
	v_cmp_ne_u32_e64 s1, 0x7f800000, v43
                                        ; implicit-def: $vgpr43
	s_and_saveexec_b32 s17, s1
	s_delay_alu instid0(SALU_CYCLE_1)
	s_xor_b32 s1, exec_lo, s17
; %bb.647:                              ;   in Loop: Header=BB379_377 Depth=1
	v_bfe_u32 v43, v44, 16, 1
	s_delay_alu instid0(VALU_DEP_1)
	v_add3_u32 v43, v44, v43, 0x7fff
                                        ; implicit-def: $vgpr44
; %bb.648:                              ;   in Loop: Header=BB379_377 Depth=1
	s_and_not1_saveexec_b32 s17, s1
; %bb.649:                              ;   in Loop: Header=BB379_377 Depth=1
	v_and_b32_e32 v43, 0xffff, v44
	v_or_b32_e32 v45, 0x10000, v44
	s_delay_alu instid0(VALU_DEP_2) | instskip(NEXT) | instid1(VALU_DEP_1)
	v_cmp_eq_u32_e64 s1, 0, v43
	v_cndmask_b32_e64 v43, v45, v44, s1
; %bb.650:                              ;   in Loop: Header=BB379_377 Depth=1
	s_or_b32 exec_lo, exec_lo, s17
	v_lshlrev_b32_e32 v14, 16, v14
	s_delay_alu instid0(VALU_DEP_1) | instskip(NEXT) | instid1(VALU_DEP_1)
	v_mul_f32_e32 v14, v30, v14
	v_and_b32_e32 v44, 0x7f800000, v14
	s_delay_alu instid0(VALU_DEP_1) | instskip(NEXT) | instid1(VALU_DEP_1)
	v_cmp_ne_u32_e64 s1, 0x7f800000, v44
                                        ; implicit-def: $vgpr44
	s_and_saveexec_b32 s17, s1
	s_delay_alu instid0(SALU_CYCLE_1)
	s_xor_b32 s1, exec_lo, s17
; %bb.651:                              ;   in Loop: Header=BB379_377 Depth=1
	v_bfe_u32 v44, v14, 16, 1
	s_delay_alu instid0(VALU_DEP_1)
	v_add3_u32 v44, v14, v44, 0x7fff
                                        ; implicit-def: $vgpr14
; %bb.652:                              ;   in Loop: Header=BB379_377 Depth=1
	s_and_not1_saveexec_b32 s17, s1
; %bb.653:                              ;   in Loop: Header=BB379_377 Depth=1
	v_and_b32_e32 v44, 0xffff, v14
	v_or_b32_e32 v45, 0x10000, v14
	s_delay_alu instid0(VALU_DEP_2) | instskip(NEXT) | instid1(VALU_DEP_1)
	v_cmp_eq_u32_e64 s1, 0, v44
	v_cndmask_b32_e64 v44, v45, v14, s1
; %bb.654:                              ;   in Loop: Header=BB379_377 Depth=1
	s_or_b32 exec_lo, exec_lo, s17
	v_lshlrev_b32_e32 v10, 16, v10
                                        ; implicit-def: $vgpr45
	s_delay_alu instid0(VALU_DEP_1) | instskip(NEXT) | instid1(VALU_DEP_1)
	v_mul_f32_e32 v10, v31, v10
	v_and_b32_e32 v14, 0x7f800000, v10
	s_delay_alu instid0(VALU_DEP_1) | instskip(NEXT) | instid1(VALU_DEP_1)
	v_cmp_ne_u32_e64 s1, 0x7f800000, v14
	s_and_saveexec_b32 s17, s1
	s_delay_alu instid0(SALU_CYCLE_1)
	s_xor_b32 s1, exec_lo, s17
; %bb.655:                              ;   in Loop: Header=BB379_377 Depth=1
	v_bfe_u32 v14, v10, 16, 1
	s_delay_alu instid0(VALU_DEP_1)
	v_add3_u32 v45, v10, v14, 0x7fff
                                        ; implicit-def: $vgpr10
; %bb.656:                              ;   in Loop: Header=BB379_377 Depth=1
	s_and_not1_saveexec_b32 s17, s1
; %bb.657:                              ;   in Loop: Header=BB379_377 Depth=1
	v_and_b32_e32 v14, 0xffff, v10
	v_or_b32_e32 v45, 0x10000, v10
	s_delay_alu instid0(VALU_DEP_2) | instskip(NEXT) | instid1(VALU_DEP_1)
	v_cmp_eq_u32_e64 s1, 0, v14
	v_cndmask_b32_e64 v45, v45, v10, s1
; %bb.658:                              ;   in Loop: Header=BB379_377 Depth=1
	s_or_b32 exec_lo, exec_lo, s17
	v_lshlrev_b32_e32 v9, 16, v9
                                        ; implicit-def: $vgpr46
	s_delay_alu instid0(VALU_DEP_1) | instskip(NEXT) | instid1(VALU_DEP_1)
	v_mul_f32_e32 v9, v32, v9
	v_and_b32_e32 v10, 0x7f800000, v9
	s_delay_alu instid0(VALU_DEP_1) | instskip(NEXT) | instid1(VALU_DEP_1)
	v_cmp_ne_u32_e64 s1, 0x7f800000, v10
	s_and_saveexec_b32 s17, s1
	s_delay_alu instid0(SALU_CYCLE_1)
	s_xor_b32 s1, exec_lo, s17
; %bb.659:                              ;   in Loop: Header=BB379_377 Depth=1
	v_bfe_u32 v10, v9, 16, 1
	s_delay_alu instid0(VALU_DEP_1)
	v_add3_u32 v46, v9, v10, 0x7fff
                                        ; implicit-def: $vgpr9
; %bb.660:                              ;   in Loop: Header=BB379_377 Depth=1
	s_and_not1_saveexec_b32 s17, s1
; %bb.661:                              ;   in Loop: Header=BB379_377 Depth=1
	v_and_b32_e32 v10, 0xffff, v9
	v_or_b32_e32 v14, 0x10000, v9
	s_delay_alu instid0(VALU_DEP_2) | instskip(NEXT) | instid1(VALU_DEP_1)
	v_cmp_eq_u32_e64 s1, 0, v10
	v_cndmask_b32_e64 v46, v14, v9, s1
; %bb.662:                              ;   in Loop: Header=BB379_377 Depth=1
	s_or_b32 exec_lo, exec_lo, s17
	global_load_b64 v[7:8], v[7:8], off offset:512
	s_mov_b32 s17, exec_lo
	s_waitcnt vmcnt(0)
	v_dual_mov_b32 v9, 0 :: v_dual_and_b32 v10, 0xff, v7
	s_delay_alu instid0(VALU_DEP_1)
	v_cmpx_ne_u16_e32 0, v10
	s_cbranch_execz .LBB379_668
; %bb.663:                              ;   in Loop: Header=BB379_377 Depth=1
	v_bfrev_b32_e32 v9, 1
	s_mov_b32 s20, exec_lo
	v_cmpx_ne_u16_e32 0x80, v10
	s_cbranch_execz .LBB379_667
; %bb.664:                              ;   in Loop: Header=BB379_377 Depth=1
	v_and_b32_e32 v10, 0x7f, v7
	v_mov_b32_e32 v9, 0x7f800001
	s_mov_b32 s21, exec_lo
	s_delay_alu instid0(VALU_DEP_2)
	v_cmpx_ne_u32_e32 0x7f, v10
	s_cbranch_execz .LBB379_666
; %bb.665:                              ;   in Loop: Header=BB379_377 Depth=1
	v_and_b32_e32 v9, 7, v7
	v_lshrrev_b32_e32 v14, 3, v10
	v_cmp_gt_u32_e64 s1, 8, v10
	s_delay_alu instid0(VALU_DEP_3) | instskip(NEXT) | instid1(VALU_DEP_1)
	v_clz_i32_u32_e32 v9, v9
	v_min_u32_e32 v9, 32, v9
	s_delay_alu instid0(VALU_DEP_1) | instskip(SKIP_1) | instid1(VALU_DEP_1)
	v_subrev_nc_u32_e32 v47, 28, v9
	v_sub_nc_u32_e32 v9, 29, v9
	v_cndmask_b32_e64 v14, v14, v9, s1
	s_delay_alu instid0(VALU_DEP_3) | instskip(NEXT) | instid1(VALU_DEP_2)
	v_cndmask_b32_e64 v9, 0, v47, s1
	v_lshl_add_u32 v14, v14, 23, 0x3c000000
	s_delay_alu instid0(VALU_DEP_2) | instskip(SKIP_1) | instid1(VALU_DEP_2)
	v_lshlrev_b64 v[9:10], v9, v[7:8]
	v_lshlrev_b32_e32 v10, 24, v7
	v_lshlrev_b32_e32 v9, 20, v9
	s_delay_alu instid0(VALU_DEP_2) | instskip(NEXT) | instid1(VALU_DEP_2)
	v_and_b32_e32 v10, 0x80000000, v10
	v_and_b32_e32 v9, 0x700000, v9
	s_delay_alu instid0(VALU_DEP_1)
	v_or3_b32 v9, v9, v10, v14
.LBB379_666:                            ;   in Loop: Header=BB379_377 Depth=1
	s_or_b32 exec_lo, exec_lo, s21
.LBB379_667:                            ;   in Loop: Header=BB379_377 Depth=1
	s_delay_alu instid0(SALU_CYCLE_1)
	s_or_b32 exec_lo, exec_lo, s20
.LBB379_668:                            ;   in Loop: Header=BB379_377 Depth=1
	s_delay_alu instid0(SALU_CYCLE_1) | instskip(NEXT) | instid1(VALU_DEP_1)
	s_or_b32 exec_lo, exec_lo, s17
	v_mul_f32_e32 v9, s11, v9
                                        ; implicit-def: $vgpr47
	s_delay_alu instid0(VALU_DEP_1) | instskip(NEXT) | instid1(VALU_DEP_1)
	v_and_b32_e32 v10, 0x7f800000, v9
	v_cmp_ne_u32_e64 s1, 0x7f800000, v10
	s_delay_alu instid0(VALU_DEP_1) | instskip(NEXT) | instid1(SALU_CYCLE_1)
	s_and_saveexec_b32 s17, s1
	s_xor_b32 s1, exec_lo, s17
; %bb.669:                              ;   in Loop: Header=BB379_377 Depth=1
	v_bfe_u32 v10, v9, 16, 1
	s_delay_alu instid0(VALU_DEP_1)
	v_add3_u32 v47, v9, v10, 0x7fff
                                        ; implicit-def: $vgpr9
; %bb.670:                              ;   in Loop: Header=BB379_377 Depth=1
	s_and_not1_saveexec_b32 s17, s1
; %bb.671:                              ;   in Loop: Header=BB379_377 Depth=1
	v_and_b32_e32 v10, 0xffff, v9
	v_or_b32_e32 v14, 0x10000, v9
	s_delay_alu instid0(VALU_DEP_2) | instskip(NEXT) | instid1(VALU_DEP_1)
	v_cmp_eq_u32_e64 s1, 0, v10
	v_cndmask_b32_e64 v47, v14, v9, s1
; %bb.672:                              ;   in Loop: Header=BB379_377 Depth=1
	s_or_b32 exec_lo, exec_lo, s17
	v_lshrrev_b16 v10, 8, v7
	v_mov_b32_e32 v9, 0
	s_mov_b32 s17, exec_lo
	s_delay_alu instid0(VALU_DEP_2)
	v_cmpx_ne_u16_e32 0, v10
	s_cbranch_execz .LBB379_680
; %bb.673:                              ;   in Loop: Header=BB379_377 Depth=1
	v_bfrev_b32_e32 v9, 1
	s_mov_b32 s20, exec_lo
	v_cmpx_ne_u16_e32 0x80, v10
	s_cbranch_execz .LBB379_679
; %bb.674:                              ;   in Loop: Header=BB379_377 Depth=1
	v_and_b32_e32 v14, 0xffff, v10
	v_mov_b32_e32 v9, 0x7f800001
	s_mov_b32 s21, exec_lo
	s_delay_alu instid0(VALU_DEP_2) | instskip(NEXT) | instid1(VALU_DEP_1)
	v_and_b32_e32 v10, 0x7f, v14
	v_cmpx_ne_u32_e32 0x7f, v10
	s_cbranch_execz .LBB379_678
; %bb.675:                              ;   in Loop: Header=BB379_377 Depth=1
	v_and_b32_e32 v14, 7, v14
	v_lshrrev_b32_e32 v9, 3, v10
	s_mov_b32 s22, exec_lo
	v_cmpx_gt_u32_e32 8, v10
; %bb.676:                              ;   in Loop: Header=BB379_377 Depth=1
	s_delay_alu instid0(VALU_DEP_3) | instskip(NEXT) | instid1(VALU_DEP_1)
	v_clz_i32_u32_e32 v9, v14
	v_min_u32_e32 v9, 32, v9
	s_delay_alu instid0(VALU_DEP_1) | instskip(SKIP_1) | instid1(VALU_DEP_2)
	v_subrev_nc_u32_e32 v10, 28, v9
	v_sub_nc_u32_e32 v9, 29, v9
	v_lshlrev_b64 v[48:49], v10, v[14:15]
	s_delay_alu instid0(VALU_DEP_1)
	v_and_b32_e32 v14, 7, v48
; %bb.677:                              ;   in Loop: Header=BB379_377 Depth=1
	s_or_b32 exec_lo, exec_lo, s22
	v_lshlrev_b32_e32 v10, 16, v7
	s_delay_alu instid0(VALU_DEP_2) | instskip(SKIP_1) | instid1(VALU_DEP_3)
	v_lshlrev_b32_e32 v14, 20, v14
	v_lshl_add_u32 v9, v9, 23, 0x3c000000
	v_and_b32_e32 v10, 0x80000000, v10
	s_delay_alu instid0(VALU_DEP_1)
	v_or3_b32 v9, v14, v10, v9
.LBB379_678:                            ;   in Loop: Header=BB379_377 Depth=1
	s_or_b32 exec_lo, exec_lo, s21
.LBB379_679:                            ;   in Loop: Header=BB379_377 Depth=1
	s_delay_alu instid0(SALU_CYCLE_1)
	s_or_b32 exec_lo, exec_lo, s20
.LBB379_680:                            ;   in Loop: Header=BB379_377 Depth=1
	s_delay_alu instid0(SALU_CYCLE_1) | instskip(NEXT) | instid1(VALU_DEP_1)
	s_or_b32 exec_lo, exec_lo, s17
	v_mul_f32_e32 v9, s11, v9
                                        ; implicit-def: $vgpr48
	s_delay_alu instid0(VALU_DEP_1) | instskip(NEXT) | instid1(VALU_DEP_1)
	v_and_b32_e32 v10, 0x7f800000, v9
	v_cmp_ne_u32_e64 s1, 0x7f800000, v10
	s_delay_alu instid0(VALU_DEP_1) | instskip(NEXT) | instid1(SALU_CYCLE_1)
	s_and_saveexec_b32 s17, s1
	s_xor_b32 s1, exec_lo, s17
; %bb.681:                              ;   in Loop: Header=BB379_377 Depth=1
	v_bfe_u32 v10, v9, 16, 1
	s_delay_alu instid0(VALU_DEP_1)
	v_add3_u32 v48, v9, v10, 0x7fff
                                        ; implicit-def: $vgpr9
; %bb.682:                              ;   in Loop: Header=BB379_377 Depth=1
	s_and_not1_saveexec_b32 s17, s1
; %bb.683:                              ;   in Loop: Header=BB379_377 Depth=1
	v_and_b32_e32 v10, 0xffff, v9
	v_or_b32_e32 v14, 0x10000, v9
	s_delay_alu instid0(VALU_DEP_2) | instskip(NEXT) | instid1(VALU_DEP_1)
	v_cmp_eq_u32_e64 s1, 0, v10
	v_cndmask_b32_e64 v48, v14, v9, s1
; %bb.684:                              ;   in Loop: Header=BB379_377 Depth=1
	s_or_b32 exec_lo, exec_lo, s17
	v_lshrrev_b32_e32 v9, 16, v7
	v_mov_b32_e32 v10, 0
	s_mov_b32 s17, exec_lo
	s_delay_alu instid0(VALU_DEP_2) | instskip(NEXT) | instid1(VALU_DEP_1)
	v_and_b32_e32 v14, 0xff, v9
	v_cmpx_ne_u16_e32 0, v14
	s_cbranch_execz .LBB379_692
; %bb.685:                              ;   in Loop: Header=BB379_377 Depth=1
	v_bfrev_b32_e32 v10, 1
	s_mov_b32 s20, exec_lo
	v_cmpx_ne_u16_e32 0x80, v14
	s_cbranch_execz .LBB379_691
; %bb.686:                              ;   in Loop: Header=BB379_377 Depth=1
	v_bfe_u32 v49, v7, 16, 7
	v_mov_b32_e32 v10, 0x7f800001
	s_mov_b32 s21, exec_lo
	s_delay_alu instid0(VALU_DEP_2)
	v_cmpx_ne_u32_e32 0x7f, v49
	s_cbranch_execz .LBB379_690
; %bb.687:                              ;   in Loop: Header=BB379_377 Depth=1
	v_and_b32_e32 v14, 7, v9
	v_lshrrev_b32_e32 v10, 3, v49
	s_mov_b32 s22, exec_lo
	v_cmpx_gt_u32_e32 8, v49
; %bb.688:                              ;   in Loop: Header=BB379_377 Depth=1
	s_delay_alu instid0(VALU_DEP_3) | instskip(NEXT) | instid1(VALU_DEP_1)
	v_clz_i32_u32_e32 v10, v14
	v_min_u32_e32 v10, 32, v10
	s_delay_alu instid0(VALU_DEP_1) | instskip(SKIP_1) | instid1(VALU_DEP_2)
	v_subrev_nc_u32_e32 v49, 28, v10
	v_sub_nc_u32_e32 v10, 29, v10
	v_lshlrev_b64 v[49:50], v49, v[14:15]
	s_delay_alu instid0(VALU_DEP_1)
	v_and_b32_e32 v14, 7, v49
; %bb.689:                              ;   in Loop: Header=BB379_377 Depth=1
	s_or_b32 exec_lo, exec_lo, s22
	v_lshlrev_b32_e32 v9, 24, v9
	s_delay_alu instid0(VALU_DEP_2) | instskip(SKIP_1) | instid1(VALU_DEP_3)
	v_lshlrev_b32_e32 v14, 20, v14
	v_lshl_add_u32 v10, v10, 23, 0x3c000000
	v_and_b32_e32 v9, 0x80000000, v9
	s_delay_alu instid0(VALU_DEP_1)
	v_or3_b32 v10, v14, v9, v10
.LBB379_690:                            ;   in Loop: Header=BB379_377 Depth=1
	s_or_b32 exec_lo, exec_lo, s21
.LBB379_691:                            ;   in Loop: Header=BB379_377 Depth=1
	s_delay_alu instid0(SALU_CYCLE_1)
	s_or_b32 exec_lo, exec_lo, s20
.LBB379_692:                            ;   in Loop: Header=BB379_377 Depth=1
	s_delay_alu instid0(SALU_CYCLE_1) | instskip(NEXT) | instid1(VALU_DEP_1)
	s_or_b32 exec_lo, exec_lo, s17
	v_mul_f32_e32 v9, s11, v10
                                        ; implicit-def: $vgpr49
	s_delay_alu instid0(VALU_DEP_1) | instskip(NEXT) | instid1(VALU_DEP_1)
	v_and_b32_e32 v10, 0x7f800000, v9
	v_cmp_ne_u32_e64 s1, 0x7f800000, v10
	s_delay_alu instid0(VALU_DEP_1) | instskip(NEXT) | instid1(SALU_CYCLE_1)
	s_and_saveexec_b32 s17, s1
	s_xor_b32 s1, exec_lo, s17
; %bb.693:                              ;   in Loop: Header=BB379_377 Depth=1
	v_bfe_u32 v10, v9, 16, 1
	s_delay_alu instid0(VALU_DEP_1)
	v_add3_u32 v49, v9, v10, 0x7fff
                                        ; implicit-def: $vgpr9
; %bb.694:                              ;   in Loop: Header=BB379_377 Depth=1
	s_and_not1_saveexec_b32 s17, s1
; %bb.695:                              ;   in Loop: Header=BB379_377 Depth=1
	v_and_b32_e32 v10, 0xffff, v9
	v_or_b32_e32 v14, 0x10000, v9
	s_delay_alu instid0(VALU_DEP_2) | instskip(NEXT) | instid1(VALU_DEP_1)
	v_cmp_eq_u32_e64 s1, 0, v10
	v_cndmask_b32_e64 v49, v14, v9, s1
; %bb.696:                              ;   in Loop: Header=BB379_377 Depth=1
	s_or_b32 exec_lo, exec_lo, s17
	v_mov_b32_e32 v10, 0
	s_mov_b32 s17, exec_lo
	v_cmpx_lt_u32_e32 0xffffff, v7
	s_cbranch_execz .LBB379_704
; %bb.697:                              ;   in Loop: Header=BB379_377 Depth=1
	v_lshrrev_b32_e32 v9, 24, v7
	v_bfrev_b32_e32 v10, 1
	s_mov_b32 s20, exec_lo
	s_delay_alu instid0(VALU_DEP_2)
	v_cmpx_ne_u32_e32 0x80, v9
	s_cbranch_execz .LBB379_703
; %bb.698:                              ;   in Loop: Header=BB379_377 Depth=1
	v_bfe_u32 v50, v7, 24, 7
	v_mov_b32_e32 v10, 0x7f800001
	s_mov_b32 s21, exec_lo
	s_delay_alu instid0(VALU_DEP_2)
	v_cmpx_ne_u32_e32 0x7f, v50
	s_cbranch_execz .LBB379_702
; %bb.699:                              ;   in Loop: Header=BB379_377 Depth=1
	v_and_b32_e32 v14, 7, v9
	v_lshrrev_b32_e32 v10, 3, v50
	s_mov_b32 s22, exec_lo
	v_cmpx_gt_u32_e32 8, v50
; %bb.700:                              ;   in Loop: Header=BB379_377 Depth=1
	s_delay_alu instid0(VALU_DEP_3) | instskip(NEXT) | instid1(VALU_DEP_1)
	v_clz_i32_u32_e32 v10, v14
	v_min_u32_e32 v10, 32, v10
	s_delay_alu instid0(VALU_DEP_1) | instskip(SKIP_1) | instid1(VALU_DEP_2)
	v_subrev_nc_u32_e32 v50, 28, v10
	v_sub_nc_u32_e32 v10, 29, v10
	v_lshlrev_b64 v[50:51], v50, v[14:15]
	s_delay_alu instid0(VALU_DEP_1)
	v_and_b32_e32 v14, 7, v50
; %bb.701:                              ;   in Loop: Header=BB379_377 Depth=1
	s_or_b32 exec_lo, exec_lo, s22
	v_lshlrev_b32_e32 v9, 24, v9
	s_delay_alu instid0(VALU_DEP_2) | instskip(SKIP_1) | instid1(VALU_DEP_3)
	v_lshlrev_b32_e32 v14, 20, v14
	v_lshl_add_u32 v10, v10, 23, 0x3c000000
	v_and_b32_e32 v9, 0x80000000, v9
	s_delay_alu instid0(VALU_DEP_1)
	v_or3_b32 v10, v14, v9, v10
.LBB379_702:                            ;   in Loop: Header=BB379_377 Depth=1
	s_or_b32 exec_lo, exec_lo, s21
.LBB379_703:                            ;   in Loop: Header=BB379_377 Depth=1
	s_delay_alu instid0(SALU_CYCLE_1)
	s_or_b32 exec_lo, exec_lo, s20
.LBB379_704:                            ;   in Loop: Header=BB379_377 Depth=1
	s_delay_alu instid0(SALU_CYCLE_1) | instskip(NEXT) | instid1(VALU_DEP_1)
	s_or_b32 exec_lo, exec_lo, s17
	v_mul_f32_e32 v9, s11, v10
                                        ; implicit-def: $vgpr50
	s_delay_alu instid0(VALU_DEP_1) | instskip(NEXT) | instid1(VALU_DEP_1)
	v_and_b32_e32 v10, 0x7f800000, v9
	v_cmp_ne_u32_e64 s1, 0x7f800000, v10
	s_delay_alu instid0(VALU_DEP_1) | instskip(NEXT) | instid1(SALU_CYCLE_1)
	s_and_saveexec_b32 s17, s1
	s_xor_b32 s1, exec_lo, s17
; %bb.705:                              ;   in Loop: Header=BB379_377 Depth=1
	v_bfe_u32 v10, v9, 16, 1
	s_delay_alu instid0(VALU_DEP_1)
	v_add3_u32 v50, v9, v10, 0x7fff
                                        ; implicit-def: $vgpr9
; %bb.706:                              ;   in Loop: Header=BB379_377 Depth=1
	s_and_not1_saveexec_b32 s17, s1
; %bb.707:                              ;   in Loop: Header=BB379_377 Depth=1
	v_and_b32_e32 v10, 0xffff, v9
	v_or_b32_e32 v14, 0x10000, v9
	s_delay_alu instid0(VALU_DEP_2) | instskip(NEXT) | instid1(VALU_DEP_1)
	v_cmp_eq_u32_e64 s1, 0, v10
	v_cndmask_b32_e64 v50, v14, v9, s1
; %bb.708:                              ;   in Loop: Header=BB379_377 Depth=1
	s_or_b32 exec_lo, exec_lo, s17
	v_dual_mov_b32 v9, 0 :: v_dual_and_b32 v10, 0xff, v8
	v_mov_b32_e32 v14, v8
	s_mov_b32 s17, exec_lo
	s_delay_alu instid0(VALU_DEP_2)
	v_cmpx_ne_u16_e32 0, v10
	s_cbranch_execz .LBB379_714
; %bb.709:                              ;   in Loop: Header=BB379_377 Depth=1
	v_bfrev_b32_e32 v9, 1
	s_mov_b32 s20, exec_lo
	v_cmpx_ne_u16_e32 0x80, v10
	s_cbranch_execz .LBB379_713
; %bb.710:                              ;   in Loop: Header=BB379_377 Depth=1
	v_and_b32_e32 v10, 0x7f, v8
	v_mov_b32_e32 v9, 0x7f800001
	s_mov_b32 s21, exec_lo
	s_delay_alu instid0(VALU_DEP_2)
	v_cmpx_ne_u32_e32 0x7f, v10
	s_cbranch_execz .LBB379_712
; %bb.711:                              ;   in Loop: Header=BB379_377 Depth=1
	v_and_b32_e32 v9, 7, v8
	v_lshrrev_b32_e32 v51, 3, v10
	v_cmp_gt_u32_e64 s1, 8, v10
	s_delay_alu instid0(VALU_DEP_3) | instskip(NEXT) | instid1(VALU_DEP_1)
	v_clz_i32_u32_e32 v9, v9
	v_min_u32_e32 v9, 32, v9
	s_delay_alu instid0(VALU_DEP_1) | instskip(SKIP_1) | instid1(VALU_DEP_1)
	v_subrev_nc_u32_e32 v52, 28, v9
	v_sub_nc_u32_e32 v9, 29, v9
	v_cndmask_b32_e64 v51, v51, v9, s1
	s_delay_alu instid0(VALU_DEP_3) | instskip(NEXT) | instid1(VALU_DEP_2)
	v_cndmask_b32_e64 v9, 0, v52, s1
	v_lshl_add_u32 v51, v51, 23, 0x3c000000
	s_delay_alu instid0(VALU_DEP_2) | instskip(SKIP_1) | instid1(VALU_DEP_2)
	v_lshlrev_b64 v[9:10], v9, v[14:15]
	v_lshlrev_b32_e32 v10, 24, v14
	v_lshlrev_b32_e32 v9, 20, v9
	s_delay_alu instid0(VALU_DEP_2) | instskip(NEXT) | instid1(VALU_DEP_2)
	v_and_b32_e32 v10, 0x80000000, v10
	v_and_b32_e32 v9, 0x700000, v9
	s_delay_alu instid0(VALU_DEP_1)
	v_or3_b32 v9, v9, v10, v51
.LBB379_712:                            ;   in Loop: Header=BB379_377 Depth=1
	s_or_b32 exec_lo, exec_lo, s21
.LBB379_713:                            ;   in Loop: Header=BB379_377 Depth=1
	s_delay_alu instid0(SALU_CYCLE_1)
	s_or_b32 exec_lo, exec_lo, s20
.LBB379_714:                            ;   in Loop: Header=BB379_377 Depth=1
	s_delay_alu instid0(SALU_CYCLE_1) | instskip(NEXT) | instid1(VALU_DEP_1)
	s_or_b32 exec_lo, exec_lo, s17
	v_mul_f32_e32 v9, s11, v9
                                        ; implicit-def: $vgpr51
	s_delay_alu instid0(VALU_DEP_1) | instskip(NEXT) | instid1(VALU_DEP_1)
	v_and_b32_e32 v10, 0x7f800000, v9
	v_cmp_ne_u32_e64 s1, 0x7f800000, v10
	s_delay_alu instid0(VALU_DEP_1) | instskip(NEXT) | instid1(SALU_CYCLE_1)
	s_and_saveexec_b32 s17, s1
	s_xor_b32 s1, exec_lo, s17
; %bb.715:                              ;   in Loop: Header=BB379_377 Depth=1
	v_bfe_u32 v10, v9, 16, 1
	s_delay_alu instid0(VALU_DEP_1)
	v_add3_u32 v51, v9, v10, 0x7fff
                                        ; implicit-def: $vgpr9
; %bb.716:                              ;   in Loop: Header=BB379_377 Depth=1
	s_and_not1_saveexec_b32 s17, s1
; %bb.717:                              ;   in Loop: Header=BB379_377 Depth=1
	v_and_b32_e32 v10, 0xffff, v9
	v_or_b32_e32 v51, 0x10000, v9
	s_delay_alu instid0(VALU_DEP_2) | instskip(NEXT) | instid1(VALU_DEP_1)
	v_cmp_eq_u32_e64 s1, 0, v10
	v_cndmask_b32_e64 v51, v51, v9, s1
; %bb.718:                              ;   in Loop: Header=BB379_377 Depth=1
	s_or_b32 exec_lo, exec_lo, s17
	v_lshrrev_b16 v10, 8, v14
	v_mov_b32_e32 v9, 0
	s_mov_b32 s17, exec_lo
	s_delay_alu instid0(VALU_DEP_2)
	v_cmpx_ne_u16_e32 0, v10
	s_cbranch_execz .LBB379_726
; %bb.719:                              ;   in Loop: Header=BB379_377 Depth=1
	v_bfrev_b32_e32 v9, 1
	s_mov_b32 s20, exec_lo
	v_cmpx_ne_u16_e32 0x80, v10
	s_cbranch_execz .LBB379_725
; %bb.720:                              ;   in Loop: Header=BB379_377 Depth=1
	v_and_b32_e32 v10, 0xffff, v10
	v_mov_b32_e32 v9, 0x7f800001
	s_mov_b32 s21, exec_lo
	s_delay_alu instid0(VALU_DEP_2) | instskip(NEXT) | instid1(VALU_DEP_1)
	v_and_b32_e32 v53, 0x7f, v10
	v_cmpx_ne_u32_e32 0x7f, v53
	s_cbranch_execz .LBB379_724
; %bb.721:                              ;   in Loop: Header=BB379_377 Depth=1
	v_dual_mov_b32 v10, v15 :: v_dual_and_b32 v9, 7, v10
	v_lshrrev_b32_e32 v52, 3, v53
	s_mov_b32 s22, exec_lo
	v_cmpx_gt_u32_e32 8, v53
; %bb.722:                              ;   in Loop: Header=BB379_377 Depth=1
	s_delay_alu instid0(VALU_DEP_3) | instskip(NEXT) | instid1(VALU_DEP_1)
	v_clz_i32_u32_e32 v52, v9
	v_min_u32_e32 v52, 32, v52
	s_delay_alu instid0(VALU_DEP_1) | instskip(SKIP_1) | instid1(VALU_DEP_2)
	v_subrev_nc_u32_e32 v53, 28, v52
	v_sub_nc_u32_e32 v52, 29, v52
	v_lshlrev_b64 v[9:10], v53, v[9:10]
	s_delay_alu instid0(VALU_DEP_1)
	v_and_b32_e32 v9, 7, v9
; %bb.723:                              ;   in Loop: Header=BB379_377 Depth=1
	s_or_b32 exec_lo, exec_lo, s22
	v_lshlrev_b32_e32 v10, 16, v14
	s_delay_alu instid0(VALU_DEP_2) | instskip(SKIP_1) | instid1(VALU_DEP_3)
	v_lshlrev_b32_e32 v9, 20, v9
	v_lshl_add_u32 v14, v52, 23, 0x3c000000
	v_and_b32_e32 v10, 0x80000000, v10
	s_delay_alu instid0(VALU_DEP_1)
	v_or3_b32 v9, v9, v10, v14
.LBB379_724:                            ;   in Loop: Header=BB379_377 Depth=1
	s_or_b32 exec_lo, exec_lo, s21
.LBB379_725:                            ;   in Loop: Header=BB379_377 Depth=1
	s_delay_alu instid0(SALU_CYCLE_1)
	s_or_b32 exec_lo, exec_lo, s20
.LBB379_726:                            ;   in Loop: Header=BB379_377 Depth=1
	s_delay_alu instid0(SALU_CYCLE_1) | instskip(NEXT) | instid1(VALU_DEP_1)
	s_or_b32 exec_lo, exec_lo, s17
	v_mul_f32_e32 v10, s11, v9
	s_delay_alu instid0(VALU_DEP_1) | instskip(NEXT) | instid1(VALU_DEP_1)
	v_and_b32_e32 v9, 0x7f800000, v10
	v_cmp_ne_u32_e64 s1, 0x7f800000, v9
                                        ; implicit-def: $vgpr9
	s_delay_alu instid0(VALU_DEP_1) | instskip(NEXT) | instid1(SALU_CYCLE_1)
	s_and_saveexec_b32 s17, s1
	s_xor_b32 s1, exec_lo, s17
; %bb.727:                              ;   in Loop: Header=BB379_377 Depth=1
	v_bfe_u32 v9, v10, 16, 1
	s_delay_alu instid0(VALU_DEP_1)
	v_add3_u32 v9, v10, v9, 0x7fff
                                        ; implicit-def: $vgpr10
; %bb.728:                              ;   in Loop: Header=BB379_377 Depth=1
	s_and_not1_saveexec_b32 s17, s1
; %bb.729:                              ;   in Loop: Header=BB379_377 Depth=1
	v_and_b32_e32 v9, 0xffff, v10
	v_or_b32_e32 v14, 0x10000, v10
	s_delay_alu instid0(VALU_DEP_2) | instskip(NEXT) | instid1(VALU_DEP_1)
	v_cmp_eq_u32_e64 s1, 0, v9
	v_cndmask_b32_e64 v9, v14, v10, s1
; %bb.730:                              ;   in Loop: Header=BB379_377 Depth=1
	s_or_b32 exec_lo, exec_lo, s17
	v_lshrrev_b32_e32 v10, 16, v8
	v_mov_b32_e32 v14, 0
	s_mov_b32 s17, exec_lo
	s_delay_alu instid0(VALU_DEP_2) | instskip(NEXT) | instid1(VALU_DEP_1)
	v_and_b32_e32 v52, 0xff, v10
	v_cmpx_ne_u16_e32 0, v52
	s_cbranch_execz .LBB379_738
; %bb.731:                              ;   in Loop: Header=BB379_377 Depth=1
	v_bfrev_b32_e32 v14, 1
	s_mov_b32 s20, exec_lo
	v_cmpx_ne_u16_e32 0x80, v52
	s_cbranch_execz .LBB379_737
; %bb.732:                              ;   in Loop: Header=BB379_377 Depth=1
	v_bfe_u32 v53, v8, 16, 7
	v_mov_b32_e32 v14, 0x7f800001
	s_mov_b32 s21, exec_lo
	s_delay_alu instid0(VALU_DEP_2)
	v_cmpx_ne_u32_e32 0x7f, v53
	s_cbranch_execz .LBB379_736
; %bb.733:                              ;   in Loop: Header=BB379_377 Depth=1
	v_and_b32_e32 v14, 7, v10
	v_lshrrev_b32_e32 v52, 3, v53
	s_mov_b32 s22, exec_lo
	v_cmpx_gt_u32_e32 8, v53
; %bb.734:                              ;   in Loop: Header=BB379_377 Depth=1
	s_delay_alu instid0(VALU_DEP_3) | instskip(NEXT) | instid1(VALU_DEP_1)
	v_clz_i32_u32_e32 v52, v14
	v_min_u32_e32 v52, 32, v52
	s_delay_alu instid0(VALU_DEP_1) | instskip(SKIP_1) | instid1(VALU_DEP_2)
	v_subrev_nc_u32_e32 v53, 28, v52
	v_sub_nc_u32_e32 v52, 29, v52
	v_lshlrev_b64 v[53:54], v53, v[14:15]
	s_delay_alu instid0(VALU_DEP_1)
	v_and_b32_e32 v14, 7, v53
; %bb.735:                              ;   in Loop: Header=BB379_377 Depth=1
	s_or_b32 exec_lo, exec_lo, s22
	v_lshlrev_b32_e32 v10, 24, v10
	s_delay_alu instid0(VALU_DEP_2) | instskip(SKIP_1) | instid1(VALU_DEP_3)
	v_lshlrev_b32_e32 v14, 20, v14
	v_lshl_add_u32 v52, v52, 23, 0x3c000000
	v_and_b32_e32 v10, 0x80000000, v10
	s_delay_alu instid0(VALU_DEP_1)
	v_or3_b32 v14, v14, v10, v52
.LBB379_736:                            ;   in Loop: Header=BB379_377 Depth=1
	s_or_b32 exec_lo, exec_lo, s21
.LBB379_737:                            ;   in Loop: Header=BB379_377 Depth=1
	s_delay_alu instid0(SALU_CYCLE_1)
	s_or_b32 exec_lo, exec_lo, s20
.LBB379_738:                            ;   in Loop: Header=BB379_377 Depth=1
	s_delay_alu instid0(SALU_CYCLE_1) | instskip(NEXT) | instid1(VALU_DEP_1)
	s_or_b32 exec_lo, exec_lo, s17
	v_mul_f32_e32 v14, s11, v14
	s_delay_alu instid0(VALU_DEP_1) | instskip(NEXT) | instid1(VALU_DEP_1)
	v_and_b32_e32 v10, 0x7f800000, v14
	v_cmp_ne_u32_e64 s1, 0x7f800000, v10
                                        ; implicit-def: $vgpr10
	s_delay_alu instid0(VALU_DEP_1) | instskip(NEXT) | instid1(SALU_CYCLE_1)
	s_and_saveexec_b32 s17, s1
	s_xor_b32 s1, exec_lo, s17
; %bb.739:                              ;   in Loop: Header=BB379_377 Depth=1
	v_bfe_u32 v10, v14, 16, 1
	s_delay_alu instid0(VALU_DEP_1)
	v_add3_u32 v10, v14, v10, 0x7fff
                                        ; implicit-def: $vgpr14
; %bb.740:                              ;   in Loop: Header=BB379_377 Depth=1
	s_and_not1_saveexec_b32 s17, s1
; %bb.741:                              ;   in Loop: Header=BB379_377 Depth=1
	v_and_b32_e32 v10, 0xffff, v14
	v_or_b32_e32 v52, 0x10000, v14
	s_delay_alu instid0(VALU_DEP_2) | instskip(NEXT) | instid1(VALU_DEP_1)
	v_cmp_eq_u32_e64 s1, 0, v10
	v_cndmask_b32_e64 v10, v52, v14, s1
; %bb.742:                              ;   in Loop: Header=BB379_377 Depth=1
	s_or_b32 exec_lo, exec_lo, s17
	v_mov_b32_e32 v14, 0
	s_mov_b32 s17, exec_lo
	v_cmpx_lt_u64_e64 s[12:13], v[7:8]
	s_cbranch_execz .LBB379_750
; %bb.743:                              ;   in Loop: Header=BB379_377 Depth=1
	v_lshrrev_b32_e32 v7, 24, v8
	v_bfrev_b32_e32 v14, 1
	s_mov_b32 s20, exec_lo
	s_delay_alu instid0(VALU_DEP_2)
	v_cmpx_ne_u32_e32 0x80, v7
	s_cbranch_execz .LBB379_749
; %bb.744:                              ;   in Loop: Header=BB379_377 Depth=1
	v_bfe_u32 v52, v8, 24, 7
	v_mov_b32_e32 v14, 0x7f800001
	s_mov_b32 s21, exec_lo
	s_delay_alu instid0(VALU_DEP_2)
	v_cmpx_ne_u32_e32 0x7f, v52
	s_cbranch_execz .LBB379_748
; %bb.745:                              ;   in Loop: Header=BB379_377 Depth=1
	v_and_b32_e32 v14, 7, v7
	v_lshrrev_b32_e32 v8, 3, v52
	s_mov_b32 s22, exec_lo
	v_cmpx_gt_u32_e32 8, v52
; %bb.746:                              ;   in Loop: Header=BB379_377 Depth=1
	s_delay_alu instid0(VALU_DEP_3) | instskip(NEXT) | instid1(VALU_DEP_1)
	v_clz_i32_u32_e32 v8, v14
	v_min_u32_e32 v8, 32, v8
	s_delay_alu instid0(VALU_DEP_1) | instskip(SKIP_1) | instid1(VALU_DEP_2)
	v_subrev_nc_u32_e32 v52, 28, v8
	v_sub_nc_u32_e32 v8, 29, v8
	v_lshlrev_b64 v[52:53], v52, v[14:15]
	s_delay_alu instid0(VALU_DEP_1)
	v_and_b32_e32 v14, 7, v52
; %bb.747:                              ;   in Loop: Header=BB379_377 Depth=1
	s_or_b32 exec_lo, exec_lo, s22
	v_lshlrev_b32_e32 v7, 24, v7
	s_delay_alu instid0(VALU_DEP_2) | instskip(SKIP_1) | instid1(VALU_DEP_3)
	v_lshlrev_b32_e32 v14, 20, v14
	v_lshl_add_u32 v8, v8, 23, 0x3c000000
	v_and_b32_e32 v7, 0x80000000, v7
	s_delay_alu instid0(VALU_DEP_1)
	v_or3_b32 v14, v14, v7, v8
.LBB379_748:                            ;   in Loop: Header=BB379_377 Depth=1
	s_or_b32 exec_lo, exec_lo, s21
.LBB379_749:                            ;   in Loop: Header=BB379_377 Depth=1
	s_delay_alu instid0(SALU_CYCLE_1)
	s_or_b32 exec_lo, exec_lo, s20
.LBB379_750:                            ;   in Loop: Header=BB379_377 Depth=1
	s_delay_alu instid0(SALU_CYCLE_1) | instskip(NEXT) | instid1(VALU_DEP_1)
	s_or_b32 exec_lo, exec_lo, s17
	v_mul_f32_e32 v7, s11, v14
	s_delay_alu instid0(VALU_DEP_1) | instskip(NEXT) | instid1(VALU_DEP_1)
	v_and_b32_e32 v8, 0x7f800000, v7
	v_cmp_ne_u32_e64 s1, 0x7f800000, v8
                                        ; implicit-def: $vgpr8
	s_delay_alu instid0(VALU_DEP_1) | instskip(NEXT) | instid1(SALU_CYCLE_1)
	s_and_saveexec_b32 s17, s1
	s_xor_b32 s1, exec_lo, s17
; %bb.751:                              ;   in Loop: Header=BB379_377 Depth=1
	v_bfe_u32 v8, v7, 16, 1
	s_delay_alu instid0(VALU_DEP_1)
	v_add3_u32 v8, v7, v8, 0x7fff
                                        ; implicit-def: $vgpr7
; %bb.752:                              ;   in Loop: Header=BB379_377 Depth=1
	s_and_not1_saveexec_b32 s17, s1
; %bb.753:                              ;   in Loop: Header=BB379_377 Depth=1
	v_and_b32_e32 v8, 0xffff, v7
	v_or_b32_e32 v14, 0x10000, v7
	s_delay_alu instid0(VALU_DEP_2) | instskip(NEXT) | instid1(VALU_DEP_1)
	v_cmp_eq_u32_e64 s1, 0, v8
	v_cndmask_b32_e64 v8, v14, v7, s1
; %bb.754:                              ;   in Loop: Header=BB379_377 Depth=1
	s_or_b32 exec_lo, exec_lo, s17
	v_lshrrev_b32_e32 v14, 16, v9
	v_lshrrev_b32_e32 v51, 16, v51
	;; [unrolled: 1-line block ×8, first 2 shown]
	s_and_saveexec_b32 s17, s0
	s_cbranch_execz .LBB379_756
; %bb.755:                              ;   in Loop: Header=BB379_377 Depth=1
	v_add_nc_u32_e32 v47, 1, v26
	v_cmp_gt_i32_e64 s1, s33, v26
	v_add_nc_u32_e32 v48, 2, v26
	v_add_nc_u32_e32 v52, 3, v26
	s_delay_alu instid0(VALU_DEP_3) | instskip(SKIP_2) | instid1(VALU_DEP_2)
	v_cndmask_b32_e64 v7, 0, v7, s1
	v_cmp_gt_i32_e64 s1, s33, v47
	v_add_nc_u32_e32 v47, 4, v26
	v_cndmask_b32_e64 v9, 0, v9, s1
	v_cmp_gt_i32_e64 s1, s33, v48
	v_add_nc_u32_e32 v48, 5, v26
	s_delay_alu instid0(VALU_DEP_2) | instskip(SKIP_2) | instid1(VALU_DEP_2)
	v_cndmask_b32_e64 v49, 0, v49, s1
	v_cmp_gt_i32_e64 s1, s33, v52
	v_add_nc_u32_e32 v52, 6, v26
	v_cndmask_b32_e64 v50, 0, v50, s1
	v_cmp_gt_i32_e64 s1, s33, v47
	v_add_nc_u32_e32 v47, 7, v26
	s_delay_alu instid0(VALU_DEP_2) | instskip(SKIP_1) | instid1(VALU_DEP_1)
	v_cndmask_b32_e64 v51, 0, v51, s1
	v_cmp_gt_i32_e64 s1, s33, v48
	v_cndmask_b32_e64 v14, 0, v14, s1
	v_cmp_gt_i32_e64 s1, s33, v52
	s_delay_alu instid0(VALU_DEP_1) | instskip(SKIP_1) | instid1(VALU_DEP_1)
	v_cndmask_b32_e64 v10, 0, v10, s1
	v_cmp_gt_i32_e64 s1, s33, v47
	v_cndmask_b32_e64 v8, 0, v8, s1
.LBB379_756:                            ;   in Loop: Header=BB379_377 Depth=1
	s_or_b32 exec_lo, exec_lo, s17
	v_lshlrev_b32_e32 v7, 16, v7
	s_delay_alu instid0(VALU_DEP_1) | instskip(NEXT) | instid1(VALU_DEP_1)
	v_mul_f32_e32 v47, v23, v7
	v_and_b32_e32 v7, 0x7f800000, v47
	s_delay_alu instid0(VALU_DEP_1) | instskip(NEXT) | instid1(VALU_DEP_1)
	v_cmp_ne_u32_e64 s1, 0x7f800000, v7
                                        ; implicit-def: $vgpr7
	s_and_saveexec_b32 s17, s1
	s_delay_alu instid0(SALU_CYCLE_1)
	s_xor_b32 s1, exec_lo, s17
; %bb.757:                              ;   in Loop: Header=BB379_377 Depth=1
	v_bfe_u32 v7, v47, 16, 1
	s_delay_alu instid0(VALU_DEP_1)
	v_add3_u32 v7, v47, v7, 0x7fff
                                        ; implicit-def: $vgpr47
; %bb.758:                              ;   in Loop: Header=BB379_377 Depth=1
	s_and_not1_saveexec_b32 s17, s1
; %bb.759:                              ;   in Loop: Header=BB379_377 Depth=1
	v_and_b32_e32 v7, 0xffff, v47
	v_or_b32_e32 v48, 0x10000, v47
	s_delay_alu instid0(VALU_DEP_2) | instskip(NEXT) | instid1(VALU_DEP_1)
	v_cmp_eq_u32_e64 s1, 0, v7
	v_cndmask_b32_e64 v7, v48, v47, s1
; %bb.760:                              ;   in Loop: Header=BB379_377 Depth=1
	s_or_b32 exec_lo, exec_lo, s17
	v_lshlrev_b32_e32 v9, 16, v9
	s_delay_alu instid0(VALU_DEP_1) | instskip(NEXT) | instid1(VALU_DEP_1)
	v_mul_f32_e32 v47, v24, v9
	v_and_b32_e32 v9, 0x7f800000, v47
	s_delay_alu instid0(VALU_DEP_1) | instskip(NEXT) | instid1(VALU_DEP_1)
	v_cmp_ne_u32_e64 s1, 0x7f800000, v9
                                        ; implicit-def: $vgpr9
	s_and_saveexec_b32 s17, s1
	s_delay_alu instid0(SALU_CYCLE_1)
	s_xor_b32 s1, exec_lo, s17
; %bb.761:                              ;   in Loop: Header=BB379_377 Depth=1
	v_bfe_u32 v9, v47, 16, 1
	s_delay_alu instid0(VALU_DEP_1)
	v_add3_u32 v9, v47, v9, 0x7fff
                                        ; implicit-def: $vgpr47
; %bb.762:                              ;   in Loop: Header=BB379_377 Depth=1
	s_and_not1_saveexec_b32 s17, s1
; %bb.763:                              ;   in Loop: Header=BB379_377 Depth=1
	v_and_b32_e32 v9, 0xffff, v47
	v_or_b32_e32 v48, 0x10000, v47
	s_delay_alu instid0(VALU_DEP_2) | instskip(NEXT) | instid1(VALU_DEP_1)
	v_cmp_eq_u32_e64 s1, 0, v9
	v_cndmask_b32_e64 v9, v48, v47, s1
; %bb.764:                              ;   in Loop: Header=BB379_377 Depth=1
	s_or_b32 exec_lo, exec_lo, s17
	v_lshlrev_b32_e32 v47, 16, v49
	s_delay_alu instid0(VALU_DEP_1) | instskip(NEXT) | instid1(VALU_DEP_1)
	v_mul_f32_e32 v48, v27, v47
	v_and_b32_e32 v47, 0x7f800000, v48
	s_delay_alu instid0(VALU_DEP_1) | instskip(NEXT) | instid1(VALU_DEP_1)
	v_cmp_ne_u32_e64 s1, 0x7f800000, v47
                                        ; implicit-def: $vgpr47
	s_and_saveexec_b32 s17, s1
	s_delay_alu instid0(SALU_CYCLE_1)
	s_xor_b32 s1, exec_lo, s17
; %bb.765:                              ;   in Loop: Header=BB379_377 Depth=1
	v_bfe_u32 v47, v48, 16, 1
	s_delay_alu instid0(VALU_DEP_1)
	v_add3_u32 v47, v48, v47, 0x7fff
                                        ; implicit-def: $vgpr48
; %bb.766:                              ;   in Loop: Header=BB379_377 Depth=1
	s_and_not1_saveexec_b32 s17, s1
; %bb.767:                              ;   in Loop: Header=BB379_377 Depth=1
	v_and_b32_e32 v47, 0xffff, v48
	v_or_b32_e32 v49, 0x10000, v48
	s_delay_alu instid0(VALU_DEP_2) | instskip(NEXT) | instid1(VALU_DEP_1)
	v_cmp_eq_u32_e64 s1, 0, v47
	v_cndmask_b32_e64 v47, v49, v48, s1
; %bb.768:                              ;   in Loop: Header=BB379_377 Depth=1
	s_or_b32 exec_lo, exec_lo, s17
	v_lshlrev_b32_e32 v48, 16, v50
	s_delay_alu instid0(VALU_DEP_1) | instskip(NEXT) | instid1(VALU_DEP_1)
	v_mul_f32_e32 v49, v28, v48
	v_and_b32_e32 v48, 0x7f800000, v49
	s_delay_alu instid0(VALU_DEP_1) | instskip(NEXT) | instid1(VALU_DEP_1)
	v_cmp_ne_u32_e64 s1, 0x7f800000, v48
                                        ; implicit-def: $vgpr48
	s_and_saveexec_b32 s17, s1
	s_delay_alu instid0(SALU_CYCLE_1)
	s_xor_b32 s1, exec_lo, s17
; %bb.769:                              ;   in Loop: Header=BB379_377 Depth=1
	v_bfe_u32 v48, v49, 16, 1
	s_delay_alu instid0(VALU_DEP_1)
	v_add3_u32 v48, v49, v48, 0x7fff
                                        ; implicit-def: $vgpr49
; %bb.770:                              ;   in Loop: Header=BB379_377 Depth=1
	s_and_not1_saveexec_b32 s17, s1
; %bb.771:                              ;   in Loop: Header=BB379_377 Depth=1
	v_and_b32_e32 v48, 0xffff, v49
	v_or_b32_e32 v50, 0x10000, v49
	s_delay_alu instid0(VALU_DEP_2) | instskip(NEXT) | instid1(VALU_DEP_1)
	v_cmp_eq_u32_e64 s1, 0, v48
	v_cndmask_b32_e64 v48, v50, v49, s1
; %bb.772:                              ;   in Loop: Header=BB379_377 Depth=1
	s_or_b32 exec_lo, exec_lo, s17
	v_lshlrev_b32_e32 v49, 16, v51
	s_delay_alu instid0(VALU_DEP_1) | instskip(NEXT) | instid1(VALU_DEP_1)
	v_mul_f32_e32 v50, v29, v49
	v_and_b32_e32 v49, 0x7f800000, v50
	s_delay_alu instid0(VALU_DEP_1) | instskip(NEXT) | instid1(VALU_DEP_1)
	v_cmp_ne_u32_e64 s1, 0x7f800000, v49
                                        ; implicit-def: $vgpr49
	s_and_saveexec_b32 s17, s1
	s_delay_alu instid0(SALU_CYCLE_1)
	s_xor_b32 s1, exec_lo, s17
; %bb.773:                              ;   in Loop: Header=BB379_377 Depth=1
	v_bfe_u32 v49, v50, 16, 1
	s_delay_alu instid0(VALU_DEP_1)
	v_add3_u32 v49, v50, v49, 0x7fff
                                        ; implicit-def: $vgpr50
; %bb.774:                              ;   in Loop: Header=BB379_377 Depth=1
	s_and_not1_saveexec_b32 s17, s1
; %bb.775:                              ;   in Loop: Header=BB379_377 Depth=1
	v_and_b32_e32 v49, 0xffff, v50
	v_or_b32_e32 v51, 0x10000, v50
	s_delay_alu instid0(VALU_DEP_2) | instskip(NEXT) | instid1(VALU_DEP_1)
	v_cmp_eq_u32_e64 s1, 0, v49
	v_cndmask_b32_e64 v49, v51, v50, s1
; %bb.776:                              ;   in Loop: Header=BB379_377 Depth=1
	s_or_b32 exec_lo, exec_lo, s17
	v_lshlrev_b32_e32 v14, 16, v14
	s_delay_alu instid0(VALU_DEP_1) | instskip(NEXT) | instid1(VALU_DEP_1)
	v_mul_f32_e32 v50, v30, v14
	v_and_b32_e32 v14, 0x7f800000, v50
	s_delay_alu instid0(VALU_DEP_1) | instskip(NEXT) | instid1(VALU_DEP_1)
	v_cmp_ne_u32_e64 s1, 0x7f800000, v14
                                        ; implicit-def: $vgpr14
	s_and_saveexec_b32 s17, s1
	s_delay_alu instid0(SALU_CYCLE_1)
	s_xor_b32 s1, exec_lo, s17
; %bb.777:                              ;   in Loop: Header=BB379_377 Depth=1
	v_bfe_u32 v14, v50, 16, 1
	s_delay_alu instid0(VALU_DEP_1)
	v_add3_u32 v14, v50, v14, 0x7fff
                                        ; implicit-def: $vgpr50
; %bb.778:                              ;   in Loop: Header=BB379_377 Depth=1
	s_and_not1_saveexec_b32 s17, s1
; %bb.779:                              ;   in Loop: Header=BB379_377 Depth=1
	v_and_b32_e32 v14, 0xffff, v50
	v_or_b32_e32 v51, 0x10000, v50
	s_delay_alu instid0(VALU_DEP_2) | instskip(NEXT) | instid1(VALU_DEP_1)
	v_cmp_eq_u32_e64 s1, 0, v14
	v_cndmask_b32_e64 v14, v51, v50, s1
; %bb.780:                              ;   in Loop: Header=BB379_377 Depth=1
	s_or_b32 exec_lo, exec_lo, s17
	v_lshlrev_b32_e32 v10, 16, v10
	s_delay_alu instid0(VALU_DEP_1) | instskip(NEXT) | instid1(VALU_DEP_1)
	v_mul_f32_e32 v50, v31, v10
	v_and_b32_e32 v10, 0x7f800000, v50
	s_delay_alu instid0(VALU_DEP_1) | instskip(NEXT) | instid1(VALU_DEP_1)
	v_cmp_ne_u32_e64 s1, 0x7f800000, v10
                                        ; implicit-def: $vgpr10
	s_and_saveexec_b32 s17, s1
	s_delay_alu instid0(SALU_CYCLE_1)
	s_xor_b32 s1, exec_lo, s17
; %bb.781:                              ;   in Loop: Header=BB379_377 Depth=1
	v_bfe_u32 v10, v50, 16, 1
	s_delay_alu instid0(VALU_DEP_1)
	v_add3_u32 v10, v50, v10, 0x7fff
                                        ; implicit-def: $vgpr50
; %bb.782:                              ;   in Loop: Header=BB379_377 Depth=1
	s_and_not1_saveexec_b32 s17, s1
; %bb.783:                              ;   in Loop: Header=BB379_377 Depth=1
	v_and_b32_e32 v10, 0xffff, v50
	v_or_b32_e32 v51, 0x10000, v50
	s_delay_alu instid0(VALU_DEP_2) | instskip(NEXT) | instid1(VALU_DEP_1)
	v_cmp_eq_u32_e64 s1, 0, v10
	v_cndmask_b32_e64 v10, v51, v50, s1
; %bb.784:                              ;   in Loop: Header=BB379_377 Depth=1
	s_or_b32 exec_lo, exec_lo, s17
	v_lshlrev_b32_e32 v8, 16, v8
	s_delay_alu instid0(VALU_DEP_1) | instskip(NEXT) | instid1(VALU_DEP_1)
	v_mul_f32_e32 v50, v32, v8
	v_and_b32_e32 v8, 0x7f800000, v50
	s_delay_alu instid0(VALU_DEP_1) | instskip(NEXT) | instid1(VALU_DEP_1)
	v_cmp_ne_u32_e64 s1, 0x7f800000, v8
                                        ; implicit-def: $vgpr8
	s_and_saveexec_b32 s17, s1
	s_delay_alu instid0(SALU_CYCLE_1)
	s_xor_b32 s1, exec_lo, s17
; %bb.785:                              ;   in Loop: Header=BB379_377 Depth=1
	v_bfe_u32 v8, v50, 16, 1
	s_delay_alu instid0(VALU_DEP_1)
	v_add3_u32 v8, v50, v8, 0x7fff
                                        ; implicit-def: $vgpr50
; %bb.786:                              ;   in Loop: Header=BB379_377 Depth=1
	s_and_not1_saveexec_b32 s17, s1
; %bb.787:                              ;   in Loop: Header=BB379_377 Depth=1
	v_and_b32_e32 v8, 0xffff, v50
	v_or_b32_e32 v51, 0x10000, v50
	s_delay_alu instid0(VALU_DEP_2) | instskip(NEXT) | instid1(VALU_DEP_1)
	v_cmp_eq_u32_e64 s1, 0, v8
	v_cndmask_b32_e64 v8, v51, v50, s1
; %bb.788:                              ;   in Loop: Header=BB379_377 Depth=1
	s_or_b32 exec_lo, exec_lo, s17
	v_and_b32_e32 v12, 0xffff0000, v12
	v_and_b32_e32 v10, 0xffff0000, v10
	s_delay_alu instid0(VALU_DEP_3) | instskip(SKIP_3) | instid1(VALU_DEP_4)
	v_and_b32_e32 v8, 0xffff0000, v8
	v_and_b32_e32 v11, 0xffff0000, v11
	;; [unrolled: 1-line block ×4, first 2 shown]
	v_dual_add_f32 v8, v10, v8 :: v_dual_and_b32 v9, 0xffff0000, v9
	s_delay_alu instid0(VALU_DEP_4)
	v_dual_add_f32 v11, v11, v12 :: v_dual_and_b32 v38, 0xffff0000, v38
	v_and_b32_e32 v35, 0xffff0000, v35
	v_and_b32_e32 v33, 0xffff0000, v33
	;; [unrolled: 1-line block ×5, first 2 shown]
	s_delay_alu instid0(VALU_DEP_3) | instskip(SKIP_1) | instid1(VALU_DEP_4)
	v_dual_add_f32 v33, v33, v34 :: v_dual_add_f32 v34, v35, v36
	v_add_f32_e32 v36, v37, v38
	v_dual_add_f32 v7, v7, v9 :: v_dual_and_b32 v38, 0xffff0000, v43
	v_and_b32_e32 v43, 0xffff0000, v47
	s_delay_alu instid0(VALU_DEP_4) | instskip(SKIP_2) | instid1(VALU_DEP_3)
	v_dual_add_f32 v33, v33, v34 :: v_dual_and_b32 v34, 0xffff0000, v40
	v_and_b32_e32 v37, 0xffff0000, v44
	v_and_b32_e32 v35, 0xffff0000, v39
	v_dual_add_f32 v33, v33, v36 :: v_dual_and_b32 v40, 0xffff0000, v45
	v_and_b32_e32 v36, 0xffff0000, v41
	v_and_b32_e32 v41, 0xffff0000, v46
	;; [unrolled: 1-line block ×4, first 2 shown]
	s_delay_alu instid0(VALU_DEP_1) | instskip(SKIP_1) | instid1(VALU_DEP_2)
	v_dual_add_f32 v9, v43, v42 :: v_dual_add_f32 v12, v36, v39
	v_and_b32_e32 v36, 0xffff0000, v49
	v_add_f32_e32 v7, v7, v9
	s_delay_alu instid0(VALU_DEP_3) | instskip(NEXT) | instid1(VALU_DEP_1)
	v_dual_add_f32 v11, v11, v12 :: v_dual_add_f32 v12, v38, v37
	v_add_f32_e32 v11, v11, v12
	s_delay_alu instid0(VALU_DEP_4) | instskip(SKIP_2) | instid1(VALU_DEP_3)
	v_add_f32_e32 v9, v36, v14
	v_add_f32_e32 v14, v35, v34
	;; [unrolled: 1-line block ×4, first 2 shown]
	s_delay_alu instid0(VALU_DEP_2) | instskip(NEXT) | instid1(VALU_DEP_2)
	v_dual_add_f32 v9, v33, v14 :: v_dual_add_f32 v10, v11, v12
	v_add_f32_e32 v7, v7, v8
	s_delay_alu instid0(VALU_DEP_2) | instskip(NEXT) | instid1(VALU_DEP_2)
	v_dual_add_f32 v1, v1, v9 :: v_dual_add_f32 v2, v2, v10
	v_add_f32_e32 v3, v3, v7
	s_and_saveexec_b32 s17, vcc_lo
	s_cbranch_execz .LBB379_375
; %bb.789:                              ;   in Loop: Header=BB379_377 Depth=1
	v_add_co_u32 v5, s1, v5, v21
	s_delay_alu instid0(VALU_DEP_1)
	v_add_co_ci_u32_e64 v6, s1, 0, v6, s1
	s_mov_b32 s20, exec_lo
	v_mov_b32_e32 v7, 0
	global_load_b64 v[5:6], v[5:6], off
	s_waitcnt vmcnt(0)
	v_and_b32_e32 v8, 0xff, v5
	s_delay_alu instid0(VALU_DEP_1)
	v_cmpx_ne_u16_e32 0, v8
	s_cbranch_execz .LBB379_795
; %bb.790:                              ;   in Loop: Header=BB379_377 Depth=1
	v_bfrev_b32_e32 v7, 1
	s_mov_b32 s21, exec_lo
	v_cmpx_ne_u16_e32 0x80, v8
	s_cbranch_execz .LBB379_794
; %bb.791:                              ;   in Loop: Header=BB379_377 Depth=1
	v_and_b32_e32 v8, 0x7f, v5
	v_mov_b32_e32 v7, 0x7f800001
	s_mov_b32 s22, exec_lo
	s_delay_alu instid0(VALU_DEP_2)
	v_cmpx_ne_u32_e32 0x7f, v8
	s_cbranch_execz .LBB379_793
; %bb.792:                              ;   in Loop: Header=BB379_377 Depth=1
	v_and_b32_e32 v7, 7, v5
	v_lshrrev_b32_e32 v9, 3, v8
	v_cmp_gt_u32_e64 s1, 8, v8
	s_delay_alu instid0(VALU_DEP_3) | instskip(NEXT) | instid1(VALU_DEP_1)
	v_clz_i32_u32_e32 v7, v7
	v_min_u32_e32 v7, 32, v7
	s_delay_alu instid0(VALU_DEP_1) | instskip(SKIP_1) | instid1(VALU_DEP_1)
	v_subrev_nc_u32_e32 v10, 28, v7
	v_sub_nc_u32_e32 v7, 29, v7
	v_cndmask_b32_e64 v9, v9, v7, s1
	s_delay_alu instid0(VALU_DEP_3) | instskip(NEXT) | instid1(VALU_DEP_2)
	v_cndmask_b32_e64 v7, 0, v10, s1
	v_lshl_add_u32 v9, v9, 23, 0x3c000000
	s_delay_alu instid0(VALU_DEP_2) | instskip(SKIP_1) | instid1(VALU_DEP_2)
	v_lshlrev_b64 v[7:8], v7, v[5:6]
	v_lshlrev_b32_e32 v8, 24, v5
	v_lshlrev_b32_e32 v7, 20, v7
	s_delay_alu instid0(VALU_DEP_2) | instskip(NEXT) | instid1(VALU_DEP_2)
	v_and_b32_e32 v8, 0x80000000, v8
	v_and_b32_e32 v7, 0x700000, v7
	s_delay_alu instid0(VALU_DEP_1)
	v_or3_b32 v7, v7, v8, v9
.LBB379_793:                            ;   in Loop: Header=BB379_377 Depth=1
	s_or_b32 exec_lo, exec_lo, s22
.LBB379_794:                            ;   in Loop: Header=BB379_377 Depth=1
	s_delay_alu instid0(SALU_CYCLE_1)
	s_or_b32 exec_lo, exec_lo, s21
.LBB379_795:                            ;   in Loop: Header=BB379_377 Depth=1
	s_delay_alu instid0(SALU_CYCLE_1) | instskip(NEXT) | instid1(VALU_DEP_1)
	s_or_b32 exec_lo, exec_lo, s20
	v_mul_f32_e32 v7, s11, v7
                                        ; implicit-def: $vgpr9
	s_delay_alu instid0(VALU_DEP_1) | instskip(NEXT) | instid1(VALU_DEP_1)
	v_and_b32_e32 v8, 0x7f800000, v7
	v_cmp_ne_u32_e64 s1, 0x7f800000, v8
	s_delay_alu instid0(VALU_DEP_1) | instskip(NEXT) | instid1(SALU_CYCLE_1)
	s_and_saveexec_b32 s20, s1
	s_xor_b32 s1, exec_lo, s20
; %bb.796:                              ;   in Loop: Header=BB379_377 Depth=1
	v_bfe_u32 v8, v7, 16, 1
	s_delay_alu instid0(VALU_DEP_1)
	v_add3_u32 v9, v7, v8, 0x7fff
                                        ; implicit-def: $vgpr7
; %bb.797:                              ;   in Loop: Header=BB379_377 Depth=1
	s_and_not1_saveexec_b32 s20, s1
; %bb.798:                              ;   in Loop: Header=BB379_377 Depth=1
	v_and_b32_e32 v8, 0xffff, v7
	v_or_b32_e32 v9, 0x10000, v7
	s_delay_alu instid0(VALU_DEP_2) | instskip(NEXT) | instid1(VALU_DEP_1)
	v_cmp_eq_u32_e64 s1, 0, v8
	v_cndmask_b32_e64 v9, v9, v7, s1
; %bb.799:                              ;   in Loop: Header=BB379_377 Depth=1
	s_or_b32 exec_lo, exec_lo, s20
	v_lshrrev_b16 v8, 8, v5
	v_mov_b32_e32 v7, 0
	s_mov_b32 s20, exec_lo
	s_delay_alu instid0(VALU_DEP_2)
	v_cmpx_ne_u16_e32 0, v8
	s_cbranch_execz .LBB379_807
; %bb.800:                              ;   in Loop: Header=BB379_377 Depth=1
	v_bfrev_b32_e32 v7, 1
	s_mov_b32 s21, exec_lo
	v_cmpx_ne_u16_e32 0x80, v8
	s_cbranch_execz .LBB379_806
; %bb.801:                              ;   in Loop: Header=BB379_377 Depth=1
	v_and_b32_e32 v10, 0xffff, v8
	v_mov_b32_e32 v7, 0x7f800001
	s_mov_b32 s22, exec_lo
	s_delay_alu instid0(VALU_DEP_2) | instskip(NEXT) | instid1(VALU_DEP_1)
	v_and_b32_e32 v8, 0x7f, v10
	v_cmpx_ne_u32_e32 0x7f, v8
	s_cbranch_execz .LBB379_805
; %bb.802:                              ;   in Loop: Header=BB379_377 Depth=1
	v_and_b32_e32 v14, 7, v10
	v_lshrrev_b32_e32 v7, 3, v8
	s_mov_b32 s23, exec_lo
	v_cmpx_gt_u32_e32 8, v8
; %bb.803:                              ;   in Loop: Header=BB379_377 Depth=1
	s_delay_alu instid0(VALU_DEP_3) | instskip(NEXT) | instid1(VALU_DEP_1)
	v_clz_i32_u32_e32 v7, v14
	v_min_u32_e32 v7, 32, v7
	s_delay_alu instid0(VALU_DEP_1) | instskip(SKIP_1) | instid1(VALU_DEP_2)
	v_subrev_nc_u32_e32 v8, 28, v7
	v_sub_nc_u32_e32 v7, 29, v7
	v_lshlrev_b64 v[10:11], v8, v[14:15]
	s_delay_alu instid0(VALU_DEP_1)
	v_and_b32_e32 v14, 7, v10
; %bb.804:                              ;   in Loop: Header=BB379_377 Depth=1
	s_or_b32 exec_lo, exec_lo, s23
	v_lshlrev_b32_e32 v8, 16, v5
	s_delay_alu instid0(VALU_DEP_2) | instskip(SKIP_1) | instid1(VALU_DEP_3)
	v_lshlrev_b32_e32 v10, 20, v14
	v_lshl_add_u32 v7, v7, 23, 0x3c000000
	v_and_b32_e32 v8, 0x80000000, v8
	s_delay_alu instid0(VALU_DEP_1)
	v_or3_b32 v7, v10, v8, v7
.LBB379_805:                            ;   in Loop: Header=BB379_377 Depth=1
	s_or_b32 exec_lo, exec_lo, s22
.LBB379_806:                            ;   in Loop: Header=BB379_377 Depth=1
	s_delay_alu instid0(SALU_CYCLE_1)
	s_or_b32 exec_lo, exec_lo, s21
.LBB379_807:                            ;   in Loop: Header=BB379_377 Depth=1
	s_delay_alu instid0(SALU_CYCLE_1) | instskip(NEXT) | instid1(VALU_DEP_1)
	s_or_b32 exec_lo, exec_lo, s20
	v_mul_f32_e32 v7, s11, v7
                                        ; implicit-def: $vgpr10
	s_delay_alu instid0(VALU_DEP_1) | instskip(NEXT) | instid1(VALU_DEP_1)
	v_and_b32_e32 v8, 0x7f800000, v7
	v_cmp_ne_u32_e64 s1, 0x7f800000, v8
	s_delay_alu instid0(VALU_DEP_1) | instskip(NEXT) | instid1(SALU_CYCLE_1)
	s_and_saveexec_b32 s20, s1
	s_xor_b32 s1, exec_lo, s20
; %bb.808:                              ;   in Loop: Header=BB379_377 Depth=1
	v_bfe_u32 v8, v7, 16, 1
	s_delay_alu instid0(VALU_DEP_1)
	v_add3_u32 v10, v7, v8, 0x7fff
                                        ; implicit-def: $vgpr7
; %bb.809:                              ;   in Loop: Header=BB379_377 Depth=1
	s_and_not1_saveexec_b32 s20, s1
; %bb.810:                              ;   in Loop: Header=BB379_377 Depth=1
	v_and_b32_e32 v8, 0xffff, v7
	v_or_b32_e32 v10, 0x10000, v7
	s_delay_alu instid0(VALU_DEP_2) | instskip(NEXT) | instid1(VALU_DEP_1)
	v_cmp_eq_u32_e64 s1, 0, v8
	v_cndmask_b32_e64 v10, v10, v7, s1
; %bb.811:                              ;   in Loop: Header=BB379_377 Depth=1
	s_or_b32 exec_lo, exec_lo, s20
	v_lshrrev_b32_e32 v7, 16, v5
	s_mov_b32 s20, exec_lo
	s_delay_alu instid0(VALU_DEP_1) | instskip(NEXT) | instid1(VALU_DEP_1)
	v_dual_mov_b32 v8, 0 :: v_dual_and_b32 v11, 0xff, v7
	v_cmpx_ne_u16_e32 0, v11
	s_cbranch_execz .LBB379_819
; %bb.812:                              ;   in Loop: Header=BB379_377 Depth=1
	v_bfrev_b32_e32 v8, 1
	s_mov_b32 s21, exec_lo
	v_cmpx_ne_u16_e32 0x80, v11
	s_cbranch_execz .LBB379_818
; %bb.813:                              ;   in Loop: Header=BB379_377 Depth=1
	v_bfe_u32 v11, v5, 16, 7
	v_mov_b32_e32 v8, 0x7f800001
	s_mov_b32 s22, exec_lo
	s_delay_alu instid0(VALU_DEP_2)
	v_cmpx_ne_u32_e32 0x7f, v11
	s_cbranch_execz .LBB379_817
; %bb.814:                              ;   in Loop: Header=BB379_377 Depth=1
	v_and_b32_e32 v14, 7, v7
	v_lshrrev_b32_e32 v8, 3, v11
	s_mov_b32 s23, exec_lo
	v_cmpx_gt_u32_e32 8, v11
; %bb.815:                              ;   in Loop: Header=BB379_377 Depth=1
	s_delay_alu instid0(VALU_DEP_3) | instskip(NEXT) | instid1(VALU_DEP_1)
	v_clz_i32_u32_e32 v8, v14
	v_min_u32_e32 v8, 32, v8
	s_delay_alu instid0(VALU_DEP_1) | instskip(SKIP_1) | instid1(VALU_DEP_2)
	v_subrev_nc_u32_e32 v11, 28, v8
	v_sub_nc_u32_e32 v8, 29, v8
	v_lshlrev_b64 v[11:12], v11, v[14:15]
	s_delay_alu instid0(VALU_DEP_1)
	v_and_b32_e32 v14, 7, v11
; %bb.816:                              ;   in Loop: Header=BB379_377 Depth=1
	s_or_b32 exec_lo, exec_lo, s23
	v_lshlrev_b32_e32 v7, 24, v7
	s_delay_alu instid0(VALU_DEP_2) | instskip(SKIP_1) | instid1(VALU_DEP_3)
	v_lshlrev_b32_e32 v11, 20, v14
	v_lshl_add_u32 v8, v8, 23, 0x3c000000
	v_and_b32_e32 v7, 0x80000000, v7
	s_delay_alu instid0(VALU_DEP_1)
	v_or3_b32 v8, v11, v7, v8
.LBB379_817:                            ;   in Loop: Header=BB379_377 Depth=1
	s_or_b32 exec_lo, exec_lo, s22
.LBB379_818:                            ;   in Loop: Header=BB379_377 Depth=1
	s_delay_alu instid0(SALU_CYCLE_1)
	s_or_b32 exec_lo, exec_lo, s21
.LBB379_819:                            ;   in Loop: Header=BB379_377 Depth=1
	s_delay_alu instid0(SALU_CYCLE_1) | instskip(NEXT) | instid1(VALU_DEP_1)
	s_or_b32 exec_lo, exec_lo, s20
	v_mul_f32_e32 v7, s11, v8
                                        ; implicit-def: $vgpr11
	s_delay_alu instid0(VALU_DEP_1) | instskip(NEXT) | instid1(VALU_DEP_1)
	v_and_b32_e32 v8, 0x7f800000, v7
	v_cmp_ne_u32_e64 s1, 0x7f800000, v8
	s_delay_alu instid0(VALU_DEP_1) | instskip(NEXT) | instid1(SALU_CYCLE_1)
	s_and_saveexec_b32 s20, s1
	s_xor_b32 s1, exec_lo, s20
; %bb.820:                              ;   in Loop: Header=BB379_377 Depth=1
	v_bfe_u32 v8, v7, 16, 1
	s_delay_alu instid0(VALU_DEP_1)
	v_add3_u32 v11, v7, v8, 0x7fff
                                        ; implicit-def: $vgpr7
; %bb.821:                              ;   in Loop: Header=BB379_377 Depth=1
	s_and_not1_saveexec_b32 s20, s1
; %bb.822:                              ;   in Loop: Header=BB379_377 Depth=1
	v_and_b32_e32 v8, 0xffff, v7
	v_or_b32_e32 v11, 0x10000, v7
	s_delay_alu instid0(VALU_DEP_2) | instskip(NEXT) | instid1(VALU_DEP_1)
	v_cmp_eq_u32_e64 s1, 0, v8
	v_cndmask_b32_e64 v11, v11, v7, s1
; %bb.823:                              ;   in Loop: Header=BB379_377 Depth=1
	s_or_b32 exec_lo, exec_lo, s20
	v_mov_b32_e32 v8, 0
	s_mov_b32 s20, exec_lo
	v_cmpx_lt_u32_e32 0xffffff, v5
	s_cbranch_execz .LBB379_831
; %bb.824:                              ;   in Loop: Header=BB379_377 Depth=1
	v_lshrrev_b32_e32 v7, 24, v5
	v_bfrev_b32_e32 v8, 1
	s_mov_b32 s21, exec_lo
	s_delay_alu instid0(VALU_DEP_2)
	v_cmpx_ne_u32_e32 0x80, v7
	s_cbranch_execz .LBB379_830
; %bb.825:                              ;   in Loop: Header=BB379_377 Depth=1
	v_bfe_u32 v12, v5, 24, 7
	v_mov_b32_e32 v8, 0x7f800001
	s_mov_b32 s22, exec_lo
	s_delay_alu instid0(VALU_DEP_2)
	v_cmpx_ne_u32_e32 0x7f, v12
	s_cbranch_execz .LBB379_829
; %bb.826:                              ;   in Loop: Header=BB379_377 Depth=1
	v_and_b32_e32 v14, 7, v7
	v_lshrrev_b32_e32 v8, 3, v12
	s_mov_b32 s23, exec_lo
	v_cmpx_gt_u32_e32 8, v12
; %bb.827:                              ;   in Loop: Header=BB379_377 Depth=1
	s_delay_alu instid0(VALU_DEP_3) | instskip(NEXT) | instid1(VALU_DEP_1)
	v_clz_i32_u32_e32 v8, v14
	v_min_u32_e32 v8, 32, v8
	s_delay_alu instid0(VALU_DEP_1) | instskip(SKIP_1) | instid1(VALU_DEP_2)
	v_subrev_nc_u32_e32 v12, 28, v8
	v_sub_nc_u32_e32 v8, 29, v8
	v_lshlrev_b64 v[33:34], v12, v[14:15]
	s_delay_alu instid0(VALU_DEP_1)
	v_and_b32_e32 v14, 7, v33
; %bb.828:                              ;   in Loop: Header=BB379_377 Depth=1
	s_or_b32 exec_lo, exec_lo, s23
	v_lshlrev_b32_e32 v7, 24, v7
	s_delay_alu instid0(VALU_DEP_2) | instskip(SKIP_1) | instid1(VALU_DEP_3)
	v_lshlrev_b32_e32 v12, 20, v14
	v_lshl_add_u32 v8, v8, 23, 0x3c000000
	v_and_b32_e32 v7, 0x80000000, v7
	s_delay_alu instid0(VALU_DEP_1)
	v_or3_b32 v8, v12, v7, v8
.LBB379_829:                            ;   in Loop: Header=BB379_377 Depth=1
	s_or_b32 exec_lo, exec_lo, s22
.LBB379_830:                            ;   in Loop: Header=BB379_377 Depth=1
	s_delay_alu instid0(SALU_CYCLE_1)
	s_or_b32 exec_lo, exec_lo, s21
.LBB379_831:                            ;   in Loop: Header=BB379_377 Depth=1
	s_delay_alu instid0(SALU_CYCLE_1) | instskip(NEXT) | instid1(VALU_DEP_1)
	s_or_b32 exec_lo, exec_lo, s20
	v_mul_f32_e32 v7, s11, v8
                                        ; implicit-def: $vgpr12
	s_delay_alu instid0(VALU_DEP_1) | instskip(NEXT) | instid1(VALU_DEP_1)
	v_and_b32_e32 v8, 0x7f800000, v7
	v_cmp_ne_u32_e64 s1, 0x7f800000, v8
	s_delay_alu instid0(VALU_DEP_1) | instskip(NEXT) | instid1(SALU_CYCLE_1)
	s_and_saveexec_b32 s20, s1
	s_xor_b32 s1, exec_lo, s20
; %bb.832:                              ;   in Loop: Header=BB379_377 Depth=1
	v_bfe_u32 v8, v7, 16, 1
	s_delay_alu instid0(VALU_DEP_1)
	v_add3_u32 v12, v7, v8, 0x7fff
                                        ; implicit-def: $vgpr7
; %bb.833:                              ;   in Loop: Header=BB379_377 Depth=1
	s_and_not1_saveexec_b32 s20, s1
; %bb.834:                              ;   in Loop: Header=BB379_377 Depth=1
	v_and_b32_e32 v8, 0xffff, v7
	v_or_b32_e32 v12, 0x10000, v7
	s_delay_alu instid0(VALU_DEP_2) | instskip(NEXT) | instid1(VALU_DEP_1)
	v_cmp_eq_u32_e64 s1, 0, v8
	v_cndmask_b32_e64 v12, v12, v7, s1
; %bb.835:                              ;   in Loop: Header=BB379_377 Depth=1
	s_or_b32 exec_lo, exec_lo, s20
	v_dual_mov_b32 v7, 0 :: v_dual_and_b32 v8, 0xff, v6
	v_mov_b32_e32 v14, v6
	s_mov_b32 s20, exec_lo
	s_delay_alu instid0(VALU_DEP_2)
	v_cmpx_ne_u16_e32 0, v8
	s_cbranch_execz .LBB379_841
; %bb.836:                              ;   in Loop: Header=BB379_377 Depth=1
	v_bfrev_b32_e32 v7, 1
	s_mov_b32 s21, exec_lo
	v_cmpx_ne_u16_e32 0x80, v8
	s_cbranch_execz .LBB379_840
; %bb.837:                              ;   in Loop: Header=BB379_377 Depth=1
	v_and_b32_e32 v8, 0x7f, v6
	v_mov_b32_e32 v7, 0x7f800001
	s_mov_b32 s22, exec_lo
	s_delay_alu instid0(VALU_DEP_2)
	v_cmpx_ne_u32_e32 0x7f, v8
	s_cbranch_execz .LBB379_839
; %bb.838:                              ;   in Loop: Header=BB379_377 Depth=1
	v_and_b32_e32 v7, 7, v6
	v_lshrrev_b32_e32 v33, 3, v8
	v_cmp_gt_u32_e64 s1, 8, v8
	s_delay_alu instid0(VALU_DEP_3) | instskip(NEXT) | instid1(VALU_DEP_1)
	v_clz_i32_u32_e32 v7, v7
	v_min_u32_e32 v7, 32, v7
	s_delay_alu instid0(VALU_DEP_1) | instskip(SKIP_1) | instid1(VALU_DEP_1)
	v_subrev_nc_u32_e32 v34, 28, v7
	v_sub_nc_u32_e32 v7, 29, v7
	v_cndmask_b32_e64 v33, v33, v7, s1
	s_delay_alu instid0(VALU_DEP_3) | instskip(NEXT) | instid1(VALU_DEP_2)
	v_cndmask_b32_e64 v7, 0, v34, s1
	v_lshl_add_u32 v33, v33, 23, 0x3c000000
	s_delay_alu instid0(VALU_DEP_2) | instskip(SKIP_1) | instid1(VALU_DEP_2)
	v_lshlrev_b64 v[7:8], v7, v[14:15]
	v_lshlrev_b32_e32 v8, 24, v14
	v_lshlrev_b32_e32 v7, 20, v7
	s_delay_alu instid0(VALU_DEP_2) | instskip(NEXT) | instid1(VALU_DEP_2)
	v_and_b32_e32 v8, 0x80000000, v8
	v_and_b32_e32 v7, 0x700000, v7
	s_delay_alu instid0(VALU_DEP_1)
	v_or3_b32 v7, v7, v8, v33
.LBB379_839:                            ;   in Loop: Header=BB379_377 Depth=1
	s_or_b32 exec_lo, exec_lo, s22
.LBB379_840:                            ;   in Loop: Header=BB379_377 Depth=1
	s_delay_alu instid0(SALU_CYCLE_1)
	s_or_b32 exec_lo, exec_lo, s21
.LBB379_841:                            ;   in Loop: Header=BB379_377 Depth=1
	s_delay_alu instid0(SALU_CYCLE_1) | instskip(NEXT) | instid1(VALU_DEP_1)
	s_or_b32 exec_lo, exec_lo, s20
	v_mul_f32_e32 v7, s11, v7
                                        ; implicit-def: $vgpr33
	s_delay_alu instid0(VALU_DEP_1) | instskip(NEXT) | instid1(VALU_DEP_1)
	v_and_b32_e32 v8, 0x7f800000, v7
	v_cmp_ne_u32_e64 s1, 0x7f800000, v8
	s_delay_alu instid0(VALU_DEP_1) | instskip(NEXT) | instid1(SALU_CYCLE_1)
	s_and_saveexec_b32 s20, s1
	s_xor_b32 s1, exec_lo, s20
; %bb.842:                              ;   in Loop: Header=BB379_377 Depth=1
	v_bfe_u32 v8, v7, 16, 1
	s_delay_alu instid0(VALU_DEP_1)
	v_add3_u32 v33, v7, v8, 0x7fff
                                        ; implicit-def: $vgpr7
; %bb.843:                              ;   in Loop: Header=BB379_377 Depth=1
	s_and_not1_saveexec_b32 s20, s1
; %bb.844:                              ;   in Loop: Header=BB379_377 Depth=1
	v_and_b32_e32 v8, 0xffff, v7
	v_or_b32_e32 v33, 0x10000, v7
	s_delay_alu instid0(VALU_DEP_2) | instskip(NEXT) | instid1(VALU_DEP_1)
	v_cmp_eq_u32_e64 s1, 0, v8
	v_cndmask_b32_e64 v33, v33, v7, s1
; %bb.845:                              ;   in Loop: Header=BB379_377 Depth=1
	s_or_b32 exec_lo, exec_lo, s20
	v_lshrrev_b16 v8, 8, v14
	v_mov_b32_e32 v7, 0
	s_mov_b32 s20, exec_lo
	s_delay_alu instid0(VALU_DEP_2)
	v_cmpx_ne_u16_e32 0, v8
	s_cbranch_execz .LBB379_853
; %bb.846:                              ;   in Loop: Header=BB379_377 Depth=1
	v_bfrev_b32_e32 v7, 1
	s_mov_b32 s21, exec_lo
	v_cmpx_ne_u16_e32 0x80, v8
	s_cbranch_execz .LBB379_852
; %bb.847:                              ;   in Loop: Header=BB379_377 Depth=1
	v_and_b32_e32 v8, 0xffff, v8
	v_mov_b32_e32 v7, 0x7f800001
	s_mov_b32 s22, exec_lo
	s_delay_alu instid0(VALU_DEP_2) | instskip(NEXT) | instid1(VALU_DEP_1)
	v_and_b32_e32 v35, 0x7f, v8
	v_cmpx_ne_u32_e32 0x7f, v35
	s_cbranch_execz .LBB379_851
; %bb.848:                              ;   in Loop: Header=BB379_377 Depth=1
	v_dual_mov_b32 v8, v15 :: v_dual_and_b32 v7, 7, v8
	v_lshrrev_b32_e32 v34, 3, v35
	s_mov_b32 s23, exec_lo
	v_cmpx_gt_u32_e32 8, v35
; %bb.849:                              ;   in Loop: Header=BB379_377 Depth=1
	s_delay_alu instid0(VALU_DEP_3) | instskip(NEXT) | instid1(VALU_DEP_1)
	v_clz_i32_u32_e32 v34, v7
	v_min_u32_e32 v34, 32, v34
	s_delay_alu instid0(VALU_DEP_1) | instskip(SKIP_1) | instid1(VALU_DEP_2)
	v_subrev_nc_u32_e32 v35, 28, v34
	v_sub_nc_u32_e32 v34, 29, v34
	v_lshlrev_b64 v[7:8], v35, v[7:8]
	s_delay_alu instid0(VALU_DEP_1)
	v_and_b32_e32 v7, 7, v7
; %bb.850:                              ;   in Loop: Header=BB379_377 Depth=1
	s_or_b32 exec_lo, exec_lo, s23
	v_lshlrev_b32_e32 v8, 16, v14
	s_delay_alu instid0(VALU_DEP_2) | instskip(SKIP_1) | instid1(VALU_DEP_3)
	v_lshlrev_b32_e32 v7, 20, v7
	v_lshl_add_u32 v14, v34, 23, 0x3c000000
	v_and_b32_e32 v8, 0x80000000, v8
	s_delay_alu instid0(VALU_DEP_1)
	v_or3_b32 v7, v7, v8, v14
.LBB379_851:                            ;   in Loop: Header=BB379_377 Depth=1
	s_or_b32 exec_lo, exec_lo, s22
.LBB379_852:                            ;   in Loop: Header=BB379_377 Depth=1
	s_delay_alu instid0(SALU_CYCLE_1)
	s_or_b32 exec_lo, exec_lo, s21
.LBB379_853:                            ;   in Loop: Header=BB379_377 Depth=1
	s_delay_alu instid0(SALU_CYCLE_1) | instskip(NEXT) | instid1(VALU_DEP_1)
	s_or_b32 exec_lo, exec_lo, s20
	v_mul_f32_e32 v8, s11, v7
	s_delay_alu instid0(VALU_DEP_1) | instskip(NEXT) | instid1(VALU_DEP_1)
	v_and_b32_e32 v7, 0x7f800000, v8
	v_cmp_ne_u32_e64 s1, 0x7f800000, v7
                                        ; implicit-def: $vgpr7
	s_delay_alu instid0(VALU_DEP_1) | instskip(NEXT) | instid1(SALU_CYCLE_1)
	s_and_saveexec_b32 s20, s1
	s_xor_b32 s1, exec_lo, s20
; %bb.854:                              ;   in Loop: Header=BB379_377 Depth=1
	v_bfe_u32 v7, v8, 16, 1
	s_delay_alu instid0(VALU_DEP_1)
	v_add3_u32 v7, v8, v7, 0x7fff
                                        ; implicit-def: $vgpr8
; %bb.855:                              ;   in Loop: Header=BB379_377 Depth=1
	s_and_not1_saveexec_b32 s20, s1
; %bb.856:                              ;   in Loop: Header=BB379_377 Depth=1
	v_and_b32_e32 v7, 0xffff, v8
	v_or_b32_e32 v14, 0x10000, v8
	s_delay_alu instid0(VALU_DEP_2) | instskip(NEXT) | instid1(VALU_DEP_1)
	v_cmp_eq_u32_e64 s1, 0, v7
	v_cndmask_b32_e64 v7, v14, v8, s1
; %bb.857:                              ;   in Loop: Header=BB379_377 Depth=1
	s_or_b32 exec_lo, exec_lo, s20
	v_lshrrev_b32_e32 v8, 16, v6
	v_mov_b32_e32 v14, 0
	s_mov_b32 s20, exec_lo
	s_delay_alu instid0(VALU_DEP_2) | instskip(NEXT) | instid1(VALU_DEP_1)
	v_and_b32_e32 v34, 0xff, v8
	v_cmpx_ne_u16_e32 0, v34
	s_cbranch_execz .LBB379_865
; %bb.858:                              ;   in Loop: Header=BB379_377 Depth=1
	v_bfrev_b32_e32 v14, 1
	s_mov_b32 s21, exec_lo
	v_cmpx_ne_u16_e32 0x80, v34
	s_cbranch_execz .LBB379_864
; %bb.859:                              ;   in Loop: Header=BB379_377 Depth=1
	v_bfe_u32 v35, v6, 16, 7
	v_mov_b32_e32 v14, 0x7f800001
	s_mov_b32 s22, exec_lo
	s_delay_alu instid0(VALU_DEP_2)
	v_cmpx_ne_u32_e32 0x7f, v35
	s_cbranch_execz .LBB379_863
; %bb.860:                              ;   in Loop: Header=BB379_377 Depth=1
	v_and_b32_e32 v14, 7, v8
	v_lshrrev_b32_e32 v34, 3, v35
	s_mov_b32 s23, exec_lo
	v_cmpx_gt_u32_e32 8, v35
; %bb.861:                              ;   in Loop: Header=BB379_377 Depth=1
	s_delay_alu instid0(VALU_DEP_3) | instskip(NEXT) | instid1(VALU_DEP_1)
	v_clz_i32_u32_e32 v34, v14
	v_min_u32_e32 v34, 32, v34
	s_delay_alu instid0(VALU_DEP_1) | instskip(SKIP_1) | instid1(VALU_DEP_2)
	v_subrev_nc_u32_e32 v35, 28, v34
	v_sub_nc_u32_e32 v34, 29, v34
	v_lshlrev_b64 v[35:36], v35, v[14:15]
	s_delay_alu instid0(VALU_DEP_1)
	v_and_b32_e32 v14, 7, v35
; %bb.862:                              ;   in Loop: Header=BB379_377 Depth=1
	s_or_b32 exec_lo, exec_lo, s23
	v_lshlrev_b32_e32 v8, 24, v8
	s_delay_alu instid0(VALU_DEP_2) | instskip(SKIP_1) | instid1(VALU_DEP_3)
	v_lshlrev_b32_e32 v14, 20, v14
	v_lshl_add_u32 v34, v34, 23, 0x3c000000
	v_and_b32_e32 v8, 0x80000000, v8
	s_delay_alu instid0(VALU_DEP_1)
	v_or3_b32 v14, v14, v8, v34
.LBB379_863:                            ;   in Loop: Header=BB379_377 Depth=1
	s_or_b32 exec_lo, exec_lo, s22
.LBB379_864:                            ;   in Loop: Header=BB379_377 Depth=1
	s_delay_alu instid0(SALU_CYCLE_1)
	s_or_b32 exec_lo, exec_lo, s21
.LBB379_865:                            ;   in Loop: Header=BB379_377 Depth=1
	s_delay_alu instid0(SALU_CYCLE_1) | instskip(NEXT) | instid1(VALU_DEP_1)
	s_or_b32 exec_lo, exec_lo, s20
	v_mul_f32_e32 v8, s11, v14
                                        ; implicit-def: $vgpr34
	s_delay_alu instid0(VALU_DEP_1) | instskip(NEXT) | instid1(VALU_DEP_1)
	v_and_b32_e32 v14, 0x7f800000, v8
	v_cmp_ne_u32_e64 s1, 0x7f800000, v14
	s_delay_alu instid0(VALU_DEP_1) | instskip(NEXT) | instid1(SALU_CYCLE_1)
	s_and_saveexec_b32 s20, s1
	s_xor_b32 s1, exec_lo, s20
; %bb.866:                              ;   in Loop: Header=BB379_377 Depth=1
	v_bfe_u32 v14, v8, 16, 1
	s_delay_alu instid0(VALU_DEP_1)
	v_add3_u32 v34, v8, v14, 0x7fff
                                        ; implicit-def: $vgpr8
; %bb.867:                              ;   in Loop: Header=BB379_377 Depth=1
	s_and_not1_saveexec_b32 s20, s1
; %bb.868:                              ;   in Loop: Header=BB379_377 Depth=1
	v_and_b32_e32 v14, 0xffff, v8
	v_or_b32_e32 v34, 0x10000, v8
	s_delay_alu instid0(VALU_DEP_2) | instskip(NEXT) | instid1(VALU_DEP_1)
	v_cmp_eq_u32_e64 s1, 0, v14
	v_cndmask_b32_e64 v34, v34, v8, s1
; %bb.869:                              ;   in Loop: Header=BB379_377 Depth=1
	s_or_b32 exec_lo, exec_lo, s20
	v_mov_b32_e32 v8, 0
	s_mov_b32 s20, exec_lo
	v_cmpx_lt_u64_e64 s[12:13], v[5:6]
	s_cbranch_execz .LBB379_877
; %bb.870:                              ;   in Loop: Header=BB379_377 Depth=1
	v_lshrrev_b32_e32 v5, 24, v6
	v_bfrev_b32_e32 v8, 1
	s_mov_b32 s21, exec_lo
	s_delay_alu instid0(VALU_DEP_2)
	v_cmpx_ne_u32_e32 0x80, v5
	s_cbranch_execz .LBB379_876
; %bb.871:                              ;   in Loop: Header=BB379_377 Depth=1
	v_bfe_u32 v35, v6, 24, 7
	v_mov_b32_e32 v8, 0x7f800001
	s_mov_b32 s22, exec_lo
	s_delay_alu instid0(VALU_DEP_2)
	v_cmpx_ne_u32_e32 0x7f, v35
	s_cbranch_execz .LBB379_875
; %bb.872:                              ;   in Loop: Header=BB379_377 Depth=1
	v_and_b32_e32 v14, 7, v5
	v_lshrrev_b32_e32 v6, 3, v35
	s_mov_b32 s23, exec_lo
	v_cmpx_gt_u32_e32 8, v35
; %bb.873:                              ;   in Loop: Header=BB379_377 Depth=1
	s_delay_alu instid0(VALU_DEP_3) | instskip(NEXT) | instid1(VALU_DEP_1)
	v_clz_i32_u32_e32 v6, v14
	v_min_u32_e32 v6, 32, v6
	s_delay_alu instid0(VALU_DEP_1) | instskip(SKIP_1) | instid1(VALU_DEP_2)
	v_subrev_nc_u32_e32 v8, 28, v6
	v_sub_nc_u32_e32 v6, 29, v6
	v_lshlrev_b64 v[35:36], v8, v[14:15]
	s_delay_alu instid0(VALU_DEP_1)
	v_and_b32_e32 v14, 7, v35
; %bb.874:                              ;   in Loop: Header=BB379_377 Depth=1
	s_or_b32 exec_lo, exec_lo, s23
	v_lshlrev_b32_e32 v5, 24, v5
	s_delay_alu instid0(VALU_DEP_2) | instskip(SKIP_1) | instid1(VALU_DEP_3)
	v_lshlrev_b32_e32 v8, 20, v14
	v_lshl_add_u32 v6, v6, 23, 0x3c000000
	v_and_b32_e32 v5, 0x80000000, v5
	s_delay_alu instid0(VALU_DEP_1)
	v_or3_b32 v8, v8, v5, v6
.LBB379_875:                            ;   in Loop: Header=BB379_377 Depth=1
	s_or_b32 exec_lo, exec_lo, s22
.LBB379_876:                            ;   in Loop: Header=BB379_377 Depth=1
	s_delay_alu instid0(SALU_CYCLE_1)
	s_or_b32 exec_lo, exec_lo, s21
.LBB379_877:                            ;   in Loop: Header=BB379_377 Depth=1
	s_delay_alu instid0(SALU_CYCLE_1) | instskip(NEXT) | instid1(VALU_DEP_1)
	s_or_b32 exec_lo, exec_lo, s20
	v_mul_f32_e32 v6, s11, v8
	s_delay_alu instid0(VALU_DEP_1) | instskip(NEXT) | instid1(VALU_DEP_1)
	v_and_b32_e32 v5, 0x7f800000, v6
	v_cmp_ne_u32_e64 s1, 0x7f800000, v5
                                        ; implicit-def: $vgpr5
	s_delay_alu instid0(VALU_DEP_1) | instskip(NEXT) | instid1(SALU_CYCLE_1)
	s_and_saveexec_b32 s11, s1
	s_xor_b32 s1, exec_lo, s11
; %bb.878:                              ;   in Loop: Header=BB379_377 Depth=1
	v_bfe_u32 v5, v6, 16, 1
	s_delay_alu instid0(VALU_DEP_1)
	v_add3_u32 v5, v6, v5, 0x7fff
                                        ; implicit-def: $vgpr6
; %bb.879:                              ;   in Loop: Header=BB379_377 Depth=1
	s_and_not1_saveexec_b32 s11, s1
; %bb.880:                              ;   in Loop: Header=BB379_377 Depth=1
	v_and_b32_e32 v5, 0xffff, v6
	v_or_b32_e32 v8, 0x10000, v6
	s_delay_alu instid0(VALU_DEP_2) | instskip(NEXT) | instid1(VALU_DEP_1)
	v_cmp_eq_u32_e64 s1, 0, v5
	v_cndmask_b32_e64 v5, v8, v6, s1
; %bb.881:                              ;   in Loop: Header=BB379_377 Depth=1
	s_or_b32 exec_lo, exec_lo, s11
	v_lshrrev_b32_e32 v8, 16, v7
	v_lshrrev_b32_e32 v14, 16, v33
	;; [unrolled: 1-line block ×8, first 2 shown]
	s_and_saveexec_b32 s1, s0
	s_cbranch_execz .LBB379_883
; %bb.882:                              ;   in Loop: Header=BB379_377 Depth=1
	v_add_nc_u32_e32 v9, 1, v26
	v_cmp_gt_i32_e64 s0, s33, v26
	v_add_nc_u32_e32 v33, 2, v26
	v_add_nc_u32_e32 v34, 3, v26
	s_delay_alu instid0(VALU_DEP_3) | instskip(SKIP_2) | instid1(VALU_DEP_2)
	v_cndmask_b32_e64 v7, 0, v7, s0
	v_cmp_gt_i32_e64 s0, s33, v9
	v_add_nc_u32_e32 v9, 4, v26
	v_cndmask_b32_e64 v10, 0, v10, s0
	v_cmp_gt_i32_e64 s0, s33, v33
	v_add_nc_u32_e32 v33, 5, v26
	s_delay_alu instid0(VALU_DEP_2) | instskip(SKIP_2) | instid1(VALU_DEP_2)
	v_cndmask_b32_e64 v11, 0, v11, s0
	v_cmp_gt_i32_e64 s0, s33, v34
	v_add_nc_u32_e32 v34, 6, v26
	v_cndmask_b32_e64 v12, 0, v12, s0
	v_cmp_gt_i32_e64 s0, s33, v9
	v_add_nc_u32_e32 v9, 7, v26
	s_delay_alu instid0(VALU_DEP_2) | instskip(SKIP_1) | instid1(VALU_DEP_1)
	v_cndmask_b32_e64 v14, 0, v14, s0
	v_cmp_gt_i32_e64 s0, s33, v33
	v_cndmask_b32_e64 v8, 0, v8, s0
	v_cmp_gt_i32_e64 s0, s33, v34
	s_delay_alu instid0(VALU_DEP_1) | instskip(SKIP_1) | instid1(VALU_DEP_1)
	v_cndmask_b32_e64 v6, 0, v6, s0
	v_cmp_gt_i32_e64 s0, s33, v9
	v_cndmask_b32_e64 v5, 0, v5, s0
.LBB379_883:                            ;   in Loop: Header=BB379_377 Depth=1
	s_or_b32 exec_lo, exec_lo, s1
	v_lshlrev_b32_e32 v7, 16, v7
	s_delay_alu instid0(VALU_DEP_1) | instskip(NEXT) | instid1(VALU_DEP_1)
	v_mul_f32_e32 v9, v23, v7
	v_and_b32_e32 v7, 0x7f800000, v9
	s_delay_alu instid0(VALU_DEP_1) | instskip(NEXT) | instid1(VALU_DEP_1)
	v_cmp_ne_u32_e64 s0, 0x7f800000, v7
                                        ; implicit-def: $vgpr7
	s_and_saveexec_b32 s1, s0
	s_delay_alu instid0(SALU_CYCLE_1)
	s_xor_b32 s0, exec_lo, s1
; %bb.884:                              ;   in Loop: Header=BB379_377 Depth=1
	v_bfe_u32 v7, v9, 16, 1
	s_delay_alu instid0(VALU_DEP_1)
	v_add3_u32 v7, v9, v7, 0x7fff
                                        ; implicit-def: $vgpr9
; %bb.885:                              ;   in Loop: Header=BB379_377 Depth=1
	s_and_not1_saveexec_b32 s1, s0
; %bb.886:                              ;   in Loop: Header=BB379_377 Depth=1
	v_and_b32_e32 v7, 0xffff, v9
	v_or_b32_e32 v23, 0x10000, v9
	s_delay_alu instid0(VALU_DEP_2) | instskip(NEXT) | instid1(VALU_DEP_1)
	v_cmp_eq_u32_e64 s0, 0, v7
	v_cndmask_b32_e64 v7, v23, v9, s0
; %bb.887:                              ;   in Loop: Header=BB379_377 Depth=1
	s_or_b32 exec_lo, exec_lo, s1
	v_lshlrev_b32_e32 v9, 16, v10
	s_delay_alu instid0(VALU_DEP_1) | instskip(NEXT) | instid1(VALU_DEP_1)
	v_mul_f32_e32 v10, v24, v9
	v_and_b32_e32 v9, 0x7f800000, v10
	s_delay_alu instid0(VALU_DEP_1) | instskip(NEXT) | instid1(VALU_DEP_1)
	v_cmp_ne_u32_e64 s0, 0x7f800000, v9
                                        ; implicit-def: $vgpr9
	s_and_saveexec_b32 s1, s0
	s_delay_alu instid0(SALU_CYCLE_1)
	s_xor_b32 s0, exec_lo, s1
; %bb.888:                              ;   in Loop: Header=BB379_377 Depth=1
	v_bfe_u32 v9, v10, 16, 1
	s_delay_alu instid0(VALU_DEP_1)
	v_add3_u32 v9, v10, v9, 0x7fff
                                        ; implicit-def: $vgpr10
; %bb.889:                              ;   in Loop: Header=BB379_377 Depth=1
	s_and_not1_saveexec_b32 s1, s0
; %bb.890:                              ;   in Loop: Header=BB379_377 Depth=1
	v_and_b32_e32 v9, 0xffff, v10
	v_or_b32_e32 v23, 0x10000, v10
	s_delay_alu instid0(VALU_DEP_2) | instskip(NEXT) | instid1(VALU_DEP_1)
	v_cmp_eq_u32_e64 s0, 0, v9
	v_cndmask_b32_e64 v9, v23, v10, s0
; %bb.891:                              ;   in Loop: Header=BB379_377 Depth=1
	s_or_b32 exec_lo, exec_lo, s1
	v_lshlrev_b32_e32 v10, 16, v11
	s_delay_alu instid0(VALU_DEP_1) | instskip(NEXT) | instid1(VALU_DEP_1)
	v_mul_f32_e32 v11, v27, v10
	v_and_b32_e32 v10, 0x7f800000, v11
	s_delay_alu instid0(VALU_DEP_1) | instskip(NEXT) | instid1(VALU_DEP_1)
	v_cmp_ne_u32_e64 s0, 0x7f800000, v10
                                        ; implicit-def: $vgpr10
	s_and_saveexec_b32 s1, s0
	s_delay_alu instid0(SALU_CYCLE_1)
	s_xor_b32 s0, exec_lo, s1
; %bb.892:                              ;   in Loop: Header=BB379_377 Depth=1
	v_bfe_u32 v10, v11, 16, 1
	s_delay_alu instid0(VALU_DEP_1)
	v_add3_u32 v10, v11, v10, 0x7fff
                                        ; implicit-def: $vgpr11
; %bb.893:                              ;   in Loop: Header=BB379_377 Depth=1
	s_and_not1_saveexec_b32 s1, s0
; %bb.894:                              ;   in Loop: Header=BB379_377 Depth=1
	v_and_b32_e32 v10, 0xffff, v11
	v_or_b32_e32 v23, 0x10000, v11
	s_delay_alu instid0(VALU_DEP_2) | instskip(NEXT) | instid1(VALU_DEP_1)
	v_cmp_eq_u32_e64 s0, 0, v10
	v_cndmask_b32_e64 v10, v23, v11, s0
; %bb.895:                              ;   in Loop: Header=BB379_377 Depth=1
	s_or_b32 exec_lo, exec_lo, s1
	v_lshlrev_b32_e32 v11, 16, v12
	s_delay_alu instid0(VALU_DEP_1) | instskip(NEXT) | instid1(VALU_DEP_1)
	v_mul_f32_e32 v12, v28, v11
	v_and_b32_e32 v11, 0x7f800000, v12
	s_delay_alu instid0(VALU_DEP_1) | instskip(NEXT) | instid1(VALU_DEP_1)
	v_cmp_ne_u32_e64 s0, 0x7f800000, v11
                                        ; implicit-def: $vgpr11
	s_and_saveexec_b32 s1, s0
	s_delay_alu instid0(SALU_CYCLE_1)
	s_xor_b32 s0, exec_lo, s1
; %bb.896:                              ;   in Loop: Header=BB379_377 Depth=1
	v_bfe_u32 v11, v12, 16, 1
	s_delay_alu instid0(VALU_DEP_1)
	v_add3_u32 v11, v12, v11, 0x7fff
                                        ; implicit-def: $vgpr12
; %bb.897:                              ;   in Loop: Header=BB379_377 Depth=1
	s_and_not1_saveexec_b32 s1, s0
; %bb.898:                              ;   in Loop: Header=BB379_377 Depth=1
	v_and_b32_e32 v11, 0xffff, v12
	v_or_b32_e32 v23, 0x10000, v12
	s_delay_alu instid0(VALU_DEP_2) | instskip(NEXT) | instid1(VALU_DEP_1)
	v_cmp_eq_u32_e64 s0, 0, v11
	v_cndmask_b32_e64 v11, v23, v12, s0
; %bb.899:                              ;   in Loop: Header=BB379_377 Depth=1
	s_or_b32 exec_lo, exec_lo, s1
	v_lshlrev_b32_e32 v12, 16, v14
	s_delay_alu instid0(VALU_DEP_1) | instskip(NEXT) | instid1(VALU_DEP_1)
	v_mul_f32_e32 v14, v29, v12
	v_and_b32_e32 v12, 0x7f800000, v14
	s_delay_alu instid0(VALU_DEP_1) | instskip(NEXT) | instid1(VALU_DEP_1)
	v_cmp_ne_u32_e64 s0, 0x7f800000, v12
                                        ; implicit-def: $vgpr12
	s_and_saveexec_b32 s1, s0
	s_delay_alu instid0(SALU_CYCLE_1)
	s_xor_b32 s0, exec_lo, s1
; %bb.900:                              ;   in Loop: Header=BB379_377 Depth=1
	v_bfe_u32 v12, v14, 16, 1
	s_delay_alu instid0(VALU_DEP_1)
	v_add3_u32 v12, v14, v12, 0x7fff
                                        ; implicit-def: $vgpr14
; %bb.901:                              ;   in Loop: Header=BB379_377 Depth=1
	s_and_not1_saveexec_b32 s1, s0
; %bb.902:                              ;   in Loop: Header=BB379_377 Depth=1
	v_and_b32_e32 v12, 0xffff, v14
	v_or_b32_e32 v23, 0x10000, v14
	s_delay_alu instid0(VALU_DEP_2) | instskip(NEXT) | instid1(VALU_DEP_1)
	v_cmp_eq_u32_e64 s0, 0, v12
	v_cndmask_b32_e64 v12, v23, v14, s0
; %bb.903:                              ;   in Loop: Header=BB379_377 Depth=1
	s_or_b32 exec_lo, exec_lo, s1
	v_lshlrev_b32_e32 v8, 16, v8
	s_delay_alu instid0(VALU_DEP_1) | instskip(NEXT) | instid1(VALU_DEP_1)
	v_mul_f32_e32 v14, v30, v8
	v_and_b32_e32 v8, 0x7f800000, v14
	s_delay_alu instid0(VALU_DEP_1) | instskip(NEXT) | instid1(VALU_DEP_1)
	v_cmp_ne_u32_e64 s0, 0x7f800000, v8
                                        ; implicit-def: $vgpr8
	s_and_saveexec_b32 s1, s0
	s_delay_alu instid0(SALU_CYCLE_1)
	s_xor_b32 s0, exec_lo, s1
; %bb.904:                              ;   in Loop: Header=BB379_377 Depth=1
	v_bfe_u32 v8, v14, 16, 1
	s_delay_alu instid0(VALU_DEP_1)
	v_add3_u32 v8, v14, v8, 0x7fff
                                        ; implicit-def: $vgpr14
; %bb.905:                              ;   in Loop: Header=BB379_377 Depth=1
	s_and_not1_saveexec_b32 s1, s0
; %bb.906:                              ;   in Loop: Header=BB379_377 Depth=1
	v_and_b32_e32 v8, 0xffff, v14
	v_or_b32_e32 v23, 0x10000, v14
	s_delay_alu instid0(VALU_DEP_2) | instskip(NEXT) | instid1(VALU_DEP_1)
	v_cmp_eq_u32_e64 s0, 0, v8
	v_cndmask_b32_e64 v8, v23, v14, s0
; %bb.907:                              ;   in Loop: Header=BB379_377 Depth=1
	s_or_b32 exec_lo, exec_lo, s1
	v_lshlrev_b32_e32 v6, 16, v6
	s_delay_alu instid0(VALU_DEP_1) | instskip(NEXT) | instid1(VALU_DEP_1)
	v_mul_f32_e32 v14, v31, v6
	v_and_b32_e32 v6, 0x7f800000, v14
	s_delay_alu instid0(VALU_DEP_1) | instskip(NEXT) | instid1(VALU_DEP_1)
	v_cmp_ne_u32_e64 s0, 0x7f800000, v6
                                        ; implicit-def: $vgpr6
	s_and_saveexec_b32 s1, s0
	s_delay_alu instid0(SALU_CYCLE_1)
	s_xor_b32 s0, exec_lo, s1
; %bb.908:                              ;   in Loop: Header=BB379_377 Depth=1
	v_bfe_u32 v6, v14, 16, 1
	s_delay_alu instid0(VALU_DEP_1)
	v_add3_u32 v6, v14, v6, 0x7fff
                                        ; implicit-def: $vgpr14
; %bb.909:                              ;   in Loop: Header=BB379_377 Depth=1
	s_and_not1_saveexec_b32 s1, s0
; %bb.910:                              ;   in Loop: Header=BB379_377 Depth=1
	v_and_b32_e32 v6, 0xffff, v14
	v_or_b32_e32 v23, 0x10000, v14
	s_delay_alu instid0(VALU_DEP_2) | instskip(NEXT) | instid1(VALU_DEP_1)
	v_cmp_eq_u32_e64 s0, 0, v6
	v_cndmask_b32_e64 v6, v23, v14, s0
; %bb.911:                              ;   in Loop: Header=BB379_377 Depth=1
	s_or_b32 exec_lo, exec_lo, s1
	v_lshlrev_b32_e32 v5, 16, v5
	s_delay_alu instid0(VALU_DEP_1) | instskip(NEXT) | instid1(VALU_DEP_1)
	v_mul_f32_e32 v14, v32, v5
	v_and_b32_e32 v5, 0x7f800000, v14
	s_delay_alu instid0(VALU_DEP_1) | instskip(NEXT) | instid1(VALU_DEP_1)
	v_cmp_ne_u32_e64 s0, 0x7f800000, v5
                                        ; implicit-def: $vgpr5
	s_and_saveexec_b32 s1, s0
	s_delay_alu instid0(SALU_CYCLE_1)
	s_xor_b32 s0, exec_lo, s1
; %bb.912:                              ;   in Loop: Header=BB379_377 Depth=1
	v_bfe_u32 v5, v14, 16, 1
	s_delay_alu instid0(VALU_DEP_1)
	v_add3_u32 v5, v14, v5, 0x7fff
                                        ; implicit-def: $vgpr14
; %bb.913:                              ;   in Loop: Header=BB379_377 Depth=1
	s_and_not1_saveexec_b32 s1, s0
	s_cbranch_execz .LBB379_374
; %bb.914:                              ;   in Loop: Header=BB379_377 Depth=1
	v_and_b32_e32 v5, 0xffff, v14
	v_or_b32_e32 v23, 0x10000, v14
	s_delay_alu instid0(VALU_DEP_2) | instskip(NEXT) | instid1(VALU_DEP_1)
	v_cmp_eq_u32_e64 s0, 0, v5
	v_cndmask_b32_e64 v5, v23, v14, s0
	s_branch .LBB379_374
.LBB379_915:
	s_or_b32 exec_lo, exec_lo, s8
.LBB379_916:
	s_delay_alu instid0(SALU_CYCLE_1)
	s_or_b32 exec_lo, exec_lo, s5
	s_movk_i32 s0, 0x1c0
	v_and_b32_e32 v6, 0x3c0, v0
	v_mad_u32_u24 v5, v25, s0, 0x100
	v_or_b32_e32 v7, 0x60, v0
	s_mov_b32 s0, exec_lo
	s_waitcnt_vscnt null, 0x0
	s_barrier
	buffer_gl0_inv
	v_cmpx_eq_u32_e32 64, v6
	s_cbranch_execz .LBB379_919
; %bb.917:
	v_add_nc_u32_e32 v6, 0xfffffc80, v5
	v_cmp_gt_u32_e32 vcc_lo, 0x70, v7
	s_delay_alu instid0(VALU_DEP_2)
	v_lshl_add_u32 v8, v18, 2, v6
	ds_store_2addr_b32 v8, v1, v2 offset1:32
	ds_store_b32 v8, v3 offset:256
	s_and_b32 exec_lo, exec_lo, vcc_lo
	s_cbranch_execz .LBB379_919
; %bb.918:
	v_lshl_add_u32 v6, v7, 2, v6
	ds_store_b32 v6, v4
.LBB379_919:
	s_or_b32 exec_lo, exec_lo, s0
	v_lshl_add_u32 v6, v18, 2, v5
	s_mov_b32 s0, exec_lo
	s_waitcnt lgkmcnt(0)
	s_barrier
	buffer_gl0_inv
	v_cmpx_gt_u32_e32 64, v0
	s_cbranch_execz .LBB379_923
; %bb.920:
	v_lshl_or_b32 v8, v0, 2, 0x80
	s_mov_b32 s1, exec_lo
	s_delay_alu instid0(VALU_DEP_1)
	v_add_nc_u32_e32 v10, v5, v8
	ds_load_2addr_stride64_b32 v[8:9], v6 offset1:1
	ds_load_b32 v10, v10
	s_waitcnt lgkmcnt(1)
	v_add_f32_e32 v3, v3, v9
	s_waitcnt lgkmcnt(0)
	v_dual_add_f32 v1, v1, v8 :: v_dual_add_f32 v2, v2, v10
	v_cmpx_gt_u32_e32 0x70, v7
	s_cbranch_execz .LBB379_922
; %bb.921:
	v_lshl_add_u32 v8, v7, 2, v5
	ds_load_b32 v8, v8
	s_waitcnt lgkmcnt(0)
	v_add_f32_e32 v4, v4, v8
.LBB379_922:
	s_or_b32 exec_lo, exec_lo, s1
.LBB379_923:
	s_delay_alu instid0(SALU_CYCLE_1)
	s_or_b32 exec_lo, exec_lo, s0
	v_and_b32_e32 v8, 0x3e0, v0
	s_mov_b32 s0, exec_lo
	s_barrier
	buffer_gl0_inv
	v_cmpx_eq_u32_e32 32, v8
	s_cbranch_execz .LBB379_926
; %bb.924:
	v_add_nc_u32_e32 v8, 0xfffffe40, v5
	v_cmp_gt_u32_e32 vcc_lo, 0x70, v7
	s_delay_alu instid0(VALU_DEP_2)
	v_lshl_add_u32 v9, v18, 2, v8
	v_lshl_add_u32 v10, v0, 2, v8
	ds_store_b32 v9, v1
	ds_store_b32 v10, v2
	ds_store_b32 v9, v3 offset:256
	s_and_b32 exec_lo, exec_lo, vcc_lo
	s_cbranch_execz .LBB379_926
; %bb.925:
	v_lshl_add_u32 v8, v7, 2, v8
	ds_store_b32 v8, v4
.LBB379_926:
	s_or_b32 exec_lo, exec_lo, s0
	v_cmp_gt_u32_e32 vcc_lo, 32, v0
	s_waitcnt lgkmcnt(0)
	s_barrier
	buffer_gl0_inv
	s_and_saveexec_b32 s1, vcc_lo
	s_cbranch_execz .LBB379_930
; %bb.927:
	v_lshl_add_u32 v5, v0, 2, v5
	s_mov_b32 s2, exec_lo
	ds_load_b32 v6, v6
	ds_load_2addr_b32 v[8:9], v5 offset0:32 offset1:64
	s_waitcnt lgkmcnt(0)
	v_dual_add_f32 v1, v1, v6 :: v_dual_add_f32 v2, v2, v8
	v_add_f32_e32 v3, v3, v9
	v_cmpx_gt_u32_e32 0x70, v7
	s_cbranch_execz .LBB379_929
; %bb.928:
	ds_load_b32 v5, v5 offset:384
	s_waitcnt lgkmcnt(0)
	v_add_f32_e32 v4, v4, v5
.LBB379_929:
	s_or_b32 exec_lo, exec_lo, s2
.LBB379_930:
	s_delay_alu instid0(SALU_CYCLE_1)
	s_or_b32 exec_lo, exec_lo, s1
	s_barrier
	buffer_gl0_inv
	s_and_saveexec_b32 s0, vcc_lo
	s_cbranch_execz .LBB379_949
; %bb.931:
	v_and_b32_e32 v5, 0x7f800000, v1
	s_mov_b32 s0, exec_lo
                                        ; implicit-def: $vgpr8
	s_delay_alu instid0(VALU_DEP_1)
	v_cmpx_ne_u32_e32 0x7f800000, v5
	s_xor_b32 s0, exec_lo, s0
; %bb.932:
	v_bfe_u32 v5, v1, 16, 1
	s_delay_alu instid0(VALU_DEP_1)
	v_add3_u32 v8, v1, v5, 0x7fff
; %bb.933:
	s_and_not1_saveexec_b32 s0, s0
; %bb.934:
	v_and_b32_e32 v5, 0xffff, v1
	v_or_b32_e32 v6, 0x10000, v1
	s_delay_alu instid0(VALU_DEP_2) | instskip(NEXT) | instid1(VALU_DEP_2)
	v_cmp_eq_u32_e32 vcc_lo, 0, v5
	v_cndmask_b32_e32 v8, v6, v1, vcc_lo
; %bb.935:
	s_or_b32 exec_lo, exec_lo, s0
	s_mul_i32 s0, s4, 0x70
	s_mul_i32 s2, s16, s26
	s_ashr_i32 s1, s0, 31
	v_lshlrev_b32_e32 v0, 1, v0
	s_lshl_b64 s[0:1], s[0:1], 1
	v_and_b32_e32 v1, 0x7f800000, v2
	s_add_u32 s4, s28, s0
	s_addc_u32 s5, s29, s1
	s_ashr_i32 s3, s2, 31
	s_delay_alu instid0(SALU_CYCLE_1) | instskip(SKIP_4) | instid1(SALU_CYCLE_1)
	s_lshl_b64 s[0:1], s[2:3], 1
	s_mul_i32 s2, s24, 0x70
	s_add_u32 s4, s4, s0
	s_addc_u32 s5, s5, s1
	s_ashr_i32 s3, s2, 31
	s_lshl_b64 s[0:1], s[2:3], 1
	s_delay_alu instid0(SALU_CYCLE_1) | instskip(SKIP_2) | instid1(VALU_DEP_1)
	s_add_u32 s0, s4, s0
	s_addc_u32 s1, s5, s1
	v_add_co_u32 v5, s2, s0, v0
	v_add_co_ci_u32_e64 v6, null, s1, 0, s2
	global_store_d16_hi_b16 v0, v8, s[0:1]
	s_mov_b32 s0, exec_lo
                                        ; implicit-def: $vgpr0
	v_cmpx_ne_u32_e32 0x7f800000, v1
	s_xor_b32 s0, exec_lo, s0
; %bb.936:
	v_bfe_u32 v0, v2, 16, 1
	s_delay_alu instid0(VALU_DEP_1)
	v_add3_u32 v0, v2, v0, 0x7fff
; %bb.937:
	s_and_not1_saveexec_b32 s0, s0
; %bb.938:
	v_and_b32_e32 v0, 0xffff, v2
	v_or_b32_e32 v1, 0x10000, v2
	s_delay_alu instid0(VALU_DEP_2) | instskip(NEXT) | instid1(VALU_DEP_2)
	v_cmp_eq_u32_e32 vcc_lo, 0, v0
	v_cndmask_b32_e32 v0, v1, v2, vcc_lo
; %bb.939:
	s_or_b32 exec_lo, exec_lo, s0
	v_and_b32_e32 v1, 0x7f800000, v3
	s_mov_b32 s0, exec_lo
	global_store_d16_hi_b16 v[5:6], v0, off offset:64
                                        ; implicit-def: $vgpr0
	v_cmpx_ne_u32_e32 0x7f800000, v1
	s_xor_b32 s0, exec_lo, s0
; %bb.940:
	v_bfe_u32 v0, v3, 16, 1
	s_delay_alu instid0(VALU_DEP_1)
	v_add3_u32 v0, v3, v0, 0x7fff
; %bb.941:
	s_and_not1_saveexec_b32 s0, s0
; %bb.942:
	v_and_b32_e32 v0, 0xffff, v3
	v_or_b32_e32 v1, 0x10000, v3
	s_delay_alu instid0(VALU_DEP_2) | instskip(NEXT) | instid1(VALU_DEP_2)
	v_cmp_eq_u32_e32 vcc_lo, 0, v0
	v_cndmask_b32_e32 v0, v1, v3, vcc_lo
; %bb.943:
	s_or_b32 exec_lo, exec_lo, s0
	v_cmp_gt_u32_e32 vcc_lo, 0x70, v7
	global_store_d16_hi_b16 v[5:6], v0, off offset:128
	s_and_b32 exec_lo, exec_lo, vcc_lo
	s_cbranch_execz .LBB379_949
; %bb.944:
	v_and_b32_e32 v0, 0x7f800000, v4
	s_delay_alu instid0(VALU_DEP_1) | instskip(SKIP_1) | instid1(SALU_CYCLE_1)
	v_cmp_ne_u32_e32 vcc_lo, 0x7f800000, v0
                                        ; implicit-def: $vgpr0
	s_and_saveexec_b32 s0, vcc_lo
	s_xor_b32 s0, exec_lo, s0
; %bb.945:
	v_bfe_u32 v0, v4, 16, 1
	s_delay_alu instid0(VALU_DEP_1)
	v_add3_u32 v0, v4, v0, 0x7fff
                                        ; implicit-def: $vgpr1_vgpr2_vgpr3_vgpr4
; %bb.946:
	s_and_not1_saveexec_b32 s0, s0
; %bb.947:
	v_and_b32_e32 v0, 0xffff, v4
	v_or_b32_e32 v1, 0x10000, v4
	s_delay_alu instid0(VALU_DEP_2) | instskip(NEXT) | instid1(VALU_DEP_2)
	v_cmp_eq_u32_e32 vcc_lo, 0, v0
	v_cndmask_b32_e32 v0, v1, v4, vcc_lo
; %bb.948:
	s_or_b32 exec_lo, exec_lo, s0
	global_store_d16_hi_b16 v[5:6], v0, off offset:192
.LBB379_949:
	s_nop 0
	s_sendmsg sendmsg(MSG_DEALLOC_VGPRS)
	s_endpgm
	.section	.rodata,"a",@progbits
	.p2align	6, 0x0
	.amdhsa_kernel _ZN4vllm25paged_attention_v2_kernelI14__hip_bfloat16hLi112ELi8ELi128ELNS_18Fp8KVCacheDataTypeE1ELb1ELi512EEEvPfS3_PT_PKS4_PKT0_SA_ifPKiSC_iPKfiiiSE_SE_iiiii
		.amdhsa_group_segment_fixed_size 256
		.amdhsa_private_segment_fixed_size 0
		.amdhsa_kernarg_size 400
		.amdhsa_user_sgpr_count 13
		.amdhsa_user_sgpr_dispatch_ptr 0
		.amdhsa_user_sgpr_queue_ptr 0
		.amdhsa_user_sgpr_kernarg_segment_ptr 1
		.amdhsa_user_sgpr_dispatch_id 0
		.amdhsa_user_sgpr_private_segment_size 0
		.amdhsa_wavefront_size32 1
		.amdhsa_uses_dynamic_stack 0
		.amdhsa_enable_private_segment 0
		.amdhsa_system_sgpr_workgroup_id_x 1
		.amdhsa_system_sgpr_workgroup_id_y 1
		.amdhsa_system_sgpr_workgroup_id_z 1
		.amdhsa_system_sgpr_workgroup_info 0
		.amdhsa_system_vgpr_workitem_id 0
		.amdhsa_next_free_vgpr 67
		.amdhsa_next_free_sgpr 53
		.amdhsa_reserve_vcc 1
		.amdhsa_float_round_mode_32 0
		.amdhsa_float_round_mode_16_64 0
		.amdhsa_float_denorm_mode_32 3
		.amdhsa_float_denorm_mode_16_64 3
		.amdhsa_dx10_clamp 1
		.amdhsa_ieee_mode 1
		.amdhsa_fp16_overflow 0
		.amdhsa_workgroup_processor_mode 1
		.amdhsa_memory_ordered 1
		.amdhsa_forward_progress 0
		.amdhsa_shared_vgpr_count 0
		.amdhsa_exception_fp_ieee_invalid_op 0
		.amdhsa_exception_fp_denorm_src 0
		.amdhsa_exception_fp_ieee_div_zero 0
		.amdhsa_exception_fp_ieee_overflow 0
		.amdhsa_exception_fp_ieee_underflow 0
		.amdhsa_exception_fp_ieee_inexact 0
		.amdhsa_exception_int_div_zero 0
	.end_amdhsa_kernel
	.section	.text._ZN4vllm25paged_attention_v2_kernelI14__hip_bfloat16hLi112ELi8ELi128ELNS_18Fp8KVCacheDataTypeE1ELb1ELi512EEEvPfS3_PT_PKS4_PKT0_SA_ifPKiSC_iPKfiiiSE_SE_iiiii,"axG",@progbits,_ZN4vllm25paged_attention_v2_kernelI14__hip_bfloat16hLi112ELi8ELi128ELNS_18Fp8KVCacheDataTypeE1ELb1ELi512EEEvPfS3_PT_PKS4_PKT0_SA_ifPKiSC_iPKfiiiSE_SE_iiiii,comdat
.Lfunc_end379:
	.size	_ZN4vllm25paged_attention_v2_kernelI14__hip_bfloat16hLi112ELi8ELi128ELNS_18Fp8KVCacheDataTypeE1ELb1ELi512EEEvPfS3_PT_PKS4_PKT0_SA_ifPKiSC_iPKfiiiSE_SE_iiiii, .Lfunc_end379-_ZN4vllm25paged_attention_v2_kernelI14__hip_bfloat16hLi112ELi8ELi128ELNS_18Fp8KVCacheDataTypeE1ELb1ELi512EEEvPfS3_PT_PKS4_PKT0_SA_ifPKiSC_iPKfiiiSE_SE_iiiii
                                        ; -- End function
	.section	.AMDGPU.csdata,"",@progbits
; Kernel info:
; codeLenInByte = 31084
; NumSgprs: 55
; NumVgprs: 67
; ScratchSize: 0
; MemoryBound: 0
; FloatMode: 240
; IeeeMode: 1
; LDSByteSize: 256 bytes/workgroup (compile time only)
; SGPRBlocks: 6
; VGPRBlocks: 8
; NumSGPRsForWavesPerEU: 55
; NumVGPRsForWavesPerEU: 67
; Occupancy: 16
; WaveLimiterHint : 1
; COMPUTE_PGM_RSRC2:SCRATCH_EN: 0
; COMPUTE_PGM_RSRC2:USER_SGPR: 13
; COMPUTE_PGM_RSRC2:TRAP_HANDLER: 0
; COMPUTE_PGM_RSRC2:TGID_X_EN: 1
; COMPUTE_PGM_RSRC2:TGID_Y_EN: 1
; COMPUTE_PGM_RSRC2:TGID_Z_EN: 1
; COMPUTE_PGM_RSRC2:TIDIG_COMP_CNT: 0
	.text
	.p2align	2                               ; -- Begin function _ZN4vllm22paged_attention_kernelI14__hip_bfloat16hLi120ELi8ELi128ELNS_18Fp8KVCacheDataTypeE1ELb1ELi512EEEvPfS3_PT_PKS4_PKT0_SA_ifPKiSC_iPKfiiiSE_SE_iiiii
	.type	_ZN4vllm22paged_attention_kernelI14__hip_bfloat16hLi120ELi8ELi128ELNS_18Fp8KVCacheDataTypeE1ELb1ELi512EEEvPfS3_PT_PKS4_PKT0_SA_ifPKiSC_iPKfiiiSE_SE_iiiii,@function
_ZN4vllm22paged_attention_kernelI14__hip_bfloat16hLi120ELi8ELi128ELNS_18Fp8KVCacheDataTypeE1ELb1ELi512EEEvPfS3_PT_PKS4_PKT0_SA_ifPKiSC_iPKfiiiSE_SE_iiiii: ; @_ZN4vllm22paged_attention_kernelI14__hip_bfloat16hLi120ELi8ELi128ELNS_18Fp8KVCacheDataTypeE1ELb1ELi512EEEvPfS3_PT_PKS4_PKT0_SA_ifPKiSC_iPKfiiiSE_SE_iiiii
; %bb.0:
	s_waitcnt vmcnt(0) expcnt(0) lgkmcnt(0)
	s_mov_b32 s16, s13
	s_ashr_i32 s17, s13, 31
	s_lshl_b32 s18, s14, 9
	s_lshl_b64 s[0:1], s[16:17], 2
	s_mov_b32 s17, exec_lo
	v_add_co_u32 v16, vcc_lo, v16, s0
	v_add_co_ci_u32_e32 v17, vcc_lo, s1, v17, vcc_lo
	flat_load_b32 v64, v[16:17]
	s_clause 0x1
	scratch_load_b32 v32, off, s32 offset:4
	scratch_load_b32 v33, off, s32
	s_waitcnt vmcnt(2) lgkmcnt(0)
	v_cmpx_lt_i32_e64 s18, v64
	s_cbranch_execz .LBB380_989
; %bb.1:
	v_sub_nc_u32_e32 v16, 0, v12
	s_clause 0x1
	s_load_b32 s0, s[8:9], 0x10
	s_load_b32 s1, s[8:9], 0x0
	s_mov_b32 s6, s15
	v_mov_b32_e32 v81, 0
	v_max_i32_e32 v16, v12, v16
	s_delay_alu instid0(VALU_DEP_1) | instskip(SKIP_1) | instid1(VALU_DEP_2)
	v_cvt_f32_u32_e32 v17, v16
	v_sub_nc_u32_e32 v34, 0, v16
	v_rcp_iflag_f32_e32 v17, v17
	s_waitcnt lgkmcnt(0)
	s_lshr_b32 s0, s0, 16
	s_delay_alu instid0(SALU_CYCLE_1) | instskip(SKIP_3) | instid1(SALU_CYCLE_1)
	s_cmp_lg_u32 s0, 0
	s_waitcnt_depctr 0xfff
	v_mul_f32_e32 v17, 0x4f7ffffe, v17
	s_cselect_b32 s0, -1, 0
	s_cmp_lg_u32 s0, 0
	s_delay_alu instid0(VALU_DEP_1) | instskip(SKIP_3) | instid1(VALU_DEP_1)
	v_cvt_u32_f32_e32 v17, v17
	s_addc_u32 s15, s1, 0
	s_mov_b32 s1, exec_lo
	s_abs_i32 s0, s15
	v_mul_lo_u32 v34, v34, v17
	s_delay_alu instid0(VALU_DEP_1) | instskip(NEXT) | instid1(VALU_DEP_1)
	v_mul_hi_u32 v34, v17, v34
	v_add_nc_u32_e32 v17, v17, v34
	s_delay_alu instid0(VALU_DEP_1) | instskip(NEXT) | instid1(VALU_DEP_1)
	v_mul_hi_u32 v17, s0, v17
	v_mul_lo_u32 v34, v17, v16
	v_add_nc_u32_e32 v35, 1, v17
	s_delay_alu instid0(VALU_DEP_2) | instskip(SKIP_1) | instid1(VALU_DEP_1)
	v_sub_nc_u32_e32 v34, s0, v34
	s_abs_i32 s0, s12
	v_sub_nc_u32_e32 v36, v34, v16
	v_cmp_ge_u32_e32 vcc_lo, v34, v16
	s_delay_alu instid0(VALU_DEP_2) | instskip(SKIP_1) | instid1(VALU_DEP_2)
	v_dual_cndmask_b32 v17, v17, v35 :: v_dual_cndmask_b32 v34, v34, v36
	v_xor_b32_e32 v35, s15, v12
	v_add_nc_u32_e32 v36, 1, v17
	s_delay_alu instid0(VALU_DEP_3) | instskip(NEXT) | instid1(VALU_DEP_3)
	v_cmp_ge_u32_e32 vcc_lo, v34, v16
	v_ashrrev_i32_e32 v35, 31, v35
	s_delay_alu instid0(VALU_DEP_3) | instskip(NEXT) | instid1(VALU_DEP_1)
	v_cndmask_b32_e32 v16, v17, v36, vcc_lo
	v_xor_b32_e32 v16, v16, v35
	s_delay_alu instid0(VALU_DEP_1) | instskip(NEXT) | instid1(VALU_DEP_1)
	v_sub_nc_u32_e32 v35, v16, v35
	v_sub_nc_u32_e32 v16, 0, v35
	s_delay_alu instid0(VALU_DEP_1) | instskip(NEXT) | instid1(VALU_DEP_1)
	v_max_i32_e32 v34, v35, v16
	v_cvt_f32_u32_e32 v16, v34
	v_sub_nc_u32_e32 v17, 0, v34
	s_delay_alu instid0(VALU_DEP_2) | instskip(SKIP_2) | instid1(VALU_DEP_1)
	v_rcp_iflag_f32_e32 v16, v16
	s_waitcnt_depctr 0xfff
	v_mul_f32_e32 v16, 0x4f7ffffe, v16
	v_cvt_u32_f32_e32 v16, v16
	s_delay_alu instid0(VALU_DEP_1) | instskip(NEXT) | instid1(VALU_DEP_1)
	v_mul_lo_u32 v17, v17, v16
	v_mul_hi_u32 v17, v16, v17
	s_delay_alu instid0(VALU_DEP_1) | instskip(NEXT) | instid1(VALU_DEP_1)
	v_add_nc_u32_e32 v36, v16, v17
	v_mad_u64_u32 v[16:17], null, s0, v36, 0
	v_cmpx_ne_u64_e32 0, v[19:20]
	s_cbranch_execz .LBB380_3
; %bb.2:
	s_ashr_i32 s13, s12, 31
	s_delay_alu instid0(SALU_CYCLE_1) | instskip(NEXT) | instid1(SALU_CYCLE_1)
	s_lshl_b64 s[2:3], s[12:13], 2
	v_add_co_u32 v19, vcc_lo, v19, s2
	v_add_co_ci_u32_e32 v20, vcc_lo, s3, v20, vcc_lo
	flat_load_b32 v81, v[19:20]
.LBB380_3:
	s_or_b32 exec_lo, exec_lo, s1
	v_and_b32_e32 v39, 0x3ff, v31
	v_ashrrev_i32_e32 v16, 31, v35
	s_ashr_i32 s1, s12, 31
	s_mul_i32 s10, s12, 0x78
	s_mov_b32 s2, exec_lo
	v_and_b32_e32 v19, 3, v39
	v_cmpx_gt_u32_e32 60, v39
	s_cbranch_execz .LBB380_5
; %bb.4:
	v_mul_lo_u32 v20, s16, v21
	s_ashr_i32 s11, s10, 31
	v_lshlrev_b32_e32 v31, 2, v39
	s_lshl_b64 s[4:5], s[10:11], 1
	s_delay_alu instid0(VALU_DEP_2) | instskip(NEXT) | instid1(VALU_DEP_1)
	v_ashrrev_i32_e32 v21, 31, v20
	v_lshlrev_b64 v[20:21], 1, v[20:21]
	s_delay_alu instid0(VALU_DEP_1) | instskip(NEXT) | instid1(VALU_DEP_2)
	v_add_co_u32 v6, vcc_lo, v6, v20
	v_add_co_ci_u32_e32 v7, vcc_lo, v7, v21, vcc_lo
	s_delay_alu instid0(VALU_DEP_2) | instskip(NEXT) | instid1(VALU_DEP_2)
	v_add_co_u32 v6, vcc_lo, v6, s4
	v_add_co_ci_u32_e32 v7, vcc_lo, s5, v7, vcc_lo
	s_delay_alu instid0(VALU_DEP_2) | instskip(NEXT) | instid1(VALU_DEP_2)
	v_add_co_u32 v6, vcc_lo, v6, v31
	v_add_co_ci_u32_e32 v7, vcc_lo, 0, v7, vcc_lo
	flat_load_b32 v6, v[6:7]
	v_and_b32_e32 v7, 0x3fc, v39
	s_delay_alu instid0(VALU_DEP_1)
	v_mad_u32_u24 v7, v19, 60, v7
	s_waitcnt vmcnt(0) lgkmcnt(0)
	ds_store_b32 v7, v6
.LBB380_5:
	s_or_b32 exec_lo, exec_lo, s2
	s_waitcnt vmcnt(0)
	v_sub_nc_u32_e32 v6, 0, v33
	v_mul_lo_u32 v7, v17, v34
	v_xor_b32_e32 v16, s1, v16
	s_waitcnt lgkmcnt(0)
	s_waitcnt_vscnt null, 0x0
	s_barrier
	v_max_i32_e32 v21, v33, v6
	buffer_gl0_inv
	v_add_nc_u32_e32 v31, 1, v17
	v_sub_nc_u32_e32 v7, s0, v7
	v_cvt_f32_u32_e32 v6, v21
	v_sub_nc_u32_e32 v20, 0, v21
	s_mov_b32 s0, exec_lo
	s_delay_alu instid0(VALU_DEP_3) | instskip(NEXT) | instid1(VALU_DEP_3)
	v_sub_nc_u32_e32 v35, v7, v34
	v_rcp_iflag_f32_e32 v6, v6
	v_cmp_ge_u32_e32 vcc_lo, v7, v34
	s_delay_alu instid0(VALU_DEP_2)
	v_cndmask_b32_e32 v7, v7, v35, vcc_lo
	v_cndmask_b32_e32 v31, v17, v31, vcc_lo
	s_waitcnt_depctr 0xfff
	v_dual_mul_f32 v6, 0x4f7ffffe, v6 :: v_dual_add_nc_u32 v17, -1, v64
	v_cmp_ge_u32_e32 vcc_lo, v7, v34
	v_add_nc_u32_e32 v35, 1, v31
	s_delay_alu instid0(VALU_DEP_3) | instskip(NEXT) | instid1(VALU_DEP_2)
	v_cvt_u32_f32_e32 v6, v6
	v_cndmask_b32_e32 v7, v31, v35, vcc_lo
	s_delay_alu instid0(VALU_DEP_2) | instskip(NEXT) | instid1(VALU_DEP_2)
	v_mul_lo_u32 v20, v20, v6
	v_xor_b32_e32 v31, v7, v16
	s_delay_alu instid0(VALU_DEP_2) | instskip(SKIP_1) | instid1(VALU_DEP_1)
	v_mul_hi_u32 v36, v6, v20
	v_sub_nc_u32_e32 v20, 0, v17
	v_max_i32_e32 v20, v17, v20
	s_delay_alu instid0(VALU_DEP_3) | instskip(NEXT) | instid1(VALU_DEP_1)
	v_add_nc_u32_e32 v65, v6, v36
	v_mad_u64_u32 v[6:7], null, v20, v65, 0
	v_sub_nc_u32_e32 v6, v31, v16
                                        ; implicit-def: $vgpr16
	v_cmpx_gt_i32_e32 0, v32
	s_xor_b32 s0, exec_lo, s0
; %bb.6:
	s_delay_alu instid0(VALU_DEP_2) | instskip(NEXT) | instid1(VALU_DEP_1)
	v_mad_u64_u32 v[34:35], null, v28, v12, v[6:7]
                                        ; implicit-def: $vgpr28
	v_mul_lo_u32 v12, v34, v32
                                        ; implicit-def: $vgpr32
	s_delay_alu instid0(VALU_DEP_1)
	v_sub_nc_u32_e32 v16, 1, v12
; %bb.7:
	s_or_saveexec_b32 s0, s0
	v_ashrrev_i32_e32 v12, 31, v17
	v_ashrrev_i32_e32 v66, 31, v33
	s_xor_b32 exec_lo, exec_lo, s0
; %bb.8:
	v_mad_u64_u32 v[33:34], null, s15, v28, s[12:13]
	s_delay_alu instid0(VALU_DEP_1)
	v_mad_u64_u32 v[16:17], null, v33, v32, 1
; %bb.9:
	s_or_b32 exec_lo, exec_lo, s0
	v_mul_lo_u32 v17, v7, v21
	v_dual_mov_b32 v83, 0xff7fffff :: v_dual_add_nc_u32 v28, 7, v64
	v_mul_lo_u32 v31, s16, v18
	s_clause 0x1
	s_load_b32 s11, s[8:9], 0x14
	s_load_b32 s8, s[8:9], 0x8
	v_lshrrev_b32_e32 v67, 5, v39
	v_ashrrev_i32_e32 v18, 31, v28
	v_mul_lo_u32 v23, v6, v23
	v_sub_nc_u32_e32 v17, v20, v17
	s_lshl_b32 s9, s14, 6
	v_sub_nc_u32_e32 v71, 0, v30
	s_add_i32 s0, s9, 64
	v_lshl_add_u32 v68, v67, 3, s18
	v_sub_nc_u32_e32 v32, v17, v21
	v_cmp_ge_u32_e32 vcc_lo, v17, v21
	v_add_nc_u32_e32 v20, 1, v7
	v_ashrrev_i32_e32 v80, 31, v23
	v_mbcnt_lo_u32_b32 v82, -1, 0
	v_cndmask_b32_e32 v17, v17, v32, vcc_lo
	s_delay_alu instid0(VALU_DEP_4)
	v_cndmask_b32_e32 v7, v7, v20, vcc_lo
	v_xor_b32_e32 v20, v12, v66
	v_lshrrev_b32_e32 v12, 29, v18
	v_ashrrev_i32_e32 v32, 31, v31
	v_cmp_ge_u32_e32 vcc_lo, v17, v21
	v_add_nc_u32_e32 v18, 1, v7
	v_or_b32_e32 v17, s9, v67
	s_delay_alu instid0(VALU_DEP_2) | instskip(NEXT) | instid1(VALU_DEP_2)
	v_dual_cndmask_b32 v7, v7, v18 :: v_dual_add_nc_u32 v12, v28, v12
	v_ashrrev_i32_e32 v18, 31, v17
	s_delay_alu instid0(VALU_DEP_2) | instskip(NEXT) | instid1(VALU_DEP_3)
	v_ashrrev_i32_e32 v12, 3, v12
	v_xor_b32_e32 v6, v7, v20
	s_delay_alu instid0(VALU_DEP_2) | instskip(NEXT) | instid1(VALU_DEP_2)
	v_min_i32_e32 v69, s0, v12
	v_sub_nc_u32_e32 v20, v6, v20
	v_lshlrev_b64 v[6:7], 2, v[31:32]
	s_delay_alu instid0(VALU_DEP_3) | instskip(NEXT) | instid1(VALU_DEP_3)
	v_cmp_lt_i32_e64 s0, v17, v69
	v_sub_nc_u32_e32 v70, v20, v29
	s_delay_alu instid0(VALU_DEP_2)
	s_and_saveexec_b32 s13, s0
	s_cbranch_execz .LBB380_379
; %bb.10:
	v_max_i32_e32 v84, v30, v71
	v_bfe_u32 v85, v39, 2, 3
	s_ashr_i32 s7, s6, 31
	s_getpc_b64 s[2:3]
	s_add_u32 s2, s2, llvm.amdgcn.dynlds.offset.table@rel32@lo+4
	s_addc_u32 s3, s3, llvm.amdgcn.dynlds.offset.table@rel32@hi+12
	s_lshl_b64 s[4:5], s[6:7], 2
	v_cvt_f32_u32_e32 v20, v84
	v_sub_nc_u32_e32 v31, 0, v84
	s_add_u32 s4, s4, s2
	s_addc_u32 s5, s5, s3
	v_add_co_u32 v8, s1, v8, v23
	v_rcp_iflag_f32_e32 v28, v20
	s_load_b32 s7, s[4:5], 0x0
	v_cmp_eq_u32_e32 vcc_lo, 0, v19
	v_add_co_ci_u32_e64 v29, s1, v9, v80, s1
	v_dual_mov_b32 v9, 0 :: v_dual_lshlrev_b32 v86, 1, v19
	v_mul_u32_u24_e32 v87, 60, v19
	v_lshlrev_b64 v[19:20], 2, v[17:18]
	s_waitcnt_depctr 0xfff
	v_dual_mul_f32 v28, 0x4f7ffffe, v28 :: v_dual_lshlrev_b32 v33, 2, v85
	v_mov_b32_e32 v97, 0xff7fffff
	v_sub_nc_u32_e32 v34, v85, v64
	v_cmp_neq_f32_e64 s1, 0, v81
	v_add_co_u32 v35, s2, v6, v19
	v_cvt_u32_f32_e32 v32, v28
	v_lshlrev_b32_e32 v28, 4, v85
	v_add_co_ci_u32_e64 v36, s2, v7, v20, s2
	v_lshl_add_u32 v96, v67, 3, s18
	s_delay_alu instid0(VALU_DEP_4) | instskip(NEXT) | instid1(VALU_DEP_4)
	v_mul_lo_u32 v31, v31, v32
	v_add_co_u32 v19, s2, v8, v28
	s_delay_alu instid0(VALU_DEP_1)
	v_add_co_ci_u32_e64 v20, s2, 0, v29, s2
	v_add_co_u32 v28, s2, v14, v35
	v_lshl_or_b32 v98, v67, 5, v33
	v_mul_hi_u32 v31, v32, v31
	v_mov_b32_e32 v83, 0xff7fffff
	v_add_nc_u32_e32 v99, 1, v34
	v_add_co_ci_u32_e64 v29, s2, v15, v36, s2
	v_mov_b32_e32 v101, v17
	s_mov_b32 s19, 0
	v_add_nc_u32_e32 v100, v32, v31
	s_branch .LBB380_13
.LBB380_11:                             ;   in Loop: Header=BB380_13 Depth=1
	s_or_b32 exec_lo, exec_lo, s20
.LBB380_12:                             ;   in Loop: Header=BB380_13 Depth=1
	s_delay_alu instid0(SALU_CYCLE_1) | instskip(SKIP_2) | instid1(VALU_DEP_1)
	s_or_b32 exec_lo, exec_lo, s3
	v_add_nc_u32_e32 v101, 4, v101
	v_add_co_u32 v28, s3, v28, 16
	v_add_co_ci_u32_e64 v29, s3, 0, v29, s3
	s_delay_alu instid0(VALU_DEP_3) | instskip(SKIP_2) | instid1(VALU_DEP_3)
	v_cmp_ge_i32_e64 s2, v101, v69
	v_add_nc_u32_e32 v96, 32, v96
	v_add_nc_u32_e32 v98, 0x80, v98
	s_or_b32 s19, s2, s19
	s_delay_alu instid0(SALU_CYCLE_1)
	s_and_not1_b32 exec_lo, exec_lo, s19
	s_cbranch_execz .LBB380_378
.LBB380_13:                             ; =>This Inner Loop Header: Depth=1
	v_sub_nc_u32_e32 v8, 0, v96
	s_delay_alu instid0(VALU_DEP_1) | instskip(SKIP_1) | instid1(VALU_DEP_1)
	v_max_i32_e32 v8, v96, v8
	s_waitcnt lgkmcnt(0)
	v_mul_hi_u32 v31, v8, v65
	s_delay_alu instid0(VALU_DEP_1) | instskip(NEXT) | instid1(VALU_DEP_1)
	v_mul_lo_u32 v32, v31, v21
	v_sub_nc_u32_e32 v8, v8, v32
	v_add_nc_u32_e32 v32, 1, v31
	s_delay_alu instid0(VALU_DEP_2) | instskip(SKIP_1) | instid1(VALU_DEP_1)
	v_sub_nc_u32_e32 v33, v8, v21
	v_cmp_ge_u32_e64 s2, v8, v21
	v_cndmask_b32_e64 v31, v31, v32, s2
	s_delay_alu instid0(VALU_DEP_3) | instskip(SKIP_1) | instid1(VALU_DEP_3)
	v_cndmask_b32_e64 v8, v8, v33, s2
	v_ashrrev_i32_e32 v32, 31, v96
	v_add_nc_u32_e32 v33, 1, v31
	s_delay_alu instid0(VALU_DEP_3) | instskip(NEXT) | instid1(VALU_DEP_3)
	v_cmp_ge_u32_e64 s2, v8, v21
	v_xor_b32_e32 v32, v32, v66
	s_delay_alu instid0(VALU_DEP_2) | instskip(NEXT) | instid1(VALU_DEP_1)
	v_cndmask_b32_e64 v8, v31, v33, s2
	v_xor_b32_e32 v8, v8, v32
	s_delay_alu instid0(VALU_DEP_1) | instskip(NEXT) | instid1(VALU_DEP_1)
	v_sub_nc_u32_e32 v8, v8, v32
	v_add_nc_u32_e32 v31, v8, v16
	v_cmp_le_i32_e64 s3, v8, v70
	s_delay_alu instid0(VALU_DEP_2) | instskip(NEXT) | instid1(VALU_DEP_1)
	v_sub_nc_u32_e32 v32, 0, v31
	v_max_i32_e32 v32, v31, v32
	v_ashrrev_i32_e32 v31, 31, v31
	s_delay_alu instid0(VALU_DEP_2) | instskip(NEXT) | instid1(VALU_DEP_1)
	v_mul_hi_u32 v33, v32, v100
	v_mul_lo_u32 v33, v33, v84
	s_delay_alu instid0(VALU_DEP_1) | instskip(NEXT) | instid1(VALU_DEP_1)
	v_sub_nc_u32_e32 v32, v32, v33
	v_sub_nc_u32_e32 v33, v32, v84
	v_cmp_ge_u32_e64 s2, v32, v84
	s_delay_alu instid0(VALU_DEP_1) | instskip(NEXT) | instid1(VALU_DEP_1)
	v_cndmask_b32_e64 v32, v32, v33, s2
	v_sub_nc_u32_e32 v33, v32, v84
	v_cmp_ge_u32_e64 s2, v32, v84
	s_delay_alu instid0(VALU_DEP_1) | instskip(NEXT) | instid1(VALU_DEP_1)
	v_cndmask_b32_e64 v32, v32, v33, s2
	v_xor_b32_e32 v32, v32, v31
	s_delay_alu instid0(VALU_DEP_1) | instskip(NEXT) | instid1(VALU_DEP_1)
	v_sub_nc_u32_e32 v31, v32, v31
	v_cmp_ne_u32_e64 s2, 0, v31
	s_delay_alu instid0(VALU_DEP_1) | instskip(NEXT) | instid1(SALU_CYCLE_1)
	s_and_b32 s2, s2, s3
	s_and_b32 s20, vcc_lo, s2
	s_delay_alu instid0(SALU_CYCLE_1)
	s_and_saveexec_b32 s3, s20
	s_cbranch_execz .LBB380_15
; %bb.14:                               ;   in Loop: Header=BB380_13 Depth=1
	s_waitcnt lgkmcnt(0)
	v_add_nc_u32_e32 v8, s7, v98
	ds_store_b32 v8, v97
.LBB380_15:                             ;   in Loop: Header=BB380_13 Depth=1
	s_or_b32 exec_lo, exec_lo, s3
	s_xor_b32 s2, s2, -1
	s_delay_alu instid0(SALU_CYCLE_1)
	s_and_saveexec_b32 s3, s2
	s_cbranch_execz .LBB380_12
; %bb.16:                               ;   in Loop: Header=BB380_13 Depth=1
	flat_load_b32 v8, v[28:29]
	s_mov_b32 s20, exec_lo
	s_waitcnt vmcnt(0) lgkmcnt(0)
	v_mad_i64_i32 v[31:32], null, v8, v22, v[19:20]
	s_delay_alu instid0(VALU_DEP_1) | instskip(NEXT) | instid1(VALU_DEP_1)
	v_add_co_u32 v54, s2, v31, v86
	v_add_co_ci_u32_e64 v55, s2, 0, v32, s2
	flat_load_u16 v8, v[54:55]
	flat_load_b32 v103, v[24:25]
	ds_load_2addr_b32 v[52:53], v87 offset1:1
	ds_load_2addr_b32 v[50:51], v87 offset0:2 offset1:3
	ds_load_2addr_b32 v[48:49], v87 offset0:4 offset1:5
	;; [unrolled: 1-line block ×6, first 2 shown]
	ds_load_b32 v102, v87 offset:56
	s_waitcnt vmcnt(1) lgkmcnt(9)
	v_and_b32_e32 v112, 0xff, v8
	v_dual_mov_b32 v8, 0 :: v_dual_and_b32 v113, 0xffff, v8
	s_delay_alu instid0(VALU_DEP_2)
	v_cmpx_ne_u16_e32 0, v112
	s_cbranch_execz .LBB380_24
; %bb.17:                               ;   in Loop: Header=BB380_13 Depth=1
	s_delay_alu instid0(VALU_DEP_2) | instskip(NEXT) | instid1(VALU_DEP_1)
	v_and_b32_e32 v8, 0xff, v113
	v_cmp_ne_u16_e64 s2, 0x80, v8
	v_bfrev_b32_e32 v8, 1
	s_delay_alu instid0(VALU_DEP_2)
	s_and_saveexec_b32 s21, s2
	s_cbranch_execz .LBB380_23
; %bb.18:                               ;   in Loop: Header=BB380_13 Depth=1
	v_and_b32_e32 v114, 0x7f, v113
	v_mov_b32_e32 v8, 0x7f800001
	s_mov_b32 s22, exec_lo
	s_delay_alu instid0(VALU_DEP_2)
	v_cmpx_ne_u32_e32 0x7f, v114
	s_cbranch_execz .LBB380_22
; %bb.19:                               ;   in Loop: Header=BB380_13 Depth=1
	v_and_b32_e32 v8, 7, v113
	v_lshrrev_b32_e32 v112, 3, v114
	s_mov_b32 s23, exec_lo
	v_cmpx_gt_u32_e32 8, v114
; %bb.20:                               ;   in Loop: Header=BB380_13 Depth=1
	s_delay_alu instid0(VALU_DEP_3) | instskip(NEXT) | instid1(VALU_DEP_1)
	v_clz_i32_u32_e32 v112, v8
	v_min_u32_e32 v112, 32, v112
	s_delay_alu instid0(VALU_DEP_1) | instskip(SKIP_1) | instid1(VALU_DEP_2)
	v_subrev_nc_u32_e32 v114, 28, v112
	v_sub_nc_u32_e32 v112, 29, v112
	v_lshlrev_b64 v[114:115], v114, v[8:9]
	s_delay_alu instid0(VALU_DEP_1)
	v_and_b32_e32 v8, 7, v114
; %bb.21:                               ;   in Loop: Header=BB380_13 Depth=1
	s_or_b32 exec_lo, exec_lo, s23
	v_lshlrev_b32_e32 v114, 24, v113
	s_delay_alu instid0(VALU_DEP_2) | instskip(SKIP_1) | instid1(VALU_DEP_3)
	v_lshlrev_b32_e32 v8, 20, v8
	v_lshl_add_u32 v112, v112, 23, 0x3c000000
	v_and_b32_e32 v114, 0x80000000, v114
	s_delay_alu instid0(VALU_DEP_1)
	v_or3_b32 v8, v8, v114, v112
.LBB380_22:                             ;   in Loop: Header=BB380_13 Depth=1
	s_or_b32 exec_lo, exec_lo, s22
.LBB380_23:                             ;   in Loop: Header=BB380_13 Depth=1
	s_delay_alu instid0(SALU_CYCLE_1)
	s_or_b32 exec_lo, exec_lo, s21
.LBB380_24:                             ;   in Loop: Header=BB380_13 Depth=1
	s_delay_alu instid0(SALU_CYCLE_1) | instskip(SKIP_2) | instid1(VALU_DEP_1)
	s_or_b32 exec_lo, exec_lo, s20
	s_waitcnt vmcnt(0) lgkmcnt(8)
	v_mul_f32_e32 v8, v103, v8
	v_and_b32_e32 v112, 0x7f800000, v8
	s_delay_alu instid0(VALU_DEP_1) | instskip(NEXT) | instid1(VALU_DEP_1)
	v_cmp_ne_u32_e64 s2, 0x7f800000, v112
                                        ; implicit-def: $vgpr112
	s_and_saveexec_b32 s20, s2
	s_delay_alu instid0(SALU_CYCLE_1)
	s_xor_b32 s2, exec_lo, s20
; %bb.25:                               ;   in Loop: Header=BB380_13 Depth=1
	v_bfe_u32 v112, v8, 16, 1
	s_delay_alu instid0(VALU_DEP_1)
	v_add3_u32 v112, v8, v112, 0x7fff
                                        ; implicit-def: $vgpr8
; %bb.26:                               ;   in Loop: Header=BB380_13 Depth=1
	s_and_not1_saveexec_b32 s20, s2
; %bb.27:                               ;   in Loop: Header=BB380_13 Depth=1
	v_and_b32_e32 v112, 0xffff, v8
	v_or_b32_e32 v114, 0x10000, v8
	s_delay_alu instid0(VALU_DEP_2) | instskip(NEXT) | instid1(VALU_DEP_1)
	v_cmp_eq_u32_e64 s2, 0, v112
	v_cndmask_b32_e64 v112, v114, v8, s2
; %bb.28:                               ;   in Loop: Header=BB380_13 Depth=1
	s_or_b32 exec_lo, exec_lo, s20
	v_lshrrev_b16 v114, 8, v113
	v_mov_b32_e32 v8, 0
	s_mov_b32 s20, exec_lo
	s_delay_alu instid0(VALU_DEP_2)
	v_cmpx_ne_u16_e32 0, v114
	s_cbranch_execz .LBB380_36
; %bb.29:                               ;   in Loop: Header=BB380_13 Depth=1
	v_bfrev_b32_e32 v8, 1
	s_mov_b32 s21, exec_lo
	v_cmpx_ne_u16_e32 0x80, v114
	s_cbranch_execz .LBB380_35
; %bb.30:                               ;   in Loop: Header=BB380_13 Depth=1
	v_and_b32_e32 v114, 0xffff, v114
	v_mov_b32_e32 v8, 0x7f800001
	s_mov_b32 s22, exec_lo
	s_delay_alu instid0(VALU_DEP_2) | instskip(NEXT) | instid1(VALU_DEP_1)
	v_and_b32_e32 v115, 0x7f, v114
	v_cmpx_ne_u32_e32 0x7f, v115
	s_cbranch_execz .LBB380_34
; %bb.31:                               ;   in Loop: Header=BB380_13 Depth=1
	v_and_b32_e32 v8, 7, v114
	v_lshrrev_b32_e32 v114, 3, v115
	s_mov_b32 s23, exec_lo
	v_cmpx_gt_u32_e32 8, v115
; %bb.32:                               ;   in Loop: Header=BB380_13 Depth=1
	s_delay_alu instid0(VALU_DEP_3) | instskip(NEXT) | instid1(VALU_DEP_1)
	v_clz_i32_u32_e32 v114, v8
	v_min_u32_e32 v114, 32, v114
	s_delay_alu instid0(VALU_DEP_1) | instskip(SKIP_1) | instid1(VALU_DEP_2)
	v_subrev_nc_u32_e32 v115, 28, v114
	v_sub_nc_u32_e32 v114, 29, v114
	v_lshlrev_b64 v[115:116], v115, v[8:9]
	s_delay_alu instid0(VALU_DEP_1)
	v_and_b32_e32 v8, 7, v115
; %bb.33:                               ;   in Loop: Header=BB380_13 Depth=1
	s_or_b32 exec_lo, exec_lo, s23
	v_lshlrev_b32_e32 v113, 16, v113
	s_delay_alu instid0(VALU_DEP_2) | instskip(SKIP_1) | instid1(VALU_DEP_3)
	v_lshlrev_b32_e32 v8, 20, v8
	v_lshl_add_u32 v114, v114, 23, 0x3c000000
	v_and_b32_e32 v113, 0x80000000, v113
	s_delay_alu instid0(VALU_DEP_1)
	v_or3_b32 v8, v8, v113, v114
.LBB380_34:                             ;   in Loop: Header=BB380_13 Depth=1
	s_or_b32 exec_lo, exec_lo, s22
.LBB380_35:                             ;   in Loop: Header=BB380_13 Depth=1
	s_delay_alu instid0(SALU_CYCLE_1)
	s_or_b32 exec_lo, exec_lo, s21
.LBB380_36:                             ;   in Loop: Header=BB380_13 Depth=1
	s_delay_alu instid0(SALU_CYCLE_1) | instskip(NEXT) | instid1(VALU_DEP_1)
	s_or_b32 exec_lo, exec_lo, s20
	v_mul_f32_e32 v8, v103, v8
	s_delay_alu instid0(VALU_DEP_1) | instskip(NEXT) | instid1(VALU_DEP_1)
	v_and_b32_e32 v113, 0x7f800000, v8
	v_cmp_ne_u32_e64 s2, 0x7f800000, v113
                                        ; implicit-def: $vgpr113
	s_delay_alu instid0(VALU_DEP_1) | instskip(NEXT) | instid1(SALU_CYCLE_1)
	s_and_saveexec_b32 s20, s2
	s_xor_b32 s2, exec_lo, s20
; %bb.37:                               ;   in Loop: Header=BB380_13 Depth=1
	v_bfe_u32 v113, v8, 16, 1
	s_delay_alu instid0(VALU_DEP_1)
	v_add3_u32 v113, v8, v113, 0x7fff
                                        ; implicit-def: $vgpr8
; %bb.38:                               ;   in Loop: Header=BB380_13 Depth=1
	s_and_not1_saveexec_b32 s20, s2
; %bb.39:                               ;   in Loop: Header=BB380_13 Depth=1
	v_and_b32_e32 v113, 0xffff, v8
	v_or_b32_e32 v114, 0x10000, v8
	s_delay_alu instid0(VALU_DEP_2) | instskip(NEXT) | instid1(VALU_DEP_1)
	v_cmp_eq_u32_e64 s2, 0, v113
	v_cndmask_b32_e64 v113, v114, v8, s2
; %bb.40:                               ;   in Loop: Header=BB380_13 Depth=1
	s_or_b32 exec_lo, exec_lo, s20
	flat_load_u16 v8, v[54:55] offset:8
	s_mov_b32 s20, exec_lo
	s_waitcnt vmcnt(0) lgkmcnt(0)
	v_and_b32_e32 v114, 0xff, v8
	v_dual_mov_b32 v8, 0 :: v_dual_and_b32 v115, 0xffff, v8
	s_delay_alu instid0(VALU_DEP_2)
	v_cmpx_ne_u16_e32 0, v114
	s_cbranch_execz .LBB380_48
; %bb.41:                               ;   in Loop: Header=BB380_13 Depth=1
	s_delay_alu instid0(VALU_DEP_2) | instskip(NEXT) | instid1(VALU_DEP_1)
	v_and_b32_e32 v8, 0xff, v115
	v_cmp_ne_u16_e64 s2, 0x80, v8
	v_bfrev_b32_e32 v8, 1
	s_delay_alu instid0(VALU_DEP_2)
	s_and_saveexec_b32 s21, s2
	s_cbranch_execz .LBB380_47
; %bb.42:                               ;   in Loop: Header=BB380_13 Depth=1
	v_and_b32_e32 v116, 0x7f, v115
	v_mov_b32_e32 v8, 0x7f800001
	s_mov_b32 s22, exec_lo
	s_delay_alu instid0(VALU_DEP_2)
	v_cmpx_ne_u32_e32 0x7f, v116
	s_cbranch_execz .LBB380_46
; %bb.43:                               ;   in Loop: Header=BB380_13 Depth=1
	v_and_b32_e32 v8, 7, v115
	v_lshrrev_b32_e32 v114, 3, v116
	s_mov_b32 s23, exec_lo
	v_cmpx_gt_u32_e32 8, v116
; %bb.44:                               ;   in Loop: Header=BB380_13 Depth=1
	s_delay_alu instid0(VALU_DEP_3) | instskip(NEXT) | instid1(VALU_DEP_1)
	v_clz_i32_u32_e32 v114, v8
	v_min_u32_e32 v114, 32, v114
	s_delay_alu instid0(VALU_DEP_1) | instskip(SKIP_1) | instid1(VALU_DEP_2)
	v_subrev_nc_u32_e32 v116, 28, v114
	v_sub_nc_u32_e32 v114, 29, v114
	v_lshlrev_b64 v[116:117], v116, v[8:9]
	s_delay_alu instid0(VALU_DEP_1)
	v_and_b32_e32 v8, 7, v116
; %bb.45:                               ;   in Loop: Header=BB380_13 Depth=1
	s_or_b32 exec_lo, exec_lo, s23
	v_lshlrev_b32_e32 v116, 24, v115
	s_delay_alu instid0(VALU_DEP_2) | instskip(SKIP_1) | instid1(VALU_DEP_3)
	v_lshlrev_b32_e32 v8, 20, v8
	v_lshl_add_u32 v114, v114, 23, 0x3c000000
	v_and_b32_e32 v116, 0x80000000, v116
	s_delay_alu instid0(VALU_DEP_1)
	v_or3_b32 v8, v8, v116, v114
.LBB380_46:                             ;   in Loop: Header=BB380_13 Depth=1
	s_or_b32 exec_lo, exec_lo, s22
.LBB380_47:                             ;   in Loop: Header=BB380_13 Depth=1
	s_delay_alu instid0(SALU_CYCLE_1)
	s_or_b32 exec_lo, exec_lo, s21
.LBB380_48:                             ;   in Loop: Header=BB380_13 Depth=1
	s_delay_alu instid0(SALU_CYCLE_1) | instskip(NEXT) | instid1(VALU_DEP_1)
	s_or_b32 exec_lo, exec_lo, s20
	v_mul_f32_e32 v8, v103, v8
	s_delay_alu instid0(VALU_DEP_1) | instskip(NEXT) | instid1(VALU_DEP_1)
	v_and_b32_e32 v114, 0x7f800000, v8
	v_cmp_ne_u32_e64 s2, 0x7f800000, v114
                                        ; implicit-def: $vgpr114
	s_delay_alu instid0(VALU_DEP_1) | instskip(NEXT) | instid1(SALU_CYCLE_1)
	s_and_saveexec_b32 s20, s2
	s_xor_b32 s2, exec_lo, s20
; %bb.49:                               ;   in Loop: Header=BB380_13 Depth=1
	v_bfe_u32 v114, v8, 16, 1
	s_delay_alu instid0(VALU_DEP_1)
	v_add3_u32 v114, v8, v114, 0x7fff
                                        ; implicit-def: $vgpr8
; %bb.50:                               ;   in Loop: Header=BB380_13 Depth=1
	s_and_not1_saveexec_b32 s20, s2
; %bb.51:                               ;   in Loop: Header=BB380_13 Depth=1
	v_and_b32_e32 v114, 0xffff, v8
	v_or_b32_e32 v116, 0x10000, v8
	s_delay_alu instid0(VALU_DEP_2) | instskip(NEXT) | instid1(VALU_DEP_1)
	v_cmp_eq_u32_e64 s2, 0, v114
	v_cndmask_b32_e64 v114, v116, v8, s2
; %bb.52:                               ;   in Loop: Header=BB380_13 Depth=1
	s_or_b32 exec_lo, exec_lo, s20
	v_lshrrev_b16 v116, 8, v115
	v_mov_b32_e32 v8, 0
	s_mov_b32 s20, exec_lo
	s_delay_alu instid0(VALU_DEP_2)
	v_cmpx_ne_u16_e32 0, v116
	s_cbranch_execz .LBB380_60
; %bb.53:                               ;   in Loop: Header=BB380_13 Depth=1
	v_bfrev_b32_e32 v8, 1
	s_mov_b32 s21, exec_lo
	v_cmpx_ne_u16_e32 0x80, v116
	s_cbranch_execz .LBB380_59
; %bb.54:                               ;   in Loop: Header=BB380_13 Depth=1
	v_and_b32_e32 v116, 0xffff, v116
	v_mov_b32_e32 v8, 0x7f800001
	s_mov_b32 s22, exec_lo
	s_delay_alu instid0(VALU_DEP_2) | instskip(NEXT) | instid1(VALU_DEP_1)
	v_and_b32_e32 v117, 0x7f, v116
	v_cmpx_ne_u32_e32 0x7f, v117
	s_cbranch_execz .LBB380_58
; %bb.55:                               ;   in Loop: Header=BB380_13 Depth=1
	v_and_b32_e32 v8, 7, v116
	v_lshrrev_b32_e32 v116, 3, v117
	s_mov_b32 s23, exec_lo
	v_cmpx_gt_u32_e32 8, v117
; %bb.56:                               ;   in Loop: Header=BB380_13 Depth=1
	s_delay_alu instid0(VALU_DEP_3) | instskip(NEXT) | instid1(VALU_DEP_1)
	v_clz_i32_u32_e32 v116, v8
	v_min_u32_e32 v116, 32, v116
	s_delay_alu instid0(VALU_DEP_1) | instskip(SKIP_1) | instid1(VALU_DEP_2)
	v_subrev_nc_u32_e32 v117, 28, v116
	v_sub_nc_u32_e32 v116, 29, v116
	v_lshlrev_b64 v[117:118], v117, v[8:9]
	s_delay_alu instid0(VALU_DEP_1)
	v_and_b32_e32 v8, 7, v117
; %bb.57:                               ;   in Loop: Header=BB380_13 Depth=1
	s_or_b32 exec_lo, exec_lo, s23
	v_lshlrev_b32_e32 v115, 16, v115
	s_delay_alu instid0(VALU_DEP_2) | instskip(SKIP_1) | instid1(VALU_DEP_3)
	v_lshlrev_b32_e32 v8, 20, v8
	v_lshl_add_u32 v116, v116, 23, 0x3c000000
	v_and_b32_e32 v115, 0x80000000, v115
	s_delay_alu instid0(VALU_DEP_1)
	v_or3_b32 v8, v8, v115, v116
.LBB380_58:                             ;   in Loop: Header=BB380_13 Depth=1
	s_or_b32 exec_lo, exec_lo, s22
.LBB380_59:                             ;   in Loop: Header=BB380_13 Depth=1
	s_delay_alu instid0(SALU_CYCLE_1)
	s_or_b32 exec_lo, exec_lo, s21
.LBB380_60:                             ;   in Loop: Header=BB380_13 Depth=1
	s_delay_alu instid0(SALU_CYCLE_1) | instskip(NEXT) | instid1(VALU_DEP_1)
	s_or_b32 exec_lo, exec_lo, s20
	v_mul_f32_e32 v8, v103, v8
	s_delay_alu instid0(VALU_DEP_1) | instskip(NEXT) | instid1(VALU_DEP_1)
	v_and_b32_e32 v115, 0x7f800000, v8
	v_cmp_ne_u32_e64 s2, 0x7f800000, v115
                                        ; implicit-def: $vgpr115
	s_delay_alu instid0(VALU_DEP_1) | instskip(NEXT) | instid1(SALU_CYCLE_1)
	s_and_saveexec_b32 s20, s2
	s_xor_b32 s2, exec_lo, s20
; %bb.61:                               ;   in Loop: Header=BB380_13 Depth=1
	v_bfe_u32 v115, v8, 16, 1
	s_delay_alu instid0(VALU_DEP_1)
	v_add3_u32 v115, v8, v115, 0x7fff
                                        ; implicit-def: $vgpr8
; %bb.62:                               ;   in Loop: Header=BB380_13 Depth=1
	s_and_not1_saveexec_b32 s20, s2
; %bb.63:                               ;   in Loop: Header=BB380_13 Depth=1
	v_and_b32_e32 v115, 0xffff, v8
	v_or_b32_e32 v116, 0x10000, v8
	s_delay_alu instid0(VALU_DEP_2) | instskip(NEXT) | instid1(VALU_DEP_1)
	v_cmp_eq_u32_e64 s2, 0, v115
	v_cndmask_b32_e64 v115, v116, v8, s2
; %bb.64:                               ;   in Loop: Header=BB380_13 Depth=1
	s_or_b32 exec_lo, exec_lo, s20
	flat_load_u16 v8, v[54:55] offset:128
	s_mov_b32 s20, exec_lo
	s_waitcnt vmcnt(0) lgkmcnt(0)
	v_and_b32_e32 v116, 0xff, v8
	v_dual_mov_b32 v8, 0 :: v_dual_and_b32 v117, 0xffff, v8
	s_delay_alu instid0(VALU_DEP_2)
	v_cmpx_ne_u16_e32 0, v116
	s_cbranch_execz .LBB380_72
; %bb.65:                               ;   in Loop: Header=BB380_13 Depth=1
	s_delay_alu instid0(VALU_DEP_2) | instskip(NEXT) | instid1(VALU_DEP_1)
	v_and_b32_e32 v8, 0xff, v117
	v_cmp_ne_u16_e64 s2, 0x80, v8
	v_bfrev_b32_e32 v8, 1
	s_delay_alu instid0(VALU_DEP_2)
	s_and_saveexec_b32 s21, s2
	s_cbranch_execz .LBB380_71
; %bb.66:                               ;   in Loop: Header=BB380_13 Depth=1
	v_and_b32_e32 v118, 0x7f, v117
	v_mov_b32_e32 v8, 0x7f800001
	s_mov_b32 s22, exec_lo
	s_delay_alu instid0(VALU_DEP_2)
	v_cmpx_ne_u32_e32 0x7f, v118
	s_cbranch_execz .LBB380_70
; %bb.67:                               ;   in Loop: Header=BB380_13 Depth=1
	v_and_b32_e32 v8, 7, v117
	v_lshrrev_b32_e32 v116, 3, v118
	s_mov_b32 s23, exec_lo
	v_cmpx_gt_u32_e32 8, v118
; %bb.68:                               ;   in Loop: Header=BB380_13 Depth=1
	s_delay_alu instid0(VALU_DEP_3) | instskip(NEXT) | instid1(VALU_DEP_1)
	v_clz_i32_u32_e32 v116, v8
	v_min_u32_e32 v116, 32, v116
	s_delay_alu instid0(VALU_DEP_1) | instskip(SKIP_1) | instid1(VALU_DEP_2)
	v_subrev_nc_u32_e32 v118, 28, v116
	v_sub_nc_u32_e32 v116, 29, v116
	v_lshlrev_b64 v[118:119], v118, v[8:9]
	s_delay_alu instid0(VALU_DEP_1)
	v_and_b32_e32 v8, 7, v118
; %bb.69:                               ;   in Loop: Header=BB380_13 Depth=1
	s_or_b32 exec_lo, exec_lo, s23
	v_lshlrev_b32_e32 v118, 24, v117
	s_delay_alu instid0(VALU_DEP_2) | instskip(SKIP_1) | instid1(VALU_DEP_3)
	v_lshlrev_b32_e32 v8, 20, v8
	v_lshl_add_u32 v116, v116, 23, 0x3c000000
	v_and_b32_e32 v118, 0x80000000, v118
	s_delay_alu instid0(VALU_DEP_1)
	v_or3_b32 v8, v8, v118, v116
.LBB380_70:                             ;   in Loop: Header=BB380_13 Depth=1
	s_or_b32 exec_lo, exec_lo, s22
.LBB380_71:                             ;   in Loop: Header=BB380_13 Depth=1
	s_delay_alu instid0(SALU_CYCLE_1)
	s_or_b32 exec_lo, exec_lo, s21
.LBB380_72:                             ;   in Loop: Header=BB380_13 Depth=1
	s_delay_alu instid0(SALU_CYCLE_1) | instskip(NEXT) | instid1(VALU_DEP_1)
	s_or_b32 exec_lo, exec_lo, s20
	v_mul_f32_e32 v8, v103, v8
	s_delay_alu instid0(VALU_DEP_1) | instskip(NEXT) | instid1(VALU_DEP_1)
	v_and_b32_e32 v116, 0x7f800000, v8
	v_cmp_ne_u32_e64 s2, 0x7f800000, v116
                                        ; implicit-def: $vgpr116
	s_delay_alu instid0(VALU_DEP_1) | instskip(NEXT) | instid1(SALU_CYCLE_1)
	s_and_saveexec_b32 s20, s2
	s_xor_b32 s2, exec_lo, s20
; %bb.73:                               ;   in Loop: Header=BB380_13 Depth=1
	v_bfe_u32 v116, v8, 16, 1
	s_delay_alu instid0(VALU_DEP_1)
	v_add3_u32 v116, v8, v116, 0x7fff
                                        ; implicit-def: $vgpr8
; %bb.74:                               ;   in Loop: Header=BB380_13 Depth=1
	s_and_not1_saveexec_b32 s20, s2
; %bb.75:                               ;   in Loop: Header=BB380_13 Depth=1
	v_and_b32_e32 v116, 0xffff, v8
	v_or_b32_e32 v118, 0x10000, v8
	s_delay_alu instid0(VALU_DEP_2) | instskip(NEXT) | instid1(VALU_DEP_1)
	v_cmp_eq_u32_e64 s2, 0, v116
	v_cndmask_b32_e64 v116, v118, v8, s2
; %bb.76:                               ;   in Loop: Header=BB380_13 Depth=1
	s_or_b32 exec_lo, exec_lo, s20
	v_lshrrev_b16 v118, 8, v117
	v_mov_b32_e32 v8, 0
	s_mov_b32 s20, exec_lo
	s_delay_alu instid0(VALU_DEP_2)
	v_cmpx_ne_u16_e32 0, v118
	s_cbranch_execz .LBB380_84
; %bb.77:                               ;   in Loop: Header=BB380_13 Depth=1
	v_bfrev_b32_e32 v8, 1
	s_mov_b32 s21, exec_lo
	v_cmpx_ne_u16_e32 0x80, v118
	s_cbranch_execz .LBB380_83
; %bb.78:                               ;   in Loop: Header=BB380_13 Depth=1
	v_and_b32_e32 v118, 0xffff, v118
	v_mov_b32_e32 v8, 0x7f800001
	s_mov_b32 s22, exec_lo
	s_delay_alu instid0(VALU_DEP_2) | instskip(NEXT) | instid1(VALU_DEP_1)
	v_and_b32_e32 v119, 0x7f, v118
	v_cmpx_ne_u32_e32 0x7f, v119
	s_cbranch_execz .LBB380_82
; %bb.79:                               ;   in Loop: Header=BB380_13 Depth=1
	v_and_b32_e32 v8, 7, v118
	v_lshrrev_b32_e32 v118, 3, v119
	s_mov_b32 s23, exec_lo
	v_cmpx_gt_u32_e32 8, v119
; %bb.80:                               ;   in Loop: Header=BB380_13 Depth=1
	s_delay_alu instid0(VALU_DEP_3) | instskip(NEXT) | instid1(VALU_DEP_1)
	v_clz_i32_u32_e32 v118, v8
	v_min_u32_e32 v118, 32, v118
	s_delay_alu instid0(VALU_DEP_1) | instskip(SKIP_1) | instid1(VALU_DEP_2)
	v_subrev_nc_u32_e32 v119, 28, v118
	v_sub_nc_u32_e32 v118, 29, v118
	v_lshlrev_b64 v[128:129], v119, v[8:9]
	s_delay_alu instid0(VALU_DEP_1)
	v_and_b32_e32 v8, 7, v128
; %bb.81:                               ;   in Loop: Header=BB380_13 Depth=1
	s_or_b32 exec_lo, exec_lo, s23
	v_lshlrev_b32_e32 v117, 16, v117
	s_delay_alu instid0(VALU_DEP_2) | instskip(SKIP_1) | instid1(VALU_DEP_3)
	v_lshlrev_b32_e32 v8, 20, v8
	v_lshl_add_u32 v118, v118, 23, 0x3c000000
	v_and_b32_e32 v117, 0x80000000, v117
	s_delay_alu instid0(VALU_DEP_1)
	v_or3_b32 v8, v8, v117, v118
.LBB380_82:                             ;   in Loop: Header=BB380_13 Depth=1
	s_or_b32 exec_lo, exec_lo, s22
.LBB380_83:                             ;   in Loop: Header=BB380_13 Depth=1
	s_delay_alu instid0(SALU_CYCLE_1)
	s_or_b32 exec_lo, exec_lo, s21
.LBB380_84:                             ;   in Loop: Header=BB380_13 Depth=1
	s_delay_alu instid0(SALU_CYCLE_1) | instskip(NEXT) | instid1(VALU_DEP_1)
	s_or_b32 exec_lo, exec_lo, s20
	v_mul_f32_e32 v8, v103, v8
	s_delay_alu instid0(VALU_DEP_1) | instskip(NEXT) | instid1(VALU_DEP_1)
	v_and_b32_e32 v117, 0x7f800000, v8
	v_cmp_ne_u32_e64 s2, 0x7f800000, v117
                                        ; implicit-def: $vgpr117
	s_delay_alu instid0(VALU_DEP_1) | instskip(NEXT) | instid1(SALU_CYCLE_1)
	s_and_saveexec_b32 s20, s2
	s_xor_b32 s2, exec_lo, s20
; %bb.85:                               ;   in Loop: Header=BB380_13 Depth=1
	v_bfe_u32 v117, v8, 16, 1
	s_delay_alu instid0(VALU_DEP_1)
	v_add3_u32 v117, v8, v117, 0x7fff
                                        ; implicit-def: $vgpr8
; %bb.86:                               ;   in Loop: Header=BB380_13 Depth=1
	s_and_not1_saveexec_b32 s20, s2
; %bb.87:                               ;   in Loop: Header=BB380_13 Depth=1
	v_and_b32_e32 v117, 0xffff, v8
	v_or_b32_e32 v118, 0x10000, v8
	s_delay_alu instid0(VALU_DEP_2) | instskip(NEXT) | instid1(VALU_DEP_1)
	v_cmp_eq_u32_e64 s2, 0, v117
	v_cndmask_b32_e64 v117, v118, v8, s2
; %bb.88:                               ;   in Loop: Header=BB380_13 Depth=1
	s_or_b32 exec_lo, exec_lo, s20
	flat_load_u16 v8, v[54:55] offset:136
	s_mov_b32 s20, exec_lo
	s_waitcnt vmcnt(0) lgkmcnt(0)
	v_and_b32_e32 v118, 0xff, v8
	v_dual_mov_b32 v8, 0 :: v_dual_and_b32 v119, 0xffff, v8
	s_delay_alu instid0(VALU_DEP_2)
	v_cmpx_ne_u16_e32 0, v118
	s_cbranch_execz .LBB380_96
; %bb.89:                               ;   in Loop: Header=BB380_13 Depth=1
	s_delay_alu instid0(VALU_DEP_2) | instskip(NEXT) | instid1(VALU_DEP_1)
	v_and_b32_e32 v8, 0xff, v119
	v_cmp_ne_u16_e64 s2, 0x80, v8
	v_bfrev_b32_e32 v8, 1
	s_delay_alu instid0(VALU_DEP_2)
	s_and_saveexec_b32 s21, s2
	s_cbranch_execz .LBB380_95
; %bb.90:                               ;   in Loop: Header=BB380_13 Depth=1
	v_and_b32_e32 v128, 0x7f, v119
	v_mov_b32_e32 v8, 0x7f800001
	s_mov_b32 s22, exec_lo
	s_delay_alu instid0(VALU_DEP_2)
	v_cmpx_ne_u32_e32 0x7f, v128
	s_cbranch_execz .LBB380_94
; %bb.91:                               ;   in Loop: Header=BB380_13 Depth=1
	v_and_b32_e32 v8, 7, v119
	v_lshrrev_b32_e32 v118, 3, v128
	s_mov_b32 s23, exec_lo
	v_cmpx_gt_u32_e32 8, v128
; %bb.92:                               ;   in Loop: Header=BB380_13 Depth=1
	s_delay_alu instid0(VALU_DEP_3) | instskip(NEXT) | instid1(VALU_DEP_1)
	v_clz_i32_u32_e32 v118, v8
	v_min_u32_e32 v118, 32, v118
	s_delay_alu instid0(VALU_DEP_1) | instskip(SKIP_1) | instid1(VALU_DEP_2)
	v_subrev_nc_u32_e32 v128, 28, v118
	v_sub_nc_u32_e32 v118, 29, v118
	v_lshlrev_b64 v[128:129], v128, v[8:9]
	s_delay_alu instid0(VALU_DEP_1)
	v_and_b32_e32 v8, 7, v128
; %bb.93:                               ;   in Loop: Header=BB380_13 Depth=1
	s_or_b32 exec_lo, exec_lo, s23
	v_lshlrev_b32_e32 v128, 24, v119
	s_delay_alu instid0(VALU_DEP_2) | instskip(SKIP_1) | instid1(VALU_DEP_3)
	v_lshlrev_b32_e32 v8, 20, v8
	v_lshl_add_u32 v118, v118, 23, 0x3c000000
	v_and_b32_e32 v128, 0x80000000, v128
	s_delay_alu instid0(VALU_DEP_1)
	v_or3_b32 v8, v8, v128, v118
.LBB380_94:                             ;   in Loop: Header=BB380_13 Depth=1
	s_or_b32 exec_lo, exec_lo, s22
.LBB380_95:                             ;   in Loop: Header=BB380_13 Depth=1
	s_delay_alu instid0(SALU_CYCLE_1)
	s_or_b32 exec_lo, exec_lo, s21
.LBB380_96:                             ;   in Loop: Header=BB380_13 Depth=1
	s_delay_alu instid0(SALU_CYCLE_1) | instskip(NEXT) | instid1(VALU_DEP_1)
	s_or_b32 exec_lo, exec_lo, s20
	v_mul_f32_e32 v8, v103, v8
	s_delay_alu instid0(VALU_DEP_1) | instskip(NEXT) | instid1(VALU_DEP_1)
	v_and_b32_e32 v118, 0x7f800000, v8
	v_cmp_ne_u32_e64 s2, 0x7f800000, v118
                                        ; implicit-def: $vgpr118
	s_delay_alu instid0(VALU_DEP_1) | instskip(NEXT) | instid1(SALU_CYCLE_1)
	s_and_saveexec_b32 s20, s2
	s_xor_b32 s2, exec_lo, s20
; %bb.97:                               ;   in Loop: Header=BB380_13 Depth=1
	v_bfe_u32 v118, v8, 16, 1
	s_delay_alu instid0(VALU_DEP_1)
	v_add3_u32 v118, v8, v118, 0x7fff
                                        ; implicit-def: $vgpr8
; %bb.98:                               ;   in Loop: Header=BB380_13 Depth=1
	s_and_not1_saveexec_b32 s20, s2
; %bb.99:                               ;   in Loop: Header=BB380_13 Depth=1
	v_and_b32_e32 v118, 0xffff, v8
	v_or_b32_e32 v128, 0x10000, v8
	s_delay_alu instid0(VALU_DEP_2) | instskip(NEXT) | instid1(VALU_DEP_1)
	v_cmp_eq_u32_e64 s2, 0, v118
	v_cndmask_b32_e64 v118, v128, v8, s2
; %bb.100:                              ;   in Loop: Header=BB380_13 Depth=1
	s_or_b32 exec_lo, exec_lo, s20
	v_lshrrev_b16 v128, 8, v119
	v_mov_b32_e32 v8, 0
	s_mov_b32 s20, exec_lo
	s_delay_alu instid0(VALU_DEP_2)
	v_cmpx_ne_u16_e64 0, v128
	s_cbranch_execz .LBB380_108
; %bb.101:                              ;   in Loop: Header=BB380_13 Depth=1
	v_bfrev_b32_e32 v8, 1
	s_mov_b32 s21, exec_lo
	v_cmpx_ne_u16_e64 0x80, v128
	s_cbranch_execz .LBB380_107
; %bb.102:                              ;   in Loop: Header=BB380_13 Depth=1
	v_and_b32_e32 v128, 0xffff, v128
	v_mov_b32_e32 v8, 0x7f800001
	s_mov_b32 s22, exec_lo
	s_delay_alu instid0(VALU_DEP_2) | instskip(NEXT) | instid1(VALU_DEP_1)
	v_and_b32_e32 v129, 0x7f, v128
	v_cmpx_ne_u32_e32 0x7f, v129
	s_cbranch_execz .LBB380_106
; %bb.103:                              ;   in Loop: Header=BB380_13 Depth=1
	v_and_b32_e32 v8, 7, v128
	v_lshrrev_b32_e32 v128, 3, v129
	s_mov_b32 s23, exec_lo
	v_cmpx_gt_u32_e32 8, v129
; %bb.104:                              ;   in Loop: Header=BB380_13 Depth=1
	s_delay_alu instid0(VALU_DEP_3) | instskip(NEXT) | instid1(VALU_DEP_1)
	v_clz_i32_u32_e32 v128, v8
	v_min_u32_e32 v128, 32, v128
	s_delay_alu instid0(VALU_DEP_1) | instskip(SKIP_1) | instid1(VALU_DEP_2)
	v_subrev_nc_u32_e32 v129, 28, v128
	v_sub_nc_u32_e32 v128, 29, v128
	v_lshlrev_b64 v[129:130], v129, v[8:9]
	s_delay_alu instid0(VALU_DEP_1)
	v_and_b32_e32 v8, 7, v129
; %bb.105:                              ;   in Loop: Header=BB380_13 Depth=1
	s_or_b32 exec_lo, exec_lo, s23
	v_lshlrev_b32_e32 v119, 16, v119
	s_delay_alu instid0(VALU_DEP_2) | instskip(SKIP_1) | instid1(VALU_DEP_3)
	v_lshlrev_b32_e32 v8, 20, v8
	v_lshl_add_u32 v128, v128, 23, 0x3c000000
	v_and_b32_e32 v119, 0x80000000, v119
	s_delay_alu instid0(VALU_DEP_1)
	v_or3_b32 v8, v8, v119, v128
.LBB380_106:                            ;   in Loop: Header=BB380_13 Depth=1
	s_or_b32 exec_lo, exec_lo, s22
.LBB380_107:                            ;   in Loop: Header=BB380_13 Depth=1
	s_delay_alu instid0(SALU_CYCLE_1)
	s_or_b32 exec_lo, exec_lo, s21
.LBB380_108:                            ;   in Loop: Header=BB380_13 Depth=1
	s_delay_alu instid0(SALU_CYCLE_1) | instskip(NEXT) | instid1(VALU_DEP_1)
	s_or_b32 exec_lo, exec_lo, s20
	v_mul_f32_e32 v8, v103, v8
	s_delay_alu instid0(VALU_DEP_1) | instskip(NEXT) | instid1(VALU_DEP_1)
	v_and_b32_e32 v119, 0x7f800000, v8
	v_cmp_ne_u32_e64 s2, 0x7f800000, v119
                                        ; implicit-def: $vgpr119
	s_delay_alu instid0(VALU_DEP_1) | instskip(NEXT) | instid1(SALU_CYCLE_1)
	s_and_saveexec_b32 s20, s2
	s_xor_b32 s2, exec_lo, s20
; %bb.109:                              ;   in Loop: Header=BB380_13 Depth=1
	v_bfe_u32 v119, v8, 16, 1
	s_delay_alu instid0(VALU_DEP_1)
	v_add3_u32 v119, v8, v119, 0x7fff
                                        ; implicit-def: $vgpr8
; %bb.110:                              ;   in Loop: Header=BB380_13 Depth=1
	s_and_not1_saveexec_b32 s20, s2
; %bb.111:                              ;   in Loop: Header=BB380_13 Depth=1
	v_and_b32_e32 v119, 0xffff, v8
	v_or_b32_e32 v128, 0x10000, v8
	s_delay_alu instid0(VALU_DEP_2) | instskip(NEXT) | instid1(VALU_DEP_1)
	v_cmp_eq_u32_e64 s2, 0, v119
	v_cndmask_b32_e64 v119, v128, v8, s2
; %bb.112:                              ;   in Loop: Header=BB380_13 Depth=1
	s_or_b32 exec_lo, exec_lo, s20
	flat_load_u16 v8, v[54:55] offset:256
	s_mov_b32 s20, exec_lo
	s_waitcnt vmcnt(0) lgkmcnt(0)
	v_and_b32_e32 v128, 0xff, v8
	v_dual_mov_b32 v8, 0 :: v_dual_and_b32 v129, 0xffff, v8
	s_delay_alu instid0(VALU_DEP_2)
	v_cmpx_ne_u16_e64 0, v128
	s_cbranch_execz .LBB380_120
; %bb.113:                              ;   in Loop: Header=BB380_13 Depth=1
	s_delay_alu instid0(VALU_DEP_2) | instskip(NEXT) | instid1(VALU_DEP_1)
	v_and_b32_e32 v8, 0xff, v129
	v_cmp_ne_u16_e64 s2, 0x80, v8
	v_bfrev_b32_e32 v8, 1
	s_delay_alu instid0(VALU_DEP_2)
	s_and_saveexec_b32 s21, s2
	s_cbranch_execz .LBB380_119
; %bb.114:                              ;   in Loop: Header=BB380_13 Depth=1
	v_and_b32_e32 v130, 0x7f, v129
	v_mov_b32_e32 v8, 0x7f800001
	s_mov_b32 s22, exec_lo
	s_delay_alu instid0(VALU_DEP_2)
	v_cmpx_ne_u32_e32 0x7f, v130
	s_cbranch_execz .LBB380_118
; %bb.115:                              ;   in Loop: Header=BB380_13 Depth=1
	v_and_b32_e32 v8, 7, v129
	v_lshrrev_b32_e32 v128, 3, v130
	s_mov_b32 s23, exec_lo
	v_cmpx_gt_u32_e32 8, v130
; %bb.116:                              ;   in Loop: Header=BB380_13 Depth=1
	s_delay_alu instid0(VALU_DEP_3) | instskip(NEXT) | instid1(VALU_DEP_1)
	v_clz_i32_u32_e32 v128, v8
	v_min_u32_e32 v128, 32, v128
	s_delay_alu instid0(VALU_DEP_1) | instskip(SKIP_1) | instid1(VALU_DEP_2)
	v_subrev_nc_u32_e32 v130, 28, v128
	v_sub_nc_u32_e32 v128, 29, v128
	v_lshlrev_b64 v[130:131], v130, v[8:9]
	s_delay_alu instid0(VALU_DEP_1)
	v_and_b32_e32 v8, 7, v130
; %bb.117:                              ;   in Loop: Header=BB380_13 Depth=1
	s_or_b32 exec_lo, exec_lo, s23
	v_lshlrev_b32_e32 v130, 24, v129
	s_delay_alu instid0(VALU_DEP_2) | instskip(SKIP_1) | instid1(VALU_DEP_3)
	v_lshlrev_b32_e32 v8, 20, v8
	v_lshl_add_u32 v128, v128, 23, 0x3c000000
	v_and_b32_e32 v130, 0x80000000, v130
	s_delay_alu instid0(VALU_DEP_1)
	v_or3_b32 v8, v8, v130, v128
.LBB380_118:                            ;   in Loop: Header=BB380_13 Depth=1
	s_or_b32 exec_lo, exec_lo, s22
.LBB380_119:                            ;   in Loop: Header=BB380_13 Depth=1
	s_delay_alu instid0(SALU_CYCLE_1)
	s_or_b32 exec_lo, exec_lo, s21
.LBB380_120:                            ;   in Loop: Header=BB380_13 Depth=1
	s_delay_alu instid0(SALU_CYCLE_1) | instskip(NEXT) | instid1(VALU_DEP_1)
	s_or_b32 exec_lo, exec_lo, s20
	v_mul_f32_e32 v8, v103, v8
	s_delay_alu instid0(VALU_DEP_1) | instskip(NEXT) | instid1(VALU_DEP_1)
	v_and_b32_e32 v128, 0x7f800000, v8
	v_cmp_ne_u32_e64 s2, 0x7f800000, v128
                                        ; implicit-def: $vgpr128
	s_delay_alu instid0(VALU_DEP_1) | instskip(NEXT) | instid1(SALU_CYCLE_1)
	s_and_saveexec_b32 s20, s2
	s_xor_b32 s2, exec_lo, s20
; %bb.121:                              ;   in Loop: Header=BB380_13 Depth=1
	v_bfe_u32 v128, v8, 16, 1
	s_delay_alu instid0(VALU_DEP_1)
	v_add3_u32 v128, v8, v128, 0x7fff
                                        ; implicit-def: $vgpr8
; %bb.122:                              ;   in Loop: Header=BB380_13 Depth=1
	s_and_not1_saveexec_b32 s20, s2
; %bb.123:                              ;   in Loop: Header=BB380_13 Depth=1
	v_and_b32_e32 v128, 0xffff, v8
	v_or_b32_e32 v130, 0x10000, v8
	s_delay_alu instid0(VALU_DEP_2) | instskip(NEXT) | instid1(VALU_DEP_1)
	v_cmp_eq_u32_e64 s2, 0, v128
	v_cndmask_b32_e64 v128, v130, v8, s2
; %bb.124:                              ;   in Loop: Header=BB380_13 Depth=1
	s_or_b32 exec_lo, exec_lo, s20
	v_lshrrev_b16 v130, 8, v129
	v_mov_b32_e32 v8, 0
	s_mov_b32 s20, exec_lo
	s_delay_alu instid0(VALU_DEP_2)
	v_cmpx_ne_u16_e64 0, v130
	s_cbranch_execz .LBB380_132
; %bb.125:                              ;   in Loop: Header=BB380_13 Depth=1
	v_bfrev_b32_e32 v8, 1
	s_mov_b32 s21, exec_lo
	v_cmpx_ne_u16_e64 0x80, v130
	s_cbranch_execz .LBB380_131
; %bb.126:                              ;   in Loop: Header=BB380_13 Depth=1
	v_and_b32_e32 v130, 0xffff, v130
	v_mov_b32_e32 v8, 0x7f800001
	s_mov_b32 s22, exec_lo
	s_delay_alu instid0(VALU_DEP_2) | instskip(NEXT) | instid1(VALU_DEP_1)
	v_and_b32_e32 v131, 0x7f, v130
	v_cmpx_ne_u32_e32 0x7f, v131
	s_cbranch_execz .LBB380_130
; %bb.127:                              ;   in Loop: Header=BB380_13 Depth=1
	v_and_b32_e32 v8, 7, v130
	v_lshrrev_b32_e32 v130, 3, v131
	s_mov_b32 s23, exec_lo
	v_cmpx_gt_u32_e32 8, v131
; %bb.128:                              ;   in Loop: Header=BB380_13 Depth=1
	s_delay_alu instid0(VALU_DEP_3) | instskip(NEXT) | instid1(VALU_DEP_1)
	v_clz_i32_u32_e32 v130, v8
	v_min_u32_e32 v130, 32, v130
	s_delay_alu instid0(VALU_DEP_1) | instskip(SKIP_1) | instid1(VALU_DEP_2)
	v_subrev_nc_u32_e32 v131, 28, v130
	v_sub_nc_u32_e32 v130, 29, v130
	v_lshlrev_b64 v[131:132], v131, v[8:9]
	s_delay_alu instid0(VALU_DEP_1)
	v_and_b32_e32 v8, 7, v131
; %bb.129:                              ;   in Loop: Header=BB380_13 Depth=1
	s_or_b32 exec_lo, exec_lo, s23
	v_lshlrev_b32_e32 v129, 16, v129
	s_delay_alu instid0(VALU_DEP_2) | instskip(SKIP_1) | instid1(VALU_DEP_3)
	v_lshlrev_b32_e32 v8, 20, v8
	v_lshl_add_u32 v130, v130, 23, 0x3c000000
	v_and_b32_e32 v129, 0x80000000, v129
	s_delay_alu instid0(VALU_DEP_1)
	v_or3_b32 v8, v8, v129, v130
.LBB380_130:                            ;   in Loop: Header=BB380_13 Depth=1
	s_or_b32 exec_lo, exec_lo, s22
.LBB380_131:                            ;   in Loop: Header=BB380_13 Depth=1
	s_delay_alu instid0(SALU_CYCLE_1)
	s_or_b32 exec_lo, exec_lo, s21
.LBB380_132:                            ;   in Loop: Header=BB380_13 Depth=1
	s_delay_alu instid0(SALU_CYCLE_1) | instskip(NEXT) | instid1(VALU_DEP_1)
	s_or_b32 exec_lo, exec_lo, s20
	v_mul_f32_e32 v8, v103, v8
	s_delay_alu instid0(VALU_DEP_1) | instskip(NEXT) | instid1(VALU_DEP_1)
	v_and_b32_e32 v129, 0x7f800000, v8
	v_cmp_ne_u32_e64 s2, 0x7f800000, v129
                                        ; implicit-def: $vgpr129
	s_delay_alu instid0(VALU_DEP_1) | instskip(NEXT) | instid1(SALU_CYCLE_1)
	s_and_saveexec_b32 s20, s2
	s_xor_b32 s2, exec_lo, s20
; %bb.133:                              ;   in Loop: Header=BB380_13 Depth=1
	v_bfe_u32 v129, v8, 16, 1
	s_delay_alu instid0(VALU_DEP_1)
	v_add3_u32 v129, v8, v129, 0x7fff
                                        ; implicit-def: $vgpr8
; %bb.134:                              ;   in Loop: Header=BB380_13 Depth=1
	s_and_not1_saveexec_b32 s20, s2
; %bb.135:                              ;   in Loop: Header=BB380_13 Depth=1
	v_and_b32_e32 v129, 0xffff, v8
	v_or_b32_e32 v130, 0x10000, v8
	s_delay_alu instid0(VALU_DEP_2) | instskip(NEXT) | instid1(VALU_DEP_1)
	v_cmp_eq_u32_e64 s2, 0, v129
	v_cndmask_b32_e64 v129, v130, v8, s2
; %bb.136:                              ;   in Loop: Header=BB380_13 Depth=1
	s_or_b32 exec_lo, exec_lo, s20
	flat_load_u16 v8, v[54:55] offset:264
	s_mov_b32 s20, exec_lo
	s_waitcnt vmcnt(0) lgkmcnt(0)
	v_and_b32_e32 v130, 0xff, v8
	v_dual_mov_b32 v8, 0 :: v_dual_and_b32 v131, 0xffff, v8
	s_delay_alu instid0(VALU_DEP_2)
	v_cmpx_ne_u16_e64 0, v130
	s_cbranch_execz .LBB380_144
; %bb.137:                              ;   in Loop: Header=BB380_13 Depth=1
	s_delay_alu instid0(VALU_DEP_2) | instskip(NEXT) | instid1(VALU_DEP_1)
	v_and_b32_e32 v8, 0xff, v131
	v_cmp_ne_u16_e64 s2, 0x80, v8
	v_bfrev_b32_e32 v8, 1
	s_delay_alu instid0(VALU_DEP_2)
	s_and_saveexec_b32 s21, s2
	s_cbranch_execz .LBB380_143
; %bb.138:                              ;   in Loop: Header=BB380_13 Depth=1
	v_and_b32_e32 v132, 0x7f, v131
	v_mov_b32_e32 v8, 0x7f800001
	s_mov_b32 s22, exec_lo
	s_delay_alu instid0(VALU_DEP_2)
	v_cmpx_ne_u32_e32 0x7f, v132
	s_cbranch_execz .LBB380_142
; %bb.139:                              ;   in Loop: Header=BB380_13 Depth=1
	v_and_b32_e32 v8, 7, v131
	v_lshrrev_b32_e32 v130, 3, v132
	s_mov_b32 s23, exec_lo
	v_cmpx_gt_u32_e32 8, v132
; %bb.140:                              ;   in Loop: Header=BB380_13 Depth=1
	s_delay_alu instid0(VALU_DEP_3) | instskip(NEXT) | instid1(VALU_DEP_1)
	v_clz_i32_u32_e32 v130, v8
	v_min_u32_e32 v130, 32, v130
	s_delay_alu instid0(VALU_DEP_1) | instskip(SKIP_1) | instid1(VALU_DEP_2)
	v_subrev_nc_u32_e32 v132, 28, v130
	v_sub_nc_u32_e32 v130, 29, v130
	v_lshlrev_b64 v[132:133], v132, v[8:9]
	s_delay_alu instid0(VALU_DEP_1)
	v_and_b32_e32 v8, 7, v132
; %bb.141:                              ;   in Loop: Header=BB380_13 Depth=1
	s_or_b32 exec_lo, exec_lo, s23
	v_lshlrev_b32_e32 v132, 24, v131
	s_delay_alu instid0(VALU_DEP_2) | instskip(SKIP_1) | instid1(VALU_DEP_3)
	v_lshlrev_b32_e32 v8, 20, v8
	v_lshl_add_u32 v130, v130, 23, 0x3c000000
	v_and_b32_e32 v132, 0x80000000, v132
	s_delay_alu instid0(VALU_DEP_1)
	v_or3_b32 v8, v8, v132, v130
.LBB380_142:                            ;   in Loop: Header=BB380_13 Depth=1
	s_or_b32 exec_lo, exec_lo, s22
.LBB380_143:                            ;   in Loop: Header=BB380_13 Depth=1
	s_delay_alu instid0(SALU_CYCLE_1)
	s_or_b32 exec_lo, exec_lo, s21
.LBB380_144:                            ;   in Loop: Header=BB380_13 Depth=1
	s_delay_alu instid0(SALU_CYCLE_1) | instskip(NEXT) | instid1(VALU_DEP_1)
	s_or_b32 exec_lo, exec_lo, s20
	v_mul_f32_e32 v8, v103, v8
	s_delay_alu instid0(VALU_DEP_1) | instskip(NEXT) | instid1(VALU_DEP_1)
	v_and_b32_e32 v130, 0x7f800000, v8
	v_cmp_ne_u32_e64 s2, 0x7f800000, v130
                                        ; implicit-def: $vgpr130
	s_delay_alu instid0(VALU_DEP_1) | instskip(NEXT) | instid1(SALU_CYCLE_1)
	s_and_saveexec_b32 s20, s2
	s_xor_b32 s2, exec_lo, s20
; %bb.145:                              ;   in Loop: Header=BB380_13 Depth=1
	v_bfe_u32 v130, v8, 16, 1
	s_delay_alu instid0(VALU_DEP_1)
	v_add3_u32 v130, v8, v130, 0x7fff
                                        ; implicit-def: $vgpr8
; %bb.146:                              ;   in Loop: Header=BB380_13 Depth=1
	s_and_not1_saveexec_b32 s20, s2
; %bb.147:                              ;   in Loop: Header=BB380_13 Depth=1
	v_and_b32_e32 v130, 0xffff, v8
	v_or_b32_e32 v132, 0x10000, v8
	s_delay_alu instid0(VALU_DEP_2) | instskip(NEXT) | instid1(VALU_DEP_1)
	v_cmp_eq_u32_e64 s2, 0, v130
	v_cndmask_b32_e64 v130, v132, v8, s2
; %bb.148:                              ;   in Loop: Header=BB380_13 Depth=1
	s_or_b32 exec_lo, exec_lo, s20
	v_lshrrev_b16 v132, 8, v131
	v_mov_b32_e32 v8, 0
	s_mov_b32 s20, exec_lo
	s_delay_alu instid0(VALU_DEP_2)
	v_cmpx_ne_u16_e64 0, v132
	s_cbranch_execz .LBB380_156
; %bb.149:                              ;   in Loop: Header=BB380_13 Depth=1
	v_bfrev_b32_e32 v8, 1
	s_mov_b32 s21, exec_lo
	v_cmpx_ne_u16_e64 0x80, v132
	s_cbranch_execz .LBB380_155
; %bb.150:                              ;   in Loop: Header=BB380_13 Depth=1
	v_and_b32_e32 v132, 0xffff, v132
	v_mov_b32_e32 v8, 0x7f800001
	s_mov_b32 s22, exec_lo
	s_delay_alu instid0(VALU_DEP_2) | instskip(NEXT) | instid1(VALU_DEP_1)
	v_and_b32_e32 v133, 0x7f, v132
	v_cmpx_ne_u32_e32 0x7f, v133
	s_cbranch_execz .LBB380_154
; %bb.151:                              ;   in Loop: Header=BB380_13 Depth=1
	v_and_b32_e32 v8, 7, v132
	v_lshrrev_b32_e32 v132, 3, v133
	s_mov_b32 s23, exec_lo
	v_cmpx_gt_u32_e32 8, v133
; %bb.152:                              ;   in Loop: Header=BB380_13 Depth=1
	s_delay_alu instid0(VALU_DEP_3) | instskip(NEXT) | instid1(VALU_DEP_1)
	v_clz_i32_u32_e32 v132, v8
	v_min_u32_e32 v132, 32, v132
	s_delay_alu instid0(VALU_DEP_1) | instskip(SKIP_1) | instid1(VALU_DEP_2)
	v_subrev_nc_u32_e32 v133, 28, v132
	v_sub_nc_u32_e32 v132, 29, v132
	v_lshlrev_b64 v[133:134], v133, v[8:9]
	s_delay_alu instid0(VALU_DEP_1)
	v_and_b32_e32 v8, 7, v133
; %bb.153:                              ;   in Loop: Header=BB380_13 Depth=1
	s_or_b32 exec_lo, exec_lo, s23
	v_lshlrev_b32_e32 v131, 16, v131
	s_delay_alu instid0(VALU_DEP_2) | instskip(SKIP_1) | instid1(VALU_DEP_3)
	v_lshlrev_b32_e32 v8, 20, v8
	v_lshl_add_u32 v132, v132, 23, 0x3c000000
	v_and_b32_e32 v131, 0x80000000, v131
	s_delay_alu instid0(VALU_DEP_1)
	v_or3_b32 v8, v8, v131, v132
.LBB380_154:                            ;   in Loop: Header=BB380_13 Depth=1
	s_or_b32 exec_lo, exec_lo, s22
.LBB380_155:                            ;   in Loop: Header=BB380_13 Depth=1
	s_delay_alu instid0(SALU_CYCLE_1)
	s_or_b32 exec_lo, exec_lo, s21
.LBB380_156:                            ;   in Loop: Header=BB380_13 Depth=1
	s_delay_alu instid0(SALU_CYCLE_1) | instskip(NEXT) | instid1(VALU_DEP_1)
	s_or_b32 exec_lo, exec_lo, s20
	v_mul_f32_e32 v8, v103, v8
	s_delay_alu instid0(VALU_DEP_1) | instskip(NEXT) | instid1(VALU_DEP_1)
	v_and_b32_e32 v131, 0x7f800000, v8
	v_cmp_ne_u32_e64 s2, 0x7f800000, v131
                                        ; implicit-def: $vgpr131
	s_delay_alu instid0(VALU_DEP_1) | instskip(NEXT) | instid1(SALU_CYCLE_1)
	s_and_saveexec_b32 s20, s2
	s_xor_b32 s2, exec_lo, s20
; %bb.157:                              ;   in Loop: Header=BB380_13 Depth=1
	v_bfe_u32 v131, v8, 16, 1
	s_delay_alu instid0(VALU_DEP_1)
	v_add3_u32 v131, v8, v131, 0x7fff
                                        ; implicit-def: $vgpr8
; %bb.158:                              ;   in Loop: Header=BB380_13 Depth=1
	s_and_not1_saveexec_b32 s20, s2
; %bb.159:                              ;   in Loop: Header=BB380_13 Depth=1
	v_and_b32_e32 v131, 0xffff, v8
	v_or_b32_e32 v132, 0x10000, v8
	s_delay_alu instid0(VALU_DEP_2) | instskip(NEXT) | instid1(VALU_DEP_1)
	v_cmp_eq_u32_e64 s2, 0, v131
	v_cndmask_b32_e64 v131, v132, v8, s2
; %bb.160:                              ;   in Loop: Header=BB380_13 Depth=1
	s_or_b32 exec_lo, exec_lo, s20
	flat_load_u16 v8, v[54:55] offset:384
	s_mov_b32 s20, exec_lo
	s_waitcnt vmcnt(0) lgkmcnt(0)
	v_and_b32_e32 v132, 0xff, v8
	v_dual_mov_b32 v8, 0 :: v_dual_and_b32 v133, 0xffff, v8
	s_delay_alu instid0(VALU_DEP_2)
	v_cmpx_ne_u16_e64 0, v132
	s_cbranch_execz .LBB380_168
; %bb.161:                              ;   in Loop: Header=BB380_13 Depth=1
	s_delay_alu instid0(VALU_DEP_2) | instskip(NEXT) | instid1(VALU_DEP_1)
	v_and_b32_e32 v8, 0xff, v133
	v_cmp_ne_u16_e64 s2, 0x80, v8
	v_bfrev_b32_e32 v8, 1
	s_delay_alu instid0(VALU_DEP_2)
	s_and_saveexec_b32 s21, s2
	s_cbranch_execz .LBB380_167
; %bb.162:                              ;   in Loop: Header=BB380_13 Depth=1
	v_and_b32_e32 v134, 0x7f, v133
	v_mov_b32_e32 v8, 0x7f800001
	s_mov_b32 s22, exec_lo
	s_delay_alu instid0(VALU_DEP_2)
	v_cmpx_ne_u32_e32 0x7f, v134
	s_cbranch_execz .LBB380_166
; %bb.163:                              ;   in Loop: Header=BB380_13 Depth=1
	v_and_b32_e32 v8, 7, v133
	v_lshrrev_b32_e32 v132, 3, v134
	s_mov_b32 s23, exec_lo
	v_cmpx_gt_u32_e32 8, v134
; %bb.164:                              ;   in Loop: Header=BB380_13 Depth=1
	s_delay_alu instid0(VALU_DEP_3) | instskip(NEXT) | instid1(VALU_DEP_1)
	v_clz_i32_u32_e32 v132, v8
	v_min_u32_e32 v132, 32, v132
	s_delay_alu instid0(VALU_DEP_1) | instskip(SKIP_1) | instid1(VALU_DEP_2)
	v_subrev_nc_u32_e32 v134, 28, v132
	v_sub_nc_u32_e32 v132, 29, v132
	v_lshlrev_b64 v[134:135], v134, v[8:9]
	s_delay_alu instid0(VALU_DEP_1)
	v_and_b32_e32 v8, 7, v134
; %bb.165:                              ;   in Loop: Header=BB380_13 Depth=1
	s_or_b32 exec_lo, exec_lo, s23
	v_lshlrev_b32_e32 v134, 24, v133
	s_delay_alu instid0(VALU_DEP_2) | instskip(SKIP_1) | instid1(VALU_DEP_3)
	v_lshlrev_b32_e32 v8, 20, v8
	v_lshl_add_u32 v132, v132, 23, 0x3c000000
	v_and_b32_e32 v134, 0x80000000, v134
	s_delay_alu instid0(VALU_DEP_1)
	v_or3_b32 v8, v8, v134, v132
.LBB380_166:                            ;   in Loop: Header=BB380_13 Depth=1
	s_or_b32 exec_lo, exec_lo, s22
.LBB380_167:                            ;   in Loop: Header=BB380_13 Depth=1
	s_delay_alu instid0(SALU_CYCLE_1)
	s_or_b32 exec_lo, exec_lo, s21
.LBB380_168:                            ;   in Loop: Header=BB380_13 Depth=1
	s_delay_alu instid0(SALU_CYCLE_1) | instskip(NEXT) | instid1(VALU_DEP_1)
	s_or_b32 exec_lo, exec_lo, s20
	v_mul_f32_e32 v8, v103, v8
	s_delay_alu instid0(VALU_DEP_1) | instskip(NEXT) | instid1(VALU_DEP_1)
	v_and_b32_e32 v132, 0x7f800000, v8
	v_cmp_ne_u32_e64 s2, 0x7f800000, v132
                                        ; implicit-def: $vgpr132
	s_delay_alu instid0(VALU_DEP_1) | instskip(NEXT) | instid1(SALU_CYCLE_1)
	s_and_saveexec_b32 s20, s2
	s_xor_b32 s2, exec_lo, s20
; %bb.169:                              ;   in Loop: Header=BB380_13 Depth=1
	v_bfe_u32 v132, v8, 16, 1
	s_delay_alu instid0(VALU_DEP_1)
	v_add3_u32 v132, v8, v132, 0x7fff
                                        ; implicit-def: $vgpr8
; %bb.170:                              ;   in Loop: Header=BB380_13 Depth=1
	s_and_not1_saveexec_b32 s20, s2
; %bb.171:                              ;   in Loop: Header=BB380_13 Depth=1
	v_and_b32_e32 v132, 0xffff, v8
	v_or_b32_e32 v134, 0x10000, v8
	s_delay_alu instid0(VALU_DEP_2) | instskip(NEXT) | instid1(VALU_DEP_1)
	v_cmp_eq_u32_e64 s2, 0, v132
	v_cndmask_b32_e64 v132, v134, v8, s2
; %bb.172:                              ;   in Loop: Header=BB380_13 Depth=1
	s_or_b32 exec_lo, exec_lo, s20
	v_lshrrev_b16 v134, 8, v133
	v_mov_b32_e32 v8, 0
	s_mov_b32 s20, exec_lo
	s_delay_alu instid0(VALU_DEP_2)
	v_cmpx_ne_u16_e64 0, v134
	s_cbranch_execz .LBB380_180
; %bb.173:                              ;   in Loop: Header=BB380_13 Depth=1
	v_bfrev_b32_e32 v8, 1
	s_mov_b32 s21, exec_lo
	v_cmpx_ne_u16_e64 0x80, v134
	s_cbranch_execz .LBB380_179
; %bb.174:                              ;   in Loop: Header=BB380_13 Depth=1
	v_and_b32_e32 v134, 0xffff, v134
	v_mov_b32_e32 v8, 0x7f800001
	s_mov_b32 s22, exec_lo
	s_delay_alu instid0(VALU_DEP_2) | instskip(NEXT) | instid1(VALU_DEP_1)
	v_and_b32_e32 v135, 0x7f, v134
	v_cmpx_ne_u32_e32 0x7f, v135
	s_cbranch_execz .LBB380_178
; %bb.175:                              ;   in Loop: Header=BB380_13 Depth=1
	v_and_b32_e32 v8, 7, v134
	v_lshrrev_b32_e32 v134, 3, v135
	s_mov_b32 s23, exec_lo
	v_cmpx_gt_u32_e32 8, v135
; %bb.176:                              ;   in Loop: Header=BB380_13 Depth=1
	s_delay_alu instid0(VALU_DEP_3) | instskip(NEXT) | instid1(VALU_DEP_1)
	v_clz_i32_u32_e32 v134, v8
	v_min_u32_e32 v134, 32, v134
	s_delay_alu instid0(VALU_DEP_1) | instskip(SKIP_1) | instid1(VALU_DEP_2)
	v_subrev_nc_u32_e32 v135, 28, v134
	v_sub_nc_u32_e32 v134, 29, v134
	v_lshlrev_b64 v[144:145], v135, v[8:9]
	s_delay_alu instid0(VALU_DEP_1)
	v_and_b32_e32 v8, 7, v144
; %bb.177:                              ;   in Loop: Header=BB380_13 Depth=1
	s_or_b32 exec_lo, exec_lo, s23
	v_lshlrev_b32_e32 v133, 16, v133
	s_delay_alu instid0(VALU_DEP_2) | instskip(SKIP_1) | instid1(VALU_DEP_3)
	v_lshlrev_b32_e32 v8, 20, v8
	v_lshl_add_u32 v134, v134, 23, 0x3c000000
	v_and_b32_e32 v133, 0x80000000, v133
	s_delay_alu instid0(VALU_DEP_1)
	v_or3_b32 v8, v8, v133, v134
.LBB380_178:                            ;   in Loop: Header=BB380_13 Depth=1
	s_or_b32 exec_lo, exec_lo, s22
.LBB380_179:                            ;   in Loop: Header=BB380_13 Depth=1
	s_delay_alu instid0(SALU_CYCLE_1)
	s_or_b32 exec_lo, exec_lo, s21
.LBB380_180:                            ;   in Loop: Header=BB380_13 Depth=1
	s_delay_alu instid0(SALU_CYCLE_1) | instskip(NEXT) | instid1(VALU_DEP_1)
	s_or_b32 exec_lo, exec_lo, s20
	v_mul_f32_e32 v8, v103, v8
	s_delay_alu instid0(VALU_DEP_1) | instskip(NEXT) | instid1(VALU_DEP_1)
	v_and_b32_e32 v133, 0x7f800000, v8
	v_cmp_ne_u32_e64 s2, 0x7f800000, v133
                                        ; implicit-def: $vgpr133
	s_delay_alu instid0(VALU_DEP_1) | instskip(NEXT) | instid1(SALU_CYCLE_1)
	s_and_saveexec_b32 s20, s2
	s_xor_b32 s2, exec_lo, s20
; %bb.181:                              ;   in Loop: Header=BB380_13 Depth=1
	v_bfe_u32 v133, v8, 16, 1
	s_delay_alu instid0(VALU_DEP_1)
	v_add3_u32 v133, v8, v133, 0x7fff
                                        ; implicit-def: $vgpr8
; %bb.182:                              ;   in Loop: Header=BB380_13 Depth=1
	s_and_not1_saveexec_b32 s20, s2
; %bb.183:                              ;   in Loop: Header=BB380_13 Depth=1
	v_and_b32_e32 v133, 0xffff, v8
	v_or_b32_e32 v134, 0x10000, v8
	s_delay_alu instid0(VALU_DEP_2) | instskip(NEXT) | instid1(VALU_DEP_1)
	v_cmp_eq_u32_e64 s2, 0, v133
	v_cndmask_b32_e64 v133, v134, v8, s2
; %bb.184:                              ;   in Loop: Header=BB380_13 Depth=1
	s_or_b32 exec_lo, exec_lo, s20
	flat_load_u16 v8, v[54:55] offset:392
	s_mov_b32 s20, exec_lo
	s_waitcnt vmcnt(0) lgkmcnt(0)
	v_and_b32_e32 v134, 0xff, v8
	v_dual_mov_b32 v8, 0 :: v_dual_and_b32 v135, 0xffff, v8
	s_delay_alu instid0(VALU_DEP_2)
	v_cmpx_ne_u16_e64 0, v134
	s_cbranch_execz .LBB380_192
; %bb.185:                              ;   in Loop: Header=BB380_13 Depth=1
	s_delay_alu instid0(VALU_DEP_2) | instskip(NEXT) | instid1(VALU_DEP_1)
	v_and_b32_e32 v8, 0xff, v135
	v_cmp_ne_u16_e64 s2, 0x80, v8
	v_bfrev_b32_e32 v8, 1
	s_delay_alu instid0(VALU_DEP_2)
	s_and_saveexec_b32 s21, s2
	s_cbranch_execz .LBB380_191
; %bb.186:                              ;   in Loop: Header=BB380_13 Depth=1
	v_and_b32_e32 v144, 0x7f, v135
	v_mov_b32_e32 v8, 0x7f800001
	s_mov_b32 s22, exec_lo
	s_delay_alu instid0(VALU_DEP_2)
	v_cmpx_ne_u32_e32 0x7f, v144
	s_cbranch_execz .LBB380_190
; %bb.187:                              ;   in Loop: Header=BB380_13 Depth=1
	v_and_b32_e32 v8, 7, v135
	v_lshrrev_b32_e32 v134, 3, v144
	s_mov_b32 s23, exec_lo
	v_cmpx_gt_u32_e32 8, v144
; %bb.188:                              ;   in Loop: Header=BB380_13 Depth=1
	s_delay_alu instid0(VALU_DEP_3) | instskip(NEXT) | instid1(VALU_DEP_1)
	v_clz_i32_u32_e32 v134, v8
	v_min_u32_e32 v134, 32, v134
	s_delay_alu instid0(VALU_DEP_1) | instskip(SKIP_1) | instid1(VALU_DEP_2)
	v_subrev_nc_u32_e32 v144, 28, v134
	v_sub_nc_u32_e32 v134, 29, v134
	v_lshlrev_b64 v[144:145], v144, v[8:9]
	s_delay_alu instid0(VALU_DEP_1)
	v_and_b32_e32 v8, 7, v144
; %bb.189:                              ;   in Loop: Header=BB380_13 Depth=1
	s_or_b32 exec_lo, exec_lo, s23
	v_lshlrev_b32_e32 v144, 24, v135
	s_delay_alu instid0(VALU_DEP_2) | instskip(SKIP_1) | instid1(VALU_DEP_3)
	v_lshlrev_b32_e32 v8, 20, v8
	v_lshl_add_u32 v134, v134, 23, 0x3c000000
	v_and_b32_e32 v144, 0x80000000, v144
	s_delay_alu instid0(VALU_DEP_1)
	v_or3_b32 v8, v8, v144, v134
.LBB380_190:                            ;   in Loop: Header=BB380_13 Depth=1
	s_or_b32 exec_lo, exec_lo, s22
.LBB380_191:                            ;   in Loop: Header=BB380_13 Depth=1
	s_delay_alu instid0(SALU_CYCLE_1)
	s_or_b32 exec_lo, exec_lo, s21
.LBB380_192:                            ;   in Loop: Header=BB380_13 Depth=1
	s_delay_alu instid0(SALU_CYCLE_1) | instskip(NEXT) | instid1(VALU_DEP_1)
	s_or_b32 exec_lo, exec_lo, s20
	v_mul_f32_e32 v8, v103, v8
	s_delay_alu instid0(VALU_DEP_1) | instskip(NEXT) | instid1(VALU_DEP_1)
	v_and_b32_e32 v134, 0x7f800000, v8
	v_cmp_ne_u32_e64 s2, 0x7f800000, v134
                                        ; implicit-def: $vgpr134
	s_delay_alu instid0(VALU_DEP_1) | instskip(NEXT) | instid1(SALU_CYCLE_1)
	s_and_saveexec_b32 s20, s2
	s_xor_b32 s2, exec_lo, s20
; %bb.193:                              ;   in Loop: Header=BB380_13 Depth=1
	v_bfe_u32 v134, v8, 16, 1
	s_delay_alu instid0(VALU_DEP_1)
	v_add3_u32 v134, v8, v134, 0x7fff
                                        ; implicit-def: $vgpr8
; %bb.194:                              ;   in Loop: Header=BB380_13 Depth=1
	s_and_not1_saveexec_b32 s20, s2
; %bb.195:                              ;   in Loop: Header=BB380_13 Depth=1
	v_and_b32_e32 v134, 0xffff, v8
	v_or_b32_e32 v144, 0x10000, v8
	s_delay_alu instid0(VALU_DEP_2) | instskip(NEXT) | instid1(VALU_DEP_1)
	v_cmp_eq_u32_e64 s2, 0, v134
	v_cndmask_b32_e64 v134, v144, v8, s2
; %bb.196:                              ;   in Loop: Header=BB380_13 Depth=1
	s_or_b32 exec_lo, exec_lo, s20
	v_lshrrev_b16 v144, 8, v135
	v_mov_b32_e32 v8, 0
	s_mov_b32 s20, exec_lo
	s_delay_alu instid0(VALU_DEP_2)
	v_cmpx_ne_u16_e64 0, v144
	s_cbranch_execz .LBB380_204
; %bb.197:                              ;   in Loop: Header=BB380_13 Depth=1
	v_bfrev_b32_e32 v8, 1
	s_mov_b32 s21, exec_lo
	v_cmpx_ne_u16_e64 0x80, v144
	s_cbranch_execz .LBB380_203
; %bb.198:                              ;   in Loop: Header=BB380_13 Depth=1
	v_and_b32_e32 v144, 0xffff, v144
	v_mov_b32_e32 v8, 0x7f800001
	s_mov_b32 s22, exec_lo
	s_delay_alu instid0(VALU_DEP_2) | instskip(NEXT) | instid1(VALU_DEP_1)
	v_and_b32_e32 v145, 0x7f, v144
	v_cmpx_ne_u32_e32 0x7f, v145
	s_cbranch_execz .LBB380_202
; %bb.199:                              ;   in Loop: Header=BB380_13 Depth=1
	v_and_b32_e32 v8, 7, v144
	v_lshrrev_b32_e32 v144, 3, v145
	s_mov_b32 s23, exec_lo
	v_cmpx_gt_u32_e32 8, v145
; %bb.200:                              ;   in Loop: Header=BB380_13 Depth=1
	s_delay_alu instid0(VALU_DEP_3) | instskip(NEXT) | instid1(VALU_DEP_1)
	v_clz_i32_u32_e32 v144, v8
	v_min_u32_e32 v144, 32, v144
	s_delay_alu instid0(VALU_DEP_1) | instskip(SKIP_1) | instid1(VALU_DEP_2)
	v_subrev_nc_u32_e32 v145, 28, v144
	v_sub_nc_u32_e32 v144, 29, v144
	v_lshlrev_b64 v[145:146], v145, v[8:9]
	s_delay_alu instid0(VALU_DEP_1)
	v_and_b32_e32 v8, 7, v145
; %bb.201:                              ;   in Loop: Header=BB380_13 Depth=1
	s_or_b32 exec_lo, exec_lo, s23
	v_lshlrev_b32_e32 v135, 16, v135
	s_delay_alu instid0(VALU_DEP_2) | instskip(SKIP_1) | instid1(VALU_DEP_3)
	v_lshlrev_b32_e32 v8, 20, v8
	v_lshl_add_u32 v144, v144, 23, 0x3c000000
	v_and_b32_e32 v135, 0x80000000, v135
	s_delay_alu instid0(VALU_DEP_1)
	v_or3_b32 v8, v8, v135, v144
.LBB380_202:                            ;   in Loop: Header=BB380_13 Depth=1
	s_or_b32 exec_lo, exec_lo, s22
.LBB380_203:                            ;   in Loop: Header=BB380_13 Depth=1
	s_delay_alu instid0(SALU_CYCLE_1)
	s_or_b32 exec_lo, exec_lo, s21
.LBB380_204:                            ;   in Loop: Header=BB380_13 Depth=1
	s_delay_alu instid0(SALU_CYCLE_1) | instskip(NEXT) | instid1(VALU_DEP_1)
	s_or_b32 exec_lo, exec_lo, s20
	v_mul_f32_e32 v8, v103, v8
	s_delay_alu instid0(VALU_DEP_1) | instskip(NEXT) | instid1(VALU_DEP_1)
	v_and_b32_e32 v135, 0x7f800000, v8
	v_cmp_ne_u32_e64 s2, 0x7f800000, v135
                                        ; implicit-def: $vgpr135
	s_delay_alu instid0(VALU_DEP_1) | instskip(NEXT) | instid1(SALU_CYCLE_1)
	s_and_saveexec_b32 s20, s2
	s_xor_b32 s2, exec_lo, s20
; %bb.205:                              ;   in Loop: Header=BB380_13 Depth=1
	v_bfe_u32 v135, v8, 16, 1
	s_delay_alu instid0(VALU_DEP_1)
	v_add3_u32 v135, v8, v135, 0x7fff
                                        ; implicit-def: $vgpr8
; %bb.206:                              ;   in Loop: Header=BB380_13 Depth=1
	s_and_not1_saveexec_b32 s20, s2
; %bb.207:                              ;   in Loop: Header=BB380_13 Depth=1
	v_and_b32_e32 v135, 0xffff, v8
	v_or_b32_e32 v144, 0x10000, v8
	s_delay_alu instid0(VALU_DEP_2) | instskip(NEXT) | instid1(VALU_DEP_1)
	v_cmp_eq_u32_e64 s2, 0, v135
	v_cndmask_b32_e64 v135, v144, v8, s2
; %bb.208:                              ;   in Loop: Header=BB380_13 Depth=1
	s_or_b32 exec_lo, exec_lo, s20
	flat_load_u16 v8, v[54:55] offset:512
	s_mov_b32 s20, exec_lo
	s_waitcnt vmcnt(0) lgkmcnt(0)
	v_and_b32_e32 v144, 0xff, v8
	v_dual_mov_b32 v8, 0 :: v_dual_and_b32 v145, 0xffff, v8
	s_delay_alu instid0(VALU_DEP_2)
	v_cmpx_ne_u16_e64 0, v144
	s_cbranch_execz .LBB380_216
; %bb.209:                              ;   in Loop: Header=BB380_13 Depth=1
	s_delay_alu instid0(VALU_DEP_2) | instskip(NEXT) | instid1(VALU_DEP_1)
	v_and_b32_e32 v8, 0xff, v145
	v_cmp_ne_u16_e64 s2, 0x80, v8
	v_bfrev_b32_e32 v8, 1
	s_delay_alu instid0(VALU_DEP_2)
	s_and_saveexec_b32 s21, s2
	s_cbranch_execz .LBB380_215
; %bb.210:                              ;   in Loop: Header=BB380_13 Depth=1
	v_and_b32_e32 v146, 0x7f, v145
	v_mov_b32_e32 v8, 0x7f800001
	s_mov_b32 s22, exec_lo
	s_delay_alu instid0(VALU_DEP_2)
	v_cmpx_ne_u32_e32 0x7f, v146
	s_cbranch_execz .LBB380_214
; %bb.211:                              ;   in Loop: Header=BB380_13 Depth=1
	v_and_b32_e32 v8, 7, v145
	v_lshrrev_b32_e32 v144, 3, v146
	s_mov_b32 s23, exec_lo
	v_cmpx_gt_u32_e32 8, v146
; %bb.212:                              ;   in Loop: Header=BB380_13 Depth=1
	s_delay_alu instid0(VALU_DEP_3) | instskip(NEXT) | instid1(VALU_DEP_1)
	v_clz_i32_u32_e32 v144, v8
	v_min_u32_e32 v144, 32, v144
	s_delay_alu instid0(VALU_DEP_1) | instskip(SKIP_1) | instid1(VALU_DEP_2)
	v_subrev_nc_u32_e32 v146, 28, v144
	v_sub_nc_u32_e32 v144, 29, v144
	v_lshlrev_b64 v[146:147], v146, v[8:9]
	s_delay_alu instid0(VALU_DEP_1)
	v_and_b32_e32 v8, 7, v146
; %bb.213:                              ;   in Loop: Header=BB380_13 Depth=1
	s_or_b32 exec_lo, exec_lo, s23
	v_lshlrev_b32_e32 v146, 24, v145
	s_delay_alu instid0(VALU_DEP_2) | instskip(SKIP_1) | instid1(VALU_DEP_3)
	v_lshlrev_b32_e32 v8, 20, v8
	v_lshl_add_u32 v144, v144, 23, 0x3c000000
	v_and_b32_e32 v146, 0x80000000, v146
	s_delay_alu instid0(VALU_DEP_1)
	v_or3_b32 v8, v8, v146, v144
.LBB380_214:                            ;   in Loop: Header=BB380_13 Depth=1
	s_or_b32 exec_lo, exec_lo, s22
.LBB380_215:                            ;   in Loop: Header=BB380_13 Depth=1
	s_delay_alu instid0(SALU_CYCLE_1)
	s_or_b32 exec_lo, exec_lo, s21
.LBB380_216:                            ;   in Loop: Header=BB380_13 Depth=1
	s_delay_alu instid0(SALU_CYCLE_1) | instskip(NEXT) | instid1(VALU_DEP_1)
	s_or_b32 exec_lo, exec_lo, s20
	v_mul_f32_e32 v8, v103, v8
	s_delay_alu instid0(VALU_DEP_1) | instskip(NEXT) | instid1(VALU_DEP_1)
	v_and_b32_e32 v144, 0x7f800000, v8
	v_cmp_ne_u32_e64 s2, 0x7f800000, v144
                                        ; implicit-def: $vgpr144
	s_delay_alu instid0(VALU_DEP_1) | instskip(NEXT) | instid1(SALU_CYCLE_1)
	s_and_saveexec_b32 s20, s2
	s_xor_b32 s2, exec_lo, s20
; %bb.217:                              ;   in Loop: Header=BB380_13 Depth=1
	v_bfe_u32 v144, v8, 16, 1
	s_delay_alu instid0(VALU_DEP_1)
	v_add3_u32 v144, v8, v144, 0x7fff
                                        ; implicit-def: $vgpr8
; %bb.218:                              ;   in Loop: Header=BB380_13 Depth=1
	s_and_not1_saveexec_b32 s20, s2
; %bb.219:                              ;   in Loop: Header=BB380_13 Depth=1
	v_and_b32_e32 v144, 0xffff, v8
	v_or_b32_e32 v146, 0x10000, v8
	s_delay_alu instid0(VALU_DEP_2) | instskip(NEXT) | instid1(VALU_DEP_1)
	v_cmp_eq_u32_e64 s2, 0, v144
	v_cndmask_b32_e64 v144, v146, v8, s2
; %bb.220:                              ;   in Loop: Header=BB380_13 Depth=1
	s_or_b32 exec_lo, exec_lo, s20
	v_lshrrev_b16 v146, 8, v145
	v_mov_b32_e32 v8, 0
	s_mov_b32 s20, exec_lo
	s_delay_alu instid0(VALU_DEP_2)
	v_cmpx_ne_u16_e64 0, v146
	s_cbranch_execz .LBB380_228
; %bb.221:                              ;   in Loop: Header=BB380_13 Depth=1
	v_bfrev_b32_e32 v8, 1
	s_mov_b32 s21, exec_lo
	v_cmpx_ne_u16_e64 0x80, v146
	s_cbranch_execz .LBB380_227
; %bb.222:                              ;   in Loop: Header=BB380_13 Depth=1
	v_and_b32_e32 v146, 0xffff, v146
	v_mov_b32_e32 v8, 0x7f800001
	s_mov_b32 s22, exec_lo
	s_delay_alu instid0(VALU_DEP_2) | instskip(NEXT) | instid1(VALU_DEP_1)
	v_and_b32_e32 v147, 0x7f, v146
	v_cmpx_ne_u32_e32 0x7f, v147
	s_cbranch_execz .LBB380_226
; %bb.223:                              ;   in Loop: Header=BB380_13 Depth=1
	v_and_b32_e32 v8, 7, v146
	v_lshrrev_b32_e32 v146, 3, v147
	s_mov_b32 s23, exec_lo
	v_cmpx_gt_u32_e32 8, v147
; %bb.224:                              ;   in Loop: Header=BB380_13 Depth=1
	s_delay_alu instid0(VALU_DEP_3) | instskip(NEXT) | instid1(VALU_DEP_1)
	v_clz_i32_u32_e32 v146, v8
	v_min_u32_e32 v146, 32, v146
	s_delay_alu instid0(VALU_DEP_1) | instskip(SKIP_1) | instid1(VALU_DEP_2)
	v_subrev_nc_u32_e32 v147, 28, v146
	v_sub_nc_u32_e32 v146, 29, v146
	v_lshlrev_b64 v[147:148], v147, v[8:9]
	s_delay_alu instid0(VALU_DEP_1)
	v_and_b32_e32 v8, 7, v147
; %bb.225:                              ;   in Loop: Header=BB380_13 Depth=1
	s_or_b32 exec_lo, exec_lo, s23
	v_lshlrev_b32_e32 v145, 16, v145
	s_delay_alu instid0(VALU_DEP_2) | instskip(SKIP_1) | instid1(VALU_DEP_3)
	v_lshlrev_b32_e32 v8, 20, v8
	v_lshl_add_u32 v146, v146, 23, 0x3c000000
	v_and_b32_e32 v145, 0x80000000, v145
	s_delay_alu instid0(VALU_DEP_1)
	v_or3_b32 v8, v8, v145, v146
.LBB380_226:                            ;   in Loop: Header=BB380_13 Depth=1
	s_or_b32 exec_lo, exec_lo, s22
.LBB380_227:                            ;   in Loop: Header=BB380_13 Depth=1
	s_delay_alu instid0(SALU_CYCLE_1)
	s_or_b32 exec_lo, exec_lo, s21
.LBB380_228:                            ;   in Loop: Header=BB380_13 Depth=1
	s_delay_alu instid0(SALU_CYCLE_1) | instskip(NEXT) | instid1(VALU_DEP_1)
	s_or_b32 exec_lo, exec_lo, s20
	v_mul_f32_e32 v8, v103, v8
	s_delay_alu instid0(VALU_DEP_1) | instskip(NEXT) | instid1(VALU_DEP_1)
	v_and_b32_e32 v145, 0x7f800000, v8
	v_cmp_ne_u32_e64 s2, 0x7f800000, v145
                                        ; implicit-def: $vgpr145
	s_delay_alu instid0(VALU_DEP_1) | instskip(NEXT) | instid1(SALU_CYCLE_1)
	s_and_saveexec_b32 s20, s2
	s_xor_b32 s2, exec_lo, s20
; %bb.229:                              ;   in Loop: Header=BB380_13 Depth=1
	v_bfe_u32 v145, v8, 16, 1
	s_delay_alu instid0(VALU_DEP_1)
	v_add3_u32 v145, v8, v145, 0x7fff
                                        ; implicit-def: $vgpr8
; %bb.230:                              ;   in Loop: Header=BB380_13 Depth=1
	s_and_not1_saveexec_b32 s20, s2
; %bb.231:                              ;   in Loop: Header=BB380_13 Depth=1
	v_and_b32_e32 v145, 0xffff, v8
	v_or_b32_e32 v146, 0x10000, v8
	s_delay_alu instid0(VALU_DEP_2) | instskip(NEXT) | instid1(VALU_DEP_1)
	v_cmp_eq_u32_e64 s2, 0, v145
	v_cndmask_b32_e64 v145, v146, v8, s2
; %bb.232:                              ;   in Loop: Header=BB380_13 Depth=1
	s_or_b32 exec_lo, exec_lo, s20
	flat_load_u16 v8, v[54:55] offset:520
	s_mov_b32 s20, exec_lo
	s_waitcnt vmcnt(0) lgkmcnt(0)
	v_and_b32_e32 v146, 0xff, v8
	v_dual_mov_b32 v8, 0 :: v_dual_and_b32 v147, 0xffff, v8
	s_delay_alu instid0(VALU_DEP_2)
	v_cmpx_ne_u16_e64 0, v146
	s_cbranch_execz .LBB380_240
; %bb.233:                              ;   in Loop: Header=BB380_13 Depth=1
	s_delay_alu instid0(VALU_DEP_2) | instskip(NEXT) | instid1(VALU_DEP_1)
	v_and_b32_e32 v8, 0xff, v147
	v_cmp_ne_u16_e64 s2, 0x80, v8
	v_bfrev_b32_e32 v8, 1
	s_delay_alu instid0(VALU_DEP_2)
	s_and_saveexec_b32 s21, s2
	s_cbranch_execz .LBB380_239
; %bb.234:                              ;   in Loop: Header=BB380_13 Depth=1
	v_and_b32_e32 v148, 0x7f, v147
	v_mov_b32_e32 v8, 0x7f800001
	s_mov_b32 s22, exec_lo
	s_delay_alu instid0(VALU_DEP_2)
	v_cmpx_ne_u32_e32 0x7f, v148
	s_cbranch_execz .LBB380_238
; %bb.235:                              ;   in Loop: Header=BB380_13 Depth=1
	v_and_b32_e32 v8, 7, v147
	v_lshrrev_b32_e32 v146, 3, v148
	s_mov_b32 s23, exec_lo
	v_cmpx_gt_u32_e32 8, v148
; %bb.236:                              ;   in Loop: Header=BB380_13 Depth=1
	s_delay_alu instid0(VALU_DEP_3) | instskip(NEXT) | instid1(VALU_DEP_1)
	v_clz_i32_u32_e32 v146, v8
	v_min_u32_e32 v146, 32, v146
	s_delay_alu instid0(VALU_DEP_1) | instskip(SKIP_1) | instid1(VALU_DEP_2)
	v_subrev_nc_u32_e32 v148, 28, v146
	v_sub_nc_u32_e32 v146, 29, v146
	v_lshlrev_b64 v[148:149], v148, v[8:9]
	s_delay_alu instid0(VALU_DEP_1)
	v_and_b32_e32 v8, 7, v148
; %bb.237:                              ;   in Loop: Header=BB380_13 Depth=1
	s_or_b32 exec_lo, exec_lo, s23
	v_lshlrev_b32_e32 v148, 24, v147
	s_delay_alu instid0(VALU_DEP_2) | instskip(SKIP_1) | instid1(VALU_DEP_3)
	v_lshlrev_b32_e32 v8, 20, v8
	v_lshl_add_u32 v146, v146, 23, 0x3c000000
	v_and_b32_e32 v148, 0x80000000, v148
	s_delay_alu instid0(VALU_DEP_1)
	v_or3_b32 v8, v8, v148, v146
.LBB380_238:                            ;   in Loop: Header=BB380_13 Depth=1
	s_or_b32 exec_lo, exec_lo, s22
.LBB380_239:                            ;   in Loop: Header=BB380_13 Depth=1
	s_delay_alu instid0(SALU_CYCLE_1)
	s_or_b32 exec_lo, exec_lo, s21
.LBB380_240:                            ;   in Loop: Header=BB380_13 Depth=1
	s_delay_alu instid0(SALU_CYCLE_1) | instskip(NEXT) | instid1(VALU_DEP_1)
	s_or_b32 exec_lo, exec_lo, s20
	v_mul_f32_e32 v8, v103, v8
	s_delay_alu instid0(VALU_DEP_1) | instskip(NEXT) | instid1(VALU_DEP_1)
	v_and_b32_e32 v146, 0x7f800000, v8
	v_cmp_ne_u32_e64 s2, 0x7f800000, v146
                                        ; implicit-def: $vgpr146
	s_delay_alu instid0(VALU_DEP_1) | instskip(NEXT) | instid1(SALU_CYCLE_1)
	s_and_saveexec_b32 s20, s2
	s_xor_b32 s2, exec_lo, s20
; %bb.241:                              ;   in Loop: Header=BB380_13 Depth=1
	v_bfe_u32 v146, v8, 16, 1
	s_delay_alu instid0(VALU_DEP_1)
	v_add3_u32 v146, v8, v146, 0x7fff
                                        ; implicit-def: $vgpr8
; %bb.242:                              ;   in Loop: Header=BB380_13 Depth=1
	s_and_not1_saveexec_b32 s20, s2
; %bb.243:                              ;   in Loop: Header=BB380_13 Depth=1
	v_and_b32_e32 v146, 0xffff, v8
	v_or_b32_e32 v148, 0x10000, v8
	s_delay_alu instid0(VALU_DEP_2) | instskip(NEXT) | instid1(VALU_DEP_1)
	v_cmp_eq_u32_e64 s2, 0, v146
	v_cndmask_b32_e64 v146, v148, v8, s2
; %bb.244:                              ;   in Loop: Header=BB380_13 Depth=1
	s_or_b32 exec_lo, exec_lo, s20
	v_lshrrev_b16 v148, 8, v147
	v_mov_b32_e32 v8, 0
	s_mov_b32 s20, exec_lo
	s_delay_alu instid0(VALU_DEP_2)
	v_cmpx_ne_u16_e64 0, v148
	s_cbranch_execz .LBB380_252
; %bb.245:                              ;   in Loop: Header=BB380_13 Depth=1
	v_bfrev_b32_e32 v8, 1
	s_mov_b32 s21, exec_lo
	v_cmpx_ne_u16_e64 0x80, v148
	s_cbranch_execz .LBB380_251
; %bb.246:                              ;   in Loop: Header=BB380_13 Depth=1
	v_and_b32_e32 v148, 0xffff, v148
	v_mov_b32_e32 v8, 0x7f800001
	s_mov_b32 s22, exec_lo
	s_delay_alu instid0(VALU_DEP_2) | instskip(NEXT) | instid1(VALU_DEP_1)
	v_and_b32_e32 v149, 0x7f, v148
	v_cmpx_ne_u32_e32 0x7f, v149
	s_cbranch_execz .LBB380_250
; %bb.247:                              ;   in Loop: Header=BB380_13 Depth=1
	v_and_b32_e32 v8, 7, v148
	v_lshrrev_b32_e32 v148, 3, v149
	s_mov_b32 s23, exec_lo
	v_cmpx_gt_u32_e32 8, v149
; %bb.248:                              ;   in Loop: Header=BB380_13 Depth=1
	s_delay_alu instid0(VALU_DEP_3) | instskip(NEXT) | instid1(VALU_DEP_1)
	v_clz_i32_u32_e32 v148, v8
	v_min_u32_e32 v148, 32, v148
	s_delay_alu instid0(VALU_DEP_1) | instskip(SKIP_1) | instid1(VALU_DEP_2)
	v_subrev_nc_u32_e32 v149, 28, v148
	v_sub_nc_u32_e32 v148, 29, v148
	v_lshlrev_b64 v[149:150], v149, v[8:9]
	s_delay_alu instid0(VALU_DEP_1)
	v_and_b32_e32 v8, 7, v149
; %bb.249:                              ;   in Loop: Header=BB380_13 Depth=1
	s_or_b32 exec_lo, exec_lo, s23
	v_lshlrev_b32_e32 v147, 16, v147
	s_delay_alu instid0(VALU_DEP_2) | instskip(SKIP_1) | instid1(VALU_DEP_3)
	v_lshlrev_b32_e32 v8, 20, v8
	v_lshl_add_u32 v148, v148, 23, 0x3c000000
	v_and_b32_e32 v147, 0x80000000, v147
	s_delay_alu instid0(VALU_DEP_1)
	v_or3_b32 v8, v8, v147, v148
.LBB380_250:                            ;   in Loop: Header=BB380_13 Depth=1
	s_or_b32 exec_lo, exec_lo, s22
.LBB380_251:                            ;   in Loop: Header=BB380_13 Depth=1
	s_delay_alu instid0(SALU_CYCLE_1)
	s_or_b32 exec_lo, exec_lo, s21
.LBB380_252:                            ;   in Loop: Header=BB380_13 Depth=1
	s_delay_alu instid0(SALU_CYCLE_1) | instskip(NEXT) | instid1(VALU_DEP_1)
	s_or_b32 exec_lo, exec_lo, s20
	v_mul_f32_e32 v8, v103, v8
                                        ; implicit-def: $vgpr148
	s_delay_alu instid0(VALU_DEP_1) | instskip(NEXT) | instid1(VALU_DEP_1)
	v_and_b32_e32 v147, 0x7f800000, v8
	v_cmp_ne_u32_e64 s2, 0x7f800000, v147
	s_delay_alu instid0(VALU_DEP_1) | instskip(NEXT) | instid1(SALU_CYCLE_1)
	s_and_saveexec_b32 s20, s2
	s_xor_b32 s2, exec_lo, s20
; %bb.253:                              ;   in Loop: Header=BB380_13 Depth=1
	v_bfe_u32 v147, v8, 16, 1
	s_delay_alu instid0(VALU_DEP_1)
	v_add3_u32 v148, v8, v147, 0x7fff
                                        ; implicit-def: $vgpr8
; %bb.254:                              ;   in Loop: Header=BB380_13 Depth=1
	s_and_not1_saveexec_b32 s20, s2
; %bb.255:                              ;   in Loop: Header=BB380_13 Depth=1
	v_and_b32_e32 v147, 0xffff, v8
	v_or_b32_e32 v148, 0x10000, v8
	s_delay_alu instid0(VALU_DEP_2) | instskip(NEXT) | instid1(VALU_DEP_1)
	v_cmp_eq_u32_e64 s2, 0, v147
	v_cndmask_b32_e64 v148, v148, v8, s2
; %bb.256:                              ;   in Loop: Header=BB380_13 Depth=1
	s_or_b32 exec_lo, exec_lo, s20
	flat_load_u16 v8, v[54:55] offset:640
	s_mov_b32 s20, exec_lo
	s_waitcnt vmcnt(0) lgkmcnt(0)
	v_and_b32_e32 v147, 0xff, v8
	v_dual_mov_b32 v8, 0 :: v_dual_and_b32 v149, 0xffff, v8
	s_delay_alu instid0(VALU_DEP_2)
	v_cmpx_ne_u16_e64 0, v147
	s_cbranch_execz .LBB380_264
; %bb.257:                              ;   in Loop: Header=BB380_13 Depth=1
	s_delay_alu instid0(VALU_DEP_2) | instskip(NEXT) | instid1(VALU_DEP_1)
	v_and_b32_e32 v8, 0xff, v149
	v_cmp_ne_u16_e64 s2, 0x80, v8
	v_bfrev_b32_e32 v8, 1
	s_delay_alu instid0(VALU_DEP_2)
	s_and_saveexec_b32 s21, s2
	s_cbranch_execz .LBB380_263
; %bb.258:                              ;   in Loop: Header=BB380_13 Depth=1
	v_and_b32_e32 v150, 0x7f, v149
	v_mov_b32_e32 v8, 0x7f800001
	s_mov_b32 s22, exec_lo
	s_delay_alu instid0(VALU_DEP_2)
	v_cmpx_ne_u32_e32 0x7f, v150
	s_cbranch_execz .LBB380_262
; %bb.259:                              ;   in Loop: Header=BB380_13 Depth=1
	v_and_b32_e32 v8, 7, v149
	v_lshrrev_b32_e32 v147, 3, v150
	s_mov_b32 s23, exec_lo
	v_cmpx_gt_u32_e32 8, v150
; %bb.260:                              ;   in Loop: Header=BB380_13 Depth=1
	s_delay_alu instid0(VALU_DEP_3) | instskip(NEXT) | instid1(VALU_DEP_1)
	v_clz_i32_u32_e32 v147, v8
	v_min_u32_e32 v147, 32, v147
	s_delay_alu instid0(VALU_DEP_1) | instskip(SKIP_1) | instid1(VALU_DEP_2)
	v_subrev_nc_u32_e32 v150, 28, v147
	v_sub_nc_u32_e32 v147, 29, v147
	v_lshlrev_b64 v[150:151], v150, v[8:9]
	s_delay_alu instid0(VALU_DEP_1)
	v_and_b32_e32 v8, 7, v150
; %bb.261:                              ;   in Loop: Header=BB380_13 Depth=1
	s_or_b32 exec_lo, exec_lo, s23
	v_lshlrev_b32_e32 v150, 24, v149
	s_delay_alu instid0(VALU_DEP_2) | instskip(SKIP_1) | instid1(VALU_DEP_3)
	v_lshlrev_b32_e32 v8, 20, v8
	v_lshl_add_u32 v147, v147, 23, 0x3c000000
	v_and_b32_e32 v150, 0x80000000, v150
	s_delay_alu instid0(VALU_DEP_1)
	v_or3_b32 v8, v8, v150, v147
.LBB380_262:                            ;   in Loop: Header=BB380_13 Depth=1
	s_or_b32 exec_lo, exec_lo, s22
.LBB380_263:                            ;   in Loop: Header=BB380_13 Depth=1
	s_delay_alu instid0(SALU_CYCLE_1)
	s_or_b32 exec_lo, exec_lo, s21
.LBB380_264:                            ;   in Loop: Header=BB380_13 Depth=1
	s_delay_alu instid0(SALU_CYCLE_1) | instskip(NEXT) | instid1(VALU_DEP_1)
	s_or_b32 exec_lo, exec_lo, s20
	v_mul_f32_e32 v8, v103, v8
	s_delay_alu instid0(VALU_DEP_1) | instskip(NEXT) | instid1(VALU_DEP_1)
	v_and_b32_e32 v147, 0x7f800000, v8
	v_cmp_ne_u32_e64 s2, 0x7f800000, v147
                                        ; implicit-def: $vgpr147
	s_delay_alu instid0(VALU_DEP_1) | instskip(NEXT) | instid1(SALU_CYCLE_1)
	s_and_saveexec_b32 s20, s2
	s_xor_b32 s2, exec_lo, s20
; %bb.265:                              ;   in Loop: Header=BB380_13 Depth=1
	v_bfe_u32 v147, v8, 16, 1
	s_delay_alu instid0(VALU_DEP_1)
	v_add3_u32 v147, v8, v147, 0x7fff
                                        ; implicit-def: $vgpr8
; %bb.266:                              ;   in Loop: Header=BB380_13 Depth=1
	s_and_not1_saveexec_b32 s20, s2
; %bb.267:                              ;   in Loop: Header=BB380_13 Depth=1
	v_and_b32_e32 v147, 0xffff, v8
	v_or_b32_e32 v150, 0x10000, v8
	s_delay_alu instid0(VALU_DEP_2) | instskip(NEXT) | instid1(VALU_DEP_1)
	v_cmp_eq_u32_e64 s2, 0, v147
	v_cndmask_b32_e64 v147, v150, v8, s2
; %bb.268:                              ;   in Loop: Header=BB380_13 Depth=1
	s_or_b32 exec_lo, exec_lo, s20
	v_lshrrev_b16 v150, 8, v149
	v_mov_b32_e32 v8, 0
	s_mov_b32 s20, exec_lo
	s_delay_alu instid0(VALU_DEP_2)
	v_cmpx_ne_u16_e64 0, v150
	s_cbranch_execz .LBB380_276
; %bb.269:                              ;   in Loop: Header=BB380_13 Depth=1
	v_bfrev_b32_e32 v8, 1
	s_mov_b32 s21, exec_lo
	v_cmpx_ne_u16_e64 0x80, v150
	s_cbranch_execz .LBB380_275
; %bb.270:                              ;   in Loop: Header=BB380_13 Depth=1
	v_and_b32_e32 v150, 0xffff, v150
	v_mov_b32_e32 v8, 0x7f800001
	s_mov_b32 s22, exec_lo
	s_delay_alu instid0(VALU_DEP_2) | instskip(NEXT) | instid1(VALU_DEP_1)
	v_and_b32_e32 v151, 0x7f, v150
	v_cmpx_ne_u32_e32 0x7f, v151
	s_cbranch_execz .LBB380_274
; %bb.271:                              ;   in Loop: Header=BB380_13 Depth=1
	v_and_b32_e32 v8, 7, v150
	v_lshrrev_b32_e32 v150, 3, v151
	s_mov_b32 s23, exec_lo
	v_cmpx_gt_u32_e32 8, v151
; %bb.272:                              ;   in Loop: Header=BB380_13 Depth=1
	s_delay_alu instid0(VALU_DEP_3) | instskip(NEXT) | instid1(VALU_DEP_1)
	v_clz_i32_u32_e32 v150, v8
	v_min_u32_e32 v150, 32, v150
	s_delay_alu instid0(VALU_DEP_1) | instskip(SKIP_1) | instid1(VALU_DEP_2)
	v_subrev_nc_u32_e32 v151, 28, v150
	v_sub_nc_u32_e32 v150, 29, v150
	v_lshlrev_b64 v[160:161], v151, v[8:9]
	s_delay_alu instid0(VALU_DEP_1)
	v_and_b32_e32 v8, 7, v160
; %bb.273:                              ;   in Loop: Header=BB380_13 Depth=1
	s_or_b32 exec_lo, exec_lo, s23
	v_lshlrev_b32_e32 v149, 16, v149
	s_delay_alu instid0(VALU_DEP_2) | instskip(SKIP_1) | instid1(VALU_DEP_3)
	v_lshlrev_b32_e32 v8, 20, v8
	v_lshl_add_u32 v150, v150, 23, 0x3c000000
	v_and_b32_e32 v149, 0x80000000, v149
	s_delay_alu instid0(VALU_DEP_1)
	v_or3_b32 v8, v8, v149, v150
.LBB380_274:                            ;   in Loop: Header=BB380_13 Depth=1
	s_or_b32 exec_lo, exec_lo, s22
.LBB380_275:                            ;   in Loop: Header=BB380_13 Depth=1
	s_delay_alu instid0(SALU_CYCLE_1)
	s_or_b32 exec_lo, exec_lo, s21
.LBB380_276:                            ;   in Loop: Header=BB380_13 Depth=1
	s_delay_alu instid0(SALU_CYCLE_1) | instskip(NEXT) | instid1(VALU_DEP_1)
	s_or_b32 exec_lo, exec_lo, s20
	v_mul_f32_e32 v8, v103, v8
                                        ; implicit-def: $vgpr150
	s_delay_alu instid0(VALU_DEP_1) | instskip(NEXT) | instid1(VALU_DEP_1)
	v_and_b32_e32 v149, 0x7f800000, v8
	v_cmp_ne_u32_e64 s2, 0x7f800000, v149
	s_delay_alu instid0(VALU_DEP_1) | instskip(NEXT) | instid1(SALU_CYCLE_1)
	s_and_saveexec_b32 s20, s2
	s_xor_b32 s2, exec_lo, s20
; %bb.277:                              ;   in Loop: Header=BB380_13 Depth=1
	v_bfe_u32 v149, v8, 16, 1
	s_delay_alu instid0(VALU_DEP_1)
	v_add3_u32 v150, v8, v149, 0x7fff
                                        ; implicit-def: $vgpr8
; %bb.278:                              ;   in Loop: Header=BB380_13 Depth=1
	s_and_not1_saveexec_b32 s20, s2
; %bb.279:                              ;   in Loop: Header=BB380_13 Depth=1
	v_and_b32_e32 v149, 0xffff, v8
	v_or_b32_e32 v150, 0x10000, v8
	s_delay_alu instid0(VALU_DEP_2) | instskip(NEXT) | instid1(VALU_DEP_1)
	v_cmp_eq_u32_e64 s2, 0, v149
	v_cndmask_b32_e64 v150, v150, v8, s2
; %bb.280:                              ;   in Loop: Header=BB380_13 Depth=1
	s_or_b32 exec_lo, exec_lo, s20
	flat_load_u16 v8, v[54:55] offset:648
	s_mov_b32 s20, exec_lo
	s_waitcnt vmcnt(0) lgkmcnt(0)
	v_and_b32_e32 v149, 0xff, v8
	v_dual_mov_b32 v8, 0 :: v_dual_and_b32 v151, 0xffff, v8
	s_delay_alu instid0(VALU_DEP_2)
	v_cmpx_ne_u16_e64 0, v149
	s_cbranch_execz .LBB380_288
; %bb.281:                              ;   in Loop: Header=BB380_13 Depth=1
	s_delay_alu instid0(VALU_DEP_2) | instskip(NEXT) | instid1(VALU_DEP_1)
	v_and_b32_e32 v8, 0xff, v151
	v_cmp_ne_u16_e64 s2, 0x80, v8
	v_bfrev_b32_e32 v8, 1
	s_delay_alu instid0(VALU_DEP_2)
	s_and_saveexec_b32 s21, s2
	s_cbranch_execz .LBB380_287
; %bb.282:                              ;   in Loop: Header=BB380_13 Depth=1
	v_and_b32_e32 v160, 0x7f, v151
	v_mov_b32_e32 v8, 0x7f800001
	s_mov_b32 s22, exec_lo
	s_delay_alu instid0(VALU_DEP_2)
	v_cmpx_ne_u32_e32 0x7f, v160
	s_cbranch_execz .LBB380_286
; %bb.283:                              ;   in Loop: Header=BB380_13 Depth=1
	v_and_b32_e32 v8, 7, v151
	v_lshrrev_b32_e32 v149, 3, v160
	s_mov_b32 s23, exec_lo
	v_cmpx_gt_u32_e32 8, v160
; %bb.284:                              ;   in Loop: Header=BB380_13 Depth=1
	s_delay_alu instid0(VALU_DEP_3) | instskip(NEXT) | instid1(VALU_DEP_1)
	v_clz_i32_u32_e32 v149, v8
	v_min_u32_e32 v149, 32, v149
	s_delay_alu instid0(VALU_DEP_1) | instskip(SKIP_1) | instid1(VALU_DEP_2)
	v_subrev_nc_u32_e32 v160, 28, v149
	v_sub_nc_u32_e32 v149, 29, v149
	v_lshlrev_b64 v[160:161], v160, v[8:9]
	s_delay_alu instid0(VALU_DEP_1)
	v_and_b32_e32 v8, 7, v160
; %bb.285:                              ;   in Loop: Header=BB380_13 Depth=1
	s_or_b32 exec_lo, exec_lo, s23
	v_lshlrev_b32_e32 v160, 24, v151
	s_delay_alu instid0(VALU_DEP_2) | instskip(SKIP_1) | instid1(VALU_DEP_3)
	v_lshlrev_b32_e32 v8, 20, v8
	v_lshl_add_u32 v149, v149, 23, 0x3c000000
	v_and_b32_e32 v160, 0x80000000, v160
	s_delay_alu instid0(VALU_DEP_1)
	v_or3_b32 v8, v8, v160, v149
.LBB380_286:                            ;   in Loop: Header=BB380_13 Depth=1
	s_or_b32 exec_lo, exec_lo, s22
.LBB380_287:                            ;   in Loop: Header=BB380_13 Depth=1
	s_delay_alu instid0(SALU_CYCLE_1)
	s_or_b32 exec_lo, exec_lo, s21
.LBB380_288:                            ;   in Loop: Header=BB380_13 Depth=1
	s_delay_alu instid0(SALU_CYCLE_1) | instskip(NEXT) | instid1(VALU_DEP_1)
	s_or_b32 exec_lo, exec_lo, s20
	v_mul_f32_e32 v8, v103, v8
	s_delay_alu instid0(VALU_DEP_1) | instskip(NEXT) | instid1(VALU_DEP_1)
	v_and_b32_e32 v149, 0x7f800000, v8
	v_cmp_ne_u32_e64 s2, 0x7f800000, v149
                                        ; implicit-def: $vgpr149
	s_delay_alu instid0(VALU_DEP_1) | instskip(NEXT) | instid1(SALU_CYCLE_1)
	s_and_saveexec_b32 s20, s2
	s_xor_b32 s2, exec_lo, s20
; %bb.289:                              ;   in Loop: Header=BB380_13 Depth=1
	v_bfe_u32 v149, v8, 16, 1
	s_delay_alu instid0(VALU_DEP_1)
	v_add3_u32 v149, v8, v149, 0x7fff
                                        ; implicit-def: $vgpr8
; %bb.290:                              ;   in Loop: Header=BB380_13 Depth=1
	s_and_not1_saveexec_b32 s20, s2
; %bb.291:                              ;   in Loop: Header=BB380_13 Depth=1
	v_and_b32_e32 v149, 0xffff, v8
	v_or_b32_e32 v160, 0x10000, v8
	s_delay_alu instid0(VALU_DEP_2) | instskip(NEXT) | instid1(VALU_DEP_1)
	v_cmp_eq_u32_e64 s2, 0, v149
	v_cndmask_b32_e64 v149, v160, v8, s2
; %bb.292:                              ;   in Loop: Header=BB380_13 Depth=1
	s_or_b32 exec_lo, exec_lo, s20
	v_lshrrev_b16 v160, 8, v151
	v_mov_b32_e32 v8, 0
	s_mov_b32 s20, exec_lo
	s_delay_alu instid0(VALU_DEP_2)
	v_cmpx_ne_u16_e64 0, v160
	s_cbranch_execz .LBB380_300
; %bb.293:                              ;   in Loop: Header=BB380_13 Depth=1
	v_bfrev_b32_e32 v8, 1
	s_mov_b32 s21, exec_lo
	v_cmpx_ne_u16_e64 0x80, v160
	s_cbranch_execz .LBB380_299
; %bb.294:                              ;   in Loop: Header=BB380_13 Depth=1
	v_and_b32_e32 v160, 0xffff, v160
	v_mov_b32_e32 v8, 0x7f800001
	s_mov_b32 s22, exec_lo
	s_delay_alu instid0(VALU_DEP_2) | instskip(NEXT) | instid1(VALU_DEP_1)
	v_and_b32_e32 v161, 0x7f, v160
	v_cmpx_ne_u32_e32 0x7f, v161
	s_cbranch_execz .LBB380_298
; %bb.295:                              ;   in Loop: Header=BB380_13 Depth=1
	v_and_b32_e32 v8, 7, v160
	v_lshrrev_b32_e32 v160, 3, v161
	s_mov_b32 s23, exec_lo
	v_cmpx_gt_u32_e32 8, v161
; %bb.296:                              ;   in Loop: Header=BB380_13 Depth=1
	s_delay_alu instid0(VALU_DEP_3) | instskip(NEXT) | instid1(VALU_DEP_1)
	v_clz_i32_u32_e32 v160, v8
	v_min_u32_e32 v160, 32, v160
	s_delay_alu instid0(VALU_DEP_1) | instskip(SKIP_1) | instid1(VALU_DEP_2)
	v_subrev_nc_u32_e32 v161, 28, v160
	v_sub_nc_u32_e32 v160, 29, v160
	v_lshlrev_b64 v[161:162], v161, v[8:9]
	s_delay_alu instid0(VALU_DEP_1)
	v_and_b32_e32 v8, 7, v161
; %bb.297:                              ;   in Loop: Header=BB380_13 Depth=1
	s_or_b32 exec_lo, exec_lo, s23
	v_lshlrev_b32_e32 v151, 16, v151
	s_delay_alu instid0(VALU_DEP_2) | instskip(SKIP_1) | instid1(VALU_DEP_3)
	v_lshlrev_b32_e32 v8, 20, v8
	v_lshl_add_u32 v160, v160, 23, 0x3c000000
	v_and_b32_e32 v151, 0x80000000, v151
	s_delay_alu instid0(VALU_DEP_1)
	v_or3_b32 v8, v8, v151, v160
.LBB380_298:                            ;   in Loop: Header=BB380_13 Depth=1
	s_or_b32 exec_lo, exec_lo, s22
.LBB380_299:                            ;   in Loop: Header=BB380_13 Depth=1
	s_delay_alu instid0(SALU_CYCLE_1)
	s_or_b32 exec_lo, exec_lo, s21
.LBB380_300:                            ;   in Loop: Header=BB380_13 Depth=1
	s_delay_alu instid0(SALU_CYCLE_1) | instskip(NEXT) | instid1(VALU_DEP_1)
	s_or_b32 exec_lo, exec_lo, s20
	v_mul_f32_e32 v8, v103, v8
                                        ; implicit-def: $vgpr160
	s_delay_alu instid0(VALU_DEP_1) | instskip(NEXT) | instid1(VALU_DEP_1)
	v_and_b32_e32 v151, 0x7f800000, v8
	v_cmp_ne_u32_e64 s2, 0x7f800000, v151
	s_delay_alu instid0(VALU_DEP_1) | instskip(NEXT) | instid1(SALU_CYCLE_1)
	s_and_saveexec_b32 s20, s2
	s_xor_b32 s2, exec_lo, s20
; %bb.301:                              ;   in Loop: Header=BB380_13 Depth=1
	v_bfe_u32 v151, v8, 16, 1
	s_delay_alu instid0(VALU_DEP_1)
	v_add3_u32 v160, v8, v151, 0x7fff
                                        ; implicit-def: $vgpr8
; %bb.302:                              ;   in Loop: Header=BB380_13 Depth=1
	s_and_not1_saveexec_b32 s20, s2
; %bb.303:                              ;   in Loop: Header=BB380_13 Depth=1
	v_and_b32_e32 v151, 0xffff, v8
	v_or_b32_e32 v160, 0x10000, v8
	s_delay_alu instid0(VALU_DEP_2) | instskip(NEXT) | instid1(VALU_DEP_1)
	v_cmp_eq_u32_e64 s2, 0, v151
	v_cndmask_b32_e64 v160, v160, v8, s2
; %bb.304:                              ;   in Loop: Header=BB380_13 Depth=1
	s_or_b32 exec_lo, exec_lo, s20
	flat_load_u16 v8, v[54:55] offset:768
	s_mov_b32 s20, exec_lo
	s_waitcnt vmcnt(0) lgkmcnt(0)
	v_and_b32_e32 v151, 0xff, v8
	v_dual_mov_b32 v8, 0 :: v_dual_and_b32 v161, 0xffff, v8
	s_delay_alu instid0(VALU_DEP_2)
	v_cmpx_ne_u16_e64 0, v151
	s_cbranch_execz .LBB380_312
; %bb.305:                              ;   in Loop: Header=BB380_13 Depth=1
	s_delay_alu instid0(VALU_DEP_2) | instskip(NEXT) | instid1(VALU_DEP_1)
	v_and_b32_e32 v8, 0xff, v161
	v_cmp_ne_u16_e64 s2, 0x80, v8
	v_bfrev_b32_e32 v8, 1
	s_delay_alu instid0(VALU_DEP_2)
	s_and_saveexec_b32 s21, s2
	s_cbranch_execz .LBB380_311
; %bb.306:                              ;   in Loop: Header=BB380_13 Depth=1
	v_and_b32_e32 v162, 0x7f, v161
	v_mov_b32_e32 v8, 0x7f800001
	s_mov_b32 s22, exec_lo
	s_delay_alu instid0(VALU_DEP_2)
	v_cmpx_ne_u32_e32 0x7f, v162
	s_cbranch_execz .LBB380_310
; %bb.307:                              ;   in Loop: Header=BB380_13 Depth=1
	v_and_b32_e32 v8, 7, v161
	v_lshrrev_b32_e32 v151, 3, v162
	s_mov_b32 s23, exec_lo
	v_cmpx_gt_u32_e32 8, v162
; %bb.308:                              ;   in Loop: Header=BB380_13 Depth=1
	s_delay_alu instid0(VALU_DEP_3) | instskip(NEXT) | instid1(VALU_DEP_1)
	v_clz_i32_u32_e32 v151, v8
	v_min_u32_e32 v151, 32, v151
	s_delay_alu instid0(VALU_DEP_1) | instskip(SKIP_1) | instid1(VALU_DEP_2)
	v_subrev_nc_u32_e32 v162, 28, v151
	v_sub_nc_u32_e32 v151, 29, v151
	v_lshlrev_b64 v[162:163], v162, v[8:9]
	s_delay_alu instid0(VALU_DEP_1)
	v_and_b32_e32 v8, 7, v162
; %bb.309:                              ;   in Loop: Header=BB380_13 Depth=1
	s_or_b32 exec_lo, exec_lo, s23
	v_lshlrev_b32_e32 v162, 24, v161
	s_delay_alu instid0(VALU_DEP_2) | instskip(SKIP_1) | instid1(VALU_DEP_3)
	v_lshlrev_b32_e32 v8, 20, v8
	v_lshl_add_u32 v151, v151, 23, 0x3c000000
	v_and_b32_e32 v162, 0x80000000, v162
	s_delay_alu instid0(VALU_DEP_1)
	v_or3_b32 v8, v8, v162, v151
.LBB380_310:                            ;   in Loop: Header=BB380_13 Depth=1
	s_or_b32 exec_lo, exec_lo, s22
.LBB380_311:                            ;   in Loop: Header=BB380_13 Depth=1
	s_delay_alu instid0(SALU_CYCLE_1)
	s_or_b32 exec_lo, exec_lo, s21
.LBB380_312:                            ;   in Loop: Header=BB380_13 Depth=1
	s_delay_alu instid0(SALU_CYCLE_1) | instskip(NEXT) | instid1(VALU_DEP_1)
	s_or_b32 exec_lo, exec_lo, s20
	v_mul_f32_e32 v8, v103, v8
	s_delay_alu instid0(VALU_DEP_1) | instskip(NEXT) | instid1(VALU_DEP_1)
	v_and_b32_e32 v151, 0x7f800000, v8
	v_cmp_ne_u32_e64 s2, 0x7f800000, v151
                                        ; implicit-def: $vgpr151
	s_delay_alu instid0(VALU_DEP_1) | instskip(NEXT) | instid1(SALU_CYCLE_1)
	s_and_saveexec_b32 s20, s2
	s_xor_b32 s2, exec_lo, s20
; %bb.313:                              ;   in Loop: Header=BB380_13 Depth=1
	v_bfe_u32 v151, v8, 16, 1
	s_delay_alu instid0(VALU_DEP_1)
	v_add3_u32 v151, v8, v151, 0x7fff
                                        ; implicit-def: $vgpr8
; %bb.314:                              ;   in Loop: Header=BB380_13 Depth=1
	s_and_not1_saveexec_b32 s20, s2
; %bb.315:                              ;   in Loop: Header=BB380_13 Depth=1
	v_and_b32_e32 v151, 0xffff, v8
	v_or_b32_e32 v162, 0x10000, v8
	s_delay_alu instid0(VALU_DEP_2) | instskip(NEXT) | instid1(VALU_DEP_1)
	v_cmp_eq_u32_e64 s2, 0, v151
	v_cndmask_b32_e64 v151, v162, v8, s2
; %bb.316:                              ;   in Loop: Header=BB380_13 Depth=1
	s_or_b32 exec_lo, exec_lo, s20
	v_lshrrev_b16 v162, 8, v161
	v_mov_b32_e32 v8, 0
	s_mov_b32 s20, exec_lo
	s_delay_alu instid0(VALU_DEP_2)
	v_cmpx_ne_u16_e64 0, v162
	s_cbranch_execz .LBB380_324
; %bb.317:                              ;   in Loop: Header=BB380_13 Depth=1
	v_bfrev_b32_e32 v8, 1
	s_mov_b32 s21, exec_lo
	v_cmpx_ne_u16_e64 0x80, v162
	s_cbranch_execz .LBB380_323
; %bb.318:                              ;   in Loop: Header=BB380_13 Depth=1
	v_and_b32_e32 v162, 0xffff, v162
	v_mov_b32_e32 v8, 0x7f800001
	s_mov_b32 s22, exec_lo
	s_delay_alu instid0(VALU_DEP_2) | instskip(NEXT) | instid1(VALU_DEP_1)
	v_and_b32_e32 v163, 0x7f, v162
	v_cmpx_ne_u32_e32 0x7f, v163
	s_cbranch_execz .LBB380_322
; %bb.319:                              ;   in Loop: Header=BB380_13 Depth=1
	v_and_b32_e32 v8, 7, v162
	v_lshrrev_b32_e32 v162, 3, v163
	s_mov_b32 s23, exec_lo
	v_cmpx_gt_u32_e32 8, v163
; %bb.320:                              ;   in Loop: Header=BB380_13 Depth=1
	s_delay_alu instid0(VALU_DEP_3) | instskip(NEXT) | instid1(VALU_DEP_1)
	v_clz_i32_u32_e32 v162, v8
	v_min_u32_e32 v162, 32, v162
	s_delay_alu instid0(VALU_DEP_1) | instskip(SKIP_1) | instid1(VALU_DEP_2)
	v_subrev_nc_u32_e32 v163, 28, v162
	v_sub_nc_u32_e32 v162, 29, v162
	v_lshlrev_b64 v[163:164], v163, v[8:9]
	s_delay_alu instid0(VALU_DEP_1)
	v_and_b32_e32 v8, 7, v163
; %bb.321:                              ;   in Loop: Header=BB380_13 Depth=1
	s_or_b32 exec_lo, exec_lo, s23
	v_lshlrev_b32_e32 v161, 16, v161
	s_delay_alu instid0(VALU_DEP_2) | instskip(SKIP_1) | instid1(VALU_DEP_3)
	v_lshlrev_b32_e32 v8, 20, v8
	v_lshl_add_u32 v162, v162, 23, 0x3c000000
	v_and_b32_e32 v161, 0x80000000, v161
	s_delay_alu instid0(VALU_DEP_1)
	v_or3_b32 v8, v8, v161, v162
.LBB380_322:                            ;   in Loop: Header=BB380_13 Depth=1
	s_or_b32 exec_lo, exec_lo, s22
.LBB380_323:                            ;   in Loop: Header=BB380_13 Depth=1
	s_delay_alu instid0(SALU_CYCLE_1)
	s_or_b32 exec_lo, exec_lo, s21
.LBB380_324:                            ;   in Loop: Header=BB380_13 Depth=1
	s_delay_alu instid0(SALU_CYCLE_1) | instskip(NEXT) | instid1(VALU_DEP_1)
	s_or_b32 exec_lo, exec_lo, s20
	v_mul_f32_e32 v8, v103, v8
	s_delay_alu instid0(VALU_DEP_1) | instskip(NEXT) | instid1(VALU_DEP_1)
	v_and_b32_e32 v161, 0x7f800000, v8
	v_cmp_ne_u32_e64 s2, 0x7f800000, v161
                                        ; implicit-def: $vgpr161
	s_delay_alu instid0(VALU_DEP_1) | instskip(NEXT) | instid1(SALU_CYCLE_1)
	s_and_saveexec_b32 s20, s2
	s_xor_b32 s2, exec_lo, s20
; %bb.325:                              ;   in Loop: Header=BB380_13 Depth=1
	v_bfe_u32 v161, v8, 16, 1
	s_delay_alu instid0(VALU_DEP_1)
	v_add3_u32 v161, v8, v161, 0x7fff
                                        ; implicit-def: $vgpr8
; %bb.326:                              ;   in Loop: Header=BB380_13 Depth=1
	s_and_not1_saveexec_b32 s20, s2
; %bb.327:                              ;   in Loop: Header=BB380_13 Depth=1
	v_and_b32_e32 v161, 0xffff, v8
	v_or_b32_e32 v162, 0x10000, v8
	s_delay_alu instid0(VALU_DEP_2) | instskip(NEXT) | instid1(VALU_DEP_1)
	v_cmp_eq_u32_e64 s2, 0, v161
	v_cndmask_b32_e64 v161, v162, v8, s2
; %bb.328:                              ;   in Loop: Header=BB380_13 Depth=1
	s_or_b32 exec_lo, exec_lo, s20
	flat_load_u16 v8, v[54:55] offset:776
	s_mov_b32 s20, exec_lo
	s_waitcnt vmcnt(0) lgkmcnt(0)
	v_and_b32_e32 v162, 0xff, v8
	v_dual_mov_b32 v8, 0 :: v_dual_and_b32 v163, 0xffff, v8
	s_delay_alu instid0(VALU_DEP_2)
	v_cmpx_ne_u16_e64 0, v162
	s_cbranch_execz .LBB380_336
; %bb.329:                              ;   in Loop: Header=BB380_13 Depth=1
	s_delay_alu instid0(VALU_DEP_2) | instskip(NEXT) | instid1(VALU_DEP_1)
	v_and_b32_e32 v8, 0xff, v163
	v_cmp_ne_u16_e64 s2, 0x80, v8
	v_bfrev_b32_e32 v8, 1
	s_delay_alu instid0(VALU_DEP_2)
	s_and_saveexec_b32 s21, s2
	s_cbranch_execz .LBB380_335
; %bb.330:                              ;   in Loop: Header=BB380_13 Depth=1
	v_and_b32_e32 v164, 0x7f, v163
	v_mov_b32_e32 v8, 0x7f800001
	s_mov_b32 s22, exec_lo
	s_delay_alu instid0(VALU_DEP_2)
	v_cmpx_ne_u32_e32 0x7f, v164
	s_cbranch_execz .LBB380_334
; %bb.331:                              ;   in Loop: Header=BB380_13 Depth=1
	v_and_b32_e32 v8, 7, v163
	v_lshrrev_b32_e32 v162, 3, v164
	s_mov_b32 s23, exec_lo
	v_cmpx_gt_u32_e32 8, v164
; %bb.332:                              ;   in Loop: Header=BB380_13 Depth=1
	s_delay_alu instid0(VALU_DEP_3) | instskip(NEXT) | instid1(VALU_DEP_1)
	v_clz_i32_u32_e32 v162, v8
	v_min_u32_e32 v162, 32, v162
	s_delay_alu instid0(VALU_DEP_1) | instskip(SKIP_1) | instid1(VALU_DEP_2)
	v_subrev_nc_u32_e32 v164, 28, v162
	v_sub_nc_u32_e32 v162, 29, v162
	v_lshlrev_b64 v[164:165], v164, v[8:9]
	s_delay_alu instid0(VALU_DEP_1)
	v_and_b32_e32 v8, 7, v164
; %bb.333:                              ;   in Loop: Header=BB380_13 Depth=1
	s_or_b32 exec_lo, exec_lo, s23
	v_lshlrev_b32_e32 v164, 24, v163
	s_delay_alu instid0(VALU_DEP_2) | instskip(SKIP_1) | instid1(VALU_DEP_3)
	v_lshlrev_b32_e32 v8, 20, v8
	v_lshl_add_u32 v162, v162, 23, 0x3c000000
	v_and_b32_e32 v164, 0x80000000, v164
	s_delay_alu instid0(VALU_DEP_1)
	v_or3_b32 v8, v8, v164, v162
.LBB380_334:                            ;   in Loop: Header=BB380_13 Depth=1
	s_or_b32 exec_lo, exec_lo, s22
.LBB380_335:                            ;   in Loop: Header=BB380_13 Depth=1
	s_delay_alu instid0(SALU_CYCLE_1)
	s_or_b32 exec_lo, exec_lo, s21
.LBB380_336:                            ;   in Loop: Header=BB380_13 Depth=1
	s_delay_alu instid0(SALU_CYCLE_1) | instskip(NEXT) | instid1(VALU_DEP_1)
	s_or_b32 exec_lo, exec_lo, s20
	v_mul_f32_e32 v8, v103, v8
	s_delay_alu instid0(VALU_DEP_1) | instskip(NEXT) | instid1(VALU_DEP_1)
	v_and_b32_e32 v162, 0x7f800000, v8
	v_cmp_ne_u32_e64 s2, 0x7f800000, v162
                                        ; implicit-def: $vgpr162
	s_delay_alu instid0(VALU_DEP_1) | instskip(NEXT) | instid1(SALU_CYCLE_1)
	s_and_saveexec_b32 s20, s2
	s_xor_b32 s2, exec_lo, s20
; %bb.337:                              ;   in Loop: Header=BB380_13 Depth=1
	v_bfe_u32 v162, v8, 16, 1
	s_delay_alu instid0(VALU_DEP_1)
	v_add3_u32 v162, v8, v162, 0x7fff
                                        ; implicit-def: $vgpr8
; %bb.338:                              ;   in Loop: Header=BB380_13 Depth=1
	s_and_not1_saveexec_b32 s20, s2
; %bb.339:                              ;   in Loop: Header=BB380_13 Depth=1
	v_and_b32_e32 v162, 0xffff, v8
	v_or_b32_e32 v164, 0x10000, v8
	s_delay_alu instid0(VALU_DEP_2) | instskip(NEXT) | instid1(VALU_DEP_1)
	v_cmp_eq_u32_e64 s2, 0, v162
	v_cndmask_b32_e64 v162, v164, v8, s2
; %bb.340:                              ;   in Loop: Header=BB380_13 Depth=1
	s_or_b32 exec_lo, exec_lo, s20
	v_lshrrev_b16 v164, 8, v163
	v_mov_b32_e32 v8, 0
	s_mov_b32 s20, exec_lo
	s_delay_alu instid0(VALU_DEP_2)
	v_cmpx_ne_u16_e64 0, v164
	s_cbranch_execz .LBB380_348
; %bb.341:                              ;   in Loop: Header=BB380_13 Depth=1
	v_bfrev_b32_e32 v8, 1
	s_mov_b32 s21, exec_lo
	v_cmpx_ne_u16_e64 0x80, v164
	s_cbranch_execz .LBB380_347
; %bb.342:                              ;   in Loop: Header=BB380_13 Depth=1
	v_and_b32_e32 v164, 0xffff, v164
	v_mov_b32_e32 v8, 0x7f800001
	s_mov_b32 s22, exec_lo
	s_delay_alu instid0(VALU_DEP_2) | instskip(NEXT) | instid1(VALU_DEP_1)
	v_and_b32_e32 v165, 0x7f, v164
	v_cmpx_ne_u32_e32 0x7f, v165
	s_cbranch_execz .LBB380_346
; %bb.343:                              ;   in Loop: Header=BB380_13 Depth=1
	v_and_b32_e32 v8, 7, v164
	v_lshrrev_b32_e32 v164, 3, v165
	s_mov_b32 s23, exec_lo
	v_cmpx_gt_u32_e32 8, v165
; %bb.344:                              ;   in Loop: Header=BB380_13 Depth=1
	s_delay_alu instid0(VALU_DEP_3) | instskip(NEXT) | instid1(VALU_DEP_1)
	v_clz_i32_u32_e32 v164, v8
	v_min_u32_e32 v164, 32, v164
	s_delay_alu instid0(VALU_DEP_1) | instskip(SKIP_1) | instid1(VALU_DEP_2)
	v_subrev_nc_u32_e32 v165, 28, v164
	v_sub_nc_u32_e32 v164, 29, v164
	v_lshlrev_b64 v[165:166], v165, v[8:9]
	s_delay_alu instid0(VALU_DEP_1)
	v_and_b32_e32 v8, 7, v165
; %bb.345:                              ;   in Loop: Header=BB380_13 Depth=1
	s_or_b32 exec_lo, exec_lo, s23
	v_lshlrev_b32_e32 v163, 16, v163
	s_delay_alu instid0(VALU_DEP_2) | instskip(SKIP_1) | instid1(VALU_DEP_3)
	v_lshlrev_b32_e32 v8, 20, v8
	v_lshl_add_u32 v164, v164, 23, 0x3c000000
	v_and_b32_e32 v163, 0x80000000, v163
	s_delay_alu instid0(VALU_DEP_1)
	v_or3_b32 v8, v8, v163, v164
.LBB380_346:                            ;   in Loop: Header=BB380_13 Depth=1
	s_or_b32 exec_lo, exec_lo, s22
.LBB380_347:                            ;   in Loop: Header=BB380_13 Depth=1
	s_delay_alu instid0(SALU_CYCLE_1)
	s_or_b32 exec_lo, exec_lo, s21
.LBB380_348:                            ;   in Loop: Header=BB380_13 Depth=1
	s_delay_alu instid0(SALU_CYCLE_1) | instskip(NEXT) | instid1(VALU_DEP_1)
	s_or_b32 exec_lo, exec_lo, s20
	v_mul_f32_e32 v8, v103, v8
	s_delay_alu instid0(VALU_DEP_1) | instskip(NEXT) | instid1(VALU_DEP_1)
	v_and_b32_e32 v163, 0x7f800000, v8
	v_cmp_ne_u32_e64 s2, 0x7f800000, v163
                                        ; implicit-def: $vgpr163
	s_delay_alu instid0(VALU_DEP_1) | instskip(NEXT) | instid1(SALU_CYCLE_1)
	s_and_saveexec_b32 s20, s2
	s_xor_b32 s2, exec_lo, s20
; %bb.349:                              ;   in Loop: Header=BB380_13 Depth=1
	v_bfe_u32 v163, v8, 16, 1
	s_delay_alu instid0(VALU_DEP_1)
	v_add3_u32 v163, v8, v163, 0x7fff
                                        ; implicit-def: $vgpr8
; %bb.350:                              ;   in Loop: Header=BB380_13 Depth=1
	s_and_not1_saveexec_b32 s20, s2
; %bb.351:                              ;   in Loop: Header=BB380_13 Depth=1
	v_and_b32_e32 v163, 0xffff, v8
	v_or_b32_e32 v164, 0x10000, v8
	s_delay_alu instid0(VALU_DEP_2) | instskip(NEXT) | instid1(VALU_DEP_1)
	v_cmp_eq_u32_e64 s2, 0, v163
	v_cndmask_b32_e64 v163, v164, v8, s2
; %bb.352:                              ;   in Loop: Header=BB380_13 Depth=1
	s_or_b32 exec_lo, exec_lo, s20
	flat_load_u16 v8, v[54:55] offset:896
	s_mov_b32 s20, exec_lo
	s_waitcnt vmcnt(0) lgkmcnt(0)
	v_and_b32_e32 v55, 0xff, v8
	v_and_b32_e32 v54, 0xffff, v8
	v_mov_b32_e32 v8, 0
	s_delay_alu instid0(VALU_DEP_3)
	v_cmpx_ne_u16_e32 0, v55
	s_cbranch_execz .LBB380_360
; %bb.353:                              ;   in Loop: Header=BB380_13 Depth=1
	s_delay_alu instid0(VALU_DEP_3) | instskip(NEXT) | instid1(VALU_DEP_1)
	v_and_b32_e32 v8, 0xff, v54
	v_cmp_ne_u16_e64 s2, 0x80, v8
	v_bfrev_b32_e32 v8, 1
	s_delay_alu instid0(VALU_DEP_2)
	s_and_saveexec_b32 s21, s2
	s_cbranch_execz .LBB380_359
; %bb.354:                              ;   in Loop: Header=BB380_13 Depth=1
	v_and_b32_e32 v164, 0x7f, v54
	v_mov_b32_e32 v8, 0x7f800001
	s_mov_b32 s22, exec_lo
	s_delay_alu instid0(VALU_DEP_2)
	v_cmpx_ne_u32_e32 0x7f, v164
	s_cbranch_execz .LBB380_358
; %bb.355:                              ;   in Loop: Header=BB380_13 Depth=1
	v_and_b32_e32 v8, 7, v54
	v_lshrrev_b32_e32 v55, 3, v164
	s_mov_b32 s23, exec_lo
	v_cmpx_gt_u32_e32 8, v164
; %bb.356:                              ;   in Loop: Header=BB380_13 Depth=1
	s_delay_alu instid0(VALU_DEP_3) | instskip(NEXT) | instid1(VALU_DEP_1)
	v_clz_i32_u32_e32 v55, v8
	v_min_u32_e32 v55, 32, v55
	s_delay_alu instid0(VALU_DEP_1) | instskip(SKIP_1) | instid1(VALU_DEP_2)
	v_subrev_nc_u32_e32 v164, 28, v55
	v_sub_nc_u32_e32 v55, 29, v55
	v_lshlrev_b64 v[164:165], v164, v[8:9]
	s_delay_alu instid0(VALU_DEP_1)
	v_and_b32_e32 v8, 7, v164
; %bb.357:                              ;   in Loop: Header=BB380_13 Depth=1
	s_or_b32 exec_lo, exec_lo, s23
	v_lshlrev_b32_e32 v164, 24, v54
	s_delay_alu instid0(VALU_DEP_2) | instskip(SKIP_1) | instid1(VALU_DEP_3)
	v_lshlrev_b32_e32 v8, 20, v8
	v_lshl_add_u32 v55, v55, 23, 0x3c000000
	v_and_b32_e32 v164, 0x80000000, v164
	s_delay_alu instid0(VALU_DEP_1)
	v_or3_b32 v8, v8, v164, v55
.LBB380_358:                            ;   in Loop: Header=BB380_13 Depth=1
	s_or_b32 exec_lo, exec_lo, s22
.LBB380_359:                            ;   in Loop: Header=BB380_13 Depth=1
	s_delay_alu instid0(SALU_CYCLE_1)
	s_or_b32 exec_lo, exec_lo, s21
.LBB380_360:                            ;   in Loop: Header=BB380_13 Depth=1
	s_delay_alu instid0(SALU_CYCLE_1) | instskip(NEXT) | instid1(VALU_DEP_1)
	s_or_b32 exec_lo, exec_lo, s20
	v_mul_f32_e32 v8, v103, v8
	s_delay_alu instid0(VALU_DEP_1) | instskip(NEXT) | instid1(VALU_DEP_1)
	v_and_b32_e32 v55, 0x7f800000, v8
	v_cmp_ne_u32_e64 s2, 0x7f800000, v55
                                        ; implicit-def: $vgpr55
	s_delay_alu instid0(VALU_DEP_1) | instskip(NEXT) | instid1(SALU_CYCLE_1)
	s_and_saveexec_b32 s20, s2
	s_xor_b32 s2, exec_lo, s20
; %bb.361:                              ;   in Loop: Header=BB380_13 Depth=1
	v_bfe_u32 v55, v8, 16, 1
	s_delay_alu instid0(VALU_DEP_1)
	v_add3_u32 v55, v8, v55, 0x7fff
                                        ; implicit-def: $vgpr8
; %bb.362:                              ;   in Loop: Header=BB380_13 Depth=1
	s_and_not1_saveexec_b32 s20, s2
; %bb.363:                              ;   in Loop: Header=BB380_13 Depth=1
	v_and_b32_e32 v55, 0xffff, v8
	v_or_b32_e32 v164, 0x10000, v8
	s_delay_alu instid0(VALU_DEP_2) | instskip(NEXT) | instid1(VALU_DEP_1)
	v_cmp_eq_u32_e64 s2, 0, v55
	v_cndmask_b32_e64 v55, v164, v8, s2
; %bb.364:                              ;   in Loop: Header=BB380_13 Depth=1
	s_or_b32 exec_lo, exec_lo, s20
	v_lshrrev_b16 v164, 8, v54
	v_mov_b32_e32 v8, 0
	s_mov_b32 s20, exec_lo
	s_delay_alu instid0(VALU_DEP_2)
	v_cmpx_ne_u16_e64 0, v164
	s_cbranch_execz .LBB380_372
; %bb.365:                              ;   in Loop: Header=BB380_13 Depth=1
	v_bfrev_b32_e32 v8, 1
	s_mov_b32 s21, exec_lo
	v_cmpx_ne_u16_e64 0x80, v164
	s_cbranch_execz .LBB380_371
; %bb.366:                              ;   in Loop: Header=BB380_13 Depth=1
	v_and_b32_e32 v164, 0xffff, v164
	v_mov_b32_e32 v8, 0x7f800001
	s_mov_b32 s22, exec_lo
	s_delay_alu instid0(VALU_DEP_2) | instskip(NEXT) | instid1(VALU_DEP_1)
	v_and_b32_e32 v165, 0x7f, v164
	v_cmpx_ne_u32_e32 0x7f, v165
	s_cbranch_execz .LBB380_370
; %bb.367:                              ;   in Loop: Header=BB380_13 Depth=1
	v_and_b32_e32 v8, 7, v164
	v_lshrrev_b32_e32 v164, 3, v165
	s_mov_b32 s23, exec_lo
	v_cmpx_gt_u32_e32 8, v165
; %bb.368:                              ;   in Loop: Header=BB380_13 Depth=1
	s_delay_alu instid0(VALU_DEP_3) | instskip(NEXT) | instid1(VALU_DEP_1)
	v_clz_i32_u32_e32 v164, v8
	v_min_u32_e32 v164, 32, v164
	s_delay_alu instid0(VALU_DEP_1) | instskip(SKIP_1) | instid1(VALU_DEP_2)
	v_subrev_nc_u32_e32 v165, 28, v164
	v_sub_nc_u32_e32 v164, 29, v164
	v_lshlrev_b64 v[165:166], v165, v[8:9]
	s_delay_alu instid0(VALU_DEP_1)
	v_and_b32_e32 v8, 7, v165
; %bb.369:                              ;   in Loop: Header=BB380_13 Depth=1
	s_or_b32 exec_lo, exec_lo, s23
	v_lshlrev_b32_e32 v54, 16, v54
	s_delay_alu instid0(VALU_DEP_2) | instskip(SKIP_1) | instid1(VALU_DEP_3)
	v_lshlrev_b32_e32 v8, 20, v8
	v_lshl_add_u32 v164, v164, 23, 0x3c000000
	v_and_b32_e32 v54, 0x80000000, v54
	s_delay_alu instid0(VALU_DEP_1)
	v_or3_b32 v8, v8, v54, v164
.LBB380_370:                            ;   in Loop: Header=BB380_13 Depth=1
	s_or_b32 exec_lo, exec_lo, s22
.LBB380_371:                            ;   in Loop: Header=BB380_13 Depth=1
	s_delay_alu instid0(SALU_CYCLE_1)
	s_or_b32 exec_lo, exec_lo, s21
.LBB380_372:                            ;   in Loop: Header=BB380_13 Depth=1
	s_delay_alu instid0(SALU_CYCLE_1) | instskip(NEXT) | instid1(VALU_DEP_1)
	s_or_b32 exec_lo, exec_lo, s20
	v_mul_f32_e32 v54, v103, v8
	s_delay_alu instid0(VALU_DEP_1) | instskip(NEXT) | instid1(VALU_DEP_1)
	v_and_b32_e32 v8, 0x7f800000, v54
	v_cmp_ne_u32_e64 s2, 0x7f800000, v8
                                        ; implicit-def: $vgpr8
	s_delay_alu instid0(VALU_DEP_1) | instskip(NEXT) | instid1(SALU_CYCLE_1)
	s_and_saveexec_b32 s20, s2
	s_xor_b32 s2, exec_lo, s20
; %bb.373:                              ;   in Loop: Header=BB380_13 Depth=1
	v_bfe_u32 v8, v54, 16, 1
	s_delay_alu instid0(VALU_DEP_1)
	v_add3_u32 v8, v54, v8, 0x7fff
                                        ; implicit-def: $vgpr54
; %bb.374:                              ;   in Loop: Header=BB380_13 Depth=1
	s_and_not1_saveexec_b32 s20, s2
; %bb.375:                              ;   in Loop: Header=BB380_13 Depth=1
	v_and_b32_e32 v8, 0xffff, v54
	v_or_b32_e32 v103, 0x10000, v54
	s_delay_alu instid0(VALU_DEP_2) | instskip(NEXT) | instid1(VALU_DEP_1)
	v_cmp_eq_u32_e64 s2, 0, v8
	v_cndmask_b32_e64 v8, v103, v54, s2
; %bb.376:                              ;   in Loop: Header=BB380_13 Depth=1
	s_or_b32 exec_lo, exec_lo, s20
	v_and_b32_e32 v129, 0xffff0000, v129
	v_and_b32_e32 v115, 0xffff0000, v115
	;; [unrolled: 1-line block ×5, first 2 shown]
	v_lshlrev_b32_e32 v162, 16, v53
	v_and_b32_e32 v53, 0xffff0000, v53
	v_and_b32_e32 v160, 0xffff0000, v160
	;; [unrolled: 1-line block ×3, first 2 shown]
	s_delay_alu instid0(VALU_DEP_4) | instskip(NEXT) | instid1(VALU_DEP_4)
	v_dual_mul_f32 v114, v162, v114 :: v_dual_and_b32 v117, 0xffff0000, v117
	v_mul_f32_e32 v53, v53, v115
	v_and_b32_e32 v54, 0xffff0000, v55
	v_and_b32_e32 v55, 0xffff0000, v163
	v_lshlrev_b32_e32 v163, 16, v52
	v_and_b32_e32 v52, 0xffff0000, v52
	v_and_b32_e32 v119, 0xffff0000, v119
	;; [unrolled: 1-line block ×3, first 2 shown]
	s_delay_alu instid0(VALU_DEP_3)
	v_dual_fmac_f32 v114, v163, v112 :: v_dual_fmac_f32 v53, v52, v113
	v_and_b32_e32 v115, 0xffff0000, v116
	v_lshlrev_b32_e32 v116, 16, v50
	v_and_b32_e32 v50, 0xffff0000, v50
	v_and_b32_e32 v161, 0xffff0000, v161
	;; [unrolled: 1-line block ×4, first 2 shown]
	s_delay_alu instid0(VALU_DEP_4)
	v_dual_fmac_f32 v114, v116, v115 :: v_dual_fmac_f32 v53, v50, v117
	v_lshlrev_b32_e32 v112, 16, v51
	v_and_b32_e32 v145, 0xffff0000, v145
	v_and_b32_e32 v51, 0xffff0000, v51
	v_and_b32_e32 v50, 0xffff0000, v128
	v_lshlrev_b32_e32 v113, 16, v48
	v_fmac_f32_e32 v114, v112, v52
	s_delay_alu instid0(VALU_DEP_4)
	v_dual_fmac_f32 v53, v51, v119 :: v_dual_and_b32 v148, 0xffff0000, v148
	v_and_b32_e32 v135, 0xffff0000, v135
	v_and_b32_e32 v48, 0xffff0000, v48
	;; [unrolled: 1-line block ×3, first 2 shown]
	v_lshlrev_b32_e32 v52, 16, v49
	v_dual_fmac_f32 v114, v113, v50 :: v_dual_and_b32 v133, 0xffff0000, v133
	v_and_b32_e32 v49, 0xffff0000, v49
	v_dual_fmac_f32 v53, v48, v129 :: v_dual_and_b32 v48, 0xffff0000, v132
	v_lshlrev_b32_e32 v50, 16, v37
	s_delay_alu instid0(VALU_DEP_4) | instskip(SKIP_4) | instid1(VALU_DEP_4)
	v_fmac_f32_e32 v114, v52, v51
	v_and_b32_e32 v131, 0xffff0000, v131
	v_and_b32_e32 v37, 0xffff0000, v37
	v_lshlrev_b32_e32 v51, 16, v38
	v_and_b32_e32 v38, 0xffff0000, v38
	v_dual_fmac_f32 v114, v50, v48 :: v_dual_fmac_f32 v53, v49, v131
	v_and_b32_e32 v49, 0xffff0000, v134
	v_lshlrev_b32_e32 v48, 16, v35
	v_and_b32_e32 v35, 0xffff0000, v35
	s_delay_alu instid0(VALU_DEP_4) | instskip(NEXT) | instid1(VALU_DEP_4)
	v_fmac_f32_e32 v53, v37, v133
	v_dual_fmac_f32 v114, v51, v49 :: v_dual_and_b32 v37, 0xffff0000, v144
	v_lshlrev_b32_e32 v49, 16, v36
	s_delay_alu instid0(VALU_DEP_3) | instskip(SKIP_1) | instid1(VALU_DEP_4)
	v_dual_fmac_f32 v53, v38, v135 :: v_dual_and_b32 v36, 0xffff0000, v36
	v_and_b32_e32 v38, 0xffff0000, v146
	v_fmac_f32_e32 v114, v48, v37
	v_lshlrev_b32_e32 v37, 16, v33
	v_and_b32_e32 v33, 0xffff0000, v33
	v_fmac_f32_e32 v53, v35, v145
	s_delay_alu instid0(VALU_DEP_4) | instskip(SKIP_1) | instid1(VALU_DEP_3)
	v_dual_fmac_f32 v114, v49, v38 :: v_dual_and_b32 v35, 0xffff0000, v147
	v_lshlrev_b32_e32 v38, 16, v34
	v_dual_fmac_f32 v53, v36, v148 :: v_dual_and_b32 v34, 0xffff0000, v34
	v_and_b32_e32 v36, 0xffff0000, v149
	s_delay_alu instid0(VALU_DEP_4) | instskip(SKIP_3) | instid1(VALU_DEP_4)
	v_fmac_f32_e32 v114, v37, v35
	v_lshlrev_b32_e32 v35, 16, v31
	v_and_b32_e32 v31, 0xffff0000, v31
	v_fmac_f32_e32 v53, v33, v150
	v_dual_fmac_f32 v114, v38, v36 :: v_dual_and_b32 v33, 0xffff0000, v151
	s_delay_alu instid0(VALU_DEP_2) | instskip(SKIP_2) | instid1(VALU_DEP_4)
	v_dual_fmac_f32 v53, v34, v160 :: v_dual_lshlrev_b32 v36, 16, v102
	v_lshlrev_b32_e32 v34, 16, v32
	v_and_b32_e32 v32, 0xffff0000, v32
	v_dual_fmac_f32 v114, v35, v33 :: v_dual_and_b32 v33, 0xffff0000, v102
	s_delay_alu instid0(VALU_DEP_4) | instskip(SKIP_1) | instid1(VALU_DEP_3)
	v_fmac_f32_e32 v53, v31, v161
	v_xor_b32_e32 v31, 2, v82
	v_fmac_f32_e32 v114, v34, v103
	s_delay_alu instid0(VALU_DEP_3) | instskip(NEXT) | instid1(VALU_DEP_3)
	v_fmac_f32_e32 v53, v32, v55
	v_cmp_gt_i32_e64 s2, 32, v31
	v_xor_b32_e32 v32, 1, v82
	s_delay_alu instid0(VALU_DEP_3) | instskip(NEXT) | instid1(VALU_DEP_3)
	v_dual_fmac_f32 v114, v36, v54 :: v_dual_fmac_f32 v53, v33, v8
	v_cndmask_b32_e64 v31, v82, v31, s2
	s_delay_alu instid0(VALU_DEP_3) | instskip(NEXT) | instid1(VALU_DEP_2)
	v_cmp_gt_i32_e64 s2, 32, v32
	v_dual_add_f32 v31, v114, v53 :: v_dual_lshlrev_b32 v8, 2, v31
	s_delay_alu instid0(VALU_DEP_2)
	v_cndmask_b32_e64 v32, v82, v32, s2
	ds_bpermute_b32 v8, v8, v31
	v_lshlrev_b32_e32 v32, 2, v32
	s_waitcnt lgkmcnt(0)
	v_add_f32_e32 v8, v31, v8
	ds_bpermute_b32 v31, v32, v8
	s_and_saveexec_b32 s20, vcc_lo
	s_cbranch_execz .LBB380_11
; %bb.377:                              ;   in Loop: Header=BB380_13 Depth=1
	s_waitcnt lgkmcnt(0)
	v_add_f32_e32 v8, v8, v31
	v_add_nc_u32_e32 v32, v99, v96
	s_load_b32 s21, s[4:5], 0x0
	s_delay_alu instid0(VALU_DEP_1) | instskip(NEXT) | instid1(VALU_DEP_1)
	v_cvt_f32_i32_e32 v32, v32
	v_mul_f32_e32 v32, v81, v32
	s_delay_alu instid0(VALU_DEP_1) | instskip(NEXT) | instid1(VALU_DEP_1)
	v_cndmask_b32_e64 v31, 0, v32, s1
	v_dual_max_f32 v32, v83, v83 :: v_dual_fmac_f32 v31, v8, v13
	v_add_nc_u32_e32 v8, v85, v96
	s_delay_alu instid0(VALU_DEP_2) | instskip(NEXT) | instid1(VALU_DEP_2)
	v_max_f32_e32 v32, v32, v31
	v_cmp_lt_i32_e64 s2, v8, v64
	s_waitcnt lgkmcnt(0)
	v_add_nc_u32_e32 v8, s21, v98
	s_delay_alu instid0(VALU_DEP_2)
	v_cndmask_b32_e64 v31, 0, v31, s2
	v_cndmask_b32_e64 v83, v83, v32, s2
	ds_store_b32 v8, v31
	s_branch .LBB380_11
.LBB380_378:
	s_or_b32 exec_lo, exec_lo, s19
.LBB380_379:
	s_delay_alu instid0(SALU_CYCLE_1)
	s_or_b32 exec_lo, exec_lo, s13
	v_xor_b32_e32 v8, 16, v82
	v_xor_b32_e32 v9, 8, v82
	s_waitcnt lgkmcnt(0)
	s_lshr_b32 s4, s11, 16
	v_max_f32_e32 v20, v83, v83
	v_and_b32_e32 v25, 31, v39
	v_cmp_gt_i32_e32 vcc_lo, 32, v8
	v_cndmask_b32_e32 v8, v82, v8, vcc_lo
	v_cmp_gt_i32_e32 vcc_lo, 32, v9
	v_cndmask_b32_e32 v9, v82, v9, vcc_lo
	s_delay_alu instid0(VALU_DEP_1) | instskip(NEXT) | instid1(VALU_DEP_4)
	v_lshlrev_b32_e32 v19, 2, v9
	v_lshlrev_b32_e32 v13, 2, v8
	ds_bpermute_b32 v8, v13, v83
	s_waitcnt lgkmcnt(0)
	v_max_f32_e32 v8, v8, v8
	s_delay_alu instid0(VALU_DEP_1)
	v_max_f32_e32 v8, v20, v8
	v_xor_b32_e32 v20, 4, v82
	ds_bpermute_b32 v9, v19, v8
	v_cmp_gt_i32_e32 vcc_lo, 32, v20
	v_cndmask_b32_e32 v20, v82, v20, vcc_lo
	v_cmp_eq_u32_e32 vcc_lo, 0, v25
	s_delay_alu instid0(VALU_DEP_2) | instskip(SKIP_2) | instid1(VALU_DEP_1)
	v_lshlrev_b32_e32 v28, 2, v20
	s_waitcnt lgkmcnt(0)
	v_dual_max_f32 v9, v9, v9 :: v_dual_lshlrev_b32 v20, 2, v67
	v_max_f32_e32 v8, v8, v9
	ds_bpermute_b32 v9, v28, v8
	s_and_saveexec_b32 s1, vcc_lo
	s_cbranch_execz .LBB380_381
; %bb.380:
	s_waitcnt lgkmcnt(0)
	v_dual_max_f32 v9, v9, v9 :: v_dual_max_f32 v8, v8, v8
	s_delay_alu instid0(VALU_DEP_1)
	v_max_f32_e32 v8, v8, v9
	ds_store_b32 v20, v8 offset:240
.LBB380_381:
	s_or_b32 exec_lo, exec_lo, s1
	v_cmp_gt_u32_e64 s1, 4, v25
	v_mov_b32_e32 v8, 0xff7fffff
	v_lshlrev_b32_e32 v24, 2, v25
	s_waitcnt lgkmcnt(0)
	s_barrier
	buffer_gl0_inv
	s_and_saveexec_b32 s2, s1
	s_cbranch_execz .LBB380_383
; %bb.382:
	ds_load_b32 v8, v24 offset:240
.LBB380_383:
	s_or_b32 exec_lo, exec_lo, s2
	v_xor_b32_e32 v9, 2, v82
	v_xor_b32_e32 v31, 1, v82
	v_subrev_nc_u32_e32 v33, s9, v69
	v_mov_b32_e32 v32, 0
	s_delay_alu instid0(VALU_DEP_4) | instskip(NEXT) | instid1(VALU_DEP_1)
	v_cmp_gt_i32_e64 s2, 32, v9
	v_cndmask_b32_e64 v9, v82, v9, s2
	v_cmp_gt_i32_e64 s2, 32, v31
	s_delay_alu instid0(VALU_DEP_2) | instskip(NEXT) | instid1(VALU_DEP_2)
	v_lshlrev_b32_e32 v29, 2, v9
	v_cndmask_b32_e64 v31, v82, v31, s2
	s_waitcnt lgkmcnt(0)
	ds_bpermute_b32 v9, v29, v8
	s_waitcnt lgkmcnt(0)
	v_dual_max_f32 v8, v8, v8 :: v_dual_max_f32 v9, v9, v9
	s_delay_alu instid0(VALU_DEP_1) | instskip(SKIP_3) | instid1(VALU_DEP_1)
	v_dual_max_f32 v8, v8, v9 :: v_dual_lshlrev_b32 v31, 2, v31
	ds_bpermute_b32 v9, v31, v8
	s_waitcnt lgkmcnt(0)
	v_max_f32_e32 v9, v9, v9
	v_max_f32_e32 v8, v8, v9
	v_lshl_add_u32 v9, v33, 3, s18
	ds_bpermute_b32 v8, v32, v8
	v_min_i32_e32 v9, v9, v64
	s_delay_alu instid0(VALU_DEP_1) | instskip(NEXT) | instid1(VALU_DEP_1)
	v_subrev_nc_u32_e32 v9, s18, v9
	v_cmp_lt_i32_e64 s2, v39, v9
	s_delay_alu instid0(VALU_DEP_1)
	s_and_saveexec_b32 s5, s2
	s_cbranch_execz .LBB380_387
; %bb.384:
	s_getpc_b64 s[18:19]
	s_add_u32 s18, s18, llvm.amdgcn.dynlds.offset.table@rel32@lo+4
	s_addc_u32 s19, s19, llvm.amdgcn.dynlds.offset.table@rel32@hi+12
	s_ashr_i32 s7, s6, 31
	v_mov_b32_e32 v32, 0
	s_lshl_b64 s[20:21], s[6:7], 2
	v_mov_b32_e32 v34, v39
	s_add_u32 s18, s20, s18
	s_addc_u32 s19, s21, s19
	s_mov_b32 s7, 0
	s_load_b32 s3, s[18:19], 0x0
	s_waitcnt lgkmcnt(0)
	v_lshl_add_u32 v33, v39, 2, s3
	.p2align	6
.LBB380_385:                            ; =>This Inner Loop Header: Depth=1
	ds_load_b32 v35, v33
	v_add_nc_u32_e32 v34, 0x80, v34
	s_delay_alu instid0(VALU_DEP_1) | instskip(NEXT) | instid1(VALU_DEP_1)
	v_cmp_ge_i32_e64 s3, v34, v9
	s_or_b32 s7, s3, s7
	s_waitcnt lgkmcnt(0)
	v_sub_f32_e32 v35, v35, v8
	s_delay_alu instid0(VALU_DEP_1) | instskip(NEXT) | instid1(VALU_DEP_1)
	v_mul_f32_e32 v35, 0x3fb8aa3b, v35
	v_exp_f32_e32 v35, v35
	ds_store_b32 v33, v35
	v_dual_add_f32 v32, v32, v35 :: v_dual_add_nc_u32 v33, 0x200, v33
	s_and_not1_b32 exec_lo, exec_lo, s7
	s_cbranch_execnz .LBB380_385
; %bb.386:
	s_or_b32 exec_lo, exec_lo, s7
.LBB380_387:
	s_delay_alu instid0(SALU_CYCLE_1)
	s_or_b32 exec_lo, exec_lo, s5
	ds_bpermute_b32 v13, v13, v32
	s_waitcnt lgkmcnt(0)
	v_add_f32_e32 v13, v32, v13
	ds_bpermute_b32 v19, v19, v13
	s_waitcnt lgkmcnt(0)
	v_add_f32_e32 v13, v13, v19
	;; [unrolled: 3-line block ×5, first 2 shown]
	s_and_saveexec_b32 s3, vcc_lo
	s_cbranch_execz .LBB380_389
; %bb.388:
	ds_store_b32 v20, v13 offset:256
.LBB380_389:
	s_or_b32 exec_lo, exec_lo, s3
	s_waitcnt lgkmcnt(0)
	s_barrier
	buffer_gl0_inv
	s_and_saveexec_b32 s3, s1
	s_cbranch_execz .LBB380_391
; %bb.390:
	ds_load_b32 v13, v24 offset:256
.LBB380_391:
	s_or_b32 exec_lo, exec_lo, s3
	s_waitcnt lgkmcnt(0)
	ds_bpermute_b32 v19, v29, v13
	s_waitcnt lgkmcnt(0)
	v_add_f32_e32 v13, v13, v19
	ds_bpermute_b32 v19, v31, v13
	s_waitcnt lgkmcnt(0)
	v_add_f32_e32 v13, v13, v19
	v_mov_b32_e32 v19, 0
	ds_bpermute_b32 v13, v19, v13
	s_and_saveexec_b32 s1, s2
	s_cbranch_execz .LBB380_394
; %bb.392:
	s_waitcnt lgkmcnt(0)
	v_add_f32_e32 v20, 0x358637bd, v13
	s_getpc_b64 s[2:3]
	s_add_u32 s2, s2, llvm.amdgcn.dynlds.offset.table@rel32@lo+4
	s_addc_u32 s3, s3, llvm.amdgcn.dynlds.offset.table@rel32@hi+12
	s_ashr_i32 s7, s6, 31
	s_delay_alu instid0(SALU_CYCLE_1) | instskip(SKIP_3) | instid1(VALU_DEP_2)
	s_lshl_b64 s[18:19], s[6:7], 2
	v_div_scale_f32 v19, null, v20, v20, 1.0
	v_div_scale_f32 v29, vcc_lo, 1.0, v20, 1.0
	s_add_u32 s2, s18, s2
	v_rcp_f32_e32 v24, v19
	s_addc_u32 s3, s19, s3
	s_load_b32 s2, s[2:3], 0x0
	s_waitcnt_depctr 0xfff
	v_fma_f32 v28, -v19, v24, 1.0
	s_delay_alu instid0(VALU_DEP_1) | instskip(NEXT) | instid1(VALU_DEP_1)
	v_fmac_f32_e32 v24, v28, v24
	v_mul_f32_e32 v28, v29, v24
	s_delay_alu instid0(VALU_DEP_1) | instskip(NEXT) | instid1(VALU_DEP_1)
	v_fma_f32 v31, -v19, v28, v29
	v_fmac_f32_e32 v28, v31, v24
	s_delay_alu instid0(VALU_DEP_1) | instskip(NEXT) | instid1(VALU_DEP_1)
	v_fma_f32 v19, -v19, v28, v29
	v_div_fmas_f32 v24, v19, v24, v28
	s_waitcnt lgkmcnt(0)
	v_lshl_add_u32 v19, v39, 2, s2
	s_mov_b32 s2, 0
	s_delay_alu instid0(VALU_DEP_2)
	v_div_fixup_f32 v20, v24, v20, 1.0
	v_mov_b32_e32 v24, v39
.LBB380_393:                            ; =>This Inner Loop Header: Depth=1
	ds_load_b32 v28, v19
	v_add_nc_u32_e32 v24, 0x80, v24
	s_delay_alu instid0(VALU_DEP_1)
	v_cmp_ge_i32_e32 vcc_lo, v24, v9
	s_or_b32 s2, vcc_lo, s2
	s_waitcnt lgkmcnt(0)
	v_mul_f32_e32 v28, v20, v28
	ds_store_b32 v19, v28
	v_add_nc_u32_e32 v19, 0x200, v19
	s_and_not1_b32 exec_lo, exec_lo, s2
	s_cbranch_execnz .LBB380_393
.LBB380_394:
	s_or_b32 exec_lo, exec_lo, s1
	v_cmp_ne_u16_e64 s1, s4, 0
	s_mov_b32 s4, 0
	s_waitcnt lgkmcnt(0)
	s_barrier
	buffer_gl0_inv
	s_cmp_lg_u32 s1, 0
	s_addc_u32 s11, s8, 0
	s_delay_alu instid0(SALU_CYCLE_1) | instskip(NEXT) | instid1(SALU_CYCLE_1)
	s_mul_i32 s1, s11, s16
	s_mul_i32 s2, s1, s15
	s_mov_b32 s1, exec_lo
	v_cmpx_eq_u32_e32 0, v39
	s_cbranch_execz .LBB380_396
; %bb.395:
	s_mul_i32 s8, s11, s12
	s_ashr_i32 s15, s14, 31
	s_ashr_i32 s9, s8, 31
	s_ashr_i32 s3, s2, 31
	s_lshl_b64 s[8:9], s[8:9], 2
	s_lshl_b64 s[12:13], s[14:15], 2
	;; [unrolled: 1-line block ×3, first 2 shown]
	s_add_u32 s3, s12, s8
	s_addc_u32 s5, s13, s9
	s_add_u32 s3, s3, s18
	s_addc_u32 s5, s5, s19
	v_add_co_u32 v2, vcc_lo, s3, v2
	v_add_co_ci_u32_e32 v3, vcc_lo, s5, v3, vcc_lo
	v_add_co_u32 v0, vcc_lo, s3, v0
	v_add_co_ci_u32_e32 v1, vcc_lo, s5, v1, vcc_lo
	flat_store_b32 v[2:3], v8
	flat_store_b32 v[0:1], v13
.LBB380_396:
	s_or_b32 exec_lo, exec_lo, s1
	s_getpc_b64 s[8:9]
	s_add_u32 s8, s8, llvm.amdgcn.dynlds.offset.table@rel32@lo+4
	s_addc_u32 s9, s9, llvm.amdgcn.dynlds.offset.table@rel32@hi+12
	s_ashr_i32 s7, s6, 31
	s_mov_b32 s5, s4
	s_lshl_b64 s[6:7], s[6:7], 2
	s_delay_alu instid0(SALU_CYCLE_1)
	s_add_u32 s8, s6, s8
	s_addc_u32 s9, s7, s9
	s_mov_b32 s6, s4
	s_load_b32 s1, s[8:9], 0x0
	s_mov_b32 s7, s4
	v_dual_mov_b32 v0, s4 :: v_dual_mov_b32 v1, s5
	v_dual_mov_b32 v2, s6 :: v_dual_mov_b32 v3, s7
	s_waitcnt lgkmcnt(0)
	v_mov_b32_e32 v8, s1
	s_and_saveexec_b32 s3, s0
	s_cbranch_execz .LBB380_956
; %bb.397:
	v_max_i32_e32 v28, v30, v71
	s_mov_b32 s5, s4
	s_mov_b32 s6, s4
	;; [unrolled: 1-line block ×3, first 2 shown]
	v_or_b32_e32 v8, 0x60, v25
	v_cvt_f32_u32_e32 v0, v28
	v_sub_nc_u32_e32 v1, 0, v28
	v_add_co_u32 v19, vcc_lo, v10, v23
	v_add_co_ci_u32_e32 v20, vcc_lo, v11, v80, vcc_lo
	s_delay_alu instid0(VALU_DEP_4)
	v_rcp_iflag_f32_e32 v0, v0
	v_lshlrev_b32_e32 v31, 3, v8
	v_dual_mov_b32 v24, 0 :: v_dual_add_nc_u32 v29, -1, v12
	v_lshlrev_b32_e32 v30, 3, v25
	v_cmp_gt_u32_e32 vcc_lo, 0x78, v8
	s_mov_b32 s12, -1
	s_mov_b32 s13, 0xffffff
	s_waitcnt_depctr 0xfff
	v_mul_f32_e32 v0, 0x4f7ffffe, v0
	s_delay_alu instid0(VALU_DEP_1) | instskip(NEXT) | instid1(VALU_DEP_1)
	v_cvt_u32_f32_e32 v2, v0
	v_mul_lo_u32 v3, v1, v2
	v_lshlrev_b64 v[0:1], 2, v[17:18]
	v_lshl_add_u32 v18, v67, 5, s1
	s_delay_alu instid0(VALU_DEP_2) | instskip(NEXT) | instid1(VALU_DEP_4)
	v_add_co_u32 v0, s0, v6, v0
	v_mul_hi_u32 v3, v2, v3
	s_delay_alu instid0(VALU_DEP_4) | instskip(NEXT) | instid1(VALU_DEP_3)
	v_add_co_ci_u32_e64 v1, s0, v7, v1, s0
	v_add_co_u32 v14, s0, v14, v0
	s_delay_alu instid0(VALU_DEP_1) | instskip(NEXT) | instid1(VALU_DEP_4)
	v_add_co_ci_u32_e64 v15, s0, v15, v1, s0
	v_add_nc_u32_e32 v32, v2, v3
	v_dual_mov_b32 v0, s4 :: v_dual_mov_b32 v1, s5
	v_dual_mov_b32 v2, s6 :: v_dual_mov_b32 v3, s7
	s_branch .LBB380_401
.LBB380_398:                            ;   in Loop: Header=BB380_401 Depth=1
	s_or_b32 exec_lo, exec_lo, s1
	v_and_b32_e32 v10, 0xffff0000, v10
	v_and_b32_e32 v8, 0xffff0000, v8
	v_and_b32_e32 v11, 0xffff0000, v11
	v_and_b32_e32 v9, 0xffff0000, v9
	v_and_b32_e32 v6, 0xffff0000, v6
	s_delay_alu instid0(VALU_DEP_4) | instskip(NEXT) | instid1(VALU_DEP_1)
	v_dual_add_f32 v8, v8, v10 :: v_dual_and_b32 v13, 0xffff0000, v13
	v_dual_add_f32 v9, v13, v9 :: v_dual_and_b32 v12, 0xffff0000, v12
	s_delay_alu instid0(VALU_DEP_1) | instskip(NEXT) | instid1(VALU_DEP_1)
	v_add_f32_e32 v10, v11, v12
	v_dual_add_f32 v8, v8, v10 :: v_dual_and_b32 v7, 0xffff0000, v7
	s_delay_alu instid0(VALU_DEP_1) | instskip(NEXT) | instid1(VALU_DEP_2)
	v_add_f32_e32 v8, v8, v9
	v_add_f32_e32 v6, v7, v6
	s_delay_alu instid0(VALU_DEP_1) | instskip(NEXT) | instid1(VALU_DEP_1)
	v_add_f32_e32 v6, v8, v6
	v_add_f32_e32 v3, v3, v6
.LBB380_399:                            ;   in Loop: Header=BB380_401 Depth=1
	s_or_b32 exec_lo, exec_lo, s6
.LBB380_400:                            ;   in Loop: Header=BB380_401 Depth=1
	s_delay_alu instid0(SALU_CYCLE_1) | instskip(SKIP_2) | instid1(VALU_DEP_1)
	s_or_b32 exec_lo, exec_lo, s5
	v_add_nc_u32_e32 v17, 4, v17
	v_add_co_u32 v14, s1, v14, 16
	v_add_co_ci_u32_e64 v15, s1, 0, v15, s1
	s_delay_alu instid0(VALU_DEP_3) | instskip(SKIP_2) | instid1(VALU_DEP_3)
	v_cmp_ge_i32_e64 s0, v17, v69
	v_add_nc_u32_e32 v68, 32, v68
	v_add_nc_u32_e32 v18, 0x80, v18
	s_or_b32 s4, s0, s4
	s_delay_alu instid0(SALU_CYCLE_1)
	s_and_not1_b32 exec_lo, exec_lo, s4
	s_cbranch_execz .LBB380_955
.LBB380_401:                            ; =>This Inner Loop Header: Depth=1
	v_sub_nc_u32_e32 v6, 0, v68
	s_delay_alu instid0(VALU_DEP_1) | instskip(NEXT) | instid1(VALU_DEP_1)
	v_max_i32_e32 v6, v68, v6
	v_mul_hi_u32 v7, v6, v65
	s_delay_alu instid0(VALU_DEP_1) | instskip(NEXT) | instid1(VALU_DEP_1)
	v_mul_lo_u32 v8, v7, v21
	v_sub_nc_u32_e32 v6, v6, v8
	v_add_nc_u32_e32 v8, 1, v7
	s_delay_alu instid0(VALU_DEP_2) | instskip(SKIP_1) | instid1(VALU_DEP_1)
	v_sub_nc_u32_e32 v9, v6, v21
	v_cmp_ge_u32_e64 s0, v6, v21
	v_cndmask_b32_e64 v7, v7, v8, s0
	s_delay_alu instid0(VALU_DEP_3) | instskip(SKIP_1) | instid1(VALU_DEP_3)
	v_cndmask_b32_e64 v6, v6, v9, s0
	v_ashrrev_i32_e32 v8, 31, v68
	v_add_nc_u32_e32 v9, 1, v7
	s_delay_alu instid0(VALU_DEP_3) | instskip(NEXT) | instid1(VALU_DEP_3)
	v_cmp_ge_u32_e64 s0, v6, v21
	v_xor_b32_e32 v8, v8, v66
	s_delay_alu instid0(VALU_DEP_2) | instskip(NEXT) | instid1(VALU_DEP_1)
	v_cndmask_b32_e64 v6, v7, v9, s0
	v_xor_b32_e32 v6, v6, v8
	s_delay_alu instid0(VALU_DEP_1) | instskip(NEXT) | instid1(VALU_DEP_1)
	v_sub_nc_u32_e32 v6, v6, v8
	v_add_nc_u32_e32 v7, v6, v16
	v_cmp_gt_i32_e64 s1, v6, v70
	s_delay_alu instid0(VALU_DEP_2) | instskip(NEXT) | instid1(VALU_DEP_1)
	v_sub_nc_u32_e32 v8, 0, v7
	v_max_i32_e32 v8, v7, v8
	v_ashrrev_i32_e32 v7, 31, v7
	s_delay_alu instid0(VALU_DEP_2) | instskip(NEXT) | instid1(VALU_DEP_1)
	v_mul_hi_u32 v9, v8, v32
	v_mul_lo_u32 v9, v9, v28
	s_delay_alu instid0(VALU_DEP_1) | instskip(NEXT) | instid1(VALU_DEP_1)
	v_sub_nc_u32_e32 v8, v8, v9
	v_sub_nc_u32_e32 v9, v8, v28
	v_cmp_ge_u32_e64 s0, v8, v28
	s_delay_alu instid0(VALU_DEP_1) | instskip(NEXT) | instid1(VALU_DEP_1)
	v_cndmask_b32_e64 v8, v8, v9, s0
	v_sub_nc_u32_e32 v9, v8, v28
	v_cmp_ge_u32_e64 s0, v8, v28
	s_delay_alu instid0(VALU_DEP_1) | instskip(NEXT) | instid1(VALU_DEP_1)
	v_cndmask_b32_e64 v8, v8, v9, s0
	v_xor_b32_e32 v8, v8, v7
	s_delay_alu instid0(VALU_DEP_1) | instskip(NEXT) | instid1(VALU_DEP_1)
	v_sub_nc_u32_e32 v7, v8, v7
	v_cmp_eq_u32_e64 s0, 0, v7
	s_delay_alu instid0(VALU_DEP_1) | instskip(NEXT) | instid1(SALU_CYCLE_1)
	s_or_b32 s0, s0, s1
	s_and_saveexec_b32 s5, s0
	s_cbranch_execz .LBB380_400
; %bb.402:                              ;   in Loop: Header=BB380_401 Depth=1
	flat_load_b32 v23, v[14:15]
	ds_load_2addr_b64 v[10:13], v18 offset1:1
	ds_load_2addr_b64 v[6:9], v18 offset0:2 offset1:3
	s_waitcnt lgkmcnt(1)
	v_and_b32_e32 v33, 0x7f800000, v10
	s_delay_alu instid0(VALU_DEP_1) | instskip(NEXT) | instid1(VALU_DEP_1)
	v_cmp_ne_u32_e64 s0, 0x7f800000, v33
                                        ; implicit-def: $vgpr33
	s_and_saveexec_b32 s1, s0
	s_delay_alu instid0(SALU_CYCLE_1)
	s_xor_b32 s0, exec_lo, s1
; %bb.403:                              ;   in Loop: Header=BB380_401 Depth=1
	v_bfe_u32 v33, v10, 16, 1
	s_delay_alu instid0(VALU_DEP_1)
	v_add3_u32 v33, v10, v33, 0x7fff
; %bb.404:                              ;   in Loop: Header=BB380_401 Depth=1
	s_and_not1_saveexec_b32 s1, s0
; %bb.405:                              ;   in Loop: Header=BB380_401 Depth=1
	v_and_b32_e32 v33, 0xffff, v10
	v_or_b32_e32 v34, 0x10000, v10
	s_delay_alu instid0(VALU_DEP_2) | instskip(NEXT) | instid1(VALU_DEP_1)
	v_cmp_eq_u32_e64 s0, 0, v33
	v_cndmask_b32_e64 v33, v34, v10, s0
; %bb.406:                              ;   in Loop: Header=BB380_401 Depth=1
	s_or_b32 exec_lo, exec_lo, s1
	v_and_b32_e32 v10, 0x7f800000, v11
                                        ; implicit-def: $vgpr34
	s_delay_alu instid0(VALU_DEP_1) | instskip(NEXT) | instid1(VALU_DEP_1)
	v_cmp_ne_u32_e64 s0, 0x7f800000, v10
	s_and_saveexec_b32 s1, s0
	s_delay_alu instid0(SALU_CYCLE_1)
	s_xor_b32 s0, exec_lo, s1
; %bb.407:                              ;   in Loop: Header=BB380_401 Depth=1
	v_bfe_u32 v10, v11, 16, 1
	s_delay_alu instid0(VALU_DEP_1)
	v_add3_u32 v34, v11, v10, 0x7fff
; %bb.408:                              ;   in Loop: Header=BB380_401 Depth=1
	s_and_not1_saveexec_b32 s1, s0
; %bb.409:                              ;   in Loop: Header=BB380_401 Depth=1
	v_and_b32_e32 v10, 0xffff, v11
	v_or_b32_e32 v34, 0x10000, v11
	s_delay_alu instid0(VALU_DEP_2) | instskip(NEXT) | instid1(VALU_DEP_1)
	v_cmp_eq_u32_e64 s0, 0, v10
	v_cndmask_b32_e64 v34, v34, v11, s0
; %bb.410:                              ;   in Loop: Header=BB380_401 Depth=1
	s_or_b32 exec_lo, exec_lo, s1
	v_and_b32_e32 v10, 0x7f800000, v12
                                        ; implicit-def: $vgpr35
	s_delay_alu instid0(VALU_DEP_1) | instskip(NEXT) | instid1(VALU_DEP_1)
	v_cmp_ne_u32_e64 s0, 0x7f800000, v10
	s_and_saveexec_b32 s1, s0
	s_delay_alu instid0(SALU_CYCLE_1)
	s_xor_b32 s0, exec_lo, s1
; %bb.411:                              ;   in Loop: Header=BB380_401 Depth=1
	v_bfe_u32 v10, v12, 16, 1
	s_delay_alu instid0(VALU_DEP_1)
	v_add3_u32 v35, v12, v10, 0x7fff
; %bb.412:                              ;   in Loop: Header=BB380_401 Depth=1
	s_and_not1_saveexec_b32 s1, s0
; %bb.413:                              ;   in Loop: Header=BB380_401 Depth=1
	v_and_b32_e32 v10, 0xffff, v12
	v_or_b32_e32 v11, 0x10000, v12
	s_delay_alu instid0(VALU_DEP_2) | instskip(NEXT) | instid1(VALU_DEP_1)
	v_cmp_eq_u32_e64 s0, 0, v10
	v_cndmask_b32_e64 v35, v11, v12, s0
; %bb.414:                              ;   in Loop: Header=BB380_401 Depth=1
	s_or_b32 exec_lo, exec_lo, s1
	v_and_b32_e32 v10, 0x7f800000, v13
                                        ; implicit-def: $vgpr36
	s_delay_alu instid0(VALU_DEP_1) | instskip(NEXT) | instid1(VALU_DEP_1)
	v_cmp_ne_u32_e64 s0, 0x7f800000, v10
	s_and_saveexec_b32 s1, s0
	s_delay_alu instid0(SALU_CYCLE_1)
	s_xor_b32 s0, exec_lo, s1
; %bb.415:                              ;   in Loop: Header=BB380_401 Depth=1
	v_bfe_u32 v10, v13, 16, 1
	s_delay_alu instid0(VALU_DEP_1)
	v_add3_u32 v36, v13, v10, 0x7fff
                                        ; implicit-def: $vgpr10_vgpr11_vgpr12_vgpr13
; %bb.416:                              ;   in Loop: Header=BB380_401 Depth=1
	s_and_not1_saveexec_b32 s1, s0
; %bb.417:                              ;   in Loop: Header=BB380_401 Depth=1
	v_and_b32_e32 v10, 0xffff, v13
	v_or_b32_e32 v11, 0x10000, v13
	s_delay_alu instid0(VALU_DEP_2) | instskip(NEXT) | instid1(VALU_DEP_1)
	v_cmp_eq_u32_e64 s0, 0, v10
	v_cndmask_b32_e64 v36, v11, v13, s0
; %bb.418:                              ;   in Loop: Header=BB380_401 Depth=1
	s_or_b32 exec_lo, exec_lo, s1
	s_waitcnt lgkmcnt(0)
	v_and_b32_e32 v10, 0x7f800000, v6
                                        ; implicit-def: $vgpr37
	s_delay_alu instid0(VALU_DEP_1) | instskip(NEXT) | instid1(VALU_DEP_1)
	v_cmp_ne_u32_e64 s0, 0x7f800000, v10
	s_and_saveexec_b32 s1, s0
	s_delay_alu instid0(SALU_CYCLE_1)
	s_xor_b32 s0, exec_lo, s1
; %bb.419:                              ;   in Loop: Header=BB380_401 Depth=1
	v_bfe_u32 v10, v6, 16, 1
	s_delay_alu instid0(VALU_DEP_1)
	v_add3_u32 v37, v6, v10, 0x7fff
; %bb.420:                              ;   in Loop: Header=BB380_401 Depth=1
	s_and_not1_saveexec_b32 s1, s0
; %bb.421:                              ;   in Loop: Header=BB380_401 Depth=1
	v_and_b32_e32 v10, 0xffff, v6
	v_or_b32_e32 v11, 0x10000, v6
	s_delay_alu instid0(VALU_DEP_2) | instskip(NEXT) | instid1(VALU_DEP_1)
	v_cmp_eq_u32_e64 s0, 0, v10
	v_cndmask_b32_e64 v37, v11, v6, s0
; %bb.422:                              ;   in Loop: Header=BB380_401 Depth=1
	s_or_b32 exec_lo, exec_lo, s1
	v_and_b32_e32 v6, 0x7f800000, v7
                                        ; implicit-def: $vgpr38
	s_delay_alu instid0(VALU_DEP_1) | instskip(NEXT) | instid1(VALU_DEP_1)
	v_cmp_ne_u32_e64 s0, 0x7f800000, v6
	s_and_saveexec_b32 s1, s0
	s_delay_alu instid0(SALU_CYCLE_1)
	s_xor_b32 s0, exec_lo, s1
; %bb.423:                              ;   in Loop: Header=BB380_401 Depth=1
	v_bfe_u32 v6, v7, 16, 1
	s_delay_alu instid0(VALU_DEP_1)
	v_add3_u32 v38, v7, v6, 0x7fff
; %bb.424:                              ;   in Loop: Header=BB380_401 Depth=1
	s_and_not1_saveexec_b32 s1, s0
; %bb.425:                              ;   in Loop: Header=BB380_401 Depth=1
	v_and_b32_e32 v6, 0xffff, v7
	v_or_b32_e32 v10, 0x10000, v7
	s_delay_alu instid0(VALU_DEP_2) | instskip(NEXT) | instid1(VALU_DEP_1)
	v_cmp_eq_u32_e64 s0, 0, v6
	v_cndmask_b32_e64 v38, v10, v7, s0
; %bb.426:                              ;   in Loop: Header=BB380_401 Depth=1
	s_or_b32 exec_lo, exec_lo, s1
	v_and_b32_e32 v6, 0x7f800000, v8
                                        ; implicit-def: $vgpr48
	s_delay_alu instid0(VALU_DEP_1) | instskip(NEXT) | instid1(VALU_DEP_1)
	v_cmp_ne_u32_e64 s0, 0x7f800000, v6
	s_and_saveexec_b32 s1, s0
	s_delay_alu instid0(SALU_CYCLE_1)
	s_xor_b32 s0, exec_lo, s1
; %bb.427:                              ;   in Loop: Header=BB380_401 Depth=1
	v_bfe_u32 v6, v8, 16, 1
	s_delay_alu instid0(VALU_DEP_1)
	v_add3_u32 v48, v8, v6, 0x7fff
; %bb.428:                              ;   in Loop: Header=BB380_401 Depth=1
	s_and_not1_saveexec_b32 s1, s0
; %bb.429:                              ;   in Loop: Header=BB380_401 Depth=1
	v_and_b32_e32 v6, 0xffff, v8
	v_or_b32_e32 v7, 0x10000, v8
	s_delay_alu instid0(VALU_DEP_2) | instskip(NEXT) | instid1(VALU_DEP_1)
	v_cmp_eq_u32_e64 s0, 0, v6
	v_cndmask_b32_e64 v48, v7, v8, s0
; %bb.430:                              ;   in Loop: Header=BB380_401 Depth=1
	s_or_b32 exec_lo, exec_lo, s1
	v_and_b32_e32 v6, 0x7f800000, v9
                                        ; implicit-def: $vgpr49
	s_delay_alu instid0(VALU_DEP_1) | instskip(NEXT) | instid1(VALU_DEP_1)
	v_cmp_ne_u32_e64 s0, 0x7f800000, v6
	s_and_saveexec_b32 s1, s0
	s_delay_alu instid0(SALU_CYCLE_1)
	s_xor_b32 s0, exec_lo, s1
; %bb.431:                              ;   in Loop: Header=BB380_401 Depth=1
	v_bfe_u32 v6, v9, 16, 1
	s_delay_alu instid0(VALU_DEP_1)
	v_add3_u32 v49, v9, v6, 0x7fff
                                        ; implicit-def: $vgpr6_vgpr7_vgpr8_vgpr9
; %bb.432:                              ;   in Loop: Header=BB380_401 Depth=1
	s_and_not1_saveexec_b32 s1, s0
; %bb.433:                              ;   in Loop: Header=BB380_401 Depth=1
	v_and_b32_e32 v6, 0xffff, v9
	v_or_b32_e32 v7, 0x10000, v9
	s_delay_alu instid0(VALU_DEP_2) | instskip(NEXT) | instid1(VALU_DEP_1)
	v_cmp_eq_u32_e64 s0, 0, v6
	v_cndmask_b32_e64 v49, v7, v9, s0
; %bb.434:                              ;   in Loop: Header=BB380_401 Depth=1
	s_or_b32 exec_lo, exec_lo, s1
	s_waitcnt vmcnt(0)
	v_mad_i64_i32 v[6:7], null, v23, v22, v[19:20]
	s_mov_b32 s1, exec_lo
	v_mov_b32_e32 v12, 0
	s_delay_alu instid0(VALU_DEP_2) | instskip(NEXT) | instid1(VALU_DEP_1)
	v_add_co_u32 v8, s0, v6, v30
	v_add_co_ci_u32_e64 v9, s0, 0, v7, s0
	flat_load_b64 v[10:11], v[8:9]
	flat_load_b32 v50, v[26:27]
	s_waitcnt vmcnt(1) lgkmcnt(1)
	v_and_b32_e32 v13, 0xff, v10
	s_delay_alu instid0(VALU_DEP_1)
	v_cmpx_ne_u16_e32 0, v13
	s_cbranch_execz .LBB380_442
; %bb.435:                              ;   in Loop: Header=BB380_401 Depth=1
	v_bfrev_b32_e32 v12, 1
	s_mov_b32 s6, exec_lo
	v_cmpx_ne_u16_e32 0x80, v13
	s_cbranch_execz .LBB380_441
; %bb.436:                              ;   in Loop: Header=BB380_401 Depth=1
	v_and_b32_e32 v13, 0x7f, v10
	v_mov_b32_e32 v12, 0x7f800001
	s_mov_b32 s7, exec_lo
	s_delay_alu instid0(VALU_DEP_2)
	v_cmpx_ne_u32_e32 0x7f, v13
	s_cbranch_execz .LBB380_440
; %bb.437:                              ;   in Loop: Header=BB380_401 Depth=1
	v_lshrrev_b32_e32 v23, 3, v13
	v_cmp_gt_u32_e64 s0, 8, v13
	v_dual_mov_b32 v13, v11 :: v_dual_mov_b32 v12, v10
	s_delay_alu instid0(VALU_DEP_2)
	s_and_saveexec_b32 s15, s0
; %bb.438:                              ;   in Loop: Header=BB380_401 Depth=1
	v_and_b32_e32 v12, 7, v10
	s_delay_alu instid0(VALU_DEP_1) | instskip(NEXT) | instid1(VALU_DEP_1)
	v_clz_i32_u32_e32 v12, v12
	v_min_u32_e32 v23, 32, v12
	s_delay_alu instid0(VALU_DEP_1) | instskip(SKIP_1) | instid1(VALU_DEP_2)
	v_subrev_nc_u32_e32 v12, 28, v23
	v_sub_nc_u32_e32 v23, 29, v23
	v_lshlrev_b64 v[12:13], v12, v[10:11]
; %bb.439:                              ;   in Loop: Header=BB380_401 Depth=1
	s_or_b32 exec_lo, exec_lo, s15
	s_delay_alu instid0(VALU_DEP_1) | instskip(SKIP_2) | instid1(VALU_DEP_3)
	v_lshlrev_b32_e32 v12, 20, v12
	v_lshlrev_b32_e32 v13, 24, v10
	v_lshl_add_u32 v23, v23, 23, 0x3c000000
	v_and_b32_e32 v12, 0x700000, v12
	s_delay_alu instid0(VALU_DEP_3) | instskip(NEXT) | instid1(VALU_DEP_1)
	v_and_b32_e32 v13, 0x80000000, v13
	v_or3_b32 v12, v12, v13, v23
.LBB380_440:                            ;   in Loop: Header=BB380_401 Depth=1
	s_or_b32 exec_lo, exec_lo, s7
.LBB380_441:                            ;   in Loop: Header=BB380_401 Depth=1
	s_delay_alu instid0(SALU_CYCLE_1)
	s_or_b32 exec_lo, exec_lo, s6
.LBB380_442:                            ;   in Loop: Header=BB380_401 Depth=1
	s_delay_alu instid0(SALU_CYCLE_1) | instskip(SKIP_2) | instid1(VALU_DEP_1)
	s_or_b32 exec_lo, exec_lo, s1
	s_waitcnt vmcnt(0) lgkmcnt(0)
	v_mul_f32_e32 v12, v50, v12
                                        ; implicit-def: $vgpr51
	v_and_b32_e32 v13, 0x7f800000, v12
	s_delay_alu instid0(VALU_DEP_1) | instskip(NEXT) | instid1(VALU_DEP_1)
	v_cmp_ne_u32_e64 s0, 0x7f800000, v13
	s_and_saveexec_b32 s1, s0
	s_delay_alu instid0(SALU_CYCLE_1)
	s_xor_b32 s0, exec_lo, s1
; %bb.443:                              ;   in Loop: Header=BB380_401 Depth=1
	v_bfe_u32 v13, v12, 16, 1
	s_delay_alu instid0(VALU_DEP_1)
	v_add3_u32 v51, v12, v13, 0x7fff
                                        ; implicit-def: $vgpr12
; %bb.444:                              ;   in Loop: Header=BB380_401 Depth=1
	s_and_not1_saveexec_b32 s1, s0
; %bb.445:                              ;   in Loop: Header=BB380_401 Depth=1
	v_and_b32_e32 v13, 0xffff, v12
	v_or_b32_e32 v23, 0x10000, v12
	s_delay_alu instid0(VALU_DEP_2) | instskip(NEXT) | instid1(VALU_DEP_1)
	v_cmp_eq_u32_e64 s0, 0, v13
	v_cndmask_b32_e64 v51, v23, v12, s0
; %bb.446:                              ;   in Loop: Header=BB380_401 Depth=1
	s_or_b32 exec_lo, exec_lo, s1
	v_lshrrev_b16 v13, 8, v10
	v_mov_b32_e32 v12, 0
	s_mov_b32 s1, exec_lo
	s_delay_alu instid0(VALU_DEP_2)
	v_cmpx_ne_u16_e32 0, v13
	s_cbranch_execz .LBB380_454
; %bb.447:                              ;   in Loop: Header=BB380_401 Depth=1
	v_bfrev_b32_e32 v12, 1
	s_mov_b32 s6, exec_lo
	v_cmpx_ne_u16_e32 0x80, v13
	s_cbranch_execz .LBB380_453
; %bb.448:                              ;   in Loop: Header=BB380_401 Depth=1
	v_and_b32_e32 v23, 0xffff, v13
	v_mov_b32_e32 v12, 0x7f800001
	s_mov_b32 s7, exec_lo
	s_delay_alu instid0(VALU_DEP_2) | instskip(NEXT) | instid1(VALU_DEP_1)
	v_and_b32_e32 v13, 0x7f, v23
	v_cmpx_ne_u32_e32 0x7f, v13
	s_cbranch_execz .LBB380_452
; %bb.449:                              ;   in Loop: Header=BB380_401 Depth=1
	v_and_b32_e32 v23, 7, v23
	v_lshrrev_b32_e32 v12, 3, v13
	s_mov_b32 s15, exec_lo
	v_cmpx_gt_u32_e32 8, v13
; %bb.450:                              ;   in Loop: Header=BB380_401 Depth=1
	s_delay_alu instid0(VALU_DEP_3) | instskip(NEXT) | instid1(VALU_DEP_1)
	v_clz_i32_u32_e32 v12, v23
	v_min_u32_e32 v12, 32, v12
	s_delay_alu instid0(VALU_DEP_1) | instskip(SKIP_1) | instid1(VALU_DEP_2)
	v_subrev_nc_u32_e32 v13, 28, v12
	v_sub_nc_u32_e32 v12, 29, v12
	v_lshlrev_b64 v[52:53], v13, v[23:24]
	s_delay_alu instid0(VALU_DEP_1)
	v_and_b32_e32 v23, 7, v52
; %bb.451:                              ;   in Loop: Header=BB380_401 Depth=1
	s_or_b32 exec_lo, exec_lo, s15
	v_lshlrev_b32_e32 v13, 16, v10
	s_delay_alu instid0(VALU_DEP_2) | instskip(SKIP_1) | instid1(VALU_DEP_3)
	v_lshlrev_b32_e32 v23, 20, v23
	v_lshl_add_u32 v12, v12, 23, 0x3c000000
	v_and_b32_e32 v13, 0x80000000, v13
	s_delay_alu instid0(VALU_DEP_1)
	v_or3_b32 v12, v23, v13, v12
.LBB380_452:                            ;   in Loop: Header=BB380_401 Depth=1
	s_or_b32 exec_lo, exec_lo, s7
.LBB380_453:                            ;   in Loop: Header=BB380_401 Depth=1
	s_delay_alu instid0(SALU_CYCLE_1)
	s_or_b32 exec_lo, exec_lo, s6
.LBB380_454:                            ;   in Loop: Header=BB380_401 Depth=1
	s_delay_alu instid0(SALU_CYCLE_1) | instskip(NEXT) | instid1(VALU_DEP_1)
	s_or_b32 exec_lo, exec_lo, s1
	v_mul_f32_e32 v12, v50, v12
                                        ; implicit-def: $vgpr52
	s_delay_alu instid0(VALU_DEP_1) | instskip(NEXT) | instid1(VALU_DEP_1)
	v_and_b32_e32 v13, 0x7f800000, v12
	v_cmp_ne_u32_e64 s0, 0x7f800000, v13
	s_delay_alu instid0(VALU_DEP_1) | instskip(NEXT) | instid1(SALU_CYCLE_1)
	s_and_saveexec_b32 s1, s0
	s_xor_b32 s0, exec_lo, s1
; %bb.455:                              ;   in Loop: Header=BB380_401 Depth=1
	v_bfe_u32 v13, v12, 16, 1
	s_delay_alu instid0(VALU_DEP_1)
	v_add3_u32 v52, v12, v13, 0x7fff
                                        ; implicit-def: $vgpr12
; %bb.456:                              ;   in Loop: Header=BB380_401 Depth=1
	s_and_not1_saveexec_b32 s1, s0
; %bb.457:                              ;   in Loop: Header=BB380_401 Depth=1
	v_and_b32_e32 v13, 0xffff, v12
	v_or_b32_e32 v23, 0x10000, v12
	s_delay_alu instid0(VALU_DEP_2) | instskip(NEXT) | instid1(VALU_DEP_1)
	v_cmp_eq_u32_e64 s0, 0, v13
	v_cndmask_b32_e64 v52, v23, v12, s0
; %bb.458:                              ;   in Loop: Header=BB380_401 Depth=1
	s_or_b32 exec_lo, exec_lo, s1
	v_lshrrev_b32_e32 v12, 16, v10
	v_mov_b32_e32 v13, 0
	s_mov_b32 s1, exec_lo
	s_delay_alu instid0(VALU_DEP_2) | instskip(NEXT) | instid1(VALU_DEP_1)
	v_and_b32_e32 v23, 0xff, v12
	v_cmpx_ne_u16_e32 0, v23
	s_cbranch_execz .LBB380_466
; %bb.459:                              ;   in Loop: Header=BB380_401 Depth=1
	v_bfrev_b32_e32 v13, 1
	s_mov_b32 s6, exec_lo
	v_cmpx_ne_u16_e32 0x80, v23
	s_cbranch_execz .LBB380_465
; %bb.460:                              ;   in Loop: Header=BB380_401 Depth=1
	v_bfe_u32 v53, v10, 16, 7
	v_mov_b32_e32 v13, 0x7f800001
	s_mov_b32 s7, exec_lo
	s_delay_alu instid0(VALU_DEP_2)
	v_cmpx_ne_u32_e32 0x7f, v53
	s_cbranch_execz .LBB380_464
; %bb.461:                              ;   in Loop: Header=BB380_401 Depth=1
	v_and_b32_e32 v23, 7, v12
	v_lshrrev_b32_e32 v13, 3, v53
	s_mov_b32 s15, exec_lo
	v_cmpx_gt_u32_e32 8, v53
; %bb.462:                              ;   in Loop: Header=BB380_401 Depth=1
	s_delay_alu instid0(VALU_DEP_3) | instskip(NEXT) | instid1(VALU_DEP_1)
	v_clz_i32_u32_e32 v13, v23
	v_min_u32_e32 v13, 32, v13
	s_delay_alu instid0(VALU_DEP_1) | instskip(SKIP_1) | instid1(VALU_DEP_2)
	v_subrev_nc_u32_e32 v53, 28, v13
	v_sub_nc_u32_e32 v13, 29, v13
	v_lshlrev_b64 v[53:54], v53, v[23:24]
	s_delay_alu instid0(VALU_DEP_1)
	v_and_b32_e32 v23, 7, v53
; %bb.463:                              ;   in Loop: Header=BB380_401 Depth=1
	s_or_b32 exec_lo, exec_lo, s15
	v_lshlrev_b32_e32 v12, 24, v12
	s_delay_alu instid0(VALU_DEP_2) | instskip(SKIP_1) | instid1(VALU_DEP_3)
	v_lshlrev_b32_e32 v23, 20, v23
	v_lshl_add_u32 v13, v13, 23, 0x3c000000
	v_and_b32_e32 v12, 0x80000000, v12
	s_delay_alu instid0(VALU_DEP_1)
	v_or3_b32 v13, v23, v12, v13
.LBB380_464:                            ;   in Loop: Header=BB380_401 Depth=1
	s_or_b32 exec_lo, exec_lo, s7
.LBB380_465:                            ;   in Loop: Header=BB380_401 Depth=1
	s_delay_alu instid0(SALU_CYCLE_1)
	s_or_b32 exec_lo, exec_lo, s6
.LBB380_466:                            ;   in Loop: Header=BB380_401 Depth=1
	s_delay_alu instid0(SALU_CYCLE_1) | instskip(NEXT) | instid1(VALU_DEP_1)
	s_or_b32 exec_lo, exec_lo, s1
	v_mul_f32_e32 v12, v50, v13
                                        ; implicit-def: $vgpr53
	s_delay_alu instid0(VALU_DEP_1) | instskip(NEXT) | instid1(VALU_DEP_1)
	v_and_b32_e32 v13, 0x7f800000, v12
	v_cmp_ne_u32_e64 s0, 0x7f800000, v13
	s_delay_alu instid0(VALU_DEP_1) | instskip(NEXT) | instid1(SALU_CYCLE_1)
	s_and_saveexec_b32 s1, s0
	s_xor_b32 s0, exec_lo, s1
; %bb.467:                              ;   in Loop: Header=BB380_401 Depth=1
	v_bfe_u32 v13, v12, 16, 1
	s_delay_alu instid0(VALU_DEP_1)
	v_add3_u32 v53, v12, v13, 0x7fff
                                        ; implicit-def: $vgpr12
; %bb.468:                              ;   in Loop: Header=BB380_401 Depth=1
	s_and_not1_saveexec_b32 s1, s0
; %bb.469:                              ;   in Loop: Header=BB380_401 Depth=1
	v_and_b32_e32 v13, 0xffff, v12
	v_or_b32_e32 v23, 0x10000, v12
	s_delay_alu instid0(VALU_DEP_2) | instskip(NEXT) | instid1(VALU_DEP_1)
	v_cmp_eq_u32_e64 s0, 0, v13
	v_cndmask_b32_e64 v53, v23, v12, s0
; %bb.470:                              ;   in Loop: Header=BB380_401 Depth=1
	s_or_b32 exec_lo, exec_lo, s1
	v_mov_b32_e32 v13, 0
	s_mov_b32 s1, exec_lo
	v_cmpx_lt_u32_e32 0xffffff, v10
	s_cbranch_execz .LBB380_478
; %bb.471:                              ;   in Loop: Header=BB380_401 Depth=1
	v_lshrrev_b32_e32 v12, 24, v10
	v_bfrev_b32_e32 v13, 1
	s_mov_b32 s6, exec_lo
	s_delay_alu instid0(VALU_DEP_2)
	v_cmpx_ne_u32_e32 0x80, v12
	s_cbranch_execz .LBB380_477
; %bb.472:                              ;   in Loop: Header=BB380_401 Depth=1
	v_bfe_u32 v54, v10, 24, 7
	v_mov_b32_e32 v13, 0x7f800001
	s_mov_b32 s7, exec_lo
	s_delay_alu instid0(VALU_DEP_2)
	v_cmpx_ne_u32_e32 0x7f, v54
	s_cbranch_execz .LBB380_476
; %bb.473:                              ;   in Loop: Header=BB380_401 Depth=1
	v_and_b32_e32 v23, 7, v12
	v_lshrrev_b32_e32 v13, 3, v54
	s_mov_b32 s15, exec_lo
	v_cmpx_gt_u32_e32 8, v54
; %bb.474:                              ;   in Loop: Header=BB380_401 Depth=1
	s_delay_alu instid0(VALU_DEP_3) | instskip(NEXT) | instid1(VALU_DEP_1)
	v_clz_i32_u32_e32 v13, v23
	v_min_u32_e32 v13, 32, v13
	s_delay_alu instid0(VALU_DEP_1) | instskip(SKIP_1) | instid1(VALU_DEP_2)
	v_subrev_nc_u32_e32 v54, 28, v13
	v_sub_nc_u32_e32 v13, 29, v13
	v_lshlrev_b64 v[54:55], v54, v[23:24]
	s_delay_alu instid0(VALU_DEP_1)
	v_and_b32_e32 v23, 7, v54
; %bb.475:                              ;   in Loop: Header=BB380_401 Depth=1
	s_or_b32 exec_lo, exec_lo, s15
	v_lshlrev_b32_e32 v12, 24, v12
	s_delay_alu instid0(VALU_DEP_2) | instskip(SKIP_1) | instid1(VALU_DEP_3)
	v_lshlrev_b32_e32 v23, 20, v23
	v_lshl_add_u32 v13, v13, 23, 0x3c000000
	v_and_b32_e32 v12, 0x80000000, v12
	s_delay_alu instid0(VALU_DEP_1)
	v_or3_b32 v13, v23, v12, v13
.LBB380_476:                            ;   in Loop: Header=BB380_401 Depth=1
	s_or_b32 exec_lo, exec_lo, s7
.LBB380_477:                            ;   in Loop: Header=BB380_401 Depth=1
	s_delay_alu instid0(SALU_CYCLE_1)
	s_or_b32 exec_lo, exec_lo, s6
.LBB380_478:                            ;   in Loop: Header=BB380_401 Depth=1
	s_delay_alu instid0(SALU_CYCLE_1) | instskip(NEXT) | instid1(VALU_DEP_1)
	s_or_b32 exec_lo, exec_lo, s1
	v_mul_f32_e32 v12, v50, v13
                                        ; implicit-def: $vgpr54
	s_delay_alu instid0(VALU_DEP_1) | instskip(NEXT) | instid1(VALU_DEP_1)
	v_and_b32_e32 v13, 0x7f800000, v12
	v_cmp_ne_u32_e64 s0, 0x7f800000, v13
	s_delay_alu instid0(VALU_DEP_1) | instskip(NEXT) | instid1(SALU_CYCLE_1)
	s_and_saveexec_b32 s1, s0
	s_xor_b32 s0, exec_lo, s1
; %bb.479:                              ;   in Loop: Header=BB380_401 Depth=1
	v_bfe_u32 v13, v12, 16, 1
	s_delay_alu instid0(VALU_DEP_1)
	v_add3_u32 v54, v12, v13, 0x7fff
                                        ; implicit-def: $vgpr12
; %bb.480:                              ;   in Loop: Header=BB380_401 Depth=1
	s_and_not1_saveexec_b32 s1, s0
; %bb.481:                              ;   in Loop: Header=BB380_401 Depth=1
	v_and_b32_e32 v13, 0xffff, v12
	v_or_b32_e32 v23, 0x10000, v12
	s_delay_alu instid0(VALU_DEP_2) | instskip(NEXT) | instid1(VALU_DEP_1)
	v_cmp_eq_u32_e64 s0, 0, v13
	v_cndmask_b32_e64 v54, v23, v12, s0
; %bb.482:                              ;   in Loop: Header=BB380_401 Depth=1
	s_or_b32 exec_lo, exec_lo, s1
	v_dual_mov_b32 v12, 0 :: v_dual_and_b32 v13, 0xff, v11
	v_mov_b32_e32 v23, v11
	s_mov_b32 s1, exec_lo
	s_delay_alu instid0(VALU_DEP_2)
	v_cmpx_ne_u16_e32 0, v13
	s_cbranch_execz .LBB380_490
; %bb.483:                              ;   in Loop: Header=BB380_401 Depth=1
	v_bfrev_b32_e32 v12, 1
	s_mov_b32 s6, exec_lo
	v_cmpx_ne_u16_e32 0x80, v13
	s_cbranch_execz .LBB380_489
; %bb.484:                              ;   in Loop: Header=BB380_401 Depth=1
	v_and_b32_e32 v13, 0x7f, v11
	v_mov_b32_e32 v12, 0x7f800001
	s_mov_b32 s7, exec_lo
	s_delay_alu instid0(VALU_DEP_2)
	v_cmpx_ne_u32_e32 0x7f, v13
	s_cbranch_execz .LBB380_488
; %bb.485:                              ;   in Loop: Header=BB380_401 Depth=1
	v_lshrrev_b32_e32 v55, 3, v13
	v_cmp_gt_u32_e64 s0, 8, v13
	v_dual_mov_b32 v12, v23 :: v_dual_mov_b32 v13, v24
	s_delay_alu instid0(VALU_DEP_2)
	s_and_saveexec_b32 s15, s0
; %bb.486:                              ;   in Loop: Header=BB380_401 Depth=1
	v_and_b32_e32 v12, 7, v11
	s_delay_alu instid0(VALU_DEP_1) | instskip(NEXT) | instid1(VALU_DEP_1)
	v_clz_i32_u32_e32 v12, v12
	v_min_u32_e32 v55, 32, v12
	s_delay_alu instid0(VALU_DEP_1) | instskip(SKIP_1) | instid1(VALU_DEP_2)
	v_subrev_nc_u32_e32 v12, 28, v55
	v_sub_nc_u32_e32 v55, 29, v55
	v_lshlrev_b64 v[12:13], v12, v[23:24]
; %bb.487:                              ;   in Loop: Header=BB380_401 Depth=1
	s_or_b32 exec_lo, exec_lo, s15
	s_delay_alu instid0(VALU_DEP_1) | instskip(SKIP_2) | instid1(VALU_DEP_3)
	v_lshlrev_b32_e32 v12, 20, v12
	v_lshlrev_b32_e32 v13, 24, v23
	v_lshl_add_u32 v55, v55, 23, 0x3c000000
	v_and_b32_e32 v12, 0x700000, v12
	s_delay_alu instid0(VALU_DEP_3) | instskip(NEXT) | instid1(VALU_DEP_1)
	v_and_b32_e32 v13, 0x80000000, v13
	v_or3_b32 v12, v12, v13, v55
.LBB380_488:                            ;   in Loop: Header=BB380_401 Depth=1
	s_or_b32 exec_lo, exec_lo, s7
.LBB380_489:                            ;   in Loop: Header=BB380_401 Depth=1
	s_delay_alu instid0(SALU_CYCLE_1)
	s_or_b32 exec_lo, exec_lo, s6
.LBB380_490:                            ;   in Loop: Header=BB380_401 Depth=1
	s_delay_alu instid0(SALU_CYCLE_1) | instskip(NEXT) | instid1(VALU_DEP_1)
	s_or_b32 exec_lo, exec_lo, s1
	v_mul_f32_e32 v12, v50, v12
                                        ; implicit-def: $vgpr55
	s_delay_alu instid0(VALU_DEP_1) | instskip(NEXT) | instid1(VALU_DEP_1)
	v_and_b32_e32 v13, 0x7f800000, v12
	v_cmp_ne_u32_e64 s0, 0x7f800000, v13
	s_delay_alu instid0(VALU_DEP_1) | instskip(NEXT) | instid1(SALU_CYCLE_1)
	s_and_saveexec_b32 s1, s0
	s_xor_b32 s0, exec_lo, s1
; %bb.491:                              ;   in Loop: Header=BB380_401 Depth=1
	v_bfe_u32 v13, v12, 16, 1
	s_delay_alu instid0(VALU_DEP_1)
	v_add3_u32 v55, v12, v13, 0x7fff
                                        ; implicit-def: $vgpr12
; %bb.492:                              ;   in Loop: Header=BB380_401 Depth=1
	s_and_not1_saveexec_b32 s1, s0
; %bb.493:                              ;   in Loop: Header=BB380_401 Depth=1
	v_and_b32_e32 v13, 0xffff, v12
	v_or_b32_e32 v55, 0x10000, v12
	s_delay_alu instid0(VALU_DEP_2) | instskip(NEXT) | instid1(VALU_DEP_1)
	v_cmp_eq_u32_e64 s0, 0, v13
	v_cndmask_b32_e64 v55, v55, v12, s0
; %bb.494:                              ;   in Loop: Header=BB380_401 Depth=1
	s_or_b32 exec_lo, exec_lo, s1
	v_lshrrev_b16 v13, 8, v23
	v_mov_b32_e32 v12, 0
	s_mov_b32 s1, exec_lo
	s_delay_alu instid0(VALU_DEP_2)
	v_cmpx_ne_u16_e32 0, v13
	s_cbranch_execz .LBB380_502
; %bb.495:                              ;   in Loop: Header=BB380_401 Depth=1
	v_bfrev_b32_e32 v12, 1
	s_mov_b32 s6, exec_lo
	v_cmpx_ne_u16_e32 0x80, v13
	s_cbranch_execz .LBB380_501
; %bb.496:                              ;   in Loop: Header=BB380_401 Depth=1
	v_and_b32_e32 v13, 0xffff, v13
	v_mov_b32_e32 v12, 0x7f800001
	s_mov_b32 s7, exec_lo
	s_delay_alu instid0(VALU_DEP_2) | instskip(NEXT) | instid1(VALU_DEP_1)
	v_and_b32_e32 v80, 0x7f, v13
	v_cmpx_ne_u32_e32 0x7f, v80
	s_cbranch_execz .LBB380_500
; %bb.497:                              ;   in Loop: Header=BB380_401 Depth=1
	v_dual_mov_b32 v13, v24 :: v_dual_and_b32 v12, 7, v13
	v_lshrrev_b32_e32 v71, 3, v80
	s_mov_b32 s15, exec_lo
	v_cmpx_gt_u32_e32 8, v80
; %bb.498:                              ;   in Loop: Header=BB380_401 Depth=1
	s_delay_alu instid0(VALU_DEP_3) | instskip(NEXT) | instid1(VALU_DEP_1)
	v_clz_i32_u32_e32 v71, v12
	v_min_u32_e32 v71, 32, v71
	s_delay_alu instid0(VALU_DEP_1) | instskip(SKIP_1) | instid1(VALU_DEP_2)
	v_subrev_nc_u32_e32 v80, 28, v71
	v_sub_nc_u32_e32 v71, 29, v71
	v_lshlrev_b64 v[12:13], v80, v[12:13]
	s_delay_alu instid0(VALU_DEP_1)
	v_and_b32_e32 v12, 7, v12
; %bb.499:                              ;   in Loop: Header=BB380_401 Depth=1
	s_or_b32 exec_lo, exec_lo, s15
	v_lshlrev_b32_e32 v13, 16, v23
	s_delay_alu instid0(VALU_DEP_2) | instskip(SKIP_1) | instid1(VALU_DEP_3)
	v_lshlrev_b32_e32 v12, 20, v12
	v_lshl_add_u32 v23, v71, 23, 0x3c000000
	v_and_b32_e32 v13, 0x80000000, v13
	s_delay_alu instid0(VALU_DEP_1)
	v_or3_b32 v12, v12, v13, v23
.LBB380_500:                            ;   in Loop: Header=BB380_401 Depth=1
	s_or_b32 exec_lo, exec_lo, s7
.LBB380_501:                            ;   in Loop: Header=BB380_401 Depth=1
	s_delay_alu instid0(SALU_CYCLE_1)
	s_or_b32 exec_lo, exec_lo, s6
.LBB380_502:                            ;   in Loop: Header=BB380_401 Depth=1
	s_delay_alu instid0(SALU_CYCLE_1) | instskip(NEXT) | instid1(VALU_DEP_1)
	s_or_b32 exec_lo, exec_lo, s1
	v_mul_f32_e32 v13, v50, v12
	s_delay_alu instid0(VALU_DEP_1) | instskip(NEXT) | instid1(VALU_DEP_1)
	v_and_b32_e32 v12, 0x7f800000, v13
	v_cmp_ne_u32_e64 s0, 0x7f800000, v12
                                        ; implicit-def: $vgpr12
	s_delay_alu instid0(VALU_DEP_1) | instskip(NEXT) | instid1(SALU_CYCLE_1)
	s_and_saveexec_b32 s1, s0
	s_xor_b32 s0, exec_lo, s1
; %bb.503:                              ;   in Loop: Header=BB380_401 Depth=1
	v_bfe_u32 v12, v13, 16, 1
	s_delay_alu instid0(VALU_DEP_1)
	v_add3_u32 v12, v13, v12, 0x7fff
                                        ; implicit-def: $vgpr13
; %bb.504:                              ;   in Loop: Header=BB380_401 Depth=1
	s_and_not1_saveexec_b32 s1, s0
; %bb.505:                              ;   in Loop: Header=BB380_401 Depth=1
	v_and_b32_e32 v12, 0xffff, v13
	v_or_b32_e32 v23, 0x10000, v13
	s_delay_alu instid0(VALU_DEP_2) | instskip(NEXT) | instid1(VALU_DEP_1)
	v_cmp_eq_u32_e64 s0, 0, v12
	v_cndmask_b32_e64 v12, v23, v13, s0
; %bb.506:                              ;   in Loop: Header=BB380_401 Depth=1
	s_or_b32 exec_lo, exec_lo, s1
	v_lshrrev_b32_e32 v13, 16, v11
	v_mov_b32_e32 v23, 0
	s_mov_b32 s1, exec_lo
	s_delay_alu instid0(VALU_DEP_2) | instskip(NEXT) | instid1(VALU_DEP_1)
	v_and_b32_e32 v71, 0xff, v13
	v_cmpx_ne_u16_e32 0, v71
	s_cbranch_execz .LBB380_514
; %bb.507:                              ;   in Loop: Header=BB380_401 Depth=1
	v_bfrev_b32_e32 v23, 1
	s_mov_b32 s6, exec_lo
	v_cmpx_ne_u16_e32 0x80, v71
	s_cbranch_execz .LBB380_513
; %bb.508:                              ;   in Loop: Header=BB380_401 Depth=1
	v_bfe_u32 v80, v11, 16, 7
	v_mov_b32_e32 v23, 0x7f800001
	s_mov_b32 s7, exec_lo
	s_delay_alu instid0(VALU_DEP_2)
	v_cmpx_ne_u32_e32 0x7f, v80
	s_cbranch_execz .LBB380_512
; %bb.509:                              ;   in Loop: Header=BB380_401 Depth=1
	v_and_b32_e32 v23, 7, v13
	v_lshrrev_b32_e32 v71, 3, v80
	s_mov_b32 s15, exec_lo
	v_cmpx_gt_u32_e32 8, v80
; %bb.510:                              ;   in Loop: Header=BB380_401 Depth=1
	s_delay_alu instid0(VALU_DEP_3) | instskip(NEXT) | instid1(VALU_DEP_1)
	v_clz_i32_u32_e32 v71, v23
	v_min_u32_e32 v71, 32, v71
	s_delay_alu instid0(VALU_DEP_1) | instskip(SKIP_1) | instid1(VALU_DEP_2)
	v_subrev_nc_u32_e32 v80, 28, v71
	v_sub_nc_u32_e32 v71, 29, v71
	v_lshlrev_b64 v[80:81], v80, v[23:24]
	s_delay_alu instid0(VALU_DEP_1)
	v_and_b32_e32 v23, 7, v80
; %bb.511:                              ;   in Loop: Header=BB380_401 Depth=1
	s_or_b32 exec_lo, exec_lo, s15
	v_lshlrev_b32_e32 v13, 24, v13
	s_delay_alu instid0(VALU_DEP_2) | instskip(SKIP_1) | instid1(VALU_DEP_3)
	v_lshlrev_b32_e32 v23, 20, v23
	v_lshl_add_u32 v71, v71, 23, 0x3c000000
	v_and_b32_e32 v13, 0x80000000, v13
	s_delay_alu instid0(VALU_DEP_1)
	v_or3_b32 v23, v23, v13, v71
.LBB380_512:                            ;   in Loop: Header=BB380_401 Depth=1
	s_or_b32 exec_lo, exec_lo, s7
.LBB380_513:                            ;   in Loop: Header=BB380_401 Depth=1
	s_delay_alu instid0(SALU_CYCLE_1)
	s_or_b32 exec_lo, exec_lo, s6
.LBB380_514:                            ;   in Loop: Header=BB380_401 Depth=1
	s_delay_alu instid0(SALU_CYCLE_1) | instskip(NEXT) | instid1(VALU_DEP_1)
	s_or_b32 exec_lo, exec_lo, s1
	v_mul_f32_e32 v13, v50, v23
                                        ; implicit-def: $vgpr71
	s_delay_alu instid0(VALU_DEP_1) | instskip(NEXT) | instid1(VALU_DEP_1)
	v_and_b32_e32 v23, 0x7f800000, v13
	v_cmp_ne_u32_e64 s0, 0x7f800000, v23
	s_delay_alu instid0(VALU_DEP_1) | instskip(NEXT) | instid1(SALU_CYCLE_1)
	s_and_saveexec_b32 s1, s0
	s_xor_b32 s0, exec_lo, s1
; %bb.515:                              ;   in Loop: Header=BB380_401 Depth=1
	v_bfe_u32 v23, v13, 16, 1
	s_delay_alu instid0(VALU_DEP_1)
	v_add3_u32 v71, v13, v23, 0x7fff
                                        ; implicit-def: $vgpr13
; %bb.516:                              ;   in Loop: Header=BB380_401 Depth=1
	s_and_not1_saveexec_b32 s1, s0
; %bb.517:                              ;   in Loop: Header=BB380_401 Depth=1
	v_and_b32_e32 v23, 0xffff, v13
	v_or_b32_e32 v71, 0x10000, v13
	s_delay_alu instid0(VALU_DEP_2) | instskip(NEXT) | instid1(VALU_DEP_1)
	v_cmp_eq_u32_e64 s0, 0, v23
	v_cndmask_b32_e64 v71, v71, v13, s0
; %bb.518:                              ;   in Loop: Header=BB380_401 Depth=1
	s_or_b32 exec_lo, exec_lo, s1
	v_mov_b32_e32 v13, 0
	s_mov_b32 s1, exec_lo
	v_cmpx_lt_u64_e64 s[12:13], v[10:11]
	s_cbranch_execz .LBB380_526
; %bb.519:                              ;   in Loop: Header=BB380_401 Depth=1
	v_lshrrev_b32_e32 v10, 24, v11
	v_bfrev_b32_e32 v13, 1
	s_mov_b32 s6, exec_lo
	s_delay_alu instid0(VALU_DEP_2)
	v_cmpx_ne_u32_e32 0x80, v10
	s_cbranch_execz .LBB380_525
; %bb.520:                              ;   in Loop: Header=BB380_401 Depth=1
	v_bfe_u32 v80, v11, 24, 7
	v_mov_b32_e32 v13, 0x7f800001
	s_mov_b32 s7, exec_lo
	s_delay_alu instid0(VALU_DEP_2)
	v_cmpx_ne_u32_e32 0x7f, v80
	s_cbranch_execz .LBB380_524
; %bb.521:                              ;   in Loop: Header=BB380_401 Depth=1
	v_and_b32_e32 v23, 7, v10
	v_lshrrev_b32_e32 v11, 3, v80
	s_mov_b32 s15, exec_lo
	v_cmpx_gt_u32_e32 8, v80
; %bb.522:                              ;   in Loop: Header=BB380_401 Depth=1
	s_delay_alu instid0(VALU_DEP_3) | instskip(NEXT) | instid1(VALU_DEP_1)
	v_clz_i32_u32_e32 v11, v23
	v_min_u32_e32 v11, 32, v11
	s_delay_alu instid0(VALU_DEP_1) | instskip(SKIP_1) | instid1(VALU_DEP_2)
	v_subrev_nc_u32_e32 v13, 28, v11
	v_sub_nc_u32_e32 v11, 29, v11
	v_lshlrev_b64 v[80:81], v13, v[23:24]
	s_delay_alu instid0(VALU_DEP_1)
	v_and_b32_e32 v23, 7, v80
; %bb.523:                              ;   in Loop: Header=BB380_401 Depth=1
	s_or_b32 exec_lo, exec_lo, s15
	v_lshlrev_b32_e32 v10, 24, v10
	s_delay_alu instid0(VALU_DEP_2) | instskip(SKIP_1) | instid1(VALU_DEP_3)
	v_lshlrev_b32_e32 v13, 20, v23
	v_lshl_add_u32 v11, v11, 23, 0x3c000000
	v_and_b32_e32 v10, 0x80000000, v10
	s_delay_alu instid0(VALU_DEP_1)
	v_or3_b32 v13, v13, v10, v11
.LBB380_524:                            ;   in Loop: Header=BB380_401 Depth=1
	s_or_b32 exec_lo, exec_lo, s7
.LBB380_525:                            ;   in Loop: Header=BB380_401 Depth=1
	s_delay_alu instid0(SALU_CYCLE_1)
	s_or_b32 exec_lo, exec_lo, s6
.LBB380_526:                            ;   in Loop: Header=BB380_401 Depth=1
	s_delay_alu instid0(SALU_CYCLE_1) | instskip(NEXT) | instid1(VALU_DEP_1)
	s_or_b32 exec_lo, exec_lo, s1
	v_mul_f32_e32 v11, v50, v13
	s_delay_alu instid0(VALU_DEP_1) | instskip(NEXT) | instid1(VALU_DEP_1)
	v_and_b32_e32 v10, 0x7f800000, v11
	v_cmp_ne_u32_e64 s0, 0x7f800000, v10
                                        ; implicit-def: $vgpr10
	s_delay_alu instid0(VALU_DEP_1) | instskip(NEXT) | instid1(SALU_CYCLE_1)
	s_and_saveexec_b32 s1, s0
	s_xor_b32 s0, exec_lo, s1
; %bb.527:                              ;   in Loop: Header=BB380_401 Depth=1
	v_bfe_u32 v10, v11, 16, 1
	s_delay_alu instid0(VALU_DEP_1)
	v_add3_u32 v10, v11, v10, 0x7fff
                                        ; implicit-def: $vgpr11
; %bb.528:                              ;   in Loop: Header=BB380_401 Depth=1
	s_and_not1_saveexec_b32 s1, s0
; %bb.529:                              ;   in Loop: Header=BB380_401 Depth=1
	v_and_b32_e32 v10, 0xffff, v11
	v_or_b32_e32 v13, 0x10000, v11
	s_delay_alu instid0(VALU_DEP_2) | instskip(NEXT) | instid1(VALU_DEP_1)
	v_cmp_eq_u32_e64 s0, 0, v10
	v_cndmask_b32_e64 v10, v13, v11, s0
; %bb.530:                              ;   in Loop: Header=BB380_401 Depth=1
	s_or_b32 exec_lo, exec_lo, s1
	v_cmp_eq_u32_e64 s0, v29, v17
	v_lshrrev_b32_e32 v12, 16, v12
	v_lshrrev_b32_e32 v13, 16, v55
	;; [unrolled: 1-line block ×8, first 2 shown]
	s_and_saveexec_b32 s6, s0
	s_cbranch_execz .LBB380_532
; %bb.531:                              ;   in Loop: Header=BB380_401 Depth=1
	v_add_nc_u32_e32 v54, 1, v68
	v_cmp_lt_i32_e64 s1, v68, v64
	v_add_nc_u32_e32 v55, 2, v68
	v_add_nc_u32_e32 v71, 3, v68
	s_delay_alu instid0(VALU_DEP_3) | instskip(SKIP_2) | instid1(VALU_DEP_2)
	v_cndmask_b32_e64 v51, 0, v51, s1
	v_cmp_lt_i32_e64 s1, v54, v64
	v_add_nc_u32_e32 v54, 4, v68
	v_cndmask_b32_e64 v52, 0, v52, s1
	v_cmp_lt_i32_e64 s1, v55, v64
	v_add_nc_u32_e32 v55, 5, v68
	s_delay_alu instid0(VALU_DEP_2) | instskip(SKIP_2) | instid1(VALU_DEP_2)
	v_cndmask_b32_e64 v53, 0, v53, s1
	v_cmp_lt_i32_e64 s1, v71, v64
	v_add_nc_u32_e32 v71, 6, v68
	v_cndmask_b32_e64 v23, 0, v23, s1
	v_cmp_lt_i32_e64 s1, v54, v64
	v_add_nc_u32_e32 v54, 7, v68
	s_delay_alu instid0(VALU_DEP_2) | instskip(SKIP_1) | instid1(VALU_DEP_1)
	v_cndmask_b32_e64 v13, 0, v13, s1
	v_cmp_lt_i32_e64 s1, v55, v64
	v_cndmask_b32_e64 v12, 0, v12, s1
	v_cmp_lt_i32_e64 s1, v71, v64
	s_delay_alu instid0(VALU_DEP_1) | instskip(SKIP_1) | instid1(VALU_DEP_1)
	v_cndmask_b32_e64 v11, 0, v11, s1
	v_cmp_lt_i32_e64 s1, v54, v64
	v_cndmask_b32_e64 v10, 0, v10, s1
.LBB380_532:                            ;   in Loop: Header=BB380_401 Depth=1
	s_or_b32 exec_lo, exec_lo, s6
	v_and_b32_e32 v33, 0xffff0000, v33
	v_lshlrev_b32_e32 v51, 16, v51
	s_delay_alu instid0(VALU_DEP_1) | instskip(NEXT) | instid1(VALU_DEP_1)
	v_mul_f32_e32 v54, v33, v51
	v_and_b32_e32 v51, 0x7f800000, v54
	s_delay_alu instid0(VALU_DEP_1) | instskip(NEXT) | instid1(VALU_DEP_1)
	v_cmp_ne_u32_e64 s1, 0x7f800000, v51
                                        ; implicit-def: $vgpr51
	s_and_saveexec_b32 s6, s1
	s_delay_alu instid0(SALU_CYCLE_1)
	s_xor_b32 s1, exec_lo, s6
; %bb.533:                              ;   in Loop: Header=BB380_401 Depth=1
	v_bfe_u32 v51, v54, 16, 1
	s_delay_alu instid0(VALU_DEP_1)
	v_add3_u32 v51, v54, v51, 0x7fff
                                        ; implicit-def: $vgpr54
; %bb.534:                              ;   in Loop: Header=BB380_401 Depth=1
	s_and_not1_saveexec_b32 s6, s1
; %bb.535:                              ;   in Loop: Header=BB380_401 Depth=1
	v_and_b32_e32 v51, 0xffff, v54
	v_or_b32_e32 v55, 0x10000, v54
	s_delay_alu instid0(VALU_DEP_2) | instskip(NEXT) | instid1(VALU_DEP_1)
	v_cmp_eq_u32_e64 s1, 0, v51
	v_cndmask_b32_e64 v51, v55, v54, s1
; %bb.536:                              ;   in Loop: Header=BB380_401 Depth=1
	s_or_b32 exec_lo, exec_lo, s6
	v_and_b32_e32 v34, 0xffff0000, v34
	v_lshlrev_b32_e32 v52, 16, v52
	s_delay_alu instid0(VALU_DEP_1) | instskip(NEXT) | instid1(VALU_DEP_1)
	v_mul_f32_e32 v54, v34, v52
	v_and_b32_e32 v52, 0x7f800000, v54
	s_delay_alu instid0(VALU_DEP_1) | instskip(NEXT) | instid1(VALU_DEP_1)
	v_cmp_ne_u32_e64 s1, 0x7f800000, v52
                                        ; implicit-def: $vgpr52
	s_and_saveexec_b32 s6, s1
	s_delay_alu instid0(SALU_CYCLE_1)
	s_xor_b32 s1, exec_lo, s6
; %bb.537:                              ;   in Loop: Header=BB380_401 Depth=1
	v_bfe_u32 v52, v54, 16, 1
	s_delay_alu instid0(VALU_DEP_1)
	v_add3_u32 v52, v54, v52, 0x7fff
                                        ; implicit-def: $vgpr54
; %bb.538:                              ;   in Loop: Header=BB380_401 Depth=1
	s_and_not1_saveexec_b32 s6, s1
; %bb.539:                              ;   in Loop: Header=BB380_401 Depth=1
	v_and_b32_e32 v52, 0xffff, v54
	v_or_b32_e32 v55, 0x10000, v54
	s_delay_alu instid0(VALU_DEP_2) | instskip(NEXT) | instid1(VALU_DEP_1)
	v_cmp_eq_u32_e64 s1, 0, v52
	v_cndmask_b32_e64 v52, v55, v54, s1
; %bb.540:                              ;   in Loop: Header=BB380_401 Depth=1
	s_or_b32 exec_lo, exec_lo, s6
	v_and_b32_e32 v35, 0xffff0000, v35
	v_lshlrev_b32_e32 v53, 16, v53
	s_delay_alu instid0(VALU_DEP_1) | instskip(NEXT) | instid1(VALU_DEP_1)
	v_mul_f32_e32 v54, v35, v53
	v_and_b32_e32 v53, 0x7f800000, v54
	s_delay_alu instid0(VALU_DEP_1) | instskip(NEXT) | instid1(VALU_DEP_1)
	v_cmp_ne_u32_e64 s1, 0x7f800000, v53
                                        ; implicit-def: $vgpr53
	s_and_saveexec_b32 s6, s1
	s_delay_alu instid0(SALU_CYCLE_1)
	s_xor_b32 s1, exec_lo, s6
; %bb.541:                              ;   in Loop: Header=BB380_401 Depth=1
	v_bfe_u32 v53, v54, 16, 1
	s_delay_alu instid0(VALU_DEP_1)
	v_add3_u32 v53, v54, v53, 0x7fff
                                        ; implicit-def: $vgpr54
; %bb.542:                              ;   in Loop: Header=BB380_401 Depth=1
	s_and_not1_saveexec_b32 s6, s1
; %bb.543:                              ;   in Loop: Header=BB380_401 Depth=1
	v_and_b32_e32 v53, 0xffff, v54
	v_or_b32_e32 v55, 0x10000, v54
	s_delay_alu instid0(VALU_DEP_2) | instskip(NEXT) | instid1(VALU_DEP_1)
	v_cmp_eq_u32_e64 s1, 0, v53
	v_cndmask_b32_e64 v53, v55, v54, s1
; %bb.544:                              ;   in Loop: Header=BB380_401 Depth=1
	s_or_b32 exec_lo, exec_lo, s6
	v_and_b32_e32 v36, 0xffff0000, v36
	v_lshlrev_b32_e32 v23, 16, v23
	s_delay_alu instid0(VALU_DEP_1) | instskip(NEXT) | instid1(VALU_DEP_1)
	v_mul_f32_e32 v23, v36, v23
	v_and_b32_e32 v54, 0x7f800000, v23
	s_delay_alu instid0(VALU_DEP_1) | instskip(NEXT) | instid1(VALU_DEP_1)
	v_cmp_ne_u32_e64 s1, 0x7f800000, v54
                                        ; implicit-def: $vgpr54
	s_and_saveexec_b32 s6, s1
	s_delay_alu instid0(SALU_CYCLE_1)
	s_xor_b32 s1, exec_lo, s6
; %bb.545:                              ;   in Loop: Header=BB380_401 Depth=1
	v_bfe_u32 v54, v23, 16, 1
	s_delay_alu instid0(VALU_DEP_1)
	v_add3_u32 v54, v23, v54, 0x7fff
                                        ; implicit-def: $vgpr23
; %bb.546:                              ;   in Loop: Header=BB380_401 Depth=1
	s_and_not1_saveexec_b32 s6, s1
; %bb.547:                              ;   in Loop: Header=BB380_401 Depth=1
	v_and_b32_e32 v54, 0xffff, v23
	v_or_b32_e32 v55, 0x10000, v23
	s_delay_alu instid0(VALU_DEP_2) | instskip(NEXT) | instid1(VALU_DEP_1)
	v_cmp_eq_u32_e64 s1, 0, v54
	v_cndmask_b32_e64 v54, v55, v23, s1
; %bb.548:                              ;   in Loop: Header=BB380_401 Depth=1
	s_or_b32 exec_lo, exec_lo, s6
	v_and_b32_e32 v37, 0xffff0000, v37
	v_lshlrev_b32_e32 v13, 16, v13
                                        ; implicit-def: $vgpr55
	s_delay_alu instid0(VALU_DEP_1) | instskip(NEXT) | instid1(VALU_DEP_1)
	v_mul_f32_e32 v13, v37, v13
	v_and_b32_e32 v23, 0x7f800000, v13
	s_delay_alu instid0(VALU_DEP_1) | instskip(NEXT) | instid1(VALU_DEP_1)
	v_cmp_ne_u32_e64 s1, 0x7f800000, v23
	s_and_saveexec_b32 s6, s1
	s_delay_alu instid0(SALU_CYCLE_1)
	s_xor_b32 s1, exec_lo, s6
; %bb.549:                              ;   in Loop: Header=BB380_401 Depth=1
	v_bfe_u32 v23, v13, 16, 1
	s_delay_alu instid0(VALU_DEP_1)
	v_add3_u32 v55, v13, v23, 0x7fff
                                        ; implicit-def: $vgpr13
; %bb.550:                              ;   in Loop: Header=BB380_401 Depth=1
	s_and_not1_saveexec_b32 s6, s1
; %bb.551:                              ;   in Loop: Header=BB380_401 Depth=1
	v_and_b32_e32 v23, 0xffff, v13
	v_or_b32_e32 v55, 0x10000, v13
	s_delay_alu instid0(VALU_DEP_2) | instskip(NEXT) | instid1(VALU_DEP_1)
	v_cmp_eq_u32_e64 s1, 0, v23
	v_cndmask_b32_e64 v55, v55, v13, s1
; %bb.552:                              ;   in Loop: Header=BB380_401 Depth=1
	s_or_b32 exec_lo, exec_lo, s6
	v_and_b32_e32 v38, 0xffff0000, v38
	v_lshlrev_b32_e32 v12, 16, v12
                                        ; implicit-def: $vgpr71
	s_delay_alu instid0(VALU_DEP_1) | instskip(NEXT) | instid1(VALU_DEP_1)
	v_mul_f32_e32 v12, v38, v12
	v_and_b32_e32 v13, 0x7f800000, v12
	s_delay_alu instid0(VALU_DEP_1) | instskip(NEXT) | instid1(VALU_DEP_1)
	v_cmp_ne_u32_e64 s1, 0x7f800000, v13
	s_and_saveexec_b32 s6, s1
	s_delay_alu instid0(SALU_CYCLE_1)
	s_xor_b32 s1, exec_lo, s6
; %bb.553:                              ;   in Loop: Header=BB380_401 Depth=1
	v_bfe_u32 v13, v12, 16, 1
	s_delay_alu instid0(VALU_DEP_1)
	v_add3_u32 v71, v12, v13, 0x7fff
                                        ; implicit-def: $vgpr12
; %bb.554:                              ;   in Loop: Header=BB380_401 Depth=1
	s_and_not1_saveexec_b32 s6, s1
; %bb.555:                              ;   in Loop: Header=BB380_401 Depth=1
	v_and_b32_e32 v13, 0xffff, v12
	v_or_b32_e32 v23, 0x10000, v12
	s_delay_alu instid0(VALU_DEP_2) | instskip(NEXT) | instid1(VALU_DEP_1)
	v_cmp_eq_u32_e64 s1, 0, v13
	v_cndmask_b32_e64 v71, v23, v12, s1
; %bb.556:                              ;   in Loop: Header=BB380_401 Depth=1
	s_or_b32 exec_lo, exec_lo, s6
	v_and_b32_e32 v48, 0xffff0000, v48
	v_lshlrev_b32_e32 v11, 16, v11
                                        ; implicit-def: $vgpr80
	s_delay_alu instid0(VALU_DEP_1) | instskip(NEXT) | instid1(VALU_DEP_1)
	v_mul_f32_e32 v11, v48, v11
	v_and_b32_e32 v12, 0x7f800000, v11
	s_delay_alu instid0(VALU_DEP_1) | instskip(NEXT) | instid1(VALU_DEP_1)
	v_cmp_ne_u32_e64 s1, 0x7f800000, v12
	s_and_saveexec_b32 s6, s1
	s_delay_alu instid0(SALU_CYCLE_1)
	s_xor_b32 s1, exec_lo, s6
; %bb.557:                              ;   in Loop: Header=BB380_401 Depth=1
	v_bfe_u32 v12, v11, 16, 1
	s_delay_alu instid0(VALU_DEP_1)
	v_add3_u32 v80, v11, v12, 0x7fff
                                        ; implicit-def: $vgpr11
; %bb.558:                              ;   in Loop: Header=BB380_401 Depth=1
	s_and_not1_saveexec_b32 s6, s1
; %bb.559:                              ;   in Loop: Header=BB380_401 Depth=1
	v_and_b32_e32 v12, 0xffff, v11
	v_or_b32_e32 v13, 0x10000, v11
	s_delay_alu instid0(VALU_DEP_2) | instskip(NEXT) | instid1(VALU_DEP_1)
	v_cmp_eq_u32_e64 s1, 0, v12
	v_cndmask_b32_e64 v80, v13, v11, s1
; %bb.560:                              ;   in Loop: Header=BB380_401 Depth=1
	s_or_b32 exec_lo, exec_lo, s6
	v_and_b32_e32 v49, 0xffff0000, v49
	v_lshlrev_b32_e32 v10, 16, v10
                                        ; implicit-def: $vgpr81
	s_delay_alu instid0(VALU_DEP_1) | instskip(NEXT) | instid1(VALU_DEP_1)
	v_mul_f32_e32 v10, v49, v10
	v_and_b32_e32 v11, 0x7f800000, v10
	s_delay_alu instid0(VALU_DEP_1) | instskip(NEXT) | instid1(VALU_DEP_1)
	v_cmp_ne_u32_e64 s1, 0x7f800000, v11
	s_and_saveexec_b32 s6, s1
	s_delay_alu instid0(SALU_CYCLE_1)
	s_xor_b32 s1, exec_lo, s6
; %bb.561:                              ;   in Loop: Header=BB380_401 Depth=1
	v_bfe_u32 v11, v10, 16, 1
	s_delay_alu instid0(VALU_DEP_1)
	v_add3_u32 v81, v10, v11, 0x7fff
                                        ; implicit-def: $vgpr10
; %bb.562:                              ;   in Loop: Header=BB380_401 Depth=1
	s_and_not1_saveexec_b32 s6, s1
; %bb.563:                              ;   in Loop: Header=BB380_401 Depth=1
	v_and_b32_e32 v11, 0xffff, v10
	v_or_b32_e32 v12, 0x10000, v10
	s_delay_alu instid0(VALU_DEP_2) | instskip(NEXT) | instid1(VALU_DEP_1)
	v_cmp_eq_u32_e64 s1, 0, v11
	v_cndmask_b32_e64 v81, v12, v10, s1
; %bb.564:                              ;   in Loop: Header=BB380_401 Depth=1
	s_or_b32 exec_lo, exec_lo, s6
	flat_load_b64 v[10:11], v[8:9] offset:256
	s_mov_b32 s6, exec_lo
	s_waitcnt vmcnt(0) lgkmcnt(0)
	v_dual_mov_b32 v12, 0 :: v_dual_and_b32 v13, 0xff, v10
	s_delay_alu instid0(VALU_DEP_1)
	v_cmpx_ne_u16_e32 0, v13
	s_cbranch_execz .LBB380_572
; %bb.565:                              ;   in Loop: Header=BB380_401 Depth=1
	v_bfrev_b32_e32 v12, 1
	s_mov_b32 s7, exec_lo
	v_cmpx_ne_u16_e32 0x80, v13
	s_cbranch_execz .LBB380_571
; %bb.566:                              ;   in Loop: Header=BB380_401 Depth=1
	v_and_b32_e32 v13, 0x7f, v10
	v_mov_b32_e32 v12, 0x7f800001
	s_mov_b32 s15, exec_lo
	s_delay_alu instid0(VALU_DEP_2)
	v_cmpx_ne_u32_e32 0x7f, v13
	s_cbranch_execz .LBB380_570
; %bb.567:                              ;   in Loop: Header=BB380_401 Depth=1
	v_lshrrev_b32_e32 v23, 3, v13
	v_cmp_gt_u32_e64 s1, 8, v13
	v_dual_mov_b32 v13, v11 :: v_dual_mov_b32 v12, v10
	s_delay_alu instid0(VALU_DEP_2)
	s_and_saveexec_b32 s16, s1
; %bb.568:                              ;   in Loop: Header=BB380_401 Depth=1
	v_and_b32_e32 v12, 7, v10
	s_delay_alu instid0(VALU_DEP_1) | instskip(NEXT) | instid1(VALU_DEP_1)
	v_clz_i32_u32_e32 v12, v12
	v_min_u32_e32 v23, 32, v12
	s_delay_alu instid0(VALU_DEP_1) | instskip(SKIP_1) | instid1(VALU_DEP_2)
	v_subrev_nc_u32_e32 v12, 28, v23
	v_sub_nc_u32_e32 v23, 29, v23
	v_lshlrev_b64 v[12:13], v12, v[10:11]
; %bb.569:                              ;   in Loop: Header=BB380_401 Depth=1
	s_or_b32 exec_lo, exec_lo, s16
	s_delay_alu instid0(VALU_DEP_1) | instskip(SKIP_2) | instid1(VALU_DEP_3)
	v_lshlrev_b32_e32 v12, 20, v12
	v_lshlrev_b32_e32 v13, 24, v10
	v_lshl_add_u32 v23, v23, 23, 0x3c000000
	v_and_b32_e32 v12, 0x700000, v12
	s_delay_alu instid0(VALU_DEP_3) | instskip(NEXT) | instid1(VALU_DEP_1)
	v_and_b32_e32 v13, 0x80000000, v13
	v_or3_b32 v12, v12, v13, v23
.LBB380_570:                            ;   in Loop: Header=BB380_401 Depth=1
	s_or_b32 exec_lo, exec_lo, s15
.LBB380_571:                            ;   in Loop: Header=BB380_401 Depth=1
	s_delay_alu instid0(SALU_CYCLE_1)
	s_or_b32 exec_lo, exec_lo, s7
.LBB380_572:                            ;   in Loop: Header=BB380_401 Depth=1
	s_delay_alu instid0(SALU_CYCLE_1) | instskip(NEXT) | instid1(VALU_DEP_1)
	s_or_b32 exec_lo, exec_lo, s6
	v_mul_f32_e32 v12, v50, v12
                                        ; implicit-def: $vgpr82
	s_delay_alu instid0(VALU_DEP_1) | instskip(NEXT) | instid1(VALU_DEP_1)
	v_and_b32_e32 v13, 0x7f800000, v12
	v_cmp_ne_u32_e64 s1, 0x7f800000, v13
	s_delay_alu instid0(VALU_DEP_1) | instskip(NEXT) | instid1(SALU_CYCLE_1)
	s_and_saveexec_b32 s6, s1
	s_xor_b32 s1, exec_lo, s6
; %bb.573:                              ;   in Loop: Header=BB380_401 Depth=1
	v_bfe_u32 v13, v12, 16, 1
	s_delay_alu instid0(VALU_DEP_1)
	v_add3_u32 v82, v12, v13, 0x7fff
                                        ; implicit-def: $vgpr12
; %bb.574:                              ;   in Loop: Header=BB380_401 Depth=1
	s_and_not1_saveexec_b32 s6, s1
; %bb.575:                              ;   in Loop: Header=BB380_401 Depth=1
	v_and_b32_e32 v13, 0xffff, v12
	v_or_b32_e32 v23, 0x10000, v12
	s_delay_alu instid0(VALU_DEP_2) | instskip(NEXT) | instid1(VALU_DEP_1)
	v_cmp_eq_u32_e64 s1, 0, v13
	v_cndmask_b32_e64 v82, v23, v12, s1
; %bb.576:                              ;   in Loop: Header=BB380_401 Depth=1
	s_or_b32 exec_lo, exec_lo, s6
	v_lshrrev_b16 v13, 8, v10
	v_mov_b32_e32 v12, 0
	s_mov_b32 s6, exec_lo
	s_delay_alu instid0(VALU_DEP_2)
	v_cmpx_ne_u16_e32 0, v13
	s_cbranch_execz .LBB380_584
; %bb.577:                              ;   in Loop: Header=BB380_401 Depth=1
	v_bfrev_b32_e32 v12, 1
	s_mov_b32 s7, exec_lo
	v_cmpx_ne_u16_e32 0x80, v13
	s_cbranch_execz .LBB380_583
; %bb.578:                              ;   in Loop: Header=BB380_401 Depth=1
	v_and_b32_e32 v23, 0xffff, v13
	v_mov_b32_e32 v12, 0x7f800001
	s_mov_b32 s15, exec_lo
	s_delay_alu instid0(VALU_DEP_2) | instskip(NEXT) | instid1(VALU_DEP_1)
	v_and_b32_e32 v13, 0x7f, v23
	v_cmpx_ne_u32_e32 0x7f, v13
	s_cbranch_execz .LBB380_582
; %bb.579:                              ;   in Loop: Header=BB380_401 Depth=1
	v_and_b32_e32 v23, 7, v23
	v_lshrrev_b32_e32 v12, 3, v13
	s_mov_b32 s16, exec_lo
	v_cmpx_gt_u32_e32 8, v13
; %bb.580:                              ;   in Loop: Header=BB380_401 Depth=1
	s_delay_alu instid0(VALU_DEP_3) | instskip(NEXT) | instid1(VALU_DEP_1)
	v_clz_i32_u32_e32 v12, v23
	v_min_u32_e32 v12, 32, v12
	s_delay_alu instid0(VALU_DEP_1) | instskip(SKIP_1) | instid1(VALU_DEP_2)
	v_subrev_nc_u32_e32 v13, 28, v12
	v_sub_nc_u32_e32 v12, 29, v12
	v_lshlrev_b64 v[83:84], v13, v[23:24]
	s_delay_alu instid0(VALU_DEP_1)
	v_and_b32_e32 v23, 7, v83
; %bb.581:                              ;   in Loop: Header=BB380_401 Depth=1
	s_or_b32 exec_lo, exec_lo, s16
	v_lshlrev_b32_e32 v13, 16, v10
	s_delay_alu instid0(VALU_DEP_2) | instskip(SKIP_1) | instid1(VALU_DEP_3)
	v_lshlrev_b32_e32 v23, 20, v23
	v_lshl_add_u32 v12, v12, 23, 0x3c000000
	v_and_b32_e32 v13, 0x80000000, v13
	s_delay_alu instid0(VALU_DEP_1)
	v_or3_b32 v12, v23, v13, v12
.LBB380_582:                            ;   in Loop: Header=BB380_401 Depth=1
	s_or_b32 exec_lo, exec_lo, s15
.LBB380_583:                            ;   in Loop: Header=BB380_401 Depth=1
	s_delay_alu instid0(SALU_CYCLE_1)
	s_or_b32 exec_lo, exec_lo, s7
.LBB380_584:                            ;   in Loop: Header=BB380_401 Depth=1
	s_delay_alu instid0(SALU_CYCLE_1) | instskip(NEXT) | instid1(VALU_DEP_1)
	s_or_b32 exec_lo, exec_lo, s6
	v_mul_f32_e32 v12, v50, v12
                                        ; implicit-def: $vgpr83
	s_delay_alu instid0(VALU_DEP_1) | instskip(NEXT) | instid1(VALU_DEP_1)
	v_and_b32_e32 v13, 0x7f800000, v12
	v_cmp_ne_u32_e64 s1, 0x7f800000, v13
	s_delay_alu instid0(VALU_DEP_1) | instskip(NEXT) | instid1(SALU_CYCLE_1)
	s_and_saveexec_b32 s6, s1
	s_xor_b32 s1, exec_lo, s6
; %bb.585:                              ;   in Loop: Header=BB380_401 Depth=1
	v_bfe_u32 v13, v12, 16, 1
	s_delay_alu instid0(VALU_DEP_1)
	v_add3_u32 v83, v12, v13, 0x7fff
                                        ; implicit-def: $vgpr12
; %bb.586:                              ;   in Loop: Header=BB380_401 Depth=1
	s_and_not1_saveexec_b32 s6, s1
; %bb.587:                              ;   in Loop: Header=BB380_401 Depth=1
	v_and_b32_e32 v13, 0xffff, v12
	v_or_b32_e32 v23, 0x10000, v12
	s_delay_alu instid0(VALU_DEP_2) | instskip(NEXT) | instid1(VALU_DEP_1)
	v_cmp_eq_u32_e64 s1, 0, v13
	v_cndmask_b32_e64 v83, v23, v12, s1
; %bb.588:                              ;   in Loop: Header=BB380_401 Depth=1
	s_or_b32 exec_lo, exec_lo, s6
	v_lshrrev_b32_e32 v12, 16, v10
	v_mov_b32_e32 v13, 0
	s_mov_b32 s6, exec_lo
	s_delay_alu instid0(VALU_DEP_2) | instskip(NEXT) | instid1(VALU_DEP_1)
	v_and_b32_e32 v23, 0xff, v12
	v_cmpx_ne_u16_e32 0, v23
	s_cbranch_execz .LBB380_596
; %bb.589:                              ;   in Loop: Header=BB380_401 Depth=1
	v_bfrev_b32_e32 v13, 1
	s_mov_b32 s7, exec_lo
	v_cmpx_ne_u16_e32 0x80, v23
	s_cbranch_execz .LBB380_595
; %bb.590:                              ;   in Loop: Header=BB380_401 Depth=1
	v_bfe_u32 v84, v10, 16, 7
	v_mov_b32_e32 v13, 0x7f800001
	s_mov_b32 s15, exec_lo
	s_delay_alu instid0(VALU_DEP_2)
	v_cmpx_ne_u32_e32 0x7f, v84
	s_cbranch_execz .LBB380_594
; %bb.591:                              ;   in Loop: Header=BB380_401 Depth=1
	v_and_b32_e32 v23, 7, v12
	v_lshrrev_b32_e32 v13, 3, v84
	s_mov_b32 s16, exec_lo
	v_cmpx_gt_u32_e32 8, v84
; %bb.592:                              ;   in Loop: Header=BB380_401 Depth=1
	s_delay_alu instid0(VALU_DEP_3) | instskip(NEXT) | instid1(VALU_DEP_1)
	v_clz_i32_u32_e32 v13, v23
	v_min_u32_e32 v13, 32, v13
	s_delay_alu instid0(VALU_DEP_1) | instskip(SKIP_1) | instid1(VALU_DEP_2)
	v_subrev_nc_u32_e32 v84, 28, v13
	v_sub_nc_u32_e32 v13, 29, v13
	v_lshlrev_b64 v[84:85], v84, v[23:24]
	s_delay_alu instid0(VALU_DEP_1)
	v_and_b32_e32 v23, 7, v84
; %bb.593:                              ;   in Loop: Header=BB380_401 Depth=1
	s_or_b32 exec_lo, exec_lo, s16
	v_lshlrev_b32_e32 v12, 24, v12
	s_delay_alu instid0(VALU_DEP_2) | instskip(SKIP_1) | instid1(VALU_DEP_3)
	v_lshlrev_b32_e32 v23, 20, v23
	v_lshl_add_u32 v13, v13, 23, 0x3c000000
	v_and_b32_e32 v12, 0x80000000, v12
	s_delay_alu instid0(VALU_DEP_1)
	v_or3_b32 v13, v23, v12, v13
.LBB380_594:                            ;   in Loop: Header=BB380_401 Depth=1
	s_or_b32 exec_lo, exec_lo, s15
.LBB380_595:                            ;   in Loop: Header=BB380_401 Depth=1
	s_delay_alu instid0(SALU_CYCLE_1)
	s_or_b32 exec_lo, exec_lo, s7
.LBB380_596:                            ;   in Loop: Header=BB380_401 Depth=1
	s_delay_alu instid0(SALU_CYCLE_1) | instskip(NEXT) | instid1(VALU_DEP_1)
	s_or_b32 exec_lo, exec_lo, s6
	v_mul_f32_e32 v12, v50, v13
                                        ; implicit-def: $vgpr84
	s_delay_alu instid0(VALU_DEP_1) | instskip(NEXT) | instid1(VALU_DEP_1)
	v_and_b32_e32 v13, 0x7f800000, v12
	v_cmp_ne_u32_e64 s1, 0x7f800000, v13
	s_delay_alu instid0(VALU_DEP_1) | instskip(NEXT) | instid1(SALU_CYCLE_1)
	s_and_saveexec_b32 s6, s1
	s_xor_b32 s1, exec_lo, s6
; %bb.597:                              ;   in Loop: Header=BB380_401 Depth=1
	v_bfe_u32 v13, v12, 16, 1
	s_delay_alu instid0(VALU_DEP_1)
	v_add3_u32 v84, v12, v13, 0x7fff
                                        ; implicit-def: $vgpr12
; %bb.598:                              ;   in Loop: Header=BB380_401 Depth=1
	s_and_not1_saveexec_b32 s6, s1
; %bb.599:                              ;   in Loop: Header=BB380_401 Depth=1
	v_and_b32_e32 v13, 0xffff, v12
	v_or_b32_e32 v23, 0x10000, v12
	s_delay_alu instid0(VALU_DEP_2) | instskip(NEXT) | instid1(VALU_DEP_1)
	v_cmp_eq_u32_e64 s1, 0, v13
	v_cndmask_b32_e64 v84, v23, v12, s1
; %bb.600:                              ;   in Loop: Header=BB380_401 Depth=1
	s_or_b32 exec_lo, exec_lo, s6
	v_mov_b32_e32 v13, 0
	s_mov_b32 s6, exec_lo
	v_cmpx_lt_u32_e32 0xffffff, v10
	s_cbranch_execz .LBB380_608
; %bb.601:                              ;   in Loop: Header=BB380_401 Depth=1
	v_lshrrev_b32_e32 v12, 24, v10
	v_bfrev_b32_e32 v13, 1
	s_mov_b32 s7, exec_lo
	s_delay_alu instid0(VALU_DEP_2)
	v_cmpx_ne_u32_e32 0x80, v12
	s_cbranch_execz .LBB380_607
; %bb.602:                              ;   in Loop: Header=BB380_401 Depth=1
	v_bfe_u32 v85, v10, 24, 7
	v_mov_b32_e32 v13, 0x7f800001
	s_mov_b32 s15, exec_lo
	s_delay_alu instid0(VALU_DEP_2)
	v_cmpx_ne_u32_e32 0x7f, v85
	s_cbranch_execz .LBB380_606
; %bb.603:                              ;   in Loop: Header=BB380_401 Depth=1
	v_and_b32_e32 v23, 7, v12
	v_lshrrev_b32_e32 v13, 3, v85
	s_mov_b32 s16, exec_lo
	v_cmpx_gt_u32_e32 8, v85
; %bb.604:                              ;   in Loop: Header=BB380_401 Depth=1
	s_delay_alu instid0(VALU_DEP_3) | instskip(NEXT) | instid1(VALU_DEP_1)
	v_clz_i32_u32_e32 v13, v23
	v_min_u32_e32 v13, 32, v13
	s_delay_alu instid0(VALU_DEP_1) | instskip(SKIP_1) | instid1(VALU_DEP_2)
	v_subrev_nc_u32_e32 v85, 28, v13
	v_sub_nc_u32_e32 v13, 29, v13
	v_lshlrev_b64 v[85:86], v85, v[23:24]
	s_delay_alu instid0(VALU_DEP_1)
	v_and_b32_e32 v23, 7, v85
; %bb.605:                              ;   in Loop: Header=BB380_401 Depth=1
	s_or_b32 exec_lo, exec_lo, s16
	v_lshlrev_b32_e32 v12, 24, v12
	s_delay_alu instid0(VALU_DEP_2) | instskip(SKIP_1) | instid1(VALU_DEP_3)
	v_lshlrev_b32_e32 v23, 20, v23
	v_lshl_add_u32 v13, v13, 23, 0x3c000000
	v_and_b32_e32 v12, 0x80000000, v12
	s_delay_alu instid0(VALU_DEP_1)
	v_or3_b32 v13, v23, v12, v13
.LBB380_606:                            ;   in Loop: Header=BB380_401 Depth=1
	s_or_b32 exec_lo, exec_lo, s15
.LBB380_607:                            ;   in Loop: Header=BB380_401 Depth=1
	s_delay_alu instid0(SALU_CYCLE_1)
	s_or_b32 exec_lo, exec_lo, s7
.LBB380_608:                            ;   in Loop: Header=BB380_401 Depth=1
	s_delay_alu instid0(SALU_CYCLE_1) | instskip(NEXT) | instid1(VALU_DEP_1)
	s_or_b32 exec_lo, exec_lo, s6
	v_mul_f32_e32 v12, v50, v13
                                        ; implicit-def: $vgpr85
	s_delay_alu instid0(VALU_DEP_1) | instskip(NEXT) | instid1(VALU_DEP_1)
	v_and_b32_e32 v13, 0x7f800000, v12
	v_cmp_ne_u32_e64 s1, 0x7f800000, v13
	s_delay_alu instid0(VALU_DEP_1) | instskip(NEXT) | instid1(SALU_CYCLE_1)
	s_and_saveexec_b32 s6, s1
	s_xor_b32 s1, exec_lo, s6
; %bb.609:                              ;   in Loop: Header=BB380_401 Depth=1
	v_bfe_u32 v13, v12, 16, 1
	s_delay_alu instid0(VALU_DEP_1)
	v_add3_u32 v85, v12, v13, 0x7fff
                                        ; implicit-def: $vgpr12
; %bb.610:                              ;   in Loop: Header=BB380_401 Depth=1
	s_and_not1_saveexec_b32 s6, s1
; %bb.611:                              ;   in Loop: Header=BB380_401 Depth=1
	v_and_b32_e32 v13, 0xffff, v12
	v_or_b32_e32 v23, 0x10000, v12
	s_delay_alu instid0(VALU_DEP_2) | instskip(NEXT) | instid1(VALU_DEP_1)
	v_cmp_eq_u32_e64 s1, 0, v13
	v_cndmask_b32_e64 v85, v23, v12, s1
; %bb.612:                              ;   in Loop: Header=BB380_401 Depth=1
	s_or_b32 exec_lo, exec_lo, s6
	v_dual_mov_b32 v12, 0 :: v_dual_and_b32 v13, 0xff, v11
	v_mov_b32_e32 v23, v11
	s_mov_b32 s6, exec_lo
	s_delay_alu instid0(VALU_DEP_2)
	v_cmpx_ne_u16_e32 0, v13
	s_cbranch_execz .LBB380_620
; %bb.613:                              ;   in Loop: Header=BB380_401 Depth=1
	v_bfrev_b32_e32 v12, 1
	s_mov_b32 s7, exec_lo
	v_cmpx_ne_u16_e32 0x80, v13
	s_cbranch_execz .LBB380_619
; %bb.614:                              ;   in Loop: Header=BB380_401 Depth=1
	v_and_b32_e32 v13, 0x7f, v11
	v_mov_b32_e32 v12, 0x7f800001
	s_mov_b32 s15, exec_lo
	s_delay_alu instid0(VALU_DEP_2)
	v_cmpx_ne_u32_e32 0x7f, v13
	s_cbranch_execz .LBB380_618
; %bb.615:                              ;   in Loop: Header=BB380_401 Depth=1
	v_lshrrev_b32_e32 v86, 3, v13
	v_cmp_gt_u32_e64 s1, 8, v13
	v_dual_mov_b32 v12, v23 :: v_dual_mov_b32 v13, v24
	s_delay_alu instid0(VALU_DEP_2)
	s_and_saveexec_b32 s16, s1
; %bb.616:                              ;   in Loop: Header=BB380_401 Depth=1
	v_and_b32_e32 v12, 7, v11
	s_delay_alu instid0(VALU_DEP_1) | instskip(NEXT) | instid1(VALU_DEP_1)
	v_clz_i32_u32_e32 v12, v12
	v_min_u32_e32 v86, 32, v12
	s_delay_alu instid0(VALU_DEP_1) | instskip(SKIP_1) | instid1(VALU_DEP_2)
	v_subrev_nc_u32_e32 v12, 28, v86
	v_sub_nc_u32_e32 v86, 29, v86
	v_lshlrev_b64 v[12:13], v12, v[23:24]
; %bb.617:                              ;   in Loop: Header=BB380_401 Depth=1
	s_or_b32 exec_lo, exec_lo, s16
	s_delay_alu instid0(VALU_DEP_1) | instskip(SKIP_2) | instid1(VALU_DEP_3)
	v_lshlrev_b32_e32 v12, 20, v12
	v_lshlrev_b32_e32 v13, 24, v23
	v_lshl_add_u32 v86, v86, 23, 0x3c000000
	v_and_b32_e32 v12, 0x700000, v12
	s_delay_alu instid0(VALU_DEP_3) | instskip(NEXT) | instid1(VALU_DEP_1)
	v_and_b32_e32 v13, 0x80000000, v13
	v_or3_b32 v12, v12, v13, v86
.LBB380_618:                            ;   in Loop: Header=BB380_401 Depth=1
	s_or_b32 exec_lo, exec_lo, s15
.LBB380_619:                            ;   in Loop: Header=BB380_401 Depth=1
	s_delay_alu instid0(SALU_CYCLE_1)
	s_or_b32 exec_lo, exec_lo, s7
.LBB380_620:                            ;   in Loop: Header=BB380_401 Depth=1
	s_delay_alu instid0(SALU_CYCLE_1) | instskip(NEXT) | instid1(VALU_DEP_1)
	s_or_b32 exec_lo, exec_lo, s6
	v_mul_f32_e32 v12, v50, v12
                                        ; implicit-def: $vgpr86
	s_delay_alu instid0(VALU_DEP_1) | instskip(NEXT) | instid1(VALU_DEP_1)
	v_and_b32_e32 v13, 0x7f800000, v12
	v_cmp_ne_u32_e64 s1, 0x7f800000, v13
	s_delay_alu instid0(VALU_DEP_1) | instskip(NEXT) | instid1(SALU_CYCLE_1)
	s_and_saveexec_b32 s6, s1
	s_xor_b32 s1, exec_lo, s6
; %bb.621:                              ;   in Loop: Header=BB380_401 Depth=1
	v_bfe_u32 v13, v12, 16, 1
	s_delay_alu instid0(VALU_DEP_1)
	v_add3_u32 v86, v12, v13, 0x7fff
                                        ; implicit-def: $vgpr12
; %bb.622:                              ;   in Loop: Header=BB380_401 Depth=1
	s_and_not1_saveexec_b32 s6, s1
; %bb.623:                              ;   in Loop: Header=BB380_401 Depth=1
	v_and_b32_e32 v13, 0xffff, v12
	v_or_b32_e32 v86, 0x10000, v12
	s_delay_alu instid0(VALU_DEP_2) | instskip(NEXT) | instid1(VALU_DEP_1)
	v_cmp_eq_u32_e64 s1, 0, v13
	v_cndmask_b32_e64 v86, v86, v12, s1
; %bb.624:                              ;   in Loop: Header=BB380_401 Depth=1
	s_or_b32 exec_lo, exec_lo, s6
	v_lshrrev_b16 v13, 8, v23
	v_mov_b32_e32 v12, 0
	s_mov_b32 s6, exec_lo
	s_delay_alu instid0(VALU_DEP_2)
	v_cmpx_ne_u16_e32 0, v13
	s_cbranch_execz .LBB380_632
; %bb.625:                              ;   in Loop: Header=BB380_401 Depth=1
	v_bfrev_b32_e32 v12, 1
	s_mov_b32 s7, exec_lo
	v_cmpx_ne_u16_e32 0x80, v13
	s_cbranch_execz .LBB380_631
; %bb.626:                              ;   in Loop: Header=BB380_401 Depth=1
	v_and_b32_e32 v13, 0xffff, v13
	v_mov_b32_e32 v12, 0x7f800001
	s_mov_b32 s15, exec_lo
	s_delay_alu instid0(VALU_DEP_2) | instskip(NEXT) | instid1(VALU_DEP_1)
	v_and_b32_e32 v96, 0x7f, v13
	v_cmpx_ne_u32_e32 0x7f, v96
	s_cbranch_execz .LBB380_630
; %bb.627:                              ;   in Loop: Header=BB380_401 Depth=1
	v_dual_mov_b32 v13, v24 :: v_dual_and_b32 v12, 7, v13
	v_lshrrev_b32_e32 v87, 3, v96
	s_mov_b32 s16, exec_lo
	v_cmpx_gt_u32_e32 8, v96
; %bb.628:                              ;   in Loop: Header=BB380_401 Depth=1
	s_delay_alu instid0(VALU_DEP_3) | instskip(NEXT) | instid1(VALU_DEP_1)
	v_clz_i32_u32_e32 v87, v12
	v_min_u32_e32 v87, 32, v87
	s_delay_alu instid0(VALU_DEP_1) | instskip(SKIP_1) | instid1(VALU_DEP_2)
	v_subrev_nc_u32_e32 v96, 28, v87
	v_sub_nc_u32_e32 v87, 29, v87
	v_lshlrev_b64 v[12:13], v96, v[12:13]
	s_delay_alu instid0(VALU_DEP_1)
	v_and_b32_e32 v12, 7, v12
; %bb.629:                              ;   in Loop: Header=BB380_401 Depth=1
	s_or_b32 exec_lo, exec_lo, s16
	v_lshlrev_b32_e32 v13, 16, v23
	s_delay_alu instid0(VALU_DEP_2) | instskip(SKIP_1) | instid1(VALU_DEP_3)
	v_lshlrev_b32_e32 v12, 20, v12
	v_lshl_add_u32 v23, v87, 23, 0x3c000000
	v_and_b32_e32 v13, 0x80000000, v13
	s_delay_alu instid0(VALU_DEP_1)
	v_or3_b32 v12, v12, v13, v23
.LBB380_630:                            ;   in Loop: Header=BB380_401 Depth=1
	s_or_b32 exec_lo, exec_lo, s15
.LBB380_631:                            ;   in Loop: Header=BB380_401 Depth=1
	s_delay_alu instid0(SALU_CYCLE_1)
	s_or_b32 exec_lo, exec_lo, s7
.LBB380_632:                            ;   in Loop: Header=BB380_401 Depth=1
	s_delay_alu instid0(SALU_CYCLE_1) | instskip(NEXT) | instid1(VALU_DEP_1)
	s_or_b32 exec_lo, exec_lo, s6
	v_mul_f32_e32 v13, v50, v12
	s_delay_alu instid0(VALU_DEP_1) | instskip(NEXT) | instid1(VALU_DEP_1)
	v_and_b32_e32 v12, 0x7f800000, v13
	v_cmp_ne_u32_e64 s1, 0x7f800000, v12
                                        ; implicit-def: $vgpr12
	s_delay_alu instid0(VALU_DEP_1) | instskip(NEXT) | instid1(SALU_CYCLE_1)
	s_and_saveexec_b32 s6, s1
	s_xor_b32 s1, exec_lo, s6
; %bb.633:                              ;   in Loop: Header=BB380_401 Depth=1
	v_bfe_u32 v12, v13, 16, 1
	s_delay_alu instid0(VALU_DEP_1)
	v_add3_u32 v12, v13, v12, 0x7fff
                                        ; implicit-def: $vgpr13
; %bb.634:                              ;   in Loop: Header=BB380_401 Depth=1
	s_and_not1_saveexec_b32 s6, s1
; %bb.635:                              ;   in Loop: Header=BB380_401 Depth=1
	v_and_b32_e32 v12, 0xffff, v13
	v_or_b32_e32 v23, 0x10000, v13
	s_delay_alu instid0(VALU_DEP_2) | instskip(NEXT) | instid1(VALU_DEP_1)
	v_cmp_eq_u32_e64 s1, 0, v12
	v_cndmask_b32_e64 v12, v23, v13, s1
; %bb.636:                              ;   in Loop: Header=BB380_401 Depth=1
	s_or_b32 exec_lo, exec_lo, s6
	v_lshrrev_b32_e32 v13, 16, v11
	v_mov_b32_e32 v23, 0
	s_mov_b32 s6, exec_lo
	s_delay_alu instid0(VALU_DEP_2) | instskip(NEXT) | instid1(VALU_DEP_1)
	v_and_b32_e32 v87, 0xff, v13
	v_cmpx_ne_u16_e32 0, v87
	s_cbranch_execz .LBB380_644
; %bb.637:                              ;   in Loop: Header=BB380_401 Depth=1
	v_bfrev_b32_e32 v23, 1
	s_mov_b32 s7, exec_lo
	v_cmpx_ne_u16_e32 0x80, v87
	s_cbranch_execz .LBB380_643
; %bb.638:                              ;   in Loop: Header=BB380_401 Depth=1
	v_bfe_u32 v96, v11, 16, 7
	v_mov_b32_e32 v23, 0x7f800001
	s_mov_b32 s15, exec_lo
	s_delay_alu instid0(VALU_DEP_2)
	v_cmpx_ne_u32_e32 0x7f, v96
	s_cbranch_execz .LBB380_642
; %bb.639:                              ;   in Loop: Header=BB380_401 Depth=1
	v_and_b32_e32 v23, 7, v13
	v_lshrrev_b32_e32 v87, 3, v96
	s_mov_b32 s16, exec_lo
	v_cmpx_gt_u32_e32 8, v96
; %bb.640:                              ;   in Loop: Header=BB380_401 Depth=1
	s_delay_alu instid0(VALU_DEP_3) | instskip(NEXT) | instid1(VALU_DEP_1)
	v_clz_i32_u32_e32 v87, v23
	v_min_u32_e32 v87, 32, v87
	s_delay_alu instid0(VALU_DEP_1) | instskip(SKIP_1) | instid1(VALU_DEP_2)
	v_subrev_nc_u32_e32 v96, 28, v87
	v_sub_nc_u32_e32 v87, 29, v87
	v_lshlrev_b64 v[96:97], v96, v[23:24]
	s_delay_alu instid0(VALU_DEP_1)
	v_and_b32_e32 v23, 7, v96
; %bb.641:                              ;   in Loop: Header=BB380_401 Depth=1
	s_or_b32 exec_lo, exec_lo, s16
	v_lshlrev_b32_e32 v13, 24, v13
	s_delay_alu instid0(VALU_DEP_2) | instskip(SKIP_1) | instid1(VALU_DEP_3)
	v_lshlrev_b32_e32 v23, 20, v23
	v_lshl_add_u32 v87, v87, 23, 0x3c000000
	v_and_b32_e32 v13, 0x80000000, v13
	s_delay_alu instid0(VALU_DEP_1)
	v_or3_b32 v23, v23, v13, v87
.LBB380_642:                            ;   in Loop: Header=BB380_401 Depth=1
	s_or_b32 exec_lo, exec_lo, s15
.LBB380_643:                            ;   in Loop: Header=BB380_401 Depth=1
	s_delay_alu instid0(SALU_CYCLE_1)
	s_or_b32 exec_lo, exec_lo, s7
.LBB380_644:                            ;   in Loop: Header=BB380_401 Depth=1
	s_delay_alu instid0(SALU_CYCLE_1) | instskip(NEXT) | instid1(VALU_DEP_1)
	s_or_b32 exec_lo, exec_lo, s6
	v_mul_f32_e32 v23, v50, v23
	s_delay_alu instid0(VALU_DEP_1) | instskip(NEXT) | instid1(VALU_DEP_1)
	v_and_b32_e32 v13, 0x7f800000, v23
	v_cmp_ne_u32_e64 s1, 0x7f800000, v13
                                        ; implicit-def: $vgpr13
	s_delay_alu instid0(VALU_DEP_1) | instskip(NEXT) | instid1(SALU_CYCLE_1)
	s_and_saveexec_b32 s6, s1
	s_xor_b32 s1, exec_lo, s6
; %bb.645:                              ;   in Loop: Header=BB380_401 Depth=1
	v_bfe_u32 v13, v23, 16, 1
	s_delay_alu instid0(VALU_DEP_1)
	v_add3_u32 v13, v23, v13, 0x7fff
                                        ; implicit-def: $vgpr23
; %bb.646:                              ;   in Loop: Header=BB380_401 Depth=1
	s_and_not1_saveexec_b32 s6, s1
; %bb.647:                              ;   in Loop: Header=BB380_401 Depth=1
	v_and_b32_e32 v13, 0xffff, v23
	v_or_b32_e32 v87, 0x10000, v23
	s_delay_alu instid0(VALU_DEP_2) | instskip(NEXT) | instid1(VALU_DEP_1)
	v_cmp_eq_u32_e64 s1, 0, v13
	v_cndmask_b32_e64 v13, v87, v23, s1
; %bb.648:                              ;   in Loop: Header=BB380_401 Depth=1
	s_or_b32 exec_lo, exec_lo, s6
	v_mov_b32_e32 v23, 0
	s_mov_b32 s6, exec_lo
	v_cmpx_lt_u64_e64 s[12:13], v[10:11]
	s_cbranch_execz .LBB380_656
; %bb.649:                              ;   in Loop: Header=BB380_401 Depth=1
	v_lshrrev_b32_e32 v10, 24, v11
	v_bfrev_b32_e32 v23, 1
	s_mov_b32 s7, exec_lo
	s_delay_alu instid0(VALU_DEP_2)
	v_cmpx_ne_u32_e32 0x80, v10
	s_cbranch_execz .LBB380_655
; %bb.650:                              ;   in Loop: Header=BB380_401 Depth=1
	v_bfe_u32 v87, v11, 24, 7
	v_mov_b32_e32 v23, 0x7f800001
	s_mov_b32 s15, exec_lo
	s_delay_alu instid0(VALU_DEP_2)
	v_cmpx_ne_u32_e32 0x7f, v87
	s_cbranch_execz .LBB380_654
; %bb.651:                              ;   in Loop: Header=BB380_401 Depth=1
	v_and_b32_e32 v23, 7, v10
	v_lshrrev_b32_e32 v11, 3, v87
	s_mov_b32 s16, exec_lo
	v_cmpx_gt_u32_e32 8, v87
; %bb.652:                              ;   in Loop: Header=BB380_401 Depth=1
	s_delay_alu instid0(VALU_DEP_3) | instskip(NEXT) | instid1(VALU_DEP_1)
	v_clz_i32_u32_e32 v11, v23
	v_min_u32_e32 v11, 32, v11
	s_delay_alu instid0(VALU_DEP_1) | instskip(SKIP_1) | instid1(VALU_DEP_2)
	v_subrev_nc_u32_e32 v87, 28, v11
	v_sub_nc_u32_e32 v11, 29, v11
	v_lshlrev_b64 v[96:97], v87, v[23:24]
	s_delay_alu instid0(VALU_DEP_1)
	v_and_b32_e32 v23, 7, v96
; %bb.653:                              ;   in Loop: Header=BB380_401 Depth=1
	s_or_b32 exec_lo, exec_lo, s16
	v_lshlrev_b32_e32 v10, 24, v10
	s_delay_alu instid0(VALU_DEP_2) | instskip(SKIP_1) | instid1(VALU_DEP_3)
	v_lshlrev_b32_e32 v23, 20, v23
	v_lshl_add_u32 v11, v11, 23, 0x3c000000
	v_and_b32_e32 v10, 0x80000000, v10
	s_delay_alu instid0(VALU_DEP_1)
	v_or3_b32 v23, v23, v10, v11
.LBB380_654:                            ;   in Loop: Header=BB380_401 Depth=1
	s_or_b32 exec_lo, exec_lo, s15
.LBB380_655:                            ;   in Loop: Header=BB380_401 Depth=1
	s_delay_alu instid0(SALU_CYCLE_1)
	s_or_b32 exec_lo, exec_lo, s7
.LBB380_656:                            ;   in Loop: Header=BB380_401 Depth=1
	s_delay_alu instid0(SALU_CYCLE_1) | instskip(NEXT) | instid1(VALU_DEP_1)
	s_or_b32 exec_lo, exec_lo, s6
	v_mul_f32_e32 v11, v50, v23
	s_delay_alu instid0(VALU_DEP_1) | instskip(NEXT) | instid1(VALU_DEP_1)
	v_and_b32_e32 v10, 0x7f800000, v11
	v_cmp_ne_u32_e64 s1, 0x7f800000, v10
                                        ; implicit-def: $vgpr10
	s_delay_alu instid0(VALU_DEP_1) | instskip(NEXT) | instid1(SALU_CYCLE_1)
	s_and_saveexec_b32 s6, s1
	s_xor_b32 s1, exec_lo, s6
; %bb.657:                              ;   in Loop: Header=BB380_401 Depth=1
	v_bfe_u32 v10, v11, 16, 1
	s_delay_alu instid0(VALU_DEP_1)
	v_add3_u32 v10, v11, v10, 0x7fff
                                        ; implicit-def: $vgpr11
; %bb.658:                              ;   in Loop: Header=BB380_401 Depth=1
	s_and_not1_saveexec_b32 s6, s1
; %bb.659:                              ;   in Loop: Header=BB380_401 Depth=1
	v_and_b32_e32 v10, 0xffff, v11
	v_or_b32_e32 v23, 0x10000, v11
	s_delay_alu instid0(VALU_DEP_2) | instskip(NEXT) | instid1(VALU_DEP_1)
	v_cmp_eq_u32_e64 s1, 0, v10
	v_cndmask_b32_e64 v10, v23, v11, s1
; %bb.660:                              ;   in Loop: Header=BB380_401 Depth=1
	s_or_b32 exec_lo, exec_lo, s6
	v_lshrrev_b32_e32 v23, 16, v12
	v_lshrrev_b32_e32 v86, 16, v86
	;; [unrolled: 1-line block ×8, first 2 shown]
	s_and_saveexec_b32 s6, s0
	s_cbranch_execz .LBB380_662
; %bb.661:                              ;   in Loop: Header=BB380_401 Depth=1
	v_add_nc_u32_e32 v13, 1, v68
	v_cmp_lt_i32_e64 s1, v68, v64
	v_add_nc_u32_e32 v82, 2, v68
	v_add_nc_u32_e32 v87, 3, v68
	s_delay_alu instid0(VALU_DEP_3) | instskip(SKIP_2) | instid1(VALU_DEP_2)
	v_cndmask_b32_e64 v12, 0, v12, s1
	v_cmp_lt_i32_e64 s1, v13, v64
	v_add_nc_u32_e32 v13, 4, v68
	v_cndmask_b32_e64 v83, 0, v83, s1
	v_cmp_lt_i32_e64 s1, v82, v64
	v_add_nc_u32_e32 v82, 5, v68
	s_delay_alu instid0(VALU_DEP_2) | instskip(SKIP_2) | instid1(VALU_DEP_2)
	v_cndmask_b32_e64 v84, 0, v84, s1
	v_cmp_lt_i32_e64 s1, v87, v64
	v_add_nc_u32_e32 v87, 6, v68
	v_cndmask_b32_e64 v85, 0, v85, s1
	v_cmp_lt_i32_e64 s1, v13, v64
	v_add_nc_u32_e32 v13, 7, v68
	s_delay_alu instid0(VALU_DEP_2) | instskip(SKIP_1) | instid1(VALU_DEP_1)
	v_cndmask_b32_e64 v86, 0, v86, s1
	v_cmp_lt_i32_e64 s1, v82, v64
	v_cndmask_b32_e64 v23, 0, v23, s1
	v_cmp_lt_i32_e64 s1, v87, v64
	s_delay_alu instid0(VALU_DEP_1) | instskip(SKIP_1) | instid1(VALU_DEP_1)
	v_cndmask_b32_e64 v11, 0, v11, s1
	v_cmp_lt_i32_e64 s1, v13, v64
	v_cndmask_b32_e64 v10, 0, v10, s1
.LBB380_662:                            ;   in Loop: Header=BB380_401 Depth=1
	s_or_b32 exec_lo, exec_lo, s6
	v_lshlrev_b32_e32 v12, 16, v12
	s_delay_alu instid0(VALU_DEP_1) | instskip(NEXT) | instid1(VALU_DEP_1)
	v_mul_f32_e32 v13, v33, v12
	v_and_b32_e32 v12, 0x7f800000, v13
	s_delay_alu instid0(VALU_DEP_1) | instskip(NEXT) | instid1(VALU_DEP_1)
	v_cmp_ne_u32_e64 s1, 0x7f800000, v12
                                        ; implicit-def: $vgpr12
	s_and_saveexec_b32 s6, s1
	s_delay_alu instid0(SALU_CYCLE_1)
	s_xor_b32 s1, exec_lo, s6
; %bb.663:                              ;   in Loop: Header=BB380_401 Depth=1
	v_bfe_u32 v12, v13, 16, 1
	s_delay_alu instid0(VALU_DEP_1)
	v_add3_u32 v12, v13, v12, 0x7fff
                                        ; implicit-def: $vgpr13
; %bb.664:                              ;   in Loop: Header=BB380_401 Depth=1
	s_and_not1_saveexec_b32 s6, s1
; %bb.665:                              ;   in Loop: Header=BB380_401 Depth=1
	v_and_b32_e32 v12, 0xffff, v13
	v_or_b32_e32 v82, 0x10000, v13
	s_delay_alu instid0(VALU_DEP_2) | instskip(NEXT) | instid1(VALU_DEP_1)
	v_cmp_eq_u32_e64 s1, 0, v12
	v_cndmask_b32_e64 v12, v82, v13, s1
; %bb.666:                              ;   in Loop: Header=BB380_401 Depth=1
	s_or_b32 exec_lo, exec_lo, s6
	v_lshlrev_b32_e32 v13, 16, v83
	s_delay_alu instid0(VALU_DEP_1) | instskip(NEXT) | instid1(VALU_DEP_1)
	v_mul_f32_e32 v82, v34, v13
	v_and_b32_e32 v13, 0x7f800000, v82
	s_delay_alu instid0(VALU_DEP_1) | instskip(NEXT) | instid1(VALU_DEP_1)
	v_cmp_ne_u32_e64 s1, 0x7f800000, v13
                                        ; implicit-def: $vgpr13
	s_and_saveexec_b32 s6, s1
	s_delay_alu instid0(SALU_CYCLE_1)
	s_xor_b32 s1, exec_lo, s6
; %bb.667:                              ;   in Loop: Header=BB380_401 Depth=1
	v_bfe_u32 v13, v82, 16, 1
	s_delay_alu instid0(VALU_DEP_1)
	v_add3_u32 v13, v82, v13, 0x7fff
                                        ; implicit-def: $vgpr82
; %bb.668:                              ;   in Loop: Header=BB380_401 Depth=1
	s_and_not1_saveexec_b32 s6, s1
; %bb.669:                              ;   in Loop: Header=BB380_401 Depth=1
	v_and_b32_e32 v13, 0xffff, v82
	v_or_b32_e32 v83, 0x10000, v82
	s_delay_alu instid0(VALU_DEP_2) | instskip(NEXT) | instid1(VALU_DEP_1)
	v_cmp_eq_u32_e64 s1, 0, v13
	v_cndmask_b32_e64 v13, v83, v82, s1
; %bb.670:                              ;   in Loop: Header=BB380_401 Depth=1
	s_or_b32 exec_lo, exec_lo, s6
	v_lshlrev_b32_e32 v82, 16, v84
	s_delay_alu instid0(VALU_DEP_1) | instskip(NEXT) | instid1(VALU_DEP_1)
	v_mul_f32_e32 v83, v35, v82
	v_and_b32_e32 v82, 0x7f800000, v83
	s_delay_alu instid0(VALU_DEP_1) | instskip(NEXT) | instid1(VALU_DEP_1)
	v_cmp_ne_u32_e64 s1, 0x7f800000, v82
                                        ; implicit-def: $vgpr82
	s_and_saveexec_b32 s6, s1
	s_delay_alu instid0(SALU_CYCLE_1)
	s_xor_b32 s1, exec_lo, s6
; %bb.671:                              ;   in Loop: Header=BB380_401 Depth=1
	v_bfe_u32 v82, v83, 16, 1
	s_delay_alu instid0(VALU_DEP_1)
	v_add3_u32 v82, v83, v82, 0x7fff
                                        ; implicit-def: $vgpr83
; %bb.672:                              ;   in Loop: Header=BB380_401 Depth=1
	s_and_not1_saveexec_b32 s6, s1
; %bb.673:                              ;   in Loop: Header=BB380_401 Depth=1
	v_and_b32_e32 v82, 0xffff, v83
	v_or_b32_e32 v84, 0x10000, v83
	s_delay_alu instid0(VALU_DEP_2) | instskip(NEXT) | instid1(VALU_DEP_1)
	v_cmp_eq_u32_e64 s1, 0, v82
	v_cndmask_b32_e64 v82, v84, v83, s1
; %bb.674:                              ;   in Loop: Header=BB380_401 Depth=1
	s_or_b32 exec_lo, exec_lo, s6
	v_lshlrev_b32_e32 v83, 16, v85
	s_delay_alu instid0(VALU_DEP_1) | instskip(NEXT) | instid1(VALU_DEP_1)
	v_mul_f32_e32 v84, v36, v83
	v_and_b32_e32 v83, 0x7f800000, v84
	s_delay_alu instid0(VALU_DEP_1) | instskip(NEXT) | instid1(VALU_DEP_1)
	v_cmp_ne_u32_e64 s1, 0x7f800000, v83
                                        ; implicit-def: $vgpr83
	s_and_saveexec_b32 s6, s1
	s_delay_alu instid0(SALU_CYCLE_1)
	s_xor_b32 s1, exec_lo, s6
; %bb.675:                              ;   in Loop: Header=BB380_401 Depth=1
	v_bfe_u32 v83, v84, 16, 1
	s_delay_alu instid0(VALU_DEP_1)
	v_add3_u32 v83, v84, v83, 0x7fff
                                        ; implicit-def: $vgpr84
; %bb.676:                              ;   in Loop: Header=BB380_401 Depth=1
	s_and_not1_saveexec_b32 s6, s1
; %bb.677:                              ;   in Loop: Header=BB380_401 Depth=1
	v_and_b32_e32 v83, 0xffff, v84
	v_or_b32_e32 v85, 0x10000, v84
	s_delay_alu instid0(VALU_DEP_2) | instskip(NEXT) | instid1(VALU_DEP_1)
	v_cmp_eq_u32_e64 s1, 0, v83
	v_cndmask_b32_e64 v83, v85, v84, s1
; %bb.678:                              ;   in Loop: Header=BB380_401 Depth=1
	s_or_b32 exec_lo, exec_lo, s6
	v_lshlrev_b32_e32 v84, 16, v86
	s_delay_alu instid0(VALU_DEP_1) | instskip(NEXT) | instid1(VALU_DEP_1)
	v_mul_f32_e32 v85, v37, v84
	v_and_b32_e32 v84, 0x7f800000, v85
	s_delay_alu instid0(VALU_DEP_1) | instskip(NEXT) | instid1(VALU_DEP_1)
	v_cmp_ne_u32_e64 s1, 0x7f800000, v84
                                        ; implicit-def: $vgpr84
	s_and_saveexec_b32 s6, s1
	s_delay_alu instid0(SALU_CYCLE_1)
	s_xor_b32 s1, exec_lo, s6
; %bb.679:                              ;   in Loop: Header=BB380_401 Depth=1
	v_bfe_u32 v84, v85, 16, 1
	s_delay_alu instid0(VALU_DEP_1)
	v_add3_u32 v84, v85, v84, 0x7fff
                                        ; implicit-def: $vgpr85
; %bb.680:                              ;   in Loop: Header=BB380_401 Depth=1
	s_and_not1_saveexec_b32 s6, s1
; %bb.681:                              ;   in Loop: Header=BB380_401 Depth=1
	v_and_b32_e32 v84, 0xffff, v85
	v_or_b32_e32 v86, 0x10000, v85
	s_delay_alu instid0(VALU_DEP_2) | instskip(NEXT) | instid1(VALU_DEP_1)
	v_cmp_eq_u32_e64 s1, 0, v84
	v_cndmask_b32_e64 v84, v86, v85, s1
; %bb.682:                              ;   in Loop: Header=BB380_401 Depth=1
	s_or_b32 exec_lo, exec_lo, s6
	v_lshlrev_b32_e32 v23, 16, v23
	s_delay_alu instid0(VALU_DEP_1) | instskip(NEXT) | instid1(VALU_DEP_1)
	v_mul_f32_e32 v23, v38, v23
	v_and_b32_e32 v85, 0x7f800000, v23
	s_delay_alu instid0(VALU_DEP_1) | instskip(NEXT) | instid1(VALU_DEP_1)
	v_cmp_ne_u32_e64 s1, 0x7f800000, v85
                                        ; implicit-def: $vgpr85
	s_and_saveexec_b32 s6, s1
	s_delay_alu instid0(SALU_CYCLE_1)
	s_xor_b32 s1, exec_lo, s6
; %bb.683:                              ;   in Loop: Header=BB380_401 Depth=1
	v_bfe_u32 v85, v23, 16, 1
	s_delay_alu instid0(VALU_DEP_1)
	v_add3_u32 v85, v23, v85, 0x7fff
                                        ; implicit-def: $vgpr23
; %bb.684:                              ;   in Loop: Header=BB380_401 Depth=1
	s_and_not1_saveexec_b32 s6, s1
; %bb.685:                              ;   in Loop: Header=BB380_401 Depth=1
	v_and_b32_e32 v85, 0xffff, v23
	v_or_b32_e32 v86, 0x10000, v23
	s_delay_alu instid0(VALU_DEP_2) | instskip(NEXT) | instid1(VALU_DEP_1)
	v_cmp_eq_u32_e64 s1, 0, v85
	v_cndmask_b32_e64 v85, v86, v23, s1
; %bb.686:                              ;   in Loop: Header=BB380_401 Depth=1
	s_or_b32 exec_lo, exec_lo, s6
	v_lshlrev_b32_e32 v11, 16, v11
                                        ; implicit-def: $vgpr86
	s_delay_alu instid0(VALU_DEP_1) | instskip(NEXT) | instid1(VALU_DEP_1)
	v_mul_f32_e32 v11, v48, v11
	v_and_b32_e32 v23, 0x7f800000, v11
	s_delay_alu instid0(VALU_DEP_1) | instskip(NEXT) | instid1(VALU_DEP_1)
	v_cmp_ne_u32_e64 s1, 0x7f800000, v23
	s_and_saveexec_b32 s6, s1
	s_delay_alu instid0(SALU_CYCLE_1)
	s_xor_b32 s1, exec_lo, s6
; %bb.687:                              ;   in Loop: Header=BB380_401 Depth=1
	v_bfe_u32 v23, v11, 16, 1
	s_delay_alu instid0(VALU_DEP_1)
	v_add3_u32 v86, v11, v23, 0x7fff
                                        ; implicit-def: $vgpr11
; %bb.688:                              ;   in Loop: Header=BB380_401 Depth=1
	s_and_not1_saveexec_b32 s6, s1
; %bb.689:                              ;   in Loop: Header=BB380_401 Depth=1
	v_and_b32_e32 v23, 0xffff, v11
	v_or_b32_e32 v86, 0x10000, v11
	s_delay_alu instid0(VALU_DEP_2) | instskip(NEXT) | instid1(VALU_DEP_1)
	v_cmp_eq_u32_e64 s1, 0, v23
	v_cndmask_b32_e64 v86, v86, v11, s1
; %bb.690:                              ;   in Loop: Header=BB380_401 Depth=1
	s_or_b32 exec_lo, exec_lo, s6
	v_lshlrev_b32_e32 v10, 16, v10
                                        ; implicit-def: $vgpr87
	s_delay_alu instid0(VALU_DEP_1) | instskip(NEXT) | instid1(VALU_DEP_1)
	v_mul_f32_e32 v10, v49, v10
	v_and_b32_e32 v11, 0x7f800000, v10
	s_delay_alu instid0(VALU_DEP_1) | instskip(NEXT) | instid1(VALU_DEP_1)
	v_cmp_ne_u32_e64 s1, 0x7f800000, v11
	s_and_saveexec_b32 s6, s1
	s_delay_alu instid0(SALU_CYCLE_1)
	s_xor_b32 s1, exec_lo, s6
; %bb.691:                              ;   in Loop: Header=BB380_401 Depth=1
	v_bfe_u32 v11, v10, 16, 1
	s_delay_alu instid0(VALU_DEP_1)
	v_add3_u32 v87, v10, v11, 0x7fff
                                        ; implicit-def: $vgpr10
; %bb.692:                              ;   in Loop: Header=BB380_401 Depth=1
	s_and_not1_saveexec_b32 s6, s1
; %bb.693:                              ;   in Loop: Header=BB380_401 Depth=1
	v_and_b32_e32 v11, 0xffff, v10
	v_or_b32_e32 v23, 0x10000, v10
	s_delay_alu instid0(VALU_DEP_2) | instskip(NEXT) | instid1(VALU_DEP_1)
	v_cmp_eq_u32_e64 s1, 0, v11
	v_cndmask_b32_e64 v87, v23, v10, s1
; %bb.694:                              ;   in Loop: Header=BB380_401 Depth=1
	s_or_b32 exec_lo, exec_lo, s6
	flat_load_b64 v[8:9], v[8:9] offset:512
	s_mov_b32 s6, exec_lo
	s_waitcnt vmcnt(0) lgkmcnt(0)
	v_dual_mov_b32 v10, 0 :: v_dual_and_b32 v11, 0xff, v8
	s_delay_alu instid0(VALU_DEP_1)
	v_cmpx_ne_u16_e32 0, v11
	s_cbranch_execz .LBB380_702
; %bb.695:                              ;   in Loop: Header=BB380_401 Depth=1
	v_bfrev_b32_e32 v10, 1
	s_mov_b32 s7, exec_lo
	v_cmpx_ne_u16_e32 0x80, v11
	s_cbranch_execz .LBB380_701
; %bb.696:                              ;   in Loop: Header=BB380_401 Depth=1
	v_and_b32_e32 v11, 0x7f, v8
	v_mov_b32_e32 v10, 0x7f800001
	s_mov_b32 s15, exec_lo
	s_delay_alu instid0(VALU_DEP_2)
	v_cmpx_ne_u32_e32 0x7f, v11
	s_cbranch_execz .LBB380_700
; %bb.697:                              ;   in Loop: Header=BB380_401 Depth=1
	v_lshrrev_b32_e32 v23, 3, v11
	v_cmp_gt_u32_e64 s1, 8, v11
	v_dual_mov_b32 v11, v9 :: v_dual_mov_b32 v10, v8
	s_delay_alu instid0(VALU_DEP_2)
	s_and_saveexec_b32 s16, s1
; %bb.698:                              ;   in Loop: Header=BB380_401 Depth=1
	v_and_b32_e32 v10, 7, v8
	s_delay_alu instid0(VALU_DEP_1) | instskip(NEXT) | instid1(VALU_DEP_1)
	v_clz_i32_u32_e32 v10, v10
	v_min_u32_e32 v23, 32, v10
	s_delay_alu instid0(VALU_DEP_1) | instskip(SKIP_1) | instid1(VALU_DEP_2)
	v_subrev_nc_u32_e32 v10, 28, v23
	v_sub_nc_u32_e32 v23, 29, v23
	v_lshlrev_b64 v[10:11], v10, v[8:9]
; %bb.699:                              ;   in Loop: Header=BB380_401 Depth=1
	s_or_b32 exec_lo, exec_lo, s16
	s_delay_alu instid0(VALU_DEP_1) | instskip(SKIP_2) | instid1(VALU_DEP_3)
	v_lshlrev_b32_e32 v10, 20, v10
	v_lshlrev_b32_e32 v11, 24, v8
	v_lshl_add_u32 v23, v23, 23, 0x3c000000
	v_and_b32_e32 v10, 0x700000, v10
	s_delay_alu instid0(VALU_DEP_3) | instskip(NEXT) | instid1(VALU_DEP_1)
	v_and_b32_e32 v11, 0x80000000, v11
	v_or3_b32 v10, v10, v11, v23
.LBB380_700:                            ;   in Loop: Header=BB380_401 Depth=1
	s_or_b32 exec_lo, exec_lo, s15
.LBB380_701:                            ;   in Loop: Header=BB380_401 Depth=1
	s_delay_alu instid0(SALU_CYCLE_1)
	s_or_b32 exec_lo, exec_lo, s7
.LBB380_702:                            ;   in Loop: Header=BB380_401 Depth=1
	s_delay_alu instid0(SALU_CYCLE_1) | instskip(NEXT) | instid1(VALU_DEP_1)
	s_or_b32 exec_lo, exec_lo, s6
	v_mul_f32_e32 v10, v50, v10
                                        ; implicit-def: $vgpr96
	s_delay_alu instid0(VALU_DEP_1) | instskip(NEXT) | instid1(VALU_DEP_1)
	v_and_b32_e32 v11, 0x7f800000, v10
	v_cmp_ne_u32_e64 s1, 0x7f800000, v11
	s_delay_alu instid0(VALU_DEP_1) | instskip(NEXT) | instid1(SALU_CYCLE_1)
	s_and_saveexec_b32 s6, s1
	s_xor_b32 s1, exec_lo, s6
; %bb.703:                              ;   in Loop: Header=BB380_401 Depth=1
	v_bfe_u32 v11, v10, 16, 1
	s_delay_alu instid0(VALU_DEP_1)
	v_add3_u32 v96, v10, v11, 0x7fff
                                        ; implicit-def: $vgpr10
; %bb.704:                              ;   in Loop: Header=BB380_401 Depth=1
	s_and_not1_saveexec_b32 s6, s1
; %bb.705:                              ;   in Loop: Header=BB380_401 Depth=1
	v_and_b32_e32 v11, 0xffff, v10
	v_or_b32_e32 v23, 0x10000, v10
	s_delay_alu instid0(VALU_DEP_2) | instskip(NEXT) | instid1(VALU_DEP_1)
	v_cmp_eq_u32_e64 s1, 0, v11
	v_cndmask_b32_e64 v96, v23, v10, s1
; %bb.706:                              ;   in Loop: Header=BB380_401 Depth=1
	s_or_b32 exec_lo, exec_lo, s6
	v_lshrrev_b16 v11, 8, v8
	v_mov_b32_e32 v10, 0
	s_mov_b32 s6, exec_lo
	s_delay_alu instid0(VALU_DEP_2)
	v_cmpx_ne_u16_e32 0, v11
	s_cbranch_execz .LBB380_714
; %bb.707:                              ;   in Loop: Header=BB380_401 Depth=1
	v_bfrev_b32_e32 v10, 1
	s_mov_b32 s7, exec_lo
	v_cmpx_ne_u16_e32 0x80, v11
	s_cbranch_execz .LBB380_713
; %bb.708:                              ;   in Loop: Header=BB380_401 Depth=1
	v_and_b32_e32 v23, 0xffff, v11
	v_mov_b32_e32 v10, 0x7f800001
	s_mov_b32 s15, exec_lo
	s_delay_alu instid0(VALU_DEP_2) | instskip(NEXT) | instid1(VALU_DEP_1)
	v_and_b32_e32 v11, 0x7f, v23
	v_cmpx_ne_u32_e32 0x7f, v11
	s_cbranch_execz .LBB380_712
; %bb.709:                              ;   in Loop: Header=BB380_401 Depth=1
	v_and_b32_e32 v23, 7, v23
	v_lshrrev_b32_e32 v10, 3, v11
	s_mov_b32 s16, exec_lo
	v_cmpx_gt_u32_e32 8, v11
; %bb.710:                              ;   in Loop: Header=BB380_401 Depth=1
	s_delay_alu instid0(VALU_DEP_3) | instskip(NEXT) | instid1(VALU_DEP_1)
	v_clz_i32_u32_e32 v10, v23
	v_min_u32_e32 v10, 32, v10
	s_delay_alu instid0(VALU_DEP_1) | instskip(SKIP_1) | instid1(VALU_DEP_2)
	v_subrev_nc_u32_e32 v11, 28, v10
	v_sub_nc_u32_e32 v10, 29, v10
	v_lshlrev_b64 v[97:98], v11, v[23:24]
	s_delay_alu instid0(VALU_DEP_1)
	v_and_b32_e32 v23, 7, v97
; %bb.711:                              ;   in Loop: Header=BB380_401 Depth=1
	s_or_b32 exec_lo, exec_lo, s16
	v_lshlrev_b32_e32 v11, 16, v8
	s_delay_alu instid0(VALU_DEP_2) | instskip(SKIP_1) | instid1(VALU_DEP_3)
	v_lshlrev_b32_e32 v23, 20, v23
	v_lshl_add_u32 v10, v10, 23, 0x3c000000
	v_and_b32_e32 v11, 0x80000000, v11
	s_delay_alu instid0(VALU_DEP_1)
	v_or3_b32 v10, v23, v11, v10
.LBB380_712:                            ;   in Loop: Header=BB380_401 Depth=1
	s_or_b32 exec_lo, exec_lo, s15
.LBB380_713:                            ;   in Loop: Header=BB380_401 Depth=1
	s_delay_alu instid0(SALU_CYCLE_1)
	s_or_b32 exec_lo, exec_lo, s7
.LBB380_714:                            ;   in Loop: Header=BB380_401 Depth=1
	s_delay_alu instid0(SALU_CYCLE_1) | instskip(NEXT) | instid1(VALU_DEP_1)
	s_or_b32 exec_lo, exec_lo, s6
	v_mul_f32_e32 v10, v50, v10
                                        ; implicit-def: $vgpr97
	s_delay_alu instid0(VALU_DEP_1) | instskip(NEXT) | instid1(VALU_DEP_1)
	v_and_b32_e32 v11, 0x7f800000, v10
	v_cmp_ne_u32_e64 s1, 0x7f800000, v11
	s_delay_alu instid0(VALU_DEP_1) | instskip(NEXT) | instid1(SALU_CYCLE_1)
	s_and_saveexec_b32 s6, s1
	s_xor_b32 s1, exec_lo, s6
; %bb.715:                              ;   in Loop: Header=BB380_401 Depth=1
	v_bfe_u32 v11, v10, 16, 1
	s_delay_alu instid0(VALU_DEP_1)
	v_add3_u32 v97, v10, v11, 0x7fff
                                        ; implicit-def: $vgpr10
; %bb.716:                              ;   in Loop: Header=BB380_401 Depth=1
	s_and_not1_saveexec_b32 s6, s1
; %bb.717:                              ;   in Loop: Header=BB380_401 Depth=1
	v_and_b32_e32 v11, 0xffff, v10
	v_or_b32_e32 v23, 0x10000, v10
	s_delay_alu instid0(VALU_DEP_2) | instskip(NEXT) | instid1(VALU_DEP_1)
	v_cmp_eq_u32_e64 s1, 0, v11
	v_cndmask_b32_e64 v97, v23, v10, s1
; %bb.718:                              ;   in Loop: Header=BB380_401 Depth=1
	s_or_b32 exec_lo, exec_lo, s6
	v_lshrrev_b32_e32 v10, 16, v8
	v_mov_b32_e32 v11, 0
	s_mov_b32 s6, exec_lo
	s_delay_alu instid0(VALU_DEP_2) | instskip(NEXT) | instid1(VALU_DEP_1)
	v_and_b32_e32 v23, 0xff, v10
	v_cmpx_ne_u16_e32 0, v23
	s_cbranch_execz .LBB380_726
; %bb.719:                              ;   in Loop: Header=BB380_401 Depth=1
	v_bfrev_b32_e32 v11, 1
	s_mov_b32 s7, exec_lo
	v_cmpx_ne_u16_e32 0x80, v23
	s_cbranch_execz .LBB380_725
; %bb.720:                              ;   in Loop: Header=BB380_401 Depth=1
	v_bfe_u32 v98, v8, 16, 7
	v_mov_b32_e32 v11, 0x7f800001
	s_mov_b32 s15, exec_lo
	s_delay_alu instid0(VALU_DEP_2)
	v_cmpx_ne_u32_e32 0x7f, v98
	s_cbranch_execz .LBB380_724
; %bb.721:                              ;   in Loop: Header=BB380_401 Depth=1
	v_and_b32_e32 v23, 7, v10
	v_lshrrev_b32_e32 v11, 3, v98
	s_mov_b32 s16, exec_lo
	v_cmpx_gt_u32_e32 8, v98
; %bb.722:                              ;   in Loop: Header=BB380_401 Depth=1
	s_delay_alu instid0(VALU_DEP_3) | instskip(NEXT) | instid1(VALU_DEP_1)
	v_clz_i32_u32_e32 v11, v23
	v_min_u32_e32 v11, 32, v11
	s_delay_alu instid0(VALU_DEP_1) | instskip(SKIP_1) | instid1(VALU_DEP_2)
	v_subrev_nc_u32_e32 v98, 28, v11
	v_sub_nc_u32_e32 v11, 29, v11
	v_lshlrev_b64 v[98:99], v98, v[23:24]
	s_delay_alu instid0(VALU_DEP_1)
	v_and_b32_e32 v23, 7, v98
; %bb.723:                              ;   in Loop: Header=BB380_401 Depth=1
	s_or_b32 exec_lo, exec_lo, s16
	v_lshlrev_b32_e32 v10, 24, v10
	s_delay_alu instid0(VALU_DEP_2) | instskip(SKIP_1) | instid1(VALU_DEP_3)
	v_lshlrev_b32_e32 v23, 20, v23
	v_lshl_add_u32 v11, v11, 23, 0x3c000000
	v_and_b32_e32 v10, 0x80000000, v10
	s_delay_alu instid0(VALU_DEP_1)
	v_or3_b32 v11, v23, v10, v11
.LBB380_724:                            ;   in Loop: Header=BB380_401 Depth=1
	s_or_b32 exec_lo, exec_lo, s15
.LBB380_725:                            ;   in Loop: Header=BB380_401 Depth=1
	s_delay_alu instid0(SALU_CYCLE_1)
	s_or_b32 exec_lo, exec_lo, s7
.LBB380_726:                            ;   in Loop: Header=BB380_401 Depth=1
	s_delay_alu instid0(SALU_CYCLE_1) | instskip(NEXT) | instid1(VALU_DEP_1)
	s_or_b32 exec_lo, exec_lo, s6
	v_mul_f32_e32 v10, v50, v11
                                        ; implicit-def: $vgpr98
	s_delay_alu instid0(VALU_DEP_1) | instskip(NEXT) | instid1(VALU_DEP_1)
	v_and_b32_e32 v11, 0x7f800000, v10
	v_cmp_ne_u32_e64 s1, 0x7f800000, v11
	s_delay_alu instid0(VALU_DEP_1) | instskip(NEXT) | instid1(SALU_CYCLE_1)
	s_and_saveexec_b32 s6, s1
	s_xor_b32 s1, exec_lo, s6
; %bb.727:                              ;   in Loop: Header=BB380_401 Depth=1
	v_bfe_u32 v11, v10, 16, 1
	s_delay_alu instid0(VALU_DEP_1)
	v_add3_u32 v98, v10, v11, 0x7fff
                                        ; implicit-def: $vgpr10
; %bb.728:                              ;   in Loop: Header=BB380_401 Depth=1
	s_and_not1_saveexec_b32 s6, s1
; %bb.729:                              ;   in Loop: Header=BB380_401 Depth=1
	v_and_b32_e32 v11, 0xffff, v10
	v_or_b32_e32 v23, 0x10000, v10
	s_delay_alu instid0(VALU_DEP_2) | instskip(NEXT) | instid1(VALU_DEP_1)
	v_cmp_eq_u32_e64 s1, 0, v11
	v_cndmask_b32_e64 v98, v23, v10, s1
; %bb.730:                              ;   in Loop: Header=BB380_401 Depth=1
	s_or_b32 exec_lo, exec_lo, s6
	v_mov_b32_e32 v11, 0
	s_mov_b32 s6, exec_lo
	v_cmpx_lt_u32_e32 0xffffff, v8
	s_cbranch_execz .LBB380_738
; %bb.731:                              ;   in Loop: Header=BB380_401 Depth=1
	v_lshrrev_b32_e32 v10, 24, v8
	v_bfrev_b32_e32 v11, 1
	s_mov_b32 s7, exec_lo
	s_delay_alu instid0(VALU_DEP_2)
	v_cmpx_ne_u32_e32 0x80, v10
	s_cbranch_execz .LBB380_737
; %bb.732:                              ;   in Loop: Header=BB380_401 Depth=1
	v_bfe_u32 v99, v8, 24, 7
	v_mov_b32_e32 v11, 0x7f800001
	s_mov_b32 s15, exec_lo
	s_delay_alu instid0(VALU_DEP_2)
	v_cmpx_ne_u32_e32 0x7f, v99
	s_cbranch_execz .LBB380_736
; %bb.733:                              ;   in Loop: Header=BB380_401 Depth=1
	v_and_b32_e32 v23, 7, v10
	v_lshrrev_b32_e32 v11, 3, v99
	s_mov_b32 s16, exec_lo
	v_cmpx_gt_u32_e32 8, v99
; %bb.734:                              ;   in Loop: Header=BB380_401 Depth=1
	s_delay_alu instid0(VALU_DEP_3) | instskip(NEXT) | instid1(VALU_DEP_1)
	v_clz_i32_u32_e32 v11, v23
	v_min_u32_e32 v11, 32, v11
	s_delay_alu instid0(VALU_DEP_1) | instskip(SKIP_1) | instid1(VALU_DEP_2)
	v_subrev_nc_u32_e32 v99, 28, v11
	v_sub_nc_u32_e32 v11, 29, v11
	v_lshlrev_b64 v[99:100], v99, v[23:24]
	s_delay_alu instid0(VALU_DEP_1)
	v_and_b32_e32 v23, 7, v99
; %bb.735:                              ;   in Loop: Header=BB380_401 Depth=1
	s_or_b32 exec_lo, exec_lo, s16
	v_lshlrev_b32_e32 v10, 24, v10
	s_delay_alu instid0(VALU_DEP_2) | instskip(SKIP_1) | instid1(VALU_DEP_3)
	v_lshlrev_b32_e32 v23, 20, v23
	v_lshl_add_u32 v11, v11, 23, 0x3c000000
	v_and_b32_e32 v10, 0x80000000, v10
	s_delay_alu instid0(VALU_DEP_1)
	v_or3_b32 v11, v23, v10, v11
.LBB380_736:                            ;   in Loop: Header=BB380_401 Depth=1
	s_or_b32 exec_lo, exec_lo, s15
.LBB380_737:                            ;   in Loop: Header=BB380_401 Depth=1
	s_delay_alu instid0(SALU_CYCLE_1)
	s_or_b32 exec_lo, exec_lo, s7
.LBB380_738:                            ;   in Loop: Header=BB380_401 Depth=1
	s_delay_alu instid0(SALU_CYCLE_1) | instskip(NEXT) | instid1(VALU_DEP_1)
	s_or_b32 exec_lo, exec_lo, s6
	v_mul_f32_e32 v10, v50, v11
                                        ; implicit-def: $vgpr99
	s_delay_alu instid0(VALU_DEP_1) | instskip(NEXT) | instid1(VALU_DEP_1)
	v_and_b32_e32 v11, 0x7f800000, v10
	v_cmp_ne_u32_e64 s1, 0x7f800000, v11
	s_delay_alu instid0(VALU_DEP_1) | instskip(NEXT) | instid1(SALU_CYCLE_1)
	s_and_saveexec_b32 s6, s1
	s_xor_b32 s1, exec_lo, s6
; %bb.739:                              ;   in Loop: Header=BB380_401 Depth=1
	v_bfe_u32 v11, v10, 16, 1
	s_delay_alu instid0(VALU_DEP_1)
	v_add3_u32 v99, v10, v11, 0x7fff
                                        ; implicit-def: $vgpr10
; %bb.740:                              ;   in Loop: Header=BB380_401 Depth=1
	s_and_not1_saveexec_b32 s6, s1
; %bb.741:                              ;   in Loop: Header=BB380_401 Depth=1
	v_and_b32_e32 v11, 0xffff, v10
	v_or_b32_e32 v23, 0x10000, v10
	s_delay_alu instid0(VALU_DEP_2) | instskip(NEXT) | instid1(VALU_DEP_1)
	v_cmp_eq_u32_e64 s1, 0, v11
	v_cndmask_b32_e64 v99, v23, v10, s1
; %bb.742:                              ;   in Loop: Header=BB380_401 Depth=1
	s_or_b32 exec_lo, exec_lo, s6
	v_dual_mov_b32 v10, 0 :: v_dual_and_b32 v11, 0xff, v9
	v_mov_b32_e32 v23, v9
	s_mov_b32 s6, exec_lo
	s_delay_alu instid0(VALU_DEP_2)
	v_cmpx_ne_u16_e32 0, v11
	s_cbranch_execz .LBB380_750
; %bb.743:                              ;   in Loop: Header=BB380_401 Depth=1
	v_bfrev_b32_e32 v10, 1
	s_mov_b32 s7, exec_lo
	v_cmpx_ne_u16_e32 0x80, v11
	s_cbranch_execz .LBB380_749
; %bb.744:                              ;   in Loop: Header=BB380_401 Depth=1
	v_and_b32_e32 v11, 0x7f, v9
	v_mov_b32_e32 v10, 0x7f800001
	s_mov_b32 s15, exec_lo
	s_delay_alu instid0(VALU_DEP_2)
	v_cmpx_ne_u32_e32 0x7f, v11
	s_cbranch_execz .LBB380_748
; %bb.745:                              ;   in Loop: Header=BB380_401 Depth=1
	v_lshrrev_b32_e32 v100, 3, v11
	v_cmp_gt_u32_e64 s1, 8, v11
	v_dual_mov_b32 v10, v23 :: v_dual_mov_b32 v11, v24
	s_delay_alu instid0(VALU_DEP_2)
	s_and_saveexec_b32 s16, s1
; %bb.746:                              ;   in Loop: Header=BB380_401 Depth=1
	v_and_b32_e32 v10, 7, v9
	s_delay_alu instid0(VALU_DEP_1) | instskip(NEXT) | instid1(VALU_DEP_1)
	v_clz_i32_u32_e32 v10, v10
	v_min_u32_e32 v100, 32, v10
	s_delay_alu instid0(VALU_DEP_1) | instskip(SKIP_1) | instid1(VALU_DEP_2)
	v_subrev_nc_u32_e32 v10, 28, v100
	v_sub_nc_u32_e32 v100, 29, v100
	v_lshlrev_b64 v[10:11], v10, v[23:24]
; %bb.747:                              ;   in Loop: Header=BB380_401 Depth=1
	s_or_b32 exec_lo, exec_lo, s16
	s_delay_alu instid0(VALU_DEP_1) | instskip(SKIP_2) | instid1(VALU_DEP_3)
	v_lshlrev_b32_e32 v10, 20, v10
	v_lshlrev_b32_e32 v11, 24, v23
	v_lshl_add_u32 v100, v100, 23, 0x3c000000
	v_and_b32_e32 v10, 0x700000, v10
	s_delay_alu instid0(VALU_DEP_3) | instskip(NEXT) | instid1(VALU_DEP_1)
	v_and_b32_e32 v11, 0x80000000, v11
	v_or3_b32 v10, v10, v11, v100
.LBB380_748:                            ;   in Loop: Header=BB380_401 Depth=1
	s_or_b32 exec_lo, exec_lo, s15
.LBB380_749:                            ;   in Loop: Header=BB380_401 Depth=1
	s_delay_alu instid0(SALU_CYCLE_1)
	s_or_b32 exec_lo, exec_lo, s7
.LBB380_750:                            ;   in Loop: Header=BB380_401 Depth=1
	s_delay_alu instid0(SALU_CYCLE_1) | instskip(NEXT) | instid1(VALU_DEP_1)
	s_or_b32 exec_lo, exec_lo, s6
	v_mul_f32_e32 v10, v50, v10
                                        ; implicit-def: $vgpr100
	s_delay_alu instid0(VALU_DEP_1) | instskip(NEXT) | instid1(VALU_DEP_1)
	v_and_b32_e32 v11, 0x7f800000, v10
	v_cmp_ne_u32_e64 s1, 0x7f800000, v11
	s_delay_alu instid0(VALU_DEP_1) | instskip(NEXT) | instid1(SALU_CYCLE_1)
	s_and_saveexec_b32 s6, s1
	s_xor_b32 s1, exec_lo, s6
; %bb.751:                              ;   in Loop: Header=BB380_401 Depth=1
	v_bfe_u32 v11, v10, 16, 1
	s_delay_alu instid0(VALU_DEP_1)
	v_add3_u32 v100, v10, v11, 0x7fff
                                        ; implicit-def: $vgpr10
; %bb.752:                              ;   in Loop: Header=BB380_401 Depth=1
	s_and_not1_saveexec_b32 s6, s1
; %bb.753:                              ;   in Loop: Header=BB380_401 Depth=1
	v_and_b32_e32 v11, 0xffff, v10
	v_or_b32_e32 v100, 0x10000, v10
	s_delay_alu instid0(VALU_DEP_2) | instskip(NEXT) | instid1(VALU_DEP_1)
	v_cmp_eq_u32_e64 s1, 0, v11
	v_cndmask_b32_e64 v100, v100, v10, s1
; %bb.754:                              ;   in Loop: Header=BB380_401 Depth=1
	s_or_b32 exec_lo, exec_lo, s6
	v_lshrrev_b16 v11, 8, v23
	v_mov_b32_e32 v10, 0
	s_mov_b32 s6, exec_lo
	s_delay_alu instid0(VALU_DEP_2)
	v_cmpx_ne_u16_e32 0, v11
	s_cbranch_execz .LBB380_762
; %bb.755:                              ;   in Loop: Header=BB380_401 Depth=1
	v_bfrev_b32_e32 v10, 1
	s_mov_b32 s7, exec_lo
	v_cmpx_ne_u16_e32 0x80, v11
	s_cbranch_execz .LBB380_761
; %bb.756:                              ;   in Loop: Header=BB380_401 Depth=1
	v_and_b32_e32 v11, 0xffff, v11
	v_mov_b32_e32 v10, 0x7f800001
	s_mov_b32 s15, exec_lo
	s_delay_alu instid0(VALU_DEP_2) | instskip(NEXT) | instid1(VALU_DEP_1)
	v_and_b32_e32 v102, 0x7f, v11
	v_cmpx_ne_u32_e32 0x7f, v102
	s_cbranch_execz .LBB380_760
; %bb.757:                              ;   in Loop: Header=BB380_401 Depth=1
	v_dual_mov_b32 v11, v24 :: v_dual_and_b32 v10, 7, v11
	v_lshrrev_b32_e32 v101, 3, v102
	s_mov_b32 s16, exec_lo
	v_cmpx_gt_u32_e32 8, v102
; %bb.758:                              ;   in Loop: Header=BB380_401 Depth=1
	s_delay_alu instid0(VALU_DEP_3) | instskip(NEXT) | instid1(VALU_DEP_1)
	v_clz_i32_u32_e32 v101, v10
	v_min_u32_e32 v101, 32, v101
	s_delay_alu instid0(VALU_DEP_1) | instskip(SKIP_1) | instid1(VALU_DEP_2)
	v_subrev_nc_u32_e32 v102, 28, v101
	v_sub_nc_u32_e32 v101, 29, v101
	v_lshlrev_b64 v[10:11], v102, v[10:11]
	s_delay_alu instid0(VALU_DEP_1)
	v_and_b32_e32 v10, 7, v10
; %bb.759:                              ;   in Loop: Header=BB380_401 Depth=1
	s_or_b32 exec_lo, exec_lo, s16
	v_lshlrev_b32_e32 v11, 16, v23
	s_delay_alu instid0(VALU_DEP_2) | instskip(SKIP_1) | instid1(VALU_DEP_3)
	v_lshlrev_b32_e32 v10, 20, v10
	v_lshl_add_u32 v23, v101, 23, 0x3c000000
	v_and_b32_e32 v11, 0x80000000, v11
	s_delay_alu instid0(VALU_DEP_1)
	v_or3_b32 v10, v10, v11, v23
.LBB380_760:                            ;   in Loop: Header=BB380_401 Depth=1
	s_or_b32 exec_lo, exec_lo, s15
.LBB380_761:                            ;   in Loop: Header=BB380_401 Depth=1
	s_delay_alu instid0(SALU_CYCLE_1)
	s_or_b32 exec_lo, exec_lo, s7
.LBB380_762:                            ;   in Loop: Header=BB380_401 Depth=1
	s_delay_alu instid0(SALU_CYCLE_1) | instskip(NEXT) | instid1(VALU_DEP_1)
	s_or_b32 exec_lo, exec_lo, s6
	v_mul_f32_e32 v11, v50, v10
	s_delay_alu instid0(VALU_DEP_1) | instskip(NEXT) | instid1(VALU_DEP_1)
	v_and_b32_e32 v10, 0x7f800000, v11
	v_cmp_ne_u32_e64 s1, 0x7f800000, v10
                                        ; implicit-def: $vgpr10
	s_delay_alu instid0(VALU_DEP_1) | instskip(NEXT) | instid1(SALU_CYCLE_1)
	s_and_saveexec_b32 s6, s1
	s_xor_b32 s1, exec_lo, s6
; %bb.763:                              ;   in Loop: Header=BB380_401 Depth=1
	v_bfe_u32 v10, v11, 16, 1
	s_delay_alu instid0(VALU_DEP_1)
	v_add3_u32 v10, v11, v10, 0x7fff
                                        ; implicit-def: $vgpr11
; %bb.764:                              ;   in Loop: Header=BB380_401 Depth=1
	s_and_not1_saveexec_b32 s6, s1
; %bb.765:                              ;   in Loop: Header=BB380_401 Depth=1
	v_and_b32_e32 v10, 0xffff, v11
	v_or_b32_e32 v23, 0x10000, v11
	s_delay_alu instid0(VALU_DEP_2) | instskip(NEXT) | instid1(VALU_DEP_1)
	v_cmp_eq_u32_e64 s1, 0, v10
	v_cndmask_b32_e64 v10, v23, v11, s1
; %bb.766:                              ;   in Loop: Header=BB380_401 Depth=1
	s_or_b32 exec_lo, exec_lo, s6
	v_lshrrev_b32_e32 v11, 16, v9
	v_mov_b32_e32 v23, 0
	s_mov_b32 s6, exec_lo
	s_delay_alu instid0(VALU_DEP_2) | instskip(NEXT) | instid1(VALU_DEP_1)
	v_and_b32_e32 v101, 0xff, v11
	v_cmpx_ne_u16_e32 0, v101
	s_cbranch_execz .LBB380_774
; %bb.767:                              ;   in Loop: Header=BB380_401 Depth=1
	v_bfrev_b32_e32 v23, 1
	s_mov_b32 s7, exec_lo
	v_cmpx_ne_u16_e32 0x80, v101
	s_cbranch_execz .LBB380_773
; %bb.768:                              ;   in Loop: Header=BB380_401 Depth=1
	v_bfe_u32 v102, v9, 16, 7
	v_mov_b32_e32 v23, 0x7f800001
	s_mov_b32 s15, exec_lo
	s_delay_alu instid0(VALU_DEP_2)
	v_cmpx_ne_u32_e32 0x7f, v102
	s_cbranch_execz .LBB380_772
; %bb.769:                              ;   in Loop: Header=BB380_401 Depth=1
	v_and_b32_e32 v23, 7, v11
	v_lshrrev_b32_e32 v101, 3, v102
	s_mov_b32 s16, exec_lo
	v_cmpx_gt_u32_e32 8, v102
; %bb.770:                              ;   in Loop: Header=BB380_401 Depth=1
	s_delay_alu instid0(VALU_DEP_3) | instskip(NEXT) | instid1(VALU_DEP_1)
	v_clz_i32_u32_e32 v101, v23
	v_min_u32_e32 v101, 32, v101
	s_delay_alu instid0(VALU_DEP_1) | instskip(SKIP_1) | instid1(VALU_DEP_2)
	v_subrev_nc_u32_e32 v102, 28, v101
	v_sub_nc_u32_e32 v101, 29, v101
	v_lshlrev_b64 v[102:103], v102, v[23:24]
	s_delay_alu instid0(VALU_DEP_1)
	v_and_b32_e32 v23, 7, v102
; %bb.771:                              ;   in Loop: Header=BB380_401 Depth=1
	s_or_b32 exec_lo, exec_lo, s16
	v_lshlrev_b32_e32 v11, 24, v11
	s_delay_alu instid0(VALU_DEP_2) | instskip(SKIP_1) | instid1(VALU_DEP_3)
	v_lshlrev_b32_e32 v23, 20, v23
	v_lshl_add_u32 v101, v101, 23, 0x3c000000
	v_and_b32_e32 v11, 0x80000000, v11
	s_delay_alu instid0(VALU_DEP_1)
	v_or3_b32 v23, v23, v11, v101
.LBB380_772:                            ;   in Loop: Header=BB380_401 Depth=1
	s_or_b32 exec_lo, exec_lo, s15
.LBB380_773:                            ;   in Loop: Header=BB380_401 Depth=1
	s_delay_alu instid0(SALU_CYCLE_1)
	s_or_b32 exec_lo, exec_lo, s7
.LBB380_774:                            ;   in Loop: Header=BB380_401 Depth=1
	s_delay_alu instid0(SALU_CYCLE_1) | instskip(NEXT) | instid1(VALU_DEP_1)
	s_or_b32 exec_lo, exec_lo, s6
	v_mul_f32_e32 v23, v50, v23
	s_delay_alu instid0(VALU_DEP_1) | instskip(NEXT) | instid1(VALU_DEP_1)
	v_and_b32_e32 v11, 0x7f800000, v23
	v_cmp_ne_u32_e64 s1, 0x7f800000, v11
                                        ; implicit-def: $vgpr11
	s_delay_alu instid0(VALU_DEP_1) | instskip(NEXT) | instid1(SALU_CYCLE_1)
	s_and_saveexec_b32 s6, s1
	s_xor_b32 s1, exec_lo, s6
; %bb.775:                              ;   in Loop: Header=BB380_401 Depth=1
	v_bfe_u32 v11, v23, 16, 1
	s_delay_alu instid0(VALU_DEP_1)
	v_add3_u32 v11, v23, v11, 0x7fff
                                        ; implicit-def: $vgpr23
; %bb.776:                              ;   in Loop: Header=BB380_401 Depth=1
	s_and_not1_saveexec_b32 s6, s1
; %bb.777:                              ;   in Loop: Header=BB380_401 Depth=1
	v_and_b32_e32 v11, 0xffff, v23
	v_or_b32_e32 v101, 0x10000, v23
	s_delay_alu instid0(VALU_DEP_2) | instskip(NEXT) | instid1(VALU_DEP_1)
	v_cmp_eq_u32_e64 s1, 0, v11
	v_cndmask_b32_e64 v11, v101, v23, s1
; %bb.778:                              ;   in Loop: Header=BB380_401 Depth=1
	s_or_b32 exec_lo, exec_lo, s6
	v_mov_b32_e32 v23, 0
	s_mov_b32 s6, exec_lo
	v_cmpx_lt_u64_e64 s[12:13], v[8:9]
	s_cbranch_execz .LBB380_786
; %bb.779:                              ;   in Loop: Header=BB380_401 Depth=1
	v_lshrrev_b32_e32 v8, 24, v9
	v_bfrev_b32_e32 v23, 1
	s_mov_b32 s7, exec_lo
	s_delay_alu instid0(VALU_DEP_2)
	v_cmpx_ne_u32_e32 0x80, v8
	s_cbranch_execz .LBB380_785
; %bb.780:                              ;   in Loop: Header=BB380_401 Depth=1
	v_bfe_u32 v101, v9, 24, 7
	v_mov_b32_e32 v23, 0x7f800001
	s_mov_b32 s15, exec_lo
	s_delay_alu instid0(VALU_DEP_2)
	v_cmpx_ne_u32_e32 0x7f, v101
	s_cbranch_execz .LBB380_784
; %bb.781:                              ;   in Loop: Header=BB380_401 Depth=1
	v_and_b32_e32 v23, 7, v8
	v_lshrrev_b32_e32 v9, 3, v101
	s_mov_b32 s16, exec_lo
	v_cmpx_gt_u32_e32 8, v101
; %bb.782:                              ;   in Loop: Header=BB380_401 Depth=1
	s_delay_alu instid0(VALU_DEP_3) | instskip(NEXT) | instid1(VALU_DEP_1)
	v_clz_i32_u32_e32 v9, v23
	v_min_u32_e32 v9, 32, v9
	s_delay_alu instid0(VALU_DEP_1) | instskip(SKIP_1) | instid1(VALU_DEP_2)
	v_subrev_nc_u32_e32 v101, 28, v9
	v_sub_nc_u32_e32 v9, 29, v9
	v_lshlrev_b64 v[101:102], v101, v[23:24]
	s_delay_alu instid0(VALU_DEP_1)
	v_and_b32_e32 v23, 7, v101
; %bb.783:                              ;   in Loop: Header=BB380_401 Depth=1
	s_or_b32 exec_lo, exec_lo, s16
	v_lshlrev_b32_e32 v8, 24, v8
	s_delay_alu instid0(VALU_DEP_2) | instskip(SKIP_1) | instid1(VALU_DEP_3)
	v_lshlrev_b32_e32 v23, 20, v23
	v_lshl_add_u32 v9, v9, 23, 0x3c000000
	v_and_b32_e32 v8, 0x80000000, v8
	s_delay_alu instid0(VALU_DEP_1)
	v_or3_b32 v23, v23, v8, v9
.LBB380_784:                            ;   in Loop: Header=BB380_401 Depth=1
	s_or_b32 exec_lo, exec_lo, s15
.LBB380_785:                            ;   in Loop: Header=BB380_401 Depth=1
	s_delay_alu instid0(SALU_CYCLE_1)
	s_or_b32 exec_lo, exec_lo, s7
.LBB380_786:                            ;   in Loop: Header=BB380_401 Depth=1
	s_delay_alu instid0(SALU_CYCLE_1) | instskip(NEXT) | instid1(VALU_DEP_1)
	s_or_b32 exec_lo, exec_lo, s6
	v_mul_f32_e32 v8, v50, v23
	s_delay_alu instid0(VALU_DEP_1) | instskip(NEXT) | instid1(VALU_DEP_1)
	v_and_b32_e32 v9, 0x7f800000, v8
	v_cmp_ne_u32_e64 s1, 0x7f800000, v9
                                        ; implicit-def: $vgpr9
	s_delay_alu instid0(VALU_DEP_1) | instskip(NEXT) | instid1(SALU_CYCLE_1)
	s_and_saveexec_b32 s6, s1
	s_xor_b32 s1, exec_lo, s6
; %bb.787:                              ;   in Loop: Header=BB380_401 Depth=1
	v_bfe_u32 v9, v8, 16, 1
	s_delay_alu instid0(VALU_DEP_1)
	v_add3_u32 v9, v8, v9, 0x7fff
                                        ; implicit-def: $vgpr8
; %bb.788:                              ;   in Loop: Header=BB380_401 Depth=1
	s_and_not1_saveexec_b32 s6, s1
; %bb.789:                              ;   in Loop: Header=BB380_401 Depth=1
	v_and_b32_e32 v9, 0xffff, v8
	v_or_b32_e32 v23, 0x10000, v8
	s_delay_alu instid0(VALU_DEP_2) | instskip(NEXT) | instid1(VALU_DEP_1)
	v_cmp_eq_u32_e64 s1, 0, v9
	v_cndmask_b32_e64 v9, v23, v8, s1
; %bb.790:                              ;   in Loop: Header=BB380_401 Depth=1
	s_or_b32 exec_lo, exec_lo, s6
	v_lshrrev_b32_e32 v23, 16, v10
	v_lshrrev_b32_e32 v100, 16, v100
	v_lshrrev_b32_e32 v99, 16, v99
	v_lshrrev_b32_e32 v50, 16, v98
	v_lshrrev_b32_e32 v10, 16, v97
	v_lshrrev_b32_e32 v8, 16, v96
	v_lshrrev_b32_e32 v11, 16, v11
	v_lshrrev_b32_e32 v9, 16, v9
	s_and_saveexec_b32 s6, s0
	s_cbranch_execz .LBB380_792
; %bb.791:                              ;   in Loop: Header=BB380_401 Depth=1
	v_add_nc_u32_e32 v96, 1, v68
	v_cmp_lt_i32_e64 s1, v68, v64
	v_add_nc_u32_e32 v97, 2, v68
	v_add_nc_u32_e32 v98, 3, v68
	s_delay_alu instid0(VALU_DEP_3) | instskip(SKIP_2) | instid1(VALU_DEP_2)
	v_cndmask_b32_e64 v8, 0, v8, s1
	v_cmp_lt_i32_e64 s1, v96, v64
	v_add_nc_u32_e32 v96, 4, v68
	v_cndmask_b32_e64 v10, 0, v10, s1
	v_cmp_lt_i32_e64 s1, v97, v64
	v_add_nc_u32_e32 v97, 5, v68
	s_delay_alu instid0(VALU_DEP_2) | instskip(SKIP_2) | instid1(VALU_DEP_2)
	v_cndmask_b32_e64 v50, 0, v50, s1
	v_cmp_lt_i32_e64 s1, v98, v64
	v_add_nc_u32_e32 v98, 6, v68
	v_cndmask_b32_e64 v99, 0, v99, s1
	v_cmp_lt_i32_e64 s1, v96, v64
	v_add_nc_u32_e32 v96, 7, v68
	s_delay_alu instid0(VALU_DEP_2) | instskip(SKIP_1) | instid1(VALU_DEP_1)
	v_cndmask_b32_e64 v100, 0, v100, s1
	v_cmp_lt_i32_e64 s1, v97, v64
	v_cndmask_b32_e64 v23, 0, v23, s1
	v_cmp_lt_i32_e64 s1, v98, v64
	s_delay_alu instid0(VALU_DEP_1) | instskip(SKIP_1) | instid1(VALU_DEP_1)
	v_cndmask_b32_e64 v11, 0, v11, s1
	v_cmp_lt_i32_e64 s1, v96, v64
	v_cndmask_b32_e64 v9, 0, v9, s1
.LBB380_792:                            ;   in Loop: Header=BB380_401 Depth=1
	s_or_b32 exec_lo, exec_lo, s6
	v_lshlrev_b32_e32 v8, 16, v8
	s_delay_alu instid0(VALU_DEP_1) | instskip(NEXT) | instid1(VALU_DEP_1)
	v_mul_f32_e32 v96, v33, v8
	v_and_b32_e32 v8, 0x7f800000, v96
	s_delay_alu instid0(VALU_DEP_1) | instskip(NEXT) | instid1(VALU_DEP_1)
	v_cmp_ne_u32_e64 s1, 0x7f800000, v8
                                        ; implicit-def: $vgpr8
	s_and_saveexec_b32 s6, s1
	s_delay_alu instid0(SALU_CYCLE_1)
	s_xor_b32 s1, exec_lo, s6
; %bb.793:                              ;   in Loop: Header=BB380_401 Depth=1
	v_bfe_u32 v8, v96, 16, 1
	s_delay_alu instid0(VALU_DEP_1)
	v_add3_u32 v8, v96, v8, 0x7fff
                                        ; implicit-def: $vgpr96
; %bb.794:                              ;   in Loop: Header=BB380_401 Depth=1
	s_and_not1_saveexec_b32 s6, s1
; %bb.795:                              ;   in Loop: Header=BB380_401 Depth=1
	v_and_b32_e32 v8, 0xffff, v96
	v_or_b32_e32 v97, 0x10000, v96
	s_delay_alu instid0(VALU_DEP_2) | instskip(NEXT) | instid1(VALU_DEP_1)
	v_cmp_eq_u32_e64 s1, 0, v8
	v_cndmask_b32_e64 v8, v97, v96, s1
; %bb.796:                              ;   in Loop: Header=BB380_401 Depth=1
	s_or_b32 exec_lo, exec_lo, s6
	v_lshlrev_b32_e32 v10, 16, v10
	s_delay_alu instid0(VALU_DEP_1) | instskip(NEXT) | instid1(VALU_DEP_1)
	v_mul_f32_e32 v96, v34, v10
	v_and_b32_e32 v10, 0x7f800000, v96
	s_delay_alu instid0(VALU_DEP_1) | instskip(NEXT) | instid1(VALU_DEP_1)
	v_cmp_ne_u32_e64 s1, 0x7f800000, v10
                                        ; implicit-def: $vgpr10
	s_and_saveexec_b32 s6, s1
	s_delay_alu instid0(SALU_CYCLE_1)
	s_xor_b32 s1, exec_lo, s6
; %bb.797:                              ;   in Loop: Header=BB380_401 Depth=1
	v_bfe_u32 v10, v96, 16, 1
	s_delay_alu instid0(VALU_DEP_1)
	v_add3_u32 v10, v96, v10, 0x7fff
                                        ; implicit-def: $vgpr96
; %bb.798:                              ;   in Loop: Header=BB380_401 Depth=1
	s_and_not1_saveexec_b32 s6, s1
; %bb.799:                              ;   in Loop: Header=BB380_401 Depth=1
	v_and_b32_e32 v10, 0xffff, v96
	v_or_b32_e32 v97, 0x10000, v96
	s_delay_alu instid0(VALU_DEP_2) | instskip(NEXT) | instid1(VALU_DEP_1)
	v_cmp_eq_u32_e64 s1, 0, v10
	v_cndmask_b32_e64 v10, v97, v96, s1
; %bb.800:                              ;   in Loop: Header=BB380_401 Depth=1
	s_or_b32 exec_lo, exec_lo, s6
	v_lshlrev_b32_e32 v50, 16, v50
	s_delay_alu instid0(VALU_DEP_1) | instskip(NEXT) | instid1(VALU_DEP_1)
	v_mul_f32_e32 v96, v35, v50
	v_and_b32_e32 v50, 0x7f800000, v96
	s_delay_alu instid0(VALU_DEP_1) | instskip(NEXT) | instid1(VALU_DEP_1)
	v_cmp_ne_u32_e64 s1, 0x7f800000, v50
                                        ; implicit-def: $vgpr50
	s_and_saveexec_b32 s6, s1
	s_delay_alu instid0(SALU_CYCLE_1)
	s_xor_b32 s1, exec_lo, s6
; %bb.801:                              ;   in Loop: Header=BB380_401 Depth=1
	v_bfe_u32 v50, v96, 16, 1
	s_delay_alu instid0(VALU_DEP_1)
	v_add3_u32 v50, v96, v50, 0x7fff
                                        ; implicit-def: $vgpr96
; %bb.802:                              ;   in Loop: Header=BB380_401 Depth=1
	s_and_not1_saveexec_b32 s6, s1
; %bb.803:                              ;   in Loop: Header=BB380_401 Depth=1
	v_and_b32_e32 v50, 0xffff, v96
	v_or_b32_e32 v97, 0x10000, v96
	s_delay_alu instid0(VALU_DEP_2) | instskip(NEXT) | instid1(VALU_DEP_1)
	v_cmp_eq_u32_e64 s1, 0, v50
	v_cndmask_b32_e64 v50, v97, v96, s1
; %bb.804:                              ;   in Loop: Header=BB380_401 Depth=1
	s_or_b32 exec_lo, exec_lo, s6
	v_lshlrev_b32_e32 v96, 16, v99
	s_delay_alu instid0(VALU_DEP_1) | instskip(NEXT) | instid1(VALU_DEP_1)
	v_mul_f32_e32 v97, v36, v96
	v_and_b32_e32 v96, 0x7f800000, v97
	s_delay_alu instid0(VALU_DEP_1) | instskip(NEXT) | instid1(VALU_DEP_1)
	v_cmp_ne_u32_e64 s1, 0x7f800000, v96
                                        ; implicit-def: $vgpr96
	s_and_saveexec_b32 s6, s1
	s_delay_alu instid0(SALU_CYCLE_1)
	s_xor_b32 s1, exec_lo, s6
; %bb.805:                              ;   in Loop: Header=BB380_401 Depth=1
	v_bfe_u32 v96, v97, 16, 1
	s_delay_alu instid0(VALU_DEP_1)
	v_add3_u32 v96, v97, v96, 0x7fff
                                        ; implicit-def: $vgpr97
; %bb.806:                              ;   in Loop: Header=BB380_401 Depth=1
	s_and_not1_saveexec_b32 s6, s1
; %bb.807:                              ;   in Loop: Header=BB380_401 Depth=1
	v_and_b32_e32 v96, 0xffff, v97
	v_or_b32_e32 v98, 0x10000, v97
	s_delay_alu instid0(VALU_DEP_2) | instskip(NEXT) | instid1(VALU_DEP_1)
	v_cmp_eq_u32_e64 s1, 0, v96
	v_cndmask_b32_e64 v96, v98, v97, s1
; %bb.808:                              ;   in Loop: Header=BB380_401 Depth=1
	s_or_b32 exec_lo, exec_lo, s6
	v_lshlrev_b32_e32 v97, 16, v100
	s_delay_alu instid0(VALU_DEP_1) | instskip(NEXT) | instid1(VALU_DEP_1)
	v_mul_f32_e32 v98, v37, v97
	v_and_b32_e32 v97, 0x7f800000, v98
	s_delay_alu instid0(VALU_DEP_1) | instskip(NEXT) | instid1(VALU_DEP_1)
	v_cmp_ne_u32_e64 s1, 0x7f800000, v97
                                        ; implicit-def: $vgpr97
	s_and_saveexec_b32 s6, s1
	s_delay_alu instid0(SALU_CYCLE_1)
	s_xor_b32 s1, exec_lo, s6
; %bb.809:                              ;   in Loop: Header=BB380_401 Depth=1
	v_bfe_u32 v97, v98, 16, 1
	s_delay_alu instid0(VALU_DEP_1)
	v_add3_u32 v97, v98, v97, 0x7fff
                                        ; implicit-def: $vgpr98
; %bb.810:                              ;   in Loop: Header=BB380_401 Depth=1
	s_and_not1_saveexec_b32 s6, s1
; %bb.811:                              ;   in Loop: Header=BB380_401 Depth=1
	v_and_b32_e32 v97, 0xffff, v98
	v_or_b32_e32 v99, 0x10000, v98
	s_delay_alu instid0(VALU_DEP_2) | instskip(NEXT) | instid1(VALU_DEP_1)
	v_cmp_eq_u32_e64 s1, 0, v97
	v_cndmask_b32_e64 v97, v99, v98, s1
; %bb.812:                              ;   in Loop: Header=BB380_401 Depth=1
	s_or_b32 exec_lo, exec_lo, s6
	v_lshlrev_b32_e32 v23, 16, v23
	s_delay_alu instid0(VALU_DEP_1) | instskip(NEXT) | instid1(VALU_DEP_1)
	v_mul_f32_e32 v98, v38, v23
	v_and_b32_e32 v23, 0x7f800000, v98
	s_delay_alu instid0(VALU_DEP_1) | instskip(NEXT) | instid1(VALU_DEP_1)
	v_cmp_ne_u32_e64 s1, 0x7f800000, v23
                                        ; implicit-def: $vgpr23
	s_and_saveexec_b32 s6, s1
	s_delay_alu instid0(SALU_CYCLE_1)
	s_xor_b32 s1, exec_lo, s6
; %bb.813:                              ;   in Loop: Header=BB380_401 Depth=1
	v_bfe_u32 v23, v98, 16, 1
	s_delay_alu instid0(VALU_DEP_1)
	v_add3_u32 v23, v98, v23, 0x7fff
                                        ; implicit-def: $vgpr98
; %bb.814:                              ;   in Loop: Header=BB380_401 Depth=1
	s_and_not1_saveexec_b32 s6, s1
; %bb.815:                              ;   in Loop: Header=BB380_401 Depth=1
	v_and_b32_e32 v23, 0xffff, v98
	v_or_b32_e32 v99, 0x10000, v98
	s_delay_alu instid0(VALU_DEP_2) | instskip(NEXT) | instid1(VALU_DEP_1)
	v_cmp_eq_u32_e64 s1, 0, v23
	v_cndmask_b32_e64 v23, v99, v98, s1
; %bb.816:                              ;   in Loop: Header=BB380_401 Depth=1
	s_or_b32 exec_lo, exec_lo, s6
	v_lshlrev_b32_e32 v11, 16, v11
	s_delay_alu instid0(VALU_DEP_1) | instskip(NEXT) | instid1(VALU_DEP_1)
	v_mul_f32_e32 v98, v48, v11
	v_and_b32_e32 v11, 0x7f800000, v98
	s_delay_alu instid0(VALU_DEP_1) | instskip(NEXT) | instid1(VALU_DEP_1)
	v_cmp_ne_u32_e64 s1, 0x7f800000, v11
                                        ; implicit-def: $vgpr11
	s_and_saveexec_b32 s6, s1
	s_delay_alu instid0(SALU_CYCLE_1)
	s_xor_b32 s1, exec_lo, s6
; %bb.817:                              ;   in Loop: Header=BB380_401 Depth=1
	v_bfe_u32 v11, v98, 16, 1
	s_delay_alu instid0(VALU_DEP_1)
	v_add3_u32 v11, v98, v11, 0x7fff
                                        ; implicit-def: $vgpr98
; %bb.818:                              ;   in Loop: Header=BB380_401 Depth=1
	s_and_not1_saveexec_b32 s6, s1
; %bb.819:                              ;   in Loop: Header=BB380_401 Depth=1
	v_and_b32_e32 v11, 0xffff, v98
	v_or_b32_e32 v99, 0x10000, v98
	s_delay_alu instid0(VALU_DEP_2) | instskip(NEXT) | instid1(VALU_DEP_1)
	v_cmp_eq_u32_e64 s1, 0, v11
	v_cndmask_b32_e64 v11, v99, v98, s1
; %bb.820:                              ;   in Loop: Header=BB380_401 Depth=1
	s_or_b32 exec_lo, exec_lo, s6
	v_lshlrev_b32_e32 v9, 16, v9
	s_delay_alu instid0(VALU_DEP_1) | instskip(NEXT) | instid1(VALU_DEP_1)
	v_mul_f32_e32 v98, v49, v9
	v_and_b32_e32 v9, 0x7f800000, v98
	s_delay_alu instid0(VALU_DEP_1) | instskip(NEXT) | instid1(VALU_DEP_1)
	v_cmp_ne_u32_e64 s1, 0x7f800000, v9
                                        ; implicit-def: $vgpr9
	s_and_saveexec_b32 s6, s1
	s_delay_alu instid0(SALU_CYCLE_1)
	s_xor_b32 s1, exec_lo, s6
; %bb.821:                              ;   in Loop: Header=BB380_401 Depth=1
	v_bfe_u32 v9, v98, 16, 1
	s_delay_alu instid0(VALU_DEP_1)
	v_add3_u32 v9, v98, v9, 0x7fff
                                        ; implicit-def: $vgpr98
; %bb.822:                              ;   in Loop: Header=BB380_401 Depth=1
	s_and_not1_saveexec_b32 s6, s1
; %bb.823:                              ;   in Loop: Header=BB380_401 Depth=1
	v_and_b32_e32 v9, 0xffff, v98
	v_or_b32_e32 v99, 0x10000, v98
	s_delay_alu instid0(VALU_DEP_2) | instskip(NEXT) | instid1(VALU_DEP_1)
	v_cmp_eq_u32_e64 s1, 0, v9
	v_cndmask_b32_e64 v9, v99, v98, s1
; %bb.824:                              ;   in Loop: Header=BB380_401 Depth=1
	s_or_b32 exec_lo, exec_lo, s6
	v_and_b32_e32 v11, 0xffff0000, v11
	s_delay_alu instid0(VALU_DEP_2) | instskip(SKIP_3) | instid1(VALU_DEP_4)
	v_and_b32_e32 v9, 0xffff0000, v9
	v_and_b32_e32 v12, 0xffff0000, v12
	;; [unrolled: 1-line block ×4, first 2 shown]
	v_dual_add_f32 v9, v11, v9 :: v_dual_and_b32 v52, 0xffff0000, v52
	v_and_b32_e32 v23, 0xffff0000, v23
	v_and_b32_e32 v13, 0xffff0000, v13
	;; [unrolled: 1-line block ×3, first 2 shown]
	v_dual_add_f32 v8, v8, v10 :: v_dual_and_b32 v55, 0xffff0000, v55
	v_and_b32_e32 v50, 0xffff0000, v50
	s_delay_alu instid0(VALU_DEP_4) | instskip(SKIP_2) | instid1(VALU_DEP_1)
	v_add_f32_e32 v12, v12, v13
	v_and_b32_e32 v53, 0xffff0000, v53
	v_and_b32_e32 v51, 0xffff0000, v51
	v_dual_add_f32 v51, v51, v52 :: v_dual_and_b32 v54, 0xffff0000, v54
	s_delay_alu instid0(VALU_DEP_1) | instskip(SKIP_1) | instid1(VALU_DEP_2)
	v_dual_add_f32 v52, v53, v54 :: v_dual_and_b32 v53, 0xffff0000, v80
	v_add_f32_e32 v54, v55, v71
	v_dual_add_f32 v51, v51, v52 :: v_dual_and_b32 v52, 0xffff0000, v81
	v_and_b32_e32 v80, 0xffff0000, v83
	v_and_b32_e32 v83, 0xffff0000, v96
	s_delay_alu instid0(VALU_DEP_1) | instskip(SKIP_2) | instid1(VALU_DEP_3)
	v_dual_add_f32 v51, v51, v54 :: v_dual_add_f32 v10, v50, v83
	v_and_b32_e32 v55, 0xffff0000, v85
	v_and_b32_e32 v50, 0xffff0000, v97
	v_add_f32_e32 v8, v8, v10
	v_and_b32_e32 v54, 0xffff0000, v82
	s_delay_alu instid0(VALU_DEP_3) | instskip(NEXT) | instid1(VALU_DEP_2)
	v_dual_add_f32 v10, v50, v23 :: v_dual_add_f32 v23, v53, v52
	v_dual_add_f32 v13, v54, v80 :: v_dual_and_b32 v82, 0xffff0000, v87
	s_delay_alu instid0(VALU_DEP_2) | instskip(NEXT) | instid1(VALU_DEP_3)
	v_dual_add_f32 v8, v8, v10 :: v_dual_and_b32 v71, 0xffff0000, v84
	v_add_f32_e32 v10, v51, v23
	s_delay_alu instid0(VALU_DEP_2) | instskip(NEXT) | instid1(VALU_DEP_3)
	v_dual_add_f32 v12, v12, v13 :: v_dual_add_f32 v13, v71, v55
	v_dual_add_f32 v8, v8, v9 :: v_dual_and_b32 v81, 0xffff0000, v86
	s_delay_alu instid0(VALU_DEP_3) | instskip(NEXT) | instid1(VALU_DEP_2)
	v_add_f32_e32 v0, v0, v10
	v_dual_add_f32 v12, v12, v13 :: v_dual_add_f32 v13, v81, v82
	s_delay_alu instid0(VALU_DEP_1) | instskip(NEXT) | instid1(VALU_DEP_1)
	v_dual_add_f32 v2, v2, v8 :: v_dual_add_f32 v11, v12, v13
	v_add_f32_e32 v1, v1, v11
	s_and_saveexec_b32 s6, vcc_lo
	s_cbranch_execz .LBB380_399
; %bb.825:                              ;   in Loop: Header=BB380_401 Depth=1
	v_add_co_u32 v6, s1, v6, v31
	s_delay_alu instid0(VALU_DEP_1)
	v_add_co_ci_u32_e64 v7, s1, 0, v7, s1
	s_mov_b32 s7, exec_lo
	flat_load_b64 v[6:7], v[6:7]
	flat_load_b32 v10, v[26:27]
	s_waitcnt vmcnt(1) lgkmcnt(1)
	v_dual_mov_b32 v8, 0 :: v_dual_and_b32 v9, 0xff, v6
	s_delay_alu instid0(VALU_DEP_1)
	v_cmpx_ne_u16_e32 0, v9
	s_cbranch_execz .LBB380_833
; %bb.826:                              ;   in Loop: Header=BB380_401 Depth=1
	v_bfrev_b32_e32 v8, 1
	s_mov_b32 s15, exec_lo
	v_cmpx_ne_u16_e32 0x80, v9
	s_cbranch_execz .LBB380_832
; %bb.827:                              ;   in Loop: Header=BB380_401 Depth=1
	v_and_b32_e32 v9, 0x7f, v6
	v_mov_b32_e32 v8, 0x7f800001
	s_mov_b32 s16, exec_lo
	s_delay_alu instid0(VALU_DEP_2)
	v_cmpx_ne_u32_e32 0x7f, v9
	s_cbranch_execz .LBB380_831
; %bb.828:                              ;   in Loop: Header=BB380_401 Depth=1
	v_lshrrev_b32_e32 v11, 3, v9
	v_cmp_gt_u32_e64 s1, 8, v9
	v_dual_mov_b32 v9, v7 :: v_dual_mov_b32 v8, v6
	s_delay_alu instid0(VALU_DEP_2)
	s_and_saveexec_b32 s18, s1
; %bb.829:                              ;   in Loop: Header=BB380_401 Depth=1
	v_and_b32_e32 v8, 7, v6
	s_delay_alu instid0(VALU_DEP_1) | instskip(NEXT) | instid1(VALU_DEP_1)
	v_clz_i32_u32_e32 v8, v8
	v_min_u32_e32 v11, 32, v8
	s_delay_alu instid0(VALU_DEP_1) | instskip(SKIP_1) | instid1(VALU_DEP_2)
	v_subrev_nc_u32_e32 v8, 28, v11
	v_sub_nc_u32_e32 v11, 29, v11
	v_lshlrev_b64 v[8:9], v8, v[6:7]
; %bb.830:                              ;   in Loop: Header=BB380_401 Depth=1
	s_or_b32 exec_lo, exec_lo, s18
	s_delay_alu instid0(VALU_DEP_1) | instskip(SKIP_2) | instid1(VALU_DEP_3)
	v_lshlrev_b32_e32 v8, 20, v8
	v_lshlrev_b32_e32 v9, 24, v6
	v_lshl_add_u32 v11, v11, 23, 0x3c000000
	v_and_b32_e32 v8, 0x700000, v8
	s_delay_alu instid0(VALU_DEP_3) | instskip(NEXT) | instid1(VALU_DEP_1)
	v_and_b32_e32 v9, 0x80000000, v9
	v_or3_b32 v8, v8, v9, v11
.LBB380_831:                            ;   in Loop: Header=BB380_401 Depth=1
	s_or_b32 exec_lo, exec_lo, s16
.LBB380_832:                            ;   in Loop: Header=BB380_401 Depth=1
	s_delay_alu instid0(SALU_CYCLE_1)
	s_or_b32 exec_lo, exec_lo, s15
.LBB380_833:                            ;   in Loop: Header=BB380_401 Depth=1
	s_delay_alu instid0(SALU_CYCLE_1) | instskip(SKIP_2) | instid1(VALU_DEP_1)
	s_or_b32 exec_lo, exec_lo, s7
	s_waitcnt vmcnt(0) lgkmcnt(0)
	v_mul_f32_e32 v8, v10, v8
                                        ; implicit-def: $vgpr11
	v_and_b32_e32 v9, 0x7f800000, v8
	s_delay_alu instid0(VALU_DEP_1) | instskip(NEXT) | instid1(VALU_DEP_1)
	v_cmp_ne_u32_e64 s1, 0x7f800000, v9
	s_and_saveexec_b32 s7, s1
	s_delay_alu instid0(SALU_CYCLE_1)
	s_xor_b32 s1, exec_lo, s7
; %bb.834:                              ;   in Loop: Header=BB380_401 Depth=1
	v_bfe_u32 v9, v8, 16, 1
	s_delay_alu instid0(VALU_DEP_1)
	v_add3_u32 v11, v8, v9, 0x7fff
                                        ; implicit-def: $vgpr8
; %bb.835:                              ;   in Loop: Header=BB380_401 Depth=1
	s_and_not1_saveexec_b32 s7, s1
; %bb.836:                              ;   in Loop: Header=BB380_401 Depth=1
	v_and_b32_e32 v9, 0xffff, v8
	v_or_b32_e32 v11, 0x10000, v8
	s_delay_alu instid0(VALU_DEP_2) | instskip(NEXT) | instid1(VALU_DEP_1)
	v_cmp_eq_u32_e64 s1, 0, v9
	v_cndmask_b32_e64 v11, v11, v8, s1
; %bb.837:                              ;   in Loop: Header=BB380_401 Depth=1
	s_or_b32 exec_lo, exec_lo, s7
	v_lshrrev_b16 v9, 8, v6
	v_mov_b32_e32 v8, 0
	s_mov_b32 s7, exec_lo
	s_delay_alu instid0(VALU_DEP_2)
	v_cmpx_ne_u16_e32 0, v9
	s_cbranch_execz .LBB380_845
; %bb.838:                              ;   in Loop: Header=BB380_401 Depth=1
	v_bfrev_b32_e32 v8, 1
	s_mov_b32 s15, exec_lo
	v_cmpx_ne_u16_e32 0x80, v9
	s_cbranch_execz .LBB380_844
; %bb.839:                              ;   in Loop: Header=BB380_401 Depth=1
	v_and_b32_e32 v12, 0xffff, v9
	v_mov_b32_e32 v8, 0x7f800001
	s_mov_b32 s16, exec_lo
	s_delay_alu instid0(VALU_DEP_2) | instskip(NEXT) | instid1(VALU_DEP_1)
	v_and_b32_e32 v9, 0x7f, v12
	v_cmpx_ne_u32_e32 0x7f, v9
	s_cbranch_execz .LBB380_843
; %bb.840:                              ;   in Loop: Header=BB380_401 Depth=1
	v_and_b32_e32 v23, 7, v12
	v_lshrrev_b32_e32 v8, 3, v9
	s_mov_b32 s18, exec_lo
	v_cmpx_gt_u32_e32 8, v9
; %bb.841:                              ;   in Loop: Header=BB380_401 Depth=1
	s_delay_alu instid0(VALU_DEP_3) | instskip(NEXT) | instid1(VALU_DEP_1)
	v_clz_i32_u32_e32 v8, v23
	v_min_u32_e32 v8, 32, v8
	s_delay_alu instid0(VALU_DEP_1) | instskip(SKIP_1) | instid1(VALU_DEP_2)
	v_subrev_nc_u32_e32 v9, 28, v8
	v_sub_nc_u32_e32 v8, 29, v8
	v_lshlrev_b64 v[12:13], v9, v[23:24]
	s_delay_alu instid0(VALU_DEP_1)
	v_and_b32_e32 v23, 7, v12
; %bb.842:                              ;   in Loop: Header=BB380_401 Depth=1
	s_or_b32 exec_lo, exec_lo, s18
	v_lshlrev_b32_e32 v9, 16, v6
	s_delay_alu instid0(VALU_DEP_2) | instskip(SKIP_1) | instid1(VALU_DEP_3)
	v_lshlrev_b32_e32 v12, 20, v23
	v_lshl_add_u32 v8, v8, 23, 0x3c000000
	v_and_b32_e32 v9, 0x80000000, v9
	s_delay_alu instid0(VALU_DEP_1)
	v_or3_b32 v8, v12, v9, v8
.LBB380_843:                            ;   in Loop: Header=BB380_401 Depth=1
	s_or_b32 exec_lo, exec_lo, s16
.LBB380_844:                            ;   in Loop: Header=BB380_401 Depth=1
	s_delay_alu instid0(SALU_CYCLE_1)
	s_or_b32 exec_lo, exec_lo, s15
.LBB380_845:                            ;   in Loop: Header=BB380_401 Depth=1
	s_delay_alu instid0(SALU_CYCLE_1) | instskip(NEXT) | instid1(VALU_DEP_1)
	s_or_b32 exec_lo, exec_lo, s7
	v_mul_f32_e32 v8, v10, v8
                                        ; implicit-def: $vgpr12
	s_delay_alu instid0(VALU_DEP_1) | instskip(NEXT) | instid1(VALU_DEP_1)
	v_and_b32_e32 v9, 0x7f800000, v8
	v_cmp_ne_u32_e64 s1, 0x7f800000, v9
	s_delay_alu instid0(VALU_DEP_1) | instskip(NEXT) | instid1(SALU_CYCLE_1)
	s_and_saveexec_b32 s7, s1
	s_xor_b32 s1, exec_lo, s7
; %bb.846:                              ;   in Loop: Header=BB380_401 Depth=1
	v_bfe_u32 v9, v8, 16, 1
	s_delay_alu instid0(VALU_DEP_1)
	v_add3_u32 v12, v8, v9, 0x7fff
                                        ; implicit-def: $vgpr8
; %bb.847:                              ;   in Loop: Header=BB380_401 Depth=1
	s_and_not1_saveexec_b32 s7, s1
; %bb.848:                              ;   in Loop: Header=BB380_401 Depth=1
	v_and_b32_e32 v9, 0xffff, v8
	v_or_b32_e32 v12, 0x10000, v8
	s_delay_alu instid0(VALU_DEP_2) | instskip(NEXT) | instid1(VALU_DEP_1)
	v_cmp_eq_u32_e64 s1, 0, v9
	v_cndmask_b32_e64 v12, v12, v8, s1
; %bb.849:                              ;   in Loop: Header=BB380_401 Depth=1
	s_or_b32 exec_lo, exec_lo, s7
	v_lshrrev_b32_e32 v8, 16, v6
	v_mov_b32_e32 v9, 0
	s_mov_b32 s7, exec_lo
	s_delay_alu instid0(VALU_DEP_2) | instskip(NEXT) | instid1(VALU_DEP_1)
	v_and_b32_e32 v13, 0xff, v8
	v_cmpx_ne_u16_e32 0, v13
	s_cbranch_execz .LBB380_857
; %bb.850:                              ;   in Loop: Header=BB380_401 Depth=1
	v_bfrev_b32_e32 v9, 1
	s_mov_b32 s15, exec_lo
	v_cmpx_ne_u16_e32 0x80, v13
	s_cbranch_execz .LBB380_856
; %bb.851:                              ;   in Loop: Header=BB380_401 Depth=1
	v_bfe_u32 v13, v6, 16, 7
	v_mov_b32_e32 v9, 0x7f800001
	s_mov_b32 s16, exec_lo
	s_delay_alu instid0(VALU_DEP_2)
	v_cmpx_ne_u32_e32 0x7f, v13
	s_cbranch_execz .LBB380_855
; %bb.852:                              ;   in Loop: Header=BB380_401 Depth=1
	v_and_b32_e32 v23, 7, v8
	v_lshrrev_b32_e32 v9, 3, v13
	s_mov_b32 s18, exec_lo
	v_cmpx_gt_u32_e32 8, v13
; %bb.853:                              ;   in Loop: Header=BB380_401 Depth=1
	s_delay_alu instid0(VALU_DEP_3) | instskip(NEXT) | instid1(VALU_DEP_1)
	v_clz_i32_u32_e32 v9, v23
	v_min_u32_e32 v9, 32, v9
	s_delay_alu instid0(VALU_DEP_1) | instskip(SKIP_1) | instid1(VALU_DEP_2)
	v_subrev_nc_u32_e32 v13, 28, v9
	v_sub_nc_u32_e32 v9, 29, v9
	v_lshlrev_b64 v[50:51], v13, v[23:24]
	s_delay_alu instid0(VALU_DEP_1)
	v_and_b32_e32 v23, 7, v50
; %bb.854:                              ;   in Loop: Header=BB380_401 Depth=1
	s_or_b32 exec_lo, exec_lo, s18
	v_lshlrev_b32_e32 v8, 24, v8
	s_delay_alu instid0(VALU_DEP_2) | instskip(SKIP_1) | instid1(VALU_DEP_3)
	v_lshlrev_b32_e32 v13, 20, v23
	v_lshl_add_u32 v9, v9, 23, 0x3c000000
	v_and_b32_e32 v8, 0x80000000, v8
	s_delay_alu instid0(VALU_DEP_1)
	v_or3_b32 v9, v13, v8, v9
.LBB380_855:                            ;   in Loop: Header=BB380_401 Depth=1
	s_or_b32 exec_lo, exec_lo, s16
.LBB380_856:                            ;   in Loop: Header=BB380_401 Depth=1
	s_delay_alu instid0(SALU_CYCLE_1)
	s_or_b32 exec_lo, exec_lo, s15
.LBB380_857:                            ;   in Loop: Header=BB380_401 Depth=1
	s_delay_alu instid0(SALU_CYCLE_1) | instskip(NEXT) | instid1(VALU_DEP_1)
	s_or_b32 exec_lo, exec_lo, s7
	v_mul_f32_e32 v8, v10, v9
                                        ; implicit-def: $vgpr13
	s_delay_alu instid0(VALU_DEP_1) | instskip(NEXT) | instid1(VALU_DEP_1)
	v_and_b32_e32 v9, 0x7f800000, v8
	v_cmp_ne_u32_e64 s1, 0x7f800000, v9
	s_delay_alu instid0(VALU_DEP_1) | instskip(NEXT) | instid1(SALU_CYCLE_1)
	s_and_saveexec_b32 s7, s1
	s_xor_b32 s1, exec_lo, s7
; %bb.858:                              ;   in Loop: Header=BB380_401 Depth=1
	v_bfe_u32 v9, v8, 16, 1
	s_delay_alu instid0(VALU_DEP_1)
	v_add3_u32 v13, v8, v9, 0x7fff
                                        ; implicit-def: $vgpr8
; %bb.859:                              ;   in Loop: Header=BB380_401 Depth=1
	s_and_not1_saveexec_b32 s7, s1
; %bb.860:                              ;   in Loop: Header=BB380_401 Depth=1
	v_and_b32_e32 v9, 0xffff, v8
	v_or_b32_e32 v13, 0x10000, v8
	s_delay_alu instid0(VALU_DEP_2) | instskip(NEXT) | instid1(VALU_DEP_1)
	v_cmp_eq_u32_e64 s1, 0, v9
	v_cndmask_b32_e64 v13, v13, v8, s1
; %bb.861:                              ;   in Loop: Header=BB380_401 Depth=1
	s_or_b32 exec_lo, exec_lo, s7
	v_mov_b32_e32 v9, 0
	s_mov_b32 s7, exec_lo
	v_cmpx_lt_u32_e32 0xffffff, v6
	s_cbranch_execz .LBB380_869
; %bb.862:                              ;   in Loop: Header=BB380_401 Depth=1
	v_lshrrev_b32_e32 v8, 24, v6
	v_bfrev_b32_e32 v9, 1
	s_mov_b32 s15, exec_lo
	s_delay_alu instid0(VALU_DEP_2)
	v_cmpx_ne_u32_e32 0x80, v8
	s_cbranch_execz .LBB380_868
; %bb.863:                              ;   in Loop: Header=BB380_401 Depth=1
	v_bfe_u32 v50, v6, 24, 7
	v_mov_b32_e32 v9, 0x7f800001
	s_mov_b32 s16, exec_lo
	s_delay_alu instid0(VALU_DEP_2)
	v_cmpx_ne_u32_e32 0x7f, v50
	s_cbranch_execz .LBB380_867
; %bb.864:                              ;   in Loop: Header=BB380_401 Depth=1
	v_and_b32_e32 v23, 7, v8
	v_lshrrev_b32_e32 v9, 3, v50
	s_mov_b32 s18, exec_lo
	v_cmpx_gt_u32_e32 8, v50
; %bb.865:                              ;   in Loop: Header=BB380_401 Depth=1
	s_delay_alu instid0(VALU_DEP_3) | instskip(NEXT) | instid1(VALU_DEP_1)
	v_clz_i32_u32_e32 v9, v23
	v_min_u32_e32 v9, 32, v9
	s_delay_alu instid0(VALU_DEP_1) | instskip(SKIP_1) | instid1(VALU_DEP_2)
	v_subrev_nc_u32_e32 v50, 28, v9
	v_sub_nc_u32_e32 v9, 29, v9
	v_lshlrev_b64 v[50:51], v50, v[23:24]
	s_delay_alu instid0(VALU_DEP_1)
	v_and_b32_e32 v23, 7, v50
; %bb.866:                              ;   in Loop: Header=BB380_401 Depth=1
	s_or_b32 exec_lo, exec_lo, s18
	v_lshlrev_b32_e32 v8, 24, v8
	s_delay_alu instid0(VALU_DEP_2) | instskip(SKIP_1) | instid1(VALU_DEP_3)
	v_lshlrev_b32_e32 v23, 20, v23
	v_lshl_add_u32 v9, v9, 23, 0x3c000000
	v_and_b32_e32 v8, 0x80000000, v8
	s_delay_alu instid0(VALU_DEP_1)
	v_or3_b32 v9, v23, v8, v9
.LBB380_867:                            ;   in Loop: Header=BB380_401 Depth=1
	s_or_b32 exec_lo, exec_lo, s16
.LBB380_868:                            ;   in Loop: Header=BB380_401 Depth=1
	s_delay_alu instid0(SALU_CYCLE_1)
	s_or_b32 exec_lo, exec_lo, s15
.LBB380_869:                            ;   in Loop: Header=BB380_401 Depth=1
	s_delay_alu instid0(SALU_CYCLE_1) | instskip(NEXT) | instid1(VALU_DEP_1)
	s_or_b32 exec_lo, exec_lo, s7
	v_mul_f32_e32 v8, v10, v9
                                        ; implicit-def: $vgpr50
	s_delay_alu instid0(VALU_DEP_1) | instskip(NEXT) | instid1(VALU_DEP_1)
	v_and_b32_e32 v9, 0x7f800000, v8
	v_cmp_ne_u32_e64 s1, 0x7f800000, v9
	s_delay_alu instid0(VALU_DEP_1) | instskip(NEXT) | instid1(SALU_CYCLE_1)
	s_and_saveexec_b32 s7, s1
	s_xor_b32 s1, exec_lo, s7
; %bb.870:                              ;   in Loop: Header=BB380_401 Depth=1
	v_bfe_u32 v9, v8, 16, 1
	s_delay_alu instid0(VALU_DEP_1)
	v_add3_u32 v50, v8, v9, 0x7fff
                                        ; implicit-def: $vgpr8
; %bb.871:                              ;   in Loop: Header=BB380_401 Depth=1
	s_and_not1_saveexec_b32 s7, s1
; %bb.872:                              ;   in Loop: Header=BB380_401 Depth=1
	v_and_b32_e32 v9, 0xffff, v8
	v_or_b32_e32 v23, 0x10000, v8
	s_delay_alu instid0(VALU_DEP_2) | instskip(NEXT) | instid1(VALU_DEP_1)
	v_cmp_eq_u32_e64 s1, 0, v9
	v_cndmask_b32_e64 v50, v23, v8, s1
; %bb.873:                              ;   in Loop: Header=BB380_401 Depth=1
	s_or_b32 exec_lo, exec_lo, s7
	v_dual_mov_b32 v8, 0 :: v_dual_and_b32 v9, 0xff, v7
	v_mov_b32_e32 v23, v7
	s_mov_b32 s7, exec_lo
	s_delay_alu instid0(VALU_DEP_2)
	v_cmpx_ne_u16_e32 0, v9
	s_cbranch_execz .LBB380_881
; %bb.874:                              ;   in Loop: Header=BB380_401 Depth=1
	v_bfrev_b32_e32 v8, 1
	s_mov_b32 s15, exec_lo
	v_cmpx_ne_u16_e32 0x80, v9
	s_cbranch_execz .LBB380_880
; %bb.875:                              ;   in Loop: Header=BB380_401 Depth=1
	v_and_b32_e32 v9, 0x7f, v7
	v_mov_b32_e32 v8, 0x7f800001
	s_mov_b32 s16, exec_lo
	s_delay_alu instid0(VALU_DEP_2)
	v_cmpx_ne_u32_e32 0x7f, v9
	s_cbranch_execz .LBB380_879
; %bb.876:                              ;   in Loop: Header=BB380_401 Depth=1
	v_lshrrev_b32_e32 v51, 3, v9
	v_cmp_gt_u32_e64 s1, 8, v9
	v_dual_mov_b32 v8, v23 :: v_dual_mov_b32 v9, v24
	s_delay_alu instid0(VALU_DEP_2)
	s_and_saveexec_b32 s18, s1
; %bb.877:                              ;   in Loop: Header=BB380_401 Depth=1
	v_and_b32_e32 v8, 7, v7
	s_delay_alu instid0(VALU_DEP_1) | instskip(NEXT) | instid1(VALU_DEP_1)
	v_clz_i32_u32_e32 v8, v8
	v_min_u32_e32 v51, 32, v8
	s_delay_alu instid0(VALU_DEP_1) | instskip(SKIP_1) | instid1(VALU_DEP_2)
	v_subrev_nc_u32_e32 v8, 28, v51
	v_sub_nc_u32_e32 v51, 29, v51
	v_lshlrev_b64 v[8:9], v8, v[23:24]
; %bb.878:                              ;   in Loop: Header=BB380_401 Depth=1
	s_or_b32 exec_lo, exec_lo, s18
	s_delay_alu instid0(VALU_DEP_1) | instskip(SKIP_2) | instid1(VALU_DEP_3)
	v_lshlrev_b32_e32 v8, 20, v8
	v_lshlrev_b32_e32 v9, 24, v23
	v_lshl_add_u32 v51, v51, 23, 0x3c000000
	v_and_b32_e32 v8, 0x700000, v8
	s_delay_alu instid0(VALU_DEP_3) | instskip(NEXT) | instid1(VALU_DEP_1)
	v_and_b32_e32 v9, 0x80000000, v9
	v_or3_b32 v8, v8, v9, v51
.LBB380_879:                            ;   in Loop: Header=BB380_401 Depth=1
	s_or_b32 exec_lo, exec_lo, s16
.LBB380_880:                            ;   in Loop: Header=BB380_401 Depth=1
	s_delay_alu instid0(SALU_CYCLE_1)
	s_or_b32 exec_lo, exec_lo, s15
.LBB380_881:                            ;   in Loop: Header=BB380_401 Depth=1
	s_delay_alu instid0(SALU_CYCLE_1) | instskip(NEXT) | instid1(VALU_DEP_1)
	s_or_b32 exec_lo, exec_lo, s7
	v_mul_f32_e32 v8, v10, v8
                                        ; implicit-def: $vgpr51
	s_delay_alu instid0(VALU_DEP_1) | instskip(NEXT) | instid1(VALU_DEP_1)
	v_and_b32_e32 v9, 0x7f800000, v8
	v_cmp_ne_u32_e64 s1, 0x7f800000, v9
	s_delay_alu instid0(VALU_DEP_1) | instskip(NEXT) | instid1(SALU_CYCLE_1)
	s_and_saveexec_b32 s7, s1
	s_xor_b32 s1, exec_lo, s7
; %bb.882:                              ;   in Loop: Header=BB380_401 Depth=1
	v_bfe_u32 v9, v8, 16, 1
	s_delay_alu instid0(VALU_DEP_1)
	v_add3_u32 v51, v8, v9, 0x7fff
                                        ; implicit-def: $vgpr8
; %bb.883:                              ;   in Loop: Header=BB380_401 Depth=1
	s_and_not1_saveexec_b32 s7, s1
; %bb.884:                              ;   in Loop: Header=BB380_401 Depth=1
	v_and_b32_e32 v9, 0xffff, v8
	v_or_b32_e32 v51, 0x10000, v8
	s_delay_alu instid0(VALU_DEP_2) | instskip(NEXT) | instid1(VALU_DEP_1)
	v_cmp_eq_u32_e64 s1, 0, v9
	v_cndmask_b32_e64 v51, v51, v8, s1
; %bb.885:                              ;   in Loop: Header=BB380_401 Depth=1
	s_or_b32 exec_lo, exec_lo, s7
	v_lshrrev_b16 v9, 8, v23
	v_mov_b32_e32 v8, 0
	s_mov_b32 s7, exec_lo
	s_delay_alu instid0(VALU_DEP_2)
	v_cmpx_ne_u16_e32 0, v9
	s_cbranch_execz .LBB380_893
; %bb.886:                              ;   in Loop: Header=BB380_401 Depth=1
	v_bfrev_b32_e32 v8, 1
	s_mov_b32 s15, exec_lo
	v_cmpx_ne_u16_e32 0x80, v9
	s_cbranch_execz .LBB380_892
; %bb.887:                              ;   in Loop: Header=BB380_401 Depth=1
	v_and_b32_e32 v9, 0xffff, v9
	v_mov_b32_e32 v8, 0x7f800001
	s_mov_b32 s16, exec_lo
	s_delay_alu instid0(VALU_DEP_2) | instskip(NEXT) | instid1(VALU_DEP_1)
	v_and_b32_e32 v53, 0x7f, v9
	v_cmpx_ne_u32_e32 0x7f, v53
	s_cbranch_execz .LBB380_891
; %bb.888:                              ;   in Loop: Header=BB380_401 Depth=1
	v_dual_mov_b32 v9, v24 :: v_dual_and_b32 v8, 7, v9
	v_lshrrev_b32_e32 v52, 3, v53
	s_mov_b32 s18, exec_lo
	v_cmpx_gt_u32_e32 8, v53
; %bb.889:                              ;   in Loop: Header=BB380_401 Depth=1
	s_delay_alu instid0(VALU_DEP_3) | instskip(NEXT) | instid1(VALU_DEP_1)
	v_clz_i32_u32_e32 v52, v8
	v_min_u32_e32 v52, 32, v52
	s_delay_alu instid0(VALU_DEP_1) | instskip(SKIP_1) | instid1(VALU_DEP_2)
	v_subrev_nc_u32_e32 v53, 28, v52
	v_sub_nc_u32_e32 v52, 29, v52
	v_lshlrev_b64 v[8:9], v53, v[8:9]
	s_delay_alu instid0(VALU_DEP_1)
	v_and_b32_e32 v8, 7, v8
; %bb.890:                              ;   in Loop: Header=BB380_401 Depth=1
	s_or_b32 exec_lo, exec_lo, s18
	v_lshlrev_b32_e32 v9, 16, v23
	s_delay_alu instid0(VALU_DEP_2) | instskip(SKIP_1) | instid1(VALU_DEP_3)
	v_lshlrev_b32_e32 v8, 20, v8
	v_lshl_add_u32 v23, v52, 23, 0x3c000000
	v_and_b32_e32 v9, 0x80000000, v9
	s_delay_alu instid0(VALU_DEP_1)
	v_or3_b32 v8, v8, v9, v23
.LBB380_891:                            ;   in Loop: Header=BB380_401 Depth=1
	s_or_b32 exec_lo, exec_lo, s16
.LBB380_892:                            ;   in Loop: Header=BB380_401 Depth=1
	s_delay_alu instid0(SALU_CYCLE_1)
	s_or_b32 exec_lo, exec_lo, s15
.LBB380_893:                            ;   in Loop: Header=BB380_401 Depth=1
	s_delay_alu instid0(SALU_CYCLE_1) | instskip(NEXT) | instid1(VALU_DEP_1)
	s_or_b32 exec_lo, exec_lo, s7
	v_mul_f32_e32 v9, v10, v8
	s_delay_alu instid0(VALU_DEP_1) | instskip(NEXT) | instid1(VALU_DEP_1)
	v_and_b32_e32 v8, 0x7f800000, v9
	v_cmp_ne_u32_e64 s1, 0x7f800000, v8
                                        ; implicit-def: $vgpr8
	s_delay_alu instid0(VALU_DEP_1) | instskip(NEXT) | instid1(SALU_CYCLE_1)
	s_and_saveexec_b32 s7, s1
	s_xor_b32 s1, exec_lo, s7
; %bb.894:                              ;   in Loop: Header=BB380_401 Depth=1
	v_bfe_u32 v8, v9, 16, 1
	s_delay_alu instid0(VALU_DEP_1)
	v_add3_u32 v8, v9, v8, 0x7fff
                                        ; implicit-def: $vgpr9
; %bb.895:                              ;   in Loop: Header=BB380_401 Depth=1
	s_and_not1_saveexec_b32 s7, s1
; %bb.896:                              ;   in Loop: Header=BB380_401 Depth=1
	v_and_b32_e32 v8, 0xffff, v9
	v_or_b32_e32 v23, 0x10000, v9
	s_delay_alu instid0(VALU_DEP_2) | instskip(NEXT) | instid1(VALU_DEP_1)
	v_cmp_eq_u32_e64 s1, 0, v8
	v_cndmask_b32_e64 v8, v23, v9, s1
; %bb.897:                              ;   in Loop: Header=BB380_401 Depth=1
	s_or_b32 exec_lo, exec_lo, s7
	v_lshrrev_b32_e32 v9, 16, v7
	s_mov_b32 s7, exec_lo
	s_delay_alu instid0(VALU_DEP_1) | instskip(NEXT) | instid1(VALU_DEP_1)
	v_dual_mov_b32 v23, 0 :: v_dual_and_b32 v52, 0xff, v9
	v_cmpx_ne_u16_e32 0, v52
	s_cbranch_execz .LBB380_905
; %bb.898:                              ;   in Loop: Header=BB380_401 Depth=1
	v_bfrev_b32_e32 v23, 1
	s_mov_b32 s15, exec_lo
	v_cmpx_ne_u16_e32 0x80, v52
	s_cbranch_execz .LBB380_904
; %bb.899:                              ;   in Loop: Header=BB380_401 Depth=1
	v_bfe_u32 v53, v7, 16, 7
	v_mov_b32_e32 v23, 0x7f800001
	s_mov_b32 s16, exec_lo
	s_delay_alu instid0(VALU_DEP_2)
	v_cmpx_ne_u32_e32 0x7f, v53
	s_cbranch_execz .LBB380_903
; %bb.900:                              ;   in Loop: Header=BB380_401 Depth=1
	v_and_b32_e32 v23, 7, v9
	v_lshrrev_b32_e32 v52, 3, v53
	s_mov_b32 s18, exec_lo
	v_cmpx_gt_u32_e32 8, v53
; %bb.901:                              ;   in Loop: Header=BB380_401 Depth=1
	s_delay_alu instid0(VALU_DEP_3) | instskip(NEXT) | instid1(VALU_DEP_1)
	v_clz_i32_u32_e32 v52, v23
	v_min_u32_e32 v52, 32, v52
	s_delay_alu instid0(VALU_DEP_1) | instskip(SKIP_1) | instid1(VALU_DEP_2)
	v_subrev_nc_u32_e32 v53, 28, v52
	v_sub_nc_u32_e32 v52, 29, v52
	v_lshlrev_b64 v[53:54], v53, v[23:24]
	s_delay_alu instid0(VALU_DEP_1)
	v_and_b32_e32 v23, 7, v53
; %bb.902:                              ;   in Loop: Header=BB380_401 Depth=1
	s_or_b32 exec_lo, exec_lo, s18
	v_lshlrev_b32_e32 v9, 24, v9
	s_delay_alu instid0(VALU_DEP_2) | instskip(SKIP_1) | instid1(VALU_DEP_3)
	v_lshlrev_b32_e32 v23, 20, v23
	v_lshl_add_u32 v52, v52, 23, 0x3c000000
	v_and_b32_e32 v9, 0x80000000, v9
	s_delay_alu instid0(VALU_DEP_1)
	v_or3_b32 v23, v23, v9, v52
.LBB380_903:                            ;   in Loop: Header=BB380_401 Depth=1
	s_or_b32 exec_lo, exec_lo, s16
.LBB380_904:                            ;   in Loop: Header=BB380_401 Depth=1
	s_delay_alu instid0(SALU_CYCLE_1)
	s_or_b32 exec_lo, exec_lo, s15
.LBB380_905:                            ;   in Loop: Header=BB380_401 Depth=1
	s_delay_alu instid0(SALU_CYCLE_1) | instskip(NEXT) | instid1(VALU_DEP_1)
	s_or_b32 exec_lo, exec_lo, s7
	v_mul_f32_e32 v9, v10, v23
                                        ; implicit-def: $vgpr52
	s_delay_alu instid0(VALU_DEP_1) | instskip(NEXT) | instid1(VALU_DEP_1)
	v_and_b32_e32 v23, 0x7f800000, v9
	v_cmp_ne_u32_e64 s1, 0x7f800000, v23
	s_delay_alu instid0(VALU_DEP_1) | instskip(NEXT) | instid1(SALU_CYCLE_1)
	s_and_saveexec_b32 s7, s1
	s_xor_b32 s1, exec_lo, s7
; %bb.906:                              ;   in Loop: Header=BB380_401 Depth=1
	v_bfe_u32 v23, v9, 16, 1
	s_delay_alu instid0(VALU_DEP_1)
	v_add3_u32 v52, v9, v23, 0x7fff
                                        ; implicit-def: $vgpr9
; %bb.907:                              ;   in Loop: Header=BB380_401 Depth=1
	s_and_not1_saveexec_b32 s7, s1
; %bb.908:                              ;   in Loop: Header=BB380_401 Depth=1
	v_and_b32_e32 v23, 0xffff, v9
	v_or_b32_e32 v52, 0x10000, v9
	s_delay_alu instid0(VALU_DEP_2) | instskip(NEXT) | instid1(VALU_DEP_1)
	v_cmp_eq_u32_e64 s1, 0, v23
	v_cndmask_b32_e64 v52, v52, v9, s1
; %bb.909:                              ;   in Loop: Header=BB380_401 Depth=1
	s_or_b32 exec_lo, exec_lo, s7
	v_mov_b32_e32 v9, 0
	s_mov_b32 s7, exec_lo
	v_cmpx_lt_u64_e64 s[12:13], v[6:7]
	s_cbranch_execz .LBB380_917
; %bb.910:                              ;   in Loop: Header=BB380_401 Depth=1
	v_lshrrev_b32_e32 v6, 24, v7
	v_bfrev_b32_e32 v9, 1
	s_mov_b32 s15, exec_lo
	s_delay_alu instid0(VALU_DEP_2)
	v_cmpx_ne_u32_e32 0x80, v6
	s_cbranch_execz .LBB380_916
; %bb.911:                              ;   in Loop: Header=BB380_401 Depth=1
	v_bfe_u32 v53, v7, 24, 7
	v_mov_b32_e32 v9, 0x7f800001
	s_mov_b32 s16, exec_lo
	s_delay_alu instid0(VALU_DEP_2)
	v_cmpx_ne_u32_e32 0x7f, v53
	s_cbranch_execz .LBB380_915
; %bb.912:                              ;   in Loop: Header=BB380_401 Depth=1
	v_and_b32_e32 v23, 7, v6
	v_lshrrev_b32_e32 v7, 3, v53
	s_mov_b32 s18, exec_lo
	v_cmpx_gt_u32_e32 8, v53
; %bb.913:                              ;   in Loop: Header=BB380_401 Depth=1
	s_delay_alu instid0(VALU_DEP_3) | instskip(NEXT) | instid1(VALU_DEP_1)
	v_clz_i32_u32_e32 v7, v23
	v_min_u32_e32 v7, 32, v7
	s_delay_alu instid0(VALU_DEP_1) | instskip(SKIP_1) | instid1(VALU_DEP_2)
	v_subrev_nc_u32_e32 v9, 28, v7
	v_sub_nc_u32_e32 v7, 29, v7
	v_lshlrev_b64 v[53:54], v9, v[23:24]
	s_delay_alu instid0(VALU_DEP_1)
	v_and_b32_e32 v23, 7, v53
; %bb.914:                              ;   in Loop: Header=BB380_401 Depth=1
	s_or_b32 exec_lo, exec_lo, s18
	v_lshlrev_b32_e32 v6, 24, v6
	s_delay_alu instid0(VALU_DEP_2) | instskip(SKIP_1) | instid1(VALU_DEP_3)
	v_lshlrev_b32_e32 v9, 20, v23
	v_lshl_add_u32 v7, v7, 23, 0x3c000000
	v_and_b32_e32 v6, 0x80000000, v6
	s_delay_alu instid0(VALU_DEP_1)
	v_or3_b32 v9, v9, v6, v7
.LBB380_915:                            ;   in Loop: Header=BB380_401 Depth=1
	s_or_b32 exec_lo, exec_lo, s16
.LBB380_916:                            ;   in Loop: Header=BB380_401 Depth=1
	s_delay_alu instid0(SALU_CYCLE_1)
	s_or_b32 exec_lo, exec_lo, s15
.LBB380_917:                            ;   in Loop: Header=BB380_401 Depth=1
	s_delay_alu instid0(SALU_CYCLE_1) | instskip(NEXT) | instid1(VALU_DEP_1)
	s_or_b32 exec_lo, exec_lo, s7
	v_mul_f32_e32 v7, v10, v9
	s_delay_alu instid0(VALU_DEP_1) | instskip(NEXT) | instid1(VALU_DEP_1)
	v_and_b32_e32 v6, 0x7f800000, v7
	v_cmp_ne_u32_e64 s1, 0x7f800000, v6
                                        ; implicit-def: $vgpr6
	s_delay_alu instid0(VALU_DEP_1) | instskip(NEXT) | instid1(SALU_CYCLE_1)
	s_and_saveexec_b32 s7, s1
	s_xor_b32 s1, exec_lo, s7
; %bb.918:                              ;   in Loop: Header=BB380_401 Depth=1
	v_bfe_u32 v6, v7, 16, 1
	s_delay_alu instid0(VALU_DEP_1)
	v_add3_u32 v6, v7, v6, 0x7fff
                                        ; implicit-def: $vgpr7
; %bb.919:                              ;   in Loop: Header=BB380_401 Depth=1
	s_and_not1_saveexec_b32 s7, s1
; %bb.920:                              ;   in Loop: Header=BB380_401 Depth=1
	v_and_b32_e32 v6, 0xffff, v7
	v_or_b32_e32 v9, 0x10000, v7
	s_delay_alu instid0(VALU_DEP_2) | instskip(NEXT) | instid1(VALU_DEP_1)
	v_cmp_eq_u32_e64 s1, 0, v6
	v_cndmask_b32_e64 v6, v9, v7, s1
; %bb.921:                              ;   in Loop: Header=BB380_401 Depth=1
	s_or_b32 exec_lo, exec_lo, s7
	v_lshrrev_b32_e32 v9, 16, v8
	v_lshrrev_b32_e32 v23, 16, v51
	;; [unrolled: 1-line block ×8, first 2 shown]
	s_and_saveexec_b32 s1, s0
	s_cbranch_execz .LBB380_923
; %bb.922:                              ;   in Loop: Header=BB380_401 Depth=1
	v_add_nc_u32_e32 v11, 1, v68
	v_cmp_lt_i32_e64 s0, v68, v64
	v_add_nc_u32_e32 v12, 2, v68
	v_add_nc_u32_e32 v51, 3, v68
	s_delay_alu instid0(VALU_DEP_3) | instskip(SKIP_2) | instid1(VALU_DEP_2)
	v_cndmask_b32_e64 v8, 0, v8, s0
	v_cmp_lt_i32_e64 s0, v11, v64
	v_add_nc_u32_e32 v11, 4, v68
	v_cndmask_b32_e64 v10, 0, v10, s0
	v_cmp_lt_i32_e64 s0, v12, v64
	v_add_nc_u32_e32 v12, 5, v68
	s_delay_alu instid0(VALU_DEP_2) | instskip(SKIP_2) | instid1(VALU_DEP_2)
	v_cndmask_b32_e64 v13, 0, v13, s0
	v_cmp_lt_i32_e64 s0, v51, v64
	v_add_nc_u32_e32 v51, 6, v68
	v_cndmask_b32_e64 v50, 0, v50, s0
	v_cmp_lt_i32_e64 s0, v11, v64
	v_add_nc_u32_e32 v11, 7, v68
	s_delay_alu instid0(VALU_DEP_2) | instskip(SKIP_1) | instid1(VALU_DEP_1)
	v_cndmask_b32_e64 v23, 0, v23, s0
	v_cmp_lt_i32_e64 s0, v12, v64
	v_cndmask_b32_e64 v9, 0, v9, s0
	v_cmp_lt_i32_e64 s0, v51, v64
	s_delay_alu instid0(VALU_DEP_1) | instskip(SKIP_1) | instid1(VALU_DEP_1)
	v_cndmask_b32_e64 v7, 0, v7, s0
	v_cmp_lt_i32_e64 s0, v11, v64
	v_cndmask_b32_e64 v6, 0, v6, s0
.LBB380_923:                            ;   in Loop: Header=BB380_401 Depth=1
	s_or_b32 exec_lo, exec_lo, s1
	v_lshlrev_b32_e32 v8, 16, v8
	s_delay_alu instid0(VALU_DEP_1) | instskip(NEXT) | instid1(VALU_DEP_1)
	v_mul_f32_e32 v11, v33, v8
	v_and_b32_e32 v8, 0x7f800000, v11
	s_delay_alu instid0(VALU_DEP_1) | instskip(NEXT) | instid1(VALU_DEP_1)
	v_cmp_ne_u32_e64 s0, 0x7f800000, v8
                                        ; implicit-def: $vgpr8
	s_and_saveexec_b32 s1, s0
	s_delay_alu instid0(SALU_CYCLE_1)
	s_xor_b32 s0, exec_lo, s1
; %bb.924:                              ;   in Loop: Header=BB380_401 Depth=1
	v_bfe_u32 v8, v11, 16, 1
	s_delay_alu instid0(VALU_DEP_1)
	v_add3_u32 v8, v11, v8, 0x7fff
                                        ; implicit-def: $vgpr11
; %bb.925:                              ;   in Loop: Header=BB380_401 Depth=1
	s_and_not1_saveexec_b32 s1, s0
; %bb.926:                              ;   in Loop: Header=BB380_401 Depth=1
	v_and_b32_e32 v8, 0xffff, v11
	v_or_b32_e32 v12, 0x10000, v11
	s_delay_alu instid0(VALU_DEP_2) | instskip(NEXT) | instid1(VALU_DEP_1)
	v_cmp_eq_u32_e64 s0, 0, v8
	v_cndmask_b32_e64 v8, v12, v11, s0
; %bb.927:                              ;   in Loop: Header=BB380_401 Depth=1
	s_or_b32 exec_lo, exec_lo, s1
	v_lshlrev_b32_e32 v10, 16, v10
	s_delay_alu instid0(VALU_DEP_1) | instskip(NEXT) | instid1(VALU_DEP_1)
	v_mul_f32_e32 v11, v34, v10
	v_and_b32_e32 v10, 0x7f800000, v11
	s_delay_alu instid0(VALU_DEP_1) | instskip(NEXT) | instid1(VALU_DEP_1)
	v_cmp_ne_u32_e64 s0, 0x7f800000, v10
                                        ; implicit-def: $vgpr10
	s_and_saveexec_b32 s1, s0
	s_delay_alu instid0(SALU_CYCLE_1)
	s_xor_b32 s0, exec_lo, s1
; %bb.928:                              ;   in Loop: Header=BB380_401 Depth=1
	v_bfe_u32 v10, v11, 16, 1
	s_delay_alu instid0(VALU_DEP_1)
	v_add3_u32 v10, v11, v10, 0x7fff
                                        ; implicit-def: $vgpr11
; %bb.929:                              ;   in Loop: Header=BB380_401 Depth=1
	s_and_not1_saveexec_b32 s1, s0
; %bb.930:                              ;   in Loop: Header=BB380_401 Depth=1
	v_and_b32_e32 v10, 0xffff, v11
	v_or_b32_e32 v12, 0x10000, v11
	s_delay_alu instid0(VALU_DEP_2) | instskip(NEXT) | instid1(VALU_DEP_1)
	v_cmp_eq_u32_e64 s0, 0, v10
	v_cndmask_b32_e64 v10, v12, v11, s0
; %bb.931:                              ;   in Loop: Header=BB380_401 Depth=1
	s_or_b32 exec_lo, exec_lo, s1
	v_lshlrev_b32_e32 v11, 16, v13
	s_delay_alu instid0(VALU_DEP_1) | instskip(NEXT) | instid1(VALU_DEP_1)
	v_mul_f32_e32 v12, v35, v11
	v_and_b32_e32 v11, 0x7f800000, v12
	s_delay_alu instid0(VALU_DEP_1) | instskip(NEXT) | instid1(VALU_DEP_1)
	v_cmp_ne_u32_e64 s0, 0x7f800000, v11
                                        ; implicit-def: $vgpr11
	s_and_saveexec_b32 s1, s0
	s_delay_alu instid0(SALU_CYCLE_1)
	s_xor_b32 s0, exec_lo, s1
; %bb.932:                              ;   in Loop: Header=BB380_401 Depth=1
	v_bfe_u32 v11, v12, 16, 1
	s_delay_alu instid0(VALU_DEP_1)
	v_add3_u32 v11, v12, v11, 0x7fff
                                        ; implicit-def: $vgpr12
; %bb.933:                              ;   in Loop: Header=BB380_401 Depth=1
	s_and_not1_saveexec_b32 s1, s0
; %bb.934:                              ;   in Loop: Header=BB380_401 Depth=1
	v_and_b32_e32 v11, 0xffff, v12
	v_or_b32_e32 v13, 0x10000, v12
	s_delay_alu instid0(VALU_DEP_2) | instskip(NEXT) | instid1(VALU_DEP_1)
	v_cmp_eq_u32_e64 s0, 0, v11
	v_cndmask_b32_e64 v11, v13, v12, s0
; %bb.935:                              ;   in Loop: Header=BB380_401 Depth=1
	s_or_b32 exec_lo, exec_lo, s1
	v_lshlrev_b32_e32 v12, 16, v50
	s_delay_alu instid0(VALU_DEP_1) | instskip(NEXT) | instid1(VALU_DEP_1)
	v_mul_f32_e32 v13, v36, v12
	v_and_b32_e32 v12, 0x7f800000, v13
	s_delay_alu instid0(VALU_DEP_1) | instskip(NEXT) | instid1(VALU_DEP_1)
	v_cmp_ne_u32_e64 s0, 0x7f800000, v12
                                        ; implicit-def: $vgpr12
	s_and_saveexec_b32 s1, s0
	s_delay_alu instid0(SALU_CYCLE_1)
	s_xor_b32 s0, exec_lo, s1
; %bb.936:                              ;   in Loop: Header=BB380_401 Depth=1
	v_bfe_u32 v12, v13, 16, 1
	s_delay_alu instid0(VALU_DEP_1)
	v_add3_u32 v12, v13, v12, 0x7fff
                                        ; implicit-def: $vgpr13
; %bb.937:                              ;   in Loop: Header=BB380_401 Depth=1
	s_and_not1_saveexec_b32 s1, s0
; %bb.938:                              ;   in Loop: Header=BB380_401 Depth=1
	v_and_b32_e32 v12, 0xffff, v13
	v_or_b32_e32 v33, 0x10000, v13
	s_delay_alu instid0(VALU_DEP_2) | instskip(NEXT) | instid1(VALU_DEP_1)
	v_cmp_eq_u32_e64 s0, 0, v12
	v_cndmask_b32_e64 v12, v33, v13, s0
; %bb.939:                              ;   in Loop: Header=BB380_401 Depth=1
	s_or_b32 exec_lo, exec_lo, s1
	v_lshlrev_b32_e32 v13, 16, v23
	s_delay_alu instid0(VALU_DEP_1) | instskip(NEXT) | instid1(VALU_DEP_1)
	v_mul_f32_e32 v23, v37, v13
	v_and_b32_e32 v13, 0x7f800000, v23
	s_delay_alu instid0(VALU_DEP_1) | instskip(NEXT) | instid1(VALU_DEP_1)
	v_cmp_ne_u32_e64 s0, 0x7f800000, v13
                                        ; implicit-def: $vgpr13
	s_and_saveexec_b32 s1, s0
	s_delay_alu instid0(SALU_CYCLE_1)
	s_xor_b32 s0, exec_lo, s1
; %bb.940:                              ;   in Loop: Header=BB380_401 Depth=1
	v_bfe_u32 v13, v23, 16, 1
	s_delay_alu instid0(VALU_DEP_1)
	v_add3_u32 v13, v23, v13, 0x7fff
                                        ; implicit-def: $vgpr23
; %bb.941:                              ;   in Loop: Header=BB380_401 Depth=1
	s_and_not1_saveexec_b32 s1, s0
; %bb.942:                              ;   in Loop: Header=BB380_401 Depth=1
	v_and_b32_e32 v13, 0xffff, v23
	v_or_b32_e32 v33, 0x10000, v23
	s_delay_alu instid0(VALU_DEP_2) | instskip(NEXT) | instid1(VALU_DEP_1)
	v_cmp_eq_u32_e64 s0, 0, v13
	v_cndmask_b32_e64 v13, v33, v23, s0
; %bb.943:                              ;   in Loop: Header=BB380_401 Depth=1
	s_or_b32 exec_lo, exec_lo, s1
	v_lshlrev_b32_e32 v9, 16, v9
	s_delay_alu instid0(VALU_DEP_1) | instskip(NEXT) | instid1(VALU_DEP_1)
	v_mul_f32_e32 v23, v38, v9
	v_and_b32_e32 v9, 0x7f800000, v23
	s_delay_alu instid0(VALU_DEP_1) | instskip(NEXT) | instid1(VALU_DEP_1)
	v_cmp_ne_u32_e64 s0, 0x7f800000, v9
                                        ; implicit-def: $vgpr9
	s_and_saveexec_b32 s1, s0
	s_delay_alu instid0(SALU_CYCLE_1)
	s_xor_b32 s0, exec_lo, s1
; %bb.944:                              ;   in Loop: Header=BB380_401 Depth=1
	v_bfe_u32 v9, v23, 16, 1
	s_delay_alu instid0(VALU_DEP_1)
	v_add3_u32 v9, v23, v9, 0x7fff
                                        ; implicit-def: $vgpr23
; %bb.945:                              ;   in Loop: Header=BB380_401 Depth=1
	s_and_not1_saveexec_b32 s1, s0
; %bb.946:                              ;   in Loop: Header=BB380_401 Depth=1
	v_and_b32_e32 v9, 0xffff, v23
	v_or_b32_e32 v33, 0x10000, v23
	s_delay_alu instid0(VALU_DEP_2) | instskip(NEXT) | instid1(VALU_DEP_1)
	v_cmp_eq_u32_e64 s0, 0, v9
	v_cndmask_b32_e64 v9, v33, v23, s0
; %bb.947:                              ;   in Loop: Header=BB380_401 Depth=1
	s_or_b32 exec_lo, exec_lo, s1
	v_lshlrev_b32_e32 v7, 16, v7
	s_delay_alu instid0(VALU_DEP_1) | instskip(NEXT) | instid1(VALU_DEP_1)
	v_mul_f32_e32 v23, v48, v7
	v_and_b32_e32 v7, 0x7f800000, v23
	s_delay_alu instid0(VALU_DEP_1) | instskip(NEXT) | instid1(VALU_DEP_1)
	v_cmp_ne_u32_e64 s0, 0x7f800000, v7
                                        ; implicit-def: $vgpr7
	s_and_saveexec_b32 s1, s0
	s_delay_alu instid0(SALU_CYCLE_1)
	s_xor_b32 s0, exec_lo, s1
; %bb.948:                              ;   in Loop: Header=BB380_401 Depth=1
	v_bfe_u32 v7, v23, 16, 1
	s_delay_alu instid0(VALU_DEP_1)
	v_add3_u32 v7, v23, v7, 0x7fff
                                        ; implicit-def: $vgpr23
; %bb.949:                              ;   in Loop: Header=BB380_401 Depth=1
	s_and_not1_saveexec_b32 s1, s0
; %bb.950:                              ;   in Loop: Header=BB380_401 Depth=1
	v_and_b32_e32 v7, 0xffff, v23
	v_or_b32_e32 v33, 0x10000, v23
	s_delay_alu instid0(VALU_DEP_2) | instskip(NEXT) | instid1(VALU_DEP_1)
	v_cmp_eq_u32_e64 s0, 0, v7
	v_cndmask_b32_e64 v7, v33, v23, s0
; %bb.951:                              ;   in Loop: Header=BB380_401 Depth=1
	s_or_b32 exec_lo, exec_lo, s1
	v_lshlrev_b32_e32 v6, 16, v6
	s_delay_alu instid0(VALU_DEP_1) | instskip(NEXT) | instid1(VALU_DEP_1)
	v_mul_f32_e32 v23, v49, v6
	v_and_b32_e32 v6, 0x7f800000, v23
	s_delay_alu instid0(VALU_DEP_1) | instskip(NEXT) | instid1(VALU_DEP_1)
	v_cmp_ne_u32_e64 s0, 0x7f800000, v6
                                        ; implicit-def: $vgpr6
	s_and_saveexec_b32 s1, s0
	s_delay_alu instid0(SALU_CYCLE_1)
	s_xor_b32 s0, exec_lo, s1
; %bb.952:                              ;   in Loop: Header=BB380_401 Depth=1
	v_bfe_u32 v6, v23, 16, 1
	s_delay_alu instid0(VALU_DEP_1)
	v_add3_u32 v6, v23, v6, 0x7fff
                                        ; implicit-def: $vgpr23
; %bb.953:                              ;   in Loop: Header=BB380_401 Depth=1
	s_and_not1_saveexec_b32 s1, s0
	s_cbranch_execz .LBB380_398
; %bb.954:                              ;   in Loop: Header=BB380_401 Depth=1
	v_and_b32_e32 v6, 0xffff, v23
	v_or_b32_e32 v33, 0x10000, v23
	s_delay_alu instid0(VALU_DEP_2) | instskip(NEXT) | instid1(VALU_DEP_1)
	v_cmp_eq_u32_e64 s0, 0, v6
	v_cndmask_b32_e64 v6, v33, v23, s0
	s_branch .LBB380_398
.LBB380_955:
	s_or_b32 exec_lo, exec_lo, s4
	s_load_b32 s0, s[8:9], 0x0
	s_waitcnt lgkmcnt(0)
	v_mov_b32_e32 v8, s0
.LBB380_956:
	s_or_b32 exec_lo, exec_lo, s3
	v_and_b32_e32 v6, 0x3c0, v39
	s_delay_alu instid0(VALU_DEP_2)
	v_mad_u32_u24 v7, 0x1e0, v67, v8
	s_waitcnt_vscnt null, 0x0
	s_barrier
	buffer_gl0_inv
	v_cmp_eq_u32_e32 vcc_lo, 64, v6
	v_or_b32_e32 v6, 0x60, v39
	s_and_saveexec_b32 s0, vcc_lo
	s_cbranch_execz .LBB380_959
; %bb.957:
	v_add_nc_u32_e32 v8, 0xfffffc40, v7
	s_delay_alu instid0(VALU_DEP_2) | instskip(NEXT) | instid1(VALU_DEP_2)
	v_cmp_gt_u32_e32 vcc_lo, 0x78, v6
	v_lshl_add_u32 v9, v25, 2, v8
	ds_store_2addr_b32 v9, v0, v1 offset1:32
	ds_store_b32 v9, v2 offset:256
	s_and_b32 exec_lo, exec_lo, vcc_lo
	s_cbranch_execz .LBB380_959
; %bb.958:
	v_lshl_add_u32 v8, v6, 2, v8
	ds_store_b32 v8, v3
.LBB380_959:
	s_or_b32 exec_lo, exec_lo, s0
	v_lshl_add_u32 v8, v25, 2, v7
	s_mov_b32 s0, exec_lo
	s_waitcnt lgkmcnt(0)
	s_barrier
	buffer_gl0_inv
	v_cmpx_gt_u32_e32 64, v39
	s_cbranch_execz .LBB380_963
; %bb.960:
	v_lshl_or_b32 v9, v39, 2, 0x80
	s_mov_b32 s1, exec_lo
	s_delay_alu instid0(VALU_DEP_1)
	v_add_nc_u32_e32 v11, v7, v9
	ds_load_2addr_stride64_b32 v[9:10], v8 offset1:1
	ds_load_b32 v11, v11
	s_waitcnt lgkmcnt(1)
	v_add_f32_e32 v2, v2, v10
	s_waitcnt lgkmcnt(0)
	v_dual_add_f32 v0, v0, v9 :: v_dual_add_f32 v1, v1, v11
	v_cmpx_gt_u32_e32 0x78, v6
	s_cbranch_execz .LBB380_962
; %bb.961:
	v_lshl_add_u32 v9, v6, 2, v7
	ds_load_b32 v9, v9
	s_waitcnt lgkmcnt(0)
	v_add_f32_e32 v3, v3, v9
.LBB380_962:
	s_or_b32 exec_lo, exec_lo, s1
.LBB380_963:
	s_delay_alu instid0(SALU_CYCLE_1)
	s_or_b32 exec_lo, exec_lo, s0
	v_and_b32_e32 v9, 0x3e0, v39
	s_mov_b32 s0, exec_lo
	s_barrier
	buffer_gl0_inv
	v_cmpx_eq_u32_e32 32, v9
	s_cbranch_execz .LBB380_966
; %bb.964:
	v_add_nc_u32_e32 v9, 0xfffffe20, v7
	v_cmp_gt_u32_e32 vcc_lo, 0x78, v6
	s_delay_alu instid0(VALU_DEP_2)
	v_lshl_add_u32 v10, v25, 2, v9
	v_lshl_add_u32 v11, v39, 2, v9
	ds_store_b32 v10, v0
	ds_store_b32 v11, v1
	ds_store_b32 v10, v2 offset:256
	s_and_b32 exec_lo, exec_lo, vcc_lo
	s_cbranch_execz .LBB380_966
; %bb.965:
	v_lshl_add_u32 v9, v6, 2, v9
	ds_store_b32 v9, v3
.LBB380_966:
	s_or_b32 exec_lo, exec_lo, s0
	v_cmp_gt_u32_e32 vcc_lo, 32, v39
	s_waitcnt lgkmcnt(0)
	s_barrier
	buffer_gl0_inv
	s_and_saveexec_b32 s1, vcc_lo
	s_cbranch_execz .LBB380_970
; %bb.967:
	v_lshl_add_u32 v7, v39, 2, v7
	s_mov_b32 s3, exec_lo
	ds_load_b32 v10, v8
	ds_load_2addr_b32 v[8:9], v7 offset0:32 offset1:64
	s_waitcnt lgkmcnt(0)
	v_dual_add_f32 v0, v0, v10 :: v_dual_add_f32 v1, v1, v8
	v_add_f32_e32 v2, v2, v9
	v_cmpx_gt_u32_e32 0x78, v6
	s_cbranch_execz .LBB380_969
; %bb.968:
	ds_load_b32 v7, v7 offset:384
	s_waitcnt lgkmcnt(0)
	v_add_f32_e32 v3, v3, v7
.LBB380_969:
	s_or_b32 exec_lo, exec_lo, s3
.LBB380_970:
	s_delay_alu instid0(SALU_CYCLE_1)
	s_or_b32 exec_lo, exec_lo, s1
	s_barrier
	buffer_gl0_inv
	s_and_b32 exec_lo, exec_lo, vcc_lo
	s_cbranch_execz .LBB380_989
; %bb.971:
	v_and_b32_e32 v7, 0x7f800000, v0
	s_delay_alu instid0(VALU_DEP_1) | instskip(SKIP_1) | instid1(SALU_CYCLE_1)
	v_cmp_ne_u32_e32 vcc_lo, 0x7f800000, v7
                                        ; implicit-def: $vgpr7
	s_and_saveexec_b32 s0, vcc_lo
	s_xor_b32 s0, exec_lo, s0
; %bb.972:
	v_bfe_u32 v7, v0, 16, 1
	s_delay_alu instid0(VALU_DEP_1)
	v_add3_u32 v7, v0, v7, 0x7fff
; %bb.973:
	s_and_not1_saveexec_b32 s0, s0
; %bb.974:
	v_and_b32_e32 v7, 0xffff, v0
	v_or_b32_e32 v8, 0x10000, v0
	s_delay_alu instid0(VALU_DEP_2) | instskip(NEXT) | instid1(VALU_DEP_2)
	v_cmp_eq_u32_e32 vcc_lo, 0, v7
	v_cndmask_b32_e32 v7, v8, v0, vcc_lo
; %bb.975:
	s_or_b32 exec_lo, exec_lo, s0
	s_mul_i32 s0, s2, 0x78
	s_mul_i32 s2, s10, s11
	;; [unrolled: 1-line block ×3, first 2 shown]
	s_ashr_i32 s3, s2, 31
	s_ashr_i32 s5, s4, 31
	;; [unrolled: 1-line block ×3, first 2 shown]
	s_lshl_b64 s[2:3], s[2:3], 1
	s_lshl_b64 s[4:5], s[4:5], 1
	;; [unrolled: 1-line block ×3, first 2 shown]
	s_add_u32 s2, s4, s2
	s_addc_u32 s3, s5, s3
	s_add_u32 s0, s2, s0
	s_addc_u32 s1, s3, s1
	v_lshlrev_b32_e32 v0, 1, v39
	v_add_co_u32 v4, vcc_lo, s0, v4
	v_add_co_ci_u32_e32 v5, vcc_lo, s1, v5, vcc_lo
	v_and_b32_e32 v8, 0x7f800000, v1
	s_delay_alu instid0(VALU_DEP_3) | instskip(NEXT) | instid1(VALU_DEP_3)
	v_add_co_u32 v4, vcc_lo, v4, v0
	v_add_co_ci_u32_e32 v5, vcc_lo, 0, v5, vcc_lo
	s_mov_b32 s0, exec_lo
                                        ; implicit-def: $vgpr0
	flat_store_d16_hi_b16 v[4:5], v7
	v_cmpx_ne_u32_e32 0x7f800000, v8
	s_xor_b32 s0, exec_lo, s0
; %bb.976:
	v_bfe_u32 v0, v1, 16, 1
	s_delay_alu instid0(VALU_DEP_1)
	v_add3_u32 v0, v1, v0, 0x7fff
; %bb.977:
	s_and_not1_saveexec_b32 s0, s0
; %bb.978:
	v_and_b32_e32 v0, 0xffff, v1
	v_or_b32_e32 v7, 0x10000, v1
	s_delay_alu instid0(VALU_DEP_2) | instskip(NEXT) | instid1(VALU_DEP_2)
	v_cmp_eq_u32_e32 vcc_lo, 0, v0
	v_cndmask_b32_e32 v0, v7, v1, vcc_lo
; %bb.979:
	s_or_b32 exec_lo, exec_lo, s0
	v_and_b32_e32 v1, 0x7f800000, v2
	s_mov_b32 s0, exec_lo
	flat_store_d16_hi_b16 v[4:5], v0 offset:64
                                        ; implicit-def: $vgpr0
	v_cmpx_ne_u32_e32 0x7f800000, v1
	s_xor_b32 s0, exec_lo, s0
; %bb.980:
	v_bfe_u32 v0, v2, 16, 1
	s_delay_alu instid0(VALU_DEP_1)
	v_add3_u32 v0, v2, v0, 0x7fff
; %bb.981:
	s_and_not1_saveexec_b32 s0, s0
; %bb.982:
	v_and_b32_e32 v0, 0xffff, v2
	v_or_b32_e32 v1, 0x10000, v2
	s_delay_alu instid0(VALU_DEP_2) | instskip(NEXT) | instid1(VALU_DEP_2)
	v_cmp_eq_u32_e32 vcc_lo, 0, v0
	v_cndmask_b32_e32 v0, v1, v2, vcc_lo
; %bb.983:
	s_or_b32 exec_lo, exec_lo, s0
	v_cmp_gt_u32_e32 vcc_lo, 0x78, v6
	flat_store_d16_hi_b16 v[4:5], v0 offset:128
	s_and_b32 exec_lo, exec_lo, vcc_lo
	s_cbranch_execz .LBB380_989
; %bb.984:
	v_and_b32_e32 v0, 0x7f800000, v3
	s_mov_b32 s0, exec_lo
                                        ; implicit-def: $vgpr6
	s_delay_alu instid0(VALU_DEP_1)
	v_cmpx_ne_u32_e32 0x7f800000, v0
	s_xor_b32 s0, exec_lo, s0
; %bb.985:
	v_bfe_u32 v0, v3, 16, 1
	s_delay_alu instid0(VALU_DEP_1)
	v_add3_u32 v6, v3, v0, 0x7fff
                                        ; implicit-def: $vgpr0_vgpr1_vgpr2_vgpr3
; %bb.986:
	s_and_not1_saveexec_b32 s0, s0
; %bb.987:
	v_and_b32_e32 v0, 0xffff, v3
	v_or_b32_e32 v1, 0x10000, v3
	s_delay_alu instid0(VALU_DEP_2) | instskip(NEXT) | instid1(VALU_DEP_2)
	v_cmp_eq_u32_e32 vcc_lo, 0, v0
	v_cndmask_b32_e32 v6, v1, v3, vcc_lo
; %bb.988:
	s_or_b32 exec_lo, exec_lo, s0
	flat_store_d16_hi_b16 v[4:5], v6 offset:192
.LBB380_989:
	s_or_b32 exec_lo, exec_lo, s17
	s_waitcnt vmcnt(0) lgkmcnt(0)
	s_setpc_b64 s[30:31]
.Lfunc_end380:
	.size	_ZN4vllm22paged_attention_kernelI14__hip_bfloat16hLi120ELi8ELi128ELNS_18Fp8KVCacheDataTypeE1ELb1ELi512EEEvPfS3_PT_PKS4_PKT0_SA_ifPKiSC_iPKfiiiSE_SE_iiiii, .Lfunc_end380-_ZN4vllm22paged_attention_kernelI14__hip_bfloat16hLi120ELi8ELi128ELNS_18Fp8KVCacheDataTypeE1ELb1ELi512EEEvPfS3_PT_PKS4_PKT0_SA_ifPKiSC_iPKfiiiSE_SE_iiiii
                                        ; -- End function
	.section	.AMDGPU.csdata,"",@progbits
; Function info:
; codeLenInByte = 32268
; NumSgprs: 35
; NumVgprs: 167
; ScratchSize: 12
; MemoryBound: 0
	.section	.text._ZN4vllm25paged_attention_v2_kernelI14__hip_bfloat16hLi120ELi8ELi128ELNS_18Fp8KVCacheDataTypeE1ELb1ELi512EEEvPfS3_PT_PKS4_PKT0_SA_ifPKiSC_iPKfiiiSE_SE_iiiii,"axG",@progbits,_ZN4vllm25paged_attention_v2_kernelI14__hip_bfloat16hLi120ELi8ELi128ELNS_18Fp8KVCacheDataTypeE1ELb1ELi512EEEvPfS3_PT_PKS4_PKT0_SA_ifPKiSC_iPKfiiiSE_SE_iiiii,comdat
	.protected	_ZN4vllm25paged_attention_v2_kernelI14__hip_bfloat16hLi120ELi8ELi128ELNS_18Fp8KVCacheDataTypeE1ELb1ELi512EEEvPfS3_PT_PKS4_PKT0_SA_ifPKiSC_iPKfiiiSE_SE_iiiii ; -- Begin function _ZN4vllm25paged_attention_v2_kernelI14__hip_bfloat16hLi120ELi8ELi128ELNS_18Fp8KVCacheDataTypeE1ELb1ELi512EEEvPfS3_PT_PKS4_PKT0_SA_ifPKiSC_iPKfiiiSE_SE_iiiii
	.globl	_ZN4vllm25paged_attention_v2_kernelI14__hip_bfloat16hLi120ELi8ELi128ELNS_18Fp8KVCacheDataTypeE1ELb1ELi512EEEvPfS3_PT_PKS4_PKT0_SA_ifPKiSC_iPKfiiiSE_SE_iiiii
	.p2align	8
	.type	_ZN4vllm25paged_attention_v2_kernelI14__hip_bfloat16hLi120ELi8ELi128ELNS_18Fp8KVCacheDataTypeE1ELb1ELi512EEEvPfS3_PT_PKS4_PKT0_SA_ifPKiSC_iPKfiiiSE_SE_iiiii,@function
_ZN4vllm25paged_attention_v2_kernelI14__hip_bfloat16hLi120ELi8ELi128ELNS_18Fp8KVCacheDataTypeE1ELb1ELi512EEEvPfS3_PT_PKS4_PKT0_SA_ifPKiSC_iPKfiiiSE_SE_iiiii: ; @_ZN4vllm25paged_attention_v2_kernelI14__hip_bfloat16hLi120ELi8ELi128ELNS_18Fp8KVCacheDataTypeE1ELb1ELi512EEEvPfS3_PT_PKS4_PKT0_SA_ifPKiSC_iPKfiiiSE_SE_iiiii
; %bb.0:
	s_mov_b32 s12, s13
	s_clause 0x7
	s_load_b128 s[4:7], s[0:1], 0x78
	s_load_b32 s8, s[0:1], 0x88
	s_load_b256 s[24:31], s[0:1], 0x0
	s_load_b256 s[36:43], s[0:1], 0x20
	s_load_b64 s[2:3], s[0:1], 0x40
	s_load_b64 s[10:11], s[0:1], 0x50
	s_load_b32 s13, s[0:1], 0x48
	s_load_b256 s[16:23], s[0:1], 0x58
	s_mov_b32 s32, 0
	v_mov_b32_e32 v31, v0
	s_waitcnt lgkmcnt(0)
	v_dual_mov_b32 v1, s7 :: v_dual_mov_b32 v2, s8
	v_dual_mov_b32 v0, s24 :: v_dual_mov_b32 v3, s27
	;; [unrolled: 1-line block ×3, first 2 shown]
	v_mov_b32_e32 v6, s30
	scratch_store_b64 off, v[1:2], s32
	v_dual_mov_b32 v1, s25 :: v_dual_mov_b32 v2, s26
	v_dual_mov_b32 v7, s31 :: v_dual_mov_b32 v8, s36
	;; [unrolled: 1-line block ×13, first 2 shown]
	s_add_u32 s8, s0, 0x90
	s_addc_u32 s9, s1, 0
	s_mov_b32 s13, s14
	s_mov_b32 s14, s15
	s_mov_b32 s15, 20
	s_getpc_b64 s[0:1]
	s_add_u32 s0, s0, _ZN4vllm22paged_attention_kernelI14__hip_bfloat16hLi120ELi8ELi128ELNS_18Fp8KVCacheDataTypeE1ELb1ELi512EEEvPfS3_PT_PKS4_PKT0_SA_ifPKiSC_iPKfiiiSE_SE_iiiii@rel32@lo+4
	s_addc_u32 s1, s1, _ZN4vllm22paged_attention_kernelI14__hip_bfloat16hLi120ELi8ELi128ELNS_18Fp8KVCacheDataTypeE1ELb1ELi512EEEvPfS3_PT_PKS4_PKT0_SA_ifPKiSC_iPKfiiiSE_SE_iiiii@rel32@hi+12
	s_delay_alu instid0(SALU_CYCLE_1)
	s_swappc_b64 s[30:31], s[0:1]
	s_endpgm
	.section	.rodata,"a",@progbits
	.p2align	6, 0x0
	.amdhsa_kernel _ZN4vllm25paged_attention_v2_kernelI14__hip_bfloat16hLi120ELi8ELi128ELNS_18Fp8KVCacheDataTypeE1ELb1ELi512EEEvPfS3_PT_PKS4_PKT0_SA_ifPKiSC_iPKfiiiSE_SE_iiiii
		.amdhsa_group_segment_fixed_size 272
		.amdhsa_private_segment_fixed_size 12
		.amdhsa_kernarg_size 400
		.amdhsa_user_sgpr_count 13
		.amdhsa_user_sgpr_dispatch_ptr 0
		.amdhsa_user_sgpr_queue_ptr 0
		.amdhsa_user_sgpr_kernarg_segment_ptr 1
		.amdhsa_user_sgpr_dispatch_id 0
		.amdhsa_user_sgpr_private_segment_size 0
		.amdhsa_wavefront_size32 1
		.amdhsa_uses_dynamic_stack 0
		.amdhsa_enable_private_segment 1
		.amdhsa_system_sgpr_workgroup_id_x 1
		.amdhsa_system_sgpr_workgroup_id_y 1
		.amdhsa_system_sgpr_workgroup_id_z 1
		.amdhsa_system_sgpr_workgroup_info 0
		.amdhsa_system_vgpr_workitem_id 0
		.amdhsa_next_free_vgpr 167
		.amdhsa_next_free_sgpr 44
		.amdhsa_reserve_vcc 1
		.amdhsa_float_round_mode_32 0
		.amdhsa_float_round_mode_16_64 0
		.amdhsa_float_denorm_mode_32 3
		.amdhsa_float_denorm_mode_16_64 3
		.amdhsa_dx10_clamp 1
		.amdhsa_ieee_mode 1
		.amdhsa_fp16_overflow 0
		.amdhsa_workgroup_processor_mode 1
		.amdhsa_memory_ordered 1
		.amdhsa_forward_progress 0
		.amdhsa_shared_vgpr_count 0
		.amdhsa_exception_fp_ieee_invalid_op 0
		.amdhsa_exception_fp_denorm_src 0
		.amdhsa_exception_fp_ieee_div_zero 0
		.amdhsa_exception_fp_ieee_overflow 0
		.amdhsa_exception_fp_ieee_underflow 0
		.amdhsa_exception_fp_ieee_inexact 0
		.amdhsa_exception_int_div_zero 0
	.end_amdhsa_kernel
	.section	.text._ZN4vllm25paged_attention_v2_kernelI14__hip_bfloat16hLi120ELi8ELi128ELNS_18Fp8KVCacheDataTypeE1ELb1ELi512EEEvPfS3_PT_PKS4_PKT0_SA_ifPKiSC_iPKfiiiSE_SE_iiiii,"axG",@progbits,_ZN4vllm25paged_attention_v2_kernelI14__hip_bfloat16hLi120ELi8ELi128ELNS_18Fp8KVCacheDataTypeE1ELb1ELi512EEEvPfS3_PT_PKS4_PKT0_SA_ifPKiSC_iPKfiiiSE_SE_iiiii,comdat
.Lfunc_end381:
	.size	_ZN4vllm25paged_attention_v2_kernelI14__hip_bfloat16hLi120ELi8ELi128ELNS_18Fp8KVCacheDataTypeE1ELb1ELi512EEEvPfS3_PT_PKS4_PKT0_SA_ifPKiSC_iPKfiiiSE_SE_iiiii, .Lfunc_end381-_ZN4vllm25paged_attention_v2_kernelI14__hip_bfloat16hLi120ELi8ELi128ELNS_18Fp8KVCacheDataTypeE1ELb1ELi512EEEvPfS3_PT_PKS4_PKT0_SA_ifPKiSC_iPKfiiiSE_SE_iiiii
                                        ; -- End function
	.section	.AMDGPU.csdata,"",@progbits
; Kernel info:
; codeLenInByte = 280
; NumSgprs: 46
; NumVgprs: 167
; ScratchSize: 12
; MemoryBound: 0
; FloatMode: 240
; IeeeMode: 1
; LDSByteSize: 272 bytes/workgroup (compile time only)
; SGPRBlocks: 5
; VGPRBlocks: 20
; NumSGPRsForWavesPerEU: 46
; NumVGPRsForWavesPerEU: 167
; Occupancy: 9
; WaveLimiterHint : 1
; COMPUTE_PGM_RSRC2:SCRATCH_EN: 1
; COMPUTE_PGM_RSRC2:USER_SGPR: 13
; COMPUTE_PGM_RSRC2:TRAP_HANDLER: 0
; COMPUTE_PGM_RSRC2:TGID_X_EN: 1
; COMPUTE_PGM_RSRC2:TGID_Y_EN: 1
; COMPUTE_PGM_RSRC2:TGID_Z_EN: 1
; COMPUTE_PGM_RSRC2:TIDIG_COMP_CNT: 0
	.text
	.p2align	2                               ; -- Begin function _ZN4vllm22paged_attention_kernelI14__hip_bfloat16hLi128ELi8ELi128ELNS_18Fp8KVCacheDataTypeE1ELb1ELi512EEEvPfS3_PT_PKS4_PKT0_SA_ifPKiSC_iPKfiiiSE_SE_iiiii
	.type	_ZN4vllm22paged_attention_kernelI14__hip_bfloat16hLi128ELi8ELi128ELNS_18Fp8KVCacheDataTypeE1ELb1ELi512EEEvPfS3_PT_PKS4_PKT0_SA_ifPKiSC_iPKfiiiSE_SE_iiiii,@function
_ZN4vllm22paged_attention_kernelI14__hip_bfloat16hLi128ELi8ELi128ELNS_18Fp8KVCacheDataTypeE1ELb1ELi512EEEvPfS3_PT_PKS4_PKT0_SA_ifPKiSC_iPKfiiiSE_SE_iiiii: ; @_ZN4vllm22paged_attention_kernelI14__hip_bfloat16hLi128ELi8ELi128ELNS_18Fp8KVCacheDataTypeE1ELb1ELi512EEEvPfS3_PT_PKS4_PKT0_SA_ifPKiSC_iPKfiiiSE_SE_iiiii
; %bb.0:
	s_waitcnt vmcnt(0) expcnt(0) lgkmcnt(0)
	s_mov_b32 s16, s13
	s_ashr_i32 s17, s13, 31
	s_mov_b32 s10, s15
	s_lshl_b64 s[0:1], s[16:17], 2
	s_lshl_b32 s15, s14, 9
	v_add_co_u32 v16, vcc_lo, v16, s0
	v_add_co_ci_u32_e32 v17, vcc_lo, s1, v17, vcc_lo
	s_mov_b32 s17, exec_lo
	flat_load_b32 v67, v[16:17]
	s_clause 0x1
	scratch_load_b32 v32, off, s32 offset:4
	scratch_load_b32 v33, off, s32
	s_waitcnt vmcnt(2) lgkmcnt(0)
	v_cmpx_lt_i32_e64 s15, v67
	s_cbranch_execz .LBB382_1004
; %bb.1:
	v_sub_nc_u32_e32 v16, 0, v12
	s_clause 0x1
	s_load_b32 s0, s[8:9], 0x10
	s_load_b32 s1, s[8:9], 0x0
	v_mov_b32_e32 v84, 0
	v_max_i32_e32 v16, v12, v16
	s_delay_alu instid0(VALU_DEP_1) | instskip(SKIP_1) | instid1(VALU_DEP_2)
	v_cvt_f32_u32_e32 v17, v16
	v_sub_nc_u32_e32 v34, 0, v16
	v_rcp_iflag_f32_e32 v17, v17
	s_waitcnt lgkmcnt(0)
	s_lshr_b32 s0, s0, 16
	s_delay_alu instid0(SALU_CYCLE_1) | instskip(SKIP_3) | instid1(SALU_CYCLE_1)
	s_cmp_lg_u32 s0, 0
	s_waitcnt_depctr 0xfff
	v_mul_f32_e32 v17, 0x4f7ffffe, v17
	s_cselect_b32 s0, -1, 0
	s_cmp_lg_u32 s0, 0
	s_delay_alu instid0(VALU_DEP_1) | instskip(SKIP_3) | instid1(VALU_DEP_1)
	v_cvt_u32_f32_e32 v17, v17
	s_addc_u32 s5, s1, 0
	s_abs_i32 s1, s12
	s_abs_i32 s0, s5
	v_mul_lo_u32 v34, v34, v17
	s_delay_alu instid0(VALU_DEP_1) | instskip(NEXT) | instid1(VALU_DEP_1)
	v_mul_hi_u32 v34, v17, v34
	v_add_nc_u32_e32 v17, v17, v34
	s_delay_alu instid0(VALU_DEP_1) | instskip(NEXT) | instid1(VALU_DEP_1)
	v_mul_hi_u32 v17, s0, v17
	v_mul_lo_u32 v34, v17, v16
	v_add_nc_u32_e32 v35, 1, v17
	s_delay_alu instid0(VALU_DEP_2) | instskip(SKIP_1) | instid1(VALU_DEP_1)
	v_sub_nc_u32_e32 v34, s0, v34
	s_mov_b32 s0, exec_lo
	v_sub_nc_u32_e32 v36, v34, v16
	v_cmp_ge_u32_e32 vcc_lo, v34, v16
	s_delay_alu instid0(VALU_DEP_2) | instskip(SKIP_1) | instid1(VALU_DEP_2)
	v_dual_cndmask_b32 v17, v17, v35 :: v_dual_cndmask_b32 v34, v34, v36
	v_xor_b32_e32 v35, s5, v12
	v_add_nc_u32_e32 v36, 1, v17
	s_delay_alu instid0(VALU_DEP_3) | instskip(NEXT) | instid1(VALU_DEP_3)
	v_cmp_ge_u32_e32 vcc_lo, v34, v16
	v_ashrrev_i32_e32 v35, 31, v35
	s_delay_alu instid0(VALU_DEP_3) | instskip(NEXT) | instid1(VALU_DEP_1)
	v_cndmask_b32_e32 v16, v17, v36, vcc_lo
	v_xor_b32_e32 v16, v16, v35
	s_delay_alu instid0(VALU_DEP_1) | instskip(NEXT) | instid1(VALU_DEP_1)
	v_sub_nc_u32_e32 v35, v16, v35
	v_sub_nc_u32_e32 v16, 0, v35
	s_delay_alu instid0(VALU_DEP_1) | instskip(NEXT) | instid1(VALU_DEP_1)
	v_max_i32_e32 v34, v35, v16
	v_cvt_f32_u32_e32 v16, v34
	v_sub_nc_u32_e32 v17, 0, v34
	s_delay_alu instid0(VALU_DEP_2) | instskip(SKIP_2) | instid1(VALU_DEP_1)
	v_rcp_iflag_f32_e32 v16, v16
	s_waitcnt_depctr 0xfff
	v_mul_f32_e32 v16, 0x4f7ffffe, v16
	v_cvt_u32_f32_e32 v16, v16
	s_delay_alu instid0(VALU_DEP_1) | instskip(NEXT) | instid1(VALU_DEP_1)
	v_mul_lo_u32 v17, v17, v16
	v_mul_hi_u32 v17, v16, v17
	s_delay_alu instid0(VALU_DEP_1) | instskip(NEXT) | instid1(VALU_DEP_1)
	v_add_nc_u32_e32 v36, v16, v17
	v_mad_u64_u32 v[16:17], null, s1, v36, 0
	v_cmpx_ne_u64_e32 0, v[19:20]
	s_cbranch_execz .LBB382_3
; %bb.2:
	s_ashr_i32 s13, s12, 31
	s_delay_alu instid0(SALU_CYCLE_1) | instskip(NEXT) | instid1(SALU_CYCLE_1)
	s_lshl_b64 s[2:3], s[12:13], 2
	v_add_co_u32 v19, vcc_lo, v19, s2
	v_add_co_ci_u32_e32 v20, vcc_lo, s3, v20, vcc_lo
	flat_load_b32 v84, v[19:20]
.LBB382_3:
	s_or_b32 exec_lo, exec_lo, s0
	v_and_b32_e32 v39, 0x3ff, v31
	v_ashrrev_i32_e32 v19, 31, v35
	s_ashr_i32 s2, s12, 31
	s_lshl_b32 s6, s12, 7
	s_delay_alu instid0(VALU_DEP_2) | instskip(SKIP_2) | instid1(VALU_DEP_2)
	v_and_b32_e32 v16, 3, v39
	v_cmp_gt_u32_e64 s0, 64, v39
	v_lshlrev_b32_e32 v66, 2, v39
	s_and_saveexec_b32 s3, s0
	s_cbranch_execz .LBB382_5
; %bb.4:
	v_mul_lo_u32 v20, s16, v21
	s_ashr_i32 s7, s6, 31
	s_delay_alu instid0(SALU_CYCLE_1) | instskip(NEXT) | instid1(VALU_DEP_1)
	s_lshl_b64 s[18:19], s[6:7], 1
	v_ashrrev_i32_e32 v21, 31, v20
	s_delay_alu instid0(VALU_DEP_1) | instskip(NEXT) | instid1(VALU_DEP_1)
	v_lshlrev_b64 v[20:21], 1, v[20:21]
	v_add_co_u32 v6, vcc_lo, v6, v20
	s_delay_alu instid0(VALU_DEP_2) | instskip(NEXT) | instid1(VALU_DEP_2)
	v_add_co_ci_u32_e32 v7, vcc_lo, v7, v21, vcc_lo
	v_add_co_u32 v6, vcc_lo, v6, s18
	s_delay_alu instid0(VALU_DEP_2) | instskip(NEXT) | instid1(VALU_DEP_2)
	v_add_co_ci_u32_e32 v7, vcc_lo, s19, v7, vcc_lo
	v_add_co_u32 v6, vcc_lo, v6, v66
	s_delay_alu instid0(VALU_DEP_2) | instskip(SKIP_2) | instid1(VALU_DEP_1)
	v_add_co_ci_u32_e32 v7, vcc_lo, 0, v7, vcc_lo
	flat_load_b32 v6, v[6:7]
	v_and_b32_e32 v7, 0x3fc, v39
	v_lshl_add_u32 v7, v16, 6, v7
	s_waitcnt vmcnt(0) lgkmcnt(0)
	ds_store_b32 v7, v6
.LBB382_5:
	s_or_b32 exec_lo, exec_lo, s3
	s_waitcnt vmcnt(0)
	v_sub_nc_u32_e32 v6, 0, v33
	v_mul_lo_u32 v7, v17, v34
	v_xor_b32_e32 v19, s2, v19
	s_waitcnt lgkmcnt(0)
	s_waitcnt_vscnt null, 0x0
	s_barrier
	v_max_i32_e32 v68, v33, v6
	buffer_gl0_inv
	v_add_nc_u32_e32 v21, 1, v17
	v_sub_nc_u32_e32 v7, s1, v7
	v_cvt_f32_u32_e32 v6, v68
	v_sub_nc_u32_e32 v20, 0, v68
	s_mov_b32 s1, exec_lo
	s_delay_alu instid0(VALU_DEP_3) | instskip(NEXT) | instid1(VALU_DEP_3)
	v_sub_nc_u32_e32 v31, v7, v34
	v_rcp_iflag_f32_e32 v6, v6
	v_cmp_ge_u32_e32 vcc_lo, v7, v34
	s_delay_alu instid0(VALU_DEP_2)
	v_cndmask_b32_e32 v7, v7, v31, vcc_lo
	v_cndmask_b32_e32 v17, v17, v21, vcc_lo
	s_waitcnt_depctr 0xfff
	v_dual_mul_f32 v6, 0x4f7ffffe, v6 :: v_dual_add_nc_u32 v21, -1, v67
	v_cmp_ge_u32_e32 vcc_lo, v7, v34
	v_add_nc_u32_e32 v31, 1, v17
	s_delay_alu instid0(VALU_DEP_3) | instskip(NEXT) | instid1(VALU_DEP_4)
	v_sub_nc_u32_e32 v35, 0, v21
	v_cvt_u32_f32_e32 v6, v6
	s_delay_alu instid0(VALU_DEP_3) | instskip(NEXT) | instid1(VALU_DEP_3)
	v_cndmask_b32_e32 v7, v17, v31, vcc_lo
	v_max_i32_e32 v17, v21, v35
	s_delay_alu instid0(VALU_DEP_3) | instskip(NEXT) | instid1(VALU_DEP_1)
	v_mul_lo_u32 v20, v20, v6
	v_mul_hi_u32 v20, v6, v20
	s_delay_alu instid0(VALU_DEP_1) | instskip(SKIP_1) | instid1(VALU_DEP_2)
	v_add_nc_u32_e32 v69, v6, v20
	v_xor_b32_e32 v20, v7, v19
	v_mad_u64_u32 v[6:7], null, v17, v69, 0
	s_delay_alu instid0(VALU_DEP_2)
	v_sub_nc_u32_e32 v6, v20, v19
                                        ; implicit-def: $vgpr20
	v_cmpx_gt_i32_e32 0, v32
	s_xor_b32 s1, exec_lo, s1
; %bb.6:
	s_delay_alu instid0(VALU_DEP_2) | instskip(NEXT) | instid1(VALU_DEP_1)
	v_mad_u64_u32 v[19:20], null, v28, v12, v[6:7]
                                        ; implicit-def: $vgpr28
	v_mul_lo_u32 v12, v19, v32
                                        ; implicit-def: $vgpr32
	s_delay_alu instid0(VALU_DEP_1)
	v_sub_nc_u32_e32 v20, 1, v12
; %bb.7:
	s_or_saveexec_b32 s1, s1
	v_ashrrev_i32_e32 v12, 31, v21
	v_ashrrev_i32_e32 v70, 31, v33
	s_xor_b32 exec_lo, exec_lo, s1
; %bb.8:
	v_mad_u64_u32 v[19:20], null, s5, v28, s[12:13]
	s_delay_alu instid0(VALU_DEP_1)
	v_mad_u64_u32 v[20:21], null, v19, v32, 1
; %bb.9:
	s_or_b32 exec_lo, exec_lo, s1
	v_mul_lo_u32 v19, v7, v68
	v_dual_mov_b32 v86, 0xff7fffff :: v_dual_add_nc_u32 v21, 1, v7
	v_xor_b32_e32 v32, v12, v70
	s_clause 0x1
	s_load_b32 s18, s[8:9], 0x14
	s_load_b32 s7, s[8:9], 0x8
	v_mul_lo_u32 v81, v6, v23
	s_lshl_b32 s13, s14, 6
	v_sub_nc_u32_e32 v82, 0, v30
	v_sub_nc_u32_e32 v19, v17, v19
	v_mul_lo_u32 v17, s16, v18
	s_add_i32 s1, s13, 64
	v_mbcnt_lo_u32_b32 v85, -1, 0
	v_ashrrev_i32_e32 v83, 31, v81
	v_cmp_ge_u32_e32 vcc_lo, v19, v68
	v_add_nc_u32_e32 v28, 7, v67
	v_sub_nc_u32_e32 v31, v19, v68
	v_cndmask_b32_e32 v7, v7, v21, vcc_lo
	s_delay_alu instid0(VALU_DEP_3) | instskip(SKIP_1) | instid1(VALU_DEP_2)
	v_ashrrev_i32_e32 v18, 31, v28
	v_lshrrev_b32_e32 v21, 5, v39
	v_lshrrev_b32_e32 v12, 29, v18
	v_cndmask_b32_e32 v18, v19, v31, vcc_lo
	v_add_nc_u32_e32 v19, 1, v7
	s_delay_alu instid0(VALU_DEP_4) | instskip(SKIP_1) | instid1(VALU_DEP_4)
	v_or_b32_e32 v48, s13, v21
	v_lshl_add_u32 v23, v21, 3, s15
	v_cmp_ge_u32_e32 vcc_lo, v18, v68
	v_add_nc_u32_e32 v12, v28, v12
	v_ashrrev_i32_e32 v18, 31, v17
	v_ashrrev_i32_e32 v49, 31, v48
	v_cndmask_b32_e32 v7, v7, v19, vcc_lo
	s_delay_alu instid0(VALU_DEP_4) | instskip(NEXT) | instid1(VALU_DEP_4)
	v_ashrrev_i32_e32 v12, 3, v12
	v_lshlrev_b64 v[50:51], 2, v[17:18]
	s_delay_alu instid0(VALU_DEP_3) | instskip(NEXT) | instid1(VALU_DEP_3)
	v_xor_b32_e32 v6, v7, v32
	v_min_i32_e32 v71, s1, v12
	s_delay_alu instid0(VALU_DEP_2) | instskip(NEXT) | instid1(VALU_DEP_2)
	v_sub_nc_u32_e32 v6, v6, v32
	v_cmp_lt_i32_e64 s1, v48, v71
	s_delay_alu instid0(VALU_DEP_2) | instskip(NEXT) | instid1(VALU_DEP_2)
	v_sub_nc_u32_e32 v80, v6, v29
	s_and_saveexec_b32 s19, s1
	s_cbranch_execz .LBB382_403
; %bb.10:
	v_max_i32_e32 v87, v30, v82
	v_cmp_eq_u32_e32 vcc_lo, 0, v16
	v_dual_mov_b32 v29, 0 :: v_dual_lshlrev_b32 v98, 6, v16
	s_ashr_i32 s11, s10, 31
	s_delay_alu instid0(VALU_DEP_3)
	v_cvt_f32_u32_e32 v6, v87
	s_getpc_b64 s[8:9]
	s_add_u32 s8, s8, llvm.amdgcn.dynlds.offset.table@rel32@lo+4
	s_addc_u32 s9, s9, llvm.amdgcn.dynlds.offset.table@rel32@hi+12
	s_lshl_b64 s[20:21], s[10:11], 2
	v_bfe_u32 v96, v39, 2, 3
	s_add_u32 s8, s20, s8
	v_rcp_iflag_f32_e32 v17, v6
	v_lshlrev_b32_e32 v97, 1, v16
	s_addc_u32 s9, s21, s9
	v_lshlrev_b64 v[6:7], 2, v[48:49]
	s_load_b32 s11, s[8:9], 0x0
	v_add_co_u32 v8, s2, v8, v81
	v_lshlrev_b32_e32 v18, 4, v96
	v_add_co_ci_u32_e64 v9, s2, v9, v83, s2
	s_waitcnt_depctr 0xfff
	v_mul_f32_e32 v16, 0x4f7ffffe, v17
	v_sub_nc_u32_e32 v17, 0, v87
	v_add_co_u32 v6, s3, v50, v6
	s_delay_alu instid0(VALU_DEP_1) | instskip(NEXT) | instid1(VALU_DEP_4)
	v_add_co_ci_u32_e64 v7, s3, v51, v7, s3
	v_cvt_u32_f32_e32 v16, v16
	v_dual_mov_b32 v100, 0xff7fffff :: v_dual_lshlrev_b32 v19, 2, v96
	v_sub_nc_u32_e32 v28, v96, v67
	v_add_co_u32 v52, s3, v8, v18
	s_delay_alu instid0(VALU_DEP_4)
	v_mul_lo_u32 v17, v17, v16
	v_add_co_ci_u32_e64 v53, s3, 0, v9, s3
	v_add_co_u32 v54, s3, v14, v6
	v_cmp_neq_f32_e64 s2, 0, v84
	v_lshl_add_u32 v99, v21, 3, s15
	v_lshl_or_b32 v101, v21, 5, v19
	v_mul_hi_u32 v17, v16, v17
	v_mov_b32_e32 v86, 0xff7fffff
	v_add_nc_u32_e32 v102, 1, v28
	v_add_co_ci_u32_e64 v55, s3, v15, v7, s3
	v_mov_b32_e32 v112, v48
	s_mov_b32 s20, 0
	v_add_nc_u32_e32 v103, v16, v17
	s_branch .LBB382_13
.LBB382_11:                             ;   in Loop: Header=BB382_13 Depth=1
	s_or_b32 exec_lo, exec_lo, s21
.LBB382_12:                             ;   in Loop: Header=BB382_13 Depth=1
	s_delay_alu instid0(SALU_CYCLE_1) | instskip(SKIP_2) | instid1(VALU_DEP_1)
	s_or_b32 exec_lo, exec_lo, s4
	v_add_nc_u32_e32 v112, 4, v112
	v_add_co_u32 v54, s4, v54, 16
	v_add_co_ci_u32_e64 v55, s4, 0, v55, s4
	s_delay_alu instid0(VALU_DEP_3) | instskip(SKIP_2) | instid1(VALU_DEP_3)
	v_cmp_ge_i32_e64 s3, v112, v71
	v_add_nc_u32_e32 v99, 32, v99
	v_add_nc_u32_e32 v101, 0x80, v101
	s_or_b32 s20, s3, s20
	s_delay_alu instid0(SALU_CYCLE_1)
	s_and_not1_b32 exec_lo, exec_lo, s20
	s_cbranch_execz .LBB382_402
.LBB382_13:                             ; =>This Inner Loop Header: Depth=1
	v_sub_nc_u32_e32 v6, 0, v99
	s_delay_alu instid0(VALU_DEP_1) | instskip(SKIP_1) | instid1(VALU_DEP_1)
	v_max_i32_e32 v6, v99, v6
	s_waitcnt lgkmcnt(0)
	v_mul_hi_u32 v7, v6, v69
	s_delay_alu instid0(VALU_DEP_1) | instskip(NEXT) | instid1(VALU_DEP_1)
	v_mul_lo_u32 v8, v7, v68
	v_sub_nc_u32_e32 v6, v6, v8
	v_add_nc_u32_e32 v8, 1, v7
	s_delay_alu instid0(VALU_DEP_2) | instskip(SKIP_1) | instid1(VALU_DEP_1)
	v_sub_nc_u32_e32 v9, v6, v68
	v_cmp_ge_u32_e64 s3, v6, v68
	v_cndmask_b32_e64 v7, v7, v8, s3
	s_delay_alu instid0(VALU_DEP_3) | instskip(SKIP_1) | instid1(VALU_DEP_3)
	v_cndmask_b32_e64 v6, v6, v9, s3
	v_ashrrev_i32_e32 v8, 31, v99
	v_add_nc_u32_e32 v9, 1, v7
	s_delay_alu instid0(VALU_DEP_3) | instskip(NEXT) | instid1(VALU_DEP_3)
	v_cmp_ge_u32_e64 s3, v6, v68
	v_xor_b32_e32 v8, v8, v70
	s_delay_alu instid0(VALU_DEP_2) | instskip(NEXT) | instid1(VALU_DEP_1)
	v_cndmask_b32_e64 v6, v7, v9, s3
	v_xor_b32_e32 v6, v6, v8
	s_delay_alu instid0(VALU_DEP_1) | instskip(NEXT) | instid1(VALU_DEP_1)
	v_sub_nc_u32_e32 v6, v6, v8
	v_add_nc_u32_e32 v7, v6, v20
	v_cmp_le_i32_e64 s4, v6, v80
	s_delay_alu instid0(VALU_DEP_2) | instskip(NEXT) | instid1(VALU_DEP_1)
	v_sub_nc_u32_e32 v8, 0, v7
	v_max_i32_e32 v8, v7, v8
	v_ashrrev_i32_e32 v7, 31, v7
	s_delay_alu instid0(VALU_DEP_2) | instskip(NEXT) | instid1(VALU_DEP_1)
	v_mul_hi_u32 v9, v8, v103
	v_mul_lo_u32 v9, v9, v87
	s_delay_alu instid0(VALU_DEP_1) | instskip(NEXT) | instid1(VALU_DEP_1)
	v_sub_nc_u32_e32 v8, v8, v9
	v_sub_nc_u32_e32 v9, v8, v87
	v_cmp_ge_u32_e64 s3, v8, v87
	s_delay_alu instid0(VALU_DEP_1) | instskip(NEXT) | instid1(VALU_DEP_1)
	v_cndmask_b32_e64 v8, v8, v9, s3
	v_sub_nc_u32_e32 v9, v8, v87
	v_cmp_ge_u32_e64 s3, v8, v87
	s_delay_alu instid0(VALU_DEP_1) | instskip(NEXT) | instid1(VALU_DEP_1)
	v_cndmask_b32_e64 v8, v8, v9, s3
	v_xor_b32_e32 v8, v8, v7
	s_delay_alu instid0(VALU_DEP_1) | instskip(NEXT) | instid1(VALU_DEP_1)
	v_sub_nc_u32_e32 v7, v8, v7
	v_cmp_ne_u32_e64 s3, 0, v7
	s_delay_alu instid0(VALU_DEP_1) | instskip(NEXT) | instid1(SALU_CYCLE_1)
	s_and_b32 s3, s3, s4
	s_and_b32 s21, vcc_lo, s3
	s_delay_alu instid0(SALU_CYCLE_1)
	s_and_saveexec_b32 s4, s21
	s_cbranch_execz .LBB382_15
; %bb.14:                               ;   in Loop: Header=BB382_13 Depth=1
	s_waitcnt lgkmcnt(0)
	v_add_nc_u32_e32 v6, s11, v101
	ds_store_b32 v6, v100
.LBB382_15:                             ;   in Loop: Header=BB382_13 Depth=1
	s_or_b32 exec_lo, exec_lo, s4
	s_xor_b32 s3, s3, -1
	s_delay_alu instid0(SALU_CYCLE_1)
	s_and_saveexec_b32 s4, s3
	s_cbranch_execz .LBB382_12
; %bb.16:                               ;   in Loop: Header=BB382_13 Depth=1
	flat_load_b32 v8, v[54:55]
	s_mov_b32 s21, exec_lo
	s_waitcnt vmcnt(0) lgkmcnt(0)
	v_mad_i64_i32 v[6:7], null, v8, v22, v[52:53]
	s_delay_alu instid0(VALU_DEP_1) | instskip(NEXT) | instid1(VALU_DEP_1)
	v_add_co_u32 v64, s3, v6, v97
	v_add_co_ci_u32_e64 v65, s3, 0, v7, s3
	flat_load_u16 v28, v[64:65]
	flat_load_b32 v113, v[24:25]
	ds_load_b128 v[35:38], v98
	ds_load_b128 v[31:34], v98 offset:16
	ds_load_b128 v[16:19], v98 offset:32
	;; [unrolled: 1-line block ×3, first 2 shown]
	s_waitcnt vmcnt(1) lgkmcnt(5)
	v_and_b32_e32 v114, 0xff, v28
	v_dual_mov_b32 v28, 0 :: v_dual_and_b32 v115, 0xffff, v28
	s_delay_alu instid0(VALU_DEP_2)
	v_cmpx_ne_u16_e32 0, v114
	s_cbranch_execz .LBB382_24
; %bb.17:                               ;   in Loop: Header=BB382_13 Depth=1
	s_delay_alu instid0(VALU_DEP_2) | instskip(NEXT) | instid1(VALU_DEP_1)
	v_and_b32_e32 v28, 0xff, v115
	v_cmp_ne_u16_e64 s3, 0x80, v28
	v_bfrev_b32_e32 v28, 1
	s_delay_alu instid0(VALU_DEP_2)
	s_and_saveexec_b32 s22, s3
	s_cbranch_execz .LBB382_23
; %bb.18:                               ;   in Loop: Header=BB382_13 Depth=1
	v_and_b32_e32 v116, 0x7f, v115
	v_mov_b32_e32 v28, 0x7f800001
	s_mov_b32 s23, exec_lo
	s_delay_alu instid0(VALU_DEP_2)
	v_cmpx_ne_u32_e32 0x7f, v116
	s_cbranch_execz .LBB382_22
; %bb.19:                               ;   in Loop: Header=BB382_13 Depth=1
	v_and_b32_e32 v28, 7, v115
	v_lshrrev_b32_e32 v114, 3, v116
	s_mov_b32 s24, exec_lo
	v_cmpx_gt_u32_e32 8, v116
; %bb.20:                               ;   in Loop: Header=BB382_13 Depth=1
	s_delay_alu instid0(VALU_DEP_3) | instskip(NEXT) | instid1(VALU_DEP_1)
	v_clz_i32_u32_e32 v114, v28
	v_min_u32_e32 v114, 32, v114
	s_delay_alu instid0(VALU_DEP_1) | instskip(SKIP_1) | instid1(VALU_DEP_2)
	v_subrev_nc_u32_e32 v116, 28, v114
	v_sub_nc_u32_e32 v114, 29, v114
	v_lshlrev_b64 v[116:117], v116, v[28:29]
	s_delay_alu instid0(VALU_DEP_1)
	v_and_b32_e32 v28, 7, v116
; %bb.21:                               ;   in Loop: Header=BB382_13 Depth=1
	s_or_b32 exec_lo, exec_lo, s24
	v_lshlrev_b32_e32 v116, 24, v115
	s_delay_alu instid0(VALU_DEP_2) | instskip(SKIP_1) | instid1(VALU_DEP_3)
	v_lshlrev_b32_e32 v28, 20, v28
	v_lshl_add_u32 v114, v114, 23, 0x3c000000
	v_and_b32_e32 v116, 0x80000000, v116
	s_delay_alu instid0(VALU_DEP_1)
	v_or3_b32 v28, v28, v116, v114
.LBB382_22:                             ;   in Loop: Header=BB382_13 Depth=1
	s_or_b32 exec_lo, exec_lo, s23
.LBB382_23:                             ;   in Loop: Header=BB382_13 Depth=1
	s_delay_alu instid0(SALU_CYCLE_1)
	s_or_b32 exec_lo, exec_lo, s22
.LBB382_24:                             ;   in Loop: Header=BB382_13 Depth=1
	s_delay_alu instid0(SALU_CYCLE_1) | instskip(SKIP_2) | instid1(VALU_DEP_1)
	s_or_b32 exec_lo, exec_lo, s21
	s_waitcnt vmcnt(0) lgkmcnt(4)
	v_mul_f32_e32 v28, v113, v28
	v_and_b32_e32 v114, 0x7f800000, v28
	s_delay_alu instid0(VALU_DEP_1) | instskip(NEXT) | instid1(VALU_DEP_1)
	v_cmp_ne_u32_e64 s3, 0x7f800000, v114
                                        ; implicit-def: $vgpr114
	s_and_saveexec_b32 s21, s3
	s_delay_alu instid0(SALU_CYCLE_1)
	s_xor_b32 s3, exec_lo, s21
; %bb.25:                               ;   in Loop: Header=BB382_13 Depth=1
	v_bfe_u32 v114, v28, 16, 1
	s_delay_alu instid0(VALU_DEP_1)
	v_add3_u32 v114, v28, v114, 0x7fff
                                        ; implicit-def: $vgpr28
; %bb.26:                               ;   in Loop: Header=BB382_13 Depth=1
	s_and_not1_saveexec_b32 s21, s3
; %bb.27:                               ;   in Loop: Header=BB382_13 Depth=1
	v_and_b32_e32 v114, 0xffff, v28
	v_or_b32_e32 v116, 0x10000, v28
	s_delay_alu instid0(VALU_DEP_2) | instskip(NEXT) | instid1(VALU_DEP_1)
	v_cmp_eq_u32_e64 s3, 0, v114
	v_cndmask_b32_e64 v114, v116, v28, s3
; %bb.28:                               ;   in Loop: Header=BB382_13 Depth=1
	s_or_b32 exec_lo, exec_lo, s21
	v_lshrrev_b16 v116, 8, v115
	v_mov_b32_e32 v28, 0
	s_mov_b32 s21, exec_lo
	s_delay_alu instid0(VALU_DEP_2)
	v_cmpx_ne_u16_e32 0, v116
	s_cbranch_execz .LBB382_36
; %bb.29:                               ;   in Loop: Header=BB382_13 Depth=1
	v_bfrev_b32_e32 v28, 1
	s_mov_b32 s22, exec_lo
	v_cmpx_ne_u16_e32 0x80, v116
	s_cbranch_execz .LBB382_35
; %bb.30:                               ;   in Loop: Header=BB382_13 Depth=1
	v_and_b32_e32 v116, 0xffff, v116
	v_mov_b32_e32 v28, 0x7f800001
	s_mov_b32 s23, exec_lo
	s_delay_alu instid0(VALU_DEP_2) | instskip(NEXT) | instid1(VALU_DEP_1)
	v_and_b32_e32 v117, 0x7f, v116
	v_cmpx_ne_u32_e32 0x7f, v117
	s_cbranch_execz .LBB382_34
; %bb.31:                               ;   in Loop: Header=BB382_13 Depth=1
	v_and_b32_e32 v28, 7, v116
	v_lshrrev_b32_e32 v116, 3, v117
	s_mov_b32 s24, exec_lo
	v_cmpx_gt_u32_e32 8, v117
; %bb.32:                               ;   in Loop: Header=BB382_13 Depth=1
	s_delay_alu instid0(VALU_DEP_3) | instskip(NEXT) | instid1(VALU_DEP_1)
	v_clz_i32_u32_e32 v116, v28
	v_min_u32_e32 v116, 32, v116
	s_delay_alu instid0(VALU_DEP_1) | instskip(SKIP_1) | instid1(VALU_DEP_2)
	v_subrev_nc_u32_e32 v117, 28, v116
	v_sub_nc_u32_e32 v116, 29, v116
	v_lshlrev_b64 v[117:118], v117, v[28:29]
	s_delay_alu instid0(VALU_DEP_1)
	v_and_b32_e32 v28, 7, v117
; %bb.33:                               ;   in Loop: Header=BB382_13 Depth=1
	s_or_b32 exec_lo, exec_lo, s24
	v_lshlrev_b32_e32 v115, 16, v115
	s_delay_alu instid0(VALU_DEP_2) | instskip(SKIP_1) | instid1(VALU_DEP_3)
	v_lshlrev_b32_e32 v28, 20, v28
	v_lshl_add_u32 v116, v116, 23, 0x3c000000
	v_and_b32_e32 v115, 0x80000000, v115
	s_delay_alu instid0(VALU_DEP_1)
	v_or3_b32 v28, v28, v115, v116
.LBB382_34:                             ;   in Loop: Header=BB382_13 Depth=1
	s_or_b32 exec_lo, exec_lo, s23
.LBB382_35:                             ;   in Loop: Header=BB382_13 Depth=1
	s_delay_alu instid0(SALU_CYCLE_1)
	s_or_b32 exec_lo, exec_lo, s22
.LBB382_36:                             ;   in Loop: Header=BB382_13 Depth=1
	s_delay_alu instid0(SALU_CYCLE_1) | instskip(NEXT) | instid1(VALU_DEP_1)
	s_or_b32 exec_lo, exec_lo, s21
	v_mul_f32_e32 v28, v113, v28
	s_delay_alu instid0(VALU_DEP_1) | instskip(NEXT) | instid1(VALU_DEP_1)
	v_and_b32_e32 v115, 0x7f800000, v28
	v_cmp_ne_u32_e64 s3, 0x7f800000, v115
                                        ; implicit-def: $vgpr115
	s_delay_alu instid0(VALU_DEP_1) | instskip(NEXT) | instid1(SALU_CYCLE_1)
	s_and_saveexec_b32 s21, s3
	s_xor_b32 s3, exec_lo, s21
; %bb.37:                               ;   in Loop: Header=BB382_13 Depth=1
	v_bfe_u32 v115, v28, 16, 1
	s_delay_alu instid0(VALU_DEP_1)
	v_add3_u32 v115, v28, v115, 0x7fff
                                        ; implicit-def: $vgpr28
; %bb.38:                               ;   in Loop: Header=BB382_13 Depth=1
	s_and_not1_saveexec_b32 s21, s3
; %bb.39:                               ;   in Loop: Header=BB382_13 Depth=1
	v_and_b32_e32 v115, 0xffff, v28
	v_or_b32_e32 v116, 0x10000, v28
	s_delay_alu instid0(VALU_DEP_2) | instskip(NEXT) | instid1(VALU_DEP_1)
	v_cmp_eq_u32_e64 s3, 0, v115
	v_cndmask_b32_e64 v115, v116, v28, s3
; %bb.40:                               ;   in Loop: Header=BB382_13 Depth=1
	s_or_b32 exec_lo, exec_lo, s21
	flat_load_u16 v28, v[64:65] offset:8
	s_mov_b32 s21, exec_lo
	s_waitcnt vmcnt(0) lgkmcnt(0)
	v_and_b32_e32 v116, 0xff, v28
	v_dual_mov_b32 v28, 0 :: v_dual_and_b32 v117, 0xffff, v28
	s_delay_alu instid0(VALU_DEP_2)
	v_cmpx_ne_u16_e32 0, v116
	s_cbranch_execz .LBB382_48
; %bb.41:                               ;   in Loop: Header=BB382_13 Depth=1
	s_delay_alu instid0(VALU_DEP_2) | instskip(NEXT) | instid1(VALU_DEP_1)
	v_and_b32_e32 v28, 0xff, v117
	v_cmp_ne_u16_e64 s3, 0x80, v28
	v_bfrev_b32_e32 v28, 1
	s_delay_alu instid0(VALU_DEP_2)
	s_and_saveexec_b32 s22, s3
	s_cbranch_execz .LBB382_47
; %bb.42:                               ;   in Loop: Header=BB382_13 Depth=1
	v_and_b32_e32 v118, 0x7f, v117
	v_mov_b32_e32 v28, 0x7f800001
	s_mov_b32 s23, exec_lo
	s_delay_alu instid0(VALU_DEP_2)
	v_cmpx_ne_u32_e32 0x7f, v118
	s_cbranch_execz .LBB382_46
; %bb.43:                               ;   in Loop: Header=BB382_13 Depth=1
	v_and_b32_e32 v28, 7, v117
	v_lshrrev_b32_e32 v116, 3, v118
	s_mov_b32 s24, exec_lo
	v_cmpx_gt_u32_e32 8, v118
; %bb.44:                               ;   in Loop: Header=BB382_13 Depth=1
	s_delay_alu instid0(VALU_DEP_3) | instskip(NEXT) | instid1(VALU_DEP_1)
	v_clz_i32_u32_e32 v116, v28
	v_min_u32_e32 v116, 32, v116
	s_delay_alu instid0(VALU_DEP_1) | instskip(SKIP_1) | instid1(VALU_DEP_2)
	v_subrev_nc_u32_e32 v118, 28, v116
	v_sub_nc_u32_e32 v116, 29, v116
	v_lshlrev_b64 v[118:119], v118, v[28:29]
	s_delay_alu instid0(VALU_DEP_1)
	v_and_b32_e32 v28, 7, v118
; %bb.45:                               ;   in Loop: Header=BB382_13 Depth=1
	s_or_b32 exec_lo, exec_lo, s24
	v_lshlrev_b32_e32 v118, 24, v117
	s_delay_alu instid0(VALU_DEP_2) | instskip(SKIP_1) | instid1(VALU_DEP_3)
	v_lshlrev_b32_e32 v28, 20, v28
	v_lshl_add_u32 v116, v116, 23, 0x3c000000
	v_and_b32_e32 v118, 0x80000000, v118
	s_delay_alu instid0(VALU_DEP_1)
	v_or3_b32 v28, v28, v118, v116
.LBB382_46:                             ;   in Loop: Header=BB382_13 Depth=1
	s_or_b32 exec_lo, exec_lo, s23
.LBB382_47:                             ;   in Loop: Header=BB382_13 Depth=1
	s_delay_alu instid0(SALU_CYCLE_1)
	s_or_b32 exec_lo, exec_lo, s22
.LBB382_48:                             ;   in Loop: Header=BB382_13 Depth=1
	s_delay_alu instid0(SALU_CYCLE_1) | instskip(NEXT) | instid1(VALU_DEP_1)
	s_or_b32 exec_lo, exec_lo, s21
	v_mul_f32_e32 v28, v113, v28
	s_delay_alu instid0(VALU_DEP_1) | instskip(NEXT) | instid1(VALU_DEP_1)
	v_and_b32_e32 v116, 0x7f800000, v28
	v_cmp_ne_u32_e64 s3, 0x7f800000, v116
                                        ; implicit-def: $vgpr116
	s_delay_alu instid0(VALU_DEP_1) | instskip(NEXT) | instid1(SALU_CYCLE_1)
	s_and_saveexec_b32 s21, s3
	s_xor_b32 s3, exec_lo, s21
; %bb.49:                               ;   in Loop: Header=BB382_13 Depth=1
	v_bfe_u32 v116, v28, 16, 1
	s_delay_alu instid0(VALU_DEP_1)
	v_add3_u32 v116, v28, v116, 0x7fff
                                        ; implicit-def: $vgpr28
; %bb.50:                               ;   in Loop: Header=BB382_13 Depth=1
	s_and_not1_saveexec_b32 s21, s3
; %bb.51:                               ;   in Loop: Header=BB382_13 Depth=1
	v_and_b32_e32 v116, 0xffff, v28
	v_or_b32_e32 v118, 0x10000, v28
	s_delay_alu instid0(VALU_DEP_2) | instskip(NEXT) | instid1(VALU_DEP_1)
	v_cmp_eq_u32_e64 s3, 0, v116
	v_cndmask_b32_e64 v116, v118, v28, s3
; %bb.52:                               ;   in Loop: Header=BB382_13 Depth=1
	s_or_b32 exec_lo, exec_lo, s21
	v_lshrrev_b16 v118, 8, v117
	v_mov_b32_e32 v28, 0
	s_mov_b32 s21, exec_lo
	s_delay_alu instid0(VALU_DEP_2)
	v_cmpx_ne_u16_e32 0, v118
	s_cbranch_execz .LBB382_60
; %bb.53:                               ;   in Loop: Header=BB382_13 Depth=1
	v_bfrev_b32_e32 v28, 1
	s_mov_b32 s22, exec_lo
	v_cmpx_ne_u16_e32 0x80, v118
	s_cbranch_execz .LBB382_59
; %bb.54:                               ;   in Loop: Header=BB382_13 Depth=1
	v_and_b32_e32 v118, 0xffff, v118
	v_mov_b32_e32 v28, 0x7f800001
	s_mov_b32 s23, exec_lo
	s_delay_alu instid0(VALU_DEP_2) | instskip(NEXT) | instid1(VALU_DEP_1)
	v_and_b32_e32 v119, 0x7f, v118
	v_cmpx_ne_u32_e32 0x7f, v119
	s_cbranch_execz .LBB382_58
; %bb.55:                               ;   in Loop: Header=BB382_13 Depth=1
	v_and_b32_e32 v28, 7, v118
	v_lshrrev_b32_e32 v118, 3, v119
	s_mov_b32 s24, exec_lo
	v_cmpx_gt_u32_e32 8, v119
; %bb.56:                               ;   in Loop: Header=BB382_13 Depth=1
	s_delay_alu instid0(VALU_DEP_3) | instskip(NEXT) | instid1(VALU_DEP_1)
	v_clz_i32_u32_e32 v118, v28
	v_min_u32_e32 v118, 32, v118
	s_delay_alu instid0(VALU_DEP_1) | instskip(SKIP_1) | instid1(VALU_DEP_2)
	v_subrev_nc_u32_e32 v119, 28, v118
	v_sub_nc_u32_e32 v118, 29, v118
	v_lshlrev_b64 v[128:129], v119, v[28:29]
	s_delay_alu instid0(VALU_DEP_1)
	v_and_b32_e32 v28, 7, v128
; %bb.57:                               ;   in Loop: Header=BB382_13 Depth=1
	s_or_b32 exec_lo, exec_lo, s24
	v_lshlrev_b32_e32 v117, 16, v117
	s_delay_alu instid0(VALU_DEP_2) | instskip(SKIP_1) | instid1(VALU_DEP_3)
	v_lshlrev_b32_e32 v28, 20, v28
	v_lshl_add_u32 v118, v118, 23, 0x3c000000
	v_and_b32_e32 v117, 0x80000000, v117
	s_delay_alu instid0(VALU_DEP_1)
	v_or3_b32 v28, v28, v117, v118
.LBB382_58:                             ;   in Loop: Header=BB382_13 Depth=1
	s_or_b32 exec_lo, exec_lo, s23
.LBB382_59:                             ;   in Loop: Header=BB382_13 Depth=1
	s_delay_alu instid0(SALU_CYCLE_1)
	s_or_b32 exec_lo, exec_lo, s22
.LBB382_60:                             ;   in Loop: Header=BB382_13 Depth=1
	s_delay_alu instid0(SALU_CYCLE_1) | instskip(NEXT) | instid1(VALU_DEP_1)
	s_or_b32 exec_lo, exec_lo, s21
	v_mul_f32_e32 v28, v113, v28
	s_delay_alu instid0(VALU_DEP_1) | instskip(NEXT) | instid1(VALU_DEP_1)
	v_and_b32_e32 v117, 0x7f800000, v28
	v_cmp_ne_u32_e64 s3, 0x7f800000, v117
                                        ; implicit-def: $vgpr117
	s_delay_alu instid0(VALU_DEP_1) | instskip(NEXT) | instid1(SALU_CYCLE_1)
	s_and_saveexec_b32 s21, s3
	s_xor_b32 s3, exec_lo, s21
; %bb.61:                               ;   in Loop: Header=BB382_13 Depth=1
	v_bfe_u32 v117, v28, 16, 1
	s_delay_alu instid0(VALU_DEP_1)
	v_add3_u32 v117, v28, v117, 0x7fff
                                        ; implicit-def: $vgpr28
; %bb.62:                               ;   in Loop: Header=BB382_13 Depth=1
	s_and_not1_saveexec_b32 s21, s3
; %bb.63:                               ;   in Loop: Header=BB382_13 Depth=1
	v_and_b32_e32 v117, 0xffff, v28
	v_or_b32_e32 v118, 0x10000, v28
	s_delay_alu instid0(VALU_DEP_2) | instskip(NEXT) | instid1(VALU_DEP_1)
	v_cmp_eq_u32_e64 s3, 0, v117
	v_cndmask_b32_e64 v117, v118, v28, s3
; %bb.64:                               ;   in Loop: Header=BB382_13 Depth=1
	s_or_b32 exec_lo, exec_lo, s21
	flat_load_u16 v28, v[64:65] offset:128
	s_mov_b32 s21, exec_lo
	s_waitcnt vmcnt(0) lgkmcnt(0)
	v_and_b32_e32 v118, 0xff, v28
	v_dual_mov_b32 v28, 0 :: v_dual_and_b32 v119, 0xffff, v28
	s_delay_alu instid0(VALU_DEP_2)
	v_cmpx_ne_u16_e32 0, v118
	s_cbranch_execz .LBB382_72
; %bb.65:                               ;   in Loop: Header=BB382_13 Depth=1
	s_delay_alu instid0(VALU_DEP_2) | instskip(NEXT) | instid1(VALU_DEP_1)
	v_and_b32_e32 v28, 0xff, v119
	v_cmp_ne_u16_e64 s3, 0x80, v28
	v_bfrev_b32_e32 v28, 1
	s_delay_alu instid0(VALU_DEP_2)
	s_and_saveexec_b32 s22, s3
	s_cbranch_execz .LBB382_71
; %bb.66:                               ;   in Loop: Header=BB382_13 Depth=1
	v_and_b32_e32 v128, 0x7f, v119
	v_mov_b32_e32 v28, 0x7f800001
	s_mov_b32 s23, exec_lo
	s_delay_alu instid0(VALU_DEP_2)
	v_cmpx_ne_u32_e32 0x7f, v128
	s_cbranch_execz .LBB382_70
; %bb.67:                               ;   in Loop: Header=BB382_13 Depth=1
	v_and_b32_e32 v28, 7, v119
	v_lshrrev_b32_e32 v118, 3, v128
	s_mov_b32 s24, exec_lo
	v_cmpx_gt_u32_e32 8, v128
; %bb.68:                               ;   in Loop: Header=BB382_13 Depth=1
	s_delay_alu instid0(VALU_DEP_3) | instskip(NEXT) | instid1(VALU_DEP_1)
	v_clz_i32_u32_e32 v118, v28
	v_min_u32_e32 v118, 32, v118
	s_delay_alu instid0(VALU_DEP_1) | instskip(SKIP_1) | instid1(VALU_DEP_2)
	v_subrev_nc_u32_e32 v128, 28, v118
	v_sub_nc_u32_e32 v118, 29, v118
	v_lshlrev_b64 v[128:129], v128, v[28:29]
	s_delay_alu instid0(VALU_DEP_1)
	v_and_b32_e32 v28, 7, v128
; %bb.69:                               ;   in Loop: Header=BB382_13 Depth=1
	s_or_b32 exec_lo, exec_lo, s24
	v_lshlrev_b32_e32 v128, 24, v119
	s_delay_alu instid0(VALU_DEP_2) | instskip(SKIP_1) | instid1(VALU_DEP_3)
	v_lshlrev_b32_e32 v28, 20, v28
	v_lshl_add_u32 v118, v118, 23, 0x3c000000
	v_and_b32_e32 v128, 0x80000000, v128
	s_delay_alu instid0(VALU_DEP_1)
	v_or3_b32 v28, v28, v128, v118
.LBB382_70:                             ;   in Loop: Header=BB382_13 Depth=1
	s_or_b32 exec_lo, exec_lo, s23
.LBB382_71:                             ;   in Loop: Header=BB382_13 Depth=1
	s_delay_alu instid0(SALU_CYCLE_1)
	s_or_b32 exec_lo, exec_lo, s22
.LBB382_72:                             ;   in Loop: Header=BB382_13 Depth=1
	s_delay_alu instid0(SALU_CYCLE_1) | instskip(NEXT) | instid1(VALU_DEP_1)
	s_or_b32 exec_lo, exec_lo, s21
	v_mul_f32_e32 v28, v113, v28
	s_delay_alu instid0(VALU_DEP_1) | instskip(NEXT) | instid1(VALU_DEP_1)
	v_and_b32_e32 v118, 0x7f800000, v28
	v_cmp_ne_u32_e64 s3, 0x7f800000, v118
                                        ; implicit-def: $vgpr118
	s_delay_alu instid0(VALU_DEP_1) | instskip(NEXT) | instid1(SALU_CYCLE_1)
	s_and_saveexec_b32 s21, s3
	s_xor_b32 s3, exec_lo, s21
; %bb.73:                               ;   in Loop: Header=BB382_13 Depth=1
	v_bfe_u32 v118, v28, 16, 1
	s_delay_alu instid0(VALU_DEP_1)
	v_add3_u32 v118, v28, v118, 0x7fff
                                        ; implicit-def: $vgpr28
; %bb.74:                               ;   in Loop: Header=BB382_13 Depth=1
	s_and_not1_saveexec_b32 s21, s3
; %bb.75:                               ;   in Loop: Header=BB382_13 Depth=1
	v_and_b32_e32 v118, 0xffff, v28
	v_or_b32_e32 v128, 0x10000, v28
	s_delay_alu instid0(VALU_DEP_2) | instskip(NEXT) | instid1(VALU_DEP_1)
	v_cmp_eq_u32_e64 s3, 0, v118
	v_cndmask_b32_e64 v118, v128, v28, s3
; %bb.76:                               ;   in Loop: Header=BB382_13 Depth=1
	s_or_b32 exec_lo, exec_lo, s21
	v_lshrrev_b16 v128, 8, v119
	v_mov_b32_e32 v28, 0
	s_mov_b32 s21, exec_lo
	s_delay_alu instid0(VALU_DEP_2)
	v_cmpx_ne_u16_e64 0, v128
	s_cbranch_execz .LBB382_84
; %bb.77:                               ;   in Loop: Header=BB382_13 Depth=1
	v_bfrev_b32_e32 v28, 1
	s_mov_b32 s22, exec_lo
	v_cmpx_ne_u16_e64 0x80, v128
	s_cbranch_execz .LBB382_83
; %bb.78:                               ;   in Loop: Header=BB382_13 Depth=1
	v_and_b32_e32 v128, 0xffff, v128
	v_mov_b32_e32 v28, 0x7f800001
	s_mov_b32 s23, exec_lo
	s_delay_alu instid0(VALU_DEP_2) | instskip(NEXT) | instid1(VALU_DEP_1)
	v_and_b32_e32 v129, 0x7f, v128
	v_cmpx_ne_u32_e32 0x7f, v129
	s_cbranch_execz .LBB382_82
; %bb.79:                               ;   in Loop: Header=BB382_13 Depth=1
	v_and_b32_e32 v28, 7, v128
	v_lshrrev_b32_e32 v128, 3, v129
	s_mov_b32 s24, exec_lo
	v_cmpx_gt_u32_e32 8, v129
; %bb.80:                               ;   in Loop: Header=BB382_13 Depth=1
	s_delay_alu instid0(VALU_DEP_3) | instskip(NEXT) | instid1(VALU_DEP_1)
	v_clz_i32_u32_e32 v128, v28
	v_min_u32_e32 v128, 32, v128
	s_delay_alu instid0(VALU_DEP_1) | instskip(SKIP_1) | instid1(VALU_DEP_2)
	v_subrev_nc_u32_e32 v129, 28, v128
	v_sub_nc_u32_e32 v128, 29, v128
	v_lshlrev_b64 v[129:130], v129, v[28:29]
	s_delay_alu instid0(VALU_DEP_1)
	v_and_b32_e32 v28, 7, v129
; %bb.81:                               ;   in Loop: Header=BB382_13 Depth=1
	s_or_b32 exec_lo, exec_lo, s24
	v_lshlrev_b32_e32 v119, 16, v119
	s_delay_alu instid0(VALU_DEP_2) | instskip(SKIP_1) | instid1(VALU_DEP_3)
	v_lshlrev_b32_e32 v28, 20, v28
	v_lshl_add_u32 v128, v128, 23, 0x3c000000
	v_and_b32_e32 v119, 0x80000000, v119
	s_delay_alu instid0(VALU_DEP_1)
	v_or3_b32 v28, v28, v119, v128
.LBB382_82:                             ;   in Loop: Header=BB382_13 Depth=1
	s_or_b32 exec_lo, exec_lo, s23
.LBB382_83:                             ;   in Loop: Header=BB382_13 Depth=1
	s_delay_alu instid0(SALU_CYCLE_1)
	s_or_b32 exec_lo, exec_lo, s22
.LBB382_84:                             ;   in Loop: Header=BB382_13 Depth=1
	s_delay_alu instid0(SALU_CYCLE_1) | instskip(NEXT) | instid1(VALU_DEP_1)
	s_or_b32 exec_lo, exec_lo, s21
	v_mul_f32_e32 v28, v113, v28
	s_delay_alu instid0(VALU_DEP_1) | instskip(NEXT) | instid1(VALU_DEP_1)
	v_and_b32_e32 v119, 0x7f800000, v28
	v_cmp_ne_u32_e64 s3, 0x7f800000, v119
                                        ; implicit-def: $vgpr119
	s_delay_alu instid0(VALU_DEP_1) | instskip(NEXT) | instid1(SALU_CYCLE_1)
	s_and_saveexec_b32 s21, s3
	s_xor_b32 s3, exec_lo, s21
; %bb.85:                               ;   in Loop: Header=BB382_13 Depth=1
	v_bfe_u32 v119, v28, 16, 1
	s_delay_alu instid0(VALU_DEP_1)
	v_add3_u32 v119, v28, v119, 0x7fff
                                        ; implicit-def: $vgpr28
; %bb.86:                               ;   in Loop: Header=BB382_13 Depth=1
	s_and_not1_saveexec_b32 s21, s3
; %bb.87:                               ;   in Loop: Header=BB382_13 Depth=1
	v_and_b32_e32 v119, 0xffff, v28
	v_or_b32_e32 v128, 0x10000, v28
	s_delay_alu instid0(VALU_DEP_2) | instskip(NEXT) | instid1(VALU_DEP_1)
	v_cmp_eq_u32_e64 s3, 0, v119
	v_cndmask_b32_e64 v119, v128, v28, s3
; %bb.88:                               ;   in Loop: Header=BB382_13 Depth=1
	s_or_b32 exec_lo, exec_lo, s21
	flat_load_u16 v28, v[64:65] offset:136
	s_mov_b32 s21, exec_lo
	s_waitcnt vmcnt(0) lgkmcnt(0)
	v_and_b32_e32 v128, 0xff, v28
	v_dual_mov_b32 v28, 0 :: v_dual_and_b32 v129, 0xffff, v28
	s_delay_alu instid0(VALU_DEP_2)
	v_cmpx_ne_u16_e64 0, v128
	s_cbranch_execz .LBB382_96
; %bb.89:                               ;   in Loop: Header=BB382_13 Depth=1
	s_delay_alu instid0(VALU_DEP_2) | instskip(NEXT) | instid1(VALU_DEP_1)
	v_and_b32_e32 v28, 0xff, v129
	v_cmp_ne_u16_e64 s3, 0x80, v28
	v_bfrev_b32_e32 v28, 1
	s_delay_alu instid0(VALU_DEP_2)
	s_and_saveexec_b32 s22, s3
	s_cbranch_execz .LBB382_95
; %bb.90:                               ;   in Loop: Header=BB382_13 Depth=1
	v_and_b32_e32 v130, 0x7f, v129
	v_mov_b32_e32 v28, 0x7f800001
	s_mov_b32 s23, exec_lo
	s_delay_alu instid0(VALU_DEP_2)
	v_cmpx_ne_u32_e32 0x7f, v130
	s_cbranch_execz .LBB382_94
; %bb.91:                               ;   in Loop: Header=BB382_13 Depth=1
	v_and_b32_e32 v28, 7, v129
	v_lshrrev_b32_e32 v128, 3, v130
	s_mov_b32 s24, exec_lo
	v_cmpx_gt_u32_e32 8, v130
; %bb.92:                               ;   in Loop: Header=BB382_13 Depth=1
	s_delay_alu instid0(VALU_DEP_3) | instskip(NEXT) | instid1(VALU_DEP_1)
	v_clz_i32_u32_e32 v128, v28
	v_min_u32_e32 v128, 32, v128
	s_delay_alu instid0(VALU_DEP_1) | instskip(SKIP_1) | instid1(VALU_DEP_2)
	v_subrev_nc_u32_e32 v130, 28, v128
	v_sub_nc_u32_e32 v128, 29, v128
	v_lshlrev_b64 v[130:131], v130, v[28:29]
	s_delay_alu instid0(VALU_DEP_1)
	v_and_b32_e32 v28, 7, v130
; %bb.93:                               ;   in Loop: Header=BB382_13 Depth=1
	s_or_b32 exec_lo, exec_lo, s24
	v_lshlrev_b32_e32 v130, 24, v129
	s_delay_alu instid0(VALU_DEP_2) | instskip(SKIP_1) | instid1(VALU_DEP_3)
	v_lshlrev_b32_e32 v28, 20, v28
	v_lshl_add_u32 v128, v128, 23, 0x3c000000
	v_and_b32_e32 v130, 0x80000000, v130
	s_delay_alu instid0(VALU_DEP_1)
	v_or3_b32 v28, v28, v130, v128
.LBB382_94:                             ;   in Loop: Header=BB382_13 Depth=1
	s_or_b32 exec_lo, exec_lo, s23
.LBB382_95:                             ;   in Loop: Header=BB382_13 Depth=1
	s_delay_alu instid0(SALU_CYCLE_1)
	s_or_b32 exec_lo, exec_lo, s22
.LBB382_96:                             ;   in Loop: Header=BB382_13 Depth=1
	s_delay_alu instid0(SALU_CYCLE_1) | instskip(NEXT) | instid1(VALU_DEP_1)
	s_or_b32 exec_lo, exec_lo, s21
	v_mul_f32_e32 v28, v113, v28
	s_delay_alu instid0(VALU_DEP_1) | instskip(NEXT) | instid1(VALU_DEP_1)
	v_and_b32_e32 v128, 0x7f800000, v28
	v_cmp_ne_u32_e64 s3, 0x7f800000, v128
                                        ; implicit-def: $vgpr128
	s_delay_alu instid0(VALU_DEP_1) | instskip(NEXT) | instid1(SALU_CYCLE_1)
	s_and_saveexec_b32 s21, s3
	s_xor_b32 s3, exec_lo, s21
; %bb.97:                               ;   in Loop: Header=BB382_13 Depth=1
	v_bfe_u32 v128, v28, 16, 1
	s_delay_alu instid0(VALU_DEP_1)
	v_add3_u32 v128, v28, v128, 0x7fff
                                        ; implicit-def: $vgpr28
; %bb.98:                               ;   in Loop: Header=BB382_13 Depth=1
	s_and_not1_saveexec_b32 s21, s3
; %bb.99:                               ;   in Loop: Header=BB382_13 Depth=1
	v_and_b32_e32 v128, 0xffff, v28
	v_or_b32_e32 v130, 0x10000, v28
	s_delay_alu instid0(VALU_DEP_2) | instskip(NEXT) | instid1(VALU_DEP_1)
	v_cmp_eq_u32_e64 s3, 0, v128
	v_cndmask_b32_e64 v128, v130, v28, s3
; %bb.100:                              ;   in Loop: Header=BB382_13 Depth=1
	s_or_b32 exec_lo, exec_lo, s21
	v_lshrrev_b16 v130, 8, v129
	v_mov_b32_e32 v28, 0
	s_mov_b32 s21, exec_lo
	s_delay_alu instid0(VALU_DEP_2)
	v_cmpx_ne_u16_e64 0, v130
	s_cbranch_execz .LBB382_108
; %bb.101:                              ;   in Loop: Header=BB382_13 Depth=1
	v_bfrev_b32_e32 v28, 1
	s_mov_b32 s22, exec_lo
	v_cmpx_ne_u16_e64 0x80, v130
	s_cbranch_execz .LBB382_107
; %bb.102:                              ;   in Loop: Header=BB382_13 Depth=1
	v_and_b32_e32 v130, 0xffff, v130
	v_mov_b32_e32 v28, 0x7f800001
	s_mov_b32 s23, exec_lo
	s_delay_alu instid0(VALU_DEP_2) | instskip(NEXT) | instid1(VALU_DEP_1)
	v_and_b32_e32 v131, 0x7f, v130
	v_cmpx_ne_u32_e32 0x7f, v131
	s_cbranch_execz .LBB382_106
; %bb.103:                              ;   in Loop: Header=BB382_13 Depth=1
	v_and_b32_e32 v28, 7, v130
	v_lshrrev_b32_e32 v130, 3, v131
	s_mov_b32 s24, exec_lo
	v_cmpx_gt_u32_e32 8, v131
; %bb.104:                              ;   in Loop: Header=BB382_13 Depth=1
	s_delay_alu instid0(VALU_DEP_3) | instskip(NEXT) | instid1(VALU_DEP_1)
	v_clz_i32_u32_e32 v130, v28
	v_min_u32_e32 v130, 32, v130
	s_delay_alu instid0(VALU_DEP_1) | instskip(SKIP_1) | instid1(VALU_DEP_2)
	v_subrev_nc_u32_e32 v131, 28, v130
	v_sub_nc_u32_e32 v130, 29, v130
	v_lshlrev_b64 v[131:132], v131, v[28:29]
	s_delay_alu instid0(VALU_DEP_1)
	v_and_b32_e32 v28, 7, v131
; %bb.105:                              ;   in Loop: Header=BB382_13 Depth=1
	s_or_b32 exec_lo, exec_lo, s24
	v_lshlrev_b32_e32 v129, 16, v129
	s_delay_alu instid0(VALU_DEP_2) | instskip(SKIP_1) | instid1(VALU_DEP_3)
	v_lshlrev_b32_e32 v28, 20, v28
	v_lshl_add_u32 v130, v130, 23, 0x3c000000
	v_and_b32_e32 v129, 0x80000000, v129
	s_delay_alu instid0(VALU_DEP_1)
	v_or3_b32 v28, v28, v129, v130
.LBB382_106:                            ;   in Loop: Header=BB382_13 Depth=1
	s_or_b32 exec_lo, exec_lo, s23
.LBB382_107:                            ;   in Loop: Header=BB382_13 Depth=1
	s_delay_alu instid0(SALU_CYCLE_1)
	s_or_b32 exec_lo, exec_lo, s22
.LBB382_108:                            ;   in Loop: Header=BB382_13 Depth=1
	s_delay_alu instid0(SALU_CYCLE_1) | instskip(NEXT) | instid1(VALU_DEP_1)
	s_or_b32 exec_lo, exec_lo, s21
	v_mul_f32_e32 v28, v113, v28
	s_delay_alu instid0(VALU_DEP_1) | instskip(NEXT) | instid1(VALU_DEP_1)
	v_and_b32_e32 v129, 0x7f800000, v28
	v_cmp_ne_u32_e64 s3, 0x7f800000, v129
                                        ; implicit-def: $vgpr129
	s_delay_alu instid0(VALU_DEP_1) | instskip(NEXT) | instid1(SALU_CYCLE_1)
	s_and_saveexec_b32 s21, s3
	s_xor_b32 s3, exec_lo, s21
; %bb.109:                              ;   in Loop: Header=BB382_13 Depth=1
	v_bfe_u32 v129, v28, 16, 1
	s_delay_alu instid0(VALU_DEP_1)
	v_add3_u32 v129, v28, v129, 0x7fff
                                        ; implicit-def: $vgpr28
; %bb.110:                              ;   in Loop: Header=BB382_13 Depth=1
	s_and_not1_saveexec_b32 s21, s3
; %bb.111:                              ;   in Loop: Header=BB382_13 Depth=1
	v_and_b32_e32 v129, 0xffff, v28
	v_or_b32_e32 v130, 0x10000, v28
	s_delay_alu instid0(VALU_DEP_2) | instskip(NEXT) | instid1(VALU_DEP_1)
	v_cmp_eq_u32_e64 s3, 0, v129
	v_cndmask_b32_e64 v129, v130, v28, s3
; %bb.112:                              ;   in Loop: Header=BB382_13 Depth=1
	s_or_b32 exec_lo, exec_lo, s21
	flat_load_u16 v28, v[64:65] offset:256
	s_mov_b32 s21, exec_lo
	s_waitcnt vmcnt(0) lgkmcnt(0)
	v_and_b32_e32 v130, 0xff, v28
	v_dual_mov_b32 v28, 0 :: v_dual_and_b32 v131, 0xffff, v28
	s_delay_alu instid0(VALU_DEP_2)
	v_cmpx_ne_u16_e64 0, v130
	s_cbranch_execz .LBB382_120
; %bb.113:                              ;   in Loop: Header=BB382_13 Depth=1
	s_delay_alu instid0(VALU_DEP_2) | instskip(NEXT) | instid1(VALU_DEP_1)
	v_and_b32_e32 v28, 0xff, v131
	v_cmp_ne_u16_e64 s3, 0x80, v28
	v_bfrev_b32_e32 v28, 1
	s_delay_alu instid0(VALU_DEP_2)
	s_and_saveexec_b32 s22, s3
	s_cbranch_execz .LBB382_119
; %bb.114:                              ;   in Loop: Header=BB382_13 Depth=1
	v_and_b32_e32 v132, 0x7f, v131
	v_mov_b32_e32 v28, 0x7f800001
	s_mov_b32 s23, exec_lo
	s_delay_alu instid0(VALU_DEP_2)
	v_cmpx_ne_u32_e32 0x7f, v132
	s_cbranch_execz .LBB382_118
; %bb.115:                              ;   in Loop: Header=BB382_13 Depth=1
	v_and_b32_e32 v28, 7, v131
	v_lshrrev_b32_e32 v130, 3, v132
	s_mov_b32 s24, exec_lo
	v_cmpx_gt_u32_e32 8, v132
; %bb.116:                              ;   in Loop: Header=BB382_13 Depth=1
	s_delay_alu instid0(VALU_DEP_3) | instskip(NEXT) | instid1(VALU_DEP_1)
	v_clz_i32_u32_e32 v130, v28
	v_min_u32_e32 v130, 32, v130
	s_delay_alu instid0(VALU_DEP_1) | instskip(SKIP_1) | instid1(VALU_DEP_2)
	v_subrev_nc_u32_e32 v132, 28, v130
	v_sub_nc_u32_e32 v130, 29, v130
	v_lshlrev_b64 v[132:133], v132, v[28:29]
	s_delay_alu instid0(VALU_DEP_1)
	v_and_b32_e32 v28, 7, v132
; %bb.117:                              ;   in Loop: Header=BB382_13 Depth=1
	s_or_b32 exec_lo, exec_lo, s24
	v_lshlrev_b32_e32 v132, 24, v131
	s_delay_alu instid0(VALU_DEP_2) | instskip(SKIP_1) | instid1(VALU_DEP_3)
	v_lshlrev_b32_e32 v28, 20, v28
	v_lshl_add_u32 v130, v130, 23, 0x3c000000
	v_and_b32_e32 v132, 0x80000000, v132
	s_delay_alu instid0(VALU_DEP_1)
	v_or3_b32 v28, v28, v132, v130
.LBB382_118:                            ;   in Loop: Header=BB382_13 Depth=1
	s_or_b32 exec_lo, exec_lo, s23
.LBB382_119:                            ;   in Loop: Header=BB382_13 Depth=1
	s_delay_alu instid0(SALU_CYCLE_1)
	s_or_b32 exec_lo, exec_lo, s22
.LBB382_120:                            ;   in Loop: Header=BB382_13 Depth=1
	s_delay_alu instid0(SALU_CYCLE_1) | instskip(NEXT) | instid1(VALU_DEP_1)
	s_or_b32 exec_lo, exec_lo, s21
	v_mul_f32_e32 v28, v113, v28
	s_delay_alu instid0(VALU_DEP_1) | instskip(NEXT) | instid1(VALU_DEP_1)
	v_and_b32_e32 v130, 0x7f800000, v28
	v_cmp_ne_u32_e64 s3, 0x7f800000, v130
                                        ; implicit-def: $vgpr130
	s_delay_alu instid0(VALU_DEP_1) | instskip(NEXT) | instid1(SALU_CYCLE_1)
	s_and_saveexec_b32 s21, s3
	s_xor_b32 s3, exec_lo, s21
; %bb.121:                              ;   in Loop: Header=BB382_13 Depth=1
	v_bfe_u32 v130, v28, 16, 1
	s_delay_alu instid0(VALU_DEP_1)
	v_add3_u32 v130, v28, v130, 0x7fff
                                        ; implicit-def: $vgpr28
; %bb.122:                              ;   in Loop: Header=BB382_13 Depth=1
	s_and_not1_saveexec_b32 s21, s3
; %bb.123:                              ;   in Loop: Header=BB382_13 Depth=1
	v_and_b32_e32 v130, 0xffff, v28
	v_or_b32_e32 v132, 0x10000, v28
	s_delay_alu instid0(VALU_DEP_2) | instskip(NEXT) | instid1(VALU_DEP_1)
	v_cmp_eq_u32_e64 s3, 0, v130
	v_cndmask_b32_e64 v130, v132, v28, s3
; %bb.124:                              ;   in Loop: Header=BB382_13 Depth=1
	s_or_b32 exec_lo, exec_lo, s21
	v_lshrrev_b16 v132, 8, v131
	v_mov_b32_e32 v28, 0
	s_mov_b32 s21, exec_lo
	s_delay_alu instid0(VALU_DEP_2)
	v_cmpx_ne_u16_e64 0, v132
	s_cbranch_execz .LBB382_132
; %bb.125:                              ;   in Loop: Header=BB382_13 Depth=1
	v_bfrev_b32_e32 v28, 1
	s_mov_b32 s22, exec_lo
	v_cmpx_ne_u16_e64 0x80, v132
	s_cbranch_execz .LBB382_131
; %bb.126:                              ;   in Loop: Header=BB382_13 Depth=1
	v_and_b32_e32 v132, 0xffff, v132
	v_mov_b32_e32 v28, 0x7f800001
	s_mov_b32 s23, exec_lo
	s_delay_alu instid0(VALU_DEP_2) | instskip(NEXT) | instid1(VALU_DEP_1)
	v_and_b32_e32 v133, 0x7f, v132
	v_cmpx_ne_u32_e32 0x7f, v133
	s_cbranch_execz .LBB382_130
; %bb.127:                              ;   in Loop: Header=BB382_13 Depth=1
	v_and_b32_e32 v28, 7, v132
	v_lshrrev_b32_e32 v132, 3, v133
	s_mov_b32 s24, exec_lo
	v_cmpx_gt_u32_e32 8, v133
; %bb.128:                              ;   in Loop: Header=BB382_13 Depth=1
	s_delay_alu instid0(VALU_DEP_3) | instskip(NEXT) | instid1(VALU_DEP_1)
	v_clz_i32_u32_e32 v132, v28
	v_min_u32_e32 v132, 32, v132
	s_delay_alu instid0(VALU_DEP_1) | instskip(SKIP_1) | instid1(VALU_DEP_2)
	v_subrev_nc_u32_e32 v133, 28, v132
	v_sub_nc_u32_e32 v132, 29, v132
	v_lshlrev_b64 v[133:134], v133, v[28:29]
	s_delay_alu instid0(VALU_DEP_1)
	v_and_b32_e32 v28, 7, v133
; %bb.129:                              ;   in Loop: Header=BB382_13 Depth=1
	s_or_b32 exec_lo, exec_lo, s24
	v_lshlrev_b32_e32 v131, 16, v131
	s_delay_alu instid0(VALU_DEP_2) | instskip(SKIP_1) | instid1(VALU_DEP_3)
	v_lshlrev_b32_e32 v28, 20, v28
	v_lshl_add_u32 v132, v132, 23, 0x3c000000
	v_and_b32_e32 v131, 0x80000000, v131
	s_delay_alu instid0(VALU_DEP_1)
	v_or3_b32 v28, v28, v131, v132
.LBB382_130:                            ;   in Loop: Header=BB382_13 Depth=1
	s_or_b32 exec_lo, exec_lo, s23
.LBB382_131:                            ;   in Loop: Header=BB382_13 Depth=1
	s_delay_alu instid0(SALU_CYCLE_1)
	s_or_b32 exec_lo, exec_lo, s22
.LBB382_132:                            ;   in Loop: Header=BB382_13 Depth=1
	s_delay_alu instid0(SALU_CYCLE_1) | instskip(NEXT) | instid1(VALU_DEP_1)
	s_or_b32 exec_lo, exec_lo, s21
	v_mul_f32_e32 v28, v113, v28
	s_delay_alu instid0(VALU_DEP_1) | instskip(NEXT) | instid1(VALU_DEP_1)
	v_and_b32_e32 v131, 0x7f800000, v28
	v_cmp_ne_u32_e64 s3, 0x7f800000, v131
                                        ; implicit-def: $vgpr131
	s_delay_alu instid0(VALU_DEP_1) | instskip(NEXT) | instid1(SALU_CYCLE_1)
	s_and_saveexec_b32 s21, s3
	s_xor_b32 s3, exec_lo, s21
; %bb.133:                              ;   in Loop: Header=BB382_13 Depth=1
	v_bfe_u32 v131, v28, 16, 1
	s_delay_alu instid0(VALU_DEP_1)
	v_add3_u32 v131, v28, v131, 0x7fff
                                        ; implicit-def: $vgpr28
; %bb.134:                              ;   in Loop: Header=BB382_13 Depth=1
	s_and_not1_saveexec_b32 s21, s3
; %bb.135:                              ;   in Loop: Header=BB382_13 Depth=1
	v_and_b32_e32 v131, 0xffff, v28
	v_or_b32_e32 v132, 0x10000, v28
	s_delay_alu instid0(VALU_DEP_2) | instskip(NEXT) | instid1(VALU_DEP_1)
	v_cmp_eq_u32_e64 s3, 0, v131
	v_cndmask_b32_e64 v131, v132, v28, s3
; %bb.136:                              ;   in Loop: Header=BB382_13 Depth=1
	s_or_b32 exec_lo, exec_lo, s21
	flat_load_u16 v28, v[64:65] offset:264
	s_mov_b32 s21, exec_lo
	s_waitcnt vmcnt(0) lgkmcnt(0)
	v_and_b32_e32 v132, 0xff, v28
	v_dual_mov_b32 v28, 0 :: v_dual_and_b32 v133, 0xffff, v28
	s_delay_alu instid0(VALU_DEP_2)
	v_cmpx_ne_u16_e64 0, v132
	s_cbranch_execz .LBB382_144
; %bb.137:                              ;   in Loop: Header=BB382_13 Depth=1
	s_delay_alu instid0(VALU_DEP_2) | instskip(NEXT) | instid1(VALU_DEP_1)
	v_and_b32_e32 v28, 0xff, v133
	v_cmp_ne_u16_e64 s3, 0x80, v28
	v_bfrev_b32_e32 v28, 1
	s_delay_alu instid0(VALU_DEP_2)
	s_and_saveexec_b32 s22, s3
	s_cbranch_execz .LBB382_143
; %bb.138:                              ;   in Loop: Header=BB382_13 Depth=1
	v_and_b32_e32 v134, 0x7f, v133
	v_mov_b32_e32 v28, 0x7f800001
	s_mov_b32 s23, exec_lo
	s_delay_alu instid0(VALU_DEP_2)
	v_cmpx_ne_u32_e32 0x7f, v134
	s_cbranch_execz .LBB382_142
; %bb.139:                              ;   in Loop: Header=BB382_13 Depth=1
	v_and_b32_e32 v28, 7, v133
	v_lshrrev_b32_e32 v132, 3, v134
	s_mov_b32 s24, exec_lo
	v_cmpx_gt_u32_e32 8, v134
; %bb.140:                              ;   in Loop: Header=BB382_13 Depth=1
	s_delay_alu instid0(VALU_DEP_3) | instskip(NEXT) | instid1(VALU_DEP_1)
	v_clz_i32_u32_e32 v132, v28
	v_min_u32_e32 v132, 32, v132
	s_delay_alu instid0(VALU_DEP_1) | instskip(SKIP_1) | instid1(VALU_DEP_2)
	v_subrev_nc_u32_e32 v134, 28, v132
	v_sub_nc_u32_e32 v132, 29, v132
	v_lshlrev_b64 v[134:135], v134, v[28:29]
	s_delay_alu instid0(VALU_DEP_1)
	v_and_b32_e32 v28, 7, v134
; %bb.141:                              ;   in Loop: Header=BB382_13 Depth=1
	s_or_b32 exec_lo, exec_lo, s24
	v_lshlrev_b32_e32 v134, 24, v133
	s_delay_alu instid0(VALU_DEP_2) | instskip(SKIP_1) | instid1(VALU_DEP_3)
	v_lshlrev_b32_e32 v28, 20, v28
	v_lshl_add_u32 v132, v132, 23, 0x3c000000
	v_and_b32_e32 v134, 0x80000000, v134
	s_delay_alu instid0(VALU_DEP_1)
	v_or3_b32 v28, v28, v134, v132
.LBB382_142:                            ;   in Loop: Header=BB382_13 Depth=1
	s_or_b32 exec_lo, exec_lo, s23
.LBB382_143:                            ;   in Loop: Header=BB382_13 Depth=1
	s_delay_alu instid0(SALU_CYCLE_1)
	s_or_b32 exec_lo, exec_lo, s22
.LBB382_144:                            ;   in Loop: Header=BB382_13 Depth=1
	s_delay_alu instid0(SALU_CYCLE_1) | instskip(NEXT) | instid1(VALU_DEP_1)
	s_or_b32 exec_lo, exec_lo, s21
	v_mul_f32_e32 v28, v113, v28
	s_delay_alu instid0(VALU_DEP_1) | instskip(NEXT) | instid1(VALU_DEP_1)
	v_and_b32_e32 v132, 0x7f800000, v28
	v_cmp_ne_u32_e64 s3, 0x7f800000, v132
                                        ; implicit-def: $vgpr132
	s_delay_alu instid0(VALU_DEP_1) | instskip(NEXT) | instid1(SALU_CYCLE_1)
	s_and_saveexec_b32 s21, s3
	s_xor_b32 s3, exec_lo, s21
; %bb.145:                              ;   in Loop: Header=BB382_13 Depth=1
	v_bfe_u32 v132, v28, 16, 1
	s_delay_alu instid0(VALU_DEP_1)
	v_add3_u32 v132, v28, v132, 0x7fff
                                        ; implicit-def: $vgpr28
; %bb.146:                              ;   in Loop: Header=BB382_13 Depth=1
	s_and_not1_saveexec_b32 s21, s3
; %bb.147:                              ;   in Loop: Header=BB382_13 Depth=1
	v_and_b32_e32 v132, 0xffff, v28
	v_or_b32_e32 v134, 0x10000, v28
	s_delay_alu instid0(VALU_DEP_2) | instskip(NEXT) | instid1(VALU_DEP_1)
	v_cmp_eq_u32_e64 s3, 0, v132
	v_cndmask_b32_e64 v132, v134, v28, s3
; %bb.148:                              ;   in Loop: Header=BB382_13 Depth=1
	s_or_b32 exec_lo, exec_lo, s21
	v_lshrrev_b16 v134, 8, v133
	v_mov_b32_e32 v28, 0
	s_mov_b32 s21, exec_lo
	s_delay_alu instid0(VALU_DEP_2)
	v_cmpx_ne_u16_e64 0, v134
	s_cbranch_execz .LBB382_156
; %bb.149:                              ;   in Loop: Header=BB382_13 Depth=1
	v_bfrev_b32_e32 v28, 1
	s_mov_b32 s22, exec_lo
	v_cmpx_ne_u16_e64 0x80, v134
	s_cbranch_execz .LBB382_155
; %bb.150:                              ;   in Loop: Header=BB382_13 Depth=1
	v_and_b32_e32 v134, 0xffff, v134
	v_mov_b32_e32 v28, 0x7f800001
	s_mov_b32 s23, exec_lo
	s_delay_alu instid0(VALU_DEP_2) | instskip(NEXT) | instid1(VALU_DEP_1)
	v_and_b32_e32 v135, 0x7f, v134
	v_cmpx_ne_u32_e32 0x7f, v135
	s_cbranch_execz .LBB382_154
; %bb.151:                              ;   in Loop: Header=BB382_13 Depth=1
	v_and_b32_e32 v28, 7, v134
	v_lshrrev_b32_e32 v134, 3, v135
	s_mov_b32 s24, exec_lo
	v_cmpx_gt_u32_e32 8, v135
; %bb.152:                              ;   in Loop: Header=BB382_13 Depth=1
	s_delay_alu instid0(VALU_DEP_3) | instskip(NEXT) | instid1(VALU_DEP_1)
	v_clz_i32_u32_e32 v134, v28
	v_min_u32_e32 v134, 32, v134
	s_delay_alu instid0(VALU_DEP_1) | instskip(SKIP_1) | instid1(VALU_DEP_2)
	v_subrev_nc_u32_e32 v135, 28, v134
	v_sub_nc_u32_e32 v134, 29, v134
	v_lshlrev_b64 v[144:145], v135, v[28:29]
	s_delay_alu instid0(VALU_DEP_1)
	v_and_b32_e32 v28, 7, v144
; %bb.153:                              ;   in Loop: Header=BB382_13 Depth=1
	s_or_b32 exec_lo, exec_lo, s24
	v_lshlrev_b32_e32 v133, 16, v133
	s_delay_alu instid0(VALU_DEP_2) | instskip(SKIP_1) | instid1(VALU_DEP_3)
	v_lshlrev_b32_e32 v28, 20, v28
	v_lshl_add_u32 v134, v134, 23, 0x3c000000
	v_and_b32_e32 v133, 0x80000000, v133
	s_delay_alu instid0(VALU_DEP_1)
	v_or3_b32 v28, v28, v133, v134
.LBB382_154:                            ;   in Loop: Header=BB382_13 Depth=1
	s_or_b32 exec_lo, exec_lo, s23
.LBB382_155:                            ;   in Loop: Header=BB382_13 Depth=1
	s_delay_alu instid0(SALU_CYCLE_1)
	s_or_b32 exec_lo, exec_lo, s22
.LBB382_156:                            ;   in Loop: Header=BB382_13 Depth=1
	s_delay_alu instid0(SALU_CYCLE_1) | instskip(NEXT) | instid1(VALU_DEP_1)
	s_or_b32 exec_lo, exec_lo, s21
	v_mul_f32_e32 v28, v113, v28
	s_delay_alu instid0(VALU_DEP_1) | instskip(NEXT) | instid1(VALU_DEP_1)
	v_and_b32_e32 v133, 0x7f800000, v28
	v_cmp_ne_u32_e64 s3, 0x7f800000, v133
                                        ; implicit-def: $vgpr133
	s_delay_alu instid0(VALU_DEP_1) | instskip(NEXT) | instid1(SALU_CYCLE_1)
	s_and_saveexec_b32 s21, s3
	s_xor_b32 s3, exec_lo, s21
; %bb.157:                              ;   in Loop: Header=BB382_13 Depth=1
	v_bfe_u32 v133, v28, 16, 1
	s_delay_alu instid0(VALU_DEP_1)
	v_add3_u32 v133, v28, v133, 0x7fff
                                        ; implicit-def: $vgpr28
; %bb.158:                              ;   in Loop: Header=BB382_13 Depth=1
	s_and_not1_saveexec_b32 s21, s3
; %bb.159:                              ;   in Loop: Header=BB382_13 Depth=1
	v_and_b32_e32 v133, 0xffff, v28
	v_or_b32_e32 v134, 0x10000, v28
	s_delay_alu instid0(VALU_DEP_2) | instskip(NEXT) | instid1(VALU_DEP_1)
	v_cmp_eq_u32_e64 s3, 0, v133
	v_cndmask_b32_e64 v133, v134, v28, s3
; %bb.160:                              ;   in Loop: Header=BB382_13 Depth=1
	s_or_b32 exec_lo, exec_lo, s21
	flat_load_u16 v28, v[64:65] offset:384
	s_mov_b32 s21, exec_lo
	s_waitcnt vmcnt(0) lgkmcnt(0)
	v_and_b32_e32 v134, 0xff, v28
	v_dual_mov_b32 v28, 0 :: v_dual_and_b32 v135, 0xffff, v28
	s_delay_alu instid0(VALU_DEP_2)
	v_cmpx_ne_u16_e64 0, v134
	s_cbranch_execz .LBB382_168
; %bb.161:                              ;   in Loop: Header=BB382_13 Depth=1
	s_delay_alu instid0(VALU_DEP_2) | instskip(NEXT) | instid1(VALU_DEP_1)
	v_and_b32_e32 v28, 0xff, v135
	v_cmp_ne_u16_e64 s3, 0x80, v28
	v_bfrev_b32_e32 v28, 1
	s_delay_alu instid0(VALU_DEP_2)
	s_and_saveexec_b32 s22, s3
	s_cbranch_execz .LBB382_167
; %bb.162:                              ;   in Loop: Header=BB382_13 Depth=1
	v_and_b32_e32 v144, 0x7f, v135
	v_mov_b32_e32 v28, 0x7f800001
	s_mov_b32 s23, exec_lo
	s_delay_alu instid0(VALU_DEP_2)
	v_cmpx_ne_u32_e32 0x7f, v144
	s_cbranch_execz .LBB382_166
; %bb.163:                              ;   in Loop: Header=BB382_13 Depth=1
	v_and_b32_e32 v28, 7, v135
	v_lshrrev_b32_e32 v134, 3, v144
	s_mov_b32 s24, exec_lo
	v_cmpx_gt_u32_e32 8, v144
; %bb.164:                              ;   in Loop: Header=BB382_13 Depth=1
	s_delay_alu instid0(VALU_DEP_3) | instskip(NEXT) | instid1(VALU_DEP_1)
	v_clz_i32_u32_e32 v134, v28
	v_min_u32_e32 v134, 32, v134
	s_delay_alu instid0(VALU_DEP_1) | instskip(SKIP_1) | instid1(VALU_DEP_2)
	v_subrev_nc_u32_e32 v144, 28, v134
	v_sub_nc_u32_e32 v134, 29, v134
	v_lshlrev_b64 v[144:145], v144, v[28:29]
	s_delay_alu instid0(VALU_DEP_1)
	v_and_b32_e32 v28, 7, v144
; %bb.165:                              ;   in Loop: Header=BB382_13 Depth=1
	s_or_b32 exec_lo, exec_lo, s24
	v_lshlrev_b32_e32 v144, 24, v135
	s_delay_alu instid0(VALU_DEP_2) | instskip(SKIP_1) | instid1(VALU_DEP_3)
	v_lshlrev_b32_e32 v28, 20, v28
	v_lshl_add_u32 v134, v134, 23, 0x3c000000
	v_and_b32_e32 v144, 0x80000000, v144
	s_delay_alu instid0(VALU_DEP_1)
	v_or3_b32 v28, v28, v144, v134
.LBB382_166:                            ;   in Loop: Header=BB382_13 Depth=1
	s_or_b32 exec_lo, exec_lo, s23
.LBB382_167:                            ;   in Loop: Header=BB382_13 Depth=1
	s_delay_alu instid0(SALU_CYCLE_1)
	s_or_b32 exec_lo, exec_lo, s22
.LBB382_168:                            ;   in Loop: Header=BB382_13 Depth=1
	s_delay_alu instid0(SALU_CYCLE_1) | instskip(NEXT) | instid1(VALU_DEP_1)
	s_or_b32 exec_lo, exec_lo, s21
	v_mul_f32_e32 v28, v113, v28
	s_delay_alu instid0(VALU_DEP_1) | instskip(NEXT) | instid1(VALU_DEP_1)
	v_and_b32_e32 v134, 0x7f800000, v28
	v_cmp_ne_u32_e64 s3, 0x7f800000, v134
                                        ; implicit-def: $vgpr134
	s_delay_alu instid0(VALU_DEP_1) | instskip(NEXT) | instid1(SALU_CYCLE_1)
	s_and_saveexec_b32 s21, s3
	s_xor_b32 s3, exec_lo, s21
; %bb.169:                              ;   in Loop: Header=BB382_13 Depth=1
	v_bfe_u32 v134, v28, 16, 1
	s_delay_alu instid0(VALU_DEP_1)
	v_add3_u32 v134, v28, v134, 0x7fff
                                        ; implicit-def: $vgpr28
; %bb.170:                              ;   in Loop: Header=BB382_13 Depth=1
	s_and_not1_saveexec_b32 s21, s3
; %bb.171:                              ;   in Loop: Header=BB382_13 Depth=1
	v_and_b32_e32 v134, 0xffff, v28
	v_or_b32_e32 v144, 0x10000, v28
	s_delay_alu instid0(VALU_DEP_2) | instskip(NEXT) | instid1(VALU_DEP_1)
	v_cmp_eq_u32_e64 s3, 0, v134
	v_cndmask_b32_e64 v134, v144, v28, s3
; %bb.172:                              ;   in Loop: Header=BB382_13 Depth=1
	s_or_b32 exec_lo, exec_lo, s21
	v_lshrrev_b16 v144, 8, v135
	v_mov_b32_e32 v28, 0
	s_mov_b32 s21, exec_lo
	s_delay_alu instid0(VALU_DEP_2)
	v_cmpx_ne_u16_e64 0, v144
	s_cbranch_execz .LBB382_180
; %bb.173:                              ;   in Loop: Header=BB382_13 Depth=1
	v_bfrev_b32_e32 v28, 1
	s_mov_b32 s22, exec_lo
	v_cmpx_ne_u16_e64 0x80, v144
	s_cbranch_execz .LBB382_179
; %bb.174:                              ;   in Loop: Header=BB382_13 Depth=1
	v_and_b32_e32 v144, 0xffff, v144
	v_mov_b32_e32 v28, 0x7f800001
	s_mov_b32 s23, exec_lo
	s_delay_alu instid0(VALU_DEP_2) | instskip(NEXT) | instid1(VALU_DEP_1)
	v_and_b32_e32 v145, 0x7f, v144
	v_cmpx_ne_u32_e32 0x7f, v145
	s_cbranch_execz .LBB382_178
; %bb.175:                              ;   in Loop: Header=BB382_13 Depth=1
	v_and_b32_e32 v28, 7, v144
	v_lshrrev_b32_e32 v144, 3, v145
	s_mov_b32 s24, exec_lo
	v_cmpx_gt_u32_e32 8, v145
; %bb.176:                              ;   in Loop: Header=BB382_13 Depth=1
	s_delay_alu instid0(VALU_DEP_3) | instskip(NEXT) | instid1(VALU_DEP_1)
	v_clz_i32_u32_e32 v144, v28
	v_min_u32_e32 v144, 32, v144
	s_delay_alu instid0(VALU_DEP_1) | instskip(SKIP_1) | instid1(VALU_DEP_2)
	v_subrev_nc_u32_e32 v145, 28, v144
	v_sub_nc_u32_e32 v144, 29, v144
	v_lshlrev_b64 v[145:146], v145, v[28:29]
	s_delay_alu instid0(VALU_DEP_1)
	v_and_b32_e32 v28, 7, v145
; %bb.177:                              ;   in Loop: Header=BB382_13 Depth=1
	s_or_b32 exec_lo, exec_lo, s24
	v_lshlrev_b32_e32 v135, 16, v135
	s_delay_alu instid0(VALU_DEP_2) | instskip(SKIP_1) | instid1(VALU_DEP_3)
	v_lshlrev_b32_e32 v28, 20, v28
	v_lshl_add_u32 v144, v144, 23, 0x3c000000
	v_and_b32_e32 v135, 0x80000000, v135
	s_delay_alu instid0(VALU_DEP_1)
	v_or3_b32 v28, v28, v135, v144
.LBB382_178:                            ;   in Loop: Header=BB382_13 Depth=1
	s_or_b32 exec_lo, exec_lo, s23
.LBB382_179:                            ;   in Loop: Header=BB382_13 Depth=1
	s_delay_alu instid0(SALU_CYCLE_1)
	s_or_b32 exec_lo, exec_lo, s22
.LBB382_180:                            ;   in Loop: Header=BB382_13 Depth=1
	s_delay_alu instid0(SALU_CYCLE_1) | instskip(NEXT) | instid1(VALU_DEP_1)
	s_or_b32 exec_lo, exec_lo, s21
	v_mul_f32_e32 v28, v113, v28
	s_delay_alu instid0(VALU_DEP_1) | instskip(NEXT) | instid1(VALU_DEP_1)
	v_and_b32_e32 v135, 0x7f800000, v28
	v_cmp_ne_u32_e64 s3, 0x7f800000, v135
                                        ; implicit-def: $vgpr135
	s_delay_alu instid0(VALU_DEP_1) | instskip(NEXT) | instid1(SALU_CYCLE_1)
	s_and_saveexec_b32 s21, s3
	s_xor_b32 s3, exec_lo, s21
; %bb.181:                              ;   in Loop: Header=BB382_13 Depth=1
	v_bfe_u32 v135, v28, 16, 1
	s_delay_alu instid0(VALU_DEP_1)
	v_add3_u32 v135, v28, v135, 0x7fff
                                        ; implicit-def: $vgpr28
; %bb.182:                              ;   in Loop: Header=BB382_13 Depth=1
	s_and_not1_saveexec_b32 s21, s3
; %bb.183:                              ;   in Loop: Header=BB382_13 Depth=1
	v_and_b32_e32 v135, 0xffff, v28
	v_or_b32_e32 v144, 0x10000, v28
	s_delay_alu instid0(VALU_DEP_2) | instskip(NEXT) | instid1(VALU_DEP_1)
	v_cmp_eq_u32_e64 s3, 0, v135
	v_cndmask_b32_e64 v135, v144, v28, s3
; %bb.184:                              ;   in Loop: Header=BB382_13 Depth=1
	s_or_b32 exec_lo, exec_lo, s21
	flat_load_u16 v28, v[64:65] offset:392
	s_mov_b32 s21, exec_lo
	s_waitcnt vmcnt(0) lgkmcnt(0)
	v_and_b32_e32 v144, 0xff, v28
	v_dual_mov_b32 v28, 0 :: v_dual_and_b32 v145, 0xffff, v28
	s_delay_alu instid0(VALU_DEP_2)
	v_cmpx_ne_u16_e64 0, v144
	s_cbranch_execz .LBB382_192
; %bb.185:                              ;   in Loop: Header=BB382_13 Depth=1
	s_delay_alu instid0(VALU_DEP_2) | instskip(NEXT) | instid1(VALU_DEP_1)
	v_and_b32_e32 v28, 0xff, v145
	v_cmp_ne_u16_e64 s3, 0x80, v28
	v_bfrev_b32_e32 v28, 1
	s_delay_alu instid0(VALU_DEP_2)
	s_and_saveexec_b32 s22, s3
	s_cbranch_execz .LBB382_191
; %bb.186:                              ;   in Loop: Header=BB382_13 Depth=1
	v_and_b32_e32 v146, 0x7f, v145
	v_mov_b32_e32 v28, 0x7f800001
	s_mov_b32 s23, exec_lo
	s_delay_alu instid0(VALU_DEP_2)
	v_cmpx_ne_u32_e32 0x7f, v146
	s_cbranch_execz .LBB382_190
; %bb.187:                              ;   in Loop: Header=BB382_13 Depth=1
	v_and_b32_e32 v28, 7, v145
	v_lshrrev_b32_e32 v144, 3, v146
	s_mov_b32 s24, exec_lo
	v_cmpx_gt_u32_e32 8, v146
; %bb.188:                              ;   in Loop: Header=BB382_13 Depth=1
	s_delay_alu instid0(VALU_DEP_3) | instskip(NEXT) | instid1(VALU_DEP_1)
	v_clz_i32_u32_e32 v144, v28
	v_min_u32_e32 v144, 32, v144
	s_delay_alu instid0(VALU_DEP_1) | instskip(SKIP_1) | instid1(VALU_DEP_2)
	v_subrev_nc_u32_e32 v146, 28, v144
	v_sub_nc_u32_e32 v144, 29, v144
	v_lshlrev_b64 v[146:147], v146, v[28:29]
	s_delay_alu instid0(VALU_DEP_1)
	v_and_b32_e32 v28, 7, v146
; %bb.189:                              ;   in Loop: Header=BB382_13 Depth=1
	s_or_b32 exec_lo, exec_lo, s24
	v_lshlrev_b32_e32 v146, 24, v145
	s_delay_alu instid0(VALU_DEP_2) | instskip(SKIP_1) | instid1(VALU_DEP_3)
	v_lshlrev_b32_e32 v28, 20, v28
	v_lshl_add_u32 v144, v144, 23, 0x3c000000
	v_and_b32_e32 v146, 0x80000000, v146
	s_delay_alu instid0(VALU_DEP_1)
	v_or3_b32 v28, v28, v146, v144
.LBB382_190:                            ;   in Loop: Header=BB382_13 Depth=1
	s_or_b32 exec_lo, exec_lo, s23
.LBB382_191:                            ;   in Loop: Header=BB382_13 Depth=1
	s_delay_alu instid0(SALU_CYCLE_1)
	s_or_b32 exec_lo, exec_lo, s22
.LBB382_192:                            ;   in Loop: Header=BB382_13 Depth=1
	s_delay_alu instid0(SALU_CYCLE_1) | instskip(NEXT) | instid1(VALU_DEP_1)
	s_or_b32 exec_lo, exec_lo, s21
	v_mul_f32_e32 v28, v113, v28
	s_delay_alu instid0(VALU_DEP_1) | instskip(NEXT) | instid1(VALU_DEP_1)
	v_and_b32_e32 v144, 0x7f800000, v28
	v_cmp_ne_u32_e64 s3, 0x7f800000, v144
                                        ; implicit-def: $vgpr144
	s_delay_alu instid0(VALU_DEP_1) | instskip(NEXT) | instid1(SALU_CYCLE_1)
	s_and_saveexec_b32 s21, s3
	s_xor_b32 s3, exec_lo, s21
; %bb.193:                              ;   in Loop: Header=BB382_13 Depth=1
	v_bfe_u32 v144, v28, 16, 1
	s_delay_alu instid0(VALU_DEP_1)
	v_add3_u32 v144, v28, v144, 0x7fff
                                        ; implicit-def: $vgpr28
; %bb.194:                              ;   in Loop: Header=BB382_13 Depth=1
	s_and_not1_saveexec_b32 s21, s3
; %bb.195:                              ;   in Loop: Header=BB382_13 Depth=1
	v_and_b32_e32 v144, 0xffff, v28
	v_or_b32_e32 v146, 0x10000, v28
	s_delay_alu instid0(VALU_DEP_2) | instskip(NEXT) | instid1(VALU_DEP_1)
	v_cmp_eq_u32_e64 s3, 0, v144
	v_cndmask_b32_e64 v144, v146, v28, s3
; %bb.196:                              ;   in Loop: Header=BB382_13 Depth=1
	s_or_b32 exec_lo, exec_lo, s21
	v_lshrrev_b16 v146, 8, v145
	v_mov_b32_e32 v28, 0
	s_mov_b32 s21, exec_lo
	s_delay_alu instid0(VALU_DEP_2)
	v_cmpx_ne_u16_e64 0, v146
	s_cbranch_execz .LBB382_204
; %bb.197:                              ;   in Loop: Header=BB382_13 Depth=1
	v_bfrev_b32_e32 v28, 1
	s_mov_b32 s22, exec_lo
	v_cmpx_ne_u16_e64 0x80, v146
	s_cbranch_execz .LBB382_203
; %bb.198:                              ;   in Loop: Header=BB382_13 Depth=1
	v_and_b32_e32 v146, 0xffff, v146
	v_mov_b32_e32 v28, 0x7f800001
	s_mov_b32 s23, exec_lo
	s_delay_alu instid0(VALU_DEP_2) | instskip(NEXT) | instid1(VALU_DEP_1)
	v_and_b32_e32 v147, 0x7f, v146
	v_cmpx_ne_u32_e32 0x7f, v147
	s_cbranch_execz .LBB382_202
; %bb.199:                              ;   in Loop: Header=BB382_13 Depth=1
	v_and_b32_e32 v28, 7, v146
	v_lshrrev_b32_e32 v146, 3, v147
	s_mov_b32 s24, exec_lo
	v_cmpx_gt_u32_e32 8, v147
; %bb.200:                              ;   in Loop: Header=BB382_13 Depth=1
	s_delay_alu instid0(VALU_DEP_3) | instskip(NEXT) | instid1(VALU_DEP_1)
	v_clz_i32_u32_e32 v146, v28
	v_min_u32_e32 v146, 32, v146
	s_delay_alu instid0(VALU_DEP_1) | instskip(SKIP_1) | instid1(VALU_DEP_2)
	v_subrev_nc_u32_e32 v147, 28, v146
	v_sub_nc_u32_e32 v146, 29, v146
	v_lshlrev_b64 v[147:148], v147, v[28:29]
	s_delay_alu instid0(VALU_DEP_1)
	v_and_b32_e32 v28, 7, v147
; %bb.201:                              ;   in Loop: Header=BB382_13 Depth=1
	s_or_b32 exec_lo, exec_lo, s24
	v_lshlrev_b32_e32 v145, 16, v145
	s_delay_alu instid0(VALU_DEP_2) | instskip(SKIP_1) | instid1(VALU_DEP_3)
	v_lshlrev_b32_e32 v28, 20, v28
	v_lshl_add_u32 v146, v146, 23, 0x3c000000
	v_and_b32_e32 v145, 0x80000000, v145
	s_delay_alu instid0(VALU_DEP_1)
	v_or3_b32 v28, v28, v145, v146
.LBB382_202:                            ;   in Loop: Header=BB382_13 Depth=1
	s_or_b32 exec_lo, exec_lo, s23
.LBB382_203:                            ;   in Loop: Header=BB382_13 Depth=1
	s_delay_alu instid0(SALU_CYCLE_1)
	s_or_b32 exec_lo, exec_lo, s22
.LBB382_204:                            ;   in Loop: Header=BB382_13 Depth=1
	s_delay_alu instid0(SALU_CYCLE_1) | instskip(NEXT) | instid1(VALU_DEP_1)
	s_or_b32 exec_lo, exec_lo, s21
	v_mul_f32_e32 v28, v113, v28
	s_delay_alu instid0(VALU_DEP_1) | instskip(NEXT) | instid1(VALU_DEP_1)
	v_and_b32_e32 v145, 0x7f800000, v28
	v_cmp_ne_u32_e64 s3, 0x7f800000, v145
                                        ; implicit-def: $vgpr145
	s_delay_alu instid0(VALU_DEP_1) | instskip(NEXT) | instid1(SALU_CYCLE_1)
	s_and_saveexec_b32 s21, s3
	s_xor_b32 s3, exec_lo, s21
; %bb.205:                              ;   in Loop: Header=BB382_13 Depth=1
	v_bfe_u32 v145, v28, 16, 1
	s_delay_alu instid0(VALU_DEP_1)
	v_add3_u32 v145, v28, v145, 0x7fff
                                        ; implicit-def: $vgpr28
; %bb.206:                              ;   in Loop: Header=BB382_13 Depth=1
	s_and_not1_saveexec_b32 s21, s3
; %bb.207:                              ;   in Loop: Header=BB382_13 Depth=1
	v_and_b32_e32 v145, 0xffff, v28
	v_or_b32_e32 v146, 0x10000, v28
	s_delay_alu instid0(VALU_DEP_2) | instskip(NEXT) | instid1(VALU_DEP_1)
	v_cmp_eq_u32_e64 s3, 0, v145
	v_cndmask_b32_e64 v145, v146, v28, s3
; %bb.208:                              ;   in Loop: Header=BB382_13 Depth=1
	s_or_b32 exec_lo, exec_lo, s21
	flat_load_u16 v28, v[64:65] offset:512
	s_mov_b32 s21, exec_lo
	s_waitcnt vmcnt(0) lgkmcnt(0)
	v_and_b32_e32 v146, 0xff, v28
	v_dual_mov_b32 v28, 0 :: v_dual_and_b32 v147, 0xffff, v28
	s_delay_alu instid0(VALU_DEP_2)
	v_cmpx_ne_u16_e64 0, v146
	s_cbranch_execz .LBB382_216
; %bb.209:                              ;   in Loop: Header=BB382_13 Depth=1
	s_delay_alu instid0(VALU_DEP_2) | instskip(NEXT) | instid1(VALU_DEP_1)
	v_and_b32_e32 v28, 0xff, v147
	v_cmp_ne_u16_e64 s3, 0x80, v28
	v_bfrev_b32_e32 v28, 1
	s_delay_alu instid0(VALU_DEP_2)
	s_and_saveexec_b32 s22, s3
	s_cbranch_execz .LBB382_215
; %bb.210:                              ;   in Loop: Header=BB382_13 Depth=1
	v_and_b32_e32 v148, 0x7f, v147
	v_mov_b32_e32 v28, 0x7f800001
	s_mov_b32 s23, exec_lo
	s_delay_alu instid0(VALU_DEP_2)
	v_cmpx_ne_u32_e32 0x7f, v148
	s_cbranch_execz .LBB382_214
; %bb.211:                              ;   in Loop: Header=BB382_13 Depth=1
	v_and_b32_e32 v28, 7, v147
	v_lshrrev_b32_e32 v146, 3, v148
	s_mov_b32 s24, exec_lo
	v_cmpx_gt_u32_e32 8, v148
; %bb.212:                              ;   in Loop: Header=BB382_13 Depth=1
	s_delay_alu instid0(VALU_DEP_3) | instskip(NEXT) | instid1(VALU_DEP_1)
	v_clz_i32_u32_e32 v146, v28
	v_min_u32_e32 v146, 32, v146
	s_delay_alu instid0(VALU_DEP_1) | instskip(SKIP_1) | instid1(VALU_DEP_2)
	v_subrev_nc_u32_e32 v148, 28, v146
	v_sub_nc_u32_e32 v146, 29, v146
	v_lshlrev_b64 v[148:149], v148, v[28:29]
	s_delay_alu instid0(VALU_DEP_1)
	v_and_b32_e32 v28, 7, v148
; %bb.213:                              ;   in Loop: Header=BB382_13 Depth=1
	s_or_b32 exec_lo, exec_lo, s24
	v_lshlrev_b32_e32 v148, 24, v147
	s_delay_alu instid0(VALU_DEP_2) | instskip(SKIP_1) | instid1(VALU_DEP_3)
	v_lshlrev_b32_e32 v28, 20, v28
	v_lshl_add_u32 v146, v146, 23, 0x3c000000
	v_and_b32_e32 v148, 0x80000000, v148
	s_delay_alu instid0(VALU_DEP_1)
	v_or3_b32 v28, v28, v148, v146
.LBB382_214:                            ;   in Loop: Header=BB382_13 Depth=1
	s_or_b32 exec_lo, exec_lo, s23
.LBB382_215:                            ;   in Loop: Header=BB382_13 Depth=1
	s_delay_alu instid0(SALU_CYCLE_1)
	s_or_b32 exec_lo, exec_lo, s22
.LBB382_216:                            ;   in Loop: Header=BB382_13 Depth=1
	s_delay_alu instid0(SALU_CYCLE_1) | instskip(NEXT) | instid1(VALU_DEP_1)
	s_or_b32 exec_lo, exec_lo, s21
	v_mul_f32_e32 v28, v113, v28
	s_delay_alu instid0(VALU_DEP_1) | instskip(NEXT) | instid1(VALU_DEP_1)
	v_and_b32_e32 v146, 0x7f800000, v28
	v_cmp_ne_u32_e64 s3, 0x7f800000, v146
                                        ; implicit-def: $vgpr146
	s_delay_alu instid0(VALU_DEP_1) | instskip(NEXT) | instid1(SALU_CYCLE_1)
	s_and_saveexec_b32 s21, s3
	s_xor_b32 s3, exec_lo, s21
; %bb.217:                              ;   in Loop: Header=BB382_13 Depth=1
	v_bfe_u32 v146, v28, 16, 1
	s_delay_alu instid0(VALU_DEP_1)
	v_add3_u32 v146, v28, v146, 0x7fff
                                        ; implicit-def: $vgpr28
; %bb.218:                              ;   in Loop: Header=BB382_13 Depth=1
	s_and_not1_saveexec_b32 s21, s3
; %bb.219:                              ;   in Loop: Header=BB382_13 Depth=1
	v_and_b32_e32 v146, 0xffff, v28
	v_or_b32_e32 v148, 0x10000, v28
	s_delay_alu instid0(VALU_DEP_2) | instskip(NEXT) | instid1(VALU_DEP_1)
	v_cmp_eq_u32_e64 s3, 0, v146
	v_cndmask_b32_e64 v146, v148, v28, s3
; %bb.220:                              ;   in Loop: Header=BB382_13 Depth=1
	s_or_b32 exec_lo, exec_lo, s21
	v_lshrrev_b16 v148, 8, v147
	v_mov_b32_e32 v28, 0
	s_mov_b32 s21, exec_lo
	s_delay_alu instid0(VALU_DEP_2)
	v_cmpx_ne_u16_e64 0, v148
	s_cbranch_execz .LBB382_228
; %bb.221:                              ;   in Loop: Header=BB382_13 Depth=1
	v_bfrev_b32_e32 v28, 1
	s_mov_b32 s22, exec_lo
	v_cmpx_ne_u16_e64 0x80, v148
	s_cbranch_execz .LBB382_227
; %bb.222:                              ;   in Loop: Header=BB382_13 Depth=1
	v_and_b32_e32 v148, 0xffff, v148
	v_mov_b32_e32 v28, 0x7f800001
	s_mov_b32 s23, exec_lo
	s_delay_alu instid0(VALU_DEP_2) | instskip(NEXT) | instid1(VALU_DEP_1)
	v_and_b32_e32 v149, 0x7f, v148
	v_cmpx_ne_u32_e32 0x7f, v149
	s_cbranch_execz .LBB382_226
; %bb.223:                              ;   in Loop: Header=BB382_13 Depth=1
	v_and_b32_e32 v28, 7, v148
	v_lshrrev_b32_e32 v148, 3, v149
	s_mov_b32 s24, exec_lo
	v_cmpx_gt_u32_e32 8, v149
; %bb.224:                              ;   in Loop: Header=BB382_13 Depth=1
	s_delay_alu instid0(VALU_DEP_3) | instskip(NEXT) | instid1(VALU_DEP_1)
	v_clz_i32_u32_e32 v148, v28
	v_min_u32_e32 v148, 32, v148
	s_delay_alu instid0(VALU_DEP_1) | instskip(SKIP_1) | instid1(VALU_DEP_2)
	v_subrev_nc_u32_e32 v149, 28, v148
	v_sub_nc_u32_e32 v148, 29, v148
	v_lshlrev_b64 v[149:150], v149, v[28:29]
	s_delay_alu instid0(VALU_DEP_1)
	v_and_b32_e32 v28, 7, v149
; %bb.225:                              ;   in Loop: Header=BB382_13 Depth=1
	s_or_b32 exec_lo, exec_lo, s24
	v_lshlrev_b32_e32 v147, 16, v147
	s_delay_alu instid0(VALU_DEP_2) | instskip(SKIP_1) | instid1(VALU_DEP_3)
	v_lshlrev_b32_e32 v28, 20, v28
	v_lshl_add_u32 v148, v148, 23, 0x3c000000
	v_and_b32_e32 v147, 0x80000000, v147
	s_delay_alu instid0(VALU_DEP_1)
	v_or3_b32 v28, v28, v147, v148
.LBB382_226:                            ;   in Loop: Header=BB382_13 Depth=1
	s_or_b32 exec_lo, exec_lo, s23
.LBB382_227:                            ;   in Loop: Header=BB382_13 Depth=1
	s_delay_alu instid0(SALU_CYCLE_1)
	s_or_b32 exec_lo, exec_lo, s22
.LBB382_228:                            ;   in Loop: Header=BB382_13 Depth=1
	s_delay_alu instid0(SALU_CYCLE_1) | instskip(NEXT) | instid1(VALU_DEP_1)
	s_or_b32 exec_lo, exec_lo, s21
	v_mul_f32_e32 v28, v113, v28
	s_delay_alu instid0(VALU_DEP_1) | instskip(NEXT) | instid1(VALU_DEP_1)
	v_and_b32_e32 v147, 0x7f800000, v28
	v_cmp_ne_u32_e64 s3, 0x7f800000, v147
                                        ; implicit-def: $vgpr147
	s_delay_alu instid0(VALU_DEP_1) | instskip(NEXT) | instid1(SALU_CYCLE_1)
	s_and_saveexec_b32 s21, s3
	s_xor_b32 s3, exec_lo, s21
; %bb.229:                              ;   in Loop: Header=BB382_13 Depth=1
	v_bfe_u32 v147, v28, 16, 1
	s_delay_alu instid0(VALU_DEP_1)
	v_add3_u32 v147, v28, v147, 0x7fff
                                        ; implicit-def: $vgpr28
; %bb.230:                              ;   in Loop: Header=BB382_13 Depth=1
	s_and_not1_saveexec_b32 s21, s3
; %bb.231:                              ;   in Loop: Header=BB382_13 Depth=1
	v_and_b32_e32 v147, 0xffff, v28
	v_or_b32_e32 v148, 0x10000, v28
	s_delay_alu instid0(VALU_DEP_2) | instskip(NEXT) | instid1(VALU_DEP_1)
	v_cmp_eq_u32_e64 s3, 0, v147
	v_cndmask_b32_e64 v147, v148, v28, s3
; %bb.232:                              ;   in Loop: Header=BB382_13 Depth=1
	s_or_b32 exec_lo, exec_lo, s21
	flat_load_u16 v28, v[64:65] offset:520
	s_mov_b32 s21, exec_lo
	s_waitcnt vmcnt(0) lgkmcnt(0)
	v_and_b32_e32 v148, 0xff, v28
	v_dual_mov_b32 v28, 0 :: v_dual_and_b32 v149, 0xffff, v28
	s_delay_alu instid0(VALU_DEP_2)
	v_cmpx_ne_u16_e64 0, v148
	s_cbranch_execz .LBB382_240
; %bb.233:                              ;   in Loop: Header=BB382_13 Depth=1
	s_delay_alu instid0(VALU_DEP_2) | instskip(NEXT) | instid1(VALU_DEP_1)
	v_and_b32_e32 v28, 0xff, v149
	v_cmp_ne_u16_e64 s3, 0x80, v28
	v_bfrev_b32_e32 v28, 1
	s_delay_alu instid0(VALU_DEP_2)
	s_and_saveexec_b32 s22, s3
	s_cbranch_execz .LBB382_239
; %bb.234:                              ;   in Loop: Header=BB382_13 Depth=1
	v_and_b32_e32 v150, 0x7f, v149
	v_mov_b32_e32 v28, 0x7f800001
	s_mov_b32 s23, exec_lo
	s_delay_alu instid0(VALU_DEP_2)
	v_cmpx_ne_u32_e32 0x7f, v150
	s_cbranch_execz .LBB382_238
; %bb.235:                              ;   in Loop: Header=BB382_13 Depth=1
	v_and_b32_e32 v28, 7, v149
	v_lshrrev_b32_e32 v148, 3, v150
	s_mov_b32 s24, exec_lo
	v_cmpx_gt_u32_e32 8, v150
; %bb.236:                              ;   in Loop: Header=BB382_13 Depth=1
	s_delay_alu instid0(VALU_DEP_3) | instskip(NEXT) | instid1(VALU_DEP_1)
	v_clz_i32_u32_e32 v148, v28
	v_min_u32_e32 v148, 32, v148
	s_delay_alu instid0(VALU_DEP_1) | instskip(SKIP_1) | instid1(VALU_DEP_2)
	v_subrev_nc_u32_e32 v150, 28, v148
	v_sub_nc_u32_e32 v148, 29, v148
	v_lshlrev_b64 v[150:151], v150, v[28:29]
	s_delay_alu instid0(VALU_DEP_1)
	v_and_b32_e32 v28, 7, v150
; %bb.237:                              ;   in Loop: Header=BB382_13 Depth=1
	s_or_b32 exec_lo, exec_lo, s24
	v_lshlrev_b32_e32 v150, 24, v149
	s_delay_alu instid0(VALU_DEP_2) | instskip(SKIP_1) | instid1(VALU_DEP_3)
	v_lshlrev_b32_e32 v28, 20, v28
	v_lshl_add_u32 v148, v148, 23, 0x3c000000
	v_and_b32_e32 v150, 0x80000000, v150
	s_delay_alu instid0(VALU_DEP_1)
	v_or3_b32 v28, v28, v150, v148
.LBB382_238:                            ;   in Loop: Header=BB382_13 Depth=1
	s_or_b32 exec_lo, exec_lo, s23
.LBB382_239:                            ;   in Loop: Header=BB382_13 Depth=1
	s_delay_alu instid0(SALU_CYCLE_1)
	s_or_b32 exec_lo, exec_lo, s22
.LBB382_240:                            ;   in Loop: Header=BB382_13 Depth=1
	s_delay_alu instid0(SALU_CYCLE_1) | instskip(NEXT) | instid1(VALU_DEP_1)
	s_or_b32 exec_lo, exec_lo, s21
	v_mul_f32_e32 v28, v113, v28
	s_delay_alu instid0(VALU_DEP_1) | instskip(NEXT) | instid1(VALU_DEP_1)
	v_and_b32_e32 v148, 0x7f800000, v28
	v_cmp_ne_u32_e64 s3, 0x7f800000, v148
                                        ; implicit-def: $vgpr148
	s_delay_alu instid0(VALU_DEP_1) | instskip(NEXT) | instid1(SALU_CYCLE_1)
	s_and_saveexec_b32 s21, s3
	s_xor_b32 s3, exec_lo, s21
; %bb.241:                              ;   in Loop: Header=BB382_13 Depth=1
	v_bfe_u32 v148, v28, 16, 1
	s_delay_alu instid0(VALU_DEP_1)
	v_add3_u32 v148, v28, v148, 0x7fff
                                        ; implicit-def: $vgpr28
; %bb.242:                              ;   in Loop: Header=BB382_13 Depth=1
	s_and_not1_saveexec_b32 s21, s3
; %bb.243:                              ;   in Loop: Header=BB382_13 Depth=1
	v_and_b32_e32 v148, 0xffff, v28
	v_or_b32_e32 v150, 0x10000, v28
	s_delay_alu instid0(VALU_DEP_2) | instskip(NEXT) | instid1(VALU_DEP_1)
	v_cmp_eq_u32_e64 s3, 0, v148
	v_cndmask_b32_e64 v148, v150, v28, s3
; %bb.244:                              ;   in Loop: Header=BB382_13 Depth=1
	s_or_b32 exec_lo, exec_lo, s21
	v_lshrrev_b16 v150, 8, v149
	v_mov_b32_e32 v28, 0
	s_mov_b32 s21, exec_lo
	s_delay_alu instid0(VALU_DEP_2)
	v_cmpx_ne_u16_e64 0, v150
	s_cbranch_execz .LBB382_252
; %bb.245:                              ;   in Loop: Header=BB382_13 Depth=1
	v_bfrev_b32_e32 v28, 1
	s_mov_b32 s22, exec_lo
	v_cmpx_ne_u16_e64 0x80, v150
	s_cbranch_execz .LBB382_251
; %bb.246:                              ;   in Loop: Header=BB382_13 Depth=1
	v_and_b32_e32 v150, 0xffff, v150
	v_mov_b32_e32 v28, 0x7f800001
	s_mov_b32 s23, exec_lo
	s_delay_alu instid0(VALU_DEP_2) | instskip(NEXT) | instid1(VALU_DEP_1)
	v_and_b32_e32 v151, 0x7f, v150
	v_cmpx_ne_u32_e32 0x7f, v151
	s_cbranch_execz .LBB382_250
; %bb.247:                              ;   in Loop: Header=BB382_13 Depth=1
	v_and_b32_e32 v28, 7, v150
	v_lshrrev_b32_e32 v150, 3, v151
	s_mov_b32 s24, exec_lo
	v_cmpx_gt_u32_e32 8, v151
; %bb.248:                              ;   in Loop: Header=BB382_13 Depth=1
	s_delay_alu instid0(VALU_DEP_3) | instskip(NEXT) | instid1(VALU_DEP_1)
	v_clz_i32_u32_e32 v150, v28
	v_min_u32_e32 v150, 32, v150
	s_delay_alu instid0(VALU_DEP_1) | instskip(SKIP_1) | instid1(VALU_DEP_2)
	v_subrev_nc_u32_e32 v151, 28, v150
	v_sub_nc_u32_e32 v150, 29, v150
	v_lshlrev_b64 v[160:161], v151, v[28:29]
	s_delay_alu instid0(VALU_DEP_1)
	v_and_b32_e32 v28, 7, v160
; %bb.249:                              ;   in Loop: Header=BB382_13 Depth=1
	s_or_b32 exec_lo, exec_lo, s24
	v_lshlrev_b32_e32 v149, 16, v149
	s_delay_alu instid0(VALU_DEP_2) | instskip(SKIP_1) | instid1(VALU_DEP_3)
	v_lshlrev_b32_e32 v28, 20, v28
	v_lshl_add_u32 v150, v150, 23, 0x3c000000
	v_and_b32_e32 v149, 0x80000000, v149
	s_delay_alu instid0(VALU_DEP_1)
	v_or3_b32 v28, v28, v149, v150
.LBB382_250:                            ;   in Loop: Header=BB382_13 Depth=1
	s_or_b32 exec_lo, exec_lo, s23
.LBB382_251:                            ;   in Loop: Header=BB382_13 Depth=1
	s_delay_alu instid0(SALU_CYCLE_1)
	s_or_b32 exec_lo, exec_lo, s22
.LBB382_252:                            ;   in Loop: Header=BB382_13 Depth=1
	s_delay_alu instid0(SALU_CYCLE_1) | instskip(NEXT) | instid1(VALU_DEP_1)
	s_or_b32 exec_lo, exec_lo, s21
	v_mul_f32_e32 v28, v113, v28
                                        ; implicit-def: $vgpr150
	s_delay_alu instid0(VALU_DEP_1) | instskip(NEXT) | instid1(VALU_DEP_1)
	v_and_b32_e32 v149, 0x7f800000, v28
	v_cmp_ne_u32_e64 s3, 0x7f800000, v149
	s_delay_alu instid0(VALU_DEP_1) | instskip(NEXT) | instid1(SALU_CYCLE_1)
	s_and_saveexec_b32 s21, s3
	s_xor_b32 s3, exec_lo, s21
; %bb.253:                              ;   in Loop: Header=BB382_13 Depth=1
	v_bfe_u32 v149, v28, 16, 1
	s_delay_alu instid0(VALU_DEP_1)
	v_add3_u32 v150, v28, v149, 0x7fff
                                        ; implicit-def: $vgpr28
; %bb.254:                              ;   in Loop: Header=BB382_13 Depth=1
	s_and_not1_saveexec_b32 s21, s3
; %bb.255:                              ;   in Loop: Header=BB382_13 Depth=1
	v_and_b32_e32 v149, 0xffff, v28
	v_or_b32_e32 v150, 0x10000, v28
	s_delay_alu instid0(VALU_DEP_2) | instskip(NEXT) | instid1(VALU_DEP_1)
	v_cmp_eq_u32_e64 s3, 0, v149
	v_cndmask_b32_e64 v150, v150, v28, s3
; %bb.256:                              ;   in Loop: Header=BB382_13 Depth=1
	s_or_b32 exec_lo, exec_lo, s21
	flat_load_u16 v28, v[64:65] offset:640
	s_mov_b32 s21, exec_lo
	s_waitcnt vmcnt(0) lgkmcnt(0)
	v_and_b32_e32 v149, 0xff, v28
	v_dual_mov_b32 v28, 0 :: v_dual_and_b32 v151, 0xffff, v28
	s_delay_alu instid0(VALU_DEP_2)
	v_cmpx_ne_u16_e64 0, v149
	s_cbranch_execz .LBB382_264
; %bb.257:                              ;   in Loop: Header=BB382_13 Depth=1
	s_delay_alu instid0(VALU_DEP_2) | instskip(NEXT) | instid1(VALU_DEP_1)
	v_and_b32_e32 v28, 0xff, v151
	v_cmp_ne_u16_e64 s3, 0x80, v28
	v_bfrev_b32_e32 v28, 1
	s_delay_alu instid0(VALU_DEP_2)
	s_and_saveexec_b32 s22, s3
	s_cbranch_execz .LBB382_263
; %bb.258:                              ;   in Loop: Header=BB382_13 Depth=1
	v_and_b32_e32 v160, 0x7f, v151
	v_mov_b32_e32 v28, 0x7f800001
	s_mov_b32 s23, exec_lo
	s_delay_alu instid0(VALU_DEP_2)
	v_cmpx_ne_u32_e32 0x7f, v160
	s_cbranch_execz .LBB382_262
; %bb.259:                              ;   in Loop: Header=BB382_13 Depth=1
	v_and_b32_e32 v28, 7, v151
	v_lshrrev_b32_e32 v149, 3, v160
	s_mov_b32 s24, exec_lo
	v_cmpx_gt_u32_e32 8, v160
; %bb.260:                              ;   in Loop: Header=BB382_13 Depth=1
	s_delay_alu instid0(VALU_DEP_3) | instskip(NEXT) | instid1(VALU_DEP_1)
	v_clz_i32_u32_e32 v149, v28
	v_min_u32_e32 v149, 32, v149
	s_delay_alu instid0(VALU_DEP_1) | instskip(SKIP_1) | instid1(VALU_DEP_2)
	v_subrev_nc_u32_e32 v160, 28, v149
	v_sub_nc_u32_e32 v149, 29, v149
	v_lshlrev_b64 v[160:161], v160, v[28:29]
	s_delay_alu instid0(VALU_DEP_1)
	v_and_b32_e32 v28, 7, v160
; %bb.261:                              ;   in Loop: Header=BB382_13 Depth=1
	s_or_b32 exec_lo, exec_lo, s24
	v_lshlrev_b32_e32 v160, 24, v151
	s_delay_alu instid0(VALU_DEP_2) | instskip(SKIP_1) | instid1(VALU_DEP_3)
	v_lshlrev_b32_e32 v28, 20, v28
	v_lshl_add_u32 v149, v149, 23, 0x3c000000
	v_and_b32_e32 v160, 0x80000000, v160
	s_delay_alu instid0(VALU_DEP_1)
	v_or3_b32 v28, v28, v160, v149
.LBB382_262:                            ;   in Loop: Header=BB382_13 Depth=1
	s_or_b32 exec_lo, exec_lo, s23
.LBB382_263:                            ;   in Loop: Header=BB382_13 Depth=1
	s_delay_alu instid0(SALU_CYCLE_1)
	s_or_b32 exec_lo, exec_lo, s22
.LBB382_264:                            ;   in Loop: Header=BB382_13 Depth=1
	s_delay_alu instid0(SALU_CYCLE_1) | instskip(NEXT) | instid1(VALU_DEP_1)
	s_or_b32 exec_lo, exec_lo, s21
	v_mul_f32_e32 v28, v113, v28
	s_delay_alu instid0(VALU_DEP_1) | instskip(NEXT) | instid1(VALU_DEP_1)
	v_and_b32_e32 v149, 0x7f800000, v28
	v_cmp_ne_u32_e64 s3, 0x7f800000, v149
                                        ; implicit-def: $vgpr149
	s_delay_alu instid0(VALU_DEP_1) | instskip(NEXT) | instid1(SALU_CYCLE_1)
	s_and_saveexec_b32 s21, s3
	s_xor_b32 s3, exec_lo, s21
; %bb.265:                              ;   in Loop: Header=BB382_13 Depth=1
	v_bfe_u32 v149, v28, 16, 1
	s_delay_alu instid0(VALU_DEP_1)
	v_add3_u32 v149, v28, v149, 0x7fff
                                        ; implicit-def: $vgpr28
; %bb.266:                              ;   in Loop: Header=BB382_13 Depth=1
	s_and_not1_saveexec_b32 s21, s3
; %bb.267:                              ;   in Loop: Header=BB382_13 Depth=1
	v_and_b32_e32 v149, 0xffff, v28
	v_or_b32_e32 v160, 0x10000, v28
	s_delay_alu instid0(VALU_DEP_2) | instskip(NEXT) | instid1(VALU_DEP_1)
	v_cmp_eq_u32_e64 s3, 0, v149
	v_cndmask_b32_e64 v149, v160, v28, s3
; %bb.268:                              ;   in Loop: Header=BB382_13 Depth=1
	s_or_b32 exec_lo, exec_lo, s21
	v_lshrrev_b16 v160, 8, v151
	v_mov_b32_e32 v28, 0
	s_mov_b32 s21, exec_lo
	s_delay_alu instid0(VALU_DEP_2)
	v_cmpx_ne_u16_e64 0, v160
	s_cbranch_execz .LBB382_276
; %bb.269:                              ;   in Loop: Header=BB382_13 Depth=1
	v_bfrev_b32_e32 v28, 1
	s_mov_b32 s22, exec_lo
	v_cmpx_ne_u16_e64 0x80, v160
	s_cbranch_execz .LBB382_275
; %bb.270:                              ;   in Loop: Header=BB382_13 Depth=1
	v_and_b32_e32 v160, 0xffff, v160
	v_mov_b32_e32 v28, 0x7f800001
	s_mov_b32 s23, exec_lo
	s_delay_alu instid0(VALU_DEP_2) | instskip(NEXT) | instid1(VALU_DEP_1)
	v_and_b32_e32 v161, 0x7f, v160
	v_cmpx_ne_u32_e32 0x7f, v161
	s_cbranch_execz .LBB382_274
; %bb.271:                              ;   in Loop: Header=BB382_13 Depth=1
	v_and_b32_e32 v28, 7, v160
	v_lshrrev_b32_e32 v160, 3, v161
	s_mov_b32 s24, exec_lo
	v_cmpx_gt_u32_e32 8, v161
; %bb.272:                              ;   in Loop: Header=BB382_13 Depth=1
	s_delay_alu instid0(VALU_DEP_3) | instskip(NEXT) | instid1(VALU_DEP_1)
	v_clz_i32_u32_e32 v160, v28
	v_min_u32_e32 v160, 32, v160
	s_delay_alu instid0(VALU_DEP_1) | instskip(SKIP_1) | instid1(VALU_DEP_2)
	v_subrev_nc_u32_e32 v161, 28, v160
	v_sub_nc_u32_e32 v160, 29, v160
	v_lshlrev_b64 v[161:162], v161, v[28:29]
	s_delay_alu instid0(VALU_DEP_1)
	v_and_b32_e32 v28, 7, v161
; %bb.273:                              ;   in Loop: Header=BB382_13 Depth=1
	s_or_b32 exec_lo, exec_lo, s24
	v_lshlrev_b32_e32 v151, 16, v151
	s_delay_alu instid0(VALU_DEP_2) | instskip(SKIP_1) | instid1(VALU_DEP_3)
	v_lshlrev_b32_e32 v28, 20, v28
	v_lshl_add_u32 v160, v160, 23, 0x3c000000
	v_and_b32_e32 v151, 0x80000000, v151
	s_delay_alu instid0(VALU_DEP_1)
	v_or3_b32 v28, v28, v151, v160
.LBB382_274:                            ;   in Loop: Header=BB382_13 Depth=1
	s_or_b32 exec_lo, exec_lo, s23
.LBB382_275:                            ;   in Loop: Header=BB382_13 Depth=1
	s_delay_alu instid0(SALU_CYCLE_1)
	s_or_b32 exec_lo, exec_lo, s22
.LBB382_276:                            ;   in Loop: Header=BB382_13 Depth=1
	s_delay_alu instid0(SALU_CYCLE_1) | instskip(NEXT) | instid1(VALU_DEP_1)
	s_or_b32 exec_lo, exec_lo, s21
	v_mul_f32_e32 v28, v113, v28
                                        ; implicit-def: $vgpr160
	s_delay_alu instid0(VALU_DEP_1) | instskip(NEXT) | instid1(VALU_DEP_1)
	v_and_b32_e32 v151, 0x7f800000, v28
	v_cmp_ne_u32_e64 s3, 0x7f800000, v151
	s_delay_alu instid0(VALU_DEP_1) | instskip(NEXT) | instid1(SALU_CYCLE_1)
	s_and_saveexec_b32 s21, s3
	s_xor_b32 s3, exec_lo, s21
; %bb.277:                              ;   in Loop: Header=BB382_13 Depth=1
	v_bfe_u32 v151, v28, 16, 1
	s_delay_alu instid0(VALU_DEP_1)
	v_add3_u32 v160, v28, v151, 0x7fff
                                        ; implicit-def: $vgpr28
; %bb.278:                              ;   in Loop: Header=BB382_13 Depth=1
	s_and_not1_saveexec_b32 s21, s3
; %bb.279:                              ;   in Loop: Header=BB382_13 Depth=1
	v_and_b32_e32 v151, 0xffff, v28
	v_or_b32_e32 v160, 0x10000, v28
	s_delay_alu instid0(VALU_DEP_2) | instskip(NEXT) | instid1(VALU_DEP_1)
	v_cmp_eq_u32_e64 s3, 0, v151
	v_cndmask_b32_e64 v160, v160, v28, s3
; %bb.280:                              ;   in Loop: Header=BB382_13 Depth=1
	s_or_b32 exec_lo, exec_lo, s21
	flat_load_u16 v28, v[64:65] offset:648
	s_mov_b32 s21, exec_lo
	s_waitcnt vmcnt(0) lgkmcnt(0)
	v_and_b32_e32 v151, 0xff, v28
	v_dual_mov_b32 v28, 0 :: v_dual_and_b32 v161, 0xffff, v28
	s_delay_alu instid0(VALU_DEP_2)
	v_cmpx_ne_u16_e64 0, v151
	s_cbranch_execz .LBB382_288
; %bb.281:                              ;   in Loop: Header=BB382_13 Depth=1
	s_delay_alu instid0(VALU_DEP_2) | instskip(NEXT) | instid1(VALU_DEP_1)
	v_and_b32_e32 v28, 0xff, v161
	v_cmp_ne_u16_e64 s3, 0x80, v28
	v_bfrev_b32_e32 v28, 1
	s_delay_alu instid0(VALU_DEP_2)
	s_and_saveexec_b32 s22, s3
	s_cbranch_execz .LBB382_287
; %bb.282:                              ;   in Loop: Header=BB382_13 Depth=1
	v_and_b32_e32 v162, 0x7f, v161
	v_mov_b32_e32 v28, 0x7f800001
	s_mov_b32 s23, exec_lo
	s_delay_alu instid0(VALU_DEP_2)
	v_cmpx_ne_u32_e32 0x7f, v162
	s_cbranch_execz .LBB382_286
; %bb.283:                              ;   in Loop: Header=BB382_13 Depth=1
	v_and_b32_e32 v28, 7, v161
	v_lshrrev_b32_e32 v151, 3, v162
	s_mov_b32 s24, exec_lo
	v_cmpx_gt_u32_e32 8, v162
; %bb.284:                              ;   in Loop: Header=BB382_13 Depth=1
	s_delay_alu instid0(VALU_DEP_3) | instskip(NEXT) | instid1(VALU_DEP_1)
	v_clz_i32_u32_e32 v151, v28
	v_min_u32_e32 v151, 32, v151
	s_delay_alu instid0(VALU_DEP_1) | instskip(SKIP_1) | instid1(VALU_DEP_2)
	v_subrev_nc_u32_e32 v162, 28, v151
	v_sub_nc_u32_e32 v151, 29, v151
	v_lshlrev_b64 v[162:163], v162, v[28:29]
	s_delay_alu instid0(VALU_DEP_1)
	v_and_b32_e32 v28, 7, v162
; %bb.285:                              ;   in Loop: Header=BB382_13 Depth=1
	s_or_b32 exec_lo, exec_lo, s24
	v_lshlrev_b32_e32 v162, 24, v161
	s_delay_alu instid0(VALU_DEP_2) | instskip(SKIP_1) | instid1(VALU_DEP_3)
	v_lshlrev_b32_e32 v28, 20, v28
	v_lshl_add_u32 v151, v151, 23, 0x3c000000
	v_and_b32_e32 v162, 0x80000000, v162
	s_delay_alu instid0(VALU_DEP_1)
	v_or3_b32 v28, v28, v162, v151
.LBB382_286:                            ;   in Loop: Header=BB382_13 Depth=1
	s_or_b32 exec_lo, exec_lo, s23
.LBB382_287:                            ;   in Loop: Header=BB382_13 Depth=1
	s_delay_alu instid0(SALU_CYCLE_1)
	s_or_b32 exec_lo, exec_lo, s22
.LBB382_288:                            ;   in Loop: Header=BB382_13 Depth=1
	s_delay_alu instid0(SALU_CYCLE_1) | instskip(NEXT) | instid1(VALU_DEP_1)
	s_or_b32 exec_lo, exec_lo, s21
	v_mul_f32_e32 v28, v113, v28
	s_delay_alu instid0(VALU_DEP_1) | instskip(NEXT) | instid1(VALU_DEP_1)
	v_and_b32_e32 v151, 0x7f800000, v28
	v_cmp_ne_u32_e64 s3, 0x7f800000, v151
                                        ; implicit-def: $vgpr151
	s_delay_alu instid0(VALU_DEP_1) | instskip(NEXT) | instid1(SALU_CYCLE_1)
	s_and_saveexec_b32 s21, s3
	s_xor_b32 s3, exec_lo, s21
; %bb.289:                              ;   in Loop: Header=BB382_13 Depth=1
	v_bfe_u32 v151, v28, 16, 1
	s_delay_alu instid0(VALU_DEP_1)
	v_add3_u32 v151, v28, v151, 0x7fff
                                        ; implicit-def: $vgpr28
; %bb.290:                              ;   in Loop: Header=BB382_13 Depth=1
	s_and_not1_saveexec_b32 s21, s3
; %bb.291:                              ;   in Loop: Header=BB382_13 Depth=1
	v_and_b32_e32 v151, 0xffff, v28
	v_or_b32_e32 v162, 0x10000, v28
	s_delay_alu instid0(VALU_DEP_2) | instskip(NEXT) | instid1(VALU_DEP_1)
	v_cmp_eq_u32_e64 s3, 0, v151
	v_cndmask_b32_e64 v151, v162, v28, s3
; %bb.292:                              ;   in Loop: Header=BB382_13 Depth=1
	s_or_b32 exec_lo, exec_lo, s21
	v_lshrrev_b16 v162, 8, v161
	v_mov_b32_e32 v28, 0
	s_mov_b32 s21, exec_lo
	s_delay_alu instid0(VALU_DEP_2)
	v_cmpx_ne_u16_e64 0, v162
	s_cbranch_execz .LBB382_300
; %bb.293:                              ;   in Loop: Header=BB382_13 Depth=1
	v_bfrev_b32_e32 v28, 1
	s_mov_b32 s22, exec_lo
	v_cmpx_ne_u16_e64 0x80, v162
	s_cbranch_execz .LBB382_299
; %bb.294:                              ;   in Loop: Header=BB382_13 Depth=1
	v_and_b32_e32 v162, 0xffff, v162
	v_mov_b32_e32 v28, 0x7f800001
	s_mov_b32 s23, exec_lo
	s_delay_alu instid0(VALU_DEP_2) | instskip(NEXT) | instid1(VALU_DEP_1)
	v_and_b32_e32 v163, 0x7f, v162
	v_cmpx_ne_u32_e32 0x7f, v163
	s_cbranch_execz .LBB382_298
; %bb.295:                              ;   in Loop: Header=BB382_13 Depth=1
	v_and_b32_e32 v28, 7, v162
	v_lshrrev_b32_e32 v162, 3, v163
	s_mov_b32 s24, exec_lo
	v_cmpx_gt_u32_e32 8, v163
; %bb.296:                              ;   in Loop: Header=BB382_13 Depth=1
	s_delay_alu instid0(VALU_DEP_3) | instskip(NEXT) | instid1(VALU_DEP_1)
	v_clz_i32_u32_e32 v162, v28
	v_min_u32_e32 v162, 32, v162
	s_delay_alu instid0(VALU_DEP_1) | instskip(SKIP_1) | instid1(VALU_DEP_2)
	v_subrev_nc_u32_e32 v163, 28, v162
	v_sub_nc_u32_e32 v162, 29, v162
	v_lshlrev_b64 v[163:164], v163, v[28:29]
	s_delay_alu instid0(VALU_DEP_1)
	v_and_b32_e32 v28, 7, v163
; %bb.297:                              ;   in Loop: Header=BB382_13 Depth=1
	s_or_b32 exec_lo, exec_lo, s24
	v_lshlrev_b32_e32 v161, 16, v161
	s_delay_alu instid0(VALU_DEP_2) | instskip(SKIP_1) | instid1(VALU_DEP_3)
	v_lshlrev_b32_e32 v28, 20, v28
	v_lshl_add_u32 v162, v162, 23, 0x3c000000
	v_and_b32_e32 v161, 0x80000000, v161
	s_delay_alu instid0(VALU_DEP_1)
	v_or3_b32 v28, v28, v161, v162
.LBB382_298:                            ;   in Loop: Header=BB382_13 Depth=1
	s_or_b32 exec_lo, exec_lo, s23
.LBB382_299:                            ;   in Loop: Header=BB382_13 Depth=1
	s_delay_alu instid0(SALU_CYCLE_1)
	s_or_b32 exec_lo, exec_lo, s22
.LBB382_300:                            ;   in Loop: Header=BB382_13 Depth=1
	s_delay_alu instid0(SALU_CYCLE_1) | instskip(NEXT) | instid1(VALU_DEP_1)
	s_or_b32 exec_lo, exec_lo, s21
	v_mul_f32_e32 v28, v113, v28
                                        ; implicit-def: $vgpr162
	s_delay_alu instid0(VALU_DEP_1) | instskip(NEXT) | instid1(VALU_DEP_1)
	v_and_b32_e32 v161, 0x7f800000, v28
	v_cmp_ne_u32_e64 s3, 0x7f800000, v161
	s_delay_alu instid0(VALU_DEP_1) | instskip(NEXT) | instid1(SALU_CYCLE_1)
	s_and_saveexec_b32 s21, s3
	s_xor_b32 s3, exec_lo, s21
; %bb.301:                              ;   in Loop: Header=BB382_13 Depth=1
	v_bfe_u32 v161, v28, 16, 1
	s_delay_alu instid0(VALU_DEP_1)
	v_add3_u32 v162, v28, v161, 0x7fff
                                        ; implicit-def: $vgpr28
; %bb.302:                              ;   in Loop: Header=BB382_13 Depth=1
	s_and_not1_saveexec_b32 s21, s3
; %bb.303:                              ;   in Loop: Header=BB382_13 Depth=1
	v_and_b32_e32 v161, 0xffff, v28
	v_or_b32_e32 v162, 0x10000, v28
	s_delay_alu instid0(VALU_DEP_2) | instskip(NEXT) | instid1(VALU_DEP_1)
	v_cmp_eq_u32_e64 s3, 0, v161
	v_cndmask_b32_e64 v162, v162, v28, s3
; %bb.304:                              ;   in Loop: Header=BB382_13 Depth=1
	s_or_b32 exec_lo, exec_lo, s21
	flat_load_u16 v28, v[64:65] offset:768
	s_mov_b32 s21, exec_lo
	s_waitcnt vmcnt(0) lgkmcnt(0)
	v_and_b32_e32 v161, 0xff, v28
	v_dual_mov_b32 v28, 0 :: v_dual_and_b32 v163, 0xffff, v28
	s_delay_alu instid0(VALU_DEP_2)
	v_cmpx_ne_u16_e64 0, v161
	s_cbranch_execz .LBB382_312
; %bb.305:                              ;   in Loop: Header=BB382_13 Depth=1
	s_delay_alu instid0(VALU_DEP_2) | instskip(NEXT) | instid1(VALU_DEP_1)
	v_and_b32_e32 v28, 0xff, v163
	v_cmp_ne_u16_e64 s3, 0x80, v28
	v_bfrev_b32_e32 v28, 1
	s_delay_alu instid0(VALU_DEP_2)
	s_and_saveexec_b32 s22, s3
	s_cbranch_execz .LBB382_311
; %bb.306:                              ;   in Loop: Header=BB382_13 Depth=1
	v_and_b32_e32 v164, 0x7f, v163
	v_mov_b32_e32 v28, 0x7f800001
	s_mov_b32 s23, exec_lo
	s_delay_alu instid0(VALU_DEP_2)
	v_cmpx_ne_u32_e32 0x7f, v164
	s_cbranch_execz .LBB382_310
; %bb.307:                              ;   in Loop: Header=BB382_13 Depth=1
	v_and_b32_e32 v28, 7, v163
	v_lshrrev_b32_e32 v161, 3, v164
	s_mov_b32 s24, exec_lo
	v_cmpx_gt_u32_e32 8, v164
; %bb.308:                              ;   in Loop: Header=BB382_13 Depth=1
	s_delay_alu instid0(VALU_DEP_3) | instskip(NEXT) | instid1(VALU_DEP_1)
	v_clz_i32_u32_e32 v161, v28
	v_min_u32_e32 v161, 32, v161
	s_delay_alu instid0(VALU_DEP_1) | instskip(SKIP_1) | instid1(VALU_DEP_2)
	v_subrev_nc_u32_e32 v164, 28, v161
	v_sub_nc_u32_e32 v161, 29, v161
	v_lshlrev_b64 v[164:165], v164, v[28:29]
	s_delay_alu instid0(VALU_DEP_1)
	v_and_b32_e32 v28, 7, v164
; %bb.309:                              ;   in Loop: Header=BB382_13 Depth=1
	s_or_b32 exec_lo, exec_lo, s24
	v_lshlrev_b32_e32 v164, 24, v163
	s_delay_alu instid0(VALU_DEP_2) | instskip(SKIP_1) | instid1(VALU_DEP_3)
	v_lshlrev_b32_e32 v28, 20, v28
	v_lshl_add_u32 v161, v161, 23, 0x3c000000
	v_and_b32_e32 v164, 0x80000000, v164
	s_delay_alu instid0(VALU_DEP_1)
	v_or3_b32 v28, v28, v164, v161
.LBB382_310:                            ;   in Loop: Header=BB382_13 Depth=1
	s_or_b32 exec_lo, exec_lo, s23
.LBB382_311:                            ;   in Loop: Header=BB382_13 Depth=1
	s_delay_alu instid0(SALU_CYCLE_1)
	s_or_b32 exec_lo, exec_lo, s22
.LBB382_312:                            ;   in Loop: Header=BB382_13 Depth=1
	s_delay_alu instid0(SALU_CYCLE_1) | instskip(NEXT) | instid1(VALU_DEP_1)
	s_or_b32 exec_lo, exec_lo, s21
	v_mul_f32_e32 v28, v113, v28
	s_delay_alu instid0(VALU_DEP_1) | instskip(NEXT) | instid1(VALU_DEP_1)
	v_and_b32_e32 v161, 0x7f800000, v28
	v_cmp_ne_u32_e64 s3, 0x7f800000, v161
                                        ; implicit-def: $vgpr161
	s_delay_alu instid0(VALU_DEP_1) | instskip(NEXT) | instid1(SALU_CYCLE_1)
	s_and_saveexec_b32 s21, s3
	s_xor_b32 s3, exec_lo, s21
; %bb.313:                              ;   in Loop: Header=BB382_13 Depth=1
	v_bfe_u32 v161, v28, 16, 1
	s_delay_alu instid0(VALU_DEP_1)
	v_add3_u32 v161, v28, v161, 0x7fff
                                        ; implicit-def: $vgpr28
; %bb.314:                              ;   in Loop: Header=BB382_13 Depth=1
	s_and_not1_saveexec_b32 s21, s3
; %bb.315:                              ;   in Loop: Header=BB382_13 Depth=1
	v_and_b32_e32 v161, 0xffff, v28
	v_or_b32_e32 v164, 0x10000, v28
	s_delay_alu instid0(VALU_DEP_2) | instskip(NEXT) | instid1(VALU_DEP_1)
	v_cmp_eq_u32_e64 s3, 0, v161
	v_cndmask_b32_e64 v161, v164, v28, s3
; %bb.316:                              ;   in Loop: Header=BB382_13 Depth=1
	s_or_b32 exec_lo, exec_lo, s21
	v_lshrrev_b16 v164, 8, v163
	v_mov_b32_e32 v28, 0
	s_mov_b32 s21, exec_lo
	s_delay_alu instid0(VALU_DEP_2)
	v_cmpx_ne_u16_e64 0, v164
	s_cbranch_execz .LBB382_324
; %bb.317:                              ;   in Loop: Header=BB382_13 Depth=1
	v_bfrev_b32_e32 v28, 1
	s_mov_b32 s22, exec_lo
	v_cmpx_ne_u16_e64 0x80, v164
	s_cbranch_execz .LBB382_323
; %bb.318:                              ;   in Loop: Header=BB382_13 Depth=1
	v_and_b32_e32 v164, 0xffff, v164
	v_mov_b32_e32 v28, 0x7f800001
	s_mov_b32 s23, exec_lo
	s_delay_alu instid0(VALU_DEP_2) | instskip(NEXT) | instid1(VALU_DEP_1)
	v_and_b32_e32 v165, 0x7f, v164
	v_cmpx_ne_u32_e32 0x7f, v165
	s_cbranch_execz .LBB382_322
; %bb.319:                              ;   in Loop: Header=BB382_13 Depth=1
	v_and_b32_e32 v28, 7, v164
	v_lshrrev_b32_e32 v164, 3, v165
	s_mov_b32 s24, exec_lo
	v_cmpx_gt_u32_e32 8, v165
; %bb.320:                              ;   in Loop: Header=BB382_13 Depth=1
	s_delay_alu instid0(VALU_DEP_3) | instskip(NEXT) | instid1(VALU_DEP_1)
	v_clz_i32_u32_e32 v164, v28
	v_min_u32_e32 v164, 32, v164
	s_delay_alu instid0(VALU_DEP_1) | instskip(SKIP_1) | instid1(VALU_DEP_2)
	v_subrev_nc_u32_e32 v165, 28, v164
	v_sub_nc_u32_e32 v164, 29, v164
	v_lshlrev_b64 v[165:166], v165, v[28:29]
	s_delay_alu instid0(VALU_DEP_1)
	v_and_b32_e32 v28, 7, v165
; %bb.321:                              ;   in Loop: Header=BB382_13 Depth=1
	s_or_b32 exec_lo, exec_lo, s24
	v_lshlrev_b32_e32 v163, 16, v163
	s_delay_alu instid0(VALU_DEP_2) | instskip(SKIP_1) | instid1(VALU_DEP_3)
	v_lshlrev_b32_e32 v28, 20, v28
	v_lshl_add_u32 v164, v164, 23, 0x3c000000
	v_and_b32_e32 v163, 0x80000000, v163
	s_delay_alu instid0(VALU_DEP_1)
	v_or3_b32 v28, v28, v163, v164
.LBB382_322:                            ;   in Loop: Header=BB382_13 Depth=1
	s_or_b32 exec_lo, exec_lo, s23
.LBB382_323:                            ;   in Loop: Header=BB382_13 Depth=1
	s_delay_alu instid0(SALU_CYCLE_1)
	s_or_b32 exec_lo, exec_lo, s22
.LBB382_324:                            ;   in Loop: Header=BB382_13 Depth=1
	s_delay_alu instid0(SALU_CYCLE_1) | instskip(NEXT) | instid1(VALU_DEP_1)
	s_or_b32 exec_lo, exec_lo, s21
	v_mul_f32_e32 v28, v113, v28
                                        ; implicit-def: $vgpr164
	s_delay_alu instid0(VALU_DEP_1) | instskip(NEXT) | instid1(VALU_DEP_1)
	v_and_b32_e32 v163, 0x7f800000, v28
	v_cmp_ne_u32_e64 s3, 0x7f800000, v163
	s_delay_alu instid0(VALU_DEP_1) | instskip(NEXT) | instid1(SALU_CYCLE_1)
	s_and_saveexec_b32 s21, s3
	s_xor_b32 s3, exec_lo, s21
; %bb.325:                              ;   in Loop: Header=BB382_13 Depth=1
	v_bfe_u32 v163, v28, 16, 1
	s_delay_alu instid0(VALU_DEP_1)
	v_add3_u32 v164, v28, v163, 0x7fff
                                        ; implicit-def: $vgpr28
; %bb.326:                              ;   in Loop: Header=BB382_13 Depth=1
	s_and_not1_saveexec_b32 s21, s3
; %bb.327:                              ;   in Loop: Header=BB382_13 Depth=1
	v_and_b32_e32 v163, 0xffff, v28
	v_or_b32_e32 v164, 0x10000, v28
	s_delay_alu instid0(VALU_DEP_2) | instskip(NEXT) | instid1(VALU_DEP_1)
	v_cmp_eq_u32_e64 s3, 0, v163
	v_cndmask_b32_e64 v164, v164, v28, s3
; %bb.328:                              ;   in Loop: Header=BB382_13 Depth=1
	s_or_b32 exec_lo, exec_lo, s21
	flat_load_u16 v28, v[64:65] offset:776
	s_mov_b32 s21, exec_lo
	s_waitcnt vmcnt(0) lgkmcnt(0)
	v_and_b32_e32 v163, 0xff, v28
	v_dual_mov_b32 v28, 0 :: v_dual_and_b32 v165, 0xffff, v28
	s_delay_alu instid0(VALU_DEP_2)
	v_cmpx_ne_u16_e64 0, v163
	s_cbranch_execz .LBB382_336
; %bb.329:                              ;   in Loop: Header=BB382_13 Depth=1
	s_delay_alu instid0(VALU_DEP_2) | instskip(NEXT) | instid1(VALU_DEP_1)
	v_and_b32_e32 v28, 0xff, v165
	v_cmp_ne_u16_e64 s3, 0x80, v28
	v_bfrev_b32_e32 v28, 1
	s_delay_alu instid0(VALU_DEP_2)
	s_and_saveexec_b32 s22, s3
	s_cbranch_execz .LBB382_335
; %bb.330:                              ;   in Loop: Header=BB382_13 Depth=1
	v_and_b32_e32 v166, 0x7f, v165
	v_mov_b32_e32 v28, 0x7f800001
	s_mov_b32 s23, exec_lo
	s_delay_alu instid0(VALU_DEP_2)
	v_cmpx_ne_u32_e32 0x7f, v166
	s_cbranch_execz .LBB382_334
; %bb.331:                              ;   in Loop: Header=BB382_13 Depth=1
	v_and_b32_e32 v28, 7, v165
	v_lshrrev_b32_e32 v163, 3, v166
	s_mov_b32 s24, exec_lo
	v_cmpx_gt_u32_e32 8, v166
; %bb.332:                              ;   in Loop: Header=BB382_13 Depth=1
	s_delay_alu instid0(VALU_DEP_3) | instskip(NEXT) | instid1(VALU_DEP_1)
	v_clz_i32_u32_e32 v163, v28
	v_min_u32_e32 v163, 32, v163
	s_delay_alu instid0(VALU_DEP_1) | instskip(SKIP_1) | instid1(VALU_DEP_2)
	v_subrev_nc_u32_e32 v166, 28, v163
	v_sub_nc_u32_e32 v163, 29, v163
	v_lshlrev_b64 v[166:167], v166, v[28:29]
	s_delay_alu instid0(VALU_DEP_1)
	v_and_b32_e32 v28, 7, v166
; %bb.333:                              ;   in Loop: Header=BB382_13 Depth=1
	s_or_b32 exec_lo, exec_lo, s24
	v_lshlrev_b32_e32 v166, 24, v165
	s_delay_alu instid0(VALU_DEP_2) | instskip(SKIP_1) | instid1(VALU_DEP_3)
	v_lshlrev_b32_e32 v28, 20, v28
	v_lshl_add_u32 v163, v163, 23, 0x3c000000
	v_and_b32_e32 v166, 0x80000000, v166
	s_delay_alu instid0(VALU_DEP_1)
	v_or3_b32 v28, v28, v166, v163
.LBB382_334:                            ;   in Loop: Header=BB382_13 Depth=1
	s_or_b32 exec_lo, exec_lo, s23
.LBB382_335:                            ;   in Loop: Header=BB382_13 Depth=1
	s_delay_alu instid0(SALU_CYCLE_1)
	s_or_b32 exec_lo, exec_lo, s22
.LBB382_336:                            ;   in Loop: Header=BB382_13 Depth=1
	s_delay_alu instid0(SALU_CYCLE_1) | instskip(NEXT) | instid1(VALU_DEP_1)
	s_or_b32 exec_lo, exec_lo, s21
	v_mul_f32_e32 v28, v113, v28
	s_delay_alu instid0(VALU_DEP_1) | instskip(NEXT) | instid1(VALU_DEP_1)
	v_and_b32_e32 v163, 0x7f800000, v28
	v_cmp_ne_u32_e64 s3, 0x7f800000, v163
                                        ; implicit-def: $vgpr163
	s_delay_alu instid0(VALU_DEP_1) | instskip(NEXT) | instid1(SALU_CYCLE_1)
	s_and_saveexec_b32 s21, s3
	s_xor_b32 s3, exec_lo, s21
; %bb.337:                              ;   in Loop: Header=BB382_13 Depth=1
	v_bfe_u32 v163, v28, 16, 1
	s_delay_alu instid0(VALU_DEP_1)
	v_add3_u32 v163, v28, v163, 0x7fff
                                        ; implicit-def: $vgpr28
; %bb.338:                              ;   in Loop: Header=BB382_13 Depth=1
	s_and_not1_saveexec_b32 s21, s3
; %bb.339:                              ;   in Loop: Header=BB382_13 Depth=1
	v_and_b32_e32 v163, 0xffff, v28
	v_or_b32_e32 v166, 0x10000, v28
	s_delay_alu instid0(VALU_DEP_2) | instskip(NEXT) | instid1(VALU_DEP_1)
	v_cmp_eq_u32_e64 s3, 0, v163
	v_cndmask_b32_e64 v163, v166, v28, s3
; %bb.340:                              ;   in Loop: Header=BB382_13 Depth=1
	s_or_b32 exec_lo, exec_lo, s21
	v_lshrrev_b16 v166, 8, v165
	v_mov_b32_e32 v28, 0
	s_mov_b32 s21, exec_lo
	s_delay_alu instid0(VALU_DEP_2)
	v_cmpx_ne_u16_e64 0, v166
	s_cbranch_execz .LBB382_348
; %bb.341:                              ;   in Loop: Header=BB382_13 Depth=1
	v_bfrev_b32_e32 v28, 1
	s_mov_b32 s22, exec_lo
	v_cmpx_ne_u16_e64 0x80, v166
	s_cbranch_execz .LBB382_347
; %bb.342:                              ;   in Loop: Header=BB382_13 Depth=1
	v_and_b32_e32 v166, 0xffff, v166
	v_mov_b32_e32 v28, 0x7f800001
	s_mov_b32 s23, exec_lo
	s_delay_alu instid0(VALU_DEP_2) | instskip(NEXT) | instid1(VALU_DEP_1)
	v_and_b32_e32 v167, 0x7f, v166
	v_cmpx_ne_u32_e32 0x7f, v167
	s_cbranch_execz .LBB382_346
; %bb.343:                              ;   in Loop: Header=BB382_13 Depth=1
	v_and_b32_e32 v28, 7, v166
	v_lshrrev_b32_e32 v166, 3, v167
	s_mov_b32 s24, exec_lo
	v_cmpx_gt_u32_e32 8, v167
; %bb.344:                              ;   in Loop: Header=BB382_13 Depth=1
	s_delay_alu instid0(VALU_DEP_3) | instskip(NEXT) | instid1(VALU_DEP_1)
	v_clz_i32_u32_e32 v166, v28
	v_min_u32_e32 v166, 32, v166
	s_delay_alu instid0(VALU_DEP_1) | instskip(SKIP_1) | instid1(VALU_DEP_2)
	v_subrev_nc_u32_e32 v167, 28, v166
	v_sub_nc_u32_e32 v166, 29, v166
	v_lshlrev_b64 v[176:177], v167, v[28:29]
	s_delay_alu instid0(VALU_DEP_1)
	v_and_b32_e32 v28, 7, v176
; %bb.345:                              ;   in Loop: Header=BB382_13 Depth=1
	s_or_b32 exec_lo, exec_lo, s24
	v_lshlrev_b32_e32 v165, 16, v165
	s_delay_alu instid0(VALU_DEP_2) | instskip(SKIP_1) | instid1(VALU_DEP_3)
	v_lshlrev_b32_e32 v28, 20, v28
	v_lshl_add_u32 v166, v166, 23, 0x3c000000
	v_and_b32_e32 v165, 0x80000000, v165
	s_delay_alu instid0(VALU_DEP_1)
	v_or3_b32 v28, v28, v165, v166
.LBB382_346:                            ;   in Loop: Header=BB382_13 Depth=1
	s_or_b32 exec_lo, exec_lo, s23
.LBB382_347:                            ;   in Loop: Header=BB382_13 Depth=1
	s_delay_alu instid0(SALU_CYCLE_1)
	s_or_b32 exec_lo, exec_lo, s22
.LBB382_348:                            ;   in Loop: Header=BB382_13 Depth=1
	s_delay_alu instid0(SALU_CYCLE_1) | instskip(NEXT) | instid1(VALU_DEP_1)
	s_or_b32 exec_lo, exec_lo, s21
	v_mul_f32_e32 v28, v113, v28
	s_delay_alu instid0(VALU_DEP_1) | instskip(NEXT) | instid1(VALU_DEP_1)
	v_and_b32_e32 v165, 0x7f800000, v28
	v_cmp_ne_u32_e64 s3, 0x7f800000, v165
                                        ; implicit-def: $vgpr165
	s_delay_alu instid0(VALU_DEP_1) | instskip(NEXT) | instid1(SALU_CYCLE_1)
	s_and_saveexec_b32 s21, s3
	s_xor_b32 s3, exec_lo, s21
; %bb.349:                              ;   in Loop: Header=BB382_13 Depth=1
	v_bfe_u32 v165, v28, 16, 1
	s_delay_alu instid0(VALU_DEP_1)
	v_add3_u32 v165, v28, v165, 0x7fff
                                        ; implicit-def: $vgpr28
; %bb.350:                              ;   in Loop: Header=BB382_13 Depth=1
	s_and_not1_saveexec_b32 s21, s3
; %bb.351:                              ;   in Loop: Header=BB382_13 Depth=1
	v_and_b32_e32 v165, 0xffff, v28
	v_or_b32_e32 v166, 0x10000, v28
	s_delay_alu instid0(VALU_DEP_2) | instskip(NEXT) | instid1(VALU_DEP_1)
	v_cmp_eq_u32_e64 s3, 0, v165
	v_cndmask_b32_e64 v165, v166, v28, s3
; %bb.352:                              ;   in Loop: Header=BB382_13 Depth=1
	s_or_b32 exec_lo, exec_lo, s21
	flat_load_u16 v28, v[64:65] offset:896
	s_mov_b32 s21, exec_lo
	s_waitcnt vmcnt(0) lgkmcnt(0)
	v_and_b32_e32 v166, 0xff, v28
	v_dual_mov_b32 v28, 0 :: v_dual_and_b32 v167, 0xffff, v28
	s_delay_alu instid0(VALU_DEP_2)
	v_cmpx_ne_u16_e64 0, v166
	s_cbranch_execz .LBB382_360
; %bb.353:                              ;   in Loop: Header=BB382_13 Depth=1
	s_delay_alu instid0(VALU_DEP_2) | instskip(NEXT) | instid1(VALU_DEP_1)
	v_and_b32_e32 v28, 0xff, v167
	v_cmp_ne_u16_e64 s3, 0x80, v28
	v_bfrev_b32_e32 v28, 1
	s_delay_alu instid0(VALU_DEP_2)
	s_and_saveexec_b32 s22, s3
	s_cbranch_execz .LBB382_359
; %bb.354:                              ;   in Loop: Header=BB382_13 Depth=1
	v_and_b32_e32 v176, 0x7f, v167
	v_mov_b32_e32 v28, 0x7f800001
	s_mov_b32 s23, exec_lo
	s_delay_alu instid0(VALU_DEP_2)
	v_cmpx_ne_u32_e32 0x7f, v176
	s_cbranch_execz .LBB382_358
; %bb.355:                              ;   in Loop: Header=BB382_13 Depth=1
	v_and_b32_e32 v28, 7, v167
	v_lshrrev_b32_e32 v166, 3, v176
	s_mov_b32 s24, exec_lo
	v_cmpx_gt_u32_e32 8, v176
; %bb.356:                              ;   in Loop: Header=BB382_13 Depth=1
	s_delay_alu instid0(VALU_DEP_3) | instskip(NEXT) | instid1(VALU_DEP_1)
	v_clz_i32_u32_e32 v166, v28
	v_min_u32_e32 v166, 32, v166
	s_delay_alu instid0(VALU_DEP_1) | instskip(SKIP_1) | instid1(VALU_DEP_2)
	v_subrev_nc_u32_e32 v176, 28, v166
	v_sub_nc_u32_e32 v166, 29, v166
	v_lshlrev_b64 v[176:177], v176, v[28:29]
	s_delay_alu instid0(VALU_DEP_1)
	v_and_b32_e32 v28, 7, v176
; %bb.357:                              ;   in Loop: Header=BB382_13 Depth=1
	s_or_b32 exec_lo, exec_lo, s24
	v_lshlrev_b32_e32 v176, 24, v167
	s_delay_alu instid0(VALU_DEP_2) | instskip(SKIP_1) | instid1(VALU_DEP_3)
	v_lshlrev_b32_e32 v28, 20, v28
	v_lshl_add_u32 v166, v166, 23, 0x3c000000
	v_and_b32_e32 v176, 0x80000000, v176
	s_delay_alu instid0(VALU_DEP_1)
	v_or3_b32 v28, v28, v176, v166
.LBB382_358:                            ;   in Loop: Header=BB382_13 Depth=1
	s_or_b32 exec_lo, exec_lo, s23
.LBB382_359:                            ;   in Loop: Header=BB382_13 Depth=1
	s_delay_alu instid0(SALU_CYCLE_1)
	s_or_b32 exec_lo, exec_lo, s22
.LBB382_360:                            ;   in Loop: Header=BB382_13 Depth=1
	s_delay_alu instid0(SALU_CYCLE_1) | instskip(NEXT) | instid1(VALU_DEP_1)
	s_or_b32 exec_lo, exec_lo, s21
	v_mul_f32_e32 v28, v113, v28
	s_delay_alu instid0(VALU_DEP_1) | instskip(NEXT) | instid1(VALU_DEP_1)
	v_and_b32_e32 v166, 0x7f800000, v28
	v_cmp_ne_u32_e64 s3, 0x7f800000, v166
                                        ; implicit-def: $vgpr166
	s_delay_alu instid0(VALU_DEP_1) | instskip(NEXT) | instid1(SALU_CYCLE_1)
	s_and_saveexec_b32 s21, s3
	s_xor_b32 s3, exec_lo, s21
; %bb.361:                              ;   in Loop: Header=BB382_13 Depth=1
	v_bfe_u32 v166, v28, 16, 1
	s_delay_alu instid0(VALU_DEP_1)
	v_add3_u32 v166, v28, v166, 0x7fff
                                        ; implicit-def: $vgpr28
; %bb.362:                              ;   in Loop: Header=BB382_13 Depth=1
	s_and_not1_saveexec_b32 s21, s3
; %bb.363:                              ;   in Loop: Header=BB382_13 Depth=1
	v_and_b32_e32 v166, 0xffff, v28
	v_or_b32_e32 v176, 0x10000, v28
	s_delay_alu instid0(VALU_DEP_2) | instskip(NEXT) | instid1(VALU_DEP_1)
	v_cmp_eq_u32_e64 s3, 0, v166
	v_cndmask_b32_e64 v166, v176, v28, s3
; %bb.364:                              ;   in Loop: Header=BB382_13 Depth=1
	s_or_b32 exec_lo, exec_lo, s21
	v_lshrrev_b16 v176, 8, v167
	v_mov_b32_e32 v28, 0
	s_mov_b32 s21, exec_lo
	s_delay_alu instid0(VALU_DEP_2)
	v_cmpx_ne_u16_e64 0, v176
	s_cbranch_execz .LBB382_372
; %bb.365:                              ;   in Loop: Header=BB382_13 Depth=1
	v_bfrev_b32_e32 v28, 1
	s_mov_b32 s22, exec_lo
	v_cmpx_ne_u16_e64 0x80, v176
	s_cbranch_execz .LBB382_371
; %bb.366:                              ;   in Loop: Header=BB382_13 Depth=1
	v_and_b32_e32 v176, 0xffff, v176
	v_mov_b32_e32 v28, 0x7f800001
	s_mov_b32 s23, exec_lo
	s_delay_alu instid0(VALU_DEP_2) | instskip(NEXT) | instid1(VALU_DEP_1)
	v_and_b32_e32 v177, 0x7f, v176
	v_cmpx_ne_u32_e32 0x7f, v177
	s_cbranch_execz .LBB382_370
; %bb.367:                              ;   in Loop: Header=BB382_13 Depth=1
	v_and_b32_e32 v28, 7, v176
	v_lshrrev_b32_e32 v176, 3, v177
	s_mov_b32 s24, exec_lo
	v_cmpx_gt_u32_e32 8, v177
; %bb.368:                              ;   in Loop: Header=BB382_13 Depth=1
	s_delay_alu instid0(VALU_DEP_3) | instskip(NEXT) | instid1(VALU_DEP_1)
	v_clz_i32_u32_e32 v176, v28
	v_min_u32_e32 v176, 32, v176
	s_delay_alu instid0(VALU_DEP_1) | instskip(SKIP_1) | instid1(VALU_DEP_2)
	v_subrev_nc_u32_e32 v177, 28, v176
	v_sub_nc_u32_e32 v176, 29, v176
	v_lshlrev_b64 v[177:178], v177, v[28:29]
	s_delay_alu instid0(VALU_DEP_1)
	v_and_b32_e32 v28, 7, v177
; %bb.369:                              ;   in Loop: Header=BB382_13 Depth=1
	s_or_b32 exec_lo, exec_lo, s24
	v_lshlrev_b32_e32 v167, 16, v167
	s_delay_alu instid0(VALU_DEP_2) | instskip(SKIP_1) | instid1(VALU_DEP_3)
	v_lshlrev_b32_e32 v28, 20, v28
	v_lshl_add_u32 v176, v176, 23, 0x3c000000
	v_and_b32_e32 v167, 0x80000000, v167
	s_delay_alu instid0(VALU_DEP_1)
	v_or3_b32 v28, v28, v167, v176
.LBB382_370:                            ;   in Loop: Header=BB382_13 Depth=1
	s_or_b32 exec_lo, exec_lo, s23
.LBB382_371:                            ;   in Loop: Header=BB382_13 Depth=1
	s_delay_alu instid0(SALU_CYCLE_1)
	s_or_b32 exec_lo, exec_lo, s22
.LBB382_372:                            ;   in Loop: Header=BB382_13 Depth=1
	s_delay_alu instid0(SALU_CYCLE_1) | instskip(NEXT) | instid1(VALU_DEP_1)
	s_or_b32 exec_lo, exec_lo, s21
	v_mul_f32_e32 v28, v113, v28
	s_delay_alu instid0(VALU_DEP_1) | instskip(NEXT) | instid1(VALU_DEP_1)
	v_and_b32_e32 v167, 0x7f800000, v28
	v_cmp_ne_u32_e64 s3, 0x7f800000, v167
                                        ; implicit-def: $vgpr167
	s_delay_alu instid0(VALU_DEP_1) | instskip(NEXT) | instid1(SALU_CYCLE_1)
	s_and_saveexec_b32 s21, s3
	s_xor_b32 s3, exec_lo, s21
; %bb.373:                              ;   in Loop: Header=BB382_13 Depth=1
	v_bfe_u32 v167, v28, 16, 1
	s_delay_alu instid0(VALU_DEP_1)
	v_add3_u32 v167, v28, v167, 0x7fff
                                        ; implicit-def: $vgpr28
; %bb.374:                              ;   in Loop: Header=BB382_13 Depth=1
	s_and_not1_saveexec_b32 s21, s3
; %bb.375:                              ;   in Loop: Header=BB382_13 Depth=1
	v_and_b32_e32 v167, 0xffff, v28
	v_or_b32_e32 v176, 0x10000, v28
	s_delay_alu instid0(VALU_DEP_2) | instskip(NEXT) | instid1(VALU_DEP_1)
	v_cmp_eq_u32_e64 s3, 0, v167
	v_cndmask_b32_e64 v167, v176, v28, s3
; %bb.376:                              ;   in Loop: Header=BB382_13 Depth=1
	s_or_b32 exec_lo, exec_lo, s21
	flat_load_u16 v28, v[64:65] offset:904
	s_mov_b32 s21, exec_lo
	s_waitcnt vmcnt(0) lgkmcnt(0)
	v_and_b32_e32 v65, 0xff, v28
	v_and_b32_e32 v64, 0xffff, v28
	v_mov_b32_e32 v28, 0
	s_delay_alu instid0(VALU_DEP_3)
	v_cmpx_ne_u16_e32 0, v65
	s_cbranch_execz .LBB382_384
; %bb.377:                              ;   in Loop: Header=BB382_13 Depth=1
	s_delay_alu instid0(VALU_DEP_3) | instskip(NEXT) | instid1(VALU_DEP_1)
	v_and_b32_e32 v28, 0xff, v64
	v_cmp_ne_u16_e64 s3, 0x80, v28
	v_bfrev_b32_e32 v28, 1
	s_delay_alu instid0(VALU_DEP_2)
	s_and_saveexec_b32 s22, s3
	s_cbranch_execz .LBB382_383
; %bb.378:                              ;   in Loop: Header=BB382_13 Depth=1
	v_and_b32_e32 v176, 0x7f, v64
	v_mov_b32_e32 v28, 0x7f800001
	s_mov_b32 s23, exec_lo
	s_delay_alu instid0(VALU_DEP_2)
	v_cmpx_ne_u32_e32 0x7f, v176
	s_cbranch_execz .LBB382_382
; %bb.379:                              ;   in Loop: Header=BB382_13 Depth=1
	v_and_b32_e32 v28, 7, v64
	v_lshrrev_b32_e32 v65, 3, v176
	s_mov_b32 s24, exec_lo
	v_cmpx_gt_u32_e32 8, v176
; %bb.380:                              ;   in Loop: Header=BB382_13 Depth=1
	s_delay_alu instid0(VALU_DEP_3) | instskip(NEXT) | instid1(VALU_DEP_1)
	v_clz_i32_u32_e32 v65, v28
	v_min_u32_e32 v65, 32, v65
	s_delay_alu instid0(VALU_DEP_1) | instskip(SKIP_1) | instid1(VALU_DEP_2)
	v_subrev_nc_u32_e32 v176, 28, v65
	v_sub_nc_u32_e32 v65, 29, v65
	v_lshlrev_b64 v[176:177], v176, v[28:29]
	s_delay_alu instid0(VALU_DEP_1)
	v_and_b32_e32 v28, 7, v176
; %bb.381:                              ;   in Loop: Header=BB382_13 Depth=1
	s_or_b32 exec_lo, exec_lo, s24
	v_lshlrev_b32_e32 v176, 24, v64
	s_delay_alu instid0(VALU_DEP_2) | instskip(SKIP_1) | instid1(VALU_DEP_3)
	v_lshlrev_b32_e32 v28, 20, v28
	v_lshl_add_u32 v65, v65, 23, 0x3c000000
	v_and_b32_e32 v176, 0x80000000, v176
	s_delay_alu instid0(VALU_DEP_1)
	v_or3_b32 v28, v28, v176, v65
.LBB382_382:                            ;   in Loop: Header=BB382_13 Depth=1
	s_or_b32 exec_lo, exec_lo, s23
.LBB382_383:                            ;   in Loop: Header=BB382_13 Depth=1
	s_delay_alu instid0(SALU_CYCLE_1)
	s_or_b32 exec_lo, exec_lo, s22
.LBB382_384:                            ;   in Loop: Header=BB382_13 Depth=1
	s_delay_alu instid0(SALU_CYCLE_1) | instskip(NEXT) | instid1(VALU_DEP_1)
	s_or_b32 exec_lo, exec_lo, s21
	v_mul_f32_e32 v28, v113, v28
	s_delay_alu instid0(VALU_DEP_1) | instskip(NEXT) | instid1(VALU_DEP_1)
	v_and_b32_e32 v65, 0x7f800000, v28
	v_cmp_ne_u32_e64 s3, 0x7f800000, v65
                                        ; implicit-def: $vgpr65
	s_delay_alu instid0(VALU_DEP_1) | instskip(NEXT) | instid1(SALU_CYCLE_1)
	s_and_saveexec_b32 s21, s3
	s_xor_b32 s3, exec_lo, s21
; %bb.385:                              ;   in Loop: Header=BB382_13 Depth=1
	v_bfe_u32 v65, v28, 16, 1
	s_delay_alu instid0(VALU_DEP_1)
	v_add3_u32 v65, v28, v65, 0x7fff
                                        ; implicit-def: $vgpr28
; %bb.386:                              ;   in Loop: Header=BB382_13 Depth=1
	s_and_not1_saveexec_b32 s21, s3
; %bb.387:                              ;   in Loop: Header=BB382_13 Depth=1
	v_and_b32_e32 v65, 0xffff, v28
	v_or_b32_e32 v176, 0x10000, v28
	s_delay_alu instid0(VALU_DEP_2) | instskip(NEXT) | instid1(VALU_DEP_1)
	v_cmp_eq_u32_e64 s3, 0, v65
	v_cndmask_b32_e64 v65, v176, v28, s3
; %bb.388:                              ;   in Loop: Header=BB382_13 Depth=1
	s_or_b32 exec_lo, exec_lo, s21
	v_lshrrev_b16 v176, 8, v64
	v_mov_b32_e32 v28, 0
	s_mov_b32 s21, exec_lo
	s_delay_alu instid0(VALU_DEP_2)
	v_cmpx_ne_u16_e64 0, v176
	s_cbranch_execz .LBB382_396
; %bb.389:                              ;   in Loop: Header=BB382_13 Depth=1
	v_bfrev_b32_e32 v28, 1
	s_mov_b32 s22, exec_lo
	v_cmpx_ne_u16_e64 0x80, v176
	s_cbranch_execz .LBB382_395
; %bb.390:                              ;   in Loop: Header=BB382_13 Depth=1
	v_and_b32_e32 v176, 0xffff, v176
	v_mov_b32_e32 v28, 0x7f800001
	s_mov_b32 s23, exec_lo
	s_delay_alu instid0(VALU_DEP_2) | instskip(NEXT) | instid1(VALU_DEP_1)
	v_and_b32_e32 v177, 0x7f, v176
	v_cmpx_ne_u32_e32 0x7f, v177
	s_cbranch_execz .LBB382_394
; %bb.391:                              ;   in Loop: Header=BB382_13 Depth=1
	v_and_b32_e32 v28, 7, v176
	v_lshrrev_b32_e32 v176, 3, v177
	s_mov_b32 s24, exec_lo
	v_cmpx_gt_u32_e32 8, v177
; %bb.392:                              ;   in Loop: Header=BB382_13 Depth=1
	s_delay_alu instid0(VALU_DEP_3) | instskip(NEXT) | instid1(VALU_DEP_1)
	v_clz_i32_u32_e32 v176, v28
	v_min_u32_e32 v176, 32, v176
	s_delay_alu instid0(VALU_DEP_1) | instskip(SKIP_1) | instid1(VALU_DEP_2)
	v_subrev_nc_u32_e32 v177, 28, v176
	v_sub_nc_u32_e32 v176, 29, v176
	v_lshlrev_b64 v[177:178], v177, v[28:29]
	s_delay_alu instid0(VALU_DEP_1)
	v_and_b32_e32 v28, 7, v177
; %bb.393:                              ;   in Loop: Header=BB382_13 Depth=1
	s_or_b32 exec_lo, exec_lo, s24
	v_lshlrev_b32_e32 v64, 16, v64
	s_delay_alu instid0(VALU_DEP_2) | instskip(SKIP_1) | instid1(VALU_DEP_3)
	v_lshlrev_b32_e32 v28, 20, v28
	v_lshl_add_u32 v176, v176, 23, 0x3c000000
	v_and_b32_e32 v64, 0x80000000, v64
	s_delay_alu instid0(VALU_DEP_1)
	v_or3_b32 v28, v28, v64, v176
.LBB382_394:                            ;   in Loop: Header=BB382_13 Depth=1
	s_or_b32 exec_lo, exec_lo, s23
.LBB382_395:                            ;   in Loop: Header=BB382_13 Depth=1
	s_delay_alu instid0(SALU_CYCLE_1)
	s_or_b32 exec_lo, exec_lo, s22
.LBB382_396:                            ;   in Loop: Header=BB382_13 Depth=1
	s_delay_alu instid0(SALU_CYCLE_1) | instskip(NEXT) | instid1(VALU_DEP_1)
	s_or_b32 exec_lo, exec_lo, s21
	v_mul_f32_e32 v64, v113, v28
	s_delay_alu instid0(VALU_DEP_1) | instskip(NEXT) | instid1(VALU_DEP_1)
	v_and_b32_e32 v28, 0x7f800000, v64
	v_cmp_ne_u32_e64 s3, 0x7f800000, v28
                                        ; implicit-def: $vgpr28
	s_delay_alu instid0(VALU_DEP_1) | instskip(NEXT) | instid1(SALU_CYCLE_1)
	s_and_saveexec_b32 s21, s3
	s_xor_b32 s3, exec_lo, s21
; %bb.397:                              ;   in Loop: Header=BB382_13 Depth=1
	v_bfe_u32 v28, v64, 16, 1
	s_delay_alu instid0(VALU_DEP_1)
	v_add3_u32 v28, v64, v28, 0x7fff
                                        ; implicit-def: $vgpr64
; %bb.398:                              ;   in Loop: Header=BB382_13 Depth=1
	s_and_not1_saveexec_b32 s21, s3
; %bb.399:                              ;   in Loop: Header=BB382_13 Depth=1
	v_and_b32_e32 v28, 0xffff, v64
	v_or_b32_e32 v113, 0x10000, v64
	s_delay_alu instid0(VALU_DEP_2) | instskip(NEXT) | instid1(VALU_DEP_1)
	v_cmp_eq_u32_e64 s3, 0, v28
	v_cndmask_b32_e64 v28, v113, v64, s3
; %bb.400:                              ;   in Loop: Header=BB382_13 Depth=1
	s_or_b32 exec_lo, exec_lo, s21
	v_and_b32_e32 v117, 0xffff0000, v117
	v_and_b32_e32 v113, 0xffff0000, v166
	;; [unrolled: 1-line block ×3, first 2 shown]
	v_lshlrev_b32_e32 v166, 16, v36
	v_and_b32_e32 v36, 0xffff0000, v36
	v_and_b32_e32 v64, 0xffff0000, v65
	;; [unrolled: 1-line block ×5, first 2 shown]
	v_lshlrev_b32_e32 v167, 16, v35
	v_dual_mul_f32 v116, v166, v116 :: v_dual_and_b32 v35, 0xffff0000, v35
	v_mul_f32_e32 v36, v36, v117
	v_and_b32_e32 v165, 0xffff0000, v165
	v_and_b32_e32 v145, 0xffff0000, v145
	;; [unrolled: 1-line block ×4, first 2 shown]
	v_lshlrev_b32_e32 v118, 16, v37
	v_dual_fmac_f32 v116, v167, v114 :: v_dual_and_b32 v37, 0xffff0000, v37
	v_fmac_f32_e32 v36, v35, v115
	v_and_b32_e32 v147, 0xffff0000, v147
	v_and_b32_e32 v133, 0xffff0000, v133
	;; [unrolled: 1-line block ×3, first 2 shown]
	v_lshlrev_b32_e32 v114, 16, v38
	v_and_b32_e32 v38, 0xffff0000, v38
	v_fmac_f32_e32 v116, v118, v117
	v_dual_fmac_f32 v36, v37, v119 :: v_dual_and_b32 v129, 0xffff0000, v129
	v_and_b32_e32 v160, 0xffff0000, v160
	v_and_b32_e32 v150, 0xffff0000, v150
	s_delay_alu instid0(VALU_DEP_4) | instskip(NEXT) | instid1(VALU_DEP_4)
	v_fmac_f32_e32 v116, v114, v35
	v_dual_fmac_f32 v36, v38, v129 :: v_dual_and_b32 v135, 0xffff0000, v135
	v_and_b32_e32 v37, 0xffff0000, v130
	v_lshlrev_b32_e32 v115, 16, v31
	v_and_b32_e32 v131, 0xffff0000, v131
	v_and_b32_e32 v31, 0xffff0000, v31
	v_lshlrev_b32_e32 v38, 16, v32
	v_and_b32_e32 v32, 0xffff0000, v32
	v_fmac_f32_e32 v116, v115, v37
	v_and_b32_e32 v162, 0xffff0000, v162
	v_dual_fmac_f32 v36, v31, v131 :: v_dual_lshlrev_b32 v37, 16, v33
	v_and_b32_e32 v33, 0xffff0000, v33
	v_and_b32_e32 v164, 0xffff0000, v164
	s_delay_alu instid0(VALU_DEP_3) | instskip(SKIP_1) | instid1(VALU_DEP_2)
	v_fmac_f32_e32 v36, v32, v133
	v_and_b32_e32 v32, 0xffff0000, v144
	v_dual_fmac_f32 v36, v33, v135 :: v_dual_lshlrev_b32 v33, 16, v16
	v_and_b32_e32 v16, 0xffff0000, v16
	v_and_b32_e32 v35, 0xffff0000, v132
	s_delay_alu instid0(VALU_DEP_1) | instskip(SKIP_1) | instid1(VALU_DEP_1)
	v_dual_fmac_f32 v116, v38, v35 :: v_dual_lshlrev_b32 v35, 16, v34
	v_and_b32_e32 v34, 0xffff0000, v34
	v_fmac_f32_e32 v36, v34, v145
	v_lshlrev_b32_e32 v34, 16, v17
	s_delay_alu instid0(VALU_DEP_2) | instskip(SKIP_1) | instid1(VALU_DEP_2)
	v_dual_fmac_f32 v36, v16, v147 :: v_dual_and_b32 v17, 0xffff0000, v17
	v_and_b32_e32 v16, 0xffff0000, v149
	v_dual_fmac_f32 v36, v17, v150 :: v_dual_and_b32 v17, 0xffff0000, v151
	v_and_b32_e32 v31, 0xffff0000, v134
	s_delay_alu instid0(VALU_DEP_1) | instskip(NEXT) | instid1(VALU_DEP_1)
	v_dual_fmac_f32 v116, v37, v31 :: v_dual_and_b32 v31, 0xffff0000, v146
	v_fmac_f32_e32 v116, v35, v32
	v_and_b32_e32 v32, 0xffff0000, v148
	s_delay_alu instid0(VALU_DEP_2) | instskip(SKIP_1) | instid1(VALU_DEP_2)
	v_dual_fmac_f32 v116, v33, v31 :: v_dual_lshlrev_b32 v31, 16, v18
	v_and_b32_e32 v18, 0xffff0000, v18
	v_fmac_f32_e32 v116, v34, v32
	v_lshlrev_b32_e32 v32, 16, v19
	s_delay_alu instid0(VALU_DEP_3) | instskip(SKIP_2) | instid1(VALU_DEP_3)
	v_dual_fmac_f32 v36, v18, v160 :: v_dual_and_b32 v19, 0xffff0000, v19
	v_lshlrev_b32_e32 v18, 16, v6
	v_and_b32_e32 v6, 0xffff0000, v6
	v_dual_fmac_f32 v36, v19, v162 :: v_dual_lshlrev_b32 v19, 16, v7
	s_delay_alu instid0(VALU_DEP_1) | instskip(SKIP_2) | instid1(VALU_DEP_3)
	v_dual_fmac_f32 v36, v6, v164 :: v_dual_and_b32 v7, 0xffff0000, v7
	v_lshlrev_b32_e32 v6, 16, v8
	v_and_b32_e32 v8, 0xffff0000, v8
	v_fmac_f32_e32 v36, v7, v165
	v_fmac_f32_e32 v116, v31, v16
	v_and_b32_e32 v16, 0xffff0000, v161
	v_xor_b32_e32 v7, 2, v85
	s_delay_alu instid0(VALU_DEP_4) | instskip(NEXT) | instid1(VALU_DEP_4)
	v_fmac_f32_e32 v36, v8, v65
	v_dual_fmac_f32 v116, v32, v17 :: v_dual_and_b32 v17, 0xffff0000, v163
	s_delay_alu instid0(VALU_DEP_3) | instskip(SKIP_1) | instid1(VALU_DEP_3)
	v_cmp_gt_i32_e64 s3, 32, v7
	v_xor_b32_e32 v8, 1, v85
	v_fmac_f32_e32 v116, v18, v16
	v_lshlrev_b32_e32 v16, 16, v9
	v_and_b32_e32 v9, 0xffff0000, v9
	s_delay_alu instid0(VALU_DEP_3) | instskip(NEXT) | instid1(VALU_DEP_1)
	v_dual_fmac_f32 v116, v19, v17 :: v_dual_and_b32 v17, 0xffff0000, v28
	v_fmac_f32_e32 v116, v6, v113
	v_cndmask_b32_e64 v6, v85, v7, s3
	s_delay_alu instid0(VALU_DEP_3) | instskip(SKIP_1) | instid1(VALU_DEP_4)
	v_fmac_f32_e32 v36, v9, v17
	v_cmp_gt_i32_e64 s3, 32, v8
	v_fmac_f32_e32 v116, v16, v64
	s_delay_alu instid0(VALU_DEP_4) | instskip(NEXT) | instid1(VALU_DEP_3)
	v_lshlrev_b32_e32 v6, 2, v6
	v_cndmask_b32_e64 v8, v85, v8, s3
	s_delay_alu instid0(VALU_DEP_3) | instskip(NEXT) | instid1(VALU_DEP_2)
	v_add_f32_e32 v7, v116, v36
	v_lshlrev_b32_e32 v8, 2, v8
	ds_bpermute_b32 v6, v6, v7
	s_waitcnt lgkmcnt(0)
	v_add_f32_e32 v6, v7, v6
	ds_bpermute_b32 v7, v8, v6
	s_and_saveexec_b32 s21, vcc_lo
	s_cbranch_execz .LBB382_11
; %bb.401:                              ;   in Loop: Header=BB382_13 Depth=1
	v_add_nc_u32_e32 v8, v102, v99
	s_load_b32 s22, s[8:9], 0x0
	s_waitcnt lgkmcnt(0)
	v_add_f32_e32 v6, v6, v7
	s_delay_alu instid0(VALU_DEP_2) | instskip(NEXT) | instid1(VALU_DEP_1)
	v_cvt_f32_i32_e32 v8, v8
	v_mul_f32_e32 v8, v84, v8
	s_delay_alu instid0(VALU_DEP_1) | instskip(SKIP_1) | instid1(VALU_DEP_2)
	v_cndmask_b32_e64 v7, 0, v8, s2
	v_max_f32_e32 v8, v86, v86
	v_dual_fmac_f32 v7, v6, v13 :: v_dual_add_nc_u32 v6, v96, v99
	s_delay_alu instid0(VALU_DEP_1) | instskip(NEXT) | instid1(VALU_DEP_2)
	v_max_f32_e32 v8, v8, v7
	v_cmp_lt_i32_e64 s3, v6, v67
	v_add_nc_u32_e32 v6, s22, v101
	s_delay_alu instid0(VALU_DEP_2) | instskip(NEXT) | instid1(VALU_DEP_4)
	v_cndmask_b32_e64 v7, 0, v7, s3
	v_cndmask_b32_e64 v86, v86, v8, s3
	ds_store_b32 v6, v7
	s_branch .LBB382_11
.LBB382_402:
	s_or_b32 exec_lo, exec_lo, s20
.LBB382_403:
	s_delay_alu instid0(SALU_CYCLE_1)
	s_or_b32 exec_lo, exec_lo, s19
	v_xor_b32_e32 v6, 16, v85
	s_waitcnt lgkmcnt(0)
	v_xor_b32_e32 v7, 8, v85
	v_dual_max_f32 v13, v86, v86 :: v_dual_and_b32 v18, 31, v39
	s_lshr_b32 s8, s18, 16
	v_cmp_gt_i32_e32 vcc_lo, 32, v6
	v_cndmask_b32_e32 v6, v85, v6, vcc_lo
	v_cmp_gt_i32_e32 vcc_lo, 32, v7
	v_cndmask_b32_e32 v7, v85, v7, vcc_lo
	s_delay_alu instid0(VALU_DEP_1) | instskip(NEXT) | instid1(VALU_DEP_4)
	v_lshlrev_b32_e32 v9, 2, v7
	v_lshlrev_b32_e32 v8, 2, v6
	ds_bpermute_b32 v6, v8, v86
	s_waitcnt lgkmcnt(0)
	v_max_f32_e32 v6, v6, v6
	s_delay_alu instid0(VALU_DEP_1) | instskip(SKIP_1) | instid1(VALU_DEP_1)
	v_max_f32_e32 v6, v13, v6
	v_xor_b32_e32 v13, 4, v85
	v_cmp_gt_i32_e32 vcc_lo, 32, v13
	v_cndmask_b32_e32 v13, v85, v13, vcc_lo
	v_cmp_eq_u32_e32 vcc_lo, 0, v18
	s_delay_alu instid0(VALU_DEP_2) | instskip(SKIP_4) | instid1(VALU_DEP_1)
	v_lshlrev_b32_e32 v17, 2, v13
	ds_bpermute_b32 v7, v9, v6
	v_lshlrev_b32_e32 v13, 2, v21
	s_waitcnt lgkmcnt(0)
	v_max_f32_e32 v7, v7, v7
	v_max_f32_e32 v6, v6, v7
	ds_bpermute_b32 v7, v17, v6
	s_and_saveexec_b32 s2, vcc_lo
	s_cbranch_execz .LBB382_405
; %bb.404:
	s_waitcnt lgkmcnt(0)
	v_dual_max_f32 v7, v7, v7 :: v_dual_max_f32 v6, v6, v6
	s_delay_alu instid0(VALU_DEP_1)
	v_max_f32_e32 v6, v6, v7
	ds_store_b32 v13, v6 offset:256
.LBB382_405:
	s_or_b32 exec_lo, exec_lo, s2
	v_cmp_gt_u32_e64 s2, 4, v18
	v_mov_b32_e32 v6, 0xff7fffff
	v_lshlrev_b32_e32 v16, 2, v18
	s_waitcnt lgkmcnt(0)
	s_barrier
	buffer_gl0_inv
	s_and_saveexec_b32 s3, s2
	s_cbranch_execz .LBB382_407
; %bb.406:
	ds_load_b32 v6, v16 offset:256
.LBB382_407:
	s_or_b32 exec_lo, exec_lo, s3
	v_xor_b32_e32 v7, 2, v85
	v_xor_b32_e32 v24, 1, v85
	v_subrev_nc_u32_e32 v28, s13, v71
	v_mov_b32_e32 v25, 0
	s_delay_alu instid0(VALU_DEP_4) | instskip(NEXT) | instid1(VALU_DEP_1)
	v_cmp_gt_i32_e64 s3, 32, v7
	v_cndmask_b32_e64 v7, v85, v7, s3
	v_cmp_gt_i32_e64 s3, 32, v24
	s_delay_alu instid0(VALU_DEP_2) | instskip(NEXT) | instid1(VALU_DEP_2)
	v_lshlrev_b32_e32 v19, 2, v7
	v_cndmask_b32_e64 v24, v85, v24, s3
	s_waitcnt lgkmcnt(0)
	ds_bpermute_b32 v7, v19, v6
	v_max_f32_e32 v6, v6, v6
	s_waitcnt lgkmcnt(0)
	v_dual_max_f32 v7, v7, v7 :: v_dual_lshlrev_b32 v24, 2, v24
	s_delay_alu instid0(VALU_DEP_1) | instskip(SKIP_3) | instid1(VALU_DEP_1)
	v_max_f32_e32 v6, v6, v7
	ds_bpermute_b32 v7, v24, v6
	s_waitcnt lgkmcnt(0)
	v_max_f32_e32 v7, v7, v7
	v_max_f32_e32 v6, v6, v7
	v_lshl_add_u32 v7, v28, 3, s15
	ds_bpermute_b32 v6, v25, v6
	v_min_i32_e32 v7, v7, v67
	s_delay_alu instid0(VALU_DEP_1) | instskip(NEXT) | instid1(VALU_DEP_1)
	v_subrev_nc_u32_e32 v7, s15, v7
	v_cmp_lt_i32_e64 s3, v39, v7
	s_delay_alu instid0(VALU_DEP_1)
	s_and_saveexec_b32 s9, s3
	s_cbranch_execz .LBB382_411
; %bb.408:
	s_getpc_b64 s[18:19]
	s_add_u32 s18, s18, llvm.amdgcn.dynlds.offset.table@rel32@lo+4
	s_addc_u32 s19, s19, llvm.amdgcn.dynlds.offset.table@rel32@hi+12
	s_ashr_i32 s11, s10, 31
	v_mov_b32_e32 v25, 0
	s_lshl_b64 s[20:21], s[10:11], 2
	v_mov_b32_e32 v29, v39
	s_add_u32 s18, s20, s18
	s_addc_u32 s19, s21, s19
	s_mov_b32 s11, 0
	s_load_b32 s4, s[18:19], 0x0
	s_waitcnt lgkmcnt(0)
	v_lshl_add_u32 v28, v39, 2, s4
	.p2align	6
.LBB382_409:                            ; =>This Inner Loop Header: Depth=1
	ds_load_b32 v31, v28
	v_add_nc_u32_e32 v29, 0x80, v29
	s_delay_alu instid0(VALU_DEP_1) | instskip(NEXT) | instid1(VALU_DEP_1)
	v_cmp_ge_i32_e64 s4, v29, v7
	s_or_b32 s11, s4, s11
	s_waitcnt lgkmcnt(0)
	v_sub_f32_e32 v31, v31, v6
	s_delay_alu instid0(VALU_DEP_1) | instskip(NEXT) | instid1(VALU_DEP_1)
	v_mul_f32_e32 v31, 0x3fb8aa3b, v31
	v_exp_f32_e32 v31, v31
	ds_store_b32 v28, v31
	v_dual_add_f32 v25, v25, v31 :: v_dual_add_nc_u32 v28, 0x200, v28
	s_and_not1_b32 exec_lo, exec_lo, s11
	s_cbranch_execnz .LBB382_409
; %bb.410:
	s_or_b32 exec_lo, exec_lo, s11
.LBB382_411:
	s_delay_alu instid0(SALU_CYCLE_1)
	s_or_b32 exec_lo, exec_lo, s9
	ds_bpermute_b32 v8, v8, v25
	s_waitcnt lgkmcnt(0)
	v_add_f32_e32 v8, v25, v8
	ds_bpermute_b32 v9, v9, v8
	s_waitcnt lgkmcnt(0)
	v_add_f32_e32 v8, v8, v9
	;; [unrolled: 3-line block ×5, first 2 shown]
	s_and_saveexec_b32 s4, vcc_lo
	s_cbranch_execz .LBB382_413
; %bb.412:
	ds_store_b32 v13, v8 offset:272
.LBB382_413:
	s_or_b32 exec_lo, exec_lo, s4
	s_waitcnt lgkmcnt(0)
	s_barrier
	buffer_gl0_inv
	s_and_saveexec_b32 s4, s2
	s_cbranch_execz .LBB382_415
; %bb.414:
	ds_load_b32 v8, v16 offset:272
.LBB382_415:
	s_or_b32 exec_lo, exec_lo, s4
	s_waitcnt lgkmcnt(0)
	ds_bpermute_b32 v9, v19, v8
	s_waitcnt lgkmcnt(0)
	v_add_f32_e32 v8, v8, v9
	ds_bpermute_b32 v9, v24, v8
	s_waitcnt lgkmcnt(0)
	v_dual_add_f32 v8, v8, v9 :: v_dual_mov_b32 v9, 0
	ds_bpermute_b32 v8, v9, v8
	s_and_saveexec_b32 s2, s3
	s_cbranch_execz .LBB382_418
; %bb.416:
	s_waitcnt lgkmcnt(0)
	v_add_f32_e32 v13, 0x358637bd, v8
	s_getpc_b64 s[18:19]
	s_add_u32 s18, s18, llvm.amdgcn.dynlds.offset.table@rel32@lo+4
	s_addc_u32 s19, s19, llvm.amdgcn.dynlds.offset.table@rel32@hi+12
	s_ashr_i32 s11, s10, 31
	s_delay_alu instid0(SALU_CYCLE_1) | instskip(SKIP_3) | instid1(VALU_DEP_2)
	s_lshl_b64 s[20:21], s[10:11], 2
	v_div_scale_f32 v9, null, v13, v13, 1.0
	v_div_scale_f32 v19, vcc_lo, 1.0, v13, 1.0
	s_add_u32 s18, s20, s18
	v_rcp_f32_e32 v16, v9
	s_addc_u32 s19, s21, s19
	s_load_b32 s3, s[18:19], 0x0
	s_waitcnt_depctr 0xfff
	v_fma_f32 v17, -v9, v16, 1.0
	s_delay_alu instid0(VALU_DEP_1) | instskip(NEXT) | instid1(VALU_DEP_1)
	v_fmac_f32_e32 v16, v17, v16
	v_mul_f32_e32 v17, v19, v16
	s_delay_alu instid0(VALU_DEP_1) | instskip(NEXT) | instid1(VALU_DEP_1)
	v_fma_f32 v24, -v9, v17, v19
	v_fmac_f32_e32 v17, v24, v16
	s_delay_alu instid0(VALU_DEP_1) | instskip(NEXT) | instid1(VALU_DEP_1)
	v_fma_f32 v9, -v9, v17, v19
	v_div_fmas_f32 v16, v9, v16, v17
	s_waitcnt lgkmcnt(0)
	v_lshl_add_u32 v9, v39, 2, s3
	s_mov_b32 s3, 0
	s_delay_alu instid0(VALU_DEP_2)
	v_div_fixup_f32 v13, v16, v13, 1.0
	v_mov_b32_e32 v16, v39
.LBB382_417:                            ; =>This Inner Loop Header: Depth=1
	ds_load_b32 v17, v9
	s_waitcnt lgkmcnt(0)
	v_dual_mul_f32 v17, v13, v17 :: v_dual_add_nc_u32 v16, 0x80, v16
	s_delay_alu instid0(VALU_DEP_1) | instskip(SKIP_3) | instid1(SALU_CYCLE_1)
	v_cmp_ge_i32_e32 vcc_lo, v16, v7
	ds_store_b32 v9, v17
	v_add_nc_u32_e32 v9, 0x200, v9
	s_or_b32 s3, vcc_lo, s3
	s_and_not1_b32 exec_lo, exec_lo, s3
	s_cbranch_execnz .LBB382_417
.LBB382_418:
	s_or_b32 exec_lo, exec_lo, s2
	v_cmp_ne_u16_e64 s2, s8, 0
	s_mov_b32 s4, exec_lo
	s_waitcnt lgkmcnt(0)
	s_barrier
	buffer_gl0_inv
	s_cmp_lg_u32 s2, 0
	s_addc_u32 s7, s7, 0
	s_delay_alu instid0(SALU_CYCLE_1) | instskip(NEXT) | instid1(SALU_CYCLE_1)
	s_mul_i32 s2, s7, s16
	s_mul_i32 s2, s2, s5
	v_cmpx_eq_u32_e32 0, v39
	s_cbranch_execz .LBB382_420
; %bb.419:
	s_mul_i32 s8, s7, s12
	s_ashr_i32 s15, s14, 31
	s_ashr_i32 s9, s8, 31
	;; [unrolled: 1-line block ×3, first 2 shown]
	s_lshl_b64 s[8:9], s[8:9], 2
	s_lshl_b64 s[12:13], s[14:15], 2
	;; [unrolled: 1-line block ×3, first 2 shown]
	s_add_u32 s3, s12, s8
	s_addc_u32 s5, s13, s9
	s_add_u32 s3, s3, s18
	s_addc_u32 s5, s5, s19
	v_add_co_u32 v2, vcc_lo, s3, v2
	v_add_co_ci_u32_e32 v3, vcc_lo, s5, v3, vcc_lo
	v_add_co_u32 v0, vcc_lo, s3, v0
	v_add_co_ci_u32_e32 v1, vcc_lo, s5, v1, vcc_lo
	flat_store_b32 v[2:3], v6
	flat_store_b32 v[0:1], v8
.LBB382_420:
	s_or_b32 exec_lo, exec_lo, s4
	s_getpc_b64 s[4:5]
	s_add_u32 s4, s4, llvm.amdgcn.dynlds.offset.table@rel32@lo+4
	s_addc_u32 s5, s5, llvm.amdgcn.dynlds.offset.table@rel32@hi+12
	s_ashr_i32 s11, s10, 31
	v_dual_mov_b32 v3, 0 :: v_dual_mov_b32 v2, 0
	s_lshl_b64 s[8:9], s[10:11], 2
	v_mov_b32_e32 v24, 0
	s_add_u32 s4, s8, s4
	s_addc_u32 s5, s9, s5
	s_mov_b32 s10, 0
	s_load_b32 s11, s[4:5], 0x0
	s_waitcnt lgkmcnt(0)
	v_dual_mov_b32 v19, 0 :: v_dual_mov_b32 v0, s11
	s_and_saveexec_b32 s3, s1
	s_cbranch_execz .LBB382_978
; %bb.421:
	v_max_i32_e32 v25, v30, v82
	v_add_co_u32 v3, vcc_lo, v10, v81
	v_lshlrev_b64 v[6:7], 2, v[48:49]
	v_add_co_ci_u32_e32 v8, vcc_lo, v11, v83, vcc_lo
	s_delay_alu instid0(VALU_DEP_4) | instskip(SKIP_3) | instid1(VALU_DEP_4)
	v_cvt_f32_u32_e32 v0, v25
	v_sub_nc_u32_e32 v2, 0, v25
	v_dual_mov_b32 v1, 0 :: v_dual_add_nc_u32 v28, -1, v12
	v_add_co_u32 v6, vcc_lo, v50, v6
	v_rcp_iflag_f32_e32 v0, v0
	v_add_co_ci_u32_e32 v7, vcc_lo, v51, v7, vcc_lo
	v_lshl_add_u32 v29, v21, 5, s11
	v_dual_mov_b32 v24, 0 :: v_dual_mov_b32 v19, 0
	s_mov_b32 s8, -1
	s_mov_b32 s9, 0xffffff
	s_waitcnt_depctr 0xfff
	v_dual_mul_f32 v0, 0x4f7ffffe, v0 :: v_dual_lshlrev_b32 v9, 3, v18
	s_delay_alu instid0(VALU_DEP_1) | instskip(NEXT) | instid1(VALU_DEP_2)
	v_add_co_u32 v16, vcc_lo, v3, v9
	v_cvt_u32_f32_e32 v0, v0
	v_add_co_ci_u32_e32 v17, vcc_lo, 0, v8, vcc_lo
	v_add_co_u32 v14, vcc_lo, v14, v6
	s_delay_alu instid0(VALU_DEP_3) | instskip(SKIP_2) | instid1(VALU_DEP_3)
	v_mul_lo_u32 v10, v2, v0
	v_dual_mov_b32 v2, 0 :: v_dual_mov_b32 v3, 0
	v_add_co_ci_u32_e32 v15, vcc_lo, v15, v7, vcc_lo
	v_mul_hi_u32 v10, v0, v10
	s_delay_alu instid0(VALU_DEP_1)
	v_add_nc_u32_e32 v30, v0, v10
	s_branch .LBB382_424
.LBB382_422:                            ;   in Loop: Header=BB382_424 Depth=1
	s_or_b32 exec_lo, exec_lo, s1
	v_and_b32_e32 v54, 0xffff0000, v86
	v_and_b32_e32 v10, 0xffff0000, v10
	;; [unrolled: 1-line block ×7, first 2 shown]
	s_delay_alu instid0(VALU_DEP_4) | instskip(SKIP_3) | instid1(VALU_DEP_4)
	v_dual_add_f32 v10, v10, v11 :: v_dual_and_b32 v13, 0xffff0000, v13
	v_and_b32_e32 v53, 0xffff0000, v112
	v_and_b32_e32 v64, 0xffff0000, v114
	;; [unrolled: 1-line block ×3, first 2 shown]
	v_dual_add_f32 v13, v13, v31 :: v_dual_and_b32 v6, 0xffff0000, v6
	s_delay_alu instid0(VALU_DEP_4)
	v_dual_add_f32 v52, v53, v52 :: v_dual_and_b32 v53, 0xffff0000, v115
	v_and_b32_e32 v50, 0xffff0000, v103
	v_and_b32_e32 v0, 0xffff0000, v0
	;; [unrolled: 1-line block ×5, first 2 shown]
	v_add_f32_e32 v11, v51, v50
	v_add_f32_e32 v0, v0, v6
	v_and_b32_e32 v8, 0xffff0000, v8
	s_delay_alu instid0(VALU_DEP_3) | instskip(SKIP_1) | instid1(VALU_DEP_3)
	v_add_f32_e32 v10, v10, v11
	v_and_b32_e32 v51, 0xffff0000, v87
	v_dual_add_f32 v6, v8, v38 :: v_dual_and_b32 v11, 0xffff0000, v99
	v_and_b32_e32 v8, 0xffff0000, v49
	s_delay_alu instid0(VALU_DEP_4)
	v_add_f32_e32 v10, v10, v52
	v_and_b32_e32 v36, 0xffff0000, v36
	v_and_b32_e32 v34, 0xffff0000, v34
	v_dual_add_f32 v51, v54, v51 :: v_dual_and_b32 v32, 0xffff0000, v32
	v_and_b32_e32 v54, 0xffff0000, v98
	v_dual_add_f32 v0, v0, v6 :: v_dual_and_b32 v35, 0xffff0000, v35
	s_delay_alu instid0(VALU_DEP_3) | instskip(NEXT) | instid1(VALU_DEP_3)
	v_add_f32_e32 v31, v32, v33
	v_dual_add_f32 v11, v54, v11 :: v_dual_and_b32 v50, 0xffff0000, v97
	v_and_b32_e32 v52, 0xffff0000, v100
	s_delay_alu instid0(VALU_DEP_3) | instskip(NEXT) | instid1(VALU_DEP_3)
	v_dual_add_f32 v6, v8, v12 :: v_dual_add_f32 v13, v13, v31
	v_dual_add_f32 v50, v55, v50 :: v_dual_add_f32 v31, v34, v35
	s_delay_alu instid0(VALU_DEP_2) | instskip(NEXT) | instid1(VALU_DEP_2)
	v_dual_add_f32 v0, v0, v6 :: v_dual_and_b32 v7, 0xffff0000, v7
	v_dual_add_f32 v50, v51, v50 :: v_dual_add_f32 v51, v64, v53
	s_delay_alu instid0(VALU_DEP_3) | instskip(NEXT) | instid1(VALU_DEP_1)
	v_dual_add_f32 v12, v13, v31 :: v_dual_and_b32 v53, 0xffff0000, v101
	v_dual_add_f32 v11, v50, v11 :: v_dual_add_f32 v8, v52, v53
	s_delay_alu instid0(VALU_DEP_1) | instskip(NEXT) | instid1(VALU_DEP_1)
	v_dual_add_f32 v8, v11, v8 :: v_dual_and_b32 v9, 0xffff0000, v9
	v_add_f32_e32 v6, v9, v7
	v_add_f32_e32 v7, v10, v51
	;; [unrolled: 1-line block ×3, first 2 shown]
	s_delay_alu instid0(VALU_DEP_3) | instskip(NEXT) | instid1(VALU_DEP_2)
	v_dual_add_f32 v19, v19, v8 :: v_dual_add_f32 v0, v0, v6
	v_dual_add_f32 v2, v2, v7 :: v_dual_add_f32 v9, v12, v13
	s_delay_alu instid0(VALU_DEP_1)
	v_dual_add_f32 v3, v3, v0 :: v_dual_add_f32 v24, v24, v9
.LBB382_423:                            ;   in Loop: Header=BB382_424 Depth=1
	s_or_b32 exec_lo, exec_lo, s11
	v_add_nc_u32_e32 v48, 4, v48
	v_add_co_u32 v14, s1, v14, 16
	s_delay_alu instid0(VALU_DEP_1) | instskip(NEXT) | instid1(VALU_DEP_3)
	v_add_co_ci_u32_e64 v15, s1, 0, v15, s1
	v_cmp_ge_i32_e32 vcc_lo, v48, v71
	v_add_nc_u32_e32 v23, 32, v23
	v_add_nc_u32_e32 v29, 0x80, v29
	s_or_b32 s10, vcc_lo, s10
	s_delay_alu instid0(SALU_CYCLE_1)
	s_and_not1_b32 exec_lo, exec_lo, s10
	s_cbranch_execz .LBB382_977
.LBB382_424:                            ; =>This Inner Loop Header: Depth=1
	v_sub_nc_u32_e32 v0, 0, v23
	s_delay_alu instid0(VALU_DEP_1) | instskip(NEXT) | instid1(VALU_DEP_1)
	v_max_i32_e32 v0, v23, v0
	v_mul_hi_u32 v6, v0, v69
	s_delay_alu instid0(VALU_DEP_1) | instskip(NEXT) | instid1(VALU_DEP_1)
	v_mul_lo_u32 v7, v6, v68
	v_sub_nc_u32_e32 v0, v0, v7
	s_delay_alu instid0(VALU_DEP_1) | instskip(SKIP_1) | instid1(VALU_DEP_2)
	v_sub_nc_u32_e32 v8, v0, v68
	v_cmp_ge_u32_e32 vcc_lo, v0, v68
	v_dual_cndmask_b32 v0, v0, v8 :: v_dual_add_nc_u32 v7, 1, v6
	s_delay_alu instid0(VALU_DEP_1) | instskip(SKIP_1) | instid1(VALU_DEP_3)
	v_cndmask_b32_e32 v6, v6, v7, vcc_lo
	v_ashrrev_i32_e32 v7, 31, v23
	v_cmp_ge_u32_e32 vcc_lo, v0, v68
	s_delay_alu instid0(VALU_DEP_3) | instskip(NEXT) | instid1(VALU_DEP_3)
	v_add_nc_u32_e32 v8, 1, v6
	v_xor_b32_e32 v7, v7, v70
	s_delay_alu instid0(VALU_DEP_2) | instskip(NEXT) | instid1(VALU_DEP_1)
	v_cndmask_b32_e32 v0, v6, v8, vcc_lo
	v_xor_b32_e32 v0, v0, v7
	s_delay_alu instid0(VALU_DEP_1) | instskip(NEXT) | instid1(VALU_DEP_1)
	v_sub_nc_u32_e32 v0, v0, v7
	v_add_nc_u32_e32 v6, v0, v20
	v_cmp_gt_i32_e64 s1, v0, v80
	s_delay_alu instid0(VALU_DEP_2) | instskip(NEXT) | instid1(VALU_DEP_1)
	v_sub_nc_u32_e32 v7, 0, v6
	v_max_i32_e32 v7, v6, v7
	v_ashrrev_i32_e32 v6, 31, v6
	s_delay_alu instid0(VALU_DEP_2) | instskip(NEXT) | instid1(VALU_DEP_1)
	v_mul_hi_u32 v8, v7, v30
	v_mul_lo_u32 v8, v8, v25
	s_delay_alu instid0(VALU_DEP_1) | instskip(NEXT) | instid1(VALU_DEP_1)
	v_sub_nc_u32_e32 v7, v7, v8
	v_sub_nc_u32_e32 v8, v7, v25
	v_cmp_ge_u32_e32 vcc_lo, v7, v25
	s_delay_alu instid0(VALU_DEP_2) | instskip(NEXT) | instid1(VALU_DEP_1)
	v_cndmask_b32_e32 v7, v7, v8, vcc_lo
	v_sub_nc_u32_e32 v8, v7, v25
	v_cmp_ge_u32_e32 vcc_lo, v7, v25
	s_delay_alu instid0(VALU_DEP_2) | instskip(NEXT) | instid1(VALU_DEP_1)
	v_cndmask_b32_e32 v7, v7, v8, vcc_lo
	v_xor_b32_e32 v7, v7, v6
	s_delay_alu instid0(VALU_DEP_1) | instskip(NEXT) | instid1(VALU_DEP_1)
	v_sub_nc_u32_e32 v6, v7, v6
	v_cmp_eq_u32_e32 vcc_lo, 0, v6
	s_or_b32 s1, vcc_lo, s1
	s_delay_alu instid0(SALU_CYCLE_1)
	s_and_saveexec_b32 s11, s1
	s_cbranch_execz .LBB382_423
; %bb.425:                              ;   in Loop: Header=BB382_424 Depth=1
	flat_load_b32 v0, v[14:15]
	ds_load_2addr_b64 v[10:13], v29 offset1:1
	ds_load_2addr_b64 v[6:9], v29 offset0:2 offset1:3
	s_mov_b32 s1, exec_lo
                                        ; implicit-def: $vgpr55
	s_waitcnt lgkmcnt(1)
	v_and_b32_e32 v31, 0x7f800000, v10
	s_delay_alu instid0(VALU_DEP_1)
	v_cmpx_ne_u32_e32 0x7f800000, v31
	s_xor_b32 s1, exec_lo, s1
; %bb.426:                              ;   in Loop: Header=BB382_424 Depth=1
	v_bfe_u32 v31, v10, 16, 1
	s_delay_alu instid0(VALU_DEP_1)
	v_add3_u32 v55, v10, v31, 0x7fff
; %bb.427:                              ;   in Loop: Header=BB382_424 Depth=1
	s_and_not1_saveexec_b32 s1, s1
; %bb.428:                              ;   in Loop: Header=BB382_424 Depth=1
	v_and_b32_e32 v31, 0xffff, v10
	v_or_b32_e32 v32, 0x10000, v10
	s_delay_alu instid0(VALU_DEP_2) | instskip(NEXT) | instid1(VALU_DEP_2)
	v_cmp_eq_u32_e32 vcc_lo, 0, v31
	v_cndmask_b32_e32 v55, v32, v10, vcc_lo
; %bb.429:                              ;   in Loop: Header=BB382_424 Depth=1
	s_or_b32 exec_lo, exec_lo, s1
	v_and_b32_e32 v10, 0x7f800000, v11
	s_mov_b32 s1, exec_lo
                                        ; implicit-def: $vgpr31
	s_delay_alu instid0(VALU_DEP_1)
	v_cmpx_ne_u32_e32 0x7f800000, v10
	s_xor_b32 s1, exec_lo, s1
; %bb.430:                              ;   in Loop: Header=BB382_424 Depth=1
	v_bfe_u32 v10, v11, 16, 1
	s_delay_alu instid0(VALU_DEP_1)
	v_add3_u32 v31, v11, v10, 0x7fff
; %bb.431:                              ;   in Loop: Header=BB382_424 Depth=1
	s_and_not1_saveexec_b32 s1, s1
; %bb.432:                              ;   in Loop: Header=BB382_424 Depth=1
	v_and_b32_e32 v10, 0xffff, v11
	v_or_b32_e32 v31, 0x10000, v11
	s_delay_alu instid0(VALU_DEP_2) | instskip(NEXT) | instid1(VALU_DEP_2)
	v_cmp_eq_u32_e32 vcc_lo, 0, v10
	v_cndmask_b32_e32 v31, v31, v11, vcc_lo
; %bb.433:                              ;   in Loop: Header=BB382_424 Depth=1
	s_or_b32 exec_lo, exec_lo, s1
	v_and_b32_e32 v10, 0x7f800000, v12
	s_mov_b32 s1, exec_lo
                                        ; implicit-def: $vgpr32
	s_delay_alu instid0(VALU_DEP_1)
	v_cmpx_ne_u32_e32 0x7f800000, v10
	s_xor_b32 s1, exec_lo, s1
; %bb.434:                              ;   in Loop: Header=BB382_424 Depth=1
	v_bfe_u32 v10, v12, 16, 1
	s_delay_alu instid0(VALU_DEP_1)
	v_add3_u32 v32, v12, v10, 0x7fff
; %bb.435:                              ;   in Loop: Header=BB382_424 Depth=1
	s_and_not1_saveexec_b32 s1, s1
; %bb.436:                              ;   in Loop: Header=BB382_424 Depth=1
	v_and_b32_e32 v10, 0xffff, v12
	v_or_b32_e32 v11, 0x10000, v12
	s_delay_alu instid0(VALU_DEP_2) | instskip(NEXT) | instid1(VALU_DEP_2)
	v_cmp_eq_u32_e32 vcc_lo, 0, v10
	v_cndmask_b32_e32 v32, v11, v12, vcc_lo
; %bb.437:                              ;   in Loop: Header=BB382_424 Depth=1
	s_or_b32 exec_lo, exec_lo, s1
	v_and_b32_e32 v10, 0x7f800000, v13
	s_mov_b32 s1, exec_lo
                                        ; implicit-def: $vgpr33
	s_delay_alu instid0(VALU_DEP_1)
	v_cmpx_ne_u32_e32 0x7f800000, v10
	s_xor_b32 s1, exec_lo, s1
; %bb.438:                              ;   in Loop: Header=BB382_424 Depth=1
	v_bfe_u32 v10, v13, 16, 1
	s_delay_alu instid0(VALU_DEP_1)
	v_add3_u32 v33, v13, v10, 0x7fff
                                        ; implicit-def: $vgpr10_vgpr11_vgpr12_vgpr13
; %bb.439:                              ;   in Loop: Header=BB382_424 Depth=1
	s_and_not1_saveexec_b32 s1, s1
; %bb.440:                              ;   in Loop: Header=BB382_424 Depth=1
	v_and_b32_e32 v10, 0xffff, v13
	v_or_b32_e32 v11, 0x10000, v13
	s_delay_alu instid0(VALU_DEP_2) | instskip(NEXT) | instid1(VALU_DEP_2)
	v_cmp_eq_u32_e32 vcc_lo, 0, v10
	v_cndmask_b32_e32 v33, v11, v13, vcc_lo
; %bb.441:                              ;   in Loop: Header=BB382_424 Depth=1
	s_or_b32 exec_lo, exec_lo, s1
	s_waitcnt lgkmcnt(0)
	v_and_b32_e32 v10, 0x7f800000, v6
	s_mov_b32 s1, exec_lo
                                        ; implicit-def: $vgpr34
	s_delay_alu instid0(VALU_DEP_1)
	v_cmpx_ne_u32_e32 0x7f800000, v10
	s_xor_b32 s1, exec_lo, s1
; %bb.442:                              ;   in Loop: Header=BB382_424 Depth=1
	v_bfe_u32 v10, v6, 16, 1
	s_delay_alu instid0(VALU_DEP_1)
	v_add3_u32 v34, v6, v10, 0x7fff
; %bb.443:                              ;   in Loop: Header=BB382_424 Depth=1
	s_and_not1_saveexec_b32 s1, s1
; %bb.444:                              ;   in Loop: Header=BB382_424 Depth=1
	v_and_b32_e32 v10, 0xffff, v6
	v_or_b32_e32 v11, 0x10000, v6
	s_delay_alu instid0(VALU_DEP_2) | instskip(NEXT) | instid1(VALU_DEP_2)
	v_cmp_eq_u32_e32 vcc_lo, 0, v10
	v_cndmask_b32_e32 v34, v11, v6, vcc_lo
; %bb.445:                              ;   in Loop: Header=BB382_424 Depth=1
	s_or_b32 exec_lo, exec_lo, s1
	v_and_b32_e32 v6, 0x7f800000, v7
	s_mov_b32 s1, exec_lo
                                        ; implicit-def: $vgpr35
	s_delay_alu instid0(VALU_DEP_1)
	v_cmpx_ne_u32_e32 0x7f800000, v6
	s_xor_b32 s1, exec_lo, s1
; %bb.446:                              ;   in Loop: Header=BB382_424 Depth=1
	v_bfe_u32 v6, v7, 16, 1
	s_delay_alu instid0(VALU_DEP_1)
	v_add3_u32 v35, v7, v6, 0x7fff
; %bb.447:                              ;   in Loop: Header=BB382_424 Depth=1
	s_and_not1_saveexec_b32 s1, s1
; %bb.448:                              ;   in Loop: Header=BB382_424 Depth=1
	v_and_b32_e32 v6, 0xffff, v7
	v_or_b32_e32 v10, 0x10000, v7
	s_delay_alu instid0(VALU_DEP_2) | instskip(NEXT) | instid1(VALU_DEP_2)
	v_cmp_eq_u32_e32 vcc_lo, 0, v6
	v_cndmask_b32_e32 v35, v10, v7, vcc_lo
; %bb.449:                              ;   in Loop: Header=BB382_424 Depth=1
	s_or_b32 exec_lo, exec_lo, s1
	v_and_b32_e32 v6, 0x7f800000, v8
	s_mov_b32 s1, exec_lo
                                        ; implicit-def: $vgpr36
	s_delay_alu instid0(VALU_DEP_1)
	v_cmpx_ne_u32_e32 0x7f800000, v6
	s_xor_b32 s1, exec_lo, s1
; %bb.450:                              ;   in Loop: Header=BB382_424 Depth=1
	v_bfe_u32 v6, v8, 16, 1
	s_delay_alu instid0(VALU_DEP_1)
	v_add3_u32 v36, v8, v6, 0x7fff
; %bb.451:                              ;   in Loop: Header=BB382_424 Depth=1
	s_and_not1_saveexec_b32 s1, s1
; %bb.452:                              ;   in Loop: Header=BB382_424 Depth=1
	v_and_b32_e32 v6, 0xffff, v8
	v_or_b32_e32 v7, 0x10000, v8
	s_delay_alu instid0(VALU_DEP_2) | instskip(NEXT) | instid1(VALU_DEP_2)
	v_cmp_eq_u32_e32 vcc_lo, 0, v6
	v_cndmask_b32_e32 v36, v7, v8, vcc_lo
; %bb.453:                              ;   in Loop: Header=BB382_424 Depth=1
	s_or_b32 exec_lo, exec_lo, s1
	v_and_b32_e32 v6, 0x7f800000, v9
	s_mov_b32 s1, exec_lo
                                        ; implicit-def: $vgpr37
	s_delay_alu instid0(VALU_DEP_1)
	v_cmpx_ne_u32_e32 0x7f800000, v6
	s_xor_b32 s1, exec_lo, s1
; %bb.454:                              ;   in Loop: Header=BB382_424 Depth=1
	v_bfe_u32 v6, v9, 16, 1
	s_delay_alu instid0(VALU_DEP_1)
	v_add3_u32 v37, v9, v6, 0x7fff
                                        ; implicit-def: $vgpr6_vgpr7_vgpr8_vgpr9
; %bb.455:                              ;   in Loop: Header=BB382_424 Depth=1
	s_and_not1_saveexec_b32 s1, s1
; %bb.456:                              ;   in Loop: Header=BB382_424 Depth=1
	v_and_b32_e32 v6, 0xffff, v9
	v_or_b32_e32 v7, 0x10000, v9
	s_delay_alu instid0(VALU_DEP_2) | instskip(NEXT) | instid1(VALU_DEP_2)
	v_cmp_eq_u32_e32 vcc_lo, 0, v6
	v_cndmask_b32_e32 v37, v7, v9, vcc_lo
; %bb.457:                              ;   in Loop: Header=BB382_424 Depth=1
	s_or_b32 exec_lo, exec_lo, s1
	s_waitcnt vmcnt(0)
	v_mad_i64_i32 v[6:7], null, v0, v22, v[16:17]
	v_mov_b32_e32 v0, 0
	s_mov_b32 s1, exec_lo
	flat_load_b64 v[8:9], v[6:7]
	flat_load_b32 v12, v[26:27]
	s_waitcnt vmcnt(1) lgkmcnt(1)
	v_and_b32_e32 v10, 0xff, v8
	s_delay_alu instid0(VALU_DEP_1)
	v_cmpx_ne_u16_e32 0, v10
	s_cbranch_execz .LBB382_465
; %bb.458:                              ;   in Loop: Header=BB382_424 Depth=1
	v_bfrev_b32_e32 v0, 1
	s_mov_b32 s12, exec_lo
	v_cmpx_ne_u16_e32 0x80, v10
	s_cbranch_execz .LBB382_464
; %bb.459:                              ;   in Loop: Header=BB382_424 Depth=1
	v_and_b32_e32 v10, 0x7f, v8
	v_mov_b32_e32 v0, 0x7f800001
	s_mov_b32 s13, exec_lo
	s_delay_alu instid0(VALU_DEP_2)
	v_cmpx_ne_u32_e32 0x7f, v10
	s_cbranch_execz .LBB382_463
; %bb.460:                              ;   in Loop: Header=BB382_424 Depth=1
	v_lshrrev_b32_e32 v0, 3, v10
	v_cmp_gt_u32_e32 vcc_lo, 8, v10
	v_dual_mov_b32 v11, v9 :: v_dual_mov_b32 v10, v8
	s_and_saveexec_b32 s15, vcc_lo
; %bb.461:                              ;   in Loop: Header=BB382_424 Depth=1
	v_and_b32_e32 v0, 7, v8
	s_delay_alu instid0(VALU_DEP_1) | instskip(NEXT) | instid1(VALU_DEP_1)
	v_clz_i32_u32_e32 v0, v0
	v_min_u32_e32 v0, 32, v0
	s_delay_alu instid0(VALU_DEP_1) | instskip(SKIP_1) | instid1(VALU_DEP_2)
	v_subrev_nc_u32_e32 v10, 28, v0
	v_sub_nc_u32_e32 v0, 29, v0
	v_lshlrev_b64 v[10:11], v10, v[8:9]
; %bb.462:                              ;   in Loop: Header=BB382_424 Depth=1
	s_or_b32 exec_lo, exec_lo, s15
	s_delay_alu instid0(VALU_DEP_1) | instskip(SKIP_2) | instid1(VALU_DEP_3)
	v_lshlrev_b32_e32 v10, 20, v10
	v_lshlrev_b32_e32 v11, 24, v8
	v_lshl_add_u32 v0, v0, 23, 0x3c000000
	v_and_b32_e32 v10, 0x700000, v10
	s_delay_alu instid0(VALU_DEP_3) | instskip(NEXT) | instid1(VALU_DEP_1)
	v_and_b32_e32 v11, 0x80000000, v11
	v_or3_b32 v0, v10, v11, v0
.LBB382_463:                            ;   in Loop: Header=BB382_424 Depth=1
	s_or_b32 exec_lo, exec_lo, s13
.LBB382_464:                            ;   in Loop: Header=BB382_424 Depth=1
	s_delay_alu instid0(SALU_CYCLE_1)
	s_or_b32 exec_lo, exec_lo, s12
.LBB382_465:                            ;   in Loop: Header=BB382_424 Depth=1
	s_delay_alu instid0(SALU_CYCLE_1) | instskip(SKIP_3) | instid1(VALU_DEP_1)
	s_or_b32 exec_lo, exec_lo, s1
	s_waitcnt vmcnt(0) lgkmcnt(0)
	v_mul_f32_e32 v0, v12, v0
	s_mov_b32 s1, exec_lo
                                        ; implicit-def: $vgpr13
	v_and_b32_e32 v10, 0x7f800000, v0
	s_delay_alu instid0(VALU_DEP_1)
	v_cmpx_ne_u32_e32 0x7f800000, v10
	s_xor_b32 s1, exec_lo, s1
; %bb.466:                              ;   in Loop: Header=BB382_424 Depth=1
	v_bfe_u32 v10, v0, 16, 1
	s_delay_alu instid0(VALU_DEP_1)
	v_add3_u32 v13, v0, v10, 0x7fff
                                        ; implicit-def: $vgpr0
; %bb.467:                              ;   in Loop: Header=BB382_424 Depth=1
	s_and_not1_saveexec_b32 s1, s1
; %bb.468:                              ;   in Loop: Header=BB382_424 Depth=1
	v_and_b32_e32 v10, 0xffff, v0
	v_or_b32_e32 v11, 0x10000, v0
	s_delay_alu instid0(VALU_DEP_2) | instskip(NEXT) | instid1(VALU_DEP_2)
	v_cmp_eq_u32_e32 vcc_lo, 0, v10
	v_cndmask_b32_e32 v13, v11, v0, vcc_lo
; %bb.469:                              ;   in Loop: Header=BB382_424 Depth=1
	s_or_b32 exec_lo, exec_lo, s1
	v_lshrrev_b16 v10, 8, v8
	v_mov_b32_e32 v0, 0
	s_mov_b32 s1, exec_lo
	s_delay_alu instid0(VALU_DEP_2)
	v_cmpx_ne_u16_e32 0, v10
	s_cbranch_execz .LBB382_477
; %bb.470:                              ;   in Loop: Header=BB382_424 Depth=1
	v_bfrev_b32_e32 v0, 1
	s_mov_b32 s12, exec_lo
	v_cmpx_ne_u16_e32 0x80, v10
	s_cbranch_execz .LBB382_476
; %bb.471:                              ;   in Loop: Header=BB382_424 Depth=1
	v_and_b32_e32 v10, 0xffff, v10
	v_mov_b32_e32 v0, 0x7f800001
	s_mov_b32 s13, exec_lo
	s_delay_alu instid0(VALU_DEP_2) | instskip(NEXT) | instid1(VALU_DEP_1)
	v_and_b32_e32 v11, 0x7f, v10
	v_cmpx_ne_u32_e32 0x7f, v11
	s_cbranch_execz .LBB382_475
; %bb.472:                              ;   in Loop: Header=BB382_424 Depth=1
	v_and_b32_e32 v0, 7, v10
	v_lshrrev_b32_e32 v10, 3, v11
	s_mov_b32 s15, exec_lo
	v_cmpx_gt_u32_e32 8, v11
; %bb.473:                              ;   in Loop: Header=BB382_424 Depth=1
	s_delay_alu instid0(VALU_DEP_3) | instskip(NEXT) | instid1(VALU_DEP_1)
	v_clz_i32_u32_e32 v10, v0
	v_min_u32_e32 v10, 32, v10
	s_delay_alu instid0(VALU_DEP_1) | instskip(SKIP_1) | instid1(VALU_DEP_2)
	v_subrev_nc_u32_e32 v11, 28, v10
	v_sub_nc_u32_e32 v10, 29, v10
	v_lshlrev_b64 v[49:50], v11, v[0:1]
	s_delay_alu instid0(VALU_DEP_1)
	v_and_b32_e32 v0, 7, v49
; %bb.474:                              ;   in Loop: Header=BB382_424 Depth=1
	s_or_b32 exec_lo, exec_lo, s15
	v_lshlrev_b32_e32 v11, 16, v8
	s_delay_alu instid0(VALU_DEP_2) | instskip(SKIP_1) | instid1(VALU_DEP_3)
	v_lshlrev_b32_e32 v0, 20, v0
	v_lshl_add_u32 v10, v10, 23, 0x3c000000
	v_and_b32_e32 v11, 0x80000000, v11
	s_delay_alu instid0(VALU_DEP_1)
	v_or3_b32 v0, v0, v11, v10
.LBB382_475:                            ;   in Loop: Header=BB382_424 Depth=1
	s_or_b32 exec_lo, exec_lo, s13
.LBB382_476:                            ;   in Loop: Header=BB382_424 Depth=1
	s_delay_alu instid0(SALU_CYCLE_1)
	s_or_b32 exec_lo, exec_lo, s12
.LBB382_477:                            ;   in Loop: Header=BB382_424 Depth=1
	s_delay_alu instid0(SALU_CYCLE_1) | instskip(NEXT) | instid1(VALU_DEP_1)
	s_or_b32 exec_lo, exec_lo, s1
	v_mul_f32_e32 v0, v12, v0
	s_mov_b32 s1, exec_lo
                                        ; implicit-def: $vgpr38
	s_delay_alu instid0(VALU_DEP_1) | instskip(NEXT) | instid1(VALU_DEP_1)
	v_and_b32_e32 v10, 0x7f800000, v0
	v_cmpx_ne_u32_e32 0x7f800000, v10
	s_xor_b32 s1, exec_lo, s1
; %bb.478:                              ;   in Loop: Header=BB382_424 Depth=1
	v_bfe_u32 v10, v0, 16, 1
	s_delay_alu instid0(VALU_DEP_1)
	v_add3_u32 v38, v0, v10, 0x7fff
                                        ; implicit-def: $vgpr0
; %bb.479:                              ;   in Loop: Header=BB382_424 Depth=1
	s_and_not1_saveexec_b32 s1, s1
; %bb.480:                              ;   in Loop: Header=BB382_424 Depth=1
	v_and_b32_e32 v10, 0xffff, v0
	v_or_b32_e32 v11, 0x10000, v0
	s_delay_alu instid0(VALU_DEP_2) | instskip(NEXT) | instid1(VALU_DEP_2)
	v_cmp_eq_u32_e32 vcc_lo, 0, v10
	v_cndmask_b32_e32 v38, v11, v0, vcc_lo
; %bb.481:                              ;   in Loop: Header=BB382_424 Depth=1
	s_or_b32 exec_lo, exec_lo, s1
	v_lshrrev_b32_e32 v10, 16, v8
	s_mov_b32 s1, exec_lo
	s_delay_alu instid0(VALU_DEP_1) | instskip(NEXT) | instid1(VALU_DEP_1)
	v_dual_mov_b32 v0, 0 :: v_dual_and_b32 v11, 0xff, v10
	v_cmpx_ne_u16_e32 0, v11
	s_cbranch_execz .LBB382_489
; %bb.482:                              ;   in Loop: Header=BB382_424 Depth=1
	v_bfrev_b32_e32 v0, 1
	s_mov_b32 s12, exec_lo
	v_cmpx_ne_u16_e32 0x80, v11
	s_cbranch_execz .LBB382_488
; %bb.483:                              ;   in Loop: Header=BB382_424 Depth=1
	v_bfe_u32 v49, v8, 16, 7
	v_mov_b32_e32 v0, 0x7f800001
	s_mov_b32 s13, exec_lo
	s_delay_alu instid0(VALU_DEP_2)
	v_cmpx_ne_u32_e32 0x7f, v49
	s_cbranch_execz .LBB382_487
; %bb.484:                              ;   in Loop: Header=BB382_424 Depth=1
	v_and_b32_e32 v0, 7, v10
	v_lshrrev_b32_e32 v11, 3, v49
	s_mov_b32 s15, exec_lo
	v_cmpx_gt_u32_e32 8, v49
; %bb.485:                              ;   in Loop: Header=BB382_424 Depth=1
	s_delay_alu instid0(VALU_DEP_3) | instskip(NEXT) | instid1(VALU_DEP_1)
	v_clz_i32_u32_e32 v11, v0
	v_min_u32_e32 v11, 32, v11
	s_delay_alu instid0(VALU_DEP_1) | instskip(SKIP_1) | instid1(VALU_DEP_2)
	v_subrev_nc_u32_e32 v49, 28, v11
	v_sub_nc_u32_e32 v11, 29, v11
	v_lshlrev_b64 v[49:50], v49, v[0:1]
	s_delay_alu instid0(VALU_DEP_1)
	v_and_b32_e32 v0, 7, v49
; %bb.486:                              ;   in Loop: Header=BB382_424 Depth=1
	s_or_b32 exec_lo, exec_lo, s15
	v_lshlrev_b32_e32 v10, 24, v10
	s_delay_alu instid0(VALU_DEP_2) | instskip(SKIP_1) | instid1(VALU_DEP_3)
	v_lshlrev_b32_e32 v0, 20, v0
	v_lshl_add_u32 v11, v11, 23, 0x3c000000
	v_and_b32_e32 v10, 0x80000000, v10
	s_delay_alu instid0(VALU_DEP_1)
	v_or3_b32 v0, v0, v10, v11
.LBB382_487:                            ;   in Loop: Header=BB382_424 Depth=1
	s_or_b32 exec_lo, exec_lo, s13
.LBB382_488:                            ;   in Loop: Header=BB382_424 Depth=1
	s_delay_alu instid0(SALU_CYCLE_1)
	s_or_b32 exec_lo, exec_lo, s12
.LBB382_489:                            ;   in Loop: Header=BB382_424 Depth=1
	s_delay_alu instid0(SALU_CYCLE_1) | instskip(NEXT) | instid1(VALU_DEP_1)
	s_or_b32 exec_lo, exec_lo, s1
	v_mul_f32_e32 v0, v12, v0
	s_mov_b32 s1, exec_lo
                                        ; implicit-def: $vgpr49
	s_delay_alu instid0(VALU_DEP_1) | instskip(NEXT) | instid1(VALU_DEP_1)
	v_and_b32_e32 v10, 0x7f800000, v0
	v_cmpx_ne_u32_e32 0x7f800000, v10
	s_xor_b32 s1, exec_lo, s1
; %bb.490:                              ;   in Loop: Header=BB382_424 Depth=1
	v_bfe_u32 v10, v0, 16, 1
	s_delay_alu instid0(VALU_DEP_1)
	v_add3_u32 v49, v0, v10, 0x7fff
                                        ; implicit-def: $vgpr0
; %bb.491:                              ;   in Loop: Header=BB382_424 Depth=1
	s_and_not1_saveexec_b32 s1, s1
; %bb.492:                              ;   in Loop: Header=BB382_424 Depth=1
	v_and_b32_e32 v10, 0xffff, v0
	v_or_b32_e32 v11, 0x10000, v0
	s_delay_alu instid0(VALU_DEP_2) | instskip(NEXT) | instid1(VALU_DEP_2)
	v_cmp_eq_u32_e32 vcc_lo, 0, v10
	v_cndmask_b32_e32 v49, v11, v0, vcc_lo
; %bb.493:                              ;   in Loop: Header=BB382_424 Depth=1
	s_or_b32 exec_lo, exec_lo, s1
	v_mov_b32_e32 v0, 0
	s_mov_b32 s1, exec_lo
	v_cmpx_lt_u32_e32 0xffffff, v8
	s_cbranch_execz .LBB382_501
; %bb.494:                              ;   in Loop: Header=BB382_424 Depth=1
	v_lshrrev_b32_e32 v10, 24, v8
	v_bfrev_b32_e32 v0, 1
	s_mov_b32 s12, exec_lo
	s_delay_alu instid0(VALU_DEP_2)
	v_cmpx_ne_u32_e32 0x80, v10
	s_cbranch_execz .LBB382_500
; %bb.495:                              ;   in Loop: Header=BB382_424 Depth=1
	v_bfe_u32 v50, v8, 24, 7
	v_mov_b32_e32 v0, 0x7f800001
	s_mov_b32 s13, exec_lo
	s_delay_alu instid0(VALU_DEP_2)
	v_cmpx_ne_u32_e32 0x7f, v50
	s_cbranch_execz .LBB382_499
; %bb.496:                              ;   in Loop: Header=BB382_424 Depth=1
	v_and_b32_e32 v0, 7, v10
	v_lshrrev_b32_e32 v11, 3, v50
	s_mov_b32 s15, exec_lo
	v_cmpx_gt_u32_e32 8, v50
; %bb.497:                              ;   in Loop: Header=BB382_424 Depth=1
	s_delay_alu instid0(VALU_DEP_3) | instskip(NEXT) | instid1(VALU_DEP_1)
	v_clz_i32_u32_e32 v11, v0
	v_min_u32_e32 v11, 32, v11
	s_delay_alu instid0(VALU_DEP_1) | instskip(SKIP_1) | instid1(VALU_DEP_2)
	v_subrev_nc_u32_e32 v50, 28, v11
	v_sub_nc_u32_e32 v11, 29, v11
	v_lshlrev_b64 v[50:51], v50, v[0:1]
	s_delay_alu instid0(VALU_DEP_1)
	v_and_b32_e32 v0, 7, v50
; %bb.498:                              ;   in Loop: Header=BB382_424 Depth=1
	s_or_b32 exec_lo, exec_lo, s15
	v_lshlrev_b32_e32 v10, 24, v10
	s_delay_alu instid0(VALU_DEP_2) | instskip(SKIP_1) | instid1(VALU_DEP_3)
	v_lshlrev_b32_e32 v0, 20, v0
	v_lshl_add_u32 v11, v11, 23, 0x3c000000
	v_and_b32_e32 v10, 0x80000000, v10
	s_delay_alu instid0(VALU_DEP_1)
	v_or3_b32 v0, v0, v10, v11
.LBB382_499:                            ;   in Loop: Header=BB382_424 Depth=1
	s_or_b32 exec_lo, exec_lo, s13
.LBB382_500:                            ;   in Loop: Header=BB382_424 Depth=1
	s_delay_alu instid0(SALU_CYCLE_1)
	s_or_b32 exec_lo, exec_lo, s12
.LBB382_501:                            ;   in Loop: Header=BB382_424 Depth=1
	s_delay_alu instid0(SALU_CYCLE_1) | instskip(NEXT) | instid1(VALU_DEP_1)
	s_or_b32 exec_lo, exec_lo, s1
	v_mul_f32_e32 v0, v12, v0
	s_mov_b32 s1, exec_lo
                                        ; implicit-def: $vgpr50
	s_delay_alu instid0(VALU_DEP_1) | instskip(NEXT) | instid1(VALU_DEP_1)
	v_and_b32_e32 v10, 0x7f800000, v0
	v_cmpx_ne_u32_e32 0x7f800000, v10
	s_xor_b32 s1, exec_lo, s1
; %bb.502:                              ;   in Loop: Header=BB382_424 Depth=1
	v_bfe_u32 v10, v0, 16, 1
	s_delay_alu instid0(VALU_DEP_1)
	v_add3_u32 v50, v0, v10, 0x7fff
                                        ; implicit-def: $vgpr0
; %bb.503:                              ;   in Loop: Header=BB382_424 Depth=1
	s_and_not1_saveexec_b32 s1, s1
; %bb.504:                              ;   in Loop: Header=BB382_424 Depth=1
	v_and_b32_e32 v10, 0xffff, v0
	v_or_b32_e32 v11, 0x10000, v0
	s_delay_alu instid0(VALU_DEP_2) | instskip(NEXT) | instid1(VALU_DEP_2)
	v_cmp_eq_u32_e32 vcc_lo, 0, v10
	v_cndmask_b32_e32 v50, v11, v0, vcc_lo
; %bb.505:                              ;   in Loop: Header=BB382_424 Depth=1
	s_or_b32 exec_lo, exec_lo, s1
	v_dual_mov_b32 v0, v9 :: v_dual_and_b32 v11, 0xff, v9
	v_mov_b32_e32 v10, 0
	s_mov_b32 s1, exec_lo
	s_delay_alu instid0(VALU_DEP_2)
	v_cmpx_ne_u16_e32 0, v11
	s_cbranch_execz .LBB382_513
; %bb.506:                              ;   in Loop: Header=BB382_424 Depth=1
	v_bfrev_b32_e32 v10, 1
	s_mov_b32 s12, exec_lo
	v_cmpx_ne_u16_e32 0x80, v11
	s_cbranch_execz .LBB382_512
; %bb.507:                              ;   in Loop: Header=BB382_424 Depth=1
	v_and_b32_e32 v11, 0x7f, v9
	v_mov_b32_e32 v10, 0x7f800001
	s_mov_b32 s13, exec_lo
	s_delay_alu instid0(VALU_DEP_2)
	v_cmpx_ne_u32_e32 0x7f, v11
	s_cbranch_execz .LBB382_511
; %bb.508:                              ;   in Loop: Header=BB382_424 Depth=1
	v_lshrrev_b32_e32 v51, 3, v11
	v_cmp_gt_u32_e32 vcc_lo, 8, v11
	v_dual_mov_b32 v11, v1 :: v_dual_mov_b32 v10, v0
	s_and_saveexec_b32 s15, vcc_lo
; %bb.509:                              ;   in Loop: Header=BB382_424 Depth=1
	v_and_b32_e32 v10, 7, v9
	s_delay_alu instid0(VALU_DEP_1) | instskip(NEXT) | instid1(VALU_DEP_1)
	v_clz_i32_u32_e32 v10, v10
	v_min_u32_e32 v51, 32, v10
	s_delay_alu instid0(VALU_DEP_1) | instskip(SKIP_1) | instid1(VALU_DEP_2)
	v_subrev_nc_u32_e32 v10, 28, v51
	v_sub_nc_u32_e32 v51, 29, v51
	v_lshlrev_b64 v[10:11], v10, v[0:1]
; %bb.510:                              ;   in Loop: Header=BB382_424 Depth=1
	s_or_b32 exec_lo, exec_lo, s15
	s_delay_alu instid0(VALU_DEP_1) | instskip(SKIP_2) | instid1(VALU_DEP_3)
	v_lshlrev_b32_e32 v10, 20, v10
	v_lshlrev_b32_e32 v11, 24, v0
	v_lshl_add_u32 v51, v51, 23, 0x3c000000
	v_and_b32_e32 v10, 0x700000, v10
	s_delay_alu instid0(VALU_DEP_3) | instskip(NEXT) | instid1(VALU_DEP_1)
	v_and_b32_e32 v11, 0x80000000, v11
	v_or3_b32 v10, v10, v11, v51
.LBB382_511:                            ;   in Loop: Header=BB382_424 Depth=1
	s_or_b32 exec_lo, exec_lo, s13
.LBB382_512:                            ;   in Loop: Header=BB382_424 Depth=1
	s_delay_alu instid0(SALU_CYCLE_1)
	s_or_b32 exec_lo, exec_lo, s12
.LBB382_513:                            ;   in Loop: Header=BB382_424 Depth=1
	s_delay_alu instid0(SALU_CYCLE_1) | instskip(NEXT) | instid1(VALU_DEP_1)
	s_or_b32 exec_lo, exec_lo, s1
	v_mul_f32_e32 v10, v12, v10
	s_mov_b32 s1, exec_lo
                                        ; implicit-def: $vgpr51
	s_delay_alu instid0(VALU_DEP_1) | instskip(NEXT) | instid1(VALU_DEP_1)
	v_and_b32_e32 v11, 0x7f800000, v10
	v_cmpx_ne_u32_e32 0x7f800000, v11
	s_xor_b32 s1, exec_lo, s1
; %bb.514:                              ;   in Loop: Header=BB382_424 Depth=1
	v_bfe_u32 v11, v10, 16, 1
	s_delay_alu instid0(VALU_DEP_1)
	v_add3_u32 v51, v10, v11, 0x7fff
                                        ; implicit-def: $vgpr10
; %bb.515:                              ;   in Loop: Header=BB382_424 Depth=1
	s_and_not1_saveexec_b32 s1, s1
; %bb.516:                              ;   in Loop: Header=BB382_424 Depth=1
	v_and_b32_e32 v11, 0xffff, v10
	v_or_b32_e32 v51, 0x10000, v10
	s_delay_alu instid0(VALU_DEP_2) | instskip(NEXT) | instid1(VALU_DEP_2)
	v_cmp_eq_u32_e32 vcc_lo, 0, v11
	v_cndmask_b32_e32 v51, v51, v10, vcc_lo
; %bb.517:                              ;   in Loop: Header=BB382_424 Depth=1
	s_or_b32 exec_lo, exec_lo, s1
	v_lshrrev_b16 v11, 8, v0
	v_mov_b32_e32 v10, 0
	s_mov_b32 s1, exec_lo
	s_delay_alu instid0(VALU_DEP_2)
	v_cmpx_ne_u16_e32 0, v11
	s_cbranch_execz .LBB382_525
; %bb.518:                              ;   in Loop: Header=BB382_424 Depth=1
	v_bfrev_b32_e32 v10, 1
	s_mov_b32 s12, exec_lo
	v_cmpx_ne_u16_e32 0x80, v11
	s_cbranch_execz .LBB382_524
; %bb.519:                              ;   in Loop: Header=BB382_424 Depth=1
	v_and_b32_e32 v11, 0xffff, v11
	v_mov_b32_e32 v10, 0x7f800001
	s_mov_b32 s13, exec_lo
	s_delay_alu instid0(VALU_DEP_2) | instskip(NEXT) | instid1(VALU_DEP_1)
	v_and_b32_e32 v53, 0x7f, v11
	v_cmpx_ne_u32_e32 0x7f, v53
	s_cbranch_execz .LBB382_523
; %bb.520:                              ;   in Loop: Header=BB382_424 Depth=1
	v_dual_mov_b32 v11, v1 :: v_dual_and_b32 v10, 7, v11
	v_lshrrev_b32_e32 v52, 3, v53
	s_mov_b32 s15, exec_lo
	v_cmpx_gt_u32_e32 8, v53
; %bb.521:                              ;   in Loop: Header=BB382_424 Depth=1
	s_delay_alu instid0(VALU_DEP_3) | instskip(NEXT) | instid1(VALU_DEP_1)
	v_clz_i32_u32_e32 v52, v10
	v_min_u32_e32 v52, 32, v52
	s_delay_alu instid0(VALU_DEP_1) | instskip(SKIP_1) | instid1(VALU_DEP_2)
	v_subrev_nc_u32_e32 v53, 28, v52
	v_sub_nc_u32_e32 v52, 29, v52
	v_lshlrev_b64 v[10:11], v53, v[10:11]
	s_delay_alu instid0(VALU_DEP_1)
	v_and_b32_e32 v10, 7, v10
; %bb.522:                              ;   in Loop: Header=BB382_424 Depth=1
	s_or_b32 exec_lo, exec_lo, s15
	v_lshlrev_b32_e32 v0, 16, v0
	s_delay_alu instid0(VALU_DEP_2) | instskip(SKIP_1) | instid1(VALU_DEP_3)
	v_lshlrev_b32_e32 v10, 20, v10
	v_lshl_add_u32 v11, v52, 23, 0x3c000000
	v_and_b32_e32 v0, 0x80000000, v0
	s_delay_alu instid0(VALU_DEP_1)
	v_or3_b32 v10, v10, v0, v11
.LBB382_523:                            ;   in Loop: Header=BB382_424 Depth=1
	s_or_b32 exec_lo, exec_lo, s13
.LBB382_524:                            ;   in Loop: Header=BB382_424 Depth=1
	s_delay_alu instid0(SALU_CYCLE_1)
	s_or_b32 exec_lo, exec_lo, s12
.LBB382_525:                            ;   in Loop: Header=BB382_424 Depth=1
	s_delay_alu instid0(SALU_CYCLE_1) | instskip(NEXT) | instid1(VALU_DEP_1)
	s_or_b32 exec_lo, exec_lo, s1
	v_mul_f32_e32 v0, v12, v10
	s_delay_alu instid0(VALU_DEP_1) | instskip(NEXT) | instid1(VALU_DEP_1)
	v_and_b32_e32 v10, 0x7f800000, v0
	v_cmp_ne_u32_e32 vcc_lo, 0x7f800000, v10
                                        ; implicit-def: $vgpr10
	s_and_saveexec_b32 s1, vcc_lo
	s_delay_alu instid0(SALU_CYCLE_1)
	s_xor_b32 s1, exec_lo, s1
; %bb.526:                              ;   in Loop: Header=BB382_424 Depth=1
	v_bfe_u32 v10, v0, 16, 1
	s_delay_alu instid0(VALU_DEP_1)
	v_add3_u32 v10, v0, v10, 0x7fff
                                        ; implicit-def: $vgpr0
; %bb.527:                              ;   in Loop: Header=BB382_424 Depth=1
	s_and_not1_saveexec_b32 s1, s1
; %bb.528:                              ;   in Loop: Header=BB382_424 Depth=1
	v_and_b32_e32 v10, 0xffff, v0
	v_or_b32_e32 v11, 0x10000, v0
	s_delay_alu instid0(VALU_DEP_2) | instskip(NEXT) | instid1(VALU_DEP_2)
	v_cmp_eq_u32_e32 vcc_lo, 0, v10
	v_cndmask_b32_e32 v10, v11, v0, vcc_lo
; %bb.529:                              ;   in Loop: Header=BB382_424 Depth=1
	s_or_b32 exec_lo, exec_lo, s1
	v_lshrrev_b32_e32 v11, 16, v9
	v_mov_b32_e32 v0, 0
	s_mov_b32 s1, exec_lo
	s_delay_alu instid0(VALU_DEP_2) | instskip(NEXT) | instid1(VALU_DEP_1)
	v_and_b32_e32 v52, 0xff, v11
	v_cmpx_ne_u16_e32 0, v52
	s_cbranch_execz .LBB382_537
; %bb.530:                              ;   in Loop: Header=BB382_424 Depth=1
	v_bfrev_b32_e32 v0, 1
	s_mov_b32 s12, exec_lo
	v_cmpx_ne_u16_e32 0x80, v52
	s_cbranch_execz .LBB382_536
; %bb.531:                              ;   in Loop: Header=BB382_424 Depth=1
	v_bfe_u32 v53, v9, 16, 7
	v_mov_b32_e32 v0, 0x7f800001
	s_mov_b32 s13, exec_lo
	s_delay_alu instid0(VALU_DEP_2)
	v_cmpx_ne_u32_e32 0x7f, v53
	s_cbranch_execz .LBB382_535
; %bb.532:                              ;   in Loop: Header=BB382_424 Depth=1
	v_and_b32_e32 v0, 7, v11
	v_lshrrev_b32_e32 v52, 3, v53
	s_mov_b32 s15, exec_lo
	v_cmpx_gt_u32_e32 8, v53
; %bb.533:                              ;   in Loop: Header=BB382_424 Depth=1
	s_delay_alu instid0(VALU_DEP_3) | instskip(NEXT) | instid1(VALU_DEP_1)
	v_clz_i32_u32_e32 v52, v0
	v_min_u32_e32 v52, 32, v52
	s_delay_alu instid0(VALU_DEP_1) | instskip(SKIP_1) | instid1(VALU_DEP_2)
	v_subrev_nc_u32_e32 v53, 28, v52
	v_sub_nc_u32_e32 v52, 29, v52
	v_lshlrev_b64 v[53:54], v53, v[0:1]
	s_delay_alu instid0(VALU_DEP_1)
	v_and_b32_e32 v0, 7, v53
; %bb.534:                              ;   in Loop: Header=BB382_424 Depth=1
	s_or_b32 exec_lo, exec_lo, s15
	v_lshlrev_b32_e32 v11, 24, v11
	s_delay_alu instid0(VALU_DEP_2) | instskip(SKIP_1) | instid1(VALU_DEP_3)
	v_lshlrev_b32_e32 v0, 20, v0
	v_lshl_add_u32 v52, v52, 23, 0x3c000000
	v_and_b32_e32 v11, 0x80000000, v11
	s_delay_alu instid0(VALU_DEP_1)
	v_or3_b32 v0, v0, v11, v52
.LBB382_535:                            ;   in Loop: Header=BB382_424 Depth=1
	s_or_b32 exec_lo, exec_lo, s13
.LBB382_536:                            ;   in Loop: Header=BB382_424 Depth=1
	s_delay_alu instid0(SALU_CYCLE_1)
	s_or_b32 exec_lo, exec_lo, s12
.LBB382_537:                            ;   in Loop: Header=BB382_424 Depth=1
	s_delay_alu instid0(SALU_CYCLE_1) | instskip(NEXT) | instid1(VALU_DEP_1)
	s_or_b32 exec_lo, exec_lo, s1
	v_mul_f32_e32 v0, v12, v0
	s_mov_b32 s1, exec_lo
                                        ; implicit-def: $vgpr52
	s_delay_alu instid0(VALU_DEP_1) | instskip(NEXT) | instid1(VALU_DEP_1)
	v_and_b32_e32 v11, 0x7f800000, v0
	v_cmpx_ne_u32_e32 0x7f800000, v11
	s_xor_b32 s1, exec_lo, s1
; %bb.538:                              ;   in Loop: Header=BB382_424 Depth=1
	v_bfe_u32 v11, v0, 16, 1
	s_delay_alu instid0(VALU_DEP_1)
	v_add3_u32 v52, v0, v11, 0x7fff
                                        ; implicit-def: $vgpr0
; %bb.539:                              ;   in Loop: Header=BB382_424 Depth=1
	s_and_not1_saveexec_b32 s1, s1
; %bb.540:                              ;   in Loop: Header=BB382_424 Depth=1
	v_and_b32_e32 v11, 0xffff, v0
	v_or_b32_e32 v52, 0x10000, v0
	s_delay_alu instid0(VALU_DEP_2) | instskip(NEXT) | instid1(VALU_DEP_2)
	v_cmp_eq_u32_e32 vcc_lo, 0, v11
	v_cndmask_b32_e32 v52, v52, v0, vcc_lo
; %bb.541:                              ;   in Loop: Header=BB382_424 Depth=1
	s_or_b32 exec_lo, exec_lo, s1
	v_mov_b32_e32 v0, 0
	s_mov_b32 s1, exec_lo
	v_cmpx_lt_u64_e64 s[8:9], v[8:9]
	s_cbranch_execz .LBB382_549
; %bb.542:                              ;   in Loop: Header=BB382_424 Depth=1
	v_lshrrev_b32_e32 v8, 24, v9
	v_bfrev_b32_e32 v0, 1
	s_mov_b32 s12, exec_lo
	s_delay_alu instid0(VALU_DEP_2)
	v_cmpx_ne_u32_e32 0x80, v8
	s_cbranch_execz .LBB382_548
; %bb.543:                              ;   in Loop: Header=BB382_424 Depth=1
	v_bfe_u32 v11, v9, 24, 7
	v_mov_b32_e32 v0, 0x7f800001
	s_mov_b32 s13, exec_lo
	s_delay_alu instid0(VALU_DEP_2)
	v_cmpx_ne_u32_e32 0x7f, v11
	s_cbranch_execz .LBB382_547
; %bb.544:                              ;   in Loop: Header=BB382_424 Depth=1
	v_and_b32_e32 v0, 7, v8
	v_lshrrev_b32_e32 v9, 3, v11
	s_mov_b32 s15, exec_lo
	v_cmpx_gt_u32_e32 8, v11
; %bb.545:                              ;   in Loop: Header=BB382_424 Depth=1
	s_delay_alu instid0(VALU_DEP_3) | instskip(NEXT) | instid1(VALU_DEP_1)
	v_clz_i32_u32_e32 v9, v0
	v_min_u32_e32 v9, 32, v9
	s_delay_alu instid0(VALU_DEP_1) | instskip(SKIP_1) | instid1(VALU_DEP_2)
	v_subrev_nc_u32_e32 v11, 28, v9
	v_sub_nc_u32_e32 v9, 29, v9
	v_lshlrev_b64 v[53:54], v11, v[0:1]
	s_delay_alu instid0(VALU_DEP_1)
	v_and_b32_e32 v0, 7, v53
; %bb.546:                              ;   in Loop: Header=BB382_424 Depth=1
	s_or_b32 exec_lo, exec_lo, s15
	v_lshlrev_b32_e32 v8, 24, v8
	s_delay_alu instid0(VALU_DEP_2) | instskip(SKIP_1) | instid1(VALU_DEP_3)
	v_lshlrev_b32_e32 v0, 20, v0
	v_lshl_add_u32 v9, v9, 23, 0x3c000000
	v_and_b32_e32 v8, 0x80000000, v8
	s_delay_alu instid0(VALU_DEP_1)
	v_or3_b32 v0, v0, v8, v9
.LBB382_547:                            ;   in Loop: Header=BB382_424 Depth=1
	s_or_b32 exec_lo, exec_lo, s13
.LBB382_548:                            ;   in Loop: Header=BB382_424 Depth=1
	s_delay_alu instid0(SALU_CYCLE_1)
	s_or_b32 exec_lo, exec_lo, s12
.LBB382_549:                            ;   in Loop: Header=BB382_424 Depth=1
	s_delay_alu instid0(SALU_CYCLE_1) | instskip(NEXT) | instid1(VALU_DEP_1)
	s_or_b32 exec_lo, exec_lo, s1
	v_mul_f32_e32 v8, v12, v0
	s_delay_alu instid0(VALU_DEP_1) | instskip(NEXT) | instid1(VALU_DEP_1)
	v_and_b32_e32 v0, 0x7f800000, v8
	v_cmp_ne_u32_e32 vcc_lo, 0x7f800000, v0
                                        ; implicit-def: $vgpr0
	s_and_saveexec_b32 s1, vcc_lo
	s_delay_alu instid0(SALU_CYCLE_1)
	s_xor_b32 s1, exec_lo, s1
; %bb.550:                              ;   in Loop: Header=BB382_424 Depth=1
	v_bfe_u32 v0, v8, 16, 1
	s_delay_alu instid0(VALU_DEP_1)
	v_add3_u32 v0, v8, v0, 0x7fff
                                        ; implicit-def: $vgpr8
; %bb.551:                              ;   in Loop: Header=BB382_424 Depth=1
	s_and_not1_saveexec_b32 s1, s1
; %bb.552:                              ;   in Loop: Header=BB382_424 Depth=1
	v_and_b32_e32 v0, 0xffff, v8
	v_or_b32_e32 v9, 0x10000, v8
	s_delay_alu instid0(VALU_DEP_2) | instskip(NEXT) | instid1(VALU_DEP_2)
	v_cmp_eq_u32_e32 vcc_lo, 0, v0
	v_cndmask_b32_e32 v0, v9, v8, vcc_lo
; %bb.553:                              ;   in Loop: Header=BB382_424 Depth=1
	s_or_b32 exec_lo, exec_lo, s1
	v_cmp_eq_u32_e32 vcc_lo, v28, v48
	v_lshrrev_b32_e32 v9, 16, v10
	v_lshrrev_b32_e32 v10, 16, v51
	;; [unrolled: 1-line block ×8, first 2 shown]
	v_add_nc_u32_e32 v54, 1, v23
	v_add_nc_u32_e32 v53, 2, v23
	;; [unrolled: 1-line block ×7, first 2 shown]
	s_and_saveexec_b32 s12, vcc_lo
	s_cbranch_execz .LBB382_555
; %bb.554:                              ;   in Loop: Header=BB382_424 Depth=1
	v_cmp_lt_i32_e64 s1, v23, v67
	s_delay_alu instid0(VALU_DEP_1) | instskip(SKIP_1) | instid1(VALU_DEP_1)
	v_cndmask_b32_e64 v13, 0, v13, s1
	v_cmp_lt_i32_e64 s1, v54, v67
	v_cndmask_b32_e64 v65, 0, v65, s1
	v_cmp_lt_i32_e64 s1, v53, v67
	s_delay_alu instid0(VALU_DEP_1) | instskip(SKIP_1) | instid1(VALU_DEP_1)
	v_cndmask_b32_e64 v81, 0, v81, s1
	v_cmp_lt_i32_e64 s1, v52, v67
	v_cndmask_b32_e64 v11, 0, v11, s1
	v_cmp_lt_i32_e64 s1, v51, v67
	s_delay_alu instid0(VALU_DEP_1) | instskip(SKIP_1) | instid1(VALU_DEP_1)
	v_cndmask_b32_e64 v10, 0, v10, s1
	v_cmp_lt_i32_e64 s1, v50, v67
	v_cndmask_b32_e64 v9, 0, v9, s1
	v_cmp_lt_i32_e64 s1, v49, v67
	s_delay_alu instid0(VALU_DEP_1) | instskip(SKIP_1) | instid1(VALU_DEP_1)
	v_cndmask_b32_e64 v8, 0, v8, s1
	v_cmp_lt_i32_e64 s1, v38, v67
	v_cndmask_b32_e64 v0, 0, v0, s1
.LBB382_555:                            ;   in Loop: Header=BB382_424 Depth=1
	s_or_b32 exec_lo, exec_lo, s12
	v_and_b32_e32 v55, 0xffff0000, v55
	v_lshlrev_b32_e32 v13, 16, v13
	s_delay_alu instid0(VALU_DEP_1) | instskip(NEXT) | instid1(VALU_DEP_1)
	v_mul_f32_e32 v64, v55, v13
	v_and_b32_e32 v13, 0x7f800000, v64
	s_delay_alu instid0(VALU_DEP_1) | instskip(NEXT) | instid1(VALU_DEP_1)
	v_cmp_ne_u32_e64 s1, 0x7f800000, v13
                                        ; implicit-def: $vgpr13
	s_and_saveexec_b32 s12, s1
	s_delay_alu instid0(SALU_CYCLE_1)
	s_xor_b32 s1, exec_lo, s12
; %bb.556:                              ;   in Loop: Header=BB382_424 Depth=1
	v_bfe_u32 v13, v64, 16, 1
	s_delay_alu instid0(VALU_DEP_1)
	v_add3_u32 v13, v64, v13, 0x7fff
                                        ; implicit-def: $vgpr64
; %bb.557:                              ;   in Loop: Header=BB382_424 Depth=1
	s_and_not1_saveexec_b32 s12, s1
; %bb.558:                              ;   in Loop: Header=BB382_424 Depth=1
	v_and_b32_e32 v13, 0xffff, v64
	v_or_b32_e32 v82, 0x10000, v64
	s_delay_alu instid0(VALU_DEP_2) | instskip(NEXT) | instid1(VALU_DEP_1)
	v_cmp_eq_u32_e64 s1, 0, v13
	v_cndmask_b32_e64 v13, v82, v64, s1
; %bb.559:                              ;   in Loop: Header=BB382_424 Depth=1
	s_or_b32 exec_lo, exec_lo, s12
	v_and_b32_e32 v64, 0xffff0000, v31
	v_lshlrev_b32_e32 v31, 16, v65
	s_delay_alu instid0(VALU_DEP_1) | instskip(NEXT) | instid1(VALU_DEP_1)
	v_mul_f32_e32 v65, v64, v31
	v_and_b32_e32 v31, 0x7f800000, v65
	s_delay_alu instid0(VALU_DEP_1) | instskip(NEXT) | instid1(VALU_DEP_1)
	v_cmp_ne_u32_e64 s1, 0x7f800000, v31
                                        ; implicit-def: $vgpr31
	s_and_saveexec_b32 s12, s1
	s_delay_alu instid0(SALU_CYCLE_1)
	s_xor_b32 s1, exec_lo, s12
; %bb.560:                              ;   in Loop: Header=BB382_424 Depth=1
	v_bfe_u32 v31, v65, 16, 1
	s_delay_alu instid0(VALU_DEP_1)
	v_add3_u32 v31, v65, v31, 0x7fff
                                        ; implicit-def: $vgpr65
; %bb.561:                              ;   in Loop: Header=BB382_424 Depth=1
	s_and_not1_saveexec_b32 s12, s1
; %bb.562:                              ;   in Loop: Header=BB382_424 Depth=1
	v_and_b32_e32 v31, 0xffff, v65
	v_or_b32_e32 v82, 0x10000, v65
	s_delay_alu instid0(VALU_DEP_2) | instskip(NEXT) | instid1(VALU_DEP_1)
	v_cmp_eq_u32_e64 s1, 0, v31
	v_cndmask_b32_e64 v31, v82, v65, s1
; %bb.563:                              ;   in Loop: Header=BB382_424 Depth=1
	s_or_b32 exec_lo, exec_lo, s12
	v_and_b32_e32 v65, 0xffff0000, v32
	v_lshlrev_b32_e32 v32, 16, v81
	s_delay_alu instid0(VALU_DEP_1) | instskip(NEXT) | instid1(VALU_DEP_1)
	v_mul_f32_e32 v81, v65, v32
	v_and_b32_e32 v32, 0x7f800000, v81
	s_delay_alu instid0(VALU_DEP_1) | instskip(NEXT) | instid1(VALU_DEP_1)
	v_cmp_ne_u32_e64 s1, 0x7f800000, v32
                                        ; implicit-def: $vgpr32
	s_and_saveexec_b32 s12, s1
	s_delay_alu instid0(SALU_CYCLE_1)
	s_xor_b32 s1, exec_lo, s12
; %bb.564:                              ;   in Loop: Header=BB382_424 Depth=1
	v_bfe_u32 v32, v81, 16, 1
	s_delay_alu instid0(VALU_DEP_1)
	v_add3_u32 v32, v81, v32, 0x7fff
                                        ; implicit-def: $vgpr81
; %bb.565:                              ;   in Loop: Header=BB382_424 Depth=1
	s_and_not1_saveexec_b32 s12, s1
; %bb.566:                              ;   in Loop: Header=BB382_424 Depth=1
	v_and_b32_e32 v32, 0xffff, v81
	v_or_b32_e32 v82, 0x10000, v81
	s_delay_alu instid0(VALU_DEP_2) | instskip(NEXT) | instid1(VALU_DEP_1)
	v_cmp_eq_u32_e64 s1, 0, v32
	v_cndmask_b32_e64 v32, v82, v81, s1
; %bb.567:                              ;   in Loop: Header=BB382_424 Depth=1
	s_or_b32 exec_lo, exec_lo, s12
	v_and_b32_e32 v81, 0xffff0000, v33
	v_lshlrev_b32_e32 v11, 16, v11
	s_delay_alu instid0(VALU_DEP_1) | instskip(NEXT) | instid1(VALU_DEP_1)
	v_mul_f32_e32 v11, v81, v11
	v_and_b32_e32 v33, 0x7f800000, v11
	s_delay_alu instid0(VALU_DEP_1) | instskip(NEXT) | instid1(VALU_DEP_1)
	v_cmp_ne_u32_e64 s1, 0x7f800000, v33
                                        ; implicit-def: $vgpr33
	s_and_saveexec_b32 s12, s1
	s_delay_alu instid0(SALU_CYCLE_1)
	s_xor_b32 s1, exec_lo, s12
; %bb.568:                              ;   in Loop: Header=BB382_424 Depth=1
	v_bfe_u32 v33, v11, 16, 1
	s_delay_alu instid0(VALU_DEP_1)
	v_add3_u32 v33, v11, v33, 0x7fff
                                        ; implicit-def: $vgpr11
; %bb.569:                              ;   in Loop: Header=BB382_424 Depth=1
	s_and_not1_saveexec_b32 s12, s1
; %bb.570:                              ;   in Loop: Header=BB382_424 Depth=1
	v_and_b32_e32 v33, 0xffff, v11
	v_or_b32_e32 v82, 0x10000, v11
	s_delay_alu instid0(VALU_DEP_2) | instskip(NEXT) | instid1(VALU_DEP_1)
	v_cmp_eq_u32_e64 s1, 0, v33
	v_cndmask_b32_e64 v33, v82, v11, s1
; %bb.571:                              ;   in Loop: Header=BB382_424 Depth=1
	s_or_b32 exec_lo, exec_lo, s12
	v_and_b32_e32 v82, 0xffff0000, v34
	v_lshlrev_b32_e32 v10, 16, v10
                                        ; implicit-def: $vgpr34
	s_delay_alu instid0(VALU_DEP_1) | instskip(NEXT) | instid1(VALU_DEP_1)
	v_mul_f32_e32 v10, v82, v10
	v_and_b32_e32 v11, 0x7f800000, v10
	s_delay_alu instid0(VALU_DEP_1) | instskip(NEXT) | instid1(VALU_DEP_1)
	v_cmp_ne_u32_e64 s1, 0x7f800000, v11
	s_and_saveexec_b32 s12, s1
	s_delay_alu instid0(SALU_CYCLE_1)
	s_xor_b32 s1, exec_lo, s12
; %bb.572:                              ;   in Loop: Header=BB382_424 Depth=1
	v_bfe_u32 v11, v10, 16, 1
	s_delay_alu instid0(VALU_DEP_1)
	v_add3_u32 v34, v10, v11, 0x7fff
                                        ; implicit-def: $vgpr10
; %bb.573:                              ;   in Loop: Header=BB382_424 Depth=1
	s_and_not1_saveexec_b32 s12, s1
; %bb.574:                              ;   in Loop: Header=BB382_424 Depth=1
	v_and_b32_e32 v11, 0xffff, v10
	v_or_b32_e32 v34, 0x10000, v10
	s_delay_alu instid0(VALU_DEP_2) | instskip(NEXT) | instid1(VALU_DEP_1)
	v_cmp_eq_u32_e64 s1, 0, v11
	v_cndmask_b32_e64 v34, v34, v10, s1
; %bb.575:                              ;   in Loop: Header=BB382_424 Depth=1
	s_or_b32 exec_lo, exec_lo, s12
	v_and_b32_e32 v83, 0xffff0000, v35
	v_lshlrev_b32_e32 v9, 16, v9
                                        ; implicit-def: $vgpr35
	s_delay_alu instid0(VALU_DEP_1) | instskip(NEXT) | instid1(VALU_DEP_1)
	v_mul_f32_e32 v9, v83, v9
	v_and_b32_e32 v10, 0x7f800000, v9
	s_delay_alu instid0(VALU_DEP_1) | instskip(NEXT) | instid1(VALU_DEP_1)
	v_cmp_ne_u32_e64 s1, 0x7f800000, v10
	s_and_saveexec_b32 s12, s1
	s_delay_alu instid0(SALU_CYCLE_1)
	s_xor_b32 s1, exec_lo, s12
; %bb.576:                              ;   in Loop: Header=BB382_424 Depth=1
	v_bfe_u32 v10, v9, 16, 1
	s_delay_alu instid0(VALU_DEP_1)
	v_add3_u32 v35, v9, v10, 0x7fff
                                        ; implicit-def: $vgpr9
; %bb.577:                              ;   in Loop: Header=BB382_424 Depth=1
	s_and_not1_saveexec_b32 s12, s1
; %bb.578:                              ;   in Loop: Header=BB382_424 Depth=1
	v_and_b32_e32 v10, 0xffff, v9
	v_or_b32_e32 v11, 0x10000, v9
	s_delay_alu instid0(VALU_DEP_2) | instskip(NEXT) | instid1(VALU_DEP_1)
	v_cmp_eq_u32_e64 s1, 0, v10
	v_cndmask_b32_e64 v35, v11, v9, s1
; %bb.579:                              ;   in Loop: Header=BB382_424 Depth=1
	s_or_b32 exec_lo, exec_lo, s12
	v_and_b32_e32 v84, 0xffff0000, v36
	v_lshlrev_b32_e32 v8, 16, v8
                                        ; implicit-def: $vgpr36
	s_delay_alu instid0(VALU_DEP_1) | instskip(NEXT) | instid1(VALU_DEP_1)
	v_mul_f32_e32 v8, v84, v8
	v_and_b32_e32 v9, 0x7f800000, v8
	s_delay_alu instid0(VALU_DEP_1) | instskip(NEXT) | instid1(VALU_DEP_1)
	v_cmp_ne_u32_e64 s1, 0x7f800000, v9
	s_and_saveexec_b32 s12, s1
	s_delay_alu instid0(SALU_CYCLE_1)
	s_xor_b32 s1, exec_lo, s12
; %bb.580:                              ;   in Loop: Header=BB382_424 Depth=1
	v_bfe_u32 v9, v8, 16, 1
	s_delay_alu instid0(VALU_DEP_1)
	v_add3_u32 v36, v8, v9, 0x7fff
                                        ; implicit-def: $vgpr8
; %bb.581:                              ;   in Loop: Header=BB382_424 Depth=1
	s_and_not1_saveexec_b32 s12, s1
; %bb.582:                              ;   in Loop: Header=BB382_424 Depth=1
	v_and_b32_e32 v9, 0xffff, v8
	v_or_b32_e32 v10, 0x10000, v8
	s_delay_alu instid0(VALU_DEP_2) | instskip(NEXT) | instid1(VALU_DEP_1)
	v_cmp_eq_u32_e64 s1, 0, v9
	v_cndmask_b32_e64 v36, v10, v8, s1
; %bb.583:                              ;   in Loop: Header=BB382_424 Depth=1
	s_or_b32 exec_lo, exec_lo, s12
	v_and_b32_e32 v85, 0xffff0000, v37
	v_lshlrev_b32_e32 v0, 16, v0
                                        ; implicit-def: $vgpr37
	s_delay_alu instid0(VALU_DEP_1) | instskip(NEXT) | instid1(VALU_DEP_1)
	v_mul_f32_e32 v0, v85, v0
	v_and_b32_e32 v8, 0x7f800000, v0
	s_delay_alu instid0(VALU_DEP_1) | instskip(NEXT) | instid1(VALU_DEP_1)
	v_cmp_ne_u32_e64 s1, 0x7f800000, v8
	s_and_saveexec_b32 s12, s1
	s_delay_alu instid0(SALU_CYCLE_1)
	s_xor_b32 s1, exec_lo, s12
; %bb.584:                              ;   in Loop: Header=BB382_424 Depth=1
	v_bfe_u32 v8, v0, 16, 1
	s_delay_alu instid0(VALU_DEP_1)
	v_add3_u32 v37, v0, v8, 0x7fff
                                        ; implicit-def: $vgpr0
; %bb.585:                              ;   in Loop: Header=BB382_424 Depth=1
	s_and_not1_saveexec_b32 s12, s1
; %bb.586:                              ;   in Loop: Header=BB382_424 Depth=1
	v_and_b32_e32 v8, 0xffff, v0
	v_or_b32_e32 v9, 0x10000, v0
	s_delay_alu instid0(VALU_DEP_2) | instskip(NEXT) | instid1(VALU_DEP_1)
	v_cmp_eq_u32_e64 s1, 0, v8
	v_cndmask_b32_e64 v37, v9, v0, s1
; %bb.587:                              ;   in Loop: Header=BB382_424 Depth=1
	s_or_b32 exec_lo, exec_lo, s12
	flat_load_b64 v[8:9], v[6:7] offset:256
	v_mov_b32_e32 v0, 0
	s_mov_b32 s12, exec_lo
	s_waitcnt vmcnt(0) lgkmcnt(0)
	v_and_b32_e32 v10, 0xff, v8
	s_delay_alu instid0(VALU_DEP_1)
	v_cmpx_ne_u16_e32 0, v10
	s_cbranch_execz .LBB382_595
; %bb.588:                              ;   in Loop: Header=BB382_424 Depth=1
	v_bfrev_b32_e32 v0, 1
	s_mov_b32 s13, exec_lo
	v_cmpx_ne_u16_e32 0x80, v10
	s_cbranch_execz .LBB382_594
; %bb.589:                              ;   in Loop: Header=BB382_424 Depth=1
	v_and_b32_e32 v10, 0x7f, v8
	v_mov_b32_e32 v0, 0x7f800001
	s_mov_b32 s15, exec_lo
	s_delay_alu instid0(VALU_DEP_2)
	v_cmpx_ne_u32_e32 0x7f, v10
	s_cbranch_execz .LBB382_593
; %bb.590:                              ;   in Loop: Header=BB382_424 Depth=1
	v_lshrrev_b32_e32 v0, 3, v10
	v_cmp_gt_u32_e64 s1, 8, v10
	v_dual_mov_b32 v11, v9 :: v_dual_mov_b32 v10, v8
	s_delay_alu instid0(VALU_DEP_2)
	s_and_saveexec_b32 s16, s1
; %bb.591:                              ;   in Loop: Header=BB382_424 Depth=1
	v_and_b32_e32 v0, 7, v8
	s_delay_alu instid0(VALU_DEP_1) | instskip(NEXT) | instid1(VALU_DEP_1)
	v_clz_i32_u32_e32 v0, v0
	v_min_u32_e32 v0, 32, v0
	s_delay_alu instid0(VALU_DEP_1) | instskip(SKIP_1) | instid1(VALU_DEP_2)
	v_subrev_nc_u32_e32 v10, 28, v0
	v_sub_nc_u32_e32 v0, 29, v0
	v_lshlrev_b64 v[10:11], v10, v[8:9]
; %bb.592:                              ;   in Loop: Header=BB382_424 Depth=1
	s_or_b32 exec_lo, exec_lo, s16
	s_delay_alu instid0(VALU_DEP_1) | instskip(SKIP_2) | instid1(VALU_DEP_3)
	v_lshlrev_b32_e32 v10, 20, v10
	v_lshlrev_b32_e32 v11, 24, v8
	v_lshl_add_u32 v0, v0, 23, 0x3c000000
	v_and_b32_e32 v10, 0x700000, v10
	s_delay_alu instid0(VALU_DEP_3) | instskip(NEXT) | instid1(VALU_DEP_1)
	v_and_b32_e32 v11, 0x80000000, v11
	v_or3_b32 v0, v10, v11, v0
.LBB382_593:                            ;   in Loop: Header=BB382_424 Depth=1
	s_or_b32 exec_lo, exec_lo, s15
.LBB382_594:                            ;   in Loop: Header=BB382_424 Depth=1
	s_delay_alu instid0(SALU_CYCLE_1)
	s_or_b32 exec_lo, exec_lo, s13
.LBB382_595:                            ;   in Loop: Header=BB382_424 Depth=1
	s_delay_alu instid0(SALU_CYCLE_1) | instskip(NEXT) | instid1(VALU_DEP_1)
	s_or_b32 exec_lo, exec_lo, s12
	v_mul_f32_e32 v0, v12, v0
                                        ; implicit-def: $vgpr86
	s_delay_alu instid0(VALU_DEP_1) | instskip(NEXT) | instid1(VALU_DEP_1)
	v_and_b32_e32 v10, 0x7f800000, v0
	v_cmp_ne_u32_e64 s1, 0x7f800000, v10
	s_delay_alu instid0(VALU_DEP_1) | instskip(NEXT) | instid1(SALU_CYCLE_1)
	s_and_saveexec_b32 s12, s1
	s_xor_b32 s1, exec_lo, s12
; %bb.596:                              ;   in Loop: Header=BB382_424 Depth=1
	v_bfe_u32 v10, v0, 16, 1
	s_delay_alu instid0(VALU_DEP_1)
	v_add3_u32 v86, v0, v10, 0x7fff
                                        ; implicit-def: $vgpr0
; %bb.597:                              ;   in Loop: Header=BB382_424 Depth=1
	s_and_not1_saveexec_b32 s12, s1
; %bb.598:                              ;   in Loop: Header=BB382_424 Depth=1
	v_and_b32_e32 v10, 0xffff, v0
	v_or_b32_e32 v11, 0x10000, v0
	s_delay_alu instid0(VALU_DEP_2) | instskip(NEXT) | instid1(VALU_DEP_1)
	v_cmp_eq_u32_e64 s1, 0, v10
	v_cndmask_b32_e64 v86, v11, v0, s1
; %bb.599:                              ;   in Loop: Header=BB382_424 Depth=1
	s_or_b32 exec_lo, exec_lo, s12
	v_lshrrev_b16 v10, 8, v8
	v_mov_b32_e32 v0, 0
	s_mov_b32 s12, exec_lo
	s_delay_alu instid0(VALU_DEP_2)
	v_cmpx_ne_u16_e32 0, v10
	s_cbranch_execz .LBB382_607
; %bb.600:                              ;   in Loop: Header=BB382_424 Depth=1
	v_bfrev_b32_e32 v0, 1
	s_mov_b32 s13, exec_lo
	v_cmpx_ne_u16_e32 0x80, v10
	s_cbranch_execz .LBB382_606
; %bb.601:                              ;   in Loop: Header=BB382_424 Depth=1
	v_and_b32_e32 v10, 0xffff, v10
	v_mov_b32_e32 v0, 0x7f800001
	s_mov_b32 s15, exec_lo
	s_delay_alu instid0(VALU_DEP_2) | instskip(NEXT) | instid1(VALU_DEP_1)
	v_and_b32_e32 v11, 0x7f, v10
	v_cmpx_ne_u32_e32 0x7f, v11
	s_cbranch_execz .LBB382_605
; %bb.602:                              ;   in Loop: Header=BB382_424 Depth=1
	v_and_b32_e32 v0, 7, v10
	v_lshrrev_b32_e32 v10, 3, v11
	s_mov_b32 s16, exec_lo
	v_cmpx_gt_u32_e32 8, v11
; %bb.603:                              ;   in Loop: Header=BB382_424 Depth=1
	s_delay_alu instid0(VALU_DEP_3) | instskip(NEXT) | instid1(VALU_DEP_1)
	v_clz_i32_u32_e32 v10, v0
	v_min_u32_e32 v10, 32, v10
	s_delay_alu instid0(VALU_DEP_1) | instskip(SKIP_1) | instid1(VALU_DEP_2)
	v_subrev_nc_u32_e32 v11, 28, v10
	v_sub_nc_u32_e32 v10, 29, v10
	v_lshlrev_b64 v[96:97], v11, v[0:1]
	s_delay_alu instid0(VALU_DEP_1)
	v_and_b32_e32 v0, 7, v96
; %bb.604:                              ;   in Loop: Header=BB382_424 Depth=1
	s_or_b32 exec_lo, exec_lo, s16
	v_lshlrev_b32_e32 v11, 16, v8
	s_delay_alu instid0(VALU_DEP_2) | instskip(SKIP_1) | instid1(VALU_DEP_3)
	v_lshlrev_b32_e32 v0, 20, v0
	v_lshl_add_u32 v10, v10, 23, 0x3c000000
	v_and_b32_e32 v11, 0x80000000, v11
	s_delay_alu instid0(VALU_DEP_1)
	v_or3_b32 v0, v0, v11, v10
.LBB382_605:                            ;   in Loop: Header=BB382_424 Depth=1
	s_or_b32 exec_lo, exec_lo, s15
.LBB382_606:                            ;   in Loop: Header=BB382_424 Depth=1
	s_delay_alu instid0(SALU_CYCLE_1)
	s_or_b32 exec_lo, exec_lo, s13
.LBB382_607:                            ;   in Loop: Header=BB382_424 Depth=1
	s_delay_alu instid0(SALU_CYCLE_1) | instskip(NEXT) | instid1(VALU_DEP_1)
	s_or_b32 exec_lo, exec_lo, s12
	v_mul_f32_e32 v0, v12, v0
                                        ; implicit-def: $vgpr87
	s_delay_alu instid0(VALU_DEP_1) | instskip(NEXT) | instid1(VALU_DEP_1)
	v_and_b32_e32 v10, 0x7f800000, v0
	v_cmp_ne_u32_e64 s1, 0x7f800000, v10
	s_delay_alu instid0(VALU_DEP_1) | instskip(NEXT) | instid1(SALU_CYCLE_1)
	s_and_saveexec_b32 s12, s1
	s_xor_b32 s1, exec_lo, s12
; %bb.608:                              ;   in Loop: Header=BB382_424 Depth=1
	v_bfe_u32 v10, v0, 16, 1
	s_delay_alu instid0(VALU_DEP_1)
	v_add3_u32 v87, v0, v10, 0x7fff
                                        ; implicit-def: $vgpr0
; %bb.609:                              ;   in Loop: Header=BB382_424 Depth=1
	s_and_not1_saveexec_b32 s12, s1
; %bb.610:                              ;   in Loop: Header=BB382_424 Depth=1
	v_and_b32_e32 v10, 0xffff, v0
	v_or_b32_e32 v11, 0x10000, v0
	s_delay_alu instid0(VALU_DEP_2) | instskip(NEXT) | instid1(VALU_DEP_1)
	v_cmp_eq_u32_e64 s1, 0, v10
	v_cndmask_b32_e64 v87, v11, v0, s1
; %bb.611:                              ;   in Loop: Header=BB382_424 Depth=1
	s_or_b32 exec_lo, exec_lo, s12
	v_lshrrev_b32_e32 v10, 16, v8
	s_mov_b32 s12, exec_lo
	s_delay_alu instid0(VALU_DEP_1) | instskip(NEXT) | instid1(VALU_DEP_1)
	v_dual_mov_b32 v0, 0 :: v_dual_and_b32 v11, 0xff, v10
	v_cmpx_ne_u16_e32 0, v11
	s_cbranch_execz .LBB382_619
; %bb.612:                              ;   in Loop: Header=BB382_424 Depth=1
	v_bfrev_b32_e32 v0, 1
	s_mov_b32 s13, exec_lo
	v_cmpx_ne_u16_e32 0x80, v11
	s_cbranch_execz .LBB382_618
; %bb.613:                              ;   in Loop: Header=BB382_424 Depth=1
	v_bfe_u32 v96, v8, 16, 7
	v_mov_b32_e32 v0, 0x7f800001
	s_mov_b32 s15, exec_lo
	s_delay_alu instid0(VALU_DEP_2)
	v_cmpx_ne_u32_e32 0x7f, v96
	s_cbranch_execz .LBB382_617
; %bb.614:                              ;   in Loop: Header=BB382_424 Depth=1
	v_and_b32_e32 v0, 7, v10
	v_lshrrev_b32_e32 v11, 3, v96
	s_mov_b32 s16, exec_lo
	v_cmpx_gt_u32_e32 8, v96
; %bb.615:                              ;   in Loop: Header=BB382_424 Depth=1
	s_delay_alu instid0(VALU_DEP_3) | instskip(NEXT) | instid1(VALU_DEP_1)
	v_clz_i32_u32_e32 v11, v0
	v_min_u32_e32 v11, 32, v11
	s_delay_alu instid0(VALU_DEP_1) | instskip(SKIP_1) | instid1(VALU_DEP_2)
	v_subrev_nc_u32_e32 v96, 28, v11
	v_sub_nc_u32_e32 v11, 29, v11
	v_lshlrev_b64 v[96:97], v96, v[0:1]
	s_delay_alu instid0(VALU_DEP_1)
	v_and_b32_e32 v0, 7, v96
; %bb.616:                              ;   in Loop: Header=BB382_424 Depth=1
	s_or_b32 exec_lo, exec_lo, s16
	v_lshlrev_b32_e32 v10, 24, v10
	s_delay_alu instid0(VALU_DEP_2) | instskip(SKIP_1) | instid1(VALU_DEP_3)
	v_lshlrev_b32_e32 v0, 20, v0
	v_lshl_add_u32 v11, v11, 23, 0x3c000000
	v_and_b32_e32 v10, 0x80000000, v10
	s_delay_alu instid0(VALU_DEP_1)
	v_or3_b32 v0, v0, v10, v11
.LBB382_617:                            ;   in Loop: Header=BB382_424 Depth=1
	s_or_b32 exec_lo, exec_lo, s15
.LBB382_618:                            ;   in Loop: Header=BB382_424 Depth=1
	s_delay_alu instid0(SALU_CYCLE_1)
	s_or_b32 exec_lo, exec_lo, s13
.LBB382_619:                            ;   in Loop: Header=BB382_424 Depth=1
	s_delay_alu instid0(SALU_CYCLE_1) | instskip(NEXT) | instid1(VALU_DEP_1)
	s_or_b32 exec_lo, exec_lo, s12
	v_mul_f32_e32 v0, v12, v0
                                        ; implicit-def: $vgpr96
	s_delay_alu instid0(VALU_DEP_1) | instskip(NEXT) | instid1(VALU_DEP_1)
	v_and_b32_e32 v10, 0x7f800000, v0
	v_cmp_ne_u32_e64 s1, 0x7f800000, v10
	s_delay_alu instid0(VALU_DEP_1) | instskip(NEXT) | instid1(SALU_CYCLE_1)
	s_and_saveexec_b32 s12, s1
	s_xor_b32 s1, exec_lo, s12
; %bb.620:                              ;   in Loop: Header=BB382_424 Depth=1
	v_bfe_u32 v10, v0, 16, 1
	s_delay_alu instid0(VALU_DEP_1)
	v_add3_u32 v96, v0, v10, 0x7fff
                                        ; implicit-def: $vgpr0
; %bb.621:                              ;   in Loop: Header=BB382_424 Depth=1
	s_and_not1_saveexec_b32 s12, s1
; %bb.622:                              ;   in Loop: Header=BB382_424 Depth=1
	v_and_b32_e32 v10, 0xffff, v0
	v_or_b32_e32 v11, 0x10000, v0
	s_delay_alu instid0(VALU_DEP_2) | instskip(NEXT) | instid1(VALU_DEP_1)
	v_cmp_eq_u32_e64 s1, 0, v10
	v_cndmask_b32_e64 v96, v11, v0, s1
; %bb.623:                              ;   in Loop: Header=BB382_424 Depth=1
	s_or_b32 exec_lo, exec_lo, s12
	v_mov_b32_e32 v0, 0
	s_mov_b32 s12, exec_lo
	v_cmpx_lt_u32_e32 0xffffff, v8
	s_cbranch_execz .LBB382_631
; %bb.624:                              ;   in Loop: Header=BB382_424 Depth=1
	v_lshrrev_b32_e32 v10, 24, v8
	v_bfrev_b32_e32 v0, 1
	s_mov_b32 s13, exec_lo
	s_delay_alu instid0(VALU_DEP_2)
	v_cmpx_ne_u32_e32 0x80, v10
	s_cbranch_execz .LBB382_630
; %bb.625:                              ;   in Loop: Header=BB382_424 Depth=1
	v_bfe_u32 v97, v8, 24, 7
	v_mov_b32_e32 v0, 0x7f800001
	s_mov_b32 s15, exec_lo
	s_delay_alu instid0(VALU_DEP_2)
	v_cmpx_ne_u32_e32 0x7f, v97
	s_cbranch_execz .LBB382_629
; %bb.626:                              ;   in Loop: Header=BB382_424 Depth=1
	v_and_b32_e32 v0, 7, v10
	v_lshrrev_b32_e32 v11, 3, v97
	s_mov_b32 s16, exec_lo
	v_cmpx_gt_u32_e32 8, v97
; %bb.627:                              ;   in Loop: Header=BB382_424 Depth=1
	s_delay_alu instid0(VALU_DEP_3) | instskip(NEXT) | instid1(VALU_DEP_1)
	v_clz_i32_u32_e32 v11, v0
	v_min_u32_e32 v11, 32, v11
	s_delay_alu instid0(VALU_DEP_1) | instskip(SKIP_1) | instid1(VALU_DEP_2)
	v_subrev_nc_u32_e32 v97, 28, v11
	v_sub_nc_u32_e32 v11, 29, v11
	v_lshlrev_b64 v[97:98], v97, v[0:1]
	s_delay_alu instid0(VALU_DEP_1)
	v_and_b32_e32 v0, 7, v97
; %bb.628:                              ;   in Loop: Header=BB382_424 Depth=1
	s_or_b32 exec_lo, exec_lo, s16
	v_lshlrev_b32_e32 v10, 24, v10
	s_delay_alu instid0(VALU_DEP_2) | instskip(SKIP_1) | instid1(VALU_DEP_3)
	v_lshlrev_b32_e32 v0, 20, v0
	v_lshl_add_u32 v11, v11, 23, 0x3c000000
	v_and_b32_e32 v10, 0x80000000, v10
	s_delay_alu instid0(VALU_DEP_1)
	v_or3_b32 v0, v0, v10, v11
.LBB382_629:                            ;   in Loop: Header=BB382_424 Depth=1
	s_or_b32 exec_lo, exec_lo, s15
.LBB382_630:                            ;   in Loop: Header=BB382_424 Depth=1
	s_delay_alu instid0(SALU_CYCLE_1)
	s_or_b32 exec_lo, exec_lo, s13
.LBB382_631:                            ;   in Loop: Header=BB382_424 Depth=1
	s_delay_alu instid0(SALU_CYCLE_1) | instskip(NEXT) | instid1(VALU_DEP_1)
	s_or_b32 exec_lo, exec_lo, s12
	v_mul_f32_e32 v0, v12, v0
                                        ; implicit-def: $vgpr97
	s_delay_alu instid0(VALU_DEP_1) | instskip(NEXT) | instid1(VALU_DEP_1)
	v_and_b32_e32 v10, 0x7f800000, v0
	v_cmp_ne_u32_e64 s1, 0x7f800000, v10
	s_delay_alu instid0(VALU_DEP_1) | instskip(NEXT) | instid1(SALU_CYCLE_1)
	s_and_saveexec_b32 s12, s1
	s_xor_b32 s1, exec_lo, s12
; %bb.632:                              ;   in Loop: Header=BB382_424 Depth=1
	v_bfe_u32 v10, v0, 16, 1
	s_delay_alu instid0(VALU_DEP_1)
	v_add3_u32 v97, v0, v10, 0x7fff
                                        ; implicit-def: $vgpr0
; %bb.633:                              ;   in Loop: Header=BB382_424 Depth=1
	s_and_not1_saveexec_b32 s12, s1
; %bb.634:                              ;   in Loop: Header=BB382_424 Depth=1
	v_and_b32_e32 v10, 0xffff, v0
	v_or_b32_e32 v11, 0x10000, v0
	s_delay_alu instid0(VALU_DEP_2) | instskip(NEXT) | instid1(VALU_DEP_1)
	v_cmp_eq_u32_e64 s1, 0, v10
	v_cndmask_b32_e64 v97, v11, v0, s1
; %bb.635:                              ;   in Loop: Header=BB382_424 Depth=1
	s_or_b32 exec_lo, exec_lo, s12
	v_dual_mov_b32 v0, v9 :: v_dual_and_b32 v11, 0xff, v9
	v_mov_b32_e32 v10, 0
	s_mov_b32 s12, exec_lo
	s_delay_alu instid0(VALU_DEP_2)
	v_cmpx_ne_u16_e32 0, v11
	s_cbranch_execz .LBB382_643
; %bb.636:                              ;   in Loop: Header=BB382_424 Depth=1
	v_bfrev_b32_e32 v10, 1
	s_mov_b32 s13, exec_lo
	v_cmpx_ne_u16_e32 0x80, v11
	s_cbranch_execz .LBB382_642
; %bb.637:                              ;   in Loop: Header=BB382_424 Depth=1
	v_and_b32_e32 v11, 0x7f, v9
	v_mov_b32_e32 v10, 0x7f800001
	s_mov_b32 s15, exec_lo
	s_delay_alu instid0(VALU_DEP_2)
	v_cmpx_ne_u32_e32 0x7f, v11
	s_cbranch_execz .LBB382_641
; %bb.638:                              ;   in Loop: Header=BB382_424 Depth=1
	v_lshrrev_b32_e32 v98, 3, v11
	v_cmp_gt_u32_e64 s1, 8, v11
	v_dual_mov_b32 v11, v1 :: v_dual_mov_b32 v10, v0
	s_delay_alu instid0(VALU_DEP_2)
	s_and_saveexec_b32 s16, s1
; %bb.639:                              ;   in Loop: Header=BB382_424 Depth=1
	v_and_b32_e32 v10, 7, v9
	s_delay_alu instid0(VALU_DEP_1) | instskip(NEXT) | instid1(VALU_DEP_1)
	v_clz_i32_u32_e32 v10, v10
	v_min_u32_e32 v98, 32, v10
	s_delay_alu instid0(VALU_DEP_1) | instskip(SKIP_1) | instid1(VALU_DEP_2)
	v_subrev_nc_u32_e32 v10, 28, v98
	v_sub_nc_u32_e32 v98, 29, v98
	v_lshlrev_b64 v[10:11], v10, v[0:1]
; %bb.640:                              ;   in Loop: Header=BB382_424 Depth=1
	s_or_b32 exec_lo, exec_lo, s16
	s_delay_alu instid0(VALU_DEP_1) | instskip(SKIP_2) | instid1(VALU_DEP_3)
	v_lshlrev_b32_e32 v10, 20, v10
	v_lshlrev_b32_e32 v11, 24, v0
	v_lshl_add_u32 v98, v98, 23, 0x3c000000
	v_and_b32_e32 v10, 0x700000, v10
	s_delay_alu instid0(VALU_DEP_3) | instskip(NEXT) | instid1(VALU_DEP_1)
	v_and_b32_e32 v11, 0x80000000, v11
	v_or3_b32 v10, v10, v11, v98
.LBB382_641:                            ;   in Loop: Header=BB382_424 Depth=1
	s_or_b32 exec_lo, exec_lo, s15
.LBB382_642:                            ;   in Loop: Header=BB382_424 Depth=1
	s_delay_alu instid0(SALU_CYCLE_1)
	s_or_b32 exec_lo, exec_lo, s13
.LBB382_643:                            ;   in Loop: Header=BB382_424 Depth=1
	s_delay_alu instid0(SALU_CYCLE_1) | instskip(NEXT) | instid1(VALU_DEP_1)
	s_or_b32 exec_lo, exec_lo, s12
	v_mul_f32_e32 v10, v12, v10
                                        ; implicit-def: $vgpr98
	s_delay_alu instid0(VALU_DEP_1) | instskip(NEXT) | instid1(VALU_DEP_1)
	v_and_b32_e32 v11, 0x7f800000, v10
	v_cmp_ne_u32_e64 s1, 0x7f800000, v11
	s_delay_alu instid0(VALU_DEP_1) | instskip(NEXT) | instid1(SALU_CYCLE_1)
	s_and_saveexec_b32 s12, s1
	s_xor_b32 s1, exec_lo, s12
; %bb.644:                              ;   in Loop: Header=BB382_424 Depth=1
	v_bfe_u32 v11, v10, 16, 1
	s_delay_alu instid0(VALU_DEP_1)
	v_add3_u32 v98, v10, v11, 0x7fff
                                        ; implicit-def: $vgpr10
; %bb.645:                              ;   in Loop: Header=BB382_424 Depth=1
	s_and_not1_saveexec_b32 s12, s1
; %bb.646:                              ;   in Loop: Header=BB382_424 Depth=1
	v_and_b32_e32 v11, 0xffff, v10
	v_or_b32_e32 v98, 0x10000, v10
	s_delay_alu instid0(VALU_DEP_2) | instskip(NEXT) | instid1(VALU_DEP_1)
	v_cmp_eq_u32_e64 s1, 0, v11
	v_cndmask_b32_e64 v98, v98, v10, s1
; %bb.647:                              ;   in Loop: Header=BB382_424 Depth=1
	s_or_b32 exec_lo, exec_lo, s12
	v_lshrrev_b16 v11, 8, v0
	v_mov_b32_e32 v10, 0
	s_mov_b32 s12, exec_lo
	s_delay_alu instid0(VALU_DEP_2)
	v_cmpx_ne_u16_e32 0, v11
	s_cbranch_execz .LBB382_655
; %bb.648:                              ;   in Loop: Header=BB382_424 Depth=1
	v_bfrev_b32_e32 v10, 1
	s_mov_b32 s13, exec_lo
	v_cmpx_ne_u16_e32 0x80, v11
	s_cbranch_execz .LBB382_654
; %bb.649:                              ;   in Loop: Header=BB382_424 Depth=1
	v_and_b32_e32 v11, 0xffff, v11
	v_mov_b32_e32 v10, 0x7f800001
	s_mov_b32 s15, exec_lo
	s_delay_alu instid0(VALU_DEP_2) | instskip(NEXT) | instid1(VALU_DEP_1)
	v_and_b32_e32 v100, 0x7f, v11
	v_cmpx_ne_u32_e32 0x7f, v100
	s_cbranch_execz .LBB382_653
; %bb.650:                              ;   in Loop: Header=BB382_424 Depth=1
	v_dual_mov_b32 v11, v1 :: v_dual_and_b32 v10, 7, v11
	v_lshrrev_b32_e32 v99, 3, v100
	s_mov_b32 s16, exec_lo
	v_cmpx_gt_u32_e32 8, v100
; %bb.651:                              ;   in Loop: Header=BB382_424 Depth=1
	s_delay_alu instid0(VALU_DEP_3) | instskip(NEXT) | instid1(VALU_DEP_1)
	v_clz_i32_u32_e32 v99, v10
	v_min_u32_e32 v99, 32, v99
	s_delay_alu instid0(VALU_DEP_1) | instskip(SKIP_1) | instid1(VALU_DEP_2)
	v_subrev_nc_u32_e32 v100, 28, v99
	v_sub_nc_u32_e32 v99, 29, v99
	v_lshlrev_b64 v[10:11], v100, v[10:11]
	s_delay_alu instid0(VALU_DEP_1)
	v_and_b32_e32 v10, 7, v10
; %bb.652:                              ;   in Loop: Header=BB382_424 Depth=1
	s_or_b32 exec_lo, exec_lo, s16
	v_lshlrev_b32_e32 v0, 16, v0
	s_delay_alu instid0(VALU_DEP_2) | instskip(SKIP_1) | instid1(VALU_DEP_3)
	v_lshlrev_b32_e32 v10, 20, v10
	v_lshl_add_u32 v11, v99, 23, 0x3c000000
	v_and_b32_e32 v0, 0x80000000, v0
	s_delay_alu instid0(VALU_DEP_1)
	v_or3_b32 v10, v10, v0, v11
.LBB382_653:                            ;   in Loop: Header=BB382_424 Depth=1
	s_or_b32 exec_lo, exec_lo, s15
.LBB382_654:                            ;   in Loop: Header=BB382_424 Depth=1
	s_delay_alu instid0(SALU_CYCLE_1)
	s_or_b32 exec_lo, exec_lo, s13
.LBB382_655:                            ;   in Loop: Header=BB382_424 Depth=1
	s_delay_alu instid0(SALU_CYCLE_1) | instskip(NEXT) | instid1(VALU_DEP_1)
	s_or_b32 exec_lo, exec_lo, s12
	v_mul_f32_e32 v0, v12, v10
	s_delay_alu instid0(VALU_DEP_1) | instskip(NEXT) | instid1(VALU_DEP_1)
	v_and_b32_e32 v10, 0x7f800000, v0
	v_cmp_ne_u32_e64 s1, 0x7f800000, v10
                                        ; implicit-def: $vgpr10
	s_delay_alu instid0(VALU_DEP_1) | instskip(NEXT) | instid1(SALU_CYCLE_1)
	s_and_saveexec_b32 s12, s1
	s_xor_b32 s1, exec_lo, s12
; %bb.656:                              ;   in Loop: Header=BB382_424 Depth=1
	v_bfe_u32 v10, v0, 16, 1
	s_delay_alu instid0(VALU_DEP_1)
	v_add3_u32 v10, v0, v10, 0x7fff
                                        ; implicit-def: $vgpr0
; %bb.657:                              ;   in Loop: Header=BB382_424 Depth=1
	s_and_not1_saveexec_b32 s12, s1
; %bb.658:                              ;   in Loop: Header=BB382_424 Depth=1
	v_and_b32_e32 v10, 0xffff, v0
	v_or_b32_e32 v11, 0x10000, v0
	s_delay_alu instid0(VALU_DEP_2) | instskip(NEXT) | instid1(VALU_DEP_1)
	v_cmp_eq_u32_e64 s1, 0, v10
	v_cndmask_b32_e64 v10, v11, v0, s1
; %bb.659:                              ;   in Loop: Header=BB382_424 Depth=1
	s_or_b32 exec_lo, exec_lo, s12
	v_lshrrev_b32_e32 v11, 16, v9
	s_mov_b32 s12, exec_lo
	s_delay_alu instid0(VALU_DEP_1) | instskip(NEXT) | instid1(VALU_DEP_1)
	v_dual_mov_b32 v0, 0 :: v_dual_and_b32 v99, 0xff, v11
	v_cmpx_ne_u16_e32 0, v99
	s_cbranch_execz .LBB382_667
; %bb.660:                              ;   in Loop: Header=BB382_424 Depth=1
	v_bfrev_b32_e32 v0, 1
	s_mov_b32 s13, exec_lo
	v_cmpx_ne_u16_e32 0x80, v99
	s_cbranch_execz .LBB382_666
; %bb.661:                              ;   in Loop: Header=BB382_424 Depth=1
	v_bfe_u32 v100, v9, 16, 7
	v_mov_b32_e32 v0, 0x7f800001
	s_mov_b32 s15, exec_lo
	s_delay_alu instid0(VALU_DEP_2)
	v_cmpx_ne_u32_e32 0x7f, v100
	s_cbranch_execz .LBB382_665
; %bb.662:                              ;   in Loop: Header=BB382_424 Depth=1
	v_and_b32_e32 v0, 7, v11
	v_lshrrev_b32_e32 v99, 3, v100
	s_mov_b32 s16, exec_lo
	v_cmpx_gt_u32_e32 8, v100
; %bb.663:                              ;   in Loop: Header=BB382_424 Depth=1
	s_delay_alu instid0(VALU_DEP_3) | instskip(NEXT) | instid1(VALU_DEP_1)
	v_clz_i32_u32_e32 v99, v0
	v_min_u32_e32 v99, 32, v99
	s_delay_alu instid0(VALU_DEP_1) | instskip(SKIP_1) | instid1(VALU_DEP_2)
	v_subrev_nc_u32_e32 v100, 28, v99
	v_sub_nc_u32_e32 v99, 29, v99
	v_lshlrev_b64 v[100:101], v100, v[0:1]
	s_delay_alu instid0(VALU_DEP_1)
	v_and_b32_e32 v0, 7, v100
; %bb.664:                              ;   in Loop: Header=BB382_424 Depth=1
	s_or_b32 exec_lo, exec_lo, s16
	v_lshlrev_b32_e32 v11, 24, v11
	s_delay_alu instid0(VALU_DEP_2) | instskip(SKIP_1) | instid1(VALU_DEP_3)
	v_lshlrev_b32_e32 v0, 20, v0
	v_lshl_add_u32 v99, v99, 23, 0x3c000000
	v_and_b32_e32 v11, 0x80000000, v11
	s_delay_alu instid0(VALU_DEP_1)
	v_or3_b32 v0, v0, v11, v99
.LBB382_665:                            ;   in Loop: Header=BB382_424 Depth=1
	s_or_b32 exec_lo, exec_lo, s15
.LBB382_666:                            ;   in Loop: Header=BB382_424 Depth=1
	s_delay_alu instid0(SALU_CYCLE_1)
	s_or_b32 exec_lo, exec_lo, s13
.LBB382_667:                            ;   in Loop: Header=BB382_424 Depth=1
	s_delay_alu instid0(SALU_CYCLE_1) | instskip(NEXT) | instid1(VALU_DEP_1)
	s_or_b32 exec_lo, exec_lo, s12
	v_mul_f32_e32 v0, v12, v0
                                        ; implicit-def: $vgpr99
	s_delay_alu instid0(VALU_DEP_1) | instskip(NEXT) | instid1(VALU_DEP_1)
	v_and_b32_e32 v11, 0x7f800000, v0
	v_cmp_ne_u32_e64 s1, 0x7f800000, v11
	s_delay_alu instid0(VALU_DEP_1) | instskip(NEXT) | instid1(SALU_CYCLE_1)
	s_and_saveexec_b32 s12, s1
	s_xor_b32 s1, exec_lo, s12
; %bb.668:                              ;   in Loop: Header=BB382_424 Depth=1
	v_bfe_u32 v11, v0, 16, 1
	s_delay_alu instid0(VALU_DEP_1)
	v_add3_u32 v99, v0, v11, 0x7fff
                                        ; implicit-def: $vgpr0
; %bb.669:                              ;   in Loop: Header=BB382_424 Depth=1
	s_and_not1_saveexec_b32 s12, s1
; %bb.670:                              ;   in Loop: Header=BB382_424 Depth=1
	v_and_b32_e32 v11, 0xffff, v0
	v_or_b32_e32 v99, 0x10000, v0
	s_delay_alu instid0(VALU_DEP_2) | instskip(NEXT) | instid1(VALU_DEP_1)
	v_cmp_eq_u32_e64 s1, 0, v11
	v_cndmask_b32_e64 v99, v99, v0, s1
; %bb.671:                              ;   in Loop: Header=BB382_424 Depth=1
	s_or_b32 exec_lo, exec_lo, s12
	v_mov_b32_e32 v0, 0
	s_mov_b32 s12, exec_lo
	v_cmpx_lt_u64_e64 s[8:9], v[8:9]
	s_cbranch_execz .LBB382_679
; %bb.672:                              ;   in Loop: Header=BB382_424 Depth=1
	v_lshrrev_b32_e32 v8, 24, v9
	v_bfrev_b32_e32 v0, 1
	s_mov_b32 s13, exec_lo
	s_delay_alu instid0(VALU_DEP_2)
	v_cmpx_ne_u32_e32 0x80, v8
	s_cbranch_execz .LBB382_678
; %bb.673:                              ;   in Loop: Header=BB382_424 Depth=1
	v_bfe_u32 v11, v9, 24, 7
	v_mov_b32_e32 v0, 0x7f800001
	s_mov_b32 s15, exec_lo
	s_delay_alu instid0(VALU_DEP_2)
	v_cmpx_ne_u32_e32 0x7f, v11
	s_cbranch_execz .LBB382_677
; %bb.674:                              ;   in Loop: Header=BB382_424 Depth=1
	v_and_b32_e32 v0, 7, v8
	v_lshrrev_b32_e32 v9, 3, v11
	s_mov_b32 s16, exec_lo
	v_cmpx_gt_u32_e32 8, v11
; %bb.675:                              ;   in Loop: Header=BB382_424 Depth=1
	s_delay_alu instid0(VALU_DEP_3) | instskip(NEXT) | instid1(VALU_DEP_1)
	v_clz_i32_u32_e32 v9, v0
	v_min_u32_e32 v9, 32, v9
	s_delay_alu instid0(VALU_DEP_1) | instskip(SKIP_1) | instid1(VALU_DEP_2)
	v_subrev_nc_u32_e32 v11, 28, v9
	v_sub_nc_u32_e32 v9, 29, v9
	v_lshlrev_b64 v[100:101], v11, v[0:1]
	s_delay_alu instid0(VALU_DEP_1)
	v_and_b32_e32 v0, 7, v100
; %bb.676:                              ;   in Loop: Header=BB382_424 Depth=1
	s_or_b32 exec_lo, exec_lo, s16
	v_lshlrev_b32_e32 v8, 24, v8
	s_delay_alu instid0(VALU_DEP_2) | instskip(SKIP_1) | instid1(VALU_DEP_3)
	v_lshlrev_b32_e32 v0, 20, v0
	v_lshl_add_u32 v9, v9, 23, 0x3c000000
	v_and_b32_e32 v8, 0x80000000, v8
	s_delay_alu instid0(VALU_DEP_1)
	v_or3_b32 v0, v0, v8, v9
.LBB382_677:                            ;   in Loop: Header=BB382_424 Depth=1
	s_or_b32 exec_lo, exec_lo, s15
.LBB382_678:                            ;   in Loop: Header=BB382_424 Depth=1
	s_delay_alu instid0(SALU_CYCLE_1)
	s_or_b32 exec_lo, exec_lo, s13
.LBB382_679:                            ;   in Loop: Header=BB382_424 Depth=1
	s_delay_alu instid0(SALU_CYCLE_1) | instskip(NEXT) | instid1(VALU_DEP_1)
	s_or_b32 exec_lo, exec_lo, s12
	v_mul_f32_e32 v8, v12, v0
	s_delay_alu instid0(VALU_DEP_1) | instskip(NEXT) | instid1(VALU_DEP_1)
	v_and_b32_e32 v0, 0x7f800000, v8
	v_cmp_ne_u32_e64 s1, 0x7f800000, v0
                                        ; implicit-def: $vgpr0
	s_delay_alu instid0(VALU_DEP_1) | instskip(NEXT) | instid1(SALU_CYCLE_1)
	s_and_saveexec_b32 s12, s1
	s_xor_b32 s1, exec_lo, s12
; %bb.680:                              ;   in Loop: Header=BB382_424 Depth=1
	v_bfe_u32 v0, v8, 16, 1
	s_delay_alu instid0(VALU_DEP_1)
	v_add3_u32 v0, v8, v0, 0x7fff
                                        ; implicit-def: $vgpr8
; %bb.681:                              ;   in Loop: Header=BB382_424 Depth=1
	s_and_not1_saveexec_b32 s12, s1
; %bb.682:                              ;   in Loop: Header=BB382_424 Depth=1
	v_and_b32_e32 v0, 0xffff, v8
	v_or_b32_e32 v9, 0x10000, v8
	s_delay_alu instid0(VALU_DEP_2) | instskip(NEXT) | instid1(VALU_DEP_1)
	v_cmp_eq_u32_e64 s1, 0, v0
	v_cndmask_b32_e64 v0, v9, v8, s1
; %bb.683:                              ;   in Loop: Header=BB382_424 Depth=1
	s_or_b32 exec_lo, exec_lo, s12
	v_lshrrev_b32_e32 v9, 16, v10
	v_lshrrev_b32_e32 v10, 16, v98
	;; [unrolled: 1-line block ×8, first 2 shown]
	s_and_saveexec_b32 s12, vcc_lo
	s_cbranch_execz .LBB382_685
; %bb.684:                              ;   in Loop: Header=BB382_424 Depth=1
	v_cmp_lt_i32_e64 s1, v23, v67
	s_delay_alu instid0(VALU_DEP_1) | instskip(SKIP_1) | instid1(VALU_DEP_1)
	v_cndmask_b32_e64 v86, 0, v86, s1
	v_cmp_lt_i32_e64 s1, v54, v67
	v_cndmask_b32_e64 v87, 0, v87, s1
	v_cmp_lt_i32_e64 s1, v53, v67
	s_delay_alu instid0(VALU_DEP_1) | instskip(SKIP_1) | instid1(VALU_DEP_1)
	v_cndmask_b32_e64 v96, 0, v96, s1
	v_cmp_lt_i32_e64 s1, v52, v67
	v_cndmask_b32_e64 v11, 0, v11, s1
	;; [unrolled: 5-line block ×4, first 2 shown]
.LBB382_685:                            ;   in Loop: Header=BB382_424 Depth=1
	s_or_b32 exec_lo, exec_lo, s12
	v_lshlrev_b32_e32 v86, 16, v86
	s_delay_alu instid0(VALU_DEP_1) | instskip(NEXT) | instid1(VALU_DEP_1)
	v_mul_f32_e32 v97, v55, v86
	v_and_b32_e32 v86, 0x7f800000, v97
	s_delay_alu instid0(VALU_DEP_1) | instskip(NEXT) | instid1(VALU_DEP_1)
	v_cmp_ne_u32_e64 s1, 0x7f800000, v86
                                        ; implicit-def: $vgpr86
	s_and_saveexec_b32 s12, s1
	s_delay_alu instid0(SALU_CYCLE_1)
	s_xor_b32 s1, exec_lo, s12
; %bb.686:                              ;   in Loop: Header=BB382_424 Depth=1
	v_bfe_u32 v86, v97, 16, 1
	s_delay_alu instid0(VALU_DEP_1)
	v_add3_u32 v86, v97, v86, 0x7fff
                                        ; implicit-def: $vgpr97
; %bb.687:                              ;   in Loop: Header=BB382_424 Depth=1
	s_and_not1_saveexec_b32 s12, s1
; %bb.688:                              ;   in Loop: Header=BB382_424 Depth=1
	v_and_b32_e32 v86, 0xffff, v97
	v_or_b32_e32 v98, 0x10000, v97
	s_delay_alu instid0(VALU_DEP_2) | instskip(NEXT) | instid1(VALU_DEP_1)
	v_cmp_eq_u32_e64 s1, 0, v86
	v_cndmask_b32_e64 v86, v98, v97, s1
; %bb.689:                              ;   in Loop: Header=BB382_424 Depth=1
	s_or_b32 exec_lo, exec_lo, s12
	v_lshlrev_b32_e32 v87, 16, v87
	s_delay_alu instid0(VALU_DEP_1) | instskip(NEXT) | instid1(VALU_DEP_1)
	v_mul_f32_e32 v97, v64, v87
	v_and_b32_e32 v87, 0x7f800000, v97
	s_delay_alu instid0(VALU_DEP_1) | instskip(NEXT) | instid1(VALU_DEP_1)
	v_cmp_ne_u32_e64 s1, 0x7f800000, v87
                                        ; implicit-def: $vgpr87
	s_and_saveexec_b32 s12, s1
	s_delay_alu instid0(SALU_CYCLE_1)
	s_xor_b32 s1, exec_lo, s12
; %bb.690:                              ;   in Loop: Header=BB382_424 Depth=1
	v_bfe_u32 v87, v97, 16, 1
	s_delay_alu instid0(VALU_DEP_1)
	v_add3_u32 v87, v97, v87, 0x7fff
                                        ; implicit-def: $vgpr97
; %bb.691:                              ;   in Loop: Header=BB382_424 Depth=1
	s_and_not1_saveexec_b32 s12, s1
; %bb.692:                              ;   in Loop: Header=BB382_424 Depth=1
	v_and_b32_e32 v87, 0xffff, v97
	v_or_b32_e32 v98, 0x10000, v97
	s_delay_alu instid0(VALU_DEP_2) | instskip(NEXT) | instid1(VALU_DEP_1)
	v_cmp_eq_u32_e64 s1, 0, v87
	v_cndmask_b32_e64 v87, v98, v97, s1
; %bb.693:                              ;   in Loop: Header=BB382_424 Depth=1
	s_or_b32 exec_lo, exec_lo, s12
	v_lshlrev_b32_e32 v96, 16, v96
	s_delay_alu instid0(VALU_DEP_1) | instskip(NEXT) | instid1(VALU_DEP_1)
	v_mul_f32_e32 v97, v65, v96
	v_and_b32_e32 v96, 0x7f800000, v97
	s_delay_alu instid0(VALU_DEP_1) | instskip(NEXT) | instid1(VALU_DEP_1)
	v_cmp_ne_u32_e64 s1, 0x7f800000, v96
                                        ; implicit-def: $vgpr96
	s_and_saveexec_b32 s12, s1
	s_delay_alu instid0(SALU_CYCLE_1)
	s_xor_b32 s1, exec_lo, s12
; %bb.694:                              ;   in Loop: Header=BB382_424 Depth=1
	v_bfe_u32 v96, v97, 16, 1
	s_delay_alu instid0(VALU_DEP_1)
	v_add3_u32 v96, v97, v96, 0x7fff
                                        ; implicit-def: $vgpr97
; %bb.695:                              ;   in Loop: Header=BB382_424 Depth=1
	s_and_not1_saveexec_b32 s12, s1
; %bb.696:                              ;   in Loop: Header=BB382_424 Depth=1
	v_and_b32_e32 v96, 0xffff, v97
	v_or_b32_e32 v98, 0x10000, v97
	s_delay_alu instid0(VALU_DEP_2) | instskip(NEXT) | instid1(VALU_DEP_1)
	v_cmp_eq_u32_e64 s1, 0, v96
	v_cndmask_b32_e64 v96, v98, v97, s1
; %bb.697:                              ;   in Loop: Header=BB382_424 Depth=1
	s_or_b32 exec_lo, exec_lo, s12
	v_lshlrev_b32_e32 v11, 16, v11
	s_delay_alu instid0(VALU_DEP_1) | instskip(NEXT) | instid1(VALU_DEP_1)
	v_mul_f32_e32 v11, v81, v11
	v_and_b32_e32 v97, 0x7f800000, v11
	s_delay_alu instid0(VALU_DEP_1) | instskip(NEXT) | instid1(VALU_DEP_1)
	v_cmp_ne_u32_e64 s1, 0x7f800000, v97
                                        ; implicit-def: $vgpr97
	s_and_saveexec_b32 s12, s1
	s_delay_alu instid0(SALU_CYCLE_1)
	s_xor_b32 s1, exec_lo, s12
; %bb.698:                              ;   in Loop: Header=BB382_424 Depth=1
	v_bfe_u32 v97, v11, 16, 1
	s_delay_alu instid0(VALU_DEP_1)
	v_add3_u32 v97, v11, v97, 0x7fff
                                        ; implicit-def: $vgpr11
; %bb.699:                              ;   in Loop: Header=BB382_424 Depth=1
	s_and_not1_saveexec_b32 s12, s1
; %bb.700:                              ;   in Loop: Header=BB382_424 Depth=1
	v_and_b32_e32 v97, 0xffff, v11
	v_or_b32_e32 v98, 0x10000, v11
	s_delay_alu instid0(VALU_DEP_2) | instskip(NEXT) | instid1(VALU_DEP_1)
	v_cmp_eq_u32_e64 s1, 0, v97
	v_cndmask_b32_e64 v97, v98, v11, s1
; %bb.701:                              ;   in Loop: Header=BB382_424 Depth=1
	s_or_b32 exec_lo, exec_lo, s12
	v_lshlrev_b32_e32 v10, 16, v10
                                        ; implicit-def: $vgpr98
	s_delay_alu instid0(VALU_DEP_1) | instskip(NEXT) | instid1(VALU_DEP_1)
	v_mul_f32_e32 v10, v82, v10
	v_and_b32_e32 v11, 0x7f800000, v10
	s_delay_alu instid0(VALU_DEP_1) | instskip(NEXT) | instid1(VALU_DEP_1)
	v_cmp_ne_u32_e64 s1, 0x7f800000, v11
	s_and_saveexec_b32 s12, s1
	s_delay_alu instid0(SALU_CYCLE_1)
	s_xor_b32 s1, exec_lo, s12
; %bb.702:                              ;   in Loop: Header=BB382_424 Depth=1
	v_bfe_u32 v11, v10, 16, 1
	s_delay_alu instid0(VALU_DEP_1)
	v_add3_u32 v98, v10, v11, 0x7fff
                                        ; implicit-def: $vgpr10
; %bb.703:                              ;   in Loop: Header=BB382_424 Depth=1
	s_and_not1_saveexec_b32 s12, s1
; %bb.704:                              ;   in Loop: Header=BB382_424 Depth=1
	v_and_b32_e32 v11, 0xffff, v10
	v_or_b32_e32 v98, 0x10000, v10
	s_delay_alu instid0(VALU_DEP_2) | instskip(NEXT) | instid1(VALU_DEP_1)
	v_cmp_eq_u32_e64 s1, 0, v11
	v_cndmask_b32_e64 v98, v98, v10, s1
; %bb.705:                              ;   in Loop: Header=BB382_424 Depth=1
	s_or_b32 exec_lo, exec_lo, s12
	v_lshlrev_b32_e32 v9, 16, v9
                                        ; implicit-def: $vgpr99
	s_delay_alu instid0(VALU_DEP_1) | instskip(NEXT) | instid1(VALU_DEP_1)
	v_mul_f32_e32 v9, v83, v9
	v_and_b32_e32 v10, 0x7f800000, v9
	s_delay_alu instid0(VALU_DEP_1) | instskip(NEXT) | instid1(VALU_DEP_1)
	v_cmp_ne_u32_e64 s1, 0x7f800000, v10
	s_and_saveexec_b32 s12, s1
	s_delay_alu instid0(SALU_CYCLE_1)
	s_xor_b32 s1, exec_lo, s12
; %bb.706:                              ;   in Loop: Header=BB382_424 Depth=1
	v_bfe_u32 v10, v9, 16, 1
	s_delay_alu instid0(VALU_DEP_1)
	v_add3_u32 v99, v9, v10, 0x7fff
                                        ; implicit-def: $vgpr9
; %bb.707:                              ;   in Loop: Header=BB382_424 Depth=1
	s_and_not1_saveexec_b32 s12, s1
; %bb.708:                              ;   in Loop: Header=BB382_424 Depth=1
	v_and_b32_e32 v10, 0xffff, v9
	v_or_b32_e32 v11, 0x10000, v9
	s_delay_alu instid0(VALU_DEP_2) | instskip(NEXT) | instid1(VALU_DEP_1)
	v_cmp_eq_u32_e64 s1, 0, v10
	v_cndmask_b32_e64 v99, v11, v9, s1
; %bb.709:                              ;   in Loop: Header=BB382_424 Depth=1
	s_or_b32 exec_lo, exec_lo, s12
	v_lshlrev_b32_e32 v8, 16, v8
                                        ; implicit-def: $vgpr100
	s_delay_alu instid0(VALU_DEP_1) | instskip(NEXT) | instid1(VALU_DEP_1)
	v_mul_f32_e32 v8, v84, v8
	v_and_b32_e32 v9, 0x7f800000, v8
	s_delay_alu instid0(VALU_DEP_1) | instskip(NEXT) | instid1(VALU_DEP_1)
	v_cmp_ne_u32_e64 s1, 0x7f800000, v9
	s_and_saveexec_b32 s12, s1
	s_delay_alu instid0(SALU_CYCLE_1)
	s_xor_b32 s1, exec_lo, s12
; %bb.710:                              ;   in Loop: Header=BB382_424 Depth=1
	v_bfe_u32 v9, v8, 16, 1
	s_delay_alu instid0(VALU_DEP_1)
	v_add3_u32 v100, v8, v9, 0x7fff
                                        ; implicit-def: $vgpr8
; %bb.711:                              ;   in Loop: Header=BB382_424 Depth=1
	s_and_not1_saveexec_b32 s12, s1
; %bb.712:                              ;   in Loop: Header=BB382_424 Depth=1
	v_and_b32_e32 v9, 0xffff, v8
	v_or_b32_e32 v10, 0x10000, v8
	s_delay_alu instid0(VALU_DEP_2) | instskip(NEXT) | instid1(VALU_DEP_1)
	v_cmp_eq_u32_e64 s1, 0, v9
	v_cndmask_b32_e64 v100, v10, v8, s1
; %bb.713:                              ;   in Loop: Header=BB382_424 Depth=1
	s_or_b32 exec_lo, exec_lo, s12
	v_lshlrev_b32_e32 v0, 16, v0
                                        ; implicit-def: $vgpr101
	s_delay_alu instid0(VALU_DEP_1) | instskip(NEXT) | instid1(VALU_DEP_1)
	v_mul_f32_e32 v0, v85, v0
	v_and_b32_e32 v8, 0x7f800000, v0
	s_delay_alu instid0(VALU_DEP_1) | instskip(NEXT) | instid1(VALU_DEP_1)
	v_cmp_ne_u32_e64 s1, 0x7f800000, v8
	s_and_saveexec_b32 s12, s1
	s_delay_alu instid0(SALU_CYCLE_1)
	s_xor_b32 s1, exec_lo, s12
; %bb.714:                              ;   in Loop: Header=BB382_424 Depth=1
	v_bfe_u32 v8, v0, 16, 1
	s_delay_alu instid0(VALU_DEP_1)
	v_add3_u32 v101, v0, v8, 0x7fff
                                        ; implicit-def: $vgpr0
; %bb.715:                              ;   in Loop: Header=BB382_424 Depth=1
	s_and_not1_saveexec_b32 s12, s1
; %bb.716:                              ;   in Loop: Header=BB382_424 Depth=1
	v_and_b32_e32 v8, 0xffff, v0
	v_or_b32_e32 v9, 0x10000, v0
	s_delay_alu instid0(VALU_DEP_2) | instskip(NEXT) | instid1(VALU_DEP_1)
	v_cmp_eq_u32_e64 s1, 0, v8
	v_cndmask_b32_e64 v101, v9, v0, s1
; %bb.717:                              ;   in Loop: Header=BB382_424 Depth=1
	s_or_b32 exec_lo, exec_lo, s12
	flat_load_b64 v[8:9], v[6:7] offset:512
	v_mov_b32_e32 v0, 0
	s_mov_b32 s12, exec_lo
	s_waitcnt vmcnt(0) lgkmcnt(0)
	v_and_b32_e32 v10, 0xff, v8
	s_delay_alu instid0(VALU_DEP_1)
	v_cmpx_ne_u16_e32 0, v10
	s_cbranch_execz .LBB382_725
; %bb.718:                              ;   in Loop: Header=BB382_424 Depth=1
	v_bfrev_b32_e32 v0, 1
	s_mov_b32 s13, exec_lo
	v_cmpx_ne_u16_e32 0x80, v10
	s_cbranch_execz .LBB382_724
; %bb.719:                              ;   in Loop: Header=BB382_424 Depth=1
	v_and_b32_e32 v10, 0x7f, v8
	v_mov_b32_e32 v0, 0x7f800001
	s_mov_b32 s15, exec_lo
	s_delay_alu instid0(VALU_DEP_2)
	v_cmpx_ne_u32_e32 0x7f, v10
	s_cbranch_execz .LBB382_723
; %bb.720:                              ;   in Loop: Header=BB382_424 Depth=1
	v_lshrrev_b32_e32 v0, 3, v10
	v_cmp_gt_u32_e64 s1, 8, v10
	v_dual_mov_b32 v11, v9 :: v_dual_mov_b32 v10, v8
	s_delay_alu instid0(VALU_DEP_2)
	s_and_saveexec_b32 s16, s1
; %bb.721:                              ;   in Loop: Header=BB382_424 Depth=1
	v_and_b32_e32 v0, 7, v8
	s_delay_alu instid0(VALU_DEP_1) | instskip(NEXT) | instid1(VALU_DEP_1)
	v_clz_i32_u32_e32 v0, v0
	v_min_u32_e32 v0, 32, v0
	s_delay_alu instid0(VALU_DEP_1) | instskip(SKIP_1) | instid1(VALU_DEP_2)
	v_subrev_nc_u32_e32 v10, 28, v0
	v_sub_nc_u32_e32 v0, 29, v0
	v_lshlrev_b64 v[10:11], v10, v[8:9]
; %bb.722:                              ;   in Loop: Header=BB382_424 Depth=1
	s_or_b32 exec_lo, exec_lo, s16
	s_delay_alu instid0(VALU_DEP_1) | instskip(SKIP_2) | instid1(VALU_DEP_3)
	v_lshlrev_b32_e32 v10, 20, v10
	v_lshlrev_b32_e32 v11, 24, v8
	v_lshl_add_u32 v0, v0, 23, 0x3c000000
	v_and_b32_e32 v10, 0x700000, v10
	s_delay_alu instid0(VALU_DEP_3) | instskip(NEXT) | instid1(VALU_DEP_1)
	v_and_b32_e32 v11, 0x80000000, v11
	v_or3_b32 v0, v10, v11, v0
.LBB382_723:                            ;   in Loop: Header=BB382_424 Depth=1
	s_or_b32 exec_lo, exec_lo, s15
.LBB382_724:                            ;   in Loop: Header=BB382_424 Depth=1
	s_delay_alu instid0(SALU_CYCLE_1)
	s_or_b32 exec_lo, exec_lo, s13
.LBB382_725:                            ;   in Loop: Header=BB382_424 Depth=1
	s_delay_alu instid0(SALU_CYCLE_1) | instskip(NEXT) | instid1(VALU_DEP_1)
	s_or_b32 exec_lo, exec_lo, s12
	v_mul_f32_e32 v0, v12, v0
                                        ; implicit-def: $vgpr102
	s_delay_alu instid0(VALU_DEP_1) | instskip(NEXT) | instid1(VALU_DEP_1)
	v_and_b32_e32 v10, 0x7f800000, v0
	v_cmp_ne_u32_e64 s1, 0x7f800000, v10
	s_delay_alu instid0(VALU_DEP_1) | instskip(NEXT) | instid1(SALU_CYCLE_1)
	s_and_saveexec_b32 s12, s1
	s_xor_b32 s1, exec_lo, s12
; %bb.726:                              ;   in Loop: Header=BB382_424 Depth=1
	v_bfe_u32 v10, v0, 16, 1
	s_delay_alu instid0(VALU_DEP_1)
	v_add3_u32 v102, v0, v10, 0x7fff
                                        ; implicit-def: $vgpr0
; %bb.727:                              ;   in Loop: Header=BB382_424 Depth=1
	s_and_not1_saveexec_b32 s12, s1
; %bb.728:                              ;   in Loop: Header=BB382_424 Depth=1
	v_and_b32_e32 v10, 0xffff, v0
	v_or_b32_e32 v11, 0x10000, v0
	s_delay_alu instid0(VALU_DEP_2) | instskip(NEXT) | instid1(VALU_DEP_1)
	v_cmp_eq_u32_e64 s1, 0, v10
	v_cndmask_b32_e64 v102, v11, v0, s1
; %bb.729:                              ;   in Loop: Header=BB382_424 Depth=1
	s_or_b32 exec_lo, exec_lo, s12
	v_lshrrev_b16 v10, 8, v8
	v_mov_b32_e32 v0, 0
	s_mov_b32 s12, exec_lo
	s_delay_alu instid0(VALU_DEP_2)
	v_cmpx_ne_u16_e32 0, v10
	s_cbranch_execz .LBB382_737
; %bb.730:                              ;   in Loop: Header=BB382_424 Depth=1
	v_bfrev_b32_e32 v0, 1
	s_mov_b32 s13, exec_lo
	v_cmpx_ne_u16_e32 0x80, v10
	s_cbranch_execz .LBB382_736
; %bb.731:                              ;   in Loop: Header=BB382_424 Depth=1
	v_and_b32_e32 v10, 0xffff, v10
	v_mov_b32_e32 v0, 0x7f800001
	s_mov_b32 s15, exec_lo
	s_delay_alu instid0(VALU_DEP_2) | instskip(NEXT) | instid1(VALU_DEP_1)
	v_and_b32_e32 v11, 0x7f, v10
	v_cmpx_ne_u32_e32 0x7f, v11
	s_cbranch_execz .LBB382_735
; %bb.732:                              ;   in Loop: Header=BB382_424 Depth=1
	v_and_b32_e32 v0, 7, v10
	v_lshrrev_b32_e32 v10, 3, v11
	s_mov_b32 s16, exec_lo
	v_cmpx_gt_u32_e32 8, v11
; %bb.733:                              ;   in Loop: Header=BB382_424 Depth=1
	s_delay_alu instid0(VALU_DEP_3) | instskip(NEXT) | instid1(VALU_DEP_1)
	v_clz_i32_u32_e32 v10, v0
	v_min_u32_e32 v10, 32, v10
	s_delay_alu instid0(VALU_DEP_1) | instskip(SKIP_1) | instid1(VALU_DEP_2)
	v_subrev_nc_u32_e32 v11, 28, v10
	v_sub_nc_u32_e32 v10, 29, v10
	v_lshlrev_b64 v[112:113], v11, v[0:1]
	s_delay_alu instid0(VALU_DEP_1)
	v_and_b32_e32 v0, 7, v112
; %bb.734:                              ;   in Loop: Header=BB382_424 Depth=1
	s_or_b32 exec_lo, exec_lo, s16
	v_lshlrev_b32_e32 v11, 16, v8
	s_delay_alu instid0(VALU_DEP_2) | instskip(SKIP_1) | instid1(VALU_DEP_3)
	v_lshlrev_b32_e32 v0, 20, v0
	v_lshl_add_u32 v10, v10, 23, 0x3c000000
	v_and_b32_e32 v11, 0x80000000, v11
	s_delay_alu instid0(VALU_DEP_1)
	v_or3_b32 v0, v0, v11, v10
.LBB382_735:                            ;   in Loop: Header=BB382_424 Depth=1
	s_or_b32 exec_lo, exec_lo, s15
.LBB382_736:                            ;   in Loop: Header=BB382_424 Depth=1
	s_delay_alu instid0(SALU_CYCLE_1)
	s_or_b32 exec_lo, exec_lo, s13
.LBB382_737:                            ;   in Loop: Header=BB382_424 Depth=1
	s_delay_alu instid0(SALU_CYCLE_1) | instskip(NEXT) | instid1(VALU_DEP_1)
	s_or_b32 exec_lo, exec_lo, s12
	v_mul_f32_e32 v0, v12, v0
                                        ; implicit-def: $vgpr103
	s_delay_alu instid0(VALU_DEP_1) | instskip(NEXT) | instid1(VALU_DEP_1)
	v_and_b32_e32 v10, 0x7f800000, v0
	v_cmp_ne_u32_e64 s1, 0x7f800000, v10
	s_delay_alu instid0(VALU_DEP_1) | instskip(NEXT) | instid1(SALU_CYCLE_1)
	s_and_saveexec_b32 s12, s1
	s_xor_b32 s1, exec_lo, s12
; %bb.738:                              ;   in Loop: Header=BB382_424 Depth=1
	v_bfe_u32 v10, v0, 16, 1
	s_delay_alu instid0(VALU_DEP_1)
	v_add3_u32 v103, v0, v10, 0x7fff
                                        ; implicit-def: $vgpr0
; %bb.739:                              ;   in Loop: Header=BB382_424 Depth=1
	s_and_not1_saveexec_b32 s12, s1
; %bb.740:                              ;   in Loop: Header=BB382_424 Depth=1
	v_and_b32_e32 v10, 0xffff, v0
	v_or_b32_e32 v11, 0x10000, v0
	s_delay_alu instid0(VALU_DEP_2) | instskip(NEXT) | instid1(VALU_DEP_1)
	v_cmp_eq_u32_e64 s1, 0, v10
	v_cndmask_b32_e64 v103, v11, v0, s1
; %bb.741:                              ;   in Loop: Header=BB382_424 Depth=1
	s_or_b32 exec_lo, exec_lo, s12
	v_lshrrev_b32_e32 v10, 16, v8
	s_mov_b32 s12, exec_lo
	s_delay_alu instid0(VALU_DEP_1) | instskip(NEXT) | instid1(VALU_DEP_1)
	v_dual_mov_b32 v0, 0 :: v_dual_and_b32 v11, 0xff, v10
	v_cmpx_ne_u16_e32 0, v11
	s_cbranch_execz .LBB382_749
; %bb.742:                              ;   in Loop: Header=BB382_424 Depth=1
	v_bfrev_b32_e32 v0, 1
	s_mov_b32 s13, exec_lo
	v_cmpx_ne_u16_e32 0x80, v11
	s_cbranch_execz .LBB382_748
; %bb.743:                              ;   in Loop: Header=BB382_424 Depth=1
	v_bfe_u32 v112, v8, 16, 7
	v_mov_b32_e32 v0, 0x7f800001
	s_mov_b32 s15, exec_lo
	s_delay_alu instid0(VALU_DEP_2)
	v_cmpx_ne_u32_e32 0x7f, v112
	s_cbranch_execz .LBB382_747
; %bb.744:                              ;   in Loop: Header=BB382_424 Depth=1
	v_and_b32_e32 v0, 7, v10
	v_lshrrev_b32_e32 v11, 3, v112
	s_mov_b32 s16, exec_lo
	v_cmpx_gt_u32_e32 8, v112
; %bb.745:                              ;   in Loop: Header=BB382_424 Depth=1
	s_delay_alu instid0(VALU_DEP_3) | instskip(NEXT) | instid1(VALU_DEP_1)
	v_clz_i32_u32_e32 v11, v0
	v_min_u32_e32 v11, 32, v11
	s_delay_alu instid0(VALU_DEP_1) | instskip(SKIP_1) | instid1(VALU_DEP_2)
	v_subrev_nc_u32_e32 v112, 28, v11
	v_sub_nc_u32_e32 v11, 29, v11
	v_lshlrev_b64 v[112:113], v112, v[0:1]
	s_delay_alu instid0(VALU_DEP_1)
	v_and_b32_e32 v0, 7, v112
; %bb.746:                              ;   in Loop: Header=BB382_424 Depth=1
	s_or_b32 exec_lo, exec_lo, s16
	v_lshlrev_b32_e32 v10, 24, v10
	s_delay_alu instid0(VALU_DEP_2) | instskip(SKIP_1) | instid1(VALU_DEP_3)
	v_lshlrev_b32_e32 v0, 20, v0
	v_lshl_add_u32 v11, v11, 23, 0x3c000000
	v_and_b32_e32 v10, 0x80000000, v10
	s_delay_alu instid0(VALU_DEP_1)
	v_or3_b32 v0, v0, v10, v11
.LBB382_747:                            ;   in Loop: Header=BB382_424 Depth=1
	s_or_b32 exec_lo, exec_lo, s15
.LBB382_748:                            ;   in Loop: Header=BB382_424 Depth=1
	s_delay_alu instid0(SALU_CYCLE_1)
	s_or_b32 exec_lo, exec_lo, s13
.LBB382_749:                            ;   in Loop: Header=BB382_424 Depth=1
	s_delay_alu instid0(SALU_CYCLE_1) | instskip(NEXT) | instid1(VALU_DEP_1)
	s_or_b32 exec_lo, exec_lo, s12
	v_mul_f32_e32 v0, v12, v0
                                        ; implicit-def: $vgpr112
	s_delay_alu instid0(VALU_DEP_1) | instskip(NEXT) | instid1(VALU_DEP_1)
	v_and_b32_e32 v10, 0x7f800000, v0
	v_cmp_ne_u32_e64 s1, 0x7f800000, v10
	s_delay_alu instid0(VALU_DEP_1) | instskip(NEXT) | instid1(SALU_CYCLE_1)
	s_and_saveexec_b32 s12, s1
	s_xor_b32 s1, exec_lo, s12
; %bb.750:                              ;   in Loop: Header=BB382_424 Depth=1
	v_bfe_u32 v10, v0, 16, 1
	s_delay_alu instid0(VALU_DEP_1)
	v_add3_u32 v112, v0, v10, 0x7fff
                                        ; implicit-def: $vgpr0
; %bb.751:                              ;   in Loop: Header=BB382_424 Depth=1
	s_and_not1_saveexec_b32 s12, s1
; %bb.752:                              ;   in Loop: Header=BB382_424 Depth=1
	v_and_b32_e32 v10, 0xffff, v0
	v_or_b32_e32 v11, 0x10000, v0
	s_delay_alu instid0(VALU_DEP_2) | instskip(NEXT) | instid1(VALU_DEP_1)
	v_cmp_eq_u32_e64 s1, 0, v10
	v_cndmask_b32_e64 v112, v11, v0, s1
; %bb.753:                              ;   in Loop: Header=BB382_424 Depth=1
	s_or_b32 exec_lo, exec_lo, s12
	v_mov_b32_e32 v0, 0
	s_mov_b32 s12, exec_lo
	v_cmpx_lt_u32_e32 0xffffff, v8
	s_cbranch_execz .LBB382_761
; %bb.754:                              ;   in Loop: Header=BB382_424 Depth=1
	v_lshrrev_b32_e32 v10, 24, v8
	v_bfrev_b32_e32 v0, 1
	s_mov_b32 s13, exec_lo
	s_delay_alu instid0(VALU_DEP_2)
	v_cmpx_ne_u32_e32 0x80, v10
	s_cbranch_execz .LBB382_760
; %bb.755:                              ;   in Loop: Header=BB382_424 Depth=1
	v_bfe_u32 v113, v8, 24, 7
	v_mov_b32_e32 v0, 0x7f800001
	s_mov_b32 s15, exec_lo
	s_delay_alu instid0(VALU_DEP_2)
	v_cmpx_ne_u32_e32 0x7f, v113
	s_cbranch_execz .LBB382_759
; %bb.756:                              ;   in Loop: Header=BB382_424 Depth=1
	v_and_b32_e32 v0, 7, v10
	v_lshrrev_b32_e32 v11, 3, v113
	s_mov_b32 s16, exec_lo
	v_cmpx_gt_u32_e32 8, v113
; %bb.757:                              ;   in Loop: Header=BB382_424 Depth=1
	s_delay_alu instid0(VALU_DEP_3) | instskip(NEXT) | instid1(VALU_DEP_1)
	v_clz_i32_u32_e32 v11, v0
	v_min_u32_e32 v11, 32, v11
	s_delay_alu instid0(VALU_DEP_1) | instskip(SKIP_1) | instid1(VALU_DEP_2)
	v_subrev_nc_u32_e32 v113, 28, v11
	v_sub_nc_u32_e32 v11, 29, v11
	v_lshlrev_b64 v[113:114], v113, v[0:1]
	s_delay_alu instid0(VALU_DEP_1)
	v_and_b32_e32 v0, 7, v113
; %bb.758:                              ;   in Loop: Header=BB382_424 Depth=1
	s_or_b32 exec_lo, exec_lo, s16
	v_lshlrev_b32_e32 v10, 24, v10
	s_delay_alu instid0(VALU_DEP_2) | instskip(SKIP_1) | instid1(VALU_DEP_3)
	v_lshlrev_b32_e32 v0, 20, v0
	v_lshl_add_u32 v11, v11, 23, 0x3c000000
	v_and_b32_e32 v10, 0x80000000, v10
	s_delay_alu instid0(VALU_DEP_1)
	v_or3_b32 v0, v0, v10, v11
.LBB382_759:                            ;   in Loop: Header=BB382_424 Depth=1
	s_or_b32 exec_lo, exec_lo, s15
.LBB382_760:                            ;   in Loop: Header=BB382_424 Depth=1
	s_delay_alu instid0(SALU_CYCLE_1)
	s_or_b32 exec_lo, exec_lo, s13
.LBB382_761:                            ;   in Loop: Header=BB382_424 Depth=1
	s_delay_alu instid0(SALU_CYCLE_1) | instskip(NEXT) | instid1(VALU_DEP_1)
	s_or_b32 exec_lo, exec_lo, s12
	v_mul_f32_e32 v0, v12, v0
                                        ; implicit-def: $vgpr113
	s_delay_alu instid0(VALU_DEP_1) | instskip(NEXT) | instid1(VALU_DEP_1)
	v_and_b32_e32 v10, 0x7f800000, v0
	v_cmp_ne_u32_e64 s1, 0x7f800000, v10
	s_delay_alu instid0(VALU_DEP_1) | instskip(NEXT) | instid1(SALU_CYCLE_1)
	s_and_saveexec_b32 s12, s1
	s_xor_b32 s1, exec_lo, s12
; %bb.762:                              ;   in Loop: Header=BB382_424 Depth=1
	v_bfe_u32 v10, v0, 16, 1
	s_delay_alu instid0(VALU_DEP_1)
	v_add3_u32 v113, v0, v10, 0x7fff
                                        ; implicit-def: $vgpr0
; %bb.763:                              ;   in Loop: Header=BB382_424 Depth=1
	s_and_not1_saveexec_b32 s12, s1
; %bb.764:                              ;   in Loop: Header=BB382_424 Depth=1
	v_and_b32_e32 v10, 0xffff, v0
	v_or_b32_e32 v11, 0x10000, v0
	s_delay_alu instid0(VALU_DEP_2) | instskip(NEXT) | instid1(VALU_DEP_1)
	v_cmp_eq_u32_e64 s1, 0, v10
	v_cndmask_b32_e64 v113, v11, v0, s1
; %bb.765:                              ;   in Loop: Header=BB382_424 Depth=1
	s_or_b32 exec_lo, exec_lo, s12
	v_dual_mov_b32 v0, v9 :: v_dual_and_b32 v11, 0xff, v9
	v_mov_b32_e32 v10, 0
	s_mov_b32 s12, exec_lo
	s_delay_alu instid0(VALU_DEP_2)
	v_cmpx_ne_u16_e32 0, v11
	s_cbranch_execz .LBB382_773
; %bb.766:                              ;   in Loop: Header=BB382_424 Depth=1
	v_bfrev_b32_e32 v10, 1
	s_mov_b32 s13, exec_lo
	v_cmpx_ne_u16_e32 0x80, v11
	s_cbranch_execz .LBB382_772
; %bb.767:                              ;   in Loop: Header=BB382_424 Depth=1
	v_and_b32_e32 v11, 0x7f, v9
	v_mov_b32_e32 v10, 0x7f800001
	s_mov_b32 s15, exec_lo
	s_delay_alu instid0(VALU_DEP_2)
	v_cmpx_ne_u32_e32 0x7f, v11
	s_cbranch_execz .LBB382_771
; %bb.768:                              ;   in Loop: Header=BB382_424 Depth=1
	v_lshrrev_b32_e32 v114, 3, v11
	v_cmp_gt_u32_e64 s1, 8, v11
	v_dual_mov_b32 v11, v1 :: v_dual_mov_b32 v10, v0
	s_delay_alu instid0(VALU_DEP_2)
	s_and_saveexec_b32 s16, s1
; %bb.769:                              ;   in Loop: Header=BB382_424 Depth=1
	v_and_b32_e32 v10, 7, v9
	s_delay_alu instid0(VALU_DEP_1) | instskip(NEXT) | instid1(VALU_DEP_1)
	v_clz_i32_u32_e32 v10, v10
	v_min_u32_e32 v114, 32, v10
	s_delay_alu instid0(VALU_DEP_1) | instskip(SKIP_1) | instid1(VALU_DEP_2)
	v_subrev_nc_u32_e32 v10, 28, v114
	v_sub_nc_u32_e32 v114, 29, v114
	v_lshlrev_b64 v[10:11], v10, v[0:1]
; %bb.770:                              ;   in Loop: Header=BB382_424 Depth=1
	s_or_b32 exec_lo, exec_lo, s16
	s_delay_alu instid0(VALU_DEP_1) | instskip(SKIP_2) | instid1(VALU_DEP_3)
	v_lshlrev_b32_e32 v10, 20, v10
	v_lshlrev_b32_e32 v11, 24, v0
	v_lshl_add_u32 v114, v114, 23, 0x3c000000
	v_and_b32_e32 v10, 0x700000, v10
	s_delay_alu instid0(VALU_DEP_3) | instskip(NEXT) | instid1(VALU_DEP_1)
	v_and_b32_e32 v11, 0x80000000, v11
	v_or3_b32 v10, v10, v11, v114
.LBB382_771:                            ;   in Loop: Header=BB382_424 Depth=1
	s_or_b32 exec_lo, exec_lo, s15
.LBB382_772:                            ;   in Loop: Header=BB382_424 Depth=1
	s_delay_alu instid0(SALU_CYCLE_1)
	s_or_b32 exec_lo, exec_lo, s13
.LBB382_773:                            ;   in Loop: Header=BB382_424 Depth=1
	s_delay_alu instid0(SALU_CYCLE_1) | instskip(NEXT) | instid1(VALU_DEP_1)
	s_or_b32 exec_lo, exec_lo, s12
	v_mul_f32_e32 v10, v12, v10
                                        ; implicit-def: $vgpr114
	s_delay_alu instid0(VALU_DEP_1) | instskip(NEXT) | instid1(VALU_DEP_1)
	v_and_b32_e32 v11, 0x7f800000, v10
	v_cmp_ne_u32_e64 s1, 0x7f800000, v11
	s_delay_alu instid0(VALU_DEP_1) | instskip(NEXT) | instid1(SALU_CYCLE_1)
	s_and_saveexec_b32 s12, s1
	s_xor_b32 s1, exec_lo, s12
; %bb.774:                              ;   in Loop: Header=BB382_424 Depth=1
	v_bfe_u32 v11, v10, 16, 1
	s_delay_alu instid0(VALU_DEP_1)
	v_add3_u32 v114, v10, v11, 0x7fff
                                        ; implicit-def: $vgpr10
; %bb.775:                              ;   in Loop: Header=BB382_424 Depth=1
	s_and_not1_saveexec_b32 s12, s1
; %bb.776:                              ;   in Loop: Header=BB382_424 Depth=1
	v_and_b32_e32 v11, 0xffff, v10
	v_or_b32_e32 v114, 0x10000, v10
	s_delay_alu instid0(VALU_DEP_2) | instskip(NEXT) | instid1(VALU_DEP_1)
	v_cmp_eq_u32_e64 s1, 0, v11
	v_cndmask_b32_e64 v114, v114, v10, s1
; %bb.777:                              ;   in Loop: Header=BB382_424 Depth=1
	s_or_b32 exec_lo, exec_lo, s12
	v_lshrrev_b16 v11, 8, v0
	v_mov_b32_e32 v10, 0
	s_mov_b32 s12, exec_lo
	s_delay_alu instid0(VALU_DEP_2)
	v_cmpx_ne_u16_e32 0, v11
	s_cbranch_execz .LBB382_785
; %bb.778:                              ;   in Loop: Header=BB382_424 Depth=1
	v_bfrev_b32_e32 v10, 1
	s_mov_b32 s13, exec_lo
	v_cmpx_ne_u16_e32 0x80, v11
	s_cbranch_execz .LBB382_784
; %bb.779:                              ;   in Loop: Header=BB382_424 Depth=1
	v_and_b32_e32 v11, 0xffff, v11
	v_mov_b32_e32 v10, 0x7f800001
	s_mov_b32 s15, exec_lo
	s_delay_alu instid0(VALU_DEP_2) | instskip(NEXT) | instid1(VALU_DEP_1)
	v_and_b32_e32 v116, 0x7f, v11
	v_cmpx_ne_u32_e32 0x7f, v116
	s_cbranch_execz .LBB382_783
; %bb.780:                              ;   in Loop: Header=BB382_424 Depth=1
	v_dual_mov_b32 v11, v1 :: v_dual_and_b32 v10, 7, v11
	v_lshrrev_b32_e32 v115, 3, v116
	s_mov_b32 s16, exec_lo
	v_cmpx_gt_u32_e32 8, v116
; %bb.781:                              ;   in Loop: Header=BB382_424 Depth=1
	s_delay_alu instid0(VALU_DEP_3) | instskip(NEXT) | instid1(VALU_DEP_1)
	v_clz_i32_u32_e32 v115, v10
	v_min_u32_e32 v115, 32, v115
	s_delay_alu instid0(VALU_DEP_1) | instskip(SKIP_1) | instid1(VALU_DEP_2)
	v_subrev_nc_u32_e32 v116, 28, v115
	v_sub_nc_u32_e32 v115, 29, v115
	v_lshlrev_b64 v[10:11], v116, v[10:11]
	s_delay_alu instid0(VALU_DEP_1)
	v_and_b32_e32 v10, 7, v10
; %bb.782:                              ;   in Loop: Header=BB382_424 Depth=1
	s_or_b32 exec_lo, exec_lo, s16
	v_lshlrev_b32_e32 v0, 16, v0
	s_delay_alu instid0(VALU_DEP_2) | instskip(SKIP_1) | instid1(VALU_DEP_3)
	v_lshlrev_b32_e32 v10, 20, v10
	v_lshl_add_u32 v11, v115, 23, 0x3c000000
	v_and_b32_e32 v0, 0x80000000, v0
	s_delay_alu instid0(VALU_DEP_1)
	v_or3_b32 v10, v10, v0, v11
.LBB382_783:                            ;   in Loop: Header=BB382_424 Depth=1
	s_or_b32 exec_lo, exec_lo, s15
.LBB382_784:                            ;   in Loop: Header=BB382_424 Depth=1
	s_delay_alu instid0(SALU_CYCLE_1)
	s_or_b32 exec_lo, exec_lo, s13
.LBB382_785:                            ;   in Loop: Header=BB382_424 Depth=1
	s_delay_alu instid0(SALU_CYCLE_1) | instskip(NEXT) | instid1(VALU_DEP_1)
	s_or_b32 exec_lo, exec_lo, s12
	v_mul_f32_e32 v0, v12, v10
	s_delay_alu instid0(VALU_DEP_1) | instskip(NEXT) | instid1(VALU_DEP_1)
	v_and_b32_e32 v10, 0x7f800000, v0
	v_cmp_ne_u32_e64 s1, 0x7f800000, v10
                                        ; implicit-def: $vgpr10
	s_delay_alu instid0(VALU_DEP_1) | instskip(NEXT) | instid1(SALU_CYCLE_1)
	s_and_saveexec_b32 s12, s1
	s_xor_b32 s1, exec_lo, s12
; %bb.786:                              ;   in Loop: Header=BB382_424 Depth=1
	v_bfe_u32 v10, v0, 16, 1
	s_delay_alu instid0(VALU_DEP_1)
	v_add3_u32 v10, v0, v10, 0x7fff
                                        ; implicit-def: $vgpr0
; %bb.787:                              ;   in Loop: Header=BB382_424 Depth=1
	s_and_not1_saveexec_b32 s12, s1
; %bb.788:                              ;   in Loop: Header=BB382_424 Depth=1
	v_and_b32_e32 v10, 0xffff, v0
	v_or_b32_e32 v11, 0x10000, v0
	s_delay_alu instid0(VALU_DEP_2) | instskip(NEXT) | instid1(VALU_DEP_1)
	v_cmp_eq_u32_e64 s1, 0, v10
	v_cndmask_b32_e64 v10, v11, v0, s1
; %bb.789:                              ;   in Loop: Header=BB382_424 Depth=1
	s_or_b32 exec_lo, exec_lo, s12
	v_lshrrev_b32_e32 v11, 16, v9
	s_mov_b32 s12, exec_lo
	s_delay_alu instid0(VALU_DEP_1) | instskip(NEXT) | instid1(VALU_DEP_1)
	v_dual_mov_b32 v0, 0 :: v_dual_and_b32 v115, 0xff, v11
	v_cmpx_ne_u16_e32 0, v115
	s_cbranch_execz .LBB382_797
; %bb.790:                              ;   in Loop: Header=BB382_424 Depth=1
	v_bfrev_b32_e32 v0, 1
	s_mov_b32 s13, exec_lo
	v_cmpx_ne_u16_e32 0x80, v115
	s_cbranch_execz .LBB382_796
; %bb.791:                              ;   in Loop: Header=BB382_424 Depth=1
	v_bfe_u32 v116, v9, 16, 7
	v_mov_b32_e32 v0, 0x7f800001
	s_mov_b32 s15, exec_lo
	s_delay_alu instid0(VALU_DEP_2)
	v_cmpx_ne_u32_e32 0x7f, v116
	s_cbranch_execz .LBB382_795
; %bb.792:                              ;   in Loop: Header=BB382_424 Depth=1
	v_and_b32_e32 v0, 7, v11
	v_lshrrev_b32_e32 v115, 3, v116
	s_mov_b32 s16, exec_lo
	v_cmpx_gt_u32_e32 8, v116
; %bb.793:                              ;   in Loop: Header=BB382_424 Depth=1
	s_delay_alu instid0(VALU_DEP_3) | instskip(NEXT) | instid1(VALU_DEP_1)
	v_clz_i32_u32_e32 v115, v0
	v_min_u32_e32 v115, 32, v115
	s_delay_alu instid0(VALU_DEP_1) | instskip(SKIP_1) | instid1(VALU_DEP_2)
	v_subrev_nc_u32_e32 v116, 28, v115
	v_sub_nc_u32_e32 v115, 29, v115
	v_lshlrev_b64 v[116:117], v116, v[0:1]
	s_delay_alu instid0(VALU_DEP_1)
	v_and_b32_e32 v0, 7, v116
; %bb.794:                              ;   in Loop: Header=BB382_424 Depth=1
	s_or_b32 exec_lo, exec_lo, s16
	v_lshlrev_b32_e32 v11, 24, v11
	s_delay_alu instid0(VALU_DEP_2) | instskip(SKIP_1) | instid1(VALU_DEP_3)
	v_lshlrev_b32_e32 v0, 20, v0
	v_lshl_add_u32 v115, v115, 23, 0x3c000000
	v_and_b32_e32 v11, 0x80000000, v11
	s_delay_alu instid0(VALU_DEP_1)
	v_or3_b32 v0, v0, v11, v115
.LBB382_795:                            ;   in Loop: Header=BB382_424 Depth=1
	s_or_b32 exec_lo, exec_lo, s15
.LBB382_796:                            ;   in Loop: Header=BB382_424 Depth=1
	s_delay_alu instid0(SALU_CYCLE_1)
	s_or_b32 exec_lo, exec_lo, s13
.LBB382_797:                            ;   in Loop: Header=BB382_424 Depth=1
	s_delay_alu instid0(SALU_CYCLE_1) | instskip(NEXT) | instid1(VALU_DEP_1)
	s_or_b32 exec_lo, exec_lo, s12
	v_mul_f32_e32 v0, v12, v0
	s_delay_alu instid0(VALU_DEP_1) | instskip(NEXT) | instid1(VALU_DEP_1)
	v_and_b32_e32 v11, 0x7f800000, v0
	v_cmp_ne_u32_e64 s1, 0x7f800000, v11
                                        ; implicit-def: $vgpr11
	s_delay_alu instid0(VALU_DEP_1) | instskip(NEXT) | instid1(SALU_CYCLE_1)
	s_and_saveexec_b32 s12, s1
	s_xor_b32 s1, exec_lo, s12
; %bb.798:                              ;   in Loop: Header=BB382_424 Depth=1
	v_bfe_u32 v11, v0, 16, 1
	s_delay_alu instid0(VALU_DEP_1)
	v_add3_u32 v11, v0, v11, 0x7fff
                                        ; implicit-def: $vgpr0
; %bb.799:                              ;   in Loop: Header=BB382_424 Depth=1
	s_and_not1_saveexec_b32 s12, s1
; %bb.800:                              ;   in Loop: Header=BB382_424 Depth=1
	v_and_b32_e32 v11, 0xffff, v0
	v_or_b32_e32 v115, 0x10000, v0
	s_delay_alu instid0(VALU_DEP_2) | instskip(NEXT) | instid1(VALU_DEP_1)
	v_cmp_eq_u32_e64 s1, 0, v11
	v_cndmask_b32_e64 v11, v115, v0, s1
; %bb.801:                              ;   in Loop: Header=BB382_424 Depth=1
	s_or_b32 exec_lo, exec_lo, s12
	v_mov_b32_e32 v0, 0
	s_mov_b32 s12, exec_lo
	v_cmpx_lt_u64_e64 s[8:9], v[8:9]
	s_cbranch_execz .LBB382_809
; %bb.802:                              ;   in Loop: Header=BB382_424 Depth=1
	v_lshrrev_b32_e32 v8, 24, v9
	v_bfrev_b32_e32 v0, 1
	s_mov_b32 s13, exec_lo
	s_delay_alu instid0(VALU_DEP_2)
	v_cmpx_ne_u32_e32 0x80, v8
	s_cbranch_execz .LBB382_808
; %bb.803:                              ;   in Loop: Header=BB382_424 Depth=1
	v_bfe_u32 v115, v9, 24, 7
	v_mov_b32_e32 v0, 0x7f800001
	s_mov_b32 s15, exec_lo
	s_delay_alu instid0(VALU_DEP_2)
	v_cmpx_ne_u32_e32 0x7f, v115
	s_cbranch_execz .LBB382_807
; %bb.804:                              ;   in Loop: Header=BB382_424 Depth=1
	v_and_b32_e32 v0, 7, v8
	v_lshrrev_b32_e32 v9, 3, v115
	s_mov_b32 s16, exec_lo
	v_cmpx_gt_u32_e32 8, v115
; %bb.805:                              ;   in Loop: Header=BB382_424 Depth=1
	s_delay_alu instid0(VALU_DEP_3) | instskip(NEXT) | instid1(VALU_DEP_1)
	v_clz_i32_u32_e32 v9, v0
	v_min_u32_e32 v9, 32, v9
	s_delay_alu instid0(VALU_DEP_1) | instskip(SKIP_1) | instid1(VALU_DEP_2)
	v_subrev_nc_u32_e32 v115, 28, v9
	v_sub_nc_u32_e32 v9, 29, v9
	v_lshlrev_b64 v[115:116], v115, v[0:1]
	s_delay_alu instid0(VALU_DEP_1)
	v_and_b32_e32 v0, 7, v115
; %bb.806:                              ;   in Loop: Header=BB382_424 Depth=1
	s_or_b32 exec_lo, exec_lo, s16
	v_lshlrev_b32_e32 v8, 24, v8
	s_delay_alu instid0(VALU_DEP_2) | instskip(SKIP_1) | instid1(VALU_DEP_3)
	v_lshlrev_b32_e32 v0, 20, v0
	v_lshl_add_u32 v9, v9, 23, 0x3c000000
	v_and_b32_e32 v8, 0x80000000, v8
	s_delay_alu instid0(VALU_DEP_1)
	v_or3_b32 v0, v0, v8, v9
.LBB382_807:                            ;   in Loop: Header=BB382_424 Depth=1
	s_or_b32 exec_lo, exec_lo, s15
.LBB382_808:                            ;   in Loop: Header=BB382_424 Depth=1
	s_delay_alu instid0(SALU_CYCLE_1)
	s_or_b32 exec_lo, exec_lo, s13
.LBB382_809:                            ;   in Loop: Header=BB382_424 Depth=1
	s_delay_alu instid0(SALU_CYCLE_1) | instskip(NEXT) | instid1(VALU_DEP_1)
	s_or_b32 exec_lo, exec_lo, s12
	v_mul_f32_e32 v8, v12, v0
	s_delay_alu instid0(VALU_DEP_1) | instskip(NEXT) | instid1(VALU_DEP_1)
	v_and_b32_e32 v0, 0x7f800000, v8
	v_cmp_ne_u32_e64 s1, 0x7f800000, v0
                                        ; implicit-def: $vgpr0
	s_delay_alu instid0(VALU_DEP_1) | instskip(NEXT) | instid1(SALU_CYCLE_1)
	s_and_saveexec_b32 s12, s1
	s_xor_b32 s1, exec_lo, s12
; %bb.810:                              ;   in Loop: Header=BB382_424 Depth=1
	v_bfe_u32 v0, v8, 16, 1
	s_delay_alu instid0(VALU_DEP_1)
	v_add3_u32 v0, v8, v0, 0x7fff
                                        ; implicit-def: $vgpr8
; %bb.811:                              ;   in Loop: Header=BB382_424 Depth=1
	s_and_not1_saveexec_b32 s12, s1
; %bb.812:                              ;   in Loop: Header=BB382_424 Depth=1
	v_and_b32_e32 v0, 0xffff, v8
	v_or_b32_e32 v9, 0x10000, v8
	s_delay_alu instid0(VALU_DEP_2) | instskip(NEXT) | instid1(VALU_DEP_1)
	v_cmp_eq_u32_e64 s1, 0, v0
	v_cndmask_b32_e64 v0, v9, v8, s1
; %bb.813:                              ;   in Loop: Header=BB382_424 Depth=1
	s_or_b32 exec_lo, exec_lo, s12
	v_lshrrev_b32_e32 v9, 16, v10
	v_lshrrev_b32_e32 v114, 16, v114
	;; [unrolled: 1-line block ×8, first 2 shown]
	s_and_saveexec_b32 s12, vcc_lo
	s_cbranch_execz .LBB382_815
; %bb.814:                              ;   in Loop: Header=BB382_424 Depth=1
	v_cmp_lt_i32_e64 s1, v23, v67
	s_delay_alu instid0(VALU_DEP_1) | instskip(SKIP_1) | instid1(VALU_DEP_1)
	v_cndmask_b32_e64 v10, 0, v10, s1
	v_cmp_lt_i32_e64 s1, v54, v67
	v_cndmask_b32_e64 v103, 0, v103, s1
	v_cmp_lt_i32_e64 s1, v53, v67
	s_delay_alu instid0(VALU_DEP_1) | instskip(SKIP_1) | instid1(VALU_DEP_1)
	v_cndmask_b32_e64 v112, 0, v112, s1
	v_cmp_lt_i32_e64 s1, v52, v67
	v_cndmask_b32_e64 v113, 0, v113, s1
	;; [unrolled: 5-line block ×4, first 2 shown]
.LBB382_815:                            ;   in Loop: Header=BB382_424 Depth=1
	s_or_b32 exec_lo, exec_lo, s12
	v_lshlrev_b32_e32 v10, 16, v10
	s_delay_alu instid0(VALU_DEP_1) | instskip(NEXT) | instid1(VALU_DEP_1)
	v_mul_f32_e32 v11, v55, v10
	v_and_b32_e32 v10, 0x7f800000, v11
	s_delay_alu instid0(VALU_DEP_1) | instskip(NEXT) | instid1(VALU_DEP_1)
	v_cmp_ne_u32_e64 s1, 0x7f800000, v10
                                        ; implicit-def: $vgpr10
	s_and_saveexec_b32 s12, s1
	s_delay_alu instid0(SALU_CYCLE_1)
	s_xor_b32 s1, exec_lo, s12
; %bb.816:                              ;   in Loop: Header=BB382_424 Depth=1
	v_bfe_u32 v10, v11, 16, 1
	s_delay_alu instid0(VALU_DEP_1)
	v_add3_u32 v10, v11, v10, 0x7fff
                                        ; implicit-def: $vgpr11
; %bb.817:                              ;   in Loop: Header=BB382_424 Depth=1
	s_and_not1_saveexec_b32 s12, s1
; %bb.818:                              ;   in Loop: Header=BB382_424 Depth=1
	v_and_b32_e32 v10, 0xffff, v11
	v_or_b32_e32 v102, 0x10000, v11
	s_delay_alu instid0(VALU_DEP_2) | instskip(NEXT) | instid1(VALU_DEP_1)
	v_cmp_eq_u32_e64 s1, 0, v10
	v_cndmask_b32_e64 v10, v102, v11, s1
; %bb.819:                              ;   in Loop: Header=BB382_424 Depth=1
	s_or_b32 exec_lo, exec_lo, s12
	v_lshlrev_b32_e32 v11, 16, v103
	s_delay_alu instid0(VALU_DEP_1) | instskip(NEXT) | instid1(VALU_DEP_1)
	v_mul_f32_e32 v102, v64, v11
	v_and_b32_e32 v11, 0x7f800000, v102
	s_delay_alu instid0(VALU_DEP_1) | instskip(NEXT) | instid1(VALU_DEP_1)
	v_cmp_ne_u32_e64 s1, 0x7f800000, v11
                                        ; implicit-def: $vgpr11
	s_and_saveexec_b32 s12, s1
	s_delay_alu instid0(SALU_CYCLE_1)
	s_xor_b32 s1, exec_lo, s12
; %bb.820:                              ;   in Loop: Header=BB382_424 Depth=1
	v_bfe_u32 v11, v102, 16, 1
	s_delay_alu instid0(VALU_DEP_1)
	v_add3_u32 v11, v102, v11, 0x7fff
                                        ; implicit-def: $vgpr102
; %bb.821:                              ;   in Loop: Header=BB382_424 Depth=1
	s_and_not1_saveexec_b32 s12, s1
; %bb.822:                              ;   in Loop: Header=BB382_424 Depth=1
	v_and_b32_e32 v11, 0xffff, v102
	v_or_b32_e32 v103, 0x10000, v102
	s_delay_alu instid0(VALU_DEP_2) | instskip(NEXT) | instid1(VALU_DEP_1)
	v_cmp_eq_u32_e64 s1, 0, v11
	v_cndmask_b32_e64 v11, v103, v102, s1
; %bb.823:                              ;   in Loop: Header=BB382_424 Depth=1
	s_or_b32 exec_lo, exec_lo, s12
	v_lshlrev_b32_e32 v102, 16, v112
	s_delay_alu instid0(VALU_DEP_1) | instskip(NEXT) | instid1(VALU_DEP_1)
	v_mul_f32_e32 v103, v65, v102
	v_and_b32_e32 v102, 0x7f800000, v103
	s_delay_alu instid0(VALU_DEP_1) | instskip(NEXT) | instid1(VALU_DEP_1)
	v_cmp_ne_u32_e64 s1, 0x7f800000, v102
                                        ; implicit-def: $vgpr102
	s_and_saveexec_b32 s12, s1
	s_delay_alu instid0(SALU_CYCLE_1)
	s_xor_b32 s1, exec_lo, s12
; %bb.824:                              ;   in Loop: Header=BB382_424 Depth=1
	v_bfe_u32 v102, v103, 16, 1
	s_delay_alu instid0(VALU_DEP_1)
	v_add3_u32 v102, v103, v102, 0x7fff
                                        ; implicit-def: $vgpr103
; %bb.825:                              ;   in Loop: Header=BB382_424 Depth=1
	s_and_not1_saveexec_b32 s12, s1
; %bb.826:                              ;   in Loop: Header=BB382_424 Depth=1
	v_and_b32_e32 v102, 0xffff, v103
	v_or_b32_e32 v112, 0x10000, v103
	s_delay_alu instid0(VALU_DEP_2) | instskip(NEXT) | instid1(VALU_DEP_1)
	v_cmp_eq_u32_e64 s1, 0, v102
	v_cndmask_b32_e64 v102, v112, v103, s1
; %bb.827:                              ;   in Loop: Header=BB382_424 Depth=1
	s_or_b32 exec_lo, exec_lo, s12
	v_lshlrev_b32_e32 v103, 16, v113
	s_delay_alu instid0(VALU_DEP_1) | instskip(NEXT) | instid1(VALU_DEP_1)
	v_mul_f32_e32 v112, v81, v103
	v_and_b32_e32 v103, 0x7f800000, v112
	s_delay_alu instid0(VALU_DEP_1) | instskip(NEXT) | instid1(VALU_DEP_1)
	v_cmp_ne_u32_e64 s1, 0x7f800000, v103
                                        ; implicit-def: $vgpr103
	s_and_saveexec_b32 s12, s1
	s_delay_alu instid0(SALU_CYCLE_1)
	s_xor_b32 s1, exec_lo, s12
; %bb.828:                              ;   in Loop: Header=BB382_424 Depth=1
	v_bfe_u32 v103, v112, 16, 1
	s_delay_alu instid0(VALU_DEP_1)
	v_add3_u32 v103, v112, v103, 0x7fff
                                        ; implicit-def: $vgpr112
; %bb.829:                              ;   in Loop: Header=BB382_424 Depth=1
	s_and_not1_saveexec_b32 s12, s1
; %bb.830:                              ;   in Loop: Header=BB382_424 Depth=1
	v_and_b32_e32 v103, 0xffff, v112
	v_or_b32_e32 v113, 0x10000, v112
	s_delay_alu instid0(VALU_DEP_2) | instskip(NEXT) | instid1(VALU_DEP_1)
	v_cmp_eq_u32_e64 s1, 0, v103
	v_cndmask_b32_e64 v103, v113, v112, s1
; %bb.831:                              ;   in Loop: Header=BB382_424 Depth=1
	s_or_b32 exec_lo, exec_lo, s12
	v_lshlrev_b32_e32 v112, 16, v114
	s_delay_alu instid0(VALU_DEP_1) | instskip(NEXT) | instid1(VALU_DEP_1)
	v_mul_f32_e32 v113, v82, v112
	v_and_b32_e32 v112, 0x7f800000, v113
	s_delay_alu instid0(VALU_DEP_1) | instskip(NEXT) | instid1(VALU_DEP_1)
	v_cmp_ne_u32_e64 s1, 0x7f800000, v112
                                        ; implicit-def: $vgpr112
	s_and_saveexec_b32 s12, s1
	s_delay_alu instid0(SALU_CYCLE_1)
	s_xor_b32 s1, exec_lo, s12
; %bb.832:                              ;   in Loop: Header=BB382_424 Depth=1
	v_bfe_u32 v112, v113, 16, 1
	s_delay_alu instid0(VALU_DEP_1)
	v_add3_u32 v112, v113, v112, 0x7fff
                                        ; implicit-def: $vgpr113
; %bb.833:                              ;   in Loop: Header=BB382_424 Depth=1
	s_and_not1_saveexec_b32 s12, s1
; %bb.834:                              ;   in Loop: Header=BB382_424 Depth=1
	v_and_b32_e32 v112, 0xffff, v113
	v_or_b32_e32 v114, 0x10000, v113
	s_delay_alu instid0(VALU_DEP_2) | instskip(NEXT) | instid1(VALU_DEP_1)
	v_cmp_eq_u32_e64 s1, 0, v112
	v_cndmask_b32_e64 v112, v114, v113, s1
; %bb.835:                              ;   in Loop: Header=BB382_424 Depth=1
	s_or_b32 exec_lo, exec_lo, s12
	v_lshlrev_b32_e32 v9, 16, v9
	s_delay_alu instid0(VALU_DEP_1) | instskip(NEXT) | instid1(VALU_DEP_1)
	v_mul_f32_e32 v9, v83, v9
	v_and_b32_e32 v113, 0x7f800000, v9
	s_delay_alu instid0(VALU_DEP_1) | instskip(NEXT) | instid1(VALU_DEP_1)
	v_cmp_ne_u32_e64 s1, 0x7f800000, v113
                                        ; implicit-def: $vgpr113
	s_and_saveexec_b32 s12, s1
	s_delay_alu instid0(SALU_CYCLE_1)
	s_xor_b32 s1, exec_lo, s12
; %bb.836:                              ;   in Loop: Header=BB382_424 Depth=1
	v_bfe_u32 v113, v9, 16, 1
	s_delay_alu instid0(VALU_DEP_1)
	v_add3_u32 v113, v9, v113, 0x7fff
                                        ; implicit-def: $vgpr9
; %bb.837:                              ;   in Loop: Header=BB382_424 Depth=1
	s_and_not1_saveexec_b32 s12, s1
; %bb.838:                              ;   in Loop: Header=BB382_424 Depth=1
	v_and_b32_e32 v113, 0xffff, v9
	v_or_b32_e32 v114, 0x10000, v9
	s_delay_alu instid0(VALU_DEP_2) | instskip(NEXT) | instid1(VALU_DEP_1)
	v_cmp_eq_u32_e64 s1, 0, v113
	v_cndmask_b32_e64 v113, v114, v9, s1
; %bb.839:                              ;   in Loop: Header=BB382_424 Depth=1
	s_or_b32 exec_lo, exec_lo, s12
	v_lshlrev_b32_e32 v8, 16, v8
                                        ; implicit-def: $vgpr114
	s_delay_alu instid0(VALU_DEP_1) | instskip(NEXT) | instid1(VALU_DEP_1)
	v_mul_f32_e32 v8, v84, v8
	v_and_b32_e32 v9, 0x7f800000, v8
	s_delay_alu instid0(VALU_DEP_1) | instskip(NEXT) | instid1(VALU_DEP_1)
	v_cmp_ne_u32_e64 s1, 0x7f800000, v9
	s_and_saveexec_b32 s12, s1
	s_delay_alu instid0(SALU_CYCLE_1)
	s_xor_b32 s1, exec_lo, s12
; %bb.840:                              ;   in Loop: Header=BB382_424 Depth=1
	v_bfe_u32 v9, v8, 16, 1
	s_delay_alu instid0(VALU_DEP_1)
	v_add3_u32 v114, v8, v9, 0x7fff
                                        ; implicit-def: $vgpr8
; %bb.841:                              ;   in Loop: Header=BB382_424 Depth=1
	s_and_not1_saveexec_b32 s12, s1
; %bb.842:                              ;   in Loop: Header=BB382_424 Depth=1
	v_and_b32_e32 v9, 0xffff, v8
	v_or_b32_e32 v114, 0x10000, v8
	s_delay_alu instid0(VALU_DEP_2) | instskip(NEXT) | instid1(VALU_DEP_1)
	v_cmp_eq_u32_e64 s1, 0, v9
	v_cndmask_b32_e64 v114, v114, v8, s1
; %bb.843:                              ;   in Loop: Header=BB382_424 Depth=1
	s_or_b32 exec_lo, exec_lo, s12
	v_lshlrev_b32_e32 v0, 16, v0
                                        ; implicit-def: $vgpr115
	s_delay_alu instid0(VALU_DEP_1) | instskip(NEXT) | instid1(VALU_DEP_1)
	v_mul_f32_e32 v0, v85, v0
	v_and_b32_e32 v8, 0x7f800000, v0
	s_delay_alu instid0(VALU_DEP_1) | instskip(NEXT) | instid1(VALU_DEP_1)
	v_cmp_ne_u32_e64 s1, 0x7f800000, v8
	s_and_saveexec_b32 s12, s1
	s_delay_alu instid0(SALU_CYCLE_1)
	s_xor_b32 s1, exec_lo, s12
; %bb.844:                              ;   in Loop: Header=BB382_424 Depth=1
	v_bfe_u32 v8, v0, 16, 1
	s_delay_alu instid0(VALU_DEP_1)
	v_add3_u32 v115, v0, v8, 0x7fff
                                        ; implicit-def: $vgpr0
; %bb.845:                              ;   in Loop: Header=BB382_424 Depth=1
	s_and_not1_saveexec_b32 s12, s1
; %bb.846:                              ;   in Loop: Header=BB382_424 Depth=1
	v_and_b32_e32 v8, 0xffff, v0
	v_or_b32_e32 v9, 0x10000, v0
	s_delay_alu instid0(VALU_DEP_2) | instskip(NEXT) | instid1(VALU_DEP_1)
	v_cmp_eq_u32_e64 s1, 0, v8
	v_cndmask_b32_e64 v115, v9, v0, s1
; %bb.847:                              ;   in Loop: Header=BB382_424 Depth=1
	s_or_b32 exec_lo, exec_lo, s12
	flat_load_b64 v[6:7], v[6:7] offset:768
	v_mov_b32_e32 v0, 0
	s_mov_b32 s12, exec_lo
	s_waitcnt vmcnt(0) lgkmcnt(0)
	v_and_b32_e32 v8, 0xff, v6
	s_delay_alu instid0(VALU_DEP_1)
	v_cmpx_ne_u16_e32 0, v8
	s_cbranch_execz .LBB382_855
; %bb.848:                              ;   in Loop: Header=BB382_424 Depth=1
	v_bfrev_b32_e32 v0, 1
	s_mov_b32 s13, exec_lo
	v_cmpx_ne_u16_e32 0x80, v8
	s_cbranch_execz .LBB382_854
; %bb.849:                              ;   in Loop: Header=BB382_424 Depth=1
	v_and_b32_e32 v8, 0x7f, v6
	v_mov_b32_e32 v0, 0x7f800001
	s_mov_b32 s15, exec_lo
	s_delay_alu instid0(VALU_DEP_2)
	v_cmpx_ne_u32_e32 0x7f, v8
	s_cbranch_execz .LBB382_853
; %bb.850:                              ;   in Loop: Header=BB382_424 Depth=1
	v_lshrrev_b32_e32 v0, 3, v8
	v_cmp_gt_u32_e64 s1, 8, v8
	v_dual_mov_b32 v9, v7 :: v_dual_mov_b32 v8, v6
	s_delay_alu instid0(VALU_DEP_2)
	s_and_saveexec_b32 s16, s1
; %bb.851:                              ;   in Loop: Header=BB382_424 Depth=1
	v_and_b32_e32 v0, 7, v6
	s_delay_alu instid0(VALU_DEP_1) | instskip(NEXT) | instid1(VALU_DEP_1)
	v_clz_i32_u32_e32 v0, v0
	v_min_u32_e32 v0, 32, v0
	s_delay_alu instid0(VALU_DEP_1) | instskip(SKIP_1) | instid1(VALU_DEP_2)
	v_subrev_nc_u32_e32 v8, 28, v0
	v_sub_nc_u32_e32 v0, 29, v0
	v_lshlrev_b64 v[8:9], v8, v[6:7]
; %bb.852:                              ;   in Loop: Header=BB382_424 Depth=1
	s_or_b32 exec_lo, exec_lo, s16
	s_delay_alu instid0(VALU_DEP_1) | instskip(SKIP_2) | instid1(VALU_DEP_3)
	v_lshlrev_b32_e32 v8, 20, v8
	v_lshlrev_b32_e32 v9, 24, v6
	v_lshl_add_u32 v0, v0, 23, 0x3c000000
	v_and_b32_e32 v8, 0x700000, v8
	s_delay_alu instid0(VALU_DEP_3) | instskip(NEXT) | instid1(VALU_DEP_1)
	v_and_b32_e32 v9, 0x80000000, v9
	v_or3_b32 v0, v8, v9, v0
.LBB382_853:                            ;   in Loop: Header=BB382_424 Depth=1
	s_or_b32 exec_lo, exec_lo, s15
.LBB382_854:                            ;   in Loop: Header=BB382_424 Depth=1
	s_delay_alu instid0(SALU_CYCLE_1)
	s_or_b32 exec_lo, exec_lo, s13
.LBB382_855:                            ;   in Loop: Header=BB382_424 Depth=1
	s_delay_alu instid0(SALU_CYCLE_1) | instskip(NEXT) | instid1(VALU_DEP_1)
	s_or_b32 exec_lo, exec_lo, s12
	v_mul_f32_e32 v0, v12, v0
                                        ; implicit-def: $vgpr116
	s_delay_alu instid0(VALU_DEP_1) | instskip(NEXT) | instid1(VALU_DEP_1)
	v_and_b32_e32 v8, 0x7f800000, v0
	v_cmp_ne_u32_e64 s1, 0x7f800000, v8
	s_delay_alu instid0(VALU_DEP_1) | instskip(NEXT) | instid1(SALU_CYCLE_1)
	s_and_saveexec_b32 s12, s1
	s_xor_b32 s1, exec_lo, s12
; %bb.856:                              ;   in Loop: Header=BB382_424 Depth=1
	v_bfe_u32 v8, v0, 16, 1
	s_delay_alu instid0(VALU_DEP_1)
	v_add3_u32 v116, v0, v8, 0x7fff
                                        ; implicit-def: $vgpr0
; %bb.857:                              ;   in Loop: Header=BB382_424 Depth=1
	s_and_not1_saveexec_b32 s12, s1
; %bb.858:                              ;   in Loop: Header=BB382_424 Depth=1
	v_and_b32_e32 v8, 0xffff, v0
	v_or_b32_e32 v9, 0x10000, v0
	s_delay_alu instid0(VALU_DEP_2) | instskip(NEXT) | instid1(VALU_DEP_1)
	v_cmp_eq_u32_e64 s1, 0, v8
	v_cndmask_b32_e64 v116, v9, v0, s1
; %bb.859:                              ;   in Loop: Header=BB382_424 Depth=1
	s_or_b32 exec_lo, exec_lo, s12
	v_lshrrev_b16 v8, 8, v6
	v_mov_b32_e32 v0, 0
	s_mov_b32 s12, exec_lo
	s_delay_alu instid0(VALU_DEP_2)
	v_cmpx_ne_u16_e32 0, v8
	s_cbranch_execz .LBB382_867
; %bb.860:                              ;   in Loop: Header=BB382_424 Depth=1
	v_bfrev_b32_e32 v0, 1
	s_mov_b32 s13, exec_lo
	v_cmpx_ne_u16_e32 0x80, v8
	s_cbranch_execz .LBB382_866
; %bb.861:                              ;   in Loop: Header=BB382_424 Depth=1
	v_and_b32_e32 v8, 0xffff, v8
	v_mov_b32_e32 v0, 0x7f800001
	s_mov_b32 s15, exec_lo
	s_delay_alu instid0(VALU_DEP_2) | instskip(NEXT) | instid1(VALU_DEP_1)
	v_and_b32_e32 v9, 0x7f, v8
	v_cmpx_ne_u32_e32 0x7f, v9
	s_cbranch_execz .LBB382_865
; %bb.862:                              ;   in Loop: Header=BB382_424 Depth=1
	v_and_b32_e32 v0, 7, v8
	v_lshrrev_b32_e32 v8, 3, v9
	s_mov_b32 s16, exec_lo
	v_cmpx_gt_u32_e32 8, v9
; %bb.863:                              ;   in Loop: Header=BB382_424 Depth=1
	s_delay_alu instid0(VALU_DEP_3) | instskip(NEXT) | instid1(VALU_DEP_1)
	v_clz_i32_u32_e32 v8, v0
	v_min_u32_e32 v8, 32, v8
	s_delay_alu instid0(VALU_DEP_1) | instskip(SKIP_1) | instid1(VALU_DEP_2)
	v_subrev_nc_u32_e32 v9, 28, v8
	v_sub_nc_u32_e32 v8, 29, v8
	v_lshlrev_b64 v[117:118], v9, v[0:1]
	s_delay_alu instid0(VALU_DEP_1)
	v_and_b32_e32 v0, 7, v117
; %bb.864:                              ;   in Loop: Header=BB382_424 Depth=1
	s_or_b32 exec_lo, exec_lo, s16
	v_lshlrev_b32_e32 v9, 16, v6
	s_delay_alu instid0(VALU_DEP_2) | instskip(SKIP_1) | instid1(VALU_DEP_3)
	v_lshlrev_b32_e32 v0, 20, v0
	v_lshl_add_u32 v8, v8, 23, 0x3c000000
	v_and_b32_e32 v9, 0x80000000, v9
	s_delay_alu instid0(VALU_DEP_1)
	v_or3_b32 v0, v0, v9, v8
.LBB382_865:                            ;   in Loop: Header=BB382_424 Depth=1
	s_or_b32 exec_lo, exec_lo, s15
.LBB382_866:                            ;   in Loop: Header=BB382_424 Depth=1
	s_delay_alu instid0(SALU_CYCLE_1)
	s_or_b32 exec_lo, exec_lo, s13
.LBB382_867:                            ;   in Loop: Header=BB382_424 Depth=1
	s_delay_alu instid0(SALU_CYCLE_1) | instskip(NEXT) | instid1(VALU_DEP_1)
	s_or_b32 exec_lo, exec_lo, s12
	v_mul_f32_e32 v0, v12, v0
                                        ; implicit-def: $vgpr117
	s_delay_alu instid0(VALU_DEP_1) | instskip(NEXT) | instid1(VALU_DEP_1)
	v_and_b32_e32 v8, 0x7f800000, v0
	v_cmp_ne_u32_e64 s1, 0x7f800000, v8
	s_delay_alu instid0(VALU_DEP_1) | instskip(NEXT) | instid1(SALU_CYCLE_1)
	s_and_saveexec_b32 s12, s1
	s_xor_b32 s1, exec_lo, s12
; %bb.868:                              ;   in Loop: Header=BB382_424 Depth=1
	v_bfe_u32 v8, v0, 16, 1
	s_delay_alu instid0(VALU_DEP_1)
	v_add3_u32 v117, v0, v8, 0x7fff
                                        ; implicit-def: $vgpr0
; %bb.869:                              ;   in Loop: Header=BB382_424 Depth=1
	s_and_not1_saveexec_b32 s12, s1
; %bb.870:                              ;   in Loop: Header=BB382_424 Depth=1
	v_and_b32_e32 v8, 0xffff, v0
	v_or_b32_e32 v9, 0x10000, v0
	s_delay_alu instid0(VALU_DEP_2) | instskip(NEXT) | instid1(VALU_DEP_1)
	v_cmp_eq_u32_e64 s1, 0, v8
	v_cndmask_b32_e64 v117, v9, v0, s1
; %bb.871:                              ;   in Loop: Header=BB382_424 Depth=1
	s_or_b32 exec_lo, exec_lo, s12
	v_lshrrev_b32_e32 v8, 16, v6
	s_mov_b32 s12, exec_lo
	s_delay_alu instid0(VALU_DEP_1) | instskip(NEXT) | instid1(VALU_DEP_1)
	v_dual_mov_b32 v0, 0 :: v_dual_and_b32 v9, 0xff, v8
	v_cmpx_ne_u16_e32 0, v9
	s_cbranch_execz .LBB382_879
; %bb.872:                              ;   in Loop: Header=BB382_424 Depth=1
	v_bfrev_b32_e32 v0, 1
	s_mov_b32 s13, exec_lo
	v_cmpx_ne_u16_e32 0x80, v9
	s_cbranch_execz .LBB382_878
; %bb.873:                              ;   in Loop: Header=BB382_424 Depth=1
	v_bfe_u32 v118, v6, 16, 7
	v_mov_b32_e32 v0, 0x7f800001
	s_mov_b32 s15, exec_lo
	s_delay_alu instid0(VALU_DEP_2)
	v_cmpx_ne_u32_e32 0x7f, v118
	s_cbranch_execz .LBB382_877
; %bb.874:                              ;   in Loop: Header=BB382_424 Depth=1
	v_and_b32_e32 v0, 7, v8
	v_lshrrev_b32_e32 v9, 3, v118
	s_mov_b32 s16, exec_lo
	v_cmpx_gt_u32_e32 8, v118
; %bb.875:                              ;   in Loop: Header=BB382_424 Depth=1
	s_delay_alu instid0(VALU_DEP_3) | instskip(NEXT) | instid1(VALU_DEP_1)
	v_clz_i32_u32_e32 v9, v0
	v_min_u32_e32 v9, 32, v9
	s_delay_alu instid0(VALU_DEP_1) | instskip(SKIP_1) | instid1(VALU_DEP_2)
	v_subrev_nc_u32_e32 v118, 28, v9
	v_sub_nc_u32_e32 v9, 29, v9
	v_lshlrev_b64 v[118:119], v118, v[0:1]
	s_delay_alu instid0(VALU_DEP_1)
	v_and_b32_e32 v0, 7, v118
; %bb.876:                              ;   in Loop: Header=BB382_424 Depth=1
	s_or_b32 exec_lo, exec_lo, s16
	v_lshlrev_b32_e32 v8, 24, v8
	s_delay_alu instid0(VALU_DEP_2) | instskip(SKIP_1) | instid1(VALU_DEP_3)
	v_lshlrev_b32_e32 v0, 20, v0
	v_lshl_add_u32 v9, v9, 23, 0x3c000000
	v_and_b32_e32 v8, 0x80000000, v8
	s_delay_alu instid0(VALU_DEP_1)
	v_or3_b32 v0, v0, v8, v9
.LBB382_877:                            ;   in Loop: Header=BB382_424 Depth=1
	s_or_b32 exec_lo, exec_lo, s15
.LBB382_878:                            ;   in Loop: Header=BB382_424 Depth=1
	s_delay_alu instid0(SALU_CYCLE_1)
	s_or_b32 exec_lo, exec_lo, s13
.LBB382_879:                            ;   in Loop: Header=BB382_424 Depth=1
	s_delay_alu instid0(SALU_CYCLE_1) | instskip(NEXT) | instid1(VALU_DEP_1)
	s_or_b32 exec_lo, exec_lo, s12
	v_mul_f32_e32 v0, v12, v0
                                        ; implicit-def: $vgpr118
	s_delay_alu instid0(VALU_DEP_1) | instskip(NEXT) | instid1(VALU_DEP_1)
	v_and_b32_e32 v8, 0x7f800000, v0
	v_cmp_ne_u32_e64 s1, 0x7f800000, v8
	s_delay_alu instid0(VALU_DEP_1) | instskip(NEXT) | instid1(SALU_CYCLE_1)
	s_and_saveexec_b32 s12, s1
	s_xor_b32 s1, exec_lo, s12
; %bb.880:                              ;   in Loop: Header=BB382_424 Depth=1
	v_bfe_u32 v8, v0, 16, 1
	s_delay_alu instid0(VALU_DEP_1)
	v_add3_u32 v118, v0, v8, 0x7fff
                                        ; implicit-def: $vgpr0
; %bb.881:                              ;   in Loop: Header=BB382_424 Depth=1
	s_and_not1_saveexec_b32 s12, s1
; %bb.882:                              ;   in Loop: Header=BB382_424 Depth=1
	v_and_b32_e32 v8, 0xffff, v0
	v_or_b32_e32 v9, 0x10000, v0
	s_delay_alu instid0(VALU_DEP_2) | instskip(NEXT) | instid1(VALU_DEP_1)
	v_cmp_eq_u32_e64 s1, 0, v8
	v_cndmask_b32_e64 v118, v9, v0, s1
; %bb.883:                              ;   in Loop: Header=BB382_424 Depth=1
	s_or_b32 exec_lo, exec_lo, s12
	v_mov_b32_e32 v0, 0
	s_mov_b32 s12, exec_lo
	v_cmpx_lt_u32_e32 0xffffff, v6
	s_cbranch_execz .LBB382_891
; %bb.884:                              ;   in Loop: Header=BB382_424 Depth=1
	v_lshrrev_b32_e32 v8, 24, v6
	v_bfrev_b32_e32 v0, 1
	s_mov_b32 s13, exec_lo
	s_delay_alu instid0(VALU_DEP_2)
	v_cmpx_ne_u32_e32 0x80, v8
	s_cbranch_execz .LBB382_890
; %bb.885:                              ;   in Loop: Header=BB382_424 Depth=1
	v_bfe_u32 v119, v6, 24, 7
	v_mov_b32_e32 v0, 0x7f800001
	s_mov_b32 s15, exec_lo
	s_delay_alu instid0(VALU_DEP_2)
	v_cmpx_ne_u32_e32 0x7f, v119
	s_cbranch_execz .LBB382_889
; %bb.886:                              ;   in Loop: Header=BB382_424 Depth=1
	v_and_b32_e32 v0, 7, v8
	v_lshrrev_b32_e32 v9, 3, v119
	s_mov_b32 s16, exec_lo
	v_cmpx_gt_u32_e32 8, v119
; %bb.887:                              ;   in Loop: Header=BB382_424 Depth=1
	s_delay_alu instid0(VALU_DEP_3) | instskip(NEXT) | instid1(VALU_DEP_1)
	v_clz_i32_u32_e32 v9, v0
	v_min_u32_e32 v9, 32, v9
	s_delay_alu instid0(VALU_DEP_1) | instskip(SKIP_1) | instid1(VALU_DEP_2)
	v_subrev_nc_u32_e32 v119, 28, v9
	v_sub_nc_u32_e32 v9, 29, v9
	v_lshlrev_b64 v[128:129], v119, v[0:1]
	s_delay_alu instid0(VALU_DEP_1)
	v_and_b32_e32 v0, 7, v128
; %bb.888:                              ;   in Loop: Header=BB382_424 Depth=1
	s_or_b32 exec_lo, exec_lo, s16
	v_lshlrev_b32_e32 v8, 24, v8
	s_delay_alu instid0(VALU_DEP_2) | instskip(SKIP_1) | instid1(VALU_DEP_3)
	v_lshlrev_b32_e32 v0, 20, v0
	v_lshl_add_u32 v9, v9, 23, 0x3c000000
	v_and_b32_e32 v8, 0x80000000, v8
	s_delay_alu instid0(VALU_DEP_1)
	v_or3_b32 v0, v0, v8, v9
.LBB382_889:                            ;   in Loop: Header=BB382_424 Depth=1
	s_or_b32 exec_lo, exec_lo, s15
.LBB382_890:                            ;   in Loop: Header=BB382_424 Depth=1
	s_delay_alu instid0(SALU_CYCLE_1)
	s_or_b32 exec_lo, exec_lo, s13
.LBB382_891:                            ;   in Loop: Header=BB382_424 Depth=1
	s_delay_alu instid0(SALU_CYCLE_1) | instskip(NEXT) | instid1(VALU_DEP_1)
	s_or_b32 exec_lo, exec_lo, s12
	v_mul_f32_e32 v0, v12, v0
                                        ; implicit-def: $vgpr119
	s_delay_alu instid0(VALU_DEP_1) | instskip(NEXT) | instid1(VALU_DEP_1)
	v_and_b32_e32 v8, 0x7f800000, v0
	v_cmp_ne_u32_e64 s1, 0x7f800000, v8
	s_delay_alu instid0(VALU_DEP_1) | instskip(NEXT) | instid1(SALU_CYCLE_1)
	s_and_saveexec_b32 s12, s1
	s_xor_b32 s1, exec_lo, s12
; %bb.892:                              ;   in Loop: Header=BB382_424 Depth=1
	v_bfe_u32 v8, v0, 16, 1
	s_delay_alu instid0(VALU_DEP_1)
	v_add3_u32 v119, v0, v8, 0x7fff
                                        ; implicit-def: $vgpr0
; %bb.893:                              ;   in Loop: Header=BB382_424 Depth=1
	s_and_not1_saveexec_b32 s12, s1
; %bb.894:                              ;   in Loop: Header=BB382_424 Depth=1
	v_and_b32_e32 v8, 0xffff, v0
	v_or_b32_e32 v9, 0x10000, v0
	s_delay_alu instid0(VALU_DEP_2) | instskip(NEXT) | instid1(VALU_DEP_1)
	v_cmp_eq_u32_e64 s1, 0, v8
	v_cndmask_b32_e64 v119, v9, v0, s1
; %bb.895:                              ;   in Loop: Header=BB382_424 Depth=1
	s_or_b32 exec_lo, exec_lo, s12
	v_dual_mov_b32 v0, v7 :: v_dual_and_b32 v9, 0xff, v7
	v_mov_b32_e32 v8, 0
	s_mov_b32 s12, exec_lo
	s_delay_alu instid0(VALU_DEP_2)
	v_cmpx_ne_u16_e32 0, v9
	s_cbranch_execz .LBB382_903
; %bb.896:                              ;   in Loop: Header=BB382_424 Depth=1
	v_bfrev_b32_e32 v8, 1
	s_mov_b32 s13, exec_lo
	v_cmpx_ne_u16_e32 0x80, v9
	s_cbranch_execz .LBB382_902
; %bb.897:                              ;   in Loop: Header=BB382_424 Depth=1
	v_and_b32_e32 v9, 0x7f, v7
	v_mov_b32_e32 v8, 0x7f800001
	s_mov_b32 s15, exec_lo
	s_delay_alu instid0(VALU_DEP_2)
	v_cmpx_ne_u32_e32 0x7f, v9
	s_cbranch_execz .LBB382_901
; %bb.898:                              ;   in Loop: Header=BB382_424 Depth=1
	v_lshrrev_b32_e32 v128, 3, v9
	v_cmp_gt_u32_e64 s1, 8, v9
	v_dual_mov_b32 v9, v1 :: v_dual_mov_b32 v8, v0
	s_delay_alu instid0(VALU_DEP_2)
	s_and_saveexec_b32 s16, s1
; %bb.899:                              ;   in Loop: Header=BB382_424 Depth=1
	v_and_b32_e32 v8, 7, v7
	s_delay_alu instid0(VALU_DEP_1) | instskip(NEXT) | instid1(VALU_DEP_1)
	v_clz_i32_u32_e32 v8, v8
	v_min_u32_e32 v128, 32, v8
	s_delay_alu instid0(VALU_DEP_1) | instskip(SKIP_1) | instid1(VALU_DEP_2)
	v_subrev_nc_u32_e32 v8, 28, v128
	v_sub_nc_u32_e32 v128, 29, v128
	v_lshlrev_b64 v[8:9], v8, v[0:1]
; %bb.900:                              ;   in Loop: Header=BB382_424 Depth=1
	s_or_b32 exec_lo, exec_lo, s16
	s_delay_alu instid0(VALU_DEP_1) | instskip(SKIP_2) | instid1(VALU_DEP_3)
	v_lshlrev_b32_e32 v8, 20, v8
	v_lshlrev_b32_e32 v9, 24, v0
	v_lshl_add_u32 v128, v128, 23, 0x3c000000
	v_and_b32_e32 v8, 0x700000, v8
	s_delay_alu instid0(VALU_DEP_3) | instskip(NEXT) | instid1(VALU_DEP_1)
	v_and_b32_e32 v9, 0x80000000, v9
	v_or3_b32 v8, v8, v9, v128
.LBB382_901:                            ;   in Loop: Header=BB382_424 Depth=1
	s_or_b32 exec_lo, exec_lo, s15
.LBB382_902:                            ;   in Loop: Header=BB382_424 Depth=1
	s_delay_alu instid0(SALU_CYCLE_1)
	s_or_b32 exec_lo, exec_lo, s13
.LBB382_903:                            ;   in Loop: Header=BB382_424 Depth=1
	s_delay_alu instid0(SALU_CYCLE_1) | instskip(NEXT) | instid1(VALU_DEP_1)
	s_or_b32 exec_lo, exec_lo, s12
	v_mul_f32_e32 v8, v12, v8
                                        ; implicit-def: $vgpr128
	s_delay_alu instid0(VALU_DEP_1) | instskip(NEXT) | instid1(VALU_DEP_1)
	v_and_b32_e32 v9, 0x7f800000, v8
	v_cmp_ne_u32_e64 s1, 0x7f800000, v9
	s_delay_alu instid0(VALU_DEP_1) | instskip(NEXT) | instid1(SALU_CYCLE_1)
	s_and_saveexec_b32 s12, s1
	s_xor_b32 s1, exec_lo, s12
; %bb.904:                              ;   in Loop: Header=BB382_424 Depth=1
	v_bfe_u32 v9, v8, 16, 1
	s_delay_alu instid0(VALU_DEP_1)
	v_add3_u32 v128, v8, v9, 0x7fff
                                        ; implicit-def: $vgpr8
; %bb.905:                              ;   in Loop: Header=BB382_424 Depth=1
	s_and_not1_saveexec_b32 s12, s1
; %bb.906:                              ;   in Loop: Header=BB382_424 Depth=1
	v_and_b32_e32 v9, 0xffff, v8
	v_or_b32_e32 v128, 0x10000, v8
	s_delay_alu instid0(VALU_DEP_2) | instskip(NEXT) | instid1(VALU_DEP_1)
	v_cmp_eq_u32_e64 s1, 0, v9
	v_cndmask_b32_e64 v128, v128, v8, s1
; %bb.907:                              ;   in Loop: Header=BB382_424 Depth=1
	s_or_b32 exec_lo, exec_lo, s12
	v_lshrrev_b16 v9, 8, v0
	v_mov_b32_e32 v8, 0
	s_mov_b32 s12, exec_lo
	s_delay_alu instid0(VALU_DEP_2)
	v_cmpx_ne_u16_e32 0, v9
	s_cbranch_execz .LBB382_915
; %bb.908:                              ;   in Loop: Header=BB382_424 Depth=1
	v_bfrev_b32_e32 v8, 1
	s_mov_b32 s13, exec_lo
	v_cmpx_ne_u16_e32 0x80, v9
	s_cbranch_execz .LBB382_914
; %bb.909:                              ;   in Loop: Header=BB382_424 Depth=1
	v_and_b32_e32 v9, 0xffff, v9
	v_mov_b32_e32 v8, 0x7f800001
	s_mov_b32 s15, exec_lo
	s_delay_alu instid0(VALU_DEP_2) | instskip(NEXT) | instid1(VALU_DEP_1)
	v_and_b32_e32 v130, 0x7f, v9
	v_cmpx_ne_u32_e32 0x7f, v130
	s_cbranch_execz .LBB382_913
; %bb.910:                              ;   in Loop: Header=BB382_424 Depth=1
	v_dual_mov_b32 v9, v1 :: v_dual_and_b32 v8, 7, v9
	v_lshrrev_b32_e32 v129, 3, v130
	s_mov_b32 s16, exec_lo
	v_cmpx_gt_u32_e32 8, v130
; %bb.911:                              ;   in Loop: Header=BB382_424 Depth=1
	s_delay_alu instid0(VALU_DEP_3) | instskip(NEXT) | instid1(VALU_DEP_1)
	v_clz_i32_u32_e32 v129, v8
	v_min_u32_e32 v129, 32, v129
	s_delay_alu instid0(VALU_DEP_1) | instskip(SKIP_1) | instid1(VALU_DEP_2)
	v_subrev_nc_u32_e32 v130, 28, v129
	v_sub_nc_u32_e32 v129, 29, v129
	v_lshlrev_b64 v[8:9], v130, v[8:9]
	s_delay_alu instid0(VALU_DEP_1)
	v_and_b32_e32 v8, 7, v8
; %bb.912:                              ;   in Loop: Header=BB382_424 Depth=1
	s_or_b32 exec_lo, exec_lo, s16
	v_lshlrev_b32_e32 v0, 16, v0
	s_delay_alu instid0(VALU_DEP_2) | instskip(SKIP_1) | instid1(VALU_DEP_3)
	v_lshlrev_b32_e32 v8, 20, v8
	v_lshl_add_u32 v9, v129, 23, 0x3c000000
	v_and_b32_e32 v0, 0x80000000, v0
	s_delay_alu instid0(VALU_DEP_1)
	v_or3_b32 v8, v8, v0, v9
.LBB382_913:                            ;   in Loop: Header=BB382_424 Depth=1
	s_or_b32 exec_lo, exec_lo, s15
.LBB382_914:                            ;   in Loop: Header=BB382_424 Depth=1
	s_delay_alu instid0(SALU_CYCLE_1)
	s_or_b32 exec_lo, exec_lo, s13
.LBB382_915:                            ;   in Loop: Header=BB382_424 Depth=1
	s_delay_alu instid0(SALU_CYCLE_1) | instskip(NEXT) | instid1(VALU_DEP_1)
	s_or_b32 exec_lo, exec_lo, s12
	v_mul_f32_e32 v0, v12, v8
	s_delay_alu instid0(VALU_DEP_1) | instskip(NEXT) | instid1(VALU_DEP_1)
	v_and_b32_e32 v8, 0x7f800000, v0
	v_cmp_ne_u32_e64 s1, 0x7f800000, v8
                                        ; implicit-def: $vgpr8
	s_delay_alu instid0(VALU_DEP_1) | instskip(NEXT) | instid1(SALU_CYCLE_1)
	s_and_saveexec_b32 s12, s1
	s_xor_b32 s1, exec_lo, s12
; %bb.916:                              ;   in Loop: Header=BB382_424 Depth=1
	v_bfe_u32 v8, v0, 16, 1
	s_delay_alu instid0(VALU_DEP_1)
	v_add3_u32 v8, v0, v8, 0x7fff
                                        ; implicit-def: $vgpr0
; %bb.917:                              ;   in Loop: Header=BB382_424 Depth=1
	s_and_not1_saveexec_b32 s12, s1
; %bb.918:                              ;   in Loop: Header=BB382_424 Depth=1
	v_and_b32_e32 v8, 0xffff, v0
	v_or_b32_e32 v9, 0x10000, v0
	s_delay_alu instid0(VALU_DEP_2) | instskip(NEXT) | instid1(VALU_DEP_1)
	v_cmp_eq_u32_e64 s1, 0, v8
	v_cndmask_b32_e64 v8, v9, v0, s1
; %bb.919:                              ;   in Loop: Header=BB382_424 Depth=1
	s_or_b32 exec_lo, exec_lo, s12
	v_lshrrev_b32_e32 v9, 16, v7
	s_mov_b32 s12, exec_lo
	s_delay_alu instid0(VALU_DEP_1) | instskip(NEXT) | instid1(VALU_DEP_1)
	v_dual_mov_b32 v0, 0 :: v_dual_and_b32 v129, 0xff, v9
	v_cmpx_ne_u16_e64 0, v129
	s_cbranch_execz .LBB382_927
; %bb.920:                              ;   in Loop: Header=BB382_424 Depth=1
	v_bfrev_b32_e32 v0, 1
	s_mov_b32 s13, exec_lo
	v_cmpx_ne_u16_e64 0x80, v129
	s_cbranch_execz .LBB382_926
; %bb.921:                              ;   in Loop: Header=BB382_424 Depth=1
	v_bfe_u32 v130, v7, 16, 7
	v_mov_b32_e32 v0, 0x7f800001
	s_mov_b32 s15, exec_lo
	s_delay_alu instid0(VALU_DEP_2)
	v_cmpx_ne_u32_e32 0x7f, v130
	s_cbranch_execz .LBB382_925
; %bb.922:                              ;   in Loop: Header=BB382_424 Depth=1
	v_and_b32_e32 v0, 7, v9
	v_lshrrev_b32_e32 v129, 3, v130
	s_mov_b32 s16, exec_lo
	v_cmpx_gt_u32_e32 8, v130
; %bb.923:                              ;   in Loop: Header=BB382_424 Depth=1
	s_delay_alu instid0(VALU_DEP_3) | instskip(NEXT) | instid1(VALU_DEP_1)
	v_clz_i32_u32_e32 v129, v0
	v_min_u32_e32 v129, 32, v129
	s_delay_alu instid0(VALU_DEP_1) | instskip(SKIP_1) | instid1(VALU_DEP_2)
	v_subrev_nc_u32_e32 v130, 28, v129
	v_sub_nc_u32_e32 v129, 29, v129
	v_lshlrev_b64 v[130:131], v130, v[0:1]
	s_delay_alu instid0(VALU_DEP_1)
	v_and_b32_e32 v0, 7, v130
; %bb.924:                              ;   in Loop: Header=BB382_424 Depth=1
	s_or_b32 exec_lo, exec_lo, s16
	v_lshlrev_b32_e32 v9, 24, v9
	s_delay_alu instid0(VALU_DEP_2) | instskip(SKIP_1) | instid1(VALU_DEP_3)
	v_lshlrev_b32_e32 v0, 20, v0
	v_lshl_add_u32 v129, v129, 23, 0x3c000000
	v_and_b32_e32 v9, 0x80000000, v9
	s_delay_alu instid0(VALU_DEP_1)
	v_or3_b32 v0, v0, v9, v129
.LBB382_925:                            ;   in Loop: Header=BB382_424 Depth=1
	s_or_b32 exec_lo, exec_lo, s15
.LBB382_926:                            ;   in Loop: Header=BB382_424 Depth=1
	s_delay_alu instid0(SALU_CYCLE_1)
	s_or_b32 exec_lo, exec_lo, s13
.LBB382_927:                            ;   in Loop: Header=BB382_424 Depth=1
	s_delay_alu instid0(SALU_CYCLE_1) | instskip(NEXT) | instid1(VALU_DEP_1)
	s_or_b32 exec_lo, exec_lo, s12
	v_mul_f32_e32 v0, v12, v0
	s_delay_alu instid0(VALU_DEP_1) | instskip(NEXT) | instid1(VALU_DEP_1)
	v_and_b32_e32 v9, 0x7f800000, v0
	v_cmp_ne_u32_e64 s1, 0x7f800000, v9
                                        ; implicit-def: $vgpr9
	s_delay_alu instid0(VALU_DEP_1) | instskip(NEXT) | instid1(SALU_CYCLE_1)
	s_and_saveexec_b32 s12, s1
	s_xor_b32 s1, exec_lo, s12
; %bb.928:                              ;   in Loop: Header=BB382_424 Depth=1
	v_bfe_u32 v9, v0, 16, 1
	s_delay_alu instid0(VALU_DEP_1)
	v_add3_u32 v9, v0, v9, 0x7fff
                                        ; implicit-def: $vgpr0
; %bb.929:                              ;   in Loop: Header=BB382_424 Depth=1
	s_and_not1_saveexec_b32 s12, s1
; %bb.930:                              ;   in Loop: Header=BB382_424 Depth=1
	v_and_b32_e32 v9, 0xffff, v0
	v_or_b32_e32 v129, 0x10000, v0
	s_delay_alu instid0(VALU_DEP_2) | instskip(NEXT) | instid1(VALU_DEP_1)
	v_cmp_eq_u32_e64 s1, 0, v9
	v_cndmask_b32_e64 v9, v129, v0, s1
; %bb.931:                              ;   in Loop: Header=BB382_424 Depth=1
	s_or_b32 exec_lo, exec_lo, s12
	v_mov_b32_e32 v0, 0
	s_mov_b32 s12, exec_lo
	v_cmpx_lt_u64_e64 s[8:9], v[6:7]
	s_cbranch_execz .LBB382_939
; %bb.932:                              ;   in Loop: Header=BB382_424 Depth=1
	v_lshrrev_b32_e32 v6, 24, v7
	v_bfrev_b32_e32 v0, 1
	s_mov_b32 s13, exec_lo
	s_delay_alu instid0(VALU_DEP_2)
	v_cmpx_ne_u32_e32 0x80, v6
	s_cbranch_execz .LBB382_938
; %bb.933:                              ;   in Loop: Header=BB382_424 Depth=1
	v_bfe_u32 v129, v7, 24, 7
	v_mov_b32_e32 v0, 0x7f800001
	s_mov_b32 s15, exec_lo
	s_delay_alu instid0(VALU_DEP_2)
	v_cmpx_ne_u32_e32 0x7f, v129
	s_cbranch_execz .LBB382_937
; %bb.934:                              ;   in Loop: Header=BB382_424 Depth=1
	v_and_b32_e32 v0, 7, v6
	v_lshrrev_b32_e32 v7, 3, v129
	s_mov_b32 s16, exec_lo
	v_cmpx_gt_u32_e32 8, v129
; %bb.935:                              ;   in Loop: Header=BB382_424 Depth=1
	s_delay_alu instid0(VALU_DEP_3) | instskip(NEXT) | instid1(VALU_DEP_1)
	v_clz_i32_u32_e32 v7, v0
	v_min_u32_e32 v7, 32, v7
	s_delay_alu instid0(VALU_DEP_1) | instskip(SKIP_1) | instid1(VALU_DEP_2)
	v_subrev_nc_u32_e32 v129, 28, v7
	v_sub_nc_u32_e32 v7, 29, v7
	v_lshlrev_b64 v[129:130], v129, v[0:1]
	s_delay_alu instid0(VALU_DEP_1)
	v_and_b32_e32 v0, 7, v129
; %bb.936:                              ;   in Loop: Header=BB382_424 Depth=1
	s_or_b32 exec_lo, exec_lo, s16
	v_lshlrev_b32_e32 v6, 24, v6
	s_delay_alu instid0(VALU_DEP_2) | instskip(SKIP_1) | instid1(VALU_DEP_3)
	v_lshlrev_b32_e32 v0, 20, v0
	v_lshl_add_u32 v7, v7, 23, 0x3c000000
	v_and_b32_e32 v6, 0x80000000, v6
	s_delay_alu instid0(VALU_DEP_1)
	v_or3_b32 v0, v0, v6, v7
.LBB382_937:                            ;   in Loop: Header=BB382_424 Depth=1
	s_or_b32 exec_lo, exec_lo, s15
.LBB382_938:                            ;   in Loop: Header=BB382_424 Depth=1
	s_delay_alu instid0(SALU_CYCLE_1)
	s_or_b32 exec_lo, exec_lo, s13
.LBB382_939:                            ;   in Loop: Header=BB382_424 Depth=1
	s_delay_alu instid0(SALU_CYCLE_1) | instskip(NEXT) | instid1(VALU_DEP_1)
	s_or_b32 exec_lo, exec_lo, s12
	v_mul_f32_e32 v0, v12, v0
                                        ; implicit-def: $vgpr7
	s_delay_alu instid0(VALU_DEP_1) | instskip(NEXT) | instid1(VALU_DEP_1)
	v_and_b32_e32 v6, 0x7f800000, v0
	v_cmp_ne_u32_e64 s1, 0x7f800000, v6
	s_delay_alu instid0(VALU_DEP_1) | instskip(NEXT) | instid1(SALU_CYCLE_1)
	s_and_saveexec_b32 s12, s1
	s_xor_b32 s1, exec_lo, s12
; %bb.940:                              ;   in Loop: Header=BB382_424 Depth=1
	v_bfe_u32 v6, v0, 16, 1
	s_delay_alu instid0(VALU_DEP_1)
	v_add3_u32 v7, v0, v6, 0x7fff
                                        ; implicit-def: $vgpr0
; %bb.941:                              ;   in Loop: Header=BB382_424 Depth=1
	s_and_not1_saveexec_b32 s12, s1
; %bb.942:                              ;   in Loop: Header=BB382_424 Depth=1
	v_and_b32_e32 v6, 0xffff, v0
	v_or_b32_e32 v7, 0x10000, v0
	s_delay_alu instid0(VALU_DEP_2) | instskip(NEXT) | instid1(VALU_DEP_1)
	v_cmp_eq_u32_e64 s1, 0, v6
	v_cndmask_b32_e64 v7, v7, v0, s1
; %bb.943:                              ;   in Loop: Header=BB382_424 Depth=1
	s_or_b32 exec_lo, exec_lo, s12
	v_lshrrev_b32_e32 v12, 16, v8
	v_lshrrev_b32_e32 v128, 16, v128
	v_lshrrev_b32_e32 v119, 16, v119
	v_lshrrev_b32_e32 v8, 16, v118
	v_lshrrev_b32_e32 v6, 16, v117
	v_lshrrev_b32_e32 v0, 16, v116
	v_lshrrev_b32_e32 v9, 16, v9
	v_lshrrev_b32_e32 v7, 16, v7
	s_and_saveexec_b32 s1, vcc_lo
	s_cbranch_execz .LBB382_945
; %bb.944:                              ;   in Loop: Header=BB382_424 Depth=1
	v_cmp_lt_i32_e32 vcc_lo, v23, v67
	v_cndmask_b32_e32 v0, 0, v0, vcc_lo
	v_cmp_lt_i32_e32 vcc_lo, v54, v67
	v_cndmask_b32_e32 v6, 0, v6, vcc_lo
	;; [unrolled: 2-line block ×8, first 2 shown]
.LBB382_945:                            ;   in Loop: Header=BB382_424 Depth=1
	s_or_b32 exec_lo, exec_lo, s1
	v_lshlrev_b32_e32 v0, 16, v0
	s_delay_alu instid0(VALU_DEP_1) | instskip(NEXT) | instid1(VALU_DEP_1)
	v_mul_f32_e32 v38, v55, v0
	v_and_b32_e32 v0, 0x7f800000, v38
	s_delay_alu instid0(VALU_DEP_1) | instskip(SKIP_1) | instid1(SALU_CYCLE_1)
	v_cmp_ne_u32_e32 vcc_lo, 0x7f800000, v0
                                        ; implicit-def: $vgpr0
	s_and_saveexec_b32 s1, vcc_lo
	s_xor_b32 s1, exec_lo, s1
; %bb.946:                              ;   in Loop: Header=BB382_424 Depth=1
	v_bfe_u32 v0, v38, 16, 1
	s_delay_alu instid0(VALU_DEP_1)
	v_add3_u32 v0, v38, v0, 0x7fff
                                        ; implicit-def: $vgpr38
; %bb.947:                              ;   in Loop: Header=BB382_424 Depth=1
	s_and_not1_saveexec_b32 s1, s1
; %bb.948:                              ;   in Loop: Header=BB382_424 Depth=1
	v_and_b32_e32 v0, 0xffff, v38
	v_or_b32_e32 v49, 0x10000, v38
	s_delay_alu instid0(VALU_DEP_2) | instskip(NEXT) | instid1(VALU_DEP_2)
	v_cmp_eq_u32_e32 vcc_lo, 0, v0
	v_cndmask_b32_e32 v0, v49, v38, vcc_lo
; %bb.949:                              ;   in Loop: Header=BB382_424 Depth=1
	s_or_b32 exec_lo, exec_lo, s1
	v_lshlrev_b32_e32 v6, 16, v6
	s_delay_alu instid0(VALU_DEP_1) | instskip(NEXT) | instid1(VALU_DEP_1)
	v_mul_f32_e32 v38, v64, v6
	v_and_b32_e32 v6, 0x7f800000, v38
	s_delay_alu instid0(VALU_DEP_1) | instskip(SKIP_1) | instid1(SALU_CYCLE_1)
	v_cmp_ne_u32_e32 vcc_lo, 0x7f800000, v6
                                        ; implicit-def: $vgpr6
	s_and_saveexec_b32 s1, vcc_lo
	s_xor_b32 s1, exec_lo, s1
; %bb.950:                              ;   in Loop: Header=BB382_424 Depth=1
	v_bfe_u32 v6, v38, 16, 1
	s_delay_alu instid0(VALU_DEP_1)
	v_add3_u32 v6, v38, v6, 0x7fff
                                        ; implicit-def: $vgpr38
; %bb.951:                              ;   in Loop: Header=BB382_424 Depth=1
	s_and_not1_saveexec_b32 s1, s1
; %bb.952:                              ;   in Loop: Header=BB382_424 Depth=1
	v_and_b32_e32 v6, 0xffff, v38
	v_or_b32_e32 v49, 0x10000, v38
	s_delay_alu instid0(VALU_DEP_2) | instskip(NEXT) | instid1(VALU_DEP_2)
	v_cmp_eq_u32_e32 vcc_lo, 0, v6
	v_cndmask_b32_e32 v6, v49, v38, vcc_lo
; %bb.953:                              ;   in Loop: Header=BB382_424 Depth=1
	s_or_b32 exec_lo, exec_lo, s1
	v_lshlrev_b32_e32 v8, 16, v8
	s_delay_alu instid0(VALU_DEP_1) | instskip(NEXT) | instid1(VALU_DEP_1)
	v_mul_f32_e32 v38, v65, v8
	v_and_b32_e32 v8, 0x7f800000, v38
	s_delay_alu instid0(VALU_DEP_1) | instskip(SKIP_1) | instid1(SALU_CYCLE_1)
	v_cmp_ne_u32_e32 vcc_lo, 0x7f800000, v8
                                        ; implicit-def: $vgpr8
	s_and_saveexec_b32 s1, vcc_lo
	s_xor_b32 s1, exec_lo, s1
; %bb.954:                              ;   in Loop: Header=BB382_424 Depth=1
	v_bfe_u32 v8, v38, 16, 1
	s_delay_alu instid0(VALU_DEP_1)
	v_add3_u32 v8, v38, v8, 0x7fff
                                        ; implicit-def: $vgpr38
; %bb.955:                              ;   in Loop: Header=BB382_424 Depth=1
	s_and_not1_saveexec_b32 s1, s1
; %bb.956:                              ;   in Loop: Header=BB382_424 Depth=1
	v_and_b32_e32 v8, 0xffff, v38
	v_or_b32_e32 v49, 0x10000, v38
	s_delay_alu instid0(VALU_DEP_2) | instskip(NEXT) | instid1(VALU_DEP_2)
	v_cmp_eq_u32_e32 vcc_lo, 0, v8
	v_cndmask_b32_e32 v8, v49, v38, vcc_lo
; %bb.957:                              ;   in Loop: Header=BB382_424 Depth=1
	s_or_b32 exec_lo, exec_lo, s1
	v_lshlrev_b32_e32 v38, 16, v119
	s_delay_alu instid0(VALU_DEP_1) | instskip(NEXT) | instid1(VALU_DEP_1)
	v_mul_f32_e32 v49, v81, v38
	v_and_b32_e32 v38, 0x7f800000, v49
	s_delay_alu instid0(VALU_DEP_1) | instskip(SKIP_1) | instid1(SALU_CYCLE_1)
	v_cmp_ne_u32_e32 vcc_lo, 0x7f800000, v38
                                        ; implicit-def: $vgpr38
	s_and_saveexec_b32 s1, vcc_lo
	s_xor_b32 s1, exec_lo, s1
; %bb.958:                              ;   in Loop: Header=BB382_424 Depth=1
	v_bfe_u32 v38, v49, 16, 1
	s_delay_alu instid0(VALU_DEP_1)
	v_add3_u32 v38, v49, v38, 0x7fff
                                        ; implicit-def: $vgpr49
; %bb.959:                              ;   in Loop: Header=BB382_424 Depth=1
	s_and_not1_saveexec_b32 s1, s1
; %bb.960:                              ;   in Loop: Header=BB382_424 Depth=1
	v_and_b32_e32 v38, 0xffff, v49
	v_or_b32_e32 v50, 0x10000, v49
	s_delay_alu instid0(VALU_DEP_2) | instskip(NEXT) | instid1(VALU_DEP_2)
	v_cmp_eq_u32_e32 vcc_lo, 0, v38
	v_cndmask_b32_e32 v38, v50, v49, vcc_lo
; %bb.961:                              ;   in Loop: Header=BB382_424 Depth=1
	s_or_b32 exec_lo, exec_lo, s1
	v_lshlrev_b32_e32 v49, 16, v128
	s_delay_alu instid0(VALU_DEP_1) | instskip(NEXT) | instid1(VALU_DEP_1)
	v_mul_f32_e32 v50, v82, v49
	v_and_b32_e32 v49, 0x7f800000, v50
	s_delay_alu instid0(VALU_DEP_1) | instskip(SKIP_1) | instid1(SALU_CYCLE_1)
	v_cmp_ne_u32_e32 vcc_lo, 0x7f800000, v49
                                        ; implicit-def: $vgpr49
	s_and_saveexec_b32 s1, vcc_lo
	s_xor_b32 s1, exec_lo, s1
; %bb.962:                              ;   in Loop: Header=BB382_424 Depth=1
	v_bfe_u32 v49, v50, 16, 1
	s_delay_alu instid0(VALU_DEP_1)
	v_add3_u32 v49, v50, v49, 0x7fff
                                        ; implicit-def: $vgpr50
; %bb.963:                              ;   in Loop: Header=BB382_424 Depth=1
	s_and_not1_saveexec_b32 s1, s1
; %bb.964:                              ;   in Loop: Header=BB382_424 Depth=1
	v_and_b32_e32 v49, 0xffff, v50
	v_or_b32_e32 v51, 0x10000, v50
	s_delay_alu instid0(VALU_DEP_2) | instskip(NEXT) | instid1(VALU_DEP_2)
	v_cmp_eq_u32_e32 vcc_lo, 0, v49
	v_cndmask_b32_e32 v49, v51, v50, vcc_lo
; %bb.965:                              ;   in Loop: Header=BB382_424 Depth=1
	s_or_b32 exec_lo, exec_lo, s1
	v_lshlrev_b32_e32 v12, 16, v12
	s_delay_alu instid0(VALU_DEP_1) | instskip(NEXT) | instid1(VALU_DEP_1)
	v_mul_f32_e32 v50, v83, v12
	v_and_b32_e32 v12, 0x7f800000, v50
	s_delay_alu instid0(VALU_DEP_1) | instskip(SKIP_1) | instid1(SALU_CYCLE_1)
	v_cmp_ne_u32_e32 vcc_lo, 0x7f800000, v12
                                        ; implicit-def: $vgpr12
	s_and_saveexec_b32 s1, vcc_lo
	s_xor_b32 s1, exec_lo, s1
; %bb.966:                              ;   in Loop: Header=BB382_424 Depth=1
	v_bfe_u32 v12, v50, 16, 1
	s_delay_alu instid0(VALU_DEP_1)
	v_add3_u32 v12, v50, v12, 0x7fff
                                        ; implicit-def: $vgpr50
; %bb.967:                              ;   in Loop: Header=BB382_424 Depth=1
	s_and_not1_saveexec_b32 s1, s1
; %bb.968:                              ;   in Loop: Header=BB382_424 Depth=1
	v_and_b32_e32 v12, 0xffff, v50
	v_or_b32_e32 v51, 0x10000, v50
	s_delay_alu instid0(VALU_DEP_2) | instskip(NEXT) | instid1(VALU_DEP_2)
	v_cmp_eq_u32_e32 vcc_lo, 0, v12
	v_cndmask_b32_e32 v12, v51, v50, vcc_lo
; %bb.969:                              ;   in Loop: Header=BB382_424 Depth=1
	s_or_b32 exec_lo, exec_lo, s1
	v_lshlrev_b32_e32 v9, 16, v9
	s_delay_alu instid0(VALU_DEP_1) | instskip(NEXT) | instid1(VALU_DEP_1)
	v_mul_f32_e32 v50, v84, v9
	v_and_b32_e32 v9, 0x7f800000, v50
	s_delay_alu instid0(VALU_DEP_1) | instskip(SKIP_1) | instid1(SALU_CYCLE_1)
	v_cmp_ne_u32_e32 vcc_lo, 0x7f800000, v9
                                        ; implicit-def: $vgpr9
	s_and_saveexec_b32 s1, vcc_lo
	s_xor_b32 s1, exec_lo, s1
; %bb.970:                              ;   in Loop: Header=BB382_424 Depth=1
	v_bfe_u32 v9, v50, 16, 1
	s_delay_alu instid0(VALU_DEP_1)
	v_add3_u32 v9, v50, v9, 0x7fff
                                        ; implicit-def: $vgpr50
; %bb.971:                              ;   in Loop: Header=BB382_424 Depth=1
	s_and_not1_saveexec_b32 s1, s1
; %bb.972:                              ;   in Loop: Header=BB382_424 Depth=1
	v_and_b32_e32 v9, 0xffff, v50
	v_or_b32_e32 v51, 0x10000, v50
	s_delay_alu instid0(VALU_DEP_2) | instskip(NEXT) | instid1(VALU_DEP_2)
	v_cmp_eq_u32_e32 vcc_lo, 0, v9
	v_cndmask_b32_e32 v9, v51, v50, vcc_lo
; %bb.973:                              ;   in Loop: Header=BB382_424 Depth=1
	s_or_b32 exec_lo, exec_lo, s1
	v_lshlrev_b32_e32 v7, 16, v7
	s_delay_alu instid0(VALU_DEP_1) | instskip(NEXT) | instid1(VALU_DEP_1)
	v_mul_f32_e32 v50, v85, v7
	v_and_b32_e32 v7, 0x7f800000, v50
	s_delay_alu instid0(VALU_DEP_1) | instskip(SKIP_1) | instid1(SALU_CYCLE_1)
	v_cmp_ne_u32_e32 vcc_lo, 0x7f800000, v7
                                        ; implicit-def: $vgpr7
	s_and_saveexec_b32 s1, vcc_lo
	s_xor_b32 s1, exec_lo, s1
; %bb.974:                              ;   in Loop: Header=BB382_424 Depth=1
	v_bfe_u32 v7, v50, 16, 1
	s_delay_alu instid0(VALU_DEP_1)
	v_add3_u32 v7, v50, v7, 0x7fff
                                        ; implicit-def: $vgpr50
; %bb.975:                              ;   in Loop: Header=BB382_424 Depth=1
	s_and_not1_saveexec_b32 s1, s1
	s_cbranch_execz .LBB382_422
; %bb.976:                              ;   in Loop: Header=BB382_424 Depth=1
	v_and_b32_e32 v7, 0xffff, v50
	v_or_b32_e32 v51, 0x10000, v50
	s_delay_alu instid0(VALU_DEP_2) | instskip(NEXT) | instid1(VALU_DEP_2)
	v_cmp_eq_u32_e32 vcc_lo, 0, v7
	v_cndmask_b32_e32 v7, v51, v50, vcc_lo
	s_branch .LBB382_422
.LBB382_977:
	s_or_b32 exec_lo, exec_lo, s10
	s_load_b32 s1, s[4:5], 0x0
	s_waitcnt lgkmcnt(0)
	v_mov_b32_e32 v0, s1
.LBB382_978:
	s_or_b32 exec_lo, exec_lo, s3
	v_and_b32_e32 v6, 0x3c0, v39
	s_delay_alu instid0(VALU_DEP_2)
	v_lshl_add_u32 v1, v21, 9, v0
	s_mov_b32 s1, exec_lo
	s_waitcnt_vscnt null, 0x0
	s_barrier
	buffer_gl0_inv
	v_cmpx_eq_u32_e32 64, v6
	s_cbranch_execz .LBB382_980
; %bb.979:
	v_add_nc_u32_e32 v6, 0xfffffc00, v1
	v_lshl_or_b32 v7, v39, 2, 0x180
	s_delay_alu instid0(VALU_DEP_2) | instskip(NEXT) | instid1(VALU_DEP_2)
	v_lshl_add_u32 v8, v18, 2, v6
	v_add_nc_u32_e32 v6, v6, v7
	ds_store_2addr_b32 v8, v24, v19 offset1:32
	ds_store_b32 v8, v2 offset:256
	ds_store_b32 v6, v3
.LBB382_980:
	s_or_b32 exec_lo, exec_lo, s1
	v_lshl_add_u32 v6, v18, 2, v1
	s_waitcnt lgkmcnt(0)
	s_barrier
	buffer_gl0_inv
	s_and_saveexec_b32 s1, s0
	s_cbranch_execz .LBB382_982
; %bb.981:
	v_or_b32_e32 v7, 0x80, v66
	v_or_b32_e32 v8, 0x180, v66
	s_delay_alu instid0(VALU_DEP_2) | instskip(NEXT) | instid1(VALU_DEP_2)
	v_add_nc_u32_e32 v9, v1, v7
	v_add_nc_u32_e32 v10, v1, v8
	ds_load_2addr_stride64_b32 v[7:8], v6 offset1:1
	ds_load_b32 v9, v9
	ds_load_b32 v10, v10
	s_waitcnt lgkmcnt(2)
	v_add_f32_e32 v24, v24, v7
	s_waitcnt lgkmcnt(0)
	v_dual_add_f32 v2, v2, v8 :: v_dual_add_f32 v3, v3, v10
	v_add_f32_e32 v19, v19, v9
.LBB382_982:
	s_or_b32 exec_lo, exec_lo, s1
	v_and_b32_e32 v7, 0x3e0, v39
	s_mov_b32 s0, exec_lo
	s_barrier
	buffer_gl0_inv
	v_cmpx_eq_u32_e32 32, v7
	s_cbranch_execz .LBB382_984
; %bb.983:
	v_or_b32_e32 v7, 0x180, v66
	v_lshl_add_u32 v8, v18, 2, v0
	v_add_nc_u32_e32 v9, v0, v66
	s_delay_alu instid0(VALU_DEP_3)
	v_add_nc_u32_e32 v0, v0, v7
	ds_store_b32 v8, v24
	ds_store_b32 v9, v19
	ds_store_b32 v8, v2 offset:256
	ds_store_b32 v0, v3
.LBB382_984:
	s_or_b32 exec_lo, exec_lo, s0
	v_cmp_gt_u32_e32 vcc_lo, 32, v39
	s_waitcnt lgkmcnt(0)
	s_barrier
	buffer_gl0_inv
	s_and_saveexec_b32 s0, vcc_lo
	s_cbranch_execz .LBB382_986
; %bb.985:
	v_lshl_add_u32 v7, v39, 2, v1
	ds_load_b32 v6, v6
	ds_load_2addr_b32 v[0:1], v7 offset0:32 offset1:64
	ds_load_b32 v7, v7 offset:384
	s_waitcnt lgkmcnt(1)
	v_dual_add_f32 v24, v24, v6 :: v_dual_add_f32 v19, v19, v0
	s_waitcnt lgkmcnt(0)
	v_dual_add_f32 v2, v2, v1 :: v_dual_add_f32 v3, v3, v7
.LBB382_986:
	s_or_b32 exec_lo, exec_lo, s0
	s_barrier
	buffer_gl0_inv
	s_and_b32 exec_lo, exec_lo, vcc_lo
	s_cbranch_execz .LBB382_1004
; %bb.987:
	v_and_b32_e32 v0, 0x7f800000, v24
	s_delay_alu instid0(VALU_DEP_1) | instskip(SKIP_1) | instid1(SALU_CYCLE_1)
	v_cmp_ne_u32_e32 vcc_lo, 0x7f800000, v0
                                        ; implicit-def: $vgpr0
	s_and_saveexec_b32 s0, vcc_lo
	s_xor_b32 s0, exec_lo, s0
; %bb.988:
	v_bfe_u32 v0, v24, 16, 1
	s_delay_alu instid0(VALU_DEP_1)
	v_add3_u32 v0, v24, v0, 0x7fff
; %bb.989:
	s_and_not1_saveexec_b32 s0, s0
; %bb.990:
	v_and_b32_e32 v0, 0xffff, v24
	v_or_b32_e32 v1, 0x10000, v24
	s_delay_alu instid0(VALU_DEP_2) | instskip(NEXT) | instid1(VALU_DEP_2)
	v_cmp_eq_u32_e32 vcc_lo, 0, v0
	v_cndmask_b32_e32 v0, v1, v24, vcc_lo
; %bb.991:
	s_or_b32 exec_lo, exec_lo, s0
	s_lshl_b32 s0, s2, 7
	s_mul_i32 s2, s6, s7
	s_lshl_b32 s4, s14, 7
	s_ashr_i32 s3, s2, 31
	s_ashr_i32 s5, s4, 31
	;; [unrolled: 1-line block ×3, first 2 shown]
	s_lshl_b64 s[2:3], s[2:3], 1
	s_lshl_b64 s[4:5], s[4:5], 1
	s_lshl_b64 s[0:1], s[0:1], 1
	s_add_u32 s2, s4, s2
	s_addc_u32 s3, s5, s3
	s_add_u32 s0, s2, s0
	s_addc_u32 s1, s3, s1
	v_lshlrev_b32_e32 v1, 1, v39
	v_add_co_u32 v4, vcc_lo, s0, v4
	v_add_co_ci_u32_e32 v5, vcc_lo, s1, v5, vcc_lo
	v_and_b32_e32 v6, 0x7f800000, v19
	s_delay_alu instid0(VALU_DEP_3) | instskip(NEXT) | instid1(VALU_DEP_3)
	v_add_co_u32 v4, vcc_lo, v4, v1
	v_add_co_ci_u32_e32 v5, vcc_lo, 0, v5, vcc_lo
	s_mov_b32 s0, exec_lo
	flat_store_d16_hi_b16 v[4:5], v0
                                        ; implicit-def: $vgpr0
	v_cmpx_ne_u32_e32 0x7f800000, v6
	s_xor_b32 s0, exec_lo, s0
; %bb.992:
	v_bfe_u32 v0, v19, 16, 1
	s_delay_alu instid0(VALU_DEP_1)
	v_add3_u32 v0, v19, v0, 0x7fff
; %bb.993:
	s_and_not1_saveexec_b32 s0, s0
; %bb.994:
	v_and_b32_e32 v0, 0xffff, v19
	v_or_b32_e32 v1, 0x10000, v19
	s_delay_alu instid0(VALU_DEP_2) | instskip(NEXT) | instid1(VALU_DEP_2)
	v_cmp_eq_u32_e32 vcc_lo, 0, v0
	v_cndmask_b32_e32 v0, v1, v19, vcc_lo
; %bb.995:
	s_or_b32 exec_lo, exec_lo, s0
	v_and_b32_e32 v1, 0x7f800000, v2
	s_mov_b32 s0, exec_lo
	flat_store_d16_hi_b16 v[4:5], v0 offset:64
                                        ; implicit-def: $vgpr0
	v_cmpx_ne_u32_e32 0x7f800000, v1
	s_xor_b32 s0, exec_lo, s0
; %bb.996:
	v_bfe_u32 v0, v2, 16, 1
	s_delay_alu instid0(VALU_DEP_1)
	v_add3_u32 v0, v2, v0, 0x7fff
; %bb.997:
	s_and_not1_saveexec_b32 s0, s0
; %bb.998:
	v_and_b32_e32 v0, 0xffff, v2
	v_or_b32_e32 v1, 0x10000, v2
	s_delay_alu instid0(VALU_DEP_2) | instskip(NEXT) | instid1(VALU_DEP_2)
	v_cmp_eq_u32_e32 vcc_lo, 0, v0
	v_cndmask_b32_e32 v0, v1, v2, vcc_lo
; %bb.999:
	s_or_b32 exec_lo, exec_lo, s0
	v_and_b32_e32 v1, 0x7f800000, v3
	s_mov_b32 s0, exec_lo
	flat_store_d16_hi_b16 v[4:5], v0 offset:128
                                        ; implicit-def: $vgpr6
	v_cmpx_ne_u32_e32 0x7f800000, v1
	s_xor_b32 s0, exec_lo, s0
; %bb.1000:
	v_bfe_u32 v0, v3, 16, 1
	s_delay_alu instid0(VALU_DEP_1)
	v_add3_u32 v6, v3, v0, 0x7fff
                                        ; implicit-def: $vgpr0_vgpr1_vgpr2_vgpr3
; %bb.1001:
	s_and_not1_saveexec_b32 s0, s0
; %bb.1002:
	v_and_b32_e32 v0, 0xffff, v3
	v_or_b32_e32 v1, 0x10000, v3
	s_delay_alu instid0(VALU_DEP_2) | instskip(NEXT) | instid1(VALU_DEP_2)
	v_cmp_eq_u32_e32 vcc_lo, 0, v0
	v_cndmask_b32_e32 v6, v1, v3, vcc_lo
; %bb.1003:
	s_or_b32 exec_lo, exec_lo, s0
	flat_store_d16_hi_b16 v[4:5], v6 offset:192
.LBB382_1004:
	s_or_b32 exec_lo, exec_lo, s17
	s_waitcnt vmcnt(0) lgkmcnt(0)
	s_setpc_b64 s[30:31]
.Lfunc_end382:
	.size	_ZN4vllm22paged_attention_kernelI14__hip_bfloat16hLi128ELi8ELi128ELNS_18Fp8KVCacheDataTypeE1ELb1ELi512EEEvPfS3_PT_PKS4_PKT0_SA_ifPKiSC_iPKfiiiSE_SE_iiiii, .Lfunc_end382-_ZN4vllm22paged_attention_kernelI14__hip_bfloat16hLi128ELi8ELi128ELNS_18Fp8KVCacheDataTypeE1ELb1ELi512EEEvPfS3_PT_PKS4_PKT0_SA_ifPKiSC_iPKfiiiSE_SE_iiiii
                                        ; -- End function
	.section	.AMDGPU.csdata,"",@progbits
; Function info:
; codeLenInByte = 32132
; NumSgprs: 35
; NumVgprs: 179
; ScratchSize: 12
; MemoryBound: 0
	.section	.text._ZN4vllm25paged_attention_v2_kernelI14__hip_bfloat16hLi128ELi8ELi128ELNS_18Fp8KVCacheDataTypeE1ELb1ELi512EEEvPfS3_PT_PKS4_PKT0_SA_ifPKiSC_iPKfiiiSE_SE_iiiii,"axG",@progbits,_ZN4vllm25paged_attention_v2_kernelI14__hip_bfloat16hLi128ELi8ELi128ELNS_18Fp8KVCacheDataTypeE1ELb1ELi512EEEvPfS3_PT_PKS4_PKT0_SA_ifPKiSC_iPKfiiiSE_SE_iiiii,comdat
	.protected	_ZN4vllm25paged_attention_v2_kernelI14__hip_bfloat16hLi128ELi8ELi128ELNS_18Fp8KVCacheDataTypeE1ELb1ELi512EEEvPfS3_PT_PKS4_PKT0_SA_ifPKiSC_iPKfiiiSE_SE_iiiii ; -- Begin function _ZN4vllm25paged_attention_v2_kernelI14__hip_bfloat16hLi128ELi8ELi128ELNS_18Fp8KVCacheDataTypeE1ELb1ELi512EEEvPfS3_PT_PKS4_PKT0_SA_ifPKiSC_iPKfiiiSE_SE_iiiii
	.globl	_ZN4vllm25paged_attention_v2_kernelI14__hip_bfloat16hLi128ELi8ELi128ELNS_18Fp8KVCacheDataTypeE1ELb1ELi512EEEvPfS3_PT_PKS4_PKT0_SA_ifPKiSC_iPKfiiiSE_SE_iiiii
	.p2align	8
	.type	_ZN4vllm25paged_attention_v2_kernelI14__hip_bfloat16hLi128ELi8ELi128ELNS_18Fp8KVCacheDataTypeE1ELb1ELi512EEEvPfS3_PT_PKS4_PKT0_SA_ifPKiSC_iPKfiiiSE_SE_iiiii,@function
_ZN4vllm25paged_attention_v2_kernelI14__hip_bfloat16hLi128ELi8ELi128ELNS_18Fp8KVCacheDataTypeE1ELb1ELi512EEEvPfS3_PT_PKS4_PKT0_SA_ifPKiSC_iPKfiiiSE_SE_iiiii: ; @_ZN4vllm25paged_attention_v2_kernelI14__hip_bfloat16hLi128ELi8ELi128ELNS_18Fp8KVCacheDataTypeE1ELb1ELi512EEEvPfS3_PT_PKS4_PKT0_SA_ifPKiSC_iPKfiiiSE_SE_iiiii
; %bb.0:
	s_mov_b32 s12, s13
	s_clause 0x7
	s_load_b128 s[4:7], s[0:1], 0x78
	s_load_b32 s8, s[0:1], 0x88
	s_load_b256 s[24:31], s[0:1], 0x0
	s_load_b256 s[36:43], s[0:1], 0x20
	s_load_b64 s[2:3], s[0:1], 0x40
	s_load_b64 s[10:11], s[0:1], 0x50
	s_load_b32 s13, s[0:1], 0x48
	s_load_b256 s[16:23], s[0:1], 0x58
	s_mov_b32 s32, 0
	v_mov_b32_e32 v31, v0
	s_waitcnt lgkmcnt(0)
	v_dual_mov_b32 v1, s7 :: v_dual_mov_b32 v2, s8
	v_dual_mov_b32 v0, s24 :: v_dual_mov_b32 v3, s27
	;; [unrolled: 1-line block ×3, first 2 shown]
	v_mov_b32_e32 v6, s30
	scratch_store_b64 off, v[1:2], s32
	v_dual_mov_b32 v1, s25 :: v_dual_mov_b32 v2, s26
	v_dual_mov_b32 v7, s31 :: v_dual_mov_b32 v8, s36
	;; [unrolled: 1-line block ×13, first 2 shown]
	s_add_u32 s8, s0, 0x90
	s_addc_u32 s9, s1, 0
	s_mov_b32 s13, s14
	s_mov_b32 s14, s15
	;; [unrolled: 1-line block ×3, first 2 shown]
	s_getpc_b64 s[0:1]
	s_add_u32 s0, s0, _ZN4vllm22paged_attention_kernelI14__hip_bfloat16hLi128ELi8ELi128ELNS_18Fp8KVCacheDataTypeE1ELb1ELi512EEEvPfS3_PT_PKS4_PKT0_SA_ifPKiSC_iPKfiiiSE_SE_iiiii@rel32@lo+4
	s_addc_u32 s1, s1, _ZN4vllm22paged_attention_kernelI14__hip_bfloat16hLi128ELi8ELi128ELNS_18Fp8KVCacheDataTypeE1ELb1ELi512EEEvPfS3_PT_PKS4_PKT0_SA_ifPKiSC_iPKfiiiSE_SE_iiiii@rel32@hi+12
	s_delay_alu instid0(SALU_CYCLE_1)
	s_swappc_b64 s[30:31], s[0:1]
	s_endpgm
	.section	.rodata,"a",@progbits
	.p2align	6, 0x0
	.amdhsa_kernel _ZN4vllm25paged_attention_v2_kernelI14__hip_bfloat16hLi128ELi8ELi128ELNS_18Fp8KVCacheDataTypeE1ELb1ELi512EEEvPfS3_PT_PKS4_PKT0_SA_ifPKiSC_iPKfiiiSE_SE_iiiii
		.amdhsa_group_segment_fixed_size 288
		.amdhsa_private_segment_fixed_size 12
		.amdhsa_kernarg_size 400
		.amdhsa_user_sgpr_count 13
		.amdhsa_user_sgpr_dispatch_ptr 0
		.amdhsa_user_sgpr_queue_ptr 0
		.amdhsa_user_sgpr_kernarg_segment_ptr 1
		.amdhsa_user_sgpr_dispatch_id 0
		.amdhsa_user_sgpr_private_segment_size 0
		.amdhsa_wavefront_size32 1
		.amdhsa_uses_dynamic_stack 0
		.amdhsa_enable_private_segment 1
		.amdhsa_system_sgpr_workgroup_id_x 1
		.amdhsa_system_sgpr_workgroup_id_y 1
		.amdhsa_system_sgpr_workgroup_id_z 1
		.amdhsa_system_sgpr_workgroup_info 0
		.amdhsa_system_vgpr_workitem_id 0
		.amdhsa_next_free_vgpr 179
		.amdhsa_next_free_sgpr 44
		.amdhsa_reserve_vcc 1
		.amdhsa_float_round_mode_32 0
		.amdhsa_float_round_mode_16_64 0
		.amdhsa_float_denorm_mode_32 3
		.amdhsa_float_denorm_mode_16_64 3
		.amdhsa_dx10_clamp 1
		.amdhsa_ieee_mode 1
		.amdhsa_fp16_overflow 0
		.amdhsa_workgroup_processor_mode 1
		.amdhsa_memory_ordered 1
		.amdhsa_forward_progress 0
		.amdhsa_shared_vgpr_count 0
		.amdhsa_exception_fp_ieee_invalid_op 0
		.amdhsa_exception_fp_denorm_src 0
		.amdhsa_exception_fp_ieee_div_zero 0
		.amdhsa_exception_fp_ieee_overflow 0
		.amdhsa_exception_fp_ieee_underflow 0
		.amdhsa_exception_fp_ieee_inexact 0
		.amdhsa_exception_int_div_zero 0
	.end_amdhsa_kernel
	.section	.text._ZN4vllm25paged_attention_v2_kernelI14__hip_bfloat16hLi128ELi8ELi128ELNS_18Fp8KVCacheDataTypeE1ELb1ELi512EEEvPfS3_PT_PKS4_PKT0_SA_ifPKiSC_iPKfiiiSE_SE_iiiii,"axG",@progbits,_ZN4vllm25paged_attention_v2_kernelI14__hip_bfloat16hLi128ELi8ELi128ELNS_18Fp8KVCacheDataTypeE1ELb1ELi512EEEvPfS3_PT_PKS4_PKT0_SA_ifPKiSC_iPKfiiiSE_SE_iiiii,comdat
.Lfunc_end383:
	.size	_ZN4vllm25paged_attention_v2_kernelI14__hip_bfloat16hLi128ELi8ELi128ELNS_18Fp8KVCacheDataTypeE1ELb1ELi512EEEvPfS3_PT_PKS4_PKT0_SA_ifPKiSC_iPKfiiiSE_SE_iiiii, .Lfunc_end383-_ZN4vllm25paged_attention_v2_kernelI14__hip_bfloat16hLi128ELi8ELi128ELNS_18Fp8KVCacheDataTypeE1ELb1ELi512EEEvPfS3_PT_PKS4_PKT0_SA_ifPKiSC_iPKfiiiSE_SE_iiiii
                                        ; -- End function
	.section	.AMDGPU.csdata,"",@progbits
; Kernel info:
; codeLenInByte = 280
; NumSgprs: 46
; NumVgprs: 179
; ScratchSize: 12
; MemoryBound: 0
; FloatMode: 240
; IeeeMode: 1
; LDSByteSize: 288 bytes/workgroup (compile time only)
; SGPRBlocks: 5
; VGPRBlocks: 22
; NumSGPRsForWavesPerEU: 46
; NumVGPRsForWavesPerEU: 179
; Occupancy: 8
; WaveLimiterHint : 1
; COMPUTE_PGM_RSRC2:SCRATCH_EN: 1
; COMPUTE_PGM_RSRC2:USER_SGPR: 13
; COMPUTE_PGM_RSRC2:TRAP_HANDLER: 0
; COMPUTE_PGM_RSRC2:TGID_X_EN: 1
; COMPUTE_PGM_RSRC2:TGID_Y_EN: 1
; COMPUTE_PGM_RSRC2:TGID_Z_EN: 1
; COMPUTE_PGM_RSRC2:TIDIG_COMP_CNT: 0
	.text
	.p2align	2                               ; -- Begin function _ZN4vllm22paged_attention_kernelI14__hip_bfloat16hLi192ELi8ELi128ELNS_18Fp8KVCacheDataTypeE1ELb1ELi512EEEvPfS3_PT_PKS4_PKT0_SA_ifPKiSC_iPKfiiiSE_SE_iiiii
	.type	_ZN4vllm22paged_attention_kernelI14__hip_bfloat16hLi192ELi8ELi128ELNS_18Fp8KVCacheDataTypeE1ELb1ELi512EEEvPfS3_PT_PKS4_PKT0_SA_ifPKiSC_iPKfiiiSE_SE_iiiii,@function
_ZN4vllm22paged_attention_kernelI14__hip_bfloat16hLi192ELi8ELi128ELNS_18Fp8KVCacheDataTypeE1ELb1ELi512EEEvPfS3_PT_PKS4_PKT0_SA_ifPKiSC_iPKfiiiSE_SE_iiiii: ; @_ZN4vllm22paged_attention_kernelI14__hip_bfloat16hLi192ELi8ELi128ELNS_18Fp8KVCacheDataTypeE1ELb1ELi512EEEvPfS3_PT_PKS4_PKT0_SA_ifPKiSC_iPKfiiiSE_SE_iiiii
; %bb.0:
	s_waitcnt vmcnt(0) expcnt(0) lgkmcnt(0)
	s_clause 0x12
	scratch_store_b32 off, v40, s32 offset:80
	; meta instruction
	scratch_store_b32 off, v41, s32 offset:76
	; meta instruction
	;; [unrolled: 2-line block ×18, first 2 shown]
	scratch_store_b32 off, v74, s32 offset:8
	s_mov_b32 s10, s13
	s_ashr_i32 s11, s13, 31
	s_lshl_b32 s16, s14, 9
	s_lshl_b64 s[0:1], s[10:11], 2
	s_mov_b32 s11, exec_lo
	v_add_co_u32 v16, vcc_lo, v16, s0
	v_add_co_ci_u32_e32 v17, vcc_lo, s1, v17, vcc_lo
	flat_load_b32 v83, v[16:17]
	s_clause 0x1
	scratch_load_b32 v32, off, s32 offset:4
	scratch_load_b32 v33, off, s32
	s_waitcnt vmcnt(2) lgkmcnt(0)
	v_cmpx_lt_i32_e64 s16, v83
	s_cbranch_execz .LBB384_1464
; %bb.1:
	v_sub_nc_u32_e32 v16, 0, v12
	s_clause 0x1
	s_load_b32 s0, s[8:9], 0x10
	s_load_b32 s1, s[8:9], 0x0
	s_mov_b32 s6, s15
	v_mov_b32_e32 v100, 0
	v_max_i32_e32 v16, v12, v16
	s_delay_alu instid0(VALU_DEP_1) | instskip(SKIP_1) | instid1(VALU_DEP_2)
	v_cvt_f32_u32_e32 v17, v16
	v_sub_nc_u32_e32 v34, 0, v16
	v_rcp_iflag_f32_e32 v17, v17
	s_waitcnt lgkmcnt(0)
	s_lshr_b32 s0, s0, 16
	s_delay_alu instid0(SALU_CYCLE_1) | instskip(SKIP_3) | instid1(SALU_CYCLE_1)
	s_cmp_lg_u32 s0, 0
	s_waitcnt_depctr 0xfff
	v_mul_f32_e32 v17, 0x4f7ffffe, v17
	s_cselect_b32 s0, -1, 0
	s_cmp_lg_u32 s0, 0
	s_delay_alu instid0(VALU_DEP_1) | instskip(SKIP_3) | instid1(VALU_DEP_1)
	v_cvt_u32_f32_e32 v17, v17
	s_addc_u32 s15, s1, 0
	s_mov_b32 s1, exec_lo
	s_abs_i32 s0, s15
	v_mul_lo_u32 v34, v34, v17
	s_delay_alu instid0(VALU_DEP_1) | instskip(NEXT) | instid1(VALU_DEP_1)
	v_mul_hi_u32 v34, v17, v34
	v_add_nc_u32_e32 v17, v17, v34
	s_delay_alu instid0(VALU_DEP_1) | instskip(NEXT) | instid1(VALU_DEP_1)
	v_mul_hi_u32 v17, s0, v17
	v_mul_lo_u32 v34, v17, v16
	v_add_nc_u32_e32 v35, 1, v17
	s_delay_alu instid0(VALU_DEP_2) | instskip(SKIP_1) | instid1(VALU_DEP_1)
	v_sub_nc_u32_e32 v34, s0, v34
	s_abs_i32 s0, s12
	v_sub_nc_u32_e32 v36, v34, v16
	v_cmp_ge_u32_e32 vcc_lo, v34, v16
	s_delay_alu instid0(VALU_DEP_2) | instskip(SKIP_1) | instid1(VALU_DEP_2)
	v_dual_cndmask_b32 v17, v17, v35 :: v_dual_cndmask_b32 v34, v34, v36
	v_xor_b32_e32 v35, s15, v12
	v_add_nc_u32_e32 v36, 1, v17
	s_delay_alu instid0(VALU_DEP_3) | instskip(NEXT) | instid1(VALU_DEP_3)
	v_cmp_ge_u32_e32 vcc_lo, v34, v16
	v_ashrrev_i32_e32 v35, 31, v35
	s_delay_alu instid0(VALU_DEP_3) | instskip(NEXT) | instid1(VALU_DEP_1)
	v_cndmask_b32_e32 v16, v17, v36, vcc_lo
	v_xor_b32_e32 v16, v16, v35
	s_delay_alu instid0(VALU_DEP_1) | instskip(NEXT) | instid1(VALU_DEP_1)
	v_sub_nc_u32_e32 v35, v16, v35
	v_sub_nc_u32_e32 v16, 0, v35
	s_delay_alu instid0(VALU_DEP_1) | instskip(NEXT) | instid1(VALU_DEP_1)
	v_max_i32_e32 v34, v35, v16
	v_cvt_f32_u32_e32 v16, v34
	v_sub_nc_u32_e32 v17, 0, v34
	s_delay_alu instid0(VALU_DEP_2) | instskip(SKIP_2) | instid1(VALU_DEP_1)
	v_rcp_iflag_f32_e32 v16, v16
	s_waitcnt_depctr 0xfff
	v_mul_f32_e32 v16, 0x4f7ffffe, v16
	v_cvt_u32_f32_e32 v16, v16
	s_delay_alu instid0(VALU_DEP_1) | instskip(NEXT) | instid1(VALU_DEP_1)
	v_mul_lo_u32 v17, v17, v16
	v_mul_hi_u32 v17, v16, v17
	s_delay_alu instid0(VALU_DEP_1) | instskip(NEXT) | instid1(VALU_DEP_1)
	v_add_nc_u32_e32 v36, v16, v17
	v_mad_u64_u32 v[16:17], null, s0, v36, 0
	v_cmpx_ne_u64_e32 0, v[19:20]
	s_cbranch_execz .LBB384_3
; %bb.2:
	s_ashr_i32 s13, s12, 31
	s_delay_alu instid0(SALU_CYCLE_1) | instskip(NEXT) | instid1(SALU_CYCLE_1)
	s_lshl_b64 s[2:3], s[12:13], 2
	v_add_co_u32 v19, vcc_lo, v19, s2
	v_add_co_ci_u32_e32 v20, vcc_lo, s3, v20, vcc_lo
	flat_load_b32 v100, v[19:20]
.LBB384_3:
	s_or_b32 exec_lo, exec_lo, s1
	v_and_b32_e32 v39, 0x3ff, v31
	v_ashrrev_i32_e32 v19, 31, v35
	s_ashr_i32 s1, s12, 31
	s_mul_i32 s4, s12, 0xc0
	s_mov_b32 s2, exec_lo
	v_and_b32_e32 v16, 3, v39
	v_lshlrev_b32_e32 v82, 2, v39
	v_cmpx_gt_u32_e32 0x60, v39
	s_cbranch_execz .LBB384_5
; %bb.4:
	v_mul_lo_u32 v20, s10, v21
	s_ashr_i32 s5, s4, 31
	s_delay_alu instid0(SALU_CYCLE_1) | instskip(NEXT) | instid1(VALU_DEP_1)
	s_lshl_b64 s[18:19], s[4:5], 1
	v_ashrrev_i32_e32 v21, 31, v20
	s_delay_alu instid0(VALU_DEP_1) | instskip(NEXT) | instid1(VALU_DEP_1)
	v_lshlrev_b64 v[20:21], 1, v[20:21]
	v_add_co_u32 v6, vcc_lo, v6, v20
	s_delay_alu instid0(VALU_DEP_2) | instskip(NEXT) | instid1(VALU_DEP_2)
	v_add_co_ci_u32_e32 v7, vcc_lo, v7, v21, vcc_lo
	v_add_co_u32 v6, vcc_lo, v6, s18
	s_delay_alu instid0(VALU_DEP_2) | instskip(NEXT) | instid1(VALU_DEP_2)
	v_add_co_ci_u32_e32 v7, vcc_lo, s19, v7, vcc_lo
	v_add_co_u32 v6, vcc_lo, v6, v82
	s_delay_alu instid0(VALU_DEP_2) | instskip(SKIP_2) | instid1(VALU_DEP_1)
	v_add_co_ci_u32_e32 v7, vcc_lo, 0, v7, vcc_lo
	flat_load_b32 v6, v[6:7]
	v_and_b32_e32 v7, 0x3fc, v39
	v_mad_u32_u24 v7, 0x60, v16, v7
	s_waitcnt vmcnt(0) lgkmcnt(0)
	ds_store_b32 v7, v6
.LBB384_5:
	s_or_b32 exec_lo, exec_lo, s2
	s_waitcnt vmcnt(0)
	v_sub_nc_u32_e32 v6, 0, v33
	v_mul_lo_u32 v7, v17, v34
	v_xor_b32_e32 v19, s1, v19
	s_waitcnt lgkmcnt(0)
	s_waitcnt_vscnt null, 0x0
	s_barrier
	v_max_i32_e32 v84, v33, v6
	buffer_gl0_inv
	v_add_nc_u32_e32 v21, 1, v17
	v_sub_nc_u32_e32 v7, s0, v7
	v_cvt_f32_u32_e32 v6, v84
	v_sub_nc_u32_e32 v20, 0, v84
	s_mov_b32 s0, exec_lo
	s_delay_alu instid0(VALU_DEP_3) | instskip(NEXT) | instid1(VALU_DEP_3)
	v_sub_nc_u32_e32 v31, v7, v34
	v_rcp_iflag_f32_e32 v6, v6
	v_cmp_ge_u32_e32 vcc_lo, v7, v34
	s_delay_alu instid0(VALU_DEP_2)
	v_cndmask_b32_e32 v7, v7, v31, vcc_lo
	v_cndmask_b32_e32 v17, v17, v21, vcc_lo
	s_waitcnt_depctr 0xfff
	v_dual_mul_f32 v6, 0x4f7ffffe, v6 :: v_dual_add_nc_u32 v21, -1, v83
	v_cmp_ge_u32_e32 vcc_lo, v7, v34
	v_add_nc_u32_e32 v31, 1, v17
	s_delay_alu instid0(VALU_DEP_3) | instskip(NEXT) | instid1(VALU_DEP_4)
	v_sub_nc_u32_e32 v35, 0, v21
	v_cvt_u32_f32_e32 v6, v6
	s_delay_alu instid0(VALU_DEP_3) | instskip(NEXT) | instid1(VALU_DEP_3)
	v_cndmask_b32_e32 v7, v17, v31, vcc_lo
	v_max_i32_e32 v17, v21, v35
	s_delay_alu instid0(VALU_DEP_3) | instskip(NEXT) | instid1(VALU_DEP_1)
	v_mul_lo_u32 v20, v20, v6
	v_mul_hi_u32 v20, v6, v20
	s_delay_alu instid0(VALU_DEP_1) | instskip(SKIP_1) | instid1(VALU_DEP_2)
	v_add_nc_u32_e32 v85, v6, v20
	v_xor_b32_e32 v20, v7, v19
	v_mad_u64_u32 v[6:7], null, v17, v85, 0
	s_delay_alu instid0(VALU_DEP_2)
	v_sub_nc_u32_e32 v6, v20, v19
                                        ; implicit-def: $vgpr20
	v_cmpx_gt_i32_e32 0, v32
	s_xor_b32 s0, exec_lo, s0
; %bb.6:
	s_delay_alu instid0(VALU_DEP_2) | instskip(NEXT) | instid1(VALU_DEP_1)
	v_mad_u64_u32 v[19:20], null, v28, v12, v[6:7]
                                        ; implicit-def: $vgpr28
	v_mul_lo_u32 v12, v19, v32
                                        ; implicit-def: $vgpr32
	s_delay_alu instid0(VALU_DEP_1)
	v_sub_nc_u32_e32 v20, 1, v12
; %bb.7:
	s_or_saveexec_b32 s0, s0
	v_ashrrev_i32_e32 v12, 31, v21
	v_ashrrev_i32_e32 v86, 31, v33
	s_xor_b32 exec_lo, exec_lo, s0
; %bb.8:
	v_mad_u64_u32 v[19:20], null, s15, v28, s[12:13]
	s_delay_alu instid0(VALU_DEP_1)
	v_mad_u64_u32 v[20:21], null, v19, v32, 1
; %bb.9:
	s_or_b32 exec_lo, exec_lo, s0
	v_mul_lo_u32 v19, v7, v84
	v_dual_mov_b32 v102, 0xff7fffff :: v_dual_add_nc_u32 v21, 1, v7
	v_xor_b32_e32 v32, v12, v86
	s_clause 0x1
	s_load_b32 s17, s[8:9], 0x14
	s_load_b32 s5, s[8:9], 0x8
	v_mul_lo_u32 v97, v6, v23
	s_lshl_b32 s13, s14, 6
	v_sub_nc_u32_e32 v98, 0, v30
	v_sub_nc_u32_e32 v19, v17, v19
	v_mul_lo_u32 v17, s10, v18
	s_add_i32 s0, s13, 64
	v_mbcnt_lo_u32_b32 v101, -1, 0
	v_ashrrev_i32_e32 v99, 31, v97
	v_cmp_ge_u32_e32 vcc_lo, v19, v84
	v_add_nc_u32_e32 v28, 7, v83
	v_sub_nc_u32_e32 v31, v19, v84
	v_cndmask_b32_e32 v7, v7, v21, vcc_lo
	s_delay_alu instid0(VALU_DEP_3) | instskip(SKIP_1) | instid1(VALU_DEP_2)
	v_ashrrev_i32_e32 v18, 31, v28
	v_lshrrev_b32_e32 v21, 5, v39
	v_lshrrev_b32_e32 v12, 29, v18
	v_cndmask_b32_e32 v18, v19, v31, vcc_lo
	v_add_nc_u32_e32 v19, 1, v7
	s_delay_alu instid0(VALU_DEP_4) | instskip(SKIP_1) | instid1(VALU_DEP_4)
	v_or_b32_e32 v64, s13, v21
	v_lshl_add_u32 v23, v21, 3, s16
	v_cmp_ge_u32_e32 vcc_lo, v18, v84
	v_add_nc_u32_e32 v12, v28, v12
	v_ashrrev_i32_e32 v18, 31, v17
	v_ashrrev_i32_e32 v65, 31, v64
	v_cndmask_b32_e32 v7, v7, v19, vcc_lo
	s_delay_alu instid0(VALU_DEP_4) | instskip(NEXT) | instid1(VALU_DEP_4)
	v_ashrrev_i32_e32 v12, 3, v12
	v_lshlrev_b64 v[66:67], 2, v[17:18]
	s_delay_alu instid0(VALU_DEP_3) | instskip(NEXT) | instid1(VALU_DEP_3)
	v_xor_b32_e32 v6, v7, v32
	v_min_i32_e32 v87, s0, v12
	s_delay_alu instid0(VALU_DEP_2) | instskip(NEXT) | instid1(VALU_DEP_2)
	v_sub_nc_u32_e32 v6, v6, v32
	v_cmp_lt_i32_e64 s0, v64, v87
	s_delay_alu instid0(VALU_DEP_2) | instskip(NEXT) | instid1(VALU_DEP_2)
	v_sub_nc_u32_e32 v96, v6, v29
	s_and_saveexec_b32 s18, s0
	s_cbranch_execz .LBB384_595
; %bb.10:
	v_max_i32_e32 v103, v30, v98
	v_cmp_eq_u32_e32 vcc_lo, 0, v16
	v_dual_mov_b32 v116, 0xff7fffff :: v_dual_lshlrev_b32 v113, 1, v16
	v_mul_u32_u24_e32 v114, 0x60, v16
	s_delay_alu instid0(VALU_DEP_4)
	v_cvt_f32_u32_e32 v6, v103
	s_ashr_i32 s7, s6, 31
	s_getpc_b64 s[2:3]
	s_add_u32 s2, s2, llvm.amdgcn.dynlds.offset.table@rel32@lo+4
	s_addc_u32 s3, s3, llvm.amdgcn.dynlds.offset.table@rel32@hi+12
	s_lshl_b64 s[8:9], s[6:7], 2
	v_bfe_u32 v112, v39, 2, 3
	v_rcp_iflag_f32_e32 v17, v6
	v_mov_b32_e32 v29, 0
	s_add_u32 s8, s8, s2
	s_addc_u32 s9, s9, s3
	v_lshlrev_b64 v[6:7], 2, v[64:65]
	s_load_b32 s7, s[8:9], 0x0
	v_add_co_u32 v8, s1, v8, v97
	v_lshlrev_b32_e32 v18, 4, v112
	v_add_co_ci_u32_e64 v9, s1, v9, v99, s1
	s_waitcnt_depctr 0xfff
	v_mul_f32_e32 v16, 0x4f7ffffe, v17
	v_sub_nc_u32_e32 v17, 0, v103
	v_add_co_u32 v6, s2, v66, v6
	s_delay_alu instid0(VALU_DEP_1) | instskip(NEXT) | instid1(VALU_DEP_4)
	v_add_co_ci_u32_e64 v7, s2, v67, v7, s2
	v_cvt_u32_f32_e32 v16, v16
	v_dual_mov_b32 v102, 0xff7fffff :: v_dual_lshlrev_b32 v19, 2, v112
	v_sub_nc_u32_e32 v28, v112, v83
	v_add_co_u32 v68, s2, v8, v18
	s_delay_alu instid0(VALU_DEP_4)
	v_mul_lo_u32 v17, v17, v16
	v_add_co_ci_u32_e64 v69, s2, 0, v9, s2
	v_add_co_u32 v70, s2, v14, v6
	v_cmp_neq_f32_e64 s1, 0, v100
	v_lshl_add_u32 v115, v21, 3, s16
	v_lshl_or_b32 v117, v21, 5, v19
	v_mul_hi_u32 v17, v16, v17
	v_add_nc_u32_e32 v118, 1, v28
	v_add_co_ci_u32_e64 v71, s2, v15, v7, s2
	v_mov_b32_e32 v128, v64
	s_mov_b32 s19, 0
	s_delay_alu instid0(VALU_DEP_4)
	v_add_nc_u32_e32 v119, v16, v17
	s_branch .LBB384_13
.LBB384_11:                             ;   in Loop: Header=BB384_13 Depth=1
	s_or_b32 exec_lo, exec_lo, s20
.LBB384_12:                             ;   in Loop: Header=BB384_13 Depth=1
	s_delay_alu instid0(SALU_CYCLE_1) | instskip(SKIP_2) | instid1(VALU_DEP_1)
	s_or_b32 exec_lo, exec_lo, s3
	v_add_nc_u32_e32 v128, 4, v128
	v_add_co_u32 v70, s3, v70, 16
	v_add_co_ci_u32_e64 v71, s3, 0, v71, s3
	s_delay_alu instid0(VALU_DEP_3) | instskip(SKIP_2) | instid1(VALU_DEP_3)
	v_cmp_ge_i32_e64 s2, v128, v87
	v_add_nc_u32_e32 v115, 32, v115
	v_add_nc_u32_e32 v117, 0x80, v117
	s_or_b32 s19, s2, s19
	s_delay_alu instid0(SALU_CYCLE_1)
	s_and_not1_b32 exec_lo, exec_lo, s19
	s_cbranch_execz .LBB384_594
.LBB384_13:                             ; =>This Inner Loop Header: Depth=1
	v_sub_nc_u32_e32 v6, 0, v115
	s_delay_alu instid0(VALU_DEP_1) | instskip(SKIP_1) | instid1(VALU_DEP_1)
	v_max_i32_e32 v6, v115, v6
	s_waitcnt lgkmcnt(0)
	v_mul_hi_u32 v7, v6, v85
	s_delay_alu instid0(VALU_DEP_1) | instskip(NEXT) | instid1(VALU_DEP_1)
	v_mul_lo_u32 v8, v7, v84
	v_sub_nc_u32_e32 v6, v6, v8
	v_add_nc_u32_e32 v8, 1, v7
	s_delay_alu instid0(VALU_DEP_2) | instskip(SKIP_1) | instid1(VALU_DEP_1)
	v_sub_nc_u32_e32 v9, v6, v84
	v_cmp_ge_u32_e64 s2, v6, v84
	v_cndmask_b32_e64 v7, v7, v8, s2
	s_delay_alu instid0(VALU_DEP_3) | instskip(SKIP_1) | instid1(VALU_DEP_3)
	v_cndmask_b32_e64 v6, v6, v9, s2
	v_ashrrev_i32_e32 v8, 31, v115
	v_add_nc_u32_e32 v9, 1, v7
	s_delay_alu instid0(VALU_DEP_3) | instskip(NEXT) | instid1(VALU_DEP_3)
	v_cmp_ge_u32_e64 s2, v6, v84
	v_xor_b32_e32 v8, v8, v86
	s_delay_alu instid0(VALU_DEP_2) | instskip(NEXT) | instid1(VALU_DEP_1)
	v_cndmask_b32_e64 v6, v7, v9, s2
	v_xor_b32_e32 v6, v6, v8
	s_delay_alu instid0(VALU_DEP_1) | instskip(NEXT) | instid1(VALU_DEP_1)
	v_sub_nc_u32_e32 v6, v6, v8
	v_add_nc_u32_e32 v7, v6, v20
	v_cmp_le_i32_e64 s3, v6, v96
	s_delay_alu instid0(VALU_DEP_2) | instskip(NEXT) | instid1(VALU_DEP_1)
	v_sub_nc_u32_e32 v8, 0, v7
	v_max_i32_e32 v8, v7, v8
	v_ashrrev_i32_e32 v7, 31, v7
	s_delay_alu instid0(VALU_DEP_2) | instskip(NEXT) | instid1(VALU_DEP_1)
	v_mul_hi_u32 v9, v8, v119
	v_mul_lo_u32 v9, v9, v103
	s_delay_alu instid0(VALU_DEP_1) | instskip(NEXT) | instid1(VALU_DEP_1)
	v_sub_nc_u32_e32 v8, v8, v9
	v_sub_nc_u32_e32 v9, v8, v103
	v_cmp_ge_u32_e64 s2, v8, v103
	s_delay_alu instid0(VALU_DEP_1) | instskip(NEXT) | instid1(VALU_DEP_1)
	v_cndmask_b32_e64 v8, v8, v9, s2
	v_sub_nc_u32_e32 v9, v8, v103
	v_cmp_ge_u32_e64 s2, v8, v103
	s_delay_alu instid0(VALU_DEP_1) | instskip(NEXT) | instid1(VALU_DEP_1)
	v_cndmask_b32_e64 v8, v8, v9, s2
	v_xor_b32_e32 v8, v8, v7
	s_delay_alu instid0(VALU_DEP_1) | instskip(NEXT) | instid1(VALU_DEP_1)
	v_sub_nc_u32_e32 v7, v8, v7
	v_cmp_ne_u32_e64 s2, 0, v7
	s_delay_alu instid0(VALU_DEP_1) | instskip(NEXT) | instid1(SALU_CYCLE_1)
	s_and_b32 s2, s2, s3
	s_and_b32 s20, vcc_lo, s2
	s_delay_alu instid0(SALU_CYCLE_1)
	s_and_saveexec_b32 s3, s20
	s_cbranch_execz .LBB384_15
; %bb.14:                               ;   in Loop: Header=BB384_13 Depth=1
	s_waitcnt lgkmcnt(0)
	v_add_nc_u32_e32 v6, s7, v117
	ds_store_b32 v6, v116
.LBB384_15:                             ;   in Loop: Header=BB384_13 Depth=1
	s_or_b32 exec_lo, exec_lo, s3
	s_xor_b32 s2, s2, -1
	s_delay_alu instid0(SALU_CYCLE_1)
	s_and_saveexec_b32 s3, s2
	s_cbranch_execz .LBB384_12
; %bb.16:                               ;   in Loop: Header=BB384_13 Depth=1
	flat_load_b32 v8, v[70:71]
	s_mov_b32 s20, exec_lo
	s_waitcnt vmcnt(0) lgkmcnt(0)
	v_mad_i64_i32 v[6:7], null, v8, v22, v[68:69]
	s_delay_alu instid0(VALU_DEP_1) | instskip(NEXT) | instid1(VALU_DEP_1)
	v_add_co_u32 v80, s2, v6, v113
	v_add_co_ci_u32_e64 v81, s2, 0, v7, s2
	flat_load_u16 v28, v[80:81]
	flat_load_b32 v130, v[24:25]
	ds_load_b128 v[52:55], v114
	ds_load_b128 v[48:51], v114 offset:16
	ds_load_b128 v[35:38], v114 offset:32
	;; [unrolled: 1-line block ×5, first 2 shown]
	s_waitcnt vmcnt(1) lgkmcnt(7)
	v_and_b32_e32 v129, 0xff, v28
	v_dual_mov_b32 v28, 0 :: v_dual_and_b32 v131, 0xffff, v28
	s_delay_alu instid0(VALU_DEP_2)
	v_cmpx_ne_u16_e64 0, v129
	s_cbranch_execz .LBB384_24
; %bb.17:                               ;   in Loop: Header=BB384_13 Depth=1
	s_delay_alu instid0(VALU_DEP_2) | instskip(NEXT) | instid1(VALU_DEP_1)
	v_and_b32_e32 v28, 0xff, v131
	v_cmp_ne_u16_e64 s2, 0x80, v28
	v_bfrev_b32_e32 v28, 1
	s_delay_alu instid0(VALU_DEP_2)
	s_and_saveexec_b32 s21, s2
	s_cbranch_execz .LBB384_23
; %bb.18:                               ;   in Loop: Header=BB384_13 Depth=1
	v_and_b32_e32 v132, 0x7f, v131
	v_mov_b32_e32 v28, 0x7f800001
	s_mov_b32 s22, exec_lo
	s_delay_alu instid0(VALU_DEP_2)
	v_cmpx_ne_u32_e32 0x7f, v132
	s_cbranch_execz .LBB384_22
; %bb.19:                               ;   in Loop: Header=BB384_13 Depth=1
	v_and_b32_e32 v28, 7, v131
	v_lshrrev_b32_e32 v129, 3, v132
	s_mov_b32 s23, exec_lo
	v_cmpx_gt_u32_e32 8, v132
; %bb.20:                               ;   in Loop: Header=BB384_13 Depth=1
	s_delay_alu instid0(VALU_DEP_3) | instskip(NEXT) | instid1(VALU_DEP_1)
	v_clz_i32_u32_e32 v129, v28
	v_min_u32_e32 v129, 32, v129
	s_delay_alu instid0(VALU_DEP_1) | instskip(SKIP_1) | instid1(VALU_DEP_2)
	v_subrev_nc_u32_e32 v132, 28, v129
	v_sub_nc_u32_e32 v129, 29, v129
	v_lshlrev_b64 v[132:133], v132, v[28:29]
	s_delay_alu instid0(VALU_DEP_1)
	v_and_b32_e32 v28, 7, v132
; %bb.21:                               ;   in Loop: Header=BB384_13 Depth=1
	s_or_b32 exec_lo, exec_lo, s23
	v_lshlrev_b32_e32 v132, 24, v131
	s_delay_alu instid0(VALU_DEP_2) | instskip(SKIP_1) | instid1(VALU_DEP_3)
	v_lshlrev_b32_e32 v28, 20, v28
	v_lshl_add_u32 v129, v129, 23, 0x3c000000
	v_and_b32_e32 v132, 0x80000000, v132
	s_delay_alu instid0(VALU_DEP_1)
	v_or3_b32 v28, v28, v132, v129
.LBB384_22:                             ;   in Loop: Header=BB384_13 Depth=1
	s_or_b32 exec_lo, exec_lo, s22
.LBB384_23:                             ;   in Loop: Header=BB384_13 Depth=1
	s_delay_alu instid0(SALU_CYCLE_1)
	s_or_b32 exec_lo, exec_lo, s21
.LBB384_24:                             ;   in Loop: Header=BB384_13 Depth=1
	s_delay_alu instid0(SALU_CYCLE_1) | instskip(SKIP_2) | instid1(VALU_DEP_1)
	s_or_b32 exec_lo, exec_lo, s20
	s_waitcnt vmcnt(0) lgkmcnt(6)
	v_mul_f32_e32 v28, v130, v28
	v_and_b32_e32 v129, 0x7f800000, v28
	s_delay_alu instid0(VALU_DEP_1) | instskip(NEXT) | instid1(VALU_DEP_1)
	v_cmp_ne_u32_e64 s2, 0x7f800000, v129
                                        ; implicit-def: $vgpr129
	s_and_saveexec_b32 s20, s2
	s_delay_alu instid0(SALU_CYCLE_1)
	s_xor_b32 s2, exec_lo, s20
; %bb.25:                               ;   in Loop: Header=BB384_13 Depth=1
	v_bfe_u32 v129, v28, 16, 1
	s_delay_alu instid0(VALU_DEP_1)
	v_add3_u32 v129, v28, v129, 0x7fff
                                        ; implicit-def: $vgpr28
; %bb.26:                               ;   in Loop: Header=BB384_13 Depth=1
	s_and_not1_saveexec_b32 s20, s2
; %bb.27:                               ;   in Loop: Header=BB384_13 Depth=1
	v_and_b32_e32 v129, 0xffff, v28
	v_or_b32_e32 v132, 0x10000, v28
	s_delay_alu instid0(VALU_DEP_2) | instskip(NEXT) | instid1(VALU_DEP_1)
	v_cmp_eq_u32_e64 s2, 0, v129
	v_cndmask_b32_e64 v129, v132, v28, s2
; %bb.28:                               ;   in Loop: Header=BB384_13 Depth=1
	s_or_b32 exec_lo, exec_lo, s20
	v_lshrrev_b16 v132, 8, v131
	v_mov_b32_e32 v28, 0
	s_mov_b32 s20, exec_lo
	s_delay_alu instid0(VALU_DEP_2)
	v_cmpx_ne_u16_e64 0, v132
	s_cbranch_execz .LBB384_36
; %bb.29:                               ;   in Loop: Header=BB384_13 Depth=1
	v_bfrev_b32_e32 v28, 1
	s_mov_b32 s21, exec_lo
	v_cmpx_ne_u16_e64 0x80, v132
	s_cbranch_execz .LBB384_35
; %bb.30:                               ;   in Loop: Header=BB384_13 Depth=1
	v_and_b32_e32 v132, 0xffff, v132
	v_mov_b32_e32 v28, 0x7f800001
	s_mov_b32 s22, exec_lo
	s_delay_alu instid0(VALU_DEP_2) | instskip(NEXT) | instid1(VALU_DEP_1)
	v_and_b32_e32 v133, 0x7f, v132
	v_cmpx_ne_u32_e32 0x7f, v133
	s_cbranch_execz .LBB384_34
; %bb.31:                               ;   in Loop: Header=BB384_13 Depth=1
	v_and_b32_e32 v28, 7, v132
	v_lshrrev_b32_e32 v132, 3, v133
	s_mov_b32 s23, exec_lo
	v_cmpx_gt_u32_e32 8, v133
; %bb.32:                               ;   in Loop: Header=BB384_13 Depth=1
	s_delay_alu instid0(VALU_DEP_3) | instskip(NEXT) | instid1(VALU_DEP_1)
	v_clz_i32_u32_e32 v132, v28
	v_min_u32_e32 v132, 32, v132
	s_delay_alu instid0(VALU_DEP_1) | instskip(SKIP_1) | instid1(VALU_DEP_2)
	v_subrev_nc_u32_e32 v133, 28, v132
	v_sub_nc_u32_e32 v132, 29, v132
	v_lshlrev_b64 v[133:134], v133, v[28:29]
	s_delay_alu instid0(VALU_DEP_1)
	v_and_b32_e32 v28, 7, v133
; %bb.33:                               ;   in Loop: Header=BB384_13 Depth=1
	s_or_b32 exec_lo, exec_lo, s23
	v_lshlrev_b32_e32 v131, 16, v131
	s_delay_alu instid0(VALU_DEP_2) | instskip(SKIP_1) | instid1(VALU_DEP_3)
	v_lshlrev_b32_e32 v28, 20, v28
	v_lshl_add_u32 v132, v132, 23, 0x3c000000
	v_and_b32_e32 v131, 0x80000000, v131
	s_delay_alu instid0(VALU_DEP_1)
	v_or3_b32 v28, v28, v131, v132
.LBB384_34:                             ;   in Loop: Header=BB384_13 Depth=1
	s_or_b32 exec_lo, exec_lo, s22
.LBB384_35:                             ;   in Loop: Header=BB384_13 Depth=1
	s_delay_alu instid0(SALU_CYCLE_1)
	s_or_b32 exec_lo, exec_lo, s21
.LBB384_36:                             ;   in Loop: Header=BB384_13 Depth=1
	s_delay_alu instid0(SALU_CYCLE_1) | instskip(NEXT) | instid1(VALU_DEP_1)
	s_or_b32 exec_lo, exec_lo, s20
	v_mul_f32_e32 v28, v130, v28
	s_delay_alu instid0(VALU_DEP_1) | instskip(NEXT) | instid1(VALU_DEP_1)
	v_and_b32_e32 v131, 0x7f800000, v28
	v_cmp_ne_u32_e64 s2, 0x7f800000, v131
                                        ; implicit-def: $vgpr131
	s_delay_alu instid0(VALU_DEP_1) | instskip(NEXT) | instid1(SALU_CYCLE_1)
	s_and_saveexec_b32 s20, s2
	s_xor_b32 s2, exec_lo, s20
; %bb.37:                               ;   in Loop: Header=BB384_13 Depth=1
	v_bfe_u32 v131, v28, 16, 1
	s_delay_alu instid0(VALU_DEP_1)
	v_add3_u32 v131, v28, v131, 0x7fff
                                        ; implicit-def: $vgpr28
; %bb.38:                               ;   in Loop: Header=BB384_13 Depth=1
	s_and_not1_saveexec_b32 s20, s2
; %bb.39:                               ;   in Loop: Header=BB384_13 Depth=1
	v_and_b32_e32 v131, 0xffff, v28
	v_or_b32_e32 v132, 0x10000, v28
	s_delay_alu instid0(VALU_DEP_2) | instskip(NEXT) | instid1(VALU_DEP_1)
	v_cmp_eq_u32_e64 s2, 0, v131
	v_cndmask_b32_e64 v131, v132, v28, s2
; %bb.40:                               ;   in Loop: Header=BB384_13 Depth=1
	s_or_b32 exec_lo, exec_lo, s20
	flat_load_u16 v28, v[80:81] offset:8
	s_mov_b32 s20, exec_lo
	s_waitcnt vmcnt(0) lgkmcnt(0)
	v_and_b32_e32 v132, 0xff, v28
	v_dual_mov_b32 v28, 0 :: v_dual_and_b32 v133, 0xffff, v28
	s_delay_alu instid0(VALU_DEP_2)
	v_cmpx_ne_u16_e64 0, v132
	s_cbranch_execz .LBB384_48
; %bb.41:                               ;   in Loop: Header=BB384_13 Depth=1
	s_delay_alu instid0(VALU_DEP_2) | instskip(NEXT) | instid1(VALU_DEP_1)
	v_and_b32_e32 v28, 0xff, v133
	v_cmp_ne_u16_e64 s2, 0x80, v28
	v_bfrev_b32_e32 v28, 1
	s_delay_alu instid0(VALU_DEP_2)
	s_and_saveexec_b32 s21, s2
	s_cbranch_execz .LBB384_47
; %bb.42:                               ;   in Loop: Header=BB384_13 Depth=1
	v_and_b32_e32 v134, 0x7f, v133
	v_mov_b32_e32 v28, 0x7f800001
	s_mov_b32 s22, exec_lo
	s_delay_alu instid0(VALU_DEP_2)
	v_cmpx_ne_u32_e32 0x7f, v134
	s_cbranch_execz .LBB384_46
; %bb.43:                               ;   in Loop: Header=BB384_13 Depth=1
	v_and_b32_e32 v28, 7, v133
	v_lshrrev_b32_e32 v132, 3, v134
	s_mov_b32 s23, exec_lo
	v_cmpx_gt_u32_e32 8, v134
; %bb.44:                               ;   in Loop: Header=BB384_13 Depth=1
	s_delay_alu instid0(VALU_DEP_3) | instskip(NEXT) | instid1(VALU_DEP_1)
	v_clz_i32_u32_e32 v132, v28
	v_min_u32_e32 v132, 32, v132
	s_delay_alu instid0(VALU_DEP_1) | instskip(SKIP_1) | instid1(VALU_DEP_2)
	v_subrev_nc_u32_e32 v134, 28, v132
	v_sub_nc_u32_e32 v132, 29, v132
	v_lshlrev_b64 v[134:135], v134, v[28:29]
	s_delay_alu instid0(VALU_DEP_1)
	v_and_b32_e32 v28, 7, v134
; %bb.45:                               ;   in Loop: Header=BB384_13 Depth=1
	s_or_b32 exec_lo, exec_lo, s23
	v_lshlrev_b32_e32 v134, 24, v133
	s_delay_alu instid0(VALU_DEP_2) | instskip(SKIP_1) | instid1(VALU_DEP_3)
	v_lshlrev_b32_e32 v28, 20, v28
	v_lshl_add_u32 v132, v132, 23, 0x3c000000
	v_and_b32_e32 v134, 0x80000000, v134
	s_delay_alu instid0(VALU_DEP_1)
	v_or3_b32 v28, v28, v134, v132
.LBB384_46:                             ;   in Loop: Header=BB384_13 Depth=1
	s_or_b32 exec_lo, exec_lo, s22
.LBB384_47:                             ;   in Loop: Header=BB384_13 Depth=1
	s_delay_alu instid0(SALU_CYCLE_1)
	s_or_b32 exec_lo, exec_lo, s21
.LBB384_48:                             ;   in Loop: Header=BB384_13 Depth=1
	s_delay_alu instid0(SALU_CYCLE_1) | instskip(NEXT) | instid1(VALU_DEP_1)
	s_or_b32 exec_lo, exec_lo, s20
	v_mul_f32_e32 v28, v130, v28
	s_delay_alu instid0(VALU_DEP_1) | instskip(NEXT) | instid1(VALU_DEP_1)
	v_and_b32_e32 v132, 0x7f800000, v28
	v_cmp_ne_u32_e64 s2, 0x7f800000, v132
                                        ; implicit-def: $vgpr132
	s_delay_alu instid0(VALU_DEP_1) | instskip(NEXT) | instid1(SALU_CYCLE_1)
	s_and_saveexec_b32 s20, s2
	s_xor_b32 s2, exec_lo, s20
; %bb.49:                               ;   in Loop: Header=BB384_13 Depth=1
	v_bfe_u32 v132, v28, 16, 1
	s_delay_alu instid0(VALU_DEP_1)
	v_add3_u32 v132, v28, v132, 0x7fff
                                        ; implicit-def: $vgpr28
; %bb.50:                               ;   in Loop: Header=BB384_13 Depth=1
	s_and_not1_saveexec_b32 s20, s2
; %bb.51:                               ;   in Loop: Header=BB384_13 Depth=1
	v_and_b32_e32 v132, 0xffff, v28
	v_or_b32_e32 v134, 0x10000, v28
	s_delay_alu instid0(VALU_DEP_2) | instskip(NEXT) | instid1(VALU_DEP_1)
	v_cmp_eq_u32_e64 s2, 0, v132
	v_cndmask_b32_e64 v132, v134, v28, s2
; %bb.52:                               ;   in Loop: Header=BB384_13 Depth=1
	s_or_b32 exec_lo, exec_lo, s20
	v_lshrrev_b16 v134, 8, v133
	v_mov_b32_e32 v28, 0
	s_mov_b32 s20, exec_lo
	s_delay_alu instid0(VALU_DEP_2)
	v_cmpx_ne_u16_e64 0, v134
	s_cbranch_execz .LBB384_60
; %bb.53:                               ;   in Loop: Header=BB384_13 Depth=1
	v_bfrev_b32_e32 v28, 1
	s_mov_b32 s21, exec_lo
	v_cmpx_ne_u16_e64 0x80, v134
	s_cbranch_execz .LBB384_59
; %bb.54:                               ;   in Loop: Header=BB384_13 Depth=1
	v_and_b32_e32 v134, 0xffff, v134
	v_mov_b32_e32 v28, 0x7f800001
	s_mov_b32 s22, exec_lo
	s_delay_alu instid0(VALU_DEP_2) | instskip(NEXT) | instid1(VALU_DEP_1)
	v_and_b32_e32 v135, 0x7f, v134
	v_cmpx_ne_u32_e32 0x7f, v135
	s_cbranch_execz .LBB384_58
; %bb.55:                               ;   in Loop: Header=BB384_13 Depth=1
	v_and_b32_e32 v28, 7, v134
	v_lshrrev_b32_e32 v134, 3, v135
	s_mov_b32 s23, exec_lo
	v_cmpx_gt_u32_e32 8, v135
; %bb.56:                               ;   in Loop: Header=BB384_13 Depth=1
	s_delay_alu instid0(VALU_DEP_3) | instskip(NEXT) | instid1(VALU_DEP_1)
	v_clz_i32_u32_e32 v134, v28
	v_min_u32_e32 v134, 32, v134
	s_delay_alu instid0(VALU_DEP_1) | instskip(SKIP_1) | instid1(VALU_DEP_2)
	v_subrev_nc_u32_e32 v135, 28, v134
	v_sub_nc_u32_e32 v134, 29, v134
	v_lshlrev_b64 v[144:145], v135, v[28:29]
	s_delay_alu instid0(VALU_DEP_1)
	v_and_b32_e32 v28, 7, v144
; %bb.57:                               ;   in Loop: Header=BB384_13 Depth=1
	s_or_b32 exec_lo, exec_lo, s23
	v_lshlrev_b32_e32 v133, 16, v133
	s_delay_alu instid0(VALU_DEP_2) | instskip(SKIP_1) | instid1(VALU_DEP_3)
	v_lshlrev_b32_e32 v28, 20, v28
	v_lshl_add_u32 v134, v134, 23, 0x3c000000
	v_and_b32_e32 v133, 0x80000000, v133
	s_delay_alu instid0(VALU_DEP_1)
	v_or3_b32 v28, v28, v133, v134
.LBB384_58:                             ;   in Loop: Header=BB384_13 Depth=1
	s_or_b32 exec_lo, exec_lo, s22
.LBB384_59:                             ;   in Loop: Header=BB384_13 Depth=1
	s_delay_alu instid0(SALU_CYCLE_1)
	s_or_b32 exec_lo, exec_lo, s21
.LBB384_60:                             ;   in Loop: Header=BB384_13 Depth=1
	s_delay_alu instid0(SALU_CYCLE_1) | instskip(NEXT) | instid1(VALU_DEP_1)
	s_or_b32 exec_lo, exec_lo, s20
	v_mul_f32_e32 v28, v130, v28
	s_delay_alu instid0(VALU_DEP_1) | instskip(NEXT) | instid1(VALU_DEP_1)
	v_and_b32_e32 v133, 0x7f800000, v28
	v_cmp_ne_u32_e64 s2, 0x7f800000, v133
                                        ; implicit-def: $vgpr133
	s_delay_alu instid0(VALU_DEP_1) | instskip(NEXT) | instid1(SALU_CYCLE_1)
	s_and_saveexec_b32 s20, s2
	s_xor_b32 s2, exec_lo, s20
; %bb.61:                               ;   in Loop: Header=BB384_13 Depth=1
	v_bfe_u32 v133, v28, 16, 1
	s_delay_alu instid0(VALU_DEP_1)
	v_add3_u32 v133, v28, v133, 0x7fff
                                        ; implicit-def: $vgpr28
; %bb.62:                               ;   in Loop: Header=BB384_13 Depth=1
	s_and_not1_saveexec_b32 s20, s2
; %bb.63:                               ;   in Loop: Header=BB384_13 Depth=1
	v_and_b32_e32 v133, 0xffff, v28
	v_or_b32_e32 v134, 0x10000, v28
	s_delay_alu instid0(VALU_DEP_2) | instskip(NEXT) | instid1(VALU_DEP_1)
	v_cmp_eq_u32_e64 s2, 0, v133
	v_cndmask_b32_e64 v133, v134, v28, s2
; %bb.64:                               ;   in Loop: Header=BB384_13 Depth=1
	s_or_b32 exec_lo, exec_lo, s20
	flat_load_u16 v28, v[80:81] offset:128
	s_mov_b32 s20, exec_lo
	s_waitcnt vmcnt(0) lgkmcnt(0)
	v_and_b32_e32 v134, 0xff, v28
	v_dual_mov_b32 v28, 0 :: v_dual_and_b32 v135, 0xffff, v28
	s_delay_alu instid0(VALU_DEP_2)
	v_cmpx_ne_u16_e64 0, v134
	s_cbranch_execz .LBB384_72
; %bb.65:                               ;   in Loop: Header=BB384_13 Depth=1
	s_delay_alu instid0(VALU_DEP_2) | instskip(NEXT) | instid1(VALU_DEP_1)
	v_and_b32_e32 v28, 0xff, v135
	v_cmp_ne_u16_e64 s2, 0x80, v28
	v_bfrev_b32_e32 v28, 1
	s_delay_alu instid0(VALU_DEP_2)
	s_and_saveexec_b32 s21, s2
	s_cbranch_execz .LBB384_71
; %bb.66:                               ;   in Loop: Header=BB384_13 Depth=1
	v_and_b32_e32 v144, 0x7f, v135
	v_mov_b32_e32 v28, 0x7f800001
	s_mov_b32 s22, exec_lo
	s_delay_alu instid0(VALU_DEP_2)
	v_cmpx_ne_u32_e32 0x7f, v144
	s_cbranch_execz .LBB384_70
; %bb.67:                               ;   in Loop: Header=BB384_13 Depth=1
	v_and_b32_e32 v28, 7, v135
	v_lshrrev_b32_e32 v134, 3, v144
	s_mov_b32 s23, exec_lo
	v_cmpx_gt_u32_e32 8, v144
; %bb.68:                               ;   in Loop: Header=BB384_13 Depth=1
	s_delay_alu instid0(VALU_DEP_3) | instskip(NEXT) | instid1(VALU_DEP_1)
	v_clz_i32_u32_e32 v134, v28
	v_min_u32_e32 v134, 32, v134
	s_delay_alu instid0(VALU_DEP_1) | instskip(SKIP_1) | instid1(VALU_DEP_2)
	v_subrev_nc_u32_e32 v144, 28, v134
	v_sub_nc_u32_e32 v134, 29, v134
	v_lshlrev_b64 v[144:145], v144, v[28:29]
	s_delay_alu instid0(VALU_DEP_1)
	v_and_b32_e32 v28, 7, v144
; %bb.69:                               ;   in Loop: Header=BB384_13 Depth=1
	s_or_b32 exec_lo, exec_lo, s23
	v_lshlrev_b32_e32 v144, 24, v135
	s_delay_alu instid0(VALU_DEP_2) | instskip(SKIP_1) | instid1(VALU_DEP_3)
	v_lshlrev_b32_e32 v28, 20, v28
	v_lshl_add_u32 v134, v134, 23, 0x3c000000
	v_and_b32_e32 v144, 0x80000000, v144
	s_delay_alu instid0(VALU_DEP_1)
	v_or3_b32 v28, v28, v144, v134
.LBB384_70:                             ;   in Loop: Header=BB384_13 Depth=1
	s_or_b32 exec_lo, exec_lo, s22
.LBB384_71:                             ;   in Loop: Header=BB384_13 Depth=1
	s_delay_alu instid0(SALU_CYCLE_1)
	s_or_b32 exec_lo, exec_lo, s21
.LBB384_72:                             ;   in Loop: Header=BB384_13 Depth=1
	s_delay_alu instid0(SALU_CYCLE_1) | instskip(NEXT) | instid1(VALU_DEP_1)
	s_or_b32 exec_lo, exec_lo, s20
	v_mul_f32_e32 v28, v130, v28
	s_delay_alu instid0(VALU_DEP_1) | instskip(NEXT) | instid1(VALU_DEP_1)
	v_and_b32_e32 v134, 0x7f800000, v28
	v_cmp_ne_u32_e64 s2, 0x7f800000, v134
                                        ; implicit-def: $vgpr134
	s_delay_alu instid0(VALU_DEP_1) | instskip(NEXT) | instid1(SALU_CYCLE_1)
	s_and_saveexec_b32 s20, s2
	s_xor_b32 s2, exec_lo, s20
; %bb.73:                               ;   in Loop: Header=BB384_13 Depth=1
	v_bfe_u32 v134, v28, 16, 1
	s_delay_alu instid0(VALU_DEP_1)
	v_add3_u32 v134, v28, v134, 0x7fff
                                        ; implicit-def: $vgpr28
; %bb.74:                               ;   in Loop: Header=BB384_13 Depth=1
	s_and_not1_saveexec_b32 s20, s2
; %bb.75:                               ;   in Loop: Header=BB384_13 Depth=1
	v_and_b32_e32 v134, 0xffff, v28
	v_or_b32_e32 v144, 0x10000, v28
	s_delay_alu instid0(VALU_DEP_2) | instskip(NEXT) | instid1(VALU_DEP_1)
	v_cmp_eq_u32_e64 s2, 0, v134
	v_cndmask_b32_e64 v134, v144, v28, s2
; %bb.76:                               ;   in Loop: Header=BB384_13 Depth=1
	s_or_b32 exec_lo, exec_lo, s20
	v_lshrrev_b16 v144, 8, v135
	v_mov_b32_e32 v28, 0
	s_mov_b32 s20, exec_lo
	s_delay_alu instid0(VALU_DEP_2)
	v_cmpx_ne_u16_e64 0, v144
	s_cbranch_execz .LBB384_84
; %bb.77:                               ;   in Loop: Header=BB384_13 Depth=1
	v_bfrev_b32_e32 v28, 1
	s_mov_b32 s21, exec_lo
	v_cmpx_ne_u16_e64 0x80, v144
	s_cbranch_execz .LBB384_83
; %bb.78:                               ;   in Loop: Header=BB384_13 Depth=1
	v_and_b32_e32 v144, 0xffff, v144
	v_mov_b32_e32 v28, 0x7f800001
	s_mov_b32 s22, exec_lo
	s_delay_alu instid0(VALU_DEP_2) | instskip(NEXT) | instid1(VALU_DEP_1)
	v_and_b32_e32 v145, 0x7f, v144
	v_cmpx_ne_u32_e32 0x7f, v145
	s_cbranch_execz .LBB384_82
; %bb.79:                               ;   in Loop: Header=BB384_13 Depth=1
	v_and_b32_e32 v28, 7, v144
	v_lshrrev_b32_e32 v144, 3, v145
	s_mov_b32 s23, exec_lo
	v_cmpx_gt_u32_e32 8, v145
; %bb.80:                               ;   in Loop: Header=BB384_13 Depth=1
	s_delay_alu instid0(VALU_DEP_3) | instskip(NEXT) | instid1(VALU_DEP_1)
	v_clz_i32_u32_e32 v144, v28
	v_min_u32_e32 v144, 32, v144
	s_delay_alu instid0(VALU_DEP_1) | instskip(SKIP_1) | instid1(VALU_DEP_2)
	v_subrev_nc_u32_e32 v145, 28, v144
	v_sub_nc_u32_e32 v144, 29, v144
	v_lshlrev_b64 v[145:146], v145, v[28:29]
	s_delay_alu instid0(VALU_DEP_1)
	v_and_b32_e32 v28, 7, v145
; %bb.81:                               ;   in Loop: Header=BB384_13 Depth=1
	s_or_b32 exec_lo, exec_lo, s23
	v_lshlrev_b32_e32 v135, 16, v135
	s_delay_alu instid0(VALU_DEP_2) | instskip(SKIP_1) | instid1(VALU_DEP_3)
	v_lshlrev_b32_e32 v28, 20, v28
	v_lshl_add_u32 v144, v144, 23, 0x3c000000
	v_and_b32_e32 v135, 0x80000000, v135
	s_delay_alu instid0(VALU_DEP_1)
	v_or3_b32 v28, v28, v135, v144
.LBB384_82:                             ;   in Loop: Header=BB384_13 Depth=1
	s_or_b32 exec_lo, exec_lo, s22
.LBB384_83:                             ;   in Loop: Header=BB384_13 Depth=1
	s_delay_alu instid0(SALU_CYCLE_1)
	s_or_b32 exec_lo, exec_lo, s21
.LBB384_84:                             ;   in Loop: Header=BB384_13 Depth=1
	s_delay_alu instid0(SALU_CYCLE_1) | instskip(NEXT) | instid1(VALU_DEP_1)
	s_or_b32 exec_lo, exec_lo, s20
	v_mul_f32_e32 v28, v130, v28
	s_delay_alu instid0(VALU_DEP_1) | instskip(NEXT) | instid1(VALU_DEP_1)
	v_and_b32_e32 v135, 0x7f800000, v28
	v_cmp_ne_u32_e64 s2, 0x7f800000, v135
                                        ; implicit-def: $vgpr135
	s_delay_alu instid0(VALU_DEP_1) | instskip(NEXT) | instid1(SALU_CYCLE_1)
	s_and_saveexec_b32 s20, s2
	s_xor_b32 s2, exec_lo, s20
; %bb.85:                               ;   in Loop: Header=BB384_13 Depth=1
	v_bfe_u32 v135, v28, 16, 1
	s_delay_alu instid0(VALU_DEP_1)
	v_add3_u32 v135, v28, v135, 0x7fff
                                        ; implicit-def: $vgpr28
; %bb.86:                               ;   in Loop: Header=BB384_13 Depth=1
	s_and_not1_saveexec_b32 s20, s2
; %bb.87:                               ;   in Loop: Header=BB384_13 Depth=1
	v_and_b32_e32 v135, 0xffff, v28
	v_or_b32_e32 v144, 0x10000, v28
	s_delay_alu instid0(VALU_DEP_2) | instskip(NEXT) | instid1(VALU_DEP_1)
	v_cmp_eq_u32_e64 s2, 0, v135
	v_cndmask_b32_e64 v135, v144, v28, s2
; %bb.88:                               ;   in Loop: Header=BB384_13 Depth=1
	s_or_b32 exec_lo, exec_lo, s20
	flat_load_u16 v28, v[80:81] offset:136
	s_mov_b32 s20, exec_lo
	s_waitcnt vmcnt(0) lgkmcnt(0)
	v_and_b32_e32 v144, 0xff, v28
	v_dual_mov_b32 v28, 0 :: v_dual_and_b32 v145, 0xffff, v28
	s_delay_alu instid0(VALU_DEP_2)
	v_cmpx_ne_u16_e64 0, v144
	s_cbranch_execz .LBB384_96
; %bb.89:                               ;   in Loop: Header=BB384_13 Depth=1
	s_delay_alu instid0(VALU_DEP_2) | instskip(NEXT) | instid1(VALU_DEP_1)
	v_and_b32_e32 v28, 0xff, v145
	v_cmp_ne_u16_e64 s2, 0x80, v28
	v_bfrev_b32_e32 v28, 1
	s_delay_alu instid0(VALU_DEP_2)
	s_and_saveexec_b32 s21, s2
	s_cbranch_execz .LBB384_95
; %bb.90:                               ;   in Loop: Header=BB384_13 Depth=1
	v_and_b32_e32 v146, 0x7f, v145
	v_mov_b32_e32 v28, 0x7f800001
	s_mov_b32 s22, exec_lo
	s_delay_alu instid0(VALU_DEP_2)
	v_cmpx_ne_u32_e32 0x7f, v146
	s_cbranch_execz .LBB384_94
; %bb.91:                               ;   in Loop: Header=BB384_13 Depth=1
	v_and_b32_e32 v28, 7, v145
	v_lshrrev_b32_e32 v144, 3, v146
	s_mov_b32 s23, exec_lo
	v_cmpx_gt_u32_e32 8, v146
; %bb.92:                               ;   in Loop: Header=BB384_13 Depth=1
	s_delay_alu instid0(VALU_DEP_3) | instskip(NEXT) | instid1(VALU_DEP_1)
	v_clz_i32_u32_e32 v144, v28
	v_min_u32_e32 v144, 32, v144
	s_delay_alu instid0(VALU_DEP_1) | instskip(SKIP_1) | instid1(VALU_DEP_2)
	v_subrev_nc_u32_e32 v146, 28, v144
	v_sub_nc_u32_e32 v144, 29, v144
	v_lshlrev_b64 v[146:147], v146, v[28:29]
	s_delay_alu instid0(VALU_DEP_1)
	v_and_b32_e32 v28, 7, v146
; %bb.93:                               ;   in Loop: Header=BB384_13 Depth=1
	s_or_b32 exec_lo, exec_lo, s23
	v_lshlrev_b32_e32 v146, 24, v145
	s_delay_alu instid0(VALU_DEP_2) | instskip(SKIP_1) | instid1(VALU_DEP_3)
	v_lshlrev_b32_e32 v28, 20, v28
	v_lshl_add_u32 v144, v144, 23, 0x3c000000
	v_and_b32_e32 v146, 0x80000000, v146
	s_delay_alu instid0(VALU_DEP_1)
	v_or3_b32 v28, v28, v146, v144
.LBB384_94:                             ;   in Loop: Header=BB384_13 Depth=1
	s_or_b32 exec_lo, exec_lo, s22
.LBB384_95:                             ;   in Loop: Header=BB384_13 Depth=1
	s_delay_alu instid0(SALU_CYCLE_1)
	s_or_b32 exec_lo, exec_lo, s21
.LBB384_96:                             ;   in Loop: Header=BB384_13 Depth=1
	s_delay_alu instid0(SALU_CYCLE_1) | instskip(NEXT) | instid1(VALU_DEP_1)
	s_or_b32 exec_lo, exec_lo, s20
	v_mul_f32_e32 v28, v130, v28
	s_delay_alu instid0(VALU_DEP_1) | instskip(NEXT) | instid1(VALU_DEP_1)
	v_and_b32_e32 v144, 0x7f800000, v28
	v_cmp_ne_u32_e64 s2, 0x7f800000, v144
                                        ; implicit-def: $vgpr144
	s_delay_alu instid0(VALU_DEP_1) | instskip(NEXT) | instid1(SALU_CYCLE_1)
	s_and_saveexec_b32 s20, s2
	s_xor_b32 s2, exec_lo, s20
; %bb.97:                               ;   in Loop: Header=BB384_13 Depth=1
	v_bfe_u32 v144, v28, 16, 1
	s_delay_alu instid0(VALU_DEP_1)
	v_add3_u32 v144, v28, v144, 0x7fff
                                        ; implicit-def: $vgpr28
; %bb.98:                               ;   in Loop: Header=BB384_13 Depth=1
	s_and_not1_saveexec_b32 s20, s2
; %bb.99:                               ;   in Loop: Header=BB384_13 Depth=1
	v_and_b32_e32 v144, 0xffff, v28
	v_or_b32_e32 v146, 0x10000, v28
	s_delay_alu instid0(VALU_DEP_2) | instskip(NEXT) | instid1(VALU_DEP_1)
	v_cmp_eq_u32_e64 s2, 0, v144
	v_cndmask_b32_e64 v144, v146, v28, s2
; %bb.100:                              ;   in Loop: Header=BB384_13 Depth=1
	s_or_b32 exec_lo, exec_lo, s20
	v_lshrrev_b16 v146, 8, v145
	v_mov_b32_e32 v28, 0
	s_mov_b32 s20, exec_lo
	s_delay_alu instid0(VALU_DEP_2)
	v_cmpx_ne_u16_e64 0, v146
	s_cbranch_execz .LBB384_108
; %bb.101:                              ;   in Loop: Header=BB384_13 Depth=1
	v_bfrev_b32_e32 v28, 1
	s_mov_b32 s21, exec_lo
	v_cmpx_ne_u16_e64 0x80, v146
	s_cbranch_execz .LBB384_107
; %bb.102:                              ;   in Loop: Header=BB384_13 Depth=1
	v_and_b32_e32 v146, 0xffff, v146
	v_mov_b32_e32 v28, 0x7f800001
	s_mov_b32 s22, exec_lo
	s_delay_alu instid0(VALU_DEP_2) | instskip(NEXT) | instid1(VALU_DEP_1)
	v_and_b32_e32 v147, 0x7f, v146
	v_cmpx_ne_u32_e32 0x7f, v147
	s_cbranch_execz .LBB384_106
; %bb.103:                              ;   in Loop: Header=BB384_13 Depth=1
	v_and_b32_e32 v28, 7, v146
	v_lshrrev_b32_e32 v146, 3, v147
	s_mov_b32 s23, exec_lo
	v_cmpx_gt_u32_e32 8, v147
; %bb.104:                              ;   in Loop: Header=BB384_13 Depth=1
	s_delay_alu instid0(VALU_DEP_3) | instskip(NEXT) | instid1(VALU_DEP_1)
	v_clz_i32_u32_e32 v146, v28
	v_min_u32_e32 v146, 32, v146
	s_delay_alu instid0(VALU_DEP_1) | instskip(SKIP_1) | instid1(VALU_DEP_2)
	v_subrev_nc_u32_e32 v147, 28, v146
	v_sub_nc_u32_e32 v146, 29, v146
	v_lshlrev_b64 v[147:148], v147, v[28:29]
	s_delay_alu instid0(VALU_DEP_1)
	v_and_b32_e32 v28, 7, v147
; %bb.105:                              ;   in Loop: Header=BB384_13 Depth=1
	s_or_b32 exec_lo, exec_lo, s23
	v_lshlrev_b32_e32 v145, 16, v145
	s_delay_alu instid0(VALU_DEP_2) | instskip(SKIP_1) | instid1(VALU_DEP_3)
	v_lshlrev_b32_e32 v28, 20, v28
	v_lshl_add_u32 v146, v146, 23, 0x3c000000
	v_and_b32_e32 v145, 0x80000000, v145
	s_delay_alu instid0(VALU_DEP_1)
	v_or3_b32 v28, v28, v145, v146
.LBB384_106:                            ;   in Loop: Header=BB384_13 Depth=1
	s_or_b32 exec_lo, exec_lo, s22
.LBB384_107:                            ;   in Loop: Header=BB384_13 Depth=1
	s_delay_alu instid0(SALU_CYCLE_1)
	s_or_b32 exec_lo, exec_lo, s21
.LBB384_108:                            ;   in Loop: Header=BB384_13 Depth=1
	s_delay_alu instid0(SALU_CYCLE_1) | instskip(NEXT) | instid1(VALU_DEP_1)
	s_or_b32 exec_lo, exec_lo, s20
	v_mul_f32_e32 v28, v130, v28
	s_delay_alu instid0(VALU_DEP_1) | instskip(NEXT) | instid1(VALU_DEP_1)
	v_and_b32_e32 v145, 0x7f800000, v28
	v_cmp_ne_u32_e64 s2, 0x7f800000, v145
                                        ; implicit-def: $vgpr145
	s_delay_alu instid0(VALU_DEP_1) | instskip(NEXT) | instid1(SALU_CYCLE_1)
	s_and_saveexec_b32 s20, s2
	s_xor_b32 s2, exec_lo, s20
; %bb.109:                              ;   in Loop: Header=BB384_13 Depth=1
	v_bfe_u32 v145, v28, 16, 1
	s_delay_alu instid0(VALU_DEP_1)
	v_add3_u32 v145, v28, v145, 0x7fff
                                        ; implicit-def: $vgpr28
; %bb.110:                              ;   in Loop: Header=BB384_13 Depth=1
	s_and_not1_saveexec_b32 s20, s2
; %bb.111:                              ;   in Loop: Header=BB384_13 Depth=1
	v_and_b32_e32 v145, 0xffff, v28
	v_or_b32_e32 v146, 0x10000, v28
	s_delay_alu instid0(VALU_DEP_2) | instskip(NEXT) | instid1(VALU_DEP_1)
	v_cmp_eq_u32_e64 s2, 0, v145
	v_cndmask_b32_e64 v145, v146, v28, s2
; %bb.112:                              ;   in Loop: Header=BB384_13 Depth=1
	s_or_b32 exec_lo, exec_lo, s20
	flat_load_u16 v28, v[80:81] offset:256
	s_mov_b32 s20, exec_lo
	s_waitcnt vmcnt(0) lgkmcnt(0)
	v_and_b32_e32 v146, 0xff, v28
	v_dual_mov_b32 v28, 0 :: v_dual_and_b32 v147, 0xffff, v28
	s_delay_alu instid0(VALU_DEP_2)
	v_cmpx_ne_u16_e64 0, v146
	s_cbranch_execz .LBB384_120
; %bb.113:                              ;   in Loop: Header=BB384_13 Depth=1
	s_delay_alu instid0(VALU_DEP_2) | instskip(NEXT) | instid1(VALU_DEP_1)
	v_and_b32_e32 v28, 0xff, v147
	v_cmp_ne_u16_e64 s2, 0x80, v28
	v_bfrev_b32_e32 v28, 1
	s_delay_alu instid0(VALU_DEP_2)
	s_and_saveexec_b32 s21, s2
	s_cbranch_execz .LBB384_119
; %bb.114:                              ;   in Loop: Header=BB384_13 Depth=1
	v_and_b32_e32 v148, 0x7f, v147
	v_mov_b32_e32 v28, 0x7f800001
	s_mov_b32 s22, exec_lo
	s_delay_alu instid0(VALU_DEP_2)
	v_cmpx_ne_u32_e32 0x7f, v148
	s_cbranch_execz .LBB384_118
; %bb.115:                              ;   in Loop: Header=BB384_13 Depth=1
	v_and_b32_e32 v28, 7, v147
	v_lshrrev_b32_e32 v146, 3, v148
	s_mov_b32 s23, exec_lo
	v_cmpx_gt_u32_e32 8, v148
; %bb.116:                              ;   in Loop: Header=BB384_13 Depth=1
	s_delay_alu instid0(VALU_DEP_3) | instskip(NEXT) | instid1(VALU_DEP_1)
	v_clz_i32_u32_e32 v146, v28
	v_min_u32_e32 v146, 32, v146
	s_delay_alu instid0(VALU_DEP_1) | instskip(SKIP_1) | instid1(VALU_DEP_2)
	v_subrev_nc_u32_e32 v148, 28, v146
	v_sub_nc_u32_e32 v146, 29, v146
	v_lshlrev_b64 v[148:149], v148, v[28:29]
	s_delay_alu instid0(VALU_DEP_1)
	v_and_b32_e32 v28, 7, v148
; %bb.117:                              ;   in Loop: Header=BB384_13 Depth=1
	s_or_b32 exec_lo, exec_lo, s23
	v_lshlrev_b32_e32 v148, 24, v147
	s_delay_alu instid0(VALU_DEP_2) | instskip(SKIP_1) | instid1(VALU_DEP_3)
	v_lshlrev_b32_e32 v28, 20, v28
	v_lshl_add_u32 v146, v146, 23, 0x3c000000
	v_and_b32_e32 v148, 0x80000000, v148
	s_delay_alu instid0(VALU_DEP_1)
	v_or3_b32 v28, v28, v148, v146
.LBB384_118:                            ;   in Loop: Header=BB384_13 Depth=1
	s_or_b32 exec_lo, exec_lo, s22
.LBB384_119:                            ;   in Loop: Header=BB384_13 Depth=1
	s_delay_alu instid0(SALU_CYCLE_1)
	s_or_b32 exec_lo, exec_lo, s21
.LBB384_120:                            ;   in Loop: Header=BB384_13 Depth=1
	s_delay_alu instid0(SALU_CYCLE_1) | instskip(NEXT) | instid1(VALU_DEP_1)
	s_or_b32 exec_lo, exec_lo, s20
	v_mul_f32_e32 v28, v130, v28
	s_delay_alu instid0(VALU_DEP_1) | instskip(NEXT) | instid1(VALU_DEP_1)
	v_and_b32_e32 v146, 0x7f800000, v28
	v_cmp_ne_u32_e64 s2, 0x7f800000, v146
                                        ; implicit-def: $vgpr146
	s_delay_alu instid0(VALU_DEP_1) | instskip(NEXT) | instid1(SALU_CYCLE_1)
	s_and_saveexec_b32 s20, s2
	s_xor_b32 s2, exec_lo, s20
; %bb.121:                              ;   in Loop: Header=BB384_13 Depth=1
	v_bfe_u32 v146, v28, 16, 1
	s_delay_alu instid0(VALU_DEP_1)
	v_add3_u32 v146, v28, v146, 0x7fff
                                        ; implicit-def: $vgpr28
; %bb.122:                              ;   in Loop: Header=BB384_13 Depth=1
	s_and_not1_saveexec_b32 s20, s2
; %bb.123:                              ;   in Loop: Header=BB384_13 Depth=1
	v_and_b32_e32 v146, 0xffff, v28
	v_or_b32_e32 v148, 0x10000, v28
	s_delay_alu instid0(VALU_DEP_2) | instskip(NEXT) | instid1(VALU_DEP_1)
	v_cmp_eq_u32_e64 s2, 0, v146
	v_cndmask_b32_e64 v146, v148, v28, s2
; %bb.124:                              ;   in Loop: Header=BB384_13 Depth=1
	s_or_b32 exec_lo, exec_lo, s20
	v_lshrrev_b16 v148, 8, v147
	v_mov_b32_e32 v28, 0
	s_mov_b32 s20, exec_lo
	s_delay_alu instid0(VALU_DEP_2)
	v_cmpx_ne_u16_e64 0, v148
	s_cbranch_execz .LBB384_132
; %bb.125:                              ;   in Loop: Header=BB384_13 Depth=1
	v_bfrev_b32_e32 v28, 1
	s_mov_b32 s21, exec_lo
	v_cmpx_ne_u16_e64 0x80, v148
	s_cbranch_execz .LBB384_131
; %bb.126:                              ;   in Loop: Header=BB384_13 Depth=1
	v_and_b32_e32 v148, 0xffff, v148
	v_mov_b32_e32 v28, 0x7f800001
	s_mov_b32 s22, exec_lo
	s_delay_alu instid0(VALU_DEP_2) | instskip(NEXT) | instid1(VALU_DEP_1)
	v_and_b32_e32 v149, 0x7f, v148
	v_cmpx_ne_u32_e32 0x7f, v149
	s_cbranch_execz .LBB384_130
; %bb.127:                              ;   in Loop: Header=BB384_13 Depth=1
	v_and_b32_e32 v28, 7, v148
	v_lshrrev_b32_e32 v148, 3, v149
	s_mov_b32 s23, exec_lo
	v_cmpx_gt_u32_e32 8, v149
; %bb.128:                              ;   in Loop: Header=BB384_13 Depth=1
	s_delay_alu instid0(VALU_DEP_3) | instskip(NEXT) | instid1(VALU_DEP_1)
	v_clz_i32_u32_e32 v148, v28
	v_min_u32_e32 v148, 32, v148
	s_delay_alu instid0(VALU_DEP_1) | instskip(SKIP_1) | instid1(VALU_DEP_2)
	v_subrev_nc_u32_e32 v149, 28, v148
	v_sub_nc_u32_e32 v148, 29, v148
	v_lshlrev_b64 v[149:150], v149, v[28:29]
	s_delay_alu instid0(VALU_DEP_1)
	v_and_b32_e32 v28, 7, v149
; %bb.129:                              ;   in Loop: Header=BB384_13 Depth=1
	s_or_b32 exec_lo, exec_lo, s23
	v_lshlrev_b32_e32 v147, 16, v147
	s_delay_alu instid0(VALU_DEP_2) | instskip(SKIP_1) | instid1(VALU_DEP_3)
	v_lshlrev_b32_e32 v28, 20, v28
	v_lshl_add_u32 v148, v148, 23, 0x3c000000
	v_and_b32_e32 v147, 0x80000000, v147
	s_delay_alu instid0(VALU_DEP_1)
	v_or3_b32 v28, v28, v147, v148
.LBB384_130:                            ;   in Loop: Header=BB384_13 Depth=1
	s_or_b32 exec_lo, exec_lo, s22
.LBB384_131:                            ;   in Loop: Header=BB384_13 Depth=1
	s_delay_alu instid0(SALU_CYCLE_1)
	s_or_b32 exec_lo, exec_lo, s21
.LBB384_132:                            ;   in Loop: Header=BB384_13 Depth=1
	s_delay_alu instid0(SALU_CYCLE_1) | instskip(NEXT) | instid1(VALU_DEP_1)
	s_or_b32 exec_lo, exec_lo, s20
	v_mul_f32_e32 v28, v130, v28
	s_delay_alu instid0(VALU_DEP_1) | instskip(NEXT) | instid1(VALU_DEP_1)
	v_and_b32_e32 v147, 0x7f800000, v28
	v_cmp_ne_u32_e64 s2, 0x7f800000, v147
                                        ; implicit-def: $vgpr147
	s_delay_alu instid0(VALU_DEP_1) | instskip(NEXT) | instid1(SALU_CYCLE_1)
	s_and_saveexec_b32 s20, s2
	s_xor_b32 s2, exec_lo, s20
; %bb.133:                              ;   in Loop: Header=BB384_13 Depth=1
	v_bfe_u32 v147, v28, 16, 1
	s_delay_alu instid0(VALU_DEP_1)
	v_add3_u32 v147, v28, v147, 0x7fff
                                        ; implicit-def: $vgpr28
; %bb.134:                              ;   in Loop: Header=BB384_13 Depth=1
	s_and_not1_saveexec_b32 s20, s2
; %bb.135:                              ;   in Loop: Header=BB384_13 Depth=1
	v_and_b32_e32 v147, 0xffff, v28
	v_or_b32_e32 v148, 0x10000, v28
	s_delay_alu instid0(VALU_DEP_2) | instskip(NEXT) | instid1(VALU_DEP_1)
	v_cmp_eq_u32_e64 s2, 0, v147
	v_cndmask_b32_e64 v147, v148, v28, s2
; %bb.136:                              ;   in Loop: Header=BB384_13 Depth=1
	s_or_b32 exec_lo, exec_lo, s20
	flat_load_u16 v28, v[80:81] offset:264
	s_mov_b32 s20, exec_lo
	s_waitcnt vmcnt(0) lgkmcnt(0)
	v_and_b32_e32 v148, 0xff, v28
	v_dual_mov_b32 v28, 0 :: v_dual_and_b32 v149, 0xffff, v28
	s_delay_alu instid0(VALU_DEP_2)
	v_cmpx_ne_u16_e64 0, v148
	s_cbranch_execz .LBB384_144
; %bb.137:                              ;   in Loop: Header=BB384_13 Depth=1
	s_delay_alu instid0(VALU_DEP_2) | instskip(NEXT) | instid1(VALU_DEP_1)
	v_and_b32_e32 v28, 0xff, v149
	v_cmp_ne_u16_e64 s2, 0x80, v28
	v_bfrev_b32_e32 v28, 1
	s_delay_alu instid0(VALU_DEP_2)
	s_and_saveexec_b32 s21, s2
	s_cbranch_execz .LBB384_143
; %bb.138:                              ;   in Loop: Header=BB384_13 Depth=1
	v_and_b32_e32 v150, 0x7f, v149
	v_mov_b32_e32 v28, 0x7f800001
	s_mov_b32 s22, exec_lo
	s_delay_alu instid0(VALU_DEP_2)
	v_cmpx_ne_u32_e32 0x7f, v150
	s_cbranch_execz .LBB384_142
; %bb.139:                              ;   in Loop: Header=BB384_13 Depth=1
	v_and_b32_e32 v28, 7, v149
	v_lshrrev_b32_e32 v148, 3, v150
	s_mov_b32 s23, exec_lo
	v_cmpx_gt_u32_e32 8, v150
; %bb.140:                              ;   in Loop: Header=BB384_13 Depth=1
	s_delay_alu instid0(VALU_DEP_3) | instskip(NEXT) | instid1(VALU_DEP_1)
	v_clz_i32_u32_e32 v148, v28
	v_min_u32_e32 v148, 32, v148
	s_delay_alu instid0(VALU_DEP_1) | instskip(SKIP_1) | instid1(VALU_DEP_2)
	v_subrev_nc_u32_e32 v150, 28, v148
	v_sub_nc_u32_e32 v148, 29, v148
	v_lshlrev_b64 v[150:151], v150, v[28:29]
	s_delay_alu instid0(VALU_DEP_1)
	v_and_b32_e32 v28, 7, v150
; %bb.141:                              ;   in Loop: Header=BB384_13 Depth=1
	s_or_b32 exec_lo, exec_lo, s23
	v_lshlrev_b32_e32 v150, 24, v149
	s_delay_alu instid0(VALU_DEP_2) | instskip(SKIP_1) | instid1(VALU_DEP_3)
	v_lshlrev_b32_e32 v28, 20, v28
	v_lshl_add_u32 v148, v148, 23, 0x3c000000
	v_and_b32_e32 v150, 0x80000000, v150
	s_delay_alu instid0(VALU_DEP_1)
	v_or3_b32 v28, v28, v150, v148
.LBB384_142:                            ;   in Loop: Header=BB384_13 Depth=1
	s_or_b32 exec_lo, exec_lo, s22
.LBB384_143:                            ;   in Loop: Header=BB384_13 Depth=1
	s_delay_alu instid0(SALU_CYCLE_1)
	s_or_b32 exec_lo, exec_lo, s21
.LBB384_144:                            ;   in Loop: Header=BB384_13 Depth=1
	s_delay_alu instid0(SALU_CYCLE_1) | instskip(NEXT) | instid1(VALU_DEP_1)
	s_or_b32 exec_lo, exec_lo, s20
	v_mul_f32_e32 v28, v130, v28
	s_delay_alu instid0(VALU_DEP_1) | instskip(NEXT) | instid1(VALU_DEP_1)
	v_and_b32_e32 v148, 0x7f800000, v28
	v_cmp_ne_u32_e64 s2, 0x7f800000, v148
                                        ; implicit-def: $vgpr148
	s_delay_alu instid0(VALU_DEP_1) | instskip(NEXT) | instid1(SALU_CYCLE_1)
	s_and_saveexec_b32 s20, s2
	s_xor_b32 s2, exec_lo, s20
; %bb.145:                              ;   in Loop: Header=BB384_13 Depth=1
	v_bfe_u32 v148, v28, 16, 1
	s_delay_alu instid0(VALU_DEP_1)
	v_add3_u32 v148, v28, v148, 0x7fff
                                        ; implicit-def: $vgpr28
; %bb.146:                              ;   in Loop: Header=BB384_13 Depth=1
	s_and_not1_saveexec_b32 s20, s2
; %bb.147:                              ;   in Loop: Header=BB384_13 Depth=1
	v_and_b32_e32 v148, 0xffff, v28
	v_or_b32_e32 v150, 0x10000, v28
	s_delay_alu instid0(VALU_DEP_2) | instskip(NEXT) | instid1(VALU_DEP_1)
	v_cmp_eq_u32_e64 s2, 0, v148
	v_cndmask_b32_e64 v148, v150, v28, s2
; %bb.148:                              ;   in Loop: Header=BB384_13 Depth=1
	s_or_b32 exec_lo, exec_lo, s20
	v_lshrrev_b16 v150, 8, v149
	v_mov_b32_e32 v28, 0
	s_mov_b32 s20, exec_lo
	s_delay_alu instid0(VALU_DEP_2)
	v_cmpx_ne_u16_e64 0, v150
	s_cbranch_execz .LBB384_156
; %bb.149:                              ;   in Loop: Header=BB384_13 Depth=1
	v_bfrev_b32_e32 v28, 1
	s_mov_b32 s21, exec_lo
	v_cmpx_ne_u16_e64 0x80, v150
	s_cbranch_execz .LBB384_155
; %bb.150:                              ;   in Loop: Header=BB384_13 Depth=1
	v_and_b32_e32 v150, 0xffff, v150
	v_mov_b32_e32 v28, 0x7f800001
	s_mov_b32 s22, exec_lo
	s_delay_alu instid0(VALU_DEP_2) | instskip(NEXT) | instid1(VALU_DEP_1)
	v_and_b32_e32 v151, 0x7f, v150
	v_cmpx_ne_u32_e32 0x7f, v151
	s_cbranch_execz .LBB384_154
; %bb.151:                              ;   in Loop: Header=BB384_13 Depth=1
	v_and_b32_e32 v28, 7, v150
	v_lshrrev_b32_e32 v150, 3, v151
	s_mov_b32 s23, exec_lo
	v_cmpx_gt_u32_e32 8, v151
; %bb.152:                              ;   in Loop: Header=BB384_13 Depth=1
	s_delay_alu instid0(VALU_DEP_3) | instskip(NEXT) | instid1(VALU_DEP_1)
	v_clz_i32_u32_e32 v150, v28
	v_min_u32_e32 v150, 32, v150
	s_delay_alu instid0(VALU_DEP_1) | instskip(SKIP_1) | instid1(VALU_DEP_2)
	v_subrev_nc_u32_e32 v151, 28, v150
	v_sub_nc_u32_e32 v150, 29, v150
	v_lshlrev_b64 v[160:161], v151, v[28:29]
	s_delay_alu instid0(VALU_DEP_1)
	v_and_b32_e32 v28, 7, v160
; %bb.153:                              ;   in Loop: Header=BB384_13 Depth=1
	s_or_b32 exec_lo, exec_lo, s23
	v_lshlrev_b32_e32 v149, 16, v149
	s_delay_alu instid0(VALU_DEP_2) | instskip(SKIP_1) | instid1(VALU_DEP_3)
	v_lshlrev_b32_e32 v28, 20, v28
	v_lshl_add_u32 v150, v150, 23, 0x3c000000
	v_and_b32_e32 v149, 0x80000000, v149
	s_delay_alu instid0(VALU_DEP_1)
	v_or3_b32 v28, v28, v149, v150
.LBB384_154:                            ;   in Loop: Header=BB384_13 Depth=1
	s_or_b32 exec_lo, exec_lo, s22
.LBB384_155:                            ;   in Loop: Header=BB384_13 Depth=1
	s_delay_alu instid0(SALU_CYCLE_1)
	s_or_b32 exec_lo, exec_lo, s21
.LBB384_156:                            ;   in Loop: Header=BB384_13 Depth=1
	s_delay_alu instid0(SALU_CYCLE_1) | instskip(NEXT) | instid1(VALU_DEP_1)
	s_or_b32 exec_lo, exec_lo, s20
	v_mul_f32_e32 v28, v130, v28
	s_delay_alu instid0(VALU_DEP_1) | instskip(NEXT) | instid1(VALU_DEP_1)
	v_and_b32_e32 v149, 0x7f800000, v28
	v_cmp_ne_u32_e64 s2, 0x7f800000, v149
                                        ; implicit-def: $vgpr149
	s_delay_alu instid0(VALU_DEP_1) | instskip(NEXT) | instid1(SALU_CYCLE_1)
	s_and_saveexec_b32 s20, s2
	s_xor_b32 s2, exec_lo, s20
; %bb.157:                              ;   in Loop: Header=BB384_13 Depth=1
	v_bfe_u32 v149, v28, 16, 1
	s_delay_alu instid0(VALU_DEP_1)
	v_add3_u32 v149, v28, v149, 0x7fff
                                        ; implicit-def: $vgpr28
; %bb.158:                              ;   in Loop: Header=BB384_13 Depth=1
	s_and_not1_saveexec_b32 s20, s2
; %bb.159:                              ;   in Loop: Header=BB384_13 Depth=1
	v_and_b32_e32 v149, 0xffff, v28
	v_or_b32_e32 v150, 0x10000, v28
	s_delay_alu instid0(VALU_DEP_2) | instskip(NEXT) | instid1(VALU_DEP_1)
	v_cmp_eq_u32_e64 s2, 0, v149
	v_cndmask_b32_e64 v149, v150, v28, s2
; %bb.160:                              ;   in Loop: Header=BB384_13 Depth=1
	s_or_b32 exec_lo, exec_lo, s20
	flat_load_u16 v28, v[80:81] offset:384
	s_mov_b32 s20, exec_lo
	s_waitcnt vmcnt(0) lgkmcnt(0)
	v_and_b32_e32 v150, 0xff, v28
	v_dual_mov_b32 v28, 0 :: v_dual_and_b32 v151, 0xffff, v28
	s_delay_alu instid0(VALU_DEP_2)
	v_cmpx_ne_u16_e64 0, v150
	s_cbranch_execz .LBB384_168
; %bb.161:                              ;   in Loop: Header=BB384_13 Depth=1
	s_delay_alu instid0(VALU_DEP_2) | instskip(NEXT) | instid1(VALU_DEP_1)
	v_and_b32_e32 v28, 0xff, v151
	v_cmp_ne_u16_e64 s2, 0x80, v28
	v_bfrev_b32_e32 v28, 1
	s_delay_alu instid0(VALU_DEP_2)
	s_and_saveexec_b32 s21, s2
	s_cbranch_execz .LBB384_167
; %bb.162:                              ;   in Loop: Header=BB384_13 Depth=1
	v_and_b32_e32 v160, 0x7f, v151
	v_mov_b32_e32 v28, 0x7f800001
	s_mov_b32 s22, exec_lo
	s_delay_alu instid0(VALU_DEP_2)
	v_cmpx_ne_u32_e32 0x7f, v160
	s_cbranch_execz .LBB384_166
; %bb.163:                              ;   in Loop: Header=BB384_13 Depth=1
	v_and_b32_e32 v28, 7, v151
	v_lshrrev_b32_e32 v150, 3, v160
	s_mov_b32 s23, exec_lo
	v_cmpx_gt_u32_e32 8, v160
; %bb.164:                              ;   in Loop: Header=BB384_13 Depth=1
	s_delay_alu instid0(VALU_DEP_3) | instskip(NEXT) | instid1(VALU_DEP_1)
	v_clz_i32_u32_e32 v150, v28
	v_min_u32_e32 v150, 32, v150
	s_delay_alu instid0(VALU_DEP_1) | instskip(SKIP_1) | instid1(VALU_DEP_2)
	v_subrev_nc_u32_e32 v160, 28, v150
	v_sub_nc_u32_e32 v150, 29, v150
	v_lshlrev_b64 v[160:161], v160, v[28:29]
	s_delay_alu instid0(VALU_DEP_1)
	v_and_b32_e32 v28, 7, v160
; %bb.165:                              ;   in Loop: Header=BB384_13 Depth=1
	s_or_b32 exec_lo, exec_lo, s23
	v_lshlrev_b32_e32 v160, 24, v151
	s_delay_alu instid0(VALU_DEP_2) | instskip(SKIP_1) | instid1(VALU_DEP_3)
	v_lshlrev_b32_e32 v28, 20, v28
	v_lshl_add_u32 v150, v150, 23, 0x3c000000
	v_and_b32_e32 v160, 0x80000000, v160
	s_delay_alu instid0(VALU_DEP_1)
	v_or3_b32 v28, v28, v160, v150
.LBB384_166:                            ;   in Loop: Header=BB384_13 Depth=1
	s_or_b32 exec_lo, exec_lo, s22
.LBB384_167:                            ;   in Loop: Header=BB384_13 Depth=1
	s_delay_alu instid0(SALU_CYCLE_1)
	s_or_b32 exec_lo, exec_lo, s21
.LBB384_168:                            ;   in Loop: Header=BB384_13 Depth=1
	s_delay_alu instid0(SALU_CYCLE_1) | instskip(NEXT) | instid1(VALU_DEP_1)
	s_or_b32 exec_lo, exec_lo, s20
	v_mul_f32_e32 v28, v130, v28
	s_delay_alu instid0(VALU_DEP_1) | instskip(NEXT) | instid1(VALU_DEP_1)
	v_and_b32_e32 v150, 0x7f800000, v28
	v_cmp_ne_u32_e64 s2, 0x7f800000, v150
                                        ; implicit-def: $vgpr150
	s_delay_alu instid0(VALU_DEP_1) | instskip(NEXT) | instid1(SALU_CYCLE_1)
	s_and_saveexec_b32 s20, s2
	s_xor_b32 s2, exec_lo, s20
; %bb.169:                              ;   in Loop: Header=BB384_13 Depth=1
	v_bfe_u32 v150, v28, 16, 1
	s_delay_alu instid0(VALU_DEP_1)
	v_add3_u32 v150, v28, v150, 0x7fff
                                        ; implicit-def: $vgpr28
; %bb.170:                              ;   in Loop: Header=BB384_13 Depth=1
	s_and_not1_saveexec_b32 s20, s2
; %bb.171:                              ;   in Loop: Header=BB384_13 Depth=1
	v_and_b32_e32 v150, 0xffff, v28
	v_or_b32_e32 v160, 0x10000, v28
	s_delay_alu instid0(VALU_DEP_2) | instskip(NEXT) | instid1(VALU_DEP_1)
	v_cmp_eq_u32_e64 s2, 0, v150
	v_cndmask_b32_e64 v150, v160, v28, s2
; %bb.172:                              ;   in Loop: Header=BB384_13 Depth=1
	s_or_b32 exec_lo, exec_lo, s20
	v_lshrrev_b16 v160, 8, v151
	v_mov_b32_e32 v28, 0
	s_mov_b32 s20, exec_lo
	s_delay_alu instid0(VALU_DEP_2)
	v_cmpx_ne_u16_e64 0, v160
	s_cbranch_execz .LBB384_180
; %bb.173:                              ;   in Loop: Header=BB384_13 Depth=1
	v_bfrev_b32_e32 v28, 1
	s_mov_b32 s21, exec_lo
	v_cmpx_ne_u16_e64 0x80, v160
	s_cbranch_execz .LBB384_179
; %bb.174:                              ;   in Loop: Header=BB384_13 Depth=1
	v_and_b32_e32 v160, 0xffff, v160
	v_mov_b32_e32 v28, 0x7f800001
	s_mov_b32 s22, exec_lo
	s_delay_alu instid0(VALU_DEP_2) | instskip(NEXT) | instid1(VALU_DEP_1)
	v_and_b32_e32 v161, 0x7f, v160
	v_cmpx_ne_u32_e32 0x7f, v161
	s_cbranch_execz .LBB384_178
; %bb.175:                              ;   in Loop: Header=BB384_13 Depth=1
	v_and_b32_e32 v28, 7, v160
	v_lshrrev_b32_e32 v160, 3, v161
	s_mov_b32 s23, exec_lo
	v_cmpx_gt_u32_e32 8, v161
; %bb.176:                              ;   in Loop: Header=BB384_13 Depth=1
	s_delay_alu instid0(VALU_DEP_3) | instskip(NEXT) | instid1(VALU_DEP_1)
	v_clz_i32_u32_e32 v160, v28
	v_min_u32_e32 v160, 32, v160
	s_delay_alu instid0(VALU_DEP_1) | instskip(SKIP_1) | instid1(VALU_DEP_2)
	v_subrev_nc_u32_e32 v161, 28, v160
	v_sub_nc_u32_e32 v160, 29, v160
	v_lshlrev_b64 v[161:162], v161, v[28:29]
	s_delay_alu instid0(VALU_DEP_1)
	v_and_b32_e32 v28, 7, v161
; %bb.177:                              ;   in Loop: Header=BB384_13 Depth=1
	s_or_b32 exec_lo, exec_lo, s23
	v_lshlrev_b32_e32 v151, 16, v151
	s_delay_alu instid0(VALU_DEP_2) | instskip(SKIP_1) | instid1(VALU_DEP_3)
	v_lshlrev_b32_e32 v28, 20, v28
	v_lshl_add_u32 v160, v160, 23, 0x3c000000
	v_and_b32_e32 v151, 0x80000000, v151
	s_delay_alu instid0(VALU_DEP_1)
	v_or3_b32 v28, v28, v151, v160
.LBB384_178:                            ;   in Loop: Header=BB384_13 Depth=1
	s_or_b32 exec_lo, exec_lo, s22
.LBB384_179:                            ;   in Loop: Header=BB384_13 Depth=1
	s_delay_alu instid0(SALU_CYCLE_1)
	s_or_b32 exec_lo, exec_lo, s21
.LBB384_180:                            ;   in Loop: Header=BB384_13 Depth=1
	s_delay_alu instid0(SALU_CYCLE_1) | instskip(NEXT) | instid1(VALU_DEP_1)
	s_or_b32 exec_lo, exec_lo, s20
	v_mul_f32_e32 v28, v130, v28
	s_delay_alu instid0(VALU_DEP_1) | instskip(NEXT) | instid1(VALU_DEP_1)
	v_and_b32_e32 v151, 0x7f800000, v28
	v_cmp_ne_u32_e64 s2, 0x7f800000, v151
                                        ; implicit-def: $vgpr151
	s_delay_alu instid0(VALU_DEP_1) | instskip(NEXT) | instid1(SALU_CYCLE_1)
	s_and_saveexec_b32 s20, s2
	s_xor_b32 s2, exec_lo, s20
; %bb.181:                              ;   in Loop: Header=BB384_13 Depth=1
	v_bfe_u32 v151, v28, 16, 1
	s_delay_alu instid0(VALU_DEP_1)
	v_add3_u32 v151, v28, v151, 0x7fff
                                        ; implicit-def: $vgpr28
; %bb.182:                              ;   in Loop: Header=BB384_13 Depth=1
	s_and_not1_saveexec_b32 s20, s2
; %bb.183:                              ;   in Loop: Header=BB384_13 Depth=1
	v_and_b32_e32 v151, 0xffff, v28
	v_or_b32_e32 v160, 0x10000, v28
	s_delay_alu instid0(VALU_DEP_2) | instskip(NEXT) | instid1(VALU_DEP_1)
	v_cmp_eq_u32_e64 s2, 0, v151
	v_cndmask_b32_e64 v151, v160, v28, s2
; %bb.184:                              ;   in Loop: Header=BB384_13 Depth=1
	s_or_b32 exec_lo, exec_lo, s20
	flat_load_u16 v28, v[80:81] offset:392
	s_mov_b32 s20, exec_lo
	s_waitcnt vmcnt(0) lgkmcnt(0)
	v_and_b32_e32 v160, 0xff, v28
	v_dual_mov_b32 v28, 0 :: v_dual_and_b32 v161, 0xffff, v28
	s_delay_alu instid0(VALU_DEP_2)
	v_cmpx_ne_u16_e64 0, v160
	s_cbranch_execz .LBB384_192
; %bb.185:                              ;   in Loop: Header=BB384_13 Depth=1
	s_delay_alu instid0(VALU_DEP_2) | instskip(NEXT) | instid1(VALU_DEP_1)
	v_and_b32_e32 v28, 0xff, v161
	v_cmp_ne_u16_e64 s2, 0x80, v28
	v_bfrev_b32_e32 v28, 1
	s_delay_alu instid0(VALU_DEP_2)
	s_and_saveexec_b32 s21, s2
	s_cbranch_execz .LBB384_191
; %bb.186:                              ;   in Loop: Header=BB384_13 Depth=1
	v_and_b32_e32 v162, 0x7f, v161
	v_mov_b32_e32 v28, 0x7f800001
	s_mov_b32 s22, exec_lo
	s_delay_alu instid0(VALU_DEP_2)
	v_cmpx_ne_u32_e32 0x7f, v162
	s_cbranch_execz .LBB384_190
; %bb.187:                              ;   in Loop: Header=BB384_13 Depth=1
	v_and_b32_e32 v28, 7, v161
	v_lshrrev_b32_e32 v160, 3, v162
	s_mov_b32 s23, exec_lo
	v_cmpx_gt_u32_e32 8, v162
; %bb.188:                              ;   in Loop: Header=BB384_13 Depth=1
	s_delay_alu instid0(VALU_DEP_3) | instskip(NEXT) | instid1(VALU_DEP_1)
	v_clz_i32_u32_e32 v160, v28
	v_min_u32_e32 v160, 32, v160
	s_delay_alu instid0(VALU_DEP_1) | instskip(SKIP_1) | instid1(VALU_DEP_2)
	v_subrev_nc_u32_e32 v162, 28, v160
	v_sub_nc_u32_e32 v160, 29, v160
	v_lshlrev_b64 v[162:163], v162, v[28:29]
	s_delay_alu instid0(VALU_DEP_1)
	v_and_b32_e32 v28, 7, v162
; %bb.189:                              ;   in Loop: Header=BB384_13 Depth=1
	s_or_b32 exec_lo, exec_lo, s23
	v_lshlrev_b32_e32 v162, 24, v161
	s_delay_alu instid0(VALU_DEP_2) | instskip(SKIP_1) | instid1(VALU_DEP_3)
	v_lshlrev_b32_e32 v28, 20, v28
	v_lshl_add_u32 v160, v160, 23, 0x3c000000
	v_and_b32_e32 v162, 0x80000000, v162
	s_delay_alu instid0(VALU_DEP_1)
	v_or3_b32 v28, v28, v162, v160
.LBB384_190:                            ;   in Loop: Header=BB384_13 Depth=1
	s_or_b32 exec_lo, exec_lo, s22
.LBB384_191:                            ;   in Loop: Header=BB384_13 Depth=1
	s_delay_alu instid0(SALU_CYCLE_1)
	s_or_b32 exec_lo, exec_lo, s21
.LBB384_192:                            ;   in Loop: Header=BB384_13 Depth=1
	s_delay_alu instid0(SALU_CYCLE_1) | instskip(NEXT) | instid1(VALU_DEP_1)
	s_or_b32 exec_lo, exec_lo, s20
	v_mul_f32_e32 v28, v130, v28
	s_delay_alu instid0(VALU_DEP_1) | instskip(NEXT) | instid1(VALU_DEP_1)
	v_and_b32_e32 v160, 0x7f800000, v28
	v_cmp_ne_u32_e64 s2, 0x7f800000, v160
                                        ; implicit-def: $vgpr160
	s_delay_alu instid0(VALU_DEP_1) | instskip(NEXT) | instid1(SALU_CYCLE_1)
	s_and_saveexec_b32 s20, s2
	s_xor_b32 s2, exec_lo, s20
; %bb.193:                              ;   in Loop: Header=BB384_13 Depth=1
	v_bfe_u32 v160, v28, 16, 1
	s_delay_alu instid0(VALU_DEP_1)
	v_add3_u32 v160, v28, v160, 0x7fff
                                        ; implicit-def: $vgpr28
; %bb.194:                              ;   in Loop: Header=BB384_13 Depth=1
	s_and_not1_saveexec_b32 s20, s2
; %bb.195:                              ;   in Loop: Header=BB384_13 Depth=1
	v_and_b32_e32 v160, 0xffff, v28
	v_or_b32_e32 v162, 0x10000, v28
	s_delay_alu instid0(VALU_DEP_2) | instskip(NEXT) | instid1(VALU_DEP_1)
	v_cmp_eq_u32_e64 s2, 0, v160
	v_cndmask_b32_e64 v160, v162, v28, s2
; %bb.196:                              ;   in Loop: Header=BB384_13 Depth=1
	s_or_b32 exec_lo, exec_lo, s20
	v_lshrrev_b16 v162, 8, v161
	v_mov_b32_e32 v28, 0
	s_mov_b32 s20, exec_lo
	s_delay_alu instid0(VALU_DEP_2)
	v_cmpx_ne_u16_e64 0, v162
	s_cbranch_execz .LBB384_204
; %bb.197:                              ;   in Loop: Header=BB384_13 Depth=1
	v_bfrev_b32_e32 v28, 1
	s_mov_b32 s21, exec_lo
	v_cmpx_ne_u16_e64 0x80, v162
	s_cbranch_execz .LBB384_203
; %bb.198:                              ;   in Loop: Header=BB384_13 Depth=1
	v_and_b32_e32 v162, 0xffff, v162
	v_mov_b32_e32 v28, 0x7f800001
	s_mov_b32 s22, exec_lo
	s_delay_alu instid0(VALU_DEP_2) | instskip(NEXT) | instid1(VALU_DEP_1)
	v_and_b32_e32 v163, 0x7f, v162
	v_cmpx_ne_u32_e32 0x7f, v163
	s_cbranch_execz .LBB384_202
; %bb.199:                              ;   in Loop: Header=BB384_13 Depth=1
	v_and_b32_e32 v28, 7, v162
	v_lshrrev_b32_e32 v162, 3, v163
	s_mov_b32 s23, exec_lo
	v_cmpx_gt_u32_e32 8, v163
; %bb.200:                              ;   in Loop: Header=BB384_13 Depth=1
	s_delay_alu instid0(VALU_DEP_3) | instskip(NEXT) | instid1(VALU_DEP_1)
	v_clz_i32_u32_e32 v162, v28
	v_min_u32_e32 v162, 32, v162
	s_delay_alu instid0(VALU_DEP_1) | instskip(SKIP_1) | instid1(VALU_DEP_2)
	v_subrev_nc_u32_e32 v163, 28, v162
	v_sub_nc_u32_e32 v162, 29, v162
	v_lshlrev_b64 v[163:164], v163, v[28:29]
	s_delay_alu instid0(VALU_DEP_1)
	v_and_b32_e32 v28, 7, v163
; %bb.201:                              ;   in Loop: Header=BB384_13 Depth=1
	s_or_b32 exec_lo, exec_lo, s23
	v_lshlrev_b32_e32 v161, 16, v161
	s_delay_alu instid0(VALU_DEP_2) | instskip(SKIP_1) | instid1(VALU_DEP_3)
	v_lshlrev_b32_e32 v28, 20, v28
	v_lshl_add_u32 v162, v162, 23, 0x3c000000
	v_and_b32_e32 v161, 0x80000000, v161
	s_delay_alu instid0(VALU_DEP_1)
	v_or3_b32 v28, v28, v161, v162
.LBB384_202:                            ;   in Loop: Header=BB384_13 Depth=1
	s_or_b32 exec_lo, exec_lo, s22
.LBB384_203:                            ;   in Loop: Header=BB384_13 Depth=1
	s_delay_alu instid0(SALU_CYCLE_1)
	s_or_b32 exec_lo, exec_lo, s21
.LBB384_204:                            ;   in Loop: Header=BB384_13 Depth=1
	s_delay_alu instid0(SALU_CYCLE_1) | instskip(NEXT) | instid1(VALU_DEP_1)
	s_or_b32 exec_lo, exec_lo, s20
	v_mul_f32_e32 v28, v130, v28
                                        ; implicit-def: $vgpr162
	s_delay_alu instid0(VALU_DEP_1) | instskip(NEXT) | instid1(VALU_DEP_1)
	v_and_b32_e32 v161, 0x7f800000, v28
	v_cmp_ne_u32_e64 s2, 0x7f800000, v161
	s_delay_alu instid0(VALU_DEP_1) | instskip(NEXT) | instid1(SALU_CYCLE_1)
	s_and_saveexec_b32 s20, s2
	s_xor_b32 s2, exec_lo, s20
; %bb.205:                              ;   in Loop: Header=BB384_13 Depth=1
	v_bfe_u32 v161, v28, 16, 1
	s_delay_alu instid0(VALU_DEP_1)
	v_add3_u32 v162, v28, v161, 0x7fff
                                        ; implicit-def: $vgpr28
; %bb.206:                              ;   in Loop: Header=BB384_13 Depth=1
	s_and_not1_saveexec_b32 s20, s2
; %bb.207:                              ;   in Loop: Header=BB384_13 Depth=1
	v_and_b32_e32 v161, 0xffff, v28
	v_or_b32_e32 v162, 0x10000, v28
	s_delay_alu instid0(VALU_DEP_2) | instskip(NEXT) | instid1(VALU_DEP_1)
	v_cmp_eq_u32_e64 s2, 0, v161
	v_cndmask_b32_e64 v162, v162, v28, s2
; %bb.208:                              ;   in Loop: Header=BB384_13 Depth=1
	s_or_b32 exec_lo, exec_lo, s20
	flat_load_u16 v28, v[80:81] offset:512
	s_mov_b32 s20, exec_lo
	s_waitcnt vmcnt(0) lgkmcnt(0)
	v_and_b32_e32 v161, 0xff, v28
	v_dual_mov_b32 v28, 0 :: v_dual_and_b32 v163, 0xffff, v28
	s_delay_alu instid0(VALU_DEP_2)
	v_cmpx_ne_u16_e64 0, v161
	s_cbranch_execz .LBB384_216
; %bb.209:                              ;   in Loop: Header=BB384_13 Depth=1
	s_delay_alu instid0(VALU_DEP_2) | instskip(NEXT) | instid1(VALU_DEP_1)
	v_and_b32_e32 v28, 0xff, v163
	v_cmp_ne_u16_e64 s2, 0x80, v28
	v_bfrev_b32_e32 v28, 1
	s_delay_alu instid0(VALU_DEP_2)
	s_and_saveexec_b32 s21, s2
	s_cbranch_execz .LBB384_215
; %bb.210:                              ;   in Loop: Header=BB384_13 Depth=1
	v_and_b32_e32 v164, 0x7f, v163
	v_mov_b32_e32 v28, 0x7f800001
	s_mov_b32 s22, exec_lo
	s_delay_alu instid0(VALU_DEP_2)
	v_cmpx_ne_u32_e32 0x7f, v164
	s_cbranch_execz .LBB384_214
; %bb.211:                              ;   in Loop: Header=BB384_13 Depth=1
	v_and_b32_e32 v28, 7, v163
	v_lshrrev_b32_e32 v161, 3, v164
	s_mov_b32 s23, exec_lo
	v_cmpx_gt_u32_e32 8, v164
; %bb.212:                              ;   in Loop: Header=BB384_13 Depth=1
	s_delay_alu instid0(VALU_DEP_3) | instskip(NEXT) | instid1(VALU_DEP_1)
	v_clz_i32_u32_e32 v161, v28
	v_min_u32_e32 v161, 32, v161
	s_delay_alu instid0(VALU_DEP_1) | instskip(SKIP_1) | instid1(VALU_DEP_2)
	v_subrev_nc_u32_e32 v164, 28, v161
	v_sub_nc_u32_e32 v161, 29, v161
	v_lshlrev_b64 v[164:165], v164, v[28:29]
	s_delay_alu instid0(VALU_DEP_1)
	v_and_b32_e32 v28, 7, v164
; %bb.213:                              ;   in Loop: Header=BB384_13 Depth=1
	s_or_b32 exec_lo, exec_lo, s23
	v_lshlrev_b32_e32 v164, 24, v163
	s_delay_alu instid0(VALU_DEP_2) | instskip(SKIP_1) | instid1(VALU_DEP_3)
	v_lshlrev_b32_e32 v28, 20, v28
	v_lshl_add_u32 v161, v161, 23, 0x3c000000
	v_and_b32_e32 v164, 0x80000000, v164
	s_delay_alu instid0(VALU_DEP_1)
	v_or3_b32 v28, v28, v164, v161
.LBB384_214:                            ;   in Loop: Header=BB384_13 Depth=1
	s_or_b32 exec_lo, exec_lo, s22
.LBB384_215:                            ;   in Loop: Header=BB384_13 Depth=1
	s_delay_alu instid0(SALU_CYCLE_1)
	s_or_b32 exec_lo, exec_lo, s21
.LBB384_216:                            ;   in Loop: Header=BB384_13 Depth=1
	s_delay_alu instid0(SALU_CYCLE_1) | instskip(NEXT) | instid1(VALU_DEP_1)
	s_or_b32 exec_lo, exec_lo, s20
	v_mul_f32_e32 v28, v130, v28
	s_delay_alu instid0(VALU_DEP_1) | instskip(NEXT) | instid1(VALU_DEP_1)
	v_and_b32_e32 v161, 0x7f800000, v28
	v_cmp_ne_u32_e64 s2, 0x7f800000, v161
                                        ; implicit-def: $vgpr161
	s_delay_alu instid0(VALU_DEP_1) | instskip(NEXT) | instid1(SALU_CYCLE_1)
	s_and_saveexec_b32 s20, s2
	s_xor_b32 s2, exec_lo, s20
; %bb.217:                              ;   in Loop: Header=BB384_13 Depth=1
	v_bfe_u32 v161, v28, 16, 1
	s_delay_alu instid0(VALU_DEP_1)
	v_add3_u32 v161, v28, v161, 0x7fff
                                        ; implicit-def: $vgpr28
; %bb.218:                              ;   in Loop: Header=BB384_13 Depth=1
	s_and_not1_saveexec_b32 s20, s2
; %bb.219:                              ;   in Loop: Header=BB384_13 Depth=1
	v_and_b32_e32 v161, 0xffff, v28
	v_or_b32_e32 v164, 0x10000, v28
	s_delay_alu instid0(VALU_DEP_2) | instskip(NEXT) | instid1(VALU_DEP_1)
	v_cmp_eq_u32_e64 s2, 0, v161
	v_cndmask_b32_e64 v161, v164, v28, s2
; %bb.220:                              ;   in Loop: Header=BB384_13 Depth=1
	s_or_b32 exec_lo, exec_lo, s20
	v_lshrrev_b16 v164, 8, v163
	v_mov_b32_e32 v28, 0
	s_mov_b32 s20, exec_lo
	s_delay_alu instid0(VALU_DEP_2)
	v_cmpx_ne_u16_e64 0, v164
	s_cbranch_execz .LBB384_228
; %bb.221:                              ;   in Loop: Header=BB384_13 Depth=1
	v_bfrev_b32_e32 v28, 1
	s_mov_b32 s21, exec_lo
	v_cmpx_ne_u16_e64 0x80, v164
	s_cbranch_execz .LBB384_227
; %bb.222:                              ;   in Loop: Header=BB384_13 Depth=1
	v_and_b32_e32 v164, 0xffff, v164
	v_mov_b32_e32 v28, 0x7f800001
	s_mov_b32 s22, exec_lo
	s_delay_alu instid0(VALU_DEP_2) | instskip(NEXT) | instid1(VALU_DEP_1)
	v_and_b32_e32 v165, 0x7f, v164
	v_cmpx_ne_u32_e32 0x7f, v165
	s_cbranch_execz .LBB384_226
; %bb.223:                              ;   in Loop: Header=BB384_13 Depth=1
	v_and_b32_e32 v28, 7, v164
	v_lshrrev_b32_e32 v164, 3, v165
	s_mov_b32 s23, exec_lo
	v_cmpx_gt_u32_e32 8, v165
; %bb.224:                              ;   in Loop: Header=BB384_13 Depth=1
	s_delay_alu instid0(VALU_DEP_3) | instskip(NEXT) | instid1(VALU_DEP_1)
	v_clz_i32_u32_e32 v164, v28
	v_min_u32_e32 v164, 32, v164
	s_delay_alu instid0(VALU_DEP_1) | instskip(SKIP_1) | instid1(VALU_DEP_2)
	v_subrev_nc_u32_e32 v165, 28, v164
	v_sub_nc_u32_e32 v164, 29, v164
	v_lshlrev_b64 v[165:166], v165, v[28:29]
	s_delay_alu instid0(VALU_DEP_1)
	v_and_b32_e32 v28, 7, v165
; %bb.225:                              ;   in Loop: Header=BB384_13 Depth=1
	s_or_b32 exec_lo, exec_lo, s23
	v_lshlrev_b32_e32 v163, 16, v163
	s_delay_alu instid0(VALU_DEP_2) | instskip(SKIP_1) | instid1(VALU_DEP_3)
	v_lshlrev_b32_e32 v28, 20, v28
	v_lshl_add_u32 v164, v164, 23, 0x3c000000
	v_and_b32_e32 v163, 0x80000000, v163
	s_delay_alu instid0(VALU_DEP_1)
	v_or3_b32 v28, v28, v163, v164
.LBB384_226:                            ;   in Loop: Header=BB384_13 Depth=1
	s_or_b32 exec_lo, exec_lo, s22
.LBB384_227:                            ;   in Loop: Header=BB384_13 Depth=1
	s_delay_alu instid0(SALU_CYCLE_1)
	s_or_b32 exec_lo, exec_lo, s21
.LBB384_228:                            ;   in Loop: Header=BB384_13 Depth=1
	s_delay_alu instid0(SALU_CYCLE_1) | instskip(NEXT) | instid1(VALU_DEP_1)
	s_or_b32 exec_lo, exec_lo, s20
	v_mul_f32_e32 v28, v130, v28
                                        ; implicit-def: $vgpr164
	s_delay_alu instid0(VALU_DEP_1) | instskip(NEXT) | instid1(VALU_DEP_1)
	v_and_b32_e32 v163, 0x7f800000, v28
	v_cmp_ne_u32_e64 s2, 0x7f800000, v163
	s_delay_alu instid0(VALU_DEP_1) | instskip(NEXT) | instid1(SALU_CYCLE_1)
	s_and_saveexec_b32 s20, s2
	s_xor_b32 s2, exec_lo, s20
; %bb.229:                              ;   in Loop: Header=BB384_13 Depth=1
	v_bfe_u32 v163, v28, 16, 1
	s_delay_alu instid0(VALU_DEP_1)
	v_add3_u32 v164, v28, v163, 0x7fff
                                        ; implicit-def: $vgpr28
; %bb.230:                              ;   in Loop: Header=BB384_13 Depth=1
	s_and_not1_saveexec_b32 s20, s2
; %bb.231:                              ;   in Loop: Header=BB384_13 Depth=1
	v_and_b32_e32 v163, 0xffff, v28
	v_or_b32_e32 v164, 0x10000, v28
	s_delay_alu instid0(VALU_DEP_2) | instskip(NEXT) | instid1(VALU_DEP_1)
	v_cmp_eq_u32_e64 s2, 0, v163
	v_cndmask_b32_e64 v164, v164, v28, s2
; %bb.232:                              ;   in Loop: Header=BB384_13 Depth=1
	s_or_b32 exec_lo, exec_lo, s20
	flat_load_u16 v28, v[80:81] offset:520
	s_mov_b32 s20, exec_lo
	s_waitcnt vmcnt(0) lgkmcnt(0)
	v_and_b32_e32 v163, 0xff, v28
	v_dual_mov_b32 v28, 0 :: v_dual_and_b32 v165, 0xffff, v28
	s_delay_alu instid0(VALU_DEP_2)
	v_cmpx_ne_u16_e64 0, v163
	s_cbranch_execz .LBB384_240
; %bb.233:                              ;   in Loop: Header=BB384_13 Depth=1
	s_delay_alu instid0(VALU_DEP_2) | instskip(NEXT) | instid1(VALU_DEP_1)
	v_and_b32_e32 v28, 0xff, v165
	v_cmp_ne_u16_e64 s2, 0x80, v28
	v_bfrev_b32_e32 v28, 1
	s_delay_alu instid0(VALU_DEP_2)
	s_and_saveexec_b32 s21, s2
	s_cbranch_execz .LBB384_239
; %bb.234:                              ;   in Loop: Header=BB384_13 Depth=1
	v_and_b32_e32 v166, 0x7f, v165
	v_mov_b32_e32 v28, 0x7f800001
	s_mov_b32 s22, exec_lo
	s_delay_alu instid0(VALU_DEP_2)
	v_cmpx_ne_u32_e32 0x7f, v166
	s_cbranch_execz .LBB384_238
; %bb.235:                              ;   in Loop: Header=BB384_13 Depth=1
	v_and_b32_e32 v28, 7, v165
	v_lshrrev_b32_e32 v163, 3, v166
	s_mov_b32 s23, exec_lo
	v_cmpx_gt_u32_e32 8, v166
; %bb.236:                              ;   in Loop: Header=BB384_13 Depth=1
	s_delay_alu instid0(VALU_DEP_3) | instskip(NEXT) | instid1(VALU_DEP_1)
	v_clz_i32_u32_e32 v163, v28
	v_min_u32_e32 v163, 32, v163
	s_delay_alu instid0(VALU_DEP_1) | instskip(SKIP_1) | instid1(VALU_DEP_2)
	v_subrev_nc_u32_e32 v166, 28, v163
	v_sub_nc_u32_e32 v163, 29, v163
	v_lshlrev_b64 v[166:167], v166, v[28:29]
	s_delay_alu instid0(VALU_DEP_1)
	v_and_b32_e32 v28, 7, v166
; %bb.237:                              ;   in Loop: Header=BB384_13 Depth=1
	s_or_b32 exec_lo, exec_lo, s23
	v_lshlrev_b32_e32 v166, 24, v165
	s_delay_alu instid0(VALU_DEP_2) | instskip(SKIP_1) | instid1(VALU_DEP_3)
	v_lshlrev_b32_e32 v28, 20, v28
	v_lshl_add_u32 v163, v163, 23, 0x3c000000
	v_and_b32_e32 v166, 0x80000000, v166
	s_delay_alu instid0(VALU_DEP_1)
	v_or3_b32 v28, v28, v166, v163
.LBB384_238:                            ;   in Loop: Header=BB384_13 Depth=1
	s_or_b32 exec_lo, exec_lo, s22
.LBB384_239:                            ;   in Loop: Header=BB384_13 Depth=1
	s_delay_alu instid0(SALU_CYCLE_1)
	s_or_b32 exec_lo, exec_lo, s21
.LBB384_240:                            ;   in Loop: Header=BB384_13 Depth=1
	s_delay_alu instid0(SALU_CYCLE_1) | instskip(NEXT) | instid1(VALU_DEP_1)
	s_or_b32 exec_lo, exec_lo, s20
	v_mul_f32_e32 v28, v130, v28
	s_delay_alu instid0(VALU_DEP_1) | instskip(NEXT) | instid1(VALU_DEP_1)
	v_and_b32_e32 v163, 0x7f800000, v28
	v_cmp_ne_u32_e64 s2, 0x7f800000, v163
                                        ; implicit-def: $vgpr163
	s_delay_alu instid0(VALU_DEP_1) | instskip(NEXT) | instid1(SALU_CYCLE_1)
	s_and_saveexec_b32 s20, s2
	s_xor_b32 s2, exec_lo, s20
; %bb.241:                              ;   in Loop: Header=BB384_13 Depth=1
	v_bfe_u32 v163, v28, 16, 1
	s_delay_alu instid0(VALU_DEP_1)
	v_add3_u32 v163, v28, v163, 0x7fff
                                        ; implicit-def: $vgpr28
; %bb.242:                              ;   in Loop: Header=BB384_13 Depth=1
	s_and_not1_saveexec_b32 s20, s2
; %bb.243:                              ;   in Loop: Header=BB384_13 Depth=1
	v_and_b32_e32 v163, 0xffff, v28
	v_or_b32_e32 v166, 0x10000, v28
	s_delay_alu instid0(VALU_DEP_2) | instskip(NEXT) | instid1(VALU_DEP_1)
	v_cmp_eq_u32_e64 s2, 0, v163
	v_cndmask_b32_e64 v163, v166, v28, s2
; %bb.244:                              ;   in Loop: Header=BB384_13 Depth=1
	s_or_b32 exec_lo, exec_lo, s20
	v_lshrrev_b16 v166, 8, v165
	v_mov_b32_e32 v28, 0
	s_mov_b32 s20, exec_lo
	s_delay_alu instid0(VALU_DEP_2)
	v_cmpx_ne_u16_e64 0, v166
	s_cbranch_execz .LBB384_252
; %bb.245:                              ;   in Loop: Header=BB384_13 Depth=1
	v_bfrev_b32_e32 v28, 1
	s_mov_b32 s21, exec_lo
	v_cmpx_ne_u16_e64 0x80, v166
	s_cbranch_execz .LBB384_251
; %bb.246:                              ;   in Loop: Header=BB384_13 Depth=1
	v_and_b32_e32 v166, 0xffff, v166
	v_mov_b32_e32 v28, 0x7f800001
	s_mov_b32 s22, exec_lo
	s_delay_alu instid0(VALU_DEP_2) | instskip(NEXT) | instid1(VALU_DEP_1)
	v_and_b32_e32 v167, 0x7f, v166
	v_cmpx_ne_u32_e32 0x7f, v167
	s_cbranch_execz .LBB384_250
; %bb.247:                              ;   in Loop: Header=BB384_13 Depth=1
	v_and_b32_e32 v28, 7, v166
	v_lshrrev_b32_e32 v166, 3, v167
	s_mov_b32 s23, exec_lo
	v_cmpx_gt_u32_e32 8, v167
; %bb.248:                              ;   in Loop: Header=BB384_13 Depth=1
	s_delay_alu instid0(VALU_DEP_3) | instskip(NEXT) | instid1(VALU_DEP_1)
	v_clz_i32_u32_e32 v166, v28
	v_min_u32_e32 v166, 32, v166
	s_delay_alu instid0(VALU_DEP_1) | instskip(SKIP_1) | instid1(VALU_DEP_2)
	v_subrev_nc_u32_e32 v167, 28, v166
	v_sub_nc_u32_e32 v166, 29, v166
	v_lshlrev_b64 v[176:177], v167, v[28:29]
	s_delay_alu instid0(VALU_DEP_1)
	v_and_b32_e32 v28, 7, v176
; %bb.249:                              ;   in Loop: Header=BB384_13 Depth=1
	s_or_b32 exec_lo, exec_lo, s23
	v_lshlrev_b32_e32 v165, 16, v165
	s_delay_alu instid0(VALU_DEP_2) | instskip(SKIP_1) | instid1(VALU_DEP_3)
	v_lshlrev_b32_e32 v28, 20, v28
	v_lshl_add_u32 v166, v166, 23, 0x3c000000
	v_and_b32_e32 v165, 0x80000000, v165
	s_delay_alu instid0(VALU_DEP_1)
	v_or3_b32 v28, v28, v165, v166
.LBB384_250:                            ;   in Loop: Header=BB384_13 Depth=1
	s_or_b32 exec_lo, exec_lo, s22
.LBB384_251:                            ;   in Loop: Header=BB384_13 Depth=1
	s_delay_alu instid0(SALU_CYCLE_1)
	s_or_b32 exec_lo, exec_lo, s21
.LBB384_252:                            ;   in Loop: Header=BB384_13 Depth=1
	s_delay_alu instid0(SALU_CYCLE_1) | instskip(NEXT) | instid1(VALU_DEP_1)
	s_or_b32 exec_lo, exec_lo, s20
	v_mul_f32_e32 v28, v130, v28
                                        ; implicit-def: $vgpr166
	s_delay_alu instid0(VALU_DEP_1) | instskip(NEXT) | instid1(VALU_DEP_1)
	v_and_b32_e32 v165, 0x7f800000, v28
	v_cmp_ne_u32_e64 s2, 0x7f800000, v165
	s_delay_alu instid0(VALU_DEP_1) | instskip(NEXT) | instid1(SALU_CYCLE_1)
	s_and_saveexec_b32 s20, s2
	s_xor_b32 s2, exec_lo, s20
; %bb.253:                              ;   in Loop: Header=BB384_13 Depth=1
	v_bfe_u32 v165, v28, 16, 1
	s_delay_alu instid0(VALU_DEP_1)
	v_add3_u32 v166, v28, v165, 0x7fff
                                        ; implicit-def: $vgpr28
; %bb.254:                              ;   in Loop: Header=BB384_13 Depth=1
	s_and_not1_saveexec_b32 s20, s2
; %bb.255:                              ;   in Loop: Header=BB384_13 Depth=1
	v_and_b32_e32 v165, 0xffff, v28
	v_or_b32_e32 v166, 0x10000, v28
	s_delay_alu instid0(VALU_DEP_2) | instskip(NEXT) | instid1(VALU_DEP_1)
	v_cmp_eq_u32_e64 s2, 0, v165
	v_cndmask_b32_e64 v166, v166, v28, s2
; %bb.256:                              ;   in Loop: Header=BB384_13 Depth=1
	s_or_b32 exec_lo, exec_lo, s20
	flat_load_u16 v28, v[80:81] offset:640
	s_mov_b32 s20, exec_lo
	s_waitcnt vmcnt(0) lgkmcnt(0)
	v_and_b32_e32 v165, 0xff, v28
	v_dual_mov_b32 v28, 0 :: v_dual_and_b32 v167, 0xffff, v28
	s_delay_alu instid0(VALU_DEP_2)
	v_cmpx_ne_u16_e64 0, v165
	s_cbranch_execz .LBB384_264
; %bb.257:                              ;   in Loop: Header=BB384_13 Depth=1
	s_delay_alu instid0(VALU_DEP_2) | instskip(NEXT) | instid1(VALU_DEP_1)
	v_and_b32_e32 v28, 0xff, v167
	v_cmp_ne_u16_e64 s2, 0x80, v28
	v_bfrev_b32_e32 v28, 1
	s_delay_alu instid0(VALU_DEP_2)
	s_and_saveexec_b32 s21, s2
	s_cbranch_execz .LBB384_263
; %bb.258:                              ;   in Loop: Header=BB384_13 Depth=1
	v_and_b32_e32 v176, 0x7f, v167
	v_mov_b32_e32 v28, 0x7f800001
	s_mov_b32 s22, exec_lo
	s_delay_alu instid0(VALU_DEP_2)
	v_cmpx_ne_u32_e32 0x7f, v176
	s_cbranch_execz .LBB384_262
; %bb.259:                              ;   in Loop: Header=BB384_13 Depth=1
	v_and_b32_e32 v28, 7, v167
	v_lshrrev_b32_e32 v165, 3, v176
	s_mov_b32 s23, exec_lo
	v_cmpx_gt_u32_e32 8, v176
; %bb.260:                              ;   in Loop: Header=BB384_13 Depth=1
	s_delay_alu instid0(VALU_DEP_3) | instskip(NEXT) | instid1(VALU_DEP_1)
	v_clz_i32_u32_e32 v165, v28
	v_min_u32_e32 v165, 32, v165
	s_delay_alu instid0(VALU_DEP_1) | instskip(SKIP_1) | instid1(VALU_DEP_2)
	v_subrev_nc_u32_e32 v176, 28, v165
	v_sub_nc_u32_e32 v165, 29, v165
	v_lshlrev_b64 v[176:177], v176, v[28:29]
	s_delay_alu instid0(VALU_DEP_1)
	v_and_b32_e32 v28, 7, v176
; %bb.261:                              ;   in Loop: Header=BB384_13 Depth=1
	s_or_b32 exec_lo, exec_lo, s23
	v_lshlrev_b32_e32 v176, 24, v167
	s_delay_alu instid0(VALU_DEP_2) | instskip(SKIP_1) | instid1(VALU_DEP_3)
	v_lshlrev_b32_e32 v28, 20, v28
	v_lshl_add_u32 v165, v165, 23, 0x3c000000
	v_and_b32_e32 v176, 0x80000000, v176
	s_delay_alu instid0(VALU_DEP_1)
	v_or3_b32 v28, v28, v176, v165
.LBB384_262:                            ;   in Loop: Header=BB384_13 Depth=1
	s_or_b32 exec_lo, exec_lo, s22
.LBB384_263:                            ;   in Loop: Header=BB384_13 Depth=1
	s_delay_alu instid0(SALU_CYCLE_1)
	s_or_b32 exec_lo, exec_lo, s21
.LBB384_264:                            ;   in Loop: Header=BB384_13 Depth=1
	s_delay_alu instid0(SALU_CYCLE_1) | instskip(NEXT) | instid1(VALU_DEP_1)
	s_or_b32 exec_lo, exec_lo, s20
	v_mul_f32_e32 v28, v130, v28
	s_delay_alu instid0(VALU_DEP_1) | instskip(NEXT) | instid1(VALU_DEP_1)
	v_and_b32_e32 v165, 0x7f800000, v28
	v_cmp_ne_u32_e64 s2, 0x7f800000, v165
                                        ; implicit-def: $vgpr165
	s_delay_alu instid0(VALU_DEP_1) | instskip(NEXT) | instid1(SALU_CYCLE_1)
	s_and_saveexec_b32 s20, s2
	s_xor_b32 s2, exec_lo, s20
; %bb.265:                              ;   in Loop: Header=BB384_13 Depth=1
	v_bfe_u32 v165, v28, 16, 1
	s_delay_alu instid0(VALU_DEP_1)
	v_add3_u32 v165, v28, v165, 0x7fff
                                        ; implicit-def: $vgpr28
; %bb.266:                              ;   in Loop: Header=BB384_13 Depth=1
	s_and_not1_saveexec_b32 s20, s2
; %bb.267:                              ;   in Loop: Header=BB384_13 Depth=1
	v_and_b32_e32 v165, 0xffff, v28
	v_or_b32_e32 v176, 0x10000, v28
	s_delay_alu instid0(VALU_DEP_2) | instskip(NEXT) | instid1(VALU_DEP_1)
	v_cmp_eq_u32_e64 s2, 0, v165
	v_cndmask_b32_e64 v165, v176, v28, s2
; %bb.268:                              ;   in Loop: Header=BB384_13 Depth=1
	s_or_b32 exec_lo, exec_lo, s20
	v_lshrrev_b16 v176, 8, v167
	v_mov_b32_e32 v28, 0
	s_mov_b32 s20, exec_lo
	s_delay_alu instid0(VALU_DEP_2)
	v_cmpx_ne_u16_e64 0, v176
	s_cbranch_execz .LBB384_276
; %bb.269:                              ;   in Loop: Header=BB384_13 Depth=1
	v_bfrev_b32_e32 v28, 1
	s_mov_b32 s21, exec_lo
	v_cmpx_ne_u16_e64 0x80, v176
	s_cbranch_execz .LBB384_275
; %bb.270:                              ;   in Loop: Header=BB384_13 Depth=1
	v_and_b32_e32 v176, 0xffff, v176
	v_mov_b32_e32 v28, 0x7f800001
	s_mov_b32 s22, exec_lo
	s_delay_alu instid0(VALU_DEP_2) | instskip(NEXT) | instid1(VALU_DEP_1)
	v_and_b32_e32 v177, 0x7f, v176
	v_cmpx_ne_u32_e32 0x7f, v177
	s_cbranch_execz .LBB384_274
; %bb.271:                              ;   in Loop: Header=BB384_13 Depth=1
	v_and_b32_e32 v28, 7, v176
	v_lshrrev_b32_e32 v176, 3, v177
	s_mov_b32 s23, exec_lo
	v_cmpx_gt_u32_e32 8, v177
; %bb.272:                              ;   in Loop: Header=BB384_13 Depth=1
	s_delay_alu instid0(VALU_DEP_3) | instskip(NEXT) | instid1(VALU_DEP_1)
	v_clz_i32_u32_e32 v176, v28
	v_min_u32_e32 v176, 32, v176
	s_delay_alu instid0(VALU_DEP_1) | instskip(SKIP_1) | instid1(VALU_DEP_2)
	v_subrev_nc_u32_e32 v177, 28, v176
	v_sub_nc_u32_e32 v176, 29, v176
	v_lshlrev_b64 v[177:178], v177, v[28:29]
	s_delay_alu instid0(VALU_DEP_1)
	v_and_b32_e32 v28, 7, v177
; %bb.273:                              ;   in Loop: Header=BB384_13 Depth=1
	s_or_b32 exec_lo, exec_lo, s23
	v_lshlrev_b32_e32 v167, 16, v167
	s_delay_alu instid0(VALU_DEP_2) | instskip(SKIP_1) | instid1(VALU_DEP_3)
	v_lshlrev_b32_e32 v28, 20, v28
	v_lshl_add_u32 v176, v176, 23, 0x3c000000
	v_and_b32_e32 v167, 0x80000000, v167
	s_delay_alu instid0(VALU_DEP_1)
	v_or3_b32 v28, v28, v167, v176
.LBB384_274:                            ;   in Loop: Header=BB384_13 Depth=1
	s_or_b32 exec_lo, exec_lo, s22
.LBB384_275:                            ;   in Loop: Header=BB384_13 Depth=1
	s_delay_alu instid0(SALU_CYCLE_1)
	s_or_b32 exec_lo, exec_lo, s21
.LBB384_276:                            ;   in Loop: Header=BB384_13 Depth=1
	s_delay_alu instid0(SALU_CYCLE_1) | instskip(NEXT) | instid1(VALU_DEP_1)
	s_or_b32 exec_lo, exec_lo, s20
	v_mul_f32_e32 v28, v130, v28
                                        ; implicit-def: $vgpr176
	s_delay_alu instid0(VALU_DEP_1) | instskip(NEXT) | instid1(VALU_DEP_1)
	v_and_b32_e32 v167, 0x7f800000, v28
	v_cmp_ne_u32_e64 s2, 0x7f800000, v167
	s_delay_alu instid0(VALU_DEP_1) | instskip(NEXT) | instid1(SALU_CYCLE_1)
	s_and_saveexec_b32 s20, s2
	s_xor_b32 s2, exec_lo, s20
; %bb.277:                              ;   in Loop: Header=BB384_13 Depth=1
	v_bfe_u32 v167, v28, 16, 1
	s_delay_alu instid0(VALU_DEP_1)
	v_add3_u32 v176, v28, v167, 0x7fff
                                        ; implicit-def: $vgpr28
; %bb.278:                              ;   in Loop: Header=BB384_13 Depth=1
	s_and_not1_saveexec_b32 s20, s2
; %bb.279:                              ;   in Loop: Header=BB384_13 Depth=1
	v_and_b32_e32 v167, 0xffff, v28
	v_or_b32_e32 v176, 0x10000, v28
	s_delay_alu instid0(VALU_DEP_2) | instskip(NEXT) | instid1(VALU_DEP_1)
	v_cmp_eq_u32_e64 s2, 0, v167
	v_cndmask_b32_e64 v176, v176, v28, s2
; %bb.280:                              ;   in Loop: Header=BB384_13 Depth=1
	s_or_b32 exec_lo, exec_lo, s20
	flat_load_u16 v28, v[80:81] offset:648
	s_mov_b32 s20, exec_lo
	s_waitcnt vmcnt(0) lgkmcnt(0)
	v_and_b32_e32 v167, 0xff, v28
	v_dual_mov_b32 v28, 0 :: v_dual_and_b32 v177, 0xffff, v28
	s_delay_alu instid0(VALU_DEP_2)
	v_cmpx_ne_u16_e64 0, v167
	s_cbranch_execz .LBB384_288
; %bb.281:                              ;   in Loop: Header=BB384_13 Depth=1
	s_delay_alu instid0(VALU_DEP_2) | instskip(NEXT) | instid1(VALU_DEP_1)
	v_and_b32_e32 v28, 0xff, v177
	v_cmp_ne_u16_e64 s2, 0x80, v28
	v_bfrev_b32_e32 v28, 1
	s_delay_alu instid0(VALU_DEP_2)
	s_and_saveexec_b32 s21, s2
	s_cbranch_execz .LBB384_287
; %bb.282:                              ;   in Loop: Header=BB384_13 Depth=1
	v_and_b32_e32 v178, 0x7f, v177
	v_mov_b32_e32 v28, 0x7f800001
	s_mov_b32 s22, exec_lo
	s_delay_alu instid0(VALU_DEP_2)
	v_cmpx_ne_u32_e32 0x7f, v178
	s_cbranch_execz .LBB384_286
; %bb.283:                              ;   in Loop: Header=BB384_13 Depth=1
	v_and_b32_e32 v28, 7, v177
	v_lshrrev_b32_e32 v167, 3, v178
	s_mov_b32 s23, exec_lo
	v_cmpx_gt_u32_e32 8, v178
; %bb.284:                              ;   in Loop: Header=BB384_13 Depth=1
	s_delay_alu instid0(VALU_DEP_3) | instskip(NEXT) | instid1(VALU_DEP_1)
	v_clz_i32_u32_e32 v167, v28
	v_min_u32_e32 v167, 32, v167
	s_delay_alu instid0(VALU_DEP_1) | instskip(SKIP_1) | instid1(VALU_DEP_2)
	v_subrev_nc_u32_e32 v178, 28, v167
	v_sub_nc_u32_e32 v167, 29, v167
	v_lshlrev_b64 v[178:179], v178, v[28:29]
	s_delay_alu instid0(VALU_DEP_1)
	v_and_b32_e32 v28, 7, v178
; %bb.285:                              ;   in Loop: Header=BB384_13 Depth=1
	s_or_b32 exec_lo, exec_lo, s23
	v_lshlrev_b32_e32 v178, 24, v177
	s_delay_alu instid0(VALU_DEP_2) | instskip(SKIP_1) | instid1(VALU_DEP_3)
	v_lshlrev_b32_e32 v28, 20, v28
	v_lshl_add_u32 v167, v167, 23, 0x3c000000
	v_and_b32_e32 v178, 0x80000000, v178
	s_delay_alu instid0(VALU_DEP_1)
	v_or3_b32 v28, v28, v178, v167
.LBB384_286:                            ;   in Loop: Header=BB384_13 Depth=1
	s_or_b32 exec_lo, exec_lo, s22
.LBB384_287:                            ;   in Loop: Header=BB384_13 Depth=1
	s_delay_alu instid0(SALU_CYCLE_1)
	s_or_b32 exec_lo, exec_lo, s21
.LBB384_288:                            ;   in Loop: Header=BB384_13 Depth=1
	s_delay_alu instid0(SALU_CYCLE_1) | instskip(NEXT) | instid1(VALU_DEP_1)
	s_or_b32 exec_lo, exec_lo, s20
	v_mul_f32_e32 v28, v130, v28
	s_delay_alu instid0(VALU_DEP_1) | instskip(NEXT) | instid1(VALU_DEP_1)
	v_and_b32_e32 v167, 0x7f800000, v28
	v_cmp_ne_u32_e64 s2, 0x7f800000, v167
                                        ; implicit-def: $vgpr167
	s_delay_alu instid0(VALU_DEP_1) | instskip(NEXT) | instid1(SALU_CYCLE_1)
	s_and_saveexec_b32 s20, s2
	s_xor_b32 s2, exec_lo, s20
; %bb.289:                              ;   in Loop: Header=BB384_13 Depth=1
	v_bfe_u32 v167, v28, 16, 1
	s_delay_alu instid0(VALU_DEP_1)
	v_add3_u32 v167, v28, v167, 0x7fff
                                        ; implicit-def: $vgpr28
; %bb.290:                              ;   in Loop: Header=BB384_13 Depth=1
	s_and_not1_saveexec_b32 s20, s2
; %bb.291:                              ;   in Loop: Header=BB384_13 Depth=1
	v_and_b32_e32 v167, 0xffff, v28
	v_or_b32_e32 v178, 0x10000, v28
	s_delay_alu instid0(VALU_DEP_2) | instskip(NEXT) | instid1(VALU_DEP_1)
	v_cmp_eq_u32_e64 s2, 0, v167
	v_cndmask_b32_e64 v167, v178, v28, s2
; %bb.292:                              ;   in Loop: Header=BB384_13 Depth=1
	s_or_b32 exec_lo, exec_lo, s20
	v_lshrrev_b16 v178, 8, v177
	v_mov_b32_e32 v28, 0
	s_mov_b32 s20, exec_lo
	s_delay_alu instid0(VALU_DEP_2)
	v_cmpx_ne_u16_e64 0, v178
	s_cbranch_execz .LBB384_300
; %bb.293:                              ;   in Loop: Header=BB384_13 Depth=1
	v_bfrev_b32_e32 v28, 1
	s_mov_b32 s21, exec_lo
	v_cmpx_ne_u16_e64 0x80, v178
	s_cbranch_execz .LBB384_299
; %bb.294:                              ;   in Loop: Header=BB384_13 Depth=1
	v_and_b32_e32 v178, 0xffff, v178
	v_mov_b32_e32 v28, 0x7f800001
	s_mov_b32 s22, exec_lo
	s_delay_alu instid0(VALU_DEP_2) | instskip(NEXT) | instid1(VALU_DEP_1)
	v_and_b32_e32 v179, 0x7f, v178
	v_cmpx_ne_u32_e32 0x7f, v179
	s_cbranch_execz .LBB384_298
; %bb.295:                              ;   in Loop: Header=BB384_13 Depth=1
	v_and_b32_e32 v28, 7, v178
	v_lshrrev_b32_e32 v178, 3, v179
	s_mov_b32 s23, exec_lo
	v_cmpx_gt_u32_e32 8, v179
; %bb.296:                              ;   in Loop: Header=BB384_13 Depth=1
	s_delay_alu instid0(VALU_DEP_3) | instskip(NEXT) | instid1(VALU_DEP_1)
	v_clz_i32_u32_e32 v178, v28
	v_min_u32_e32 v178, 32, v178
	s_delay_alu instid0(VALU_DEP_1) | instskip(SKIP_1) | instid1(VALU_DEP_2)
	v_subrev_nc_u32_e32 v179, 28, v178
	v_sub_nc_u32_e32 v178, 29, v178
	v_lshlrev_b64 v[179:180], v179, v[28:29]
	s_delay_alu instid0(VALU_DEP_1)
	v_and_b32_e32 v28, 7, v179
; %bb.297:                              ;   in Loop: Header=BB384_13 Depth=1
	s_or_b32 exec_lo, exec_lo, s23
	v_lshlrev_b32_e32 v177, 16, v177
	s_delay_alu instid0(VALU_DEP_2) | instskip(SKIP_1) | instid1(VALU_DEP_3)
	v_lshlrev_b32_e32 v28, 20, v28
	v_lshl_add_u32 v178, v178, 23, 0x3c000000
	v_and_b32_e32 v177, 0x80000000, v177
	s_delay_alu instid0(VALU_DEP_1)
	v_or3_b32 v28, v28, v177, v178
.LBB384_298:                            ;   in Loop: Header=BB384_13 Depth=1
	s_or_b32 exec_lo, exec_lo, s22
.LBB384_299:                            ;   in Loop: Header=BB384_13 Depth=1
	s_delay_alu instid0(SALU_CYCLE_1)
	s_or_b32 exec_lo, exec_lo, s21
.LBB384_300:                            ;   in Loop: Header=BB384_13 Depth=1
	s_delay_alu instid0(SALU_CYCLE_1) | instskip(NEXT) | instid1(VALU_DEP_1)
	s_or_b32 exec_lo, exec_lo, s20
	v_mul_f32_e32 v28, v130, v28
                                        ; implicit-def: $vgpr178
	s_delay_alu instid0(VALU_DEP_1) | instskip(NEXT) | instid1(VALU_DEP_1)
	v_and_b32_e32 v177, 0x7f800000, v28
	v_cmp_ne_u32_e64 s2, 0x7f800000, v177
	s_delay_alu instid0(VALU_DEP_1) | instskip(NEXT) | instid1(SALU_CYCLE_1)
	s_and_saveexec_b32 s20, s2
	s_xor_b32 s2, exec_lo, s20
; %bb.301:                              ;   in Loop: Header=BB384_13 Depth=1
	v_bfe_u32 v177, v28, 16, 1
	s_delay_alu instid0(VALU_DEP_1)
	v_add3_u32 v178, v28, v177, 0x7fff
                                        ; implicit-def: $vgpr28
; %bb.302:                              ;   in Loop: Header=BB384_13 Depth=1
	s_and_not1_saveexec_b32 s20, s2
; %bb.303:                              ;   in Loop: Header=BB384_13 Depth=1
	v_and_b32_e32 v177, 0xffff, v28
	v_or_b32_e32 v178, 0x10000, v28
	s_delay_alu instid0(VALU_DEP_2) | instskip(NEXT) | instid1(VALU_DEP_1)
	v_cmp_eq_u32_e64 s2, 0, v177
	v_cndmask_b32_e64 v178, v178, v28, s2
; %bb.304:                              ;   in Loop: Header=BB384_13 Depth=1
	s_or_b32 exec_lo, exec_lo, s20
	flat_load_u16 v28, v[80:81] offset:768
	s_mov_b32 s20, exec_lo
	s_waitcnt vmcnt(0) lgkmcnt(0)
	v_and_b32_e32 v177, 0xff, v28
	v_dual_mov_b32 v28, 0 :: v_dual_and_b32 v179, 0xffff, v28
	s_delay_alu instid0(VALU_DEP_2)
	v_cmpx_ne_u16_e64 0, v177
	s_cbranch_execz .LBB384_312
; %bb.305:                              ;   in Loop: Header=BB384_13 Depth=1
	s_delay_alu instid0(VALU_DEP_2) | instskip(NEXT) | instid1(VALU_DEP_1)
	v_and_b32_e32 v28, 0xff, v179
	v_cmp_ne_u16_e64 s2, 0x80, v28
	v_bfrev_b32_e32 v28, 1
	s_delay_alu instid0(VALU_DEP_2)
	s_and_saveexec_b32 s21, s2
	s_cbranch_execz .LBB384_311
; %bb.306:                              ;   in Loop: Header=BB384_13 Depth=1
	v_and_b32_e32 v180, 0x7f, v179
	v_mov_b32_e32 v28, 0x7f800001
	s_mov_b32 s22, exec_lo
	s_delay_alu instid0(VALU_DEP_2)
	v_cmpx_ne_u32_e32 0x7f, v180
	s_cbranch_execz .LBB384_310
; %bb.307:                              ;   in Loop: Header=BB384_13 Depth=1
	v_and_b32_e32 v28, 7, v179
	v_lshrrev_b32_e32 v177, 3, v180
	s_mov_b32 s23, exec_lo
	v_cmpx_gt_u32_e32 8, v180
; %bb.308:                              ;   in Loop: Header=BB384_13 Depth=1
	s_delay_alu instid0(VALU_DEP_3) | instskip(NEXT) | instid1(VALU_DEP_1)
	v_clz_i32_u32_e32 v177, v28
	v_min_u32_e32 v177, 32, v177
	s_delay_alu instid0(VALU_DEP_1) | instskip(SKIP_1) | instid1(VALU_DEP_2)
	v_subrev_nc_u32_e32 v180, 28, v177
	v_sub_nc_u32_e32 v177, 29, v177
	v_lshlrev_b64 v[180:181], v180, v[28:29]
	s_delay_alu instid0(VALU_DEP_1)
	v_and_b32_e32 v28, 7, v180
; %bb.309:                              ;   in Loop: Header=BB384_13 Depth=1
	s_or_b32 exec_lo, exec_lo, s23
	v_lshlrev_b32_e32 v180, 24, v179
	s_delay_alu instid0(VALU_DEP_2) | instskip(SKIP_1) | instid1(VALU_DEP_3)
	v_lshlrev_b32_e32 v28, 20, v28
	v_lshl_add_u32 v177, v177, 23, 0x3c000000
	v_and_b32_e32 v180, 0x80000000, v180
	s_delay_alu instid0(VALU_DEP_1)
	v_or3_b32 v28, v28, v180, v177
.LBB384_310:                            ;   in Loop: Header=BB384_13 Depth=1
	s_or_b32 exec_lo, exec_lo, s22
.LBB384_311:                            ;   in Loop: Header=BB384_13 Depth=1
	s_delay_alu instid0(SALU_CYCLE_1)
	s_or_b32 exec_lo, exec_lo, s21
.LBB384_312:                            ;   in Loop: Header=BB384_13 Depth=1
	s_delay_alu instid0(SALU_CYCLE_1) | instskip(NEXT) | instid1(VALU_DEP_1)
	s_or_b32 exec_lo, exec_lo, s20
	v_mul_f32_e32 v28, v130, v28
	s_delay_alu instid0(VALU_DEP_1) | instskip(NEXT) | instid1(VALU_DEP_1)
	v_and_b32_e32 v177, 0x7f800000, v28
	v_cmp_ne_u32_e64 s2, 0x7f800000, v177
                                        ; implicit-def: $vgpr177
	s_delay_alu instid0(VALU_DEP_1) | instskip(NEXT) | instid1(SALU_CYCLE_1)
	s_and_saveexec_b32 s20, s2
	s_xor_b32 s2, exec_lo, s20
; %bb.313:                              ;   in Loop: Header=BB384_13 Depth=1
	v_bfe_u32 v177, v28, 16, 1
	s_delay_alu instid0(VALU_DEP_1)
	v_add3_u32 v177, v28, v177, 0x7fff
                                        ; implicit-def: $vgpr28
; %bb.314:                              ;   in Loop: Header=BB384_13 Depth=1
	s_and_not1_saveexec_b32 s20, s2
; %bb.315:                              ;   in Loop: Header=BB384_13 Depth=1
	v_and_b32_e32 v177, 0xffff, v28
	v_or_b32_e32 v180, 0x10000, v28
	s_delay_alu instid0(VALU_DEP_2) | instskip(NEXT) | instid1(VALU_DEP_1)
	v_cmp_eq_u32_e64 s2, 0, v177
	v_cndmask_b32_e64 v177, v180, v28, s2
; %bb.316:                              ;   in Loop: Header=BB384_13 Depth=1
	s_or_b32 exec_lo, exec_lo, s20
	v_lshrrev_b16 v180, 8, v179
	v_mov_b32_e32 v28, 0
	s_mov_b32 s20, exec_lo
	s_delay_alu instid0(VALU_DEP_2)
	v_cmpx_ne_u16_e64 0, v180
	s_cbranch_execz .LBB384_324
; %bb.317:                              ;   in Loop: Header=BB384_13 Depth=1
	v_bfrev_b32_e32 v28, 1
	s_mov_b32 s21, exec_lo
	v_cmpx_ne_u16_e64 0x80, v180
	s_cbranch_execz .LBB384_323
; %bb.318:                              ;   in Loop: Header=BB384_13 Depth=1
	v_and_b32_e32 v180, 0xffff, v180
	v_mov_b32_e32 v28, 0x7f800001
	s_mov_b32 s22, exec_lo
	s_delay_alu instid0(VALU_DEP_2) | instskip(NEXT) | instid1(VALU_DEP_1)
	v_and_b32_e32 v181, 0x7f, v180
	v_cmpx_ne_u32_e32 0x7f, v181
	s_cbranch_execz .LBB384_322
; %bb.319:                              ;   in Loop: Header=BB384_13 Depth=1
	v_and_b32_e32 v28, 7, v180
	v_lshrrev_b32_e32 v180, 3, v181
	s_mov_b32 s23, exec_lo
	v_cmpx_gt_u32_e32 8, v181
; %bb.320:                              ;   in Loop: Header=BB384_13 Depth=1
	s_delay_alu instid0(VALU_DEP_3) | instskip(NEXT) | instid1(VALU_DEP_1)
	v_clz_i32_u32_e32 v180, v28
	v_min_u32_e32 v180, 32, v180
	s_delay_alu instid0(VALU_DEP_1) | instskip(SKIP_1) | instid1(VALU_DEP_2)
	v_subrev_nc_u32_e32 v181, 28, v180
	v_sub_nc_u32_e32 v180, 29, v180
	v_lshlrev_b64 v[181:182], v181, v[28:29]
	s_delay_alu instid0(VALU_DEP_1)
	v_and_b32_e32 v28, 7, v181
; %bb.321:                              ;   in Loop: Header=BB384_13 Depth=1
	s_or_b32 exec_lo, exec_lo, s23
	v_lshlrev_b32_e32 v179, 16, v179
	s_delay_alu instid0(VALU_DEP_2) | instskip(SKIP_1) | instid1(VALU_DEP_3)
	v_lshlrev_b32_e32 v28, 20, v28
	v_lshl_add_u32 v180, v180, 23, 0x3c000000
	v_and_b32_e32 v179, 0x80000000, v179
	s_delay_alu instid0(VALU_DEP_1)
	v_or3_b32 v28, v28, v179, v180
.LBB384_322:                            ;   in Loop: Header=BB384_13 Depth=1
	s_or_b32 exec_lo, exec_lo, s22
.LBB384_323:                            ;   in Loop: Header=BB384_13 Depth=1
	s_delay_alu instid0(SALU_CYCLE_1)
	s_or_b32 exec_lo, exec_lo, s21
.LBB384_324:                            ;   in Loop: Header=BB384_13 Depth=1
	s_delay_alu instid0(SALU_CYCLE_1) | instskip(NEXT) | instid1(VALU_DEP_1)
	s_or_b32 exec_lo, exec_lo, s20
	v_mul_f32_e32 v28, v130, v28
                                        ; implicit-def: $vgpr180
	s_delay_alu instid0(VALU_DEP_1) | instskip(NEXT) | instid1(VALU_DEP_1)
	v_and_b32_e32 v179, 0x7f800000, v28
	v_cmp_ne_u32_e64 s2, 0x7f800000, v179
	s_delay_alu instid0(VALU_DEP_1) | instskip(NEXT) | instid1(SALU_CYCLE_1)
	s_and_saveexec_b32 s20, s2
	s_xor_b32 s2, exec_lo, s20
; %bb.325:                              ;   in Loop: Header=BB384_13 Depth=1
	v_bfe_u32 v179, v28, 16, 1
	s_delay_alu instid0(VALU_DEP_1)
	v_add3_u32 v180, v28, v179, 0x7fff
                                        ; implicit-def: $vgpr28
; %bb.326:                              ;   in Loop: Header=BB384_13 Depth=1
	s_and_not1_saveexec_b32 s20, s2
; %bb.327:                              ;   in Loop: Header=BB384_13 Depth=1
	v_and_b32_e32 v179, 0xffff, v28
	v_or_b32_e32 v180, 0x10000, v28
	s_delay_alu instid0(VALU_DEP_2) | instskip(NEXT) | instid1(VALU_DEP_1)
	v_cmp_eq_u32_e64 s2, 0, v179
	v_cndmask_b32_e64 v180, v180, v28, s2
; %bb.328:                              ;   in Loop: Header=BB384_13 Depth=1
	s_or_b32 exec_lo, exec_lo, s20
	flat_load_u16 v28, v[80:81] offset:776
	s_mov_b32 s20, exec_lo
	s_waitcnt vmcnt(0) lgkmcnt(0)
	v_and_b32_e32 v179, 0xff, v28
	v_dual_mov_b32 v28, 0 :: v_dual_and_b32 v181, 0xffff, v28
	s_delay_alu instid0(VALU_DEP_2)
	v_cmpx_ne_u16_e64 0, v179
	s_cbranch_execz .LBB384_336
; %bb.329:                              ;   in Loop: Header=BB384_13 Depth=1
	s_delay_alu instid0(VALU_DEP_2) | instskip(NEXT) | instid1(VALU_DEP_1)
	v_and_b32_e32 v28, 0xff, v181
	v_cmp_ne_u16_e64 s2, 0x80, v28
	v_bfrev_b32_e32 v28, 1
	s_delay_alu instid0(VALU_DEP_2)
	s_and_saveexec_b32 s21, s2
	s_cbranch_execz .LBB384_335
; %bb.330:                              ;   in Loop: Header=BB384_13 Depth=1
	v_and_b32_e32 v182, 0x7f, v181
	v_mov_b32_e32 v28, 0x7f800001
	s_mov_b32 s22, exec_lo
	s_delay_alu instid0(VALU_DEP_2)
	v_cmpx_ne_u32_e32 0x7f, v182
	s_cbranch_execz .LBB384_334
; %bb.331:                              ;   in Loop: Header=BB384_13 Depth=1
	v_and_b32_e32 v28, 7, v181
	v_lshrrev_b32_e32 v179, 3, v182
	s_mov_b32 s23, exec_lo
	v_cmpx_gt_u32_e32 8, v182
; %bb.332:                              ;   in Loop: Header=BB384_13 Depth=1
	s_delay_alu instid0(VALU_DEP_3) | instskip(NEXT) | instid1(VALU_DEP_1)
	v_clz_i32_u32_e32 v179, v28
	v_min_u32_e32 v179, 32, v179
	s_delay_alu instid0(VALU_DEP_1) | instskip(SKIP_1) | instid1(VALU_DEP_2)
	v_subrev_nc_u32_e32 v182, 28, v179
	v_sub_nc_u32_e32 v179, 29, v179
	v_lshlrev_b64 v[182:183], v182, v[28:29]
	s_delay_alu instid0(VALU_DEP_1)
	v_and_b32_e32 v28, 7, v182
; %bb.333:                              ;   in Loop: Header=BB384_13 Depth=1
	s_or_b32 exec_lo, exec_lo, s23
	v_lshlrev_b32_e32 v182, 24, v181
	s_delay_alu instid0(VALU_DEP_2) | instskip(SKIP_1) | instid1(VALU_DEP_3)
	v_lshlrev_b32_e32 v28, 20, v28
	v_lshl_add_u32 v179, v179, 23, 0x3c000000
	v_and_b32_e32 v182, 0x80000000, v182
	s_delay_alu instid0(VALU_DEP_1)
	v_or3_b32 v28, v28, v182, v179
.LBB384_334:                            ;   in Loop: Header=BB384_13 Depth=1
	s_or_b32 exec_lo, exec_lo, s22
.LBB384_335:                            ;   in Loop: Header=BB384_13 Depth=1
	s_delay_alu instid0(SALU_CYCLE_1)
	s_or_b32 exec_lo, exec_lo, s21
.LBB384_336:                            ;   in Loop: Header=BB384_13 Depth=1
	s_delay_alu instid0(SALU_CYCLE_1) | instskip(NEXT) | instid1(VALU_DEP_1)
	s_or_b32 exec_lo, exec_lo, s20
	v_mul_f32_e32 v28, v130, v28
	s_delay_alu instid0(VALU_DEP_1) | instskip(NEXT) | instid1(VALU_DEP_1)
	v_and_b32_e32 v179, 0x7f800000, v28
	v_cmp_ne_u32_e64 s2, 0x7f800000, v179
                                        ; implicit-def: $vgpr179
	s_delay_alu instid0(VALU_DEP_1) | instskip(NEXT) | instid1(SALU_CYCLE_1)
	s_and_saveexec_b32 s20, s2
	s_xor_b32 s2, exec_lo, s20
; %bb.337:                              ;   in Loop: Header=BB384_13 Depth=1
	v_bfe_u32 v179, v28, 16, 1
	s_delay_alu instid0(VALU_DEP_1)
	v_add3_u32 v179, v28, v179, 0x7fff
                                        ; implicit-def: $vgpr28
; %bb.338:                              ;   in Loop: Header=BB384_13 Depth=1
	s_and_not1_saveexec_b32 s20, s2
; %bb.339:                              ;   in Loop: Header=BB384_13 Depth=1
	v_and_b32_e32 v179, 0xffff, v28
	v_or_b32_e32 v182, 0x10000, v28
	s_delay_alu instid0(VALU_DEP_2) | instskip(NEXT) | instid1(VALU_DEP_1)
	v_cmp_eq_u32_e64 s2, 0, v179
	v_cndmask_b32_e64 v179, v182, v28, s2
; %bb.340:                              ;   in Loop: Header=BB384_13 Depth=1
	s_or_b32 exec_lo, exec_lo, s20
	v_lshrrev_b16 v182, 8, v181
	v_mov_b32_e32 v28, 0
	s_mov_b32 s20, exec_lo
	s_delay_alu instid0(VALU_DEP_2)
	v_cmpx_ne_u16_e64 0, v182
	s_cbranch_execz .LBB384_348
; %bb.341:                              ;   in Loop: Header=BB384_13 Depth=1
	v_bfrev_b32_e32 v28, 1
	s_mov_b32 s21, exec_lo
	v_cmpx_ne_u16_e64 0x80, v182
	s_cbranch_execz .LBB384_347
; %bb.342:                              ;   in Loop: Header=BB384_13 Depth=1
	v_and_b32_e32 v182, 0xffff, v182
	v_mov_b32_e32 v28, 0x7f800001
	s_mov_b32 s22, exec_lo
	s_delay_alu instid0(VALU_DEP_2) | instskip(NEXT) | instid1(VALU_DEP_1)
	v_and_b32_e32 v183, 0x7f, v182
	v_cmpx_ne_u32_e32 0x7f, v183
	s_cbranch_execz .LBB384_346
; %bb.343:                              ;   in Loop: Header=BB384_13 Depth=1
	v_and_b32_e32 v28, 7, v182
	v_lshrrev_b32_e32 v182, 3, v183
	s_mov_b32 s23, exec_lo
	v_cmpx_gt_u32_e32 8, v183
; %bb.344:                              ;   in Loop: Header=BB384_13 Depth=1
	s_delay_alu instid0(VALU_DEP_3) | instskip(NEXT) | instid1(VALU_DEP_1)
	v_clz_i32_u32_e32 v182, v28
	v_min_u32_e32 v182, 32, v182
	s_delay_alu instid0(VALU_DEP_1) | instskip(SKIP_1) | instid1(VALU_DEP_2)
	v_subrev_nc_u32_e32 v183, 28, v182
	v_sub_nc_u32_e32 v182, 29, v182
	v_lshlrev_b64 v[40:41], v183, v[28:29]
	s_delay_alu instid0(VALU_DEP_1)
	v_and_b32_e32 v28, 7, v40
; %bb.345:                              ;   in Loop: Header=BB384_13 Depth=1
	s_or_b32 exec_lo, exec_lo, s23
	v_lshlrev_b32_e32 v181, 16, v181
	s_delay_alu instid0(VALU_DEP_2) | instskip(SKIP_1) | instid1(VALU_DEP_3)
	v_lshlrev_b32_e32 v28, 20, v28
	v_lshl_add_u32 v182, v182, 23, 0x3c000000
	v_and_b32_e32 v181, 0x80000000, v181
	s_delay_alu instid0(VALU_DEP_1)
	v_or3_b32 v28, v28, v181, v182
.LBB384_346:                            ;   in Loop: Header=BB384_13 Depth=1
	s_or_b32 exec_lo, exec_lo, s22
.LBB384_347:                            ;   in Loop: Header=BB384_13 Depth=1
	s_delay_alu instid0(SALU_CYCLE_1)
	s_or_b32 exec_lo, exec_lo, s21
.LBB384_348:                            ;   in Loop: Header=BB384_13 Depth=1
	s_delay_alu instid0(SALU_CYCLE_1) | instskip(NEXT) | instid1(VALU_DEP_1)
	s_or_b32 exec_lo, exec_lo, s20
	v_mul_f32_e32 v28, v130, v28
                                        ; implicit-def: $vgpr182
	s_delay_alu instid0(VALU_DEP_1) | instskip(NEXT) | instid1(VALU_DEP_1)
	v_and_b32_e32 v181, 0x7f800000, v28
	v_cmp_ne_u32_e64 s2, 0x7f800000, v181
	s_delay_alu instid0(VALU_DEP_1) | instskip(NEXT) | instid1(SALU_CYCLE_1)
	s_and_saveexec_b32 s20, s2
	s_xor_b32 s2, exec_lo, s20
; %bb.349:                              ;   in Loop: Header=BB384_13 Depth=1
	v_bfe_u32 v181, v28, 16, 1
	s_delay_alu instid0(VALU_DEP_1)
	v_add3_u32 v182, v28, v181, 0x7fff
                                        ; implicit-def: $vgpr28
; %bb.350:                              ;   in Loop: Header=BB384_13 Depth=1
	s_and_not1_saveexec_b32 s20, s2
; %bb.351:                              ;   in Loop: Header=BB384_13 Depth=1
	v_and_b32_e32 v181, 0xffff, v28
	v_or_b32_e32 v182, 0x10000, v28
	s_delay_alu instid0(VALU_DEP_2) | instskip(NEXT) | instid1(VALU_DEP_1)
	v_cmp_eq_u32_e64 s2, 0, v181
	v_cndmask_b32_e64 v182, v182, v28, s2
; %bb.352:                              ;   in Loop: Header=BB384_13 Depth=1
	s_or_b32 exec_lo, exec_lo, s20
	flat_load_u16 v28, v[80:81] offset:896
	s_mov_b32 s20, exec_lo
	s_waitcnt vmcnt(0) lgkmcnt(0)
	v_and_b32_e32 v181, 0xff, v28
	v_dual_mov_b32 v28, 0 :: v_dual_and_b32 v183, 0xffff, v28
	s_delay_alu instid0(VALU_DEP_2)
	v_cmpx_ne_u16_e64 0, v181
	s_cbranch_execz .LBB384_360
; %bb.353:                              ;   in Loop: Header=BB384_13 Depth=1
	s_delay_alu instid0(VALU_DEP_2) | instskip(NEXT) | instid1(VALU_DEP_1)
	v_and_b32_e32 v28, 0xff, v183
	v_cmp_ne_u16_e64 s2, 0x80, v28
	v_bfrev_b32_e32 v28, 1
	s_delay_alu instid0(VALU_DEP_2)
	s_and_saveexec_b32 s21, s2
	s_cbranch_execz .LBB384_359
; %bb.354:                              ;   in Loop: Header=BB384_13 Depth=1
	v_and_b32_e32 v40, 0x7f, v183
	v_mov_b32_e32 v28, 0x7f800001
	s_mov_b32 s22, exec_lo
	s_delay_alu instid0(VALU_DEP_2)
	v_cmpx_ne_u32_e32 0x7f, v40
	s_cbranch_execz .LBB384_358
; %bb.355:                              ;   in Loop: Header=BB384_13 Depth=1
	v_and_b32_e32 v28, 7, v183
	v_lshrrev_b32_e32 v181, 3, v40
	s_mov_b32 s23, exec_lo
	v_cmpx_gt_u32_e32 8, v40
; %bb.356:                              ;   in Loop: Header=BB384_13 Depth=1
	s_delay_alu instid0(VALU_DEP_3) | instskip(NEXT) | instid1(VALU_DEP_1)
	v_clz_i32_u32_e32 v181, v28
	v_min_u32_e32 v181, 32, v181
	s_delay_alu instid0(VALU_DEP_1) | instskip(SKIP_1) | instid1(VALU_DEP_2)
	v_subrev_nc_u32_e32 v40, 28, v181
	v_sub_nc_u32_e32 v181, 29, v181
	v_lshlrev_b64 v[40:41], v40, v[28:29]
	s_delay_alu instid0(VALU_DEP_1)
	v_and_b32_e32 v28, 7, v40
; %bb.357:                              ;   in Loop: Header=BB384_13 Depth=1
	s_or_b32 exec_lo, exec_lo, s23
	v_lshlrev_b32_e32 v40, 24, v183
	s_delay_alu instid0(VALU_DEP_2) | instskip(SKIP_1) | instid1(VALU_DEP_3)
	v_lshlrev_b32_e32 v28, 20, v28
	v_lshl_add_u32 v181, v181, 23, 0x3c000000
	v_and_b32_e32 v40, 0x80000000, v40
	s_delay_alu instid0(VALU_DEP_1)
	v_or3_b32 v28, v28, v40, v181
.LBB384_358:                            ;   in Loop: Header=BB384_13 Depth=1
	s_or_b32 exec_lo, exec_lo, s22
.LBB384_359:                            ;   in Loop: Header=BB384_13 Depth=1
	s_delay_alu instid0(SALU_CYCLE_1)
	s_or_b32 exec_lo, exec_lo, s21
.LBB384_360:                            ;   in Loop: Header=BB384_13 Depth=1
	s_delay_alu instid0(SALU_CYCLE_1) | instskip(NEXT) | instid1(VALU_DEP_1)
	s_or_b32 exec_lo, exec_lo, s20
	v_mul_f32_e32 v28, v130, v28
	s_delay_alu instid0(VALU_DEP_1) | instskip(NEXT) | instid1(VALU_DEP_1)
	v_and_b32_e32 v181, 0x7f800000, v28
	v_cmp_ne_u32_e64 s2, 0x7f800000, v181
                                        ; implicit-def: $vgpr181
	s_delay_alu instid0(VALU_DEP_1) | instskip(NEXT) | instid1(SALU_CYCLE_1)
	s_and_saveexec_b32 s20, s2
	s_xor_b32 s2, exec_lo, s20
; %bb.361:                              ;   in Loop: Header=BB384_13 Depth=1
	v_bfe_u32 v181, v28, 16, 1
	s_delay_alu instid0(VALU_DEP_1)
	v_add3_u32 v181, v28, v181, 0x7fff
                                        ; implicit-def: $vgpr28
; %bb.362:                              ;   in Loop: Header=BB384_13 Depth=1
	s_and_not1_saveexec_b32 s20, s2
; %bb.363:                              ;   in Loop: Header=BB384_13 Depth=1
	v_and_b32_e32 v181, 0xffff, v28
	v_or_b32_e32 v40, 0x10000, v28
	s_delay_alu instid0(VALU_DEP_2) | instskip(NEXT) | instid1(VALU_DEP_1)
	v_cmp_eq_u32_e64 s2, 0, v181
	v_cndmask_b32_e64 v181, v40, v28, s2
; %bb.364:                              ;   in Loop: Header=BB384_13 Depth=1
	s_or_b32 exec_lo, exec_lo, s20
	v_lshrrev_b16 v40, 8, v183
	v_mov_b32_e32 v28, 0
	s_mov_b32 s20, exec_lo
	s_delay_alu instid0(VALU_DEP_2)
	v_cmpx_ne_u16_e32 0, v40
	s_cbranch_execz .LBB384_372
; %bb.365:                              ;   in Loop: Header=BB384_13 Depth=1
	v_bfrev_b32_e32 v28, 1
	s_mov_b32 s21, exec_lo
	v_cmpx_ne_u16_e32 0x80, v40
	s_cbranch_execz .LBB384_371
; %bb.366:                              ;   in Loop: Header=BB384_13 Depth=1
	v_and_b32_e32 v40, 0xffff, v40
	v_mov_b32_e32 v28, 0x7f800001
	s_mov_b32 s22, exec_lo
	s_delay_alu instid0(VALU_DEP_2) | instskip(NEXT) | instid1(VALU_DEP_1)
	v_and_b32_e32 v41, 0x7f, v40
	v_cmpx_ne_u32_e32 0x7f, v41
	s_cbranch_execz .LBB384_370
; %bb.367:                              ;   in Loop: Header=BB384_13 Depth=1
	v_and_b32_e32 v28, 7, v40
	v_lshrrev_b32_e32 v40, 3, v41
	s_mov_b32 s23, exec_lo
	v_cmpx_gt_u32_e32 8, v41
; %bb.368:                              ;   in Loop: Header=BB384_13 Depth=1
	s_delay_alu instid0(VALU_DEP_3) | instskip(NEXT) | instid1(VALU_DEP_1)
	v_clz_i32_u32_e32 v40, v28
	v_min_u32_e32 v40, 32, v40
	s_delay_alu instid0(VALU_DEP_1) | instskip(SKIP_1) | instid1(VALU_DEP_2)
	v_subrev_nc_u32_e32 v41, 28, v40
	v_sub_nc_u32_e32 v40, 29, v40
	v_lshlrev_b64 v[41:42], v41, v[28:29]
	s_delay_alu instid0(VALU_DEP_1)
	v_and_b32_e32 v28, 7, v41
; %bb.369:                              ;   in Loop: Header=BB384_13 Depth=1
	s_or_b32 exec_lo, exec_lo, s23
	v_lshlrev_b32_e32 v183, 16, v183
	s_delay_alu instid0(VALU_DEP_2) | instskip(SKIP_1) | instid1(VALU_DEP_3)
	v_lshlrev_b32_e32 v28, 20, v28
	v_lshl_add_u32 v40, v40, 23, 0x3c000000
	v_and_b32_e32 v183, 0x80000000, v183
	s_delay_alu instid0(VALU_DEP_1)
	v_or3_b32 v28, v28, v183, v40
.LBB384_370:                            ;   in Loop: Header=BB384_13 Depth=1
	s_or_b32 exec_lo, exec_lo, s22
.LBB384_371:                            ;   in Loop: Header=BB384_13 Depth=1
	s_delay_alu instid0(SALU_CYCLE_1)
	s_or_b32 exec_lo, exec_lo, s21
.LBB384_372:                            ;   in Loop: Header=BB384_13 Depth=1
	s_delay_alu instid0(SALU_CYCLE_1) | instskip(NEXT) | instid1(VALU_DEP_1)
	s_or_b32 exec_lo, exec_lo, s20
	v_mul_f32_e32 v28, v130, v28
                                        ; implicit-def: $vgpr40
	s_delay_alu instid0(VALU_DEP_1) | instskip(NEXT) | instid1(VALU_DEP_1)
	v_and_b32_e32 v183, 0x7f800000, v28
	v_cmp_ne_u32_e64 s2, 0x7f800000, v183
	s_delay_alu instid0(VALU_DEP_1) | instskip(NEXT) | instid1(SALU_CYCLE_1)
	s_and_saveexec_b32 s20, s2
	s_xor_b32 s2, exec_lo, s20
; %bb.373:                              ;   in Loop: Header=BB384_13 Depth=1
	v_bfe_u32 v183, v28, 16, 1
	s_delay_alu instid0(VALU_DEP_1)
	v_add3_u32 v40, v28, v183, 0x7fff
                                        ; implicit-def: $vgpr28
; %bb.374:                              ;   in Loop: Header=BB384_13 Depth=1
	s_and_not1_saveexec_b32 s20, s2
; %bb.375:                              ;   in Loop: Header=BB384_13 Depth=1
	v_and_b32_e32 v183, 0xffff, v28
	v_or_b32_e32 v40, 0x10000, v28
	s_delay_alu instid0(VALU_DEP_2) | instskip(NEXT) | instid1(VALU_DEP_1)
	v_cmp_eq_u32_e64 s2, 0, v183
	v_cndmask_b32_e64 v40, v40, v28, s2
; %bb.376:                              ;   in Loop: Header=BB384_13 Depth=1
	s_or_b32 exec_lo, exec_lo, s20
	flat_load_u16 v28, v[80:81] offset:904
	s_mov_b32 s20, exec_lo
	s_waitcnt vmcnt(0) lgkmcnt(0)
	v_and_b32_e32 v183, 0xff, v28
	v_dual_mov_b32 v28, 0 :: v_dual_and_b32 v41, 0xffff, v28
	s_delay_alu instid0(VALU_DEP_2)
	v_cmpx_ne_u16_e64 0, v183
	s_cbranch_execz .LBB384_384
; %bb.377:                              ;   in Loop: Header=BB384_13 Depth=1
	s_delay_alu instid0(VALU_DEP_2) | instskip(NEXT) | instid1(VALU_DEP_1)
	v_and_b32_e32 v28, 0xff, v41
	v_cmp_ne_u16_e64 s2, 0x80, v28
	v_bfrev_b32_e32 v28, 1
	s_delay_alu instid0(VALU_DEP_2)
	s_and_saveexec_b32 s21, s2
	s_cbranch_execz .LBB384_383
; %bb.378:                              ;   in Loop: Header=BB384_13 Depth=1
	v_and_b32_e32 v42, 0x7f, v41
	v_mov_b32_e32 v28, 0x7f800001
	s_mov_b32 s22, exec_lo
	s_delay_alu instid0(VALU_DEP_2)
	v_cmpx_ne_u32_e32 0x7f, v42
	s_cbranch_execz .LBB384_382
; %bb.379:                              ;   in Loop: Header=BB384_13 Depth=1
	v_and_b32_e32 v28, 7, v41
	v_lshrrev_b32_e32 v183, 3, v42
	s_mov_b32 s23, exec_lo
	v_cmpx_gt_u32_e32 8, v42
; %bb.380:                              ;   in Loop: Header=BB384_13 Depth=1
	s_delay_alu instid0(VALU_DEP_3) | instskip(NEXT) | instid1(VALU_DEP_1)
	v_clz_i32_u32_e32 v183, v28
	v_min_u32_e32 v183, 32, v183
	s_delay_alu instid0(VALU_DEP_1) | instskip(SKIP_1) | instid1(VALU_DEP_2)
	v_subrev_nc_u32_e32 v42, 28, v183
	v_sub_nc_u32_e32 v183, 29, v183
	v_lshlrev_b64 v[42:43], v42, v[28:29]
	s_delay_alu instid0(VALU_DEP_1)
	v_and_b32_e32 v28, 7, v42
; %bb.381:                              ;   in Loop: Header=BB384_13 Depth=1
	s_or_b32 exec_lo, exec_lo, s23
	v_lshlrev_b32_e32 v42, 24, v41
	s_delay_alu instid0(VALU_DEP_2) | instskip(SKIP_1) | instid1(VALU_DEP_3)
	v_lshlrev_b32_e32 v28, 20, v28
	v_lshl_add_u32 v183, v183, 23, 0x3c000000
	v_and_b32_e32 v42, 0x80000000, v42
	s_delay_alu instid0(VALU_DEP_1)
	v_or3_b32 v28, v28, v42, v183
.LBB384_382:                            ;   in Loop: Header=BB384_13 Depth=1
	s_or_b32 exec_lo, exec_lo, s22
.LBB384_383:                            ;   in Loop: Header=BB384_13 Depth=1
	s_delay_alu instid0(SALU_CYCLE_1)
	s_or_b32 exec_lo, exec_lo, s21
.LBB384_384:                            ;   in Loop: Header=BB384_13 Depth=1
	s_delay_alu instid0(SALU_CYCLE_1) | instskip(NEXT) | instid1(VALU_DEP_1)
	s_or_b32 exec_lo, exec_lo, s20
	v_mul_f32_e32 v28, v130, v28
	s_delay_alu instid0(VALU_DEP_1) | instskip(NEXT) | instid1(VALU_DEP_1)
	v_and_b32_e32 v183, 0x7f800000, v28
	v_cmp_ne_u32_e64 s2, 0x7f800000, v183
                                        ; implicit-def: $vgpr183
	s_delay_alu instid0(VALU_DEP_1) | instskip(NEXT) | instid1(SALU_CYCLE_1)
	s_and_saveexec_b32 s20, s2
	s_xor_b32 s2, exec_lo, s20
; %bb.385:                              ;   in Loop: Header=BB384_13 Depth=1
	v_bfe_u32 v183, v28, 16, 1
	s_delay_alu instid0(VALU_DEP_1)
	v_add3_u32 v183, v28, v183, 0x7fff
                                        ; implicit-def: $vgpr28
; %bb.386:                              ;   in Loop: Header=BB384_13 Depth=1
	s_and_not1_saveexec_b32 s20, s2
; %bb.387:                              ;   in Loop: Header=BB384_13 Depth=1
	v_and_b32_e32 v183, 0xffff, v28
	v_or_b32_e32 v42, 0x10000, v28
	s_delay_alu instid0(VALU_DEP_2) | instskip(NEXT) | instid1(VALU_DEP_1)
	v_cmp_eq_u32_e64 s2, 0, v183
	v_cndmask_b32_e64 v183, v42, v28, s2
; %bb.388:                              ;   in Loop: Header=BB384_13 Depth=1
	s_or_b32 exec_lo, exec_lo, s20
	v_lshrrev_b16 v42, 8, v41
	v_mov_b32_e32 v28, 0
	s_mov_b32 s20, exec_lo
	s_delay_alu instid0(VALU_DEP_2)
	v_cmpx_ne_u16_e32 0, v42
	s_cbranch_execz .LBB384_396
; %bb.389:                              ;   in Loop: Header=BB384_13 Depth=1
	v_bfrev_b32_e32 v28, 1
	s_mov_b32 s21, exec_lo
	v_cmpx_ne_u16_e32 0x80, v42
	s_cbranch_execz .LBB384_395
; %bb.390:                              ;   in Loop: Header=BB384_13 Depth=1
	v_and_b32_e32 v42, 0xffff, v42
	v_mov_b32_e32 v28, 0x7f800001
	s_mov_b32 s22, exec_lo
	s_delay_alu instid0(VALU_DEP_2) | instskip(NEXT) | instid1(VALU_DEP_1)
	v_and_b32_e32 v43, 0x7f, v42
	v_cmpx_ne_u32_e32 0x7f, v43
	s_cbranch_execz .LBB384_394
; %bb.391:                              ;   in Loop: Header=BB384_13 Depth=1
	v_and_b32_e32 v28, 7, v42
	v_lshrrev_b32_e32 v42, 3, v43
	s_mov_b32 s23, exec_lo
	v_cmpx_gt_u32_e32 8, v43
; %bb.392:                              ;   in Loop: Header=BB384_13 Depth=1
	s_delay_alu instid0(VALU_DEP_3) | instskip(NEXT) | instid1(VALU_DEP_1)
	v_clz_i32_u32_e32 v42, v28
	v_min_u32_e32 v42, 32, v42
	s_delay_alu instid0(VALU_DEP_1) | instskip(SKIP_1) | instid1(VALU_DEP_2)
	v_subrev_nc_u32_e32 v43, 28, v42
	v_sub_nc_u32_e32 v42, 29, v42
	v_lshlrev_b64 v[43:44], v43, v[28:29]
	s_delay_alu instid0(VALU_DEP_1)
	v_and_b32_e32 v28, 7, v43
; %bb.393:                              ;   in Loop: Header=BB384_13 Depth=1
	s_or_b32 exec_lo, exec_lo, s23
	v_lshlrev_b32_e32 v41, 16, v41
	s_delay_alu instid0(VALU_DEP_2) | instskip(SKIP_1) | instid1(VALU_DEP_3)
	v_lshlrev_b32_e32 v28, 20, v28
	v_lshl_add_u32 v42, v42, 23, 0x3c000000
	v_and_b32_e32 v41, 0x80000000, v41
	s_delay_alu instid0(VALU_DEP_1)
	v_or3_b32 v28, v28, v41, v42
.LBB384_394:                            ;   in Loop: Header=BB384_13 Depth=1
	s_or_b32 exec_lo, exec_lo, s22
.LBB384_395:                            ;   in Loop: Header=BB384_13 Depth=1
	s_delay_alu instid0(SALU_CYCLE_1)
	s_or_b32 exec_lo, exec_lo, s21
.LBB384_396:                            ;   in Loop: Header=BB384_13 Depth=1
	s_delay_alu instid0(SALU_CYCLE_1) | instskip(NEXT) | instid1(VALU_DEP_1)
	s_or_b32 exec_lo, exec_lo, s20
	v_mul_f32_e32 v28, v130, v28
                                        ; implicit-def: $vgpr42
	s_delay_alu instid0(VALU_DEP_1) | instskip(NEXT) | instid1(VALU_DEP_1)
	v_and_b32_e32 v41, 0x7f800000, v28
	v_cmp_ne_u32_e64 s2, 0x7f800000, v41
	s_delay_alu instid0(VALU_DEP_1) | instskip(NEXT) | instid1(SALU_CYCLE_1)
	s_and_saveexec_b32 s20, s2
	s_xor_b32 s2, exec_lo, s20
; %bb.397:                              ;   in Loop: Header=BB384_13 Depth=1
	v_bfe_u32 v41, v28, 16, 1
	s_delay_alu instid0(VALU_DEP_1)
	v_add3_u32 v42, v28, v41, 0x7fff
                                        ; implicit-def: $vgpr28
; %bb.398:                              ;   in Loop: Header=BB384_13 Depth=1
	s_and_not1_saveexec_b32 s20, s2
; %bb.399:                              ;   in Loop: Header=BB384_13 Depth=1
	v_and_b32_e32 v41, 0xffff, v28
	v_or_b32_e32 v42, 0x10000, v28
	s_delay_alu instid0(VALU_DEP_2) | instskip(NEXT) | instid1(VALU_DEP_1)
	v_cmp_eq_u32_e64 s2, 0, v41
	v_cndmask_b32_e64 v42, v42, v28, s2
; %bb.400:                              ;   in Loop: Header=BB384_13 Depth=1
	s_or_b32 exec_lo, exec_lo, s20
	flat_load_u16 v28, v[80:81] offset:1024
	s_mov_b32 s20, exec_lo
	s_waitcnt vmcnt(0) lgkmcnt(0)
	v_and_b32_e32 v41, 0xff, v28
	v_dual_mov_b32 v28, 0 :: v_dual_and_b32 v43, 0xffff, v28
	s_delay_alu instid0(VALU_DEP_2)
	v_cmpx_ne_u16_e32 0, v41
	s_cbranch_execz .LBB384_408
; %bb.401:                              ;   in Loop: Header=BB384_13 Depth=1
	s_delay_alu instid0(VALU_DEP_2) | instskip(NEXT) | instid1(VALU_DEP_1)
	v_and_b32_e32 v28, 0xff, v43
	v_cmp_ne_u16_e64 s2, 0x80, v28
	v_bfrev_b32_e32 v28, 1
	s_delay_alu instid0(VALU_DEP_2)
	s_and_saveexec_b32 s21, s2
	s_cbranch_execz .LBB384_407
; %bb.402:                              ;   in Loop: Header=BB384_13 Depth=1
	v_and_b32_e32 v44, 0x7f, v43
	v_mov_b32_e32 v28, 0x7f800001
	s_mov_b32 s22, exec_lo
	s_delay_alu instid0(VALU_DEP_2)
	v_cmpx_ne_u32_e32 0x7f, v44
	s_cbranch_execz .LBB384_406
; %bb.403:                              ;   in Loop: Header=BB384_13 Depth=1
	v_and_b32_e32 v28, 7, v43
	v_lshrrev_b32_e32 v41, 3, v44
	s_mov_b32 s23, exec_lo
	v_cmpx_gt_u32_e32 8, v44
; %bb.404:                              ;   in Loop: Header=BB384_13 Depth=1
	s_delay_alu instid0(VALU_DEP_3) | instskip(NEXT) | instid1(VALU_DEP_1)
	v_clz_i32_u32_e32 v41, v28
	v_min_u32_e32 v41, 32, v41
	s_delay_alu instid0(VALU_DEP_1) | instskip(SKIP_1) | instid1(VALU_DEP_2)
	v_subrev_nc_u32_e32 v44, 28, v41
	v_sub_nc_u32_e32 v41, 29, v41
	v_lshlrev_b64 v[44:45], v44, v[28:29]
	s_delay_alu instid0(VALU_DEP_1)
	v_and_b32_e32 v28, 7, v44
; %bb.405:                              ;   in Loop: Header=BB384_13 Depth=1
	s_or_b32 exec_lo, exec_lo, s23
	v_lshlrev_b32_e32 v44, 24, v43
	s_delay_alu instid0(VALU_DEP_2) | instskip(SKIP_1) | instid1(VALU_DEP_3)
	v_lshlrev_b32_e32 v28, 20, v28
	v_lshl_add_u32 v41, v41, 23, 0x3c000000
	v_and_b32_e32 v44, 0x80000000, v44
	s_delay_alu instid0(VALU_DEP_1)
	v_or3_b32 v28, v28, v44, v41
.LBB384_406:                            ;   in Loop: Header=BB384_13 Depth=1
	s_or_b32 exec_lo, exec_lo, s22
.LBB384_407:                            ;   in Loop: Header=BB384_13 Depth=1
	s_delay_alu instid0(SALU_CYCLE_1)
	s_or_b32 exec_lo, exec_lo, s21
.LBB384_408:                            ;   in Loop: Header=BB384_13 Depth=1
	s_delay_alu instid0(SALU_CYCLE_1) | instskip(NEXT) | instid1(VALU_DEP_1)
	s_or_b32 exec_lo, exec_lo, s20
	v_mul_f32_e32 v28, v130, v28
	s_delay_alu instid0(VALU_DEP_1) | instskip(NEXT) | instid1(VALU_DEP_1)
	v_and_b32_e32 v41, 0x7f800000, v28
	v_cmp_ne_u32_e64 s2, 0x7f800000, v41
                                        ; implicit-def: $vgpr41
	s_delay_alu instid0(VALU_DEP_1) | instskip(NEXT) | instid1(SALU_CYCLE_1)
	s_and_saveexec_b32 s20, s2
	s_xor_b32 s2, exec_lo, s20
; %bb.409:                              ;   in Loop: Header=BB384_13 Depth=1
	v_bfe_u32 v41, v28, 16, 1
	s_delay_alu instid0(VALU_DEP_1)
	v_add3_u32 v41, v28, v41, 0x7fff
                                        ; implicit-def: $vgpr28
; %bb.410:                              ;   in Loop: Header=BB384_13 Depth=1
	s_and_not1_saveexec_b32 s20, s2
; %bb.411:                              ;   in Loop: Header=BB384_13 Depth=1
	v_and_b32_e32 v41, 0xffff, v28
	v_or_b32_e32 v44, 0x10000, v28
	s_delay_alu instid0(VALU_DEP_2) | instskip(NEXT) | instid1(VALU_DEP_1)
	v_cmp_eq_u32_e64 s2, 0, v41
	v_cndmask_b32_e64 v41, v44, v28, s2
; %bb.412:                              ;   in Loop: Header=BB384_13 Depth=1
	s_or_b32 exec_lo, exec_lo, s20
	v_lshrrev_b16 v44, 8, v43
	v_mov_b32_e32 v28, 0
	s_mov_b32 s20, exec_lo
	s_delay_alu instid0(VALU_DEP_2)
	v_cmpx_ne_u16_e32 0, v44
	s_cbranch_execz .LBB384_420
; %bb.413:                              ;   in Loop: Header=BB384_13 Depth=1
	v_bfrev_b32_e32 v28, 1
	s_mov_b32 s21, exec_lo
	v_cmpx_ne_u16_e32 0x80, v44
	s_cbranch_execz .LBB384_419
; %bb.414:                              ;   in Loop: Header=BB384_13 Depth=1
	v_and_b32_e32 v44, 0xffff, v44
	v_mov_b32_e32 v28, 0x7f800001
	s_mov_b32 s22, exec_lo
	s_delay_alu instid0(VALU_DEP_2) | instskip(NEXT) | instid1(VALU_DEP_1)
	v_and_b32_e32 v45, 0x7f, v44
	v_cmpx_ne_u32_e32 0x7f, v45
	s_cbranch_execz .LBB384_418
; %bb.415:                              ;   in Loop: Header=BB384_13 Depth=1
	v_and_b32_e32 v28, 7, v44
	v_lshrrev_b32_e32 v44, 3, v45
	s_mov_b32 s23, exec_lo
	v_cmpx_gt_u32_e32 8, v45
; %bb.416:                              ;   in Loop: Header=BB384_13 Depth=1
	s_delay_alu instid0(VALU_DEP_3) | instskip(NEXT) | instid1(VALU_DEP_1)
	v_clz_i32_u32_e32 v44, v28
	v_min_u32_e32 v44, 32, v44
	s_delay_alu instid0(VALU_DEP_1) | instskip(SKIP_1) | instid1(VALU_DEP_2)
	v_subrev_nc_u32_e32 v45, 28, v44
	v_sub_nc_u32_e32 v44, 29, v44
	v_lshlrev_b64 v[45:46], v45, v[28:29]
	s_delay_alu instid0(VALU_DEP_1)
	v_and_b32_e32 v28, 7, v45
; %bb.417:                              ;   in Loop: Header=BB384_13 Depth=1
	s_or_b32 exec_lo, exec_lo, s23
	v_lshlrev_b32_e32 v43, 16, v43
	s_delay_alu instid0(VALU_DEP_2) | instskip(SKIP_1) | instid1(VALU_DEP_3)
	v_lshlrev_b32_e32 v28, 20, v28
	v_lshl_add_u32 v44, v44, 23, 0x3c000000
	v_and_b32_e32 v43, 0x80000000, v43
	s_delay_alu instid0(VALU_DEP_1)
	v_or3_b32 v28, v28, v43, v44
.LBB384_418:                            ;   in Loop: Header=BB384_13 Depth=1
	s_or_b32 exec_lo, exec_lo, s22
.LBB384_419:                            ;   in Loop: Header=BB384_13 Depth=1
	s_delay_alu instid0(SALU_CYCLE_1)
	s_or_b32 exec_lo, exec_lo, s21
.LBB384_420:                            ;   in Loop: Header=BB384_13 Depth=1
	s_delay_alu instid0(SALU_CYCLE_1) | instskip(NEXT) | instid1(VALU_DEP_1)
	s_or_b32 exec_lo, exec_lo, s20
	v_mul_f32_e32 v28, v130, v28
                                        ; implicit-def: $vgpr44
	s_delay_alu instid0(VALU_DEP_1) | instskip(NEXT) | instid1(VALU_DEP_1)
	v_and_b32_e32 v43, 0x7f800000, v28
	v_cmp_ne_u32_e64 s2, 0x7f800000, v43
	s_delay_alu instid0(VALU_DEP_1) | instskip(NEXT) | instid1(SALU_CYCLE_1)
	s_and_saveexec_b32 s20, s2
	s_xor_b32 s2, exec_lo, s20
; %bb.421:                              ;   in Loop: Header=BB384_13 Depth=1
	v_bfe_u32 v43, v28, 16, 1
	s_delay_alu instid0(VALU_DEP_1)
	v_add3_u32 v44, v28, v43, 0x7fff
                                        ; implicit-def: $vgpr28
; %bb.422:                              ;   in Loop: Header=BB384_13 Depth=1
	s_and_not1_saveexec_b32 s20, s2
; %bb.423:                              ;   in Loop: Header=BB384_13 Depth=1
	v_and_b32_e32 v43, 0xffff, v28
	v_or_b32_e32 v44, 0x10000, v28
	s_delay_alu instid0(VALU_DEP_2) | instskip(NEXT) | instid1(VALU_DEP_1)
	v_cmp_eq_u32_e64 s2, 0, v43
	v_cndmask_b32_e64 v44, v44, v28, s2
; %bb.424:                              ;   in Loop: Header=BB384_13 Depth=1
	s_or_b32 exec_lo, exec_lo, s20
	flat_load_u16 v28, v[80:81] offset:1032
	s_mov_b32 s20, exec_lo
	s_waitcnt vmcnt(0) lgkmcnt(0)
	v_and_b32_e32 v43, 0xff, v28
	v_dual_mov_b32 v28, 0 :: v_dual_and_b32 v45, 0xffff, v28
	s_delay_alu instid0(VALU_DEP_2)
	v_cmpx_ne_u16_e32 0, v43
	s_cbranch_execz .LBB384_432
; %bb.425:                              ;   in Loop: Header=BB384_13 Depth=1
	s_delay_alu instid0(VALU_DEP_2) | instskip(NEXT) | instid1(VALU_DEP_1)
	v_and_b32_e32 v28, 0xff, v45
	v_cmp_ne_u16_e64 s2, 0x80, v28
	v_bfrev_b32_e32 v28, 1
	s_delay_alu instid0(VALU_DEP_2)
	s_and_saveexec_b32 s21, s2
	s_cbranch_execz .LBB384_431
; %bb.426:                              ;   in Loop: Header=BB384_13 Depth=1
	v_and_b32_e32 v46, 0x7f, v45
	v_mov_b32_e32 v28, 0x7f800001
	s_mov_b32 s22, exec_lo
	s_delay_alu instid0(VALU_DEP_2)
	v_cmpx_ne_u32_e32 0x7f, v46
	s_cbranch_execz .LBB384_430
; %bb.427:                              ;   in Loop: Header=BB384_13 Depth=1
	v_and_b32_e32 v28, 7, v45
	v_lshrrev_b32_e32 v43, 3, v46
	s_mov_b32 s23, exec_lo
	v_cmpx_gt_u32_e32 8, v46
; %bb.428:                              ;   in Loop: Header=BB384_13 Depth=1
	s_delay_alu instid0(VALU_DEP_3) | instskip(NEXT) | instid1(VALU_DEP_1)
	v_clz_i32_u32_e32 v43, v28
	v_min_u32_e32 v43, 32, v43
	s_delay_alu instid0(VALU_DEP_1) | instskip(SKIP_1) | instid1(VALU_DEP_2)
	v_subrev_nc_u32_e32 v46, 28, v43
	v_sub_nc_u32_e32 v43, 29, v43
	v_lshlrev_b64 v[46:47], v46, v[28:29]
	s_delay_alu instid0(VALU_DEP_1)
	v_and_b32_e32 v28, 7, v46
; %bb.429:                              ;   in Loop: Header=BB384_13 Depth=1
	s_or_b32 exec_lo, exec_lo, s23
	v_lshlrev_b32_e32 v46, 24, v45
	s_delay_alu instid0(VALU_DEP_2) | instskip(SKIP_1) | instid1(VALU_DEP_3)
	v_lshlrev_b32_e32 v28, 20, v28
	v_lshl_add_u32 v43, v43, 23, 0x3c000000
	v_and_b32_e32 v46, 0x80000000, v46
	s_delay_alu instid0(VALU_DEP_1)
	v_or3_b32 v28, v28, v46, v43
.LBB384_430:                            ;   in Loop: Header=BB384_13 Depth=1
	s_or_b32 exec_lo, exec_lo, s22
.LBB384_431:                            ;   in Loop: Header=BB384_13 Depth=1
	s_delay_alu instid0(SALU_CYCLE_1)
	s_or_b32 exec_lo, exec_lo, s21
.LBB384_432:                            ;   in Loop: Header=BB384_13 Depth=1
	s_delay_alu instid0(SALU_CYCLE_1) | instskip(NEXT) | instid1(VALU_DEP_1)
	s_or_b32 exec_lo, exec_lo, s20
	v_mul_f32_e32 v28, v130, v28
	s_delay_alu instid0(VALU_DEP_1) | instskip(NEXT) | instid1(VALU_DEP_1)
	v_and_b32_e32 v43, 0x7f800000, v28
	v_cmp_ne_u32_e64 s2, 0x7f800000, v43
                                        ; implicit-def: $vgpr43
	s_delay_alu instid0(VALU_DEP_1) | instskip(NEXT) | instid1(SALU_CYCLE_1)
	s_and_saveexec_b32 s20, s2
	s_xor_b32 s2, exec_lo, s20
; %bb.433:                              ;   in Loop: Header=BB384_13 Depth=1
	v_bfe_u32 v43, v28, 16, 1
	s_delay_alu instid0(VALU_DEP_1)
	v_add3_u32 v43, v28, v43, 0x7fff
                                        ; implicit-def: $vgpr28
; %bb.434:                              ;   in Loop: Header=BB384_13 Depth=1
	s_and_not1_saveexec_b32 s20, s2
; %bb.435:                              ;   in Loop: Header=BB384_13 Depth=1
	v_and_b32_e32 v43, 0xffff, v28
	v_or_b32_e32 v46, 0x10000, v28
	s_delay_alu instid0(VALU_DEP_2) | instskip(NEXT) | instid1(VALU_DEP_1)
	v_cmp_eq_u32_e64 s2, 0, v43
	v_cndmask_b32_e64 v43, v46, v28, s2
; %bb.436:                              ;   in Loop: Header=BB384_13 Depth=1
	s_or_b32 exec_lo, exec_lo, s20
	v_lshrrev_b16 v46, 8, v45
	v_mov_b32_e32 v28, 0
	s_mov_b32 s20, exec_lo
	s_delay_alu instid0(VALU_DEP_2)
	v_cmpx_ne_u16_e32 0, v46
	s_cbranch_execz .LBB384_444
; %bb.437:                              ;   in Loop: Header=BB384_13 Depth=1
	v_bfrev_b32_e32 v28, 1
	s_mov_b32 s21, exec_lo
	v_cmpx_ne_u16_e32 0x80, v46
	s_cbranch_execz .LBB384_443
; %bb.438:                              ;   in Loop: Header=BB384_13 Depth=1
	v_and_b32_e32 v46, 0xffff, v46
	v_mov_b32_e32 v28, 0x7f800001
	s_mov_b32 s22, exec_lo
	s_delay_alu instid0(VALU_DEP_2) | instskip(NEXT) | instid1(VALU_DEP_1)
	v_and_b32_e32 v47, 0x7f, v46
	v_cmpx_ne_u32_e32 0x7f, v47
	s_cbranch_execz .LBB384_442
; %bb.439:                              ;   in Loop: Header=BB384_13 Depth=1
	v_and_b32_e32 v28, 7, v46
	v_lshrrev_b32_e32 v46, 3, v47
	s_mov_b32 s23, exec_lo
	v_cmpx_gt_u32_e32 8, v47
; %bb.440:                              ;   in Loop: Header=BB384_13 Depth=1
	s_delay_alu instid0(VALU_DEP_3) | instskip(NEXT) | instid1(VALU_DEP_1)
	v_clz_i32_u32_e32 v46, v28
	v_min_u32_e32 v46, 32, v46
	s_delay_alu instid0(VALU_DEP_1) | instskip(SKIP_1) | instid1(VALU_DEP_2)
	v_subrev_nc_u32_e32 v47, 28, v46
	v_sub_nc_u32_e32 v46, 29, v46
	v_lshlrev_b64 v[56:57], v47, v[28:29]
	s_delay_alu instid0(VALU_DEP_1)
	v_and_b32_e32 v28, 7, v56
; %bb.441:                              ;   in Loop: Header=BB384_13 Depth=1
	s_or_b32 exec_lo, exec_lo, s23
	v_lshlrev_b32_e32 v45, 16, v45
	s_delay_alu instid0(VALU_DEP_2) | instskip(SKIP_1) | instid1(VALU_DEP_3)
	v_lshlrev_b32_e32 v28, 20, v28
	v_lshl_add_u32 v46, v46, 23, 0x3c000000
	v_and_b32_e32 v45, 0x80000000, v45
	s_delay_alu instid0(VALU_DEP_1)
	v_or3_b32 v28, v28, v45, v46
.LBB384_442:                            ;   in Loop: Header=BB384_13 Depth=1
	s_or_b32 exec_lo, exec_lo, s22
.LBB384_443:                            ;   in Loop: Header=BB384_13 Depth=1
	s_delay_alu instid0(SALU_CYCLE_1)
	s_or_b32 exec_lo, exec_lo, s21
.LBB384_444:                            ;   in Loop: Header=BB384_13 Depth=1
	s_delay_alu instid0(SALU_CYCLE_1) | instskip(NEXT) | instid1(VALU_DEP_1)
	s_or_b32 exec_lo, exec_lo, s20
	v_mul_f32_e32 v28, v130, v28
                                        ; implicit-def: $vgpr46
	s_delay_alu instid0(VALU_DEP_1) | instskip(NEXT) | instid1(VALU_DEP_1)
	v_and_b32_e32 v45, 0x7f800000, v28
	v_cmp_ne_u32_e64 s2, 0x7f800000, v45
	s_delay_alu instid0(VALU_DEP_1) | instskip(NEXT) | instid1(SALU_CYCLE_1)
	s_and_saveexec_b32 s20, s2
	s_xor_b32 s2, exec_lo, s20
; %bb.445:                              ;   in Loop: Header=BB384_13 Depth=1
	v_bfe_u32 v45, v28, 16, 1
	s_delay_alu instid0(VALU_DEP_1)
	v_add3_u32 v46, v28, v45, 0x7fff
                                        ; implicit-def: $vgpr28
; %bb.446:                              ;   in Loop: Header=BB384_13 Depth=1
	s_and_not1_saveexec_b32 s20, s2
; %bb.447:                              ;   in Loop: Header=BB384_13 Depth=1
	v_and_b32_e32 v45, 0xffff, v28
	v_or_b32_e32 v46, 0x10000, v28
	s_delay_alu instid0(VALU_DEP_2) | instskip(NEXT) | instid1(VALU_DEP_1)
	v_cmp_eq_u32_e64 s2, 0, v45
	v_cndmask_b32_e64 v46, v46, v28, s2
; %bb.448:                              ;   in Loop: Header=BB384_13 Depth=1
	s_or_b32 exec_lo, exec_lo, s20
	flat_load_u16 v28, v[80:81] offset:1152
	s_mov_b32 s20, exec_lo
	s_waitcnt vmcnt(0) lgkmcnt(0)
	v_and_b32_e32 v45, 0xff, v28
	v_dual_mov_b32 v28, 0 :: v_dual_and_b32 v47, 0xffff, v28
	s_delay_alu instid0(VALU_DEP_2)
	v_cmpx_ne_u16_e32 0, v45
	s_cbranch_execz .LBB384_456
; %bb.449:                              ;   in Loop: Header=BB384_13 Depth=1
	s_delay_alu instid0(VALU_DEP_2) | instskip(NEXT) | instid1(VALU_DEP_1)
	v_and_b32_e32 v28, 0xff, v47
	v_cmp_ne_u16_e64 s2, 0x80, v28
	v_bfrev_b32_e32 v28, 1
	s_delay_alu instid0(VALU_DEP_2)
	s_and_saveexec_b32 s21, s2
	s_cbranch_execz .LBB384_455
; %bb.450:                              ;   in Loop: Header=BB384_13 Depth=1
	v_and_b32_e32 v56, 0x7f, v47
	v_mov_b32_e32 v28, 0x7f800001
	s_mov_b32 s22, exec_lo
	s_delay_alu instid0(VALU_DEP_2)
	v_cmpx_ne_u32_e32 0x7f, v56
	s_cbranch_execz .LBB384_454
; %bb.451:                              ;   in Loop: Header=BB384_13 Depth=1
	v_and_b32_e32 v28, 7, v47
	v_lshrrev_b32_e32 v45, 3, v56
	s_mov_b32 s23, exec_lo
	v_cmpx_gt_u32_e32 8, v56
; %bb.452:                              ;   in Loop: Header=BB384_13 Depth=1
	s_delay_alu instid0(VALU_DEP_3) | instskip(NEXT) | instid1(VALU_DEP_1)
	v_clz_i32_u32_e32 v45, v28
	v_min_u32_e32 v45, 32, v45
	s_delay_alu instid0(VALU_DEP_1) | instskip(SKIP_1) | instid1(VALU_DEP_2)
	v_subrev_nc_u32_e32 v56, 28, v45
	v_sub_nc_u32_e32 v45, 29, v45
	v_lshlrev_b64 v[56:57], v56, v[28:29]
	s_delay_alu instid0(VALU_DEP_1)
	v_and_b32_e32 v28, 7, v56
; %bb.453:                              ;   in Loop: Header=BB384_13 Depth=1
	s_or_b32 exec_lo, exec_lo, s23
	v_lshlrev_b32_e32 v56, 24, v47
	s_delay_alu instid0(VALU_DEP_2) | instskip(SKIP_1) | instid1(VALU_DEP_3)
	v_lshlrev_b32_e32 v28, 20, v28
	v_lshl_add_u32 v45, v45, 23, 0x3c000000
	v_and_b32_e32 v56, 0x80000000, v56
	s_delay_alu instid0(VALU_DEP_1)
	v_or3_b32 v28, v28, v56, v45
.LBB384_454:                            ;   in Loop: Header=BB384_13 Depth=1
	s_or_b32 exec_lo, exec_lo, s22
.LBB384_455:                            ;   in Loop: Header=BB384_13 Depth=1
	s_delay_alu instid0(SALU_CYCLE_1)
	s_or_b32 exec_lo, exec_lo, s21
.LBB384_456:                            ;   in Loop: Header=BB384_13 Depth=1
	s_delay_alu instid0(SALU_CYCLE_1) | instskip(NEXT) | instid1(VALU_DEP_1)
	s_or_b32 exec_lo, exec_lo, s20
	v_mul_f32_e32 v28, v130, v28
	s_delay_alu instid0(VALU_DEP_1) | instskip(NEXT) | instid1(VALU_DEP_1)
	v_and_b32_e32 v45, 0x7f800000, v28
	v_cmp_ne_u32_e64 s2, 0x7f800000, v45
                                        ; implicit-def: $vgpr45
	s_delay_alu instid0(VALU_DEP_1) | instskip(NEXT) | instid1(SALU_CYCLE_1)
	s_and_saveexec_b32 s20, s2
	s_xor_b32 s2, exec_lo, s20
; %bb.457:                              ;   in Loop: Header=BB384_13 Depth=1
	v_bfe_u32 v45, v28, 16, 1
	s_delay_alu instid0(VALU_DEP_1)
	v_add3_u32 v45, v28, v45, 0x7fff
                                        ; implicit-def: $vgpr28
; %bb.458:                              ;   in Loop: Header=BB384_13 Depth=1
	s_and_not1_saveexec_b32 s20, s2
; %bb.459:                              ;   in Loop: Header=BB384_13 Depth=1
	v_and_b32_e32 v45, 0xffff, v28
	v_or_b32_e32 v56, 0x10000, v28
	s_delay_alu instid0(VALU_DEP_2) | instskip(NEXT) | instid1(VALU_DEP_1)
	v_cmp_eq_u32_e64 s2, 0, v45
	v_cndmask_b32_e64 v45, v56, v28, s2
; %bb.460:                              ;   in Loop: Header=BB384_13 Depth=1
	s_or_b32 exec_lo, exec_lo, s20
	v_lshrrev_b16 v56, 8, v47
	v_mov_b32_e32 v28, 0
	s_mov_b32 s20, exec_lo
	s_delay_alu instid0(VALU_DEP_2)
	v_cmpx_ne_u16_e32 0, v56
	s_cbranch_execz .LBB384_468
; %bb.461:                              ;   in Loop: Header=BB384_13 Depth=1
	v_bfrev_b32_e32 v28, 1
	s_mov_b32 s21, exec_lo
	v_cmpx_ne_u16_e32 0x80, v56
	s_cbranch_execz .LBB384_467
; %bb.462:                              ;   in Loop: Header=BB384_13 Depth=1
	v_and_b32_e32 v56, 0xffff, v56
	v_mov_b32_e32 v28, 0x7f800001
	s_mov_b32 s22, exec_lo
	s_delay_alu instid0(VALU_DEP_2) | instskip(NEXT) | instid1(VALU_DEP_1)
	v_and_b32_e32 v57, 0x7f, v56
	v_cmpx_ne_u32_e32 0x7f, v57
	s_cbranch_execz .LBB384_466
; %bb.463:                              ;   in Loop: Header=BB384_13 Depth=1
	v_and_b32_e32 v28, 7, v56
	v_lshrrev_b32_e32 v56, 3, v57
	s_mov_b32 s23, exec_lo
	v_cmpx_gt_u32_e32 8, v57
; %bb.464:                              ;   in Loop: Header=BB384_13 Depth=1
	s_delay_alu instid0(VALU_DEP_3) | instskip(NEXT) | instid1(VALU_DEP_1)
	v_clz_i32_u32_e32 v56, v28
	v_min_u32_e32 v56, 32, v56
	s_delay_alu instid0(VALU_DEP_1) | instskip(SKIP_1) | instid1(VALU_DEP_2)
	v_subrev_nc_u32_e32 v57, 28, v56
	v_sub_nc_u32_e32 v56, 29, v56
	v_lshlrev_b64 v[57:58], v57, v[28:29]
	s_delay_alu instid0(VALU_DEP_1)
	v_and_b32_e32 v28, 7, v57
; %bb.465:                              ;   in Loop: Header=BB384_13 Depth=1
	s_or_b32 exec_lo, exec_lo, s23
	v_lshlrev_b32_e32 v47, 16, v47
	s_delay_alu instid0(VALU_DEP_2) | instskip(SKIP_1) | instid1(VALU_DEP_3)
	v_lshlrev_b32_e32 v28, 20, v28
	v_lshl_add_u32 v56, v56, 23, 0x3c000000
	v_and_b32_e32 v47, 0x80000000, v47
	s_delay_alu instid0(VALU_DEP_1)
	v_or3_b32 v28, v28, v47, v56
.LBB384_466:                            ;   in Loop: Header=BB384_13 Depth=1
	s_or_b32 exec_lo, exec_lo, s22
.LBB384_467:                            ;   in Loop: Header=BB384_13 Depth=1
	s_delay_alu instid0(SALU_CYCLE_1)
	s_or_b32 exec_lo, exec_lo, s21
.LBB384_468:                            ;   in Loop: Header=BB384_13 Depth=1
	s_delay_alu instid0(SALU_CYCLE_1) | instskip(NEXT) | instid1(VALU_DEP_1)
	s_or_b32 exec_lo, exec_lo, s20
	v_mul_f32_e32 v28, v130, v28
                                        ; implicit-def: $vgpr56
	s_delay_alu instid0(VALU_DEP_1) | instskip(NEXT) | instid1(VALU_DEP_1)
	v_and_b32_e32 v47, 0x7f800000, v28
	v_cmp_ne_u32_e64 s2, 0x7f800000, v47
	s_delay_alu instid0(VALU_DEP_1) | instskip(NEXT) | instid1(SALU_CYCLE_1)
	s_and_saveexec_b32 s20, s2
	s_xor_b32 s2, exec_lo, s20
; %bb.469:                              ;   in Loop: Header=BB384_13 Depth=1
	v_bfe_u32 v47, v28, 16, 1
	s_delay_alu instid0(VALU_DEP_1)
	v_add3_u32 v56, v28, v47, 0x7fff
                                        ; implicit-def: $vgpr28
; %bb.470:                              ;   in Loop: Header=BB384_13 Depth=1
	s_and_not1_saveexec_b32 s20, s2
; %bb.471:                              ;   in Loop: Header=BB384_13 Depth=1
	v_and_b32_e32 v47, 0xffff, v28
	v_or_b32_e32 v56, 0x10000, v28
	s_delay_alu instid0(VALU_DEP_2) | instskip(NEXT) | instid1(VALU_DEP_1)
	v_cmp_eq_u32_e64 s2, 0, v47
	v_cndmask_b32_e64 v56, v56, v28, s2
; %bb.472:                              ;   in Loop: Header=BB384_13 Depth=1
	s_or_b32 exec_lo, exec_lo, s20
	flat_load_u16 v28, v[80:81] offset:1160
	s_mov_b32 s20, exec_lo
	s_waitcnt vmcnt(0) lgkmcnt(0)
	v_and_b32_e32 v47, 0xff, v28
	v_dual_mov_b32 v28, 0 :: v_dual_and_b32 v57, 0xffff, v28
	s_delay_alu instid0(VALU_DEP_2)
	v_cmpx_ne_u16_e32 0, v47
	s_cbranch_execz .LBB384_480
; %bb.473:                              ;   in Loop: Header=BB384_13 Depth=1
	s_delay_alu instid0(VALU_DEP_2) | instskip(NEXT) | instid1(VALU_DEP_1)
	v_and_b32_e32 v28, 0xff, v57
	v_cmp_ne_u16_e64 s2, 0x80, v28
	v_bfrev_b32_e32 v28, 1
	s_delay_alu instid0(VALU_DEP_2)
	s_and_saveexec_b32 s21, s2
	s_cbranch_execz .LBB384_479
; %bb.474:                              ;   in Loop: Header=BB384_13 Depth=1
	v_and_b32_e32 v58, 0x7f, v57
	v_mov_b32_e32 v28, 0x7f800001
	s_mov_b32 s22, exec_lo
	s_delay_alu instid0(VALU_DEP_2)
	v_cmpx_ne_u32_e32 0x7f, v58
	s_cbranch_execz .LBB384_478
; %bb.475:                              ;   in Loop: Header=BB384_13 Depth=1
	v_and_b32_e32 v28, 7, v57
	v_lshrrev_b32_e32 v47, 3, v58
	s_mov_b32 s23, exec_lo
	v_cmpx_gt_u32_e32 8, v58
; %bb.476:                              ;   in Loop: Header=BB384_13 Depth=1
	s_delay_alu instid0(VALU_DEP_3) | instskip(NEXT) | instid1(VALU_DEP_1)
	v_clz_i32_u32_e32 v47, v28
	v_min_u32_e32 v47, 32, v47
	s_delay_alu instid0(VALU_DEP_1) | instskip(SKIP_1) | instid1(VALU_DEP_2)
	v_subrev_nc_u32_e32 v58, 28, v47
	v_sub_nc_u32_e32 v47, 29, v47
	v_lshlrev_b64 v[58:59], v58, v[28:29]
	s_delay_alu instid0(VALU_DEP_1)
	v_and_b32_e32 v28, 7, v58
; %bb.477:                              ;   in Loop: Header=BB384_13 Depth=1
	s_or_b32 exec_lo, exec_lo, s23
	v_lshlrev_b32_e32 v58, 24, v57
	s_delay_alu instid0(VALU_DEP_2) | instskip(SKIP_1) | instid1(VALU_DEP_3)
	v_lshlrev_b32_e32 v28, 20, v28
	v_lshl_add_u32 v47, v47, 23, 0x3c000000
	v_and_b32_e32 v58, 0x80000000, v58
	s_delay_alu instid0(VALU_DEP_1)
	v_or3_b32 v28, v28, v58, v47
.LBB384_478:                            ;   in Loop: Header=BB384_13 Depth=1
	s_or_b32 exec_lo, exec_lo, s22
.LBB384_479:                            ;   in Loop: Header=BB384_13 Depth=1
	s_delay_alu instid0(SALU_CYCLE_1)
	s_or_b32 exec_lo, exec_lo, s21
.LBB384_480:                            ;   in Loop: Header=BB384_13 Depth=1
	s_delay_alu instid0(SALU_CYCLE_1) | instskip(NEXT) | instid1(VALU_DEP_1)
	s_or_b32 exec_lo, exec_lo, s20
	v_mul_f32_e32 v28, v130, v28
	s_delay_alu instid0(VALU_DEP_1) | instskip(NEXT) | instid1(VALU_DEP_1)
	v_and_b32_e32 v47, 0x7f800000, v28
	v_cmp_ne_u32_e64 s2, 0x7f800000, v47
                                        ; implicit-def: $vgpr47
	s_delay_alu instid0(VALU_DEP_1) | instskip(NEXT) | instid1(SALU_CYCLE_1)
	s_and_saveexec_b32 s20, s2
	s_xor_b32 s2, exec_lo, s20
; %bb.481:                              ;   in Loop: Header=BB384_13 Depth=1
	v_bfe_u32 v47, v28, 16, 1
	s_delay_alu instid0(VALU_DEP_1)
	v_add3_u32 v47, v28, v47, 0x7fff
                                        ; implicit-def: $vgpr28
; %bb.482:                              ;   in Loop: Header=BB384_13 Depth=1
	s_and_not1_saveexec_b32 s20, s2
; %bb.483:                              ;   in Loop: Header=BB384_13 Depth=1
	v_and_b32_e32 v47, 0xffff, v28
	v_or_b32_e32 v58, 0x10000, v28
	s_delay_alu instid0(VALU_DEP_2) | instskip(NEXT) | instid1(VALU_DEP_1)
	v_cmp_eq_u32_e64 s2, 0, v47
	v_cndmask_b32_e64 v47, v58, v28, s2
; %bb.484:                              ;   in Loop: Header=BB384_13 Depth=1
	s_or_b32 exec_lo, exec_lo, s20
	v_lshrrev_b16 v58, 8, v57
	v_mov_b32_e32 v28, 0
	s_mov_b32 s20, exec_lo
	s_delay_alu instid0(VALU_DEP_2)
	v_cmpx_ne_u16_e32 0, v58
	s_cbranch_execz .LBB384_492
; %bb.485:                              ;   in Loop: Header=BB384_13 Depth=1
	v_bfrev_b32_e32 v28, 1
	s_mov_b32 s21, exec_lo
	v_cmpx_ne_u16_e32 0x80, v58
	s_cbranch_execz .LBB384_491
; %bb.486:                              ;   in Loop: Header=BB384_13 Depth=1
	v_and_b32_e32 v58, 0xffff, v58
	v_mov_b32_e32 v28, 0x7f800001
	s_mov_b32 s22, exec_lo
	s_delay_alu instid0(VALU_DEP_2) | instskip(NEXT) | instid1(VALU_DEP_1)
	v_and_b32_e32 v59, 0x7f, v58
	v_cmpx_ne_u32_e32 0x7f, v59
	s_cbranch_execz .LBB384_490
; %bb.487:                              ;   in Loop: Header=BB384_13 Depth=1
	v_and_b32_e32 v28, 7, v58
	v_lshrrev_b32_e32 v58, 3, v59
	s_mov_b32 s23, exec_lo
	v_cmpx_gt_u32_e32 8, v59
; %bb.488:                              ;   in Loop: Header=BB384_13 Depth=1
	s_delay_alu instid0(VALU_DEP_3) | instskip(NEXT) | instid1(VALU_DEP_1)
	v_clz_i32_u32_e32 v58, v28
	v_min_u32_e32 v58, 32, v58
	s_delay_alu instid0(VALU_DEP_1) | instskip(SKIP_1) | instid1(VALU_DEP_2)
	v_subrev_nc_u32_e32 v59, 28, v58
	v_sub_nc_u32_e32 v58, 29, v58
	v_lshlrev_b64 v[59:60], v59, v[28:29]
	s_delay_alu instid0(VALU_DEP_1)
	v_and_b32_e32 v28, 7, v59
; %bb.489:                              ;   in Loop: Header=BB384_13 Depth=1
	s_or_b32 exec_lo, exec_lo, s23
	v_lshlrev_b32_e32 v57, 16, v57
	s_delay_alu instid0(VALU_DEP_2) | instskip(SKIP_1) | instid1(VALU_DEP_3)
	v_lshlrev_b32_e32 v28, 20, v28
	v_lshl_add_u32 v58, v58, 23, 0x3c000000
	v_and_b32_e32 v57, 0x80000000, v57
	s_delay_alu instid0(VALU_DEP_1)
	v_or3_b32 v28, v28, v57, v58
.LBB384_490:                            ;   in Loop: Header=BB384_13 Depth=1
	s_or_b32 exec_lo, exec_lo, s22
.LBB384_491:                            ;   in Loop: Header=BB384_13 Depth=1
	s_delay_alu instid0(SALU_CYCLE_1)
	s_or_b32 exec_lo, exec_lo, s21
.LBB384_492:                            ;   in Loop: Header=BB384_13 Depth=1
	s_delay_alu instid0(SALU_CYCLE_1) | instskip(NEXT) | instid1(VALU_DEP_1)
	s_or_b32 exec_lo, exec_lo, s20
	v_mul_f32_e32 v28, v130, v28
                                        ; implicit-def: $vgpr58
	s_delay_alu instid0(VALU_DEP_1) | instskip(NEXT) | instid1(VALU_DEP_1)
	v_and_b32_e32 v57, 0x7f800000, v28
	v_cmp_ne_u32_e64 s2, 0x7f800000, v57
	s_delay_alu instid0(VALU_DEP_1) | instskip(NEXT) | instid1(SALU_CYCLE_1)
	s_and_saveexec_b32 s20, s2
	s_xor_b32 s2, exec_lo, s20
; %bb.493:                              ;   in Loop: Header=BB384_13 Depth=1
	v_bfe_u32 v57, v28, 16, 1
	s_delay_alu instid0(VALU_DEP_1)
	v_add3_u32 v58, v28, v57, 0x7fff
                                        ; implicit-def: $vgpr28
; %bb.494:                              ;   in Loop: Header=BB384_13 Depth=1
	s_and_not1_saveexec_b32 s20, s2
; %bb.495:                              ;   in Loop: Header=BB384_13 Depth=1
	v_and_b32_e32 v57, 0xffff, v28
	v_or_b32_e32 v58, 0x10000, v28
	s_delay_alu instid0(VALU_DEP_2) | instskip(NEXT) | instid1(VALU_DEP_1)
	v_cmp_eq_u32_e64 s2, 0, v57
	v_cndmask_b32_e64 v58, v58, v28, s2
; %bb.496:                              ;   in Loop: Header=BB384_13 Depth=1
	s_or_b32 exec_lo, exec_lo, s20
	flat_load_u16 v28, v[80:81] offset:1280
	s_mov_b32 s20, exec_lo
	s_waitcnt vmcnt(0) lgkmcnt(0)
	v_and_b32_e32 v57, 0xff, v28
	v_dual_mov_b32 v28, 0 :: v_dual_and_b32 v59, 0xffff, v28
	s_delay_alu instid0(VALU_DEP_2)
	v_cmpx_ne_u16_e32 0, v57
	s_cbranch_execz .LBB384_504
; %bb.497:                              ;   in Loop: Header=BB384_13 Depth=1
	s_delay_alu instid0(VALU_DEP_2) | instskip(NEXT) | instid1(VALU_DEP_1)
	v_and_b32_e32 v28, 0xff, v59
	v_cmp_ne_u16_e64 s2, 0x80, v28
	v_bfrev_b32_e32 v28, 1
	s_delay_alu instid0(VALU_DEP_2)
	s_and_saveexec_b32 s21, s2
	s_cbranch_execz .LBB384_503
; %bb.498:                              ;   in Loop: Header=BB384_13 Depth=1
	v_and_b32_e32 v60, 0x7f, v59
	v_mov_b32_e32 v28, 0x7f800001
	s_mov_b32 s22, exec_lo
	s_delay_alu instid0(VALU_DEP_2)
	v_cmpx_ne_u32_e32 0x7f, v60
	s_cbranch_execz .LBB384_502
; %bb.499:                              ;   in Loop: Header=BB384_13 Depth=1
	v_and_b32_e32 v28, 7, v59
	v_lshrrev_b32_e32 v57, 3, v60
	s_mov_b32 s23, exec_lo
	v_cmpx_gt_u32_e32 8, v60
; %bb.500:                              ;   in Loop: Header=BB384_13 Depth=1
	s_delay_alu instid0(VALU_DEP_3) | instskip(NEXT) | instid1(VALU_DEP_1)
	v_clz_i32_u32_e32 v57, v28
	v_min_u32_e32 v57, 32, v57
	s_delay_alu instid0(VALU_DEP_1) | instskip(SKIP_1) | instid1(VALU_DEP_2)
	v_subrev_nc_u32_e32 v60, 28, v57
	v_sub_nc_u32_e32 v57, 29, v57
	v_lshlrev_b64 v[60:61], v60, v[28:29]
	s_delay_alu instid0(VALU_DEP_1)
	v_and_b32_e32 v28, 7, v60
; %bb.501:                              ;   in Loop: Header=BB384_13 Depth=1
	s_or_b32 exec_lo, exec_lo, s23
	v_lshlrev_b32_e32 v60, 24, v59
	s_delay_alu instid0(VALU_DEP_2) | instskip(SKIP_1) | instid1(VALU_DEP_3)
	v_lshlrev_b32_e32 v28, 20, v28
	v_lshl_add_u32 v57, v57, 23, 0x3c000000
	v_and_b32_e32 v60, 0x80000000, v60
	s_delay_alu instid0(VALU_DEP_1)
	v_or3_b32 v28, v28, v60, v57
.LBB384_502:                            ;   in Loop: Header=BB384_13 Depth=1
	s_or_b32 exec_lo, exec_lo, s22
.LBB384_503:                            ;   in Loop: Header=BB384_13 Depth=1
	s_delay_alu instid0(SALU_CYCLE_1)
	s_or_b32 exec_lo, exec_lo, s21
.LBB384_504:                            ;   in Loop: Header=BB384_13 Depth=1
	s_delay_alu instid0(SALU_CYCLE_1) | instskip(NEXT) | instid1(VALU_DEP_1)
	s_or_b32 exec_lo, exec_lo, s20
	v_mul_f32_e32 v28, v130, v28
	s_delay_alu instid0(VALU_DEP_1) | instskip(NEXT) | instid1(VALU_DEP_1)
	v_and_b32_e32 v57, 0x7f800000, v28
	v_cmp_ne_u32_e64 s2, 0x7f800000, v57
                                        ; implicit-def: $vgpr57
	s_delay_alu instid0(VALU_DEP_1) | instskip(NEXT) | instid1(SALU_CYCLE_1)
	s_and_saveexec_b32 s20, s2
	s_xor_b32 s2, exec_lo, s20
; %bb.505:                              ;   in Loop: Header=BB384_13 Depth=1
	v_bfe_u32 v57, v28, 16, 1
	s_delay_alu instid0(VALU_DEP_1)
	v_add3_u32 v57, v28, v57, 0x7fff
                                        ; implicit-def: $vgpr28
; %bb.506:                              ;   in Loop: Header=BB384_13 Depth=1
	s_and_not1_saveexec_b32 s20, s2
; %bb.507:                              ;   in Loop: Header=BB384_13 Depth=1
	v_and_b32_e32 v57, 0xffff, v28
	v_or_b32_e32 v60, 0x10000, v28
	s_delay_alu instid0(VALU_DEP_2) | instskip(NEXT) | instid1(VALU_DEP_1)
	v_cmp_eq_u32_e64 s2, 0, v57
	v_cndmask_b32_e64 v57, v60, v28, s2
; %bb.508:                              ;   in Loop: Header=BB384_13 Depth=1
	s_or_b32 exec_lo, exec_lo, s20
	v_lshrrev_b16 v60, 8, v59
	v_mov_b32_e32 v28, 0
	s_mov_b32 s20, exec_lo
	s_delay_alu instid0(VALU_DEP_2)
	v_cmpx_ne_u16_e32 0, v60
	s_cbranch_execz .LBB384_516
; %bb.509:                              ;   in Loop: Header=BB384_13 Depth=1
	v_bfrev_b32_e32 v28, 1
	s_mov_b32 s21, exec_lo
	v_cmpx_ne_u16_e32 0x80, v60
	s_cbranch_execz .LBB384_515
; %bb.510:                              ;   in Loop: Header=BB384_13 Depth=1
	v_and_b32_e32 v60, 0xffff, v60
	v_mov_b32_e32 v28, 0x7f800001
	s_mov_b32 s22, exec_lo
	s_delay_alu instid0(VALU_DEP_2) | instskip(NEXT) | instid1(VALU_DEP_1)
	v_and_b32_e32 v61, 0x7f, v60
	v_cmpx_ne_u32_e32 0x7f, v61
	s_cbranch_execz .LBB384_514
; %bb.511:                              ;   in Loop: Header=BB384_13 Depth=1
	v_and_b32_e32 v28, 7, v60
	v_lshrrev_b32_e32 v60, 3, v61
	s_mov_b32 s23, exec_lo
	v_cmpx_gt_u32_e32 8, v61
; %bb.512:                              ;   in Loop: Header=BB384_13 Depth=1
	s_delay_alu instid0(VALU_DEP_3) | instskip(NEXT) | instid1(VALU_DEP_1)
	v_clz_i32_u32_e32 v60, v28
	v_min_u32_e32 v60, 32, v60
	s_delay_alu instid0(VALU_DEP_1) | instskip(SKIP_1) | instid1(VALU_DEP_2)
	v_subrev_nc_u32_e32 v61, 28, v60
	v_sub_nc_u32_e32 v60, 29, v60
	v_lshlrev_b64 v[61:62], v61, v[28:29]
	s_delay_alu instid0(VALU_DEP_1)
	v_and_b32_e32 v28, 7, v61
; %bb.513:                              ;   in Loop: Header=BB384_13 Depth=1
	s_or_b32 exec_lo, exec_lo, s23
	v_lshlrev_b32_e32 v59, 16, v59
	s_delay_alu instid0(VALU_DEP_2) | instskip(SKIP_1) | instid1(VALU_DEP_3)
	v_lshlrev_b32_e32 v28, 20, v28
	v_lshl_add_u32 v60, v60, 23, 0x3c000000
	v_and_b32_e32 v59, 0x80000000, v59
	s_delay_alu instid0(VALU_DEP_1)
	v_or3_b32 v28, v28, v59, v60
.LBB384_514:                            ;   in Loop: Header=BB384_13 Depth=1
	s_or_b32 exec_lo, exec_lo, s22
.LBB384_515:                            ;   in Loop: Header=BB384_13 Depth=1
	s_delay_alu instid0(SALU_CYCLE_1)
	s_or_b32 exec_lo, exec_lo, s21
.LBB384_516:                            ;   in Loop: Header=BB384_13 Depth=1
	s_delay_alu instid0(SALU_CYCLE_1) | instskip(NEXT) | instid1(VALU_DEP_1)
	s_or_b32 exec_lo, exec_lo, s20
	v_mul_f32_e32 v28, v130, v28
                                        ; implicit-def: $vgpr60
	s_delay_alu instid0(VALU_DEP_1) | instskip(NEXT) | instid1(VALU_DEP_1)
	v_and_b32_e32 v59, 0x7f800000, v28
	v_cmp_ne_u32_e64 s2, 0x7f800000, v59
	s_delay_alu instid0(VALU_DEP_1) | instskip(NEXT) | instid1(SALU_CYCLE_1)
	s_and_saveexec_b32 s20, s2
	s_xor_b32 s2, exec_lo, s20
; %bb.517:                              ;   in Loop: Header=BB384_13 Depth=1
	v_bfe_u32 v59, v28, 16, 1
	s_delay_alu instid0(VALU_DEP_1)
	v_add3_u32 v60, v28, v59, 0x7fff
                                        ; implicit-def: $vgpr28
; %bb.518:                              ;   in Loop: Header=BB384_13 Depth=1
	s_and_not1_saveexec_b32 s20, s2
; %bb.519:                              ;   in Loop: Header=BB384_13 Depth=1
	v_and_b32_e32 v59, 0xffff, v28
	v_or_b32_e32 v60, 0x10000, v28
	s_delay_alu instid0(VALU_DEP_2) | instskip(NEXT) | instid1(VALU_DEP_1)
	v_cmp_eq_u32_e64 s2, 0, v59
	v_cndmask_b32_e64 v60, v60, v28, s2
; %bb.520:                              ;   in Loop: Header=BB384_13 Depth=1
	s_or_b32 exec_lo, exec_lo, s20
	flat_load_u16 v28, v[80:81] offset:1288
	s_mov_b32 s20, exec_lo
	s_waitcnt vmcnt(0) lgkmcnt(0)
	v_and_b32_e32 v59, 0xff, v28
	v_dual_mov_b32 v28, 0 :: v_dual_and_b32 v61, 0xffff, v28
	s_delay_alu instid0(VALU_DEP_2)
	v_cmpx_ne_u16_e32 0, v59
	s_cbranch_execz .LBB384_528
; %bb.521:                              ;   in Loop: Header=BB384_13 Depth=1
	s_delay_alu instid0(VALU_DEP_2) | instskip(NEXT) | instid1(VALU_DEP_1)
	v_and_b32_e32 v28, 0xff, v61
	v_cmp_ne_u16_e64 s2, 0x80, v28
	v_bfrev_b32_e32 v28, 1
	s_delay_alu instid0(VALU_DEP_2)
	s_and_saveexec_b32 s21, s2
	s_cbranch_execz .LBB384_527
; %bb.522:                              ;   in Loop: Header=BB384_13 Depth=1
	v_and_b32_e32 v62, 0x7f, v61
	v_mov_b32_e32 v28, 0x7f800001
	s_mov_b32 s22, exec_lo
	s_delay_alu instid0(VALU_DEP_2)
	v_cmpx_ne_u32_e32 0x7f, v62
	s_cbranch_execz .LBB384_526
; %bb.523:                              ;   in Loop: Header=BB384_13 Depth=1
	v_and_b32_e32 v28, 7, v61
	v_lshrrev_b32_e32 v59, 3, v62
	s_mov_b32 s23, exec_lo
	v_cmpx_gt_u32_e32 8, v62
; %bb.524:                              ;   in Loop: Header=BB384_13 Depth=1
	s_delay_alu instid0(VALU_DEP_3) | instskip(NEXT) | instid1(VALU_DEP_1)
	v_clz_i32_u32_e32 v59, v28
	v_min_u32_e32 v59, 32, v59
	s_delay_alu instid0(VALU_DEP_1) | instskip(SKIP_1) | instid1(VALU_DEP_2)
	v_subrev_nc_u32_e32 v62, 28, v59
	v_sub_nc_u32_e32 v59, 29, v59
	v_lshlrev_b64 v[62:63], v62, v[28:29]
	s_delay_alu instid0(VALU_DEP_1)
	v_and_b32_e32 v28, 7, v62
; %bb.525:                              ;   in Loop: Header=BB384_13 Depth=1
	s_or_b32 exec_lo, exec_lo, s23
	v_lshlrev_b32_e32 v62, 24, v61
	s_delay_alu instid0(VALU_DEP_2) | instskip(SKIP_1) | instid1(VALU_DEP_3)
	v_lshlrev_b32_e32 v28, 20, v28
	v_lshl_add_u32 v59, v59, 23, 0x3c000000
	v_and_b32_e32 v62, 0x80000000, v62
	s_delay_alu instid0(VALU_DEP_1)
	v_or3_b32 v28, v28, v62, v59
.LBB384_526:                            ;   in Loop: Header=BB384_13 Depth=1
	s_or_b32 exec_lo, exec_lo, s22
.LBB384_527:                            ;   in Loop: Header=BB384_13 Depth=1
	s_delay_alu instid0(SALU_CYCLE_1)
	s_or_b32 exec_lo, exec_lo, s21
.LBB384_528:                            ;   in Loop: Header=BB384_13 Depth=1
	s_delay_alu instid0(SALU_CYCLE_1) | instskip(NEXT) | instid1(VALU_DEP_1)
	s_or_b32 exec_lo, exec_lo, s20
	v_mul_f32_e32 v28, v130, v28
	s_delay_alu instid0(VALU_DEP_1) | instskip(NEXT) | instid1(VALU_DEP_1)
	v_and_b32_e32 v59, 0x7f800000, v28
	v_cmp_ne_u32_e64 s2, 0x7f800000, v59
                                        ; implicit-def: $vgpr59
	s_delay_alu instid0(VALU_DEP_1) | instskip(NEXT) | instid1(SALU_CYCLE_1)
	s_and_saveexec_b32 s20, s2
	s_xor_b32 s2, exec_lo, s20
; %bb.529:                              ;   in Loop: Header=BB384_13 Depth=1
	v_bfe_u32 v59, v28, 16, 1
	s_delay_alu instid0(VALU_DEP_1)
	v_add3_u32 v59, v28, v59, 0x7fff
                                        ; implicit-def: $vgpr28
; %bb.530:                              ;   in Loop: Header=BB384_13 Depth=1
	s_and_not1_saveexec_b32 s20, s2
; %bb.531:                              ;   in Loop: Header=BB384_13 Depth=1
	v_and_b32_e32 v59, 0xffff, v28
	v_or_b32_e32 v62, 0x10000, v28
	s_delay_alu instid0(VALU_DEP_2) | instskip(NEXT) | instid1(VALU_DEP_1)
	v_cmp_eq_u32_e64 s2, 0, v59
	v_cndmask_b32_e64 v59, v62, v28, s2
; %bb.532:                              ;   in Loop: Header=BB384_13 Depth=1
	s_or_b32 exec_lo, exec_lo, s20
	v_lshrrev_b16 v62, 8, v61
	v_mov_b32_e32 v28, 0
	s_mov_b32 s20, exec_lo
	s_delay_alu instid0(VALU_DEP_2)
	v_cmpx_ne_u16_e32 0, v62
	s_cbranch_execz .LBB384_540
; %bb.533:                              ;   in Loop: Header=BB384_13 Depth=1
	v_bfrev_b32_e32 v28, 1
	s_mov_b32 s21, exec_lo
	v_cmpx_ne_u16_e32 0x80, v62
	s_cbranch_execz .LBB384_539
; %bb.534:                              ;   in Loop: Header=BB384_13 Depth=1
	v_and_b32_e32 v62, 0xffff, v62
	v_mov_b32_e32 v28, 0x7f800001
	s_mov_b32 s22, exec_lo
	s_delay_alu instid0(VALU_DEP_2) | instskip(NEXT) | instid1(VALU_DEP_1)
	v_and_b32_e32 v63, 0x7f, v62
	v_cmpx_ne_u32_e32 0x7f, v63
	s_cbranch_execz .LBB384_538
; %bb.535:                              ;   in Loop: Header=BB384_13 Depth=1
	v_and_b32_e32 v28, 7, v62
	v_lshrrev_b32_e32 v62, 3, v63
	s_mov_b32 s23, exec_lo
	v_cmpx_gt_u32_e32 8, v63
; %bb.536:                              ;   in Loop: Header=BB384_13 Depth=1
	s_delay_alu instid0(VALU_DEP_3) | instskip(NEXT) | instid1(VALU_DEP_1)
	v_clz_i32_u32_e32 v62, v28
	v_min_u32_e32 v62, 32, v62
	s_delay_alu instid0(VALU_DEP_1) | instskip(SKIP_1) | instid1(VALU_DEP_2)
	v_subrev_nc_u32_e32 v63, 28, v62
	v_sub_nc_u32_e32 v62, 29, v62
	v_lshlrev_b64 v[72:73], v63, v[28:29]
	s_delay_alu instid0(VALU_DEP_1)
	v_and_b32_e32 v28, 7, v72
; %bb.537:                              ;   in Loop: Header=BB384_13 Depth=1
	s_or_b32 exec_lo, exec_lo, s23
	v_lshlrev_b32_e32 v61, 16, v61
	s_delay_alu instid0(VALU_DEP_2) | instskip(SKIP_1) | instid1(VALU_DEP_3)
	v_lshlrev_b32_e32 v28, 20, v28
	v_lshl_add_u32 v62, v62, 23, 0x3c000000
	v_and_b32_e32 v61, 0x80000000, v61
	s_delay_alu instid0(VALU_DEP_1)
	v_or3_b32 v28, v28, v61, v62
.LBB384_538:                            ;   in Loop: Header=BB384_13 Depth=1
	s_or_b32 exec_lo, exec_lo, s22
.LBB384_539:                            ;   in Loop: Header=BB384_13 Depth=1
	s_delay_alu instid0(SALU_CYCLE_1)
	s_or_b32 exec_lo, exec_lo, s21
.LBB384_540:                            ;   in Loop: Header=BB384_13 Depth=1
	s_delay_alu instid0(SALU_CYCLE_1) | instskip(NEXT) | instid1(VALU_DEP_1)
	s_or_b32 exec_lo, exec_lo, s20
	v_mul_f32_e32 v28, v130, v28
	s_delay_alu instid0(VALU_DEP_1) | instskip(NEXT) | instid1(VALU_DEP_1)
	v_and_b32_e32 v61, 0x7f800000, v28
	v_cmp_ne_u32_e64 s2, 0x7f800000, v61
                                        ; implicit-def: $vgpr61
	s_delay_alu instid0(VALU_DEP_1) | instskip(NEXT) | instid1(SALU_CYCLE_1)
	s_and_saveexec_b32 s20, s2
	s_xor_b32 s2, exec_lo, s20
; %bb.541:                              ;   in Loop: Header=BB384_13 Depth=1
	v_bfe_u32 v61, v28, 16, 1
	s_delay_alu instid0(VALU_DEP_1)
	v_add3_u32 v61, v28, v61, 0x7fff
                                        ; implicit-def: $vgpr28
; %bb.542:                              ;   in Loop: Header=BB384_13 Depth=1
	s_and_not1_saveexec_b32 s20, s2
; %bb.543:                              ;   in Loop: Header=BB384_13 Depth=1
	v_and_b32_e32 v61, 0xffff, v28
	v_or_b32_e32 v62, 0x10000, v28
	s_delay_alu instid0(VALU_DEP_2) | instskip(NEXT) | instid1(VALU_DEP_1)
	v_cmp_eq_u32_e64 s2, 0, v61
	v_cndmask_b32_e64 v61, v62, v28, s2
; %bb.544:                              ;   in Loop: Header=BB384_13 Depth=1
	s_or_b32 exec_lo, exec_lo, s20
	flat_load_u16 v28, v[80:81] offset:1408
	s_mov_b32 s20, exec_lo
	s_waitcnt vmcnt(0) lgkmcnt(0)
	v_and_b32_e32 v62, 0xff, v28
	v_dual_mov_b32 v28, 0 :: v_dual_and_b32 v63, 0xffff, v28
	s_delay_alu instid0(VALU_DEP_2)
	v_cmpx_ne_u16_e32 0, v62
	s_cbranch_execz .LBB384_552
; %bb.545:                              ;   in Loop: Header=BB384_13 Depth=1
	s_delay_alu instid0(VALU_DEP_2) | instskip(NEXT) | instid1(VALU_DEP_1)
	v_and_b32_e32 v28, 0xff, v63
	v_cmp_ne_u16_e64 s2, 0x80, v28
	v_bfrev_b32_e32 v28, 1
	s_delay_alu instid0(VALU_DEP_2)
	s_and_saveexec_b32 s21, s2
	s_cbranch_execz .LBB384_551
; %bb.546:                              ;   in Loop: Header=BB384_13 Depth=1
	v_and_b32_e32 v72, 0x7f, v63
	v_mov_b32_e32 v28, 0x7f800001
	s_mov_b32 s22, exec_lo
	s_delay_alu instid0(VALU_DEP_2)
	v_cmpx_ne_u32_e32 0x7f, v72
	s_cbranch_execz .LBB384_550
; %bb.547:                              ;   in Loop: Header=BB384_13 Depth=1
	v_and_b32_e32 v28, 7, v63
	v_lshrrev_b32_e32 v62, 3, v72
	s_mov_b32 s23, exec_lo
	v_cmpx_gt_u32_e32 8, v72
; %bb.548:                              ;   in Loop: Header=BB384_13 Depth=1
	s_delay_alu instid0(VALU_DEP_3) | instskip(NEXT) | instid1(VALU_DEP_1)
	v_clz_i32_u32_e32 v62, v28
	v_min_u32_e32 v62, 32, v62
	s_delay_alu instid0(VALU_DEP_1) | instskip(SKIP_1) | instid1(VALU_DEP_2)
	v_subrev_nc_u32_e32 v72, 28, v62
	v_sub_nc_u32_e32 v62, 29, v62
	v_lshlrev_b64 v[72:73], v72, v[28:29]
	s_delay_alu instid0(VALU_DEP_1)
	v_and_b32_e32 v28, 7, v72
; %bb.549:                              ;   in Loop: Header=BB384_13 Depth=1
	s_or_b32 exec_lo, exec_lo, s23
	v_lshlrev_b32_e32 v72, 24, v63
	s_delay_alu instid0(VALU_DEP_2) | instskip(SKIP_1) | instid1(VALU_DEP_3)
	v_lshlrev_b32_e32 v28, 20, v28
	v_lshl_add_u32 v62, v62, 23, 0x3c000000
	v_and_b32_e32 v72, 0x80000000, v72
	s_delay_alu instid0(VALU_DEP_1)
	v_or3_b32 v28, v28, v72, v62
.LBB384_550:                            ;   in Loop: Header=BB384_13 Depth=1
	s_or_b32 exec_lo, exec_lo, s22
.LBB384_551:                            ;   in Loop: Header=BB384_13 Depth=1
	s_delay_alu instid0(SALU_CYCLE_1)
	s_or_b32 exec_lo, exec_lo, s21
.LBB384_552:                            ;   in Loop: Header=BB384_13 Depth=1
	s_delay_alu instid0(SALU_CYCLE_1) | instskip(NEXT) | instid1(VALU_DEP_1)
	s_or_b32 exec_lo, exec_lo, s20
	v_mul_f32_e32 v28, v130, v28
	s_delay_alu instid0(VALU_DEP_1) | instskip(NEXT) | instid1(VALU_DEP_1)
	v_and_b32_e32 v62, 0x7f800000, v28
	v_cmp_ne_u32_e64 s2, 0x7f800000, v62
                                        ; implicit-def: $vgpr62
	s_delay_alu instid0(VALU_DEP_1) | instskip(NEXT) | instid1(SALU_CYCLE_1)
	s_and_saveexec_b32 s20, s2
	s_xor_b32 s2, exec_lo, s20
; %bb.553:                              ;   in Loop: Header=BB384_13 Depth=1
	v_bfe_u32 v62, v28, 16, 1
	s_delay_alu instid0(VALU_DEP_1)
	v_add3_u32 v62, v28, v62, 0x7fff
                                        ; implicit-def: $vgpr28
; %bb.554:                              ;   in Loop: Header=BB384_13 Depth=1
	s_and_not1_saveexec_b32 s20, s2
; %bb.555:                              ;   in Loop: Header=BB384_13 Depth=1
	v_and_b32_e32 v62, 0xffff, v28
	v_or_b32_e32 v72, 0x10000, v28
	s_delay_alu instid0(VALU_DEP_2) | instskip(NEXT) | instid1(VALU_DEP_1)
	v_cmp_eq_u32_e64 s2, 0, v62
	v_cndmask_b32_e64 v62, v72, v28, s2
; %bb.556:                              ;   in Loop: Header=BB384_13 Depth=1
	s_or_b32 exec_lo, exec_lo, s20
	v_lshrrev_b16 v72, 8, v63
	v_mov_b32_e32 v28, 0
	s_mov_b32 s20, exec_lo
	s_delay_alu instid0(VALU_DEP_2)
	v_cmpx_ne_u16_e32 0, v72
	s_cbranch_execz .LBB384_564
; %bb.557:                              ;   in Loop: Header=BB384_13 Depth=1
	v_bfrev_b32_e32 v28, 1
	s_mov_b32 s21, exec_lo
	v_cmpx_ne_u16_e32 0x80, v72
	s_cbranch_execz .LBB384_563
; %bb.558:                              ;   in Loop: Header=BB384_13 Depth=1
	v_and_b32_e32 v72, 0xffff, v72
	v_mov_b32_e32 v28, 0x7f800001
	s_mov_b32 s22, exec_lo
	s_delay_alu instid0(VALU_DEP_2) | instskip(NEXT) | instid1(VALU_DEP_1)
	v_and_b32_e32 v73, 0x7f, v72
	v_cmpx_ne_u32_e32 0x7f, v73
	s_cbranch_execz .LBB384_562
; %bb.559:                              ;   in Loop: Header=BB384_13 Depth=1
	v_and_b32_e32 v28, 7, v72
	v_lshrrev_b32_e32 v72, 3, v73
	s_mov_b32 s23, exec_lo
	v_cmpx_gt_u32_e32 8, v73
; %bb.560:                              ;   in Loop: Header=BB384_13 Depth=1
	s_delay_alu instid0(VALU_DEP_3) | instskip(NEXT) | instid1(VALU_DEP_1)
	v_clz_i32_u32_e32 v72, v28
	v_min_u32_e32 v72, 32, v72
	s_delay_alu instid0(VALU_DEP_1) | instskip(SKIP_1) | instid1(VALU_DEP_2)
	v_subrev_nc_u32_e32 v73, 28, v72
	v_sub_nc_u32_e32 v72, 29, v72
	v_lshlrev_b64 v[73:74], v73, v[28:29]
	s_delay_alu instid0(VALU_DEP_1)
	v_and_b32_e32 v28, 7, v73
; %bb.561:                              ;   in Loop: Header=BB384_13 Depth=1
	s_or_b32 exec_lo, exec_lo, s23
	v_lshlrev_b32_e32 v63, 16, v63
	s_delay_alu instid0(VALU_DEP_2) | instskip(SKIP_1) | instid1(VALU_DEP_3)
	v_lshlrev_b32_e32 v28, 20, v28
	v_lshl_add_u32 v72, v72, 23, 0x3c000000
	v_and_b32_e32 v63, 0x80000000, v63
	s_delay_alu instid0(VALU_DEP_1)
	v_or3_b32 v28, v28, v63, v72
.LBB384_562:                            ;   in Loop: Header=BB384_13 Depth=1
	s_or_b32 exec_lo, exec_lo, s22
.LBB384_563:                            ;   in Loop: Header=BB384_13 Depth=1
	s_delay_alu instid0(SALU_CYCLE_1)
	s_or_b32 exec_lo, exec_lo, s21
.LBB384_564:                            ;   in Loop: Header=BB384_13 Depth=1
	s_delay_alu instid0(SALU_CYCLE_1) | instskip(NEXT) | instid1(VALU_DEP_1)
	s_or_b32 exec_lo, exec_lo, s20
	v_mul_f32_e32 v28, v130, v28
	s_delay_alu instid0(VALU_DEP_1) | instskip(NEXT) | instid1(VALU_DEP_1)
	v_and_b32_e32 v63, 0x7f800000, v28
	v_cmp_ne_u32_e64 s2, 0x7f800000, v63
                                        ; implicit-def: $vgpr63
	s_delay_alu instid0(VALU_DEP_1) | instskip(NEXT) | instid1(SALU_CYCLE_1)
	s_and_saveexec_b32 s20, s2
	s_xor_b32 s2, exec_lo, s20
; %bb.565:                              ;   in Loop: Header=BB384_13 Depth=1
	v_bfe_u32 v63, v28, 16, 1
	s_delay_alu instid0(VALU_DEP_1)
	v_add3_u32 v63, v28, v63, 0x7fff
                                        ; implicit-def: $vgpr28
; %bb.566:                              ;   in Loop: Header=BB384_13 Depth=1
	s_and_not1_saveexec_b32 s20, s2
; %bb.567:                              ;   in Loop: Header=BB384_13 Depth=1
	v_and_b32_e32 v63, 0xffff, v28
	v_or_b32_e32 v72, 0x10000, v28
	s_delay_alu instid0(VALU_DEP_2) | instskip(NEXT) | instid1(VALU_DEP_1)
	v_cmp_eq_u32_e64 s2, 0, v63
	v_cndmask_b32_e64 v63, v72, v28, s2
; %bb.568:                              ;   in Loop: Header=BB384_13 Depth=1
	s_or_b32 exec_lo, exec_lo, s20
	flat_load_u16 v28, v[80:81] offset:1416
	s_mov_b32 s20, exec_lo
	s_waitcnt vmcnt(0) lgkmcnt(0)
	v_and_b32_e32 v81, 0xff, v28
	v_and_b32_e32 v80, 0xffff, v28
	v_mov_b32_e32 v28, 0
	s_delay_alu instid0(VALU_DEP_3)
	v_cmpx_ne_u16_e32 0, v81
	s_cbranch_execz .LBB384_576
; %bb.569:                              ;   in Loop: Header=BB384_13 Depth=1
	s_delay_alu instid0(VALU_DEP_3) | instskip(NEXT) | instid1(VALU_DEP_1)
	v_and_b32_e32 v28, 0xff, v80
	v_cmp_ne_u16_e64 s2, 0x80, v28
	v_bfrev_b32_e32 v28, 1
	s_delay_alu instid0(VALU_DEP_2)
	s_and_saveexec_b32 s21, s2
	s_cbranch_execz .LBB384_575
; %bb.570:                              ;   in Loop: Header=BB384_13 Depth=1
	v_and_b32_e32 v72, 0x7f, v80
	v_mov_b32_e32 v28, 0x7f800001
	s_mov_b32 s22, exec_lo
	s_delay_alu instid0(VALU_DEP_2)
	v_cmpx_ne_u32_e32 0x7f, v72
	s_cbranch_execz .LBB384_574
; %bb.571:                              ;   in Loop: Header=BB384_13 Depth=1
	v_and_b32_e32 v28, 7, v80
	v_lshrrev_b32_e32 v81, 3, v72
	s_mov_b32 s23, exec_lo
	v_cmpx_gt_u32_e32 8, v72
; %bb.572:                              ;   in Loop: Header=BB384_13 Depth=1
	s_delay_alu instid0(VALU_DEP_3) | instskip(NEXT) | instid1(VALU_DEP_1)
	v_clz_i32_u32_e32 v81, v28
	v_min_u32_e32 v81, 32, v81
	s_delay_alu instid0(VALU_DEP_1) | instskip(SKIP_1) | instid1(VALU_DEP_2)
	v_subrev_nc_u32_e32 v72, 28, v81
	v_sub_nc_u32_e32 v81, 29, v81
	v_lshlrev_b64 v[72:73], v72, v[28:29]
	s_delay_alu instid0(VALU_DEP_1)
	v_and_b32_e32 v28, 7, v72
; %bb.573:                              ;   in Loop: Header=BB384_13 Depth=1
	s_or_b32 exec_lo, exec_lo, s23
	v_lshlrev_b32_e32 v72, 24, v80
	s_delay_alu instid0(VALU_DEP_2) | instskip(SKIP_1) | instid1(VALU_DEP_3)
	v_lshlrev_b32_e32 v28, 20, v28
	v_lshl_add_u32 v81, v81, 23, 0x3c000000
	v_and_b32_e32 v72, 0x80000000, v72
	s_delay_alu instid0(VALU_DEP_1)
	v_or3_b32 v28, v28, v72, v81
.LBB384_574:                            ;   in Loop: Header=BB384_13 Depth=1
	s_or_b32 exec_lo, exec_lo, s22
.LBB384_575:                            ;   in Loop: Header=BB384_13 Depth=1
	s_delay_alu instid0(SALU_CYCLE_1)
	s_or_b32 exec_lo, exec_lo, s21
.LBB384_576:                            ;   in Loop: Header=BB384_13 Depth=1
	s_delay_alu instid0(SALU_CYCLE_1) | instskip(NEXT) | instid1(VALU_DEP_1)
	s_or_b32 exec_lo, exec_lo, s20
	v_mul_f32_e32 v28, v130, v28
	s_delay_alu instid0(VALU_DEP_1) | instskip(NEXT) | instid1(VALU_DEP_1)
	v_and_b32_e32 v81, 0x7f800000, v28
	v_cmp_ne_u32_e64 s2, 0x7f800000, v81
                                        ; implicit-def: $vgpr81
	s_delay_alu instid0(VALU_DEP_1) | instskip(NEXT) | instid1(SALU_CYCLE_1)
	s_and_saveexec_b32 s20, s2
	s_xor_b32 s2, exec_lo, s20
; %bb.577:                              ;   in Loop: Header=BB384_13 Depth=1
	v_bfe_u32 v81, v28, 16, 1
	s_delay_alu instid0(VALU_DEP_1)
	v_add3_u32 v81, v28, v81, 0x7fff
                                        ; implicit-def: $vgpr28
; %bb.578:                              ;   in Loop: Header=BB384_13 Depth=1
	s_and_not1_saveexec_b32 s20, s2
; %bb.579:                              ;   in Loop: Header=BB384_13 Depth=1
	v_and_b32_e32 v81, 0xffff, v28
	v_or_b32_e32 v72, 0x10000, v28
	s_delay_alu instid0(VALU_DEP_2) | instskip(NEXT) | instid1(VALU_DEP_1)
	v_cmp_eq_u32_e64 s2, 0, v81
	v_cndmask_b32_e64 v81, v72, v28, s2
; %bb.580:                              ;   in Loop: Header=BB384_13 Depth=1
	s_or_b32 exec_lo, exec_lo, s20
	v_lshrrev_b16 v72, 8, v80
	v_mov_b32_e32 v28, 0
	s_mov_b32 s20, exec_lo
	s_delay_alu instid0(VALU_DEP_2)
	v_cmpx_ne_u16_e32 0, v72
	s_cbranch_execz .LBB384_588
; %bb.581:                              ;   in Loop: Header=BB384_13 Depth=1
	v_bfrev_b32_e32 v28, 1
	s_mov_b32 s21, exec_lo
	v_cmpx_ne_u16_e32 0x80, v72
	s_cbranch_execz .LBB384_587
; %bb.582:                              ;   in Loop: Header=BB384_13 Depth=1
	v_and_b32_e32 v72, 0xffff, v72
	v_mov_b32_e32 v28, 0x7f800001
	s_mov_b32 s22, exec_lo
	s_delay_alu instid0(VALU_DEP_2) | instskip(NEXT) | instid1(VALU_DEP_1)
	v_and_b32_e32 v73, 0x7f, v72
	v_cmpx_ne_u32_e32 0x7f, v73
	s_cbranch_execz .LBB384_586
; %bb.583:                              ;   in Loop: Header=BB384_13 Depth=1
	v_and_b32_e32 v28, 7, v72
	v_lshrrev_b32_e32 v72, 3, v73
	s_mov_b32 s23, exec_lo
	v_cmpx_gt_u32_e32 8, v73
; %bb.584:                              ;   in Loop: Header=BB384_13 Depth=1
	s_delay_alu instid0(VALU_DEP_3) | instskip(NEXT) | instid1(VALU_DEP_1)
	v_clz_i32_u32_e32 v72, v28
	v_min_u32_e32 v72, 32, v72
	s_delay_alu instid0(VALU_DEP_1) | instskip(SKIP_1) | instid1(VALU_DEP_2)
	v_subrev_nc_u32_e32 v73, 28, v72
	v_sub_nc_u32_e32 v72, 29, v72
	v_lshlrev_b64 v[73:74], v73, v[28:29]
	s_delay_alu instid0(VALU_DEP_1)
	v_and_b32_e32 v28, 7, v73
; %bb.585:                              ;   in Loop: Header=BB384_13 Depth=1
	s_or_b32 exec_lo, exec_lo, s23
	v_lshlrev_b32_e32 v80, 16, v80
	s_delay_alu instid0(VALU_DEP_2) | instskip(SKIP_1) | instid1(VALU_DEP_3)
	v_lshlrev_b32_e32 v28, 20, v28
	v_lshl_add_u32 v72, v72, 23, 0x3c000000
	v_and_b32_e32 v80, 0x80000000, v80
	s_delay_alu instid0(VALU_DEP_1)
	v_or3_b32 v28, v28, v80, v72
.LBB384_586:                            ;   in Loop: Header=BB384_13 Depth=1
	s_or_b32 exec_lo, exec_lo, s22
.LBB384_587:                            ;   in Loop: Header=BB384_13 Depth=1
	s_delay_alu instid0(SALU_CYCLE_1)
	s_or_b32 exec_lo, exec_lo, s21
.LBB384_588:                            ;   in Loop: Header=BB384_13 Depth=1
	s_delay_alu instid0(SALU_CYCLE_1) | instskip(NEXT) | instid1(VALU_DEP_1)
	s_or_b32 exec_lo, exec_lo, s20
	v_mul_f32_e32 v80, v130, v28
	s_delay_alu instid0(VALU_DEP_1) | instskip(NEXT) | instid1(VALU_DEP_1)
	v_and_b32_e32 v28, 0x7f800000, v80
	v_cmp_ne_u32_e64 s2, 0x7f800000, v28
                                        ; implicit-def: $vgpr28
	s_delay_alu instid0(VALU_DEP_1) | instskip(NEXT) | instid1(SALU_CYCLE_1)
	s_and_saveexec_b32 s20, s2
	s_xor_b32 s2, exec_lo, s20
; %bb.589:                              ;   in Loop: Header=BB384_13 Depth=1
	v_bfe_u32 v28, v80, 16, 1
	s_delay_alu instid0(VALU_DEP_1)
	v_add3_u32 v28, v80, v28, 0x7fff
                                        ; implicit-def: $vgpr80
; %bb.590:                              ;   in Loop: Header=BB384_13 Depth=1
	s_and_not1_saveexec_b32 s20, s2
; %bb.591:                              ;   in Loop: Header=BB384_13 Depth=1
	v_and_b32_e32 v28, 0xffff, v80
	v_or_b32_e32 v130, 0x10000, v80
	s_delay_alu instid0(VALU_DEP_2) | instskip(NEXT) | instid1(VALU_DEP_1)
	v_cmp_eq_u32_e64 s2, 0, v28
	v_cndmask_b32_e64 v28, v130, v80, s2
; %bb.592:                              ;   in Loop: Header=BB384_13 Depth=1
	s_or_b32 exec_lo, exec_lo, s20
	v_and_b32_e32 v133, 0xffff0000, v133
	v_and_b32_e32 v130, 0xffff0000, v62
	;; [unrolled: 1-line block ×3, first 2 shown]
	v_lshlrev_b32_e32 v62, 16, v53
	v_and_b32_e32 v53, 0xffff0000, v53
	v_and_b32_e32 v131, 0xffff0000, v131
	;; [unrolled: 1-line block ×3, first 2 shown]
	s_delay_alu instid0(VALU_DEP_4) | instskip(NEXT) | instid1(VALU_DEP_4)
	v_dual_mul_f32 v132, v62, v132 :: v_dual_and_b32 v135, 0xffff0000, v135
	v_mul_f32_e32 v53, v53, v133
	v_and_b32_e32 v80, 0xffff0000, v81
	v_and_b32_e32 v81, 0xffff0000, v63
	v_lshlrev_b32_e32 v63, 16, v52
	v_and_b32_e32 v151, 0xffff0000, v151
	v_and_b32_e32 v52, 0xffff0000, v52
	;; [unrolled: 1-line block ×3, first 2 shown]
	v_lshlrev_b32_e32 v134, 16, v54
	v_dual_fmac_f32 v132, v63, v129 :: v_dual_and_b32 v147, 0xffff0000, v147
	s_delay_alu instid0(VALU_DEP_4) | instskip(SKIP_1) | instid1(VALU_DEP_3)
	v_dual_fmac_f32 v53, v52, v131 :: v_dual_and_b32 v54, 0xffff0000, v54
	v_and_b32_e32 v52, 0xffff0000, v144
	v_dual_fmac_f32 v132, v134, v133 :: v_dual_lshlrev_b32 v129, 16, v55
	v_and_b32_e32 v61, 0xffff0000, v61
	s_delay_alu instid0(VALU_DEP_4)
	v_dual_fmac_f32 v53, v54, v135 :: v_dual_and_b32 v60, 0xffff0000, v60
	v_and_b32_e32 v54, 0xffff0000, v146
	v_lshlrev_b32_e32 v131, 16, v48
	v_dual_fmac_f32 v132, v129, v52 :: v_dual_and_b32 v149, 0xffff0000, v149
	v_and_b32_e32 v55, 0xffff0000, v55
	v_and_b32_e32 v52, 0xffff0000, v148
	;; [unrolled: 1-line block ×3, first 2 shown]
	s_delay_alu instid0(VALU_DEP_4) | instskip(SKIP_3) | instid1(VALU_DEP_4)
	v_dual_fmac_f32 v132, v131, v54 :: v_dual_and_b32 v145, 0xffff0000, v145
	v_and_b32_e32 v58, 0xffff0000, v58
	v_lshlrev_b32_e32 v54, 16, v50
	v_and_b32_e32 v50, 0xffff0000, v50
	v_dual_fmac_f32 v53, v55, v145 :: v_dual_and_b32 v164, 0xffff0000, v164
	v_and_b32_e32 v56, 0xffff0000, v56
	v_lshlrev_b32_e32 v55, 16, v49
	v_and_b32_e32 v49, 0xffff0000, v49
	s_delay_alu instid0(VALU_DEP_4) | instskip(SKIP_1) | instid1(VALU_DEP_4)
	v_dual_fmac_f32 v53, v48, v147 :: v_dual_and_b32 v46, 0xffff0000, v46
	v_and_b32_e32 v48, 0xffff0000, v150
	v_fmac_f32_e32 v132, v55, v52
	s_delay_alu instid0(VALU_DEP_3) | instskip(SKIP_2) | instid1(VALU_DEP_4)
	v_dual_fmac_f32 v53, v49, v149 :: v_dual_lshlrev_b32 v52, 16, v51
	v_and_b32_e32 v44, 0xffff0000, v44
	v_and_b32_e32 v49, 0xffff0000, v160
	v_dual_fmac_f32 v132, v54, v48 :: v_dual_and_b32 v51, 0xffff0000, v51
	s_delay_alu instid0(VALU_DEP_4)
	v_dual_fmac_f32 v53, v50, v151 :: v_dual_and_b32 v162, 0xffff0000, v162
	v_and_b32_e32 v40, 0xffff0000, v40
	v_and_b32_e32 v48, 0xffff0000, v161
	v_lshlrev_b32_e32 v50, 16, v35
	v_dual_fmac_f32 v132, v52, v49 :: v_dual_and_b32 v35, 0xffff0000, v35
	v_fmac_f32_e32 v53, v51, v162
	v_and_b32_e32 v42, 0xffff0000, v42
	v_and_b32_e32 v166, 0xffff0000, v166
	;; [unrolled: 1-line block ×3, first 2 shown]
	v_lshlrev_b32_e32 v51, 16, v36
	v_and_b32_e32 v36, 0xffff0000, v36
	v_fmac_f32_e32 v132, v50, v48
	v_fmac_f32_e32 v53, v35, v164
	v_and_b32_e32 v180, 0xffff0000, v180
	v_and_b32_e32 v35, 0xffff0000, v165
	v_lshlrev_b32_e32 v48, 16, v37
	v_and_b32_e32 v37, 0xffff0000, v37
	v_dual_fmac_f32 v132, v51, v49 :: v_dual_fmac_f32 v53, v36, v166
	v_lshlrev_b32_e32 v49, 16, v38
	v_and_b32_e32 v38, 0xffff0000, v38
	v_and_b32_e32 v176, 0xffff0000, v176
	;; [unrolled: 1-line block ×4, first 2 shown]
	v_dual_fmac_f32 v132, v48, v35 :: v_dual_and_b32 v35, 0xffff0000, v177
	s_delay_alu instid0(VALU_DEP_4) | instskip(SKIP_4) | instid1(VALU_DEP_2)
	v_fmac_f32_e32 v53, v37, v176
	v_lshlrev_b32_e32 v37, 16, v31
	v_and_b32_e32 v31, 0xffff0000, v31
	v_and_b32_e32 v178, 0xffff0000, v178
	v_fmac_f32_e32 v132, v49, v36
	v_dual_fmac_f32 v53, v38, v178 :: v_dual_and_b32 v36, 0xffff0000, v179
	v_lshlrev_b32_e32 v38, 16, v32
	v_and_b32_e32 v32, 0xffff0000, v32
	s_delay_alu instid0(VALU_DEP_4) | instskip(NEXT) | instid1(VALU_DEP_4)
	v_dual_fmac_f32 v132, v37, v35 :: v_dual_lshlrev_b32 v35, 16, v33
	v_fmac_f32_e32 v53, v31, v180
	v_and_b32_e32 v31, 0xffff0000, v181
	s_delay_alu instid0(VALU_DEP_3) | instskip(SKIP_1) | instid1(VALU_DEP_4)
	v_dual_fmac_f32 v132, v38, v36 :: v_dual_and_b32 v33, 0xffff0000, v33
	v_lshlrev_b32_e32 v36, 16, v34
	v_dual_fmac_f32 v53, v32, v182 :: v_dual_and_b32 v32, 0xffff0000, v183
	v_and_b32_e32 v34, 0xffff0000, v34
	s_delay_alu instid0(VALU_DEP_4) | instskip(NEXT) | instid1(VALU_DEP_3)
	v_dual_fmac_f32 v132, v35, v31 :: v_dual_and_b32 v31, 0xffff0000, v41
	v_fmac_f32_e32 v53, v33, v40
	v_lshlrev_b32_e32 v33, 16, v16
	v_and_b32_e32 v16, 0xffff0000, v16
	s_delay_alu instid0(VALU_DEP_4) | instskip(NEXT) | instid1(VALU_DEP_4)
	v_fmac_f32_e32 v132, v36, v32
	v_dual_fmac_f32 v53, v34, v42 :: v_dual_and_b32 v32, 0xffff0000, v43
	v_lshlrev_b32_e32 v34, 16, v17
	s_delay_alu instid0(VALU_DEP_3) | instskip(SKIP_1) | instid1(VALU_DEP_4)
	v_dual_fmac_f32 v132, v33, v31 :: v_dual_and_b32 v17, 0xffff0000, v17
	v_lshlrev_b32_e32 v31, 16, v18
	v_dual_fmac_f32 v53, v16, v44 :: v_dual_and_b32 v16, 0xffff0000, v45
	v_and_b32_e32 v18, 0xffff0000, v18
	s_delay_alu instid0(VALU_DEP_4) | instskip(NEXT) | instid1(VALU_DEP_3)
	v_fmac_f32_e32 v132, v34, v32
	v_dual_fmac_f32 v53, v17, v46 :: v_dual_lshlrev_b32 v32, 16, v19
	v_and_b32_e32 v17, 0xffff0000, v47
	s_delay_alu instid0(VALU_DEP_3) | instskip(NEXT) | instid1(VALU_DEP_3)
	v_dual_fmac_f32 v132, v31, v16 :: v_dual_and_b32 v19, 0xffff0000, v19
	v_dual_fmac_f32 v53, v18, v56 :: v_dual_and_b32 v16, 0xffff0000, v57
	v_lshlrev_b32_e32 v18, 16, v6
	v_and_b32_e32 v6, 0xffff0000, v6
	s_delay_alu instid0(VALU_DEP_4) | instskip(NEXT) | instid1(VALU_DEP_4)
	v_dual_fmac_f32 v132, v32, v17 :: v_dual_and_b32 v17, 0xffff0000, v59
	v_fmac_f32_e32 v53, v19, v58
	v_lshlrev_b32_e32 v19, 16, v7
	s_delay_alu instid0(VALU_DEP_3) | instskip(NEXT) | instid1(VALU_DEP_3)
	v_dual_fmac_f32 v132, v18, v16 :: v_dual_and_b32 v7, 0xffff0000, v7
	v_dual_fmac_f32 v53, v6, v60 :: v_dual_lshlrev_b32 v16, 16, v9
	v_lshlrev_b32_e32 v6, 16, v8
	v_and_b32_e32 v8, 0xffff0000, v8
	s_delay_alu instid0(VALU_DEP_4) | instskip(NEXT) | instid1(VALU_DEP_4)
	v_dual_fmac_f32 v132, v19, v17 :: v_dual_and_b32 v17, 0xffff0000, v28
	v_fmac_f32_e32 v53, v7, v61
	v_xor_b32_e32 v7, 2, v101
	s_delay_alu instid0(VALU_DEP_3) | instskip(NEXT) | instid1(VALU_DEP_3)
	v_dual_fmac_f32 v132, v6, v130 :: v_dual_and_b32 v9, 0xffff0000, v9
	v_fmac_f32_e32 v53, v8, v81
	s_delay_alu instid0(VALU_DEP_3) | instskip(SKIP_1) | instid1(VALU_DEP_3)
	v_cmp_gt_i32_e64 s2, 32, v7
	v_xor_b32_e32 v8, 1, v101
	v_dual_fmac_f32 v132, v16, v80 :: v_dual_fmac_f32 v53, v9, v17
	s_delay_alu instid0(VALU_DEP_3) | instskip(NEXT) | instid1(VALU_DEP_3)
	v_cndmask_b32_e64 v6, v101, v7, s2
	v_cmp_gt_i32_e64 s2, 32, v8
	s_delay_alu instid0(VALU_DEP_2) | instskip(NEXT) | instid1(VALU_DEP_2)
	v_dual_add_f32 v7, v132, v53 :: v_dual_lshlrev_b32 v6, 2, v6
	v_cndmask_b32_e64 v8, v101, v8, s2
	ds_bpermute_b32 v6, v6, v7
	v_lshlrev_b32_e32 v8, 2, v8
	s_waitcnt lgkmcnt(0)
	v_add_f32_e32 v6, v7, v6
	ds_bpermute_b32 v7, v8, v6
	s_and_saveexec_b32 s20, vcc_lo
	s_cbranch_execz .LBB384_11
; %bb.593:                              ;   in Loop: Header=BB384_13 Depth=1
	v_add_nc_u32_e32 v8, v118, v115
	s_load_b32 s21, s[8:9], 0x0
	s_waitcnt lgkmcnt(0)
	v_add_f32_e32 v6, v6, v7
	s_delay_alu instid0(VALU_DEP_2) | instskip(NEXT) | instid1(VALU_DEP_1)
	v_cvt_f32_i32_e32 v8, v8
	v_mul_f32_e32 v8, v100, v8
	s_delay_alu instid0(VALU_DEP_1) | instskip(SKIP_1) | instid1(VALU_DEP_2)
	v_cndmask_b32_e64 v7, 0, v8, s1
	v_max_f32_e32 v8, v102, v102
	v_dual_fmac_f32 v7, v6, v13 :: v_dual_add_nc_u32 v6, v112, v115
	s_delay_alu instid0(VALU_DEP_1) | instskip(NEXT) | instid1(VALU_DEP_2)
	v_max_f32_e32 v8, v8, v7
	v_cmp_lt_i32_e64 s2, v6, v83
	v_add_nc_u32_e32 v6, s21, v117
	s_delay_alu instid0(VALU_DEP_2) | instskip(NEXT) | instid1(VALU_DEP_4)
	v_cndmask_b32_e64 v7, 0, v7, s2
	v_cndmask_b32_e64 v102, v102, v8, s2
	ds_store_b32 v6, v7
	s_branch .LBB384_11
.LBB384_594:
	s_or_b32 exec_lo, exec_lo, s19
.LBB384_595:
	s_delay_alu instid0(SALU_CYCLE_1)
	s_or_b32 exec_lo, exec_lo, s18
	v_xor_b32_e32 v6, 16, v101
	s_waitcnt lgkmcnt(0)
	v_xor_b32_e32 v7, 8, v101
	v_dual_max_f32 v13, v102, v102 :: v_dual_and_b32 v16, 31, v39
	s_lshr_b32 s8, s17, 16
	v_cmp_gt_i32_e32 vcc_lo, 32, v6
	v_cndmask_b32_e32 v6, v101, v6, vcc_lo
	v_cmp_gt_i32_e32 vcc_lo, 32, v7
	v_cndmask_b32_e32 v7, v101, v7, vcc_lo
	s_delay_alu instid0(VALU_DEP_1) | instskip(NEXT) | instid1(VALU_DEP_4)
	v_lshlrev_b32_e32 v9, 2, v7
	v_lshlrev_b32_e32 v8, 2, v6
	ds_bpermute_b32 v6, v8, v102
	s_waitcnt lgkmcnt(0)
	v_max_f32_e32 v6, v6, v6
	s_delay_alu instid0(VALU_DEP_1) | instskip(SKIP_1) | instid1(VALU_DEP_1)
	v_max_f32_e32 v6, v13, v6
	v_xor_b32_e32 v13, 4, v101
	v_cmp_gt_i32_e32 vcc_lo, 32, v13
	v_cndmask_b32_e32 v13, v101, v13, vcc_lo
	v_cmp_eq_u32_e32 vcc_lo, 0, v16
	s_delay_alu instid0(VALU_DEP_2) | instskip(SKIP_4) | instid1(VALU_DEP_1)
	v_lshlrev_b32_e32 v18, 2, v13
	v_lshlrev_b32_e32 v13, 2, v21
	ds_bpermute_b32 v7, v9, v6
	s_waitcnt lgkmcnt(0)
	v_max_f32_e32 v7, v7, v7
	v_max_f32_e32 v6, v6, v7
	ds_bpermute_b32 v7, v18, v6
	s_and_saveexec_b32 s1, vcc_lo
	s_cbranch_execz .LBB384_597
; %bb.596:
	s_waitcnt lgkmcnt(0)
	v_dual_max_f32 v7, v7, v7 :: v_dual_max_f32 v6, v6, v6
	s_delay_alu instid0(VALU_DEP_1)
	v_max_f32_e32 v6, v6, v7
	ds_store_b32 v13, v6 offset:384
.LBB384_597:
	s_or_b32 exec_lo, exec_lo, s1
	v_cmp_gt_u32_e64 s1, 4, v16
	v_dual_mov_b32 v6, 0xff7fffff :: v_dual_lshlrev_b32 v17, 2, v16
	s_waitcnt lgkmcnt(0)
	s_barrier
	buffer_gl0_inv
	s_and_saveexec_b32 s2, s1
	s_cbranch_execz .LBB384_599
; %bb.598:
	ds_load_b32 v6, v17 offset:384
.LBB384_599:
	s_or_b32 exec_lo, exec_lo, s2
	v_xor_b32_e32 v7, 2, v101
	v_xor_b32_e32 v24, 1, v101
	v_subrev_nc_u32_e32 v28, s13, v87
	v_mov_b32_e32 v25, 0
	s_delay_alu instid0(VALU_DEP_4) | instskip(NEXT) | instid1(VALU_DEP_1)
	v_cmp_gt_i32_e64 s2, 32, v7
	v_cndmask_b32_e64 v7, v101, v7, s2
	v_cmp_gt_i32_e64 s2, 32, v24
	s_delay_alu instid0(VALU_DEP_2) | instskip(NEXT) | instid1(VALU_DEP_2)
	v_lshlrev_b32_e32 v19, 2, v7
	v_cndmask_b32_e64 v24, v101, v24, s2
	s_waitcnt lgkmcnt(0)
	ds_bpermute_b32 v7, v19, v6
	v_max_f32_e32 v6, v6, v6
	s_waitcnt lgkmcnt(0)
	v_dual_max_f32 v7, v7, v7 :: v_dual_lshlrev_b32 v24, 2, v24
	s_delay_alu instid0(VALU_DEP_1) | instskip(SKIP_3) | instid1(VALU_DEP_1)
	v_max_f32_e32 v6, v6, v7
	ds_bpermute_b32 v7, v24, v6
	s_waitcnt lgkmcnt(0)
	v_max_f32_e32 v7, v7, v7
	v_max_f32_e32 v6, v6, v7
	v_lshl_add_u32 v7, v28, 3, s16
	ds_bpermute_b32 v6, v25, v6
	v_min_i32_e32 v7, v7, v83
	s_delay_alu instid0(VALU_DEP_1) | instskip(NEXT) | instid1(VALU_DEP_1)
	v_subrev_nc_u32_e32 v7, s16, v7
	v_cmp_lt_i32_e64 s2, v39, v7
	s_delay_alu instid0(VALU_DEP_1)
	s_and_saveexec_b32 s9, s2
	s_cbranch_execz .LBB384_603
; %bb.600:
	s_getpc_b64 s[16:17]
	s_add_u32 s16, s16, llvm.amdgcn.dynlds.offset.table@rel32@lo+4
	s_addc_u32 s17, s17, llvm.amdgcn.dynlds.offset.table@rel32@hi+12
	s_ashr_i32 s7, s6, 31
	v_mov_b32_e32 v25, 0
	s_lshl_b64 s[18:19], s[6:7], 2
	v_mov_b32_e32 v29, v39
	s_add_u32 s16, s18, s16
	s_addc_u32 s17, s19, s17
	s_mov_b32 s7, 0
	s_load_b32 s3, s[16:17], 0x0
	s_waitcnt lgkmcnt(0)
	v_lshl_add_u32 v28, v39, 2, s3
	.p2align	6
.LBB384_601:                            ; =>This Inner Loop Header: Depth=1
	ds_load_b32 v31, v28
	v_add_nc_u32_e32 v29, 0x80, v29
	s_delay_alu instid0(VALU_DEP_1) | instskip(NEXT) | instid1(VALU_DEP_1)
	v_cmp_ge_i32_e64 s3, v29, v7
	s_or_b32 s7, s3, s7
	s_waitcnt lgkmcnt(0)
	v_sub_f32_e32 v31, v31, v6
	s_delay_alu instid0(VALU_DEP_1) | instskip(NEXT) | instid1(VALU_DEP_1)
	v_mul_f32_e32 v31, 0x3fb8aa3b, v31
	v_exp_f32_e32 v31, v31
	ds_store_b32 v28, v31
	v_dual_add_f32 v25, v25, v31 :: v_dual_add_nc_u32 v28, 0x200, v28
	s_and_not1_b32 exec_lo, exec_lo, s7
	s_cbranch_execnz .LBB384_601
; %bb.602:
	s_or_b32 exec_lo, exec_lo, s7
.LBB384_603:
	s_delay_alu instid0(SALU_CYCLE_1)
	s_or_b32 exec_lo, exec_lo, s9
	ds_bpermute_b32 v8, v8, v25
	s_waitcnt lgkmcnt(0)
	v_add_f32_e32 v8, v25, v8
	ds_bpermute_b32 v9, v9, v8
	s_waitcnt lgkmcnt(0)
	v_add_f32_e32 v8, v8, v9
	;; [unrolled: 3-line block ×5, first 2 shown]
	s_and_saveexec_b32 s3, vcc_lo
	s_cbranch_execz .LBB384_605
; %bb.604:
	ds_store_b32 v13, v8 offset:400
.LBB384_605:
	s_or_b32 exec_lo, exec_lo, s3
	s_waitcnt lgkmcnt(0)
	s_barrier
	buffer_gl0_inv
	s_and_saveexec_b32 s3, s1
	s_cbranch_execz .LBB384_607
; %bb.606:
	ds_load_b32 v8, v17 offset:400
.LBB384_607:
	s_or_b32 exec_lo, exec_lo, s3
	s_waitcnt lgkmcnt(0)
	ds_bpermute_b32 v9, v19, v8
	s_waitcnt lgkmcnt(0)
	v_add_f32_e32 v8, v8, v9
	ds_bpermute_b32 v9, v24, v8
	s_waitcnt lgkmcnt(0)
	v_dual_add_f32 v8, v8, v9 :: v_dual_mov_b32 v9, 0
	ds_bpermute_b32 v8, v9, v8
	s_and_saveexec_b32 s1, s2
	s_cbranch_execz .LBB384_610
; %bb.608:
	s_waitcnt lgkmcnt(0)
	v_add_f32_e32 v13, 0x358637bd, v8
	s_getpc_b64 s[2:3]
	s_add_u32 s2, s2, llvm.amdgcn.dynlds.offset.table@rel32@lo+4
	s_addc_u32 s3, s3, llvm.amdgcn.dynlds.offset.table@rel32@hi+12
	s_ashr_i32 s7, s6, 31
	s_delay_alu instid0(SALU_CYCLE_1) | instskip(SKIP_3) | instid1(VALU_DEP_2)
	s_lshl_b64 s[16:17], s[6:7], 2
	v_div_scale_f32 v9, null, v13, v13, 1.0
	v_div_scale_f32 v19, vcc_lo, 1.0, v13, 1.0
	s_add_u32 s2, s16, s2
	v_rcp_f32_e32 v17, v9
	s_addc_u32 s3, s17, s3
	s_load_b32 s2, s[2:3], 0x0
	s_waitcnt_depctr 0xfff
	v_fma_f32 v18, -v9, v17, 1.0
	s_delay_alu instid0(VALU_DEP_1) | instskip(NEXT) | instid1(VALU_DEP_1)
	v_fmac_f32_e32 v17, v18, v17
	v_mul_f32_e32 v18, v19, v17
	s_delay_alu instid0(VALU_DEP_1) | instskip(NEXT) | instid1(VALU_DEP_1)
	v_fma_f32 v24, -v9, v18, v19
	v_fmac_f32_e32 v18, v24, v17
	s_delay_alu instid0(VALU_DEP_1) | instskip(NEXT) | instid1(VALU_DEP_1)
	v_fma_f32 v9, -v9, v18, v19
	v_div_fmas_f32 v17, v9, v17, v18
	s_waitcnt lgkmcnt(0)
	v_lshl_add_u32 v9, v39, 2, s2
	s_mov_b32 s2, 0
	s_delay_alu instid0(VALU_DEP_2)
	v_div_fixup_f32 v13, v17, v13, 1.0
	v_mov_b32_e32 v17, v39
.LBB384_609:                            ; =>This Inner Loop Header: Depth=1
	ds_load_b32 v18, v9
	s_waitcnt lgkmcnt(0)
	v_dual_mul_f32 v18, v13, v18 :: v_dual_add_nc_u32 v17, 0x80, v17
	s_delay_alu instid0(VALU_DEP_1) | instskip(SKIP_3) | instid1(SALU_CYCLE_1)
	v_cmp_ge_i32_e32 vcc_lo, v17, v7
	ds_store_b32 v9, v18
	v_add_nc_u32_e32 v9, 0x200, v9
	s_or_b32 s2, vcc_lo, s2
	s_and_not1_b32 exec_lo, exec_lo, s2
	s_cbranch_execnz .LBB384_609
.LBB384_610:
	s_or_b32 exec_lo, exec_lo, s1
	v_cmp_ne_u16_e64 s1, s8, 0
	s_waitcnt lgkmcnt(0)
	s_barrier
	buffer_gl0_inv
	s_cmp_lg_u32 s1, 0
	s_addc_u32 s1, s5, 0
	s_mov_b32 s5, exec_lo
	s_mul_i32 s2, s1, s10
	s_delay_alu instid0(SALU_CYCLE_1)
	s_mul_i32 s2, s2, s15
	v_cmpx_eq_u32_e32 0, v39
	s_cbranch_execz .LBB384_612
; %bb.611:
	s_mul_i32 s8, s1, s12
	s_ashr_i32 s15, s14, 31
	s_ashr_i32 s9, s8, 31
	;; [unrolled: 1-line block ×3, first 2 shown]
	s_lshl_b64 s[8:9], s[8:9], 2
	s_lshl_b64 s[12:13], s[14:15], 2
	;; [unrolled: 1-line block ×3, first 2 shown]
	s_add_u32 s3, s12, s8
	s_addc_u32 s7, s13, s9
	s_add_u32 s3, s3, s16
	s_addc_u32 s7, s7, s17
	v_add_co_u32 v2, vcc_lo, s3, v2
	v_add_co_ci_u32_e32 v3, vcc_lo, s7, v3, vcc_lo
	v_add_co_u32 v0, vcc_lo, s3, v0
	v_add_co_ci_u32_e32 v1, vcc_lo, s7, v1, vcc_lo
	flat_store_b32 v[2:3], v6
	flat_store_b32 v[0:1], v8
.LBB384_612:
	s_or_b32 exec_lo, exec_lo, s5
	s_getpc_b64 s[8:9]
	s_add_u32 s8, s8, llvm.amdgcn.dynlds.offset.table@rel32@lo+4
	s_addc_u32 s9, s9, llvm.amdgcn.dynlds.offset.table@rel32@hi+12
	s_ashr_i32 s7, s6, 31
	v_dual_mov_b32 v6, 0 :: v_dual_mov_b32 v17, 0
	s_lshl_b64 s[6:7], s[6:7], 2
	v_dual_mov_b32 v18, 0 :: v_dual_mov_b32 v19, 0
	s_add_u32 s6, s6, s8
	s_addc_u32 s7, s7, s9
	v_dual_mov_b32 v24, 0 :: v_dual_mov_b32 v25, 0
	s_load_b32 s10, s[6:7], 0x0
	s_mov_b32 s5, 0
	s_waitcnt lgkmcnt(0)
	v_mov_b32_e32 v0, s10
	s_and_saveexec_b32 s3, s0
	s_cbranch_execz .LBB384_1430
; %bb.613:
	v_max_i32_e32 v28, v30, v98
	v_add_co_u32 v2, vcc_lo, v10, v97
	v_lshlrev_b32_e32 v6, 3, v16
	v_add_co_ci_u32_e32 v3, vcc_lo, v11, v99, vcc_lo
	v_mov_b32_e32 v11, 0
	v_cvt_f32_u32_e32 v0, v28
	v_sub_nc_u32_e32 v7, 0, v28
	v_dual_mov_b32 v24, 0 :: v_dual_add_nc_u32 v29, -1, v12
	v_lshl_add_u32 v30, v21, 5, s10
	s_delay_alu instid0(VALU_DEP_4)
	v_rcp_iflag_f32_e32 v0, v0
	v_dual_mov_b32 v19, 0 :: v_dual_mov_b32 v18, 0
	v_mov_b32_e32 v17, 0
	s_mov_b32 s8, -1
	s_mov_b32 s9, 0xffffff
	s_waitcnt_depctr 0xfff
	v_dual_mov_b32 v25, 0 :: v_dual_mul_f32 v0, 0x4f7ffffe, v0
	s_delay_alu instid0(VALU_DEP_1) | instskip(SKIP_1) | instid1(VALU_DEP_2)
	v_cvt_u32_f32_e32 v8, v0
	v_lshlrev_b64 v[0:1], 2, v[64:65]
	v_mul_lo_u32 v7, v7, v8
	s_delay_alu instid0(VALU_DEP_2) | instskip(NEXT) | instid1(VALU_DEP_3)
	v_add_co_u32 v0, vcc_lo, v66, v0
	v_add_co_ci_u32_e32 v1, vcc_lo, v67, v1, vcc_lo
	v_add_co_u32 v12, vcc_lo, v2, v6
	s_delay_alu instid0(VALU_DEP_4) | instskip(SKIP_3) | instid1(VALU_DEP_4)
	v_mul_hi_u32 v7, v8, v7
	v_add_co_ci_u32_e32 v13, vcc_lo, 0, v3, vcc_lo
	v_add_co_u32 v14, vcc_lo, v14, v0
	v_add_co_ci_u32_e32 v15, vcc_lo, v15, v1, vcc_lo
	v_dual_mov_b32 v6, 0 :: v_dual_add_nc_u32 v31, v8, v7
	s_branch .LBB384_616
.LBB384_614:                            ;   in Loop: Header=BB384_616 Depth=1
	s_or_b32 exec_lo, exec_lo, s0
	v_and_b32_e32 v7, 0xffff0000, v7
	v_and_b32_e32 v54, 0xffff0000, v146
	;; [unrolled: 1-line block ×8, first 2 shown]
	v_dual_add_f32 v53, v54, v53 :: v_dual_and_b32 v52, 0xffff0000, v144
	v_and_b32_e32 v54, 0xffff0000, v128
	v_and_b32_e32 v51, 0xffff0000, v145
	v_add_f32_e32 v7, v7, v8
	v_and_b32_e32 v32, 0xffff0000, v32
	v_and_b32_e32 v9, 0xffff0000, v9
	s_delay_alu instid0(VALU_DEP_4) | instskip(SKIP_3) | instid1(VALU_DEP_4)
	v_dual_add_f32 v8, v52, v51 :: v_dual_and_b32 v1, 0xffff0000, v1
	v_and_b32_e32 v51, 0xffff0000, v148
	v_and_b32_e32 v52, 0xffff0000, v149
	;; [unrolled: 1-line block ×3, first 2 shown]
	v_dual_add_f32 v7, v7, v8 :: v_dual_and_b32 v34, 0xffff0000, v34
	s_delay_alu instid0(VALU_DEP_3) | instskip(SKIP_1) | instid1(VALU_DEP_3)
	v_dual_add_f32 v51, v51, v52 :: v_dual_and_b32 v8, 0xffff0000, v129
	v_and_b32_e32 v52, 0xffff0000, v131
	v_dual_add_f32 v7, v7, v53 :: v_dual_and_b32 v10, 0xffff0000, v10
	v_and_b32_e32 v53, 0xffff0000, v130
	v_and_b32_e32 v0, 0xffff0000, v0
	;; [unrolled: 1-line block ×3, first 2 shown]
	s_delay_alu instid0(VALU_DEP_4) | instskip(SKIP_2) | instid1(VALU_DEP_3)
	v_dual_add_f32 v32, v32, v33 :: v_dual_add_f32 v7, v7, v51
	v_add_f32_e32 v8, v54, v8
	v_dual_add_f32 v51, v53, v52 :: v_dual_and_b32 v54, 0xffff0000, v135
	v_dual_add_f32 v17, v17, v7 :: v_dual_and_b32 v52, 0xffff0000, v132
	v_add_f32_e32 v0, v0, v1
	s_delay_alu instid0(VALU_DEP_3) | instskip(SKIP_1) | instid1(VALU_DEP_4)
	v_add_f32_e32 v7, v8, v51
	v_and_b32_e32 v51, 0xffff0000, v115
	v_add_f32_e32 v8, v52, v55
	v_and_b32_e32 v52, 0xffff0000, v113
	v_and_b32_e32 v55, 0xffff0000, v112
	v_dual_add_f32 v1, v2, v9 :: v_dual_and_b32 v36, 0xffff0000, v36
	v_add_f32_e32 v33, v34, v35
	v_dual_add_f32 v7, v7, v8 :: v_dual_and_b32 v8, 0xffff0000, v117
	s_delay_alu instid0(VALU_DEP_4) | instskip(SKIP_1) | instid1(VALU_DEP_4)
	v_dual_add_f32 v52, v55, v52 :: v_dual_and_b32 v55, 0xffff0000, v99
	v_and_b32_e32 v69, 0xffff0000, v118
	v_dual_add_f32 v9, v32, v33 :: v_dual_and_b32 v38, 0xffff0000, v38
	s_delay_alu instid0(VALU_DEP_4) | instskip(SKIP_3) | instid1(VALU_DEP_4)
	v_dual_add_f32 v8, v66, v8 :: v_dual_and_b32 v65, 0xffff0000, v114
	v_and_b32_e32 v48, 0xffff0000, v48
	v_add_f32_e32 v32, v36, v37
	v_and_b32_e32 v2, 0xffff0000, v49
	v_dual_add_f32 v0, v0, v1 :: v_dual_add_f32 v51, v65, v51
	v_and_b32_e32 v65, 0xffff0000, v97
	s_delay_alu instid0(VALU_DEP_4) | instskip(SKIP_1) | instid1(VALU_DEP_4)
	v_add_f32_e32 v9, v9, v32
	v_dual_add_f32 v32, v38, v48 :: v_dual_and_b32 v67, 0xffff0000, v81
	v_dual_add_f32 v51, v52, v51 :: v_dual_and_b32 v68, 0xffff0000, v98
	s_delay_alu instid0(VALU_DEP_2) | instskip(NEXT) | instid1(VALU_DEP_2)
	v_add_f32_e32 v65, v67, v65
	v_dual_add_f32 v55, v68, v55 :: v_dual_and_b32 v52, 0xffff0000, v101
	v_and_b32_e32 v53, 0xffff0000, v134
	v_and_b32_e32 v66, 0xffff0000, v119
	;; [unrolled: 1-line block ×3, first 2 shown]
	s_delay_alu instid0(VALU_DEP_3) | instskip(NEXT) | instid1(VALU_DEP_3)
	v_dual_add_f32 v8, v51, v8 :: v_dual_add_f32 v53, v53, v54
	v_add_f32_e32 v51, v69, v66
	v_and_b32_e32 v34, 0xffff0000, v50
	v_add_f32_e32 v54, v65, v55
	v_dual_add_f32 v52, v67, v52 :: v_dual_and_b32 v65, 0xffff0000, v103
	s_delay_alu instid0(VALU_DEP_3) | instskip(SKIP_2) | instid1(VALU_DEP_4)
	v_add_f32_e32 v1, v2, v34
	v_and_b32_e32 v55, 0xffff0000, v102
	v_and_b32_e32 v2, 0xffff0000, v3
	v_add_f32_e32 v52, v54, v52
	s_delay_alu instid0(VALU_DEP_2) | instskip(SKIP_3) | instid1(VALU_DEP_4)
	v_dual_add_f32 v0, v0, v1 :: v_dual_add_f32 v1, v10, v2
	v_add_f32_e32 v2, v7, v53
	v_add_f32_e32 v3, v55, v65
	v_dual_add_f32 v7, v8, v51 :: v_dual_add_f32 v8, v9, v32
	v_add_f32_e32 v0, v0, v1
	s_delay_alu instid0(VALU_DEP_3) | instskip(NEXT) | instid1(VALU_DEP_3)
	v_dual_add_f32 v18, v18, v2 :: v_dual_add_f32 v3, v52, v3
	v_add_f32_e32 v19, v19, v7
	s_delay_alu instid0(VALU_DEP_4) | instskip(NEXT) | instid1(VALU_DEP_4)
	v_add_f32_e32 v25, v25, v8
	v_add_f32_e32 v6, v6, v0
	s_delay_alu instid0(VALU_DEP_4)
	v_add_f32_e32 v24, v24, v3
.LBB384_615:                            ;   in Loop: Header=BB384_616 Depth=1
	s_or_b32 exec_lo, exec_lo, s10
	v_add_nc_u32_e32 v64, 4, v64
	v_add_co_u32 v14, s0, v14, 16
	s_delay_alu instid0(VALU_DEP_1) | instskip(NEXT) | instid1(VALU_DEP_3)
	v_add_co_ci_u32_e64 v15, s0, 0, v15, s0
	v_cmp_ge_i32_e32 vcc_lo, v64, v87
	v_add_nc_u32_e32 v23, 32, v23
	v_add_nc_u32_e32 v30, 0x80, v30
	s_or_b32 s5, vcc_lo, s5
	s_delay_alu instid0(SALU_CYCLE_1)
	s_and_not1_b32 exec_lo, exec_lo, s5
	s_cbranch_execz .LBB384_1429
.LBB384_616:                            ; =>This Inner Loop Header: Depth=1
	v_sub_nc_u32_e32 v0, 0, v23
	s_delay_alu instid0(VALU_DEP_1) | instskip(NEXT) | instid1(VALU_DEP_1)
	v_max_i32_e32 v0, v23, v0
	v_mul_hi_u32 v1, v0, v85
	s_delay_alu instid0(VALU_DEP_1) | instskip(NEXT) | instid1(VALU_DEP_1)
	v_mul_lo_u32 v2, v1, v84
	v_sub_nc_u32_e32 v0, v0, v2
	v_add_nc_u32_e32 v2, 1, v1
	s_delay_alu instid0(VALU_DEP_2) | instskip(SKIP_1) | instid1(VALU_DEP_2)
	v_sub_nc_u32_e32 v3, v0, v84
	v_cmp_ge_u32_e32 vcc_lo, v0, v84
	v_dual_cndmask_b32 v1, v1, v2 :: v_dual_cndmask_b32 v0, v0, v3
	v_ashrrev_i32_e32 v2, 31, v23
	s_delay_alu instid0(VALU_DEP_2) | instskip(NEXT) | instid1(VALU_DEP_3)
	v_add_nc_u32_e32 v3, 1, v1
	v_cmp_ge_u32_e32 vcc_lo, v0, v84
	s_delay_alu instid0(VALU_DEP_3) | instskip(NEXT) | instid1(VALU_DEP_3)
	v_xor_b32_e32 v2, v2, v86
	v_cndmask_b32_e32 v0, v1, v3, vcc_lo
	s_delay_alu instid0(VALU_DEP_1) | instskip(NEXT) | instid1(VALU_DEP_1)
	v_xor_b32_e32 v0, v0, v2
	v_sub_nc_u32_e32 v0, v0, v2
	s_delay_alu instid0(VALU_DEP_1) | instskip(SKIP_1) | instid1(VALU_DEP_2)
	v_add_nc_u32_e32 v1, v0, v20
	v_cmp_gt_i32_e64 s0, v0, v96
	v_sub_nc_u32_e32 v2, 0, v1
	s_delay_alu instid0(VALU_DEP_1) | instskip(NEXT) | instid1(VALU_DEP_1)
	v_max_i32_e32 v2, v1, v2
	v_mul_hi_u32 v3, v2, v31
	s_delay_alu instid0(VALU_DEP_1) | instskip(NEXT) | instid1(VALU_DEP_1)
	v_mul_lo_u32 v3, v3, v28
	v_sub_nc_u32_e32 v2, v2, v3
	s_delay_alu instid0(VALU_DEP_1) | instskip(SKIP_1) | instid1(VALU_DEP_2)
	v_sub_nc_u32_e32 v3, v2, v28
	v_cmp_ge_u32_e32 vcc_lo, v2, v28
	v_cndmask_b32_e32 v2, v2, v3, vcc_lo
	v_ashrrev_i32_e32 v1, 31, v1
	s_delay_alu instid0(VALU_DEP_2) | instskip(SKIP_1) | instid1(VALU_DEP_2)
	v_sub_nc_u32_e32 v3, v2, v28
	v_cmp_ge_u32_e32 vcc_lo, v2, v28
	v_cndmask_b32_e32 v2, v2, v3, vcc_lo
	s_delay_alu instid0(VALU_DEP_1) | instskip(NEXT) | instid1(VALU_DEP_1)
	v_xor_b32_e32 v2, v2, v1
	v_sub_nc_u32_e32 v1, v2, v1
	s_delay_alu instid0(VALU_DEP_1) | instskip(SKIP_1) | instid1(SALU_CYCLE_1)
	v_cmp_eq_u32_e32 vcc_lo, 0, v1
	s_or_b32 s0, vcc_lo, s0
	s_and_saveexec_b32 s10, s0
	s_cbranch_execz .LBB384_615
; %bb.617:                              ;   in Loop: Header=BB384_616 Depth=1
	flat_load_b32 v49, v[14:15]
	ds_load_2addr_b64 v[7:10], v30 offset1:1
	ds_load_2addr_b64 v[0:3], v30 offset0:2 offset1:3
	s_waitcnt lgkmcnt(1)
	v_and_b32_e32 v32, 0x7f800000, v7
	s_delay_alu instid0(VALU_DEP_1) | instskip(SKIP_1) | instid1(SALU_CYCLE_1)
	v_cmp_ne_u32_e32 vcc_lo, 0x7f800000, v32
                                        ; implicit-def: $vgpr32
	s_and_saveexec_b32 s0, vcc_lo
	s_xor_b32 s0, exec_lo, s0
; %bb.618:                              ;   in Loop: Header=BB384_616 Depth=1
	v_bfe_u32 v32, v7, 16, 1
	s_delay_alu instid0(VALU_DEP_1)
	v_add3_u32 v32, v7, v32, 0x7fff
; %bb.619:                              ;   in Loop: Header=BB384_616 Depth=1
	s_and_not1_saveexec_b32 s0, s0
; %bb.620:                              ;   in Loop: Header=BB384_616 Depth=1
	v_and_b32_e32 v32, 0xffff, v7
	v_or_b32_e32 v33, 0x10000, v7
	s_delay_alu instid0(VALU_DEP_2) | instskip(NEXT) | instid1(VALU_DEP_2)
	v_cmp_eq_u32_e32 vcc_lo, 0, v32
	v_cndmask_b32_e32 v32, v33, v7, vcc_lo
; %bb.621:                              ;   in Loop: Header=BB384_616 Depth=1
	s_or_b32 exec_lo, exec_lo, s0
	v_and_b32_e32 v7, 0x7f800000, v8
	s_mov_b32 s0, exec_lo
                                        ; implicit-def: $vgpr33
	s_delay_alu instid0(VALU_DEP_1)
	v_cmpx_ne_u32_e32 0x7f800000, v7
	s_xor_b32 s0, exec_lo, s0
; %bb.622:                              ;   in Loop: Header=BB384_616 Depth=1
	v_bfe_u32 v7, v8, 16, 1
	s_delay_alu instid0(VALU_DEP_1)
	v_add3_u32 v33, v8, v7, 0x7fff
; %bb.623:                              ;   in Loop: Header=BB384_616 Depth=1
	s_and_not1_saveexec_b32 s0, s0
; %bb.624:                              ;   in Loop: Header=BB384_616 Depth=1
	v_and_b32_e32 v7, 0xffff, v8
	v_or_b32_e32 v33, 0x10000, v8
	s_delay_alu instid0(VALU_DEP_2) | instskip(NEXT) | instid1(VALU_DEP_2)
	v_cmp_eq_u32_e32 vcc_lo, 0, v7
	v_cndmask_b32_e32 v33, v33, v8, vcc_lo
; %bb.625:                              ;   in Loop: Header=BB384_616 Depth=1
	s_or_b32 exec_lo, exec_lo, s0
	v_and_b32_e32 v7, 0x7f800000, v9
	s_mov_b32 s0, exec_lo
                                        ; implicit-def: $vgpr34
	s_delay_alu instid0(VALU_DEP_1)
	v_cmpx_ne_u32_e32 0x7f800000, v7
	s_xor_b32 s0, exec_lo, s0
; %bb.626:                              ;   in Loop: Header=BB384_616 Depth=1
	v_bfe_u32 v7, v9, 16, 1
	s_delay_alu instid0(VALU_DEP_1)
	v_add3_u32 v34, v9, v7, 0x7fff
; %bb.627:                              ;   in Loop: Header=BB384_616 Depth=1
	s_and_not1_saveexec_b32 s0, s0
; %bb.628:                              ;   in Loop: Header=BB384_616 Depth=1
	v_and_b32_e32 v7, 0xffff, v9
	v_or_b32_e32 v8, 0x10000, v9
	s_delay_alu instid0(VALU_DEP_2) | instskip(NEXT) | instid1(VALU_DEP_2)
	v_cmp_eq_u32_e32 vcc_lo, 0, v7
	v_cndmask_b32_e32 v34, v8, v9, vcc_lo
; %bb.629:                              ;   in Loop: Header=BB384_616 Depth=1
	s_or_b32 exec_lo, exec_lo, s0
	v_and_b32_e32 v7, 0x7f800000, v10
	s_mov_b32 s0, exec_lo
                                        ; implicit-def: $vgpr35
	s_delay_alu instid0(VALU_DEP_1)
	v_cmpx_ne_u32_e32 0x7f800000, v7
	s_xor_b32 s0, exec_lo, s0
; %bb.630:                              ;   in Loop: Header=BB384_616 Depth=1
	v_bfe_u32 v7, v10, 16, 1
	s_delay_alu instid0(VALU_DEP_1)
	v_add3_u32 v35, v10, v7, 0x7fff
                                        ; implicit-def: $vgpr7_vgpr8_vgpr9_vgpr10
; %bb.631:                              ;   in Loop: Header=BB384_616 Depth=1
	s_and_not1_saveexec_b32 s0, s0
; %bb.632:                              ;   in Loop: Header=BB384_616 Depth=1
	v_and_b32_e32 v7, 0xffff, v10
	v_or_b32_e32 v8, 0x10000, v10
	s_delay_alu instid0(VALU_DEP_2) | instskip(NEXT) | instid1(VALU_DEP_2)
	v_cmp_eq_u32_e32 vcc_lo, 0, v7
	v_cndmask_b32_e32 v35, v8, v10, vcc_lo
; %bb.633:                              ;   in Loop: Header=BB384_616 Depth=1
	s_or_b32 exec_lo, exec_lo, s0
	s_waitcnt lgkmcnt(0)
	v_and_b32_e32 v7, 0x7f800000, v0
	s_mov_b32 s0, exec_lo
                                        ; implicit-def: $vgpr36
	s_delay_alu instid0(VALU_DEP_1)
	v_cmpx_ne_u32_e32 0x7f800000, v7
	s_xor_b32 s0, exec_lo, s0
; %bb.634:                              ;   in Loop: Header=BB384_616 Depth=1
	v_bfe_u32 v7, v0, 16, 1
	s_delay_alu instid0(VALU_DEP_1)
	v_add3_u32 v36, v0, v7, 0x7fff
; %bb.635:                              ;   in Loop: Header=BB384_616 Depth=1
	s_and_not1_saveexec_b32 s0, s0
; %bb.636:                              ;   in Loop: Header=BB384_616 Depth=1
	v_and_b32_e32 v7, 0xffff, v0
	v_or_b32_e32 v8, 0x10000, v0
	s_delay_alu instid0(VALU_DEP_2) | instskip(NEXT) | instid1(VALU_DEP_2)
	v_cmp_eq_u32_e32 vcc_lo, 0, v7
	v_cndmask_b32_e32 v36, v8, v0, vcc_lo
; %bb.637:                              ;   in Loop: Header=BB384_616 Depth=1
	s_or_b32 exec_lo, exec_lo, s0
	v_and_b32_e32 v0, 0x7f800000, v1
	s_mov_b32 s0, exec_lo
                                        ; implicit-def: $vgpr37
	s_delay_alu instid0(VALU_DEP_1)
	v_cmpx_ne_u32_e32 0x7f800000, v0
	s_xor_b32 s0, exec_lo, s0
; %bb.638:                              ;   in Loop: Header=BB384_616 Depth=1
	v_bfe_u32 v0, v1, 16, 1
	s_delay_alu instid0(VALU_DEP_1)
	v_add3_u32 v37, v1, v0, 0x7fff
; %bb.639:                              ;   in Loop: Header=BB384_616 Depth=1
	s_and_not1_saveexec_b32 s0, s0
; %bb.640:                              ;   in Loop: Header=BB384_616 Depth=1
	v_and_b32_e32 v0, 0xffff, v1
	v_or_b32_e32 v7, 0x10000, v1
	s_delay_alu instid0(VALU_DEP_2) | instskip(NEXT) | instid1(VALU_DEP_2)
	v_cmp_eq_u32_e32 vcc_lo, 0, v0
	v_cndmask_b32_e32 v37, v7, v1, vcc_lo
; %bb.641:                              ;   in Loop: Header=BB384_616 Depth=1
	s_or_b32 exec_lo, exec_lo, s0
	v_and_b32_e32 v0, 0x7f800000, v2
	s_mov_b32 s0, exec_lo
                                        ; implicit-def: $vgpr38
	s_delay_alu instid0(VALU_DEP_1)
	v_cmpx_ne_u32_e32 0x7f800000, v0
	s_xor_b32 s0, exec_lo, s0
; %bb.642:                              ;   in Loop: Header=BB384_616 Depth=1
	v_bfe_u32 v0, v2, 16, 1
	s_delay_alu instid0(VALU_DEP_1)
	v_add3_u32 v38, v2, v0, 0x7fff
; %bb.643:                              ;   in Loop: Header=BB384_616 Depth=1
	s_and_not1_saveexec_b32 s0, s0
; %bb.644:                              ;   in Loop: Header=BB384_616 Depth=1
	v_and_b32_e32 v0, 0xffff, v2
	v_or_b32_e32 v1, 0x10000, v2
	s_delay_alu instid0(VALU_DEP_2) | instskip(NEXT) | instid1(VALU_DEP_2)
	v_cmp_eq_u32_e32 vcc_lo, 0, v0
	v_cndmask_b32_e32 v38, v1, v2, vcc_lo
; %bb.645:                              ;   in Loop: Header=BB384_616 Depth=1
	s_or_b32 exec_lo, exec_lo, s0
	v_and_b32_e32 v0, 0x7f800000, v3
	s_mov_b32 s0, exec_lo
                                        ; implicit-def: $vgpr48
	s_delay_alu instid0(VALU_DEP_1)
	v_cmpx_ne_u32_e32 0x7f800000, v0
	s_xor_b32 s0, exec_lo, s0
; %bb.646:                              ;   in Loop: Header=BB384_616 Depth=1
	v_bfe_u32 v0, v3, 16, 1
	s_delay_alu instid0(VALU_DEP_1)
	v_add3_u32 v48, v3, v0, 0x7fff
                                        ; implicit-def: $vgpr0_vgpr1_vgpr2_vgpr3
; %bb.647:                              ;   in Loop: Header=BB384_616 Depth=1
	s_and_not1_saveexec_b32 s0, s0
; %bb.648:                              ;   in Loop: Header=BB384_616 Depth=1
	v_and_b32_e32 v0, 0xffff, v3
	v_or_b32_e32 v1, 0x10000, v3
	s_delay_alu instid0(VALU_DEP_2) | instskip(NEXT) | instid1(VALU_DEP_2)
	v_cmp_eq_u32_e32 vcc_lo, 0, v0
	v_cndmask_b32_e32 v48, v1, v3, vcc_lo
; %bb.649:                              ;   in Loop: Header=BB384_616 Depth=1
	s_or_b32 exec_lo, exec_lo, s0
	s_waitcnt vmcnt(0)
	v_mad_i64_i32 v[0:1], null, v49, v22, v[12:13]
	s_mov_b32 s0, exec_lo
	flat_load_b64 v[2:3], v[0:1]
	flat_load_b32 v9, v[26:27]
	s_waitcnt vmcnt(1) lgkmcnt(1)
	v_dual_mov_b32 v7, 0 :: v_dual_and_b32 v8, 0xff, v2
	s_delay_alu instid0(VALU_DEP_1)
	v_cmpx_ne_u16_e32 0, v8
	s_cbranch_execz .LBB384_657
; %bb.650:                              ;   in Loop: Header=BB384_616 Depth=1
	v_bfrev_b32_e32 v7, 1
	s_mov_b32 s12, exec_lo
	v_cmpx_ne_u16_e32 0x80, v8
	s_cbranch_execz .LBB384_656
; %bb.651:                              ;   in Loop: Header=BB384_616 Depth=1
	v_and_b32_e32 v8, 0x7f, v2
	v_mov_b32_e32 v7, 0x7f800001
	s_mov_b32 s13, exec_lo
	s_delay_alu instid0(VALU_DEP_2)
	v_cmpx_ne_u32_e32 0x7f, v8
	s_cbranch_execz .LBB384_655
; %bb.652:                              ;   in Loop: Header=BB384_616 Depth=1
	v_lshrrev_b32_e32 v10, 3, v8
	v_cmp_gt_u32_e32 vcc_lo, 8, v8
	v_dual_mov_b32 v8, v3 :: v_dual_mov_b32 v7, v2
	s_and_saveexec_b32 s15, vcc_lo
; %bb.653:                              ;   in Loop: Header=BB384_616 Depth=1
	v_and_b32_e32 v7, 7, v2
	s_delay_alu instid0(VALU_DEP_1) | instskip(NEXT) | instid1(VALU_DEP_1)
	v_clz_i32_u32_e32 v7, v7
	v_min_u32_e32 v10, 32, v7
	s_delay_alu instid0(VALU_DEP_1) | instskip(SKIP_1) | instid1(VALU_DEP_2)
	v_subrev_nc_u32_e32 v7, 28, v10
	v_sub_nc_u32_e32 v10, 29, v10
	v_lshlrev_b64 v[7:8], v7, v[2:3]
; %bb.654:                              ;   in Loop: Header=BB384_616 Depth=1
	s_or_b32 exec_lo, exec_lo, s15
	s_delay_alu instid0(VALU_DEP_1) | instskip(SKIP_2) | instid1(VALU_DEP_3)
	v_lshlrev_b32_e32 v7, 20, v7
	v_lshlrev_b32_e32 v8, 24, v2
	v_lshl_add_u32 v10, v10, 23, 0x3c000000
	v_and_b32_e32 v7, 0x700000, v7
	s_delay_alu instid0(VALU_DEP_3) | instskip(NEXT) | instid1(VALU_DEP_1)
	v_and_b32_e32 v8, 0x80000000, v8
	v_or3_b32 v7, v7, v8, v10
.LBB384_655:                            ;   in Loop: Header=BB384_616 Depth=1
	s_or_b32 exec_lo, exec_lo, s13
.LBB384_656:                            ;   in Loop: Header=BB384_616 Depth=1
	s_delay_alu instid0(SALU_CYCLE_1)
	s_or_b32 exec_lo, exec_lo, s12
.LBB384_657:                            ;   in Loop: Header=BB384_616 Depth=1
	s_delay_alu instid0(SALU_CYCLE_1) | instskip(SKIP_3) | instid1(VALU_DEP_1)
	s_or_b32 exec_lo, exec_lo, s0
	s_waitcnt vmcnt(0) lgkmcnt(0)
	v_mul_f32_e32 v7, v9, v7
	s_mov_b32 s0, exec_lo
                                        ; implicit-def: $vgpr49
	v_and_b32_e32 v8, 0x7f800000, v7
	s_delay_alu instid0(VALU_DEP_1)
	v_cmpx_ne_u32_e32 0x7f800000, v8
	s_xor_b32 s0, exec_lo, s0
; %bb.658:                              ;   in Loop: Header=BB384_616 Depth=1
	v_bfe_u32 v8, v7, 16, 1
	s_delay_alu instid0(VALU_DEP_1)
	v_add3_u32 v49, v7, v8, 0x7fff
                                        ; implicit-def: $vgpr7
; %bb.659:                              ;   in Loop: Header=BB384_616 Depth=1
	s_and_not1_saveexec_b32 s0, s0
; %bb.660:                              ;   in Loop: Header=BB384_616 Depth=1
	v_and_b32_e32 v8, 0xffff, v7
	v_or_b32_e32 v10, 0x10000, v7
	s_delay_alu instid0(VALU_DEP_2) | instskip(NEXT) | instid1(VALU_DEP_2)
	v_cmp_eq_u32_e32 vcc_lo, 0, v8
	v_cndmask_b32_e32 v49, v10, v7, vcc_lo
; %bb.661:                              ;   in Loop: Header=BB384_616 Depth=1
	s_or_b32 exec_lo, exec_lo, s0
	v_lshrrev_b16 v8, 8, v2
	v_mov_b32_e32 v7, 0
	s_mov_b32 s0, exec_lo
	s_delay_alu instid0(VALU_DEP_2)
	v_cmpx_ne_u16_e32 0, v8
	s_cbranch_execz .LBB384_669
; %bb.662:                              ;   in Loop: Header=BB384_616 Depth=1
	v_bfrev_b32_e32 v7, 1
	s_mov_b32 s12, exec_lo
	v_cmpx_ne_u16_e32 0x80, v8
	s_cbranch_execz .LBB384_668
; %bb.663:                              ;   in Loop: Header=BB384_616 Depth=1
	v_and_b32_e32 v10, 0xffff, v8
	v_mov_b32_e32 v7, 0x7f800001
	s_mov_b32 s13, exec_lo
	s_delay_alu instid0(VALU_DEP_2) | instskip(NEXT) | instid1(VALU_DEP_1)
	v_and_b32_e32 v8, 0x7f, v10
	v_cmpx_ne_u32_e32 0x7f, v8
	s_cbranch_execz .LBB384_667
; %bb.664:                              ;   in Loop: Header=BB384_616 Depth=1
	v_and_b32_e32 v10, 7, v10
	v_lshrrev_b32_e32 v7, 3, v8
	s_mov_b32 s15, exec_lo
	v_cmpx_gt_u32_e32 8, v8
; %bb.665:                              ;   in Loop: Header=BB384_616 Depth=1
	s_delay_alu instid0(VALU_DEP_3) | instskip(NEXT) | instid1(VALU_DEP_1)
	v_clz_i32_u32_e32 v7, v10
	v_min_u32_e32 v7, 32, v7
	s_delay_alu instid0(VALU_DEP_1) | instskip(SKIP_1) | instid1(VALU_DEP_2)
	v_subrev_nc_u32_e32 v8, 28, v7
	v_sub_nc_u32_e32 v7, 29, v7
	v_lshlrev_b64 v[50:51], v8, v[10:11]
	s_delay_alu instid0(VALU_DEP_1)
	v_and_b32_e32 v10, 7, v50
; %bb.666:                              ;   in Loop: Header=BB384_616 Depth=1
	s_or_b32 exec_lo, exec_lo, s15
	v_lshlrev_b32_e32 v8, 16, v2
	s_delay_alu instid0(VALU_DEP_2) | instskip(SKIP_1) | instid1(VALU_DEP_3)
	v_lshlrev_b32_e32 v10, 20, v10
	v_lshl_add_u32 v7, v7, 23, 0x3c000000
	v_and_b32_e32 v8, 0x80000000, v8
	s_delay_alu instid0(VALU_DEP_1)
	v_or3_b32 v7, v10, v8, v7
.LBB384_667:                            ;   in Loop: Header=BB384_616 Depth=1
	s_or_b32 exec_lo, exec_lo, s13
.LBB384_668:                            ;   in Loop: Header=BB384_616 Depth=1
	s_delay_alu instid0(SALU_CYCLE_1)
	s_or_b32 exec_lo, exec_lo, s12
.LBB384_669:                            ;   in Loop: Header=BB384_616 Depth=1
	s_delay_alu instid0(SALU_CYCLE_1) | instskip(NEXT) | instid1(VALU_DEP_1)
	s_or_b32 exec_lo, exec_lo, s0
	v_mul_f32_e32 v7, v9, v7
	s_mov_b32 s0, exec_lo
                                        ; implicit-def: $vgpr50
	s_delay_alu instid0(VALU_DEP_1) | instskip(NEXT) | instid1(VALU_DEP_1)
	v_and_b32_e32 v8, 0x7f800000, v7
	v_cmpx_ne_u32_e32 0x7f800000, v8
	s_xor_b32 s0, exec_lo, s0
; %bb.670:                              ;   in Loop: Header=BB384_616 Depth=1
	v_bfe_u32 v8, v7, 16, 1
	s_delay_alu instid0(VALU_DEP_1)
	v_add3_u32 v50, v7, v8, 0x7fff
                                        ; implicit-def: $vgpr7
; %bb.671:                              ;   in Loop: Header=BB384_616 Depth=1
	s_and_not1_saveexec_b32 s0, s0
; %bb.672:                              ;   in Loop: Header=BB384_616 Depth=1
	v_and_b32_e32 v8, 0xffff, v7
	v_or_b32_e32 v10, 0x10000, v7
	s_delay_alu instid0(VALU_DEP_2) | instskip(NEXT) | instid1(VALU_DEP_2)
	v_cmp_eq_u32_e32 vcc_lo, 0, v8
	v_cndmask_b32_e32 v50, v10, v7, vcc_lo
; %bb.673:                              ;   in Loop: Header=BB384_616 Depth=1
	s_or_b32 exec_lo, exec_lo, s0
	v_lshrrev_b32_e32 v7, 16, v2
	v_mov_b32_e32 v8, 0
	s_mov_b32 s0, exec_lo
	s_delay_alu instid0(VALU_DEP_2) | instskip(NEXT) | instid1(VALU_DEP_1)
	v_and_b32_e32 v10, 0xff, v7
	v_cmpx_ne_u16_e32 0, v10
	s_cbranch_execz .LBB384_681
; %bb.674:                              ;   in Loop: Header=BB384_616 Depth=1
	v_bfrev_b32_e32 v8, 1
	s_mov_b32 s12, exec_lo
	v_cmpx_ne_u16_e32 0x80, v10
	s_cbranch_execz .LBB384_680
; %bb.675:                              ;   in Loop: Header=BB384_616 Depth=1
	v_bfe_u32 v51, v2, 16, 7
	v_mov_b32_e32 v8, 0x7f800001
	s_mov_b32 s13, exec_lo
	s_delay_alu instid0(VALU_DEP_2)
	v_cmpx_ne_u32_e32 0x7f, v51
	s_cbranch_execz .LBB384_679
; %bb.676:                              ;   in Loop: Header=BB384_616 Depth=1
	v_and_b32_e32 v10, 7, v7
	v_lshrrev_b32_e32 v8, 3, v51
	s_mov_b32 s15, exec_lo
	v_cmpx_gt_u32_e32 8, v51
; %bb.677:                              ;   in Loop: Header=BB384_616 Depth=1
	s_delay_alu instid0(VALU_DEP_3) | instskip(NEXT) | instid1(VALU_DEP_1)
	v_clz_i32_u32_e32 v8, v10
	v_min_u32_e32 v8, 32, v8
	s_delay_alu instid0(VALU_DEP_1) | instskip(SKIP_1) | instid1(VALU_DEP_2)
	v_subrev_nc_u32_e32 v51, 28, v8
	v_sub_nc_u32_e32 v8, 29, v8
	v_lshlrev_b64 v[51:52], v51, v[10:11]
	s_delay_alu instid0(VALU_DEP_1)
	v_and_b32_e32 v10, 7, v51
; %bb.678:                              ;   in Loop: Header=BB384_616 Depth=1
	s_or_b32 exec_lo, exec_lo, s15
	v_lshlrev_b32_e32 v7, 24, v7
	s_delay_alu instid0(VALU_DEP_2) | instskip(SKIP_1) | instid1(VALU_DEP_3)
	v_lshlrev_b32_e32 v10, 20, v10
	v_lshl_add_u32 v8, v8, 23, 0x3c000000
	v_and_b32_e32 v7, 0x80000000, v7
	s_delay_alu instid0(VALU_DEP_1)
	v_or3_b32 v8, v10, v7, v8
.LBB384_679:                            ;   in Loop: Header=BB384_616 Depth=1
	s_or_b32 exec_lo, exec_lo, s13
.LBB384_680:                            ;   in Loop: Header=BB384_616 Depth=1
	s_delay_alu instid0(SALU_CYCLE_1)
	s_or_b32 exec_lo, exec_lo, s12
.LBB384_681:                            ;   in Loop: Header=BB384_616 Depth=1
	s_delay_alu instid0(SALU_CYCLE_1) | instskip(NEXT) | instid1(VALU_DEP_1)
	s_or_b32 exec_lo, exec_lo, s0
	v_mul_f32_e32 v7, v9, v8
	s_mov_b32 s0, exec_lo
                                        ; implicit-def: $vgpr51
	s_delay_alu instid0(VALU_DEP_1) | instskip(NEXT) | instid1(VALU_DEP_1)
	v_and_b32_e32 v8, 0x7f800000, v7
	v_cmpx_ne_u32_e32 0x7f800000, v8
	s_xor_b32 s0, exec_lo, s0
; %bb.682:                              ;   in Loop: Header=BB384_616 Depth=1
	v_bfe_u32 v8, v7, 16, 1
	s_delay_alu instid0(VALU_DEP_1)
	v_add3_u32 v51, v7, v8, 0x7fff
                                        ; implicit-def: $vgpr7
; %bb.683:                              ;   in Loop: Header=BB384_616 Depth=1
	s_and_not1_saveexec_b32 s0, s0
; %bb.684:                              ;   in Loop: Header=BB384_616 Depth=1
	v_and_b32_e32 v8, 0xffff, v7
	v_or_b32_e32 v10, 0x10000, v7
	s_delay_alu instid0(VALU_DEP_2) | instskip(NEXT) | instid1(VALU_DEP_2)
	v_cmp_eq_u32_e32 vcc_lo, 0, v8
	v_cndmask_b32_e32 v51, v10, v7, vcc_lo
; %bb.685:                              ;   in Loop: Header=BB384_616 Depth=1
	s_or_b32 exec_lo, exec_lo, s0
	v_mov_b32_e32 v8, 0
	s_mov_b32 s0, exec_lo
	v_cmpx_lt_u32_e32 0xffffff, v2
	s_cbranch_execz .LBB384_693
; %bb.686:                              ;   in Loop: Header=BB384_616 Depth=1
	v_lshrrev_b32_e32 v7, 24, v2
	v_bfrev_b32_e32 v8, 1
	s_mov_b32 s12, exec_lo
	s_delay_alu instid0(VALU_DEP_2)
	v_cmpx_ne_u32_e32 0x80, v7
	s_cbranch_execz .LBB384_692
; %bb.687:                              ;   in Loop: Header=BB384_616 Depth=1
	v_bfe_u32 v52, v2, 24, 7
	v_mov_b32_e32 v8, 0x7f800001
	s_mov_b32 s13, exec_lo
	s_delay_alu instid0(VALU_DEP_2)
	v_cmpx_ne_u32_e32 0x7f, v52
	s_cbranch_execz .LBB384_691
; %bb.688:                              ;   in Loop: Header=BB384_616 Depth=1
	v_and_b32_e32 v10, 7, v7
	v_lshrrev_b32_e32 v8, 3, v52
	s_mov_b32 s15, exec_lo
	v_cmpx_gt_u32_e32 8, v52
; %bb.689:                              ;   in Loop: Header=BB384_616 Depth=1
	s_delay_alu instid0(VALU_DEP_3) | instskip(NEXT) | instid1(VALU_DEP_1)
	v_clz_i32_u32_e32 v8, v10
	v_min_u32_e32 v8, 32, v8
	s_delay_alu instid0(VALU_DEP_1) | instskip(SKIP_1) | instid1(VALU_DEP_2)
	v_subrev_nc_u32_e32 v52, 28, v8
	v_sub_nc_u32_e32 v8, 29, v8
	v_lshlrev_b64 v[52:53], v52, v[10:11]
	s_delay_alu instid0(VALU_DEP_1)
	v_and_b32_e32 v10, 7, v52
; %bb.690:                              ;   in Loop: Header=BB384_616 Depth=1
	s_or_b32 exec_lo, exec_lo, s15
	v_lshlrev_b32_e32 v7, 24, v7
	s_delay_alu instid0(VALU_DEP_2) | instskip(SKIP_1) | instid1(VALU_DEP_3)
	v_lshlrev_b32_e32 v10, 20, v10
	v_lshl_add_u32 v8, v8, 23, 0x3c000000
	v_and_b32_e32 v7, 0x80000000, v7
	s_delay_alu instid0(VALU_DEP_1)
	v_or3_b32 v8, v10, v7, v8
.LBB384_691:                            ;   in Loop: Header=BB384_616 Depth=1
	s_or_b32 exec_lo, exec_lo, s13
.LBB384_692:                            ;   in Loop: Header=BB384_616 Depth=1
	s_delay_alu instid0(SALU_CYCLE_1)
	s_or_b32 exec_lo, exec_lo, s12
.LBB384_693:                            ;   in Loop: Header=BB384_616 Depth=1
	s_delay_alu instid0(SALU_CYCLE_1) | instskip(NEXT) | instid1(VALU_DEP_1)
	s_or_b32 exec_lo, exec_lo, s0
	v_mul_f32_e32 v7, v9, v8
	s_mov_b32 s0, exec_lo
                                        ; implicit-def: $vgpr52
	s_delay_alu instid0(VALU_DEP_1) | instskip(NEXT) | instid1(VALU_DEP_1)
	v_and_b32_e32 v8, 0x7f800000, v7
	v_cmpx_ne_u32_e32 0x7f800000, v8
	s_xor_b32 s0, exec_lo, s0
; %bb.694:                              ;   in Loop: Header=BB384_616 Depth=1
	v_bfe_u32 v8, v7, 16, 1
	s_delay_alu instid0(VALU_DEP_1)
	v_add3_u32 v52, v7, v8, 0x7fff
                                        ; implicit-def: $vgpr7
; %bb.695:                              ;   in Loop: Header=BB384_616 Depth=1
	s_and_not1_saveexec_b32 s0, s0
; %bb.696:                              ;   in Loop: Header=BB384_616 Depth=1
	v_and_b32_e32 v8, 0xffff, v7
	v_or_b32_e32 v10, 0x10000, v7
	s_delay_alu instid0(VALU_DEP_2) | instskip(NEXT) | instid1(VALU_DEP_2)
	v_cmp_eq_u32_e32 vcc_lo, 0, v8
	v_cndmask_b32_e32 v52, v10, v7, vcc_lo
; %bb.697:                              ;   in Loop: Header=BB384_616 Depth=1
	s_or_b32 exec_lo, exec_lo, s0
	v_dual_mov_b32 v7, 0 :: v_dual_and_b32 v8, 0xff, v3
	v_mov_b32_e32 v10, v3
	s_mov_b32 s0, exec_lo
	s_delay_alu instid0(VALU_DEP_2)
	v_cmpx_ne_u16_e32 0, v8
	s_cbranch_execz .LBB384_705
; %bb.698:                              ;   in Loop: Header=BB384_616 Depth=1
	v_bfrev_b32_e32 v7, 1
	s_mov_b32 s12, exec_lo
	v_cmpx_ne_u16_e32 0x80, v8
	s_cbranch_execz .LBB384_704
; %bb.699:                              ;   in Loop: Header=BB384_616 Depth=1
	v_and_b32_e32 v8, 0x7f, v3
	v_mov_b32_e32 v7, 0x7f800001
	s_mov_b32 s13, exec_lo
	s_delay_alu instid0(VALU_DEP_2)
	v_cmpx_ne_u32_e32 0x7f, v8
	s_cbranch_execz .LBB384_703
; %bb.700:                              ;   in Loop: Header=BB384_616 Depth=1
	v_lshrrev_b32_e32 v53, 3, v8
	v_cmp_gt_u32_e32 vcc_lo, 8, v8
	v_dual_mov_b32 v7, v10 :: v_dual_mov_b32 v8, v11
	s_and_saveexec_b32 s15, vcc_lo
; %bb.701:                              ;   in Loop: Header=BB384_616 Depth=1
	v_and_b32_e32 v7, 7, v3
	s_delay_alu instid0(VALU_DEP_1) | instskip(NEXT) | instid1(VALU_DEP_1)
	v_clz_i32_u32_e32 v7, v7
	v_min_u32_e32 v53, 32, v7
	s_delay_alu instid0(VALU_DEP_1) | instskip(SKIP_1) | instid1(VALU_DEP_2)
	v_subrev_nc_u32_e32 v7, 28, v53
	v_sub_nc_u32_e32 v53, 29, v53
	v_lshlrev_b64 v[7:8], v7, v[10:11]
; %bb.702:                              ;   in Loop: Header=BB384_616 Depth=1
	s_or_b32 exec_lo, exec_lo, s15
	s_delay_alu instid0(VALU_DEP_1) | instskip(SKIP_2) | instid1(VALU_DEP_3)
	v_lshlrev_b32_e32 v7, 20, v7
	v_lshlrev_b32_e32 v8, 24, v10
	v_lshl_add_u32 v53, v53, 23, 0x3c000000
	v_and_b32_e32 v7, 0x700000, v7
	s_delay_alu instid0(VALU_DEP_3) | instskip(NEXT) | instid1(VALU_DEP_1)
	v_and_b32_e32 v8, 0x80000000, v8
	v_or3_b32 v7, v7, v8, v53
.LBB384_703:                            ;   in Loop: Header=BB384_616 Depth=1
	s_or_b32 exec_lo, exec_lo, s13
.LBB384_704:                            ;   in Loop: Header=BB384_616 Depth=1
	s_delay_alu instid0(SALU_CYCLE_1)
	s_or_b32 exec_lo, exec_lo, s12
.LBB384_705:                            ;   in Loop: Header=BB384_616 Depth=1
	s_delay_alu instid0(SALU_CYCLE_1) | instskip(NEXT) | instid1(VALU_DEP_1)
	s_or_b32 exec_lo, exec_lo, s0
	v_mul_f32_e32 v7, v9, v7
	s_mov_b32 s0, exec_lo
                                        ; implicit-def: $vgpr53
	s_delay_alu instid0(VALU_DEP_1) | instskip(NEXT) | instid1(VALU_DEP_1)
	v_and_b32_e32 v8, 0x7f800000, v7
	v_cmpx_ne_u32_e32 0x7f800000, v8
	s_xor_b32 s0, exec_lo, s0
; %bb.706:                              ;   in Loop: Header=BB384_616 Depth=1
	v_bfe_u32 v8, v7, 16, 1
	s_delay_alu instid0(VALU_DEP_1)
	v_add3_u32 v53, v7, v8, 0x7fff
                                        ; implicit-def: $vgpr7
; %bb.707:                              ;   in Loop: Header=BB384_616 Depth=1
	s_and_not1_saveexec_b32 s0, s0
; %bb.708:                              ;   in Loop: Header=BB384_616 Depth=1
	v_and_b32_e32 v8, 0xffff, v7
	v_or_b32_e32 v53, 0x10000, v7
	s_delay_alu instid0(VALU_DEP_2) | instskip(NEXT) | instid1(VALU_DEP_2)
	v_cmp_eq_u32_e32 vcc_lo, 0, v8
	v_cndmask_b32_e32 v53, v53, v7, vcc_lo
; %bb.709:                              ;   in Loop: Header=BB384_616 Depth=1
	s_or_b32 exec_lo, exec_lo, s0
	v_lshrrev_b16 v8, 8, v10
	v_mov_b32_e32 v7, 0
	s_mov_b32 s0, exec_lo
	s_delay_alu instid0(VALU_DEP_2)
	v_cmpx_ne_u16_e32 0, v8
	s_cbranch_execz .LBB384_717
; %bb.710:                              ;   in Loop: Header=BB384_616 Depth=1
	v_bfrev_b32_e32 v7, 1
	s_mov_b32 s12, exec_lo
	v_cmpx_ne_u16_e32 0x80, v8
	s_cbranch_execz .LBB384_716
; %bb.711:                              ;   in Loop: Header=BB384_616 Depth=1
	v_and_b32_e32 v8, 0xffff, v8
	v_mov_b32_e32 v7, 0x7f800001
	s_mov_b32 s13, exec_lo
	s_delay_alu instid0(VALU_DEP_2) | instskip(NEXT) | instid1(VALU_DEP_1)
	v_and_b32_e32 v55, 0x7f, v8
	v_cmpx_ne_u32_e32 0x7f, v55
	s_cbranch_execz .LBB384_715
; %bb.712:                              ;   in Loop: Header=BB384_616 Depth=1
	v_dual_mov_b32 v8, v11 :: v_dual_and_b32 v7, 7, v8
	v_lshrrev_b32_e32 v54, 3, v55
	s_mov_b32 s15, exec_lo
	v_cmpx_gt_u32_e32 8, v55
; %bb.713:                              ;   in Loop: Header=BB384_616 Depth=1
	s_delay_alu instid0(VALU_DEP_3) | instskip(NEXT) | instid1(VALU_DEP_1)
	v_clz_i32_u32_e32 v54, v7
	v_min_u32_e32 v54, 32, v54
	s_delay_alu instid0(VALU_DEP_1) | instskip(SKIP_1) | instid1(VALU_DEP_2)
	v_subrev_nc_u32_e32 v55, 28, v54
	v_sub_nc_u32_e32 v54, 29, v54
	v_lshlrev_b64 v[7:8], v55, v[7:8]
	s_delay_alu instid0(VALU_DEP_1)
	v_and_b32_e32 v7, 7, v7
; %bb.714:                              ;   in Loop: Header=BB384_616 Depth=1
	s_or_b32 exec_lo, exec_lo, s15
	v_lshlrev_b32_e32 v8, 16, v10
	s_delay_alu instid0(VALU_DEP_2) | instskip(SKIP_1) | instid1(VALU_DEP_3)
	v_lshlrev_b32_e32 v7, 20, v7
	v_lshl_add_u32 v10, v54, 23, 0x3c000000
	v_and_b32_e32 v8, 0x80000000, v8
	s_delay_alu instid0(VALU_DEP_1)
	v_or3_b32 v7, v7, v8, v10
.LBB384_715:                            ;   in Loop: Header=BB384_616 Depth=1
	s_or_b32 exec_lo, exec_lo, s13
.LBB384_716:                            ;   in Loop: Header=BB384_616 Depth=1
	s_delay_alu instid0(SALU_CYCLE_1)
	s_or_b32 exec_lo, exec_lo, s12
.LBB384_717:                            ;   in Loop: Header=BB384_616 Depth=1
	s_delay_alu instid0(SALU_CYCLE_1) | instskip(NEXT) | instid1(VALU_DEP_1)
	s_or_b32 exec_lo, exec_lo, s0
	v_mul_f32_e32 v8, v9, v7
	s_delay_alu instid0(VALU_DEP_1) | instskip(NEXT) | instid1(VALU_DEP_1)
	v_and_b32_e32 v7, 0x7f800000, v8
	v_cmp_ne_u32_e32 vcc_lo, 0x7f800000, v7
                                        ; implicit-def: $vgpr7
	s_and_saveexec_b32 s0, vcc_lo
	s_delay_alu instid0(SALU_CYCLE_1)
	s_xor_b32 s0, exec_lo, s0
; %bb.718:                              ;   in Loop: Header=BB384_616 Depth=1
	v_bfe_u32 v7, v8, 16, 1
	s_delay_alu instid0(VALU_DEP_1)
	v_add3_u32 v7, v8, v7, 0x7fff
                                        ; implicit-def: $vgpr8
; %bb.719:                              ;   in Loop: Header=BB384_616 Depth=1
	s_and_not1_saveexec_b32 s0, s0
; %bb.720:                              ;   in Loop: Header=BB384_616 Depth=1
	v_and_b32_e32 v7, 0xffff, v8
	v_or_b32_e32 v10, 0x10000, v8
	s_delay_alu instid0(VALU_DEP_2) | instskip(NEXT) | instid1(VALU_DEP_2)
	v_cmp_eq_u32_e32 vcc_lo, 0, v7
	v_cndmask_b32_e32 v7, v10, v8, vcc_lo
; %bb.721:                              ;   in Loop: Header=BB384_616 Depth=1
	s_or_b32 exec_lo, exec_lo, s0
	v_lshrrev_b32_e32 v8, 16, v3
	v_mov_b32_e32 v10, 0
	s_mov_b32 s0, exec_lo
	s_delay_alu instid0(VALU_DEP_2) | instskip(NEXT) | instid1(VALU_DEP_1)
	v_and_b32_e32 v54, 0xff, v8
	v_cmpx_ne_u16_e32 0, v54
	s_cbranch_execz .LBB384_729
; %bb.722:                              ;   in Loop: Header=BB384_616 Depth=1
	v_bfrev_b32_e32 v10, 1
	s_mov_b32 s12, exec_lo
	v_cmpx_ne_u16_e32 0x80, v54
	s_cbranch_execz .LBB384_728
; %bb.723:                              ;   in Loop: Header=BB384_616 Depth=1
	v_bfe_u32 v55, v3, 16, 7
	v_mov_b32_e32 v10, 0x7f800001
	s_mov_b32 s13, exec_lo
	s_delay_alu instid0(VALU_DEP_2)
	v_cmpx_ne_u32_e32 0x7f, v55
	s_cbranch_execz .LBB384_727
; %bb.724:                              ;   in Loop: Header=BB384_616 Depth=1
	v_and_b32_e32 v10, 7, v8
	v_lshrrev_b32_e32 v54, 3, v55
	s_mov_b32 s15, exec_lo
	v_cmpx_gt_u32_e32 8, v55
; %bb.725:                              ;   in Loop: Header=BB384_616 Depth=1
	s_delay_alu instid0(VALU_DEP_3) | instskip(NEXT) | instid1(VALU_DEP_1)
	v_clz_i32_u32_e32 v54, v10
	v_min_u32_e32 v54, 32, v54
	s_delay_alu instid0(VALU_DEP_1) | instskip(SKIP_1) | instid1(VALU_DEP_2)
	v_subrev_nc_u32_e32 v55, 28, v54
	v_sub_nc_u32_e32 v54, 29, v54
	v_lshlrev_b64 v[65:66], v55, v[10:11]
	s_delay_alu instid0(VALU_DEP_1)
	v_and_b32_e32 v10, 7, v65
; %bb.726:                              ;   in Loop: Header=BB384_616 Depth=1
	s_or_b32 exec_lo, exec_lo, s15
	v_lshlrev_b32_e32 v8, 24, v8
	s_delay_alu instid0(VALU_DEP_2) | instskip(SKIP_1) | instid1(VALU_DEP_3)
	v_lshlrev_b32_e32 v10, 20, v10
	v_lshl_add_u32 v54, v54, 23, 0x3c000000
	v_and_b32_e32 v8, 0x80000000, v8
	s_delay_alu instid0(VALU_DEP_1)
	v_or3_b32 v10, v10, v8, v54
.LBB384_727:                            ;   in Loop: Header=BB384_616 Depth=1
	s_or_b32 exec_lo, exec_lo, s13
.LBB384_728:                            ;   in Loop: Header=BB384_616 Depth=1
	s_delay_alu instid0(SALU_CYCLE_1)
	s_or_b32 exec_lo, exec_lo, s12
.LBB384_729:                            ;   in Loop: Header=BB384_616 Depth=1
	s_delay_alu instid0(SALU_CYCLE_1) | instskip(NEXT) | instid1(VALU_DEP_1)
	s_or_b32 exec_lo, exec_lo, s0
	v_mul_f32_e32 v8, v9, v10
	s_mov_b32 s0, exec_lo
                                        ; implicit-def: $vgpr54
	s_delay_alu instid0(VALU_DEP_1) | instskip(NEXT) | instid1(VALU_DEP_1)
	v_and_b32_e32 v10, 0x7f800000, v8
	v_cmpx_ne_u32_e32 0x7f800000, v10
	s_xor_b32 s0, exec_lo, s0
; %bb.730:                              ;   in Loop: Header=BB384_616 Depth=1
	v_bfe_u32 v10, v8, 16, 1
	s_delay_alu instid0(VALU_DEP_1)
	v_add3_u32 v54, v8, v10, 0x7fff
                                        ; implicit-def: $vgpr8
; %bb.731:                              ;   in Loop: Header=BB384_616 Depth=1
	s_and_not1_saveexec_b32 s0, s0
; %bb.732:                              ;   in Loop: Header=BB384_616 Depth=1
	v_and_b32_e32 v10, 0xffff, v8
	v_or_b32_e32 v54, 0x10000, v8
	s_delay_alu instid0(VALU_DEP_2) | instskip(NEXT) | instid1(VALU_DEP_2)
	v_cmp_eq_u32_e32 vcc_lo, 0, v10
	v_cndmask_b32_e32 v54, v54, v8, vcc_lo
; %bb.733:                              ;   in Loop: Header=BB384_616 Depth=1
	s_or_b32 exec_lo, exec_lo, s0
	v_mov_b32_e32 v8, 0
	s_mov_b32 s0, exec_lo
	v_cmpx_lt_u64_e64 s[8:9], v[2:3]
	s_cbranch_execz .LBB384_741
; %bb.734:                              ;   in Loop: Header=BB384_616 Depth=1
	v_lshrrev_b32_e32 v2, 24, v3
	v_bfrev_b32_e32 v8, 1
	s_mov_b32 s12, exec_lo
	s_delay_alu instid0(VALU_DEP_2)
	v_cmpx_ne_u32_e32 0x80, v2
	s_cbranch_execz .LBB384_740
; %bb.735:                              ;   in Loop: Header=BB384_616 Depth=1
	v_bfe_u32 v55, v3, 24, 7
	v_mov_b32_e32 v8, 0x7f800001
	s_mov_b32 s13, exec_lo
	s_delay_alu instid0(VALU_DEP_2)
	v_cmpx_ne_u32_e32 0x7f, v55
	s_cbranch_execz .LBB384_739
; %bb.736:                              ;   in Loop: Header=BB384_616 Depth=1
	v_and_b32_e32 v10, 7, v2
	v_lshrrev_b32_e32 v3, 3, v55
	s_mov_b32 s15, exec_lo
	v_cmpx_gt_u32_e32 8, v55
; %bb.737:                              ;   in Loop: Header=BB384_616 Depth=1
	s_delay_alu instid0(VALU_DEP_3) | instskip(NEXT) | instid1(VALU_DEP_1)
	v_clz_i32_u32_e32 v3, v10
	v_min_u32_e32 v3, 32, v3
	s_delay_alu instid0(VALU_DEP_1) | instskip(SKIP_1) | instid1(VALU_DEP_2)
	v_subrev_nc_u32_e32 v8, 28, v3
	v_sub_nc_u32_e32 v3, 29, v3
	v_lshlrev_b64 v[65:66], v8, v[10:11]
	s_delay_alu instid0(VALU_DEP_1)
	v_and_b32_e32 v10, 7, v65
; %bb.738:                              ;   in Loop: Header=BB384_616 Depth=1
	s_or_b32 exec_lo, exec_lo, s15
	v_lshlrev_b32_e32 v2, 24, v2
	s_delay_alu instid0(VALU_DEP_2) | instskip(SKIP_1) | instid1(VALU_DEP_3)
	v_lshlrev_b32_e32 v8, 20, v10
	v_lshl_add_u32 v3, v3, 23, 0x3c000000
	v_and_b32_e32 v2, 0x80000000, v2
	s_delay_alu instid0(VALU_DEP_1)
	v_or3_b32 v8, v8, v2, v3
.LBB384_739:                            ;   in Loop: Header=BB384_616 Depth=1
	s_or_b32 exec_lo, exec_lo, s13
.LBB384_740:                            ;   in Loop: Header=BB384_616 Depth=1
	s_delay_alu instid0(SALU_CYCLE_1)
	s_or_b32 exec_lo, exec_lo, s12
.LBB384_741:                            ;   in Loop: Header=BB384_616 Depth=1
	s_delay_alu instid0(SALU_CYCLE_1) | instskip(NEXT) | instid1(VALU_DEP_1)
	s_or_b32 exec_lo, exec_lo, s0
	v_mul_f32_e32 v3, v9, v8
	s_delay_alu instid0(VALU_DEP_1) | instskip(NEXT) | instid1(VALU_DEP_1)
	v_and_b32_e32 v2, 0x7f800000, v3
	v_cmp_ne_u32_e32 vcc_lo, 0x7f800000, v2
                                        ; implicit-def: $vgpr2
	s_and_saveexec_b32 s0, vcc_lo
	s_delay_alu instid0(SALU_CYCLE_1)
	s_xor_b32 s0, exec_lo, s0
; %bb.742:                              ;   in Loop: Header=BB384_616 Depth=1
	v_bfe_u32 v2, v3, 16, 1
	s_delay_alu instid0(VALU_DEP_1)
	v_add3_u32 v2, v3, v2, 0x7fff
                                        ; implicit-def: $vgpr3
; %bb.743:                              ;   in Loop: Header=BB384_616 Depth=1
	s_and_not1_saveexec_b32 s0, s0
; %bb.744:                              ;   in Loop: Header=BB384_616 Depth=1
	v_and_b32_e32 v2, 0xffff, v3
	v_or_b32_e32 v8, 0x10000, v3
	s_delay_alu instid0(VALU_DEP_2) | instskip(NEXT) | instid1(VALU_DEP_2)
	v_cmp_eq_u32_e32 vcc_lo, 0, v2
	v_cndmask_b32_e32 v2, v8, v3, vcc_lo
; %bb.745:                              ;   in Loop: Header=BB384_616 Depth=1
	s_or_b32 exec_lo, exec_lo, s0
	v_cmp_eq_u32_e32 vcc_lo, v29, v64
	v_lshrrev_b32_e32 v7, 16, v7
	v_lshrrev_b32_e32 v8, 16, v53
	;; [unrolled: 1-line block ×8, first 2 shown]
	v_add_nc_u32_e32 v55, 1, v23
	v_add_nc_u32_e32 v54, 2, v23
	;; [unrolled: 1-line block ×7, first 2 shown]
	s_and_saveexec_b32 s12, vcc_lo
	s_cbranch_execz .LBB384_747
; %bb.746:                              ;   in Loop: Header=BB384_616 Depth=1
	v_cmp_lt_i32_e64 s0, v23, v83
	s_delay_alu instid0(VALU_DEP_1) | instskip(SKIP_1) | instid1(VALU_DEP_1)
	v_cndmask_b32_e64 v66, 0, v66, s0
	v_cmp_lt_i32_e64 s0, v55, v83
	v_cndmask_b32_e64 v67, 0, v67, s0
	v_cmp_lt_i32_e64 s0, v54, v83
	s_delay_alu instid0(VALU_DEP_1) | instskip(SKIP_1) | instid1(VALU_DEP_1)
	v_cndmask_b32_e64 v68, 0, v68, s0
	v_cmp_lt_i32_e64 s0, v53, v83
	v_cndmask_b32_e64 v10, 0, v10, s0
	;; [unrolled: 5-line block ×4, first 2 shown]
.LBB384_747:                            ;   in Loop: Header=BB384_616 Depth=1
	s_or_b32 exec_lo, exec_lo, s12
	v_and_b32_e32 v65, 0xffff0000, v32
	v_lshlrev_b32_e32 v32, 16, v66
	s_delay_alu instid0(VALU_DEP_1) | instskip(NEXT) | instid1(VALU_DEP_1)
	v_mul_f32_e32 v66, v65, v32
	v_and_b32_e32 v32, 0x7f800000, v66
	s_delay_alu instid0(VALU_DEP_1) | instskip(NEXT) | instid1(VALU_DEP_1)
	v_cmp_ne_u32_e64 s0, 0x7f800000, v32
                                        ; implicit-def: $vgpr32
	s_and_saveexec_b32 s12, s0
	s_delay_alu instid0(SALU_CYCLE_1)
	s_xor_b32 s0, exec_lo, s12
; %bb.748:                              ;   in Loop: Header=BB384_616 Depth=1
	v_bfe_u32 v32, v66, 16, 1
	s_delay_alu instid0(VALU_DEP_1)
	v_add3_u32 v32, v66, v32, 0x7fff
                                        ; implicit-def: $vgpr66
; %bb.749:                              ;   in Loop: Header=BB384_616 Depth=1
	s_and_not1_saveexec_b32 s12, s0
; %bb.750:                              ;   in Loop: Header=BB384_616 Depth=1
	v_and_b32_e32 v32, 0xffff, v66
	v_or_b32_e32 v69, 0x10000, v66
	s_delay_alu instid0(VALU_DEP_2) | instskip(NEXT) | instid1(VALU_DEP_1)
	v_cmp_eq_u32_e64 s0, 0, v32
	v_cndmask_b32_e64 v32, v69, v66, s0
; %bb.751:                              ;   in Loop: Header=BB384_616 Depth=1
	s_or_b32 exec_lo, exec_lo, s12
	v_and_b32_e32 v66, 0xffff0000, v33
	v_lshlrev_b32_e32 v33, 16, v67
	s_delay_alu instid0(VALU_DEP_1) | instskip(NEXT) | instid1(VALU_DEP_1)
	v_mul_f32_e32 v67, v66, v33
	v_and_b32_e32 v33, 0x7f800000, v67
	s_delay_alu instid0(VALU_DEP_1) | instskip(NEXT) | instid1(VALU_DEP_1)
	v_cmp_ne_u32_e64 s0, 0x7f800000, v33
                                        ; implicit-def: $vgpr33
	s_and_saveexec_b32 s12, s0
	s_delay_alu instid0(SALU_CYCLE_1)
	s_xor_b32 s0, exec_lo, s12
; %bb.752:                              ;   in Loop: Header=BB384_616 Depth=1
	v_bfe_u32 v33, v67, 16, 1
	s_delay_alu instid0(VALU_DEP_1)
	v_add3_u32 v33, v67, v33, 0x7fff
                                        ; implicit-def: $vgpr67
; %bb.753:                              ;   in Loop: Header=BB384_616 Depth=1
	s_and_not1_saveexec_b32 s12, s0
; %bb.754:                              ;   in Loop: Header=BB384_616 Depth=1
	v_and_b32_e32 v33, 0xffff, v67
	v_or_b32_e32 v69, 0x10000, v67
	s_delay_alu instid0(VALU_DEP_2) | instskip(NEXT) | instid1(VALU_DEP_1)
	v_cmp_eq_u32_e64 s0, 0, v33
	v_cndmask_b32_e64 v33, v69, v67, s0
; %bb.755:                              ;   in Loop: Header=BB384_616 Depth=1
	s_or_b32 exec_lo, exec_lo, s12
	v_and_b32_e32 v67, 0xffff0000, v34
	v_lshlrev_b32_e32 v34, 16, v68
	s_delay_alu instid0(VALU_DEP_1) | instskip(NEXT) | instid1(VALU_DEP_1)
	v_mul_f32_e32 v68, v67, v34
	v_and_b32_e32 v34, 0x7f800000, v68
	s_delay_alu instid0(VALU_DEP_1) | instskip(NEXT) | instid1(VALU_DEP_1)
	v_cmp_ne_u32_e64 s0, 0x7f800000, v34
                                        ; implicit-def: $vgpr34
	s_and_saveexec_b32 s12, s0
	s_delay_alu instid0(SALU_CYCLE_1)
	s_xor_b32 s0, exec_lo, s12
; %bb.756:                              ;   in Loop: Header=BB384_616 Depth=1
	v_bfe_u32 v34, v68, 16, 1
	s_delay_alu instid0(VALU_DEP_1)
	v_add3_u32 v34, v68, v34, 0x7fff
                                        ; implicit-def: $vgpr68
; %bb.757:                              ;   in Loop: Header=BB384_616 Depth=1
	s_and_not1_saveexec_b32 s12, s0
; %bb.758:                              ;   in Loop: Header=BB384_616 Depth=1
	v_and_b32_e32 v34, 0xffff, v68
	v_or_b32_e32 v69, 0x10000, v68
	s_delay_alu instid0(VALU_DEP_2) | instskip(NEXT) | instid1(VALU_DEP_1)
	v_cmp_eq_u32_e64 s0, 0, v34
	v_cndmask_b32_e64 v34, v69, v68, s0
; %bb.759:                              ;   in Loop: Header=BB384_616 Depth=1
	s_or_b32 exec_lo, exec_lo, s12
	v_and_b32_e32 v68, 0xffff0000, v35
	v_lshlrev_b32_e32 v10, 16, v10
	s_delay_alu instid0(VALU_DEP_1) | instskip(NEXT) | instid1(VALU_DEP_1)
	v_mul_f32_e32 v10, v68, v10
	v_and_b32_e32 v35, 0x7f800000, v10
	s_delay_alu instid0(VALU_DEP_1) | instskip(NEXT) | instid1(VALU_DEP_1)
	v_cmp_ne_u32_e64 s0, 0x7f800000, v35
                                        ; implicit-def: $vgpr35
	s_and_saveexec_b32 s12, s0
	s_delay_alu instid0(SALU_CYCLE_1)
	s_xor_b32 s0, exec_lo, s12
; %bb.760:                              ;   in Loop: Header=BB384_616 Depth=1
	v_bfe_u32 v35, v10, 16, 1
	s_delay_alu instid0(VALU_DEP_1)
	v_add3_u32 v35, v10, v35, 0x7fff
                                        ; implicit-def: $vgpr10
; %bb.761:                              ;   in Loop: Header=BB384_616 Depth=1
	s_and_not1_saveexec_b32 s12, s0
; %bb.762:                              ;   in Loop: Header=BB384_616 Depth=1
	v_and_b32_e32 v35, 0xffff, v10
	v_or_b32_e32 v69, 0x10000, v10
	s_delay_alu instid0(VALU_DEP_2) | instskip(NEXT) | instid1(VALU_DEP_1)
	v_cmp_eq_u32_e64 s0, 0, v35
	v_cndmask_b32_e64 v35, v69, v10, s0
; %bb.763:                              ;   in Loop: Header=BB384_616 Depth=1
	s_or_b32 exec_lo, exec_lo, s12
	v_and_b32_e32 v69, 0xffff0000, v36
	v_lshlrev_b32_e32 v8, 16, v8
                                        ; implicit-def: $vgpr36
	s_delay_alu instid0(VALU_DEP_1) | instskip(NEXT) | instid1(VALU_DEP_1)
	v_mul_f32_e32 v8, v69, v8
	v_and_b32_e32 v10, 0x7f800000, v8
	s_delay_alu instid0(VALU_DEP_1) | instskip(NEXT) | instid1(VALU_DEP_1)
	v_cmp_ne_u32_e64 s0, 0x7f800000, v10
	s_and_saveexec_b32 s12, s0
	s_delay_alu instid0(SALU_CYCLE_1)
	s_xor_b32 s0, exec_lo, s12
; %bb.764:                              ;   in Loop: Header=BB384_616 Depth=1
	v_bfe_u32 v10, v8, 16, 1
	s_delay_alu instid0(VALU_DEP_1)
	v_add3_u32 v36, v8, v10, 0x7fff
                                        ; implicit-def: $vgpr8
; %bb.765:                              ;   in Loop: Header=BB384_616 Depth=1
	s_and_not1_saveexec_b32 s12, s0
; %bb.766:                              ;   in Loop: Header=BB384_616 Depth=1
	v_and_b32_e32 v10, 0xffff, v8
	v_or_b32_e32 v36, 0x10000, v8
	s_delay_alu instid0(VALU_DEP_2) | instskip(NEXT) | instid1(VALU_DEP_1)
	v_cmp_eq_u32_e64 s0, 0, v10
	v_cndmask_b32_e64 v36, v36, v8, s0
; %bb.767:                              ;   in Loop: Header=BB384_616 Depth=1
	s_or_b32 exec_lo, exec_lo, s12
	v_and_b32_e32 v70, 0xffff0000, v37
	v_lshlrev_b32_e32 v7, 16, v7
                                        ; implicit-def: $vgpr37
	s_delay_alu instid0(VALU_DEP_1) | instskip(NEXT) | instid1(VALU_DEP_1)
	v_mul_f32_e32 v7, v70, v7
	v_and_b32_e32 v8, 0x7f800000, v7
	s_delay_alu instid0(VALU_DEP_1) | instskip(NEXT) | instid1(VALU_DEP_1)
	v_cmp_ne_u32_e64 s0, 0x7f800000, v8
	s_and_saveexec_b32 s12, s0
	s_delay_alu instid0(SALU_CYCLE_1)
	s_xor_b32 s0, exec_lo, s12
; %bb.768:                              ;   in Loop: Header=BB384_616 Depth=1
	v_bfe_u32 v8, v7, 16, 1
	s_delay_alu instid0(VALU_DEP_1)
	v_add3_u32 v37, v7, v8, 0x7fff
                                        ; implicit-def: $vgpr7
; %bb.769:                              ;   in Loop: Header=BB384_616 Depth=1
	s_and_not1_saveexec_b32 s12, s0
; %bb.770:                              ;   in Loop: Header=BB384_616 Depth=1
	v_and_b32_e32 v8, 0xffff, v7
	v_or_b32_e32 v10, 0x10000, v7
	s_delay_alu instid0(VALU_DEP_2) | instskip(NEXT) | instid1(VALU_DEP_1)
	v_cmp_eq_u32_e64 s0, 0, v8
	v_cndmask_b32_e64 v37, v10, v7, s0
; %bb.771:                              ;   in Loop: Header=BB384_616 Depth=1
	s_or_b32 exec_lo, exec_lo, s12
	v_and_b32_e32 v71, 0xffff0000, v38
	v_lshlrev_b32_e32 v3, 16, v3
                                        ; implicit-def: $vgpr38
	s_delay_alu instid0(VALU_DEP_1) | instskip(NEXT) | instid1(VALU_DEP_1)
	v_mul_f32_e32 v3, v71, v3
	v_and_b32_e32 v7, 0x7f800000, v3
	s_delay_alu instid0(VALU_DEP_1) | instskip(NEXT) | instid1(VALU_DEP_1)
	v_cmp_ne_u32_e64 s0, 0x7f800000, v7
	s_and_saveexec_b32 s12, s0
	s_delay_alu instid0(SALU_CYCLE_1)
	s_xor_b32 s0, exec_lo, s12
; %bb.772:                              ;   in Loop: Header=BB384_616 Depth=1
	v_bfe_u32 v7, v3, 16, 1
	s_delay_alu instid0(VALU_DEP_1)
	v_add3_u32 v38, v3, v7, 0x7fff
                                        ; implicit-def: $vgpr3
; %bb.773:                              ;   in Loop: Header=BB384_616 Depth=1
	s_and_not1_saveexec_b32 s12, s0
; %bb.774:                              ;   in Loop: Header=BB384_616 Depth=1
	v_and_b32_e32 v7, 0xffff, v3
	v_or_b32_e32 v8, 0x10000, v3
	s_delay_alu instid0(VALU_DEP_2) | instskip(NEXT) | instid1(VALU_DEP_1)
	v_cmp_eq_u32_e64 s0, 0, v7
	v_cndmask_b32_e64 v38, v8, v3, s0
; %bb.775:                              ;   in Loop: Header=BB384_616 Depth=1
	s_or_b32 exec_lo, exec_lo, s12
	v_and_b32_e32 v80, 0xffff0000, v48
	v_lshlrev_b32_e32 v2, 16, v2
                                        ; implicit-def: $vgpr48
	s_delay_alu instid0(VALU_DEP_1) | instskip(NEXT) | instid1(VALU_DEP_1)
	v_mul_f32_e32 v2, v80, v2
	v_and_b32_e32 v3, 0x7f800000, v2
	s_delay_alu instid0(VALU_DEP_1) | instskip(NEXT) | instid1(VALU_DEP_1)
	v_cmp_ne_u32_e64 s0, 0x7f800000, v3
	s_and_saveexec_b32 s12, s0
	s_delay_alu instid0(SALU_CYCLE_1)
	s_xor_b32 s0, exec_lo, s12
; %bb.776:                              ;   in Loop: Header=BB384_616 Depth=1
	v_bfe_u32 v3, v2, 16, 1
	s_delay_alu instid0(VALU_DEP_1)
	v_add3_u32 v48, v2, v3, 0x7fff
                                        ; implicit-def: $vgpr2
; %bb.777:                              ;   in Loop: Header=BB384_616 Depth=1
	s_and_not1_saveexec_b32 s12, s0
; %bb.778:                              ;   in Loop: Header=BB384_616 Depth=1
	v_and_b32_e32 v3, 0xffff, v2
	v_or_b32_e32 v7, 0x10000, v2
	s_delay_alu instid0(VALU_DEP_2) | instskip(NEXT) | instid1(VALU_DEP_1)
	v_cmp_eq_u32_e64 s0, 0, v3
	v_cndmask_b32_e64 v48, v7, v2, s0
; %bb.779:                              ;   in Loop: Header=BB384_616 Depth=1
	s_or_b32 exec_lo, exec_lo, s12
	flat_load_b64 v[2:3], v[0:1] offset:256
	s_mov_b32 s12, exec_lo
	s_waitcnt vmcnt(0) lgkmcnt(0)
	v_dual_mov_b32 v7, 0 :: v_dual_and_b32 v8, 0xff, v2
	s_delay_alu instid0(VALU_DEP_1)
	v_cmpx_ne_u16_e32 0, v8
	s_cbranch_execz .LBB384_787
; %bb.780:                              ;   in Loop: Header=BB384_616 Depth=1
	v_bfrev_b32_e32 v7, 1
	s_mov_b32 s13, exec_lo
	v_cmpx_ne_u16_e32 0x80, v8
	s_cbranch_execz .LBB384_786
; %bb.781:                              ;   in Loop: Header=BB384_616 Depth=1
	v_and_b32_e32 v8, 0x7f, v2
	v_mov_b32_e32 v7, 0x7f800001
	s_mov_b32 s15, exec_lo
	s_delay_alu instid0(VALU_DEP_2)
	v_cmpx_ne_u32_e32 0x7f, v8
	s_cbranch_execz .LBB384_785
; %bb.782:                              ;   in Loop: Header=BB384_616 Depth=1
	v_lshrrev_b32_e32 v10, 3, v8
	v_cmp_gt_u32_e64 s0, 8, v8
	v_dual_mov_b32 v8, v3 :: v_dual_mov_b32 v7, v2
	s_delay_alu instid0(VALU_DEP_2)
	s_and_saveexec_b32 s16, s0
; %bb.783:                              ;   in Loop: Header=BB384_616 Depth=1
	v_and_b32_e32 v7, 7, v2
	s_delay_alu instid0(VALU_DEP_1) | instskip(NEXT) | instid1(VALU_DEP_1)
	v_clz_i32_u32_e32 v7, v7
	v_min_u32_e32 v10, 32, v7
	s_delay_alu instid0(VALU_DEP_1) | instskip(SKIP_1) | instid1(VALU_DEP_2)
	v_subrev_nc_u32_e32 v7, 28, v10
	v_sub_nc_u32_e32 v10, 29, v10
	v_lshlrev_b64 v[7:8], v7, v[2:3]
; %bb.784:                              ;   in Loop: Header=BB384_616 Depth=1
	s_or_b32 exec_lo, exec_lo, s16
	s_delay_alu instid0(VALU_DEP_1) | instskip(SKIP_2) | instid1(VALU_DEP_3)
	v_lshlrev_b32_e32 v7, 20, v7
	v_lshlrev_b32_e32 v8, 24, v2
	v_lshl_add_u32 v10, v10, 23, 0x3c000000
	v_and_b32_e32 v7, 0x700000, v7
	s_delay_alu instid0(VALU_DEP_3) | instskip(NEXT) | instid1(VALU_DEP_1)
	v_and_b32_e32 v8, 0x80000000, v8
	v_or3_b32 v7, v7, v8, v10
.LBB384_785:                            ;   in Loop: Header=BB384_616 Depth=1
	s_or_b32 exec_lo, exec_lo, s15
.LBB384_786:                            ;   in Loop: Header=BB384_616 Depth=1
	s_delay_alu instid0(SALU_CYCLE_1)
	s_or_b32 exec_lo, exec_lo, s13
.LBB384_787:                            ;   in Loop: Header=BB384_616 Depth=1
	s_delay_alu instid0(SALU_CYCLE_1) | instskip(NEXT) | instid1(VALU_DEP_1)
	s_or_b32 exec_lo, exec_lo, s12
	v_mul_f32_e32 v7, v9, v7
                                        ; implicit-def: $vgpr81
	s_delay_alu instid0(VALU_DEP_1) | instskip(NEXT) | instid1(VALU_DEP_1)
	v_and_b32_e32 v8, 0x7f800000, v7
	v_cmp_ne_u32_e64 s0, 0x7f800000, v8
	s_delay_alu instid0(VALU_DEP_1) | instskip(NEXT) | instid1(SALU_CYCLE_1)
	s_and_saveexec_b32 s12, s0
	s_xor_b32 s0, exec_lo, s12
; %bb.788:                              ;   in Loop: Header=BB384_616 Depth=1
	v_bfe_u32 v8, v7, 16, 1
	s_delay_alu instid0(VALU_DEP_1)
	v_add3_u32 v81, v7, v8, 0x7fff
                                        ; implicit-def: $vgpr7
; %bb.789:                              ;   in Loop: Header=BB384_616 Depth=1
	s_and_not1_saveexec_b32 s12, s0
; %bb.790:                              ;   in Loop: Header=BB384_616 Depth=1
	v_and_b32_e32 v8, 0xffff, v7
	v_or_b32_e32 v10, 0x10000, v7
	s_delay_alu instid0(VALU_DEP_2) | instskip(NEXT) | instid1(VALU_DEP_1)
	v_cmp_eq_u32_e64 s0, 0, v8
	v_cndmask_b32_e64 v81, v10, v7, s0
; %bb.791:                              ;   in Loop: Header=BB384_616 Depth=1
	s_or_b32 exec_lo, exec_lo, s12
	v_lshrrev_b16 v8, 8, v2
	v_mov_b32_e32 v7, 0
	s_mov_b32 s12, exec_lo
	s_delay_alu instid0(VALU_DEP_2)
	v_cmpx_ne_u16_e32 0, v8
	s_cbranch_execz .LBB384_799
; %bb.792:                              ;   in Loop: Header=BB384_616 Depth=1
	v_bfrev_b32_e32 v7, 1
	s_mov_b32 s13, exec_lo
	v_cmpx_ne_u16_e32 0x80, v8
	s_cbranch_execz .LBB384_798
; %bb.793:                              ;   in Loop: Header=BB384_616 Depth=1
	v_and_b32_e32 v10, 0xffff, v8
	v_mov_b32_e32 v7, 0x7f800001
	s_mov_b32 s15, exec_lo
	s_delay_alu instid0(VALU_DEP_2) | instskip(NEXT) | instid1(VALU_DEP_1)
	v_and_b32_e32 v8, 0x7f, v10
	v_cmpx_ne_u32_e32 0x7f, v8
	s_cbranch_execz .LBB384_797
; %bb.794:                              ;   in Loop: Header=BB384_616 Depth=1
	v_and_b32_e32 v10, 7, v10
	v_lshrrev_b32_e32 v7, 3, v8
	s_mov_b32 s16, exec_lo
	v_cmpx_gt_u32_e32 8, v8
; %bb.795:                              ;   in Loop: Header=BB384_616 Depth=1
	s_delay_alu instid0(VALU_DEP_3) | instskip(NEXT) | instid1(VALU_DEP_1)
	v_clz_i32_u32_e32 v7, v10
	v_min_u32_e32 v7, 32, v7
	s_delay_alu instid0(VALU_DEP_1) | instskip(SKIP_1) | instid1(VALU_DEP_2)
	v_subrev_nc_u32_e32 v8, 28, v7
	v_sub_nc_u32_e32 v7, 29, v7
	v_lshlrev_b64 v[97:98], v8, v[10:11]
	s_delay_alu instid0(VALU_DEP_1)
	v_and_b32_e32 v10, 7, v97
; %bb.796:                              ;   in Loop: Header=BB384_616 Depth=1
	s_or_b32 exec_lo, exec_lo, s16
	v_lshlrev_b32_e32 v8, 16, v2
	s_delay_alu instid0(VALU_DEP_2) | instskip(SKIP_1) | instid1(VALU_DEP_3)
	v_lshlrev_b32_e32 v10, 20, v10
	v_lshl_add_u32 v7, v7, 23, 0x3c000000
	v_and_b32_e32 v8, 0x80000000, v8
	s_delay_alu instid0(VALU_DEP_1)
	v_or3_b32 v7, v10, v8, v7
.LBB384_797:                            ;   in Loop: Header=BB384_616 Depth=1
	s_or_b32 exec_lo, exec_lo, s15
.LBB384_798:                            ;   in Loop: Header=BB384_616 Depth=1
	s_delay_alu instid0(SALU_CYCLE_1)
	s_or_b32 exec_lo, exec_lo, s13
.LBB384_799:                            ;   in Loop: Header=BB384_616 Depth=1
	s_delay_alu instid0(SALU_CYCLE_1) | instskip(NEXT) | instid1(VALU_DEP_1)
	s_or_b32 exec_lo, exec_lo, s12
	v_mul_f32_e32 v7, v9, v7
                                        ; implicit-def: $vgpr97
	s_delay_alu instid0(VALU_DEP_1) | instskip(NEXT) | instid1(VALU_DEP_1)
	v_and_b32_e32 v8, 0x7f800000, v7
	v_cmp_ne_u32_e64 s0, 0x7f800000, v8
	s_delay_alu instid0(VALU_DEP_1) | instskip(NEXT) | instid1(SALU_CYCLE_1)
	s_and_saveexec_b32 s12, s0
	s_xor_b32 s0, exec_lo, s12
; %bb.800:                              ;   in Loop: Header=BB384_616 Depth=1
	v_bfe_u32 v8, v7, 16, 1
	s_delay_alu instid0(VALU_DEP_1)
	v_add3_u32 v97, v7, v8, 0x7fff
                                        ; implicit-def: $vgpr7
; %bb.801:                              ;   in Loop: Header=BB384_616 Depth=1
	s_and_not1_saveexec_b32 s12, s0
; %bb.802:                              ;   in Loop: Header=BB384_616 Depth=1
	v_and_b32_e32 v8, 0xffff, v7
	v_or_b32_e32 v10, 0x10000, v7
	s_delay_alu instid0(VALU_DEP_2) | instskip(NEXT) | instid1(VALU_DEP_1)
	v_cmp_eq_u32_e64 s0, 0, v8
	v_cndmask_b32_e64 v97, v10, v7, s0
; %bb.803:                              ;   in Loop: Header=BB384_616 Depth=1
	s_or_b32 exec_lo, exec_lo, s12
	v_lshrrev_b32_e32 v7, 16, v2
	v_mov_b32_e32 v8, 0
	s_mov_b32 s12, exec_lo
	s_delay_alu instid0(VALU_DEP_2) | instskip(NEXT) | instid1(VALU_DEP_1)
	v_and_b32_e32 v10, 0xff, v7
	v_cmpx_ne_u16_e32 0, v10
	s_cbranch_execz .LBB384_811
; %bb.804:                              ;   in Loop: Header=BB384_616 Depth=1
	v_bfrev_b32_e32 v8, 1
	s_mov_b32 s13, exec_lo
	v_cmpx_ne_u16_e32 0x80, v10
	s_cbranch_execz .LBB384_810
; %bb.805:                              ;   in Loop: Header=BB384_616 Depth=1
	v_bfe_u32 v98, v2, 16, 7
	v_mov_b32_e32 v8, 0x7f800001
	s_mov_b32 s15, exec_lo
	s_delay_alu instid0(VALU_DEP_2)
	v_cmpx_ne_u32_e32 0x7f, v98
	s_cbranch_execz .LBB384_809
; %bb.806:                              ;   in Loop: Header=BB384_616 Depth=1
	v_and_b32_e32 v10, 7, v7
	v_lshrrev_b32_e32 v8, 3, v98
	s_mov_b32 s16, exec_lo
	v_cmpx_gt_u32_e32 8, v98
; %bb.807:                              ;   in Loop: Header=BB384_616 Depth=1
	s_delay_alu instid0(VALU_DEP_3) | instskip(NEXT) | instid1(VALU_DEP_1)
	v_clz_i32_u32_e32 v8, v10
	v_min_u32_e32 v8, 32, v8
	s_delay_alu instid0(VALU_DEP_1) | instskip(SKIP_1) | instid1(VALU_DEP_2)
	v_subrev_nc_u32_e32 v98, 28, v8
	v_sub_nc_u32_e32 v8, 29, v8
	v_lshlrev_b64 v[98:99], v98, v[10:11]
	s_delay_alu instid0(VALU_DEP_1)
	v_and_b32_e32 v10, 7, v98
; %bb.808:                              ;   in Loop: Header=BB384_616 Depth=1
	s_or_b32 exec_lo, exec_lo, s16
	v_lshlrev_b32_e32 v7, 24, v7
	s_delay_alu instid0(VALU_DEP_2) | instskip(SKIP_1) | instid1(VALU_DEP_3)
	v_lshlrev_b32_e32 v10, 20, v10
	v_lshl_add_u32 v8, v8, 23, 0x3c000000
	v_and_b32_e32 v7, 0x80000000, v7
	s_delay_alu instid0(VALU_DEP_1)
	v_or3_b32 v8, v10, v7, v8
.LBB384_809:                            ;   in Loop: Header=BB384_616 Depth=1
	s_or_b32 exec_lo, exec_lo, s15
.LBB384_810:                            ;   in Loop: Header=BB384_616 Depth=1
	s_delay_alu instid0(SALU_CYCLE_1)
	s_or_b32 exec_lo, exec_lo, s13
.LBB384_811:                            ;   in Loop: Header=BB384_616 Depth=1
	s_delay_alu instid0(SALU_CYCLE_1) | instskip(NEXT) | instid1(VALU_DEP_1)
	s_or_b32 exec_lo, exec_lo, s12
	v_mul_f32_e32 v7, v9, v8
                                        ; implicit-def: $vgpr98
	s_delay_alu instid0(VALU_DEP_1) | instskip(NEXT) | instid1(VALU_DEP_1)
	v_and_b32_e32 v8, 0x7f800000, v7
	v_cmp_ne_u32_e64 s0, 0x7f800000, v8
	s_delay_alu instid0(VALU_DEP_1) | instskip(NEXT) | instid1(SALU_CYCLE_1)
	s_and_saveexec_b32 s12, s0
	s_xor_b32 s0, exec_lo, s12
; %bb.812:                              ;   in Loop: Header=BB384_616 Depth=1
	v_bfe_u32 v8, v7, 16, 1
	s_delay_alu instid0(VALU_DEP_1)
	v_add3_u32 v98, v7, v8, 0x7fff
                                        ; implicit-def: $vgpr7
; %bb.813:                              ;   in Loop: Header=BB384_616 Depth=1
	s_and_not1_saveexec_b32 s12, s0
; %bb.814:                              ;   in Loop: Header=BB384_616 Depth=1
	v_and_b32_e32 v8, 0xffff, v7
	v_or_b32_e32 v10, 0x10000, v7
	s_delay_alu instid0(VALU_DEP_2) | instskip(NEXT) | instid1(VALU_DEP_1)
	v_cmp_eq_u32_e64 s0, 0, v8
	v_cndmask_b32_e64 v98, v10, v7, s0
; %bb.815:                              ;   in Loop: Header=BB384_616 Depth=1
	s_or_b32 exec_lo, exec_lo, s12
	v_mov_b32_e32 v8, 0
	s_mov_b32 s12, exec_lo
	v_cmpx_lt_u32_e32 0xffffff, v2
	s_cbranch_execz .LBB384_823
; %bb.816:                              ;   in Loop: Header=BB384_616 Depth=1
	v_lshrrev_b32_e32 v7, 24, v2
	v_bfrev_b32_e32 v8, 1
	s_mov_b32 s13, exec_lo
	s_delay_alu instid0(VALU_DEP_2)
	v_cmpx_ne_u32_e32 0x80, v7
	s_cbranch_execz .LBB384_822
; %bb.817:                              ;   in Loop: Header=BB384_616 Depth=1
	v_bfe_u32 v99, v2, 24, 7
	v_mov_b32_e32 v8, 0x7f800001
	s_mov_b32 s15, exec_lo
	s_delay_alu instid0(VALU_DEP_2)
	v_cmpx_ne_u32_e32 0x7f, v99
	s_cbranch_execz .LBB384_821
; %bb.818:                              ;   in Loop: Header=BB384_616 Depth=1
	v_and_b32_e32 v10, 7, v7
	v_lshrrev_b32_e32 v8, 3, v99
	s_mov_b32 s16, exec_lo
	v_cmpx_gt_u32_e32 8, v99
; %bb.819:                              ;   in Loop: Header=BB384_616 Depth=1
	s_delay_alu instid0(VALU_DEP_3) | instskip(NEXT) | instid1(VALU_DEP_1)
	v_clz_i32_u32_e32 v8, v10
	v_min_u32_e32 v8, 32, v8
	s_delay_alu instid0(VALU_DEP_1) | instskip(SKIP_1) | instid1(VALU_DEP_2)
	v_subrev_nc_u32_e32 v99, 28, v8
	v_sub_nc_u32_e32 v8, 29, v8
	v_lshlrev_b64 v[99:100], v99, v[10:11]
	s_delay_alu instid0(VALU_DEP_1)
	v_and_b32_e32 v10, 7, v99
; %bb.820:                              ;   in Loop: Header=BB384_616 Depth=1
	s_or_b32 exec_lo, exec_lo, s16
	v_lshlrev_b32_e32 v7, 24, v7
	s_delay_alu instid0(VALU_DEP_2) | instskip(SKIP_1) | instid1(VALU_DEP_3)
	v_lshlrev_b32_e32 v10, 20, v10
	v_lshl_add_u32 v8, v8, 23, 0x3c000000
	v_and_b32_e32 v7, 0x80000000, v7
	s_delay_alu instid0(VALU_DEP_1)
	v_or3_b32 v8, v10, v7, v8
.LBB384_821:                            ;   in Loop: Header=BB384_616 Depth=1
	s_or_b32 exec_lo, exec_lo, s15
.LBB384_822:                            ;   in Loop: Header=BB384_616 Depth=1
	s_delay_alu instid0(SALU_CYCLE_1)
	s_or_b32 exec_lo, exec_lo, s13
.LBB384_823:                            ;   in Loop: Header=BB384_616 Depth=1
	s_delay_alu instid0(SALU_CYCLE_1) | instskip(NEXT) | instid1(VALU_DEP_1)
	s_or_b32 exec_lo, exec_lo, s12
	v_mul_f32_e32 v7, v9, v8
                                        ; implicit-def: $vgpr99
	s_delay_alu instid0(VALU_DEP_1) | instskip(NEXT) | instid1(VALU_DEP_1)
	v_and_b32_e32 v8, 0x7f800000, v7
	v_cmp_ne_u32_e64 s0, 0x7f800000, v8
	s_delay_alu instid0(VALU_DEP_1) | instskip(NEXT) | instid1(SALU_CYCLE_1)
	s_and_saveexec_b32 s12, s0
	s_xor_b32 s0, exec_lo, s12
; %bb.824:                              ;   in Loop: Header=BB384_616 Depth=1
	v_bfe_u32 v8, v7, 16, 1
	s_delay_alu instid0(VALU_DEP_1)
	v_add3_u32 v99, v7, v8, 0x7fff
                                        ; implicit-def: $vgpr7
; %bb.825:                              ;   in Loop: Header=BB384_616 Depth=1
	s_and_not1_saveexec_b32 s12, s0
; %bb.826:                              ;   in Loop: Header=BB384_616 Depth=1
	v_and_b32_e32 v8, 0xffff, v7
	v_or_b32_e32 v10, 0x10000, v7
	s_delay_alu instid0(VALU_DEP_2) | instskip(NEXT) | instid1(VALU_DEP_1)
	v_cmp_eq_u32_e64 s0, 0, v8
	v_cndmask_b32_e64 v99, v10, v7, s0
; %bb.827:                              ;   in Loop: Header=BB384_616 Depth=1
	s_or_b32 exec_lo, exec_lo, s12
	v_dual_mov_b32 v7, 0 :: v_dual_and_b32 v8, 0xff, v3
	v_mov_b32_e32 v10, v3
	s_mov_b32 s12, exec_lo
	s_delay_alu instid0(VALU_DEP_2)
	v_cmpx_ne_u16_e32 0, v8
	s_cbranch_execz .LBB384_835
; %bb.828:                              ;   in Loop: Header=BB384_616 Depth=1
	v_bfrev_b32_e32 v7, 1
	s_mov_b32 s13, exec_lo
	v_cmpx_ne_u16_e32 0x80, v8
	s_cbranch_execz .LBB384_834
; %bb.829:                              ;   in Loop: Header=BB384_616 Depth=1
	v_and_b32_e32 v8, 0x7f, v3
	v_mov_b32_e32 v7, 0x7f800001
	s_mov_b32 s15, exec_lo
	s_delay_alu instid0(VALU_DEP_2)
	v_cmpx_ne_u32_e32 0x7f, v8
	s_cbranch_execz .LBB384_833
; %bb.830:                              ;   in Loop: Header=BB384_616 Depth=1
	v_lshrrev_b32_e32 v100, 3, v8
	v_cmp_gt_u32_e64 s0, 8, v8
	v_dual_mov_b32 v7, v10 :: v_dual_mov_b32 v8, v11
	s_delay_alu instid0(VALU_DEP_2)
	s_and_saveexec_b32 s16, s0
; %bb.831:                              ;   in Loop: Header=BB384_616 Depth=1
	v_and_b32_e32 v7, 7, v3
	s_delay_alu instid0(VALU_DEP_1) | instskip(NEXT) | instid1(VALU_DEP_1)
	v_clz_i32_u32_e32 v7, v7
	v_min_u32_e32 v100, 32, v7
	s_delay_alu instid0(VALU_DEP_1) | instskip(SKIP_1) | instid1(VALU_DEP_2)
	v_subrev_nc_u32_e32 v7, 28, v100
	v_sub_nc_u32_e32 v100, 29, v100
	v_lshlrev_b64 v[7:8], v7, v[10:11]
; %bb.832:                              ;   in Loop: Header=BB384_616 Depth=1
	s_or_b32 exec_lo, exec_lo, s16
	s_delay_alu instid0(VALU_DEP_1) | instskip(SKIP_2) | instid1(VALU_DEP_3)
	v_lshlrev_b32_e32 v7, 20, v7
	v_lshlrev_b32_e32 v8, 24, v10
	v_lshl_add_u32 v100, v100, 23, 0x3c000000
	v_and_b32_e32 v7, 0x700000, v7
	s_delay_alu instid0(VALU_DEP_3) | instskip(NEXT) | instid1(VALU_DEP_1)
	v_and_b32_e32 v8, 0x80000000, v8
	v_or3_b32 v7, v7, v8, v100
.LBB384_833:                            ;   in Loop: Header=BB384_616 Depth=1
	s_or_b32 exec_lo, exec_lo, s15
.LBB384_834:                            ;   in Loop: Header=BB384_616 Depth=1
	s_delay_alu instid0(SALU_CYCLE_1)
	s_or_b32 exec_lo, exec_lo, s13
.LBB384_835:                            ;   in Loop: Header=BB384_616 Depth=1
	s_delay_alu instid0(SALU_CYCLE_1) | instskip(NEXT) | instid1(VALU_DEP_1)
	s_or_b32 exec_lo, exec_lo, s12
	v_mul_f32_e32 v7, v9, v7
                                        ; implicit-def: $vgpr100
	s_delay_alu instid0(VALU_DEP_1) | instskip(NEXT) | instid1(VALU_DEP_1)
	v_and_b32_e32 v8, 0x7f800000, v7
	v_cmp_ne_u32_e64 s0, 0x7f800000, v8
	s_delay_alu instid0(VALU_DEP_1) | instskip(NEXT) | instid1(SALU_CYCLE_1)
	s_and_saveexec_b32 s12, s0
	s_xor_b32 s0, exec_lo, s12
; %bb.836:                              ;   in Loop: Header=BB384_616 Depth=1
	v_bfe_u32 v8, v7, 16, 1
	s_delay_alu instid0(VALU_DEP_1)
	v_add3_u32 v100, v7, v8, 0x7fff
                                        ; implicit-def: $vgpr7
; %bb.837:                              ;   in Loop: Header=BB384_616 Depth=1
	s_and_not1_saveexec_b32 s12, s0
; %bb.838:                              ;   in Loop: Header=BB384_616 Depth=1
	v_and_b32_e32 v8, 0xffff, v7
	v_or_b32_e32 v100, 0x10000, v7
	s_delay_alu instid0(VALU_DEP_2) | instskip(NEXT) | instid1(VALU_DEP_1)
	v_cmp_eq_u32_e64 s0, 0, v8
	v_cndmask_b32_e64 v100, v100, v7, s0
; %bb.839:                              ;   in Loop: Header=BB384_616 Depth=1
	s_or_b32 exec_lo, exec_lo, s12
	v_lshrrev_b16 v8, 8, v10
	v_mov_b32_e32 v7, 0
	s_mov_b32 s12, exec_lo
	s_delay_alu instid0(VALU_DEP_2)
	v_cmpx_ne_u16_e32 0, v8
	s_cbranch_execz .LBB384_847
; %bb.840:                              ;   in Loop: Header=BB384_616 Depth=1
	v_bfrev_b32_e32 v7, 1
	s_mov_b32 s13, exec_lo
	v_cmpx_ne_u16_e32 0x80, v8
	s_cbranch_execz .LBB384_846
; %bb.841:                              ;   in Loop: Header=BB384_616 Depth=1
	v_and_b32_e32 v8, 0xffff, v8
	v_mov_b32_e32 v7, 0x7f800001
	s_mov_b32 s15, exec_lo
	s_delay_alu instid0(VALU_DEP_2) | instskip(NEXT) | instid1(VALU_DEP_1)
	v_and_b32_e32 v102, 0x7f, v8
	v_cmpx_ne_u32_e32 0x7f, v102
	s_cbranch_execz .LBB384_845
; %bb.842:                              ;   in Loop: Header=BB384_616 Depth=1
	v_dual_mov_b32 v8, v11 :: v_dual_and_b32 v7, 7, v8
	v_lshrrev_b32_e32 v101, 3, v102
	s_mov_b32 s16, exec_lo
	v_cmpx_gt_u32_e32 8, v102
; %bb.843:                              ;   in Loop: Header=BB384_616 Depth=1
	s_delay_alu instid0(VALU_DEP_3) | instskip(NEXT) | instid1(VALU_DEP_1)
	v_clz_i32_u32_e32 v101, v7
	v_min_u32_e32 v101, 32, v101
	s_delay_alu instid0(VALU_DEP_1) | instskip(SKIP_1) | instid1(VALU_DEP_2)
	v_subrev_nc_u32_e32 v102, 28, v101
	v_sub_nc_u32_e32 v101, 29, v101
	v_lshlrev_b64 v[7:8], v102, v[7:8]
	s_delay_alu instid0(VALU_DEP_1)
	v_and_b32_e32 v7, 7, v7
; %bb.844:                              ;   in Loop: Header=BB384_616 Depth=1
	s_or_b32 exec_lo, exec_lo, s16
	v_lshlrev_b32_e32 v8, 16, v10
	s_delay_alu instid0(VALU_DEP_2) | instskip(SKIP_1) | instid1(VALU_DEP_3)
	v_lshlrev_b32_e32 v7, 20, v7
	v_lshl_add_u32 v10, v101, 23, 0x3c000000
	v_and_b32_e32 v8, 0x80000000, v8
	s_delay_alu instid0(VALU_DEP_1)
	v_or3_b32 v7, v7, v8, v10
.LBB384_845:                            ;   in Loop: Header=BB384_616 Depth=1
	s_or_b32 exec_lo, exec_lo, s15
.LBB384_846:                            ;   in Loop: Header=BB384_616 Depth=1
	s_delay_alu instid0(SALU_CYCLE_1)
	s_or_b32 exec_lo, exec_lo, s13
.LBB384_847:                            ;   in Loop: Header=BB384_616 Depth=1
	s_delay_alu instid0(SALU_CYCLE_1) | instskip(NEXT) | instid1(VALU_DEP_1)
	s_or_b32 exec_lo, exec_lo, s12
	v_mul_f32_e32 v8, v9, v7
	s_delay_alu instid0(VALU_DEP_1) | instskip(NEXT) | instid1(VALU_DEP_1)
	v_and_b32_e32 v7, 0x7f800000, v8
	v_cmp_ne_u32_e64 s0, 0x7f800000, v7
                                        ; implicit-def: $vgpr7
	s_delay_alu instid0(VALU_DEP_1) | instskip(NEXT) | instid1(SALU_CYCLE_1)
	s_and_saveexec_b32 s12, s0
	s_xor_b32 s0, exec_lo, s12
; %bb.848:                              ;   in Loop: Header=BB384_616 Depth=1
	v_bfe_u32 v7, v8, 16, 1
	s_delay_alu instid0(VALU_DEP_1)
	v_add3_u32 v7, v8, v7, 0x7fff
                                        ; implicit-def: $vgpr8
; %bb.849:                              ;   in Loop: Header=BB384_616 Depth=1
	s_and_not1_saveexec_b32 s12, s0
; %bb.850:                              ;   in Loop: Header=BB384_616 Depth=1
	v_and_b32_e32 v7, 0xffff, v8
	v_or_b32_e32 v10, 0x10000, v8
	s_delay_alu instid0(VALU_DEP_2) | instskip(NEXT) | instid1(VALU_DEP_1)
	v_cmp_eq_u32_e64 s0, 0, v7
	v_cndmask_b32_e64 v7, v10, v8, s0
; %bb.851:                              ;   in Loop: Header=BB384_616 Depth=1
	s_or_b32 exec_lo, exec_lo, s12
	v_lshrrev_b32_e32 v8, 16, v3
	s_mov_b32 s12, exec_lo
	s_delay_alu instid0(VALU_DEP_1) | instskip(NEXT) | instid1(VALU_DEP_1)
	v_dual_mov_b32 v10, 0 :: v_dual_and_b32 v101, 0xff, v8
	v_cmpx_ne_u16_e32 0, v101
	s_cbranch_execz .LBB384_859
; %bb.852:                              ;   in Loop: Header=BB384_616 Depth=1
	v_bfrev_b32_e32 v10, 1
	s_mov_b32 s13, exec_lo
	v_cmpx_ne_u16_e32 0x80, v101
	s_cbranch_execz .LBB384_858
; %bb.853:                              ;   in Loop: Header=BB384_616 Depth=1
	v_bfe_u32 v102, v3, 16, 7
	v_mov_b32_e32 v10, 0x7f800001
	s_mov_b32 s15, exec_lo
	s_delay_alu instid0(VALU_DEP_2)
	v_cmpx_ne_u32_e32 0x7f, v102
	s_cbranch_execz .LBB384_857
; %bb.854:                              ;   in Loop: Header=BB384_616 Depth=1
	v_and_b32_e32 v10, 7, v8
	v_lshrrev_b32_e32 v101, 3, v102
	s_mov_b32 s16, exec_lo
	v_cmpx_gt_u32_e32 8, v102
; %bb.855:                              ;   in Loop: Header=BB384_616 Depth=1
	s_delay_alu instid0(VALU_DEP_3) | instskip(NEXT) | instid1(VALU_DEP_1)
	v_clz_i32_u32_e32 v101, v10
	v_min_u32_e32 v101, 32, v101
	s_delay_alu instid0(VALU_DEP_1) | instskip(SKIP_1) | instid1(VALU_DEP_2)
	v_subrev_nc_u32_e32 v102, 28, v101
	v_sub_nc_u32_e32 v101, 29, v101
	v_lshlrev_b64 v[102:103], v102, v[10:11]
	s_delay_alu instid0(VALU_DEP_1)
	v_and_b32_e32 v10, 7, v102
; %bb.856:                              ;   in Loop: Header=BB384_616 Depth=1
	s_or_b32 exec_lo, exec_lo, s16
	v_lshlrev_b32_e32 v8, 24, v8
	s_delay_alu instid0(VALU_DEP_2) | instskip(SKIP_1) | instid1(VALU_DEP_3)
	v_lshlrev_b32_e32 v10, 20, v10
	v_lshl_add_u32 v101, v101, 23, 0x3c000000
	v_and_b32_e32 v8, 0x80000000, v8
	s_delay_alu instid0(VALU_DEP_1)
	v_or3_b32 v10, v10, v8, v101
.LBB384_857:                            ;   in Loop: Header=BB384_616 Depth=1
	s_or_b32 exec_lo, exec_lo, s15
.LBB384_858:                            ;   in Loop: Header=BB384_616 Depth=1
	s_delay_alu instid0(SALU_CYCLE_1)
	s_or_b32 exec_lo, exec_lo, s13
.LBB384_859:                            ;   in Loop: Header=BB384_616 Depth=1
	s_delay_alu instid0(SALU_CYCLE_1) | instskip(NEXT) | instid1(VALU_DEP_1)
	s_or_b32 exec_lo, exec_lo, s12
	v_mul_f32_e32 v8, v9, v10
                                        ; implicit-def: $vgpr101
	s_delay_alu instid0(VALU_DEP_1) | instskip(NEXT) | instid1(VALU_DEP_1)
	v_and_b32_e32 v10, 0x7f800000, v8
	v_cmp_ne_u32_e64 s0, 0x7f800000, v10
	s_delay_alu instid0(VALU_DEP_1) | instskip(NEXT) | instid1(SALU_CYCLE_1)
	s_and_saveexec_b32 s12, s0
	s_xor_b32 s0, exec_lo, s12
; %bb.860:                              ;   in Loop: Header=BB384_616 Depth=1
	v_bfe_u32 v10, v8, 16, 1
	s_delay_alu instid0(VALU_DEP_1)
	v_add3_u32 v101, v8, v10, 0x7fff
                                        ; implicit-def: $vgpr8
; %bb.861:                              ;   in Loop: Header=BB384_616 Depth=1
	s_and_not1_saveexec_b32 s12, s0
; %bb.862:                              ;   in Loop: Header=BB384_616 Depth=1
	v_and_b32_e32 v10, 0xffff, v8
	v_or_b32_e32 v101, 0x10000, v8
	s_delay_alu instid0(VALU_DEP_2) | instskip(NEXT) | instid1(VALU_DEP_1)
	v_cmp_eq_u32_e64 s0, 0, v10
	v_cndmask_b32_e64 v101, v101, v8, s0
; %bb.863:                              ;   in Loop: Header=BB384_616 Depth=1
	s_or_b32 exec_lo, exec_lo, s12
	v_mov_b32_e32 v8, 0
	s_mov_b32 s12, exec_lo
	v_cmpx_lt_u64_e64 s[8:9], v[2:3]
	s_cbranch_execz .LBB384_871
; %bb.864:                              ;   in Loop: Header=BB384_616 Depth=1
	v_lshrrev_b32_e32 v2, 24, v3
	v_bfrev_b32_e32 v8, 1
	s_mov_b32 s13, exec_lo
	s_delay_alu instid0(VALU_DEP_2)
	v_cmpx_ne_u32_e32 0x80, v2
	s_cbranch_execz .LBB384_870
; %bb.865:                              ;   in Loop: Header=BB384_616 Depth=1
	v_bfe_u32 v102, v3, 24, 7
	v_mov_b32_e32 v8, 0x7f800001
	s_mov_b32 s15, exec_lo
	s_delay_alu instid0(VALU_DEP_2)
	v_cmpx_ne_u32_e32 0x7f, v102
	s_cbranch_execz .LBB384_869
; %bb.866:                              ;   in Loop: Header=BB384_616 Depth=1
	v_and_b32_e32 v10, 7, v2
	v_lshrrev_b32_e32 v3, 3, v102
	s_mov_b32 s16, exec_lo
	v_cmpx_gt_u32_e32 8, v102
; %bb.867:                              ;   in Loop: Header=BB384_616 Depth=1
	s_delay_alu instid0(VALU_DEP_3) | instskip(NEXT) | instid1(VALU_DEP_1)
	v_clz_i32_u32_e32 v3, v10
	v_min_u32_e32 v3, 32, v3
	s_delay_alu instid0(VALU_DEP_1) | instskip(SKIP_1) | instid1(VALU_DEP_2)
	v_subrev_nc_u32_e32 v8, 28, v3
	v_sub_nc_u32_e32 v3, 29, v3
	v_lshlrev_b64 v[102:103], v8, v[10:11]
	s_delay_alu instid0(VALU_DEP_1)
	v_and_b32_e32 v10, 7, v102
; %bb.868:                              ;   in Loop: Header=BB384_616 Depth=1
	s_or_b32 exec_lo, exec_lo, s16
	v_lshlrev_b32_e32 v2, 24, v2
	s_delay_alu instid0(VALU_DEP_2) | instskip(SKIP_1) | instid1(VALU_DEP_3)
	v_lshlrev_b32_e32 v8, 20, v10
	v_lshl_add_u32 v3, v3, 23, 0x3c000000
	v_and_b32_e32 v2, 0x80000000, v2
	s_delay_alu instid0(VALU_DEP_1)
	v_or3_b32 v8, v8, v2, v3
.LBB384_869:                            ;   in Loop: Header=BB384_616 Depth=1
	s_or_b32 exec_lo, exec_lo, s15
.LBB384_870:                            ;   in Loop: Header=BB384_616 Depth=1
	s_delay_alu instid0(SALU_CYCLE_1)
	s_or_b32 exec_lo, exec_lo, s13
.LBB384_871:                            ;   in Loop: Header=BB384_616 Depth=1
	s_delay_alu instid0(SALU_CYCLE_1) | instskip(NEXT) | instid1(VALU_DEP_1)
	s_or_b32 exec_lo, exec_lo, s12
	v_mul_f32_e32 v3, v9, v8
	s_delay_alu instid0(VALU_DEP_1) | instskip(NEXT) | instid1(VALU_DEP_1)
	v_and_b32_e32 v2, 0x7f800000, v3
	v_cmp_ne_u32_e64 s0, 0x7f800000, v2
                                        ; implicit-def: $vgpr2
	s_delay_alu instid0(VALU_DEP_1) | instskip(NEXT) | instid1(SALU_CYCLE_1)
	s_and_saveexec_b32 s12, s0
	s_xor_b32 s0, exec_lo, s12
; %bb.872:                              ;   in Loop: Header=BB384_616 Depth=1
	v_bfe_u32 v2, v3, 16, 1
	s_delay_alu instid0(VALU_DEP_1)
	v_add3_u32 v2, v3, v2, 0x7fff
                                        ; implicit-def: $vgpr3
; %bb.873:                              ;   in Loop: Header=BB384_616 Depth=1
	s_and_not1_saveexec_b32 s12, s0
; %bb.874:                              ;   in Loop: Header=BB384_616 Depth=1
	v_and_b32_e32 v2, 0xffff, v3
	v_or_b32_e32 v8, 0x10000, v3
	s_delay_alu instid0(VALU_DEP_2) | instskip(NEXT) | instid1(VALU_DEP_1)
	v_cmp_eq_u32_e64 s0, 0, v2
	v_cndmask_b32_e64 v2, v8, v3, s0
; %bb.875:                              ;   in Loop: Header=BB384_616 Depth=1
	s_or_b32 exec_lo, exec_lo, s12
	v_lshrrev_b32_e32 v7, 16, v7
	v_lshrrev_b32_e32 v8, 16, v100
	;; [unrolled: 1-line block ×8, first 2 shown]
	s_and_saveexec_b32 s12, vcc_lo
	s_cbranch_execz .LBB384_877
; %bb.876:                              ;   in Loop: Header=BB384_616 Depth=1
	v_cmp_lt_i32_e64 s0, v23, v83
	s_delay_alu instid0(VALU_DEP_1) | instskip(SKIP_1) | instid1(VALU_DEP_1)
	v_cndmask_b32_e64 v81, 0, v81, s0
	v_cmp_lt_i32_e64 s0, v55, v83
	v_cndmask_b32_e64 v97, 0, v97, s0
	v_cmp_lt_i32_e64 s0, v54, v83
	s_delay_alu instid0(VALU_DEP_1) | instskip(SKIP_1) | instid1(VALU_DEP_1)
	v_cndmask_b32_e64 v98, 0, v98, s0
	v_cmp_lt_i32_e64 s0, v53, v83
	v_cndmask_b32_e64 v10, 0, v10, s0
	;; [unrolled: 5-line block ×4, first 2 shown]
.LBB384_877:                            ;   in Loop: Header=BB384_616 Depth=1
	s_or_b32 exec_lo, exec_lo, s12
	v_lshlrev_b32_e32 v81, 16, v81
	s_delay_alu instid0(VALU_DEP_1) | instskip(NEXT) | instid1(VALU_DEP_1)
	v_mul_f32_e32 v99, v65, v81
	v_and_b32_e32 v81, 0x7f800000, v99
	s_delay_alu instid0(VALU_DEP_1) | instskip(NEXT) | instid1(VALU_DEP_1)
	v_cmp_ne_u32_e64 s0, 0x7f800000, v81
                                        ; implicit-def: $vgpr81
	s_and_saveexec_b32 s12, s0
	s_delay_alu instid0(SALU_CYCLE_1)
	s_xor_b32 s0, exec_lo, s12
; %bb.878:                              ;   in Loop: Header=BB384_616 Depth=1
	v_bfe_u32 v81, v99, 16, 1
	s_delay_alu instid0(VALU_DEP_1)
	v_add3_u32 v81, v99, v81, 0x7fff
                                        ; implicit-def: $vgpr99
; %bb.879:                              ;   in Loop: Header=BB384_616 Depth=1
	s_and_not1_saveexec_b32 s12, s0
; %bb.880:                              ;   in Loop: Header=BB384_616 Depth=1
	v_and_b32_e32 v81, 0xffff, v99
	v_or_b32_e32 v100, 0x10000, v99
	s_delay_alu instid0(VALU_DEP_2) | instskip(NEXT) | instid1(VALU_DEP_1)
	v_cmp_eq_u32_e64 s0, 0, v81
	v_cndmask_b32_e64 v81, v100, v99, s0
; %bb.881:                              ;   in Loop: Header=BB384_616 Depth=1
	s_or_b32 exec_lo, exec_lo, s12
	v_lshlrev_b32_e32 v97, 16, v97
	s_delay_alu instid0(VALU_DEP_1) | instskip(NEXT) | instid1(VALU_DEP_1)
	v_mul_f32_e32 v99, v66, v97
	v_and_b32_e32 v97, 0x7f800000, v99
	s_delay_alu instid0(VALU_DEP_1) | instskip(NEXT) | instid1(VALU_DEP_1)
	v_cmp_ne_u32_e64 s0, 0x7f800000, v97
                                        ; implicit-def: $vgpr97
	s_and_saveexec_b32 s12, s0
	s_delay_alu instid0(SALU_CYCLE_1)
	s_xor_b32 s0, exec_lo, s12
; %bb.882:                              ;   in Loop: Header=BB384_616 Depth=1
	v_bfe_u32 v97, v99, 16, 1
	s_delay_alu instid0(VALU_DEP_1)
	v_add3_u32 v97, v99, v97, 0x7fff
                                        ; implicit-def: $vgpr99
; %bb.883:                              ;   in Loop: Header=BB384_616 Depth=1
	s_and_not1_saveexec_b32 s12, s0
; %bb.884:                              ;   in Loop: Header=BB384_616 Depth=1
	v_and_b32_e32 v97, 0xffff, v99
	v_or_b32_e32 v100, 0x10000, v99
	s_delay_alu instid0(VALU_DEP_2) | instskip(NEXT) | instid1(VALU_DEP_1)
	v_cmp_eq_u32_e64 s0, 0, v97
	v_cndmask_b32_e64 v97, v100, v99, s0
; %bb.885:                              ;   in Loop: Header=BB384_616 Depth=1
	s_or_b32 exec_lo, exec_lo, s12
	v_lshlrev_b32_e32 v98, 16, v98
	s_delay_alu instid0(VALU_DEP_1) | instskip(NEXT) | instid1(VALU_DEP_1)
	v_mul_f32_e32 v99, v67, v98
	v_and_b32_e32 v98, 0x7f800000, v99
	s_delay_alu instid0(VALU_DEP_1) | instskip(NEXT) | instid1(VALU_DEP_1)
	v_cmp_ne_u32_e64 s0, 0x7f800000, v98
                                        ; implicit-def: $vgpr98
	s_and_saveexec_b32 s12, s0
	s_delay_alu instid0(SALU_CYCLE_1)
	s_xor_b32 s0, exec_lo, s12
; %bb.886:                              ;   in Loop: Header=BB384_616 Depth=1
	v_bfe_u32 v98, v99, 16, 1
	s_delay_alu instid0(VALU_DEP_1)
	v_add3_u32 v98, v99, v98, 0x7fff
                                        ; implicit-def: $vgpr99
; %bb.887:                              ;   in Loop: Header=BB384_616 Depth=1
	s_and_not1_saveexec_b32 s12, s0
; %bb.888:                              ;   in Loop: Header=BB384_616 Depth=1
	v_and_b32_e32 v98, 0xffff, v99
	v_or_b32_e32 v100, 0x10000, v99
	s_delay_alu instid0(VALU_DEP_2) | instskip(NEXT) | instid1(VALU_DEP_1)
	v_cmp_eq_u32_e64 s0, 0, v98
	v_cndmask_b32_e64 v98, v100, v99, s0
; %bb.889:                              ;   in Loop: Header=BB384_616 Depth=1
	s_or_b32 exec_lo, exec_lo, s12
	v_lshlrev_b32_e32 v10, 16, v10
	s_delay_alu instid0(VALU_DEP_1) | instskip(NEXT) | instid1(VALU_DEP_1)
	v_mul_f32_e32 v10, v68, v10
	v_and_b32_e32 v99, 0x7f800000, v10
	s_delay_alu instid0(VALU_DEP_1) | instskip(NEXT) | instid1(VALU_DEP_1)
	v_cmp_ne_u32_e64 s0, 0x7f800000, v99
                                        ; implicit-def: $vgpr99
	s_and_saveexec_b32 s12, s0
	s_delay_alu instid0(SALU_CYCLE_1)
	s_xor_b32 s0, exec_lo, s12
; %bb.890:                              ;   in Loop: Header=BB384_616 Depth=1
	v_bfe_u32 v99, v10, 16, 1
	s_delay_alu instid0(VALU_DEP_1)
	v_add3_u32 v99, v10, v99, 0x7fff
                                        ; implicit-def: $vgpr10
; %bb.891:                              ;   in Loop: Header=BB384_616 Depth=1
	s_and_not1_saveexec_b32 s12, s0
; %bb.892:                              ;   in Loop: Header=BB384_616 Depth=1
	v_and_b32_e32 v99, 0xffff, v10
	v_or_b32_e32 v100, 0x10000, v10
	s_delay_alu instid0(VALU_DEP_2) | instskip(NEXT) | instid1(VALU_DEP_1)
	v_cmp_eq_u32_e64 s0, 0, v99
	v_cndmask_b32_e64 v99, v100, v10, s0
; %bb.893:                              ;   in Loop: Header=BB384_616 Depth=1
	s_or_b32 exec_lo, exec_lo, s12
	v_lshlrev_b32_e32 v8, 16, v8
                                        ; implicit-def: $vgpr100
	s_delay_alu instid0(VALU_DEP_1) | instskip(NEXT) | instid1(VALU_DEP_1)
	v_mul_f32_e32 v8, v69, v8
	v_and_b32_e32 v10, 0x7f800000, v8
	s_delay_alu instid0(VALU_DEP_1) | instskip(NEXT) | instid1(VALU_DEP_1)
	v_cmp_ne_u32_e64 s0, 0x7f800000, v10
	s_and_saveexec_b32 s12, s0
	s_delay_alu instid0(SALU_CYCLE_1)
	s_xor_b32 s0, exec_lo, s12
; %bb.894:                              ;   in Loop: Header=BB384_616 Depth=1
	v_bfe_u32 v10, v8, 16, 1
	s_delay_alu instid0(VALU_DEP_1)
	v_add3_u32 v100, v8, v10, 0x7fff
                                        ; implicit-def: $vgpr8
; %bb.895:                              ;   in Loop: Header=BB384_616 Depth=1
	s_and_not1_saveexec_b32 s12, s0
; %bb.896:                              ;   in Loop: Header=BB384_616 Depth=1
	v_and_b32_e32 v10, 0xffff, v8
	v_or_b32_e32 v100, 0x10000, v8
	s_delay_alu instid0(VALU_DEP_2) | instskip(NEXT) | instid1(VALU_DEP_1)
	v_cmp_eq_u32_e64 s0, 0, v10
	v_cndmask_b32_e64 v100, v100, v8, s0
; %bb.897:                              ;   in Loop: Header=BB384_616 Depth=1
	s_or_b32 exec_lo, exec_lo, s12
	v_lshlrev_b32_e32 v7, 16, v7
                                        ; implicit-def: $vgpr101
	s_delay_alu instid0(VALU_DEP_1) | instskip(NEXT) | instid1(VALU_DEP_1)
	v_mul_f32_e32 v7, v70, v7
	v_and_b32_e32 v8, 0x7f800000, v7
	s_delay_alu instid0(VALU_DEP_1) | instskip(NEXT) | instid1(VALU_DEP_1)
	v_cmp_ne_u32_e64 s0, 0x7f800000, v8
	s_and_saveexec_b32 s12, s0
	s_delay_alu instid0(SALU_CYCLE_1)
	s_xor_b32 s0, exec_lo, s12
; %bb.898:                              ;   in Loop: Header=BB384_616 Depth=1
	v_bfe_u32 v8, v7, 16, 1
	s_delay_alu instid0(VALU_DEP_1)
	v_add3_u32 v101, v7, v8, 0x7fff
                                        ; implicit-def: $vgpr7
; %bb.899:                              ;   in Loop: Header=BB384_616 Depth=1
	s_and_not1_saveexec_b32 s12, s0
; %bb.900:                              ;   in Loop: Header=BB384_616 Depth=1
	v_and_b32_e32 v8, 0xffff, v7
	v_or_b32_e32 v10, 0x10000, v7
	s_delay_alu instid0(VALU_DEP_2) | instskip(NEXT) | instid1(VALU_DEP_1)
	v_cmp_eq_u32_e64 s0, 0, v8
	v_cndmask_b32_e64 v101, v10, v7, s0
; %bb.901:                              ;   in Loop: Header=BB384_616 Depth=1
	s_or_b32 exec_lo, exec_lo, s12
	v_lshlrev_b32_e32 v3, 16, v3
                                        ; implicit-def: $vgpr102
	s_delay_alu instid0(VALU_DEP_1) | instskip(NEXT) | instid1(VALU_DEP_1)
	v_mul_f32_e32 v3, v71, v3
	v_and_b32_e32 v7, 0x7f800000, v3
	s_delay_alu instid0(VALU_DEP_1) | instskip(NEXT) | instid1(VALU_DEP_1)
	v_cmp_ne_u32_e64 s0, 0x7f800000, v7
	s_and_saveexec_b32 s12, s0
	s_delay_alu instid0(SALU_CYCLE_1)
	s_xor_b32 s0, exec_lo, s12
; %bb.902:                              ;   in Loop: Header=BB384_616 Depth=1
	v_bfe_u32 v7, v3, 16, 1
	s_delay_alu instid0(VALU_DEP_1)
	v_add3_u32 v102, v3, v7, 0x7fff
                                        ; implicit-def: $vgpr3
; %bb.903:                              ;   in Loop: Header=BB384_616 Depth=1
	s_and_not1_saveexec_b32 s12, s0
; %bb.904:                              ;   in Loop: Header=BB384_616 Depth=1
	v_and_b32_e32 v7, 0xffff, v3
	v_or_b32_e32 v8, 0x10000, v3
	s_delay_alu instid0(VALU_DEP_2) | instskip(NEXT) | instid1(VALU_DEP_1)
	v_cmp_eq_u32_e64 s0, 0, v7
	v_cndmask_b32_e64 v102, v8, v3, s0
; %bb.905:                              ;   in Loop: Header=BB384_616 Depth=1
	s_or_b32 exec_lo, exec_lo, s12
	v_lshlrev_b32_e32 v2, 16, v2
                                        ; implicit-def: $vgpr103
	s_delay_alu instid0(VALU_DEP_1) | instskip(NEXT) | instid1(VALU_DEP_1)
	v_mul_f32_e32 v2, v80, v2
	v_and_b32_e32 v3, 0x7f800000, v2
	s_delay_alu instid0(VALU_DEP_1) | instskip(NEXT) | instid1(VALU_DEP_1)
	v_cmp_ne_u32_e64 s0, 0x7f800000, v3
	s_and_saveexec_b32 s12, s0
	s_delay_alu instid0(SALU_CYCLE_1)
	s_xor_b32 s0, exec_lo, s12
; %bb.906:                              ;   in Loop: Header=BB384_616 Depth=1
	v_bfe_u32 v3, v2, 16, 1
	s_delay_alu instid0(VALU_DEP_1)
	v_add3_u32 v103, v2, v3, 0x7fff
                                        ; implicit-def: $vgpr2
; %bb.907:                              ;   in Loop: Header=BB384_616 Depth=1
	s_and_not1_saveexec_b32 s12, s0
; %bb.908:                              ;   in Loop: Header=BB384_616 Depth=1
	v_and_b32_e32 v3, 0xffff, v2
	v_or_b32_e32 v7, 0x10000, v2
	s_delay_alu instid0(VALU_DEP_2) | instskip(NEXT) | instid1(VALU_DEP_1)
	v_cmp_eq_u32_e64 s0, 0, v3
	v_cndmask_b32_e64 v103, v7, v2, s0
; %bb.909:                              ;   in Loop: Header=BB384_616 Depth=1
	s_or_b32 exec_lo, exec_lo, s12
	flat_load_b64 v[2:3], v[0:1] offset:512
	s_mov_b32 s12, exec_lo
	s_waitcnt vmcnt(0) lgkmcnt(0)
	v_dual_mov_b32 v7, 0 :: v_dual_and_b32 v8, 0xff, v2
	s_delay_alu instid0(VALU_DEP_1)
	v_cmpx_ne_u16_e32 0, v8
	s_cbranch_execz .LBB384_917
; %bb.910:                              ;   in Loop: Header=BB384_616 Depth=1
	v_bfrev_b32_e32 v7, 1
	s_mov_b32 s13, exec_lo
	v_cmpx_ne_u16_e32 0x80, v8
	s_cbranch_execz .LBB384_916
; %bb.911:                              ;   in Loop: Header=BB384_616 Depth=1
	v_and_b32_e32 v8, 0x7f, v2
	v_mov_b32_e32 v7, 0x7f800001
	s_mov_b32 s15, exec_lo
	s_delay_alu instid0(VALU_DEP_2)
	v_cmpx_ne_u32_e32 0x7f, v8
	s_cbranch_execz .LBB384_915
; %bb.912:                              ;   in Loop: Header=BB384_616 Depth=1
	v_lshrrev_b32_e32 v10, 3, v8
	v_cmp_gt_u32_e64 s0, 8, v8
	v_dual_mov_b32 v8, v3 :: v_dual_mov_b32 v7, v2
	s_delay_alu instid0(VALU_DEP_2)
	s_and_saveexec_b32 s16, s0
; %bb.913:                              ;   in Loop: Header=BB384_616 Depth=1
	v_and_b32_e32 v7, 7, v2
	s_delay_alu instid0(VALU_DEP_1) | instskip(NEXT) | instid1(VALU_DEP_1)
	v_clz_i32_u32_e32 v7, v7
	v_min_u32_e32 v10, 32, v7
	s_delay_alu instid0(VALU_DEP_1) | instskip(SKIP_1) | instid1(VALU_DEP_2)
	v_subrev_nc_u32_e32 v7, 28, v10
	v_sub_nc_u32_e32 v10, 29, v10
	v_lshlrev_b64 v[7:8], v7, v[2:3]
; %bb.914:                              ;   in Loop: Header=BB384_616 Depth=1
	s_or_b32 exec_lo, exec_lo, s16
	s_delay_alu instid0(VALU_DEP_1) | instskip(SKIP_2) | instid1(VALU_DEP_3)
	v_lshlrev_b32_e32 v7, 20, v7
	v_lshlrev_b32_e32 v8, 24, v2
	v_lshl_add_u32 v10, v10, 23, 0x3c000000
	v_and_b32_e32 v7, 0x700000, v7
	s_delay_alu instid0(VALU_DEP_3) | instskip(NEXT) | instid1(VALU_DEP_1)
	v_and_b32_e32 v8, 0x80000000, v8
	v_or3_b32 v7, v7, v8, v10
.LBB384_915:                            ;   in Loop: Header=BB384_616 Depth=1
	s_or_b32 exec_lo, exec_lo, s15
.LBB384_916:                            ;   in Loop: Header=BB384_616 Depth=1
	s_delay_alu instid0(SALU_CYCLE_1)
	s_or_b32 exec_lo, exec_lo, s13
.LBB384_917:                            ;   in Loop: Header=BB384_616 Depth=1
	s_delay_alu instid0(SALU_CYCLE_1) | instskip(NEXT) | instid1(VALU_DEP_1)
	s_or_b32 exec_lo, exec_lo, s12
	v_mul_f32_e32 v7, v9, v7
                                        ; implicit-def: $vgpr112
	s_delay_alu instid0(VALU_DEP_1) | instskip(NEXT) | instid1(VALU_DEP_1)
	v_and_b32_e32 v8, 0x7f800000, v7
	v_cmp_ne_u32_e64 s0, 0x7f800000, v8
	s_delay_alu instid0(VALU_DEP_1) | instskip(NEXT) | instid1(SALU_CYCLE_1)
	s_and_saveexec_b32 s12, s0
	s_xor_b32 s0, exec_lo, s12
; %bb.918:                              ;   in Loop: Header=BB384_616 Depth=1
	v_bfe_u32 v8, v7, 16, 1
	s_delay_alu instid0(VALU_DEP_1)
	v_add3_u32 v112, v7, v8, 0x7fff
                                        ; implicit-def: $vgpr7
; %bb.919:                              ;   in Loop: Header=BB384_616 Depth=1
	s_and_not1_saveexec_b32 s12, s0
; %bb.920:                              ;   in Loop: Header=BB384_616 Depth=1
	v_and_b32_e32 v8, 0xffff, v7
	v_or_b32_e32 v10, 0x10000, v7
	s_delay_alu instid0(VALU_DEP_2) | instskip(NEXT) | instid1(VALU_DEP_1)
	v_cmp_eq_u32_e64 s0, 0, v8
	v_cndmask_b32_e64 v112, v10, v7, s0
; %bb.921:                              ;   in Loop: Header=BB384_616 Depth=1
	s_or_b32 exec_lo, exec_lo, s12
	v_lshrrev_b16 v8, 8, v2
	v_mov_b32_e32 v7, 0
	s_mov_b32 s12, exec_lo
	s_delay_alu instid0(VALU_DEP_2)
	v_cmpx_ne_u16_e32 0, v8
	s_cbranch_execz .LBB384_929
; %bb.922:                              ;   in Loop: Header=BB384_616 Depth=1
	v_bfrev_b32_e32 v7, 1
	s_mov_b32 s13, exec_lo
	v_cmpx_ne_u16_e32 0x80, v8
	s_cbranch_execz .LBB384_928
; %bb.923:                              ;   in Loop: Header=BB384_616 Depth=1
	v_and_b32_e32 v10, 0xffff, v8
	v_mov_b32_e32 v7, 0x7f800001
	s_mov_b32 s15, exec_lo
	s_delay_alu instid0(VALU_DEP_2) | instskip(NEXT) | instid1(VALU_DEP_1)
	v_and_b32_e32 v8, 0x7f, v10
	v_cmpx_ne_u32_e32 0x7f, v8
	s_cbranch_execz .LBB384_927
; %bb.924:                              ;   in Loop: Header=BB384_616 Depth=1
	v_and_b32_e32 v10, 7, v10
	v_lshrrev_b32_e32 v7, 3, v8
	s_mov_b32 s16, exec_lo
	v_cmpx_gt_u32_e32 8, v8
; %bb.925:                              ;   in Loop: Header=BB384_616 Depth=1
	s_delay_alu instid0(VALU_DEP_3) | instskip(NEXT) | instid1(VALU_DEP_1)
	v_clz_i32_u32_e32 v7, v10
	v_min_u32_e32 v7, 32, v7
	s_delay_alu instid0(VALU_DEP_1) | instskip(SKIP_1) | instid1(VALU_DEP_2)
	v_subrev_nc_u32_e32 v8, 28, v7
	v_sub_nc_u32_e32 v7, 29, v7
	v_lshlrev_b64 v[113:114], v8, v[10:11]
	s_delay_alu instid0(VALU_DEP_1)
	v_and_b32_e32 v10, 7, v113
; %bb.926:                              ;   in Loop: Header=BB384_616 Depth=1
	s_or_b32 exec_lo, exec_lo, s16
	v_lshlrev_b32_e32 v8, 16, v2
	s_delay_alu instid0(VALU_DEP_2) | instskip(SKIP_1) | instid1(VALU_DEP_3)
	v_lshlrev_b32_e32 v10, 20, v10
	v_lshl_add_u32 v7, v7, 23, 0x3c000000
	v_and_b32_e32 v8, 0x80000000, v8
	s_delay_alu instid0(VALU_DEP_1)
	v_or3_b32 v7, v10, v8, v7
.LBB384_927:                            ;   in Loop: Header=BB384_616 Depth=1
	s_or_b32 exec_lo, exec_lo, s15
.LBB384_928:                            ;   in Loop: Header=BB384_616 Depth=1
	s_delay_alu instid0(SALU_CYCLE_1)
	s_or_b32 exec_lo, exec_lo, s13
.LBB384_929:                            ;   in Loop: Header=BB384_616 Depth=1
	s_delay_alu instid0(SALU_CYCLE_1) | instskip(NEXT) | instid1(VALU_DEP_1)
	s_or_b32 exec_lo, exec_lo, s12
	v_mul_f32_e32 v7, v9, v7
                                        ; implicit-def: $vgpr113
	s_delay_alu instid0(VALU_DEP_1) | instskip(NEXT) | instid1(VALU_DEP_1)
	v_and_b32_e32 v8, 0x7f800000, v7
	v_cmp_ne_u32_e64 s0, 0x7f800000, v8
	s_delay_alu instid0(VALU_DEP_1) | instskip(NEXT) | instid1(SALU_CYCLE_1)
	s_and_saveexec_b32 s12, s0
	s_xor_b32 s0, exec_lo, s12
; %bb.930:                              ;   in Loop: Header=BB384_616 Depth=1
	v_bfe_u32 v8, v7, 16, 1
	s_delay_alu instid0(VALU_DEP_1)
	v_add3_u32 v113, v7, v8, 0x7fff
                                        ; implicit-def: $vgpr7
; %bb.931:                              ;   in Loop: Header=BB384_616 Depth=1
	s_and_not1_saveexec_b32 s12, s0
; %bb.932:                              ;   in Loop: Header=BB384_616 Depth=1
	v_and_b32_e32 v8, 0xffff, v7
	v_or_b32_e32 v10, 0x10000, v7
	s_delay_alu instid0(VALU_DEP_2) | instskip(NEXT) | instid1(VALU_DEP_1)
	v_cmp_eq_u32_e64 s0, 0, v8
	v_cndmask_b32_e64 v113, v10, v7, s0
; %bb.933:                              ;   in Loop: Header=BB384_616 Depth=1
	s_or_b32 exec_lo, exec_lo, s12
	v_lshrrev_b32_e32 v7, 16, v2
	v_mov_b32_e32 v8, 0
	s_mov_b32 s12, exec_lo
	s_delay_alu instid0(VALU_DEP_2) | instskip(NEXT) | instid1(VALU_DEP_1)
	v_and_b32_e32 v10, 0xff, v7
	v_cmpx_ne_u16_e32 0, v10
	s_cbranch_execz .LBB384_941
; %bb.934:                              ;   in Loop: Header=BB384_616 Depth=1
	v_bfrev_b32_e32 v8, 1
	s_mov_b32 s13, exec_lo
	v_cmpx_ne_u16_e32 0x80, v10
	s_cbranch_execz .LBB384_940
; %bb.935:                              ;   in Loop: Header=BB384_616 Depth=1
	v_bfe_u32 v114, v2, 16, 7
	v_mov_b32_e32 v8, 0x7f800001
	s_mov_b32 s15, exec_lo
	s_delay_alu instid0(VALU_DEP_2)
	v_cmpx_ne_u32_e32 0x7f, v114
	s_cbranch_execz .LBB384_939
; %bb.936:                              ;   in Loop: Header=BB384_616 Depth=1
	v_and_b32_e32 v10, 7, v7
	v_lshrrev_b32_e32 v8, 3, v114
	s_mov_b32 s16, exec_lo
	v_cmpx_gt_u32_e32 8, v114
; %bb.937:                              ;   in Loop: Header=BB384_616 Depth=1
	s_delay_alu instid0(VALU_DEP_3) | instskip(NEXT) | instid1(VALU_DEP_1)
	v_clz_i32_u32_e32 v8, v10
	v_min_u32_e32 v8, 32, v8
	s_delay_alu instid0(VALU_DEP_1) | instskip(SKIP_1) | instid1(VALU_DEP_2)
	v_subrev_nc_u32_e32 v114, 28, v8
	v_sub_nc_u32_e32 v8, 29, v8
	v_lshlrev_b64 v[114:115], v114, v[10:11]
	s_delay_alu instid0(VALU_DEP_1)
	v_and_b32_e32 v10, 7, v114
; %bb.938:                              ;   in Loop: Header=BB384_616 Depth=1
	s_or_b32 exec_lo, exec_lo, s16
	v_lshlrev_b32_e32 v7, 24, v7
	s_delay_alu instid0(VALU_DEP_2) | instskip(SKIP_1) | instid1(VALU_DEP_3)
	v_lshlrev_b32_e32 v10, 20, v10
	v_lshl_add_u32 v8, v8, 23, 0x3c000000
	v_and_b32_e32 v7, 0x80000000, v7
	s_delay_alu instid0(VALU_DEP_1)
	v_or3_b32 v8, v10, v7, v8
.LBB384_939:                            ;   in Loop: Header=BB384_616 Depth=1
	s_or_b32 exec_lo, exec_lo, s15
.LBB384_940:                            ;   in Loop: Header=BB384_616 Depth=1
	s_delay_alu instid0(SALU_CYCLE_1)
	s_or_b32 exec_lo, exec_lo, s13
.LBB384_941:                            ;   in Loop: Header=BB384_616 Depth=1
	s_delay_alu instid0(SALU_CYCLE_1) | instskip(NEXT) | instid1(VALU_DEP_1)
	s_or_b32 exec_lo, exec_lo, s12
	v_mul_f32_e32 v7, v9, v8
                                        ; implicit-def: $vgpr114
	s_delay_alu instid0(VALU_DEP_1) | instskip(NEXT) | instid1(VALU_DEP_1)
	v_and_b32_e32 v8, 0x7f800000, v7
	v_cmp_ne_u32_e64 s0, 0x7f800000, v8
	s_delay_alu instid0(VALU_DEP_1) | instskip(NEXT) | instid1(SALU_CYCLE_1)
	s_and_saveexec_b32 s12, s0
	s_xor_b32 s0, exec_lo, s12
; %bb.942:                              ;   in Loop: Header=BB384_616 Depth=1
	v_bfe_u32 v8, v7, 16, 1
	s_delay_alu instid0(VALU_DEP_1)
	v_add3_u32 v114, v7, v8, 0x7fff
                                        ; implicit-def: $vgpr7
; %bb.943:                              ;   in Loop: Header=BB384_616 Depth=1
	s_and_not1_saveexec_b32 s12, s0
; %bb.944:                              ;   in Loop: Header=BB384_616 Depth=1
	v_and_b32_e32 v8, 0xffff, v7
	v_or_b32_e32 v10, 0x10000, v7
	s_delay_alu instid0(VALU_DEP_2) | instskip(NEXT) | instid1(VALU_DEP_1)
	v_cmp_eq_u32_e64 s0, 0, v8
	v_cndmask_b32_e64 v114, v10, v7, s0
; %bb.945:                              ;   in Loop: Header=BB384_616 Depth=1
	s_or_b32 exec_lo, exec_lo, s12
	v_mov_b32_e32 v8, 0
	s_mov_b32 s12, exec_lo
	v_cmpx_lt_u32_e32 0xffffff, v2
	s_cbranch_execz .LBB384_953
; %bb.946:                              ;   in Loop: Header=BB384_616 Depth=1
	v_lshrrev_b32_e32 v7, 24, v2
	v_bfrev_b32_e32 v8, 1
	s_mov_b32 s13, exec_lo
	s_delay_alu instid0(VALU_DEP_2)
	v_cmpx_ne_u32_e32 0x80, v7
	s_cbranch_execz .LBB384_952
; %bb.947:                              ;   in Loop: Header=BB384_616 Depth=1
	v_bfe_u32 v115, v2, 24, 7
	v_mov_b32_e32 v8, 0x7f800001
	s_mov_b32 s15, exec_lo
	s_delay_alu instid0(VALU_DEP_2)
	v_cmpx_ne_u32_e32 0x7f, v115
	s_cbranch_execz .LBB384_951
; %bb.948:                              ;   in Loop: Header=BB384_616 Depth=1
	v_and_b32_e32 v10, 7, v7
	v_lshrrev_b32_e32 v8, 3, v115
	s_mov_b32 s16, exec_lo
	v_cmpx_gt_u32_e32 8, v115
; %bb.949:                              ;   in Loop: Header=BB384_616 Depth=1
	s_delay_alu instid0(VALU_DEP_3) | instskip(NEXT) | instid1(VALU_DEP_1)
	v_clz_i32_u32_e32 v8, v10
	v_min_u32_e32 v8, 32, v8
	s_delay_alu instid0(VALU_DEP_1) | instskip(SKIP_1) | instid1(VALU_DEP_2)
	v_subrev_nc_u32_e32 v115, 28, v8
	v_sub_nc_u32_e32 v8, 29, v8
	v_lshlrev_b64 v[115:116], v115, v[10:11]
	s_delay_alu instid0(VALU_DEP_1)
	v_and_b32_e32 v10, 7, v115
; %bb.950:                              ;   in Loop: Header=BB384_616 Depth=1
	s_or_b32 exec_lo, exec_lo, s16
	v_lshlrev_b32_e32 v7, 24, v7
	s_delay_alu instid0(VALU_DEP_2) | instskip(SKIP_1) | instid1(VALU_DEP_3)
	v_lshlrev_b32_e32 v10, 20, v10
	v_lshl_add_u32 v8, v8, 23, 0x3c000000
	v_and_b32_e32 v7, 0x80000000, v7
	s_delay_alu instid0(VALU_DEP_1)
	v_or3_b32 v8, v10, v7, v8
.LBB384_951:                            ;   in Loop: Header=BB384_616 Depth=1
	s_or_b32 exec_lo, exec_lo, s15
.LBB384_952:                            ;   in Loop: Header=BB384_616 Depth=1
	s_delay_alu instid0(SALU_CYCLE_1)
	s_or_b32 exec_lo, exec_lo, s13
.LBB384_953:                            ;   in Loop: Header=BB384_616 Depth=1
	s_delay_alu instid0(SALU_CYCLE_1) | instskip(NEXT) | instid1(VALU_DEP_1)
	s_or_b32 exec_lo, exec_lo, s12
	v_mul_f32_e32 v7, v9, v8
                                        ; implicit-def: $vgpr115
	s_delay_alu instid0(VALU_DEP_1) | instskip(NEXT) | instid1(VALU_DEP_1)
	v_and_b32_e32 v8, 0x7f800000, v7
	v_cmp_ne_u32_e64 s0, 0x7f800000, v8
	s_delay_alu instid0(VALU_DEP_1) | instskip(NEXT) | instid1(SALU_CYCLE_1)
	s_and_saveexec_b32 s12, s0
	s_xor_b32 s0, exec_lo, s12
; %bb.954:                              ;   in Loop: Header=BB384_616 Depth=1
	v_bfe_u32 v8, v7, 16, 1
	s_delay_alu instid0(VALU_DEP_1)
	v_add3_u32 v115, v7, v8, 0x7fff
                                        ; implicit-def: $vgpr7
; %bb.955:                              ;   in Loop: Header=BB384_616 Depth=1
	s_and_not1_saveexec_b32 s12, s0
; %bb.956:                              ;   in Loop: Header=BB384_616 Depth=1
	v_and_b32_e32 v8, 0xffff, v7
	v_or_b32_e32 v10, 0x10000, v7
	s_delay_alu instid0(VALU_DEP_2) | instskip(NEXT) | instid1(VALU_DEP_1)
	v_cmp_eq_u32_e64 s0, 0, v8
	v_cndmask_b32_e64 v115, v10, v7, s0
; %bb.957:                              ;   in Loop: Header=BB384_616 Depth=1
	s_or_b32 exec_lo, exec_lo, s12
	v_dual_mov_b32 v7, 0 :: v_dual_and_b32 v8, 0xff, v3
	v_mov_b32_e32 v10, v3
	s_mov_b32 s12, exec_lo
	s_delay_alu instid0(VALU_DEP_2)
	v_cmpx_ne_u16_e32 0, v8
	s_cbranch_execz .LBB384_965
; %bb.958:                              ;   in Loop: Header=BB384_616 Depth=1
	v_bfrev_b32_e32 v7, 1
	s_mov_b32 s13, exec_lo
	v_cmpx_ne_u16_e32 0x80, v8
	s_cbranch_execz .LBB384_964
; %bb.959:                              ;   in Loop: Header=BB384_616 Depth=1
	v_and_b32_e32 v8, 0x7f, v3
	v_mov_b32_e32 v7, 0x7f800001
	s_mov_b32 s15, exec_lo
	s_delay_alu instid0(VALU_DEP_2)
	v_cmpx_ne_u32_e32 0x7f, v8
	s_cbranch_execz .LBB384_963
; %bb.960:                              ;   in Loop: Header=BB384_616 Depth=1
	v_lshrrev_b32_e32 v116, 3, v8
	v_cmp_gt_u32_e64 s0, 8, v8
	v_dual_mov_b32 v7, v10 :: v_dual_mov_b32 v8, v11
	s_delay_alu instid0(VALU_DEP_2)
	s_and_saveexec_b32 s16, s0
; %bb.961:                              ;   in Loop: Header=BB384_616 Depth=1
	v_and_b32_e32 v7, 7, v3
	s_delay_alu instid0(VALU_DEP_1) | instskip(NEXT) | instid1(VALU_DEP_1)
	v_clz_i32_u32_e32 v7, v7
	v_min_u32_e32 v116, 32, v7
	s_delay_alu instid0(VALU_DEP_1) | instskip(SKIP_1) | instid1(VALU_DEP_2)
	v_subrev_nc_u32_e32 v7, 28, v116
	v_sub_nc_u32_e32 v116, 29, v116
	v_lshlrev_b64 v[7:8], v7, v[10:11]
; %bb.962:                              ;   in Loop: Header=BB384_616 Depth=1
	s_or_b32 exec_lo, exec_lo, s16
	s_delay_alu instid0(VALU_DEP_1) | instskip(SKIP_2) | instid1(VALU_DEP_3)
	v_lshlrev_b32_e32 v7, 20, v7
	v_lshlrev_b32_e32 v8, 24, v10
	v_lshl_add_u32 v116, v116, 23, 0x3c000000
	v_and_b32_e32 v7, 0x700000, v7
	s_delay_alu instid0(VALU_DEP_3) | instskip(NEXT) | instid1(VALU_DEP_1)
	v_and_b32_e32 v8, 0x80000000, v8
	v_or3_b32 v7, v7, v8, v116
.LBB384_963:                            ;   in Loop: Header=BB384_616 Depth=1
	s_or_b32 exec_lo, exec_lo, s15
.LBB384_964:                            ;   in Loop: Header=BB384_616 Depth=1
	s_delay_alu instid0(SALU_CYCLE_1)
	s_or_b32 exec_lo, exec_lo, s13
.LBB384_965:                            ;   in Loop: Header=BB384_616 Depth=1
	s_delay_alu instid0(SALU_CYCLE_1) | instskip(NEXT) | instid1(VALU_DEP_1)
	s_or_b32 exec_lo, exec_lo, s12
	v_mul_f32_e32 v7, v9, v7
                                        ; implicit-def: $vgpr116
	s_delay_alu instid0(VALU_DEP_1) | instskip(NEXT) | instid1(VALU_DEP_1)
	v_and_b32_e32 v8, 0x7f800000, v7
	v_cmp_ne_u32_e64 s0, 0x7f800000, v8
	s_delay_alu instid0(VALU_DEP_1) | instskip(NEXT) | instid1(SALU_CYCLE_1)
	s_and_saveexec_b32 s12, s0
	s_xor_b32 s0, exec_lo, s12
; %bb.966:                              ;   in Loop: Header=BB384_616 Depth=1
	v_bfe_u32 v8, v7, 16, 1
	s_delay_alu instid0(VALU_DEP_1)
	v_add3_u32 v116, v7, v8, 0x7fff
                                        ; implicit-def: $vgpr7
; %bb.967:                              ;   in Loop: Header=BB384_616 Depth=1
	s_and_not1_saveexec_b32 s12, s0
; %bb.968:                              ;   in Loop: Header=BB384_616 Depth=1
	v_and_b32_e32 v8, 0xffff, v7
	v_or_b32_e32 v116, 0x10000, v7
	s_delay_alu instid0(VALU_DEP_2) | instskip(NEXT) | instid1(VALU_DEP_1)
	v_cmp_eq_u32_e64 s0, 0, v8
	v_cndmask_b32_e64 v116, v116, v7, s0
; %bb.969:                              ;   in Loop: Header=BB384_616 Depth=1
	s_or_b32 exec_lo, exec_lo, s12
	v_lshrrev_b16 v8, 8, v10
	v_mov_b32_e32 v7, 0
	s_mov_b32 s12, exec_lo
	s_delay_alu instid0(VALU_DEP_2)
	v_cmpx_ne_u16_e32 0, v8
	s_cbranch_execz .LBB384_977
; %bb.970:                              ;   in Loop: Header=BB384_616 Depth=1
	v_bfrev_b32_e32 v7, 1
	s_mov_b32 s13, exec_lo
	v_cmpx_ne_u16_e32 0x80, v8
	s_cbranch_execz .LBB384_976
; %bb.971:                              ;   in Loop: Header=BB384_616 Depth=1
	v_and_b32_e32 v8, 0xffff, v8
	v_mov_b32_e32 v7, 0x7f800001
	s_mov_b32 s15, exec_lo
	s_delay_alu instid0(VALU_DEP_2) | instskip(NEXT) | instid1(VALU_DEP_1)
	v_and_b32_e32 v118, 0x7f, v8
	v_cmpx_ne_u32_e32 0x7f, v118
	s_cbranch_execz .LBB384_975
; %bb.972:                              ;   in Loop: Header=BB384_616 Depth=1
	v_dual_mov_b32 v8, v11 :: v_dual_and_b32 v7, 7, v8
	v_lshrrev_b32_e32 v117, 3, v118
	s_mov_b32 s16, exec_lo
	v_cmpx_gt_u32_e32 8, v118
; %bb.973:                              ;   in Loop: Header=BB384_616 Depth=1
	s_delay_alu instid0(VALU_DEP_3) | instskip(NEXT) | instid1(VALU_DEP_1)
	v_clz_i32_u32_e32 v117, v7
	v_min_u32_e32 v117, 32, v117
	s_delay_alu instid0(VALU_DEP_1) | instskip(SKIP_1) | instid1(VALU_DEP_2)
	v_subrev_nc_u32_e32 v118, 28, v117
	v_sub_nc_u32_e32 v117, 29, v117
	v_lshlrev_b64 v[7:8], v118, v[7:8]
	s_delay_alu instid0(VALU_DEP_1)
	v_and_b32_e32 v7, 7, v7
; %bb.974:                              ;   in Loop: Header=BB384_616 Depth=1
	s_or_b32 exec_lo, exec_lo, s16
	v_lshlrev_b32_e32 v8, 16, v10
	s_delay_alu instid0(VALU_DEP_2) | instskip(SKIP_1) | instid1(VALU_DEP_3)
	v_lshlrev_b32_e32 v7, 20, v7
	v_lshl_add_u32 v10, v117, 23, 0x3c000000
	v_and_b32_e32 v8, 0x80000000, v8
	s_delay_alu instid0(VALU_DEP_1)
	v_or3_b32 v7, v7, v8, v10
.LBB384_975:                            ;   in Loop: Header=BB384_616 Depth=1
	s_or_b32 exec_lo, exec_lo, s15
.LBB384_976:                            ;   in Loop: Header=BB384_616 Depth=1
	s_delay_alu instid0(SALU_CYCLE_1)
	s_or_b32 exec_lo, exec_lo, s13
.LBB384_977:                            ;   in Loop: Header=BB384_616 Depth=1
	s_delay_alu instid0(SALU_CYCLE_1) | instskip(NEXT) | instid1(VALU_DEP_1)
	s_or_b32 exec_lo, exec_lo, s12
	v_mul_f32_e32 v8, v9, v7
	s_delay_alu instid0(VALU_DEP_1) | instskip(NEXT) | instid1(VALU_DEP_1)
	v_and_b32_e32 v7, 0x7f800000, v8
	v_cmp_ne_u32_e64 s0, 0x7f800000, v7
                                        ; implicit-def: $vgpr7
	s_delay_alu instid0(VALU_DEP_1) | instskip(NEXT) | instid1(SALU_CYCLE_1)
	s_and_saveexec_b32 s12, s0
	s_xor_b32 s0, exec_lo, s12
; %bb.978:                              ;   in Loop: Header=BB384_616 Depth=1
	v_bfe_u32 v7, v8, 16, 1
	s_delay_alu instid0(VALU_DEP_1)
	v_add3_u32 v7, v8, v7, 0x7fff
                                        ; implicit-def: $vgpr8
; %bb.979:                              ;   in Loop: Header=BB384_616 Depth=1
	s_and_not1_saveexec_b32 s12, s0
; %bb.980:                              ;   in Loop: Header=BB384_616 Depth=1
	v_and_b32_e32 v7, 0xffff, v8
	v_or_b32_e32 v10, 0x10000, v8
	s_delay_alu instid0(VALU_DEP_2) | instskip(NEXT) | instid1(VALU_DEP_1)
	v_cmp_eq_u32_e64 s0, 0, v7
	v_cndmask_b32_e64 v7, v10, v8, s0
; %bb.981:                              ;   in Loop: Header=BB384_616 Depth=1
	s_or_b32 exec_lo, exec_lo, s12
	v_lshrrev_b32_e32 v8, 16, v3
	s_mov_b32 s12, exec_lo
	s_delay_alu instid0(VALU_DEP_1) | instskip(NEXT) | instid1(VALU_DEP_1)
	v_dual_mov_b32 v10, 0 :: v_dual_and_b32 v117, 0xff, v8
	v_cmpx_ne_u16_e32 0, v117
	s_cbranch_execz .LBB384_989
; %bb.982:                              ;   in Loop: Header=BB384_616 Depth=1
	v_bfrev_b32_e32 v10, 1
	s_mov_b32 s13, exec_lo
	v_cmpx_ne_u16_e32 0x80, v117
	s_cbranch_execz .LBB384_988
; %bb.983:                              ;   in Loop: Header=BB384_616 Depth=1
	v_bfe_u32 v118, v3, 16, 7
	v_mov_b32_e32 v10, 0x7f800001
	s_mov_b32 s15, exec_lo
	s_delay_alu instid0(VALU_DEP_2)
	v_cmpx_ne_u32_e32 0x7f, v118
	s_cbranch_execz .LBB384_987
; %bb.984:                              ;   in Loop: Header=BB384_616 Depth=1
	v_and_b32_e32 v10, 7, v8
	v_lshrrev_b32_e32 v117, 3, v118
	s_mov_b32 s16, exec_lo
	v_cmpx_gt_u32_e32 8, v118
; %bb.985:                              ;   in Loop: Header=BB384_616 Depth=1
	s_delay_alu instid0(VALU_DEP_3) | instskip(NEXT) | instid1(VALU_DEP_1)
	v_clz_i32_u32_e32 v117, v10
	v_min_u32_e32 v117, 32, v117
	s_delay_alu instid0(VALU_DEP_1) | instskip(SKIP_1) | instid1(VALU_DEP_2)
	v_subrev_nc_u32_e32 v118, 28, v117
	v_sub_nc_u32_e32 v117, 29, v117
	v_lshlrev_b64 v[118:119], v118, v[10:11]
	s_delay_alu instid0(VALU_DEP_1)
	v_and_b32_e32 v10, 7, v118
; %bb.986:                              ;   in Loop: Header=BB384_616 Depth=1
	s_or_b32 exec_lo, exec_lo, s16
	v_lshlrev_b32_e32 v8, 24, v8
	s_delay_alu instid0(VALU_DEP_2) | instskip(SKIP_1) | instid1(VALU_DEP_3)
	v_lshlrev_b32_e32 v10, 20, v10
	v_lshl_add_u32 v117, v117, 23, 0x3c000000
	v_and_b32_e32 v8, 0x80000000, v8
	s_delay_alu instid0(VALU_DEP_1)
	v_or3_b32 v10, v10, v8, v117
.LBB384_987:                            ;   in Loop: Header=BB384_616 Depth=1
	s_or_b32 exec_lo, exec_lo, s15
.LBB384_988:                            ;   in Loop: Header=BB384_616 Depth=1
	s_delay_alu instid0(SALU_CYCLE_1)
	s_or_b32 exec_lo, exec_lo, s13
.LBB384_989:                            ;   in Loop: Header=BB384_616 Depth=1
	s_delay_alu instid0(SALU_CYCLE_1) | instskip(NEXT) | instid1(VALU_DEP_1)
	s_or_b32 exec_lo, exec_lo, s12
	v_mul_f32_e32 v8, v9, v10
                                        ; implicit-def: $vgpr117
	s_delay_alu instid0(VALU_DEP_1) | instskip(NEXT) | instid1(VALU_DEP_1)
	v_and_b32_e32 v10, 0x7f800000, v8
	v_cmp_ne_u32_e64 s0, 0x7f800000, v10
	s_delay_alu instid0(VALU_DEP_1) | instskip(NEXT) | instid1(SALU_CYCLE_1)
	s_and_saveexec_b32 s12, s0
	s_xor_b32 s0, exec_lo, s12
; %bb.990:                              ;   in Loop: Header=BB384_616 Depth=1
	v_bfe_u32 v10, v8, 16, 1
	s_delay_alu instid0(VALU_DEP_1)
	v_add3_u32 v117, v8, v10, 0x7fff
                                        ; implicit-def: $vgpr8
; %bb.991:                              ;   in Loop: Header=BB384_616 Depth=1
	s_and_not1_saveexec_b32 s12, s0
; %bb.992:                              ;   in Loop: Header=BB384_616 Depth=1
	v_and_b32_e32 v10, 0xffff, v8
	v_or_b32_e32 v117, 0x10000, v8
	s_delay_alu instid0(VALU_DEP_2) | instskip(NEXT) | instid1(VALU_DEP_1)
	v_cmp_eq_u32_e64 s0, 0, v10
	v_cndmask_b32_e64 v117, v117, v8, s0
; %bb.993:                              ;   in Loop: Header=BB384_616 Depth=1
	s_or_b32 exec_lo, exec_lo, s12
	v_mov_b32_e32 v8, 0
	s_mov_b32 s12, exec_lo
	v_cmpx_lt_u64_e64 s[8:9], v[2:3]
	s_cbranch_execz .LBB384_1001
; %bb.994:                              ;   in Loop: Header=BB384_616 Depth=1
	v_lshrrev_b32_e32 v2, 24, v3
	v_bfrev_b32_e32 v8, 1
	s_mov_b32 s13, exec_lo
	s_delay_alu instid0(VALU_DEP_2)
	v_cmpx_ne_u32_e32 0x80, v2
	s_cbranch_execz .LBB384_1000
; %bb.995:                              ;   in Loop: Header=BB384_616 Depth=1
	v_bfe_u32 v118, v3, 24, 7
	v_mov_b32_e32 v8, 0x7f800001
	s_mov_b32 s15, exec_lo
	s_delay_alu instid0(VALU_DEP_2)
	v_cmpx_ne_u32_e32 0x7f, v118
	s_cbranch_execz .LBB384_999
; %bb.996:                              ;   in Loop: Header=BB384_616 Depth=1
	v_and_b32_e32 v10, 7, v2
	v_lshrrev_b32_e32 v3, 3, v118
	s_mov_b32 s16, exec_lo
	v_cmpx_gt_u32_e32 8, v118
; %bb.997:                              ;   in Loop: Header=BB384_616 Depth=1
	s_delay_alu instid0(VALU_DEP_3) | instskip(NEXT) | instid1(VALU_DEP_1)
	v_clz_i32_u32_e32 v3, v10
	v_min_u32_e32 v3, 32, v3
	s_delay_alu instid0(VALU_DEP_1) | instskip(SKIP_1) | instid1(VALU_DEP_2)
	v_subrev_nc_u32_e32 v8, 28, v3
	v_sub_nc_u32_e32 v3, 29, v3
	v_lshlrev_b64 v[118:119], v8, v[10:11]
	s_delay_alu instid0(VALU_DEP_1)
	v_and_b32_e32 v10, 7, v118
; %bb.998:                              ;   in Loop: Header=BB384_616 Depth=1
	s_or_b32 exec_lo, exec_lo, s16
	v_lshlrev_b32_e32 v2, 24, v2
	s_delay_alu instid0(VALU_DEP_2) | instskip(SKIP_1) | instid1(VALU_DEP_3)
	v_lshlrev_b32_e32 v8, 20, v10
	v_lshl_add_u32 v3, v3, 23, 0x3c000000
	v_and_b32_e32 v2, 0x80000000, v2
	s_delay_alu instid0(VALU_DEP_1)
	v_or3_b32 v8, v8, v2, v3
.LBB384_999:                            ;   in Loop: Header=BB384_616 Depth=1
	s_or_b32 exec_lo, exec_lo, s15
.LBB384_1000:                           ;   in Loop: Header=BB384_616 Depth=1
	s_delay_alu instid0(SALU_CYCLE_1)
	s_or_b32 exec_lo, exec_lo, s13
.LBB384_1001:                           ;   in Loop: Header=BB384_616 Depth=1
	s_delay_alu instid0(SALU_CYCLE_1) | instskip(NEXT) | instid1(VALU_DEP_1)
	s_or_b32 exec_lo, exec_lo, s12
	v_mul_f32_e32 v3, v9, v8
	s_delay_alu instid0(VALU_DEP_1) | instskip(NEXT) | instid1(VALU_DEP_1)
	v_and_b32_e32 v2, 0x7f800000, v3
	v_cmp_ne_u32_e64 s0, 0x7f800000, v2
                                        ; implicit-def: $vgpr2
	s_delay_alu instid0(VALU_DEP_1) | instskip(NEXT) | instid1(SALU_CYCLE_1)
	s_and_saveexec_b32 s12, s0
	s_xor_b32 s0, exec_lo, s12
; %bb.1002:                             ;   in Loop: Header=BB384_616 Depth=1
	v_bfe_u32 v2, v3, 16, 1
	s_delay_alu instid0(VALU_DEP_1)
	v_add3_u32 v2, v3, v2, 0x7fff
                                        ; implicit-def: $vgpr3
; %bb.1003:                             ;   in Loop: Header=BB384_616 Depth=1
	s_and_not1_saveexec_b32 s12, s0
; %bb.1004:                             ;   in Loop: Header=BB384_616 Depth=1
	v_and_b32_e32 v2, 0xffff, v3
	v_or_b32_e32 v8, 0x10000, v3
	s_delay_alu instid0(VALU_DEP_2) | instskip(NEXT) | instid1(VALU_DEP_1)
	v_cmp_eq_u32_e64 s0, 0, v2
	v_cndmask_b32_e64 v2, v8, v3, s0
; %bb.1005:                             ;   in Loop: Header=BB384_616 Depth=1
	s_or_b32 exec_lo, exec_lo, s12
	v_lshrrev_b32_e32 v7, 16, v7
	v_lshrrev_b32_e32 v8, 16, v116
	;; [unrolled: 1-line block ×8, first 2 shown]
	s_and_saveexec_b32 s12, vcc_lo
	s_cbranch_execz .LBB384_1007
; %bb.1006:                             ;   in Loop: Header=BB384_616 Depth=1
	v_cmp_lt_i32_e64 s0, v23, v83
	s_delay_alu instid0(VALU_DEP_1) | instskip(SKIP_1) | instid1(VALU_DEP_1)
	v_cndmask_b32_e64 v112, 0, v112, s0
	v_cmp_lt_i32_e64 s0, v55, v83
	v_cndmask_b32_e64 v113, 0, v113, s0
	v_cmp_lt_i32_e64 s0, v54, v83
	s_delay_alu instid0(VALU_DEP_1) | instskip(SKIP_1) | instid1(VALU_DEP_1)
	v_cndmask_b32_e64 v114, 0, v114, s0
	v_cmp_lt_i32_e64 s0, v53, v83
	v_cndmask_b32_e64 v10, 0, v10, s0
	;; [unrolled: 5-line block ×4, first 2 shown]
.LBB384_1007:                           ;   in Loop: Header=BB384_616 Depth=1
	s_or_b32 exec_lo, exec_lo, s12
	v_lshlrev_b32_e32 v112, 16, v112
	s_delay_alu instid0(VALU_DEP_1) | instskip(NEXT) | instid1(VALU_DEP_1)
	v_mul_f32_e32 v115, v65, v112
	v_and_b32_e32 v112, 0x7f800000, v115
	s_delay_alu instid0(VALU_DEP_1) | instskip(NEXT) | instid1(VALU_DEP_1)
	v_cmp_ne_u32_e64 s0, 0x7f800000, v112
                                        ; implicit-def: $vgpr112
	s_and_saveexec_b32 s12, s0
	s_delay_alu instid0(SALU_CYCLE_1)
	s_xor_b32 s0, exec_lo, s12
; %bb.1008:                             ;   in Loop: Header=BB384_616 Depth=1
	v_bfe_u32 v112, v115, 16, 1
	s_delay_alu instid0(VALU_DEP_1)
	v_add3_u32 v112, v115, v112, 0x7fff
                                        ; implicit-def: $vgpr115
; %bb.1009:                             ;   in Loop: Header=BB384_616 Depth=1
	s_and_not1_saveexec_b32 s12, s0
; %bb.1010:                             ;   in Loop: Header=BB384_616 Depth=1
	v_and_b32_e32 v112, 0xffff, v115
	v_or_b32_e32 v116, 0x10000, v115
	s_delay_alu instid0(VALU_DEP_2) | instskip(NEXT) | instid1(VALU_DEP_1)
	v_cmp_eq_u32_e64 s0, 0, v112
	v_cndmask_b32_e64 v112, v116, v115, s0
; %bb.1011:                             ;   in Loop: Header=BB384_616 Depth=1
	s_or_b32 exec_lo, exec_lo, s12
	v_lshlrev_b32_e32 v113, 16, v113
	s_delay_alu instid0(VALU_DEP_1) | instskip(NEXT) | instid1(VALU_DEP_1)
	v_mul_f32_e32 v115, v66, v113
	v_and_b32_e32 v113, 0x7f800000, v115
	s_delay_alu instid0(VALU_DEP_1) | instskip(NEXT) | instid1(VALU_DEP_1)
	v_cmp_ne_u32_e64 s0, 0x7f800000, v113
                                        ; implicit-def: $vgpr113
	s_and_saveexec_b32 s12, s0
	s_delay_alu instid0(SALU_CYCLE_1)
	s_xor_b32 s0, exec_lo, s12
; %bb.1012:                             ;   in Loop: Header=BB384_616 Depth=1
	v_bfe_u32 v113, v115, 16, 1
	s_delay_alu instid0(VALU_DEP_1)
	v_add3_u32 v113, v115, v113, 0x7fff
                                        ; implicit-def: $vgpr115
; %bb.1013:                             ;   in Loop: Header=BB384_616 Depth=1
	s_and_not1_saveexec_b32 s12, s0
; %bb.1014:                             ;   in Loop: Header=BB384_616 Depth=1
	v_and_b32_e32 v113, 0xffff, v115
	v_or_b32_e32 v116, 0x10000, v115
	s_delay_alu instid0(VALU_DEP_2) | instskip(NEXT) | instid1(VALU_DEP_1)
	v_cmp_eq_u32_e64 s0, 0, v113
	v_cndmask_b32_e64 v113, v116, v115, s0
; %bb.1015:                             ;   in Loop: Header=BB384_616 Depth=1
	s_or_b32 exec_lo, exec_lo, s12
	v_lshlrev_b32_e32 v114, 16, v114
	s_delay_alu instid0(VALU_DEP_1) | instskip(NEXT) | instid1(VALU_DEP_1)
	v_mul_f32_e32 v115, v67, v114
	v_and_b32_e32 v114, 0x7f800000, v115
	s_delay_alu instid0(VALU_DEP_1) | instskip(NEXT) | instid1(VALU_DEP_1)
	v_cmp_ne_u32_e64 s0, 0x7f800000, v114
                                        ; implicit-def: $vgpr114
	s_and_saveexec_b32 s12, s0
	s_delay_alu instid0(SALU_CYCLE_1)
	s_xor_b32 s0, exec_lo, s12
; %bb.1016:                             ;   in Loop: Header=BB384_616 Depth=1
	v_bfe_u32 v114, v115, 16, 1
	s_delay_alu instid0(VALU_DEP_1)
	v_add3_u32 v114, v115, v114, 0x7fff
                                        ; implicit-def: $vgpr115
; %bb.1017:                             ;   in Loop: Header=BB384_616 Depth=1
	s_and_not1_saveexec_b32 s12, s0
; %bb.1018:                             ;   in Loop: Header=BB384_616 Depth=1
	v_and_b32_e32 v114, 0xffff, v115
	v_or_b32_e32 v116, 0x10000, v115
	s_delay_alu instid0(VALU_DEP_2) | instskip(NEXT) | instid1(VALU_DEP_1)
	v_cmp_eq_u32_e64 s0, 0, v114
	v_cndmask_b32_e64 v114, v116, v115, s0
; %bb.1019:                             ;   in Loop: Header=BB384_616 Depth=1
	s_or_b32 exec_lo, exec_lo, s12
	v_lshlrev_b32_e32 v10, 16, v10
	s_delay_alu instid0(VALU_DEP_1) | instskip(NEXT) | instid1(VALU_DEP_1)
	v_mul_f32_e32 v10, v68, v10
	v_and_b32_e32 v115, 0x7f800000, v10
	s_delay_alu instid0(VALU_DEP_1) | instskip(NEXT) | instid1(VALU_DEP_1)
	v_cmp_ne_u32_e64 s0, 0x7f800000, v115
                                        ; implicit-def: $vgpr115
	s_and_saveexec_b32 s12, s0
	s_delay_alu instid0(SALU_CYCLE_1)
	s_xor_b32 s0, exec_lo, s12
; %bb.1020:                             ;   in Loop: Header=BB384_616 Depth=1
	v_bfe_u32 v115, v10, 16, 1
	s_delay_alu instid0(VALU_DEP_1)
	v_add3_u32 v115, v10, v115, 0x7fff
                                        ; implicit-def: $vgpr10
; %bb.1021:                             ;   in Loop: Header=BB384_616 Depth=1
	s_and_not1_saveexec_b32 s12, s0
; %bb.1022:                             ;   in Loop: Header=BB384_616 Depth=1
	v_and_b32_e32 v115, 0xffff, v10
	v_or_b32_e32 v116, 0x10000, v10
	s_delay_alu instid0(VALU_DEP_2) | instskip(NEXT) | instid1(VALU_DEP_1)
	v_cmp_eq_u32_e64 s0, 0, v115
	v_cndmask_b32_e64 v115, v116, v10, s0
; %bb.1023:                             ;   in Loop: Header=BB384_616 Depth=1
	s_or_b32 exec_lo, exec_lo, s12
	v_lshlrev_b32_e32 v8, 16, v8
                                        ; implicit-def: $vgpr116
	s_delay_alu instid0(VALU_DEP_1) | instskip(NEXT) | instid1(VALU_DEP_1)
	v_mul_f32_e32 v8, v69, v8
	v_and_b32_e32 v10, 0x7f800000, v8
	s_delay_alu instid0(VALU_DEP_1) | instskip(NEXT) | instid1(VALU_DEP_1)
	v_cmp_ne_u32_e64 s0, 0x7f800000, v10
	s_and_saveexec_b32 s12, s0
	s_delay_alu instid0(SALU_CYCLE_1)
	s_xor_b32 s0, exec_lo, s12
; %bb.1024:                             ;   in Loop: Header=BB384_616 Depth=1
	v_bfe_u32 v10, v8, 16, 1
	s_delay_alu instid0(VALU_DEP_1)
	v_add3_u32 v116, v8, v10, 0x7fff
                                        ; implicit-def: $vgpr8
; %bb.1025:                             ;   in Loop: Header=BB384_616 Depth=1
	s_and_not1_saveexec_b32 s12, s0
; %bb.1026:                             ;   in Loop: Header=BB384_616 Depth=1
	v_and_b32_e32 v10, 0xffff, v8
	v_or_b32_e32 v116, 0x10000, v8
	s_delay_alu instid0(VALU_DEP_2) | instskip(NEXT) | instid1(VALU_DEP_1)
	v_cmp_eq_u32_e64 s0, 0, v10
	v_cndmask_b32_e64 v116, v116, v8, s0
; %bb.1027:                             ;   in Loop: Header=BB384_616 Depth=1
	s_or_b32 exec_lo, exec_lo, s12
	v_lshlrev_b32_e32 v7, 16, v7
                                        ; implicit-def: $vgpr117
	s_delay_alu instid0(VALU_DEP_1) | instskip(NEXT) | instid1(VALU_DEP_1)
	v_mul_f32_e32 v7, v70, v7
	v_and_b32_e32 v8, 0x7f800000, v7
	s_delay_alu instid0(VALU_DEP_1) | instskip(NEXT) | instid1(VALU_DEP_1)
	v_cmp_ne_u32_e64 s0, 0x7f800000, v8
	s_and_saveexec_b32 s12, s0
	s_delay_alu instid0(SALU_CYCLE_1)
	s_xor_b32 s0, exec_lo, s12
; %bb.1028:                             ;   in Loop: Header=BB384_616 Depth=1
	v_bfe_u32 v8, v7, 16, 1
	s_delay_alu instid0(VALU_DEP_1)
	v_add3_u32 v117, v7, v8, 0x7fff
                                        ; implicit-def: $vgpr7
; %bb.1029:                             ;   in Loop: Header=BB384_616 Depth=1
	s_and_not1_saveexec_b32 s12, s0
; %bb.1030:                             ;   in Loop: Header=BB384_616 Depth=1
	v_and_b32_e32 v8, 0xffff, v7
	v_or_b32_e32 v10, 0x10000, v7
	s_delay_alu instid0(VALU_DEP_2) | instskip(NEXT) | instid1(VALU_DEP_1)
	v_cmp_eq_u32_e64 s0, 0, v8
	v_cndmask_b32_e64 v117, v10, v7, s0
; %bb.1031:                             ;   in Loop: Header=BB384_616 Depth=1
	s_or_b32 exec_lo, exec_lo, s12
	v_lshlrev_b32_e32 v3, 16, v3
                                        ; implicit-def: $vgpr118
	s_delay_alu instid0(VALU_DEP_1) | instskip(NEXT) | instid1(VALU_DEP_1)
	v_mul_f32_e32 v3, v71, v3
	v_and_b32_e32 v7, 0x7f800000, v3
	s_delay_alu instid0(VALU_DEP_1) | instskip(NEXT) | instid1(VALU_DEP_1)
	v_cmp_ne_u32_e64 s0, 0x7f800000, v7
	s_and_saveexec_b32 s12, s0
	s_delay_alu instid0(SALU_CYCLE_1)
	s_xor_b32 s0, exec_lo, s12
; %bb.1032:                             ;   in Loop: Header=BB384_616 Depth=1
	v_bfe_u32 v7, v3, 16, 1
	s_delay_alu instid0(VALU_DEP_1)
	v_add3_u32 v118, v3, v7, 0x7fff
                                        ; implicit-def: $vgpr3
; %bb.1033:                             ;   in Loop: Header=BB384_616 Depth=1
	s_and_not1_saveexec_b32 s12, s0
; %bb.1034:                             ;   in Loop: Header=BB384_616 Depth=1
	v_and_b32_e32 v7, 0xffff, v3
	v_or_b32_e32 v8, 0x10000, v3
	s_delay_alu instid0(VALU_DEP_2) | instskip(NEXT) | instid1(VALU_DEP_1)
	v_cmp_eq_u32_e64 s0, 0, v7
	v_cndmask_b32_e64 v118, v8, v3, s0
; %bb.1035:                             ;   in Loop: Header=BB384_616 Depth=1
	s_or_b32 exec_lo, exec_lo, s12
	v_lshlrev_b32_e32 v2, 16, v2
                                        ; implicit-def: $vgpr119
	s_delay_alu instid0(VALU_DEP_1) | instskip(NEXT) | instid1(VALU_DEP_1)
	v_mul_f32_e32 v2, v80, v2
	v_and_b32_e32 v3, 0x7f800000, v2
	s_delay_alu instid0(VALU_DEP_1) | instskip(NEXT) | instid1(VALU_DEP_1)
	v_cmp_ne_u32_e64 s0, 0x7f800000, v3
	s_and_saveexec_b32 s12, s0
	s_delay_alu instid0(SALU_CYCLE_1)
	s_xor_b32 s0, exec_lo, s12
; %bb.1036:                             ;   in Loop: Header=BB384_616 Depth=1
	v_bfe_u32 v3, v2, 16, 1
	s_delay_alu instid0(VALU_DEP_1)
	v_add3_u32 v119, v2, v3, 0x7fff
                                        ; implicit-def: $vgpr2
; %bb.1037:                             ;   in Loop: Header=BB384_616 Depth=1
	s_and_not1_saveexec_b32 s12, s0
; %bb.1038:                             ;   in Loop: Header=BB384_616 Depth=1
	v_and_b32_e32 v3, 0xffff, v2
	v_or_b32_e32 v7, 0x10000, v2
	s_delay_alu instid0(VALU_DEP_2) | instskip(NEXT) | instid1(VALU_DEP_1)
	v_cmp_eq_u32_e64 s0, 0, v3
	v_cndmask_b32_e64 v119, v7, v2, s0
; %bb.1039:                             ;   in Loop: Header=BB384_616 Depth=1
	s_or_b32 exec_lo, exec_lo, s12
	flat_load_b64 v[2:3], v[0:1] offset:768
	s_mov_b32 s12, exec_lo
	s_waitcnt vmcnt(0) lgkmcnt(0)
	v_dual_mov_b32 v7, 0 :: v_dual_and_b32 v8, 0xff, v2
	s_delay_alu instid0(VALU_DEP_1)
	v_cmpx_ne_u16_e32 0, v8
	s_cbranch_execz .LBB384_1047
; %bb.1040:                             ;   in Loop: Header=BB384_616 Depth=1
	v_bfrev_b32_e32 v7, 1
	s_mov_b32 s13, exec_lo
	v_cmpx_ne_u16_e32 0x80, v8
	s_cbranch_execz .LBB384_1046
; %bb.1041:                             ;   in Loop: Header=BB384_616 Depth=1
	v_and_b32_e32 v8, 0x7f, v2
	v_mov_b32_e32 v7, 0x7f800001
	s_mov_b32 s15, exec_lo
	s_delay_alu instid0(VALU_DEP_2)
	v_cmpx_ne_u32_e32 0x7f, v8
	s_cbranch_execz .LBB384_1045
; %bb.1042:                             ;   in Loop: Header=BB384_616 Depth=1
	v_lshrrev_b32_e32 v10, 3, v8
	v_cmp_gt_u32_e64 s0, 8, v8
	v_dual_mov_b32 v8, v3 :: v_dual_mov_b32 v7, v2
	s_delay_alu instid0(VALU_DEP_2)
	s_and_saveexec_b32 s16, s0
; %bb.1043:                             ;   in Loop: Header=BB384_616 Depth=1
	v_and_b32_e32 v7, 7, v2
	s_delay_alu instid0(VALU_DEP_1) | instskip(NEXT) | instid1(VALU_DEP_1)
	v_clz_i32_u32_e32 v7, v7
	v_min_u32_e32 v10, 32, v7
	s_delay_alu instid0(VALU_DEP_1) | instskip(SKIP_1) | instid1(VALU_DEP_2)
	v_subrev_nc_u32_e32 v7, 28, v10
	v_sub_nc_u32_e32 v10, 29, v10
	v_lshlrev_b64 v[7:8], v7, v[2:3]
; %bb.1044:                             ;   in Loop: Header=BB384_616 Depth=1
	s_or_b32 exec_lo, exec_lo, s16
	s_delay_alu instid0(VALU_DEP_1) | instskip(SKIP_2) | instid1(VALU_DEP_3)
	v_lshlrev_b32_e32 v7, 20, v7
	v_lshlrev_b32_e32 v8, 24, v2
	v_lshl_add_u32 v10, v10, 23, 0x3c000000
	v_and_b32_e32 v7, 0x700000, v7
	s_delay_alu instid0(VALU_DEP_3) | instskip(NEXT) | instid1(VALU_DEP_1)
	v_and_b32_e32 v8, 0x80000000, v8
	v_or3_b32 v7, v7, v8, v10
.LBB384_1045:                           ;   in Loop: Header=BB384_616 Depth=1
	s_or_b32 exec_lo, exec_lo, s15
.LBB384_1046:                           ;   in Loop: Header=BB384_616 Depth=1
	s_delay_alu instid0(SALU_CYCLE_1)
	s_or_b32 exec_lo, exec_lo, s13
.LBB384_1047:                           ;   in Loop: Header=BB384_616 Depth=1
	s_delay_alu instid0(SALU_CYCLE_1) | instskip(NEXT) | instid1(VALU_DEP_1)
	s_or_b32 exec_lo, exec_lo, s12
	v_mul_f32_e32 v7, v9, v7
                                        ; implicit-def: $vgpr128
	s_delay_alu instid0(VALU_DEP_1) | instskip(NEXT) | instid1(VALU_DEP_1)
	v_and_b32_e32 v8, 0x7f800000, v7
	v_cmp_ne_u32_e64 s0, 0x7f800000, v8
	s_delay_alu instid0(VALU_DEP_1) | instskip(NEXT) | instid1(SALU_CYCLE_1)
	s_and_saveexec_b32 s12, s0
	s_xor_b32 s0, exec_lo, s12
; %bb.1048:                             ;   in Loop: Header=BB384_616 Depth=1
	v_bfe_u32 v8, v7, 16, 1
	s_delay_alu instid0(VALU_DEP_1)
	v_add3_u32 v128, v7, v8, 0x7fff
                                        ; implicit-def: $vgpr7
; %bb.1049:                             ;   in Loop: Header=BB384_616 Depth=1
	s_and_not1_saveexec_b32 s12, s0
; %bb.1050:                             ;   in Loop: Header=BB384_616 Depth=1
	v_and_b32_e32 v8, 0xffff, v7
	v_or_b32_e32 v10, 0x10000, v7
	s_delay_alu instid0(VALU_DEP_2) | instskip(NEXT) | instid1(VALU_DEP_1)
	v_cmp_eq_u32_e64 s0, 0, v8
	v_cndmask_b32_e64 v128, v10, v7, s0
; %bb.1051:                             ;   in Loop: Header=BB384_616 Depth=1
	s_or_b32 exec_lo, exec_lo, s12
	v_lshrrev_b16 v8, 8, v2
	v_mov_b32_e32 v7, 0
	s_mov_b32 s12, exec_lo
	s_delay_alu instid0(VALU_DEP_2)
	v_cmpx_ne_u16_e32 0, v8
	s_cbranch_execz .LBB384_1059
; %bb.1052:                             ;   in Loop: Header=BB384_616 Depth=1
	v_bfrev_b32_e32 v7, 1
	s_mov_b32 s13, exec_lo
	v_cmpx_ne_u16_e32 0x80, v8
	s_cbranch_execz .LBB384_1058
; %bb.1053:                             ;   in Loop: Header=BB384_616 Depth=1
	v_and_b32_e32 v10, 0xffff, v8
	v_mov_b32_e32 v7, 0x7f800001
	s_mov_b32 s15, exec_lo
	s_delay_alu instid0(VALU_DEP_2) | instskip(NEXT) | instid1(VALU_DEP_1)
	v_and_b32_e32 v8, 0x7f, v10
	v_cmpx_ne_u32_e32 0x7f, v8
	s_cbranch_execz .LBB384_1057
; %bb.1054:                             ;   in Loop: Header=BB384_616 Depth=1
	v_and_b32_e32 v10, 7, v10
	v_lshrrev_b32_e32 v7, 3, v8
	s_mov_b32 s16, exec_lo
	v_cmpx_gt_u32_e32 8, v8
; %bb.1055:                             ;   in Loop: Header=BB384_616 Depth=1
	s_delay_alu instid0(VALU_DEP_3) | instskip(NEXT) | instid1(VALU_DEP_1)
	v_clz_i32_u32_e32 v7, v10
	v_min_u32_e32 v7, 32, v7
	s_delay_alu instid0(VALU_DEP_1) | instskip(SKIP_1) | instid1(VALU_DEP_2)
	v_subrev_nc_u32_e32 v8, 28, v7
	v_sub_nc_u32_e32 v7, 29, v7
	v_lshlrev_b64 v[129:130], v8, v[10:11]
	s_delay_alu instid0(VALU_DEP_1)
	v_and_b32_e32 v10, 7, v129
; %bb.1056:                             ;   in Loop: Header=BB384_616 Depth=1
	s_or_b32 exec_lo, exec_lo, s16
	v_lshlrev_b32_e32 v8, 16, v2
	s_delay_alu instid0(VALU_DEP_2) | instskip(SKIP_1) | instid1(VALU_DEP_3)
	v_lshlrev_b32_e32 v10, 20, v10
	v_lshl_add_u32 v7, v7, 23, 0x3c000000
	v_and_b32_e32 v8, 0x80000000, v8
	s_delay_alu instid0(VALU_DEP_1)
	v_or3_b32 v7, v10, v8, v7
.LBB384_1057:                           ;   in Loop: Header=BB384_616 Depth=1
	s_or_b32 exec_lo, exec_lo, s15
.LBB384_1058:                           ;   in Loop: Header=BB384_616 Depth=1
	s_delay_alu instid0(SALU_CYCLE_1)
	s_or_b32 exec_lo, exec_lo, s13
.LBB384_1059:                           ;   in Loop: Header=BB384_616 Depth=1
	s_delay_alu instid0(SALU_CYCLE_1) | instskip(NEXT) | instid1(VALU_DEP_1)
	s_or_b32 exec_lo, exec_lo, s12
	v_mul_f32_e32 v7, v9, v7
                                        ; implicit-def: $vgpr129
	s_delay_alu instid0(VALU_DEP_1) | instskip(NEXT) | instid1(VALU_DEP_1)
	v_and_b32_e32 v8, 0x7f800000, v7
	v_cmp_ne_u32_e64 s0, 0x7f800000, v8
	s_delay_alu instid0(VALU_DEP_1) | instskip(NEXT) | instid1(SALU_CYCLE_1)
	s_and_saveexec_b32 s12, s0
	s_xor_b32 s0, exec_lo, s12
; %bb.1060:                             ;   in Loop: Header=BB384_616 Depth=1
	v_bfe_u32 v8, v7, 16, 1
	s_delay_alu instid0(VALU_DEP_1)
	v_add3_u32 v129, v7, v8, 0x7fff
                                        ; implicit-def: $vgpr7
; %bb.1061:                             ;   in Loop: Header=BB384_616 Depth=1
	s_and_not1_saveexec_b32 s12, s0
; %bb.1062:                             ;   in Loop: Header=BB384_616 Depth=1
	v_and_b32_e32 v8, 0xffff, v7
	v_or_b32_e32 v10, 0x10000, v7
	s_delay_alu instid0(VALU_DEP_2) | instskip(NEXT) | instid1(VALU_DEP_1)
	v_cmp_eq_u32_e64 s0, 0, v8
	v_cndmask_b32_e64 v129, v10, v7, s0
; %bb.1063:                             ;   in Loop: Header=BB384_616 Depth=1
	s_or_b32 exec_lo, exec_lo, s12
	v_lshrrev_b32_e32 v7, 16, v2
	v_mov_b32_e32 v8, 0
	s_mov_b32 s12, exec_lo
	s_delay_alu instid0(VALU_DEP_2) | instskip(NEXT) | instid1(VALU_DEP_1)
	v_and_b32_e32 v10, 0xff, v7
	v_cmpx_ne_u16_e32 0, v10
	s_cbranch_execz .LBB384_1071
; %bb.1064:                             ;   in Loop: Header=BB384_616 Depth=1
	v_bfrev_b32_e32 v8, 1
	s_mov_b32 s13, exec_lo
	v_cmpx_ne_u16_e32 0x80, v10
	s_cbranch_execz .LBB384_1070
; %bb.1065:                             ;   in Loop: Header=BB384_616 Depth=1
	v_bfe_u32 v130, v2, 16, 7
	v_mov_b32_e32 v8, 0x7f800001
	s_mov_b32 s15, exec_lo
	s_delay_alu instid0(VALU_DEP_2)
	v_cmpx_ne_u32_e32 0x7f, v130
	s_cbranch_execz .LBB384_1069
; %bb.1066:                             ;   in Loop: Header=BB384_616 Depth=1
	v_and_b32_e32 v10, 7, v7
	v_lshrrev_b32_e32 v8, 3, v130
	s_mov_b32 s16, exec_lo
	v_cmpx_gt_u32_e32 8, v130
; %bb.1067:                             ;   in Loop: Header=BB384_616 Depth=1
	s_delay_alu instid0(VALU_DEP_3) | instskip(NEXT) | instid1(VALU_DEP_1)
	v_clz_i32_u32_e32 v8, v10
	v_min_u32_e32 v8, 32, v8
	s_delay_alu instid0(VALU_DEP_1) | instskip(SKIP_1) | instid1(VALU_DEP_2)
	v_subrev_nc_u32_e32 v130, 28, v8
	v_sub_nc_u32_e32 v8, 29, v8
	v_lshlrev_b64 v[130:131], v130, v[10:11]
	s_delay_alu instid0(VALU_DEP_1)
	v_and_b32_e32 v10, 7, v130
; %bb.1068:                             ;   in Loop: Header=BB384_616 Depth=1
	s_or_b32 exec_lo, exec_lo, s16
	v_lshlrev_b32_e32 v7, 24, v7
	s_delay_alu instid0(VALU_DEP_2) | instskip(SKIP_1) | instid1(VALU_DEP_3)
	v_lshlrev_b32_e32 v10, 20, v10
	v_lshl_add_u32 v8, v8, 23, 0x3c000000
	v_and_b32_e32 v7, 0x80000000, v7
	s_delay_alu instid0(VALU_DEP_1)
	v_or3_b32 v8, v10, v7, v8
.LBB384_1069:                           ;   in Loop: Header=BB384_616 Depth=1
	s_or_b32 exec_lo, exec_lo, s15
.LBB384_1070:                           ;   in Loop: Header=BB384_616 Depth=1
	s_delay_alu instid0(SALU_CYCLE_1)
	s_or_b32 exec_lo, exec_lo, s13
.LBB384_1071:                           ;   in Loop: Header=BB384_616 Depth=1
	s_delay_alu instid0(SALU_CYCLE_1) | instskip(NEXT) | instid1(VALU_DEP_1)
	s_or_b32 exec_lo, exec_lo, s12
	v_mul_f32_e32 v7, v9, v8
                                        ; implicit-def: $vgpr130
	s_delay_alu instid0(VALU_DEP_1) | instskip(NEXT) | instid1(VALU_DEP_1)
	v_and_b32_e32 v8, 0x7f800000, v7
	v_cmp_ne_u32_e64 s0, 0x7f800000, v8
	s_delay_alu instid0(VALU_DEP_1) | instskip(NEXT) | instid1(SALU_CYCLE_1)
	s_and_saveexec_b32 s12, s0
	s_xor_b32 s0, exec_lo, s12
; %bb.1072:                             ;   in Loop: Header=BB384_616 Depth=1
	v_bfe_u32 v8, v7, 16, 1
	s_delay_alu instid0(VALU_DEP_1)
	v_add3_u32 v130, v7, v8, 0x7fff
                                        ; implicit-def: $vgpr7
; %bb.1073:                             ;   in Loop: Header=BB384_616 Depth=1
	s_and_not1_saveexec_b32 s12, s0
; %bb.1074:                             ;   in Loop: Header=BB384_616 Depth=1
	v_and_b32_e32 v8, 0xffff, v7
	v_or_b32_e32 v10, 0x10000, v7
	s_delay_alu instid0(VALU_DEP_2) | instskip(NEXT) | instid1(VALU_DEP_1)
	v_cmp_eq_u32_e64 s0, 0, v8
	v_cndmask_b32_e64 v130, v10, v7, s0
; %bb.1075:                             ;   in Loop: Header=BB384_616 Depth=1
	s_or_b32 exec_lo, exec_lo, s12
	v_mov_b32_e32 v8, 0
	s_mov_b32 s12, exec_lo
	v_cmpx_lt_u32_e32 0xffffff, v2
	s_cbranch_execz .LBB384_1083
; %bb.1076:                             ;   in Loop: Header=BB384_616 Depth=1
	v_lshrrev_b32_e32 v7, 24, v2
	v_bfrev_b32_e32 v8, 1
	s_mov_b32 s13, exec_lo
	s_delay_alu instid0(VALU_DEP_2)
	v_cmpx_ne_u32_e32 0x80, v7
	s_cbranch_execz .LBB384_1082
; %bb.1077:                             ;   in Loop: Header=BB384_616 Depth=1
	v_bfe_u32 v131, v2, 24, 7
	v_mov_b32_e32 v8, 0x7f800001
	s_mov_b32 s15, exec_lo
	s_delay_alu instid0(VALU_DEP_2)
	v_cmpx_ne_u32_e32 0x7f, v131
	s_cbranch_execz .LBB384_1081
; %bb.1078:                             ;   in Loop: Header=BB384_616 Depth=1
	v_and_b32_e32 v10, 7, v7
	v_lshrrev_b32_e32 v8, 3, v131
	s_mov_b32 s16, exec_lo
	v_cmpx_gt_u32_e32 8, v131
; %bb.1079:                             ;   in Loop: Header=BB384_616 Depth=1
	s_delay_alu instid0(VALU_DEP_3) | instskip(NEXT) | instid1(VALU_DEP_1)
	v_clz_i32_u32_e32 v8, v10
	v_min_u32_e32 v8, 32, v8
	s_delay_alu instid0(VALU_DEP_1) | instskip(SKIP_1) | instid1(VALU_DEP_2)
	v_subrev_nc_u32_e32 v131, 28, v8
	v_sub_nc_u32_e32 v8, 29, v8
	v_lshlrev_b64 v[131:132], v131, v[10:11]
	s_delay_alu instid0(VALU_DEP_1)
	v_and_b32_e32 v10, 7, v131
; %bb.1080:                             ;   in Loop: Header=BB384_616 Depth=1
	s_or_b32 exec_lo, exec_lo, s16
	v_lshlrev_b32_e32 v7, 24, v7
	s_delay_alu instid0(VALU_DEP_2) | instskip(SKIP_1) | instid1(VALU_DEP_3)
	v_lshlrev_b32_e32 v10, 20, v10
	v_lshl_add_u32 v8, v8, 23, 0x3c000000
	v_and_b32_e32 v7, 0x80000000, v7
	s_delay_alu instid0(VALU_DEP_1)
	v_or3_b32 v8, v10, v7, v8
.LBB384_1081:                           ;   in Loop: Header=BB384_616 Depth=1
	s_or_b32 exec_lo, exec_lo, s15
.LBB384_1082:                           ;   in Loop: Header=BB384_616 Depth=1
	s_delay_alu instid0(SALU_CYCLE_1)
	s_or_b32 exec_lo, exec_lo, s13
.LBB384_1083:                           ;   in Loop: Header=BB384_616 Depth=1
	s_delay_alu instid0(SALU_CYCLE_1) | instskip(NEXT) | instid1(VALU_DEP_1)
	s_or_b32 exec_lo, exec_lo, s12
	v_mul_f32_e32 v7, v9, v8
                                        ; implicit-def: $vgpr131
	s_delay_alu instid0(VALU_DEP_1) | instskip(NEXT) | instid1(VALU_DEP_1)
	v_and_b32_e32 v8, 0x7f800000, v7
	v_cmp_ne_u32_e64 s0, 0x7f800000, v8
	s_delay_alu instid0(VALU_DEP_1) | instskip(NEXT) | instid1(SALU_CYCLE_1)
	s_and_saveexec_b32 s12, s0
	s_xor_b32 s0, exec_lo, s12
; %bb.1084:                             ;   in Loop: Header=BB384_616 Depth=1
	v_bfe_u32 v8, v7, 16, 1
	s_delay_alu instid0(VALU_DEP_1)
	v_add3_u32 v131, v7, v8, 0x7fff
                                        ; implicit-def: $vgpr7
; %bb.1085:                             ;   in Loop: Header=BB384_616 Depth=1
	s_and_not1_saveexec_b32 s12, s0
; %bb.1086:                             ;   in Loop: Header=BB384_616 Depth=1
	v_and_b32_e32 v8, 0xffff, v7
	v_or_b32_e32 v10, 0x10000, v7
	s_delay_alu instid0(VALU_DEP_2) | instskip(NEXT) | instid1(VALU_DEP_1)
	v_cmp_eq_u32_e64 s0, 0, v8
	v_cndmask_b32_e64 v131, v10, v7, s0
; %bb.1087:                             ;   in Loop: Header=BB384_616 Depth=1
	s_or_b32 exec_lo, exec_lo, s12
	v_dual_mov_b32 v7, 0 :: v_dual_and_b32 v8, 0xff, v3
	v_mov_b32_e32 v10, v3
	s_mov_b32 s12, exec_lo
	s_delay_alu instid0(VALU_DEP_2)
	v_cmpx_ne_u16_e32 0, v8
	s_cbranch_execz .LBB384_1095
; %bb.1088:                             ;   in Loop: Header=BB384_616 Depth=1
	v_bfrev_b32_e32 v7, 1
	s_mov_b32 s13, exec_lo
	v_cmpx_ne_u16_e32 0x80, v8
	s_cbranch_execz .LBB384_1094
; %bb.1089:                             ;   in Loop: Header=BB384_616 Depth=1
	v_and_b32_e32 v8, 0x7f, v3
	v_mov_b32_e32 v7, 0x7f800001
	s_mov_b32 s15, exec_lo
	s_delay_alu instid0(VALU_DEP_2)
	v_cmpx_ne_u32_e32 0x7f, v8
	s_cbranch_execz .LBB384_1093
; %bb.1090:                             ;   in Loop: Header=BB384_616 Depth=1
	v_lshrrev_b32_e32 v132, 3, v8
	v_cmp_gt_u32_e64 s0, 8, v8
	v_dual_mov_b32 v7, v10 :: v_dual_mov_b32 v8, v11
	s_delay_alu instid0(VALU_DEP_2)
	s_and_saveexec_b32 s16, s0
; %bb.1091:                             ;   in Loop: Header=BB384_616 Depth=1
	v_and_b32_e32 v7, 7, v3
	s_delay_alu instid0(VALU_DEP_1) | instskip(NEXT) | instid1(VALU_DEP_1)
	v_clz_i32_u32_e32 v7, v7
	v_min_u32_e32 v132, 32, v7
	s_delay_alu instid0(VALU_DEP_1) | instskip(SKIP_1) | instid1(VALU_DEP_2)
	v_subrev_nc_u32_e32 v7, 28, v132
	v_sub_nc_u32_e32 v132, 29, v132
	v_lshlrev_b64 v[7:8], v7, v[10:11]
; %bb.1092:                             ;   in Loop: Header=BB384_616 Depth=1
	s_or_b32 exec_lo, exec_lo, s16
	s_delay_alu instid0(VALU_DEP_1) | instskip(SKIP_2) | instid1(VALU_DEP_3)
	v_lshlrev_b32_e32 v7, 20, v7
	v_lshlrev_b32_e32 v8, 24, v10
	v_lshl_add_u32 v132, v132, 23, 0x3c000000
	v_and_b32_e32 v7, 0x700000, v7
	s_delay_alu instid0(VALU_DEP_3) | instskip(NEXT) | instid1(VALU_DEP_1)
	v_and_b32_e32 v8, 0x80000000, v8
	v_or3_b32 v7, v7, v8, v132
.LBB384_1093:                           ;   in Loop: Header=BB384_616 Depth=1
	s_or_b32 exec_lo, exec_lo, s15
.LBB384_1094:                           ;   in Loop: Header=BB384_616 Depth=1
	s_delay_alu instid0(SALU_CYCLE_1)
	s_or_b32 exec_lo, exec_lo, s13
.LBB384_1095:                           ;   in Loop: Header=BB384_616 Depth=1
	s_delay_alu instid0(SALU_CYCLE_1) | instskip(NEXT) | instid1(VALU_DEP_1)
	s_or_b32 exec_lo, exec_lo, s12
	v_mul_f32_e32 v7, v9, v7
                                        ; implicit-def: $vgpr132
	s_delay_alu instid0(VALU_DEP_1) | instskip(NEXT) | instid1(VALU_DEP_1)
	v_and_b32_e32 v8, 0x7f800000, v7
	v_cmp_ne_u32_e64 s0, 0x7f800000, v8
	s_delay_alu instid0(VALU_DEP_1) | instskip(NEXT) | instid1(SALU_CYCLE_1)
	s_and_saveexec_b32 s12, s0
	s_xor_b32 s0, exec_lo, s12
; %bb.1096:                             ;   in Loop: Header=BB384_616 Depth=1
	v_bfe_u32 v8, v7, 16, 1
	s_delay_alu instid0(VALU_DEP_1)
	v_add3_u32 v132, v7, v8, 0x7fff
                                        ; implicit-def: $vgpr7
; %bb.1097:                             ;   in Loop: Header=BB384_616 Depth=1
	s_and_not1_saveexec_b32 s12, s0
; %bb.1098:                             ;   in Loop: Header=BB384_616 Depth=1
	v_and_b32_e32 v8, 0xffff, v7
	v_or_b32_e32 v132, 0x10000, v7
	s_delay_alu instid0(VALU_DEP_2) | instskip(NEXT) | instid1(VALU_DEP_1)
	v_cmp_eq_u32_e64 s0, 0, v8
	v_cndmask_b32_e64 v132, v132, v7, s0
; %bb.1099:                             ;   in Loop: Header=BB384_616 Depth=1
	s_or_b32 exec_lo, exec_lo, s12
	v_lshrrev_b16 v8, 8, v10
	v_mov_b32_e32 v7, 0
	s_mov_b32 s12, exec_lo
	s_delay_alu instid0(VALU_DEP_2)
	v_cmpx_ne_u16_e32 0, v8
	s_cbranch_execz .LBB384_1107
; %bb.1100:                             ;   in Loop: Header=BB384_616 Depth=1
	v_bfrev_b32_e32 v7, 1
	s_mov_b32 s13, exec_lo
	v_cmpx_ne_u16_e32 0x80, v8
	s_cbranch_execz .LBB384_1106
; %bb.1101:                             ;   in Loop: Header=BB384_616 Depth=1
	v_and_b32_e32 v8, 0xffff, v8
	v_mov_b32_e32 v7, 0x7f800001
	s_mov_b32 s15, exec_lo
	s_delay_alu instid0(VALU_DEP_2) | instskip(NEXT) | instid1(VALU_DEP_1)
	v_and_b32_e32 v134, 0x7f, v8
	v_cmpx_ne_u32_e32 0x7f, v134
	s_cbranch_execz .LBB384_1105
; %bb.1102:                             ;   in Loop: Header=BB384_616 Depth=1
	v_dual_mov_b32 v8, v11 :: v_dual_and_b32 v7, 7, v8
	v_lshrrev_b32_e32 v133, 3, v134
	s_mov_b32 s16, exec_lo
	v_cmpx_gt_u32_e32 8, v134
; %bb.1103:                             ;   in Loop: Header=BB384_616 Depth=1
	s_delay_alu instid0(VALU_DEP_3) | instskip(NEXT) | instid1(VALU_DEP_1)
	v_clz_i32_u32_e32 v133, v7
	v_min_u32_e32 v133, 32, v133
	s_delay_alu instid0(VALU_DEP_1) | instskip(SKIP_1) | instid1(VALU_DEP_2)
	v_subrev_nc_u32_e32 v134, 28, v133
	v_sub_nc_u32_e32 v133, 29, v133
	v_lshlrev_b64 v[7:8], v134, v[7:8]
	s_delay_alu instid0(VALU_DEP_1)
	v_and_b32_e32 v7, 7, v7
; %bb.1104:                             ;   in Loop: Header=BB384_616 Depth=1
	s_or_b32 exec_lo, exec_lo, s16
	v_lshlrev_b32_e32 v8, 16, v10
	s_delay_alu instid0(VALU_DEP_2) | instskip(SKIP_1) | instid1(VALU_DEP_3)
	v_lshlrev_b32_e32 v7, 20, v7
	v_lshl_add_u32 v10, v133, 23, 0x3c000000
	v_and_b32_e32 v8, 0x80000000, v8
	s_delay_alu instid0(VALU_DEP_1)
	v_or3_b32 v7, v7, v8, v10
.LBB384_1105:                           ;   in Loop: Header=BB384_616 Depth=1
	s_or_b32 exec_lo, exec_lo, s15
.LBB384_1106:                           ;   in Loop: Header=BB384_616 Depth=1
	s_delay_alu instid0(SALU_CYCLE_1)
	s_or_b32 exec_lo, exec_lo, s13
.LBB384_1107:                           ;   in Loop: Header=BB384_616 Depth=1
	s_delay_alu instid0(SALU_CYCLE_1) | instskip(NEXT) | instid1(VALU_DEP_1)
	s_or_b32 exec_lo, exec_lo, s12
	v_mul_f32_e32 v8, v9, v7
	s_delay_alu instid0(VALU_DEP_1) | instskip(NEXT) | instid1(VALU_DEP_1)
	v_and_b32_e32 v7, 0x7f800000, v8
	v_cmp_ne_u32_e64 s0, 0x7f800000, v7
                                        ; implicit-def: $vgpr7
	s_delay_alu instid0(VALU_DEP_1) | instskip(NEXT) | instid1(SALU_CYCLE_1)
	s_and_saveexec_b32 s12, s0
	s_xor_b32 s0, exec_lo, s12
; %bb.1108:                             ;   in Loop: Header=BB384_616 Depth=1
	v_bfe_u32 v7, v8, 16, 1
	s_delay_alu instid0(VALU_DEP_1)
	v_add3_u32 v7, v8, v7, 0x7fff
                                        ; implicit-def: $vgpr8
; %bb.1109:                             ;   in Loop: Header=BB384_616 Depth=1
	s_and_not1_saveexec_b32 s12, s0
; %bb.1110:                             ;   in Loop: Header=BB384_616 Depth=1
	v_and_b32_e32 v7, 0xffff, v8
	v_or_b32_e32 v10, 0x10000, v8
	s_delay_alu instid0(VALU_DEP_2) | instskip(NEXT) | instid1(VALU_DEP_1)
	v_cmp_eq_u32_e64 s0, 0, v7
	v_cndmask_b32_e64 v7, v10, v8, s0
; %bb.1111:                             ;   in Loop: Header=BB384_616 Depth=1
	s_or_b32 exec_lo, exec_lo, s12
	v_lshrrev_b32_e32 v8, 16, v3
	s_mov_b32 s12, exec_lo
	s_delay_alu instid0(VALU_DEP_1) | instskip(NEXT) | instid1(VALU_DEP_1)
	v_dual_mov_b32 v10, 0 :: v_dual_and_b32 v133, 0xff, v8
	v_cmpx_ne_u16_e64 0, v133
	s_cbranch_execz .LBB384_1119
; %bb.1112:                             ;   in Loop: Header=BB384_616 Depth=1
	v_bfrev_b32_e32 v10, 1
	s_mov_b32 s13, exec_lo
	v_cmpx_ne_u16_e64 0x80, v133
	s_cbranch_execz .LBB384_1118
; %bb.1113:                             ;   in Loop: Header=BB384_616 Depth=1
	v_bfe_u32 v134, v3, 16, 7
	v_mov_b32_e32 v10, 0x7f800001
	s_mov_b32 s15, exec_lo
	s_delay_alu instid0(VALU_DEP_2)
	v_cmpx_ne_u32_e32 0x7f, v134
	s_cbranch_execz .LBB384_1117
; %bb.1114:                             ;   in Loop: Header=BB384_616 Depth=1
	v_and_b32_e32 v10, 7, v8
	v_lshrrev_b32_e32 v133, 3, v134
	s_mov_b32 s16, exec_lo
	v_cmpx_gt_u32_e32 8, v134
; %bb.1115:                             ;   in Loop: Header=BB384_616 Depth=1
	s_delay_alu instid0(VALU_DEP_3) | instskip(NEXT) | instid1(VALU_DEP_1)
	v_clz_i32_u32_e32 v133, v10
	v_min_u32_e32 v133, 32, v133
	s_delay_alu instid0(VALU_DEP_1) | instskip(SKIP_1) | instid1(VALU_DEP_2)
	v_subrev_nc_u32_e32 v134, 28, v133
	v_sub_nc_u32_e32 v133, 29, v133
	v_lshlrev_b64 v[134:135], v134, v[10:11]
	s_delay_alu instid0(VALU_DEP_1)
	v_and_b32_e32 v10, 7, v134
; %bb.1116:                             ;   in Loop: Header=BB384_616 Depth=1
	s_or_b32 exec_lo, exec_lo, s16
	v_lshlrev_b32_e32 v8, 24, v8
	s_delay_alu instid0(VALU_DEP_2) | instskip(SKIP_1) | instid1(VALU_DEP_3)
	v_lshlrev_b32_e32 v10, 20, v10
	v_lshl_add_u32 v133, v133, 23, 0x3c000000
	v_and_b32_e32 v8, 0x80000000, v8
	s_delay_alu instid0(VALU_DEP_1)
	v_or3_b32 v10, v10, v8, v133
.LBB384_1117:                           ;   in Loop: Header=BB384_616 Depth=1
	s_or_b32 exec_lo, exec_lo, s15
.LBB384_1118:                           ;   in Loop: Header=BB384_616 Depth=1
	s_delay_alu instid0(SALU_CYCLE_1)
	s_or_b32 exec_lo, exec_lo, s13
.LBB384_1119:                           ;   in Loop: Header=BB384_616 Depth=1
	s_delay_alu instid0(SALU_CYCLE_1) | instskip(NEXT) | instid1(VALU_DEP_1)
	s_or_b32 exec_lo, exec_lo, s12
	v_mul_f32_e32 v8, v9, v10
                                        ; implicit-def: $vgpr133
	s_delay_alu instid0(VALU_DEP_1) | instskip(NEXT) | instid1(VALU_DEP_1)
	v_and_b32_e32 v10, 0x7f800000, v8
	v_cmp_ne_u32_e64 s0, 0x7f800000, v10
	s_delay_alu instid0(VALU_DEP_1) | instskip(NEXT) | instid1(SALU_CYCLE_1)
	s_and_saveexec_b32 s12, s0
	s_xor_b32 s0, exec_lo, s12
; %bb.1120:                             ;   in Loop: Header=BB384_616 Depth=1
	v_bfe_u32 v10, v8, 16, 1
	s_delay_alu instid0(VALU_DEP_1)
	v_add3_u32 v133, v8, v10, 0x7fff
                                        ; implicit-def: $vgpr8
; %bb.1121:                             ;   in Loop: Header=BB384_616 Depth=1
	s_and_not1_saveexec_b32 s12, s0
; %bb.1122:                             ;   in Loop: Header=BB384_616 Depth=1
	v_and_b32_e32 v10, 0xffff, v8
	v_or_b32_e32 v133, 0x10000, v8
	s_delay_alu instid0(VALU_DEP_2) | instskip(NEXT) | instid1(VALU_DEP_1)
	v_cmp_eq_u32_e64 s0, 0, v10
	v_cndmask_b32_e64 v133, v133, v8, s0
; %bb.1123:                             ;   in Loop: Header=BB384_616 Depth=1
	s_or_b32 exec_lo, exec_lo, s12
	v_mov_b32_e32 v8, 0
	s_mov_b32 s12, exec_lo
	v_cmpx_lt_u64_e64 s[8:9], v[2:3]
	s_cbranch_execz .LBB384_1131
; %bb.1124:                             ;   in Loop: Header=BB384_616 Depth=1
	v_lshrrev_b32_e32 v2, 24, v3
	v_bfrev_b32_e32 v8, 1
	s_mov_b32 s13, exec_lo
	s_delay_alu instid0(VALU_DEP_2)
	v_cmpx_ne_u32_e32 0x80, v2
	s_cbranch_execz .LBB384_1130
; %bb.1125:                             ;   in Loop: Header=BB384_616 Depth=1
	v_bfe_u32 v134, v3, 24, 7
	v_mov_b32_e32 v8, 0x7f800001
	s_mov_b32 s15, exec_lo
	s_delay_alu instid0(VALU_DEP_2)
	v_cmpx_ne_u32_e32 0x7f, v134
	s_cbranch_execz .LBB384_1129
; %bb.1126:                             ;   in Loop: Header=BB384_616 Depth=1
	v_and_b32_e32 v10, 7, v2
	v_lshrrev_b32_e32 v3, 3, v134
	s_mov_b32 s16, exec_lo
	v_cmpx_gt_u32_e32 8, v134
; %bb.1127:                             ;   in Loop: Header=BB384_616 Depth=1
	s_delay_alu instid0(VALU_DEP_3) | instskip(NEXT) | instid1(VALU_DEP_1)
	v_clz_i32_u32_e32 v3, v10
	v_min_u32_e32 v3, 32, v3
	s_delay_alu instid0(VALU_DEP_1) | instskip(SKIP_1) | instid1(VALU_DEP_2)
	v_subrev_nc_u32_e32 v8, 28, v3
	v_sub_nc_u32_e32 v3, 29, v3
	v_lshlrev_b64 v[134:135], v8, v[10:11]
	s_delay_alu instid0(VALU_DEP_1)
	v_and_b32_e32 v10, 7, v134
; %bb.1128:                             ;   in Loop: Header=BB384_616 Depth=1
	s_or_b32 exec_lo, exec_lo, s16
	v_lshlrev_b32_e32 v2, 24, v2
	s_delay_alu instid0(VALU_DEP_2) | instskip(SKIP_1) | instid1(VALU_DEP_3)
	v_lshlrev_b32_e32 v8, 20, v10
	v_lshl_add_u32 v3, v3, 23, 0x3c000000
	v_and_b32_e32 v2, 0x80000000, v2
	s_delay_alu instid0(VALU_DEP_1)
	v_or3_b32 v8, v8, v2, v3
.LBB384_1129:                           ;   in Loop: Header=BB384_616 Depth=1
	s_or_b32 exec_lo, exec_lo, s15
.LBB384_1130:                           ;   in Loop: Header=BB384_616 Depth=1
	s_delay_alu instid0(SALU_CYCLE_1)
	s_or_b32 exec_lo, exec_lo, s13
.LBB384_1131:                           ;   in Loop: Header=BB384_616 Depth=1
	s_delay_alu instid0(SALU_CYCLE_1) | instskip(NEXT) | instid1(VALU_DEP_1)
	s_or_b32 exec_lo, exec_lo, s12
	v_mul_f32_e32 v3, v9, v8
	s_delay_alu instid0(VALU_DEP_1) | instskip(NEXT) | instid1(VALU_DEP_1)
	v_and_b32_e32 v2, 0x7f800000, v3
	v_cmp_ne_u32_e64 s0, 0x7f800000, v2
                                        ; implicit-def: $vgpr2
	s_delay_alu instid0(VALU_DEP_1) | instskip(NEXT) | instid1(SALU_CYCLE_1)
	s_and_saveexec_b32 s12, s0
	s_xor_b32 s0, exec_lo, s12
; %bb.1132:                             ;   in Loop: Header=BB384_616 Depth=1
	v_bfe_u32 v2, v3, 16, 1
	s_delay_alu instid0(VALU_DEP_1)
	v_add3_u32 v2, v3, v2, 0x7fff
                                        ; implicit-def: $vgpr3
; %bb.1133:                             ;   in Loop: Header=BB384_616 Depth=1
	s_and_not1_saveexec_b32 s12, s0
; %bb.1134:                             ;   in Loop: Header=BB384_616 Depth=1
	v_and_b32_e32 v2, 0xffff, v3
	v_or_b32_e32 v8, 0x10000, v3
	s_delay_alu instid0(VALU_DEP_2) | instskip(NEXT) | instid1(VALU_DEP_1)
	v_cmp_eq_u32_e64 s0, 0, v2
	v_cndmask_b32_e64 v2, v8, v3, s0
; %bb.1135:                             ;   in Loop: Header=BB384_616 Depth=1
	s_or_b32 exec_lo, exec_lo, s12
	v_lshrrev_b32_e32 v7, 16, v7
	v_lshrrev_b32_e32 v8, 16, v132
	;; [unrolled: 1-line block ×8, first 2 shown]
	s_and_saveexec_b32 s12, vcc_lo
	s_cbranch_execz .LBB384_1137
; %bb.1136:                             ;   in Loop: Header=BB384_616 Depth=1
	v_cmp_lt_i32_e64 s0, v23, v83
	s_delay_alu instid0(VALU_DEP_1) | instskip(SKIP_1) | instid1(VALU_DEP_1)
	v_cndmask_b32_e64 v128, 0, v128, s0
	v_cmp_lt_i32_e64 s0, v55, v83
	v_cndmask_b32_e64 v129, 0, v129, s0
	v_cmp_lt_i32_e64 s0, v54, v83
	s_delay_alu instid0(VALU_DEP_1) | instskip(SKIP_1) | instid1(VALU_DEP_1)
	v_cndmask_b32_e64 v130, 0, v130, s0
	v_cmp_lt_i32_e64 s0, v53, v83
	v_cndmask_b32_e64 v10, 0, v10, s0
	;; [unrolled: 5-line block ×4, first 2 shown]
.LBB384_1137:                           ;   in Loop: Header=BB384_616 Depth=1
	s_or_b32 exec_lo, exec_lo, s12
	v_lshlrev_b32_e32 v128, 16, v128
	s_delay_alu instid0(VALU_DEP_1) | instskip(NEXT) | instid1(VALU_DEP_1)
	v_mul_f32_e32 v131, v65, v128
	v_and_b32_e32 v128, 0x7f800000, v131
	s_delay_alu instid0(VALU_DEP_1) | instskip(NEXT) | instid1(VALU_DEP_1)
	v_cmp_ne_u32_e64 s0, 0x7f800000, v128
                                        ; implicit-def: $vgpr128
	s_and_saveexec_b32 s12, s0
	s_delay_alu instid0(SALU_CYCLE_1)
	s_xor_b32 s0, exec_lo, s12
; %bb.1138:                             ;   in Loop: Header=BB384_616 Depth=1
	v_bfe_u32 v128, v131, 16, 1
	s_delay_alu instid0(VALU_DEP_1)
	v_add3_u32 v128, v131, v128, 0x7fff
                                        ; implicit-def: $vgpr131
; %bb.1139:                             ;   in Loop: Header=BB384_616 Depth=1
	s_and_not1_saveexec_b32 s12, s0
; %bb.1140:                             ;   in Loop: Header=BB384_616 Depth=1
	v_and_b32_e32 v128, 0xffff, v131
	v_or_b32_e32 v132, 0x10000, v131
	s_delay_alu instid0(VALU_DEP_2) | instskip(NEXT) | instid1(VALU_DEP_1)
	v_cmp_eq_u32_e64 s0, 0, v128
	v_cndmask_b32_e64 v128, v132, v131, s0
; %bb.1141:                             ;   in Loop: Header=BB384_616 Depth=1
	s_or_b32 exec_lo, exec_lo, s12
	v_lshlrev_b32_e32 v129, 16, v129
	s_delay_alu instid0(VALU_DEP_1) | instskip(NEXT) | instid1(VALU_DEP_1)
	v_mul_f32_e32 v131, v66, v129
	v_and_b32_e32 v129, 0x7f800000, v131
	s_delay_alu instid0(VALU_DEP_1) | instskip(NEXT) | instid1(VALU_DEP_1)
	v_cmp_ne_u32_e64 s0, 0x7f800000, v129
                                        ; implicit-def: $vgpr129
	s_and_saveexec_b32 s12, s0
	s_delay_alu instid0(SALU_CYCLE_1)
	s_xor_b32 s0, exec_lo, s12
; %bb.1142:                             ;   in Loop: Header=BB384_616 Depth=1
	v_bfe_u32 v129, v131, 16, 1
	s_delay_alu instid0(VALU_DEP_1)
	v_add3_u32 v129, v131, v129, 0x7fff
                                        ; implicit-def: $vgpr131
; %bb.1143:                             ;   in Loop: Header=BB384_616 Depth=1
	s_and_not1_saveexec_b32 s12, s0
; %bb.1144:                             ;   in Loop: Header=BB384_616 Depth=1
	v_and_b32_e32 v129, 0xffff, v131
	v_or_b32_e32 v132, 0x10000, v131
	s_delay_alu instid0(VALU_DEP_2) | instskip(NEXT) | instid1(VALU_DEP_1)
	v_cmp_eq_u32_e64 s0, 0, v129
	v_cndmask_b32_e64 v129, v132, v131, s0
; %bb.1145:                             ;   in Loop: Header=BB384_616 Depth=1
	s_or_b32 exec_lo, exec_lo, s12
	v_lshlrev_b32_e32 v130, 16, v130
	s_delay_alu instid0(VALU_DEP_1) | instskip(NEXT) | instid1(VALU_DEP_1)
	v_mul_f32_e32 v131, v67, v130
	v_and_b32_e32 v130, 0x7f800000, v131
	s_delay_alu instid0(VALU_DEP_1) | instskip(NEXT) | instid1(VALU_DEP_1)
	v_cmp_ne_u32_e64 s0, 0x7f800000, v130
                                        ; implicit-def: $vgpr130
	s_and_saveexec_b32 s12, s0
	s_delay_alu instid0(SALU_CYCLE_1)
	s_xor_b32 s0, exec_lo, s12
; %bb.1146:                             ;   in Loop: Header=BB384_616 Depth=1
	v_bfe_u32 v130, v131, 16, 1
	s_delay_alu instid0(VALU_DEP_1)
	v_add3_u32 v130, v131, v130, 0x7fff
                                        ; implicit-def: $vgpr131
; %bb.1147:                             ;   in Loop: Header=BB384_616 Depth=1
	s_and_not1_saveexec_b32 s12, s0
; %bb.1148:                             ;   in Loop: Header=BB384_616 Depth=1
	v_and_b32_e32 v130, 0xffff, v131
	v_or_b32_e32 v132, 0x10000, v131
	s_delay_alu instid0(VALU_DEP_2) | instskip(NEXT) | instid1(VALU_DEP_1)
	v_cmp_eq_u32_e64 s0, 0, v130
	v_cndmask_b32_e64 v130, v132, v131, s0
; %bb.1149:                             ;   in Loop: Header=BB384_616 Depth=1
	s_or_b32 exec_lo, exec_lo, s12
	v_lshlrev_b32_e32 v10, 16, v10
	s_delay_alu instid0(VALU_DEP_1) | instskip(NEXT) | instid1(VALU_DEP_1)
	v_mul_f32_e32 v10, v68, v10
	v_and_b32_e32 v131, 0x7f800000, v10
	s_delay_alu instid0(VALU_DEP_1) | instskip(NEXT) | instid1(VALU_DEP_1)
	v_cmp_ne_u32_e64 s0, 0x7f800000, v131
                                        ; implicit-def: $vgpr131
	s_and_saveexec_b32 s12, s0
	s_delay_alu instid0(SALU_CYCLE_1)
	s_xor_b32 s0, exec_lo, s12
; %bb.1150:                             ;   in Loop: Header=BB384_616 Depth=1
	v_bfe_u32 v131, v10, 16, 1
	s_delay_alu instid0(VALU_DEP_1)
	v_add3_u32 v131, v10, v131, 0x7fff
                                        ; implicit-def: $vgpr10
; %bb.1151:                             ;   in Loop: Header=BB384_616 Depth=1
	s_and_not1_saveexec_b32 s12, s0
; %bb.1152:                             ;   in Loop: Header=BB384_616 Depth=1
	v_and_b32_e32 v131, 0xffff, v10
	v_or_b32_e32 v132, 0x10000, v10
	s_delay_alu instid0(VALU_DEP_2) | instskip(NEXT) | instid1(VALU_DEP_1)
	v_cmp_eq_u32_e64 s0, 0, v131
	v_cndmask_b32_e64 v131, v132, v10, s0
; %bb.1153:                             ;   in Loop: Header=BB384_616 Depth=1
	s_or_b32 exec_lo, exec_lo, s12
	v_lshlrev_b32_e32 v8, 16, v8
                                        ; implicit-def: $vgpr132
	s_delay_alu instid0(VALU_DEP_1) | instskip(NEXT) | instid1(VALU_DEP_1)
	v_mul_f32_e32 v8, v69, v8
	v_and_b32_e32 v10, 0x7f800000, v8
	s_delay_alu instid0(VALU_DEP_1) | instskip(NEXT) | instid1(VALU_DEP_1)
	v_cmp_ne_u32_e64 s0, 0x7f800000, v10
	s_and_saveexec_b32 s12, s0
	s_delay_alu instid0(SALU_CYCLE_1)
	s_xor_b32 s0, exec_lo, s12
; %bb.1154:                             ;   in Loop: Header=BB384_616 Depth=1
	v_bfe_u32 v10, v8, 16, 1
	s_delay_alu instid0(VALU_DEP_1)
	v_add3_u32 v132, v8, v10, 0x7fff
                                        ; implicit-def: $vgpr8
; %bb.1155:                             ;   in Loop: Header=BB384_616 Depth=1
	s_and_not1_saveexec_b32 s12, s0
; %bb.1156:                             ;   in Loop: Header=BB384_616 Depth=1
	v_and_b32_e32 v10, 0xffff, v8
	v_or_b32_e32 v132, 0x10000, v8
	s_delay_alu instid0(VALU_DEP_2) | instskip(NEXT) | instid1(VALU_DEP_1)
	v_cmp_eq_u32_e64 s0, 0, v10
	v_cndmask_b32_e64 v132, v132, v8, s0
; %bb.1157:                             ;   in Loop: Header=BB384_616 Depth=1
	s_or_b32 exec_lo, exec_lo, s12
	v_lshlrev_b32_e32 v7, 16, v7
                                        ; implicit-def: $vgpr133
	s_delay_alu instid0(VALU_DEP_1) | instskip(NEXT) | instid1(VALU_DEP_1)
	v_mul_f32_e32 v7, v70, v7
	v_and_b32_e32 v8, 0x7f800000, v7
	s_delay_alu instid0(VALU_DEP_1) | instskip(NEXT) | instid1(VALU_DEP_1)
	v_cmp_ne_u32_e64 s0, 0x7f800000, v8
	s_and_saveexec_b32 s12, s0
	s_delay_alu instid0(SALU_CYCLE_1)
	s_xor_b32 s0, exec_lo, s12
; %bb.1158:                             ;   in Loop: Header=BB384_616 Depth=1
	v_bfe_u32 v8, v7, 16, 1
	s_delay_alu instid0(VALU_DEP_1)
	v_add3_u32 v133, v7, v8, 0x7fff
                                        ; implicit-def: $vgpr7
; %bb.1159:                             ;   in Loop: Header=BB384_616 Depth=1
	s_and_not1_saveexec_b32 s12, s0
; %bb.1160:                             ;   in Loop: Header=BB384_616 Depth=1
	v_and_b32_e32 v8, 0xffff, v7
	v_or_b32_e32 v10, 0x10000, v7
	s_delay_alu instid0(VALU_DEP_2) | instskip(NEXT) | instid1(VALU_DEP_1)
	v_cmp_eq_u32_e64 s0, 0, v8
	v_cndmask_b32_e64 v133, v10, v7, s0
; %bb.1161:                             ;   in Loop: Header=BB384_616 Depth=1
	s_or_b32 exec_lo, exec_lo, s12
	v_lshlrev_b32_e32 v3, 16, v3
                                        ; implicit-def: $vgpr134
	s_delay_alu instid0(VALU_DEP_1) | instskip(NEXT) | instid1(VALU_DEP_1)
	v_mul_f32_e32 v3, v71, v3
	v_and_b32_e32 v7, 0x7f800000, v3
	s_delay_alu instid0(VALU_DEP_1) | instskip(NEXT) | instid1(VALU_DEP_1)
	v_cmp_ne_u32_e64 s0, 0x7f800000, v7
	s_and_saveexec_b32 s12, s0
	s_delay_alu instid0(SALU_CYCLE_1)
	s_xor_b32 s0, exec_lo, s12
; %bb.1162:                             ;   in Loop: Header=BB384_616 Depth=1
	v_bfe_u32 v7, v3, 16, 1
	s_delay_alu instid0(VALU_DEP_1)
	v_add3_u32 v134, v3, v7, 0x7fff
                                        ; implicit-def: $vgpr3
; %bb.1163:                             ;   in Loop: Header=BB384_616 Depth=1
	s_and_not1_saveexec_b32 s12, s0
; %bb.1164:                             ;   in Loop: Header=BB384_616 Depth=1
	v_and_b32_e32 v7, 0xffff, v3
	v_or_b32_e32 v8, 0x10000, v3
	s_delay_alu instid0(VALU_DEP_2) | instskip(NEXT) | instid1(VALU_DEP_1)
	v_cmp_eq_u32_e64 s0, 0, v7
	v_cndmask_b32_e64 v134, v8, v3, s0
; %bb.1165:                             ;   in Loop: Header=BB384_616 Depth=1
	s_or_b32 exec_lo, exec_lo, s12
	v_lshlrev_b32_e32 v2, 16, v2
                                        ; implicit-def: $vgpr135
	s_delay_alu instid0(VALU_DEP_1) | instskip(NEXT) | instid1(VALU_DEP_1)
	v_mul_f32_e32 v2, v80, v2
	v_and_b32_e32 v3, 0x7f800000, v2
	s_delay_alu instid0(VALU_DEP_1) | instskip(NEXT) | instid1(VALU_DEP_1)
	v_cmp_ne_u32_e64 s0, 0x7f800000, v3
	s_and_saveexec_b32 s12, s0
	s_delay_alu instid0(SALU_CYCLE_1)
	s_xor_b32 s0, exec_lo, s12
; %bb.1166:                             ;   in Loop: Header=BB384_616 Depth=1
	v_bfe_u32 v3, v2, 16, 1
	s_delay_alu instid0(VALU_DEP_1)
	v_add3_u32 v135, v2, v3, 0x7fff
                                        ; implicit-def: $vgpr2
; %bb.1167:                             ;   in Loop: Header=BB384_616 Depth=1
	s_and_not1_saveexec_b32 s12, s0
; %bb.1168:                             ;   in Loop: Header=BB384_616 Depth=1
	v_and_b32_e32 v3, 0xffff, v2
	v_or_b32_e32 v7, 0x10000, v2
	s_delay_alu instid0(VALU_DEP_2) | instskip(NEXT) | instid1(VALU_DEP_1)
	v_cmp_eq_u32_e64 s0, 0, v3
	v_cndmask_b32_e64 v135, v7, v2, s0
; %bb.1169:                             ;   in Loop: Header=BB384_616 Depth=1
	s_or_b32 exec_lo, exec_lo, s12
	flat_load_b64 v[2:3], v[0:1] offset:1024
	s_mov_b32 s12, exec_lo
	s_waitcnt vmcnt(0) lgkmcnt(0)
	v_dual_mov_b32 v7, 0 :: v_dual_and_b32 v8, 0xff, v2
	s_delay_alu instid0(VALU_DEP_1)
	v_cmpx_ne_u16_e32 0, v8
	s_cbranch_execz .LBB384_1177
; %bb.1170:                             ;   in Loop: Header=BB384_616 Depth=1
	v_bfrev_b32_e32 v7, 1
	s_mov_b32 s13, exec_lo
	v_cmpx_ne_u16_e32 0x80, v8
	s_cbranch_execz .LBB384_1176
; %bb.1171:                             ;   in Loop: Header=BB384_616 Depth=1
	v_and_b32_e32 v8, 0x7f, v2
	v_mov_b32_e32 v7, 0x7f800001
	s_mov_b32 s15, exec_lo
	s_delay_alu instid0(VALU_DEP_2)
	v_cmpx_ne_u32_e32 0x7f, v8
	s_cbranch_execz .LBB384_1175
; %bb.1172:                             ;   in Loop: Header=BB384_616 Depth=1
	v_lshrrev_b32_e32 v10, 3, v8
	v_cmp_gt_u32_e64 s0, 8, v8
	v_dual_mov_b32 v8, v3 :: v_dual_mov_b32 v7, v2
	s_delay_alu instid0(VALU_DEP_2)
	s_and_saveexec_b32 s16, s0
; %bb.1173:                             ;   in Loop: Header=BB384_616 Depth=1
	v_and_b32_e32 v7, 7, v2
	s_delay_alu instid0(VALU_DEP_1) | instskip(NEXT) | instid1(VALU_DEP_1)
	v_clz_i32_u32_e32 v7, v7
	v_min_u32_e32 v10, 32, v7
	s_delay_alu instid0(VALU_DEP_1) | instskip(SKIP_1) | instid1(VALU_DEP_2)
	v_subrev_nc_u32_e32 v7, 28, v10
	v_sub_nc_u32_e32 v10, 29, v10
	v_lshlrev_b64 v[7:8], v7, v[2:3]
; %bb.1174:                             ;   in Loop: Header=BB384_616 Depth=1
	s_or_b32 exec_lo, exec_lo, s16
	s_delay_alu instid0(VALU_DEP_1) | instskip(SKIP_2) | instid1(VALU_DEP_3)
	v_lshlrev_b32_e32 v7, 20, v7
	v_lshlrev_b32_e32 v8, 24, v2
	v_lshl_add_u32 v10, v10, 23, 0x3c000000
	v_and_b32_e32 v7, 0x700000, v7
	s_delay_alu instid0(VALU_DEP_3) | instskip(NEXT) | instid1(VALU_DEP_1)
	v_and_b32_e32 v8, 0x80000000, v8
	v_or3_b32 v7, v7, v8, v10
.LBB384_1175:                           ;   in Loop: Header=BB384_616 Depth=1
	s_or_b32 exec_lo, exec_lo, s15
.LBB384_1176:                           ;   in Loop: Header=BB384_616 Depth=1
	s_delay_alu instid0(SALU_CYCLE_1)
	s_or_b32 exec_lo, exec_lo, s13
.LBB384_1177:                           ;   in Loop: Header=BB384_616 Depth=1
	s_delay_alu instid0(SALU_CYCLE_1) | instskip(NEXT) | instid1(VALU_DEP_1)
	s_or_b32 exec_lo, exec_lo, s12
	v_mul_f32_e32 v7, v9, v7
                                        ; implicit-def: $vgpr144
	s_delay_alu instid0(VALU_DEP_1) | instskip(NEXT) | instid1(VALU_DEP_1)
	v_and_b32_e32 v8, 0x7f800000, v7
	v_cmp_ne_u32_e64 s0, 0x7f800000, v8
	s_delay_alu instid0(VALU_DEP_1) | instskip(NEXT) | instid1(SALU_CYCLE_1)
	s_and_saveexec_b32 s12, s0
	s_xor_b32 s0, exec_lo, s12
; %bb.1178:                             ;   in Loop: Header=BB384_616 Depth=1
	v_bfe_u32 v8, v7, 16, 1
	s_delay_alu instid0(VALU_DEP_1)
	v_add3_u32 v144, v7, v8, 0x7fff
                                        ; implicit-def: $vgpr7
; %bb.1179:                             ;   in Loop: Header=BB384_616 Depth=1
	s_and_not1_saveexec_b32 s12, s0
; %bb.1180:                             ;   in Loop: Header=BB384_616 Depth=1
	v_and_b32_e32 v8, 0xffff, v7
	v_or_b32_e32 v10, 0x10000, v7
	s_delay_alu instid0(VALU_DEP_2) | instskip(NEXT) | instid1(VALU_DEP_1)
	v_cmp_eq_u32_e64 s0, 0, v8
	v_cndmask_b32_e64 v144, v10, v7, s0
; %bb.1181:                             ;   in Loop: Header=BB384_616 Depth=1
	s_or_b32 exec_lo, exec_lo, s12
	v_lshrrev_b16 v8, 8, v2
	v_mov_b32_e32 v7, 0
	s_mov_b32 s12, exec_lo
	s_delay_alu instid0(VALU_DEP_2)
	v_cmpx_ne_u16_e32 0, v8
	s_cbranch_execz .LBB384_1189
; %bb.1182:                             ;   in Loop: Header=BB384_616 Depth=1
	v_bfrev_b32_e32 v7, 1
	s_mov_b32 s13, exec_lo
	v_cmpx_ne_u16_e32 0x80, v8
	s_cbranch_execz .LBB384_1188
; %bb.1183:                             ;   in Loop: Header=BB384_616 Depth=1
	v_and_b32_e32 v10, 0xffff, v8
	v_mov_b32_e32 v7, 0x7f800001
	s_mov_b32 s15, exec_lo
	s_delay_alu instid0(VALU_DEP_2) | instskip(NEXT) | instid1(VALU_DEP_1)
	v_and_b32_e32 v8, 0x7f, v10
	v_cmpx_ne_u32_e32 0x7f, v8
	s_cbranch_execz .LBB384_1187
; %bb.1184:                             ;   in Loop: Header=BB384_616 Depth=1
	v_and_b32_e32 v10, 7, v10
	v_lshrrev_b32_e32 v7, 3, v8
	s_mov_b32 s16, exec_lo
	v_cmpx_gt_u32_e32 8, v8
; %bb.1185:                             ;   in Loop: Header=BB384_616 Depth=1
	s_delay_alu instid0(VALU_DEP_3) | instskip(NEXT) | instid1(VALU_DEP_1)
	v_clz_i32_u32_e32 v7, v10
	v_min_u32_e32 v7, 32, v7
	s_delay_alu instid0(VALU_DEP_1) | instskip(SKIP_1) | instid1(VALU_DEP_2)
	v_subrev_nc_u32_e32 v8, 28, v7
	v_sub_nc_u32_e32 v7, 29, v7
	v_lshlrev_b64 v[145:146], v8, v[10:11]
	s_delay_alu instid0(VALU_DEP_1)
	v_and_b32_e32 v10, 7, v145
; %bb.1186:                             ;   in Loop: Header=BB384_616 Depth=1
	s_or_b32 exec_lo, exec_lo, s16
	v_lshlrev_b32_e32 v8, 16, v2
	s_delay_alu instid0(VALU_DEP_2) | instskip(SKIP_1) | instid1(VALU_DEP_3)
	v_lshlrev_b32_e32 v10, 20, v10
	v_lshl_add_u32 v7, v7, 23, 0x3c000000
	v_and_b32_e32 v8, 0x80000000, v8
	s_delay_alu instid0(VALU_DEP_1)
	v_or3_b32 v7, v10, v8, v7
.LBB384_1187:                           ;   in Loop: Header=BB384_616 Depth=1
	s_or_b32 exec_lo, exec_lo, s15
.LBB384_1188:                           ;   in Loop: Header=BB384_616 Depth=1
	s_delay_alu instid0(SALU_CYCLE_1)
	s_or_b32 exec_lo, exec_lo, s13
.LBB384_1189:                           ;   in Loop: Header=BB384_616 Depth=1
	s_delay_alu instid0(SALU_CYCLE_1) | instskip(NEXT) | instid1(VALU_DEP_1)
	s_or_b32 exec_lo, exec_lo, s12
	v_mul_f32_e32 v7, v9, v7
                                        ; implicit-def: $vgpr145
	s_delay_alu instid0(VALU_DEP_1) | instskip(NEXT) | instid1(VALU_DEP_1)
	v_and_b32_e32 v8, 0x7f800000, v7
	v_cmp_ne_u32_e64 s0, 0x7f800000, v8
	s_delay_alu instid0(VALU_DEP_1) | instskip(NEXT) | instid1(SALU_CYCLE_1)
	s_and_saveexec_b32 s12, s0
	s_xor_b32 s0, exec_lo, s12
; %bb.1190:                             ;   in Loop: Header=BB384_616 Depth=1
	v_bfe_u32 v8, v7, 16, 1
	s_delay_alu instid0(VALU_DEP_1)
	v_add3_u32 v145, v7, v8, 0x7fff
                                        ; implicit-def: $vgpr7
; %bb.1191:                             ;   in Loop: Header=BB384_616 Depth=1
	s_and_not1_saveexec_b32 s12, s0
; %bb.1192:                             ;   in Loop: Header=BB384_616 Depth=1
	v_and_b32_e32 v8, 0xffff, v7
	v_or_b32_e32 v10, 0x10000, v7
	s_delay_alu instid0(VALU_DEP_2) | instskip(NEXT) | instid1(VALU_DEP_1)
	v_cmp_eq_u32_e64 s0, 0, v8
	v_cndmask_b32_e64 v145, v10, v7, s0
; %bb.1193:                             ;   in Loop: Header=BB384_616 Depth=1
	s_or_b32 exec_lo, exec_lo, s12
	v_lshrrev_b32_e32 v7, 16, v2
	v_mov_b32_e32 v8, 0
	s_mov_b32 s12, exec_lo
	s_delay_alu instid0(VALU_DEP_2) | instskip(NEXT) | instid1(VALU_DEP_1)
	v_and_b32_e32 v10, 0xff, v7
	v_cmpx_ne_u16_e32 0, v10
	s_cbranch_execz .LBB384_1201
; %bb.1194:                             ;   in Loop: Header=BB384_616 Depth=1
	v_bfrev_b32_e32 v8, 1
	s_mov_b32 s13, exec_lo
	v_cmpx_ne_u16_e32 0x80, v10
	s_cbranch_execz .LBB384_1200
; %bb.1195:                             ;   in Loop: Header=BB384_616 Depth=1
	v_bfe_u32 v146, v2, 16, 7
	v_mov_b32_e32 v8, 0x7f800001
	s_mov_b32 s15, exec_lo
	s_delay_alu instid0(VALU_DEP_2)
	v_cmpx_ne_u32_e32 0x7f, v146
	s_cbranch_execz .LBB384_1199
; %bb.1196:                             ;   in Loop: Header=BB384_616 Depth=1
	v_and_b32_e32 v10, 7, v7
	v_lshrrev_b32_e32 v8, 3, v146
	s_mov_b32 s16, exec_lo
	v_cmpx_gt_u32_e32 8, v146
; %bb.1197:                             ;   in Loop: Header=BB384_616 Depth=1
	s_delay_alu instid0(VALU_DEP_3) | instskip(NEXT) | instid1(VALU_DEP_1)
	v_clz_i32_u32_e32 v8, v10
	v_min_u32_e32 v8, 32, v8
	s_delay_alu instid0(VALU_DEP_1) | instskip(SKIP_1) | instid1(VALU_DEP_2)
	v_subrev_nc_u32_e32 v146, 28, v8
	v_sub_nc_u32_e32 v8, 29, v8
	v_lshlrev_b64 v[146:147], v146, v[10:11]
	s_delay_alu instid0(VALU_DEP_1)
	v_and_b32_e32 v10, 7, v146
; %bb.1198:                             ;   in Loop: Header=BB384_616 Depth=1
	s_or_b32 exec_lo, exec_lo, s16
	v_lshlrev_b32_e32 v7, 24, v7
	s_delay_alu instid0(VALU_DEP_2) | instskip(SKIP_1) | instid1(VALU_DEP_3)
	v_lshlrev_b32_e32 v10, 20, v10
	v_lshl_add_u32 v8, v8, 23, 0x3c000000
	v_and_b32_e32 v7, 0x80000000, v7
	s_delay_alu instid0(VALU_DEP_1)
	v_or3_b32 v8, v10, v7, v8
.LBB384_1199:                           ;   in Loop: Header=BB384_616 Depth=1
	s_or_b32 exec_lo, exec_lo, s15
.LBB384_1200:                           ;   in Loop: Header=BB384_616 Depth=1
	s_delay_alu instid0(SALU_CYCLE_1)
	s_or_b32 exec_lo, exec_lo, s13
.LBB384_1201:                           ;   in Loop: Header=BB384_616 Depth=1
	s_delay_alu instid0(SALU_CYCLE_1) | instskip(NEXT) | instid1(VALU_DEP_1)
	s_or_b32 exec_lo, exec_lo, s12
	v_mul_f32_e32 v7, v9, v8
                                        ; implicit-def: $vgpr146
	s_delay_alu instid0(VALU_DEP_1) | instskip(NEXT) | instid1(VALU_DEP_1)
	v_and_b32_e32 v8, 0x7f800000, v7
	v_cmp_ne_u32_e64 s0, 0x7f800000, v8
	s_delay_alu instid0(VALU_DEP_1) | instskip(NEXT) | instid1(SALU_CYCLE_1)
	s_and_saveexec_b32 s12, s0
	s_xor_b32 s0, exec_lo, s12
; %bb.1202:                             ;   in Loop: Header=BB384_616 Depth=1
	v_bfe_u32 v8, v7, 16, 1
	s_delay_alu instid0(VALU_DEP_1)
	v_add3_u32 v146, v7, v8, 0x7fff
                                        ; implicit-def: $vgpr7
; %bb.1203:                             ;   in Loop: Header=BB384_616 Depth=1
	s_and_not1_saveexec_b32 s12, s0
; %bb.1204:                             ;   in Loop: Header=BB384_616 Depth=1
	v_and_b32_e32 v8, 0xffff, v7
	v_or_b32_e32 v10, 0x10000, v7
	s_delay_alu instid0(VALU_DEP_2) | instskip(NEXT) | instid1(VALU_DEP_1)
	v_cmp_eq_u32_e64 s0, 0, v8
	v_cndmask_b32_e64 v146, v10, v7, s0
; %bb.1205:                             ;   in Loop: Header=BB384_616 Depth=1
	s_or_b32 exec_lo, exec_lo, s12
	v_mov_b32_e32 v8, 0
	s_mov_b32 s12, exec_lo
	v_cmpx_lt_u32_e32 0xffffff, v2
	s_cbranch_execz .LBB384_1213
; %bb.1206:                             ;   in Loop: Header=BB384_616 Depth=1
	v_lshrrev_b32_e32 v7, 24, v2
	v_bfrev_b32_e32 v8, 1
	s_mov_b32 s13, exec_lo
	s_delay_alu instid0(VALU_DEP_2)
	v_cmpx_ne_u32_e32 0x80, v7
	s_cbranch_execz .LBB384_1212
; %bb.1207:                             ;   in Loop: Header=BB384_616 Depth=1
	v_bfe_u32 v147, v2, 24, 7
	v_mov_b32_e32 v8, 0x7f800001
	s_mov_b32 s15, exec_lo
	s_delay_alu instid0(VALU_DEP_2)
	v_cmpx_ne_u32_e32 0x7f, v147
	s_cbranch_execz .LBB384_1211
; %bb.1208:                             ;   in Loop: Header=BB384_616 Depth=1
	v_and_b32_e32 v10, 7, v7
	v_lshrrev_b32_e32 v8, 3, v147
	s_mov_b32 s16, exec_lo
	v_cmpx_gt_u32_e32 8, v147
; %bb.1209:                             ;   in Loop: Header=BB384_616 Depth=1
	s_delay_alu instid0(VALU_DEP_3) | instskip(NEXT) | instid1(VALU_DEP_1)
	v_clz_i32_u32_e32 v8, v10
	v_min_u32_e32 v8, 32, v8
	s_delay_alu instid0(VALU_DEP_1) | instskip(SKIP_1) | instid1(VALU_DEP_2)
	v_subrev_nc_u32_e32 v147, 28, v8
	v_sub_nc_u32_e32 v8, 29, v8
	v_lshlrev_b64 v[147:148], v147, v[10:11]
	s_delay_alu instid0(VALU_DEP_1)
	v_and_b32_e32 v10, 7, v147
; %bb.1210:                             ;   in Loop: Header=BB384_616 Depth=1
	s_or_b32 exec_lo, exec_lo, s16
	v_lshlrev_b32_e32 v7, 24, v7
	s_delay_alu instid0(VALU_DEP_2) | instskip(SKIP_1) | instid1(VALU_DEP_3)
	v_lshlrev_b32_e32 v10, 20, v10
	v_lshl_add_u32 v8, v8, 23, 0x3c000000
	v_and_b32_e32 v7, 0x80000000, v7
	s_delay_alu instid0(VALU_DEP_1)
	v_or3_b32 v8, v10, v7, v8
.LBB384_1211:                           ;   in Loop: Header=BB384_616 Depth=1
	s_or_b32 exec_lo, exec_lo, s15
.LBB384_1212:                           ;   in Loop: Header=BB384_616 Depth=1
	s_delay_alu instid0(SALU_CYCLE_1)
	s_or_b32 exec_lo, exec_lo, s13
.LBB384_1213:                           ;   in Loop: Header=BB384_616 Depth=1
	s_delay_alu instid0(SALU_CYCLE_1) | instskip(NEXT) | instid1(VALU_DEP_1)
	s_or_b32 exec_lo, exec_lo, s12
	v_mul_f32_e32 v7, v9, v8
                                        ; implicit-def: $vgpr147
	s_delay_alu instid0(VALU_DEP_1) | instskip(NEXT) | instid1(VALU_DEP_1)
	v_and_b32_e32 v8, 0x7f800000, v7
	v_cmp_ne_u32_e64 s0, 0x7f800000, v8
	s_delay_alu instid0(VALU_DEP_1) | instskip(NEXT) | instid1(SALU_CYCLE_1)
	s_and_saveexec_b32 s12, s0
	s_xor_b32 s0, exec_lo, s12
; %bb.1214:                             ;   in Loop: Header=BB384_616 Depth=1
	v_bfe_u32 v8, v7, 16, 1
	s_delay_alu instid0(VALU_DEP_1)
	v_add3_u32 v147, v7, v8, 0x7fff
                                        ; implicit-def: $vgpr7
; %bb.1215:                             ;   in Loop: Header=BB384_616 Depth=1
	s_and_not1_saveexec_b32 s12, s0
; %bb.1216:                             ;   in Loop: Header=BB384_616 Depth=1
	v_and_b32_e32 v8, 0xffff, v7
	v_or_b32_e32 v10, 0x10000, v7
	s_delay_alu instid0(VALU_DEP_2) | instskip(NEXT) | instid1(VALU_DEP_1)
	v_cmp_eq_u32_e64 s0, 0, v8
	v_cndmask_b32_e64 v147, v10, v7, s0
; %bb.1217:                             ;   in Loop: Header=BB384_616 Depth=1
	s_or_b32 exec_lo, exec_lo, s12
	v_dual_mov_b32 v7, 0 :: v_dual_and_b32 v8, 0xff, v3
	v_mov_b32_e32 v10, v3
	s_mov_b32 s12, exec_lo
	s_delay_alu instid0(VALU_DEP_2)
	v_cmpx_ne_u16_e32 0, v8
	s_cbranch_execz .LBB384_1225
; %bb.1218:                             ;   in Loop: Header=BB384_616 Depth=1
	v_bfrev_b32_e32 v7, 1
	s_mov_b32 s13, exec_lo
	v_cmpx_ne_u16_e32 0x80, v8
	s_cbranch_execz .LBB384_1224
; %bb.1219:                             ;   in Loop: Header=BB384_616 Depth=1
	v_and_b32_e32 v8, 0x7f, v3
	v_mov_b32_e32 v7, 0x7f800001
	s_mov_b32 s15, exec_lo
	s_delay_alu instid0(VALU_DEP_2)
	v_cmpx_ne_u32_e32 0x7f, v8
	s_cbranch_execz .LBB384_1223
; %bb.1220:                             ;   in Loop: Header=BB384_616 Depth=1
	v_lshrrev_b32_e32 v148, 3, v8
	v_cmp_gt_u32_e64 s0, 8, v8
	v_dual_mov_b32 v7, v10 :: v_dual_mov_b32 v8, v11
	s_delay_alu instid0(VALU_DEP_2)
	s_and_saveexec_b32 s16, s0
; %bb.1221:                             ;   in Loop: Header=BB384_616 Depth=1
	v_and_b32_e32 v7, 7, v3
	s_delay_alu instid0(VALU_DEP_1) | instskip(NEXT) | instid1(VALU_DEP_1)
	v_clz_i32_u32_e32 v7, v7
	v_min_u32_e32 v148, 32, v7
	s_delay_alu instid0(VALU_DEP_1) | instskip(SKIP_1) | instid1(VALU_DEP_2)
	v_subrev_nc_u32_e32 v7, 28, v148
	v_sub_nc_u32_e32 v148, 29, v148
	v_lshlrev_b64 v[7:8], v7, v[10:11]
; %bb.1222:                             ;   in Loop: Header=BB384_616 Depth=1
	s_or_b32 exec_lo, exec_lo, s16
	s_delay_alu instid0(VALU_DEP_1) | instskip(SKIP_2) | instid1(VALU_DEP_3)
	v_lshlrev_b32_e32 v7, 20, v7
	v_lshlrev_b32_e32 v8, 24, v10
	v_lshl_add_u32 v148, v148, 23, 0x3c000000
	v_and_b32_e32 v7, 0x700000, v7
	s_delay_alu instid0(VALU_DEP_3) | instskip(NEXT) | instid1(VALU_DEP_1)
	v_and_b32_e32 v8, 0x80000000, v8
	v_or3_b32 v7, v7, v8, v148
.LBB384_1223:                           ;   in Loop: Header=BB384_616 Depth=1
	s_or_b32 exec_lo, exec_lo, s15
.LBB384_1224:                           ;   in Loop: Header=BB384_616 Depth=1
	s_delay_alu instid0(SALU_CYCLE_1)
	s_or_b32 exec_lo, exec_lo, s13
.LBB384_1225:                           ;   in Loop: Header=BB384_616 Depth=1
	s_delay_alu instid0(SALU_CYCLE_1) | instskip(NEXT) | instid1(VALU_DEP_1)
	s_or_b32 exec_lo, exec_lo, s12
	v_mul_f32_e32 v7, v9, v7
                                        ; implicit-def: $vgpr148
	s_delay_alu instid0(VALU_DEP_1) | instskip(NEXT) | instid1(VALU_DEP_1)
	v_and_b32_e32 v8, 0x7f800000, v7
	v_cmp_ne_u32_e64 s0, 0x7f800000, v8
	s_delay_alu instid0(VALU_DEP_1) | instskip(NEXT) | instid1(SALU_CYCLE_1)
	s_and_saveexec_b32 s12, s0
	s_xor_b32 s0, exec_lo, s12
; %bb.1226:                             ;   in Loop: Header=BB384_616 Depth=1
	v_bfe_u32 v8, v7, 16, 1
	s_delay_alu instid0(VALU_DEP_1)
	v_add3_u32 v148, v7, v8, 0x7fff
                                        ; implicit-def: $vgpr7
; %bb.1227:                             ;   in Loop: Header=BB384_616 Depth=1
	s_and_not1_saveexec_b32 s12, s0
; %bb.1228:                             ;   in Loop: Header=BB384_616 Depth=1
	v_and_b32_e32 v8, 0xffff, v7
	v_or_b32_e32 v148, 0x10000, v7
	s_delay_alu instid0(VALU_DEP_2) | instskip(NEXT) | instid1(VALU_DEP_1)
	v_cmp_eq_u32_e64 s0, 0, v8
	v_cndmask_b32_e64 v148, v148, v7, s0
; %bb.1229:                             ;   in Loop: Header=BB384_616 Depth=1
	s_or_b32 exec_lo, exec_lo, s12
	v_lshrrev_b16 v8, 8, v10
	v_mov_b32_e32 v7, 0
	s_mov_b32 s12, exec_lo
	s_delay_alu instid0(VALU_DEP_2)
	v_cmpx_ne_u16_e32 0, v8
	s_cbranch_execz .LBB384_1237
; %bb.1230:                             ;   in Loop: Header=BB384_616 Depth=1
	v_bfrev_b32_e32 v7, 1
	s_mov_b32 s13, exec_lo
	v_cmpx_ne_u16_e32 0x80, v8
	s_cbranch_execz .LBB384_1236
; %bb.1231:                             ;   in Loop: Header=BB384_616 Depth=1
	v_and_b32_e32 v8, 0xffff, v8
	v_mov_b32_e32 v7, 0x7f800001
	s_mov_b32 s15, exec_lo
	s_delay_alu instid0(VALU_DEP_2) | instskip(NEXT) | instid1(VALU_DEP_1)
	v_and_b32_e32 v150, 0x7f, v8
	v_cmpx_ne_u32_e32 0x7f, v150
	s_cbranch_execz .LBB384_1235
; %bb.1232:                             ;   in Loop: Header=BB384_616 Depth=1
	v_dual_mov_b32 v8, v11 :: v_dual_and_b32 v7, 7, v8
	v_lshrrev_b32_e32 v149, 3, v150
	s_mov_b32 s16, exec_lo
	v_cmpx_gt_u32_e32 8, v150
; %bb.1233:                             ;   in Loop: Header=BB384_616 Depth=1
	s_delay_alu instid0(VALU_DEP_3) | instskip(NEXT) | instid1(VALU_DEP_1)
	v_clz_i32_u32_e32 v149, v7
	v_min_u32_e32 v149, 32, v149
	s_delay_alu instid0(VALU_DEP_1) | instskip(SKIP_1) | instid1(VALU_DEP_2)
	v_subrev_nc_u32_e32 v150, 28, v149
	v_sub_nc_u32_e32 v149, 29, v149
	v_lshlrev_b64 v[7:8], v150, v[7:8]
	s_delay_alu instid0(VALU_DEP_1)
	v_and_b32_e32 v7, 7, v7
; %bb.1234:                             ;   in Loop: Header=BB384_616 Depth=1
	s_or_b32 exec_lo, exec_lo, s16
	v_lshlrev_b32_e32 v8, 16, v10
	s_delay_alu instid0(VALU_DEP_2) | instskip(SKIP_1) | instid1(VALU_DEP_3)
	v_lshlrev_b32_e32 v7, 20, v7
	v_lshl_add_u32 v10, v149, 23, 0x3c000000
	v_and_b32_e32 v8, 0x80000000, v8
	s_delay_alu instid0(VALU_DEP_1)
	v_or3_b32 v7, v7, v8, v10
.LBB384_1235:                           ;   in Loop: Header=BB384_616 Depth=1
	s_or_b32 exec_lo, exec_lo, s15
.LBB384_1236:                           ;   in Loop: Header=BB384_616 Depth=1
	s_delay_alu instid0(SALU_CYCLE_1)
	s_or_b32 exec_lo, exec_lo, s13
.LBB384_1237:                           ;   in Loop: Header=BB384_616 Depth=1
	s_delay_alu instid0(SALU_CYCLE_1) | instskip(NEXT) | instid1(VALU_DEP_1)
	s_or_b32 exec_lo, exec_lo, s12
	v_mul_f32_e32 v8, v9, v7
	s_delay_alu instid0(VALU_DEP_1) | instskip(NEXT) | instid1(VALU_DEP_1)
	v_and_b32_e32 v7, 0x7f800000, v8
	v_cmp_ne_u32_e64 s0, 0x7f800000, v7
                                        ; implicit-def: $vgpr7
	s_delay_alu instid0(VALU_DEP_1) | instskip(NEXT) | instid1(SALU_CYCLE_1)
	s_and_saveexec_b32 s12, s0
	s_xor_b32 s0, exec_lo, s12
; %bb.1238:                             ;   in Loop: Header=BB384_616 Depth=1
	v_bfe_u32 v7, v8, 16, 1
	s_delay_alu instid0(VALU_DEP_1)
	v_add3_u32 v7, v8, v7, 0x7fff
                                        ; implicit-def: $vgpr8
; %bb.1239:                             ;   in Loop: Header=BB384_616 Depth=1
	s_and_not1_saveexec_b32 s12, s0
; %bb.1240:                             ;   in Loop: Header=BB384_616 Depth=1
	v_and_b32_e32 v7, 0xffff, v8
	v_or_b32_e32 v10, 0x10000, v8
	s_delay_alu instid0(VALU_DEP_2) | instskip(NEXT) | instid1(VALU_DEP_1)
	v_cmp_eq_u32_e64 s0, 0, v7
	v_cndmask_b32_e64 v7, v10, v8, s0
; %bb.1241:                             ;   in Loop: Header=BB384_616 Depth=1
	s_or_b32 exec_lo, exec_lo, s12
	v_lshrrev_b32_e32 v8, 16, v3
	s_mov_b32 s12, exec_lo
	s_delay_alu instid0(VALU_DEP_1) | instskip(NEXT) | instid1(VALU_DEP_1)
	v_dual_mov_b32 v10, 0 :: v_dual_and_b32 v149, 0xff, v8
	v_cmpx_ne_u16_e64 0, v149
	s_cbranch_execz .LBB384_1249
; %bb.1242:                             ;   in Loop: Header=BB384_616 Depth=1
	v_bfrev_b32_e32 v10, 1
	s_mov_b32 s13, exec_lo
	v_cmpx_ne_u16_e64 0x80, v149
	s_cbranch_execz .LBB384_1248
; %bb.1243:                             ;   in Loop: Header=BB384_616 Depth=1
	v_bfe_u32 v150, v3, 16, 7
	v_mov_b32_e32 v10, 0x7f800001
	s_mov_b32 s15, exec_lo
	s_delay_alu instid0(VALU_DEP_2)
	v_cmpx_ne_u32_e32 0x7f, v150
	s_cbranch_execz .LBB384_1247
; %bb.1244:                             ;   in Loop: Header=BB384_616 Depth=1
	v_and_b32_e32 v10, 7, v8
	v_lshrrev_b32_e32 v149, 3, v150
	s_mov_b32 s16, exec_lo
	v_cmpx_gt_u32_e32 8, v150
; %bb.1245:                             ;   in Loop: Header=BB384_616 Depth=1
	s_delay_alu instid0(VALU_DEP_3) | instskip(NEXT) | instid1(VALU_DEP_1)
	v_clz_i32_u32_e32 v149, v10
	v_min_u32_e32 v149, 32, v149
	s_delay_alu instid0(VALU_DEP_1) | instskip(SKIP_1) | instid1(VALU_DEP_2)
	v_subrev_nc_u32_e32 v150, 28, v149
	v_sub_nc_u32_e32 v149, 29, v149
	v_lshlrev_b64 v[150:151], v150, v[10:11]
	s_delay_alu instid0(VALU_DEP_1)
	v_and_b32_e32 v10, 7, v150
; %bb.1246:                             ;   in Loop: Header=BB384_616 Depth=1
	s_or_b32 exec_lo, exec_lo, s16
	v_lshlrev_b32_e32 v8, 24, v8
	s_delay_alu instid0(VALU_DEP_2) | instskip(SKIP_1) | instid1(VALU_DEP_3)
	v_lshlrev_b32_e32 v10, 20, v10
	v_lshl_add_u32 v149, v149, 23, 0x3c000000
	v_and_b32_e32 v8, 0x80000000, v8
	s_delay_alu instid0(VALU_DEP_1)
	v_or3_b32 v10, v10, v8, v149
.LBB384_1247:                           ;   in Loop: Header=BB384_616 Depth=1
	s_or_b32 exec_lo, exec_lo, s15
.LBB384_1248:                           ;   in Loop: Header=BB384_616 Depth=1
	s_delay_alu instid0(SALU_CYCLE_1)
	s_or_b32 exec_lo, exec_lo, s13
.LBB384_1249:                           ;   in Loop: Header=BB384_616 Depth=1
	s_delay_alu instid0(SALU_CYCLE_1) | instskip(NEXT) | instid1(VALU_DEP_1)
	s_or_b32 exec_lo, exec_lo, s12
	v_mul_f32_e32 v10, v9, v10
	s_delay_alu instid0(VALU_DEP_1) | instskip(NEXT) | instid1(VALU_DEP_1)
	v_and_b32_e32 v8, 0x7f800000, v10
	v_cmp_ne_u32_e64 s0, 0x7f800000, v8
                                        ; implicit-def: $vgpr8
	s_delay_alu instid0(VALU_DEP_1) | instskip(NEXT) | instid1(SALU_CYCLE_1)
	s_and_saveexec_b32 s12, s0
	s_xor_b32 s0, exec_lo, s12
; %bb.1250:                             ;   in Loop: Header=BB384_616 Depth=1
	v_bfe_u32 v8, v10, 16, 1
	s_delay_alu instid0(VALU_DEP_1)
	v_add3_u32 v8, v10, v8, 0x7fff
                                        ; implicit-def: $vgpr10
; %bb.1251:                             ;   in Loop: Header=BB384_616 Depth=1
	s_and_not1_saveexec_b32 s12, s0
; %bb.1252:                             ;   in Loop: Header=BB384_616 Depth=1
	v_and_b32_e32 v8, 0xffff, v10
	v_or_b32_e32 v149, 0x10000, v10
	s_delay_alu instid0(VALU_DEP_2) | instskip(NEXT) | instid1(VALU_DEP_1)
	v_cmp_eq_u32_e64 s0, 0, v8
	v_cndmask_b32_e64 v8, v149, v10, s0
; %bb.1253:                             ;   in Loop: Header=BB384_616 Depth=1
	s_or_b32 exec_lo, exec_lo, s12
	v_mov_b32_e32 v10, 0
	s_mov_b32 s12, exec_lo
	v_cmpx_lt_u64_e64 s[8:9], v[2:3]
	s_cbranch_execz .LBB384_1261
; %bb.1254:                             ;   in Loop: Header=BB384_616 Depth=1
	v_lshrrev_b32_e32 v2, 24, v3
	v_bfrev_b32_e32 v10, 1
	s_mov_b32 s13, exec_lo
	s_delay_alu instid0(VALU_DEP_2)
	v_cmpx_ne_u32_e32 0x80, v2
	s_cbranch_execz .LBB384_1260
; %bb.1255:                             ;   in Loop: Header=BB384_616 Depth=1
	v_bfe_u32 v149, v3, 24, 7
	v_mov_b32_e32 v10, 0x7f800001
	s_mov_b32 s15, exec_lo
	s_delay_alu instid0(VALU_DEP_2)
	v_cmpx_ne_u32_e32 0x7f, v149
	s_cbranch_execz .LBB384_1259
; %bb.1256:                             ;   in Loop: Header=BB384_616 Depth=1
	v_and_b32_e32 v10, 7, v2
	v_lshrrev_b32_e32 v3, 3, v149
	s_mov_b32 s16, exec_lo
	v_cmpx_gt_u32_e32 8, v149
; %bb.1257:                             ;   in Loop: Header=BB384_616 Depth=1
	s_delay_alu instid0(VALU_DEP_3) | instskip(NEXT) | instid1(VALU_DEP_1)
	v_clz_i32_u32_e32 v3, v10
	v_min_u32_e32 v3, 32, v3
	s_delay_alu instid0(VALU_DEP_1) | instskip(SKIP_1) | instid1(VALU_DEP_2)
	v_subrev_nc_u32_e32 v149, 28, v3
	v_sub_nc_u32_e32 v3, 29, v3
	v_lshlrev_b64 v[149:150], v149, v[10:11]
	s_delay_alu instid0(VALU_DEP_1)
	v_and_b32_e32 v10, 7, v149
; %bb.1258:                             ;   in Loop: Header=BB384_616 Depth=1
	s_or_b32 exec_lo, exec_lo, s16
	v_lshlrev_b32_e32 v2, 24, v2
	s_delay_alu instid0(VALU_DEP_2) | instskip(SKIP_1) | instid1(VALU_DEP_3)
	v_lshlrev_b32_e32 v10, 20, v10
	v_lshl_add_u32 v3, v3, 23, 0x3c000000
	v_and_b32_e32 v2, 0x80000000, v2
	s_delay_alu instid0(VALU_DEP_1)
	v_or3_b32 v10, v10, v2, v3
.LBB384_1259:                           ;   in Loop: Header=BB384_616 Depth=1
	s_or_b32 exec_lo, exec_lo, s15
.LBB384_1260:                           ;   in Loop: Header=BB384_616 Depth=1
	s_delay_alu instid0(SALU_CYCLE_1)
	s_or_b32 exec_lo, exec_lo, s13
.LBB384_1261:                           ;   in Loop: Header=BB384_616 Depth=1
	s_delay_alu instid0(SALU_CYCLE_1) | instskip(NEXT) | instid1(VALU_DEP_1)
	s_or_b32 exec_lo, exec_lo, s12
	v_mul_f32_e32 v3, v9, v10
	s_delay_alu instid0(VALU_DEP_1) | instskip(NEXT) | instid1(VALU_DEP_1)
	v_and_b32_e32 v2, 0x7f800000, v3
	v_cmp_ne_u32_e64 s0, 0x7f800000, v2
                                        ; implicit-def: $vgpr2
	s_delay_alu instid0(VALU_DEP_1) | instskip(NEXT) | instid1(SALU_CYCLE_1)
	s_and_saveexec_b32 s12, s0
	s_xor_b32 s0, exec_lo, s12
; %bb.1262:                             ;   in Loop: Header=BB384_616 Depth=1
	v_bfe_u32 v2, v3, 16, 1
	s_delay_alu instid0(VALU_DEP_1)
	v_add3_u32 v2, v3, v2, 0x7fff
                                        ; implicit-def: $vgpr3
; %bb.1263:                             ;   in Loop: Header=BB384_616 Depth=1
	s_and_not1_saveexec_b32 s12, s0
; %bb.1264:                             ;   in Loop: Header=BB384_616 Depth=1
	v_and_b32_e32 v2, 0xffff, v3
	v_or_b32_e32 v10, 0x10000, v3
	s_delay_alu instid0(VALU_DEP_2) | instskip(NEXT) | instid1(VALU_DEP_1)
	v_cmp_eq_u32_e64 s0, 0, v2
	v_cndmask_b32_e64 v2, v10, v3, s0
; %bb.1265:                             ;   in Loop: Header=BB384_616 Depth=1
	s_or_b32 exec_lo, exec_lo, s12
	v_lshrrev_b32_e32 v10, 16, v7
	v_lshrrev_b32_e32 v148, 16, v148
	;; [unrolled: 1-line block ×8, first 2 shown]
	s_and_saveexec_b32 s12, vcc_lo
	s_cbranch_execz .LBB384_1267
; %bb.1266:                             ;   in Loop: Header=BB384_616 Depth=1
	v_cmp_lt_i32_e64 s0, v23, v83
	s_delay_alu instid0(VALU_DEP_1) | instskip(SKIP_1) | instid1(VALU_DEP_1)
	v_cndmask_b32_e64 v7, 0, v7, s0
	v_cmp_lt_i32_e64 s0, v55, v83
	v_cndmask_b32_e64 v145, 0, v145, s0
	v_cmp_lt_i32_e64 s0, v54, v83
	s_delay_alu instid0(VALU_DEP_1) | instskip(SKIP_1) | instid1(VALU_DEP_1)
	v_cndmask_b32_e64 v146, 0, v146, s0
	v_cmp_lt_i32_e64 s0, v53, v83
	v_cndmask_b32_e64 v147, 0, v147, s0
	;; [unrolled: 5-line block ×4, first 2 shown]
.LBB384_1267:                           ;   in Loop: Header=BB384_616 Depth=1
	s_or_b32 exec_lo, exec_lo, s12
	v_lshlrev_b32_e32 v7, 16, v7
	s_delay_alu instid0(VALU_DEP_1) | instskip(NEXT) | instid1(VALU_DEP_1)
	v_mul_f32_e32 v8, v65, v7
	v_and_b32_e32 v7, 0x7f800000, v8
	s_delay_alu instid0(VALU_DEP_1) | instskip(NEXT) | instid1(VALU_DEP_1)
	v_cmp_ne_u32_e64 s0, 0x7f800000, v7
                                        ; implicit-def: $vgpr7
	s_and_saveexec_b32 s12, s0
	s_delay_alu instid0(SALU_CYCLE_1)
	s_xor_b32 s0, exec_lo, s12
; %bb.1268:                             ;   in Loop: Header=BB384_616 Depth=1
	v_bfe_u32 v7, v8, 16, 1
	s_delay_alu instid0(VALU_DEP_1)
	v_add3_u32 v7, v8, v7, 0x7fff
                                        ; implicit-def: $vgpr8
; %bb.1269:                             ;   in Loop: Header=BB384_616 Depth=1
	s_and_not1_saveexec_b32 s12, s0
; %bb.1270:                             ;   in Loop: Header=BB384_616 Depth=1
	v_and_b32_e32 v7, 0xffff, v8
	v_or_b32_e32 v144, 0x10000, v8
	s_delay_alu instid0(VALU_DEP_2) | instskip(NEXT) | instid1(VALU_DEP_1)
	v_cmp_eq_u32_e64 s0, 0, v7
	v_cndmask_b32_e64 v7, v144, v8, s0
; %bb.1271:                             ;   in Loop: Header=BB384_616 Depth=1
	s_or_b32 exec_lo, exec_lo, s12
	v_lshlrev_b32_e32 v8, 16, v145
	s_delay_alu instid0(VALU_DEP_1) | instskip(NEXT) | instid1(VALU_DEP_1)
	v_mul_f32_e32 v144, v66, v8
	v_and_b32_e32 v8, 0x7f800000, v144
	s_delay_alu instid0(VALU_DEP_1) | instskip(NEXT) | instid1(VALU_DEP_1)
	v_cmp_ne_u32_e64 s0, 0x7f800000, v8
                                        ; implicit-def: $vgpr8
	s_and_saveexec_b32 s12, s0
	s_delay_alu instid0(SALU_CYCLE_1)
	s_xor_b32 s0, exec_lo, s12
; %bb.1272:                             ;   in Loop: Header=BB384_616 Depth=1
	v_bfe_u32 v8, v144, 16, 1
	s_delay_alu instid0(VALU_DEP_1)
	v_add3_u32 v8, v144, v8, 0x7fff
                                        ; implicit-def: $vgpr144
; %bb.1273:                             ;   in Loop: Header=BB384_616 Depth=1
	s_and_not1_saveexec_b32 s12, s0
; %bb.1274:                             ;   in Loop: Header=BB384_616 Depth=1
	v_and_b32_e32 v8, 0xffff, v144
	v_or_b32_e32 v145, 0x10000, v144
	s_delay_alu instid0(VALU_DEP_2) | instskip(NEXT) | instid1(VALU_DEP_1)
	v_cmp_eq_u32_e64 s0, 0, v8
	v_cndmask_b32_e64 v8, v145, v144, s0
; %bb.1275:                             ;   in Loop: Header=BB384_616 Depth=1
	s_or_b32 exec_lo, exec_lo, s12
	v_lshlrev_b32_e32 v144, 16, v146
	s_delay_alu instid0(VALU_DEP_1) | instskip(NEXT) | instid1(VALU_DEP_1)
	v_mul_f32_e32 v145, v67, v144
	v_and_b32_e32 v144, 0x7f800000, v145
	s_delay_alu instid0(VALU_DEP_1) | instskip(NEXT) | instid1(VALU_DEP_1)
	v_cmp_ne_u32_e64 s0, 0x7f800000, v144
                                        ; implicit-def: $vgpr144
	s_and_saveexec_b32 s12, s0
	s_delay_alu instid0(SALU_CYCLE_1)
	s_xor_b32 s0, exec_lo, s12
; %bb.1276:                             ;   in Loop: Header=BB384_616 Depth=1
	v_bfe_u32 v144, v145, 16, 1
	s_delay_alu instid0(VALU_DEP_1)
	v_add3_u32 v144, v145, v144, 0x7fff
                                        ; implicit-def: $vgpr145
; %bb.1277:                             ;   in Loop: Header=BB384_616 Depth=1
	s_and_not1_saveexec_b32 s12, s0
; %bb.1278:                             ;   in Loop: Header=BB384_616 Depth=1
	v_and_b32_e32 v144, 0xffff, v145
	v_or_b32_e32 v146, 0x10000, v145
	s_delay_alu instid0(VALU_DEP_2) | instskip(NEXT) | instid1(VALU_DEP_1)
	v_cmp_eq_u32_e64 s0, 0, v144
	v_cndmask_b32_e64 v144, v146, v145, s0
; %bb.1279:                             ;   in Loop: Header=BB384_616 Depth=1
	s_or_b32 exec_lo, exec_lo, s12
	v_lshlrev_b32_e32 v145, 16, v147
	s_delay_alu instid0(VALU_DEP_1) | instskip(NEXT) | instid1(VALU_DEP_1)
	v_mul_f32_e32 v146, v68, v145
	v_and_b32_e32 v145, 0x7f800000, v146
	s_delay_alu instid0(VALU_DEP_1) | instskip(NEXT) | instid1(VALU_DEP_1)
	v_cmp_ne_u32_e64 s0, 0x7f800000, v145
                                        ; implicit-def: $vgpr145
	s_and_saveexec_b32 s12, s0
	s_delay_alu instid0(SALU_CYCLE_1)
	s_xor_b32 s0, exec_lo, s12
; %bb.1280:                             ;   in Loop: Header=BB384_616 Depth=1
	v_bfe_u32 v145, v146, 16, 1
	s_delay_alu instid0(VALU_DEP_1)
	v_add3_u32 v145, v146, v145, 0x7fff
                                        ; implicit-def: $vgpr146
; %bb.1281:                             ;   in Loop: Header=BB384_616 Depth=1
	s_and_not1_saveexec_b32 s12, s0
; %bb.1282:                             ;   in Loop: Header=BB384_616 Depth=1
	v_and_b32_e32 v145, 0xffff, v146
	v_or_b32_e32 v147, 0x10000, v146
	s_delay_alu instid0(VALU_DEP_2) | instskip(NEXT) | instid1(VALU_DEP_1)
	v_cmp_eq_u32_e64 s0, 0, v145
	v_cndmask_b32_e64 v145, v147, v146, s0
; %bb.1283:                             ;   in Loop: Header=BB384_616 Depth=1
	s_or_b32 exec_lo, exec_lo, s12
	v_lshlrev_b32_e32 v146, 16, v148
	s_delay_alu instid0(VALU_DEP_1) | instskip(NEXT) | instid1(VALU_DEP_1)
	v_mul_f32_e32 v147, v69, v146
	v_and_b32_e32 v146, 0x7f800000, v147
	s_delay_alu instid0(VALU_DEP_1) | instskip(NEXT) | instid1(VALU_DEP_1)
	v_cmp_ne_u32_e64 s0, 0x7f800000, v146
                                        ; implicit-def: $vgpr146
	s_and_saveexec_b32 s12, s0
	s_delay_alu instid0(SALU_CYCLE_1)
	s_xor_b32 s0, exec_lo, s12
; %bb.1284:                             ;   in Loop: Header=BB384_616 Depth=1
	v_bfe_u32 v146, v147, 16, 1
	s_delay_alu instid0(VALU_DEP_1)
	v_add3_u32 v146, v147, v146, 0x7fff
                                        ; implicit-def: $vgpr147
; %bb.1285:                             ;   in Loop: Header=BB384_616 Depth=1
	s_and_not1_saveexec_b32 s12, s0
; %bb.1286:                             ;   in Loop: Header=BB384_616 Depth=1
	v_and_b32_e32 v146, 0xffff, v147
	v_or_b32_e32 v148, 0x10000, v147
	s_delay_alu instid0(VALU_DEP_2) | instskip(NEXT) | instid1(VALU_DEP_1)
	v_cmp_eq_u32_e64 s0, 0, v146
	v_cndmask_b32_e64 v146, v148, v147, s0
; %bb.1287:                             ;   in Loop: Header=BB384_616 Depth=1
	s_or_b32 exec_lo, exec_lo, s12
	v_lshlrev_b32_e32 v10, 16, v10
	s_delay_alu instid0(VALU_DEP_1) | instskip(NEXT) | instid1(VALU_DEP_1)
	v_mul_f32_e32 v10, v70, v10
	v_and_b32_e32 v147, 0x7f800000, v10
	s_delay_alu instid0(VALU_DEP_1) | instskip(NEXT) | instid1(VALU_DEP_1)
	v_cmp_ne_u32_e64 s0, 0x7f800000, v147
                                        ; implicit-def: $vgpr147
	s_and_saveexec_b32 s12, s0
	s_delay_alu instid0(SALU_CYCLE_1)
	s_xor_b32 s0, exec_lo, s12
; %bb.1288:                             ;   in Loop: Header=BB384_616 Depth=1
	v_bfe_u32 v147, v10, 16, 1
	s_delay_alu instid0(VALU_DEP_1)
	v_add3_u32 v147, v10, v147, 0x7fff
                                        ; implicit-def: $vgpr10
; %bb.1289:                             ;   in Loop: Header=BB384_616 Depth=1
	s_and_not1_saveexec_b32 s12, s0
; %bb.1290:                             ;   in Loop: Header=BB384_616 Depth=1
	v_and_b32_e32 v147, 0xffff, v10
	v_or_b32_e32 v148, 0x10000, v10
	s_delay_alu instid0(VALU_DEP_2) | instskip(NEXT) | instid1(VALU_DEP_1)
	v_cmp_eq_u32_e64 s0, 0, v147
	v_cndmask_b32_e64 v147, v148, v10, s0
; %bb.1291:                             ;   in Loop: Header=BB384_616 Depth=1
	s_or_b32 exec_lo, exec_lo, s12
	v_lshlrev_b32_e32 v3, 16, v3
                                        ; implicit-def: $vgpr148
	s_delay_alu instid0(VALU_DEP_1) | instskip(NEXT) | instid1(VALU_DEP_1)
	v_mul_f32_e32 v3, v71, v3
	v_and_b32_e32 v10, 0x7f800000, v3
	s_delay_alu instid0(VALU_DEP_1) | instskip(NEXT) | instid1(VALU_DEP_1)
	v_cmp_ne_u32_e64 s0, 0x7f800000, v10
	s_and_saveexec_b32 s12, s0
	s_delay_alu instid0(SALU_CYCLE_1)
	s_xor_b32 s0, exec_lo, s12
; %bb.1292:                             ;   in Loop: Header=BB384_616 Depth=1
	v_bfe_u32 v10, v3, 16, 1
	s_delay_alu instid0(VALU_DEP_1)
	v_add3_u32 v148, v3, v10, 0x7fff
                                        ; implicit-def: $vgpr3
; %bb.1293:                             ;   in Loop: Header=BB384_616 Depth=1
	s_and_not1_saveexec_b32 s12, s0
; %bb.1294:                             ;   in Loop: Header=BB384_616 Depth=1
	v_and_b32_e32 v10, 0xffff, v3
	v_or_b32_e32 v148, 0x10000, v3
	s_delay_alu instid0(VALU_DEP_2) | instskip(NEXT) | instid1(VALU_DEP_1)
	v_cmp_eq_u32_e64 s0, 0, v10
	v_cndmask_b32_e64 v148, v148, v3, s0
; %bb.1295:                             ;   in Loop: Header=BB384_616 Depth=1
	s_or_b32 exec_lo, exec_lo, s12
	v_lshlrev_b32_e32 v2, 16, v2
                                        ; implicit-def: $vgpr149
	s_delay_alu instid0(VALU_DEP_1) | instskip(NEXT) | instid1(VALU_DEP_1)
	v_mul_f32_e32 v2, v80, v2
	v_and_b32_e32 v3, 0x7f800000, v2
	s_delay_alu instid0(VALU_DEP_1) | instskip(NEXT) | instid1(VALU_DEP_1)
	v_cmp_ne_u32_e64 s0, 0x7f800000, v3
	s_and_saveexec_b32 s12, s0
	s_delay_alu instid0(SALU_CYCLE_1)
	s_xor_b32 s0, exec_lo, s12
; %bb.1296:                             ;   in Loop: Header=BB384_616 Depth=1
	v_bfe_u32 v3, v2, 16, 1
	s_delay_alu instid0(VALU_DEP_1)
	v_add3_u32 v149, v2, v3, 0x7fff
                                        ; implicit-def: $vgpr2
; %bb.1297:                             ;   in Loop: Header=BB384_616 Depth=1
	s_and_not1_saveexec_b32 s12, s0
; %bb.1298:                             ;   in Loop: Header=BB384_616 Depth=1
	v_and_b32_e32 v3, 0xffff, v2
	v_or_b32_e32 v10, 0x10000, v2
	s_delay_alu instid0(VALU_DEP_2) | instskip(NEXT) | instid1(VALU_DEP_1)
	v_cmp_eq_u32_e64 s0, 0, v3
	v_cndmask_b32_e64 v149, v10, v2, s0
; %bb.1299:                             ;   in Loop: Header=BB384_616 Depth=1
	s_or_b32 exec_lo, exec_lo, s12
	flat_load_b64 v[0:1], v[0:1] offset:1280
	s_mov_b32 s12, exec_lo
	s_waitcnt vmcnt(0) lgkmcnt(0)
	v_dual_mov_b32 v2, 0 :: v_dual_and_b32 v3, 0xff, v0
	s_delay_alu instid0(VALU_DEP_1)
	v_cmpx_ne_u16_e32 0, v3
	s_cbranch_execz .LBB384_1307
; %bb.1300:                             ;   in Loop: Header=BB384_616 Depth=1
	v_bfrev_b32_e32 v2, 1
	s_mov_b32 s13, exec_lo
	v_cmpx_ne_u16_e32 0x80, v3
	s_cbranch_execz .LBB384_1306
; %bb.1301:                             ;   in Loop: Header=BB384_616 Depth=1
	v_and_b32_e32 v3, 0x7f, v0
	v_mov_b32_e32 v2, 0x7f800001
	s_mov_b32 s15, exec_lo
	s_delay_alu instid0(VALU_DEP_2)
	v_cmpx_ne_u32_e32 0x7f, v3
	s_cbranch_execz .LBB384_1305
; %bb.1302:                             ;   in Loop: Header=BB384_616 Depth=1
	v_lshrrev_b32_e32 v10, 3, v3
	v_cmp_gt_u32_e64 s0, 8, v3
	v_dual_mov_b32 v3, v1 :: v_dual_mov_b32 v2, v0
	s_delay_alu instid0(VALU_DEP_2)
	s_and_saveexec_b32 s16, s0
; %bb.1303:                             ;   in Loop: Header=BB384_616 Depth=1
	v_and_b32_e32 v2, 7, v0
	s_delay_alu instid0(VALU_DEP_1) | instskip(NEXT) | instid1(VALU_DEP_1)
	v_clz_i32_u32_e32 v2, v2
	v_min_u32_e32 v10, 32, v2
	s_delay_alu instid0(VALU_DEP_1) | instskip(SKIP_1) | instid1(VALU_DEP_2)
	v_subrev_nc_u32_e32 v2, 28, v10
	v_sub_nc_u32_e32 v10, 29, v10
	v_lshlrev_b64 v[2:3], v2, v[0:1]
; %bb.1304:                             ;   in Loop: Header=BB384_616 Depth=1
	s_or_b32 exec_lo, exec_lo, s16
	s_delay_alu instid0(VALU_DEP_1) | instskip(SKIP_2) | instid1(VALU_DEP_3)
	v_lshlrev_b32_e32 v2, 20, v2
	v_lshlrev_b32_e32 v3, 24, v0
	v_lshl_add_u32 v10, v10, 23, 0x3c000000
	v_and_b32_e32 v2, 0x700000, v2
	s_delay_alu instid0(VALU_DEP_3) | instskip(NEXT) | instid1(VALU_DEP_1)
	v_and_b32_e32 v3, 0x80000000, v3
	v_or3_b32 v2, v2, v3, v10
.LBB384_1305:                           ;   in Loop: Header=BB384_616 Depth=1
	s_or_b32 exec_lo, exec_lo, s15
.LBB384_1306:                           ;   in Loop: Header=BB384_616 Depth=1
	s_delay_alu instid0(SALU_CYCLE_1)
	s_or_b32 exec_lo, exec_lo, s13
.LBB384_1307:                           ;   in Loop: Header=BB384_616 Depth=1
	s_delay_alu instid0(SALU_CYCLE_1) | instskip(NEXT) | instid1(VALU_DEP_1)
	s_or_b32 exec_lo, exec_lo, s12
	v_mul_f32_e32 v2, v9, v2
                                        ; implicit-def: $vgpr150
	s_delay_alu instid0(VALU_DEP_1) | instskip(NEXT) | instid1(VALU_DEP_1)
	v_and_b32_e32 v3, 0x7f800000, v2
	v_cmp_ne_u32_e64 s0, 0x7f800000, v3
	s_delay_alu instid0(VALU_DEP_1) | instskip(NEXT) | instid1(SALU_CYCLE_1)
	s_and_saveexec_b32 s12, s0
	s_xor_b32 s0, exec_lo, s12
; %bb.1308:                             ;   in Loop: Header=BB384_616 Depth=1
	v_bfe_u32 v3, v2, 16, 1
	s_delay_alu instid0(VALU_DEP_1)
	v_add3_u32 v150, v2, v3, 0x7fff
                                        ; implicit-def: $vgpr2
; %bb.1309:                             ;   in Loop: Header=BB384_616 Depth=1
	s_and_not1_saveexec_b32 s12, s0
; %bb.1310:                             ;   in Loop: Header=BB384_616 Depth=1
	v_and_b32_e32 v3, 0xffff, v2
	v_or_b32_e32 v10, 0x10000, v2
	s_delay_alu instid0(VALU_DEP_2) | instskip(NEXT) | instid1(VALU_DEP_1)
	v_cmp_eq_u32_e64 s0, 0, v3
	v_cndmask_b32_e64 v150, v10, v2, s0
; %bb.1311:                             ;   in Loop: Header=BB384_616 Depth=1
	s_or_b32 exec_lo, exec_lo, s12
	v_lshrrev_b16 v3, 8, v0
	v_mov_b32_e32 v2, 0
	s_mov_b32 s12, exec_lo
	s_delay_alu instid0(VALU_DEP_2)
	v_cmpx_ne_u16_e32 0, v3
	s_cbranch_execz .LBB384_1319
; %bb.1312:                             ;   in Loop: Header=BB384_616 Depth=1
	v_bfrev_b32_e32 v2, 1
	s_mov_b32 s13, exec_lo
	v_cmpx_ne_u16_e32 0x80, v3
	s_cbranch_execz .LBB384_1318
; %bb.1313:                             ;   in Loop: Header=BB384_616 Depth=1
	v_and_b32_e32 v10, 0xffff, v3
	v_mov_b32_e32 v2, 0x7f800001
	s_mov_b32 s15, exec_lo
	s_delay_alu instid0(VALU_DEP_2) | instskip(NEXT) | instid1(VALU_DEP_1)
	v_and_b32_e32 v3, 0x7f, v10
	v_cmpx_ne_u32_e32 0x7f, v3
	s_cbranch_execz .LBB384_1317
; %bb.1314:                             ;   in Loop: Header=BB384_616 Depth=1
	v_and_b32_e32 v10, 7, v10
	v_lshrrev_b32_e32 v2, 3, v3
	s_mov_b32 s16, exec_lo
	v_cmpx_gt_u32_e32 8, v3
; %bb.1315:                             ;   in Loop: Header=BB384_616 Depth=1
	s_delay_alu instid0(VALU_DEP_3) | instskip(NEXT) | instid1(VALU_DEP_1)
	v_clz_i32_u32_e32 v2, v10
	v_min_u32_e32 v2, 32, v2
	s_delay_alu instid0(VALU_DEP_1) | instskip(SKIP_1) | instid1(VALU_DEP_2)
	v_subrev_nc_u32_e32 v3, 28, v2
	v_sub_nc_u32_e32 v2, 29, v2
	v_lshlrev_b64 v[160:161], v3, v[10:11]
	s_delay_alu instid0(VALU_DEP_1)
	v_and_b32_e32 v10, 7, v160
; %bb.1316:                             ;   in Loop: Header=BB384_616 Depth=1
	s_or_b32 exec_lo, exec_lo, s16
	v_lshlrev_b32_e32 v3, 16, v0
	s_delay_alu instid0(VALU_DEP_2) | instskip(SKIP_1) | instid1(VALU_DEP_3)
	v_lshlrev_b32_e32 v10, 20, v10
	v_lshl_add_u32 v2, v2, 23, 0x3c000000
	v_and_b32_e32 v3, 0x80000000, v3
	s_delay_alu instid0(VALU_DEP_1)
	v_or3_b32 v2, v10, v3, v2
.LBB384_1317:                           ;   in Loop: Header=BB384_616 Depth=1
	s_or_b32 exec_lo, exec_lo, s15
.LBB384_1318:                           ;   in Loop: Header=BB384_616 Depth=1
	s_delay_alu instid0(SALU_CYCLE_1)
	s_or_b32 exec_lo, exec_lo, s13
.LBB384_1319:                           ;   in Loop: Header=BB384_616 Depth=1
	s_delay_alu instid0(SALU_CYCLE_1) | instskip(NEXT) | instid1(VALU_DEP_1)
	s_or_b32 exec_lo, exec_lo, s12
	v_mul_f32_e32 v2, v9, v2
                                        ; implicit-def: $vgpr151
	s_delay_alu instid0(VALU_DEP_1) | instskip(NEXT) | instid1(VALU_DEP_1)
	v_and_b32_e32 v3, 0x7f800000, v2
	v_cmp_ne_u32_e64 s0, 0x7f800000, v3
	s_delay_alu instid0(VALU_DEP_1) | instskip(NEXT) | instid1(SALU_CYCLE_1)
	s_and_saveexec_b32 s12, s0
	s_xor_b32 s0, exec_lo, s12
; %bb.1320:                             ;   in Loop: Header=BB384_616 Depth=1
	v_bfe_u32 v3, v2, 16, 1
	s_delay_alu instid0(VALU_DEP_1)
	v_add3_u32 v151, v2, v3, 0x7fff
                                        ; implicit-def: $vgpr2
; %bb.1321:                             ;   in Loop: Header=BB384_616 Depth=1
	s_and_not1_saveexec_b32 s12, s0
; %bb.1322:                             ;   in Loop: Header=BB384_616 Depth=1
	v_and_b32_e32 v3, 0xffff, v2
	v_or_b32_e32 v10, 0x10000, v2
	s_delay_alu instid0(VALU_DEP_2) | instskip(NEXT) | instid1(VALU_DEP_1)
	v_cmp_eq_u32_e64 s0, 0, v3
	v_cndmask_b32_e64 v151, v10, v2, s0
; %bb.1323:                             ;   in Loop: Header=BB384_616 Depth=1
	s_or_b32 exec_lo, exec_lo, s12
	v_lshrrev_b32_e32 v2, 16, v0
	s_mov_b32 s12, exec_lo
	s_delay_alu instid0(VALU_DEP_1) | instskip(NEXT) | instid1(VALU_DEP_1)
	v_dual_mov_b32 v3, 0 :: v_dual_and_b32 v10, 0xff, v2
	v_cmpx_ne_u16_e32 0, v10
	s_cbranch_execz .LBB384_1331
; %bb.1324:                             ;   in Loop: Header=BB384_616 Depth=1
	v_bfrev_b32_e32 v3, 1
	s_mov_b32 s13, exec_lo
	v_cmpx_ne_u16_e32 0x80, v10
	s_cbranch_execz .LBB384_1330
; %bb.1325:                             ;   in Loop: Header=BB384_616 Depth=1
	v_bfe_u32 v160, v0, 16, 7
	v_mov_b32_e32 v3, 0x7f800001
	s_mov_b32 s15, exec_lo
	s_delay_alu instid0(VALU_DEP_2)
	v_cmpx_ne_u32_e32 0x7f, v160
	s_cbranch_execz .LBB384_1329
; %bb.1326:                             ;   in Loop: Header=BB384_616 Depth=1
	v_and_b32_e32 v10, 7, v2
	v_lshrrev_b32_e32 v3, 3, v160
	s_mov_b32 s16, exec_lo
	v_cmpx_gt_u32_e32 8, v160
; %bb.1327:                             ;   in Loop: Header=BB384_616 Depth=1
	s_delay_alu instid0(VALU_DEP_3) | instskip(NEXT) | instid1(VALU_DEP_1)
	v_clz_i32_u32_e32 v3, v10
	v_min_u32_e32 v3, 32, v3
	s_delay_alu instid0(VALU_DEP_1) | instskip(SKIP_1) | instid1(VALU_DEP_2)
	v_subrev_nc_u32_e32 v160, 28, v3
	v_sub_nc_u32_e32 v3, 29, v3
	v_lshlrev_b64 v[160:161], v160, v[10:11]
	s_delay_alu instid0(VALU_DEP_1)
	v_and_b32_e32 v10, 7, v160
; %bb.1328:                             ;   in Loop: Header=BB384_616 Depth=1
	s_or_b32 exec_lo, exec_lo, s16
	v_lshlrev_b32_e32 v2, 24, v2
	s_delay_alu instid0(VALU_DEP_2) | instskip(SKIP_1) | instid1(VALU_DEP_3)
	v_lshlrev_b32_e32 v10, 20, v10
	v_lshl_add_u32 v3, v3, 23, 0x3c000000
	v_and_b32_e32 v2, 0x80000000, v2
	s_delay_alu instid0(VALU_DEP_1)
	v_or3_b32 v3, v10, v2, v3
.LBB384_1329:                           ;   in Loop: Header=BB384_616 Depth=1
	s_or_b32 exec_lo, exec_lo, s15
.LBB384_1330:                           ;   in Loop: Header=BB384_616 Depth=1
	s_delay_alu instid0(SALU_CYCLE_1)
	s_or_b32 exec_lo, exec_lo, s13
.LBB384_1331:                           ;   in Loop: Header=BB384_616 Depth=1
	s_delay_alu instid0(SALU_CYCLE_1) | instskip(NEXT) | instid1(VALU_DEP_1)
	s_or_b32 exec_lo, exec_lo, s12
	v_mul_f32_e32 v2, v9, v3
                                        ; implicit-def: $vgpr160
	s_delay_alu instid0(VALU_DEP_1) | instskip(NEXT) | instid1(VALU_DEP_1)
	v_and_b32_e32 v3, 0x7f800000, v2
	v_cmp_ne_u32_e64 s0, 0x7f800000, v3
	s_delay_alu instid0(VALU_DEP_1) | instskip(NEXT) | instid1(SALU_CYCLE_1)
	s_and_saveexec_b32 s12, s0
	s_xor_b32 s0, exec_lo, s12
; %bb.1332:                             ;   in Loop: Header=BB384_616 Depth=1
	v_bfe_u32 v3, v2, 16, 1
	s_delay_alu instid0(VALU_DEP_1)
	v_add3_u32 v160, v2, v3, 0x7fff
                                        ; implicit-def: $vgpr2
; %bb.1333:                             ;   in Loop: Header=BB384_616 Depth=1
	s_and_not1_saveexec_b32 s12, s0
; %bb.1334:                             ;   in Loop: Header=BB384_616 Depth=1
	v_and_b32_e32 v3, 0xffff, v2
	v_or_b32_e32 v10, 0x10000, v2
	s_delay_alu instid0(VALU_DEP_2) | instskip(NEXT) | instid1(VALU_DEP_1)
	v_cmp_eq_u32_e64 s0, 0, v3
	v_cndmask_b32_e64 v160, v10, v2, s0
; %bb.1335:                             ;   in Loop: Header=BB384_616 Depth=1
	s_or_b32 exec_lo, exec_lo, s12
	v_mov_b32_e32 v3, 0
	s_mov_b32 s12, exec_lo
	v_cmpx_lt_u32_e32 0xffffff, v0
	s_cbranch_execz .LBB384_1343
; %bb.1336:                             ;   in Loop: Header=BB384_616 Depth=1
	v_lshrrev_b32_e32 v2, 24, v0
	v_bfrev_b32_e32 v3, 1
	s_mov_b32 s13, exec_lo
	s_delay_alu instid0(VALU_DEP_2)
	v_cmpx_ne_u32_e32 0x80, v2
	s_cbranch_execz .LBB384_1342
; %bb.1337:                             ;   in Loop: Header=BB384_616 Depth=1
	v_bfe_u32 v161, v0, 24, 7
	v_mov_b32_e32 v3, 0x7f800001
	s_mov_b32 s15, exec_lo
	s_delay_alu instid0(VALU_DEP_2)
	v_cmpx_ne_u32_e32 0x7f, v161
	s_cbranch_execz .LBB384_1341
; %bb.1338:                             ;   in Loop: Header=BB384_616 Depth=1
	v_and_b32_e32 v10, 7, v2
	v_lshrrev_b32_e32 v3, 3, v161
	s_mov_b32 s16, exec_lo
	v_cmpx_gt_u32_e32 8, v161
; %bb.1339:                             ;   in Loop: Header=BB384_616 Depth=1
	s_delay_alu instid0(VALU_DEP_3) | instskip(NEXT) | instid1(VALU_DEP_1)
	v_clz_i32_u32_e32 v3, v10
	v_min_u32_e32 v3, 32, v3
	s_delay_alu instid0(VALU_DEP_1) | instskip(SKIP_1) | instid1(VALU_DEP_2)
	v_subrev_nc_u32_e32 v161, 28, v3
	v_sub_nc_u32_e32 v3, 29, v3
	v_lshlrev_b64 v[161:162], v161, v[10:11]
	s_delay_alu instid0(VALU_DEP_1)
	v_and_b32_e32 v10, 7, v161
; %bb.1340:                             ;   in Loop: Header=BB384_616 Depth=1
	s_or_b32 exec_lo, exec_lo, s16
	v_lshlrev_b32_e32 v2, 24, v2
	s_delay_alu instid0(VALU_DEP_2) | instskip(SKIP_1) | instid1(VALU_DEP_3)
	v_lshlrev_b32_e32 v10, 20, v10
	v_lshl_add_u32 v3, v3, 23, 0x3c000000
	v_and_b32_e32 v2, 0x80000000, v2
	s_delay_alu instid0(VALU_DEP_1)
	v_or3_b32 v3, v10, v2, v3
.LBB384_1341:                           ;   in Loop: Header=BB384_616 Depth=1
	s_or_b32 exec_lo, exec_lo, s15
.LBB384_1342:                           ;   in Loop: Header=BB384_616 Depth=1
	s_delay_alu instid0(SALU_CYCLE_1)
	s_or_b32 exec_lo, exec_lo, s13
.LBB384_1343:                           ;   in Loop: Header=BB384_616 Depth=1
	s_delay_alu instid0(SALU_CYCLE_1) | instskip(NEXT) | instid1(VALU_DEP_1)
	s_or_b32 exec_lo, exec_lo, s12
	v_mul_f32_e32 v2, v9, v3
                                        ; implicit-def: $vgpr161
	s_delay_alu instid0(VALU_DEP_1) | instskip(NEXT) | instid1(VALU_DEP_1)
	v_and_b32_e32 v3, 0x7f800000, v2
	v_cmp_ne_u32_e64 s0, 0x7f800000, v3
	s_delay_alu instid0(VALU_DEP_1) | instskip(NEXT) | instid1(SALU_CYCLE_1)
	s_and_saveexec_b32 s12, s0
	s_xor_b32 s0, exec_lo, s12
; %bb.1344:                             ;   in Loop: Header=BB384_616 Depth=1
	v_bfe_u32 v3, v2, 16, 1
	s_delay_alu instid0(VALU_DEP_1)
	v_add3_u32 v161, v2, v3, 0x7fff
                                        ; implicit-def: $vgpr2
; %bb.1345:                             ;   in Loop: Header=BB384_616 Depth=1
	s_and_not1_saveexec_b32 s12, s0
; %bb.1346:                             ;   in Loop: Header=BB384_616 Depth=1
	v_and_b32_e32 v3, 0xffff, v2
	v_or_b32_e32 v10, 0x10000, v2
	s_delay_alu instid0(VALU_DEP_2) | instskip(NEXT) | instid1(VALU_DEP_1)
	v_cmp_eq_u32_e64 s0, 0, v3
	v_cndmask_b32_e64 v161, v10, v2, s0
; %bb.1347:                             ;   in Loop: Header=BB384_616 Depth=1
	s_or_b32 exec_lo, exec_lo, s12
	v_dual_mov_b32 v10, v1 :: v_dual_and_b32 v3, 0xff, v1
	v_mov_b32_e32 v2, 0
	s_mov_b32 s12, exec_lo
	s_delay_alu instid0(VALU_DEP_2)
	v_cmpx_ne_u16_e32 0, v3
	s_cbranch_execz .LBB384_1355
; %bb.1348:                             ;   in Loop: Header=BB384_616 Depth=1
	v_bfrev_b32_e32 v2, 1
	s_mov_b32 s13, exec_lo
	v_cmpx_ne_u16_e32 0x80, v3
	s_cbranch_execz .LBB384_1354
; %bb.1349:                             ;   in Loop: Header=BB384_616 Depth=1
	v_and_b32_e32 v3, 0x7f, v1
	v_mov_b32_e32 v2, 0x7f800001
	s_mov_b32 s15, exec_lo
	s_delay_alu instid0(VALU_DEP_2)
	v_cmpx_ne_u32_e32 0x7f, v3
	s_cbranch_execz .LBB384_1353
; %bb.1350:                             ;   in Loop: Header=BB384_616 Depth=1
	v_lshrrev_b32_e32 v162, 3, v3
	v_cmp_gt_u32_e64 s0, 8, v3
	v_dual_mov_b32 v2, v10 :: v_dual_mov_b32 v3, v11
	s_delay_alu instid0(VALU_DEP_2)
	s_and_saveexec_b32 s16, s0
; %bb.1351:                             ;   in Loop: Header=BB384_616 Depth=1
	v_and_b32_e32 v2, 7, v1
	s_delay_alu instid0(VALU_DEP_1) | instskip(NEXT) | instid1(VALU_DEP_1)
	v_clz_i32_u32_e32 v2, v2
	v_min_u32_e32 v162, 32, v2
	s_delay_alu instid0(VALU_DEP_1) | instskip(SKIP_1) | instid1(VALU_DEP_2)
	v_subrev_nc_u32_e32 v2, 28, v162
	v_sub_nc_u32_e32 v162, 29, v162
	v_lshlrev_b64 v[2:3], v2, v[10:11]
; %bb.1352:                             ;   in Loop: Header=BB384_616 Depth=1
	s_or_b32 exec_lo, exec_lo, s16
	s_delay_alu instid0(VALU_DEP_1) | instskip(SKIP_2) | instid1(VALU_DEP_3)
	v_lshlrev_b32_e32 v2, 20, v2
	v_lshlrev_b32_e32 v3, 24, v10
	v_lshl_add_u32 v162, v162, 23, 0x3c000000
	v_and_b32_e32 v2, 0x700000, v2
	s_delay_alu instid0(VALU_DEP_3) | instskip(NEXT) | instid1(VALU_DEP_1)
	v_and_b32_e32 v3, 0x80000000, v3
	v_or3_b32 v2, v2, v3, v162
.LBB384_1353:                           ;   in Loop: Header=BB384_616 Depth=1
	s_or_b32 exec_lo, exec_lo, s15
.LBB384_1354:                           ;   in Loop: Header=BB384_616 Depth=1
	s_delay_alu instid0(SALU_CYCLE_1)
	s_or_b32 exec_lo, exec_lo, s13
.LBB384_1355:                           ;   in Loop: Header=BB384_616 Depth=1
	s_delay_alu instid0(SALU_CYCLE_1) | instskip(NEXT) | instid1(VALU_DEP_1)
	s_or_b32 exec_lo, exec_lo, s12
	v_mul_f32_e32 v2, v9, v2
                                        ; implicit-def: $vgpr162
	s_delay_alu instid0(VALU_DEP_1) | instskip(NEXT) | instid1(VALU_DEP_1)
	v_and_b32_e32 v3, 0x7f800000, v2
	v_cmp_ne_u32_e64 s0, 0x7f800000, v3
	s_delay_alu instid0(VALU_DEP_1) | instskip(NEXT) | instid1(SALU_CYCLE_1)
	s_and_saveexec_b32 s12, s0
	s_xor_b32 s0, exec_lo, s12
; %bb.1356:                             ;   in Loop: Header=BB384_616 Depth=1
	v_bfe_u32 v3, v2, 16, 1
	s_delay_alu instid0(VALU_DEP_1)
	v_add3_u32 v162, v2, v3, 0x7fff
                                        ; implicit-def: $vgpr2
; %bb.1357:                             ;   in Loop: Header=BB384_616 Depth=1
	s_and_not1_saveexec_b32 s12, s0
; %bb.1358:                             ;   in Loop: Header=BB384_616 Depth=1
	v_and_b32_e32 v3, 0xffff, v2
	v_or_b32_e32 v162, 0x10000, v2
	s_delay_alu instid0(VALU_DEP_2) | instskip(NEXT) | instid1(VALU_DEP_1)
	v_cmp_eq_u32_e64 s0, 0, v3
	v_cndmask_b32_e64 v162, v162, v2, s0
; %bb.1359:                             ;   in Loop: Header=BB384_616 Depth=1
	s_or_b32 exec_lo, exec_lo, s12
	v_lshrrev_b16 v3, 8, v10
	v_mov_b32_e32 v2, 0
	s_mov_b32 s12, exec_lo
	s_delay_alu instid0(VALU_DEP_2)
	v_cmpx_ne_u16_e32 0, v3
	s_cbranch_execz .LBB384_1367
; %bb.1360:                             ;   in Loop: Header=BB384_616 Depth=1
	v_bfrev_b32_e32 v2, 1
	s_mov_b32 s13, exec_lo
	v_cmpx_ne_u16_e32 0x80, v3
	s_cbranch_execz .LBB384_1366
; %bb.1361:                             ;   in Loop: Header=BB384_616 Depth=1
	v_and_b32_e32 v3, 0xffff, v3
	v_mov_b32_e32 v2, 0x7f800001
	s_mov_b32 s15, exec_lo
	s_delay_alu instid0(VALU_DEP_2) | instskip(NEXT) | instid1(VALU_DEP_1)
	v_and_b32_e32 v164, 0x7f, v3
	v_cmpx_ne_u32_e32 0x7f, v164
	s_cbranch_execz .LBB384_1365
; %bb.1362:                             ;   in Loop: Header=BB384_616 Depth=1
	v_dual_mov_b32 v3, v11 :: v_dual_and_b32 v2, 7, v3
	v_lshrrev_b32_e32 v163, 3, v164
	s_mov_b32 s16, exec_lo
	v_cmpx_gt_u32_e32 8, v164
; %bb.1363:                             ;   in Loop: Header=BB384_616 Depth=1
	s_delay_alu instid0(VALU_DEP_3) | instskip(NEXT) | instid1(VALU_DEP_1)
	v_clz_i32_u32_e32 v163, v2
	v_min_u32_e32 v163, 32, v163
	s_delay_alu instid0(VALU_DEP_1) | instskip(SKIP_1) | instid1(VALU_DEP_2)
	v_subrev_nc_u32_e32 v164, 28, v163
	v_sub_nc_u32_e32 v163, 29, v163
	v_lshlrev_b64 v[2:3], v164, v[2:3]
	s_delay_alu instid0(VALU_DEP_1)
	v_and_b32_e32 v2, 7, v2
; %bb.1364:                             ;   in Loop: Header=BB384_616 Depth=1
	s_or_b32 exec_lo, exec_lo, s16
	v_lshlrev_b32_e32 v3, 16, v10
	s_delay_alu instid0(VALU_DEP_2) | instskip(SKIP_1) | instid1(VALU_DEP_3)
	v_lshlrev_b32_e32 v2, 20, v2
	v_lshl_add_u32 v10, v163, 23, 0x3c000000
	v_and_b32_e32 v3, 0x80000000, v3
	s_delay_alu instid0(VALU_DEP_1)
	v_or3_b32 v2, v2, v3, v10
.LBB384_1365:                           ;   in Loop: Header=BB384_616 Depth=1
	s_or_b32 exec_lo, exec_lo, s15
.LBB384_1366:                           ;   in Loop: Header=BB384_616 Depth=1
	s_delay_alu instid0(SALU_CYCLE_1)
	s_or_b32 exec_lo, exec_lo, s13
.LBB384_1367:                           ;   in Loop: Header=BB384_616 Depth=1
	s_delay_alu instid0(SALU_CYCLE_1) | instskip(NEXT) | instid1(VALU_DEP_1)
	s_or_b32 exec_lo, exec_lo, s12
	v_mul_f32_e32 v3, v9, v2
	s_delay_alu instid0(VALU_DEP_1) | instskip(NEXT) | instid1(VALU_DEP_1)
	v_and_b32_e32 v2, 0x7f800000, v3
	v_cmp_ne_u32_e64 s0, 0x7f800000, v2
                                        ; implicit-def: $vgpr2
	s_delay_alu instid0(VALU_DEP_1) | instskip(NEXT) | instid1(SALU_CYCLE_1)
	s_and_saveexec_b32 s12, s0
	s_xor_b32 s0, exec_lo, s12
; %bb.1368:                             ;   in Loop: Header=BB384_616 Depth=1
	v_bfe_u32 v2, v3, 16, 1
	s_delay_alu instid0(VALU_DEP_1)
	v_add3_u32 v2, v3, v2, 0x7fff
                                        ; implicit-def: $vgpr3
; %bb.1369:                             ;   in Loop: Header=BB384_616 Depth=1
	s_and_not1_saveexec_b32 s12, s0
; %bb.1370:                             ;   in Loop: Header=BB384_616 Depth=1
	v_and_b32_e32 v2, 0xffff, v3
	v_or_b32_e32 v10, 0x10000, v3
	s_delay_alu instid0(VALU_DEP_2) | instskip(NEXT) | instid1(VALU_DEP_1)
	v_cmp_eq_u32_e64 s0, 0, v2
	v_cndmask_b32_e64 v2, v10, v3, s0
; %bb.1371:                             ;   in Loop: Header=BB384_616 Depth=1
	s_or_b32 exec_lo, exec_lo, s12
	v_lshrrev_b32_e32 v3, 16, v1
	s_mov_b32 s12, exec_lo
	s_delay_alu instid0(VALU_DEP_1) | instskip(NEXT) | instid1(VALU_DEP_1)
	v_dual_mov_b32 v10, 0 :: v_dual_and_b32 v163, 0xff, v3
	v_cmpx_ne_u16_e64 0, v163
	s_cbranch_execz .LBB384_1379
; %bb.1372:                             ;   in Loop: Header=BB384_616 Depth=1
	v_bfrev_b32_e32 v10, 1
	s_mov_b32 s13, exec_lo
	v_cmpx_ne_u16_e64 0x80, v163
	s_cbranch_execz .LBB384_1378
; %bb.1373:                             ;   in Loop: Header=BB384_616 Depth=1
	v_bfe_u32 v164, v1, 16, 7
	v_mov_b32_e32 v10, 0x7f800001
	s_mov_b32 s15, exec_lo
	s_delay_alu instid0(VALU_DEP_2)
	v_cmpx_ne_u32_e32 0x7f, v164
	s_cbranch_execz .LBB384_1377
; %bb.1374:                             ;   in Loop: Header=BB384_616 Depth=1
	v_and_b32_e32 v10, 7, v3
	v_lshrrev_b32_e32 v163, 3, v164
	s_mov_b32 s16, exec_lo
	v_cmpx_gt_u32_e32 8, v164
; %bb.1375:                             ;   in Loop: Header=BB384_616 Depth=1
	s_delay_alu instid0(VALU_DEP_3) | instskip(NEXT) | instid1(VALU_DEP_1)
	v_clz_i32_u32_e32 v163, v10
	v_min_u32_e32 v163, 32, v163
	s_delay_alu instid0(VALU_DEP_1) | instskip(SKIP_1) | instid1(VALU_DEP_2)
	v_subrev_nc_u32_e32 v164, 28, v163
	v_sub_nc_u32_e32 v163, 29, v163
	v_lshlrev_b64 v[164:165], v164, v[10:11]
	s_delay_alu instid0(VALU_DEP_1)
	v_and_b32_e32 v10, 7, v164
; %bb.1376:                             ;   in Loop: Header=BB384_616 Depth=1
	s_or_b32 exec_lo, exec_lo, s16
	v_lshlrev_b32_e32 v3, 24, v3
	s_delay_alu instid0(VALU_DEP_2) | instskip(SKIP_1) | instid1(VALU_DEP_3)
	v_lshlrev_b32_e32 v10, 20, v10
	v_lshl_add_u32 v163, v163, 23, 0x3c000000
	v_and_b32_e32 v3, 0x80000000, v3
	s_delay_alu instid0(VALU_DEP_1)
	v_or3_b32 v10, v10, v3, v163
.LBB384_1377:                           ;   in Loop: Header=BB384_616 Depth=1
	s_or_b32 exec_lo, exec_lo, s15
.LBB384_1378:                           ;   in Loop: Header=BB384_616 Depth=1
	s_delay_alu instid0(SALU_CYCLE_1)
	s_or_b32 exec_lo, exec_lo, s13
.LBB384_1379:                           ;   in Loop: Header=BB384_616 Depth=1
	s_delay_alu instid0(SALU_CYCLE_1) | instskip(NEXT) | instid1(VALU_DEP_1)
	s_or_b32 exec_lo, exec_lo, s12
	v_mul_f32_e32 v10, v9, v10
	s_delay_alu instid0(VALU_DEP_1) | instskip(NEXT) | instid1(VALU_DEP_1)
	v_and_b32_e32 v3, 0x7f800000, v10
	v_cmp_ne_u32_e64 s0, 0x7f800000, v3
                                        ; implicit-def: $vgpr3
	s_delay_alu instid0(VALU_DEP_1) | instskip(NEXT) | instid1(SALU_CYCLE_1)
	s_and_saveexec_b32 s12, s0
	s_xor_b32 s0, exec_lo, s12
; %bb.1380:                             ;   in Loop: Header=BB384_616 Depth=1
	v_bfe_u32 v3, v10, 16, 1
	s_delay_alu instid0(VALU_DEP_1)
	v_add3_u32 v3, v10, v3, 0x7fff
                                        ; implicit-def: $vgpr10
; %bb.1381:                             ;   in Loop: Header=BB384_616 Depth=1
	s_and_not1_saveexec_b32 s12, s0
; %bb.1382:                             ;   in Loop: Header=BB384_616 Depth=1
	v_and_b32_e32 v3, 0xffff, v10
	v_or_b32_e32 v163, 0x10000, v10
	s_delay_alu instid0(VALU_DEP_2) | instskip(NEXT) | instid1(VALU_DEP_1)
	v_cmp_eq_u32_e64 s0, 0, v3
	v_cndmask_b32_e64 v3, v163, v10, s0
; %bb.1383:                             ;   in Loop: Header=BB384_616 Depth=1
	s_or_b32 exec_lo, exec_lo, s12
	v_mov_b32_e32 v10, 0
	s_mov_b32 s12, exec_lo
	v_cmpx_lt_u64_e64 s[8:9], v[0:1]
	s_cbranch_execz .LBB384_1391
; %bb.1384:                             ;   in Loop: Header=BB384_616 Depth=1
	v_lshrrev_b32_e32 v0, 24, v1
	v_bfrev_b32_e32 v10, 1
	s_mov_b32 s13, exec_lo
	s_delay_alu instid0(VALU_DEP_2)
	v_cmpx_ne_u32_e32 0x80, v0
	s_cbranch_execz .LBB384_1390
; %bb.1385:                             ;   in Loop: Header=BB384_616 Depth=1
	v_bfe_u32 v163, v1, 24, 7
	v_mov_b32_e32 v10, 0x7f800001
	s_mov_b32 s15, exec_lo
	s_delay_alu instid0(VALU_DEP_2)
	v_cmpx_ne_u32_e32 0x7f, v163
	s_cbranch_execz .LBB384_1389
; %bb.1386:                             ;   in Loop: Header=BB384_616 Depth=1
	v_and_b32_e32 v10, 7, v0
	v_lshrrev_b32_e32 v1, 3, v163
	s_mov_b32 s16, exec_lo
	v_cmpx_gt_u32_e32 8, v163
; %bb.1387:                             ;   in Loop: Header=BB384_616 Depth=1
	s_delay_alu instid0(VALU_DEP_3) | instskip(NEXT) | instid1(VALU_DEP_1)
	v_clz_i32_u32_e32 v1, v10
	v_min_u32_e32 v1, 32, v1
	s_delay_alu instid0(VALU_DEP_1) | instskip(SKIP_1) | instid1(VALU_DEP_2)
	v_subrev_nc_u32_e32 v163, 28, v1
	v_sub_nc_u32_e32 v1, 29, v1
	v_lshlrev_b64 v[163:164], v163, v[10:11]
	s_delay_alu instid0(VALU_DEP_1)
	v_and_b32_e32 v10, 7, v163
; %bb.1388:                             ;   in Loop: Header=BB384_616 Depth=1
	s_or_b32 exec_lo, exec_lo, s16
	v_lshlrev_b32_e32 v0, 24, v0
	s_delay_alu instid0(VALU_DEP_2) | instskip(SKIP_1) | instid1(VALU_DEP_3)
	v_lshlrev_b32_e32 v10, 20, v10
	v_lshl_add_u32 v1, v1, 23, 0x3c000000
	v_and_b32_e32 v0, 0x80000000, v0
	s_delay_alu instid0(VALU_DEP_1)
	v_or3_b32 v10, v10, v0, v1
.LBB384_1389:                           ;   in Loop: Header=BB384_616 Depth=1
	s_or_b32 exec_lo, exec_lo, s15
.LBB384_1390:                           ;   in Loop: Header=BB384_616 Depth=1
	s_delay_alu instid0(SALU_CYCLE_1)
	s_or_b32 exec_lo, exec_lo, s13
.LBB384_1391:                           ;   in Loop: Header=BB384_616 Depth=1
	s_delay_alu instid0(SALU_CYCLE_1) | instskip(NEXT) | instid1(VALU_DEP_1)
	s_or_b32 exec_lo, exec_lo, s12
	v_mul_f32_e32 v0, v9, v10
                                        ; implicit-def: $vgpr164
	s_delay_alu instid0(VALU_DEP_1) | instskip(NEXT) | instid1(VALU_DEP_1)
	v_and_b32_e32 v1, 0x7f800000, v0
	v_cmp_ne_u32_e64 s0, 0x7f800000, v1
	s_delay_alu instid0(VALU_DEP_1) | instskip(NEXT) | instid1(SALU_CYCLE_1)
	s_and_saveexec_b32 s12, s0
	s_xor_b32 s0, exec_lo, s12
; %bb.1392:                             ;   in Loop: Header=BB384_616 Depth=1
	v_bfe_u32 v1, v0, 16, 1
	s_delay_alu instid0(VALU_DEP_1)
	v_add3_u32 v164, v0, v1, 0x7fff
                                        ; implicit-def: $vgpr0
; %bb.1393:                             ;   in Loop: Header=BB384_616 Depth=1
	s_and_not1_saveexec_b32 s12, s0
; %bb.1394:                             ;   in Loop: Header=BB384_616 Depth=1
	v_and_b32_e32 v1, 0xffff, v0
	v_or_b32_e32 v9, 0x10000, v0
	s_delay_alu instid0(VALU_DEP_2) | instskip(NEXT) | instid1(VALU_DEP_1)
	v_cmp_eq_u32_e64 s0, 0, v1
	v_cndmask_b32_e64 v164, v9, v0, s0
; %bb.1395:                             ;   in Loop: Header=BB384_616 Depth=1
	s_or_b32 exec_lo, exec_lo, s12
	v_lshrrev_b32_e32 v163, 16, v2
	v_lshrrev_b32_e32 v162, 16, v162
	;; [unrolled: 1-line block ×8, first 2 shown]
	s_and_saveexec_b32 s0, vcc_lo
	s_cbranch_execz .LBB384_1397
; %bb.1396:                             ;   in Loop: Header=BB384_616 Depth=1
	v_cmp_lt_i32_e32 vcc_lo, v23, v83
	v_cndmask_b32_e32 v0, 0, v0, vcc_lo
	v_cmp_lt_i32_e32 vcc_lo, v55, v83
	v_cndmask_b32_e32 v1, 0, v1, vcc_lo
	;; [unrolled: 2-line block ×8, first 2 shown]
.LBB384_1397:                           ;   in Loop: Header=BB384_616 Depth=1
	s_or_b32 exec_lo, exec_lo, s0
	v_lshlrev_b32_e32 v0, 16, v0
	s_delay_alu instid0(VALU_DEP_1) | instskip(NEXT) | instid1(VALU_DEP_1)
	v_mul_f32_e32 v49, v65, v0
	v_and_b32_e32 v0, 0x7f800000, v49
	s_delay_alu instid0(VALU_DEP_1) | instskip(SKIP_1) | instid1(SALU_CYCLE_1)
	v_cmp_ne_u32_e32 vcc_lo, 0x7f800000, v0
                                        ; implicit-def: $vgpr0
	s_and_saveexec_b32 s0, vcc_lo
	s_xor_b32 s0, exec_lo, s0
; %bb.1398:                             ;   in Loop: Header=BB384_616 Depth=1
	v_bfe_u32 v0, v49, 16, 1
	s_delay_alu instid0(VALU_DEP_1)
	v_add3_u32 v0, v49, v0, 0x7fff
                                        ; implicit-def: $vgpr49
; %bb.1399:                             ;   in Loop: Header=BB384_616 Depth=1
	s_and_not1_saveexec_b32 s0, s0
; %bb.1400:                             ;   in Loop: Header=BB384_616 Depth=1
	v_and_b32_e32 v0, 0xffff, v49
	v_or_b32_e32 v50, 0x10000, v49
	s_delay_alu instid0(VALU_DEP_2) | instskip(NEXT) | instid1(VALU_DEP_2)
	v_cmp_eq_u32_e32 vcc_lo, 0, v0
	v_cndmask_b32_e32 v0, v50, v49, vcc_lo
; %bb.1401:                             ;   in Loop: Header=BB384_616 Depth=1
	s_or_b32 exec_lo, exec_lo, s0
	v_lshlrev_b32_e32 v1, 16, v1
	s_delay_alu instid0(VALU_DEP_1) | instskip(NEXT) | instid1(VALU_DEP_1)
	v_mul_f32_e32 v49, v66, v1
	v_and_b32_e32 v1, 0x7f800000, v49
	s_delay_alu instid0(VALU_DEP_1) | instskip(SKIP_1) | instid1(SALU_CYCLE_1)
	v_cmp_ne_u32_e32 vcc_lo, 0x7f800000, v1
                                        ; implicit-def: $vgpr1
	s_and_saveexec_b32 s0, vcc_lo
	s_xor_b32 s0, exec_lo, s0
; %bb.1402:                             ;   in Loop: Header=BB384_616 Depth=1
	v_bfe_u32 v1, v49, 16, 1
	s_delay_alu instid0(VALU_DEP_1)
	v_add3_u32 v1, v49, v1, 0x7fff
                                        ; implicit-def: $vgpr49
; %bb.1403:                             ;   in Loop: Header=BB384_616 Depth=1
	s_and_not1_saveexec_b32 s0, s0
; %bb.1404:                             ;   in Loop: Header=BB384_616 Depth=1
	v_and_b32_e32 v1, 0xffff, v49
	v_or_b32_e32 v50, 0x10000, v49
	s_delay_alu instid0(VALU_DEP_2) | instskip(NEXT) | instid1(VALU_DEP_2)
	v_cmp_eq_u32_e32 vcc_lo, 0, v1
	v_cndmask_b32_e32 v1, v50, v49, vcc_lo
; %bb.1405:                             ;   in Loop: Header=BB384_616 Depth=1
	s_or_b32 exec_lo, exec_lo, s0
	v_lshlrev_b32_e32 v2, 16, v2
	s_delay_alu instid0(VALU_DEP_1) | instskip(NEXT) | instid1(VALU_DEP_1)
	v_mul_f32_e32 v49, v67, v2
	v_and_b32_e32 v2, 0x7f800000, v49
	s_delay_alu instid0(VALU_DEP_1) | instskip(SKIP_1) | instid1(SALU_CYCLE_1)
	v_cmp_ne_u32_e32 vcc_lo, 0x7f800000, v2
                                        ; implicit-def: $vgpr2
	s_and_saveexec_b32 s0, vcc_lo
	s_xor_b32 s0, exec_lo, s0
; %bb.1406:                             ;   in Loop: Header=BB384_616 Depth=1
	v_bfe_u32 v2, v49, 16, 1
	s_delay_alu instid0(VALU_DEP_1)
	v_add3_u32 v2, v49, v2, 0x7fff
                                        ; implicit-def: $vgpr49
; %bb.1407:                             ;   in Loop: Header=BB384_616 Depth=1
	s_and_not1_saveexec_b32 s0, s0
; %bb.1408:                             ;   in Loop: Header=BB384_616 Depth=1
	v_and_b32_e32 v2, 0xffff, v49
	v_or_b32_e32 v50, 0x10000, v49
	s_delay_alu instid0(VALU_DEP_2) | instskip(NEXT) | instid1(VALU_DEP_2)
	v_cmp_eq_u32_e32 vcc_lo, 0, v2
	v_cndmask_b32_e32 v2, v50, v49, vcc_lo
; %bb.1409:                             ;   in Loop: Header=BB384_616 Depth=1
	s_or_b32 exec_lo, exec_lo, s0
	v_lshlrev_b32_e32 v9, 16, v9
	s_delay_alu instid0(VALU_DEP_1) | instskip(NEXT) | instid1(VALU_DEP_1)
	v_mul_f32_e32 v49, v68, v9
	v_and_b32_e32 v9, 0x7f800000, v49
	s_delay_alu instid0(VALU_DEP_1) | instskip(SKIP_1) | instid1(SALU_CYCLE_1)
	v_cmp_ne_u32_e32 vcc_lo, 0x7f800000, v9
                                        ; implicit-def: $vgpr9
	s_and_saveexec_b32 s0, vcc_lo
	s_xor_b32 s0, exec_lo, s0
; %bb.1410:                             ;   in Loop: Header=BB384_616 Depth=1
	v_bfe_u32 v9, v49, 16, 1
	s_delay_alu instid0(VALU_DEP_1)
	v_add3_u32 v9, v49, v9, 0x7fff
                                        ; implicit-def: $vgpr49
; %bb.1411:                             ;   in Loop: Header=BB384_616 Depth=1
	s_and_not1_saveexec_b32 s0, s0
; %bb.1412:                             ;   in Loop: Header=BB384_616 Depth=1
	v_and_b32_e32 v9, 0xffff, v49
	v_or_b32_e32 v50, 0x10000, v49
	s_delay_alu instid0(VALU_DEP_2) | instskip(NEXT) | instid1(VALU_DEP_2)
	v_cmp_eq_u32_e32 vcc_lo, 0, v9
	v_cndmask_b32_e32 v9, v50, v49, vcc_lo
; %bb.1413:                             ;   in Loop: Header=BB384_616 Depth=1
	s_or_b32 exec_lo, exec_lo, s0
	v_lshlrev_b32_e32 v49, 16, v162
	s_delay_alu instid0(VALU_DEP_1) | instskip(NEXT) | instid1(VALU_DEP_1)
	v_mul_f32_e32 v50, v69, v49
	v_and_b32_e32 v49, 0x7f800000, v50
	s_delay_alu instid0(VALU_DEP_1) | instskip(SKIP_1) | instid1(SALU_CYCLE_1)
	v_cmp_ne_u32_e32 vcc_lo, 0x7f800000, v49
                                        ; implicit-def: $vgpr49
	s_and_saveexec_b32 s0, vcc_lo
	s_xor_b32 s0, exec_lo, s0
; %bb.1414:                             ;   in Loop: Header=BB384_616 Depth=1
	v_bfe_u32 v49, v50, 16, 1
	s_delay_alu instid0(VALU_DEP_1)
	v_add3_u32 v49, v50, v49, 0x7fff
                                        ; implicit-def: $vgpr50
; %bb.1415:                             ;   in Loop: Header=BB384_616 Depth=1
	s_and_not1_saveexec_b32 s0, s0
; %bb.1416:                             ;   in Loop: Header=BB384_616 Depth=1
	v_and_b32_e32 v49, 0xffff, v50
	v_or_b32_e32 v51, 0x10000, v50
	s_delay_alu instid0(VALU_DEP_2) | instskip(NEXT) | instid1(VALU_DEP_2)
	v_cmp_eq_u32_e32 vcc_lo, 0, v49
	v_cndmask_b32_e32 v49, v51, v50, vcc_lo
; %bb.1417:                             ;   in Loop: Header=BB384_616 Depth=1
	s_or_b32 exec_lo, exec_lo, s0
	v_lshlrev_b32_e32 v50, 16, v163
	s_delay_alu instid0(VALU_DEP_1) | instskip(NEXT) | instid1(VALU_DEP_1)
	v_mul_f32_e32 v51, v70, v50
	v_and_b32_e32 v50, 0x7f800000, v51
	s_delay_alu instid0(VALU_DEP_1) | instskip(SKIP_1) | instid1(SALU_CYCLE_1)
	v_cmp_ne_u32_e32 vcc_lo, 0x7f800000, v50
                                        ; implicit-def: $vgpr50
	s_and_saveexec_b32 s0, vcc_lo
	s_xor_b32 s0, exec_lo, s0
; %bb.1418:                             ;   in Loop: Header=BB384_616 Depth=1
	v_bfe_u32 v50, v51, 16, 1
	s_delay_alu instid0(VALU_DEP_1)
	v_add3_u32 v50, v51, v50, 0x7fff
                                        ; implicit-def: $vgpr51
; %bb.1419:                             ;   in Loop: Header=BB384_616 Depth=1
	s_and_not1_saveexec_b32 s0, s0
; %bb.1420:                             ;   in Loop: Header=BB384_616 Depth=1
	v_and_b32_e32 v50, 0xffff, v51
	v_or_b32_e32 v52, 0x10000, v51
	s_delay_alu instid0(VALU_DEP_2) | instskip(NEXT) | instid1(VALU_DEP_2)
	v_cmp_eq_u32_e32 vcc_lo, 0, v50
	v_cndmask_b32_e32 v50, v52, v51, vcc_lo
; %bb.1421:                             ;   in Loop: Header=BB384_616 Depth=1
	s_or_b32 exec_lo, exec_lo, s0
	v_lshlrev_b32_e32 v10, 16, v10
	s_delay_alu instid0(VALU_DEP_1) | instskip(NEXT) | instid1(VALU_DEP_1)
	v_mul_f32_e32 v51, v71, v10
	v_and_b32_e32 v10, 0x7f800000, v51
	s_delay_alu instid0(VALU_DEP_1) | instskip(SKIP_1) | instid1(SALU_CYCLE_1)
	v_cmp_ne_u32_e32 vcc_lo, 0x7f800000, v10
                                        ; implicit-def: $vgpr10
	s_and_saveexec_b32 s0, vcc_lo
	s_xor_b32 s0, exec_lo, s0
; %bb.1422:                             ;   in Loop: Header=BB384_616 Depth=1
	v_bfe_u32 v10, v51, 16, 1
	s_delay_alu instid0(VALU_DEP_1)
	v_add3_u32 v10, v51, v10, 0x7fff
                                        ; implicit-def: $vgpr51
; %bb.1423:                             ;   in Loop: Header=BB384_616 Depth=1
	s_and_not1_saveexec_b32 s0, s0
; %bb.1424:                             ;   in Loop: Header=BB384_616 Depth=1
	v_and_b32_e32 v10, 0xffff, v51
	v_or_b32_e32 v52, 0x10000, v51
	s_delay_alu instid0(VALU_DEP_2) | instskip(NEXT) | instid1(VALU_DEP_2)
	v_cmp_eq_u32_e32 vcc_lo, 0, v10
	v_cndmask_b32_e32 v10, v52, v51, vcc_lo
; %bb.1425:                             ;   in Loop: Header=BB384_616 Depth=1
	s_or_b32 exec_lo, exec_lo, s0
	v_lshlrev_b32_e32 v3, 16, v3
	s_delay_alu instid0(VALU_DEP_1) | instskip(NEXT) | instid1(VALU_DEP_1)
	v_mul_f32_e32 v51, v80, v3
	v_and_b32_e32 v3, 0x7f800000, v51
	s_delay_alu instid0(VALU_DEP_1) | instskip(SKIP_1) | instid1(SALU_CYCLE_1)
	v_cmp_ne_u32_e32 vcc_lo, 0x7f800000, v3
                                        ; implicit-def: $vgpr3
	s_and_saveexec_b32 s0, vcc_lo
	s_xor_b32 s0, exec_lo, s0
; %bb.1426:                             ;   in Loop: Header=BB384_616 Depth=1
	v_bfe_u32 v3, v51, 16, 1
	s_delay_alu instid0(VALU_DEP_1)
	v_add3_u32 v3, v51, v3, 0x7fff
                                        ; implicit-def: $vgpr51
; %bb.1427:                             ;   in Loop: Header=BB384_616 Depth=1
	s_and_not1_saveexec_b32 s0, s0
	s_cbranch_execz .LBB384_614
; %bb.1428:                             ;   in Loop: Header=BB384_616 Depth=1
	v_and_b32_e32 v3, 0xffff, v51
	v_or_b32_e32 v52, 0x10000, v51
	s_delay_alu instid0(VALU_DEP_2) | instskip(NEXT) | instid1(VALU_DEP_2)
	v_cmp_eq_u32_e32 vcc_lo, 0, v3
	v_cndmask_b32_e32 v3, v52, v51, vcc_lo
	s_branch .LBB384_614
.LBB384_1429:
	s_or_b32 exec_lo, exec_lo, s5
	s_load_b32 s0, s[6:7], 0x0
	s_waitcnt lgkmcnt(0)
	v_mov_b32_e32 v0, s0
.LBB384_1430:
	s_or_b32 exec_lo, exec_lo, s3
	v_and_b32_e32 v1, 0x3c0, v39
	s_delay_alu instid0(VALU_DEP_2)
	v_mad_u32_u24 v0, 0x300, v21, v0
	s_mov_b32 s0, exec_lo
	s_waitcnt_vscnt null, 0x0
	s_barrier
	buffer_gl0_inv
	v_cmpx_eq_u32_e32 64, v1
	s_cbranch_execz .LBB384_1432
; %bb.1431:
	v_add_nc_u32_e32 v1, 0xfffffa00, v0
	v_lshl_or_b32 v2, v39, 2, 0x180
	s_delay_alu instid0(VALU_DEP_2) | instskip(NEXT) | instid1(VALU_DEP_2)
	v_lshl_add_u32 v3, v16, 2, v1
	v_add_nc_u32_e32 v1, v1, v2
	ds_store_2addr_b32 v3, v25, v24 offset1:32
	ds_store_b32 v1, v18
	ds_store_2addr_stride64_b32 v3, v19, v17 offset0:1 offset1:2
	ds_store_b32 v3, v6 offset:640
.LBB384_1432:
	s_or_b32 exec_lo, exec_lo, s0
	v_lshl_add_u32 v1, v16, 2, v0
	s_mov_b32 s0, exec_lo
	s_waitcnt lgkmcnt(0)
	s_barrier
	buffer_gl0_inv
	v_cmpx_gt_u32_e32 64, v39
	s_cbranch_execz .LBB384_1434
; %bb.1433:
	v_or_b32_e32 v2, 0x80, v82
	v_or_b32_e32 v3, 0x180, v82
	v_or_b32_e32 v7, 0x280, v82
	s_delay_alu instid0(VALU_DEP_3) | instskip(NEXT) | instid1(VALU_DEP_3)
	v_add_nc_u32_e32 v8, v0, v2
	v_add_nc_u32_e32 v9, v0, v3
	s_delay_alu instid0(VALU_DEP_3)
	v_add_nc_u32_e32 v7, v0, v7
	ds_load_2addr_stride64_b32 v[2:3], v1 offset1:1
	ds_load_b32 v10, v1 offset:512
	ds_load_b32 v8, v8
	ds_load_b32 v9, v9
	;; [unrolled: 1-line block ×3, first 2 shown]
	s_waitcnt lgkmcnt(4)
	v_add_f32_e32 v25, v25, v2
	s_waitcnt lgkmcnt(2)
	v_dual_add_f32 v19, v19, v3 :: v_dual_add_f32 v24, v24, v8
	s_waitcnt lgkmcnt(0)
	v_dual_add_f32 v17, v17, v10 :: v_dual_add_f32 v6, v6, v7
	v_add_f32_e32 v18, v18, v9
.LBB384_1434:
	s_or_b32 exec_lo, exec_lo, s0
	v_and_b32_e32 v2, 0x3e0, v39
	s_mov_b32 s0, exec_lo
	s_barrier
	buffer_gl0_inv
	v_cmpx_eq_u32_e32 32, v2
	s_cbranch_execz .LBB384_1436
; %bb.1435:
	v_add_nc_u32_e32 v2, 0xfffffd00, v0
	v_or_b32_e32 v3, 0x180, v82
	v_or_b32_e32 v7, 0x280, v82
	s_delay_alu instid0(VALU_DEP_3) | instskip(SKIP_1) | instid1(VALU_DEP_4)
	v_lshl_add_u32 v8, v16, 2, v2
	v_add_nc_u32_e32 v9, v2, v82
	v_add_nc_u32_e32 v3, v2, v3
	s_delay_alu instid0(VALU_DEP_4)
	v_add_nc_u32_e32 v2, v2, v7
	ds_store_b32 v8, v25
	ds_store_b32 v9, v24
	ds_store_b32 v3, v18
	ds_store_2addr_stride64_b32 v8, v19, v17 offset0:1 offset1:2
	ds_store_b32 v2, v6
.LBB384_1436:
	s_or_b32 exec_lo, exec_lo, s0
	v_cmp_gt_u32_e32 vcc_lo, 32, v39
	s_waitcnt lgkmcnt(0)
	s_barrier
	buffer_gl0_inv
	s_and_saveexec_b32 s0, vcc_lo
	s_cbranch_execz .LBB384_1438
; %bb.1437:
	v_lshl_add_u32 v7, v39, 2, v0
	ds_load_b32 v8, v1
	ds_load_2addr_b32 v[0:1], v7 offset0:32 offset1:64
	ds_load_2addr_b32 v[2:3], v7 offset0:96 offset1:128
	ds_load_b32 v7, v7 offset:640
	s_waitcnt lgkmcnt(3)
	v_add_f32_e32 v25, v25, v8
	s_waitcnt lgkmcnt(2)
	v_dual_add_f32 v24, v24, v0 :: v_dual_add_f32 v19, v19, v1
	s_waitcnt lgkmcnt(1)
	v_dual_add_f32 v18, v18, v2 :: v_dual_add_f32 v17, v17, v3
	s_waitcnt lgkmcnt(0)
	v_add_f32_e32 v6, v6, v7
.LBB384_1438:
	s_or_b32 exec_lo, exec_lo, s0
	s_barrier
	buffer_gl0_inv
	s_and_b32 exec_lo, exec_lo, vcc_lo
	s_cbranch_execz .LBB384_1464
; %bb.1439:
	v_and_b32_e32 v0, 0x7f800000, v25
	s_delay_alu instid0(VALU_DEP_1) | instskip(SKIP_1) | instid1(SALU_CYCLE_1)
	v_cmp_ne_u32_e32 vcc_lo, 0x7f800000, v0
                                        ; implicit-def: $vgpr0
	s_and_saveexec_b32 s0, vcc_lo
	s_xor_b32 s0, exec_lo, s0
; %bb.1440:
	v_bfe_u32 v0, v25, 16, 1
	s_delay_alu instid0(VALU_DEP_1)
	v_add3_u32 v0, v25, v0, 0x7fff
; %bb.1441:
	s_and_not1_saveexec_b32 s0, s0
; %bb.1442:
	v_and_b32_e32 v0, 0xffff, v25
	v_or_b32_e32 v1, 0x10000, v25
	s_delay_alu instid0(VALU_DEP_2) | instskip(NEXT) | instid1(VALU_DEP_2)
	v_cmp_eq_u32_e32 vcc_lo, 0, v0
	v_cndmask_b32_e32 v0, v1, v25, vcc_lo
; %bb.1443:
	s_or_b32 exec_lo, exec_lo, s0
	s_mul_i32 s0, s2, 0xc0
	s_mul_i32 s2, s4, s1
	;; [unrolled: 1-line block ×3, first 2 shown]
	s_ashr_i32 s3, s2, 31
	s_ashr_i32 s5, s4, 31
	;; [unrolled: 1-line block ×3, first 2 shown]
	s_lshl_b64 s[2:3], s[2:3], 1
	s_lshl_b64 s[4:5], s[4:5], 1
	;; [unrolled: 1-line block ×3, first 2 shown]
	s_add_u32 s2, s4, s2
	s_addc_u32 s3, s5, s3
	s_add_u32 s0, s2, s0
	s_addc_u32 s1, s3, s1
	v_lshlrev_b32_e32 v1, 1, v39
	v_add_co_u32 v2, vcc_lo, s0, v4
	v_add_co_ci_u32_e32 v3, vcc_lo, s1, v5, vcc_lo
	v_and_b32_e32 v4, 0x7f800000, v24
	s_delay_alu instid0(VALU_DEP_3) | instskip(NEXT) | instid1(VALU_DEP_3)
	v_add_co_u32 v7, vcc_lo, v2, v1
	v_add_co_ci_u32_e32 v8, vcc_lo, 0, v3, vcc_lo
	s_mov_b32 s0, exec_lo
	flat_store_d16_hi_b16 v[7:8], v0
                                        ; implicit-def: $vgpr0
	v_cmpx_ne_u32_e32 0x7f800000, v4
	s_xor_b32 s0, exec_lo, s0
; %bb.1444:
	v_bfe_u32 v0, v24, 16, 1
	s_delay_alu instid0(VALU_DEP_1)
	v_add3_u32 v0, v24, v0, 0x7fff
; %bb.1445:
	s_and_not1_saveexec_b32 s0, s0
; %bb.1446:
	v_and_b32_e32 v0, 0xffff, v24
	v_or_b32_e32 v1, 0x10000, v24
	s_delay_alu instid0(VALU_DEP_2) | instskip(NEXT) | instid1(VALU_DEP_2)
	v_cmp_eq_u32_e32 vcc_lo, 0, v0
	v_cndmask_b32_e32 v0, v1, v24, vcc_lo
; %bb.1447:
	s_or_b32 exec_lo, exec_lo, s0
	v_and_b32_e32 v1, 0x7f800000, v19
	s_mov_b32 s0, exec_lo
	flat_store_d16_hi_b16 v[7:8], v0 offset:64
                                        ; implicit-def: $vgpr0
	v_cmpx_ne_u32_e32 0x7f800000, v1
	s_xor_b32 s0, exec_lo, s0
; %bb.1448:
	v_bfe_u32 v0, v19, 16, 1
	s_delay_alu instid0(VALU_DEP_1)
	v_add3_u32 v0, v19, v0, 0x7fff
; %bb.1449:
	s_and_not1_saveexec_b32 s0, s0
; %bb.1450:
	v_and_b32_e32 v0, 0xffff, v19
	v_or_b32_e32 v1, 0x10000, v19
	s_delay_alu instid0(VALU_DEP_2) | instskip(NEXT) | instid1(VALU_DEP_2)
	v_cmp_eq_u32_e32 vcc_lo, 0, v0
	v_cndmask_b32_e32 v0, v1, v19, vcc_lo
; %bb.1451:
	s_or_b32 exec_lo, exec_lo, s0
	v_and_b32_e32 v1, 0x7f800000, v18
	s_mov_b32 s0, exec_lo
	flat_store_d16_hi_b16 v[7:8], v0 offset:128
                                        ; implicit-def: $vgpr0
	v_cmpx_ne_u32_e32 0x7f800000, v1
	s_xor_b32 s0, exec_lo, s0
; %bb.1452:
	v_bfe_u32 v0, v18, 16, 1
	s_delay_alu instid0(VALU_DEP_1)
	v_add3_u32 v0, v18, v0, 0x7fff
; %bb.1453:
	s_and_not1_saveexec_b32 s0, s0
; %bb.1454:
	v_and_b32_e32 v0, 0xffff, v18
	v_or_b32_e32 v1, 0x10000, v18
	s_delay_alu instid0(VALU_DEP_2) | instskip(NEXT) | instid1(VALU_DEP_2)
	v_cmp_eq_u32_e32 vcc_lo, 0, v0
	v_cndmask_b32_e32 v0, v1, v18, vcc_lo
; %bb.1455:
	s_or_b32 exec_lo, exec_lo, s0
	v_and_b32_e32 v1, 0x7f800000, v17
	s_mov_b32 s0, exec_lo
	flat_store_d16_hi_b16 v[7:8], v0 offset:192
                                        ; implicit-def: $vgpr0
	v_cmpx_ne_u32_e32 0x7f800000, v1
	s_xor_b32 s0, exec_lo, s0
; %bb.1456:
	v_bfe_u32 v0, v17, 16, 1
	s_delay_alu instid0(VALU_DEP_1)
	v_add3_u32 v0, v17, v0, 0x7fff
; %bb.1457:
	s_and_not1_saveexec_b32 s0, s0
; %bb.1458:
	v_and_b32_e32 v0, 0xffff, v17
	v_or_b32_e32 v1, 0x10000, v17
	s_delay_alu instid0(VALU_DEP_2) | instskip(NEXT) | instid1(VALU_DEP_2)
	v_cmp_eq_u32_e32 vcc_lo, 0, v0
	v_cndmask_b32_e32 v0, v1, v17, vcc_lo
; %bb.1459:
	s_or_b32 exec_lo, exec_lo, s0
	v_and_b32_e32 v1, 0x7f800000, v6
	s_mov_b32 s0, exec_lo
	flat_store_d16_hi_b16 v[7:8], v0 offset:256
                                        ; implicit-def: $vgpr0
	v_cmpx_ne_u32_e32 0x7f800000, v1
	s_xor_b32 s0, exec_lo, s0
; %bb.1460:
	v_bfe_u32 v0, v6, 16, 1
	s_delay_alu instid0(VALU_DEP_1)
	v_add3_u32 v0, v6, v0, 0x7fff
                                        ; implicit-def: $vgpr1_vgpr2_vgpr3_vgpr4_vgpr5_vgpr6
; %bb.1461:
	s_and_not1_saveexec_b32 s0, s0
; %bb.1462:
	v_and_b32_e32 v0, 0xffff, v6
	v_or_b32_e32 v1, 0x10000, v6
	s_delay_alu instid0(VALU_DEP_2) | instskip(NEXT) | instid1(VALU_DEP_2)
	v_cmp_eq_u32_e32 vcc_lo, 0, v0
	v_cndmask_b32_e32 v0, v1, v6, vcc_lo
; %bb.1463:
	s_or_b32 exec_lo, exec_lo, s0
	flat_store_d16_hi_b16 v[7:8], v0 offset:320
.LBB384_1464:
	s_or_b32 exec_lo, exec_lo, s11
	s_clause 0x12
	scratch_load_b32 v74, off, s32 offset:8
	scratch_load_b32 v73, off, s32 offset:12
	;; [unrolled: 1-line block ×19, first 2 shown]
	s_waitcnt vmcnt(0) lgkmcnt(0)
	s_setpc_b64 s[30:31]
.Lfunc_end384:
	.size	_ZN4vllm22paged_attention_kernelI14__hip_bfloat16hLi192ELi8ELi128ELNS_18Fp8KVCacheDataTypeE1ELb1ELi512EEEvPfS3_PT_PKS4_PKT0_SA_ifPKiSC_iPKfiiiSE_SE_iiiii, .Lfunc_end384-_ZN4vllm22paged_attention_kernelI14__hip_bfloat16hLi192ELi8ELi128ELNS_18Fp8KVCacheDataTypeE1ELb1ELi512EEEvPfS3_PT_PKS4_PKT0_SA_ifPKiSC_iPKfiiiSE_SE_iiiii
                                        ; -- End function
	.section	.AMDGPU.csdata,"",@progbits
; Function info:
; codeLenInByte = 46228
; NumSgprs: 35
; NumVgprs: 184
; ScratchSize: 88
; MemoryBound: 0
	.section	.text._ZN4vllm25paged_attention_v2_kernelI14__hip_bfloat16hLi192ELi8ELi128ELNS_18Fp8KVCacheDataTypeE1ELb1ELi512EEEvPfS3_PT_PKS4_PKT0_SA_ifPKiSC_iPKfiiiSE_SE_iiiii,"axG",@progbits,_ZN4vllm25paged_attention_v2_kernelI14__hip_bfloat16hLi192ELi8ELi128ELNS_18Fp8KVCacheDataTypeE1ELb1ELi512EEEvPfS3_PT_PKS4_PKT0_SA_ifPKiSC_iPKfiiiSE_SE_iiiii,comdat
	.protected	_ZN4vllm25paged_attention_v2_kernelI14__hip_bfloat16hLi192ELi8ELi128ELNS_18Fp8KVCacheDataTypeE1ELb1ELi512EEEvPfS3_PT_PKS4_PKT0_SA_ifPKiSC_iPKfiiiSE_SE_iiiii ; -- Begin function _ZN4vllm25paged_attention_v2_kernelI14__hip_bfloat16hLi192ELi8ELi128ELNS_18Fp8KVCacheDataTypeE1ELb1ELi512EEEvPfS3_PT_PKS4_PKT0_SA_ifPKiSC_iPKfiiiSE_SE_iiiii
	.globl	_ZN4vllm25paged_attention_v2_kernelI14__hip_bfloat16hLi192ELi8ELi128ELNS_18Fp8KVCacheDataTypeE1ELb1ELi512EEEvPfS3_PT_PKS4_PKT0_SA_ifPKiSC_iPKfiiiSE_SE_iiiii
	.p2align	8
	.type	_ZN4vllm25paged_attention_v2_kernelI14__hip_bfloat16hLi192ELi8ELi128ELNS_18Fp8KVCacheDataTypeE1ELb1ELi512EEEvPfS3_PT_PKS4_PKT0_SA_ifPKiSC_iPKfiiiSE_SE_iiiii,@function
_ZN4vllm25paged_attention_v2_kernelI14__hip_bfloat16hLi192ELi8ELi128ELNS_18Fp8KVCacheDataTypeE1ELb1ELi512EEEvPfS3_PT_PKS4_PKT0_SA_ifPKiSC_iPKfiiiSE_SE_iiiii: ; @_ZN4vllm25paged_attention_v2_kernelI14__hip_bfloat16hLi192ELi8ELi128ELNS_18Fp8KVCacheDataTypeE1ELb1ELi512EEEvPfS3_PT_PKS4_PKT0_SA_ifPKiSC_iPKfiiiSE_SE_iiiii
; %bb.0:
	s_mov_b32 s12, s13
	s_clause 0x7
	s_load_b128 s[4:7], s[0:1], 0x78
	s_load_b32 s8, s[0:1], 0x88
	s_load_b256 s[24:31], s[0:1], 0x0
	s_load_b256 s[36:43], s[0:1], 0x20
	s_load_b64 s[2:3], s[0:1], 0x40
	s_load_b64 s[10:11], s[0:1], 0x50
	s_load_b32 s13, s[0:1], 0x48
	s_load_b256 s[16:23], s[0:1], 0x58
	s_mov_b32 s32, 0
	v_mov_b32_e32 v31, v0
	s_waitcnt lgkmcnt(0)
	v_dual_mov_b32 v1, s7 :: v_dual_mov_b32 v2, s8
	v_dual_mov_b32 v0, s24 :: v_dual_mov_b32 v3, s27
	;; [unrolled: 1-line block ×3, first 2 shown]
	v_mov_b32_e32 v6, s30
	scratch_store_b64 off, v[1:2], s32
	v_dual_mov_b32 v1, s25 :: v_dual_mov_b32 v2, s26
	v_dual_mov_b32 v7, s31 :: v_dual_mov_b32 v8, s36
	;; [unrolled: 1-line block ×13, first 2 shown]
	s_add_u32 s8, s0, 0x90
	s_addc_u32 s9, s1, 0
	s_mov_b32 s13, s14
	s_mov_b32 s14, s15
	;; [unrolled: 1-line block ×3, first 2 shown]
	s_getpc_b64 s[0:1]
	s_add_u32 s0, s0, _ZN4vllm22paged_attention_kernelI14__hip_bfloat16hLi192ELi8ELi128ELNS_18Fp8KVCacheDataTypeE1ELb1ELi512EEEvPfS3_PT_PKS4_PKT0_SA_ifPKiSC_iPKfiiiSE_SE_iiiii@rel32@lo+4
	s_addc_u32 s1, s1, _ZN4vllm22paged_attention_kernelI14__hip_bfloat16hLi192ELi8ELi128ELNS_18Fp8KVCacheDataTypeE1ELb1ELi512EEEvPfS3_PT_PKS4_PKT0_SA_ifPKiSC_iPKfiiiSE_SE_iiiii@rel32@hi+12
	s_delay_alu instid0(SALU_CYCLE_1)
	s_swappc_b64 s[30:31], s[0:1]
	s_endpgm
	.section	.rodata,"a",@progbits
	.p2align	6, 0x0
	.amdhsa_kernel _ZN4vllm25paged_attention_v2_kernelI14__hip_bfloat16hLi192ELi8ELi128ELNS_18Fp8KVCacheDataTypeE1ELb1ELi512EEEvPfS3_PT_PKS4_PKT0_SA_ifPKiSC_iPKfiiiSE_SE_iiiii
		.amdhsa_group_segment_fixed_size 416
		.amdhsa_private_segment_fixed_size 88
		.amdhsa_kernarg_size 400
		.amdhsa_user_sgpr_count 13
		.amdhsa_user_sgpr_dispatch_ptr 0
		.amdhsa_user_sgpr_queue_ptr 0
		.amdhsa_user_sgpr_kernarg_segment_ptr 1
		.amdhsa_user_sgpr_dispatch_id 0
		.amdhsa_user_sgpr_private_segment_size 0
		.amdhsa_wavefront_size32 1
		.amdhsa_uses_dynamic_stack 0
		.amdhsa_enable_private_segment 1
		.amdhsa_system_sgpr_workgroup_id_x 1
		.amdhsa_system_sgpr_workgroup_id_y 1
		.amdhsa_system_sgpr_workgroup_id_z 1
		.amdhsa_system_sgpr_workgroup_info 0
		.amdhsa_system_vgpr_workitem_id 0
		.amdhsa_next_free_vgpr 184
		.amdhsa_next_free_sgpr 44
		.amdhsa_reserve_vcc 1
		.amdhsa_float_round_mode_32 0
		.amdhsa_float_round_mode_16_64 0
		.amdhsa_float_denorm_mode_32 3
		.amdhsa_float_denorm_mode_16_64 3
		.amdhsa_dx10_clamp 1
		.amdhsa_ieee_mode 1
		.amdhsa_fp16_overflow 0
		.amdhsa_workgroup_processor_mode 1
		.amdhsa_memory_ordered 1
		.amdhsa_forward_progress 0
		.amdhsa_shared_vgpr_count 0
		.amdhsa_exception_fp_ieee_invalid_op 0
		.amdhsa_exception_fp_denorm_src 0
		.amdhsa_exception_fp_ieee_div_zero 0
		.amdhsa_exception_fp_ieee_overflow 0
		.amdhsa_exception_fp_ieee_underflow 0
		.amdhsa_exception_fp_ieee_inexact 0
		.amdhsa_exception_int_div_zero 0
	.end_amdhsa_kernel
	.section	.text._ZN4vllm25paged_attention_v2_kernelI14__hip_bfloat16hLi192ELi8ELi128ELNS_18Fp8KVCacheDataTypeE1ELb1ELi512EEEvPfS3_PT_PKS4_PKT0_SA_ifPKiSC_iPKfiiiSE_SE_iiiii,"axG",@progbits,_ZN4vllm25paged_attention_v2_kernelI14__hip_bfloat16hLi192ELi8ELi128ELNS_18Fp8KVCacheDataTypeE1ELb1ELi512EEEvPfS3_PT_PKS4_PKT0_SA_ifPKiSC_iPKfiiiSE_SE_iiiii,comdat
.Lfunc_end385:
	.size	_ZN4vllm25paged_attention_v2_kernelI14__hip_bfloat16hLi192ELi8ELi128ELNS_18Fp8KVCacheDataTypeE1ELb1ELi512EEEvPfS3_PT_PKS4_PKT0_SA_ifPKiSC_iPKfiiiSE_SE_iiiii, .Lfunc_end385-_ZN4vllm25paged_attention_v2_kernelI14__hip_bfloat16hLi192ELi8ELi128ELNS_18Fp8KVCacheDataTypeE1ELb1ELi512EEEvPfS3_PT_PKS4_PKT0_SA_ifPKiSC_iPKfiiiSE_SE_iiiii
                                        ; -- End function
	.section	.AMDGPU.csdata,"",@progbits
; Kernel info:
; codeLenInByte = 280
; NumSgprs: 46
; NumVgprs: 184
; ScratchSize: 88
; MemoryBound: 0
; FloatMode: 240
; IeeeMode: 1
; LDSByteSize: 416 bytes/workgroup (compile time only)
; SGPRBlocks: 5
; VGPRBlocks: 22
; NumSGPRsForWavesPerEU: 46
; NumVGPRsForWavesPerEU: 184
; Occupancy: 8
; WaveLimiterHint : 1
; COMPUTE_PGM_RSRC2:SCRATCH_EN: 1
; COMPUTE_PGM_RSRC2:USER_SGPR: 13
; COMPUTE_PGM_RSRC2:TRAP_HANDLER: 0
; COMPUTE_PGM_RSRC2:TGID_X_EN: 1
; COMPUTE_PGM_RSRC2:TGID_Y_EN: 1
; COMPUTE_PGM_RSRC2:TGID_Z_EN: 1
; COMPUTE_PGM_RSRC2:TIDIG_COMP_CNT: 0
	.text
	.p2align	2                               ; -- Begin function _ZN4vllm22paged_attention_kernelI14__hip_bfloat16hLi256ELi8ELi128ELNS_18Fp8KVCacheDataTypeE1ELb1ELi512EEEvPfS3_PT_PKS4_PKT0_SA_ifPKiSC_iPKfiiiSE_SE_iiiii
	.type	_ZN4vllm22paged_attention_kernelI14__hip_bfloat16hLi256ELi8ELi128ELNS_18Fp8KVCacheDataTypeE1ELb1ELi512EEEvPfS3_PT_PKS4_PKT0_SA_ifPKiSC_iPKfiiiSE_SE_iiiii,@function
_ZN4vllm22paged_attention_kernelI14__hip_bfloat16hLi256ELi8ELi128ELNS_18Fp8KVCacheDataTypeE1ELb1ELi512EEEvPfS3_PT_PKS4_PKT0_SA_ifPKiSC_iPKfiiiSE_SE_iiiii: ; @_ZN4vllm22paged_attention_kernelI14__hip_bfloat16hLi256ELi8ELi128ELNS_18Fp8KVCacheDataTypeE1ELb1ELi512EEEvPfS3_PT_PKS4_PKT0_SA_ifPKiSC_iPKfiiiSE_SE_iiiii
; %bb.0:
	s_waitcnt vmcnt(0) expcnt(0) lgkmcnt(0)
	s_clause 0x1f
	scratch_store_b32 off, v40, s32 offset:148
	; meta instruction
	scratch_store_b32 off, v41, s32 offset:144
	; meta instruction
	;; [unrolled: 2-line block ×31, first 2 shown]
	scratch_store_b32 off, v95, s32 offset:24
	s_clause 0x3
	scratch_store_b32 off, v104, s32 offset:20
	; meta instruction
	scratch_store_b32 off, v105, s32 offset:16
	; meta instruction
	;; [unrolled: 2-line block ×3, first 2 shown]
	scratch_store_b32 off, v107, s32 offset:8
	s_mov_b32 s10, s13
	s_ashr_i32 s11, s13, 31
	s_lshl_b32 s16, s14, 9
	s_lshl_b64 s[0:1], s[10:11], 2
	s_mov_b32 s11, exec_lo
	v_add_co_u32 v16, vcc_lo, v16, s0
	v_add_co_ci_u32_e32 v17, vcc_lo, s1, v17, vcc_lo
	flat_load_b32 v83, v[16:17]
	s_clause 0x1
	scratch_load_b32 v32, off, s32 offset:4
	scratch_load_b32 v33, off, s32
	s_waitcnt vmcnt(2) lgkmcnt(0)
	v_cmpx_lt_i32_e64 s16, v83
	s_cbranch_execz .LBB386_1924
; %bb.1:
	v_sub_nc_u32_e32 v16, 0, v12
	s_clause 0x1
	s_load_b32 s0, s[8:9], 0x10
	s_load_b32 s1, s[8:9], 0x0
	s_mov_b32 s6, s15
	v_mov_b32_e32 v100, 0
	v_max_i32_e32 v16, v12, v16
	s_delay_alu instid0(VALU_DEP_1) | instskip(SKIP_1) | instid1(VALU_DEP_2)
	v_cvt_f32_u32_e32 v17, v16
	v_sub_nc_u32_e32 v34, 0, v16
	v_rcp_iflag_f32_e32 v17, v17
	s_waitcnt lgkmcnt(0)
	s_lshr_b32 s0, s0, 16
	s_delay_alu instid0(SALU_CYCLE_1) | instskip(SKIP_3) | instid1(SALU_CYCLE_1)
	s_cmp_lg_u32 s0, 0
	s_waitcnt_depctr 0xfff
	v_mul_f32_e32 v17, 0x4f7ffffe, v17
	s_cselect_b32 s0, -1, 0
	s_cmp_lg_u32 s0, 0
	s_delay_alu instid0(VALU_DEP_1) | instskip(SKIP_3) | instid1(VALU_DEP_1)
	v_cvt_u32_f32_e32 v17, v17
	s_addc_u32 s15, s1, 0
	s_mov_b32 s1, exec_lo
	s_abs_i32 s0, s15
	v_mul_lo_u32 v34, v34, v17
	s_delay_alu instid0(VALU_DEP_1) | instskip(NEXT) | instid1(VALU_DEP_1)
	v_mul_hi_u32 v34, v17, v34
	v_add_nc_u32_e32 v17, v17, v34
	s_delay_alu instid0(VALU_DEP_1) | instskip(NEXT) | instid1(VALU_DEP_1)
	v_mul_hi_u32 v17, s0, v17
	v_mul_lo_u32 v34, v17, v16
	v_add_nc_u32_e32 v35, 1, v17
	s_delay_alu instid0(VALU_DEP_2) | instskip(SKIP_1) | instid1(VALU_DEP_1)
	v_sub_nc_u32_e32 v34, s0, v34
	s_abs_i32 s0, s12
	v_sub_nc_u32_e32 v36, v34, v16
	v_cmp_ge_u32_e32 vcc_lo, v34, v16
	s_delay_alu instid0(VALU_DEP_2) | instskip(SKIP_1) | instid1(VALU_DEP_2)
	v_dual_cndmask_b32 v17, v17, v35 :: v_dual_cndmask_b32 v34, v34, v36
	v_xor_b32_e32 v35, s15, v12
	v_add_nc_u32_e32 v36, 1, v17
	s_delay_alu instid0(VALU_DEP_3) | instskip(NEXT) | instid1(VALU_DEP_3)
	v_cmp_ge_u32_e32 vcc_lo, v34, v16
	v_ashrrev_i32_e32 v35, 31, v35
	s_delay_alu instid0(VALU_DEP_3) | instskip(NEXT) | instid1(VALU_DEP_1)
	v_cndmask_b32_e32 v16, v17, v36, vcc_lo
	v_xor_b32_e32 v16, v16, v35
	s_delay_alu instid0(VALU_DEP_1) | instskip(NEXT) | instid1(VALU_DEP_1)
	v_sub_nc_u32_e32 v35, v16, v35
	v_sub_nc_u32_e32 v16, 0, v35
	s_delay_alu instid0(VALU_DEP_1) | instskip(NEXT) | instid1(VALU_DEP_1)
	v_max_i32_e32 v34, v35, v16
	v_cvt_f32_u32_e32 v16, v34
	v_sub_nc_u32_e32 v17, 0, v34
	s_delay_alu instid0(VALU_DEP_2) | instskip(SKIP_2) | instid1(VALU_DEP_1)
	v_rcp_iflag_f32_e32 v16, v16
	s_waitcnt_depctr 0xfff
	v_mul_f32_e32 v16, 0x4f7ffffe, v16
	v_cvt_u32_f32_e32 v16, v16
	s_delay_alu instid0(VALU_DEP_1) | instskip(NEXT) | instid1(VALU_DEP_1)
	v_mul_lo_u32 v17, v17, v16
	v_mul_hi_u32 v17, v16, v17
	s_delay_alu instid0(VALU_DEP_1) | instskip(NEXT) | instid1(VALU_DEP_1)
	v_add_nc_u32_e32 v36, v16, v17
	v_mad_u64_u32 v[16:17], null, s0, v36, 0
	v_cmpx_ne_u64_e32 0, v[19:20]
	s_cbranch_execz .LBB386_3
; %bb.2:
	s_ashr_i32 s13, s12, 31
	s_delay_alu instid0(SALU_CYCLE_1) | instskip(NEXT) | instid1(SALU_CYCLE_1)
	s_lshl_b64 s[2:3], s[12:13], 2
	v_add_co_u32 v19, vcc_lo, v19, s2
	v_add_co_ci_u32_e32 v20, vcc_lo, s3, v20, vcc_lo
	flat_load_b32 v100, v[19:20]
.LBB386_3:
	s_or_b32 exec_lo, exec_lo, s1
	v_and_b32_e32 v39, 0x3ff, v31
	v_ashrrev_i32_e32 v19, 31, v35
	s_ashr_i32 s1, s12, 31
	s_lshl_b32 s4, s12, 8
	s_mov_b32 s2, exec_lo
	v_and_b32_e32 v16, 3, v39
	v_lshlrev_b32_e32 v82, 2, v39
	v_cmpx_gt_u32_e32 0x80, v39
	s_cbranch_execz .LBB386_5
; %bb.4:
	v_mul_lo_u32 v20, s10, v21
	s_ashr_i32 s5, s4, 31
	s_delay_alu instid0(SALU_CYCLE_1) | instskip(NEXT) | instid1(VALU_DEP_1)
	s_lshl_b64 s[18:19], s[4:5], 1
	v_ashrrev_i32_e32 v21, 31, v20
	s_delay_alu instid0(VALU_DEP_1) | instskip(NEXT) | instid1(VALU_DEP_1)
	v_lshlrev_b64 v[20:21], 1, v[20:21]
	v_add_co_u32 v6, vcc_lo, v6, v20
	s_delay_alu instid0(VALU_DEP_2) | instskip(NEXT) | instid1(VALU_DEP_2)
	v_add_co_ci_u32_e32 v7, vcc_lo, v7, v21, vcc_lo
	v_add_co_u32 v6, vcc_lo, v6, s18
	s_delay_alu instid0(VALU_DEP_2) | instskip(NEXT) | instid1(VALU_DEP_2)
	v_add_co_ci_u32_e32 v7, vcc_lo, s19, v7, vcc_lo
	v_add_co_u32 v6, vcc_lo, v6, v82
	s_delay_alu instid0(VALU_DEP_2) | instskip(SKIP_2) | instid1(VALU_DEP_1)
	v_add_co_ci_u32_e32 v7, vcc_lo, 0, v7, vcc_lo
	flat_load_b32 v6, v[6:7]
	v_and_b32_e32 v7, 0x3fc, v39
	v_lshl_add_u32 v7, v16, 7, v7
	s_waitcnt vmcnt(0) lgkmcnt(0)
	ds_store_b32 v7, v6
.LBB386_5:
	s_or_b32 exec_lo, exec_lo, s2
	s_waitcnt vmcnt(0)
	v_sub_nc_u32_e32 v6, 0, v33
	v_mul_lo_u32 v7, v17, v34
	v_xor_b32_e32 v19, s1, v19
	s_waitcnt lgkmcnt(0)
	s_waitcnt_vscnt null, 0x0
	s_barrier
	v_max_i32_e32 v84, v33, v6
	buffer_gl0_inv
	v_add_nc_u32_e32 v21, 1, v17
	v_sub_nc_u32_e32 v7, s0, v7
	v_cvt_f32_u32_e32 v6, v84
	v_sub_nc_u32_e32 v20, 0, v84
	s_mov_b32 s0, exec_lo
	s_delay_alu instid0(VALU_DEP_3) | instskip(NEXT) | instid1(VALU_DEP_3)
	v_sub_nc_u32_e32 v31, v7, v34
	v_rcp_iflag_f32_e32 v6, v6
	v_cmp_ge_u32_e32 vcc_lo, v7, v34
	s_delay_alu instid0(VALU_DEP_2)
	v_cndmask_b32_e32 v7, v7, v31, vcc_lo
	v_cndmask_b32_e32 v17, v17, v21, vcc_lo
	s_waitcnt_depctr 0xfff
	v_dual_mul_f32 v6, 0x4f7ffffe, v6 :: v_dual_add_nc_u32 v21, -1, v83
	v_cmp_ge_u32_e32 vcc_lo, v7, v34
	v_add_nc_u32_e32 v31, 1, v17
	s_delay_alu instid0(VALU_DEP_3) | instskip(NEXT) | instid1(VALU_DEP_4)
	v_sub_nc_u32_e32 v35, 0, v21
	v_cvt_u32_f32_e32 v6, v6
	s_delay_alu instid0(VALU_DEP_3) | instskip(NEXT) | instid1(VALU_DEP_3)
	v_cndmask_b32_e32 v7, v17, v31, vcc_lo
	v_max_i32_e32 v17, v21, v35
	s_delay_alu instid0(VALU_DEP_3) | instskip(NEXT) | instid1(VALU_DEP_1)
	v_mul_lo_u32 v20, v20, v6
	v_mul_hi_u32 v20, v6, v20
	s_delay_alu instid0(VALU_DEP_1) | instskip(SKIP_1) | instid1(VALU_DEP_2)
	v_add_nc_u32_e32 v85, v6, v20
	v_xor_b32_e32 v20, v7, v19
	v_mad_u64_u32 v[6:7], null, v17, v85, 0
	s_delay_alu instid0(VALU_DEP_2)
	v_sub_nc_u32_e32 v6, v20, v19
                                        ; implicit-def: $vgpr20
	v_cmpx_gt_i32_e32 0, v32
	s_xor_b32 s0, exec_lo, s0
; %bb.6:
	s_delay_alu instid0(VALU_DEP_2) | instskip(NEXT) | instid1(VALU_DEP_1)
	v_mad_u64_u32 v[19:20], null, v28, v12, v[6:7]
                                        ; implicit-def: $vgpr28
	v_mul_lo_u32 v12, v19, v32
                                        ; implicit-def: $vgpr32
	s_delay_alu instid0(VALU_DEP_1)
	v_sub_nc_u32_e32 v20, 1, v12
; %bb.7:
	s_or_saveexec_b32 s0, s0
	v_ashrrev_i32_e32 v12, 31, v21
	v_ashrrev_i32_e32 v86, 31, v33
	s_xor_b32 exec_lo, exec_lo, s0
; %bb.8:
	v_mad_u64_u32 v[19:20], null, s15, v28, s[12:13]
	s_delay_alu instid0(VALU_DEP_1)
	v_mad_u64_u32 v[20:21], null, v19, v32, 1
; %bb.9:
	s_or_b32 exec_lo, exec_lo, s0
	v_mul_lo_u32 v19, v7, v84
	v_dual_mov_b32 v102, 0xff7fffff :: v_dual_add_nc_u32 v21, 1, v7
	v_xor_b32_e32 v32, v12, v86
	s_clause 0x1
	s_load_b32 s17, s[8:9], 0x14
	s_load_b32 s5, s[8:9], 0x8
	s_lshl_b32 s13, s14, 6
	v_sub_nc_u32_e32 v98, 0, v30
	s_add_i32 s0, s13, 64
	v_sub_nc_u32_e32 v19, v17, v19
	v_mul_lo_u32 v17, s10, v18
	v_mbcnt_lo_u32_b32 v101, -1, 0
	s_delay_alu instid0(VALU_DEP_3) | instskip(SKIP_3) | instid1(VALU_DEP_3)
	v_cmp_ge_u32_e32 vcc_lo, v19, v84
	v_add_nc_u32_e32 v28, 7, v83
	v_sub_nc_u32_e32 v31, v19, v84
	v_cndmask_b32_e32 v7, v7, v21, vcc_lo
	v_ashrrev_i32_e32 v18, 31, v28
	v_lshrrev_b32_e32 v21, 5, v39
	s_delay_alu instid0(VALU_DEP_2) | instskip(SKIP_2) | instid1(VALU_DEP_4)
	v_lshrrev_b32_e32 v12, 29, v18
	v_cndmask_b32_e32 v18, v19, v31, vcc_lo
	v_add_nc_u32_e32 v19, 1, v7
	v_or_b32_e32 v64, s13, v21
	s_delay_alu instid0(VALU_DEP_3)
	v_cmp_ge_u32_e32 vcc_lo, v18, v84
	v_add_nc_u32_e32 v28, v28, v12
	v_mul_lo_u32 v12, v6, v23
	v_ashrrev_i32_e32 v18, 31, v17
	v_lshl_add_u32 v23, v21, 3, s16
	v_cndmask_b32_e32 v7, v7, v19, vcc_lo
	v_ashrrev_i32_e32 v97, 3, v28
	v_ashrrev_i32_e32 v65, 31, v64
	v_lshlrev_b64 v[66:67], 2, v[17:18]
	s_delay_alu instid0(VALU_DEP_4) | instskip(NEXT) | instid1(VALU_DEP_4)
	v_xor_b32_e32 v6, v7, v32
	v_min_i32_e32 v87, s0, v97
	v_ashrrev_i32_e32 v99, 31, v12
	s_delay_alu instid0(VALU_DEP_3) | instskip(NEXT) | instid1(VALU_DEP_3)
	v_sub_nc_u32_e32 v6, v6, v32
	v_cmp_lt_i32_e64 s0, v64, v87
	s_delay_alu instid0(VALU_DEP_2) | instskip(NEXT) | instid1(VALU_DEP_2)
	v_sub_nc_u32_e32 v96, v6, v29
	s_and_saveexec_b32 s18, s0
	s_cbranch_execz .LBB386_787
; %bb.10:
	v_max_i32_e32 v103, v30, v98
	v_cmp_eq_u32_e32 vcc_lo, 0, v16
	v_dual_mov_b32 v29, 0 :: v_dual_lshlrev_b32 v114, 7, v16
	s_ashr_i32 s7, s6, 31
	s_delay_alu instid0(VALU_DEP_3)
	v_cvt_f32_u32_e32 v6, v103
	s_getpc_b64 s[2:3]
	s_add_u32 s2, s2, llvm.amdgcn.dynlds.offset.table@rel32@lo+4
	s_addc_u32 s3, s3, llvm.amdgcn.dynlds.offset.table@rel32@hi+12
	s_lshl_b64 s[8:9], s[6:7], 2
	v_bfe_u32 v112, v39, 2, 3
	s_add_u32 s8, s8, s2
	v_rcp_iflag_f32_e32 v17, v6
	v_lshlrev_b32_e32 v113, 1, v16
	s_addc_u32 s9, s9, s3
	v_lshlrev_b64 v[6:7], 2, v[64:65]
	s_load_b32 s7, s[8:9], 0x0
	v_add_co_u32 v8, s1, v8, v12
	v_lshlrev_b32_e32 v18, 4, v112
	v_add_co_ci_u32_e64 v9, s1, v9, v99, s1
	s_waitcnt_depctr 0xfff
	v_mul_f32_e32 v16, 0x4f7ffffe, v17
	v_sub_nc_u32_e32 v17, 0, v103
	v_add_co_u32 v6, s2, v66, v6
	s_delay_alu instid0(VALU_DEP_1) | instskip(NEXT) | instid1(VALU_DEP_4)
	v_add_co_ci_u32_e64 v7, s2, v67, v7, s2
	v_cvt_u32_f32_e32 v16, v16
	v_dual_mov_b32 v116, 0xff7fffff :: v_dual_lshlrev_b32 v19, 2, v112
	v_sub_nc_u32_e32 v28, v112, v83
	v_add_co_u32 v68, s2, v8, v18
	s_delay_alu instid0(VALU_DEP_4)
	v_mul_lo_u32 v17, v17, v16
	v_add_co_ci_u32_e64 v69, s2, 0, v9, s2
	v_add_co_u32 v70, s2, v14, v6
	v_cmp_neq_f32_e64 s1, 0, v100
	v_lshl_add_u32 v115, v21, 3, s16
	v_lshl_or_b32 v117, v21, 5, v19
	v_mul_hi_u32 v17, v16, v17
	v_mov_b32_e32 v102, 0xff7fffff
	v_add_nc_u32_e32 v118, 1, v28
	v_add_co_ci_u32_e64 v71, s2, v15, v7, s2
	v_mov_b32_e32 v128, v64
	s_mov_b32 s19, 0
	v_add_nc_u32_e32 v119, v16, v17
	s_branch .LBB386_13
.LBB386_11:                             ;   in Loop: Header=BB386_13 Depth=1
	s_or_b32 exec_lo, exec_lo, s20
.LBB386_12:                             ;   in Loop: Header=BB386_13 Depth=1
	s_delay_alu instid0(SALU_CYCLE_1) | instskip(SKIP_2) | instid1(VALU_DEP_1)
	s_or_b32 exec_lo, exec_lo, s3
	v_add_nc_u32_e32 v128, 4, v128
	v_add_co_u32 v70, s3, v70, 16
	v_add_co_ci_u32_e64 v71, s3, 0, v71, s3
	s_delay_alu instid0(VALU_DEP_3) | instskip(SKIP_2) | instid1(VALU_DEP_3)
	v_cmp_ge_i32_e64 s2, v128, v87
	v_add_nc_u32_e32 v115, 32, v115
	v_add_nc_u32_e32 v117, 0x80, v117
	s_or_b32 s19, s2, s19
	s_delay_alu instid0(SALU_CYCLE_1)
	s_and_not1_b32 exec_lo, exec_lo, s19
	s_cbranch_execz .LBB386_786
.LBB386_13:                             ; =>This Inner Loop Header: Depth=1
	v_sub_nc_u32_e32 v6, 0, v115
	s_delay_alu instid0(VALU_DEP_1) | instskip(SKIP_1) | instid1(VALU_DEP_1)
	v_max_i32_e32 v6, v115, v6
	s_waitcnt lgkmcnt(0)
	v_mul_hi_u32 v7, v6, v85
	s_delay_alu instid0(VALU_DEP_1) | instskip(NEXT) | instid1(VALU_DEP_1)
	v_mul_lo_u32 v8, v7, v84
	v_sub_nc_u32_e32 v6, v6, v8
	v_add_nc_u32_e32 v8, 1, v7
	s_delay_alu instid0(VALU_DEP_2) | instskip(SKIP_1) | instid1(VALU_DEP_1)
	v_sub_nc_u32_e32 v9, v6, v84
	v_cmp_ge_u32_e64 s2, v6, v84
	v_cndmask_b32_e64 v7, v7, v8, s2
	s_delay_alu instid0(VALU_DEP_3) | instskip(SKIP_1) | instid1(VALU_DEP_3)
	v_cndmask_b32_e64 v6, v6, v9, s2
	v_ashrrev_i32_e32 v8, 31, v115
	v_add_nc_u32_e32 v9, 1, v7
	s_delay_alu instid0(VALU_DEP_3) | instskip(NEXT) | instid1(VALU_DEP_3)
	v_cmp_ge_u32_e64 s2, v6, v84
	v_xor_b32_e32 v8, v8, v86
	s_delay_alu instid0(VALU_DEP_2) | instskip(NEXT) | instid1(VALU_DEP_1)
	v_cndmask_b32_e64 v6, v7, v9, s2
	v_xor_b32_e32 v6, v6, v8
	s_delay_alu instid0(VALU_DEP_1) | instskip(NEXT) | instid1(VALU_DEP_1)
	v_sub_nc_u32_e32 v6, v6, v8
	v_add_nc_u32_e32 v7, v6, v20
	v_cmp_le_i32_e64 s3, v6, v96
	s_delay_alu instid0(VALU_DEP_2) | instskip(NEXT) | instid1(VALU_DEP_1)
	v_sub_nc_u32_e32 v8, 0, v7
	v_max_i32_e32 v8, v7, v8
	v_ashrrev_i32_e32 v7, 31, v7
	s_delay_alu instid0(VALU_DEP_2) | instskip(NEXT) | instid1(VALU_DEP_1)
	v_mul_hi_u32 v9, v8, v119
	v_mul_lo_u32 v9, v9, v103
	s_delay_alu instid0(VALU_DEP_1) | instskip(NEXT) | instid1(VALU_DEP_1)
	v_sub_nc_u32_e32 v8, v8, v9
	v_sub_nc_u32_e32 v9, v8, v103
	v_cmp_ge_u32_e64 s2, v8, v103
	s_delay_alu instid0(VALU_DEP_1) | instskip(NEXT) | instid1(VALU_DEP_1)
	v_cndmask_b32_e64 v8, v8, v9, s2
	v_sub_nc_u32_e32 v9, v8, v103
	v_cmp_ge_u32_e64 s2, v8, v103
	s_delay_alu instid0(VALU_DEP_1) | instskip(NEXT) | instid1(VALU_DEP_1)
	v_cndmask_b32_e64 v8, v8, v9, s2
	v_xor_b32_e32 v8, v8, v7
	s_delay_alu instid0(VALU_DEP_1) | instskip(NEXT) | instid1(VALU_DEP_1)
	v_sub_nc_u32_e32 v7, v8, v7
	v_cmp_ne_u32_e64 s2, 0, v7
	s_delay_alu instid0(VALU_DEP_1) | instskip(NEXT) | instid1(SALU_CYCLE_1)
	s_and_b32 s2, s2, s3
	s_and_b32 s20, vcc_lo, s2
	s_delay_alu instid0(SALU_CYCLE_1)
	s_and_saveexec_b32 s3, s20
	s_cbranch_execz .LBB386_15
; %bb.14:                               ;   in Loop: Header=BB386_13 Depth=1
	s_waitcnt lgkmcnt(0)
	v_add_nc_u32_e32 v6, s7, v117
	ds_store_b32 v6, v116
.LBB386_15:                             ;   in Loop: Header=BB386_13 Depth=1
	s_or_b32 exec_lo, exec_lo, s3
	s_xor_b32 s2, s2, -1
	s_delay_alu instid0(SALU_CYCLE_1)
	s_and_saveexec_b32 s3, s2
	s_cbranch_execz .LBB386_12
; %bb.16:                               ;   in Loop: Header=BB386_13 Depth=1
	flat_load_b32 v8, v[70:71]
	s_mov_b32 s20, exec_lo
	s_waitcnt vmcnt(0) lgkmcnt(0)
	v_mad_i64_i32 v[6:7], null, v8, v22, v[68:69]
	s_delay_alu instid0(VALU_DEP_1) | instskip(NEXT) | instid1(VALU_DEP_1)
	v_add_co_u32 v80, s2, v6, v113
	v_add_co_ci_u32_e64 v81, s2, 0, v7, s2
	flat_load_u16 v28, v[80:81]
	flat_load_b32 v131, v[24:25]
	ds_load_b128 v[52:55], v114
	ds_load_b128 v[48:51], v114 offset:16
	ds_load_b128 v[35:38], v114 offset:32
	;; [unrolled: 1-line block ×5, first 2 shown]
	ds_load_b32 v129, v114 offset:96
	s_waitcnt vmcnt(1) lgkmcnt(8)
	v_and_b32_e32 v130, 0xff, v28
	v_and_b32_e32 v132, 0xffff, v28
	v_mov_b32_e32 v28, 0
	s_delay_alu instid0(VALU_DEP_3)
	v_cmpx_ne_u16_e64 0, v130
	s_cbranch_execz .LBB386_24
; %bb.17:                               ;   in Loop: Header=BB386_13 Depth=1
	s_delay_alu instid0(VALU_DEP_3) | instskip(NEXT) | instid1(VALU_DEP_1)
	v_and_b32_e32 v28, 0xff, v132
	v_cmp_ne_u16_e64 s2, 0x80, v28
	v_bfrev_b32_e32 v28, 1
	s_delay_alu instid0(VALU_DEP_2)
	s_and_saveexec_b32 s21, s2
	s_cbranch_execz .LBB386_23
; %bb.18:                               ;   in Loop: Header=BB386_13 Depth=1
	v_and_b32_e32 v133, 0x7f, v132
	v_mov_b32_e32 v28, 0x7f800001
	s_mov_b32 s22, exec_lo
	s_delay_alu instid0(VALU_DEP_2)
	v_cmpx_ne_u32_e32 0x7f, v133
	s_cbranch_execz .LBB386_22
; %bb.19:                               ;   in Loop: Header=BB386_13 Depth=1
	v_and_b32_e32 v28, 7, v132
	v_lshrrev_b32_e32 v130, 3, v133
	s_mov_b32 s23, exec_lo
	v_cmpx_gt_u32_e32 8, v133
; %bb.20:                               ;   in Loop: Header=BB386_13 Depth=1
	s_delay_alu instid0(VALU_DEP_3) | instskip(NEXT) | instid1(VALU_DEP_1)
	v_clz_i32_u32_e32 v130, v28
	v_min_u32_e32 v130, 32, v130
	s_delay_alu instid0(VALU_DEP_1) | instskip(SKIP_1) | instid1(VALU_DEP_2)
	v_subrev_nc_u32_e32 v133, 28, v130
	v_sub_nc_u32_e32 v130, 29, v130
	v_lshlrev_b64 v[133:134], v133, v[28:29]
	s_delay_alu instid0(VALU_DEP_1)
	v_and_b32_e32 v28, 7, v133
; %bb.21:                               ;   in Loop: Header=BB386_13 Depth=1
	s_or_b32 exec_lo, exec_lo, s23
	v_lshlrev_b32_e32 v133, 24, v132
	s_delay_alu instid0(VALU_DEP_2) | instskip(SKIP_1) | instid1(VALU_DEP_3)
	v_lshlrev_b32_e32 v28, 20, v28
	v_lshl_add_u32 v130, v130, 23, 0x3c000000
	v_and_b32_e32 v133, 0x80000000, v133
	s_delay_alu instid0(VALU_DEP_1)
	v_or3_b32 v28, v28, v133, v130
.LBB386_22:                             ;   in Loop: Header=BB386_13 Depth=1
	s_or_b32 exec_lo, exec_lo, s22
.LBB386_23:                             ;   in Loop: Header=BB386_13 Depth=1
	s_delay_alu instid0(SALU_CYCLE_1)
	s_or_b32 exec_lo, exec_lo, s21
.LBB386_24:                             ;   in Loop: Header=BB386_13 Depth=1
	s_delay_alu instid0(SALU_CYCLE_1) | instskip(SKIP_2) | instid1(VALU_DEP_1)
	s_or_b32 exec_lo, exec_lo, s20
	s_waitcnt vmcnt(0) lgkmcnt(7)
	v_mul_f32_e32 v28, v131, v28
	v_and_b32_e32 v130, 0x7f800000, v28
	s_delay_alu instid0(VALU_DEP_1) | instskip(NEXT) | instid1(VALU_DEP_1)
	v_cmp_ne_u32_e64 s2, 0x7f800000, v130
                                        ; implicit-def: $vgpr130
	s_and_saveexec_b32 s20, s2
	s_delay_alu instid0(SALU_CYCLE_1)
	s_xor_b32 s2, exec_lo, s20
; %bb.25:                               ;   in Loop: Header=BB386_13 Depth=1
	v_bfe_u32 v130, v28, 16, 1
	s_delay_alu instid0(VALU_DEP_1)
	v_add3_u32 v130, v28, v130, 0x7fff
                                        ; implicit-def: $vgpr28
; %bb.26:                               ;   in Loop: Header=BB386_13 Depth=1
	s_and_not1_saveexec_b32 s20, s2
; %bb.27:                               ;   in Loop: Header=BB386_13 Depth=1
	v_and_b32_e32 v130, 0xffff, v28
	v_or_b32_e32 v133, 0x10000, v28
	s_delay_alu instid0(VALU_DEP_2) | instskip(NEXT) | instid1(VALU_DEP_1)
	v_cmp_eq_u32_e64 s2, 0, v130
	v_cndmask_b32_e64 v130, v133, v28, s2
; %bb.28:                               ;   in Loop: Header=BB386_13 Depth=1
	s_or_b32 exec_lo, exec_lo, s20
	v_lshrrev_b16 v133, 8, v132
	v_mov_b32_e32 v28, 0
	s_mov_b32 s20, exec_lo
	s_delay_alu instid0(VALU_DEP_2)
	v_cmpx_ne_u16_e64 0, v133
	s_cbranch_execz .LBB386_36
; %bb.29:                               ;   in Loop: Header=BB386_13 Depth=1
	v_bfrev_b32_e32 v28, 1
	s_mov_b32 s21, exec_lo
	v_cmpx_ne_u16_e64 0x80, v133
	s_cbranch_execz .LBB386_35
; %bb.30:                               ;   in Loop: Header=BB386_13 Depth=1
	v_and_b32_e32 v133, 0xffff, v133
	v_mov_b32_e32 v28, 0x7f800001
	s_mov_b32 s22, exec_lo
	s_delay_alu instid0(VALU_DEP_2) | instskip(NEXT) | instid1(VALU_DEP_1)
	v_and_b32_e32 v134, 0x7f, v133
	v_cmpx_ne_u32_e32 0x7f, v134
	s_cbranch_execz .LBB386_34
; %bb.31:                               ;   in Loop: Header=BB386_13 Depth=1
	v_and_b32_e32 v28, 7, v133
	v_lshrrev_b32_e32 v133, 3, v134
	s_mov_b32 s23, exec_lo
	v_cmpx_gt_u32_e32 8, v134
; %bb.32:                               ;   in Loop: Header=BB386_13 Depth=1
	s_delay_alu instid0(VALU_DEP_3) | instskip(NEXT) | instid1(VALU_DEP_1)
	v_clz_i32_u32_e32 v133, v28
	v_min_u32_e32 v133, 32, v133
	s_delay_alu instid0(VALU_DEP_1) | instskip(SKIP_1) | instid1(VALU_DEP_2)
	v_subrev_nc_u32_e32 v134, 28, v133
	v_sub_nc_u32_e32 v133, 29, v133
	v_lshlrev_b64 v[134:135], v134, v[28:29]
	s_delay_alu instid0(VALU_DEP_1)
	v_and_b32_e32 v28, 7, v134
; %bb.33:                               ;   in Loop: Header=BB386_13 Depth=1
	s_or_b32 exec_lo, exec_lo, s23
	v_lshlrev_b32_e32 v132, 16, v132
	s_delay_alu instid0(VALU_DEP_2) | instskip(SKIP_1) | instid1(VALU_DEP_3)
	v_lshlrev_b32_e32 v28, 20, v28
	v_lshl_add_u32 v133, v133, 23, 0x3c000000
	v_and_b32_e32 v132, 0x80000000, v132
	s_delay_alu instid0(VALU_DEP_1)
	v_or3_b32 v28, v28, v132, v133
.LBB386_34:                             ;   in Loop: Header=BB386_13 Depth=1
	s_or_b32 exec_lo, exec_lo, s22
.LBB386_35:                             ;   in Loop: Header=BB386_13 Depth=1
	s_delay_alu instid0(SALU_CYCLE_1)
	s_or_b32 exec_lo, exec_lo, s21
.LBB386_36:                             ;   in Loop: Header=BB386_13 Depth=1
	s_delay_alu instid0(SALU_CYCLE_1) | instskip(NEXT) | instid1(VALU_DEP_1)
	s_or_b32 exec_lo, exec_lo, s20
	v_mul_f32_e32 v28, v131, v28
	s_delay_alu instid0(VALU_DEP_1) | instskip(NEXT) | instid1(VALU_DEP_1)
	v_and_b32_e32 v132, 0x7f800000, v28
	v_cmp_ne_u32_e64 s2, 0x7f800000, v132
                                        ; implicit-def: $vgpr132
	s_delay_alu instid0(VALU_DEP_1) | instskip(NEXT) | instid1(SALU_CYCLE_1)
	s_and_saveexec_b32 s20, s2
	s_xor_b32 s2, exec_lo, s20
; %bb.37:                               ;   in Loop: Header=BB386_13 Depth=1
	v_bfe_u32 v132, v28, 16, 1
	s_delay_alu instid0(VALU_DEP_1)
	v_add3_u32 v132, v28, v132, 0x7fff
                                        ; implicit-def: $vgpr28
; %bb.38:                               ;   in Loop: Header=BB386_13 Depth=1
	s_and_not1_saveexec_b32 s20, s2
; %bb.39:                               ;   in Loop: Header=BB386_13 Depth=1
	v_and_b32_e32 v132, 0xffff, v28
	v_or_b32_e32 v133, 0x10000, v28
	s_delay_alu instid0(VALU_DEP_2) | instskip(NEXT) | instid1(VALU_DEP_1)
	v_cmp_eq_u32_e64 s2, 0, v132
	v_cndmask_b32_e64 v132, v133, v28, s2
; %bb.40:                               ;   in Loop: Header=BB386_13 Depth=1
	s_or_b32 exec_lo, exec_lo, s20
	flat_load_u16 v28, v[80:81] offset:8
	s_mov_b32 s20, exec_lo
	s_waitcnt vmcnt(0) lgkmcnt(0)
	v_and_b32_e32 v133, 0xff, v28
	v_and_b32_e32 v134, 0xffff, v28
	v_mov_b32_e32 v28, 0
	s_delay_alu instid0(VALU_DEP_3)
	v_cmpx_ne_u16_e64 0, v133
	s_cbranch_execz .LBB386_48
; %bb.41:                               ;   in Loop: Header=BB386_13 Depth=1
	s_delay_alu instid0(VALU_DEP_3) | instskip(NEXT) | instid1(VALU_DEP_1)
	v_and_b32_e32 v28, 0xff, v134
	v_cmp_ne_u16_e64 s2, 0x80, v28
	v_bfrev_b32_e32 v28, 1
	s_delay_alu instid0(VALU_DEP_2)
	s_and_saveexec_b32 s21, s2
	s_cbranch_execz .LBB386_47
; %bb.42:                               ;   in Loop: Header=BB386_13 Depth=1
	v_and_b32_e32 v135, 0x7f, v134
	v_mov_b32_e32 v28, 0x7f800001
	s_mov_b32 s22, exec_lo
	s_delay_alu instid0(VALU_DEP_2)
	v_cmpx_ne_u32_e32 0x7f, v135
	s_cbranch_execz .LBB386_46
; %bb.43:                               ;   in Loop: Header=BB386_13 Depth=1
	v_and_b32_e32 v28, 7, v134
	v_lshrrev_b32_e32 v133, 3, v135
	s_mov_b32 s23, exec_lo
	v_cmpx_gt_u32_e32 8, v135
; %bb.44:                               ;   in Loop: Header=BB386_13 Depth=1
	s_delay_alu instid0(VALU_DEP_3) | instskip(NEXT) | instid1(VALU_DEP_1)
	v_clz_i32_u32_e32 v133, v28
	v_min_u32_e32 v133, 32, v133
	s_delay_alu instid0(VALU_DEP_1) | instskip(SKIP_1) | instid1(VALU_DEP_2)
	v_subrev_nc_u32_e32 v135, 28, v133
	v_sub_nc_u32_e32 v133, 29, v133
	v_lshlrev_b64 v[144:145], v135, v[28:29]
	s_delay_alu instid0(VALU_DEP_1)
	v_and_b32_e32 v28, 7, v144
; %bb.45:                               ;   in Loop: Header=BB386_13 Depth=1
	s_or_b32 exec_lo, exec_lo, s23
	v_lshlrev_b32_e32 v135, 24, v134
	s_delay_alu instid0(VALU_DEP_2) | instskip(SKIP_1) | instid1(VALU_DEP_3)
	v_lshlrev_b32_e32 v28, 20, v28
	v_lshl_add_u32 v133, v133, 23, 0x3c000000
	v_and_b32_e32 v135, 0x80000000, v135
	s_delay_alu instid0(VALU_DEP_1)
	v_or3_b32 v28, v28, v135, v133
.LBB386_46:                             ;   in Loop: Header=BB386_13 Depth=1
	s_or_b32 exec_lo, exec_lo, s22
.LBB386_47:                             ;   in Loop: Header=BB386_13 Depth=1
	s_delay_alu instid0(SALU_CYCLE_1)
	s_or_b32 exec_lo, exec_lo, s21
.LBB386_48:                             ;   in Loop: Header=BB386_13 Depth=1
	s_delay_alu instid0(SALU_CYCLE_1) | instskip(NEXT) | instid1(VALU_DEP_1)
	s_or_b32 exec_lo, exec_lo, s20
	v_mul_f32_e32 v28, v131, v28
	s_delay_alu instid0(VALU_DEP_1) | instskip(NEXT) | instid1(VALU_DEP_1)
	v_and_b32_e32 v133, 0x7f800000, v28
	v_cmp_ne_u32_e64 s2, 0x7f800000, v133
                                        ; implicit-def: $vgpr133
	s_delay_alu instid0(VALU_DEP_1) | instskip(NEXT) | instid1(SALU_CYCLE_1)
	s_and_saveexec_b32 s20, s2
	s_xor_b32 s2, exec_lo, s20
; %bb.49:                               ;   in Loop: Header=BB386_13 Depth=1
	v_bfe_u32 v133, v28, 16, 1
	s_delay_alu instid0(VALU_DEP_1)
	v_add3_u32 v133, v28, v133, 0x7fff
                                        ; implicit-def: $vgpr28
; %bb.50:                               ;   in Loop: Header=BB386_13 Depth=1
	s_and_not1_saveexec_b32 s20, s2
; %bb.51:                               ;   in Loop: Header=BB386_13 Depth=1
	v_and_b32_e32 v133, 0xffff, v28
	v_or_b32_e32 v135, 0x10000, v28
	s_delay_alu instid0(VALU_DEP_2) | instskip(NEXT) | instid1(VALU_DEP_1)
	v_cmp_eq_u32_e64 s2, 0, v133
	v_cndmask_b32_e64 v133, v135, v28, s2
; %bb.52:                               ;   in Loop: Header=BB386_13 Depth=1
	s_or_b32 exec_lo, exec_lo, s20
	v_lshrrev_b16 v135, 8, v134
	v_mov_b32_e32 v28, 0
	s_mov_b32 s20, exec_lo
	s_delay_alu instid0(VALU_DEP_2)
	v_cmpx_ne_u16_e64 0, v135
	s_cbranch_execz .LBB386_60
; %bb.53:                               ;   in Loop: Header=BB386_13 Depth=1
	v_bfrev_b32_e32 v28, 1
	s_mov_b32 s21, exec_lo
	v_cmpx_ne_u16_e64 0x80, v135
	s_cbranch_execz .LBB386_59
; %bb.54:                               ;   in Loop: Header=BB386_13 Depth=1
	v_and_b32_e32 v135, 0xffff, v135
	v_mov_b32_e32 v28, 0x7f800001
	s_mov_b32 s22, exec_lo
	s_delay_alu instid0(VALU_DEP_2) | instskip(NEXT) | instid1(VALU_DEP_1)
	v_and_b32_e32 v144, 0x7f, v135
	v_cmpx_ne_u32_e32 0x7f, v144
	s_cbranch_execz .LBB386_58
; %bb.55:                               ;   in Loop: Header=BB386_13 Depth=1
	v_and_b32_e32 v28, 7, v135
	v_lshrrev_b32_e32 v135, 3, v144
	s_mov_b32 s23, exec_lo
	v_cmpx_gt_u32_e32 8, v144
; %bb.56:                               ;   in Loop: Header=BB386_13 Depth=1
	s_delay_alu instid0(VALU_DEP_3) | instskip(NEXT) | instid1(VALU_DEP_1)
	v_clz_i32_u32_e32 v135, v28
	v_min_u32_e32 v135, 32, v135
	s_delay_alu instid0(VALU_DEP_1) | instskip(SKIP_1) | instid1(VALU_DEP_2)
	v_subrev_nc_u32_e32 v144, 28, v135
	v_sub_nc_u32_e32 v135, 29, v135
	v_lshlrev_b64 v[144:145], v144, v[28:29]
	s_delay_alu instid0(VALU_DEP_1)
	v_and_b32_e32 v28, 7, v144
; %bb.57:                               ;   in Loop: Header=BB386_13 Depth=1
	s_or_b32 exec_lo, exec_lo, s23
	v_lshlrev_b32_e32 v134, 16, v134
	s_delay_alu instid0(VALU_DEP_2) | instskip(SKIP_1) | instid1(VALU_DEP_3)
	v_lshlrev_b32_e32 v28, 20, v28
	v_lshl_add_u32 v135, v135, 23, 0x3c000000
	v_and_b32_e32 v134, 0x80000000, v134
	s_delay_alu instid0(VALU_DEP_1)
	v_or3_b32 v28, v28, v134, v135
.LBB386_58:                             ;   in Loop: Header=BB386_13 Depth=1
	s_or_b32 exec_lo, exec_lo, s22
.LBB386_59:                             ;   in Loop: Header=BB386_13 Depth=1
	s_delay_alu instid0(SALU_CYCLE_1)
	s_or_b32 exec_lo, exec_lo, s21
.LBB386_60:                             ;   in Loop: Header=BB386_13 Depth=1
	s_delay_alu instid0(SALU_CYCLE_1) | instskip(NEXT) | instid1(VALU_DEP_1)
	s_or_b32 exec_lo, exec_lo, s20
	v_mul_f32_e32 v28, v131, v28
	s_delay_alu instid0(VALU_DEP_1) | instskip(NEXT) | instid1(VALU_DEP_1)
	v_and_b32_e32 v134, 0x7f800000, v28
	v_cmp_ne_u32_e64 s2, 0x7f800000, v134
                                        ; implicit-def: $vgpr134
	s_delay_alu instid0(VALU_DEP_1) | instskip(NEXT) | instid1(SALU_CYCLE_1)
	s_and_saveexec_b32 s20, s2
	s_xor_b32 s2, exec_lo, s20
; %bb.61:                               ;   in Loop: Header=BB386_13 Depth=1
	v_bfe_u32 v134, v28, 16, 1
	s_delay_alu instid0(VALU_DEP_1)
	v_add3_u32 v134, v28, v134, 0x7fff
                                        ; implicit-def: $vgpr28
; %bb.62:                               ;   in Loop: Header=BB386_13 Depth=1
	s_and_not1_saveexec_b32 s20, s2
; %bb.63:                               ;   in Loop: Header=BB386_13 Depth=1
	v_and_b32_e32 v134, 0xffff, v28
	v_or_b32_e32 v135, 0x10000, v28
	s_delay_alu instid0(VALU_DEP_2) | instskip(NEXT) | instid1(VALU_DEP_1)
	v_cmp_eq_u32_e64 s2, 0, v134
	v_cndmask_b32_e64 v134, v135, v28, s2
; %bb.64:                               ;   in Loop: Header=BB386_13 Depth=1
	s_or_b32 exec_lo, exec_lo, s20
	flat_load_u16 v28, v[80:81] offset:128
	s_mov_b32 s20, exec_lo
	s_waitcnt vmcnt(0) lgkmcnt(0)
	v_and_b32_e32 v135, 0xff, v28
	v_and_b32_e32 v144, 0xffff, v28
	v_mov_b32_e32 v28, 0
	s_delay_alu instid0(VALU_DEP_3)
	v_cmpx_ne_u16_e64 0, v135
	s_cbranch_execz .LBB386_72
; %bb.65:                               ;   in Loop: Header=BB386_13 Depth=1
	s_delay_alu instid0(VALU_DEP_3) | instskip(NEXT) | instid1(VALU_DEP_1)
	v_and_b32_e32 v28, 0xff, v144
	v_cmp_ne_u16_e64 s2, 0x80, v28
	v_bfrev_b32_e32 v28, 1
	s_delay_alu instid0(VALU_DEP_2)
	s_and_saveexec_b32 s21, s2
	s_cbranch_execz .LBB386_71
; %bb.66:                               ;   in Loop: Header=BB386_13 Depth=1
	v_and_b32_e32 v145, 0x7f, v144
	v_mov_b32_e32 v28, 0x7f800001
	s_mov_b32 s22, exec_lo
	s_delay_alu instid0(VALU_DEP_2)
	v_cmpx_ne_u32_e32 0x7f, v145
	s_cbranch_execz .LBB386_70
; %bb.67:                               ;   in Loop: Header=BB386_13 Depth=1
	v_and_b32_e32 v28, 7, v144
	v_lshrrev_b32_e32 v135, 3, v145
	s_mov_b32 s23, exec_lo
	v_cmpx_gt_u32_e32 8, v145
; %bb.68:                               ;   in Loop: Header=BB386_13 Depth=1
	s_delay_alu instid0(VALU_DEP_3) | instskip(NEXT) | instid1(VALU_DEP_1)
	v_clz_i32_u32_e32 v135, v28
	v_min_u32_e32 v135, 32, v135
	s_delay_alu instid0(VALU_DEP_1) | instskip(SKIP_1) | instid1(VALU_DEP_2)
	v_subrev_nc_u32_e32 v145, 28, v135
	v_sub_nc_u32_e32 v135, 29, v135
	v_lshlrev_b64 v[145:146], v145, v[28:29]
	s_delay_alu instid0(VALU_DEP_1)
	v_and_b32_e32 v28, 7, v145
; %bb.69:                               ;   in Loop: Header=BB386_13 Depth=1
	s_or_b32 exec_lo, exec_lo, s23
	v_lshlrev_b32_e32 v145, 24, v144
	s_delay_alu instid0(VALU_DEP_2) | instskip(SKIP_1) | instid1(VALU_DEP_3)
	v_lshlrev_b32_e32 v28, 20, v28
	v_lshl_add_u32 v135, v135, 23, 0x3c000000
	v_and_b32_e32 v145, 0x80000000, v145
	s_delay_alu instid0(VALU_DEP_1)
	v_or3_b32 v28, v28, v145, v135
.LBB386_70:                             ;   in Loop: Header=BB386_13 Depth=1
	s_or_b32 exec_lo, exec_lo, s22
.LBB386_71:                             ;   in Loop: Header=BB386_13 Depth=1
	s_delay_alu instid0(SALU_CYCLE_1)
	s_or_b32 exec_lo, exec_lo, s21
.LBB386_72:                             ;   in Loop: Header=BB386_13 Depth=1
	s_delay_alu instid0(SALU_CYCLE_1) | instskip(NEXT) | instid1(VALU_DEP_1)
	s_or_b32 exec_lo, exec_lo, s20
	v_mul_f32_e32 v28, v131, v28
	s_delay_alu instid0(VALU_DEP_1) | instskip(NEXT) | instid1(VALU_DEP_1)
	v_and_b32_e32 v135, 0x7f800000, v28
	v_cmp_ne_u32_e64 s2, 0x7f800000, v135
                                        ; implicit-def: $vgpr135
	s_delay_alu instid0(VALU_DEP_1) | instskip(NEXT) | instid1(SALU_CYCLE_1)
	s_and_saveexec_b32 s20, s2
	s_xor_b32 s2, exec_lo, s20
; %bb.73:                               ;   in Loop: Header=BB386_13 Depth=1
	v_bfe_u32 v135, v28, 16, 1
	s_delay_alu instid0(VALU_DEP_1)
	v_add3_u32 v135, v28, v135, 0x7fff
                                        ; implicit-def: $vgpr28
; %bb.74:                               ;   in Loop: Header=BB386_13 Depth=1
	s_and_not1_saveexec_b32 s20, s2
; %bb.75:                               ;   in Loop: Header=BB386_13 Depth=1
	v_and_b32_e32 v135, 0xffff, v28
	v_or_b32_e32 v145, 0x10000, v28
	s_delay_alu instid0(VALU_DEP_2) | instskip(NEXT) | instid1(VALU_DEP_1)
	v_cmp_eq_u32_e64 s2, 0, v135
	v_cndmask_b32_e64 v135, v145, v28, s2
; %bb.76:                               ;   in Loop: Header=BB386_13 Depth=1
	s_or_b32 exec_lo, exec_lo, s20
	v_lshrrev_b16 v145, 8, v144
	v_mov_b32_e32 v28, 0
	s_mov_b32 s20, exec_lo
	s_delay_alu instid0(VALU_DEP_2)
	v_cmpx_ne_u16_e64 0, v145
	s_cbranch_execz .LBB386_84
; %bb.77:                               ;   in Loop: Header=BB386_13 Depth=1
	v_bfrev_b32_e32 v28, 1
	s_mov_b32 s21, exec_lo
	v_cmpx_ne_u16_e64 0x80, v145
	s_cbranch_execz .LBB386_83
; %bb.78:                               ;   in Loop: Header=BB386_13 Depth=1
	v_and_b32_e32 v145, 0xffff, v145
	v_mov_b32_e32 v28, 0x7f800001
	s_mov_b32 s22, exec_lo
	s_delay_alu instid0(VALU_DEP_2) | instskip(NEXT) | instid1(VALU_DEP_1)
	v_and_b32_e32 v146, 0x7f, v145
	v_cmpx_ne_u32_e32 0x7f, v146
	s_cbranch_execz .LBB386_82
; %bb.79:                               ;   in Loop: Header=BB386_13 Depth=1
	v_and_b32_e32 v28, 7, v145
	v_lshrrev_b32_e32 v145, 3, v146
	s_mov_b32 s23, exec_lo
	v_cmpx_gt_u32_e32 8, v146
; %bb.80:                               ;   in Loop: Header=BB386_13 Depth=1
	s_delay_alu instid0(VALU_DEP_3) | instskip(NEXT) | instid1(VALU_DEP_1)
	v_clz_i32_u32_e32 v145, v28
	v_min_u32_e32 v145, 32, v145
	s_delay_alu instid0(VALU_DEP_1) | instskip(SKIP_1) | instid1(VALU_DEP_2)
	v_subrev_nc_u32_e32 v146, 28, v145
	v_sub_nc_u32_e32 v145, 29, v145
	v_lshlrev_b64 v[146:147], v146, v[28:29]
	s_delay_alu instid0(VALU_DEP_1)
	v_and_b32_e32 v28, 7, v146
; %bb.81:                               ;   in Loop: Header=BB386_13 Depth=1
	s_or_b32 exec_lo, exec_lo, s23
	v_lshlrev_b32_e32 v144, 16, v144
	s_delay_alu instid0(VALU_DEP_2) | instskip(SKIP_1) | instid1(VALU_DEP_3)
	v_lshlrev_b32_e32 v28, 20, v28
	v_lshl_add_u32 v145, v145, 23, 0x3c000000
	v_and_b32_e32 v144, 0x80000000, v144
	s_delay_alu instid0(VALU_DEP_1)
	v_or3_b32 v28, v28, v144, v145
.LBB386_82:                             ;   in Loop: Header=BB386_13 Depth=1
	s_or_b32 exec_lo, exec_lo, s22
.LBB386_83:                             ;   in Loop: Header=BB386_13 Depth=1
	s_delay_alu instid0(SALU_CYCLE_1)
	s_or_b32 exec_lo, exec_lo, s21
.LBB386_84:                             ;   in Loop: Header=BB386_13 Depth=1
	s_delay_alu instid0(SALU_CYCLE_1) | instskip(NEXT) | instid1(VALU_DEP_1)
	s_or_b32 exec_lo, exec_lo, s20
	v_mul_f32_e32 v28, v131, v28
	s_delay_alu instid0(VALU_DEP_1) | instskip(NEXT) | instid1(VALU_DEP_1)
	v_and_b32_e32 v144, 0x7f800000, v28
	v_cmp_ne_u32_e64 s2, 0x7f800000, v144
                                        ; implicit-def: $vgpr144
	s_delay_alu instid0(VALU_DEP_1) | instskip(NEXT) | instid1(SALU_CYCLE_1)
	s_and_saveexec_b32 s20, s2
	s_xor_b32 s2, exec_lo, s20
; %bb.85:                               ;   in Loop: Header=BB386_13 Depth=1
	v_bfe_u32 v144, v28, 16, 1
	s_delay_alu instid0(VALU_DEP_1)
	v_add3_u32 v144, v28, v144, 0x7fff
                                        ; implicit-def: $vgpr28
; %bb.86:                               ;   in Loop: Header=BB386_13 Depth=1
	s_and_not1_saveexec_b32 s20, s2
; %bb.87:                               ;   in Loop: Header=BB386_13 Depth=1
	v_and_b32_e32 v144, 0xffff, v28
	v_or_b32_e32 v145, 0x10000, v28
	s_delay_alu instid0(VALU_DEP_2) | instskip(NEXT) | instid1(VALU_DEP_1)
	v_cmp_eq_u32_e64 s2, 0, v144
	v_cndmask_b32_e64 v144, v145, v28, s2
; %bb.88:                               ;   in Loop: Header=BB386_13 Depth=1
	s_or_b32 exec_lo, exec_lo, s20
	flat_load_u16 v28, v[80:81] offset:136
	s_mov_b32 s20, exec_lo
	s_waitcnt vmcnt(0) lgkmcnt(0)
	v_and_b32_e32 v145, 0xff, v28
	v_and_b32_e32 v146, 0xffff, v28
	v_mov_b32_e32 v28, 0
	s_delay_alu instid0(VALU_DEP_3)
	v_cmpx_ne_u16_e64 0, v145
	s_cbranch_execz .LBB386_96
; %bb.89:                               ;   in Loop: Header=BB386_13 Depth=1
	s_delay_alu instid0(VALU_DEP_3) | instskip(NEXT) | instid1(VALU_DEP_1)
	v_and_b32_e32 v28, 0xff, v146
	v_cmp_ne_u16_e64 s2, 0x80, v28
	v_bfrev_b32_e32 v28, 1
	s_delay_alu instid0(VALU_DEP_2)
	s_and_saveexec_b32 s21, s2
	s_cbranch_execz .LBB386_95
; %bb.90:                               ;   in Loop: Header=BB386_13 Depth=1
	v_and_b32_e32 v147, 0x7f, v146
	v_mov_b32_e32 v28, 0x7f800001
	s_mov_b32 s22, exec_lo
	s_delay_alu instid0(VALU_DEP_2)
	v_cmpx_ne_u32_e32 0x7f, v147
	s_cbranch_execz .LBB386_94
; %bb.91:                               ;   in Loop: Header=BB386_13 Depth=1
	v_and_b32_e32 v28, 7, v146
	v_lshrrev_b32_e32 v145, 3, v147
	s_mov_b32 s23, exec_lo
	v_cmpx_gt_u32_e32 8, v147
; %bb.92:                               ;   in Loop: Header=BB386_13 Depth=1
	s_delay_alu instid0(VALU_DEP_3) | instskip(NEXT) | instid1(VALU_DEP_1)
	v_clz_i32_u32_e32 v145, v28
	v_min_u32_e32 v145, 32, v145
	s_delay_alu instid0(VALU_DEP_1) | instskip(SKIP_1) | instid1(VALU_DEP_2)
	v_subrev_nc_u32_e32 v147, 28, v145
	v_sub_nc_u32_e32 v145, 29, v145
	v_lshlrev_b64 v[147:148], v147, v[28:29]
	s_delay_alu instid0(VALU_DEP_1)
	v_and_b32_e32 v28, 7, v147
; %bb.93:                               ;   in Loop: Header=BB386_13 Depth=1
	s_or_b32 exec_lo, exec_lo, s23
	v_lshlrev_b32_e32 v147, 24, v146
	s_delay_alu instid0(VALU_DEP_2) | instskip(SKIP_1) | instid1(VALU_DEP_3)
	v_lshlrev_b32_e32 v28, 20, v28
	v_lshl_add_u32 v145, v145, 23, 0x3c000000
	v_and_b32_e32 v147, 0x80000000, v147
	s_delay_alu instid0(VALU_DEP_1)
	v_or3_b32 v28, v28, v147, v145
.LBB386_94:                             ;   in Loop: Header=BB386_13 Depth=1
	s_or_b32 exec_lo, exec_lo, s22
.LBB386_95:                             ;   in Loop: Header=BB386_13 Depth=1
	s_delay_alu instid0(SALU_CYCLE_1)
	s_or_b32 exec_lo, exec_lo, s21
.LBB386_96:                             ;   in Loop: Header=BB386_13 Depth=1
	s_delay_alu instid0(SALU_CYCLE_1) | instskip(NEXT) | instid1(VALU_DEP_1)
	s_or_b32 exec_lo, exec_lo, s20
	v_mul_f32_e32 v28, v131, v28
	s_delay_alu instid0(VALU_DEP_1) | instskip(NEXT) | instid1(VALU_DEP_1)
	v_and_b32_e32 v145, 0x7f800000, v28
	v_cmp_ne_u32_e64 s2, 0x7f800000, v145
                                        ; implicit-def: $vgpr145
	s_delay_alu instid0(VALU_DEP_1) | instskip(NEXT) | instid1(SALU_CYCLE_1)
	s_and_saveexec_b32 s20, s2
	s_xor_b32 s2, exec_lo, s20
; %bb.97:                               ;   in Loop: Header=BB386_13 Depth=1
	v_bfe_u32 v145, v28, 16, 1
	s_delay_alu instid0(VALU_DEP_1)
	v_add3_u32 v145, v28, v145, 0x7fff
                                        ; implicit-def: $vgpr28
; %bb.98:                               ;   in Loop: Header=BB386_13 Depth=1
	s_and_not1_saveexec_b32 s20, s2
; %bb.99:                               ;   in Loop: Header=BB386_13 Depth=1
	v_and_b32_e32 v145, 0xffff, v28
	v_or_b32_e32 v147, 0x10000, v28
	s_delay_alu instid0(VALU_DEP_2) | instskip(NEXT) | instid1(VALU_DEP_1)
	v_cmp_eq_u32_e64 s2, 0, v145
	v_cndmask_b32_e64 v145, v147, v28, s2
; %bb.100:                              ;   in Loop: Header=BB386_13 Depth=1
	s_or_b32 exec_lo, exec_lo, s20
	v_lshrrev_b16 v147, 8, v146
	v_mov_b32_e32 v28, 0
	s_mov_b32 s20, exec_lo
	s_delay_alu instid0(VALU_DEP_2)
	v_cmpx_ne_u16_e64 0, v147
	s_cbranch_execz .LBB386_108
; %bb.101:                              ;   in Loop: Header=BB386_13 Depth=1
	v_bfrev_b32_e32 v28, 1
	s_mov_b32 s21, exec_lo
	v_cmpx_ne_u16_e64 0x80, v147
	s_cbranch_execz .LBB386_107
; %bb.102:                              ;   in Loop: Header=BB386_13 Depth=1
	v_and_b32_e32 v147, 0xffff, v147
	v_mov_b32_e32 v28, 0x7f800001
	s_mov_b32 s22, exec_lo
	s_delay_alu instid0(VALU_DEP_2) | instskip(NEXT) | instid1(VALU_DEP_1)
	v_and_b32_e32 v148, 0x7f, v147
	v_cmpx_ne_u32_e32 0x7f, v148
	s_cbranch_execz .LBB386_106
; %bb.103:                              ;   in Loop: Header=BB386_13 Depth=1
	v_and_b32_e32 v28, 7, v147
	v_lshrrev_b32_e32 v147, 3, v148
	s_mov_b32 s23, exec_lo
	v_cmpx_gt_u32_e32 8, v148
; %bb.104:                              ;   in Loop: Header=BB386_13 Depth=1
	s_delay_alu instid0(VALU_DEP_3) | instskip(NEXT) | instid1(VALU_DEP_1)
	v_clz_i32_u32_e32 v147, v28
	v_min_u32_e32 v147, 32, v147
	s_delay_alu instid0(VALU_DEP_1) | instskip(SKIP_1) | instid1(VALU_DEP_2)
	v_subrev_nc_u32_e32 v148, 28, v147
	v_sub_nc_u32_e32 v147, 29, v147
	v_lshlrev_b64 v[148:149], v148, v[28:29]
	s_delay_alu instid0(VALU_DEP_1)
	v_and_b32_e32 v28, 7, v148
; %bb.105:                              ;   in Loop: Header=BB386_13 Depth=1
	s_or_b32 exec_lo, exec_lo, s23
	v_lshlrev_b32_e32 v146, 16, v146
	s_delay_alu instid0(VALU_DEP_2) | instskip(SKIP_1) | instid1(VALU_DEP_3)
	v_lshlrev_b32_e32 v28, 20, v28
	v_lshl_add_u32 v147, v147, 23, 0x3c000000
	v_and_b32_e32 v146, 0x80000000, v146
	s_delay_alu instid0(VALU_DEP_1)
	v_or3_b32 v28, v28, v146, v147
.LBB386_106:                            ;   in Loop: Header=BB386_13 Depth=1
	s_or_b32 exec_lo, exec_lo, s22
.LBB386_107:                            ;   in Loop: Header=BB386_13 Depth=1
	s_delay_alu instid0(SALU_CYCLE_1)
	s_or_b32 exec_lo, exec_lo, s21
.LBB386_108:                            ;   in Loop: Header=BB386_13 Depth=1
	s_delay_alu instid0(SALU_CYCLE_1) | instskip(NEXT) | instid1(VALU_DEP_1)
	s_or_b32 exec_lo, exec_lo, s20
	v_mul_f32_e32 v28, v131, v28
	s_delay_alu instid0(VALU_DEP_1) | instskip(NEXT) | instid1(VALU_DEP_1)
	v_and_b32_e32 v146, 0x7f800000, v28
	v_cmp_ne_u32_e64 s2, 0x7f800000, v146
                                        ; implicit-def: $vgpr146
	s_delay_alu instid0(VALU_DEP_1) | instskip(NEXT) | instid1(SALU_CYCLE_1)
	s_and_saveexec_b32 s20, s2
	s_xor_b32 s2, exec_lo, s20
; %bb.109:                              ;   in Loop: Header=BB386_13 Depth=1
	v_bfe_u32 v146, v28, 16, 1
	s_delay_alu instid0(VALU_DEP_1)
	v_add3_u32 v146, v28, v146, 0x7fff
                                        ; implicit-def: $vgpr28
; %bb.110:                              ;   in Loop: Header=BB386_13 Depth=1
	s_and_not1_saveexec_b32 s20, s2
; %bb.111:                              ;   in Loop: Header=BB386_13 Depth=1
	v_and_b32_e32 v146, 0xffff, v28
	v_or_b32_e32 v147, 0x10000, v28
	s_delay_alu instid0(VALU_DEP_2) | instskip(NEXT) | instid1(VALU_DEP_1)
	v_cmp_eq_u32_e64 s2, 0, v146
	v_cndmask_b32_e64 v146, v147, v28, s2
; %bb.112:                              ;   in Loop: Header=BB386_13 Depth=1
	s_or_b32 exec_lo, exec_lo, s20
	flat_load_u16 v28, v[80:81] offset:256
	s_mov_b32 s20, exec_lo
	s_waitcnt vmcnt(0) lgkmcnt(0)
	v_and_b32_e32 v147, 0xff, v28
	v_and_b32_e32 v148, 0xffff, v28
	v_mov_b32_e32 v28, 0
	s_delay_alu instid0(VALU_DEP_3)
	v_cmpx_ne_u16_e64 0, v147
	s_cbranch_execz .LBB386_120
; %bb.113:                              ;   in Loop: Header=BB386_13 Depth=1
	s_delay_alu instid0(VALU_DEP_3) | instskip(NEXT) | instid1(VALU_DEP_1)
	v_and_b32_e32 v28, 0xff, v148
	v_cmp_ne_u16_e64 s2, 0x80, v28
	v_bfrev_b32_e32 v28, 1
	s_delay_alu instid0(VALU_DEP_2)
	s_and_saveexec_b32 s21, s2
	s_cbranch_execz .LBB386_119
; %bb.114:                              ;   in Loop: Header=BB386_13 Depth=1
	v_and_b32_e32 v149, 0x7f, v148
	v_mov_b32_e32 v28, 0x7f800001
	s_mov_b32 s22, exec_lo
	s_delay_alu instid0(VALU_DEP_2)
	v_cmpx_ne_u32_e32 0x7f, v149
	s_cbranch_execz .LBB386_118
; %bb.115:                              ;   in Loop: Header=BB386_13 Depth=1
	v_and_b32_e32 v28, 7, v148
	v_lshrrev_b32_e32 v147, 3, v149
	s_mov_b32 s23, exec_lo
	v_cmpx_gt_u32_e32 8, v149
; %bb.116:                              ;   in Loop: Header=BB386_13 Depth=1
	s_delay_alu instid0(VALU_DEP_3) | instskip(NEXT) | instid1(VALU_DEP_1)
	v_clz_i32_u32_e32 v147, v28
	v_min_u32_e32 v147, 32, v147
	s_delay_alu instid0(VALU_DEP_1) | instskip(SKIP_1) | instid1(VALU_DEP_2)
	v_subrev_nc_u32_e32 v149, 28, v147
	v_sub_nc_u32_e32 v147, 29, v147
	v_lshlrev_b64 v[149:150], v149, v[28:29]
	s_delay_alu instid0(VALU_DEP_1)
	v_and_b32_e32 v28, 7, v149
; %bb.117:                              ;   in Loop: Header=BB386_13 Depth=1
	s_or_b32 exec_lo, exec_lo, s23
	v_lshlrev_b32_e32 v149, 24, v148
	s_delay_alu instid0(VALU_DEP_2) | instskip(SKIP_1) | instid1(VALU_DEP_3)
	v_lshlrev_b32_e32 v28, 20, v28
	v_lshl_add_u32 v147, v147, 23, 0x3c000000
	v_and_b32_e32 v149, 0x80000000, v149
	s_delay_alu instid0(VALU_DEP_1)
	v_or3_b32 v28, v28, v149, v147
.LBB386_118:                            ;   in Loop: Header=BB386_13 Depth=1
	s_or_b32 exec_lo, exec_lo, s22
.LBB386_119:                            ;   in Loop: Header=BB386_13 Depth=1
	s_delay_alu instid0(SALU_CYCLE_1)
	s_or_b32 exec_lo, exec_lo, s21
.LBB386_120:                            ;   in Loop: Header=BB386_13 Depth=1
	s_delay_alu instid0(SALU_CYCLE_1) | instskip(NEXT) | instid1(VALU_DEP_1)
	s_or_b32 exec_lo, exec_lo, s20
	v_mul_f32_e32 v28, v131, v28
	s_delay_alu instid0(VALU_DEP_1) | instskip(NEXT) | instid1(VALU_DEP_1)
	v_and_b32_e32 v147, 0x7f800000, v28
	v_cmp_ne_u32_e64 s2, 0x7f800000, v147
                                        ; implicit-def: $vgpr147
	s_delay_alu instid0(VALU_DEP_1) | instskip(NEXT) | instid1(SALU_CYCLE_1)
	s_and_saveexec_b32 s20, s2
	s_xor_b32 s2, exec_lo, s20
; %bb.121:                              ;   in Loop: Header=BB386_13 Depth=1
	v_bfe_u32 v147, v28, 16, 1
	s_delay_alu instid0(VALU_DEP_1)
	v_add3_u32 v147, v28, v147, 0x7fff
                                        ; implicit-def: $vgpr28
; %bb.122:                              ;   in Loop: Header=BB386_13 Depth=1
	s_and_not1_saveexec_b32 s20, s2
; %bb.123:                              ;   in Loop: Header=BB386_13 Depth=1
	v_and_b32_e32 v147, 0xffff, v28
	v_or_b32_e32 v149, 0x10000, v28
	s_delay_alu instid0(VALU_DEP_2) | instskip(NEXT) | instid1(VALU_DEP_1)
	v_cmp_eq_u32_e64 s2, 0, v147
	v_cndmask_b32_e64 v147, v149, v28, s2
; %bb.124:                              ;   in Loop: Header=BB386_13 Depth=1
	s_or_b32 exec_lo, exec_lo, s20
	v_lshrrev_b16 v149, 8, v148
	v_mov_b32_e32 v28, 0
	s_mov_b32 s20, exec_lo
	s_delay_alu instid0(VALU_DEP_2)
	v_cmpx_ne_u16_e64 0, v149
	s_cbranch_execz .LBB386_132
; %bb.125:                              ;   in Loop: Header=BB386_13 Depth=1
	v_bfrev_b32_e32 v28, 1
	s_mov_b32 s21, exec_lo
	v_cmpx_ne_u16_e64 0x80, v149
	s_cbranch_execz .LBB386_131
; %bb.126:                              ;   in Loop: Header=BB386_13 Depth=1
	v_and_b32_e32 v149, 0xffff, v149
	v_mov_b32_e32 v28, 0x7f800001
	s_mov_b32 s22, exec_lo
	s_delay_alu instid0(VALU_DEP_2) | instskip(NEXT) | instid1(VALU_DEP_1)
	v_and_b32_e32 v150, 0x7f, v149
	v_cmpx_ne_u32_e32 0x7f, v150
	s_cbranch_execz .LBB386_130
; %bb.127:                              ;   in Loop: Header=BB386_13 Depth=1
	v_and_b32_e32 v28, 7, v149
	v_lshrrev_b32_e32 v149, 3, v150
	s_mov_b32 s23, exec_lo
	v_cmpx_gt_u32_e32 8, v150
; %bb.128:                              ;   in Loop: Header=BB386_13 Depth=1
	s_delay_alu instid0(VALU_DEP_3) | instskip(NEXT) | instid1(VALU_DEP_1)
	v_clz_i32_u32_e32 v149, v28
	v_min_u32_e32 v149, 32, v149
	s_delay_alu instid0(VALU_DEP_1) | instskip(SKIP_1) | instid1(VALU_DEP_2)
	v_subrev_nc_u32_e32 v150, 28, v149
	v_sub_nc_u32_e32 v149, 29, v149
	v_lshlrev_b64 v[150:151], v150, v[28:29]
	s_delay_alu instid0(VALU_DEP_1)
	v_and_b32_e32 v28, 7, v150
; %bb.129:                              ;   in Loop: Header=BB386_13 Depth=1
	s_or_b32 exec_lo, exec_lo, s23
	v_lshlrev_b32_e32 v148, 16, v148
	s_delay_alu instid0(VALU_DEP_2) | instskip(SKIP_1) | instid1(VALU_DEP_3)
	v_lshlrev_b32_e32 v28, 20, v28
	v_lshl_add_u32 v149, v149, 23, 0x3c000000
	v_and_b32_e32 v148, 0x80000000, v148
	s_delay_alu instid0(VALU_DEP_1)
	v_or3_b32 v28, v28, v148, v149
.LBB386_130:                            ;   in Loop: Header=BB386_13 Depth=1
	s_or_b32 exec_lo, exec_lo, s22
.LBB386_131:                            ;   in Loop: Header=BB386_13 Depth=1
	s_delay_alu instid0(SALU_CYCLE_1)
	s_or_b32 exec_lo, exec_lo, s21
.LBB386_132:                            ;   in Loop: Header=BB386_13 Depth=1
	s_delay_alu instid0(SALU_CYCLE_1) | instskip(NEXT) | instid1(VALU_DEP_1)
	s_or_b32 exec_lo, exec_lo, s20
	v_mul_f32_e32 v28, v131, v28
	s_delay_alu instid0(VALU_DEP_1) | instskip(NEXT) | instid1(VALU_DEP_1)
	v_and_b32_e32 v148, 0x7f800000, v28
	v_cmp_ne_u32_e64 s2, 0x7f800000, v148
                                        ; implicit-def: $vgpr148
	s_delay_alu instid0(VALU_DEP_1) | instskip(NEXT) | instid1(SALU_CYCLE_1)
	s_and_saveexec_b32 s20, s2
	s_xor_b32 s2, exec_lo, s20
; %bb.133:                              ;   in Loop: Header=BB386_13 Depth=1
	v_bfe_u32 v148, v28, 16, 1
	s_delay_alu instid0(VALU_DEP_1)
	v_add3_u32 v148, v28, v148, 0x7fff
                                        ; implicit-def: $vgpr28
; %bb.134:                              ;   in Loop: Header=BB386_13 Depth=1
	s_and_not1_saveexec_b32 s20, s2
; %bb.135:                              ;   in Loop: Header=BB386_13 Depth=1
	v_and_b32_e32 v148, 0xffff, v28
	v_or_b32_e32 v149, 0x10000, v28
	s_delay_alu instid0(VALU_DEP_2) | instskip(NEXT) | instid1(VALU_DEP_1)
	v_cmp_eq_u32_e64 s2, 0, v148
	v_cndmask_b32_e64 v148, v149, v28, s2
; %bb.136:                              ;   in Loop: Header=BB386_13 Depth=1
	s_or_b32 exec_lo, exec_lo, s20
	flat_load_u16 v28, v[80:81] offset:264
	s_mov_b32 s20, exec_lo
	s_waitcnt vmcnt(0) lgkmcnt(0)
	v_and_b32_e32 v149, 0xff, v28
	v_and_b32_e32 v150, 0xffff, v28
	v_mov_b32_e32 v28, 0
	s_delay_alu instid0(VALU_DEP_3)
	v_cmpx_ne_u16_e64 0, v149
	s_cbranch_execz .LBB386_144
; %bb.137:                              ;   in Loop: Header=BB386_13 Depth=1
	s_delay_alu instid0(VALU_DEP_3) | instskip(NEXT) | instid1(VALU_DEP_1)
	v_and_b32_e32 v28, 0xff, v150
	v_cmp_ne_u16_e64 s2, 0x80, v28
	v_bfrev_b32_e32 v28, 1
	s_delay_alu instid0(VALU_DEP_2)
	s_and_saveexec_b32 s21, s2
	s_cbranch_execz .LBB386_143
; %bb.138:                              ;   in Loop: Header=BB386_13 Depth=1
	v_and_b32_e32 v151, 0x7f, v150
	v_mov_b32_e32 v28, 0x7f800001
	s_mov_b32 s22, exec_lo
	s_delay_alu instid0(VALU_DEP_2)
	v_cmpx_ne_u32_e32 0x7f, v151
	s_cbranch_execz .LBB386_142
; %bb.139:                              ;   in Loop: Header=BB386_13 Depth=1
	v_and_b32_e32 v28, 7, v150
	v_lshrrev_b32_e32 v149, 3, v151
	s_mov_b32 s23, exec_lo
	v_cmpx_gt_u32_e32 8, v151
; %bb.140:                              ;   in Loop: Header=BB386_13 Depth=1
	s_delay_alu instid0(VALU_DEP_3) | instskip(NEXT) | instid1(VALU_DEP_1)
	v_clz_i32_u32_e32 v149, v28
	v_min_u32_e32 v149, 32, v149
	s_delay_alu instid0(VALU_DEP_1) | instskip(SKIP_1) | instid1(VALU_DEP_2)
	v_subrev_nc_u32_e32 v151, 28, v149
	v_sub_nc_u32_e32 v149, 29, v149
	v_lshlrev_b64 v[160:161], v151, v[28:29]
	s_delay_alu instid0(VALU_DEP_1)
	v_and_b32_e32 v28, 7, v160
; %bb.141:                              ;   in Loop: Header=BB386_13 Depth=1
	s_or_b32 exec_lo, exec_lo, s23
	v_lshlrev_b32_e32 v151, 24, v150
	s_delay_alu instid0(VALU_DEP_2) | instskip(SKIP_1) | instid1(VALU_DEP_3)
	v_lshlrev_b32_e32 v28, 20, v28
	v_lshl_add_u32 v149, v149, 23, 0x3c000000
	v_and_b32_e32 v151, 0x80000000, v151
	s_delay_alu instid0(VALU_DEP_1)
	v_or3_b32 v28, v28, v151, v149
.LBB386_142:                            ;   in Loop: Header=BB386_13 Depth=1
	s_or_b32 exec_lo, exec_lo, s22
.LBB386_143:                            ;   in Loop: Header=BB386_13 Depth=1
	s_delay_alu instid0(SALU_CYCLE_1)
	s_or_b32 exec_lo, exec_lo, s21
.LBB386_144:                            ;   in Loop: Header=BB386_13 Depth=1
	s_delay_alu instid0(SALU_CYCLE_1) | instskip(NEXT) | instid1(VALU_DEP_1)
	s_or_b32 exec_lo, exec_lo, s20
	v_mul_f32_e32 v28, v131, v28
	s_delay_alu instid0(VALU_DEP_1) | instskip(NEXT) | instid1(VALU_DEP_1)
	v_and_b32_e32 v149, 0x7f800000, v28
	v_cmp_ne_u32_e64 s2, 0x7f800000, v149
                                        ; implicit-def: $vgpr149
	s_delay_alu instid0(VALU_DEP_1) | instskip(NEXT) | instid1(SALU_CYCLE_1)
	s_and_saveexec_b32 s20, s2
	s_xor_b32 s2, exec_lo, s20
; %bb.145:                              ;   in Loop: Header=BB386_13 Depth=1
	v_bfe_u32 v149, v28, 16, 1
	s_delay_alu instid0(VALU_DEP_1)
	v_add3_u32 v149, v28, v149, 0x7fff
                                        ; implicit-def: $vgpr28
; %bb.146:                              ;   in Loop: Header=BB386_13 Depth=1
	s_and_not1_saveexec_b32 s20, s2
; %bb.147:                              ;   in Loop: Header=BB386_13 Depth=1
	v_and_b32_e32 v149, 0xffff, v28
	v_or_b32_e32 v151, 0x10000, v28
	s_delay_alu instid0(VALU_DEP_2) | instskip(NEXT) | instid1(VALU_DEP_1)
	v_cmp_eq_u32_e64 s2, 0, v149
	v_cndmask_b32_e64 v149, v151, v28, s2
; %bb.148:                              ;   in Loop: Header=BB386_13 Depth=1
	s_or_b32 exec_lo, exec_lo, s20
	v_lshrrev_b16 v151, 8, v150
	v_mov_b32_e32 v28, 0
	s_mov_b32 s20, exec_lo
	s_delay_alu instid0(VALU_DEP_2)
	v_cmpx_ne_u16_e64 0, v151
	s_cbranch_execz .LBB386_156
; %bb.149:                              ;   in Loop: Header=BB386_13 Depth=1
	v_bfrev_b32_e32 v28, 1
	s_mov_b32 s21, exec_lo
	v_cmpx_ne_u16_e64 0x80, v151
	s_cbranch_execz .LBB386_155
; %bb.150:                              ;   in Loop: Header=BB386_13 Depth=1
	v_and_b32_e32 v151, 0xffff, v151
	v_mov_b32_e32 v28, 0x7f800001
	s_mov_b32 s22, exec_lo
	s_delay_alu instid0(VALU_DEP_2) | instskip(NEXT) | instid1(VALU_DEP_1)
	v_and_b32_e32 v160, 0x7f, v151
	v_cmpx_ne_u32_e32 0x7f, v160
	s_cbranch_execz .LBB386_154
; %bb.151:                              ;   in Loop: Header=BB386_13 Depth=1
	v_and_b32_e32 v28, 7, v151
	v_lshrrev_b32_e32 v151, 3, v160
	s_mov_b32 s23, exec_lo
	v_cmpx_gt_u32_e32 8, v160
; %bb.152:                              ;   in Loop: Header=BB386_13 Depth=1
	s_delay_alu instid0(VALU_DEP_3) | instskip(NEXT) | instid1(VALU_DEP_1)
	v_clz_i32_u32_e32 v151, v28
	v_min_u32_e32 v151, 32, v151
	s_delay_alu instid0(VALU_DEP_1) | instskip(SKIP_1) | instid1(VALU_DEP_2)
	v_subrev_nc_u32_e32 v160, 28, v151
	v_sub_nc_u32_e32 v151, 29, v151
	v_lshlrev_b64 v[160:161], v160, v[28:29]
	s_delay_alu instid0(VALU_DEP_1)
	v_and_b32_e32 v28, 7, v160
; %bb.153:                              ;   in Loop: Header=BB386_13 Depth=1
	s_or_b32 exec_lo, exec_lo, s23
	v_lshlrev_b32_e32 v150, 16, v150
	s_delay_alu instid0(VALU_DEP_2) | instskip(SKIP_1) | instid1(VALU_DEP_3)
	v_lshlrev_b32_e32 v28, 20, v28
	v_lshl_add_u32 v151, v151, 23, 0x3c000000
	v_and_b32_e32 v150, 0x80000000, v150
	s_delay_alu instid0(VALU_DEP_1)
	v_or3_b32 v28, v28, v150, v151
.LBB386_154:                            ;   in Loop: Header=BB386_13 Depth=1
	s_or_b32 exec_lo, exec_lo, s22
.LBB386_155:                            ;   in Loop: Header=BB386_13 Depth=1
	s_delay_alu instid0(SALU_CYCLE_1)
	s_or_b32 exec_lo, exec_lo, s21
.LBB386_156:                            ;   in Loop: Header=BB386_13 Depth=1
	s_delay_alu instid0(SALU_CYCLE_1) | instskip(NEXT) | instid1(VALU_DEP_1)
	s_or_b32 exec_lo, exec_lo, s20
	v_mul_f32_e32 v28, v131, v28
	s_delay_alu instid0(VALU_DEP_1) | instskip(NEXT) | instid1(VALU_DEP_1)
	v_and_b32_e32 v150, 0x7f800000, v28
	v_cmp_ne_u32_e64 s2, 0x7f800000, v150
                                        ; implicit-def: $vgpr150
	s_delay_alu instid0(VALU_DEP_1) | instskip(NEXT) | instid1(SALU_CYCLE_1)
	s_and_saveexec_b32 s20, s2
	s_xor_b32 s2, exec_lo, s20
; %bb.157:                              ;   in Loop: Header=BB386_13 Depth=1
	v_bfe_u32 v150, v28, 16, 1
	s_delay_alu instid0(VALU_DEP_1)
	v_add3_u32 v150, v28, v150, 0x7fff
                                        ; implicit-def: $vgpr28
; %bb.158:                              ;   in Loop: Header=BB386_13 Depth=1
	s_and_not1_saveexec_b32 s20, s2
; %bb.159:                              ;   in Loop: Header=BB386_13 Depth=1
	v_and_b32_e32 v150, 0xffff, v28
	v_or_b32_e32 v151, 0x10000, v28
	s_delay_alu instid0(VALU_DEP_2) | instskip(NEXT) | instid1(VALU_DEP_1)
	v_cmp_eq_u32_e64 s2, 0, v150
	v_cndmask_b32_e64 v150, v151, v28, s2
; %bb.160:                              ;   in Loop: Header=BB386_13 Depth=1
	s_or_b32 exec_lo, exec_lo, s20
	flat_load_u16 v28, v[80:81] offset:384
	s_mov_b32 s20, exec_lo
	s_waitcnt vmcnt(0) lgkmcnt(0)
	v_and_b32_e32 v151, 0xff, v28
	v_and_b32_e32 v160, 0xffff, v28
	v_mov_b32_e32 v28, 0
	s_delay_alu instid0(VALU_DEP_3)
	v_cmpx_ne_u16_e64 0, v151
	s_cbranch_execz .LBB386_168
; %bb.161:                              ;   in Loop: Header=BB386_13 Depth=1
	s_delay_alu instid0(VALU_DEP_3) | instskip(NEXT) | instid1(VALU_DEP_1)
	v_and_b32_e32 v28, 0xff, v160
	v_cmp_ne_u16_e64 s2, 0x80, v28
	v_bfrev_b32_e32 v28, 1
	s_delay_alu instid0(VALU_DEP_2)
	s_and_saveexec_b32 s21, s2
	s_cbranch_execz .LBB386_167
; %bb.162:                              ;   in Loop: Header=BB386_13 Depth=1
	v_and_b32_e32 v161, 0x7f, v160
	v_mov_b32_e32 v28, 0x7f800001
	s_mov_b32 s22, exec_lo
	s_delay_alu instid0(VALU_DEP_2)
	v_cmpx_ne_u32_e32 0x7f, v161
	s_cbranch_execz .LBB386_166
; %bb.163:                              ;   in Loop: Header=BB386_13 Depth=1
	v_and_b32_e32 v28, 7, v160
	v_lshrrev_b32_e32 v151, 3, v161
	s_mov_b32 s23, exec_lo
	v_cmpx_gt_u32_e32 8, v161
; %bb.164:                              ;   in Loop: Header=BB386_13 Depth=1
	s_delay_alu instid0(VALU_DEP_3) | instskip(NEXT) | instid1(VALU_DEP_1)
	v_clz_i32_u32_e32 v151, v28
	v_min_u32_e32 v151, 32, v151
	s_delay_alu instid0(VALU_DEP_1) | instskip(SKIP_1) | instid1(VALU_DEP_2)
	v_subrev_nc_u32_e32 v161, 28, v151
	v_sub_nc_u32_e32 v151, 29, v151
	v_lshlrev_b64 v[161:162], v161, v[28:29]
	s_delay_alu instid0(VALU_DEP_1)
	v_and_b32_e32 v28, 7, v161
; %bb.165:                              ;   in Loop: Header=BB386_13 Depth=1
	s_or_b32 exec_lo, exec_lo, s23
	v_lshlrev_b32_e32 v161, 24, v160
	s_delay_alu instid0(VALU_DEP_2) | instskip(SKIP_1) | instid1(VALU_DEP_3)
	v_lshlrev_b32_e32 v28, 20, v28
	v_lshl_add_u32 v151, v151, 23, 0x3c000000
	v_and_b32_e32 v161, 0x80000000, v161
	s_delay_alu instid0(VALU_DEP_1)
	v_or3_b32 v28, v28, v161, v151
.LBB386_166:                            ;   in Loop: Header=BB386_13 Depth=1
	s_or_b32 exec_lo, exec_lo, s22
.LBB386_167:                            ;   in Loop: Header=BB386_13 Depth=1
	s_delay_alu instid0(SALU_CYCLE_1)
	s_or_b32 exec_lo, exec_lo, s21
.LBB386_168:                            ;   in Loop: Header=BB386_13 Depth=1
	s_delay_alu instid0(SALU_CYCLE_1) | instskip(NEXT) | instid1(VALU_DEP_1)
	s_or_b32 exec_lo, exec_lo, s20
	v_mul_f32_e32 v28, v131, v28
	s_delay_alu instid0(VALU_DEP_1) | instskip(NEXT) | instid1(VALU_DEP_1)
	v_and_b32_e32 v151, 0x7f800000, v28
	v_cmp_ne_u32_e64 s2, 0x7f800000, v151
                                        ; implicit-def: $vgpr151
	s_delay_alu instid0(VALU_DEP_1) | instskip(NEXT) | instid1(SALU_CYCLE_1)
	s_and_saveexec_b32 s20, s2
	s_xor_b32 s2, exec_lo, s20
; %bb.169:                              ;   in Loop: Header=BB386_13 Depth=1
	v_bfe_u32 v151, v28, 16, 1
	s_delay_alu instid0(VALU_DEP_1)
	v_add3_u32 v151, v28, v151, 0x7fff
                                        ; implicit-def: $vgpr28
; %bb.170:                              ;   in Loop: Header=BB386_13 Depth=1
	s_and_not1_saveexec_b32 s20, s2
; %bb.171:                              ;   in Loop: Header=BB386_13 Depth=1
	v_and_b32_e32 v151, 0xffff, v28
	v_or_b32_e32 v161, 0x10000, v28
	s_delay_alu instid0(VALU_DEP_2) | instskip(NEXT) | instid1(VALU_DEP_1)
	v_cmp_eq_u32_e64 s2, 0, v151
	v_cndmask_b32_e64 v151, v161, v28, s2
; %bb.172:                              ;   in Loop: Header=BB386_13 Depth=1
	s_or_b32 exec_lo, exec_lo, s20
	v_lshrrev_b16 v161, 8, v160
	v_mov_b32_e32 v28, 0
	s_mov_b32 s20, exec_lo
	s_delay_alu instid0(VALU_DEP_2)
	v_cmpx_ne_u16_e64 0, v161
	s_cbranch_execz .LBB386_180
; %bb.173:                              ;   in Loop: Header=BB386_13 Depth=1
	v_bfrev_b32_e32 v28, 1
	s_mov_b32 s21, exec_lo
	v_cmpx_ne_u16_e64 0x80, v161
	s_cbranch_execz .LBB386_179
; %bb.174:                              ;   in Loop: Header=BB386_13 Depth=1
	v_and_b32_e32 v161, 0xffff, v161
	v_mov_b32_e32 v28, 0x7f800001
	s_mov_b32 s22, exec_lo
	s_delay_alu instid0(VALU_DEP_2) | instskip(NEXT) | instid1(VALU_DEP_1)
	v_and_b32_e32 v162, 0x7f, v161
	v_cmpx_ne_u32_e32 0x7f, v162
	s_cbranch_execz .LBB386_178
; %bb.175:                              ;   in Loop: Header=BB386_13 Depth=1
	v_and_b32_e32 v28, 7, v161
	v_lshrrev_b32_e32 v161, 3, v162
	s_mov_b32 s23, exec_lo
	v_cmpx_gt_u32_e32 8, v162
; %bb.176:                              ;   in Loop: Header=BB386_13 Depth=1
	s_delay_alu instid0(VALU_DEP_3) | instskip(NEXT) | instid1(VALU_DEP_1)
	v_clz_i32_u32_e32 v161, v28
	v_min_u32_e32 v161, 32, v161
	s_delay_alu instid0(VALU_DEP_1) | instskip(SKIP_1) | instid1(VALU_DEP_2)
	v_subrev_nc_u32_e32 v162, 28, v161
	v_sub_nc_u32_e32 v161, 29, v161
	v_lshlrev_b64 v[162:163], v162, v[28:29]
	s_delay_alu instid0(VALU_DEP_1)
	v_and_b32_e32 v28, 7, v162
; %bb.177:                              ;   in Loop: Header=BB386_13 Depth=1
	s_or_b32 exec_lo, exec_lo, s23
	v_lshlrev_b32_e32 v160, 16, v160
	s_delay_alu instid0(VALU_DEP_2) | instskip(SKIP_1) | instid1(VALU_DEP_3)
	v_lshlrev_b32_e32 v28, 20, v28
	v_lshl_add_u32 v161, v161, 23, 0x3c000000
	v_and_b32_e32 v160, 0x80000000, v160
	s_delay_alu instid0(VALU_DEP_1)
	v_or3_b32 v28, v28, v160, v161
.LBB386_178:                            ;   in Loop: Header=BB386_13 Depth=1
	s_or_b32 exec_lo, exec_lo, s22
.LBB386_179:                            ;   in Loop: Header=BB386_13 Depth=1
	s_delay_alu instid0(SALU_CYCLE_1)
	s_or_b32 exec_lo, exec_lo, s21
.LBB386_180:                            ;   in Loop: Header=BB386_13 Depth=1
	s_delay_alu instid0(SALU_CYCLE_1) | instskip(NEXT) | instid1(VALU_DEP_1)
	s_or_b32 exec_lo, exec_lo, s20
	v_mul_f32_e32 v28, v131, v28
	s_delay_alu instid0(VALU_DEP_1) | instskip(NEXT) | instid1(VALU_DEP_1)
	v_and_b32_e32 v160, 0x7f800000, v28
	v_cmp_ne_u32_e64 s2, 0x7f800000, v160
                                        ; implicit-def: $vgpr160
	s_delay_alu instid0(VALU_DEP_1) | instskip(NEXT) | instid1(SALU_CYCLE_1)
	s_and_saveexec_b32 s20, s2
	s_xor_b32 s2, exec_lo, s20
; %bb.181:                              ;   in Loop: Header=BB386_13 Depth=1
	v_bfe_u32 v160, v28, 16, 1
	s_delay_alu instid0(VALU_DEP_1)
	v_add3_u32 v160, v28, v160, 0x7fff
                                        ; implicit-def: $vgpr28
; %bb.182:                              ;   in Loop: Header=BB386_13 Depth=1
	s_and_not1_saveexec_b32 s20, s2
; %bb.183:                              ;   in Loop: Header=BB386_13 Depth=1
	v_and_b32_e32 v160, 0xffff, v28
	v_or_b32_e32 v161, 0x10000, v28
	s_delay_alu instid0(VALU_DEP_2) | instskip(NEXT) | instid1(VALU_DEP_1)
	v_cmp_eq_u32_e64 s2, 0, v160
	v_cndmask_b32_e64 v160, v161, v28, s2
; %bb.184:                              ;   in Loop: Header=BB386_13 Depth=1
	s_or_b32 exec_lo, exec_lo, s20
	flat_load_u16 v28, v[80:81] offset:392
	s_mov_b32 s20, exec_lo
	s_waitcnt vmcnt(0) lgkmcnt(0)
	v_and_b32_e32 v161, 0xff, v28
	v_and_b32_e32 v162, 0xffff, v28
	v_mov_b32_e32 v28, 0
	s_delay_alu instid0(VALU_DEP_3)
	v_cmpx_ne_u16_e64 0, v161
	s_cbranch_execz .LBB386_192
; %bb.185:                              ;   in Loop: Header=BB386_13 Depth=1
	s_delay_alu instid0(VALU_DEP_3) | instskip(NEXT) | instid1(VALU_DEP_1)
	v_and_b32_e32 v28, 0xff, v162
	v_cmp_ne_u16_e64 s2, 0x80, v28
	v_bfrev_b32_e32 v28, 1
	s_delay_alu instid0(VALU_DEP_2)
	s_and_saveexec_b32 s21, s2
	s_cbranch_execz .LBB386_191
; %bb.186:                              ;   in Loop: Header=BB386_13 Depth=1
	v_and_b32_e32 v163, 0x7f, v162
	v_mov_b32_e32 v28, 0x7f800001
	s_mov_b32 s22, exec_lo
	s_delay_alu instid0(VALU_DEP_2)
	v_cmpx_ne_u32_e32 0x7f, v163
	s_cbranch_execz .LBB386_190
; %bb.187:                              ;   in Loop: Header=BB386_13 Depth=1
	v_and_b32_e32 v28, 7, v162
	v_lshrrev_b32_e32 v161, 3, v163
	s_mov_b32 s23, exec_lo
	v_cmpx_gt_u32_e32 8, v163
; %bb.188:                              ;   in Loop: Header=BB386_13 Depth=1
	s_delay_alu instid0(VALU_DEP_3) | instskip(NEXT) | instid1(VALU_DEP_1)
	v_clz_i32_u32_e32 v161, v28
	v_min_u32_e32 v161, 32, v161
	s_delay_alu instid0(VALU_DEP_1) | instskip(SKIP_1) | instid1(VALU_DEP_2)
	v_subrev_nc_u32_e32 v163, 28, v161
	v_sub_nc_u32_e32 v161, 29, v161
	v_lshlrev_b64 v[163:164], v163, v[28:29]
	s_delay_alu instid0(VALU_DEP_1)
	v_and_b32_e32 v28, 7, v163
; %bb.189:                              ;   in Loop: Header=BB386_13 Depth=1
	s_or_b32 exec_lo, exec_lo, s23
	v_lshlrev_b32_e32 v163, 24, v162
	s_delay_alu instid0(VALU_DEP_2) | instskip(SKIP_1) | instid1(VALU_DEP_3)
	v_lshlrev_b32_e32 v28, 20, v28
	v_lshl_add_u32 v161, v161, 23, 0x3c000000
	v_and_b32_e32 v163, 0x80000000, v163
	s_delay_alu instid0(VALU_DEP_1)
	v_or3_b32 v28, v28, v163, v161
.LBB386_190:                            ;   in Loop: Header=BB386_13 Depth=1
	s_or_b32 exec_lo, exec_lo, s22
.LBB386_191:                            ;   in Loop: Header=BB386_13 Depth=1
	s_delay_alu instid0(SALU_CYCLE_1)
	s_or_b32 exec_lo, exec_lo, s21
.LBB386_192:                            ;   in Loop: Header=BB386_13 Depth=1
	s_delay_alu instid0(SALU_CYCLE_1) | instskip(NEXT) | instid1(VALU_DEP_1)
	s_or_b32 exec_lo, exec_lo, s20
	v_mul_f32_e32 v28, v131, v28
	s_delay_alu instid0(VALU_DEP_1) | instskip(NEXT) | instid1(VALU_DEP_1)
	v_and_b32_e32 v161, 0x7f800000, v28
	v_cmp_ne_u32_e64 s2, 0x7f800000, v161
                                        ; implicit-def: $vgpr161
	s_delay_alu instid0(VALU_DEP_1) | instskip(NEXT) | instid1(SALU_CYCLE_1)
	s_and_saveexec_b32 s20, s2
	s_xor_b32 s2, exec_lo, s20
; %bb.193:                              ;   in Loop: Header=BB386_13 Depth=1
	v_bfe_u32 v161, v28, 16, 1
	s_delay_alu instid0(VALU_DEP_1)
	v_add3_u32 v161, v28, v161, 0x7fff
                                        ; implicit-def: $vgpr28
; %bb.194:                              ;   in Loop: Header=BB386_13 Depth=1
	s_and_not1_saveexec_b32 s20, s2
; %bb.195:                              ;   in Loop: Header=BB386_13 Depth=1
	v_and_b32_e32 v161, 0xffff, v28
	v_or_b32_e32 v163, 0x10000, v28
	s_delay_alu instid0(VALU_DEP_2) | instskip(NEXT) | instid1(VALU_DEP_1)
	v_cmp_eq_u32_e64 s2, 0, v161
	v_cndmask_b32_e64 v161, v163, v28, s2
; %bb.196:                              ;   in Loop: Header=BB386_13 Depth=1
	s_or_b32 exec_lo, exec_lo, s20
	v_lshrrev_b16 v163, 8, v162
	v_mov_b32_e32 v28, 0
	s_mov_b32 s20, exec_lo
	s_delay_alu instid0(VALU_DEP_2)
	v_cmpx_ne_u16_e64 0, v163
	s_cbranch_execz .LBB386_204
; %bb.197:                              ;   in Loop: Header=BB386_13 Depth=1
	v_bfrev_b32_e32 v28, 1
	s_mov_b32 s21, exec_lo
	v_cmpx_ne_u16_e64 0x80, v163
	s_cbranch_execz .LBB386_203
; %bb.198:                              ;   in Loop: Header=BB386_13 Depth=1
	v_and_b32_e32 v163, 0xffff, v163
	v_mov_b32_e32 v28, 0x7f800001
	s_mov_b32 s22, exec_lo
	s_delay_alu instid0(VALU_DEP_2) | instskip(NEXT) | instid1(VALU_DEP_1)
	v_and_b32_e32 v164, 0x7f, v163
	v_cmpx_ne_u32_e32 0x7f, v164
	s_cbranch_execz .LBB386_202
; %bb.199:                              ;   in Loop: Header=BB386_13 Depth=1
	v_and_b32_e32 v28, 7, v163
	v_lshrrev_b32_e32 v163, 3, v164
	s_mov_b32 s23, exec_lo
	v_cmpx_gt_u32_e32 8, v164
; %bb.200:                              ;   in Loop: Header=BB386_13 Depth=1
	s_delay_alu instid0(VALU_DEP_3) | instskip(NEXT) | instid1(VALU_DEP_1)
	v_clz_i32_u32_e32 v163, v28
	v_min_u32_e32 v163, 32, v163
	s_delay_alu instid0(VALU_DEP_1) | instskip(SKIP_1) | instid1(VALU_DEP_2)
	v_subrev_nc_u32_e32 v164, 28, v163
	v_sub_nc_u32_e32 v163, 29, v163
	v_lshlrev_b64 v[164:165], v164, v[28:29]
	s_delay_alu instid0(VALU_DEP_1)
	v_and_b32_e32 v28, 7, v164
; %bb.201:                              ;   in Loop: Header=BB386_13 Depth=1
	s_or_b32 exec_lo, exec_lo, s23
	v_lshlrev_b32_e32 v162, 16, v162
	s_delay_alu instid0(VALU_DEP_2) | instskip(SKIP_1) | instid1(VALU_DEP_3)
	v_lshlrev_b32_e32 v28, 20, v28
	v_lshl_add_u32 v163, v163, 23, 0x3c000000
	v_and_b32_e32 v162, 0x80000000, v162
	s_delay_alu instid0(VALU_DEP_1)
	v_or3_b32 v28, v28, v162, v163
.LBB386_202:                            ;   in Loop: Header=BB386_13 Depth=1
	s_or_b32 exec_lo, exec_lo, s22
.LBB386_203:                            ;   in Loop: Header=BB386_13 Depth=1
	s_delay_alu instid0(SALU_CYCLE_1)
	s_or_b32 exec_lo, exec_lo, s21
.LBB386_204:                            ;   in Loop: Header=BB386_13 Depth=1
	s_delay_alu instid0(SALU_CYCLE_1) | instskip(NEXT) | instid1(VALU_DEP_1)
	s_or_b32 exec_lo, exec_lo, s20
	v_mul_f32_e32 v28, v131, v28
                                        ; implicit-def: $vgpr163
	s_delay_alu instid0(VALU_DEP_1) | instskip(NEXT) | instid1(VALU_DEP_1)
	v_and_b32_e32 v162, 0x7f800000, v28
	v_cmp_ne_u32_e64 s2, 0x7f800000, v162
	s_delay_alu instid0(VALU_DEP_1) | instskip(NEXT) | instid1(SALU_CYCLE_1)
	s_and_saveexec_b32 s20, s2
	s_xor_b32 s2, exec_lo, s20
; %bb.205:                              ;   in Loop: Header=BB386_13 Depth=1
	v_bfe_u32 v162, v28, 16, 1
	s_delay_alu instid0(VALU_DEP_1)
	v_add3_u32 v163, v28, v162, 0x7fff
                                        ; implicit-def: $vgpr28
; %bb.206:                              ;   in Loop: Header=BB386_13 Depth=1
	s_and_not1_saveexec_b32 s20, s2
; %bb.207:                              ;   in Loop: Header=BB386_13 Depth=1
	v_and_b32_e32 v162, 0xffff, v28
	v_or_b32_e32 v163, 0x10000, v28
	s_delay_alu instid0(VALU_DEP_2) | instskip(NEXT) | instid1(VALU_DEP_1)
	v_cmp_eq_u32_e64 s2, 0, v162
	v_cndmask_b32_e64 v163, v163, v28, s2
; %bb.208:                              ;   in Loop: Header=BB386_13 Depth=1
	s_or_b32 exec_lo, exec_lo, s20
	flat_load_u16 v28, v[80:81] offset:512
	s_mov_b32 s20, exec_lo
	s_waitcnt vmcnt(0) lgkmcnt(0)
	v_and_b32_e32 v162, 0xff, v28
	v_and_b32_e32 v164, 0xffff, v28
	v_mov_b32_e32 v28, 0
	s_delay_alu instid0(VALU_DEP_3)
	v_cmpx_ne_u16_e64 0, v162
	s_cbranch_execz .LBB386_216
; %bb.209:                              ;   in Loop: Header=BB386_13 Depth=1
	s_delay_alu instid0(VALU_DEP_3) | instskip(NEXT) | instid1(VALU_DEP_1)
	v_and_b32_e32 v28, 0xff, v164
	v_cmp_ne_u16_e64 s2, 0x80, v28
	v_bfrev_b32_e32 v28, 1
	s_delay_alu instid0(VALU_DEP_2)
	s_and_saveexec_b32 s21, s2
	s_cbranch_execz .LBB386_215
; %bb.210:                              ;   in Loop: Header=BB386_13 Depth=1
	v_and_b32_e32 v165, 0x7f, v164
	v_mov_b32_e32 v28, 0x7f800001
	s_mov_b32 s22, exec_lo
	s_delay_alu instid0(VALU_DEP_2)
	v_cmpx_ne_u32_e32 0x7f, v165
	s_cbranch_execz .LBB386_214
; %bb.211:                              ;   in Loop: Header=BB386_13 Depth=1
	v_and_b32_e32 v28, 7, v164
	v_lshrrev_b32_e32 v162, 3, v165
	s_mov_b32 s23, exec_lo
	v_cmpx_gt_u32_e32 8, v165
; %bb.212:                              ;   in Loop: Header=BB386_13 Depth=1
	s_delay_alu instid0(VALU_DEP_3) | instskip(NEXT) | instid1(VALU_DEP_1)
	v_clz_i32_u32_e32 v162, v28
	v_min_u32_e32 v162, 32, v162
	s_delay_alu instid0(VALU_DEP_1) | instskip(SKIP_1) | instid1(VALU_DEP_2)
	v_subrev_nc_u32_e32 v165, 28, v162
	v_sub_nc_u32_e32 v162, 29, v162
	v_lshlrev_b64 v[165:166], v165, v[28:29]
	s_delay_alu instid0(VALU_DEP_1)
	v_and_b32_e32 v28, 7, v165
; %bb.213:                              ;   in Loop: Header=BB386_13 Depth=1
	s_or_b32 exec_lo, exec_lo, s23
	v_lshlrev_b32_e32 v165, 24, v164
	s_delay_alu instid0(VALU_DEP_2) | instskip(SKIP_1) | instid1(VALU_DEP_3)
	v_lshlrev_b32_e32 v28, 20, v28
	v_lshl_add_u32 v162, v162, 23, 0x3c000000
	v_and_b32_e32 v165, 0x80000000, v165
	s_delay_alu instid0(VALU_DEP_1)
	v_or3_b32 v28, v28, v165, v162
.LBB386_214:                            ;   in Loop: Header=BB386_13 Depth=1
	s_or_b32 exec_lo, exec_lo, s22
.LBB386_215:                            ;   in Loop: Header=BB386_13 Depth=1
	s_delay_alu instid0(SALU_CYCLE_1)
	s_or_b32 exec_lo, exec_lo, s21
.LBB386_216:                            ;   in Loop: Header=BB386_13 Depth=1
	s_delay_alu instid0(SALU_CYCLE_1) | instskip(NEXT) | instid1(VALU_DEP_1)
	s_or_b32 exec_lo, exec_lo, s20
	v_mul_f32_e32 v28, v131, v28
	s_delay_alu instid0(VALU_DEP_1) | instskip(NEXT) | instid1(VALU_DEP_1)
	v_and_b32_e32 v162, 0x7f800000, v28
	v_cmp_ne_u32_e64 s2, 0x7f800000, v162
                                        ; implicit-def: $vgpr162
	s_delay_alu instid0(VALU_DEP_1) | instskip(NEXT) | instid1(SALU_CYCLE_1)
	s_and_saveexec_b32 s20, s2
	s_xor_b32 s2, exec_lo, s20
; %bb.217:                              ;   in Loop: Header=BB386_13 Depth=1
	v_bfe_u32 v162, v28, 16, 1
	s_delay_alu instid0(VALU_DEP_1)
	v_add3_u32 v162, v28, v162, 0x7fff
                                        ; implicit-def: $vgpr28
; %bb.218:                              ;   in Loop: Header=BB386_13 Depth=1
	s_and_not1_saveexec_b32 s20, s2
; %bb.219:                              ;   in Loop: Header=BB386_13 Depth=1
	v_and_b32_e32 v162, 0xffff, v28
	v_or_b32_e32 v165, 0x10000, v28
	s_delay_alu instid0(VALU_DEP_2) | instskip(NEXT) | instid1(VALU_DEP_1)
	v_cmp_eq_u32_e64 s2, 0, v162
	v_cndmask_b32_e64 v162, v165, v28, s2
; %bb.220:                              ;   in Loop: Header=BB386_13 Depth=1
	s_or_b32 exec_lo, exec_lo, s20
	v_lshrrev_b16 v165, 8, v164
	v_mov_b32_e32 v28, 0
	s_mov_b32 s20, exec_lo
	s_delay_alu instid0(VALU_DEP_2)
	v_cmpx_ne_u16_e64 0, v165
	s_cbranch_execz .LBB386_228
; %bb.221:                              ;   in Loop: Header=BB386_13 Depth=1
	v_bfrev_b32_e32 v28, 1
	s_mov_b32 s21, exec_lo
	v_cmpx_ne_u16_e64 0x80, v165
	s_cbranch_execz .LBB386_227
; %bb.222:                              ;   in Loop: Header=BB386_13 Depth=1
	v_and_b32_e32 v165, 0xffff, v165
	v_mov_b32_e32 v28, 0x7f800001
	s_mov_b32 s22, exec_lo
	s_delay_alu instid0(VALU_DEP_2) | instskip(NEXT) | instid1(VALU_DEP_1)
	v_and_b32_e32 v166, 0x7f, v165
	v_cmpx_ne_u32_e32 0x7f, v166
	s_cbranch_execz .LBB386_226
; %bb.223:                              ;   in Loop: Header=BB386_13 Depth=1
	v_and_b32_e32 v28, 7, v165
	v_lshrrev_b32_e32 v165, 3, v166
	s_mov_b32 s23, exec_lo
	v_cmpx_gt_u32_e32 8, v166
; %bb.224:                              ;   in Loop: Header=BB386_13 Depth=1
	s_delay_alu instid0(VALU_DEP_3) | instskip(NEXT) | instid1(VALU_DEP_1)
	v_clz_i32_u32_e32 v165, v28
	v_min_u32_e32 v165, 32, v165
	s_delay_alu instid0(VALU_DEP_1) | instskip(SKIP_1) | instid1(VALU_DEP_2)
	v_subrev_nc_u32_e32 v166, 28, v165
	v_sub_nc_u32_e32 v165, 29, v165
	v_lshlrev_b64 v[166:167], v166, v[28:29]
	s_delay_alu instid0(VALU_DEP_1)
	v_and_b32_e32 v28, 7, v166
; %bb.225:                              ;   in Loop: Header=BB386_13 Depth=1
	s_or_b32 exec_lo, exec_lo, s23
	v_lshlrev_b32_e32 v164, 16, v164
	s_delay_alu instid0(VALU_DEP_2) | instskip(SKIP_1) | instid1(VALU_DEP_3)
	v_lshlrev_b32_e32 v28, 20, v28
	v_lshl_add_u32 v165, v165, 23, 0x3c000000
	v_and_b32_e32 v164, 0x80000000, v164
	s_delay_alu instid0(VALU_DEP_1)
	v_or3_b32 v28, v28, v164, v165
.LBB386_226:                            ;   in Loop: Header=BB386_13 Depth=1
	s_or_b32 exec_lo, exec_lo, s22
.LBB386_227:                            ;   in Loop: Header=BB386_13 Depth=1
	s_delay_alu instid0(SALU_CYCLE_1)
	s_or_b32 exec_lo, exec_lo, s21
.LBB386_228:                            ;   in Loop: Header=BB386_13 Depth=1
	s_delay_alu instid0(SALU_CYCLE_1) | instskip(NEXT) | instid1(VALU_DEP_1)
	s_or_b32 exec_lo, exec_lo, s20
	v_mul_f32_e32 v28, v131, v28
                                        ; implicit-def: $vgpr165
	s_delay_alu instid0(VALU_DEP_1) | instskip(NEXT) | instid1(VALU_DEP_1)
	v_and_b32_e32 v164, 0x7f800000, v28
	v_cmp_ne_u32_e64 s2, 0x7f800000, v164
	s_delay_alu instid0(VALU_DEP_1) | instskip(NEXT) | instid1(SALU_CYCLE_1)
	s_and_saveexec_b32 s20, s2
	s_xor_b32 s2, exec_lo, s20
; %bb.229:                              ;   in Loop: Header=BB386_13 Depth=1
	v_bfe_u32 v164, v28, 16, 1
	s_delay_alu instid0(VALU_DEP_1)
	v_add3_u32 v165, v28, v164, 0x7fff
                                        ; implicit-def: $vgpr28
; %bb.230:                              ;   in Loop: Header=BB386_13 Depth=1
	s_and_not1_saveexec_b32 s20, s2
; %bb.231:                              ;   in Loop: Header=BB386_13 Depth=1
	v_and_b32_e32 v164, 0xffff, v28
	v_or_b32_e32 v165, 0x10000, v28
	s_delay_alu instid0(VALU_DEP_2) | instskip(NEXT) | instid1(VALU_DEP_1)
	v_cmp_eq_u32_e64 s2, 0, v164
	v_cndmask_b32_e64 v165, v165, v28, s2
; %bb.232:                              ;   in Loop: Header=BB386_13 Depth=1
	s_or_b32 exec_lo, exec_lo, s20
	flat_load_u16 v28, v[80:81] offset:520
	s_mov_b32 s20, exec_lo
	s_waitcnt vmcnt(0) lgkmcnt(0)
	v_and_b32_e32 v164, 0xff, v28
	v_and_b32_e32 v166, 0xffff, v28
	v_mov_b32_e32 v28, 0
	s_delay_alu instid0(VALU_DEP_3)
	v_cmpx_ne_u16_e64 0, v164
	s_cbranch_execz .LBB386_240
; %bb.233:                              ;   in Loop: Header=BB386_13 Depth=1
	s_delay_alu instid0(VALU_DEP_3) | instskip(NEXT) | instid1(VALU_DEP_1)
	v_and_b32_e32 v28, 0xff, v166
	v_cmp_ne_u16_e64 s2, 0x80, v28
	v_bfrev_b32_e32 v28, 1
	s_delay_alu instid0(VALU_DEP_2)
	s_and_saveexec_b32 s21, s2
	s_cbranch_execz .LBB386_239
; %bb.234:                              ;   in Loop: Header=BB386_13 Depth=1
	v_and_b32_e32 v167, 0x7f, v166
	v_mov_b32_e32 v28, 0x7f800001
	s_mov_b32 s22, exec_lo
	s_delay_alu instid0(VALU_DEP_2)
	v_cmpx_ne_u32_e32 0x7f, v167
	s_cbranch_execz .LBB386_238
; %bb.235:                              ;   in Loop: Header=BB386_13 Depth=1
	v_and_b32_e32 v28, 7, v166
	v_lshrrev_b32_e32 v164, 3, v167
	s_mov_b32 s23, exec_lo
	v_cmpx_gt_u32_e32 8, v167
; %bb.236:                              ;   in Loop: Header=BB386_13 Depth=1
	s_delay_alu instid0(VALU_DEP_3) | instskip(NEXT) | instid1(VALU_DEP_1)
	v_clz_i32_u32_e32 v164, v28
	v_min_u32_e32 v164, 32, v164
	s_delay_alu instid0(VALU_DEP_1) | instskip(SKIP_1) | instid1(VALU_DEP_2)
	v_subrev_nc_u32_e32 v167, 28, v164
	v_sub_nc_u32_e32 v164, 29, v164
	v_lshlrev_b64 v[176:177], v167, v[28:29]
	s_delay_alu instid0(VALU_DEP_1)
	v_and_b32_e32 v28, 7, v176
; %bb.237:                              ;   in Loop: Header=BB386_13 Depth=1
	s_or_b32 exec_lo, exec_lo, s23
	v_lshlrev_b32_e32 v167, 24, v166
	s_delay_alu instid0(VALU_DEP_2) | instskip(SKIP_1) | instid1(VALU_DEP_3)
	v_lshlrev_b32_e32 v28, 20, v28
	v_lshl_add_u32 v164, v164, 23, 0x3c000000
	v_and_b32_e32 v167, 0x80000000, v167
	s_delay_alu instid0(VALU_DEP_1)
	v_or3_b32 v28, v28, v167, v164
.LBB386_238:                            ;   in Loop: Header=BB386_13 Depth=1
	s_or_b32 exec_lo, exec_lo, s22
.LBB386_239:                            ;   in Loop: Header=BB386_13 Depth=1
	s_delay_alu instid0(SALU_CYCLE_1)
	s_or_b32 exec_lo, exec_lo, s21
.LBB386_240:                            ;   in Loop: Header=BB386_13 Depth=1
	s_delay_alu instid0(SALU_CYCLE_1) | instskip(NEXT) | instid1(VALU_DEP_1)
	s_or_b32 exec_lo, exec_lo, s20
	v_mul_f32_e32 v28, v131, v28
	s_delay_alu instid0(VALU_DEP_1) | instskip(NEXT) | instid1(VALU_DEP_1)
	v_and_b32_e32 v164, 0x7f800000, v28
	v_cmp_ne_u32_e64 s2, 0x7f800000, v164
                                        ; implicit-def: $vgpr164
	s_delay_alu instid0(VALU_DEP_1) | instskip(NEXT) | instid1(SALU_CYCLE_1)
	s_and_saveexec_b32 s20, s2
	s_xor_b32 s2, exec_lo, s20
; %bb.241:                              ;   in Loop: Header=BB386_13 Depth=1
	v_bfe_u32 v164, v28, 16, 1
	s_delay_alu instid0(VALU_DEP_1)
	v_add3_u32 v164, v28, v164, 0x7fff
                                        ; implicit-def: $vgpr28
; %bb.242:                              ;   in Loop: Header=BB386_13 Depth=1
	s_and_not1_saveexec_b32 s20, s2
; %bb.243:                              ;   in Loop: Header=BB386_13 Depth=1
	v_and_b32_e32 v164, 0xffff, v28
	v_or_b32_e32 v167, 0x10000, v28
	s_delay_alu instid0(VALU_DEP_2) | instskip(NEXT) | instid1(VALU_DEP_1)
	v_cmp_eq_u32_e64 s2, 0, v164
	v_cndmask_b32_e64 v164, v167, v28, s2
; %bb.244:                              ;   in Loop: Header=BB386_13 Depth=1
	s_or_b32 exec_lo, exec_lo, s20
	v_lshrrev_b16 v167, 8, v166
	v_mov_b32_e32 v28, 0
	s_mov_b32 s20, exec_lo
	s_delay_alu instid0(VALU_DEP_2)
	v_cmpx_ne_u16_e64 0, v167
	s_cbranch_execz .LBB386_252
; %bb.245:                              ;   in Loop: Header=BB386_13 Depth=1
	v_bfrev_b32_e32 v28, 1
	s_mov_b32 s21, exec_lo
	v_cmpx_ne_u16_e64 0x80, v167
	s_cbranch_execz .LBB386_251
; %bb.246:                              ;   in Loop: Header=BB386_13 Depth=1
	v_and_b32_e32 v167, 0xffff, v167
	v_mov_b32_e32 v28, 0x7f800001
	s_mov_b32 s22, exec_lo
	s_delay_alu instid0(VALU_DEP_2) | instskip(NEXT) | instid1(VALU_DEP_1)
	v_and_b32_e32 v176, 0x7f, v167
	v_cmpx_ne_u32_e32 0x7f, v176
	s_cbranch_execz .LBB386_250
; %bb.247:                              ;   in Loop: Header=BB386_13 Depth=1
	v_and_b32_e32 v28, 7, v167
	v_lshrrev_b32_e32 v167, 3, v176
	s_mov_b32 s23, exec_lo
	v_cmpx_gt_u32_e32 8, v176
; %bb.248:                              ;   in Loop: Header=BB386_13 Depth=1
	s_delay_alu instid0(VALU_DEP_3) | instskip(NEXT) | instid1(VALU_DEP_1)
	v_clz_i32_u32_e32 v167, v28
	v_min_u32_e32 v167, 32, v167
	s_delay_alu instid0(VALU_DEP_1) | instskip(SKIP_1) | instid1(VALU_DEP_2)
	v_subrev_nc_u32_e32 v176, 28, v167
	v_sub_nc_u32_e32 v167, 29, v167
	v_lshlrev_b64 v[176:177], v176, v[28:29]
	s_delay_alu instid0(VALU_DEP_1)
	v_and_b32_e32 v28, 7, v176
; %bb.249:                              ;   in Loop: Header=BB386_13 Depth=1
	s_or_b32 exec_lo, exec_lo, s23
	v_lshlrev_b32_e32 v166, 16, v166
	s_delay_alu instid0(VALU_DEP_2) | instskip(SKIP_1) | instid1(VALU_DEP_3)
	v_lshlrev_b32_e32 v28, 20, v28
	v_lshl_add_u32 v167, v167, 23, 0x3c000000
	v_and_b32_e32 v166, 0x80000000, v166
	s_delay_alu instid0(VALU_DEP_1)
	v_or3_b32 v28, v28, v166, v167
.LBB386_250:                            ;   in Loop: Header=BB386_13 Depth=1
	s_or_b32 exec_lo, exec_lo, s22
.LBB386_251:                            ;   in Loop: Header=BB386_13 Depth=1
	s_delay_alu instid0(SALU_CYCLE_1)
	s_or_b32 exec_lo, exec_lo, s21
.LBB386_252:                            ;   in Loop: Header=BB386_13 Depth=1
	s_delay_alu instid0(SALU_CYCLE_1) | instskip(NEXT) | instid1(VALU_DEP_1)
	s_or_b32 exec_lo, exec_lo, s20
	v_mul_f32_e32 v28, v131, v28
                                        ; implicit-def: $vgpr167
	s_delay_alu instid0(VALU_DEP_1) | instskip(NEXT) | instid1(VALU_DEP_1)
	v_and_b32_e32 v166, 0x7f800000, v28
	v_cmp_ne_u32_e64 s2, 0x7f800000, v166
	s_delay_alu instid0(VALU_DEP_1) | instskip(NEXT) | instid1(SALU_CYCLE_1)
	s_and_saveexec_b32 s20, s2
	s_xor_b32 s2, exec_lo, s20
; %bb.253:                              ;   in Loop: Header=BB386_13 Depth=1
	v_bfe_u32 v166, v28, 16, 1
	s_delay_alu instid0(VALU_DEP_1)
	v_add3_u32 v167, v28, v166, 0x7fff
                                        ; implicit-def: $vgpr28
; %bb.254:                              ;   in Loop: Header=BB386_13 Depth=1
	s_and_not1_saveexec_b32 s20, s2
; %bb.255:                              ;   in Loop: Header=BB386_13 Depth=1
	v_and_b32_e32 v166, 0xffff, v28
	v_or_b32_e32 v167, 0x10000, v28
	s_delay_alu instid0(VALU_DEP_2) | instskip(NEXT) | instid1(VALU_DEP_1)
	v_cmp_eq_u32_e64 s2, 0, v166
	v_cndmask_b32_e64 v167, v167, v28, s2
; %bb.256:                              ;   in Loop: Header=BB386_13 Depth=1
	s_or_b32 exec_lo, exec_lo, s20
	flat_load_u16 v28, v[80:81] offset:640
	s_mov_b32 s20, exec_lo
	s_waitcnt vmcnt(0) lgkmcnt(0)
	v_and_b32_e32 v166, 0xff, v28
	v_and_b32_e32 v176, 0xffff, v28
	v_mov_b32_e32 v28, 0
	s_delay_alu instid0(VALU_DEP_3)
	v_cmpx_ne_u16_e64 0, v166
	s_cbranch_execz .LBB386_264
; %bb.257:                              ;   in Loop: Header=BB386_13 Depth=1
	s_delay_alu instid0(VALU_DEP_3) | instskip(NEXT) | instid1(VALU_DEP_1)
	v_and_b32_e32 v28, 0xff, v176
	v_cmp_ne_u16_e64 s2, 0x80, v28
	v_bfrev_b32_e32 v28, 1
	s_delay_alu instid0(VALU_DEP_2)
	s_and_saveexec_b32 s21, s2
	s_cbranch_execz .LBB386_263
; %bb.258:                              ;   in Loop: Header=BB386_13 Depth=1
	v_and_b32_e32 v177, 0x7f, v176
	v_mov_b32_e32 v28, 0x7f800001
	s_mov_b32 s22, exec_lo
	s_delay_alu instid0(VALU_DEP_2)
	v_cmpx_ne_u32_e32 0x7f, v177
	s_cbranch_execz .LBB386_262
; %bb.259:                              ;   in Loop: Header=BB386_13 Depth=1
	v_and_b32_e32 v28, 7, v176
	v_lshrrev_b32_e32 v166, 3, v177
	s_mov_b32 s23, exec_lo
	v_cmpx_gt_u32_e32 8, v177
; %bb.260:                              ;   in Loop: Header=BB386_13 Depth=1
	s_delay_alu instid0(VALU_DEP_3) | instskip(NEXT) | instid1(VALU_DEP_1)
	v_clz_i32_u32_e32 v166, v28
	v_min_u32_e32 v166, 32, v166
	s_delay_alu instid0(VALU_DEP_1) | instskip(SKIP_1) | instid1(VALU_DEP_2)
	v_subrev_nc_u32_e32 v177, 28, v166
	v_sub_nc_u32_e32 v166, 29, v166
	v_lshlrev_b64 v[177:178], v177, v[28:29]
	s_delay_alu instid0(VALU_DEP_1)
	v_and_b32_e32 v28, 7, v177
; %bb.261:                              ;   in Loop: Header=BB386_13 Depth=1
	s_or_b32 exec_lo, exec_lo, s23
	v_lshlrev_b32_e32 v177, 24, v176
	s_delay_alu instid0(VALU_DEP_2) | instskip(SKIP_1) | instid1(VALU_DEP_3)
	v_lshlrev_b32_e32 v28, 20, v28
	v_lshl_add_u32 v166, v166, 23, 0x3c000000
	v_and_b32_e32 v177, 0x80000000, v177
	s_delay_alu instid0(VALU_DEP_1)
	v_or3_b32 v28, v28, v177, v166
.LBB386_262:                            ;   in Loop: Header=BB386_13 Depth=1
	s_or_b32 exec_lo, exec_lo, s22
.LBB386_263:                            ;   in Loop: Header=BB386_13 Depth=1
	s_delay_alu instid0(SALU_CYCLE_1)
	s_or_b32 exec_lo, exec_lo, s21
.LBB386_264:                            ;   in Loop: Header=BB386_13 Depth=1
	s_delay_alu instid0(SALU_CYCLE_1) | instskip(NEXT) | instid1(VALU_DEP_1)
	s_or_b32 exec_lo, exec_lo, s20
	v_mul_f32_e32 v28, v131, v28
	s_delay_alu instid0(VALU_DEP_1) | instskip(NEXT) | instid1(VALU_DEP_1)
	v_and_b32_e32 v166, 0x7f800000, v28
	v_cmp_ne_u32_e64 s2, 0x7f800000, v166
                                        ; implicit-def: $vgpr166
	s_delay_alu instid0(VALU_DEP_1) | instskip(NEXT) | instid1(SALU_CYCLE_1)
	s_and_saveexec_b32 s20, s2
	s_xor_b32 s2, exec_lo, s20
; %bb.265:                              ;   in Loop: Header=BB386_13 Depth=1
	v_bfe_u32 v166, v28, 16, 1
	s_delay_alu instid0(VALU_DEP_1)
	v_add3_u32 v166, v28, v166, 0x7fff
                                        ; implicit-def: $vgpr28
; %bb.266:                              ;   in Loop: Header=BB386_13 Depth=1
	s_and_not1_saveexec_b32 s20, s2
; %bb.267:                              ;   in Loop: Header=BB386_13 Depth=1
	v_and_b32_e32 v166, 0xffff, v28
	v_or_b32_e32 v177, 0x10000, v28
	s_delay_alu instid0(VALU_DEP_2) | instskip(NEXT) | instid1(VALU_DEP_1)
	v_cmp_eq_u32_e64 s2, 0, v166
	v_cndmask_b32_e64 v166, v177, v28, s2
; %bb.268:                              ;   in Loop: Header=BB386_13 Depth=1
	s_or_b32 exec_lo, exec_lo, s20
	v_lshrrev_b16 v177, 8, v176
	v_mov_b32_e32 v28, 0
	s_mov_b32 s20, exec_lo
	s_delay_alu instid0(VALU_DEP_2)
	v_cmpx_ne_u16_e64 0, v177
	s_cbranch_execz .LBB386_276
; %bb.269:                              ;   in Loop: Header=BB386_13 Depth=1
	v_bfrev_b32_e32 v28, 1
	s_mov_b32 s21, exec_lo
	v_cmpx_ne_u16_e64 0x80, v177
	s_cbranch_execz .LBB386_275
; %bb.270:                              ;   in Loop: Header=BB386_13 Depth=1
	v_and_b32_e32 v177, 0xffff, v177
	v_mov_b32_e32 v28, 0x7f800001
	s_mov_b32 s22, exec_lo
	s_delay_alu instid0(VALU_DEP_2) | instskip(NEXT) | instid1(VALU_DEP_1)
	v_and_b32_e32 v178, 0x7f, v177
	v_cmpx_ne_u32_e32 0x7f, v178
	s_cbranch_execz .LBB386_274
; %bb.271:                              ;   in Loop: Header=BB386_13 Depth=1
	v_and_b32_e32 v28, 7, v177
	v_lshrrev_b32_e32 v177, 3, v178
	s_mov_b32 s23, exec_lo
	v_cmpx_gt_u32_e32 8, v178
; %bb.272:                              ;   in Loop: Header=BB386_13 Depth=1
	s_delay_alu instid0(VALU_DEP_3) | instskip(NEXT) | instid1(VALU_DEP_1)
	v_clz_i32_u32_e32 v177, v28
	v_min_u32_e32 v177, 32, v177
	s_delay_alu instid0(VALU_DEP_1) | instskip(SKIP_1) | instid1(VALU_DEP_2)
	v_subrev_nc_u32_e32 v178, 28, v177
	v_sub_nc_u32_e32 v177, 29, v177
	v_lshlrev_b64 v[178:179], v178, v[28:29]
	s_delay_alu instid0(VALU_DEP_1)
	v_and_b32_e32 v28, 7, v178
; %bb.273:                              ;   in Loop: Header=BB386_13 Depth=1
	s_or_b32 exec_lo, exec_lo, s23
	v_lshlrev_b32_e32 v176, 16, v176
	s_delay_alu instid0(VALU_DEP_2) | instskip(SKIP_1) | instid1(VALU_DEP_3)
	v_lshlrev_b32_e32 v28, 20, v28
	v_lshl_add_u32 v177, v177, 23, 0x3c000000
	v_and_b32_e32 v176, 0x80000000, v176
	s_delay_alu instid0(VALU_DEP_1)
	v_or3_b32 v28, v28, v176, v177
.LBB386_274:                            ;   in Loop: Header=BB386_13 Depth=1
	s_or_b32 exec_lo, exec_lo, s22
.LBB386_275:                            ;   in Loop: Header=BB386_13 Depth=1
	s_delay_alu instid0(SALU_CYCLE_1)
	s_or_b32 exec_lo, exec_lo, s21
.LBB386_276:                            ;   in Loop: Header=BB386_13 Depth=1
	s_delay_alu instid0(SALU_CYCLE_1) | instskip(NEXT) | instid1(VALU_DEP_1)
	s_or_b32 exec_lo, exec_lo, s20
	v_mul_f32_e32 v28, v131, v28
                                        ; implicit-def: $vgpr177
	s_delay_alu instid0(VALU_DEP_1) | instskip(NEXT) | instid1(VALU_DEP_1)
	v_and_b32_e32 v176, 0x7f800000, v28
	v_cmp_ne_u32_e64 s2, 0x7f800000, v176
	s_delay_alu instid0(VALU_DEP_1) | instskip(NEXT) | instid1(SALU_CYCLE_1)
	s_and_saveexec_b32 s20, s2
	s_xor_b32 s2, exec_lo, s20
; %bb.277:                              ;   in Loop: Header=BB386_13 Depth=1
	v_bfe_u32 v176, v28, 16, 1
	s_delay_alu instid0(VALU_DEP_1)
	v_add3_u32 v177, v28, v176, 0x7fff
                                        ; implicit-def: $vgpr28
; %bb.278:                              ;   in Loop: Header=BB386_13 Depth=1
	s_and_not1_saveexec_b32 s20, s2
; %bb.279:                              ;   in Loop: Header=BB386_13 Depth=1
	v_and_b32_e32 v176, 0xffff, v28
	v_or_b32_e32 v177, 0x10000, v28
	s_delay_alu instid0(VALU_DEP_2) | instskip(NEXT) | instid1(VALU_DEP_1)
	v_cmp_eq_u32_e64 s2, 0, v176
	v_cndmask_b32_e64 v177, v177, v28, s2
; %bb.280:                              ;   in Loop: Header=BB386_13 Depth=1
	s_or_b32 exec_lo, exec_lo, s20
	flat_load_u16 v28, v[80:81] offset:648
	s_mov_b32 s20, exec_lo
	s_waitcnt vmcnt(0) lgkmcnt(0)
	v_and_b32_e32 v176, 0xff, v28
	v_and_b32_e32 v178, 0xffff, v28
	v_mov_b32_e32 v28, 0
	s_delay_alu instid0(VALU_DEP_3)
	v_cmpx_ne_u16_e64 0, v176
	s_cbranch_execz .LBB386_288
; %bb.281:                              ;   in Loop: Header=BB386_13 Depth=1
	s_delay_alu instid0(VALU_DEP_3) | instskip(NEXT) | instid1(VALU_DEP_1)
	v_and_b32_e32 v28, 0xff, v178
	v_cmp_ne_u16_e64 s2, 0x80, v28
	v_bfrev_b32_e32 v28, 1
	s_delay_alu instid0(VALU_DEP_2)
	s_and_saveexec_b32 s21, s2
	s_cbranch_execz .LBB386_287
; %bb.282:                              ;   in Loop: Header=BB386_13 Depth=1
	v_and_b32_e32 v179, 0x7f, v178
	v_mov_b32_e32 v28, 0x7f800001
	s_mov_b32 s22, exec_lo
	s_delay_alu instid0(VALU_DEP_2)
	v_cmpx_ne_u32_e32 0x7f, v179
	s_cbranch_execz .LBB386_286
; %bb.283:                              ;   in Loop: Header=BB386_13 Depth=1
	v_and_b32_e32 v28, 7, v178
	v_lshrrev_b32_e32 v176, 3, v179
	s_mov_b32 s23, exec_lo
	v_cmpx_gt_u32_e32 8, v179
; %bb.284:                              ;   in Loop: Header=BB386_13 Depth=1
	s_delay_alu instid0(VALU_DEP_3) | instskip(NEXT) | instid1(VALU_DEP_1)
	v_clz_i32_u32_e32 v176, v28
	v_min_u32_e32 v176, 32, v176
	s_delay_alu instid0(VALU_DEP_1) | instskip(SKIP_1) | instid1(VALU_DEP_2)
	v_subrev_nc_u32_e32 v179, 28, v176
	v_sub_nc_u32_e32 v176, 29, v176
	v_lshlrev_b64 v[179:180], v179, v[28:29]
	s_delay_alu instid0(VALU_DEP_1)
	v_and_b32_e32 v28, 7, v179
; %bb.285:                              ;   in Loop: Header=BB386_13 Depth=1
	s_or_b32 exec_lo, exec_lo, s23
	v_lshlrev_b32_e32 v179, 24, v178
	s_delay_alu instid0(VALU_DEP_2) | instskip(SKIP_1) | instid1(VALU_DEP_3)
	v_lshlrev_b32_e32 v28, 20, v28
	v_lshl_add_u32 v176, v176, 23, 0x3c000000
	v_and_b32_e32 v179, 0x80000000, v179
	s_delay_alu instid0(VALU_DEP_1)
	v_or3_b32 v28, v28, v179, v176
.LBB386_286:                            ;   in Loop: Header=BB386_13 Depth=1
	s_or_b32 exec_lo, exec_lo, s22
.LBB386_287:                            ;   in Loop: Header=BB386_13 Depth=1
	s_delay_alu instid0(SALU_CYCLE_1)
	s_or_b32 exec_lo, exec_lo, s21
.LBB386_288:                            ;   in Loop: Header=BB386_13 Depth=1
	s_delay_alu instid0(SALU_CYCLE_1) | instskip(NEXT) | instid1(VALU_DEP_1)
	s_or_b32 exec_lo, exec_lo, s20
	v_mul_f32_e32 v28, v131, v28
	s_delay_alu instid0(VALU_DEP_1) | instskip(NEXT) | instid1(VALU_DEP_1)
	v_and_b32_e32 v176, 0x7f800000, v28
	v_cmp_ne_u32_e64 s2, 0x7f800000, v176
                                        ; implicit-def: $vgpr176
	s_delay_alu instid0(VALU_DEP_1) | instskip(NEXT) | instid1(SALU_CYCLE_1)
	s_and_saveexec_b32 s20, s2
	s_xor_b32 s2, exec_lo, s20
; %bb.289:                              ;   in Loop: Header=BB386_13 Depth=1
	v_bfe_u32 v176, v28, 16, 1
	s_delay_alu instid0(VALU_DEP_1)
	v_add3_u32 v176, v28, v176, 0x7fff
                                        ; implicit-def: $vgpr28
; %bb.290:                              ;   in Loop: Header=BB386_13 Depth=1
	s_and_not1_saveexec_b32 s20, s2
; %bb.291:                              ;   in Loop: Header=BB386_13 Depth=1
	v_and_b32_e32 v176, 0xffff, v28
	v_or_b32_e32 v179, 0x10000, v28
	s_delay_alu instid0(VALU_DEP_2) | instskip(NEXT) | instid1(VALU_DEP_1)
	v_cmp_eq_u32_e64 s2, 0, v176
	v_cndmask_b32_e64 v176, v179, v28, s2
; %bb.292:                              ;   in Loop: Header=BB386_13 Depth=1
	s_or_b32 exec_lo, exec_lo, s20
	v_lshrrev_b16 v179, 8, v178
	v_mov_b32_e32 v28, 0
	s_mov_b32 s20, exec_lo
	s_delay_alu instid0(VALU_DEP_2)
	v_cmpx_ne_u16_e64 0, v179
	s_cbranch_execz .LBB386_300
; %bb.293:                              ;   in Loop: Header=BB386_13 Depth=1
	v_bfrev_b32_e32 v28, 1
	s_mov_b32 s21, exec_lo
	v_cmpx_ne_u16_e64 0x80, v179
	s_cbranch_execz .LBB386_299
; %bb.294:                              ;   in Loop: Header=BB386_13 Depth=1
	v_and_b32_e32 v179, 0xffff, v179
	v_mov_b32_e32 v28, 0x7f800001
	s_mov_b32 s22, exec_lo
	s_delay_alu instid0(VALU_DEP_2) | instskip(NEXT) | instid1(VALU_DEP_1)
	v_and_b32_e32 v180, 0x7f, v179
	v_cmpx_ne_u32_e32 0x7f, v180
	s_cbranch_execz .LBB386_298
; %bb.295:                              ;   in Loop: Header=BB386_13 Depth=1
	v_and_b32_e32 v28, 7, v179
	v_lshrrev_b32_e32 v179, 3, v180
	s_mov_b32 s23, exec_lo
	v_cmpx_gt_u32_e32 8, v180
; %bb.296:                              ;   in Loop: Header=BB386_13 Depth=1
	s_delay_alu instid0(VALU_DEP_3) | instskip(NEXT) | instid1(VALU_DEP_1)
	v_clz_i32_u32_e32 v179, v28
	v_min_u32_e32 v179, 32, v179
	s_delay_alu instid0(VALU_DEP_1) | instskip(SKIP_1) | instid1(VALU_DEP_2)
	v_subrev_nc_u32_e32 v180, 28, v179
	v_sub_nc_u32_e32 v179, 29, v179
	v_lshlrev_b64 v[180:181], v180, v[28:29]
	s_delay_alu instid0(VALU_DEP_1)
	v_and_b32_e32 v28, 7, v180
; %bb.297:                              ;   in Loop: Header=BB386_13 Depth=1
	s_or_b32 exec_lo, exec_lo, s23
	v_lshlrev_b32_e32 v178, 16, v178
	s_delay_alu instid0(VALU_DEP_2) | instskip(SKIP_1) | instid1(VALU_DEP_3)
	v_lshlrev_b32_e32 v28, 20, v28
	v_lshl_add_u32 v179, v179, 23, 0x3c000000
	v_and_b32_e32 v178, 0x80000000, v178
	s_delay_alu instid0(VALU_DEP_1)
	v_or3_b32 v28, v28, v178, v179
.LBB386_298:                            ;   in Loop: Header=BB386_13 Depth=1
	s_or_b32 exec_lo, exec_lo, s22
.LBB386_299:                            ;   in Loop: Header=BB386_13 Depth=1
	s_delay_alu instid0(SALU_CYCLE_1)
	s_or_b32 exec_lo, exec_lo, s21
.LBB386_300:                            ;   in Loop: Header=BB386_13 Depth=1
	s_delay_alu instid0(SALU_CYCLE_1) | instskip(NEXT) | instid1(VALU_DEP_1)
	s_or_b32 exec_lo, exec_lo, s20
	v_mul_f32_e32 v28, v131, v28
                                        ; implicit-def: $vgpr179
	s_delay_alu instid0(VALU_DEP_1) | instskip(NEXT) | instid1(VALU_DEP_1)
	v_and_b32_e32 v178, 0x7f800000, v28
	v_cmp_ne_u32_e64 s2, 0x7f800000, v178
	s_delay_alu instid0(VALU_DEP_1) | instskip(NEXT) | instid1(SALU_CYCLE_1)
	s_and_saveexec_b32 s20, s2
	s_xor_b32 s2, exec_lo, s20
; %bb.301:                              ;   in Loop: Header=BB386_13 Depth=1
	v_bfe_u32 v178, v28, 16, 1
	s_delay_alu instid0(VALU_DEP_1)
	v_add3_u32 v179, v28, v178, 0x7fff
                                        ; implicit-def: $vgpr28
; %bb.302:                              ;   in Loop: Header=BB386_13 Depth=1
	s_and_not1_saveexec_b32 s20, s2
; %bb.303:                              ;   in Loop: Header=BB386_13 Depth=1
	v_and_b32_e32 v178, 0xffff, v28
	v_or_b32_e32 v179, 0x10000, v28
	s_delay_alu instid0(VALU_DEP_2) | instskip(NEXT) | instid1(VALU_DEP_1)
	v_cmp_eq_u32_e64 s2, 0, v178
	v_cndmask_b32_e64 v179, v179, v28, s2
; %bb.304:                              ;   in Loop: Header=BB386_13 Depth=1
	s_or_b32 exec_lo, exec_lo, s20
	flat_load_u16 v28, v[80:81] offset:768
	s_mov_b32 s20, exec_lo
	s_waitcnt vmcnt(0) lgkmcnt(0)
	v_and_b32_e32 v178, 0xff, v28
	v_and_b32_e32 v180, 0xffff, v28
	v_mov_b32_e32 v28, 0
	s_delay_alu instid0(VALU_DEP_3)
	v_cmpx_ne_u16_e64 0, v178
	s_cbranch_execz .LBB386_312
; %bb.305:                              ;   in Loop: Header=BB386_13 Depth=1
	s_delay_alu instid0(VALU_DEP_3) | instskip(NEXT) | instid1(VALU_DEP_1)
	v_and_b32_e32 v28, 0xff, v180
	v_cmp_ne_u16_e64 s2, 0x80, v28
	v_bfrev_b32_e32 v28, 1
	s_delay_alu instid0(VALU_DEP_2)
	s_and_saveexec_b32 s21, s2
	s_cbranch_execz .LBB386_311
; %bb.306:                              ;   in Loop: Header=BB386_13 Depth=1
	v_and_b32_e32 v181, 0x7f, v180
	v_mov_b32_e32 v28, 0x7f800001
	s_mov_b32 s22, exec_lo
	s_delay_alu instid0(VALU_DEP_2)
	v_cmpx_ne_u32_e32 0x7f, v181
	s_cbranch_execz .LBB386_310
; %bb.307:                              ;   in Loop: Header=BB386_13 Depth=1
	v_and_b32_e32 v28, 7, v180
	v_lshrrev_b32_e32 v178, 3, v181
	s_mov_b32 s23, exec_lo
	v_cmpx_gt_u32_e32 8, v181
; %bb.308:                              ;   in Loop: Header=BB386_13 Depth=1
	s_delay_alu instid0(VALU_DEP_3) | instskip(NEXT) | instid1(VALU_DEP_1)
	v_clz_i32_u32_e32 v178, v28
	v_min_u32_e32 v178, 32, v178
	s_delay_alu instid0(VALU_DEP_1) | instskip(SKIP_1) | instid1(VALU_DEP_2)
	v_subrev_nc_u32_e32 v181, 28, v178
	v_sub_nc_u32_e32 v178, 29, v178
	v_lshlrev_b64 v[181:182], v181, v[28:29]
	s_delay_alu instid0(VALU_DEP_1)
	v_and_b32_e32 v28, 7, v181
; %bb.309:                              ;   in Loop: Header=BB386_13 Depth=1
	s_or_b32 exec_lo, exec_lo, s23
	v_lshlrev_b32_e32 v181, 24, v180
	s_delay_alu instid0(VALU_DEP_2) | instskip(SKIP_1) | instid1(VALU_DEP_3)
	v_lshlrev_b32_e32 v28, 20, v28
	v_lshl_add_u32 v178, v178, 23, 0x3c000000
	v_and_b32_e32 v181, 0x80000000, v181
	s_delay_alu instid0(VALU_DEP_1)
	v_or3_b32 v28, v28, v181, v178
.LBB386_310:                            ;   in Loop: Header=BB386_13 Depth=1
	s_or_b32 exec_lo, exec_lo, s22
.LBB386_311:                            ;   in Loop: Header=BB386_13 Depth=1
	s_delay_alu instid0(SALU_CYCLE_1)
	s_or_b32 exec_lo, exec_lo, s21
.LBB386_312:                            ;   in Loop: Header=BB386_13 Depth=1
	s_delay_alu instid0(SALU_CYCLE_1) | instskip(NEXT) | instid1(VALU_DEP_1)
	s_or_b32 exec_lo, exec_lo, s20
	v_mul_f32_e32 v28, v131, v28
	s_delay_alu instid0(VALU_DEP_1) | instskip(NEXT) | instid1(VALU_DEP_1)
	v_and_b32_e32 v178, 0x7f800000, v28
	v_cmp_ne_u32_e64 s2, 0x7f800000, v178
                                        ; implicit-def: $vgpr178
	s_delay_alu instid0(VALU_DEP_1) | instskip(NEXT) | instid1(SALU_CYCLE_1)
	s_and_saveexec_b32 s20, s2
	s_xor_b32 s2, exec_lo, s20
; %bb.313:                              ;   in Loop: Header=BB386_13 Depth=1
	v_bfe_u32 v178, v28, 16, 1
	s_delay_alu instid0(VALU_DEP_1)
	v_add3_u32 v178, v28, v178, 0x7fff
                                        ; implicit-def: $vgpr28
; %bb.314:                              ;   in Loop: Header=BB386_13 Depth=1
	s_and_not1_saveexec_b32 s20, s2
; %bb.315:                              ;   in Loop: Header=BB386_13 Depth=1
	v_and_b32_e32 v178, 0xffff, v28
	v_or_b32_e32 v181, 0x10000, v28
	s_delay_alu instid0(VALU_DEP_2) | instskip(NEXT) | instid1(VALU_DEP_1)
	v_cmp_eq_u32_e64 s2, 0, v178
	v_cndmask_b32_e64 v178, v181, v28, s2
; %bb.316:                              ;   in Loop: Header=BB386_13 Depth=1
	s_or_b32 exec_lo, exec_lo, s20
	v_lshrrev_b16 v181, 8, v180
	v_mov_b32_e32 v28, 0
	s_mov_b32 s20, exec_lo
	s_delay_alu instid0(VALU_DEP_2)
	v_cmpx_ne_u16_e64 0, v181
	s_cbranch_execz .LBB386_324
; %bb.317:                              ;   in Loop: Header=BB386_13 Depth=1
	v_bfrev_b32_e32 v28, 1
	s_mov_b32 s21, exec_lo
	v_cmpx_ne_u16_e64 0x80, v181
	s_cbranch_execz .LBB386_323
; %bb.318:                              ;   in Loop: Header=BB386_13 Depth=1
	v_and_b32_e32 v181, 0xffff, v181
	v_mov_b32_e32 v28, 0x7f800001
	s_mov_b32 s22, exec_lo
	s_delay_alu instid0(VALU_DEP_2) | instskip(NEXT) | instid1(VALU_DEP_1)
	v_and_b32_e32 v182, 0x7f, v181
	v_cmpx_ne_u32_e32 0x7f, v182
	s_cbranch_execz .LBB386_322
; %bb.319:                              ;   in Loop: Header=BB386_13 Depth=1
	v_and_b32_e32 v28, 7, v181
	v_lshrrev_b32_e32 v181, 3, v182
	s_mov_b32 s23, exec_lo
	v_cmpx_gt_u32_e32 8, v182
; %bb.320:                              ;   in Loop: Header=BB386_13 Depth=1
	s_delay_alu instid0(VALU_DEP_3) | instskip(NEXT) | instid1(VALU_DEP_1)
	v_clz_i32_u32_e32 v181, v28
	v_min_u32_e32 v181, 32, v181
	s_delay_alu instid0(VALU_DEP_1) | instskip(SKIP_1) | instid1(VALU_DEP_2)
	v_subrev_nc_u32_e32 v182, 28, v181
	v_sub_nc_u32_e32 v181, 29, v181
	v_lshlrev_b64 v[182:183], v182, v[28:29]
	s_delay_alu instid0(VALU_DEP_1)
	v_and_b32_e32 v28, 7, v182
; %bb.321:                              ;   in Loop: Header=BB386_13 Depth=1
	s_or_b32 exec_lo, exec_lo, s23
	v_lshlrev_b32_e32 v180, 16, v180
	s_delay_alu instid0(VALU_DEP_2) | instskip(SKIP_1) | instid1(VALU_DEP_3)
	v_lshlrev_b32_e32 v28, 20, v28
	v_lshl_add_u32 v181, v181, 23, 0x3c000000
	v_and_b32_e32 v180, 0x80000000, v180
	s_delay_alu instid0(VALU_DEP_1)
	v_or3_b32 v28, v28, v180, v181
.LBB386_322:                            ;   in Loop: Header=BB386_13 Depth=1
	s_or_b32 exec_lo, exec_lo, s22
.LBB386_323:                            ;   in Loop: Header=BB386_13 Depth=1
	s_delay_alu instid0(SALU_CYCLE_1)
	s_or_b32 exec_lo, exec_lo, s21
.LBB386_324:                            ;   in Loop: Header=BB386_13 Depth=1
	s_delay_alu instid0(SALU_CYCLE_1) | instskip(NEXT) | instid1(VALU_DEP_1)
	s_or_b32 exec_lo, exec_lo, s20
	v_mul_f32_e32 v28, v131, v28
                                        ; implicit-def: $vgpr181
	s_delay_alu instid0(VALU_DEP_1) | instskip(NEXT) | instid1(VALU_DEP_1)
	v_and_b32_e32 v180, 0x7f800000, v28
	v_cmp_ne_u32_e64 s2, 0x7f800000, v180
	s_delay_alu instid0(VALU_DEP_1) | instskip(NEXT) | instid1(SALU_CYCLE_1)
	s_and_saveexec_b32 s20, s2
	s_xor_b32 s2, exec_lo, s20
; %bb.325:                              ;   in Loop: Header=BB386_13 Depth=1
	v_bfe_u32 v180, v28, 16, 1
	s_delay_alu instid0(VALU_DEP_1)
	v_add3_u32 v181, v28, v180, 0x7fff
                                        ; implicit-def: $vgpr28
; %bb.326:                              ;   in Loop: Header=BB386_13 Depth=1
	s_and_not1_saveexec_b32 s20, s2
; %bb.327:                              ;   in Loop: Header=BB386_13 Depth=1
	v_and_b32_e32 v180, 0xffff, v28
	v_or_b32_e32 v181, 0x10000, v28
	s_delay_alu instid0(VALU_DEP_2) | instskip(NEXT) | instid1(VALU_DEP_1)
	v_cmp_eq_u32_e64 s2, 0, v180
	v_cndmask_b32_e64 v181, v181, v28, s2
; %bb.328:                              ;   in Loop: Header=BB386_13 Depth=1
	s_or_b32 exec_lo, exec_lo, s20
	flat_load_u16 v28, v[80:81] offset:776
	s_mov_b32 s20, exec_lo
	s_waitcnt vmcnt(0) lgkmcnt(0)
	v_and_b32_e32 v180, 0xff, v28
	v_and_b32_e32 v182, 0xffff, v28
	v_mov_b32_e32 v28, 0
	s_delay_alu instid0(VALU_DEP_3)
	v_cmpx_ne_u16_e64 0, v180
	s_cbranch_execz .LBB386_336
; %bb.329:                              ;   in Loop: Header=BB386_13 Depth=1
	s_delay_alu instid0(VALU_DEP_3) | instskip(NEXT) | instid1(VALU_DEP_1)
	v_and_b32_e32 v28, 0xff, v182
	v_cmp_ne_u16_e64 s2, 0x80, v28
	v_bfrev_b32_e32 v28, 1
	s_delay_alu instid0(VALU_DEP_2)
	s_and_saveexec_b32 s21, s2
	s_cbranch_execz .LBB386_335
; %bb.330:                              ;   in Loop: Header=BB386_13 Depth=1
	v_and_b32_e32 v183, 0x7f, v182
	v_mov_b32_e32 v28, 0x7f800001
	s_mov_b32 s22, exec_lo
	s_delay_alu instid0(VALU_DEP_2)
	v_cmpx_ne_u32_e32 0x7f, v183
	s_cbranch_execz .LBB386_334
; %bb.331:                              ;   in Loop: Header=BB386_13 Depth=1
	v_and_b32_e32 v28, 7, v182
	v_lshrrev_b32_e32 v180, 3, v183
	s_mov_b32 s23, exec_lo
	v_cmpx_gt_u32_e32 8, v183
; %bb.332:                              ;   in Loop: Header=BB386_13 Depth=1
	s_delay_alu instid0(VALU_DEP_3) | instskip(NEXT) | instid1(VALU_DEP_1)
	v_clz_i32_u32_e32 v180, v28
	v_min_u32_e32 v180, 32, v180
	s_delay_alu instid0(VALU_DEP_1) | instskip(SKIP_1) | instid1(VALU_DEP_2)
	v_subrev_nc_u32_e32 v183, 28, v180
	v_sub_nc_u32_e32 v180, 29, v180
	v_lshlrev_b64 v[40:41], v183, v[28:29]
	s_delay_alu instid0(VALU_DEP_1)
	v_and_b32_e32 v28, 7, v40
; %bb.333:                              ;   in Loop: Header=BB386_13 Depth=1
	s_or_b32 exec_lo, exec_lo, s23
	v_lshlrev_b32_e32 v183, 24, v182
	s_delay_alu instid0(VALU_DEP_2) | instskip(SKIP_1) | instid1(VALU_DEP_3)
	v_lshlrev_b32_e32 v28, 20, v28
	v_lshl_add_u32 v180, v180, 23, 0x3c000000
	v_and_b32_e32 v183, 0x80000000, v183
	s_delay_alu instid0(VALU_DEP_1)
	v_or3_b32 v28, v28, v183, v180
.LBB386_334:                            ;   in Loop: Header=BB386_13 Depth=1
	s_or_b32 exec_lo, exec_lo, s22
.LBB386_335:                            ;   in Loop: Header=BB386_13 Depth=1
	s_delay_alu instid0(SALU_CYCLE_1)
	s_or_b32 exec_lo, exec_lo, s21
.LBB386_336:                            ;   in Loop: Header=BB386_13 Depth=1
	s_delay_alu instid0(SALU_CYCLE_1) | instskip(NEXT) | instid1(VALU_DEP_1)
	s_or_b32 exec_lo, exec_lo, s20
	v_mul_f32_e32 v28, v131, v28
	s_delay_alu instid0(VALU_DEP_1) | instskip(NEXT) | instid1(VALU_DEP_1)
	v_and_b32_e32 v180, 0x7f800000, v28
	v_cmp_ne_u32_e64 s2, 0x7f800000, v180
                                        ; implicit-def: $vgpr180
	s_delay_alu instid0(VALU_DEP_1) | instskip(NEXT) | instid1(SALU_CYCLE_1)
	s_and_saveexec_b32 s20, s2
	s_xor_b32 s2, exec_lo, s20
; %bb.337:                              ;   in Loop: Header=BB386_13 Depth=1
	v_bfe_u32 v180, v28, 16, 1
	s_delay_alu instid0(VALU_DEP_1)
	v_add3_u32 v180, v28, v180, 0x7fff
                                        ; implicit-def: $vgpr28
; %bb.338:                              ;   in Loop: Header=BB386_13 Depth=1
	s_and_not1_saveexec_b32 s20, s2
; %bb.339:                              ;   in Loop: Header=BB386_13 Depth=1
	v_and_b32_e32 v180, 0xffff, v28
	v_or_b32_e32 v183, 0x10000, v28
	s_delay_alu instid0(VALU_DEP_2) | instskip(NEXT) | instid1(VALU_DEP_1)
	v_cmp_eq_u32_e64 s2, 0, v180
	v_cndmask_b32_e64 v180, v183, v28, s2
; %bb.340:                              ;   in Loop: Header=BB386_13 Depth=1
	s_or_b32 exec_lo, exec_lo, s20
	v_lshrrev_b16 v183, 8, v182
	v_mov_b32_e32 v28, 0
	s_mov_b32 s20, exec_lo
	s_delay_alu instid0(VALU_DEP_2)
	v_cmpx_ne_u16_e64 0, v183
	s_cbranch_execz .LBB386_348
; %bb.341:                              ;   in Loop: Header=BB386_13 Depth=1
	v_bfrev_b32_e32 v28, 1
	s_mov_b32 s21, exec_lo
	v_cmpx_ne_u16_e64 0x80, v183
	s_cbranch_execz .LBB386_347
; %bb.342:                              ;   in Loop: Header=BB386_13 Depth=1
	v_and_b32_e32 v183, 0xffff, v183
	v_mov_b32_e32 v28, 0x7f800001
	s_mov_b32 s22, exec_lo
	s_delay_alu instid0(VALU_DEP_2) | instskip(NEXT) | instid1(VALU_DEP_1)
	v_and_b32_e32 v40, 0x7f, v183
	v_cmpx_ne_u32_e32 0x7f, v40
	s_cbranch_execz .LBB386_346
; %bb.343:                              ;   in Loop: Header=BB386_13 Depth=1
	v_and_b32_e32 v28, 7, v183
	v_lshrrev_b32_e32 v183, 3, v40
	s_mov_b32 s23, exec_lo
	v_cmpx_gt_u32_e32 8, v40
; %bb.344:                              ;   in Loop: Header=BB386_13 Depth=1
	s_delay_alu instid0(VALU_DEP_3) | instskip(NEXT) | instid1(VALU_DEP_1)
	v_clz_i32_u32_e32 v183, v28
	v_min_u32_e32 v183, 32, v183
	s_delay_alu instid0(VALU_DEP_1) | instskip(SKIP_1) | instid1(VALU_DEP_2)
	v_subrev_nc_u32_e32 v40, 28, v183
	v_sub_nc_u32_e32 v183, 29, v183
	v_lshlrev_b64 v[40:41], v40, v[28:29]
	s_delay_alu instid0(VALU_DEP_1)
	v_and_b32_e32 v28, 7, v40
; %bb.345:                              ;   in Loop: Header=BB386_13 Depth=1
	s_or_b32 exec_lo, exec_lo, s23
	v_lshlrev_b32_e32 v182, 16, v182
	s_delay_alu instid0(VALU_DEP_2) | instskip(SKIP_1) | instid1(VALU_DEP_3)
	v_lshlrev_b32_e32 v28, 20, v28
	v_lshl_add_u32 v183, v183, 23, 0x3c000000
	v_and_b32_e32 v182, 0x80000000, v182
	s_delay_alu instid0(VALU_DEP_1)
	v_or3_b32 v28, v28, v182, v183
.LBB386_346:                            ;   in Loop: Header=BB386_13 Depth=1
	s_or_b32 exec_lo, exec_lo, s22
.LBB386_347:                            ;   in Loop: Header=BB386_13 Depth=1
	s_delay_alu instid0(SALU_CYCLE_1)
	s_or_b32 exec_lo, exec_lo, s21
.LBB386_348:                            ;   in Loop: Header=BB386_13 Depth=1
	s_delay_alu instid0(SALU_CYCLE_1) | instskip(NEXT) | instid1(VALU_DEP_1)
	s_or_b32 exec_lo, exec_lo, s20
	v_mul_f32_e32 v28, v131, v28
                                        ; implicit-def: $vgpr183
	s_delay_alu instid0(VALU_DEP_1) | instskip(NEXT) | instid1(VALU_DEP_1)
	v_and_b32_e32 v182, 0x7f800000, v28
	v_cmp_ne_u32_e64 s2, 0x7f800000, v182
	s_delay_alu instid0(VALU_DEP_1) | instskip(NEXT) | instid1(SALU_CYCLE_1)
	s_and_saveexec_b32 s20, s2
	s_xor_b32 s2, exec_lo, s20
; %bb.349:                              ;   in Loop: Header=BB386_13 Depth=1
	v_bfe_u32 v182, v28, 16, 1
	s_delay_alu instid0(VALU_DEP_1)
	v_add3_u32 v183, v28, v182, 0x7fff
                                        ; implicit-def: $vgpr28
; %bb.350:                              ;   in Loop: Header=BB386_13 Depth=1
	s_and_not1_saveexec_b32 s20, s2
; %bb.351:                              ;   in Loop: Header=BB386_13 Depth=1
	v_and_b32_e32 v182, 0xffff, v28
	v_or_b32_e32 v183, 0x10000, v28
	s_delay_alu instid0(VALU_DEP_2) | instskip(NEXT) | instid1(VALU_DEP_1)
	v_cmp_eq_u32_e64 s2, 0, v182
	v_cndmask_b32_e64 v183, v183, v28, s2
; %bb.352:                              ;   in Loop: Header=BB386_13 Depth=1
	s_or_b32 exec_lo, exec_lo, s20
	flat_load_u16 v28, v[80:81] offset:896
	s_mov_b32 s20, exec_lo
	s_waitcnt vmcnt(0) lgkmcnt(0)
	v_and_b32_e32 v182, 0xff, v28
	v_and_b32_e32 v40, 0xffff, v28
	v_mov_b32_e32 v28, 0
	s_delay_alu instid0(VALU_DEP_3)
	v_cmpx_ne_u16_e64 0, v182
	s_cbranch_execz .LBB386_360
; %bb.353:                              ;   in Loop: Header=BB386_13 Depth=1
	s_delay_alu instid0(VALU_DEP_3) | instskip(NEXT) | instid1(VALU_DEP_1)
	v_and_b32_e32 v28, 0xff, v40
	v_cmp_ne_u16_e64 s2, 0x80, v28
	v_bfrev_b32_e32 v28, 1
	s_delay_alu instid0(VALU_DEP_2)
	s_and_saveexec_b32 s21, s2
	s_cbranch_execz .LBB386_359
; %bb.354:                              ;   in Loop: Header=BB386_13 Depth=1
	v_and_b32_e32 v41, 0x7f, v40
	v_mov_b32_e32 v28, 0x7f800001
	s_mov_b32 s22, exec_lo
	s_delay_alu instid0(VALU_DEP_2)
	v_cmpx_ne_u32_e32 0x7f, v41
	s_cbranch_execz .LBB386_358
; %bb.355:                              ;   in Loop: Header=BB386_13 Depth=1
	v_and_b32_e32 v28, 7, v40
	v_lshrrev_b32_e32 v182, 3, v41
	s_mov_b32 s23, exec_lo
	v_cmpx_gt_u32_e32 8, v41
; %bb.356:                              ;   in Loop: Header=BB386_13 Depth=1
	s_delay_alu instid0(VALU_DEP_3) | instskip(NEXT) | instid1(VALU_DEP_1)
	v_clz_i32_u32_e32 v182, v28
	v_min_u32_e32 v182, 32, v182
	s_delay_alu instid0(VALU_DEP_1) | instskip(SKIP_1) | instid1(VALU_DEP_2)
	v_subrev_nc_u32_e32 v41, 28, v182
	v_sub_nc_u32_e32 v182, 29, v182
	v_lshlrev_b64 v[41:42], v41, v[28:29]
	s_delay_alu instid0(VALU_DEP_1)
	v_and_b32_e32 v28, 7, v41
; %bb.357:                              ;   in Loop: Header=BB386_13 Depth=1
	s_or_b32 exec_lo, exec_lo, s23
	v_lshlrev_b32_e32 v41, 24, v40
	s_delay_alu instid0(VALU_DEP_2) | instskip(SKIP_1) | instid1(VALU_DEP_3)
	v_lshlrev_b32_e32 v28, 20, v28
	v_lshl_add_u32 v182, v182, 23, 0x3c000000
	v_and_b32_e32 v41, 0x80000000, v41
	s_delay_alu instid0(VALU_DEP_1)
	v_or3_b32 v28, v28, v41, v182
.LBB386_358:                            ;   in Loop: Header=BB386_13 Depth=1
	s_or_b32 exec_lo, exec_lo, s22
.LBB386_359:                            ;   in Loop: Header=BB386_13 Depth=1
	s_delay_alu instid0(SALU_CYCLE_1)
	s_or_b32 exec_lo, exec_lo, s21
.LBB386_360:                            ;   in Loop: Header=BB386_13 Depth=1
	s_delay_alu instid0(SALU_CYCLE_1) | instskip(NEXT) | instid1(VALU_DEP_1)
	s_or_b32 exec_lo, exec_lo, s20
	v_mul_f32_e32 v28, v131, v28
	s_delay_alu instid0(VALU_DEP_1) | instskip(NEXT) | instid1(VALU_DEP_1)
	v_and_b32_e32 v182, 0x7f800000, v28
	v_cmp_ne_u32_e64 s2, 0x7f800000, v182
                                        ; implicit-def: $vgpr182
	s_delay_alu instid0(VALU_DEP_1) | instskip(NEXT) | instid1(SALU_CYCLE_1)
	s_and_saveexec_b32 s20, s2
	s_xor_b32 s2, exec_lo, s20
; %bb.361:                              ;   in Loop: Header=BB386_13 Depth=1
	v_bfe_u32 v182, v28, 16, 1
	s_delay_alu instid0(VALU_DEP_1)
	v_add3_u32 v182, v28, v182, 0x7fff
                                        ; implicit-def: $vgpr28
; %bb.362:                              ;   in Loop: Header=BB386_13 Depth=1
	s_and_not1_saveexec_b32 s20, s2
; %bb.363:                              ;   in Loop: Header=BB386_13 Depth=1
	v_and_b32_e32 v182, 0xffff, v28
	v_or_b32_e32 v41, 0x10000, v28
	s_delay_alu instid0(VALU_DEP_2) | instskip(NEXT) | instid1(VALU_DEP_1)
	v_cmp_eq_u32_e64 s2, 0, v182
	v_cndmask_b32_e64 v182, v41, v28, s2
; %bb.364:                              ;   in Loop: Header=BB386_13 Depth=1
	s_or_b32 exec_lo, exec_lo, s20
	v_lshrrev_b16 v41, 8, v40
	v_mov_b32_e32 v28, 0
	s_mov_b32 s20, exec_lo
	s_delay_alu instid0(VALU_DEP_2)
	v_cmpx_ne_u16_e32 0, v41
	s_cbranch_execz .LBB386_372
; %bb.365:                              ;   in Loop: Header=BB386_13 Depth=1
	v_bfrev_b32_e32 v28, 1
	s_mov_b32 s21, exec_lo
	v_cmpx_ne_u16_e32 0x80, v41
	s_cbranch_execz .LBB386_371
; %bb.366:                              ;   in Loop: Header=BB386_13 Depth=1
	v_and_b32_e32 v41, 0xffff, v41
	v_mov_b32_e32 v28, 0x7f800001
	s_mov_b32 s22, exec_lo
	s_delay_alu instid0(VALU_DEP_2) | instskip(NEXT) | instid1(VALU_DEP_1)
	v_and_b32_e32 v42, 0x7f, v41
	v_cmpx_ne_u32_e32 0x7f, v42
	s_cbranch_execz .LBB386_370
; %bb.367:                              ;   in Loop: Header=BB386_13 Depth=1
	v_and_b32_e32 v28, 7, v41
	v_lshrrev_b32_e32 v41, 3, v42
	s_mov_b32 s23, exec_lo
	v_cmpx_gt_u32_e32 8, v42
; %bb.368:                              ;   in Loop: Header=BB386_13 Depth=1
	s_delay_alu instid0(VALU_DEP_3) | instskip(NEXT) | instid1(VALU_DEP_1)
	v_clz_i32_u32_e32 v41, v28
	v_min_u32_e32 v41, 32, v41
	s_delay_alu instid0(VALU_DEP_1) | instskip(SKIP_1) | instid1(VALU_DEP_2)
	v_subrev_nc_u32_e32 v42, 28, v41
	v_sub_nc_u32_e32 v41, 29, v41
	v_lshlrev_b64 v[42:43], v42, v[28:29]
	s_delay_alu instid0(VALU_DEP_1)
	v_and_b32_e32 v28, 7, v42
; %bb.369:                              ;   in Loop: Header=BB386_13 Depth=1
	s_or_b32 exec_lo, exec_lo, s23
	v_lshlrev_b32_e32 v40, 16, v40
	s_delay_alu instid0(VALU_DEP_2) | instskip(SKIP_1) | instid1(VALU_DEP_3)
	v_lshlrev_b32_e32 v28, 20, v28
	v_lshl_add_u32 v41, v41, 23, 0x3c000000
	v_and_b32_e32 v40, 0x80000000, v40
	s_delay_alu instid0(VALU_DEP_1)
	v_or3_b32 v28, v28, v40, v41
.LBB386_370:                            ;   in Loop: Header=BB386_13 Depth=1
	s_or_b32 exec_lo, exec_lo, s22
.LBB386_371:                            ;   in Loop: Header=BB386_13 Depth=1
	s_delay_alu instid0(SALU_CYCLE_1)
	s_or_b32 exec_lo, exec_lo, s21
.LBB386_372:                            ;   in Loop: Header=BB386_13 Depth=1
	s_delay_alu instid0(SALU_CYCLE_1) | instskip(NEXT) | instid1(VALU_DEP_1)
	s_or_b32 exec_lo, exec_lo, s20
	v_mul_f32_e32 v28, v131, v28
                                        ; implicit-def: $vgpr41
	s_delay_alu instid0(VALU_DEP_1) | instskip(NEXT) | instid1(VALU_DEP_1)
	v_and_b32_e32 v40, 0x7f800000, v28
	v_cmp_ne_u32_e64 s2, 0x7f800000, v40
	s_delay_alu instid0(VALU_DEP_1) | instskip(NEXT) | instid1(SALU_CYCLE_1)
	s_and_saveexec_b32 s20, s2
	s_xor_b32 s2, exec_lo, s20
; %bb.373:                              ;   in Loop: Header=BB386_13 Depth=1
	v_bfe_u32 v40, v28, 16, 1
	s_delay_alu instid0(VALU_DEP_1)
	v_add3_u32 v41, v28, v40, 0x7fff
                                        ; implicit-def: $vgpr28
; %bb.374:                              ;   in Loop: Header=BB386_13 Depth=1
	s_and_not1_saveexec_b32 s20, s2
; %bb.375:                              ;   in Loop: Header=BB386_13 Depth=1
	v_and_b32_e32 v40, 0xffff, v28
	v_or_b32_e32 v41, 0x10000, v28
	s_delay_alu instid0(VALU_DEP_2) | instskip(NEXT) | instid1(VALU_DEP_1)
	v_cmp_eq_u32_e64 s2, 0, v40
	v_cndmask_b32_e64 v41, v41, v28, s2
; %bb.376:                              ;   in Loop: Header=BB386_13 Depth=1
	s_or_b32 exec_lo, exec_lo, s20
	flat_load_u16 v28, v[80:81] offset:904
	s_mov_b32 s20, exec_lo
	s_waitcnt vmcnt(0) lgkmcnt(0)
	v_and_b32_e32 v40, 0xff, v28
	v_and_b32_e32 v42, 0xffff, v28
	v_mov_b32_e32 v28, 0
	s_delay_alu instid0(VALU_DEP_3)
	v_cmpx_ne_u16_e32 0, v40
	s_cbranch_execz .LBB386_384
; %bb.377:                              ;   in Loop: Header=BB386_13 Depth=1
	s_delay_alu instid0(VALU_DEP_3) | instskip(NEXT) | instid1(VALU_DEP_1)
	v_and_b32_e32 v28, 0xff, v42
	v_cmp_ne_u16_e64 s2, 0x80, v28
	v_bfrev_b32_e32 v28, 1
	s_delay_alu instid0(VALU_DEP_2)
	s_and_saveexec_b32 s21, s2
	s_cbranch_execz .LBB386_383
; %bb.378:                              ;   in Loop: Header=BB386_13 Depth=1
	v_and_b32_e32 v43, 0x7f, v42
	v_mov_b32_e32 v28, 0x7f800001
	s_mov_b32 s22, exec_lo
	s_delay_alu instid0(VALU_DEP_2)
	v_cmpx_ne_u32_e32 0x7f, v43
	s_cbranch_execz .LBB386_382
; %bb.379:                              ;   in Loop: Header=BB386_13 Depth=1
	v_and_b32_e32 v28, 7, v42
	v_lshrrev_b32_e32 v40, 3, v43
	s_mov_b32 s23, exec_lo
	v_cmpx_gt_u32_e32 8, v43
; %bb.380:                              ;   in Loop: Header=BB386_13 Depth=1
	s_delay_alu instid0(VALU_DEP_3) | instskip(NEXT) | instid1(VALU_DEP_1)
	v_clz_i32_u32_e32 v40, v28
	v_min_u32_e32 v40, 32, v40
	s_delay_alu instid0(VALU_DEP_1) | instskip(SKIP_1) | instid1(VALU_DEP_2)
	v_subrev_nc_u32_e32 v43, 28, v40
	v_sub_nc_u32_e32 v40, 29, v40
	v_lshlrev_b64 v[43:44], v43, v[28:29]
	s_delay_alu instid0(VALU_DEP_1)
	v_and_b32_e32 v28, 7, v43
; %bb.381:                              ;   in Loop: Header=BB386_13 Depth=1
	s_or_b32 exec_lo, exec_lo, s23
	v_lshlrev_b32_e32 v43, 24, v42
	s_delay_alu instid0(VALU_DEP_2) | instskip(SKIP_1) | instid1(VALU_DEP_3)
	v_lshlrev_b32_e32 v28, 20, v28
	v_lshl_add_u32 v40, v40, 23, 0x3c000000
	v_and_b32_e32 v43, 0x80000000, v43
	s_delay_alu instid0(VALU_DEP_1)
	v_or3_b32 v28, v28, v43, v40
.LBB386_382:                            ;   in Loop: Header=BB386_13 Depth=1
	s_or_b32 exec_lo, exec_lo, s22
.LBB386_383:                            ;   in Loop: Header=BB386_13 Depth=1
	s_delay_alu instid0(SALU_CYCLE_1)
	s_or_b32 exec_lo, exec_lo, s21
.LBB386_384:                            ;   in Loop: Header=BB386_13 Depth=1
	s_delay_alu instid0(SALU_CYCLE_1) | instskip(NEXT) | instid1(VALU_DEP_1)
	s_or_b32 exec_lo, exec_lo, s20
	v_mul_f32_e32 v28, v131, v28
	s_delay_alu instid0(VALU_DEP_1) | instskip(NEXT) | instid1(VALU_DEP_1)
	v_and_b32_e32 v40, 0x7f800000, v28
	v_cmp_ne_u32_e64 s2, 0x7f800000, v40
                                        ; implicit-def: $vgpr40
	s_delay_alu instid0(VALU_DEP_1) | instskip(NEXT) | instid1(SALU_CYCLE_1)
	s_and_saveexec_b32 s20, s2
	s_xor_b32 s2, exec_lo, s20
; %bb.385:                              ;   in Loop: Header=BB386_13 Depth=1
	v_bfe_u32 v40, v28, 16, 1
	s_delay_alu instid0(VALU_DEP_1)
	v_add3_u32 v40, v28, v40, 0x7fff
                                        ; implicit-def: $vgpr28
; %bb.386:                              ;   in Loop: Header=BB386_13 Depth=1
	s_and_not1_saveexec_b32 s20, s2
; %bb.387:                              ;   in Loop: Header=BB386_13 Depth=1
	v_and_b32_e32 v40, 0xffff, v28
	v_or_b32_e32 v43, 0x10000, v28
	s_delay_alu instid0(VALU_DEP_2) | instskip(NEXT) | instid1(VALU_DEP_1)
	v_cmp_eq_u32_e64 s2, 0, v40
	v_cndmask_b32_e64 v40, v43, v28, s2
; %bb.388:                              ;   in Loop: Header=BB386_13 Depth=1
	s_or_b32 exec_lo, exec_lo, s20
	v_lshrrev_b16 v43, 8, v42
	v_mov_b32_e32 v28, 0
	s_mov_b32 s20, exec_lo
	s_delay_alu instid0(VALU_DEP_2)
	v_cmpx_ne_u16_e32 0, v43
	s_cbranch_execz .LBB386_396
; %bb.389:                              ;   in Loop: Header=BB386_13 Depth=1
	v_bfrev_b32_e32 v28, 1
	s_mov_b32 s21, exec_lo
	v_cmpx_ne_u16_e32 0x80, v43
	s_cbranch_execz .LBB386_395
; %bb.390:                              ;   in Loop: Header=BB386_13 Depth=1
	v_and_b32_e32 v43, 0xffff, v43
	v_mov_b32_e32 v28, 0x7f800001
	s_mov_b32 s22, exec_lo
	s_delay_alu instid0(VALU_DEP_2) | instskip(NEXT) | instid1(VALU_DEP_1)
	v_and_b32_e32 v44, 0x7f, v43
	v_cmpx_ne_u32_e32 0x7f, v44
	s_cbranch_execz .LBB386_394
; %bb.391:                              ;   in Loop: Header=BB386_13 Depth=1
	v_and_b32_e32 v28, 7, v43
	v_lshrrev_b32_e32 v43, 3, v44
	s_mov_b32 s23, exec_lo
	v_cmpx_gt_u32_e32 8, v44
; %bb.392:                              ;   in Loop: Header=BB386_13 Depth=1
	s_delay_alu instid0(VALU_DEP_3) | instskip(NEXT) | instid1(VALU_DEP_1)
	v_clz_i32_u32_e32 v43, v28
	v_min_u32_e32 v43, 32, v43
	s_delay_alu instid0(VALU_DEP_1) | instskip(SKIP_1) | instid1(VALU_DEP_2)
	v_subrev_nc_u32_e32 v44, 28, v43
	v_sub_nc_u32_e32 v43, 29, v43
	v_lshlrev_b64 v[44:45], v44, v[28:29]
	s_delay_alu instid0(VALU_DEP_1)
	v_and_b32_e32 v28, 7, v44
; %bb.393:                              ;   in Loop: Header=BB386_13 Depth=1
	s_or_b32 exec_lo, exec_lo, s23
	v_lshlrev_b32_e32 v42, 16, v42
	s_delay_alu instid0(VALU_DEP_2) | instskip(SKIP_1) | instid1(VALU_DEP_3)
	v_lshlrev_b32_e32 v28, 20, v28
	v_lshl_add_u32 v43, v43, 23, 0x3c000000
	v_and_b32_e32 v42, 0x80000000, v42
	s_delay_alu instid0(VALU_DEP_1)
	v_or3_b32 v28, v28, v42, v43
.LBB386_394:                            ;   in Loop: Header=BB386_13 Depth=1
	s_or_b32 exec_lo, exec_lo, s22
.LBB386_395:                            ;   in Loop: Header=BB386_13 Depth=1
	s_delay_alu instid0(SALU_CYCLE_1)
	s_or_b32 exec_lo, exec_lo, s21
.LBB386_396:                            ;   in Loop: Header=BB386_13 Depth=1
	s_delay_alu instid0(SALU_CYCLE_1) | instskip(NEXT) | instid1(VALU_DEP_1)
	s_or_b32 exec_lo, exec_lo, s20
	v_mul_f32_e32 v28, v131, v28
                                        ; implicit-def: $vgpr43
	s_delay_alu instid0(VALU_DEP_1) | instskip(NEXT) | instid1(VALU_DEP_1)
	v_and_b32_e32 v42, 0x7f800000, v28
	v_cmp_ne_u32_e64 s2, 0x7f800000, v42
	s_delay_alu instid0(VALU_DEP_1) | instskip(NEXT) | instid1(SALU_CYCLE_1)
	s_and_saveexec_b32 s20, s2
	s_xor_b32 s2, exec_lo, s20
; %bb.397:                              ;   in Loop: Header=BB386_13 Depth=1
	v_bfe_u32 v42, v28, 16, 1
	s_delay_alu instid0(VALU_DEP_1)
	v_add3_u32 v43, v28, v42, 0x7fff
                                        ; implicit-def: $vgpr28
; %bb.398:                              ;   in Loop: Header=BB386_13 Depth=1
	s_and_not1_saveexec_b32 s20, s2
; %bb.399:                              ;   in Loop: Header=BB386_13 Depth=1
	v_and_b32_e32 v42, 0xffff, v28
	v_or_b32_e32 v43, 0x10000, v28
	s_delay_alu instid0(VALU_DEP_2) | instskip(NEXT) | instid1(VALU_DEP_1)
	v_cmp_eq_u32_e64 s2, 0, v42
	v_cndmask_b32_e64 v43, v43, v28, s2
; %bb.400:                              ;   in Loop: Header=BB386_13 Depth=1
	s_or_b32 exec_lo, exec_lo, s20
	flat_load_u16 v28, v[80:81] offset:1024
	s_mov_b32 s20, exec_lo
	s_waitcnt vmcnt(0) lgkmcnt(0)
	v_and_b32_e32 v42, 0xff, v28
	v_and_b32_e32 v44, 0xffff, v28
	v_mov_b32_e32 v28, 0
	s_delay_alu instid0(VALU_DEP_3)
	v_cmpx_ne_u16_e32 0, v42
	s_cbranch_execz .LBB386_408
; %bb.401:                              ;   in Loop: Header=BB386_13 Depth=1
	s_delay_alu instid0(VALU_DEP_3) | instskip(NEXT) | instid1(VALU_DEP_1)
	v_and_b32_e32 v28, 0xff, v44
	v_cmp_ne_u16_e64 s2, 0x80, v28
	v_bfrev_b32_e32 v28, 1
	s_delay_alu instid0(VALU_DEP_2)
	s_and_saveexec_b32 s21, s2
	s_cbranch_execz .LBB386_407
; %bb.402:                              ;   in Loop: Header=BB386_13 Depth=1
	v_and_b32_e32 v45, 0x7f, v44
	v_mov_b32_e32 v28, 0x7f800001
	s_mov_b32 s22, exec_lo
	s_delay_alu instid0(VALU_DEP_2)
	v_cmpx_ne_u32_e32 0x7f, v45
	s_cbranch_execz .LBB386_406
; %bb.403:                              ;   in Loop: Header=BB386_13 Depth=1
	v_and_b32_e32 v28, 7, v44
	v_lshrrev_b32_e32 v42, 3, v45
	s_mov_b32 s23, exec_lo
	v_cmpx_gt_u32_e32 8, v45
; %bb.404:                              ;   in Loop: Header=BB386_13 Depth=1
	s_delay_alu instid0(VALU_DEP_3) | instskip(NEXT) | instid1(VALU_DEP_1)
	v_clz_i32_u32_e32 v42, v28
	v_min_u32_e32 v42, 32, v42
	s_delay_alu instid0(VALU_DEP_1) | instskip(SKIP_1) | instid1(VALU_DEP_2)
	v_subrev_nc_u32_e32 v45, 28, v42
	v_sub_nc_u32_e32 v42, 29, v42
	v_lshlrev_b64 v[45:46], v45, v[28:29]
	s_delay_alu instid0(VALU_DEP_1)
	v_and_b32_e32 v28, 7, v45
; %bb.405:                              ;   in Loop: Header=BB386_13 Depth=1
	s_or_b32 exec_lo, exec_lo, s23
	v_lshlrev_b32_e32 v45, 24, v44
	s_delay_alu instid0(VALU_DEP_2) | instskip(SKIP_1) | instid1(VALU_DEP_3)
	v_lshlrev_b32_e32 v28, 20, v28
	v_lshl_add_u32 v42, v42, 23, 0x3c000000
	v_and_b32_e32 v45, 0x80000000, v45
	s_delay_alu instid0(VALU_DEP_1)
	v_or3_b32 v28, v28, v45, v42
.LBB386_406:                            ;   in Loop: Header=BB386_13 Depth=1
	s_or_b32 exec_lo, exec_lo, s22
.LBB386_407:                            ;   in Loop: Header=BB386_13 Depth=1
	s_delay_alu instid0(SALU_CYCLE_1)
	s_or_b32 exec_lo, exec_lo, s21
.LBB386_408:                            ;   in Loop: Header=BB386_13 Depth=1
	s_delay_alu instid0(SALU_CYCLE_1) | instskip(NEXT) | instid1(VALU_DEP_1)
	s_or_b32 exec_lo, exec_lo, s20
	v_mul_f32_e32 v28, v131, v28
	s_delay_alu instid0(VALU_DEP_1) | instskip(NEXT) | instid1(VALU_DEP_1)
	v_and_b32_e32 v42, 0x7f800000, v28
	v_cmp_ne_u32_e64 s2, 0x7f800000, v42
                                        ; implicit-def: $vgpr42
	s_delay_alu instid0(VALU_DEP_1) | instskip(NEXT) | instid1(SALU_CYCLE_1)
	s_and_saveexec_b32 s20, s2
	s_xor_b32 s2, exec_lo, s20
; %bb.409:                              ;   in Loop: Header=BB386_13 Depth=1
	v_bfe_u32 v42, v28, 16, 1
	s_delay_alu instid0(VALU_DEP_1)
	v_add3_u32 v42, v28, v42, 0x7fff
                                        ; implicit-def: $vgpr28
; %bb.410:                              ;   in Loop: Header=BB386_13 Depth=1
	s_and_not1_saveexec_b32 s20, s2
; %bb.411:                              ;   in Loop: Header=BB386_13 Depth=1
	v_and_b32_e32 v42, 0xffff, v28
	v_or_b32_e32 v45, 0x10000, v28
	s_delay_alu instid0(VALU_DEP_2) | instskip(NEXT) | instid1(VALU_DEP_1)
	v_cmp_eq_u32_e64 s2, 0, v42
	v_cndmask_b32_e64 v42, v45, v28, s2
; %bb.412:                              ;   in Loop: Header=BB386_13 Depth=1
	s_or_b32 exec_lo, exec_lo, s20
	v_lshrrev_b16 v45, 8, v44
	v_mov_b32_e32 v28, 0
	s_mov_b32 s20, exec_lo
	s_delay_alu instid0(VALU_DEP_2)
	v_cmpx_ne_u16_e32 0, v45
	s_cbranch_execz .LBB386_420
; %bb.413:                              ;   in Loop: Header=BB386_13 Depth=1
	v_bfrev_b32_e32 v28, 1
	s_mov_b32 s21, exec_lo
	v_cmpx_ne_u16_e32 0x80, v45
	s_cbranch_execz .LBB386_419
; %bb.414:                              ;   in Loop: Header=BB386_13 Depth=1
	v_and_b32_e32 v45, 0xffff, v45
	v_mov_b32_e32 v28, 0x7f800001
	s_mov_b32 s22, exec_lo
	s_delay_alu instid0(VALU_DEP_2) | instskip(NEXT) | instid1(VALU_DEP_1)
	v_and_b32_e32 v46, 0x7f, v45
	v_cmpx_ne_u32_e32 0x7f, v46
	s_cbranch_execz .LBB386_418
; %bb.415:                              ;   in Loop: Header=BB386_13 Depth=1
	v_and_b32_e32 v28, 7, v45
	v_lshrrev_b32_e32 v45, 3, v46
	s_mov_b32 s23, exec_lo
	v_cmpx_gt_u32_e32 8, v46
; %bb.416:                              ;   in Loop: Header=BB386_13 Depth=1
	s_delay_alu instid0(VALU_DEP_3) | instskip(NEXT) | instid1(VALU_DEP_1)
	v_clz_i32_u32_e32 v45, v28
	v_min_u32_e32 v45, 32, v45
	s_delay_alu instid0(VALU_DEP_1) | instskip(SKIP_1) | instid1(VALU_DEP_2)
	v_subrev_nc_u32_e32 v46, 28, v45
	v_sub_nc_u32_e32 v45, 29, v45
	v_lshlrev_b64 v[46:47], v46, v[28:29]
	s_delay_alu instid0(VALU_DEP_1)
	v_and_b32_e32 v28, 7, v46
; %bb.417:                              ;   in Loop: Header=BB386_13 Depth=1
	s_or_b32 exec_lo, exec_lo, s23
	v_lshlrev_b32_e32 v44, 16, v44
	s_delay_alu instid0(VALU_DEP_2) | instskip(SKIP_1) | instid1(VALU_DEP_3)
	v_lshlrev_b32_e32 v28, 20, v28
	v_lshl_add_u32 v45, v45, 23, 0x3c000000
	v_and_b32_e32 v44, 0x80000000, v44
	s_delay_alu instid0(VALU_DEP_1)
	v_or3_b32 v28, v28, v44, v45
.LBB386_418:                            ;   in Loop: Header=BB386_13 Depth=1
	s_or_b32 exec_lo, exec_lo, s22
.LBB386_419:                            ;   in Loop: Header=BB386_13 Depth=1
	s_delay_alu instid0(SALU_CYCLE_1)
	s_or_b32 exec_lo, exec_lo, s21
.LBB386_420:                            ;   in Loop: Header=BB386_13 Depth=1
	s_delay_alu instid0(SALU_CYCLE_1) | instskip(NEXT) | instid1(VALU_DEP_1)
	s_or_b32 exec_lo, exec_lo, s20
	v_mul_f32_e32 v28, v131, v28
                                        ; implicit-def: $vgpr45
	s_delay_alu instid0(VALU_DEP_1) | instskip(NEXT) | instid1(VALU_DEP_1)
	v_and_b32_e32 v44, 0x7f800000, v28
	v_cmp_ne_u32_e64 s2, 0x7f800000, v44
	s_delay_alu instid0(VALU_DEP_1) | instskip(NEXT) | instid1(SALU_CYCLE_1)
	s_and_saveexec_b32 s20, s2
	s_xor_b32 s2, exec_lo, s20
; %bb.421:                              ;   in Loop: Header=BB386_13 Depth=1
	v_bfe_u32 v44, v28, 16, 1
	s_delay_alu instid0(VALU_DEP_1)
	v_add3_u32 v45, v28, v44, 0x7fff
                                        ; implicit-def: $vgpr28
; %bb.422:                              ;   in Loop: Header=BB386_13 Depth=1
	s_and_not1_saveexec_b32 s20, s2
; %bb.423:                              ;   in Loop: Header=BB386_13 Depth=1
	v_and_b32_e32 v44, 0xffff, v28
	v_or_b32_e32 v45, 0x10000, v28
	s_delay_alu instid0(VALU_DEP_2) | instskip(NEXT) | instid1(VALU_DEP_1)
	v_cmp_eq_u32_e64 s2, 0, v44
	v_cndmask_b32_e64 v45, v45, v28, s2
; %bb.424:                              ;   in Loop: Header=BB386_13 Depth=1
	s_or_b32 exec_lo, exec_lo, s20
	flat_load_u16 v28, v[80:81] offset:1032
	s_mov_b32 s20, exec_lo
	s_waitcnt vmcnt(0) lgkmcnt(0)
	v_and_b32_e32 v44, 0xff, v28
	v_and_b32_e32 v46, 0xffff, v28
	v_mov_b32_e32 v28, 0
	s_delay_alu instid0(VALU_DEP_3)
	v_cmpx_ne_u16_e32 0, v44
	s_cbranch_execz .LBB386_432
; %bb.425:                              ;   in Loop: Header=BB386_13 Depth=1
	s_delay_alu instid0(VALU_DEP_3) | instskip(NEXT) | instid1(VALU_DEP_1)
	v_and_b32_e32 v28, 0xff, v46
	v_cmp_ne_u16_e64 s2, 0x80, v28
	v_bfrev_b32_e32 v28, 1
	s_delay_alu instid0(VALU_DEP_2)
	s_and_saveexec_b32 s21, s2
	s_cbranch_execz .LBB386_431
; %bb.426:                              ;   in Loop: Header=BB386_13 Depth=1
	v_and_b32_e32 v47, 0x7f, v46
	v_mov_b32_e32 v28, 0x7f800001
	s_mov_b32 s22, exec_lo
	s_delay_alu instid0(VALU_DEP_2)
	v_cmpx_ne_u32_e32 0x7f, v47
	s_cbranch_execz .LBB386_430
; %bb.427:                              ;   in Loop: Header=BB386_13 Depth=1
	v_and_b32_e32 v28, 7, v46
	v_lshrrev_b32_e32 v44, 3, v47
	s_mov_b32 s23, exec_lo
	v_cmpx_gt_u32_e32 8, v47
; %bb.428:                              ;   in Loop: Header=BB386_13 Depth=1
	s_delay_alu instid0(VALU_DEP_3) | instskip(NEXT) | instid1(VALU_DEP_1)
	v_clz_i32_u32_e32 v44, v28
	v_min_u32_e32 v44, 32, v44
	s_delay_alu instid0(VALU_DEP_1) | instskip(SKIP_1) | instid1(VALU_DEP_2)
	v_subrev_nc_u32_e32 v47, 28, v44
	v_sub_nc_u32_e32 v44, 29, v44
	v_lshlrev_b64 v[56:57], v47, v[28:29]
	s_delay_alu instid0(VALU_DEP_1)
	v_and_b32_e32 v28, 7, v56
; %bb.429:                              ;   in Loop: Header=BB386_13 Depth=1
	s_or_b32 exec_lo, exec_lo, s23
	v_lshlrev_b32_e32 v47, 24, v46
	s_delay_alu instid0(VALU_DEP_2) | instskip(SKIP_1) | instid1(VALU_DEP_3)
	v_lshlrev_b32_e32 v28, 20, v28
	v_lshl_add_u32 v44, v44, 23, 0x3c000000
	v_and_b32_e32 v47, 0x80000000, v47
	s_delay_alu instid0(VALU_DEP_1)
	v_or3_b32 v28, v28, v47, v44
.LBB386_430:                            ;   in Loop: Header=BB386_13 Depth=1
	s_or_b32 exec_lo, exec_lo, s22
.LBB386_431:                            ;   in Loop: Header=BB386_13 Depth=1
	s_delay_alu instid0(SALU_CYCLE_1)
	s_or_b32 exec_lo, exec_lo, s21
.LBB386_432:                            ;   in Loop: Header=BB386_13 Depth=1
	s_delay_alu instid0(SALU_CYCLE_1) | instskip(NEXT) | instid1(VALU_DEP_1)
	s_or_b32 exec_lo, exec_lo, s20
	v_mul_f32_e32 v28, v131, v28
	s_delay_alu instid0(VALU_DEP_1) | instskip(NEXT) | instid1(VALU_DEP_1)
	v_and_b32_e32 v44, 0x7f800000, v28
	v_cmp_ne_u32_e64 s2, 0x7f800000, v44
                                        ; implicit-def: $vgpr44
	s_delay_alu instid0(VALU_DEP_1) | instskip(NEXT) | instid1(SALU_CYCLE_1)
	s_and_saveexec_b32 s20, s2
	s_xor_b32 s2, exec_lo, s20
; %bb.433:                              ;   in Loop: Header=BB386_13 Depth=1
	v_bfe_u32 v44, v28, 16, 1
	s_delay_alu instid0(VALU_DEP_1)
	v_add3_u32 v44, v28, v44, 0x7fff
                                        ; implicit-def: $vgpr28
; %bb.434:                              ;   in Loop: Header=BB386_13 Depth=1
	s_and_not1_saveexec_b32 s20, s2
; %bb.435:                              ;   in Loop: Header=BB386_13 Depth=1
	v_and_b32_e32 v44, 0xffff, v28
	v_or_b32_e32 v47, 0x10000, v28
	s_delay_alu instid0(VALU_DEP_2) | instskip(NEXT) | instid1(VALU_DEP_1)
	v_cmp_eq_u32_e64 s2, 0, v44
	v_cndmask_b32_e64 v44, v47, v28, s2
; %bb.436:                              ;   in Loop: Header=BB386_13 Depth=1
	s_or_b32 exec_lo, exec_lo, s20
	v_lshrrev_b16 v47, 8, v46
	v_mov_b32_e32 v28, 0
	s_mov_b32 s20, exec_lo
	s_delay_alu instid0(VALU_DEP_2)
	v_cmpx_ne_u16_e32 0, v47
	s_cbranch_execz .LBB386_444
; %bb.437:                              ;   in Loop: Header=BB386_13 Depth=1
	v_bfrev_b32_e32 v28, 1
	s_mov_b32 s21, exec_lo
	v_cmpx_ne_u16_e32 0x80, v47
	s_cbranch_execz .LBB386_443
; %bb.438:                              ;   in Loop: Header=BB386_13 Depth=1
	v_and_b32_e32 v47, 0xffff, v47
	v_mov_b32_e32 v28, 0x7f800001
	s_mov_b32 s22, exec_lo
	s_delay_alu instid0(VALU_DEP_2) | instskip(NEXT) | instid1(VALU_DEP_1)
	v_and_b32_e32 v56, 0x7f, v47
	v_cmpx_ne_u32_e32 0x7f, v56
	s_cbranch_execz .LBB386_442
; %bb.439:                              ;   in Loop: Header=BB386_13 Depth=1
	v_and_b32_e32 v28, 7, v47
	v_lshrrev_b32_e32 v47, 3, v56
	s_mov_b32 s23, exec_lo
	v_cmpx_gt_u32_e32 8, v56
; %bb.440:                              ;   in Loop: Header=BB386_13 Depth=1
	s_delay_alu instid0(VALU_DEP_3) | instskip(NEXT) | instid1(VALU_DEP_1)
	v_clz_i32_u32_e32 v47, v28
	v_min_u32_e32 v47, 32, v47
	s_delay_alu instid0(VALU_DEP_1) | instskip(SKIP_1) | instid1(VALU_DEP_2)
	v_subrev_nc_u32_e32 v56, 28, v47
	v_sub_nc_u32_e32 v47, 29, v47
	v_lshlrev_b64 v[56:57], v56, v[28:29]
	s_delay_alu instid0(VALU_DEP_1)
	v_and_b32_e32 v28, 7, v56
; %bb.441:                              ;   in Loop: Header=BB386_13 Depth=1
	s_or_b32 exec_lo, exec_lo, s23
	v_lshlrev_b32_e32 v46, 16, v46
	s_delay_alu instid0(VALU_DEP_2) | instskip(SKIP_1) | instid1(VALU_DEP_3)
	v_lshlrev_b32_e32 v28, 20, v28
	v_lshl_add_u32 v47, v47, 23, 0x3c000000
	v_and_b32_e32 v46, 0x80000000, v46
	s_delay_alu instid0(VALU_DEP_1)
	v_or3_b32 v28, v28, v46, v47
.LBB386_442:                            ;   in Loop: Header=BB386_13 Depth=1
	s_or_b32 exec_lo, exec_lo, s22
.LBB386_443:                            ;   in Loop: Header=BB386_13 Depth=1
	s_delay_alu instid0(SALU_CYCLE_1)
	s_or_b32 exec_lo, exec_lo, s21
.LBB386_444:                            ;   in Loop: Header=BB386_13 Depth=1
	s_delay_alu instid0(SALU_CYCLE_1) | instskip(NEXT) | instid1(VALU_DEP_1)
	s_or_b32 exec_lo, exec_lo, s20
	v_mul_f32_e32 v28, v131, v28
                                        ; implicit-def: $vgpr47
	s_delay_alu instid0(VALU_DEP_1) | instskip(NEXT) | instid1(VALU_DEP_1)
	v_and_b32_e32 v46, 0x7f800000, v28
	v_cmp_ne_u32_e64 s2, 0x7f800000, v46
	s_delay_alu instid0(VALU_DEP_1) | instskip(NEXT) | instid1(SALU_CYCLE_1)
	s_and_saveexec_b32 s20, s2
	s_xor_b32 s2, exec_lo, s20
; %bb.445:                              ;   in Loop: Header=BB386_13 Depth=1
	v_bfe_u32 v46, v28, 16, 1
	s_delay_alu instid0(VALU_DEP_1)
	v_add3_u32 v47, v28, v46, 0x7fff
                                        ; implicit-def: $vgpr28
; %bb.446:                              ;   in Loop: Header=BB386_13 Depth=1
	s_and_not1_saveexec_b32 s20, s2
; %bb.447:                              ;   in Loop: Header=BB386_13 Depth=1
	v_and_b32_e32 v46, 0xffff, v28
	v_or_b32_e32 v47, 0x10000, v28
	s_delay_alu instid0(VALU_DEP_2) | instskip(NEXT) | instid1(VALU_DEP_1)
	v_cmp_eq_u32_e64 s2, 0, v46
	v_cndmask_b32_e64 v47, v47, v28, s2
; %bb.448:                              ;   in Loop: Header=BB386_13 Depth=1
	s_or_b32 exec_lo, exec_lo, s20
	flat_load_u16 v28, v[80:81] offset:1152
	s_mov_b32 s20, exec_lo
	s_waitcnt vmcnt(0) lgkmcnt(0)
	v_and_b32_e32 v46, 0xff, v28
	v_and_b32_e32 v56, 0xffff, v28
	v_mov_b32_e32 v28, 0
	s_delay_alu instid0(VALU_DEP_3)
	v_cmpx_ne_u16_e32 0, v46
	s_cbranch_execz .LBB386_456
; %bb.449:                              ;   in Loop: Header=BB386_13 Depth=1
	s_delay_alu instid0(VALU_DEP_3) | instskip(NEXT) | instid1(VALU_DEP_1)
	v_and_b32_e32 v28, 0xff, v56
	v_cmp_ne_u16_e64 s2, 0x80, v28
	v_bfrev_b32_e32 v28, 1
	s_delay_alu instid0(VALU_DEP_2)
	s_and_saveexec_b32 s21, s2
	s_cbranch_execz .LBB386_455
; %bb.450:                              ;   in Loop: Header=BB386_13 Depth=1
	v_and_b32_e32 v57, 0x7f, v56
	v_mov_b32_e32 v28, 0x7f800001
	s_mov_b32 s22, exec_lo
	s_delay_alu instid0(VALU_DEP_2)
	v_cmpx_ne_u32_e32 0x7f, v57
	s_cbranch_execz .LBB386_454
; %bb.451:                              ;   in Loop: Header=BB386_13 Depth=1
	v_and_b32_e32 v28, 7, v56
	v_lshrrev_b32_e32 v46, 3, v57
	s_mov_b32 s23, exec_lo
	v_cmpx_gt_u32_e32 8, v57
; %bb.452:                              ;   in Loop: Header=BB386_13 Depth=1
	s_delay_alu instid0(VALU_DEP_3) | instskip(NEXT) | instid1(VALU_DEP_1)
	v_clz_i32_u32_e32 v46, v28
	v_min_u32_e32 v46, 32, v46
	s_delay_alu instid0(VALU_DEP_1) | instskip(SKIP_1) | instid1(VALU_DEP_2)
	v_subrev_nc_u32_e32 v57, 28, v46
	v_sub_nc_u32_e32 v46, 29, v46
	v_lshlrev_b64 v[57:58], v57, v[28:29]
	s_delay_alu instid0(VALU_DEP_1)
	v_and_b32_e32 v28, 7, v57
; %bb.453:                              ;   in Loop: Header=BB386_13 Depth=1
	s_or_b32 exec_lo, exec_lo, s23
	v_lshlrev_b32_e32 v57, 24, v56
	s_delay_alu instid0(VALU_DEP_2) | instskip(SKIP_1) | instid1(VALU_DEP_3)
	v_lshlrev_b32_e32 v28, 20, v28
	v_lshl_add_u32 v46, v46, 23, 0x3c000000
	v_and_b32_e32 v57, 0x80000000, v57
	s_delay_alu instid0(VALU_DEP_1)
	v_or3_b32 v28, v28, v57, v46
.LBB386_454:                            ;   in Loop: Header=BB386_13 Depth=1
	s_or_b32 exec_lo, exec_lo, s22
.LBB386_455:                            ;   in Loop: Header=BB386_13 Depth=1
	s_delay_alu instid0(SALU_CYCLE_1)
	s_or_b32 exec_lo, exec_lo, s21
.LBB386_456:                            ;   in Loop: Header=BB386_13 Depth=1
	s_delay_alu instid0(SALU_CYCLE_1) | instskip(NEXT) | instid1(VALU_DEP_1)
	s_or_b32 exec_lo, exec_lo, s20
	v_mul_f32_e32 v28, v131, v28
	s_delay_alu instid0(VALU_DEP_1) | instskip(NEXT) | instid1(VALU_DEP_1)
	v_and_b32_e32 v46, 0x7f800000, v28
	v_cmp_ne_u32_e64 s2, 0x7f800000, v46
                                        ; implicit-def: $vgpr46
	s_delay_alu instid0(VALU_DEP_1) | instskip(NEXT) | instid1(SALU_CYCLE_1)
	s_and_saveexec_b32 s20, s2
	s_xor_b32 s2, exec_lo, s20
; %bb.457:                              ;   in Loop: Header=BB386_13 Depth=1
	v_bfe_u32 v46, v28, 16, 1
	s_delay_alu instid0(VALU_DEP_1)
	v_add3_u32 v46, v28, v46, 0x7fff
                                        ; implicit-def: $vgpr28
; %bb.458:                              ;   in Loop: Header=BB386_13 Depth=1
	s_and_not1_saveexec_b32 s20, s2
; %bb.459:                              ;   in Loop: Header=BB386_13 Depth=1
	v_and_b32_e32 v46, 0xffff, v28
	v_or_b32_e32 v57, 0x10000, v28
	s_delay_alu instid0(VALU_DEP_2) | instskip(NEXT) | instid1(VALU_DEP_1)
	v_cmp_eq_u32_e64 s2, 0, v46
	v_cndmask_b32_e64 v46, v57, v28, s2
; %bb.460:                              ;   in Loop: Header=BB386_13 Depth=1
	s_or_b32 exec_lo, exec_lo, s20
	v_lshrrev_b16 v57, 8, v56
	v_mov_b32_e32 v28, 0
	s_mov_b32 s20, exec_lo
	s_delay_alu instid0(VALU_DEP_2)
	v_cmpx_ne_u16_e32 0, v57
	s_cbranch_execz .LBB386_468
; %bb.461:                              ;   in Loop: Header=BB386_13 Depth=1
	v_bfrev_b32_e32 v28, 1
	s_mov_b32 s21, exec_lo
	v_cmpx_ne_u16_e32 0x80, v57
	s_cbranch_execz .LBB386_467
; %bb.462:                              ;   in Loop: Header=BB386_13 Depth=1
	v_and_b32_e32 v57, 0xffff, v57
	v_mov_b32_e32 v28, 0x7f800001
	s_mov_b32 s22, exec_lo
	s_delay_alu instid0(VALU_DEP_2) | instskip(NEXT) | instid1(VALU_DEP_1)
	v_and_b32_e32 v58, 0x7f, v57
	v_cmpx_ne_u32_e32 0x7f, v58
	s_cbranch_execz .LBB386_466
; %bb.463:                              ;   in Loop: Header=BB386_13 Depth=1
	v_and_b32_e32 v28, 7, v57
	v_lshrrev_b32_e32 v57, 3, v58
	s_mov_b32 s23, exec_lo
	v_cmpx_gt_u32_e32 8, v58
; %bb.464:                              ;   in Loop: Header=BB386_13 Depth=1
	s_delay_alu instid0(VALU_DEP_3) | instskip(NEXT) | instid1(VALU_DEP_1)
	v_clz_i32_u32_e32 v57, v28
	v_min_u32_e32 v57, 32, v57
	s_delay_alu instid0(VALU_DEP_1) | instskip(SKIP_1) | instid1(VALU_DEP_2)
	v_subrev_nc_u32_e32 v58, 28, v57
	v_sub_nc_u32_e32 v57, 29, v57
	v_lshlrev_b64 v[58:59], v58, v[28:29]
	s_delay_alu instid0(VALU_DEP_1)
	v_and_b32_e32 v28, 7, v58
; %bb.465:                              ;   in Loop: Header=BB386_13 Depth=1
	s_or_b32 exec_lo, exec_lo, s23
	v_lshlrev_b32_e32 v56, 16, v56
	s_delay_alu instid0(VALU_DEP_2) | instskip(SKIP_1) | instid1(VALU_DEP_3)
	v_lshlrev_b32_e32 v28, 20, v28
	v_lshl_add_u32 v57, v57, 23, 0x3c000000
	v_and_b32_e32 v56, 0x80000000, v56
	s_delay_alu instid0(VALU_DEP_1)
	v_or3_b32 v28, v28, v56, v57
.LBB386_466:                            ;   in Loop: Header=BB386_13 Depth=1
	s_or_b32 exec_lo, exec_lo, s22
.LBB386_467:                            ;   in Loop: Header=BB386_13 Depth=1
	s_delay_alu instid0(SALU_CYCLE_1)
	s_or_b32 exec_lo, exec_lo, s21
.LBB386_468:                            ;   in Loop: Header=BB386_13 Depth=1
	s_delay_alu instid0(SALU_CYCLE_1) | instskip(NEXT) | instid1(VALU_DEP_1)
	s_or_b32 exec_lo, exec_lo, s20
	v_mul_f32_e32 v28, v131, v28
                                        ; implicit-def: $vgpr57
	s_delay_alu instid0(VALU_DEP_1) | instskip(NEXT) | instid1(VALU_DEP_1)
	v_and_b32_e32 v56, 0x7f800000, v28
	v_cmp_ne_u32_e64 s2, 0x7f800000, v56
	s_delay_alu instid0(VALU_DEP_1) | instskip(NEXT) | instid1(SALU_CYCLE_1)
	s_and_saveexec_b32 s20, s2
	s_xor_b32 s2, exec_lo, s20
; %bb.469:                              ;   in Loop: Header=BB386_13 Depth=1
	v_bfe_u32 v56, v28, 16, 1
	s_delay_alu instid0(VALU_DEP_1)
	v_add3_u32 v57, v28, v56, 0x7fff
                                        ; implicit-def: $vgpr28
; %bb.470:                              ;   in Loop: Header=BB386_13 Depth=1
	s_and_not1_saveexec_b32 s20, s2
; %bb.471:                              ;   in Loop: Header=BB386_13 Depth=1
	v_and_b32_e32 v56, 0xffff, v28
	v_or_b32_e32 v57, 0x10000, v28
	s_delay_alu instid0(VALU_DEP_2) | instskip(NEXT) | instid1(VALU_DEP_1)
	v_cmp_eq_u32_e64 s2, 0, v56
	v_cndmask_b32_e64 v57, v57, v28, s2
; %bb.472:                              ;   in Loop: Header=BB386_13 Depth=1
	s_or_b32 exec_lo, exec_lo, s20
	flat_load_u16 v28, v[80:81] offset:1160
	s_mov_b32 s20, exec_lo
	s_waitcnt vmcnt(0) lgkmcnt(0)
	v_and_b32_e32 v56, 0xff, v28
	v_and_b32_e32 v58, 0xffff, v28
	v_mov_b32_e32 v28, 0
	s_delay_alu instid0(VALU_DEP_3)
	v_cmpx_ne_u16_e32 0, v56
	s_cbranch_execz .LBB386_480
; %bb.473:                              ;   in Loop: Header=BB386_13 Depth=1
	s_delay_alu instid0(VALU_DEP_3) | instskip(NEXT) | instid1(VALU_DEP_1)
	v_and_b32_e32 v28, 0xff, v58
	v_cmp_ne_u16_e64 s2, 0x80, v28
	v_bfrev_b32_e32 v28, 1
	s_delay_alu instid0(VALU_DEP_2)
	s_and_saveexec_b32 s21, s2
	s_cbranch_execz .LBB386_479
; %bb.474:                              ;   in Loop: Header=BB386_13 Depth=1
	v_and_b32_e32 v59, 0x7f, v58
	v_mov_b32_e32 v28, 0x7f800001
	s_mov_b32 s22, exec_lo
	s_delay_alu instid0(VALU_DEP_2)
	v_cmpx_ne_u32_e32 0x7f, v59
	s_cbranch_execz .LBB386_478
; %bb.475:                              ;   in Loop: Header=BB386_13 Depth=1
	v_and_b32_e32 v28, 7, v58
	v_lshrrev_b32_e32 v56, 3, v59
	s_mov_b32 s23, exec_lo
	v_cmpx_gt_u32_e32 8, v59
; %bb.476:                              ;   in Loop: Header=BB386_13 Depth=1
	s_delay_alu instid0(VALU_DEP_3) | instskip(NEXT) | instid1(VALU_DEP_1)
	v_clz_i32_u32_e32 v56, v28
	v_min_u32_e32 v56, 32, v56
	s_delay_alu instid0(VALU_DEP_1) | instskip(SKIP_1) | instid1(VALU_DEP_2)
	v_subrev_nc_u32_e32 v59, 28, v56
	v_sub_nc_u32_e32 v56, 29, v56
	v_lshlrev_b64 v[59:60], v59, v[28:29]
	s_delay_alu instid0(VALU_DEP_1)
	v_and_b32_e32 v28, 7, v59
; %bb.477:                              ;   in Loop: Header=BB386_13 Depth=1
	s_or_b32 exec_lo, exec_lo, s23
	v_lshlrev_b32_e32 v59, 24, v58
	s_delay_alu instid0(VALU_DEP_2) | instskip(SKIP_1) | instid1(VALU_DEP_3)
	v_lshlrev_b32_e32 v28, 20, v28
	v_lshl_add_u32 v56, v56, 23, 0x3c000000
	v_and_b32_e32 v59, 0x80000000, v59
	s_delay_alu instid0(VALU_DEP_1)
	v_or3_b32 v28, v28, v59, v56
.LBB386_478:                            ;   in Loop: Header=BB386_13 Depth=1
	s_or_b32 exec_lo, exec_lo, s22
.LBB386_479:                            ;   in Loop: Header=BB386_13 Depth=1
	s_delay_alu instid0(SALU_CYCLE_1)
	s_or_b32 exec_lo, exec_lo, s21
.LBB386_480:                            ;   in Loop: Header=BB386_13 Depth=1
	s_delay_alu instid0(SALU_CYCLE_1) | instskip(NEXT) | instid1(VALU_DEP_1)
	s_or_b32 exec_lo, exec_lo, s20
	v_mul_f32_e32 v28, v131, v28
	s_delay_alu instid0(VALU_DEP_1) | instskip(NEXT) | instid1(VALU_DEP_1)
	v_and_b32_e32 v56, 0x7f800000, v28
	v_cmp_ne_u32_e64 s2, 0x7f800000, v56
                                        ; implicit-def: $vgpr56
	s_delay_alu instid0(VALU_DEP_1) | instskip(NEXT) | instid1(SALU_CYCLE_1)
	s_and_saveexec_b32 s20, s2
	s_xor_b32 s2, exec_lo, s20
; %bb.481:                              ;   in Loop: Header=BB386_13 Depth=1
	v_bfe_u32 v56, v28, 16, 1
	s_delay_alu instid0(VALU_DEP_1)
	v_add3_u32 v56, v28, v56, 0x7fff
                                        ; implicit-def: $vgpr28
; %bb.482:                              ;   in Loop: Header=BB386_13 Depth=1
	s_and_not1_saveexec_b32 s20, s2
; %bb.483:                              ;   in Loop: Header=BB386_13 Depth=1
	v_and_b32_e32 v56, 0xffff, v28
	v_or_b32_e32 v59, 0x10000, v28
	s_delay_alu instid0(VALU_DEP_2) | instskip(NEXT) | instid1(VALU_DEP_1)
	v_cmp_eq_u32_e64 s2, 0, v56
	v_cndmask_b32_e64 v56, v59, v28, s2
; %bb.484:                              ;   in Loop: Header=BB386_13 Depth=1
	s_or_b32 exec_lo, exec_lo, s20
	v_lshrrev_b16 v59, 8, v58
	v_mov_b32_e32 v28, 0
	s_mov_b32 s20, exec_lo
	s_delay_alu instid0(VALU_DEP_2)
	v_cmpx_ne_u16_e32 0, v59
	s_cbranch_execz .LBB386_492
; %bb.485:                              ;   in Loop: Header=BB386_13 Depth=1
	v_bfrev_b32_e32 v28, 1
	s_mov_b32 s21, exec_lo
	v_cmpx_ne_u16_e32 0x80, v59
	s_cbranch_execz .LBB386_491
; %bb.486:                              ;   in Loop: Header=BB386_13 Depth=1
	v_and_b32_e32 v59, 0xffff, v59
	v_mov_b32_e32 v28, 0x7f800001
	s_mov_b32 s22, exec_lo
	s_delay_alu instid0(VALU_DEP_2) | instskip(NEXT) | instid1(VALU_DEP_1)
	v_and_b32_e32 v60, 0x7f, v59
	v_cmpx_ne_u32_e32 0x7f, v60
	s_cbranch_execz .LBB386_490
; %bb.487:                              ;   in Loop: Header=BB386_13 Depth=1
	v_and_b32_e32 v28, 7, v59
	v_lshrrev_b32_e32 v59, 3, v60
	s_mov_b32 s23, exec_lo
	v_cmpx_gt_u32_e32 8, v60
; %bb.488:                              ;   in Loop: Header=BB386_13 Depth=1
	s_delay_alu instid0(VALU_DEP_3) | instskip(NEXT) | instid1(VALU_DEP_1)
	v_clz_i32_u32_e32 v59, v28
	v_min_u32_e32 v59, 32, v59
	s_delay_alu instid0(VALU_DEP_1) | instskip(SKIP_1) | instid1(VALU_DEP_2)
	v_subrev_nc_u32_e32 v60, 28, v59
	v_sub_nc_u32_e32 v59, 29, v59
	v_lshlrev_b64 v[60:61], v60, v[28:29]
	s_delay_alu instid0(VALU_DEP_1)
	v_and_b32_e32 v28, 7, v60
; %bb.489:                              ;   in Loop: Header=BB386_13 Depth=1
	s_or_b32 exec_lo, exec_lo, s23
	v_lshlrev_b32_e32 v58, 16, v58
	s_delay_alu instid0(VALU_DEP_2) | instskip(SKIP_1) | instid1(VALU_DEP_3)
	v_lshlrev_b32_e32 v28, 20, v28
	v_lshl_add_u32 v59, v59, 23, 0x3c000000
	v_and_b32_e32 v58, 0x80000000, v58
	s_delay_alu instid0(VALU_DEP_1)
	v_or3_b32 v28, v28, v58, v59
.LBB386_490:                            ;   in Loop: Header=BB386_13 Depth=1
	s_or_b32 exec_lo, exec_lo, s22
.LBB386_491:                            ;   in Loop: Header=BB386_13 Depth=1
	s_delay_alu instid0(SALU_CYCLE_1)
	s_or_b32 exec_lo, exec_lo, s21
.LBB386_492:                            ;   in Loop: Header=BB386_13 Depth=1
	s_delay_alu instid0(SALU_CYCLE_1) | instskip(NEXT) | instid1(VALU_DEP_1)
	s_or_b32 exec_lo, exec_lo, s20
	v_mul_f32_e32 v28, v131, v28
                                        ; implicit-def: $vgpr59
	s_delay_alu instid0(VALU_DEP_1) | instskip(NEXT) | instid1(VALU_DEP_1)
	v_and_b32_e32 v58, 0x7f800000, v28
	v_cmp_ne_u32_e64 s2, 0x7f800000, v58
	s_delay_alu instid0(VALU_DEP_1) | instskip(NEXT) | instid1(SALU_CYCLE_1)
	s_and_saveexec_b32 s20, s2
	s_xor_b32 s2, exec_lo, s20
; %bb.493:                              ;   in Loop: Header=BB386_13 Depth=1
	v_bfe_u32 v58, v28, 16, 1
	s_delay_alu instid0(VALU_DEP_1)
	v_add3_u32 v59, v28, v58, 0x7fff
                                        ; implicit-def: $vgpr28
; %bb.494:                              ;   in Loop: Header=BB386_13 Depth=1
	s_and_not1_saveexec_b32 s20, s2
; %bb.495:                              ;   in Loop: Header=BB386_13 Depth=1
	v_and_b32_e32 v58, 0xffff, v28
	v_or_b32_e32 v59, 0x10000, v28
	s_delay_alu instid0(VALU_DEP_2) | instskip(NEXT) | instid1(VALU_DEP_1)
	v_cmp_eq_u32_e64 s2, 0, v58
	v_cndmask_b32_e64 v59, v59, v28, s2
; %bb.496:                              ;   in Loop: Header=BB386_13 Depth=1
	s_or_b32 exec_lo, exec_lo, s20
	flat_load_u16 v28, v[80:81] offset:1280
	s_mov_b32 s20, exec_lo
	s_waitcnt vmcnt(0) lgkmcnt(0)
	v_and_b32_e32 v58, 0xff, v28
	v_and_b32_e32 v60, 0xffff, v28
	v_mov_b32_e32 v28, 0
	s_delay_alu instid0(VALU_DEP_3)
	v_cmpx_ne_u16_e32 0, v58
	s_cbranch_execz .LBB386_504
; %bb.497:                              ;   in Loop: Header=BB386_13 Depth=1
	s_delay_alu instid0(VALU_DEP_3) | instskip(NEXT) | instid1(VALU_DEP_1)
	v_and_b32_e32 v28, 0xff, v60
	v_cmp_ne_u16_e64 s2, 0x80, v28
	v_bfrev_b32_e32 v28, 1
	s_delay_alu instid0(VALU_DEP_2)
	s_and_saveexec_b32 s21, s2
	s_cbranch_execz .LBB386_503
; %bb.498:                              ;   in Loop: Header=BB386_13 Depth=1
	v_and_b32_e32 v61, 0x7f, v60
	v_mov_b32_e32 v28, 0x7f800001
	s_mov_b32 s22, exec_lo
	s_delay_alu instid0(VALU_DEP_2)
	v_cmpx_ne_u32_e32 0x7f, v61
	s_cbranch_execz .LBB386_502
; %bb.499:                              ;   in Loop: Header=BB386_13 Depth=1
	v_and_b32_e32 v28, 7, v60
	v_lshrrev_b32_e32 v58, 3, v61
	s_mov_b32 s23, exec_lo
	v_cmpx_gt_u32_e32 8, v61
; %bb.500:                              ;   in Loop: Header=BB386_13 Depth=1
	s_delay_alu instid0(VALU_DEP_3) | instskip(NEXT) | instid1(VALU_DEP_1)
	v_clz_i32_u32_e32 v58, v28
	v_min_u32_e32 v58, 32, v58
	s_delay_alu instid0(VALU_DEP_1) | instskip(SKIP_1) | instid1(VALU_DEP_2)
	v_subrev_nc_u32_e32 v61, 28, v58
	v_sub_nc_u32_e32 v58, 29, v58
	v_lshlrev_b64 v[61:62], v61, v[28:29]
	s_delay_alu instid0(VALU_DEP_1)
	v_and_b32_e32 v28, 7, v61
; %bb.501:                              ;   in Loop: Header=BB386_13 Depth=1
	s_or_b32 exec_lo, exec_lo, s23
	v_lshlrev_b32_e32 v61, 24, v60
	s_delay_alu instid0(VALU_DEP_2) | instskip(SKIP_1) | instid1(VALU_DEP_3)
	v_lshlrev_b32_e32 v28, 20, v28
	v_lshl_add_u32 v58, v58, 23, 0x3c000000
	v_and_b32_e32 v61, 0x80000000, v61
	s_delay_alu instid0(VALU_DEP_1)
	v_or3_b32 v28, v28, v61, v58
.LBB386_502:                            ;   in Loop: Header=BB386_13 Depth=1
	s_or_b32 exec_lo, exec_lo, s22
.LBB386_503:                            ;   in Loop: Header=BB386_13 Depth=1
	s_delay_alu instid0(SALU_CYCLE_1)
	s_or_b32 exec_lo, exec_lo, s21
.LBB386_504:                            ;   in Loop: Header=BB386_13 Depth=1
	s_delay_alu instid0(SALU_CYCLE_1) | instskip(NEXT) | instid1(VALU_DEP_1)
	s_or_b32 exec_lo, exec_lo, s20
	v_mul_f32_e32 v28, v131, v28
	s_delay_alu instid0(VALU_DEP_1) | instskip(NEXT) | instid1(VALU_DEP_1)
	v_and_b32_e32 v58, 0x7f800000, v28
	v_cmp_ne_u32_e64 s2, 0x7f800000, v58
                                        ; implicit-def: $vgpr58
	s_delay_alu instid0(VALU_DEP_1) | instskip(NEXT) | instid1(SALU_CYCLE_1)
	s_and_saveexec_b32 s20, s2
	s_xor_b32 s2, exec_lo, s20
; %bb.505:                              ;   in Loop: Header=BB386_13 Depth=1
	v_bfe_u32 v58, v28, 16, 1
	s_delay_alu instid0(VALU_DEP_1)
	v_add3_u32 v58, v28, v58, 0x7fff
                                        ; implicit-def: $vgpr28
; %bb.506:                              ;   in Loop: Header=BB386_13 Depth=1
	s_and_not1_saveexec_b32 s20, s2
; %bb.507:                              ;   in Loop: Header=BB386_13 Depth=1
	v_and_b32_e32 v58, 0xffff, v28
	v_or_b32_e32 v61, 0x10000, v28
	s_delay_alu instid0(VALU_DEP_2) | instskip(NEXT) | instid1(VALU_DEP_1)
	v_cmp_eq_u32_e64 s2, 0, v58
	v_cndmask_b32_e64 v58, v61, v28, s2
; %bb.508:                              ;   in Loop: Header=BB386_13 Depth=1
	s_or_b32 exec_lo, exec_lo, s20
	v_lshrrev_b16 v61, 8, v60
	v_mov_b32_e32 v28, 0
	s_mov_b32 s20, exec_lo
	s_delay_alu instid0(VALU_DEP_2)
	v_cmpx_ne_u16_e32 0, v61
	s_cbranch_execz .LBB386_516
; %bb.509:                              ;   in Loop: Header=BB386_13 Depth=1
	v_bfrev_b32_e32 v28, 1
	s_mov_b32 s21, exec_lo
	v_cmpx_ne_u16_e32 0x80, v61
	s_cbranch_execz .LBB386_515
; %bb.510:                              ;   in Loop: Header=BB386_13 Depth=1
	v_and_b32_e32 v61, 0xffff, v61
	v_mov_b32_e32 v28, 0x7f800001
	s_mov_b32 s22, exec_lo
	s_delay_alu instid0(VALU_DEP_2) | instskip(NEXT) | instid1(VALU_DEP_1)
	v_and_b32_e32 v62, 0x7f, v61
	v_cmpx_ne_u32_e32 0x7f, v62
	s_cbranch_execz .LBB386_514
; %bb.511:                              ;   in Loop: Header=BB386_13 Depth=1
	v_and_b32_e32 v28, 7, v61
	v_lshrrev_b32_e32 v61, 3, v62
	s_mov_b32 s23, exec_lo
	v_cmpx_gt_u32_e32 8, v62
; %bb.512:                              ;   in Loop: Header=BB386_13 Depth=1
	s_delay_alu instid0(VALU_DEP_3) | instskip(NEXT) | instid1(VALU_DEP_1)
	v_clz_i32_u32_e32 v61, v28
	v_min_u32_e32 v61, 32, v61
	s_delay_alu instid0(VALU_DEP_1) | instskip(SKIP_1) | instid1(VALU_DEP_2)
	v_subrev_nc_u32_e32 v62, 28, v61
	v_sub_nc_u32_e32 v61, 29, v61
	v_lshlrev_b64 v[62:63], v62, v[28:29]
	s_delay_alu instid0(VALU_DEP_1)
	v_and_b32_e32 v28, 7, v62
; %bb.513:                              ;   in Loop: Header=BB386_13 Depth=1
	s_or_b32 exec_lo, exec_lo, s23
	v_lshlrev_b32_e32 v60, 16, v60
	s_delay_alu instid0(VALU_DEP_2) | instskip(SKIP_1) | instid1(VALU_DEP_3)
	v_lshlrev_b32_e32 v28, 20, v28
	v_lshl_add_u32 v61, v61, 23, 0x3c000000
	v_and_b32_e32 v60, 0x80000000, v60
	s_delay_alu instid0(VALU_DEP_1)
	v_or3_b32 v28, v28, v60, v61
.LBB386_514:                            ;   in Loop: Header=BB386_13 Depth=1
	s_or_b32 exec_lo, exec_lo, s22
.LBB386_515:                            ;   in Loop: Header=BB386_13 Depth=1
	s_delay_alu instid0(SALU_CYCLE_1)
	s_or_b32 exec_lo, exec_lo, s21
.LBB386_516:                            ;   in Loop: Header=BB386_13 Depth=1
	s_delay_alu instid0(SALU_CYCLE_1) | instskip(NEXT) | instid1(VALU_DEP_1)
	s_or_b32 exec_lo, exec_lo, s20
	v_mul_f32_e32 v28, v131, v28
                                        ; implicit-def: $vgpr61
	s_delay_alu instid0(VALU_DEP_1) | instskip(NEXT) | instid1(VALU_DEP_1)
	v_and_b32_e32 v60, 0x7f800000, v28
	v_cmp_ne_u32_e64 s2, 0x7f800000, v60
	s_delay_alu instid0(VALU_DEP_1) | instskip(NEXT) | instid1(SALU_CYCLE_1)
	s_and_saveexec_b32 s20, s2
	s_xor_b32 s2, exec_lo, s20
; %bb.517:                              ;   in Loop: Header=BB386_13 Depth=1
	v_bfe_u32 v60, v28, 16, 1
	s_delay_alu instid0(VALU_DEP_1)
	v_add3_u32 v61, v28, v60, 0x7fff
                                        ; implicit-def: $vgpr28
; %bb.518:                              ;   in Loop: Header=BB386_13 Depth=1
	s_and_not1_saveexec_b32 s20, s2
; %bb.519:                              ;   in Loop: Header=BB386_13 Depth=1
	v_and_b32_e32 v60, 0xffff, v28
	v_or_b32_e32 v61, 0x10000, v28
	s_delay_alu instid0(VALU_DEP_2) | instskip(NEXT) | instid1(VALU_DEP_1)
	v_cmp_eq_u32_e64 s2, 0, v60
	v_cndmask_b32_e64 v61, v61, v28, s2
; %bb.520:                              ;   in Loop: Header=BB386_13 Depth=1
	s_or_b32 exec_lo, exec_lo, s20
	flat_load_u16 v28, v[80:81] offset:1288
	s_mov_b32 s20, exec_lo
	s_waitcnt vmcnt(0) lgkmcnt(0)
	v_and_b32_e32 v60, 0xff, v28
	v_and_b32_e32 v62, 0xffff, v28
	v_mov_b32_e32 v28, 0
	s_delay_alu instid0(VALU_DEP_3)
	v_cmpx_ne_u16_e32 0, v60
	s_cbranch_execz .LBB386_528
; %bb.521:                              ;   in Loop: Header=BB386_13 Depth=1
	s_delay_alu instid0(VALU_DEP_3) | instskip(NEXT) | instid1(VALU_DEP_1)
	v_and_b32_e32 v28, 0xff, v62
	v_cmp_ne_u16_e64 s2, 0x80, v28
	v_bfrev_b32_e32 v28, 1
	s_delay_alu instid0(VALU_DEP_2)
	s_and_saveexec_b32 s21, s2
	s_cbranch_execz .LBB386_527
; %bb.522:                              ;   in Loop: Header=BB386_13 Depth=1
	v_and_b32_e32 v63, 0x7f, v62
	v_mov_b32_e32 v28, 0x7f800001
	s_mov_b32 s22, exec_lo
	s_delay_alu instid0(VALU_DEP_2)
	v_cmpx_ne_u32_e32 0x7f, v63
	s_cbranch_execz .LBB386_526
; %bb.523:                              ;   in Loop: Header=BB386_13 Depth=1
	v_and_b32_e32 v28, 7, v62
	v_lshrrev_b32_e32 v60, 3, v63
	s_mov_b32 s23, exec_lo
	v_cmpx_gt_u32_e32 8, v63
; %bb.524:                              ;   in Loop: Header=BB386_13 Depth=1
	s_delay_alu instid0(VALU_DEP_3) | instskip(NEXT) | instid1(VALU_DEP_1)
	v_clz_i32_u32_e32 v60, v28
	v_min_u32_e32 v60, 32, v60
	s_delay_alu instid0(VALU_DEP_1) | instskip(SKIP_1) | instid1(VALU_DEP_2)
	v_subrev_nc_u32_e32 v63, 28, v60
	v_sub_nc_u32_e32 v60, 29, v60
	v_lshlrev_b64 v[72:73], v63, v[28:29]
	s_delay_alu instid0(VALU_DEP_1)
	v_and_b32_e32 v28, 7, v72
; %bb.525:                              ;   in Loop: Header=BB386_13 Depth=1
	s_or_b32 exec_lo, exec_lo, s23
	v_lshlrev_b32_e32 v63, 24, v62
	s_delay_alu instid0(VALU_DEP_2) | instskip(SKIP_1) | instid1(VALU_DEP_3)
	v_lshlrev_b32_e32 v28, 20, v28
	v_lshl_add_u32 v60, v60, 23, 0x3c000000
	v_and_b32_e32 v63, 0x80000000, v63
	s_delay_alu instid0(VALU_DEP_1)
	v_or3_b32 v28, v28, v63, v60
.LBB386_526:                            ;   in Loop: Header=BB386_13 Depth=1
	s_or_b32 exec_lo, exec_lo, s22
.LBB386_527:                            ;   in Loop: Header=BB386_13 Depth=1
	s_delay_alu instid0(SALU_CYCLE_1)
	s_or_b32 exec_lo, exec_lo, s21
.LBB386_528:                            ;   in Loop: Header=BB386_13 Depth=1
	s_delay_alu instid0(SALU_CYCLE_1) | instskip(NEXT) | instid1(VALU_DEP_1)
	s_or_b32 exec_lo, exec_lo, s20
	v_mul_f32_e32 v28, v131, v28
	s_delay_alu instid0(VALU_DEP_1) | instskip(NEXT) | instid1(VALU_DEP_1)
	v_and_b32_e32 v60, 0x7f800000, v28
	v_cmp_ne_u32_e64 s2, 0x7f800000, v60
                                        ; implicit-def: $vgpr60
	s_delay_alu instid0(VALU_DEP_1) | instskip(NEXT) | instid1(SALU_CYCLE_1)
	s_and_saveexec_b32 s20, s2
	s_xor_b32 s2, exec_lo, s20
; %bb.529:                              ;   in Loop: Header=BB386_13 Depth=1
	v_bfe_u32 v60, v28, 16, 1
	s_delay_alu instid0(VALU_DEP_1)
	v_add3_u32 v60, v28, v60, 0x7fff
                                        ; implicit-def: $vgpr28
; %bb.530:                              ;   in Loop: Header=BB386_13 Depth=1
	s_and_not1_saveexec_b32 s20, s2
; %bb.531:                              ;   in Loop: Header=BB386_13 Depth=1
	v_and_b32_e32 v60, 0xffff, v28
	v_or_b32_e32 v63, 0x10000, v28
	s_delay_alu instid0(VALU_DEP_2) | instskip(NEXT) | instid1(VALU_DEP_1)
	v_cmp_eq_u32_e64 s2, 0, v60
	v_cndmask_b32_e64 v60, v63, v28, s2
; %bb.532:                              ;   in Loop: Header=BB386_13 Depth=1
	s_or_b32 exec_lo, exec_lo, s20
	v_lshrrev_b16 v63, 8, v62
	v_mov_b32_e32 v28, 0
	s_mov_b32 s20, exec_lo
	s_delay_alu instid0(VALU_DEP_2)
	v_cmpx_ne_u16_e32 0, v63
	s_cbranch_execz .LBB386_540
; %bb.533:                              ;   in Loop: Header=BB386_13 Depth=1
	v_bfrev_b32_e32 v28, 1
	s_mov_b32 s21, exec_lo
	v_cmpx_ne_u16_e32 0x80, v63
	s_cbranch_execz .LBB386_539
; %bb.534:                              ;   in Loop: Header=BB386_13 Depth=1
	v_and_b32_e32 v63, 0xffff, v63
	v_mov_b32_e32 v28, 0x7f800001
	s_mov_b32 s22, exec_lo
	s_delay_alu instid0(VALU_DEP_2) | instskip(NEXT) | instid1(VALU_DEP_1)
	v_and_b32_e32 v72, 0x7f, v63
	v_cmpx_ne_u32_e32 0x7f, v72
	s_cbranch_execz .LBB386_538
; %bb.535:                              ;   in Loop: Header=BB386_13 Depth=1
	v_and_b32_e32 v28, 7, v63
	v_lshrrev_b32_e32 v63, 3, v72
	s_mov_b32 s23, exec_lo
	v_cmpx_gt_u32_e32 8, v72
; %bb.536:                              ;   in Loop: Header=BB386_13 Depth=1
	s_delay_alu instid0(VALU_DEP_3) | instskip(NEXT) | instid1(VALU_DEP_1)
	v_clz_i32_u32_e32 v63, v28
	v_min_u32_e32 v63, 32, v63
	s_delay_alu instid0(VALU_DEP_1) | instskip(SKIP_1) | instid1(VALU_DEP_2)
	v_subrev_nc_u32_e32 v72, 28, v63
	v_sub_nc_u32_e32 v63, 29, v63
	v_lshlrev_b64 v[72:73], v72, v[28:29]
	s_delay_alu instid0(VALU_DEP_1)
	v_and_b32_e32 v28, 7, v72
; %bb.537:                              ;   in Loop: Header=BB386_13 Depth=1
	s_or_b32 exec_lo, exec_lo, s23
	v_lshlrev_b32_e32 v62, 16, v62
	s_delay_alu instid0(VALU_DEP_2) | instskip(SKIP_1) | instid1(VALU_DEP_3)
	v_lshlrev_b32_e32 v28, 20, v28
	v_lshl_add_u32 v63, v63, 23, 0x3c000000
	v_and_b32_e32 v62, 0x80000000, v62
	s_delay_alu instid0(VALU_DEP_1)
	v_or3_b32 v28, v28, v62, v63
.LBB386_538:                            ;   in Loop: Header=BB386_13 Depth=1
	s_or_b32 exec_lo, exec_lo, s22
.LBB386_539:                            ;   in Loop: Header=BB386_13 Depth=1
	s_delay_alu instid0(SALU_CYCLE_1)
	s_or_b32 exec_lo, exec_lo, s21
.LBB386_540:                            ;   in Loop: Header=BB386_13 Depth=1
	s_delay_alu instid0(SALU_CYCLE_1) | instskip(NEXT) | instid1(VALU_DEP_1)
	s_or_b32 exec_lo, exec_lo, s20
	v_mul_f32_e32 v28, v131, v28
	s_delay_alu instid0(VALU_DEP_1) | instskip(NEXT) | instid1(VALU_DEP_1)
	v_and_b32_e32 v62, 0x7f800000, v28
	v_cmp_ne_u32_e64 s2, 0x7f800000, v62
                                        ; implicit-def: $vgpr62
	s_delay_alu instid0(VALU_DEP_1) | instskip(NEXT) | instid1(SALU_CYCLE_1)
	s_and_saveexec_b32 s20, s2
	s_xor_b32 s2, exec_lo, s20
; %bb.541:                              ;   in Loop: Header=BB386_13 Depth=1
	v_bfe_u32 v62, v28, 16, 1
	s_delay_alu instid0(VALU_DEP_1)
	v_add3_u32 v62, v28, v62, 0x7fff
                                        ; implicit-def: $vgpr28
; %bb.542:                              ;   in Loop: Header=BB386_13 Depth=1
	s_and_not1_saveexec_b32 s20, s2
; %bb.543:                              ;   in Loop: Header=BB386_13 Depth=1
	v_and_b32_e32 v62, 0xffff, v28
	v_or_b32_e32 v63, 0x10000, v28
	s_delay_alu instid0(VALU_DEP_2) | instskip(NEXT) | instid1(VALU_DEP_1)
	v_cmp_eq_u32_e64 s2, 0, v62
	v_cndmask_b32_e64 v62, v63, v28, s2
; %bb.544:                              ;   in Loop: Header=BB386_13 Depth=1
	s_or_b32 exec_lo, exec_lo, s20
	flat_load_u16 v28, v[80:81] offset:1408
	s_mov_b32 s20, exec_lo
	s_waitcnt vmcnt(0) lgkmcnt(0)
	v_and_b32_e32 v72, 0xff, v28
	v_dual_mov_b32 v28, 0 :: v_dual_and_b32 v63, 0xffff, v28
	s_delay_alu instid0(VALU_DEP_2)
	v_cmpx_ne_u16_e32 0, v72
	s_cbranch_execz .LBB386_552
; %bb.545:                              ;   in Loop: Header=BB386_13 Depth=1
	s_delay_alu instid0(VALU_DEP_2) | instskip(NEXT) | instid1(VALU_DEP_1)
	v_and_b32_e32 v28, 0xff, v63
	v_cmp_ne_u16_e64 s2, 0x80, v28
	v_bfrev_b32_e32 v28, 1
	s_delay_alu instid0(VALU_DEP_2)
	s_and_saveexec_b32 s21, s2
	s_cbranch_execz .LBB386_551
; %bb.546:                              ;   in Loop: Header=BB386_13 Depth=1
	v_and_b32_e32 v73, 0x7f, v63
	v_mov_b32_e32 v28, 0x7f800001
	s_mov_b32 s22, exec_lo
	s_delay_alu instid0(VALU_DEP_2)
	v_cmpx_ne_u32_e32 0x7f, v73
	s_cbranch_execz .LBB386_550
; %bb.547:                              ;   in Loop: Header=BB386_13 Depth=1
	v_and_b32_e32 v28, 7, v63
	v_lshrrev_b32_e32 v72, 3, v73
	s_mov_b32 s23, exec_lo
	v_cmpx_gt_u32_e32 8, v73
; %bb.548:                              ;   in Loop: Header=BB386_13 Depth=1
	s_delay_alu instid0(VALU_DEP_3) | instskip(NEXT) | instid1(VALU_DEP_1)
	v_clz_i32_u32_e32 v72, v28
	v_min_u32_e32 v72, 32, v72
	s_delay_alu instid0(VALU_DEP_1) | instskip(SKIP_1) | instid1(VALU_DEP_2)
	v_subrev_nc_u32_e32 v73, 28, v72
	v_sub_nc_u32_e32 v72, 29, v72
	v_lshlrev_b64 v[73:74], v73, v[28:29]
	s_delay_alu instid0(VALU_DEP_1)
	v_and_b32_e32 v28, 7, v73
; %bb.549:                              ;   in Loop: Header=BB386_13 Depth=1
	s_or_b32 exec_lo, exec_lo, s23
	v_lshlrev_b32_e32 v73, 24, v63
	s_delay_alu instid0(VALU_DEP_2) | instskip(SKIP_1) | instid1(VALU_DEP_3)
	v_lshlrev_b32_e32 v28, 20, v28
	v_lshl_add_u32 v72, v72, 23, 0x3c000000
	v_and_b32_e32 v73, 0x80000000, v73
	s_delay_alu instid0(VALU_DEP_1)
	v_or3_b32 v28, v28, v73, v72
.LBB386_550:                            ;   in Loop: Header=BB386_13 Depth=1
	s_or_b32 exec_lo, exec_lo, s22
.LBB386_551:                            ;   in Loop: Header=BB386_13 Depth=1
	s_delay_alu instid0(SALU_CYCLE_1)
	s_or_b32 exec_lo, exec_lo, s21
.LBB386_552:                            ;   in Loop: Header=BB386_13 Depth=1
	s_delay_alu instid0(SALU_CYCLE_1) | instskip(NEXT) | instid1(VALU_DEP_1)
	s_or_b32 exec_lo, exec_lo, s20
	v_mul_f32_e32 v28, v131, v28
	s_delay_alu instid0(VALU_DEP_1) | instskip(NEXT) | instid1(VALU_DEP_1)
	v_and_b32_e32 v72, 0x7f800000, v28
	v_cmp_ne_u32_e64 s2, 0x7f800000, v72
                                        ; implicit-def: $vgpr72
	s_delay_alu instid0(VALU_DEP_1) | instskip(NEXT) | instid1(SALU_CYCLE_1)
	s_and_saveexec_b32 s20, s2
	s_xor_b32 s2, exec_lo, s20
; %bb.553:                              ;   in Loop: Header=BB386_13 Depth=1
	v_bfe_u32 v72, v28, 16, 1
	s_delay_alu instid0(VALU_DEP_1)
	v_add3_u32 v72, v28, v72, 0x7fff
                                        ; implicit-def: $vgpr28
; %bb.554:                              ;   in Loop: Header=BB386_13 Depth=1
	s_and_not1_saveexec_b32 s20, s2
; %bb.555:                              ;   in Loop: Header=BB386_13 Depth=1
	v_and_b32_e32 v72, 0xffff, v28
	v_or_b32_e32 v73, 0x10000, v28
	s_delay_alu instid0(VALU_DEP_2) | instskip(NEXT) | instid1(VALU_DEP_1)
	v_cmp_eq_u32_e64 s2, 0, v72
	v_cndmask_b32_e64 v72, v73, v28, s2
; %bb.556:                              ;   in Loop: Header=BB386_13 Depth=1
	s_or_b32 exec_lo, exec_lo, s20
	v_lshrrev_b16 v73, 8, v63
	v_mov_b32_e32 v28, 0
	s_mov_b32 s20, exec_lo
	s_delay_alu instid0(VALU_DEP_2)
	v_cmpx_ne_u16_e32 0, v73
	s_cbranch_execz .LBB386_564
; %bb.557:                              ;   in Loop: Header=BB386_13 Depth=1
	v_bfrev_b32_e32 v28, 1
	s_mov_b32 s21, exec_lo
	v_cmpx_ne_u16_e32 0x80, v73
	s_cbranch_execz .LBB386_563
; %bb.558:                              ;   in Loop: Header=BB386_13 Depth=1
	v_and_b32_e32 v73, 0xffff, v73
	v_mov_b32_e32 v28, 0x7f800001
	s_mov_b32 s22, exec_lo
	s_delay_alu instid0(VALU_DEP_2) | instskip(NEXT) | instid1(VALU_DEP_1)
	v_and_b32_e32 v74, 0x7f, v73
	v_cmpx_ne_u32_e32 0x7f, v74
	s_cbranch_execz .LBB386_562
; %bb.559:                              ;   in Loop: Header=BB386_13 Depth=1
	v_and_b32_e32 v28, 7, v73
	v_lshrrev_b32_e32 v73, 3, v74
	s_mov_b32 s23, exec_lo
	v_cmpx_gt_u32_e32 8, v74
; %bb.560:                              ;   in Loop: Header=BB386_13 Depth=1
	s_delay_alu instid0(VALU_DEP_3) | instskip(NEXT) | instid1(VALU_DEP_1)
	v_clz_i32_u32_e32 v73, v28
	v_min_u32_e32 v73, 32, v73
	s_delay_alu instid0(VALU_DEP_1) | instskip(SKIP_1) | instid1(VALU_DEP_2)
	v_subrev_nc_u32_e32 v74, 28, v73
	v_sub_nc_u32_e32 v73, 29, v73
	v_lshlrev_b64 v[74:75], v74, v[28:29]
	s_delay_alu instid0(VALU_DEP_1)
	v_and_b32_e32 v28, 7, v74
; %bb.561:                              ;   in Loop: Header=BB386_13 Depth=1
	s_or_b32 exec_lo, exec_lo, s23
	v_lshlrev_b32_e32 v63, 16, v63
	s_delay_alu instid0(VALU_DEP_2) | instskip(SKIP_1) | instid1(VALU_DEP_3)
	v_lshlrev_b32_e32 v28, 20, v28
	v_lshl_add_u32 v73, v73, 23, 0x3c000000
	v_and_b32_e32 v63, 0x80000000, v63
	s_delay_alu instid0(VALU_DEP_1)
	v_or3_b32 v28, v28, v63, v73
.LBB386_562:                            ;   in Loop: Header=BB386_13 Depth=1
	s_or_b32 exec_lo, exec_lo, s22
.LBB386_563:                            ;   in Loop: Header=BB386_13 Depth=1
	s_delay_alu instid0(SALU_CYCLE_1)
	s_or_b32 exec_lo, exec_lo, s21
.LBB386_564:                            ;   in Loop: Header=BB386_13 Depth=1
	s_delay_alu instid0(SALU_CYCLE_1) | instskip(NEXT) | instid1(VALU_DEP_1)
	s_or_b32 exec_lo, exec_lo, s20
	v_mul_f32_e32 v28, v131, v28
                                        ; implicit-def: $vgpr73
	s_delay_alu instid0(VALU_DEP_1) | instskip(NEXT) | instid1(VALU_DEP_1)
	v_and_b32_e32 v63, 0x7f800000, v28
	v_cmp_ne_u32_e64 s2, 0x7f800000, v63
	s_delay_alu instid0(VALU_DEP_1) | instskip(NEXT) | instid1(SALU_CYCLE_1)
	s_and_saveexec_b32 s20, s2
	s_xor_b32 s2, exec_lo, s20
; %bb.565:                              ;   in Loop: Header=BB386_13 Depth=1
	v_bfe_u32 v63, v28, 16, 1
	s_delay_alu instid0(VALU_DEP_1)
	v_add3_u32 v73, v28, v63, 0x7fff
                                        ; implicit-def: $vgpr28
; %bb.566:                              ;   in Loop: Header=BB386_13 Depth=1
	s_and_not1_saveexec_b32 s20, s2
; %bb.567:                              ;   in Loop: Header=BB386_13 Depth=1
	v_and_b32_e32 v63, 0xffff, v28
	v_or_b32_e32 v73, 0x10000, v28
	s_delay_alu instid0(VALU_DEP_2) | instskip(NEXT) | instid1(VALU_DEP_1)
	v_cmp_eq_u32_e64 s2, 0, v63
	v_cndmask_b32_e64 v73, v73, v28, s2
; %bb.568:                              ;   in Loop: Header=BB386_13 Depth=1
	s_or_b32 exec_lo, exec_lo, s20
	flat_load_u16 v28, v[80:81] offset:1416
	s_mov_b32 s20, exec_lo
	s_waitcnt vmcnt(0) lgkmcnt(0)
	v_and_b32_e32 v63, 0xff, v28
	v_and_b32_e32 v74, 0xffff, v28
	v_mov_b32_e32 v28, 0
	s_delay_alu instid0(VALU_DEP_3)
	v_cmpx_ne_u16_e32 0, v63
	s_cbranch_execz .LBB386_576
; %bb.569:                              ;   in Loop: Header=BB386_13 Depth=1
	s_delay_alu instid0(VALU_DEP_3) | instskip(NEXT) | instid1(VALU_DEP_1)
	v_and_b32_e32 v28, 0xff, v74
	v_cmp_ne_u16_e64 s2, 0x80, v28
	v_bfrev_b32_e32 v28, 1
	s_delay_alu instid0(VALU_DEP_2)
	s_and_saveexec_b32 s21, s2
	s_cbranch_execz .LBB386_575
; %bb.570:                              ;   in Loop: Header=BB386_13 Depth=1
	v_and_b32_e32 v75, 0x7f, v74
	v_mov_b32_e32 v28, 0x7f800001
	s_mov_b32 s22, exec_lo
	s_delay_alu instid0(VALU_DEP_2)
	v_cmpx_ne_u32_e32 0x7f, v75
	s_cbranch_execz .LBB386_574
; %bb.571:                              ;   in Loop: Header=BB386_13 Depth=1
	v_and_b32_e32 v28, 7, v74
	v_lshrrev_b32_e32 v63, 3, v75
	s_mov_b32 s23, exec_lo
	v_cmpx_gt_u32_e32 8, v75
; %bb.572:                              ;   in Loop: Header=BB386_13 Depth=1
	s_delay_alu instid0(VALU_DEP_3) | instskip(NEXT) | instid1(VALU_DEP_1)
	v_clz_i32_u32_e32 v63, v28
	v_min_u32_e32 v63, 32, v63
	s_delay_alu instid0(VALU_DEP_1) | instskip(SKIP_1) | instid1(VALU_DEP_2)
	v_subrev_nc_u32_e32 v75, 28, v63
	v_sub_nc_u32_e32 v63, 29, v63
	v_lshlrev_b64 v[75:76], v75, v[28:29]
	s_delay_alu instid0(VALU_DEP_1)
	v_and_b32_e32 v28, 7, v75
; %bb.573:                              ;   in Loop: Header=BB386_13 Depth=1
	s_or_b32 exec_lo, exec_lo, s23
	v_lshlrev_b32_e32 v75, 24, v74
	s_delay_alu instid0(VALU_DEP_2) | instskip(SKIP_1) | instid1(VALU_DEP_3)
	v_lshlrev_b32_e32 v28, 20, v28
	v_lshl_add_u32 v63, v63, 23, 0x3c000000
	v_and_b32_e32 v75, 0x80000000, v75
	s_delay_alu instid0(VALU_DEP_1)
	v_or3_b32 v28, v28, v75, v63
.LBB386_574:                            ;   in Loop: Header=BB386_13 Depth=1
	s_or_b32 exec_lo, exec_lo, s22
.LBB386_575:                            ;   in Loop: Header=BB386_13 Depth=1
	s_delay_alu instid0(SALU_CYCLE_1)
	s_or_b32 exec_lo, exec_lo, s21
.LBB386_576:                            ;   in Loop: Header=BB386_13 Depth=1
	s_delay_alu instid0(SALU_CYCLE_1) | instskip(NEXT) | instid1(VALU_DEP_1)
	s_or_b32 exec_lo, exec_lo, s20
	v_mul_f32_e32 v28, v131, v28
	s_delay_alu instid0(VALU_DEP_1) | instskip(NEXT) | instid1(VALU_DEP_1)
	v_and_b32_e32 v63, 0x7f800000, v28
	v_cmp_ne_u32_e64 s2, 0x7f800000, v63
                                        ; implicit-def: $vgpr63
	s_delay_alu instid0(VALU_DEP_1) | instskip(NEXT) | instid1(SALU_CYCLE_1)
	s_and_saveexec_b32 s20, s2
	s_xor_b32 s2, exec_lo, s20
; %bb.577:                              ;   in Loop: Header=BB386_13 Depth=1
	v_bfe_u32 v63, v28, 16, 1
	s_delay_alu instid0(VALU_DEP_1)
	v_add3_u32 v63, v28, v63, 0x7fff
                                        ; implicit-def: $vgpr28
; %bb.578:                              ;   in Loop: Header=BB386_13 Depth=1
	s_and_not1_saveexec_b32 s20, s2
; %bb.579:                              ;   in Loop: Header=BB386_13 Depth=1
	v_and_b32_e32 v63, 0xffff, v28
	v_or_b32_e32 v75, 0x10000, v28
	s_delay_alu instid0(VALU_DEP_2) | instskip(NEXT) | instid1(VALU_DEP_1)
	v_cmp_eq_u32_e64 s2, 0, v63
	v_cndmask_b32_e64 v63, v75, v28, s2
; %bb.580:                              ;   in Loop: Header=BB386_13 Depth=1
	s_or_b32 exec_lo, exec_lo, s20
	v_lshrrev_b16 v75, 8, v74
	v_mov_b32_e32 v28, 0
	s_mov_b32 s20, exec_lo
	s_delay_alu instid0(VALU_DEP_2)
	v_cmpx_ne_u16_e32 0, v75
	s_cbranch_execz .LBB386_588
; %bb.581:                              ;   in Loop: Header=BB386_13 Depth=1
	v_bfrev_b32_e32 v28, 1
	s_mov_b32 s21, exec_lo
	v_cmpx_ne_u16_e32 0x80, v75
	s_cbranch_execz .LBB386_587
; %bb.582:                              ;   in Loop: Header=BB386_13 Depth=1
	v_and_b32_e32 v75, 0xffff, v75
	v_mov_b32_e32 v28, 0x7f800001
	s_mov_b32 s22, exec_lo
	s_delay_alu instid0(VALU_DEP_2) | instskip(NEXT) | instid1(VALU_DEP_1)
	v_and_b32_e32 v76, 0x7f, v75
	v_cmpx_ne_u32_e32 0x7f, v76
	s_cbranch_execz .LBB386_586
; %bb.583:                              ;   in Loop: Header=BB386_13 Depth=1
	v_and_b32_e32 v28, 7, v75
	v_lshrrev_b32_e32 v75, 3, v76
	s_mov_b32 s23, exec_lo
	v_cmpx_gt_u32_e32 8, v76
; %bb.584:                              ;   in Loop: Header=BB386_13 Depth=1
	s_delay_alu instid0(VALU_DEP_3) | instskip(NEXT) | instid1(VALU_DEP_1)
	v_clz_i32_u32_e32 v75, v28
	v_min_u32_e32 v75, 32, v75
	s_delay_alu instid0(VALU_DEP_1) | instskip(SKIP_1) | instid1(VALU_DEP_2)
	v_subrev_nc_u32_e32 v76, 28, v75
	v_sub_nc_u32_e32 v75, 29, v75
	v_lshlrev_b64 v[76:77], v76, v[28:29]
	s_delay_alu instid0(VALU_DEP_1)
	v_and_b32_e32 v28, 7, v76
; %bb.585:                              ;   in Loop: Header=BB386_13 Depth=1
	s_or_b32 exec_lo, exec_lo, s23
	v_lshlrev_b32_e32 v74, 16, v74
	s_delay_alu instid0(VALU_DEP_2) | instskip(SKIP_1) | instid1(VALU_DEP_3)
	v_lshlrev_b32_e32 v28, 20, v28
	v_lshl_add_u32 v75, v75, 23, 0x3c000000
	v_and_b32_e32 v74, 0x80000000, v74
	s_delay_alu instid0(VALU_DEP_1)
	v_or3_b32 v28, v28, v74, v75
.LBB386_586:                            ;   in Loop: Header=BB386_13 Depth=1
	s_or_b32 exec_lo, exec_lo, s22
.LBB386_587:                            ;   in Loop: Header=BB386_13 Depth=1
	s_delay_alu instid0(SALU_CYCLE_1)
	s_or_b32 exec_lo, exec_lo, s21
.LBB386_588:                            ;   in Loop: Header=BB386_13 Depth=1
	s_delay_alu instid0(SALU_CYCLE_1) | instskip(NEXT) | instid1(VALU_DEP_1)
	s_or_b32 exec_lo, exec_lo, s20
	v_mul_f32_e32 v28, v131, v28
                                        ; implicit-def: $vgpr75
	s_delay_alu instid0(VALU_DEP_1) | instskip(NEXT) | instid1(VALU_DEP_1)
	v_and_b32_e32 v74, 0x7f800000, v28
	v_cmp_ne_u32_e64 s2, 0x7f800000, v74
	s_delay_alu instid0(VALU_DEP_1) | instskip(NEXT) | instid1(SALU_CYCLE_1)
	s_and_saveexec_b32 s20, s2
	s_xor_b32 s2, exec_lo, s20
; %bb.589:                              ;   in Loop: Header=BB386_13 Depth=1
	v_bfe_u32 v74, v28, 16, 1
	s_delay_alu instid0(VALU_DEP_1)
	v_add3_u32 v75, v28, v74, 0x7fff
                                        ; implicit-def: $vgpr28
; %bb.590:                              ;   in Loop: Header=BB386_13 Depth=1
	s_and_not1_saveexec_b32 s20, s2
; %bb.591:                              ;   in Loop: Header=BB386_13 Depth=1
	v_and_b32_e32 v74, 0xffff, v28
	v_or_b32_e32 v75, 0x10000, v28
	s_delay_alu instid0(VALU_DEP_2) | instskip(NEXT) | instid1(VALU_DEP_1)
	v_cmp_eq_u32_e64 s2, 0, v74
	v_cndmask_b32_e64 v75, v75, v28, s2
; %bb.592:                              ;   in Loop: Header=BB386_13 Depth=1
	s_or_b32 exec_lo, exec_lo, s20
	flat_load_u16 v28, v[80:81] offset:1536
	s_mov_b32 s20, exec_lo
	s_waitcnt vmcnt(0) lgkmcnt(0)
	v_and_b32_e32 v74, 0xff, v28
	v_and_b32_e32 v76, 0xffff, v28
	v_mov_b32_e32 v28, 0
	s_delay_alu instid0(VALU_DEP_3)
	v_cmpx_ne_u16_e32 0, v74
	s_cbranch_execz .LBB386_600
; %bb.593:                              ;   in Loop: Header=BB386_13 Depth=1
	s_delay_alu instid0(VALU_DEP_3) | instskip(NEXT) | instid1(VALU_DEP_1)
	v_and_b32_e32 v28, 0xff, v76
	v_cmp_ne_u16_e64 s2, 0x80, v28
	v_bfrev_b32_e32 v28, 1
	s_delay_alu instid0(VALU_DEP_2)
	s_and_saveexec_b32 s21, s2
	s_cbranch_execz .LBB386_599
; %bb.594:                              ;   in Loop: Header=BB386_13 Depth=1
	v_and_b32_e32 v77, 0x7f, v76
	v_mov_b32_e32 v28, 0x7f800001
	s_mov_b32 s22, exec_lo
	s_delay_alu instid0(VALU_DEP_2)
	v_cmpx_ne_u32_e32 0x7f, v77
	s_cbranch_execz .LBB386_598
; %bb.595:                              ;   in Loop: Header=BB386_13 Depth=1
	v_and_b32_e32 v28, 7, v76
	v_lshrrev_b32_e32 v74, 3, v77
	s_mov_b32 s23, exec_lo
	v_cmpx_gt_u32_e32 8, v77
; %bb.596:                              ;   in Loop: Header=BB386_13 Depth=1
	s_delay_alu instid0(VALU_DEP_3) | instskip(NEXT) | instid1(VALU_DEP_1)
	v_clz_i32_u32_e32 v74, v28
	v_min_u32_e32 v74, 32, v74
	s_delay_alu instid0(VALU_DEP_1) | instskip(SKIP_1) | instid1(VALU_DEP_2)
	v_subrev_nc_u32_e32 v77, 28, v74
	v_sub_nc_u32_e32 v74, 29, v74
	v_lshlrev_b64 v[77:78], v77, v[28:29]
	s_delay_alu instid0(VALU_DEP_1)
	v_and_b32_e32 v28, 7, v77
; %bb.597:                              ;   in Loop: Header=BB386_13 Depth=1
	s_or_b32 exec_lo, exec_lo, s23
	v_lshlrev_b32_e32 v77, 24, v76
	s_delay_alu instid0(VALU_DEP_2) | instskip(SKIP_1) | instid1(VALU_DEP_3)
	v_lshlrev_b32_e32 v28, 20, v28
	v_lshl_add_u32 v74, v74, 23, 0x3c000000
	v_and_b32_e32 v77, 0x80000000, v77
	s_delay_alu instid0(VALU_DEP_1)
	v_or3_b32 v28, v28, v77, v74
.LBB386_598:                            ;   in Loop: Header=BB386_13 Depth=1
	s_or_b32 exec_lo, exec_lo, s22
.LBB386_599:                            ;   in Loop: Header=BB386_13 Depth=1
	s_delay_alu instid0(SALU_CYCLE_1)
	s_or_b32 exec_lo, exec_lo, s21
.LBB386_600:                            ;   in Loop: Header=BB386_13 Depth=1
	s_delay_alu instid0(SALU_CYCLE_1) | instskip(NEXT) | instid1(VALU_DEP_1)
	s_or_b32 exec_lo, exec_lo, s20
	v_mul_f32_e32 v28, v131, v28
	s_delay_alu instid0(VALU_DEP_1) | instskip(NEXT) | instid1(VALU_DEP_1)
	v_and_b32_e32 v74, 0x7f800000, v28
	v_cmp_ne_u32_e64 s2, 0x7f800000, v74
                                        ; implicit-def: $vgpr74
	s_delay_alu instid0(VALU_DEP_1) | instskip(NEXT) | instid1(SALU_CYCLE_1)
	s_and_saveexec_b32 s20, s2
	s_xor_b32 s2, exec_lo, s20
; %bb.601:                              ;   in Loop: Header=BB386_13 Depth=1
	v_bfe_u32 v74, v28, 16, 1
	s_delay_alu instid0(VALU_DEP_1)
	v_add3_u32 v74, v28, v74, 0x7fff
                                        ; implicit-def: $vgpr28
; %bb.602:                              ;   in Loop: Header=BB386_13 Depth=1
	s_and_not1_saveexec_b32 s20, s2
; %bb.603:                              ;   in Loop: Header=BB386_13 Depth=1
	v_and_b32_e32 v74, 0xffff, v28
	v_or_b32_e32 v77, 0x10000, v28
	s_delay_alu instid0(VALU_DEP_2) | instskip(NEXT) | instid1(VALU_DEP_1)
	v_cmp_eq_u32_e64 s2, 0, v74
	v_cndmask_b32_e64 v74, v77, v28, s2
; %bb.604:                              ;   in Loop: Header=BB386_13 Depth=1
	s_or_b32 exec_lo, exec_lo, s20
	v_lshrrev_b16 v77, 8, v76
	v_mov_b32_e32 v28, 0
	s_mov_b32 s20, exec_lo
	s_delay_alu instid0(VALU_DEP_2)
	v_cmpx_ne_u16_e32 0, v77
	s_cbranch_execz .LBB386_612
; %bb.605:                              ;   in Loop: Header=BB386_13 Depth=1
	v_bfrev_b32_e32 v28, 1
	s_mov_b32 s21, exec_lo
	v_cmpx_ne_u16_e32 0x80, v77
	s_cbranch_execz .LBB386_611
; %bb.606:                              ;   in Loop: Header=BB386_13 Depth=1
	v_and_b32_e32 v77, 0xffff, v77
	v_mov_b32_e32 v28, 0x7f800001
	s_mov_b32 s22, exec_lo
	s_delay_alu instid0(VALU_DEP_2) | instskip(NEXT) | instid1(VALU_DEP_1)
	v_and_b32_e32 v78, 0x7f, v77
	v_cmpx_ne_u32_e32 0x7f, v78
	s_cbranch_execz .LBB386_610
; %bb.607:                              ;   in Loop: Header=BB386_13 Depth=1
	v_and_b32_e32 v28, 7, v77
	v_lshrrev_b32_e32 v77, 3, v78
	s_mov_b32 s23, exec_lo
	v_cmpx_gt_u32_e32 8, v78
; %bb.608:                              ;   in Loop: Header=BB386_13 Depth=1
	s_delay_alu instid0(VALU_DEP_3) | instskip(NEXT) | instid1(VALU_DEP_1)
	v_clz_i32_u32_e32 v77, v28
	v_min_u32_e32 v77, 32, v77
	s_delay_alu instid0(VALU_DEP_1) | instskip(SKIP_1) | instid1(VALU_DEP_2)
	v_subrev_nc_u32_e32 v78, 28, v77
	v_sub_nc_u32_e32 v77, 29, v77
	v_lshlrev_b64 v[78:79], v78, v[28:29]
	s_delay_alu instid0(VALU_DEP_1)
	v_and_b32_e32 v28, 7, v78
; %bb.609:                              ;   in Loop: Header=BB386_13 Depth=1
	s_or_b32 exec_lo, exec_lo, s23
	v_lshlrev_b32_e32 v76, 16, v76
	s_delay_alu instid0(VALU_DEP_2) | instskip(SKIP_1) | instid1(VALU_DEP_3)
	v_lshlrev_b32_e32 v28, 20, v28
	v_lshl_add_u32 v77, v77, 23, 0x3c000000
	v_and_b32_e32 v76, 0x80000000, v76
	s_delay_alu instid0(VALU_DEP_1)
	v_or3_b32 v28, v28, v76, v77
.LBB386_610:                            ;   in Loop: Header=BB386_13 Depth=1
	s_or_b32 exec_lo, exec_lo, s22
.LBB386_611:                            ;   in Loop: Header=BB386_13 Depth=1
	s_delay_alu instid0(SALU_CYCLE_1)
	s_or_b32 exec_lo, exec_lo, s21
.LBB386_612:                            ;   in Loop: Header=BB386_13 Depth=1
	s_delay_alu instid0(SALU_CYCLE_1) | instskip(NEXT) | instid1(VALU_DEP_1)
	s_or_b32 exec_lo, exec_lo, s20
	v_mul_f32_e32 v28, v131, v28
                                        ; implicit-def: $vgpr78
	s_delay_alu instid0(VALU_DEP_1) | instskip(NEXT) | instid1(VALU_DEP_1)
	v_and_b32_e32 v76, 0x7f800000, v28
	v_cmp_ne_u32_e64 s2, 0x7f800000, v76
	s_delay_alu instid0(VALU_DEP_1) | instskip(NEXT) | instid1(SALU_CYCLE_1)
	s_and_saveexec_b32 s20, s2
	s_xor_b32 s2, exec_lo, s20
; %bb.613:                              ;   in Loop: Header=BB386_13 Depth=1
	v_bfe_u32 v76, v28, 16, 1
	s_delay_alu instid0(VALU_DEP_1)
	v_add3_u32 v78, v28, v76, 0x7fff
                                        ; implicit-def: $vgpr28
; %bb.614:                              ;   in Loop: Header=BB386_13 Depth=1
	s_and_not1_saveexec_b32 s20, s2
; %bb.615:                              ;   in Loop: Header=BB386_13 Depth=1
	v_and_b32_e32 v76, 0xffff, v28
	v_or_b32_e32 v77, 0x10000, v28
	s_delay_alu instid0(VALU_DEP_2) | instskip(NEXT) | instid1(VALU_DEP_1)
	v_cmp_eq_u32_e64 s2, 0, v76
	v_cndmask_b32_e64 v78, v77, v28, s2
; %bb.616:                              ;   in Loop: Header=BB386_13 Depth=1
	s_or_b32 exec_lo, exec_lo, s20
	flat_load_u16 v28, v[80:81] offset:1544
	s_mov_b32 s20, exec_lo
	s_waitcnt vmcnt(0) lgkmcnt(0)
	v_and_b32_e32 v76, 0xff, v28
	v_dual_mov_b32 v28, 0 :: v_dual_and_b32 v77, 0xffff, v28
	s_delay_alu instid0(VALU_DEP_2)
	v_cmpx_ne_u16_e32 0, v76
	s_cbranch_execz .LBB386_624
; %bb.617:                              ;   in Loop: Header=BB386_13 Depth=1
	s_delay_alu instid0(VALU_DEP_2) | instskip(NEXT) | instid1(VALU_DEP_1)
	v_and_b32_e32 v28, 0xff, v77
	v_cmp_ne_u16_e64 s2, 0x80, v28
	v_bfrev_b32_e32 v28, 1
	s_delay_alu instid0(VALU_DEP_2)
	s_and_saveexec_b32 s21, s2
	s_cbranch_execz .LBB386_623
; %bb.618:                              ;   in Loop: Header=BB386_13 Depth=1
	v_and_b32_e32 v79, 0x7f, v77
	v_mov_b32_e32 v28, 0x7f800001
	s_mov_b32 s22, exec_lo
	s_delay_alu instid0(VALU_DEP_2)
	v_cmpx_ne_u32_e32 0x7f, v79
	s_cbranch_execz .LBB386_622
; %bb.619:                              ;   in Loop: Header=BB386_13 Depth=1
	v_and_b32_e32 v28, 7, v77
	v_lshrrev_b32_e32 v76, 3, v79
	s_mov_b32 s23, exec_lo
	v_cmpx_gt_u32_e32 8, v79
; %bb.620:                              ;   in Loop: Header=BB386_13 Depth=1
	s_delay_alu instid0(VALU_DEP_3) | instskip(NEXT) | instid1(VALU_DEP_1)
	v_clz_i32_u32_e32 v76, v28
	v_min_u32_e32 v76, 32, v76
	s_delay_alu instid0(VALU_DEP_1) | instskip(SKIP_1) | instid1(VALU_DEP_2)
	v_subrev_nc_u32_e32 v79, 28, v76
	v_sub_nc_u32_e32 v76, 29, v76
	v_lshlrev_b64 v[88:89], v79, v[28:29]
	s_delay_alu instid0(VALU_DEP_1)
	v_and_b32_e32 v28, 7, v88
; %bb.621:                              ;   in Loop: Header=BB386_13 Depth=1
	s_or_b32 exec_lo, exec_lo, s23
	v_lshlrev_b32_e32 v79, 24, v77
	s_delay_alu instid0(VALU_DEP_2) | instskip(SKIP_1) | instid1(VALU_DEP_3)
	v_lshlrev_b32_e32 v28, 20, v28
	v_lshl_add_u32 v76, v76, 23, 0x3c000000
	v_and_b32_e32 v79, 0x80000000, v79
	s_delay_alu instid0(VALU_DEP_1)
	v_or3_b32 v28, v28, v79, v76
.LBB386_622:                            ;   in Loop: Header=BB386_13 Depth=1
	s_or_b32 exec_lo, exec_lo, s22
.LBB386_623:                            ;   in Loop: Header=BB386_13 Depth=1
	s_delay_alu instid0(SALU_CYCLE_1)
	s_or_b32 exec_lo, exec_lo, s21
.LBB386_624:                            ;   in Loop: Header=BB386_13 Depth=1
	s_delay_alu instid0(SALU_CYCLE_1) | instskip(NEXT) | instid1(VALU_DEP_1)
	s_or_b32 exec_lo, exec_lo, s20
	v_mul_f32_e32 v28, v131, v28
	s_delay_alu instid0(VALU_DEP_1) | instskip(NEXT) | instid1(VALU_DEP_1)
	v_and_b32_e32 v76, 0x7f800000, v28
	v_cmp_ne_u32_e64 s2, 0x7f800000, v76
                                        ; implicit-def: $vgpr76
	s_delay_alu instid0(VALU_DEP_1) | instskip(NEXT) | instid1(SALU_CYCLE_1)
	s_and_saveexec_b32 s20, s2
	s_xor_b32 s2, exec_lo, s20
; %bb.625:                              ;   in Loop: Header=BB386_13 Depth=1
	v_bfe_u32 v76, v28, 16, 1
	s_delay_alu instid0(VALU_DEP_1)
	v_add3_u32 v76, v28, v76, 0x7fff
                                        ; implicit-def: $vgpr28
; %bb.626:                              ;   in Loop: Header=BB386_13 Depth=1
	s_and_not1_saveexec_b32 s20, s2
; %bb.627:                              ;   in Loop: Header=BB386_13 Depth=1
	v_and_b32_e32 v76, 0xffff, v28
	v_or_b32_e32 v79, 0x10000, v28
	s_delay_alu instid0(VALU_DEP_2) | instskip(NEXT) | instid1(VALU_DEP_1)
	v_cmp_eq_u32_e64 s2, 0, v76
	v_cndmask_b32_e64 v76, v79, v28, s2
; %bb.628:                              ;   in Loop: Header=BB386_13 Depth=1
	s_or_b32 exec_lo, exec_lo, s20
	v_lshrrev_b16 v79, 8, v77
	v_mov_b32_e32 v28, 0
	s_mov_b32 s20, exec_lo
	s_delay_alu instid0(VALU_DEP_2)
	v_cmpx_ne_u16_e32 0, v79
	s_cbranch_execz .LBB386_636
; %bb.629:                              ;   in Loop: Header=BB386_13 Depth=1
	v_bfrev_b32_e32 v28, 1
	s_mov_b32 s21, exec_lo
	v_cmpx_ne_u16_e32 0x80, v79
	s_cbranch_execz .LBB386_635
; %bb.630:                              ;   in Loop: Header=BB386_13 Depth=1
	v_and_b32_e32 v79, 0xffff, v79
	v_mov_b32_e32 v28, 0x7f800001
	s_mov_b32 s22, exec_lo
	s_delay_alu instid0(VALU_DEP_2) | instskip(NEXT) | instid1(VALU_DEP_1)
	v_and_b32_e32 v88, 0x7f, v79
	v_cmpx_ne_u32_e32 0x7f, v88
	s_cbranch_execz .LBB386_634
; %bb.631:                              ;   in Loop: Header=BB386_13 Depth=1
	v_and_b32_e32 v28, 7, v79
	v_lshrrev_b32_e32 v79, 3, v88
	s_mov_b32 s23, exec_lo
	v_cmpx_gt_u32_e32 8, v88
; %bb.632:                              ;   in Loop: Header=BB386_13 Depth=1
	s_delay_alu instid0(VALU_DEP_3) | instskip(NEXT) | instid1(VALU_DEP_1)
	v_clz_i32_u32_e32 v79, v28
	v_min_u32_e32 v79, 32, v79
	s_delay_alu instid0(VALU_DEP_1) | instskip(SKIP_1) | instid1(VALU_DEP_2)
	v_subrev_nc_u32_e32 v88, 28, v79
	v_sub_nc_u32_e32 v79, 29, v79
	v_lshlrev_b64 v[88:89], v88, v[28:29]
	s_delay_alu instid0(VALU_DEP_1)
	v_and_b32_e32 v28, 7, v88
; %bb.633:                              ;   in Loop: Header=BB386_13 Depth=1
	s_or_b32 exec_lo, exec_lo, s23
	v_lshlrev_b32_e32 v77, 16, v77
	s_delay_alu instid0(VALU_DEP_2) | instskip(SKIP_1) | instid1(VALU_DEP_3)
	v_lshlrev_b32_e32 v28, 20, v28
	v_lshl_add_u32 v79, v79, 23, 0x3c000000
	v_and_b32_e32 v77, 0x80000000, v77
	s_delay_alu instid0(VALU_DEP_1)
	v_or3_b32 v28, v28, v77, v79
.LBB386_634:                            ;   in Loop: Header=BB386_13 Depth=1
	s_or_b32 exec_lo, exec_lo, s22
.LBB386_635:                            ;   in Loop: Header=BB386_13 Depth=1
	s_delay_alu instid0(SALU_CYCLE_1)
	s_or_b32 exec_lo, exec_lo, s21
.LBB386_636:                            ;   in Loop: Header=BB386_13 Depth=1
	s_delay_alu instid0(SALU_CYCLE_1) | instskip(NEXT) | instid1(VALU_DEP_1)
	s_or_b32 exec_lo, exec_lo, s20
	v_mul_f32_e32 v28, v131, v28
	s_delay_alu instid0(VALU_DEP_1) | instskip(NEXT) | instid1(VALU_DEP_1)
	v_and_b32_e32 v77, 0x7f800000, v28
	v_cmp_ne_u32_e64 s2, 0x7f800000, v77
                                        ; implicit-def: $vgpr77
	s_delay_alu instid0(VALU_DEP_1) | instskip(NEXT) | instid1(SALU_CYCLE_1)
	s_and_saveexec_b32 s20, s2
	s_xor_b32 s2, exec_lo, s20
; %bb.637:                              ;   in Loop: Header=BB386_13 Depth=1
	v_bfe_u32 v77, v28, 16, 1
	s_delay_alu instid0(VALU_DEP_1)
	v_add3_u32 v77, v28, v77, 0x7fff
                                        ; implicit-def: $vgpr28
; %bb.638:                              ;   in Loop: Header=BB386_13 Depth=1
	s_and_not1_saveexec_b32 s20, s2
; %bb.639:                              ;   in Loop: Header=BB386_13 Depth=1
	v_and_b32_e32 v77, 0xffff, v28
	v_or_b32_e32 v79, 0x10000, v28
	s_delay_alu instid0(VALU_DEP_2) | instskip(NEXT) | instid1(VALU_DEP_1)
	v_cmp_eq_u32_e64 s2, 0, v77
	v_cndmask_b32_e64 v77, v79, v28, s2
; %bb.640:                              ;   in Loop: Header=BB386_13 Depth=1
	s_or_b32 exec_lo, exec_lo, s20
	flat_load_u16 v28, v[80:81] offset:1664
	s_mov_b32 s20, exec_lo
	s_waitcnt vmcnt(0) lgkmcnt(0)
	v_and_b32_e32 v79, 0xff, v28
	v_and_b32_e32 v88, 0xffff, v28
	v_mov_b32_e32 v28, 0
	s_delay_alu instid0(VALU_DEP_3)
	v_cmpx_ne_u16_e32 0, v79
	s_cbranch_execz .LBB386_648
; %bb.641:                              ;   in Loop: Header=BB386_13 Depth=1
	s_delay_alu instid0(VALU_DEP_3) | instskip(NEXT) | instid1(VALU_DEP_1)
	v_and_b32_e32 v28, 0xff, v88
	v_cmp_ne_u16_e64 s2, 0x80, v28
	v_bfrev_b32_e32 v28, 1
	s_delay_alu instid0(VALU_DEP_2)
	s_and_saveexec_b32 s21, s2
	s_cbranch_execz .LBB386_647
; %bb.642:                              ;   in Loop: Header=BB386_13 Depth=1
	v_and_b32_e32 v89, 0x7f, v88
	v_mov_b32_e32 v28, 0x7f800001
	s_mov_b32 s22, exec_lo
	s_delay_alu instid0(VALU_DEP_2)
	v_cmpx_ne_u32_e32 0x7f, v89
	s_cbranch_execz .LBB386_646
; %bb.643:                              ;   in Loop: Header=BB386_13 Depth=1
	v_and_b32_e32 v28, 7, v88
	v_lshrrev_b32_e32 v79, 3, v89
	s_mov_b32 s23, exec_lo
	v_cmpx_gt_u32_e32 8, v89
; %bb.644:                              ;   in Loop: Header=BB386_13 Depth=1
	s_delay_alu instid0(VALU_DEP_3) | instskip(NEXT) | instid1(VALU_DEP_1)
	v_clz_i32_u32_e32 v79, v28
	v_min_u32_e32 v79, 32, v79
	s_delay_alu instid0(VALU_DEP_1) | instskip(SKIP_1) | instid1(VALU_DEP_2)
	v_subrev_nc_u32_e32 v89, 28, v79
	v_sub_nc_u32_e32 v79, 29, v79
	v_lshlrev_b64 v[89:90], v89, v[28:29]
	s_delay_alu instid0(VALU_DEP_1)
	v_and_b32_e32 v28, 7, v89
; %bb.645:                              ;   in Loop: Header=BB386_13 Depth=1
	s_or_b32 exec_lo, exec_lo, s23
	v_lshlrev_b32_e32 v89, 24, v88
	s_delay_alu instid0(VALU_DEP_2) | instskip(SKIP_1) | instid1(VALU_DEP_3)
	v_lshlrev_b32_e32 v28, 20, v28
	v_lshl_add_u32 v79, v79, 23, 0x3c000000
	v_and_b32_e32 v89, 0x80000000, v89
	s_delay_alu instid0(VALU_DEP_1)
	v_or3_b32 v28, v28, v89, v79
.LBB386_646:                            ;   in Loop: Header=BB386_13 Depth=1
	s_or_b32 exec_lo, exec_lo, s22
.LBB386_647:                            ;   in Loop: Header=BB386_13 Depth=1
	s_delay_alu instid0(SALU_CYCLE_1)
	s_or_b32 exec_lo, exec_lo, s21
.LBB386_648:                            ;   in Loop: Header=BB386_13 Depth=1
	s_delay_alu instid0(SALU_CYCLE_1) | instskip(NEXT) | instid1(VALU_DEP_1)
	s_or_b32 exec_lo, exec_lo, s20
	v_mul_f32_e32 v28, v131, v28
	s_delay_alu instid0(VALU_DEP_1) | instskip(NEXT) | instid1(VALU_DEP_1)
	v_and_b32_e32 v79, 0x7f800000, v28
	v_cmp_ne_u32_e64 s2, 0x7f800000, v79
                                        ; implicit-def: $vgpr79
	s_delay_alu instid0(VALU_DEP_1) | instskip(NEXT) | instid1(SALU_CYCLE_1)
	s_and_saveexec_b32 s20, s2
	s_xor_b32 s2, exec_lo, s20
; %bb.649:                              ;   in Loop: Header=BB386_13 Depth=1
	v_bfe_u32 v79, v28, 16, 1
	s_delay_alu instid0(VALU_DEP_1)
	v_add3_u32 v79, v28, v79, 0x7fff
                                        ; implicit-def: $vgpr28
; %bb.650:                              ;   in Loop: Header=BB386_13 Depth=1
	s_and_not1_saveexec_b32 s20, s2
; %bb.651:                              ;   in Loop: Header=BB386_13 Depth=1
	v_and_b32_e32 v79, 0xffff, v28
	v_or_b32_e32 v89, 0x10000, v28
	s_delay_alu instid0(VALU_DEP_2) | instskip(NEXT) | instid1(VALU_DEP_1)
	v_cmp_eq_u32_e64 s2, 0, v79
	v_cndmask_b32_e64 v79, v89, v28, s2
; %bb.652:                              ;   in Loop: Header=BB386_13 Depth=1
	s_or_b32 exec_lo, exec_lo, s20
	v_lshrrev_b16 v89, 8, v88
	v_mov_b32_e32 v28, 0
	s_mov_b32 s20, exec_lo
	s_delay_alu instid0(VALU_DEP_2)
	v_cmpx_ne_u16_e32 0, v89
	s_cbranch_execz .LBB386_660
; %bb.653:                              ;   in Loop: Header=BB386_13 Depth=1
	v_bfrev_b32_e32 v28, 1
	s_mov_b32 s21, exec_lo
	v_cmpx_ne_u16_e32 0x80, v89
	s_cbranch_execz .LBB386_659
; %bb.654:                              ;   in Loop: Header=BB386_13 Depth=1
	v_and_b32_e32 v89, 0xffff, v89
	v_mov_b32_e32 v28, 0x7f800001
	s_mov_b32 s22, exec_lo
	s_delay_alu instid0(VALU_DEP_2) | instskip(NEXT) | instid1(VALU_DEP_1)
	v_and_b32_e32 v90, 0x7f, v89
	v_cmpx_ne_u32_e32 0x7f, v90
	s_cbranch_execz .LBB386_658
; %bb.655:                              ;   in Loop: Header=BB386_13 Depth=1
	v_and_b32_e32 v28, 7, v89
	v_lshrrev_b32_e32 v89, 3, v90
	s_mov_b32 s23, exec_lo
	v_cmpx_gt_u32_e32 8, v90
; %bb.656:                              ;   in Loop: Header=BB386_13 Depth=1
	s_delay_alu instid0(VALU_DEP_3) | instskip(NEXT) | instid1(VALU_DEP_1)
	v_clz_i32_u32_e32 v89, v28
	v_min_u32_e32 v89, 32, v89
	s_delay_alu instid0(VALU_DEP_1) | instskip(SKIP_1) | instid1(VALU_DEP_2)
	v_subrev_nc_u32_e32 v90, 28, v89
	v_sub_nc_u32_e32 v89, 29, v89
	v_lshlrev_b64 v[90:91], v90, v[28:29]
	s_delay_alu instid0(VALU_DEP_1)
	v_and_b32_e32 v28, 7, v90
; %bb.657:                              ;   in Loop: Header=BB386_13 Depth=1
	s_or_b32 exec_lo, exec_lo, s23
	v_lshlrev_b32_e32 v88, 16, v88
	s_delay_alu instid0(VALU_DEP_2) | instskip(SKIP_1) | instid1(VALU_DEP_3)
	v_lshlrev_b32_e32 v28, 20, v28
	v_lshl_add_u32 v89, v89, 23, 0x3c000000
	v_and_b32_e32 v88, 0x80000000, v88
	s_delay_alu instid0(VALU_DEP_1)
	v_or3_b32 v28, v28, v88, v89
.LBB386_658:                            ;   in Loop: Header=BB386_13 Depth=1
	s_or_b32 exec_lo, exec_lo, s22
.LBB386_659:                            ;   in Loop: Header=BB386_13 Depth=1
	s_delay_alu instid0(SALU_CYCLE_1)
	s_or_b32 exec_lo, exec_lo, s21
.LBB386_660:                            ;   in Loop: Header=BB386_13 Depth=1
	s_delay_alu instid0(SALU_CYCLE_1) | instskip(NEXT) | instid1(VALU_DEP_1)
	s_or_b32 exec_lo, exec_lo, s20
	v_mul_f32_e32 v28, v131, v28
	s_delay_alu instid0(VALU_DEP_1) | instskip(NEXT) | instid1(VALU_DEP_1)
	v_and_b32_e32 v88, 0x7f800000, v28
	v_cmp_ne_u32_e64 s2, 0x7f800000, v88
                                        ; implicit-def: $vgpr88
	s_delay_alu instid0(VALU_DEP_1) | instskip(NEXT) | instid1(SALU_CYCLE_1)
	s_and_saveexec_b32 s20, s2
	s_xor_b32 s2, exec_lo, s20
; %bb.661:                              ;   in Loop: Header=BB386_13 Depth=1
	v_bfe_u32 v88, v28, 16, 1
	s_delay_alu instid0(VALU_DEP_1)
	v_add3_u32 v88, v28, v88, 0x7fff
                                        ; implicit-def: $vgpr28
; %bb.662:                              ;   in Loop: Header=BB386_13 Depth=1
	s_and_not1_saveexec_b32 s20, s2
; %bb.663:                              ;   in Loop: Header=BB386_13 Depth=1
	v_and_b32_e32 v88, 0xffff, v28
	v_or_b32_e32 v89, 0x10000, v28
	s_delay_alu instid0(VALU_DEP_2) | instskip(NEXT) | instid1(VALU_DEP_1)
	v_cmp_eq_u32_e64 s2, 0, v88
	v_cndmask_b32_e64 v88, v89, v28, s2
; %bb.664:                              ;   in Loop: Header=BB386_13 Depth=1
	s_or_b32 exec_lo, exec_lo, s20
	flat_load_u16 v28, v[80:81] offset:1672
	s_mov_b32 s20, exec_lo
	s_waitcnt vmcnt(0) lgkmcnt(0)
	v_and_b32_e32 v89, 0xff, v28
	v_and_b32_e32 v90, 0xffff, v28
	v_mov_b32_e32 v28, 0
	s_delay_alu instid0(VALU_DEP_3)
	v_cmpx_ne_u16_e32 0, v89
	s_cbranch_execz .LBB386_672
; %bb.665:                              ;   in Loop: Header=BB386_13 Depth=1
	s_delay_alu instid0(VALU_DEP_3) | instskip(NEXT) | instid1(VALU_DEP_1)
	v_and_b32_e32 v28, 0xff, v90
	v_cmp_ne_u16_e64 s2, 0x80, v28
	v_bfrev_b32_e32 v28, 1
	s_delay_alu instid0(VALU_DEP_2)
	s_and_saveexec_b32 s21, s2
	s_cbranch_execz .LBB386_671
; %bb.666:                              ;   in Loop: Header=BB386_13 Depth=1
	v_and_b32_e32 v91, 0x7f, v90
	v_mov_b32_e32 v28, 0x7f800001
	s_mov_b32 s22, exec_lo
	s_delay_alu instid0(VALU_DEP_2)
	v_cmpx_ne_u32_e32 0x7f, v91
	s_cbranch_execz .LBB386_670
; %bb.667:                              ;   in Loop: Header=BB386_13 Depth=1
	v_and_b32_e32 v28, 7, v90
	v_lshrrev_b32_e32 v89, 3, v91
	s_mov_b32 s23, exec_lo
	v_cmpx_gt_u32_e32 8, v91
; %bb.668:                              ;   in Loop: Header=BB386_13 Depth=1
	s_delay_alu instid0(VALU_DEP_3) | instskip(NEXT) | instid1(VALU_DEP_1)
	v_clz_i32_u32_e32 v89, v28
	v_min_u32_e32 v89, 32, v89
	s_delay_alu instid0(VALU_DEP_1) | instskip(SKIP_1) | instid1(VALU_DEP_2)
	v_subrev_nc_u32_e32 v91, 28, v89
	v_sub_nc_u32_e32 v89, 29, v89
	v_lshlrev_b64 v[91:92], v91, v[28:29]
	s_delay_alu instid0(VALU_DEP_1)
	v_and_b32_e32 v28, 7, v91
; %bb.669:                              ;   in Loop: Header=BB386_13 Depth=1
	s_or_b32 exec_lo, exec_lo, s23
	v_lshlrev_b32_e32 v91, 24, v90
	s_delay_alu instid0(VALU_DEP_2) | instskip(SKIP_1) | instid1(VALU_DEP_3)
	v_lshlrev_b32_e32 v28, 20, v28
	v_lshl_add_u32 v89, v89, 23, 0x3c000000
	v_and_b32_e32 v91, 0x80000000, v91
	s_delay_alu instid0(VALU_DEP_1)
	v_or3_b32 v28, v28, v91, v89
.LBB386_670:                            ;   in Loop: Header=BB386_13 Depth=1
	s_or_b32 exec_lo, exec_lo, s22
.LBB386_671:                            ;   in Loop: Header=BB386_13 Depth=1
	s_delay_alu instid0(SALU_CYCLE_1)
	s_or_b32 exec_lo, exec_lo, s21
.LBB386_672:                            ;   in Loop: Header=BB386_13 Depth=1
	s_delay_alu instid0(SALU_CYCLE_1) | instskip(NEXT) | instid1(VALU_DEP_1)
	s_or_b32 exec_lo, exec_lo, s20
	v_mul_f32_e32 v28, v131, v28
	s_delay_alu instid0(VALU_DEP_1) | instskip(NEXT) | instid1(VALU_DEP_1)
	v_and_b32_e32 v89, 0x7f800000, v28
	v_cmp_ne_u32_e64 s2, 0x7f800000, v89
                                        ; implicit-def: $vgpr89
	s_delay_alu instid0(VALU_DEP_1) | instskip(NEXT) | instid1(SALU_CYCLE_1)
	s_and_saveexec_b32 s20, s2
	s_xor_b32 s2, exec_lo, s20
; %bb.673:                              ;   in Loop: Header=BB386_13 Depth=1
	v_bfe_u32 v89, v28, 16, 1
	s_delay_alu instid0(VALU_DEP_1)
	v_add3_u32 v89, v28, v89, 0x7fff
                                        ; implicit-def: $vgpr28
; %bb.674:                              ;   in Loop: Header=BB386_13 Depth=1
	s_and_not1_saveexec_b32 s20, s2
; %bb.675:                              ;   in Loop: Header=BB386_13 Depth=1
	v_and_b32_e32 v89, 0xffff, v28
	v_or_b32_e32 v91, 0x10000, v28
	s_delay_alu instid0(VALU_DEP_2) | instskip(NEXT) | instid1(VALU_DEP_1)
	v_cmp_eq_u32_e64 s2, 0, v89
	v_cndmask_b32_e64 v89, v91, v28, s2
; %bb.676:                              ;   in Loop: Header=BB386_13 Depth=1
	s_or_b32 exec_lo, exec_lo, s20
	v_lshrrev_b16 v91, 8, v90
	v_mov_b32_e32 v28, 0
	s_mov_b32 s20, exec_lo
	s_delay_alu instid0(VALU_DEP_2)
	v_cmpx_ne_u16_e32 0, v91
	s_cbranch_execz .LBB386_684
; %bb.677:                              ;   in Loop: Header=BB386_13 Depth=1
	v_bfrev_b32_e32 v28, 1
	s_mov_b32 s21, exec_lo
	v_cmpx_ne_u16_e32 0x80, v91
	s_cbranch_execz .LBB386_683
; %bb.678:                              ;   in Loop: Header=BB386_13 Depth=1
	v_and_b32_e32 v91, 0xffff, v91
	v_mov_b32_e32 v28, 0x7f800001
	s_mov_b32 s22, exec_lo
	s_delay_alu instid0(VALU_DEP_2) | instskip(NEXT) | instid1(VALU_DEP_1)
	v_and_b32_e32 v92, 0x7f, v91
	v_cmpx_ne_u32_e32 0x7f, v92
	s_cbranch_execz .LBB386_682
; %bb.679:                              ;   in Loop: Header=BB386_13 Depth=1
	v_and_b32_e32 v28, 7, v91
	v_lshrrev_b32_e32 v91, 3, v92
	s_mov_b32 s23, exec_lo
	v_cmpx_gt_u32_e32 8, v92
; %bb.680:                              ;   in Loop: Header=BB386_13 Depth=1
	s_delay_alu instid0(VALU_DEP_3) | instskip(NEXT) | instid1(VALU_DEP_1)
	v_clz_i32_u32_e32 v91, v28
	v_min_u32_e32 v91, 32, v91
	s_delay_alu instid0(VALU_DEP_1) | instskip(SKIP_1) | instid1(VALU_DEP_2)
	v_subrev_nc_u32_e32 v92, 28, v91
	v_sub_nc_u32_e32 v91, 29, v91
	v_lshlrev_b64 v[92:93], v92, v[28:29]
	s_delay_alu instid0(VALU_DEP_1)
	v_and_b32_e32 v28, 7, v92
; %bb.681:                              ;   in Loop: Header=BB386_13 Depth=1
	s_or_b32 exec_lo, exec_lo, s23
	v_lshlrev_b32_e32 v90, 16, v90
	s_delay_alu instid0(VALU_DEP_2) | instskip(SKIP_1) | instid1(VALU_DEP_3)
	v_lshlrev_b32_e32 v28, 20, v28
	v_lshl_add_u32 v91, v91, 23, 0x3c000000
	v_and_b32_e32 v90, 0x80000000, v90
	s_delay_alu instid0(VALU_DEP_1)
	v_or3_b32 v28, v28, v90, v91
.LBB386_682:                            ;   in Loop: Header=BB386_13 Depth=1
	s_or_b32 exec_lo, exec_lo, s22
.LBB386_683:                            ;   in Loop: Header=BB386_13 Depth=1
	s_delay_alu instid0(SALU_CYCLE_1)
	s_or_b32 exec_lo, exec_lo, s21
.LBB386_684:                            ;   in Loop: Header=BB386_13 Depth=1
	s_delay_alu instid0(SALU_CYCLE_1) | instskip(NEXT) | instid1(VALU_DEP_1)
	s_or_b32 exec_lo, exec_lo, s20
	v_mul_f32_e32 v28, v131, v28
	s_delay_alu instid0(VALU_DEP_1) | instskip(NEXT) | instid1(VALU_DEP_1)
	v_and_b32_e32 v90, 0x7f800000, v28
	v_cmp_ne_u32_e64 s2, 0x7f800000, v90
                                        ; implicit-def: $vgpr90
	s_delay_alu instid0(VALU_DEP_1) | instskip(NEXT) | instid1(SALU_CYCLE_1)
	s_and_saveexec_b32 s20, s2
	s_xor_b32 s2, exec_lo, s20
; %bb.685:                              ;   in Loop: Header=BB386_13 Depth=1
	v_bfe_u32 v90, v28, 16, 1
	s_delay_alu instid0(VALU_DEP_1)
	v_add3_u32 v90, v28, v90, 0x7fff
                                        ; implicit-def: $vgpr28
; %bb.686:                              ;   in Loop: Header=BB386_13 Depth=1
	s_and_not1_saveexec_b32 s20, s2
; %bb.687:                              ;   in Loop: Header=BB386_13 Depth=1
	v_and_b32_e32 v90, 0xffff, v28
	v_or_b32_e32 v91, 0x10000, v28
	s_delay_alu instid0(VALU_DEP_2) | instskip(NEXT) | instid1(VALU_DEP_1)
	v_cmp_eq_u32_e64 s2, 0, v90
	v_cndmask_b32_e64 v90, v91, v28, s2
; %bb.688:                              ;   in Loop: Header=BB386_13 Depth=1
	s_or_b32 exec_lo, exec_lo, s20
	flat_load_u16 v28, v[80:81] offset:1792
	s_mov_b32 s20, exec_lo
	s_waitcnt vmcnt(0) lgkmcnt(0)
	v_and_b32_e32 v91, 0xff, v28
	v_and_b32_e32 v92, 0xffff, v28
	v_mov_b32_e32 v28, 0
	s_delay_alu instid0(VALU_DEP_3)
	v_cmpx_ne_u16_e32 0, v91
	s_cbranch_execz .LBB386_696
; %bb.689:                              ;   in Loop: Header=BB386_13 Depth=1
	s_delay_alu instid0(VALU_DEP_3) | instskip(NEXT) | instid1(VALU_DEP_1)
	v_and_b32_e32 v28, 0xff, v92
	v_cmp_ne_u16_e64 s2, 0x80, v28
	v_bfrev_b32_e32 v28, 1
	s_delay_alu instid0(VALU_DEP_2)
	s_and_saveexec_b32 s21, s2
	s_cbranch_execz .LBB386_695
; %bb.690:                              ;   in Loop: Header=BB386_13 Depth=1
	v_and_b32_e32 v93, 0x7f, v92
	v_mov_b32_e32 v28, 0x7f800001
	s_mov_b32 s22, exec_lo
	s_delay_alu instid0(VALU_DEP_2)
	v_cmpx_ne_u32_e32 0x7f, v93
	s_cbranch_execz .LBB386_694
; %bb.691:                              ;   in Loop: Header=BB386_13 Depth=1
	v_and_b32_e32 v28, 7, v92
	v_lshrrev_b32_e32 v91, 3, v93
	s_mov_b32 s23, exec_lo
	v_cmpx_gt_u32_e32 8, v93
; %bb.692:                              ;   in Loop: Header=BB386_13 Depth=1
	s_delay_alu instid0(VALU_DEP_3) | instskip(NEXT) | instid1(VALU_DEP_1)
	v_clz_i32_u32_e32 v91, v28
	v_min_u32_e32 v91, 32, v91
	s_delay_alu instid0(VALU_DEP_1) | instskip(SKIP_1) | instid1(VALU_DEP_2)
	v_subrev_nc_u32_e32 v93, 28, v91
	v_sub_nc_u32_e32 v91, 29, v91
	v_lshlrev_b64 v[93:94], v93, v[28:29]
	s_delay_alu instid0(VALU_DEP_1)
	v_and_b32_e32 v28, 7, v93
; %bb.693:                              ;   in Loop: Header=BB386_13 Depth=1
	s_or_b32 exec_lo, exec_lo, s23
	v_lshlrev_b32_e32 v93, 24, v92
	s_delay_alu instid0(VALU_DEP_2) | instskip(SKIP_1) | instid1(VALU_DEP_3)
	v_lshlrev_b32_e32 v28, 20, v28
	v_lshl_add_u32 v91, v91, 23, 0x3c000000
	v_and_b32_e32 v93, 0x80000000, v93
	s_delay_alu instid0(VALU_DEP_1)
	v_or3_b32 v28, v28, v93, v91
.LBB386_694:                            ;   in Loop: Header=BB386_13 Depth=1
	s_or_b32 exec_lo, exec_lo, s22
.LBB386_695:                            ;   in Loop: Header=BB386_13 Depth=1
	s_delay_alu instid0(SALU_CYCLE_1)
	s_or_b32 exec_lo, exec_lo, s21
.LBB386_696:                            ;   in Loop: Header=BB386_13 Depth=1
	s_delay_alu instid0(SALU_CYCLE_1) | instskip(NEXT) | instid1(VALU_DEP_1)
	s_or_b32 exec_lo, exec_lo, s20
	v_mul_f32_e32 v28, v131, v28
	s_delay_alu instid0(VALU_DEP_1) | instskip(NEXT) | instid1(VALU_DEP_1)
	v_and_b32_e32 v91, 0x7f800000, v28
	v_cmp_ne_u32_e64 s2, 0x7f800000, v91
                                        ; implicit-def: $vgpr91
	s_delay_alu instid0(VALU_DEP_1) | instskip(NEXT) | instid1(SALU_CYCLE_1)
	s_and_saveexec_b32 s20, s2
	s_xor_b32 s2, exec_lo, s20
; %bb.697:                              ;   in Loop: Header=BB386_13 Depth=1
	v_bfe_u32 v91, v28, 16, 1
	s_delay_alu instid0(VALU_DEP_1)
	v_add3_u32 v91, v28, v91, 0x7fff
                                        ; implicit-def: $vgpr28
; %bb.698:                              ;   in Loop: Header=BB386_13 Depth=1
	s_and_not1_saveexec_b32 s20, s2
; %bb.699:                              ;   in Loop: Header=BB386_13 Depth=1
	v_and_b32_e32 v91, 0xffff, v28
	v_or_b32_e32 v93, 0x10000, v28
	s_delay_alu instid0(VALU_DEP_2) | instskip(NEXT) | instid1(VALU_DEP_1)
	v_cmp_eq_u32_e64 s2, 0, v91
	v_cndmask_b32_e64 v91, v93, v28, s2
; %bb.700:                              ;   in Loop: Header=BB386_13 Depth=1
	s_or_b32 exec_lo, exec_lo, s20
	v_lshrrev_b16 v93, 8, v92
	v_mov_b32_e32 v28, 0
	s_mov_b32 s20, exec_lo
	s_delay_alu instid0(VALU_DEP_2)
	v_cmpx_ne_u16_e32 0, v93
	s_cbranch_execz .LBB386_708
; %bb.701:                              ;   in Loop: Header=BB386_13 Depth=1
	v_bfrev_b32_e32 v28, 1
	s_mov_b32 s21, exec_lo
	v_cmpx_ne_u16_e32 0x80, v93
	s_cbranch_execz .LBB386_707
; %bb.702:                              ;   in Loop: Header=BB386_13 Depth=1
	v_and_b32_e32 v93, 0xffff, v93
	v_mov_b32_e32 v28, 0x7f800001
	s_mov_b32 s22, exec_lo
	s_delay_alu instid0(VALU_DEP_2) | instskip(NEXT) | instid1(VALU_DEP_1)
	v_and_b32_e32 v94, 0x7f, v93
	v_cmpx_ne_u32_e32 0x7f, v94
	s_cbranch_execz .LBB386_706
; %bb.703:                              ;   in Loop: Header=BB386_13 Depth=1
	v_and_b32_e32 v28, 7, v93
	v_lshrrev_b32_e32 v93, 3, v94
	s_mov_b32 s23, exec_lo
	v_cmpx_gt_u32_e32 8, v94
; %bb.704:                              ;   in Loop: Header=BB386_13 Depth=1
	s_delay_alu instid0(VALU_DEP_3) | instskip(NEXT) | instid1(VALU_DEP_1)
	v_clz_i32_u32_e32 v93, v28
	v_min_u32_e32 v93, 32, v93
	s_delay_alu instid0(VALU_DEP_1) | instskip(SKIP_1) | instid1(VALU_DEP_2)
	v_subrev_nc_u32_e32 v94, 28, v93
	v_sub_nc_u32_e32 v93, 29, v93
	v_lshlrev_b64 v[94:95], v94, v[28:29]
	s_delay_alu instid0(VALU_DEP_1)
	v_and_b32_e32 v28, 7, v94
; %bb.705:                              ;   in Loop: Header=BB386_13 Depth=1
	s_or_b32 exec_lo, exec_lo, s23
	v_lshlrev_b32_e32 v92, 16, v92
	s_delay_alu instid0(VALU_DEP_2) | instskip(SKIP_1) | instid1(VALU_DEP_3)
	v_lshlrev_b32_e32 v28, 20, v28
	v_lshl_add_u32 v93, v93, 23, 0x3c000000
	v_and_b32_e32 v92, 0x80000000, v92
	s_delay_alu instid0(VALU_DEP_1)
	v_or3_b32 v28, v28, v92, v93
.LBB386_706:                            ;   in Loop: Header=BB386_13 Depth=1
	s_or_b32 exec_lo, exec_lo, s22
.LBB386_707:                            ;   in Loop: Header=BB386_13 Depth=1
	s_delay_alu instid0(SALU_CYCLE_1)
	s_or_b32 exec_lo, exec_lo, s21
.LBB386_708:                            ;   in Loop: Header=BB386_13 Depth=1
	s_delay_alu instid0(SALU_CYCLE_1) | instskip(NEXT) | instid1(VALU_DEP_1)
	s_or_b32 exec_lo, exec_lo, s20
	v_mul_f32_e32 v28, v131, v28
	s_delay_alu instid0(VALU_DEP_1) | instskip(NEXT) | instid1(VALU_DEP_1)
	v_and_b32_e32 v92, 0x7f800000, v28
	v_cmp_ne_u32_e64 s2, 0x7f800000, v92
                                        ; implicit-def: $vgpr92
	s_delay_alu instid0(VALU_DEP_1) | instskip(NEXT) | instid1(SALU_CYCLE_1)
	s_and_saveexec_b32 s20, s2
	s_xor_b32 s2, exec_lo, s20
; %bb.709:                              ;   in Loop: Header=BB386_13 Depth=1
	v_bfe_u32 v92, v28, 16, 1
	s_delay_alu instid0(VALU_DEP_1)
	v_add3_u32 v92, v28, v92, 0x7fff
                                        ; implicit-def: $vgpr28
; %bb.710:                              ;   in Loop: Header=BB386_13 Depth=1
	s_and_not1_saveexec_b32 s20, s2
; %bb.711:                              ;   in Loop: Header=BB386_13 Depth=1
	v_and_b32_e32 v92, 0xffff, v28
	v_or_b32_e32 v93, 0x10000, v28
	s_delay_alu instid0(VALU_DEP_2) | instskip(NEXT) | instid1(VALU_DEP_1)
	v_cmp_eq_u32_e64 s2, 0, v92
	v_cndmask_b32_e64 v92, v93, v28, s2
; %bb.712:                              ;   in Loop: Header=BB386_13 Depth=1
	s_or_b32 exec_lo, exec_lo, s20
	flat_load_u16 v28, v[80:81] offset:1800
	s_mov_b32 s20, exec_lo
	s_waitcnt vmcnt(0) lgkmcnt(0)
	v_and_b32_e32 v93, 0xff, v28
	v_and_b32_e32 v94, 0xffff, v28
	v_mov_b32_e32 v28, 0
	s_delay_alu instid0(VALU_DEP_3)
	v_cmpx_ne_u16_e32 0, v93
	s_cbranch_execz .LBB386_720
; %bb.713:                              ;   in Loop: Header=BB386_13 Depth=1
	s_delay_alu instid0(VALU_DEP_3) | instskip(NEXT) | instid1(VALU_DEP_1)
	v_and_b32_e32 v28, 0xff, v94
	v_cmp_ne_u16_e64 s2, 0x80, v28
	v_bfrev_b32_e32 v28, 1
	s_delay_alu instid0(VALU_DEP_2)
	s_and_saveexec_b32 s21, s2
	s_cbranch_execz .LBB386_719
; %bb.714:                              ;   in Loop: Header=BB386_13 Depth=1
	v_and_b32_e32 v95, 0x7f, v94
	v_mov_b32_e32 v28, 0x7f800001
	s_mov_b32 s22, exec_lo
	s_delay_alu instid0(VALU_DEP_2)
	v_cmpx_ne_u32_e32 0x7f, v95
	s_cbranch_execz .LBB386_718
; %bb.715:                              ;   in Loop: Header=BB386_13 Depth=1
	v_and_b32_e32 v28, 7, v94
	v_lshrrev_b32_e32 v93, 3, v95
	s_mov_b32 s23, exec_lo
	v_cmpx_gt_u32_e32 8, v95
; %bb.716:                              ;   in Loop: Header=BB386_13 Depth=1
	s_delay_alu instid0(VALU_DEP_3) | instskip(NEXT) | instid1(VALU_DEP_1)
	v_clz_i32_u32_e32 v93, v28
	v_min_u32_e32 v93, 32, v93
	s_delay_alu instid0(VALU_DEP_1) | instskip(SKIP_1) | instid1(VALU_DEP_2)
	v_subrev_nc_u32_e32 v95, 28, v93
	v_sub_nc_u32_e32 v93, 29, v93
	v_lshlrev_b64 v[104:105], v95, v[28:29]
	s_delay_alu instid0(VALU_DEP_1)
	v_and_b32_e32 v28, 7, v104
; %bb.717:                              ;   in Loop: Header=BB386_13 Depth=1
	s_or_b32 exec_lo, exec_lo, s23
	v_lshlrev_b32_e32 v95, 24, v94
	s_delay_alu instid0(VALU_DEP_2) | instskip(SKIP_1) | instid1(VALU_DEP_3)
	v_lshlrev_b32_e32 v28, 20, v28
	v_lshl_add_u32 v93, v93, 23, 0x3c000000
	v_and_b32_e32 v95, 0x80000000, v95
	s_delay_alu instid0(VALU_DEP_1)
	v_or3_b32 v28, v28, v95, v93
.LBB386_718:                            ;   in Loop: Header=BB386_13 Depth=1
	s_or_b32 exec_lo, exec_lo, s22
.LBB386_719:                            ;   in Loop: Header=BB386_13 Depth=1
	s_delay_alu instid0(SALU_CYCLE_1)
	s_or_b32 exec_lo, exec_lo, s21
.LBB386_720:                            ;   in Loop: Header=BB386_13 Depth=1
	s_delay_alu instid0(SALU_CYCLE_1) | instskip(NEXT) | instid1(VALU_DEP_1)
	s_or_b32 exec_lo, exec_lo, s20
	v_mul_f32_e32 v28, v131, v28
	s_delay_alu instid0(VALU_DEP_1) | instskip(NEXT) | instid1(VALU_DEP_1)
	v_and_b32_e32 v93, 0x7f800000, v28
	v_cmp_ne_u32_e64 s2, 0x7f800000, v93
                                        ; implicit-def: $vgpr93
	s_delay_alu instid0(VALU_DEP_1) | instskip(NEXT) | instid1(SALU_CYCLE_1)
	s_and_saveexec_b32 s20, s2
	s_xor_b32 s2, exec_lo, s20
; %bb.721:                              ;   in Loop: Header=BB386_13 Depth=1
	v_bfe_u32 v93, v28, 16, 1
	s_delay_alu instid0(VALU_DEP_1)
	v_add3_u32 v93, v28, v93, 0x7fff
                                        ; implicit-def: $vgpr28
; %bb.722:                              ;   in Loop: Header=BB386_13 Depth=1
	s_and_not1_saveexec_b32 s20, s2
; %bb.723:                              ;   in Loop: Header=BB386_13 Depth=1
	v_and_b32_e32 v93, 0xffff, v28
	v_or_b32_e32 v95, 0x10000, v28
	s_delay_alu instid0(VALU_DEP_2) | instskip(NEXT) | instid1(VALU_DEP_1)
	v_cmp_eq_u32_e64 s2, 0, v93
	v_cndmask_b32_e64 v93, v95, v28, s2
; %bb.724:                              ;   in Loop: Header=BB386_13 Depth=1
	s_or_b32 exec_lo, exec_lo, s20
	v_lshrrev_b16 v95, 8, v94
	v_mov_b32_e32 v28, 0
	s_mov_b32 s20, exec_lo
	s_delay_alu instid0(VALU_DEP_2)
	v_cmpx_ne_u16_e32 0, v95
	s_cbranch_execz .LBB386_732
; %bb.725:                              ;   in Loop: Header=BB386_13 Depth=1
	v_bfrev_b32_e32 v28, 1
	s_mov_b32 s21, exec_lo
	v_cmpx_ne_u16_e32 0x80, v95
	s_cbranch_execz .LBB386_731
; %bb.726:                              ;   in Loop: Header=BB386_13 Depth=1
	v_and_b32_e32 v95, 0xffff, v95
	v_mov_b32_e32 v28, 0x7f800001
	s_mov_b32 s22, exec_lo
	s_delay_alu instid0(VALU_DEP_2) | instskip(NEXT) | instid1(VALU_DEP_1)
	v_and_b32_e32 v104, 0x7f, v95
	v_cmpx_ne_u32_e32 0x7f, v104
	s_cbranch_execz .LBB386_730
; %bb.727:                              ;   in Loop: Header=BB386_13 Depth=1
	v_and_b32_e32 v28, 7, v95
	v_lshrrev_b32_e32 v95, 3, v104
	s_mov_b32 s23, exec_lo
	v_cmpx_gt_u32_e32 8, v104
; %bb.728:                              ;   in Loop: Header=BB386_13 Depth=1
	s_delay_alu instid0(VALU_DEP_3) | instskip(NEXT) | instid1(VALU_DEP_1)
	v_clz_i32_u32_e32 v95, v28
	v_min_u32_e32 v95, 32, v95
	s_delay_alu instid0(VALU_DEP_1) | instskip(SKIP_1) | instid1(VALU_DEP_2)
	v_subrev_nc_u32_e32 v104, 28, v95
	v_sub_nc_u32_e32 v95, 29, v95
	v_lshlrev_b64 v[104:105], v104, v[28:29]
	s_delay_alu instid0(VALU_DEP_1)
	v_and_b32_e32 v28, 7, v104
; %bb.729:                              ;   in Loop: Header=BB386_13 Depth=1
	s_or_b32 exec_lo, exec_lo, s23
	v_lshlrev_b32_e32 v94, 16, v94
	s_delay_alu instid0(VALU_DEP_2) | instskip(SKIP_1) | instid1(VALU_DEP_3)
	v_lshlrev_b32_e32 v28, 20, v28
	v_lshl_add_u32 v95, v95, 23, 0x3c000000
	v_and_b32_e32 v94, 0x80000000, v94
	s_delay_alu instid0(VALU_DEP_1)
	v_or3_b32 v28, v28, v94, v95
.LBB386_730:                            ;   in Loop: Header=BB386_13 Depth=1
	s_or_b32 exec_lo, exec_lo, s22
.LBB386_731:                            ;   in Loop: Header=BB386_13 Depth=1
	s_delay_alu instid0(SALU_CYCLE_1)
	s_or_b32 exec_lo, exec_lo, s21
.LBB386_732:                            ;   in Loop: Header=BB386_13 Depth=1
	s_delay_alu instid0(SALU_CYCLE_1) | instskip(NEXT) | instid1(VALU_DEP_1)
	s_or_b32 exec_lo, exec_lo, s20
	v_mul_f32_e32 v28, v131, v28
	s_delay_alu instid0(VALU_DEP_1) | instskip(NEXT) | instid1(VALU_DEP_1)
	v_and_b32_e32 v94, 0x7f800000, v28
	v_cmp_ne_u32_e64 s2, 0x7f800000, v94
                                        ; implicit-def: $vgpr94
	s_delay_alu instid0(VALU_DEP_1) | instskip(NEXT) | instid1(SALU_CYCLE_1)
	s_and_saveexec_b32 s20, s2
	s_xor_b32 s2, exec_lo, s20
; %bb.733:                              ;   in Loop: Header=BB386_13 Depth=1
	v_bfe_u32 v94, v28, 16, 1
	s_delay_alu instid0(VALU_DEP_1)
	v_add3_u32 v94, v28, v94, 0x7fff
                                        ; implicit-def: $vgpr28
; %bb.734:                              ;   in Loop: Header=BB386_13 Depth=1
	s_and_not1_saveexec_b32 s20, s2
; %bb.735:                              ;   in Loop: Header=BB386_13 Depth=1
	v_and_b32_e32 v94, 0xffff, v28
	v_or_b32_e32 v95, 0x10000, v28
	s_delay_alu instid0(VALU_DEP_2) | instskip(NEXT) | instid1(VALU_DEP_1)
	v_cmp_eq_u32_e64 s2, 0, v94
	v_cndmask_b32_e64 v94, v95, v28, s2
; %bb.736:                              ;   in Loop: Header=BB386_13 Depth=1
	s_or_b32 exec_lo, exec_lo, s20
	flat_load_u16 v28, v[80:81] offset:1920
	s_mov_b32 s20, exec_lo
	s_waitcnt vmcnt(0) lgkmcnt(0)
	v_and_b32_e32 v95, 0xff, v28
	v_and_b32_e32 v104, 0xffff, v28
	v_mov_b32_e32 v28, 0
	s_delay_alu instid0(VALU_DEP_3)
	v_cmpx_ne_u16_e32 0, v95
	s_cbranch_execz .LBB386_744
; %bb.737:                              ;   in Loop: Header=BB386_13 Depth=1
	s_delay_alu instid0(VALU_DEP_3) | instskip(NEXT) | instid1(VALU_DEP_1)
	v_and_b32_e32 v28, 0xff, v104
	v_cmp_ne_u16_e64 s2, 0x80, v28
	v_bfrev_b32_e32 v28, 1
	s_delay_alu instid0(VALU_DEP_2)
	s_and_saveexec_b32 s21, s2
	s_cbranch_execz .LBB386_743
; %bb.738:                              ;   in Loop: Header=BB386_13 Depth=1
	v_and_b32_e32 v105, 0x7f, v104
	v_mov_b32_e32 v28, 0x7f800001
	s_mov_b32 s22, exec_lo
	s_delay_alu instid0(VALU_DEP_2)
	v_cmpx_ne_u32_e32 0x7f, v105
	s_cbranch_execz .LBB386_742
; %bb.739:                              ;   in Loop: Header=BB386_13 Depth=1
	v_and_b32_e32 v28, 7, v104
	v_lshrrev_b32_e32 v95, 3, v105
	s_mov_b32 s23, exec_lo
	v_cmpx_gt_u32_e32 8, v105
; %bb.740:                              ;   in Loop: Header=BB386_13 Depth=1
	s_delay_alu instid0(VALU_DEP_3) | instskip(NEXT) | instid1(VALU_DEP_1)
	v_clz_i32_u32_e32 v95, v28
	v_min_u32_e32 v95, 32, v95
	s_delay_alu instid0(VALU_DEP_1) | instskip(SKIP_1) | instid1(VALU_DEP_2)
	v_subrev_nc_u32_e32 v105, 28, v95
	v_sub_nc_u32_e32 v95, 29, v95
	v_lshlrev_b64 v[105:106], v105, v[28:29]
	s_delay_alu instid0(VALU_DEP_1)
	v_and_b32_e32 v28, 7, v105
; %bb.741:                              ;   in Loop: Header=BB386_13 Depth=1
	s_or_b32 exec_lo, exec_lo, s23
	v_lshlrev_b32_e32 v105, 24, v104
	s_delay_alu instid0(VALU_DEP_2) | instskip(SKIP_1) | instid1(VALU_DEP_3)
	v_lshlrev_b32_e32 v28, 20, v28
	v_lshl_add_u32 v95, v95, 23, 0x3c000000
	v_and_b32_e32 v105, 0x80000000, v105
	s_delay_alu instid0(VALU_DEP_1)
	v_or3_b32 v28, v28, v105, v95
.LBB386_742:                            ;   in Loop: Header=BB386_13 Depth=1
	s_or_b32 exec_lo, exec_lo, s22
.LBB386_743:                            ;   in Loop: Header=BB386_13 Depth=1
	s_delay_alu instid0(SALU_CYCLE_1)
	s_or_b32 exec_lo, exec_lo, s21
.LBB386_744:                            ;   in Loop: Header=BB386_13 Depth=1
	s_delay_alu instid0(SALU_CYCLE_1) | instskip(NEXT) | instid1(VALU_DEP_1)
	s_or_b32 exec_lo, exec_lo, s20
	v_mul_f32_e32 v28, v131, v28
	s_delay_alu instid0(VALU_DEP_1) | instskip(NEXT) | instid1(VALU_DEP_1)
	v_and_b32_e32 v95, 0x7f800000, v28
	v_cmp_ne_u32_e64 s2, 0x7f800000, v95
                                        ; implicit-def: $vgpr95
	s_delay_alu instid0(VALU_DEP_1) | instskip(NEXT) | instid1(SALU_CYCLE_1)
	s_and_saveexec_b32 s20, s2
	s_xor_b32 s2, exec_lo, s20
; %bb.745:                              ;   in Loop: Header=BB386_13 Depth=1
	v_bfe_u32 v95, v28, 16, 1
	s_delay_alu instid0(VALU_DEP_1)
	v_add3_u32 v95, v28, v95, 0x7fff
                                        ; implicit-def: $vgpr28
; %bb.746:                              ;   in Loop: Header=BB386_13 Depth=1
	s_and_not1_saveexec_b32 s20, s2
; %bb.747:                              ;   in Loop: Header=BB386_13 Depth=1
	v_and_b32_e32 v95, 0xffff, v28
	v_or_b32_e32 v105, 0x10000, v28
	s_delay_alu instid0(VALU_DEP_2) | instskip(NEXT) | instid1(VALU_DEP_1)
	v_cmp_eq_u32_e64 s2, 0, v95
	v_cndmask_b32_e64 v95, v105, v28, s2
; %bb.748:                              ;   in Loop: Header=BB386_13 Depth=1
	s_or_b32 exec_lo, exec_lo, s20
	v_lshrrev_b16 v105, 8, v104
	v_mov_b32_e32 v28, 0
	s_mov_b32 s20, exec_lo
	s_delay_alu instid0(VALU_DEP_2)
	v_cmpx_ne_u16_e32 0, v105
	s_cbranch_execz .LBB386_756
; %bb.749:                              ;   in Loop: Header=BB386_13 Depth=1
	v_bfrev_b32_e32 v28, 1
	s_mov_b32 s21, exec_lo
	v_cmpx_ne_u16_e32 0x80, v105
	s_cbranch_execz .LBB386_755
; %bb.750:                              ;   in Loop: Header=BB386_13 Depth=1
	v_and_b32_e32 v105, 0xffff, v105
	v_mov_b32_e32 v28, 0x7f800001
	s_mov_b32 s22, exec_lo
	s_delay_alu instid0(VALU_DEP_2) | instskip(NEXT) | instid1(VALU_DEP_1)
	v_and_b32_e32 v106, 0x7f, v105
	v_cmpx_ne_u32_e32 0x7f, v106
	s_cbranch_execz .LBB386_754
; %bb.751:                              ;   in Loop: Header=BB386_13 Depth=1
	v_and_b32_e32 v28, 7, v105
	v_lshrrev_b32_e32 v105, 3, v106
	s_mov_b32 s23, exec_lo
	v_cmpx_gt_u32_e32 8, v106
; %bb.752:                              ;   in Loop: Header=BB386_13 Depth=1
	s_delay_alu instid0(VALU_DEP_3) | instskip(NEXT) | instid1(VALU_DEP_1)
	v_clz_i32_u32_e32 v105, v28
	v_min_u32_e32 v105, 32, v105
	s_delay_alu instid0(VALU_DEP_1) | instskip(SKIP_1) | instid1(VALU_DEP_2)
	v_subrev_nc_u32_e32 v106, 28, v105
	v_sub_nc_u32_e32 v105, 29, v105
	v_lshlrev_b64 v[106:107], v106, v[28:29]
	s_delay_alu instid0(VALU_DEP_1)
	v_and_b32_e32 v28, 7, v106
; %bb.753:                              ;   in Loop: Header=BB386_13 Depth=1
	s_or_b32 exec_lo, exec_lo, s23
	v_lshlrev_b32_e32 v104, 16, v104
	s_delay_alu instid0(VALU_DEP_2) | instskip(SKIP_1) | instid1(VALU_DEP_3)
	v_lshlrev_b32_e32 v28, 20, v28
	v_lshl_add_u32 v105, v105, 23, 0x3c000000
	v_and_b32_e32 v104, 0x80000000, v104
	s_delay_alu instid0(VALU_DEP_1)
	v_or3_b32 v28, v28, v104, v105
.LBB386_754:                            ;   in Loop: Header=BB386_13 Depth=1
	s_or_b32 exec_lo, exec_lo, s22
.LBB386_755:                            ;   in Loop: Header=BB386_13 Depth=1
	s_delay_alu instid0(SALU_CYCLE_1)
	s_or_b32 exec_lo, exec_lo, s21
.LBB386_756:                            ;   in Loop: Header=BB386_13 Depth=1
	s_delay_alu instid0(SALU_CYCLE_1) | instskip(NEXT) | instid1(VALU_DEP_1)
	s_or_b32 exec_lo, exec_lo, s20
	v_mul_f32_e32 v28, v131, v28
	s_delay_alu instid0(VALU_DEP_1) | instskip(NEXT) | instid1(VALU_DEP_1)
	v_and_b32_e32 v104, 0x7f800000, v28
	v_cmp_ne_u32_e64 s2, 0x7f800000, v104
                                        ; implicit-def: $vgpr104
	s_delay_alu instid0(VALU_DEP_1) | instskip(NEXT) | instid1(SALU_CYCLE_1)
	s_and_saveexec_b32 s20, s2
	s_xor_b32 s2, exec_lo, s20
; %bb.757:                              ;   in Loop: Header=BB386_13 Depth=1
	v_bfe_u32 v104, v28, 16, 1
	s_delay_alu instid0(VALU_DEP_1)
	v_add3_u32 v104, v28, v104, 0x7fff
                                        ; implicit-def: $vgpr28
; %bb.758:                              ;   in Loop: Header=BB386_13 Depth=1
	s_and_not1_saveexec_b32 s20, s2
; %bb.759:                              ;   in Loop: Header=BB386_13 Depth=1
	v_and_b32_e32 v104, 0xffff, v28
	v_or_b32_e32 v105, 0x10000, v28
	s_delay_alu instid0(VALU_DEP_2) | instskip(NEXT) | instid1(VALU_DEP_1)
	v_cmp_eq_u32_e64 s2, 0, v104
	v_cndmask_b32_e64 v104, v105, v28, s2
; %bb.760:                              ;   in Loop: Header=BB386_13 Depth=1
	s_or_b32 exec_lo, exec_lo, s20
	flat_load_u16 v28, v[80:81] offset:1928
	s_mov_b32 s20, exec_lo
	s_waitcnt vmcnt(0) lgkmcnt(0)
	v_and_b32_e32 v80, 0xff, v28
	v_dual_mov_b32 v28, 0 :: v_dual_and_b32 v81, 0xffff, v28
	s_delay_alu instid0(VALU_DEP_2)
	v_cmpx_ne_u16_e32 0, v80
	s_cbranch_execz .LBB386_768
; %bb.761:                              ;   in Loop: Header=BB386_13 Depth=1
	s_delay_alu instid0(VALU_DEP_2) | instskip(NEXT) | instid1(VALU_DEP_1)
	v_and_b32_e32 v28, 0xff, v81
	v_cmp_ne_u16_e64 s2, 0x80, v28
	v_bfrev_b32_e32 v28, 1
	s_delay_alu instid0(VALU_DEP_2)
	s_and_saveexec_b32 s21, s2
	s_cbranch_execz .LBB386_767
; %bb.762:                              ;   in Loop: Header=BB386_13 Depth=1
	v_and_b32_e32 v105, 0x7f, v81
	v_mov_b32_e32 v28, 0x7f800001
	s_mov_b32 s22, exec_lo
	s_delay_alu instid0(VALU_DEP_2)
	v_cmpx_ne_u32_e32 0x7f, v105
	s_cbranch_execz .LBB386_766
; %bb.763:                              ;   in Loop: Header=BB386_13 Depth=1
	v_and_b32_e32 v28, 7, v81
	v_lshrrev_b32_e32 v80, 3, v105
	s_mov_b32 s23, exec_lo
	v_cmpx_gt_u32_e32 8, v105
; %bb.764:                              ;   in Loop: Header=BB386_13 Depth=1
	s_delay_alu instid0(VALU_DEP_3) | instskip(NEXT) | instid1(VALU_DEP_1)
	v_clz_i32_u32_e32 v80, v28
	v_min_u32_e32 v80, 32, v80
	s_delay_alu instid0(VALU_DEP_1) | instskip(SKIP_1) | instid1(VALU_DEP_2)
	v_subrev_nc_u32_e32 v105, 28, v80
	v_sub_nc_u32_e32 v80, 29, v80
	v_lshlrev_b64 v[105:106], v105, v[28:29]
	s_delay_alu instid0(VALU_DEP_1)
	v_and_b32_e32 v28, 7, v105
; %bb.765:                              ;   in Loop: Header=BB386_13 Depth=1
	s_or_b32 exec_lo, exec_lo, s23
	v_lshlrev_b32_e32 v105, 24, v81
	s_delay_alu instid0(VALU_DEP_2) | instskip(SKIP_1) | instid1(VALU_DEP_3)
	v_lshlrev_b32_e32 v28, 20, v28
	v_lshl_add_u32 v80, v80, 23, 0x3c000000
	v_and_b32_e32 v105, 0x80000000, v105
	s_delay_alu instid0(VALU_DEP_1)
	v_or3_b32 v28, v28, v105, v80
.LBB386_766:                            ;   in Loop: Header=BB386_13 Depth=1
	s_or_b32 exec_lo, exec_lo, s22
.LBB386_767:                            ;   in Loop: Header=BB386_13 Depth=1
	s_delay_alu instid0(SALU_CYCLE_1)
	s_or_b32 exec_lo, exec_lo, s21
.LBB386_768:                            ;   in Loop: Header=BB386_13 Depth=1
	s_delay_alu instid0(SALU_CYCLE_1) | instskip(NEXT) | instid1(VALU_DEP_1)
	s_or_b32 exec_lo, exec_lo, s20
	v_mul_f32_e32 v28, v131, v28
	s_delay_alu instid0(VALU_DEP_1) | instskip(NEXT) | instid1(VALU_DEP_1)
	v_and_b32_e32 v80, 0x7f800000, v28
	v_cmp_ne_u32_e64 s2, 0x7f800000, v80
                                        ; implicit-def: $vgpr80
	s_delay_alu instid0(VALU_DEP_1) | instskip(NEXT) | instid1(SALU_CYCLE_1)
	s_and_saveexec_b32 s20, s2
	s_xor_b32 s2, exec_lo, s20
; %bb.769:                              ;   in Loop: Header=BB386_13 Depth=1
	v_bfe_u32 v80, v28, 16, 1
	s_delay_alu instid0(VALU_DEP_1)
	v_add3_u32 v80, v28, v80, 0x7fff
                                        ; implicit-def: $vgpr28
; %bb.770:                              ;   in Loop: Header=BB386_13 Depth=1
	s_and_not1_saveexec_b32 s20, s2
; %bb.771:                              ;   in Loop: Header=BB386_13 Depth=1
	v_and_b32_e32 v80, 0xffff, v28
	v_or_b32_e32 v105, 0x10000, v28
	s_delay_alu instid0(VALU_DEP_2) | instskip(NEXT) | instid1(VALU_DEP_1)
	v_cmp_eq_u32_e64 s2, 0, v80
	v_cndmask_b32_e64 v80, v105, v28, s2
; %bb.772:                              ;   in Loop: Header=BB386_13 Depth=1
	s_or_b32 exec_lo, exec_lo, s20
	v_lshrrev_b16 v105, 8, v81
	v_mov_b32_e32 v28, 0
	s_mov_b32 s20, exec_lo
	s_delay_alu instid0(VALU_DEP_2)
	v_cmpx_ne_u16_e32 0, v105
	s_cbranch_execz .LBB386_780
; %bb.773:                              ;   in Loop: Header=BB386_13 Depth=1
	v_bfrev_b32_e32 v28, 1
	s_mov_b32 s21, exec_lo
	v_cmpx_ne_u16_e32 0x80, v105
	s_cbranch_execz .LBB386_779
; %bb.774:                              ;   in Loop: Header=BB386_13 Depth=1
	v_and_b32_e32 v105, 0xffff, v105
	v_mov_b32_e32 v28, 0x7f800001
	s_mov_b32 s22, exec_lo
	s_delay_alu instid0(VALU_DEP_2) | instskip(NEXT) | instid1(VALU_DEP_1)
	v_and_b32_e32 v106, 0x7f, v105
	v_cmpx_ne_u32_e32 0x7f, v106
	s_cbranch_execz .LBB386_778
; %bb.775:                              ;   in Loop: Header=BB386_13 Depth=1
	v_and_b32_e32 v28, 7, v105
	v_lshrrev_b32_e32 v105, 3, v106
	s_mov_b32 s23, exec_lo
	v_cmpx_gt_u32_e32 8, v106
; %bb.776:                              ;   in Loop: Header=BB386_13 Depth=1
	s_delay_alu instid0(VALU_DEP_3) | instskip(NEXT) | instid1(VALU_DEP_1)
	v_clz_i32_u32_e32 v105, v28
	v_min_u32_e32 v105, 32, v105
	s_delay_alu instid0(VALU_DEP_1) | instskip(SKIP_1) | instid1(VALU_DEP_2)
	v_subrev_nc_u32_e32 v106, 28, v105
	v_sub_nc_u32_e32 v105, 29, v105
	v_lshlrev_b64 v[106:107], v106, v[28:29]
	s_delay_alu instid0(VALU_DEP_1)
	v_and_b32_e32 v28, 7, v106
; %bb.777:                              ;   in Loop: Header=BB386_13 Depth=1
	s_or_b32 exec_lo, exec_lo, s23
	v_lshlrev_b32_e32 v81, 16, v81
	s_delay_alu instid0(VALU_DEP_2) | instskip(SKIP_1) | instid1(VALU_DEP_3)
	v_lshlrev_b32_e32 v28, 20, v28
	v_lshl_add_u32 v105, v105, 23, 0x3c000000
	v_and_b32_e32 v81, 0x80000000, v81
	s_delay_alu instid0(VALU_DEP_1)
	v_or3_b32 v28, v28, v81, v105
.LBB386_778:                            ;   in Loop: Header=BB386_13 Depth=1
	s_or_b32 exec_lo, exec_lo, s22
.LBB386_779:                            ;   in Loop: Header=BB386_13 Depth=1
	s_delay_alu instid0(SALU_CYCLE_1)
	s_or_b32 exec_lo, exec_lo, s21
.LBB386_780:                            ;   in Loop: Header=BB386_13 Depth=1
	s_delay_alu instid0(SALU_CYCLE_1) | instskip(NEXT) | instid1(VALU_DEP_1)
	s_or_b32 exec_lo, exec_lo, s20
	v_mul_f32_e32 v81, v131, v28
	s_delay_alu instid0(VALU_DEP_1) | instskip(NEXT) | instid1(VALU_DEP_1)
	v_and_b32_e32 v28, 0x7f800000, v81
	v_cmp_ne_u32_e64 s2, 0x7f800000, v28
                                        ; implicit-def: $vgpr28
	s_delay_alu instid0(VALU_DEP_1) | instskip(NEXT) | instid1(SALU_CYCLE_1)
	s_and_saveexec_b32 s20, s2
	s_xor_b32 s2, exec_lo, s20
; %bb.781:                              ;   in Loop: Header=BB386_13 Depth=1
	v_bfe_u32 v28, v81, 16, 1
	s_delay_alu instid0(VALU_DEP_1)
	v_add3_u32 v28, v81, v28, 0x7fff
                                        ; implicit-def: $vgpr81
; %bb.782:                              ;   in Loop: Header=BB386_13 Depth=1
	s_and_not1_saveexec_b32 s20, s2
; %bb.783:                              ;   in Loop: Header=BB386_13 Depth=1
	v_and_b32_e32 v28, 0xffff, v81
	v_or_b32_e32 v131, 0x10000, v81
	s_delay_alu instid0(VALU_DEP_2) | instskip(NEXT) | instid1(VALU_DEP_1)
	v_cmp_eq_u32_e64 s2, 0, v28
	v_cndmask_b32_e64 v28, v131, v81, s2
; %bb.784:                              ;   in Loop: Header=BB386_13 Depth=1
	s_or_b32 exec_lo, exec_lo, s20
	v_and_b32_e32 v131, 0xffff0000, v75
	v_and_b32_e32 v133, 0xffff0000, v133
	v_lshlrev_b32_e32 v75, 16, v53
	v_and_b32_e32 v81, 0xffff0000, v78
	v_and_b32_e32 v72, 0xffff0000, v72
	;; [unrolled: 1-line block ×3, first 2 shown]
	s_delay_alu instid0(VALU_DEP_4)
	v_dual_mul_f32 v133, v75, v133 :: v_dual_lshlrev_b32 v78, 16, v52
	v_and_b32_e32 v148, 0xffff0000, v148
	v_and_b32_e32 v53, 0xffff0000, v53
	;; [unrolled: 1-line block ×4, first 2 shown]
	v_fmac_f32_e32 v133, v78, v130
	v_and_b32_e32 v134, 0xffff0000, v134
	v_and_b32_e32 v160, 0xffff0000, v160
	v_lshlrev_b32_e32 v130, 16, v55
	v_and_b32_e32 v55, 0xffff0000, v55
	s_delay_alu instid0(VALU_DEP_4)
	v_dual_mul_f32 v53, v53, v134 :: v_dual_and_b32 v132, 0xffff0000, v132
	v_and_b32_e32 v62, 0xffff0000, v62
	v_and_b32_e32 v134, 0xffff0000, v135
	v_lshlrev_b32_e32 v135, 16, v54
	v_and_b32_e32 v144, 0xffff0000, v144
	v_dual_fmac_f32 v53, v52, v132 :: v_dual_and_b32 v54, 0xffff0000, v54
	s_delay_alu instid0(VALU_DEP_3) | instskip(SKIP_1) | instid1(VALU_DEP_3)
	v_dual_fmac_f32 v133, v135, v134 :: v_dual_and_b32 v52, 0xffff0000, v145
	v_and_b32_e32 v150, 0xffff0000, v150
	v_dual_fmac_f32 v53, v54, v144 :: v_dual_and_b32 v146, 0xffff0000, v146
	v_and_b32_e32 v165, 0xffff0000, v165
	s_delay_alu instid0(VALU_DEP_4) | instskip(SKIP_1) | instid1(VALU_DEP_4)
	v_fmac_f32_e32 v133, v130, v52
	v_lshlrev_b32_e32 v132, 16, v48
	v_dual_fmac_f32 v53, v55, v146 :: v_dual_and_b32 v48, 0xffff0000, v48
	v_and_b32_e32 v54, 0xffff0000, v147
	v_lshlrev_b32_e32 v55, 16, v49
	v_and_b32_e32 v49, 0xffff0000, v49
	v_and_b32_e32 v167, 0xffff0000, v167
	v_dual_fmac_f32 v53, v48, v148 :: v_dual_and_b32 v52, 0xffff0000, v149
	v_fmac_f32_e32 v133, v132, v54
	v_lshlrev_b32_e32 v54, 16, v50
	v_and_b32_e32 v50, 0xffff0000, v50
	s_delay_alu instid0(VALU_DEP_4) | instskip(SKIP_3) | instid1(VALU_DEP_4)
	v_fmac_f32_e32 v53, v49, v150
	v_and_b32_e32 v181, 0xffff0000, v181
	v_dual_fmac_f32 v133, v55, v52 :: v_dual_lshlrev_b32 v52, 16, v51
	v_and_b32_e32 v51, 0xffff0000, v51
	v_dual_fmac_f32 v53, v50, v160 :: v_dual_lshlrev_b32 v50, 16, v35
	v_and_b32_e32 v35, 0xffff0000, v35
	v_and_b32_e32 v177, 0xffff0000, v177
	;; [unrolled: 1-line block ×3, first 2 shown]
	s_delay_alu instid0(VALU_DEP_4)
	v_fmac_f32_e32 v53, v51, v163
	v_lshlrev_b32_e32 v51, 16, v36
	v_and_b32_e32 v36, 0xffff0000, v36
	v_and_b32_e32 v179, 0xffff0000, v179
	;; [unrolled: 1-line block ×3, first 2 shown]
	v_fmac_f32_e32 v53, v35, v165
	v_and_b32_e32 v41, 0xffff0000, v41
	v_and_b32_e32 v45, 0xffff0000, v45
	;; [unrolled: 1-line block ×4, first 2 shown]
	v_fmac_f32_e32 v53, v36, v167
	v_and_b32_e32 v48, 0xffff0000, v151
	v_and_b32_e32 v57, 0xffff0000, v57
	;; [unrolled: 1-line block ×5, first 2 shown]
	v_dual_fmac_f32 v133, v54, v48 :: v_dual_and_b32 v48, 0xffff0000, v162
	v_and_b32_e32 v73, 0xffff0000, v73
	s_delay_alu instid0(VALU_DEP_2) | instskip(SKIP_1) | instid1(VALU_DEP_2)
	v_fmac_f32_e32 v133, v52, v49
	v_and_b32_e32 v49, 0xffff0000, v164
	v_dual_fmac_f32 v133, v50, v48 :: v_dual_lshlrev_b32 v48, 16, v37
	v_and_b32_e32 v37, 0xffff0000, v37
	s_delay_alu instid0(VALU_DEP_2) | instskip(SKIP_1) | instid1(VALU_DEP_3)
	v_fmac_f32_e32 v133, v51, v49
	v_lshlrev_b32_e32 v49, 16, v38
	v_dual_fmac_f32 v53, v37, v177 :: v_dual_and_b32 v38, 0xffff0000, v38
	v_lshlrev_b32_e32 v37, 16, v31
	v_and_b32_e32 v31, 0xffff0000, v31
	s_delay_alu instid0(VALU_DEP_3) | instskip(NEXT) | instid1(VALU_DEP_1)
	v_dual_fmac_f32 v53, v38, v179 :: v_dual_lshlrev_b32 v38, 16, v32
	v_dual_fmac_f32 v53, v31, v181 :: v_dual_and_b32 v32, 0xffff0000, v32
	v_and_b32_e32 v31, 0xffff0000, v182
	s_delay_alu instid0(VALU_DEP_2) | instskip(SKIP_2) | instid1(VALU_DEP_2)
	v_dual_fmac_f32 v53, v32, v183 :: v_dual_and_b32 v36, 0xffff0000, v176
	v_fmac_f32_e32 v133, v48, v35
	v_and_b32_e32 v35, 0xffff0000, v178
	v_fmac_f32_e32 v133, v49, v36
	s_delay_alu instid0(VALU_DEP_1) | instskip(SKIP_2) | instid1(VALU_DEP_1)
	v_fmac_f32_e32 v133, v37, v35
	v_lshlrev_b32_e32 v35, 16, v33
	v_and_b32_e32 v33, 0xffff0000, v33
	v_dual_fmac_f32 v53, v33, v41 :: v_dual_and_b32 v36, 0xffff0000, v180
	v_lshlrev_b32_e32 v33, 16, v16
	v_and_b32_e32 v16, 0xffff0000, v16
	s_delay_alu instid0(VALU_DEP_3) | instskip(NEXT) | instid1(VALU_DEP_1)
	v_dual_fmac_f32 v133, v38, v36 :: v_dual_lshlrev_b32 v36, 16, v34
	v_dual_fmac_f32 v133, v35, v31 :: v_dual_and_b32 v34, 0xffff0000, v34
	v_and_b32_e32 v31, 0xffff0000, v42
	s_delay_alu instid0(VALU_DEP_2) | instskip(NEXT) | instid1(VALU_DEP_1)
	v_fmac_f32_e32 v53, v34, v43
	v_dual_fmac_f32 v53, v16, v45 :: v_dual_and_b32 v16, 0xffff0000, v46
	v_lshlrev_b32_e32 v34, 16, v17
	v_and_b32_e32 v17, 0xffff0000, v17
	s_delay_alu instid0(VALU_DEP_1) | instskip(NEXT) | instid1(VALU_DEP_1)
	v_dual_fmac_f32 v53, v17, v47 :: v_dual_and_b32 v32, 0xffff0000, v40
	v_fmac_f32_e32 v133, v36, v32
	v_and_b32_e32 v17, 0xffff0000, v56
	s_delay_alu instid0(VALU_DEP_2) | instskip(SKIP_3) | instid1(VALU_DEP_2)
	v_fmac_f32_e32 v133, v33, v31
	v_lshlrev_b32_e32 v31, 16, v18
	v_and_b32_e32 v18, 0xffff0000, v18
	v_and_b32_e32 v33, 0xffff0000, v88
	v_dual_fmac_f32 v53, v18, v57 :: v_dual_and_b32 v32, 0xffff0000, v44
	s_delay_alu instid0(VALU_DEP_1) | instskip(NEXT) | instid1(VALU_DEP_1)
	v_dual_fmac_f32 v133, v34, v32 :: v_dual_lshlrev_b32 v18, 16, v6
	v_dual_fmac_f32 v133, v31, v16 :: v_dual_and_b32 v16, 0xffff0000, v58
	v_lshlrev_b32_e32 v32, 16, v19
	v_and_b32_e32 v19, 0xffff0000, v19
	v_and_b32_e32 v31, 0xffff0000, v7
	s_delay_alu instid0(VALU_DEP_3) | instskip(NEXT) | instid1(VALU_DEP_3)
	v_fmac_f32_e32 v133, v32, v17
	v_fmac_f32_e32 v53, v19, v59
	v_and_b32_e32 v17, 0xffff0000, v60
	v_lshlrev_b32_e32 v19, 16, v7
	s_delay_alu instid0(VALU_DEP_4) | instskip(SKIP_3) | instid1(VALU_DEP_4)
	v_fmac_f32_e32 v133, v18, v16
	v_lshlrev_b32_e32 v16, 16, v8
	v_lshlrev_b32_e32 v18, 16, v9
	v_and_b32_e32 v9, 0xffff0000, v9
	v_fmac_f32_e32 v133, v19, v17
	v_and_b32_e32 v17, 0xffff0000, v63
	v_and_b32_e32 v8, 0xffff0000, v8
	;; [unrolled: 1-line block ×3, first 2 shown]
	v_lshlrev_b32_e32 v19, 16, v129
	s_delay_alu instid0(VALU_DEP_2) | instskip(SKIP_4) | instid1(VALU_DEP_2)
	v_fmac_f32_e32 v53, v6, v61
	ds_load_2addr_b32 v[6:7], v114 offset0:25 offset1:26
	v_fmac_f32_e32 v53, v31, v62
	v_fmac_f32_e32 v133, v16, v72
	v_and_b32_e32 v31, 0xffff0000, v129
	v_fmac_f32_e32 v133, v18, v17
	s_delay_alu instid0(VALU_DEP_4) | instskip(NEXT) | instid1(VALU_DEP_1)
	v_fmac_f32_e32 v53, v8, v73
	v_fmac_f32_e32 v53, v9, v131
	ds_load_2addr_b32 v[8:9], v114 offset0:27 offset1:28
	v_dual_fmac_f32 v53, v31, v81 :: v_dual_and_b32 v16, 0xffff0000, v74
	s_delay_alu instid0(VALU_DEP_1)
	v_dual_fmac_f32 v133, v19, v16 :: v_dual_and_b32 v18, 0xffff0000, v77
	s_waitcnt lgkmcnt(1)
	v_lshlrev_b32_e32 v31, 16, v6
	v_and_b32_e32 v6, 0xffff0000, v6
	v_and_b32_e32 v32, 0xffff0000, v76
	ds_load_2addr_b32 v[16:17], v114 offset0:29 offset1:30
	ds_load_b32 v19, v114 offset:124
	v_fmac_f32_e32 v53, v6, v18
	v_fmac_f32_e32 v133, v31, v32
	v_and_b32_e32 v31, 0xffff0000, v89
	v_and_b32_e32 v18, 0xffff0000, v90
	v_lshlrev_b32_e32 v6, 16, v7
	v_and_b32_e32 v7, 0xffff0000, v7
	s_delay_alu instid0(VALU_DEP_1) | instskip(SKIP_2) | instid1(VALU_DEP_1)
	v_dual_fmac_f32 v53, v7, v33 :: v_dual_and_b32 v34, 0xffff0000, v79
	s_waitcnt lgkmcnt(2)
	v_and_b32_e32 v7, 0xffff0000, v8
	v_fmac_f32_e32 v53, v7, v18
	s_delay_alu instid0(VALU_DEP_3) | instskip(SKIP_2) | instid1(VALU_DEP_3)
	v_dual_fmac_f32 v133, v6, v34 :: v_dual_lshlrev_b32 v6, 16, v8
	v_and_b32_e32 v7, 0xffff0000, v9
	v_and_b32_e32 v32, 0xffff0000, v91
	v_dual_fmac_f32 v133, v6, v31 :: v_dual_lshlrev_b32 v6, 16, v9
	v_and_b32_e32 v9, 0xffff0000, v94
	s_delay_alu instid0(VALU_DEP_2) | instskip(SKIP_2) | instid1(VALU_DEP_1)
	v_dual_fmac_f32 v133, v6, v32 :: v_dual_and_b32 v18, 0xffff0000, v93
	s_waitcnt lgkmcnt(1)
	v_lshlrev_b32_e32 v6, 16, v16
	v_dual_fmac_f32 v133, v6, v18 :: v_dual_and_b32 v8, 0xffff0000, v92
	s_delay_alu instid0(VALU_DEP_1) | instskip(SKIP_3) | instid1(VALU_DEP_3)
	v_fmac_f32_e32 v53, v7, v8
	v_and_b32_e32 v7, 0xffff0000, v16
	v_lshlrev_b32_e32 v6, 16, v17
	v_and_b32_e32 v18, 0xffff0000, v28
	v_dual_fmac_f32 v53, v7, v9 :: v_dual_and_b32 v16, 0xffff0000, v95
	v_and_b32_e32 v7, 0xffff0000, v17
	v_and_b32_e32 v9, 0xffff0000, v80
	v_xor_b32_e32 v17, 2, v101
	s_waitcnt lgkmcnt(0)
	v_dual_fmac_f32 v133, v6, v16 :: v_dual_lshlrev_b32 v6, 16, v19
	v_and_b32_e32 v8, 0xffff0000, v104
	s_delay_alu instid0(VALU_DEP_3) | instskip(NEXT) | instid1(VALU_DEP_3)
	v_cmp_gt_i32_e64 s2, 32, v17
	v_fmac_f32_e32 v133, v6, v9
	s_delay_alu instid0(VALU_DEP_3) | instskip(SKIP_1) | instid1(VALU_DEP_4)
	v_fmac_f32_e32 v53, v7, v8
	v_and_b32_e32 v7, 0xffff0000, v19
	v_cndmask_b32_e64 v8, v101, v17, s2
	s_delay_alu instid0(VALU_DEP_1) | instskip(SKIP_1) | instid1(VALU_DEP_2)
	v_dual_fmac_f32 v53, v7, v18 :: v_dual_lshlrev_b32 v6, 2, v8
	v_xor_b32_e32 v8, 1, v101
	v_add_f32_e32 v7, v133, v53
	s_delay_alu instid0(VALU_DEP_2) | instskip(SKIP_2) | instid1(VALU_DEP_1)
	v_cmp_gt_i32_e64 s2, 32, v8
	ds_bpermute_b32 v6, v6, v7
	v_cndmask_b32_e64 v8, v101, v8, s2
	v_lshlrev_b32_e32 v8, 2, v8
	s_waitcnt lgkmcnt(0)
	v_add_f32_e32 v6, v7, v6
	ds_bpermute_b32 v7, v8, v6
	s_and_saveexec_b32 s20, vcc_lo
	s_cbranch_execz .LBB386_11
; %bb.785:                              ;   in Loop: Header=BB386_13 Depth=1
	v_add_nc_u32_e32 v8, v118, v115
	s_load_b32 s21, s[8:9], 0x0
	s_waitcnt lgkmcnt(0)
	v_add_f32_e32 v6, v6, v7
	s_delay_alu instid0(VALU_DEP_2) | instskip(NEXT) | instid1(VALU_DEP_1)
	v_cvt_f32_i32_e32 v8, v8
	v_mul_f32_e32 v8, v100, v8
	s_delay_alu instid0(VALU_DEP_1) | instskip(SKIP_1) | instid1(VALU_DEP_2)
	v_cndmask_b32_e64 v7, 0, v8, s1
	v_max_f32_e32 v8, v102, v102
	v_dual_fmac_f32 v7, v6, v13 :: v_dual_add_nc_u32 v6, v112, v115
	s_delay_alu instid0(VALU_DEP_1) | instskip(NEXT) | instid1(VALU_DEP_2)
	v_max_f32_e32 v8, v8, v7
	v_cmp_lt_i32_e64 s2, v6, v83
	v_add_nc_u32_e32 v6, s21, v117
	s_delay_alu instid0(VALU_DEP_2) | instskip(NEXT) | instid1(VALU_DEP_4)
	v_cndmask_b32_e64 v7, 0, v7, s2
	v_cndmask_b32_e64 v102, v102, v8, s2
	ds_store_b32 v6, v7
	s_branch .LBB386_11
.LBB386_786:
	s_or_b32 exec_lo, exec_lo, s19
.LBB386_787:
	s_delay_alu instid0(SALU_CYCLE_1)
	s_or_b32 exec_lo, exec_lo, s18
	v_xor_b32_e32 v6, 16, v101
	s_waitcnt lgkmcnt(0)
	v_xor_b32_e32 v7, 8, v101
	v_lshlrev_b32_e32 v16, 2, v21
	s_lshr_b32 s8, s17, 16
	v_cmp_gt_i32_e32 vcc_lo, 32, v6
	v_cndmask_b32_e32 v6, v101, v6, vcc_lo
	v_cmp_gt_i32_e32 vcc_lo, 32, v7
	v_dual_max_f32 v8, v102, v102 :: v_dual_cndmask_b32 v7, v101, v7
	s_delay_alu instid0(VALU_DEP_1) | instskip(NEXT) | instid1(VALU_DEP_4)
	v_lshlrev_b32_e32 v13, 2, v7
	v_lshlrev_b32_e32 v9, 2, v6
	ds_bpermute_b32 v6, v9, v102
	s_waitcnt lgkmcnt(0)
	v_max_f32_e32 v6, v6, v6
	s_delay_alu instid0(VALU_DEP_1)
	v_max_f32_e32 v6, v8, v6
	v_xor_b32_e32 v8, 4, v101
	ds_bpermute_b32 v7, v13, v6
	v_cmp_gt_i32_e32 vcc_lo, 32, v8
	v_cndmask_b32_e32 v8, v101, v8, vcc_lo
	s_waitcnt lgkmcnt(0)
	s_delay_alu instid0(VALU_DEP_1) | instskip(NEXT) | instid1(VALU_DEP_1)
	v_dual_max_f32 v7, v7, v7 :: v_dual_lshlrev_b32 v18, 2, v8
	v_max_f32_e32 v7, v6, v7
	v_and_b32_e32 v6, 31, v39
	ds_bpermute_b32 v8, v18, v7
	v_cmp_eq_u32_e32 vcc_lo, 0, v6
	s_and_saveexec_b32 s1, vcc_lo
	s_cbranch_execz .LBB386_789
; %bb.788:
	s_waitcnt lgkmcnt(0)
	v_dual_max_f32 v8, v8, v8 :: v_dual_max_f32 v7, v7, v7
	s_delay_alu instid0(VALU_DEP_1)
	v_max_f32_e32 v7, v7, v8
	ds_store_b32 v16, v7 offset:512
.LBB386_789:
	s_or_b32 exec_lo, exec_lo, s1
	v_cmp_gt_u32_e64 s1, 4, v6
	v_mov_b32_e32 v7, 0xff7fffff
	v_lshlrev_b32_e32 v17, 2, v6
	s_waitcnt lgkmcnt(0)
	s_barrier
	buffer_gl0_inv
	s_and_saveexec_b32 s2, s1
	s_cbranch_execz .LBB386_791
; %bb.790:
	ds_load_b32 v7, v17 offset:512
.LBB386_791:
	s_or_b32 exec_lo, exec_lo, s2
	v_xor_b32_e32 v8, 2, v101
	v_xor_b32_e32 v24, 1, v101
	v_subrev_nc_u32_e32 v28, s13, v87
	v_mov_b32_e32 v25, 0
	s_delay_alu instid0(VALU_DEP_4) | instskip(NEXT) | instid1(VALU_DEP_1)
	v_cmp_gt_i32_e64 s2, 32, v8
	v_cndmask_b32_e64 v8, v101, v8, s2
	v_cmp_gt_i32_e64 s2, 32, v24
	s_delay_alu instid0(VALU_DEP_2) | instskip(NEXT) | instid1(VALU_DEP_2)
	v_lshlrev_b32_e32 v19, 2, v8
	v_cndmask_b32_e64 v24, v101, v24, s2
	s_waitcnt lgkmcnt(0)
	ds_bpermute_b32 v8, v19, v7
	v_dual_max_f32 v7, v7, v7 :: v_dual_lshlrev_b32 v24, 2, v24
	s_waitcnt lgkmcnt(0)
	v_max_f32_e32 v8, v8, v8
	s_delay_alu instid0(VALU_DEP_1) | instskip(SKIP_3) | instid1(VALU_DEP_1)
	v_max_f32_e32 v7, v7, v8
	ds_bpermute_b32 v8, v24, v7
	s_waitcnt lgkmcnt(0)
	v_max_f32_e32 v8, v8, v8
	v_max_f32_e32 v7, v7, v8
	v_lshl_add_u32 v8, v28, 3, s16
	ds_bpermute_b32 v7, v25, v7
	v_min_i32_e32 v8, v8, v83
	s_delay_alu instid0(VALU_DEP_1) | instskip(NEXT) | instid1(VALU_DEP_1)
	v_subrev_nc_u32_e32 v8, s16, v8
	v_cmp_lt_i32_e64 s2, v39, v8
	s_delay_alu instid0(VALU_DEP_1)
	s_and_saveexec_b32 s9, s2
	s_cbranch_execz .LBB386_795
; %bb.792:
	s_getpc_b64 s[16:17]
	s_add_u32 s16, s16, llvm.amdgcn.dynlds.offset.table@rel32@lo+4
	s_addc_u32 s17, s17, llvm.amdgcn.dynlds.offset.table@rel32@hi+12
	s_ashr_i32 s7, s6, 31
	v_mov_b32_e32 v25, 0
	s_lshl_b64 s[18:19], s[6:7], 2
	v_mov_b32_e32 v29, v39
	s_add_u32 s16, s18, s16
	s_addc_u32 s17, s19, s17
	s_mov_b32 s7, 0
	s_load_b32 s3, s[16:17], 0x0
	s_waitcnt lgkmcnt(0)
	v_lshl_add_u32 v28, v39, 2, s3
	.p2align	6
.LBB386_793:                            ; =>This Inner Loop Header: Depth=1
	ds_load_b32 v31, v28
	v_add_nc_u32_e32 v29, 0x80, v29
	s_delay_alu instid0(VALU_DEP_1) | instskip(NEXT) | instid1(VALU_DEP_1)
	v_cmp_ge_i32_e64 s3, v29, v8
	s_or_b32 s7, s3, s7
	s_waitcnt lgkmcnt(0)
	v_sub_f32_e32 v31, v31, v7
	s_delay_alu instid0(VALU_DEP_1) | instskip(NEXT) | instid1(VALU_DEP_1)
	v_mul_f32_e32 v31, 0x3fb8aa3b, v31
	v_exp_f32_e32 v31, v31
	ds_store_b32 v28, v31
	v_dual_add_f32 v25, v25, v31 :: v_dual_add_nc_u32 v28, 0x200, v28
	s_and_not1_b32 exec_lo, exec_lo, s7
	s_cbranch_execnz .LBB386_793
; %bb.794:
	s_or_b32 exec_lo, exec_lo, s7
.LBB386_795:
	s_delay_alu instid0(SALU_CYCLE_1)
	s_or_b32 exec_lo, exec_lo, s9
	ds_bpermute_b32 v9, v9, v25
	s_waitcnt lgkmcnt(0)
	v_add_f32_e32 v9, v25, v9
	ds_bpermute_b32 v13, v13, v9
	s_waitcnt lgkmcnt(0)
	v_add_f32_e32 v9, v9, v13
	ds_bpermute_b32 v13, v18, v9
	s_waitcnt lgkmcnt(0)
	v_add_f32_e32 v9, v9, v13
	ds_bpermute_b32 v13, v19, v9
	s_waitcnt lgkmcnt(0)
	v_add_f32_e32 v9, v9, v13
	ds_bpermute_b32 v13, v24, v9
	s_waitcnt lgkmcnt(0)
	v_add_f32_e32 v9, v9, v13
	s_and_saveexec_b32 s3, vcc_lo
	s_cbranch_execz .LBB386_797
; %bb.796:
	ds_store_b32 v16, v9 offset:528
.LBB386_797:
	s_or_b32 exec_lo, exec_lo, s3
	s_waitcnt lgkmcnt(0)
	s_barrier
	buffer_gl0_inv
	s_and_saveexec_b32 s3, s1
	s_cbranch_execz .LBB386_799
; %bb.798:
	ds_load_b32 v9, v17 offset:528
.LBB386_799:
	s_or_b32 exec_lo, exec_lo, s3
	s_waitcnt lgkmcnt(0)
	ds_bpermute_b32 v13, v19, v9
	s_waitcnt lgkmcnt(0)
	v_add_f32_e32 v9, v9, v13
	ds_bpermute_b32 v13, v24, v9
	s_waitcnt lgkmcnt(0)
	v_add_f32_e32 v9, v9, v13
	v_mov_b32_e32 v13, 0
	ds_bpermute_b32 v9, v13, v9
	s_and_saveexec_b32 s1, s2
	s_cbranch_execz .LBB386_802
; %bb.800:
	s_waitcnt lgkmcnt(0)
	v_add_f32_e32 v16, 0x358637bd, v9
	s_getpc_b64 s[2:3]
	s_add_u32 s2, s2, llvm.amdgcn.dynlds.offset.table@rel32@lo+4
	s_addc_u32 s3, s3, llvm.amdgcn.dynlds.offset.table@rel32@hi+12
	s_ashr_i32 s7, s6, 31
	s_delay_alu instid0(SALU_CYCLE_1) | instskip(SKIP_3) | instid1(VALU_DEP_2)
	s_lshl_b64 s[16:17], s[6:7], 2
	v_div_scale_f32 v13, null, v16, v16, 1.0
	v_div_scale_f32 v19, vcc_lo, 1.0, v16, 1.0
	s_add_u32 s2, s16, s2
	v_rcp_f32_e32 v17, v13
	s_addc_u32 s3, s17, s3
	s_load_b32 s2, s[2:3], 0x0
	s_waitcnt_depctr 0xfff
	v_fma_f32 v18, -v13, v17, 1.0
	s_delay_alu instid0(VALU_DEP_1) | instskip(NEXT) | instid1(VALU_DEP_1)
	v_fmac_f32_e32 v17, v18, v17
	v_mul_f32_e32 v18, v19, v17
	s_delay_alu instid0(VALU_DEP_1) | instskip(NEXT) | instid1(VALU_DEP_1)
	v_fma_f32 v24, -v13, v18, v19
	v_fmac_f32_e32 v18, v24, v17
	s_delay_alu instid0(VALU_DEP_1) | instskip(NEXT) | instid1(VALU_DEP_1)
	v_fma_f32 v13, -v13, v18, v19
	v_div_fmas_f32 v17, v13, v17, v18
	s_waitcnt lgkmcnt(0)
	v_lshl_add_u32 v13, v39, 2, s2
	s_mov_b32 s2, 0
	s_delay_alu instid0(VALU_DEP_2)
	v_div_fixup_f32 v16, v17, v16, 1.0
	v_mov_b32_e32 v17, v39
.LBB386_801:                            ; =>This Inner Loop Header: Depth=1
	ds_load_b32 v18, v13
	s_waitcnt lgkmcnt(0)
	v_dual_mul_f32 v18, v16, v18 :: v_dual_add_nc_u32 v17, 0x80, v17
	s_delay_alu instid0(VALU_DEP_1) | instskip(SKIP_3) | instid1(SALU_CYCLE_1)
	v_cmp_ge_i32_e32 vcc_lo, v17, v8
	ds_store_b32 v13, v18
	v_add_nc_u32_e32 v13, 0x200, v13
	s_or_b32 s2, vcc_lo, s2
	s_and_not1_b32 exec_lo, exec_lo, s2
	s_cbranch_execnz .LBB386_801
.LBB386_802:
	s_or_b32 exec_lo, exec_lo, s1
	v_cmp_ne_u16_e64 s1, s8, 0
	s_waitcnt lgkmcnt(0)
	s_barrier
	buffer_gl0_inv
	s_cmp_lg_u32 s1, 0
	s_addc_u32 s1, s5, 0
	s_mov_b32 s5, exec_lo
	s_mul_i32 s2, s1, s10
	s_delay_alu instid0(SALU_CYCLE_1)
	s_mul_i32 s2, s2, s15
	v_cmpx_eq_u32_e32 0, v39
	s_cbranch_execz .LBB386_804
; %bb.803:
	s_mul_i32 s8, s1, s12
	s_ashr_i32 s15, s14, 31
	s_ashr_i32 s9, s8, 31
	;; [unrolled: 1-line block ×3, first 2 shown]
	s_lshl_b64 s[8:9], s[8:9], 2
	s_lshl_b64 s[12:13], s[14:15], 2
	s_lshl_b64 s[16:17], s[2:3], 2
	s_add_u32 s3, s12, s8
	s_addc_u32 s7, s13, s9
	s_add_u32 s3, s3, s16
	s_addc_u32 s7, s7, s17
	v_add_co_u32 v2, vcc_lo, s3, v2
	v_add_co_ci_u32_e32 v3, vcc_lo, s7, v3, vcc_lo
	v_add_co_u32 v0, vcc_lo, s3, v0
	v_add_co_ci_u32_e32 v1, vcc_lo, s7, v1, vcc_lo
	flat_store_b32 v[2:3], v7
	flat_store_b32 v[0:1], v9
.LBB386_804:
	s_or_b32 exec_lo, exec_lo, s5
	s_getpc_b64 s[8:9]
	s_add_u32 s8, s8, llvm.amdgcn.dynlds.offset.table@rel32@lo+4
	s_addc_u32 s9, s9, llvm.amdgcn.dynlds.offset.table@rel32@hi+12
	s_ashr_i32 s7, s6, 31
	v_dual_mov_b32 v7, 0 :: v_dual_mov_b32 v18, 0
	s_lshl_b64 s[6:7], s[6:7], 2
	v_dual_mov_b32 v19, 0 :: v_dual_mov_b32 v24, 0
	s_add_u32 s6, s6, s8
	s_addc_u32 s7, s7, s9
	v_dual_mov_b32 v25, 0 :: v_dual_mov_b32 v28, 0
	s_load_b32 s10, s[6:7], 0x0
	v_mov_b32_e32 v29, 0
	v_mov_b32_e32 v31, 0
	s_mov_b32 s5, 0
	s_waitcnt lgkmcnt(0)
	v_mov_b32_e32 v0, s10
	s_and_saveexec_b32 s3, s0
	s_cbranch_execz .LBB386_1882
; %bb.805:
	v_max_i32_e32 v30, v30, v98
	v_add_co_u32 v2, vcc_lo, v10, v12
	v_add_co_ci_u32_e32 v3, vcc_lo, v11, v99, vcc_lo
	s_delay_alu instid0(VALU_DEP_3) | instskip(SKIP_3) | instid1(VALU_DEP_4)
	v_cvt_f32_u32_e32 v0, v30
	v_sub_nc_u32_e32 v9, 0, v30
	v_dual_mov_b32 v31, 0 :: v_dual_add_nc_u32 v32, -1, v97
	v_dual_mov_b32 v12, 0 :: v_dual_mov_b32 v29, 0
	v_rcp_iflag_f32_e32 v0, v0
	v_lshlrev_b32_e32 v7, 3, v6
	v_lshl_add_u32 v33, v21, 5, s10
	v_dual_mov_b32 v28, 0 :: v_dual_mov_b32 v25, 0
	v_dual_mov_b32 v24, 0 :: v_dual_mov_b32 v19, 0
	s_mov_b32 s8, -1
	s_mov_b32 s9, 0xffffff
	s_waitcnt_depctr 0xfff
	v_mul_f32_e32 v8, 0x4f7ffffe, v0
	v_lshlrev_b64 v[0:1], 2, v[64:65]
	s_delay_alu instid0(VALU_DEP_2) | instskip(NEXT) | instid1(VALU_DEP_2)
	v_cvt_u32_f32_e32 v8, v8
	v_add_co_u32 v0, vcc_lo, v66, v0
	s_delay_alu instid0(VALU_DEP_3) | instskip(NEXT) | instid1(VALU_DEP_3)
	v_add_co_ci_u32_e32 v1, vcc_lo, v67, v1, vcc_lo
	v_mul_lo_u32 v9, v9, v8
	v_add_co_u32 v16, vcc_lo, v2, v7
	v_add_co_ci_u32_e32 v17, vcc_lo, 0, v3, vcc_lo
	v_add_co_u32 v13, vcc_lo, v14, v0
	v_add_co_ci_u32_e32 v14, vcc_lo, v15, v1, vcc_lo
	v_mul_hi_u32 v9, v8, v9
	v_dual_mov_b32 v18, 0 :: v_dual_mov_b32 v7, 0
	s_delay_alu instid0(VALU_DEP_2)
	v_add_nc_u32_e32 v15, v8, v9
	s_branch .LBB386_808
.LBB386_806:                            ;   in Loop: Header=BB386_808 Depth=1
	s_or_b32 exec_lo, exec_lo, s0
	v_and_b32_e32 v65, 0xffff0000, v180
	v_and_b32_e32 v67, 0xffff0000, v164
	v_and_b32_e32 v55, 0xffff0000, v181
	v_and_b32_e32 v54, 0xffff0000, v178
	v_and_b32_e32 v69, 0xffff0000, v146
	v_and_b32_e32 v71, 0xffff0000, v128
	v_and_b32_e32 v35, 0xffff0000, v35
	v_add_f32_e32 v55, v65, v55
	v_and_b32_e32 v9, 0xffff0000, v9
	v_and_b32_e32 v8, 0xffff0000, v8
	;; [unrolled: 1-line block ×6, first 2 shown]
	v_add_f32_e32 v8, v8, v9
	v_add_f32_e32 v9, v54, v53
	v_and_b32_e32 v53, 0xffff0000, v182
	v_and_b32_e32 v3, 0xffff0000, v3
	;; [unrolled: 1-line block ×4, first 2 shown]
	v_add_f32_e32 v8, v8, v9
	v_and_b32_e32 v2, 0xffff0000, v2
	v_and_b32_e32 v38, 0xffff0000, v38
	v_dual_add_f32 v34, v34, v35 :: v_dual_and_b32 v49, 0xffff0000, v49
	s_delay_alu instid0(VALU_DEP_4)
	v_add_f32_e32 v8, v8, v55
	v_and_b32_e32 v9, 0xffff0000, v167
	v_and_b32_e32 v54, 0xffff0000, v183
	;; [unrolled: 1-line block ×4, first 2 shown]
	v_add_f32_e32 v0, v0, v1
	v_add_f32_e32 v9, v65, v9
	v_dual_add_f32 v53, v53, v54 :: v_dual_and_b32 v54, 0xffff0000, v165
	v_and_b32_e32 v70, 0xffff0000, v148
	v_and_b32_e32 v55, 0xffff0000, v163
	v_add_f32_e32 v35, v36, v37
	s_delay_alu instid0(VALU_DEP_4) | instskip(SKIP_3) | instid1(VALU_DEP_4)
	v_add_f32_e32 v8, v8, v53
	v_dual_add_f32 v54, v67, v54 :: v_dual_and_b32 v67, 0xffff0000, v147
	v_and_b32_e32 v66, 0xffff0000, v162
	v_and_b32_e32 v53, 0xffff0000, v176
	v_add_f32_e32 v18, v18, v8
	v_add_f32_e32 v1, v2, v3
	v_dual_add_f32 v65, v69, v67 :: v_dual_and_b32 v68, 0xffff0000, v177
	v_dual_add_f32 v55, v66, v55 :: v_dual_and_b32 v66, 0xffff0000, v149
	v_and_b32_e32 v67, 0xffff0000, v150
	s_delay_alu instid0(VALU_DEP_3) | instskip(NEXT) | instid1(VALU_DEP_3)
	v_dual_add_f32 v53, v53, v68 :: v_dual_and_b32 v2, 0xffff0000, v10
	v_dual_add_f32 v54, v55, v54 :: v_dual_and_b32 v55, 0xffff0000, v151
	v_add_f32_e32 v3, v34, v35
	v_add_f32_e32 v10, v38, v48
	s_delay_alu instid0(VALU_DEP_3) | instskip(SKIP_3) | instid1(VALU_DEP_4)
	v_dual_add_f32 v9, v54, v9 :: v_dual_and_b32 v68, 0xffff0000, v118
	v_add_f32_e32 v66, v70, v66
	v_dual_add_f32 v55, v67, v55 :: v_dual_and_b32 v54, 0xffff0000, v160
	v_and_b32_e32 v70, 0xffff0000, v100
	v_add_f32_e32 v8, v9, v53
	s_delay_alu instid0(VALU_DEP_4) | instskip(SKIP_1) | instid1(VALU_DEP_3)
	v_dual_add_f32 v65, v65, v66 :: v_dual_and_b32 v66, 0xffff0000, v161
	v_dual_add_f32 v0, v0, v1 :: v_dual_and_b32 v67, 0xffff0000, v116
	v_add_f32_e32 v19, v19, v8
	s_delay_alu instid0(VALU_DEP_3) | instskip(NEXT) | instid1(VALU_DEP_4)
	v_add_f32_e32 v9, v65, v55
	v_dual_add_f32 v53, v54, v66 :: v_dual_and_b32 v66, 0xffff0000, v132
	v_and_b32_e32 v54, 0xffff0000, v133
	v_and_b32_e32 v55, 0xffff0000, v131
	s_delay_alu instid0(VALU_DEP_3) | instskip(SKIP_1) | instid1(VALU_DEP_4)
	v_dual_add_f32 v8, v9, v53 :: v_dual_and_b32 v65, 0xffff0000, v130
	v_add_f32_e32 v3, v3, v10
	v_add_f32_e32 v54, v66, v54
	s_delay_alu instid0(VALU_DEP_3) | instskip(NEXT) | instid1(VALU_DEP_4)
	v_dual_add_f32 v53, v65, v55 :: v_dual_and_b32 v66, 0xffff0000, v114
	v_dual_add_f32 v24, v24, v8 :: v_dual_and_b32 v55, 0xffff0000, v134
	v_and_b32_e32 v8, 0xffff0000, v144
	v_and_b32_e32 v65, 0xffff0000, v145
	s_delay_alu instid0(VALU_DEP_4) | instskip(SKIP_2) | instid1(VALU_DEP_4)
	v_dual_add_f32 v53, v53, v54 :: v_dual_and_b32 v54, 0xffff0000, v117
	v_and_b32_e32 v34, 0xffff0000, v52
	v_and_b32_e32 v36, 0xffff0000, v51
	v_add_f32_e32 v8, v8, v65
	s_delay_alu instid0(VALU_DEP_4) | instskip(NEXT) | instid1(VALU_DEP_3)
	v_dual_add_f32 v54, v67, v54 :: v_dual_and_b32 v9, 0xffff0000, v135
	v_add_f32_e32 v1, v2, v36
	v_and_b32_e32 v67, 0xffff0000, v99
	s_delay_alu instid0(VALU_DEP_3) | instskip(NEXT) | instid1(VALU_DEP_3)
	v_dual_add_f32 v9, v55, v9 :: v_dual_and_b32 v2, 0xffff0000, v11
	v_dual_add_f32 v0, v0, v1 :: v_dual_and_b32 v55, 0xffff0000, v115
	s_delay_alu instid0(VALU_DEP_2) | instskip(NEXT) | instid1(VALU_DEP_2)
	v_add_f32_e32 v1, v34, v2
	v_dual_add_f32 v55, v66, v55 :: v_dual_and_b32 v66, 0xffff0000, v101
	s_delay_alu instid0(VALU_DEP_4) | instskip(NEXT) | instid1(VALU_DEP_3)
	v_add_f32_e32 v9, v53, v9
	v_dual_add_f32 v0, v0, v1 :: v_dual_and_b32 v69, 0xffff0000, v98
	s_delay_alu instid0(VALU_DEP_2) | instskip(NEXT) | instid1(VALU_DEP_2)
	v_add_f32_e32 v2, v9, v8
	v_dual_add_f32 v67, v69, v67 :: v_dual_add_f32 v66, v70, v66
	s_delay_alu instid0(VALU_DEP_3) | instskip(NEXT) | instid1(VALU_DEP_3)
	v_add_f32_e32 v7, v7, v0
	v_add_f32_e32 v25, v25, v2
	s_delay_alu instid0(VALU_DEP_3) | instskip(SKIP_4) | instid1(VALU_DEP_2)
	v_add_f32_e32 v65, v67, v66
	v_and_b32_e32 v67, 0xffff0000, v113
	v_and_b32_e32 v50, 0xffff0000, v50
	v_and_b32_e32 v53, 0xffff0000, v119
	v_and_b32_e32 v66, 0xffff0000, v112
	v_dual_add_f32 v10, v49, v50 :: v_dual_add_f32 v53, v68, v53
	v_and_b32_e32 v68, 0xffff0000, v129
	v_dual_add_f32 v54, v55, v54 :: v_dual_and_b32 v55, 0xffff0000, v103
	s_delay_alu instid0(VALU_DEP_4) | instskip(NEXT) | instid1(VALU_DEP_4)
	v_add_f32_e32 v11, v66, v67
	v_add_f32_e32 v3, v3, v10
	s_delay_alu instid0(VALU_DEP_3) | instskip(NEXT) | instid1(VALU_DEP_1)
	v_dual_add_f32 v53, v54, v53 :: v_dual_add_f32 v54, v71, v68
	v_dual_add_f32 v31, v31, v3 :: v_dual_add_f32 v8, v53, v54
	s_delay_alu instid0(VALU_DEP_1) | instskip(NEXT) | instid1(VALU_DEP_1)
	v_dual_add_f32 v28, v28, v8 :: v_dual_and_b32 v69, 0xffff0000, v102
	v_add_f32_e32 v55, v69, v55
	s_delay_alu instid0(VALU_DEP_1) | instskip(NEXT) | instid1(VALU_DEP_1)
	v_add_f32_e32 v55, v65, v55
	v_add_f32_e32 v9, v55, v11
	s_delay_alu instid0(VALU_DEP_1)
	v_add_f32_e32 v29, v29, v9
.LBB386_807:                            ;   in Loop: Header=BB386_808 Depth=1
	s_or_b32 exec_lo, exec_lo, s10
	v_add_nc_u32_e32 v64, 4, v64
	v_add_co_u32 v13, s0, v13, 16
	s_delay_alu instid0(VALU_DEP_1) | instskip(NEXT) | instid1(VALU_DEP_3)
	v_add_co_ci_u32_e64 v14, s0, 0, v14, s0
	v_cmp_ge_i32_e32 vcc_lo, v64, v87
	v_add_nc_u32_e32 v23, 32, v23
	v_add_nc_u32_e32 v33, 0x80, v33
	s_or_b32 s5, vcc_lo, s5
	s_delay_alu instid0(SALU_CYCLE_1)
	s_and_not1_b32 exec_lo, exec_lo, s5
	s_cbranch_execz .LBB386_1881
.LBB386_808:                            ; =>This Inner Loop Header: Depth=1
	v_sub_nc_u32_e32 v0, 0, v23
	s_delay_alu instid0(VALU_DEP_1) | instskip(NEXT) | instid1(VALU_DEP_1)
	v_max_i32_e32 v0, v23, v0
	v_mul_hi_u32 v1, v0, v85
	s_delay_alu instid0(VALU_DEP_1) | instskip(NEXT) | instid1(VALU_DEP_1)
	v_mul_lo_u32 v2, v1, v84
	v_sub_nc_u32_e32 v0, v0, v2
	v_add_nc_u32_e32 v2, 1, v1
	s_delay_alu instid0(VALU_DEP_2) | instskip(SKIP_1) | instid1(VALU_DEP_2)
	v_sub_nc_u32_e32 v3, v0, v84
	v_cmp_ge_u32_e32 vcc_lo, v0, v84
	v_dual_cndmask_b32 v1, v1, v2 :: v_dual_cndmask_b32 v0, v0, v3
	v_ashrrev_i32_e32 v2, 31, v23
	s_delay_alu instid0(VALU_DEP_2) | instskip(NEXT) | instid1(VALU_DEP_3)
	v_add_nc_u32_e32 v3, 1, v1
	v_cmp_ge_u32_e32 vcc_lo, v0, v84
	s_delay_alu instid0(VALU_DEP_3) | instskip(NEXT) | instid1(VALU_DEP_3)
	v_xor_b32_e32 v2, v2, v86
	v_cndmask_b32_e32 v0, v1, v3, vcc_lo
	s_delay_alu instid0(VALU_DEP_1) | instskip(NEXT) | instid1(VALU_DEP_1)
	v_xor_b32_e32 v0, v0, v2
	v_sub_nc_u32_e32 v0, v0, v2
	s_delay_alu instid0(VALU_DEP_1) | instskip(SKIP_1) | instid1(VALU_DEP_2)
	v_add_nc_u32_e32 v1, v0, v20
	v_cmp_gt_i32_e64 s0, v0, v96
	v_sub_nc_u32_e32 v2, 0, v1
	s_delay_alu instid0(VALU_DEP_1) | instskip(NEXT) | instid1(VALU_DEP_1)
	v_max_i32_e32 v2, v1, v2
	v_mul_hi_u32 v3, v2, v15
	s_delay_alu instid0(VALU_DEP_1) | instskip(NEXT) | instid1(VALU_DEP_1)
	v_mul_lo_u32 v3, v3, v30
	v_sub_nc_u32_e32 v2, v2, v3
	s_delay_alu instid0(VALU_DEP_1) | instskip(SKIP_1) | instid1(VALU_DEP_2)
	v_sub_nc_u32_e32 v3, v2, v30
	v_cmp_ge_u32_e32 vcc_lo, v2, v30
	v_cndmask_b32_e32 v2, v2, v3, vcc_lo
	v_ashrrev_i32_e32 v1, 31, v1
	s_delay_alu instid0(VALU_DEP_2) | instskip(SKIP_1) | instid1(VALU_DEP_2)
	v_sub_nc_u32_e32 v3, v2, v30
	v_cmp_ge_u32_e32 vcc_lo, v2, v30
	v_cndmask_b32_e32 v2, v2, v3, vcc_lo
	s_delay_alu instid0(VALU_DEP_1) | instskip(NEXT) | instid1(VALU_DEP_1)
	v_xor_b32_e32 v2, v2, v1
	v_sub_nc_u32_e32 v1, v2, v1
	s_delay_alu instid0(VALU_DEP_1) | instskip(SKIP_1) | instid1(SALU_CYCLE_1)
	v_cmp_eq_u32_e32 vcc_lo, 0, v1
	s_or_b32 s0, vcc_lo, s0
	s_and_saveexec_b32 s10, s0
	s_cbranch_execz .LBB386_807
; %bb.809:                              ;   in Loop: Header=BB386_808 Depth=1
	flat_load_b32 v51, v[13:14]
	ds_load_2addr_b64 v[8:11], v33 offset1:1
	ds_load_2addr_b64 v[0:3], v33 offset0:2 offset1:3
	s_waitcnt lgkmcnt(1)
	v_and_b32_e32 v34, 0x7f800000, v8
	s_delay_alu instid0(VALU_DEP_1) | instskip(SKIP_1) | instid1(SALU_CYCLE_1)
	v_cmp_ne_u32_e32 vcc_lo, 0x7f800000, v34
                                        ; implicit-def: $vgpr34
	s_and_saveexec_b32 s0, vcc_lo
	s_xor_b32 s0, exec_lo, s0
; %bb.810:                              ;   in Loop: Header=BB386_808 Depth=1
	v_bfe_u32 v34, v8, 16, 1
	s_delay_alu instid0(VALU_DEP_1)
	v_add3_u32 v34, v8, v34, 0x7fff
; %bb.811:                              ;   in Loop: Header=BB386_808 Depth=1
	s_and_not1_saveexec_b32 s0, s0
; %bb.812:                              ;   in Loop: Header=BB386_808 Depth=1
	v_and_b32_e32 v34, 0xffff, v8
	v_or_b32_e32 v35, 0x10000, v8
	s_delay_alu instid0(VALU_DEP_2) | instskip(NEXT) | instid1(VALU_DEP_2)
	v_cmp_eq_u32_e32 vcc_lo, 0, v34
	v_cndmask_b32_e32 v34, v35, v8, vcc_lo
; %bb.813:                              ;   in Loop: Header=BB386_808 Depth=1
	s_or_b32 exec_lo, exec_lo, s0
	v_and_b32_e32 v8, 0x7f800000, v9
	s_mov_b32 s0, exec_lo
                                        ; implicit-def: $vgpr35
	s_delay_alu instid0(VALU_DEP_1)
	v_cmpx_ne_u32_e32 0x7f800000, v8
	s_xor_b32 s0, exec_lo, s0
; %bb.814:                              ;   in Loop: Header=BB386_808 Depth=1
	v_bfe_u32 v8, v9, 16, 1
	s_delay_alu instid0(VALU_DEP_1)
	v_add3_u32 v35, v9, v8, 0x7fff
; %bb.815:                              ;   in Loop: Header=BB386_808 Depth=1
	s_and_not1_saveexec_b32 s0, s0
; %bb.816:                              ;   in Loop: Header=BB386_808 Depth=1
	v_and_b32_e32 v8, 0xffff, v9
	v_or_b32_e32 v35, 0x10000, v9
	s_delay_alu instid0(VALU_DEP_2) | instskip(NEXT) | instid1(VALU_DEP_2)
	v_cmp_eq_u32_e32 vcc_lo, 0, v8
	v_cndmask_b32_e32 v35, v35, v9, vcc_lo
; %bb.817:                              ;   in Loop: Header=BB386_808 Depth=1
	s_or_b32 exec_lo, exec_lo, s0
	v_and_b32_e32 v8, 0x7f800000, v10
	s_mov_b32 s0, exec_lo
                                        ; implicit-def: $vgpr36
	s_delay_alu instid0(VALU_DEP_1)
	v_cmpx_ne_u32_e32 0x7f800000, v8
	s_xor_b32 s0, exec_lo, s0
; %bb.818:                              ;   in Loop: Header=BB386_808 Depth=1
	v_bfe_u32 v8, v10, 16, 1
	s_delay_alu instid0(VALU_DEP_1)
	v_add3_u32 v36, v10, v8, 0x7fff
; %bb.819:                              ;   in Loop: Header=BB386_808 Depth=1
	s_and_not1_saveexec_b32 s0, s0
; %bb.820:                              ;   in Loop: Header=BB386_808 Depth=1
	v_and_b32_e32 v8, 0xffff, v10
	v_or_b32_e32 v9, 0x10000, v10
	s_delay_alu instid0(VALU_DEP_2) | instskip(NEXT) | instid1(VALU_DEP_2)
	v_cmp_eq_u32_e32 vcc_lo, 0, v8
	v_cndmask_b32_e32 v36, v9, v10, vcc_lo
; %bb.821:                              ;   in Loop: Header=BB386_808 Depth=1
	s_or_b32 exec_lo, exec_lo, s0
	v_and_b32_e32 v8, 0x7f800000, v11
	s_mov_b32 s0, exec_lo
                                        ; implicit-def: $vgpr37
	s_delay_alu instid0(VALU_DEP_1)
	v_cmpx_ne_u32_e32 0x7f800000, v8
	s_xor_b32 s0, exec_lo, s0
; %bb.822:                              ;   in Loop: Header=BB386_808 Depth=1
	v_bfe_u32 v8, v11, 16, 1
	s_delay_alu instid0(VALU_DEP_1)
	v_add3_u32 v37, v11, v8, 0x7fff
                                        ; implicit-def: $vgpr8_vgpr9_vgpr10_vgpr11
; %bb.823:                              ;   in Loop: Header=BB386_808 Depth=1
	s_and_not1_saveexec_b32 s0, s0
; %bb.824:                              ;   in Loop: Header=BB386_808 Depth=1
	v_and_b32_e32 v8, 0xffff, v11
	v_or_b32_e32 v9, 0x10000, v11
	s_delay_alu instid0(VALU_DEP_2) | instskip(NEXT) | instid1(VALU_DEP_2)
	v_cmp_eq_u32_e32 vcc_lo, 0, v8
	v_cndmask_b32_e32 v37, v9, v11, vcc_lo
; %bb.825:                              ;   in Loop: Header=BB386_808 Depth=1
	s_or_b32 exec_lo, exec_lo, s0
	s_waitcnt lgkmcnt(0)
	v_and_b32_e32 v8, 0x7f800000, v0
	s_mov_b32 s0, exec_lo
                                        ; implicit-def: $vgpr38
	s_delay_alu instid0(VALU_DEP_1)
	v_cmpx_ne_u32_e32 0x7f800000, v8
	s_xor_b32 s0, exec_lo, s0
; %bb.826:                              ;   in Loop: Header=BB386_808 Depth=1
	v_bfe_u32 v8, v0, 16, 1
	s_delay_alu instid0(VALU_DEP_1)
	v_add3_u32 v38, v0, v8, 0x7fff
; %bb.827:                              ;   in Loop: Header=BB386_808 Depth=1
	s_and_not1_saveexec_b32 s0, s0
; %bb.828:                              ;   in Loop: Header=BB386_808 Depth=1
	v_and_b32_e32 v8, 0xffff, v0
	v_or_b32_e32 v9, 0x10000, v0
	s_delay_alu instid0(VALU_DEP_2) | instskip(NEXT) | instid1(VALU_DEP_2)
	v_cmp_eq_u32_e32 vcc_lo, 0, v8
	v_cndmask_b32_e32 v38, v9, v0, vcc_lo
; %bb.829:                              ;   in Loop: Header=BB386_808 Depth=1
	s_or_b32 exec_lo, exec_lo, s0
	v_and_b32_e32 v0, 0x7f800000, v1
	s_mov_b32 s0, exec_lo
                                        ; implicit-def: $vgpr48
	s_delay_alu instid0(VALU_DEP_1)
	v_cmpx_ne_u32_e32 0x7f800000, v0
	s_xor_b32 s0, exec_lo, s0
; %bb.830:                              ;   in Loop: Header=BB386_808 Depth=1
	v_bfe_u32 v0, v1, 16, 1
	s_delay_alu instid0(VALU_DEP_1)
	v_add3_u32 v48, v1, v0, 0x7fff
; %bb.831:                              ;   in Loop: Header=BB386_808 Depth=1
	s_and_not1_saveexec_b32 s0, s0
; %bb.832:                              ;   in Loop: Header=BB386_808 Depth=1
	v_and_b32_e32 v0, 0xffff, v1
	v_or_b32_e32 v8, 0x10000, v1
	s_delay_alu instid0(VALU_DEP_2) | instskip(NEXT) | instid1(VALU_DEP_2)
	v_cmp_eq_u32_e32 vcc_lo, 0, v0
	v_cndmask_b32_e32 v48, v8, v1, vcc_lo
; %bb.833:                              ;   in Loop: Header=BB386_808 Depth=1
	s_or_b32 exec_lo, exec_lo, s0
	v_and_b32_e32 v0, 0x7f800000, v2
	s_mov_b32 s0, exec_lo
                                        ; implicit-def: $vgpr49
	s_delay_alu instid0(VALU_DEP_1)
	v_cmpx_ne_u32_e32 0x7f800000, v0
	s_xor_b32 s0, exec_lo, s0
; %bb.834:                              ;   in Loop: Header=BB386_808 Depth=1
	v_bfe_u32 v0, v2, 16, 1
	s_delay_alu instid0(VALU_DEP_1)
	v_add3_u32 v49, v2, v0, 0x7fff
; %bb.835:                              ;   in Loop: Header=BB386_808 Depth=1
	s_and_not1_saveexec_b32 s0, s0
; %bb.836:                              ;   in Loop: Header=BB386_808 Depth=1
	v_and_b32_e32 v0, 0xffff, v2
	v_or_b32_e32 v1, 0x10000, v2
	s_delay_alu instid0(VALU_DEP_2) | instskip(NEXT) | instid1(VALU_DEP_2)
	v_cmp_eq_u32_e32 vcc_lo, 0, v0
	v_cndmask_b32_e32 v49, v1, v2, vcc_lo
; %bb.837:                              ;   in Loop: Header=BB386_808 Depth=1
	s_or_b32 exec_lo, exec_lo, s0
	v_and_b32_e32 v0, 0x7f800000, v3
	s_mov_b32 s0, exec_lo
                                        ; implicit-def: $vgpr50
	s_delay_alu instid0(VALU_DEP_1)
	v_cmpx_ne_u32_e32 0x7f800000, v0
	s_xor_b32 s0, exec_lo, s0
; %bb.838:                              ;   in Loop: Header=BB386_808 Depth=1
	v_bfe_u32 v0, v3, 16, 1
	s_delay_alu instid0(VALU_DEP_1)
	v_add3_u32 v50, v3, v0, 0x7fff
                                        ; implicit-def: $vgpr0_vgpr1_vgpr2_vgpr3
; %bb.839:                              ;   in Loop: Header=BB386_808 Depth=1
	s_and_not1_saveexec_b32 s0, s0
; %bb.840:                              ;   in Loop: Header=BB386_808 Depth=1
	v_and_b32_e32 v0, 0xffff, v3
	v_or_b32_e32 v1, 0x10000, v3
	s_delay_alu instid0(VALU_DEP_2) | instskip(NEXT) | instid1(VALU_DEP_2)
	v_cmp_eq_u32_e32 vcc_lo, 0, v0
	v_cndmask_b32_e32 v50, v1, v3, vcc_lo
; %bb.841:                              ;   in Loop: Header=BB386_808 Depth=1
	s_or_b32 exec_lo, exec_lo, s0
	s_waitcnt vmcnt(0)
	v_mad_i64_i32 v[0:1], null, v51, v22, v[16:17]
	s_mov_b32 s0, exec_lo
	flat_load_b64 v[2:3], v[0:1]
	flat_load_b32 v10, v[26:27]
	s_waitcnt vmcnt(1) lgkmcnt(1)
	v_dual_mov_b32 v8, 0 :: v_dual_and_b32 v9, 0xff, v2
	s_delay_alu instid0(VALU_DEP_1)
	v_cmpx_ne_u16_e32 0, v9
	s_cbranch_execz .LBB386_849
; %bb.842:                              ;   in Loop: Header=BB386_808 Depth=1
	v_bfrev_b32_e32 v8, 1
	s_mov_b32 s12, exec_lo
	v_cmpx_ne_u16_e32 0x80, v9
	s_cbranch_execz .LBB386_848
; %bb.843:                              ;   in Loop: Header=BB386_808 Depth=1
	v_and_b32_e32 v9, 0x7f, v2
	v_mov_b32_e32 v8, 0x7f800001
	s_mov_b32 s13, exec_lo
	s_delay_alu instid0(VALU_DEP_2)
	v_cmpx_ne_u32_e32 0x7f, v9
	s_cbranch_execz .LBB386_847
; %bb.844:                              ;   in Loop: Header=BB386_808 Depth=1
	v_lshrrev_b32_e32 v11, 3, v9
	v_cmp_gt_u32_e32 vcc_lo, 8, v9
	v_dual_mov_b32 v9, v3 :: v_dual_mov_b32 v8, v2
	s_and_saveexec_b32 s15, vcc_lo
; %bb.845:                              ;   in Loop: Header=BB386_808 Depth=1
	v_and_b32_e32 v8, 7, v2
	s_delay_alu instid0(VALU_DEP_1) | instskip(NEXT) | instid1(VALU_DEP_1)
	v_clz_i32_u32_e32 v8, v8
	v_min_u32_e32 v11, 32, v8
	s_delay_alu instid0(VALU_DEP_1) | instskip(SKIP_1) | instid1(VALU_DEP_2)
	v_subrev_nc_u32_e32 v8, 28, v11
	v_sub_nc_u32_e32 v11, 29, v11
	v_lshlrev_b64 v[8:9], v8, v[2:3]
; %bb.846:                              ;   in Loop: Header=BB386_808 Depth=1
	s_or_b32 exec_lo, exec_lo, s15
	s_delay_alu instid0(VALU_DEP_1) | instskip(SKIP_2) | instid1(VALU_DEP_3)
	v_lshlrev_b32_e32 v8, 20, v8
	v_lshlrev_b32_e32 v9, 24, v2
	v_lshl_add_u32 v11, v11, 23, 0x3c000000
	v_and_b32_e32 v8, 0x700000, v8
	s_delay_alu instid0(VALU_DEP_3) | instskip(NEXT) | instid1(VALU_DEP_1)
	v_and_b32_e32 v9, 0x80000000, v9
	v_or3_b32 v8, v8, v9, v11
.LBB386_847:                            ;   in Loop: Header=BB386_808 Depth=1
	s_or_b32 exec_lo, exec_lo, s13
.LBB386_848:                            ;   in Loop: Header=BB386_808 Depth=1
	s_delay_alu instid0(SALU_CYCLE_1)
	s_or_b32 exec_lo, exec_lo, s12
.LBB386_849:                            ;   in Loop: Header=BB386_808 Depth=1
	s_delay_alu instid0(SALU_CYCLE_1) | instskip(SKIP_3) | instid1(VALU_DEP_1)
	s_or_b32 exec_lo, exec_lo, s0
	s_waitcnt vmcnt(0) lgkmcnt(0)
	v_mul_f32_e32 v8, v10, v8
	s_mov_b32 s0, exec_lo
                                        ; implicit-def: $vgpr51
	v_and_b32_e32 v9, 0x7f800000, v8
	s_delay_alu instid0(VALU_DEP_1)
	v_cmpx_ne_u32_e32 0x7f800000, v9
	s_xor_b32 s0, exec_lo, s0
; %bb.850:                              ;   in Loop: Header=BB386_808 Depth=1
	v_bfe_u32 v9, v8, 16, 1
	s_delay_alu instid0(VALU_DEP_1)
	v_add3_u32 v51, v8, v9, 0x7fff
                                        ; implicit-def: $vgpr8
; %bb.851:                              ;   in Loop: Header=BB386_808 Depth=1
	s_and_not1_saveexec_b32 s0, s0
; %bb.852:                              ;   in Loop: Header=BB386_808 Depth=1
	v_and_b32_e32 v9, 0xffff, v8
	v_or_b32_e32 v11, 0x10000, v8
	s_delay_alu instid0(VALU_DEP_2) | instskip(NEXT) | instid1(VALU_DEP_2)
	v_cmp_eq_u32_e32 vcc_lo, 0, v9
	v_cndmask_b32_e32 v51, v11, v8, vcc_lo
; %bb.853:                              ;   in Loop: Header=BB386_808 Depth=1
	s_or_b32 exec_lo, exec_lo, s0
	v_lshrrev_b16 v9, 8, v2
	v_mov_b32_e32 v8, 0
	s_mov_b32 s0, exec_lo
	s_delay_alu instid0(VALU_DEP_2)
	v_cmpx_ne_u16_e32 0, v9
	s_cbranch_execz .LBB386_861
; %bb.854:                              ;   in Loop: Header=BB386_808 Depth=1
	v_bfrev_b32_e32 v8, 1
	s_mov_b32 s12, exec_lo
	v_cmpx_ne_u16_e32 0x80, v9
	s_cbranch_execz .LBB386_860
; %bb.855:                              ;   in Loop: Header=BB386_808 Depth=1
	v_and_b32_e32 v11, 0xffff, v9
	v_mov_b32_e32 v8, 0x7f800001
	s_mov_b32 s13, exec_lo
	s_delay_alu instid0(VALU_DEP_2) | instskip(NEXT) | instid1(VALU_DEP_1)
	v_and_b32_e32 v9, 0x7f, v11
	v_cmpx_ne_u32_e32 0x7f, v9
	s_cbranch_execz .LBB386_859
; %bb.856:                              ;   in Loop: Header=BB386_808 Depth=1
	v_and_b32_e32 v11, 7, v11
	v_lshrrev_b32_e32 v8, 3, v9
	s_mov_b32 s15, exec_lo
	v_cmpx_gt_u32_e32 8, v9
; %bb.857:                              ;   in Loop: Header=BB386_808 Depth=1
	s_delay_alu instid0(VALU_DEP_3) | instskip(NEXT) | instid1(VALU_DEP_1)
	v_clz_i32_u32_e32 v8, v11
	v_min_u32_e32 v8, 32, v8
	s_delay_alu instid0(VALU_DEP_1) | instskip(SKIP_1) | instid1(VALU_DEP_2)
	v_subrev_nc_u32_e32 v9, 28, v8
	v_sub_nc_u32_e32 v8, 29, v8
	v_lshlrev_b64 v[52:53], v9, v[11:12]
	s_delay_alu instid0(VALU_DEP_1)
	v_and_b32_e32 v11, 7, v52
; %bb.858:                              ;   in Loop: Header=BB386_808 Depth=1
	s_or_b32 exec_lo, exec_lo, s15
	v_lshlrev_b32_e32 v9, 16, v2
	s_delay_alu instid0(VALU_DEP_2) | instskip(SKIP_1) | instid1(VALU_DEP_3)
	v_lshlrev_b32_e32 v11, 20, v11
	v_lshl_add_u32 v8, v8, 23, 0x3c000000
	v_and_b32_e32 v9, 0x80000000, v9
	s_delay_alu instid0(VALU_DEP_1)
	v_or3_b32 v8, v11, v9, v8
.LBB386_859:                            ;   in Loop: Header=BB386_808 Depth=1
	s_or_b32 exec_lo, exec_lo, s13
.LBB386_860:                            ;   in Loop: Header=BB386_808 Depth=1
	s_delay_alu instid0(SALU_CYCLE_1)
	s_or_b32 exec_lo, exec_lo, s12
.LBB386_861:                            ;   in Loop: Header=BB386_808 Depth=1
	s_delay_alu instid0(SALU_CYCLE_1) | instskip(NEXT) | instid1(VALU_DEP_1)
	s_or_b32 exec_lo, exec_lo, s0
	v_mul_f32_e32 v8, v10, v8
	s_mov_b32 s0, exec_lo
                                        ; implicit-def: $vgpr52
	s_delay_alu instid0(VALU_DEP_1) | instskip(NEXT) | instid1(VALU_DEP_1)
	v_and_b32_e32 v9, 0x7f800000, v8
	v_cmpx_ne_u32_e32 0x7f800000, v9
	s_xor_b32 s0, exec_lo, s0
; %bb.862:                              ;   in Loop: Header=BB386_808 Depth=1
	v_bfe_u32 v9, v8, 16, 1
	s_delay_alu instid0(VALU_DEP_1)
	v_add3_u32 v52, v8, v9, 0x7fff
                                        ; implicit-def: $vgpr8
; %bb.863:                              ;   in Loop: Header=BB386_808 Depth=1
	s_and_not1_saveexec_b32 s0, s0
; %bb.864:                              ;   in Loop: Header=BB386_808 Depth=1
	v_and_b32_e32 v9, 0xffff, v8
	v_or_b32_e32 v11, 0x10000, v8
	s_delay_alu instid0(VALU_DEP_2) | instskip(NEXT) | instid1(VALU_DEP_2)
	v_cmp_eq_u32_e32 vcc_lo, 0, v9
	v_cndmask_b32_e32 v52, v11, v8, vcc_lo
; %bb.865:                              ;   in Loop: Header=BB386_808 Depth=1
	s_or_b32 exec_lo, exec_lo, s0
	v_lshrrev_b32_e32 v8, 16, v2
	v_mov_b32_e32 v9, 0
	s_mov_b32 s0, exec_lo
	s_delay_alu instid0(VALU_DEP_2) | instskip(NEXT) | instid1(VALU_DEP_1)
	v_and_b32_e32 v11, 0xff, v8
	v_cmpx_ne_u16_e32 0, v11
	s_cbranch_execz .LBB386_873
; %bb.866:                              ;   in Loop: Header=BB386_808 Depth=1
	v_bfrev_b32_e32 v9, 1
	s_mov_b32 s12, exec_lo
	v_cmpx_ne_u16_e32 0x80, v11
	s_cbranch_execz .LBB386_872
; %bb.867:                              ;   in Loop: Header=BB386_808 Depth=1
	v_bfe_u32 v53, v2, 16, 7
	v_mov_b32_e32 v9, 0x7f800001
	s_mov_b32 s13, exec_lo
	s_delay_alu instid0(VALU_DEP_2)
	v_cmpx_ne_u32_e32 0x7f, v53
	s_cbranch_execz .LBB386_871
; %bb.868:                              ;   in Loop: Header=BB386_808 Depth=1
	v_and_b32_e32 v11, 7, v8
	v_lshrrev_b32_e32 v9, 3, v53
	s_mov_b32 s15, exec_lo
	v_cmpx_gt_u32_e32 8, v53
; %bb.869:                              ;   in Loop: Header=BB386_808 Depth=1
	s_delay_alu instid0(VALU_DEP_3) | instskip(NEXT) | instid1(VALU_DEP_1)
	v_clz_i32_u32_e32 v9, v11
	v_min_u32_e32 v9, 32, v9
	s_delay_alu instid0(VALU_DEP_1) | instskip(SKIP_1) | instid1(VALU_DEP_2)
	v_subrev_nc_u32_e32 v53, 28, v9
	v_sub_nc_u32_e32 v9, 29, v9
	v_lshlrev_b64 v[53:54], v53, v[11:12]
	s_delay_alu instid0(VALU_DEP_1)
	v_and_b32_e32 v11, 7, v53
; %bb.870:                              ;   in Loop: Header=BB386_808 Depth=1
	s_or_b32 exec_lo, exec_lo, s15
	v_lshlrev_b32_e32 v8, 24, v8
	s_delay_alu instid0(VALU_DEP_2) | instskip(SKIP_1) | instid1(VALU_DEP_3)
	v_lshlrev_b32_e32 v11, 20, v11
	v_lshl_add_u32 v9, v9, 23, 0x3c000000
	v_and_b32_e32 v8, 0x80000000, v8
	s_delay_alu instid0(VALU_DEP_1)
	v_or3_b32 v9, v11, v8, v9
.LBB386_871:                            ;   in Loop: Header=BB386_808 Depth=1
	s_or_b32 exec_lo, exec_lo, s13
.LBB386_872:                            ;   in Loop: Header=BB386_808 Depth=1
	s_delay_alu instid0(SALU_CYCLE_1)
	s_or_b32 exec_lo, exec_lo, s12
.LBB386_873:                            ;   in Loop: Header=BB386_808 Depth=1
	s_delay_alu instid0(SALU_CYCLE_1) | instskip(NEXT) | instid1(VALU_DEP_1)
	s_or_b32 exec_lo, exec_lo, s0
	v_mul_f32_e32 v8, v10, v9
	s_mov_b32 s0, exec_lo
                                        ; implicit-def: $vgpr53
	s_delay_alu instid0(VALU_DEP_1) | instskip(NEXT) | instid1(VALU_DEP_1)
	v_and_b32_e32 v9, 0x7f800000, v8
	v_cmpx_ne_u32_e32 0x7f800000, v9
	s_xor_b32 s0, exec_lo, s0
; %bb.874:                              ;   in Loop: Header=BB386_808 Depth=1
	v_bfe_u32 v9, v8, 16, 1
	s_delay_alu instid0(VALU_DEP_1)
	v_add3_u32 v53, v8, v9, 0x7fff
                                        ; implicit-def: $vgpr8
; %bb.875:                              ;   in Loop: Header=BB386_808 Depth=1
	s_and_not1_saveexec_b32 s0, s0
; %bb.876:                              ;   in Loop: Header=BB386_808 Depth=1
	v_and_b32_e32 v9, 0xffff, v8
	v_or_b32_e32 v11, 0x10000, v8
	s_delay_alu instid0(VALU_DEP_2) | instskip(NEXT) | instid1(VALU_DEP_2)
	v_cmp_eq_u32_e32 vcc_lo, 0, v9
	v_cndmask_b32_e32 v53, v11, v8, vcc_lo
; %bb.877:                              ;   in Loop: Header=BB386_808 Depth=1
	s_or_b32 exec_lo, exec_lo, s0
	v_mov_b32_e32 v9, 0
	s_mov_b32 s0, exec_lo
	v_cmpx_lt_u32_e32 0xffffff, v2
	s_cbranch_execz .LBB386_885
; %bb.878:                              ;   in Loop: Header=BB386_808 Depth=1
	v_lshrrev_b32_e32 v8, 24, v2
	v_bfrev_b32_e32 v9, 1
	s_mov_b32 s12, exec_lo
	s_delay_alu instid0(VALU_DEP_2)
	v_cmpx_ne_u32_e32 0x80, v8
	s_cbranch_execz .LBB386_884
; %bb.879:                              ;   in Loop: Header=BB386_808 Depth=1
	v_bfe_u32 v54, v2, 24, 7
	v_mov_b32_e32 v9, 0x7f800001
	s_mov_b32 s13, exec_lo
	s_delay_alu instid0(VALU_DEP_2)
	v_cmpx_ne_u32_e32 0x7f, v54
	s_cbranch_execz .LBB386_883
; %bb.880:                              ;   in Loop: Header=BB386_808 Depth=1
	v_and_b32_e32 v11, 7, v8
	v_lshrrev_b32_e32 v9, 3, v54
	s_mov_b32 s15, exec_lo
	v_cmpx_gt_u32_e32 8, v54
; %bb.881:                              ;   in Loop: Header=BB386_808 Depth=1
	s_delay_alu instid0(VALU_DEP_3) | instskip(NEXT) | instid1(VALU_DEP_1)
	v_clz_i32_u32_e32 v9, v11
	v_min_u32_e32 v9, 32, v9
	s_delay_alu instid0(VALU_DEP_1) | instskip(SKIP_1) | instid1(VALU_DEP_2)
	v_subrev_nc_u32_e32 v54, 28, v9
	v_sub_nc_u32_e32 v9, 29, v9
	v_lshlrev_b64 v[54:55], v54, v[11:12]
	s_delay_alu instid0(VALU_DEP_1)
	v_and_b32_e32 v11, 7, v54
; %bb.882:                              ;   in Loop: Header=BB386_808 Depth=1
	s_or_b32 exec_lo, exec_lo, s15
	v_lshlrev_b32_e32 v8, 24, v8
	s_delay_alu instid0(VALU_DEP_2) | instskip(SKIP_1) | instid1(VALU_DEP_3)
	v_lshlrev_b32_e32 v11, 20, v11
	v_lshl_add_u32 v9, v9, 23, 0x3c000000
	v_and_b32_e32 v8, 0x80000000, v8
	s_delay_alu instid0(VALU_DEP_1)
	v_or3_b32 v9, v11, v8, v9
.LBB386_883:                            ;   in Loop: Header=BB386_808 Depth=1
	s_or_b32 exec_lo, exec_lo, s13
.LBB386_884:                            ;   in Loop: Header=BB386_808 Depth=1
	s_delay_alu instid0(SALU_CYCLE_1)
	s_or_b32 exec_lo, exec_lo, s12
.LBB386_885:                            ;   in Loop: Header=BB386_808 Depth=1
	s_delay_alu instid0(SALU_CYCLE_1) | instskip(NEXT) | instid1(VALU_DEP_1)
	s_or_b32 exec_lo, exec_lo, s0
	v_mul_f32_e32 v8, v10, v9
	s_mov_b32 s0, exec_lo
                                        ; implicit-def: $vgpr54
	s_delay_alu instid0(VALU_DEP_1) | instskip(NEXT) | instid1(VALU_DEP_1)
	v_and_b32_e32 v9, 0x7f800000, v8
	v_cmpx_ne_u32_e32 0x7f800000, v9
	s_xor_b32 s0, exec_lo, s0
; %bb.886:                              ;   in Loop: Header=BB386_808 Depth=1
	v_bfe_u32 v9, v8, 16, 1
	s_delay_alu instid0(VALU_DEP_1)
	v_add3_u32 v54, v8, v9, 0x7fff
                                        ; implicit-def: $vgpr8
; %bb.887:                              ;   in Loop: Header=BB386_808 Depth=1
	s_and_not1_saveexec_b32 s0, s0
; %bb.888:                              ;   in Loop: Header=BB386_808 Depth=1
	v_and_b32_e32 v9, 0xffff, v8
	v_or_b32_e32 v11, 0x10000, v8
	s_delay_alu instid0(VALU_DEP_2) | instskip(NEXT) | instid1(VALU_DEP_2)
	v_cmp_eq_u32_e32 vcc_lo, 0, v9
	v_cndmask_b32_e32 v54, v11, v8, vcc_lo
; %bb.889:                              ;   in Loop: Header=BB386_808 Depth=1
	s_or_b32 exec_lo, exec_lo, s0
	v_dual_mov_b32 v8, 0 :: v_dual_and_b32 v9, 0xff, v3
	v_mov_b32_e32 v11, v3
	s_mov_b32 s0, exec_lo
	s_delay_alu instid0(VALU_DEP_2)
	v_cmpx_ne_u16_e32 0, v9
	s_cbranch_execz .LBB386_897
; %bb.890:                              ;   in Loop: Header=BB386_808 Depth=1
	v_bfrev_b32_e32 v8, 1
	s_mov_b32 s12, exec_lo
	v_cmpx_ne_u16_e32 0x80, v9
	s_cbranch_execz .LBB386_896
; %bb.891:                              ;   in Loop: Header=BB386_808 Depth=1
	v_and_b32_e32 v9, 0x7f, v3
	v_mov_b32_e32 v8, 0x7f800001
	s_mov_b32 s13, exec_lo
	s_delay_alu instid0(VALU_DEP_2)
	v_cmpx_ne_u32_e32 0x7f, v9
	s_cbranch_execz .LBB386_895
; %bb.892:                              ;   in Loop: Header=BB386_808 Depth=1
	v_lshrrev_b32_e32 v55, 3, v9
	v_cmp_gt_u32_e32 vcc_lo, 8, v9
	v_dual_mov_b32 v8, v11 :: v_dual_mov_b32 v9, v12
	s_and_saveexec_b32 s15, vcc_lo
; %bb.893:                              ;   in Loop: Header=BB386_808 Depth=1
	v_and_b32_e32 v8, 7, v3
	s_delay_alu instid0(VALU_DEP_1) | instskip(NEXT) | instid1(VALU_DEP_1)
	v_clz_i32_u32_e32 v8, v8
	v_min_u32_e32 v55, 32, v8
	s_delay_alu instid0(VALU_DEP_1) | instskip(SKIP_1) | instid1(VALU_DEP_2)
	v_subrev_nc_u32_e32 v8, 28, v55
	v_sub_nc_u32_e32 v55, 29, v55
	v_lshlrev_b64 v[8:9], v8, v[11:12]
; %bb.894:                              ;   in Loop: Header=BB386_808 Depth=1
	s_or_b32 exec_lo, exec_lo, s15
	s_delay_alu instid0(VALU_DEP_1) | instskip(SKIP_2) | instid1(VALU_DEP_3)
	v_lshlrev_b32_e32 v8, 20, v8
	v_lshlrev_b32_e32 v9, 24, v11
	v_lshl_add_u32 v55, v55, 23, 0x3c000000
	v_and_b32_e32 v8, 0x700000, v8
	s_delay_alu instid0(VALU_DEP_3) | instskip(NEXT) | instid1(VALU_DEP_1)
	v_and_b32_e32 v9, 0x80000000, v9
	v_or3_b32 v8, v8, v9, v55
.LBB386_895:                            ;   in Loop: Header=BB386_808 Depth=1
	s_or_b32 exec_lo, exec_lo, s13
.LBB386_896:                            ;   in Loop: Header=BB386_808 Depth=1
	s_delay_alu instid0(SALU_CYCLE_1)
	s_or_b32 exec_lo, exec_lo, s12
.LBB386_897:                            ;   in Loop: Header=BB386_808 Depth=1
	s_delay_alu instid0(SALU_CYCLE_1) | instskip(NEXT) | instid1(VALU_DEP_1)
	s_or_b32 exec_lo, exec_lo, s0
	v_mul_f32_e32 v8, v10, v8
	s_mov_b32 s0, exec_lo
                                        ; implicit-def: $vgpr55
	s_delay_alu instid0(VALU_DEP_1) | instskip(NEXT) | instid1(VALU_DEP_1)
	v_and_b32_e32 v9, 0x7f800000, v8
	v_cmpx_ne_u32_e32 0x7f800000, v9
	s_xor_b32 s0, exec_lo, s0
; %bb.898:                              ;   in Loop: Header=BB386_808 Depth=1
	v_bfe_u32 v9, v8, 16, 1
	s_delay_alu instid0(VALU_DEP_1)
	v_add3_u32 v55, v8, v9, 0x7fff
                                        ; implicit-def: $vgpr8
; %bb.899:                              ;   in Loop: Header=BB386_808 Depth=1
	s_and_not1_saveexec_b32 s0, s0
; %bb.900:                              ;   in Loop: Header=BB386_808 Depth=1
	v_and_b32_e32 v9, 0xffff, v8
	v_or_b32_e32 v55, 0x10000, v8
	s_delay_alu instid0(VALU_DEP_2) | instskip(NEXT) | instid1(VALU_DEP_2)
	v_cmp_eq_u32_e32 vcc_lo, 0, v9
	v_cndmask_b32_e32 v55, v55, v8, vcc_lo
; %bb.901:                              ;   in Loop: Header=BB386_808 Depth=1
	s_or_b32 exec_lo, exec_lo, s0
	v_lshrrev_b16 v9, 8, v11
	v_mov_b32_e32 v8, 0
	s_mov_b32 s0, exec_lo
	s_delay_alu instid0(VALU_DEP_2)
	v_cmpx_ne_u16_e32 0, v9
	s_cbranch_execz .LBB386_909
; %bb.902:                              ;   in Loop: Header=BB386_808 Depth=1
	v_bfrev_b32_e32 v8, 1
	s_mov_b32 s12, exec_lo
	v_cmpx_ne_u16_e32 0x80, v9
	s_cbranch_execz .LBB386_908
; %bb.903:                              ;   in Loop: Header=BB386_808 Depth=1
	v_and_b32_e32 v9, 0xffff, v9
	v_mov_b32_e32 v8, 0x7f800001
	s_mov_b32 s13, exec_lo
	s_delay_alu instid0(VALU_DEP_2) | instskip(NEXT) | instid1(VALU_DEP_1)
	v_and_b32_e32 v66, 0x7f, v9
	v_cmpx_ne_u32_e32 0x7f, v66
	s_cbranch_execz .LBB386_907
; %bb.904:                              ;   in Loop: Header=BB386_808 Depth=1
	v_dual_mov_b32 v9, v12 :: v_dual_and_b32 v8, 7, v9
	v_lshrrev_b32_e32 v65, 3, v66
	s_mov_b32 s15, exec_lo
	v_cmpx_gt_u32_e32 8, v66
; %bb.905:                              ;   in Loop: Header=BB386_808 Depth=1
	s_delay_alu instid0(VALU_DEP_3) | instskip(NEXT) | instid1(VALU_DEP_1)
	v_clz_i32_u32_e32 v65, v8
	v_min_u32_e32 v65, 32, v65
	s_delay_alu instid0(VALU_DEP_1) | instskip(SKIP_1) | instid1(VALU_DEP_2)
	v_subrev_nc_u32_e32 v66, 28, v65
	v_sub_nc_u32_e32 v65, 29, v65
	v_lshlrev_b64 v[8:9], v66, v[8:9]
	s_delay_alu instid0(VALU_DEP_1)
	v_and_b32_e32 v8, 7, v8
; %bb.906:                              ;   in Loop: Header=BB386_808 Depth=1
	s_or_b32 exec_lo, exec_lo, s15
	v_lshlrev_b32_e32 v9, 16, v11
	s_delay_alu instid0(VALU_DEP_2) | instskip(SKIP_1) | instid1(VALU_DEP_3)
	v_lshlrev_b32_e32 v8, 20, v8
	v_lshl_add_u32 v11, v65, 23, 0x3c000000
	v_and_b32_e32 v9, 0x80000000, v9
	s_delay_alu instid0(VALU_DEP_1)
	v_or3_b32 v8, v8, v9, v11
.LBB386_907:                            ;   in Loop: Header=BB386_808 Depth=1
	s_or_b32 exec_lo, exec_lo, s13
.LBB386_908:                            ;   in Loop: Header=BB386_808 Depth=1
	s_delay_alu instid0(SALU_CYCLE_1)
	s_or_b32 exec_lo, exec_lo, s12
.LBB386_909:                            ;   in Loop: Header=BB386_808 Depth=1
	s_delay_alu instid0(SALU_CYCLE_1) | instskip(NEXT) | instid1(VALU_DEP_1)
	s_or_b32 exec_lo, exec_lo, s0
	v_mul_f32_e32 v9, v10, v8
	s_delay_alu instid0(VALU_DEP_1) | instskip(NEXT) | instid1(VALU_DEP_1)
	v_and_b32_e32 v8, 0x7f800000, v9
	v_cmp_ne_u32_e32 vcc_lo, 0x7f800000, v8
                                        ; implicit-def: $vgpr8
	s_and_saveexec_b32 s0, vcc_lo
	s_delay_alu instid0(SALU_CYCLE_1)
	s_xor_b32 s0, exec_lo, s0
; %bb.910:                              ;   in Loop: Header=BB386_808 Depth=1
	v_bfe_u32 v8, v9, 16, 1
	s_delay_alu instid0(VALU_DEP_1)
	v_add3_u32 v8, v9, v8, 0x7fff
                                        ; implicit-def: $vgpr9
; %bb.911:                              ;   in Loop: Header=BB386_808 Depth=1
	s_and_not1_saveexec_b32 s0, s0
; %bb.912:                              ;   in Loop: Header=BB386_808 Depth=1
	v_and_b32_e32 v8, 0xffff, v9
	v_or_b32_e32 v11, 0x10000, v9
	s_delay_alu instid0(VALU_DEP_2) | instskip(NEXT) | instid1(VALU_DEP_2)
	v_cmp_eq_u32_e32 vcc_lo, 0, v8
	v_cndmask_b32_e32 v8, v11, v9, vcc_lo
; %bb.913:                              ;   in Loop: Header=BB386_808 Depth=1
	s_or_b32 exec_lo, exec_lo, s0
	v_lshrrev_b32_e32 v9, 16, v3
	v_mov_b32_e32 v11, 0
	s_mov_b32 s0, exec_lo
	s_delay_alu instid0(VALU_DEP_2) | instskip(NEXT) | instid1(VALU_DEP_1)
	v_and_b32_e32 v65, 0xff, v9
	v_cmpx_ne_u16_e32 0, v65
	s_cbranch_execz .LBB386_921
; %bb.914:                              ;   in Loop: Header=BB386_808 Depth=1
	v_bfrev_b32_e32 v11, 1
	s_mov_b32 s12, exec_lo
	v_cmpx_ne_u16_e32 0x80, v65
	s_cbranch_execz .LBB386_920
; %bb.915:                              ;   in Loop: Header=BB386_808 Depth=1
	v_bfe_u32 v66, v3, 16, 7
	v_mov_b32_e32 v11, 0x7f800001
	s_mov_b32 s13, exec_lo
	s_delay_alu instid0(VALU_DEP_2)
	v_cmpx_ne_u32_e32 0x7f, v66
	s_cbranch_execz .LBB386_919
; %bb.916:                              ;   in Loop: Header=BB386_808 Depth=1
	v_and_b32_e32 v11, 7, v9
	v_lshrrev_b32_e32 v65, 3, v66
	s_mov_b32 s15, exec_lo
	v_cmpx_gt_u32_e32 8, v66
; %bb.917:                              ;   in Loop: Header=BB386_808 Depth=1
	s_delay_alu instid0(VALU_DEP_3) | instskip(NEXT) | instid1(VALU_DEP_1)
	v_clz_i32_u32_e32 v65, v11
	v_min_u32_e32 v65, 32, v65
	s_delay_alu instid0(VALU_DEP_1) | instskip(SKIP_1) | instid1(VALU_DEP_2)
	v_subrev_nc_u32_e32 v66, 28, v65
	v_sub_nc_u32_e32 v65, 29, v65
	v_lshlrev_b64 v[66:67], v66, v[11:12]
	s_delay_alu instid0(VALU_DEP_1)
	v_and_b32_e32 v11, 7, v66
; %bb.918:                              ;   in Loop: Header=BB386_808 Depth=1
	s_or_b32 exec_lo, exec_lo, s15
	v_lshlrev_b32_e32 v9, 24, v9
	s_delay_alu instid0(VALU_DEP_2) | instskip(SKIP_1) | instid1(VALU_DEP_3)
	v_lshlrev_b32_e32 v11, 20, v11
	v_lshl_add_u32 v65, v65, 23, 0x3c000000
	v_and_b32_e32 v9, 0x80000000, v9
	s_delay_alu instid0(VALU_DEP_1)
	v_or3_b32 v11, v11, v9, v65
.LBB386_919:                            ;   in Loop: Header=BB386_808 Depth=1
	s_or_b32 exec_lo, exec_lo, s13
.LBB386_920:                            ;   in Loop: Header=BB386_808 Depth=1
	s_delay_alu instid0(SALU_CYCLE_1)
	s_or_b32 exec_lo, exec_lo, s12
.LBB386_921:                            ;   in Loop: Header=BB386_808 Depth=1
	s_delay_alu instid0(SALU_CYCLE_1) | instskip(NEXT) | instid1(VALU_DEP_1)
	s_or_b32 exec_lo, exec_lo, s0
	v_mul_f32_e32 v9, v10, v11
	s_mov_b32 s0, exec_lo
                                        ; implicit-def: $vgpr65
	s_delay_alu instid0(VALU_DEP_1) | instskip(NEXT) | instid1(VALU_DEP_1)
	v_and_b32_e32 v11, 0x7f800000, v9
	v_cmpx_ne_u32_e32 0x7f800000, v11
	s_xor_b32 s0, exec_lo, s0
; %bb.922:                              ;   in Loop: Header=BB386_808 Depth=1
	v_bfe_u32 v11, v9, 16, 1
	s_delay_alu instid0(VALU_DEP_1)
	v_add3_u32 v65, v9, v11, 0x7fff
                                        ; implicit-def: $vgpr9
; %bb.923:                              ;   in Loop: Header=BB386_808 Depth=1
	s_and_not1_saveexec_b32 s0, s0
; %bb.924:                              ;   in Loop: Header=BB386_808 Depth=1
	v_and_b32_e32 v11, 0xffff, v9
	v_or_b32_e32 v65, 0x10000, v9
	s_delay_alu instid0(VALU_DEP_2) | instskip(NEXT) | instid1(VALU_DEP_2)
	v_cmp_eq_u32_e32 vcc_lo, 0, v11
	v_cndmask_b32_e32 v65, v65, v9, vcc_lo
; %bb.925:                              ;   in Loop: Header=BB386_808 Depth=1
	s_or_b32 exec_lo, exec_lo, s0
	v_mov_b32_e32 v9, 0
	s_mov_b32 s0, exec_lo
	v_cmpx_lt_u64_e64 s[8:9], v[2:3]
	s_cbranch_execz .LBB386_933
; %bb.926:                              ;   in Loop: Header=BB386_808 Depth=1
	v_lshrrev_b32_e32 v2, 24, v3
	v_bfrev_b32_e32 v9, 1
	s_mov_b32 s12, exec_lo
	s_delay_alu instid0(VALU_DEP_2)
	v_cmpx_ne_u32_e32 0x80, v2
	s_cbranch_execz .LBB386_932
; %bb.927:                              ;   in Loop: Header=BB386_808 Depth=1
	v_bfe_u32 v66, v3, 24, 7
	v_mov_b32_e32 v9, 0x7f800001
	s_mov_b32 s13, exec_lo
	s_delay_alu instid0(VALU_DEP_2)
	v_cmpx_ne_u32_e32 0x7f, v66
	s_cbranch_execz .LBB386_931
; %bb.928:                              ;   in Loop: Header=BB386_808 Depth=1
	v_and_b32_e32 v11, 7, v2
	v_lshrrev_b32_e32 v3, 3, v66
	s_mov_b32 s15, exec_lo
	v_cmpx_gt_u32_e32 8, v66
; %bb.929:                              ;   in Loop: Header=BB386_808 Depth=1
	s_delay_alu instid0(VALU_DEP_3) | instskip(NEXT) | instid1(VALU_DEP_1)
	v_clz_i32_u32_e32 v3, v11
	v_min_u32_e32 v3, 32, v3
	s_delay_alu instid0(VALU_DEP_1) | instskip(SKIP_1) | instid1(VALU_DEP_2)
	v_subrev_nc_u32_e32 v9, 28, v3
	v_sub_nc_u32_e32 v3, 29, v3
	v_lshlrev_b64 v[66:67], v9, v[11:12]
	s_delay_alu instid0(VALU_DEP_1)
	v_and_b32_e32 v11, 7, v66
; %bb.930:                              ;   in Loop: Header=BB386_808 Depth=1
	s_or_b32 exec_lo, exec_lo, s15
	v_lshlrev_b32_e32 v2, 24, v2
	s_delay_alu instid0(VALU_DEP_2) | instskip(SKIP_1) | instid1(VALU_DEP_3)
	v_lshlrev_b32_e32 v9, 20, v11
	v_lshl_add_u32 v3, v3, 23, 0x3c000000
	v_and_b32_e32 v2, 0x80000000, v2
	s_delay_alu instid0(VALU_DEP_1)
	v_or3_b32 v9, v9, v2, v3
.LBB386_931:                            ;   in Loop: Header=BB386_808 Depth=1
	s_or_b32 exec_lo, exec_lo, s13
.LBB386_932:                            ;   in Loop: Header=BB386_808 Depth=1
	s_delay_alu instid0(SALU_CYCLE_1)
	s_or_b32 exec_lo, exec_lo, s12
.LBB386_933:                            ;   in Loop: Header=BB386_808 Depth=1
	s_delay_alu instid0(SALU_CYCLE_1) | instskip(NEXT) | instid1(VALU_DEP_1)
	s_or_b32 exec_lo, exec_lo, s0
	v_mul_f32_e32 v3, v10, v9
	s_delay_alu instid0(VALU_DEP_1) | instskip(NEXT) | instid1(VALU_DEP_1)
	v_and_b32_e32 v2, 0x7f800000, v3
	v_cmp_ne_u32_e32 vcc_lo, 0x7f800000, v2
                                        ; implicit-def: $vgpr2
	s_and_saveexec_b32 s0, vcc_lo
	s_delay_alu instid0(SALU_CYCLE_1)
	s_xor_b32 s0, exec_lo, s0
; %bb.934:                              ;   in Loop: Header=BB386_808 Depth=1
	v_bfe_u32 v2, v3, 16, 1
	s_delay_alu instid0(VALU_DEP_1)
	v_add3_u32 v2, v3, v2, 0x7fff
                                        ; implicit-def: $vgpr3
; %bb.935:                              ;   in Loop: Header=BB386_808 Depth=1
	s_and_not1_saveexec_b32 s0, s0
; %bb.936:                              ;   in Loop: Header=BB386_808 Depth=1
	v_and_b32_e32 v2, 0xffff, v3
	v_or_b32_e32 v9, 0x10000, v3
	s_delay_alu instid0(VALU_DEP_2) | instskip(NEXT) | instid1(VALU_DEP_2)
	v_cmp_eq_u32_e32 vcc_lo, 0, v2
	v_cndmask_b32_e32 v2, v9, v3, vcc_lo
; %bb.937:                              ;   in Loop: Header=BB386_808 Depth=1
	s_or_b32 exec_lo, exec_lo, s0
	v_cmp_eq_u32_e32 vcc_lo, v32, v64
	v_lshrrev_b32_e32 v8, 16, v8
	v_lshrrev_b32_e32 v9, 16, v55
	;; [unrolled: 1-line block ×8, first 2 shown]
	v_add_nc_u32_e32 v66, 1, v23
	v_add_nc_u32_e32 v65, 2, v23
	;; [unrolled: 1-line block ×7, first 2 shown]
	s_and_saveexec_b32 s12, vcc_lo
	s_cbranch_execz .LBB386_939
; %bb.938:                              ;   in Loop: Header=BB386_808 Depth=1
	v_cmp_lt_i32_e64 s0, v23, v83
	s_delay_alu instid0(VALU_DEP_1) | instskip(SKIP_1) | instid1(VALU_DEP_1)
	v_cndmask_b32_e64 v68, 0, v68, s0
	v_cmp_lt_i32_e64 s0, v66, v83
	v_cndmask_b32_e64 v69, 0, v69, s0
	v_cmp_lt_i32_e64 s0, v65, v83
	s_delay_alu instid0(VALU_DEP_1) | instskip(SKIP_1) | instid1(VALU_DEP_1)
	v_cndmask_b32_e64 v70, 0, v70, s0
	v_cmp_lt_i32_e64 s0, v55, v83
	v_cndmask_b32_e64 v11, 0, v11, s0
	;; [unrolled: 5-line block ×4, first 2 shown]
.LBB386_939:                            ;   in Loop: Header=BB386_808 Depth=1
	s_or_b32 exec_lo, exec_lo, s12
	v_and_b32_e32 v67, 0xffff0000, v34
	v_lshlrev_b32_e32 v34, 16, v68
	s_delay_alu instid0(VALU_DEP_1) | instskip(NEXT) | instid1(VALU_DEP_1)
	v_mul_f32_e32 v68, v67, v34
	v_and_b32_e32 v34, 0x7f800000, v68
	s_delay_alu instid0(VALU_DEP_1) | instskip(NEXT) | instid1(VALU_DEP_1)
	v_cmp_ne_u32_e64 s0, 0x7f800000, v34
                                        ; implicit-def: $vgpr34
	s_and_saveexec_b32 s12, s0
	s_delay_alu instid0(SALU_CYCLE_1)
	s_xor_b32 s0, exec_lo, s12
; %bb.940:                              ;   in Loop: Header=BB386_808 Depth=1
	v_bfe_u32 v34, v68, 16, 1
	s_delay_alu instid0(VALU_DEP_1)
	v_add3_u32 v34, v68, v34, 0x7fff
                                        ; implicit-def: $vgpr68
; %bb.941:                              ;   in Loop: Header=BB386_808 Depth=1
	s_and_not1_saveexec_b32 s12, s0
; %bb.942:                              ;   in Loop: Header=BB386_808 Depth=1
	v_and_b32_e32 v34, 0xffff, v68
	v_or_b32_e32 v71, 0x10000, v68
	s_delay_alu instid0(VALU_DEP_2) | instskip(NEXT) | instid1(VALU_DEP_1)
	v_cmp_eq_u32_e64 s0, 0, v34
	v_cndmask_b32_e64 v34, v71, v68, s0
; %bb.943:                              ;   in Loop: Header=BB386_808 Depth=1
	s_or_b32 exec_lo, exec_lo, s12
	v_and_b32_e32 v68, 0xffff0000, v35
	v_lshlrev_b32_e32 v35, 16, v69
	s_delay_alu instid0(VALU_DEP_1) | instskip(NEXT) | instid1(VALU_DEP_1)
	v_mul_f32_e32 v69, v68, v35
	v_and_b32_e32 v35, 0x7f800000, v69
	s_delay_alu instid0(VALU_DEP_1) | instskip(NEXT) | instid1(VALU_DEP_1)
	v_cmp_ne_u32_e64 s0, 0x7f800000, v35
                                        ; implicit-def: $vgpr35
	s_and_saveexec_b32 s12, s0
	s_delay_alu instid0(SALU_CYCLE_1)
	s_xor_b32 s0, exec_lo, s12
; %bb.944:                              ;   in Loop: Header=BB386_808 Depth=1
	v_bfe_u32 v35, v69, 16, 1
	s_delay_alu instid0(VALU_DEP_1)
	v_add3_u32 v35, v69, v35, 0x7fff
                                        ; implicit-def: $vgpr69
; %bb.945:                              ;   in Loop: Header=BB386_808 Depth=1
	s_and_not1_saveexec_b32 s12, s0
; %bb.946:                              ;   in Loop: Header=BB386_808 Depth=1
	v_and_b32_e32 v35, 0xffff, v69
	v_or_b32_e32 v71, 0x10000, v69
	s_delay_alu instid0(VALU_DEP_2) | instskip(NEXT) | instid1(VALU_DEP_1)
	v_cmp_eq_u32_e64 s0, 0, v35
	v_cndmask_b32_e64 v35, v71, v69, s0
; %bb.947:                              ;   in Loop: Header=BB386_808 Depth=1
	s_or_b32 exec_lo, exec_lo, s12
	v_and_b32_e32 v69, 0xffff0000, v36
	v_lshlrev_b32_e32 v36, 16, v70
	s_delay_alu instid0(VALU_DEP_1) | instskip(NEXT) | instid1(VALU_DEP_1)
	v_mul_f32_e32 v70, v69, v36
	v_and_b32_e32 v36, 0x7f800000, v70
	s_delay_alu instid0(VALU_DEP_1) | instskip(NEXT) | instid1(VALU_DEP_1)
	v_cmp_ne_u32_e64 s0, 0x7f800000, v36
                                        ; implicit-def: $vgpr36
	s_and_saveexec_b32 s12, s0
	s_delay_alu instid0(SALU_CYCLE_1)
	s_xor_b32 s0, exec_lo, s12
; %bb.948:                              ;   in Loop: Header=BB386_808 Depth=1
	v_bfe_u32 v36, v70, 16, 1
	s_delay_alu instid0(VALU_DEP_1)
	v_add3_u32 v36, v70, v36, 0x7fff
                                        ; implicit-def: $vgpr70
; %bb.949:                              ;   in Loop: Header=BB386_808 Depth=1
	s_and_not1_saveexec_b32 s12, s0
; %bb.950:                              ;   in Loop: Header=BB386_808 Depth=1
	v_and_b32_e32 v36, 0xffff, v70
	v_or_b32_e32 v71, 0x10000, v70
	s_delay_alu instid0(VALU_DEP_2) | instskip(NEXT) | instid1(VALU_DEP_1)
	v_cmp_eq_u32_e64 s0, 0, v36
	v_cndmask_b32_e64 v36, v71, v70, s0
; %bb.951:                              ;   in Loop: Header=BB386_808 Depth=1
	s_or_b32 exec_lo, exec_lo, s12
	v_and_b32_e32 v70, 0xffff0000, v37
	v_lshlrev_b32_e32 v11, 16, v11
	s_delay_alu instid0(VALU_DEP_1) | instskip(NEXT) | instid1(VALU_DEP_1)
	v_mul_f32_e32 v11, v70, v11
	v_and_b32_e32 v37, 0x7f800000, v11
	s_delay_alu instid0(VALU_DEP_1) | instskip(NEXT) | instid1(VALU_DEP_1)
	v_cmp_ne_u32_e64 s0, 0x7f800000, v37
                                        ; implicit-def: $vgpr37
	s_and_saveexec_b32 s12, s0
	s_delay_alu instid0(SALU_CYCLE_1)
	s_xor_b32 s0, exec_lo, s12
; %bb.952:                              ;   in Loop: Header=BB386_808 Depth=1
	v_bfe_u32 v37, v11, 16, 1
	s_delay_alu instid0(VALU_DEP_1)
	v_add3_u32 v37, v11, v37, 0x7fff
                                        ; implicit-def: $vgpr11
; %bb.953:                              ;   in Loop: Header=BB386_808 Depth=1
	s_and_not1_saveexec_b32 s12, s0
; %bb.954:                              ;   in Loop: Header=BB386_808 Depth=1
	v_and_b32_e32 v37, 0xffff, v11
	v_or_b32_e32 v71, 0x10000, v11
	s_delay_alu instid0(VALU_DEP_2) | instskip(NEXT) | instid1(VALU_DEP_1)
	v_cmp_eq_u32_e64 s0, 0, v37
	v_cndmask_b32_e64 v37, v71, v11, s0
; %bb.955:                              ;   in Loop: Header=BB386_808 Depth=1
	s_or_b32 exec_lo, exec_lo, s12
	v_and_b32_e32 v71, 0xffff0000, v38
	v_lshlrev_b32_e32 v9, 16, v9
                                        ; implicit-def: $vgpr38
	s_delay_alu instid0(VALU_DEP_1) | instskip(NEXT) | instid1(VALU_DEP_1)
	v_mul_f32_e32 v9, v71, v9
	v_and_b32_e32 v11, 0x7f800000, v9
	s_delay_alu instid0(VALU_DEP_1) | instskip(NEXT) | instid1(VALU_DEP_1)
	v_cmp_ne_u32_e64 s0, 0x7f800000, v11
	s_and_saveexec_b32 s12, s0
	s_delay_alu instid0(SALU_CYCLE_1)
	s_xor_b32 s0, exec_lo, s12
; %bb.956:                              ;   in Loop: Header=BB386_808 Depth=1
	v_bfe_u32 v11, v9, 16, 1
	s_delay_alu instid0(VALU_DEP_1)
	v_add3_u32 v38, v9, v11, 0x7fff
                                        ; implicit-def: $vgpr9
; %bb.957:                              ;   in Loop: Header=BB386_808 Depth=1
	s_and_not1_saveexec_b32 s12, s0
; %bb.958:                              ;   in Loop: Header=BB386_808 Depth=1
	v_and_b32_e32 v11, 0xffff, v9
	v_or_b32_e32 v38, 0x10000, v9
	s_delay_alu instid0(VALU_DEP_2) | instskip(NEXT) | instid1(VALU_DEP_1)
	v_cmp_eq_u32_e64 s0, 0, v11
	v_cndmask_b32_e64 v38, v38, v9, s0
; %bb.959:                              ;   in Loop: Header=BB386_808 Depth=1
	s_or_b32 exec_lo, exec_lo, s12
	v_and_b32_e32 v80, 0xffff0000, v48
	v_lshlrev_b32_e32 v8, 16, v8
                                        ; implicit-def: $vgpr48
	s_delay_alu instid0(VALU_DEP_1) | instskip(NEXT) | instid1(VALU_DEP_1)
	v_mul_f32_e32 v8, v80, v8
	v_and_b32_e32 v9, 0x7f800000, v8
	s_delay_alu instid0(VALU_DEP_1) | instskip(NEXT) | instid1(VALU_DEP_1)
	v_cmp_ne_u32_e64 s0, 0x7f800000, v9
	s_and_saveexec_b32 s12, s0
	s_delay_alu instid0(SALU_CYCLE_1)
	s_xor_b32 s0, exec_lo, s12
; %bb.960:                              ;   in Loop: Header=BB386_808 Depth=1
	v_bfe_u32 v9, v8, 16, 1
	s_delay_alu instid0(VALU_DEP_1)
	v_add3_u32 v48, v8, v9, 0x7fff
                                        ; implicit-def: $vgpr8
; %bb.961:                              ;   in Loop: Header=BB386_808 Depth=1
	s_and_not1_saveexec_b32 s12, s0
; %bb.962:                              ;   in Loop: Header=BB386_808 Depth=1
	v_and_b32_e32 v9, 0xffff, v8
	v_or_b32_e32 v11, 0x10000, v8
	s_delay_alu instid0(VALU_DEP_2) | instskip(NEXT) | instid1(VALU_DEP_1)
	v_cmp_eq_u32_e64 s0, 0, v9
	v_cndmask_b32_e64 v48, v11, v8, s0
; %bb.963:                              ;   in Loop: Header=BB386_808 Depth=1
	s_or_b32 exec_lo, exec_lo, s12
	v_and_b32_e32 v81, 0xffff0000, v49
	v_lshlrev_b32_e32 v3, 16, v3
                                        ; implicit-def: $vgpr49
	s_delay_alu instid0(VALU_DEP_1) | instskip(NEXT) | instid1(VALU_DEP_1)
	v_mul_f32_e32 v3, v81, v3
	v_and_b32_e32 v8, 0x7f800000, v3
	s_delay_alu instid0(VALU_DEP_1) | instskip(NEXT) | instid1(VALU_DEP_1)
	v_cmp_ne_u32_e64 s0, 0x7f800000, v8
	s_and_saveexec_b32 s12, s0
	s_delay_alu instid0(SALU_CYCLE_1)
	s_xor_b32 s0, exec_lo, s12
; %bb.964:                              ;   in Loop: Header=BB386_808 Depth=1
	v_bfe_u32 v8, v3, 16, 1
	s_delay_alu instid0(VALU_DEP_1)
	v_add3_u32 v49, v3, v8, 0x7fff
                                        ; implicit-def: $vgpr3
; %bb.965:                              ;   in Loop: Header=BB386_808 Depth=1
	s_and_not1_saveexec_b32 s12, s0
; %bb.966:                              ;   in Loop: Header=BB386_808 Depth=1
	v_and_b32_e32 v8, 0xffff, v3
	v_or_b32_e32 v9, 0x10000, v3
	s_delay_alu instid0(VALU_DEP_2) | instskip(NEXT) | instid1(VALU_DEP_1)
	v_cmp_eq_u32_e64 s0, 0, v8
	v_cndmask_b32_e64 v49, v9, v3, s0
; %bb.967:                              ;   in Loop: Header=BB386_808 Depth=1
	s_or_b32 exec_lo, exec_lo, s12
	v_and_b32_e32 v97, 0xffff0000, v50
	v_lshlrev_b32_e32 v2, 16, v2
                                        ; implicit-def: $vgpr50
	s_delay_alu instid0(VALU_DEP_1) | instskip(NEXT) | instid1(VALU_DEP_1)
	v_mul_f32_e32 v2, v97, v2
	v_and_b32_e32 v3, 0x7f800000, v2
	s_delay_alu instid0(VALU_DEP_1) | instskip(NEXT) | instid1(VALU_DEP_1)
	v_cmp_ne_u32_e64 s0, 0x7f800000, v3
	s_and_saveexec_b32 s12, s0
	s_delay_alu instid0(SALU_CYCLE_1)
	s_xor_b32 s0, exec_lo, s12
; %bb.968:                              ;   in Loop: Header=BB386_808 Depth=1
	v_bfe_u32 v3, v2, 16, 1
	s_delay_alu instid0(VALU_DEP_1)
	v_add3_u32 v50, v2, v3, 0x7fff
                                        ; implicit-def: $vgpr2
; %bb.969:                              ;   in Loop: Header=BB386_808 Depth=1
	s_and_not1_saveexec_b32 s12, s0
; %bb.970:                              ;   in Loop: Header=BB386_808 Depth=1
	v_and_b32_e32 v3, 0xffff, v2
	v_or_b32_e32 v8, 0x10000, v2
	s_delay_alu instid0(VALU_DEP_2) | instskip(NEXT) | instid1(VALU_DEP_1)
	v_cmp_eq_u32_e64 s0, 0, v3
	v_cndmask_b32_e64 v50, v8, v2, s0
; %bb.971:                              ;   in Loop: Header=BB386_808 Depth=1
	s_or_b32 exec_lo, exec_lo, s12
	flat_load_b64 v[2:3], v[0:1] offset:256
	s_mov_b32 s12, exec_lo
	s_waitcnt vmcnt(0) lgkmcnt(0)
	v_dual_mov_b32 v8, 0 :: v_dual_and_b32 v9, 0xff, v2
	s_delay_alu instid0(VALU_DEP_1)
	v_cmpx_ne_u16_e32 0, v9
	s_cbranch_execz .LBB386_979
; %bb.972:                              ;   in Loop: Header=BB386_808 Depth=1
	v_bfrev_b32_e32 v8, 1
	s_mov_b32 s13, exec_lo
	v_cmpx_ne_u16_e32 0x80, v9
	s_cbranch_execz .LBB386_978
; %bb.973:                              ;   in Loop: Header=BB386_808 Depth=1
	v_and_b32_e32 v9, 0x7f, v2
	v_mov_b32_e32 v8, 0x7f800001
	s_mov_b32 s15, exec_lo
	s_delay_alu instid0(VALU_DEP_2)
	v_cmpx_ne_u32_e32 0x7f, v9
	s_cbranch_execz .LBB386_977
; %bb.974:                              ;   in Loop: Header=BB386_808 Depth=1
	v_lshrrev_b32_e32 v11, 3, v9
	v_cmp_gt_u32_e64 s0, 8, v9
	v_dual_mov_b32 v9, v3 :: v_dual_mov_b32 v8, v2
	s_delay_alu instid0(VALU_DEP_2)
	s_and_saveexec_b32 s16, s0
; %bb.975:                              ;   in Loop: Header=BB386_808 Depth=1
	v_and_b32_e32 v8, 7, v2
	s_delay_alu instid0(VALU_DEP_1) | instskip(NEXT) | instid1(VALU_DEP_1)
	v_clz_i32_u32_e32 v8, v8
	v_min_u32_e32 v11, 32, v8
	s_delay_alu instid0(VALU_DEP_1) | instskip(SKIP_1) | instid1(VALU_DEP_2)
	v_subrev_nc_u32_e32 v8, 28, v11
	v_sub_nc_u32_e32 v11, 29, v11
	v_lshlrev_b64 v[8:9], v8, v[2:3]
; %bb.976:                              ;   in Loop: Header=BB386_808 Depth=1
	s_or_b32 exec_lo, exec_lo, s16
	s_delay_alu instid0(VALU_DEP_1) | instskip(SKIP_2) | instid1(VALU_DEP_3)
	v_lshlrev_b32_e32 v8, 20, v8
	v_lshlrev_b32_e32 v9, 24, v2
	v_lshl_add_u32 v11, v11, 23, 0x3c000000
	v_and_b32_e32 v8, 0x700000, v8
	s_delay_alu instid0(VALU_DEP_3) | instskip(NEXT) | instid1(VALU_DEP_1)
	v_and_b32_e32 v9, 0x80000000, v9
	v_or3_b32 v8, v8, v9, v11
.LBB386_977:                            ;   in Loop: Header=BB386_808 Depth=1
	s_or_b32 exec_lo, exec_lo, s15
.LBB386_978:                            ;   in Loop: Header=BB386_808 Depth=1
	s_delay_alu instid0(SALU_CYCLE_1)
	s_or_b32 exec_lo, exec_lo, s13
.LBB386_979:                            ;   in Loop: Header=BB386_808 Depth=1
	s_delay_alu instid0(SALU_CYCLE_1) | instskip(NEXT) | instid1(VALU_DEP_1)
	s_or_b32 exec_lo, exec_lo, s12
	v_mul_f32_e32 v8, v10, v8
                                        ; implicit-def: $vgpr98
	s_delay_alu instid0(VALU_DEP_1) | instskip(NEXT) | instid1(VALU_DEP_1)
	v_and_b32_e32 v9, 0x7f800000, v8
	v_cmp_ne_u32_e64 s0, 0x7f800000, v9
	s_delay_alu instid0(VALU_DEP_1) | instskip(NEXT) | instid1(SALU_CYCLE_1)
	s_and_saveexec_b32 s12, s0
	s_xor_b32 s0, exec_lo, s12
; %bb.980:                              ;   in Loop: Header=BB386_808 Depth=1
	v_bfe_u32 v9, v8, 16, 1
	s_delay_alu instid0(VALU_DEP_1)
	v_add3_u32 v98, v8, v9, 0x7fff
                                        ; implicit-def: $vgpr8
; %bb.981:                              ;   in Loop: Header=BB386_808 Depth=1
	s_and_not1_saveexec_b32 s12, s0
; %bb.982:                              ;   in Loop: Header=BB386_808 Depth=1
	v_and_b32_e32 v9, 0xffff, v8
	v_or_b32_e32 v11, 0x10000, v8
	s_delay_alu instid0(VALU_DEP_2) | instskip(NEXT) | instid1(VALU_DEP_1)
	v_cmp_eq_u32_e64 s0, 0, v9
	v_cndmask_b32_e64 v98, v11, v8, s0
; %bb.983:                              ;   in Loop: Header=BB386_808 Depth=1
	s_or_b32 exec_lo, exec_lo, s12
	v_lshrrev_b16 v9, 8, v2
	v_mov_b32_e32 v8, 0
	s_mov_b32 s12, exec_lo
	s_delay_alu instid0(VALU_DEP_2)
	v_cmpx_ne_u16_e32 0, v9
	s_cbranch_execz .LBB386_991
; %bb.984:                              ;   in Loop: Header=BB386_808 Depth=1
	v_bfrev_b32_e32 v8, 1
	s_mov_b32 s13, exec_lo
	v_cmpx_ne_u16_e32 0x80, v9
	s_cbranch_execz .LBB386_990
; %bb.985:                              ;   in Loop: Header=BB386_808 Depth=1
	v_and_b32_e32 v11, 0xffff, v9
	v_mov_b32_e32 v8, 0x7f800001
	s_mov_b32 s15, exec_lo
	s_delay_alu instid0(VALU_DEP_2) | instskip(NEXT) | instid1(VALU_DEP_1)
	v_and_b32_e32 v9, 0x7f, v11
	v_cmpx_ne_u32_e32 0x7f, v9
	s_cbranch_execz .LBB386_989
; %bb.986:                              ;   in Loop: Header=BB386_808 Depth=1
	v_and_b32_e32 v11, 7, v11
	v_lshrrev_b32_e32 v8, 3, v9
	s_mov_b32 s16, exec_lo
	v_cmpx_gt_u32_e32 8, v9
; %bb.987:                              ;   in Loop: Header=BB386_808 Depth=1
	s_delay_alu instid0(VALU_DEP_3) | instskip(NEXT) | instid1(VALU_DEP_1)
	v_clz_i32_u32_e32 v8, v11
	v_min_u32_e32 v8, 32, v8
	s_delay_alu instid0(VALU_DEP_1) | instskip(SKIP_1) | instid1(VALU_DEP_2)
	v_subrev_nc_u32_e32 v9, 28, v8
	v_sub_nc_u32_e32 v8, 29, v8
	v_lshlrev_b64 v[99:100], v9, v[11:12]
	s_delay_alu instid0(VALU_DEP_1)
	v_and_b32_e32 v11, 7, v99
; %bb.988:                              ;   in Loop: Header=BB386_808 Depth=1
	s_or_b32 exec_lo, exec_lo, s16
	v_lshlrev_b32_e32 v9, 16, v2
	s_delay_alu instid0(VALU_DEP_2) | instskip(SKIP_1) | instid1(VALU_DEP_3)
	v_lshlrev_b32_e32 v11, 20, v11
	v_lshl_add_u32 v8, v8, 23, 0x3c000000
	v_and_b32_e32 v9, 0x80000000, v9
	s_delay_alu instid0(VALU_DEP_1)
	v_or3_b32 v8, v11, v9, v8
.LBB386_989:                            ;   in Loop: Header=BB386_808 Depth=1
	s_or_b32 exec_lo, exec_lo, s15
.LBB386_990:                            ;   in Loop: Header=BB386_808 Depth=1
	s_delay_alu instid0(SALU_CYCLE_1)
	s_or_b32 exec_lo, exec_lo, s13
.LBB386_991:                            ;   in Loop: Header=BB386_808 Depth=1
	s_delay_alu instid0(SALU_CYCLE_1) | instskip(NEXT) | instid1(VALU_DEP_1)
	s_or_b32 exec_lo, exec_lo, s12
	v_mul_f32_e32 v8, v10, v8
                                        ; implicit-def: $vgpr99
	s_delay_alu instid0(VALU_DEP_1) | instskip(NEXT) | instid1(VALU_DEP_1)
	v_and_b32_e32 v9, 0x7f800000, v8
	v_cmp_ne_u32_e64 s0, 0x7f800000, v9
	s_delay_alu instid0(VALU_DEP_1) | instskip(NEXT) | instid1(SALU_CYCLE_1)
	s_and_saveexec_b32 s12, s0
	s_xor_b32 s0, exec_lo, s12
; %bb.992:                              ;   in Loop: Header=BB386_808 Depth=1
	v_bfe_u32 v9, v8, 16, 1
	s_delay_alu instid0(VALU_DEP_1)
	v_add3_u32 v99, v8, v9, 0x7fff
                                        ; implicit-def: $vgpr8
; %bb.993:                              ;   in Loop: Header=BB386_808 Depth=1
	s_and_not1_saveexec_b32 s12, s0
; %bb.994:                              ;   in Loop: Header=BB386_808 Depth=1
	v_and_b32_e32 v9, 0xffff, v8
	v_or_b32_e32 v11, 0x10000, v8
	s_delay_alu instid0(VALU_DEP_2) | instskip(NEXT) | instid1(VALU_DEP_1)
	v_cmp_eq_u32_e64 s0, 0, v9
	v_cndmask_b32_e64 v99, v11, v8, s0
; %bb.995:                              ;   in Loop: Header=BB386_808 Depth=1
	s_or_b32 exec_lo, exec_lo, s12
	v_lshrrev_b32_e32 v8, 16, v2
	v_mov_b32_e32 v9, 0
	s_mov_b32 s12, exec_lo
	s_delay_alu instid0(VALU_DEP_2) | instskip(NEXT) | instid1(VALU_DEP_1)
	v_and_b32_e32 v11, 0xff, v8
	v_cmpx_ne_u16_e32 0, v11
	s_cbranch_execz .LBB386_1003
; %bb.996:                              ;   in Loop: Header=BB386_808 Depth=1
	v_bfrev_b32_e32 v9, 1
	s_mov_b32 s13, exec_lo
	v_cmpx_ne_u16_e32 0x80, v11
	s_cbranch_execz .LBB386_1002
; %bb.997:                              ;   in Loop: Header=BB386_808 Depth=1
	v_bfe_u32 v100, v2, 16, 7
	v_mov_b32_e32 v9, 0x7f800001
	s_mov_b32 s15, exec_lo
	s_delay_alu instid0(VALU_DEP_2)
	v_cmpx_ne_u32_e32 0x7f, v100
	s_cbranch_execz .LBB386_1001
; %bb.998:                              ;   in Loop: Header=BB386_808 Depth=1
	v_and_b32_e32 v11, 7, v8
	v_lshrrev_b32_e32 v9, 3, v100
	s_mov_b32 s16, exec_lo
	v_cmpx_gt_u32_e32 8, v100
; %bb.999:                              ;   in Loop: Header=BB386_808 Depth=1
	s_delay_alu instid0(VALU_DEP_3) | instskip(NEXT) | instid1(VALU_DEP_1)
	v_clz_i32_u32_e32 v9, v11
	v_min_u32_e32 v9, 32, v9
	s_delay_alu instid0(VALU_DEP_1) | instskip(SKIP_1) | instid1(VALU_DEP_2)
	v_subrev_nc_u32_e32 v100, 28, v9
	v_sub_nc_u32_e32 v9, 29, v9
	v_lshlrev_b64 v[100:101], v100, v[11:12]
	s_delay_alu instid0(VALU_DEP_1)
	v_and_b32_e32 v11, 7, v100
; %bb.1000:                             ;   in Loop: Header=BB386_808 Depth=1
	s_or_b32 exec_lo, exec_lo, s16
	v_lshlrev_b32_e32 v8, 24, v8
	s_delay_alu instid0(VALU_DEP_2) | instskip(SKIP_1) | instid1(VALU_DEP_3)
	v_lshlrev_b32_e32 v11, 20, v11
	v_lshl_add_u32 v9, v9, 23, 0x3c000000
	v_and_b32_e32 v8, 0x80000000, v8
	s_delay_alu instid0(VALU_DEP_1)
	v_or3_b32 v9, v11, v8, v9
.LBB386_1001:                           ;   in Loop: Header=BB386_808 Depth=1
	s_or_b32 exec_lo, exec_lo, s15
.LBB386_1002:                           ;   in Loop: Header=BB386_808 Depth=1
	s_delay_alu instid0(SALU_CYCLE_1)
	s_or_b32 exec_lo, exec_lo, s13
.LBB386_1003:                           ;   in Loop: Header=BB386_808 Depth=1
	s_delay_alu instid0(SALU_CYCLE_1) | instskip(NEXT) | instid1(VALU_DEP_1)
	s_or_b32 exec_lo, exec_lo, s12
	v_mul_f32_e32 v8, v10, v9
                                        ; implicit-def: $vgpr100
	s_delay_alu instid0(VALU_DEP_1) | instskip(NEXT) | instid1(VALU_DEP_1)
	v_and_b32_e32 v9, 0x7f800000, v8
	v_cmp_ne_u32_e64 s0, 0x7f800000, v9
	s_delay_alu instid0(VALU_DEP_1) | instskip(NEXT) | instid1(SALU_CYCLE_1)
	s_and_saveexec_b32 s12, s0
	s_xor_b32 s0, exec_lo, s12
; %bb.1004:                             ;   in Loop: Header=BB386_808 Depth=1
	v_bfe_u32 v9, v8, 16, 1
	s_delay_alu instid0(VALU_DEP_1)
	v_add3_u32 v100, v8, v9, 0x7fff
                                        ; implicit-def: $vgpr8
; %bb.1005:                             ;   in Loop: Header=BB386_808 Depth=1
	s_and_not1_saveexec_b32 s12, s0
; %bb.1006:                             ;   in Loop: Header=BB386_808 Depth=1
	v_and_b32_e32 v9, 0xffff, v8
	v_or_b32_e32 v11, 0x10000, v8
	s_delay_alu instid0(VALU_DEP_2) | instskip(NEXT) | instid1(VALU_DEP_1)
	v_cmp_eq_u32_e64 s0, 0, v9
	v_cndmask_b32_e64 v100, v11, v8, s0
; %bb.1007:                             ;   in Loop: Header=BB386_808 Depth=1
	s_or_b32 exec_lo, exec_lo, s12
	v_mov_b32_e32 v9, 0
	s_mov_b32 s12, exec_lo
	v_cmpx_lt_u32_e32 0xffffff, v2
	s_cbranch_execz .LBB386_1015
; %bb.1008:                             ;   in Loop: Header=BB386_808 Depth=1
	v_lshrrev_b32_e32 v8, 24, v2
	v_bfrev_b32_e32 v9, 1
	s_mov_b32 s13, exec_lo
	s_delay_alu instid0(VALU_DEP_2)
	v_cmpx_ne_u32_e32 0x80, v8
	s_cbranch_execz .LBB386_1014
; %bb.1009:                             ;   in Loop: Header=BB386_808 Depth=1
	v_bfe_u32 v101, v2, 24, 7
	v_mov_b32_e32 v9, 0x7f800001
	s_mov_b32 s15, exec_lo
	s_delay_alu instid0(VALU_DEP_2)
	v_cmpx_ne_u32_e32 0x7f, v101
	s_cbranch_execz .LBB386_1013
; %bb.1010:                             ;   in Loop: Header=BB386_808 Depth=1
	v_and_b32_e32 v11, 7, v8
	v_lshrrev_b32_e32 v9, 3, v101
	s_mov_b32 s16, exec_lo
	v_cmpx_gt_u32_e32 8, v101
; %bb.1011:                             ;   in Loop: Header=BB386_808 Depth=1
	s_delay_alu instid0(VALU_DEP_3) | instskip(NEXT) | instid1(VALU_DEP_1)
	v_clz_i32_u32_e32 v9, v11
	v_min_u32_e32 v9, 32, v9
	s_delay_alu instid0(VALU_DEP_1) | instskip(SKIP_1) | instid1(VALU_DEP_2)
	v_subrev_nc_u32_e32 v101, 28, v9
	v_sub_nc_u32_e32 v9, 29, v9
	v_lshlrev_b64 v[101:102], v101, v[11:12]
	s_delay_alu instid0(VALU_DEP_1)
	v_and_b32_e32 v11, 7, v101
; %bb.1012:                             ;   in Loop: Header=BB386_808 Depth=1
	s_or_b32 exec_lo, exec_lo, s16
	v_lshlrev_b32_e32 v8, 24, v8
	s_delay_alu instid0(VALU_DEP_2) | instskip(SKIP_1) | instid1(VALU_DEP_3)
	v_lshlrev_b32_e32 v11, 20, v11
	v_lshl_add_u32 v9, v9, 23, 0x3c000000
	v_and_b32_e32 v8, 0x80000000, v8
	s_delay_alu instid0(VALU_DEP_1)
	v_or3_b32 v9, v11, v8, v9
.LBB386_1013:                           ;   in Loop: Header=BB386_808 Depth=1
	s_or_b32 exec_lo, exec_lo, s15
.LBB386_1014:                           ;   in Loop: Header=BB386_808 Depth=1
	s_delay_alu instid0(SALU_CYCLE_1)
	s_or_b32 exec_lo, exec_lo, s13
.LBB386_1015:                           ;   in Loop: Header=BB386_808 Depth=1
	s_delay_alu instid0(SALU_CYCLE_1) | instskip(NEXT) | instid1(VALU_DEP_1)
	s_or_b32 exec_lo, exec_lo, s12
	v_mul_f32_e32 v8, v10, v9
                                        ; implicit-def: $vgpr101
	s_delay_alu instid0(VALU_DEP_1) | instskip(NEXT) | instid1(VALU_DEP_1)
	v_and_b32_e32 v9, 0x7f800000, v8
	v_cmp_ne_u32_e64 s0, 0x7f800000, v9
	s_delay_alu instid0(VALU_DEP_1) | instskip(NEXT) | instid1(SALU_CYCLE_1)
	s_and_saveexec_b32 s12, s0
	s_xor_b32 s0, exec_lo, s12
; %bb.1016:                             ;   in Loop: Header=BB386_808 Depth=1
	v_bfe_u32 v9, v8, 16, 1
	s_delay_alu instid0(VALU_DEP_1)
	v_add3_u32 v101, v8, v9, 0x7fff
                                        ; implicit-def: $vgpr8
; %bb.1017:                             ;   in Loop: Header=BB386_808 Depth=1
	s_and_not1_saveexec_b32 s12, s0
; %bb.1018:                             ;   in Loop: Header=BB386_808 Depth=1
	v_and_b32_e32 v9, 0xffff, v8
	v_or_b32_e32 v11, 0x10000, v8
	s_delay_alu instid0(VALU_DEP_2) | instskip(NEXT) | instid1(VALU_DEP_1)
	v_cmp_eq_u32_e64 s0, 0, v9
	v_cndmask_b32_e64 v101, v11, v8, s0
; %bb.1019:                             ;   in Loop: Header=BB386_808 Depth=1
	s_or_b32 exec_lo, exec_lo, s12
	v_dual_mov_b32 v8, 0 :: v_dual_and_b32 v9, 0xff, v3
	v_mov_b32_e32 v11, v3
	s_mov_b32 s12, exec_lo
	s_delay_alu instid0(VALU_DEP_2)
	v_cmpx_ne_u16_e32 0, v9
	s_cbranch_execz .LBB386_1027
; %bb.1020:                             ;   in Loop: Header=BB386_808 Depth=1
	v_bfrev_b32_e32 v8, 1
	s_mov_b32 s13, exec_lo
	v_cmpx_ne_u16_e32 0x80, v9
	s_cbranch_execz .LBB386_1026
; %bb.1021:                             ;   in Loop: Header=BB386_808 Depth=1
	v_and_b32_e32 v9, 0x7f, v3
	v_mov_b32_e32 v8, 0x7f800001
	s_mov_b32 s15, exec_lo
	s_delay_alu instid0(VALU_DEP_2)
	v_cmpx_ne_u32_e32 0x7f, v9
	s_cbranch_execz .LBB386_1025
; %bb.1022:                             ;   in Loop: Header=BB386_808 Depth=1
	v_lshrrev_b32_e32 v102, 3, v9
	v_cmp_gt_u32_e64 s0, 8, v9
	v_dual_mov_b32 v8, v11 :: v_dual_mov_b32 v9, v12
	s_delay_alu instid0(VALU_DEP_2)
	s_and_saveexec_b32 s16, s0
; %bb.1023:                             ;   in Loop: Header=BB386_808 Depth=1
	v_and_b32_e32 v8, 7, v3
	s_delay_alu instid0(VALU_DEP_1) | instskip(NEXT) | instid1(VALU_DEP_1)
	v_clz_i32_u32_e32 v8, v8
	v_min_u32_e32 v102, 32, v8
	s_delay_alu instid0(VALU_DEP_1) | instskip(SKIP_1) | instid1(VALU_DEP_2)
	v_subrev_nc_u32_e32 v8, 28, v102
	v_sub_nc_u32_e32 v102, 29, v102
	v_lshlrev_b64 v[8:9], v8, v[11:12]
; %bb.1024:                             ;   in Loop: Header=BB386_808 Depth=1
	s_or_b32 exec_lo, exec_lo, s16
	s_delay_alu instid0(VALU_DEP_1) | instskip(SKIP_2) | instid1(VALU_DEP_3)
	v_lshlrev_b32_e32 v8, 20, v8
	v_lshlrev_b32_e32 v9, 24, v11
	v_lshl_add_u32 v102, v102, 23, 0x3c000000
	v_and_b32_e32 v8, 0x700000, v8
	s_delay_alu instid0(VALU_DEP_3) | instskip(NEXT) | instid1(VALU_DEP_1)
	v_and_b32_e32 v9, 0x80000000, v9
	v_or3_b32 v8, v8, v9, v102
.LBB386_1025:                           ;   in Loop: Header=BB386_808 Depth=1
	s_or_b32 exec_lo, exec_lo, s15
.LBB386_1026:                           ;   in Loop: Header=BB386_808 Depth=1
	s_delay_alu instid0(SALU_CYCLE_1)
	s_or_b32 exec_lo, exec_lo, s13
.LBB386_1027:                           ;   in Loop: Header=BB386_808 Depth=1
	s_delay_alu instid0(SALU_CYCLE_1) | instskip(NEXT) | instid1(VALU_DEP_1)
	s_or_b32 exec_lo, exec_lo, s12
	v_mul_f32_e32 v8, v10, v8
                                        ; implicit-def: $vgpr102
	s_delay_alu instid0(VALU_DEP_1) | instskip(NEXT) | instid1(VALU_DEP_1)
	v_and_b32_e32 v9, 0x7f800000, v8
	v_cmp_ne_u32_e64 s0, 0x7f800000, v9
	s_delay_alu instid0(VALU_DEP_1) | instskip(NEXT) | instid1(SALU_CYCLE_1)
	s_and_saveexec_b32 s12, s0
	s_xor_b32 s0, exec_lo, s12
; %bb.1028:                             ;   in Loop: Header=BB386_808 Depth=1
	v_bfe_u32 v9, v8, 16, 1
	s_delay_alu instid0(VALU_DEP_1)
	v_add3_u32 v102, v8, v9, 0x7fff
                                        ; implicit-def: $vgpr8
; %bb.1029:                             ;   in Loop: Header=BB386_808 Depth=1
	s_and_not1_saveexec_b32 s12, s0
; %bb.1030:                             ;   in Loop: Header=BB386_808 Depth=1
	v_and_b32_e32 v9, 0xffff, v8
	v_or_b32_e32 v102, 0x10000, v8
	s_delay_alu instid0(VALU_DEP_2) | instskip(NEXT) | instid1(VALU_DEP_1)
	v_cmp_eq_u32_e64 s0, 0, v9
	v_cndmask_b32_e64 v102, v102, v8, s0
; %bb.1031:                             ;   in Loop: Header=BB386_808 Depth=1
	s_or_b32 exec_lo, exec_lo, s12
	v_lshrrev_b16 v9, 8, v11
	v_mov_b32_e32 v8, 0
	s_mov_b32 s12, exec_lo
	s_delay_alu instid0(VALU_DEP_2)
	v_cmpx_ne_u16_e32 0, v9
	s_cbranch_execz .LBB386_1039
; %bb.1032:                             ;   in Loop: Header=BB386_808 Depth=1
	v_bfrev_b32_e32 v8, 1
	s_mov_b32 s13, exec_lo
	v_cmpx_ne_u16_e32 0x80, v9
	s_cbranch_execz .LBB386_1038
; %bb.1033:                             ;   in Loop: Header=BB386_808 Depth=1
	v_and_b32_e32 v9, 0xffff, v9
	v_mov_b32_e32 v8, 0x7f800001
	s_mov_b32 s15, exec_lo
	s_delay_alu instid0(VALU_DEP_2) | instskip(NEXT) | instid1(VALU_DEP_1)
	v_and_b32_e32 v112, 0x7f, v9
	v_cmpx_ne_u32_e32 0x7f, v112
	s_cbranch_execz .LBB386_1037
; %bb.1034:                             ;   in Loop: Header=BB386_808 Depth=1
	v_dual_mov_b32 v9, v12 :: v_dual_and_b32 v8, 7, v9
	v_lshrrev_b32_e32 v103, 3, v112
	s_mov_b32 s16, exec_lo
	v_cmpx_gt_u32_e32 8, v112
; %bb.1035:                             ;   in Loop: Header=BB386_808 Depth=1
	s_delay_alu instid0(VALU_DEP_3) | instskip(NEXT) | instid1(VALU_DEP_1)
	v_clz_i32_u32_e32 v103, v8
	v_min_u32_e32 v103, 32, v103
	s_delay_alu instid0(VALU_DEP_1) | instskip(SKIP_1) | instid1(VALU_DEP_2)
	v_subrev_nc_u32_e32 v112, 28, v103
	v_sub_nc_u32_e32 v103, 29, v103
	v_lshlrev_b64 v[8:9], v112, v[8:9]
	s_delay_alu instid0(VALU_DEP_1)
	v_and_b32_e32 v8, 7, v8
; %bb.1036:                             ;   in Loop: Header=BB386_808 Depth=1
	s_or_b32 exec_lo, exec_lo, s16
	v_lshlrev_b32_e32 v9, 16, v11
	s_delay_alu instid0(VALU_DEP_2) | instskip(SKIP_1) | instid1(VALU_DEP_3)
	v_lshlrev_b32_e32 v8, 20, v8
	v_lshl_add_u32 v11, v103, 23, 0x3c000000
	v_and_b32_e32 v9, 0x80000000, v9
	s_delay_alu instid0(VALU_DEP_1)
	v_or3_b32 v8, v8, v9, v11
.LBB386_1037:                           ;   in Loop: Header=BB386_808 Depth=1
	s_or_b32 exec_lo, exec_lo, s15
.LBB386_1038:                           ;   in Loop: Header=BB386_808 Depth=1
	s_delay_alu instid0(SALU_CYCLE_1)
	s_or_b32 exec_lo, exec_lo, s13
.LBB386_1039:                           ;   in Loop: Header=BB386_808 Depth=1
	s_delay_alu instid0(SALU_CYCLE_1) | instskip(NEXT) | instid1(VALU_DEP_1)
	s_or_b32 exec_lo, exec_lo, s12
	v_mul_f32_e32 v9, v10, v8
	s_delay_alu instid0(VALU_DEP_1) | instskip(NEXT) | instid1(VALU_DEP_1)
	v_and_b32_e32 v8, 0x7f800000, v9
	v_cmp_ne_u32_e64 s0, 0x7f800000, v8
                                        ; implicit-def: $vgpr8
	s_delay_alu instid0(VALU_DEP_1) | instskip(NEXT) | instid1(SALU_CYCLE_1)
	s_and_saveexec_b32 s12, s0
	s_xor_b32 s0, exec_lo, s12
; %bb.1040:                             ;   in Loop: Header=BB386_808 Depth=1
	v_bfe_u32 v8, v9, 16, 1
	s_delay_alu instid0(VALU_DEP_1)
	v_add3_u32 v8, v9, v8, 0x7fff
                                        ; implicit-def: $vgpr9
; %bb.1041:                             ;   in Loop: Header=BB386_808 Depth=1
	s_and_not1_saveexec_b32 s12, s0
; %bb.1042:                             ;   in Loop: Header=BB386_808 Depth=1
	v_and_b32_e32 v8, 0xffff, v9
	v_or_b32_e32 v11, 0x10000, v9
	s_delay_alu instid0(VALU_DEP_2) | instskip(NEXT) | instid1(VALU_DEP_1)
	v_cmp_eq_u32_e64 s0, 0, v8
	v_cndmask_b32_e64 v8, v11, v9, s0
; %bb.1043:                             ;   in Loop: Header=BB386_808 Depth=1
	s_or_b32 exec_lo, exec_lo, s12
	v_lshrrev_b32_e32 v9, 16, v3
	v_mov_b32_e32 v11, 0
	s_mov_b32 s12, exec_lo
	s_delay_alu instid0(VALU_DEP_2) | instskip(NEXT) | instid1(VALU_DEP_1)
	v_and_b32_e32 v103, 0xff, v9
	v_cmpx_ne_u16_e32 0, v103
	s_cbranch_execz .LBB386_1051
; %bb.1044:                             ;   in Loop: Header=BB386_808 Depth=1
	v_bfrev_b32_e32 v11, 1
	s_mov_b32 s13, exec_lo
	v_cmpx_ne_u16_e32 0x80, v103
	s_cbranch_execz .LBB386_1050
; %bb.1045:                             ;   in Loop: Header=BB386_808 Depth=1
	v_bfe_u32 v112, v3, 16, 7
	v_mov_b32_e32 v11, 0x7f800001
	s_mov_b32 s15, exec_lo
	s_delay_alu instid0(VALU_DEP_2)
	v_cmpx_ne_u32_e32 0x7f, v112
	s_cbranch_execz .LBB386_1049
; %bb.1046:                             ;   in Loop: Header=BB386_808 Depth=1
	v_and_b32_e32 v11, 7, v9
	v_lshrrev_b32_e32 v103, 3, v112
	s_mov_b32 s16, exec_lo
	v_cmpx_gt_u32_e32 8, v112
; %bb.1047:                             ;   in Loop: Header=BB386_808 Depth=1
	s_delay_alu instid0(VALU_DEP_3) | instskip(NEXT) | instid1(VALU_DEP_1)
	v_clz_i32_u32_e32 v103, v11
	v_min_u32_e32 v103, 32, v103
	s_delay_alu instid0(VALU_DEP_1) | instskip(SKIP_1) | instid1(VALU_DEP_2)
	v_subrev_nc_u32_e32 v112, 28, v103
	v_sub_nc_u32_e32 v103, 29, v103
	v_lshlrev_b64 v[112:113], v112, v[11:12]
	s_delay_alu instid0(VALU_DEP_1)
	v_and_b32_e32 v11, 7, v112
; %bb.1048:                             ;   in Loop: Header=BB386_808 Depth=1
	s_or_b32 exec_lo, exec_lo, s16
	v_lshlrev_b32_e32 v9, 24, v9
	s_delay_alu instid0(VALU_DEP_2) | instskip(SKIP_1) | instid1(VALU_DEP_3)
	v_lshlrev_b32_e32 v11, 20, v11
	v_lshl_add_u32 v103, v103, 23, 0x3c000000
	v_and_b32_e32 v9, 0x80000000, v9
	s_delay_alu instid0(VALU_DEP_1)
	v_or3_b32 v11, v11, v9, v103
.LBB386_1049:                           ;   in Loop: Header=BB386_808 Depth=1
	s_or_b32 exec_lo, exec_lo, s15
.LBB386_1050:                           ;   in Loop: Header=BB386_808 Depth=1
	s_delay_alu instid0(SALU_CYCLE_1)
	s_or_b32 exec_lo, exec_lo, s13
.LBB386_1051:                           ;   in Loop: Header=BB386_808 Depth=1
	s_delay_alu instid0(SALU_CYCLE_1) | instskip(NEXT) | instid1(VALU_DEP_1)
	s_or_b32 exec_lo, exec_lo, s12
	v_mul_f32_e32 v9, v10, v11
                                        ; implicit-def: $vgpr103
	s_delay_alu instid0(VALU_DEP_1) | instskip(NEXT) | instid1(VALU_DEP_1)
	v_and_b32_e32 v11, 0x7f800000, v9
	v_cmp_ne_u32_e64 s0, 0x7f800000, v11
	s_delay_alu instid0(VALU_DEP_1) | instskip(NEXT) | instid1(SALU_CYCLE_1)
	s_and_saveexec_b32 s12, s0
	s_xor_b32 s0, exec_lo, s12
; %bb.1052:                             ;   in Loop: Header=BB386_808 Depth=1
	v_bfe_u32 v11, v9, 16, 1
	s_delay_alu instid0(VALU_DEP_1)
	v_add3_u32 v103, v9, v11, 0x7fff
                                        ; implicit-def: $vgpr9
; %bb.1053:                             ;   in Loop: Header=BB386_808 Depth=1
	s_and_not1_saveexec_b32 s12, s0
; %bb.1054:                             ;   in Loop: Header=BB386_808 Depth=1
	v_and_b32_e32 v11, 0xffff, v9
	v_or_b32_e32 v103, 0x10000, v9
	s_delay_alu instid0(VALU_DEP_2) | instskip(NEXT) | instid1(VALU_DEP_1)
	v_cmp_eq_u32_e64 s0, 0, v11
	v_cndmask_b32_e64 v103, v103, v9, s0
; %bb.1055:                             ;   in Loop: Header=BB386_808 Depth=1
	s_or_b32 exec_lo, exec_lo, s12
	v_mov_b32_e32 v9, 0
	s_mov_b32 s12, exec_lo
	v_cmpx_lt_u64_e64 s[8:9], v[2:3]
	s_cbranch_execz .LBB386_1063
; %bb.1056:                             ;   in Loop: Header=BB386_808 Depth=1
	v_lshrrev_b32_e32 v2, 24, v3
	v_bfrev_b32_e32 v9, 1
	s_mov_b32 s13, exec_lo
	s_delay_alu instid0(VALU_DEP_2)
	v_cmpx_ne_u32_e32 0x80, v2
	s_cbranch_execz .LBB386_1062
; %bb.1057:                             ;   in Loop: Header=BB386_808 Depth=1
	v_bfe_u32 v112, v3, 24, 7
	v_mov_b32_e32 v9, 0x7f800001
	s_mov_b32 s15, exec_lo
	s_delay_alu instid0(VALU_DEP_2)
	v_cmpx_ne_u32_e32 0x7f, v112
	s_cbranch_execz .LBB386_1061
; %bb.1058:                             ;   in Loop: Header=BB386_808 Depth=1
	v_and_b32_e32 v11, 7, v2
	v_lshrrev_b32_e32 v3, 3, v112
	s_mov_b32 s16, exec_lo
	v_cmpx_gt_u32_e32 8, v112
; %bb.1059:                             ;   in Loop: Header=BB386_808 Depth=1
	s_delay_alu instid0(VALU_DEP_3) | instskip(NEXT) | instid1(VALU_DEP_1)
	v_clz_i32_u32_e32 v3, v11
	v_min_u32_e32 v3, 32, v3
	s_delay_alu instid0(VALU_DEP_1) | instskip(SKIP_1) | instid1(VALU_DEP_2)
	v_subrev_nc_u32_e32 v9, 28, v3
	v_sub_nc_u32_e32 v3, 29, v3
	v_lshlrev_b64 v[112:113], v9, v[11:12]
	s_delay_alu instid0(VALU_DEP_1)
	v_and_b32_e32 v11, 7, v112
; %bb.1060:                             ;   in Loop: Header=BB386_808 Depth=1
	s_or_b32 exec_lo, exec_lo, s16
	v_lshlrev_b32_e32 v2, 24, v2
	s_delay_alu instid0(VALU_DEP_2) | instskip(SKIP_1) | instid1(VALU_DEP_3)
	v_lshlrev_b32_e32 v9, 20, v11
	v_lshl_add_u32 v3, v3, 23, 0x3c000000
	v_and_b32_e32 v2, 0x80000000, v2
	s_delay_alu instid0(VALU_DEP_1)
	v_or3_b32 v9, v9, v2, v3
.LBB386_1061:                           ;   in Loop: Header=BB386_808 Depth=1
	s_or_b32 exec_lo, exec_lo, s15
.LBB386_1062:                           ;   in Loop: Header=BB386_808 Depth=1
	s_delay_alu instid0(SALU_CYCLE_1)
	s_or_b32 exec_lo, exec_lo, s13
.LBB386_1063:                           ;   in Loop: Header=BB386_808 Depth=1
	s_delay_alu instid0(SALU_CYCLE_1) | instskip(NEXT) | instid1(VALU_DEP_1)
	s_or_b32 exec_lo, exec_lo, s12
	v_mul_f32_e32 v3, v10, v9
	s_delay_alu instid0(VALU_DEP_1) | instskip(NEXT) | instid1(VALU_DEP_1)
	v_and_b32_e32 v2, 0x7f800000, v3
	v_cmp_ne_u32_e64 s0, 0x7f800000, v2
                                        ; implicit-def: $vgpr2
	s_delay_alu instid0(VALU_DEP_1) | instskip(NEXT) | instid1(SALU_CYCLE_1)
	s_and_saveexec_b32 s12, s0
	s_xor_b32 s0, exec_lo, s12
; %bb.1064:                             ;   in Loop: Header=BB386_808 Depth=1
	v_bfe_u32 v2, v3, 16, 1
	s_delay_alu instid0(VALU_DEP_1)
	v_add3_u32 v2, v3, v2, 0x7fff
                                        ; implicit-def: $vgpr3
; %bb.1065:                             ;   in Loop: Header=BB386_808 Depth=1
	s_and_not1_saveexec_b32 s12, s0
; %bb.1066:                             ;   in Loop: Header=BB386_808 Depth=1
	v_and_b32_e32 v2, 0xffff, v3
	v_or_b32_e32 v9, 0x10000, v3
	s_delay_alu instid0(VALU_DEP_2) | instskip(NEXT) | instid1(VALU_DEP_1)
	v_cmp_eq_u32_e64 s0, 0, v2
	v_cndmask_b32_e64 v2, v9, v3, s0
; %bb.1067:                             ;   in Loop: Header=BB386_808 Depth=1
	s_or_b32 exec_lo, exec_lo, s12
	v_lshrrev_b32_e32 v8, 16, v8
	v_lshrrev_b32_e32 v9, 16, v102
	;; [unrolled: 1-line block ×8, first 2 shown]
	s_and_saveexec_b32 s12, vcc_lo
	s_cbranch_execz .LBB386_1069
; %bb.1068:                             ;   in Loop: Header=BB386_808 Depth=1
	v_cmp_lt_i32_e64 s0, v23, v83
	s_delay_alu instid0(VALU_DEP_1) | instskip(SKIP_1) | instid1(VALU_DEP_1)
	v_cndmask_b32_e64 v98, 0, v98, s0
	v_cmp_lt_i32_e64 s0, v66, v83
	v_cndmask_b32_e64 v99, 0, v99, s0
	v_cmp_lt_i32_e64 s0, v65, v83
	s_delay_alu instid0(VALU_DEP_1) | instskip(SKIP_1) | instid1(VALU_DEP_1)
	v_cndmask_b32_e64 v100, 0, v100, s0
	v_cmp_lt_i32_e64 s0, v55, v83
	v_cndmask_b32_e64 v11, 0, v11, s0
	;; [unrolled: 5-line block ×4, first 2 shown]
.LBB386_1069:                           ;   in Loop: Header=BB386_808 Depth=1
	s_or_b32 exec_lo, exec_lo, s12
	v_lshlrev_b32_e32 v98, 16, v98
	s_delay_alu instid0(VALU_DEP_1) | instskip(NEXT) | instid1(VALU_DEP_1)
	v_mul_f32_e32 v101, v67, v98
	v_and_b32_e32 v98, 0x7f800000, v101
	s_delay_alu instid0(VALU_DEP_1) | instskip(NEXT) | instid1(VALU_DEP_1)
	v_cmp_ne_u32_e64 s0, 0x7f800000, v98
                                        ; implicit-def: $vgpr98
	s_and_saveexec_b32 s12, s0
	s_delay_alu instid0(SALU_CYCLE_1)
	s_xor_b32 s0, exec_lo, s12
; %bb.1070:                             ;   in Loop: Header=BB386_808 Depth=1
	v_bfe_u32 v98, v101, 16, 1
	s_delay_alu instid0(VALU_DEP_1)
	v_add3_u32 v98, v101, v98, 0x7fff
                                        ; implicit-def: $vgpr101
; %bb.1071:                             ;   in Loop: Header=BB386_808 Depth=1
	s_and_not1_saveexec_b32 s12, s0
; %bb.1072:                             ;   in Loop: Header=BB386_808 Depth=1
	v_and_b32_e32 v98, 0xffff, v101
	v_or_b32_e32 v102, 0x10000, v101
	s_delay_alu instid0(VALU_DEP_2) | instskip(NEXT) | instid1(VALU_DEP_1)
	v_cmp_eq_u32_e64 s0, 0, v98
	v_cndmask_b32_e64 v98, v102, v101, s0
; %bb.1073:                             ;   in Loop: Header=BB386_808 Depth=1
	s_or_b32 exec_lo, exec_lo, s12
	v_lshlrev_b32_e32 v99, 16, v99
	s_delay_alu instid0(VALU_DEP_1) | instskip(NEXT) | instid1(VALU_DEP_1)
	v_mul_f32_e32 v101, v68, v99
	v_and_b32_e32 v99, 0x7f800000, v101
	s_delay_alu instid0(VALU_DEP_1) | instskip(NEXT) | instid1(VALU_DEP_1)
	v_cmp_ne_u32_e64 s0, 0x7f800000, v99
                                        ; implicit-def: $vgpr99
	s_and_saveexec_b32 s12, s0
	s_delay_alu instid0(SALU_CYCLE_1)
	s_xor_b32 s0, exec_lo, s12
; %bb.1074:                             ;   in Loop: Header=BB386_808 Depth=1
	v_bfe_u32 v99, v101, 16, 1
	s_delay_alu instid0(VALU_DEP_1)
	v_add3_u32 v99, v101, v99, 0x7fff
                                        ; implicit-def: $vgpr101
; %bb.1075:                             ;   in Loop: Header=BB386_808 Depth=1
	s_and_not1_saveexec_b32 s12, s0
; %bb.1076:                             ;   in Loop: Header=BB386_808 Depth=1
	v_and_b32_e32 v99, 0xffff, v101
	v_or_b32_e32 v102, 0x10000, v101
	s_delay_alu instid0(VALU_DEP_2) | instskip(NEXT) | instid1(VALU_DEP_1)
	v_cmp_eq_u32_e64 s0, 0, v99
	v_cndmask_b32_e64 v99, v102, v101, s0
; %bb.1077:                             ;   in Loop: Header=BB386_808 Depth=1
	s_or_b32 exec_lo, exec_lo, s12
	v_lshlrev_b32_e32 v100, 16, v100
	s_delay_alu instid0(VALU_DEP_1) | instskip(NEXT) | instid1(VALU_DEP_1)
	v_mul_f32_e32 v101, v69, v100
	v_and_b32_e32 v100, 0x7f800000, v101
	s_delay_alu instid0(VALU_DEP_1) | instskip(NEXT) | instid1(VALU_DEP_1)
	v_cmp_ne_u32_e64 s0, 0x7f800000, v100
                                        ; implicit-def: $vgpr100
	s_and_saveexec_b32 s12, s0
	s_delay_alu instid0(SALU_CYCLE_1)
	s_xor_b32 s0, exec_lo, s12
; %bb.1078:                             ;   in Loop: Header=BB386_808 Depth=1
	v_bfe_u32 v100, v101, 16, 1
	s_delay_alu instid0(VALU_DEP_1)
	v_add3_u32 v100, v101, v100, 0x7fff
                                        ; implicit-def: $vgpr101
; %bb.1079:                             ;   in Loop: Header=BB386_808 Depth=1
	s_and_not1_saveexec_b32 s12, s0
; %bb.1080:                             ;   in Loop: Header=BB386_808 Depth=1
	v_and_b32_e32 v100, 0xffff, v101
	v_or_b32_e32 v102, 0x10000, v101
	s_delay_alu instid0(VALU_DEP_2) | instskip(NEXT) | instid1(VALU_DEP_1)
	v_cmp_eq_u32_e64 s0, 0, v100
	v_cndmask_b32_e64 v100, v102, v101, s0
; %bb.1081:                             ;   in Loop: Header=BB386_808 Depth=1
	s_or_b32 exec_lo, exec_lo, s12
	v_lshlrev_b32_e32 v11, 16, v11
	s_delay_alu instid0(VALU_DEP_1) | instskip(NEXT) | instid1(VALU_DEP_1)
	v_mul_f32_e32 v11, v70, v11
	v_and_b32_e32 v101, 0x7f800000, v11
	s_delay_alu instid0(VALU_DEP_1) | instskip(NEXT) | instid1(VALU_DEP_1)
	v_cmp_ne_u32_e64 s0, 0x7f800000, v101
                                        ; implicit-def: $vgpr101
	s_and_saveexec_b32 s12, s0
	s_delay_alu instid0(SALU_CYCLE_1)
	s_xor_b32 s0, exec_lo, s12
; %bb.1082:                             ;   in Loop: Header=BB386_808 Depth=1
	v_bfe_u32 v101, v11, 16, 1
	s_delay_alu instid0(VALU_DEP_1)
	v_add3_u32 v101, v11, v101, 0x7fff
                                        ; implicit-def: $vgpr11
; %bb.1083:                             ;   in Loop: Header=BB386_808 Depth=1
	s_and_not1_saveexec_b32 s12, s0
; %bb.1084:                             ;   in Loop: Header=BB386_808 Depth=1
	v_and_b32_e32 v101, 0xffff, v11
	v_or_b32_e32 v102, 0x10000, v11
	s_delay_alu instid0(VALU_DEP_2) | instskip(NEXT) | instid1(VALU_DEP_1)
	v_cmp_eq_u32_e64 s0, 0, v101
	v_cndmask_b32_e64 v101, v102, v11, s0
; %bb.1085:                             ;   in Loop: Header=BB386_808 Depth=1
	s_or_b32 exec_lo, exec_lo, s12
	v_lshlrev_b32_e32 v9, 16, v9
                                        ; implicit-def: $vgpr102
	s_delay_alu instid0(VALU_DEP_1) | instskip(NEXT) | instid1(VALU_DEP_1)
	v_mul_f32_e32 v9, v71, v9
	v_and_b32_e32 v11, 0x7f800000, v9
	s_delay_alu instid0(VALU_DEP_1) | instskip(NEXT) | instid1(VALU_DEP_1)
	v_cmp_ne_u32_e64 s0, 0x7f800000, v11
	s_and_saveexec_b32 s12, s0
	s_delay_alu instid0(SALU_CYCLE_1)
	s_xor_b32 s0, exec_lo, s12
; %bb.1086:                             ;   in Loop: Header=BB386_808 Depth=1
	v_bfe_u32 v11, v9, 16, 1
	s_delay_alu instid0(VALU_DEP_1)
	v_add3_u32 v102, v9, v11, 0x7fff
                                        ; implicit-def: $vgpr9
; %bb.1087:                             ;   in Loop: Header=BB386_808 Depth=1
	s_and_not1_saveexec_b32 s12, s0
; %bb.1088:                             ;   in Loop: Header=BB386_808 Depth=1
	v_and_b32_e32 v11, 0xffff, v9
	v_or_b32_e32 v102, 0x10000, v9
	s_delay_alu instid0(VALU_DEP_2) | instskip(NEXT) | instid1(VALU_DEP_1)
	v_cmp_eq_u32_e64 s0, 0, v11
	v_cndmask_b32_e64 v102, v102, v9, s0
; %bb.1089:                             ;   in Loop: Header=BB386_808 Depth=1
	s_or_b32 exec_lo, exec_lo, s12
	v_lshlrev_b32_e32 v8, 16, v8
                                        ; implicit-def: $vgpr103
	s_delay_alu instid0(VALU_DEP_1) | instskip(NEXT) | instid1(VALU_DEP_1)
	v_mul_f32_e32 v8, v80, v8
	v_and_b32_e32 v9, 0x7f800000, v8
	s_delay_alu instid0(VALU_DEP_1) | instskip(NEXT) | instid1(VALU_DEP_1)
	v_cmp_ne_u32_e64 s0, 0x7f800000, v9
	s_and_saveexec_b32 s12, s0
	s_delay_alu instid0(SALU_CYCLE_1)
	s_xor_b32 s0, exec_lo, s12
; %bb.1090:                             ;   in Loop: Header=BB386_808 Depth=1
	v_bfe_u32 v9, v8, 16, 1
	s_delay_alu instid0(VALU_DEP_1)
	v_add3_u32 v103, v8, v9, 0x7fff
                                        ; implicit-def: $vgpr8
; %bb.1091:                             ;   in Loop: Header=BB386_808 Depth=1
	s_and_not1_saveexec_b32 s12, s0
; %bb.1092:                             ;   in Loop: Header=BB386_808 Depth=1
	v_and_b32_e32 v9, 0xffff, v8
	v_or_b32_e32 v11, 0x10000, v8
	s_delay_alu instid0(VALU_DEP_2) | instskip(NEXT) | instid1(VALU_DEP_1)
	v_cmp_eq_u32_e64 s0, 0, v9
	v_cndmask_b32_e64 v103, v11, v8, s0
; %bb.1093:                             ;   in Loop: Header=BB386_808 Depth=1
	s_or_b32 exec_lo, exec_lo, s12
	v_lshlrev_b32_e32 v3, 16, v3
                                        ; implicit-def: $vgpr112
	s_delay_alu instid0(VALU_DEP_1) | instskip(NEXT) | instid1(VALU_DEP_1)
	v_mul_f32_e32 v3, v81, v3
	v_and_b32_e32 v8, 0x7f800000, v3
	s_delay_alu instid0(VALU_DEP_1) | instskip(NEXT) | instid1(VALU_DEP_1)
	v_cmp_ne_u32_e64 s0, 0x7f800000, v8
	s_and_saveexec_b32 s12, s0
	s_delay_alu instid0(SALU_CYCLE_1)
	s_xor_b32 s0, exec_lo, s12
; %bb.1094:                             ;   in Loop: Header=BB386_808 Depth=1
	v_bfe_u32 v8, v3, 16, 1
	s_delay_alu instid0(VALU_DEP_1)
	v_add3_u32 v112, v3, v8, 0x7fff
                                        ; implicit-def: $vgpr3
; %bb.1095:                             ;   in Loop: Header=BB386_808 Depth=1
	s_and_not1_saveexec_b32 s12, s0
; %bb.1096:                             ;   in Loop: Header=BB386_808 Depth=1
	v_and_b32_e32 v8, 0xffff, v3
	v_or_b32_e32 v9, 0x10000, v3
	s_delay_alu instid0(VALU_DEP_2) | instskip(NEXT) | instid1(VALU_DEP_1)
	v_cmp_eq_u32_e64 s0, 0, v8
	v_cndmask_b32_e64 v112, v9, v3, s0
; %bb.1097:                             ;   in Loop: Header=BB386_808 Depth=1
	s_or_b32 exec_lo, exec_lo, s12
	v_lshlrev_b32_e32 v2, 16, v2
                                        ; implicit-def: $vgpr113
	s_delay_alu instid0(VALU_DEP_1) | instskip(NEXT) | instid1(VALU_DEP_1)
	v_mul_f32_e32 v2, v97, v2
	v_and_b32_e32 v3, 0x7f800000, v2
	s_delay_alu instid0(VALU_DEP_1) | instskip(NEXT) | instid1(VALU_DEP_1)
	v_cmp_ne_u32_e64 s0, 0x7f800000, v3
	s_and_saveexec_b32 s12, s0
	s_delay_alu instid0(SALU_CYCLE_1)
	s_xor_b32 s0, exec_lo, s12
; %bb.1098:                             ;   in Loop: Header=BB386_808 Depth=1
	v_bfe_u32 v3, v2, 16, 1
	s_delay_alu instid0(VALU_DEP_1)
	v_add3_u32 v113, v2, v3, 0x7fff
                                        ; implicit-def: $vgpr2
; %bb.1099:                             ;   in Loop: Header=BB386_808 Depth=1
	s_and_not1_saveexec_b32 s12, s0
; %bb.1100:                             ;   in Loop: Header=BB386_808 Depth=1
	v_and_b32_e32 v3, 0xffff, v2
	v_or_b32_e32 v8, 0x10000, v2
	s_delay_alu instid0(VALU_DEP_2) | instskip(NEXT) | instid1(VALU_DEP_1)
	v_cmp_eq_u32_e64 s0, 0, v3
	v_cndmask_b32_e64 v113, v8, v2, s0
; %bb.1101:                             ;   in Loop: Header=BB386_808 Depth=1
	s_or_b32 exec_lo, exec_lo, s12
	flat_load_b64 v[2:3], v[0:1] offset:512
	s_mov_b32 s12, exec_lo
	s_waitcnt vmcnt(0) lgkmcnt(0)
	v_dual_mov_b32 v8, 0 :: v_dual_and_b32 v9, 0xff, v2
	s_delay_alu instid0(VALU_DEP_1)
	v_cmpx_ne_u16_e32 0, v9
	s_cbranch_execz .LBB386_1109
; %bb.1102:                             ;   in Loop: Header=BB386_808 Depth=1
	v_bfrev_b32_e32 v8, 1
	s_mov_b32 s13, exec_lo
	v_cmpx_ne_u16_e32 0x80, v9
	s_cbranch_execz .LBB386_1108
; %bb.1103:                             ;   in Loop: Header=BB386_808 Depth=1
	v_and_b32_e32 v9, 0x7f, v2
	v_mov_b32_e32 v8, 0x7f800001
	s_mov_b32 s15, exec_lo
	s_delay_alu instid0(VALU_DEP_2)
	v_cmpx_ne_u32_e32 0x7f, v9
	s_cbranch_execz .LBB386_1107
; %bb.1104:                             ;   in Loop: Header=BB386_808 Depth=1
	v_lshrrev_b32_e32 v11, 3, v9
	v_cmp_gt_u32_e64 s0, 8, v9
	v_dual_mov_b32 v9, v3 :: v_dual_mov_b32 v8, v2
	s_delay_alu instid0(VALU_DEP_2)
	s_and_saveexec_b32 s16, s0
; %bb.1105:                             ;   in Loop: Header=BB386_808 Depth=1
	v_and_b32_e32 v8, 7, v2
	s_delay_alu instid0(VALU_DEP_1) | instskip(NEXT) | instid1(VALU_DEP_1)
	v_clz_i32_u32_e32 v8, v8
	v_min_u32_e32 v11, 32, v8
	s_delay_alu instid0(VALU_DEP_1) | instskip(SKIP_1) | instid1(VALU_DEP_2)
	v_subrev_nc_u32_e32 v8, 28, v11
	v_sub_nc_u32_e32 v11, 29, v11
	v_lshlrev_b64 v[8:9], v8, v[2:3]
; %bb.1106:                             ;   in Loop: Header=BB386_808 Depth=1
	s_or_b32 exec_lo, exec_lo, s16
	s_delay_alu instid0(VALU_DEP_1) | instskip(SKIP_2) | instid1(VALU_DEP_3)
	v_lshlrev_b32_e32 v8, 20, v8
	v_lshlrev_b32_e32 v9, 24, v2
	v_lshl_add_u32 v11, v11, 23, 0x3c000000
	v_and_b32_e32 v8, 0x700000, v8
	s_delay_alu instid0(VALU_DEP_3) | instskip(NEXT) | instid1(VALU_DEP_1)
	v_and_b32_e32 v9, 0x80000000, v9
	v_or3_b32 v8, v8, v9, v11
.LBB386_1107:                           ;   in Loop: Header=BB386_808 Depth=1
	s_or_b32 exec_lo, exec_lo, s15
.LBB386_1108:                           ;   in Loop: Header=BB386_808 Depth=1
	s_delay_alu instid0(SALU_CYCLE_1)
	s_or_b32 exec_lo, exec_lo, s13
.LBB386_1109:                           ;   in Loop: Header=BB386_808 Depth=1
	s_delay_alu instid0(SALU_CYCLE_1) | instskip(NEXT) | instid1(VALU_DEP_1)
	s_or_b32 exec_lo, exec_lo, s12
	v_mul_f32_e32 v8, v10, v8
                                        ; implicit-def: $vgpr114
	s_delay_alu instid0(VALU_DEP_1) | instskip(NEXT) | instid1(VALU_DEP_1)
	v_and_b32_e32 v9, 0x7f800000, v8
	v_cmp_ne_u32_e64 s0, 0x7f800000, v9
	s_delay_alu instid0(VALU_DEP_1) | instskip(NEXT) | instid1(SALU_CYCLE_1)
	s_and_saveexec_b32 s12, s0
	s_xor_b32 s0, exec_lo, s12
; %bb.1110:                             ;   in Loop: Header=BB386_808 Depth=1
	v_bfe_u32 v9, v8, 16, 1
	s_delay_alu instid0(VALU_DEP_1)
	v_add3_u32 v114, v8, v9, 0x7fff
                                        ; implicit-def: $vgpr8
; %bb.1111:                             ;   in Loop: Header=BB386_808 Depth=1
	s_and_not1_saveexec_b32 s12, s0
; %bb.1112:                             ;   in Loop: Header=BB386_808 Depth=1
	v_and_b32_e32 v9, 0xffff, v8
	v_or_b32_e32 v11, 0x10000, v8
	s_delay_alu instid0(VALU_DEP_2) | instskip(NEXT) | instid1(VALU_DEP_1)
	v_cmp_eq_u32_e64 s0, 0, v9
	v_cndmask_b32_e64 v114, v11, v8, s0
; %bb.1113:                             ;   in Loop: Header=BB386_808 Depth=1
	s_or_b32 exec_lo, exec_lo, s12
	v_lshrrev_b16 v9, 8, v2
	v_mov_b32_e32 v8, 0
	s_mov_b32 s12, exec_lo
	s_delay_alu instid0(VALU_DEP_2)
	v_cmpx_ne_u16_e32 0, v9
	s_cbranch_execz .LBB386_1121
; %bb.1114:                             ;   in Loop: Header=BB386_808 Depth=1
	v_bfrev_b32_e32 v8, 1
	s_mov_b32 s13, exec_lo
	v_cmpx_ne_u16_e32 0x80, v9
	s_cbranch_execz .LBB386_1120
; %bb.1115:                             ;   in Loop: Header=BB386_808 Depth=1
	v_and_b32_e32 v11, 0xffff, v9
	v_mov_b32_e32 v8, 0x7f800001
	s_mov_b32 s15, exec_lo
	s_delay_alu instid0(VALU_DEP_2) | instskip(NEXT) | instid1(VALU_DEP_1)
	v_and_b32_e32 v9, 0x7f, v11
	v_cmpx_ne_u32_e32 0x7f, v9
	s_cbranch_execz .LBB386_1119
; %bb.1116:                             ;   in Loop: Header=BB386_808 Depth=1
	v_and_b32_e32 v11, 7, v11
	v_lshrrev_b32_e32 v8, 3, v9
	s_mov_b32 s16, exec_lo
	v_cmpx_gt_u32_e32 8, v9
; %bb.1117:                             ;   in Loop: Header=BB386_808 Depth=1
	s_delay_alu instid0(VALU_DEP_3) | instskip(NEXT) | instid1(VALU_DEP_1)
	v_clz_i32_u32_e32 v8, v11
	v_min_u32_e32 v8, 32, v8
	s_delay_alu instid0(VALU_DEP_1) | instskip(SKIP_1) | instid1(VALU_DEP_2)
	v_subrev_nc_u32_e32 v9, 28, v8
	v_sub_nc_u32_e32 v8, 29, v8
	v_lshlrev_b64 v[115:116], v9, v[11:12]
	s_delay_alu instid0(VALU_DEP_1)
	v_and_b32_e32 v11, 7, v115
; %bb.1118:                             ;   in Loop: Header=BB386_808 Depth=1
	s_or_b32 exec_lo, exec_lo, s16
	v_lshlrev_b32_e32 v9, 16, v2
	s_delay_alu instid0(VALU_DEP_2) | instskip(SKIP_1) | instid1(VALU_DEP_3)
	v_lshlrev_b32_e32 v11, 20, v11
	v_lshl_add_u32 v8, v8, 23, 0x3c000000
	v_and_b32_e32 v9, 0x80000000, v9
	s_delay_alu instid0(VALU_DEP_1)
	v_or3_b32 v8, v11, v9, v8
.LBB386_1119:                           ;   in Loop: Header=BB386_808 Depth=1
	s_or_b32 exec_lo, exec_lo, s15
.LBB386_1120:                           ;   in Loop: Header=BB386_808 Depth=1
	s_delay_alu instid0(SALU_CYCLE_1)
	s_or_b32 exec_lo, exec_lo, s13
.LBB386_1121:                           ;   in Loop: Header=BB386_808 Depth=1
	s_delay_alu instid0(SALU_CYCLE_1) | instskip(NEXT) | instid1(VALU_DEP_1)
	s_or_b32 exec_lo, exec_lo, s12
	v_mul_f32_e32 v8, v10, v8
                                        ; implicit-def: $vgpr115
	s_delay_alu instid0(VALU_DEP_1) | instskip(NEXT) | instid1(VALU_DEP_1)
	v_and_b32_e32 v9, 0x7f800000, v8
	v_cmp_ne_u32_e64 s0, 0x7f800000, v9
	s_delay_alu instid0(VALU_DEP_1) | instskip(NEXT) | instid1(SALU_CYCLE_1)
	s_and_saveexec_b32 s12, s0
	s_xor_b32 s0, exec_lo, s12
; %bb.1122:                             ;   in Loop: Header=BB386_808 Depth=1
	v_bfe_u32 v9, v8, 16, 1
	s_delay_alu instid0(VALU_DEP_1)
	v_add3_u32 v115, v8, v9, 0x7fff
                                        ; implicit-def: $vgpr8
; %bb.1123:                             ;   in Loop: Header=BB386_808 Depth=1
	s_and_not1_saveexec_b32 s12, s0
; %bb.1124:                             ;   in Loop: Header=BB386_808 Depth=1
	v_and_b32_e32 v9, 0xffff, v8
	v_or_b32_e32 v11, 0x10000, v8
	s_delay_alu instid0(VALU_DEP_2) | instskip(NEXT) | instid1(VALU_DEP_1)
	v_cmp_eq_u32_e64 s0, 0, v9
	v_cndmask_b32_e64 v115, v11, v8, s0
; %bb.1125:                             ;   in Loop: Header=BB386_808 Depth=1
	s_or_b32 exec_lo, exec_lo, s12
	v_lshrrev_b32_e32 v8, 16, v2
	v_mov_b32_e32 v9, 0
	s_mov_b32 s12, exec_lo
	s_delay_alu instid0(VALU_DEP_2) | instskip(NEXT) | instid1(VALU_DEP_1)
	v_and_b32_e32 v11, 0xff, v8
	v_cmpx_ne_u16_e32 0, v11
	s_cbranch_execz .LBB386_1133
; %bb.1126:                             ;   in Loop: Header=BB386_808 Depth=1
	v_bfrev_b32_e32 v9, 1
	s_mov_b32 s13, exec_lo
	v_cmpx_ne_u16_e32 0x80, v11
	s_cbranch_execz .LBB386_1132
; %bb.1127:                             ;   in Loop: Header=BB386_808 Depth=1
	v_bfe_u32 v116, v2, 16, 7
	v_mov_b32_e32 v9, 0x7f800001
	s_mov_b32 s15, exec_lo
	s_delay_alu instid0(VALU_DEP_2)
	v_cmpx_ne_u32_e32 0x7f, v116
	s_cbranch_execz .LBB386_1131
; %bb.1128:                             ;   in Loop: Header=BB386_808 Depth=1
	v_and_b32_e32 v11, 7, v8
	v_lshrrev_b32_e32 v9, 3, v116
	s_mov_b32 s16, exec_lo
	v_cmpx_gt_u32_e32 8, v116
; %bb.1129:                             ;   in Loop: Header=BB386_808 Depth=1
	s_delay_alu instid0(VALU_DEP_3) | instskip(NEXT) | instid1(VALU_DEP_1)
	v_clz_i32_u32_e32 v9, v11
	v_min_u32_e32 v9, 32, v9
	s_delay_alu instid0(VALU_DEP_1) | instskip(SKIP_1) | instid1(VALU_DEP_2)
	v_subrev_nc_u32_e32 v116, 28, v9
	v_sub_nc_u32_e32 v9, 29, v9
	v_lshlrev_b64 v[116:117], v116, v[11:12]
	s_delay_alu instid0(VALU_DEP_1)
	v_and_b32_e32 v11, 7, v116
; %bb.1130:                             ;   in Loop: Header=BB386_808 Depth=1
	s_or_b32 exec_lo, exec_lo, s16
	v_lshlrev_b32_e32 v8, 24, v8
	s_delay_alu instid0(VALU_DEP_2) | instskip(SKIP_1) | instid1(VALU_DEP_3)
	v_lshlrev_b32_e32 v11, 20, v11
	v_lshl_add_u32 v9, v9, 23, 0x3c000000
	v_and_b32_e32 v8, 0x80000000, v8
	s_delay_alu instid0(VALU_DEP_1)
	v_or3_b32 v9, v11, v8, v9
.LBB386_1131:                           ;   in Loop: Header=BB386_808 Depth=1
	s_or_b32 exec_lo, exec_lo, s15
.LBB386_1132:                           ;   in Loop: Header=BB386_808 Depth=1
	s_delay_alu instid0(SALU_CYCLE_1)
	s_or_b32 exec_lo, exec_lo, s13
.LBB386_1133:                           ;   in Loop: Header=BB386_808 Depth=1
	s_delay_alu instid0(SALU_CYCLE_1) | instskip(NEXT) | instid1(VALU_DEP_1)
	s_or_b32 exec_lo, exec_lo, s12
	v_mul_f32_e32 v8, v10, v9
                                        ; implicit-def: $vgpr116
	s_delay_alu instid0(VALU_DEP_1) | instskip(NEXT) | instid1(VALU_DEP_1)
	v_and_b32_e32 v9, 0x7f800000, v8
	v_cmp_ne_u32_e64 s0, 0x7f800000, v9
	s_delay_alu instid0(VALU_DEP_1) | instskip(NEXT) | instid1(SALU_CYCLE_1)
	s_and_saveexec_b32 s12, s0
	s_xor_b32 s0, exec_lo, s12
; %bb.1134:                             ;   in Loop: Header=BB386_808 Depth=1
	v_bfe_u32 v9, v8, 16, 1
	s_delay_alu instid0(VALU_DEP_1)
	v_add3_u32 v116, v8, v9, 0x7fff
                                        ; implicit-def: $vgpr8
; %bb.1135:                             ;   in Loop: Header=BB386_808 Depth=1
	s_and_not1_saveexec_b32 s12, s0
; %bb.1136:                             ;   in Loop: Header=BB386_808 Depth=1
	v_and_b32_e32 v9, 0xffff, v8
	v_or_b32_e32 v11, 0x10000, v8
	s_delay_alu instid0(VALU_DEP_2) | instskip(NEXT) | instid1(VALU_DEP_1)
	v_cmp_eq_u32_e64 s0, 0, v9
	v_cndmask_b32_e64 v116, v11, v8, s0
; %bb.1137:                             ;   in Loop: Header=BB386_808 Depth=1
	s_or_b32 exec_lo, exec_lo, s12
	v_mov_b32_e32 v9, 0
	s_mov_b32 s12, exec_lo
	v_cmpx_lt_u32_e32 0xffffff, v2
	s_cbranch_execz .LBB386_1145
; %bb.1138:                             ;   in Loop: Header=BB386_808 Depth=1
	v_lshrrev_b32_e32 v8, 24, v2
	v_bfrev_b32_e32 v9, 1
	s_mov_b32 s13, exec_lo
	s_delay_alu instid0(VALU_DEP_2)
	v_cmpx_ne_u32_e32 0x80, v8
	s_cbranch_execz .LBB386_1144
; %bb.1139:                             ;   in Loop: Header=BB386_808 Depth=1
	v_bfe_u32 v117, v2, 24, 7
	v_mov_b32_e32 v9, 0x7f800001
	s_mov_b32 s15, exec_lo
	s_delay_alu instid0(VALU_DEP_2)
	v_cmpx_ne_u32_e32 0x7f, v117
	s_cbranch_execz .LBB386_1143
; %bb.1140:                             ;   in Loop: Header=BB386_808 Depth=1
	v_and_b32_e32 v11, 7, v8
	v_lshrrev_b32_e32 v9, 3, v117
	s_mov_b32 s16, exec_lo
	v_cmpx_gt_u32_e32 8, v117
; %bb.1141:                             ;   in Loop: Header=BB386_808 Depth=1
	s_delay_alu instid0(VALU_DEP_3) | instskip(NEXT) | instid1(VALU_DEP_1)
	v_clz_i32_u32_e32 v9, v11
	v_min_u32_e32 v9, 32, v9
	s_delay_alu instid0(VALU_DEP_1) | instskip(SKIP_1) | instid1(VALU_DEP_2)
	v_subrev_nc_u32_e32 v117, 28, v9
	v_sub_nc_u32_e32 v9, 29, v9
	v_lshlrev_b64 v[117:118], v117, v[11:12]
	s_delay_alu instid0(VALU_DEP_1)
	v_and_b32_e32 v11, 7, v117
; %bb.1142:                             ;   in Loop: Header=BB386_808 Depth=1
	s_or_b32 exec_lo, exec_lo, s16
	v_lshlrev_b32_e32 v8, 24, v8
	s_delay_alu instid0(VALU_DEP_2) | instskip(SKIP_1) | instid1(VALU_DEP_3)
	v_lshlrev_b32_e32 v11, 20, v11
	v_lshl_add_u32 v9, v9, 23, 0x3c000000
	v_and_b32_e32 v8, 0x80000000, v8
	s_delay_alu instid0(VALU_DEP_1)
	v_or3_b32 v9, v11, v8, v9
.LBB386_1143:                           ;   in Loop: Header=BB386_808 Depth=1
	s_or_b32 exec_lo, exec_lo, s15
.LBB386_1144:                           ;   in Loop: Header=BB386_808 Depth=1
	s_delay_alu instid0(SALU_CYCLE_1)
	s_or_b32 exec_lo, exec_lo, s13
.LBB386_1145:                           ;   in Loop: Header=BB386_808 Depth=1
	s_delay_alu instid0(SALU_CYCLE_1) | instskip(NEXT) | instid1(VALU_DEP_1)
	s_or_b32 exec_lo, exec_lo, s12
	v_mul_f32_e32 v8, v10, v9
                                        ; implicit-def: $vgpr117
	s_delay_alu instid0(VALU_DEP_1) | instskip(NEXT) | instid1(VALU_DEP_1)
	v_and_b32_e32 v9, 0x7f800000, v8
	v_cmp_ne_u32_e64 s0, 0x7f800000, v9
	s_delay_alu instid0(VALU_DEP_1) | instskip(NEXT) | instid1(SALU_CYCLE_1)
	s_and_saveexec_b32 s12, s0
	s_xor_b32 s0, exec_lo, s12
; %bb.1146:                             ;   in Loop: Header=BB386_808 Depth=1
	v_bfe_u32 v9, v8, 16, 1
	s_delay_alu instid0(VALU_DEP_1)
	v_add3_u32 v117, v8, v9, 0x7fff
                                        ; implicit-def: $vgpr8
; %bb.1147:                             ;   in Loop: Header=BB386_808 Depth=1
	s_and_not1_saveexec_b32 s12, s0
; %bb.1148:                             ;   in Loop: Header=BB386_808 Depth=1
	v_and_b32_e32 v9, 0xffff, v8
	v_or_b32_e32 v11, 0x10000, v8
	s_delay_alu instid0(VALU_DEP_2) | instskip(NEXT) | instid1(VALU_DEP_1)
	v_cmp_eq_u32_e64 s0, 0, v9
	v_cndmask_b32_e64 v117, v11, v8, s0
; %bb.1149:                             ;   in Loop: Header=BB386_808 Depth=1
	s_or_b32 exec_lo, exec_lo, s12
	v_dual_mov_b32 v8, 0 :: v_dual_and_b32 v9, 0xff, v3
	v_mov_b32_e32 v11, v3
	s_mov_b32 s12, exec_lo
	s_delay_alu instid0(VALU_DEP_2)
	v_cmpx_ne_u16_e32 0, v9
	s_cbranch_execz .LBB386_1157
; %bb.1150:                             ;   in Loop: Header=BB386_808 Depth=1
	v_bfrev_b32_e32 v8, 1
	s_mov_b32 s13, exec_lo
	v_cmpx_ne_u16_e32 0x80, v9
	s_cbranch_execz .LBB386_1156
; %bb.1151:                             ;   in Loop: Header=BB386_808 Depth=1
	v_and_b32_e32 v9, 0x7f, v3
	v_mov_b32_e32 v8, 0x7f800001
	s_mov_b32 s15, exec_lo
	s_delay_alu instid0(VALU_DEP_2)
	v_cmpx_ne_u32_e32 0x7f, v9
	s_cbranch_execz .LBB386_1155
; %bb.1152:                             ;   in Loop: Header=BB386_808 Depth=1
	v_lshrrev_b32_e32 v118, 3, v9
	v_cmp_gt_u32_e64 s0, 8, v9
	v_dual_mov_b32 v8, v11 :: v_dual_mov_b32 v9, v12
	s_delay_alu instid0(VALU_DEP_2)
	s_and_saveexec_b32 s16, s0
; %bb.1153:                             ;   in Loop: Header=BB386_808 Depth=1
	v_and_b32_e32 v8, 7, v3
	s_delay_alu instid0(VALU_DEP_1) | instskip(NEXT) | instid1(VALU_DEP_1)
	v_clz_i32_u32_e32 v8, v8
	v_min_u32_e32 v118, 32, v8
	s_delay_alu instid0(VALU_DEP_1) | instskip(SKIP_1) | instid1(VALU_DEP_2)
	v_subrev_nc_u32_e32 v8, 28, v118
	v_sub_nc_u32_e32 v118, 29, v118
	v_lshlrev_b64 v[8:9], v8, v[11:12]
; %bb.1154:                             ;   in Loop: Header=BB386_808 Depth=1
	s_or_b32 exec_lo, exec_lo, s16
	s_delay_alu instid0(VALU_DEP_1) | instskip(SKIP_2) | instid1(VALU_DEP_3)
	v_lshlrev_b32_e32 v8, 20, v8
	v_lshlrev_b32_e32 v9, 24, v11
	v_lshl_add_u32 v118, v118, 23, 0x3c000000
	v_and_b32_e32 v8, 0x700000, v8
	s_delay_alu instid0(VALU_DEP_3) | instskip(NEXT) | instid1(VALU_DEP_1)
	v_and_b32_e32 v9, 0x80000000, v9
	v_or3_b32 v8, v8, v9, v118
.LBB386_1155:                           ;   in Loop: Header=BB386_808 Depth=1
	s_or_b32 exec_lo, exec_lo, s15
.LBB386_1156:                           ;   in Loop: Header=BB386_808 Depth=1
	s_delay_alu instid0(SALU_CYCLE_1)
	s_or_b32 exec_lo, exec_lo, s13
.LBB386_1157:                           ;   in Loop: Header=BB386_808 Depth=1
	s_delay_alu instid0(SALU_CYCLE_1) | instskip(NEXT) | instid1(VALU_DEP_1)
	s_or_b32 exec_lo, exec_lo, s12
	v_mul_f32_e32 v8, v10, v8
                                        ; implicit-def: $vgpr118
	s_delay_alu instid0(VALU_DEP_1) | instskip(NEXT) | instid1(VALU_DEP_1)
	v_and_b32_e32 v9, 0x7f800000, v8
	v_cmp_ne_u32_e64 s0, 0x7f800000, v9
	s_delay_alu instid0(VALU_DEP_1) | instskip(NEXT) | instid1(SALU_CYCLE_1)
	s_and_saveexec_b32 s12, s0
	s_xor_b32 s0, exec_lo, s12
; %bb.1158:                             ;   in Loop: Header=BB386_808 Depth=1
	v_bfe_u32 v9, v8, 16, 1
	s_delay_alu instid0(VALU_DEP_1)
	v_add3_u32 v118, v8, v9, 0x7fff
                                        ; implicit-def: $vgpr8
; %bb.1159:                             ;   in Loop: Header=BB386_808 Depth=1
	s_and_not1_saveexec_b32 s12, s0
; %bb.1160:                             ;   in Loop: Header=BB386_808 Depth=1
	v_and_b32_e32 v9, 0xffff, v8
	v_or_b32_e32 v118, 0x10000, v8
	s_delay_alu instid0(VALU_DEP_2) | instskip(NEXT) | instid1(VALU_DEP_1)
	v_cmp_eq_u32_e64 s0, 0, v9
	v_cndmask_b32_e64 v118, v118, v8, s0
; %bb.1161:                             ;   in Loop: Header=BB386_808 Depth=1
	s_or_b32 exec_lo, exec_lo, s12
	v_lshrrev_b16 v9, 8, v11
	v_mov_b32_e32 v8, 0
	s_mov_b32 s12, exec_lo
	s_delay_alu instid0(VALU_DEP_2)
	v_cmpx_ne_u16_e32 0, v9
	s_cbranch_execz .LBB386_1169
; %bb.1162:                             ;   in Loop: Header=BB386_808 Depth=1
	v_bfrev_b32_e32 v8, 1
	s_mov_b32 s13, exec_lo
	v_cmpx_ne_u16_e32 0x80, v9
	s_cbranch_execz .LBB386_1168
; %bb.1163:                             ;   in Loop: Header=BB386_808 Depth=1
	v_and_b32_e32 v9, 0xffff, v9
	v_mov_b32_e32 v8, 0x7f800001
	s_mov_b32 s15, exec_lo
	s_delay_alu instid0(VALU_DEP_2) | instskip(NEXT) | instid1(VALU_DEP_1)
	v_and_b32_e32 v128, 0x7f, v9
	v_cmpx_ne_u32_e32 0x7f, v128
	s_cbranch_execz .LBB386_1167
; %bb.1164:                             ;   in Loop: Header=BB386_808 Depth=1
	v_dual_mov_b32 v9, v12 :: v_dual_and_b32 v8, 7, v9
	v_lshrrev_b32_e32 v119, 3, v128
	s_mov_b32 s16, exec_lo
	v_cmpx_gt_u32_e32 8, v128
; %bb.1165:                             ;   in Loop: Header=BB386_808 Depth=1
	s_delay_alu instid0(VALU_DEP_3) | instskip(NEXT) | instid1(VALU_DEP_1)
	v_clz_i32_u32_e32 v119, v8
	v_min_u32_e32 v119, 32, v119
	s_delay_alu instid0(VALU_DEP_1) | instskip(SKIP_1) | instid1(VALU_DEP_2)
	v_subrev_nc_u32_e32 v128, 28, v119
	v_sub_nc_u32_e32 v119, 29, v119
	v_lshlrev_b64 v[8:9], v128, v[8:9]
	s_delay_alu instid0(VALU_DEP_1)
	v_and_b32_e32 v8, 7, v8
; %bb.1166:                             ;   in Loop: Header=BB386_808 Depth=1
	s_or_b32 exec_lo, exec_lo, s16
	v_lshlrev_b32_e32 v9, 16, v11
	s_delay_alu instid0(VALU_DEP_2) | instskip(SKIP_1) | instid1(VALU_DEP_3)
	v_lshlrev_b32_e32 v8, 20, v8
	v_lshl_add_u32 v11, v119, 23, 0x3c000000
	v_and_b32_e32 v9, 0x80000000, v9
	s_delay_alu instid0(VALU_DEP_1)
	v_or3_b32 v8, v8, v9, v11
.LBB386_1167:                           ;   in Loop: Header=BB386_808 Depth=1
	s_or_b32 exec_lo, exec_lo, s15
.LBB386_1168:                           ;   in Loop: Header=BB386_808 Depth=1
	s_delay_alu instid0(SALU_CYCLE_1)
	s_or_b32 exec_lo, exec_lo, s13
.LBB386_1169:                           ;   in Loop: Header=BB386_808 Depth=1
	s_delay_alu instid0(SALU_CYCLE_1) | instskip(NEXT) | instid1(VALU_DEP_1)
	s_or_b32 exec_lo, exec_lo, s12
	v_mul_f32_e32 v9, v10, v8
	s_delay_alu instid0(VALU_DEP_1) | instskip(NEXT) | instid1(VALU_DEP_1)
	v_and_b32_e32 v8, 0x7f800000, v9
	v_cmp_ne_u32_e64 s0, 0x7f800000, v8
                                        ; implicit-def: $vgpr8
	s_delay_alu instid0(VALU_DEP_1) | instskip(NEXT) | instid1(SALU_CYCLE_1)
	s_and_saveexec_b32 s12, s0
	s_xor_b32 s0, exec_lo, s12
; %bb.1170:                             ;   in Loop: Header=BB386_808 Depth=1
	v_bfe_u32 v8, v9, 16, 1
	s_delay_alu instid0(VALU_DEP_1)
	v_add3_u32 v8, v9, v8, 0x7fff
                                        ; implicit-def: $vgpr9
; %bb.1171:                             ;   in Loop: Header=BB386_808 Depth=1
	s_and_not1_saveexec_b32 s12, s0
; %bb.1172:                             ;   in Loop: Header=BB386_808 Depth=1
	v_and_b32_e32 v8, 0xffff, v9
	v_or_b32_e32 v11, 0x10000, v9
	s_delay_alu instid0(VALU_DEP_2) | instskip(NEXT) | instid1(VALU_DEP_1)
	v_cmp_eq_u32_e64 s0, 0, v8
	v_cndmask_b32_e64 v8, v11, v9, s0
; %bb.1173:                             ;   in Loop: Header=BB386_808 Depth=1
	s_or_b32 exec_lo, exec_lo, s12
	v_lshrrev_b32_e32 v9, 16, v3
	v_mov_b32_e32 v11, 0
	s_mov_b32 s12, exec_lo
	s_delay_alu instid0(VALU_DEP_2) | instskip(NEXT) | instid1(VALU_DEP_1)
	v_and_b32_e32 v119, 0xff, v9
	v_cmpx_ne_u16_e32 0, v119
	s_cbranch_execz .LBB386_1181
; %bb.1174:                             ;   in Loop: Header=BB386_808 Depth=1
	v_bfrev_b32_e32 v11, 1
	s_mov_b32 s13, exec_lo
	v_cmpx_ne_u16_e32 0x80, v119
	s_cbranch_execz .LBB386_1180
; %bb.1175:                             ;   in Loop: Header=BB386_808 Depth=1
	v_bfe_u32 v128, v3, 16, 7
	v_mov_b32_e32 v11, 0x7f800001
	s_mov_b32 s15, exec_lo
	s_delay_alu instid0(VALU_DEP_2)
	v_cmpx_ne_u32_e32 0x7f, v128
	s_cbranch_execz .LBB386_1179
; %bb.1176:                             ;   in Loop: Header=BB386_808 Depth=1
	v_and_b32_e32 v11, 7, v9
	v_lshrrev_b32_e32 v119, 3, v128
	s_mov_b32 s16, exec_lo
	v_cmpx_gt_u32_e32 8, v128
; %bb.1177:                             ;   in Loop: Header=BB386_808 Depth=1
	s_delay_alu instid0(VALU_DEP_3) | instskip(NEXT) | instid1(VALU_DEP_1)
	v_clz_i32_u32_e32 v119, v11
	v_min_u32_e32 v119, 32, v119
	s_delay_alu instid0(VALU_DEP_1) | instskip(SKIP_1) | instid1(VALU_DEP_2)
	v_subrev_nc_u32_e32 v128, 28, v119
	v_sub_nc_u32_e32 v119, 29, v119
	v_lshlrev_b64 v[128:129], v128, v[11:12]
	s_delay_alu instid0(VALU_DEP_1)
	v_and_b32_e32 v11, 7, v128
; %bb.1178:                             ;   in Loop: Header=BB386_808 Depth=1
	s_or_b32 exec_lo, exec_lo, s16
	v_lshlrev_b32_e32 v9, 24, v9
	s_delay_alu instid0(VALU_DEP_2) | instskip(SKIP_1) | instid1(VALU_DEP_3)
	v_lshlrev_b32_e32 v11, 20, v11
	v_lshl_add_u32 v119, v119, 23, 0x3c000000
	v_and_b32_e32 v9, 0x80000000, v9
	s_delay_alu instid0(VALU_DEP_1)
	v_or3_b32 v11, v11, v9, v119
.LBB386_1179:                           ;   in Loop: Header=BB386_808 Depth=1
	s_or_b32 exec_lo, exec_lo, s15
.LBB386_1180:                           ;   in Loop: Header=BB386_808 Depth=1
	s_delay_alu instid0(SALU_CYCLE_1)
	s_or_b32 exec_lo, exec_lo, s13
.LBB386_1181:                           ;   in Loop: Header=BB386_808 Depth=1
	s_delay_alu instid0(SALU_CYCLE_1) | instskip(NEXT) | instid1(VALU_DEP_1)
	s_or_b32 exec_lo, exec_lo, s12
	v_mul_f32_e32 v9, v10, v11
                                        ; implicit-def: $vgpr119
	s_delay_alu instid0(VALU_DEP_1) | instskip(NEXT) | instid1(VALU_DEP_1)
	v_and_b32_e32 v11, 0x7f800000, v9
	v_cmp_ne_u32_e64 s0, 0x7f800000, v11
	s_delay_alu instid0(VALU_DEP_1) | instskip(NEXT) | instid1(SALU_CYCLE_1)
	s_and_saveexec_b32 s12, s0
	s_xor_b32 s0, exec_lo, s12
; %bb.1182:                             ;   in Loop: Header=BB386_808 Depth=1
	v_bfe_u32 v11, v9, 16, 1
	s_delay_alu instid0(VALU_DEP_1)
	v_add3_u32 v119, v9, v11, 0x7fff
                                        ; implicit-def: $vgpr9
; %bb.1183:                             ;   in Loop: Header=BB386_808 Depth=1
	s_and_not1_saveexec_b32 s12, s0
; %bb.1184:                             ;   in Loop: Header=BB386_808 Depth=1
	v_and_b32_e32 v11, 0xffff, v9
	v_or_b32_e32 v119, 0x10000, v9
	s_delay_alu instid0(VALU_DEP_2) | instskip(NEXT) | instid1(VALU_DEP_1)
	v_cmp_eq_u32_e64 s0, 0, v11
	v_cndmask_b32_e64 v119, v119, v9, s0
; %bb.1185:                             ;   in Loop: Header=BB386_808 Depth=1
	s_or_b32 exec_lo, exec_lo, s12
	v_mov_b32_e32 v9, 0
	s_mov_b32 s12, exec_lo
	v_cmpx_lt_u64_e64 s[8:9], v[2:3]
	s_cbranch_execz .LBB386_1193
; %bb.1186:                             ;   in Loop: Header=BB386_808 Depth=1
	v_lshrrev_b32_e32 v2, 24, v3
	v_bfrev_b32_e32 v9, 1
	s_mov_b32 s13, exec_lo
	s_delay_alu instid0(VALU_DEP_2)
	v_cmpx_ne_u32_e32 0x80, v2
	s_cbranch_execz .LBB386_1192
; %bb.1187:                             ;   in Loop: Header=BB386_808 Depth=1
	v_bfe_u32 v128, v3, 24, 7
	v_mov_b32_e32 v9, 0x7f800001
	s_mov_b32 s15, exec_lo
	s_delay_alu instid0(VALU_DEP_2)
	v_cmpx_ne_u32_e32 0x7f, v128
	s_cbranch_execz .LBB386_1191
; %bb.1188:                             ;   in Loop: Header=BB386_808 Depth=1
	v_and_b32_e32 v11, 7, v2
	v_lshrrev_b32_e32 v3, 3, v128
	s_mov_b32 s16, exec_lo
	v_cmpx_gt_u32_e32 8, v128
; %bb.1189:                             ;   in Loop: Header=BB386_808 Depth=1
	s_delay_alu instid0(VALU_DEP_3) | instskip(NEXT) | instid1(VALU_DEP_1)
	v_clz_i32_u32_e32 v3, v11
	v_min_u32_e32 v3, 32, v3
	s_delay_alu instid0(VALU_DEP_1) | instskip(SKIP_1) | instid1(VALU_DEP_2)
	v_subrev_nc_u32_e32 v9, 28, v3
	v_sub_nc_u32_e32 v3, 29, v3
	v_lshlrev_b64 v[128:129], v9, v[11:12]
	s_delay_alu instid0(VALU_DEP_1)
	v_and_b32_e32 v11, 7, v128
; %bb.1190:                             ;   in Loop: Header=BB386_808 Depth=1
	s_or_b32 exec_lo, exec_lo, s16
	v_lshlrev_b32_e32 v2, 24, v2
	s_delay_alu instid0(VALU_DEP_2) | instskip(SKIP_1) | instid1(VALU_DEP_3)
	v_lshlrev_b32_e32 v9, 20, v11
	v_lshl_add_u32 v3, v3, 23, 0x3c000000
	v_and_b32_e32 v2, 0x80000000, v2
	s_delay_alu instid0(VALU_DEP_1)
	v_or3_b32 v9, v9, v2, v3
.LBB386_1191:                           ;   in Loop: Header=BB386_808 Depth=1
	s_or_b32 exec_lo, exec_lo, s15
.LBB386_1192:                           ;   in Loop: Header=BB386_808 Depth=1
	s_delay_alu instid0(SALU_CYCLE_1)
	s_or_b32 exec_lo, exec_lo, s13
.LBB386_1193:                           ;   in Loop: Header=BB386_808 Depth=1
	s_delay_alu instid0(SALU_CYCLE_1) | instskip(NEXT) | instid1(VALU_DEP_1)
	s_or_b32 exec_lo, exec_lo, s12
	v_mul_f32_e32 v3, v10, v9
	s_delay_alu instid0(VALU_DEP_1) | instskip(NEXT) | instid1(VALU_DEP_1)
	v_and_b32_e32 v2, 0x7f800000, v3
	v_cmp_ne_u32_e64 s0, 0x7f800000, v2
                                        ; implicit-def: $vgpr2
	s_delay_alu instid0(VALU_DEP_1) | instskip(NEXT) | instid1(SALU_CYCLE_1)
	s_and_saveexec_b32 s12, s0
	s_xor_b32 s0, exec_lo, s12
; %bb.1194:                             ;   in Loop: Header=BB386_808 Depth=1
	v_bfe_u32 v2, v3, 16, 1
	s_delay_alu instid0(VALU_DEP_1)
	v_add3_u32 v2, v3, v2, 0x7fff
                                        ; implicit-def: $vgpr3
; %bb.1195:                             ;   in Loop: Header=BB386_808 Depth=1
	s_and_not1_saveexec_b32 s12, s0
; %bb.1196:                             ;   in Loop: Header=BB386_808 Depth=1
	v_and_b32_e32 v2, 0xffff, v3
	v_or_b32_e32 v9, 0x10000, v3
	s_delay_alu instid0(VALU_DEP_2) | instskip(NEXT) | instid1(VALU_DEP_1)
	v_cmp_eq_u32_e64 s0, 0, v2
	v_cndmask_b32_e64 v2, v9, v3, s0
; %bb.1197:                             ;   in Loop: Header=BB386_808 Depth=1
	s_or_b32 exec_lo, exec_lo, s12
	v_lshrrev_b32_e32 v8, 16, v8
	v_lshrrev_b32_e32 v9, 16, v118
	;; [unrolled: 1-line block ×8, first 2 shown]
	s_and_saveexec_b32 s12, vcc_lo
	s_cbranch_execz .LBB386_1199
; %bb.1198:                             ;   in Loop: Header=BB386_808 Depth=1
	v_cmp_lt_i32_e64 s0, v23, v83
	s_delay_alu instid0(VALU_DEP_1) | instskip(SKIP_1) | instid1(VALU_DEP_1)
	v_cndmask_b32_e64 v114, 0, v114, s0
	v_cmp_lt_i32_e64 s0, v66, v83
	v_cndmask_b32_e64 v115, 0, v115, s0
	v_cmp_lt_i32_e64 s0, v65, v83
	s_delay_alu instid0(VALU_DEP_1) | instskip(SKIP_1) | instid1(VALU_DEP_1)
	v_cndmask_b32_e64 v116, 0, v116, s0
	v_cmp_lt_i32_e64 s0, v55, v83
	v_cndmask_b32_e64 v11, 0, v11, s0
	;; [unrolled: 5-line block ×4, first 2 shown]
.LBB386_1199:                           ;   in Loop: Header=BB386_808 Depth=1
	s_or_b32 exec_lo, exec_lo, s12
	v_lshlrev_b32_e32 v114, 16, v114
	s_delay_alu instid0(VALU_DEP_1) | instskip(NEXT) | instid1(VALU_DEP_1)
	v_mul_f32_e32 v117, v67, v114
	v_and_b32_e32 v114, 0x7f800000, v117
	s_delay_alu instid0(VALU_DEP_1) | instskip(NEXT) | instid1(VALU_DEP_1)
	v_cmp_ne_u32_e64 s0, 0x7f800000, v114
                                        ; implicit-def: $vgpr114
	s_and_saveexec_b32 s12, s0
	s_delay_alu instid0(SALU_CYCLE_1)
	s_xor_b32 s0, exec_lo, s12
; %bb.1200:                             ;   in Loop: Header=BB386_808 Depth=1
	v_bfe_u32 v114, v117, 16, 1
	s_delay_alu instid0(VALU_DEP_1)
	v_add3_u32 v114, v117, v114, 0x7fff
                                        ; implicit-def: $vgpr117
; %bb.1201:                             ;   in Loop: Header=BB386_808 Depth=1
	s_and_not1_saveexec_b32 s12, s0
; %bb.1202:                             ;   in Loop: Header=BB386_808 Depth=1
	v_and_b32_e32 v114, 0xffff, v117
	v_or_b32_e32 v118, 0x10000, v117
	s_delay_alu instid0(VALU_DEP_2) | instskip(NEXT) | instid1(VALU_DEP_1)
	v_cmp_eq_u32_e64 s0, 0, v114
	v_cndmask_b32_e64 v114, v118, v117, s0
; %bb.1203:                             ;   in Loop: Header=BB386_808 Depth=1
	s_or_b32 exec_lo, exec_lo, s12
	v_lshlrev_b32_e32 v115, 16, v115
	s_delay_alu instid0(VALU_DEP_1) | instskip(NEXT) | instid1(VALU_DEP_1)
	v_mul_f32_e32 v117, v68, v115
	v_and_b32_e32 v115, 0x7f800000, v117
	s_delay_alu instid0(VALU_DEP_1) | instskip(NEXT) | instid1(VALU_DEP_1)
	v_cmp_ne_u32_e64 s0, 0x7f800000, v115
                                        ; implicit-def: $vgpr115
	s_and_saveexec_b32 s12, s0
	s_delay_alu instid0(SALU_CYCLE_1)
	s_xor_b32 s0, exec_lo, s12
; %bb.1204:                             ;   in Loop: Header=BB386_808 Depth=1
	v_bfe_u32 v115, v117, 16, 1
	s_delay_alu instid0(VALU_DEP_1)
	v_add3_u32 v115, v117, v115, 0x7fff
                                        ; implicit-def: $vgpr117
; %bb.1205:                             ;   in Loop: Header=BB386_808 Depth=1
	s_and_not1_saveexec_b32 s12, s0
; %bb.1206:                             ;   in Loop: Header=BB386_808 Depth=1
	v_and_b32_e32 v115, 0xffff, v117
	v_or_b32_e32 v118, 0x10000, v117
	s_delay_alu instid0(VALU_DEP_2) | instskip(NEXT) | instid1(VALU_DEP_1)
	v_cmp_eq_u32_e64 s0, 0, v115
	v_cndmask_b32_e64 v115, v118, v117, s0
; %bb.1207:                             ;   in Loop: Header=BB386_808 Depth=1
	s_or_b32 exec_lo, exec_lo, s12
	v_lshlrev_b32_e32 v116, 16, v116
	s_delay_alu instid0(VALU_DEP_1) | instskip(NEXT) | instid1(VALU_DEP_1)
	v_mul_f32_e32 v117, v69, v116
	v_and_b32_e32 v116, 0x7f800000, v117
	s_delay_alu instid0(VALU_DEP_1) | instskip(NEXT) | instid1(VALU_DEP_1)
	v_cmp_ne_u32_e64 s0, 0x7f800000, v116
                                        ; implicit-def: $vgpr116
	s_and_saveexec_b32 s12, s0
	s_delay_alu instid0(SALU_CYCLE_1)
	s_xor_b32 s0, exec_lo, s12
; %bb.1208:                             ;   in Loop: Header=BB386_808 Depth=1
	v_bfe_u32 v116, v117, 16, 1
	s_delay_alu instid0(VALU_DEP_1)
	v_add3_u32 v116, v117, v116, 0x7fff
                                        ; implicit-def: $vgpr117
; %bb.1209:                             ;   in Loop: Header=BB386_808 Depth=1
	s_and_not1_saveexec_b32 s12, s0
; %bb.1210:                             ;   in Loop: Header=BB386_808 Depth=1
	v_and_b32_e32 v116, 0xffff, v117
	v_or_b32_e32 v118, 0x10000, v117
	s_delay_alu instid0(VALU_DEP_2) | instskip(NEXT) | instid1(VALU_DEP_1)
	v_cmp_eq_u32_e64 s0, 0, v116
	v_cndmask_b32_e64 v116, v118, v117, s0
; %bb.1211:                             ;   in Loop: Header=BB386_808 Depth=1
	s_or_b32 exec_lo, exec_lo, s12
	v_lshlrev_b32_e32 v11, 16, v11
	s_delay_alu instid0(VALU_DEP_1) | instskip(NEXT) | instid1(VALU_DEP_1)
	v_mul_f32_e32 v11, v70, v11
	v_and_b32_e32 v117, 0x7f800000, v11
	s_delay_alu instid0(VALU_DEP_1) | instskip(NEXT) | instid1(VALU_DEP_1)
	v_cmp_ne_u32_e64 s0, 0x7f800000, v117
                                        ; implicit-def: $vgpr117
	s_and_saveexec_b32 s12, s0
	s_delay_alu instid0(SALU_CYCLE_1)
	s_xor_b32 s0, exec_lo, s12
; %bb.1212:                             ;   in Loop: Header=BB386_808 Depth=1
	v_bfe_u32 v117, v11, 16, 1
	s_delay_alu instid0(VALU_DEP_1)
	v_add3_u32 v117, v11, v117, 0x7fff
                                        ; implicit-def: $vgpr11
; %bb.1213:                             ;   in Loop: Header=BB386_808 Depth=1
	s_and_not1_saveexec_b32 s12, s0
; %bb.1214:                             ;   in Loop: Header=BB386_808 Depth=1
	v_and_b32_e32 v117, 0xffff, v11
	v_or_b32_e32 v118, 0x10000, v11
	s_delay_alu instid0(VALU_DEP_2) | instskip(NEXT) | instid1(VALU_DEP_1)
	v_cmp_eq_u32_e64 s0, 0, v117
	v_cndmask_b32_e64 v117, v118, v11, s0
; %bb.1215:                             ;   in Loop: Header=BB386_808 Depth=1
	s_or_b32 exec_lo, exec_lo, s12
	v_lshlrev_b32_e32 v9, 16, v9
                                        ; implicit-def: $vgpr118
	s_delay_alu instid0(VALU_DEP_1) | instskip(NEXT) | instid1(VALU_DEP_1)
	v_mul_f32_e32 v9, v71, v9
	v_and_b32_e32 v11, 0x7f800000, v9
	s_delay_alu instid0(VALU_DEP_1) | instskip(NEXT) | instid1(VALU_DEP_1)
	v_cmp_ne_u32_e64 s0, 0x7f800000, v11
	s_and_saveexec_b32 s12, s0
	s_delay_alu instid0(SALU_CYCLE_1)
	s_xor_b32 s0, exec_lo, s12
; %bb.1216:                             ;   in Loop: Header=BB386_808 Depth=1
	v_bfe_u32 v11, v9, 16, 1
	s_delay_alu instid0(VALU_DEP_1)
	v_add3_u32 v118, v9, v11, 0x7fff
                                        ; implicit-def: $vgpr9
; %bb.1217:                             ;   in Loop: Header=BB386_808 Depth=1
	s_and_not1_saveexec_b32 s12, s0
; %bb.1218:                             ;   in Loop: Header=BB386_808 Depth=1
	v_and_b32_e32 v11, 0xffff, v9
	v_or_b32_e32 v118, 0x10000, v9
	s_delay_alu instid0(VALU_DEP_2) | instskip(NEXT) | instid1(VALU_DEP_1)
	v_cmp_eq_u32_e64 s0, 0, v11
	v_cndmask_b32_e64 v118, v118, v9, s0
; %bb.1219:                             ;   in Loop: Header=BB386_808 Depth=1
	s_or_b32 exec_lo, exec_lo, s12
	v_lshlrev_b32_e32 v8, 16, v8
                                        ; implicit-def: $vgpr119
	s_delay_alu instid0(VALU_DEP_1) | instskip(NEXT) | instid1(VALU_DEP_1)
	v_mul_f32_e32 v8, v80, v8
	v_and_b32_e32 v9, 0x7f800000, v8
	s_delay_alu instid0(VALU_DEP_1) | instskip(NEXT) | instid1(VALU_DEP_1)
	v_cmp_ne_u32_e64 s0, 0x7f800000, v9
	s_and_saveexec_b32 s12, s0
	s_delay_alu instid0(SALU_CYCLE_1)
	s_xor_b32 s0, exec_lo, s12
; %bb.1220:                             ;   in Loop: Header=BB386_808 Depth=1
	v_bfe_u32 v9, v8, 16, 1
	s_delay_alu instid0(VALU_DEP_1)
	v_add3_u32 v119, v8, v9, 0x7fff
                                        ; implicit-def: $vgpr8
; %bb.1221:                             ;   in Loop: Header=BB386_808 Depth=1
	s_and_not1_saveexec_b32 s12, s0
; %bb.1222:                             ;   in Loop: Header=BB386_808 Depth=1
	v_and_b32_e32 v9, 0xffff, v8
	v_or_b32_e32 v11, 0x10000, v8
	s_delay_alu instid0(VALU_DEP_2) | instskip(NEXT) | instid1(VALU_DEP_1)
	v_cmp_eq_u32_e64 s0, 0, v9
	v_cndmask_b32_e64 v119, v11, v8, s0
; %bb.1223:                             ;   in Loop: Header=BB386_808 Depth=1
	s_or_b32 exec_lo, exec_lo, s12
	v_lshlrev_b32_e32 v3, 16, v3
                                        ; implicit-def: $vgpr128
	s_delay_alu instid0(VALU_DEP_1) | instskip(NEXT) | instid1(VALU_DEP_1)
	v_mul_f32_e32 v3, v81, v3
	v_and_b32_e32 v8, 0x7f800000, v3
	s_delay_alu instid0(VALU_DEP_1) | instskip(NEXT) | instid1(VALU_DEP_1)
	v_cmp_ne_u32_e64 s0, 0x7f800000, v8
	s_and_saveexec_b32 s12, s0
	s_delay_alu instid0(SALU_CYCLE_1)
	s_xor_b32 s0, exec_lo, s12
; %bb.1224:                             ;   in Loop: Header=BB386_808 Depth=1
	v_bfe_u32 v8, v3, 16, 1
	s_delay_alu instid0(VALU_DEP_1)
	v_add3_u32 v128, v3, v8, 0x7fff
                                        ; implicit-def: $vgpr3
; %bb.1225:                             ;   in Loop: Header=BB386_808 Depth=1
	s_and_not1_saveexec_b32 s12, s0
; %bb.1226:                             ;   in Loop: Header=BB386_808 Depth=1
	v_and_b32_e32 v8, 0xffff, v3
	v_or_b32_e32 v9, 0x10000, v3
	s_delay_alu instid0(VALU_DEP_2) | instskip(NEXT) | instid1(VALU_DEP_1)
	v_cmp_eq_u32_e64 s0, 0, v8
	v_cndmask_b32_e64 v128, v9, v3, s0
; %bb.1227:                             ;   in Loop: Header=BB386_808 Depth=1
	s_or_b32 exec_lo, exec_lo, s12
	v_lshlrev_b32_e32 v2, 16, v2
                                        ; implicit-def: $vgpr129
	s_delay_alu instid0(VALU_DEP_1) | instskip(NEXT) | instid1(VALU_DEP_1)
	v_mul_f32_e32 v2, v97, v2
	v_and_b32_e32 v3, 0x7f800000, v2
	s_delay_alu instid0(VALU_DEP_1) | instskip(NEXT) | instid1(VALU_DEP_1)
	v_cmp_ne_u32_e64 s0, 0x7f800000, v3
	s_and_saveexec_b32 s12, s0
	s_delay_alu instid0(SALU_CYCLE_1)
	s_xor_b32 s0, exec_lo, s12
; %bb.1228:                             ;   in Loop: Header=BB386_808 Depth=1
	v_bfe_u32 v3, v2, 16, 1
	s_delay_alu instid0(VALU_DEP_1)
	v_add3_u32 v129, v2, v3, 0x7fff
                                        ; implicit-def: $vgpr2
; %bb.1229:                             ;   in Loop: Header=BB386_808 Depth=1
	s_and_not1_saveexec_b32 s12, s0
; %bb.1230:                             ;   in Loop: Header=BB386_808 Depth=1
	v_and_b32_e32 v3, 0xffff, v2
	v_or_b32_e32 v8, 0x10000, v2
	s_delay_alu instid0(VALU_DEP_2) | instskip(NEXT) | instid1(VALU_DEP_1)
	v_cmp_eq_u32_e64 s0, 0, v3
	v_cndmask_b32_e64 v129, v8, v2, s0
; %bb.1231:                             ;   in Loop: Header=BB386_808 Depth=1
	s_or_b32 exec_lo, exec_lo, s12
	flat_load_b64 v[2:3], v[0:1] offset:768
	s_mov_b32 s12, exec_lo
	s_waitcnt vmcnt(0) lgkmcnt(0)
	v_dual_mov_b32 v8, 0 :: v_dual_and_b32 v9, 0xff, v2
	s_delay_alu instid0(VALU_DEP_1)
	v_cmpx_ne_u16_e32 0, v9
	s_cbranch_execz .LBB386_1239
; %bb.1232:                             ;   in Loop: Header=BB386_808 Depth=1
	v_bfrev_b32_e32 v8, 1
	s_mov_b32 s13, exec_lo
	v_cmpx_ne_u16_e32 0x80, v9
	s_cbranch_execz .LBB386_1238
; %bb.1233:                             ;   in Loop: Header=BB386_808 Depth=1
	v_and_b32_e32 v9, 0x7f, v2
	v_mov_b32_e32 v8, 0x7f800001
	s_mov_b32 s15, exec_lo
	s_delay_alu instid0(VALU_DEP_2)
	v_cmpx_ne_u32_e32 0x7f, v9
	s_cbranch_execz .LBB386_1237
; %bb.1234:                             ;   in Loop: Header=BB386_808 Depth=1
	v_lshrrev_b32_e32 v11, 3, v9
	v_cmp_gt_u32_e64 s0, 8, v9
	v_dual_mov_b32 v9, v3 :: v_dual_mov_b32 v8, v2
	s_delay_alu instid0(VALU_DEP_2)
	s_and_saveexec_b32 s16, s0
; %bb.1235:                             ;   in Loop: Header=BB386_808 Depth=1
	v_and_b32_e32 v8, 7, v2
	s_delay_alu instid0(VALU_DEP_1) | instskip(NEXT) | instid1(VALU_DEP_1)
	v_clz_i32_u32_e32 v8, v8
	v_min_u32_e32 v11, 32, v8
	s_delay_alu instid0(VALU_DEP_1) | instskip(SKIP_1) | instid1(VALU_DEP_2)
	v_subrev_nc_u32_e32 v8, 28, v11
	v_sub_nc_u32_e32 v11, 29, v11
	v_lshlrev_b64 v[8:9], v8, v[2:3]
; %bb.1236:                             ;   in Loop: Header=BB386_808 Depth=1
	s_or_b32 exec_lo, exec_lo, s16
	s_delay_alu instid0(VALU_DEP_1) | instskip(SKIP_2) | instid1(VALU_DEP_3)
	v_lshlrev_b32_e32 v8, 20, v8
	v_lshlrev_b32_e32 v9, 24, v2
	v_lshl_add_u32 v11, v11, 23, 0x3c000000
	v_and_b32_e32 v8, 0x700000, v8
	s_delay_alu instid0(VALU_DEP_3) | instskip(NEXT) | instid1(VALU_DEP_1)
	v_and_b32_e32 v9, 0x80000000, v9
	v_or3_b32 v8, v8, v9, v11
.LBB386_1237:                           ;   in Loop: Header=BB386_808 Depth=1
	s_or_b32 exec_lo, exec_lo, s15
.LBB386_1238:                           ;   in Loop: Header=BB386_808 Depth=1
	s_delay_alu instid0(SALU_CYCLE_1)
	s_or_b32 exec_lo, exec_lo, s13
.LBB386_1239:                           ;   in Loop: Header=BB386_808 Depth=1
	s_delay_alu instid0(SALU_CYCLE_1) | instskip(NEXT) | instid1(VALU_DEP_1)
	s_or_b32 exec_lo, exec_lo, s12
	v_mul_f32_e32 v8, v10, v8
                                        ; implicit-def: $vgpr130
	s_delay_alu instid0(VALU_DEP_1) | instskip(NEXT) | instid1(VALU_DEP_1)
	v_and_b32_e32 v9, 0x7f800000, v8
	v_cmp_ne_u32_e64 s0, 0x7f800000, v9
	s_delay_alu instid0(VALU_DEP_1) | instskip(NEXT) | instid1(SALU_CYCLE_1)
	s_and_saveexec_b32 s12, s0
	s_xor_b32 s0, exec_lo, s12
; %bb.1240:                             ;   in Loop: Header=BB386_808 Depth=1
	v_bfe_u32 v9, v8, 16, 1
	s_delay_alu instid0(VALU_DEP_1)
	v_add3_u32 v130, v8, v9, 0x7fff
                                        ; implicit-def: $vgpr8
; %bb.1241:                             ;   in Loop: Header=BB386_808 Depth=1
	s_and_not1_saveexec_b32 s12, s0
; %bb.1242:                             ;   in Loop: Header=BB386_808 Depth=1
	v_and_b32_e32 v9, 0xffff, v8
	v_or_b32_e32 v11, 0x10000, v8
	s_delay_alu instid0(VALU_DEP_2) | instskip(NEXT) | instid1(VALU_DEP_1)
	v_cmp_eq_u32_e64 s0, 0, v9
	v_cndmask_b32_e64 v130, v11, v8, s0
; %bb.1243:                             ;   in Loop: Header=BB386_808 Depth=1
	s_or_b32 exec_lo, exec_lo, s12
	v_lshrrev_b16 v9, 8, v2
	v_mov_b32_e32 v8, 0
	s_mov_b32 s12, exec_lo
	s_delay_alu instid0(VALU_DEP_2)
	v_cmpx_ne_u16_e32 0, v9
	s_cbranch_execz .LBB386_1251
; %bb.1244:                             ;   in Loop: Header=BB386_808 Depth=1
	v_bfrev_b32_e32 v8, 1
	s_mov_b32 s13, exec_lo
	v_cmpx_ne_u16_e32 0x80, v9
	s_cbranch_execz .LBB386_1250
; %bb.1245:                             ;   in Loop: Header=BB386_808 Depth=1
	v_and_b32_e32 v11, 0xffff, v9
	v_mov_b32_e32 v8, 0x7f800001
	s_mov_b32 s15, exec_lo
	s_delay_alu instid0(VALU_DEP_2) | instskip(NEXT) | instid1(VALU_DEP_1)
	v_and_b32_e32 v9, 0x7f, v11
	v_cmpx_ne_u32_e32 0x7f, v9
	s_cbranch_execz .LBB386_1249
; %bb.1246:                             ;   in Loop: Header=BB386_808 Depth=1
	v_and_b32_e32 v11, 7, v11
	v_lshrrev_b32_e32 v8, 3, v9
	s_mov_b32 s16, exec_lo
	v_cmpx_gt_u32_e32 8, v9
; %bb.1247:                             ;   in Loop: Header=BB386_808 Depth=1
	s_delay_alu instid0(VALU_DEP_3) | instskip(NEXT) | instid1(VALU_DEP_1)
	v_clz_i32_u32_e32 v8, v11
	v_min_u32_e32 v8, 32, v8
	s_delay_alu instid0(VALU_DEP_1) | instskip(SKIP_1) | instid1(VALU_DEP_2)
	v_subrev_nc_u32_e32 v9, 28, v8
	v_sub_nc_u32_e32 v8, 29, v8
	v_lshlrev_b64 v[131:132], v9, v[11:12]
	s_delay_alu instid0(VALU_DEP_1)
	v_and_b32_e32 v11, 7, v131
; %bb.1248:                             ;   in Loop: Header=BB386_808 Depth=1
	s_or_b32 exec_lo, exec_lo, s16
	v_lshlrev_b32_e32 v9, 16, v2
	s_delay_alu instid0(VALU_DEP_2) | instskip(SKIP_1) | instid1(VALU_DEP_3)
	v_lshlrev_b32_e32 v11, 20, v11
	v_lshl_add_u32 v8, v8, 23, 0x3c000000
	v_and_b32_e32 v9, 0x80000000, v9
	s_delay_alu instid0(VALU_DEP_1)
	v_or3_b32 v8, v11, v9, v8
.LBB386_1249:                           ;   in Loop: Header=BB386_808 Depth=1
	s_or_b32 exec_lo, exec_lo, s15
.LBB386_1250:                           ;   in Loop: Header=BB386_808 Depth=1
	s_delay_alu instid0(SALU_CYCLE_1)
	s_or_b32 exec_lo, exec_lo, s13
.LBB386_1251:                           ;   in Loop: Header=BB386_808 Depth=1
	s_delay_alu instid0(SALU_CYCLE_1) | instskip(NEXT) | instid1(VALU_DEP_1)
	s_or_b32 exec_lo, exec_lo, s12
	v_mul_f32_e32 v8, v10, v8
                                        ; implicit-def: $vgpr131
	s_delay_alu instid0(VALU_DEP_1) | instskip(NEXT) | instid1(VALU_DEP_1)
	v_and_b32_e32 v9, 0x7f800000, v8
	v_cmp_ne_u32_e64 s0, 0x7f800000, v9
	s_delay_alu instid0(VALU_DEP_1) | instskip(NEXT) | instid1(SALU_CYCLE_1)
	s_and_saveexec_b32 s12, s0
	s_xor_b32 s0, exec_lo, s12
; %bb.1252:                             ;   in Loop: Header=BB386_808 Depth=1
	v_bfe_u32 v9, v8, 16, 1
	s_delay_alu instid0(VALU_DEP_1)
	v_add3_u32 v131, v8, v9, 0x7fff
                                        ; implicit-def: $vgpr8
; %bb.1253:                             ;   in Loop: Header=BB386_808 Depth=1
	s_and_not1_saveexec_b32 s12, s0
; %bb.1254:                             ;   in Loop: Header=BB386_808 Depth=1
	v_and_b32_e32 v9, 0xffff, v8
	v_or_b32_e32 v11, 0x10000, v8
	s_delay_alu instid0(VALU_DEP_2) | instskip(NEXT) | instid1(VALU_DEP_1)
	v_cmp_eq_u32_e64 s0, 0, v9
	v_cndmask_b32_e64 v131, v11, v8, s0
; %bb.1255:                             ;   in Loop: Header=BB386_808 Depth=1
	s_or_b32 exec_lo, exec_lo, s12
	v_lshrrev_b32_e32 v8, 16, v2
	v_mov_b32_e32 v9, 0
	s_mov_b32 s12, exec_lo
	s_delay_alu instid0(VALU_DEP_2) | instskip(NEXT) | instid1(VALU_DEP_1)
	v_and_b32_e32 v11, 0xff, v8
	v_cmpx_ne_u16_e32 0, v11
	s_cbranch_execz .LBB386_1263
; %bb.1256:                             ;   in Loop: Header=BB386_808 Depth=1
	v_bfrev_b32_e32 v9, 1
	s_mov_b32 s13, exec_lo
	v_cmpx_ne_u16_e32 0x80, v11
	s_cbranch_execz .LBB386_1262
; %bb.1257:                             ;   in Loop: Header=BB386_808 Depth=1
	v_bfe_u32 v132, v2, 16, 7
	v_mov_b32_e32 v9, 0x7f800001
	s_mov_b32 s15, exec_lo
	s_delay_alu instid0(VALU_DEP_2)
	v_cmpx_ne_u32_e32 0x7f, v132
	s_cbranch_execz .LBB386_1261
; %bb.1258:                             ;   in Loop: Header=BB386_808 Depth=1
	v_and_b32_e32 v11, 7, v8
	v_lshrrev_b32_e32 v9, 3, v132
	s_mov_b32 s16, exec_lo
	v_cmpx_gt_u32_e32 8, v132
; %bb.1259:                             ;   in Loop: Header=BB386_808 Depth=1
	s_delay_alu instid0(VALU_DEP_3) | instskip(NEXT) | instid1(VALU_DEP_1)
	v_clz_i32_u32_e32 v9, v11
	v_min_u32_e32 v9, 32, v9
	s_delay_alu instid0(VALU_DEP_1) | instskip(SKIP_1) | instid1(VALU_DEP_2)
	v_subrev_nc_u32_e32 v132, 28, v9
	v_sub_nc_u32_e32 v9, 29, v9
	v_lshlrev_b64 v[132:133], v132, v[11:12]
	s_delay_alu instid0(VALU_DEP_1)
	v_and_b32_e32 v11, 7, v132
; %bb.1260:                             ;   in Loop: Header=BB386_808 Depth=1
	s_or_b32 exec_lo, exec_lo, s16
	v_lshlrev_b32_e32 v8, 24, v8
	s_delay_alu instid0(VALU_DEP_2) | instskip(SKIP_1) | instid1(VALU_DEP_3)
	v_lshlrev_b32_e32 v11, 20, v11
	v_lshl_add_u32 v9, v9, 23, 0x3c000000
	v_and_b32_e32 v8, 0x80000000, v8
	s_delay_alu instid0(VALU_DEP_1)
	v_or3_b32 v9, v11, v8, v9
.LBB386_1261:                           ;   in Loop: Header=BB386_808 Depth=1
	s_or_b32 exec_lo, exec_lo, s15
.LBB386_1262:                           ;   in Loop: Header=BB386_808 Depth=1
	s_delay_alu instid0(SALU_CYCLE_1)
	s_or_b32 exec_lo, exec_lo, s13
.LBB386_1263:                           ;   in Loop: Header=BB386_808 Depth=1
	s_delay_alu instid0(SALU_CYCLE_1) | instskip(NEXT) | instid1(VALU_DEP_1)
	s_or_b32 exec_lo, exec_lo, s12
	v_mul_f32_e32 v8, v10, v9
                                        ; implicit-def: $vgpr132
	s_delay_alu instid0(VALU_DEP_1) | instskip(NEXT) | instid1(VALU_DEP_1)
	v_and_b32_e32 v9, 0x7f800000, v8
	v_cmp_ne_u32_e64 s0, 0x7f800000, v9
	s_delay_alu instid0(VALU_DEP_1) | instskip(NEXT) | instid1(SALU_CYCLE_1)
	s_and_saveexec_b32 s12, s0
	s_xor_b32 s0, exec_lo, s12
; %bb.1264:                             ;   in Loop: Header=BB386_808 Depth=1
	v_bfe_u32 v9, v8, 16, 1
	s_delay_alu instid0(VALU_DEP_1)
	v_add3_u32 v132, v8, v9, 0x7fff
                                        ; implicit-def: $vgpr8
; %bb.1265:                             ;   in Loop: Header=BB386_808 Depth=1
	s_and_not1_saveexec_b32 s12, s0
; %bb.1266:                             ;   in Loop: Header=BB386_808 Depth=1
	v_and_b32_e32 v9, 0xffff, v8
	v_or_b32_e32 v11, 0x10000, v8
	s_delay_alu instid0(VALU_DEP_2) | instskip(NEXT) | instid1(VALU_DEP_1)
	v_cmp_eq_u32_e64 s0, 0, v9
	v_cndmask_b32_e64 v132, v11, v8, s0
; %bb.1267:                             ;   in Loop: Header=BB386_808 Depth=1
	s_or_b32 exec_lo, exec_lo, s12
	v_mov_b32_e32 v9, 0
	s_mov_b32 s12, exec_lo
	v_cmpx_lt_u32_e32 0xffffff, v2
	s_cbranch_execz .LBB386_1275
; %bb.1268:                             ;   in Loop: Header=BB386_808 Depth=1
	v_lshrrev_b32_e32 v8, 24, v2
	v_bfrev_b32_e32 v9, 1
	s_mov_b32 s13, exec_lo
	s_delay_alu instid0(VALU_DEP_2)
	v_cmpx_ne_u32_e32 0x80, v8
	s_cbranch_execz .LBB386_1274
; %bb.1269:                             ;   in Loop: Header=BB386_808 Depth=1
	v_bfe_u32 v133, v2, 24, 7
	v_mov_b32_e32 v9, 0x7f800001
	s_mov_b32 s15, exec_lo
	s_delay_alu instid0(VALU_DEP_2)
	v_cmpx_ne_u32_e32 0x7f, v133
	s_cbranch_execz .LBB386_1273
; %bb.1270:                             ;   in Loop: Header=BB386_808 Depth=1
	v_and_b32_e32 v11, 7, v8
	v_lshrrev_b32_e32 v9, 3, v133
	s_mov_b32 s16, exec_lo
	v_cmpx_gt_u32_e32 8, v133
; %bb.1271:                             ;   in Loop: Header=BB386_808 Depth=1
	s_delay_alu instid0(VALU_DEP_3) | instskip(NEXT) | instid1(VALU_DEP_1)
	v_clz_i32_u32_e32 v9, v11
	v_min_u32_e32 v9, 32, v9
	s_delay_alu instid0(VALU_DEP_1) | instskip(SKIP_1) | instid1(VALU_DEP_2)
	v_subrev_nc_u32_e32 v133, 28, v9
	v_sub_nc_u32_e32 v9, 29, v9
	v_lshlrev_b64 v[133:134], v133, v[11:12]
	s_delay_alu instid0(VALU_DEP_1)
	v_and_b32_e32 v11, 7, v133
; %bb.1272:                             ;   in Loop: Header=BB386_808 Depth=1
	s_or_b32 exec_lo, exec_lo, s16
	v_lshlrev_b32_e32 v8, 24, v8
	s_delay_alu instid0(VALU_DEP_2) | instskip(SKIP_1) | instid1(VALU_DEP_3)
	v_lshlrev_b32_e32 v11, 20, v11
	v_lshl_add_u32 v9, v9, 23, 0x3c000000
	v_and_b32_e32 v8, 0x80000000, v8
	s_delay_alu instid0(VALU_DEP_1)
	v_or3_b32 v9, v11, v8, v9
.LBB386_1273:                           ;   in Loop: Header=BB386_808 Depth=1
	s_or_b32 exec_lo, exec_lo, s15
.LBB386_1274:                           ;   in Loop: Header=BB386_808 Depth=1
	s_delay_alu instid0(SALU_CYCLE_1)
	s_or_b32 exec_lo, exec_lo, s13
.LBB386_1275:                           ;   in Loop: Header=BB386_808 Depth=1
	s_delay_alu instid0(SALU_CYCLE_1) | instskip(NEXT) | instid1(VALU_DEP_1)
	s_or_b32 exec_lo, exec_lo, s12
	v_mul_f32_e32 v8, v10, v9
                                        ; implicit-def: $vgpr133
	s_delay_alu instid0(VALU_DEP_1) | instskip(NEXT) | instid1(VALU_DEP_1)
	v_and_b32_e32 v9, 0x7f800000, v8
	v_cmp_ne_u32_e64 s0, 0x7f800000, v9
	s_delay_alu instid0(VALU_DEP_1) | instskip(NEXT) | instid1(SALU_CYCLE_1)
	s_and_saveexec_b32 s12, s0
	s_xor_b32 s0, exec_lo, s12
; %bb.1276:                             ;   in Loop: Header=BB386_808 Depth=1
	v_bfe_u32 v9, v8, 16, 1
	s_delay_alu instid0(VALU_DEP_1)
	v_add3_u32 v133, v8, v9, 0x7fff
                                        ; implicit-def: $vgpr8
; %bb.1277:                             ;   in Loop: Header=BB386_808 Depth=1
	s_and_not1_saveexec_b32 s12, s0
; %bb.1278:                             ;   in Loop: Header=BB386_808 Depth=1
	v_and_b32_e32 v9, 0xffff, v8
	v_or_b32_e32 v11, 0x10000, v8
	s_delay_alu instid0(VALU_DEP_2) | instskip(NEXT) | instid1(VALU_DEP_1)
	v_cmp_eq_u32_e64 s0, 0, v9
	v_cndmask_b32_e64 v133, v11, v8, s0
; %bb.1279:                             ;   in Loop: Header=BB386_808 Depth=1
	s_or_b32 exec_lo, exec_lo, s12
	v_dual_mov_b32 v8, 0 :: v_dual_and_b32 v9, 0xff, v3
	v_mov_b32_e32 v11, v3
	s_mov_b32 s12, exec_lo
	s_delay_alu instid0(VALU_DEP_2)
	v_cmpx_ne_u16_e32 0, v9
	s_cbranch_execz .LBB386_1287
; %bb.1280:                             ;   in Loop: Header=BB386_808 Depth=1
	v_bfrev_b32_e32 v8, 1
	s_mov_b32 s13, exec_lo
	v_cmpx_ne_u16_e32 0x80, v9
	s_cbranch_execz .LBB386_1286
; %bb.1281:                             ;   in Loop: Header=BB386_808 Depth=1
	v_and_b32_e32 v9, 0x7f, v3
	v_mov_b32_e32 v8, 0x7f800001
	s_mov_b32 s15, exec_lo
	s_delay_alu instid0(VALU_DEP_2)
	v_cmpx_ne_u32_e32 0x7f, v9
	s_cbranch_execz .LBB386_1285
; %bb.1282:                             ;   in Loop: Header=BB386_808 Depth=1
	v_lshrrev_b32_e32 v134, 3, v9
	v_cmp_gt_u32_e64 s0, 8, v9
	v_dual_mov_b32 v8, v11 :: v_dual_mov_b32 v9, v12
	s_delay_alu instid0(VALU_DEP_2)
	s_and_saveexec_b32 s16, s0
; %bb.1283:                             ;   in Loop: Header=BB386_808 Depth=1
	v_and_b32_e32 v8, 7, v3
	s_delay_alu instid0(VALU_DEP_1) | instskip(NEXT) | instid1(VALU_DEP_1)
	v_clz_i32_u32_e32 v8, v8
	v_min_u32_e32 v134, 32, v8
	s_delay_alu instid0(VALU_DEP_1) | instskip(SKIP_1) | instid1(VALU_DEP_2)
	v_subrev_nc_u32_e32 v8, 28, v134
	v_sub_nc_u32_e32 v134, 29, v134
	v_lshlrev_b64 v[8:9], v8, v[11:12]
; %bb.1284:                             ;   in Loop: Header=BB386_808 Depth=1
	s_or_b32 exec_lo, exec_lo, s16
	s_delay_alu instid0(VALU_DEP_1) | instskip(SKIP_2) | instid1(VALU_DEP_3)
	v_lshlrev_b32_e32 v8, 20, v8
	v_lshlrev_b32_e32 v9, 24, v11
	v_lshl_add_u32 v134, v134, 23, 0x3c000000
	v_and_b32_e32 v8, 0x700000, v8
	s_delay_alu instid0(VALU_DEP_3) | instskip(NEXT) | instid1(VALU_DEP_1)
	v_and_b32_e32 v9, 0x80000000, v9
	v_or3_b32 v8, v8, v9, v134
.LBB386_1285:                           ;   in Loop: Header=BB386_808 Depth=1
	s_or_b32 exec_lo, exec_lo, s15
.LBB386_1286:                           ;   in Loop: Header=BB386_808 Depth=1
	s_delay_alu instid0(SALU_CYCLE_1)
	s_or_b32 exec_lo, exec_lo, s13
.LBB386_1287:                           ;   in Loop: Header=BB386_808 Depth=1
	s_delay_alu instid0(SALU_CYCLE_1) | instskip(NEXT) | instid1(VALU_DEP_1)
	s_or_b32 exec_lo, exec_lo, s12
	v_mul_f32_e32 v8, v10, v8
                                        ; implicit-def: $vgpr134
	s_delay_alu instid0(VALU_DEP_1) | instskip(NEXT) | instid1(VALU_DEP_1)
	v_and_b32_e32 v9, 0x7f800000, v8
	v_cmp_ne_u32_e64 s0, 0x7f800000, v9
	s_delay_alu instid0(VALU_DEP_1) | instskip(NEXT) | instid1(SALU_CYCLE_1)
	s_and_saveexec_b32 s12, s0
	s_xor_b32 s0, exec_lo, s12
; %bb.1288:                             ;   in Loop: Header=BB386_808 Depth=1
	v_bfe_u32 v9, v8, 16, 1
	s_delay_alu instid0(VALU_DEP_1)
	v_add3_u32 v134, v8, v9, 0x7fff
                                        ; implicit-def: $vgpr8
; %bb.1289:                             ;   in Loop: Header=BB386_808 Depth=1
	s_and_not1_saveexec_b32 s12, s0
; %bb.1290:                             ;   in Loop: Header=BB386_808 Depth=1
	v_and_b32_e32 v9, 0xffff, v8
	v_or_b32_e32 v134, 0x10000, v8
	s_delay_alu instid0(VALU_DEP_2) | instskip(NEXT) | instid1(VALU_DEP_1)
	v_cmp_eq_u32_e64 s0, 0, v9
	v_cndmask_b32_e64 v134, v134, v8, s0
; %bb.1291:                             ;   in Loop: Header=BB386_808 Depth=1
	s_or_b32 exec_lo, exec_lo, s12
	v_lshrrev_b16 v9, 8, v11
	v_mov_b32_e32 v8, 0
	s_mov_b32 s12, exec_lo
	s_delay_alu instid0(VALU_DEP_2)
	v_cmpx_ne_u16_e32 0, v9
	s_cbranch_execz .LBB386_1299
; %bb.1292:                             ;   in Loop: Header=BB386_808 Depth=1
	v_bfrev_b32_e32 v8, 1
	s_mov_b32 s13, exec_lo
	v_cmpx_ne_u16_e32 0x80, v9
	s_cbranch_execz .LBB386_1298
; %bb.1293:                             ;   in Loop: Header=BB386_808 Depth=1
	v_and_b32_e32 v9, 0xffff, v9
	v_mov_b32_e32 v8, 0x7f800001
	s_mov_b32 s15, exec_lo
	s_delay_alu instid0(VALU_DEP_2) | instskip(NEXT) | instid1(VALU_DEP_1)
	v_and_b32_e32 v144, 0x7f, v9
	v_cmpx_ne_u32_e32 0x7f, v144
	s_cbranch_execz .LBB386_1297
; %bb.1294:                             ;   in Loop: Header=BB386_808 Depth=1
	v_dual_mov_b32 v9, v12 :: v_dual_and_b32 v8, 7, v9
	v_lshrrev_b32_e32 v135, 3, v144
	s_mov_b32 s16, exec_lo
	v_cmpx_gt_u32_e32 8, v144
; %bb.1295:                             ;   in Loop: Header=BB386_808 Depth=1
	s_delay_alu instid0(VALU_DEP_3) | instskip(NEXT) | instid1(VALU_DEP_1)
	v_clz_i32_u32_e32 v135, v8
	v_min_u32_e32 v135, 32, v135
	s_delay_alu instid0(VALU_DEP_1) | instskip(SKIP_1) | instid1(VALU_DEP_2)
	v_subrev_nc_u32_e32 v144, 28, v135
	v_sub_nc_u32_e32 v135, 29, v135
	v_lshlrev_b64 v[8:9], v144, v[8:9]
	s_delay_alu instid0(VALU_DEP_1)
	v_and_b32_e32 v8, 7, v8
; %bb.1296:                             ;   in Loop: Header=BB386_808 Depth=1
	s_or_b32 exec_lo, exec_lo, s16
	v_lshlrev_b32_e32 v9, 16, v11
	s_delay_alu instid0(VALU_DEP_2) | instskip(SKIP_1) | instid1(VALU_DEP_3)
	v_lshlrev_b32_e32 v8, 20, v8
	v_lshl_add_u32 v11, v135, 23, 0x3c000000
	v_and_b32_e32 v9, 0x80000000, v9
	s_delay_alu instid0(VALU_DEP_1)
	v_or3_b32 v8, v8, v9, v11
.LBB386_1297:                           ;   in Loop: Header=BB386_808 Depth=1
	s_or_b32 exec_lo, exec_lo, s15
.LBB386_1298:                           ;   in Loop: Header=BB386_808 Depth=1
	s_delay_alu instid0(SALU_CYCLE_1)
	s_or_b32 exec_lo, exec_lo, s13
.LBB386_1299:                           ;   in Loop: Header=BB386_808 Depth=1
	s_delay_alu instid0(SALU_CYCLE_1) | instskip(NEXT) | instid1(VALU_DEP_1)
	s_or_b32 exec_lo, exec_lo, s12
	v_mul_f32_e32 v9, v10, v8
	s_delay_alu instid0(VALU_DEP_1) | instskip(NEXT) | instid1(VALU_DEP_1)
	v_and_b32_e32 v8, 0x7f800000, v9
	v_cmp_ne_u32_e64 s0, 0x7f800000, v8
                                        ; implicit-def: $vgpr8
	s_delay_alu instid0(VALU_DEP_1) | instskip(NEXT) | instid1(SALU_CYCLE_1)
	s_and_saveexec_b32 s12, s0
	s_xor_b32 s0, exec_lo, s12
; %bb.1300:                             ;   in Loop: Header=BB386_808 Depth=1
	v_bfe_u32 v8, v9, 16, 1
	s_delay_alu instid0(VALU_DEP_1)
	v_add3_u32 v8, v9, v8, 0x7fff
                                        ; implicit-def: $vgpr9
; %bb.1301:                             ;   in Loop: Header=BB386_808 Depth=1
	s_and_not1_saveexec_b32 s12, s0
; %bb.1302:                             ;   in Loop: Header=BB386_808 Depth=1
	v_and_b32_e32 v8, 0xffff, v9
	v_or_b32_e32 v11, 0x10000, v9
	s_delay_alu instid0(VALU_DEP_2) | instskip(NEXT) | instid1(VALU_DEP_1)
	v_cmp_eq_u32_e64 s0, 0, v8
	v_cndmask_b32_e64 v8, v11, v9, s0
; %bb.1303:                             ;   in Loop: Header=BB386_808 Depth=1
	s_or_b32 exec_lo, exec_lo, s12
	v_lshrrev_b32_e32 v9, 16, v3
	v_mov_b32_e32 v11, 0
	s_mov_b32 s12, exec_lo
	s_delay_alu instid0(VALU_DEP_2) | instskip(NEXT) | instid1(VALU_DEP_1)
	v_and_b32_e32 v135, 0xff, v9
	v_cmpx_ne_u16_e64 0, v135
	s_cbranch_execz .LBB386_1311
; %bb.1304:                             ;   in Loop: Header=BB386_808 Depth=1
	v_bfrev_b32_e32 v11, 1
	s_mov_b32 s13, exec_lo
	v_cmpx_ne_u16_e64 0x80, v135
	s_cbranch_execz .LBB386_1310
; %bb.1305:                             ;   in Loop: Header=BB386_808 Depth=1
	v_bfe_u32 v144, v3, 16, 7
	v_mov_b32_e32 v11, 0x7f800001
	s_mov_b32 s15, exec_lo
	s_delay_alu instid0(VALU_DEP_2)
	v_cmpx_ne_u32_e32 0x7f, v144
	s_cbranch_execz .LBB386_1309
; %bb.1306:                             ;   in Loop: Header=BB386_808 Depth=1
	v_and_b32_e32 v11, 7, v9
	v_lshrrev_b32_e32 v135, 3, v144
	s_mov_b32 s16, exec_lo
	v_cmpx_gt_u32_e32 8, v144
; %bb.1307:                             ;   in Loop: Header=BB386_808 Depth=1
	s_delay_alu instid0(VALU_DEP_3) | instskip(NEXT) | instid1(VALU_DEP_1)
	v_clz_i32_u32_e32 v135, v11
	v_min_u32_e32 v135, 32, v135
	s_delay_alu instid0(VALU_DEP_1) | instskip(SKIP_1) | instid1(VALU_DEP_2)
	v_subrev_nc_u32_e32 v144, 28, v135
	v_sub_nc_u32_e32 v135, 29, v135
	v_lshlrev_b64 v[144:145], v144, v[11:12]
	s_delay_alu instid0(VALU_DEP_1)
	v_and_b32_e32 v11, 7, v144
; %bb.1308:                             ;   in Loop: Header=BB386_808 Depth=1
	s_or_b32 exec_lo, exec_lo, s16
	v_lshlrev_b32_e32 v9, 24, v9
	s_delay_alu instid0(VALU_DEP_2) | instskip(SKIP_1) | instid1(VALU_DEP_3)
	v_lshlrev_b32_e32 v11, 20, v11
	v_lshl_add_u32 v135, v135, 23, 0x3c000000
	v_and_b32_e32 v9, 0x80000000, v9
	s_delay_alu instid0(VALU_DEP_1)
	v_or3_b32 v11, v11, v9, v135
.LBB386_1309:                           ;   in Loop: Header=BB386_808 Depth=1
	s_or_b32 exec_lo, exec_lo, s15
.LBB386_1310:                           ;   in Loop: Header=BB386_808 Depth=1
	s_delay_alu instid0(SALU_CYCLE_1)
	s_or_b32 exec_lo, exec_lo, s13
.LBB386_1311:                           ;   in Loop: Header=BB386_808 Depth=1
	s_delay_alu instid0(SALU_CYCLE_1) | instskip(NEXT) | instid1(VALU_DEP_1)
	s_or_b32 exec_lo, exec_lo, s12
	v_mul_f32_e32 v9, v10, v11
                                        ; implicit-def: $vgpr135
	s_delay_alu instid0(VALU_DEP_1) | instskip(NEXT) | instid1(VALU_DEP_1)
	v_and_b32_e32 v11, 0x7f800000, v9
	v_cmp_ne_u32_e64 s0, 0x7f800000, v11
	s_delay_alu instid0(VALU_DEP_1) | instskip(NEXT) | instid1(SALU_CYCLE_1)
	s_and_saveexec_b32 s12, s0
	s_xor_b32 s0, exec_lo, s12
; %bb.1312:                             ;   in Loop: Header=BB386_808 Depth=1
	v_bfe_u32 v11, v9, 16, 1
	s_delay_alu instid0(VALU_DEP_1)
	v_add3_u32 v135, v9, v11, 0x7fff
                                        ; implicit-def: $vgpr9
; %bb.1313:                             ;   in Loop: Header=BB386_808 Depth=1
	s_and_not1_saveexec_b32 s12, s0
; %bb.1314:                             ;   in Loop: Header=BB386_808 Depth=1
	v_and_b32_e32 v11, 0xffff, v9
	v_or_b32_e32 v135, 0x10000, v9
	s_delay_alu instid0(VALU_DEP_2) | instskip(NEXT) | instid1(VALU_DEP_1)
	v_cmp_eq_u32_e64 s0, 0, v11
	v_cndmask_b32_e64 v135, v135, v9, s0
; %bb.1315:                             ;   in Loop: Header=BB386_808 Depth=1
	s_or_b32 exec_lo, exec_lo, s12
	v_mov_b32_e32 v9, 0
	s_mov_b32 s12, exec_lo
	v_cmpx_lt_u64_e64 s[8:9], v[2:3]
	s_cbranch_execz .LBB386_1323
; %bb.1316:                             ;   in Loop: Header=BB386_808 Depth=1
	v_lshrrev_b32_e32 v2, 24, v3
	v_bfrev_b32_e32 v9, 1
	s_mov_b32 s13, exec_lo
	s_delay_alu instid0(VALU_DEP_2)
	v_cmpx_ne_u32_e32 0x80, v2
	s_cbranch_execz .LBB386_1322
; %bb.1317:                             ;   in Loop: Header=BB386_808 Depth=1
	v_bfe_u32 v144, v3, 24, 7
	v_mov_b32_e32 v9, 0x7f800001
	s_mov_b32 s15, exec_lo
	s_delay_alu instid0(VALU_DEP_2)
	v_cmpx_ne_u32_e32 0x7f, v144
	s_cbranch_execz .LBB386_1321
; %bb.1318:                             ;   in Loop: Header=BB386_808 Depth=1
	v_and_b32_e32 v11, 7, v2
	v_lshrrev_b32_e32 v3, 3, v144
	s_mov_b32 s16, exec_lo
	v_cmpx_gt_u32_e32 8, v144
; %bb.1319:                             ;   in Loop: Header=BB386_808 Depth=1
	s_delay_alu instid0(VALU_DEP_3) | instskip(NEXT) | instid1(VALU_DEP_1)
	v_clz_i32_u32_e32 v3, v11
	v_min_u32_e32 v3, 32, v3
	s_delay_alu instid0(VALU_DEP_1) | instskip(SKIP_1) | instid1(VALU_DEP_2)
	v_subrev_nc_u32_e32 v9, 28, v3
	v_sub_nc_u32_e32 v3, 29, v3
	v_lshlrev_b64 v[144:145], v9, v[11:12]
	s_delay_alu instid0(VALU_DEP_1)
	v_and_b32_e32 v11, 7, v144
; %bb.1320:                             ;   in Loop: Header=BB386_808 Depth=1
	s_or_b32 exec_lo, exec_lo, s16
	v_lshlrev_b32_e32 v2, 24, v2
	s_delay_alu instid0(VALU_DEP_2) | instskip(SKIP_1) | instid1(VALU_DEP_3)
	v_lshlrev_b32_e32 v9, 20, v11
	v_lshl_add_u32 v3, v3, 23, 0x3c000000
	v_and_b32_e32 v2, 0x80000000, v2
	s_delay_alu instid0(VALU_DEP_1)
	v_or3_b32 v9, v9, v2, v3
.LBB386_1321:                           ;   in Loop: Header=BB386_808 Depth=1
	s_or_b32 exec_lo, exec_lo, s15
.LBB386_1322:                           ;   in Loop: Header=BB386_808 Depth=1
	s_delay_alu instid0(SALU_CYCLE_1)
	s_or_b32 exec_lo, exec_lo, s13
.LBB386_1323:                           ;   in Loop: Header=BB386_808 Depth=1
	s_delay_alu instid0(SALU_CYCLE_1) | instskip(NEXT) | instid1(VALU_DEP_1)
	s_or_b32 exec_lo, exec_lo, s12
	v_mul_f32_e32 v3, v10, v9
	s_delay_alu instid0(VALU_DEP_1) | instskip(NEXT) | instid1(VALU_DEP_1)
	v_and_b32_e32 v2, 0x7f800000, v3
	v_cmp_ne_u32_e64 s0, 0x7f800000, v2
                                        ; implicit-def: $vgpr2
	s_delay_alu instid0(VALU_DEP_1) | instskip(NEXT) | instid1(SALU_CYCLE_1)
	s_and_saveexec_b32 s12, s0
	s_xor_b32 s0, exec_lo, s12
; %bb.1324:                             ;   in Loop: Header=BB386_808 Depth=1
	v_bfe_u32 v2, v3, 16, 1
	s_delay_alu instid0(VALU_DEP_1)
	v_add3_u32 v2, v3, v2, 0x7fff
                                        ; implicit-def: $vgpr3
; %bb.1325:                             ;   in Loop: Header=BB386_808 Depth=1
	s_and_not1_saveexec_b32 s12, s0
; %bb.1326:                             ;   in Loop: Header=BB386_808 Depth=1
	v_and_b32_e32 v2, 0xffff, v3
	v_or_b32_e32 v9, 0x10000, v3
	s_delay_alu instid0(VALU_DEP_2) | instskip(NEXT) | instid1(VALU_DEP_1)
	v_cmp_eq_u32_e64 s0, 0, v2
	v_cndmask_b32_e64 v2, v9, v3, s0
; %bb.1327:                             ;   in Loop: Header=BB386_808 Depth=1
	s_or_b32 exec_lo, exec_lo, s12
	v_lshrrev_b32_e32 v8, 16, v8
	v_lshrrev_b32_e32 v9, 16, v134
	;; [unrolled: 1-line block ×8, first 2 shown]
	s_and_saveexec_b32 s12, vcc_lo
	s_cbranch_execz .LBB386_1329
; %bb.1328:                             ;   in Loop: Header=BB386_808 Depth=1
	v_cmp_lt_i32_e64 s0, v23, v83
	s_delay_alu instid0(VALU_DEP_1) | instskip(SKIP_1) | instid1(VALU_DEP_1)
	v_cndmask_b32_e64 v130, 0, v130, s0
	v_cmp_lt_i32_e64 s0, v66, v83
	v_cndmask_b32_e64 v131, 0, v131, s0
	v_cmp_lt_i32_e64 s0, v65, v83
	s_delay_alu instid0(VALU_DEP_1) | instskip(SKIP_1) | instid1(VALU_DEP_1)
	v_cndmask_b32_e64 v132, 0, v132, s0
	v_cmp_lt_i32_e64 s0, v55, v83
	v_cndmask_b32_e64 v11, 0, v11, s0
	;; [unrolled: 5-line block ×4, first 2 shown]
.LBB386_1329:                           ;   in Loop: Header=BB386_808 Depth=1
	s_or_b32 exec_lo, exec_lo, s12
	v_lshlrev_b32_e32 v130, 16, v130
	s_delay_alu instid0(VALU_DEP_1) | instskip(NEXT) | instid1(VALU_DEP_1)
	v_mul_f32_e32 v133, v67, v130
	v_and_b32_e32 v130, 0x7f800000, v133
	s_delay_alu instid0(VALU_DEP_1) | instskip(NEXT) | instid1(VALU_DEP_1)
	v_cmp_ne_u32_e64 s0, 0x7f800000, v130
                                        ; implicit-def: $vgpr130
	s_and_saveexec_b32 s12, s0
	s_delay_alu instid0(SALU_CYCLE_1)
	s_xor_b32 s0, exec_lo, s12
; %bb.1330:                             ;   in Loop: Header=BB386_808 Depth=1
	v_bfe_u32 v130, v133, 16, 1
	s_delay_alu instid0(VALU_DEP_1)
	v_add3_u32 v130, v133, v130, 0x7fff
                                        ; implicit-def: $vgpr133
; %bb.1331:                             ;   in Loop: Header=BB386_808 Depth=1
	s_and_not1_saveexec_b32 s12, s0
; %bb.1332:                             ;   in Loop: Header=BB386_808 Depth=1
	v_and_b32_e32 v130, 0xffff, v133
	v_or_b32_e32 v134, 0x10000, v133
	s_delay_alu instid0(VALU_DEP_2) | instskip(NEXT) | instid1(VALU_DEP_1)
	v_cmp_eq_u32_e64 s0, 0, v130
	v_cndmask_b32_e64 v130, v134, v133, s0
; %bb.1333:                             ;   in Loop: Header=BB386_808 Depth=1
	s_or_b32 exec_lo, exec_lo, s12
	v_lshlrev_b32_e32 v131, 16, v131
	s_delay_alu instid0(VALU_DEP_1) | instskip(NEXT) | instid1(VALU_DEP_1)
	v_mul_f32_e32 v133, v68, v131
	v_and_b32_e32 v131, 0x7f800000, v133
	s_delay_alu instid0(VALU_DEP_1) | instskip(NEXT) | instid1(VALU_DEP_1)
	v_cmp_ne_u32_e64 s0, 0x7f800000, v131
                                        ; implicit-def: $vgpr131
	s_and_saveexec_b32 s12, s0
	s_delay_alu instid0(SALU_CYCLE_1)
	s_xor_b32 s0, exec_lo, s12
; %bb.1334:                             ;   in Loop: Header=BB386_808 Depth=1
	v_bfe_u32 v131, v133, 16, 1
	s_delay_alu instid0(VALU_DEP_1)
	v_add3_u32 v131, v133, v131, 0x7fff
                                        ; implicit-def: $vgpr133
; %bb.1335:                             ;   in Loop: Header=BB386_808 Depth=1
	s_and_not1_saveexec_b32 s12, s0
; %bb.1336:                             ;   in Loop: Header=BB386_808 Depth=1
	v_and_b32_e32 v131, 0xffff, v133
	v_or_b32_e32 v134, 0x10000, v133
	s_delay_alu instid0(VALU_DEP_2) | instskip(NEXT) | instid1(VALU_DEP_1)
	v_cmp_eq_u32_e64 s0, 0, v131
	v_cndmask_b32_e64 v131, v134, v133, s0
; %bb.1337:                             ;   in Loop: Header=BB386_808 Depth=1
	s_or_b32 exec_lo, exec_lo, s12
	v_lshlrev_b32_e32 v132, 16, v132
	s_delay_alu instid0(VALU_DEP_1) | instskip(NEXT) | instid1(VALU_DEP_1)
	v_mul_f32_e32 v133, v69, v132
	v_and_b32_e32 v132, 0x7f800000, v133
	s_delay_alu instid0(VALU_DEP_1) | instskip(NEXT) | instid1(VALU_DEP_1)
	v_cmp_ne_u32_e64 s0, 0x7f800000, v132
                                        ; implicit-def: $vgpr132
	s_and_saveexec_b32 s12, s0
	s_delay_alu instid0(SALU_CYCLE_1)
	s_xor_b32 s0, exec_lo, s12
; %bb.1338:                             ;   in Loop: Header=BB386_808 Depth=1
	v_bfe_u32 v132, v133, 16, 1
	s_delay_alu instid0(VALU_DEP_1)
	v_add3_u32 v132, v133, v132, 0x7fff
                                        ; implicit-def: $vgpr133
; %bb.1339:                             ;   in Loop: Header=BB386_808 Depth=1
	s_and_not1_saveexec_b32 s12, s0
; %bb.1340:                             ;   in Loop: Header=BB386_808 Depth=1
	v_and_b32_e32 v132, 0xffff, v133
	v_or_b32_e32 v134, 0x10000, v133
	s_delay_alu instid0(VALU_DEP_2) | instskip(NEXT) | instid1(VALU_DEP_1)
	v_cmp_eq_u32_e64 s0, 0, v132
	v_cndmask_b32_e64 v132, v134, v133, s0
; %bb.1341:                             ;   in Loop: Header=BB386_808 Depth=1
	s_or_b32 exec_lo, exec_lo, s12
	v_lshlrev_b32_e32 v11, 16, v11
	s_delay_alu instid0(VALU_DEP_1) | instskip(NEXT) | instid1(VALU_DEP_1)
	v_mul_f32_e32 v11, v70, v11
	v_and_b32_e32 v133, 0x7f800000, v11
	s_delay_alu instid0(VALU_DEP_1) | instskip(NEXT) | instid1(VALU_DEP_1)
	v_cmp_ne_u32_e64 s0, 0x7f800000, v133
                                        ; implicit-def: $vgpr133
	s_and_saveexec_b32 s12, s0
	s_delay_alu instid0(SALU_CYCLE_1)
	s_xor_b32 s0, exec_lo, s12
; %bb.1342:                             ;   in Loop: Header=BB386_808 Depth=1
	v_bfe_u32 v133, v11, 16, 1
	s_delay_alu instid0(VALU_DEP_1)
	v_add3_u32 v133, v11, v133, 0x7fff
                                        ; implicit-def: $vgpr11
; %bb.1343:                             ;   in Loop: Header=BB386_808 Depth=1
	s_and_not1_saveexec_b32 s12, s0
; %bb.1344:                             ;   in Loop: Header=BB386_808 Depth=1
	v_and_b32_e32 v133, 0xffff, v11
	v_or_b32_e32 v134, 0x10000, v11
	s_delay_alu instid0(VALU_DEP_2) | instskip(NEXT) | instid1(VALU_DEP_1)
	v_cmp_eq_u32_e64 s0, 0, v133
	v_cndmask_b32_e64 v133, v134, v11, s0
; %bb.1345:                             ;   in Loop: Header=BB386_808 Depth=1
	s_or_b32 exec_lo, exec_lo, s12
	v_lshlrev_b32_e32 v9, 16, v9
                                        ; implicit-def: $vgpr134
	s_delay_alu instid0(VALU_DEP_1) | instskip(NEXT) | instid1(VALU_DEP_1)
	v_mul_f32_e32 v9, v71, v9
	v_and_b32_e32 v11, 0x7f800000, v9
	s_delay_alu instid0(VALU_DEP_1) | instskip(NEXT) | instid1(VALU_DEP_1)
	v_cmp_ne_u32_e64 s0, 0x7f800000, v11
	s_and_saveexec_b32 s12, s0
	s_delay_alu instid0(SALU_CYCLE_1)
	s_xor_b32 s0, exec_lo, s12
; %bb.1346:                             ;   in Loop: Header=BB386_808 Depth=1
	v_bfe_u32 v11, v9, 16, 1
	s_delay_alu instid0(VALU_DEP_1)
	v_add3_u32 v134, v9, v11, 0x7fff
                                        ; implicit-def: $vgpr9
; %bb.1347:                             ;   in Loop: Header=BB386_808 Depth=1
	s_and_not1_saveexec_b32 s12, s0
; %bb.1348:                             ;   in Loop: Header=BB386_808 Depth=1
	v_and_b32_e32 v11, 0xffff, v9
	v_or_b32_e32 v134, 0x10000, v9
	s_delay_alu instid0(VALU_DEP_2) | instskip(NEXT) | instid1(VALU_DEP_1)
	v_cmp_eq_u32_e64 s0, 0, v11
	v_cndmask_b32_e64 v134, v134, v9, s0
; %bb.1349:                             ;   in Loop: Header=BB386_808 Depth=1
	s_or_b32 exec_lo, exec_lo, s12
	v_lshlrev_b32_e32 v8, 16, v8
                                        ; implicit-def: $vgpr135
	s_delay_alu instid0(VALU_DEP_1) | instskip(NEXT) | instid1(VALU_DEP_1)
	v_mul_f32_e32 v8, v80, v8
	v_and_b32_e32 v9, 0x7f800000, v8
	s_delay_alu instid0(VALU_DEP_1) | instskip(NEXT) | instid1(VALU_DEP_1)
	v_cmp_ne_u32_e64 s0, 0x7f800000, v9
	s_and_saveexec_b32 s12, s0
	s_delay_alu instid0(SALU_CYCLE_1)
	s_xor_b32 s0, exec_lo, s12
; %bb.1350:                             ;   in Loop: Header=BB386_808 Depth=1
	v_bfe_u32 v9, v8, 16, 1
	s_delay_alu instid0(VALU_DEP_1)
	v_add3_u32 v135, v8, v9, 0x7fff
                                        ; implicit-def: $vgpr8
; %bb.1351:                             ;   in Loop: Header=BB386_808 Depth=1
	s_and_not1_saveexec_b32 s12, s0
; %bb.1352:                             ;   in Loop: Header=BB386_808 Depth=1
	v_and_b32_e32 v9, 0xffff, v8
	v_or_b32_e32 v11, 0x10000, v8
	s_delay_alu instid0(VALU_DEP_2) | instskip(NEXT) | instid1(VALU_DEP_1)
	v_cmp_eq_u32_e64 s0, 0, v9
	v_cndmask_b32_e64 v135, v11, v8, s0
; %bb.1353:                             ;   in Loop: Header=BB386_808 Depth=1
	s_or_b32 exec_lo, exec_lo, s12
	v_lshlrev_b32_e32 v3, 16, v3
                                        ; implicit-def: $vgpr144
	s_delay_alu instid0(VALU_DEP_1) | instskip(NEXT) | instid1(VALU_DEP_1)
	v_mul_f32_e32 v3, v81, v3
	v_and_b32_e32 v8, 0x7f800000, v3
	s_delay_alu instid0(VALU_DEP_1) | instskip(NEXT) | instid1(VALU_DEP_1)
	v_cmp_ne_u32_e64 s0, 0x7f800000, v8
	s_and_saveexec_b32 s12, s0
	s_delay_alu instid0(SALU_CYCLE_1)
	s_xor_b32 s0, exec_lo, s12
; %bb.1354:                             ;   in Loop: Header=BB386_808 Depth=1
	v_bfe_u32 v8, v3, 16, 1
	s_delay_alu instid0(VALU_DEP_1)
	v_add3_u32 v144, v3, v8, 0x7fff
                                        ; implicit-def: $vgpr3
; %bb.1355:                             ;   in Loop: Header=BB386_808 Depth=1
	s_and_not1_saveexec_b32 s12, s0
; %bb.1356:                             ;   in Loop: Header=BB386_808 Depth=1
	v_and_b32_e32 v8, 0xffff, v3
	v_or_b32_e32 v9, 0x10000, v3
	s_delay_alu instid0(VALU_DEP_2) | instskip(NEXT) | instid1(VALU_DEP_1)
	v_cmp_eq_u32_e64 s0, 0, v8
	v_cndmask_b32_e64 v144, v9, v3, s0
; %bb.1357:                             ;   in Loop: Header=BB386_808 Depth=1
	s_or_b32 exec_lo, exec_lo, s12
	v_lshlrev_b32_e32 v2, 16, v2
                                        ; implicit-def: $vgpr145
	s_delay_alu instid0(VALU_DEP_1) | instskip(NEXT) | instid1(VALU_DEP_1)
	v_mul_f32_e32 v2, v97, v2
	v_and_b32_e32 v3, 0x7f800000, v2
	s_delay_alu instid0(VALU_DEP_1) | instskip(NEXT) | instid1(VALU_DEP_1)
	v_cmp_ne_u32_e64 s0, 0x7f800000, v3
	s_and_saveexec_b32 s12, s0
	s_delay_alu instid0(SALU_CYCLE_1)
	s_xor_b32 s0, exec_lo, s12
; %bb.1358:                             ;   in Loop: Header=BB386_808 Depth=1
	v_bfe_u32 v3, v2, 16, 1
	s_delay_alu instid0(VALU_DEP_1)
	v_add3_u32 v145, v2, v3, 0x7fff
                                        ; implicit-def: $vgpr2
; %bb.1359:                             ;   in Loop: Header=BB386_808 Depth=1
	s_and_not1_saveexec_b32 s12, s0
; %bb.1360:                             ;   in Loop: Header=BB386_808 Depth=1
	v_and_b32_e32 v3, 0xffff, v2
	v_or_b32_e32 v8, 0x10000, v2
	s_delay_alu instid0(VALU_DEP_2) | instskip(NEXT) | instid1(VALU_DEP_1)
	v_cmp_eq_u32_e64 s0, 0, v3
	v_cndmask_b32_e64 v145, v8, v2, s0
; %bb.1361:                             ;   in Loop: Header=BB386_808 Depth=1
	s_or_b32 exec_lo, exec_lo, s12
	flat_load_b64 v[2:3], v[0:1] offset:1024
	s_mov_b32 s12, exec_lo
	s_waitcnt vmcnt(0) lgkmcnt(0)
	v_dual_mov_b32 v8, 0 :: v_dual_and_b32 v9, 0xff, v2
	s_delay_alu instid0(VALU_DEP_1)
	v_cmpx_ne_u16_e32 0, v9
	s_cbranch_execz .LBB386_1369
; %bb.1362:                             ;   in Loop: Header=BB386_808 Depth=1
	v_bfrev_b32_e32 v8, 1
	s_mov_b32 s13, exec_lo
	v_cmpx_ne_u16_e32 0x80, v9
	s_cbranch_execz .LBB386_1368
; %bb.1363:                             ;   in Loop: Header=BB386_808 Depth=1
	v_and_b32_e32 v9, 0x7f, v2
	v_mov_b32_e32 v8, 0x7f800001
	s_mov_b32 s15, exec_lo
	s_delay_alu instid0(VALU_DEP_2)
	v_cmpx_ne_u32_e32 0x7f, v9
	s_cbranch_execz .LBB386_1367
; %bb.1364:                             ;   in Loop: Header=BB386_808 Depth=1
	v_lshrrev_b32_e32 v11, 3, v9
	v_cmp_gt_u32_e64 s0, 8, v9
	v_dual_mov_b32 v9, v3 :: v_dual_mov_b32 v8, v2
	s_delay_alu instid0(VALU_DEP_2)
	s_and_saveexec_b32 s16, s0
; %bb.1365:                             ;   in Loop: Header=BB386_808 Depth=1
	v_and_b32_e32 v8, 7, v2
	s_delay_alu instid0(VALU_DEP_1) | instskip(NEXT) | instid1(VALU_DEP_1)
	v_clz_i32_u32_e32 v8, v8
	v_min_u32_e32 v11, 32, v8
	s_delay_alu instid0(VALU_DEP_1) | instskip(SKIP_1) | instid1(VALU_DEP_2)
	v_subrev_nc_u32_e32 v8, 28, v11
	v_sub_nc_u32_e32 v11, 29, v11
	v_lshlrev_b64 v[8:9], v8, v[2:3]
; %bb.1366:                             ;   in Loop: Header=BB386_808 Depth=1
	s_or_b32 exec_lo, exec_lo, s16
	s_delay_alu instid0(VALU_DEP_1) | instskip(SKIP_2) | instid1(VALU_DEP_3)
	v_lshlrev_b32_e32 v8, 20, v8
	v_lshlrev_b32_e32 v9, 24, v2
	v_lshl_add_u32 v11, v11, 23, 0x3c000000
	v_and_b32_e32 v8, 0x700000, v8
	s_delay_alu instid0(VALU_DEP_3) | instskip(NEXT) | instid1(VALU_DEP_1)
	v_and_b32_e32 v9, 0x80000000, v9
	v_or3_b32 v8, v8, v9, v11
.LBB386_1367:                           ;   in Loop: Header=BB386_808 Depth=1
	s_or_b32 exec_lo, exec_lo, s15
.LBB386_1368:                           ;   in Loop: Header=BB386_808 Depth=1
	s_delay_alu instid0(SALU_CYCLE_1)
	s_or_b32 exec_lo, exec_lo, s13
.LBB386_1369:                           ;   in Loop: Header=BB386_808 Depth=1
	s_delay_alu instid0(SALU_CYCLE_1) | instskip(NEXT) | instid1(VALU_DEP_1)
	s_or_b32 exec_lo, exec_lo, s12
	v_mul_f32_e32 v8, v10, v8
                                        ; implicit-def: $vgpr146
	s_delay_alu instid0(VALU_DEP_1) | instskip(NEXT) | instid1(VALU_DEP_1)
	v_and_b32_e32 v9, 0x7f800000, v8
	v_cmp_ne_u32_e64 s0, 0x7f800000, v9
	s_delay_alu instid0(VALU_DEP_1) | instskip(NEXT) | instid1(SALU_CYCLE_1)
	s_and_saveexec_b32 s12, s0
	s_xor_b32 s0, exec_lo, s12
; %bb.1370:                             ;   in Loop: Header=BB386_808 Depth=1
	v_bfe_u32 v9, v8, 16, 1
	s_delay_alu instid0(VALU_DEP_1)
	v_add3_u32 v146, v8, v9, 0x7fff
                                        ; implicit-def: $vgpr8
; %bb.1371:                             ;   in Loop: Header=BB386_808 Depth=1
	s_and_not1_saveexec_b32 s12, s0
; %bb.1372:                             ;   in Loop: Header=BB386_808 Depth=1
	v_and_b32_e32 v9, 0xffff, v8
	v_or_b32_e32 v11, 0x10000, v8
	s_delay_alu instid0(VALU_DEP_2) | instskip(NEXT) | instid1(VALU_DEP_1)
	v_cmp_eq_u32_e64 s0, 0, v9
	v_cndmask_b32_e64 v146, v11, v8, s0
; %bb.1373:                             ;   in Loop: Header=BB386_808 Depth=1
	s_or_b32 exec_lo, exec_lo, s12
	v_lshrrev_b16 v9, 8, v2
	v_mov_b32_e32 v8, 0
	s_mov_b32 s12, exec_lo
	s_delay_alu instid0(VALU_DEP_2)
	v_cmpx_ne_u16_e32 0, v9
	s_cbranch_execz .LBB386_1381
; %bb.1374:                             ;   in Loop: Header=BB386_808 Depth=1
	v_bfrev_b32_e32 v8, 1
	s_mov_b32 s13, exec_lo
	v_cmpx_ne_u16_e32 0x80, v9
	s_cbranch_execz .LBB386_1380
; %bb.1375:                             ;   in Loop: Header=BB386_808 Depth=1
	v_and_b32_e32 v11, 0xffff, v9
	v_mov_b32_e32 v8, 0x7f800001
	s_mov_b32 s15, exec_lo
	s_delay_alu instid0(VALU_DEP_2) | instskip(NEXT) | instid1(VALU_DEP_1)
	v_and_b32_e32 v9, 0x7f, v11
	v_cmpx_ne_u32_e32 0x7f, v9
	s_cbranch_execz .LBB386_1379
; %bb.1376:                             ;   in Loop: Header=BB386_808 Depth=1
	v_and_b32_e32 v11, 7, v11
	v_lshrrev_b32_e32 v8, 3, v9
	s_mov_b32 s16, exec_lo
	v_cmpx_gt_u32_e32 8, v9
; %bb.1377:                             ;   in Loop: Header=BB386_808 Depth=1
	s_delay_alu instid0(VALU_DEP_3) | instskip(NEXT) | instid1(VALU_DEP_1)
	v_clz_i32_u32_e32 v8, v11
	v_min_u32_e32 v8, 32, v8
	s_delay_alu instid0(VALU_DEP_1) | instskip(SKIP_1) | instid1(VALU_DEP_2)
	v_subrev_nc_u32_e32 v9, 28, v8
	v_sub_nc_u32_e32 v8, 29, v8
	v_lshlrev_b64 v[147:148], v9, v[11:12]
	s_delay_alu instid0(VALU_DEP_1)
	v_and_b32_e32 v11, 7, v147
; %bb.1378:                             ;   in Loop: Header=BB386_808 Depth=1
	s_or_b32 exec_lo, exec_lo, s16
	v_lshlrev_b32_e32 v9, 16, v2
	s_delay_alu instid0(VALU_DEP_2) | instskip(SKIP_1) | instid1(VALU_DEP_3)
	v_lshlrev_b32_e32 v11, 20, v11
	v_lshl_add_u32 v8, v8, 23, 0x3c000000
	v_and_b32_e32 v9, 0x80000000, v9
	s_delay_alu instid0(VALU_DEP_1)
	v_or3_b32 v8, v11, v9, v8
.LBB386_1379:                           ;   in Loop: Header=BB386_808 Depth=1
	s_or_b32 exec_lo, exec_lo, s15
.LBB386_1380:                           ;   in Loop: Header=BB386_808 Depth=1
	s_delay_alu instid0(SALU_CYCLE_1)
	s_or_b32 exec_lo, exec_lo, s13
.LBB386_1381:                           ;   in Loop: Header=BB386_808 Depth=1
	s_delay_alu instid0(SALU_CYCLE_1) | instskip(NEXT) | instid1(VALU_DEP_1)
	s_or_b32 exec_lo, exec_lo, s12
	v_mul_f32_e32 v8, v10, v8
                                        ; implicit-def: $vgpr147
	s_delay_alu instid0(VALU_DEP_1) | instskip(NEXT) | instid1(VALU_DEP_1)
	v_and_b32_e32 v9, 0x7f800000, v8
	v_cmp_ne_u32_e64 s0, 0x7f800000, v9
	s_delay_alu instid0(VALU_DEP_1) | instskip(NEXT) | instid1(SALU_CYCLE_1)
	s_and_saveexec_b32 s12, s0
	s_xor_b32 s0, exec_lo, s12
; %bb.1382:                             ;   in Loop: Header=BB386_808 Depth=1
	v_bfe_u32 v9, v8, 16, 1
	s_delay_alu instid0(VALU_DEP_1)
	v_add3_u32 v147, v8, v9, 0x7fff
                                        ; implicit-def: $vgpr8
; %bb.1383:                             ;   in Loop: Header=BB386_808 Depth=1
	s_and_not1_saveexec_b32 s12, s0
; %bb.1384:                             ;   in Loop: Header=BB386_808 Depth=1
	v_and_b32_e32 v9, 0xffff, v8
	v_or_b32_e32 v11, 0x10000, v8
	s_delay_alu instid0(VALU_DEP_2) | instskip(NEXT) | instid1(VALU_DEP_1)
	v_cmp_eq_u32_e64 s0, 0, v9
	v_cndmask_b32_e64 v147, v11, v8, s0
; %bb.1385:                             ;   in Loop: Header=BB386_808 Depth=1
	s_or_b32 exec_lo, exec_lo, s12
	v_lshrrev_b32_e32 v8, 16, v2
	v_mov_b32_e32 v9, 0
	s_mov_b32 s12, exec_lo
	s_delay_alu instid0(VALU_DEP_2) | instskip(NEXT) | instid1(VALU_DEP_1)
	v_and_b32_e32 v11, 0xff, v8
	v_cmpx_ne_u16_e32 0, v11
	s_cbranch_execz .LBB386_1393
; %bb.1386:                             ;   in Loop: Header=BB386_808 Depth=1
	v_bfrev_b32_e32 v9, 1
	s_mov_b32 s13, exec_lo
	v_cmpx_ne_u16_e32 0x80, v11
	s_cbranch_execz .LBB386_1392
; %bb.1387:                             ;   in Loop: Header=BB386_808 Depth=1
	v_bfe_u32 v148, v2, 16, 7
	v_mov_b32_e32 v9, 0x7f800001
	s_mov_b32 s15, exec_lo
	s_delay_alu instid0(VALU_DEP_2)
	v_cmpx_ne_u32_e32 0x7f, v148
	s_cbranch_execz .LBB386_1391
; %bb.1388:                             ;   in Loop: Header=BB386_808 Depth=1
	v_and_b32_e32 v11, 7, v8
	v_lshrrev_b32_e32 v9, 3, v148
	s_mov_b32 s16, exec_lo
	v_cmpx_gt_u32_e32 8, v148
; %bb.1389:                             ;   in Loop: Header=BB386_808 Depth=1
	s_delay_alu instid0(VALU_DEP_3) | instskip(NEXT) | instid1(VALU_DEP_1)
	v_clz_i32_u32_e32 v9, v11
	v_min_u32_e32 v9, 32, v9
	s_delay_alu instid0(VALU_DEP_1) | instskip(SKIP_1) | instid1(VALU_DEP_2)
	v_subrev_nc_u32_e32 v148, 28, v9
	v_sub_nc_u32_e32 v9, 29, v9
	v_lshlrev_b64 v[148:149], v148, v[11:12]
	s_delay_alu instid0(VALU_DEP_1)
	v_and_b32_e32 v11, 7, v148
; %bb.1390:                             ;   in Loop: Header=BB386_808 Depth=1
	s_or_b32 exec_lo, exec_lo, s16
	v_lshlrev_b32_e32 v8, 24, v8
	s_delay_alu instid0(VALU_DEP_2) | instskip(SKIP_1) | instid1(VALU_DEP_3)
	v_lshlrev_b32_e32 v11, 20, v11
	v_lshl_add_u32 v9, v9, 23, 0x3c000000
	v_and_b32_e32 v8, 0x80000000, v8
	s_delay_alu instid0(VALU_DEP_1)
	v_or3_b32 v9, v11, v8, v9
.LBB386_1391:                           ;   in Loop: Header=BB386_808 Depth=1
	s_or_b32 exec_lo, exec_lo, s15
.LBB386_1392:                           ;   in Loop: Header=BB386_808 Depth=1
	s_delay_alu instid0(SALU_CYCLE_1)
	s_or_b32 exec_lo, exec_lo, s13
.LBB386_1393:                           ;   in Loop: Header=BB386_808 Depth=1
	s_delay_alu instid0(SALU_CYCLE_1) | instskip(NEXT) | instid1(VALU_DEP_1)
	s_or_b32 exec_lo, exec_lo, s12
	v_mul_f32_e32 v8, v10, v9
                                        ; implicit-def: $vgpr148
	s_delay_alu instid0(VALU_DEP_1) | instskip(NEXT) | instid1(VALU_DEP_1)
	v_and_b32_e32 v9, 0x7f800000, v8
	v_cmp_ne_u32_e64 s0, 0x7f800000, v9
	s_delay_alu instid0(VALU_DEP_1) | instskip(NEXT) | instid1(SALU_CYCLE_1)
	s_and_saveexec_b32 s12, s0
	s_xor_b32 s0, exec_lo, s12
; %bb.1394:                             ;   in Loop: Header=BB386_808 Depth=1
	v_bfe_u32 v9, v8, 16, 1
	s_delay_alu instid0(VALU_DEP_1)
	v_add3_u32 v148, v8, v9, 0x7fff
                                        ; implicit-def: $vgpr8
; %bb.1395:                             ;   in Loop: Header=BB386_808 Depth=1
	s_and_not1_saveexec_b32 s12, s0
; %bb.1396:                             ;   in Loop: Header=BB386_808 Depth=1
	v_and_b32_e32 v9, 0xffff, v8
	v_or_b32_e32 v11, 0x10000, v8
	s_delay_alu instid0(VALU_DEP_2) | instskip(NEXT) | instid1(VALU_DEP_1)
	v_cmp_eq_u32_e64 s0, 0, v9
	v_cndmask_b32_e64 v148, v11, v8, s0
; %bb.1397:                             ;   in Loop: Header=BB386_808 Depth=1
	s_or_b32 exec_lo, exec_lo, s12
	v_mov_b32_e32 v9, 0
	s_mov_b32 s12, exec_lo
	v_cmpx_lt_u32_e32 0xffffff, v2
	s_cbranch_execz .LBB386_1405
; %bb.1398:                             ;   in Loop: Header=BB386_808 Depth=1
	v_lshrrev_b32_e32 v8, 24, v2
	v_bfrev_b32_e32 v9, 1
	s_mov_b32 s13, exec_lo
	s_delay_alu instid0(VALU_DEP_2)
	v_cmpx_ne_u32_e32 0x80, v8
	s_cbranch_execz .LBB386_1404
; %bb.1399:                             ;   in Loop: Header=BB386_808 Depth=1
	v_bfe_u32 v149, v2, 24, 7
	v_mov_b32_e32 v9, 0x7f800001
	s_mov_b32 s15, exec_lo
	s_delay_alu instid0(VALU_DEP_2)
	v_cmpx_ne_u32_e32 0x7f, v149
	s_cbranch_execz .LBB386_1403
; %bb.1400:                             ;   in Loop: Header=BB386_808 Depth=1
	v_and_b32_e32 v11, 7, v8
	v_lshrrev_b32_e32 v9, 3, v149
	s_mov_b32 s16, exec_lo
	v_cmpx_gt_u32_e32 8, v149
; %bb.1401:                             ;   in Loop: Header=BB386_808 Depth=1
	s_delay_alu instid0(VALU_DEP_3) | instskip(NEXT) | instid1(VALU_DEP_1)
	v_clz_i32_u32_e32 v9, v11
	v_min_u32_e32 v9, 32, v9
	s_delay_alu instid0(VALU_DEP_1) | instskip(SKIP_1) | instid1(VALU_DEP_2)
	v_subrev_nc_u32_e32 v149, 28, v9
	v_sub_nc_u32_e32 v9, 29, v9
	v_lshlrev_b64 v[149:150], v149, v[11:12]
	s_delay_alu instid0(VALU_DEP_1)
	v_and_b32_e32 v11, 7, v149
; %bb.1402:                             ;   in Loop: Header=BB386_808 Depth=1
	s_or_b32 exec_lo, exec_lo, s16
	v_lshlrev_b32_e32 v8, 24, v8
	s_delay_alu instid0(VALU_DEP_2) | instskip(SKIP_1) | instid1(VALU_DEP_3)
	v_lshlrev_b32_e32 v11, 20, v11
	v_lshl_add_u32 v9, v9, 23, 0x3c000000
	v_and_b32_e32 v8, 0x80000000, v8
	s_delay_alu instid0(VALU_DEP_1)
	v_or3_b32 v9, v11, v8, v9
.LBB386_1403:                           ;   in Loop: Header=BB386_808 Depth=1
	s_or_b32 exec_lo, exec_lo, s15
.LBB386_1404:                           ;   in Loop: Header=BB386_808 Depth=1
	s_delay_alu instid0(SALU_CYCLE_1)
	s_or_b32 exec_lo, exec_lo, s13
.LBB386_1405:                           ;   in Loop: Header=BB386_808 Depth=1
	s_delay_alu instid0(SALU_CYCLE_1) | instskip(NEXT) | instid1(VALU_DEP_1)
	s_or_b32 exec_lo, exec_lo, s12
	v_mul_f32_e32 v8, v10, v9
                                        ; implicit-def: $vgpr149
	s_delay_alu instid0(VALU_DEP_1) | instskip(NEXT) | instid1(VALU_DEP_1)
	v_and_b32_e32 v9, 0x7f800000, v8
	v_cmp_ne_u32_e64 s0, 0x7f800000, v9
	s_delay_alu instid0(VALU_DEP_1) | instskip(NEXT) | instid1(SALU_CYCLE_1)
	s_and_saveexec_b32 s12, s0
	s_xor_b32 s0, exec_lo, s12
; %bb.1406:                             ;   in Loop: Header=BB386_808 Depth=1
	v_bfe_u32 v9, v8, 16, 1
	s_delay_alu instid0(VALU_DEP_1)
	v_add3_u32 v149, v8, v9, 0x7fff
                                        ; implicit-def: $vgpr8
; %bb.1407:                             ;   in Loop: Header=BB386_808 Depth=1
	s_and_not1_saveexec_b32 s12, s0
; %bb.1408:                             ;   in Loop: Header=BB386_808 Depth=1
	v_and_b32_e32 v9, 0xffff, v8
	v_or_b32_e32 v11, 0x10000, v8
	s_delay_alu instid0(VALU_DEP_2) | instskip(NEXT) | instid1(VALU_DEP_1)
	v_cmp_eq_u32_e64 s0, 0, v9
	v_cndmask_b32_e64 v149, v11, v8, s0
; %bb.1409:                             ;   in Loop: Header=BB386_808 Depth=1
	s_or_b32 exec_lo, exec_lo, s12
	v_dual_mov_b32 v8, 0 :: v_dual_and_b32 v9, 0xff, v3
	v_mov_b32_e32 v11, v3
	s_mov_b32 s12, exec_lo
	s_delay_alu instid0(VALU_DEP_2)
	v_cmpx_ne_u16_e32 0, v9
	s_cbranch_execz .LBB386_1417
; %bb.1410:                             ;   in Loop: Header=BB386_808 Depth=1
	v_bfrev_b32_e32 v8, 1
	s_mov_b32 s13, exec_lo
	v_cmpx_ne_u16_e32 0x80, v9
	s_cbranch_execz .LBB386_1416
; %bb.1411:                             ;   in Loop: Header=BB386_808 Depth=1
	v_and_b32_e32 v9, 0x7f, v3
	v_mov_b32_e32 v8, 0x7f800001
	s_mov_b32 s15, exec_lo
	s_delay_alu instid0(VALU_DEP_2)
	v_cmpx_ne_u32_e32 0x7f, v9
	s_cbranch_execz .LBB386_1415
; %bb.1412:                             ;   in Loop: Header=BB386_808 Depth=1
	v_lshrrev_b32_e32 v150, 3, v9
	v_cmp_gt_u32_e64 s0, 8, v9
	v_dual_mov_b32 v8, v11 :: v_dual_mov_b32 v9, v12
	s_delay_alu instid0(VALU_DEP_2)
	s_and_saveexec_b32 s16, s0
; %bb.1413:                             ;   in Loop: Header=BB386_808 Depth=1
	v_and_b32_e32 v8, 7, v3
	s_delay_alu instid0(VALU_DEP_1) | instskip(NEXT) | instid1(VALU_DEP_1)
	v_clz_i32_u32_e32 v8, v8
	v_min_u32_e32 v150, 32, v8
	s_delay_alu instid0(VALU_DEP_1) | instskip(SKIP_1) | instid1(VALU_DEP_2)
	v_subrev_nc_u32_e32 v8, 28, v150
	v_sub_nc_u32_e32 v150, 29, v150
	v_lshlrev_b64 v[8:9], v8, v[11:12]
; %bb.1414:                             ;   in Loop: Header=BB386_808 Depth=1
	s_or_b32 exec_lo, exec_lo, s16
	s_delay_alu instid0(VALU_DEP_1) | instskip(SKIP_2) | instid1(VALU_DEP_3)
	v_lshlrev_b32_e32 v8, 20, v8
	v_lshlrev_b32_e32 v9, 24, v11
	v_lshl_add_u32 v150, v150, 23, 0x3c000000
	v_and_b32_e32 v8, 0x700000, v8
	s_delay_alu instid0(VALU_DEP_3) | instskip(NEXT) | instid1(VALU_DEP_1)
	v_and_b32_e32 v9, 0x80000000, v9
	v_or3_b32 v8, v8, v9, v150
.LBB386_1415:                           ;   in Loop: Header=BB386_808 Depth=1
	s_or_b32 exec_lo, exec_lo, s15
.LBB386_1416:                           ;   in Loop: Header=BB386_808 Depth=1
	s_delay_alu instid0(SALU_CYCLE_1)
	s_or_b32 exec_lo, exec_lo, s13
.LBB386_1417:                           ;   in Loop: Header=BB386_808 Depth=1
	s_delay_alu instid0(SALU_CYCLE_1) | instskip(NEXT) | instid1(VALU_DEP_1)
	s_or_b32 exec_lo, exec_lo, s12
	v_mul_f32_e32 v8, v10, v8
                                        ; implicit-def: $vgpr150
	s_delay_alu instid0(VALU_DEP_1) | instskip(NEXT) | instid1(VALU_DEP_1)
	v_and_b32_e32 v9, 0x7f800000, v8
	v_cmp_ne_u32_e64 s0, 0x7f800000, v9
	s_delay_alu instid0(VALU_DEP_1) | instskip(NEXT) | instid1(SALU_CYCLE_1)
	s_and_saveexec_b32 s12, s0
	s_xor_b32 s0, exec_lo, s12
; %bb.1418:                             ;   in Loop: Header=BB386_808 Depth=1
	v_bfe_u32 v9, v8, 16, 1
	s_delay_alu instid0(VALU_DEP_1)
	v_add3_u32 v150, v8, v9, 0x7fff
                                        ; implicit-def: $vgpr8
; %bb.1419:                             ;   in Loop: Header=BB386_808 Depth=1
	s_and_not1_saveexec_b32 s12, s0
; %bb.1420:                             ;   in Loop: Header=BB386_808 Depth=1
	v_and_b32_e32 v9, 0xffff, v8
	v_or_b32_e32 v150, 0x10000, v8
	s_delay_alu instid0(VALU_DEP_2) | instskip(NEXT) | instid1(VALU_DEP_1)
	v_cmp_eq_u32_e64 s0, 0, v9
	v_cndmask_b32_e64 v150, v150, v8, s0
; %bb.1421:                             ;   in Loop: Header=BB386_808 Depth=1
	s_or_b32 exec_lo, exec_lo, s12
	v_lshrrev_b16 v9, 8, v11
	v_mov_b32_e32 v8, 0
	s_mov_b32 s12, exec_lo
	s_delay_alu instid0(VALU_DEP_2)
	v_cmpx_ne_u16_e32 0, v9
	s_cbranch_execz .LBB386_1429
; %bb.1422:                             ;   in Loop: Header=BB386_808 Depth=1
	v_bfrev_b32_e32 v8, 1
	s_mov_b32 s13, exec_lo
	v_cmpx_ne_u16_e32 0x80, v9
	s_cbranch_execz .LBB386_1428
; %bb.1423:                             ;   in Loop: Header=BB386_808 Depth=1
	v_and_b32_e32 v9, 0xffff, v9
	v_mov_b32_e32 v8, 0x7f800001
	s_mov_b32 s15, exec_lo
	s_delay_alu instid0(VALU_DEP_2) | instskip(NEXT) | instid1(VALU_DEP_1)
	v_and_b32_e32 v160, 0x7f, v9
	v_cmpx_ne_u32_e32 0x7f, v160
	s_cbranch_execz .LBB386_1427
; %bb.1424:                             ;   in Loop: Header=BB386_808 Depth=1
	v_dual_mov_b32 v9, v12 :: v_dual_and_b32 v8, 7, v9
	v_lshrrev_b32_e32 v151, 3, v160
	s_mov_b32 s16, exec_lo
	v_cmpx_gt_u32_e32 8, v160
; %bb.1425:                             ;   in Loop: Header=BB386_808 Depth=1
	s_delay_alu instid0(VALU_DEP_3) | instskip(NEXT) | instid1(VALU_DEP_1)
	v_clz_i32_u32_e32 v151, v8
	v_min_u32_e32 v151, 32, v151
	s_delay_alu instid0(VALU_DEP_1) | instskip(SKIP_1) | instid1(VALU_DEP_2)
	v_subrev_nc_u32_e32 v160, 28, v151
	v_sub_nc_u32_e32 v151, 29, v151
	v_lshlrev_b64 v[8:9], v160, v[8:9]
	s_delay_alu instid0(VALU_DEP_1)
	v_and_b32_e32 v8, 7, v8
; %bb.1426:                             ;   in Loop: Header=BB386_808 Depth=1
	s_or_b32 exec_lo, exec_lo, s16
	v_lshlrev_b32_e32 v9, 16, v11
	s_delay_alu instid0(VALU_DEP_2) | instskip(SKIP_1) | instid1(VALU_DEP_3)
	v_lshlrev_b32_e32 v8, 20, v8
	v_lshl_add_u32 v11, v151, 23, 0x3c000000
	v_and_b32_e32 v9, 0x80000000, v9
	s_delay_alu instid0(VALU_DEP_1)
	v_or3_b32 v8, v8, v9, v11
.LBB386_1427:                           ;   in Loop: Header=BB386_808 Depth=1
	s_or_b32 exec_lo, exec_lo, s15
.LBB386_1428:                           ;   in Loop: Header=BB386_808 Depth=1
	s_delay_alu instid0(SALU_CYCLE_1)
	s_or_b32 exec_lo, exec_lo, s13
.LBB386_1429:                           ;   in Loop: Header=BB386_808 Depth=1
	s_delay_alu instid0(SALU_CYCLE_1) | instskip(NEXT) | instid1(VALU_DEP_1)
	s_or_b32 exec_lo, exec_lo, s12
	v_mul_f32_e32 v9, v10, v8
	s_delay_alu instid0(VALU_DEP_1) | instskip(NEXT) | instid1(VALU_DEP_1)
	v_and_b32_e32 v8, 0x7f800000, v9
	v_cmp_ne_u32_e64 s0, 0x7f800000, v8
                                        ; implicit-def: $vgpr8
	s_delay_alu instid0(VALU_DEP_1) | instskip(NEXT) | instid1(SALU_CYCLE_1)
	s_and_saveexec_b32 s12, s0
	s_xor_b32 s0, exec_lo, s12
; %bb.1430:                             ;   in Loop: Header=BB386_808 Depth=1
	v_bfe_u32 v8, v9, 16, 1
	s_delay_alu instid0(VALU_DEP_1)
	v_add3_u32 v8, v9, v8, 0x7fff
                                        ; implicit-def: $vgpr9
; %bb.1431:                             ;   in Loop: Header=BB386_808 Depth=1
	s_and_not1_saveexec_b32 s12, s0
; %bb.1432:                             ;   in Loop: Header=BB386_808 Depth=1
	v_and_b32_e32 v8, 0xffff, v9
	v_or_b32_e32 v11, 0x10000, v9
	s_delay_alu instid0(VALU_DEP_2) | instskip(NEXT) | instid1(VALU_DEP_1)
	v_cmp_eq_u32_e64 s0, 0, v8
	v_cndmask_b32_e64 v8, v11, v9, s0
; %bb.1433:                             ;   in Loop: Header=BB386_808 Depth=1
	s_or_b32 exec_lo, exec_lo, s12
	v_lshrrev_b32_e32 v9, 16, v3
	v_mov_b32_e32 v11, 0
	s_mov_b32 s12, exec_lo
	s_delay_alu instid0(VALU_DEP_2) | instskip(NEXT) | instid1(VALU_DEP_1)
	v_and_b32_e32 v151, 0xff, v9
	v_cmpx_ne_u16_e64 0, v151
	s_cbranch_execz .LBB386_1441
; %bb.1434:                             ;   in Loop: Header=BB386_808 Depth=1
	v_bfrev_b32_e32 v11, 1
	s_mov_b32 s13, exec_lo
	v_cmpx_ne_u16_e64 0x80, v151
	s_cbranch_execz .LBB386_1440
; %bb.1435:                             ;   in Loop: Header=BB386_808 Depth=1
	v_bfe_u32 v160, v3, 16, 7
	v_mov_b32_e32 v11, 0x7f800001
	s_mov_b32 s15, exec_lo
	s_delay_alu instid0(VALU_DEP_2)
	v_cmpx_ne_u32_e32 0x7f, v160
	s_cbranch_execz .LBB386_1439
; %bb.1436:                             ;   in Loop: Header=BB386_808 Depth=1
	v_and_b32_e32 v11, 7, v9
	v_lshrrev_b32_e32 v151, 3, v160
	s_mov_b32 s16, exec_lo
	v_cmpx_gt_u32_e32 8, v160
; %bb.1437:                             ;   in Loop: Header=BB386_808 Depth=1
	s_delay_alu instid0(VALU_DEP_3) | instskip(NEXT) | instid1(VALU_DEP_1)
	v_clz_i32_u32_e32 v151, v11
	v_min_u32_e32 v151, 32, v151
	s_delay_alu instid0(VALU_DEP_1) | instskip(SKIP_1) | instid1(VALU_DEP_2)
	v_subrev_nc_u32_e32 v160, 28, v151
	v_sub_nc_u32_e32 v151, 29, v151
	v_lshlrev_b64 v[160:161], v160, v[11:12]
	s_delay_alu instid0(VALU_DEP_1)
	v_and_b32_e32 v11, 7, v160
; %bb.1438:                             ;   in Loop: Header=BB386_808 Depth=1
	s_or_b32 exec_lo, exec_lo, s16
	v_lshlrev_b32_e32 v9, 24, v9
	s_delay_alu instid0(VALU_DEP_2) | instskip(SKIP_1) | instid1(VALU_DEP_3)
	v_lshlrev_b32_e32 v11, 20, v11
	v_lshl_add_u32 v151, v151, 23, 0x3c000000
	v_and_b32_e32 v9, 0x80000000, v9
	s_delay_alu instid0(VALU_DEP_1)
	v_or3_b32 v11, v11, v9, v151
.LBB386_1439:                           ;   in Loop: Header=BB386_808 Depth=1
	s_or_b32 exec_lo, exec_lo, s15
.LBB386_1440:                           ;   in Loop: Header=BB386_808 Depth=1
	s_delay_alu instid0(SALU_CYCLE_1)
	s_or_b32 exec_lo, exec_lo, s13
.LBB386_1441:                           ;   in Loop: Header=BB386_808 Depth=1
	s_delay_alu instid0(SALU_CYCLE_1) | instskip(NEXT) | instid1(VALU_DEP_1)
	s_or_b32 exec_lo, exec_lo, s12
	v_mul_f32_e32 v9, v10, v11
                                        ; implicit-def: $vgpr151
	s_delay_alu instid0(VALU_DEP_1) | instskip(NEXT) | instid1(VALU_DEP_1)
	v_and_b32_e32 v11, 0x7f800000, v9
	v_cmp_ne_u32_e64 s0, 0x7f800000, v11
	s_delay_alu instid0(VALU_DEP_1) | instskip(NEXT) | instid1(SALU_CYCLE_1)
	s_and_saveexec_b32 s12, s0
	s_xor_b32 s0, exec_lo, s12
; %bb.1442:                             ;   in Loop: Header=BB386_808 Depth=1
	v_bfe_u32 v11, v9, 16, 1
	s_delay_alu instid0(VALU_DEP_1)
	v_add3_u32 v151, v9, v11, 0x7fff
                                        ; implicit-def: $vgpr9
; %bb.1443:                             ;   in Loop: Header=BB386_808 Depth=1
	s_and_not1_saveexec_b32 s12, s0
; %bb.1444:                             ;   in Loop: Header=BB386_808 Depth=1
	v_and_b32_e32 v11, 0xffff, v9
	v_or_b32_e32 v151, 0x10000, v9
	s_delay_alu instid0(VALU_DEP_2) | instskip(NEXT) | instid1(VALU_DEP_1)
	v_cmp_eq_u32_e64 s0, 0, v11
	v_cndmask_b32_e64 v151, v151, v9, s0
; %bb.1445:                             ;   in Loop: Header=BB386_808 Depth=1
	s_or_b32 exec_lo, exec_lo, s12
	v_mov_b32_e32 v9, 0
	s_mov_b32 s12, exec_lo
	v_cmpx_lt_u64_e64 s[8:9], v[2:3]
	s_cbranch_execz .LBB386_1453
; %bb.1446:                             ;   in Loop: Header=BB386_808 Depth=1
	v_lshrrev_b32_e32 v2, 24, v3
	v_bfrev_b32_e32 v9, 1
	s_mov_b32 s13, exec_lo
	s_delay_alu instid0(VALU_DEP_2)
	v_cmpx_ne_u32_e32 0x80, v2
	s_cbranch_execz .LBB386_1452
; %bb.1447:                             ;   in Loop: Header=BB386_808 Depth=1
	v_bfe_u32 v160, v3, 24, 7
	v_mov_b32_e32 v9, 0x7f800001
	s_mov_b32 s15, exec_lo
	s_delay_alu instid0(VALU_DEP_2)
	v_cmpx_ne_u32_e32 0x7f, v160
	s_cbranch_execz .LBB386_1451
; %bb.1448:                             ;   in Loop: Header=BB386_808 Depth=1
	v_and_b32_e32 v11, 7, v2
	v_lshrrev_b32_e32 v3, 3, v160
	s_mov_b32 s16, exec_lo
	v_cmpx_gt_u32_e32 8, v160
; %bb.1449:                             ;   in Loop: Header=BB386_808 Depth=1
	s_delay_alu instid0(VALU_DEP_3) | instskip(NEXT) | instid1(VALU_DEP_1)
	v_clz_i32_u32_e32 v3, v11
	v_min_u32_e32 v3, 32, v3
	s_delay_alu instid0(VALU_DEP_1) | instskip(SKIP_1) | instid1(VALU_DEP_2)
	v_subrev_nc_u32_e32 v9, 28, v3
	v_sub_nc_u32_e32 v3, 29, v3
	v_lshlrev_b64 v[160:161], v9, v[11:12]
	s_delay_alu instid0(VALU_DEP_1)
	v_and_b32_e32 v11, 7, v160
; %bb.1450:                             ;   in Loop: Header=BB386_808 Depth=1
	s_or_b32 exec_lo, exec_lo, s16
	v_lshlrev_b32_e32 v2, 24, v2
	s_delay_alu instid0(VALU_DEP_2) | instskip(SKIP_1) | instid1(VALU_DEP_3)
	v_lshlrev_b32_e32 v9, 20, v11
	v_lshl_add_u32 v3, v3, 23, 0x3c000000
	v_and_b32_e32 v2, 0x80000000, v2
	s_delay_alu instid0(VALU_DEP_1)
	v_or3_b32 v9, v9, v2, v3
.LBB386_1451:                           ;   in Loop: Header=BB386_808 Depth=1
	s_or_b32 exec_lo, exec_lo, s15
.LBB386_1452:                           ;   in Loop: Header=BB386_808 Depth=1
	s_delay_alu instid0(SALU_CYCLE_1)
	s_or_b32 exec_lo, exec_lo, s13
.LBB386_1453:                           ;   in Loop: Header=BB386_808 Depth=1
	s_delay_alu instid0(SALU_CYCLE_1) | instskip(NEXT) | instid1(VALU_DEP_1)
	s_or_b32 exec_lo, exec_lo, s12
	v_mul_f32_e32 v3, v10, v9
	s_delay_alu instid0(VALU_DEP_1) | instskip(NEXT) | instid1(VALU_DEP_1)
	v_and_b32_e32 v2, 0x7f800000, v3
	v_cmp_ne_u32_e64 s0, 0x7f800000, v2
                                        ; implicit-def: $vgpr2
	s_delay_alu instid0(VALU_DEP_1) | instskip(NEXT) | instid1(SALU_CYCLE_1)
	s_and_saveexec_b32 s12, s0
	s_xor_b32 s0, exec_lo, s12
; %bb.1454:                             ;   in Loop: Header=BB386_808 Depth=1
	v_bfe_u32 v2, v3, 16, 1
	s_delay_alu instid0(VALU_DEP_1)
	v_add3_u32 v2, v3, v2, 0x7fff
                                        ; implicit-def: $vgpr3
; %bb.1455:                             ;   in Loop: Header=BB386_808 Depth=1
	s_and_not1_saveexec_b32 s12, s0
; %bb.1456:                             ;   in Loop: Header=BB386_808 Depth=1
	v_and_b32_e32 v2, 0xffff, v3
	v_or_b32_e32 v9, 0x10000, v3
	s_delay_alu instid0(VALU_DEP_2) | instskip(NEXT) | instid1(VALU_DEP_1)
	v_cmp_eq_u32_e64 s0, 0, v2
	v_cndmask_b32_e64 v2, v9, v3, s0
; %bb.1457:                             ;   in Loop: Header=BB386_808 Depth=1
	s_or_b32 exec_lo, exec_lo, s12
	v_lshrrev_b32_e32 v8, 16, v8
	v_lshrrev_b32_e32 v9, 16, v150
	;; [unrolled: 1-line block ×8, first 2 shown]
	s_and_saveexec_b32 s12, vcc_lo
	s_cbranch_execz .LBB386_1459
; %bb.1458:                             ;   in Loop: Header=BB386_808 Depth=1
	v_cmp_lt_i32_e64 s0, v23, v83
	s_delay_alu instid0(VALU_DEP_1) | instskip(SKIP_1) | instid1(VALU_DEP_1)
	v_cndmask_b32_e64 v146, 0, v146, s0
	v_cmp_lt_i32_e64 s0, v66, v83
	v_cndmask_b32_e64 v147, 0, v147, s0
	v_cmp_lt_i32_e64 s0, v65, v83
	s_delay_alu instid0(VALU_DEP_1) | instskip(SKIP_1) | instid1(VALU_DEP_1)
	v_cndmask_b32_e64 v148, 0, v148, s0
	v_cmp_lt_i32_e64 s0, v55, v83
	v_cndmask_b32_e64 v11, 0, v11, s0
	;; [unrolled: 5-line block ×4, first 2 shown]
.LBB386_1459:                           ;   in Loop: Header=BB386_808 Depth=1
	s_or_b32 exec_lo, exec_lo, s12
	v_lshlrev_b32_e32 v146, 16, v146
	s_delay_alu instid0(VALU_DEP_1) | instskip(NEXT) | instid1(VALU_DEP_1)
	v_mul_f32_e32 v149, v67, v146
	v_and_b32_e32 v146, 0x7f800000, v149
	s_delay_alu instid0(VALU_DEP_1) | instskip(NEXT) | instid1(VALU_DEP_1)
	v_cmp_ne_u32_e64 s0, 0x7f800000, v146
                                        ; implicit-def: $vgpr146
	s_and_saveexec_b32 s12, s0
	s_delay_alu instid0(SALU_CYCLE_1)
	s_xor_b32 s0, exec_lo, s12
; %bb.1460:                             ;   in Loop: Header=BB386_808 Depth=1
	v_bfe_u32 v146, v149, 16, 1
	s_delay_alu instid0(VALU_DEP_1)
	v_add3_u32 v146, v149, v146, 0x7fff
                                        ; implicit-def: $vgpr149
; %bb.1461:                             ;   in Loop: Header=BB386_808 Depth=1
	s_and_not1_saveexec_b32 s12, s0
; %bb.1462:                             ;   in Loop: Header=BB386_808 Depth=1
	v_and_b32_e32 v146, 0xffff, v149
	v_or_b32_e32 v150, 0x10000, v149
	s_delay_alu instid0(VALU_DEP_2) | instskip(NEXT) | instid1(VALU_DEP_1)
	v_cmp_eq_u32_e64 s0, 0, v146
	v_cndmask_b32_e64 v146, v150, v149, s0
; %bb.1463:                             ;   in Loop: Header=BB386_808 Depth=1
	s_or_b32 exec_lo, exec_lo, s12
	v_lshlrev_b32_e32 v147, 16, v147
	s_delay_alu instid0(VALU_DEP_1) | instskip(NEXT) | instid1(VALU_DEP_1)
	v_mul_f32_e32 v149, v68, v147
	v_and_b32_e32 v147, 0x7f800000, v149
	s_delay_alu instid0(VALU_DEP_1) | instskip(NEXT) | instid1(VALU_DEP_1)
	v_cmp_ne_u32_e64 s0, 0x7f800000, v147
                                        ; implicit-def: $vgpr147
	s_and_saveexec_b32 s12, s0
	s_delay_alu instid0(SALU_CYCLE_1)
	s_xor_b32 s0, exec_lo, s12
; %bb.1464:                             ;   in Loop: Header=BB386_808 Depth=1
	v_bfe_u32 v147, v149, 16, 1
	s_delay_alu instid0(VALU_DEP_1)
	v_add3_u32 v147, v149, v147, 0x7fff
                                        ; implicit-def: $vgpr149
; %bb.1465:                             ;   in Loop: Header=BB386_808 Depth=1
	s_and_not1_saveexec_b32 s12, s0
; %bb.1466:                             ;   in Loop: Header=BB386_808 Depth=1
	v_and_b32_e32 v147, 0xffff, v149
	v_or_b32_e32 v150, 0x10000, v149
	s_delay_alu instid0(VALU_DEP_2) | instskip(NEXT) | instid1(VALU_DEP_1)
	v_cmp_eq_u32_e64 s0, 0, v147
	v_cndmask_b32_e64 v147, v150, v149, s0
; %bb.1467:                             ;   in Loop: Header=BB386_808 Depth=1
	s_or_b32 exec_lo, exec_lo, s12
	v_lshlrev_b32_e32 v148, 16, v148
	s_delay_alu instid0(VALU_DEP_1) | instskip(NEXT) | instid1(VALU_DEP_1)
	v_mul_f32_e32 v149, v69, v148
	v_and_b32_e32 v148, 0x7f800000, v149
	s_delay_alu instid0(VALU_DEP_1) | instskip(NEXT) | instid1(VALU_DEP_1)
	v_cmp_ne_u32_e64 s0, 0x7f800000, v148
                                        ; implicit-def: $vgpr148
	s_and_saveexec_b32 s12, s0
	s_delay_alu instid0(SALU_CYCLE_1)
	s_xor_b32 s0, exec_lo, s12
; %bb.1468:                             ;   in Loop: Header=BB386_808 Depth=1
	v_bfe_u32 v148, v149, 16, 1
	s_delay_alu instid0(VALU_DEP_1)
	v_add3_u32 v148, v149, v148, 0x7fff
                                        ; implicit-def: $vgpr149
; %bb.1469:                             ;   in Loop: Header=BB386_808 Depth=1
	s_and_not1_saveexec_b32 s12, s0
; %bb.1470:                             ;   in Loop: Header=BB386_808 Depth=1
	v_and_b32_e32 v148, 0xffff, v149
	v_or_b32_e32 v150, 0x10000, v149
	s_delay_alu instid0(VALU_DEP_2) | instskip(NEXT) | instid1(VALU_DEP_1)
	v_cmp_eq_u32_e64 s0, 0, v148
	v_cndmask_b32_e64 v148, v150, v149, s0
; %bb.1471:                             ;   in Loop: Header=BB386_808 Depth=1
	s_or_b32 exec_lo, exec_lo, s12
	v_lshlrev_b32_e32 v11, 16, v11
	s_delay_alu instid0(VALU_DEP_1) | instskip(NEXT) | instid1(VALU_DEP_1)
	v_mul_f32_e32 v11, v70, v11
	v_and_b32_e32 v149, 0x7f800000, v11
	s_delay_alu instid0(VALU_DEP_1) | instskip(NEXT) | instid1(VALU_DEP_1)
	v_cmp_ne_u32_e64 s0, 0x7f800000, v149
                                        ; implicit-def: $vgpr149
	s_and_saveexec_b32 s12, s0
	s_delay_alu instid0(SALU_CYCLE_1)
	s_xor_b32 s0, exec_lo, s12
; %bb.1472:                             ;   in Loop: Header=BB386_808 Depth=1
	v_bfe_u32 v149, v11, 16, 1
	s_delay_alu instid0(VALU_DEP_1)
	v_add3_u32 v149, v11, v149, 0x7fff
                                        ; implicit-def: $vgpr11
; %bb.1473:                             ;   in Loop: Header=BB386_808 Depth=1
	s_and_not1_saveexec_b32 s12, s0
; %bb.1474:                             ;   in Loop: Header=BB386_808 Depth=1
	v_and_b32_e32 v149, 0xffff, v11
	v_or_b32_e32 v150, 0x10000, v11
	s_delay_alu instid0(VALU_DEP_2) | instskip(NEXT) | instid1(VALU_DEP_1)
	v_cmp_eq_u32_e64 s0, 0, v149
	v_cndmask_b32_e64 v149, v150, v11, s0
; %bb.1475:                             ;   in Loop: Header=BB386_808 Depth=1
	s_or_b32 exec_lo, exec_lo, s12
	v_lshlrev_b32_e32 v9, 16, v9
                                        ; implicit-def: $vgpr150
	s_delay_alu instid0(VALU_DEP_1) | instskip(NEXT) | instid1(VALU_DEP_1)
	v_mul_f32_e32 v9, v71, v9
	v_and_b32_e32 v11, 0x7f800000, v9
	s_delay_alu instid0(VALU_DEP_1) | instskip(NEXT) | instid1(VALU_DEP_1)
	v_cmp_ne_u32_e64 s0, 0x7f800000, v11
	s_and_saveexec_b32 s12, s0
	s_delay_alu instid0(SALU_CYCLE_1)
	s_xor_b32 s0, exec_lo, s12
; %bb.1476:                             ;   in Loop: Header=BB386_808 Depth=1
	v_bfe_u32 v11, v9, 16, 1
	s_delay_alu instid0(VALU_DEP_1)
	v_add3_u32 v150, v9, v11, 0x7fff
                                        ; implicit-def: $vgpr9
; %bb.1477:                             ;   in Loop: Header=BB386_808 Depth=1
	s_and_not1_saveexec_b32 s12, s0
; %bb.1478:                             ;   in Loop: Header=BB386_808 Depth=1
	v_and_b32_e32 v11, 0xffff, v9
	v_or_b32_e32 v150, 0x10000, v9
	s_delay_alu instid0(VALU_DEP_2) | instskip(NEXT) | instid1(VALU_DEP_1)
	v_cmp_eq_u32_e64 s0, 0, v11
	v_cndmask_b32_e64 v150, v150, v9, s0
; %bb.1479:                             ;   in Loop: Header=BB386_808 Depth=1
	s_or_b32 exec_lo, exec_lo, s12
	v_lshlrev_b32_e32 v8, 16, v8
                                        ; implicit-def: $vgpr151
	s_delay_alu instid0(VALU_DEP_1) | instskip(NEXT) | instid1(VALU_DEP_1)
	v_mul_f32_e32 v8, v80, v8
	v_and_b32_e32 v9, 0x7f800000, v8
	s_delay_alu instid0(VALU_DEP_1) | instskip(NEXT) | instid1(VALU_DEP_1)
	v_cmp_ne_u32_e64 s0, 0x7f800000, v9
	s_and_saveexec_b32 s12, s0
	s_delay_alu instid0(SALU_CYCLE_1)
	s_xor_b32 s0, exec_lo, s12
; %bb.1480:                             ;   in Loop: Header=BB386_808 Depth=1
	v_bfe_u32 v9, v8, 16, 1
	s_delay_alu instid0(VALU_DEP_1)
	v_add3_u32 v151, v8, v9, 0x7fff
                                        ; implicit-def: $vgpr8
; %bb.1481:                             ;   in Loop: Header=BB386_808 Depth=1
	s_and_not1_saveexec_b32 s12, s0
; %bb.1482:                             ;   in Loop: Header=BB386_808 Depth=1
	v_and_b32_e32 v9, 0xffff, v8
	v_or_b32_e32 v11, 0x10000, v8
	s_delay_alu instid0(VALU_DEP_2) | instskip(NEXT) | instid1(VALU_DEP_1)
	v_cmp_eq_u32_e64 s0, 0, v9
	v_cndmask_b32_e64 v151, v11, v8, s0
; %bb.1483:                             ;   in Loop: Header=BB386_808 Depth=1
	s_or_b32 exec_lo, exec_lo, s12
	v_lshlrev_b32_e32 v3, 16, v3
                                        ; implicit-def: $vgpr160
	s_delay_alu instid0(VALU_DEP_1) | instskip(NEXT) | instid1(VALU_DEP_1)
	v_mul_f32_e32 v3, v81, v3
	v_and_b32_e32 v8, 0x7f800000, v3
	s_delay_alu instid0(VALU_DEP_1) | instskip(NEXT) | instid1(VALU_DEP_1)
	v_cmp_ne_u32_e64 s0, 0x7f800000, v8
	s_and_saveexec_b32 s12, s0
	s_delay_alu instid0(SALU_CYCLE_1)
	s_xor_b32 s0, exec_lo, s12
; %bb.1484:                             ;   in Loop: Header=BB386_808 Depth=1
	v_bfe_u32 v8, v3, 16, 1
	s_delay_alu instid0(VALU_DEP_1)
	v_add3_u32 v160, v3, v8, 0x7fff
                                        ; implicit-def: $vgpr3
; %bb.1485:                             ;   in Loop: Header=BB386_808 Depth=1
	s_and_not1_saveexec_b32 s12, s0
; %bb.1486:                             ;   in Loop: Header=BB386_808 Depth=1
	v_and_b32_e32 v8, 0xffff, v3
	v_or_b32_e32 v9, 0x10000, v3
	s_delay_alu instid0(VALU_DEP_2) | instskip(NEXT) | instid1(VALU_DEP_1)
	v_cmp_eq_u32_e64 s0, 0, v8
	v_cndmask_b32_e64 v160, v9, v3, s0
; %bb.1487:                             ;   in Loop: Header=BB386_808 Depth=1
	s_or_b32 exec_lo, exec_lo, s12
	v_lshlrev_b32_e32 v2, 16, v2
                                        ; implicit-def: $vgpr161
	s_delay_alu instid0(VALU_DEP_1) | instskip(NEXT) | instid1(VALU_DEP_1)
	v_mul_f32_e32 v2, v97, v2
	v_and_b32_e32 v3, 0x7f800000, v2
	s_delay_alu instid0(VALU_DEP_1) | instskip(NEXT) | instid1(VALU_DEP_1)
	v_cmp_ne_u32_e64 s0, 0x7f800000, v3
	s_and_saveexec_b32 s12, s0
	s_delay_alu instid0(SALU_CYCLE_1)
	s_xor_b32 s0, exec_lo, s12
; %bb.1488:                             ;   in Loop: Header=BB386_808 Depth=1
	v_bfe_u32 v3, v2, 16, 1
	s_delay_alu instid0(VALU_DEP_1)
	v_add3_u32 v161, v2, v3, 0x7fff
                                        ; implicit-def: $vgpr2
; %bb.1489:                             ;   in Loop: Header=BB386_808 Depth=1
	s_and_not1_saveexec_b32 s12, s0
; %bb.1490:                             ;   in Loop: Header=BB386_808 Depth=1
	v_and_b32_e32 v3, 0xffff, v2
	v_or_b32_e32 v8, 0x10000, v2
	s_delay_alu instid0(VALU_DEP_2) | instskip(NEXT) | instid1(VALU_DEP_1)
	v_cmp_eq_u32_e64 s0, 0, v3
	v_cndmask_b32_e64 v161, v8, v2, s0
; %bb.1491:                             ;   in Loop: Header=BB386_808 Depth=1
	s_or_b32 exec_lo, exec_lo, s12
	flat_load_b64 v[2:3], v[0:1] offset:1280
	s_mov_b32 s12, exec_lo
	s_waitcnt vmcnt(0) lgkmcnt(0)
	v_dual_mov_b32 v8, 0 :: v_dual_and_b32 v9, 0xff, v2
	s_delay_alu instid0(VALU_DEP_1)
	v_cmpx_ne_u16_e32 0, v9
	s_cbranch_execz .LBB386_1499
; %bb.1492:                             ;   in Loop: Header=BB386_808 Depth=1
	v_bfrev_b32_e32 v8, 1
	s_mov_b32 s13, exec_lo
	v_cmpx_ne_u16_e32 0x80, v9
	s_cbranch_execz .LBB386_1498
; %bb.1493:                             ;   in Loop: Header=BB386_808 Depth=1
	v_and_b32_e32 v9, 0x7f, v2
	v_mov_b32_e32 v8, 0x7f800001
	s_mov_b32 s15, exec_lo
	s_delay_alu instid0(VALU_DEP_2)
	v_cmpx_ne_u32_e32 0x7f, v9
	s_cbranch_execz .LBB386_1497
; %bb.1494:                             ;   in Loop: Header=BB386_808 Depth=1
	v_lshrrev_b32_e32 v11, 3, v9
	v_cmp_gt_u32_e64 s0, 8, v9
	v_dual_mov_b32 v9, v3 :: v_dual_mov_b32 v8, v2
	s_delay_alu instid0(VALU_DEP_2)
	s_and_saveexec_b32 s16, s0
; %bb.1495:                             ;   in Loop: Header=BB386_808 Depth=1
	v_and_b32_e32 v8, 7, v2
	s_delay_alu instid0(VALU_DEP_1) | instskip(NEXT) | instid1(VALU_DEP_1)
	v_clz_i32_u32_e32 v8, v8
	v_min_u32_e32 v11, 32, v8
	s_delay_alu instid0(VALU_DEP_1) | instskip(SKIP_1) | instid1(VALU_DEP_2)
	v_subrev_nc_u32_e32 v8, 28, v11
	v_sub_nc_u32_e32 v11, 29, v11
	v_lshlrev_b64 v[8:9], v8, v[2:3]
; %bb.1496:                             ;   in Loop: Header=BB386_808 Depth=1
	s_or_b32 exec_lo, exec_lo, s16
	s_delay_alu instid0(VALU_DEP_1) | instskip(SKIP_2) | instid1(VALU_DEP_3)
	v_lshlrev_b32_e32 v8, 20, v8
	v_lshlrev_b32_e32 v9, 24, v2
	v_lshl_add_u32 v11, v11, 23, 0x3c000000
	v_and_b32_e32 v8, 0x700000, v8
	s_delay_alu instid0(VALU_DEP_3) | instskip(NEXT) | instid1(VALU_DEP_1)
	v_and_b32_e32 v9, 0x80000000, v9
	v_or3_b32 v8, v8, v9, v11
.LBB386_1497:                           ;   in Loop: Header=BB386_808 Depth=1
	s_or_b32 exec_lo, exec_lo, s15
.LBB386_1498:                           ;   in Loop: Header=BB386_808 Depth=1
	s_delay_alu instid0(SALU_CYCLE_1)
	s_or_b32 exec_lo, exec_lo, s13
.LBB386_1499:                           ;   in Loop: Header=BB386_808 Depth=1
	s_delay_alu instid0(SALU_CYCLE_1) | instskip(NEXT) | instid1(VALU_DEP_1)
	s_or_b32 exec_lo, exec_lo, s12
	v_mul_f32_e32 v8, v10, v8
                                        ; implicit-def: $vgpr162
	s_delay_alu instid0(VALU_DEP_1) | instskip(NEXT) | instid1(VALU_DEP_1)
	v_and_b32_e32 v9, 0x7f800000, v8
	v_cmp_ne_u32_e64 s0, 0x7f800000, v9
	s_delay_alu instid0(VALU_DEP_1) | instskip(NEXT) | instid1(SALU_CYCLE_1)
	s_and_saveexec_b32 s12, s0
	s_xor_b32 s0, exec_lo, s12
; %bb.1500:                             ;   in Loop: Header=BB386_808 Depth=1
	v_bfe_u32 v9, v8, 16, 1
	s_delay_alu instid0(VALU_DEP_1)
	v_add3_u32 v162, v8, v9, 0x7fff
                                        ; implicit-def: $vgpr8
; %bb.1501:                             ;   in Loop: Header=BB386_808 Depth=1
	s_and_not1_saveexec_b32 s12, s0
; %bb.1502:                             ;   in Loop: Header=BB386_808 Depth=1
	v_and_b32_e32 v9, 0xffff, v8
	v_or_b32_e32 v11, 0x10000, v8
	s_delay_alu instid0(VALU_DEP_2) | instskip(NEXT) | instid1(VALU_DEP_1)
	v_cmp_eq_u32_e64 s0, 0, v9
	v_cndmask_b32_e64 v162, v11, v8, s0
; %bb.1503:                             ;   in Loop: Header=BB386_808 Depth=1
	s_or_b32 exec_lo, exec_lo, s12
	v_lshrrev_b16 v9, 8, v2
	v_mov_b32_e32 v8, 0
	s_mov_b32 s12, exec_lo
	s_delay_alu instid0(VALU_DEP_2)
	v_cmpx_ne_u16_e32 0, v9
	s_cbranch_execz .LBB386_1511
; %bb.1504:                             ;   in Loop: Header=BB386_808 Depth=1
	v_bfrev_b32_e32 v8, 1
	s_mov_b32 s13, exec_lo
	v_cmpx_ne_u16_e32 0x80, v9
	s_cbranch_execz .LBB386_1510
; %bb.1505:                             ;   in Loop: Header=BB386_808 Depth=1
	v_and_b32_e32 v11, 0xffff, v9
	v_mov_b32_e32 v8, 0x7f800001
	s_mov_b32 s15, exec_lo
	s_delay_alu instid0(VALU_DEP_2) | instskip(NEXT) | instid1(VALU_DEP_1)
	v_and_b32_e32 v9, 0x7f, v11
	v_cmpx_ne_u32_e32 0x7f, v9
	s_cbranch_execz .LBB386_1509
; %bb.1506:                             ;   in Loop: Header=BB386_808 Depth=1
	v_and_b32_e32 v11, 7, v11
	v_lshrrev_b32_e32 v8, 3, v9
	s_mov_b32 s16, exec_lo
	v_cmpx_gt_u32_e32 8, v9
; %bb.1507:                             ;   in Loop: Header=BB386_808 Depth=1
	s_delay_alu instid0(VALU_DEP_3) | instskip(NEXT) | instid1(VALU_DEP_1)
	v_clz_i32_u32_e32 v8, v11
	v_min_u32_e32 v8, 32, v8
	s_delay_alu instid0(VALU_DEP_1) | instskip(SKIP_1) | instid1(VALU_DEP_2)
	v_subrev_nc_u32_e32 v9, 28, v8
	v_sub_nc_u32_e32 v8, 29, v8
	v_lshlrev_b64 v[163:164], v9, v[11:12]
	s_delay_alu instid0(VALU_DEP_1)
	v_and_b32_e32 v11, 7, v163
; %bb.1508:                             ;   in Loop: Header=BB386_808 Depth=1
	s_or_b32 exec_lo, exec_lo, s16
	v_lshlrev_b32_e32 v9, 16, v2
	s_delay_alu instid0(VALU_DEP_2) | instskip(SKIP_1) | instid1(VALU_DEP_3)
	v_lshlrev_b32_e32 v11, 20, v11
	v_lshl_add_u32 v8, v8, 23, 0x3c000000
	v_and_b32_e32 v9, 0x80000000, v9
	s_delay_alu instid0(VALU_DEP_1)
	v_or3_b32 v8, v11, v9, v8
.LBB386_1509:                           ;   in Loop: Header=BB386_808 Depth=1
	s_or_b32 exec_lo, exec_lo, s15
.LBB386_1510:                           ;   in Loop: Header=BB386_808 Depth=1
	s_delay_alu instid0(SALU_CYCLE_1)
	s_or_b32 exec_lo, exec_lo, s13
.LBB386_1511:                           ;   in Loop: Header=BB386_808 Depth=1
	s_delay_alu instid0(SALU_CYCLE_1) | instskip(NEXT) | instid1(VALU_DEP_1)
	s_or_b32 exec_lo, exec_lo, s12
	v_mul_f32_e32 v8, v10, v8
                                        ; implicit-def: $vgpr163
	s_delay_alu instid0(VALU_DEP_1) | instskip(NEXT) | instid1(VALU_DEP_1)
	v_and_b32_e32 v9, 0x7f800000, v8
	v_cmp_ne_u32_e64 s0, 0x7f800000, v9
	s_delay_alu instid0(VALU_DEP_1) | instskip(NEXT) | instid1(SALU_CYCLE_1)
	s_and_saveexec_b32 s12, s0
	s_xor_b32 s0, exec_lo, s12
; %bb.1512:                             ;   in Loop: Header=BB386_808 Depth=1
	v_bfe_u32 v9, v8, 16, 1
	s_delay_alu instid0(VALU_DEP_1)
	v_add3_u32 v163, v8, v9, 0x7fff
                                        ; implicit-def: $vgpr8
; %bb.1513:                             ;   in Loop: Header=BB386_808 Depth=1
	s_and_not1_saveexec_b32 s12, s0
; %bb.1514:                             ;   in Loop: Header=BB386_808 Depth=1
	v_and_b32_e32 v9, 0xffff, v8
	v_or_b32_e32 v11, 0x10000, v8
	s_delay_alu instid0(VALU_DEP_2) | instskip(NEXT) | instid1(VALU_DEP_1)
	v_cmp_eq_u32_e64 s0, 0, v9
	v_cndmask_b32_e64 v163, v11, v8, s0
; %bb.1515:                             ;   in Loop: Header=BB386_808 Depth=1
	s_or_b32 exec_lo, exec_lo, s12
	v_lshrrev_b32_e32 v8, 16, v2
	v_mov_b32_e32 v9, 0
	s_mov_b32 s12, exec_lo
	s_delay_alu instid0(VALU_DEP_2) | instskip(NEXT) | instid1(VALU_DEP_1)
	v_and_b32_e32 v11, 0xff, v8
	v_cmpx_ne_u16_e32 0, v11
	s_cbranch_execz .LBB386_1523
; %bb.1516:                             ;   in Loop: Header=BB386_808 Depth=1
	v_bfrev_b32_e32 v9, 1
	s_mov_b32 s13, exec_lo
	v_cmpx_ne_u16_e32 0x80, v11
	s_cbranch_execz .LBB386_1522
; %bb.1517:                             ;   in Loop: Header=BB386_808 Depth=1
	v_bfe_u32 v164, v2, 16, 7
	v_mov_b32_e32 v9, 0x7f800001
	s_mov_b32 s15, exec_lo
	s_delay_alu instid0(VALU_DEP_2)
	v_cmpx_ne_u32_e32 0x7f, v164
	s_cbranch_execz .LBB386_1521
; %bb.1518:                             ;   in Loop: Header=BB386_808 Depth=1
	v_and_b32_e32 v11, 7, v8
	v_lshrrev_b32_e32 v9, 3, v164
	s_mov_b32 s16, exec_lo
	v_cmpx_gt_u32_e32 8, v164
; %bb.1519:                             ;   in Loop: Header=BB386_808 Depth=1
	s_delay_alu instid0(VALU_DEP_3) | instskip(NEXT) | instid1(VALU_DEP_1)
	v_clz_i32_u32_e32 v9, v11
	v_min_u32_e32 v9, 32, v9
	s_delay_alu instid0(VALU_DEP_1) | instskip(SKIP_1) | instid1(VALU_DEP_2)
	v_subrev_nc_u32_e32 v164, 28, v9
	v_sub_nc_u32_e32 v9, 29, v9
	v_lshlrev_b64 v[164:165], v164, v[11:12]
	s_delay_alu instid0(VALU_DEP_1)
	v_and_b32_e32 v11, 7, v164
; %bb.1520:                             ;   in Loop: Header=BB386_808 Depth=1
	s_or_b32 exec_lo, exec_lo, s16
	v_lshlrev_b32_e32 v8, 24, v8
	s_delay_alu instid0(VALU_DEP_2) | instskip(SKIP_1) | instid1(VALU_DEP_3)
	v_lshlrev_b32_e32 v11, 20, v11
	v_lshl_add_u32 v9, v9, 23, 0x3c000000
	v_and_b32_e32 v8, 0x80000000, v8
	s_delay_alu instid0(VALU_DEP_1)
	v_or3_b32 v9, v11, v8, v9
.LBB386_1521:                           ;   in Loop: Header=BB386_808 Depth=1
	s_or_b32 exec_lo, exec_lo, s15
.LBB386_1522:                           ;   in Loop: Header=BB386_808 Depth=1
	s_delay_alu instid0(SALU_CYCLE_1)
	s_or_b32 exec_lo, exec_lo, s13
.LBB386_1523:                           ;   in Loop: Header=BB386_808 Depth=1
	s_delay_alu instid0(SALU_CYCLE_1) | instskip(NEXT) | instid1(VALU_DEP_1)
	s_or_b32 exec_lo, exec_lo, s12
	v_mul_f32_e32 v8, v10, v9
                                        ; implicit-def: $vgpr164
	s_delay_alu instid0(VALU_DEP_1) | instskip(NEXT) | instid1(VALU_DEP_1)
	v_and_b32_e32 v9, 0x7f800000, v8
	v_cmp_ne_u32_e64 s0, 0x7f800000, v9
	s_delay_alu instid0(VALU_DEP_1) | instskip(NEXT) | instid1(SALU_CYCLE_1)
	s_and_saveexec_b32 s12, s0
	s_xor_b32 s0, exec_lo, s12
; %bb.1524:                             ;   in Loop: Header=BB386_808 Depth=1
	v_bfe_u32 v9, v8, 16, 1
	s_delay_alu instid0(VALU_DEP_1)
	v_add3_u32 v164, v8, v9, 0x7fff
                                        ; implicit-def: $vgpr8
; %bb.1525:                             ;   in Loop: Header=BB386_808 Depth=1
	s_and_not1_saveexec_b32 s12, s0
; %bb.1526:                             ;   in Loop: Header=BB386_808 Depth=1
	v_and_b32_e32 v9, 0xffff, v8
	v_or_b32_e32 v11, 0x10000, v8
	s_delay_alu instid0(VALU_DEP_2) | instskip(NEXT) | instid1(VALU_DEP_1)
	v_cmp_eq_u32_e64 s0, 0, v9
	v_cndmask_b32_e64 v164, v11, v8, s0
; %bb.1527:                             ;   in Loop: Header=BB386_808 Depth=1
	s_or_b32 exec_lo, exec_lo, s12
	v_mov_b32_e32 v9, 0
	s_mov_b32 s12, exec_lo
	v_cmpx_lt_u32_e32 0xffffff, v2
	s_cbranch_execz .LBB386_1535
; %bb.1528:                             ;   in Loop: Header=BB386_808 Depth=1
	v_lshrrev_b32_e32 v8, 24, v2
	v_bfrev_b32_e32 v9, 1
	s_mov_b32 s13, exec_lo
	s_delay_alu instid0(VALU_DEP_2)
	v_cmpx_ne_u32_e32 0x80, v8
	s_cbranch_execz .LBB386_1534
; %bb.1529:                             ;   in Loop: Header=BB386_808 Depth=1
	v_bfe_u32 v165, v2, 24, 7
	v_mov_b32_e32 v9, 0x7f800001
	s_mov_b32 s15, exec_lo
	s_delay_alu instid0(VALU_DEP_2)
	v_cmpx_ne_u32_e32 0x7f, v165
	s_cbranch_execz .LBB386_1533
; %bb.1530:                             ;   in Loop: Header=BB386_808 Depth=1
	v_and_b32_e32 v11, 7, v8
	v_lshrrev_b32_e32 v9, 3, v165
	s_mov_b32 s16, exec_lo
	v_cmpx_gt_u32_e32 8, v165
; %bb.1531:                             ;   in Loop: Header=BB386_808 Depth=1
	s_delay_alu instid0(VALU_DEP_3) | instskip(NEXT) | instid1(VALU_DEP_1)
	v_clz_i32_u32_e32 v9, v11
	v_min_u32_e32 v9, 32, v9
	s_delay_alu instid0(VALU_DEP_1) | instskip(SKIP_1) | instid1(VALU_DEP_2)
	v_subrev_nc_u32_e32 v165, 28, v9
	v_sub_nc_u32_e32 v9, 29, v9
	v_lshlrev_b64 v[165:166], v165, v[11:12]
	s_delay_alu instid0(VALU_DEP_1)
	v_and_b32_e32 v11, 7, v165
; %bb.1532:                             ;   in Loop: Header=BB386_808 Depth=1
	s_or_b32 exec_lo, exec_lo, s16
	v_lshlrev_b32_e32 v8, 24, v8
	s_delay_alu instid0(VALU_DEP_2) | instskip(SKIP_1) | instid1(VALU_DEP_3)
	v_lshlrev_b32_e32 v11, 20, v11
	v_lshl_add_u32 v9, v9, 23, 0x3c000000
	v_and_b32_e32 v8, 0x80000000, v8
	s_delay_alu instid0(VALU_DEP_1)
	v_or3_b32 v9, v11, v8, v9
.LBB386_1533:                           ;   in Loop: Header=BB386_808 Depth=1
	s_or_b32 exec_lo, exec_lo, s15
.LBB386_1534:                           ;   in Loop: Header=BB386_808 Depth=1
	s_delay_alu instid0(SALU_CYCLE_1)
	s_or_b32 exec_lo, exec_lo, s13
.LBB386_1535:                           ;   in Loop: Header=BB386_808 Depth=1
	s_delay_alu instid0(SALU_CYCLE_1) | instskip(NEXT) | instid1(VALU_DEP_1)
	s_or_b32 exec_lo, exec_lo, s12
	v_mul_f32_e32 v8, v10, v9
                                        ; implicit-def: $vgpr165
	s_delay_alu instid0(VALU_DEP_1) | instskip(NEXT) | instid1(VALU_DEP_1)
	v_and_b32_e32 v9, 0x7f800000, v8
	v_cmp_ne_u32_e64 s0, 0x7f800000, v9
	s_delay_alu instid0(VALU_DEP_1) | instskip(NEXT) | instid1(SALU_CYCLE_1)
	s_and_saveexec_b32 s12, s0
	s_xor_b32 s0, exec_lo, s12
; %bb.1536:                             ;   in Loop: Header=BB386_808 Depth=1
	v_bfe_u32 v9, v8, 16, 1
	s_delay_alu instid0(VALU_DEP_1)
	v_add3_u32 v165, v8, v9, 0x7fff
                                        ; implicit-def: $vgpr8
; %bb.1537:                             ;   in Loop: Header=BB386_808 Depth=1
	s_and_not1_saveexec_b32 s12, s0
; %bb.1538:                             ;   in Loop: Header=BB386_808 Depth=1
	v_and_b32_e32 v9, 0xffff, v8
	v_or_b32_e32 v11, 0x10000, v8
	s_delay_alu instid0(VALU_DEP_2) | instskip(NEXT) | instid1(VALU_DEP_1)
	v_cmp_eq_u32_e64 s0, 0, v9
	v_cndmask_b32_e64 v165, v11, v8, s0
; %bb.1539:                             ;   in Loop: Header=BB386_808 Depth=1
	s_or_b32 exec_lo, exec_lo, s12
	v_dual_mov_b32 v8, 0 :: v_dual_and_b32 v9, 0xff, v3
	v_mov_b32_e32 v11, v3
	s_mov_b32 s12, exec_lo
	s_delay_alu instid0(VALU_DEP_2)
	v_cmpx_ne_u16_e32 0, v9
	s_cbranch_execz .LBB386_1547
; %bb.1540:                             ;   in Loop: Header=BB386_808 Depth=1
	v_bfrev_b32_e32 v8, 1
	s_mov_b32 s13, exec_lo
	v_cmpx_ne_u16_e32 0x80, v9
	s_cbranch_execz .LBB386_1546
; %bb.1541:                             ;   in Loop: Header=BB386_808 Depth=1
	v_and_b32_e32 v9, 0x7f, v3
	v_mov_b32_e32 v8, 0x7f800001
	s_mov_b32 s15, exec_lo
	s_delay_alu instid0(VALU_DEP_2)
	v_cmpx_ne_u32_e32 0x7f, v9
	s_cbranch_execz .LBB386_1545
; %bb.1542:                             ;   in Loop: Header=BB386_808 Depth=1
	v_lshrrev_b32_e32 v166, 3, v9
	v_cmp_gt_u32_e64 s0, 8, v9
	v_dual_mov_b32 v8, v11 :: v_dual_mov_b32 v9, v12
	s_delay_alu instid0(VALU_DEP_2)
	s_and_saveexec_b32 s16, s0
; %bb.1543:                             ;   in Loop: Header=BB386_808 Depth=1
	v_and_b32_e32 v8, 7, v3
	s_delay_alu instid0(VALU_DEP_1) | instskip(NEXT) | instid1(VALU_DEP_1)
	v_clz_i32_u32_e32 v8, v8
	v_min_u32_e32 v166, 32, v8
	s_delay_alu instid0(VALU_DEP_1) | instskip(SKIP_1) | instid1(VALU_DEP_2)
	v_subrev_nc_u32_e32 v8, 28, v166
	v_sub_nc_u32_e32 v166, 29, v166
	v_lshlrev_b64 v[8:9], v8, v[11:12]
; %bb.1544:                             ;   in Loop: Header=BB386_808 Depth=1
	s_or_b32 exec_lo, exec_lo, s16
	s_delay_alu instid0(VALU_DEP_1) | instskip(SKIP_2) | instid1(VALU_DEP_3)
	v_lshlrev_b32_e32 v8, 20, v8
	v_lshlrev_b32_e32 v9, 24, v11
	v_lshl_add_u32 v166, v166, 23, 0x3c000000
	v_and_b32_e32 v8, 0x700000, v8
	s_delay_alu instid0(VALU_DEP_3) | instskip(NEXT) | instid1(VALU_DEP_1)
	v_and_b32_e32 v9, 0x80000000, v9
	v_or3_b32 v8, v8, v9, v166
.LBB386_1545:                           ;   in Loop: Header=BB386_808 Depth=1
	s_or_b32 exec_lo, exec_lo, s15
.LBB386_1546:                           ;   in Loop: Header=BB386_808 Depth=1
	s_delay_alu instid0(SALU_CYCLE_1)
	s_or_b32 exec_lo, exec_lo, s13
.LBB386_1547:                           ;   in Loop: Header=BB386_808 Depth=1
	s_delay_alu instid0(SALU_CYCLE_1) | instskip(NEXT) | instid1(VALU_DEP_1)
	s_or_b32 exec_lo, exec_lo, s12
	v_mul_f32_e32 v8, v10, v8
                                        ; implicit-def: $vgpr166
	s_delay_alu instid0(VALU_DEP_1) | instskip(NEXT) | instid1(VALU_DEP_1)
	v_and_b32_e32 v9, 0x7f800000, v8
	v_cmp_ne_u32_e64 s0, 0x7f800000, v9
	s_delay_alu instid0(VALU_DEP_1) | instskip(NEXT) | instid1(SALU_CYCLE_1)
	s_and_saveexec_b32 s12, s0
	s_xor_b32 s0, exec_lo, s12
; %bb.1548:                             ;   in Loop: Header=BB386_808 Depth=1
	v_bfe_u32 v9, v8, 16, 1
	s_delay_alu instid0(VALU_DEP_1)
	v_add3_u32 v166, v8, v9, 0x7fff
                                        ; implicit-def: $vgpr8
; %bb.1549:                             ;   in Loop: Header=BB386_808 Depth=1
	s_and_not1_saveexec_b32 s12, s0
; %bb.1550:                             ;   in Loop: Header=BB386_808 Depth=1
	v_and_b32_e32 v9, 0xffff, v8
	v_or_b32_e32 v166, 0x10000, v8
	s_delay_alu instid0(VALU_DEP_2) | instskip(NEXT) | instid1(VALU_DEP_1)
	v_cmp_eq_u32_e64 s0, 0, v9
	v_cndmask_b32_e64 v166, v166, v8, s0
; %bb.1551:                             ;   in Loop: Header=BB386_808 Depth=1
	s_or_b32 exec_lo, exec_lo, s12
	v_lshrrev_b16 v9, 8, v11
	v_mov_b32_e32 v8, 0
	s_mov_b32 s12, exec_lo
	s_delay_alu instid0(VALU_DEP_2)
	v_cmpx_ne_u16_e32 0, v9
	s_cbranch_execz .LBB386_1559
; %bb.1552:                             ;   in Loop: Header=BB386_808 Depth=1
	v_bfrev_b32_e32 v8, 1
	s_mov_b32 s13, exec_lo
	v_cmpx_ne_u16_e32 0x80, v9
	s_cbranch_execz .LBB386_1558
; %bb.1553:                             ;   in Loop: Header=BB386_808 Depth=1
	v_and_b32_e32 v9, 0xffff, v9
	v_mov_b32_e32 v8, 0x7f800001
	s_mov_b32 s15, exec_lo
	s_delay_alu instid0(VALU_DEP_2) | instskip(NEXT) | instid1(VALU_DEP_1)
	v_and_b32_e32 v176, 0x7f, v9
	v_cmpx_ne_u32_e32 0x7f, v176
	s_cbranch_execz .LBB386_1557
; %bb.1554:                             ;   in Loop: Header=BB386_808 Depth=1
	v_dual_mov_b32 v9, v12 :: v_dual_and_b32 v8, 7, v9
	v_lshrrev_b32_e32 v167, 3, v176
	s_mov_b32 s16, exec_lo
	v_cmpx_gt_u32_e32 8, v176
; %bb.1555:                             ;   in Loop: Header=BB386_808 Depth=1
	s_delay_alu instid0(VALU_DEP_3) | instskip(NEXT) | instid1(VALU_DEP_1)
	v_clz_i32_u32_e32 v167, v8
	v_min_u32_e32 v167, 32, v167
	s_delay_alu instid0(VALU_DEP_1) | instskip(SKIP_1) | instid1(VALU_DEP_2)
	v_subrev_nc_u32_e32 v176, 28, v167
	v_sub_nc_u32_e32 v167, 29, v167
	v_lshlrev_b64 v[8:9], v176, v[8:9]
	s_delay_alu instid0(VALU_DEP_1)
	v_and_b32_e32 v8, 7, v8
; %bb.1556:                             ;   in Loop: Header=BB386_808 Depth=1
	s_or_b32 exec_lo, exec_lo, s16
	v_lshlrev_b32_e32 v9, 16, v11
	s_delay_alu instid0(VALU_DEP_2) | instskip(SKIP_1) | instid1(VALU_DEP_3)
	v_lshlrev_b32_e32 v8, 20, v8
	v_lshl_add_u32 v11, v167, 23, 0x3c000000
	v_and_b32_e32 v9, 0x80000000, v9
	s_delay_alu instid0(VALU_DEP_1)
	v_or3_b32 v8, v8, v9, v11
.LBB386_1557:                           ;   in Loop: Header=BB386_808 Depth=1
	s_or_b32 exec_lo, exec_lo, s15
.LBB386_1558:                           ;   in Loop: Header=BB386_808 Depth=1
	s_delay_alu instid0(SALU_CYCLE_1)
	s_or_b32 exec_lo, exec_lo, s13
.LBB386_1559:                           ;   in Loop: Header=BB386_808 Depth=1
	s_delay_alu instid0(SALU_CYCLE_1) | instskip(NEXT) | instid1(VALU_DEP_1)
	s_or_b32 exec_lo, exec_lo, s12
	v_mul_f32_e32 v9, v10, v8
	s_delay_alu instid0(VALU_DEP_1) | instskip(NEXT) | instid1(VALU_DEP_1)
	v_and_b32_e32 v8, 0x7f800000, v9
	v_cmp_ne_u32_e64 s0, 0x7f800000, v8
                                        ; implicit-def: $vgpr8
	s_delay_alu instid0(VALU_DEP_1) | instskip(NEXT) | instid1(SALU_CYCLE_1)
	s_and_saveexec_b32 s12, s0
	s_xor_b32 s0, exec_lo, s12
; %bb.1560:                             ;   in Loop: Header=BB386_808 Depth=1
	v_bfe_u32 v8, v9, 16, 1
	s_delay_alu instid0(VALU_DEP_1)
	v_add3_u32 v8, v9, v8, 0x7fff
                                        ; implicit-def: $vgpr9
; %bb.1561:                             ;   in Loop: Header=BB386_808 Depth=1
	s_and_not1_saveexec_b32 s12, s0
; %bb.1562:                             ;   in Loop: Header=BB386_808 Depth=1
	v_and_b32_e32 v8, 0xffff, v9
	v_or_b32_e32 v11, 0x10000, v9
	s_delay_alu instid0(VALU_DEP_2) | instskip(NEXT) | instid1(VALU_DEP_1)
	v_cmp_eq_u32_e64 s0, 0, v8
	v_cndmask_b32_e64 v8, v11, v9, s0
; %bb.1563:                             ;   in Loop: Header=BB386_808 Depth=1
	s_or_b32 exec_lo, exec_lo, s12
	v_lshrrev_b32_e32 v9, 16, v3
	v_mov_b32_e32 v11, 0
	s_mov_b32 s12, exec_lo
	s_delay_alu instid0(VALU_DEP_2) | instskip(NEXT) | instid1(VALU_DEP_1)
	v_and_b32_e32 v167, 0xff, v9
	v_cmpx_ne_u16_e64 0, v167
	s_cbranch_execz .LBB386_1571
; %bb.1564:                             ;   in Loop: Header=BB386_808 Depth=1
	v_bfrev_b32_e32 v11, 1
	s_mov_b32 s13, exec_lo
	v_cmpx_ne_u16_e64 0x80, v167
	s_cbranch_execz .LBB386_1570
; %bb.1565:                             ;   in Loop: Header=BB386_808 Depth=1
	v_bfe_u32 v176, v3, 16, 7
	v_mov_b32_e32 v11, 0x7f800001
	s_mov_b32 s15, exec_lo
	s_delay_alu instid0(VALU_DEP_2)
	v_cmpx_ne_u32_e32 0x7f, v176
	s_cbranch_execz .LBB386_1569
; %bb.1566:                             ;   in Loop: Header=BB386_808 Depth=1
	v_and_b32_e32 v11, 7, v9
	v_lshrrev_b32_e32 v167, 3, v176
	s_mov_b32 s16, exec_lo
	v_cmpx_gt_u32_e32 8, v176
; %bb.1567:                             ;   in Loop: Header=BB386_808 Depth=1
	s_delay_alu instid0(VALU_DEP_3) | instskip(NEXT) | instid1(VALU_DEP_1)
	v_clz_i32_u32_e32 v167, v11
	v_min_u32_e32 v167, 32, v167
	s_delay_alu instid0(VALU_DEP_1) | instskip(SKIP_1) | instid1(VALU_DEP_2)
	v_subrev_nc_u32_e32 v176, 28, v167
	v_sub_nc_u32_e32 v167, 29, v167
	v_lshlrev_b64 v[176:177], v176, v[11:12]
	s_delay_alu instid0(VALU_DEP_1)
	v_and_b32_e32 v11, 7, v176
; %bb.1568:                             ;   in Loop: Header=BB386_808 Depth=1
	s_or_b32 exec_lo, exec_lo, s16
	v_lshlrev_b32_e32 v9, 24, v9
	s_delay_alu instid0(VALU_DEP_2) | instskip(SKIP_1) | instid1(VALU_DEP_3)
	v_lshlrev_b32_e32 v11, 20, v11
	v_lshl_add_u32 v167, v167, 23, 0x3c000000
	v_and_b32_e32 v9, 0x80000000, v9
	s_delay_alu instid0(VALU_DEP_1)
	v_or3_b32 v11, v11, v9, v167
.LBB386_1569:                           ;   in Loop: Header=BB386_808 Depth=1
	s_or_b32 exec_lo, exec_lo, s15
.LBB386_1570:                           ;   in Loop: Header=BB386_808 Depth=1
	s_delay_alu instid0(SALU_CYCLE_1)
	s_or_b32 exec_lo, exec_lo, s13
.LBB386_1571:                           ;   in Loop: Header=BB386_808 Depth=1
	s_delay_alu instid0(SALU_CYCLE_1) | instskip(NEXT) | instid1(VALU_DEP_1)
	s_or_b32 exec_lo, exec_lo, s12
	v_mul_f32_e32 v9, v10, v11
                                        ; implicit-def: $vgpr167
	s_delay_alu instid0(VALU_DEP_1) | instskip(NEXT) | instid1(VALU_DEP_1)
	v_and_b32_e32 v11, 0x7f800000, v9
	v_cmp_ne_u32_e64 s0, 0x7f800000, v11
	s_delay_alu instid0(VALU_DEP_1) | instskip(NEXT) | instid1(SALU_CYCLE_1)
	s_and_saveexec_b32 s12, s0
	s_xor_b32 s0, exec_lo, s12
; %bb.1572:                             ;   in Loop: Header=BB386_808 Depth=1
	v_bfe_u32 v11, v9, 16, 1
	s_delay_alu instid0(VALU_DEP_1)
	v_add3_u32 v167, v9, v11, 0x7fff
                                        ; implicit-def: $vgpr9
; %bb.1573:                             ;   in Loop: Header=BB386_808 Depth=1
	s_and_not1_saveexec_b32 s12, s0
; %bb.1574:                             ;   in Loop: Header=BB386_808 Depth=1
	v_and_b32_e32 v11, 0xffff, v9
	v_or_b32_e32 v167, 0x10000, v9
	s_delay_alu instid0(VALU_DEP_2) | instskip(NEXT) | instid1(VALU_DEP_1)
	v_cmp_eq_u32_e64 s0, 0, v11
	v_cndmask_b32_e64 v167, v167, v9, s0
; %bb.1575:                             ;   in Loop: Header=BB386_808 Depth=1
	s_or_b32 exec_lo, exec_lo, s12
	v_mov_b32_e32 v9, 0
	s_mov_b32 s12, exec_lo
	v_cmpx_lt_u64_e64 s[8:9], v[2:3]
	s_cbranch_execz .LBB386_1583
; %bb.1576:                             ;   in Loop: Header=BB386_808 Depth=1
	v_lshrrev_b32_e32 v2, 24, v3
	v_bfrev_b32_e32 v9, 1
	s_mov_b32 s13, exec_lo
	s_delay_alu instid0(VALU_DEP_2)
	v_cmpx_ne_u32_e32 0x80, v2
	s_cbranch_execz .LBB386_1582
; %bb.1577:                             ;   in Loop: Header=BB386_808 Depth=1
	v_bfe_u32 v176, v3, 24, 7
	v_mov_b32_e32 v9, 0x7f800001
	s_mov_b32 s15, exec_lo
	s_delay_alu instid0(VALU_DEP_2)
	v_cmpx_ne_u32_e32 0x7f, v176
	s_cbranch_execz .LBB386_1581
; %bb.1578:                             ;   in Loop: Header=BB386_808 Depth=1
	v_and_b32_e32 v11, 7, v2
	v_lshrrev_b32_e32 v3, 3, v176
	s_mov_b32 s16, exec_lo
	v_cmpx_gt_u32_e32 8, v176
; %bb.1579:                             ;   in Loop: Header=BB386_808 Depth=1
	s_delay_alu instid0(VALU_DEP_3) | instskip(NEXT) | instid1(VALU_DEP_1)
	v_clz_i32_u32_e32 v3, v11
	v_min_u32_e32 v3, 32, v3
	s_delay_alu instid0(VALU_DEP_1) | instskip(SKIP_1) | instid1(VALU_DEP_2)
	v_subrev_nc_u32_e32 v9, 28, v3
	v_sub_nc_u32_e32 v3, 29, v3
	v_lshlrev_b64 v[176:177], v9, v[11:12]
	s_delay_alu instid0(VALU_DEP_1)
	v_and_b32_e32 v11, 7, v176
; %bb.1580:                             ;   in Loop: Header=BB386_808 Depth=1
	s_or_b32 exec_lo, exec_lo, s16
	v_lshlrev_b32_e32 v2, 24, v2
	s_delay_alu instid0(VALU_DEP_2) | instskip(SKIP_1) | instid1(VALU_DEP_3)
	v_lshlrev_b32_e32 v9, 20, v11
	v_lshl_add_u32 v3, v3, 23, 0x3c000000
	v_and_b32_e32 v2, 0x80000000, v2
	s_delay_alu instid0(VALU_DEP_1)
	v_or3_b32 v9, v9, v2, v3
.LBB386_1581:                           ;   in Loop: Header=BB386_808 Depth=1
	s_or_b32 exec_lo, exec_lo, s15
.LBB386_1582:                           ;   in Loop: Header=BB386_808 Depth=1
	s_delay_alu instid0(SALU_CYCLE_1)
	s_or_b32 exec_lo, exec_lo, s13
.LBB386_1583:                           ;   in Loop: Header=BB386_808 Depth=1
	s_delay_alu instid0(SALU_CYCLE_1) | instskip(NEXT) | instid1(VALU_DEP_1)
	s_or_b32 exec_lo, exec_lo, s12
	v_mul_f32_e32 v3, v10, v9
	s_delay_alu instid0(VALU_DEP_1) | instskip(NEXT) | instid1(VALU_DEP_1)
	v_and_b32_e32 v2, 0x7f800000, v3
	v_cmp_ne_u32_e64 s0, 0x7f800000, v2
                                        ; implicit-def: $vgpr2
	s_delay_alu instid0(VALU_DEP_1) | instskip(NEXT) | instid1(SALU_CYCLE_1)
	s_and_saveexec_b32 s12, s0
	s_xor_b32 s0, exec_lo, s12
; %bb.1584:                             ;   in Loop: Header=BB386_808 Depth=1
	v_bfe_u32 v2, v3, 16, 1
	s_delay_alu instid0(VALU_DEP_1)
	v_add3_u32 v2, v3, v2, 0x7fff
                                        ; implicit-def: $vgpr3
; %bb.1585:                             ;   in Loop: Header=BB386_808 Depth=1
	s_and_not1_saveexec_b32 s12, s0
; %bb.1586:                             ;   in Loop: Header=BB386_808 Depth=1
	v_and_b32_e32 v2, 0xffff, v3
	v_or_b32_e32 v9, 0x10000, v3
	s_delay_alu instid0(VALU_DEP_2) | instskip(NEXT) | instid1(VALU_DEP_1)
	v_cmp_eq_u32_e64 s0, 0, v2
	v_cndmask_b32_e64 v2, v9, v3, s0
; %bb.1587:                             ;   in Loop: Header=BB386_808 Depth=1
	s_or_b32 exec_lo, exec_lo, s12
	v_lshrrev_b32_e32 v8, 16, v8
	v_lshrrev_b32_e32 v9, 16, v166
	;; [unrolled: 1-line block ×8, first 2 shown]
	s_and_saveexec_b32 s12, vcc_lo
	s_cbranch_execz .LBB386_1589
; %bb.1588:                             ;   in Loop: Header=BB386_808 Depth=1
	v_cmp_lt_i32_e64 s0, v23, v83
	s_delay_alu instid0(VALU_DEP_1) | instskip(SKIP_1) | instid1(VALU_DEP_1)
	v_cndmask_b32_e64 v162, 0, v162, s0
	v_cmp_lt_i32_e64 s0, v66, v83
	v_cndmask_b32_e64 v163, 0, v163, s0
	v_cmp_lt_i32_e64 s0, v65, v83
	s_delay_alu instid0(VALU_DEP_1) | instskip(SKIP_1) | instid1(VALU_DEP_1)
	v_cndmask_b32_e64 v164, 0, v164, s0
	v_cmp_lt_i32_e64 s0, v55, v83
	v_cndmask_b32_e64 v11, 0, v11, s0
	;; [unrolled: 5-line block ×4, first 2 shown]
.LBB386_1589:                           ;   in Loop: Header=BB386_808 Depth=1
	s_or_b32 exec_lo, exec_lo, s12
	v_lshlrev_b32_e32 v162, 16, v162
	s_delay_alu instid0(VALU_DEP_1) | instskip(NEXT) | instid1(VALU_DEP_1)
	v_mul_f32_e32 v165, v67, v162
	v_and_b32_e32 v162, 0x7f800000, v165
	s_delay_alu instid0(VALU_DEP_1) | instskip(NEXT) | instid1(VALU_DEP_1)
	v_cmp_ne_u32_e64 s0, 0x7f800000, v162
                                        ; implicit-def: $vgpr162
	s_and_saveexec_b32 s12, s0
	s_delay_alu instid0(SALU_CYCLE_1)
	s_xor_b32 s0, exec_lo, s12
; %bb.1590:                             ;   in Loop: Header=BB386_808 Depth=1
	v_bfe_u32 v162, v165, 16, 1
	s_delay_alu instid0(VALU_DEP_1)
	v_add3_u32 v162, v165, v162, 0x7fff
                                        ; implicit-def: $vgpr165
; %bb.1591:                             ;   in Loop: Header=BB386_808 Depth=1
	s_and_not1_saveexec_b32 s12, s0
; %bb.1592:                             ;   in Loop: Header=BB386_808 Depth=1
	v_and_b32_e32 v162, 0xffff, v165
	v_or_b32_e32 v166, 0x10000, v165
	s_delay_alu instid0(VALU_DEP_2) | instskip(NEXT) | instid1(VALU_DEP_1)
	v_cmp_eq_u32_e64 s0, 0, v162
	v_cndmask_b32_e64 v162, v166, v165, s0
; %bb.1593:                             ;   in Loop: Header=BB386_808 Depth=1
	s_or_b32 exec_lo, exec_lo, s12
	v_lshlrev_b32_e32 v163, 16, v163
	s_delay_alu instid0(VALU_DEP_1) | instskip(NEXT) | instid1(VALU_DEP_1)
	v_mul_f32_e32 v165, v68, v163
	v_and_b32_e32 v163, 0x7f800000, v165
	s_delay_alu instid0(VALU_DEP_1) | instskip(NEXT) | instid1(VALU_DEP_1)
	v_cmp_ne_u32_e64 s0, 0x7f800000, v163
                                        ; implicit-def: $vgpr163
	s_and_saveexec_b32 s12, s0
	s_delay_alu instid0(SALU_CYCLE_1)
	s_xor_b32 s0, exec_lo, s12
; %bb.1594:                             ;   in Loop: Header=BB386_808 Depth=1
	v_bfe_u32 v163, v165, 16, 1
	s_delay_alu instid0(VALU_DEP_1)
	v_add3_u32 v163, v165, v163, 0x7fff
                                        ; implicit-def: $vgpr165
; %bb.1595:                             ;   in Loop: Header=BB386_808 Depth=1
	s_and_not1_saveexec_b32 s12, s0
; %bb.1596:                             ;   in Loop: Header=BB386_808 Depth=1
	v_and_b32_e32 v163, 0xffff, v165
	v_or_b32_e32 v166, 0x10000, v165
	s_delay_alu instid0(VALU_DEP_2) | instskip(NEXT) | instid1(VALU_DEP_1)
	v_cmp_eq_u32_e64 s0, 0, v163
	v_cndmask_b32_e64 v163, v166, v165, s0
; %bb.1597:                             ;   in Loop: Header=BB386_808 Depth=1
	s_or_b32 exec_lo, exec_lo, s12
	v_lshlrev_b32_e32 v164, 16, v164
	s_delay_alu instid0(VALU_DEP_1) | instskip(NEXT) | instid1(VALU_DEP_1)
	v_mul_f32_e32 v165, v69, v164
	v_and_b32_e32 v164, 0x7f800000, v165
	s_delay_alu instid0(VALU_DEP_1) | instskip(NEXT) | instid1(VALU_DEP_1)
	v_cmp_ne_u32_e64 s0, 0x7f800000, v164
                                        ; implicit-def: $vgpr164
	s_and_saveexec_b32 s12, s0
	s_delay_alu instid0(SALU_CYCLE_1)
	s_xor_b32 s0, exec_lo, s12
; %bb.1598:                             ;   in Loop: Header=BB386_808 Depth=1
	v_bfe_u32 v164, v165, 16, 1
	s_delay_alu instid0(VALU_DEP_1)
	v_add3_u32 v164, v165, v164, 0x7fff
                                        ; implicit-def: $vgpr165
; %bb.1599:                             ;   in Loop: Header=BB386_808 Depth=1
	s_and_not1_saveexec_b32 s12, s0
; %bb.1600:                             ;   in Loop: Header=BB386_808 Depth=1
	v_and_b32_e32 v164, 0xffff, v165
	v_or_b32_e32 v166, 0x10000, v165
	s_delay_alu instid0(VALU_DEP_2) | instskip(NEXT) | instid1(VALU_DEP_1)
	v_cmp_eq_u32_e64 s0, 0, v164
	v_cndmask_b32_e64 v164, v166, v165, s0
; %bb.1601:                             ;   in Loop: Header=BB386_808 Depth=1
	s_or_b32 exec_lo, exec_lo, s12
	v_lshlrev_b32_e32 v11, 16, v11
	s_delay_alu instid0(VALU_DEP_1) | instskip(NEXT) | instid1(VALU_DEP_1)
	v_mul_f32_e32 v11, v70, v11
	v_and_b32_e32 v165, 0x7f800000, v11
	s_delay_alu instid0(VALU_DEP_1) | instskip(NEXT) | instid1(VALU_DEP_1)
	v_cmp_ne_u32_e64 s0, 0x7f800000, v165
                                        ; implicit-def: $vgpr165
	s_and_saveexec_b32 s12, s0
	s_delay_alu instid0(SALU_CYCLE_1)
	s_xor_b32 s0, exec_lo, s12
; %bb.1602:                             ;   in Loop: Header=BB386_808 Depth=1
	v_bfe_u32 v165, v11, 16, 1
	s_delay_alu instid0(VALU_DEP_1)
	v_add3_u32 v165, v11, v165, 0x7fff
                                        ; implicit-def: $vgpr11
; %bb.1603:                             ;   in Loop: Header=BB386_808 Depth=1
	s_and_not1_saveexec_b32 s12, s0
; %bb.1604:                             ;   in Loop: Header=BB386_808 Depth=1
	v_and_b32_e32 v165, 0xffff, v11
	v_or_b32_e32 v166, 0x10000, v11
	s_delay_alu instid0(VALU_DEP_2) | instskip(NEXT) | instid1(VALU_DEP_1)
	v_cmp_eq_u32_e64 s0, 0, v165
	v_cndmask_b32_e64 v165, v166, v11, s0
; %bb.1605:                             ;   in Loop: Header=BB386_808 Depth=1
	s_or_b32 exec_lo, exec_lo, s12
	v_lshlrev_b32_e32 v9, 16, v9
                                        ; implicit-def: $vgpr166
	s_delay_alu instid0(VALU_DEP_1) | instskip(NEXT) | instid1(VALU_DEP_1)
	v_mul_f32_e32 v9, v71, v9
	v_and_b32_e32 v11, 0x7f800000, v9
	s_delay_alu instid0(VALU_DEP_1) | instskip(NEXT) | instid1(VALU_DEP_1)
	v_cmp_ne_u32_e64 s0, 0x7f800000, v11
	s_and_saveexec_b32 s12, s0
	s_delay_alu instid0(SALU_CYCLE_1)
	s_xor_b32 s0, exec_lo, s12
; %bb.1606:                             ;   in Loop: Header=BB386_808 Depth=1
	v_bfe_u32 v11, v9, 16, 1
	s_delay_alu instid0(VALU_DEP_1)
	v_add3_u32 v166, v9, v11, 0x7fff
                                        ; implicit-def: $vgpr9
; %bb.1607:                             ;   in Loop: Header=BB386_808 Depth=1
	s_and_not1_saveexec_b32 s12, s0
; %bb.1608:                             ;   in Loop: Header=BB386_808 Depth=1
	v_and_b32_e32 v11, 0xffff, v9
	v_or_b32_e32 v166, 0x10000, v9
	s_delay_alu instid0(VALU_DEP_2) | instskip(NEXT) | instid1(VALU_DEP_1)
	v_cmp_eq_u32_e64 s0, 0, v11
	v_cndmask_b32_e64 v166, v166, v9, s0
; %bb.1609:                             ;   in Loop: Header=BB386_808 Depth=1
	s_or_b32 exec_lo, exec_lo, s12
	v_lshlrev_b32_e32 v8, 16, v8
                                        ; implicit-def: $vgpr167
	s_delay_alu instid0(VALU_DEP_1) | instskip(NEXT) | instid1(VALU_DEP_1)
	v_mul_f32_e32 v8, v80, v8
	v_and_b32_e32 v9, 0x7f800000, v8
	s_delay_alu instid0(VALU_DEP_1) | instskip(NEXT) | instid1(VALU_DEP_1)
	v_cmp_ne_u32_e64 s0, 0x7f800000, v9
	s_and_saveexec_b32 s12, s0
	s_delay_alu instid0(SALU_CYCLE_1)
	s_xor_b32 s0, exec_lo, s12
; %bb.1610:                             ;   in Loop: Header=BB386_808 Depth=1
	v_bfe_u32 v9, v8, 16, 1
	s_delay_alu instid0(VALU_DEP_1)
	v_add3_u32 v167, v8, v9, 0x7fff
                                        ; implicit-def: $vgpr8
; %bb.1611:                             ;   in Loop: Header=BB386_808 Depth=1
	s_and_not1_saveexec_b32 s12, s0
; %bb.1612:                             ;   in Loop: Header=BB386_808 Depth=1
	v_and_b32_e32 v9, 0xffff, v8
	v_or_b32_e32 v11, 0x10000, v8
	s_delay_alu instid0(VALU_DEP_2) | instskip(NEXT) | instid1(VALU_DEP_1)
	v_cmp_eq_u32_e64 s0, 0, v9
	v_cndmask_b32_e64 v167, v11, v8, s0
; %bb.1613:                             ;   in Loop: Header=BB386_808 Depth=1
	s_or_b32 exec_lo, exec_lo, s12
	v_lshlrev_b32_e32 v3, 16, v3
                                        ; implicit-def: $vgpr176
	s_delay_alu instid0(VALU_DEP_1) | instskip(NEXT) | instid1(VALU_DEP_1)
	v_mul_f32_e32 v3, v81, v3
	v_and_b32_e32 v8, 0x7f800000, v3
	s_delay_alu instid0(VALU_DEP_1) | instskip(NEXT) | instid1(VALU_DEP_1)
	v_cmp_ne_u32_e64 s0, 0x7f800000, v8
	s_and_saveexec_b32 s12, s0
	s_delay_alu instid0(SALU_CYCLE_1)
	s_xor_b32 s0, exec_lo, s12
; %bb.1614:                             ;   in Loop: Header=BB386_808 Depth=1
	v_bfe_u32 v8, v3, 16, 1
	s_delay_alu instid0(VALU_DEP_1)
	v_add3_u32 v176, v3, v8, 0x7fff
                                        ; implicit-def: $vgpr3
; %bb.1615:                             ;   in Loop: Header=BB386_808 Depth=1
	s_and_not1_saveexec_b32 s12, s0
; %bb.1616:                             ;   in Loop: Header=BB386_808 Depth=1
	v_and_b32_e32 v8, 0xffff, v3
	v_or_b32_e32 v9, 0x10000, v3
	s_delay_alu instid0(VALU_DEP_2) | instskip(NEXT) | instid1(VALU_DEP_1)
	v_cmp_eq_u32_e64 s0, 0, v8
	v_cndmask_b32_e64 v176, v9, v3, s0
; %bb.1617:                             ;   in Loop: Header=BB386_808 Depth=1
	s_or_b32 exec_lo, exec_lo, s12
	v_lshlrev_b32_e32 v2, 16, v2
                                        ; implicit-def: $vgpr177
	s_delay_alu instid0(VALU_DEP_1) | instskip(NEXT) | instid1(VALU_DEP_1)
	v_mul_f32_e32 v2, v97, v2
	v_and_b32_e32 v3, 0x7f800000, v2
	s_delay_alu instid0(VALU_DEP_1) | instskip(NEXT) | instid1(VALU_DEP_1)
	v_cmp_ne_u32_e64 s0, 0x7f800000, v3
	s_and_saveexec_b32 s12, s0
	s_delay_alu instid0(SALU_CYCLE_1)
	s_xor_b32 s0, exec_lo, s12
; %bb.1618:                             ;   in Loop: Header=BB386_808 Depth=1
	v_bfe_u32 v3, v2, 16, 1
	s_delay_alu instid0(VALU_DEP_1)
	v_add3_u32 v177, v2, v3, 0x7fff
                                        ; implicit-def: $vgpr2
; %bb.1619:                             ;   in Loop: Header=BB386_808 Depth=1
	s_and_not1_saveexec_b32 s12, s0
; %bb.1620:                             ;   in Loop: Header=BB386_808 Depth=1
	v_and_b32_e32 v3, 0xffff, v2
	v_or_b32_e32 v8, 0x10000, v2
	s_delay_alu instid0(VALU_DEP_2) | instskip(NEXT) | instid1(VALU_DEP_1)
	v_cmp_eq_u32_e64 s0, 0, v3
	v_cndmask_b32_e64 v177, v8, v2, s0
; %bb.1621:                             ;   in Loop: Header=BB386_808 Depth=1
	s_or_b32 exec_lo, exec_lo, s12
	flat_load_b64 v[2:3], v[0:1] offset:1536
	s_mov_b32 s12, exec_lo
	s_waitcnt vmcnt(0) lgkmcnt(0)
	v_dual_mov_b32 v8, 0 :: v_dual_and_b32 v9, 0xff, v2
	s_delay_alu instid0(VALU_DEP_1)
	v_cmpx_ne_u16_e32 0, v9
	s_cbranch_execz .LBB386_1629
; %bb.1622:                             ;   in Loop: Header=BB386_808 Depth=1
	v_bfrev_b32_e32 v8, 1
	s_mov_b32 s13, exec_lo
	v_cmpx_ne_u16_e32 0x80, v9
	s_cbranch_execz .LBB386_1628
; %bb.1623:                             ;   in Loop: Header=BB386_808 Depth=1
	v_and_b32_e32 v9, 0x7f, v2
	v_mov_b32_e32 v8, 0x7f800001
	s_mov_b32 s15, exec_lo
	s_delay_alu instid0(VALU_DEP_2)
	v_cmpx_ne_u32_e32 0x7f, v9
	s_cbranch_execz .LBB386_1627
; %bb.1624:                             ;   in Loop: Header=BB386_808 Depth=1
	v_lshrrev_b32_e32 v11, 3, v9
	v_cmp_gt_u32_e64 s0, 8, v9
	v_dual_mov_b32 v9, v3 :: v_dual_mov_b32 v8, v2
	s_delay_alu instid0(VALU_DEP_2)
	s_and_saveexec_b32 s16, s0
; %bb.1625:                             ;   in Loop: Header=BB386_808 Depth=1
	v_and_b32_e32 v8, 7, v2
	s_delay_alu instid0(VALU_DEP_1) | instskip(NEXT) | instid1(VALU_DEP_1)
	v_clz_i32_u32_e32 v8, v8
	v_min_u32_e32 v11, 32, v8
	s_delay_alu instid0(VALU_DEP_1) | instskip(SKIP_1) | instid1(VALU_DEP_2)
	v_subrev_nc_u32_e32 v8, 28, v11
	v_sub_nc_u32_e32 v11, 29, v11
	v_lshlrev_b64 v[8:9], v8, v[2:3]
; %bb.1626:                             ;   in Loop: Header=BB386_808 Depth=1
	s_or_b32 exec_lo, exec_lo, s16
	s_delay_alu instid0(VALU_DEP_1) | instskip(SKIP_2) | instid1(VALU_DEP_3)
	v_lshlrev_b32_e32 v8, 20, v8
	v_lshlrev_b32_e32 v9, 24, v2
	v_lshl_add_u32 v11, v11, 23, 0x3c000000
	v_and_b32_e32 v8, 0x700000, v8
	s_delay_alu instid0(VALU_DEP_3) | instskip(NEXT) | instid1(VALU_DEP_1)
	v_and_b32_e32 v9, 0x80000000, v9
	v_or3_b32 v8, v8, v9, v11
.LBB386_1627:                           ;   in Loop: Header=BB386_808 Depth=1
	s_or_b32 exec_lo, exec_lo, s15
.LBB386_1628:                           ;   in Loop: Header=BB386_808 Depth=1
	s_delay_alu instid0(SALU_CYCLE_1)
	s_or_b32 exec_lo, exec_lo, s13
.LBB386_1629:                           ;   in Loop: Header=BB386_808 Depth=1
	s_delay_alu instid0(SALU_CYCLE_1) | instskip(NEXT) | instid1(VALU_DEP_1)
	s_or_b32 exec_lo, exec_lo, s12
	v_mul_f32_e32 v8, v10, v8
                                        ; implicit-def: $vgpr178
	s_delay_alu instid0(VALU_DEP_1) | instskip(NEXT) | instid1(VALU_DEP_1)
	v_and_b32_e32 v9, 0x7f800000, v8
	v_cmp_ne_u32_e64 s0, 0x7f800000, v9
	s_delay_alu instid0(VALU_DEP_1) | instskip(NEXT) | instid1(SALU_CYCLE_1)
	s_and_saveexec_b32 s12, s0
	s_xor_b32 s0, exec_lo, s12
; %bb.1630:                             ;   in Loop: Header=BB386_808 Depth=1
	v_bfe_u32 v9, v8, 16, 1
	s_delay_alu instid0(VALU_DEP_1)
	v_add3_u32 v178, v8, v9, 0x7fff
                                        ; implicit-def: $vgpr8
; %bb.1631:                             ;   in Loop: Header=BB386_808 Depth=1
	s_and_not1_saveexec_b32 s12, s0
; %bb.1632:                             ;   in Loop: Header=BB386_808 Depth=1
	v_and_b32_e32 v9, 0xffff, v8
	v_or_b32_e32 v11, 0x10000, v8
	s_delay_alu instid0(VALU_DEP_2) | instskip(NEXT) | instid1(VALU_DEP_1)
	v_cmp_eq_u32_e64 s0, 0, v9
	v_cndmask_b32_e64 v178, v11, v8, s0
; %bb.1633:                             ;   in Loop: Header=BB386_808 Depth=1
	s_or_b32 exec_lo, exec_lo, s12
	v_lshrrev_b16 v9, 8, v2
	v_mov_b32_e32 v8, 0
	s_mov_b32 s12, exec_lo
	s_delay_alu instid0(VALU_DEP_2)
	v_cmpx_ne_u16_e32 0, v9
	s_cbranch_execz .LBB386_1641
; %bb.1634:                             ;   in Loop: Header=BB386_808 Depth=1
	v_bfrev_b32_e32 v8, 1
	s_mov_b32 s13, exec_lo
	v_cmpx_ne_u16_e32 0x80, v9
	s_cbranch_execz .LBB386_1640
; %bb.1635:                             ;   in Loop: Header=BB386_808 Depth=1
	v_and_b32_e32 v11, 0xffff, v9
	v_mov_b32_e32 v8, 0x7f800001
	s_mov_b32 s15, exec_lo
	s_delay_alu instid0(VALU_DEP_2) | instskip(NEXT) | instid1(VALU_DEP_1)
	v_and_b32_e32 v9, 0x7f, v11
	v_cmpx_ne_u32_e32 0x7f, v9
	s_cbranch_execz .LBB386_1639
; %bb.1636:                             ;   in Loop: Header=BB386_808 Depth=1
	v_and_b32_e32 v11, 7, v11
	v_lshrrev_b32_e32 v8, 3, v9
	s_mov_b32 s16, exec_lo
	v_cmpx_gt_u32_e32 8, v9
; %bb.1637:                             ;   in Loop: Header=BB386_808 Depth=1
	s_delay_alu instid0(VALU_DEP_3) | instskip(NEXT) | instid1(VALU_DEP_1)
	v_clz_i32_u32_e32 v8, v11
	v_min_u32_e32 v8, 32, v8
	s_delay_alu instid0(VALU_DEP_1) | instskip(SKIP_1) | instid1(VALU_DEP_2)
	v_subrev_nc_u32_e32 v9, 28, v8
	v_sub_nc_u32_e32 v8, 29, v8
	v_lshlrev_b64 v[179:180], v9, v[11:12]
	s_delay_alu instid0(VALU_DEP_1)
	v_and_b32_e32 v11, 7, v179
; %bb.1638:                             ;   in Loop: Header=BB386_808 Depth=1
	s_or_b32 exec_lo, exec_lo, s16
	v_lshlrev_b32_e32 v9, 16, v2
	s_delay_alu instid0(VALU_DEP_2) | instskip(SKIP_1) | instid1(VALU_DEP_3)
	v_lshlrev_b32_e32 v11, 20, v11
	v_lshl_add_u32 v8, v8, 23, 0x3c000000
	v_and_b32_e32 v9, 0x80000000, v9
	s_delay_alu instid0(VALU_DEP_1)
	v_or3_b32 v8, v11, v9, v8
.LBB386_1639:                           ;   in Loop: Header=BB386_808 Depth=1
	s_or_b32 exec_lo, exec_lo, s15
.LBB386_1640:                           ;   in Loop: Header=BB386_808 Depth=1
	s_delay_alu instid0(SALU_CYCLE_1)
	s_or_b32 exec_lo, exec_lo, s13
.LBB386_1641:                           ;   in Loop: Header=BB386_808 Depth=1
	s_delay_alu instid0(SALU_CYCLE_1) | instskip(NEXT) | instid1(VALU_DEP_1)
	s_or_b32 exec_lo, exec_lo, s12
	v_mul_f32_e32 v8, v10, v8
                                        ; implicit-def: $vgpr179
	s_delay_alu instid0(VALU_DEP_1) | instskip(NEXT) | instid1(VALU_DEP_1)
	v_and_b32_e32 v9, 0x7f800000, v8
	v_cmp_ne_u32_e64 s0, 0x7f800000, v9
	s_delay_alu instid0(VALU_DEP_1) | instskip(NEXT) | instid1(SALU_CYCLE_1)
	s_and_saveexec_b32 s12, s0
	s_xor_b32 s0, exec_lo, s12
; %bb.1642:                             ;   in Loop: Header=BB386_808 Depth=1
	v_bfe_u32 v9, v8, 16, 1
	s_delay_alu instid0(VALU_DEP_1)
	v_add3_u32 v179, v8, v9, 0x7fff
                                        ; implicit-def: $vgpr8
; %bb.1643:                             ;   in Loop: Header=BB386_808 Depth=1
	s_and_not1_saveexec_b32 s12, s0
; %bb.1644:                             ;   in Loop: Header=BB386_808 Depth=1
	v_and_b32_e32 v9, 0xffff, v8
	v_or_b32_e32 v11, 0x10000, v8
	s_delay_alu instid0(VALU_DEP_2) | instskip(NEXT) | instid1(VALU_DEP_1)
	v_cmp_eq_u32_e64 s0, 0, v9
	v_cndmask_b32_e64 v179, v11, v8, s0
; %bb.1645:                             ;   in Loop: Header=BB386_808 Depth=1
	s_or_b32 exec_lo, exec_lo, s12
	v_lshrrev_b32_e32 v8, 16, v2
	v_mov_b32_e32 v9, 0
	s_mov_b32 s12, exec_lo
	s_delay_alu instid0(VALU_DEP_2) | instskip(NEXT) | instid1(VALU_DEP_1)
	v_and_b32_e32 v11, 0xff, v8
	v_cmpx_ne_u16_e32 0, v11
	s_cbranch_execz .LBB386_1653
; %bb.1646:                             ;   in Loop: Header=BB386_808 Depth=1
	v_bfrev_b32_e32 v9, 1
	s_mov_b32 s13, exec_lo
	v_cmpx_ne_u16_e32 0x80, v11
	s_cbranch_execz .LBB386_1652
; %bb.1647:                             ;   in Loop: Header=BB386_808 Depth=1
	v_bfe_u32 v180, v2, 16, 7
	v_mov_b32_e32 v9, 0x7f800001
	s_mov_b32 s15, exec_lo
	s_delay_alu instid0(VALU_DEP_2)
	v_cmpx_ne_u32_e32 0x7f, v180
	s_cbranch_execz .LBB386_1651
; %bb.1648:                             ;   in Loop: Header=BB386_808 Depth=1
	v_and_b32_e32 v11, 7, v8
	v_lshrrev_b32_e32 v9, 3, v180
	s_mov_b32 s16, exec_lo
	v_cmpx_gt_u32_e32 8, v180
; %bb.1649:                             ;   in Loop: Header=BB386_808 Depth=1
	s_delay_alu instid0(VALU_DEP_3) | instskip(NEXT) | instid1(VALU_DEP_1)
	v_clz_i32_u32_e32 v9, v11
	v_min_u32_e32 v9, 32, v9
	s_delay_alu instid0(VALU_DEP_1) | instskip(SKIP_1) | instid1(VALU_DEP_2)
	v_subrev_nc_u32_e32 v180, 28, v9
	v_sub_nc_u32_e32 v9, 29, v9
	v_lshlrev_b64 v[180:181], v180, v[11:12]
	s_delay_alu instid0(VALU_DEP_1)
	v_and_b32_e32 v11, 7, v180
; %bb.1650:                             ;   in Loop: Header=BB386_808 Depth=1
	s_or_b32 exec_lo, exec_lo, s16
	v_lshlrev_b32_e32 v8, 24, v8
	s_delay_alu instid0(VALU_DEP_2) | instskip(SKIP_1) | instid1(VALU_DEP_3)
	v_lshlrev_b32_e32 v11, 20, v11
	v_lshl_add_u32 v9, v9, 23, 0x3c000000
	v_and_b32_e32 v8, 0x80000000, v8
	s_delay_alu instid0(VALU_DEP_1)
	v_or3_b32 v9, v11, v8, v9
.LBB386_1651:                           ;   in Loop: Header=BB386_808 Depth=1
	s_or_b32 exec_lo, exec_lo, s15
.LBB386_1652:                           ;   in Loop: Header=BB386_808 Depth=1
	s_delay_alu instid0(SALU_CYCLE_1)
	s_or_b32 exec_lo, exec_lo, s13
.LBB386_1653:                           ;   in Loop: Header=BB386_808 Depth=1
	s_delay_alu instid0(SALU_CYCLE_1) | instskip(NEXT) | instid1(VALU_DEP_1)
	s_or_b32 exec_lo, exec_lo, s12
	v_mul_f32_e32 v8, v10, v9
                                        ; implicit-def: $vgpr180
	s_delay_alu instid0(VALU_DEP_1) | instskip(NEXT) | instid1(VALU_DEP_1)
	v_and_b32_e32 v9, 0x7f800000, v8
	v_cmp_ne_u32_e64 s0, 0x7f800000, v9
	s_delay_alu instid0(VALU_DEP_1) | instskip(NEXT) | instid1(SALU_CYCLE_1)
	s_and_saveexec_b32 s12, s0
	s_xor_b32 s0, exec_lo, s12
; %bb.1654:                             ;   in Loop: Header=BB386_808 Depth=1
	v_bfe_u32 v9, v8, 16, 1
	s_delay_alu instid0(VALU_DEP_1)
	v_add3_u32 v180, v8, v9, 0x7fff
                                        ; implicit-def: $vgpr8
; %bb.1655:                             ;   in Loop: Header=BB386_808 Depth=1
	s_and_not1_saveexec_b32 s12, s0
; %bb.1656:                             ;   in Loop: Header=BB386_808 Depth=1
	v_and_b32_e32 v9, 0xffff, v8
	v_or_b32_e32 v11, 0x10000, v8
	s_delay_alu instid0(VALU_DEP_2) | instskip(NEXT) | instid1(VALU_DEP_1)
	v_cmp_eq_u32_e64 s0, 0, v9
	v_cndmask_b32_e64 v180, v11, v8, s0
; %bb.1657:                             ;   in Loop: Header=BB386_808 Depth=1
	s_or_b32 exec_lo, exec_lo, s12
	v_mov_b32_e32 v9, 0
	s_mov_b32 s12, exec_lo
	v_cmpx_lt_u32_e32 0xffffff, v2
	s_cbranch_execz .LBB386_1665
; %bb.1658:                             ;   in Loop: Header=BB386_808 Depth=1
	v_lshrrev_b32_e32 v8, 24, v2
	v_bfrev_b32_e32 v9, 1
	s_mov_b32 s13, exec_lo
	s_delay_alu instid0(VALU_DEP_2)
	v_cmpx_ne_u32_e32 0x80, v8
	s_cbranch_execz .LBB386_1664
; %bb.1659:                             ;   in Loop: Header=BB386_808 Depth=1
	v_bfe_u32 v181, v2, 24, 7
	v_mov_b32_e32 v9, 0x7f800001
	s_mov_b32 s15, exec_lo
	s_delay_alu instid0(VALU_DEP_2)
	v_cmpx_ne_u32_e32 0x7f, v181
	s_cbranch_execz .LBB386_1663
; %bb.1660:                             ;   in Loop: Header=BB386_808 Depth=1
	v_and_b32_e32 v11, 7, v8
	v_lshrrev_b32_e32 v9, 3, v181
	s_mov_b32 s16, exec_lo
	v_cmpx_gt_u32_e32 8, v181
; %bb.1661:                             ;   in Loop: Header=BB386_808 Depth=1
	s_delay_alu instid0(VALU_DEP_3) | instskip(NEXT) | instid1(VALU_DEP_1)
	v_clz_i32_u32_e32 v9, v11
	v_min_u32_e32 v9, 32, v9
	s_delay_alu instid0(VALU_DEP_1) | instskip(SKIP_1) | instid1(VALU_DEP_2)
	v_subrev_nc_u32_e32 v181, 28, v9
	v_sub_nc_u32_e32 v9, 29, v9
	v_lshlrev_b64 v[181:182], v181, v[11:12]
	s_delay_alu instid0(VALU_DEP_1)
	v_and_b32_e32 v11, 7, v181
; %bb.1662:                             ;   in Loop: Header=BB386_808 Depth=1
	s_or_b32 exec_lo, exec_lo, s16
	v_lshlrev_b32_e32 v8, 24, v8
	s_delay_alu instid0(VALU_DEP_2) | instskip(SKIP_1) | instid1(VALU_DEP_3)
	v_lshlrev_b32_e32 v11, 20, v11
	v_lshl_add_u32 v9, v9, 23, 0x3c000000
	v_and_b32_e32 v8, 0x80000000, v8
	s_delay_alu instid0(VALU_DEP_1)
	v_or3_b32 v9, v11, v8, v9
.LBB386_1663:                           ;   in Loop: Header=BB386_808 Depth=1
	s_or_b32 exec_lo, exec_lo, s15
.LBB386_1664:                           ;   in Loop: Header=BB386_808 Depth=1
	s_delay_alu instid0(SALU_CYCLE_1)
	s_or_b32 exec_lo, exec_lo, s13
.LBB386_1665:                           ;   in Loop: Header=BB386_808 Depth=1
	s_delay_alu instid0(SALU_CYCLE_1) | instskip(NEXT) | instid1(VALU_DEP_1)
	s_or_b32 exec_lo, exec_lo, s12
	v_mul_f32_e32 v8, v10, v9
                                        ; implicit-def: $vgpr181
	s_delay_alu instid0(VALU_DEP_1) | instskip(NEXT) | instid1(VALU_DEP_1)
	v_and_b32_e32 v9, 0x7f800000, v8
	v_cmp_ne_u32_e64 s0, 0x7f800000, v9
	s_delay_alu instid0(VALU_DEP_1) | instskip(NEXT) | instid1(SALU_CYCLE_1)
	s_and_saveexec_b32 s12, s0
	s_xor_b32 s0, exec_lo, s12
; %bb.1666:                             ;   in Loop: Header=BB386_808 Depth=1
	v_bfe_u32 v9, v8, 16, 1
	s_delay_alu instid0(VALU_DEP_1)
	v_add3_u32 v181, v8, v9, 0x7fff
                                        ; implicit-def: $vgpr8
; %bb.1667:                             ;   in Loop: Header=BB386_808 Depth=1
	s_and_not1_saveexec_b32 s12, s0
; %bb.1668:                             ;   in Loop: Header=BB386_808 Depth=1
	v_and_b32_e32 v9, 0xffff, v8
	v_or_b32_e32 v11, 0x10000, v8
	s_delay_alu instid0(VALU_DEP_2) | instskip(NEXT) | instid1(VALU_DEP_1)
	v_cmp_eq_u32_e64 s0, 0, v9
	v_cndmask_b32_e64 v181, v11, v8, s0
; %bb.1669:                             ;   in Loop: Header=BB386_808 Depth=1
	s_or_b32 exec_lo, exec_lo, s12
	v_dual_mov_b32 v8, 0 :: v_dual_and_b32 v9, 0xff, v3
	v_mov_b32_e32 v11, v3
	s_mov_b32 s12, exec_lo
	s_delay_alu instid0(VALU_DEP_2)
	v_cmpx_ne_u16_e32 0, v9
	s_cbranch_execz .LBB386_1677
; %bb.1670:                             ;   in Loop: Header=BB386_808 Depth=1
	v_bfrev_b32_e32 v8, 1
	s_mov_b32 s13, exec_lo
	v_cmpx_ne_u16_e32 0x80, v9
	s_cbranch_execz .LBB386_1676
; %bb.1671:                             ;   in Loop: Header=BB386_808 Depth=1
	v_and_b32_e32 v9, 0x7f, v3
	v_mov_b32_e32 v8, 0x7f800001
	s_mov_b32 s15, exec_lo
	s_delay_alu instid0(VALU_DEP_2)
	v_cmpx_ne_u32_e32 0x7f, v9
	s_cbranch_execz .LBB386_1675
; %bb.1672:                             ;   in Loop: Header=BB386_808 Depth=1
	v_lshrrev_b32_e32 v182, 3, v9
	v_cmp_gt_u32_e64 s0, 8, v9
	v_dual_mov_b32 v8, v11 :: v_dual_mov_b32 v9, v12
	s_delay_alu instid0(VALU_DEP_2)
	s_and_saveexec_b32 s16, s0
; %bb.1673:                             ;   in Loop: Header=BB386_808 Depth=1
	v_and_b32_e32 v8, 7, v3
	s_delay_alu instid0(VALU_DEP_1) | instskip(NEXT) | instid1(VALU_DEP_1)
	v_clz_i32_u32_e32 v8, v8
	v_min_u32_e32 v182, 32, v8
	s_delay_alu instid0(VALU_DEP_1) | instskip(SKIP_1) | instid1(VALU_DEP_2)
	v_subrev_nc_u32_e32 v8, 28, v182
	v_sub_nc_u32_e32 v182, 29, v182
	v_lshlrev_b64 v[8:9], v8, v[11:12]
; %bb.1674:                             ;   in Loop: Header=BB386_808 Depth=1
	s_or_b32 exec_lo, exec_lo, s16
	s_delay_alu instid0(VALU_DEP_1) | instskip(SKIP_2) | instid1(VALU_DEP_3)
	v_lshlrev_b32_e32 v8, 20, v8
	v_lshlrev_b32_e32 v9, 24, v11
	v_lshl_add_u32 v182, v182, 23, 0x3c000000
	v_and_b32_e32 v8, 0x700000, v8
	s_delay_alu instid0(VALU_DEP_3) | instskip(NEXT) | instid1(VALU_DEP_1)
	v_and_b32_e32 v9, 0x80000000, v9
	v_or3_b32 v8, v8, v9, v182
.LBB386_1675:                           ;   in Loop: Header=BB386_808 Depth=1
	s_or_b32 exec_lo, exec_lo, s15
.LBB386_1676:                           ;   in Loop: Header=BB386_808 Depth=1
	s_delay_alu instid0(SALU_CYCLE_1)
	s_or_b32 exec_lo, exec_lo, s13
.LBB386_1677:                           ;   in Loop: Header=BB386_808 Depth=1
	s_delay_alu instid0(SALU_CYCLE_1) | instskip(NEXT) | instid1(VALU_DEP_1)
	s_or_b32 exec_lo, exec_lo, s12
	v_mul_f32_e32 v8, v10, v8
                                        ; implicit-def: $vgpr182
	s_delay_alu instid0(VALU_DEP_1) | instskip(NEXT) | instid1(VALU_DEP_1)
	v_and_b32_e32 v9, 0x7f800000, v8
	v_cmp_ne_u32_e64 s0, 0x7f800000, v9
	s_delay_alu instid0(VALU_DEP_1) | instskip(NEXT) | instid1(SALU_CYCLE_1)
	s_and_saveexec_b32 s12, s0
	s_xor_b32 s0, exec_lo, s12
; %bb.1678:                             ;   in Loop: Header=BB386_808 Depth=1
	v_bfe_u32 v9, v8, 16, 1
	s_delay_alu instid0(VALU_DEP_1)
	v_add3_u32 v182, v8, v9, 0x7fff
                                        ; implicit-def: $vgpr8
; %bb.1679:                             ;   in Loop: Header=BB386_808 Depth=1
	s_and_not1_saveexec_b32 s12, s0
; %bb.1680:                             ;   in Loop: Header=BB386_808 Depth=1
	v_and_b32_e32 v9, 0xffff, v8
	v_or_b32_e32 v182, 0x10000, v8
	s_delay_alu instid0(VALU_DEP_2) | instskip(NEXT) | instid1(VALU_DEP_1)
	v_cmp_eq_u32_e64 s0, 0, v9
	v_cndmask_b32_e64 v182, v182, v8, s0
; %bb.1681:                             ;   in Loop: Header=BB386_808 Depth=1
	s_or_b32 exec_lo, exec_lo, s12
	v_lshrrev_b16 v9, 8, v11
	v_mov_b32_e32 v8, 0
	s_mov_b32 s12, exec_lo
	s_delay_alu instid0(VALU_DEP_2)
	v_cmpx_ne_u16_e32 0, v9
	s_cbranch_execz .LBB386_1689
; %bb.1682:                             ;   in Loop: Header=BB386_808 Depth=1
	v_bfrev_b32_e32 v8, 1
	s_mov_b32 s13, exec_lo
	v_cmpx_ne_u16_e32 0x80, v9
	s_cbranch_execz .LBB386_1688
; %bb.1683:                             ;   in Loop: Header=BB386_808 Depth=1
	v_and_b32_e32 v9, 0xffff, v9
	v_mov_b32_e32 v8, 0x7f800001
	s_mov_b32 s15, exec_lo
	s_delay_alu instid0(VALU_DEP_2) | instskip(NEXT) | instid1(VALU_DEP_1)
	v_and_b32_e32 v40, 0x7f, v9
	v_cmpx_ne_u32_e32 0x7f, v40
	s_cbranch_execz .LBB386_1687
; %bb.1684:                             ;   in Loop: Header=BB386_808 Depth=1
	v_dual_mov_b32 v9, v12 :: v_dual_and_b32 v8, 7, v9
	v_lshrrev_b32_e32 v183, 3, v40
	s_mov_b32 s16, exec_lo
	v_cmpx_gt_u32_e32 8, v40
; %bb.1685:                             ;   in Loop: Header=BB386_808 Depth=1
	s_delay_alu instid0(VALU_DEP_3) | instskip(NEXT) | instid1(VALU_DEP_1)
	v_clz_i32_u32_e32 v183, v8
	v_min_u32_e32 v183, 32, v183
	s_delay_alu instid0(VALU_DEP_1) | instskip(SKIP_1) | instid1(VALU_DEP_2)
	v_subrev_nc_u32_e32 v40, 28, v183
	v_sub_nc_u32_e32 v183, 29, v183
	v_lshlrev_b64 v[8:9], v40, v[8:9]
	s_delay_alu instid0(VALU_DEP_1)
	v_and_b32_e32 v8, 7, v8
; %bb.1686:                             ;   in Loop: Header=BB386_808 Depth=1
	s_or_b32 exec_lo, exec_lo, s16
	v_lshlrev_b32_e32 v9, 16, v11
	s_delay_alu instid0(VALU_DEP_2) | instskip(SKIP_1) | instid1(VALU_DEP_3)
	v_lshlrev_b32_e32 v8, 20, v8
	v_lshl_add_u32 v11, v183, 23, 0x3c000000
	v_and_b32_e32 v9, 0x80000000, v9
	s_delay_alu instid0(VALU_DEP_1)
	v_or3_b32 v8, v8, v9, v11
.LBB386_1687:                           ;   in Loop: Header=BB386_808 Depth=1
	s_or_b32 exec_lo, exec_lo, s15
.LBB386_1688:                           ;   in Loop: Header=BB386_808 Depth=1
	s_delay_alu instid0(SALU_CYCLE_1)
	s_or_b32 exec_lo, exec_lo, s13
.LBB386_1689:                           ;   in Loop: Header=BB386_808 Depth=1
	s_delay_alu instid0(SALU_CYCLE_1) | instskip(NEXT) | instid1(VALU_DEP_1)
	s_or_b32 exec_lo, exec_lo, s12
	v_mul_f32_e32 v9, v10, v8
	s_delay_alu instid0(VALU_DEP_1) | instskip(NEXT) | instid1(VALU_DEP_1)
	v_and_b32_e32 v8, 0x7f800000, v9
	v_cmp_ne_u32_e64 s0, 0x7f800000, v8
                                        ; implicit-def: $vgpr8
	s_delay_alu instid0(VALU_DEP_1) | instskip(NEXT) | instid1(SALU_CYCLE_1)
	s_and_saveexec_b32 s12, s0
	s_xor_b32 s0, exec_lo, s12
; %bb.1690:                             ;   in Loop: Header=BB386_808 Depth=1
	v_bfe_u32 v8, v9, 16, 1
	s_delay_alu instid0(VALU_DEP_1)
	v_add3_u32 v8, v9, v8, 0x7fff
                                        ; implicit-def: $vgpr9
; %bb.1691:                             ;   in Loop: Header=BB386_808 Depth=1
	s_and_not1_saveexec_b32 s12, s0
; %bb.1692:                             ;   in Loop: Header=BB386_808 Depth=1
	v_and_b32_e32 v8, 0xffff, v9
	v_or_b32_e32 v11, 0x10000, v9
	s_delay_alu instid0(VALU_DEP_2) | instskip(NEXT) | instid1(VALU_DEP_1)
	v_cmp_eq_u32_e64 s0, 0, v8
	v_cndmask_b32_e64 v8, v11, v9, s0
; %bb.1693:                             ;   in Loop: Header=BB386_808 Depth=1
	s_or_b32 exec_lo, exec_lo, s12
	v_lshrrev_b32_e32 v9, 16, v3
	v_mov_b32_e32 v11, 0
	s_mov_b32 s12, exec_lo
	s_delay_alu instid0(VALU_DEP_2) | instskip(NEXT) | instid1(VALU_DEP_1)
	v_and_b32_e32 v183, 0xff, v9
	v_cmpx_ne_u16_e64 0, v183
	s_cbranch_execz .LBB386_1701
; %bb.1694:                             ;   in Loop: Header=BB386_808 Depth=1
	v_bfrev_b32_e32 v11, 1
	s_mov_b32 s13, exec_lo
	v_cmpx_ne_u16_e64 0x80, v183
	s_cbranch_execz .LBB386_1700
; %bb.1695:                             ;   in Loop: Header=BB386_808 Depth=1
	v_bfe_u32 v40, v3, 16, 7
	v_mov_b32_e32 v11, 0x7f800001
	s_mov_b32 s15, exec_lo
	s_delay_alu instid0(VALU_DEP_2)
	v_cmpx_ne_u32_e32 0x7f, v40
	s_cbranch_execz .LBB386_1699
; %bb.1696:                             ;   in Loop: Header=BB386_808 Depth=1
	v_and_b32_e32 v11, 7, v9
	v_lshrrev_b32_e32 v183, 3, v40
	s_mov_b32 s16, exec_lo
	v_cmpx_gt_u32_e32 8, v40
; %bb.1697:                             ;   in Loop: Header=BB386_808 Depth=1
	s_delay_alu instid0(VALU_DEP_3) | instskip(NEXT) | instid1(VALU_DEP_1)
	v_clz_i32_u32_e32 v183, v11
	v_min_u32_e32 v183, 32, v183
	s_delay_alu instid0(VALU_DEP_1) | instskip(SKIP_1) | instid1(VALU_DEP_2)
	v_subrev_nc_u32_e32 v40, 28, v183
	v_sub_nc_u32_e32 v183, 29, v183
	v_lshlrev_b64 v[40:41], v40, v[11:12]
	s_delay_alu instid0(VALU_DEP_1)
	v_and_b32_e32 v11, 7, v40
; %bb.1698:                             ;   in Loop: Header=BB386_808 Depth=1
	s_or_b32 exec_lo, exec_lo, s16
	v_lshlrev_b32_e32 v9, 24, v9
	s_delay_alu instid0(VALU_DEP_2) | instskip(SKIP_1) | instid1(VALU_DEP_3)
	v_lshlrev_b32_e32 v11, 20, v11
	v_lshl_add_u32 v183, v183, 23, 0x3c000000
	v_and_b32_e32 v9, 0x80000000, v9
	s_delay_alu instid0(VALU_DEP_1)
	v_or3_b32 v11, v11, v9, v183
.LBB386_1699:                           ;   in Loop: Header=BB386_808 Depth=1
	s_or_b32 exec_lo, exec_lo, s15
.LBB386_1700:                           ;   in Loop: Header=BB386_808 Depth=1
	s_delay_alu instid0(SALU_CYCLE_1)
	s_or_b32 exec_lo, exec_lo, s13
.LBB386_1701:                           ;   in Loop: Header=BB386_808 Depth=1
	s_delay_alu instid0(SALU_CYCLE_1) | instskip(NEXT) | instid1(VALU_DEP_1)
	s_or_b32 exec_lo, exec_lo, s12
	v_mul_f32_e32 v11, v10, v11
	s_delay_alu instid0(VALU_DEP_1) | instskip(NEXT) | instid1(VALU_DEP_1)
	v_and_b32_e32 v9, 0x7f800000, v11
	v_cmp_ne_u32_e64 s0, 0x7f800000, v9
                                        ; implicit-def: $vgpr9
	s_delay_alu instid0(VALU_DEP_1) | instskip(NEXT) | instid1(SALU_CYCLE_1)
	s_and_saveexec_b32 s12, s0
	s_xor_b32 s0, exec_lo, s12
; %bb.1702:                             ;   in Loop: Header=BB386_808 Depth=1
	v_bfe_u32 v9, v11, 16, 1
	s_delay_alu instid0(VALU_DEP_1)
	v_add3_u32 v9, v11, v9, 0x7fff
                                        ; implicit-def: $vgpr11
; %bb.1703:                             ;   in Loop: Header=BB386_808 Depth=1
	s_and_not1_saveexec_b32 s12, s0
; %bb.1704:                             ;   in Loop: Header=BB386_808 Depth=1
	v_and_b32_e32 v9, 0xffff, v11
	v_or_b32_e32 v183, 0x10000, v11
	s_delay_alu instid0(VALU_DEP_2) | instskip(NEXT) | instid1(VALU_DEP_1)
	v_cmp_eq_u32_e64 s0, 0, v9
	v_cndmask_b32_e64 v9, v183, v11, s0
; %bb.1705:                             ;   in Loop: Header=BB386_808 Depth=1
	s_or_b32 exec_lo, exec_lo, s12
	v_mov_b32_e32 v11, 0
	s_mov_b32 s12, exec_lo
	v_cmpx_lt_u64_e64 s[8:9], v[2:3]
	s_cbranch_execz .LBB386_1713
; %bb.1706:                             ;   in Loop: Header=BB386_808 Depth=1
	v_lshrrev_b32_e32 v2, 24, v3
	v_bfrev_b32_e32 v11, 1
	s_mov_b32 s13, exec_lo
	s_delay_alu instid0(VALU_DEP_2)
	v_cmpx_ne_u32_e32 0x80, v2
	s_cbranch_execz .LBB386_1712
; %bb.1707:                             ;   in Loop: Header=BB386_808 Depth=1
	v_bfe_u32 v183, v3, 24, 7
	v_mov_b32_e32 v11, 0x7f800001
	s_mov_b32 s15, exec_lo
	s_delay_alu instid0(VALU_DEP_2)
	v_cmpx_ne_u32_e32 0x7f, v183
	s_cbranch_execz .LBB386_1711
; %bb.1708:                             ;   in Loop: Header=BB386_808 Depth=1
	v_and_b32_e32 v11, 7, v2
	v_lshrrev_b32_e32 v3, 3, v183
	s_mov_b32 s16, exec_lo
	v_cmpx_gt_u32_e32 8, v183
; %bb.1709:                             ;   in Loop: Header=BB386_808 Depth=1
	s_delay_alu instid0(VALU_DEP_3) | instskip(NEXT) | instid1(VALU_DEP_1)
	v_clz_i32_u32_e32 v3, v11
	v_min_u32_e32 v3, 32, v3
	s_delay_alu instid0(VALU_DEP_1) | instskip(SKIP_1) | instid1(VALU_DEP_2)
	v_subrev_nc_u32_e32 v183, 28, v3
	v_sub_nc_u32_e32 v3, 29, v3
	v_lshlrev_b64 v[40:41], v183, v[11:12]
	s_delay_alu instid0(VALU_DEP_1)
	v_and_b32_e32 v11, 7, v40
; %bb.1710:                             ;   in Loop: Header=BB386_808 Depth=1
	s_or_b32 exec_lo, exec_lo, s16
	v_lshlrev_b32_e32 v2, 24, v2
	s_delay_alu instid0(VALU_DEP_2) | instskip(SKIP_1) | instid1(VALU_DEP_3)
	v_lshlrev_b32_e32 v11, 20, v11
	v_lshl_add_u32 v3, v3, 23, 0x3c000000
	v_and_b32_e32 v2, 0x80000000, v2
	s_delay_alu instid0(VALU_DEP_1)
	v_or3_b32 v11, v11, v2, v3
.LBB386_1711:                           ;   in Loop: Header=BB386_808 Depth=1
	s_or_b32 exec_lo, exec_lo, s15
.LBB386_1712:                           ;   in Loop: Header=BB386_808 Depth=1
	s_delay_alu instid0(SALU_CYCLE_1)
	s_or_b32 exec_lo, exec_lo, s13
.LBB386_1713:                           ;   in Loop: Header=BB386_808 Depth=1
	s_delay_alu instid0(SALU_CYCLE_1) | instskip(NEXT) | instid1(VALU_DEP_1)
	s_or_b32 exec_lo, exec_lo, s12
	v_mul_f32_e32 v3, v10, v11
	s_delay_alu instid0(VALU_DEP_1) | instskip(NEXT) | instid1(VALU_DEP_1)
	v_and_b32_e32 v2, 0x7f800000, v3
	v_cmp_ne_u32_e64 s0, 0x7f800000, v2
                                        ; implicit-def: $vgpr2
	s_delay_alu instid0(VALU_DEP_1) | instskip(NEXT) | instid1(SALU_CYCLE_1)
	s_and_saveexec_b32 s12, s0
	s_xor_b32 s0, exec_lo, s12
; %bb.1714:                             ;   in Loop: Header=BB386_808 Depth=1
	v_bfe_u32 v2, v3, 16, 1
	s_delay_alu instid0(VALU_DEP_1)
	v_add3_u32 v2, v3, v2, 0x7fff
                                        ; implicit-def: $vgpr3
; %bb.1715:                             ;   in Loop: Header=BB386_808 Depth=1
	s_and_not1_saveexec_b32 s12, s0
; %bb.1716:                             ;   in Loop: Header=BB386_808 Depth=1
	v_and_b32_e32 v2, 0xffff, v3
	v_or_b32_e32 v11, 0x10000, v3
	s_delay_alu instid0(VALU_DEP_2) | instskip(NEXT) | instid1(VALU_DEP_1)
	v_cmp_eq_u32_e64 s0, 0, v2
	v_cndmask_b32_e64 v2, v11, v3, s0
; %bb.1717:                             ;   in Loop: Header=BB386_808 Depth=1
	s_or_b32 exec_lo, exec_lo, s12
	v_lshrrev_b32_e32 v11, 16, v8
	v_lshrrev_b32_e32 v182, 16, v182
	;; [unrolled: 1-line block ×8, first 2 shown]
	s_and_saveexec_b32 s12, vcc_lo
	s_cbranch_execz .LBB386_1719
; %bb.1718:                             ;   in Loop: Header=BB386_808 Depth=1
	v_cmp_lt_i32_e64 s0, v23, v83
	s_delay_alu instid0(VALU_DEP_1) | instskip(SKIP_1) | instid1(VALU_DEP_1)
	v_cndmask_b32_e64 v8, 0, v8, s0
	v_cmp_lt_i32_e64 s0, v66, v83
	v_cndmask_b32_e64 v179, 0, v179, s0
	v_cmp_lt_i32_e64 s0, v65, v83
	s_delay_alu instid0(VALU_DEP_1) | instskip(SKIP_1) | instid1(VALU_DEP_1)
	v_cndmask_b32_e64 v180, 0, v180, s0
	v_cmp_lt_i32_e64 s0, v55, v83
	v_cndmask_b32_e64 v181, 0, v181, s0
	;; [unrolled: 5-line block ×4, first 2 shown]
.LBB386_1719:                           ;   in Loop: Header=BB386_808 Depth=1
	s_or_b32 exec_lo, exec_lo, s12
	v_lshlrev_b32_e32 v8, 16, v8
	s_delay_alu instid0(VALU_DEP_1) | instskip(NEXT) | instid1(VALU_DEP_1)
	v_mul_f32_e32 v9, v67, v8
	v_and_b32_e32 v8, 0x7f800000, v9
	s_delay_alu instid0(VALU_DEP_1) | instskip(NEXT) | instid1(VALU_DEP_1)
	v_cmp_ne_u32_e64 s0, 0x7f800000, v8
                                        ; implicit-def: $vgpr8
	s_and_saveexec_b32 s12, s0
	s_delay_alu instid0(SALU_CYCLE_1)
	s_xor_b32 s0, exec_lo, s12
; %bb.1720:                             ;   in Loop: Header=BB386_808 Depth=1
	v_bfe_u32 v8, v9, 16, 1
	s_delay_alu instid0(VALU_DEP_1)
	v_add3_u32 v8, v9, v8, 0x7fff
                                        ; implicit-def: $vgpr9
; %bb.1721:                             ;   in Loop: Header=BB386_808 Depth=1
	s_and_not1_saveexec_b32 s12, s0
; %bb.1722:                             ;   in Loop: Header=BB386_808 Depth=1
	v_and_b32_e32 v8, 0xffff, v9
	v_or_b32_e32 v178, 0x10000, v9
	s_delay_alu instid0(VALU_DEP_2) | instskip(NEXT) | instid1(VALU_DEP_1)
	v_cmp_eq_u32_e64 s0, 0, v8
	v_cndmask_b32_e64 v8, v178, v9, s0
; %bb.1723:                             ;   in Loop: Header=BB386_808 Depth=1
	s_or_b32 exec_lo, exec_lo, s12
	v_lshlrev_b32_e32 v9, 16, v179
	s_delay_alu instid0(VALU_DEP_1) | instskip(NEXT) | instid1(VALU_DEP_1)
	v_mul_f32_e32 v178, v68, v9
	v_and_b32_e32 v9, 0x7f800000, v178
	s_delay_alu instid0(VALU_DEP_1) | instskip(NEXT) | instid1(VALU_DEP_1)
	v_cmp_ne_u32_e64 s0, 0x7f800000, v9
                                        ; implicit-def: $vgpr9
	s_and_saveexec_b32 s12, s0
	s_delay_alu instid0(SALU_CYCLE_1)
	s_xor_b32 s0, exec_lo, s12
; %bb.1724:                             ;   in Loop: Header=BB386_808 Depth=1
	v_bfe_u32 v9, v178, 16, 1
	s_delay_alu instid0(VALU_DEP_1)
	v_add3_u32 v9, v178, v9, 0x7fff
                                        ; implicit-def: $vgpr178
; %bb.1725:                             ;   in Loop: Header=BB386_808 Depth=1
	s_and_not1_saveexec_b32 s12, s0
; %bb.1726:                             ;   in Loop: Header=BB386_808 Depth=1
	v_and_b32_e32 v9, 0xffff, v178
	v_or_b32_e32 v179, 0x10000, v178
	s_delay_alu instid0(VALU_DEP_2) | instskip(NEXT) | instid1(VALU_DEP_1)
	v_cmp_eq_u32_e64 s0, 0, v9
	v_cndmask_b32_e64 v9, v179, v178, s0
; %bb.1727:                             ;   in Loop: Header=BB386_808 Depth=1
	s_or_b32 exec_lo, exec_lo, s12
	v_lshlrev_b32_e32 v178, 16, v180
	s_delay_alu instid0(VALU_DEP_1) | instskip(NEXT) | instid1(VALU_DEP_1)
	v_mul_f32_e32 v179, v69, v178
	v_and_b32_e32 v178, 0x7f800000, v179
	s_delay_alu instid0(VALU_DEP_1) | instskip(NEXT) | instid1(VALU_DEP_1)
	v_cmp_ne_u32_e64 s0, 0x7f800000, v178
                                        ; implicit-def: $vgpr178
	s_and_saveexec_b32 s12, s0
	s_delay_alu instid0(SALU_CYCLE_1)
	s_xor_b32 s0, exec_lo, s12
; %bb.1728:                             ;   in Loop: Header=BB386_808 Depth=1
	v_bfe_u32 v178, v179, 16, 1
	s_delay_alu instid0(VALU_DEP_1)
	v_add3_u32 v178, v179, v178, 0x7fff
                                        ; implicit-def: $vgpr179
; %bb.1729:                             ;   in Loop: Header=BB386_808 Depth=1
	s_and_not1_saveexec_b32 s12, s0
; %bb.1730:                             ;   in Loop: Header=BB386_808 Depth=1
	v_and_b32_e32 v178, 0xffff, v179
	v_or_b32_e32 v180, 0x10000, v179
	s_delay_alu instid0(VALU_DEP_2) | instskip(NEXT) | instid1(VALU_DEP_1)
	v_cmp_eq_u32_e64 s0, 0, v178
	v_cndmask_b32_e64 v178, v180, v179, s0
; %bb.1731:                             ;   in Loop: Header=BB386_808 Depth=1
	s_or_b32 exec_lo, exec_lo, s12
	v_lshlrev_b32_e32 v179, 16, v181
	s_delay_alu instid0(VALU_DEP_1) | instskip(NEXT) | instid1(VALU_DEP_1)
	v_mul_f32_e32 v180, v70, v179
	v_and_b32_e32 v179, 0x7f800000, v180
	s_delay_alu instid0(VALU_DEP_1) | instskip(NEXT) | instid1(VALU_DEP_1)
	v_cmp_ne_u32_e64 s0, 0x7f800000, v179
                                        ; implicit-def: $vgpr179
	s_and_saveexec_b32 s12, s0
	s_delay_alu instid0(SALU_CYCLE_1)
	s_xor_b32 s0, exec_lo, s12
; %bb.1732:                             ;   in Loop: Header=BB386_808 Depth=1
	v_bfe_u32 v179, v180, 16, 1
	s_delay_alu instid0(VALU_DEP_1)
	v_add3_u32 v179, v180, v179, 0x7fff
                                        ; implicit-def: $vgpr180
; %bb.1733:                             ;   in Loop: Header=BB386_808 Depth=1
	s_and_not1_saveexec_b32 s12, s0
; %bb.1734:                             ;   in Loop: Header=BB386_808 Depth=1
	v_and_b32_e32 v179, 0xffff, v180
	v_or_b32_e32 v181, 0x10000, v180
	s_delay_alu instid0(VALU_DEP_2) | instskip(NEXT) | instid1(VALU_DEP_1)
	v_cmp_eq_u32_e64 s0, 0, v179
	v_cndmask_b32_e64 v179, v181, v180, s0
; %bb.1735:                             ;   in Loop: Header=BB386_808 Depth=1
	s_or_b32 exec_lo, exec_lo, s12
	v_lshlrev_b32_e32 v180, 16, v182
	s_delay_alu instid0(VALU_DEP_1) | instskip(NEXT) | instid1(VALU_DEP_1)
	v_mul_f32_e32 v181, v71, v180
	v_and_b32_e32 v180, 0x7f800000, v181
	s_delay_alu instid0(VALU_DEP_1) | instskip(NEXT) | instid1(VALU_DEP_1)
	v_cmp_ne_u32_e64 s0, 0x7f800000, v180
                                        ; implicit-def: $vgpr180
	s_and_saveexec_b32 s12, s0
	s_delay_alu instid0(SALU_CYCLE_1)
	s_xor_b32 s0, exec_lo, s12
; %bb.1736:                             ;   in Loop: Header=BB386_808 Depth=1
	v_bfe_u32 v180, v181, 16, 1
	s_delay_alu instid0(VALU_DEP_1)
	v_add3_u32 v180, v181, v180, 0x7fff
                                        ; implicit-def: $vgpr181
; %bb.1737:                             ;   in Loop: Header=BB386_808 Depth=1
	s_and_not1_saveexec_b32 s12, s0
; %bb.1738:                             ;   in Loop: Header=BB386_808 Depth=1
	v_and_b32_e32 v180, 0xffff, v181
	v_or_b32_e32 v182, 0x10000, v181
	s_delay_alu instid0(VALU_DEP_2) | instskip(NEXT) | instid1(VALU_DEP_1)
	v_cmp_eq_u32_e64 s0, 0, v180
	v_cndmask_b32_e64 v180, v182, v181, s0
; %bb.1739:                             ;   in Loop: Header=BB386_808 Depth=1
	s_or_b32 exec_lo, exec_lo, s12
	v_lshlrev_b32_e32 v11, 16, v11
	s_delay_alu instid0(VALU_DEP_1) | instskip(NEXT) | instid1(VALU_DEP_1)
	v_mul_f32_e32 v11, v80, v11
	v_and_b32_e32 v181, 0x7f800000, v11
	s_delay_alu instid0(VALU_DEP_1) | instskip(NEXT) | instid1(VALU_DEP_1)
	v_cmp_ne_u32_e64 s0, 0x7f800000, v181
                                        ; implicit-def: $vgpr181
	s_and_saveexec_b32 s12, s0
	s_delay_alu instid0(SALU_CYCLE_1)
	s_xor_b32 s0, exec_lo, s12
; %bb.1740:                             ;   in Loop: Header=BB386_808 Depth=1
	v_bfe_u32 v181, v11, 16, 1
	s_delay_alu instid0(VALU_DEP_1)
	v_add3_u32 v181, v11, v181, 0x7fff
                                        ; implicit-def: $vgpr11
; %bb.1741:                             ;   in Loop: Header=BB386_808 Depth=1
	s_and_not1_saveexec_b32 s12, s0
; %bb.1742:                             ;   in Loop: Header=BB386_808 Depth=1
	v_and_b32_e32 v181, 0xffff, v11
	v_or_b32_e32 v182, 0x10000, v11
	s_delay_alu instid0(VALU_DEP_2) | instskip(NEXT) | instid1(VALU_DEP_1)
	v_cmp_eq_u32_e64 s0, 0, v181
	v_cndmask_b32_e64 v181, v182, v11, s0
; %bb.1743:                             ;   in Loop: Header=BB386_808 Depth=1
	s_or_b32 exec_lo, exec_lo, s12
	v_lshlrev_b32_e32 v3, 16, v3
                                        ; implicit-def: $vgpr182
	s_delay_alu instid0(VALU_DEP_1) | instskip(NEXT) | instid1(VALU_DEP_1)
	v_mul_f32_e32 v3, v81, v3
	v_and_b32_e32 v11, 0x7f800000, v3
	s_delay_alu instid0(VALU_DEP_1) | instskip(NEXT) | instid1(VALU_DEP_1)
	v_cmp_ne_u32_e64 s0, 0x7f800000, v11
	s_and_saveexec_b32 s12, s0
	s_delay_alu instid0(SALU_CYCLE_1)
	s_xor_b32 s0, exec_lo, s12
; %bb.1744:                             ;   in Loop: Header=BB386_808 Depth=1
	v_bfe_u32 v11, v3, 16, 1
	s_delay_alu instid0(VALU_DEP_1)
	v_add3_u32 v182, v3, v11, 0x7fff
                                        ; implicit-def: $vgpr3
; %bb.1745:                             ;   in Loop: Header=BB386_808 Depth=1
	s_and_not1_saveexec_b32 s12, s0
; %bb.1746:                             ;   in Loop: Header=BB386_808 Depth=1
	v_and_b32_e32 v11, 0xffff, v3
	v_or_b32_e32 v182, 0x10000, v3
	s_delay_alu instid0(VALU_DEP_2) | instskip(NEXT) | instid1(VALU_DEP_1)
	v_cmp_eq_u32_e64 s0, 0, v11
	v_cndmask_b32_e64 v182, v182, v3, s0
; %bb.1747:                             ;   in Loop: Header=BB386_808 Depth=1
	s_or_b32 exec_lo, exec_lo, s12
	v_lshlrev_b32_e32 v2, 16, v2
                                        ; implicit-def: $vgpr183
	s_delay_alu instid0(VALU_DEP_1) | instskip(NEXT) | instid1(VALU_DEP_1)
	v_mul_f32_e32 v2, v97, v2
	v_and_b32_e32 v3, 0x7f800000, v2
	s_delay_alu instid0(VALU_DEP_1) | instskip(NEXT) | instid1(VALU_DEP_1)
	v_cmp_ne_u32_e64 s0, 0x7f800000, v3
	s_and_saveexec_b32 s12, s0
	s_delay_alu instid0(SALU_CYCLE_1)
	s_xor_b32 s0, exec_lo, s12
; %bb.1748:                             ;   in Loop: Header=BB386_808 Depth=1
	v_bfe_u32 v3, v2, 16, 1
	s_delay_alu instid0(VALU_DEP_1)
	v_add3_u32 v183, v2, v3, 0x7fff
                                        ; implicit-def: $vgpr2
; %bb.1749:                             ;   in Loop: Header=BB386_808 Depth=1
	s_and_not1_saveexec_b32 s12, s0
; %bb.1750:                             ;   in Loop: Header=BB386_808 Depth=1
	v_and_b32_e32 v3, 0xffff, v2
	v_or_b32_e32 v11, 0x10000, v2
	s_delay_alu instid0(VALU_DEP_2) | instskip(NEXT) | instid1(VALU_DEP_1)
	v_cmp_eq_u32_e64 s0, 0, v3
	v_cndmask_b32_e64 v183, v11, v2, s0
; %bb.1751:                             ;   in Loop: Header=BB386_808 Depth=1
	s_or_b32 exec_lo, exec_lo, s12
	flat_load_b64 v[0:1], v[0:1] offset:1792
	s_mov_b32 s12, exec_lo
	s_waitcnt vmcnt(0) lgkmcnt(0)
	v_dual_mov_b32 v2, 0 :: v_dual_and_b32 v3, 0xff, v0
	s_delay_alu instid0(VALU_DEP_1)
	v_cmpx_ne_u16_e32 0, v3
	s_cbranch_execz .LBB386_1759
; %bb.1752:                             ;   in Loop: Header=BB386_808 Depth=1
	v_bfrev_b32_e32 v2, 1
	s_mov_b32 s13, exec_lo
	v_cmpx_ne_u16_e32 0x80, v3
	s_cbranch_execz .LBB386_1758
; %bb.1753:                             ;   in Loop: Header=BB386_808 Depth=1
	v_and_b32_e32 v3, 0x7f, v0
	v_mov_b32_e32 v2, 0x7f800001
	s_mov_b32 s15, exec_lo
	s_delay_alu instid0(VALU_DEP_2)
	v_cmpx_ne_u32_e32 0x7f, v3
	s_cbranch_execz .LBB386_1757
; %bb.1754:                             ;   in Loop: Header=BB386_808 Depth=1
	v_lshrrev_b32_e32 v11, 3, v3
	v_cmp_gt_u32_e64 s0, 8, v3
	v_dual_mov_b32 v3, v1 :: v_dual_mov_b32 v2, v0
	s_delay_alu instid0(VALU_DEP_2)
	s_and_saveexec_b32 s16, s0
; %bb.1755:                             ;   in Loop: Header=BB386_808 Depth=1
	v_and_b32_e32 v2, 7, v0
	s_delay_alu instid0(VALU_DEP_1) | instskip(NEXT) | instid1(VALU_DEP_1)
	v_clz_i32_u32_e32 v2, v2
	v_min_u32_e32 v11, 32, v2
	s_delay_alu instid0(VALU_DEP_1) | instskip(SKIP_1) | instid1(VALU_DEP_2)
	v_subrev_nc_u32_e32 v2, 28, v11
	v_sub_nc_u32_e32 v11, 29, v11
	v_lshlrev_b64 v[2:3], v2, v[0:1]
; %bb.1756:                             ;   in Loop: Header=BB386_808 Depth=1
	s_or_b32 exec_lo, exec_lo, s16
	s_delay_alu instid0(VALU_DEP_1) | instskip(SKIP_2) | instid1(VALU_DEP_3)
	v_lshlrev_b32_e32 v2, 20, v2
	v_lshlrev_b32_e32 v3, 24, v0
	v_lshl_add_u32 v11, v11, 23, 0x3c000000
	v_and_b32_e32 v2, 0x700000, v2
	s_delay_alu instid0(VALU_DEP_3) | instskip(NEXT) | instid1(VALU_DEP_1)
	v_and_b32_e32 v3, 0x80000000, v3
	v_or3_b32 v2, v2, v3, v11
.LBB386_1757:                           ;   in Loop: Header=BB386_808 Depth=1
	s_or_b32 exec_lo, exec_lo, s15
.LBB386_1758:                           ;   in Loop: Header=BB386_808 Depth=1
	s_delay_alu instid0(SALU_CYCLE_1)
	s_or_b32 exec_lo, exec_lo, s13
.LBB386_1759:                           ;   in Loop: Header=BB386_808 Depth=1
	s_delay_alu instid0(SALU_CYCLE_1) | instskip(NEXT) | instid1(VALU_DEP_1)
	s_or_b32 exec_lo, exec_lo, s12
	v_mul_f32_e32 v2, v10, v2
                                        ; implicit-def: $vgpr40
	s_delay_alu instid0(VALU_DEP_1) | instskip(NEXT) | instid1(VALU_DEP_1)
	v_and_b32_e32 v3, 0x7f800000, v2
	v_cmp_ne_u32_e64 s0, 0x7f800000, v3
	s_delay_alu instid0(VALU_DEP_1) | instskip(NEXT) | instid1(SALU_CYCLE_1)
	s_and_saveexec_b32 s12, s0
	s_xor_b32 s0, exec_lo, s12
; %bb.1760:                             ;   in Loop: Header=BB386_808 Depth=1
	v_bfe_u32 v3, v2, 16, 1
	s_delay_alu instid0(VALU_DEP_1)
	v_add3_u32 v40, v2, v3, 0x7fff
                                        ; implicit-def: $vgpr2
; %bb.1761:                             ;   in Loop: Header=BB386_808 Depth=1
	s_and_not1_saveexec_b32 s12, s0
; %bb.1762:                             ;   in Loop: Header=BB386_808 Depth=1
	v_and_b32_e32 v3, 0xffff, v2
	v_or_b32_e32 v11, 0x10000, v2
	s_delay_alu instid0(VALU_DEP_2) | instskip(NEXT) | instid1(VALU_DEP_1)
	v_cmp_eq_u32_e64 s0, 0, v3
	v_cndmask_b32_e64 v40, v11, v2, s0
; %bb.1763:                             ;   in Loop: Header=BB386_808 Depth=1
	s_or_b32 exec_lo, exec_lo, s12
	v_lshrrev_b16 v3, 8, v0
	v_mov_b32_e32 v2, 0
	s_mov_b32 s12, exec_lo
	s_delay_alu instid0(VALU_DEP_2)
	v_cmpx_ne_u16_e32 0, v3
	s_cbranch_execz .LBB386_1771
; %bb.1764:                             ;   in Loop: Header=BB386_808 Depth=1
	v_bfrev_b32_e32 v2, 1
	s_mov_b32 s13, exec_lo
	v_cmpx_ne_u16_e32 0x80, v3
	s_cbranch_execz .LBB386_1770
; %bb.1765:                             ;   in Loop: Header=BB386_808 Depth=1
	v_and_b32_e32 v11, 0xffff, v3
	v_mov_b32_e32 v2, 0x7f800001
	s_mov_b32 s15, exec_lo
	s_delay_alu instid0(VALU_DEP_2) | instskip(NEXT) | instid1(VALU_DEP_1)
	v_and_b32_e32 v3, 0x7f, v11
	v_cmpx_ne_u32_e32 0x7f, v3
	s_cbranch_execz .LBB386_1769
; %bb.1766:                             ;   in Loop: Header=BB386_808 Depth=1
	v_and_b32_e32 v11, 7, v11
	v_lshrrev_b32_e32 v2, 3, v3
	s_mov_b32 s16, exec_lo
	v_cmpx_gt_u32_e32 8, v3
; %bb.1767:                             ;   in Loop: Header=BB386_808 Depth=1
	s_delay_alu instid0(VALU_DEP_3) | instskip(NEXT) | instid1(VALU_DEP_1)
	v_clz_i32_u32_e32 v2, v11
	v_min_u32_e32 v2, 32, v2
	s_delay_alu instid0(VALU_DEP_1) | instskip(SKIP_1) | instid1(VALU_DEP_2)
	v_subrev_nc_u32_e32 v3, 28, v2
	v_sub_nc_u32_e32 v2, 29, v2
	v_lshlrev_b64 v[41:42], v3, v[11:12]
	s_delay_alu instid0(VALU_DEP_1)
	v_and_b32_e32 v11, 7, v41
; %bb.1768:                             ;   in Loop: Header=BB386_808 Depth=1
	s_or_b32 exec_lo, exec_lo, s16
	v_lshlrev_b32_e32 v3, 16, v0
	s_delay_alu instid0(VALU_DEP_2) | instskip(SKIP_1) | instid1(VALU_DEP_3)
	v_lshlrev_b32_e32 v11, 20, v11
	v_lshl_add_u32 v2, v2, 23, 0x3c000000
	v_and_b32_e32 v3, 0x80000000, v3
	s_delay_alu instid0(VALU_DEP_1)
	v_or3_b32 v2, v11, v3, v2
.LBB386_1769:                           ;   in Loop: Header=BB386_808 Depth=1
	s_or_b32 exec_lo, exec_lo, s15
.LBB386_1770:                           ;   in Loop: Header=BB386_808 Depth=1
	s_delay_alu instid0(SALU_CYCLE_1)
	s_or_b32 exec_lo, exec_lo, s13
.LBB386_1771:                           ;   in Loop: Header=BB386_808 Depth=1
	s_delay_alu instid0(SALU_CYCLE_1) | instskip(NEXT) | instid1(VALU_DEP_1)
	s_or_b32 exec_lo, exec_lo, s12
	v_mul_f32_e32 v2, v10, v2
                                        ; implicit-def: $vgpr41
	s_delay_alu instid0(VALU_DEP_1) | instskip(NEXT) | instid1(VALU_DEP_1)
	v_and_b32_e32 v3, 0x7f800000, v2
	v_cmp_ne_u32_e64 s0, 0x7f800000, v3
	s_delay_alu instid0(VALU_DEP_1) | instskip(NEXT) | instid1(SALU_CYCLE_1)
	s_and_saveexec_b32 s12, s0
	s_xor_b32 s0, exec_lo, s12
; %bb.1772:                             ;   in Loop: Header=BB386_808 Depth=1
	v_bfe_u32 v3, v2, 16, 1
	s_delay_alu instid0(VALU_DEP_1)
	v_add3_u32 v41, v2, v3, 0x7fff
                                        ; implicit-def: $vgpr2
; %bb.1773:                             ;   in Loop: Header=BB386_808 Depth=1
	s_and_not1_saveexec_b32 s12, s0
; %bb.1774:                             ;   in Loop: Header=BB386_808 Depth=1
	v_and_b32_e32 v3, 0xffff, v2
	v_or_b32_e32 v11, 0x10000, v2
	s_delay_alu instid0(VALU_DEP_2) | instskip(NEXT) | instid1(VALU_DEP_1)
	v_cmp_eq_u32_e64 s0, 0, v3
	v_cndmask_b32_e64 v41, v11, v2, s0
; %bb.1775:                             ;   in Loop: Header=BB386_808 Depth=1
	s_or_b32 exec_lo, exec_lo, s12
	v_lshrrev_b32_e32 v2, 16, v0
	v_mov_b32_e32 v3, 0
	s_mov_b32 s12, exec_lo
	s_delay_alu instid0(VALU_DEP_2) | instskip(NEXT) | instid1(VALU_DEP_1)
	v_and_b32_e32 v11, 0xff, v2
	v_cmpx_ne_u16_e32 0, v11
	s_cbranch_execz .LBB386_1783
; %bb.1776:                             ;   in Loop: Header=BB386_808 Depth=1
	v_bfrev_b32_e32 v3, 1
	s_mov_b32 s13, exec_lo
	v_cmpx_ne_u16_e32 0x80, v11
	s_cbranch_execz .LBB386_1782
; %bb.1777:                             ;   in Loop: Header=BB386_808 Depth=1
	v_bfe_u32 v42, v0, 16, 7
	v_mov_b32_e32 v3, 0x7f800001
	s_mov_b32 s15, exec_lo
	s_delay_alu instid0(VALU_DEP_2)
	v_cmpx_ne_u32_e32 0x7f, v42
	s_cbranch_execz .LBB386_1781
; %bb.1778:                             ;   in Loop: Header=BB386_808 Depth=1
	v_and_b32_e32 v11, 7, v2
	v_lshrrev_b32_e32 v3, 3, v42
	s_mov_b32 s16, exec_lo
	v_cmpx_gt_u32_e32 8, v42
; %bb.1779:                             ;   in Loop: Header=BB386_808 Depth=1
	s_delay_alu instid0(VALU_DEP_3) | instskip(NEXT) | instid1(VALU_DEP_1)
	v_clz_i32_u32_e32 v3, v11
	v_min_u32_e32 v3, 32, v3
	s_delay_alu instid0(VALU_DEP_1) | instskip(SKIP_1) | instid1(VALU_DEP_2)
	v_subrev_nc_u32_e32 v42, 28, v3
	v_sub_nc_u32_e32 v3, 29, v3
	v_lshlrev_b64 v[42:43], v42, v[11:12]
	s_delay_alu instid0(VALU_DEP_1)
	v_and_b32_e32 v11, 7, v42
; %bb.1780:                             ;   in Loop: Header=BB386_808 Depth=1
	s_or_b32 exec_lo, exec_lo, s16
	v_lshlrev_b32_e32 v2, 24, v2
	s_delay_alu instid0(VALU_DEP_2) | instskip(SKIP_1) | instid1(VALU_DEP_3)
	v_lshlrev_b32_e32 v11, 20, v11
	v_lshl_add_u32 v3, v3, 23, 0x3c000000
	v_and_b32_e32 v2, 0x80000000, v2
	s_delay_alu instid0(VALU_DEP_1)
	v_or3_b32 v3, v11, v2, v3
.LBB386_1781:                           ;   in Loop: Header=BB386_808 Depth=1
	s_or_b32 exec_lo, exec_lo, s15
.LBB386_1782:                           ;   in Loop: Header=BB386_808 Depth=1
	s_delay_alu instid0(SALU_CYCLE_1)
	s_or_b32 exec_lo, exec_lo, s13
.LBB386_1783:                           ;   in Loop: Header=BB386_808 Depth=1
	s_delay_alu instid0(SALU_CYCLE_1) | instskip(NEXT) | instid1(VALU_DEP_1)
	s_or_b32 exec_lo, exec_lo, s12
	v_mul_f32_e32 v2, v10, v3
                                        ; implicit-def: $vgpr42
	s_delay_alu instid0(VALU_DEP_1) | instskip(NEXT) | instid1(VALU_DEP_1)
	v_and_b32_e32 v3, 0x7f800000, v2
	v_cmp_ne_u32_e64 s0, 0x7f800000, v3
	s_delay_alu instid0(VALU_DEP_1) | instskip(NEXT) | instid1(SALU_CYCLE_1)
	s_and_saveexec_b32 s12, s0
	s_xor_b32 s0, exec_lo, s12
; %bb.1784:                             ;   in Loop: Header=BB386_808 Depth=1
	v_bfe_u32 v3, v2, 16, 1
	s_delay_alu instid0(VALU_DEP_1)
	v_add3_u32 v42, v2, v3, 0x7fff
                                        ; implicit-def: $vgpr2
; %bb.1785:                             ;   in Loop: Header=BB386_808 Depth=1
	s_and_not1_saveexec_b32 s12, s0
; %bb.1786:                             ;   in Loop: Header=BB386_808 Depth=1
	v_and_b32_e32 v3, 0xffff, v2
	v_or_b32_e32 v11, 0x10000, v2
	s_delay_alu instid0(VALU_DEP_2) | instskip(NEXT) | instid1(VALU_DEP_1)
	v_cmp_eq_u32_e64 s0, 0, v3
	v_cndmask_b32_e64 v42, v11, v2, s0
; %bb.1787:                             ;   in Loop: Header=BB386_808 Depth=1
	s_or_b32 exec_lo, exec_lo, s12
	v_mov_b32_e32 v3, 0
	s_mov_b32 s12, exec_lo
	v_cmpx_lt_u32_e32 0xffffff, v0
	s_cbranch_execz .LBB386_1795
; %bb.1788:                             ;   in Loop: Header=BB386_808 Depth=1
	v_lshrrev_b32_e32 v2, 24, v0
	v_bfrev_b32_e32 v3, 1
	s_mov_b32 s13, exec_lo
	s_delay_alu instid0(VALU_DEP_2)
	v_cmpx_ne_u32_e32 0x80, v2
	s_cbranch_execz .LBB386_1794
; %bb.1789:                             ;   in Loop: Header=BB386_808 Depth=1
	v_bfe_u32 v43, v0, 24, 7
	v_mov_b32_e32 v3, 0x7f800001
	s_mov_b32 s15, exec_lo
	s_delay_alu instid0(VALU_DEP_2)
	v_cmpx_ne_u32_e32 0x7f, v43
	s_cbranch_execz .LBB386_1793
; %bb.1790:                             ;   in Loop: Header=BB386_808 Depth=1
	v_and_b32_e32 v11, 7, v2
	v_lshrrev_b32_e32 v3, 3, v43
	s_mov_b32 s16, exec_lo
	v_cmpx_gt_u32_e32 8, v43
; %bb.1791:                             ;   in Loop: Header=BB386_808 Depth=1
	s_delay_alu instid0(VALU_DEP_3) | instskip(NEXT) | instid1(VALU_DEP_1)
	v_clz_i32_u32_e32 v3, v11
	v_min_u32_e32 v3, 32, v3
	s_delay_alu instid0(VALU_DEP_1) | instskip(SKIP_1) | instid1(VALU_DEP_2)
	v_subrev_nc_u32_e32 v43, 28, v3
	v_sub_nc_u32_e32 v3, 29, v3
	v_lshlrev_b64 v[43:44], v43, v[11:12]
	s_delay_alu instid0(VALU_DEP_1)
	v_and_b32_e32 v11, 7, v43
; %bb.1792:                             ;   in Loop: Header=BB386_808 Depth=1
	s_or_b32 exec_lo, exec_lo, s16
	v_lshlrev_b32_e32 v2, 24, v2
	s_delay_alu instid0(VALU_DEP_2) | instskip(SKIP_1) | instid1(VALU_DEP_3)
	v_lshlrev_b32_e32 v11, 20, v11
	v_lshl_add_u32 v3, v3, 23, 0x3c000000
	v_and_b32_e32 v2, 0x80000000, v2
	s_delay_alu instid0(VALU_DEP_1)
	v_or3_b32 v3, v11, v2, v3
.LBB386_1793:                           ;   in Loop: Header=BB386_808 Depth=1
	s_or_b32 exec_lo, exec_lo, s15
.LBB386_1794:                           ;   in Loop: Header=BB386_808 Depth=1
	s_delay_alu instid0(SALU_CYCLE_1)
	s_or_b32 exec_lo, exec_lo, s13
.LBB386_1795:                           ;   in Loop: Header=BB386_808 Depth=1
	s_delay_alu instid0(SALU_CYCLE_1) | instskip(NEXT) | instid1(VALU_DEP_1)
	s_or_b32 exec_lo, exec_lo, s12
	v_mul_f32_e32 v2, v10, v3
                                        ; implicit-def: $vgpr43
	s_delay_alu instid0(VALU_DEP_1) | instskip(NEXT) | instid1(VALU_DEP_1)
	v_and_b32_e32 v3, 0x7f800000, v2
	v_cmp_ne_u32_e64 s0, 0x7f800000, v3
	s_delay_alu instid0(VALU_DEP_1) | instskip(NEXT) | instid1(SALU_CYCLE_1)
	s_and_saveexec_b32 s12, s0
	s_xor_b32 s0, exec_lo, s12
; %bb.1796:                             ;   in Loop: Header=BB386_808 Depth=1
	v_bfe_u32 v3, v2, 16, 1
	s_delay_alu instid0(VALU_DEP_1)
	v_add3_u32 v43, v2, v3, 0x7fff
                                        ; implicit-def: $vgpr2
; %bb.1797:                             ;   in Loop: Header=BB386_808 Depth=1
	s_and_not1_saveexec_b32 s12, s0
; %bb.1798:                             ;   in Loop: Header=BB386_808 Depth=1
	v_and_b32_e32 v3, 0xffff, v2
	v_or_b32_e32 v11, 0x10000, v2
	s_delay_alu instid0(VALU_DEP_2) | instskip(NEXT) | instid1(VALU_DEP_1)
	v_cmp_eq_u32_e64 s0, 0, v3
	v_cndmask_b32_e64 v43, v11, v2, s0
; %bb.1799:                             ;   in Loop: Header=BB386_808 Depth=1
	s_or_b32 exec_lo, exec_lo, s12
	v_dual_mov_b32 v2, 0 :: v_dual_and_b32 v3, 0xff, v1
	v_mov_b32_e32 v11, v1
	s_mov_b32 s12, exec_lo
	s_delay_alu instid0(VALU_DEP_2)
	v_cmpx_ne_u16_e32 0, v3
	s_cbranch_execz .LBB386_1807
; %bb.1800:                             ;   in Loop: Header=BB386_808 Depth=1
	v_bfrev_b32_e32 v2, 1
	s_mov_b32 s13, exec_lo
	v_cmpx_ne_u16_e32 0x80, v3
	s_cbranch_execz .LBB386_1806
; %bb.1801:                             ;   in Loop: Header=BB386_808 Depth=1
	v_and_b32_e32 v3, 0x7f, v1
	v_mov_b32_e32 v2, 0x7f800001
	s_mov_b32 s15, exec_lo
	s_delay_alu instid0(VALU_DEP_2)
	v_cmpx_ne_u32_e32 0x7f, v3
	s_cbranch_execz .LBB386_1805
; %bb.1802:                             ;   in Loop: Header=BB386_808 Depth=1
	v_lshrrev_b32_e32 v44, 3, v3
	v_cmp_gt_u32_e64 s0, 8, v3
	v_dual_mov_b32 v2, v11 :: v_dual_mov_b32 v3, v12
	s_delay_alu instid0(VALU_DEP_2)
	s_and_saveexec_b32 s16, s0
; %bb.1803:                             ;   in Loop: Header=BB386_808 Depth=1
	v_and_b32_e32 v2, 7, v1
	s_delay_alu instid0(VALU_DEP_1) | instskip(NEXT) | instid1(VALU_DEP_1)
	v_clz_i32_u32_e32 v2, v2
	v_min_u32_e32 v44, 32, v2
	s_delay_alu instid0(VALU_DEP_1) | instskip(SKIP_1) | instid1(VALU_DEP_2)
	v_subrev_nc_u32_e32 v2, 28, v44
	v_sub_nc_u32_e32 v44, 29, v44
	v_lshlrev_b64 v[2:3], v2, v[11:12]
; %bb.1804:                             ;   in Loop: Header=BB386_808 Depth=1
	s_or_b32 exec_lo, exec_lo, s16
	s_delay_alu instid0(VALU_DEP_1) | instskip(SKIP_2) | instid1(VALU_DEP_3)
	v_lshlrev_b32_e32 v2, 20, v2
	v_lshlrev_b32_e32 v3, 24, v11
	v_lshl_add_u32 v44, v44, 23, 0x3c000000
	v_and_b32_e32 v2, 0x700000, v2
	s_delay_alu instid0(VALU_DEP_3) | instskip(NEXT) | instid1(VALU_DEP_1)
	v_and_b32_e32 v3, 0x80000000, v3
	v_or3_b32 v2, v2, v3, v44
.LBB386_1805:                           ;   in Loop: Header=BB386_808 Depth=1
	s_or_b32 exec_lo, exec_lo, s15
.LBB386_1806:                           ;   in Loop: Header=BB386_808 Depth=1
	s_delay_alu instid0(SALU_CYCLE_1)
	s_or_b32 exec_lo, exec_lo, s13
.LBB386_1807:                           ;   in Loop: Header=BB386_808 Depth=1
	s_delay_alu instid0(SALU_CYCLE_1) | instskip(NEXT) | instid1(VALU_DEP_1)
	s_or_b32 exec_lo, exec_lo, s12
	v_mul_f32_e32 v2, v10, v2
                                        ; implicit-def: $vgpr44
	s_delay_alu instid0(VALU_DEP_1) | instskip(NEXT) | instid1(VALU_DEP_1)
	v_and_b32_e32 v3, 0x7f800000, v2
	v_cmp_ne_u32_e64 s0, 0x7f800000, v3
	s_delay_alu instid0(VALU_DEP_1) | instskip(NEXT) | instid1(SALU_CYCLE_1)
	s_and_saveexec_b32 s12, s0
	s_xor_b32 s0, exec_lo, s12
; %bb.1808:                             ;   in Loop: Header=BB386_808 Depth=1
	v_bfe_u32 v3, v2, 16, 1
	s_delay_alu instid0(VALU_DEP_1)
	v_add3_u32 v44, v2, v3, 0x7fff
                                        ; implicit-def: $vgpr2
; %bb.1809:                             ;   in Loop: Header=BB386_808 Depth=1
	s_and_not1_saveexec_b32 s12, s0
; %bb.1810:                             ;   in Loop: Header=BB386_808 Depth=1
	v_and_b32_e32 v3, 0xffff, v2
	v_or_b32_e32 v44, 0x10000, v2
	s_delay_alu instid0(VALU_DEP_2) | instskip(NEXT) | instid1(VALU_DEP_1)
	v_cmp_eq_u32_e64 s0, 0, v3
	v_cndmask_b32_e64 v44, v44, v2, s0
; %bb.1811:                             ;   in Loop: Header=BB386_808 Depth=1
	s_or_b32 exec_lo, exec_lo, s12
	v_lshrrev_b16 v3, 8, v11
	v_mov_b32_e32 v2, 0
	s_mov_b32 s12, exec_lo
	s_delay_alu instid0(VALU_DEP_2)
	v_cmpx_ne_u16_e32 0, v3
	s_cbranch_execz .LBB386_1819
; %bb.1812:                             ;   in Loop: Header=BB386_808 Depth=1
	v_bfrev_b32_e32 v2, 1
	s_mov_b32 s13, exec_lo
	v_cmpx_ne_u16_e32 0x80, v3
	s_cbranch_execz .LBB386_1818
; %bb.1813:                             ;   in Loop: Header=BB386_808 Depth=1
	v_and_b32_e32 v3, 0xffff, v3
	v_mov_b32_e32 v2, 0x7f800001
	s_mov_b32 s15, exec_lo
	s_delay_alu instid0(VALU_DEP_2) | instskip(NEXT) | instid1(VALU_DEP_1)
	v_and_b32_e32 v46, 0x7f, v3
	v_cmpx_ne_u32_e32 0x7f, v46
	s_cbranch_execz .LBB386_1817
; %bb.1814:                             ;   in Loop: Header=BB386_808 Depth=1
	v_dual_mov_b32 v3, v12 :: v_dual_and_b32 v2, 7, v3
	v_lshrrev_b32_e32 v45, 3, v46
	s_mov_b32 s16, exec_lo
	v_cmpx_gt_u32_e32 8, v46
; %bb.1815:                             ;   in Loop: Header=BB386_808 Depth=1
	s_delay_alu instid0(VALU_DEP_3) | instskip(NEXT) | instid1(VALU_DEP_1)
	v_clz_i32_u32_e32 v45, v2
	v_min_u32_e32 v45, 32, v45
	s_delay_alu instid0(VALU_DEP_1) | instskip(SKIP_1) | instid1(VALU_DEP_2)
	v_subrev_nc_u32_e32 v46, 28, v45
	v_sub_nc_u32_e32 v45, 29, v45
	v_lshlrev_b64 v[2:3], v46, v[2:3]
	s_delay_alu instid0(VALU_DEP_1)
	v_and_b32_e32 v2, 7, v2
; %bb.1816:                             ;   in Loop: Header=BB386_808 Depth=1
	s_or_b32 exec_lo, exec_lo, s16
	v_lshlrev_b32_e32 v3, 16, v11
	s_delay_alu instid0(VALU_DEP_2) | instskip(SKIP_1) | instid1(VALU_DEP_3)
	v_lshlrev_b32_e32 v2, 20, v2
	v_lshl_add_u32 v11, v45, 23, 0x3c000000
	v_and_b32_e32 v3, 0x80000000, v3
	s_delay_alu instid0(VALU_DEP_1)
	v_or3_b32 v2, v2, v3, v11
.LBB386_1817:                           ;   in Loop: Header=BB386_808 Depth=1
	s_or_b32 exec_lo, exec_lo, s15
.LBB386_1818:                           ;   in Loop: Header=BB386_808 Depth=1
	s_delay_alu instid0(SALU_CYCLE_1)
	s_or_b32 exec_lo, exec_lo, s13
.LBB386_1819:                           ;   in Loop: Header=BB386_808 Depth=1
	s_delay_alu instid0(SALU_CYCLE_1) | instskip(NEXT) | instid1(VALU_DEP_1)
	s_or_b32 exec_lo, exec_lo, s12
	v_mul_f32_e32 v3, v10, v2
	s_delay_alu instid0(VALU_DEP_1) | instskip(NEXT) | instid1(VALU_DEP_1)
	v_and_b32_e32 v2, 0x7f800000, v3
	v_cmp_ne_u32_e64 s0, 0x7f800000, v2
                                        ; implicit-def: $vgpr2
	s_delay_alu instid0(VALU_DEP_1) | instskip(NEXT) | instid1(SALU_CYCLE_1)
	s_and_saveexec_b32 s12, s0
	s_xor_b32 s0, exec_lo, s12
; %bb.1820:                             ;   in Loop: Header=BB386_808 Depth=1
	v_bfe_u32 v2, v3, 16, 1
	s_delay_alu instid0(VALU_DEP_1)
	v_add3_u32 v2, v3, v2, 0x7fff
                                        ; implicit-def: $vgpr3
; %bb.1821:                             ;   in Loop: Header=BB386_808 Depth=1
	s_and_not1_saveexec_b32 s12, s0
; %bb.1822:                             ;   in Loop: Header=BB386_808 Depth=1
	v_and_b32_e32 v2, 0xffff, v3
	v_or_b32_e32 v11, 0x10000, v3
	s_delay_alu instid0(VALU_DEP_2) | instskip(NEXT) | instid1(VALU_DEP_1)
	v_cmp_eq_u32_e64 s0, 0, v2
	v_cndmask_b32_e64 v2, v11, v3, s0
; %bb.1823:                             ;   in Loop: Header=BB386_808 Depth=1
	s_or_b32 exec_lo, exec_lo, s12
	v_lshrrev_b32_e32 v3, 16, v1
	v_mov_b32_e32 v11, 0
	s_mov_b32 s12, exec_lo
	s_delay_alu instid0(VALU_DEP_2) | instskip(NEXT) | instid1(VALU_DEP_1)
	v_and_b32_e32 v45, 0xff, v3
	v_cmpx_ne_u16_e32 0, v45
	s_cbranch_execz .LBB386_1831
; %bb.1824:                             ;   in Loop: Header=BB386_808 Depth=1
	v_bfrev_b32_e32 v11, 1
	s_mov_b32 s13, exec_lo
	v_cmpx_ne_u16_e32 0x80, v45
	s_cbranch_execz .LBB386_1830
; %bb.1825:                             ;   in Loop: Header=BB386_808 Depth=1
	v_bfe_u32 v46, v1, 16, 7
	v_mov_b32_e32 v11, 0x7f800001
	s_mov_b32 s15, exec_lo
	s_delay_alu instid0(VALU_DEP_2)
	v_cmpx_ne_u32_e32 0x7f, v46
	s_cbranch_execz .LBB386_1829
; %bb.1826:                             ;   in Loop: Header=BB386_808 Depth=1
	v_and_b32_e32 v11, 7, v3
	v_lshrrev_b32_e32 v45, 3, v46
	s_mov_b32 s16, exec_lo
	v_cmpx_gt_u32_e32 8, v46
; %bb.1827:                             ;   in Loop: Header=BB386_808 Depth=1
	s_delay_alu instid0(VALU_DEP_3) | instskip(NEXT) | instid1(VALU_DEP_1)
	v_clz_i32_u32_e32 v45, v11
	v_min_u32_e32 v45, 32, v45
	s_delay_alu instid0(VALU_DEP_1) | instskip(SKIP_1) | instid1(VALU_DEP_2)
	v_subrev_nc_u32_e32 v46, 28, v45
	v_sub_nc_u32_e32 v45, 29, v45
	v_lshlrev_b64 v[46:47], v46, v[11:12]
	s_delay_alu instid0(VALU_DEP_1)
	v_and_b32_e32 v11, 7, v46
; %bb.1828:                             ;   in Loop: Header=BB386_808 Depth=1
	s_or_b32 exec_lo, exec_lo, s16
	v_lshlrev_b32_e32 v3, 24, v3
	s_delay_alu instid0(VALU_DEP_2) | instskip(SKIP_1) | instid1(VALU_DEP_3)
	v_lshlrev_b32_e32 v11, 20, v11
	v_lshl_add_u32 v45, v45, 23, 0x3c000000
	v_and_b32_e32 v3, 0x80000000, v3
	s_delay_alu instid0(VALU_DEP_1)
	v_or3_b32 v11, v11, v3, v45
.LBB386_1829:                           ;   in Loop: Header=BB386_808 Depth=1
	s_or_b32 exec_lo, exec_lo, s15
.LBB386_1830:                           ;   in Loop: Header=BB386_808 Depth=1
	s_delay_alu instid0(SALU_CYCLE_1)
	s_or_b32 exec_lo, exec_lo, s13
.LBB386_1831:                           ;   in Loop: Header=BB386_808 Depth=1
	s_delay_alu instid0(SALU_CYCLE_1) | instskip(NEXT) | instid1(VALU_DEP_1)
	s_or_b32 exec_lo, exec_lo, s12
	v_mul_f32_e32 v3, v10, v11
                                        ; implicit-def: $vgpr46
	s_delay_alu instid0(VALU_DEP_1) | instskip(NEXT) | instid1(VALU_DEP_1)
	v_and_b32_e32 v11, 0x7f800000, v3
	v_cmp_ne_u32_e64 s0, 0x7f800000, v11
	s_delay_alu instid0(VALU_DEP_1) | instskip(NEXT) | instid1(SALU_CYCLE_1)
	s_and_saveexec_b32 s12, s0
	s_xor_b32 s0, exec_lo, s12
; %bb.1832:                             ;   in Loop: Header=BB386_808 Depth=1
	v_bfe_u32 v11, v3, 16, 1
	s_delay_alu instid0(VALU_DEP_1)
	v_add3_u32 v46, v3, v11, 0x7fff
                                        ; implicit-def: $vgpr3
; %bb.1833:                             ;   in Loop: Header=BB386_808 Depth=1
	s_and_not1_saveexec_b32 s12, s0
; %bb.1834:                             ;   in Loop: Header=BB386_808 Depth=1
	v_and_b32_e32 v11, 0xffff, v3
	v_or_b32_e32 v45, 0x10000, v3
	s_delay_alu instid0(VALU_DEP_2) | instskip(NEXT) | instid1(VALU_DEP_1)
	v_cmp_eq_u32_e64 s0, 0, v11
	v_cndmask_b32_e64 v46, v45, v3, s0
; %bb.1835:                             ;   in Loop: Header=BB386_808 Depth=1
	s_or_b32 exec_lo, exec_lo, s12
	v_mov_b32_e32 v3, 0
	s_mov_b32 s12, exec_lo
	v_cmpx_lt_u64_e64 s[8:9], v[0:1]
	s_cbranch_execz .LBB386_1843
; %bb.1836:                             ;   in Loop: Header=BB386_808 Depth=1
	v_lshrrev_b32_e32 v0, 24, v1
	v_bfrev_b32_e32 v3, 1
	s_mov_b32 s13, exec_lo
	s_delay_alu instid0(VALU_DEP_2)
	v_cmpx_ne_u32_e32 0x80, v0
	s_cbranch_execz .LBB386_1842
; %bb.1837:                             ;   in Loop: Header=BB386_808 Depth=1
	v_bfe_u32 v45, v1, 24, 7
	v_mov_b32_e32 v3, 0x7f800001
	s_mov_b32 s15, exec_lo
	s_delay_alu instid0(VALU_DEP_2)
	v_cmpx_ne_u32_e32 0x7f, v45
	s_cbranch_execz .LBB386_1841
; %bb.1838:                             ;   in Loop: Header=BB386_808 Depth=1
	v_and_b32_e32 v11, 7, v0
	v_lshrrev_b32_e32 v1, 3, v45
	s_mov_b32 s16, exec_lo
	v_cmpx_gt_u32_e32 8, v45
; %bb.1839:                             ;   in Loop: Header=BB386_808 Depth=1
	s_delay_alu instid0(VALU_DEP_3) | instskip(NEXT) | instid1(VALU_DEP_1)
	v_clz_i32_u32_e32 v1, v11
	v_min_u32_e32 v1, 32, v1
	s_delay_alu instid0(VALU_DEP_1) | instskip(SKIP_1) | instid1(VALU_DEP_2)
	v_subrev_nc_u32_e32 v3, 28, v1
	v_sub_nc_u32_e32 v1, 29, v1
	v_lshlrev_b64 v[56:57], v3, v[11:12]
	s_delay_alu instid0(VALU_DEP_1)
	v_and_b32_e32 v11, 7, v56
; %bb.1840:                             ;   in Loop: Header=BB386_808 Depth=1
	s_or_b32 exec_lo, exec_lo, s16
	v_lshlrev_b32_e32 v0, 24, v0
	s_delay_alu instid0(VALU_DEP_2) | instskip(SKIP_1) | instid1(VALU_DEP_3)
	v_lshlrev_b32_e32 v3, 20, v11
	v_lshl_add_u32 v1, v1, 23, 0x3c000000
	v_and_b32_e32 v0, 0x80000000, v0
	s_delay_alu instid0(VALU_DEP_1)
	v_or3_b32 v3, v3, v0, v1
.LBB386_1841:                           ;   in Loop: Header=BB386_808 Depth=1
	s_or_b32 exec_lo, exec_lo, s15
.LBB386_1842:                           ;   in Loop: Header=BB386_808 Depth=1
	s_delay_alu instid0(SALU_CYCLE_1)
	s_or_b32 exec_lo, exec_lo, s13
.LBB386_1843:                           ;   in Loop: Header=BB386_808 Depth=1
	s_delay_alu instid0(SALU_CYCLE_1) | instskip(NEXT) | instid1(VALU_DEP_1)
	s_or_b32 exec_lo, exec_lo, s12
	v_mul_f32_e32 v0, v10, v3
                                        ; implicit-def: $vgpr11
	s_delay_alu instid0(VALU_DEP_1) | instskip(NEXT) | instid1(VALU_DEP_1)
	v_and_b32_e32 v1, 0x7f800000, v0
	v_cmp_ne_u32_e64 s0, 0x7f800000, v1
	s_delay_alu instid0(VALU_DEP_1) | instskip(NEXT) | instid1(SALU_CYCLE_1)
	s_and_saveexec_b32 s12, s0
	s_xor_b32 s0, exec_lo, s12
; %bb.1844:                             ;   in Loop: Header=BB386_808 Depth=1
	v_bfe_u32 v1, v0, 16, 1
	s_delay_alu instid0(VALU_DEP_1)
	v_add3_u32 v11, v0, v1, 0x7fff
                                        ; implicit-def: $vgpr0
; %bb.1845:                             ;   in Loop: Header=BB386_808 Depth=1
	s_and_not1_saveexec_b32 s12, s0
; %bb.1846:                             ;   in Loop: Header=BB386_808 Depth=1
	v_and_b32_e32 v1, 0xffff, v0
	v_or_b32_e32 v3, 0x10000, v0
	s_delay_alu instid0(VALU_DEP_2) | instskip(NEXT) | instid1(VALU_DEP_1)
	v_cmp_eq_u32_e64 s0, 0, v1
	v_cndmask_b32_e64 v11, v3, v0, s0
; %bb.1847:                             ;   in Loop: Header=BB386_808 Depth=1
	s_or_b32 exec_lo, exec_lo, s12
	v_lshrrev_b32_e32 v45, 16, v2
	v_lshrrev_b32_e32 v10, 16, v44
	;; [unrolled: 1-line block ×8, first 2 shown]
	s_and_saveexec_b32 s0, vcc_lo
	s_cbranch_execz .LBB386_1849
; %bb.1848:                             ;   in Loop: Header=BB386_808 Depth=1
	v_cmp_lt_i32_e32 vcc_lo, v23, v83
	v_cndmask_b32_e32 v0, 0, v0, vcc_lo
	v_cmp_lt_i32_e32 vcc_lo, v66, v83
	v_cndmask_b32_e32 v1, 0, v1, vcc_lo
	;; [unrolled: 2-line block ×8, first 2 shown]
.LBB386_1849:                           ;   in Loop: Header=BB386_808 Depth=1
	s_or_b32 exec_lo, exec_lo, s0
	v_lshlrev_b32_e32 v0, 16, v0
	s_delay_alu instid0(VALU_DEP_1) | instskip(NEXT) | instid1(VALU_DEP_1)
	v_mul_f32_e32 v51, v67, v0
	v_and_b32_e32 v0, 0x7f800000, v51
	s_delay_alu instid0(VALU_DEP_1) | instskip(SKIP_1) | instid1(SALU_CYCLE_1)
	v_cmp_ne_u32_e32 vcc_lo, 0x7f800000, v0
                                        ; implicit-def: $vgpr0
	s_and_saveexec_b32 s0, vcc_lo
	s_xor_b32 s0, exec_lo, s0
; %bb.1850:                             ;   in Loop: Header=BB386_808 Depth=1
	v_bfe_u32 v0, v51, 16, 1
	s_delay_alu instid0(VALU_DEP_1)
	v_add3_u32 v0, v51, v0, 0x7fff
                                        ; implicit-def: $vgpr51
; %bb.1851:                             ;   in Loop: Header=BB386_808 Depth=1
	s_and_not1_saveexec_b32 s0, s0
; %bb.1852:                             ;   in Loop: Header=BB386_808 Depth=1
	v_and_b32_e32 v0, 0xffff, v51
	v_or_b32_e32 v52, 0x10000, v51
	s_delay_alu instid0(VALU_DEP_2) | instskip(NEXT) | instid1(VALU_DEP_2)
	v_cmp_eq_u32_e32 vcc_lo, 0, v0
	v_cndmask_b32_e32 v0, v52, v51, vcc_lo
; %bb.1853:                             ;   in Loop: Header=BB386_808 Depth=1
	s_or_b32 exec_lo, exec_lo, s0
	v_lshlrev_b32_e32 v1, 16, v1
	s_delay_alu instid0(VALU_DEP_1) | instskip(NEXT) | instid1(VALU_DEP_1)
	v_mul_f32_e32 v51, v68, v1
	v_and_b32_e32 v1, 0x7f800000, v51
	s_delay_alu instid0(VALU_DEP_1) | instskip(SKIP_1) | instid1(SALU_CYCLE_1)
	v_cmp_ne_u32_e32 vcc_lo, 0x7f800000, v1
                                        ; implicit-def: $vgpr1
	s_and_saveexec_b32 s0, vcc_lo
	s_xor_b32 s0, exec_lo, s0
; %bb.1854:                             ;   in Loop: Header=BB386_808 Depth=1
	v_bfe_u32 v1, v51, 16, 1
	s_delay_alu instid0(VALU_DEP_1)
	v_add3_u32 v1, v51, v1, 0x7fff
                                        ; implicit-def: $vgpr51
; %bb.1855:                             ;   in Loop: Header=BB386_808 Depth=1
	s_and_not1_saveexec_b32 s0, s0
; %bb.1856:                             ;   in Loop: Header=BB386_808 Depth=1
	v_and_b32_e32 v1, 0xffff, v51
	v_or_b32_e32 v52, 0x10000, v51
	s_delay_alu instid0(VALU_DEP_2) | instskip(NEXT) | instid1(VALU_DEP_2)
	v_cmp_eq_u32_e32 vcc_lo, 0, v1
	v_cndmask_b32_e32 v1, v52, v51, vcc_lo
; %bb.1857:                             ;   in Loop: Header=BB386_808 Depth=1
	s_or_b32 exec_lo, exec_lo, s0
	v_lshlrev_b32_e32 v2, 16, v2
	s_delay_alu instid0(VALU_DEP_1) | instskip(NEXT) | instid1(VALU_DEP_1)
	v_mul_f32_e32 v51, v69, v2
	v_and_b32_e32 v2, 0x7f800000, v51
	s_delay_alu instid0(VALU_DEP_1) | instskip(SKIP_1) | instid1(SALU_CYCLE_1)
	v_cmp_ne_u32_e32 vcc_lo, 0x7f800000, v2
                                        ; implicit-def: $vgpr2
	s_and_saveexec_b32 s0, vcc_lo
	s_xor_b32 s0, exec_lo, s0
; %bb.1858:                             ;   in Loop: Header=BB386_808 Depth=1
	v_bfe_u32 v2, v51, 16, 1
	s_delay_alu instid0(VALU_DEP_1)
	v_add3_u32 v2, v51, v2, 0x7fff
                                        ; implicit-def: $vgpr51
; %bb.1859:                             ;   in Loop: Header=BB386_808 Depth=1
	s_and_not1_saveexec_b32 s0, s0
; %bb.1860:                             ;   in Loop: Header=BB386_808 Depth=1
	v_and_b32_e32 v2, 0xffff, v51
	v_or_b32_e32 v52, 0x10000, v51
	s_delay_alu instid0(VALU_DEP_2) | instskip(NEXT) | instid1(VALU_DEP_2)
	v_cmp_eq_u32_e32 vcc_lo, 0, v2
	v_cndmask_b32_e32 v2, v52, v51, vcc_lo
; %bb.1861:                             ;   in Loop: Header=BB386_808 Depth=1
	s_or_b32 exec_lo, exec_lo, s0
	v_lshlrev_b32_e32 v3, 16, v3
	s_delay_alu instid0(VALU_DEP_1) | instskip(NEXT) | instid1(VALU_DEP_1)
	v_mul_f32_e32 v51, v70, v3
	v_and_b32_e32 v3, 0x7f800000, v51
	s_delay_alu instid0(VALU_DEP_1) | instskip(SKIP_1) | instid1(SALU_CYCLE_1)
	v_cmp_ne_u32_e32 vcc_lo, 0x7f800000, v3
                                        ; implicit-def: $vgpr3
	s_and_saveexec_b32 s0, vcc_lo
	s_xor_b32 s0, exec_lo, s0
; %bb.1862:                             ;   in Loop: Header=BB386_808 Depth=1
	v_bfe_u32 v3, v51, 16, 1
	s_delay_alu instid0(VALU_DEP_1)
	v_add3_u32 v3, v51, v3, 0x7fff
                                        ; implicit-def: $vgpr51
; %bb.1863:                             ;   in Loop: Header=BB386_808 Depth=1
	s_and_not1_saveexec_b32 s0, s0
; %bb.1864:                             ;   in Loop: Header=BB386_808 Depth=1
	v_and_b32_e32 v3, 0xffff, v51
	v_or_b32_e32 v52, 0x10000, v51
	s_delay_alu instid0(VALU_DEP_2) | instskip(NEXT) | instid1(VALU_DEP_2)
	v_cmp_eq_u32_e32 vcc_lo, 0, v3
	v_cndmask_b32_e32 v3, v52, v51, vcc_lo
; %bb.1865:                             ;   in Loop: Header=BB386_808 Depth=1
	s_or_b32 exec_lo, exec_lo, s0
	v_lshlrev_b32_e32 v10, 16, v10
	s_delay_alu instid0(VALU_DEP_1) | instskip(NEXT) | instid1(VALU_DEP_1)
	v_mul_f32_e32 v51, v71, v10
	v_and_b32_e32 v10, 0x7f800000, v51
	s_delay_alu instid0(VALU_DEP_1) | instskip(SKIP_1) | instid1(SALU_CYCLE_1)
	v_cmp_ne_u32_e32 vcc_lo, 0x7f800000, v10
                                        ; implicit-def: $vgpr10
	s_and_saveexec_b32 s0, vcc_lo
	s_xor_b32 s0, exec_lo, s0
; %bb.1866:                             ;   in Loop: Header=BB386_808 Depth=1
	v_bfe_u32 v10, v51, 16, 1
	s_delay_alu instid0(VALU_DEP_1)
	v_add3_u32 v10, v51, v10, 0x7fff
                                        ; implicit-def: $vgpr51
; %bb.1867:                             ;   in Loop: Header=BB386_808 Depth=1
	s_and_not1_saveexec_b32 s0, s0
; %bb.1868:                             ;   in Loop: Header=BB386_808 Depth=1
	v_and_b32_e32 v10, 0xffff, v51
	v_or_b32_e32 v52, 0x10000, v51
	s_delay_alu instid0(VALU_DEP_2) | instskip(NEXT) | instid1(VALU_DEP_2)
	v_cmp_eq_u32_e32 vcc_lo, 0, v10
	v_cndmask_b32_e32 v10, v52, v51, vcc_lo
; %bb.1869:                             ;   in Loop: Header=BB386_808 Depth=1
	s_or_b32 exec_lo, exec_lo, s0
	v_lshlrev_b32_e32 v51, 16, v45
	s_delay_alu instid0(VALU_DEP_1) | instskip(NEXT) | instid1(VALU_DEP_1)
	v_mul_f32_e32 v52, v80, v51
	v_and_b32_e32 v51, 0x7f800000, v52
	s_delay_alu instid0(VALU_DEP_1) | instskip(SKIP_1) | instid1(SALU_CYCLE_1)
	v_cmp_ne_u32_e32 vcc_lo, 0x7f800000, v51
                                        ; implicit-def: $vgpr51
	s_and_saveexec_b32 s0, vcc_lo
	s_xor_b32 s0, exec_lo, s0
; %bb.1870:                             ;   in Loop: Header=BB386_808 Depth=1
	v_bfe_u32 v51, v52, 16, 1
	s_delay_alu instid0(VALU_DEP_1)
	v_add3_u32 v51, v52, v51, 0x7fff
                                        ; implicit-def: $vgpr52
; %bb.1871:                             ;   in Loop: Header=BB386_808 Depth=1
	s_and_not1_saveexec_b32 s0, s0
; %bb.1872:                             ;   in Loop: Header=BB386_808 Depth=1
	v_and_b32_e32 v51, 0xffff, v52
	v_or_b32_e32 v53, 0x10000, v52
	s_delay_alu instid0(VALU_DEP_2) | instskip(NEXT) | instid1(VALU_DEP_2)
	v_cmp_eq_u32_e32 vcc_lo, 0, v51
	v_cndmask_b32_e32 v51, v53, v52, vcc_lo
; %bb.1873:                             ;   in Loop: Header=BB386_808 Depth=1
	s_or_b32 exec_lo, exec_lo, s0
	v_lshlrev_b32_e32 v52, 16, v40
	s_delay_alu instid0(VALU_DEP_1) | instskip(NEXT) | instid1(VALU_DEP_1)
	v_mul_f32_e32 v53, v81, v52
	v_and_b32_e32 v52, 0x7f800000, v53
	s_delay_alu instid0(VALU_DEP_1) | instskip(SKIP_1) | instid1(SALU_CYCLE_1)
	v_cmp_ne_u32_e32 vcc_lo, 0x7f800000, v52
                                        ; implicit-def: $vgpr52
	s_and_saveexec_b32 s0, vcc_lo
	s_xor_b32 s0, exec_lo, s0
; %bb.1874:                             ;   in Loop: Header=BB386_808 Depth=1
	v_bfe_u32 v52, v53, 16, 1
	s_delay_alu instid0(VALU_DEP_1)
	v_add3_u32 v52, v53, v52, 0x7fff
                                        ; implicit-def: $vgpr53
; %bb.1875:                             ;   in Loop: Header=BB386_808 Depth=1
	s_and_not1_saveexec_b32 s0, s0
; %bb.1876:                             ;   in Loop: Header=BB386_808 Depth=1
	v_and_b32_e32 v52, 0xffff, v53
	v_or_b32_e32 v54, 0x10000, v53
	s_delay_alu instid0(VALU_DEP_2) | instskip(NEXT) | instid1(VALU_DEP_2)
	v_cmp_eq_u32_e32 vcc_lo, 0, v52
	v_cndmask_b32_e32 v52, v54, v53, vcc_lo
; %bb.1877:                             ;   in Loop: Header=BB386_808 Depth=1
	s_or_b32 exec_lo, exec_lo, s0
	v_lshlrev_b32_e32 v11, 16, v11
	s_delay_alu instid0(VALU_DEP_1) | instskip(NEXT) | instid1(VALU_DEP_1)
	v_mul_f32_e32 v53, v97, v11
	v_and_b32_e32 v11, 0x7f800000, v53
	s_delay_alu instid0(VALU_DEP_1) | instskip(SKIP_1) | instid1(SALU_CYCLE_1)
	v_cmp_ne_u32_e32 vcc_lo, 0x7f800000, v11
                                        ; implicit-def: $vgpr11
	s_and_saveexec_b32 s0, vcc_lo
	s_xor_b32 s0, exec_lo, s0
; %bb.1878:                             ;   in Loop: Header=BB386_808 Depth=1
	v_bfe_u32 v11, v53, 16, 1
	s_delay_alu instid0(VALU_DEP_1)
	v_add3_u32 v11, v53, v11, 0x7fff
                                        ; implicit-def: $vgpr53
; %bb.1879:                             ;   in Loop: Header=BB386_808 Depth=1
	s_and_not1_saveexec_b32 s0, s0
	s_cbranch_execz .LBB386_806
; %bb.1880:                             ;   in Loop: Header=BB386_808 Depth=1
	v_and_b32_e32 v11, 0xffff, v53
	v_or_b32_e32 v54, 0x10000, v53
	s_delay_alu instid0(VALU_DEP_2) | instskip(NEXT) | instid1(VALU_DEP_2)
	v_cmp_eq_u32_e32 vcc_lo, 0, v11
	v_cndmask_b32_e32 v11, v54, v53, vcc_lo
	s_branch .LBB386_806
.LBB386_1881:
	s_or_b32 exec_lo, exec_lo, s5
	s_load_b32 s0, s[6:7], 0x0
	s_waitcnt lgkmcnt(0)
	v_mov_b32_e32 v0, s0
.LBB386_1882:
	s_or_b32 exec_lo, exec_lo, s3
	v_and_b32_e32 v2, 0x3c0, v39
	s_delay_alu instid0(VALU_DEP_2)
	v_lshl_add_u32 v1, v21, 10, v0
	s_mov_b32 s0, exec_lo
	s_waitcnt_vscnt null, 0x0
	s_barrier
	buffer_gl0_inv
	v_cmpx_eq_u32_e32 64, v2
	s_cbranch_execz .LBB386_1884
; %bb.1883:
	v_add_nc_u32_e32 v2, 0xfffff800, v1
	v_or_b32_e32 v3, 0x180, v82
	v_or_b32_e32 v8, 0x380, v82
	s_delay_alu instid0(VALU_DEP_3) | instskip(NEXT) | instid1(VALU_DEP_3)
	v_lshl_add_u32 v9, v6, 2, v2
	v_add_nc_u32_e32 v3, v2, v3
	s_delay_alu instid0(VALU_DEP_3)
	v_add_nc_u32_e32 v2, v2, v8
	ds_store_2addr_b32 v9, v31, v29 offset1:32
	ds_store_b32 v3, v25
	ds_store_2addr_stride64_b32 v9, v28, v24 offset0:1 offset1:2
	ds_store_2addr_b32 v9, v19, v18 offset0:160 offset1:192
	ds_store_b32 v2, v7
.LBB386_1884:
	s_or_b32 exec_lo, exec_lo, s0
	v_lshl_add_u32 v2, v6, 2, v1
	s_mov_b32 s0, exec_lo
	s_waitcnt lgkmcnt(0)
	s_barrier
	buffer_gl0_inv
	v_cmpx_gt_u32_e32 64, v39
	s_cbranch_execz .LBB386_1886
; %bb.1885:
	v_or_b32_e32 v8, 0x180, v82
	v_or_b32_e32 v9, 0x280, v82
	;; [unrolled: 1-line block ×4, first 2 shown]
	s_delay_alu instid0(VALU_DEP_4) | instskip(NEXT) | instid1(VALU_DEP_4)
	v_add_nc_u32_e32 v12, v1, v8
	v_add_nc_u32_e32 v13, v1, v9
	ds_load_2addr_stride64_b32 v[8:9], v2 offset1:1
	v_add_nc_u32_e32 v3, v1, v3
	s_waitcnt lgkmcnt(0)
	v_dual_add_f32 v31, v31, v8 :: v_dual_add_nc_u32 v14, v1, v10
	v_add_f32_e32 v28, v28, v9
	ds_load_2addr_stride64_b32 v[10:11], v2 offset0:2 offset1:3
	ds_load_b32 v3, v3
	ds_load_b32 v12, v12
	;; [unrolled: 1-line block ×4, first 2 shown]
	s_waitcnt lgkmcnt(4)
	v_add_f32_e32 v24, v24, v10
	s_waitcnt lgkmcnt(2)
	v_dual_add_f32 v18, v18, v11 :: v_dual_add_f32 v25, v25, v12
	v_add_f32_e32 v29, v29, v3
	s_waitcnt lgkmcnt(1)
	v_add_f32_e32 v19, v19, v13
	s_waitcnt lgkmcnt(0)
	v_add_f32_e32 v7, v7, v14
.LBB386_1886:
	s_or_b32 exec_lo, exec_lo, s0
	v_and_b32_e32 v3, 0x3e0, v39
	s_mov_b32 s0, exec_lo
	s_barrier
	buffer_gl0_inv
	v_cmpx_eq_u32_e32 32, v3
	s_cbranch_execz .LBB386_1888
; %bb.1887:
	v_or_b32_e32 v3, 0x180, v82
	v_or_b32_e32 v8, 0x280, v82
	;; [unrolled: 1-line block ×3, first 2 shown]
	v_lshl_add_u32 v6, v6, 2, v0
	v_add_nc_u32_e32 v9, v0, v82
	v_add_nc_u32_e32 v3, v0, v3
	;; [unrolled: 1-line block ×4, first 2 shown]
	ds_store_b32 v6, v31
	ds_store_b32 v9, v29
	;; [unrolled: 1-line block ×4, first 2 shown]
	ds_store_2addr_stride64_b32 v6, v28, v24 offset0:1 offset1:2
	ds_store_b32 v6, v18 offset:768
	ds_store_b32 v0, v7
.LBB386_1888:
	s_or_b32 exec_lo, exec_lo, s0
	v_cmp_gt_u32_e32 vcc_lo, 32, v39
	s_waitcnt lgkmcnt(0)
	s_barrier
	buffer_gl0_inv
	s_and_saveexec_b32 s0, vcc_lo
	s_cbranch_execz .LBB386_1890
; %bb.1889:
	v_lshl_add_u32 v6, v39, 2, v1
	ds_load_b32 v10, v2
	ds_load_2addr_b32 v[0:1], v6 offset0:32 offset1:64
	ds_load_2addr_b32 v[2:3], v6 offset0:96 offset1:128
	;; [unrolled: 1-line block ×3, first 2 shown]
	ds_load_b32 v6, v6 offset:896
	s_waitcnt lgkmcnt(3)
	v_dual_add_f32 v31, v31, v10 :: v_dual_add_f32 v28, v28, v1
	s_waitcnt lgkmcnt(2)
	v_dual_add_f32 v29, v29, v0 :: v_dual_add_f32 v24, v24, v3
	s_waitcnt lgkmcnt(1)
	v_dual_add_f32 v25, v25, v2 :: v_dual_add_f32 v18, v18, v9
	v_add_f32_e32 v19, v19, v8
	s_waitcnt lgkmcnt(0)
	v_add_f32_e32 v7, v7, v6
.LBB386_1890:
	s_or_b32 exec_lo, exec_lo, s0
	s_barrier
	buffer_gl0_inv
	s_and_b32 exec_lo, exec_lo, vcc_lo
	s_cbranch_execz .LBB386_1924
; %bb.1891:
	v_and_b32_e32 v0, 0x7f800000, v31
	s_delay_alu instid0(VALU_DEP_1) | instskip(SKIP_1) | instid1(SALU_CYCLE_1)
	v_cmp_ne_u32_e32 vcc_lo, 0x7f800000, v0
                                        ; implicit-def: $vgpr0
	s_and_saveexec_b32 s0, vcc_lo
	s_xor_b32 s0, exec_lo, s0
; %bb.1892:
	v_bfe_u32 v0, v31, 16, 1
	s_delay_alu instid0(VALU_DEP_1)
	v_add3_u32 v0, v31, v0, 0x7fff
; %bb.1893:
	s_and_not1_saveexec_b32 s0, s0
; %bb.1894:
	v_and_b32_e32 v0, 0xffff, v31
	v_or_b32_e32 v1, 0x10000, v31
	s_delay_alu instid0(VALU_DEP_2) | instskip(NEXT) | instid1(VALU_DEP_2)
	v_cmp_eq_u32_e32 vcc_lo, 0, v0
	v_cndmask_b32_e32 v0, v1, v31, vcc_lo
; %bb.1895:
	s_or_b32 exec_lo, exec_lo, s0
	s_lshl_b32 s0, s2, 8
	s_mul_i32 s2, s4, s1
	s_lshl_b32 s4, s14, 8
	s_ashr_i32 s3, s2, 31
	s_ashr_i32 s5, s4, 31
	;; [unrolled: 1-line block ×3, first 2 shown]
	s_lshl_b64 s[2:3], s[2:3], 1
	s_lshl_b64 s[4:5], s[4:5], 1
	;; [unrolled: 1-line block ×3, first 2 shown]
	s_add_u32 s2, s4, s2
	s_addc_u32 s3, s5, s3
	s_add_u32 s0, s2, s0
	s_addc_u32 s1, s3, s1
	v_lshlrev_b32_e32 v1, 1, v39
	v_add_co_u32 v2, vcc_lo, s0, v4
	v_add_co_ci_u32_e32 v3, vcc_lo, s1, v5, vcc_lo
	v_and_b32_e32 v4, 0x7f800000, v29
	s_delay_alu instid0(VALU_DEP_3) | instskip(NEXT) | instid1(VALU_DEP_3)
	v_add_co_u32 v8, vcc_lo, v2, v1
	v_add_co_ci_u32_e32 v9, vcc_lo, 0, v3, vcc_lo
	s_mov_b32 s0, exec_lo
	flat_store_d16_hi_b16 v[8:9], v0
                                        ; implicit-def: $vgpr0
	v_cmpx_ne_u32_e32 0x7f800000, v4
	s_xor_b32 s0, exec_lo, s0
; %bb.1896:
	v_bfe_u32 v0, v29, 16, 1
	s_delay_alu instid0(VALU_DEP_1)
	v_add3_u32 v0, v29, v0, 0x7fff
; %bb.1897:
	s_and_not1_saveexec_b32 s0, s0
; %bb.1898:
	v_and_b32_e32 v0, 0xffff, v29
	v_or_b32_e32 v1, 0x10000, v29
	s_delay_alu instid0(VALU_DEP_2) | instskip(NEXT) | instid1(VALU_DEP_2)
	v_cmp_eq_u32_e32 vcc_lo, 0, v0
	v_cndmask_b32_e32 v0, v1, v29, vcc_lo
; %bb.1899:
	s_or_b32 exec_lo, exec_lo, s0
	v_and_b32_e32 v1, 0x7f800000, v28
	s_mov_b32 s0, exec_lo
	flat_store_d16_hi_b16 v[8:9], v0 offset:64
                                        ; implicit-def: $vgpr0
	v_cmpx_ne_u32_e32 0x7f800000, v1
	s_xor_b32 s0, exec_lo, s0
; %bb.1900:
	v_bfe_u32 v0, v28, 16, 1
	s_delay_alu instid0(VALU_DEP_1)
	v_add3_u32 v0, v28, v0, 0x7fff
; %bb.1901:
	s_and_not1_saveexec_b32 s0, s0
; %bb.1902:
	v_and_b32_e32 v0, 0xffff, v28
	v_or_b32_e32 v1, 0x10000, v28
	s_delay_alu instid0(VALU_DEP_2) | instskip(NEXT) | instid1(VALU_DEP_2)
	v_cmp_eq_u32_e32 vcc_lo, 0, v0
	v_cndmask_b32_e32 v0, v1, v28, vcc_lo
; %bb.1903:
	s_or_b32 exec_lo, exec_lo, s0
	v_and_b32_e32 v1, 0x7f800000, v25
	s_mov_b32 s0, exec_lo
	flat_store_d16_hi_b16 v[8:9], v0 offset:128
	;; [unrolled: 20-line block ×6, first 2 shown]
                                        ; implicit-def: $vgpr10
	v_cmpx_ne_u32_e32 0x7f800000, v1
	s_xor_b32 s0, exec_lo, s0
; %bb.1920:
	v_bfe_u32 v0, v7, 16, 1
	s_delay_alu instid0(VALU_DEP_1)
	v_add3_u32 v10, v7, v0, 0x7fff
                                        ; implicit-def: $vgpr0_vgpr1_vgpr2_vgpr3_vgpr4_vgpr5_vgpr6_vgpr7
; %bb.1921:
	s_and_not1_saveexec_b32 s0, s0
; %bb.1922:
	v_and_b32_e32 v0, 0xffff, v7
	v_or_b32_e32 v1, 0x10000, v7
	s_delay_alu instid0(VALU_DEP_2) | instskip(NEXT) | instid1(VALU_DEP_2)
	v_cmp_eq_u32_e32 vcc_lo, 0, v0
	v_cndmask_b32_e32 v10, v1, v7, vcc_lo
; %bb.1923:
	s_or_b32 exec_lo, exec_lo, s0
	flat_store_d16_hi_b16 v[8:9], v10 offset:448
.LBB386_1924:
	s_or_b32 exec_lo, exec_lo, s11
	s_clause 0x1f
	scratch_load_b32 v107, off, s32 offset:8
	scratch_load_b32 v106, off, s32 offset:12
	;; [unrolled: 1-line block ×32, first 2 shown]
	s_clause 0x3
	scratch_load_b32 v43, off, s32 offset:136
	scratch_load_b32 v42, off, s32 offset:140
	;; [unrolled: 1-line block ×4, first 2 shown]
	s_waitcnt vmcnt(0) lgkmcnt(0)
	s_setpc_b64 s[30:31]
.Lfunc_end386:
	.size	_ZN4vllm22paged_attention_kernelI14__hip_bfloat16hLi256ELi8ELi128ELNS_18Fp8KVCacheDataTypeE1ELb1ELi512EEEvPfS3_PT_PKS4_PKT0_SA_ifPKiSC_iPKfiiiSE_SE_iiiii, .Lfunc_end386-_ZN4vllm22paged_attention_kernelI14__hip_bfloat16hLi256ELi8ELi128ELNS_18Fp8KVCacheDataTypeE1ELb1ELi512EEEvPfS3_PT_PKS4_PKT0_SA_ifPKiSC_iPKfiiiSE_SE_iiiii
                                        ; -- End function
	.section	.AMDGPU.csdata,"",@progbits
; Function info:
; codeLenInByte = 60236
; NumSgprs: 35
; NumVgprs: 184
; ScratchSize: 156
; MemoryBound: 0
	.section	.text._ZN4vllm25paged_attention_v2_kernelI14__hip_bfloat16hLi256ELi8ELi128ELNS_18Fp8KVCacheDataTypeE1ELb1ELi512EEEvPfS3_PT_PKS4_PKT0_SA_ifPKiSC_iPKfiiiSE_SE_iiiii,"axG",@progbits,_ZN4vllm25paged_attention_v2_kernelI14__hip_bfloat16hLi256ELi8ELi128ELNS_18Fp8KVCacheDataTypeE1ELb1ELi512EEEvPfS3_PT_PKS4_PKT0_SA_ifPKiSC_iPKfiiiSE_SE_iiiii,comdat
	.protected	_ZN4vllm25paged_attention_v2_kernelI14__hip_bfloat16hLi256ELi8ELi128ELNS_18Fp8KVCacheDataTypeE1ELb1ELi512EEEvPfS3_PT_PKS4_PKT0_SA_ifPKiSC_iPKfiiiSE_SE_iiiii ; -- Begin function _ZN4vllm25paged_attention_v2_kernelI14__hip_bfloat16hLi256ELi8ELi128ELNS_18Fp8KVCacheDataTypeE1ELb1ELi512EEEvPfS3_PT_PKS4_PKT0_SA_ifPKiSC_iPKfiiiSE_SE_iiiii
	.globl	_ZN4vllm25paged_attention_v2_kernelI14__hip_bfloat16hLi256ELi8ELi128ELNS_18Fp8KVCacheDataTypeE1ELb1ELi512EEEvPfS3_PT_PKS4_PKT0_SA_ifPKiSC_iPKfiiiSE_SE_iiiii
	.p2align	8
	.type	_ZN4vllm25paged_attention_v2_kernelI14__hip_bfloat16hLi256ELi8ELi128ELNS_18Fp8KVCacheDataTypeE1ELb1ELi512EEEvPfS3_PT_PKS4_PKT0_SA_ifPKiSC_iPKfiiiSE_SE_iiiii,@function
_ZN4vllm25paged_attention_v2_kernelI14__hip_bfloat16hLi256ELi8ELi128ELNS_18Fp8KVCacheDataTypeE1ELb1ELi512EEEvPfS3_PT_PKS4_PKT0_SA_ifPKiSC_iPKfiiiSE_SE_iiiii: ; @_ZN4vllm25paged_attention_v2_kernelI14__hip_bfloat16hLi256ELi8ELi128ELNS_18Fp8KVCacheDataTypeE1ELb1ELi512EEEvPfS3_PT_PKS4_PKT0_SA_ifPKiSC_iPKfiiiSE_SE_iiiii
; %bb.0:
	s_mov_b32 s12, s13
	s_clause 0x7
	s_load_b128 s[4:7], s[0:1], 0x78
	s_load_b32 s8, s[0:1], 0x88
	s_load_b256 s[24:31], s[0:1], 0x0
	s_load_b256 s[36:43], s[0:1], 0x20
	s_load_b64 s[2:3], s[0:1], 0x40
	s_load_b64 s[10:11], s[0:1], 0x50
	s_load_b32 s13, s[0:1], 0x48
	s_load_b256 s[16:23], s[0:1], 0x58
	s_mov_b32 s32, 0
	v_mov_b32_e32 v31, v0
	s_waitcnt lgkmcnt(0)
	v_dual_mov_b32 v1, s7 :: v_dual_mov_b32 v2, s8
	v_dual_mov_b32 v0, s24 :: v_dual_mov_b32 v3, s27
	;; [unrolled: 1-line block ×3, first 2 shown]
	v_mov_b32_e32 v6, s30
	scratch_store_b64 off, v[1:2], s32
	v_dual_mov_b32 v1, s25 :: v_dual_mov_b32 v2, s26
	v_dual_mov_b32 v7, s31 :: v_dual_mov_b32 v8, s36
	;; [unrolled: 1-line block ×13, first 2 shown]
	s_add_u32 s8, s0, 0x90
	s_addc_u32 s9, s1, 0
	s_mov_b32 s13, s14
	s_mov_b32 s14, s15
	;; [unrolled: 1-line block ×3, first 2 shown]
	s_getpc_b64 s[0:1]
	s_add_u32 s0, s0, _ZN4vllm22paged_attention_kernelI14__hip_bfloat16hLi256ELi8ELi128ELNS_18Fp8KVCacheDataTypeE1ELb1ELi512EEEvPfS3_PT_PKS4_PKT0_SA_ifPKiSC_iPKfiiiSE_SE_iiiii@rel32@lo+4
	s_addc_u32 s1, s1, _ZN4vllm22paged_attention_kernelI14__hip_bfloat16hLi256ELi8ELi128ELNS_18Fp8KVCacheDataTypeE1ELb1ELi512EEEvPfS3_PT_PKS4_PKT0_SA_ifPKiSC_iPKfiiiSE_SE_iiiii@rel32@hi+12
	s_delay_alu instid0(SALU_CYCLE_1)
	s_swappc_b64 s[30:31], s[0:1]
	s_endpgm
	.section	.rodata,"a",@progbits
	.p2align	6, 0x0
	.amdhsa_kernel _ZN4vllm25paged_attention_v2_kernelI14__hip_bfloat16hLi256ELi8ELi128ELNS_18Fp8KVCacheDataTypeE1ELb1ELi512EEEvPfS3_PT_PKS4_PKT0_SA_ifPKiSC_iPKfiiiSE_SE_iiiii
		.amdhsa_group_segment_fixed_size 544
		.amdhsa_private_segment_fixed_size 156
		.amdhsa_kernarg_size 400
		.amdhsa_user_sgpr_count 13
		.amdhsa_user_sgpr_dispatch_ptr 0
		.amdhsa_user_sgpr_queue_ptr 0
		.amdhsa_user_sgpr_kernarg_segment_ptr 1
		.amdhsa_user_sgpr_dispatch_id 0
		.amdhsa_user_sgpr_private_segment_size 0
		.amdhsa_wavefront_size32 1
		.amdhsa_uses_dynamic_stack 0
		.amdhsa_enable_private_segment 1
		.amdhsa_system_sgpr_workgroup_id_x 1
		.amdhsa_system_sgpr_workgroup_id_y 1
		.amdhsa_system_sgpr_workgroup_id_z 1
		.amdhsa_system_sgpr_workgroup_info 0
		.amdhsa_system_vgpr_workitem_id 0
		.amdhsa_next_free_vgpr 184
		.amdhsa_next_free_sgpr 44
		.amdhsa_reserve_vcc 1
		.amdhsa_float_round_mode_32 0
		.amdhsa_float_round_mode_16_64 0
		.amdhsa_float_denorm_mode_32 3
		.amdhsa_float_denorm_mode_16_64 3
		.amdhsa_dx10_clamp 1
		.amdhsa_ieee_mode 1
		.amdhsa_fp16_overflow 0
		.amdhsa_workgroup_processor_mode 1
		.amdhsa_memory_ordered 1
		.amdhsa_forward_progress 0
		.amdhsa_shared_vgpr_count 0
		.amdhsa_exception_fp_ieee_invalid_op 0
		.amdhsa_exception_fp_denorm_src 0
		.amdhsa_exception_fp_ieee_div_zero 0
		.amdhsa_exception_fp_ieee_overflow 0
		.amdhsa_exception_fp_ieee_underflow 0
		.amdhsa_exception_fp_ieee_inexact 0
		.amdhsa_exception_int_div_zero 0
	.end_amdhsa_kernel
	.section	.text._ZN4vllm25paged_attention_v2_kernelI14__hip_bfloat16hLi256ELi8ELi128ELNS_18Fp8KVCacheDataTypeE1ELb1ELi512EEEvPfS3_PT_PKS4_PKT0_SA_ifPKiSC_iPKfiiiSE_SE_iiiii,"axG",@progbits,_ZN4vllm25paged_attention_v2_kernelI14__hip_bfloat16hLi256ELi8ELi128ELNS_18Fp8KVCacheDataTypeE1ELb1ELi512EEEvPfS3_PT_PKS4_PKT0_SA_ifPKiSC_iPKfiiiSE_SE_iiiii,comdat
.Lfunc_end387:
	.size	_ZN4vllm25paged_attention_v2_kernelI14__hip_bfloat16hLi256ELi8ELi128ELNS_18Fp8KVCacheDataTypeE1ELb1ELi512EEEvPfS3_PT_PKS4_PKT0_SA_ifPKiSC_iPKfiiiSE_SE_iiiii, .Lfunc_end387-_ZN4vllm25paged_attention_v2_kernelI14__hip_bfloat16hLi256ELi8ELi128ELNS_18Fp8KVCacheDataTypeE1ELb1ELi512EEEvPfS3_PT_PKS4_PKT0_SA_ifPKiSC_iPKfiiiSE_SE_iiiii
                                        ; -- End function
	.section	.AMDGPU.csdata,"",@progbits
; Kernel info:
; codeLenInByte = 280
; NumSgprs: 46
; NumVgprs: 184
; ScratchSize: 156
; MemoryBound: 0
; FloatMode: 240
; IeeeMode: 1
; LDSByteSize: 544 bytes/workgroup (compile time only)
; SGPRBlocks: 5
; VGPRBlocks: 22
; NumSGPRsForWavesPerEU: 46
; NumVGPRsForWavesPerEU: 184
; Occupancy: 8
; WaveLimiterHint : 1
; COMPUTE_PGM_RSRC2:SCRATCH_EN: 1
; COMPUTE_PGM_RSRC2:USER_SGPR: 13
; COMPUTE_PGM_RSRC2:TRAP_HANDLER: 0
; COMPUTE_PGM_RSRC2:TGID_X_EN: 1
; COMPUTE_PGM_RSRC2:TGID_Y_EN: 1
; COMPUTE_PGM_RSRC2:TGID_Z_EN: 1
; COMPUTE_PGM_RSRC2:TIDIG_COMP_CNT: 0
	.section	.text._ZN4vllm25paged_attention_v2_kernelI14__hip_bfloat16hLi32ELi8ELi128ELNS_18Fp8KVCacheDataTypeE1ELb0ELi512EEEvPfS3_PT_PKS4_PKT0_SA_ifPKiSC_iPKfiiiSE_SE_iiiii,"axG",@progbits,_ZN4vllm25paged_attention_v2_kernelI14__hip_bfloat16hLi32ELi8ELi128ELNS_18Fp8KVCacheDataTypeE1ELb0ELi512EEEvPfS3_PT_PKS4_PKT0_SA_ifPKiSC_iPKfiiiSE_SE_iiiii,comdat
	.protected	_ZN4vllm25paged_attention_v2_kernelI14__hip_bfloat16hLi32ELi8ELi128ELNS_18Fp8KVCacheDataTypeE1ELb0ELi512EEEvPfS3_PT_PKS4_PKT0_SA_ifPKiSC_iPKfiiiSE_SE_iiiii ; -- Begin function _ZN4vllm25paged_attention_v2_kernelI14__hip_bfloat16hLi32ELi8ELi128ELNS_18Fp8KVCacheDataTypeE1ELb0ELi512EEEvPfS3_PT_PKS4_PKT0_SA_ifPKiSC_iPKfiiiSE_SE_iiiii
	.globl	_ZN4vllm25paged_attention_v2_kernelI14__hip_bfloat16hLi32ELi8ELi128ELNS_18Fp8KVCacheDataTypeE1ELb0ELi512EEEvPfS3_PT_PKS4_PKT0_SA_ifPKiSC_iPKfiiiSE_SE_iiiii
	.p2align	8
	.type	_ZN4vllm25paged_attention_v2_kernelI14__hip_bfloat16hLi32ELi8ELi128ELNS_18Fp8KVCacheDataTypeE1ELb0ELi512EEEvPfS3_PT_PKS4_PKT0_SA_ifPKiSC_iPKfiiiSE_SE_iiiii,@function
_ZN4vllm25paged_attention_v2_kernelI14__hip_bfloat16hLi32ELi8ELi128ELNS_18Fp8KVCacheDataTypeE1ELb0ELi512EEEvPfS3_PT_PKS4_PKT0_SA_ifPKiSC_iPKfiiiSE_SE_iiiii: ; @_ZN4vllm25paged_attention_v2_kernelI14__hip_bfloat16hLi32ELi8ELi128ELNS_18Fp8KVCacheDataTypeE1ELb0ELi512EEEvPfS3_PT_PKS4_PKT0_SA_ifPKiSC_iPKfiiiSE_SE_iiiii
; %bb.0:
	s_load_b64 s[2:3], s[0:1], 0x40
	s_mov_b32 s12, s15
	s_ashr_i32 s15, s14, 31
	s_delay_alu instid0(SALU_CYCLE_1)
	s_lshl_b64 s[4:5], s[14:15], 2
	s_waitcnt lgkmcnt(0)
	s_add_u32 s2, s2, s4
	s_addc_u32 s3, s3, s5
	s_lshl_b32 s33, s12, 9
	s_load_b32 s15, s[2:3], 0x0
	s_waitcnt lgkmcnt(0)
	s_cmp_ge_i32 s33, s15
	s_cbranch_scc1 .LBB388_302
; %bb.1:
	s_mov_b32 s24, s13
	s_clause 0x1
	s_load_b32 s13, s[0:1], 0x90
	s_load_b64 s[34:35], s[0:1], 0x30
	s_mov_b32 s36, 0
	s_waitcnt lgkmcnt(0)
	s_abs_i32 s5, s13
	s_abs_i32 s2, s34
	s_delay_alu instid0(SALU_CYCLE_1) | instskip(SKIP_1) | instid1(VALU_DEP_1)
	v_cvt_f32_u32_e32 v1, s2
	s_sub_i32 s4, 0, s2
	v_rcp_iflag_f32_e32 v1, v1
	s_waitcnt_depctr 0xfff
	v_mul_f32_e32 v1, 0x4f7ffffe, v1
	s_delay_alu instid0(VALU_DEP_1) | instskip(NEXT) | instid1(VALU_DEP_1)
	v_cvt_u32_f32_e32 v1, v1
	v_readfirstlane_b32 s3, v1
	s_delay_alu instid0(VALU_DEP_1) | instskip(NEXT) | instid1(SALU_CYCLE_1)
	s_mul_i32 s4, s4, s3
	s_mul_hi_u32 s4, s3, s4
	s_delay_alu instid0(SALU_CYCLE_1) | instskip(SKIP_4) | instid1(SALU_CYCLE_1)
	s_add_i32 s3, s3, s4
	s_xor_b32 s4, s13, s34
	s_mul_hi_u32 s3, s5, s3
	s_ashr_i32 s4, s4, 31
	s_mul_i32 s6, s3, s2
	s_sub_i32 s5, s5, s6
	s_add_i32 s6, s3, 1
	s_sub_i32 s7, s5, s2
	s_cmp_ge_u32 s5, s2
	s_cselect_b32 s3, s6, s3
	s_cselect_b32 s5, s7, s5
	s_add_i32 s6, s3, 1
	s_cmp_ge_u32 s5, s2
	s_cselect_b32 s2, s6, s3
	s_abs_i32 s10, s24
	s_xor_b32 s2, s2, s4
	s_delay_alu instid0(SALU_CYCLE_1) | instskip(SKIP_2) | instid1(SALU_CYCLE_1)
	s_sub_i32 s11, s2, s4
	s_load_b64 s[2:3], s[0:1], 0x50
	s_abs_i32 s8, s11
	v_cvt_f32_u32_e32 v1, s8
	s_sub_i32 s5, 0, s8
	s_delay_alu instid0(VALU_DEP_1) | instskip(SKIP_2) | instid1(VALU_DEP_1)
	v_rcp_iflag_f32_e32 v1, v1
	s_waitcnt_depctr 0xfff
	v_mul_f32_e32 v1, 0x4f7ffffe, v1
	v_cvt_u32_f32_e32 v1, v1
	s_delay_alu instid0(VALU_DEP_1) | instskip(NEXT) | instid1(VALU_DEP_1)
	v_readfirstlane_b32 s4, v1
	s_mul_i32 s5, s5, s4
	s_delay_alu instid0(SALU_CYCLE_1) | instskip(NEXT) | instid1(SALU_CYCLE_1)
	s_mul_hi_u32 s5, s4, s5
	s_add_i32 s4, s4, s5
	s_waitcnt lgkmcnt(0)
	s_cmp_eq_u64 s[2:3], 0
	s_mul_hi_u32 s9, s10, s4
	s_cbranch_scc1 .LBB388_3
; %bb.2:
	s_ashr_i32 s25, s24, 31
	s_delay_alu instid0(SALU_CYCLE_1) | instskip(NEXT) | instid1(SALU_CYCLE_1)
	s_lshl_b64 s[4:5], s[24:25], 2
	s_add_u32 s2, s2, s4
	s_addc_u32 s3, s3, s5
	s_load_b32 s36, s[2:3], 0x0
.LBB388_3:
	s_load_b128 s[4:7], s[0:1], 0x58
	v_and_b32_e32 v1, 3, v0
	s_ashr_i32 s2, s24, 31
	s_ashr_i32 s3, s11, 31
	s_lshl_b32 s20, s24, 5
	s_waitcnt lgkmcnt(0)
	s_mov_b32 s7, exec_lo
	v_cmpx_gt_u32_e32 16, v0
	s_cbranch_execz .LBB388_5
; %bb.4:
	s_load_b64 s[16:17], s[0:1], 0x18
	s_mul_i32 s18, s14, s4
	v_lshlrev_b32_e32 v2, 2, v0
	s_ashr_i32 s19, s18, 31
	v_and_b32_e32 v3, 0x3fc, v0
	s_lshl_b64 s[18:19], s[18:19], 1
	s_delay_alu instid0(VALU_DEP_1) | instskip(SKIP_4) | instid1(SALU_CYCLE_1)
	v_lshl_add_u32 v3, v1, 4, v3
	s_waitcnt lgkmcnt(0)
	s_add_u32 s4, s16, s18
	s_addc_u32 s11, s17, s19
	s_ashr_i32 s21, s20, 31
	s_lshl_b64 s[16:17], s[20:21], 1
	s_delay_alu instid0(SALU_CYCLE_1)
	s_add_u32 s16, s4, s16
	s_addc_u32 s17, s11, s17
	global_load_b32 v2, v2, s[16:17]
	s_waitcnt vmcnt(0)
	ds_store_b32 v3, v2
.LBB388_5:
	s_or_b32 exec_lo, exec_lo, s7
	s_add_i32 s4, s15, 7
	s_lshl_b32 s7, s12, 6
	s_ashr_i32 s11, s4, 31
	s_xor_b32 s2, s2, s3
	s_lshr_b32 s11, s11, 29
	s_add_i32 s3, s7, 64
	s_add_i32 s4, s4, s11
	v_lshrrev_b32_e32 v16, 5, v0
	s_ashr_i32 s25, s4, 3
	s_mul_i32 s4, s9, s8
	s_min_i32 s21, s3, s25
	s_clause 0x1
	s_load_b64 s[26:27], s[0:1], 0x38
	s_load_b32 s3, s[0:1], 0x48
	s_sub_i32 s4, s10, s4
	s_add_i32 s10, s9, 1
	s_sub_i32 s11, s4, s8
	s_cmp_ge_u32 s4, s8
	v_or_b32_e32 v9, s7, v16
	s_cselect_b32 s9, s10, s9
	s_cselect_b32 s4, s11, s4
	s_add_i32 s10, s9, 1
	s_cmp_ge_u32 s4, s8
	v_mbcnt_lo_u32_b32 v11, -1, 0
	s_cselect_b32 s4, s10, s9
	s_waitcnt lgkmcnt(0)
	s_xor_b32 s4, s4, s2
	s_barrier
	s_sub_i32 s34, s4, s2
	v_cmp_gt_i32_e64 s2, s21, v9
	s_mov_b32 s4, exec_lo
	buffer_gl0_inv
                                        ; implicit-def: $vgpr12
	s_mul_i32 s28, s14, s3
                                        ; implicit-def: $sgpr3
	s_delay_alu instid0(SALU_CYCLE_1)
	s_ashr_i32 s29, s28, 31
	v_cmpx_le_i32_e64 s21, v9
	s_xor_b32 s4, exec_lo, s4
; %bb.6:
	v_mbcnt_lo_u32_b32 v11, -1, 0
	v_mov_b32_e32 v12, 32
	s_mov_b32 s3, 0xff7fffff
                                        ; implicit-def: $vgpr1
; %bb.7:
	s_or_saveexec_b32 s37, s4
	s_clause 0x4
	s_load_b128 s[16:19], s[0:1], 0x0
	s_load_b64 s[22:23], s[0:1], 0x10
	s_load_b32 s4, s[0:1], 0x98
	s_load_b64 s[30:31], s[0:1], 0x28
	s_load_b128 s[8:11], s[0:1], 0x68
	v_dual_mov_b32 v21, s3 :: v_dual_lshlrev_b32 v14, 3, v16
	v_ashrrev_i32_e32 v10, 31, v9
	s_mul_i32 s34, s34, s6
	s_xor_b32 exec_lo, exec_lo, s37
	s_cbranch_execz .LBB388_109
; %bb.8:
	v_xor_b32_e32 v3, 2, v11
	s_load_b64 s[0:1], s[0:1], 0x20
	v_xor_b32_e32 v12, 1, v11
	v_bfe_u32 v21, v0, 2, 3
	s_waitcnt lgkmcnt(0)
	s_load_b32 s6, s[8:9], 0x0
	v_cmp_gt_i32_e32 vcc_lo, 32, v3
	v_lshlrev_b32_e32 v2, 4, v1
	s_ashr_i32 s3, s34, 31
	v_add3_u32 v27, s33, v14, v21
	s_mov_b32 s9, 0
	v_cndmask_b32_e32 v25, v11, v3, vcc_lo
	ds_load_b128 v[5:8], v2
	v_cmp_gt_i32_e32 vcc_lo, 32, v12
	v_lshlrev_b32_e32 v4, 4, v21
	v_dual_mov_b32 v2, 0 :: v_dual_lshlrev_b32 v13, 1, v1
	v_lshlrev_b32_e32 v25, 2, v25
	v_mov_b32_e32 v29, v9
	s_add_u32 s0, s0, s34
	s_addc_u32 s1, s1, s3
	s_lshl_b64 s[38:39], s[28:29], 2
	s_sub_i32 s8, 1, s15
	s_waitcnt lgkmcnt(0)
	v_lshlrev_b32_e32 v15, 16, v5
	v_and_b32_e32 v17, 0xffff0000, v5
	v_lshlrev_b32_e32 v18, 16, v6
	v_and_b32_e32 v19, 0xffff0000, v6
	v_dual_cndmask_b32 v5, v11, v12 :: v_dual_lshlrev_b32 v6, 2, v21
	v_mov_b32_e32 v21, 0xff7fffff
	v_cmp_eq_u32_e32 vcc_lo, 0, v1
	v_add_co_u32 v3, s0, s0, v4
	s_delay_alu instid0(VALU_DEP_4)
	v_lshlrev_b32_e32 v26, 2, v5
	v_lshl_or_b32 v1, v16, 5, v6
	v_lshlrev_b64 v[5:6], 2, v[9:10]
	v_add_co_ci_u32_e64 v4, null, s1, 0, s0
	s_add_u32 s1, s26, s38
	s_addc_u32 s3, s27, s39
	v_lshlrev_b32_e32 v20, 16, v7
	s_delay_alu instid0(VALU_DEP_3)
	v_add_co_u32 v5, s1, s1, v5
	v_and_b32_e32 v22, 0xffff0000, v7
	v_lshlrev_b32_e32 v23, 16, v8
	v_and_b32_e32 v24, 0xffff0000, v8
	v_mov_b32_e32 v12, 32
	v_cmp_neq_f32_e64 s0, s36, 0
	v_add_nc_u32_e32 v28, 0x60, v1
	v_add_co_ci_u32_e64 v6, s1, s3, v6, s1
	s_mov_b32 s38, s5
	s_branch .LBB388_10
.LBB388_9:                              ;   in Loop: Header=BB388_10 Depth=1
	s_or_b32 exec_lo, exec_lo, s3
	v_add_nc_u32_e32 v29, 4, v29
	v_add_co_u32 v5, s3, v5, 16
	v_add_nc_u32_e32 v27, 32, v27
	v_add_nc_u32_e32 v28, 0x80, v28
	s_delay_alu instid0(VALU_DEP_4) | instskip(SKIP_1) | instid1(VALU_DEP_2)
	v_cmp_le_i32_e64 s1, s21, v29
	v_add_co_ci_u32_e64 v6, s3, 0, v6, s3
	s_or_b32 s9, s1, s9
	s_delay_alu instid0(SALU_CYCLE_1)
	s_and_not1_b32 exec_lo, exec_lo, s9
	s_cbranch_execz .LBB388_108
.LBB388_10:                             ; =>This Inner Loop Header: Depth=1
	global_load_b32 v1, v[5:6], off
	s_mov_b32 s3, exec_lo
	s_waitcnt vmcnt(0) lgkmcnt(0)
	v_mad_i64_i32 v[7:8], null, v1, s38, v[3:4]
	s_delay_alu instid0(VALU_DEP_1) | instskip(NEXT) | instid1(VALU_DEP_1)
	v_add_co_u32 v7, s1, v7, v13
	v_add_co_ci_u32_e64 v8, s1, 0, v8, s1
	global_load_u16 v1, v[7:8], off
	s_waitcnt vmcnt(0)
	v_and_b32_e32 v30, 0xff, v1
	v_and_b32_e32 v31, 0xffff, v1
	v_mov_b32_e32 v1, 0
	s_delay_alu instid0(VALU_DEP_3)
	v_cmpx_ne_u16_e32 0, v30
	s_cbranch_execz .LBB388_18
; %bb.11:                               ;   in Loop: Header=BB388_10 Depth=1
	s_delay_alu instid0(VALU_DEP_3) | instskip(NEXT) | instid1(VALU_DEP_1)
	v_and_b32_e32 v1, 0xff, v31
	v_cmp_ne_u16_e64 s1, 0x80, v1
	v_bfrev_b32_e32 v1, 1
	s_delay_alu instid0(VALU_DEP_2)
	s_and_saveexec_b32 s39, s1
	s_cbranch_execz .LBB388_17
; %bb.12:                               ;   in Loop: Header=BB388_10 Depth=1
	v_and_b32_e32 v32, 0x7f, v31
	v_mov_b32_e32 v1, 0x7f800001
	s_mov_b32 s40, exec_lo
	s_delay_alu instid0(VALU_DEP_2)
	v_cmpx_ne_u32_e32 0x7f, v32
	s_cbranch_execz .LBB388_16
; %bb.13:                               ;   in Loop: Header=BB388_10 Depth=1
	v_and_b32_e32 v1, 7, v31
	v_lshrrev_b32_e32 v30, 3, v32
	s_mov_b32 s41, exec_lo
	v_cmpx_gt_u32_e32 8, v32
; %bb.14:                               ;   in Loop: Header=BB388_10 Depth=1
	s_delay_alu instid0(VALU_DEP_3) | instskip(NEXT) | instid1(VALU_DEP_1)
	v_clz_i32_u32_e32 v30, v1
	v_min_u32_e32 v30, 32, v30
	s_delay_alu instid0(VALU_DEP_1) | instskip(SKIP_1) | instid1(VALU_DEP_2)
	v_subrev_nc_u32_e32 v32, 28, v30
	v_sub_nc_u32_e32 v30, 29, v30
	v_lshlrev_b64 v[32:33], v32, v[1:2]
	s_delay_alu instid0(VALU_DEP_1)
	v_and_b32_e32 v1, 7, v32
; %bb.15:                               ;   in Loop: Header=BB388_10 Depth=1
	s_or_b32 exec_lo, exec_lo, s41
	v_lshlrev_b32_e32 v32, 24, v31
	s_delay_alu instid0(VALU_DEP_2) | instskip(SKIP_1) | instid1(VALU_DEP_3)
	v_lshlrev_b32_e32 v1, 20, v1
	v_lshl_add_u32 v30, v30, 23, 0x3c000000
	v_and_b32_e32 v32, 0x80000000, v32
	s_delay_alu instid0(VALU_DEP_1)
	v_or3_b32 v1, v1, v32, v30
.LBB388_16:                             ;   in Loop: Header=BB388_10 Depth=1
	s_or_b32 exec_lo, exec_lo, s40
.LBB388_17:                             ;   in Loop: Header=BB388_10 Depth=1
	s_delay_alu instid0(SALU_CYCLE_1)
	s_or_b32 exec_lo, exec_lo, s39
.LBB388_18:                             ;   in Loop: Header=BB388_10 Depth=1
	s_delay_alu instid0(SALU_CYCLE_1) | instskip(NEXT) | instid1(VALU_DEP_1)
	s_or_b32 exec_lo, exec_lo, s3
	v_mul_f32_e32 v1, s6, v1
	s_delay_alu instid0(VALU_DEP_1) | instskip(NEXT) | instid1(VALU_DEP_1)
	v_and_b32_e32 v30, 0x7f800000, v1
	v_cmp_ne_u32_e64 s1, 0x7f800000, v30
                                        ; implicit-def: $vgpr30
	s_delay_alu instid0(VALU_DEP_1) | instskip(NEXT) | instid1(SALU_CYCLE_1)
	s_and_saveexec_b32 s3, s1
	s_xor_b32 s1, exec_lo, s3
; %bb.19:                               ;   in Loop: Header=BB388_10 Depth=1
	v_bfe_u32 v30, v1, 16, 1
	s_delay_alu instid0(VALU_DEP_1)
	v_add3_u32 v30, v1, v30, 0x7fff
                                        ; implicit-def: $vgpr1
; %bb.20:                               ;   in Loop: Header=BB388_10 Depth=1
	s_and_not1_saveexec_b32 s3, s1
; %bb.21:                               ;   in Loop: Header=BB388_10 Depth=1
	v_and_b32_e32 v30, 0xffff, v1
	v_or_b32_e32 v32, 0x10000, v1
	s_delay_alu instid0(VALU_DEP_2) | instskip(NEXT) | instid1(VALU_DEP_1)
	v_cmp_eq_u32_e64 s1, 0, v30
	v_cndmask_b32_e64 v30, v32, v1, s1
; %bb.22:                               ;   in Loop: Header=BB388_10 Depth=1
	s_or_b32 exec_lo, exec_lo, s3
	v_lshrrev_b16 v32, 8, v31
	v_mov_b32_e32 v1, 0
	s_mov_b32 s3, exec_lo
	s_delay_alu instid0(VALU_DEP_2)
	v_cmpx_ne_u16_e32 0, v32
	s_cbranch_execz .LBB388_30
; %bb.23:                               ;   in Loop: Header=BB388_10 Depth=1
	v_bfrev_b32_e32 v1, 1
	s_mov_b32 s39, exec_lo
	v_cmpx_ne_u16_e32 0x80, v32
	s_cbranch_execz .LBB388_29
; %bb.24:                               ;   in Loop: Header=BB388_10 Depth=1
	v_and_b32_e32 v32, 0xffff, v32
	v_mov_b32_e32 v1, 0x7f800001
	s_mov_b32 s40, exec_lo
	s_delay_alu instid0(VALU_DEP_2) | instskip(NEXT) | instid1(VALU_DEP_1)
	v_and_b32_e32 v33, 0x7f, v32
	v_cmpx_ne_u32_e32 0x7f, v33
	s_cbranch_execz .LBB388_28
; %bb.25:                               ;   in Loop: Header=BB388_10 Depth=1
	v_and_b32_e32 v1, 7, v32
	v_lshrrev_b32_e32 v32, 3, v33
	s_mov_b32 s41, exec_lo
	v_cmpx_gt_u32_e32 8, v33
; %bb.26:                               ;   in Loop: Header=BB388_10 Depth=1
	s_delay_alu instid0(VALU_DEP_3) | instskip(NEXT) | instid1(VALU_DEP_1)
	v_clz_i32_u32_e32 v32, v1
	v_min_u32_e32 v32, 32, v32
	s_delay_alu instid0(VALU_DEP_1) | instskip(SKIP_1) | instid1(VALU_DEP_2)
	v_subrev_nc_u32_e32 v33, 28, v32
	v_sub_nc_u32_e32 v32, 29, v32
	v_lshlrev_b64 v[33:34], v33, v[1:2]
	s_delay_alu instid0(VALU_DEP_1)
	v_and_b32_e32 v1, 7, v33
; %bb.27:                               ;   in Loop: Header=BB388_10 Depth=1
	s_or_b32 exec_lo, exec_lo, s41
	v_lshlrev_b32_e32 v31, 16, v31
	s_delay_alu instid0(VALU_DEP_2) | instskip(SKIP_1) | instid1(VALU_DEP_3)
	v_lshlrev_b32_e32 v1, 20, v1
	v_lshl_add_u32 v32, v32, 23, 0x3c000000
	v_and_b32_e32 v31, 0x80000000, v31
	s_delay_alu instid0(VALU_DEP_1)
	v_or3_b32 v1, v1, v31, v32
.LBB388_28:                             ;   in Loop: Header=BB388_10 Depth=1
	s_or_b32 exec_lo, exec_lo, s40
.LBB388_29:                             ;   in Loop: Header=BB388_10 Depth=1
	s_delay_alu instid0(SALU_CYCLE_1)
	s_or_b32 exec_lo, exec_lo, s39
.LBB388_30:                             ;   in Loop: Header=BB388_10 Depth=1
	s_delay_alu instid0(SALU_CYCLE_1) | instskip(NEXT) | instid1(VALU_DEP_1)
	s_or_b32 exec_lo, exec_lo, s3
	v_mul_f32_e32 v1, s6, v1
	s_delay_alu instid0(VALU_DEP_1) | instskip(NEXT) | instid1(VALU_DEP_1)
	v_and_b32_e32 v31, 0x7f800000, v1
	v_cmp_ne_u32_e64 s1, 0x7f800000, v31
                                        ; implicit-def: $vgpr31
	s_delay_alu instid0(VALU_DEP_1) | instskip(NEXT) | instid1(SALU_CYCLE_1)
	s_and_saveexec_b32 s3, s1
	s_xor_b32 s1, exec_lo, s3
; %bb.31:                               ;   in Loop: Header=BB388_10 Depth=1
	v_bfe_u32 v31, v1, 16, 1
	s_delay_alu instid0(VALU_DEP_1)
	v_add3_u32 v31, v1, v31, 0x7fff
                                        ; implicit-def: $vgpr1
; %bb.32:                               ;   in Loop: Header=BB388_10 Depth=1
	s_and_not1_saveexec_b32 s3, s1
; %bb.33:                               ;   in Loop: Header=BB388_10 Depth=1
	v_and_b32_e32 v31, 0xffff, v1
	v_or_b32_e32 v32, 0x10000, v1
	s_delay_alu instid0(VALU_DEP_2) | instskip(NEXT) | instid1(VALU_DEP_1)
	v_cmp_eq_u32_e64 s1, 0, v31
	v_cndmask_b32_e64 v31, v32, v1, s1
; %bb.34:                               ;   in Loop: Header=BB388_10 Depth=1
	s_or_b32 exec_lo, exec_lo, s3
	global_load_u16 v1, v[7:8], off offset:8
	s_mov_b32 s3, exec_lo
	s_waitcnt vmcnt(0)
	v_and_b32_e32 v32, 0xff, v1
	v_and_b32_e32 v33, 0xffff, v1
	v_mov_b32_e32 v1, 0
	s_delay_alu instid0(VALU_DEP_3)
	v_cmpx_ne_u16_e32 0, v32
	s_cbranch_execz .LBB388_42
; %bb.35:                               ;   in Loop: Header=BB388_10 Depth=1
	s_delay_alu instid0(VALU_DEP_3) | instskip(NEXT) | instid1(VALU_DEP_1)
	v_and_b32_e32 v1, 0xff, v33
	v_cmp_ne_u16_e64 s1, 0x80, v1
	v_bfrev_b32_e32 v1, 1
	s_delay_alu instid0(VALU_DEP_2)
	s_and_saveexec_b32 s39, s1
	s_cbranch_execz .LBB388_41
; %bb.36:                               ;   in Loop: Header=BB388_10 Depth=1
	v_and_b32_e32 v34, 0x7f, v33
	v_mov_b32_e32 v1, 0x7f800001
	s_mov_b32 s40, exec_lo
	s_delay_alu instid0(VALU_DEP_2)
	v_cmpx_ne_u32_e32 0x7f, v34
	s_cbranch_execz .LBB388_40
; %bb.37:                               ;   in Loop: Header=BB388_10 Depth=1
	v_and_b32_e32 v1, 7, v33
	v_lshrrev_b32_e32 v32, 3, v34
	s_mov_b32 s41, exec_lo
	v_cmpx_gt_u32_e32 8, v34
; %bb.38:                               ;   in Loop: Header=BB388_10 Depth=1
	s_delay_alu instid0(VALU_DEP_3) | instskip(NEXT) | instid1(VALU_DEP_1)
	v_clz_i32_u32_e32 v32, v1
	v_min_u32_e32 v32, 32, v32
	s_delay_alu instid0(VALU_DEP_1) | instskip(SKIP_1) | instid1(VALU_DEP_2)
	v_subrev_nc_u32_e32 v34, 28, v32
	v_sub_nc_u32_e32 v32, 29, v32
	v_lshlrev_b64 v[34:35], v34, v[1:2]
	s_delay_alu instid0(VALU_DEP_1)
	v_and_b32_e32 v1, 7, v34
; %bb.39:                               ;   in Loop: Header=BB388_10 Depth=1
	s_or_b32 exec_lo, exec_lo, s41
	v_lshlrev_b32_e32 v34, 24, v33
	s_delay_alu instid0(VALU_DEP_2) | instskip(SKIP_1) | instid1(VALU_DEP_3)
	v_lshlrev_b32_e32 v1, 20, v1
	v_lshl_add_u32 v32, v32, 23, 0x3c000000
	v_and_b32_e32 v34, 0x80000000, v34
	s_delay_alu instid0(VALU_DEP_1)
	v_or3_b32 v1, v1, v34, v32
.LBB388_40:                             ;   in Loop: Header=BB388_10 Depth=1
	s_or_b32 exec_lo, exec_lo, s40
.LBB388_41:                             ;   in Loop: Header=BB388_10 Depth=1
	s_delay_alu instid0(SALU_CYCLE_1)
	s_or_b32 exec_lo, exec_lo, s39
.LBB388_42:                             ;   in Loop: Header=BB388_10 Depth=1
	s_delay_alu instid0(SALU_CYCLE_1) | instskip(NEXT) | instid1(VALU_DEP_1)
	s_or_b32 exec_lo, exec_lo, s3
	v_mul_f32_e32 v1, s6, v1
	s_delay_alu instid0(VALU_DEP_1) | instskip(NEXT) | instid1(VALU_DEP_1)
	v_and_b32_e32 v32, 0x7f800000, v1
	v_cmp_ne_u32_e64 s1, 0x7f800000, v32
                                        ; implicit-def: $vgpr32
	s_delay_alu instid0(VALU_DEP_1) | instskip(NEXT) | instid1(SALU_CYCLE_1)
	s_and_saveexec_b32 s3, s1
	s_xor_b32 s1, exec_lo, s3
; %bb.43:                               ;   in Loop: Header=BB388_10 Depth=1
	v_bfe_u32 v32, v1, 16, 1
	s_delay_alu instid0(VALU_DEP_1)
	v_add3_u32 v32, v1, v32, 0x7fff
                                        ; implicit-def: $vgpr1
; %bb.44:                               ;   in Loop: Header=BB388_10 Depth=1
	s_and_not1_saveexec_b32 s3, s1
; %bb.45:                               ;   in Loop: Header=BB388_10 Depth=1
	v_and_b32_e32 v32, 0xffff, v1
	v_or_b32_e32 v34, 0x10000, v1
	s_delay_alu instid0(VALU_DEP_2) | instskip(NEXT) | instid1(VALU_DEP_1)
	v_cmp_eq_u32_e64 s1, 0, v32
	v_cndmask_b32_e64 v32, v34, v1, s1
; %bb.46:                               ;   in Loop: Header=BB388_10 Depth=1
	s_or_b32 exec_lo, exec_lo, s3
	v_lshrrev_b16 v34, 8, v33
	v_mov_b32_e32 v1, 0
	s_mov_b32 s3, exec_lo
	s_delay_alu instid0(VALU_DEP_2)
	v_cmpx_ne_u16_e32 0, v34
	s_cbranch_execz .LBB388_54
; %bb.47:                               ;   in Loop: Header=BB388_10 Depth=1
	v_bfrev_b32_e32 v1, 1
	s_mov_b32 s39, exec_lo
	v_cmpx_ne_u16_e32 0x80, v34
	s_cbranch_execz .LBB388_53
; %bb.48:                               ;   in Loop: Header=BB388_10 Depth=1
	v_and_b32_e32 v34, 0xffff, v34
	v_mov_b32_e32 v1, 0x7f800001
	s_mov_b32 s40, exec_lo
	s_delay_alu instid0(VALU_DEP_2) | instskip(NEXT) | instid1(VALU_DEP_1)
	v_and_b32_e32 v35, 0x7f, v34
	v_cmpx_ne_u32_e32 0x7f, v35
	s_cbranch_execz .LBB388_52
; %bb.49:                               ;   in Loop: Header=BB388_10 Depth=1
	v_and_b32_e32 v1, 7, v34
	v_lshrrev_b32_e32 v34, 3, v35
	s_mov_b32 s41, exec_lo
	v_cmpx_gt_u32_e32 8, v35
; %bb.50:                               ;   in Loop: Header=BB388_10 Depth=1
	s_delay_alu instid0(VALU_DEP_3) | instskip(NEXT) | instid1(VALU_DEP_1)
	v_clz_i32_u32_e32 v34, v1
	v_min_u32_e32 v34, 32, v34
	s_delay_alu instid0(VALU_DEP_1) | instskip(SKIP_1) | instid1(VALU_DEP_2)
	v_subrev_nc_u32_e32 v35, 28, v34
	v_sub_nc_u32_e32 v34, 29, v34
	v_lshlrev_b64 v[35:36], v35, v[1:2]
	s_delay_alu instid0(VALU_DEP_1)
	v_and_b32_e32 v1, 7, v35
; %bb.51:                               ;   in Loop: Header=BB388_10 Depth=1
	s_or_b32 exec_lo, exec_lo, s41
	v_lshlrev_b32_e32 v33, 16, v33
	s_delay_alu instid0(VALU_DEP_2) | instskip(SKIP_1) | instid1(VALU_DEP_3)
	v_lshlrev_b32_e32 v1, 20, v1
	v_lshl_add_u32 v34, v34, 23, 0x3c000000
	v_and_b32_e32 v33, 0x80000000, v33
	s_delay_alu instid0(VALU_DEP_1)
	v_or3_b32 v1, v1, v33, v34
.LBB388_52:                             ;   in Loop: Header=BB388_10 Depth=1
	s_or_b32 exec_lo, exec_lo, s40
.LBB388_53:                             ;   in Loop: Header=BB388_10 Depth=1
	s_delay_alu instid0(SALU_CYCLE_1)
	s_or_b32 exec_lo, exec_lo, s39
.LBB388_54:                             ;   in Loop: Header=BB388_10 Depth=1
	s_delay_alu instid0(SALU_CYCLE_1) | instskip(NEXT) | instid1(VALU_DEP_1)
	s_or_b32 exec_lo, exec_lo, s3
	v_mul_f32_e32 v1, s6, v1
	s_delay_alu instid0(VALU_DEP_1) | instskip(NEXT) | instid1(VALU_DEP_1)
	v_and_b32_e32 v33, 0x7f800000, v1
	v_cmp_ne_u32_e64 s1, 0x7f800000, v33
                                        ; implicit-def: $vgpr33
	s_delay_alu instid0(VALU_DEP_1) | instskip(NEXT) | instid1(SALU_CYCLE_1)
	s_and_saveexec_b32 s3, s1
	s_xor_b32 s1, exec_lo, s3
; %bb.55:                               ;   in Loop: Header=BB388_10 Depth=1
	v_bfe_u32 v33, v1, 16, 1
	s_delay_alu instid0(VALU_DEP_1)
	v_add3_u32 v33, v1, v33, 0x7fff
                                        ; implicit-def: $vgpr1
; %bb.56:                               ;   in Loop: Header=BB388_10 Depth=1
	s_and_not1_saveexec_b32 s3, s1
; %bb.57:                               ;   in Loop: Header=BB388_10 Depth=1
	v_and_b32_e32 v33, 0xffff, v1
	v_or_b32_e32 v34, 0x10000, v1
	s_delay_alu instid0(VALU_DEP_2) | instskip(NEXT) | instid1(VALU_DEP_1)
	v_cmp_eq_u32_e64 s1, 0, v33
	v_cndmask_b32_e64 v33, v34, v1, s1
; %bb.58:                               ;   in Loop: Header=BB388_10 Depth=1
	s_or_b32 exec_lo, exec_lo, s3
	global_load_u16 v1, v[7:8], off offset:128
	s_mov_b32 s3, exec_lo
	s_waitcnt vmcnt(0)
	v_and_b32_e32 v34, 0xff, v1
	v_and_b32_e32 v35, 0xffff, v1
	v_mov_b32_e32 v1, 0
	s_delay_alu instid0(VALU_DEP_3)
	v_cmpx_ne_u16_e32 0, v34
	s_cbranch_execz .LBB388_66
; %bb.59:                               ;   in Loop: Header=BB388_10 Depth=1
	s_delay_alu instid0(VALU_DEP_3) | instskip(NEXT) | instid1(VALU_DEP_1)
	v_and_b32_e32 v1, 0xff, v35
	v_cmp_ne_u16_e64 s1, 0x80, v1
	v_bfrev_b32_e32 v1, 1
	s_delay_alu instid0(VALU_DEP_2)
	s_and_saveexec_b32 s39, s1
	s_cbranch_execz .LBB388_65
; %bb.60:                               ;   in Loop: Header=BB388_10 Depth=1
	v_and_b32_e32 v36, 0x7f, v35
	v_mov_b32_e32 v1, 0x7f800001
	s_mov_b32 s40, exec_lo
	s_delay_alu instid0(VALU_DEP_2)
	v_cmpx_ne_u32_e32 0x7f, v36
	s_cbranch_execz .LBB388_64
; %bb.61:                               ;   in Loop: Header=BB388_10 Depth=1
	v_and_b32_e32 v1, 7, v35
	v_lshrrev_b32_e32 v34, 3, v36
	s_mov_b32 s41, exec_lo
	v_cmpx_gt_u32_e32 8, v36
; %bb.62:                               ;   in Loop: Header=BB388_10 Depth=1
	s_delay_alu instid0(VALU_DEP_3) | instskip(NEXT) | instid1(VALU_DEP_1)
	v_clz_i32_u32_e32 v34, v1
	v_min_u32_e32 v34, 32, v34
	s_delay_alu instid0(VALU_DEP_1) | instskip(SKIP_1) | instid1(VALU_DEP_2)
	v_subrev_nc_u32_e32 v36, 28, v34
	v_sub_nc_u32_e32 v34, 29, v34
	v_lshlrev_b64 v[36:37], v36, v[1:2]
	s_delay_alu instid0(VALU_DEP_1)
	v_and_b32_e32 v1, 7, v36
; %bb.63:                               ;   in Loop: Header=BB388_10 Depth=1
	s_or_b32 exec_lo, exec_lo, s41
	v_lshlrev_b32_e32 v36, 24, v35
	s_delay_alu instid0(VALU_DEP_2) | instskip(SKIP_1) | instid1(VALU_DEP_3)
	v_lshlrev_b32_e32 v1, 20, v1
	v_lshl_add_u32 v34, v34, 23, 0x3c000000
	v_and_b32_e32 v36, 0x80000000, v36
	s_delay_alu instid0(VALU_DEP_1)
	v_or3_b32 v1, v1, v36, v34
.LBB388_64:                             ;   in Loop: Header=BB388_10 Depth=1
	s_or_b32 exec_lo, exec_lo, s40
.LBB388_65:                             ;   in Loop: Header=BB388_10 Depth=1
	s_delay_alu instid0(SALU_CYCLE_1)
	s_or_b32 exec_lo, exec_lo, s39
.LBB388_66:                             ;   in Loop: Header=BB388_10 Depth=1
	s_delay_alu instid0(SALU_CYCLE_1) | instskip(NEXT) | instid1(VALU_DEP_1)
	s_or_b32 exec_lo, exec_lo, s3
	v_mul_f32_e32 v1, s6, v1
	s_delay_alu instid0(VALU_DEP_1) | instskip(NEXT) | instid1(VALU_DEP_1)
	v_and_b32_e32 v34, 0x7f800000, v1
	v_cmp_ne_u32_e64 s1, 0x7f800000, v34
                                        ; implicit-def: $vgpr34
	s_delay_alu instid0(VALU_DEP_1) | instskip(NEXT) | instid1(SALU_CYCLE_1)
	s_and_saveexec_b32 s3, s1
	s_xor_b32 s1, exec_lo, s3
; %bb.67:                               ;   in Loop: Header=BB388_10 Depth=1
	v_bfe_u32 v34, v1, 16, 1
	s_delay_alu instid0(VALU_DEP_1)
	v_add3_u32 v34, v1, v34, 0x7fff
                                        ; implicit-def: $vgpr1
; %bb.68:                               ;   in Loop: Header=BB388_10 Depth=1
	s_and_not1_saveexec_b32 s3, s1
; %bb.69:                               ;   in Loop: Header=BB388_10 Depth=1
	v_and_b32_e32 v34, 0xffff, v1
	v_or_b32_e32 v36, 0x10000, v1
	s_delay_alu instid0(VALU_DEP_2) | instskip(NEXT) | instid1(VALU_DEP_1)
	v_cmp_eq_u32_e64 s1, 0, v34
	v_cndmask_b32_e64 v34, v36, v1, s1
; %bb.70:                               ;   in Loop: Header=BB388_10 Depth=1
	s_or_b32 exec_lo, exec_lo, s3
	v_lshrrev_b16 v36, 8, v35
	v_mov_b32_e32 v1, 0
	s_mov_b32 s3, exec_lo
	s_delay_alu instid0(VALU_DEP_2)
	v_cmpx_ne_u16_e32 0, v36
	s_cbranch_execz .LBB388_78
; %bb.71:                               ;   in Loop: Header=BB388_10 Depth=1
	v_bfrev_b32_e32 v1, 1
	s_mov_b32 s39, exec_lo
	v_cmpx_ne_u16_e32 0x80, v36
	s_cbranch_execz .LBB388_77
; %bb.72:                               ;   in Loop: Header=BB388_10 Depth=1
	v_and_b32_e32 v36, 0xffff, v36
	v_mov_b32_e32 v1, 0x7f800001
	s_mov_b32 s40, exec_lo
	s_delay_alu instid0(VALU_DEP_2) | instskip(NEXT) | instid1(VALU_DEP_1)
	v_and_b32_e32 v37, 0x7f, v36
	v_cmpx_ne_u32_e32 0x7f, v37
	s_cbranch_execz .LBB388_76
; %bb.73:                               ;   in Loop: Header=BB388_10 Depth=1
	v_and_b32_e32 v1, 7, v36
	v_lshrrev_b32_e32 v36, 3, v37
	s_mov_b32 s41, exec_lo
	v_cmpx_gt_u32_e32 8, v37
; %bb.74:                               ;   in Loop: Header=BB388_10 Depth=1
	s_delay_alu instid0(VALU_DEP_3) | instskip(NEXT) | instid1(VALU_DEP_1)
	v_clz_i32_u32_e32 v36, v1
	v_min_u32_e32 v36, 32, v36
	s_delay_alu instid0(VALU_DEP_1) | instskip(SKIP_1) | instid1(VALU_DEP_2)
	v_subrev_nc_u32_e32 v37, 28, v36
	v_sub_nc_u32_e32 v36, 29, v36
	v_lshlrev_b64 v[37:38], v37, v[1:2]
	s_delay_alu instid0(VALU_DEP_1)
	v_and_b32_e32 v1, 7, v37
; %bb.75:                               ;   in Loop: Header=BB388_10 Depth=1
	s_or_b32 exec_lo, exec_lo, s41
	v_lshlrev_b32_e32 v35, 16, v35
	s_delay_alu instid0(VALU_DEP_2) | instskip(SKIP_1) | instid1(VALU_DEP_3)
	v_lshlrev_b32_e32 v1, 20, v1
	v_lshl_add_u32 v36, v36, 23, 0x3c000000
	v_and_b32_e32 v35, 0x80000000, v35
	s_delay_alu instid0(VALU_DEP_1)
	v_or3_b32 v1, v1, v35, v36
.LBB388_76:                             ;   in Loop: Header=BB388_10 Depth=1
	s_or_b32 exec_lo, exec_lo, s40
.LBB388_77:                             ;   in Loop: Header=BB388_10 Depth=1
	s_delay_alu instid0(SALU_CYCLE_1)
	s_or_b32 exec_lo, exec_lo, s39
.LBB388_78:                             ;   in Loop: Header=BB388_10 Depth=1
	s_delay_alu instid0(SALU_CYCLE_1) | instskip(NEXT) | instid1(VALU_DEP_1)
	s_or_b32 exec_lo, exec_lo, s3
	v_mul_f32_e32 v1, s6, v1
	s_delay_alu instid0(VALU_DEP_1) | instskip(NEXT) | instid1(VALU_DEP_1)
	v_and_b32_e32 v35, 0x7f800000, v1
	v_cmp_ne_u32_e64 s1, 0x7f800000, v35
                                        ; implicit-def: $vgpr35
	s_delay_alu instid0(VALU_DEP_1) | instskip(NEXT) | instid1(SALU_CYCLE_1)
	s_and_saveexec_b32 s3, s1
	s_xor_b32 s1, exec_lo, s3
; %bb.79:                               ;   in Loop: Header=BB388_10 Depth=1
	v_bfe_u32 v35, v1, 16, 1
	s_delay_alu instid0(VALU_DEP_1)
	v_add3_u32 v35, v1, v35, 0x7fff
                                        ; implicit-def: $vgpr1
; %bb.80:                               ;   in Loop: Header=BB388_10 Depth=1
	s_and_not1_saveexec_b32 s3, s1
; %bb.81:                               ;   in Loop: Header=BB388_10 Depth=1
	v_and_b32_e32 v35, 0xffff, v1
	v_or_b32_e32 v36, 0x10000, v1
	s_delay_alu instid0(VALU_DEP_2) | instskip(NEXT) | instid1(VALU_DEP_1)
	v_cmp_eq_u32_e64 s1, 0, v35
	v_cndmask_b32_e64 v35, v36, v1, s1
; %bb.82:                               ;   in Loop: Header=BB388_10 Depth=1
	s_or_b32 exec_lo, exec_lo, s3
	global_load_u16 v1, v[7:8], off offset:136
	s_mov_b32 s3, exec_lo
	s_waitcnt vmcnt(0)
	v_and_b32_e32 v8, 0xff, v1
	v_and_b32_e32 v7, 0xffff, v1
	v_mov_b32_e32 v1, 0
	s_delay_alu instid0(VALU_DEP_3)
	v_cmpx_ne_u16_e32 0, v8
	s_cbranch_execz .LBB388_90
; %bb.83:                               ;   in Loop: Header=BB388_10 Depth=1
	s_delay_alu instid0(VALU_DEP_3) | instskip(NEXT) | instid1(VALU_DEP_1)
	v_and_b32_e32 v1, 0xff, v7
	v_cmp_ne_u16_e64 s1, 0x80, v1
	v_bfrev_b32_e32 v1, 1
	s_delay_alu instid0(VALU_DEP_2)
	s_and_saveexec_b32 s39, s1
	s_cbranch_execz .LBB388_89
; %bb.84:                               ;   in Loop: Header=BB388_10 Depth=1
	v_and_b32_e32 v36, 0x7f, v7
	v_mov_b32_e32 v1, 0x7f800001
	s_mov_b32 s40, exec_lo
	s_delay_alu instid0(VALU_DEP_2)
	v_cmpx_ne_u32_e32 0x7f, v36
	s_cbranch_execz .LBB388_88
; %bb.85:                               ;   in Loop: Header=BB388_10 Depth=1
	v_and_b32_e32 v1, 7, v7
	v_lshrrev_b32_e32 v8, 3, v36
	s_mov_b32 s41, exec_lo
	v_cmpx_gt_u32_e32 8, v36
; %bb.86:                               ;   in Loop: Header=BB388_10 Depth=1
	s_delay_alu instid0(VALU_DEP_3) | instskip(NEXT) | instid1(VALU_DEP_1)
	v_clz_i32_u32_e32 v8, v1
	v_min_u32_e32 v8, 32, v8
	s_delay_alu instid0(VALU_DEP_1) | instskip(SKIP_1) | instid1(VALU_DEP_2)
	v_subrev_nc_u32_e32 v36, 28, v8
	v_sub_nc_u32_e32 v8, 29, v8
	v_lshlrev_b64 v[36:37], v36, v[1:2]
	s_delay_alu instid0(VALU_DEP_1)
	v_and_b32_e32 v1, 7, v36
; %bb.87:                               ;   in Loop: Header=BB388_10 Depth=1
	s_or_b32 exec_lo, exec_lo, s41
	v_lshlrev_b32_e32 v36, 24, v7
	s_delay_alu instid0(VALU_DEP_2) | instskip(SKIP_1) | instid1(VALU_DEP_3)
	v_lshlrev_b32_e32 v1, 20, v1
	v_lshl_add_u32 v8, v8, 23, 0x3c000000
	v_and_b32_e32 v36, 0x80000000, v36
	s_delay_alu instid0(VALU_DEP_1)
	v_or3_b32 v1, v1, v36, v8
.LBB388_88:                             ;   in Loop: Header=BB388_10 Depth=1
	s_or_b32 exec_lo, exec_lo, s40
.LBB388_89:                             ;   in Loop: Header=BB388_10 Depth=1
	s_delay_alu instid0(SALU_CYCLE_1)
	s_or_b32 exec_lo, exec_lo, s39
.LBB388_90:                             ;   in Loop: Header=BB388_10 Depth=1
	s_delay_alu instid0(SALU_CYCLE_1) | instskip(NEXT) | instid1(VALU_DEP_1)
	s_or_b32 exec_lo, exec_lo, s3
	v_mul_f32_e32 v1, s6, v1
	s_delay_alu instid0(VALU_DEP_1) | instskip(NEXT) | instid1(VALU_DEP_1)
	v_and_b32_e32 v8, 0x7f800000, v1
	v_cmp_ne_u32_e64 s1, 0x7f800000, v8
                                        ; implicit-def: $vgpr8
	s_delay_alu instid0(VALU_DEP_1) | instskip(NEXT) | instid1(SALU_CYCLE_1)
	s_and_saveexec_b32 s3, s1
	s_xor_b32 s1, exec_lo, s3
; %bb.91:                               ;   in Loop: Header=BB388_10 Depth=1
	v_bfe_u32 v8, v1, 16, 1
	s_delay_alu instid0(VALU_DEP_1)
	v_add3_u32 v8, v1, v8, 0x7fff
                                        ; implicit-def: $vgpr1
; %bb.92:                               ;   in Loop: Header=BB388_10 Depth=1
	s_and_not1_saveexec_b32 s3, s1
; %bb.93:                               ;   in Loop: Header=BB388_10 Depth=1
	v_and_b32_e32 v8, 0xffff, v1
	v_or_b32_e32 v36, 0x10000, v1
	s_delay_alu instid0(VALU_DEP_2) | instskip(NEXT) | instid1(VALU_DEP_1)
	v_cmp_eq_u32_e64 s1, 0, v8
	v_cndmask_b32_e64 v8, v36, v1, s1
; %bb.94:                               ;   in Loop: Header=BB388_10 Depth=1
	s_or_b32 exec_lo, exec_lo, s3
	v_lshrrev_b16 v36, 8, v7
	v_mov_b32_e32 v1, 0
	s_mov_b32 s3, exec_lo
	s_delay_alu instid0(VALU_DEP_2)
	v_cmpx_ne_u16_e32 0, v36
	s_cbranch_execz .LBB388_102
; %bb.95:                               ;   in Loop: Header=BB388_10 Depth=1
	v_bfrev_b32_e32 v1, 1
	s_mov_b32 s39, exec_lo
	v_cmpx_ne_u16_e32 0x80, v36
	s_cbranch_execz .LBB388_101
; %bb.96:                               ;   in Loop: Header=BB388_10 Depth=1
	v_and_b32_e32 v36, 0xffff, v36
	v_mov_b32_e32 v1, 0x7f800001
	s_mov_b32 s40, exec_lo
	s_delay_alu instid0(VALU_DEP_2) | instskip(NEXT) | instid1(VALU_DEP_1)
	v_and_b32_e32 v37, 0x7f, v36
	v_cmpx_ne_u32_e32 0x7f, v37
	s_cbranch_execz .LBB388_100
; %bb.97:                               ;   in Loop: Header=BB388_10 Depth=1
	v_and_b32_e32 v1, 7, v36
	v_lshrrev_b32_e32 v36, 3, v37
	s_mov_b32 s41, exec_lo
	v_cmpx_gt_u32_e32 8, v37
; %bb.98:                               ;   in Loop: Header=BB388_10 Depth=1
	s_delay_alu instid0(VALU_DEP_3) | instskip(NEXT) | instid1(VALU_DEP_1)
	v_clz_i32_u32_e32 v36, v1
	v_min_u32_e32 v36, 32, v36
	s_delay_alu instid0(VALU_DEP_1) | instskip(SKIP_1) | instid1(VALU_DEP_2)
	v_subrev_nc_u32_e32 v37, 28, v36
	v_sub_nc_u32_e32 v36, 29, v36
	v_lshlrev_b64 v[37:38], v37, v[1:2]
	s_delay_alu instid0(VALU_DEP_1)
	v_and_b32_e32 v1, 7, v37
; %bb.99:                               ;   in Loop: Header=BB388_10 Depth=1
	s_or_b32 exec_lo, exec_lo, s41
	v_lshlrev_b32_e32 v7, 16, v7
	s_delay_alu instid0(VALU_DEP_2) | instskip(SKIP_1) | instid1(VALU_DEP_3)
	v_lshlrev_b32_e32 v1, 20, v1
	v_lshl_add_u32 v36, v36, 23, 0x3c000000
	v_and_b32_e32 v7, 0x80000000, v7
	s_delay_alu instid0(VALU_DEP_1)
	v_or3_b32 v1, v1, v7, v36
.LBB388_100:                            ;   in Loop: Header=BB388_10 Depth=1
	s_or_b32 exec_lo, exec_lo, s40
.LBB388_101:                            ;   in Loop: Header=BB388_10 Depth=1
	s_delay_alu instid0(SALU_CYCLE_1)
	s_or_b32 exec_lo, exec_lo, s39
.LBB388_102:                            ;   in Loop: Header=BB388_10 Depth=1
	s_delay_alu instid0(SALU_CYCLE_1) | instskip(NEXT) | instid1(VALU_DEP_1)
	s_or_b32 exec_lo, exec_lo, s3
	v_mul_f32_e32 v7, s6, v1
	s_delay_alu instid0(VALU_DEP_1) | instskip(NEXT) | instid1(VALU_DEP_1)
	v_and_b32_e32 v1, 0x7f800000, v7
	v_cmp_ne_u32_e64 s1, 0x7f800000, v1
                                        ; implicit-def: $vgpr1
	s_delay_alu instid0(VALU_DEP_1) | instskip(NEXT) | instid1(SALU_CYCLE_1)
	s_and_saveexec_b32 s3, s1
	s_xor_b32 s1, exec_lo, s3
; %bb.103:                              ;   in Loop: Header=BB388_10 Depth=1
	v_bfe_u32 v1, v7, 16, 1
	s_delay_alu instid0(VALU_DEP_1)
	v_add3_u32 v1, v7, v1, 0x7fff
                                        ; implicit-def: $vgpr7
; %bb.104:                              ;   in Loop: Header=BB388_10 Depth=1
	s_and_not1_saveexec_b32 s3, s1
; %bb.105:                              ;   in Loop: Header=BB388_10 Depth=1
	v_and_b32_e32 v1, 0xffff, v7
	v_or_b32_e32 v36, 0x10000, v7
	s_delay_alu instid0(VALU_DEP_2) | instskip(NEXT) | instid1(VALU_DEP_1)
	v_cmp_eq_u32_e64 s1, 0, v1
	v_cndmask_b32_e64 v1, v36, v7, s1
; %bb.106:                              ;   in Loop: Header=BB388_10 Depth=1
	s_or_b32 exec_lo, exec_lo, s3
	v_and_b32_e32 v31, 0xffff0000, v31
	v_and_b32_e32 v7, 0xffff0000, v32
	;; [unrolled: 1-line block ×6, first 2 shown]
	s_delay_alu instid0(VALU_DEP_4) | instskip(NEXT) | instid1(VALU_DEP_1)
	v_dual_mul_f32 v32, v19, v32 :: v_dual_and_b32 v33, 0xffff0000, v35
	v_fmac_f32_e32 v32, v17, v31
	v_mul_f32_e32 v7, v18, v7
	s_delay_alu instid0(VALU_DEP_1) | instskip(NEXT) | instid1(VALU_DEP_1)
	v_dual_fmac_f32 v32, v22, v33 :: v_dual_fmac_f32 v7, v15, v30
	v_fmac_f32_e32 v32, v24, v1
	v_and_b32_e32 v34, 0xffff0000, v34
	s_delay_alu instid0(VALU_DEP_1) | instskip(NEXT) | instid1(VALU_DEP_1)
	v_fmac_f32_e32 v7, v20, v34
	v_fmac_f32_e32 v7, v23, v8
	s_delay_alu instid0(VALU_DEP_1)
	v_add_f32_e32 v1, v7, v32
	ds_bpermute_b32 v7, v25, v1
	s_waitcnt lgkmcnt(0)
	v_add_f32_e32 v1, v1, v7
	ds_bpermute_b32 v7, v26, v1
	s_and_saveexec_b32 s3, vcc_lo
	s_cbranch_execz .LBB388_9
; %bb.107:                              ;   in Loop: Header=BB388_10 Depth=1
	s_waitcnt lgkmcnt(0)
	v_add_f32_e32 v1, v1, v7
	v_add_nc_u32_e32 v8, s8, v27
	v_cmp_gt_i32_e64 s1, s15, v27
	s_delay_alu instid0(VALU_DEP_2) | instskip(NEXT) | instid1(VALU_DEP_1)
	v_cvt_f32_i32_e32 v8, v8
	v_mul_f32_e32 v8, s36, v8
	s_delay_alu instid0(VALU_DEP_1) | instskip(SKIP_1) | instid1(VALU_DEP_2)
	v_cndmask_b32_e64 v7, 0, v8, s0
	v_max_f32_e32 v8, v21, v21
	v_fmac_f32_e32 v7, s35, v1
	s_delay_alu instid0(VALU_DEP_1) | instskip(SKIP_1) | instid1(VALU_DEP_2)
	v_max_f32_e32 v1, v8, v7
	v_cndmask_b32_e64 v7, 0, v7, s1
	v_cndmask_b32_e64 v21, v21, v1, s1
	ds_store_b32 v28, v7
	s_branch .LBB388_9
.LBB388_108:
	s_or_b32 exec_lo, exec_lo, s9
.LBB388_109:
	s_delay_alu instid0(SALU_CYCLE_1) | instskip(SKIP_4) | instid1(VALU_DEP_4)
	s_or_b32 exec_lo, exec_lo, s37
	v_xor_b32_e32 v1, 16, v11
	v_xor_b32_e32 v3, 8, v11
	v_max_f32_e32 v5, v21, v21
	v_and_b32_e32 v17, 31, v0
	v_cmp_lt_i32_e32 vcc_lo, v1, v12
	v_cndmask_b32_e32 v1, v11, v1, vcc_lo
	v_cmp_lt_i32_e32 vcc_lo, v3, v12
	v_cndmask_b32_e32 v3, v11, v3, vcc_lo
	s_delay_alu instid0(VALU_DEP_1) | instskip(NEXT) | instid1(VALU_DEP_4)
	v_lshlrev_b32_e32 v4, 2, v3
	v_lshlrev_b32_e32 v2, 2, v1
	ds_bpermute_b32 v1, v2, v21
	s_waitcnt lgkmcnt(0)
	v_max_f32_e32 v1, v1, v1
	s_delay_alu instid0(VALU_DEP_1)
	v_max_f32_e32 v1, v5, v1
	v_xor_b32_e32 v5, 4, v11
	ds_bpermute_b32 v3, v4, v1
	v_cmp_lt_i32_e32 vcc_lo, v5, v12
	v_cndmask_b32_e32 v5, v11, v5, vcc_lo
	v_cmp_eq_u32_e32 vcc_lo, 0, v17
	s_delay_alu instid0(VALU_DEP_2) | instskip(SKIP_3) | instid1(VALU_DEP_1)
	v_lshlrev_b32_e32 v7, 2, v5
	v_lshlrev_b32_e32 v5, 2, v16
	s_waitcnt lgkmcnt(0)
	v_max_f32_e32 v3, v3, v3
	v_max_f32_e32 v1, v1, v3
	ds_bpermute_b32 v3, v7, v1
	s_and_saveexec_b32 s0, vcc_lo
	s_cbranch_execz .LBB388_111
; %bb.110:
	s_waitcnt lgkmcnt(0)
	v_max_f32_e32 v3, v3, v3
	v_max_f32_e32 v1, v1, v1
	s_delay_alu instid0(VALU_DEP_1)
	v_max_f32_e32 v1, v1, v3
	ds_store_b32 v5, v1 offset:64
.LBB388_111:
	s_or_b32 exec_lo, exec_lo, s0
	v_cmp_gt_u32_e64 s0, 4, v17
	v_dual_mov_b32 v1, 0xff7fffff :: v_dual_lshlrev_b32 v6, 2, v17
	s_waitcnt lgkmcnt(0)
	s_barrier
	buffer_gl0_inv
	s_and_saveexec_b32 s1, s0
	s_cbranch_execz .LBB388_113
; %bb.112:
	ds_load_b32 v1, v6 offset:64
.LBB388_113:
	s_or_b32 exec_lo, exec_lo, s1
	v_xor_b32_e32 v3, 2, v11
	v_xor_b32_e32 v13, 1, v11
	s_delay_alu instid0(VALU_DEP_2) | instskip(NEXT) | instid1(VALU_DEP_1)
	v_cmp_lt_i32_e64 s1, v3, v12
	v_cndmask_b32_e64 v3, v11, v3, s1
	s_delay_alu instid0(VALU_DEP_3) | instskip(NEXT) | instid1(VALU_DEP_2)
	v_cmp_lt_i32_e64 s1, v13, v12
	v_lshlrev_b32_e32 v8, 2, v3
	s_delay_alu instid0(VALU_DEP_2)
	v_cndmask_b32_e64 v12, v11, v13, s1
	v_lshlrev_b32_e32 v11, 2, v11
	s_sub_i32 s1, s21, s7
	v_mov_b32_e32 v13, 0
	s_waitcnt lgkmcnt(0)
	ds_bpermute_b32 v3, v8, v1
	v_max_f32_e32 v1, v1, v1
	v_and_b32_e32 v11, 0xffffff80, v11
	s_lshl_b32 s1, s1, 3
	v_lshlrev_b32_e32 v12, 2, v12
	s_add_i32 s1, s1, s33
	s_delay_alu instid0(SALU_CYCLE_1) | instskip(NEXT) | instid1(SALU_CYCLE_1)
	s_min_i32 s1, s1, s15
	s_sub_i32 s6, s1, s33
	s_delay_alu instid0(SALU_CYCLE_1) | instskip(SKIP_2) | instid1(VALU_DEP_1)
	v_cmp_gt_i32_e64 s1, s6, v0
	s_waitcnt lgkmcnt(0)
	v_max_f32_e32 v3, v3, v3
	v_max_f32_e32 v1, v1, v3
	ds_bpermute_b32 v3, v12, v1
	s_waitcnt lgkmcnt(0)
	v_max_f32_e32 v3, v3, v3
	s_delay_alu instid0(VALU_DEP_1)
	v_max_f32_e32 v1, v1, v3
	v_lshl_add_u32 v3, v0, 2, 0x60
	ds_bpermute_b32 v1, v11, v1
	s_and_saveexec_b32 s7, s1
	s_cbranch_execz .LBB388_117
; %bb.114:
	v_lshl_add_u32 v15, v0, 2, 0x60
	v_dual_mov_b32 v13, 0 :: v_dual_mov_b32 v18, v0
	s_mov_b32 s8, 0
	.p2align	6
.LBB388_115:                            ; =>This Inner Loop Header: Depth=1
	ds_load_b32 v19, v15
	v_add_nc_u32_e32 v18, 0x80, v18
	s_delay_alu instid0(VALU_DEP_1) | instskip(NEXT) | instid1(VALU_DEP_1)
	v_cmp_le_i32_e64 s3, s6, v18
	s_or_b32 s8, s3, s8
	s_waitcnt lgkmcnt(0)
	v_sub_f32_e32 v19, v19, v1
	s_delay_alu instid0(VALU_DEP_1) | instskip(NEXT) | instid1(VALU_DEP_1)
	v_mul_f32_e32 v19, 0x3fb8aa3b, v19
	v_exp_f32_e32 v19, v19
	ds_store_b32 v15, v19
	v_add_f32_e32 v13, v13, v19
	v_add_nc_u32_e32 v15, 0x200, v15
	s_and_not1_b32 exec_lo, exec_lo, s8
	s_cbranch_execnz .LBB388_115
; %bb.116:
	s_or_b32 exec_lo, exec_lo, s8
.LBB388_117:
	s_delay_alu instid0(SALU_CYCLE_1)
	s_or_b32 exec_lo, exec_lo, s7
	ds_bpermute_b32 v2, v2, v13
	s_waitcnt lgkmcnt(0)
	v_add_f32_e32 v2, v13, v2
	ds_bpermute_b32 v4, v4, v2
	s_waitcnt lgkmcnt(0)
	v_add_f32_e32 v2, v2, v4
	;; [unrolled: 3-line block ×5, first 2 shown]
	s_and_saveexec_b32 s3, vcc_lo
	s_cbranch_execz .LBB388_119
; %bb.118:
	ds_store_b32 v5, v2 offset:80
.LBB388_119:
	s_or_b32 exec_lo, exec_lo, s3
	s_waitcnt lgkmcnt(0)
	s_barrier
	buffer_gl0_inv
	s_and_saveexec_b32 s3, s0
	s_cbranch_execz .LBB388_121
; %bb.120:
	ds_load_b32 v2, v6 offset:80
.LBB388_121:
	s_or_b32 exec_lo, exec_lo, s3
	s_waitcnt lgkmcnt(0)
	ds_bpermute_b32 v4, v8, v2
	s_waitcnt lgkmcnt(0)
	v_add_f32_e32 v2, v2, v4
	ds_bpermute_b32 v4, v12, v2
	s_waitcnt lgkmcnt(0)
	v_add_f32_e32 v2, v2, v4
	ds_bpermute_b32 v2, v11, v2
	s_and_saveexec_b32 s0, s1
	s_cbranch_execz .LBB388_124
; %bb.122:
	s_waitcnt lgkmcnt(0)
	v_add_f32_e32 v4, 0x358637bd, v2
	s_mov_b32 s1, 0
	s_delay_alu instid0(VALU_DEP_1) | instskip(SKIP_1) | instid1(VALU_DEP_2)
	v_div_scale_f32 v5, null, v4, v4, 1.0
	v_div_scale_f32 v8, vcc_lo, 1.0, v4, 1.0
	v_rcp_f32_e32 v6, v5
	s_waitcnt_depctr 0xfff
	v_fma_f32 v7, -v5, v6, 1.0
	s_delay_alu instid0(VALU_DEP_1) | instskip(NEXT) | instid1(VALU_DEP_1)
	v_fmac_f32_e32 v6, v7, v6
	v_mul_f32_e32 v7, v8, v6
	s_delay_alu instid0(VALU_DEP_1) | instskip(NEXT) | instid1(VALU_DEP_1)
	v_fma_f32 v11, -v5, v7, v8
	v_fmac_f32_e32 v7, v11, v6
	s_delay_alu instid0(VALU_DEP_1) | instskip(NEXT) | instid1(VALU_DEP_1)
	v_fma_f32 v5, -v5, v7, v8
	v_div_fmas_f32 v5, v5, v6, v7
	s_delay_alu instid0(VALU_DEP_1)
	v_div_fixup_f32 v4, v5, v4, 1.0
	v_mov_b32_e32 v5, v0
.LBB388_123:                            ; =>This Inner Loop Header: Depth=1
	ds_load_b32 v6, v3
	s_waitcnt lgkmcnt(0)
	v_dual_mul_f32 v6, v4, v6 :: v_dual_add_nc_u32 v5, 0x80, v5
	s_delay_alu instid0(VALU_DEP_1) | instskip(SKIP_3) | instid1(SALU_CYCLE_1)
	v_cmp_le_i32_e32 vcc_lo, s6, v5
	ds_store_b32 v3, v6
	v_add_nc_u32_e32 v3, 0x200, v3
	s_or_b32 s1, vcc_lo, s1
	s_and_not1_b32 exec_lo, exec_lo, s1
	s_cbranch_execnz .LBB388_123
.LBB388_124:
	s_or_b32 exec_lo, exec_lo, s0
	s_mul_i32 s0, s4, s14
	s_waitcnt lgkmcnt(0)
	s_mul_i32 s6, s0, s13
	s_mov_b32 s0, exec_lo
	s_barrier
	buffer_gl0_inv
	v_cmpx_eq_u32_e32 0, v0
	s_cbranch_execz .LBB388_126
; %bb.125:
	s_ashr_i32 s7, s6, 31
	s_mul_i32 s36, s4, s24
	s_lshl_b64 s[8:9], s[6:7], 2
	v_mov_b32_e32 v3, 0
	s_add_u32 s1, s18, s8
	s_addc_u32 s3, s19, s9
	s_ashr_i32 s37, s36, 31
	s_delay_alu instid0(SALU_CYCLE_1) | instskip(NEXT) | instid1(SALU_CYCLE_1)
	s_lshl_b64 s[18:19], s[36:37], 2
	s_add_u32 s1, s1, s18
	s_addc_u32 s3, s3, s19
	s_ashr_i32 s13, s12, 31
	s_delay_alu instid0(SALU_CYCLE_1) | instskip(NEXT) | instid1(SALU_CYCLE_1)
	s_lshl_b64 s[36:37], s[12:13], 2
	s_add_u32 s38, s1, s36
	s_addc_u32 s39, s3, s37
	s_add_u32 s1, s16, s8
	s_addc_u32 s3, s17, s9
	;; [unrolled: 2-line block ×4, first 2 shown]
	s_clause 0x1
	global_store_b32 v3, v1, s[38:39]
	global_store_b32 v3, v2, s[8:9]
.LBB388_126:
	s_or_b32 exec_lo, exec_lo, s0
	v_mov_b32_e32 v18, 0
	s_and_saveexec_b32 s1, s2
	s_cbranch_execz .LBB388_288
; %bb.127:
	s_load_b32 s7, s[10:11], 0x0
	v_dual_mov_b32 v18, 0 :: v_dual_lshlrev_b32 v1, 3, v17
	s_ashr_i32 s0, s34, 31
	s_add_u32 s2, s30, s34
	s_addc_u32 s0, s31, s0
	s_delay_alu instid0(VALU_DEP_1)
	v_add_co_u32 v12, s2, s2, v1
	v_lshlrev_b64 v[1:2], 2, v[9:10]
	s_lshl_b64 s[10:11], s[28:29], 2
	s_add_i32 s8, s25, -1
	v_add_co_ci_u32_e64 v13, null, s0, 0, s2
	s_add_u32 s0, s26, s10
	v_add3_u32 v19, s33, v14, 7
	s_addc_u32 s9, s27, s11
	v_add_co_u32 v14, vcc_lo, s0, v1
	v_mov_b32_e32 v11, 0
	v_lshl_add_u32 v20, v16, 5, 0x60
	v_add_co_ci_u32_e32 v15, vcc_lo, s9, v2, vcc_lo
	s_mov_b32 s2, -1
	s_mov_b32 s3, 0xffffff
	s_mov_b32 s9, s5
	s_mov_b32 s5, 0
	s_branch .LBB388_129
.LBB388_128:                            ;   in Loop: Header=BB388_129 Depth=1
	s_or_b32 exec_lo, exec_lo, s0
	v_and_b32_e32 v3, 0xffff0000, v3
	v_and_b32_e32 v4, 0xffff0000, v4
	;; [unrolled: 1-line block ×6, first 2 shown]
	s_delay_alu instid0(VALU_DEP_4) | instskip(SKIP_1) | instid1(VALU_DEP_3)
	v_dual_add_f32 v4, v8, v4 :: v_dual_add_nc_u32 v9, 4, v9
	v_and_b32_e32 v7, 0xffff0000, v22
	v_dual_add_f32 v1, v2, v1 :: v_dual_and_b32 v6, 0xffff0000, v10
	v_add_nc_u32_e32 v20, 0x80, v20
	s_delay_alu instid0(VALU_DEP_4) | instskip(NEXT) | instid1(VALU_DEP_4)
	v_cmp_le_i32_e32 vcc_lo, s21, v9
	v_add_f32_e32 v5, v7, v5
	s_delay_alu instid0(VALU_DEP_4) | instskip(SKIP_3) | instid1(VALU_DEP_4)
	v_add_f32_e32 v3, v3, v6
	v_add_co_u32 v14, s0, v14, 16
	v_add_nc_u32_e32 v19, 32, v19
	v_add_co_ci_u32_e64 v15, s0, 0, v15, s0
	v_add_f32_e32 v3, v3, v5
	s_or_b32 s5, vcc_lo, s5
	s_delay_alu instid0(VALU_DEP_1) | instskip(NEXT) | instid1(VALU_DEP_1)
	v_add_f32_e32 v2, v3, v4
	v_add_f32_e32 v1, v2, v1
	s_delay_alu instid0(VALU_DEP_1)
	v_add_f32_e32 v18, v18, v1
	s_and_not1_b32 exec_lo, exec_lo, s5
	s_cbranch_execz .LBB388_287
.LBB388_129:                            ; =>This Inner Loop Header: Depth=1
	global_load_b32 v10, v[14:15], off
	ds_load_2addr_b64 v[5:8], v20 offset1:1
	ds_load_2addr_b64 v[1:4], v20 offset0:2 offset1:3
	s_mov_b32 s0, exec_lo
                                        ; implicit-def: $vgpr24
	s_waitcnt lgkmcnt(0)
	v_and_b32_e32 v21, 0x7f800000, v5
	s_delay_alu instid0(VALU_DEP_1)
	v_cmpx_ne_u32_e32 0x7f800000, v21
	s_xor_b32 s0, exec_lo, s0
; %bb.130:                              ;   in Loop: Header=BB388_129 Depth=1
	v_bfe_u32 v21, v5, 16, 1
	s_delay_alu instid0(VALU_DEP_1)
	v_add3_u32 v24, v5, v21, 0x7fff
; %bb.131:                              ;   in Loop: Header=BB388_129 Depth=1
	s_and_not1_saveexec_b32 s0, s0
; %bb.132:                              ;   in Loop: Header=BB388_129 Depth=1
	v_and_b32_e32 v21, 0xffff, v5
	v_or_b32_e32 v22, 0x10000, v5
	s_delay_alu instid0(VALU_DEP_2) | instskip(NEXT) | instid1(VALU_DEP_2)
	v_cmp_eq_u32_e32 vcc_lo, 0, v21
	v_cndmask_b32_e32 v24, v22, v5, vcc_lo
; %bb.133:                              ;   in Loop: Header=BB388_129 Depth=1
	s_or_b32 exec_lo, exec_lo, s0
	v_and_b32_e32 v5, 0x7f800000, v6
	s_mov_b32 s0, exec_lo
                                        ; implicit-def: $vgpr23
	s_delay_alu instid0(VALU_DEP_1)
	v_cmpx_ne_u32_e32 0x7f800000, v5
	s_xor_b32 s0, exec_lo, s0
; %bb.134:                              ;   in Loop: Header=BB388_129 Depth=1
	v_bfe_u32 v5, v6, 16, 1
	s_delay_alu instid0(VALU_DEP_1)
	v_add3_u32 v23, v6, v5, 0x7fff
; %bb.135:                              ;   in Loop: Header=BB388_129 Depth=1
	s_and_not1_saveexec_b32 s0, s0
; %bb.136:                              ;   in Loop: Header=BB388_129 Depth=1
	v_and_b32_e32 v5, 0xffff, v6
	v_or_b32_e32 v21, 0x10000, v6
	s_delay_alu instid0(VALU_DEP_2) | instskip(NEXT) | instid1(VALU_DEP_2)
	v_cmp_eq_u32_e32 vcc_lo, 0, v5
	v_cndmask_b32_e32 v23, v21, v6, vcc_lo
; %bb.137:                              ;   in Loop: Header=BB388_129 Depth=1
	s_or_b32 exec_lo, exec_lo, s0
	v_and_b32_e32 v5, 0x7f800000, v7
	s_mov_b32 s0, exec_lo
                                        ; implicit-def: $vgpr22
	s_delay_alu instid0(VALU_DEP_1)
	v_cmpx_ne_u32_e32 0x7f800000, v5
	s_xor_b32 s0, exec_lo, s0
; %bb.138:                              ;   in Loop: Header=BB388_129 Depth=1
	v_bfe_u32 v5, v7, 16, 1
	s_delay_alu instid0(VALU_DEP_1)
	v_add3_u32 v22, v7, v5, 0x7fff
; %bb.139:                              ;   in Loop: Header=BB388_129 Depth=1
	s_and_not1_saveexec_b32 s0, s0
; %bb.140:                              ;   in Loop: Header=BB388_129 Depth=1
	v_and_b32_e32 v5, 0xffff, v7
	v_or_b32_e32 v6, 0x10000, v7
	s_delay_alu instid0(VALU_DEP_2) | instskip(NEXT) | instid1(VALU_DEP_2)
	v_cmp_eq_u32_e32 vcc_lo, 0, v5
	v_cndmask_b32_e32 v22, v6, v7, vcc_lo
; %bb.141:                              ;   in Loop: Header=BB388_129 Depth=1
	s_or_b32 exec_lo, exec_lo, s0
	v_and_b32_e32 v5, 0x7f800000, v8
	s_mov_b32 s0, exec_lo
                                        ; implicit-def: $vgpr21
	s_delay_alu instid0(VALU_DEP_1)
	v_cmpx_ne_u32_e32 0x7f800000, v5
	s_xor_b32 s0, exec_lo, s0
; %bb.142:                              ;   in Loop: Header=BB388_129 Depth=1
	v_bfe_u32 v5, v8, 16, 1
	s_delay_alu instid0(VALU_DEP_1)
	v_add3_u32 v21, v8, v5, 0x7fff
                                        ; implicit-def: $vgpr5_vgpr6_vgpr7_vgpr8
; %bb.143:                              ;   in Loop: Header=BB388_129 Depth=1
	s_and_not1_saveexec_b32 s0, s0
; %bb.144:                              ;   in Loop: Header=BB388_129 Depth=1
	v_and_b32_e32 v5, 0xffff, v8
	v_or_b32_e32 v6, 0x10000, v8
	s_delay_alu instid0(VALU_DEP_2) | instskip(NEXT) | instid1(VALU_DEP_2)
	v_cmp_eq_u32_e32 vcc_lo, 0, v5
	v_cndmask_b32_e32 v21, v6, v8, vcc_lo
; %bb.145:                              ;   in Loop: Header=BB388_129 Depth=1
	s_or_b32 exec_lo, exec_lo, s0
	v_and_b32_e32 v5, 0x7f800000, v1
	s_mov_b32 s0, exec_lo
                                        ; implicit-def: $vgpr8
	s_delay_alu instid0(VALU_DEP_1)
	v_cmpx_ne_u32_e32 0x7f800000, v5
	s_xor_b32 s0, exec_lo, s0
; %bb.146:                              ;   in Loop: Header=BB388_129 Depth=1
	v_bfe_u32 v5, v1, 16, 1
	s_delay_alu instid0(VALU_DEP_1)
	v_add3_u32 v8, v1, v5, 0x7fff
; %bb.147:                              ;   in Loop: Header=BB388_129 Depth=1
	s_and_not1_saveexec_b32 s0, s0
; %bb.148:                              ;   in Loop: Header=BB388_129 Depth=1
	v_and_b32_e32 v5, 0xffff, v1
	v_or_b32_e32 v6, 0x10000, v1
	s_delay_alu instid0(VALU_DEP_2) | instskip(NEXT) | instid1(VALU_DEP_2)
	v_cmp_eq_u32_e32 vcc_lo, 0, v5
	v_cndmask_b32_e32 v8, v6, v1, vcc_lo
; %bb.149:                              ;   in Loop: Header=BB388_129 Depth=1
	s_or_b32 exec_lo, exec_lo, s0
	v_and_b32_e32 v1, 0x7f800000, v2
	s_mov_b32 s0, exec_lo
                                        ; implicit-def: $vgpr7
	s_delay_alu instid0(VALU_DEP_1)
	v_cmpx_ne_u32_e32 0x7f800000, v1
	s_xor_b32 s0, exec_lo, s0
; %bb.150:                              ;   in Loop: Header=BB388_129 Depth=1
	v_bfe_u32 v1, v2, 16, 1
	s_delay_alu instid0(VALU_DEP_1)
	v_add3_u32 v7, v2, v1, 0x7fff
; %bb.151:                              ;   in Loop: Header=BB388_129 Depth=1
	s_and_not1_saveexec_b32 s0, s0
; %bb.152:                              ;   in Loop: Header=BB388_129 Depth=1
	v_and_b32_e32 v1, 0xffff, v2
	v_or_b32_e32 v5, 0x10000, v2
	s_delay_alu instid0(VALU_DEP_2) | instskip(NEXT) | instid1(VALU_DEP_2)
	v_cmp_eq_u32_e32 vcc_lo, 0, v1
	v_cndmask_b32_e32 v7, v5, v2, vcc_lo
; %bb.153:                              ;   in Loop: Header=BB388_129 Depth=1
	s_or_b32 exec_lo, exec_lo, s0
	v_and_b32_e32 v1, 0x7f800000, v3
	s_mov_b32 s0, exec_lo
                                        ; implicit-def: $vgpr6
	s_delay_alu instid0(VALU_DEP_1)
	v_cmpx_ne_u32_e32 0x7f800000, v1
	s_xor_b32 s0, exec_lo, s0
; %bb.154:                              ;   in Loop: Header=BB388_129 Depth=1
	v_bfe_u32 v1, v3, 16, 1
	s_delay_alu instid0(VALU_DEP_1)
	v_add3_u32 v6, v3, v1, 0x7fff
; %bb.155:                              ;   in Loop: Header=BB388_129 Depth=1
	s_and_not1_saveexec_b32 s0, s0
; %bb.156:                              ;   in Loop: Header=BB388_129 Depth=1
	v_and_b32_e32 v1, 0xffff, v3
	v_or_b32_e32 v2, 0x10000, v3
	s_delay_alu instid0(VALU_DEP_2) | instskip(NEXT) | instid1(VALU_DEP_2)
	v_cmp_eq_u32_e32 vcc_lo, 0, v1
	v_cndmask_b32_e32 v6, v2, v3, vcc_lo
; %bb.157:                              ;   in Loop: Header=BB388_129 Depth=1
	s_or_b32 exec_lo, exec_lo, s0
	v_and_b32_e32 v1, 0x7f800000, v4
	s_mov_b32 s0, exec_lo
                                        ; implicit-def: $vgpr5
	s_delay_alu instid0(VALU_DEP_1)
	v_cmpx_ne_u32_e32 0x7f800000, v1
	s_xor_b32 s0, exec_lo, s0
; %bb.158:                              ;   in Loop: Header=BB388_129 Depth=1
	v_bfe_u32 v1, v4, 16, 1
	s_delay_alu instid0(VALU_DEP_1)
	v_add3_u32 v5, v4, v1, 0x7fff
                                        ; implicit-def: $vgpr1_vgpr2_vgpr3_vgpr4
; %bb.159:                              ;   in Loop: Header=BB388_129 Depth=1
	s_and_not1_saveexec_b32 s0, s0
; %bb.160:                              ;   in Loop: Header=BB388_129 Depth=1
	v_and_b32_e32 v1, 0xffff, v4
	v_or_b32_e32 v2, 0x10000, v4
	s_delay_alu instid0(VALU_DEP_2) | instskip(NEXT) | instid1(VALU_DEP_2)
	v_cmp_eq_u32_e32 vcc_lo, 0, v1
	v_cndmask_b32_e32 v5, v2, v4, vcc_lo
; %bb.161:                              ;   in Loop: Header=BB388_129 Depth=1
	s_or_b32 exec_lo, exec_lo, s0
	s_waitcnt vmcnt(0)
	v_mad_i64_i32 v[1:2], null, v10, s9, v[12:13]
	s_mov_b32 s0, exec_lo
	v_mov_b32_e32 v3, 0
	global_load_b64 v[1:2], v[1:2], off
	s_waitcnt vmcnt(0)
	v_and_b32_e32 v4, 0xff, v1
	s_delay_alu instid0(VALU_DEP_1)
	v_cmpx_ne_u16_e32 0, v4
	s_cbranch_execz .LBB388_167
; %bb.162:                              ;   in Loop: Header=BB388_129 Depth=1
	v_bfrev_b32_e32 v3, 1
	s_mov_b32 s10, exec_lo
	v_cmpx_ne_u16_e32 0x80, v4
	s_cbranch_execz .LBB388_166
; %bb.163:                              ;   in Loop: Header=BB388_129 Depth=1
	v_and_b32_e32 v4, 0x7f, v1
	v_mov_b32_e32 v3, 0x7f800001
	s_mov_b32 s11, exec_lo
	s_delay_alu instid0(VALU_DEP_2)
	v_cmpx_ne_u32_e32 0x7f, v4
	s_cbranch_execz .LBB388_165
; %bb.164:                              ;   in Loop: Header=BB388_129 Depth=1
	v_and_b32_e32 v3, 7, v1
	v_lshrrev_b32_e32 v10, 3, v4
	v_cmp_gt_u32_e32 vcc_lo, 8, v4
	s_delay_alu instid0(VALU_DEP_3) | instskip(NEXT) | instid1(VALU_DEP_1)
	v_clz_i32_u32_e32 v3, v3
	v_min_u32_e32 v3, 32, v3
	s_delay_alu instid0(VALU_DEP_1) | instskip(SKIP_1) | instid1(VALU_DEP_1)
	v_subrev_nc_u32_e32 v25, 28, v3
	v_sub_nc_u32_e32 v3, 29, v3
	v_dual_cndmask_b32 v10, v10, v3 :: v_dual_cndmask_b32 v3, 0, v25
	s_delay_alu instid0(VALU_DEP_1) | instskip(NEXT) | instid1(VALU_DEP_2)
	v_lshl_add_u32 v10, v10, 23, 0x3c000000
	v_lshlrev_b64 v[3:4], v3, v[1:2]
	v_lshlrev_b32_e32 v4, 24, v1
	s_delay_alu instid0(VALU_DEP_2) | instskip(NEXT) | instid1(VALU_DEP_2)
	v_lshlrev_b32_e32 v3, 20, v3
	v_and_b32_e32 v4, 0x80000000, v4
	s_delay_alu instid0(VALU_DEP_2) | instskip(NEXT) | instid1(VALU_DEP_1)
	v_and_b32_e32 v3, 0x700000, v3
	v_or3_b32 v3, v3, v4, v10
.LBB388_165:                            ;   in Loop: Header=BB388_129 Depth=1
	s_or_b32 exec_lo, exec_lo, s11
.LBB388_166:                            ;   in Loop: Header=BB388_129 Depth=1
	s_delay_alu instid0(SALU_CYCLE_1)
	s_or_b32 exec_lo, exec_lo, s10
.LBB388_167:                            ;   in Loop: Header=BB388_129 Depth=1
	s_delay_alu instid0(SALU_CYCLE_1) | instskip(NEXT) | instid1(VALU_DEP_1)
	s_or_b32 exec_lo, exec_lo, s0
	v_mul_f32_e32 v3, s7, v3
	s_mov_b32 s0, exec_lo
                                        ; implicit-def: $vgpr25
	s_delay_alu instid0(VALU_DEP_1) | instskip(NEXT) | instid1(VALU_DEP_1)
	v_and_b32_e32 v4, 0x7f800000, v3
	v_cmpx_ne_u32_e32 0x7f800000, v4
	s_xor_b32 s0, exec_lo, s0
; %bb.168:                              ;   in Loop: Header=BB388_129 Depth=1
	v_bfe_u32 v4, v3, 16, 1
	s_delay_alu instid0(VALU_DEP_1)
	v_add3_u32 v25, v3, v4, 0x7fff
                                        ; implicit-def: $vgpr3
; %bb.169:                              ;   in Loop: Header=BB388_129 Depth=1
	s_and_not1_saveexec_b32 s0, s0
; %bb.170:                              ;   in Loop: Header=BB388_129 Depth=1
	v_and_b32_e32 v4, 0xffff, v3
	v_or_b32_e32 v10, 0x10000, v3
	s_delay_alu instid0(VALU_DEP_2) | instskip(NEXT) | instid1(VALU_DEP_2)
	v_cmp_eq_u32_e32 vcc_lo, 0, v4
	v_cndmask_b32_e32 v25, v10, v3, vcc_lo
; %bb.171:                              ;   in Loop: Header=BB388_129 Depth=1
	s_or_b32 exec_lo, exec_lo, s0
	v_lshrrev_b16 v4, 8, v1
	v_mov_b32_e32 v3, 0
	s_mov_b32 s0, exec_lo
	s_delay_alu instid0(VALU_DEP_2)
	v_cmpx_ne_u16_e32 0, v4
	s_cbranch_execz .LBB388_179
; %bb.172:                              ;   in Loop: Header=BB388_129 Depth=1
	v_bfrev_b32_e32 v3, 1
	s_mov_b32 s10, exec_lo
	v_cmpx_ne_u16_e32 0x80, v4
	s_cbranch_execz .LBB388_178
; %bb.173:                              ;   in Loop: Header=BB388_129 Depth=1
	v_and_b32_e32 v10, 0xffff, v4
	v_mov_b32_e32 v3, 0x7f800001
	s_mov_b32 s11, exec_lo
	s_delay_alu instid0(VALU_DEP_2) | instskip(NEXT) | instid1(VALU_DEP_1)
	v_and_b32_e32 v4, 0x7f, v10
	v_cmpx_ne_u32_e32 0x7f, v4
	s_cbranch_execz .LBB388_177
; %bb.174:                              ;   in Loop: Header=BB388_129 Depth=1
	v_and_b32_e32 v10, 7, v10
	v_lshrrev_b32_e32 v3, 3, v4
	s_mov_b32 s13, exec_lo
	v_cmpx_gt_u32_e32 8, v4
; %bb.175:                              ;   in Loop: Header=BB388_129 Depth=1
	s_delay_alu instid0(VALU_DEP_3) | instskip(NEXT) | instid1(VALU_DEP_1)
	v_clz_i32_u32_e32 v3, v10
	v_min_u32_e32 v3, 32, v3
	s_delay_alu instid0(VALU_DEP_1) | instskip(SKIP_1) | instid1(VALU_DEP_2)
	v_subrev_nc_u32_e32 v4, 28, v3
	v_sub_nc_u32_e32 v3, 29, v3
	v_lshlrev_b64 v[26:27], v4, v[10:11]
	s_delay_alu instid0(VALU_DEP_1)
	v_and_b32_e32 v10, 7, v26
; %bb.176:                              ;   in Loop: Header=BB388_129 Depth=1
	s_or_b32 exec_lo, exec_lo, s13
	v_lshlrev_b32_e32 v4, 16, v1
	s_delay_alu instid0(VALU_DEP_2) | instskip(SKIP_1) | instid1(VALU_DEP_3)
	v_lshlrev_b32_e32 v10, 20, v10
	v_lshl_add_u32 v3, v3, 23, 0x3c000000
	v_and_b32_e32 v4, 0x80000000, v4
	s_delay_alu instid0(VALU_DEP_1)
	v_or3_b32 v3, v10, v4, v3
.LBB388_177:                            ;   in Loop: Header=BB388_129 Depth=1
	s_or_b32 exec_lo, exec_lo, s11
.LBB388_178:                            ;   in Loop: Header=BB388_129 Depth=1
	s_delay_alu instid0(SALU_CYCLE_1)
	s_or_b32 exec_lo, exec_lo, s10
.LBB388_179:                            ;   in Loop: Header=BB388_129 Depth=1
	s_delay_alu instid0(SALU_CYCLE_1) | instskip(NEXT) | instid1(VALU_DEP_1)
	s_or_b32 exec_lo, exec_lo, s0
	v_mul_f32_e32 v3, s7, v3
	s_mov_b32 s0, exec_lo
                                        ; implicit-def: $vgpr26
	s_delay_alu instid0(VALU_DEP_1) | instskip(NEXT) | instid1(VALU_DEP_1)
	v_and_b32_e32 v4, 0x7f800000, v3
	v_cmpx_ne_u32_e32 0x7f800000, v4
	s_xor_b32 s0, exec_lo, s0
; %bb.180:                              ;   in Loop: Header=BB388_129 Depth=1
	v_bfe_u32 v4, v3, 16, 1
	s_delay_alu instid0(VALU_DEP_1)
	v_add3_u32 v26, v3, v4, 0x7fff
                                        ; implicit-def: $vgpr3
; %bb.181:                              ;   in Loop: Header=BB388_129 Depth=1
	s_and_not1_saveexec_b32 s0, s0
; %bb.182:                              ;   in Loop: Header=BB388_129 Depth=1
	v_and_b32_e32 v4, 0xffff, v3
	v_or_b32_e32 v10, 0x10000, v3
	s_delay_alu instid0(VALU_DEP_2) | instskip(NEXT) | instid1(VALU_DEP_2)
	v_cmp_eq_u32_e32 vcc_lo, 0, v4
	v_cndmask_b32_e32 v26, v10, v3, vcc_lo
; %bb.183:                              ;   in Loop: Header=BB388_129 Depth=1
	s_or_b32 exec_lo, exec_lo, s0
	v_lshrrev_b32_e32 v3, 16, v1
	v_mov_b32_e32 v4, 0
	s_mov_b32 s0, exec_lo
	s_delay_alu instid0(VALU_DEP_2) | instskip(NEXT) | instid1(VALU_DEP_1)
	v_and_b32_e32 v10, 0xff, v3
	v_cmpx_ne_u16_e32 0, v10
	s_cbranch_execz .LBB388_191
; %bb.184:                              ;   in Loop: Header=BB388_129 Depth=1
	v_bfrev_b32_e32 v4, 1
	s_mov_b32 s10, exec_lo
	v_cmpx_ne_u16_e32 0x80, v10
	s_cbranch_execz .LBB388_190
; %bb.185:                              ;   in Loop: Header=BB388_129 Depth=1
	v_bfe_u32 v27, v1, 16, 7
	v_mov_b32_e32 v4, 0x7f800001
	s_mov_b32 s11, exec_lo
	s_delay_alu instid0(VALU_DEP_2)
	v_cmpx_ne_u32_e32 0x7f, v27
	s_cbranch_execz .LBB388_189
; %bb.186:                              ;   in Loop: Header=BB388_129 Depth=1
	v_and_b32_e32 v10, 7, v3
	v_lshrrev_b32_e32 v4, 3, v27
	s_mov_b32 s13, exec_lo
	v_cmpx_gt_u32_e32 8, v27
; %bb.187:                              ;   in Loop: Header=BB388_129 Depth=1
	s_delay_alu instid0(VALU_DEP_3) | instskip(NEXT) | instid1(VALU_DEP_1)
	v_clz_i32_u32_e32 v4, v10
	v_min_u32_e32 v4, 32, v4
	s_delay_alu instid0(VALU_DEP_1) | instskip(SKIP_1) | instid1(VALU_DEP_2)
	v_subrev_nc_u32_e32 v27, 28, v4
	v_sub_nc_u32_e32 v4, 29, v4
	v_lshlrev_b64 v[27:28], v27, v[10:11]
	s_delay_alu instid0(VALU_DEP_1)
	v_and_b32_e32 v10, 7, v27
; %bb.188:                              ;   in Loop: Header=BB388_129 Depth=1
	s_or_b32 exec_lo, exec_lo, s13
	v_lshlrev_b32_e32 v3, 24, v3
	s_delay_alu instid0(VALU_DEP_2) | instskip(SKIP_1) | instid1(VALU_DEP_3)
	v_lshlrev_b32_e32 v10, 20, v10
	v_lshl_add_u32 v4, v4, 23, 0x3c000000
	v_and_b32_e32 v3, 0x80000000, v3
	s_delay_alu instid0(VALU_DEP_1)
	v_or3_b32 v4, v10, v3, v4
.LBB388_189:                            ;   in Loop: Header=BB388_129 Depth=1
	s_or_b32 exec_lo, exec_lo, s11
.LBB388_190:                            ;   in Loop: Header=BB388_129 Depth=1
	s_delay_alu instid0(SALU_CYCLE_1)
	s_or_b32 exec_lo, exec_lo, s10
.LBB388_191:                            ;   in Loop: Header=BB388_129 Depth=1
	s_delay_alu instid0(SALU_CYCLE_1) | instskip(NEXT) | instid1(VALU_DEP_1)
	s_or_b32 exec_lo, exec_lo, s0
	v_mul_f32_e32 v3, s7, v4
	s_mov_b32 s0, exec_lo
                                        ; implicit-def: $vgpr27
	s_delay_alu instid0(VALU_DEP_1) | instskip(NEXT) | instid1(VALU_DEP_1)
	v_and_b32_e32 v4, 0x7f800000, v3
	v_cmpx_ne_u32_e32 0x7f800000, v4
	s_xor_b32 s0, exec_lo, s0
; %bb.192:                              ;   in Loop: Header=BB388_129 Depth=1
	v_bfe_u32 v4, v3, 16, 1
	s_delay_alu instid0(VALU_DEP_1)
	v_add3_u32 v27, v3, v4, 0x7fff
                                        ; implicit-def: $vgpr3
; %bb.193:                              ;   in Loop: Header=BB388_129 Depth=1
	s_and_not1_saveexec_b32 s0, s0
; %bb.194:                              ;   in Loop: Header=BB388_129 Depth=1
	v_and_b32_e32 v4, 0xffff, v3
	v_or_b32_e32 v10, 0x10000, v3
	s_delay_alu instid0(VALU_DEP_2) | instskip(NEXT) | instid1(VALU_DEP_2)
	v_cmp_eq_u32_e32 vcc_lo, 0, v4
	v_cndmask_b32_e32 v27, v10, v3, vcc_lo
; %bb.195:                              ;   in Loop: Header=BB388_129 Depth=1
	s_or_b32 exec_lo, exec_lo, s0
	v_mov_b32_e32 v4, 0
	s_mov_b32 s0, exec_lo
	v_cmpx_lt_u32_e32 0xffffff, v1
	s_cbranch_execz .LBB388_203
; %bb.196:                              ;   in Loop: Header=BB388_129 Depth=1
	v_lshrrev_b32_e32 v3, 24, v1
	v_bfrev_b32_e32 v4, 1
	s_mov_b32 s10, exec_lo
	s_delay_alu instid0(VALU_DEP_2)
	v_cmpx_ne_u32_e32 0x80, v3
	s_cbranch_execz .LBB388_202
; %bb.197:                              ;   in Loop: Header=BB388_129 Depth=1
	v_bfe_u32 v28, v1, 24, 7
	v_mov_b32_e32 v4, 0x7f800001
	s_mov_b32 s11, exec_lo
	s_delay_alu instid0(VALU_DEP_2)
	v_cmpx_ne_u32_e32 0x7f, v28
	s_cbranch_execz .LBB388_201
; %bb.198:                              ;   in Loop: Header=BB388_129 Depth=1
	v_and_b32_e32 v10, 7, v3
	v_lshrrev_b32_e32 v4, 3, v28
	s_mov_b32 s13, exec_lo
	v_cmpx_gt_u32_e32 8, v28
; %bb.199:                              ;   in Loop: Header=BB388_129 Depth=1
	s_delay_alu instid0(VALU_DEP_3) | instskip(NEXT) | instid1(VALU_DEP_1)
	v_clz_i32_u32_e32 v4, v10
	v_min_u32_e32 v4, 32, v4
	s_delay_alu instid0(VALU_DEP_1) | instskip(SKIP_1) | instid1(VALU_DEP_2)
	v_subrev_nc_u32_e32 v28, 28, v4
	v_sub_nc_u32_e32 v4, 29, v4
	v_lshlrev_b64 v[28:29], v28, v[10:11]
	s_delay_alu instid0(VALU_DEP_1)
	v_and_b32_e32 v10, 7, v28
; %bb.200:                              ;   in Loop: Header=BB388_129 Depth=1
	s_or_b32 exec_lo, exec_lo, s13
	v_lshlrev_b32_e32 v3, 24, v3
	s_delay_alu instid0(VALU_DEP_2) | instskip(SKIP_1) | instid1(VALU_DEP_3)
	v_lshlrev_b32_e32 v10, 20, v10
	v_lshl_add_u32 v4, v4, 23, 0x3c000000
	v_and_b32_e32 v3, 0x80000000, v3
	s_delay_alu instid0(VALU_DEP_1)
	v_or3_b32 v4, v10, v3, v4
.LBB388_201:                            ;   in Loop: Header=BB388_129 Depth=1
	s_or_b32 exec_lo, exec_lo, s11
.LBB388_202:                            ;   in Loop: Header=BB388_129 Depth=1
	s_delay_alu instid0(SALU_CYCLE_1)
	s_or_b32 exec_lo, exec_lo, s10
.LBB388_203:                            ;   in Loop: Header=BB388_129 Depth=1
	s_delay_alu instid0(SALU_CYCLE_1) | instskip(NEXT) | instid1(VALU_DEP_1)
	s_or_b32 exec_lo, exec_lo, s0
	v_mul_f32_e32 v3, s7, v4
	s_mov_b32 s0, exec_lo
                                        ; implicit-def: $vgpr28
	s_delay_alu instid0(VALU_DEP_1) | instskip(NEXT) | instid1(VALU_DEP_1)
	v_and_b32_e32 v4, 0x7f800000, v3
	v_cmpx_ne_u32_e32 0x7f800000, v4
	s_xor_b32 s0, exec_lo, s0
; %bb.204:                              ;   in Loop: Header=BB388_129 Depth=1
	v_bfe_u32 v4, v3, 16, 1
	s_delay_alu instid0(VALU_DEP_1)
	v_add3_u32 v28, v3, v4, 0x7fff
                                        ; implicit-def: $vgpr3
; %bb.205:                              ;   in Loop: Header=BB388_129 Depth=1
	s_and_not1_saveexec_b32 s0, s0
; %bb.206:                              ;   in Loop: Header=BB388_129 Depth=1
	v_and_b32_e32 v4, 0xffff, v3
	v_or_b32_e32 v10, 0x10000, v3
	s_delay_alu instid0(VALU_DEP_2) | instskip(NEXT) | instid1(VALU_DEP_2)
	v_cmp_eq_u32_e32 vcc_lo, 0, v4
	v_cndmask_b32_e32 v28, v10, v3, vcc_lo
; %bb.207:                              ;   in Loop: Header=BB388_129 Depth=1
	s_or_b32 exec_lo, exec_lo, s0
	v_dual_mov_b32 v3, 0 :: v_dual_and_b32 v4, 0xff, v2
	v_mov_b32_e32 v10, v2
	s_mov_b32 s0, exec_lo
	s_delay_alu instid0(VALU_DEP_2)
	v_cmpx_ne_u16_e32 0, v4
	s_cbranch_execz .LBB388_213
; %bb.208:                              ;   in Loop: Header=BB388_129 Depth=1
	v_bfrev_b32_e32 v3, 1
	s_mov_b32 s10, exec_lo
	v_cmpx_ne_u16_e32 0x80, v4
	s_cbranch_execz .LBB388_212
; %bb.209:                              ;   in Loop: Header=BB388_129 Depth=1
	v_and_b32_e32 v4, 0x7f, v2
	v_mov_b32_e32 v3, 0x7f800001
	s_mov_b32 s11, exec_lo
	s_delay_alu instid0(VALU_DEP_2)
	v_cmpx_ne_u32_e32 0x7f, v4
	s_cbranch_execz .LBB388_211
; %bb.210:                              ;   in Loop: Header=BB388_129 Depth=1
	v_and_b32_e32 v3, 7, v2
	v_lshrrev_b32_e32 v29, 3, v4
	v_cmp_gt_u32_e32 vcc_lo, 8, v4
	s_delay_alu instid0(VALU_DEP_3) | instskip(NEXT) | instid1(VALU_DEP_1)
	v_clz_i32_u32_e32 v3, v3
	v_min_u32_e32 v3, 32, v3
	s_delay_alu instid0(VALU_DEP_1) | instskip(SKIP_1) | instid1(VALU_DEP_1)
	v_subrev_nc_u32_e32 v30, 28, v3
	v_sub_nc_u32_e32 v3, 29, v3
	v_cndmask_b32_e32 v29, v29, v3, vcc_lo
	s_delay_alu instid0(VALU_DEP_3) | instskip(NEXT) | instid1(VALU_DEP_1)
	v_cndmask_b32_e32 v3, 0, v30, vcc_lo
	v_lshlrev_b64 v[3:4], v3, v[10:11]
	v_lshlrev_b32_e32 v4, 24, v10
	s_delay_alu instid0(VALU_DEP_4) | instskip(NEXT) | instid1(VALU_DEP_2)
	v_lshl_add_u32 v29, v29, 23, 0x3c000000
	v_and_b32_e32 v4, 0x80000000, v4
	s_delay_alu instid0(VALU_DEP_4) | instskip(NEXT) | instid1(VALU_DEP_1)
	v_lshlrev_b32_e32 v3, 20, v3
	v_and_b32_e32 v3, 0x700000, v3
	s_delay_alu instid0(VALU_DEP_1)
	v_or3_b32 v3, v3, v4, v29
.LBB388_211:                            ;   in Loop: Header=BB388_129 Depth=1
	s_or_b32 exec_lo, exec_lo, s11
.LBB388_212:                            ;   in Loop: Header=BB388_129 Depth=1
	s_delay_alu instid0(SALU_CYCLE_1)
	s_or_b32 exec_lo, exec_lo, s10
.LBB388_213:                            ;   in Loop: Header=BB388_129 Depth=1
	s_delay_alu instid0(SALU_CYCLE_1) | instskip(NEXT) | instid1(VALU_DEP_1)
	s_or_b32 exec_lo, exec_lo, s0
	v_mul_f32_e32 v3, s7, v3
	s_mov_b32 s0, exec_lo
                                        ; implicit-def: $vgpr29
	s_delay_alu instid0(VALU_DEP_1) | instskip(NEXT) | instid1(VALU_DEP_1)
	v_and_b32_e32 v4, 0x7f800000, v3
	v_cmpx_ne_u32_e32 0x7f800000, v4
	s_xor_b32 s0, exec_lo, s0
; %bb.214:                              ;   in Loop: Header=BB388_129 Depth=1
	v_bfe_u32 v4, v3, 16, 1
	s_delay_alu instid0(VALU_DEP_1)
	v_add3_u32 v29, v3, v4, 0x7fff
                                        ; implicit-def: $vgpr3
; %bb.215:                              ;   in Loop: Header=BB388_129 Depth=1
	s_and_not1_saveexec_b32 s0, s0
; %bb.216:                              ;   in Loop: Header=BB388_129 Depth=1
	v_and_b32_e32 v4, 0xffff, v3
	v_or_b32_e32 v29, 0x10000, v3
	s_delay_alu instid0(VALU_DEP_2) | instskip(NEXT) | instid1(VALU_DEP_2)
	v_cmp_eq_u32_e32 vcc_lo, 0, v4
	v_cndmask_b32_e32 v29, v29, v3, vcc_lo
; %bb.217:                              ;   in Loop: Header=BB388_129 Depth=1
	s_or_b32 exec_lo, exec_lo, s0
	v_lshrrev_b16 v4, 8, v10
	v_mov_b32_e32 v3, 0
	s_mov_b32 s0, exec_lo
	s_delay_alu instid0(VALU_DEP_2)
	v_cmpx_ne_u16_e32 0, v4
	s_cbranch_execz .LBB388_225
; %bb.218:                              ;   in Loop: Header=BB388_129 Depth=1
	v_bfrev_b32_e32 v3, 1
	s_mov_b32 s10, exec_lo
	v_cmpx_ne_u16_e32 0x80, v4
	s_cbranch_execz .LBB388_224
; %bb.219:                              ;   in Loop: Header=BB388_129 Depth=1
	v_and_b32_e32 v4, 0xffff, v4
	v_mov_b32_e32 v3, 0x7f800001
	s_mov_b32 s11, exec_lo
	s_delay_alu instid0(VALU_DEP_2) | instskip(NEXT) | instid1(VALU_DEP_1)
	v_and_b32_e32 v31, 0x7f, v4
	v_cmpx_ne_u32_e32 0x7f, v31
	s_cbranch_execz .LBB388_223
; %bb.220:                              ;   in Loop: Header=BB388_129 Depth=1
	v_dual_mov_b32 v4, v11 :: v_dual_and_b32 v3, 7, v4
	v_lshrrev_b32_e32 v30, 3, v31
	s_mov_b32 s13, exec_lo
	v_cmpx_gt_u32_e32 8, v31
; %bb.221:                              ;   in Loop: Header=BB388_129 Depth=1
	s_delay_alu instid0(VALU_DEP_3) | instskip(NEXT) | instid1(VALU_DEP_1)
	v_clz_i32_u32_e32 v30, v3
	v_min_u32_e32 v30, 32, v30
	s_delay_alu instid0(VALU_DEP_1) | instskip(SKIP_1) | instid1(VALU_DEP_2)
	v_subrev_nc_u32_e32 v31, 28, v30
	v_sub_nc_u32_e32 v30, 29, v30
	v_lshlrev_b64 v[3:4], v31, v[3:4]
	s_delay_alu instid0(VALU_DEP_1)
	v_and_b32_e32 v3, 7, v3
; %bb.222:                              ;   in Loop: Header=BB388_129 Depth=1
	s_or_b32 exec_lo, exec_lo, s13
	v_lshlrev_b32_e32 v4, 16, v10
	s_delay_alu instid0(VALU_DEP_2) | instskip(SKIP_1) | instid1(VALU_DEP_3)
	v_lshlrev_b32_e32 v3, 20, v3
	v_lshl_add_u32 v10, v30, 23, 0x3c000000
	v_and_b32_e32 v4, 0x80000000, v4
	s_delay_alu instid0(VALU_DEP_1)
	v_or3_b32 v3, v3, v4, v10
.LBB388_223:                            ;   in Loop: Header=BB388_129 Depth=1
	s_or_b32 exec_lo, exec_lo, s11
.LBB388_224:                            ;   in Loop: Header=BB388_129 Depth=1
	s_delay_alu instid0(SALU_CYCLE_1)
	s_or_b32 exec_lo, exec_lo, s10
.LBB388_225:                            ;   in Loop: Header=BB388_129 Depth=1
	s_delay_alu instid0(SALU_CYCLE_1) | instskip(NEXT) | instid1(VALU_DEP_1)
	s_or_b32 exec_lo, exec_lo, s0
	v_mul_f32_e32 v4, s7, v3
	s_delay_alu instid0(VALU_DEP_1) | instskip(NEXT) | instid1(VALU_DEP_1)
	v_and_b32_e32 v3, 0x7f800000, v4
	v_cmp_ne_u32_e32 vcc_lo, 0x7f800000, v3
                                        ; implicit-def: $vgpr3
	s_and_saveexec_b32 s0, vcc_lo
	s_delay_alu instid0(SALU_CYCLE_1)
	s_xor_b32 s0, exec_lo, s0
; %bb.226:                              ;   in Loop: Header=BB388_129 Depth=1
	v_bfe_u32 v3, v4, 16, 1
	s_delay_alu instid0(VALU_DEP_1)
	v_add3_u32 v3, v4, v3, 0x7fff
                                        ; implicit-def: $vgpr4
; %bb.227:                              ;   in Loop: Header=BB388_129 Depth=1
	s_and_not1_saveexec_b32 s0, s0
; %bb.228:                              ;   in Loop: Header=BB388_129 Depth=1
	v_and_b32_e32 v3, 0xffff, v4
	v_or_b32_e32 v10, 0x10000, v4
	s_delay_alu instid0(VALU_DEP_2) | instskip(NEXT) | instid1(VALU_DEP_2)
	v_cmp_eq_u32_e32 vcc_lo, 0, v3
	v_cndmask_b32_e32 v3, v10, v4, vcc_lo
; %bb.229:                              ;   in Loop: Header=BB388_129 Depth=1
	s_or_b32 exec_lo, exec_lo, s0
	v_lshrrev_b32_e32 v4, 16, v2
	v_mov_b32_e32 v10, 0
	s_mov_b32 s0, exec_lo
	s_delay_alu instid0(VALU_DEP_2) | instskip(NEXT) | instid1(VALU_DEP_1)
	v_and_b32_e32 v30, 0xff, v4
	v_cmpx_ne_u16_e32 0, v30
	s_cbranch_execz .LBB388_237
; %bb.230:                              ;   in Loop: Header=BB388_129 Depth=1
	v_bfrev_b32_e32 v10, 1
	s_mov_b32 s10, exec_lo
	v_cmpx_ne_u16_e32 0x80, v30
	s_cbranch_execz .LBB388_236
; %bb.231:                              ;   in Loop: Header=BB388_129 Depth=1
	v_bfe_u32 v31, v2, 16, 7
	v_mov_b32_e32 v10, 0x7f800001
	s_mov_b32 s11, exec_lo
	s_delay_alu instid0(VALU_DEP_2)
	v_cmpx_ne_u32_e32 0x7f, v31
	s_cbranch_execz .LBB388_235
; %bb.232:                              ;   in Loop: Header=BB388_129 Depth=1
	v_and_b32_e32 v10, 7, v4
	v_lshrrev_b32_e32 v30, 3, v31
	s_mov_b32 s13, exec_lo
	v_cmpx_gt_u32_e32 8, v31
; %bb.233:                              ;   in Loop: Header=BB388_129 Depth=1
	s_delay_alu instid0(VALU_DEP_3) | instskip(NEXT) | instid1(VALU_DEP_1)
	v_clz_i32_u32_e32 v30, v10
	v_min_u32_e32 v30, 32, v30
	s_delay_alu instid0(VALU_DEP_1) | instskip(SKIP_1) | instid1(VALU_DEP_2)
	v_subrev_nc_u32_e32 v31, 28, v30
	v_sub_nc_u32_e32 v30, 29, v30
	v_lshlrev_b64 v[31:32], v31, v[10:11]
	s_delay_alu instid0(VALU_DEP_1)
	v_and_b32_e32 v10, 7, v31
; %bb.234:                              ;   in Loop: Header=BB388_129 Depth=1
	s_or_b32 exec_lo, exec_lo, s13
	v_lshlrev_b32_e32 v4, 24, v4
	s_delay_alu instid0(VALU_DEP_2) | instskip(SKIP_1) | instid1(VALU_DEP_3)
	v_lshlrev_b32_e32 v10, 20, v10
	v_lshl_add_u32 v30, v30, 23, 0x3c000000
	v_and_b32_e32 v4, 0x80000000, v4
	s_delay_alu instid0(VALU_DEP_1)
	v_or3_b32 v10, v10, v4, v30
.LBB388_235:                            ;   in Loop: Header=BB388_129 Depth=1
	s_or_b32 exec_lo, exec_lo, s11
.LBB388_236:                            ;   in Loop: Header=BB388_129 Depth=1
	s_delay_alu instid0(SALU_CYCLE_1)
	s_or_b32 exec_lo, exec_lo, s10
.LBB388_237:                            ;   in Loop: Header=BB388_129 Depth=1
	s_delay_alu instid0(SALU_CYCLE_1) | instskip(NEXT) | instid1(VALU_DEP_1)
	s_or_b32 exec_lo, exec_lo, s0
	v_mul_f32_e32 v4, s7, v10
	s_mov_b32 s0, exec_lo
                                        ; implicit-def: $vgpr30
	s_delay_alu instid0(VALU_DEP_1) | instskip(NEXT) | instid1(VALU_DEP_1)
	v_and_b32_e32 v10, 0x7f800000, v4
	v_cmpx_ne_u32_e32 0x7f800000, v10
	s_xor_b32 s0, exec_lo, s0
; %bb.238:                              ;   in Loop: Header=BB388_129 Depth=1
	v_bfe_u32 v10, v4, 16, 1
	s_delay_alu instid0(VALU_DEP_1)
	v_add3_u32 v30, v4, v10, 0x7fff
                                        ; implicit-def: $vgpr4
; %bb.239:                              ;   in Loop: Header=BB388_129 Depth=1
	s_and_not1_saveexec_b32 s0, s0
; %bb.240:                              ;   in Loop: Header=BB388_129 Depth=1
	v_and_b32_e32 v10, 0xffff, v4
	v_or_b32_e32 v30, 0x10000, v4
	s_delay_alu instid0(VALU_DEP_2) | instskip(NEXT) | instid1(VALU_DEP_2)
	v_cmp_eq_u32_e32 vcc_lo, 0, v10
	v_cndmask_b32_e32 v30, v30, v4, vcc_lo
; %bb.241:                              ;   in Loop: Header=BB388_129 Depth=1
	s_or_b32 exec_lo, exec_lo, s0
	v_mov_b32_e32 v4, 0
	s_mov_b32 s0, exec_lo
	v_cmpx_lt_u64_e64 s[2:3], v[1:2]
	s_cbranch_execz .LBB388_249
; %bb.242:                              ;   in Loop: Header=BB388_129 Depth=1
	v_lshrrev_b32_e32 v1, 24, v2
	v_bfrev_b32_e32 v4, 1
	s_mov_b32 s10, exec_lo
	s_delay_alu instid0(VALU_DEP_2)
	v_cmpx_ne_u32_e32 0x80, v1
	s_cbranch_execz .LBB388_248
; %bb.243:                              ;   in Loop: Header=BB388_129 Depth=1
	v_bfe_u32 v31, v2, 24, 7
	v_mov_b32_e32 v4, 0x7f800001
	s_mov_b32 s11, exec_lo
	s_delay_alu instid0(VALU_DEP_2)
	v_cmpx_ne_u32_e32 0x7f, v31
	s_cbranch_execz .LBB388_247
; %bb.244:                              ;   in Loop: Header=BB388_129 Depth=1
	v_and_b32_e32 v10, 7, v1
	v_lshrrev_b32_e32 v2, 3, v31
	s_mov_b32 s13, exec_lo
	v_cmpx_gt_u32_e32 8, v31
; %bb.245:                              ;   in Loop: Header=BB388_129 Depth=1
	s_delay_alu instid0(VALU_DEP_3) | instskip(NEXT) | instid1(VALU_DEP_1)
	v_clz_i32_u32_e32 v2, v10
	v_min_u32_e32 v2, 32, v2
	s_delay_alu instid0(VALU_DEP_1) | instskip(SKIP_1) | instid1(VALU_DEP_2)
	v_subrev_nc_u32_e32 v4, 28, v2
	v_sub_nc_u32_e32 v2, 29, v2
	v_lshlrev_b64 v[31:32], v4, v[10:11]
	s_delay_alu instid0(VALU_DEP_1)
	v_and_b32_e32 v10, 7, v31
; %bb.246:                              ;   in Loop: Header=BB388_129 Depth=1
	s_or_b32 exec_lo, exec_lo, s13
	v_lshlrev_b32_e32 v1, 24, v1
	s_delay_alu instid0(VALU_DEP_2) | instskip(SKIP_1) | instid1(VALU_DEP_3)
	v_lshlrev_b32_e32 v4, 20, v10
	v_lshl_add_u32 v2, v2, 23, 0x3c000000
	v_and_b32_e32 v1, 0x80000000, v1
	s_delay_alu instid0(VALU_DEP_1)
	v_or3_b32 v4, v4, v1, v2
.LBB388_247:                            ;   in Loop: Header=BB388_129 Depth=1
	s_or_b32 exec_lo, exec_lo, s11
.LBB388_248:                            ;   in Loop: Header=BB388_129 Depth=1
	s_delay_alu instid0(SALU_CYCLE_1)
	s_or_b32 exec_lo, exec_lo, s10
.LBB388_249:                            ;   in Loop: Header=BB388_129 Depth=1
	s_delay_alu instid0(SALU_CYCLE_1) | instskip(NEXT) | instid1(VALU_DEP_1)
	s_or_b32 exec_lo, exec_lo, s0
	v_mul_f32_e32 v2, s7, v4
	s_delay_alu instid0(VALU_DEP_1) | instskip(NEXT) | instid1(VALU_DEP_1)
	v_and_b32_e32 v1, 0x7f800000, v2
	v_cmp_ne_u32_e32 vcc_lo, 0x7f800000, v1
                                        ; implicit-def: $vgpr1
	s_and_saveexec_b32 s0, vcc_lo
	s_delay_alu instid0(SALU_CYCLE_1)
	s_xor_b32 s0, exec_lo, s0
; %bb.250:                              ;   in Loop: Header=BB388_129 Depth=1
	v_bfe_u32 v1, v2, 16, 1
	s_delay_alu instid0(VALU_DEP_1)
	v_add3_u32 v1, v2, v1, 0x7fff
                                        ; implicit-def: $vgpr2
; %bb.251:                              ;   in Loop: Header=BB388_129 Depth=1
	s_and_not1_saveexec_b32 s0, s0
; %bb.252:                              ;   in Loop: Header=BB388_129 Depth=1
	v_and_b32_e32 v1, 0xffff, v2
	v_or_b32_e32 v4, 0x10000, v2
	s_delay_alu instid0(VALU_DEP_2) | instskip(NEXT) | instid1(VALU_DEP_2)
	v_cmp_eq_u32_e32 vcc_lo, 0, v1
	v_cndmask_b32_e32 v1, v4, v2, vcc_lo
; %bb.253:                              ;   in Loop: Header=BB388_129 Depth=1
	s_or_b32 exec_lo, exec_lo, s0
	v_lshrrev_b32_e32 v4, 16, v3
	v_lshrrev_b32_e32 v29, 16, v29
	;; [unrolled: 1-line block ×8, first 2 shown]
	s_mov_b32 s0, exec_lo
	v_cmpx_eq_u32_e64 s8, v9
	s_cbranch_execz .LBB388_255
; %bb.254:                              ;   in Loop: Header=BB388_129 Depth=1
	v_add_nc_u32_e32 v25, -7, v19
	v_add_nc_u32_e32 v26, -6, v19
	;; [unrolled: 1-line block ×3, first 2 shown]
	s_delay_alu instid0(VALU_DEP_3)
	v_cmp_gt_i32_e32 vcc_lo, s15, v25
	v_add_nc_u32_e32 v25, -4, v19
	v_cndmask_b32_e32 v3, 0, v3, vcc_lo
	v_cmp_gt_i32_e32 vcc_lo, s15, v26
	v_add_nc_u32_e32 v26, -3, v19
	v_cndmask_b32_e32 v10, 0, v10, vcc_lo
	;; [unrolled: 3-line block ×3, first 2 shown]
	v_cmp_gt_i32_e32 vcc_lo, s15, v25
	v_dual_cndmask_b32 v28, 0, v28 :: v_dual_add_nc_u32 v25, -1, v19
	v_cmp_gt_i32_e32 vcc_lo, s15, v26
	v_cndmask_b32_e32 v29, 0, v29, vcc_lo
	v_cmp_gt_i32_e32 vcc_lo, s15, v30
	v_cndmask_b32_e32 v4, 0, v4, vcc_lo
	;; [unrolled: 2-line block ×4, first 2 shown]
.LBB388_255:                            ;   in Loop: Header=BB388_129 Depth=1
	s_or_b32 exec_lo, exec_lo, s0
	v_and_b32_e32 v24, 0xffff0000, v24
	v_lshlrev_b32_e32 v3, 16, v3
	s_delay_alu instid0(VALU_DEP_1) | instskip(NEXT) | instid1(VALU_DEP_1)
	v_mul_f32_e32 v24, v24, v3
	v_and_b32_e32 v3, 0x7f800000, v24
	s_delay_alu instid0(VALU_DEP_1) | instskip(SKIP_1) | instid1(SALU_CYCLE_1)
	v_cmp_ne_u32_e32 vcc_lo, 0x7f800000, v3
                                        ; implicit-def: $vgpr3
	s_and_saveexec_b32 s0, vcc_lo
	s_xor_b32 s0, exec_lo, s0
; %bb.256:                              ;   in Loop: Header=BB388_129 Depth=1
	v_bfe_u32 v3, v24, 16, 1
	s_delay_alu instid0(VALU_DEP_1)
	v_add3_u32 v3, v24, v3, 0x7fff
                                        ; implicit-def: $vgpr24
; %bb.257:                              ;   in Loop: Header=BB388_129 Depth=1
	s_and_not1_saveexec_b32 s0, s0
; %bb.258:                              ;   in Loop: Header=BB388_129 Depth=1
	v_and_b32_e32 v3, 0xffff, v24
	v_or_b32_e32 v25, 0x10000, v24
	s_delay_alu instid0(VALU_DEP_2) | instskip(NEXT) | instid1(VALU_DEP_2)
	v_cmp_eq_u32_e32 vcc_lo, 0, v3
	v_cndmask_b32_e32 v3, v25, v24, vcc_lo
; %bb.259:                              ;   in Loop: Header=BB388_129 Depth=1
	s_or_b32 exec_lo, exec_lo, s0
	v_and_b32_e32 v23, 0xffff0000, v23
	v_lshlrev_b32_e32 v10, 16, v10
	s_delay_alu instid0(VALU_DEP_1) | instskip(NEXT) | instid1(VALU_DEP_1)
	v_mul_f32_e32 v23, v23, v10
	v_and_b32_e32 v10, 0x7f800000, v23
	s_delay_alu instid0(VALU_DEP_1) | instskip(SKIP_1) | instid1(SALU_CYCLE_1)
	v_cmp_ne_u32_e32 vcc_lo, 0x7f800000, v10
                                        ; implicit-def: $vgpr10
	s_and_saveexec_b32 s0, vcc_lo
	s_xor_b32 s0, exec_lo, s0
; %bb.260:                              ;   in Loop: Header=BB388_129 Depth=1
	v_bfe_u32 v10, v23, 16, 1
	s_delay_alu instid0(VALU_DEP_1)
	v_add3_u32 v10, v23, v10, 0x7fff
                                        ; implicit-def: $vgpr23
; %bb.261:                              ;   in Loop: Header=BB388_129 Depth=1
	s_and_not1_saveexec_b32 s0, s0
; %bb.262:                              ;   in Loop: Header=BB388_129 Depth=1
	v_and_b32_e32 v10, 0xffff, v23
	v_or_b32_e32 v24, 0x10000, v23
	s_delay_alu instid0(VALU_DEP_2) | instskip(NEXT) | instid1(VALU_DEP_2)
	v_cmp_eq_u32_e32 vcc_lo, 0, v10
	v_cndmask_b32_e32 v10, v24, v23, vcc_lo
; %bb.263:                              ;   in Loop: Header=BB388_129 Depth=1
	s_or_b32 exec_lo, exec_lo, s0
	v_and_b32_e32 v22, 0xffff0000, v22
	v_lshlrev_b32_e32 v23, 16, v27
	s_delay_alu instid0(VALU_DEP_1) | instskip(NEXT) | instid1(VALU_DEP_1)
	v_mul_f32_e32 v23, v22, v23
	v_and_b32_e32 v22, 0x7f800000, v23
	s_delay_alu instid0(VALU_DEP_1) | instskip(SKIP_1) | instid1(SALU_CYCLE_1)
	v_cmp_ne_u32_e32 vcc_lo, 0x7f800000, v22
                                        ; implicit-def: $vgpr22
	s_and_saveexec_b32 s0, vcc_lo
	s_xor_b32 s0, exec_lo, s0
; %bb.264:                              ;   in Loop: Header=BB388_129 Depth=1
	v_bfe_u32 v22, v23, 16, 1
	s_delay_alu instid0(VALU_DEP_1)
	v_add3_u32 v22, v23, v22, 0x7fff
                                        ; implicit-def: $vgpr23
; %bb.265:                              ;   in Loop: Header=BB388_129 Depth=1
	s_and_not1_saveexec_b32 s0, s0
; %bb.266:                              ;   in Loop: Header=BB388_129 Depth=1
	v_and_b32_e32 v22, 0xffff, v23
	v_or_b32_e32 v24, 0x10000, v23
	s_delay_alu instid0(VALU_DEP_2) | instskip(NEXT) | instid1(VALU_DEP_2)
	v_cmp_eq_u32_e32 vcc_lo, 0, v22
	v_cndmask_b32_e32 v22, v24, v23, vcc_lo
; %bb.267:                              ;   in Loop: Header=BB388_129 Depth=1
	s_or_b32 exec_lo, exec_lo, s0
	v_and_b32_e32 v21, 0xffff0000, v21
	v_lshlrev_b32_e32 v23, 16, v28
	s_delay_alu instid0(VALU_DEP_1) | instskip(NEXT) | instid1(VALU_DEP_1)
	v_mul_f32_e32 v23, v21, v23
	v_and_b32_e32 v21, 0x7f800000, v23
	s_delay_alu instid0(VALU_DEP_1) | instskip(SKIP_1) | instid1(SALU_CYCLE_1)
	v_cmp_ne_u32_e32 vcc_lo, 0x7f800000, v21
                                        ; implicit-def: $vgpr21
	s_and_saveexec_b32 s0, vcc_lo
	s_xor_b32 s0, exec_lo, s0
; %bb.268:                              ;   in Loop: Header=BB388_129 Depth=1
	v_bfe_u32 v21, v23, 16, 1
	s_delay_alu instid0(VALU_DEP_1)
	v_add3_u32 v21, v23, v21, 0x7fff
                                        ; implicit-def: $vgpr23
; %bb.269:                              ;   in Loop: Header=BB388_129 Depth=1
	s_and_not1_saveexec_b32 s0, s0
; %bb.270:                              ;   in Loop: Header=BB388_129 Depth=1
	v_and_b32_e32 v21, 0xffff, v23
	v_or_b32_e32 v24, 0x10000, v23
	s_delay_alu instid0(VALU_DEP_2) | instskip(NEXT) | instid1(VALU_DEP_2)
	v_cmp_eq_u32_e32 vcc_lo, 0, v21
	v_cndmask_b32_e32 v21, v24, v23, vcc_lo
; %bb.271:                              ;   in Loop: Header=BB388_129 Depth=1
	s_or_b32 exec_lo, exec_lo, s0
	v_and_b32_e32 v8, 0xffff0000, v8
	v_lshlrev_b32_e32 v23, 16, v29
	s_delay_alu instid0(VALU_DEP_1) | instskip(NEXT) | instid1(VALU_DEP_1)
	v_mul_f32_e32 v23, v8, v23
	v_and_b32_e32 v8, 0x7f800000, v23
	s_delay_alu instid0(VALU_DEP_1) | instskip(SKIP_1) | instid1(SALU_CYCLE_1)
	v_cmp_ne_u32_e32 vcc_lo, 0x7f800000, v8
                                        ; implicit-def: $vgpr8
	s_and_saveexec_b32 s0, vcc_lo
	s_xor_b32 s0, exec_lo, s0
; %bb.272:                              ;   in Loop: Header=BB388_129 Depth=1
	v_bfe_u32 v8, v23, 16, 1
	s_delay_alu instid0(VALU_DEP_1)
	v_add3_u32 v8, v23, v8, 0x7fff
                                        ; implicit-def: $vgpr23
; %bb.273:                              ;   in Loop: Header=BB388_129 Depth=1
	s_and_not1_saveexec_b32 s0, s0
; %bb.274:                              ;   in Loop: Header=BB388_129 Depth=1
	v_and_b32_e32 v8, 0xffff, v23
	v_or_b32_e32 v24, 0x10000, v23
	s_delay_alu instid0(VALU_DEP_2) | instskip(NEXT) | instid1(VALU_DEP_2)
	v_cmp_eq_u32_e32 vcc_lo, 0, v8
	v_cndmask_b32_e32 v8, v24, v23, vcc_lo
; %bb.275:                              ;   in Loop: Header=BB388_129 Depth=1
	s_or_b32 exec_lo, exec_lo, s0
	v_and_b32_e32 v7, 0xffff0000, v7
	v_lshlrev_b32_e32 v4, 16, v4
	s_delay_alu instid0(VALU_DEP_1) | instskip(NEXT) | instid1(VALU_DEP_1)
	v_mul_f32_e32 v7, v7, v4
	v_and_b32_e32 v4, 0x7f800000, v7
	s_delay_alu instid0(VALU_DEP_1) | instskip(SKIP_1) | instid1(SALU_CYCLE_1)
	v_cmp_ne_u32_e32 vcc_lo, 0x7f800000, v4
                                        ; implicit-def: $vgpr4
	s_and_saveexec_b32 s0, vcc_lo
	s_xor_b32 s0, exec_lo, s0
; %bb.276:                              ;   in Loop: Header=BB388_129 Depth=1
	v_bfe_u32 v4, v7, 16, 1
	s_delay_alu instid0(VALU_DEP_1)
	v_add3_u32 v4, v7, v4, 0x7fff
                                        ; implicit-def: $vgpr7
; %bb.277:                              ;   in Loop: Header=BB388_129 Depth=1
	s_and_not1_saveexec_b32 s0, s0
; %bb.278:                              ;   in Loop: Header=BB388_129 Depth=1
	v_and_b32_e32 v4, 0xffff, v7
	v_or_b32_e32 v23, 0x10000, v7
	s_delay_alu instid0(VALU_DEP_2) | instskip(NEXT) | instid1(VALU_DEP_2)
	v_cmp_eq_u32_e32 vcc_lo, 0, v4
	v_cndmask_b32_e32 v4, v23, v7, vcc_lo
; %bb.279:                              ;   in Loop: Header=BB388_129 Depth=1
	s_or_b32 exec_lo, exec_lo, s0
	v_and_b32_e32 v6, 0xffff0000, v6
	v_lshlrev_b32_e32 v2, 16, v2
	s_delay_alu instid0(VALU_DEP_1) | instskip(NEXT) | instid1(VALU_DEP_1)
	v_mul_f32_e32 v6, v6, v2
	v_and_b32_e32 v2, 0x7f800000, v6
	s_delay_alu instid0(VALU_DEP_1) | instskip(SKIP_1) | instid1(SALU_CYCLE_1)
	v_cmp_ne_u32_e32 vcc_lo, 0x7f800000, v2
                                        ; implicit-def: $vgpr2
	s_and_saveexec_b32 s0, vcc_lo
	s_xor_b32 s0, exec_lo, s0
; %bb.280:                              ;   in Loop: Header=BB388_129 Depth=1
	v_bfe_u32 v2, v6, 16, 1
	s_delay_alu instid0(VALU_DEP_1)
	v_add3_u32 v2, v6, v2, 0x7fff
                                        ; implicit-def: $vgpr6
; %bb.281:                              ;   in Loop: Header=BB388_129 Depth=1
	s_and_not1_saveexec_b32 s0, s0
; %bb.282:                              ;   in Loop: Header=BB388_129 Depth=1
	v_and_b32_e32 v2, 0xffff, v6
	v_or_b32_e32 v7, 0x10000, v6
	s_delay_alu instid0(VALU_DEP_2) | instskip(NEXT) | instid1(VALU_DEP_2)
	v_cmp_eq_u32_e32 vcc_lo, 0, v2
	v_cndmask_b32_e32 v2, v7, v6, vcc_lo
; %bb.283:                              ;   in Loop: Header=BB388_129 Depth=1
	s_or_b32 exec_lo, exec_lo, s0
	v_and_b32_e32 v5, 0xffff0000, v5
	v_lshlrev_b32_e32 v1, 16, v1
	s_delay_alu instid0(VALU_DEP_1) | instskip(NEXT) | instid1(VALU_DEP_1)
	v_mul_f32_e32 v5, v5, v1
	v_and_b32_e32 v1, 0x7f800000, v5
	s_delay_alu instid0(VALU_DEP_1) | instskip(SKIP_1) | instid1(SALU_CYCLE_1)
	v_cmp_ne_u32_e32 vcc_lo, 0x7f800000, v1
                                        ; implicit-def: $vgpr1
	s_and_saveexec_b32 s0, vcc_lo
	s_xor_b32 s0, exec_lo, s0
; %bb.284:                              ;   in Loop: Header=BB388_129 Depth=1
	v_bfe_u32 v1, v5, 16, 1
	s_delay_alu instid0(VALU_DEP_1)
	v_add3_u32 v1, v5, v1, 0x7fff
                                        ; implicit-def: $vgpr5
; %bb.285:                              ;   in Loop: Header=BB388_129 Depth=1
	s_and_not1_saveexec_b32 s0, s0
	s_cbranch_execz .LBB388_128
; %bb.286:                              ;   in Loop: Header=BB388_129 Depth=1
	v_and_b32_e32 v1, 0xffff, v5
	v_or_b32_e32 v6, 0x10000, v5
	s_delay_alu instid0(VALU_DEP_2) | instskip(NEXT) | instid1(VALU_DEP_2)
	v_cmp_eq_u32_e32 vcc_lo, 0, v1
	v_cndmask_b32_e32 v1, v6, v5, vcc_lo
	s_branch .LBB388_128
.LBB388_287:
	s_or_b32 exec_lo, exec_lo, s5
.LBB388_288:
	s_delay_alu instid0(SALU_CYCLE_1)
	s_or_b32 exec_lo, exec_lo, s1
	v_and_b32_e32 v2, 0x3c0, v0
	v_lshl_add_u32 v1, v17, 2, 0x60
	s_mov_b32 s0, exec_lo
	s_waitcnt_vscnt null, 0x0
	s_barrier
	buffer_gl0_inv
	v_cmpx_eq_u32_e32 64, v2
	s_cbranch_execz .LBB388_290
; %bb.289:
	v_lshlrev_b32_e32 v2, 7, v16
	s_delay_alu instid0(VALU_DEP_1)
	v_add3_u32 v2, v1, v2, 0xffffff00
	ds_store_b32 v2, v18
.LBB388_290:
	s_or_b32 exec_lo, exec_lo, s0
	v_and_b32_e32 v3, 0x3e0, v0
	s_mov_b32 s0, exec_lo
	s_waitcnt lgkmcnt(0)
	s_barrier
	buffer_gl0_inv
	v_lshl_add_u32 v2, v3, 2, v1
	v_cmpx_gt_u32_e32 64, v0
	s_cbranch_execz .LBB388_292
; %bb.291:
	ds_load_b32 v4, v2
	s_waitcnt lgkmcnt(0)
	v_add_f32_e32 v18, v18, v4
.LBB388_292:
	s_or_b32 exec_lo, exec_lo, s0
	s_delay_alu instid0(SALU_CYCLE_1)
	s_mov_b32 s0, exec_lo
	s_barrier
	buffer_gl0_inv
	v_cmpx_eq_u32_e32 32, v3
	s_cbranch_execz .LBB388_294
; %bb.293:
	ds_store_b32 v1, v18
.LBB388_294:
	s_or_b32 exec_lo, exec_lo, s0
	v_cmp_gt_u32_e32 vcc_lo, 32, v0
	s_waitcnt lgkmcnt(0)
	s_barrier
	buffer_gl0_inv
	s_and_saveexec_b32 s0, vcc_lo
	s_cbranch_execz .LBB388_296
; %bb.295:
	ds_load_b32 v0, v2
	s_waitcnt lgkmcnt(0)
	v_add_f32_e32 v18, v18, v0
.LBB388_296:
	s_or_b32 exec_lo, exec_lo, s0
	s_barrier
	buffer_gl0_inv
	s_and_saveexec_b32 s0, vcc_lo
	s_cbranch_execz .LBB388_302
; %bb.297:
	v_and_b32_e32 v0, 0x7f800000, v18
	s_delay_alu instid0(VALU_DEP_1) | instskip(SKIP_1) | instid1(SALU_CYCLE_1)
	v_cmp_ne_u32_e32 vcc_lo, 0x7f800000, v0
                                        ; implicit-def: $vgpr0
	s_and_saveexec_b32 s0, vcc_lo
	s_xor_b32 s0, exec_lo, s0
; %bb.298:
	v_bfe_u32 v0, v18, 16, 1
	s_delay_alu instid0(VALU_DEP_1)
	v_add3_u32 v0, v18, v0, 0x7fff
                                        ; implicit-def: $vgpr18
; %bb.299:
	s_and_not1_saveexec_b32 s0, s0
; %bb.300:
	v_and_b32_e32 v0, 0xffff, v18
	v_or_b32_e32 v1, 0x10000, v18
	s_delay_alu instid0(VALU_DEP_2) | instskip(NEXT) | instid1(VALU_DEP_2)
	v_cmp_eq_u32_e32 vcc_lo, 0, v0
	v_cndmask_b32_e32 v0, v1, v18, vcc_lo
; %bb.301:
	s_or_b32 exec_lo, exec_lo, s0
	s_lshl_b32 s0, s6, 5
	s_mul_i32 s2, s4, s20
	s_ashr_i32 s1, s0, 31
	v_lshlrev_b32_e32 v1, 1, v17
	s_lshl_b64 s[0:1], s[0:1], 1
	s_delay_alu instid0(SALU_CYCLE_1) | instskip(SKIP_2) | instid1(SALU_CYCLE_1)
	s_add_u32 s4, s22, s0
	s_addc_u32 s5, s23, s1
	s_ashr_i32 s3, s2, 31
	s_lshl_b64 s[0:1], s[2:3], 1
	s_delay_alu instid0(SALU_CYCLE_1) | instskip(SKIP_2) | instid1(SALU_CYCLE_1)
	s_add_u32 s2, s4, s0
	s_addc_u32 s3, s5, s1
	s_lshl_b32 s0, s12, 5
	s_ashr_i32 s1, s0, 31
	s_delay_alu instid0(SALU_CYCLE_1) | instskip(NEXT) | instid1(SALU_CYCLE_1)
	s_lshl_b64 s[0:1], s[0:1], 1
	s_add_u32 s0, s2, s0
	s_addc_u32 s1, s3, s1
	global_store_d16_hi_b16 v1, v0, s[0:1]
.LBB388_302:
	s_nop 0
	s_sendmsg sendmsg(MSG_DEALLOC_VGPRS)
	s_endpgm
	.section	.rodata,"a",@progbits
	.p2align	6, 0x0
	.amdhsa_kernel _ZN4vllm25paged_attention_v2_kernelI14__hip_bfloat16hLi32ELi8ELi128ELNS_18Fp8KVCacheDataTypeE1ELb0ELi512EEEvPfS3_PT_PKS4_PKT0_SA_ifPKiSC_iPKfiiiSE_SE_iiiii
		.amdhsa_group_segment_fixed_size 96
		.amdhsa_private_segment_fixed_size 0
		.amdhsa_kernarg_size 400
		.amdhsa_user_sgpr_count 13
		.amdhsa_user_sgpr_dispatch_ptr 0
		.amdhsa_user_sgpr_queue_ptr 0
		.amdhsa_user_sgpr_kernarg_segment_ptr 1
		.amdhsa_user_sgpr_dispatch_id 0
		.amdhsa_user_sgpr_private_segment_size 0
		.amdhsa_wavefront_size32 1
		.amdhsa_uses_dynamic_stack 0
		.amdhsa_enable_private_segment 0
		.amdhsa_system_sgpr_workgroup_id_x 1
		.amdhsa_system_sgpr_workgroup_id_y 1
		.amdhsa_system_sgpr_workgroup_id_z 1
		.amdhsa_system_sgpr_workgroup_info 0
		.amdhsa_system_vgpr_workitem_id 0
		.amdhsa_next_free_vgpr 39
		.amdhsa_next_free_sgpr 42
		.amdhsa_reserve_vcc 1
		.amdhsa_float_round_mode_32 0
		.amdhsa_float_round_mode_16_64 0
		.amdhsa_float_denorm_mode_32 3
		.amdhsa_float_denorm_mode_16_64 3
		.amdhsa_dx10_clamp 1
		.amdhsa_ieee_mode 1
		.amdhsa_fp16_overflow 0
		.amdhsa_workgroup_processor_mode 1
		.amdhsa_memory_ordered 1
		.amdhsa_forward_progress 0
		.amdhsa_shared_vgpr_count 0
		.amdhsa_exception_fp_ieee_invalid_op 0
		.amdhsa_exception_fp_denorm_src 0
		.amdhsa_exception_fp_ieee_div_zero 0
		.amdhsa_exception_fp_ieee_overflow 0
		.amdhsa_exception_fp_ieee_underflow 0
		.amdhsa_exception_fp_ieee_inexact 0
		.amdhsa_exception_int_div_zero 0
	.end_amdhsa_kernel
	.section	.text._ZN4vllm25paged_attention_v2_kernelI14__hip_bfloat16hLi32ELi8ELi128ELNS_18Fp8KVCacheDataTypeE1ELb0ELi512EEEvPfS3_PT_PKS4_PKT0_SA_ifPKiSC_iPKfiiiSE_SE_iiiii,"axG",@progbits,_ZN4vllm25paged_attention_v2_kernelI14__hip_bfloat16hLi32ELi8ELi128ELNS_18Fp8KVCacheDataTypeE1ELb0ELi512EEEvPfS3_PT_PKS4_PKT0_SA_ifPKiSC_iPKfiiiSE_SE_iiiii,comdat
.Lfunc_end388:
	.size	_ZN4vllm25paged_attention_v2_kernelI14__hip_bfloat16hLi32ELi8ELi128ELNS_18Fp8KVCacheDataTypeE1ELb0ELi512EEEvPfS3_PT_PKS4_PKT0_SA_ifPKiSC_iPKfiiiSE_SE_iiiii, .Lfunc_end388-_ZN4vllm25paged_attention_v2_kernelI14__hip_bfloat16hLi32ELi8ELi128ELNS_18Fp8KVCacheDataTypeE1ELb0ELi512EEEvPfS3_PT_PKS4_PKT0_SA_ifPKiSC_iPKfiiiSE_SE_iiiii
                                        ; -- End function
	.section	.AMDGPU.csdata,"",@progbits
; Kernel info:
; codeLenInByte = 10128
; NumSgprs: 44
; NumVgprs: 39
; ScratchSize: 0
; MemoryBound: 0
; FloatMode: 240
; IeeeMode: 1
; LDSByteSize: 96 bytes/workgroup (compile time only)
; SGPRBlocks: 5
; VGPRBlocks: 4
; NumSGPRsForWavesPerEU: 44
; NumVGPRsForWavesPerEU: 39
; Occupancy: 16
; WaveLimiterHint : 1
; COMPUTE_PGM_RSRC2:SCRATCH_EN: 0
; COMPUTE_PGM_RSRC2:USER_SGPR: 13
; COMPUTE_PGM_RSRC2:TRAP_HANDLER: 0
; COMPUTE_PGM_RSRC2:TGID_X_EN: 1
; COMPUTE_PGM_RSRC2:TGID_Y_EN: 1
; COMPUTE_PGM_RSRC2:TGID_Z_EN: 1
; COMPUTE_PGM_RSRC2:TIDIG_COMP_CNT: 0
	.section	.text._ZN4vllm25paged_attention_v2_kernelI14__hip_bfloat16hLi64ELi8ELi128ELNS_18Fp8KVCacheDataTypeE1ELb0ELi512EEEvPfS3_PT_PKS4_PKT0_SA_ifPKiSC_iPKfiiiSE_SE_iiiii,"axG",@progbits,_ZN4vllm25paged_attention_v2_kernelI14__hip_bfloat16hLi64ELi8ELi128ELNS_18Fp8KVCacheDataTypeE1ELb0ELi512EEEvPfS3_PT_PKS4_PKT0_SA_ifPKiSC_iPKfiiiSE_SE_iiiii,comdat
	.protected	_ZN4vllm25paged_attention_v2_kernelI14__hip_bfloat16hLi64ELi8ELi128ELNS_18Fp8KVCacheDataTypeE1ELb0ELi512EEEvPfS3_PT_PKS4_PKT0_SA_ifPKiSC_iPKfiiiSE_SE_iiiii ; -- Begin function _ZN4vllm25paged_attention_v2_kernelI14__hip_bfloat16hLi64ELi8ELi128ELNS_18Fp8KVCacheDataTypeE1ELb0ELi512EEEvPfS3_PT_PKS4_PKT0_SA_ifPKiSC_iPKfiiiSE_SE_iiiii
	.globl	_ZN4vllm25paged_attention_v2_kernelI14__hip_bfloat16hLi64ELi8ELi128ELNS_18Fp8KVCacheDataTypeE1ELb0ELi512EEEvPfS3_PT_PKS4_PKT0_SA_ifPKiSC_iPKfiiiSE_SE_iiiii
	.p2align	8
	.type	_ZN4vllm25paged_attention_v2_kernelI14__hip_bfloat16hLi64ELi8ELi128ELNS_18Fp8KVCacheDataTypeE1ELb0ELi512EEEvPfS3_PT_PKS4_PKT0_SA_ifPKiSC_iPKfiiiSE_SE_iiiii,@function
_ZN4vllm25paged_attention_v2_kernelI14__hip_bfloat16hLi64ELi8ELi128ELNS_18Fp8KVCacheDataTypeE1ELb0ELi512EEEvPfS3_PT_PKS4_PKT0_SA_ifPKiSC_iPKfiiiSE_SE_iiiii: ; @_ZN4vllm25paged_attention_v2_kernelI14__hip_bfloat16hLi64ELi8ELi128ELNS_18Fp8KVCacheDataTypeE1ELb0ELi512EEEvPfS3_PT_PKS4_PKT0_SA_ifPKiSC_iPKfiiiSE_SE_iiiii
; %bb.0:
	s_load_b64 s[2:3], s[0:1], 0x40
	s_mov_b32 s24, s15
	s_ashr_i32 s15, s14, 31
	s_delay_alu instid0(SALU_CYCLE_1)
	s_lshl_b64 s[4:5], s[14:15], 2
	s_waitcnt lgkmcnt(0)
	s_add_u32 s2, s2, s4
	s_addc_u32 s3, s3, s5
	s_lshl_b32 s33, s24, 9
	s_load_b32 s15, s[2:3], 0x0
	s_waitcnt lgkmcnt(0)
	s_cmp_ge_i32 s33, s15
	s_cbranch_scc1 .LBB389_528
; %bb.1:
	s_clause 0x1
	s_load_b32 s25, s[0:1], 0x90
	s_load_b64 s[20:21], s[0:1], 0x30
	s_mov_b32 s26, s13
	s_mov_b32 s38, 0
	s_waitcnt lgkmcnt(0)
	s_abs_i32 s5, s25
	s_abs_i32 s2, s20
	s_delay_alu instid0(SALU_CYCLE_1) | instskip(SKIP_1) | instid1(VALU_DEP_1)
	v_cvt_f32_u32_e32 v1, s2
	s_sub_i32 s4, 0, s2
	v_rcp_iflag_f32_e32 v1, v1
	s_waitcnt_depctr 0xfff
	v_mul_f32_e32 v1, 0x4f7ffffe, v1
	s_delay_alu instid0(VALU_DEP_1) | instskip(NEXT) | instid1(VALU_DEP_1)
	v_cvt_u32_f32_e32 v1, v1
	v_readfirstlane_b32 s3, v1
	s_delay_alu instid0(VALU_DEP_1) | instskip(NEXT) | instid1(SALU_CYCLE_1)
	s_mul_i32 s4, s4, s3
	s_mul_hi_u32 s4, s3, s4
	s_delay_alu instid0(SALU_CYCLE_1) | instskip(SKIP_4) | instid1(SALU_CYCLE_1)
	s_add_i32 s3, s3, s4
	s_xor_b32 s4, s25, s20
	s_mul_hi_u32 s3, s5, s3
	s_ashr_i32 s4, s4, 31
	s_mul_i32 s6, s3, s2
	s_sub_i32 s5, s5, s6
	s_add_i32 s6, s3, 1
	s_sub_i32 s7, s5, s2
	s_cmp_ge_u32 s5, s2
	s_cselect_b32 s3, s6, s3
	s_cselect_b32 s5, s7, s5
	s_add_i32 s6, s3, 1
	s_cmp_ge_u32 s5, s2
	s_cselect_b32 s2, s6, s3
	s_abs_i32 s10, s13
	s_xor_b32 s2, s2, s4
	s_delay_alu instid0(SALU_CYCLE_1) | instskip(SKIP_2) | instid1(SALU_CYCLE_1)
	s_sub_i32 s11, s2, s4
	s_load_b64 s[2:3], s[0:1], 0x50
	s_abs_i32 s8, s11
	v_cvt_f32_u32_e32 v1, s8
	s_sub_i32 s5, 0, s8
	s_delay_alu instid0(VALU_DEP_1) | instskip(SKIP_2) | instid1(VALU_DEP_1)
	v_rcp_iflag_f32_e32 v1, v1
	s_waitcnt_depctr 0xfff
	v_mul_f32_e32 v1, 0x4f7ffffe, v1
	v_cvt_u32_f32_e32 v1, v1
	s_delay_alu instid0(VALU_DEP_1) | instskip(NEXT) | instid1(VALU_DEP_1)
	v_readfirstlane_b32 s4, v1
	s_mul_i32 s5, s5, s4
	s_delay_alu instid0(SALU_CYCLE_1) | instskip(NEXT) | instid1(SALU_CYCLE_1)
	s_mul_hi_u32 s5, s4, s5
	s_add_i32 s4, s4, s5
	s_waitcnt lgkmcnt(0)
	s_cmp_eq_u64 s[2:3], 0
	s_mul_hi_u32 s9, s10, s4
	s_cbranch_scc1 .LBB389_3
; %bb.2:
	s_ashr_i32 s27, s26, 31
	s_delay_alu instid0(SALU_CYCLE_1) | instskip(NEXT) | instid1(SALU_CYCLE_1)
	s_lshl_b64 s[4:5], s[26:27], 2
	s_add_u32 s2, s2, s4
	s_addc_u32 s3, s3, s5
	s_load_b32 s38, s[2:3], 0x0
.LBB389_3:
	s_load_b128 s[4:7], s[0:1], 0x58
	v_and_b32_e32 v1, 3, v0
	v_cmp_gt_u32_e64 s2, 32, v0
	s_ashr_i32 s3, s26, 31
	s_waitcnt lgkmcnt(0)
	s_ashr_i32 s7, s11, 31
	s_lshl_b32 s12, s26, 6
	s_and_saveexec_b32 s11, s2
	s_cbranch_execz .LBB389_5
; %bb.4:
	s_load_b64 s[16:17], s[0:1], 0x18
	s_mul_i32 s18, s14, s4
	v_lshlrev_b32_e32 v2, 2, v0
	s_ashr_i32 s19, s18, 31
	v_and_b32_e32 v3, 0x3fc, v0
	s_lshl_b64 s[18:19], s[18:19], 1
	s_delay_alu instid0(VALU_DEP_1) | instskip(SKIP_4) | instid1(SALU_CYCLE_1)
	v_lshl_add_u32 v3, v1, 5, v3
	s_waitcnt lgkmcnt(0)
	s_add_u32 s4, s16, s18
	s_addc_u32 s18, s17, s19
	s_ashr_i32 s13, s12, 31
	s_lshl_b64 s[16:17], s[12:13], 1
	s_delay_alu instid0(SALU_CYCLE_1)
	s_add_u32 s16, s4, s16
	s_addc_u32 s17, s18, s17
	global_load_b32 v2, v2, s[16:17]
	s_waitcnt vmcnt(0)
	ds_store_b32 v3, v2
.LBB389_5:
	s_or_b32 exec_lo, exec_lo, s11
	s_add_i32 s4, s15, 7
	s_lshl_b32 s20, s24, 6
	s_ashr_i32 s11, s4, 31
	s_xor_b32 s3, s3, s7
	s_lshr_b32 s11, s11, 29
	s_add_i32 s7, s20, 64
	s_add_i32 s4, s4, s11
	v_lshrrev_b32_e32 v18, 5, v0
	s_ashr_i32 s36, s4, 3
	s_mul_i32 s4, s9, s8
	s_min_i32 s27, s7, s36
	s_clause 0x1
	s_load_b64 s[28:29], s[0:1], 0x38
	s_load_b32 s7, s[0:1], 0x48
	s_sub_i32 s4, s10, s4
	s_add_i32 s10, s9, 1
	s_sub_i32 s11, s4, s8
	s_cmp_ge_u32 s4, s8
	v_or_b32_e32 v9, s20, v18
	s_cselect_b32 s9, s10, s9
	s_cselect_b32 s4, s11, s4
	s_add_i32 s10, s9, 1
	s_cmp_ge_u32 s4, s8
	v_mbcnt_lo_u32_b32 v11, -1, 0
	s_cselect_b32 s4, s10, s9
	s_waitcnt lgkmcnt(0)
	s_xor_b32 s4, s4, s3
	s_barrier
	s_sub_i32 s37, s4, s3
	v_cmp_gt_i32_e64 s3, s27, v9
	buffer_gl0_inv
                                        ; implicit-def: $sgpr4
                                        ; implicit-def: $vgpr13
	s_mul_i32 s30, s14, s7
	s_mov_b32 s7, exec_lo
	s_ashr_i32 s31, s30, 31
	v_cmpx_le_i32_e64 s27, v9
	s_xor_b32 s7, exec_lo, s7
; %bb.6:
	v_mbcnt_lo_u32_b32 v11, -1, 0
	v_mov_b32_e32 v13, 32
	s_mov_b32 s4, 0xff7fffff
                                        ; implicit-def: $vgpr1
; %bb.7:
	s_or_saveexec_b32 s7, s7
	s_clause 0x4
	s_load_b128 s[16:19], s[0:1], 0x0
	s_load_b64 s[22:23], s[0:1], 0x10
	s_load_b32 s13, s[0:1], 0x98
	s_load_b64 s[34:35], s[0:1], 0x28
	s_load_b128 s[8:11], s[0:1], 0x68
	v_dual_mov_b32 v31, s4 :: v_dual_lshlrev_b32 v12, 3, v18
	v_ashrrev_i32_e32 v10, 31, v9
	s_mul_i32 s37, s37, s6
	s_xor_b32 exec_lo, exec_lo, s7
	s_cbranch_execz .LBB389_205
; %bb.8:
	v_dual_mov_b32 v13, 32 :: v_dual_lshlrev_b32 v2, 5, v1
	s_load_b64 s[0:1], s[0:1], 0x20
	v_bfe_u32 v35, v0, 2, 3
	s_waitcnt lgkmcnt(0)
	s_load_b32 s6, s[8:9], 0x0
	ds_load_b128 v[5:8], v2
	ds_load_b128 v[28:31], v2 offset:16
	v_dual_mov_b32 v2, 0 :: v_dual_lshlrev_b32 v3, 4, v35
	s_ashr_i32 s4, s37, 31
	v_lshlrev_b32_e32 v14, 1, v1
	s_mov_b32 s39, s5
	s_mov_b32 s9, 0
	v_mov_b32_e32 v37, v9
	s_add_u32 s0, s0, s37
	s_addc_u32 s1, s1, s4
	v_add_co_u32 v3, s0, s0, v3
	s_waitcnt lgkmcnt(0)
	v_and_b32_e32 v16, 0xffff0000, v5
	v_lshlrev_b32_e32 v17, 16, v6
	v_and_b32_e32 v19, 0xffff0000, v6
	v_xor_b32_e32 v6, 1, v11
	v_lshlrev_b32_e32 v15, 16, v5
	v_xor_b32_e32 v5, 2, v11
	s_lshl_b64 s[40:41], s[30:31], 2
	s_sub_i32 s8, 1, s15
	v_add_co_ci_u32_e64 v4, null, s1, 0, s0
	s_delay_alu instid0(VALU_DEP_2)
	v_cmp_gt_i32_e32 vcc_lo, 32, v5
	v_lshlrev_b32_e32 v20, 16, v7
	s_add_u32 s1, s28, s40
	s_addc_u32 s4, s29, s41
	v_and_b32_e32 v21, 0xffff0000, v7
	v_cndmask_b32_e32 v5, v11, v5, vcc_lo
	v_cmp_gt_i32_e32 vcc_lo, 32, v6
	v_lshlrev_b32_e32 v22, 16, v8
	v_and_b32_e32 v23, 0xffff0000, v8
	v_lshlrev_b32_e32 v24, 16, v28
	v_dual_cndmask_b32 v6, v11, v6 :: v_dual_lshlrev_b32 v33, 2, v5
	v_lshlrev_b32_e32 v5, 2, v35
	v_cmp_eq_u32_e32 vcc_lo, 0, v1
	v_and_b32_e32 v25, 0xffff0000, v28
	v_lshlrev_b32_e32 v26, 16, v29
	v_lshlrev_b32_e32 v34, 2, v6
	v_lshl_or_b32 v1, v18, 5, v5
	v_lshlrev_b64 v[5:6], 2, v[9:10]
	v_and_b32_e32 v27, 0xffff0000, v29
	v_lshlrev_b32_e32 v28, 16, v30
	v_and_b32_e32 v29, 0xffff0000, v30
	v_lshlrev_b32_e32 v30, 16, v31
	v_and_b32_e32 v32, 0xffff0000, v31
	v_add_co_u32 v5, s1, s1, v5
	v_cmp_neq_f32_e64 s0, s38, 0
	v_add3_u32 v35, s33, v12, v35
	v_add_nc_u32_e32 v36, 0xa0, v1
	v_add_co_ci_u32_e64 v6, s1, s4, v6, s1
	v_mov_b32_e32 v31, 0xff7fffff
	s_branch .LBB389_10
.LBB389_9:                              ;   in Loop: Header=BB389_10 Depth=1
	s_or_b32 exec_lo, exec_lo, s4
	v_add_nc_u32_e32 v37, 4, v37
	v_add_co_u32 v5, s4, v5, 16
	v_add_nc_u32_e32 v35, 32, v35
	v_add_nc_u32_e32 v36, 0x80, v36
	s_delay_alu instid0(VALU_DEP_4) | instskip(SKIP_1) | instid1(VALU_DEP_2)
	v_cmp_le_i32_e64 s1, s27, v37
	v_add_co_ci_u32_e64 v6, s4, 0, v6, s4
	s_or_b32 s9, s1, s9
	s_delay_alu instid0(SALU_CYCLE_1)
	s_and_not1_b32 exec_lo, exec_lo, s9
	s_cbranch_execz .LBB389_204
.LBB389_10:                             ; =>This Inner Loop Header: Depth=1
	global_load_b32 v1, v[5:6], off
	s_mov_b32 s4, exec_lo
	s_waitcnt vmcnt(0) lgkmcnt(0)
	v_mad_i64_i32 v[7:8], null, v1, s39, v[3:4]
	s_delay_alu instid0(VALU_DEP_1) | instskip(NEXT) | instid1(VALU_DEP_1)
	v_add_co_u32 v7, s1, v7, v14
	v_add_co_ci_u32_e64 v8, s1, 0, v8, s1
	global_load_u16 v1, v[7:8], off
	s_waitcnt vmcnt(0)
	v_and_b32_e32 v38, 0xff, v1
	v_and_b32_e32 v39, 0xffff, v1
	v_mov_b32_e32 v1, 0
	s_delay_alu instid0(VALU_DEP_3)
	v_cmpx_ne_u16_e32 0, v38
	s_cbranch_execz .LBB389_18
; %bb.11:                               ;   in Loop: Header=BB389_10 Depth=1
	s_delay_alu instid0(VALU_DEP_3) | instskip(NEXT) | instid1(VALU_DEP_1)
	v_and_b32_e32 v1, 0xff, v39
	v_cmp_ne_u16_e64 s1, 0x80, v1
	v_bfrev_b32_e32 v1, 1
	s_delay_alu instid0(VALU_DEP_2)
	s_and_saveexec_b32 s40, s1
	s_cbranch_execz .LBB389_17
; %bb.12:                               ;   in Loop: Header=BB389_10 Depth=1
	v_and_b32_e32 v40, 0x7f, v39
	v_mov_b32_e32 v1, 0x7f800001
	s_mov_b32 s41, exec_lo
	s_delay_alu instid0(VALU_DEP_2)
	v_cmpx_ne_u32_e32 0x7f, v40
	s_cbranch_execz .LBB389_16
; %bb.13:                               ;   in Loop: Header=BB389_10 Depth=1
	v_and_b32_e32 v1, 7, v39
	v_lshrrev_b32_e32 v38, 3, v40
	s_mov_b32 s42, exec_lo
	v_cmpx_gt_u32_e32 8, v40
; %bb.14:                               ;   in Loop: Header=BB389_10 Depth=1
	s_delay_alu instid0(VALU_DEP_3) | instskip(NEXT) | instid1(VALU_DEP_1)
	v_clz_i32_u32_e32 v38, v1
	v_min_u32_e32 v38, 32, v38
	s_delay_alu instid0(VALU_DEP_1) | instskip(SKIP_1) | instid1(VALU_DEP_2)
	v_subrev_nc_u32_e32 v40, 28, v38
	v_sub_nc_u32_e32 v38, 29, v38
	v_lshlrev_b64 v[40:41], v40, v[1:2]
	s_delay_alu instid0(VALU_DEP_1)
	v_and_b32_e32 v1, 7, v40
; %bb.15:                               ;   in Loop: Header=BB389_10 Depth=1
	s_or_b32 exec_lo, exec_lo, s42
	v_lshlrev_b32_e32 v40, 24, v39
	s_delay_alu instid0(VALU_DEP_2) | instskip(SKIP_1) | instid1(VALU_DEP_3)
	v_lshlrev_b32_e32 v1, 20, v1
	v_lshl_add_u32 v38, v38, 23, 0x3c000000
	v_and_b32_e32 v40, 0x80000000, v40
	s_delay_alu instid0(VALU_DEP_1)
	v_or3_b32 v1, v1, v40, v38
.LBB389_16:                             ;   in Loop: Header=BB389_10 Depth=1
	s_or_b32 exec_lo, exec_lo, s41
.LBB389_17:                             ;   in Loop: Header=BB389_10 Depth=1
	s_delay_alu instid0(SALU_CYCLE_1)
	s_or_b32 exec_lo, exec_lo, s40
.LBB389_18:                             ;   in Loop: Header=BB389_10 Depth=1
	s_delay_alu instid0(SALU_CYCLE_1) | instskip(NEXT) | instid1(VALU_DEP_1)
	s_or_b32 exec_lo, exec_lo, s4
	v_mul_f32_e32 v1, s6, v1
	s_delay_alu instid0(VALU_DEP_1) | instskip(NEXT) | instid1(VALU_DEP_1)
	v_and_b32_e32 v38, 0x7f800000, v1
	v_cmp_ne_u32_e64 s1, 0x7f800000, v38
                                        ; implicit-def: $vgpr38
	s_delay_alu instid0(VALU_DEP_1) | instskip(NEXT) | instid1(SALU_CYCLE_1)
	s_and_saveexec_b32 s4, s1
	s_xor_b32 s1, exec_lo, s4
; %bb.19:                               ;   in Loop: Header=BB389_10 Depth=1
	v_bfe_u32 v38, v1, 16, 1
	s_delay_alu instid0(VALU_DEP_1)
	v_add3_u32 v38, v1, v38, 0x7fff
                                        ; implicit-def: $vgpr1
; %bb.20:                               ;   in Loop: Header=BB389_10 Depth=1
	s_and_not1_saveexec_b32 s4, s1
; %bb.21:                               ;   in Loop: Header=BB389_10 Depth=1
	v_and_b32_e32 v38, 0xffff, v1
	v_or_b32_e32 v40, 0x10000, v1
	s_delay_alu instid0(VALU_DEP_2) | instskip(NEXT) | instid1(VALU_DEP_1)
	v_cmp_eq_u32_e64 s1, 0, v38
	v_cndmask_b32_e64 v38, v40, v1, s1
; %bb.22:                               ;   in Loop: Header=BB389_10 Depth=1
	s_or_b32 exec_lo, exec_lo, s4
	v_lshrrev_b16 v40, 8, v39
	v_mov_b32_e32 v1, 0
	s_mov_b32 s4, exec_lo
	s_delay_alu instid0(VALU_DEP_2)
	v_cmpx_ne_u16_e32 0, v40
	s_cbranch_execz .LBB389_30
; %bb.23:                               ;   in Loop: Header=BB389_10 Depth=1
	v_bfrev_b32_e32 v1, 1
	s_mov_b32 s40, exec_lo
	v_cmpx_ne_u16_e32 0x80, v40
	s_cbranch_execz .LBB389_29
; %bb.24:                               ;   in Loop: Header=BB389_10 Depth=1
	v_and_b32_e32 v40, 0xffff, v40
	v_mov_b32_e32 v1, 0x7f800001
	s_mov_b32 s41, exec_lo
	s_delay_alu instid0(VALU_DEP_2) | instskip(NEXT) | instid1(VALU_DEP_1)
	v_and_b32_e32 v41, 0x7f, v40
	v_cmpx_ne_u32_e32 0x7f, v41
	s_cbranch_execz .LBB389_28
; %bb.25:                               ;   in Loop: Header=BB389_10 Depth=1
	v_and_b32_e32 v1, 7, v40
	v_lshrrev_b32_e32 v40, 3, v41
	s_mov_b32 s42, exec_lo
	v_cmpx_gt_u32_e32 8, v41
; %bb.26:                               ;   in Loop: Header=BB389_10 Depth=1
	s_delay_alu instid0(VALU_DEP_3) | instskip(NEXT) | instid1(VALU_DEP_1)
	v_clz_i32_u32_e32 v40, v1
	v_min_u32_e32 v40, 32, v40
	s_delay_alu instid0(VALU_DEP_1) | instskip(SKIP_1) | instid1(VALU_DEP_2)
	v_subrev_nc_u32_e32 v41, 28, v40
	v_sub_nc_u32_e32 v40, 29, v40
	v_lshlrev_b64 v[41:42], v41, v[1:2]
	s_delay_alu instid0(VALU_DEP_1)
	v_and_b32_e32 v1, 7, v41
; %bb.27:                               ;   in Loop: Header=BB389_10 Depth=1
	s_or_b32 exec_lo, exec_lo, s42
	v_lshlrev_b32_e32 v39, 16, v39
	s_delay_alu instid0(VALU_DEP_2) | instskip(SKIP_1) | instid1(VALU_DEP_3)
	v_lshlrev_b32_e32 v1, 20, v1
	v_lshl_add_u32 v40, v40, 23, 0x3c000000
	v_and_b32_e32 v39, 0x80000000, v39
	s_delay_alu instid0(VALU_DEP_1)
	v_or3_b32 v1, v1, v39, v40
.LBB389_28:                             ;   in Loop: Header=BB389_10 Depth=1
	s_or_b32 exec_lo, exec_lo, s41
.LBB389_29:                             ;   in Loop: Header=BB389_10 Depth=1
	s_delay_alu instid0(SALU_CYCLE_1)
	s_or_b32 exec_lo, exec_lo, s40
.LBB389_30:                             ;   in Loop: Header=BB389_10 Depth=1
	s_delay_alu instid0(SALU_CYCLE_1) | instskip(NEXT) | instid1(VALU_DEP_1)
	s_or_b32 exec_lo, exec_lo, s4
	v_mul_f32_e32 v1, s6, v1
	s_delay_alu instid0(VALU_DEP_1) | instskip(NEXT) | instid1(VALU_DEP_1)
	v_and_b32_e32 v39, 0x7f800000, v1
	v_cmp_ne_u32_e64 s1, 0x7f800000, v39
                                        ; implicit-def: $vgpr39
	s_delay_alu instid0(VALU_DEP_1) | instskip(NEXT) | instid1(SALU_CYCLE_1)
	s_and_saveexec_b32 s4, s1
	s_xor_b32 s1, exec_lo, s4
; %bb.31:                               ;   in Loop: Header=BB389_10 Depth=1
	v_bfe_u32 v39, v1, 16, 1
	s_delay_alu instid0(VALU_DEP_1)
	v_add3_u32 v39, v1, v39, 0x7fff
                                        ; implicit-def: $vgpr1
; %bb.32:                               ;   in Loop: Header=BB389_10 Depth=1
	s_and_not1_saveexec_b32 s4, s1
; %bb.33:                               ;   in Loop: Header=BB389_10 Depth=1
	v_and_b32_e32 v39, 0xffff, v1
	v_or_b32_e32 v40, 0x10000, v1
	s_delay_alu instid0(VALU_DEP_2) | instskip(NEXT) | instid1(VALU_DEP_1)
	v_cmp_eq_u32_e64 s1, 0, v39
	v_cndmask_b32_e64 v39, v40, v1, s1
; %bb.34:                               ;   in Loop: Header=BB389_10 Depth=1
	s_or_b32 exec_lo, exec_lo, s4
	global_load_u16 v1, v[7:8], off offset:8
	s_mov_b32 s4, exec_lo
	s_waitcnt vmcnt(0)
	v_and_b32_e32 v40, 0xff, v1
	v_and_b32_e32 v41, 0xffff, v1
	v_mov_b32_e32 v1, 0
	s_delay_alu instid0(VALU_DEP_3)
	v_cmpx_ne_u16_e32 0, v40
	s_cbranch_execz .LBB389_42
; %bb.35:                               ;   in Loop: Header=BB389_10 Depth=1
	s_delay_alu instid0(VALU_DEP_3) | instskip(NEXT) | instid1(VALU_DEP_1)
	v_and_b32_e32 v1, 0xff, v41
	v_cmp_ne_u16_e64 s1, 0x80, v1
	v_bfrev_b32_e32 v1, 1
	s_delay_alu instid0(VALU_DEP_2)
	s_and_saveexec_b32 s40, s1
	s_cbranch_execz .LBB389_41
; %bb.36:                               ;   in Loop: Header=BB389_10 Depth=1
	v_and_b32_e32 v42, 0x7f, v41
	v_mov_b32_e32 v1, 0x7f800001
	s_mov_b32 s41, exec_lo
	s_delay_alu instid0(VALU_DEP_2)
	v_cmpx_ne_u32_e32 0x7f, v42
	s_cbranch_execz .LBB389_40
; %bb.37:                               ;   in Loop: Header=BB389_10 Depth=1
	v_and_b32_e32 v1, 7, v41
	v_lshrrev_b32_e32 v40, 3, v42
	s_mov_b32 s42, exec_lo
	v_cmpx_gt_u32_e32 8, v42
; %bb.38:                               ;   in Loop: Header=BB389_10 Depth=1
	s_delay_alu instid0(VALU_DEP_3) | instskip(NEXT) | instid1(VALU_DEP_1)
	v_clz_i32_u32_e32 v40, v1
	v_min_u32_e32 v40, 32, v40
	s_delay_alu instid0(VALU_DEP_1) | instskip(SKIP_1) | instid1(VALU_DEP_2)
	v_subrev_nc_u32_e32 v42, 28, v40
	v_sub_nc_u32_e32 v40, 29, v40
	v_lshlrev_b64 v[42:43], v42, v[1:2]
	s_delay_alu instid0(VALU_DEP_1)
	v_and_b32_e32 v1, 7, v42
; %bb.39:                               ;   in Loop: Header=BB389_10 Depth=1
	s_or_b32 exec_lo, exec_lo, s42
	v_lshlrev_b32_e32 v42, 24, v41
	s_delay_alu instid0(VALU_DEP_2) | instskip(SKIP_1) | instid1(VALU_DEP_3)
	v_lshlrev_b32_e32 v1, 20, v1
	v_lshl_add_u32 v40, v40, 23, 0x3c000000
	v_and_b32_e32 v42, 0x80000000, v42
	s_delay_alu instid0(VALU_DEP_1)
	v_or3_b32 v1, v1, v42, v40
.LBB389_40:                             ;   in Loop: Header=BB389_10 Depth=1
	s_or_b32 exec_lo, exec_lo, s41
.LBB389_41:                             ;   in Loop: Header=BB389_10 Depth=1
	s_delay_alu instid0(SALU_CYCLE_1)
	s_or_b32 exec_lo, exec_lo, s40
.LBB389_42:                             ;   in Loop: Header=BB389_10 Depth=1
	s_delay_alu instid0(SALU_CYCLE_1) | instskip(NEXT) | instid1(VALU_DEP_1)
	s_or_b32 exec_lo, exec_lo, s4
	v_mul_f32_e32 v1, s6, v1
	s_delay_alu instid0(VALU_DEP_1) | instskip(NEXT) | instid1(VALU_DEP_1)
	v_and_b32_e32 v40, 0x7f800000, v1
	v_cmp_ne_u32_e64 s1, 0x7f800000, v40
                                        ; implicit-def: $vgpr40
	s_delay_alu instid0(VALU_DEP_1) | instskip(NEXT) | instid1(SALU_CYCLE_1)
	s_and_saveexec_b32 s4, s1
	s_xor_b32 s1, exec_lo, s4
; %bb.43:                               ;   in Loop: Header=BB389_10 Depth=1
	v_bfe_u32 v40, v1, 16, 1
	s_delay_alu instid0(VALU_DEP_1)
	v_add3_u32 v40, v1, v40, 0x7fff
                                        ; implicit-def: $vgpr1
; %bb.44:                               ;   in Loop: Header=BB389_10 Depth=1
	s_and_not1_saveexec_b32 s4, s1
; %bb.45:                               ;   in Loop: Header=BB389_10 Depth=1
	v_and_b32_e32 v40, 0xffff, v1
	v_or_b32_e32 v42, 0x10000, v1
	s_delay_alu instid0(VALU_DEP_2) | instskip(NEXT) | instid1(VALU_DEP_1)
	v_cmp_eq_u32_e64 s1, 0, v40
	v_cndmask_b32_e64 v40, v42, v1, s1
; %bb.46:                               ;   in Loop: Header=BB389_10 Depth=1
	s_or_b32 exec_lo, exec_lo, s4
	v_lshrrev_b16 v42, 8, v41
	v_mov_b32_e32 v1, 0
	s_mov_b32 s4, exec_lo
	s_delay_alu instid0(VALU_DEP_2)
	v_cmpx_ne_u16_e32 0, v42
	s_cbranch_execz .LBB389_54
; %bb.47:                               ;   in Loop: Header=BB389_10 Depth=1
	v_bfrev_b32_e32 v1, 1
	s_mov_b32 s40, exec_lo
	v_cmpx_ne_u16_e32 0x80, v42
	s_cbranch_execz .LBB389_53
; %bb.48:                               ;   in Loop: Header=BB389_10 Depth=1
	v_and_b32_e32 v42, 0xffff, v42
	v_mov_b32_e32 v1, 0x7f800001
	s_mov_b32 s41, exec_lo
	s_delay_alu instid0(VALU_DEP_2) | instskip(NEXT) | instid1(VALU_DEP_1)
	v_and_b32_e32 v43, 0x7f, v42
	v_cmpx_ne_u32_e32 0x7f, v43
	s_cbranch_execz .LBB389_52
; %bb.49:                               ;   in Loop: Header=BB389_10 Depth=1
	v_and_b32_e32 v1, 7, v42
	v_lshrrev_b32_e32 v42, 3, v43
	s_mov_b32 s42, exec_lo
	v_cmpx_gt_u32_e32 8, v43
; %bb.50:                               ;   in Loop: Header=BB389_10 Depth=1
	s_delay_alu instid0(VALU_DEP_3) | instskip(NEXT) | instid1(VALU_DEP_1)
	v_clz_i32_u32_e32 v42, v1
	v_min_u32_e32 v42, 32, v42
	s_delay_alu instid0(VALU_DEP_1) | instskip(SKIP_1) | instid1(VALU_DEP_2)
	v_subrev_nc_u32_e32 v43, 28, v42
	v_sub_nc_u32_e32 v42, 29, v42
	v_lshlrev_b64 v[43:44], v43, v[1:2]
	s_delay_alu instid0(VALU_DEP_1)
	v_and_b32_e32 v1, 7, v43
; %bb.51:                               ;   in Loop: Header=BB389_10 Depth=1
	s_or_b32 exec_lo, exec_lo, s42
	v_lshlrev_b32_e32 v41, 16, v41
	s_delay_alu instid0(VALU_DEP_2) | instskip(SKIP_1) | instid1(VALU_DEP_3)
	v_lshlrev_b32_e32 v1, 20, v1
	v_lshl_add_u32 v42, v42, 23, 0x3c000000
	v_and_b32_e32 v41, 0x80000000, v41
	s_delay_alu instid0(VALU_DEP_1)
	v_or3_b32 v1, v1, v41, v42
.LBB389_52:                             ;   in Loop: Header=BB389_10 Depth=1
	s_or_b32 exec_lo, exec_lo, s41
.LBB389_53:                             ;   in Loop: Header=BB389_10 Depth=1
	s_delay_alu instid0(SALU_CYCLE_1)
	s_or_b32 exec_lo, exec_lo, s40
.LBB389_54:                             ;   in Loop: Header=BB389_10 Depth=1
	s_delay_alu instid0(SALU_CYCLE_1) | instskip(NEXT) | instid1(VALU_DEP_1)
	s_or_b32 exec_lo, exec_lo, s4
	v_mul_f32_e32 v1, s6, v1
	s_delay_alu instid0(VALU_DEP_1) | instskip(NEXT) | instid1(VALU_DEP_1)
	v_and_b32_e32 v41, 0x7f800000, v1
	v_cmp_ne_u32_e64 s1, 0x7f800000, v41
                                        ; implicit-def: $vgpr41
	s_delay_alu instid0(VALU_DEP_1) | instskip(NEXT) | instid1(SALU_CYCLE_1)
	s_and_saveexec_b32 s4, s1
	s_xor_b32 s1, exec_lo, s4
; %bb.55:                               ;   in Loop: Header=BB389_10 Depth=1
	v_bfe_u32 v41, v1, 16, 1
	s_delay_alu instid0(VALU_DEP_1)
	v_add3_u32 v41, v1, v41, 0x7fff
                                        ; implicit-def: $vgpr1
; %bb.56:                               ;   in Loop: Header=BB389_10 Depth=1
	s_and_not1_saveexec_b32 s4, s1
; %bb.57:                               ;   in Loop: Header=BB389_10 Depth=1
	v_and_b32_e32 v41, 0xffff, v1
	v_or_b32_e32 v42, 0x10000, v1
	s_delay_alu instid0(VALU_DEP_2) | instskip(NEXT) | instid1(VALU_DEP_1)
	v_cmp_eq_u32_e64 s1, 0, v41
	v_cndmask_b32_e64 v41, v42, v1, s1
; %bb.58:                               ;   in Loop: Header=BB389_10 Depth=1
	s_or_b32 exec_lo, exec_lo, s4
	global_load_u16 v1, v[7:8], off offset:128
	s_mov_b32 s4, exec_lo
	s_waitcnt vmcnt(0)
	v_and_b32_e32 v42, 0xff, v1
	v_and_b32_e32 v43, 0xffff, v1
	v_mov_b32_e32 v1, 0
	s_delay_alu instid0(VALU_DEP_3)
	v_cmpx_ne_u16_e32 0, v42
	s_cbranch_execz .LBB389_66
; %bb.59:                               ;   in Loop: Header=BB389_10 Depth=1
	s_delay_alu instid0(VALU_DEP_3) | instskip(NEXT) | instid1(VALU_DEP_1)
	v_and_b32_e32 v1, 0xff, v43
	v_cmp_ne_u16_e64 s1, 0x80, v1
	v_bfrev_b32_e32 v1, 1
	s_delay_alu instid0(VALU_DEP_2)
	s_and_saveexec_b32 s40, s1
	s_cbranch_execz .LBB389_65
; %bb.60:                               ;   in Loop: Header=BB389_10 Depth=1
	v_and_b32_e32 v44, 0x7f, v43
	v_mov_b32_e32 v1, 0x7f800001
	s_mov_b32 s41, exec_lo
	s_delay_alu instid0(VALU_DEP_2)
	v_cmpx_ne_u32_e32 0x7f, v44
	s_cbranch_execz .LBB389_64
; %bb.61:                               ;   in Loop: Header=BB389_10 Depth=1
	v_and_b32_e32 v1, 7, v43
	v_lshrrev_b32_e32 v42, 3, v44
	s_mov_b32 s42, exec_lo
	v_cmpx_gt_u32_e32 8, v44
; %bb.62:                               ;   in Loop: Header=BB389_10 Depth=1
	s_delay_alu instid0(VALU_DEP_3) | instskip(NEXT) | instid1(VALU_DEP_1)
	v_clz_i32_u32_e32 v42, v1
	v_min_u32_e32 v42, 32, v42
	s_delay_alu instid0(VALU_DEP_1) | instskip(SKIP_1) | instid1(VALU_DEP_2)
	v_subrev_nc_u32_e32 v44, 28, v42
	v_sub_nc_u32_e32 v42, 29, v42
	v_lshlrev_b64 v[44:45], v44, v[1:2]
	s_delay_alu instid0(VALU_DEP_1)
	v_and_b32_e32 v1, 7, v44
; %bb.63:                               ;   in Loop: Header=BB389_10 Depth=1
	s_or_b32 exec_lo, exec_lo, s42
	v_lshlrev_b32_e32 v44, 24, v43
	s_delay_alu instid0(VALU_DEP_2) | instskip(SKIP_1) | instid1(VALU_DEP_3)
	v_lshlrev_b32_e32 v1, 20, v1
	v_lshl_add_u32 v42, v42, 23, 0x3c000000
	v_and_b32_e32 v44, 0x80000000, v44
	s_delay_alu instid0(VALU_DEP_1)
	v_or3_b32 v1, v1, v44, v42
.LBB389_64:                             ;   in Loop: Header=BB389_10 Depth=1
	s_or_b32 exec_lo, exec_lo, s41
.LBB389_65:                             ;   in Loop: Header=BB389_10 Depth=1
	s_delay_alu instid0(SALU_CYCLE_1)
	s_or_b32 exec_lo, exec_lo, s40
.LBB389_66:                             ;   in Loop: Header=BB389_10 Depth=1
	s_delay_alu instid0(SALU_CYCLE_1) | instskip(NEXT) | instid1(VALU_DEP_1)
	s_or_b32 exec_lo, exec_lo, s4
	v_mul_f32_e32 v1, s6, v1
	s_delay_alu instid0(VALU_DEP_1) | instskip(NEXT) | instid1(VALU_DEP_1)
	v_and_b32_e32 v42, 0x7f800000, v1
	v_cmp_ne_u32_e64 s1, 0x7f800000, v42
                                        ; implicit-def: $vgpr42
	s_delay_alu instid0(VALU_DEP_1) | instskip(NEXT) | instid1(SALU_CYCLE_1)
	s_and_saveexec_b32 s4, s1
	s_xor_b32 s1, exec_lo, s4
; %bb.67:                               ;   in Loop: Header=BB389_10 Depth=1
	v_bfe_u32 v42, v1, 16, 1
	s_delay_alu instid0(VALU_DEP_1)
	v_add3_u32 v42, v1, v42, 0x7fff
                                        ; implicit-def: $vgpr1
; %bb.68:                               ;   in Loop: Header=BB389_10 Depth=1
	s_and_not1_saveexec_b32 s4, s1
; %bb.69:                               ;   in Loop: Header=BB389_10 Depth=1
	v_and_b32_e32 v42, 0xffff, v1
	v_or_b32_e32 v44, 0x10000, v1
	s_delay_alu instid0(VALU_DEP_2) | instskip(NEXT) | instid1(VALU_DEP_1)
	v_cmp_eq_u32_e64 s1, 0, v42
	v_cndmask_b32_e64 v42, v44, v1, s1
; %bb.70:                               ;   in Loop: Header=BB389_10 Depth=1
	s_or_b32 exec_lo, exec_lo, s4
	v_lshrrev_b16 v44, 8, v43
	v_mov_b32_e32 v1, 0
	s_mov_b32 s4, exec_lo
	s_delay_alu instid0(VALU_DEP_2)
	v_cmpx_ne_u16_e32 0, v44
	s_cbranch_execz .LBB389_78
; %bb.71:                               ;   in Loop: Header=BB389_10 Depth=1
	v_bfrev_b32_e32 v1, 1
	s_mov_b32 s40, exec_lo
	v_cmpx_ne_u16_e32 0x80, v44
	s_cbranch_execz .LBB389_77
; %bb.72:                               ;   in Loop: Header=BB389_10 Depth=1
	v_and_b32_e32 v44, 0xffff, v44
	v_mov_b32_e32 v1, 0x7f800001
	s_mov_b32 s41, exec_lo
	s_delay_alu instid0(VALU_DEP_2) | instskip(NEXT) | instid1(VALU_DEP_1)
	v_and_b32_e32 v45, 0x7f, v44
	v_cmpx_ne_u32_e32 0x7f, v45
	s_cbranch_execz .LBB389_76
; %bb.73:                               ;   in Loop: Header=BB389_10 Depth=1
	v_and_b32_e32 v1, 7, v44
	v_lshrrev_b32_e32 v44, 3, v45
	s_mov_b32 s42, exec_lo
	v_cmpx_gt_u32_e32 8, v45
; %bb.74:                               ;   in Loop: Header=BB389_10 Depth=1
	s_delay_alu instid0(VALU_DEP_3) | instskip(NEXT) | instid1(VALU_DEP_1)
	v_clz_i32_u32_e32 v44, v1
	v_min_u32_e32 v44, 32, v44
	s_delay_alu instid0(VALU_DEP_1) | instskip(SKIP_1) | instid1(VALU_DEP_2)
	v_subrev_nc_u32_e32 v45, 28, v44
	v_sub_nc_u32_e32 v44, 29, v44
	v_lshlrev_b64 v[45:46], v45, v[1:2]
	s_delay_alu instid0(VALU_DEP_1)
	v_and_b32_e32 v1, 7, v45
; %bb.75:                               ;   in Loop: Header=BB389_10 Depth=1
	s_or_b32 exec_lo, exec_lo, s42
	v_lshlrev_b32_e32 v43, 16, v43
	s_delay_alu instid0(VALU_DEP_2) | instskip(SKIP_1) | instid1(VALU_DEP_3)
	v_lshlrev_b32_e32 v1, 20, v1
	v_lshl_add_u32 v44, v44, 23, 0x3c000000
	v_and_b32_e32 v43, 0x80000000, v43
	s_delay_alu instid0(VALU_DEP_1)
	v_or3_b32 v1, v1, v43, v44
.LBB389_76:                             ;   in Loop: Header=BB389_10 Depth=1
	s_or_b32 exec_lo, exec_lo, s41
.LBB389_77:                             ;   in Loop: Header=BB389_10 Depth=1
	s_delay_alu instid0(SALU_CYCLE_1)
	s_or_b32 exec_lo, exec_lo, s40
.LBB389_78:                             ;   in Loop: Header=BB389_10 Depth=1
	s_delay_alu instid0(SALU_CYCLE_1) | instskip(NEXT) | instid1(VALU_DEP_1)
	s_or_b32 exec_lo, exec_lo, s4
	v_mul_f32_e32 v1, s6, v1
	s_delay_alu instid0(VALU_DEP_1) | instskip(NEXT) | instid1(VALU_DEP_1)
	v_and_b32_e32 v43, 0x7f800000, v1
	v_cmp_ne_u32_e64 s1, 0x7f800000, v43
                                        ; implicit-def: $vgpr43
	s_delay_alu instid0(VALU_DEP_1) | instskip(NEXT) | instid1(SALU_CYCLE_1)
	s_and_saveexec_b32 s4, s1
	s_xor_b32 s1, exec_lo, s4
; %bb.79:                               ;   in Loop: Header=BB389_10 Depth=1
	v_bfe_u32 v43, v1, 16, 1
	s_delay_alu instid0(VALU_DEP_1)
	v_add3_u32 v43, v1, v43, 0x7fff
                                        ; implicit-def: $vgpr1
; %bb.80:                               ;   in Loop: Header=BB389_10 Depth=1
	s_and_not1_saveexec_b32 s4, s1
; %bb.81:                               ;   in Loop: Header=BB389_10 Depth=1
	v_and_b32_e32 v43, 0xffff, v1
	v_or_b32_e32 v44, 0x10000, v1
	s_delay_alu instid0(VALU_DEP_2) | instskip(NEXT) | instid1(VALU_DEP_1)
	v_cmp_eq_u32_e64 s1, 0, v43
	v_cndmask_b32_e64 v43, v44, v1, s1
; %bb.82:                               ;   in Loop: Header=BB389_10 Depth=1
	s_or_b32 exec_lo, exec_lo, s4
	global_load_u16 v1, v[7:8], off offset:136
	s_mov_b32 s4, exec_lo
	s_waitcnt vmcnt(0)
	v_and_b32_e32 v44, 0xff, v1
	v_and_b32_e32 v45, 0xffff, v1
	v_mov_b32_e32 v1, 0
	s_delay_alu instid0(VALU_DEP_3)
	v_cmpx_ne_u16_e32 0, v44
	s_cbranch_execz .LBB389_90
; %bb.83:                               ;   in Loop: Header=BB389_10 Depth=1
	s_delay_alu instid0(VALU_DEP_3) | instskip(NEXT) | instid1(VALU_DEP_1)
	v_and_b32_e32 v1, 0xff, v45
	v_cmp_ne_u16_e64 s1, 0x80, v1
	v_bfrev_b32_e32 v1, 1
	s_delay_alu instid0(VALU_DEP_2)
	s_and_saveexec_b32 s40, s1
	s_cbranch_execz .LBB389_89
; %bb.84:                               ;   in Loop: Header=BB389_10 Depth=1
	v_and_b32_e32 v46, 0x7f, v45
	v_mov_b32_e32 v1, 0x7f800001
	s_mov_b32 s41, exec_lo
	s_delay_alu instid0(VALU_DEP_2)
	v_cmpx_ne_u32_e32 0x7f, v46
	s_cbranch_execz .LBB389_88
; %bb.85:                               ;   in Loop: Header=BB389_10 Depth=1
	v_and_b32_e32 v1, 7, v45
	v_lshrrev_b32_e32 v44, 3, v46
	s_mov_b32 s42, exec_lo
	v_cmpx_gt_u32_e32 8, v46
; %bb.86:                               ;   in Loop: Header=BB389_10 Depth=1
	s_delay_alu instid0(VALU_DEP_3) | instskip(NEXT) | instid1(VALU_DEP_1)
	v_clz_i32_u32_e32 v44, v1
	v_min_u32_e32 v44, 32, v44
	s_delay_alu instid0(VALU_DEP_1) | instskip(SKIP_1) | instid1(VALU_DEP_2)
	v_subrev_nc_u32_e32 v46, 28, v44
	v_sub_nc_u32_e32 v44, 29, v44
	v_lshlrev_b64 v[46:47], v46, v[1:2]
	s_delay_alu instid0(VALU_DEP_1)
	v_and_b32_e32 v1, 7, v46
; %bb.87:                               ;   in Loop: Header=BB389_10 Depth=1
	s_or_b32 exec_lo, exec_lo, s42
	v_lshlrev_b32_e32 v46, 24, v45
	s_delay_alu instid0(VALU_DEP_2) | instskip(SKIP_1) | instid1(VALU_DEP_3)
	v_lshlrev_b32_e32 v1, 20, v1
	v_lshl_add_u32 v44, v44, 23, 0x3c000000
	v_and_b32_e32 v46, 0x80000000, v46
	s_delay_alu instid0(VALU_DEP_1)
	v_or3_b32 v1, v1, v46, v44
.LBB389_88:                             ;   in Loop: Header=BB389_10 Depth=1
	s_or_b32 exec_lo, exec_lo, s41
.LBB389_89:                             ;   in Loop: Header=BB389_10 Depth=1
	s_delay_alu instid0(SALU_CYCLE_1)
	s_or_b32 exec_lo, exec_lo, s40
.LBB389_90:                             ;   in Loop: Header=BB389_10 Depth=1
	s_delay_alu instid0(SALU_CYCLE_1) | instskip(NEXT) | instid1(VALU_DEP_1)
	s_or_b32 exec_lo, exec_lo, s4
	v_mul_f32_e32 v1, s6, v1
	s_delay_alu instid0(VALU_DEP_1) | instskip(NEXT) | instid1(VALU_DEP_1)
	v_and_b32_e32 v44, 0x7f800000, v1
	v_cmp_ne_u32_e64 s1, 0x7f800000, v44
                                        ; implicit-def: $vgpr44
	s_delay_alu instid0(VALU_DEP_1) | instskip(NEXT) | instid1(SALU_CYCLE_1)
	s_and_saveexec_b32 s4, s1
	s_xor_b32 s1, exec_lo, s4
; %bb.91:                               ;   in Loop: Header=BB389_10 Depth=1
	v_bfe_u32 v44, v1, 16, 1
	s_delay_alu instid0(VALU_DEP_1)
	v_add3_u32 v44, v1, v44, 0x7fff
                                        ; implicit-def: $vgpr1
; %bb.92:                               ;   in Loop: Header=BB389_10 Depth=1
	s_and_not1_saveexec_b32 s4, s1
; %bb.93:                               ;   in Loop: Header=BB389_10 Depth=1
	v_and_b32_e32 v44, 0xffff, v1
	v_or_b32_e32 v46, 0x10000, v1
	s_delay_alu instid0(VALU_DEP_2) | instskip(NEXT) | instid1(VALU_DEP_1)
	v_cmp_eq_u32_e64 s1, 0, v44
	v_cndmask_b32_e64 v44, v46, v1, s1
; %bb.94:                               ;   in Loop: Header=BB389_10 Depth=1
	s_or_b32 exec_lo, exec_lo, s4
	v_lshrrev_b16 v46, 8, v45
	v_mov_b32_e32 v1, 0
	s_mov_b32 s4, exec_lo
	s_delay_alu instid0(VALU_DEP_2)
	v_cmpx_ne_u16_e32 0, v46
	s_cbranch_execz .LBB389_102
; %bb.95:                               ;   in Loop: Header=BB389_10 Depth=1
	v_bfrev_b32_e32 v1, 1
	s_mov_b32 s40, exec_lo
	v_cmpx_ne_u16_e32 0x80, v46
	s_cbranch_execz .LBB389_101
; %bb.96:                               ;   in Loop: Header=BB389_10 Depth=1
	v_and_b32_e32 v46, 0xffff, v46
	v_mov_b32_e32 v1, 0x7f800001
	s_mov_b32 s41, exec_lo
	s_delay_alu instid0(VALU_DEP_2) | instskip(NEXT) | instid1(VALU_DEP_1)
	v_and_b32_e32 v47, 0x7f, v46
	v_cmpx_ne_u32_e32 0x7f, v47
	s_cbranch_execz .LBB389_100
; %bb.97:                               ;   in Loop: Header=BB389_10 Depth=1
	v_and_b32_e32 v1, 7, v46
	v_lshrrev_b32_e32 v46, 3, v47
	s_mov_b32 s42, exec_lo
	v_cmpx_gt_u32_e32 8, v47
; %bb.98:                               ;   in Loop: Header=BB389_10 Depth=1
	s_delay_alu instid0(VALU_DEP_3) | instskip(NEXT) | instid1(VALU_DEP_1)
	v_clz_i32_u32_e32 v46, v1
	v_min_u32_e32 v46, 32, v46
	s_delay_alu instid0(VALU_DEP_1) | instskip(SKIP_1) | instid1(VALU_DEP_2)
	v_subrev_nc_u32_e32 v47, 28, v46
	v_sub_nc_u32_e32 v46, 29, v46
	v_lshlrev_b64 v[47:48], v47, v[1:2]
	s_delay_alu instid0(VALU_DEP_1)
	v_and_b32_e32 v1, 7, v47
; %bb.99:                               ;   in Loop: Header=BB389_10 Depth=1
	s_or_b32 exec_lo, exec_lo, s42
	v_lshlrev_b32_e32 v45, 16, v45
	s_delay_alu instid0(VALU_DEP_2) | instskip(SKIP_1) | instid1(VALU_DEP_3)
	v_lshlrev_b32_e32 v1, 20, v1
	v_lshl_add_u32 v46, v46, 23, 0x3c000000
	v_and_b32_e32 v45, 0x80000000, v45
	s_delay_alu instid0(VALU_DEP_1)
	v_or3_b32 v1, v1, v45, v46
.LBB389_100:                            ;   in Loop: Header=BB389_10 Depth=1
	s_or_b32 exec_lo, exec_lo, s41
.LBB389_101:                            ;   in Loop: Header=BB389_10 Depth=1
	s_delay_alu instid0(SALU_CYCLE_1)
	s_or_b32 exec_lo, exec_lo, s40
.LBB389_102:                            ;   in Loop: Header=BB389_10 Depth=1
	s_delay_alu instid0(SALU_CYCLE_1) | instskip(NEXT) | instid1(VALU_DEP_1)
	s_or_b32 exec_lo, exec_lo, s4
	v_mul_f32_e32 v1, s6, v1
	s_delay_alu instid0(VALU_DEP_1) | instskip(NEXT) | instid1(VALU_DEP_1)
	v_and_b32_e32 v45, 0x7f800000, v1
	v_cmp_ne_u32_e64 s1, 0x7f800000, v45
                                        ; implicit-def: $vgpr45
	s_delay_alu instid0(VALU_DEP_1) | instskip(NEXT) | instid1(SALU_CYCLE_1)
	s_and_saveexec_b32 s4, s1
	s_xor_b32 s1, exec_lo, s4
; %bb.103:                              ;   in Loop: Header=BB389_10 Depth=1
	v_bfe_u32 v45, v1, 16, 1
	s_delay_alu instid0(VALU_DEP_1)
	v_add3_u32 v45, v1, v45, 0x7fff
                                        ; implicit-def: $vgpr1
; %bb.104:                              ;   in Loop: Header=BB389_10 Depth=1
	s_and_not1_saveexec_b32 s4, s1
; %bb.105:                              ;   in Loop: Header=BB389_10 Depth=1
	v_and_b32_e32 v45, 0xffff, v1
	v_or_b32_e32 v46, 0x10000, v1
	s_delay_alu instid0(VALU_DEP_2) | instskip(NEXT) | instid1(VALU_DEP_1)
	v_cmp_eq_u32_e64 s1, 0, v45
	v_cndmask_b32_e64 v45, v46, v1, s1
; %bb.106:                              ;   in Loop: Header=BB389_10 Depth=1
	s_or_b32 exec_lo, exec_lo, s4
	global_load_u16 v1, v[7:8], off offset:256
	s_mov_b32 s4, exec_lo
	s_waitcnt vmcnt(0)
	v_and_b32_e32 v46, 0xff, v1
	v_and_b32_e32 v47, 0xffff, v1
	v_mov_b32_e32 v1, 0
	s_delay_alu instid0(VALU_DEP_3)
	v_cmpx_ne_u16_e32 0, v46
	s_cbranch_execz .LBB389_114
; %bb.107:                              ;   in Loop: Header=BB389_10 Depth=1
	s_delay_alu instid0(VALU_DEP_3) | instskip(NEXT) | instid1(VALU_DEP_1)
	v_and_b32_e32 v1, 0xff, v47
	v_cmp_ne_u16_e64 s1, 0x80, v1
	v_bfrev_b32_e32 v1, 1
	s_delay_alu instid0(VALU_DEP_2)
	s_and_saveexec_b32 s40, s1
	s_cbranch_execz .LBB389_113
; %bb.108:                              ;   in Loop: Header=BB389_10 Depth=1
	v_and_b32_e32 v48, 0x7f, v47
	v_mov_b32_e32 v1, 0x7f800001
	s_mov_b32 s41, exec_lo
	s_delay_alu instid0(VALU_DEP_2)
	v_cmpx_ne_u32_e32 0x7f, v48
	s_cbranch_execz .LBB389_112
; %bb.109:                              ;   in Loop: Header=BB389_10 Depth=1
	v_and_b32_e32 v1, 7, v47
	v_lshrrev_b32_e32 v46, 3, v48
	s_mov_b32 s42, exec_lo
	v_cmpx_gt_u32_e32 8, v48
; %bb.110:                              ;   in Loop: Header=BB389_10 Depth=1
	s_delay_alu instid0(VALU_DEP_3) | instskip(NEXT) | instid1(VALU_DEP_1)
	v_clz_i32_u32_e32 v46, v1
	v_min_u32_e32 v46, 32, v46
	s_delay_alu instid0(VALU_DEP_1) | instskip(SKIP_1) | instid1(VALU_DEP_2)
	v_subrev_nc_u32_e32 v48, 28, v46
	v_sub_nc_u32_e32 v46, 29, v46
	v_lshlrev_b64 v[48:49], v48, v[1:2]
	s_delay_alu instid0(VALU_DEP_1)
	v_and_b32_e32 v1, 7, v48
; %bb.111:                              ;   in Loop: Header=BB389_10 Depth=1
	s_or_b32 exec_lo, exec_lo, s42
	v_lshlrev_b32_e32 v48, 24, v47
	s_delay_alu instid0(VALU_DEP_2) | instskip(SKIP_1) | instid1(VALU_DEP_3)
	v_lshlrev_b32_e32 v1, 20, v1
	v_lshl_add_u32 v46, v46, 23, 0x3c000000
	v_and_b32_e32 v48, 0x80000000, v48
	s_delay_alu instid0(VALU_DEP_1)
	v_or3_b32 v1, v1, v48, v46
.LBB389_112:                            ;   in Loop: Header=BB389_10 Depth=1
	s_or_b32 exec_lo, exec_lo, s41
.LBB389_113:                            ;   in Loop: Header=BB389_10 Depth=1
	s_delay_alu instid0(SALU_CYCLE_1)
	s_or_b32 exec_lo, exec_lo, s40
.LBB389_114:                            ;   in Loop: Header=BB389_10 Depth=1
	s_delay_alu instid0(SALU_CYCLE_1) | instskip(NEXT) | instid1(VALU_DEP_1)
	s_or_b32 exec_lo, exec_lo, s4
	v_mul_f32_e32 v1, s6, v1
	s_delay_alu instid0(VALU_DEP_1) | instskip(NEXT) | instid1(VALU_DEP_1)
	v_and_b32_e32 v46, 0x7f800000, v1
	v_cmp_ne_u32_e64 s1, 0x7f800000, v46
                                        ; implicit-def: $vgpr46
	s_delay_alu instid0(VALU_DEP_1) | instskip(NEXT) | instid1(SALU_CYCLE_1)
	s_and_saveexec_b32 s4, s1
	s_xor_b32 s1, exec_lo, s4
; %bb.115:                              ;   in Loop: Header=BB389_10 Depth=1
	v_bfe_u32 v46, v1, 16, 1
	s_delay_alu instid0(VALU_DEP_1)
	v_add3_u32 v46, v1, v46, 0x7fff
                                        ; implicit-def: $vgpr1
; %bb.116:                              ;   in Loop: Header=BB389_10 Depth=1
	s_and_not1_saveexec_b32 s4, s1
; %bb.117:                              ;   in Loop: Header=BB389_10 Depth=1
	v_and_b32_e32 v46, 0xffff, v1
	v_or_b32_e32 v48, 0x10000, v1
	s_delay_alu instid0(VALU_DEP_2) | instskip(NEXT) | instid1(VALU_DEP_1)
	v_cmp_eq_u32_e64 s1, 0, v46
	v_cndmask_b32_e64 v46, v48, v1, s1
; %bb.118:                              ;   in Loop: Header=BB389_10 Depth=1
	s_or_b32 exec_lo, exec_lo, s4
	v_lshrrev_b16 v48, 8, v47
	v_mov_b32_e32 v1, 0
	s_mov_b32 s4, exec_lo
	s_delay_alu instid0(VALU_DEP_2)
	v_cmpx_ne_u16_e32 0, v48
	s_cbranch_execz .LBB389_126
; %bb.119:                              ;   in Loop: Header=BB389_10 Depth=1
	v_bfrev_b32_e32 v1, 1
	s_mov_b32 s40, exec_lo
	v_cmpx_ne_u16_e32 0x80, v48
	s_cbranch_execz .LBB389_125
; %bb.120:                              ;   in Loop: Header=BB389_10 Depth=1
	v_and_b32_e32 v48, 0xffff, v48
	v_mov_b32_e32 v1, 0x7f800001
	s_mov_b32 s41, exec_lo
	s_delay_alu instid0(VALU_DEP_2) | instskip(NEXT) | instid1(VALU_DEP_1)
	v_and_b32_e32 v49, 0x7f, v48
	v_cmpx_ne_u32_e32 0x7f, v49
	s_cbranch_execz .LBB389_124
; %bb.121:                              ;   in Loop: Header=BB389_10 Depth=1
	v_and_b32_e32 v1, 7, v48
	v_lshrrev_b32_e32 v48, 3, v49
	s_mov_b32 s42, exec_lo
	v_cmpx_gt_u32_e32 8, v49
; %bb.122:                              ;   in Loop: Header=BB389_10 Depth=1
	s_delay_alu instid0(VALU_DEP_3) | instskip(NEXT) | instid1(VALU_DEP_1)
	v_clz_i32_u32_e32 v48, v1
	v_min_u32_e32 v48, 32, v48
	s_delay_alu instid0(VALU_DEP_1) | instskip(SKIP_1) | instid1(VALU_DEP_2)
	v_subrev_nc_u32_e32 v49, 28, v48
	v_sub_nc_u32_e32 v48, 29, v48
	v_lshlrev_b64 v[49:50], v49, v[1:2]
	s_delay_alu instid0(VALU_DEP_1)
	v_and_b32_e32 v1, 7, v49
; %bb.123:                              ;   in Loop: Header=BB389_10 Depth=1
	s_or_b32 exec_lo, exec_lo, s42
	v_lshlrev_b32_e32 v47, 16, v47
	s_delay_alu instid0(VALU_DEP_2) | instskip(SKIP_1) | instid1(VALU_DEP_3)
	v_lshlrev_b32_e32 v1, 20, v1
	v_lshl_add_u32 v48, v48, 23, 0x3c000000
	v_and_b32_e32 v47, 0x80000000, v47
	s_delay_alu instid0(VALU_DEP_1)
	v_or3_b32 v1, v1, v47, v48
.LBB389_124:                            ;   in Loop: Header=BB389_10 Depth=1
	s_or_b32 exec_lo, exec_lo, s41
.LBB389_125:                            ;   in Loop: Header=BB389_10 Depth=1
	s_delay_alu instid0(SALU_CYCLE_1)
	s_or_b32 exec_lo, exec_lo, s40
.LBB389_126:                            ;   in Loop: Header=BB389_10 Depth=1
	s_delay_alu instid0(SALU_CYCLE_1) | instskip(NEXT) | instid1(VALU_DEP_1)
	s_or_b32 exec_lo, exec_lo, s4
	v_mul_f32_e32 v1, s6, v1
	s_delay_alu instid0(VALU_DEP_1) | instskip(NEXT) | instid1(VALU_DEP_1)
	v_and_b32_e32 v47, 0x7f800000, v1
	v_cmp_ne_u32_e64 s1, 0x7f800000, v47
                                        ; implicit-def: $vgpr47
	s_delay_alu instid0(VALU_DEP_1) | instskip(NEXT) | instid1(SALU_CYCLE_1)
	s_and_saveexec_b32 s4, s1
	s_xor_b32 s1, exec_lo, s4
; %bb.127:                              ;   in Loop: Header=BB389_10 Depth=1
	v_bfe_u32 v47, v1, 16, 1
	s_delay_alu instid0(VALU_DEP_1)
	v_add3_u32 v47, v1, v47, 0x7fff
                                        ; implicit-def: $vgpr1
; %bb.128:                              ;   in Loop: Header=BB389_10 Depth=1
	s_and_not1_saveexec_b32 s4, s1
; %bb.129:                              ;   in Loop: Header=BB389_10 Depth=1
	v_and_b32_e32 v47, 0xffff, v1
	v_or_b32_e32 v48, 0x10000, v1
	s_delay_alu instid0(VALU_DEP_2) | instskip(NEXT) | instid1(VALU_DEP_1)
	v_cmp_eq_u32_e64 s1, 0, v47
	v_cndmask_b32_e64 v47, v48, v1, s1
; %bb.130:                              ;   in Loop: Header=BB389_10 Depth=1
	s_or_b32 exec_lo, exec_lo, s4
	global_load_u16 v1, v[7:8], off offset:264
	s_mov_b32 s4, exec_lo
	s_waitcnt vmcnt(0)
	v_and_b32_e32 v48, 0xff, v1
	v_and_b32_e32 v49, 0xffff, v1
	v_mov_b32_e32 v1, 0
	s_delay_alu instid0(VALU_DEP_3)
	v_cmpx_ne_u16_e32 0, v48
	s_cbranch_execz .LBB389_138
; %bb.131:                              ;   in Loop: Header=BB389_10 Depth=1
	s_delay_alu instid0(VALU_DEP_3) | instskip(NEXT) | instid1(VALU_DEP_1)
	v_and_b32_e32 v1, 0xff, v49
	v_cmp_ne_u16_e64 s1, 0x80, v1
	v_bfrev_b32_e32 v1, 1
	s_delay_alu instid0(VALU_DEP_2)
	s_and_saveexec_b32 s40, s1
	s_cbranch_execz .LBB389_137
; %bb.132:                              ;   in Loop: Header=BB389_10 Depth=1
	v_and_b32_e32 v50, 0x7f, v49
	v_mov_b32_e32 v1, 0x7f800001
	s_mov_b32 s41, exec_lo
	s_delay_alu instid0(VALU_DEP_2)
	v_cmpx_ne_u32_e32 0x7f, v50
	s_cbranch_execz .LBB389_136
; %bb.133:                              ;   in Loop: Header=BB389_10 Depth=1
	v_and_b32_e32 v1, 7, v49
	v_lshrrev_b32_e32 v48, 3, v50
	s_mov_b32 s42, exec_lo
	v_cmpx_gt_u32_e32 8, v50
; %bb.134:                              ;   in Loop: Header=BB389_10 Depth=1
	s_delay_alu instid0(VALU_DEP_3) | instskip(NEXT) | instid1(VALU_DEP_1)
	v_clz_i32_u32_e32 v48, v1
	v_min_u32_e32 v48, 32, v48
	s_delay_alu instid0(VALU_DEP_1) | instskip(SKIP_1) | instid1(VALU_DEP_2)
	v_subrev_nc_u32_e32 v50, 28, v48
	v_sub_nc_u32_e32 v48, 29, v48
	v_lshlrev_b64 v[50:51], v50, v[1:2]
	s_delay_alu instid0(VALU_DEP_1)
	v_and_b32_e32 v1, 7, v50
; %bb.135:                              ;   in Loop: Header=BB389_10 Depth=1
	s_or_b32 exec_lo, exec_lo, s42
	v_lshlrev_b32_e32 v50, 24, v49
	s_delay_alu instid0(VALU_DEP_2) | instskip(SKIP_1) | instid1(VALU_DEP_3)
	v_lshlrev_b32_e32 v1, 20, v1
	v_lshl_add_u32 v48, v48, 23, 0x3c000000
	v_and_b32_e32 v50, 0x80000000, v50
	s_delay_alu instid0(VALU_DEP_1)
	v_or3_b32 v1, v1, v50, v48
.LBB389_136:                            ;   in Loop: Header=BB389_10 Depth=1
	s_or_b32 exec_lo, exec_lo, s41
.LBB389_137:                            ;   in Loop: Header=BB389_10 Depth=1
	s_delay_alu instid0(SALU_CYCLE_1)
	s_or_b32 exec_lo, exec_lo, s40
.LBB389_138:                            ;   in Loop: Header=BB389_10 Depth=1
	s_delay_alu instid0(SALU_CYCLE_1) | instskip(NEXT) | instid1(VALU_DEP_1)
	s_or_b32 exec_lo, exec_lo, s4
	v_mul_f32_e32 v1, s6, v1
	s_delay_alu instid0(VALU_DEP_1) | instskip(NEXT) | instid1(VALU_DEP_1)
	v_and_b32_e32 v48, 0x7f800000, v1
	v_cmp_ne_u32_e64 s1, 0x7f800000, v48
                                        ; implicit-def: $vgpr48
	s_delay_alu instid0(VALU_DEP_1) | instskip(NEXT) | instid1(SALU_CYCLE_1)
	s_and_saveexec_b32 s4, s1
	s_xor_b32 s1, exec_lo, s4
; %bb.139:                              ;   in Loop: Header=BB389_10 Depth=1
	v_bfe_u32 v48, v1, 16, 1
	s_delay_alu instid0(VALU_DEP_1)
	v_add3_u32 v48, v1, v48, 0x7fff
                                        ; implicit-def: $vgpr1
; %bb.140:                              ;   in Loop: Header=BB389_10 Depth=1
	s_and_not1_saveexec_b32 s4, s1
; %bb.141:                              ;   in Loop: Header=BB389_10 Depth=1
	v_and_b32_e32 v48, 0xffff, v1
	v_or_b32_e32 v50, 0x10000, v1
	s_delay_alu instid0(VALU_DEP_2) | instskip(NEXT) | instid1(VALU_DEP_1)
	v_cmp_eq_u32_e64 s1, 0, v48
	v_cndmask_b32_e64 v48, v50, v1, s1
; %bb.142:                              ;   in Loop: Header=BB389_10 Depth=1
	s_or_b32 exec_lo, exec_lo, s4
	v_lshrrev_b16 v50, 8, v49
	v_mov_b32_e32 v1, 0
	s_mov_b32 s4, exec_lo
	s_delay_alu instid0(VALU_DEP_2)
	v_cmpx_ne_u16_e32 0, v50
	s_cbranch_execz .LBB389_150
; %bb.143:                              ;   in Loop: Header=BB389_10 Depth=1
	v_bfrev_b32_e32 v1, 1
	s_mov_b32 s40, exec_lo
	v_cmpx_ne_u16_e32 0x80, v50
	s_cbranch_execz .LBB389_149
; %bb.144:                              ;   in Loop: Header=BB389_10 Depth=1
	v_and_b32_e32 v50, 0xffff, v50
	v_mov_b32_e32 v1, 0x7f800001
	s_mov_b32 s41, exec_lo
	s_delay_alu instid0(VALU_DEP_2) | instskip(NEXT) | instid1(VALU_DEP_1)
	v_and_b32_e32 v51, 0x7f, v50
	v_cmpx_ne_u32_e32 0x7f, v51
	s_cbranch_execz .LBB389_148
; %bb.145:                              ;   in Loop: Header=BB389_10 Depth=1
	v_and_b32_e32 v1, 7, v50
	v_lshrrev_b32_e32 v50, 3, v51
	s_mov_b32 s42, exec_lo
	v_cmpx_gt_u32_e32 8, v51
; %bb.146:                              ;   in Loop: Header=BB389_10 Depth=1
	s_delay_alu instid0(VALU_DEP_3) | instskip(NEXT) | instid1(VALU_DEP_1)
	v_clz_i32_u32_e32 v50, v1
	v_min_u32_e32 v50, 32, v50
	s_delay_alu instid0(VALU_DEP_1) | instskip(SKIP_1) | instid1(VALU_DEP_2)
	v_subrev_nc_u32_e32 v51, 28, v50
	v_sub_nc_u32_e32 v50, 29, v50
	v_lshlrev_b64 v[51:52], v51, v[1:2]
	s_delay_alu instid0(VALU_DEP_1)
	v_and_b32_e32 v1, 7, v51
; %bb.147:                              ;   in Loop: Header=BB389_10 Depth=1
	s_or_b32 exec_lo, exec_lo, s42
	v_lshlrev_b32_e32 v49, 16, v49
	s_delay_alu instid0(VALU_DEP_2) | instskip(SKIP_1) | instid1(VALU_DEP_3)
	v_lshlrev_b32_e32 v1, 20, v1
	v_lshl_add_u32 v50, v50, 23, 0x3c000000
	v_and_b32_e32 v49, 0x80000000, v49
	s_delay_alu instid0(VALU_DEP_1)
	v_or3_b32 v1, v1, v49, v50
.LBB389_148:                            ;   in Loop: Header=BB389_10 Depth=1
	s_or_b32 exec_lo, exec_lo, s41
.LBB389_149:                            ;   in Loop: Header=BB389_10 Depth=1
	s_delay_alu instid0(SALU_CYCLE_1)
	s_or_b32 exec_lo, exec_lo, s40
.LBB389_150:                            ;   in Loop: Header=BB389_10 Depth=1
	s_delay_alu instid0(SALU_CYCLE_1) | instskip(NEXT) | instid1(VALU_DEP_1)
	s_or_b32 exec_lo, exec_lo, s4
	v_mul_f32_e32 v1, s6, v1
	s_delay_alu instid0(VALU_DEP_1) | instskip(NEXT) | instid1(VALU_DEP_1)
	v_and_b32_e32 v49, 0x7f800000, v1
	v_cmp_ne_u32_e64 s1, 0x7f800000, v49
                                        ; implicit-def: $vgpr49
	s_delay_alu instid0(VALU_DEP_1) | instskip(NEXT) | instid1(SALU_CYCLE_1)
	s_and_saveexec_b32 s4, s1
	s_xor_b32 s1, exec_lo, s4
; %bb.151:                              ;   in Loop: Header=BB389_10 Depth=1
	v_bfe_u32 v49, v1, 16, 1
	s_delay_alu instid0(VALU_DEP_1)
	v_add3_u32 v49, v1, v49, 0x7fff
                                        ; implicit-def: $vgpr1
; %bb.152:                              ;   in Loop: Header=BB389_10 Depth=1
	s_and_not1_saveexec_b32 s4, s1
; %bb.153:                              ;   in Loop: Header=BB389_10 Depth=1
	v_and_b32_e32 v49, 0xffff, v1
	v_or_b32_e32 v50, 0x10000, v1
	s_delay_alu instid0(VALU_DEP_2) | instskip(NEXT) | instid1(VALU_DEP_1)
	v_cmp_eq_u32_e64 s1, 0, v49
	v_cndmask_b32_e64 v49, v50, v1, s1
; %bb.154:                              ;   in Loop: Header=BB389_10 Depth=1
	s_or_b32 exec_lo, exec_lo, s4
	global_load_u16 v1, v[7:8], off offset:384
	s_mov_b32 s4, exec_lo
	s_waitcnt vmcnt(0)
	v_and_b32_e32 v50, 0xff, v1
	v_and_b32_e32 v51, 0xffff, v1
	v_mov_b32_e32 v1, 0
	s_delay_alu instid0(VALU_DEP_3)
	v_cmpx_ne_u16_e32 0, v50
	s_cbranch_execz .LBB389_162
; %bb.155:                              ;   in Loop: Header=BB389_10 Depth=1
	s_delay_alu instid0(VALU_DEP_3) | instskip(NEXT) | instid1(VALU_DEP_1)
	v_and_b32_e32 v1, 0xff, v51
	v_cmp_ne_u16_e64 s1, 0x80, v1
	v_bfrev_b32_e32 v1, 1
	s_delay_alu instid0(VALU_DEP_2)
	s_and_saveexec_b32 s40, s1
	s_cbranch_execz .LBB389_161
; %bb.156:                              ;   in Loop: Header=BB389_10 Depth=1
	v_and_b32_e32 v52, 0x7f, v51
	v_mov_b32_e32 v1, 0x7f800001
	s_mov_b32 s41, exec_lo
	s_delay_alu instid0(VALU_DEP_2)
	v_cmpx_ne_u32_e32 0x7f, v52
	s_cbranch_execz .LBB389_160
; %bb.157:                              ;   in Loop: Header=BB389_10 Depth=1
	v_and_b32_e32 v1, 7, v51
	v_lshrrev_b32_e32 v50, 3, v52
	s_mov_b32 s42, exec_lo
	v_cmpx_gt_u32_e32 8, v52
; %bb.158:                              ;   in Loop: Header=BB389_10 Depth=1
	s_delay_alu instid0(VALU_DEP_3) | instskip(NEXT) | instid1(VALU_DEP_1)
	v_clz_i32_u32_e32 v50, v1
	v_min_u32_e32 v50, 32, v50
	s_delay_alu instid0(VALU_DEP_1) | instskip(SKIP_1) | instid1(VALU_DEP_2)
	v_subrev_nc_u32_e32 v52, 28, v50
	v_sub_nc_u32_e32 v50, 29, v50
	v_lshlrev_b64 v[52:53], v52, v[1:2]
	s_delay_alu instid0(VALU_DEP_1)
	v_and_b32_e32 v1, 7, v52
; %bb.159:                              ;   in Loop: Header=BB389_10 Depth=1
	s_or_b32 exec_lo, exec_lo, s42
	v_lshlrev_b32_e32 v52, 24, v51
	s_delay_alu instid0(VALU_DEP_2) | instskip(SKIP_1) | instid1(VALU_DEP_3)
	v_lshlrev_b32_e32 v1, 20, v1
	v_lshl_add_u32 v50, v50, 23, 0x3c000000
	v_and_b32_e32 v52, 0x80000000, v52
	s_delay_alu instid0(VALU_DEP_1)
	v_or3_b32 v1, v1, v52, v50
.LBB389_160:                            ;   in Loop: Header=BB389_10 Depth=1
	s_or_b32 exec_lo, exec_lo, s41
.LBB389_161:                            ;   in Loop: Header=BB389_10 Depth=1
	s_delay_alu instid0(SALU_CYCLE_1)
	s_or_b32 exec_lo, exec_lo, s40
.LBB389_162:                            ;   in Loop: Header=BB389_10 Depth=1
	s_delay_alu instid0(SALU_CYCLE_1) | instskip(NEXT) | instid1(VALU_DEP_1)
	s_or_b32 exec_lo, exec_lo, s4
	v_mul_f32_e32 v1, s6, v1
	s_delay_alu instid0(VALU_DEP_1) | instskip(NEXT) | instid1(VALU_DEP_1)
	v_and_b32_e32 v50, 0x7f800000, v1
	v_cmp_ne_u32_e64 s1, 0x7f800000, v50
                                        ; implicit-def: $vgpr50
	s_delay_alu instid0(VALU_DEP_1) | instskip(NEXT) | instid1(SALU_CYCLE_1)
	s_and_saveexec_b32 s4, s1
	s_xor_b32 s1, exec_lo, s4
; %bb.163:                              ;   in Loop: Header=BB389_10 Depth=1
	v_bfe_u32 v50, v1, 16, 1
	s_delay_alu instid0(VALU_DEP_1)
	v_add3_u32 v50, v1, v50, 0x7fff
                                        ; implicit-def: $vgpr1
; %bb.164:                              ;   in Loop: Header=BB389_10 Depth=1
	s_and_not1_saveexec_b32 s4, s1
; %bb.165:                              ;   in Loop: Header=BB389_10 Depth=1
	v_and_b32_e32 v50, 0xffff, v1
	v_or_b32_e32 v52, 0x10000, v1
	s_delay_alu instid0(VALU_DEP_2) | instskip(NEXT) | instid1(VALU_DEP_1)
	v_cmp_eq_u32_e64 s1, 0, v50
	v_cndmask_b32_e64 v50, v52, v1, s1
; %bb.166:                              ;   in Loop: Header=BB389_10 Depth=1
	s_or_b32 exec_lo, exec_lo, s4
	v_lshrrev_b16 v52, 8, v51
	v_mov_b32_e32 v1, 0
	s_mov_b32 s4, exec_lo
	s_delay_alu instid0(VALU_DEP_2)
	v_cmpx_ne_u16_e32 0, v52
	s_cbranch_execz .LBB389_174
; %bb.167:                              ;   in Loop: Header=BB389_10 Depth=1
	v_bfrev_b32_e32 v1, 1
	s_mov_b32 s40, exec_lo
	v_cmpx_ne_u16_e32 0x80, v52
	s_cbranch_execz .LBB389_173
; %bb.168:                              ;   in Loop: Header=BB389_10 Depth=1
	v_and_b32_e32 v52, 0xffff, v52
	v_mov_b32_e32 v1, 0x7f800001
	s_mov_b32 s41, exec_lo
	s_delay_alu instid0(VALU_DEP_2) | instskip(NEXT) | instid1(VALU_DEP_1)
	v_and_b32_e32 v53, 0x7f, v52
	v_cmpx_ne_u32_e32 0x7f, v53
	s_cbranch_execz .LBB389_172
; %bb.169:                              ;   in Loop: Header=BB389_10 Depth=1
	v_and_b32_e32 v1, 7, v52
	v_lshrrev_b32_e32 v52, 3, v53
	s_mov_b32 s42, exec_lo
	v_cmpx_gt_u32_e32 8, v53
; %bb.170:                              ;   in Loop: Header=BB389_10 Depth=1
	s_delay_alu instid0(VALU_DEP_3) | instskip(NEXT) | instid1(VALU_DEP_1)
	v_clz_i32_u32_e32 v52, v1
	v_min_u32_e32 v52, 32, v52
	s_delay_alu instid0(VALU_DEP_1) | instskip(SKIP_1) | instid1(VALU_DEP_2)
	v_subrev_nc_u32_e32 v53, 28, v52
	v_sub_nc_u32_e32 v52, 29, v52
	v_lshlrev_b64 v[53:54], v53, v[1:2]
	s_delay_alu instid0(VALU_DEP_1)
	v_and_b32_e32 v1, 7, v53
; %bb.171:                              ;   in Loop: Header=BB389_10 Depth=1
	s_or_b32 exec_lo, exec_lo, s42
	v_lshlrev_b32_e32 v51, 16, v51
	s_delay_alu instid0(VALU_DEP_2) | instskip(SKIP_1) | instid1(VALU_DEP_3)
	v_lshlrev_b32_e32 v1, 20, v1
	v_lshl_add_u32 v52, v52, 23, 0x3c000000
	v_and_b32_e32 v51, 0x80000000, v51
	s_delay_alu instid0(VALU_DEP_1)
	v_or3_b32 v1, v1, v51, v52
.LBB389_172:                            ;   in Loop: Header=BB389_10 Depth=1
	s_or_b32 exec_lo, exec_lo, s41
.LBB389_173:                            ;   in Loop: Header=BB389_10 Depth=1
	s_delay_alu instid0(SALU_CYCLE_1)
	s_or_b32 exec_lo, exec_lo, s40
.LBB389_174:                            ;   in Loop: Header=BB389_10 Depth=1
	s_delay_alu instid0(SALU_CYCLE_1) | instskip(NEXT) | instid1(VALU_DEP_1)
	s_or_b32 exec_lo, exec_lo, s4
	v_mul_f32_e32 v1, s6, v1
	s_delay_alu instid0(VALU_DEP_1) | instskip(NEXT) | instid1(VALU_DEP_1)
	v_and_b32_e32 v51, 0x7f800000, v1
	v_cmp_ne_u32_e64 s1, 0x7f800000, v51
                                        ; implicit-def: $vgpr51
	s_delay_alu instid0(VALU_DEP_1) | instskip(NEXT) | instid1(SALU_CYCLE_1)
	s_and_saveexec_b32 s4, s1
	s_xor_b32 s1, exec_lo, s4
; %bb.175:                              ;   in Loop: Header=BB389_10 Depth=1
	v_bfe_u32 v51, v1, 16, 1
	s_delay_alu instid0(VALU_DEP_1)
	v_add3_u32 v51, v1, v51, 0x7fff
                                        ; implicit-def: $vgpr1
; %bb.176:                              ;   in Loop: Header=BB389_10 Depth=1
	s_and_not1_saveexec_b32 s4, s1
; %bb.177:                              ;   in Loop: Header=BB389_10 Depth=1
	v_and_b32_e32 v51, 0xffff, v1
	v_or_b32_e32 v52, 0x10000, v1
	s_delay_alu instid0(VALU_DEP_2) | instskip(NEXT) | instid1(VALU_DEP_1)
	v_cmp_eq_u32_e64 s1, 0, v51
	v_cndmask_b32_e64 v51, v52, v1, s1
; %bb.178:                              ;   in Loop: Header=BB389_10 Depth=1
	s_or_b32 exec_lo, exec_lo, s4
	global_load_u16 v1, v[7:8], off offset:392
	s_mov_b32 s4, exec_lo
	s_waitcnt vmcnt(0)
	v_and_b32_e32 v7, 0xff, v1
	v_dual_mov_b32 v1, 0 :: v_dual_and_b32 v8, 0xffff, v1
	s_delay_alu instid0(VALU_DEP_2)
	v_cmpx_ne_u16_e32 0, v7
	s_cbranch_execz .LBB389_186
; %bb.179:                              ;   in Loop: Header=BB389_10 Depth=1
	s_delay_alu instid0(VALU_DEP_2) | instskip(NEXT) | instid1(VALU_DEP_1)
	v_and_b32_e32 v1, 0xff, v8
	v_cmp_ne_u16_e64 s1, 0x80, v1
	v_bfrev_b32_e32 v1, 1
	s_delay_alu instid0(VALU_DEP_2)
	s_and_saveexec_b32 s40, s1
	s_cbranch_execz .LBB389_185
; %bb.180:                              ;   in Loop: Header=BB389_10 Depth=1
	v_and_b32_e32 v52, 0x7f, v8
	v_mov_b32_e32 v1, 0x7f800001
	s_mov_b32 s41, exec_lo
	s_delay_alu instid0(VALU_DEP_2)
	v_cmpx_ne_u32_e32 0x7f, v52
	s_cbranch_execz .LBB389_184
; %bb.181:                              ;   in Loop: Header=BB389_10 Depth=1
	v_and_b32_e32 v1, 7, v8
	v_lshrrev_b32_e32 v7, 3, v52
	s_mov_b32 s42, exec_lo
	v_cmpx_gt_u32_e32 8, v52
; %bb.182:                              ;   in Loop: Header=BB389_10 Depth=1
	s_delay_alu instid0(VALU_DEP_3) | instskip(NEXT) | instid1(VALU_DEP_1)
	v_clz_i32_u32_e32 v7, v1
	v_min_u32_e32 v7, 32, v7
	s_delay_alu instid0(VALU_DEP_1) | instskip(SKIP_1) | instid1(VALU_DEP_2)
	v_subrev_nc_u32_e32 v52, 28, v7
	v_sub_nc_u32_e32 v7, 29, v7
	v_lshlrev_b64 v[52:53], v52, v[1:2]
	s_delay_alu instid0(VALU_DEP_1)
	v_and_b32_e32 v1, 7, v52
; %bb.183:                              ;   in Loop: Header=BB389_10 Depth=1
	s_or_b32 exec_lo, exec_lo, s42
	v_lshlrev_b32_e32 v52, 24, v8
	s_delay_alu instid0(VALU_DEP_2) | instskip(SKIP_1) | instid1(VALU_DEP_3)
	v_lshlrev_b32_e32 v1, 20, v1
	v_lshl_add_u32 v7, v7, 23, 0x3c000000
	v_and_b32_e32 v52, 0x80000000, v52
	s_delay_alu instid0(VALU_DEP_1)
	v_or3_b32 v1, v1, v52, v7
.LBB389_184:                            ;   in Loop: Header=BB389_10 Depth=1
	s_or_b32 exec_lo, exec_lo, s41
.LBB389_185:                            ;   in Loop: Header=BB389_10 Depth=1
	s_delay_alu instid0(SALU_CYCLE_1)
	s_or_b32 exec_lo, exec_lo, s40
.LBB389_186:                            ;   in Loop: Header=BB389_10 Depth=1
	s_delay_alu instid0(SALU_CYCLE_1) | instskip(NEXT) | instid1(VALU_DEP_1)
	s_or_b32 exec_lo, exec_lo, s4
	v_mul_f32_e32 v1, s6, v1
	s_delay_alu instid0(VALU_DEP_1) | instskip(NEXT) | instid1(VALU_DEP_1)
	v_and_b32_e32 v7, 0x7f800000, v1
	v_cmp_ne_u32_e64 s1, 0x7f800000, v7
                                        ; implicit-def: $vgpr7
	s_delay_alu instid0(VALU_DEP_1) | instskip(NEXT) | instid1(SALU_CYCLE_1)
	s_and_saveexec_b32 s4, s1
	s_xor_b32 s1, exec_lo, s4
; %bb.187:                              ;   in Loop: Header=BB389_10 Depth=1
	v_bfe_u32 v7, v1, 16, 1
	s_delay_alu instid0(VALU_DEP_1)
	v_add3_u32 v7, v1, v7, 0x7fff
                                        ; implicit-def: $vgpr1
; %bb.188:                              ;   in Loop: Header=BB389_10 Depth=1
	s_and_not1_saveexec_b32 s4, s1
; %bb.189:                              ;   in Loop: Header=BB389_10 Depth=1
	v_and_b32_e32 v7, 0xffff, v1
	v_or_b32_e32 v52, 0x10000, v1
	s_delay_alu instid0(VALU_DEP_2) | instskip(NEXT) | instid1(VALU_DEP_1)
	v_cmp_eq_u32_e64 s1, 0, v7
	v_cndmask_b32_e64 v7, v52, v1, s1
; %bb.190:                              ;   in Loop: Header=BB389_10 Depth=1
	s_or_b32 exec_lo, exec_lo, s4
	v_lshrrev_b16 v52, 8, v8
	v_mov_b32_e32 v1, 0
	s_mov_b32 s4, exec_lo
	s_delay_alu instid0(VALU_DEP_2)
	v_cmpx_ne_u16_e32 0, v52
	s_cbranch_execz .LBB389_198
; %bb.191:                              ;   in Loop: Header=BB389_10 Depth=1
	v_bfrev_b32_e32 v1, 1
	s_mov_b32 s40, exec_lo
	v_cmpx_ne_u16_e32 0x80, v52
	s_cbranch_execz .LBB389_197
; %bb.192:                              ;   in Loop: Header=BB389_10 Depth=1
	v_and_b32_e32 v52, 0xffff, v52
	v_mov_b32_e32 v1, 0x7f800001
	s_mov_b32 s41, exec_lo
	s_delay_alu instid0(VALU_DEP_2) | instskip(NEXT) | instid1(VALU_DEP_1)
	v_and_b32_e32 v53, 0x7f, v52
	v_cmpx_ne_u32_e32 0x7f, v53
	s_cbranch_execz .LBB389_196
; %bb.193:                              ;   in Loop: Header=BB389_10 Depth=1
	v_and_b32_e32 v1, 7, v52
	v_lshrrev_b32_e32 v52, 3, v53
	s_mov_b32 s42, exec_lo
	v_cmpx_gt_u32_e32 8, v53
; %bb.194:                              ;   in Loop: Header=BB389_10 Depth=1
	s_delay_alu instid0(VALU_DEP_3) | instskip(NEXT) | instid1(VALU_DEP_1)
	v_clz_i32_u32_e32 v52, v1
	v_min_u32_e32 v52, 32, v52
	s_delay_alu instid0(VALU_DEP_1) | instskip(SKIP_1) | instid1(VALU_DEP_2)
	v_subrev_nc_u32_e32 v53, 28, v52
	v_sub_nc_u32_e32 v52, 29, v52
	v_lshlrev_b64 v[53:54], v53, v[1:2]
	s_delay_alu instid0(VALU_DEP_1)
	v_and_b32_e32 v1, 7, v53
; %bb.195:                              ;   in Loop: Header=BB389_10 Depth=1
	s_or_b32 exec_lo, exec_lo, s42
	v_lshlrev_b32_e32 v8, 16, v8
	s_delay_alu instid0(VALU_DEP_2) | instskip(SKIP_1) | instid1(VALU_DEP_3)
	v_lshlrev_b32_e32 v1, 20, v1
	v_lshl_add_u32 v52, v52, 23, 0x3c000000
	v_and_b32_e32 v8, 0x80000000, v8
	s_delay_alu instid0(VALU_DEP_1)
	v_or3_b32 v1, v1, v8, v52
.LBB389_196:                            ;   in Loop: Header=BB389_10 Depth=1
	s_or_b32 exec_lo, exec_lo, s41
.LBB389_197:                            ;   in Loop: Header=BB389_10 Depth=1
	s_delay_alu instid0(SALU_CYCLE_1)
	s_or_b32 exec_lo, exec_lo, s40
.LBB389_198:                            ;   in Loop: Header=BB389_10 Depth=1
	s_delay_alu instid0(SALU_CYCLE_1) | instskip(NEXT) | instid1(VALU_DEP_1)
	s_or_b32 exec_lo, exec_lo, s4
	v_mul_f32_e32 v8, s6, v1
	s_delay_alu instid0(VALU_DEP_1) | instskip(NEXT) | instid1(VALU_DEP_1)
	v_and_b32_e32 v1, 0x7f800000, v8
	v_cmp_ne_u32_e64 s1, 0x7f800000, v1
                                        ; implicit-def: $vgpr1
	s_delay_alu instid0(VALU_DEP_1) | instskip(NEXT) | instid1(SALU_CYCLE_1)
	s_and_saveexec_b32 s4, s1
	s_xor_b32 s1, exec_lo, s4
; %bb.199:                              ;   in Loop: Header=BB389_10 Depth=1
	v_bfe_u32 v1, v8, 16, 1
	s_delay_alu instid0(VALU_DEP_1)
	v_add3_u32 v1, v8, v1, 0x7fff
                                        ; implicit-def: $vgpr8
; %bb.200:                              ;   in Loop: Header=BB389_10 Depth=1
	s_and_not1_saveexec_b32 s4, s1
; %bb.201:                              ;   in Loop: Header=BB389_10 Depth=1
	v_and_b32_e32 v1, 0xffff, v8
	v_or_b32_e32 v52, 0x10000, v8
	s_delay_alu instid0(VALU_DEP_2) | instskip(NEXT) | instid1(VALU_DEP_1)
	v_cmp_eq_u32_e64 s1, 0, v1
	v_cndmask_b32_e64 v1, v52, v8, s1
; %bb.202:                              ;   in Loop: Header=BB389_10 Depth=1
	s_or_b32 exec_lo, exec_lo, s4
	v_and_b32_e32 v8, 0xffff0000, v40
	v_and_b32_e32 v40, 0xffff0000, v41
	;; [unrolled: 1-line block ×5, first 2 shown]
	v_mul_f32_e32 v8, v17, v8
	v_dual_mul_f32 v40, v19, v40 :: v_dual_and_b32 v41, 0xffff0000, v43
	v_and_b32_e32 v1, 0xffff0000, v1
	s_delay_alu instid0(VALU_DEP_3) | instskip(NEXT) | instid1(VALU_DEP_3)
	v_dual_fmac_f32 v8, v15, v38 :: v_dual_and_b32 v7, 0xffff0000, v7
	v_dual_fmac_f32 v40, v16, v39 :: v_dual_and_b32 v39, 0xffff0000, v44
	v_and_b32_e32 v38, 0xffff0000, v45
	s_delay_alu instid0(VALU_DEP_3) | instskip(SKIP_1) | instid1(VALU_DEP_2)
	v_fmac_f32_e32 v8, v20, v42
	v_and_b32_e32 v42, 0xffff0000, v46
	v_dual_fmac_f32 v8, v22, v39 :: v_dual_and_b32 v39, 0xffff0000, v48
	v_dual_fmac_f32 v40, v21, v41 :: v_dual_and_b32 v41, 0xffff0000, v47
	s_delay_alu instid0(VALU_DEP_2) | instskip(SKIP_1) | instid1(VALU_DEP_3)
	v_fmac_f32_e32 v8, v24, v42
	v_and_b32_e32 v42, 0xffff0000, v50
	v_fmac_f32_e32 v40, v23, v38
	v_and_b32_e32 v38, 0xffff0000, v49
	s_delay_alu instid0(VALU_DEP_4) | instskip(NEXT) | instid1(VALU_DEP_3)
	v_fmac_f32_e32 v8, v26, v39
	v_dual_fmac_f32 v40, v25, v41 :: v_dual_and_b32 v41, 0xffff0000, v51
	s_delay_alu instid0(VALU_DEP_2) | instskip(NEXT) | instid1(VALU_DEP_2)
	v_fmac_f32_e32 v8, v28, v42
	v_fmac_f32_e32 v40, v27, v38
	s_delay_alu instid0(VALU_DEP_2) | instskip(NEXT) | instid1(VALU_DEP_2)
	v_fmac_f32_e32 v8, v30, v7
	v_fmac_f32_e32 v40, v29, v41
	s_delay_alu instid0(VALU_DEP_1) | instskip(NEXT) | instid1(VALU_DEP_1)
	v_fmac_f32_e32 v40, v32, v1
	v_add_f32_e32 v1, v8, v40
	ds_bpermute_b32 v7, v33, v1
	s_waitcnt lgkmcnt(0)
	v_add_f32_e32 v1, v1, v7
	ds_bpermute_b32 v7, v34, v1
	s_and_saveexec_b32 s4, vcc_lo
	s_cbranch_execz .LBB389_9
; %bb.203:                              ;   in Loop: Header=BB389_10 Depth=1
	s_waitcnt lgkmcnt(0)
	v_add_f32_e32 v1, v1, v7
	v_add_nc_u32_e32 v8, s8, v35
	v_cmp_gt_i32_e64 s1, s15, v35
	s_delay_alu instid0(VALU_DEP_2) | instskip(NEXT) | instid1(VALU_DEP_1)
	v_cvt_f32_i32_e32 v8, v8
	v_mul_f32_e32 v8, s38, v8
	s_delay_alu instid0(VALU_DEP_1) | instskip(NEXT) | instid1(VALU_DEP_1)
	v_cndmask_b32_e64 v7, 0, v8, s0
	v_dual_max_f32 v8, v31, v31 :: v_dual_fmac_f32 v7, s21, v1
	s_delay_alu instid0(VALU_DEP_1) | instskip(SKIP_1) | instid1(VALU_DEP_2)
	v_max_f32_e32 v1, v8, v7
	v_cndmask_b32_e64 v7, 0, v7, s1
	v_cndmask_b32_e64 v31, v31, v1, s1
	ds_store_b32 v36, v7
	s_branch .LBB389_9
.LBB389_204:
	s_or_b32 exec_lo, exec_lo, s9
.LBB389_205:
	s_delay_alu instid0(SALU_CYCLE_1) | instskip(SKIP_4) | instid1(VALU_DEP_4)
	s_or_b32 exec_lo, exec_lo, s7
	v_xor_b32_e32 v1, 16, v11
	v_xor_b32_e32 v3, 8, v11
	v_xor_b32_e32 v5, 4, v11
	v_and_b32_e32 v19, 31, v0
	v_cmp_lt_i32_e32 vcc_lo, v1, v13
	v_cndmask_b32_e32 v1, v11, v1, vcc_lo
	v_cmp_lt_i32_e32 vcc_lo, v3, v13
	s_delay_alu instid0(VALU_DEP_2)
	v_dual_cndmask_b32 v3, v11, v3 :: v_dual_lshlrev_b32 v2, 2, v1
	v_cmp_lt_i32_e32 vcc_lo, v5, v13
	ds_bpermute_b32 v1, v2, v31
	v_max_f32_e32 v4, v31, v31
	v_lshlrev_b32_e32 v3, 2, v3
	v_cndmask_b32_e32 v5, v11, v5, vcc_lo
	v_cmp_eq_u32_e32 vcc_lo, 0, v19
	s_delay_alu instid0(VALU_DEP_2) | instskip(SKIP_2) | instid1(VALU_DEP_1)
	v_lshlrev_b32_e32 v5, 2, v5
	s_waitcnt lgkmcnt(0)
	v_max_f32_e32 v1, v1, v1
	v_max_f32_e32 v1, v4, v1
	ds_bpermute_b32 v4, v3, v1
	s_waitcnt lgkmcnt(0)
	v_max_f32_e32 v4, v4, v4
	s_delay_alu instid0(VALU_DEP_1)
	v_dual_max_f32 v1, v1, v4 :: v_dual_lshlrev_b32 v4, 2, v18
	ds_bpermute_b32 v6, v5, v1
	s_and_saveexec_b32 s0, vcc_lo
	s_cbranch_execz .LBB389_207
; %bb.206:
	s_waitcnt lgkmcnt(0)
	v_dual_max_f32 v6, v6, v6 :: v_dual_max_f32 v1, v1, v1
	s_delay_alu instid0(VALU_DEP_1)
	v_max_f32_e32 v1, v1, v6
	ds_store_b32 v4, v1 offset:128
.LBB389_207:
	s_or_b32 exec_lo, exec_lo, s0
	v_cmp_gt_u32_e64 s0, 4, v19
	v_mov_b32_e32 v1, 0xff7fffff
	v_lshlrev_b32_e32 v21, 2, v19
	s_waitcnt lgkmcnt(0)
	s_barrier
	buffer_gl0_inv
	s_and_saveexec_b32 s1, s0
	s_cbranch_execz .LBB389_209
; %bb.208:
	ds_load_b32 v1, v21 offset:128
.LBB389_209:
	s_or_b32 exec_lo, exec_lo, s1
	v_xor_b32_e32 v6, 2, v11
	v_xor_b32_e32 v8, 1, v11
	v_lshl_add_u32 v20, v0, 2, 0xa0
	s_delay_alu instid0(VALU_DEP_3) | instskip(NEXT) | instid1(VALU_DEP_1)
	v_cmp_lt_i32_e64 s1, v6, v13
	v_cndmask_b32_e64 v6, v11, v6, s1
	s_delay_alu instid0(VALU_DEP_4) | instskip(NEXT) | instid1(VALU_DEP_2)
	v_cmp_lt_i32_e64 s1, v8, v13
	v_lshlrev_b32_e32 v6, 2, v6
	s_delay_alu instid0(VALU_DEP_2) | instskip(SKIP_2) | instid1(SALU_CYCLE_1)
	v_cndmask_b32_e64 v8, v11, v8, s1
	v_lshlrev_b32_e32 v11, 2, v11
	s_sub_i32 s1, s27, s20
	s_lshl_b32 s1, s1, 3
	s_waitcnt lgkmcnt(0)
	ds_bpermute_b32 v7, v6, v1
	v_max_f32_e32 v1, v1, v1
	s_add_i32 s1, s1, s33
	s_delay_alu instid0(SALU_CYCLE_1) | instskip(NEXT) | instid1(SALU_CYCLE_1)
	s_min_i32 s1, s1, s15
	s_sub_i32 s6, s1, s33
	s_delay_alu instid0(SALU_CYCLE_1) | instskip(SKIP_3) | instid1(VALU_DEP_2)
	v_cmp_gt_i32_e64 s1, s6, v0
	s_waitcnt lgkmcnt(0)
	v_max_f32_e32 v13, v7, v7
	v_lshlrev_b32_e32 v7, 2, v8
	v_max_f32_e32 v1, v1, v13
	ds_bpermute_b32 v8, v7, v1
	s_waitcnt lgkmcnt(0)
	v_max_f32_e32 v8, v8, v8
	s_delay_alu instid0(VALU_DEP_1)
	v_dual_max_f32 v1, v1, v8 :: v_dual_and_b32 v8, 0xffffff80, v11
	v_mov_b32_e32 v11, 0
	ds_bpermute_b32 v1, v8, v1
	s_and_saveexec_b32 s7, s1
	s_cbranch_execz .LBB389_213
; %bb.210:
	v_lshl_add_u32 v13, v0, 2, 0xa0
	v_dual_mov_b32 v11, 0 :: v_dual_mov_b32 v14, v0
	s_mov_b32 s8, 0
	.p2align	6
.LBB389_211:                            ; =>This Inner Loop Header: Depth=1
	ds_load_b32 v15, v13
	v_add_nc_u32_e32 v14, 0x80, v14
	s_delay_alu instid0(VALU_DEP_1) | instskip(NEXT) | instid1(VALU_DEP_1)
	v_cmp_le_i32_e64 s4, s6, v14
	s_or_b32 s8, s4, s8
	s_waitcnt lgkmcnt(0)
	v_sub_f32_e32 v15, v15, v1
	s_delay_alu instid0(VALU_DEP_1) | instskip(NEXT) | instid1(VALU_DEP_1)
	v_mul_f32_e32 v15, 0x3fb8aa3b, v15
	v_exp_f32_e32 v15, v15
	ds_store_b32 v13, v15
	v_add_f32_e32 v11, v11, v15
	v_add_nc_u32_e32 v13, 0x200, v13
	s_and_not1_b32 exec_lo, exec_lo, s8
	s_cbranch_execnz .LBB389_211
; %bb.212:
	s_or_b32 exec_lo, exec_lo, s8
.LBB389_213:
	s_delay_alu instid0(SALU_CYCLE_1)
	s_or_b32 exec_lo, exec_lo, s7
	ds_bpermute_b32 v2, v2, v11
	s_waitcnt lgkmcnt(0)
	v_add_f32_e32 v2, v11, v2
	ds_bpermute_b32 v3, v3, v2
	s_waitcnt lgkmcnt(0)
	v_add_f32_e32 v2, v2, v3
	;; [unrolled: 3-line block ×5, first 2 shown]
	s_and_saveexec_b32 s4, vcc_lo
	s_cbranch_execz .LBB389_215
; %bb.214:
	ds_store_b32 v4, v2 offset:144
.LBB389_215:
	s_or_b32 exec_lo, exec_lo, s4
	s_waitcnt lgkmcnt(0)
	s_barrier
	buffer_gl0_inv
	s_and_saveexec_b32 s4, s0
	s_cbranch_execz .LBB389_217
; %bb.216:
	ds_load_b32 v2, v21 offset:144
.LBB389_217:
	s_or_b32 exec_lo, exec_lo, s4
	s_waitcnt lgkmcnt(0)
	ds_bpermute_b32 v3, v6, v2
	s_waitcnt lgkmcnt(0)
	v_add_f32_e32 v2, v2, v3
	ds_bpermute_b32 v3, v7, v2
	s_waitcnt lgkmcnt(0)
	v_add_f32_e32 v2, v2, v3
	ds_bpermute_b32 v2, v8, v2
	s_and_saveexec_b32 s0, s1
	s_cbranch_execz .LBB389_220
; %bb.218:
	s_waitcnt lgkmcnt(0)
	v_add_f32_e32 v4, 0x358637bd, v2
	s_mov_b32 s1, 0
	s_delay_alu instid0(VALU_DEP_1) | instskip(NEXT) | instid1(VALU_DEP_1)
	v_div_scale_f32 v3, null, v4, v4, 1.0
	v_rcp_f32_e32 v5, v3
	s_waitcnt_depctr 0xfff
	v_fma_f32 v6, -v3, v5, 1.0
	s_delay_alu instid0(VALU_DEP_1) | instskip(SKIP_1) | instid1(VALU_DEP_1)
	v_fmac_f32_e32 v5, v6, v5
	v_div_scale_f32 v7, vcc_lo, 1.0, v4, 1.0
	v_mul_f32_e32 v6, v7, v5
	s_delay_alu instid0(VALU_DEP_1) | instskip(NEXT) | instid1(VALU_DEP_1)
	v_fma_f32 v8, -v3, v6, v7
	v_fmac_f32_e32 v6, v8, v5
	s_delay_alu instid0(VALU_DEP_1) | instskip(NEXT) | instid1(VALU_DEP_1)
	v_fma_f32 v3, -v3, v6, v7
	v_div_fmas_f32 v5, v3, v5, v6
	v_mov_b32_e32 v3, v20
	s_delay_alu instid0(VALU_DEP_2)
	v_div_fixup_f32 v4, v5, v4, 1.0
	v_mov_b32_e32 v5, v0
.LBB389_219:                            ; =>This Inner Loop Header: Depth=1
	ds_load_b32 v6, v3
	s_waitcnt lgkmcnt(0)
	v_dual_mul_f32 v6, v4, v6 :: v_dual_add_nc_u32 v5, 0x80, v5
	s_delay_alu instid0(VALU_DEP_1) | instskip(SKIP_3) | instid1(SALU_CYCLE_1)
	v_cmp_le_i32_e32 vcc_lo, s6, v5
	ds_store_b32 v3, v6
	v_add_nc_u32_e32 v3, 0x200, v3
	s_or_b32 s1, vcc_lo, s1
	s_and_not1_b32 exec_lo, exec_lo, s1
	s_cbranch_execnz .LBB389_219
.LBB389_220:
	s_or_b32 exec_lo, exec_lo, s0
	s_mul_i32 s0, s13, s14
	s_waitcnt lgkmcnt(0)
	s_mul_i32 s6, s0, s25
	s_mov_b32 s0, exec_lo
	s_barrier
	buffer_gl0_inv
	v_cmpx_eq_u32_e32 0, v0
	s_cbranch_execz .LBB389_222
; %bb.221:
	s_ashr_i32 s7, s6, 31
	s_mul_i32 s38, s13, s26
	s_lshl_b64 s[8:9], s[6:7], 2
	v_mov_b32_e32 v3, 0
	s_add_u32 s1, s18, s8
	s_addc_u32 s4, s19, s9
	s_ashr_i32 s39, s38, 31
	s_delay_alu instid0(SALU_CYCLE_1) | instskip(NEXT) | instid1(SALU_CYCLE_1)
	s_lshl_b64 s[18:19], s[38:39], 2
	s_add_u32 s1, s1, s18
	s_addc_u32 s4, s4, s19
	s_ashr_i32 s25, s24, 31
	s_delay_alu instid0(SALU_CYCLE_1) | instskip(NEXT) | instid1(SALU_CYCLE_1)
	s_lshl_b64 s[24:25], s[24:25], 2
	s_add_u32 s38, s1, s24
	s_addc_u32 s39, s4, s25
	s_add_u32 s1, s16, s8
	s_addc_u32 s4, s17, s9
	;; [unrolled: 2-line block ×4, first 2 shown]
	s_clause 0x1
	global_store_b32 v3, v1, s[38:39]
	global_store_b32 v3, v2, s[8:9]
.LBB389_222:
	s_or_b32 exec_lo, exec_lo, s0
	v_dual_mov_b32 v11, 0 :: v_dual_mov_b32 v22, 0
	s_mov_b32 s4, 0
	s_and_saveexec_b32 s1, s3
	s_cbranch_execz .LBB389_510
; %bb.223:
	s_load_b32 s3, s[10:11], 0x0
	v_dual_mov_b32 v22, 0 :: v_dual_lshlrev_b32 v1, 3, v19
	s_ashr_i32 s0, s37, 31
	s_add_u32 s14, s34, s37
	s_addc_u32 s0, s35, s0
	s_delay_alu instid0(VALU_DEP_1)
	v_add_co_u32 v14, s10, s14, v1
	v_lshlrev_b64 v[1:2], 2, v[9:10]
	v_add_co_ci_u32_e64 v15, null, s0, 0, s10
	s_lshl_b64 s[10:11], s[30:31], 2
	s_add_i32 s7, s36, -1
	s_add_u32 s0, s28, s10
	s_addc_u32 s10, s29, s11
	v_add_co_u32 v16, vcc_lo, s0, v1
	v_mov_b32_e32 v13, 0
	v_add3_u32 v23, s33, v12, 7
	v_lshl_add_u32 v10, v18, 5, 0xa0
	v_add_co_ci_u32_e32 v17, vcc_lo, s10, v2, vcc_lo
	v_mov_b32_e32 v11, 0
	s_mov_b32 s8, -1
	s_mov_b32 s9, 0xffffff
	s_branch .LBB389_225
.LBB389_224:                            ;   in Loop: Header=BB389_225 Depth=1
	s_or_b32 exec_lo, exec_lo, s0
	v_and_b32_e32 v28, 0xffff0000, v28
	v_and_b32_e32 v4, 0xffff0000, v4
	;; [unrolled: 1-line block ×6, first 2 shown]
	v_add_co_u32 v16, s0, v16, 16
	v_add_f32_e32 v2, v2, v4
	v_dual_add_f32 v4, v27, v28 :: v_dual_and_b32 v3, 0xffff0000, v3
	v_add_nc_u32_e32 v23, 32, v23
	v_add_nc_u32_e32 v10, 0x80, v10
	v_add_co_ci_u32_e64 v17, s0, 0, v17, s0
	s_delay_alu instid0(VALU_DEP_4) | instskip(SKIP_2) | instid1(VALU_DEP_3)
	v_dual_add_f32 v2, v2, v4 :: v_dual_and_b32 v1, 0xffff0000, v1
	v_and_b32_e32 v6, 0xffff0000, v6
	v_add_nc_u32_e32 v9, 4, v9
	v_dual_add_f32 v1, v3, v1 :: v_dual_and_b32 v24, 0xffff0000, v24
	s_delay_alu instid0(VALU_DEP_3) | instskip(SKIP_1) | instid1(VALU_DEP_4)
	v_dual_add_f32 v5, v5, v6 :: v_dual_and_b32 v8, 0xffff0000, v8
	v_and_b32_e32 v25, 0xffff0000, v25
	v_cmp_le_i32_e32 vcc_lo, s27, v9
	s_delay_alu instid0(VALU_DEP_3) | instskip(SKIP_2) | instid1(VALU_DEP_2)
	v_add_f32_e32 v6, v7, v8
	v_and_b32_e32 v8, 0xffff0000, v29
	s_or_b32 s4, vcc_lo, s4
	v_dual_add_f32 v5, v5, v6 :: v_dual_add_f32 v6, v24, v25
	v_and_b32_e32 v30, 0xffff0000, v32
	v_and_b32_e32 v7, 0xffff0000, v12
	s_delay_alu instid0(VALU_DEP_1) | instskip(NEXT) | instid1(VALU_DEP_1)
	v_dual_add_f32 v5, v5, v6 :: v_dual_add_f32 v4, v8, v7
	v_add_f32_e32 v2, v2, v4
	s_delay_alu instid0(VALU_DEP_1) | instskip(NEXT) | instid1(VALU_DEP_1)
	v_dual_add_f32 v1, v2, v1 :: v_dual_and_b32 v26, 0xffff0000, v26
	v_dual_add_f32 v6, v26, v30 :: v_dual_add_f32 v11, v11, v1
	s_delay_alu instid0(VALU_DEP_1) | instskip(NEXT) | instid1(VALU_DEP_1)
	v_add_f32_e32 v3, v5, v6
	v_add_f32_e32 v22, v22, v3
	s_and_not1_b32 exec_lo, exec_lo, s4
	s_cbranch_execz .LBB389_509
.LBB389_225:                            ; =>This Inner Loop Header: Depth=1
	global_load_b32 v12, v[16:17], off
	ds_load_2addr_b64 v[5:8], v10 offset1:1
	ds_load_2addr_b64 v[1:4], v10 offset0:2 offset1:3
	s_mov_b32 s0, exec_lo
                                        ; implicit-def: $vgpr35
	s_waitcnt lgkmcnt(0)
	v_and_b32_e32 v24, 0x7f800000, v5
	s_delay_alu instid0(VALU_DEP_1)
	v_cmpx_ne_u32_e32 0x7f800000, v24
	s_xor_b32 s0, exec_lo, s0
; %bb.226:                              ;   in Loop: Header=BB389_225 Depth=1
	v_bfe_u32 v24, v5, 16, 1
	s_delay_alu instid0(VALU_DEP_1)
	v_add3_u32 v35, v5, v24, 0x7fff
; %bb.227:                              ;   in Loop: Header=BB389_225 Depth=1
	s_and_not1_saveexec_b32 s0, s0
; %bb.228:                              ;   in Loop: Header=BB389_225 Depth=1
	v_and_b32_e32 v24, 0xffff, v5
	v_or_b32_e32 v25, 0x10000, v5
	s_delay_alu instid0(VALU_DEP_2) | instskip(NEXT) | instid1(VALU_DEP_2)
	v_cmp_eq_u32_e32 vcc_lo, 0, v24
	v_cndmask_b32_e32 v35, v25, v5, vcc_lo
; %bb.229:                              ;   in Loop: Header=BB389_225 Depth=1
	s_or_b32 exec_lo, exec_lo, s0
	v_and_b32_e32 v5, 0x7f800000, v6
	s_mov_b32 s0, exec_lo
                                        ; implicit-def: $vgpr36
	s_delay_alu instid0(VALU_DEP_1)
	v_cmpx_ne_u32_e32 0x7f800000, v5
	s_xor_b32 s0, exec_lo, s0
; %bb.230:                              ;   in Loop: Header=BB389_225 Depth=1
	v_bfe_u32 v5, v6, 16, 1
	s_delay_alu instid0(VALU_DEP_1)
	v_add3_u32 v36, v6, v5, 0x7fff
; %bb.231:                              ;   in Loop: Header=BB389_225 Depth=1
	s_and_not1_saveexec_b32 s0, s0
; %bb.232:                              ;   in Loop: Header=BB389_225 Depth=1
	v_and_b32_e32 v5, 0xffff, v6
	v_or_b32_e32 v24, 0x10000, v6
	s_delay_alu instid0(VALU_DEP_2) | instskip(NEXT) | instid1(VALU_DEP_2)
	v_cmp_eq_u32_e32 vcc_lo, 0, v5
	v_cndmask_b32_e32 v36, v24, v6, vcc_lo
; %bb.233:                              ;   in Loop: Header=BB389_225 Depth=1
	s_or_b32 exec_lo, exec_lo, s0
	v_and_b32_e32 v5, 0x7f800000, v7
	s_mov_b32 s0, exec_lo
                                        ; implicit-def: $vgpr37
	s_delay_alu instid0(VALU_DEP_1)
	v_cmpx_ne_u32_e32 0x7f800000, v5
	s_xor_b32 s0, exec_lo, s0
; %bb.234:                              ;   in Loop: Header=BB389_225 Depth=1
	v_bfe_u32 v5, v7, 16, 1
	s_delay_alu instid0(VALU_DEP_1)
	v_add3_u32 v37, v7, v5, 0x7fff
; %bb.235:                              ;   in Loop: Header=BB389_225 Depth=1
	s_and_not1_saveexec_b32 s0, s0
; %bb.236:                              ;   in Loop: Header=BB389_225 Depth=1
	v_and_b32_e32 v5, 0xffff, v7
	v_or_b32_e32 v6, 0x10000, v7
	s_delay_alu instid0(VALU_DEP_2) | instskip(NEXT) | instid1(VALU_DEP_2)
	v_cmp_eq_u32_e32 vcc_lo, 0, v5
	v_cndmask_b32_e32 v37, v6, v7, vcc_lo
; %bb.237:                              ;   in Loop: Header=BB389_225 Depth=1
	s_or_b32 exec_lo, exec_lo, s0
	v_and_b32_e32 v5, 0x7f800000, v8
	s_mov_b32 s0, exec_lo
                                        ; implicit-def: $vgpr38
	s_delay_alu instid0(VALU_DEP_1)
	v_cmpx_ne_u32_e32 0x7f800000, v5
	s_xor_b32 s0, exec_lo, s0
; %bb.238:                              ;   in Loop: Header=BB389_225 Depth=1
	v_bfe_u32 v5, v8, 16, 1
	s_delay_alu instid0(VALU_DEP_1)
	v_add3_u32 v38, v8, v5, 0x7fff
                                        ; implicit-def: $vgpr5_vgpr6_vgpr7_vgpr8
; %bb.239:                              ;   in Loop: Header=BB389_225 Depth=1
	s_and_not1_saveexec_b32 s0, s0
; %bb.240:                              ;   in Loop: Header=BB389_225 Depth=1
	v_and_b32_e32 v5, 0xffff, v8
	v_or_b32_e32 v6, 0x10000, v8
	s_delay_alu instid0(VALU_DEP_2) | instskip(NEXT) | instid1(VALU_DEP_2)
	v_cmp_eq_u32_e32 vcc_lo, 0, v5
	v_cndmask_b32_e32 v38, v6, v8, vcc_lo
; %bb.241:                              ;   in Loop: Header=BB389_225 Depth=1
	s_or_b32 exec_lo, exec_lo, s0
	v_and_b32_e32 v5, 0x7f800000, v1
	s_mov_b32 s0, exec_lo
                                        ; implicit-def: $vgpr24
	s_delay_alu instid0(VALU_DEP_1)
	v_cmpx_ne_u32_e32 0x7f800000, v5
	s_xor_b32 s0, exec_lo, s0
; %bb.242:                              ;   in Loop: Header=BB389_225 Depth=1
	v_bfe_u32 v5, v1, 16, 1
	s_delay_alu instid0(VALU_DEP_1)
	v_add3_u32 v24, v1, v5, 0x7fff
; %bb.243:                              ;   in Loop: Header=BB389_225 Depth=1
	s_and_not1_saveexec_b32 s0, s0
; %bb.244:                              ;   in Loop: Header=BB389_225 Depth=1
	v_and_b32_e32 v5, 0xffff, v1
	v_or_b32_e32 v6, 0x10000, v1
	s_delay_alu instid0(VALU_DEP_2) | instskip(NEXT) | instid1(VALU_DEP_2)
	v_cmp_eq_u32_e32 vcc_lo, 0, v5
	v_cndmask_b32_e32 v24, v6, v1, vcc_lo
; %bb.245:                              ;   in Loop: Header=BB389_225 Depth=1
	s_or_b32 exec_lo, exec_lo, s0
	v_and_b32_e32 v1, 0x7f800000, v2
	s_mov_b32 s0, exec_lo
                                        ; implicit-def: $vgpr25
	s_delay_alu instid0(VALU_DEP_1)
	v_cmpx_ne_u32_e32 0x7f800000, v1
	s_xor_b32 s0, exec_lo, s0
; %bb.246:                              ;   in Loop: Header=BB389_225 Depth=1
	v_bfe_u32 v1, v2, 16, 1
	s_delay_alu instid0(VALU_DEP_1)
	v_add3_u32 v25, v2, v1, 0x7fff
; %bb.247:                              ;   in Loop: Header=BB389_225 Depth=1
	s_and_not1_saveexec_b32 s0, s0
; %bb.248:                              ;   in Loop: Header=BB389_225 Depth=1
	v_and_b32_e32 v1, 0xffff, v2
	v_or_b32_e32 v5, 0x10000, v2
	s_delay_alu instid0(VALU_DEP_2) | instskip(NEXT) | instid1(VALU_DEP_2)
	v_cmp_eq_u32_e32 vcc_lo, 0, v1
	v_cndmask_b32_e32 v25, v5, v2, vcc_lo
; %bb.249:                              ;   in Loop: Header=BB389_225 Depth=1
	s_or_b32 exec_lo, exec_lo, s0
	v_and_b32_e32 v1, 0x7f800000, v3
	s_mov_b32 s0, exec_lo
                                        ; implicit-def: $vgpr26
	s_delay_alu instid0(VALU_DEP_1)
	v_cmpx_ne_u32_e32 0x7f800000, v1
	s_xor_b32 s0, exec_lo, s0
; %bb.250:                              ;   in Loop: Header=BB389_225 Depth=1
	v_bfe_u32 v1, v3, 16, 1
	s_delay_alu instid0(VALU_DEP_1)
	v_add3_u32 v26, v3, v1, 0x7fff
; %bb.251:                              ;   in Loop: Header=BB389_225 Depth=1
	s_and_not1_saveexec_b32 s0, s0
; %bb.252:                              ;   in Loop: Header=BB389_225 Depth=1
	v_and_b32_e32 v1, 0xffff, v3
	v_or_b32_e32 v2, 0x10000, v3
	s_delay_alu instid0(VALU_DEP_2) | instskip(NEXT) | instid1(VALU_DEP_2)
	v_cmp_eq_u32_e32 vcc_lo, 0, v1
	v_cndmask_b32_e32 v26, v2, v3, vcc_lo
; %bb.253:                              ;   in Loop: Header=BB389_225 Depth=1
	s_or_b32 exec_lo, exec_lo, s0
	v_and_b32_e32 v1, 0x7f800000, v4
	s_mov_b32 s0, exec_lo
                                        ; implicit-def: $vgpr32
	s_delay_alu instid0(VALU_DEP_1)
	v_cmpx_ne_u32_e32 0x7f800000, v1
	s_xor_b32 s0, exec_lo, s0
; %bb.254:                              ;   in Loop: Header=BB389_225 Depth=1
	v_bfe_u32 v1, v4, 16, 1
	s_delay_alu instid0(VALU_DEP_1)
	v_add3_u32 v32, v4, v1, 0x7fff
                                        ; implicit-def: $vgpr1_vgpr2_vgpr3_vgpr4
; %bb.255:                              ;   in Loop: Header=BB389_225 Depth=1
	s_and_not1_saveexec_b32 s0, s0
; %bb.256:                              ;   in Loop: Header=BB389_225 Depth=1
	v_and_b32_e32 v1, 0xffff, v4
	v_or_b32_e32 v2, 0x10000, v4
	s_delay_alu instid0(VALU_DEP_2) | instskip(NEXT) | instid1(VALU_DEP_2)
	v_cmp_eq_u32_e32 vcc_lo, 0, v1
	v_cndmask_b32_e32 v32, v2, v4, vcc_lo
; %bb.257:                              ;   in Loop: Header=BB389_225 Depth=1
	s_or_b32 exec_lo, exec_lo, s0
	s_waitcnt vmcnt(0)
	v_mad_i64_i32 v[1:2], null, v12, s5, v[14:15]
	s_mov_b32 s0, exec_lo
	v_mov_b32_e32 v5, 0
	global_load_b64 v[3:4], v[1:2], off
	s_waitcnt vmcnt(0)
	v_and_b32_e32 v6, 0xff, v3
	s_delay_alu instid0(VALU_DEP_1)
	v_cmpx_ne_u16_e32 0, v6
	s_cbranch_execz .LBB389_263
; %bb.258:                              ;   in Loop: Header=BB389_225 Depth=1
	v_bfrev_b32_e32 v5, 1
	s_mov_b32 s10, exec_lo
	v_cmpx_ne_u16_e32 0x80, v6
	s_cbranch_execz .LBB389_262
; %bb.259:                              ;   in Loop: Header=BB389_225 Depth=1
	v_and_b32_e32 v6, 0x7f, v3
	v_mov_b32_e32 v5, 0x7f800001
	s_mov_b32 s11, exec_lo
	s_delay_alu instid0(VALU_DEP_2)
	v_cmpx_ne_u32_e32 0x7f, v6
	s_cbranch_execz .LBB389_261
; %bb.260:                              ;   in Loop: Header=BB389_225 Depth=1
	v_and_b32_e32 v5, 7, v3
	v_lshrrev_b32_e32 v7, 3, v6
	v_cmp_gt_u32_e32 vcc_lo, 8, v6
	s_delay_alu instid0(VALU_DEP_3) | instskip(NEXT) | instid1(VALU_DEP_1)
	v_clz_i32_u32_e32 v5, v5
	v_min_u32_e32 v5, 32, v5
	s_delay_alu instid0(VALU_DEP_1) | instskip(SKIP_1) | instid1(VALU_DEP_1)
	v_subrev_nc_u32_e32 v8, 28, v5
	v_sub_nc_u32_e32 v5, 29, v5
	v_cndmask_b32_e32 v7, v7, v5, vcc_lo
	s_delay_alu instid0(VALU_DEP_3) | instskip(NEXT) | instid1(VALU_DEP_1)
	v_cndmask_b32_e32 v5, 0, v8, vcc_lo
	v_lshlrev_b64 v[5:6], v5, v[3:4]
	v_lshlrev_b32_e32 v6, 24, v3
	s_delay_alu instid0(VALU_DEP_4) | instskip(NEXT) | instid1(VALU_DEP_2)
	v_lshl_add_u32 v7, v7, 23, 0x3c000000
	v_and_b32_e32 v6, 0x80000000, v6
	s_delay_alu instid0(VALU_DEP_4) | instskip(NEXT) | instid1(VALU_DEP_1)
	v_lshlrev_b32_e32 v5, 20, v5
	v_and_b32_e32 v5, 0x700000, v5
	s_delay_alu instid0(VALU_DEP_1)
	v_or3_b32 v5, v5, v6, v7
.LBB389_261:                            ;   in Loop: Header=BB389_225 Depth=1
	s_or_b32 exec_lo, exec_lo, s11
.LBB389_262:                            ;   in Loop: Header=BB389_225 Depth=1
	s_delay_alu instid0(SALU_CYCLE_1)
	s_or_b32 exec_lo, exec_lo, s10
.LBB389_263:                            ;   in Loop: Header=BB389_225 Depth=1
	s_delay_alu instid0(SALU_CYCLE_1) | instskip(NEXT) | instid1(VALU_DEP_1)
	s_or_b32 exec_lo, exec_lo, s0
	v_mul_f32_e32 v5, s3, v5
	s_mov_b32 s0, exec_lo
                                        ; implicit-def: $vgpr7
	s_delay_alu instid0(VALU_DEP_1) | instskip(NEXT) | instid1(VALU_DEP_1)
	v_and_b32_e32 v6, 0x7f800000, v5
	v_cmpx_ne_u32_e32 0x7f800000, v6
	s_xor_b32 s0, exec_lo, s0
; %bb.264:                              ;   in Loop: Header=BB389_225 Depth=1
	v_bfe_u32 v6, v5, 16, 1
	s_delay_alu instid0(VALU_DEP_1)
	v_add3_u32 v7, v5, v6, 0x7fff
                                        ; implicit-def: $vgpr5
; %bb.265:                              ;   in Loop: Header=BB389_225 Depth=1
	s_and_not1_saveexec_b32 s0, s0
; %bb.266:                              ;   in Loop: Header=BB389_225 Depth=1
	v_and_b32_e32 v6, 0xffff, v5
	v_or_b32_e32 v7, 0x10000, v5
	s_delay_alu instid0(VALU_DEP_2) | instskip(NEXT) | instid1(VALU_DEP_2)
	v_cmp_eq_u32_e32 vcc_lo, 0, v6
	v_cndmask_b32_e32 v7, v7, v5, vcc_lo
; %bb.267:                              ;   in Loop: Header=BB389_225 Depth=1
	s_or_b32 exec_lo, exec_lo, s0
	v_lshrrev_b16 v6, 8, v3
	v_mov_b32_e32 v5, 0
	s_mov_b32 s0, exec_lo
	s_delay_alu instid0(VALU_DEP_2)
	v_cmpx_ne_u16_e32 0, v6
	s_cbranch_execz .LBB389_275
; %bb.268:                              ;   in Loop: Header=BB389_225 Depth=1
	v_bfrev_b32_e32 v5, 1
	s_mov_b32 s10, exec_lo
	v_cmpx_ne_u16_e32 0x80, v6
	s_cbranch_execz .LBB389_274
; %bb.269:                              ;   in Loop: Header=BB389_225 Depth=1
	v_and_b32_e32 v8, 0xffff, v6
	v_mov_b32_e32 v5, 0x7f800001
	s_mov_b32 s11, exec_lo
	s_delay_alu instid0(VALU_DEP_2) | instskip(NEXT) | instid1(VALU_DEP_1)
	v_and_b32_e32 v6, 0x7f, v8
	v_cmpx_ne_u32_e32 0x7f, v6
	s_cbranch_execz .LBB389_273
; %bb.270:                              ;   in Loop: Header=BB389_225 Depth=1
	v_and_b32_e32 v12, 7, v8
	v_lshrrev_b32_e32 v5, 3, v6
	s_mov_b32 s14, exec_lo
	v_cmpx_gt_u32_e32 8, v6
; %bb.271:                              ;   in Loop: Header=BB389_225 Depth=1
	s_delay_alu instid0(VALU_DEP_3) | instskip(NEXT) | instid1(VALU_DEP_1)
	v_clz_i32_u32_e32 v5, v12
	v_min_u32_e32 v5, 32, v5
	s_delay_alu instid0(VALU_DEP_1) | instskip(SKIP_1) | instid1(VALU_DEP_2)
	v_subrev_nc_u32_e32 v6, 28, v5
	v_sub_nc_u32_e32 v5, 29, v5
	v_lshlrev_b64 v[27:28], v6, v[12:13]
	s_delay_alu instid0(VALU_DEP_1)
	v_and_b32_e32 v12, 7, v27
; %bb.272:                              ;   in Loop: Header=BB389_225 Depth=1
	s_or_b32 exec_lo, exec_lo, s14
	v_lshlrev_b32_e32 v6, 16, v3
	s_delay_alu instid0(VALU_DEP_2) | instskip(SKIP_1) | instid1(VALU_DEP_3)
	v_lshlrev_b32_e32 v8, 20, v12
	v_lshl_add_u32 v5, v5, 23, 0x3c000000
	v_and_b32_e32 v6, 0x80000000, v6
	s_delay_alu instid0(VALU_DEP_1)
	v_or3_b32 v5, v8, v6, v5
.LBB389_273:                            ;   in Loop: Header=BB389_225 Depth=1
	s_or_b32 exec_lo, exec_lo, s11
.LBB389_274:                            ;   in Loop: Header=BB389_225 Depth=1
	s_delay_alu instid0(SALU_CYCLE_1)
	s_or_b32 exec_lo, exec_lo, s10
.LBB389_275:                            ;   in Loop: Header=BB389_225 Depth=1
	s_delay_alu instid0(SALU_CYCLE_1) | instskip(NEXT) | instid1(VALU_DEP_1)
	s_or_b32 exec_lo, exec_lo, s0
	v_mul_f32_e32 v5, s3, v5
	s_mov_b32 s0, exec_lo
                                        ; implicit-def: $vgpr8
	s_delay_alu instid0(VALU_DEP_1) | instskip(NEXT) | instid1(VALU_DEP_1)
	v_and_b32_e32 v6, 0x7f800000, v5
	v_cmpx_ne_u32_e32 0x7f800000, v6
	s_xor_b32 s0, exec_lo, s0
; %bb.276:                              ;   in Loop: Header=BB389_225 Depth=1
	v_bfe_u32 v6, v5, 16, 1
	s_delay_alu instid0(VALU_DEP_1)
	v_add3_u32 v8, v5, v6, 0x7fff
                                        ; implicit-def: $vgpr5
; %bb.277:                              ;   in Loop: Header=BB389_225 Depth=1
	s_and_not1_saveexec_b32 s0, s0
; %bb.278:                              ;   in Loop: Header=BB389_225 Depth=1
	v_and_b32_e32 v6, 0xffff, v5
	v_or_b32_e32 v8, 0x10000, v5
	s_delay_alu instid0(VALU_DEP_2) | instskip(NEXT) | instid1(VALU_DEP_2)
	v_cmp_eq_u32_e32 vcc_lo, 0, v6
	v_cndmask_b32_e32 v8, v8, v5, vcc_lo
; %bb.279:                              ;   in Loop: Header=BB389_225 Depth=1
	s_or_b32 exec_lo, exec_lo, s0
	v_lshrrev_b32_e32 v5, 16, v3
	v_mov_b32_e32 v6, 0
	s_mov_b32 s0, exec_lo
	s_delay_alu instid0(VALU_DEP_2) | instskip(NEXT) | instid1(VALU_DEP_1)
	v_and_b32_e32 v12, 0xff, v5
	v_cmpx_ne_u16_e32 0, v12
	s_cbranch_execz .LBB389_287
; %bb.280:                              ;   in Loop: Header=BB389_225 Depth=1
	v_bfrev_b32_e32 v6, 1
	s_mov_b32 s10, exec_lo
	v_cmpx_ne_u16_e32 0x80, v12
	s_cbranch_execz .LBB389_286
; %bb.281:                              ;   in Loop: Header=BB389_225 Depth=1
	v_bfe_u32 v27, v3, 16, 7
	v_mov_b32_e32 v6, 0x7f800001
	s_mov_b32 s11, exec_lo
	s_delay_alu instid0(VALU_DEP_2)
	v_cmpx_ne_u32_e32 0x7f, v27
	s_cbranch_execz .LBB389_285
; %bb.282:                              ;   in Loop: Header=BB389_225 Depth=1
	v_and_b32_e32 v12, 7, v5
	v_lshrrev_b32_e32 v6, 3, v27
	s_mov_b32 s14, exec_lo
	v_cmpx_gt_u32_e32 8, v27
; %bb.283:                              ;   in Loop: Header=BB389_225 Depth=1
	s_delay_alu instid0(VALU_DEP_3) | instskip(NEXT) | instid1(VALU_DEP_1)
	v_clz_i32_u32_e32 v6, v12
	v_min_u32_e32 v6, 32, v6
	s_delay_alu instid0(VALU_DEP_1) | instskip(SKIP_1) | instid1(VALU_DEP_2)
	v_subrev_nc_u32_e32 v27, 28, v6
	v_sub_nc_u32_e32 v6, 29, v6
	v_lshlrev_b64 v[27:28], v27, v[12:13]
	s_delay_alu instid0(VALU_DEP_1)
	v_and_b32_e32 v12, 7, v27
; %bb.284:                              ;   in Loop: Header=BB389_225 Depth=1
	s_or_b32 exec_lo, exec_lo, s14
	v_lshlrev_b32_e32 v5, 24, v5
	s_delay_alu instid0(VALU_DEP_2) | instskip(SKIP_1) | instid1(VALU_DEP_3)
	v_lshlrev_b32_e32 v12, 20, v12
	v_lshl_add_u32 v6, v6, 23, 0x3c000000
	v_and_b32_e32 v5, 0x80000000, v5
	s_delay_alu instid0(VALU_DEP_1)
	v_or3_b32 v6, v12, v5, v6
.LBB389_285:                            ;   in Loop: Header=BB389_225 Depth=1
	s_or_b32 exec_lo, exec_lo, s11
.LBB389_286:                            ;   in Loop: Header=BB389_225 Depth=1
	s_delay_alu instid0(SALU_CYCLE_1)
	s_or_b32 exec_lo, exec_lo, s10
.LBB389_287:                            ;   in Loop: Header=BB389_225 Depth=1
	s_delay_alu instid0(SALU_CYCLE_1) | instskip(NEXT) | instid1(VALU_DEP_1)
	s_or_b32 exec_lo, exec_lo, s0
	v_mul_f32_e32 v5, s3, v6
	s_mov_b32 s0, exec_lo
                                        ; implicit-def: $vgpr28
	s_delay_alu instid0(VALU_DEP_1) | instskip(NEXT) | instid1(VALU_DEP_1)
	v_and_b32_e32 v6, 0x7f800000, v5
	v_cmpx_ne_u32_e32 0x7f800000, v6
	s_xor_b32 s0, exec_lo, s0
; %bb.288:                              ;   in Loop: Header=BB389_225 Depth=1
	v_bfe_u32 v6, v5, 16, 1
	s_delay_alu instid0(VALU_DEP_1)
	v_add3_u32 v28, v5, v6, 0x7fff
                                        ; implicit-def: $vgpr5
; %bb.289:                              ;   in Loop: Header=BB389_225 Depth=1
	s_and_not1_saveexec_b32 s0, s0
; %bb.290:                              ;   in Loop: Header=BB389_225 Depth=1
	v_and_b32_e32 v6, 0xffff, v5
	v_or_b32_e32 v12, 0x10000, v5
	s_delay_alu instid0(VALU_DEP_2) | instskip(NEXT) | instid1(VALU_DEP_2)
	v_cmp_eq_u32_e32 vcc_lo, 0, v6
	v_cndmask_b32_e32 v28, v12, v5, vcc_lo
; %bb.291:                              ;   in Loop: Header=BB389_225 Depth=1
	s_or_b32 exec_lo, exec_lo, s0
	v_mov_b32_e32 v6, 0
	s_mov_b32 s0, exec_lo
	v_cmpx_lt_u32_e32 0xffffff, v3
	s_cbranch_execz .LBB389_299
; %bb.292:                              ;   in Loop: Header=BB389_225 Depth=1
	v_lshrrev_b32_e32 v5, 24, v3
	v_bfrev_b32_e32 v6, 1
	s_mov_b32 s10, exec_lo
	s_delay_alu instid0(VALU_DEP_2)
	v_cmpx_ne_u32_e32 0x80, v5
	s_cbranch_execz .LBB389_298
; %bb.293:                              ;   in Loop: Header=BB389_225 Depth=1
	v_bfe_u32 v27, v3, 24, 7
	v_mov_b32_e32 v6, 0x7f800001
	s_mov_b32 s11, exec_lo
	s_delay_alu instid0(VALU_DEP_2)
	v_cmpx_ne_u32_e32 0x7f, v27
	s_cbranch_execz .LBB389_297
; %bb.294:                              ;   in Loop: Header=BB389_225 Depth=1
	v_and_b32_e32 v12, 7, v5
	v_lshrrev_b32_e32 v6, 3, v27
	s_mov_b32 s14, exec_lo
	v_cmpx_gt_u32_e32 8, v27
; %bb.295:                              ;   in Loop: Header=BB389_225 Depth=1
	s_delay_alu instid0(VALU_DEP_3) | instskip(NEXT) | instid1(VALU_DEP_1)
	v_clz_i32_u32_e32 v6, v12
	v_min_u32_e32 v6, 32, v6
	s_delay_alu instid0(VALU_DEP_1) | instskip(SKIP_1) | instid1(VALU_DEP_2)
	v_subrev_nc_u32_e32 v27, 28, v6
	v_sub_nc_u32_e32 v6, 29, v6
	v_lshlrev_b64 v[29:30], v27, v[12:13]
	s_delay_alu instid0(VALU_DEP_1)
	v_and_b32_e32 v12, 7, v29
; %bb.296:                              ;   in Loop: Header=BB389_225 Depth=1
	s_or_b32 exec_lo, exec_lo, s14
	v_lshlrev_b32_e32 v5, 24, v5
	s_delay_alu instid0(VALU_DEP_2) | instskip(SKIP_1) | instid1(VALU_DEP_3)
	v_lshlrev_b32_e32 v12, 20, v12
	v_lshl_add_u32 v6, v6, 23, 0x3c000000
	v_and_b32_e32 v5, 0x80000000, v5
	s_delay_alu instid0(VALU_DEP_1)
	v_or3_b32 v6, v12, v5, v6
.LBB389_297:                            ;   in Loop: Header=BB389_225 Depth=1
	s_or_b32 exec_lo, exec_lo, s11
.LBB389_298:                            ;   in Loop: Header=BB389_225 Depth=1
	s_delay_alu instid0(SALU_CYCLE_1)
	s_or_b32 exec_lo, exec_lo, s10
.LBB389_299:                            ;   in Loop: Header=BB389_225 Depth=1
	s_delay_alu instid0(SALU_CYCLE_1) | instskip(NEXT) | instid1(VALU_DEP_1)
	s_or_b32 exec_lo, exec_lo, s0
	v_mul_f32_e32 v5, s3, v6
	s_mov_b32 s0, exec_lo
                                        ; implicit-def: $vgpr29
	s_delay_alu instid0(VALU_DEP_1) | instskip(NEXT) | instid1(VALU_DEP_1)
	v_and_b32_e32 v6, 0x7f800000, v5
	v_cmpx_ne_u32_e32 0x7f800000, v6
	s_xor_b32 s0, exec_lo, s0
; %bb.300:                              ;   in Loop: Header=BB389_225 Depth=1
	v_bfe_u32 v6, v5, 16, 1
	s_delay_alu instid0(VALU_DEP_1)
	v_add3_u32 v29, v5, v6, 0x7fff
                                        ; implicit-def: $vgpr5
; %bb.301:                              ;   in Loop: Header=BB389_225 Depth=1
	s_and_not1_saveexec_b32 s0, s0
; %bb.302:                              ;   in Loop: Header=BB389_225 Depth=1
	v_and_b32_e32 v6, 0xffff, v5
	v_or_b32_e32 v12, 0x10000, v5
	s_delay_alu instid0(VALU_DEP_2) | instskip(NEXT) | instid1(VALU_DEP_2)
	v_cmp_eq_u32_e32 vcc_lo, 0, v6
	v_cndmask_b32_e32 v29, v12, v5, vcc_lo
; %bb.303:                              ;   in Loop: Header=BB389_225 Depth=1
	s_or_b32 exec_lo, exec_lo, s0
	v_dual_mov_b32 v5, 0 :: v_dual_and_b32 v6, 0xff, v4
	v_mov_b32_e32 v12, v4
	s_mov_b32 s0, exec_lo
	s_delay_alu instid0(VALU_DEP_2)
	v_cmpx_ne_u16_e32 0, v6
	s_cbranch_execz .LBB389_309
; %bb.304:                              ;   in Loop: Header=BB389_225 Depth=1
	v_bfrev_b32_e32 v5, 1
	s_mov_b32 s10, exec_lo
	v_cmpx_ne_u16_e32 0x80, v6
	s_cbranch_execz .LBB389_308
; %bb.305:                              ;   in Loop: Header=BB389_225 Depth=1
	v_and_b32_e32 v6, 0x7f, v4
	v_mov_b32_e32 v5, 0x7f800001
	s_mov_b32 s11, exec_lo
	s_delay_alu instid0(VALU_DEP_2)
	v_cmpx_ne_u32_e32 0x7f, v6
	s_cbranch_execz .LBB389_307
; %bb.306:                              ;   in Loop: Header=BB389_225 Depth=1
	v_and_b32_e32 v5, 7, v4
	v_lshrrev_b32_e32 v27, 3, v6
	v_cmp_gt_u32_e32 vcc_lo, 8, v6
	s_delay_alu instid0(VALU_DEP_3) | instskip(NEXT) | instid1(VALU_DEP_1)
	v_clz_i32_u32_e32 v5, v5
	v_min_u32_e32 v5, 32, v5
	s_delay_alu instid0(VALU_DEP_1) | instskip(SKIP_1) | instid1(VALU_DEP_1)
	v_subrev_nc_u32_e32 v30, 28, v5
	v_sub_nc_u32_e32 v5, 29, v5
	v_cndmask_b32_e32 v27, v27, v5, vcc_lo
	s_delay_alu instid0(VALU_DEP_3) | instskip(NEXT) | instid1(VALU_DEP_1)
	v_cndmask_b32_e32 v5, 0, v30, vcc_lo
	v_lshlrev_b64 v[5:6], v5, v[12:13]
	v_lshlrev_b32_e32 v6, 24, v12
	s_delay_alu instid0(VALU_DEP_4) | instskip(NEXT) | instid1(VALU_DEP_3)
	v_lshl_add_u32 v27, v27, 23, 0x3c000000
	v_lshlrev_b32_e32 v5, 20, v5
	s_delay_alu instid0(VALU_DEP_3) | instskip(NEXT) | instid1(VALU_DEP_2)
	v_and_b32_e32 v6, 0x80000000, v6
	v_and_b32_e32 v5, 0x700000, v5
	s_delay_alu instid0(VALU_DEP_1)
	v_or3_b32 v5, v5, v6, v27
.LBB389_307:                            ;   in Loop: Header=BB389_225 Depth=1
	s_or_b32 exec_lo, exec_lo, s11
.LBB389_308:                            ;   in Loop: Header=BB389_225 Depth=1
	s_delay_alu instid0(SALU_CYCLE_1)
	s_or_b32 exec_lo, exec_lo, s10
.LBB389_309:                            ;   in Loop: Header=BB389_225 Depth=1
	s_delay_alu instid0(SALU_CYCLE_1) | instskip(NEXT) | instid1(VALU_DEP_1)
	s_or_b32 exec_lo, exec_lo, s0
	v_mul_f32_e32 v5, s3, v5
	s_mov_b32 s0, exec_lo
                                        ; implicit-def: $vgpr30
	s_delay_alu instid0(VALU_DEP_1) | instskip(NEXT) | instid1(VALU_DEP_1)
	v_and_b32_e32 v6, 0x7f800000, v5
	v_cmpx_ne_u32_e32 0x7f800000, v6
	s_xor_b32 s0, exec_lo, s0
; %bb.310:                              ;   in Loop: Header=BB389_225 Depth=1
	v_bfe_u32 v6, v5, 16, 1
	s_delay_alu instid0(VALU_DEP_1)
	v_add3_u32 v30, v5, v6, 0x7fff
                                        ; implicit-def: $vgpr5
; %bb.311:                              ;   in Loop: Header=BB389_225 Depth=1
	s_and_not1_saveexec_b32 s0, s0
; %bb.312:                              ;   in Loop: Header=BB389_225 Depth=1
	v_and_b32_e32 v6, 0xffff, v5
	v_or_b32_e32 v27, 0x10000, v5
	s_delay_alu instid0(VALU_DEP_2) | instskip(NEXT) | instid1(VALU_DEP_2)
	v_cmp_eq_u32_e32 vcc_lo, 0, v6
	v_cndmask_b32_e32 v30, v27, v5, vcc_lo
; %bb.313:                              ;   in Loop: Header=BB389_225 Depth=1
	s_or_b32 exec_lo, exec_lo, s0
	v_lshrrev_b16 v6, 8, v12
	v_mov_b32_e32 v5, 0
	s_mov_b32 s0, exec_lo
	s_delay_alu instid0(VALU_DEP_2)
	v_cmpx_ne_u16_e32 0, v6
	s_cbranch_execz .LBB389_321
; %bb.314:                              ;   in Loop: Header=BB389_225 Depth=1
	v_bfrev_b32_e32 v5, 1
	s_mov_b32 s10, exec_lo
	v_cmpx_ne_u16_e32 0x80, v6
	s_cbranch_execz .LBB389_320
; %bb.315:                              ;   in Loop: Header=BB389_225 Depth=1
	v_and_b32_e32 v6, 0xffff, v6
	v_mov_b32_e32 v5, 0x7f800001
	s_mov_b32 s11, exec_lo
	s_delay_alu instid0(VALU_DEP_2) | instskip(NEXT) | instid1(VALU_DEP_1)
	v_and_b32_e32 v31, 0x7f, v6
	v_cmpx_ne_u32_e32 0x7f, v31
	s_cbranch_execz .LBB389_319
; %bb.316:                              ;   in Loop: Header=BB389_225 Depth=1
	v_dual_mov_b32 v6, v13 :: v_dual_and_b32 v5, 7, v6
	v_lshrrev_b32_e32 v27, 3, v31
	s_mov_b32 s14, exec_lo
	v_cmpx_gt_u32_e32 8, v31
; %bb.317:                              ;   in Loop: Header=BB389_225 Depth=1
	s_delay_alu instid0(VALU_DEP_3) | instskip(NEXT) | instid1(VALU_DEP_1)
	v_clz_i32_u32_e32 v27, v5
	v_min_u32_e32 v27, 32, v27
	s_delay_alu instid0(VALU_DEP_1) | instskip(SKIP_1) | instid1(VALU_DEP_2)
	v_subrev_nc_u32_e32 v31, 28, v27
	v_sub_nc_u32_e32 v27, 29, v27
	v_lshlrev_b64 v[5:6], v31, v[5:6]
	s_delay_alu instid0(VALU_DEP_1)
	v_and_b32_e32 v5, 7, v5
; %bb.318:                              ;   in Loop: Header=BB389_225 Depth=1
	s_or_b32 exec_lo, exec_lo, s14
	v_lshlrev_b32_e32 v6, 16, v12
	s_delay_alu instid0(VALU_DEP_2) | instskip(SKIP_1) | instid1(VALU_DEP_3)
	v_lshlrev_b32_e32 v5, 20, v5
	v_lshl_add_u32 v12, v27, 23, 0x3c000000
	v_and_b32_e32 v6, 0x80000000, v6
	s_delay_alu instid0(VALU_DEP_1)
	v_or3_b32 v5, v5, v6, v12
.LBB389_319:                            ;   in Loop: Header=BB389_225 Depth=1
	s_or_b32 exec_lo, exec_lo, s11
.LBB389_320:                            ;   in Loop: Header=BB389_225 Depth=1
	s_delay_alu instid0(SALU_CYCLE_1)
	s_or_b32 exec_lo, exec_lo, s10
.LBB389_321:                            ;   in Loop: Header=BB389_225 Depth=1
	s_delay_alu instid0(SALU_CYCLE_1) | instskip(NEXT) | instid1(VALU_DEP_1)
	s_or_b32 exec_lo, exec_lo, s0
	v_mul_f32_e32 v6, s3, v5
	s_delay_alu instid0(VALU_DEP_1) | instskip(NEXT) | instid1(VALU_DEP_1)
	v_and_b32_e32 v5, 0x7f800000, v6
	v_cmp_ne_u32_e32 vcc_lo, 0x7f800000, v5
                                        ; implicit-def: $vgpr5
	s_and_saveexec_b32 s0, vcc_lo
	s_delay_alu instid0(SALU_CYCLE_1)
	s_xor_b32 s0, exec_lo, s0
; %bb.322:                              ;   in Loop: Header=BB389_225 Depth=1
	v_bfe_u32 v5, v6, 16, 1
	s_delay_alu instid0(VALU_DEP_1)
	v_add3_u32 v5, v6, v5, 0x7fff
                                        ; implicit-def: $vgpr6
; %bb.323:                              ;   in Loop: Header=BB389_225 Depth=1
	s_and_not1_saveexec_b32 s0, s0
; %bb.324:                              ;   in Loop: Header=BB389_225 Depth=1
	v_and_b32_e32 v5, 0xffff, v6
	v_or_b32_e32 v12, 0x10000, v6
	s_delay_alu instid0(VALU_DEP_2) | instskip(NEXT) | instid1(VALU_DEP_2)
	v_cmp_eq_u32_e32 vcc_lo, 0, v5
	v_cndmask_b32_e32 v5, v12, v6, vcc_lo
; %bb.325:                              ;   in Loop: Header=BB389_225 Depth=1
	s_or_b32 exec_lo, exec_lo, s0
	v_lshrrev_b32_e32 v6, 16, v4
	s_mov_b32 s0, exec_lo
	s_delay_alu instid0(VALU_DEP_1) | instskip(NEXT) | instid1(VALU_DEP_1)
	v_dual_mov_b32 v12, 0 :: v_dual_and_b32 v27, 0xff, v6
	v_cmpx_ne_u16_e32 0, v27
	s_cbranch_execz .LBB389_333
; %bb.326:                              ;   in Loop: Header=BB389_225 Depth=1
	v_bfrev_b32_e32 v12, 1
	s_mov_b32 s10, exec_lo
	v_cmpx_ne_u16_e32 0x80, v27
	s_cbranch_execz .LBB389_332
; %bb.327:                              ;   in Loop: Header=BB389_225 Depth=1
	v_bfe_u32 v31, v4, 16, 7
	v_mov_b32_e32 v12, 0x7f800001
	s_mov_b32 s11, exec_lo
	s_delay_alu instid0(VALU_DEP_2)
	v_cmpx_ne_u32_e32 0x7f, v31
	s_cbranch_execz .LBB389_331
; %bb.328:                              ;   in Loop: Header=BB389_225 Depth=1
	v_and_b32_e32 v12, 7, v6
	v_lshrrev_b32_e32 v27, 3, v31
	s_mov_b32 s14, exec_lo
	v_cmpx_gt_u32_e32 8, v31
; %bb.329:                              ;   in Loop: Header=BB389_225 Depth=1
	s_delay_alu instid0(VALU_DEP_3) | instskip(NEXT) | instid1(VALU_DEP_1)
	v_clz_i32_u32_e32 v27, v12
	v_min_u32_e32 v27, 32, v27
	s_delay_alu instid0(VALU_DEP_1) | instskip(SKIP_1) | instid1(VALU_DEP_2)
	v_subrev_nc_u32_e32 v31, 28, v27
	v_sub_nc_u32_e32 v27, 29, v27
	v_lshlrev_b64 v[33:34], v31, v[12:13]
	s_delay_alu instid0(VALU_DEP_1)
	v_and_b32_e32 v12, 7, v33
; %bb.330:                              ;   in Loop: Header=BB389_225 Depth=1
	s_or_b32 exec_lo, exec_lo, s14
	v_lshlrev_b32_e32 v6, 24, v6
	s_delay_alu instid0(VALU_DEP_2) | instskip(SKIP_1) | instid1(VALU_DEP_3)
	v_lshlrev_b32_e32 v12, 20, v12
	v_lshl_add_u32 v27, v27, 23, 0x3c000000
	v_and_b32_e32 v6, 0x80000000, v6
	s_delay_alu instid0(VALU_DEP_1)
	v_or3_b32 v12, v12, v6, v27
.LBB389_331:                            ;   in Loop: Header=BB389_225 Depth=1
	s_or_b32 exec_lo, exec_lo, s11
.LBB389_332:                            ;   in Loop: Header=BB389_225 Depth=1
	s_delay_alu instid0(SALU_CYCLE_1)
	s_or_b32 exec_lo, exec_lo, s10
.LBB389_333:                            ;   in Loop: Header=BB389_225 Depth=1
	s_delay_alu instid0(SALU_CYCLE_1) | instskip(NEXT) | instid1(VALU_DEP_1)
	s_or_b32 exec_lo, exec_lo, s0
	v_mul_f32_e32 v12, s3, v12
	s_delay_alu instid0(VALU_DEP_1) | instskip(NEXT) | instid1(VALU_DEP_1)
	v_and_b32_e32 v6, 0x7f800000, v12
	v_cmp_ne_u32_e32 vcc_lo, 0x7f800000, v6
                                        ; implicit-def: $vgpr6
	s_and_saveexec_b32 s0, vcc_lo
	s_delay_alu instid0(SALU_CYCLE_1)
	s_xor_b32 s0, exec_lo, s0
; %bb.334:                              ;   in Loop: Header=BB389_225 Depth=1
	v_bfe_u32 v6, v12, 16, 1
	s_delay_alu instid0(VALU_DEP_1)
	v_add3_u32 v6, v12, v6, 0x7fff
                                        ; implicit-def: $vgpr12
; %bb.335:                              ;   in Loop: Header=BB389_225 Depth=1
	s_and_not1_saveexec_b32 s0, s0
; %bb.336:                              ;   in Loop: Header=BB389_225 Depth=1
	v_and_b32_e32 v6, 0xffff, v12
	v_or_b32_e32 v27, 0x10000, v12
	s_delay_alu instid0(VALU_DEP_2) | instskip(NEXT) | instid1(VALU_DEP_2)
	v_cmp_eq_u32_e32 vcc_lo, 0, v6
	v_cndmask_b32_e32 v6, v27, v12, vcc_lo
; %bb.337:                              ;   in Loop: Header=BB389_225 Depth=1
	s_or_b32 exec_lo, exec_lo, s0
	v_mov_b32_e32 v12, 0
	s_mov_b32 s0, exec_lo
	v_cmpx_lt_u64_e64 s[8:9], v[3:4]
	s_cbranch_execz .LBB389_345
; %bb.338:                              ;   in Loop: Header=BB389_225 Depth=1
	v_lshrrev_b32_e32 v3, 24, v4
	v_bfrev_b32_e32 v12, 1
	s_mov_b32 s10, exec_lo
	s_delay_alu instid0(VALU_DEP_2)
	v_cmpx_ne_u32_e32 0x80, v3
	s_cbranch_execz .LBB389_344
; %bb.339:                              ;   in Loop: Header=BB389_225 Depth=1
	v_bfe_u32 v27, v4, 24, 7
	v_mov_b32_e32 v12, 0x7f800001
	s_mov_b32 s11, exec_lo
	s_delay_alu instid0(VALU_DEP_2)
	v_cmpx_ne_u32_e32 0x7f, v27
	s_cbranch_execz .LBB389_343
; %bb.340:                              ;   in Loop: Header=BB389_225 Depth=1
	v_and_b32_e32 v12, 7, v3
	v_lshrrev_b32_e32 v4, 3, v27
	s_mov_b32 s14, exec_lo
	v_cmpx_gt_u32_e32 8, v27
; %bb.341:                              ;   in Loop: Header=BB389_225 Depth=1
	s_delay_alu instid0(VALU_DEP_3) | instskip(NEXT) | instid1(VALU_DEP_1)
	v_clz_i32_u32_e32 v4, v12
	v_min_u32_e32 v4, 32, v4
	s_delay_alu instid0(VALU_DEP_1) | instskip(SKIP_1) | instid1(VALU_DEP_2)
	v_subrev_nc_u32_e32 v27, 28, v4
	v_sub_nc_u32_e32 v4, 29, v4
	v_lshlrev_b64 v[33:34], v27, v[12:13]
	s_delay_alu instid0(VALU_DEP_1)
	v_and_b32_e32 v12, 7, v33
; %bb.342:                              ;   in Loop: Header=BB389_225 Depth=1
	s_or_b32 exec_lo, exec_lo, s14
	v_lshlrev_b32_e32 v3, 24, v3
	s_delay_alu instid0(VALU_DEP_2) | instskip(SKIP_1) | instid1(VALU_DEP_3)
	v_lshlrev_b32_e32 v12, 20, v12
	v_lshl_add_u32 v4, v4, 23, 0x3c000000
	v_and_b32_e32 v3, 0x80000000, v3
	s_delay_alu instid0(VALU_DEP_1)
	v_or3_b32 v12, v12, v3, v4
.LBB389_343:                            ;   in Loop: Header=BB389_225 Depth=1
	s_or_b32 exec_lo, exec_lo, s11
.LBB389_344:                            ;   in Loop: Header=BB389_225 Depth=1
	s_delay_alu instid0(SALU_CYCLE_1)
	s_or_b32 exec_lo, exec_lo, s10
.LBB389_345:                            ;   in Loop: Header=BB389_225 Depth=1
	s_delay_alu instid0(SALU_CYCLE_1) | instskip(NEXT) | instid1(VALU_DEP_1)
	s_or_b32 exec_lo, exec_lo, s0
	v_mul_f32_e32 v4, s3, v12
	s_delay_alu instid0(VALU_DEP_1) | instskip(NEXT) | instid1(VALU_DEP_1)
	v_and_b32_e32 v3, 0x7f800000, v4
	v_cmp_ne_u32_e32 vcc_lo, 0x7f800000, v3
                                        ; implicit-def: $vgpr3
	s_and_saveexec_b32 s0, vcc_lo
	s_delay_alu instid0(SALU_CYCLE_1)
	s_xor_b32 s0, exec_lo, s0
; %bb.346:                              ;   in Loop: Header=BB389_225 Depth=1
	v_bfe_u32 v3, v4, 16, 1
	s_delay_alu instid0(VALU_DEP_1)
	v_add3_u32 v3, v4, v3, 0x7fff
                                        ; implicit-def: $vgpr4
; %bb.347:                              ;   in Loop: Header=BB389_225 Depth=1
	s_and_not1_saveexec_b32 s0, s0
; %bb.348:                              ;   in Loop: Header=BB389_225 Depth=1
	v_and_b32_e32 v3, 0xffff, v4
	v_or_b32_e32 v12, 0x10000, v4
	s_delay_alu instid0(VALU_DEP_2) | instskip(NEXT) | instid1(VALU_DEP_2)
	v_cmp_eq_u32_e32 vcc_lo, 0, v3
	v_cndmask_b32_e32 v3, v12, v4, vcc_lo
; %bb.349:                              ;   in Loop: Header=BB389_225 Depth=1
	s_or_b32 exec_lo, exec_lo, s0
	v_cmp_eq_u32_e32 vcc_lo, s7, v9
	v_add_nc_u32_e32 v27, -7, v23
	v_lshrrev_b32_e32 v12, 16, v5
	v_lshrrev_b32_e32 v40, 16, v30
	;; [unrolled: 1-line block ×8, first 2 shown]
	v_add_nc_u32_e32 v34, -6, v23
	v_add_nc_u32_e32 v33, -5, v23
	;; [unrolled: 1-line block ×6, first 2 shown]
	s_and_saveexec_b32 s10, vcc_lo
	s_cbranch_execz .LBB389_351
; %bb.350:                              ;   in Loop: Header=BB389_225 Depth=1
	v_cmp_gt_i32_e64 s0, s15, v27
	s_delay_alu instid0(VALU_DEP_1) | instskip(SKIP_1) | instid1(VALU_DEP_1)
	v_cndmask_b32_e64 v5, 0, v5, s0
	v_cmp_gt_i32_e64 s0, s15, v34
	v_cndmask_b32_e64 v8, 0, v8, s0
	v_cmp_gt_i32_e64 s0, s15, v33
	s_delay_alu instid0(VALU_DEP_1) | instskip(SKIP_1) | instid1(VALU_DEP_1)
	v_cndmask_b32_e64 v41, 0, v41, s0
	v_cmp_gt_i32_e64 s0, s15, v31
	v_cndmask_b32_e64 v39, 0, v39, s0
	;; [unrolled: 5-line block ×4, first 2 shown]
.LBB389_351:                            ;   in Loop: Header=BB389_225 Depth=1
	s_or_b32 exec_lo, exec_lo, s10
	v_and_b32_e32 v35, 0xffff0000, v35
	v_lshlrev_b32_e32 v5, 16, v5
	s_delay_alu instid0(VALU_DEP_1) | instskip(NEXT) | instid1(VALU_DEP_1)
	v_mul_f32_e32 v6, v35, v5
	v_and_b32_e32 v5, 0x7f800000, v6
	s_delay_alu instid0(VALU_DEP_1) | instskip(NEXT) | instid1(VALU_DEP_1)
	v_cmp_ne_u32_e64 s0, 0x7f800000, v5
                                        ; implicit-def: $vgpr5
	s_and_saveexec_b32 s10, s0
	s_delay_alu instid0(SALU_CYCLE_1)
	s_xor_b32 s0, exec_lo, s10
; %bb.352:                              ;   in Loop: Header=BB389_225 Depth=1
	v_bfe_u32 v5, v6, 16, 1
	s_delay_alu instid0(VALU_DEP_1)
	v_add3_u32 v5, v6, v5, 0x7fff
                                        ; implicit-def: $vgpr6
; %bb.353:                              ;   in Loop: Header=BB389_225 Depth=1
	s_and_not1_saveexec_b32 s10, s0
; %bb.354:                              ;   in Loop: Header=BB389_225 Depth=1
	v_and_b32_e32 v5, 0xffff, v6
	v_or_b32_e32 v7, 0x10000, v6
	s_delay_alu instid0(VALU_DEP_2) | instskip(NEXT) | instid1(VALU_DEP_1)
	v_cmp_eq_u32_e64 s0, 0, v5
	v_cndmask_b32_e64 v5, v7, v6, s0
; %bb.355:                              ;   in Loop: Header=BB389_225 Depth=1
	s_or_b32 exec_lo, exec_lo, s10
	v_and_b32_e32 v36, 0xffff0000, v36
	v_lshlrev_b32_e32 v6, 16, v8
	s_delay_alu instid0(VALU_DEP_1) | instskip(NEXT) | instid1(VALU_DEP_1)
	v_mul_f32_e32 v7, v36, v6
	v_and_b32_e32 v6, 0x7f800000, v7
	s_delay_alu instid0(VALU_DEP_1) | instskip(NEXT) | instid1(VALU_DEP_1)
	v_cmp_ne_u32_e64 s0, 0x7f800000, v6
                                        ; implicit-def: $vgpr6
	s_and_saveexec_b32 s10, s0
	s_delay_alu instid0(SALU_CYCLE_1)
	s_xor_b32 s0, exec_lo, s10
; %bb.356:                              ;   in Loop: Header=BB389_225 Depth=1
	v_bfe_u32 v6, v7, 16, 1
	s_delay_alu instid0(VALU_DEP_1)
	v_add3_u32 v6, v7, v6, 0x7fff
                                        ; implicit-def: $vgpr7
; %bb.357:                              ;   in Loop: Header=BB389_225 Depth=1
	s_and_not1_saveexec_b32 s10, s0
; %bb.358:                              ;   in Loop: Header=BB389_225 Depth=1
	v_and_b32_e32 v6, 0xffff, v7
	v_or_b32_e32 v8, 0x10000, v7
	s_delay_alu instid0(VALU_DEP_2) | instskip(NEXT) | instid1(VALU_DEP_1)
	v_cmp_eq_u32_e64 s0, 0, v6
	v_cndmask_b32_e64 v6, v8, v7, s0
; %bb.359:                              ;   in Loop: Header=BB389_225 Depth=1
	s_or_b32 exec_lo, exec_lo, s10
	v_and_b32_e32 v37, 0xffff0000, v37
	v_lshlrev_b32_e32 v7, 16, v41
	s_delay_alu instid0(VALU_DEP_1) | instskip(NEXT) | instid1(VALU_DEP_1)
	v_mul_f32_e32 v8, v37, v7
	v_and_b32_e32 v7, 0x7f800000, v8
	s_delay_alu instid0(VALU_DEP_1) | instskip(NEXT) | instid1(VALU_DEP_1)
	v_cmp_ne_u32_e64 s0, 0x7f800000, v7
                                        ; implicit-def: $vgpr7
	s_and_saveexec_b32 s10, s0
	s_delay_alu instid0(SALU_CYCLE_1)
	s_xor_b32 s0, exec_lo, s10
; %bb.360:                              ;   in Loop: Header=BB389_225 Depth=1
	v_bfe_u32 v7, v8, 16, 1
	s_delay_alu instid0(VALU_DEP_1)
	v_add3_u32 v7, v8, v7, 0x7fff
                                        ; implicit-def: $vgpr8
; %bb.361:                              ;   in Loop: Header=BB389_225 Depth=1
	s_and_not1_saveexec_b32 s10, s0
; %bb.362:                              ;   in Loop: Header=BB389_225 Depth=1
	v_and_b32_e32 v7, 0xffff, v8
	v_or_b32_e32 v41, 0x10000, v8
	s_delay_alu instid0(VALU_DEP_2) | instskip(NEXT) | instid1(VALU_DEP_1)
	v_cmp_eq_u32_e64 s0, 0, v7
	v_cndmask_b32_e64 v7, v41, v8, s0
; %bb.363:                              ;   in Loop: Header=BB389_225 Depth=1
	s_or_b32 exec_lo, exec_lo, s10
	v_and_b32_e32 v38, 0xffff0000, v38
	v_lshlrev_b32_e32 v8, 16, v39
	s_delay_alu instid0(VALU_DEP_1) | instskip(NEXT) | instid1(VALU_DEP_1)
	v_mul_f32_e32 v39, v38, v8
	v_and_b32_e32 v8, 0x7f800000, v39
	s_delay_alu instid0(VALU_DEP_1) | instskip(NEXT) | instid1(VALU_DEP_1)
	v_cmp_ne_u32_e64 s0, 0x7f800000, v8
                                        ; implicit-def: $vgpr8
	s_and_saveexec_b32 s10, s0
	s_delay_alu instid0(SALU_CYCLE_1)
	s_xor_b32 s0, exec_lo, s10
; %bb.364:                              ;   in Loop: Header=BB389_225 Depth=1
	v_bfe_u32 v8, v39, 16, 1
	s_delay_alu instid0(VALU_DEP_1)
	v_add3_u32 v8, v39, v8, 0x7fff
                                        ; implicit-def: $vgpr39
; %bb.365:                              ;   in Loop: Header=BB389_225 Depth=1
	s_and_not1_saveexec_b32 s10, s0
; %bb.366:                              ;   in Loop: Header=BB389_225 Depth=1
	v_and_b32_e32 v8, 0xffff, v39
	v_or_b32_e32 v41, 0x10000, v39
	s_delay_alu instid0(VALU_DEP_2) | instskip(NEXT) | instid1(VALU_DEP_1)
	v_cmp_eq_u32_e64 s0, 0, v8
	v_cndmask_b32_e64 v8, v41, v39, s0
; %bb.367:                              ;   in Loop: Header=BB389_225 Depth=1
	s_or_b32 exec_lo, exec_lo, s10
	v_and_b32_e32 v39, 0xffff0000, v24
	v_lshlrev_b32_e32 v24, 16, v40
	s_delay_alu instid0(VALU_DEP_1) | instskip(NEXT) | instid1(VALU_DEP_1)
	v_mul_f32_e32 v40, v39, v24
	v_and_b32_e32 v24, 0x7f800000, v40
	s_delay_alu instid0(VALU_DEP_1) | instskip(NEXT) | instid1(VALU_DEP_1)
	v_cmp_ne_u32_e64 s0, 0x7f800000, v24
                                        ; implicit-def: $vgpr24
	s_and_saveexec_b32 s10, s0
	s_delay_alu instid0(SALU_CYCLE_1)
	s_xor_b32 s0, exec_lo, s10
; %bb.368:                              ;   in Loop: Header=BB389_225 Depth=1
	v_bfe_u32 v24, v40, 16, 1
	s_delay_alu instid0(VALU_DEP_1)
	v_add3_u32 v24, v40, v24, 0x7fff
                                        ; implicit-def: $vgpr40
; %bb.369:                              ;   in Loop: Header=BB389_225 Depth=1
	s_and_not1_saveexec_b32 s10, s0
; %bb.370:                              ;   in Loop: Header=BB389_225 Depth=1
	v_and_b32_e32 v24, 0xffff, v40
	v_or_b32_e32 v41, 0x10000, v40
	s_delay_alu instid0(VALU_DEP_2) | instskip(NEXT) | instid1(VALU_DEP_1)
	v_cmp_eq_u32_e64 s0, 0, v24
	v_cndmask_b32_e64 v24, v41, v40, s0
; %bb.371:                              ;   in Loop: Header=BB389_225 Depth=1
	s_or_b32 exec_lo, exec_lo, s10
	v_and_b32_e32 v40, 0xffff0000, v25
	v_lshlrev_b32_e32 v12, 16, v12
	s_delay_alu instid0(VALU_DEP_1) | instskip(NEXT) | instid1(VALU_DEP_1)
	v_mul_f32_e32 v12, v40, v12
	v_and_b32_e32 v25, 0x7f800000, v12
	s_delay_alu instid0(VALU_DEP_1) | instskip(NEXT) | instid1(VALU_DEP_1)
	v_cmp_ne_u32_e64 s0, 0x7f800000, v25
                                        ; implicit-def: $vgpr25
	s_and_saveexec_b32 s10, s0
	s_delay_alu instid0(SALU_CYCLE_1)
	s_xor_b32 s0, exec_lo, s10
; %bb.372:                              ;   in Loop: Header=BB389_225 Depth=1
	v_bfe_u32 v25, v12, 16, 1
	s_delay_alu instid0(VALU_DEP_1)
	v_add3_u32 v25, v12, v25, 0x7fff
                                        ; implicit-def: $vgpr12
; %bb.373:                              ;   in Loop: Header=BB389_225 Depth=1
	s_and_not1_saveexec_b32 s10, s0
; %bb.374:                              ;   in Loop: Header=BB389_225 Depth=1
	v_and_b32_e32 v25, 0xffff, v12
	v_or_b32_e32 v41, 0x10000, v12
	s_delay_alu instid0(VALU_DEP_2) | instskip(NEXT) | instid1(VALU_DEP_1)
	v_cmp_eq_u32_e64 s0, 0, v25
	v_cndmask_b32_e64 v25, v41, v12, s0
; %bb.375:                              ;   in Loop: Header=BB389_225 Depth=1
	s_or_b32 exec_lo, exec_lo, s10
	v_and_b32_e32 v41, 0xffff0000, v26
	v_lshlrev_b32_e32 v4, 16, v4
                                        ; implicit-def: $vgpr26
	s_delay_alu instid0(VALU_DEP_1) | instskip(NEXT) | instid1(VALU_DEP_1)
	v_mul_f32_e32 v4, v41, v4
	v_and_b32_e32 v12, 0x7f800000, v4
	s_delay_alu instid0(VALU_DEP_1) | instskip(NEXT) | instid1(VALU_DEP_1)
	v_cmp_ne_u32_e64 s0, 0x7f800000, v12
	s_and_saveexec_b32 s10, s0
	s_delay_alu instid0(SALU_CYCLE_1)
	s_xor_b32 s0, exec_lo, s10
; %bb.376:                              ;   in Loop: Header=BB389_225 Depth=1
	v_bfe_u32 v12, v4, 16, 1
	s_delay_alu instid0(VALU_DEP_1)
	v_add3_u32 v26, v4, v12, 0x7fff
                                        ; implicit-def: $vgpr4
; %bb.377:                              ;   in Loop: Header=BB389_225 Depth=1
	s_and_not1_saveexec_b32 s10, s0
; %bb.378:                              ;   in Loop: Header=BB389_225 Depth=1
	v_and_b32_e32 v12, 0xffff, v4
	v_or_b32_e32 v26, 0x10000, v4
	s_delay_alu instid0(VALU_DEP_2) | instskip(NEXT) | instid1(VALU_DEP_1)
	v_cmp_eq_u32_e64 s0, 0, v12
	v_cndmask_b32_e64 v26, v26, v4, s0
; %bb.379:                              ;   in Loop: Header=BB389_225 Depth=1
	s_or_b32 exec_lo, exec_lo, s10
	v_and_b32_e32 v42, 0xffff0000, v32
	v_lshlrev_b32_e32 v3, 16, v3
                                        ; implicit-def: $vgpr32
	s_delay_alu instid0(VALU_DEP_1) | instskip(NEXT) | instid1(VALU_DEP_1)
	v_mul_f32_e32 v3, v42, v3
	v_and_b32_e32 v4, 0x7f800000, v3
	s_delay_alu instid0(VALU_DEP_1) | instskip(NEXT) | instid1(VALU_DEP_1)
	v_cmp_ne_u32_e64 s0, 0x7f800000, v4
	s_and_saveexec_b32 s10, s0
	s_delay_alu instid0(SALU_CYCLE_1)
	s_xor_b32 s0, exec_lo, s10
; %bb.380:                              ;   in Loop: Header=BB389_225 Depth=1
	v_bfe_u32 v4, v3, 16, 1
	s_delay_alu instid0(VALU_DEP_1)
	v_add3_u32 v32, v3, v4, 0x7fff
                                        ; implicit-def: $vgpr3
; %bb.381:                              ;   in Loop: Header=BB389_225 Depth=1
	s_and_not1_saveexec_b32 s10, s0
; %bb.382:                              ;   in Loop: Header=BB389_225 Depth=1
	v_and_b32_e32 v4, 0xffff, v3
	v_or_b32_e32 v12, 0x10000, v3
	s_delay_alu instid0(VALU_DEP_2) | instskip(NEXT) | instid1(VALU_DEP_1)
	v_cmp_eq_u32_e64 s0, 0, v4
	v_cndmask_b32_e64 v32, v12, v3, s0
; %bb.383:                              ;   in Loop: Header=BB389_225 Depth=1
	s_or_b32 exec_lo, exec_lo, s10
	global_load_b64 v[1:2], v[1:2], off offset:256
	s_mov_b32 s10, exec_lo
	s_waitcnt vmcnt(0)
	v_dual_mov_b32 v3, 0 :: v_dual_and_b32 v4, 0xff, v1
	s_delay_alu instid0(VALU_DEP_1)
	v_cmpx_ne_u16_e32 0, v4
	s_cbranch_execz .LBB389_389
; %bb.384:                              ;   in Loop: Header=BB389_225 Depth=1
	v_bfrev_b32_e32 v3, 1
	s_mov_b32 s11, exec_lo
	v_cmpx_ne_u16_e32 0x80, v4
	s_cbranch_execz .LBB389_388
; %bb.385:                              ;   in Loop: Header=BB389_225 Depth=1
	v_and_b32_e32 v4, 0x7f, v1
	v_mov_b32_e32 v3, 0x7f800001
	s_mov_b32 s14, exec_lo
	s_delay_alu instid0(VALU_DEP_2)
	v_cmpx_ne_u32_e32 0x7f, v4
	s_cbranch_execz .LBB389_387
; %bb.386:                              ;   in Loop: Header=BB389_225 Depth=1
	v_and_b32_e32 v3, 7, v1
	v_lshrrev_b32_e32 v12, 3, v4
	v_cmp_gt_u32_e64 s0, 8, v4
	s_delay_alu instid0(VALU_DEP_3) | instskip(NEXT) | instid1(VALU_DEP_1)
	v_clz_i32_u32_e32 v3, v3
	v_min_u32_e32 v3, 32, v3
	s_delay_alu instid0(VALU_DEP_1) | instskip(SKIP_1) | instid1(VALU_DEP_1)
	v_subrev_nc_u32_e32 v43, 28, v3
	v_sub_nc_u32_e32 v3, 29, v3
	v_cndmask_b32_e64 v12, v12, v3, s0
	s_delay_alu instid0(VALU_DEP_3) | instskip(NEXT) | instid1(VALU_DEP_2)
	v_cndmask_b32_e64 v3, 0, v43, s0
	v_lshl_add_u32 v12, v12, 23, 0x3c000000
	s_delay_alu instid0(VALU_DEP_2) | instskip(SKIP_1) | instid1(VALU_DEP_2)
	v_lshlrev_b64 v[3:4], v3, v[1:2]
	v_lshlrev_b32_e32 v4, 24, v1
	v_lshlrev_b32_e32 v3, 20, v3
	s_delay_alu instid0(VALU_DEP_2) | instskip(NEXT) | instid1(VALU_DEP_2)
	v_and_b32_e32 v4, 0x80000000, v4
	v_and_b32_e32 v3, 0x700000, v3
	s_delay_alu instid0(VALU_DEP_1)
	v_or3_b32 v3, v3, v4, v12
.LBB389_387:                            ;   in Loop: Header=BB389_225 Depth=1
	s_or_b32 exec_lo, exec_lo, s14
.LBB389_388:                            ;   in Loop: Header=BB389_225 Depth=1
	s_delay_alu instid0(SALU_CYCLE_1)
	s_or_b32 exec_lo, exec_lo, s11
.LBB389_389:                            ;   in Loop: Header=BB389_225 Depth=1
	s_delay_alu instid0(SALU_CYCLE_1) | instskip(NEXT) | instid1(VALU_DEP_1)
	s_or_b32 exec_lo, exec_lo, s10
	v_mul_f32_e32 v3, s3, v3
                                        ; implicit-def: $vgpr43
	s_delay_alu instid0(VALU_DEP_1) | instskip(NEXT) | instid1(VALU_DEP_1)
	v_and_b32_e32 v4, 0x7f800000, v3
	v_cmp_ne_u32_e64 s0, 0x7f800000, v4
	s_delay_alu instid0(VALU_DEP_1) | instskip(NEXT) | instid1(SALU_CYCLE_1)
	s_and_saveexec_b32 s10, s0
	s_xor_b32 s0, exec_lo, s10
; %bb.390:                              ;   in Loop: Header=BB389_225 Depth=1
	v_bfe_u32 v4, v3, 16, 1
	s_delay_alu instid0(VALU_DEP_1)
	v_add3_u32 v43, v3, v4, 0x7fff
                                        ; implicit-def: $vgpr3
; %bb.391:                              ;   in Loop: Header=BB389_225 Depth=1
	s_and_not1_saveexec_b32 s10, s0
; %bb.392:                              ;   in Loop: Header=BB389_225 Depth=1
	v_and_b32_e32 v4, 0xffff, v3
	v_or_b32_e32 v12, 0x10000, v3
	s_delay_alu instid0(VALU_DEP_2) | instskip(NEXT) | instid1(VALU_DEP_1)
	v_cmp_eq_u32_e64 s0, 0, v4
	v_cndmask_b32_e64 v43, v12, v3, s0
; %bb.393:                              ;   in Loop: Header=BB389_225 Depth=1
	s_or_b32 exec_lo, exec_lo, s10
	v_lshrrev_b16 v4, 8, v1
	v_mov_b32_e32 v3, 0
	s_mov_b32 s10, exec_lo
	s_delay_alu instid0(VALU_DEP_2)
	v_cmpx_ne_u16_e32 0, v4
	s_cbranch_execz .LBB389_401
; %bb.394:                              ;   in Loop: Header=BB389_225 Depth=1
	v_bfrev_b32_e32 v3, 1
	s_mov_b32 s11, exec_lo
	v_cmpx_ne_u16_e32 0x80, v4
	s_cbranch_execz .LBB389_400
; %bb.395:                              ;   in Loop: Header=BB389_225 Depth=1
	v_and_b32_e32 v12, 0xffff, v4
	v_mov_b32_e32 v3, 0x7f800001
	s_mov_b32 s14, exec_lo
	s_delay_alu instid0(VALU_DEP_2) | instskip(NEXT) | instid1(VALU_DEP_1)
	v_and_b32_e32 v4, 0x7f, v12
	v_cmpx_ne_u32_e32 0x7f, v4
	s_cbranch_execz .LBB389_399
; %bb.396:                              ;   in Loop: Header=BB389_225 Depth=1
	v_and_b32_e32 v12, 7, v12
	v_lshrrev_b32_e32 v3, 3, v4
	s_mov_b32 s16, exec_lo
	v_cmpx_gt_u32_e32 8, v4
; %bb.397:                              ;   in Loop: Header=BB389_225 Depth=1
	s_delay_alu instid0(VALU_DEP_3) | instskip(NEXT) | instid1(VALU_DEP_1)
	v_clz_i32_u32_e32 v3, v12
	v_min_u32_e32 v3, 32, v3
	s_delay_alu instid0(VALU_DEP_1) | instskip(SKIP_1) | instid1(VALU_DEP_2)
	v_subrev_nc_u32_e32 v4, 28, v3
	v_sub_nc_u32_e32 v3, 29, v3
	v_lshlrev_b64 v[44:45], v4, v[12:13]
	s_delay_alu instid0(VALU_DEP_1)
	v_and_b32_e32 v12, 7, v44
; %bb.398:                              ;   in Loop: Header=BB389_225 Depth=1
	s_or_b32 exec_lo, exec_lo, s16
	v_lshlrev_b32_e32 v4, 16, v1
	s_delay_alu instid0(VALU_DEP_2) | instskip(SKIP_1) | instid1(VALU_DEP_3)
	v_lshlrev_b32_e32 v12, 20, v12
	v_lshl_add_u32 v3, v3, 23, 0x3c000000
	v_and_b32_e32 v4, 0x80000000, v4
	s_delay_alu instid0(VALU_DEP_1)
	v_or3_b32 v3, v12, v4, v3
.LBB389_399:                            ;   in Loop: Header=BB389_225 Depth=1
	s_or_b32 exec_lo, exec_lo, s14
.LBB389_400:                            ;   in Loop: Header=BB389_225 Depth=1
	s_delay_alu instid0(SALU_CYCLE_1)
	s_or_b32 exec_lo, exec_lo, s11
.LBB389_401:                            ;   in Loop: Header=BB389_225 Depth=1
	s_delay_alu instid0(SALU_CYCLE_1) | instskip(NEXT) | instid1(VALU_DEP_1)
	s_or_b32 exec_lo, exec_lo, s10
	v_mul_f32_e32 v3, s3, v3
                                        ; implicit-def: $vgpr44
	s_delay_alu instid0(VALU_DEP_1) | instskip(NEXT) | instid1(VALU_DEP_1)
	v_and_b32_e32 v4, 0x7f800000, v3
	v_cmp_ne_u32_e64 s0, 0x7f800000, v4
	s_delay_alu instid0(VALU_DEP_1) | instskip(NEXT) | instid1(SALU_CYCLE_1)
	s_and_saveexec_b32 s10, s0
	s_xor_b32 s0, exec_lo, s10
; %bb.402:                              ;   in Loop: Header=BB389_225 Depth=1
	v_bfe_u32 v4, v3, 16, 1
	s_delay_alu instid0(VALU_DEP_1)
	v_add3_u32 v44, v3, v4, 0x7fff
                                        ; implicit-def: $vgpr3
; %bb.403:                              ;   in Loop: Header=BB389_225 Depth=1
	s_and_not1_saveexec_b32 s10, s0
; %bb.404:                              ;   in Loop: Header=BB389_225 Depth=1
	v_and_b32_e32 v4, 0xffff, v3
	v_or_b32_e32 v12, 0x10000, v3
	s_delay_alu instid0(VALU_DEP_2) | instskip(NEXT) | instid1(VALU_DEP_1)
	v_cmp_eq_u32_e64 s0, 0, v4
	v_cndmask_b32_e64 v44, v12, v3, s0
; %bb.405:                              ;   in Loop: Header=BB389_225 Depth=1
	s_or_b32 exec_lo, exec_lo, s10
	v_lshrrev_b32_e32 v3, 16, v1
	v_mov_b32_e32 v4, 0
	s_mov_b32 s10, exec_lo
	s_delay_alu instid0(VALU_DEP_2) | instskip(NEXT) | instid1(VALU_DEP_1)
	v_and_b32_e32 v12, 0xff, v3
	v_cmpx_ne_u16_e32 0, v12
	s_cbranch_execz .LBB389_413
; %bb.406:                              ;   in Loop: Header=BB389_225 Depth=1
	v_bfrev_b32_e32 v4, 1
	s_mov_b32 s11, exec_lo
	v_cmpx_ne_u16_e32 0x80, v12
	s_cbranch_execz .LBB389_412
; %bb.407:                              ;   in Loop: Header=BB389_225 Depth=1
	v_bfe_u32 v45, v1, 16, 7
	v_mov_b32_e32 v4, 0x7f800001
	s_mov_b32 s14, exec_lo
	s_delay_alu instid0(VALU_DEP_2)
	v_cmpx_ne_u32_e32 0x7f, v45
	s_cbranch_execz .LBB389_411
; %bb.408:                              ;   in Loop: Header=BB389_225 Depth=1
	v_and_b32_e32 v12, 7, v3
	v_lshrrev_b32_e32 v4, 3, v45
	s_mov_b32 s16, exec_lo
	v_cmpx_gt_u32_e32 8, v45
; %bb.409:                              ;   in Loop: Header=BB389_225 Depth=1
	s_delay_alu instid0(VALU_DEP_3) | instskip(NEXT) | instid1(VALU_DEP_1)
	v_clz_i32_u32_e32 v4, v12
	v_min_u32_e32 v4, 32, v4
	s_delay_alu instid0(VALU_DEP_1) | instskip(SKIP_1) | instid1(VALU_DEP_2)
	v_subrev_nc_u32_e32 v45, 28, v4
	v_sub_nc_u32_e32 v4, 29, v4
	v_lshlrev_b64 v[45:46], v45, v[12:13]
	s_delay_alu instid0(VALU_DEP_1)
	v_and_b32_e32 v12, 7, v45
; %bb.410:                              ;   in Loop: Header=BB389_225 Depth=1
	s_or_b32 exec_lo, exec_lo, s16
	v_lshlrev_b32_e32 v3, 24, v3
	s_delay_alu instid0(VALU_DEP_2) | instskip(SKIP_1) | instid1(VALU_DEP_3)
	v_lshlrev_b32_e32 v12, 20, v12
	v_lshl_add_u32 v4, v4, 23, 0x3c000000
	v_and_b32_e32 v3, 0x80000000, v3
	s_delay_alu instid0(VALU_DEP_1)
	v_or3_b32 v4, v12, v3, v4
.LBB389_411:                            ;   in Loop: Header=BB389_225 Depth=1
	s_or_b32 exec_lo, exec_lo, s14
.LBB389_412:                            ;   in Loop: Header=BB389_225 Depth=1
	s_delay_alu instid0(SALU_CYCLE_1)
	s_or_b32 exec_lo, exec_lo, s11
.LBB389_413:                            ;   in Loop: Header=BB389_225 Depth=1
	s_delay_alu instid0(SALU_CYCLE_1) | instskip(NEXT) | instid1(VALU_DEP_1)
	s_or_b32 exec_lo, exec_lo, s10
	v_mul_f32_e32 v3, s3, v4
                                        ; implicit-def: $vgpr45
	s_delay_alu instid0(VALU_DEP_1) | instskip(NEXT) | instid1(VALU_DEP_1)
	v_and_b32_e32 v4, 0x7f800000, v3
	v_cmp_ne_u32_e64 s0, 0x7f800000, v4
	s_delay_alu instid0(VALU_DEP_1) | instskip(NEXT) | instid1(SALU_CYCLE_1)
	s_and_saveexec_b32 s10, s0
	s_xor_b32 s0, exec_lo, s10
; %bb.414:                              ;   in Loop: Header=BB389_225 Depth=1
	v_bfe_u32 v4, v3, 16, 1
	s_delay_alu instid0(VALU_DEP_1)
	v_add3_u32 v45, v3, v4, 0x7fff
                                        ; implicit-def: $vgpr3
; %bb.415:                              ;   in Loop: Header=BB389_225 Depth=1
	s_and_not1_saveexec_b32 s10, s0
; %bb.416:                              ;   in Loop: Header=BB389_225 Depth=1
	v_and_b32_e32 v4, 0xffff, v3
	v_or_b32_e32 v12, 0x10000, v3
	s_delay_alu instid0(VALU_DEP_2) | instskip(NEXT) | instid1(VALU_DEP_1)
	v_cmp_eq_u32_e64 s0, 0, v4
	v_cndmask_b32_e64 v45, v12, v3, s0
; %bb.417:                              ;   in Loop: Header=BB389_225 Depth=1
	s_or_b32 exec_lo, exec_lo, s10
	v_mov_b32_e32 v4, 0
	s_mov_b32 s10, exec_lo
	v_cmpx_lt_u32_e32 0xffffff, v1
	s_cbranch_execz .LBB389_425
; %bb.418:                              ;   in Loop: Header=BB389_225 Depth=1
	v_lshrrev_b32_e32 v3, 24, v1
	v_bfrev_b32_e32 v4, 1
	s_mov_b32 s11, exec_lo
	s_delay_alu instid0(VALU_DEP_2)
	v_cmpx_ne_u32_e32 0x80, v3
	s_cbranch_execz .LBB389_424
; %bb.419:                              ;   in Loop: Header=BB389_225 Depth=1
	v_bfe_u32 v46, v1, 24, 7
	v_mov_b32_e32 v4, 0x7f800001
	s_mov_b32 s14, exec_lo
	s_delay_alu instid0(VALU_DEP_2)
	v_cmpx_ne_u32_e32 0x7f, v46
	s_cbranch_execz .LBB389_423
; %bb.420:                              ;   in Loop: Header=BB389_225 Depth=1
	v_and_b32_e32 v12, 7, v3
	v_lshrrev_b32_e32 v4, 3, v46
	s_mov_b32 s16, exec_lo
	v_cmpx_gt_u32_e32 8, v46
; %bb.421:                              ;   in Loop: Header=BB389_225 Depth=1
	s_delay_alu instid0(VALU_DEP_3) | instskip(NEXT) | instid1(VALU_DEP_1)
	v_clz_i32_u32_e32 v4, v12
	v_min_u32_e32 v4, 32, v4
	s_delay_alu instid0(VALU_DEP_1) | instskip(SKIP_1) | instid1(VALU_DEP_2)
	v_subrev_nc_u32_e32 v46, 28, v4
	v_sub_nc_u32_e32 v4, 29, v4
	v_lshlrev_b64 v[46:47], v46, v[12:13]
	s_delay_alu instid0(VALU_DEP_1)
	v_and_b32_e32 v12, 7, v46
; %bb.422:                              ;   in Loop: Header=BB389_225 Depth=1
	s_or_b32 exec_lo, exec_lo, s16
	v_lshlrev_b32_e32 v3, 24, v3
	s_delay_alu instid0(VALU_DEP_2) | instskip(SKIP_1) | instid1(VALU_DEP_3)
	v_lshlrev_b32_e32 v12, 20, v12
	v_lshl_add_u32 v4, v4, 23, 0x3c000000
	v_and_b32_e32 v3, 0x80000000, v3
	s_delay_alu instid0(VALU_DEP_1)
	v_or3_b32 v4, v12, v3, v4
.LBB389_423:                            ;   in Loop: Header=BB389_225 Depth=1
	s_or_b32 exec_lo, exec_lo, s14
.LBB389_424:                            ;   in Loop: Header=BB389_225 Depth=1
	s_delay_alu instid0(SALU_CYCLE_1)
	s_or_b32 exec_lo, exec_lo, s11
.LBB389_425:                            ;   in Loop: Header=BB389_225 Depth=1
	s_delay_alu instid0(SALU_CYCLE_1) | instskip(NEXT) | instid1(VALU_DEP_1)
	s_or_b32 exec_lo, exec_lo, s10
	v_mul_f32_e32 v3, s3, v4
                                        ; implicit-def: $vgpr46
	s_delay_alu instid0(VALU_DEP_1) | instskip(NEXT) | instid1(VALU_DEP_1)
	v_and_b32_e32 v4, 0x7f800000, v3
	v_cmp_ne_u32_e64 s0, 0x7f800000, v4
	s_delay_alu instid0(VALU_DEP_1) | instskip(NEXT) | instid1(SALU_CYCLE_1)
	s_and_saveexec_b32 s10, s0
	s_xor_b32 s0, exec_lo, s10
; %bb.426:                              ;   in Loop: Header=BB389_225 Depth=1
	v_bfe_u32 v4, v3, 16, 1
	s_delay_alu instid0(VALU_DEP_1)
	v_add3_u32 v46, v3, v4, 0x7fff
                                        ; implicit-def: $vgpr3
; %bb.427:                              ;   in Loop: Header=BB389_225 Depth=1
	s_and_not1_saveexec_b32 s10, s0
; %bb.428:                              ;   in Loop: Header=BB389_225 Depth=1
	v_and_b32_e32 v4, 0xffff, v3
	v_or_b32_e32 v12, 0x10000, v3
	s_delay_alu instid0(VALU_DEP_2) | instskip(NEXT) | instid1(VALU_DEP_1)
	v_cmp_eq_u32_e64 s0, 0, v4
	v_cndmask_b32_e64 v46, v12, v3, s0
; %bb.429:                              ;   in Loop: Header=BB389_225 Depth=1
	s_or_b32 exec_lo, exec_lo, s10
	v_dual_mov_b32 v3, 0 :: v_dual_and_b32 v4, 0xff, v2
	v_mov_b32_e32 v12, v2
	s_mov_b32 s10, exec_lo
	s_delay_alu instid0(VALU_DEP_2)
	v_cmpx_ne_u16_e32 0, v4
	s_cbranch_execz .LBB389_435
; %bb.430:                              ;   in Loop: Header=BB389_225 Depth=1
	v_bfrev_b32_e32 v3, 1
	s_mov_b32 s11, exec_lo
	v_cmpx_ne_u16_e32 0x80, v4
	s_cbranch_execz .LBB389_434
; %bb.431:                              ;   in Loop: Header=BB389_225 Depth=1
	v_and_b32_e32 v4, 0x7f, v2
	v_mov_b32_e32 v3, 0x7f800001
	s_mov_b32 s14, exec_lo
	s_delay_alu instid0(VALU_DEP_2)
	v_cmpx_ne_u32_e32 0x7f, v4
	s_cbranch_execz .LBB389_433
; %bb.432:                              ;   in Loop: Header=BB389_225 Depth=1
	v_and_b32_e32 v3, 7, v2
	v_lshrrev_b32_e32 v47, 3, v4
	v_cmp_gt_u32_e64 s0, 8, v4
	s_delay_alu instid0(VALU_DEP_3) | instskip(NEXT) | instid1(VALU_DEP_1)
	v_clz_i32_u32_e32 v3, v3
	v_min_u32_e32 v3, 32, v3
	s_delay_alu instid0(VALU_DEP_1) | instskip(SKIP_1) | instid1(VALU_DEP_1)
	v_subrev_nc_u32_e32 v48, 28, v3
	v_sub_nc_u32_e32 v3, 29, v3
	v_cndmask_b32_e64 v47, v47, v3, s0
	s_delay_alu instid0(VALU_DEP_3) | instskip(NEXT) | instid1(VALU_DEP_2)
	v_cndmask_b32_e64 v3, 0, v48, s0
	v_lshl_add_u32 v47, v47, 23, 0x3c000000
	s_delay_alu instid0(VALU_DEP_2) | instskip(SKIP_1) | instid1(VALU_DEP_2)
	v_lshlrev_b64 v[3:4], v3, v[12:13]
	v_lshlrev_b32_e32 v4, 24, v12
	v_lshlrev_b32_e32 v3, 20, v3
	s_delay_alu instid0(VALU_DEP_2) | instskip(NEXT) | instid1(VALU_DEP_2)
	v_and_b32_e32 v4, 0x80000000, v4
	v_and_b32_e32 v3, 0x700000, v3
	s_delay_alu instid0(VALU_DEP_1)
	v_or3_b32 v3, v3, v4, v47
.LBB389_433:                            ;   in Loop: Header=BB389_225 Depth=1
	s_or_b32 exec_lo, exec_lo, s14
.LBB389_434:                            ;   in Loop: Header=BB389_225 Depth=1
	s_delay_alu instid0(SALU_CYCLE_1)
	s_or_b32 exec_lo, exec_lo, s11
.LBB389_435:                            ;   in Loop: Header=BB389_225 Depth=1
	s_delay_alu instid0(SALU_CYCLE_1) | instskip(NEXT) | instid1(VALU_DEP_1)
	s_or_b32 exec_lo, exec_lo, s10
	v_mul_f32_e32 v3, s3, v3
                                        ; implicit-def: $vgpr47
	s_delay_alu instid0(VALU_DEP_1) | instskip(NEXT) | instid1(VALU_DEP_1)
	v_and_b32_e32 v4, 0x7f800000, v3
	v_cmp_ne_u32_e64 s0, 0x7f800000, v4
	s_delay_alu instid0(VALU_DEP_1) | instskip(NEXT) | instid1(SALU_CYCLE_1)
	s_and_saveexec_b32 s10, s0
	s_xor_b32 s0, exec_lo, s10
; %bb.436:                              ;   in Loop: Header=BB389_225 Depth=1
	v_bfe_u32 v4, v3, 16, 1
	s_delay_alu instid0(VALU_DEP_1)
	v_add3_u32 v47, v3, v4, 0x7fff
                                        ; implicit-def: $vgpr3
; %bb.437:                              ;   in Loop: Header=BB389_225 Depth=1
	s_and_not1_saveexec_b32 s10, s0
; %bb.438:                              ;   in Loop: Header=BB389_225 Depth=1
	v_and_b32_e32 v4, 0xffff, v3
	v_or_b32_e32 v47, 0x10000, v3
	s_delay_alu instid0(VALU_DEP_2) | instskip(NEXT) | instid1(VALU_DEP_1)
	v_cmp_eq_u32_e64 s0, 0, v4
	v_cndmask_b32_e64 v47, v47, v3, s0
; %bb.439:                              ;   in Loop: Header=BB389_225 Depth=1
	s_or_b32 exec_lo, exec_lo, s10
	v_lshrrev_b16 v4, 8, v12
	v_mov_b32_e32 v3, 0
	s_mov_b32 s10, exec_lo
	s_delay_alu instid0(VALU_DEP_2)
	v_cmpx_ne_u16_e32 0, v4
	s_cbranch_execz .LBB389_447
; %bb.440:                              ;   in Loop: Header=BB389_225 Depth=1
	v_bfrev_b32_e32 v3, 1
	s_mov_b32 s11, exec_lo
	v_cmpx_ne_u16_e32 0x80, v4
	s_cbranch_execz .LBB389_446
; %bb.441:                              ;   in Loop: Header=BB389_225 Depth=1
	v_and_b32_e32 v4, 0xffff, v4
	v_mov_b32_e32 v3, 0x7f800001
	s_mov_b32 s14, exec_lo
	s_delay_alu instid0(VALU_DEP_2) | instskip(NEXT) | instid1(VALU_DEP_1)
	v_and_b32_e32 v49, 0x7f, v4
	v_cmpx_ne_u32_e32 0x7f, v49
	s_cbranch_execz .LBB389_445
; %bb.442:                              ;   in Loop: Header=BB389_225 Depth=1
	v_dual_mov_b32 v4, v13 :: v_dual_and_b32 v3, 7, v4
	v_lshrrev_b32_e32 v48, 3, v49
	s_mov_b32 s16, exec_lo
	v_cmpx_gt_u32_e32 8, v49
; %bb.443:                              ;   in Loop: Header=BB389_225 Depth=1
	s_delay_alu instid0(VALU_DEP_3) | instskip(NEXT) | instid1(VALU_DEP_1)
	v_clz_i32_u32_e32 v48, v3
	v_min_u32_e32 v48, 32, v48
	s_delay_alu instid0(VALU_DEP_1) | instskip(SKIP_1) | instid1(VALU_DEP_2)
	v_subrev_nc_u32_e32 v49, 28, v48
	v_sub_nc_u32_e32 v48, 29, v48
	v_lshlrev_b64 v[3:4], v49, v[3:4]
	s_delay_alu instid0(VALU_DEP_1)
	v_and_b32_e32 v3, 7, v3
; %bb.444:                              ;   in Loop: Header=BB389_225 Depth=1
	s_or_b32 exec_lo, exec_lo, s16
	v_lshlrev_b32_e32 v4, 16, v12
	s_delay_alu instid0(VALU_DEP_2) | instskip(SKIP_1) | instid1(VALU_DEP_3)
	v_lshlrev_b32_e32 v3, 20, v3
	v_lshl_add_u32 v12, v48, 23, 0x3c000000
	v_and_b32_e32 v4, 0x80000000, v4
	s_delay_alu instid0(VALU_DEP_1)
	v_or3_b32 v3, v3, v4, v12
.LBB389_445:                            ;   in Loop: Header=BB389_225 Depth=1
	s_or_b32 exec_lo, exec_lo, s14
.LBB389_446:                            ;   in Loop: Header=BB389_225 Depth=1
	s_delay_alu instid0(SALU_CYCLE_1)
	s_or_b32 exec_lo, exec_lo, s11
.LBB389_447:                            ;   in Loop: Header=BB389_225 Depth=1
	s_delay_alu instid0(SALU_CYCLE_1) | instskip(NEXT) | instid1(VALU_DEP_1)
	s_or_b32 exec_lo, exec_lo, s10
	v_mul_f32_e32 v4, s3, v3
	s_delay_alu instid0(VALU_DEP_1) | instskip(NEXT) | instid1(VALU_DEP_1)
	v_and_b32_e32 v3, 0x7f800000, v4
	v_cmp_ne_u32_e64 s0, 0x7f800000, v3
                                        ; implicit-def: $vgpr3
	s_delay_alu instid0(VALU_DEP_1) | instskip(NEXT) | instid1(SALU_CYCLE_1)
	s_and_saveexec_b32 s10, s0
	s_xor_b32 s0, exec_lo, s10
; %bb.448:                              ;   in Loop: Header=BB389_225 Depth=1
	v_bfe_u32 v3, v4, 16, 1
	s_delay_alu instid0(VALU_DEP_1)
	v_add3_u32 v3, v4, v3, 0x7fff
                                        ; implicit-def: $vgpr4
; %bb.449:                              ;   in Loop: Header=BB389_225 Depth=1
	s_and_not1_saveexec_b32 s10, s0
; %bb.450:                              ;   in Loop: Header=BB389_225 Depth=1
	v_and_b32_e32 v3, 0xffff, v4
	v_or_b32_e32 v12, 0x10000, v4
	s_delay_alu instid0(VALU_DEP_2) | instskip(NEXT) | instid1(VALU_DEP_1)
	v_cmp_eq_u32_e64 s0, 0, v3
	v_cndmask_b32_e64 v3, v12, v4, s0
; %bb.451:                              ;   in Loop: Header=BB389_225 Depth=1
	s_or_b32 exec_lo, exec_lo, s10
	v_lshrrev_b32_e32 v4, 16, v2
	v_mov_b32_e32 v12, 0
	s_mov_b32 s10, exec_lo
	s_delay_alu instid0(VALU_DEP_2) | instskip(NEXT) | instid1(VALU_DEP_1)
	v_and_b32_e32 v48, 0xff, v4
	v_cmpx_ne_u16_e32 0, v48
	s_cbranch_execz .LBB389_459
; %bb.452:                              ;   in Loop: Header=BB389_225 Depth=1
	v_bfrev_b32_e32 v12, 1
	s_mov_b32 s11, exec_lo
	v_cmpx_ne_u16_e32 0x80, v48
	s_cbranch_execz .LBB389_458
; %bb.453:                              ;   in Loop: Header=BB389_225 Depth=1
	v_bfe_u32 v49, v2, 16, 7
	v_mov_b32_e32 v12, 0x7f800001
	s_mov_b32 s14, exec_lo
	s_delay_alu instid0(VALU_DEP_2)
	v_cmpx_ne_u32_e32 0x7f, v49
	s_cbranch_execz .LBB389_457
; %bb.454:                              ;   in Loop: Header=BB389_225 Depth=1
	v_and_b32_e32 v12, 7, v4
	v_lshrrev_b32_e32 v48, 3, v49
	s_mov_b32 s16, exec_lo
	v_cmpx_gt_u32_e32 8, v49
; %bb.455:                              ;   in Loop: Header=BB389_225 Depth=1
	s_delay_alu instid0(VALU_DEP_3) | instskip(NEXT) | instid1(VALU_DEP_1)
	v_clz_i32_u32_e32 v48, v12
	v_min_u32_e32 v48, 32, v48
	s_delay_alu instid0(VALU_DEP_1) | instskip(SKIP_1) | instid1(VALU_DEP_2)
	v_subrev_nc_u32_e32 v49, 28, v48
	v_sub_nc_u32_e32 v48, 29, v48
	v_lshlrev_b64 v[49:50], v49, v[12:13]
	s_delay_alu instid0(VALU_DEP_1)
	v_and_b32_e32 v12, 7, v49
; %bb.456:                              ;   in Loop: Header=BB389_225 Depth=1
	s_or_b32 exec_lo, exec_lo, s16
	v_lshlrev_b32_e32 v4, 24, v4
	s_delay_alu instid0(VALU_DEP_2) | instskip(SKIP_1) | instid1(VALU_DEP_3)
	v_lshlrev_b32_e32 v12, 20, v12
	v_lshl_add_u32 v48, v48, 23, 0x3c000000
	v_and_b32_e32 v4, 0x80000000, v4
	s_delay_alu instid0(VALU_DEP_1)
	v_or3_b32 v12, v12, v4, v48
.LBB389_457:                            ;   in Loop: Header=BB389_225 Depth=1
	s_or_b32 exec_lo, exec_lo, s14
.LBB389_458:                            ;   in Loop: Header=BB389_225 Depth=1
	s_delay_alu instid0(SALU_CYCLE_1)
	s_or_b32 exec_lo, exec_lo, s11
.LBB389_459:                            ;   in Loop: Header=BB389_225 Depth=1
	s_delay_alu instid0(SALU_CYCLE_1) | instskip(NEXT) | instid1(VALU_DEP_1)
	s_or_b32 exec_lo, exec_lo, s10
	v_mul_f32_e32 v12, s3, v12
	s_delay_alu instid0(VALU_DEP_1) | instskip(NEXT) | instid1(VALU_DEP_1)
	v_and_b32_e32 v4, 0x7f800000, v12
	v_cmp_ne_u32_e64 s0, 0x7f800000, v4
                                        ; implicit-def: $vgpr4
	s_delay_alu instid0(VALU_DEP_1) | instskip(NEXT) | instid1(SALU_CYCLE_1)
	s_and_saveexec_b32 s10, s0
	s_xor_b32 s0, exec_lo, s10
; %bb.460:                              ;   in Loop: Header=BB389_225 Depth=1
	v_bfe_u32 v4, v12, 16, 1
	s_delay_alu instid0(VALU_DEP_1)
	v_add3_u32 v4, v12, v4, 0x7fff
                                        ; implicit-def: $vgpr12
; %bb.461:                              ;   in Loop: Header=BB389_225 Depth=1
	s_and_not1_saveexec_b32 s10, s0
; %bb.462:                              ;   in Loop: Header=BB389_225 Depth=1
	v_and_b32_e32 v4, 0xffff, v12
	v_or_b32_e32 v48, 0x10000, v12
	s_delay_alu instid0(VALU_DEP_2) | instskip(NEXT) | instid1(VALU_DEP_1)
	v_cmp_eq_u32_e64 s0, 0, v4
	v_cndmask_b32_e64 v4, v48, v12, s0
; %bb.463:                              ;   in Loop: Header=BB389_225 Depth=1
	s_or_b32 exec_lo, exec_lo, s10
	v_mov_b32_e32 v12, 0
	s_mov_b32 s10, exec_lo
	v_cmpx_lt_u64_e64 s[8:9], v[1:2]
	s_cbranch_execz .LBB389_471
; %bb.464:                              ;   in Loop: Header=BB389_225 Depth=1
	v_lshrrev_b32_e32 v1, 24, v2
	v_bfrev_b32_e32 v12, 1
	s_mov_b32 s11, exec_lo
	s_delay_alu instid0(VALU_DEP_2)
	v_cmpx_ne_u32_e32 0x80, v1
	s_cbranch_execz .LBB389_470
; %bb.465:                              ;   in Loop: Header=BB389_225 Depth=1
	v_bfe_u32 v48, v2, 24, 7
	v_mov_b32_e32 v12, 0x7f800001
	s_mov_b32 s14, exec_lo
	s_delay_alu instid0(VALU_DEP_2)
	v_cmpx_ne_u32_e32 0x7f, v48
	s_cbranch_execz .LBB389_469
; %bb.466:                              ;   in Loop: Header=BB389_225 Depth=1
	v_and_b32_e32 v12, 7, v1
	v_lshrrev_b32_e32 v2, 3, v48
	s_mov_b32 s16, exec_lo
	v_cmpx_gt_u32_e32 8, v48
; %bb.467:                              ;   in Loop: Header=BB389_225 Depth=1
	s_delay_alu instid0(VALU_DEP_3) | instskip(NEXT) | instid1(VALU_DEP_1)
	v_clz_i32_u32_e32 v2, v12
	v_min_u32_e32 v2, 32, v2
	s_delay_alu instid0(VALU_DEP_1) | instskip(SKIP_1) | instid1(VALU_DEP_2)
	v_subrev_nc_u32_e32 v48, 28, v2
	v_sub_nc_u32_e32 v2, 29, v2
	v_lshlrev_b64 v[48:49], v48, v[12:13]
	s_delay_alu instid0(VALU_DEP_1)
	v_and_b32_e32 v12, 7, v48
; %bb.468:                              ;   in Loop: Header=BB389_225 Depth=1
	s_or_b32 exec_lo, exec_lo, s16
	v_lshlrev_b32_e32 v1, 24, v1
	s_delay_alu instid0(VALU_DEP_2) | instskip(SKIP_1) | instid1(VALU_DEP_3)
	v_lshlrev_b32_e32 v12, 20, v12
	v_lshl_add_u32 v2, v2, 23, 0x3c000000
	v_and_b32_e32 v1, 0x80000000, v1
	s_delay_alu instid0(VALU_DEP_1)
	v_or3_b32 v12, v12, v1, v2
.LBB389_469:                            ;   in Loop: Header=BB389_225 Depth=1
	s_or_b32 exec_lo, exec_lo, s14
.LBB389_470:                            ;   in Loop: Header=BB389_225 Depth=1
	s_delay_alu instid0(SALU_CYCLE_1)
	s_or_b32 exec_lo, exec_lo, s11
.LBB389_471:                            ;   in Loop: Header=BB389_225 Depth=1
	s_delay_alu instid0(SALU_CYCLE_1) | instskip(NEXT) | instid1(VALU_DEP_1)
	s_or_b32 exec_lo, exec_lo, s10
	v_mul_f32_e32 v2, s3, v12
	s_delay_alu instid0(VALU_DEP_1) | instskip(NEXT) | instid1(VALU_DEP_1)
	v_and_b32_e32 v1, 0x7f800000, v2
	v_cmp_ne_u32_e64 s0, 0x7f800000, v1
                                        ; implicit-def: $vgpr1
	s_delay_alu instid0(VALU_DEP_1) | instskip(NEXT) | instid1(SALU_CYCLE_1)
	s_and_saveexec_b32 s10, s0
	s_xor_b32 s0, exec_lo, s10
; %bb.472:                              ;   in Loop: Header=BB389_225 Depth=1
	v_bfe_u32 v1, v2, 16, 1
	s_delay_alu instid0(VALU_DEP_1)
	v_add3_u32 v1, v2, v1, 0x7fff
                                        ; implicit-def: $vgpr2
; %bb.473:                              ;   in Loop: Header=BB389_225 Depth=1
	s_and_not1_saveexec_b32 s10, s0
; %bb.474:                              ;   in Loop: Header=BB389_225 Depth=1
	v_and_b32_e32 v1, 0xffff, v2
	v_or_b32_e32 v12, 0x10000, v2
	s_delay_alu instid0(VALU_DEP_2) | instskip(NEXT) | instid1(VALU_DEP_1)
	v_cmp_eq_u32_e64 s0, 0, v1
	v_cndmask_b32_e64 v1, v12, v2, s0
; %bb.475:                              ;   in Loop: Header=BB389_225 Depth=1
	s_or_b32 exec_lo, exec_lo, s10
	v_lshrrev_b32_e32 v12, 16, v3
	v_lshrrev_b32_e32 v47, 16, v47
	;; [unrolled: 1-line block ×8, first 2 shown]
	s_and_saveexec_b32 s0, vcc_lo
	s_cbranch_execz .LBB389_477
; %bb.476:                              ;   in Loop: Header=BB389_225 Depth=1
	v_cmp_gt_i32_e32 vcc_lo, s15, v27
	v_cndmask_b32_e32 v2, 0, v2, vcc_lo
	v_cmp_gt_i32_e32 vcc_lo, s15, v34
	v_cndmask_b32_e32 v44, 0, v44, vcc_lo
	v_cmp_gt_i32_e32 vcc_lo, s15, v33
	v_cndmask_b32_e32 v45, 0, v45, vcc_lo
	v_cmp_gt_i32_e32 vcc_lo, s15, v31
	v_cndmask_b32_e32 v46, 0, v46, vcc_lo
	v_cmp_gt_i32_e32 vcc_lo, s15, v30
	v_cndmask_b32_e32 v47, 0, v47, vcc_lo
	v_cmp_gt_i32_e32 vcc_lo, s15, v29
	v_cndmask_b32_e32 v12, 0, v12, vcc_lo
	v_cmp_gt_i32_e32 vcc_lo, s15, v28
	v_cndmask_b32_e32 v3, 0, v3, vcc_lo
	v_cmp_gt_i32_e32 vcc_lo, s15, v23
	v_cndmask_b32_e32 v1, 0, v1, vcc_lo
.LBB389_477:                            ;   in Loop: Header=BB389_225 Depth=1
	s_or_b32 exec_lo, exec_lo, s0
	v_lshlrev_b32_e32 v2, 16, v2
	s_delay_alu instid0(VALU_DEP_1) | instskip(NEXT) | instid1(VALU_DEP_1)
	v_mul_f32_e32 v4, v35, v2
	v_and_b32_e32 v2, 0x7f800000, v4
	s_delay_alu instid0(VALU_DEP_1) | instskip(SKIP_1) | instid1(SALU_CYCLE_1)
	v_cmp_ne_u32_e32 vcc_lo, 0x7f800000, v2
                                        ; implicit-def: $vgpr2
	s_and_saveexec_b32 s0, vcc_lo
	s_xor_b32 s0, exec_lo, s0
; %bb.478:                              ;   in Loop: Header=BB389_225 Depth=1
	v_bfe_u32 v2, v4, 16, 1
	s_delay_alu instid0(VALU_DEP_1)
	v_add3_u32 v2, v4, v2, 0x7fff
                                        ; implicit-def: $vgpr4
; %bb.479:                              ;   in Loop: Header=BB389_225 Depth=1
	s_and_not1_saveexec_b32 s0, s0
; %bb.480:                              ;   in Loop: Header=BB389_225 Depth=1
	v_and_b32_e32 v2, 0xffff, v4
	v_or_b32_e32 v27, 0x10000, v4
	s_delay_alu instid0(VALU_DEP_2) | instskip(NEXT) | instid1(VALU_DEP_2)
	v_cmp_eq_u32_e32 vcc_lo, 0, v2
	v_cndmask_b32_e32 v2, v27, v4, vcc_lo
; %bb.481:                              ;   in Loop: Header=BB389_225 Depth=1
	s_or_b32 exec_lo, exec_lo, s0
	v_lshlrev_b32_e32 v4, 16, v44
	s_delay_alu instid0(VALU_DEP_1) | instskip(NEXT) | instid1(VALU_DEP_1)
	v_mul_f32_e32 v27, v36, v4
	v_and_b32_e32 v4, 0x7f800000, v27
	s_delay_alu instid0(VALU_DEP_1) | instskip(SKIP_1) | instid1(SALU_CYCLE_1)
	v_cmp_ne_u32_e32 vcc_lo, 0x7f800000, v4
                                        ; implicit-def: $vgpr4
	s_and_saveexec_b32 s0, vcc_lo
	s_xor_b32 s0, exec_lo, s0
; %bb.482:                              ;   in Loop: Header=BB389_225 Depth=1
	v_bfe_u32 v4, v27, 16, 1
	s_delay_alu instid0(VALU_DEP_1)
	v_add3_u32 v4, v27, v4, 0x7fff
                                        ; implicit-def: $vgpr27
; %bb.483:                              ;   in Loop: Header=BB389_225 Depth=1
	s_and_not1_saveexec_b32 s0, s0
; %bb.484:                              ;   in Loop: Header=BB389_225 Depth=1
	v_and_b32_e32 v4, 0xffff, v27
	v_or_b32_e32 v28, 0x10000, v27
	s_delay_alu instid0(VALU_DEP_2) | instskip(NEXT) | instid1(VALU_DEP_2)
	v_cmp_eq_u32_e32 vcc_lo, 0, v4
	v_cndmask_b32_e32 v4, v28, v27, vcc_lo
; %bb.485:                              ;   in Loop: Header=BB389_225 Depth=1
	s_or_b32 exec_lo, exec_lo, s0
	v_lshlrev_b32_e32 v27, 16, v45
	s_delay_alu instid0(VALU_DEP_1) | instskip(NEXT) | instid1(VALU_DEP_1)
	v_mul_f32_e32 v28, v37, v27
	v_and_b32_e32 v27, 0x7f800000, v28
	s_delay_alu instid0(VALU_DEP_1) | instskip(SKIP_1) | instid1(SALU_CYCLE_1)
	v_cmp_ne_u32_e32 vcc_lo, 0x7f800000, v27
                                        ; implicit-def: $vgpr27
	s_and_saveexec_b32 s0, vcc_lo
	s_xor_b32 s0, exec_lo, s0
; %bb.486:                              ;   in Loop: Header=BB389_225 Depth=1
	v_bfe_u32 v27, v28, 16, 1
	s_delay_alu instid0(VALU_DEP_1)
	v_add3_u32 v27, v28, v27, 0x7fff
                                        ; implicit-def: $vgpr28
; %bb.487:                              ;   in Loop: Header=BB389_225 Depth=1
	s_and_not1_saveexec_b32 s0, s0
; %bb.488:                              ;   in Loop: Header=BB389_225 Depth=1
	v_and_b32_e32 v27, 0xffff, v28
	v_or_b32_e32 v29, 0x10000, v28
	s_delay_alu instid0(VALU_DEP_2) | instskip(NEXT) | instid1(VALU_DEP_2)
	v_cmp_eq_u32_e32 vcc_lo, 0, v27
	v_cndmask_b32_e32 v27, v29, v28, vcc_lo
; %bb.489:                              ;   in Loop: Header=BB389_225 Depth=1
	s_or_b32 exec_lo, exec_lo, s0
	v_lshlrev_b32_e32 v28, 16, v46
	s_delay_alu instid0(VALU_DEP_1) | instskip(NEXT) | instid1(VALU_DEP_1)
	v_mul_f32_e32 v29, v38, v28
	v_and_b32_e32 v28, 0x7f800000, v29
	s_delay_alu instid0(VALU_DEP_1) | instskip(SKIP_1) | instid1(SALU_CYCLE_1)
	v_cmp_ne_u32_e32 vcc_lo, 0x7f800000, v28
                                        ; implicit-def: $vgpr28
	s_and_saveexec_b32 s0, vcc_lo
	s_xor_b32 s0, exec_lo, s0
; %bb.490:                              ;   in Loop: Header=BB389_225 Depth=1
	v_bfe_u32 v28, v29, 16, 1
	s_delay_alu instid0(VALU_DEP_1)
	v_add3_u32 v28, v29, v28, 0x7fff
                                        ; implicit-def: $vgpr29
; %bb.491:                              ;   in Loop: Header=BB389_225 Depth=1
	s_and_not1_saveexec_b32 s0, s0
; %bb.492:                              ;   in Loop: Header=BB389_225 Depth=1
	v_and_b32_e32 v28, 0xffff, v29
	v_or_b32_e32 v30, 0x10000, v29
	s_delay_alu instid0(VALU_DEP_2) | instskip(NEXT) | instid1(VALU_DEP_2)
	v_cmp_eq_u32_e32 vcc_lo, 0, v28
	v_cndmask_b32_e32 v28, v30, v29, vcc_lo
; %bb.493:                              ;   in Loop: Header=BB389_225 Depth=1
	s_or_b32 exec_lo, exec_lo, s0
	v_lshlrev_b32_e32 v29, 16, v47
	s_delay_alu instid0(VALU_DEP_1) | instskip(NEXT) | instid1(VALU_DEP_1)
	v_mul_f32_e32 v30, v39, v29
	v_and_b32_e32 v29, 0x7f800000, v30
	s_delay_alu instid0(VALU_DEP_1) | instskip(SKIP_1) | instid1(SALU_CYCLE_1)
	v_cmp_ne_u32_e32 vcc_lo, 0x7f800000, v29
                                        ; implicit-def: $vgpr29
	s_and_saveexec_b32 s0, vcc_lo
	s_xor_b32 s0, exec_lo, s0
; %bb.494:                              ;   in Loop: Header=BB389_225 Depth=1
	v_bfe_u32 v29, v30, 16, 1
	s_delay_alu instid0(VALU_DEP_1)
	v_add3_u32 v29, v30, v29, 0x7fff
                                        ; implicit-def: $vgpr30
; %bb.495:                              ;   in Loop: Header=BB389_225 Depth=1
	s_and_not1_saveexec_b32 s0, s0
; %bb.496:                              ;   in Loop: Header=BB389_225 Depth=1
	v_and_b32_e32 v29, 0xffff, v30
	v_or_b32_e32 v31, 0x10000, v30
	s_delay_alu instid0(VALU_DEP_2) | instskip(NEXT) | instid1(VALU_DEP_2)
	v_cmp_eq_u32_e32 vcc_lo, 0, v29
	v_cndmask_b32_e32 v29, v31, v30, vcc_lo
; %bb.497:                              ;   in Loop: Header=BB389_225 Depth=1
	s_or_b32 exec_lo, exec_lo, s0
	v_lshlrev_b32_e32 v12, 16, v12
	s_delay_alu instid0(VALU_DEP_1) | instskip(NEXT) | instid1(VALU_DEP_1)
	v_mul_f32_e32 v30, v40, v12
	v_and_b32_e32 v12, 0x7f800000, v30
	s_delay_alu instid0(VALU_DEP_1) | instskip(SKIP_1) | instid1(SALU_CYCLE_1)
	v_cmp_ne_u32_e32 vcc_lo, 0x7f800000, v12
                                        ; implicit-def: $vgpr12
	s_and_saveexec_b32 s0, vcc_lo
	s_xor_b32 s0, exec_lo, s0
; %bb.498:                              ;   in Loop: Header=BB389_225 Depth=1
	v_bfe_u32 v12, v30, 16, 1
	s_delay_alu instid0(VALU_DEP_1)
	v_add3_u32 v12, v30, v12, 0x7fff
                                        ; implicit-def: $vgpr30
; %bb.499:                              ;   in Loop: Header=BB389_225 Depth=1
	s_and_not1_saveexec_b32 s0, s0
; %bb.500:                              ;   in Loop: Header=BB389_225 Depth=1
	v_and_b32_e32 v12, 0xffff, v30
	v_or_b32_e32 v31, 0x10000, v30
	s_delay_alu instid0(VALU_DEP_2) | instskip(NEXT) | instid1(VALU_DEP_2)
	v_cmp_eq_u32_e32 vcc_lo, 0, v12
	v_cndmask_b32_e32 v12, v31, v30, vcc_lo
; %bb.501:                              ;   in Loop: Header=BB389_225 Depth=1
	s_or_b32 exec_lo, exec_lo, s0
	v_lshlrev_b32_e32 v3, 16, v3
	s_delay_alu instid0(VALU_DEP_1) | instskip(NEXT) | instid1(VALU_DEP_1)
	v_mul_f32_e32 v30, v41, v3
	v_and_b32_e32 v3, 0x7f800000, v30
	s_delay_alu instid0(VALU_DEP_1) | instskip(SKIP_1) | instid1(SALU_CYCLE_1)
	v_cmp_ne_u32_e32 vcc_lo, 0x7f800000, v3
                                        ; implicit-def: $vgpr3
	s_and_saveexec_b32 s0, vcc_lo
	s_xor_b32 s0, exec_lo, s0
; %bb.502:                              ;   in Loop: Header=BB389_225 Depth=1
	v_bfe_u32 v3, v30, 16, 1
	s_delay_alu instid0(VALU_DEP_1)
	v_add3_u32 v3, v30, v3, 0x7fff
                                        ; implicit-def: $vgpr30
; %bb.503:                              ;   in Loop: Header=BB389_225 Depth=1
	s_and_not1_saveexec_b32 s0, s0
; %bb.504:                              ;   in Loop: Header=BB389_225 Depth=1
	v_and_b32_e32 v3, 0xffff, v30
	v_or_b32_e32 v31, 0x10000, v30
	s_delay_alu instid0(VALU_DEP_2) | instskip(NEXT) | instid1(VALU_DEP_2)
	v_cmp_eq_u32_e32 vcc_lo, 0, v3
	v_cndmask_b32_e32 v3, v31, v30, vcc_lo
; %bb.505:                              ;   in Loop: Header=BB389_225 Depth=1
	s_or_b32 exec_lo, exec_lo, s0
	v_lshlrev_b32_e32 v1, 16, v1
	s_delay_alu instid0(VALU_DEP_1) | instskip(NEXT) | instid1(VALU_DEP_1)
	v_mul_f32_e32 v30, v42, v1
	v_and_b32_e32 v1, 0x7f800000, v30
	s_delay_alu instid0(VALU_DEP_1) | instskip(SKIP_1) | instid1(SALU_CYCLE_1)
	v_cmp_ne_u32_e32 vcc_lo, 0x7f800000, v1
                                        ; implicit-def: $vgpr1
	s_and_saveexec_b32 s0, vcc_lo
	s_xor_b32 s0, exec_lo, s0
; %bb.506:                              ;   in Loop: Header=BB389_225 Depth=1
	v_bfe_u32 v1, v30, 16, 1
	s_delay_alu instid0(VALU_DEP_1)
	v_add3_u32 v1, v30, v1, 0x7fff
                                        ; implicit-def: $vgpr30
; %bb.507:                              ;   in Loop: Header=BB389_225 Depth=1
	s_and_not1_saveexec_b32 s0, s0
	s_cbranch_execz .LBB389_224
; %bb.508:                              ;   in Loop: Header=BB389_225 Depth=1
	v_and_b32_e32 v1, 0xffff, v30
	v_or_b32_e32 v31, 0x10000, v30
	s_delay_alu instid0(VALU_DEP_2) | instskip(NEXT) | instid1(VALU_DEP_2)
	v_cmp_eq_u32_e32 vcc_lo, 0, v1
	v_cndmask_b32_e32 v1, v31, v30, vcc_lo
	s_branch .LBB389_224
.LBB389_509:
	s_or_b32 exec_lo, exec_lo, s4
.LBB389_510:
	s_delay_alu instid0(SALU_CYCLE_1)
	s_or_b32 exec_lo, exec_lo, s1
	v_and_b32_e32 v2, 0x3c0, v0
	v_lshl_add_u32 v1, v18, 8, 0xa0
	s_mov_b32 s0, exec_lo
	s_waitcnt_vscnt null, 0x0
	s_barrier
	buffer_gl0_inv
	v_cmpx_eq_u32_e32 64, v2
	s_cbranch_execz .LBB389_512
; %bb.511:
	v_add3_u32 v2, v1, v21, 0xfffffe00
	ds_store_2addr_b32 v2, v22, v11 offset1:32
.LBB389_512:
	s_or_b32 exec_lo, exec_lo, s0
	v_lshl_add_u32 v2, v19, 2, v1
	s_mov_b32 s0, exec_lo
	s_waitcnt lgkmcnt(0)
	s_barrier
	buffer_gl0_inv
	v_cmpx_gt_u32_e32 64, v0
	s_cbranch_execz .LBB389_514
; %bb.513:
	v_lshl_or_b32 v3, v0, 2, 0x80
	s_delay_alu instid0(VALU_DEP_1)
	v_add_nc_u32_e32 v3, v1, v3
	ds_load_b32 v4, v2
	ds_load_b32 v3, v3
	s_waitcnt lgkmcnt(0)
	v_dual_add_f32 v22, v22, v4 :: v_dual_add_f32 v11, v11, v3
.LBB389_514:
	s_or_b32 exec_lo, exec_lo, s0
	v_and_b32_e32 v3, 0x3e0, v0
	s_mov_b32 s0, exec_lo
	s_barrier
	buffer_gl0_inv
	v_cmpx_eq_u32_e32 32, v3
	s_cbranch_execz .LBB389_516
; %bb.515:
	v_lshl_add_u32 v3, v19, 2, 0xa0
	ds_store_b32 v3, v22
	ds_store_b32 v20, v11
.LBB389_516:
	s_or_b32 exec_lo, exec_lo, s0
	s_waitcnt lgkmcnt(0)
	s_barrier
	buffer_gl0_inv
	s_and_saveexec_b32 s0, s2
	s_cbranch_execz .LBB389_518
; %bb.517:
	v_lshl_add_u32 v1, v0, 2, v1
	ds_load_b32 v2, v2
	ds_load_b32 v1, v1 offset:128
	s_waitcnt lgkmcnt(0)
	v_dual_add_f32 v22, v22, v2 :: v_dual_add_f32 v11, v11, v1
.LBB389_518:
	s_or_b32 exec_lo, exec_lo, s0
	s_barrier
	buffer_gl0_inv
	s_and_saveexec_b32 s0, s2
	s_cbranch_execz .LBB389_528
; %bb.519:
	v_and_b32_e32 v1, 0x7f800000, v22
	s_mov_b32 s0, exec_lo
                                        ; implicit-def: $vgpr2
	s_delay_alu instid0(VALU_DEP_1)
	v_cmpx_ne_u32_e32 0x7f800000, v1
	s_xor_b32 s0, exec_lo, s0
; %bb.520:
	v_bfe_u32 v1, v22, 16, 1
	s_delay_alu instid0(VALU_DEP_1)
	v_add3_u32 v2, v22, v1, 0x7fff
; %bb.521:
	s_and_not1_saveexec_b32 s0, s0
; %bb.522:
	v_and_b32_e32 v1, 0xffff, v22
	v_or_b32_e32 v2, 0x10000, v22
	s_delay_alu instid0(VALU_DEP_2) | instskip(NEXT) | instid1(VALU_DEP_2)
	v_cmp_eq_u32_e32 vcc_lo, 0, v1
	v_cndmask_b32_e32 v2, v2, v22, vcc_lo
; %bb.523:
	s_or_b32 exec_lo, exec_lo, s0
	s_lshl_b32 s0, s6, 6
	s_mul_i32 s2, s13, s12
	s_ashr_i32 s1, s0, 31
	v_lshlrev_b32_e32 v3, 1, v0
	s_lshl_b64 s[0:1], s[0:1], 1
	v_and_b32_e32 v4, 0x7f800000, v11
	s_add_u32 s4, s22, s0
	s_addc_u32 s5, s23, s1
	s_ashr_i32 s3, s2, 31
	s_delay_alu instid0(SALU_CYCLE_1) | instskip(NEXT) | instid1(SALU_CYCLE_1)
	s_lshl_b64 s[0:1], s[2:3], 1
	s_add_u32 s2, s4, s0
	s_addc_u32 s3, s5, s1
	s_ashr_i32 s21, s20, 31
	s_delay_alu instid0(SALU_CYCLE_1) | instskip(NEXT) | instid1(SALU_CYCLE_1)
	s_lshl_b64 s[0:1], s[20:21], 1
	s_add_u32 s0, s2, s0
	s_addc_u32 s1, s3, s1
	v_add_co_u32 v0, s2, s0, v3
	s_delay_alu instid0(VALU_DEP_1)
	v_add_co_ci_u32_e64 v1, null, s1, 0, s2
	global_store_d16_hi_b16 v3, v2, s[0:1]
	s_mov_b32 s0, exec_lo
                                        ; implicit-def: $vgpr2
	v_cmpx_ne_u32_e32 0x7f800000, v4
	s_xor_b32 s0, exec_lo, s0
; %bb.524:
	v_bfe_u32 v2, v11, 16, 1
	s_delay_alu instid0(VALU_DEP_1)
	v_add3_u32 v2, v11, v2, 0x7fff
                                        ; implicit-def: $vgpr10_vgpr11
; %bb.525:
	s_and_not1_saveexec_b32 s0, s0
; %bb.526:
	v_and_b32_e32 v2, 0xffff, v11
	v_or_b32_e32 v3, 0x10000, v11
	s_delay_alu instid0(VALU_DEP_2) | instskip(NEXT) | instid1(VALU_DEP_2)
	v_cmp_eq_u32_e32 vcc_lo, 0, v2
	v_cndmask_b32_e32 v2, v3, v11, vcc_lo
; %bb.527:
	s_or_b32 exec_lo, exec_lo, s0
	global_store_d16_hi_b16 v[0:1], v2, off offset:64
.LBB389_528:
	s_nop 0
	s_sendmsg sendmsg(MSG_DEALLOC_VGPRS)
	s_endpgm
	.section	.rodata,"a",@progbits
	.p2align	6, 0x0
	.amdhsa_kernel _ZN4vllm25paged_attention_v2_kernelI14__hip_bfloat16hLi64ELi8ELi128ELNS_18Fp8KVCacheDataTypeE1ELb0ELi512EEEvPfS3_PT_PKS4_PKT0_SA_ifPKiSC_iPKfiiiSE_SE_iiiii
		.amdhsa_group_segment_fixed_size 160
		.amdhsa_private_segment_fixed_size 0
		.amdhsa_kernarg_size 400
		.amdhsa_user_sgpr_count 13
		.amdhsa_user_sgpr_dispatch_ptr 0
		.amdhsa_user_sgpr_queue_ptr 0
		.amdhsa_user_sgpr_kernarg_segment_ptr 1
		.amdhsa_user_sgpr_dispatch_id 0
		.amdhsa_user_sgpr_private_segment_size 0
		.amdhsa_wavefront_size32 1
		.amdhsa_uses_dynamic_stack 0
		.amdhsa_enable_private_segment 0
		.amdhsa_system_sgpr_workgroup_id_x 1
		.amdhsa_system_sgpr_workgroup_id_y 1
		.amdhsa_system_sgpr_workgroup_id_z 1
		.amdhsa_system_sgpr_workgroup_info 0
		.amdhsa_system_vgpr_workitem_id 0
		.amdhsa_next_free_vgpr 55
		.amdhsa_next_free_sgpr 43
		.amdhsa_reserve_vcc 1
		.amdhsa_float_round_mode_32 0
		.amdhsa_float_round_mode_16_64 0
		.amdhsa_float_denorm_mode_32 3
		.amdhsa_float_denorm_mode_16_64 3
		.amdhsa_dx10_clamp 1
		.amdhsa_ieee_mode 1
		.amdhsa_fp16_overflow 0
		.amdhsa_workgroup_processor_mode 1
		.amdhsa_memory_ordered 1
		.amdhsa_forward_progress 0
		.amdhsa_shared_vgpr_count 0
		.amdhsa_exception_fp_ieee_invalid_op 0
		.amdhsa_exception_fp_denorm_src 0
		.amdhsa_exception_fp_ieee_div_zero 0
		.amdhsa_exception_fp_ieee_overflow 0
		.amdhsa_exception_fp_ieee_underflow 0
		.amdhsa_exception_fp_ieee_inexact 0
		.amdhsa_exception_int_div_zero 0
	.end_amdhsa_kernel
	.section	.text._ZN4vllm25paged_attention_v2_kernelI14__hip_bfloat16hLi64ELi8ELi128ELNS_18Fp8KVCacheDataTypeE1ELb0ELi512EEEvPfS3_PT_PKS4_PKT0_SA_ifPKiSC_iPKfiiiSE_SE_iiiii,"axG",@progbits,_ZN4vllm25paged_attention_v2_kernelI14__hip_bfloat16hLi64ELi8ELi128ELNS_18Fp8KVCacheDataTypeE1ELb0ELi512EEEvPfS3_PT_PKS4_PKT0_SA_ifPKiSC_iPKfiiiSE_SE_iiiii,comdat
.Lfunc_end389:
	.size	_ZN4vllm25paged_attention_v2_kernelI14__hip_bfloat16hLi64ELi8ELi128ELNS_18Fp8KVCacheDataTypeE1ELb0ELi512EEEvPfS3_PT_PKS4_PKT0_SA_ifPKiSC_iPKfiiiSE_SE_iiiii, .Lfunc_end389-_ZN4vllm25paged_attention_v2_kernelI14__hip_bfloat16hLi64ELi8ELi128ELNS_18Fp8KVCacheDataTypeE1ELb0ELi512EEEvPfS3_PT_PKS4_PKT0_SA_ifPKiSC_iPKfiiiSE_SE_iiiii
                                        ; -- End function
	.section	.AMDGPU.csdata,"",@progbits
; Kernel info:
; codeLenInByte = 17004
; NumSgprs: 45
; NumVgprs: 55
; ScratchSize: 0
; MemoryBound: 0
; FloatMode: 240
; IeeeMode: 1
; LDSByteSize: 160 bytes/workgroup (compile time only)
; SGPRBlocks: 5
; VGPRBlocks: 6
; NumSGPRsForWavesPerEU: 45
; NumVGPRsForWavesPerEU: 55
; Occupancy: 16
; WaveLimiterHint : 1
; COMPUTE_PGM_RSRC2:SCRATCH_EN: 0
; COMPUTE_PGM_RSRC2:USER_SGPR: 13
; COMPUTE_PGM_RSRC2:TRAP_HANDLER: 0
; COMPUTE_PGM_RSRC2:TGID_X_EN: 1
; COMPUTE_PGM_RSRC2:TGID_Y_EN: 1
; COMPUTE_PGM_RSRC2:TGID_Z_EN: 1
; COMPUTE_PGM_RSRC2:TIDIG_COMP_CNT: 0
	.section	.text._ZN4vllm25paged_attention_v2_kernelI14__hip_bfloat16hLi80ELi8ELi128ELNS_18Fp8KVCacheDataTypeE1ELb0ELi512EEEvPfS3_PT_PKS4_PKT0_SA_ifPKiSC_iPKfiiiSE_SE_iiiii,"axG",@progbits,_ZN4vllm25paged_attention_v2_kernelI14__hip_bfloat16hLi80ELi8ELi128ELNS_18Fp8KVCacheDataTypeE1ELb0ELi512EEEvPfS3_PT_PKS4_PKT0_SA_ifPKiSC_iPKfiiiSE_SE_iiiii,comdat
	.protected	_ZN4vllm25paged_attention_v2_kernelI14__hip_bfloat16hLi80ELi8ELi128ELNS_18Fp8KVCacheDataTypeE1ELb0ELi512EEEvPfS3_PT_PKS4_PKT0_SA_ifPKiSC_iPKfiiiSE_SE_iiiii ; -- Begin function _ZN4vllm25paged_attention_v2_kernelI14__hip_bfloat16hLi80ELi8ELi128ELNS_18Fp8KVCacheDataTypeE1ELb0ELi512EEEvPfS3_PT_PKS4_PKT0_SA_ifPKiSC_iPKfiiiSE_SE_iiiii
	.globl	_ZN4vllm25paged_attention_v2_kernelI14__hip_bfloat16hLi80ELi8ELi128ELNS_18Fp8KVCacheDataTypeE1ELb0ELi512EEEvPfS3_PT_PKS4_PKT0_SA_ifPKiSC_iPKfiiiSE_SE_iiiii
	.p2align	8
	.type	_ZN4vllm25paged_attention_v2_kernelI14__hip_bfloat16hLi80ELi8ELi128ELNS_18Fp8KVCacheDataTypeE1ELb0ELi512EEEvPfS3_PT_PKS4_PKT0_SA_ifPKiSC_iPKfiiiSE_SE_iiiii,@function
_ZN4vllm25paged_attention_v2_kernelI14__hip_bfloat16hLi80ELi8ELi128ELNS_18Fp8KVCacheDataTypeE1ELb0ELi512EEEvPfS3_PT_PKS4_PKT0_SA_ifPKiSC_iPKfiiiSE_SE_iiiii: ; @_ZN4vllm25paged_attention_v2_kernelI14__hip_bfloat16hLi80ELi8ELi128ELNS_18Fp8KVCacheDataTypeE1ELb0ELi512EEEvPfS3_PT_PKS4_PKT0_SA_ifPKiSC_iPKfiiiSE_SE_iiiii
; %bb.0:
	s_load_b64 s[2:3], s[0:1], 0x40
	s_mov_b32 s20, s15
	s_ashr_i32 s15, s14, 31
	s_delay_alu instid0(SALU_CYCLE_1)
	s_lshl_b64 s[4:5], s[14:15], 2
	s_waitcnt lgkmcnt(0)
	s_add_u32 s2, s2, s4
	s_addc_u32 s3, s3, s5
	s_lshl_b32 s33, s20, 9
	s_load_b32 s15, s[2:3], 0x0
	s_waitcnt lgkmcnt(0)
	s_cmp_ge_i32 s33, s15
	s_cbranch_scc1 .LBB390_715
; %bb.1:
	s_mov_b32 s26, s13
	s_clause 0x1
	s_load_b32 s21, s[0:1], 0x90
	s_load_b64 s[12:13], s[0:1], 0x30
	s_waitcnt lgkmcnt(0)
	s_abs_i32 s5, s21
	s_abs_i32 s2, s12
	s_delay_alu instid0(SALU_CYCLE_1) | instskip(SKIP_1) | instid1(VALU_DEP_1)
	v_cvt_f32_u32_e32 v1, s2
	s_sub_i32 s4, 0, s2
	v_rcp_iflag_f32_e32 v1, v1
	s_waitcnt_depctr 0xfff
	v_mul_f32_e32 v1, 0x4f7ffffe, v1
	s_delay_alu instid0(VALU_DEP_1) | instskip(NEXT) | instid1(VALU_DEP_1)
	v_cvt_u32_f32_e32 v1, v1
	v_readfirstlane_b32 s3, v1
	s_delay_alu instid0(VALU_DEP_1) | instskip(NEXT) | instid1(SALU_CYCLE_1)
	s_mul_i32 s4, s4, s3
	s_mul_hi_u32 s4, s3, s4
	s_delay_alu instid0(SALU_CYCLE_1)
	s_add_i32 s3, s3, s4
	s_xor_b32 s4, s21, s12
	s_mul_hi_u32 s3, s5, s3
	s_ashr_i32 s4, s4, 31
	s_mul_i32 s6, s3, s2
	s_mov_b32 s12, 0
	s_sub_i32 s5, s5, s6
	s_add_i32 s6, s3, 1
	s_sub_i32 s7, s5, s2
	s_cmp_ge_u32 s5, s2
	s_cselect_b32 s3, s6, s3
	s_cselect_b32 s5, s7, s5
	s_add_i32 s6, s3, 1
	s_cmp_ge_u32 s5, s2
	s_cselect_b32 s2, s6, s3
	s_abs_i32 s10, s26
	s_xor_b32 s2, s2, s4
	s_delay_alu instid0(SALU_CYCLE_1) | instskip(SKIP_2) | instid1(SALU_CYCLE_1)
	s_sub_i32 s11, s2, s4
	s_load_b64 s[2:3], s[0:1], 0x50
	s_abs_i32 s8, s11
	v_cvt_f32_u32_e32 v1, s8
	s_sub_i32 s5, 0, s8
	s_delay_alu instid0(VALU_DEP_1) | instskip(SKIP_2) | instid1(VALU_DEP_1)
	v_rcp_iflag_f32_e32 v1, v1
	s_waitcnt_depctr 0xfff
	v_mul_f32_e32 v1, 0x4f7ffffe, v1
	v_cvt_u32_f32_e32 v1, v1
	s_delay_alu instid0(VALU_DEP_1) | instskip(NEXT) | instid1(VALU_DEP_1)
	v_readfirstlane_b32 s4, v1
	s_mul_i32 s5, s5, s4
	s_delay_alu instid0(SALU_CYCLE_1) | instskip(NEXT) | instid1(SALU_CYCLE_1)
	s_mul_hi_u32 s5, s4, s5
	s_add_i32 s4, s4, s5
	s_waitcnt lgkmcnt(0)
	s_cmp_eq_u64 s[2:3], 0
	s_mul_hi_u32 s9, s10, s4
	s_cbranch_scc1 .LBB390_3
; %bb.2:
	s_ashr_i32 s27, s26, 31
	s_delay_alu instid0(SALU_CYCLE_1) | instskip(NEXT) | instid1(SALU_CYCLE_1)
	s_lshl_b64 s[4:5], s[26:27], 2
	s_add_u32 s2, s2, s4
	s_addc_u32 s3, s3, s5
	s_load_b32 s12, s[2:3], 0x0
.LBB390_3:
	s_load_b128 s[4:7], s[0:1], 0x58
	v_and_b32_e32 v1, 3, v0
	s_ashr_i32 s2, s26, 31
	s_ashr_i32 s3, s11, 31
	s_mul_i32 s22, s26, 0x50
	s_waitcnt lgkmcnt(0)
	s_mov_b32 s7, exec_lo
	v_cmpx_gt_u32_e32 40, v0
	s_cbranch_execz .LBB390_5
; %bb.4:
	s_load_b64 s[16:17], s[0:1], 0x18
	s_mul_i32 s18, s14, s4
	v_lshlrev_b32_e32 v2, 2, v0
	s_ashr_i32 s19, s18, 31
	v_and_b32_e32 v3, 0x3fc, v0
	s_lshl_b64 s[18:19], s[18:19], 1
	s_delay_alu instid0(VALU_DEP_1) | instskip(SKIP_4) | instid1(SALU_CYCLE_1)
	v_mad_u32_u24 v3, v1, 40, v3
	s_waitcnt lgkmcnt(0)
	s_add_u32 s4, s16, s18
	s_addc_u32 s11, s17, s19
	s_ashr_i32 s23, s22, 31
	s_lshl_b64 s[16:17], s[22:23], 1
	s_delay_alu instid0(SALU_CYCLE_1)
	s_add_u32 s16, s4, s16
	s_addc_u32 s17, s11, s17
	global_load_b32 v2, v2, s[16:17]
	s_waitcnt vmcnt(0)
	ds_store_b32 v3, v2
.LBB390_5:
	s_or_b32 exec_lo, exec_lo, s7
	s_add_i32 s4, s15, 7
	s_lshl_b32 s7, s20, 6
	s_ashr_i32 s11, s4, 31
	s_xor_b32 s2, s2, s3
	s_lshr_b32 s11, s11, 29
	s_add_i32 s3, s7, 64
	s_add_i32 s4, s4, s11
	v_lshrrev_b32_e32 v17, 5, v0
	s_ashr_i32 s27, s4, 3
	s_mul_i32 s4, s9, s8
	s_min_i32 s23, s3, s27
	s_clause 0x1
	s_load_b64 s[28:29], s[0:1], 0x38
	s_load_b32 s3, s[0:1], 0x48
	s_sub_i32 s4, s10, s4
	s_add_i32 s10, s9, 1
	s_sub_i32 s11, s4, s8
	s_cmp_ge_u32 s4, s8
	v_or_b32_e32 v12, s7, v17
	s_cselect_b32 s9, s10, s9
	s_cselect_b32 s4, s11, s4
	s_add_i32 s10, s9, 1
	s_cmp_ge_u32 s4, s8
	v_mbcnt_lo_u32_b32 v9, -1, 0
	s_cselect_b32 s4, s10, s9
	s_waitcnt lgkmcnt(0)
	s_xor_b32 s4, s4, s2
	s_barrier
	s_sub_i32 s36, s4, s2
	v_cmp_gt_i32_e64 s2, s23, v12
	s_mov_b32 s4, exec_lo
	buffer_gl0_inv
                                        ; implicit-def: $vgpr10
	s_mul_i32 s30, s14, s3
                                        ; implicit-def: $sgpr3
	s_delay_alu instid0(SALU_CYCLE_1)
	s_ashr_i32 s31, s30, 31
	v_cmpx_le_i32_e64 s23, v12
	s_xor_b32 s4, exec_lo, s4
; %bb.6:
	v_mbcnt_lo_u32_b32 v9, -1, 0
	v_mov_b32_e32 v10, 32
	s_mov_b32 s3, 0xff7fffff
                                        ; implicit-def: $vgpr1
; %bb.7:
	s_or_saveexec_b32 s37, s4
	s_clause 0x4
	s_load_b128 s[16:19], s[0:1], 0x0
	s_load_b64 s[24:25], s[0:1], 0x10
	s_load_b32 s4, s[0:1], 0x98
	s_load_b64 s[34:35], s[0:1], 0x28
	s_load_b128 s[8:11], s[0:1], 0x68
	v_mov_b32_e32 v35, s3
	v_ashrrev_i32_e32 v13, 31, v12
	v_lshlrev_b32_e32 v15, 3, v17
	s_mul_i32 s36, s36, s6
	s_xor_b32 exec_lo, exec_lo, s37
	s_cbranch_execz .LBB390_253
; %bb.8:
	v_mul_u32_u24_e32 v3, 40, v1
	s_load_b64 s[0:1], s[0:1], 0x20
	v_bfe_u32 v39, v0, 2, 3
	s_waitcnt lgkmcnt(0)
	s_load_b32 s6, s[8:9], 0x0
	s_ashr_i32 s3, s36, 31
	ds_load_2addr_b64 v[5:8], v3 offset1:1
	ds_load_2addr_b64 v[28:31], v3 offset0:2 offset1:3
	ds_load_b64 v[34:35], v3 offset:32
	v_dual_mov_b32 v2, 0 :: v_dual_lshlrev_b32 v11, 1, v1
	s_mov_b32 s9, 0
	v_dual_mov_b32 v10, 32 :: v_dual_mov_b32 v41, v12
	s_add_u32 s0, s0, s36
	s_addc_u32 s1, s1, s3
	s_lshl_b64 s[38:39], s[30:31], 2
	s_sub_i32 s8, 1, s15
	s_waitcnt lgkmcnt(0)
	v_lshlrev_b32_e32 v14, 16, v5
	v_and_b32_e32 v16, 0xffff0000, v5
	v_xor_b32_e32 v5, 2, v9
	v_lshlrev_b32_e32 v18, 16, v6
	v_and_b32_e32 v19, 0xffff0000, v6
	v_xor_b32_e32 v6, 1, v9
	v_lshlrev_b32_e32 v20, 16, v7
	v_cmp_gt_i32_e32 vcc_lo, 32, v5
	v_lshlrev_b32_e32 v4, 4, v39
	v_lshlrev_b32_e32 v22, 16, v8
	v_and_b32_e32 v23, 0xffff0000, v8
	v_dual_cndmask_b32 v5, v9, v5 :: v_dual_lshlrev_b32 v24, 16, v28
	v_cmp_gt_i32_e32 vcc_lo, 32, v6
	v_and_b32_e32 v21, 0xffff0000, v7
	v_add_co_u32 v3, s0, s0, v4
	s_delay_alu instid0(VALU_DEP_4) | instskip(SKIP_3) | instid1(VALU_DEP_4)
	v_dual_cndmask_b32 v6, v9, v6 :: v_dual_lshlrev_b32 v37, 2, v5
	v_lshlrev_b32_e32 v5, 2, v39
	v_cmp_eq_u32_e32 vcc_lo, 0, v1
	v_add_co_ci_u32_e64 v4, null, s1, 0, s0
	v_lshlrev_b32_e32 v38, 2, v6
	s_delay_alu instid0(VALU_DEP_4)
	v_lshl_or_b32 v1, v17, 5, v5
	v_lshlrev_b64 v[5:6], 2, v[12:13]
	s_add_u32 s1, s28, s38
	s_addc_u32 s3, s29, s39
	v_and_b32_e32 v25, 0xffff0000, v28
	v_lshlrev_b32_e32 v26, 16, v29
	v_and_b32_e32 v27, 0xffff0000, v29
	v_add_co_u32 v5, s1, s1, v5
	v_lshlrev_b32_e32 v28, 16, v30
	v_and_b32_e32 v29, 0xffff0000, v30
	v_lshlrev_b32_e32 v30, 16, v31
	v_and_b32_e32 v31, 0xffff0000, v31
	;; [unrolled: 2-line block ×4, first 2 shown]
	v_cmp_neq_f32_e64 s0, s12, 0
	v_add3_u32 v39, s33, v15, v39
	v_add_nc_u32_e32 v40, 0xc0, v1
	v_add_co_ci_u32_e64 v6, s1, s3, v6, s1
	v_mov_b32_e32 v35, 0xff7fffff
	s_mov_b32 s38, s5
	s_branch .LBB390_10
.LBB390_9:                              ;   in Loop: Header=BB390_10 Depth=1
	s_or_b32 exec_lo, exec_lo, s3
	v_add_nc_u32_e32 v41, 4, v41
	v_add_co_u32 v5, s3, v5, 16
	v_add_nc_u32_e32 v39, 32, v39
	v_add_nc_u32_e32 v40, 0x80, v40
	s_delay_alu instid0(VALU_DEP_4) | instskip(SKIP_1) | instid1(VALU_DEP_2)
	v_cmp_le_i32_e64 s1, s23, v41
	v_add_co_ci_u32_e64 v6, s3, 0, v6, s3
	s_or_b32 s9, s1, s9
	s_delay_alu instid0(SALU_CYCLE_1)
	s_and_not1_b32 exec_lo, exec_lo, s9
	s_cbranch_execz .LBB390_252
.LBB390_10:                             ; =>This Inner Loop Header: Depth=1
	global_load_b32 v1, v[5:6], off
	s_mov_b32 s3, exec_lo
	s_waitcnt vmcnt(0) lgkmcnt(0)
	v_mad_i64_i32 v[7:8], null, v1, s38, v[3:4]
	s_delay_alu instid0(VALU_DEP_1) | instskip(NEXT) | instid1(VALU_DEP_1)
	v_add_co_u32 v7, s1, v7, v11
	v_add_co_ci_u32_e64 v8, s1, 0, v8, s1
	global_load_u16 v1, v[7:8], off
	s_waitcnt vmcnt(0)
	v_and_b32_e32 v42, 0xff, v1
	v_and_b32_e32 v43, 0xffff, v1
	v_mov_b32_e32 v1, 0
	s_delay_alu instid0(VALU_DEP_3)
	v_cmpx_ne_u16_e32 0, v42
	s_cbranch_execz .LBB390_18
; %bb.11:                               ;   in Loop: Header=BB390_10 Depth=1
	s_delay_alu instid0(VALU_DEP_3) | instskip(NEXT) | instid1(VALU_DEP_1)
	v_and_b32_e32 v1, 0xff, v43
	v_cmp_ne_u16_e64 s1, 0x80, v1
	v_bfrev_b32_e32 v1, 1
	s_delay_alu instid0(VALU_DEP_2)
	s_and_saveexec_b32 s39, s1
	s_cbranch_execz .LBB390_17
; %bb.12:                               ;   in Loop: Header=BB390_10 Depth=1
	v_and_b32_e32 v44, 0x7f, v43
	v_mov_b32_e32 v1, 0x7f800001
	s_mov_b32 s40, exec_lo
	s_delay_alu instid0(VALU_DEP_2)
	v_cmpx_ne_u32_e32 0x7f, v44
	s_cbranch_execz .LBB390_16
; %bb.13:                               ;   in Loop: Header=BB390_10 Depth=1
	v_and_b32_e32 v1, 7, v43
	v_lshrrev_b32_e32 v42, 3, v44
	s_mov_b32 s41, exec_lo
	v_cmpx_gt_u32_e32 8, v44
; %bb.14:                               ;   in Loop: Header=BB390_10 Depth=1
	s_delay_alu instid0(VALU_DEP_3) | instskip(NEXT) | instid1(VALU_DEP_1)
	v_clz_i32_u32_e32 v42, v1
	v_min_u32_e32 v42, 32, v42
	s_delay_alu instid0(VALU_DEP_1) | instskip(SKIP_1) | instid1(VALU_DEP_2)
	v_subrev_nc_u32_e32 v44, 28, v42
	v_sub_nc_u32_e32 v42, 29, v42
	v_lshlrev_b64 v[44:45], v44, v[1:2]
	s_delay_alu instid0(VALU_DEP_1)
	v_and_b32_e32 v1, 7, v44
; %bb.15:                               ;   in Loop: Header=BB390_10 Depth=1
	s_or_b32 exec_lo, exec_lo, s41
	v_lshlrev_b32_e32 v44, 24, v43
	s_delay_alu instid0(VALU_DEP_2) | instskip(SKIP_1) | instid1(VALU_DEP_3)
	v_lshlrev_b32_e32 v1, 20, v1
	v_lshl_add_u32 v42, v42, 23, 0x3c000000
	v_and_b32_e32 v44, 0x80000000, v44
	s_delay_alu instid0(VALU_DEP_1)
	v_or3_b32 v1, v1, v44, v42
.LBB390_16:                             ;   in Loop: Header=BB390_10 Depth=1
	s_or_b32 exec_lo, exec_lo, s40
.LBB390_17:                             ;   in Loop: Header=BB390_10 Depth=1
	s_delay_alu instid0(SALU_CYCLE_1)
	s_or_b32 exec_lo, exec_lo, s39
.LBB390_18:                             ;   in Loop: Header=BB390_10 Depth=1
	s_delay_alu instid0(SALU_CYCLE_1) | instskip(NEXT) | instid1(VALU_DEP_1)
	s_or_b32 exec_lo, exec_lo, s3
	v_mul_f32_e32 v1, s6, v1
	s_delay_alu instid0(VALU_DEP_1) | instskip(NEXT) | instid1(VALU_DEP_1)
	v_and_b32_e32 v42, 0x7f800000, v1
	v_cmp_ne_u32_e64 s1, 0x7f800000, v42
                                        ; implicit-def: $vgpr42
	s_delay_alu instid0(VALU_DEP_1) | instskip(NEXT) | instid1(SALU_CYCLE_1)
	s_and_saveexec_b32 s3, s1
	s_xor_b32 s1, exec_lo, s3
; %bb.19:                               ;   in Loop: Header=BB390_10 Depth=1
	v_bfe_u32 v42, v1, 16, 1
	s_delay_alu instid0(VALU_DEP_1)
	v_add3_u32 v42, v1, v42, 0x7fff
                                        ; implicit-def: $vgpr1
; %bb.20:                               ;   in Loop: Header=BB390_10 Depth=1
	s_and_not1_saveexec_b32 s3, s1
; %bb.21:                               ;   in Loop: Header=BB390_10 Depth=1
	v_and_b32_e32 v42, 0xffff, v1
	v_or_b32_e32 v44, 0x10000, v1
	s_delay_alu instid0(VALU_DEP_2) | instskip(NEXT) | instid1(VALU_DEP_1)
	v_cmp_eq_u32_e64 s1, 0, v42
	v_cndmask_b32_e64 v42, v44, v1, s1
; %bb.22:                               ;   in Loop: Header=BB390_10 Depth=1
	s_or_b32 exec_lo, exec_lo, s3
	v_lshrrev_b16 v44, 8, v43
	v_mov_b32_e32 v1, 0
	s_mov_b32 s3, exec_lo
	s_delay_alu instid0(VALU_DEP_2)
	v_cmpx_ne_u16_e32 0, v44
	s_cbranch_execz .LBB390_30
; %bb.23:                               ;   in Loop: Header=BB390_10 Depth=1
	v_bfrev_b32_e32 v1, 1
	s_mov_b32 s39, exec_lo
	v_cmpx_ne_u16_e32 0x80, v44
	s_cbranch_execz .LBB390_29
; %bb.24:                               ;   in Loop: Header=BB390_10 Depth=1
	v_and_b32_e32 v44, 0xffff, v44
	v_mov_b32_e32 v1, 0x7f800001
	s_mov_b32 s40, exec_lo
	s_delay_alu instid0(VALU_DEP_2) | instskip(NEXT) | instid1(VALU_DEP_1)
	v_and_b32_e32 v45, 0x7f, v44
	v_cmpx_ne_u32_e32 0x7f, v45
	s_cbranch_execz .LBB390_28
; %bb.25:                               ;   in Loop: Header=BB390_10 Depth=1
	v_and_b32_e32 v1, 7, v44
	v_lshrrev_b32_e32 v44, 3, v45
	s_mov_b32 s41, exec_lo
	v_cmpx_gt_u32_e32 8, v45
; %bb.26:                               ;   in Loop: Header=BB390_10 Depth=1
	s_delay_alu instid0(VALU_DEP_3) | instskip(NEXT) | instid1(VALU_DEP_1)
	v_clz_i32_u32_e32 v44, v1
	v_min_u32_e32 v44, 32, v44
	s_delay_alu instid0(VALU_DEP_1) | instskip(SKIP_1) | instid1(VALU_DEP_2)
	v_subrev_nc_u32_e32 v45, 28, v44
	v_sub_nc_u32_e32 v44, 29, v44
	v_lshlrev_b64 v[45:46], v45, v[1:2]
	s_delay_alu instid0(VALU_DEP_1)
	v_and_b32_e32 v1, 7, v45
; %bb.27:                               ;   in Loop: Header=BB390_10 Depth=1
	s_or_b32 exec_lo, exec_lo, s41
	v_lshlrev_b32_e32 v43, 16, v43
	s_delay_alu instid0(VALU_DEP_2) | instskip(SKIP_1) | instid1(VALU_DEP_3)
	v_lshlrev_b32_e32 v1, 20, v1
	v_lshl_add_u32 v44, v44, 23, 0x3c000000
	v_and_b32_e32 v43, 0x80000000, v43
	s_delay_alu instid0(VALU_DEP_1)
	v_or3_b32 v1, v1, v43, v44
.LBB390_28:                             ;   in Loop: Header=BB390_10 Depth=1
	s_or_b32 exec_lo, exec_lo, s40
.LBB390_29:                             ;   in Loop: Header=BB390_10 Depth=1
	s_delay_alu instid0(SALU_CYCLE_1)
	s_or_b32 exec_lo, exec_lo, s39
.LBB390_30:                             ;   in Loop: Header=BB390_10 Depth=1
	s_delay_alu instid0(SALU_CYCLE_1) | instskip(NEXT) | instid1(VALU_DEP_1)
	s_or_b32 exec_lo, exec_lo, s3
	v_mul_f32_e32 v1, s6, v1
	s_delay_alu instid0(VALU_DEP_1) | instskip(NEXT) | instid1(VALU_DEP_1)
	v_and_b32_e32 v43, 0x7f800000, v1
	v_cmp_ne_u32_e64 s1, 0x7f800000, v43
                                        ; implicit-def: $vgpr43
	s_delay_alu instid0(VALU_DEP_1) | instskip(NEXT) | instid1(SALU_CYCLE_1)
	s_and_saveexec_b32 s3, s1
	s_xor_b32 s1, exec_lo, s3
; %bb.31:                               ;   in Loop: Header=BB390_10 Depth=1
	v_bfe_u32 v43, v1, 16, 1
	s_delay_alu instid0(VALU_DEP_1)
	v_add3_u32 v43, v1, v43, 0x7fff
                                        ; implicit-def: $vgpr1
; %bb.32:                               ;   in Loop: Header=BB390_10 Depth=1
	s_and_not1_saveexec_b32 s3, s1
; %bb.33:                               ;   in Loop: Header=BB390_10 Depth=1
	v_and_b32_e32 v43, 0xffff, v1
	v_or_b32_e32 v44, 0x10000, v1
	s_delay_alu instid0(VALU_DEP_2) | instskip(NEXT) | instid1(VALU_DEP_1)
	v_cmp_eq_u32_e64 s1, 0, v43
	v_cndmask_b32_e64 v43, v44, v1, s1
; %bb.34:                               ;   in Loop: Header=BB390_10 Depth=1
	s_or_b32 exec_lo, exec_lo, s3
	global_load_u16 v1, v[7:8], off offset:8
	s_mov_b32 s3, exec_lo
	s_waitcnt vmcnt(0)
	v_and_b32_e32 v44, 0xff, v1
	v_and_b32_e32 v45, 0xffff, v1
	v_mov_b32_e32 v1, 0
	s_delay_alu instid0(VALU_DEP_3)
	v_cmpx_ne_u16_e32 0, v44
	s_cbranch_execz .LBB390_42
; %bb.35:                               ;   in Loop: Header=BB390_10 Depth=1
	s_delay_alu instid0(VALU_DEP_3) | instskip(NEXT) | instid1(VALU_DEP_1)
	v_and_b32_e32 v1, 0xff, v45
	v_cmp_ne_u16_e64 s1, 0x80, v1
	v_bfrev_b32_e32 v1, 1
	s_delay_alu instid0(VALU_DEP_2)
	s_and_saveexec_b32 s39, s1
	s_cbranch_execz .LBB390_41
; %bb.36:                               ;   in Loop: Header=BB390_10 Depth=1
	v_and_b32_e32 v46, 0x7f, v45
	v_mov_b32_e32 v1, 0x7f800001
	s_mov_b32 s40, exec_lo
	s_delay_alu instid0(VALU_DEP_2)
	v_cmpx_ne_u32_e32 0x7f, v46
	s_cbranch_execz .LBB390_40
; %bb.37:                               ;   in Loop: Header=BB390_10 Depth=1
	v_and_b32_e32 v1, 7, v45
	v_lshrrev_b32_e32 v44, 3, v46
	s_mov_b32 s41, exec_lo
	v_cmpx_gt_u32_e32 8, v46
; %bb.38:                               ;   in Loop: Header=BB390_10 Depth=1
	s_delay_alu instid0(VALU_DEP_3) | instskip(NEXT) | instid1(VALU_DEP_1)
	v_clz_i32_u32_e32 v44, v1
	v_min_u32_e32 v44, 32, v44
	s_delay_alu instid0(VALU_DEP_1) | instskip(SKIP_1) | instid1(VALU_DEP_2)
	v_subrev_nc_u32_e32 v46, 28, v44
	v_sub_nc_u32_e32 v44, 29, v44
	v_lshlrev_b64 v[46:47], v46, v[1:2]
	s_delay_alu instid0(VALU_DEP_1)
	v_and_b32_e32 v1, 7, v46
; %bb.39:                               ;   in Loop: Header=BB390_10 Depth=1
	s_or_b32 exec_lo, exec_lo, s41
	v_lshlrev_b32_e32 v46, 24, v45
	s_delay_alu instid0(VALU_DEP_2) | instskip(SKIP_1) | instid1(VALU_DEP_3)
	v_lshlrev_b32_e32 v1, 20, v1
	v_lshl_add_u32 v44, v44, 23, 0x3c000000
	v_and_b32_e32 v46, 0x80000000, v46
	s_delay_alu instid0(VALU_DEP_1)
	v_or3_b32 v1, v1, v46, v44
.LBB390_40:                             ;   in Loop: Header=BB390_10 Depth=1
	s_or_b32 exec_lo, exec_lo, s40
.LBB390_41:                             ;   in Loop: Header=BB390_10 Depth=1
	s_delay_alu instid0(SALU_CYCLE_1)
	s_or_b32 exec_lo, exec_lo, s39
.LBB390_42:                             ;   in Loop: Header=BB390_10 Depth=1
	s_delay_alu instid0(SALU_CYCLE_1) | instskip(NEXT) | instid1(VALU_DEP_1)
	s_or_b32 exec_lo, exec_lo, s3
	v_mul_f32_e32 v1, s6, v1
	s_delay_alu instid0(VALU_DEP_1) | instskip(NEXT) | instid1(VALU_DEP_1)
	v_and_b32_e32 v44, 0x7f800000, v1
	v_cmp_ne_u32_e64 s1, 0x7f800000, v44
                                        ; implicit-def: $vgpr44
	s_delay_alu instid0(VALU_DEP_1) | instskip(NEXT) | instid1(SALU_CYCLE_1)
	s_and_saveexec_b32 s3, s1
	s_xor_b32 s1, exec_lo, s3
; %bb.43:                               ;   in Loop: Header=BB390_10 Depth=1
	v_bfe_u32 v44, v1, 16, 1
	s_delay_alu instid0(VALU_DEP_1)
	v_add3_u32 v44, v1, v44, 0x7fff
                                        ; implicit-def: $vgpr1
; %bb.44:                               ;   in Loop: Header=BB390_10 Depth=1
	s_and_not1_saveexec_b32 s3, s1
; %bb.45:                               ;   in Loop: Header=BB390_10 Depth=1
	v_and_b32_e32 v44, 0xffff, v1
	v_or_b32_e32 v46, 0x10000, v1
	s_delay_alu instid0(VALU_DEP_2) | instskip(NEXT) | instid1(VALU_DEP_1)
	v_cmp_eq_u32_e64 s1, 0, v44
	v_cndmask_b32_e64 v44, v46, v1, s1
; %bb.46:                               ;   in Loop: Header=BB390_10 Depth=1
	s_or_b32 exec_lo, exec_lo, s3
	v_lshrrev_b16 v46, 8, v45
	v_mov_b32_e32 v1, 0
	s_mov_b32 s3, exec_lo
	s_delay_alu instid0(VALU_DEP_2)
	v_cmpx_ne_u16_e32 0, v46
	s_cbranch_execz .LBB390_54
; %bb.47:                               ;   in Loop: Header=BB390_10 Depth=1
	v_bfrev_b32_e32 v1, 1
	s_mov_b32 s39, exec_lo
	v_cmpx_ne_u16_e32 0x80, v46
	s_cbranch_execz .LBB390_53
; %bb.48:                               ;   in Loop: Header=BB390_10 Depth=1
	v_and_b32_e32 v46, 0xffff, v46
	v_mov_b32_e32 v1, 0x7f800001
	s_mov_b32 s40, exec_lo
	s_delay_alu instid0(VALU_DEP_2) | instskip(NEXT) | instid1(VALU_DEP_1)
	v_and_b32_e32 v47, 0x7f, v46
	v_cmpx_ne_u32_e32 0x7f, v47
	s_cbranch_execz .LBB390_52
; %bb.49:                               ;   in Loop: Header=BB390_10 Depth=1
	v_and_b32_e32 v1, 7, v46
	v_lshrrev_b32_e32 v46, 3, v47
	s_mov_b32 s41, exec_lo
	v_cmpx_gt_u32_e32 8, v47
; %bb.50:                               ;   in Loop: Header=BB390_10 Depth=1
	s_delay_alu instid0(VALU_DEP_3) | instskip(NEXT) | instid1(VALU_DEP_1)
	v_clz_i32_u32_e32 v46, v1
	v_min_u32_e32 v46, 32, v46
	s_delay_alu instid0(VALU_DEP_1) | instskip(SKIP_1) | instid1(VALU_DEP_2)
	v_subrev_nc_u32_e32 v47, 28, v46
	v_sub_nc_u32_e32 v46, 29, v46
	v_lshlrev_b64 v[47:48], v47, v[1:2]
	s_delay_alu instid0(VALU_DEP_1)
	v_and_b32_e32 v1, 7, v47
; %bb.51:                               ;   in Loop: Header=BB390_10 Depth=1
	s_or_b32 exec_lo, exec_lo, s41
	v_lshlrev_b32_e32 v45, 16, v45
	s_delay_alu instid0(VALU_DEP_2) | instskip(SKIP_1) | instid1(VALU_DEP_3)
	v_lshlrev_b32_e32 v1, 20, v1
	v_lshl_add_u32 v46, v46, 23, 0x3c000000
	v_and_b32_e32 v45, 0x80000000, v45
	s_delay_alu instid0(VALU_DEP_1)
	v_or3_b32 v1, v1, v45, v46
.LBB390_52:                             ;   in Loop: Header=BB390_10 Depth=1
	s_or_b32 exec_lo, exec_lo, s40
.LBB390_53:                             ;   in Loop: Header=BB390_10 Depth=1
	s_delay_alu instid0(SALU_CYCLE_1)
	s_or_b32 exec_lo, exec_lo, s39
.LBB390_54:                             ;   in Loop: Header=BB390_10 Depth=1
	s_delay_alu instid0(SALU_CYCLE_1) | instskip(NEXT) | instid1(VALU_DEP_1)
	s_or_b32 exec_lo, exec_lo, s3
	v_mul_f32_e32 v1, s6, v1
	s_delay_alu instid0(VALU_DEP_1) | instskip(NEXT) | instid1(VALU_DEP_1)
	v_and_b32_e32 v45, 0x7f800000, v1
	v_cmp_ne_u32_e64 s1, 0x7f800000, v45
                                        ; implicit-def: $vgpr45
	s_delay_alu instid0(VALU_DEP_1) | instskip(NEXT) | instid1(SALU_CYCLE_1)
	s_and_saveexec_b32 s3, s1
	s_xor_b32 s1, exec_lo, s3
; %bb.55:                               ;   in Loop: Header=BB390_10 Depth=1
	v_bfe_u32 v45, v1, 16, 1
	s_delay_alu instid0(VALU_DEP_1)
	v_add3_u32 v45, v1, v45, 0x7fff
                                        ; implicit-def: $vgpr1
; %bb.56:                               ;   in Loop: Header=BB390_10 Depth=1
	s_and_not1_saveexec_b32 s3, s1
; %bb.57:                               ;   in Loop: Header=BB390_10 Depth=1
	v_and_b32_e32 v45, 0xffff, v1
	v_or_b32_e32 v46, 0x10000, v1
	s_delay_alu instid0(VALU_DEP_2) | instskip(NEXT) | instid1(VALU_DEP_1)
	v_cmp_eq_u32_e64 s1, 0, v45
	v_cndmask_b32_e64 v45, v46, v1, s1
; %bb.58:                               ;   in Loop: Header=BB390_10 Depth=1
	s_or_b32 exec_lo, exec_lo, s3
	global_load_u16 v1, v[7:8], off offset:128
	s_mov_b32 s3, exec_lo
	s_waitcnt vmcnt(0)
	v_and_b32_e32 v46, 0xff, v1
	v_and_b32_e32 v47, 0xffff, v1
	v_mov_b32_e32 v1, 0
	s_delay_alu instid0(VALU_DEP_3)
	v_cmpx_ne_u16_e32 0, v46
	s_cbranch_execz .LBB390_66
; %bb.59:                               ;   in Loop: Header=BB390_10 Depth=1
	s_delay_alu instid0(VALU_DEP_3) | instskip(NEXT) | instid1(VALU_DEP_1)
	v_and_b32_e32 v1, 0xff, v47
	v_cmp_ne_u16_e64 s1, 0x80, v1
	v_bfrev_b32_e32 v1, 1
	s_delay_alu instid0(VALU_DEP_2)
	s_and_saveexec_b32 s39, s1
	s_cbranch_execz .LBB390_65
; %bb.60:                               ;   in Loop: Header=BB390_10 Depth=1
	v_and_b32_e32 v48, 0x7f, v47
	v_mov_b32_e32 v1, 0x7f800001
	s_mov_b32 s40, exec_lo
	s_delay_alu instid0(VALU_DEP_2)
	v_cmpx_ne_u32_e32 0x7f, v48
	s_cbranch_execz .LBB390_64
; %bb.61:                               ;   in Loop: Header=BB390_10 Depth=1
	v_and_b32_e32 v1, 7, v47
	v_lshrrev_b32_e32 v46, 3, v48
	s_mov_b32 s41, exec_lo
	v_cmpx_gt_u32_e32 8, v48
; %bb.62:                               ;   in Loop: Header=BB390_10 Depth=1
	s_delay_alu instid0(VALU_DEP_3) | instskip(NEXT) | instid1(VALU_DEP_1)
	v_clz_i32_u32_e32 v46, v1
	v_min_u32_e32 v46, 32, v46
	s_delay_alu instid0(VALU_DEP_1) | instskip(SKIP_1) | instid1(VALU_DEP_2)
	v_subrev_nc_u32_e32 v48, 28, v46
	v_sub_nc_u32_e32 v46, 29, v46
	v_lshlrev_b64 v[48:49], v48, v[1:2]
	s_delay_alu instid0(VALU_DEP_1)
	v_and_b32_e32 v1, 7, v48
; %bb.63:                               ;   in Loop: Header=BB390_10 Depth=1
	s_or_b32 exec_lo, exec_lo, s41
	v_lshlrev_b32_e32 v48, 24, v47
	s_delay_alu instid0(VALU_DEP_2) | instskip(SKIP_1) | instid1(VALU_DEP_3)
	v_lshlrev_b32_e32 v1, 20, v1
	v_lshl_add_u32 v46, v46, 23, 0x3c000000
	v_and_b32_e32 v48, 0x80000000, v48
	s_delay_alu instid0(VALU_DEP_1)
	v_or3_b32 v1, v1, v48, v46
.LBB390_64:                             ;   in Loop: Header=BB390_10 Depth=1
	s_or_b32 exec_lo, exec_lo, s40
.LBB390_65:                             ;   in Loop: Header=BB390_10 Depth=1
	s_delay_alu instid0(SALU_CYCLE_1)
	s_or_b32 exec_lo, exec_lo, s39
.LBB390_66:                             ;   in Loop: Header=BB390_10 Depth=1
	s_delay_alu instid0(SALU_CYCLE_1) | instskip(NEXT) | instid1(VALU_DEP_1)
	s_or_b32 exec_lo, exec_lo, s3
	v_mul_f32_e32 v1, s6, v1
	s_delay_alu instid0(VALU_DEP_1) | instskip(NEXT) | instid1(VALU_DEP_1)
	v_and_b32_e32 v46, 0x7f800000, v1
	v_cmp_ne_u32_e64 s1, 0x7f800000, v46
                                        ; implicit-def: $vgpr46
	s_delay_alu instid0(VALU_DEP_1) | instskip(NEXT) | instid1(SALU_CYCLE_1)
	s_and_saveexec_b32 s3, s1
	s_xor_b32 s1, exec_lo, s3
; %bb.67:                               ;   in Loop: Header=BB390_10 Depth=1
	v_bfe_u32 v46, v1, 16, 1
	s_delay_alu instid0(VALU_DEP_1)
	v_add3_u32 v46, v1, v46, 0x7fff
                                        ; implicit-def: $vgpr1
; %bb.68:                               ;   in Loop: Header=BB390_10 Depth=1
	s_and_not1_saveexec_b32 s3, s1
; %bb.69:                               ;   in Loop: Header=BB390_10 Depth=1
	v_and_b32_e32 v46, 0xffff, v1
	v_or_b32_e32 v48, 0x10000, v1
	s_delay_alu instid0(VALU_DEP_2) | instskip(NEXT) | instid1(VALU_DEP_1)
	v_cmp_eq_u32_e64 s1, 0, v46
	v_cndmask_b32_e64 v46, v48, v1, s1
; %bb.70:                               ;   in Loop: Header=BB390_10 Depth=1
	s_or_b32 exec_lo, exec_lo, s3
	v_lshrrev_b16 v48, 8, v47
	v_mov_b32_e32 v1, 0
	s_mov_b32 s3, exec_lo
	s_delay_alu instid0(VALU_DEP_2)
	v_cmpx_ne_u16_e32 0, v48
	s_cbranch_execz .LBB390_78
; %bb.71:                               ;   in Loop: Header=BB390_10 Depth=1
	v_bfrev_b32_e32 v1, 1
	s_mov_b32 s39, exec_lo
	v_cmpx_ne_u16_e32 0x80, v48
	s_cbranch_execz .LBB390_77
; %bb.72:                               ;   in Loop: Header=BB390_10 Depth=1
	v_and_b32_e32 v48, 0xffff, v48
	v_mov_b32_e32 v1, 0x7f800001
	s_mov_b32 s40, exec_lo
	s_delay_alu instid0(VALU_DEP_2) | instskip(NEXT) | instid1(VALU_DEP_1)
	v_and_b32_e32 v49, 0x7f, v48
	v_cmpx_ne_u32_e32 0x7f, v49
	s_cbranch_execz .LBB390_76
; %bb.73:                               ;   in Loop: Header=BB390_10 Depth=1
	v_and_b32_e32 v1, 7, v48
	v_lshrrev_b32_e32 v48, 3, v49
	s_mov_b32 s41, exec_lo
	v_cmpx_gt_u32_e32 8, v49
; %bb.74:                               ;   in Loop: Header=BB390_10 Depth=1
	s_delay_alu instid0(VALU_DEP_3) | instskip(NEXT) | instid1(VALU_DEP_1)
	v_clz_i32_u32_e32 v48, v1
	v_min_u32_e32 v48, 32, v48
	s_delay_alu instid0(VALU_DEP_1) | instskip(SKIP_1) | instid1(VALU_DEP_2)
	v_subrev_nc_u32_e32 v49, 28, v48
	v_sub_nc_u32_e32 v48, 29, v48
	v_lshlrev_b64 v[49:50], v49, v[1:2]
	s_delay_alu instid0(VALU_DEP_1)
	v_and_b32_e32 v1, 7, v49
; %bb.75:                               ;   in Loop: Header=BB390_10 Depth=1
	s_or_b32 exec_lo, exec_lo, s41
	v_lshlrev_b32_e32 v47, 16, v47
	s_delay_alu instid0(VALU_DEP_2) | instskip(SKIP_1) | instid1(VALU_DEP_3)
	v_lshlrev_b32_e32 v1, 20, v1
	v_lshl_add_u32 v48, v48, 23, 0x3c000000
	v_and_b32_e32 v47, 0x80000000, v47
	s_delay_alu instid0(VALU_DEP_1)
	v_or3_b32 v1, v1, v47, v48
.LBB390_76:                             ;   in Loop: Header=BB390_10 Depth=1
	s_or_b32 exec_lo, exec_lo, s40
.LBB390_77:                             ;   in Loop: Header=BB390_10 Depth=1
	s_delay_alu instid0(SALU_CYCLE_1)
	s_or_b32 exec_lo, exec_lo, s39
.LBB390_78:                             ;   in Loop: Header=BB390_10 Depth=1
	s_delay_alu instid0(SALU_CYCLE_1) | instskip(NEXT) | instid1(VALU_DEP_1)
	s_or_b32 exec_lo, exec_lo, s3
	v_mul_f32_e32 v1, s6, v1
	s_delay_alu instid0(VALU_DEP_1) | instskip(NEXT) | instid1(VALU_DEP_1)
	v_and_b32_e32 v47, 0x7f800000, v1
	v_cmp_ne_u32_e64 s1, 0x7f800000, v47
                                        ; implicit-def: $vgpr47
	s_delay_alu instid0(VALU_DEP_1) | instskip(NEXT) | instid1(SALU_CYCLE_1)
	s_and_saveexec_b32 s3, s1
	s_xor_b32 s1, exec_lo, s3
; %bb.79:                               ;   in Loop: Header=BB390_10 Depth=1
	v_bfe_u32 v47, v1, 16, 1
	s_delay_alu instid0(VALU_DEP_1)
	v_add3_u32 v47, v1, v47, 0x7fff
                                        ; implicit-def: $vgpr1
; %bb.80:                               ;   in Loop: Header=BB390_10 Depth=1
	s_and_not1_saveexec_b32 s3, s1
; %bb.81:                               ;   in Loop: Header=BB390_10 Depth=1
	v_and_b32_e32 v47, 0xffff, v1
	v_or_b32_e32 v48, 0x10000, v1
	s_delay_alu instid0(VALU_DEP_2) | instskip(NEXT) | instid1(VALU_DEP_1)
	v_cmp_eq_u32_e64 s1, 0, v47
	v_cndmask_b32_e64 v47, v48, v1, s1
; %bb.82:                               ;   in Loop: Header=BB390_10 Depth=1
	s_or_b32 exec_lo, exec_lo, s3
	global_load_u16 v1, v[7:8], off offset:136
	s_mov_b32 s3, exec_lo
	s_waitcnt vmcnt(0)
	v_and_b32_e32 v48, 0xff, v1
	v_and_b32_e32 v49, 0xffff, v1
	v_mov_b32_e32 v1, 0
	s_delay_alu instid0(VALU_DEP_3)
	v_cmpx_ne_u16_e32 0, v48
	s_cbranch_execz .LBB390_90
; %bb.83:                               ;   in Loop: Header=BB390_10 Depth=1
	s_delay_alu instid0(VALU_DEP_3) | instskip(NEXT) | instid1(VALU_DEP_1)
	v_and_b32_e32 v1, 0xff, v49
	v_cmp_ne_u16_e64 s1, 0x80, v1
	v_bfrev_b32_e32 v1, 1
	s_delay_alu instid0(VALU_DEP_2)
	s_and_saveexec_b32 s39, s1
	s_cbranch_execz .LBB390_89
; %bb.84:                               ;   in Loop: Header=BB390_10 Depth=1
	v_and_b32_e32 v50, 0x7f, v49
	v_mov_b32_e32 v1, 0x7f800001
	s_mov_b32 s40, exec_lo
	s_delay_alu instid0(VALU_DEP_2)
	v_cmpx_ne_u32_e32 0x7f, v50
	s_cbranch_execz .LBB390_88
; %bb.85:                               ;   in Loop: Header=BB390_10 Depth=1
	v_and_b32_e32 v1, 7, v49
	v_lshrrev_b32_e32 v48, 3, v50
	s_mov_b32 s41, exec_lo
	v_cmpx_gt_u32_e32 8, v50
; %bb.86:                               ;   in Loop: Header=BB390_10 Depth=1
	s_delay_alu instid0(VALU_DEP_3) | instskip(NEXT) | instid1(VALU_DEP_1)
	v_clz_i32_u32_e32 v48, v1
	v_min_u32_e32 v48, 32, v48
	s_delay_alu instid0(VALU_DEP_1) | instskip(SKIP_1) | instid1(VALU_DEP_2)
	v_subrev_nc_u32_e32 v50, 28, v48
	v_sub_nc_u32_e32 v48, 29, v48
	v_lshlrev_b64 v[50:51], v50, v[1:2]
	s_delay_alu instid0(VALU_DEP_1)
	v_and_b32_e32 v1, 7, v50
; %bb.87:                               ;   in Loop: Header=BB390_10 Depth=1
	s_or_b32 exec_lo, exec_lo, s41
	v_lshlrev_b32_e32 v50, 24, v49
	s_delay_alu instid0(VALU_DEP_2) | instskip(SKIP_1) | instid1(VALU_DEP_3)
	v_lshlrev_b32_e32 v1, 20, v1
	v_lshl_add_u32 v48, v48, 23, 0x3c000000
	v_and_b32_e32 v50, 0x80000000, v50
	s_delay_alu instid0(VALU_DEP_1)
	v_or3_b32 v1, v1, v50, v48
.LBB390_88:                             ;   in Loop: Header=BB390_10 Depth=1
	s_or_b32 exec_lo, exec_lo, s40
.LBB390_89:                             ;   in Loop: Header=BB390_10 Depth=1
	s_delay_alu instid0(SALU_CYCLE_1)
	s_or_b32 exec_lo, exec_lo, s39
.LBB390_90:                             ;   in Loop: Header=BB390_10 Depth=1
	s_delay_alu instid0(SALU_CYCLE_1) | instskip(NEXT) | instid1(VALU_DEP_1)
	s_or_b32 exec_lo, exec_lo, s3
	v_mul_f32_e32 v1, s6, v1
	s_delay_alu instid0(VALU_DEP_1) | instskip(NEXT) | instid1(VALU_DEP_1)
	v_and_b32_e32 v48, 0x7f800000, v1
	v_cmp_ne_u32_e64 s1, 0x7f800000, v48
                                        ; implicit-def: $vgpr48
	s_delay_alu instid0(VALU_DEP_1) | instskip(NEXT) | instid1(SALU_CYCLE_1)
	s_and_saveexec_b32 s3, s1
	s_xor_b32 s1, exec_lo, s3
; %bb.91:                               ;   in Loop: Header=BB390_10 Depth=1
	v_bfe_u32 v48, v1, 16, 1
	s_delay_alu instid0(VALU_DEP_1)
	v_add3_u32 v48, v1, v48, 0x7fff
                                        ; implicit-def: $vgpr1
; %bb.92:                               ;   in Loop: Header=BB390_10 Depth=1
	s_and_not1_saveexec_b32 s3, s1
; %bb.93:                               ;   in Loop: Header=BB390_10 Depth=1
	v_and_b32_e32 v48, 0xffff, v1
	v_or_b32_e32 v50, 0x10000, v1
	s_delay_alu instid0(VALU_DEP_2) | instskip(NEXT) | instid1(VALU_DEP_1)
	v_cmp_eq_u32_e64 s1, 0, v48
	v_cndmask_b32_e64 v48, v50, v1, s1
; %bb.94:                               ;   in Loop: Header=BB390_10 Depth=1
	s_or_b32 exec_lo, exec_lo, s3
	v_lshrrev_b16 v50, 8, v49
	v_mov_b32_e32 v1, 0
	s_mov_b32 s3, exec_lo
	s_delay_alu instid0(VALU_DEP_2)
	v_cmpx_ne_u16_e32 0, v50
	s_cbranch_execz .LBB390_102
; %bb.95:                               ;   in Loop: Header=BB390_10 Depth=1
	v_bfrev_b32_e32 v1, 1
	s_mov_b32 s39, exec_lo
	v_cmpx_ne_u16_e32 0x80, v50
	s_cbranch_execz .LBB390_101
; %bb.96:                               ;   in Loop: Header=BB390_10 Depth=1
	v_and_b32_e32 v50, 0xffff, v50
	v_mov_b32_e32 v1, 0x7f800001
	s_mov_b32 s40, exec_lo
	s_delay_alu instid0(VALU_DEP_2) | instskip(NEXT) | instid1(VALU_DEP_1)
	v_and_b32_e32 v51, 0x7f, v50
	v_cmpx_ne_u32_e32 0x7f, v51
	s_cbranch_execz .LBB390_100
; %bb.97:                               ;   in Loop: Header=BB390_10 Depth=1
	v_and_b32_e32 v1, 7, v50
	v_lshrrev_b32_e32 v50, 3, v51
	s_mov_b32 s41, exec_lo
	v_cmpx_gt_u32_e32 8, v51
; %bb.98:                               ;   in Loop: Header=BB390_10 Depth=1
	s_delay_alu instid0(VALU_DEP_3) | instskip(NEXT) | instid1(VALU_DEP_1)
	v_clz_i32_u32_e32 v50, v1
	v_min_u32_e32 v50, 32, v50
	s_delay_alu instid0(VALU_DEP_1) | instskip(SKIP_1) | instid1(VALU_DEP_2)
	v_subrev_nc_u32_e32 v51, 28, v50
	v_sub_nc_u32_e32 v50, 29, v50
	v_lshlrev_b64 v[51:52], v51, v[1:2]
	s_delay_alu instid0(VALU_DEP_1)
	v_and_b32_e32 v1, 7, v51
; %bb.99:                               ;   in Loop: Header=BB390_10 Depth=1
	s_or_b32 exec_lo, exec_lo, s41
	v_lshlrev_b32_e32 v49, 16, v49
	s_delay_alu instid0(VALU_DEP_2) | instskip(SKIP_1) | instid1(VALU_DEP_3)
	v_lshlrev_b32_e32 v1, 20, v1
	v_lshl_add_u32 v50, v50, 23, 0x3c000000
	v_and_b32_e32 v49, 0x80000000, v49
	s_delay_alu instid0(VALU_DEP_1)
	v_or3_b32 v1, v1, v49, v50
.LBB390_100:                            ;   in Loop: Header=BB390_10 Depth=1
	s_or_b32 exec_lo, exec_lo, s40
.LBB390_101:                            ;   in Loop: Header=BB390_10 Depth=1
	s_delay_alu instid0(SALU_CYCLE_1)
	s_or_b32 exec_lo, exec_lo, s39
.LBB390_102:                            ;   in Loop: Header=BB390_10 Depth=1
	s_delay_alu instid0(SALU_CYCLE_1) | instskip(NEXT) | instid1(VALU_DEP_1)
	s_or_b32 exec_lo, exec_lo, s3
	v_mul_f32_e32 v1, s6, v1
	s_delay_alu instid0(VALU_DEP_1) | instskip(NEXT) | instid1(VALU_DEP_1)
	v_and_b32_e32 v49, 0x7f800000, v1
	v_cmp_ne_u32_e64 s1, 0x7f800000, v49
                                        ; implicit-def: $vgpr49
	s_delay_alu instid0(VALU_DEP_1) | instskip(NEXT) | instid1(SALU_CYCLE_1)
	s_and_saveexec_b32 s3, s1
	s_xor_b32 s1, exec_lo, s3
; %bb.103:                              ;   in Loop: Header=BB390_10 Depth=1
	v_bfe_u32 v49, v1, 16, 1
	s_delay_alu instid0(VALU_DEP_1)
	v_add3_u32 v49, v1, v49, 0x7fff
                                        ; implicit-def: $vgpr1
; %bb.104:                              ;   in Loop: Header=BB390_10 Depth=1
	s_and_not1_saveexec_b32 s3, s1
; %bb.105:                              ;   in Loop: Header=BB390_10 Depth=1
	v_and_b32_e32 v49, 0xffff, v1
	v_or_b32_e32 v50, 0x10000, v1
	s_delay_alu instid0(VALU_DEP_2) | instskip(NEXT) | instid1(VALU_DEP_1)
	v_cmp_eq_u32_e64 s1, 0, v49
	v_cndmask_b32_e64 v49, v50, v1, s1
; %bb.106:                              ;   in Loop: Header=BB390_10 Depth=1
	s_or_b32 exec_lo, exec_lo, s3
	global_load_u16 v1, v[7:8], off offset:256
	s_mov_b32 s3, exec_lo
	s_waitcnt vmcnt(0)
	v_and_b32_e32 v50, 0xff, v1
	v_and_b32_e32 v51, 0xffff, v1
	v_mov_b32_e32 v1, 0
	s_delay_alu instid0(VALU_DEP_3)
	v_cmpx_ne_u16_e32 0, v50
	s_cbranch_execz .LBB390_114
; %bb.107:                              ;   in Loop: Header=BB390_10 Depth=1
	s_delay_alu instid0(VALU_DEP_3) | instskip(NEXT) | instid1(VALU_DEP_1)
	v_and_b32_e32 v1, 0xff, v51
	v_cmp_ne_u16_e64 s1, 0x80, v1
	v_bfrev_b32_e32 v1, 1
	s_delay_alu instid0(VALU_DEP_2)
	s_and_saveexec_b32 s39, s1
	s_cbranch_execz .LBB390_113
; %bb.108:                              ;   in Loop: Header=BB390_10 Depth=1
	v_and_b32_e32 v52, 0x7f, v51
	v_mov_b32_e32 v1, 0x7f800001
	s_mov_b32 s40, exec_lo
	s_delay_alu instid0(VALU_DEP_2)
	v_cmpx_ne_u32_e32 0x7f, v52
	s_cbranch_execz .LBB390_112
; %bb.109:                              ;   in Loop: Header=BB390_10 Depth=1
	v_and_b32_e32 v1, 7, v51
	v_lshrrev_b32_e32 v50, 3, v52
	s_mov_b32 s41, exec_lo
	v_cmpx_gt_u32_e32 8, v52
; %bb.110:                              ;   in Loop: Header=BB390_10 Depth=1
	s_delay_alu instid0(VALU_DEP_3) | instskip(NEXT) | instid1(VALU_DEP_1)
	v_clz_i32_u32_e32 v50, v1
	v_min_u32_e32 v50, 32, v50
	s_delay_alu instid0(VALU_DEP_1) | instskip(SKIP_1) | instid1(VALU_DEP_2)
	v_subrev_nc_u32_e32 v52, 28, v50
	v_sub_nc_u32_e32 v50, 29, v50
	v_lshlrev_b64 v[52:53], v52, v[1:2]
	s_delay_alu instid0(VALU_DEP_1)
	v_and_b32_e32 v1, 7, v52
; %bb.111:                              ;   in Loop: Header=BB390_10 Depth=1
	s_or_b32 exec_lo, exec_lo, s41
	v_lshlrev_b32_e32 v52, 24, v51
	s_delay_alu instid0(VALU_DEP_2) | instskip(SKIP_1) | instid1(VALU_DEP_3)
	v_lshlrev_b32_e32 v1, 20, v1
	v_lshl_add_u32 v50, v50, 23, 0x3c000000
	v_and_b32_e32 v52, 0x80000000, v52
	s_delay_alu instid0(VALU_DEP_1)
	v_or3_b32 v1, v1, v52, v50
.LBB390_112:                            ;   in Loop: Header=BB390_10 Depth=1
	s_or_b32 exec_lo, exec_lo, s40
.LBB390_113:                            ;   in Loop: Header=BB390_10 Depth=1
	s_delay_alu instid0(SALU_CYCLE_1)
	s_or_b32 exec_lo, exec_lo, s39
.LBB390_114:                            ;   in Loop: Header=BB390_10 Depth=1
	s_delay_alu instid0(SALU_CYCLE_1) | instskip(NEXT) | instid1(VALU_DEP_1)
	s_or_b32 exec_lo, exec_lo, s3
	v_mul_f32_e32 v1, s6, v1
	s_delay_alu instid0(VALU_DEP_1) | instskip(NEXT) | instid1(VALU_DEP_1)
	v_and_b32_e32 v50, 0x7f800000, v1
	v_cmp_ne_u32_e64 s1, 0x7f800000, v50
                                        ; implicit-def: $vgpr50
	s_delay_alu instid0(VALU_DEP_1) | instskip(NEXT) | instid1(SALU_CYCLE_1)
	s_and_saveexec_b32 s3, s1
	s_xor_b32 s1, exec_lo, s3
; %bb.115:                              ;   in Loop: Header=BB390_10 Depth=1
	v_bfe_u32 v50, v1, 16, 1
	s_delay_alu instid0(VALU_DEP_1)
	v_add3_u32 v50, v1, v50, 0x7fff
                                        ; implicit-def: $vgpr1
; %bb.116:                              ;   in Loop: Header=BB390_10 Depth=1
	s_and_not1_saveexec_b32 s3, s1
; %bb.117:                              ;   in Loop: Header=BB390_10 Depth=1
	v_and_b32_e32 v50, 0xffff, v1
	v_or_b32_e32 v52, 0x10000, v1
	s_delay_alu instid0(VALU_DEP_2) | instskip(NEXT) | instid1(VALU_DEP_1)
	v_cmp_eq_u32_e64 s1, 0, v50
	v_cndmask_b32_e64 v50, v52, v1, s1
; %bb.118:                              ;   in Loop: Header=BB390_10 Depth=1
	s_or_b32 exec_lo, exec_lo, s3
	v_lshrrev_b16 v52, 8, v51
	v_mov_b32_e32 v1, 0
	s_mov_b32 s3, exec_lo
	s_delay_alu instid0(VALU_DEP_2)
	v_cmpx_ne_u16_e32 0, v52
	s_cbranch_execz .LBB390_126
; %bb.119:                              ;   in Loop: Header=BB390_10 Depth=1
	v_bfrev_b32_e32 v1, 1
	s_mov_b32 s39, exec_lo
	v_cmpx_ne_u16_e32 0x80, v52
	s_cbranch_execz .LBB390_125
; %bb.120:                              ;   in Loop: Header=BB390_10 Depth=1
	v_and_b32_e32 v52, 0xffff, v52
	v_mov_b32_e32 v1, 0x7f800001
	s_mov_b32 s40, exec_lo
	s_delay_alu instid0(VALU_DEP_2) | instskip(NEXT) | instid1(VALU_DEP_1)
	v_and_b32_e32 v53, 0x7f, v52
	v_cmpx_ne_u32_e32 0x7f, v53
	s_cbranch_execz .LBB390_124
; %bb.121:                              ;   in Loop: Header=BB390_10 Depth=1
	v_and_b32_e32 v1, 7, v52
	v_lshrrev_b32_e32 v52, 3, v53
	s_mov_b32 s41, exec_lo
	v_cmpx_gt_u32_e32 8, v53
; %bb.122:                              ;   in Loop: Header=BB390_10 Depth=1
	s_delay_alu instid0(VALU_DEP_3) | instskip(NEXT) | instid1(VALU_DEP_1)
	v_clz_i32_u32_e32 v52, v1
	v_min_u32_e32 v52, 32, v52
	s_delay_alu instid0(VALU_DEP_1) | instskip(SKIP_1) | instid1(VALU_DEP_2)
	v_subrev_nc_u32_e32 v53, 28, v52
	v_sub_nc_u32_e32 v52, 29, v52
	v_lshlrev_b64 v[53:54], v53, v[1:2]
	s_delay_alu instid0(VALU_DEP_1)
	v_and_b32_e32 v1, 7, v53
; %bb.123:                              ;   in Loop: Header=BB390_10 Depth=1
	s_or_b32 exec_lo, exec_lo, s41
	v_lshlrev_b32_e32 v51, 16, v51
	s_delay_alu instid0(VALU_DEP_2) | instskip(SKIP_1) | instid1(VALU_DEP_3)
	v_lshlrev_b32_e32 v1, 20, v1
	v_lshl_add_u32 v52, v52, 23, 0x3c000000
	v_and_b32_e32 v51, 0x80000000, v51
	s_delay_alu instid0(VALU_DEP_1)
	v_or3_b32 v1, v1, v51, v52
.LBB390_124:                            ;   in Loop: Header=BB390_10 Depth=1
	s_or_b32 exec_lo, exec_lo, s40
.LBB390_125:                            ;   in Loop: Header=BB390_10 Depth=1
	s_delay_alu instid0(SALU_CYCLE_1)
	s_or_b32 exec_lo, exec_lo, s39
.LBB390_126:                            ;   in Loop: Header=BB390_10 Depth=1
	s_delay_alu instid0(SALU_CYCLE_1) | instskip(NEXT) | instid1(VALU_DEP_1)
	s_or_b32 exec_lo, exec_lo, s3
	v_mul_f32_e32 v1, s6, v1
	s_delay_alu instid0(VALU_DEP_1) | instskip(NEXT) | instid1(VALU_DEP_1)
	v_and_b32_e32 v51, 0x7f800000, v1
	v_cmp_ne_u32_e64 s1, 0x7f800000, v51
                                        ; implicit-def: $vgpr51
	s_delay_alu instid0(VALU_DEP_1) | instskip(NEXT) | instid1(SALU_CYCLE_1)
	s_and_saveexec_b32 s3, s1
	s_xor_b32 s1, exec_lo, s3
; %bb.127:                              ;   in Loop: Header=BB390_10 Depth=1
	v_bfe_u32 v51, v1, 16, 1
	s_delay_alu instid0(VALU_DEP_1)
	v_add3_u32 v51, v1, v51, 0x7fff
                                        ; implicit-def: $vgpr1
; %bb.128:                              ;   in Loop: Header=BB390_10 Depth=1
	s_and_not1_saveexec_b32 s3, s1
; %bb.129:                              ;   in Loop: Header=BB390_10 Depth=1
	v_and_b32_e32 v51, 0xffff, v1
	v_or_b32_e32 v52, 0x10000, v1
	s_delay_alu instid0(VALU_DEP_2) | instskip(NEXT) | instid1(VALU_DEP_1)
	v_cmp_eq_u32_e64 s1, 0, v51
	v_cndmask_b32_e64 v51, v52, v1, s1
; %bb.130:                              ;   in Loop: Header=BB390_10 Depth=1
	s_or_b32 exec_lo, exec_lo, s3
	global_load_u16 v1, v[7:8], off offset:264
	s_mov_b32 s3, exec_lo
	s_waitcnt vmcnt(0)
	v_and_b32_e32 v52, 0xff, v1
	v_and_b32_e32 v53, 0xffff, v1
	v_mov_b32_e32 v1, 0
	s_delay_alu instid0(VALU_DEP_3)
	v_cmpx_ne_u16_e32 0, v52
	s_cbranch_execz .LBB390_138
; %bb.131:                              ;   in Loop: Header=BB390_10 Depth=1
	s_delay_alu instid0(VALU_DEP_3) | instskip(NEXT) | instid1(VALU_DEP_1)
	v_and_b32_e32 v1, 0xff, v53
	v_cmp_ne_u16_e64 s1, 0x80, v1
	v_bfrev_b32_e32 v1, 1
	s_delay_alu instid0(VALU_DEP_2)
	s_and_saveexec_b32 s39, s1
	s_cbranch_execz .LBB390_137
; %bb.132:                              ;   in Loop: Header=BB390_10 Depth=1
	v_and_b32_e32 v54, 0x7f, v53
	v_mov_b32_e32 v1, 0x7f800001
	s_mov_b32 s40, exec_lo
	s_delay_alu instid0(VALU_DEP_2)
	v_cmpx_ne_u32_e32 0x7f, v54
	s_cbranch_execz .LBB390_136
; %bb.133:                              ;   in Loop: Header=BB390_10 Depth=1
	v_and_b32_e32 v1, 7, v53
	v_lshrrev_b32_e32 v52, 3, v54
	s_mov_b32 s41, exec_lo
	v_cmpx_gt_u32_e32 8, v54
; %bb.134:                              ;   in Loop: Header=BB390_10 Depth=1
	s_delay_alu instid0(VALU_DEP_3) | instskip(NEXT) | instid1(VALU_DEP_1)
	v_clz_i32_u32_e32 v52, v1
	v_min_u32_e32 v52, 32, v52
	s_delay_alu instid0(VALU_DEP_1) | instskip(SKIP_1) | instid1(VALU_DEP_2)
	v_subrev_nc_u32_e32 v54, 28, v52
	v_sub_nc_u32_e32 v52, 29, v52
	v_lshlrev_b64 v[54:55], v54, v[1:2]
	s_delay_alu instid0(VALU_DEP_1)
	v_and_b32_e32 v1, 7, v54
; %bb.135:                              ;   in Loop: Header=BB390_10 Depth=1
	s_or_b32 exec_lo, exec_lo, s41
	v_lshlrev_b32_e32 v54, 24, v53
	s_delay_alu instid0(VALU_DEP_2) | instskip(SKIP_1) | instid1(VALU_DEP_3)
	v_lshlrev_b32_e32 v1, 20, v1
	v_lshl_add_u32 v52, v52, 23, 0x3c000000
	v_and_b32_e32 v54, 0x80000000, v54
	s_delay_alu instid0(VALU_DEP_1)
	v_or3_b32 v1, v1, v54, v52
.LBB390_136:                            ;   in Loop: Header=BB390_10 Depth=1
	s_or_b32 exec_lo, exec_lo, s40
.LBB390_137:                            ;   in Loop: Header=BB390_10 Depth=1
	s_delay_alu instid0(SALU_CYCLE_1)
	s_or_b32 exec_lo, exec_lo, s39
.LBB390_138:                            ;   in Loop: Header=BB390_10 Depth=1
	s_delay_alu instid0(SALU_CYCLE_1) | instskip(NEXT) | instid1(VALU_DEP_1)
	s_or_b32 exec_lo, exec_lo, s3
	v_mul_f32_e32 v1, s6, v1
	s_delay_alu instid0(VALU_DEP_1) | instskip(NEXT) | instid1(VALU_DEP_1)
	v_and_b32_e32 v52, 0x7f800000, v1
	v_cmp_ne_u32_e64 s1, 0x7f800000, v52
                                        ; implicit-def: $vgpr52
	s_delay_alu instid0(VALU_DEP_1) | instskip(NEXT) | instid1(SALU_CYCLE_1)
	s_and_saveexec_b32 s3, s1
	s_xor_b32 s1, exec_lo, s3
; %bb.139:                              ;   in Loop: Header=BB390_10 Depth=1
	v_bfe_u32 v52, v1, 16, 1
	s_delay_alu instid0(VALU_DEP_1)
	v_add3_u32 v52, v1, v52, 0x7fff
                                        ; implicit-def: $vgpr1
; %bb.140:                              ;   in Loop: Header=BB390_10 Depth=1
	s_and_not1_saveexec_b32 s3, s1
; %bb.141:                              ;   in Loop: Header=BB390_10 Depth=1
	v_and_b32_e32 v52, 0xffff, v1
	v_or_b32_e32 v54, 0x10000, v1
	s_delay_alu instid0(VALU_DEP_2) | instskip(NEXT) | instid1(VALU_DEP_1)
	v_cmp_eq_u32_e64 s1, 0, v52
	v_cndmask_b32_e64 v52, v54, v1, s1
; %bb.142:                              ;   in Loop: Header=BB390_10 Depth=1
	s_or_b32 exec_lo, exec_lo, s3
	v_lshrrev_b16 v54, 8, v53
	v_mov_b32_e32 v1, 0
	s_mov_b32 s3, exec_lo
	s_delay_alu instid0(VALU_DEP_2)
	v_cmpx_ne_u16_e32 0, v54
	s_cbranch_execz .LBB390_150
; %bb.143:                              ;   in Loop: Header=BB390_10 Depth=1
	v_bfrev_b32_e32 v1, 1
	s_mov_b32 s39, exec_lo
	v_cmpx_ne_u16_e32 0x80, v54
	s_cbranch_execz .LBB390_149
; %bb.144:                              ;   in Loop: Header=BB390_10 Depth=1
	v_and_b32_e32 v54, 0xffff, v54
	v_mov_b32_e32 v1, 0x7f800001
	s_mov_b32 s40, exec_lo
	s_delay_alu instid0(VALU_DEP_2) | instskip(NEXT) | instid1(VALU_DEP_1)
	v_and_b32_e32 v55, 0x7f, v54
	v_cmpx_ne_u32_e32 0x7f, v55
	s_cbranch_execz .LBB390_148
; %bb.145:                              ;   in Loop: Header=BB390_10 Depth=1
	v_and_b32_e32 v1, 7, v54
	v_lshrrev_b32_e32 v54, 3, v55
	s_mov_b32 s41, exec_lo
	v_cmpx_gt_u32_e32 8, v55
; %bb.146:                              ;   in Loop: Header=BB390_10 Depth=1
	s_delay_alu instid0(VALU_DEP_3) | instskip(NEXT) | instid1(VALU_DEP_1)
	v_clz_i32_u32_e32 v54, v1
	v_min_u32_e32 v54, 32, v54
	s_delay_alu instid0(VALU_DEP_1) | instskip(SKIP_1) | instid1(VALU_DEP_2)
	v_subrev_nc_u32_e32 v55, 28, v54
	v_sub_nc_u32_e32 v54, 29, v54
	v_lshlrev_b64 v[55:56], v55, v[1:2]
	s_delay_alu instid0(VALU_DEP_1)
	v_and_b32_e32 v1, 7, v55
; %bb.147:                              ;   in Loop: Header=BB390_10 Depth=1
	s_or_b32 exec_lo, exec_lo, s41
	v_lshlrev_b32_e32 v53, 16, v53
	s_delay_alu instid0(VALU_DEP_2) | instskip(SKIP_1) | instid1(VALU_DEP_3)
	v_lshlrev_b32_e32 v1, 20, v1
	v_lshl_add_u32 v54, v54, 23, 0x3c000000
	v_and_b32_e32 v53, 0x80000000, v53
	s_delay_alu instid0(VALU_DEP_1)
	v_or3_b32 v1, v1, v53, v54
.LBB390_148:                            ;   in Loop: Header=BB390_10 Depth=1
	s_or_b32 exec_lo, exec_lo, s40
.LBB390_149:                            ;   in Loop: Header=BB390_10 Depth=1
	s_delay_alu instid0(SALU_CYCLE_1)
	s_or_b32 exec_lo, exec_lo, s39
.LBB390_150:                            ;   in Loop: Header=BB390_10 Depth=1
	s_delay_alu instid0(SALU_CYCLE_1) | instskip(NEXT) | instid1(VALU_DEP_1)
	s_or_b32 exec_lo, exec_lo, s3
	v_mul_f32_e32 v1, s6, v1
	s_delay_alu instid0(VALU_DEP_1) | instskip(NEXT) | instid1(VALU_DEP_1)
	v_and_b32_e32 v53, 0x7f800000, v1
	v_cmp_ne_u32_e64 s1, 0x7f800000, v53
                                        ; implicit-def: $vgpr53
	s_delay_alu instid0(VALU_DEP_1) | instskip(NEXT) | instid1(SALU_CYCLE_1)
	s_and_saveexec_b32 s3, s1
	s_xor_b32 s1, exec_lo, s3
; %bb.151:                              ;   in Loop: Header=BB390_10 Depth=1
	v_bfe_u32 v53, v1, 16, 1
	s_delay_alu instid0(VALU_DEP_1)
	v_add3_u32 v53, v1, v53, 0x7fff
                                        ; implicit-def: $vgpr1
; %bb.152:                              ;   in Loop: Header=BB390_10 Depth=1
	s_and_not1_saveexec_b32 s3, s1
; %bb.153:                              ;   in Loop: Header=BB390_10 Depth=1
	v_and_b32_e32 v53, 0xffff, v1
	v_or_b32_e32 v54, 0x10000, v1
	s_delay_alu instid0(VALU_DEP_2) | instskip(NEXT) | instid1(VALU_DEP_1)
	v_cmp_eq_u32_e64 s1, 0, v53
	v_cndmask_b32_e64 v53, v54, v1, s1
; %bb.154:                              ;   in Loop: Header=BB390_10 Depth=1
	s_or_b32 exec_lo, exec_lo, s3
	global_load_u16 v1, v[7:8], off offset:384
	s_mov_b32 s3, exec_lo
	s_waitcnt vmcnt(0)
	v_and_b32_e32 v54, 0xff, v1
	v_and_b32_e32 v55, 0xffff, v1
	v_mov_b32_e32 v1, 0
	s_delay_alu instid0(VALU_DEP_3)
	v_cmpx_ne_u16_e32 0, v54
	s_cbranch_execz .LBB390_162
; %bb.155:                              ;   in Loop: Header=BB390_10 Depth=1
	s_delay_alu instid0(VALU_DEP_3) | instskip(NEXT) | instid1(VALU_DEP_1)
	v_and_b32_e32 v1, 0xff, v55
	v_cmp_ne_u16_e64 s1, 0x80, v1
	v_bfrev_b32_e32 v1, 1
	s_delay_alu instid0(VALU_DEP_2)
	s_and_saveexec_b32 s39, s1
	s_cbranch_execz .LBB390_161
; %bb.156:                              ;   in Loop: Header=BB390_10 Depth=1
	v_and_b32_e32 v56, 0x7f, v55
	v_mov_b32_e32 v1, 0x7f800001
	s_mov_b32 s40, exec_lo
	s_delay_alu instid0(VALU_DEP_2)
	v_cmpx_ne_u32_e32 0x7f, v56
	s_cbranch_execz .LBB390_160
; %bb.157:                              ;   in Loop: Header=BB390_10 Depth=1
	v_and_b32_e32 v1, 7, v55
	v_lshrrev_b32_e32 v54, 3, v56
	s_mov_b32 s41, exec_lo
	v_cmpx_gt_u32_e32 8, v56
; %bb.158:                              ;   in Loop: Header=BB390_10 Depth=1
	s_delay_alu instid0(VALU_DEP_3) | instskip(NEXT) | instid1(VALU_DEP_1)
	v_clz_i32_u32_e32 v54, v1
	v_min_u32_e32 v54, 32, v54
	s_delay_alu instid0(VALU_DEP_1) | instskip(SKIP_1) | instid1(VALU_DEP_2)
	v_subrev_nc_u32_e32 v56, 28, v54
	v_sub_nc_u32_e32 v54, 29, v54
	v_lshlrev_b64 v[56:57], v56, v[1:2]
	s_delay_alu instid0(VALU_DEP_1)
	v_and_b32_e32 v1, 7, v56
; %bb.159:                              ;   in Loop: Header=BB390_10 Depth=1
	s_or_b32 exec_lo, exec_lo, s41
	v_lshlrev_b32_e32 v56, 24, v55
	s_delay_alu instid0(VALU_DEP_2) | instskip(SKIP_1) | instid1(VALU_DEP_3)
	v_lshlrev_b32_e32 v1, 20, v1
	v_lshl_add_u32 v54, v54, 23, 0x3c000000
	v_and_b32_e32 v56, 0x80000000, v56
	s_delay_alu instid0(VALU_DEP_1)
	v_or3_b32 v1, v1, v56, v54
.LBB390_160:                            ;   in Loop: Header=BB390_10 Depth=1
	s_or_b32 exec_lo, exec_lo, s40
.LBB390_161:                            ;   in Loop: Header=BB390_10 Depth=1
	s_delay_alu instid0(SALU_CYCLE_1)
	s_or_b32 exec_lo, exec_lo, s39
.LBB390_162:                            ;   in Loop: Header=BB390_10 Depth=1
	s_delay_alu instid0(SALU_CYCLE_1) | instskip(NEXT) | instid1(VALU_DEP_1)
	s_or_b32 exec_lo, exec_lo, s3
	v_mul_f32_e32 v1, s6, v1
	s_delay_alu instid0(VALU_DEP_1) | instskip(NEXT) | instid1(VALU_DEP_1)
	v_and_b32_e32 v54, 0x7f800000, v1
	v_cmp_ne_u32_e64 s1, 0x7f800000, v54
                                        ; implicit-def: $vgpr54
	s_delay_alu instid0(VALU_DEP_1) | instskip(NEXT) | instid1(SALU_CYCLE_1)
	s_and_saveexec_b32 s3, s1
	s_xor_b32 s1, exec_lo, s3
; %bb.163:                              ;   in Loop: Header=BB390_10 Depth=1
	v_bfe_u32 v54, v1, 16, 1
	s_delay_alu instid0(VALU_DEP_1)
	v_add3_u32 v54, v1, v54, 0x7fff
                                        ; implicit-def: $vgpr1
; %bb.164:                              ;   in Loop: Header=BB390_10 Depth=1
	s_and_not1_saveexec_b32 s3, s1
; %bb.165:                              ;   in Loop: Header=BB390_10 Depth=1
	v_and_b32_e32 v54, 0xffff, v1
	v_or_b32_e32 v56, 0x10000, v1
	s_delay_alu instid0(VALU_DEP_2) | instskip(NEXT) | instid1(VALU_DEP_1)
	v_cmp_eq_u32_e64 s1, 0, v54
	v_cndmask_b32_e64 v54, v56, v1, s1
; %bb.166:                              ;   in Loop: Header=BB390_10 Depth=1
	s_or_b32 exec_lo, exec_lo, s3
	v_lshrrev_b16 v56, 8, v55
	v_mov_b32_e32 v1, 0
	s_mov_b32 s3, exec_lo
	s_delay_alu instid0(VALU_DEP_2)
	v_cmpx_ne_u16_e32 0, v56
	s_cbranch_execz .LBB390_174
; %bb.167:                              ;   in Loop: Header=BB390_10 Depth=1
	v_bfrev_b32_e32 v1, 1
	s_mov_b32 s39, exec_lo
	v_cmpx_ne_u16_e32 0x80, v56
	s_cbranch_execz .LBB390_173
; %bb.168:                              ;   in Loop: Header=BB390_10 Depth=1
	v_and_b32_e32 v56, 0xffff, v56
	v_mov_b32_e32 v1, 0x7f800001
	s_mov_b32 s40, exec_lo
	s_delay_alu instid0(VALU_DEP_2) | instskip(NEXT) | instid1(VALU_DEP_1)
	v_and_b32_e32 v57, 0x7f, v56
	v_cmpx_ne_u32_e32 0x7f, v57
	s_cbranch_execz .LBB390_172
; %bb.169:                              ;   in Loop: Header=BB390_10 Depth=1
	v_and_b32_e32 v1, 7, v56
	v_lshrrev_b32_e32 v56, 3, v57
	s_mov_b32 s41, exec_lo
	v_cmpx_gt_u32_e32 8, v57
; %bb.170:                              ;   in Loop: Header=BB390_10 Depth=1
	s_delay_alu instid0(VALU_DEP_3) | instskip(NEXT) | instid1(VALU_DEP_1)
	v_clz_i32_u32_e32 v56, v1
	v_min_u32_e32 v56, 32, v56
	s_delay_alu instid0(VALU_DEP_1) | instskip(SKIP_1) | instid1(VALU_DEP_2)
	v_subrev_nc_u32_e32 v57, 28, v56
	v_sub_nc_u32_e32 v56, 29, v56
	v_lshlrev_b64 v[57:58], v57, v[1:2]
	s_delay_alu instid0(VALU_DEP_1)
	v_and_b32_e32 v1, 7, v57
; %bb.171:                              ;   in Loop: Header=BB390_10 Depth=1
	s_or_b32 exec_lo, exec_lo, s41
	v_lshlrev_b32_e32 v55, 16, v55
	s_delay_alu instid0(VALU_DEP_2) | instskip(SKIP_1) | instid1(VALU_DEP_3)
	v_lshlrev_b32_e32 v1, 20, v1
	v_lshl_add_u32 v56, v56, 23, 0x3c000000
	v_and_b32_e32 v55, 0x80000000, v55
	s_delay_alu instid0(VALU_DEP_1)
	v_or3_b32 v1, v1, v55, v56
.LBB390_172:                            ;   in Loop: Header=BB390_10 Depth=1
	s_or_b32 exec_lo, exec_lo, s40
.LBB390_173:                            ;   in Loop: Header=BB390_10 Depth=1
	s_delay_alu instid0(SALU_CYCLE_1)
	s_or_b32 exec_lo, exec_lo, s39
.LBB390_174:                            ;   in Loop: Header=BB390_10 Depth=1
	s_delay_alu instid0(SALU_CYCLE_1) | instskip(NEXT) | instid1(VALU_DEP_1)
	s_or_b32 exec_lo, exec_lo, s3
	v_mul_f32_e32 v1, s6, v1
	s_delay_alu instid0(VALU_DEP_1) | instskip(NEXT) | instid1(VALU_DEP_1)
	v_and_b32_e32 v55, 0x7f800000, v1
	v_cmp_ne_u32_e64 s1, 0x7f800000, v55
                                        ; implicit-def: $vgpr55
	s_delay_alu instid0(VALU_DEP_1) | instskip(NEXT) | instid1(SALU_CYCLE_1)
	s_and_saveexec_b32 s3, s1
	s_xor_b32 s1, exec_lo, s3
; %bb.175:                              ;   in Loop: Header=BB390_10 Depth=1
	v_bfe_u32 v55, v1, 16, 1
	s_delay_alu instid0(VALU_DEP_1)
	v_add3_u32 v55, v1, v55, 0x7fff
                                        ; implicit-def: $vgpr1
; %bb.176:                              ;   in Loop: Header=BB390_10 Depth=1
	s_and_not1_saveexec_b32 s3, s1
; %bb.177:                              ;   in Loop: Header=BB390_10 Depth=1
	v_and_b32_e32 v55, 0xffff, v1
	v_or_b32_e32 v56, 0x10000, v1
	s_delay_alu instid0(VALU_DEP_2) | instskip(NEXT) | instid1(VALU_DEP_1)
	v_cmp_eq_u32_e64 s1, 0, v55
	v_cndmask_b32_e64 v55, v56, v1, s1
; %bb.178:                              ;   in Loop: Header=BB390_10 Depth=1
	s_or_b32 exec_lo, exec_lo, s3
	global_load_u16 v1, v[7:8], off offset:392
	s_mov_b32 s3, exec_lo
	s_waitcnt vmcnt(0)
	v_and_b32_e32 v56, 0xff, v1
	v_and_b32_e32 v57, 0xffff, v1
	v_mov_b32_e32 v1, 0
	s_delay_alu instid0(VALU_DEP_3)
	v_cmpx_ne_u16_e32 0, v56
	s_cbranch_execz .LBB390_186
; %bb.179:                              ;   in Loop: Header=BB390_10 Depth=1
	s_delay_alu instid0(VALU_DEP_3) | instskip(NEXT) | instid1(VALU_DEP_1)
	v_and_b32_e32 v1, 0xff, v57
	v_cmp_ne_u16_e64 s1, 0x80, v1
	v_bfrev_b32_e32 v1, 1
	s_delay_alu instid0(VALU_DEP_2)
	s_and_saveexec_b32 s39, s1
	s_cbranch_execz .LBB390_185
; %bb.180:                              ;   in Loop: Header=BB390_10 Depth=1
	v_and_b32_e32 v58, 0x7f, v57
	v_mov_b32_e32 v1, 0x7f800001
	s_mov_b32 s40, exec_lo
	s_delay_alu instid0(VALU_DEP_2)
	v_cmpx_ne_u32_e32 0x7f, v58
	s_cbranch_execz .LBB390_184
; %bb.181:                              ;   in Loop: Header=BB390_10 Depth=1
	v_and_b32_e32 v1, 7, v57
	v_lshrrev_b32_e32 v56, 3, v58
	s_mov_b32 s41, exec_lo
	v_cmpx_gt_u32_e32 8, v58
; %bb.182:                              ;   in Loop: Header=BB390_10 Depth=1
	s_delay_alu instid0(VALU_DEP_3) | instskip(NEXT) | instid1(VALU_DEP_1)
	v_clz_i32_u32_e32 v56, v1
	v_min_u32_e32 v56, 32, v56
	s_delay_alu instid0(VALU_DEP_1) | instskip(SKIP_1) | instid1(VALU_DEP_2)
	v_subrev_nc_u32_e32 v58, 28, v56
	v_sub_nc_u32_e32 v56, 29, v56
	v_lshlrev_b64 v[58:59], v58, v[1:2]
	s_delay_alu instid0(VALU_DEP_1)
	v_and_b32_e32 v1, 7, v58
; %bb.183:                              ;   in Loop: Header=BB390_10 Depth=1
	s_or_b32 exec_lo, exec_lo, s41
	v_lshlrev_b32_e32 v58, 24, v57
	s_delay_alu instid0(VALU_DEP_2) | instskip(SKIP_1) | instid1(VALU_DEP_3)
	v_lshlrev_b32_e32 v1, 20, v1
	v_lshl_add_u32 v56, v56, 23, 0x3c000000
	v_and_b32_e32 v58, 0x80000000, v58
	s_delay_alu instid0(VALU_DEP_1)
	v_or3_b32 v1, v1, v58, v56
.LBB390_184:                            ;   in Loop: Header=BB390_10 Depth=1
	s_or_b32 exec_lo, exec_lo, s40
.LBB390_185:                            ;   in Loop: Header=BB390_10 Depth=1
	s_delay_alu instid0(SALU_CYCLE_1)
	s_or_b32 exec_lo, exec_lo, s39
.LBB390_186:                            ;   in Loop: Header=BB390_10 Depth=1
	s_delay_alu instid0(SALU_CYCLE_1) | instskip(NEXT) | instid1(VALU_DEP_1)
	s_or_b32 exec_lo, exec_lo, s3
	v_mul_f32_e32 v1, s6, v1
	s_delay_alu instid0(VALU_DEP_1) | instskip(NEXT) | instid1(VALU_DEP_1)
	v_and_b32_e32 v56, 0x7f800000, v1
	v_cmp_ne_u32_e64 s1, 0x7f800000, v56
                                        ; implicit-def: $vgpr56
	s_delay_alu instid0(VALU_DEP_1) | instskip(NEXT) | instid1(SALU_CYCLE_1)
	s_and_saveexec_b32 s3, s1
	s_xor_b32 s1, exec_lo, s3
; %bb.187:                              ;   in Loop: Header=BB390_10 Depth=1
	v_bfe_u32 v56, v1, 16, 1
	s_delay_alu instid0(VALU_DEP_1)
	v_add3_u32 v56, v1, v56, 0x7fff
                                        ; implicit-def: $vgpr1
; %bb.188:                              ;   in Loop: Header=BB390_10 Depth=1
	s_and_not1_saveexec_b32 s3, s1
; %bb.189:                              ;   in Loop: Header=BB390_10 Depth=1
	v_and_b32_e32 v56, 0xffff, v1
	v_or_b32_e32 v58, 0x10000, v1
	s_delay_alu instid0(VALU_DEP_2) | instskip(NEXT) | instid1(VALU_DEP_1)
	v_cmp_eq_u32_e64 s1, 0, v56
	v_cndmask_b32_e64 v56, v58, v1, s1
; %bb.190:                              ;   in Loop: Header=BB390_10 Depth=1
	s_or_b32 exec_lo, exec_lo, s3
	v_lshrrev_b16 v58, 8, v57
	v_mov_b32_e32 v1, 0
	s_mov_b32 s3, exec_lo
	s_delay_alu instid0(VALU_DEP_2)
	v_cmpx_ne_u16_e32 0, v58
	s_cbranch_execz .LBB390_198
; %bb.191:                              ;   in Loop: Header=BB390_10 Depth=1
	v_bfrev_b32_e32 v1, 1
	s_mov_b32 s39, exec_lo
	v_cmpx_ne_u16_e32 0x80, v58
	s_cbranch_execz .LBB390_197
; %bb.192:                              ;   in Loop: Header=BB390_10 Depth=1
	v_and_b32_e32 v58, 0xffff, v58
	v_mov_b32_e32 v1, 0x7f800001
	s_mov_b32 s40, exec_lo
	s_delay_alu instid0(VALU_DEP_2) | instskip(NEXT) | instid1(VALU_DEP_1)
	v_and_b32_e32 v59, 0x7f, v58
	v_cmpx_ne_u32_e32 0x7f, v59
	s_cbranch_execz .LBB390_196
; %bb.193:                              ;   in Loop: Header=BB390_10 Depth=1
	v_and_b32_e32 v1, 7, v58
	v_lshrrev_b32_e32 v58, 3, v59
	s_mov_b32 s41, exec_lo
	v_cmpx_gt_u32_e32 8, v59
; %bb.194:                              ;   in Loop: Header=BB390_10 Depth=1
	s_delay_alu instid0(VALU_DEP_3) | instskip(NEXT) | instid1(VALU_DEP_1)
	v_clz_i32_u32_e32 v58, v1
	v_min_u32_e32 v58, 32, v58
	s_delay_alu instid0(VALU_DEP_1) | instskip(SKIP_1) | instid1(VALU_DEP_2)
	v_subrev_nc_u32_e32 v59, 28, v58
	v_sub_nc_u32_e32 v58, 29, v58
	v_lshlrev_b64 v[59:60], v59, v[1:2]
	s_delay_alu instid0(VALU_DEP_1)
	v_and_b32_e32 v1, 7, v59
; %bb.195:                              ;   in Loop: Header=BB390_10 Depth=1
	s_or_b32 exec_lo, exec_lo, s41
	v_lshlrev_b32_e32 v57, 16, v57
	s_delay_alu instid0(VALU_DEP_2) | instskip(SKIP_1) | instid1(VALU_DEP_3)
	v_lshlrev_b32_e32 v1, 20, v1
	v_lshl_add_u32 v58, v58, 23, 0x3c000000
	v_and_b32_e32 v57, 0x80000000, v57
	s_delay_alu instid0(VALU_DEP_1)
	v_or3_b32 v1, v1, v57, v58
.LBB390_196:                            ;   in Loop: Header=BB390_10 Depth=1
	s_or_b32 exec_lo, exec_lo, s40
.LBB390_197:                            ;   in Loop: Header=BB390_10 Depth=1
	s_delay_alu instid0(SALU_CYCLE_1)
	s_or_b32 exec_lo, exec_lo, s39
.LBB390_198:                            ;   in Loop: Header=BB390_10 Depth=1
	s_delay_alu instid0(SALU_CYCLE_1) | instskip(NEXT) | instid1(VALU_DEP_1)
	s_or_b32 exec_lo, exec_lo, s3
	v_mul_f32_e32 v1, s6, v1
	s_delay_alu instid0(VALU_DEP_1) | instskip(NEXT) | instid1(VALU_DEP_1)
	v_and_b32_e32 v57, 0x7f800000, v1
	v_cmp_ne_u32_e64 s1, 0x7f800000, v57
                                        ; implicit-def: $vgpr57
	s_delay_alu instid0(VALU_DEP_1) | instskip(NEXT) | instid1(SALU_CYCLE_1)
	s_and_saveexec_b32 s3, s1
	s_xor_b32 s1, exec_lo, s3
; %bb.199:                              ;   in Loop: Header=BB390_10 Depth=1
	v_bfe_u32 v57, v1, 16, 1
	s_delay_alu instid0(VALU_DEP_1)
	v_add3_u32 v57, v1, v57, 0x7fff
                                        ; implicit-def: $vgpr1
; %bb.200:                              ;   in Loop: Header=BB390_10 Depth=1
	s_and_not1_saveexec_b32 s3, s1
; %bb.201:                              ;   in Loop: Header=BB390_10 Depth=1
	v_and_b32_e32 v57, 0xffff, v1
	v_or_b32_e32 v58, 0x10000, v1
	s_delay_alu instid0(VALU_DEP_2) | instskip(NEXT) | instid1(VALU_DEP_1)
	v_cmp_eq_u32_e64 s1, 0, v57
	v_cndmask_b32_e64 v57, v58, v1, s1
; %bb.202:                              ;   in Loop: Header=BB390_10 Depth=1
	s_or_b32 exec_lo, exec_lo, s3
	global_load_u16 v1, v[7:8], off offset:512
	s_mov_b32 s3, exec_lo
	s_waitcnt vmcnt(0)
	v_and_b32_e32 v58, 0xff, v1
	v_and_b32_e32 v59, 0xffff, v1
	v_mov_b32_e32 v1, 0
	s_delay_alu instid0(VALU_DEP_3)
	v_cmpx_ne_u16_e32 0, v58
	s_cbranch_execz .LBB390_210
; %bb.203:                              ;   in Loop: Header=BB390_10 Depth=1
	s_delay_alu instid0(VALU_DEP_3) | instskip(NEXT) | instid1(VALU_DEP_1)
	v_and_b32_e32 v1, 0xff, v59
	v_cmp_ne_u16_e64 s1, 0x80, v1
	v_bfrev_b32_e32 v1, 1
	s_delay_alu instid0(VALU_DEP_2)
	s_and_saveexec_b32 s39, s1
	s_cbranch_execz .LBB390_209
; %bb.204:                              ;   in Loop: Header=BB390_10 Depth=1
	v_and_b32_e32 v60, 0x7f, v59
	v_mov_b32_e32 v1, 0x7f800001
	s_mov_b32 s40, exec_lo
	s_delay_alu instid0(VALU_DEP_2)
	v_cmpx_ne_u32_e32 0x7f, v60
	s_cbranch_execz .LBB390_208
; %bb.205:                              ;   in Loop: Header=BB390_10 Depth=1
	v_and_b32_e32 v1, 7, v59
	v_lshrrev_b32_e32 v58, 3, v60
	s_mov_b32 s41, exec_lo
	v_cmpx_gt_u32_e32 8, v60
; %bb.206:                              ;   in Loop: Header=BB390_10 Depth=1
	s_delay_alu instid0(VALU_DEP_3) | instskip(NEXT) | instid1(VALU_DEP_1)
	v_clz_i32_u32_e32 v58, v1
	v_min_u32_e32 v58, 32, v58
	s_delay_alu instid0(VALU_DEP_1) | instskip(SKIP_1) | instid1(VALU_DEP_2)
	v_subrev_nc_u32_e32 v60, 28, v58
	v_sub_nc_u32_e32 v58, 29, v58
	v_lshlrev_b64 v[60:61], v60, v[1:2]
	s_delay_alu instid0(VALU_DEP_1)
	v_and_b32_e32 v1, 7, v60
; %bb.207:                              ;   in Loop: Header=BB390_10 Depth=1
	s_or_b32 exec_lo, exec_lo, s41
	v_lshlrev_b32_e32 v60, 24, v59
	s_delay_alu instid0(VALU_DEP_2) | instskip(SKIP_1) | instid1(VALU_DEP_3)
	v_lshlrev_b32_e32 v1, 20, v1
	v_lshl_add_u32 v58, v58, 23, 0x3c000000
	v_and_b32_e32 v60, 0x80000000, v60
	s_delay_alu instid0(VALU_DEP_1)
	v_or3_b32 v1, v1, v60, v58
.LBB390_208:                            ;   in Loop: Header=BB390_10 Depth=1
	s_or_b32 exec_lo, exec_lo, s40
.LBB390_209:                            ;   in Loop: Header=BB390_10 Depth=1
	s_delay_alu instid0(SALU_CYCLE_1)
	s_or_b32 exec_lo, exec_lo, s39
.LBB390_210:                            ;   in Loop: Header=BB390_10 Depth=1
	s_delay_alu instid0(SALU_CYCLE_1) | instskip(NEXT) | instid1(VALU_DEP_1)
	s_or_b32 exec_lo, exec_lo, s3
	v_mul_f32_e32 v1, s6, v1
	s_delay_alu instid0(VALU_DEP_1) | instskip(NEXT) | instid1(VALU_DEP_1)
	v_and_b32_e32 v58, 0x7f800000, v1
	v_cmp_ne_u32_e64 s1, 0x7f800000, v58
                                        ; implicit-def: $vgpr58
	s_delay_alu instid0(VALU_DEP_1) | instskip(NEXT) | instid1(SALU_CYCLE_1)
	s_and_saveexec_b32 s3, s1
	s_xor_b32 s1, exec_lo, s3
; %bb.211:                              ;   in Loop: Header=BB390_10 Depth=1
	v_bfe_u32 v58, v1, 16, 1
	s_delay_alu instid0(VALU_DEP_1)
	v_add3_u32 v58, v1, v58, 0x7fff
                                        ; implicit-def: $vgpr1
; %bb.212:                              ;   in Loop: Header=BB390_10 Depth=1
	s_and_not1_saveexec_b32 s3, s1
; %bb.213:                              ;   in Loop: Header=BB390_10 Depth=1
	v_and_b32_e32 v58, 0xffff, v1
	v_or_b32_e32 v60, 0x10000, v1
	s_delay_alu instid0(VALU_DEP_2) | instskip(NEXT) | instid1(VALU_DEP_1)
	v_cmp_eq_u32_e64 s1, 0, v58
	v_cndmask_b32_e64 v58, v60, v1, s1
; %bb.214:                              ;   in Loop: Header=BB390_10 Depth=1
	s_or_b32 exec_lo, exec_lo, s3
	v_lshrrev_b16 v60, 8, v59
	v_mov_b32_e32 v1, 0
	s_mov_b32 s3, exec_lo
	s_delay_alu instid0(VALU_DEP_2)
	v_cmpx_ne_u16_e32 0, v60
	s_cbranch_execz .LBB390_222
; %bb.215:                              ;   in Loop: Header=BB390_10 Depth=1
	v_bfrev_b32_e32 v1, 1
	s_mov_b32 s39, exec_lo
	v_cmpx_ne_u16_e32 0x80, v60
	s_cbranch_execz .LBB390_221
; %bb.216:                              ;   in Loop: Header=BB390_10 Depth=1
	v_and_b32_e32 v60, 0xffff, v60
	v_mov_b32_e32 v1, 0x7f800001
	s_mov_b32 s40, exec_lo
	s_delay_alu instid0(VALU_DEP_2) | instskip(NEXT) | instid1(VALU_DEP_1)
	v_and_b32_e32 v61, 0x7f, v60
	v_cmpx_ne_u32_e32 0x7f, v61
	s_cbranch_execz .LBB390_220
; %bb.217:                              ;   in Loop: Header=BB390_10 Depth=1
	v_and_b32_e32 v1, 7, v60
	v_lshrrev_b32_e32 v60, 3, v61
	s_mov_b32 s41, exec_lo
	v_cmpx_gt_u32_e32 8, v61
; %bb.218:                              ;   in Loop: Header=BB390_10 Depth=1
	s_delay_alu instid0(VALU_DEP_3) | instskip(NEXT) | instid1(VALU_DEP_1)
	v_clz_i32_u32_e32 v60, v1
	v_min_u32_e32 v60, 32, v60
	s_delay_alu instid0(VALU_DEP_1) | instskip(SKIP_1) | instid1(VALU_DEP_2)
	v_subrev_nc_u32_e32 v61, 28, v60
	v_sub_nc_u32_e32 v60, 29, v60
	v_lshlrev_b64 v[61:62], v61, v[1:2]
	s_delay_alu instid0(VALU_DEP_1)
	v_and_b32_e32 v1, 7, v61
; %bb.219:                              ;   in Loop: Header=BB390_10 Depth=1
	s_or_b32 exec_lo, exec_lo, s41
	v_lshlrev_b32_e32 v59, 16, v59
	s_delay_alu instid0(VALU_DEP_2) | instskip(SKIP_1) | instid1(VALU_DEP_3)
	v_lshlrev_b32_e32 v1, 20, v1
	v_lshl_add_u32 v60, v60, 23, 0x3c000000
	v_and_b32_e32 v59, 0x80000000, v59
	s_delay_alu instid0(VALU_DEP_1)
	v_or3_b32 v1, v1, v59, v60
.LBB390_220:                            ;   in Loop: Header=BB390_10 Depth=1
	s_or_b32 exec_lo, exec_lo, s40
.LBB390_221:                            ;   in Loop: Header=BB390_10 Depth=1
	s_delay_alu instid0(SALU_CYCLE_1)
	s_or_b32 exec_lo, exec_lo, s39
.LBB390_222:                            ;   in Loop: Header=BB390_10 Depth=1
	s_delay_alu instid0(SALU_CYCLE_1) | instskip(NEXT) | instid1(VALU_DEP_1)
	s_or_b32 exec_lo, exec_lo, s3
	v_mul_f32_e32 v1, s6, v1
	s_delay_alu instid0(VALU_DEP_1) | instskip(NEXT) | instid1(VALU_DEP_1)
	v_and_b32_e32 v59, 0x7f800000, v1
	v_cmp_ne_u32_e64 s1, 0x7f800000, v59
                                        ; implicit-def: $vgpr59
	s_delay_alu instid0(VALU_DEP_1) | instskip(NEXT) | instid1(SALU_CYCLE_1)
	s_and_saveexec_b32 s3, s1
	s_xor_b32 s1, exec_lo, s3
; %bb.223:                              ;   in Loop: Header=BB390_10 Depth=1
	v_bfe_u32 v59, v1, 16, 1
	s_delay_alu instid0(VALU_DEP_1)
	v_add3_u32 v59, v1, v59, 0x7fff
                                        ; implicit-def: $vgpr1
; %bb.224:                              ;   in Loop: Header=BB390_10 Depth=1
	s_and_not1_saveexec_b32 s3, s1
; %bb.225:                              ;   in Loop: Header=BB390_10 Depth=1
	v_and_b32_e32 v59, 0xffff, v1
	v_or_b32_e32 v60, 0x10000, v1
	s_delay_alu instid0(VALU_DEP_2) | instskip(NEXT) | instid1(VALU_DEP_1)
	v_cmp_eq_u32_e64 s1, 0, v59
	v_cndmask_b32_e64 v59, v60, v1, s1
; %bb.226:                              ;   in Loop: Header=BB390_10 Depth=1
	s_or_b32 exec_lo, exec_lo, s3
	global_load_u16 v1, v[7:8], off offset:520
	s_mov_b32 s3, exec_lo
	s_waitcnt vmcnt(0)
	v_and_b32_e32 v7, 0xff, v1
	v_dual_mov_b32 v1, 0 :: v_dual_and_b32 v8, 0xffff, v1
	s_delay_alu instid0(VALU_DEP_2)
	v_cmpx_ne_u16_e32 0, v7
	s_cbranch_execz .LBB390_234
; %bb.227:                              ;   in Loop: Header=BB390_10 Depth=1
	s_delay_alu instid0(VALU_DEP_2) | instskip(NEXT) | instid1(VALU_DEP_1)
	v_and_b32_e32 v1, 0xff, v8
	v_cmp_ne_u16_e64 s1, 0x80, v1
	v_bfrev_b32_e32 v1, 1
	s_delay_alu instid0(VALU_DEP_2)
	s_and_saveexec_b32 s39, s1
	s_cbranch_execz .LBB390_233
; %bb.228:                              ;   in Loop: Header=BB390_10 Depth=1
	v_and_b32_e32 v60, 0x7f, v8
	v_mov_b32_e32 v1, 0x7f800001
	s_mov_b32 s40, exec_lo
	s_delay_alu instid0(VALU_DEP_2)
	v_cmpx_ne_u32_e32 0x7f, v60
	s_cbranch_execz .LBB390_232
; %bb.229:                              ;   in Loop: Header=BB390_10 Depth=1
	v_and_b32_e32 v1, 7, v8
	v_lshrrev_b32_e32 v7, 3, v60
	s_mov_b32 s41, exec_lo
	v_cmpx_gt_u32_e32 8, v60
; %bb.230:                              ;   in Loop: Header=BB390_10 Depth=1
	s_delay_alu instid0(VALU_DEP_3) | instskip(NEXT) | instid1(VALU_DEP_1)
	v_clz_i32_u32_e32 v7, v1
	v_min_u32_e32 v7, 32, v7
	s_delay_alu instid0(VALU_DEP_1) | instskip(SKIP_1) | instid1(VALU_DEP_2)
	v_subrev_nc_u32_e32 v60, 28, v7
	v_sub_nc_u32_e32 v7, 29, v7
	v_lshlrev_b64 v[60:61], v60, v[1:2]
	s_delay_alu instid0(VALU_DEP_1)
	v_and_b32_e32 v1, 7, v60
; %bb.231:                              ;   in Loop: Header=BB390_10 Depth=1
	s_or_b32 exec_lo, exec_lo, s41
	v_lshlrev_b32_e32 v60, 24, v8
	s_delay_alu instid0(VALU_DEP_2) | instskip(SKIP_1) | instid1(VALU_DEP_3)
	v_lshlrev_b32_e32 v1, 20, v1
	v_lshl_add_u32 v7, v7, 23, 0x3c000000
	v_and_b32_e32 v60, 0x80000000, v60
	s_delay_alu instid0(VALU_DEP_1)
	v_or3_b32 v1, v1, v60, v7
.LBB390_232:                            ;   in Loop: Header=BB390_10 Depth=1
	s_or_b32 exec_lo, exec_lo, s40
.LBB390_233:                            ;   in Loop: Header=BB390_10 Depth=1
	s_delay_alu instid0(SALU_CYCLE_1)
	s_or_b32 exec_lo, exec_lo, s39
.LBB390_234:                            ;   in Loop: Header=BB390_10 Depth=1
	s_delay_alu instid0(SALU_CYCLE_1) | instskip(NEXT) | instid1(VALU_DEP_1)
	s_or_b32 exec_lo, exec_lo, s3
	v_mul_f32_e32 v1, s6, v1
	s_delay_alu instid0(VALU_DEP_1) | instskip(NEXT) | instid1(VALU_DEP_1)
	v_and_b32_e32 v7, 0x7f800000, v1
	v_cmp_ne_u32_e64 s1, 0x7f800000, v7
                                        ; implicit-def: $vgpr7
	s_delay_alu instid0(VALU_DEP_1) | instskip(NEXT) | instid1(SALU_CYCLE_1)
	s_and_saveexec_b32 s3, s1
	s_xor_b32 s1, exec_lo, s3
; %bb.235:                              ;   in Loop: Header=BB390_10 Depth=1
	v_bfe_u32 v7, v1, 16, 1
	s_delay_alu instid0(VALU_DEP_1)
	v_add3_u32 v7, v1, v7, 0x7fff
                                        ; implicit-def: $vgpr1
; %bb.236:                              ;   in Loop: Header=BB390_10 Depth=1
	s_and_not1_saveexec_b32 s3, s1
; %bb.237:                              ;   in Loop: Header=BB390_10 Depth=1
	v_and_b32_e32 v7, 0xffff, v1
	v_or_b32_e32 v60, 0x10000, v1
	s_delay_alu instid0(VALU_DEP_2) | instskip(NEXT) | instid1(VALU_DEP_1)
	v_cmp_eq_u32_e64 s1, 0, v7
	v_cndmask_b32_e64 v7, v60, v1, s1
; %bb.238:                              ;   in Loop: Header=BB390_10 Depth=1
	s_or_b32 exec_lo, exec_lo, s3
	v_lshrrev_b16 v60, 8, v8
	v_mov_b32_e32 v1, 0
	s_mov_b32 s3, exec_lo
	s_delay_alu instid0(VALU_DEP_2)
	v_cmpx_ne_u16_e32 0, v60
	s_cbranch_execz .LBB390_246
; %bb.239:                              ;   in Loop: Header=BB390_10 Depth=1
	v_bfrev_b32_e32 v1, 1
	s_mov_b32 s39, exec_lo
	v_cmpx_ne_u16_e32 0x80, v60
	s_cbranch_execz .LBB390_245
; %bb.240:                              ;   in Loop: Header=BB390_10 Depth=1
	v_and_b32_e32 v60, 0xffff, v60
	v_mov_b32_e32 v1, 0x7f800001
	s_mov_b32 s40, exec_lo
	s_delay_alu instid0(VALU_DEP_2) | instskip(NEXT) | instid1(VALU_DEP_1)
	v_and_b32_e32 v61, 0x7f, v60
	v_cmpx_ne_u32_e32 0x7f, v61
	s_cbranch_execz .LBB390_244
; %bb.241:                              ;   in Loop: Header=BB390_10 Depth=1
	v_and_b32_e32 v1, 7, v60
	v_lshrrev_b32_e32 v60, 3, v61
	s_mov_b32 s41, exec_lo
	v_cmpx_gt_u32_e32 8, v61
; %bb.242:                              ;   in Loop: Header=BB390_10 Depth=1
	s_delay_alu instid0(VALU_DEP_3) | instskip(NEXT) | instid1(VALU_DEP_1)
	v_clz_i32_u32_e32 v60, v1
	v_min_u32_e32 v60, 32, v60
	s_delay_alu instid0(VALU_DEP_1) | instskip(SKIP_1) | instid1(VALU_DEP_2)
	v_subrev_nc_u32_e32 v61, 28, v60
	v_sub_nc_u32_e32 v60, 29, v60
	v_lshlrev_b64 v[61:62], v61, v[1:2]
	s_delay_alu instid0(VALU_DEP_1)
	v_and_b32_e32 v1, 7, v61
; %bb.243:                              ;   in Loop: Header=BB390_10 Depth=1
	s_or_b32 exec_lo, exec_lo, s41
	v_lshlrev_b32_e32 v8, 16, v8
	s_delay_alu instid0(VALU_DEP_2) | instskip(SKIP_1) | instid1(VALU_DEP_3)
	v_lshlrev_b32_e32 v1, 20, v1
	v_lshl_add_u32 v60, v60, 23, 0x3c000000
	v_and_b32_e32 v8, 0x80000000, v8
	s_delay_alu instid0(VALU_DEP_1)
	v_or3_b32 v1, v1, v8, v60
.LBB390_244:                            ;   in Loop: Header=BB390_10 Depth=1
	s_or_b32 exec_lo, exec_lo, s40
.LBB390_245:                            ;   in Loop: Header=BB390_10 Depth=1
	s_delay_alu instid0(SALU_CYCLE_1)
	s_or_b32 exec_lo, exec_lo, s39
.LBB390_246:                            ;   in Loop: Header=BB390_10 Depth=1
	s_delay_alu instid0(SALU_CYCLE_1) | instskip(NEXT) | instid1(VALU_DEP_1)
	s_or_b32 exec_lo, exec_lo, s3
	v_mul_f32_e32 v8, s6, v1
	s_delay_alu instid0(VALU_DEP_1) | instskip(NEXT) | instid1(VALU_DEP_1)
	v_and_b32_e32 v1, 0x7f800000, v8
	v_cmp_ne_u32_e64 s1, 0x7f800000, v1
                                        ; implicit-def: $vgpr1
	s_delay_alu instid0(VALU_DEP_1) | instskip(NEXT) | instid1(SALU_CYCLE_1)
	s_and_saveexec_b32 s3, s1
	s_xor_b32 s1, exec_lo, s3
; %bb.247:                              ;   in Loop: Header=BB390_10 Depth=1
	v_bfe_u32 v1, v8, 16, 1
	s_delay_alu instid0(VALU_DEP_1)
	v_add3_u32 v1, v8, v1, 0x7fff
                                        ; implicit-def: $vgpr8
; %bb.248:                              ;   in Loop: Header=BB390_10 Depth=1
	s_and_not1_saveexec_b32 s3, s1
; %bb.249:                              ;   in Loop: Header=BB390_10 Depth=1
	v_and_b32_e32 v1, 0xffff, v8
	v_or_b32_e32 v60, 0x10000, v8
	s_delay_alu instid0(VALU_DEP_2) | instskip(NEXT) | instid1(VALU_DEP_1)
	v_cmp_eq_u32_e64 s1, 0, v1
	v_cndmask_b32_e64 v1, v60, v8, s1
; %bb.250:                              ;   in Loop: Header=BB390_10 Depth=1
	s_or_b32 exec_lo, exec_lo, s3
	v_and_b32_e32 v8, 0xffff0000, v44
	v_and_b32_e32 v44, 0xffff0000, v45
	;; [unrolled: 1-line block ×5, first 2 shown]
	v_mul_f32_e32 v8, v18, v8
	v_dual_mul_f32 v44, v19, v44 :: v_dual_and_b32 v45, 0xffff0000, v47
	v_and_b32_e32 v7, 0xffff0000, v7
	s_delay_alu instid0(VALU_DEP_3) | instskip(NEXT) | instid1(VALU_DEP_3)
	v_dual_fmac_f32 v8, v14, v42 :: v_dual_and_b32 v1, 0xffff0000, v1
	v_dual_fmac_f32 v44, v16, v43 :: v_dual_and_b32 v43, 0xffff0000, v48
	v_and_b32_e32 v42, 0xffff0000, v49
	s_delay_alu instid0(VALU_DEP_3) | instskip(SKIP_1) | instid1(VALU_DEP_2)
	v_fmac_f32_e32 v8, v20, v46
	v_and_b32_e32 v46, 0xffff0000, v50
	v_dual_fmac_f32 v8, v22, v43 :: v_dual_and_b32 v43, 0xffff0000, v52
	v_dual_fmac_f32 v44, v21, v45 :: v_dual_and_b32 v45, 0xffff0000, v51
	s_delay_alu instid0(VALU_DEP_2) | instskip(SKIP_1) | instid1(VALU_DEP_3)
	v_fmac_f32_e32 v8, v24, v46
	v_and_b32_e32 v46, 0xffff0000, v54
	v_fmac_f32_e32 v44, v23, v42
	v_and_b32_e32 v42, 0xffff0000, v53
	s_delay_alu instid0(VALU_DEP_4) | instskip(NEXT) | instid1(VALU_DEP_3)
	v_dual_fmac_f32 v8, v26, v43 :: v_dual_and_b32 v43, 0xffff0000, v56
	v_dual_fmac_f32 v44, v25, v45 :: v_dual_and_b32 v45, 0xffff0000, v55
	s_delay_alu instid0(VALU_DEP_2) | instskip(SKIP_1) | instid1(VALU_DEP_3)
	v_fmac_f32_e32 v8, v28, v46
	v_and_b32_e32 v46, 0xffff0000, v58
	v_fmac_f32_e32 v44, v27, v42
	v_and_b32_e32 v42, 0xffff0000, v57
	s_delay_alu instid0(VALU_DEP_4) | instskip(NEXT) | instid1(VALU_DEP_3)
	v_fmac_f32_e32 v8, v30, v43
	v_dual_fmac_f32 v44, v29, v45 :: v_dual_and_b32 v45, 0xffff0000, v59
	s_delay_alu instid0(VALU_DEP_2) | instskip(NEXT) | instid1(VALU_DEP_2)
	v_fmac_f32_e32 v8, v32, v46
	v_fmac_f32_e32 v44, v31, v42
	s_delay_alu instid0(VALU_DEP_2) | instskip(NEXT) | instid1(VALU_DEP_2)
	v_fmac_f32_e32 v8, v34, v7
	v_fmac_f32_e32 v44, v33, v45
	s_delay_alu instid0(VALU_DEP_1) | instskip(NEXT) | instid1(VALU_DEP_1)
	v_fmac_f32_e32 v44, v36, v1
	v_add_f32_e32 v1, v8, v44
	ds_bpermute_b32 v7, v37, v1
	s_waitcnt lgkmcnt(0)
	v_add_f32_e32 v1, v1, v7
	ds_bpermute_b32 v7, v38, v1
	s_and_saveexec_b32 s3, vcc_lo
	s_cbranch_execz .LBB390_9
; %bb.251:                              ;   in Loop: Header=BB390_10 Depth=1
	s_waitcnt lgkmcnt(0)
	v_add_f32_e32 v1, v1, v7
	v_add_nc_u32_e32 v8, s8, v39
	v_cmp_gt_i32_e64 s1, s15, v39
	s_delay_alu instid0(VALU_DEP_2) | instskip(NEXT) | instid1(VALU_DEP_1)
	v_cvt_f32_i32_e32 v8, v8
	v_mul_f32_e32 v8, s12, v8
	s_delay_alu instid0(VALU_DEP_1) | instskip(NEXT) | instid1(VALU_DEP_1)
	v_cndmask_b32_e64 v7, 0, v8, s0
	v_dual_max_f32 v8, v35, v35 :: v_dual_fmac_f32 v7, s13, v1
	s_delay_alu instid0(VALU_DEP_1) | instskip(SKIP_1) | instid1(VALU_DEP_2)
	v_max_f32_e32 v1, v8, v7
	v_cndmask_b32_e64 v7, 0, v7, s1
	v_cndmask_b32_e64 v35, v35, v1, s1
	ds_store_b32 v40, v7
	s_branch .LBB390_9
.LBB390_252:
	s_or_b32 exec_lo, exec_lo, s9
.LBB390_253:
	s_delay_alu instid0(SALU_CYCLE_1) | instskip(SKIP_3) | instid1(VALU_DEP_3)
	s_or_b32 exec_lo, exec_lo, s37
	v_xor_b32_e32 v1, 16, v9
	v_xor_b32_e32 v3, 8, v9
	v_dual_max_f32 v5, v35, v35 :: v_dual_and_b32 v18, 31, v0
	v_cmp_lt_i32_e32 vcc_lo, v1, v10
	v_cndmask_b32_e32 v1, v9, v1, vcc_lo
	s_delay_alu instid0(VALU_DEP_4) | instskip(SKIP_1) | instid1(VALU_DEP_1)
	v_cmp_lt_i32_e32 vcc_lo, v3, v10
	v_cndmask_b32_e32 v3, v9, v3, vcc_lo
	v_lshlrev_b32_e32 v4, 2, v3
	s_delay_alu instid0(VALU_DEP_4) | instskip(SKIP_3) | instid1(VALU_DEP_1)
	v_lshlrev_b32_e32 v2, 2, v1
	ds_bpermute_b32 v1, v2, v35
	s_waitcnt lgkmcnt(0)
	v_max_f32_e32 v1, v1, v1
	v_max_f32_e32 v1, v5, v1
	v_xor_b32_e32 v5, 4, v9
	ds_bpermute_b32 v3, v4, v1
	v_cmp_lt_i32_e32 vcc_lo, v5, v10
	v_cndmask_b32_e32 v5, v9, v5, vcc_lo
	v_cmp_eq_u32_e32 vcc_lo, 0, v18
	s_delay_alu instid0(VALU_DEP_2) | instskip(SKIP_3) | instid1(VALU_DEP_1)
	v_lshlrev_b32_e32 v6, 2, v5
	v_lshlrev_b32_e32 v5, 2, v17
	s_waitcnt lgkmcnt(0)
	v_max_f32_e32 v3, v3, v3
	v_max_f32_e32 v1, v1, v3
	ds_bpermute_b32 v3, v6, v1
	s_and_saveexec_b32 s0, vcc_lo
	s_cbranch_execz .LBB390_255
; %bb.254:
	s_waitcnt lgkmcnt(0)
	v_max_f32_e32 v3, v3, v3
	v_max_f32_e32 v1, v1, v1
	s_delay_alu instid0(VALU_DEP_1)
	v_max_f32_e32 v1, v1, v3
	ds_store_b32 v5, v1 offset:160
.LBB390_255:
	s_or_b32 exec_lo, exec_lo, s0
	v_cmp_gt_u32_e64 s0, 4, v18
	v_mov_b32_e32 v1, 0xff7fffff
	v_lshlrev_b32_e32 v19, 2, v18
	s_waitcnt lgkmcnt(0)
	s_barrier
	buffer_gl0_inv
	s_and_saveexec_b32 s1, s0
	s_cbranch_execz .LBB390_257
; %bb.256:
	ds_load_b32 v1, v19 offset:160
.LBB390_257:
	s_or_b32 exec_lo, exec_lo, s1
	v_xor_b32_e32 v3, 2, v9
	v_xor_b32_e32 v8, 1, v9
	s_delay_alu instid0(VALU_DEP_2) | instskip(NEXT) | instid1(VALU_DEP_1)
	v_cmp_lt_i32_e64 s1, v3, v10
	v_cndmask_b32_e64 v3, v9, v3, s1
	s_delay_alu instid0(VALU_DEP_3) | instskip(NEXT) | instid1(VALU_DEP_2)
	v_cmp_lt_i32_e64 s1, v8, v10
	v_dual_mov_b32 v10, 0 :: v_dual_lshlrev_b32 v7, 2, v3
	s_delay_alu instid0(VALU_DEP_2) | instskip(SKIP_2) | instid1(SALU_CYCLE_1)
	v_cndmask_b32_e64 v8, v9, v8, s1
	v_lshlrev_b32_e32 v9, 2, v9
	s_sub_i32 s1, s23, s7
	s_lshl_b32 s1, s1, 3
	s_waitcnt lgkmcnt(0)
	ds_bpermute_b32 v3, v7, v1
	v_dual_max_f32 v1, v1, v1 :: v_dual_lshlrev_b32 v8, 2, v8
	v_and_b32_e32 v9, 0xffffff80, v9
	s_add_i32 s1, s1, s33
	s_delay_alu instid0(SALU_CYCLE_1) | instskip(NEXT) | instid1(SALU_CYCLE_1)
	s_min_i32 s1, s1, s15
	s_sub_i32 s6, s1, s33
	s_delay_alu instid0(SALU_CYCLE_1) | instskip(SKIP_2) | instid1(VALU_DEP_1)
	v_cmp_gt_i32_e64 s1, s6, v0
	s_waitcnt lgkmcnt(0)
	v_max_f32_e32 v3, v3, v3
	v_max_f32_e32 v1, v1, v3
	ds_bpermute_b32 v3, v8, v1
	s_waitcnt lgkmcnt(0)
	v_max_f32_e32 v3, v3, v3
	s_delay_alu instid0(VALU_DEP_1)
	v_max_f32_e32 v1, v1, v3
	v_lshl_add_u32 v3, v0, 2, 0xc0
	ds_bpermute_b32 v1, v9, v1
	s_and_saveexec_b32 s7, s1
	s_cbranch_execz .LBB390_261
; %bb.258:
	v_lshl_add_u32 v11, v0, 2, 0xc0
	v_mov_b32_e32 v10, 0
	v_mov_b32_e32 v14, v0
	s_mov_b32 s8, 0
	.p2align	6
.LBB390_259:                            ; =>This Inner Loop Header: Depth=1
	ds_load_b32 v16, v11
	v_add_nc_u32_e32 v14, 0x80, v14
	s_delay_alu instid0(VALU_DEP_1) | instskip(NEXT) | instid1(VALU_DEP_1)
	v_cmp_le_i32_e64 s3, s6, v14
	s_or_b32 s8, s3, s8
	s_waitcnt lgkmcnt(0)
	v_sub_f32_e32 v16, v16, v1
	s_delay_alu instid0(VALU_DEP_1) | instskip(NEXT) | instid1(VALU_DEP_1)
	v_mul_f32_e32 v16, 0x3fb8aa3b, v16
	v_exp_f32_e32 v16, v16
	ds_store_b32 v11, v16
	v_dual_add_f32 v10, v10, v16 :: v_dual_add_nc_u32 v11, 0x200, v11
	s_and_not1_b32 exec_lo, exec_lo, s8
	s_cbranch_execnz .LBB390_259
; %bb.260:
	s_or_b32 exec_lo, exec_lo, s8
.LBB390_261:
	s_delay_alu instid0(SALU_CYCLE_1)
	s_or_b32 exec_lo, exec_lo, s7
	ds_bpermute_b32 v2, v2, v10
	s_waitcnt lgkmcnt(0)
	v_add_f32_e32 v2, v10, v2
	ds_bpermute_b32 v4, v4, v2
	s_waitcnt lgkmcnt(0)
	v_add_f32_e32 v2, v2, v4
	;; [unrolled: 3-line block ×5, first 2 shown]
	s_and_saveexec_b32 s3, vcc_lo
	s_cbranch_execz .LBB390_263
; %bb.262:
	ds_store_b32 v5, v2 offset:176
.LBB390_263:
	s_or_b32 exec_lo, exec_lo, s3
	s_waitcnt lgkmcnt(0)
	s_barrier
	buffer_gl0_inv
	s_and_saveexec_b32 s3, s0
	s_cbranch_execz .LBB390_265
; %bb.264:
	ds_load_b32 v2, v19 offset:176
.LBB390_265:
	s_or_b32 exec_lo, exec_lo, s3
	s_waitcnt lgkmcnt(0)
	ds_bpermute_b32 v4, v7, v2
	s_waitcnt lgkmcnt(0)
	v_add_f32_e32 v2, v2, v4
	ds_bpermute_b32 v4, v8, v2
	s_waitcnt lgkmcnt(0)
	v_add_f32_e32 v2, v2, v4
	ds_bpermute_b32 v2, v9, v2
	s_and_saveexec_b32 s0, s1
	s_cbranch_execz .LBB390_268
; %bb.266:
	s_waitcnt lgkmcnt(0)
	v_add_f32_e32 v4, 0x358637bd, v2
	s_mov_b32 s1, 0
	s_delay_alu instid0(VALU_DEP_1) | instskip(SKIP_1) | instid1(VALU_DEP_2)
	v_div_scale_f32 v5, null, v4, v4, 1.0
	v_div_scale_f32 v8, vcc_lo, 1.0, v4, 1.0
	v_rcp_f32_e32 v6, v5
	s_waitcnt_depctr 0xfff
	v_fma_f32 v7, -v5, v6, 1.0
	s_delay_alu instid0(VALU_DEP_1) | instskip(NEXT) | instid1(VALU_DEP_1)
	v_fmac_f32_e32 v6, v7, v6
	v_mul_f32_e32 v7, v8, v6
	s_delay_alu instid0(VALU_DEP_1) | instskip(NEXT) | instid1(VALU_DEP_1)
	v_fma_f32 v9, -v5, v7, v8
	v_fmac_f32_e32 v7, v9, v6
	s_delay_alu instid0(VALU_DEP_1) | instskip(NEXT) | instid1(VALU_DEP_1)
	v_fma_f32 v5, -v5, v7, v8
	v_div_fmas_f32 v5, v5, v6, v7
	s_delay_alu instid0(VALU_DEP_1)
	v_div_fixup_f32 v4, v5, v4, 1.0
	v_mov_b32_e32 v5, v0
.LBB390_267:                            ; =>This Inner Loop Header: Depth=1
	ds_load_b32 v6, v3
	s_waitcnt lgkmcnt(0)
	v_dual_mul_f32 v6, v4, v6 :: v_dual_add_nc_u32 v5, 0x80, v5
	s_delay_alu instid0(VALU_DEP_1) | instskip(SKIP_3) | instid1(SALU_CYCLE_1)
	v_cmp_le_i32_e32 vcc_lo, s6, v5
	ds_store_b32 v3, v6
	v_add_nc_u32_e32 v3, 0x200, v3
	s_or_b32 s1, vcc_lo, s1
	s_and_not1_b32 exec_lo, exec_lo, s1
	s_cbranch_execnz .LBB390_267
.LBB390_268:
	s_or_b32 exec_lo, exec_lo, s0
	s_mul_i32 s0, s4, s14
	s_mov_b32 s12, 0
	s_mul_i32 s6, s0, s21
	s_mov_b32 s0, exec_lo
	s_waitcnt lgkmcnt(0)
	s_barrier
	buffer_gl0_inv
	v_cmpx_eq_u32_e32 0, v0
	s_cbranch_execz .LBB390_270
; %bb.269:
	s_ashr_i32 s7, s6, 31
	s_mul_i32 s38, s4, s26
	s_lshl_b64 s[8:9], s[6:7], 2
	v_mov_b32_e32 v3, 0
	s_add_u32 s1, s18, s8
	s_addc_u32 s3, s19, s9
	s_ashr_i32 s39, s38, 31
	s_delay_alu instid0(SALU_CYCLE_1) | instskip(NEXT) | instid1(SALU_CYCLE_1)
	s_lshl_b64 s[18:19], s[38:39], 2
	s_add_u32 s1, s1, s18
	s_addc_u32 s3, s3, s19
	s_ashr_i32 s21, s20, 31
	s_delay_alu instid0(SALU_CYCLE_1) | instskip(NEXT) | instid1(SALU_CYCLE_1)
	s_lshl_b64 s[38:39], s[20:21], 2
	s_add_u32 s40, s1, s38
	s_addc_u32 s41, s3, s39
	s_add_u32 s1, s16, s8
	s_addc_u32 s3, s17, s9
	;; [unrolled: 2-line block ×4, first 2 shown]
	s_clause 0x1
	global_store_b32 v3, v1, s[40:41]
	global_store_b32 v3, v2, s[8:9]
.LBB390_270:
	s_or_b32 exec_lo, exec_lo, s0
	s_mov_b32 s13, s12
	s_mov_b32 s14, s12
	v_dual_mov_b32 v9, s12 :: v_dual_mov_b32 v10, s13
	v_mov_b32_e32 v11, s14
	v_or_b32_e32 v20, 64, v18
	s_and_saveexec_b32 s7, s2
	s_cbranch_execz .LBB390_686
; %bb.271:
	s_load_b32 s11, s[10:11], 0x0
	s_ashr_i32 s0, s36, 31
	v_lshlrev_b64 v[1:2], 2, v[12:13]
	s_add_u32 s2, s34, s36
	s_addc_u32 s3, s35, s0
	s_lshl_b64 s[0:1], s[30:31], 2
	s_add_i32 s14, s27, -1
	s_mov_b32 s8, 0
	s_add_u32 s0, s28, s0
	s_mov_b32 s10, s8
	v_add3_u32 v23, s33, v15, 7
	s_addc_u32 s1, s29, s1
	s_mov_b32 s9, s8
	v_add_co_u32 v15, s0, s0, v1
	v_dual_mov_b32 v11, s10 :: v_dual_lshlrev_b32 v22, 3, v20
	v_dual_mov_b32 v14, 0 :: v_dual_lshlrev_b32 v21, 3, v18
	v_cmp_gt_u32_e32 vcc_lo, 0x50, v20
	v_lshl_add_u32 v24, v17, 5, 0xc0
	v_add_co_ci_u32_e64 v16, s0, s1, v2, s0
	v_dual_mov_b32 v10, s9 :: v_dual_mov_b32 v9, s8
	s_mov_b32 s12, -1
	s_mov_b32 s13, 0xffffff
	s_branch .LBB390_274
.LBB390_272:                            ;   in Loop: Header=BB390_274 Depth=1
	s_or_b32 exec_lo, exec_lo, s1
	v_and_b32_e32 v5, 0xffff0000, v5
	v_and_b32_e32 v3, 0xffff0000, v3
	;; [unrolled: 1-line block ×5, first 2 shown]
	s_delay_alu instid0(VALU_DEP_4) | instskip(NEXT) | instid1(VALU_DEP_1)
	v_dual_add_f32 v3, v3, v5 :: v_dual_and_b32 v8, 0xffff0000, v8
	v_dual_add_f32 v4, v8, v4 :: v_dual_and_b32 v7, 0xffff0000, v7
	s_delay_alu instid0(VALU_DEP_1) | instskip(NEXT) | instid1(VALU_DEP_1)
	v_add_f32_e32 v5, v6, v7
	v_dual_add_f32 v3, v3, v5 :: v_dual_and_b32 v2, 0xffff0000, v2
	s_delay_alu instid0(VALU_DEP_1) | instskip(NEXT) | instid1(VALU_DEP_2)
	v_add_f32_e32 v3, v3, v4
	v_add_f32_e32 v1, v2, v1
	s_delay_alu instid0(VALU_DEP_1) | instskip(NEXT) | instid1(VALU_DEP_1)
	v_add_f32_e32 v1, v3, v1
	v_add_f32_e32 v11, v11, v1
.LBB390_273:                            ;   in Loop: Header=BB390_274 Depth=1
	s_or_b32 exec_lo, exec_lo, s9
	v_add_nc_u32_e32 v12, 4, v12
	v_add_co_u32 v15, s1, v15, 16
	v_add_nc_u32_e32 v23, 32, v23
	v_add_nc_u32_e32 v24, 0x80, v24
	s_delay_alu instid0(VALU_DEP_4) | instskip(SKIP_1) | instid1(VALU_DEP_2)
	v_cmp_le_i32_e64 s0, s23, v12
	v_add_co_ci_u32_e64 v16, s1, 0, v16, s1
	s_or_b32 s8, s0, s8
	s_delay_alu instid0(SALU_CYCLE_1)
	s_and_not1_b32 exec_lo, exec_lo, s8
	s_cbranch_execz .LBB390_685
.LBB390_274:                            ; =>This Inner Loop Header: Depth=1
	global_load_b32 v13, v[15:16], off
	ds_load_2addr_b64 v[5:8], v24 offset1:1
	ds_load_2addr_b64 v[1:4], v24 offset0:2 offset1:3
                                        ; implicit-def: $vgpr32
	s_waitcnt lgkmcnt(0)
	v_and_b32_e32 v25, 0x7f800000, v5
	s_delay_alu instid0(VALU_DEP_1) | instskip(NEXT) | instid1(VALU_DEP_1)
	v_cmp_ne_u32_e64 s0, 0x7f800000, v25
	s_and_saveexec_b32 s1, s0
	s_delay_alu instid0(SALU_CYCLE_1)
	s_xor_b32 s0, exec_lo, s1
; %bb.275:                              ;   in Loop: Header=BB390_274 Depth=1
	v_bfe_u32 v25, v5, 16, 1
	s_delay_alu instid0(VALU_DEP_1)
	v_add3_u32 v32, v5, v25, 0x7fff
; %bb.276:                              ;   in Loop: Header=BB390_274 Depth=1
	s_and_not1_saveexec_b32 s1, s0
; %bb.277:                              ;   in Loop: Header=BB390_274 Depth=1
	v_and_b32_e32 v25, 0xffff, v5
	v_or_b32_e32 v26, 0x10000, v5
	s_delay_alu instid0(VALU_DEP_2) | instskip(NEXT) | instid1(VALU_DEP_1)
	v_cmp_eq_u32_e64 s0, 0, v25
	v_cndmask_b32_e64 v32, v26, v5, s0
; %bb.278:                              ;   in Loop: Header=BB390_274 Depth=1
	s_or_b32 exec_lo, exec_lo, s1
	v_and_b32_e32 v5, 0x7f800000, v6
                                        ; implicit-def: $vgpr25
	s_delay_alu instid0(VALU_DEP_1) | instskip(NEXT) | instid1(VALU_DEP_1)
	v_cmp_ne_u32_e64 s0, 0x7f800000, v5
	s_and_saveexec_b32 s1, s0
	s_delay_alu instid0(SALU_CYCLE_1)
	s_xor_b32 s0, exec_lo, s1
; %bb.279:                              ;   in Loop: Header=BB390_274 Depth=1
	v_bfe_u32 v5, v6, 16, 1
	s_delay_alu instid0(VALU_DEP_1)
	v_add3_u32 v25, v6, v5, 0x7fff
; %bb.280:                              ;   in Loop: Header=BB390_274 Depth=1
	s_and_not1_saveexec_b32 s1, s0
; %bb.281:                              ;   in Loop: Header=BB390_274 Depth=1
	v_and_b32_e32 v5, 0xffff, v6
	v_or_b32_e32 v25, 0x10000, v6
	s_delay_alu instid0(VALU_DEP_2) | instskip(NEXT) | instid1(VALU_DEP_1)
	v_cmp_eq_u32_e64 s0, 0, v5
	v_cndmask_b32_e64 v25, v25, v6, s0
; %bb.282:                              ;   in Loop: Header=BB390_274 Depth=1
	s_or_b32 exec_lo, exec_lo, s1
	v_and_b32_e32 v5, 0x7f800000, v7
                                        ; implicit-def: $vgpr26
	s_delay_alu instid0(VALU_DEP_1) | instskip(NEXT) | instid1(VALU_DEP_1)
	v_cmp_ne_u32_e64 s0, 0x7f800000, v5
	s_and_saveexec_b32 s1, s0
	s_delay_alu instid0(SALU_CYCLE_1)
	s_xor_b32 s0, exec_lo, s1
; %bb.283:                              ;   in Loop: Header=BB390_274 Depth=1
	v_bfe_u32 v5, v7, 16, 1
	s_delay_alu instid0(VALU_DEP_1)
	v_add3_u32 v26, v7, v5, 0x7fff
; %bb.284:                              ;   in Loop: Header=BB390_274 Depth=1
	s_and_not1_saveexec_b32 s1, s0
; %bb.285:                              ;   in Loop: Header=BB390_274 Depth=1
	v_and_b32_e32 v5, 0xffff, v7
	v_or_b32_e32 v6, 0x10000, v7
	s_delay_alu instid0(VALU_DEP_2) | instskip(NEXT) | instid1(VALU_DEP_1)
	v_cmp_eq_u32_e64 s0, 0, v5
	v_cndmask_b32_e64 v26, v6, v7, s0
; %bb.286:                              ;   in Loop: Header=BB390_274 Depth=1
	s_or_b32 exec_lo, exec_lo, s1
	v_and_b32_e32 v5, 0x7f800000, v8
                                        ; implicit-def: $vgpr27
	s_delay_alu instid0(VALU_DEP_1) | instskip(NEXT) | instid1(VALU_DEP_1)
	v_cmp_ne_u32_e64 s0, 0x7f800000, v5
	s_and_saveexec_b32 s1, s0
	s_delay_alu instid0(SALU_CYCLE_1)
	s_xor_b32 s0, exec_lo, s1
; %bb.287:                              ;   in Loop: Header=BB390_274 Depth=1
	v_bfe_u32 v5, v8, 16, 1
	s_delay_alu instid0(VALU_DEP_1)
	v_add3_u32 v27, v8, v5, 0x7fff
                                        ; implicit-def: $vgpr5_vgpr6_vgpr7_vgpr8
; %bb.288:                              ;   in Loop: Header=BB390_274 Depth=1
	s_and_not1_saveexec_b32 s1, s0
; %bb.289:                              ;   in Loop: Header=BB390_274 Depth=1
	v_and_b32_e32 v5, 0xffff, v8
	v_or_b32_e32 v6, 0x10000, v8
	s_delay_alu instid0(VALU_DEP_2) | instskip(NEXT) | instid1(VALU_DEP_1)
	v_cmp_eq_u32_e64 s0, 0, v5
	v_cndmask_b32_e64 v27, v6, v8, s0
; %bb.290:                              ;   in Loop: Header=BB390_274 Depth=1
	s_or_b32 exec_lo, exec_lo, s1
	v_and_b32_e32 v5, 0x7f800000, v1
                                        ; implicit-def: $vgpr28
	s_delay_alu instid0(VALU_DEP_1) | instskip(NEXT) | instid1(VALU_DEP_1)
	v_cmp_ne_u32_e64 s0, 0x7f800000, v5
	s_and_saveexec_b32 s1, s0
	s_delay_alu instid0(SALU_CYCLE_1)
	s_xor_b32 s0, exec_lo, s1
; %bb.291:                              ;   in Loop: Header=BB390_274 Depth=1
	v_bfe_u32 v5, v1, 16, 1
	s_delay_alu instid0(VALU_DEP_1)
	v_add3_u32 v28, v1, v5, 0x7fff
; %bb.292:                              ;   in Loop: Header=BB390_274 Depth=1
	s_and_not1_saveexec_b32 s1, s0
; %bb.293:                              ;   in Loop: Header=BB390_274 Depth=1
	v_and_b32_e32 v5, 0xffff, v1
	v_or_b32_e32 v6, 0x10000, v1
	s_delay_alu instid0(VALU_DEP_2) | instskip(NEXT) | instid1(VALU_DEP_1)
	v_cmp_eq_u32_e64 s0, 0, v5
	v_cndmask_b32_e64 v28, v6, v1, s0
; %bb.294:                              ;   in Loop: Header=BB390_274 Depth=1
	s_or_b32 exec_lo, exec_lo, s1
	v_and_b32_e32 v1, 0x7f800000, v2
                                        ; implicit-def: $vgpr29
	s_delay_alu instid0(VALU_DEP_1) | instskip(NEXT) | instid1(VALU_DEP_1)
	v_cmp_ne_u32_e64 s0, 0x7f800000, v1
	s_and_saveexec_b32 s1, s0
	s_delay_alu instid0(SALU_CYCLE_1)
	s_xor_b32 s0, exec_lo, s1
; %bb.295:                              ;   in Loop: Header=BB390_274 Depth=1
	v_bfe_u32 v1, v2, 16, 1
	s_delay_alu instid0(VALU_DEP_1)
	v_add3_u32 v29, v2, v1, 0x7fff
; %bb.296:                              ;   in Loop: Header=BB390_274 Depth=1
	s_and_not1_saveexec_b32 s1, s0
; %bb.297:                              ;   in Loop: Header=BB390_274 Depth=1
	v_and_b32_e32 v1, 0xffff, v2
	v_or_b32_e32 v5, 0x10000, v2
	s_delay_alu instid0(VALU_DEP_2) | instskip(NEXT) | instid1(VALU_DEP_1)
	v_cmp_eq_u32_e64 s0, 0, v1
	v_cndmask_b32_e64 v29, v5, v2, s0
; %bb.298:                              ;   in Loop: Header=BB390_274 Depth=1
	s_or_b32 exec_lo, exec_lo, s1
	v_and_b32_e32 v1, 0x7f800000, v3
                                        ; implicit-def: $vgpr30
	s_delay_alu instid0(VALU_DEP_1) | instskip(NEXT) | instid1(VALU_DEP_1)
	v_cmp_ne_u32_e64 s0, 0x7f800000, v1
	s_and_saveexec_b32 s1, s0
	s_delay_alu instid0(SALU_CYCLE_1)
	s_xor_b32 s0, exec_lo, s1
; %bb.299:                              ;   in Loop: Header=BB390_274 Depth=1
	v_bfe_u32 v1, v3, 16, 1
	s_delay_alu instid0(VALU_DEP_1)
	v_add3_u32 v30, v3, v1, 0x7fff
; %bb.300:                              ;   in Loop: Header=BB390_274 Depth=1
	s_and_not1_saveexec_b32 s1, s0
; %bb.301:                              ;   in Loop: Header=BB390_274 Depth=1
	v_and_b32_e32 v1, 0xffff, v3
	v_or_b32_e32 v2, 0x10000, v3
	s_delay_alu instid0(VALU_DEP_2) | instskip(NEXT) | instid1(VALU_DEP_1)
	v_cmp_eq_u32_e64 s0, 0, v1
	v_cndmask_b32_e64 v30, v2, v3, s0
; %bb.302:                              ;   in Loop: Header=BB390_274 Depth=1
	s_or_b32 exec_lo, exec_lo, s1
	v_and_b32_e32 v1, 0x7f800000, v4
                                        ; implicit-def: $vgpr31
	s_delay_alu instid0(VALU_DEP_1) | instskip(NEXT) | instid1(VALU_DEP_1)
	v_cmp_ne_u32_e64 s0, 0x7f800000, v1
	s_and_saveexec_b32 s1, s0
	s_delay_alu instid0(SALU_CYCLE_1)
	s_xor_b32 s0, exec_lo, s1
; %bb.303:                              ;   in Loop: Header=BB390_274 Depth=1
	v_bfe_u32 v1, v4, 16, 1
	s_delay_alu instid0(VALU_DEP_1)
	v_add3_u32 v31, v4, v1, 0x7fff
                                        ; implicit-def: $vgpr1_vgpr2_vgpr3_vgpr4
; %bb.304:                              ;   in Loop: Header=BB390_274 Depth=1
	s_and_not1_saveexec_b32 s1, s0
; %bb.305:                              ;   in Loop: Header=BB390_274 Depth=1
	v_and_b32_e32 v1, 0xffff, v4
	v_or_b32_e32 v2, 0x10000, v4
	s_delay_alu instid0(VALU_DEP_2) | instskip(NEXT) | instid1(VALU_DEP_1)
	v_cmp_eq_u32_e64 s0, 0, v1
	v_cndmask_b32_e64 v31, v2, v4, s0
; %bb.306:                              ;   in Loop: Header=BB390_274 Depth=1
	s_or_b32 exec_lo, exec_lo, s1
	s_waitcnt vmcnt(0)
	v_mad_i64_i32 v[1:2], null, v13, s5, s[2:3]
	s_mov_b32 s1, exec_lo
	v_mov_b32_e32 v7, 0
	s_delay_alu instid0(VALU_DEP_2) | instskip(NEXT) | instid1(VALU_DEP_1)
	v_add_co_u32 v3, s0, v1, v21
	v_add_co_ci_u32_e64 v4, s0, 0, v2, s0
	global_load_b64 v[5:6], v[3:4], off
	s_waitcnt vmcnt(0)
	v_and_b32_e32 v8, 0xff, v5
	s_delay_alu instid0(VALU_DEP_1)
	v_cmpx_ne_u16_e32 0, v8
	s_cbranch_execz .LBB390_312
; %bb.307:                              ;   in Loop: Header=BB390_274 Depth=1
	v_bfrev_b32_e32 v7, 1
	s_mov_b32 s9, exec_lo
	v_cmpx_ne_u16_e32 0x80, v8
	s_cbranch_execz .LBB390_311
; %bb.308:                              ;   in Loop: Header=BB390_274 Depth=1
	v_and_b32_e32 v8, 0x7f, v5
	v_mov_b32_e32 v7, 0x7f800001
	s_mov_b32 s10, exec_lo
	s_delay_alu instid0(VALU_DEP_2)
	v_cmpx_ne_u32_e32 0x7f, v8
	s_cbranch_execz .LBB390_310
; %bb.309:                              ;   in Loop: Header=BB390_274 Depth=1
	v_and_b32_e32 v7, 7, v5
	v_lshrrev_b32_e32 v13, 3, v8
	v_cmp_gt_u32_e64 s0, 8, v8
	s_delay_alu instid0(VALU_DEP_3) | instskip(NEXT) | instid1(VALU_DEP_1)
	v_clz_i32_u32_e32 v7, v7
	v_min_u32_e32 v7, 32, v7
	s_delay_alu instid0(VALU_DEP_1) | instskip(SKIP_1) | instid1(VALU_DEP_1)
	v_subrev_nc_u32_e32 v33, 28, v7
	v_sub_nc_u32_e32 v7, 29, v7
	v_cndmask_b32_e64 v13, v13, v7, s0
	s_delay_alu instid0(VALU_DEP_3) | instskip(NEXT) | instid1(VALU_DEP_2)
	v_cndmask_b32_e64 v7, 0, v33, s0
	v_lshl_add_u32 v13, v13, 23, 0x3c000000
	s_delay_alu instid0(VALU_DEP_2) | instskip(SKIP_1) | instid1(VALU_DEP_2)
	v_lshlrev_b64 v[7:8], v7, v[5:6]
	v_lshlrev_b32_e32 v8, 24, v5
	v_lshlrev_b32_e32 v7, 20, v7
	s_delay_alu instid0(VALU_DEP_2) | instskip(NEXT) | instid1(VALU_DEP_2)
	v_and_b32_e32 v8, 0x80000000, v8
	v_and_b32_e32 v7, 0x700000, v7
	s_delay_alu instid0(VALU_DEP_1)
	v_or3_b32 v7, v7, v8, v13
.LBB390_310:                            ;   in Loop: Header=BB390_274 Depth=1
	s_or_b32 exec_lo, exec_lo, s10
.LBB390_311:                            ;   in Loop: Header=BB390_274 Depth=1
	s_delay_alu instid0(SALU_CYCLE_1)
	s_or_b32 exec_lo, exec_lo, s9
.LBB390_312:                            ;   in Loop: Header=BB390_274 Depth=1
	s_delay_alu instid0(SALU_CYCLE_1) | instskip(NEXT) | instid1(VALU_DEP_1)
	s_or_b32 exec_lo, exec_lo, s1
	v_mul_f32_e32 v7, s11, v7
                                        ; implicit-def: $vgpr33
	s_delay_alu instid0(VALU_DEP_1) | instskip(NEXT) | instid1(VALU_DEP_1)
	v_and_b32_e32 v8, 0x7f800000, v7
	v_cmp_ne_u32_e64 s0, 0x7f800000, v8
	s_delay_alu instid0(VALU_DEP_1) | instskip(NEXT) | instid1(SALU_CYCLE_1)
	s_and_saveexec_b32 s1, s0
	s_xor_b32 s0, exec_lo, s1
; %bb.313:                              ;   in Loop: Header=BB390_274 Depth=1
	v_bfe_u32 v8, v7, 16, 1
	s_delay_alu instid0(VALU_DEP_1)
	v_add3_u32 v33, v7, v8, 0x7fff
                                        ; implicit-def: $vgpr7
; %bb.314:                              ;   in Loop: Header=BB390_274 Depth=1
	s_and_not1_saveexec_b32 s1, s0
; %bb.315:                              ;   in Loop: Header=BB390_274 Depth=1
	v_and_b32_e32 v8, 0xffff, v7
	v_or_b32_e32 v13, 0x10000, v7
	s_delay_alu instid0(VALU_DEP_2) | instskip(NEXT) | instid1(VALU_DEP_1)
	v_cmp_eq_u32_e64 s0, 0, v8
	v_cndmask_b32_e64 v33, v13, v7, s0
; %bb.316:                              ;   in Loop: Header=BB390_274 Depth=1
	s_or_b32 exec_lo, exec_lo, s1
	v_lshrrev_b16 v8, 8, v5
	v_mov_b32_e32 v7, 0
	s_mov_b32 s1, exec_lo
	s_delay_alu instid0(VALU_DEP_2)
	v_cmpx_ne_u16_e32 0, v8
	s_cbranch_execz .LBB390_324
; %bb.317:                              ;   in Loop: Header=BB390_274 Depth=1
	v_bfrev_b32_e32 v7, 1
	s_mov_b32 s9, exec_lo
	v_cmpx_ne_u16_e32 0x80, v8
	s_cbranch_execz .LBB390_323
; %bb.318:                              ;   in Loop: Header=BB390_274 Depth=1
	v_and_b32_e32 v13, 0xffff, v8
	v_mov_b32_e32 v7, 0x7f800001
	s_mov_b32 s10, exec_lo
	s_delay_alu instid0(VALU_DEP_2) | instskip(NEXT) | instid1(VALU_DEP_1)
	v_and_b32_e32 v8, 0x7f, v13
	v_cmpx_ne_u32_e32 0x7f, v8
	s_cbranch_execz .LBB390_322
; %bb.319:                              ;   in Loop: Header=BB390_274 Depth=1
	v_and_b32_e32 v13, 7, v13
	v_lshrrev_b32_e32 v7, 3, v8
	s_mov_b32 s16, exec_lo
	v_cmpx_gt_u32_e32 8, v8
; %bb.320:                              ;   in Loop: Header=BB390_274 Depth=1
	s_delay_alu instid0(VALU_DEP_3) | instskip(NEXT) | instid1(VALU_DEP_1)
	v_clz_i32_u32_e32 v7, v13
	v_min_u32_e32 v7, 32, v7
	s_delay_alu instid0(VALU_DEP_1) | instskip(SKIP_1) | instid1(VALU_DEP_2)
	v_subrev_nc_u32_e32 v8, 28, v7
	v_sub_nc_u32_e32 v7, 29, v7
	v_lshlrev_b64 v[34:35], v8, v[13:14]
	s_delay_alu instid0(VALU_DEP_1)
	v_and_b32_e32 v13, 7, v34
; %bb.321:                              ;   in Loop: Header=BB390_274 Depth=1
	s_or_b32 exec_lo, exec_lo, s16
	v_lshlrev_b32_e32 v8, 16, v5
	s_delay_alu instid0(VALU_DEP_2) | instskip(SKIP_1) | instid1(VALU_DEP_3)
	v_lshlrev_b32_e32 v13, 20, v13
	v_lshl_add_u32 v7, v7, 23, 0x3c000000
	v_and_b32_e32 v8, 0x80000000, v8
	s_delay_alu instid0(VALU_DEP_1)
	v_or3_b32 v7, v13, v8, v7
.LBB390_322:                            ;   in Loop: Header=BB390_274 Depth=1
	s_or_b32 exec_lo, exec_lo, s10
.LBB390_323:                            ;   in Loop: Header=BB390_274 Depth=1
	s_delay_alu instid0(SALU_CYCLE_1)
	s_or_b32 exec_lo, exec_lo, s9
.LBB390_324:                            ;   in Loop: Header=BB390_274 Depth=1
	s_delay_alu instid0(SALU_CYCLE_1) | instskip(NEXT) | instid1(VALU_DEP_1)
	s_or_b32 exec_lo, exec_lo, s1
	v_mul_f32_e32 v7, s11, v7
                                        ; implicit-def: $vgpr34
	s_delay_alu instid0(VALU_DEP_1) | instskip(NEXT) | instid1(VALU_DEP_1)
	v_and_b32_e32 v8, 0x7f800000, v7
	v_cmp_ne_u32_e64 s0, 0x7f800000, v8
	s_delay_alu instid0(VALU_DEP_1) | instskip(NEXT) | instid1(SALU_CYCLE_1)
	s_and_saveexec_b32 s1, s0
	s_xor_b32 s0, exec_lo, s1
; %bb.325:                              ;   in Loop: Header=BB390_274 Depth=1
	v_bfe_u32 v8, v7, 16, 1
	s_delay_alu instid0(VALU_DEP_1)
	v_add3_u32 v34, v7, v8, 0x7fff
                                        ; implicit-def: $vgpr7
; %bb.326:                              ;   in Loop: Header=BB390_274 Depth=1
	s_and_not1_saveexec_b32 s1, s0
; %bb.327:                              ;   in Loop: Header=BB390_274 Depth=1
	v_and_b32_e32 v8, 0xffff, v7
	v_or_b32_e32 v13, 0x10000, v7
	s_delay_alu instid0(VALU_DEP_2) | instskip(NEXT) | instid1(VALU_DEP_1)
	v_cmp_eq_u32_e64 s0, 0, v8
	v_cndmask_b32_e64 v34, v13, v7, s0
; %bb.328:                              ;   in Loop: Header=BB390_274 Depth=1
	s_or_b32 exec_lo, exec_lo, s1
	v_lshrrev_b32_e32 v7, 16, v5
	s_mov_b32 s1, exec_lo
	s_delay_alu instid0(VALU_DEP_1) | instskip(NEXT) | instid1(VALU_DEP_1)
	v_dual_mov_b32 v8, 0 :: v_dual_and_b32 v13, 0xff, v7
	v_cmpx_ne_u16_e32 0, v13
	s_cbranch_execz .LBB390_336
; %bb.329:                              ;   in Loop: Header=BB390_274 Depth=1
	v_bfrev_b32_e32 v8, 1
	s_mov_b32 s9, exec_lo
	v_cmpx_ne_u16_e32 0x80, v13
	s_cbranch_execz .LBB390_335
; %bb.330:                              ;   in Loop: Header=BB390_274 Depth=1
	v_bfe_u32 v35, v5, 16, 7
	v_mov_b32_e32 v8, 0x7f800001
	s_mov_b32 s10, exec_lo
	s_delay_alu instid0(VALU_DEP_2)
	v_cmpx_ne_u32_e32 0x7f, v35
	s_cbranch_execz .LBB390_334
; %bb.331:                              ;   in Loop: Header=BB390_274 Depth=1
	v_and_b32_e32 v13, 7, v7
	v_lshrrev_b32_e32 v8, 3, v35
	s_mov_b32 s16, exec_lo
	v_cmpx_gt_u32_e32 8, v35
; %bb.332:                              ;   in Loop: Header=BB390_274 Depth=1
	s_delay_alu instid0(VALU_DEP_3) | instskip(NEXT) | instid1(VALU_DEP_1)
	v_clz_i32_u32_e32 v8, v13
	v_min_u32_e32 v8, 32, v8
	s_delay_alu instid0(VALU_DEP_1) | instskip(SKIP_1) | instid1(VALU_DEP_2)
	v_subrev_nc_u32_e32 v35, 28, v8
	v_sub_nc_u32_e32 v8, 29, v8
	v_lshlrev_b64 v[35:36], v35, v[13:14]
	s_delay_alu instid0(VALU_DEP_1)
	v_and_b32_e32 v13, 7, v35
; %bb.333:                              ;   in Loop: Header=BB390_274 Depth=1
	s_or_b32 exec_lo, exec_lo, s16
	v_lshlrev_b32_e32 v7, 24, v7
	s_delay_alu instid0(VALU_DEP_2) | instskip(SKIP_1) | instid1(VALU_DEP_3)
	v_lshlrev_b32_e32 v13, 20, v13
	v_lshl_add_u32 v8, v8, 23, 0x3c000000
	v_and_b32_e32 v7, 0x80000000, v7
	s_delay_alu instid0(VALU_DEP_1)
	v_or3_b32 v8, v13, v7, v8
.LBB390_334:                            ;   in Loop: Header=BB390_274 Depth=1
	s_or_b32 exec_lo, exec_lo, s10
.LBB390_335:                            ;   in Loop: Header=BB390_274 Depth=1
	s_delay_alu instid0(SALU_CYCLE_1)
	s_or_b32 exec_lo, exec_lo, s9
.LBB390_336:                            ;   in Loop: Header=BB390_274 Depth=1
	s_delay_alu instid0(SALU_CYCLE_1) | instskip(NEXT) | instid1(VALU_DEP_1)
	s_or_b32 exec_lo, exec_lo, s1
	v_mul_f32_e32 v7, s11, v8
                                        ; implicit-def: $vgpr35
	s_delay_alu instid0(VALU_DEP_1) | instskip(NEXT) | instid1(VALU_DEP_1)
	v_and_b32_e32 v8, 0x7f800000, v7
	v_cmp_ne_u32_e64 s0, 0x7f800000, v8
	s_delay_alu instid0(VALU_DEP_1) | instskip(NEXT) | instid1(SALU_CYCLE_1)
	s_and_saveexec_b32 s1, s0
	s_xor_b32 s0, exec_lo, s1
; %bb.337:                              ;   in Loop: Header=BB390_274 Depth=1
	v_bfe_u32 v8, v7, 16, 1
	s_delay_alu instid0(VALU_DEP_1)
	v_add3_u32 v35, v7, v8, 0x7fff
                                        ; implicit-def: $vgpr7
; %bb.338:                              ;   in Loop: Header=BB390_274 Depth=1
	s_and_not1_saveexec_b32 s1, s0
; %bb.339:                              ;   in Loop: Header=BB390_274 Depth=1
	v_and_b32_e32 v8, 0xffff, v7
	v_or_b32_e32 v13, 0x10000, v7
	s_delay_alu instid0(VALU_DEP_2) | instskip(NEXT) | instid1(VALU_DEP_1)
	v_cmp_eq_u32_e64 s0, 0, v8
	v_cndmask_b32_e64 v35, v13, v7, s0
; %bb.340:                              ;   in Loop: Header=BB390_274 Depth=1
	s_or_b32 exec_lo, exec_lo, s1
	v_mov_b32_e32 v8, 0
	s_mov_b32 s1, exec_lo
	v_cmpx_lt_u32_e32 0xffffff, v5
	s_cbranch_execz .LBB390_348
; %bb.341:                              ;   in Loop: Header=BB390_274 Depth=1
	v_lshrrev_b32_e32 v7, 24, v5
	v_bfrev_b32_e32 v8, 1
	s_mov_b32 s9, exec_lo
	s_delay_alu instid0(VALU_DEP_2)
	v_cmpx_ne_u32_e32 0x80, v7
	s_cbranch_execz .LBB390_347
; %bb.342:                              ;   in Loop: Header=BB390_274 Depth=1
	v_bfe_u32 v36, v5, 24, 7
	v_mov_b32_e32 v8, 0x7f800001
	s_mov_b32 s10, exec_lo
	s_delay_alu instid0(VALU_DEP_2)
	v_cmpx_ne_u32_e32 0x7f, v36
	s_cbranch_execz .LBB390_346
; %bb.343:                              ;   in Loop: Header=BB390_274 Depth=1
	v_and_b32_e32 v13, 7, v7
	v_lshrrev_b32_e32 v8, 3, v36
	s_mov_b32 s16, exec_lo
	v_cmpx_gt_u32_e32 8, v36
; %bb.344:                              ;   in Loop: Header=BB390_274 Depth=1
	s_delay_alu instid0(VALU_DEP_3) | instskip(NEXT) | instid1(VALU_DEP_1)
	v_clz_i32_u32_e32 v8, v13
	v_min_u32_e32 v8, 32, v8
	s_delay_alu instid0(VALU_DEP_1) | instskip(SKIP_1) | instid1(VALU_DEP_2)
	v_subrev_nc_u32_e32 v36, 28, v8
	v_sub_nc_u32_e32 v8, 29, v8
	v_lshlrev_b64 v[36:37], v36, v[13:14]
	s_delay_alu instid0(VALU_DEP_1)
	v_and_b32_e32 v13, 7, v36
; %bb.345:                              ;   in Loop: Header=BB390_274 Depth=1
	s_or_b32 exec_lo, exec_lo, s16
	v_lshlrev_b32_e32 v7, 24, v7
	s_delay_alu instid0(VALU_DEP_2) | instskip(SKIP_1) | instid1(VALU_DEP_3)
	v_lshlrev_b32_e32 v13, 20, v13
	v_lshl_add_u32 v8, v8, 23, 0x3c000000
	v_and_b32_e32 v7, 0x80000000, v7
	s_delay_alu instid0(VALU_DEP_1)
	v_or3_b32 v8, v13, v7, v8
.LBB390_346:                            ;   in Loop: Header=BB390_274 Depth=1
	s_or_b32 exec_lo, exec_lo, s10
.LBB390_347:                            ;   in Loop: Header=BB390_274 Depth=1
	s_delay_alu instid0(SALU_CYCLE_1)
	s_or_b32 exec_lo, exec_lo, s9
.LBB390_348:                            ;   in Loop: Header=BB390_274 Depth=1
	s_delay_alu instid0(SALU_CYCLE_1) | instskip(NEXT) | instid1(VALU_DEP_1)
	s_or_b32 exec_lo, exec_lo, s1
	v_mul_f32_e32 v7, s11, v8
                                        ; implicit-def: $vgpr36
	s_delay_alu instid0(VALU_DEP_1) | instskip(NEXT) | instid1(VALU_DEP_1)
	v_and_b32_e32 v8, 0x7f800000, v7
	v_cmp_ne_u32_e64 s0, 0x7f800000, v8
	s_delay_alu instid0(VALU_DEP_1) | instskip(NEXT) | instid1(SALU_CYCLE_1)
	s_and_saveexec_b32 s1, s0
	s_xor_b32 s0, exec_lo, s1
; %bb.349:                              ;   in Loop: Header=BB390_274 Depth=1
	v_bfe_u32 v8, v7, 16, 1
	s_delay_alu instid0(VALU_DEP_1)
	v_add3_u32 v36, v7, v8, 0x7fff
                                        ; implicit-def: $vgpr7
; %bb.350:                              ;   in Loop: Header=BB390_274 Depth=1
	s_and_not1_saveexec_b32 s1, s0
; %bb.351:                              ;   in Loop: Header=BB390_274 Depth=1
	v_and_b32_e32 v8, 0xffff, v7
	v_or_b32_e32 v13, 0x10000, v7
	s_delay_alu instid0(VALU_DEP_2) | instskip(NEXT) | instid1(VALU_DEP_1)
	v_cmp_eq_u32_e64 s0, 0, v8
	v_cndmask_b32_e64 v36, v13, v7, s0
; %bb.352:                              ;   in Loop: Header=BB390_274 Depth=1
	s_or_b32 exec_lo, exec_lo, s1
	v_dual_mov_b32 v13, v6 :: v_dual_and_b32 v8, 0xff, v6
	v_mov_b32_e32 v7, 0
	s_mov_b32 s1, exec_lo
	s_delay_alu instid0(VALU_DEP_2)
	v_cmpx_ne_u16_e32 0, v8
	s_cbranch_execz .LBB390_358
; %bb.353:                              ;   in Loop: Header=BB390_274 Depth=1
	v_bfrev_b32_e32 v7, 1
	s_mov_b32 s9, exec_lo
	v_cmpx_ne_u16_e32 0x80, v8
	s_cbranch_execz .LBB390_357
; %bb.354:                              ;   in Loop: Header=BB390_274 Depth=1
	v_and_b32_e32 v8, 0x7f, v6
	v_mov_b32_e32 v7, 0x7f800001
	s_mov_b32 s10, exec_lo
	s_delay_alu instid0(VALU_DEP_2)
	v_cmpx_ne_u32_e32 0x7f, v8
	s_cbranch_execz .LBB390_356
; %bb.355:                              ;   in Loop: Header=BB390_274 Depth=1
	v_and_b32_e32 v7, 7, v6
	v_lshrrev_b32_e32 v37, 3, v8
	v_cmp_gt_u32_e64 s0, 8, v8
	s_delay_alu instid0(VALU_DEP_3) | instskip(NEXT) | instid1(VALU_DEP_1)
	v_clz_i32_u32_e32 v7, v7
	v_min_u32_e32 v7, 32, v7
	s_delay_alu instid0(VALU_DEP_1) | instskip(SKIP_1) | instid1(VALU_DEP_1)
	v_subrev_nc_u32_e32 v38, 28, v7
	v_sub_nc_u32_e32 v7, 29, v7
	v_cndmask_b32_e64 v37, v37, v7, s0
	s_delay_alu instid0(VALU_DEP_3) | instskip(NEXT) | instid1(VALU_DEP_2)
	v_cndmask_b32_e64 v7, 0, v38, s0
	v_lshl_add_u32 v37, v37, 23, 0x3c000000
	s_delay_alu instid0(VALU_DEP_2) | instskip(SKIP_1) | instid1(VALU_DEP_2)
	v_lshlrev_b64 v[7:8], v7, v[13:14]
	v_lshlrev_b32_e32 v8, 24, v13
	v_lshlrev_b32_e32 v7, 20, v7
	s_delay_alu instid0(VALU_DEP_2) | instskip(NEXT) | instid1(VALU_DEP_2)
	v_and_b32_e32 v8, 0x80000000, v8
	v_and_b32_e32 v7, 0x700000, v7
	s_delay_alu instid0(VALU_DEP_1)
	v_or3_b32 v7, v7, v8, v37
.LBB390_356:                            ;   in Loop: Header=BB390_274 Depth=1
	s_or_b32 exec_lo, exec_lo, s10
.LBB390_357:                            ;   in Loop: Header=BB390_274 Depth=1
	s_delay_alu instid0(SALU_CYCLE_1)
	s_or_b32 exec_lo, exec_lo, s9
.LBB390_358:                            ;   in Loop: Header=BB390_274 Depth=1
	s_delay_alu instid0(SALU_CYCLE_1) | instskip(NEXT) | instid1(VALU_DEP_1)
	s_or_b32 exec_lo, exec_lo, s1
	v_mul_f32_e32 v7, s11, v7
                                        ; implicit-def: $vgpr37
	s_delay_alu instid0(VALU_DEP_1) | instskip(NEXT) | instid1(VALU_DEP_1)
	v_and_b32_e32 v8, 0x7f800000, v7
	v_cmp_ne_u32_e64 s0, 0x7f800000, v8
	s_delay_alu instid0(VALU_DEP_1) | instskip(NEXT) | instid1(SALU_CYCLE_1)
	s_and_saveexec_b32 s1, s0
	s_xor_b32 s0, exec_lo, s1
; %bb.359:                              ;   in Loop: Header=BB390_274 Depth=1
	v_bfe_u32 v8, v7, 16, 1
	s_delay_alu instid0(VALU_DEP_1)
	v_add3_u32 v37, v7, v8, 0x7fff
                                        ; implicit-def: $vgpr7
; %bb.360:                              ;   in Loop: Header=BB390_274 Depth=1
	s_and_not1_saveexec_b32 s1, s0
; %bb.361:                              ;   in Loop: Header=BB390_274 Depth=1
	v_and_b32_e32 v8, 0xffff, v7
	v_or_b32_e32 v37, 0x10000, v7
	s_delay_alu instid0(VALU_DEP_2) | instskip(NEXT) | instid1(VALU_DEP_1)
	v_cmp_eq_u32_e64 s0, 0, v8
	v_cndmask_b32_e64 v37, v37, v7, s0
; %bb.362:                              ;   in Loop: Header=BB390_274 Depth=1
	s_or_b32 exec_lo, exec_lo, s1
	v_lshrrev_b16 v8, 8, v13
	v_mov_b32_e32 v7, 0
	s_mov_b32 s1, exec_lo
	s_delay_alu instid0(VALU_DEP_2)
	v_cmpx_ne_u16_e32 0, v8
	s_cbranch_execz .LBB390_370
; %bb.363:                              ;   in Loop: Header=BB390_274 Depth=1
	v_bfrev_b32_e32 v7, 1
	s_mov_b32 s9, exec_lo
	v_cmpx_ne_u16_e32 0x80, v8
	s_cbranch_execz .LBB390_369
; %bb.364:                              ;   in Loop: Header=BB390_274 Depth=1
	v_and_b32_e32 v8, 0xffff, v8
	v_mov_b32_e32 v7, 0x7f800001
	s_mov_b32 s10, exec_lo
	s_delay_alu instid0(VALU_DEP_2) | instskip(NEXT) | instid1(VALU_DEP_1)
	v_and_b32_e32 v39, 0x7f, v8
	v_cmpx_ne_u32_e32 0x7f, v39
	s_cbranch_execz .LBB390_368
; %bb.365:                              ;   in Loop: Header=BB390_274 Depth=1
	v_dual_mov_b32 v8, v14 :: v_dual_and_b32 v7, 7, v8
	v_lshrrev_b32_e32 v38, 3, v39
	s_mov_b32 s16, exec_lo
	v_cmpx_gt_u32_e32 8, v39
; %bb.366:                              ;   in Loop: Header=BB390_274 Depth=1
	s_delay_alu instid0(VALU_DEP_3) | instskip(NEXT) | instid1(VALU_DEP_1)
	v_clz_i32_u32_e32 v38, v7
	v_min_u32_e32 v38, 32, v38
	s_delay_alu instid0(VALU_DEP_1) | instskip(SKIP_1) | instid1(VALU_DEP_2)
	v_subrev_nc_u32_e32 v39, 28, v38
	v_sub_nc_u32_e32 v38, 29, v38
	v_lshlrev_b64 v[7:8], v39, v[7:8]
	s_delay_alu instid0(VALU_DEP_1)
	v_and_b32_e32 v7, 7, v7
; %bb.367:                              ;   in Loop: Header=BB390_274 Depth=1
	s_or_b32 exec_lo, exec_lo, s16
	v_lshlrev_b32_e32 v8, 16, v13
	s_delay_alu instid0(VALU_DEP_2) | instskip(SKIP_1) | instid1(VALU_DEP_3)
	v_lshlrev_b32_e32 v7, 20, v7
	v_lshl_add_u32 v13, v38, 23, 0x3c000000
	v_and_b32_e32 v8, 0x80000000, v8
	s_delay_alu instid0(VALU_DEP_1)
	v_or3_b32 v7, v7, v8, v13
.LBB390_368:                            ;   in Loop: Header=BB390_274 Depth=1
	s_or_b32 exec_lo, exec_lo, s10
.LBB390_369:                            ;   in Loop: Header=BB390_274 Depth=1
	s_delay_alu instid0(SALU_CYCLE_1)
	s_or_b32 exec_lo, exec_lo, s9
.LBB390_370:                            ;   in Loop: Header=BB390_274 Depth=1
	s_delay_alu instid0(SALU_CYCLE_1) | instskip(NEXT) | instid1(VALU_DEP_1)
	s_or_b32 exec_lo, exec_lo, s1
	v_mul_f32_e32 v7, s11, v7
	s_delay_alu instid0(VALU_DEP_1) | instskip(NEXT) | instid1(VALU_DEP_1)
	v_and_b32_e32 v8, 0x7f800000, v7
	v_cmp_ne_u32_e64 s0, 0x7f800000, v8
                                        ; implicit-def: $vgpr8
	s_delay_alu instid0(VALU_DEP_1) | instskip(NEXT) | instid1(SALU_CYCLE_1)
	s_and_saveexec_b32 s1, s0
	s_xor_b32 s0, exec_lo, s1
; %bb.371:                              ;   in Loop: Header=BB390_274 Depth=1
	v_bfe_u32 v8, v7, 16, 1
	s_delay_alu instid0(VALU_DEP_1)
	v_add3_u32 v8, v7, v8, 0x7fff
                                        ; implicit-def: $vgpr7
; %bb.372:                              ;   in Loop: Header=BB390_274 Depth=1
	s_and_not1_saveexec_b32 s1, s0
; %bb.373:                              ;   in Loop: Header=BB390_274 Depth=1
	v_and_b32_e32 v8, 0xffff, v7
	v_or_b32_e32 v13, 0x10000, v7
	s_delay_alu instid0(VALU_DEP_2) | instskip(NEXT) | instid1(VALU_DEP_1)
	v_cmp_eq_u32_e64 s0, 0, v8
	v_cndmask_b32_e64 v8, v13, v7, s0
; %bb.374:                              ;   in Loop: Header=BB390_274 Depth=1
	s_or_b32 exec_lo, exec_lo, s1
	v_lshrrev_b32_e32 v7, 16, v6
	s_mov_b32 s1, exec_lo
	s_delay_alu instid0(VALU_DEP_1) | instskip(NEXT) | instid1(VALU_DEP_1)
	v_dual_mov_b32 v13, 0 :: v_dual_and_b32 v38, 0xff, v7
	v_cmpx_ne_u16_e32 0, v38
	s_cbranch_execz .LBB390_382
; %bb.375:                              ;   in Loop: Header=BB390_274 Depth=1
	v_bfrev_b32_e32 v13, 1
	s_mov_b32 s9, exec_lo
	v_cmpx_ne_u16_e32 0x80, v38
	s_cbranch_execz .LBB390_381
; %bb.376:                              ;   in Loop: Header=BB390_274 Depth=1
	v_bfe_u32 v39, v6, 16, 7
	v_mov_b32_e32 v13, 0x7f800001
	s_mov_b32 s10, exec_lo
	s_delay_alu instid0(VALU_DEP_2)
	v_cmpx_ne_u32_e32 0x7f, v39
	s_cbranch_execz .LBB390_380
; %bb.377:                              ;   in Loop: Header=BB390_274 Depth=1
	v_and_b32_e32 v13, 7, v7
	v_lshrrev_b32_e32 v38, 3, v39
	s_mov_b32 s16, exec_lo
	v_cmpx_gt_u32_e32 8, v39
; %bb.378:                              ;   in Loop: Header=BB390_274 Depth=1
	s_delay_alu instid0(VALU_DEP_3) | instskip(NEXT) | instid1(VALU_DEP_1)
	v_clz_i32_u32_e32 v38, v13
	v_min_u32_e32 v38, 32, v38
	s_delay_alu instid0(VALU_DEP_1) | instskip(SKIP_1) | instid1(VALU_DEP_2)
	v_subrev_nc_u32_e32 v39, 28, v38
	v_sub_nc_u32_e32 v38, 29, v38
	v_lshlrev_b64 v[39:40], v39, v[13:14]
	s_delay_alu instid0(VALU_DEP_1)
	v_and_b32_e32 v13, 7, v39
; %bb.379:                              ;   in Loop: Header=BB390_274 Depth=1
	s_or_b32 exec_lo, exec_lo, s16
	v_lshlrev_b32_e32 v7, 24, v7
	s_delay_alu instid0(VALU_DEP_2) | instskip(SKIP_1) | instid1(VALU_DEP_3)
	v_lshlrev_b32_e32 v13, 20, v13
	v_lshl_add_u32 v38, v38, 23, 0x3c000000
	v_and_b32_e32 v7, 0x80000000, v7
	s_delay_alu instid0(VALU_DEP_1)
	v_or3_b32 v13, v13, v7, v38
.LBB390_380:                            ;   in Loop: Header=BB390_274 Depth=1
	s_or_b32 exec_lo, exec_lo, s10
.LBB390_381:                            ;   in Loop: Header=BB390_274 Depth=1
	s_delay_alu instid0(SALU_CYCLE_1)
	s_or_b32 exec_lo, exec_lo, s9
.LBB390_382:                            ;   in Loop: Header=BB390_274 Depth=1
	s_delay_alu instid0(SALU_CYCLE_1) | instskip(NEXT) | instid1(VALU_DEP_1)
	s_or_b32 exec_lo, exec_lo, s1
	v_mul_f32_e32 v7, s11, v13
                                        ; implicit-def: $vgpr38
	s_delay_alu instid0(VALU_DEP_1) | instskip(NEXT) | instid1(VALU_DEP_1)
	v_and_b32_e32 v13, 0x7f800000, v7
	v_cmp_ne_u32_e64 s0, 0x7f800000, v13
	s_delay_alu instid0(VALU_DEP_1) | instskip(NEXT) | instid1(SALU_CYCLE_1)
	s_and_saveexec_b32 s1, s0
	s_xor_b32 s0, exec_lo, s1
; %bb.383:                              ;   in Loop: Header=BB390_274 Depth=1
	v_bfe_u32 v13, v7, 16, 1
	s_delay_alu instid0(VALU_DEP_1)
	v_add3_u32 v38, v7, v13, 0x7fff
                                        ; implicit-def: $vgpr7
; %bb.384:                              ;   in Loop: Header=BB390_274 Depth=1
	s_and_not1_saveexec_b32 s1, s0
; %bb.385:                              ;   in Loop: Header=BB390_274 Depth=1
	v_and_b32_e32 v13, 0xffff, v7
	v_or_b32_e32 v38, 0x10000, v7
	s_delay_alu instid0(VALU_DEP_2) | instskip(NEXT) | instid1(VALU_DEP_1)
	v_cmp_eq_u32_e64 s0, 0, v13
	v_cndmask_b32_e64 v38, v38, v7, s0
; %bb.386:                              ;   in Loop: Header=BB390_274 Depth=1
	s_or_b32 exec_lo, exec_lo, s1
	v_mov_b32_e32 v7, 0
	s_mov_b32 s1, exec_lo
	v_cmpx_lt_u64_e64 s[12:13], v[5:6]
	s_cbranch_execz .LBB390_394
; %bb.387:                              ;   in Loop: Header=BB390_274 Depth=1
	v_lshrrev_b32_e32 v5, 24, v6
	v_bfrev_b32_e32 v7, 1
	s_mov_b32 s9, exec_lo
	s_delay_alu instid0(VALU_DEP_2)
	v_cmpx_ne_u32_e32 0x80, v5
	s_cbranch_execz .LBB390_393
; %bb.388:                              ;   in Loop: Header=BB390_274 Depth=1
	v_bfe_u32 v39, v6, 24, 7
	v_mov_b32_e32 v7, 0x7f800001
	s_mov_b32 s10, exec_lo
	s_delay_alu instid0(VALU_DEP_2)
	v_cmpx_ne_u32_e32 0x7f, v39
	s_cbranch_execz .LBB390_392
; %bb.389:                              ;   in Loop: Header=BB390_274 Depth=1
	v_and_b32_e32 v13, 7, v5
	v_lshrrev_b32_e32 v6, 3, v39
	s_mov_b32 s16, exec_lo
	v_cmpx_gt_u32_e32 8, v39
; %bb.390:                              ;   in Loop: Header=BB390_274 Depth=1
	s_delay_alu instid0(VALU_DEP_3) | instskip(NEXT) | instid1(VALU_DEP_1)
	v_clz_i32_u32_e32 v6, v13
	v_min_u32_e32 v6, 32, v6
	s_delay_alu instid0(VALU_DEP_1) | instskip(SKIP_1) | instid1(VALU_DEP_2)
	v_subrev_nc_u32_e32 v7, 28, v6
	v_sub_nc_u32_e32 v6, 29, v6
	v_lshlrev_b64 v[39:40], v7, v[13:14]
	s_delay_alu instid0(VALU_DEP_1)
	v_and_b32_e32 v13, 7, v39
; %bb.391:                              ;   in Loop: Header=BB390_274 Depth=1
	s_or_b32 exec_lo, exec_lo, s16
	v_lshlrev_b32_e32 v5, 24, v5
	s_delay_alu instid0(VALU_DEP_2) | instskip(SKIP_1) | instid1(VALU_DEP_3)
	v_lshlrev_b32_e32 v7, 20, v13
	v_lshl_add_u32 v6, v6, 23, 0x3c000000
	v_and_b32_e32 v5, 0x80000000, v5
	s_delay_alu instid0(VALU_DEP_1)
	v_or3_b32 v7, v7, v5, v6
.LBB390_392:                            ;   in Loop: Header=BB390_274 Depth=1
	s_or_b32 exec_lo, exec_lo, s10
.LBB390_393:                            ;   in Loop: Header=BB390_274 Depth=1
	s_delay_alu instid0(SALU_CYCLE_1)
	s_or_b32 exec_lo, exec_lo, s9
.LBB390_394:                            ;   in Loop: Header=BB390_274 Depth=1
	s_delay_alu instid0(SALU_CYCLE_1) | instskip(NEXT) | instid1(VALU_DEP_1)
	s_or_b32 exec_lo, exec_lo, s1
	v_mul_f32_e32 v6, s11, v7
	s_delay_alu instid0(VALU_DEP_1) | instskip(NEXT) | instid1(VALU_DEP_1)
	v_and_b32_e32 v5, 0x7f800000, v6
	v_cmp_ne_u32_e64 s0, 0x7f800000, v5
                                        ; implicit-def: $vgpr5
	s_delay_alu instid0(VALU_DEP_1) | instskip(NEXT) | instid1(SALU_CYCLE_1)
	s_and_saveexec_b32 s1, s0
	s_xor_b32 s0, exec_lo, s1
; %bb.395:                              ;   in Loop: Header=BB390_274 Depth=1
	v_bfe_u32 v5, v6, 16, 1
	s_delay_alu instid0(VALU_DEP_1)
	v_add3_u32 v5, v6, v5, 0x7fff
                                        ; implicit-def: $vgpr6
; %bb.396:                              ;   in Loop: Header=BB390_274 Depth=1
	s_and_not1_saveexec_b32 s1, s0
; %bb.397:                              ;   in Loop: Header=BB390_274 Depth=1
	v_and_b32_e32 v5, 0xffff, v6
	v_or_b32_e32 v7, 0x10000, v6
	s_delay_alu instid0(VALU_DEP_2) | instskip(NEXT) | instid1(VALU_DEP_1)
	v_cmp_eq_u32_e64 s0, 0, v5
	v_cndmask_b32_e64 v5, v7, v6, s0
; %bb.398:                              ;   in Loop: Header=BB390_274 Depth=1
	s_or_b32 exec_lo, exec_lo, s1
	v_cmp_eq_u32_e64 s0, s14, v12
	v_add_nc_u32_e32 v7, -7, v23
	v_lshrrev_b32_e32 v13, 16, v8
	v_lshrrev_b32_e32 v37, 16, v37
	;; [unrolled: 1-line block ×8, first 2 shown]
	s_and_saveexec_b32 s9, s0
	s_cbranch_execz .LBB390_400
; %bb.399:                              ;   in Loop: Header=BB390_274 Depth=1
	v_add_nc_u32_e32 v8, -6, v23
	v_cmp_gt_i32_e64 s1, s15, v7
	v_add_nc_u32_e32 v38, -5, v23
	v_add_nc_u32_e32 v39, -2, v23
	s_delay_alu instid0(VALU_DEP_3) | instskip(SKIP_2) | instid1(VALU_DEP_2)
	v_cndmask_b32_e64 v33, 0, v33, s1
	v_cmp_gt_i32_e64 s1, s15, v8
	v_add_nc_u32_e32 v8, -4, v23
	v_cndmask_b32_e64 v34, 0, v34, s1
	v_cmp_gt_i32_e64 s1, s15, v38
	v_add_nc_u32_e32 v38, -3, v23
	s_delay_alu instid0(VALU_DEP_2) | instskip(SKIP_2) | instid1(VALU_DEP_2)
	v_cndmask_b32_e64 v35, 0, v35, s1
	v_cmp_gt_i32_e64 s1, s15, v8
	v_add_nc_u32_e32 v8, -1, v23
	v_cndmask_b32_e64 v36, 0, v36, s1
	v_cmp_gt_i32_e64 s1, s15, v38
	s_delay_alu instid0(VALU_DEP_1) | instskip(SKIP_1) | instid1(VALU_DEP_1)
	v_cndmask_b32_e64 v37, 0, v37, s1
	v_cmp_gt_i32_e64 s1, s15, v39
	v_cndmask_b32_e64 v13, 0, v13, s1
	v_cmp_gt_i32_e64 s1, s15, v8
	s_delay_alu instid0(VALU_DEP_1) | instskip(SKIP_1) | instid1(VALU_DEP_1)
	v_cndmask_b32_e64 v6, 0, v6, s1
	v_cmp_gt_i32_e64 s1, s15, v23
	v_cndmask_b32_e64 v5, 0, v5, s1
.LBB390_400:                            ;   in Loop: Header=BB390_274 Depth=1
	s_or_b32 exec_lo, exec_lo, s9
	v_and_b32_e32 v8, 0xffff0000, v32
	v_lshlrev_b32_e32 v32, 16, v33
	s_delay_alu instid0(VALU_DEP_1) | instskip(NEXT) | instid1(VALU_DEP_1)
	v_mul_f32_e32 v33, v8, v32
	v_and_b32_e32 v32, 0x7f800000, v33
	s_delay_alu instid0(VALU_DEP_1) | instskip(NEXT) | instid1(VALU_DEP_1)
	v_cmp_ne_u32_e64 s1, 0x7f800000, v32
                                        ; implicit-def: $vgpr32
	s_and_saveexec_b32 s9, s1
	s_delay_alu instid0(SALU_CYCLE_1)
	s_xor_b32 s1, exec_lo, s9
; %bb.401:                              ;   in Loop: Header=BB390_274 Depth=1
	v_bfe_u32 v32, v33, 16, 1
	s_delay_alu instid0(VALU_DEP_1)
	v_add3_u32 v32, v33, v32, 0x7fff
                                        ; implicit-def: $vgpr33
; %bb.402:                              ;   in Loop: Header=BB390_274 Depth=1
	s_and_not1_saveexec_b32 s9, s1
; %bb.403:                              ;   in Loop: Header=BB390_274 Depth=1
	v_and_b32_e32 v32, 0xffff, v33
	v_or_b32_e32 v38, 0x10000, v33
	s_delay_alu instid0(VALU_DEP_2) | instskip(NEXT) | instid1(VALU_DEP_1)
	v_cmp_eq_u32_e64 s1, 0, v32
	v_cndmask_b32_e64 v32, v38, v33, s1
; %bb.404:                              ;   in Loop: Header=BB390_274 Depth=1
	s_or_b32 exec_lo, exec_lo, s9
	v_and_b32_e32 v25, 0xffff0000, v25
	v_lshlrev_b32_e32 v33, 16, v34
	s_delay_alu instid0(VALU_DEP_1) | instskip(NEXT) | instid1(VALU_DEP_1)
	v_mul_f32_e32 v34, v25, v33
	v_and_b32_e32 v33, 0x7f800000, v34
	s_delay_alu instid0(VALU_DEP_1) | instskip(NEXT) | instid1(VALU_DEP_1)
	v_cmp_ne_u32_e64 s1, 0x7f800000, v33
                                        ; implicit-def: $vgpr33
	s_and_saveexec_b32 s9, s1
	s_delay_alu instid0(SALU_CYCLE_1)
	s_xor_b32 s1, exec_lo, s9
; %bb.405:                              ;   in Loop: Header=BB390_274 Depth=1
	v_bfe_u32 v33, v34, 16, 1
	s_delay_alu instid0(VALU_DEP_1)
	v_add3_u32 v33, v34, v33, 0x7fff
                                        ; implicit-def: $vgpr34
; %bb.406:                              ;   in Loop: Header=BB390_274 Depth=1
	s_and_not1_saveexec_b32 s9, s1
; %bb.407:                              ;   in Loop: Header=BB390_274 Depth=1
	v_and_b32_e32 v33, 0xffff, v34
	v_or_b32_e32 v38, 0x10000, v34
	s_delay_alu instid0(VALU_DEP_2) | instskip(NEXT) | instid1(VALU_DEP_1)
	v_cmp_eq_u32_e64 s1, 0, v33
	v_cndmask_b32_e64 v33, v38, v34, s1
; %bb.408:                              ;   in Loop: Header=BB390_274 Depth=1
	s_or_b32 exec_lo, exec_lo, s9
	v_and_b32_e32 v26, 0xffff0000, v26
	v_lshlrev_b32_e32 v34, 16, v35
	s_delay_alu instid0(VALU_DEP_1) | instskip(NEXT) | instid1(VALU_DEP_1)
	v_mul_f32_e32 v35, v26, v34
	v_and_b32_e32 v34, 0x7f800000, v35
	s_delay_alu instid0(VALU_DEP_1) | instskip(NEXT) | instid1(VALU_DEP_1)
	v_cmp_ne_u32_e64 s1, 0x7f800000, v34
                                        ; implicit-def: $vgpr34
	s_and_saveexec_b32 s9, s1
	s_delay_alu instid0(SALU_CYCLE_1)
	s_xor_b32 s1, exec_lo, s9
; %bb.409:                              ;   in Loop: Header=BB390_274 Depth=1
	v_bfe_u32 v34, v35, 16, 1
	s_delay_alu instid0(VALU_DEP_1)
	v_add3_u32 v34, v35, v34, 0x7fff
                                        ; implicit-def: $vgpr35
; %bb.410:                              ;   in Loop: Header=BB390_274 Depth=1
	s_and_not1_saveexec_b32 s9, s1
; %bb.411:                              ;   in Loop: Header=BB390_274 Depth=1
	v_and_b32_e32 v34, 0xffff, v35
	v_or_b32_e32 v38, 0x10000, v35
	s_delay_alu instid0(VALU_DEP_2) | instskip(NEXT) | instid1(VALU_DEP_1)
	v_cmp_eq_u32_e64 s1, 0, v34
	v_cndmask_b32_e64 v34, v38, v35, s1
; %bb.412:                              ;   in Loop: Header=BB390_274 Depth=1
	s_or_b32 exec_lo, exec_lo, s9
	v_and_b32_e32 v27, 0xffff0000, v27
	v_lshlrev_b32_e32 v35, 16, v36
	s_delay_alu instid0(VALU_DEP_1) | instskip(NEXT) | instid1(VALU_DEP_1)
	v_mul_f32_e32 v36, v27, v35
	v_and_b32_e32 v35, 0x7f800000, v36
	s_delay_alu instid0(VALU_DEP_1) | instskip(NEXT) | instid1(VALU_DEP_1)
	v_cmp_ne_u32_e64 s1, 0x7f800000, v35
                                        ; implicit-def: $vgpr35
	s_and_saveexec_b32 s9, s1
	s_delay_alu instid0(SALU_CYCLE_1)
	s_xor_b32 s1, exec_lo, s9
; %bb.413:                              ;   in Loop: Header=BB390_274 Depth=1
	v_bfe_u32 v35, v36, 16, 1
	s_delay_alu instid0(VALU_DEP_1)
	v_add3_u32 v35, v36, v35, 0x7fff
                                        ; implicit-def: $vgpr36
; %bb.414:                              ;   in Loop: Header=BB390_274 Depth=1
	s_and_not1_saveexec_b32 s9, s1
; %bb.415:                              ;   in Loop: Header=BB390_274 Depth=1
	v_and_b32_e32 v35, 0xffff, v36
	v_or_b32_e32 v38, 0x10000, v36
	s_delay_alu instid0(VALU_DEP_2) | instskip(NEXT) | instid1(VALU_DEP_1)
	v_cmp_eq_u32_e64 s1, 0, v35
	v_cndmask_b32_e64 v35, v38, v36, s1
; %bb.416:                              ;   in Loop: Header=BB390_274 Depth=1
	s_or_b32 exec_lo, exec_lo, s9
	v_and_b32_e32 v28, 0xffff0000, v28
	v_lshlrev_b32_e32 v36, 16, v37
	s_delay_alu instid0(VALU_DEP_1) | instskip(NEXT) | instid1(VALU_DEP_1)
	v_mul_f32_e32 v37, v28, v36
	v_and_b32_e32 v36, 0x7f800000, v37
	s_delay_alu instid0(VALU_DEP_1) | instskip(NEXT) | instid1(VALU_DEP_1)
	v_cmp_ne_u32_e64 s1, 0x7f800000, v36
                                        ; implicit-def: $vgpr36
	s_and_saveexec_b32 s9, s1
	s_delay_alu instid0(SALU_CYCLE_1)
	s_xor_b32 s1, exec_lo, s9
; %bb.417:                              ;   in Loop: Header=BB390_274 Depth=1
	v_bfe_u32 v36, v37, 16, 1
	s_delay_alu instid0(VALU_DEP_1)
	v_add3_u32 v36, v37, v36, 0x7fff
                                        ; implicit-def: $vgpr37
; %bb.418:                              ;   in Loop: Header=BB390_274 Depth=1
	s_and_not1_saveexec_b32 s9, s1
; %bb.419:                              ;   in Loop: Header=BB390_274 Depth=1
	v_and_b32_e32 v36, 0xffff, v37
	v_or_b32_e32 v38, 0x10000, v37
	s_delay_alu instid0(VALU_DEP_2) | instskip(NEXT) | instid1(VALU_DEP_1)
	v_cmp_eq_u32_e64 s1, 0, v36
	v_cndmask_b32_e64 v36, v38, v37, s1
; %bb.420:                              ;   in Loop: Header=BB390_274 Depth=1
	s_or_b32 exec_lo, exec_lo, s9
	v_and_b32_e32 v29, 0xffff0000, v29
	v_lshlrev_b32_e32 v13, 16, v13
	s_delay_alu instid0(VALU_DEP_1) | instskip(NEXT) | instid1(VALU_DEP_1)
	v_mul_f32_e32 v13, v29, v13
	v_and_b32_e32 v37, 0x7f800000, v13
	s_delay_alu instid0(VALU_DEP_1) | instskip(NEXT) | instid1(VALU_DEP_1)
	v_cmp_ne_u32_e64 s1, 0x7f800000, v37
                                        ; implicit-def: $vgpr37
	s_and_saveexec_b32 s9, s1
	s_delay_alu instid0(SALU_CYCLE_1)
	s_xor_b32 s1, exec_lo, s9
; %bb.421:                              ;   in Loop: Header=BB390_274 Depth=1
	v_bfe_u32 v37, v13, 16, 1
	s_delay_alu instid0(VALU_DEP_1)
	v_add3_u32 v37, v13, v37, 0x7fff
                                        ; implicit-def: $vgpr13
; %bb.422:                              ;   in Loop: Header=BB390_274 Depth=1
	s_and_not1_saveexec_b32 s9, s1
; %bb.423:                              ;   in Loop: Header=BB390_274 Depth=1
	v_and_b32_e32 v37, 0xffff, v13
	v_or_b32_e32 v38, 0x10000, v13
	s_delay_alu instid0(VALU_DEP_2) | instskip(NEXT) | instid1(VALU_DEP_1)
	v_cmp_eq_u32_e64 s1, 0, v37
	v_cndmask_b32_e64 v37, v38, v13, s1
; %bb.424:                              ;   in Loop: Header=BB390_274 Depth=1
	s_or_b32 exec_lo, exec_lo, s9
	v_and_b32_e32 v30, 0xffff0000, v30
	v_lshlrev_b32_e32 v6, 16, v6
                                        ; implicit-def: $vgpr38
	s_delay_alu instid0(VALU_DEP_1) | instskip(NEXT) | instid1(VALU_DEP_1)
	v_mul_f32_e32 v6, v30, v6
	v_and_b32_e32 v13, 0x7f800000, v6
	s_delay_alu instid0(VALU_DEP_1) | instskip(NEXT) | instid1(VALU_DEP_1)
	v_cmp_ne_u32_e64 s1, 0x7f800000, v13
	s_and_saveexec_b32 s9, s1
	s_delay_alu instid0(SALU_CYCLE_1)
	s_xor_b32 s1, exec_lo, s9
; %bb.425:                              ;   in Loop: Header=BB390_274 Depth=1
	v_bfe_u32 v13, v6, 16, 1
	s_delay_alu instid0(VALU_DEP_1)
	v_add3_u32 v38, v6, v13, 0x7fff
                                        ; implicit-def: $vgpr6
; %bb.426:                              ;   in Loop: Header=BB390_274 Depth=1
	s_and_not1_saveexec_b32 s9, s1
; %bb.427:                              ;   in Loop: Header=BB390_274 Depth=1
	v_and_b32_e32 v13, 0xffff, v6
	v_or_b32_e32 v38, 0x10000, v6
	s_delay_alu instid0(VALU_DEP_2) | instskip(NEXT) | instid1(VALU_DEP_1)
	v_cmp_eq_u32_e64 s1, 0, v13
	v_cndmask_b32_e64 v38, v38, v6, s1
; %bb.428:                              ;   in Loop: Header=BB390_274 Depth=1
	s_or_b32 exec_lo, exec_lo, s9
	v_and_b32_e32 v31, 0xffff0000, v31
	v_lshlrev_b32_e32 v5, 16, v5
                                        ; implicit-def: $vgpr39
	s_delay_alu instid0(VALU_DEP_1) | instskip(NEXT) | instid1(VALU_DEP_1)
	v_mul_f32_e32 v5, v31, v5
	v_and_b32_e32 v6, 0x7f800000, v5
	s_delay_alu instid0(VALU_DEP_1) | instskip(NEXT) | instid1(VALU_DEP_1)
	v_cmp_ne_u32_e64 s1, 0x7f800000, v6
	s_and_saveexec_b32 s9, s1
	s_delay_alu instid0(SALU_CYCLE_1)
	s_xor_b32 s1, exec_lo, s9
; %bb.429:                              ;   in Loop: Header=BB390_274 Depth=1
	v_bfe_u32 v6, v5, 16, 1
	s_delay_alu instid0(VALU_DEP_1)
	v_add3_u32 v39, v5, v6, 0x7fff
                                        ; implicit-def: $vgpr5
; %bb.430:                              ;   in Loop: Header=BB390_274 Depth=1
	s_and_not1_saveexec_b32 s9, s1
; %bb.431:                              ;   in Loop: Header=BB390_274 Depth=1
	v_and_b32_e32 v6, 0xffff, v5
	v_or_b32_e32 v13, 0x10000, v5
	s_delay_alu instid0(VALU_DEP_2) | instskip(NEXT) | instid1(VALU_DEP_1)
	v_cmp_eq_u32_e64 s1, 0, v6
	v_cndmask_b32_e64 v39, v13, v5, s1
; %bb.432:                              ;   in Loop: Header=BB390_274 Depth=1
	s_or_b32 exec_lo, exec_lo, s9
	global_load_b64 v[3:4], v[3:4], off offset:256
	s_mov_b32 s9, exec_lo
	s_waitcnt vmcnt(0)
	v_dual_mov_b32 v5, 0 :: v_dual_and_b32 v6, 0xff, v3
	s_delay_alu instid0(VALU_DEP_1)
	v_cmpx_ne_u16_e32 0, v6
	s_cbranch_execz .LBB390_438
; %bb.433:                              ;   in Loop: Header=BB390_274 Depth=1
	v_bfrev_b32_e32 v5, 1
	s_mov_b32 s10, exec_lo
	v_cmpx_ne_u16_e32 0x80, v6
	s_cbranch_execz .LBB390_437
; %bb.434:                              ;   in Loop: Header=BB390_274 Depth=1
	v_and_b32_e32 v6, 0x7f, v3
	v_mov_b32_e32 v5, 0x7f800001
	s_mov_b32 s16, exec_lo
	s_delay_alu instid0(VALU_DEP_2)
	v_cmpx_ne_u32_e32 0x7f, v6
	s_cbranch_execz .LBB390_436
; %bb.435:                              ;   in Loop: Header=BB390_274 Depth=1
	v_and_b32_e32 v5, 7, v3
	v_lshrrev_b32_e32 v13, 3, v6
	v_cmp_gt_u32_e64 s1, 8, v6
	s_delay_alu instid0(VALU_DEP_3) | instskip(NEXT) | instid1(VALU_DEP_1)
	v_clz_i32_u32_e32 v5, v5
	v_min_u32_e32 v5, 32, v5
	s_delay_alu instid0(VALU_DEP_1) | instskip(SKIP_1) | instid1(VALU_DEP_1)
	v_subrev_nc_u32_e32 v40, 28, v5
	v_sub_nc_u32_e32 v5, 29, v5
	v_cndmask_b32_e64 v13, v13, v5, s1
	s_delay_alu instid0(VALU_DEP_3) | instskip(NEXT) | instid1(VALU_DEP_2)
	v_cndmask_b32_e64 v5, 0, v40, s1
	v_lshl_add_u32 v13, v13, 23, 0x3c000000
	s_delay_alu instid0(VALU_DEP_2) | instskip(SKIP_1) | instid1(VALU_DEP_2)
	v_lshlrev_b64 v[5:6], v5, v[3:4]
	v_lshlrev_b32_e32 v6, 24, v3
	v_lshlrev_b32_e32 v5, 20, v5
	s_delay_alu instid0(VALU_DEP_2) | instskip(NEXT) | instid1(VALU_DEP_2)
	v_and_b32_e32 v6, 0x80000000, v6
	v_and_b32_e32 v5, 0x700000, v5
	s_delay_alu instid0(VALU_DEP_1)
	v_or3_b32 v5, v5, v6, v13
.LBB390_436:                            ;   in Loop: Header=BB390_274 Depth=1
	s_or_b32 exec_lo, exec_lo, s16
.LBB390_437:                            ;   in Loop: Header=BB390_274 Depth=1
	s_delay_alu instid0(SALU_CYCLE_1)
	s_or_b32 exec_lo, exec_lo, s10
.LBB390_438:                            ;   in Loop: Header=BB390_274 Depth=1
	s_delay_alu instid0(SALU_CYCLE_1) | instskip(NEXT) | instid1(VALU_DEP_1)
	s_or_b32 exec_lo, exec_lo, s9
	v_mul_f32_e32 v5, s11, v5
                                        ; implicit-def: $vgpr40
	s_delay_alu instid0(VALU_DEP_1) | instskip(NEXT) | instid1(VALU_DEP_1)
	v_and_b32_e32 v6, 0x7f800000, v5
	v_cmp_ne_u32_e64 s1, 0x7f800000, v6
	s_delay_alu instid0(VALU_DEP_1) | instskip(NEXT) | instid1(SALU_CYCLE_1)
	s_and_saveexec_b32 s9, s1
	s_xor_b32 s1, exec_lo, s9
; %bb.439:                              ;   in Loop: Header=BB390_274 Depth=1
	v_bfe_u32 v6, v5, 16, 1
	s_delay_alu instid0(VALU_DEP_1)
	v_add3_u32 v40, v5, v6, 0x7fff
                                        ; implicit-def: $vgpr5
; %bb.440:                              ;   in Loop: Header=BB390_274 Depth=1
	s_and_not1_saveexec_b32 s9, s1
; %bb.441:                              ;   in Loop: Header=BB390_274 Depth=1
	v_and_b32_e32 v6, 0xffff, v5
	v_or_b32_e32 v13, 0x10000, v5
	s_delay_alu instid0(VALU_DEP_2) | instskip(NEXT) | instid1(VALU_DEP_1)
	v_cmp_eq_u32_e64 s1, 0, v6
	v_cndmask_b32_e64 v40, v13, v5, s1
; %bb.442:                              ;   in Loop: Header=BB390_274 Depth=1
	s_or_b32 exec_lo, exec_lo, s9
	v_lshrrev_b16 v6, 8, v3
	v_mov_b32_e32 v5, 0
	s_mov_b32 s9, exec_lo
	s_delay_alu instid0(VALU_DEP_2)
	v_cmpx_ne_u16_e32 0, v6
	s_cbranch_execz .LBB390_450
; %bb.443:                              ;   in Loop: Header=BB390_274 Depth=1
	v_bfrev_b32_e32 v5, 1
	s_mov_b32 s10, exec_lo
	v_cmpx_ne_u16_e32 0x80, v6
	s_cbranch_execz .LBB390_449
; %bb.444:                              ;   in Loop: Header=BB390_274 Depth=1
	v_and_b32_e32 v13, 0xffff, v6
	v_mov_b32_e32 v5, 0x7f800001
	s_mov_b32 s16, exec_lo
	s_delay_alu instid0(VALU_DEP_2) | instskip(NEXT) | instid1(VALU_DEP_1)
	v_and_b32_e32 v6, 0x7f, v13
	v_cmpx_ne_u32_e32 0x7f, v6
	s_cbranch_execz .LBB390_448
; %bb.445:                              ;   in Loop: Header=BB390_274 Depth=1
	v_and_b32_e32 v13, 7, v13
	v_lshrrev_b32_e32 v5, 3, v6
	s_mov_b32 s17, exec_lo
	v_cmpx_gt_u32_e32 8, v6
; %bb.446:                              ;   in Loop: Header=BB390_274 Depth=1
	s_delay_alu instid0(VALU_DEP_3) | instskip(NEXT) | instid1(VALU_DEP_1)
	v_clz_i32_u32_e32 v5, v13
	v_min_u32_e32 v5, 32, v5
	s_delay_alu instid0(VALU_DEP_1) | instskip(SKIP_1) | instid1(VALU_DEP_2)
	v_subrev_nc_u32_e32 v6, 28, v5
	v_sub_nc_u32_e32 v5, 29, v5
	v_lshlrev_b64 v[41:42], v6, v[13:14]
	s_delay_alu instid0(VALU_DEP_1)
	v_and_b32_e32 v13, 7, v41
; %bb.447:                              ;   in Loop: Header=BB390_274 Depth=1
	s_or_b32 exec_lo, exec_lo, s17
	v_lshlrev_b32_e32 v6, 16, v3
	s_delay_alu instid0(VALU_DEP_2) | instskip(SKIP_1) | instid1(VALU_DEP_3)
	v_lshlrev_b32_e32 v13, 20, v13
	v_lshl_add_u32 v5, v5, 23, 0x3c000000
	v_and_b32_e32 v6, 0x80000000, v6
	s_delay_alu instid0(VALU_DEP_1)
	v_or3_b32 v5, v13, v6, v5
.LBB390_448:                            ;   in Loop: Header=BB390_274 Depth=1
	s_or_b32 exec_lo, exec_lo, s16
.LBB390_449:                            ;   in Loop: Header=BB390_274 Depth=1
	s_delay_alu instid0(SALU_CYCLE_1)
	s_or_b32 exec_lo, exec_lo, s10
.LBB390_450:                            ;   in Loop: Header=BB390_274 Depth=1
	s_delay_alu instid0(SALU_CYCLE_1) | instskip(NEXT) | instid1(VALU_DEP_1)
	s_or_b32 exec_lo, exec_lo, s9
	v_mul_f32_e32 v5, s11, v5
                                        ; implicit-def: $vgpr41
	s_delay_alu instid0(VALU_DEP_1) | instskip(NEXT) | instid1(VALU_DEP_1)
	v_and_b32_e32 v6, 0x7f800000, v5
	v_cmp_ne_u32_e64 s1, 0x7f800000, v6
	s_delay_alu instid0(VALU_DEP_1) | instskip(NEXT) | instid1(SALU_CYCLE_1)
	s_and_saveexec_b32 s9, s1
	s_xor_b32 s1, exec_lo, s9
; %bb.451:                              ;   in Loop: Header=BB390_274 Depth=1
	v_bfe_u32 v6, v5, 16, 1
	s_delay_alu instid0(VALU_DEP_1)
	v_add3_u32 v41, v5, v6, 0x7fff
                                        ; implicit-def: $vgpr5
; %bb.452:                              ;   in Loop: Header=BB390_274 Depth=1
	s_and_not1_saveexec_b32 s9, s1
; %bb.453:                              ;   in Loop: Header=BB390_274 Depth=1
	v_and_b32_e32 v6, 0xffff, v5
	v_or_b32_e32 v13, 0x10000, v5
	s_delay_alu instid0(VALU_DEP_2) | instskip(NEXT) | instid1(VALU_DEP_1)
	v_cmp_eq_u32_e64 s1, 0, v6
	v_cndmask_b32_e64 v41, v13, v5, s1
; %bb.454:                              ;   in Loop: Header=BB390_274 Depth=1
	s_or_b32 exec_lo, exec_lo, s9
	v_lshrrev_b32_e32 v5, 16, v3
	s_mov_b32 s9, exec_lo
	s_delay_alu instid0(VALU_DEP_1) | instskip(NEXT) | instid1(VALU_DEP_1)
	v_dual_mov_b32 v6, 0 :: v_dual_and_b32 v13, 0xff, v5
	v_cmpx_ne_u16_e32 0, v13
	s_cbranch_execz .LBB390_462
; %bb.455:                              ;   in Loop: Header=BB390_274 Depth=1
	v_bfrev_b32_e32 v6, 1
	s_mov_b32 s10, exec_lo
	v_cmpx_ne_u16_e32 0x80, v13
	s_cbranch_execz .LBB390_461
; %bb.456:                              ;   in Loop: Header=BB390_274 Depth=1
	v_bfe_u32 v42, v3, 16, 7
	v_mov_b32_e32 v6, 0x7f800001
	s_mov_b32 s16, exec_lo
	s_delay_alu instid0(VALU_DEP_2)
	v_cmpx_ne_u32_e32 0x7f, v42
	s_cbranch_execz .LBB390_460
; %bb.457:                              ;   in Loop: Header=BB390_274 Depth=1
	v_and_b32_e32 v13, 7, v5
	v_lshrrev_b32_e32 v6, 3, v42
	s_mov_b32 s17, exec_lo
	v_cmpx_gt_u32_e32 8, v42
; %bb.458:                              ;   in Loop: Header=BB390_274 Depth=1
	s_delay_alu instid0(VALU_DEP_3) | instskip(NEXT) | instid1(VALU_DEP_1)
	v_clz_i32_u32_e32 v6, v13
	v_min_u32_e32 v6, 32, v6
	s_delay_alu instid0(VALU_DEP_1) | instskip(SKIP_1) | instid1(VALU_DEP_2)
	v_subrev_nc_u32_e32 v42, 28, v6
	v_sub_nc_u32_e32 v6, 29, v6
	v_lshlrev_b64 v[42:43], v42, v[13:14]
	s_delay_alu instid0(VALU_DEP_1)
	v_and_b32_e32 v13, 7, v42
; %bb.459:                              ;   in Loop: Header=BB390_274 Depth=1
	s_or_b32 exec_lo, exec_lo, s17
	v_lshlrev_b32_e32 v5, 24, v5
	s_delay_alu instid0(VALU_DEP_2) | instskip(SKIP_1) | instid1(VALU_DEP_3)
	v_lshlrev_b32_e32 v13, 20, v13
	v_lshl_add_u32 v6, v6, 23, 0x3c000000
	v_and_b32_e32 v5, 0x80000000, v5
	s_delay_alu instid0(VALU_DEP_1)
	v_or3_b32 v6, v13, v5, v6
.LBB390_460:                            ;   in Loop: Header=BB390_274 Depth=1
	s_or_b32 exec_lo, exec_lo, s16
.LBB390_461:                            ;   in Loop: Header=BB390_274 Depth=1
	s_delay_alu instid0(SALU_CYCLE_1)
	s_or_b32 exec_lo, exec_lo, s10
.LBB390_462:                            ;   in Loop: Header=BB390_274 Depth=1
	s_delay_alu instid0(SALU_CYCLE_1) | instskip(NEXT) | instid1(VALU_DEP_1)
	s_or_b32 exec_lo, exec_lo, s9
	v_mul_f32_e32 v5, s11, v6
                                        ; implicit-def: $vgpr42
	s_delay_alu instid0(VALU_DEP_1) | instskip(NEXT) | instid1(VALU_DEP_1)
	v_and_b32_e32 v6, 0x7f800000, v5
	v_cmp_ne_u32_e64 s1, 0x7f800000, v6
	s_delay_alu instid0(VALU_DEP_1) | instskip(NEXT) | instid1(SALU_CYCLE_1)
	s_and_saveexec_b32 s9, s1
	s_xor_b32 s1, exec_lo, s9
; %bb.463:                              ;   in Loop: Header=BB390_274 Depth=1
	v_bfe_u32 v6, v5, 16, 1
	s_delay_alu instid0(VALU_DEP_1)
	v_add3_u32 v42, v5, v6, 0x7fff
                                        ; implicit-def: $vgpr5
; %bb.464:                              ;   in Loop: Header=BB390_274 Depth=1
	s_and_not1_saveexec_b32 s9, s1
; %bb.465:                              ;   in Loop: Header=BB390_274 Depth=1
	v_and_b32_e32 v6, 0xffff, v5
	v_or_b32_e32 v13, 0x10000, v5
	s_delay_alu instid0(VALU_DEP_2) | instskip(NEXT) | instid1(VALU_DEP_1)
	v_cmp_eq_u32_e64 s1, 0, v6
	v_cndmask_b32_e64 v42, v13, v5, s1
; %bb.466:                              ;   in Loop: Header=BB390_274 Depth=1
	s_or_b32 exec_lo, exec_lo, s9
	v_mov_b32_e32 v6, 0
	s_mov_b32 s9, exec_lo
	v_cmpx_lt_u32_e32 0xffffff, v3
	s_cbranch_execz .LBB390_474
; %bb.467:                              ;   in Loop: Header=BB390_274 Depth=1
	v_lshrrev_b32_e32 v5, 24, v3
	v_bfrev_b32_e32 v6, 1
	s_mov_b32 s10, exec_lo
	s_delay_alu instid0(VALU_DEP_2)
	v_cmpx_ne_u32_e32 0x80, v5
	s_cbranch_execz .LBB390_473
; %bb.468:                              ;   in Loop: Header=BB390_274 Depth=1
	v_bfe_u32 v43, v3, 24, 7
	v_mov_b32_e32 v6, 0x7f800001
	s_mov_b32 s16, exec_lo
	s_delay_alu instid0(VALU_DEP_2)
	v_cmpx_ne_u32_e32 0x7f, v43
	s_cbranch_execz .LBB390_472
; %bb.469:                              ;   in Loop: Header=BB390_274 Depth=1
	v_and_b32_e32 v13, 7, v5
	v_lshrrev_b32_e32 v6, 3, v43
	s_mov_b32 s17, exec_lo
	v_cmpx_gt_u32_e32 8, v43
; %bb.470:                              ;   in Loop: Header=BB390_274 Depth=1
	s_delay_alu instid0(VALU_DEP_3) | instskip(NEXT) | instid1(VALU_DEP_1)
	v_clz_i32_u32_e32 v6, v13
	v_min_u32_e32 v6, 32, v6
	s_delay_alu instid0(VALU_DEP_1) | instskip(SKIP_1) | instid1(VALU_DEP_2)
	v_subrev_nc_u32_e32 v43, 28, v6
	v_sub_nc_u32_e32 v6, 29, v6
	v_lshlrev_b64 v[43:44], v43, v[13:14]
	s_delay_alu instid0(VALU_DEP_1)
	v_and_b32_e32 v13, 7, v43
; %bb.471:                              ;   in Loop: Header=BB390_274 Depth=1
	s_or_b32 exec_lo, exec_lo, s17
	v_lshlrev_b32_e32 v5, 24, v5
	s_delay_alu instid0(VALU_DEP_2) | instskip(SKIP_1) | instid1(VALU_DEP_3)
	v_lshlrev_b32_e32 v13, 20, v13
	v_lshl_add_u32 v6, v6, 23, 0x3c000000
	v_and_b32_e32 v5, 0x80000000, v5
	s_delay_alu instid0(VALU_DEP_1)
	v_or3_b32 v6, v13, v5, v6
.LBB390_472:                            ;   in Loop: Header=BB390_274 Depth=1
	s_or_b32 exec_lo, exec_lo, s16
.LBB390_473:                            ;   in Loop: Header=BB390_274 Depth=1
	s_delay_alu instid0(SALU_CYCLE_1)
	s_or_b32 exec_lo, exec_lo, s10
.LBB390_474:                            ;   in Loop: Header=BB390_274 Depth=1
	s_delay_alu instid0(SALU_CYCLE_1) | instskip(NEXT) | instid1(VALU_DEP_1)
	s_or_b32 exec_lo, exec_lo, s9
	v_mul_f32_e32 v5, s11, v6
                                        ; implicit-def: $vgpr43
	s_delay_alu instid0(VALU_DEP_1) | instskip(NEXT) | instid1(VALU_DEP_1)
	v_and_b32_e32 v6, 0x7f800000, v5
	v_cmp_ne_u32_e64 s1, 0x7f800000, v6
	s_delay_alu instid0(VALU_DEP_1) | instskip(NEXT) | instid1(SALU_CYCLE_1)
	s_and_saveexec_b32 s9, s1
	s_xor_b32 s1, exec_lo, s9
; %bb.475:                              ;   in Loop: Header=BB390_274 Depth=1
	v_bfe_u32 v6, v5, 16, 1
	s_delay_alu instid0(VALU_DEP_1)
	v_add3_u32 v43, v5, v6, 0x7fff
                                        ; implicit-def: $vgpr5
; %bb.476:                              ;   in Loop: Header=BB390_274 Depth=1
	s_and_not1_saveexec_b32 s9, s1
; %bb.477:                              ;   in Loop: Header=BB390_274 Depth=1
	v_and_b32_e32 v6, 0xffff, v5
	v_or_b32_e32 v13, 0x10000, v5
	s_delay_alu instid0(VALU_DEP_2) | instskip(NEXT) | instid1(VALU_DEP_1)
	v_cmp_eq_u32_e64 s1, 0, v6
	v_cndmask_b32_e64 v43, v13, v5, s1
; %bb.478:                              ;   in Loop: Header=BB390_274 Depth=1
	s_or_b32 exec_lo, exec_lo, s9
	v_dual_mov_b32 v13, v4 :: v_dual_and_b32 v6, 0xff, v4
	v_mov_b32_e32 v5, 0
	s_mov_b32 s9, exec_lo
	s_delay_alu instid0(VALU_DEP_2)
	v_cmpx_ne_u16_e32 0, v6
	s_cbranch_execz .LBB390_484
; %bb.479:                              ;   in Loop: Header=BB390_274 Depth=1
	v_bfrev_b32_e32 v5, 1
	s_mov_b32 s10, exec_lo
	v_cmpx_ne_u16_e32 0x80, v6
	s_cbranch_execz .LBB390_483
; %bb.480:                              ;   in Loop: Header=BB390_274 Depth=1
	v_and_b32_e32 v6, 0x7f, v4
	v_mov_b32_e32 v5, 0x7f800001
	s_mov_b32 s16, exec_lo
	s_delay_alu instid0(VALU_DEP_2)
	v_cmpx_ne_u32_e32 0x7f, v6
	s_cbranch_execz .LBB390_482
; %bb.481:                              ;   in Loop: Header=BB390_274 Depth=1
	v_and_b32_e32 v5, 7, v4
	v_lshrrev_b32_e32 v44, 3, v6
	v_cmp_gt_u32_e64 s1, 8, v6
	s_delay_alu instid0(VALU_DEP_3) | instskip(NEXT) | instid1(VALU_DEP_1)
	v_clz_i32_u32_e32 v5, v5
	v_min_u32_e32 v5, 32, v5
	s_delay_alu instid0(VALU_DEP_1) | instskip(SKIP_1) | instid1(VALU_DEP_1)
	v_subrev_nc_u32_e32 v45, 28, v5
	v_sub_nc_u32_e32 v5, 29, v5
	v_cndmask_b32_e64 v44, v44, v5, s1
	s_delay_alu instid0(VALU_DEP_3) | instskip(NEXT) | instid1(VALU_DEP_2)
	v_cndmask_b32_e64 v5, 0, v45, s1
	v_lshl_add_u32 v44, v44, 23, 0x3c000000
	s_delay_alu instid0(VALU_DEP_2) | instskip(SKIP_1) | instid1(VALU_DEP_2)
	v_lshlrev_b64 v[5:6], v5, v[13:14]
	v_lshlrev_b32_e32 v6, 24, v13
	v_lshlrev_b32_e32 v5, 20, v5
	s_delay_alu instid0(VALU_DEP_2) | instskip(NEXT) | instid1(VALU_DEP_2)
	v_and_b32_e32 v6, 0x80000000, v6
	v_and_b32_e32 v5, 0x700000, v5
	s_delay_alu instid0(VALU_DEP_1)
	v_or3_b32 v5, v5, v6, v44
.LBB390_482:                            ;   in Loop: Header=BB390_274 Depth=1
	s_or_b32 exec_lo, exec_lo, s16
.LBB390_483:                            ;   in Loop: Header=BB390_274 Depth=1
	s_delay_alu instid0(SALU_CYCLE_1)
	s_or_b32 exec_lo, exec_lo, s10
.LBB390_484:                            ;   in Loop: Header=BB390_274 Depth=1
	s_delay_alu instid0(SALU_CYCLE_1) | instskip(NEXT) | instid1(VALU_DEP_1)
	s_or_b32 exec_lo, exec_lo, s9
	v_mul_f32_e32 v5, s11, v5
                                        ; implicit-def: $vgpr44
	s_delay_alu instid0(VALU_DEP_1) | instskip(NEXT) | instid1(VALU_DEP_1)
	v_and_b32_e32 v6, 0x7f800000, v5
	v_cmp_ne_u32_e64 s1, 0x7f800000, v6
	s_delay_alu instid0(VALU_DEP_1) | instskip(NEXT) | instid1(SALU_CYCLE_1)
	s_and_saveexec_b32 s9, s1
	s_xor_b32 s1, exec_lo, s9
; %bb.485:                              ;   in Loop: Header=BB390_274 Depth=1
	v_bfe_u32 v6, v5, 16, 1
	s_delay_alu instid0(VALU_DEP_1)
	v_add3_u32 v44, v5, v6, 0x7fff
                                        ; implicit-def: $vgpr5
; %bb.486:                              ;   in Loop: Header=BB390_274 Depth=1
	s_and_not1_saveexec_b32 s9, s1
; %bb.487:                              ;   in Loop: Header=BB390_274 Depth=1
	v_and_b32_e32 v6, 0xffff, v5
	v_or_b32_e32 v44, 0x10000, v5
	s_delay_alu instid0(VALU_DEP_2) | instskip(NEXT) | instid1(VALU_DEP_1)
	v_cmp_eq_u32_e64 s1, 0, v6
	v_cndmask_b32_e64 v44, v44, v5, s1
; %bb.488:                              ;   in Loop: Header=BB390_274 Depth=1
	s_or_b32 exec_lo, exec_lo, s9
	v_lshrrev_b16 v6, 8, v13
	v_mov_b32_e32 v5, 0
	s_mov_b32 s9, exec_lo
	s_delay_alu instid0(VALU_DEP_2)
	v_cmpx_ne_u16_e32 0, v6
	s_cbranch_execz .LBB390_496
; %bb.489:                              ;   in Loop: Header=BB390_274 Depth=1
	v_bfrev_b32_e32 v5, 1
	s_mov_b32 s10, exec_lo
	v_cmpx_ne_u16_e32 0x80, v6
	s_cbranch_execz .LBB390_495
; %bb.490:                              ;   in Loop: Header=BB390_274 Depth=1
	v_and_b32_e32 v6, 0xffff, v6
	v_mov_b32_e32 v5, 0x7f800001
	s_mov_b32 s16, exec_lo
	s_delay_alu instid0(VALU_DEP_2) | instskip(NEXT) | instid1(VALU_DEP_1)
	v_and_b32_e32 v46, 0x7f, v6
	v_cmpx_ne_u32_e32 0x7f, v46
	s_cbranch_execz .LBB390_494
; %bb.491:                              ;   in Loop: Header=BB390_274 Depth=1
	v_dual_mov_b32 v6, v14 :: v_dual_and_b32 v5, 7, v6
	v_lshrrev_b32_e32 v45, 3, v46
	s_mov_b32 s17, exec_lo
	v_cmpx_gt_u32_e32 8, v46
; %bb.492:                              ;   in Loop: Header=BB390_274 Depth=1
	s_delay_alu instid0(VALU_DEP_3) | instskip(NEXT) | instid1(VALU_DEP_1)
	v_clz_i32_u32_e32 v45, v5
	v_min_u32_e32 v45, 32, v45
	s_delay_alu instid0(VALU_DEP_1) | instskip(SKIP_1) | instid1(VALU_DEP_2)
	v_subrev_nc_u32_e32 v46, 28, v45
	v_sub_nc_u32_e32 v45, 29, v45
	v_lshlrev_b64 v[5:6], v46, v[5:6]
	s_delay_alu instid0(VALU_DEP_1)
	v_and_b32_e32 v5, 7, v5
; %bb.493:                              ;   in Loop: Header=BB390_274 Depth=1
	s_or_b32 exec_lo, exec_lo, s17
	v_lshlrev_b32_e32 v6, 16, v13
	s_delay_alu instid0(VALU_DEP_2) | instskip(SKIP_1) | instid1(VALU_DEP_3)
	v_lshlrev_b32_e32 v5, 20, v5
	v_lshl_add_u32 v13, v45, 23, 0x3c000000
	v_and_b32_e32 v6, 0x80000000, v6
	s_delay_alu instid0(VALU_DEP_1)
	v_or3_b32 v5, v5, v6, v13
.LBB390_494:                            ;   in Loop: Header=BB390_274 Depth=1
	s_or_b32 exec_lo, exec_lo, s16
.LBB390_495:                            ;   in Loop: Header=BB390_274 Depth=1
	s_delay_alu instid0(SALU_CYCLE_1)
	s_or_b32 exec_lo, exec_lo, s10
.LBB390_496:                            ;   in Loop: Header=BB390_274 Depth=1
	s_delay_alu instid0(SALU_CYCLE_1) | instskip(NEXT) | instid1(VALU_DEP_1)
	s_or_b32 exec_lo, exec_lo, s9
	v_mul_f32_e32 v6, s11, v5
	s_delay_alu instid0(VALU_DEP_1) | instskip(NEXT) | instid1(VALU_DEP_1)
	v_and_b32_e32 v5, 0x7f800000, v6
	v_cmp_ne_u32_e64 s1, 0x7f800000, v5
                                        ; implicit-def: $vgpr5
	s_delay_alu instid0(VALU_DEP_1) | instskip(NEXT) | instid1(SALU_CYCLE_1)
	s_and_saveexec_b32 s9, s1
	s_xor_b32 s1, exec_lo, s9
; %bb.497:                              ;   in Loop: Header=BB390_274 Depth=1
	v_bfe_u32 v5, v6, 16, 1
	s_delay_alu instid0(VALU_DEP_1)
	v_add3_u32 v5, v6, v5, 0x7fff
                                        ; implicit-def: $vgpr6
; %bb.498:                              ;   in Loop: Header=BB390_274 Depth=1
	s_and_not1_saveexec_b32 s9, s1
; %bb.499:                              ;   in Loop: Header=BB390_274 Depth=1
	v_and_b32_e32 v5, 0xffff, v6
	v_or_b32_e32 v13, 0x10000, v6
	s_delay_alu instid0(VALU_DEP_2) | instskip(NEXT) | instid1(VALU_DEP_1)
	v_cmp_eq_u32_e64 s1, 0, v5
	v_cndmask_b32_e64 v5, v13, v6, s1
; %bb.500:                              ;   in Loop: Header=BB390_274 Depth=1
	s_or_b32 exec_lo, exec_lo, s9
	v_lshrrev_b32_e32 v6, 16, v4
	v_mov_b32_e32 v13, 0
	s_mov_b32 s9, exec_lo
	s_delay_alu instid0(VALU_DEP_2) | instskip(NEXT) | instid1(VALU_DEP_1)
	v_and_b32_e32 v45, 0xff, v6
	v_cmpx_ne_u16_e32 0, v45
	s_cbranch_execz .LBB390_508
; %bb.501:                              ;   in Loop: Header=BB390_274 Depth=1
	v_bfrev_b32_e32 v13, 1
	s_mov_b32 s10, exec_lo
	v_cmpx_ne_u16_e32 0x80, v45
	s_cbranch_execz .LBB390_507
; %bb.502:                              ;   in Loop: Header=BB390_274 Depth=1
	v_bfe_u32 v46, v4, 16, 7
	v_mov_b32_e32 v13, 0x7f800001
	s_mov_b32 s16, exec_lo
	s_delay_alu instid0(VALU_DEP_2)
	v_cmpx_ne_u32_e32 0x7f, v46
	s_cbranch_execz .LBB390_506
; %bb.503:                              ;   in Loop: Header=BB390_274 Depth=1
	v_and_b32_e32 v13, 7, v6
	v_lshrrev_b32_e32 v45, 3, v46
	s_mov_b32 s17, exec_lo
	v_cmpx_gt_u32_e32 8, v46
; %bb.504:                              ;   in Loop: Header=BB390_274 Depth=1
	s_delay_alu instid0(VALU_DEP_3) | instskip(NEXT) | instid1(VALU_DEP_1)
	v_clz_i32_u32_e32 v45, v13
	v_min_u32_e32 v45, 32, v45
	s_delay_alu instid0(VALU_DEP_1) | instskip(SKIP_1) | instid1(VALU_DEP_2)
	v_subrev_nc_u32_e32 v46, 28, v45
	v_sub_nc_u32_e32 v45, 29, v45
	v_lshlrev_b64 v[46:47], v46, v[13:14]
	s_delay_alu instid0(VALU_DEP_1)
	v_and_b32_e32 v13, 7, v46
; %bb.505:                              ;   in Loop: Header=BB390_274 Depth=1
	s_or_b32 exec_lo, exec_lo, s17
	v_lshlrev_b32_e32 v6, 24, v6
	s_delay_alu instid0(VALU_DEP_2) | instskip(SKIP_1) | instid1(VALU_DEP_3)
	v_lshlrev_b32_e32 v13, 20, v13
	v_lshl_add_u32 v45, v45, 23, 0x3c000000
	v_and_b32_e32 v6, 0x80000000, v6
	s_delay_alu instid0(VALU_DEP_1)
	v_or3_b32 v13, v13, v6, v45
.LBB390_506:                            ;   in Loop: Header=BB390_274 Depth=1
	s_or_b32 exec_lo, exec_lo, s16
.LBB390_507:                            ;   in Loop: Header=BB390_274 Depth=1
	s_delay_alu instid0(SALU_CYCLE_1)
	s_or_b32 exec_lo, exec_lo, s10
.LBB390_508:                            ;   in Loop: Header=BB390_274 Depth=1
	s_delay_alu instid0(SALU_CYCLE_1) | instskip(NEXT) | instid1(VALU_DEP_1)
	s_or_b32 exec_lo, exec_lo, s9
	v_mul_f32_e32 v13, s11, v13
	s_delay_alu instid0(VALU_DEP_1) | instskip(NEXT) | instid1(VALU_DEP_1)
	v_and_b32_e32 v6, 0x7f800000, v13
	v_cmp_ne_u32_e64 s1, 0x7f800000, v6
                                        ; implicit-def: $vgpr6
	s_delay_alu instid0(VALU_DEP_1) | instskip(NEXT) | instid1(SALU_CYCLE_1)
	s_and_saveexec_b32 s9, s1
	s_xor_b32 s1, exec_lo, s9
; %bb.509:                              ;   in Loop: Header=BB390_274 Depth=1
	v_bfe_u32 v6, v13, 16, 1
	s_delay_alu instid0(VALU_DEP_1)
	v_add3_u32 v6, v13, v6, 0x7fff
                                        ; implicit-def: $vgpr13
; %bb.510:                              ;   in Loop: Header=BB390_274 Depth=1
	s_and_not1_saveexec_b32 s9, s1
; %bb.511:                              ;   in Loop: Header=BB390_274 Depth=1
	v_and_b32_e32 v6, 0xffff, v13
	v_or_b32_e32 v45, 0x10000, v13
	s_delay_alu instid0(VALU_DEP_2) | instskip(NEXT) | instid1(VALU_DEP_1)
	v_cmp_eq_u32_e64 s1, 0, v6
	v_cndmask_b32_e64 v6, v45, v13, s1
; %bb.512:                              ;   in Loop: Header=BB390_274 Depth=1
	s_or_b32 exec_lo, exec_lo, s9
	v_mov_b32_e32 v13, 0
	s_mov_b32 s9, exec_lo
	v_cmpx_lt_u64_e64 s[12:13], v[3:4]
	s_cbranch_execz .LBB390_520
; %bb.513:                              ;   in Loop: Header=BB390_274 Depth=1
	v_lshrrev_b32_e32 v3, 24, v4
	v_bfrev_b32_e32 v13, 1
	s_mov_b32 s10, exec_lo
	s_delay_alu instid0(VALU_DEP_2)
	v_cmpx_ne_u32_e32 0x80, v3
	s_cbranch_execz .LBB390_519
; %bb.514:                              ;   in Loop: Header=BB390_274 Depth=1
	v_bfe_u32 v45, v4, 24, 7
	v_mov_b32_e32 v13, 0x7f800001
	s_mov_b32 s16, exec_lo
	s_delay_alu instid0(VALU_DEP_2)
	v_cmpx_ne_u32_e32 0x7f, v45
	s_cbranch_execz .LBB390_518
; %bb.515:                              ;   in Loop: Header=BB390_274 Depth=1
	v_and_b32_e32 v13, 7, v3
	v_lshrrev_b32_e32 v4, 3, v45
	s_mov_b32 s17, exec_lo
	v_cmpx_gt_u32_e32 8, v45
; %bb.516:                              ;   in Loop: Header=BB390_274 Depth=1
	s_delay_alu instid0(VALU_DEP_3) | instskip(NEXT) | instid1(VALU_DEP_1)
	v_clz_i32_u32_e32 v4, v13
	v_min_u32_e32 v4, 32, v4
	s_delay_alu instid0(VALU_DEP_1) | instskip(SKIP_1) | instid1(VALU_DEP_2)
	v_subrev_nc_u32_e32 v45, 28, v4
	v_sub_nc_u32_e32 v4, 29, v4
	v_lshlrev_b64 v[45:46], v45, v[13:14]
	s_delay_alu instid0(VALU_DEP_1)
	v_and_b32_e32 v13, 7, v45
; %bb.517:                              ;   in Loop: Header=BB390_274 Depth=1
	s_or_b32 exec_lo, exec_lo, s17
	v_lshlrev_b32_e32 v3, 24, v3
	s_delay_alu instid0(VALU_DEP_2) | instskip(SKIP_1) | instid1(VALU_DEP_3)
	v_lshlrev_b32_e32 v13, 20, v13
	v_lshl_add_u32 v4, v4, 23, 0x3c000000
	v_and_b32_e32 v3, 0x80000000, v3
	s_delay_alu instid0(VALU_DEP_1)
	v_or3_b32 v13, v13, v3, v4
.LBB390_518:                            ;   in Loop: Header=BB390_274 Depth=1
	s_or_b32 exec_lo, exec_lo, s16
.LBB390_519:                            ;   in Loop: Header=BB390_274 Depth=1
	s_delay_alu instid0(SALU_CYCLE_1)
	s_or_b32 exec_lo, exec_lo, s10
.LBB390_520:                            ;   in Loop: Header=BB390_274 Depth=1
	s_delay_alu instid0(SALU_CYCLE_1) | instskip(NEXT) | instid1(VALU_DEP_1)
	s_or_b32 exec_lo, exec_lo, s9
	v_mul_f32_e32 v4, s11, v13
	s_delay_alu instid0(VALU_DEP_1) | instskip(NEXT) | instid1(VALU_DEP_1)
	v_and_b32_e32 v3, 0x7f800000, v4
	v_cmp_ne_u32_e64 s1, 0x7f800000, v3
                                        ; implicit-def: $vgpr3
	s_delay_alu instid0(VALU_DEP_1) | instskip(NEXT) | instid1(SALU_CYCLE_1)
	s_and_saveexec_b32 s9, s1
	s_xor_b32 s1, exec_lo, s9
; %bb.521:                              ;   in Loop: Header=BB390_274 Depth=1
	v_bfe_u32 v3, v4, 16, 1
	s_delay_alu instid0(VALU_DEP_1)
	v_add3_u32 v3, v4, v3, 0x7fff
                                        ; implicit-def: $vgpr4
; %bb.522:                              ;   in Loop: Header=BB390_274 Depth=1
	s_and_not1_saveexec_b32 s9, s1
; %bb.523:                              ;   in Loop: Header=BB390_274 Depth=1
	v_and_b32_e32 v3, 0xffff, v4
	v_or_b32_e32 v13, 0x10000, v4
	s_delay_alu instid0(VALU_DEP_2) | instskip(NEXT) | instid1(VALU_DEP_1)
	v_cmp_eq_u32_e64 s1, 0, v3
	v_cndmask_b32_e64 v3, v13, v4, s1
; %bb.524:                              ;   in Loop: Header=BB390_274 Depth=1
	s_or_b32 exec_lo, exec_lo, s9
	v_lshrrev_b32_e32 v13, 16, v5
	v_lshrrev_b32_e32 v44, 16, v44
	;; [unrolled: 1-line block ×8, first 2 shown]
	s_and_saveexec_b32 s9, s0
	s_cbranch_execz .LBB390_526
; %bb.525:                              ;   in Loop: Header=BB390_274 Depth=1
	v_add_nc_u32_e32 v6, -6, v23
	v_cmp_gt_i32_e64 s1, s15, v7
	v_add_nc_u32_e32 v40, -5, v23
	v_add_nc_u32_e32 v45, -2, v23
	s_delay_alu instid0(VALU_DEP_3) | instskip(SKIP_2) | instid1(VALU_DEP_2)
	v_cndmask_b32_e64 v4, 0, v4, s1
	v_cmp_gt_i32_e64 s1, s15, v6
	v_add_nc_u32_e32 v6, -4, v23
	v_cndmask_b32_e64 v41, 0, v41, s1
	v_cmp_gt_i32_e64 s1, s15, v40
	v_add_nc_u32_e32 v40, -3, v23
	s_delay_alu instid0(VALU_DEP_2) | instskip(SKIP_2) | instid1(VALU_DEP_2)
	v_cndmask_b32_e64 v42, 0, v42, s1
	v_cmp_gt_i32_e64 s1, s15, v6
	v_add_nc_u32_e32 v6, -1, v23
	v_cndmask_b32_e64 v43, 0, v43, s1
	v_cmp_gt_i32_e64 s1, s15, v40
	s_delay_alu instid0(VALU_DEP_1) | instskip(SKIP_1) | instid1(VALU_DEP_1)
	v_cndmask_b32_e64 v44, 0, v44, s1
	v_cmp_gt_i32_e64 s1, s15, v45
	v_cndmask_b32_e64 v13, 0, v13, s1
	v_cmp_gt_i32_e64 s1, s15, v6
	s_delay_alu instid0(VALU_DEP_1) | instskip(SKIP_1) | instid1(VALU_DEP_1)
	v_cndmask_b32_e64 v5, 0, v5, s1
	v_cmp_gt_i32_e64 s1, s15, v23
	v_cndmask_b32_e64 v3, 0, v3, s1
.LBB390_526:                            ;   in Loop: Header=BB390_274 Depth=1
	s_or_b32 exec_lo, exec_lo, s9
	v_lshlrev_b32_e32 v4, 16, v4
	s_delay_alu instid0(VALU_DEP_1) | instskip(NEXT) | instid1(VALU_DEP_1)
	v_mul_f32_e32 v6, v8, v4
	v_and_b32_e32 v4, 0x7f800000, v6
	s_delay_alu instid0(VALU_DEP_1) | instskip(NEXT) | instid1(VALU_DEP_1)
	v_cmp_ne_u32_e64 s1, 0x7f800000, v4
                                        ; implicit-def: $vgpr4
	s_and_saveexec_b32 s9, s1
	s_delay_alu instid0(SALU_CYCLE_1)
	s_xor_b32 s1, exec_lo, s9
; %bb.527:                              ;   in Loop: Header=BB390_274 Depth=1
	v_bfe_u32 v4, v6, 16, 1
	s_delay_alu instid0(VALU_DEP_1)
	v_add3_u32 v4, v6, v4, 0x7fff
                                        ; implicit-def: $vgpr6
; %bb.528:                              ;   in Loop: Header=BB390_274 Depth=1
	s_and_not1_saveexec_b32 s9, s1
; %bb.529:                              ;   in Loop: Header=BB390_274 Depth=1
	v_and_b32_e32 v4, 0xffff, v6
	v_or_b32_e32 v40, 0x10000, v6
	s_delay_alu instid0(VALU_DEP_2) | instskip(NEXT) | instid1(VALU_DEP_1)
	v_cmp_eq_u32_e64 s1, 0, v4
	v_cndmask_b32_e64 v4, v40, v6, s1
; %bb.530:                              ;   in Loop: Header=BB390_274 Depth=1
	s_or_b32 exec_lo, exec_lo, s9
	v_lshlrev_b32_e32 v6, 16, v41
	s_delay_alu instid0(VALU_DEP_1) | instskip(NEXT) | instid1(VALU_DEP_1)
	v_mul_f32_e32 v40, v25, v6
	v_and_b32_e32 v6, 0x7f800000, v40
	s_delay_alu instid0(VALU_DEP_1) | instskip(NEXT) | instid1(VALU_DEP_1)
	v_cmp_ne_u32_e64 s1, 0x7f800000, v6
                                        ; implicit-def: $vgpr6
	s_and_saveexec_b32 s9, s1
	s_delay_alu instid0(SALU_CYCLE_1)
	s_xor_b32 s1, exec_lo, s9
; %bb.531:                              ;   in Loop: Header=BB390_274 Depth=1
	v_bfe_u32 v6, v40, 16, 1
	s_delay_alu instid0(VALU_DEP_1)
	v_add3_u32 v6, v40, v6, 0x7fff
                                        ; implicit-def: $vgpr40
; %bb.532:                              ;   in Loop: Header=BB390_274 Depth=1
	s_and_not1_saveexec_b32 s9, s1
; %bb.533:                              ;   in Loop: Header=BB390_274 Depth=1
	v_and_b32_e32 v6, 0xffff, v40
	v_or_b32_e32 v41, 0x10000, v40
	s_delay_alu instid0(VALU_DEP_2) | instskip(NEXT) | instid1(VALU_DEP_1)
	v_cmp_eq_u32_e64 s1, 0, v6
	v_cndmask_b32_e64 v6, v41, v40, s1
; %bb.534:                              ;   in Loop: Header=BB390_274 Depth=1
	s_or_b32 exec_lo, exec_lo, s9
	v_lshlrev_b32_e32 v40, 16, v42
	s_delay_alu instid0(VALU_DEP_1) | instskip(NEXT) | instid1(VALU_DEP_1)
	v_mul_f32_e32 v41, v26, v40
	v_and_b32_e32 v40, 0x7f800000, v41
	s_delay_alu instid0(VALU_DEP_1) | instskip(NEXT) | instid1(VALU_DEP_1)
	v_cmp_ne_u32_e64 s1, 0x7f800000, v40
                                        ; implicit-def: $vgpr40
	s_and_saveexec_b32 s9, s1
	s_delay_alu instid0(SALU_CYCLE_1)
	s_xor_b32 s1, exec_lo, s9
; %bb.535:                              ;   in Loop: Header=BB390_274 Depth=1
	v_bfe_u32 v40, v41, 16, 1
	s_delay_alu instid0(VALU_DEP_1)
	v_add3_u32 v40, v41, v40, 0x7fff
                                        ; implicit-def: $vgpr41
; %bb.536:                              ;   in Loop: Header=BB390_274 Depth=1
	s_and_not1_saveexec_b32 s9, s1
; %bb.537:                              ;   in Loop: Header=BB390_274 Depth=1
	v_and_b32_e32 v40, 0xffff, v41
	v_or_b32_e32 v42, 0x10000, v41
	s_delay_alu instid0(VALU_DEP_2) | instskip(NEXT) | instid1(VALU_DEP_1)
	v_cmp_eq_u32_e64 s1, 0, v40
	v_cndmask_b32_e64 v40, v42, v41, s1
; %bb.538:                              ;   in Loop: Header=BB390_274 Depth=1
	s_or_b32 exec_lo, exec_lo, s9
	v_lshlrev_b32_e32 v41, 16, v43
	s_delay_alu instid0(VALU_DEP_1) | instskip(NEXT) | instid1(VALU_DEP_1)
	v_mul_f32_e32 v42, v27, v41
	v_and_b32_e32 v41, 0x7f800000, v42
	s_delay_alu instid0(VALU_DEP_1) | instskip(NEXT) | instid1(VALU_DEP_1)
	v_cmp_ne_u32_e64 s1, 0x7f800000, v41
                                        ; implicit-def: $vgpr41
	s_and_saveexec_b32 s9, s1
	s_delay_alu instid0(SALU_CYCLE_1)
	s_xor_b32 s1, exec_lo, s9
; %bb.539:                              ;   in Loop: Header=BB390_274 Depth=1
	v_bfe_u32 v41, v42, 16, 1
	s_delay_alu instid0(VALU_DEP_1)
	v_add3_u32 v41, v42, v41, 0x7fff
                                        ; implicit-def: $vgpr42
; %bb.540:                              ;   in Loop: Header=BB390_274 Depth=1
	s_and_not1_saveexec_b32 s9, s1
; %bb.541:                              ;   in Loop: Header=BB390_274 Depth=1
	v_and_b32_e32 v41, 0xffff, v42
	v_or_b32_e32 v43, 0x10000, v42
	s_delay_alu instid0(VALU_DEP_2) | instskip(NEXT) | instid1(VALU_DEP_1)
	v_cmp_eq_u32_e64 s1, 0, v41
	v_cndmask_b32_e64 v41, v43, v42, s1
; %bb.542:                              ;   in Loop: Header=BB390_274 Depth=1
	s_or_b32 exec_lo, exec_lo, s9
	v_lshlrev_b32_e32 v42, 16, v44
	s_delay_alu instid0(VALU_DEP_1) | instskip(NEXT) | instid1(VALU_DEP_1)
	v_mul_f32_e32 v43, v28, v42
	v_and_b32_e32 v42, 0x7f800000, v43
	s_delay_alu instid0(VALU_DEP_1) | instskip(NEXT) | instid1(VALU_DEP_1)
	v_cmp_ne_u32_e64 s1, 0x7f800000, v42
                                        ; implicit-def: $vgpr42
	s_and_saveexec_b32 s9, s1
	s_delay_alu instid0(SALU_CYCLE_1)
	s_xor_b32 s1, exec_lo, s9
; %bb.543:                              ;   in Loop: Header=BB390_274 Depth=1
	v_bfe_u32 v42, v43, 16, 1
	s_delay_alu instid0(VALU_DEP_1)
	v_add3_u32 v42, v43, v42, 0x7fff
                                        ; implicit-def: $vgpr43
; %bb.544:                              ;   in Loop: Header=BB390_274 Depth=1
	s_and_not1_saveexec_b32 s9, s1
; %bb.545:                              ;   in Loop: Header=BB390_274 Depth=1
	v_and_b32_e32 v42, 0xffff, v43
	v_or_b32_e32 v44, 0x10000, v43
	s_delay_alu instid0(VALU_DEP_2) | instskip(NEXT) | instid1(VALU_DEP_1)
	v_cmp_eq_u32_e64 s1, 0, v42
	v_cndmask_b32_e64 v42, v44, v43, s1
; %bb.546:                              ;   in Loop: Header=BB390_274 Depth=1
	s_or_b32 exec_lo, exec_lo, s9
	v_lshlrev_b32_e32 v13, 16, v13
	s_delay_alu instid0(VALU_DEP_1) | instskip(NEXT) | instid1(VALU_DEP_1)
	v_mul_f32_e32 v43, v29, v13
	v_and_b32_e32 v13, 0x7f800000, v43
	s_delay_alu instid0(VALU_DEP_1) | instskip(NEXT) | instid1(VALU_DEP_1)
	v_cmp_ne_u32_e64 s1, 0x7f800000, v13
                                        ; implicit-def: $vgpr13
	s_and_saveexec_b32 s9, s1
	s_delay_alu instid0(SALU_CYCLE_1)
	s_xor_b32 s1, exec_lo, s9
; %bb.547:                              ;   in Loop: Header=BB390_274 Depth=1
	v_bfe_u32 v13, v43, 16, 1
	s_delay_alu instid0(VALU_DEP_1)
	v_add3_u32 v13, v43, v13, 0x7fff
                                        ; implicit-def: $vgpr43
; %bb.548:                              ;   in Loop: Header=BB390_274 Depth=1
	s_and_not1_saveexec_b32 s9, s1
; %bb.549:                              ;   in Loop: Header=BB390_274 Depth=1
	v_and_b32_e32 v13, 0xffff, v43
	v_or_b32_e32 v44, 0x10000, v43
	s_delay_alu instid0(VALU_DEP_2) | instskip(NEXT) | instid1(VALU_DEP_1)
	v_cmp_eq_u32_e64 s1, 0, v13
	v_cndmask_b32_e64 v13, v44, v43, s1
; %bb.550:                              ;   in Loop: Header=BB390_274 Depth=1
	s_or_b32 exec_lo, exec_lo, s9
	v_lshlrev_b32_e32 v5, 16, v5
	s_delay_alu instid0(VALU_DEP_1) | instskip(NEXT) | instid1(VALU_DEP_1)
	v_mul_f32_e32 v43, v30, v5
	v_and_b32_e32 v5, 0x7f800000, v43
	s_delay_alu instid0(VALU_DEP_1) | instskip(NEXT) | instid1(VALU_DEP_1)
	v_cmp_ne_u32_e64 s1, 0x7f800000, v5
                                        ; implicit-def: $vgpr5
	s_and_saveexec_b32 s9, s1
	s_delay_alu instid0(SALU_CYCLE_1)
	s_xor_b32 s1, exec_lo, s9
; %bb.551:                              ;   in Loop: Header=BB390_274 Depth=1
	v_bfe_u32 v5, v43, 16, 1
	s_delay_alu instid0(VALU_DEP_1)
	v_add3_u32 v5, v43, v5, 0x7fff
                                        ; implicit-def: $vgpr43
; %bb.552:                              ;   in Loop: Header=BB390_274 Depth=1
	s_and_not1_saveexec_b32 s9, s1
; %bb.553:                              ;   in Loop: Header=BB390_274 Depth=1
	v_and_b32_e32 v5, 0xffff, v43
	v_or_b32_e32 v44, 0x10000, v43
	s_delay_alu instid0(VALU_DEP_2) | instskip(NEXT) | instid1(VALU_DEP_1)
	v_cmp_eq_u32_e64 s1, 0, v5
	v_cndmask_b32_e64 v5, v44, v43, s1
; %bb.554:                              ;   in Loop: Header=BB390_274 Depth=1
	s_or_b32 exec_lo, exec_lo, s9
	v_lshlrev_b32_e32 v3, 16, v3
	s_delay_alu instid0(VALU_DEP_1) | instskip(NEXT) | instid1(VALU_DEP_1)
	v_mul_f32_e32 v43, v31, v3
	v_and_b32_e32 v3, 0x7f800000, v43
	s_delay_alu instid0(VALU_DEP_1) | instskip(NEXT) | instid1(VALU_DEP_1)
	v_cmp_ne_u32_e64 s1, 0x7f800000, v3
                                        ; implicit-def: $vgpr3
	s_and_saveexec_b32 s9, s1
	s_delay_alu instid0(SALU_CYCLE_1)
	s_xor_b32 s1, exec_lo, s9
; %bb.555:                              ;   in Loop: Header=BB390_274 Depth=1
	v_bfe_u32 v3, v43, 16, 1
	s_delay_alu instid0(VALU_DEP_1)
	v_add3_u32 v3, v43, v3, 0x7fff
                                        ; implicit-def: $vgpr43
; %bb.556:                              ;   in Loop: Header=BB390_274 Depth=1
	s_and_not1_saveexec_b32 s9, s1
; %bb.557:                              ;   in Loop: Header=BB390_274 Depth=1
	v_and_b32_e32 v3, 0xffff, v43
	v_or_b32_e32 v44, 0x10000, v43
	s_delay_alu instid0(VALU_DEP_2) | instskip(NEXT) | instid1(VALU_DEP_1)
	v_cmp_eq_u32_e64 s1, 0, v3
	v_cndmask_b32_e64 v3, v44, v43, s1
; %bb.558:                              ;   in Loop: Header=BB390_274 Depth=1
	s_or_b32 exec_lo, exec_lo, s9
	v_and_b32_e32 v5, 0xffff0000, v5
	s_delay_alu instid0(VALU_DEP_2) | instskip(SKIP_3) | instid1(VALU_DEP_4)
	v_and_b32_e32 v3, 0xffff0000, v3
	v_and_b32_e32 v32, 0xffff0000, v32
	v_and_b32_e32 v41, 0xffff0000, v41
	v_and_b32_e32 v6, 0xffff0000, v6
	v_dual_add_f32 v3, v5, v3 :: v_dual_and_b32 v4, 0xffff0000, v4
	v_and_b32_e32 v40, 0xffff0000, v40
	v_and_b32_e32 v37, 0xffff0000, v37
	s_delay_alu instid0(VALU_DEP_3) | instskip(SKIP_1) | instid1(VALU_DEP_4)
	v_dual_add_f32 v4, v4, v6 :: v_dual_and_b32 v39, 0xffff0000, v39
	v_and_b32_e32 v34, 0xffff0000, v34
	v_add_f32_e32 v6, v40, v41
	s_delay_alu instid0(VALU_DEP_1) | instskip(NEXT) | instid1(VALU_DEP_1)
	v_dual_add_f32 v4, v4, v6 :: v_dual_and_b32 v33, 0xffff0000, v33
	v_dual_add_f32 v32, v32, v33 :: v_dual_and_b32 v35, 0xffff0000, v35
	v_and_b32_e32 v36, 0xffff0000, v36
	v_and_b32_e32 v13, 0xffff0000, v13
	s_delay_alu instid0(VALU_DEP_3) | instskip(NEXT) | instid1(VALU_DEP_1)
	v_dual_add_f32 v33, v34, v35 :: v_dual_and_b32 v34, 0xffff0000, v42
	v_add_f32_e32 v32, v32, v33
	s_delay_alu instid0(VALU_DEP_4) | instskip(NEXT) | instid1(VALU_DEP_3)
	v_dual_add_f32 v33, v36, v37 :: v_dual_and_b32 v38, 0xffff0000, v38
	v_add_f32_e32 v6, v34, v13
	s_delay_alu instid0(VALU_DEP_2) | instskip(NEXT) | instid1(VALU_DEP_1)
	v_dual_add_f32 v13, v32, v33 :: v_dual_add_f32 v32, v38, v39
	v_dual_add_f32 v4, v4, v6 :: v_dual_add_f32 v5, v13, v32
	s_delay_alu instid0(VALU_DEP_1) | instskip(NEXT) | instid1(VALU_DEP_1)
	v_add_f32_e32 v3, v4, v3
	v_dual_add_f32 v9, v9, v5 :: v_dual_add_f32 v10, v10, v3
	s_and_saveexec_b32 s9, vcc_lo
	s_cbranch_execz .LBB390_273
; %bb.559:                              ;   in Loop: Header=BB390_274 Depth=1
	v_add_co_u32 v1, s1, v1, v22
	s_delay_alu instid0(VALU_DEP_1)
	v_add_co_ci_u32_e64 v2, s1, 0, v2, s1
	s_mov_b32 s10, exec_lo
	v_mov_b32_e32 v3, 0
	global_load_b64 v[1:2], v[1:2], off
	s_waitcnt vmcnt(0)
	v_and_b32_e32 v4, 0xff, v1
	s_delay_alu instid0(VALU_DEP_1)
	v_cmpx_ne_u16_e32 0, v4
	s_cbranch_execz .LBB390_565
; %bb.560:                              ;   in Loop: Header=BB390_274 Depth=1
	v_bfrev_b32_e32 v3, 1
	s_mov_b32 s16, exec_lo
	v_cmpx_ne_u16_e32 0x80, v4
	s_cbranch_execz .LBB390_564
; %bb.561:                              ;   in Loop: Header=BB390_274 Depth=1
	v_and_b32_e32 v4, 0x7f, v1
	v_mov_b32_e32 v3, 0x7f800001
	s_mov_b32 s17, exec_lo
	s_delay_alu instid0(VALU_DEP_2)
	v_cmpx_ne_u32_e32 0x7f, v4
	s_cbranch_execz .LBB390_563
; %bb.562:                              ;   in Loop: Header=BB390_274 Depth=1
	v_and_b32_e32 v3, 7, v1
	v_lshrrev_b32_e32 v5, 3, v4
	v_cmp_gt_u32_e64 s1, 8, v4
	s_delay_alu instid0(VALU_DEP_3) | instskip(NEXT) | instid1(VALU_DEP_1)
	v_clz_i32_u32_e32 v3, v3
	v_min_u32_e32 v3, 32, v3
	s_delay_alu instid0(VALU_DEP_1) | instskip(SKIP_1) | instid1(VALU_DEP_1)
	v_subrev_nc_u32_e32 v6, 28, v3
	v_sub_nc_u32_e32 v3, 29, v3
	v_cndmask_b32_e64 v5, v5, v3, s1
	s_delay_alu instid0(VALU_DEP_3) | instskip(NEXT) | instid1(VALU_DEP_2)
	v_cndmask_b32_e64 v3, 0, v6, s1
	v_lshl_add_u32 v5, v5, 23, 0x3c000000
	s_delay_alu instid0(VALU_DEP_2) | instskip(SKIP_1) | instid1(VALU_DEP_2)
	v_lshlrev_b64 v[3:4], v3, v[1:2]
	v_lshlrev_b32_e32 v4, 24, v1
	v_lshlrev_b32_e32 v3, 20, v3
	s_delay_alu instid0(VALU_DEP_2) | instskip(NEXT) | instid1(VALU_DEP_2)
	v_and_b32_e32 v4, 0x80000000, v4
	v_and_b32_e32 v3, 0x700000, v3
	s_delay_alu instid0(VALU_DEP_1)
	v_or3_b32 v3, v3, v4, v5
.LBB390_563:                            ;   in Loop: Header=BB390_274 Depth=1
	s_or_b32 exec_lo, exec_lo, s17
.LBB390_564:                            ;   in Loop: Header=BB390_274 Depth=1
	s_delay_alu instid0(SALU_CYCLE_1)
	s_or_b32 exec_lo, exec_lo, s16
.LBB390_565:                            ;   in Loop: Header=BB390_274 Depth=1
	s_delay_alu instid0(SALU_CYCLE_1) | instskip(NEXT) | instid1(VALU_DEP_1)
	s_or_b32 exec_lo, exec_lo, s10
	v_mul_f32_e32 v3, s11, v3
                                        ; implicit-def: $vgpr5
	s_delay_alu instid0(VALU_DEP_1) | instskip(NEXT) | instid1(VALU_DEP_1)
	v_and_b32_e32 v4, 0x7f800000, v3
	v_cmp_ne_u32_e64 s1, 0x7f800000, v4
	s_delay_alu instid0(VALU_DEP_1) | instskip(NEXT) | instid1(SALU_CYCLE_1)
	s_and_saveexec_b32 s10, s1
	s_xor_b32 s1, exec_lo, s10
; %bb.566:                              ;   in Loop: Header=BB390_274 Depth=1
	v_bfe_u32 v4, v3, 16, 1
	s_delay_alu instid0(VALU_DEP_1)
	v_add3_u32 v5, v3, v4, 0x7fff
                                        ; implicit-def: $vgpr3
; %bb.567:                              ;   in Loop: Header=BB390_274 Depth=1
	s_and_not1_saveexec_b32 s10, s1
; %bb.568:                              ;   in Loop: Header=BB390_274 Depth=1
	v_and_b32_e32 v4, 0xffff, v3
	v_or_b32_e32 v5, 0x10000, v3
	s_delay_alu instid0(VALU_DEP_2) | instskip(NEXT) | instid1(VALU_DEP_1)
	v_cmp_eq_u32_e64 s1, 0, v4
	v_cndmask_b32_e64 v5, v5, v3, s1
; %bb.569:                              ;   in Loop: Header=BB390_274 Depth=1
	s_or_b32 exec_lo, exec_lo, s10
	v_lshrrev_b16 v4, 8, v1
	v_mov_b32_e32 v3, 0
	s_mov_b32 s10, exec_lo
	s_delay_alu instid0(VALU_DEP_2)
	v_cmpx_ne_u16_e32 0, v4
	s_cbranch_execz .LBB390_577
; %bb.570:                              ;   in Loop: Header=BB390_274 Depth=1
	v_bfrev_b32_e32 v3, 1
	s_mov_b32 s16, exec_lo
	v_cmpx_ne_u16_e32 0x80, v4
	s_cbranch_execz .LBB390_576
; %bb.571:                              ;   in Loop: Header=BB390_274 Depth=1
	v_and_b32_e32 v6, 0xffff, v4
	v_mov_b32_e32 v3, 0x7f800001
	s_mov_b32 s17, exec_lo
	s_delay_alu instid0(VALU_DEP_2) | instskip(NEXT) | instid1(VALU_DEP_1)
	v_and_b32_e32 v4, 0x7f, v6
	v_cmpx_ne_u32_e32 0x7f, v4
	s_cbranch_execz .LBB390_575
; %bb.572:                              ;   in Loop: Header=BB390_274 Depth=1
	v_and_b32_e32 v13, 7, v6
	v_lshrrev_b32_e32 v3, 3, v4
	s_mov_b32 s18, exec_lo
	v_cmpx_gt_u32_e32 8, v4
; %bb.573:                              ;   in Loop: Header=BB390_274 Depth=1
	s_delay_alu instid0(VALU_DEP_3) | instskip(NEXT) | instid1(VALU_DEP_1)
	v_clz_i32_u32_e32 v3, v13
	v_min_u32_e32 v3, 32, v3
	s_delay_alu instid0(VALU_DEP_1) | instskip(SKIP_1) | instid1(VALU_DEP_2)
	v_subrev_nc_u32_e32 v4, 28, v3
	v_sub_nc_u32_e32 v3, 29, v3
	v_lshlrev_b64 v[32:33], v4, v[13:14]
	s_delay_alu instid0(VALU_DEP_1)
	v_and_b32_e32 v13, 7, v32
; %bb.574:                              ;   in Loop: Header=BB390_274 Depth=1
	s_or_b32 exec_lo, exec_lo, s18
	v_lshlrev_b32_e32 v4, 16, v1
	s_delay_alu instid0(VALU_DEP_2) | instskip(SKIP_1) | instid1(VALU_DEP_3)
	v_lshlrev_b32_e32 v6, 20, v13
	v_lshl_add_u32 v3, v3, 23, 0x3c000000
	v_and_b32_e32 v4, 0x80000000, v4
	s_delay_alu instid0(VALU_DEP_1)
	v_or3_b32 v3, v6, v4, v3
.LBB390_575:                            ;   in Loop: Header=BB390_274 Depth=1
	s_or_b32 exec_lo, exec_lo, s17
.LBB390_576:                            ;   in Loop: Header=BB390_274 Depth=1
	s_delay_alu instid0(SALU_CYCLE_1)
	s_or_b32 exec_lo, exec_lo, s16
.LBB390_577:                            ;   in Loop: Header=BB390_274 Depth=1
	s_delay_alu instid0(SALU_CYCLE_1) | instskip(NEXT) | instid1(VALU_DEP_1)
	s_or_b32 exec_lo, exec_lo, s10
	v_mul_f32_e32 v3, s11, v3
                                        ; implicit-def: $vgpr6
	s_delay_alu instid0(VALU_DEP_1) | instskip(NEXT) | instid1(VALU_DEP_1)
	v_and_b32_e32 v4, 0x7f800000, v3
	v_cmp_ne_u32_e64 s1, 0x7f800000, v4
	s_delay_alu instid0(VALU_DEP_1) | instskip(NEXT) | instid1(SALU_CYCLE_1)
	s_and_saveexec_b32 s10, s1
	s_xor_b32 s1, exec_lo, s10
; %bb.578:                              ;   in Loop: Header=BB390_274 Depth=1
	v_bfe_u32 v4, v3, 16, 1
	s_delay_alu instid0(VALU_DEP_1)
	v_add3_u32 v6, v3, v4, 0x7fff
                                        ; implicit-def: $vgpr3
; %bb.579:                              ;   in Loop: Header=BB390_274 Depth=1
	s_and_not1_saveexec_b32 s10, s1
; %bb.580:                              ;   in Loop: Header=BB390_274 Depth=1
	v_and_b32_e32 v4, 0xffff, v3
	v_or_b32_e32 v6, 0x10000, v3
	s_delay_alu instid0(VALU_DEP_2) | instskip(NEXT) | instid1(VALU_DEP_1)
	v_cmp_eq_u32_e64 s1, 0, v4
	v_cndmask_b32_e64 v6, v6, v3, s1
; %bb.581:                              ;   in Loop: Header=BB390_274 Depth=1
	s_or_b32 exec_lo, exec_lo, s10
	v_lshrrev_b32_e32 v3, 16, v1
	s_mov_b32 s10, exec_lo
	s_delay_alu instid0(VALU_DEP_1) | instskip(NEXT) | instid1(VALU_DEP_1)
	v_dual_mov_b32 v4, 0 :: v_dual_and_b32 v13, 0xff, v3
	v_cmpx_ne_u16_e32 0, v13
	s_cbranch_execz .LBB390_589
; %bb.582:                              ;   in Loop: Header=BB390_274 Depth=1
	v_bfrev_b32_e32 v4, 1
	s_mov_b32 s16, exec_lo
	v_cmpx_ne_u16_e32 0x80, v13
	s_cbranch_execz .LBB390_588
; %bb.583:                              ;   in Loop: Header=BB390_274 Depth=1
	v_bfe_u32 v32, v1, 16, 7
	v_mov_b32_e32 v4, 0x7f800001
	s_mov_b32 s17, exec_lo
	s_delay_alu instid0(VALU_DEP_2)
	v_cmpx_ne_u32_e32 0x7f, v32
	s_cbranch_execz .LBB390_587
; %bb.584:                              ;   in Loop: Header=BB390_274 Depth=1
	v_and_b32_e32 v13, 7, v3
	v_lshrrev_b32_e32 v4, 3, v32
	s_mov_b32 s18, exec_lo
	v_cmpx_gt_u32_e32 8, v32
; %bb.585:                              ;   in Loop: Header=BB390_274 Depth=1
	s_delay_alu instid0(VALU_DEP_3) | instskip(NEXT) | instid1(VALU_DEP_1)
	v_clz_i32_u32_e32 v4, v13
	v_min_u32_e32 v4, 32, v4
	s_delay_alu instid0(VALU_DEP_1) | instskip(SKIP_1) | instid1(VALU_DEP_2)
	v_subrev_nc_u32_e32 v32, 28, v4
	v_sub_nc_u32_e32 v4, 29, v4
	v_lshlrev_b64 v[32:33], v32, v[13:14]
	s_delay_alu instid0(VALU_DEP_1)
	v_and_b32_e32 v13, 7, v32
; %bb.586:                              ;   in Loop: Header=BB390_274 Depth=1
	s_or_b32 exec_lo, exec_lo, s18
	v_lshlrev_b32_e32 v3, 24, v3
	s_delay_alu instid0(VALU_DEP_2) | instskip(SKIP_1) | instid1(VALU_DEP_3)
	v_lshlrev_b32_e32 v13, 20, v13
	v_lshl_add_u32 v4, v4, 23, 0x3c000000
	v_and_b32_e32 v3, 0x80000000, v3
	s_delay_alu instid0(VALU_DEP_1)
	v_or3_b32 v4, v13, v3, v4
.LBB390_587:                            ;   in Loop: Header=BB390_274 Depth=1
	s_or_b32 exec_lo, exec_lo, s17
.LBB390_588:                            ;   in Loop: Header=BB390_274 Depth=1
	s_delay_alu instid0(SALU_CYCLE_1)
	s_or_b32 exec_lo, exec_lo, s16
.LBB390_589:                            ;   in Loop: Header=BB390_274 Depth=1
	s_delay_alu instid0(SALU_CYCLE_1) | instskip(NEXT) | instid1(VALU_DEP_1)
	s_or_b32 exec_lo, exec_lo, s10
	v_mul_f32_e32 v3, s11, v4
                                        ; implicit-def: $vgpr32
	s_delay_alu instid0(VALU_DEP_1) | instskip(NEXT) | instid1(VALU_DEP_1)
	v_and_b32_e32 v4, 0x7f800000, v3
	v_cmp_ne_u32_e64 s1, 0x7f800000, v4
	s_delay_alu instid0(VALU_DEP_1) | instskip(NEXT) | instid1(SALU_CYCLE_1)
	s_and_saveexec_b32 s10, s1
	s_xor_b32 s1, exec_lo, s10
; %bb.590:                              ;   in Loop: Header=BB390_274 Depth=1
	v_bfe_u32 v4, v3, 16, 1
	s_delay_alu instid0(VALU_DEP_1)
	v_add3_u32 v32, v3, v4, 0x7fff
                                        ; implicit-def: $vgpr3
; %bb.591:                              ;   in Loop: Header=BB390_274 Depth=1
	s_and_not1_saveexec_b32 s10, s1
; %bb.592:                              ;   in Loop: Header=BB390_274 Depth=1
	v_and_b32_e32 v4, 0xffff, v3
	v_or_b32_e32 v13, 0x10000, v3
	s_delay_alu instid0(VALU_DEP_2) | instskip(NEXT) | instid1(VALU_DEP_1)
	v_cmp_eq_u32_e64 s1, 0, v4
	v_cndmask_b32_e64 v32, v13, v3, s1
; %bb.593:                              ;   in Loop: Header=BB390_274 Depth=1
	s_or_b32 exec_lo, exec_lo, s10
	v_mov_b32_e32 v4, 0
	s_mov_b32 s10, exec_lo
	v_cmpx_lt_u32_e32 0xffffff, v1
	s_cbranch_execz .LBB390_601
; %bb.594:                              ;   in Loop: Header=BB390_274 Depth=1
	v_lshrrev_b32_e32 v3, 24, v1
	v_bfrev_b32_e32 v4, 1
	s_mov_b32 s16, exec_lo
	s_delay_alu instid0(VALU_DEP_2)
	v_cmpx_ne_u32_e32 0x80, v3
	s_cbranch_execz .LBB390_600
; %bb.595:                              ;   in Loop: Header=BB390_274 Depth=1
	v_bfe_u32 v33, v1, 24, 7
	v_mov_b32_e32 v4, 0x7f800001
	s_mov_b32 s17, exec_lo
	s_delay_alu instid0(VALU_DEP_2)
	v_cmpx_ne_u32_e32 0x7f, v33
	s_cbranch_execz .LBB390_599
; %bb.596:                              ;   in Loop: Header=BB390_274 Depth=1
	v_and_b32_e32 v13, 7, v3
	v_lshrrev_b32_e32 v4, 3, v33
	s_mov_b32 s18, exec_lo
	v_cmpx_gt_u32_e32 8, v33
; %bb.597:                              ;   in Loop: Header=BB390_274 Depth=1
	s_delay_alu instid0(VALU_DEP_3) | instskip(NEXT) | instid1(VALU_DEP_1)
	v_clz_i32_u32_e32 v4, v13
	v_min_u32_e32 v4, 32, v4
	s_delay_alu instid0(VALU_DEP_1) | instskip(SKIP_1) | instid1(VALU_DEP_2)
	v_subrev_nc_u32_e32 v33, 28, v4
	v_sub_nc_u32_e32 v4, 29, v4
	v_lshlrev_b64 v[33:34], v33, v[13:14]
	s_delay_alu instid0(VALU_DEP_1)
	v_and_b32_e32 v13, 7, v33
; %bb.598:                              ;   in Loop: Header=BB390_274 Depth=1
	s_or_b32 exec_lo, exec_lo, s18
	v_lshlrev_b32_e32 v3, 24, v3
	s_delay_alu instid0(VALU_DEP_2) | instskip(SKIP_1) | instid1(VALU_DEP_3)
	v_lshlrev_b32_e32 v13, 20, v13
	v_lshl_add_u32 v4, v4, 23, 0x3c000000
	v_and_b32_e32 v3, 0x80000000, v3
	s_delay_alu instid0(VALU_DEP_1)
	v_or3_b32 v4, v13, v3, v4
.LBB390_599:                            ;   in Loop: Header=BB390_274 Depth=1
	s_or_b32 exec_lo, exec_lo, s17
.LBB390_600:                            ;   in Loop: Header=BB390_274 Depth=1
	s_delay_alu instid0(SALU_CYCLE_1)
	s_or_b32 exec_lo, exec_lo, s16
.LBB390_601:                            ;   in Loop: Header=BB390_274 Depth=1
	s_delay_alu instid0(SALU_CYCLE_1) | instskip(NEXT) | instid1(VALU_DEP_1)
	s_or_b32 exec_lo, exec_lo, s10
	v_mul_f32_e32 v3, s11, v4
                                        ; implicit-def: $vgpr33
	s_delay_alu instid0(VALU_DEP_1) | instskip(NEXT) | instid1(VALU_DEP_1)
	v_and_b32_e32 v4, 0x7f800000, v3
	v_cmp_ne_u32_e64 s1, 0x7f800000, v4
	s_delay_alu instid0(VALU_DEP_1) | instskip(NEXT) | instid1(SALU_CYCLE_1)
	s_and_saveexec_b32 s10, s1
	s_xor_b32 s1, exec_lo, s10
; %bb.602:                              ;   in Loop: Header=BB390_274 Depth=1
	v_bfe_u32 v4, v3, 16, 1
	s_delay_alu instid0(VALU_DEP_1)
	v_add3_u32 v33, v3, v4, 0x7fff
                                        ; implicit-def: $vgpr3
; %bb.603:                              ;   in Loop: Header=BB390_274 Depth=1
	s_and_not1_saveexec_b32 s10, s1
; %bb.604:                              ;   in Loop: Header=BB390_274 Depth=1
	v_and_b32_e32 v4, 0xffff, v3
	v_or_b32_e32 v13, 0x10000, v3
	s_delay_alu instid0(VALU_DEP_2) | instskip(NEXT) | instid1(VALU_DEP_1)
	v_cmp_eq_u32_e64 s1, 0, v4
	v_cndmask_b32_e64 v33, v13, v3, s1
; %bb.605:                              ;   in Loop: Header=BB390_274 Depth=1
	s_or_b32 exec_lo, exec_lo, s10
	v_dual_mov_b32 v13, v2 :: v_dual_and_b32 v4, 0xff, v2
	v_mov_b32_e32 v3, 0
	s_mov_b32 s10, exec_lo
	s_delay_alu instid0(VALU_DEP_2)
	v_cmpx_ne_u16_e32 0, v4
	s_cbranch_execz .LBB390_611
; %bb.606:                              ;   in Loop: Header=BB390_274 Depth=1
	v_bfrev_b32_e32 v3, 1
	s_mov_b32 s16, exec_lo
	v_cmpx_ne_u16_e32 0x80, v4
	s_cbranch_execz .LBB390_610
; %bb.607:                              ;   in Loop: Header=BB390_274 Depth=1
	v_and_b32_e32 v4, 0x7f, v2
	v_mov_b32_e32 v3, 0x7f800001
	s_mov_b32 s17, exec_lo
	s_delay_alu instid0(VALU_DEP_2)
	v_cmpx_ne_u32_e32 0x7f, v4
	s_cbranch_execz .LBB390_609
; %bb.608:                              ;   in Loop: Header=BB390_274 Depth=1
	v_and_b32_e32 v3, 7, v2
	v_lshrrev_b32_e32 v34, 3, v4
	v_cmp_gt_u32_e64 s1, 8, v4
	s_delay_alu instid0(VALU_DEP_3) | instskip(NEXT) | instid1(VALU_DEP_1)
	v_clz_i32_u32_e32 v3, v3
	v_min_u32_e32 v3, 32, v3
	s_delay_alu instid0(VALU_DEP_1) | instskip(SKIP_1) | instid1(VALU_DEP_1)
	v_subrev_nc_u32_e32 v35, 28, v3
	v_sub_nc_u32_e32 v3, 29, v3
	v_cndmask_b32_e64 v34, v34, v3, s1
	s_delay_alu instid0(VALU_DEP_3) | instskip(NEXT) | instid1(VALU_DEP_2)
	v_cndmask_b32_e64 v3, 0, v35, s1
	v_lshl_add_u32 v34, v34, 23, 0x3c000000
	s_delay_alu instid0(VALU_DEP_2) | instskip(SKIP_1) | instid1(VALU_DEP_2)
	v_lshlrev_b64 v[3:4], v3, v[13:14]
	v_lshlrev_b32_e32 v4, 24, v13
	v_lshlrev_b32_e32 v3, 20, v3
	s_delay_alu instid0(VALU_DEP_2) | instskip(NEXT) | instid1(VALU_DEP_2)
	v_and_b32_e32 v4, 0x80000000, v4
	v_and_b32_e32 v3, 0x700000, v3
	s_delay_alu instid0(VALU_DEP_1)
	v_or3_b32 v3, v3, v4, v34
.LBB390_609:                            ;   in Loop: Header=BB390_274 Depth=1
	s_or_b32 exec_lo, exec_lo, s17
.LBB390_610:                            ;   in Loop: Header=BB390_274 Depth=1
	s_delay_alu instid0(SALU_CYCLE_1)
	s_or_b32 exec_lo, exec_lo, s16
.LBB390_611:                            ;   in Loop: Header=BB390_274 Depth=1
	s_delay_alu instid0(SALU_CYCLE_1) | instskip(NEXT) | instid1(VALU_DEP_1)
	s_or_b32 exec_lo, exec_lo, s10
	v_mul_f32_e32 v3, s11, v3
                                        ; implicit-def: $vgpr34
	s_delay_alu instid0(VALU_DEP_1) | instskip(NEXT) | instid1(VALU_DEP_1)
	v_and_b32_e32 v4, 0x7f800000, v3
	v_cmp_ne_u32_e64 s1, 0x7f800000, v4
	s_delay_alu instid0(VALU_DEP_1) | instskip(NEXT) | instid1(SALU_CYCLE_1)
	s_and_saveexec_b32 s10, s1
	s_xor_b32 s1, exec_lo, s10
; %bb.612:                              ;   in Loop: Header=BB390_274 Depth=1
	v_bfe_u32 v4, v3, 16, 1
	s_delay_alu instid0(VALU_DEP_1)
	v_add3_u32 v34, v3, v4, 0x7fff
                                        ; implicit-def: $vgpr3
; %bb.613:                              ;   in Loop: Header=BB390_274 Depth=1
	s_and_not1_saveexec_b32 s10, s1
; %bb.614:                              ;   in Loop: Header=BB390_274 Depth=1
	v_and_b32_e32 v4, 0xffff, v3
	v_or_b32_e32 v34, 0x10000, v3
	s_delay_alu instid0(VALU_DEP_2) | instskip(NEXT) | instid1(VALU_DEP_1)
	v_cmp_eq_u32_e64 s1, 0, v4
	v_cndmask_b32_e64 v34, v34, v3, s1
; %bb.615:                              ;   in Loop: Header=BB390_274 Depth=1
	s_or_b32 exec_lo, exec_lo, s10
	v_lshrrev_b16 v4, 8, v13
	v_mov_b32_e32 v3, 0
	s_mov_b32 s10, exec_lo
	s_delay_alu instid0(VALU_DEP_2)
	v_cmpx_ne_u16_e32 0, v4
	s_cbranch_execz .LBB390_623
; %bb.616:                              ;   in Loop: Header=BB390_274 Depth=1
	v_bfrev_b32_e32 v3, 1
	s_mov_b32 s16, exec_lo
	v_cmpx_ne_u16_e32 0x80, v4
	s_cbranch_execz .LBB390_622
; %bb.617:                              ;   in Loop: Header=BB390_274 Depth=1
	v_and_b32_e32 v4, 0xffff, v4
	v_mov_b32_e32 v3, 0x7f800001
	s_mov_b32 s17, exec_lo
	s_delay_alu instid0(VALU_DEP_2) | instskip(NEXT) | instid1(VALU_DEP_1)
	v_and_b32_e32 v36, 0x7f, v4
	v_cmpx_ne_u32_e32 0x7f, v36
	s_cbranch_execz .LBB390_621
; %bb.618:                              ;   in Loop: Header=BB390_274 Depth=1
	v_dual_mov_b32 v4, v14 :: v_dual_and_b32 v3, 7, v4
	v_lshrrev_b32_e32 v35, 3, v36
	s_mov_b32 s18, exec_lo
	v_cmpx_gt_u32_e32 8, v36
; %bb.619:                              ;   in Loop: Header=BB390_274 Depth=1
	s_delay_alu instid0(VALU_DEP_3) | instskip(NEXT) | instid1(VALU_DEP_1)
	v_clz_i32_u32_e32 v35, v3
	v_min_u32_e32 v35, 32, v35
	s_delay_alu instid0(VALU_DEP_1) | instskip(SKIP_1) | instid1(VALU_DEP_2)
	v_subrev_nc_u32_e32 v36, 28, v35
	v_sub_nc_u32_e32 v35, 29, v35
	v_lshlrev_b64 v[3:4], v36, v[3:4]
	s_delay_alu instid0(VALU_DEP_1)
	v_and_b32_e32 v3, 7, v3
; %bb.620:                              ;   in Loop: Header=BB390_274 Depth=1
	s_or_b32 exec_lo, exec_lo, s18
	v_lshlrev_b32_e32 v4, 16, v13
	s_delay_alu instid0(VALU_DEP_2) | instskip(SKIP_1) | instid1(VALU_DEP_3)
	v_lshlrev_b32_e32 v3, 20, v3
	v_lshl_add_u32 v13, v35, 23, 0x3c000000
	v_and_b32_e32 v4, 0x80000000, v4
	s_delay_alu instid0(VALU_DEP_1)
	v_or3_b32 v3, v3, v4, v13
.LBB390_621:                            ;   in Loop: Header=BB390_274 Depth=1
	s_or_b32 exec_lo, exec_lo, s17
.LBB390_622:                            ;   in Loop: Header=BB390_274 Depth=1
	s_delay_alu instid0(SALU_CYCLE_1)
	s_or_b32 exec_lo, exec_lo, s16
.LBB390_623:                            ;   in Loop: Header=BB390_274 Depth=1
	s_delay_alu instid0(SALU_CYCLE_1) | instskip(NEXT) | instid1(VALU_DEP_1)
	s_or_b32 exec_lo, exec_lo, s10
	v_mul_f32_e32 v4, s11, v3
	s_delay_alu instid0(VALU_DEP_1) | instskip(NEXT) | instid1(VALU_DEP_1)
	v_and_b32_e32 v3, 0x7f800000, v4
	v_cmp_ne_u32_e64 s1, 0x7f800000, v3
                                        ; implicit-def: $vgpr3
	s_delay_alu instid0(VALU_DEP_1) | instskip(NEXT) | instid1(SALU_CYCLE_1)
	s_and_saveexec_b32 s10, s1
	s_xor_b32 s1, exec_lo, s10
; %bb.624:                              ;   in Loop: Header=BB390_274 Depth=1
	v_bfe_u32 v3, v4, 16, 1
	s_delay_alu instid0(VALU_DEP_1)
	v_add3_u32 v3, v4, v3, 0x7fff
                                        ; implicit-def: $vgpr4
; %bb.625:                              ;   in Loop: Header=BB390_274 Depth=1
	s_and_not1_saveexec_b32 s10, s1
; %bb.626:                              ;   in Loop: Header=BB390_274 Depth=1
	v_and_b32_e32 v3, 0xffff, v4
	v_or_b32_e32 v13, 0x10000, v4
	s_delay_alu instid0(VALU_DEP_2) | instskip(NEXT) | instid1(VALU_DEP_1)
	v_cmp_eq_u32_e64 s1, 0, v3
	v_cndmask_b32_e64 v3, v13, v4, s1
; %bb.627:                              ;   in Loop: Header=BB390_274 Depth=1
	s_or_b32 exec_lo, exec_lo, s10
	v_lshrrev_b32_e32 v4, 16, v2
	v_mov_b32_e32 v13, 0
	s_mov_b32 s10, exec_lo
	s_delay_alu instid0(VALU_DEP_2) | instskip(NEXT) | instid1(VALU_DEP_1)
	v_and_b32_e32 v35, 0xff, v4
	v_cmpx_ne_u16_e32 0, v35
	s_cbranch_execz .LBB390_635
; %bb.628:                              ;   in Loop: Header=BB390_274 Depth=1
	v_bfrev_b32_e32 v13, 1
	s_mov_b32 s16, exec_lo
	v_cmpx_ne_u16_e32 0x80, v35
	s_cbranch_execz .LBB390_634
; %bb.629:                              ;   in Loop: Header=BB390_274 Depth=1
	v_bfe_u32 v36, v2, 16, 7
	v_mov_b32_e32 v13, 0x7f800001
	s_mov_b32 s17, exec_lo
	s_delay_alu instid0(VALU_DEP_2)
	v_cmpx_ne_u32_e32 0x7f, v36
	s_cbranch_execz .LBB390_633
; %bb.630:                              ;   in Loop: Header=BB390_274 Depth=1
	v_and_b32_e32 v13, 7, v4
	v_lshrrev_b32_e32 v35, 3, v36
	s_mov_b32 s18, exec_lo
	v_cmpx_gt_u32_e32 8, v36
; %bb.631:                              ;   in Loop: Header=BB390_274 Depth=1
	s_delay_alu instid0(VALU_DEP_3) | instskip(NEXT) | instid1(VALU_DEP_1)
	v_clz_i32_u32_e32 v35, v13
	v_min_u32_e32 v35, 32, v35
	s_delay_alu instid0(VALU_DEP_1) | instskip(SKIP_1) | instid1(VALU_DEP_2)
	v_subrev_nc_u32_e32 v36, 28, v35
	v_sub_nc_u32_e32 v35, 29, v35
	v_lshlrev_b64 v[36:37], v36, v[13:14]
	s_delay_alu instid0(VALU_DEP_1)
	v_and_b32_e32 v13, 7, v36
; %bb.632:                              ;   in Loop: Header=BB390_274 Depth=1
	s_or_b32 exec_lo, exec_lo, s18
	v_lshlrev_b32_e32 v4, 24, v4
	s_delay_alu instid0(VALU_DEP_2) | instskip(SKIP_1) | instid1(VALU_DEP_3)
	v_lshlrev_b32_e32 v13, 20, v13
	v_lshl_add_u32 v35, v35, 23, 0x3c000000
	v_and_b32_e32 v4, 0x80000000, v4
	s_delay_alu instid0(VALU_DEP_1)
	v_or3_b32 v13, v13, v4, v35
.LBB390_633:                            ;   in Loop: Header=BB390_274 Depth=1
	s_or_b32 exec_lo, exec_lo, s17
.LBB390_634:                            ;   in Loop: Header=BB390_274 Depth=1
	s_delay_alu instid0(SALU_CYCLE_1)
	s_or_b32 exec_lo, exec_lo, s16
.LBB390_635:                            ;   in Loop: Header=BB390_274 Depth=1
	s_delay_alu instid0(SALU_CYCLE_1) | instskip(NEXT) | instid1(VALU_DEP_1)
	s_or_b32 exec_lo, exec_lo, s10
	v_mul_f32_e32 v4, s11, v13
                                        ; implicit-def: $vgpr35
	s_delay_alu instid0(VALU_DEP_1) | instskip(NEXT) | instid1(VALU_DEP_1)
	v_and_b32_e32 v13, 0x7f800000, v4
	v_cmp_ne_u32_e64 s1, 0x7f800000, v13
	s_delay_alu instid0(VALU_DEP_1) | instskip(NEXT) | instid1(SALU_CYCLE_1)
	s_and_saveexec_b32 s10, s1
	s_xor_b32 s1, exec_lo, s10
; %bb.636:                              ;   in Loop: Header=BB390_274 Depth=1
	v_bfe_u32 v13, v4, 16, 1
	s_delay_alu instid0(VALU_DEP_1)
	v_add3_u32 v35, v4, v13, 0x7fff
                                        ; implicit-def: $vgpr4
; %bb.637:                              ;   in Loop: Header=BB390_274 Depth=1
	s_and_not1_saveexec_b32 s10, s1
; %bb.638:                              ;   in Loop: Header=BB390_274 Depth=1
	v_and_b32_e32 v13, 0xffff, v4
	v_or_b32_e32 v35, 0x10000, v4
	s_delay_alu instid0(VALU_DEP_2) | instskip(NEXT) | instid1(VALU_DEP_1)
	v_cmp_eq_u32_e64 s1, 0, v13
	v_cndmask_b32_e64 v35, v35, v4, s1
; %bb.639:                              ;   in Loop: Header=BB390_274 Depth=1
	s_or_b32 exec_lo, exec_lo, s10
	v_mov_b32_e32 v4, 0
	s_mov_b32 s10, exec_lo
	v_cmpx_lt_u64_e64 s[12:13], v[1:2]
	s_cbranch_execz .LBB390_647
; %bb.640:                              ;   in Loop: Header=BB390_274 Depth=1
	v_lshrrev_b32_e32 v1, 24, v2
	v_bfrev_b32_e32 v4, 1
	s_mov_b32 s16, exec_lo
	s_delay_alu instid0(VALU_DEP_2)
	v_cmpx_ne_u32_e32 0x80, v1
	s_cbranch_execz .LBB390_646
; %bb.641:                              ;   in Loop: Header=BB390_274 Depth=1
	v_bfe_u32 v36, v2, 24, 7
	v_mov_b32_e32 v4, 0x7f800001
	s_mov_b32 s17, exec_lo
	s_delay_alu instid0(VALU_DEP_2)
	v_cmpx_ne_u32_e32 0x7f, v36
	s_cbranch_execz .LBB390_645
; %bb.642:                              ;   in Loop: Header=BB390_274 Depth=1
	v_and_b32_e32 v13, 7, v1
	v_lshrrev_b32_e32 v2, 3, v36
	s_mov_b32 s18, exec_lo
	v_cmpx_gt_u32_e32 8, v36
; %bb.643:                              ;   in Loop: Header=BB390_274 Depth=1
	s_delay_alu instid0(VALU_DEP_3) | instskip(NEXT) | instid1(VALU_DEP_1)
	v_clz_i32_u32_e32 v2, v13
	v_min_u32_e32 v2, 32, v2
	s_delay_alu instid0(VALU_DEP_1) | instskip(SKIP_1) | instid1(VALU_DEP_2)
	v_subrev_nc_u32_e32 v4, 28, v2
	v_sub_nc_u32_e32 v2, 29, v2
	v_lshlrev_b64 v[36:37], v4, v[13:14]
	s_delay_alu instid0(VALU_DEP_1)
	v_and_b32_e32 v13, 7, v36
; %bb.644:                              ;   in Loop: Header=BB390_274 Depth=1
	s_or_b32 exec_lo, exec_lo, s18
	v_lshlrev_b32_e32 v1, 24, v1
	s_delay_alu instid0(VALU_DEP_2) | instskip(SKIP_1) | instid1(VALU_DEP_3)
	v_lshlrev_b32_e32 v4, 20, v13
	v_lshl_add_u32 v2, v2, 23, 0x3c000000
	v_and_b32_e32 v1, 0x80000000, v1
	s_delay_alu instid0(VALU_DEP_1)
	v_or3_b32 v4, v4, v1, v2
.LBB390_645:                            ;   in Loop: Header=BB390_274 Depth=1
	s_or_b32 exec_lo, exec_lo, s17
.LBB390_646:                            ;   in Loop: Header=BB390_274 Depth=1
	s_delay_alu instid0(SALU_CYCLE_1)
	s_or_b32 exec_lo, exec_lo, s16
.LBB390_647:                            ;   in Loop: Header=BB390_274 Depth=1
	s_delay_alu instid0(SALU_CYCLE_1) | instskip(NEXT) | instid1(VALU_DEP_1)
	s_or_b32 exec_lo, exec_lo, s10
	v_mul_f32_e32 v2, s11, v4
	s_delay_alu instid0(VALU_DEP_1) | instskip(NEXT) | instid1(VALU_DEP_1)
	v_and_b32_e32 v1, 0x7f800000, v2
	v_cmp_ne_u32_e64 s1, 0x7f800000, v1
                                        ; implicit-def: $vgpr1
	s_delay_alu instid0(VALU_DEP_1) | instskip(NEXT) | instid1(SALU_CYCLE_1)
	s_and_saveexec_b32 s10, s1
	s_xor_b32 s1, exec_lo, s10
; %bb.648:                              ;   in Loop: Header=BB390_274 Depth=1
	v_bfe_u32 v1, v2, 16, 1
	s_delay_alu instid0(VALU_DEP_1)
	v_add3_u32 v1, v2, v1, 0x7fff
                                        ; implicit-def: $vgpr2
; %bb.649:                              ;   in Loop: Header=BB390_274 Depth=1
	s_and_not1_saveexec_b32 s10, s1
; %bb.650:                              ;   in Loop: Header=BB390_274 Depth=1
	v_and_b32_e32 v1, 0xffff, v2
	v_or_b32_e32 v4, 0x10000, v2
	s_delay_alu instid0(VALU_DEP_2) | instskip(NEXT) | instid1(VALU_DEP_1)
	v_cmp_eq_u32_e64 s1, 0, v1
	v_cndmask_b32_e64 v1, v4, v2, s1
; %bb.651:                              ;   in Loop: Header=BB390_274 Depth=1
	s_or_b32 exec_lo, exec_lo, s10
	v_lshrrev_b32_e32 v4, 16, v3
	v_lshrrev_b32_e32 v13, 16, v34
	;; [unrolled: 1-line block ×8, first 2 shown]
	s_and_saveexec_b32 s1, s0
	s_cbranch_execz .LBB390_653
; %bb.652:                              ;   in Loop: Header=BB390_274 Depth=1
	v_add_nc_u32_e32 v5, -6, v23
	v_cmp_gt_i32_e64 s0, s15, v7
	v_add_nc_u32_e32 v34, -5, v23
	v_add_nc_u32_e32 v7, -3, v23
	s_delay_alu instid0(VALU_DEP_3) | instskip(SKIP_2) | instid1(VALU_DEP_2)
	v_cndmask_b32_e64 v3, 0, v3, s0
	v_cmp_gt_i32_e64 s0, s15, v5
	v_add_nc_u32_e32 v5, -4, v23
	v_cndmask_b32_e64 v6, 0, v6, s0
	v_cmp_gt_i32_e64 s0, s15, v34
	v_add_nc_u32_e32 v34, -2, v23
	s_delay_alu instid0(VALU_DEP_2) | instskip(SKIP_2) | instid1(VALU_DEP_2)
	v_cndmask_b32_e64 v32, 0, v32, s0
	v_cmp_gt_i32_e64 s0, s15, v5
	v_add_nc_u32_e32 v5, -1, v23
	v_cndmask_b32_e64 v33, 0, v33, s0
	v_cmp_gt_i32_e64 s0, s15, v7
	s_delay_alu instid0(VALU_DEP_1) | instskip(SKIP_1) | instid1(VALU_DEP_1)
	v_cndmask_b32_e64 v13, 0, v13, s0
	v_cmp_gt_i32_e64 s0, s15, v34
	v_cndmask_b32_e64 v4, 0, v4, s0
	v_cmp_gt_i32_e64 s0, s15, v5
	s_delay_alu instid0(VALU_DEP_1) | instskip(SKIP_1) | instid1(VALU_DEP_1)
	v_cndmask_b32_e64 v2, 0, v2, s0
	v_cmp_gt_i32_e64 s0, s15, v23
	v_cndmask_b32_e64 v1, 0, v1, s0
.LBB390_653:                            ;   in Loop: Header=BB390_274 Depth=1
	s_or_b32 exec_lo, exec_lo, s1
	v_lshlrev_b32_e32 v3, 16, v3
	s_delay_alu instid0(VALU_DEP_1) | instskip(NEXT) | instid1(VALU_DEP_1)
	v_mul_f32_e32 v5, v8, v3
	v_and_b32_e32 v3, 0x7f800000, v5
	s_delay_alu instid0(VALU_DEP_1) | instskip(NEXT) | instid1(VALU_DEP_1)
	v_cmp_ne_u32_e64 s0, 0x7f800000, v3
                                        ; implicit-def: $vgpr3
	s_and_saveexec_b32 s1, s0
	s_delay_alu instid0(SALU_CYCLE_1)
	s_xor_b32 s0, exec_lo, s1
; %bb.654:                              ;   in Loop: Header=BB390_274 Depth=1
	v_bfe_u32 v3, v5, 16, 1
	s_delay_alu instid0(VALU_DEP_1)
	v_add3_u32 v3, v5, v3, 0x7fff
                                        ; implicit-def: $vgpr5
; %bb.655:                              ;   in Loop: Header=BB390_274 Depth=1
	s_and_not1_saveexec_b32 s1, s0
; %bb.656:                              ;   in Loop: Header=BB390_274 Depth=1
	v_and_b32_e32 v3, 0xffff, v5
	v_or_b32_e32 v7, 0x10000, v5
	s_delay_alu instid0(VALU_DEP_2) | instskip(NEXT) | instid1(VALU_DEP_1)
	v_cmp_eq_u32_e64 s0, 0, v3
	v_cndmask_b32_e64 v3, v7, v5, s0
; %bb.657:                              ;   in Loop: Header=BB390_274 Depth=1
	s_or_b32 exec_lo, exec_lo, s1
	v_lshlrev_b32_e32 v5, 16, v6
	s_delay_alu instid0(VALU_DEP_1) | instskip(NEXT) | instid1(VALU_DEP_1)
	v_mul_f32_e32 v6, v25, v5
	v_and_b32_e32 v5, 0x7f800000, v6
	s_delay_alu instid0(VALU_DEP_1) | instskip(NEXT) | instid1(VALU_DEP_1)
	v_cmp_ne_u32_e64 s0, 0x7f800000, v5
                                        ; implicit-def: $vgpr5
	s_and_saveexec_b32 s1, s0
	s_delay_alu instid0(SALU_CYCLE_1)
	s_xor_b32 s0, exec_lo, s1
; %bb.658:                              ;   in Loop: Header=BB390_274 Depth=1
	v_bfe_u32 v5, v6, 16, 1
	s_delay_alu instid0(VALU_DEP_1)
	v_add3_u32 v5, v6, v5, 0x7fff
                                        ; implicit-def: $vgpr6
; %bb.659:                              ;   in Loop: Header=BB390_274 Depth=1
	s_and_not1_saveexec_b32 s1, s0
; %bb.660:                              ;   in Loop: Header=BB390_274 Depth=1
	v_and_b32_e32 v5, 0xffff, v6
	v_or_b32_e32 v7, 0x10000, v6
	s_delay_alu instid0(VALU_DEP_2) | instskip(NEXT) | instid1(VALU_DEP_1)
	v_cmp_eq_u32_e64 s0, 0, v5
	v_cndmask_b32_e64 v5, v7, v6, s0
; %bb.661:                              ;   in Loop: Header=BB390_274 Depth=1
	s_or_b32 exec_lo, exec_lo, s1
	v_lshlrev_b32_e32 v6, 16, v32
	s_delay_alu instid0(VALU_DEP_1) | instskip(NEXT) | instid1(VALU_DEP_1)
	v_mul_f32_e32 v7, v26, v6
	v_and_b32_e32 v6, 0x7f800000, v7
	s_delay_alu instid0(VALU_DEP_1) | instskip(NEXT) | instid1(VALU_DEP_1)
	v_cmp_ne_u32_e64 s0, 0x7f800000, v6
                                        ; implicit-def: $vgpr6
	s_and_saveexec_b32 s1, s0
	s_delay_alu instid0(SALU_CYCLE_1)
	s_xor_b32 s0, exec_lo, s1
; %bb.662:                              ;   in Loop: Header=BB390_274 Depth=1
	v_bfe_u32 v6, v7, 16, 1
	s_delay_alu instid0(VALU_DEP_1)
	v_add3_u32 v6, v7, v6, 0x7fff
                                        ; implicit-def: $vgpr7
; %bb.663:                              ;   in Loop: Header=BB390_274 Depth=1
	s_and_not1_saveexec_b32 s1, s0
; %bb.664:                              ;   in Loop: Header=BB390_274 Depth=1
	v_and_b32_e32 v6, 0xffff, v7
	v_or_b32_e32 v8, 0x10000, v7
	s_delay_alu instid0(VALU_DEP_2) | instskip(NEXT) | instid1(VALU_DEP_1)
	v_cmp_eq_u32_e64 s0, 0, v6
	v_cndmask_b32_e64 v6, v8, v7, s0
; %bb.665:                              ;   in Loop: Header=BB390_274 Depth=1
	s_or_b32 exec_lo, exec_lo, s1
	v_lshlrev_b32_e32 v7, 16, v33
	s_delay_alu instid0(VALU_DEP_1) | instskip(NEXT) | instid1(VALU_DEP_1)
	v_mul_f32_e32 v8, v27, v7
	v_and_b32_e32 v7, 0x7f800000, v8
	s_delay_alu instid0(VALU_DEP_1) | instskip(NEXT) | instid1(VALU_DEP_1)
	v_cmp_ne_u32_e64 s0, 0x7f800000, v7
                                        ; implicit-def: $vgpr7
	s_and_saveexec_b32 s1, s0
	s_delay_alu instid0(SALU_CYCLE_1)
	s_xor_b32 s0, exec_lo, s1
; %bb.666:                              ;   in Loop: Header=BB390_274 Depth=1
	v_bfe_u32 v7, v8, 16, 1
	s_delay_alu instid0(VALU_DEP_1)
	v_add3_u32 v7, v8, v7, 0x7fff
                                        ; implicit-def: $vgpr8
; %bb.667:                              ;   in Loop: Header=BB390_274 Depth=1
	s_and_not1_saveexec_b32 s1, s0
; %bb.668:                              ;   in Loop: Header=BB390_274 Depth=1
	v_and_b32_e32 v7, 0xffff, v8
	v_or_b32_e32 v25, 0x10000, v8
	s_delay_alu instid0(VALU_DEP_2) | instskip(NEXT) | instid1(VALU_DEP_1)
	v_cmp_eq_u32_e64 s0, 0, v7
	v_cndmask_b32_e64 v7, v25, v8, s0
; %bb.669:                              ;   in Loop: Header=BB390_274 Depth=1
	s_or_b32 exec_lo, exec_lo, s1
	v_lshlrev_b32_e32 v8, 16, v13
	s_delay_alu instid0(VALU_DEP_1) | instskip(NEXT) | instid1(VALU_DEP_1)
	v_mul_f32_e32 v13, v28, v8
	v_and_b32_e32 v8, 0x7f800000, v13
	s_delay_alu instid0(VALU_DEP_1) | instskip(NEXT) | instid1(VALU_DEP_1)
	v_cmp_ne_u32_e64 s0, 0x7f800000, v8
                                        ; implicit-def: $vgpr8
	s_and_saveexec_b32 s1, s0
	s_delay_alu instid0(SALU_CYCLE_1)
	s_xor_b32 s0, exec_lo, s1
; %bb.670:                              ;   in Loop: Header=BB390_274 Depth=1
	v_bfe_u32 v8, v13, 16, 1
	s_delay_alu instid0(VALU_DEP_1)
	v_add3_u32 v8, v13, v8, 0x7fff
                                        ; implicit-def: $vgpr13
; %bb.671:                              ;   in Loop: Header=BB390_274 Depth=1
	s_and_not1_saveexec_b32 s1, s0
; %bb.672:                              ;   in Loop: Header=BB390_274 Depth=1
	v_and_b32_e32 v8, 0xffff, v13
	v_or_b32_e32 v25, 0x10000, v13
	s_delay_alu instid0(VALU_DEP_2) | instskip(NEXT) | instid1(VALU_DEP_1)
	v_cmp_eq_u32_e64 s0, 0, v8
	v_cndmask_b32_e64 v8, v25, v13, s0
; %bb.673:                              ;   in Loop: Header=BB390_274 Depth=1
	s_or_b32 exec_lo, exec_lo, s1
	v_lshlrev_b32_e32 v4, 16, v4
	s_delay_alu instid0(VALU_DEP_1) | instskip(NEXT) | instid1(VALU_DEP_1)
	v_mul_f32_e32 v13, v29, v4
	v_and_b32_e32 v4, 0x7f800000, v13
	s_delay_alu instid0(VALU_DEP_1) | instskip(NEXT) | instid1(VALU_DEP_1)
	v_cmp_ne_u32_e64 s0, 0x7f800000, v4
                                        ; implicit-def: $vgpr4
	s_and_saveexec_b32 s1, s0
	s_delay_alu instid0(SALU_CYCLE_1)
	s_xor_b32 s0, exec_lo, s1
; %bb.674:                              ;   in Loop: Header=BB390_274 Depth=1
	v_bfe_u32 v4, v13, 16, 1
	s_delay_alu instid0(VALU_DEP_1)
	v_add3_u32 v4, v13, v4, 0x7fff
                                        ; implicit-def: $vgpr13
; %bb.675:                              ;   in Loop: Header=BB390_274 Depth=1
	s_and_not1_saveexec_b32 s1, s0
; %bb.676:                              ;   in Loop: Header=BB390_274 Depth=1
	v_and_b32_e32 v4, 0xffff, v13
	v_or_b32_e32 v25, 0x10000, v13
	s_delay_alu instid0(VALU_DEP_2) | instskip(NEXT) | instid1(VALU_DEP_1)
	v_cmp_eq_u32_e64 s0, 0, v4
	v_cndmask_b32_e64 v4, v25, v13, s0
; %bb.677:                              ;   in Loop: Header=BB390_274 Depth=1
	s_or_b32 exec_lo, exec_lo, s1
	v_lshlrev_b32_e32 v2, 16, v2
	s_delay_alu instid0(VALU_DEP_1) | instskip(NEXT) | instid1(VALU_DEP_1)
	v_mul_f32_e32 v13, v30, v2
	v_and_b32_e32 v2, 0x7f800000, v13
	s_delay_alu instid0(VALU_DEP_1) | instskip(NEXT) | instid1(VALU_DEP_1)
	v_cmp_ne_u32_e64 s0, 0x7f800000, v2
                                        ; implicit-def: $vgpr2
	s_and_saveexec_b32 s1, s0
	s_delay_alu instid0(SALU_CYCLE_1)
	s_xor_b32 s0, exec_lo, s1
; %bb.678:                              ;   in Loop: Header=BB390_274 Depth=1
	v_bfe_u32 v2, v13, 16, 1
	s_delay_alu instid0(VALU_DEP_1)
	v_add3_u32 v2, v13, v2, 0x7fff
                                        ; implicit-def: $vgpr13
; %bb.679:                              ;   in Loop: Header=BB390_274 Depth=1
	s_and_not1_saveexec_b32 s1, s0
; %bb.680:                              ;   in Loop: Header=BB390_274 Depth=1
	v_and_b32_e32 v2, 0xffff, v13
	v_or_b32_e32 v25, 0x10000, v13
	s_delay_alu instid0(VALU_DEP_2) | instskip(NEXT) | instid1(VALU_DEP_1)
	v_cmp_eq_u32_e64 s0, 0, v2
	v_cndmask_b32_e64 v2, v25, v13, s0
; %bb.681:                              ;   in Loop: Header=BB390_274 Depth=1
	s_or_b32 exec_lo, exec_lo, s1
	v_lshlrev_b32_e32 v1, 16, v1
	s_delay_alu instid0(VALU_DEP_1) | instskip(NEXT) | instid1(VALU_DEP_1)
	v_mul_f32_e32 v13, v31, v1
	v_and_b32_e32 v1, 0x7f800000, v13
	s_delay_alu instid0(VALU_DEP_1) | instskip(NEXT) | instid1(VALU_DEP_1)
	v_cmp_ne_u32_e64 s0, 0x7f800000, v1
                                        ; implicit-def: $vgpr1
	s_and_saveexec_b32 s1, s0
	s_delay_alu instid0(SALU_CYCLE_1)
	s_xor_b32 s0, exec_lo, s1
; %bb.682:                              ;   in Loop: Header=BB390_274 Depth=1
	v_bfe_u32 v1, v13, 16, 1
	s_delay_alu instid0(VALU_DEP_1)
	v_add3_u32 v1, v13, v1, 0x7fff
                                        ; implicit-def: $vgpr13
; %bb.683:                              ;   in Loop: Header=BB390_274 Depth=1
	s_and_not1_saveexec_b32 s1, s0
	s_cbranch_execz .LBB390_272
; %bb.684:                              ;   in Loop: Header=BB390_274 Depth=1
	v_and_b32_e32 v1, 0xffff, v13
	v_or_b32_e32 v25, 0x10000, v13
	s_delay_alu instid0(VALU_DEP_2) | instskip(NEXT) | instid1(VALU_DEP_1)
	v_cmp_eq_u32_e64 s0, 0, v1
	v_cndmask_b32_e64 v1, v25, v13, s0
	s_branch .LBB390_272
.LBB390_685:
	s_or_b32 exec_lo, exec_lo, s8
.LBB390_686:
	s_delay_alu instid0(SALU_CYCLE_1)
	s_or_b32 exec_lo, exec_lo, s7
	s_movk_i32 s0, 0x140
	v_and_b32_e32 v2, 0x3c0, v0
	v_mad_u32_u24 v1, v17, s0, 0xc0
	s_mov_b32 s0, exec_lo
	s_waitcnt_vscnt null, 0x0
	s_barrier
	buffer_gl0_inv
	v_cmpx_eq_u32_e32 64, v2
	s_cbranch_execz .LBB390_689
; %bb.687:
	v_add3_u32 v2, v1, v19, 0xfffffd80
	v_cmp_gt_u32_e32 vcc_lo, 0x50, v20
	ds_store_2addr_b32 v2, v9, v10 offset1:32
	s_and_b32 exec_lo, exec_lo, vcc_lo
	s_cbranch_execz .LBB390_689
; %bb.688:
	ds_store_b32 v2, v11 offset:256
.LBB390_689:
	s_or_b32 exec_lo, exec_lo, s0
	v_lshl_add_u32 v3, v18, 2, v1
	s_mov_b32 s0, exec_lo
	s_waitcnt lgkmcnt(0)
	s_barrier
	buffer_gl0_inv
	v_cmpx_gt_u32_e32 64, v0
	s_cbranch_execz .LBB390_693
; %bb.690:
	v_lshl_or_b32 v2, v0, 2, 0x80
	s_mov_b32 s1, exec_lo
	s_delay_alu instid0(VALU_DEP_1)
	v_add_nc_u32_e32 v2, v1, v2
	ds_load_b32 v4, v3
	ds_load_b32 v2, v2
	s_waitcnt lgkmcnt(0)
	v_dual_add_f32 v9, v9, v4 :: v_dual_add_f32 v10, v10, v2
	v_cmpx_gt_u32_e32 0x50, v20
	s_cbranch_execz .LBB390_692
; %bb.691:
	ds_load_b32 v2, v3 offset:256
	s_waitcnt lgkmcnt(0)
	v_add_f32_e32 v11, v11, v2
.LBB390_692:
	s_or_b32 exec_lo, exec_lo, s1
.LBB390_693:
	s_delay_alu instid0(SALU_CYCLE_1)
	s_or_b32 exec_lo, exec_lo, s0
	v_and_b32_e32 v2, 0x3e0, v0
	s_mov_b32 s0, exec_lo
	s_barrier
	buffer_gl0_inv
	v_cmpx_eq_u32_e32 32, v2
	s_cbranch_execz .LBB390_696
; %bb.694:
	v_add_nc_u32_e32 v4, 0xfffffec0, v1
	v_cmp_gt_u32_e32 vcc_lo, 0x50, v20
	s_delay_alu instid0(VALU_DEP_2)
	v_lshl_add_u32 v2, v18, 2, v4
	v_lshl_add_u32 v4, v0, 2, v4
	ds_store_b32 v2, v9
	ds_store_b32 v4, v10
	s_and_b32 exec_lo, exec_lo, vcc_lo
	s_cbranch_execz .LBB390_696
; %bb.695:
	ds_store_b32 v2, v11 offset:256
.LBB390_696:
	s_or_b32 exec_lo, exec_lo, s0
	v_cmp_gt_u32_e32 vcc_lo, 32, v0
	v_or_b32_e32 v2, 64, v0
	s_waitcnt lgkmcnt(0)
	s_barrier
	buffer_gl0_inv
	s_and_saveexec_b32 s1, vcc_lo
	s_cbranch_execz .LBB390_700
; %bb.697:
	v_lshl_add_u32 v1, v0, 2, v1
	s_mov_b32 s2, exec_lo
	ds_load_b32 v3, v3
	ds_load_b32 v4, v1 offset:128
	s_waitcnt lgkmcnt(0)
	v_dual_add_f32 v9, v9, v3 :: v_dual_add_f32 v10, v10, v4
	v_cmpx_gt_u32_e32 0x50, v2
	s_cbranch_execz .LBB390_699
; %bb.698:
	ds_load_b32 v1, v1 offset:256
	s_waitcnt lgkmcnt(0)
	v_add_f32_e32 v11, v11, v1
.LBB390_699:
	s_or_b32 exec_lo, exec_lo, s2
.LBB390_700:
	s_delay_alu instid0(SALU_CYCLE_1)
	s_or_b32 exec_lo, exec_lo, s1
	s_barrier
	buffer_gl0_inv
	s_and_saveexec_b32 s0, vcc_lo
	s_cbranch_execz .LBB390_715
; %bb.701:
	v_and_b32_e32 v1, 0x7f800000, v9
	s_mov_b32 s0, exec_lo
                                        ; implicit-def: $vgpr3
	s_delay_alu instid0(VALU_DEP_1)
	v_cmpx_ne_u32_e32 0x7f800000, v1
	s_xor_b32 s0, exec_lo, s0
; %bb.702:
	v_bfe_u32 v1, v9, 16, 1
	s_delay_alu instid0(VALU_DEP_1)
	v_add3_u32 v3, v9, v1, 0x7fff
; %bb.703:
	s_and_not1_saveexec_b32 s0, s0
; %bb.704:
	v_and_b32_e32 v1, 0xffff, v9
	v_or_b32_e32 v3, 0x10000, v9
	s_delay_alu instid0(VALU_DEP_2) | instskip(NEXT) | instid1(VALU_DEP_2)
	v_cmp_eq_u32_e32 vcc_lo, 0, v1
	v_cndmask_b32_e32 v3, v3, v9, vcc_lo
; %bb.705:
	s_or_b32 exec_lo, exec_lo, s0
	s_mul_i32 s0, s6, 0x50
	s_mul_i32 s2, s4, s22
	s_ashr_i32 s1, s0, 31
	v_lshlrev_b32_e32 v4, 1, v0
	s_lshl_b64 s[0:1], s[0:1], 1
	v_and_b32_e32 v5, 0x7f800000, v10
	s_add_u32 s4, s24, s0
	s_addc_u32 s5, s25, s1
	s_ashr_i32 s3, s2, 31
	s_delay_alu instid0(SALU_CYCLE_1) | instskip(SKIP_4) | instid1(SALU_CYCLE_1)
	s_lshl_b64 s[0:1], s[2:3], 1
	s_mul_i32 s2, s20, 0x50
	s_add_u32 s4, s4, s0
	s_addc_u32 s5, s5, s1
	s_ashr_i32 s3, s2, 31
	s_lshl_b64 s[0:1], s[2:3], 1
	s_delay_alu instid0(SALU_CYCLE_1) | instskip(SKIP_2) | instid1(VALU_DEP_1)
	s_add_u32 s0, s4, s0
	s_addc_u32 s1, s5, s1
	v_add_co_u32 v0, s2, s0, v4
	v_add_co_ci_u32_e64 v1, null, s1, 0, s2
	global_store_d16_hi_b16 v4, v3, s[0:1]
	s_mov_b32 s0, exec_lo
                                        ; implicit-def: $vgpr3
	v_cmpx_ne_u32_e32 0x7f800000, v5
	s_xor_b32 s0, exec_lo, s0
; %bb.706:
	v_bfe_u32 v3, v10, 16, 1
	s_delay_alu instid0(VALU_DEP_1)
	v_add3_u32 v3, v10, v3, 0x7fff
; %bb.707:
	s_and_not1_saveexec_b32 s0, s0
; %bb.708:
	v_and_b32_e32 v3, 0xffff, v10
	v_or_b32_e32 v4, 0x10000, v10
	s_delay_alu instid0(VALU_DEP_2) | instskip(NEXT) | instid1(VALU_DEP_2)
	v_cmp_eq_u32_e32 vcc_lo, 0, v3
	v_cndmask_b32_e32 v3, v4, v10, vcc_lo
; %bb.709:
	s_or_b32 exec_lo, exec_lo, s0
	v_cmp_gt_u32_e32 vcc_lo, 0x50, v2
	global_store_d16_hi_b16 v[0:1], v3, off offset:64
	s_and_b32 exec_lo, exec_lo, vcc_lo
	s_cbranch_execz .LBB390_715
; %bb.710:
	v_and_b32_e32 v2, 0x7f800000, v11
	s_delay_alu instid0(VALU_DEP_1) | instskip(SKIP_1) | instid1(SALU_CYCLE_1)
	v_cmp_ne_u32_e32 vcc_lo, 0x7f800000, v2
                                        ; implicit-def: $vgpr2
	s_and_saveexec_b32 s0, vcc_lo
	s_xor_b32 s0, exec_lo, s0
; %bb.711:
	v_bfe_u32 v2, v11, 16, 1
	s_delay_alu instid0(VALU_DEP_1)
	v_add3_u32 v2, v11, v2, 0x7fff
                                        ; implicit-def: $vgpr9_vgpr10_vgpr11
; %bb.712:
	s_and_not1_saveexec_b32 s0, s0
; %bb.713:
	v_and_b32_e32 v2, 0xffff, v11
	v_or_b32_e32 v3, 0x10000, v11
	s_delay_alu instid0(VALU_DEP_2) | instskip(NEXT) | instid1(VALU_DEP_2)
	v_cmp_eq_u32_e32 vcc_lo, 0, v2
	v_cndmask_b32_e32 v2, v3, v11, vcc_lo
; %bb.714:
	s_or_b32 exec_lo, exec_lo, s0
	global_store_d16_hi_b16 v[0:1], v2, off offset:128
.LBB390_715:
	s_nop 0
	s_sendmsg sendmsg(MSG_DEALLOC_VGPRS)
	s_endpgm
	.section	.rodata,"a",@progbits
	.p2align	6, 0x0
	.amdhsa_kernel _ZN4vllm25paged_attention_v2_kernelI14__hip_bfloat16hLi80ELi8ELi128ELNS_18Fp8KVCacheDataTypeE1ELb0ELi512EEEvPfS3_PT_PKS4_PKT0_SA_ifPKiSC_iPKfiiiSE_SE_iiiii
		.amdhsa_group_segment_fixed_size 192
		.amdhsa_private_segment_fixed_size 0
		.amdhsa_kernarg_size 400
		.amdhsa_user_sgpr_count 13
		.amdhsa_user_sgpr_dispatch_ptr 0
		.amdhsa_user_sgpr_queue_ptr 0
		.amdhsa_user_sgpr_kernarg_segment_ptr 1
		.amdhsa_user_sgpr_dispatch_id 0
		.amdhsa_user_sgpr_private_segment_size 0
		.amdhsa_wavefront_size32 1
		.amdhsa_uses_dynamic_stack 0
		.amdhsa_enable_private_segment 0
		.amdhsa_system_sgpr_workgroup_id_x 1
		.amdhsa_system_sgpr_workgroup_id_y 1
		.amdhsa_system_sgpr_workgroup_id_z 1
		.amdhsa_system_sgpr_workgroup_info 0
		.amdhsa_system_vgpr_workitem_id 0
		.amdhsa_next_free_vgpr 63
		.amdhsa_next_free_sgpr 42
		.amdhsa_reserve_vcc 1
		.amdhsa_float_round_mode_32 0
		.amdhsa_float_round_mode_16_64 0
		.amdhsa_float_denorm_mode_32 3
		.amdhsa_float_denorm_mode_16_64 3
		.amdhsa_dx10_clamp 1
		.amdhsa_ieee_mode 1
		.amdhsa_fp16_overflow 0
		.amdhsa_workgroup_processor_mode 1
		.amdhsa_memory_ordered 1
		.amdhsa_forward_progress 0
		.amdhsa_shared_vgpr_count 0
		.amdhsa_exception_fp_ieee_invalid_op 0
		.amdhsa_exception_fp_denorm_src 0
		.amdhsa_exception_fp_ieee_div_zero 0
		.amdhsa_exception_fp_ieee_overflow 0
		.amdhsa_exception_fp_ieee_underflow 0
		.amdhsa_exception_fp_ieee_inexact 0
		.amdhsa_exception_int_div_zero 0
	.end_amdhsa_kernel
	.section	.text._ZN4vllm25paged_attention_v2_kernelI14__hip_bfloat16hLi80ELi8ELi128ELNS_18Fp8KVCacheDataTypeE1ELb0ELi512EEEvPfS3_PT_PKS4_PKT0_SA_ifPKiSC_iPKfiiiSE_SE_iiiii,"axG",@progbits,_ZN4vllm25paged_attention_v2_kernelI14__hip_bfloat16hLi80ELi8ELi128ELNS_18Fp8KVCacheDataTypeE1ELb0ELi512EEEvPfS3_PT_PKS4_PKT0_SA_ifPKiSC_iPKfiiiSE_SE_iiiii,comdat
.Lfunc_end390:
	.size	_ZN4vllm25paged_attention_v2_kernelI14__hip_bfloat16hLi80ELi8ELi128ELNS_18Fp8KVCacheDataTypeE1ELb0ELi512EEEvPfS3_PT_PKS4_PKT0_SA_ifPKiSC_iPKfiiiSE_SE_iiiii, .Lfunc_end390-_ZN4vllm25paged_attention_v2_kernelI14__hip_bfloat16hLi80ELi8ELi128ELNS_18Fp8KVCacheDataTypeE1ELb0ELi512EEEvPfS3_PT_PKS4_PKT0_SA_ifPKiSC_iPKfiiiSE_SE_iiiii
                                        ; -- End function
	.section	.AMDGPU.csdata,"",@progbits
; Kernel info:
; codeLenInByte = 23196
; NumSgprs: 44
; NumVgprs: 63
; ScratchSize: 0
; MemoryBound: 0
; FloatMode: 240
; IeeeMode: 1
; LDSByteSize: 192 bytes/workgroup (compile time only)
; SGPRBlocks: 5
; VGPRBlocks: 7
; NumSGPRsForWavesPerEU: 44
; NumVGPRsForWavesPerEU: 63
; Occupancy: 16
; WaveLimiterHint : 1
; COMPUTE_PGM_RSRC2:SCRATCH_EN: 0
; COMPUTE_PGM_RSRC2:USER_SGPR: 13
; COMPUTE_PGM_RSRC2:TRAP_HANDLER: 0
; COMPUTE_PGM_RSRC2:TGID_X_EN: 1
; COMPUTE_PGM_RSRC2:TGID_Y_EN: 1
; COMPUTE_PGM_RSRC2:TGID_Z_EN: 1
; COMPUTE_PGM_RSRC2:TIDIG_COMP_CNT: 0
	.section	.text._ZN4vllm25paged_attention_v2_kernelI14__hip_bfloat16hLi96ELi8ELi128ELNS_18Fp8KVCacheDataTypeE1ELb0ELi512EEEvPfS3_PT_PKS4_PKT0_SA_ifPKiSC_iPKfiiiSE_SE_iiiii,"axG",@progbits,_ZN4vllm25paged_attention_v2_kernelI14__hip_bfloat16hLi96ELi8ELi128ELNS_18Fp8KVCacheDataTypeE1ELb0ELi512EEEvPfS3_PT_PKS4_PKT0_SA_ifPKiSC_iPKfiiiSE_SE_iiiii,comdat
	.protected	_ZN4vllm25paged_attention_v2_kernelI14__hip_bfloat16hLi96ELi8ELi128ELNS_18Fp8KVCacheDataTypeE1ELb0ELi512EEEvPfS3_PT_PKS4_PKT0_SA_ifPKiSC_iPKfiiiSE_SE_iiiii ; -- Begin function _ZN4vllm25paged_attention_v2_kernelI14__hip_bfloat16hLi96ELi8ELi128ELNS_18Fp8KVCacheDataTypeE1ELb0ELi512EEEvPfS3_PT_PKS4_PKT0_SA_ifPKiSC_iPKfiiiSE_SE_iiiii
	.globl	_ZN4vllm25paged_attention_v2_kernelI14__hip_bfloat16hLi96ELi8ELi128ELNS_18Fp8KVCacheDataTypeE1ELb0ELi512EEEvPfS3_PT_PKS4_PKT0_SA_ifPKiSC_iPKfiiiSE_SE_iiiii
	.p2align	8
	.type	_ZN4vllm25paged_attention_v2_kernelI14__hip_bfloat16hLi96ELi8ELi128ELNS_18Fp8KVCacheDataTypeE1ELb0ELi512EEEvPfS3_PT_PKS4_PKT0_SA_ifPKiSC_iPKfiiiSE_SE_iiiii,@function
_ZN4vllm25paged_attention_v2_kernelI14__hip_bfloat16hLi96ELi8ELi128ELNS_18Fp8KVCacheDataTypeE1ELb0ELi512EEEvPfS3_PT_PKS4_PKT0_SA_ifPKiSC_iPKfiiiSE_SE_iiiii: ; @_ZN4vllm25paged_attention_v2_kernelI14__hip_bfloat16hLi96ELi8ELi128ELNS_18Fp8KVCacheDataTypeE1ELb0ELi512EEEvPfS3_PT_PKS4_PKT0_SA_ifPKiSC_iPKfiiiSE_SE_iiiii
; %bb.0:
	s_load_b64 s[2:3], s[0:1], 0x40
	s_mov_b32 s12, s15
	s_ashr_i32 s15, s14, 31
	s_delay_alu instid0(SALU_CYCLE_1)
	s_lshl_b64 s[4:5], s[14:15], 2
	s_waitcnt lgkmcnt(0)
	s_add_u32 s2, s2, s4
	s_addc_u32 s3, s3, s5
	s_lshl_b32 s33, s12, 9
	s_load_b32 s15, s[2:3], 0x0
	s_waitcnt lgkmcnt(0)
	s_cmp_ge_i32 s33, s15
	s_cbranch_scc1 .LBB391_754
; %bb.1:
	s_mov_b32 s24, s13
	s_clause 0x1
	s_load_b32 s13, s[0:1], 0x90
	s_load_b64 s[34:35], s[0:1], 0x30
	s_mov_b32 s36, 0
	s_waitcnt lgkmcnt(0)
	s_abs_i32 s5, s13
	s_abs_i32 s2, s34
	s_delay_alu instid0(SALU_CYCLE_1) | instskip(SKIP_1) | instid1(VALU_DEP_1)
	v_cvt_f32_u32_e32 v1, s2
	s_sub_i32 s4, 0, s2
	v_rcp_iflag_f32_e32 v1, v1
	s_waitcnt_depctr 0xfff
	v_mul_f32_e32 v1, 0x4f7ffffe, v1
	s_delay_alu instid0(VALU_DEP_1) | instskip(NEXT) | instid1(VALU_DEP_1)
	v_cvt_u32_f32_e32 v1, v1
	v_readfirstlane_b32 s3, v1
	s_delay_alu instid0(VALU_DEP_1) | instskip(NEXT) | instid1(SALU_CYCLE_1)
	s_mul_i32 s4, s4, s3
	s_mul_hi_u32 s4, s3, s4
	s_delay_alu instid0(SALU_CYCLE_1) | instskip(SKIP_4) | instid1(SALU_CYCLE_1)
	s_add_i32 s3, s3, s4
	s_xor_b32 s4, s13, s34
	s_mul_hi_u32 s3, s5, s3
	s_ashr_i32 s4, s4, 31
	s_mul_i32 s6, s3, s2
	s_sub_i32 s5, s5, s6
	s_add_i32 s6, s3, 1
	s_sub_i32 s7, s5, s2
	s_cmp_ge_u32 s5, s2
	s_cselect_b32 s3, s6, s3
	s_cselect_b32 s5, s7, s5
	s_add_i32 s6, s3, 1
	s_cmp_ge_u32 s5, s2
	s_cselect_b32 s2, s6, s3
	s_abs_i32 s10, s24
	s_xor_b32 s2, s2, s4
	s_delay_alu instid0(SALU_CYCLE_1) | instskip(SKIP_2) | instid1(SALU_CYCLE_1)
	s_sub_i32 s11, s2, s4
	s_load_b64 s[2:3], s[0:1], 0x50
	s_abs_i32 s8, s11
	v_cvt_f32_u32_e32 v1, s8
	s_sub_i32 s5, 0, s8
	s_delay_alu instid0(VALU_DEP_1) | instskip(SKIP_2) | instid1(VALU_DEP_1)
	v_rcp_iflag_f32_e32 v1, v1
	s_waitcnt_depctr 0xfff
	v_mul_f32_e32 v1, 0x4f7ffffe, v1
	v_cvt_u32_f32_e32 v1, v1
	s_delay_alu instid0(VALU_DEP_1) | instskip(NEXT) | instid1(VALU_DEP_1)
	v_readfirstlane_b32 s4, v1
	s_mul_i32 s5, s5, s4
	s_delay_alu instid0(SALU_CYCLE_1) | instskip(NEXT) | instid1(SALU_CYCLE_1)
	s_mul_hi_u32 s5, s4, s5
	s_add_i32 s4, s4, s5
	s_waitcnt lgkmcnt(0)
	s_cmp_eq_u64 s[2:3], 0
	s_mul_hi_u32 s9, s10, s4
	s_cbranch_scc1 .LBB391_3
; %bb.2:
	s_ashr_i32 s25, s24, 31
	s_delay_alu instid0(SALU_CYCLE_1) | instskip(NEXT) | instid1(SALU_CYCLE_1)
	s_lshl_b64 s[4:5], s[24:25], 2
	s_add_u32 s2, s2, s4
	s_addc_u32 s3, s3, s5
	s_load_b32 s36, s[2:3], 0x0
.LBB391_3:
	s_load_b128 s[4:7], s[0:1], 0x58
	v_and_b32_e32 v1, 3, v0
	s_ashr_i32 s2, s24, 31
	s_ashr_i32 s3, s11, 31
	s_mul_i32 s20, s24, 0x60
	s_waitcnt lgkmcnt(0)
	s_mov_b32 s7, exec_lo
	v_cmpx_gt_u32_e32 48, v0
	s_cbranch_execz .LBB391_5
; %bb.4:
	s_load_b64 s[16:17], s[0:1], 0x18
	s_mul_i32 s18, s14, s4
	v_lshlrev_b32_e32 v2, 2, v0
	s_ashr_i32 s19, s18, 31
	v_and_b32_e32 v3, 0x3fc, v0
	s_lshl_b64 s[18:19], s[18:19], 1
	s_delay_alu instid0(VALU_DEP_1) | instskip(SKIP_4) | instid1(SALU_CYCLE_1)
	v_mad_u32_u24 v3, v1, 48, v3
	s_waitcnt lgkmcnt(0)
	s_add_u32 s4, s16, s18
	s_addc_u32 s11, s17, s19
	s_ashr_i32 s21, s20, 31
	s_lshl_b64 s[16:17], s[20:21], 1
	s_delay_alu instid0(SALU_CYCLE_1)
	s_add_u32 s16, s4, s16
	s_addc_u32 s17, s11, s17
	global_load_b32 v2, v2, s[16:17]
	s_waitcnt vmcnt(0)
	ds_store_b32 v3, v2
.LBB391_5:
	s_or_b32 exec_lo, exec_lo, s7
	s_add_i32 s4, s15, 7
	s_lshl_b32 s7, s12, 6
	s_ashr_i32 s11, s4, 31
	s_xor_b32 s2, s2, s3
	s_lshr_b32 s11, s11, 29
	s_add_i32 s3, s7, 64
	s_add_i32 s4, s4, s11
	v_lshrrev_b32_e32 v17, 5, v0
	s_ashr_i32 s25, s4, 3
	s_mul_i32 s4, s9, s8
	s_min_i32 s21, s3, s25
	s_clause 0x1
	s_load_b64 s[26:27], s[0:1], 0x38
	s_load_b32 s3, s[0:1], 0x48
	s_sub_i32 s4, s10, s4
	s_add_i32 s10, s9, 1
	s_sub_i32 s11, s4, s8
	s_cmp_ge_u32 s4, s8
	v_or_b32_e32 v10, s7, v17
	s_cselect_b32 s9, s10, s9
	s_cselect_b32 s4, s11, s4
	s_add_i32 s10, s9, 1
	s_cmp_ge_u32 s4, s8
	v_mbcnt_lo_u32_b32 v9, -1, 0
	s_cselect_b32 s4, s10, s9
	s_waitcnt lgkmcnt(0)
	s_xor_b32 s4, s4, s2
	s_barrier
	s_sub_i32 s34, s4, s2
	v_cmp_gt_i32_e64 s2, s21, v10
	s_mov_b32 s4, exec_lo
	buffer_gl0_inv
                                        ; implicit-def: $vgpr12
	s_mul_i32 s28, s14, s3
                                        ; implicit-def: $sgpr3
	s_delay_alu instid0(SALU_CYCLE_1)
	s_ashr_i32 s29, s28, 31
	v_cmpx_le_i32_e64 s21, v10
	s_xor_b32 s4, exec_lo, s4
; %bb.6:
	v_mbcnt_lo_u32_b32 v9, -1, 0
	v_mov_b32_e32 v12, 32
	s_mov_b32 s3, 0xff7fffff
                                        ; implicit-def: $vgpr1
; %bb.7:
	s_or_saveexec_b32 s37, s4
	s_clause 0x4
	s_load_b128 s[16:19], s[0:1], 0x0
	s_load_b64 s[22:23], s[0:1], 0x10
	s_load_b32 s4, s[0:1], 0x98
	s_load_b64 s[30:31], s[0:1], 0x28
	s_load_b128 s[8:11], s[0:1], 0x68
	v_mov_b32_e32 v39, s3
	v_ashrrev_i32_e32 v11, 31, v10
	v_lshlrev_b32_e32 v15, 3, v17
	s_mul_i32 s34, s34, s6
	s_xor_b32 exec_lo, exec_lo, s37
	s_cbranch_execz .LBB391_301
; %bb.8:
	v_mul_u32_u24_e32 v3, 48, v1
	s_load_b64 s[0:1], s[0:1], 0x20
	v_bfe_u32 v43, v0, 2, 3
	s_waitcnt lgkmcnt(0)
	s_load_b32 s6, s[8:9], 0x0
	s_ashr_i32 s3, s34, 31
	ds_load_b128 v[5:8], v3
	ds_load_b128 v[28:31], v3 offset:16
	ds_load_b128 v[36:39], v3 offset:32
	v_dual_mov_b32 v2, 0 :: v_dual_lshlrev_b32 v13, 1, v1
	s_mov_b32 s9, 0
	v_dual_mov_b32 v12, 32 :: v_dual_mov_b32 v45, v10
	s_add_u32 s0, s0, s34
	s_addc_u32 s1, s1, s3
	s_lshl_b64 s[38:39], s[28:29], 2
	s_sub_i32 s8, 1, s15
	s_waitcnt lgkmcnt(0)
	v_lshlrev_b32_e32 v14, 16, v5
	v_and_b32_e32 v16, 0xffff0000, v5
	v_xor_b32_e32 v5, 2, v9
	v_lshlrev_b32_e32 v18, 16, v6
	v_and_b32_e32 v19, 0xffff0000, v6
	v_xor_b32_e32 v6, 1, v9
	v_lshlrev_b32_e32 v20, 16, v7
	v_cmp_gt_i32_e32 vcc_lo, 32, v5
	v_lshlrev_b32_e32 v4, 4, v43
	v_lshlrev_b32_e32 v22, 16, v8
	v_and_b32_e32 v23, 0xffff0000, v8
	v_dual_cndmask_b32 v5, v9, v5 :: v_dual_lshlrev_b32 v24, 16, v28
	v_cmp_gt_i32_e32 vcc_lo, 32, v6
	v_and_b32_e32 v21, 0xffff0000, v7
	v_add_co_u32 v3, s0, s0, v4
	s_delay_alu instid0(VALU_DEP_4) | instskip(SKIP_3) | instid1(VALU_DEP_4)
	v_dual_cndmask_b32 v6, v9, v6 :: v_dual_lshlrev_b32 v41, 2, v5
	v_lshlrev_b32_e32 v5, 2, v43
	v_cmp_eq_u32_e32 vcc_lo, 0, v1
	v_add_co_ci_u32_e64 v4, null, s1, 0, s0
	v_lshlrev_b32_e32 v42, 2, v6
	s_delay_alu instid0(VALU_DEP_4)
	v_lshl_or_b32 v1, v17, 5, v5
	v_lshlrev_b64 v[5:6], 2, v[10:11]
	s_add_u32 s1, s26, s38
	s_addc_u32 s3, s27, s39
	v_and_b32_e32 v25, 0xffff0000, v28
	v_lshlrev_b32_e32 v26, 16, v29
	v_and_b32_e32 v27, 0xffff0000, v29
	v_add_co_u32 v5, s1, s1, v5
	v_lshlrev_b32_e32 v28, 16, v30
	v_and_b32_e32 v29, 0xffff0000, v30
	v_lshlrev_b32_e32 v30, 16, v31
	v_and_b32_e32 v31, 0xffff0000, v31
	;; [unrolled: 2-line block ×6, first 2 shown]
	v_cmp_neq_f32_e64 s0, s36, 0
	v_add3_u32 v43, s33, v15, v43
	v_add_nc_u32_e32 v44, 0xe0, v1
	v_add_co_ci_u32_e64 v6, s1, s3, v6, s1
	v_mov_b32_e32 v39, 0xff7fffff
	s_mov_b32 s38, s5
	s_branch .LBB391_10
.LBB391_9:                              ;   in Loop: Header=BB391_10 Depth=1
	s_or_b32 exec_lo, exec_lo, s3
	v_add_nc_u32_e32 v45, 4, v45
	v_add_co_u32 v5, s3, v5, 16
	v_add_nc_u32_e32 v43, 32, v43
	v_add_nc_u32_e32 v44, 0x80, v44
	s_delay_alu instid0(VALU_DEP_4) | instskip(SKIP_1) | instid1(VALU_DEP_2)
	v_cmp_le_i32_e64 s1, s21, v45
	v_add_co_ci_u32_e64 v6, s3, 0, v6, s3
	s_or_b32 s9, s1, s9
	s_delay_alu instid0(SALU_CYCLE_1)
	s_and_not1_b32 exec_lo, exec_lo, s9
	s_cbranch_execz .LBB391_300
.LBB391_10:                             ; =>This Inner Loop Header: Depth=1
	global_load_b32 v1, v[5:6], off
	s_mov_b32 s3, exec_lo
	s_waitcnt vmcnt(0) lgkmcnt(0)
	v_mad_i64_i32 v[7:8], null, v1, s38, v[3:4]
	s_delay_alu instid0(VALU_DEP_1) | instskip(NEXT) | instid1(VALU_DEP_1)
	v_add_co_u32 v7, s1, v7, v13
	v_add_co_ci_u32_e64 v8, s1, 0, v8, s1
	global_load_u16 v1, v[7:8], off
	s_waitcnt vmcnt(0)
	v_and_b32_e32 v46, 0xff, v1
	v_and_b32_e32 v47, 0xffff, v1
	v_mov_b32_e32 v1, 0
	s_delay_alu instid0(VALU_DEP_3)
	v_cmpx_ne_u16_e32 0, v46
	s_cbranch_execz .LBB391_18
; %bb.11:                               ;   in Loop: Header=BB391_10 Depth=1
	s_delay_alu instid0(VALU_DEP_3) | instskip(NEXT) | instid1(VALU_DEP_1)
	v_and_b32_e32 v1, 0xff, v47
	v_cmp_ne_u16_e64 s1, 0x80, v1
	v_bfrev_b32_e32 v1, 1
	s_delay_alu instid0(VALU_DEP_2)
	s_and_saveexec_b32 s39, s1
	s_cbranch_execz .LBB391_17
; %bb.12:                               ;   in Loop: Header=BB391_10 Depth=1
	v_and_b32_e32 v48, 0x7f, v47
	v_mov_b32_e32 v1, 0x7f800001
	s_mov_b32 s40, exec_lo
	s_delay_alu instid0(VALU_DEP_2)
	v_cmpx_ne_u32_e32 0x7f, v48
	s_cbranch_execz .LBB391_16
; %bb.13:                               ;   in Loop: Header=BB391_10 Depth=1
	v_and_b32_e32 v1, 7, v47
	v_lshrrev_b32_e32 v46, 3, v48
	s_mov_b32 s41, exec_lo
	v_cmpx_gt_u32_e32 8, v48
; %bb.14:                               ;   in Loop: Header=BB391_10 Depth=1
	s_delay_alu instid0(VALU_DEP_3) | instskip(NEXT) | instid1(VALU_DEP_1)
	v_clz_i32_u32_e32 v46, v1
	v_min_u32_e32 v46, 32, v46
	s_delay_alu instid0(VALU_DEP_1) | instskip(SKIP_1) | instid1(VALU_DEP_2)
	v_subrev_nc_u32_e32 v48, 28, v46
	v_sub_nc_u32_e32 v46, 29, v46
	v_lshlrev_b64 v[48:49], v48, v[1:2]
	s_delay_alu instid0(VALU_DEP_1)
	v_and_b32_e32 v1, 7, v48
; %bb.15:                               ;   in Loop: Header=BB391_10 Depth=1
	s_or_b32 exec_lo, exec_lo, s41
	v_lshlrev_b32_e32 v48, 24, v47
	s_delay_alu instid0(VALU_DEP_2) | instskip(SKIP_1) | instid1(VALU_DEP_3)
	v_lshlrev_b32_e32 v1, 20, v1
	v_lshl_add_u32 v46, v46, 23, 0x3c000000
	v_and_b32_e32 v48, 0x80000000, v48
	s_delay_alu instid0(VALU_DEP_1)
	v_or3_b32 v1, v1, v48, v46
.LBB391_16:                             ;   in Loop: Header=BB391_10 Depth=1
	s_or_b32 exec_lo, exec_lo, s40
.LBB391_17:                             ;   in Loop: Header=BB391_10 Depth=1
	s_delay_alu instid0(SALU_CYCLE_1)
	s_or_b32 exec_lo, exec_lo, s39
.LBB391_18:                             ;   in Loop: Header=BB391_10 Depth=1
	s_delay_alu instid0(SALU_CYCLE_1) | instskip(NEXT) | instid1(VALU_DEP_1)
	s_or_b32 exec_lo, exec_lo, s3
	v_mul_f32_e32 v1, s6, v1
	s_delay_alu instid0(VALU_DEP_1) | instskip(NEXT) | instid1(VALU_DEP_1)
	v_and_b32_e32 v46, 0x7f800000, v1
	v_cmp_ne_u32_e64 s1, 0x7f800000, v46
                                        ; implicit-def: $vgpr46
	s_delay_alu instid0(VALU_DEP_1) | instskip(NEXT) | instid1(SALU_CYCLE_1)
	s_and_saveexec_b32 s3, s1
	s_xor_b32 s1, exec_lo, s3
; %bb.19:                               ;   in Loop: Header=BB391_10 Depth=1
	v_bfe_u32 v46, v1, 16, 1
	s_delay_alu instid0(VALU_DEP_1)
	v_add3_u32 v46, v1, v46, 0x7fff
                                        ; implicit-def: $vgpr1
; %bb.20:                               ;   in Loop: Header=BB391_10 Depth=1
	s_and_not1_saveexec_b32 s3, s1
; %bb.21:                               ;   in Loop: Header=BB391_10 Depth=1
	v_and_b32_e32 v46, 0xffff, v1
	v_or_b32_e32 v48, 0x10000, v1
	s_delay_alu instid0(VALU_DEP_2) | instskip(NEXT) | instid1(VALU_DEP_1)
	v_cmp_eq_u32_e64 s1, 0, v46
	v_cndmask_b32_e64 v46, v48, v1, s1
; %bb.22:                               ;   in Loop: Header=BB391_10 Depth=1
	s_or_b32 exec_lo, exec_lo, s3
	v_lshrrev_b16 v48, 8, v47
	v_mov_b32_e32 v1, 0
	s_mov_b32 s3, exec_lo
	s_delay_alu instid0(VALU_DEP_2)
	v_cmpx_ne_u16_e32 0, v48
	s_cbranch_execz .LBB391_30
; %bb.23:                               ;   in Loop: Header=BB391_10 Depth=1
	v_bfrev_b32_e32 v1, 1
	s_mov_b32 s39, exec_lo
	v_cmpx_ne_u16_e32 0x80, v48
	s_cbranch_execz .LBB391_29
; %bb.24:                               ;   in Loop: Header=BB391_10 Depth=1
	v_and_b32_e32 v48, 0xffff, v48
	v_mov_b32_e32 v1, 0x7f800001
	s_mov_b32 s40, exec_lo
	s_delay_alu instid0(VALU_DEP_2) | instskip(NEXT) | instid1(VALU_DEP_1)
	v_and_b32_e32 v49, 0x7f, v48
	v_cmpx_ne_u32_e32 0x7f, v49
	s_cbranch_execz .LBB391_28
; %bb.25:                               ;   in Loop: Header=BB391_10 Depth=1
	v_and_b32_e32 v1, 7, v48
	v_lshrrev_b32_e32 v48, 3, v49
	s_mov_b32 s41, exec_lo
	v_cmpx_gt_u32_e32 8, v49
; %bb.26:                               ;   in Loop: Header=BB391_10 Depth=1
	s_delay_alu instid0(VALU_DEP_3) | instskip(NEXT) | instid1(VALU_DEP_1)
	v_clz_i32_u32_e32 v48, v1
	v_min_u32_e32 v48, 32, v48
	s_delay_alu instid0(VALU_DEP_1) | instskip(SKIP_1) | instid1(VALU_DEP_2)
	v_subrev_nc_u32_e32 v49, 28, v48
	v_sub_nc_u32_e32 v48, 29, v48
	v_lshlrev_b64 v[49:50], v49, v[1:2]
	s_delay_alu instid0(VALU_DEP_1)
	v_and_b32_e32 v1, 7, v49
; %bb.27:                               ;   in Loop: Header=BB391_10 Depth=1
	s_or_b32 exec_lo, exec_lo, s41
	v_lshlrev_b32_e32 v47, 16, v47
	s_delay_alu instid0(VALU_DEP_2) | instskip(SKIP_1) | instid1(VALU_DEP_3)
	v_lshlrev_b32_e32 v1, 20, v1
	v_lshl_add_u32 v48, v48, 23, 0x3c000000
	v_and_b32_e32 v47, 0x80000000, v47
	s_delay_alu instid0(VALU_DEP_1)
	v_or3_b32 v1, v1, v47, v48
.LBB391_28:                             ;   in Loop: Header=BB391_10 Depth=1
	s_or_b32 exec_lo, exec_lo, s40
.LBB391_29:                             ;   in Loop: Header=BB391_10 Depth=1
	s_delay_alu instid0(SALU_CYCLE_1)
	s_or_b32 exec_lo, exec_lo, s39
.LBB391_30:                             ;   in Loop: Header=BB391_10 Depth=1
	s_delay_alu instid0(SALU_CYCLE_1) | instskip(NEXT) | instid1(VALU_DEP_1)
	s_or_b32 exec_lo, exec_lo, s3
	v_mul_f32_e32 v1, s6, v1
	s_delay_alu instid0(VALU_DEP_1) | instskip(NEXT) | instid1(VALU_DEP_1)
	v_and_b32_e32 v47, 0x7f800000, v1
	v_cmp_ne_u32_e64 s1, 0x7f800000, v47
                                        ; implicit-def: $vgpr47
	s_delay_alu instid0(VALU_DEP_1) | instskip(NEXT) | instid1(SALU_CYCLE_1)
	s_and_saveexec_b32 s3, s1
	s_xor_b32 s1, exec_lo, s3
; %bb.31:                               ;   in Loop: Header=BB391_10 Depth=1
	v_bfe_u32 v47, v1, 16, 1
	s_delay_alu instid0(VALU_DEP_1)
	v_add3_u32 v47, v1, v47, 0x7fff
                                        ; implicit-def: $vgpr1
; %bb.32:                               ;   in Loop: Header=BB391_10 Depth=1
	s_and_not1_saveexec_b32 s3, s1
; %bb.33:                               ;   in Loop: Header=BB391_10 Depth=1
	v_and_b32_e32 v47, 0xffff, v1
	v_or_b32_e32 v48, 0x10000, v1
	s_delay_alu instid0(VALU_DEP_2) | instskip(NEXT) | instid1(VALU_DEP_1)
	v_cmp_eq_u32_e64 s1, 0, v47
	v_cndmask_b32_e64 v47, v48, v1, s1
; %bb.34:                               ;   in Loop: Header=BB391_10 Depth=1
	s_or_b32 exec_lo, exec_lo, s3
	global_load_u16 v1, v[7:8], off offset:8
	s_mov_b32 s3, exec_lo
	s_waitcnt vmcnt(0)
	v_and_b32_e32 v48, 0xff, v1
	v_and_b32_e32 v49, 0xffff, v1
	v_mov_b32_e32 v1, 0
	s_delay_alu instid0(VALU_DEP_3)
	v_cmpx_ne_u16_e32 0, v48
	s_cbranch_execz .LBB391_42
; %bb.35:                               ;   in Loop: Header=BB391_10 Depth=1
	s_delay_alu instid0(VALU_DEP_3) | instskip(NEXT) | instid1(VALU_DEP_1)
	v_and_b32_e32 v1, 0xff, v49
	v_cmp_ne_u16_e64 s1, 0x80, v1
	v_bfrev_b32_e32 v1, 1
	s_delay_alu instid0(VALU_DEP_2)
	s_and_saveexec_b32 s39, s1
	s_cbranch_execz .LBB391_41
; %bb.36:                               ;   in Loop: Header=BB391_10 Depth=1
	v_and_b32_e32 v50, 0x7f, v49
	v_mov_b32_e32 v1, 0x7f800001
	s_mov_b32 s40, exec_lo
	s_delay_alu instid0(VALU_DEP_2)
	v_cmpx_ne_u32_e32 0x7f, v50
	s_cbranch_execz .LBB391_40
; %bb.37:                               ;   in Loop: Header=BB391_10 Depth=1
	v_and_b32_e32 v1, 7, v49
	v_lshrrev_b32_e32 v48, 3, v50
	s_mov_b32 s41, exec_lo
	v_cmpx_gt_u32_e32 8, v50
; %bb.38:                               ;   in Loop: Header=BB391_10 Depth=1
	s_delay_alu instid0(VALU_DEP_3) | instskip(NEXT) | instid1(VALU_DEP_1)
	v_clz_i32_u32_e32 v48, v1
	v_min_u32_e32 v48, 32, v48
	s_delay_alu instid0(VALU_DEP_1) | instskip(SKIP_1) | instid1(VALU_DEP_2)
	v_subrev_nc_u32_e32 v50, 28, v48
	v_sub_nc_u32_e32 v48, 29, v48
	v_lshlrev_b64 v[50:51], v50, v[1:2]
	s_delay_alu instid0(VALU_DEP_1)
	v_and_b32_e32 v1, 7, v50
; %bb.39:                               ;   in Loop: Header=BB391_10 Depth=1
	s_or_b32 exec_lo, exec_lo, s41
	v_lshlrev_b32_e32 v50, 24, v49
	s_delay_alu instid0(VALU_DEP_2) | instskip(SKIP_1) | instid1(VALU_DEP_3)
	v_lshlrev_b32_e32 v1, 20, v1
	v_lshl_add_u32 v48, v48, 23, 0x3c000000
	v_and_b32_e32 v50, 0x80000000, v50
	s_delay_alu instid0(VALU_DEP_1)
	v_or3_b32 v1, v1, v50, v48
.LBB391_40:                             ;   in Loop: Header=BB391_10 Depth=1
	s_or_b32 exec_lo, exec_lo, s40
.LBB391_41:                             ;   in Loop: Header=BB391_10 Depth=1
	s_delay_alu instid0(SALU_CYCLE_1)
	s_or_b32 exec_lo, exec_lo, s39
.LBB391_42:                             ;   in Loop: Header=BB391_10 Depth=1
	s_delay_alu instid0(SALU_CYCLE_1) | instskip(NEXT) | instid1(VALU_DEP_1)
	s_or_b32 exec_lo, exec_lo, s3
	v_mul_f32_e32 v1, s6, v1
	s_delay_alu instid0(VALU_DEP_1) | instskip(NEXT) | instid1(VALU_DEP_1)
	v_and_b32_e32 v48, 0x7f800000, v1
	v_cmp_ne_u32_e64 s1, 0x7f800000, v48
                                        ; implicit-def: $vgpr48
	s_delay_alu instid0(VALU_DEP_1) | instskip(NEXT) | instid1(SALU_CYCLE_1)
	s_and_saveexec_b32 s3, s1
	s_xor_b32 s1, exec_lo, s3
; %bb.43:                               ;   in Loop: Header=BB391_10 Depth=1
	v_bfe_u32 v48, v1, 16, 1
	s_delay_alu instid0(VALU_DEP_1)
	v_add3_u32 v48, v1, v48, 0x7fff
                                        ; implicit-def: $vgpr1
; %bb.44:                               ;   in Loop: Header=BB391_10 Depth=1
	s_and_not1_saveexec_b32 s3, s1
; %bb.45:                               ;   in Loop: Header=BB391_10 Depth=1
	v_and_b32_e32 v48, 0xffff, v1
	v_or_b32_e32 v50, 0x10000, v1
	s_delay_alu instid0(VALU_DEP_2) | instskip(NEXT) | instid1(VALU_DEP_1)
	v_cmp_eq_u32_e64 s1, 0, v48
	v_cndmask_b32_e64 v48, v50, v1, s1
; %bb.46:                               ;   in Loop: Header=BB391_10 Depth=1
	s_or_b32 exec_lo, exec_lo, s3
	v_lshrrev_b16 v50, 8, v49
	v_mov_b32_e32 v1, 0
	s_mov_b32 s3, exec_lo
	s_delay_alu instid0(VALU_DEP_2)
	v_cmpx_ne_u16_e32 0, v50
	s_cbranch_execz .LBB391_54
; %bb.47:                               ;   in Loop: Header=BB391_10 Depth=1
	v_bfrev_b32_e32 v1, 1
	s_mov_b32 s39, exec_lo
	v_cmpx_ne_u16_e32 0x80, v50
	s_cbranch_execz .LBB391_53
; %bb.48:                               ;   in Loop: Header=BB391_10 Depth=1
	v_and_b32_e32 v50, 0xffff, v50
	v_mov_b32_e32 v1, 0x7f800001
	s_mov_b32 s40, exec_lo
	s_delay_alu instid0(VALU_DEP_2) | instskip(NEXT) | instid1(VALU_DEP_1)
	v_and_b32_e32 v51, 0x7f, v50
	v_cmpx_ne_u32_e32 0x7f, v51
	s_cbranch_execz .LBB391_52
; %bb.49:                               ;   in Loop: Header=BB391_10 Depth=1
	v_and_b32_e32 v1, 7, v50
	v_lshrrev_b32_e32 v50, 3, v51
	s_mov_b32 s41, exec_lo
	v_cmpx_gt_u32_e32 8, v51
; %bb.50:                               ;   in Loop: Header=BB391_10 Depth=1
	s_delay_alu instid0(VALU_DEP_3) | instskip(NEXT) | instid1(VALU_DEP_1)
	v_clz_i32_u32_e32 v50, v1
	v_min_u32_e32 v50, 32, v50
	s_delay_alu instid0(VALU_DEP_1) | instskip(SKIP_1) | instid1(VALU_DEP_2)
	v_subrev_nc_u32_e32 v51, 28, v50
	v_sub_nc_u32_e32 v50, 29, v50
	v_lshlrev_b64 v[51:52], v51, v[1:2]
	s_delay_alu instid0(VALU_DEP_1)
	v_and_b32_e32 v1, 7, v51
; %bb.51:                               ;   in Loop: Header=BB391_10 Depth=1
	s_or_b32 exec_lo, exec_lo, s41
	v_lshlrev_b32_e32 v49, 16, v49
	s_delay_alu instid0(VALU_DEP_2) | instskip(SKIP_1) | instid1(VALU_DEP_3)
	v_lshlrev_b32_e32 v1, 20, v1
	v_lshl_add_u32 v50, v50, 23, 0x3c000000
	v_and_b32_e32 v49, 0x80000000, v49
	s_delay_alu instid0(VALU_DEP_1)
	v_or3_b32 v1, v1, v49, v50
.LBB391_52:                             ;   in Loop: Header=BB391_10 Depth=1
	s_or_b32 exec_lo, exec_lo, s40
.LBB391_53:                             ;   in Loop: Header=BB391_10 Depth=1
	s_delay_alu instid0(SALU_CYCLE_1)
	s_or_b32 exec_lo, exec_lo, s39
.LBB391_54:                             ;   in Loop: Header=BB391_10 Depth=1
	s_delay_alu instid0(SALU_CYCLE_1) | instskip(NEXT) | instid1(VALU_DEP_1)
	s_or_b32 exec_lo, exec_lo, s3
	v_mul_f32_e32 v1, s6, v1
	s_delay_alu instid0(VALU_DEP_1) | instskip(NEXT) | instid1(VALU_DEP_1)
	v_and_b32_e32 v49, 0x7f800000, v1
	v_cmp_ne_u32_e64 s1, 0x7f800000, v49
                                        ; implicit-def: $vgpr49
	s_delay_alu instid0(VALU_DEP_1) | instskip(NEXT) | instid1(SALU_CYCLE_1)
	s_and_saveexec_b32 s3, s1
	s_xor_b32 s1, exec_lo, s3
; %bb.55:                               ;   in Loop: Header=BB391_10 Depth=1
	v_bfe_u32 v49, v1, 16, 1
	s_delay_alu instid0(VALU_DEP_1)
	v_add3_u32 v49, v1, v49, 0x7fff
                                        ; implicit-def: $vgpr1
; %bb.56:                               ;   in Loop: Header=BB391_10 Depth=1
	s_and_not1_saveexec_b32 s3, s1
; %bb.57:                               ;   in Loop: Header=BB391_10 Depth=1
	v_and_b32_e32 v49, 0xffff, v1
	v_or_b32_e32 v50, 0x10000, v1
	s_delay_alu instid0(VALU_DEP_2) | instskip(NEXT) | instid1(VALU_DEP_1)
	v_cmp_eq_u32_e64 s1, 0, v49
	v_cndmask_b32_e64 v49, v50, v1, s1
; %bb.58:                               ;   in Loop: Header=BB391_10 Depth=1
	s_or_b32 exec_lo, exec_lo, s3
	global_load_u16 v1, v[7:8], off offset:128
	s_mov_b32 s3, exec_lo
	s_waitcnt vmcnt(0)
	v_and_b32_e32 v50, 0xff, v1
	v_and_b32_e32 v51, 0xffff, v1
	v_mov_b32_e32 v1, 0
	s_delay_alu instid0(VALU_DEP_3)
	v_cmpx_ne_u16_e32 0, v50
	s_cbranch_execz .LBB391_66
; %bb.59:                               ;   in Loop: Header=BB391_10 Depth=1
	s_delay_alu instid0(VALU_DEP_3) | instskip(NEXT) | instid1(VALU_DEP_1)
	v_and_b32_e32 v1, 0xff, v51
	v_cmp_ne_u16_e64 s1, 0x80, v1
	v_bfrev_b32_e32 v1, 1
	s_delay_alu instid0(VALU_DEP_2)
	s_and_saveexec_b32 s39, s1
	s_cbranch_execz .LBB391_65
; %bb.60:                               ;   in Loop: Header=BB391_10 Depth=1
	v_and_b32_e32 v52, 0x7f, v51
	v_mov_b32_e32 v1, 0x7f800001
	s_mov_b32 s40, exec_lo
	s_delay_alu instid0(VALU_DEP_2)
	v_cmpx_ne_u32_e32 0x7f, v52
	s_cbranch_execz .LBB391_64
; %bb.61:                               ;   in Loop: Header=BB391_10 Depth=1
	v_and_b32_e32 v1, 7, v51
	v_lshrrev_b32_e32 v50, 3, v52
	s_mov_b32 s41, exec_lo
	v_cmpx_gt_u32_e32 8, v52
; %bb.62:                               ;   in Loop: Header=BB391_10 Depth=1
	s_delay_alu instid0(VALU_DEP_3) | instskip(NEXT) | instid1(VALU_DEP_1)
	v_clz_i32_u32_e32 v50, v1
	v_min_u32_e32 v50, 32, v50
	s_delay_alu instid0(VALU_DEP_1) | instskip(SKIP_1) | instid1(VALU_DEP_2)
	v_subrev_nc_u32_e32 v52, 28, v50
	v_sub_nc_u32_e32 v50, 29, v50
	v_lshlrev_b64 v[52:53], v52, v[1:2]
	s_delay_alu instid0(VALU_DEP_1)
	v_and_b32_e32 v1, 7, v52
; %bb.63:                               ;   in Loop: Header=BB391_10 Depth=1
	s_or_b32 exec_lo, exec_lo, s41
	v_lshlrev_b32_e32 v52, 24, v51
	s_delay_alu instid0(VALU_DEP_2) | instskip(SKIP_1) | instid1(VALU_DEP_3)
	v_lshlrev_b32_e32 v1, 20, v1
	v_lshl_add_u32 v50, v50, 23, 0x3c000000
	v_and_b32_e32 v52, 0x80000000, v52
	s_delay_alu instid0(VALU_DEP_1)
	v_or3_b32 v1, v1, v52, v50
.LBB391_64:                             ;   in Loop: Header=BB391_10 Depth=1
	s_or_b32 exec_lo, exec_lo, s40
.LBB391_65:                             ;   in Loop: Header=BB391_10 Depth=1
	s_delay_alu instid0(SALU_CYCLE_1)
	s_or_b32 exec_lo, exec_lo, s39
.LBB391_66:                             ;   in Loop: Header=BB391_10 Depth=1
	s_delay_alu instid0(SALU_CYCLE_1) | instskip(NEXT) | instid1(VALU_DEP_1)
	s_or_b32 exec_lo, exec_lo, s3
	v_mul_f32_e32 v1, s6, v1
	s_delay_alu instid0(VALU_DEP_1) | instskip(NEXT) | instid1(VALU_DEP_1)
	v_and_b32_e32 v50, 0x7f800000, v1
	v_cmp_ne_u32_e64 s1, 0x7f800000, v50
                                        ; implicit-def: $vgpr50
	s_delay_alu instid0(VALU_DEP_1) | instskip(NEXT) | instid1(SALU_CYCLE_1)
	s_and_saveexec_b32 s3, s1
	s_xor_b32 s1, exec_lo, s3
; %bb.67:                               ;   in Loop: Header=BB391_10 Depth=1
	v_bfe_u32 v50, v1, 16, 1
	s_delay_alu instid0(VALU_DEP_1)
	v_add3_u32 v50, v1, v50, 0x7fff
                                        ; implicit-def: $vgpr1
; %bb.68:                               ;   in Loop: Header=BB391_10 Depth=1
	s_and_not1_saveexec_b32 s3, s1
; %bb.69:                               ;   in Loop: Header=BB391_10 Depth=1
	v_and_b32_e32 v50, 0xffff, v1
	v_or_b32_e32 v52, 0x10000, v1
	s_delay_alu instid0(VALU_DEP_2) | instskip(NEXT) | instid1(VALU_DEP_1)
	v_cmp_eq_u32_e64 s1, 0, v50
	v_cndmask_b32_e64 v50, v52, v1, s1
; %bb.70:                               ;   in Loop: Header=BB391_10 Depth=1
	s_or_b32 exec_lo, exec_lo, s3
	v_lshrrev_b16 v52, 8, v51
	v_mov_b32_e32 v1, 0
	s_mov_b32 s3, exec_lo
	s_delay_alu instid0(VALU_DEP_2)
	v_cmpx_ne_u16_e32 0, v52
	s_cbranch_execz .LBB391_78
; %bb.71:                               ;   in Loop: Header=BB391_10 Depth=1
	v_bfrev_b32_e32 v1, 1
	s_mov_b32 s39, exec_lo
	v_cmpx_ne_u16_e32 0x80, v52
	s_cbranch_execz .LBB391_77
; %bb.72:                               ;   in Loop: Header=BB391_10 Depth=1
	v_and_b32_e32 v52, 0xffff, v52
	v_mov_b32_e32 v1, 0x7f800001
	s_mov_b32 s40, exec_lo
	s_delay_alu instid0(VALU_DEP_2) | instskip(NEXT) | instid1(VALU_DEP_1)
	v_and_b32_e32 v53, 0x7f, v52
	v_cmpx_ne_u32_e32 0x7f, v53
	s_cbranch_execz .LBB391_76
; %bb.73:                               ;   in Loop: Header=BB391_10 Depth=1
	v_and_b32_e32 v1, 7, v52
	v_lshrrev_b32_e32 v52, 3, v53
	s_mov_b32 s41, exec_lo
	v_cmpx_gt_u32_e32 8, v53
; %bb.74:                               ;   in Loop: Header=BB391_10 Depth=1
	s_delay_alu instid0(VALU_DEP_3) | instskip(NEXT) | instid1(VALU_DEP_1)
	v_clz_i32_u32_e32 v52, v1
	v_min_u32_e32 v52, 32, v52
	s_delay_alu instid0(VALU_DEP_1) | instskip(SKIP_1) | instid1(VALU_DEP_2)
	v_subrev_nc_u32_e32 v53, 28, v52
	v_sub_nc_u32_e32 v52, 29, v52
	v_lshlrev_b64 v[53:54], v53, v[1:2]
	s_delay_alu instid0(VALU_DEP_1)
	v_and_b32_e32 v1, 7, v53
; %bb.75:                               ;   in Loop: Header=BB391_10 Depth=1
	s_or_b32 exec_lo, exec_lo, s41
	v_lshlrev_b32_e32 v51, 16, v51
	s_delay_alu instid0(VALU_DEP_2) | instskip(SKIP_1) | instid1(VALU_DEP_3)
	v_lshlrev_b32_e32 v1, 20, v1
	v_lshl_add_u32 v52, v52, 23, 0x3c000000
	v_and_b32_e32 v51, 0x80000000, v51
	s_delay_alu instid0(VALU_DEP_1)
	v_or3_b32 v1, v1, v51, v52
.LBB391_76:                             ;   in Loop: Header=BB391_10 Depth=1
	s_or_b32 exec_lo, exec_lo, s40
.LBB391_77:                             ;   in Loop: Header=BB391_10 Depth=1
	s_delay_alu instid0(SALU_CYCLE_1)
	s_or_b32 exec_lo, exec_lo, s39
.LBB391_78:                             ;   in Loop: Header=BB391_10 Depth=1
	s_delay_alu instid0(SALU_CYCLE_1) | instskip(NEXT) | instid1(VALU_DEP_1)
	s_or_b32 exec_lo, exec_lo, s3
	v_mul_f32_e32 v1, s6, v1
	s_delay_alu instid0(VALU_DEP_1) | instskip(NEXT) | instid1(VALU_DEP_1)
	v_and_b32_e32 v51, 0x7f800000, v1
	v_cmp_ne_u32_e64 s1, 0x7f800000, v51
                                        ; implicit-def: $vgpr51
	s_delay_alu instid0(VALU_DEP_1) | instskip(NEXT) | instid1(SALU_CYCLE_1)
	s_and_saveexec_b32 s3, s1
	s_xor_b32 s1, exec_lo, s3
; %bb.79:                               ;   in Loop: Header=BB391_10 Depth=1
	v_bfe_u32 v51, v1, 16, 1
	s_delay_alu instid0(VALU_DEP_1)
	v_add3_u32 v51, v1, v51, 0x7fff
                                        ; implicit-def: $vgpr1
; %bb.80:                               ;   in Loop: Header=BB391_10 Depth=1
	s_and_not1_saveexec_b32 s3, s1
; %bb.81:                               ;   in Loop: Header=BB391_10 Depth=1
	v_and_b32_e32 v51, 0xffff, v1
	v_or_b32_e32 v52, 0x10000, v1
	s_delay_alu instid0(VALU_DEP_2) | instskip(NEXT) | instid1(VALU_DEP_1)
	v_cmp_eq_u32_e64 s1, 0, v51
	v_cndmask_b32_e64 v51, v52, v1, s1
; %bb.82:                               ;   in Loop: Header=BB391_10 Depth=1
	s_or_b32 exec_lo, exec_lo, s3
	global_load_u16 v1, v[7:8], off offset:136
	s_mov_b32 s3, exec_lo
	s_waitcnt vmcnt(0)
	v_and_b32_e32 v52, 0xff, v1
	v_and_b32_e32 v53, 0xffff, v1
	v_mov_b32_e32 v1, 0
	s_delay_alu instid0(VALU_DEP_3)
	v_cmpx_ne_u16_e32 0, v52
	s_cbranch_execz .LBB391_90
; %bb.83:                               ;   in Loop: Header=BB391_10 Depth=1
	s_delay_alu instid0(VALU_DEP_3) | instskip(NEXT) | instid1(VALU_DEP_1)
	v_and_b32_e32 v1, 0xff, v53
	v_cmp_ne_u16_e64 s1, 0x80, v1
	v_bfrev_b32_e32 v1, 1
	s_delay_alu instid0(VALU_DEP_2)
	s_and_saveexec_b32 s39, s1
	s_cbranch_execz .LBB391_89
; %bb.84:                               ;   in Loop: Header=BB391_10 Depth=1
	v_and_b32_e32 v54, 0x7f, v53
	v_mov_b32_e32 v1, 0x7f800001
	s_mov_b32 s40, exec_lo
	s_delay_alu instid0(VALU_DEP_2)
	v_cmpx_ne_u32_e32 0x7f, v54
	s_cbranch_execz .LBB391_88
; %bb.85:                               ;   in Loop: Header=BB391_10 Depth=1
	v_and_b32_e32 v1, 7, v53
	v_lshrrev_b32_e32 v52, 3, v54
	s_mov_b32 s41, exec_lo
	v_cmpx_gt_u32_e32 8, v54
; %bb.86:                               ;   in Loop: Header=BB391_10 Depth=1
	s_delay_alu instid0(VALU_DEP_3) | instskip(NEXT) | instid1(VALU_DEP_1)
	v_clz_i32_u32_e32 v52, v1
	v_min_u32_e32 v52, 32, v52
	s_delay_alu instid0(VALU_DEP_1) | instskip(SKIP_1) | instid1(VALU_DEP_2)
	v_subrev_nc_u32_e32 v54, 28, v52
	v_sub_nc_u32_e32 v52, 29, v52
	v_lshlrev_b64 v[54:55], v54, v[1:2]
	s_delay_alu instid0(VALU_DEP_1)
	v_and_b32_e32 v1, 7, v54
; %bb.87:                               ;   in Loop: Header=BB391_10 Depth=1
	s_or_b32 exec_lo, exec_lo, s41
	v_lshlrev_b32_e32 v54, 24, v53
	s_delay_alu instid0(VALU_DEP_2) | instskip(SKIP_1) | instid1(VALU_DEP_3)
	v_lshlrev_b32_e32 v1, 20, v1
	v_lshl_add_u32 v52, v52, 23, 0x3c000000
	v_and_b32_e32 v54, 0x80000000, v54
	s_delay_alu instid0(VALU_DEP_1)
	v_or3_b32 v1, v1, v54, v52
.LBB391_88:                             ;   in Loop: Header=BB391_10 Depth=1
	s_or_b32 exec_lo, exec_lo, s40
.LBB391_89:                             ;   in Loop: Header=BB391_10 Depth=1
	s_delay_alu instid0(SALU_CYCLE_1)
	s_or_b32 exec_lo, exec_lo, s39
.LBB391_90:                             ;   in Loop: Header=BB391_10 Depth=1
	s_delay_alu instid0(SALU_CYCLE_1) | instskip(NEXT) | instid1(VALU_DEP_1)
	s_or_b32 exec_lo, exec_lo, s3
	v_mul_f32_e32 v1, s6, v1
	s_delay_alu instid0(VALU_DEP_1) | instskip(NEXT) | instid1(VALU_DEP_1)
	v_and_b32_e32 v52, 0x7f800000, v1
	v_cmp_ne_u32_e64 s1, 0x7f800000, v52
                                        ; implicit-def: $vgpr52
	s_delay_alu instid0(VALU_DEP_1) | instskip(NEXT) | instid1(SALU_CYCLE_1)
	s_and_saveexec_b32 s3, s1
	s_xor_b32 s1, exec_lo, s3
; %bb.91:                               ;   in Loop: Header=BB391_10 Depth=1
	v_bfe_u32 v52, v1, 16, 1
	s_delay_alu instid0(VALU_DEP_1)
	v_add3_u32 v52, v1, v52, 0x7fff
                                        ; implicit-def: $vgpr1
; %bb.92:                               ;   in Loop: Header=BB391_10 Depth=1
	s_and_not1_saveexec_b32 s3, s1
; %bb.93:                               ;   in Loop: Header=BB391_10 Depth=1
	v_and_b32_e32 v52, 0xffff, v1
	v_or_b32_e32 v54, 0x10000, v1
	s_delay_alu instid0(VALU_DEP_2) | instskip(NEXT) | instid1(VALU_DEP_1)
	v_cmp_eq_u32_e64 s1, 0, v52
	v_cndmask_b32_e64 v52, v54, v1, s1
; %bb.94:                               ;   in Loop: Header=BB391_10 Depth=1
	s_or_b32 exec_lo, exec_lo, s3
	v_lshrrev_b16 v54, 8, v53
	v_mov_b32_e32 v1, 0
	s_mov_b32 s3, exec_lo
	s_delay_alu instid0(VALU_DEP_2)
	v_cmpx_ne_u16_e32 0, v54
	s_cbranch_execz .LBB391_102
; %bb.95:                               ;   in Loop: Header=BB391_10 Depth=1
	v_bfrev_b32_e32 v1, 1
	s_mov_b32 s39, exec_lo
	v_cmpx_ne_u16_e32 0x80, v54
	s_cbranch_execz .LBB391_101
; %bb.96:                               ;   in Loop: Header=BB391_10 Depth=1
	v_and_b32_e32 v54, 0xffff, v54
	v_mov_b32_e32 v1, 0x7f800001
	s_mov_b32 s40, exec_lo
	s_delay_alu instid0(VALU_DEP_2) | instskip(NEXT) | instid1(VALU_DEP_1)
	v_and_b32_e32 v55, 0x7f, v54
	v_cmpx_ne_u32_e32 0x7f, v55
	s_cbranch_execz .LBB391_100
; %bb.97:                               ;   in Loop: Header=BB391_10 Depth=1
	v_and_b32_e32 v1, 7, v54
	v_lshrrev_b32_e32 v54, 3, v55
	s_mov_b32 s41, exec_lo
	v_cmpx_gt_u32_e32 8, v55
; %bb.98:                               ;   in Loop: Header=BB391_10 Depth=1
	s_delay_alu instid0(VALU_DEP_3) | instskip(NEXT) | instid1(VALU_DEP_1)
	v_clz_i32_u32_e32 v54, v1
	v_min_u32_e32 v54, 32, v54
	s_delay_alu instid0(VALU_DEP_1) | instskip(SKIP_1) | instid1(VALU_DEP_2)
	v_subrev_nc_u32_e32 v55, 28, v54
	v_sub_nc_u32_e32 v54, 29, v54
	v_lshlrev_b64 v[55:56], v55, v[1:2]
	s_delay_alu instid0(VALU_DEP_1)
	v_and_b32_e32 v1, 7, v55
; %bb.99:                               ;   in Loop: Header=BB391_10 Depth=1
	s_or_b32 exec_lo, exec_lo, s41
	v_lshlrev_b32_e32 v53, 16, v53
	s_delay_alu instid0(VALU_DEP_2) | instskip(SKIP_1) | instid1(VALU_DEP_3)
	v_lshlrev_b32_e32 v1, 20, v1
	v_lshl_add_u32 v54, v54, 23, 0x3c000000
	v_and_b32_e32 v53, 0x80000000, v53
	s_delay_alu instid0(VALU_DEP_1)
	v_or3_b32 v1, v1, v53, v54
.LBB391_100:                            ;   in Loop: Header=BB391_10 Depth=1
	s_or_b32 exec_lo, exec_lo, s40
.LBB391_101:                            ;   in Loop: Header=BB391_10 Depth=1
	s_delay_alu instid0(SALU_CYCLE_1)
	s_or_b32 exec_lo, exec_lo, s39
.LBB391_102:                            ;   in Loop: Header=BB391_10 Depth=1
	s_delay_alu instid0(SALU_CYCLE_1) | instskip(NEXT) | instid1(VALU_DEP_1)
	s_or_b32 exec_lo, exec_lo, s3
	v_mul_f32_e32 v1, s6, v1
	s_delay_alu instid0(VALU_DEP_1) | instskip(NEXT) | instid1(VALU_DEP_1)
	v_and_b32_e32 v53, 0x7f800000, v1
	v_cmp_ne_u32_e64 s1, 0x7f800000, v53
                                        ; implicit-def: $vgpr53
	s_delay_alu instid0(VALU_DEP_1) | instskip(NEXT) | instid1(SALU_CYCLE_1)
	s_and_saveexec_b32 s3, s1
	s_xor_b32 s1, exec_lo, s3
; %bb.103:                              ;   in Loop: Header=BB391_10 Depth=1
	v_bfe_u32 v53, v1, 16, 1
	s_delay_alu instid0(VALU_DEP_1)
	v_add3_u32 v53, v1, v53, 0x7fff
                                        ; implicit-def: $vgpr1
; %bb.104:                              ;   in Loop: Header=BB391_10 Depth=1
	s_and_not1_saveexec_b32 s3, s1
; %bb.105:                              ;   in Loop: Header=BB391_10 Depth=1
	v_and_b32_e32 v53, 0xffff, v1
	v_or_b32_e32 v54, 0x10000, v1
	s_delay_alu instid0(VALU_DEP_2) | instskip(NEXT) | instid1(VALU_DEP_1)
	v_cmp_eq_u32_e64 s1, 0, v53
	v_cndmask_b32_e64 v53, v54, v1, s1
; %bb.106:                              ;   in Loop: Header=BB391_10 Depth=1
	s_or_b32 exec_lo, exec_lo, s3
	global_load_u16 v1, v[7:8], off offset:256
	s_mov_b32 s3, exec_lo
	s_waitcnt vmcnt(0)
	v_and_b32_e32 v54, 0xff, v1
	v_and_b32_e32 v55, 0xffff, v1
	v_mov_b32_e32 v1, 0
	s_delay_alu instid0(VALU_DEP_3)
	v_cmpx_ne_u16_e32 0, v54
	s_cbranch_execz .LBB391_114
; %bb.107:                              ;   in Loop: Header=BB391_10 Depth=1
	s_delay_alu instid0(VALU_DEP_3) | instskip(NEXT) | instid1(VALU_DEP_1)
	v_and_b32_e32 v1, 0xff, v55
	v_cmp_ne_u16_e64 s1, 0x80, v1
	v_bfrev_b32_e32 v1, 1
	s_delay_alu instid0(VALU_DEP_2)
	s_and_saveexec_b32 s39, s1
	s_cbranch_execz .LBB391_113
; %bb.108:                              ;   in Loop: Header=BB391_10 Depth=1
	v_and_b32_e32 v56, 0x7f, v55
	v_mov_b32_e32 v1, 0x7f800001
	s_mov_b32 s40, exec_lo
	s_delay_alu instid0(VALU_DEP_2)
	v_cmpx_ne_u32_e32 0x7f, v56
	s_cbranch_execz .LBB391_112
; %bb.109:                              ;   in Loop: Header=BB391_10 Depth=1
	v_and_b32_e32 v1, 7, v55
	v_lshrrev_b32_e32 v54, 3, v56
	s_mov_b32 s41, exec_lo
	v_cmpx_gt_u32_e32 8, v56
; %bb.110:                              ;   in Loop: Header=BB391_10 Depth=1
	s_delay_alu instid0(VALU_DEP_3) | instskip(NEXT) | instid1(VALU_DEP_1)
	v_clz_i32_u32_e32 v54, v1
	v_min_u32_e32 v54, 32, v54
	s_delay_alu instid0(VALU_DEP_1) | instskip(SKIP_1) | instid1(VALU_DEP_2)
	v_subrev_nc_u32_e32 v56, 28, v54
	v_sub_nc_u32_e32 v54, 29, v54
	v_lshlrev_b64 v[56:57], v56, v[1:2]
	s_delay_alu instid0(VALU_DEP_1)
	v_and_b32_e32 v1, 7, v56
; %bb.111:                              ;   in Loop: Header=BB391_10 Depth=1
	s_or_b32 exec_lo, exec_lo, s41
	v_lshlrev_b32_e32 v56, 24, v55
	s_delay_alu instid0(VALU_DEP_2) | instskip(SKIP_1) | instid1(VALU_DEP_3)
	v_lshlrev_b32_e32 v1, 20, v1
	v_lshl_add_u32 v54, v54, 23, 0x3c000000
	v_and_b32_e32 v56, 0x80000000, v56
	s_delay_alu instid0(VALU_DEP_1)
	v_or3_b32 v1, v1, v56, v54
.LBB391_112:                            ;   in Loop: Header=BB391_10 Depth=1
	s_or_b32 exec_lo, exec_lo, s40
.LBB391_113:                            ;   in Loop: Header=BB391_10 Depth=1
	s_delay_alu instid0(SALU_CYCLE_1)
	s_or_b32 exec_lo, exec_lo, s39
.LBB391_114:                            ;   in Loop: Header=BB391_10 Depth=1
	s_delay_alu instid0(SALU_CYCLE_1) | instskip(NEXT) | instid1(VALU_DEP_1)
	s_or_b32 exec_lo, exec_lo, s3
	v_mul_f32_e32 v1, s6, v1
	s_delay_alu instid0(VALU_DEP_1) | instskip(NEXT) | instid1(VALU_DEP_1)
	v_and_b32_e32 v54, 0x7f800000, v1
	v_cmp_ne_u32_e64 s1, 0x7f800000, v54
                                        ; implicit-def: $vgpr54
	s_delay_alu instid0(VALU_DEP_1) | instskip(NEXT) | instid1(SALU_CYCLE_1)
	s_and_saveexec_b32 s3, s1
	s_xor_b32 s1, exec_lo, s3
; %bb.115:                              ;   in Loop: Header=BB391_10 Depth=1
	v_bfe_u32 v54, v1, 16, 1
	s_delay_alu instid0(VALU_DEP_1)
	v_add3_u32 v54, v1, v54, 0x7fff
                                        ; implicit-def: $vgpr1
; %bb.116:                              ;   in Loop: Header=BB391_10 Depth=1
	s_and_not1_saveexec_b32 s3, s1
; %bb.117:                              ;   in Loop: Header=BB391_10 Depth=1
	v_and_b32_e32 v54, 0xffff, v1
	v_or_b32_e32 v56, 0x10000, v1
	s_delay_alu instid0(VALU_DEP_2) | instskip(NEXT) | instid1(VALU_DEP_1)
	v_cmp_eq_u32_e64 s1, 0, v54
	v_cndmask_b32_e64 v54, v56, v1, s1
; %bb.118:                              ;   in Loop: Header=BB391_10 Depth=1
	s_or_b32 exec_lo, exec_lo, s3
	v_lshrrev_b16 v56, 8, v55
	v_mov_b32_e32 v1, 0
	s_mov_b32 s3, exec_lo
	s_delay_alu instid0(VALU_DEP_2)
	v_cmpx_ne_u16_e32 0, v56
	s_cbranch_execz .LBB391_126
; %bb.119:                              ;   in Loop: Header=BB391_10 Depth=1
	v_bfrev_b32_e32 v1, 1
	s_mov_b32 s39, exec_lo
	v_cmpx_ne_u16_e32 0x80, v56
	s_cbranch_execz .LBB391_125
; %bb.120:                              ;   in Loop: Header=BB391_10 Depth=1
	v_and_b32_e32 v56, 0xffff, v56
	v_mov_b32_e32 v1, 0x7f800001
	s_mov_b32 s40, exec_lo
	s_delay_alu instid0(VALU_DEP_2) | instskip(NEXT) | instid1(VALU_DEP_1)
	v_and_b32_e32 v57, 0x7f, v56
	v_cmpx_ne_u32_e32 0x7f, v57
	s_cbranch_execz .LBB391_124
; %bb.121:                              ;   in Loop: Header=BB391_10 Depth=1
	v_and_b32_e32 v1, 7, v56
	v_lshrrev_b32_e32 v56, 3, v57
	s_mov_b32 s41, exec_lo
	v_cmpx_gt_u32_e32 8, v57
; %bb.122:                              ;   in Loop: Header=BB391_10 Depth=1
	s_delay_alu instid0(VALU_DEP_3) | instskip(NEXT) | instid1(VALU_DEP_1)
	v_clz_i32_u32_e32 v56, v1
	v_min_u32_e32 v56, 32, v56
	s_delay_alu instid0(VALU_DEP_1) | instskip(SKIP_1) | instid1(VALU_DEP_2)
	v_subrev_nc_u32_e32 v57, 28, v56
	v_sub_nc_u32_e32 v56, 29, v56
	v_lshlrev_b64 v[57:58], v57, v[1:2]
	s_delay_alu instid0(VALU_DEP_1)
	v_and_b32_e32 v1, 7, v57
; %bb.123:                              ;   in Loop: Header=BB391_10 Depth=1
	s_or_b32 exec_lo, exec_lo, s41
	v_lshlrev_b32_e32 v55, 16, v55
	s_delay_alu instid0(VALU_DEP_2) | instskip(SKIP_1) | instid1(VALU_DEP_3)
	v_lshlrev_b32_e32 v1, 20, v1
	v_lshl_add_u32 v56, v56, 23, 0x3c000000
	v_and_b32_e32 v55, 0x80000000, v55
	s_delay_alu instid0(VALU_DEP_1)
	v_or3_b32 v1, v1, v55, v56
.LBB391_124:                            ;   in Loop: Header=BB391_10 Depth=1
	s_or_b32 exec_lo, exec_lo, s40
.LBB391_125:                            ;   in Loop: Header=BB391_10 Depth=1
	s_delay_alu instid0(SALU_CYCLE_1)
	s_or_b32 exec_lo, exec_lo, s39
.LBB391_126:                            ;   in Loop: Header=BB391_10 Depth=1
	s_delay_alu instid0(SALU_CYCLE_1) | instskip(NEXT) | instid1(VALU_DEP_1)
	s_or_b32 exec_lo, exec_lo, s3
	v_mul_f32_e32 v1, s6, v1
	s_delay_alu instid0(VALU_DEP_1) | instskip(NEXT) | instid1(VALU_DEP_1)
	v_and_b32_e32 v55, 0x7f800000, v1
	v_cmp_ne_u32_e64 s1, 0x7f800000, v55
                                        ; implicit-def: $vgpr55
	s_delay_alu instid0(VALU_DEP_1) | instskip(NEXT) | instid1(SALU_CYCLE_1)
	s_and_saveexec_b32 s3, s1
	s_xor_b32 s1, exec_lo, s3
; %bb.127:                              ;   in Loop: Header=BB391_10 Depth=1
	v_bfe_u32 v55, v1, 16, 1
	s_delay_alu instid0(VALU_DEP_1)
	v_add3_u32 v55, v1, v55, 0x7fff
                                        ; implicit-def: $vgpr1
; %bb.128:                              ;   in Loop: Header=BB391_10 Depth=1
	s_and_not1_saveexec_b32 s3, s1
; %bb.129:                              ;   in Loop: Header=BB391_10 Depth=1
	v_and_b32_e32 v55, 0xffff, v1
	v_or_b32_e32 v56, 0x10000, v1
	s_delay_alu instid0(VALU_DEP_2) | instskip(NEXT) | instid1(VALU_DEP_1)
	v_cmp_eq_u32_e64 s1, 0, v55
	v_cndmask_b32_e64 v55, v56, v1, s1
; %bb.130:                              ;   in Loop: Header=BB391_10 Depth=1
	s_or_b32 exec_lo, exec_lo, s3
	global_load_u16 v1, v[7:8], off offset:264
	s_mov_b32 s3, exec_lo
	s_waitcnt vmcnt(0)
	v_and_b32_e32 v56, 0xff, v1
	v_and_b32_e32 v57, 0xffff, v1
	v_mov_b32_e32 v1, 0
	s_delay_alu instid0(VALU_DEP_3)
	v_cmpx_ne_u16_e32 0, v56
	s_cbranch_execz .LBB391_138
; %bb.131:                              ;   in Loop: Header=BB391_10 Depth=1
	s_delay_alu instid0(VALU_DEP_3) | instskip(NEXT) | instid1(VALU_DEP_1)
	v_and_b32_e32 v1, 0xff, v57
	v_cmp_ne_u16_e64 s1, 0x80, v1
	v_bfrev_b32_e32 v1, 1
	s_delay_alu instid0(VALU_DEP_2)
	s_and_saveexec_b32 s39, s1
	s_cbranch_execz .LBB391_137
; %bb.132:                              ;   in Loop: Header=BB391_10 Depth=1
	v_and_b32_e32 v58, 0x7f, v57
	v_mov_b32_e32 v1, 0x7f800001
	s_mov_b32 s40, exec_lo
	s_delay_alu instid0(VALU_DEP_2)
	v_cmpx_ne_u32_e32 0x7f, v58
	s_cbranch_execz .LBB391_136
; %bb.133:                              ;   in Loop: Header=BB391_10 Depth=1
	v_and_b32_e32 v1, 7, v57
	v_lshrrev_b32_e32 v56, 3, v58
	s_mov_b32 s41, exec_lo
	v_cmpx_gt_u32_e32 8, v58
; %bb.134:                              ;   in Loop: Header=BB391_10 Depth=1
	s_delay_alu instid0(VALU_DEP_3) | instskip(NEXT) | instid1(VALU_DEP_1)
	v_clz_i32_u32_e32 v56, v1
	v_min_u32_e32 v56, 32, v56
	s_delay_alu instid0(VALU_DEP_1) | instskip(SKIP_1) | instid1(VALU_DEP_2)
	v_subrev_nc_u32_e32 v58, 28, v56
	v_sub_nc_u32_e32 v56, 29, v56
	v_lshlrev_b64 v[58:59], v58, v[1:2]
	s_delay_alu instid0(VALU_DEP_1)
	v_and_b32_e32 v1, 7, v58
; %bb.135:                              ;   in Loop: Header=BB391_10 Depth=1
	s_or_b32 exec_lo, exec_lo, s41
	v_lshlrev_b32_e32 v58, 24, v57
	s_delay_alu instid0(VALU_DEP_2) | instskip(SKIP_1) | instid1(VALU_DEP_3)
	v_lshlrev_b32_e32 v1, 20, v1
	v_lshl_add_u32 v56, v56, 23, 0x3c000000
	v_and_b32_e32 v58, 0x80000000, v58
	s_delay_alu instid0(VALU_DEP_1)
	v_or3_b32 v1, v1, v58, v56
.LBB391_136:                            ;   in Loop: Header=BB391_10 Depth=1
	s_or_b32 exec_lo, exec_lo, s40
.LBB391_137:                            ;   in Loop: Header=BB391_10 Depth=1
	s_delay_alu instid0(SALU_CYCLE_1)
	s_or_b32 exec_lo, exec_lo, s39
.LBB391_138:                            ;   in Loop: Header=BB391_10 Depth=1
	s_delay_alu instid0(SALU_CYCLE_1) | instskip(NEXT) | instid1(VALU_DEP_1)
	s_or_b32 exec_lo, exec_lo, s3
	v_mul_f32_e32 v1, s6, v1
	s_delay_alu instid0(VALU_DEP_1) | instskip(NEXT) | instid1(VALU_DEP_1)
	v_and_b32_e32 v56, 0x7f800000, v1
	v_cmp_ne_u32_e64 s1, 0x7f800000, v56
                                        ; implicit-def: $vgpr56
	s_delay_alu instid0(VALU_DEP_1) | instskip(NEXT) | instid1(SALU_CYCLE_1)
	s_and_saveexec_b32 s3, s1
	s_xor_b32 s1, exec_lo, s3
; %bb.139:                              ;   in Loop: Header=BB391_10 Depth=1
	v_bfe_u32 v56, v1, 16, 1
	s_delay_alu instid0(VALU_DEP_1)
	v_add3_u32 v56, v1, v56, 0x7fff
                                        ; implicit-def: $vgpr1
; %bb.140:                              ;   in Loop: Header=BB391_10 Depth=1
	s_and_not1_saveexec_b32 s3, s1
; %bb.141:                              ;   in Loop: Header=BB391_10 Depth=1
	v_and_b32_e32 v56, 0xffff, v1
	v_or_b32_e32 v58, 0x10000, v1
	s_delay_alu instid0(VALU_DEP_2) | instskip(NEXT) | instid1(VALU_DEP_1)
	v_cmp_eq_u32_e64 s1, 0, v56
	v_cndmask_b32_e64 v56, v58, v1, s1
; %bb.142:                              ;   in Loop: Header=BB391_10 Depth=1
	s_or_b32 exec_lo, exec_lo, s3
	v_lshrrev_b16 v58, 8, v57
	v_mov_b32_e32 v1, 0
	s_mov_b32 s3, exec_lo
	s_delay_alu instid0(VALU_DEP_2)
	v_cmpx_ne_u16_e32 0, v58
	s_cbranch_execz .LBB391_150
; %bb.143:                              ;   in Loop: Header=BB391_10 Depth=1
	v_bfrev_b32_e32 v1, 1
	s_mov_b32 s39, exec_lo
	v_cmpx_ne_u16_e32 0x80, v58
	s_cbranch_execz .LBB391_149
; %bb.144:                              ;   in Loop: Header=BB391_10 Depth=1
	v_and_b32_e32 v58, 0xffff, v58
	v_mov_b32_e32 v1, 0x7f800001
	s_mov_b32 s40, exec_lo
	s_delay_alu instid0(VALU_DEP_2) | instskip(NEXT) | instid1(VALU_DEP_1)
	v_and_b32_e32 v59, 0x7f, v58
	v_cmpx_ne_u32_e32 0x7f, v59
	s_cbranch_execz .LBB391_148
; %bb.145:                              ;   in Loop: Header=BB391_10 Depth=1
	v_and_b32_e32 v1, 7, v58
	v_lshrrev_b32_e32 v58, 3, v59
	s_mov_b32 s41, exec_lo
	v_cmpx_gt_u32_e32 8, v59
; %bb.146:                              ;   in Loop: Header=BB391_10 Depth=1
	s_delay_alu instid0(VALU_DEP_3) | instskip(NEXT) | instid1(VALU_DEP_1)
	v_clz_i32_u32_e32 v58, v1
	v_min_u32_e32 v58, 32, v58
	s_delay_alu instid0(VALU_DEP_1) | instskip(SKIP_1) | instid1(VALU_DEP_2)
	v_subrev_nc_u32_e32 v59, 28, v58
	v_sub_nc_u32_e32 v58, 29, v58
	v_lshlrev_b64 v[59:60], v59, v[1:2]
	s_delay_alu instid0(VALU_DEP_1)
	v_and_b32_e32 v1, 7, v59
; %bb.147:                              ;   in Loop: Header=BB391_10 Depth=1
	s_or_b32 exec_lo, exec_lo, s41
	v_lshlrev_b32_e32 v57, 16, v57
	s_delay_alu instid0(VALU_DEP_2) | instskip(SKIP_1) | instid1(VALU_DEP_3)
	v_lshlrev_b32_e32 v1, 20, v1
	v_lshl_add_u32 v58, v58, 23, 0x3c000000
	v_and_b32_e32 v57, 0x80000000, v57
	s_delay_alu instid0(VALU_DEP_1)
	v_or3_b32 v1, v1, v57, v58
.LBB391_148:                            ;   in Loop: Header=BB391_10 Depth=1
	s_or_b32 exec_lo, exec_lo, s40
.LBB391_149:                            ;   in Loop: Header=BB391_10 Depth=1
	s_delay_alu instid0(SALU_CYCLE_1)
	s_or_b32 exec_lo, exec_lo, s39
.LBB391_150:                            ;   in Loop: Header=BB391_10 Depth=1
	s_delay_alu instid0(SALU_CYCLE_1) | instskip(NEXT) | instid1(VALU_DEP_1)
	s_or_b32 exec_lo, exec_lo, s3
	v_mul_f32_e32 v1, s6, v1
	s_delay_alu instid0(VALU_DEP_1) | instskip(NEXT) | instid1(VALU_DEP_1)
	v_and_b32_e32 v57, 0x7f800000, v1
	v_cmp_ne_u32_e64 s1, 0x7f800000, v57
                                        ; implicit-def: $vgpr57
	s_delay_alu instid0(VALU_DEP_1) | instskip(NEXT) | instid1(SALU_CYCLE_1)
	s_and_saveexec_b32 s3, s1
	s_xor_b32 s1, exec_lo, s3
; %bb.151:                              ;   in Loop: Header=BB391_10 Depth=1
	v_bfe_u32 v57, v1, 16, 1
	s_delay_alu instid0(VALU_DEP_1)
	v_add3_u32 v57, v1, v57, 0x7fff
                                        ; implicit-def: $vgpr1
; %bb.152:                              ;   in Loop: Header=BB391_10 Depth=1
	s_and_not1_saveexec_b32 s3, s1
; %bb.153:                              ;   in Loop: Header=BB391_10 Depth=1
	v_and_b32_e32 v57, 0xffff, v1
	v_or_b32_e32 v58, 0x10000, v1
	s_delay_alu instid0(VALU_DEP_2) | instskip(NEXT) | instid1(VALU_DEP_1)
	v_cmp_eq_u32_e64 s1, 0, v57
	v_cndmask_b32_e64 v57, v58, v1, s1
; %bb.154:                              ;   in Loop: Header=BB391_10 Depth=1
	s_or_b32 exec_lo, exec_lo, s3
	global_load_u16 v1, v[7:8], off offset:384
	s_mov_b32 s3, exec_lo
	s_waitcnt vmcnt(0)
	v_and_b32_e32 v58, 0xff, v1
	v_and_b32_e32 v59, 0xffff, v1
	v_mov_b32_e32 v1, 0
	s_delay_alu instid0(VALU_DEP_3)
	v_cmpx_ne_u16_e32 0, v58
	s_cbranch_execz .LBB391_162
; %bb.155:                              ;   in Loop: Header=BB391_10 Depth=1
	s_delay_alu instid0(VALU_DEP_3) | instskip(NEXT) | instid1(VALU_DEP_1)
	v_and_b32_e32 v1, 0xff, v59
	v_cmp_ne_u16_e64 s1, 0x80, v1
	v_bfrev_b32_e32 v1, 1
	s_delay_alu instid0(VALU_DEP_2)
	s_and_saveexec_b32 s39, s1
	s_cbranch_execz .LBB391_161
; %bb.156:                              ;   in Loop: Header=BB391_10 Depth=1
	v_and_b32_e32 v60, 0x7f, v59
	v_mov_b32_e32 v1, 0x7f800001
	s_mov_b32 s40, exec_lo
	s_delay_alu instid0(VALU_DEP_2)
	v_cmpx_ne_u32_e32 0x7f, v60
	s_cbranch_execz .LBB391_160
; %bb.157:                              ;   in Loop: Header=BB391_10 Depth=1
	v_and_b32_e32 v1, 7, v59
	v_lshrrev_b32_e32 v58, 3, v60
	s_mov_b32 s41, exec_lo
	v_cmpx_gt_u32_e32 8, v60
; %bb.158:                              ;   in Loop: Header=BB391_10 Depth=1
	s_delay_alu instid0(VALU_DEP_3) | instskip(NEXT) | instid1(VALU_DEP_1)
	v_clz_i32_u32_e32 v58, v1
	v_min_u32_e32 v58, 32, v58
	s_delay_alu instid0(VALU_DEP_1) | instskip(SKIP_1) | instid1(VALU_DEP_2)
	v_subrev_nc_u32_e32 v60, 28, v58
	v_sub_nc_u32_e32 v58, 29, v58
	v_lshlrev_b64 v[60:61], v60, v[1:2]
	s_delay_alu instid0(VALU_DEP_1)
	v_and_b32_e32 v1, 7, v60
; %bb.159:                              ;   in Loop: Header=BB391_10 Depth=1
	s_or_b32 exec_lo, exec_lo, s41
	v_lshlrev_b32_e32 v60, 24, v59
	s_delay_alu instid0(VALU_DEP_2) | instskip(SKIP_1) | instid1(VALU_DEP_3)
	v_lshlrev_b32_e32 v1, 20, v1
	v_lshl_add_u32 v58, v58, 23, 0x3c000000
	v_and_b32_e32 v60, 0x80000000, v60
	s_delay_alu instid0(VALU_DEP_1)
	v_or3_b32 v1, v1, v60, v58
.LBB391_160:                            ;   in Loop: Header=BB391_10 Depth=1
	s_or_b32 exec_lo, exec_lo, s40
.LBB391_161:                            ;   in Loop: Header=BB391_10 Depth=1
	s_delay_alu instid0(SALU_CYCLE_1)
	s_or_b32 exec_lo, exec_lo, s39
.LBB391_162:                            ;   in Loop: Header=BB391_10 Depth=1
	s_delay_alu instid0(SALU_CYCLE_1) | instskip(NEXT) | instid1(VALU_DEP_1)
	s_or_b32 exec_lo, exec_lo, s3
	v_mul_f32_e32 v1, s6, v1
	s_delay_alu instid0(VALU_DEP_1) | instskip(NEXT) | instid1(VALU_DEP_1)
	v_and_b32_e32 v58, 0x7f800000, v1
	v_cmp_ne_u32_e64 s1, 0x7f800000, v58
                                        ; implicit-def: $vgpr58
	s_delay_alu instid0(VALU_DEP_1) | instskip(NEXT) | instid1(SALU_CYCLE_1)
	s_and_saveexec_b32 s3, s1
	s_xor_b32 s1, exec_lo, s3
; %bb.163:                              ;   in Loop: Header=BB391_10 Depth=1
	v_bfe_u32 v58, v1, 16, 1
	s_delay_alu instid0(VALU_DEP_1)
	v_add3_u32 v58, v1, v58, 0x7fff
                                        ; implicit-def: $vgpr1
; %bb.164:                              ;   in Loop: Header=BB391_10 Depth=1
	s_and_not1_saveexec_b32 s3, s1
; %bb.165:                              ;   in Loop: Header=BB391_10 Depth=1
	v_and_b32_e32 v58, 0xffff, v1
	v_or_b32_e32 v60, 0x10000, v1
	s_delay_alu instid0(VALU_DEP_2) | instskip(NEXT) | instid1(VALU_DEP_1)
	v_cmp_eq_u32_e64 s1, 0, v58
	v_cndmask_b32_e64 v58, v60, v1, s1
; %bb.166:                              ;   in Loop: Header=BB391_10 Depth=1
	s_or_b32 exec_lo, exec_lo, s3
	v_lshrrev_b16 v60, 8, v59
	v_mov_b32_e32 v1, 0
	s_mov_b32 s3, exec_lo
	s_delay_alu instid0(VALU_DEP_2)
	v_cmpx_ne_u16_e32 0, v60
	s_cbranch_execz .LBB391_174
; %bb.167:                              ;   in Loop: Header=BB391_10 Depth=1
	v_bfrev_b32_e32 v1, 1
	s_mov_b32 s39, exec_lo
	v_cmpx_ne_u16_e32 0x80, v60
	s_cbranch_execz .LBB391_173
; %bb.168:                              ;   in Loop: Header=BB391_10 Depth=1
	v_and_b32_e32 v60, 0xffff, v60
	v_mov_b32_e32 v1, 0x7f800001
	s_mov_b32 s40, exec_lo
	s_delay_alu instid0(VALU_DEP_2) | instskip(NEXT) | instid1(VALU_DEP_1)
	v_and_b32_e32 v61, 0x7f, v60
	v_cmpx_ne_u32_e32 0x7f, v61
	s_cbranch_execz .LBB391_172
; %bb.169:                              ;   in Loop: Header=BB391_10 Depth=1
	v_and_b32_e32 v1, 7, v60
	v_lshrrev_b32_e32 v60, 3, v61
	s_mov_b32 s41, exec_lo
	v_cmpx_gt_u32_e32 8, v61
; %bb.170:                              ;   in Loop: Header=BB391_10 Depth=1
	s_delay_alu instid0(VALU_DEP_3) | instskip(NEXT) | instid1(VALU_DEP_1)
	v_clz_i32_u32_e32 v60, v1
	v_min_u32_e32 v60, 32, v60
	s_delay_alu instid0(VALU_DEP_1) | instskip(SKIP_1) | instid1(VALU_DEP_2)
	v_subrev_nc_u32_e32 v61, 28, v60
	v_sub_nc_u32_e32 v60, 29, v60
	v_lshlrev_b64 v[61:62], v61, v[1:2]
	s_delay_alu instid0(VALU_DEP_1)
	v_and_b32_e32 v1, 7, v61
; %bb.171:                              ;   in Loop: Header=BB391_10 Depth=1
	s_or_b32 exec_lo, exec_lo, s41
	v_lshlrev_b32_e32 v59, 16, v59
	s_delay_alu instid0(VALU_DEP_2) | instskip(SKIP_1) | instid1(VALU_DEP_3)
	v_lshlrev_b32_e32 v1, 20, v1
	v_lshl_add_u32 v60, v60, 23, 0x3c000000
	v_and_b32_e32 v59, 0x80000000, v59
	s_delay_alu instid0(VALU_DEP_1)
	v_or3_b32 v1, v1, v59, v60
.LBB391_172:                            ;   in Loop: Header=BB391_10 Depth=1
	s_or_b32 exec_lo, exec_lo, s40
.LBB391_173:                            ;   in Loop: Header=BB391_10 Depth=1
	s_delay_alu instid0(SALU_CYCLE_1)
	s_or_b32 exec_lo, exec_lo, s39
.LBB391_174:                            ;   in Loop: Header=BB391_10 Depth=1
	s_delay_alu instid0(SALU_CYCLE_1) | instskip(NEXT) | instid1(VALU_DEP_1)
	s_or_b32 exec_lo, exec_lo, s3
	v_mul_f32_e32 v1, s6, v1
	s_delay_alu instid0(VALU_DEP_1) | instskip(NEXT) | instid1(VALU_DEP_1)
	v_and_b32_e32 v59, 0x7f800000, v1
	v_cmp_ne_u32_e64 s1, 0x7f800000, v59
                                        ; implicit-def: $vgpr59
	s_delay_alu instid0(VALU_DEP_1) | instskip(NEXT) | instid1(SALU_CYCLE_1)
	s_and_saveexec_b32 s3, s1
	s_xor_b32 s1, exec_lo, s3
; %bb.175:                              ;   in Loop: Header=BB391_10 Depth=1
	v_bfe_u32 v59, v1, 16, 1
	s_delay_alu instid0(VALU_DEP_1)
	v_add3_u32 v59, v1, v59, 0x7fff
                                        ; implicit-def: $vgpr1
; %bb.176:                              ;   in Loop: Header=BB391_10 Depth=1
	s_and_not1_saveexec_b32 s3, s1
; %bb.177:                              ;   in Loop: Header=BB391_10 Depth=1
	v_and_b32_e32 v59, 0xffff, v1
	v_or_b32_e32 v60, 0x10000, v1
	s_delay_alu instid0(VALU_DEP_2) | instskip(NEXT) | instid1(VALU_DEP_1)
	v_cmp_eq_u32_e64 s1, 0, v59
	v_cndmask_b32_e64 v59, v60, v1, s1
; %bb.178:                              ;   in Loop: Header=BB391_10 Depth=1
	s_or_b32 exec_lo, exec_lo, s3
	global_load_u16 v1, v[7:8], off offset:392
	s_mov_b32 s3, exec_lo
	s_waitcnt vmcnt(0)
	v_and_b32_e32 v60, 0xff, v1
	v_and_b32_e32 v61, 0xffff, v1
	v_mov_b32_e32 v1, 0
	s_delay_alu instid0(VALU_DEP_3)
	v_cmpx_ne_u16_e32 0, v60
	s_cbranch_execz .LBB391_186
; %bb.179:                              ;   in Loop: Header=BB391_10 Depth=1
	s_delay_alu instid0(VALU_DEP_3) | instskip(NEXT) | instid1(VALU_DEP_1)
	v_and_b32_e32 v1, 0xff, v61
	v_cmp_ne_u16_e64 s1, 0x80, v1
	v_bfrev_b32_e32 v1, 1
	s_delay_alu instid0(VALU_DEP_2)
	s_and_saveexec_b32 s39, s1
	s_cbranch_execz .LBB391_185
; %bb.180:                              ;   in Loop: Header=BB391_10 Depth=1
	v_and_b32_e32 v62, 0x7f, v61
	v_mov_b32_e32 v1, 0x7f800001
	s_mov_b32 s40, exec_lo
	s_delay_alu instid0(VALU_DEP_2)
	v_cmpx_ne_u32_e32 0x7f, v62
	s_cbranch_execz .LBB391_184
; %bb.181:                              ;   in Loop: Header=BB391_10 Depth=1
	v_and_b32_e32 v1, 7, v61
	v_lshrrev_b32_e32 v60, 3, v62
	s_mov_b32 s41, exec_lo
	v_cmpx_gt_u32_e32 8, v62
; %bb.182:                              ;   in Loop: Header=BB391_10 Depth=1
	s_delay_alu instid0(VALU_DEP_3) | instskip(NEXT) | instid1(VALU_DEP_1)
	v_clz_i32_u32_e32 v60, v1
	v_min_u32_e32 v60, 32, v60
	s_delay_alu instid0(VALU_DEP_1) | instskip(SKIP_1) | instid1(VALU_DEP_2)
	v_subrev_nc_u32_e32 v62, 28, v60
	v_sub_nc_u32_e32 v60, 29, v60
	v_lshlrev_b64 v[62:63], v62, v[1:2]
	s_delay_alu instid0(VALU_DEP_1)
	v_and_b32_e32 v1, 7, v62
; %bb.183:                              ;   in Loop: Header=BB391_10 Depth=1
	s_or_b32 exec_lo, exec_lo, s41
	v_lshlrev_b32_e32 v62, 24, v61
	s_delay_alu instid0(VALU_DEP_2) | instskip(SKIP_1) | instid1(VALU_DEP_3)
	v_lshlrev_b32_e32 v1, 20, v1
	v_lshl_add_u32 v60, v60, 23, 0x3c000000
	v_and_b32_e32 v62, 0x80000000, v62
	s_delay_alu instid0(VALU_DEP_1)
	v_or3_b32 v1, v1, v62, v60
.LBB391_184:                            ;   in Loop: Header=BB391_10 Depth=1
	s_or_b32 exec_lo, exec_lo, s40
.LBB391_185:                            ;   in Loop: Header=BB391_10 Depth=1
	s_delay_alu instid0(SALU_CYCLE_1)
	s_or_b32 exec_lo, exec_lo, s39
.LBB391_186:                            ;   in Loop: Header=BB391_10 Depth=1
	s_delay_alu instid0(SALU_CYCLE_1) | instskip(NEXT) | instid1(VALU_DEP_1)
	s_or_b32 exec_lo, exec_lo, s3
	v_mul_f32_e32 v1, s6, v1
	s_delay_alu instid0(VALU_DEP_1) | instskip(NEXT) | instid1(VALU_DEP_1)
	v_and_b32_e32 v60, 0x7f800000, v1
	v_cmp_ne_u32_e64 s1, 0x7f800000, v60
                                        ; implicit-def: $vgpr60
	s_delay_alu instid0(VALU_DEP_1) | instskip(NEXT) | instid1(SALU_CYCLE_1)
	s_and_saveexec_b32 s3, s1
	s_xor_b32 s1, exec_lo, s3
; %bb.187:                              ;   in Loop: Header=BB391_10 Depth=1
	v_bfe_u32 v60, v1, 16, 1
	s_delay_alu instid0(VALU_DEP_1)
	v_add3_u32 v60, v1, v60, 0x7fff
                                        ; implicit-def: $vgpr1
; %bb.188:                              ;   in Loop: Header=BB391_10 Depth=1
	s_and_not1_saveexec_b32 s3, s1
; %bb.189:                              ;   in Loop: Header=BB391_10 Depth=1
	v_and_b32_e32 v60, 0xffff, v1
	v_or_b32_e32 v62, 0x10000, v1
	s_delay_alu instid0(VALU_DEP_2) | instskip(NEXT) | instid1(VALU_DEP_1)
	v_cmp_eq_u32_e64 s1, 0, v60
	v_cndmask_b32_e64 v60, v62, v1, s1
; %bb.190:                              ;   in Loop: Header=BB391_10 Depth=1
	s_or_b32 exec_lo, exec_lo, s3
	v_lshrrev_b16 v62, 8, v61
	v_mov_b32_e32 v1, 0
	s_mov_b32 s3, exec_lo
	s_delay_alu instid0(VALU_DEP_2)
	v_cmpx_ne_u16_e32 0, v62
	s_cbranch_execz .LBB391_198
; %bb.191:                              ;   in Loop: Header=BB391_10 Depth=1
	v_bfrev_b32_e32 v1, 1
	s_mov_b32 s39, exec_lo
	v_cmpx_ne_u16_e32 0x80, v62
	s_cbranch_execz .LBB391_197
; %bb.192:                              ;   in Loop: Header=BB391_10 Depth=1
	v_and_b32_e32 v62, 0xffff, v62
	v_mov_b32_e32 v1, 0x7f800001
	s_mov_b32 s40, exec_lo
	s_delay_alu instid0(VALU_DEP_2) | instskip(NEXT) | instid1(VALU_DEP_1)
	v_and_b32_e32 v63, 0x7f, v62
	v_cmpx_ne_u32_e32 0x7f, v63
	s_cbranch_execz .LBB391_196
; %bb.193:                              ;   in Loop: Header=BB391_10 Depth=1
	v_and_b32_e32 v1, 7, v62
	v_lshrrev_b32_e32 v62, 3, v63
	s_mov_b32 s41, exec_lo
	v_cmpx_gt_u32_e32 8, v63
; %bb.194:                              ;   in Loop: Header=BB391_10 Depth=1
	s_delay_alu instid0(VALU_DEP_3) | instskip(NEXT) | instid1(VALU_DEP_1)
	v_clz_i32_u32_e32 v62, v1
	v_min_u32_e32 v62, 32, v62
	s_delay_alu instid0(VALU_DEP_1) | instskip(SKIP_1) | instid1(VALU_DEP_2)
	v_subrev_nc_u32_e32 v63, 28, v62
	v_sub_nc_u32_e32 v62, 29, v62
	v_lshlrev_b64 v[63:64], v63, v[1:2]
	s_delay_alu instid0(VALU_DEP_1)
	v_and_b32_e32 v1, 7, v63
; %bb.195:                              ;   in Loop: Header=BB391_10 Depth=1
	s_or_b32 exec_lo, exec_lo, s41
	v_lshlrev_b32_e32 v61, 16, v61
	s_delay_alu instid0(VALU_DEP_2) | instskip(SKIP_1) | instid1(VALU_DEP_3)
	v_lshlrev_b32_e32 v1, 20, v1
	v_lshl_add_u32 v62, v62, 23, 0x3c000000
	v_and_b32_e32 v61, 0x80000000, v61
	s_delay_alu instid0(VALU_DEP_1)
	v_or3_b32 v1, v1, v61, v62
.LBB391_196:                            ;   in Loop: Header=BB391_10 Depth=1
	s_or_b32 exec_lo, exec_lo, s40
.LBB391_197:                            ;   in Loop: Header=BB391_10 Depth=1
	s_delay_alu instid0(SALU_CYCLE_1)
	s_or_b32 exec_lo, exec_lo, s39
.LBB391_198:                            ;   in Loop: Header=BB391_10 Depth=1
	s_delay_alu instid0(SALU_CYCLE_1) | instskip(NEXT) | instid1(VALU_DEP_1)
	s_or_b32 exec_lo, exec_lo, s3
	v_mul_f32_e32 v1, s6, v1
	s_delay_alu instid0(VALU_DEP_1) | instskip(NEXT) | instid1(VALU_DEP_1)
	v_and_b32_e32 v61, 0x7f800000, v1
	v_cmp_ne_u32_e64 s1, 0x7f800000, v61
                                        ; implicit-def: $vgpr61
	s_delay_alu instid0(VALU_DEP_1) | instskip(NEXT) | instid1(SALU_CYCLE_1)
	s_and_saveexec_b32 s3, s1
	s_xor_b32 s1, exec_lo, s3
; %bb.199:                              ;   in Loop: Header=BB391_10 Depth=1
	v_bfe_u32 v61, v1, 16, 1
	s_delay_alu instid0(VALU_DEP_1)
	v_add3_u32 v61, v1, v61, 0x7fff
                                        ; implicit-def: $vgpr1
; %bb.200:                              ;   in Loop: Header=BB391_10 Depth=1
	s_and_not1_saveexec_b32 s3, s1
; %bb.201:                              ;   in Loop: Header=BB391_10 Depth=1
	v_and_b32_e32 v61, 0xffff, v1
	v_or_b32_e32 v62, 0x10000, v1
	s_delay_alu instid0(VALU_DEP_2) | instskip(NEXT) | instid1(VALU_DEP_1)
	v_cmp_eq_u32_e64 s1, 0, v61
	v_cndmask_b32_e64 v61, v62, v1, s1
; %bb.202:                              ;   in Loop: Header=BB391_10 Depth=1
	s_or_b32 exec_lo, exec_lo, s3
	global_load_u16 v1, v[7:8], off offset:512
	s_mov_b32 s3, exec_lo
	s_waitcnt vmcnt(0)
	v_and_b32_e32 v62, 0xff, v1
	v_and_b32_e32 v63, 0xffff, v1
	v_mov_b32_e32 v1, 0
	s_delay_alu instid0(VALU_DEP_3)
	v_cmpx_ne_u16_e32 0, v62
	s_cbranch_execz .LBB391_210
; %bb.203:                              ;   in Loop: Header=BB391_10 Depth=1
	s_delay_alu instid0(VALU_DEP_3) | instskip(NEXT) | instid1(VALU_DEP_1)
	v_and_b32_e32 v1, 0xff, v63
	v_cmp_ne_u16_e64 s1, 0x80, v1
	v_bfrev_b32_e32 v1, 1
	s_delay_alu instid0(VALU_DEP_2)
	s_and_saveexec_b32 s39, s1
	s_cbranch_execz .LBB391_209
; %bb.204:                              ;   in Loop: Header=BB391_10 Depth=1
	v_and_b32_e32 v64, 0x7f, v63
	v_mov_b32_e32 v1, 0x7f800001
	s_mov_b32 s40, exec_lo
	s_delay_alu instid0(VALU_DEP_2)
	v_cmpx_ne_u32_e32 0x7f, v64
	s_cbranch_execz .LBB391_208
; %bb.205:                              ;   in Loop: Header=BB391_10 Depth=1
	v_and_b32_e32 v1, 7, v63
	v_lshrrev_b32_e32 v62, 3, v64
	s_mov_b32 s41, exec_lo
	v_cmpx_gt_u32_e32 8, v64
; %bb.206:                              ;   in Loop: Header=BB391_10 Depth=1
	s_delay_alu instid0(VALU_DEP_3) | instskip(NEXT) | instid1(VALU_DEP_1)
	v_clz_i32_u32_e32 v62, v1
	v_min_u32_e32 v62, 32, v62
	s_delay_alu instid0(VALU_DEP_1) | instskip(SKIP_1) | instid1(VALU_DEP_2)
	v_subrev_nc_u32_e32 v64, 28, v62
	v_sub_nc_u32_e32 v62, 29, v62
	v_lshlrev_b64 v[64:65], v64, v[1:2]
	s_delay_alu instid0(VALU_DEP_1)
	v_and_b32_e32 v1, 7, v64
; %bb.207:                              ;   in Loop: Header=BB391_10 Depth=1
	s_or_b32 exec_lo, exec_lo, s41
	v_lshlrev_b32_e32 v64, 24, v63
	s_delay_alu instid0(VALU_DEP_2) | instskip(SKIP_1) | instid1(VALU_DEP_3)
	v_lshlrev_b32_e32 v1, 20, v1
	v_lshl_add_u32 v62, v62, 23, 0x3c000000
	v_and_b32_e32 v64, 0x80000000, v64
	s_delay_alu instid0(VALU_DEP_1)
	v_or3_b32 v1, v1, v64, v62
.LBB391_208:                            ;   in Loop: Header=BB391_10 Depth=1
	s_or_b32 exec_lo, exec_lo, s40
.LBB391_209:                            ;   in Loop: Header=BB391_10 Depth=1
	s_delay_alu instid0(SALU_CYCLE_1)
	s_or_b32 exec_lo, exec_lo, s39
.LBB391_210:                            ;   in Loop: Header=BB391_10 Depth=1
	s_delay_alu instid0(SALU_CYCLE_1) | instskip(NEXT) | instid1(VALU_DEP_1)
	s_or_b32 exec_lo, exec_lo, s3
	v_mul_f32_e32 v1, s6, v1
	s_delay_alu instid0(VALU_DEP_1) | instskip(NEXT) | instid1(VALU_DEP_1)
	v_and_b32_e32 v62, 0x7f800000, v1
	v_cmp_ne_u32_e64 s1, 0x7f800000, v62
                                        ; implicit-def: $vgpr62
	s_delay_alu instid0(VALU_DEP_1) | instskip(NEXT) | instid1(SALU_CYCLE_1)
	s_and_saveexec_b32 s3, s1
	s_xor_b32 s1, exec_lo, s3
; %bb.211:                              ;   in Loop: Header=BB391_10 Depth=1
	v_bfe_u32 v62, v1, 16, 1
	s_delay_alu instid0(VALU_DEP_1)
	v_add3_u32 v62, v1, v62, 0x7fff
                                        ; implicit-def: $vgpr1
; %bb.212:                              ;   in Loop: Header=BB391_10 Depth=1
	s_and_not1_saveexec_b32 s3, s1
; %bb.213:                              ;   in Loop: Header=BB391_10 Depth=1
	v_and_b32_e32 v62, 0xffff, v1
	v_or_b32_e32 v64, 0x10000, v1
	s_delay_alu instid0(VALU_DEP_2) | instskip(NEXT) | instid1(VALU_DEP_1)
	v_cmp_eq_u32_e64 s1, 0, v62
	v_cndmask_b32_e64 v62, v64, v1, s1
; %bb.214:                              ;   in Loop: Header=BB391_10 Depth=1
	s_or_b32 exec_lo, exec_lo, s3
	v_lshrrev_b16 v64, 8, v63
	v_mov_b32_e32 v1, 0
	s_mov_b32 s3, exec_lo
	s_delay_alu instid0(VALU_DEP_2)
	v_cmpx_ne_u16_e32 0, v64
	s_cbranch_execz .LBB391_222
; %bb.215:                              ;   in Loop: Header=BB391_10 Depth=1
	v_bfrev_b32_e32 v1, 1
	s_mov_b32 s39, exec_lo
	v_cmpx_ne_u16_e32 0x80, v64
	s_cbranch_execz .LBB391_221
; %bb.216:                              ;   in Loop: Header=BB391_10 Depth=1
	v_and_b32_e32 v64, 0xffff, v64
	v_mov_b32_e32 v1, 0x7f800001
	s_mov_b32 s40, exec_lo
	s_delay_alu instid0(VALU_DEP_2) | instskip(NEXT) | instid1(VALU_DEP_1)
	v_and_b32_e32 v65, 0x7f, v64
	v_cmpx_ne_u32_e32 0x7f, v65
	s_cbranch_execz .LBB391_220
; %bb.217:                              ;   in Loop: Header=BB391_10 Depth=1
	v_and_b32_e32 v1, 7, v64
	v_lshrrev_b32_e32 v64, 3, v65
	s_mov_b32 s41, exec_lo
	v_cmpx_gt_u32_e32 8, v65
; %bb.218:                              ;   in Loop: Header=BB391_10 Depth=1
	s_delay_alu instid0(VALU_DEP_3) | instskip(NEXT) | instid1(VALU_DEP_1)
	v_clz_i32_u32_e32 v64, v1
	v_min_u32_e32 v64, 32, v64
	s_delay_alu instid0(VALU_DEP_1) | instskip(SKIP_1) | instid1(VALU_DEP_2)
	v_subrev_nc_u32_e32 v65, 28, v64
	v_sub_nc_u32_e32 v64, 29, v64
	v_lshlrev_b64 v[65:66], v65, v[1:2]
	s_delay_alu instid0(VALU_DEP_1)
	v_and_b32_e32 v1, 7, v65
; %bb.219:                              ;   in Loop: Header=BB391_10 Depth=1
	s_or_b32 exec_lo, exec_lo, s41
	v_lshlrev_b32_e32 v63, 16, v63
	s_delay_alu instid0(VALU_DEP_2) | instskip(SKIP_1) | instid1(VALU_DEP_3)
	v_lshlrev_b32_e32 v1, 20, v1
	v_lshl_add_u32 v64, v64, 23, 0x3c000000
	v_and_b32_e32 v63, 0x80000000, v63
	s_delay_alu instid0(VALU_DEP_1)
	v_or3_b32 v1, v1, v63, v64
.LBB391_220:                            ;   in Loop: Header=BB391_10 Depth=1
	s_or_b32 exec_lo, exec_lo, s40
.LBB391_221:                            ;   in Loop: Header=BB391_10 Depth=1
	s_delay_alu instid0(SALU_CYCLE_1)
	s_or_b32 exec_lo, exec_lo, s39
.LBB391_222:                            ;   in Loop: Header=BB391_10 Depth=1
	s_delay_alu instid0(SALU_CYCLE_1) | instskip(NEXT) | instid1(VALU_DEP_1)
	s_or_b32 exec_lo, exec_lo, s3
	v_mul_f32_e32 v1, s6, v1
	s_delay_alu instid0(VALU_DEP_1) | instskip(NEXT) | instid1(VALU_DEP_1)
	v_and_b32_e32 v63, 0x7f800000, v1
	v_cmp_ne_u32_e64 s1, 0x7f800000, v63
                                        ; implicit-def: $vgpr63
	s_delay_alu instid0(VALU_DEP_1) | instskip(NEXT) | instid1(SALU_CYCLE_1)
	s_and_saveexec_b32 s3, s1
	s_xor_b32 s1, exec_lo, s3
; %bb.223:                              ;   in Loop: Header=BB391_10 Depth=1
	v_bfe_u32 v63, v1, 16, 1
	s_delay_alu instid0(VALU_DEP_1)
	v_add3_u32 v63, v1, v63, 0x7fff
                                        ; implicit-def: $vgpr1
; %bb.224:                              ;   in Loop: Header=BB391_10 Depth=1
	s_and_not1_saveexec_b32 s3, s1
; %bb.225:                              ;   in Loop: Header=BB391_10 Depth=1
	v_and_b32_e32 v63, 0xffff, v1
	v_or_b32_e32 v64, 0x10000, v1
	s_delay_alu instid0(VALU_DEP_2) | instskip(NEXT) | instid1(VALU_DEP_1)
	v_cmp_eq_u32_e64 s1, 0, v63
	v_cndmask_b32_e64 v63, v64, v1, s1
; %bb.226:                              ;   in Loop: Header=BB391_10 Depth=1
	s_or_b32 exec_lo, exec_lo, s3
	global_load_u16 v1, v[7:8], off offset:520
	s_mov_b32 s3, exec_lo
	s_waitcnt vmcnt(0)
	v_and_b32_e32 v64, 0xff, v1
	v_and_b32_e32 v65, 0xffff, v1
	v_mov_b32_e32 v1, 0
	s_delay_alu instid0(VALU_DEP_3)
	v_cmpx_ne_u16_e32 0, v64
	s_cbranch_execz .LBB391_234
; %bb.227:                              ;   in Loop: Header=BB391_10 Depth=1
	s_delay_alu instid0(VALU_DEP_3) | instskip(NEXT) | instid1(VALU_DEP_1)
	v_and_b32_e32 v1, 0xff, v65
	v_cmp_ne_u16_e64 s1, 0x80, v1
	v_bfrev_b32_e32 v1, 1
	s_delay_alu instid0(VALU_DEP_2)
	s_and_saveexec_b32 s39, s1
	s_cbranch_execz .LBB391_233
; %bb.228:                              ;   in Loop: Header=BB391_10 Depth=1
	v_and_b32_e32 v66, 0x7f, v65
	v_mov_b32_e32 v1, 0x7f800001
	s_mov_b32 s40, exec_lo
	s_delay_alu instid0(VALU_DEP_2)
	v_cmpx_ne_u32_e32 0x7f, v66
	s_cbranch_execz .LBB391_232
; %bb.229:                              ;   in Loop: Header=BB391_10 Depth=1
	v_and_b32_e32 v1, 7, v65
	v_lshrrev_b32_e32 v64, 3, v66
	s_mov_b32 s41, exec_lo
	v_cmpx_gt_u32_e32 8, v66
; %bb.230:                              ;   in Loop: Header=BB391_10 Depth=1
	s_delay_alu instid0(VALU_DEP_3) | instskip(NEXT) | instid1(VALU_DEP_1)
	v_clz_i32_u32_e32 v64, v1
	v_min_u32_e32 v64, 32, v64
	s_delay_alu instid0(VALU_DEP_1) | instskip(SKIP_1) | instid1(VALU_DEP_2)
	v_subrev_nc_u32_e32 v66, 28, v64
	v_sub_nc_u32_e32 v64, 29, v64
	v_lshlrev_b64 v[66:67], v66, v[1:2]
	s_delay_alu instid0(VALU_DEP_1)
	v_and_b32_e32 v1, 7, v66
; %bb.231:                              ;   in Loop: Header=BB391_10 Depth=1
	s_or_b32 exec_lo, exec_lo, s41
	v_lshlrev_b32_e32 v66, 24, v65
	s_delay_alu instid0(VALU_DEP_2) | instskip(SKIP_1) | instid1(VALU_DEP_3)
	v_lshlrev_b32_e32 v1, 20, v1
	v_lshl_add_u32 v64, v64, 23, 0x3c000000
	v_and_b32_e32 v66, 0x80000000, v66
	s_delay_alu instid0(VALU_DEP_1)
	v_or3_b32 v1, v1, v66, v64
.LBB391_232:                            ;   in Loop: Header=BB391_10 Depth=1
	s_or_b32 exec_lo, exec_lo, s40
.LBB391_233:                            ;   in Loop: Header=BB391_10 Depth=1
	s_delay_alu instid0(SALU_CYCLE_1)
	s_or_b32 exec_lo, exec_lo, s39
.LBB391_234:                            ;   in Loop: Header=BB391_10 Depth=1
	s_delay_alu instid0(SALU_CYCLE_1) | instskip(NEXT) | instid1(VALU_DEP_1)
	s_or_b32 exec_lo, exec_lo, s3
	v_mul_f32_e32 v1, s6, v1
	s_delay_alu instid0(VALU_DEP_1) | instskip(NEXT) | instid1(VALU_DEP_1)
	v_and_b32_e32 v64, 0x7f800000, v1
	v_cmp_ne_u32_e64 s1, 0x7f800000, v64
                                        ; implicit-def: $vgpr64
	s_delay_alu instid0(VALU_DEP_1) | instskip(NEXT) | instid1(SALU_CYCLE_1)
	s_and_saveexec_b32 s3, s1
	s_xor_b32 s1, exec_lo, s3
; %bb.235:                              ;   in Loop: Header=BB391_10 Depth=1
	v_bfe_u32 v64, v1, 16, 1
	s_delay_alu instid0(VALU_DEP_1)
	v_add3_u32 v64, v1, v64, 0x7fff
                                        ; implicit-def: $vgpr1
; %bb.236:                              ;   in Loop: Header=BB391_10 Depth=1
	s_and_not1_saveexec_b32 s3, s1
; %bb.237:                              ;   in Loop: Header=BB391_10 Depth=1
	v_and_b32_e32 v64, 0xffff, v1
	v_or_b32_e32 v66, 0x10000, v1
	s_delay_alu instid0(VALU_DEP_2) | instskip(NEXT) | instid1(VALU_DEP_1)
	v_cmp_eq_u32_e64 s1, 0, v64
	v_cndmask_b32_e64 v64, v66, v1, s1
; %bb.238:                              ;   in Loop: Header=BB391_10 Depth=1
	s_or_b32 exec_lo, exec_lo, s3
	v_lshrrev_b16 v66, 8, v65
	v_mov_b32_e32 v1, 0
	s_mov_b32 s3, exec_lo
	s_delay_alu instid0(VALU_DEP_2)
	v_cmpx_ne_u16_e32 0, v66
	s_cbranch_execz .LBB391_246
; %bb.239:                              ;   in Loop: Header=BB391_10 Depth=1
	v_bfrev_b32_e32 v1, 1
	s_mov_b32 s39, exec_lo
	v_cmpx_ne_u16_e32 0x80, v66
	s_cbranch_execz .LBB391_245
; %bb.240:                              ;   in Loop: Header=BB391_10 Depth=1
	v_and_b32_e32 v66, 0xffff, v66
	v_mov_b32_e32 v1, 0x7f800001
	s_mov_b32 s40, exec_lo
	s_delay_alu instid0(VALU_DEP_2) | instskip(NEXT) | instid1(VALU_DEP_1)
	v_and_b32_e32 v67, 0x7f, v66
	v_cmpx_ne_u32_e32 0x7f, v67
	s_cbranch_execz .LBB391_244
; %bb.241:                              ;   in Loop: Header=BB391_10 Depth=1
	v_and_b32_e32 v1, 7, v66
	v_lshrrev_b32_e32 v66, 3, v67
	s_mov_b32 s41, exec_lo
	v_cmpx_gt_u32_e32 8, v67
; %bb.242:                              ;   in Loop: Header=BB391_10 Depth=1
	s_delay_alu instid0(VALU_DEP_3) | instskip(NEXT) | instid1(VALU_DEP_1)
	v_clz_i32_u32_e32 v66, v1
	v_min_u32_e32 v66, 32, v66
	s_delay_alu instid0(VALU_DEP_1) | instskip(SKIP_1) | instid1(VALU_DEP_2)
	v_subrev_nc_u32_e32 v67, 28, v66
	v_sub_nc_u32_e32 v66, 29, v66
	v_lshlrev_b64 v[67:68], v67, v[1:2]
	s_delay_alu instid0(VALU_DEP_1)
	v_and_b32_e32 v1, 7, v67
; %bb.243:                              ;   in Loop: Header=BB391_10 Depth=1
	s_or_b32 exec_lo, exec_lo, s41
	v_lshlrev_b32_e32 v65, 16, v65
	s_delay_alu instid0(VALU_DEP_2) | instskip(SKIP_1) | instid1(VALU_DEP_3)
	v_lshlrev_b32_e32 v1, 20, v1
	v_lshl_add_u32 v66, v66, 23, 0x3c000000
	v_and_b32_e32 v65, 0x80000000, v65
	s_delay_alu instid0(VALU_DEP_1)
	v_or3_b32 v1, v1, v65, v66
.LBB391_244:                            ;   in Loop: Header=BB391_10 Depth=1
	s_or_b32 exec_lo, exec_lo, s40
.LBB391_245:                            ;   in Loop: Header=BB391_10 Depth=1
	s_delay_alu instid0(SALU_CYCLE_1)
	s_or_b32 exec_lo, exec_lo, s39
.LBB391_246:                            ;   in Loop: Header=BB391_10 Depth=1
	s_delay_alu instid0(SALU_CYCLE_1) | instskip(NEXT) | instid1(VALU_DEP_1)
	s_or_b32 exec_lo, exec_lo, s3
	v_mul_f32_e32 v1, s6, v1
	s_delay_alu instid0(VALU_DEP_1) | instskip(NEXT) | instid1(VALU_DEP_1)
	v_and_b32_e32 v65, 0x7f800000, v1
	v_cmp_ne_u32_e64 s1, 0x7f800000, v65
                                        ; implicit-def: $vgpr65
	s_delay_alu instid0(VALU_DEP_1) | instskip(NEXT) | instid1(SALU_CYCLE_1)
	s_and_saveexec_b32 s3, s1
	s_xor_b32 s1, exec_lo, s3
; %bb.247:                              ;   in Loop: Header=BB391_10 Depth=1
	v_bfe_u32 v65, v1, 16, 1
	s_delay_alu instid0(VALU_DEP_1)
	v_add3_u32 v65, v1, v65, 0x7fff
                                        ; implicit-def: $vgpr1
; %bb.248:                              ;   in Loop: Header=BB391_10 Depth=1
	s_and_not1_saveexec_b32 s3, s1
; %bb.249:                              ;   in Loop: Header=BB391_10 Depth=1
	v_and_b32_e32 v65, 0xffff, v1
	v_or_b32_e32 v66, 0x10000, v1
	s_delay_alu instid0(VALU_DEP_2) | instskip(NEXT) | instid1(VALU_DEP_1)
	v_cmp_eq_u32_e64 s1, 0, v65
	v_cndmask_b32_e64 v65, v66, v1, s1
; %bb.250:                              ;   in Loop: Header=BB391_10 Depth=1
	s_or_b32 exec_lo, exec_lo, s3
	global_load_u16 v1, v[7:8], off offset:640
	s_mov_b32 s3, exec_lo
	s_waitcnt vmcnt(0)
	v_and_b32_e32 v66, 0xff, v1
	v_and_b32_e32 v67, 0xffff, v1
	v_mov_b32_e32 v1, 0
	s_delay_alu instid0(VALU_DEP_3)
	v_cmpx_ne_u16_e32 0, v66
	s_cbranch_execz .LBB391_258
; %bb.251:                              ;   in Loop: Header=BB391_10 Depth=1
	s_delay_alu instid0(VALU_DEP_3) | instskip(NEXT) | instid1(VALU_DEP_1)
	v_and_b32_e32 v1, 0xff, v67
	v_cmp_ne_u16_e64 s1, 0x80, v1
	v_bfrev_b32_e32 v1, 1
	s_delay_alu instid0(VALU_DEP_2)
	s_and_saveexec_b32 s39, s1
	s_cbranch_execz .LBB391_257
; %bb.252:                              ;   in Loop: Header=BB391_10 Depth=1
	v_and_b32_e32 v68, 0x7f, v67
	v_mov_b32_e32 v1, 0x7f800001
	s_mov_b32 s40, exec_lo
	s_delay_alu instid0(VALU_DEP_2)
	v_cmpx_ne_u32_e32 0x7f, v68
	s_cbranch_execz .LBB391_256
; %bb.253:                              ;   in Loop: Header=BB391_10 Depth=1
	v_and_b32_e32 v1, 7, v67
	v_lshrrev_b32_e32 v66, 3, v68
	s_mov_b32 s41, exec_lo
	v_cmpx_gt_u32_e32 8, v68
; %bb.254:                              ;   in Loop: Header=BB391_10 Depth=1
	s_delay_alu instid0(VALU_DEP_3) | instskip(NEXT) | instid1(VALU_DEP_1)
	v_clz_i32_u32_e32 v66, v1
	v_min_u32_e32 v66, 32, v66
	s_delay_alu instid0(VALU_DEP_1) | instskip(SKIP_1) | instid1(VALU_DEP_2)
	v_subrev_nc_u32_e32 v68, 28, v66
	v_sub_nc_u32_e32 v66, 29, v66
	v_lshlrev_b64 v[68:69], v68, v[1:2]
	s_delay_alu instid0(VALU_DEP_1)
	v_and_b32_e32 v1, 7, v68
; %bb.255:                              ;   in Loop: Header=BB391_10 Depth=1
	s_or_b32 exec_lo, exec_lo, s41
	v_lshlrev_b32_e32 v68, 24, v67
	s_delay_alu instid0(VALU_DEP_2) | instskip(SKIP_1) | instid1(VALU_DEP_3)
	v_lshlrev_b32_e32 v1, 20, v1
	v_lshl_add_u32 v66, v66, 23, 0x3c000000
	v_and_b32_e32 v68, 0x80000000, v68
	s_delay_alu instid0(VALU_DEP_1)
	v_or3_b32 v1, v1, v68, v66
.LBB391_256:                            ;   in Loop: Header=BB391_10 Depth=1
	s_or_b32 exec_lo, exec_lo, s40
.LBB391_257:                            ;   in Loop: Header=BB391_10 Depth=1
	s_delay_alu instid0(SALU_CYCLE_1)
	s_or_b32 exec_lo, exec_lo, s39
.LBB391_258:                            ;   in Loop: Header=BB391_10 Depth=1
	s_delay_alu instid0(SALU_CYCLE_1) | instskip(NEXT) | instid1(VALU_DEP_1)
	s_or_b32 exec_lo, exec_lo, s3
	v_mul_f32_e32 v1, s6, v1
	s_delay_alu instid0(VALU_DEP_1) | instskip(NEXT) | instid1(VALU_DEP_1)
	v_and_b32_e32 v66, 0x7f800000, v1
	v_cmp_ne_u32_e64 s1, 0x7f800000, v66
                                        ; implicit-def: $vgpr66
	s_delay_alu instid0(VALU_DEP_1) | instskip(NEXT) | instid1(SALU_CYCLE_1)
	s_and_saveexec_b32 s3, s1
	s_xor_b32 s1, exec_lo, s3
; %bb.259:                              ;   in Loop: Header=BB391_10 Depth=1
	v_bfe_u32 v66, v1, 16, 1
	s_delay_alu instid0(VALU_DEP_1)
	v_add3_u32 v66, v1, v66, 0x7fff
                                        ; implicit-def: $vgpr1
; %bb.260:                              ;   in Loop: Header=BB391_10 Depth=1
	s_and_not1_saveexec_b32 s3, s1
; %bb.261:                              ;   in Loop: Header=BB391_10 Depth=1
	v_and_b32_e32 v66, 0xffff, v1
	v_or_b32_e32 v68, 0x10000, v1
	s_delay_alu instid0(VALU_DEP_2) | instskip(NEXT) | instid1(VALU_DEP_1)
	v_cmp_eq_u32_e64 s1, 0, v66
	v_cndmask_b32_e64 v66, v68, v1, s1
; %bb.262:                              ;   in Loop: Header=BB391_10 Depth=1
	s_or_b32 exec_lo, exec_lo, s3
	v_lshrrev_b16 v68, 8, v67
	v_mov_b32_e32 v1, 0
	s_mov_b32 s3, exec_lo
	s_delay_alu instid0(VALU_DEP_2)
	v_cmpx_ne_u16_e32 0, v68
	s_cbranch_execz .LBB391_270
; %bb.263:                              ;   in Loop: Header=BB391_10 Depth=1
	v_bfrev_b32_e32 v1, 1
	s_mov_b32 s39, exec_lo
	v_cmpx_ne_u16_e32 0x80, v68
	s_cbranch_execz .LBB391_269
; %bb.264:                              ;   in Loop: Header=BB391_10 Depth=1
	v_and_b32_e32 v68, 0xffff, v68
	v_mov_b32_e32 v1, 0x7f800001
	s_mov_b32 s40, exec_lo
	s_delay_alu instid0(VALU_DEP_2) | instskip(NEXT) | instid1(VALU_DEP_1)
	v_and_b32_e32 v69, 0x7f, v68
	v_cmpx_ne_u32_e32 0x7f, v69
	s_cbranch_execz .LBB391_268
; %bb.265:                              ;   in Loop: Header=BB391_10 Depth=1
	v_and_b32_e32 v1, 7, v68
	v_lshrrev_b32_e32 v68, 3, v69
	s_mov_b32 s41, exec_lo
	v_cmpx_gt_u32_e32 8, v69
; %bb.266:                              ;   in Loop: Header=BB391_10 Depth=1
	s_delay_alu instid0(VALU_DEP_3) | instskip(NEXT) | instid1(VALU_DEP_1)
	v_clz_i32_u32_e32 v68, v1
	v_min_u32_e32 v68, 32, v68
	s_delay_alu instid0(VALU_DEP_1) | instskip(SKIP_1) | instid1(VALU_DEP_2)
	v_subrev_nc_u32_e32 v69, 28, v68
	v_sub_nc_u32_e32 v68, 29, v68
	v_lshlrev_b64 v[69:70], v69, v[1:2]
	s_delay_alu instid0(VALU_DEP_1)
	v_and_b32_e32 v1, 7, v69
; %bb.267:                              ;   in Loop: Header=BB391_10 Depth=1
	s_or_b32 exec_lo, exec_lo, s41
	v_lshlrev_b32_e32 v67, 16, v67
	s_delay_alu instid0(VALU_DEP_2) | instskip(SKIP_1) | instid1(VALU_DEP_3)
	v_lshlrev_b32_e32 v1, 20, v1
	v_lshl_add_u32 v68, v68, 23, 0x3c000000
	v_and_b32_e32 v67, 0x80000000, v67
	s_delay_alu instid0(VALU_DEP_1)
	v_or3_b32 v1, v1, v67, v68
.LBB391_268:                            ;   in Loop: Header=BB391_10 Depth=1
	s_or_b32 exec_lo, exec_lo, s40
.LBB391_269:                            ;   in Loop: Header=BB391_10 Depth=1
	s_delay_alu instid0(SALU_CYCLE_1)
	s_or_b32 exec_lo, exec_lo, s39
.LBB391_270:                            ;   in Loop: Header=BB391_10 Depth=1
	s_delay_alu instid0(SALU_CYCLE_1) | instskip(NEXT) | instid1(VALU_DEP_1)
	s_or_b32 exec_lo, exec_lo, s3
	v_mul_f32_e32 v1, s6, v1
	s_delay_alu instid0(VALU_DEP_1) | instskip(NEXT) | instid1(VALU_DEP_1)
	v_and_b32_e32 v67, 0x7f800000, v1
	v_cmp_ne_u32_e64 s1, 0x7f800000, v67
                                        ; implicit-def: $vgpr67
	s_delay_alu instid0(VALU_DEP_1) | instskip(NEXT) | instid1(SALU_CYCLE_1)
	s_and_saveexec_b32 s3, s1
	s_xor_b32 s1, exec_lo, s3
; %bb.271:                              ;   in Loop: Header=BB391_10 Depth=1
	v_bfe_u32 v67, v1, 16, 1
	s_delay_alu instid0(VALU_DEP_1)
	v_add3_u32 v67, v1, v67, 0x7fff
                                        ; implicit-def: $vgpr1
; %bb.272:                              ;   in Loop: Header=BB391_10 Depth=1
	s_and_not1_saveexec_b32 s3, s1
; %bb.273:                              ;   in Loop: Header=BB391_10 Depth=1
	v_and_b32_e32 v67, 0xffff, v1
	v_or_b32_e32 v68, 0x10000, v1
	s_delay_alu instid0(VALU_DEP_2) | instskip(NEXT) | instid1(VALU_DEP_1)
	v_cmp_eq_u32_e64 s1, 0, v67
	v_cndmask_b32_e64 v67, v68, v1, s1
; %bb.274:                              ;   in Loop: Header=BB391_10 Depth=1
	s_or_b32 exec_lo, exec_lo, s3
	global_load_u16 v1, v[7:8], off offset:648
	s_mov_b32 s3, exec_lo
	s_waitcnt vmcnt(0)
	v_and_b32_e32 v7, 0xff, v1
	v_dual_mov_b32 v1, 0 :: v_dual_and_b32 v8, 0xffff, v1
	s_delay_alu instid0(VALU_DEP_2)
	v_cmpx_ne_u16_e32 0, v7
	s_cbranch_execz .LBB391_282
; %bb.275:                              ;   in Loop: Header=BB391_10 Depth=1
	s_delay_alu instid0(VALU_DEP_2) | instskip(NEXT) | instid1(VALU_DEP_1)
	v_and_b32_e32 v1, 0xff, v8
	v_cmp_ne_u16_e64 s1, 0x80, v1
	v_bfrev_b32_e32 v1, 1
	s_delay_alu instid0(VALU_DEP_2)
	s_and_saveexec_b32 s39, s1
	s_cbranch_execz .LBB391_281
; %bb.276:                              ;   in Loop: Header=BB391_10 Depth=1
	v_and_b32_e32 v68, 0x7f, v8
	v_mov_b32_e32 v1, 0x7f800001
	s_mov_b32 s40, exec_lo
	s_delay_alu instid0(VALU_DEP_2)
	v_cmpx_ne_u32_e32 0x7f, v68
	s_cbranch_execz .LBB391_280
; %bb.277:                              ;   in Loop: Header=BB391_10 Depth=1
	v_and_b32_e32 v1, 7, v8
	v_lshrrev_b32_e32 v7, 3, v68
	s_mov_b32 s41, exec_lo
	v_cmpx_gt_u32_e32 8, v68
; %bb.278:                              ;   in Loop: Header=BB391_10 Depth=1
	s_delay_alu instid0(VALU_DEP_3) | instskip(NEXT) | instid1(VALU_DEP_1)
	v_clz_i32_u32_e32 v7, v1
	v_min_u32_e32 v7, 32, v7
	s_delay_alu instid0(VALU_DEP_1) | instskip(SKIP_1) | instid1(VALU_DEP_2)
	v_subrev_nc_u32_e32 v68, 28, v7
	v_sub_nc_u32_e32 v7, 29, v7
	v_lshlrev_b64 v[68:69], v68, v[1:2]
	s_delay_alu instid0(VALU_DEP_1)
	v_and_b32_e32 v1, 7, v68
; %bb.279:                              ;   in Loop: Header=BB391_10 Depth=1
	s_or_b32 exec_lo, exec_lo, s41
	v_lshlrev_b32_e32 v68, 24, v8
	s_delay_alu instid0(VALU_DEP_2) | instskip(SKIP_1) | instid1(VALU_DEP_3)
	v_lshlrev_b32_e32 v1, 20, v1
	v_lshl_add_u32 v7, v7, 23, 0x3c000000
	v_and_b32_e32 v68, 0x80000000, v68
	s_delay_alu instid0(VALU_DEP_1)
	v_or3_b32 v1, v1, v68, v7
.LBB391_280:                            ;   in Loop: Header=BB391_10 Depth=1
	s_or_b32 exec_lo, exec_lo, s40
.LBB391_281:                            ;   in Loop: Header=BB391_10 Depth=1
	s_delay_alu instid0(SALU_CYCLE_1)
	s_or_b32 exec_lo, exec_lo, s39
.LBB391_282:                            ;   in Loop: Header=BB391_10 Depth=1
	s_delay_alu instid0(SALU_CYCLE_1) | instskip(NEXT) | instid1(VALU_DEP_1)
	s_or_b32 exec_lo, exec_lo, s3
	v_mul_f32_e32 v1, s6, v1
	s_delay_alu instid0(VALU_DEP_1) | instskip(NEXT) | instid1(VALU_DEP_1)
	v_and_b32_e32 v7, 0x7f800000, v1
	v_cmp_ne_u32_e64 s1, 0x7f800000, v7
                                        ; implicit-def: $vgpr7
	s_delay_alu instid0(VALU_DEP_1) | instskip(NEXT) | instid1(SALU_CYCLE_1)
	s_and_saveexec_b32 s3, s1
	s_xor_b32 s1, exec_lo, s3
; %bb.283:                              ;   in Loop: Header=BB391_10 Depth=1
	v_bfe_u32 v7, v1, 16, 1
	s_delay_alu instid0(VALU_DEP_1)
	v_add3_u32 v7, v1, v7, 0x7fff
                                        ; implicit-def: $vgpr1
; %bb.284:                              ;   in Loop: Header=BB391_10 Depth=1
	s_and_not1_saveexec_b32 s3, s1
; %bb.285:                              ;   in Loop: Header=BB391_10 Depth=1
	v_and_b32_e32 v7, 0xffff, v1
	v_or_b32_e32 v68, 0x10000, v1
	s_delay_alu instid0(VALU_DEP_2) | instskip(NEXT) | instid1(VALU_DEP_1)
	v_cmp_eq_u32_e64 s1, 0, v7
	v_cndmask_b32_e64 v7, v68, v1, s1
; %bb.286:                              ;   in Loop: Header=BB391_10 Depth=1
	s_or_b32 exec_lo, exec_lo, s3
	v_lshrrev_b16 v68, 8, v8
	v_mov_b32_e32 v1, 0
	s_mov_b32 s3, exec_lo
	s_delay_alu instid0(VALU_DEP_2)
	v_cmpx_ne_u16_e32 0, v68
	s_cbranch_execz .LBB391_294
; %bb.287:                              ;   in Loop: Header=BB391_10 Depth=1
	v_bfrev_b32_e32 v1, 1
	s_mov_b32 s39, exec_lo
	v_cmpx_ne_u16_e32 0x80, v68
	s_cbranch_execz .LBB391_293
; %bb.288:                              ;   in Loop: Header=BB391_10 Depth=1
	v_and_b32_e32 v68, 0xffff, v68
	v_mov_b32_e32 v1, 0x7f800001
	s_mov_b32 s40, exec_lo
	s_delay_alu instid0(VALU_DEP_2) | instskip(NEXT) | instid1(VALU_DEP_1)
	v_and_b32_e32 v69, 0x7f, v68
	v_cmpx_ne_u32_e32 0x7f, v69
	s_cbranch_execz .LBB391_292
; %bb.289:                              ;   in Loop: Header=BB391_10 Depth=1
	v_and_b32_e32 v1, 7, v68
	v_lshrrev_b32_e32 v68, 3, v69
	s_mov_b32 s41, exec_lo
	v_cmpx_gt_u32_e32 8, v69
; %bb.290:                              ;   in Loop: Header=BB391_10 Depth=1
	s_delay_alu instid0(VALU_DEP_3) | instskip(NEXT) | instid1(VALU_DEP_1)
	v_clz_i32_u32_e32 v68, v1
	v_min_u32_e32 v68, 32, v68
	s_delay_alu instid0(VALU_DEP_1) | instskip(SKIP_1) | instid1(VALU_DEP_2)
	v_subrev_nc_u32_e32 v69, 28, v68
	v_sub_nc_u32_e32 v68, 29, v68
	v_lshlrev_b64 v[69:70], v69, v[1:2]
	s_delay_alu instid0(VALU_DEP_1)
	v_and_b32_e32 v1, 7, v69
; %bb.291:                              ;   in Loop: Header=BB391_10 Depth=1
	s_or_b32 exec_lo, exec_lo, s41
	v_lshlrev_b32_e32 v8, 16, v8
	s_delay_alu instid0(VALU_DEP_2) | instskip(SKIP_1) | instid1(VALU_DEP_3)
	v_lshlrev_b32_e32 v1, 20, v1
	v_lshl_add_u32 v68, v68, 23, 0x3c000000
	v_and_b32_e32 v8, 0x80000000, v8
	s_delay_alu instid0(VALU_DEP_1)
	v_or3_b32 v1, v1, v8, v68
.LBB391_292:                            ;   in Loop: Header=BB391_10 Depth=1
	s_or_b32 exec_lo, exec_lo, s40
.LBB391_293:                            ;   in Loop: Header=BB391_10 Depth=1
	s_delay_alu instid0(SALU_CYCLE_1)
	s_or_b32 exec_lo, exec_lo, s39
.LBB391_294:                            ;   in Loop: Header=BB391_10 Depth=1
	s_delay_alu instid0(SALU_CYCLE_1) | instskip(NEXT) | instid1(VALU_DEP_1)
	s_or_b32 exec_lo, exec_lo, s3
	v_mul_f32_e32 v8, s6, v1
	s_delay_alu instid0(VALU_DEP_1) | instskip(NEXT) | instid1(VALU_DEP_1)
	v_and_b32_e32 v1, 0x7f800000, v8
	v_cmp_ne_u32_e64 s1, 0x7f800000, v1
                                        ; implicit-def: $vgpr1
	s_delay_alu instid0(VALU_DEP_1) | instskip(NEXT) | instid1(SALU_CYCLE_1)
	s_and_saveexec_b32 s3, s1
	s_xor_b32 s1, exec_lo, s3
; %bb.295:                              ;   in Loop: Header=BB391_10 Depth=1
	v_bfe_u32 v1, v8, 16, 1
	s_delay_alu instid0(VALU_DEP_1)
	v_add3_u32 v1, v8, v1, 0x7fff
                                        ; implicit-def: $vgpr8
; %bb.296:                              ;   in Loop: Header=BB391_10 Depth=1
	s_and_not1_saveexec_b32 s3, s1
; %bb.297:                              ;   in Loop: Header=BB391_10 Depth=1
	v_and_b32_e32 v1, 0xffff, v8
	v_or_b32_e32 v68, 0x10000, v8
	s_delay_alu instid0(VALU_DEP_2) | instskip(NEXT) | instid1(VALU_DEP_1)
	v_cmp_eq_u32_e64 s1, 0, v1
	v_cndmask_b32_e64 v1, v68, v8, s1
; %bb.298:                              ;   in Loop: Header=BB391_10 Depth=1
	s_or_b32 exec_lo, exec_lo, s3
	v_and_b32_e32 v8, 0xffff0000, v48
	v_and_b32_e32 v48, 0xffff0000, v49
	;; [unrolled: 1-line block ×5, first 2 shown]
	v_mul_f32_e32 v8, v18, v8
	v_dual_mul_f32 v48, v19, v48 :: v_dual_and_b32 v49, 0xffff0000, v51
	v_and_b32_e32 v1, 0xffff0000, v1
	s_delay_alu instid0(VALU_DEP_3) | instskip(NEXT) | instid1(VALU_DEP_3)
	v_dual_fmac_f32 v8, v14, v46 :: v_dual_and_b32 v7, 0xffff0000, v7
	v_dual_fmac_f32 v48, v16, v47 :: v_dual_and_b32 v47, 0xffff0000, v52
	v_and_b32_e32 v46, 0xffff0000, v53
	s_delay_alu instid0(VALU_DEP_3) | instskip(SKIP_1) | instid1(VALU_DEP_2)
	v_fmac_f32_e32 v8, v20, v50
	v_and_b32_e32 v50, 0xffff0000, v54
	v_dual_fmac_f32 v8, v22, v47 :: v_dual_and_b32 v47, 0xffff0000, v56
	v_dual_fmac_f32 v48, v21, v49 :: v_dual_and_b32 v49, 0xffff0000, v55
	s_delay_alu instid0(VALU_DEP_2) | instskip(SKIP_1) | instid1(VALU_DEP_3)
	v_fmac_f32_e32 v8, v24, v50
	v_and_b32_e32 v50, 0xffff0000, v58
	v_fmac_f32_e32 v48, v23, v46
	v_and_b32_e32 v46, 0xffff0000, v57
	s_delay_alu instid0(VALU_DEP_4) | instskip(NEXT) | instid1(VALU_DEP_3)
	v_dual_fmac_f32 v8, v26, v47 :: v_dual_and_b32 v47, 0xffff0000, v60
	v_dual_fmac_f32 v48, v25, v49 :: v_dual_and_b32 v49, 0xffff0000, v59
	s_delay_alu instid0(VALU_DEP_2) | instskip(SKIP_1) | instid1(VALU_DEP_3)
	v_fmac_f32_e32 v8, v28, v50
	v_and_b32_e32 v50, 0xffff0000, v62
	v_fmac_f32_e32 v48, v27, v46
	v_and_b32_e32 v46, 0xffff0000, v61
	s_delay_alu instid0(VALU_DEP_4) | instskip(NEXT) | instid1(VALU_DEP_3)
	;; [unrolled: 8-line block ×3, first 2 shown]
	v_fmac_f32_e32 v8, v34, v47
	v_dual_fmac_f32 v48, v33, v49 :: v_dual_and_b32 v49, 0xffff0000, v67
	s_delay_alu instid0(VALU_DEP_2) | instskip(NEXT) | instid1(VALU_DEP_2)
	v_fmac_f32_e32 v8, v36, v50
	v_fmac_f32_e32 v48, v35, v46
	s_delay_alu instid0(VALU_DEP_2) | instskip(NEXT) | instid1(VALU_DEP_2)
	v_fmac_f32_e32 v8, v38, v7
	v_fmac_f32_e32 v48, v37, v49
	s_delay_alu instid0(VALU_DEP_1) | instskip(NEXT) | instid1(VALU_DEP_1)
	v_fmac_f32_e32 v48, v40, v1
	v_add_f32_e32 v1, v8, v48
	ds_bpermute_b32 v7, v41, v1
	s_waitcnt lgkmcnt(0)
	v_add_f32_e32 v1, v1, v7
	ds_bpermute_b32 v7, v42, v1
	s_and_saveexec_b32 s3, vcc_lo
	s_cbranch_execz .LBB391_9
; %bb.299:                              ;   in Loop: Header=BB391_10 Depth=1
	s_waitcnt lgkmcnt(0)
	v_add_f32_e32 v1, v1, v7
	v_add_nc_u32_e32 v8, s8, v43
	v_cmp_gt_i32_e64 s1, s15, v43
	s_delay_alu instid0(VALU_DEP_2) | instskip(NEXT) | instid1(VALU_DEP_1)
	v_cvt_f32_i32_e32 v8, v8
	v_mul_f32_e32 v8, s36, v8
	s_delay_alu instid0(VALU_DEP_1) | instskip(NEXT) | instid1(VALU_DEP_1)
	v_cndmask_b32_e64 v7, 0, v8, s0
	v_dual_max_f32 v8, v39, v39 :: v_dual_fmac_f32 v7, s35, v1
	s_delay_alu instid0(VALU_DEP_1) | instskip(SKIP_1) | instid1(VALU_DEP_2)
	v_max_f32_e32 v1, v8, v7
	v_cndmask_b32_e64 v7, 0, v7, s1
	v_cndmask_b32_e64 v39, v39, v1, s1
	ds_store_b32 v44, v7
	s_branch .LBB391_9
.LBB391_300:
	s_or_b32 exec_lo, exec_lo, s9
.LBB391_301:
	s_delay_alu instid0(SALU_CYCLE_1) | instskip(SKIP_3) | instid1(VALU_DEP_3)
	s_or_b32 exec_lo, exec_lo, s37
	v_xor_b32_e32 v1, 16, v9
	v_xor_b32_e32 v3, 8, v9
	v_dual_max_f32 v5, v39, v39 :: v_dual_and_b32 v18, 31, v0
	v_cmp_lt_i32_e32 vcc_lo, v1, v12
	v_cndmask_b32_e32 v1, v9, v1, vcc_lo
	s_delay_alu instid0(VALU_DEP_4) | instskip(SKIP_1) | instid1(VALU_DEP_1)
	v_cmp_lt_i32_e32 vcc_lo, v3, v12
	v_cndmask_b32_e32 v3, v9, v3, vcc_lo
	v_lshlrev_b32_e32 v4, 2, v3
	s_delay_alu instid0(VALU_DEP_4) | instskip(SKIP_3) | instid1(VALU_DEP_1)
	v_lshlrev_b32_e32 v2, 2, v1
	ds_bpermute_b32 v1, v2, v39
	s_waitcnt lgkmcnt(0)
	v_max_f32_e32 v1, v1, v1
	v_max_f32_e32 v1, v5, v1
	v_xor_b32_e32 v5, 4, v9
	ds_bpermute_b32 v3, v4, v1
	v_cmp_lt_i32_e32 vcc_lo, v5, v12
	v_cndmask_b32_e32 v5, v9, v5, vcc_lo
	v_cmp_eq_u32_e32 vcc_lo, 0, v18
	s_delay_alu instid0(VALU_DEP_2) | instskip(SKIP_3) | instid1(VALU_DEP_1)
	v_lshlrev_b32_e32 v6, 2, v5
	v_lshlrev_b32_e32 v5, 2, v17
	s_waitcnt lgkmcnt(0)
	v_max_f32_e32 v3, v3, v3
	v_max_f32_e32 v1, v1, v3
	ds_bpermute_b32 v3, v6, v1
	s_and_saveexec_b32 s0, vcc_lo
	s_cbranch_execz .LBB391_303
; %bb.302:
	s_waitcnt lgkmcnt(0)
	v_max_f32_e32 v3, v3, v3
	v_max_f32_e32 v1, v1, v1
	s_delay_alu instid0(VALU_DEP_1)
	v_max_f32_e32 v1, v1, v3
	ds_store_b32 v5, v1 offset:192
.LBB391_303:
	s_or_b32 exec_lo, exec_lo, s0
	v_cmp_gt_u32_e64 s0, 4, v18
	v_mov_b32_e32 v1, 0xff7fffff
	v_lshlrev_b32_e32 v19, 2, v18
	s_waitcnt lgkmcnt(0)
	s_barrier
	buffer_gl0_inv
	s_and_saveexec_b32 s1, s0
	s_cbranch_execz .LBB391_305
; %bb.304:
	ds_load_b32 v1, v19 offset:192
.LBB391_305:
	s_or_b32 exec_lo, exec_lo, s1
	v_xor_b32_e32 v3, 2, v9
	v_xor_b32_e32 v8, 1, v9
	s_delay_alu instid0(VALU_DEP_2) | instskip(NEXT) | instid1(VALU_DEP_1)
	v_cmp_lt_i32_e64 s1, v3, v12
	v_cndmask_b32_e64 v3, v9, v3, s1
	s_delay_alu instid0(VALU_DEP_3) | instskip(NEXT) | instid1(VALU_DEP_2)
	v_cmp_lt_i32_e64 s1, v8, v12
	v_dual_mov_b32 v12, 0 :: v_dual_lshlrev_b32 v7, 2, v3
	s_delay_alu instid0(VALU_DEP_2) | instskip(SKIP_2) | instid1(SALU_CYCLE_1)
	v_cndmask_b32_e64 v8, v9, v8, s1
	v_lshlrev_b32_e32 v9, 2, v9
	s_sub_i32 s1, s21, s7
	s_lshl_b32 s1, s1, 3
	s_waitcnt lgkmcnt(0)
	ds_bpermute_b32 v3, v7, v1
	v_dual_max_f32 v1, v1, v1 :: v_dual_lshlrev_b32 v8, 2, v8
	v_and_b32_e32 v9, 0xffffff80, v9
	s_add_i32 s1, s1, s33
	s_delay_alu instid0(SALU_CYCLE_1) | instskip(NEXT) | instid1(SALU_CYCLE_1)
	s_min_i32 s1, s1, s15
	s_sub_i32 s6, s1, s33
	s_delay_alu instid0(SALU_CYCLE_1) | instskip(SKIP_2) | instid1(VALU_DEP_1)
	v_cmp_gt_i32_e64 s1, s6, v0
	s_waitcnt lgkmcnt(0)
	v_max_f32_e32 v3, v3, v3
	v_max_f32_e32 v1, v1, v3
	ds_bpermute_b32 v3, v8, v1
	s_waitcnt lgkmcnt(0)
	v_max_f32_e32 v3, v3, v3
	s_delay_alu instid0(VALU_DEP_1)
	v_max_f32_e32 v1, v1, v3
	v_lshl_add_u32 v3, v0, 2, 0xe0
	ds_bpermute_b32 v1, v9, v1
	s_and_saveexec_b32 s7, s1
	s_cbranch_execz .LBB391_309
; %bb.306:
	v_lshl_add_u32 v13, v0, 2, 0xe0
	v_mov_b32_e32 v12, 0
	v_mov_b32_e32 v14, v0
	s_mov_b32 s8, 0
	.p2align	6
.LBB391_307:                            ; =>This Inner Loop Header: Depth=1
	ds_load_b32 v16, v13
	v_add_nc_u32_e32 v14, 0x80, v14
	s_delay_alu instid0(VALU_DEP_1) | instskip(NEXT) | instid1(VALU_DEP_1)
	v_cmp_le_i32_e64 s3, s6, v14
	s_or_b32 s8, s3, s8
	s_waitcnt lgkmcnt(0)
	v_sub_f32_e32 v16, v16, v1
	s_delay_alu instid0(VALU_DEP_1) | instskip(NEXT) | instid1(VALU_DEP_1)
	v_mul_f32_e32 v16, 0x3fb8aa3b, v16
	v_exp_f32_e32 v16, v16
	ds_store_b32 v13, v16
	v_dual_add_f32 v12, v12, v16 :: v_dual_add_nc_u32 v13, 0x200, v13
	s_and_not1_b32 exec_lo, exec_lo, s8
	s_cbranch_execnz .LBB391_307
; %bb.308:
	s_or_b32 exec_lo, exec_lo, s8
.LBB391_309:
	s_delay_alu instid0(SALU_CYCLE_1)
	s_or_b32 exec_lo, exec_lo, s7
	ds_bpermute_b32 v2, v2, v12
	s_waitcnt lgkmcnt(0)
	v_add_f32_e32 v2, v12, v2
	ds_bpermute_b32 v4, v4, v2
	s_waitcnt lgkmcnt(0)
	v_add_f32_e32 v2, v2, v4
	;; [unrolled: 3-line block ×5, first 2 shown]
	s_and_saveexec_b32 s3, vcc_lo
	s_cbranch_execz .LBB391_311
; %bb.310:
	ds_store_b32 v5, v2 offset:208
.LBB391_311:
	s_or_b32 exec_lo, exec_lo, s3
	s_waitcnt lgkmcnt(0)
	s_barrier
	buffer_gl0_inv
	s_and_saveexec_b32 s3, s0
	s_cbranch_execz .LBB391_313
; %bb.312:
	ds_load_b32 v2, v19 offset:208
.LBB391_313:
	s_or_b32 exec_lo, exec_lo, s3
	s_waitcnt lgkmcnt(0)
	ds_bpermute_b32 v4, v7, v2
	s_waitcnt lgkmcnt(0)
	v_add_f32_e32 v2, v2, v4
	ds_bpermute_b32 v4, v8, v2
	s_waitcnt lgkmcnt(0)
	v_add_f32_e32 v2, v2, v4
	ds_bpermute_b32 v2, v9, v2
	s_and_saveexec_b32 s0, s1
	s_cbranch_execz .LBB391_316
; %bb.314:
	s_waitcnt lgkmcnt(0)
	v_add_f32_e32 v4, 0x358637bd, v2
	s_mov_b32 s1, 0
	s_delay_alu instid0(VALU_DEP_1) | instskip(SKIP_1) | instid1(VALU_DEP_2)
	v_div_scale_f32 v5, null, v4, v4, 1.0
	v_div_scale_f32 v8, vcc_lo, 1.0, v4, 1.0
	v_rcp_f32_e32 v6, v5
	s_waitcnt_depctr 0xfff
	v_fma_f32 v7, -v5, v6, 1.0
	s_delay_alu instid0(VALU_DEP_1) | instskip(NEXT) | instid1(VALU_DEP_1)
	v_fmac_f32_e32 v6, v7, v6
	v_mul_f32_e32 v7, v8, v6
	s_delay_alu instid0(VALU_DEP_1) | instskip(NEXT) | instid1(VALU_DEP_1)
	v_fma_f32 v9, -v5, v7, v8
	v_fmac_f32_e32 v7, v9, v6
	s_delay_alu instid0(VALU_DEP_1) | instskip(NEXT) | instid1(VALU_DEP_1)
	v_fma_f32 v5, -v5, v7, v8
	v_div_fmas_f32 v5, v5, v6, v7
	s_delay_alu instid0(VALU_DEP_1)
	v_div_fixup_f32 v4, v5, v4, 1.0
	v_mov_b32_e32 v5, v0
.LBB391_315:                            ; =>This Inner Loop Header: Depth=1
	ds_load_b32 v6, v3
	s_waitcnt lgkmcnt(0)
	v_dual_mul_f32 v6, v4, v6 :: v_dual_add_nc_u32 v5, 0x80, v5
	s_delay_alu instid0(VALU_DEP_1) | instskip(SKIP_3) | instid1(SALU_CYCLE_1)
	v_cmp_le_i32_e32 vcc_lo, s6, v5
	ds_store_b32 v3, v6
	v_add_nc_u32_e32 v3, 0x200, v3
	s_or_b32 s1, vcc_lo, s1
	s_and_not1_b32 exec_lo, exec_lo, s1
	s_cbranch_execnz .LBB391_315
.LBB391_316:
	s_or_b32 exec_lo, exec_lo, s0
	s_mul_i32 s0, s4, s14
	s_waitcnt lgkmcnt(0)
	s_mul_i32 s6, s0, s13
	s_mov_b32 s0, exec_lo
	s_barrier
	buffer_gl0_inv
	v_cmpx_eq_u32_e32 0, v0
	s_cbranch_execz .LBB391_318
; %bb.317:
	s_ashr_i32 s7, s6, 31
	s_mul_i32 s36, s4, s24
	s_lshl_b64 s[8:9], s[6:7], 2
	v_mov_b32_e32 v3, 0
	s_add_u32 s1, s18, s8
	s_addc_u32 s3, s19, s9
	s_ashr_i32 s37, s36, 31
	s_delay_alu instid0(SALU_CYCLE_1) | instskip(NEXT) | instid1(SALU_CYCLE_1)
	s_lshl_b64 s[18:19], s[36:37], 2
	s_add_u32 s1, s1, s18
	s_addc_u32 s3, s3, s19
	s_ashr_i32 s13, s12, 31
	s_delay_alu instid0(SALU_CYCLE_1) | instskip(NEXT) | instid1(SALU_CYCLE_1)
	s_lshl_b64 s[36:37], s[12:13], 2
	s_add_u32 s38, s1, s36
	s_addc_u32 s39, s3, s37
	s_add_u32 s1, s16, s8
	s_addc_u32 s3, s17, s9
	;; [unrolled: 2-line block ×4, first 2 shown]
	s_clause 0x1
	global_store_b32 v3, v1, s[38:39]
	global_store_b32 v3, v2, s[8:9]
.LBB391_318:
	s_or_b32 exec_lo, exec_lo, s0
	v_dual_mov_b32 v9, 0 :: v_dual_mov_b32 v20, 0
	v_mov_b32_e32 v21, 0
	s_mov_b32 s7, 0
	s_and_saveexec_b32 s1, s2
	s_cbranch_execz .LBB391_732
; %bb.319:
	s_load_b32 s8, s[10:11], 0x0
	v_dual_mov_b32 v12, 0 :: v_dual_lshlrev_b32 v1, 3, v18
	s_ashr_i32 s0, s34, 31
	s_add_u32 s13, s30, s34
	s_addc_u32 s0, s31, s0
	s_delay_alu instid0(VALU_DEP_1)
	v_add_co_u32 v13, s10, s13, v1
	v_lshlrev_b64 v[1:2], 2, v[10:11]
	v_add_co_ci_u32_e64 v14, null, s0, 0, s10
	s_lshl_b64 s[10:11], s[28:29], 2
	s_add_i32 s9, s25, -1
	s_add_u32 s0, s26, s10
	v_add3_u32 v22, s33, v15, 7
	s_addc_u32 s10, s27, s11
	v_add_co_u32 v15, vcc_lo, s0, v1
	v_lshl_add_u32 v23, v17, 5, 0xe0
	v_add_co_ci_u32_e32 v16, vcc_lo, s10, v2, vcc_lo
	v_dual_mov_b32 v21, 0 :: v_dual_mov_b32 v20, 0
	v_mov_b32_e32 v9, 0
	s_mov_b32 s2, -1
	s_mov_b32 s3, 0xffffff
	s_branch .LBB391_321
.LBB391_320:                            ;   in Loop: Header=BB391_321 Depth=1
	s_or_b32 exec_lo, exec_lo, s0
	v_and_b32_e32 v25, 0xffff0000, v25
	v_and_b32_e32 v24, 0xffff0000, v24
	;; [unrolled: 1-line block ×10, first 2 shown]
	v_dual_add_f32 v7, v7, v8 :: v_dual_add_f32 v8, v24, v25
	v_and_b32_e32 v11, 0xffff0000, v11
	v_dual_add_f32 v25, v26, v27 :: v_dual_and_b32 v26, 0xffff0000, v48
	s_delay_alu instid0(VALU_DEP_4) | instskip(NEXT) | instid1(VALU_DEP_4)
	v_add_f32_e32 v1, v1, v3
	v_dual_add_f32 v7, v7, v8 :: v_dual_and_b32 v8, 0xffff0000, v29
	v_and_b32_e32 v5, 0xffff0000, v5
	v_dual_add_f32 v3, v11, v30 :: v_dual_and_b32 v4, 0xffff0000, v4
	v_and_b32_e32 v11, 0xffff0000, v31
	v_and_b32_e32 v6, 0xffff0000, v6
	;; [unrolled: 1-line block ×3, first 2 shown]
	s_delay_alu instid0(VALU_DEP_4) | instskip(SKIP_1) | instid1(VALU_DEP_4)
	v_dual_add_f32 v1, v1, v3 :: v_dual_and_b32 v28, 0xffff0000, v46
	v_add_f32_e32 v7, v7, v25
	v_add_f32_e32 v5, v5, v6
	s_delay_alu instid0(VALU_DEP_4) | instskip(SKIP_3) | instid1(VALU_DEP_3)
	v_dual_add_f32 v8, v24, v8 :: v_dual_and_b32 v27, 0xffff0000, v47
	v_and_b32_e32 v2, 0xffff0000, v2
	v_and_b32_e32 v25, 0xffff0000, v45
	v_add_co_u32 v15, s0, v15, 16
	v_dual_add_f32 v2, v4, v2 :: v_dual_add_nc_u32 v23, 0x80, v23
	s_delay_alu instid0(VALU_DEP_3) | instskip(SKIP_3) | instid1(VALU_DEP_4)
	v_add_f32_e32 v6, v25, v28
	v_and_b32_e32 v25, 0xffff0000, v32
	v_add_nc_u32_e32 v10, 4, v10
	v_add_co_ci_u32_e64 v16, s0, 0, v16, s0
	v_add_f32_e32 v5, v5, v6
	v_add_f32_e32 v6, v27, v26
	;; [unrolled: 1-line block ×3, first 2 shown]
	v_cmp_le_i32_e32 vcc_lo, s21, v10
	v_add_nc_u32_e32 v22, 32, v22
	s_delay_alu instid0(VALU_DEP_4) | instskip(SKIP_4) | instid1(VALU_DEP_3)
	v_add_f32_e32 v5, v5, v6
	v_and_b32_e32 v29, 0xffff0000, v49
	v_add_f32_e32 v1, v1, v3
	v_add_f32_e32 v3, v7, v8
	s_or_b32 s7, vcc_lo, s7
	v_add_f32_e32 v6, v29, v33
	s_delay_alu instid0(VALU_DEP_3) | instskip(NEXT) | instid1(VALU_DEP_3)
	v_add_f32_e32 v1, v1, v2
	v_add_f32_e32 v21, v21, v3
	s_delay_alu instid0(VALU_DEP_3) | instskip(NEXT) | instid1(VALU_DEP_1)
	v_add_f32_e32 v4, v5, v6
	v_dual_add_f32 v9, v9, v1 :: v_dual_add_f32 v20, v20, v4
	s_and_not1_b32 exec_lo, exec_lo, s7
	s_cbranch_execz .LBB391_731
.LBB391_321:                            ; =>This Inner Loop Header: Depth=1
	global_load_b32 v11, v[15:16], off
	ds_load_2addr_b64 v[5:8], v23 offset1:1
	ds_load_2addr_b64 v[1:4], v23 offset0:2 offset1:3
	s_mov_b32 s0, exec_lo
                                        ; implicit-def: $vgpr37
	s_waitcnt lgkmcnt(0)
	v_and_b32_e32 v24, 0x7f800000, v5
	s_delay_alu instid0(VALU_DEP_1)
	v_cmpx_ne_u32_e32 0x7f800000, v24
	s_xor_b32 s0, exec_lo, s0
; %bb.322:                              ;   in Loop: Header=BB391_321 Depth=1
	v_bfe_u32 v24, v5, 16, 1
	s_delay_alu instid0(VALU_DEP_1)
	v_add3_u32 v37, v5, v24, 0x7fff
; %bb.323:                              ;   in Loop: Header=BB391_321 Depth=1
	s_and_not1_saveexec_b32 s0, s0
; %bb.324:                              ;   in Loop: Header=BB391_321 Depth=1
	v_and_b32_e32 v24, 0xffff, v5
	v_or_b32_e32 v25, 0x10000, v5
	s_delay_alu instid0(VALU_DEP_2) | instskip(NEXT) | instid1(VALU_DEP_2)
	v_cmp_eq_u32_e32 vcc_lo, 0, v24
	v_cndmask_b32_e32 v37, v25, v5, vcc_lo
; %bb.325:                              ;   in Loop: Header=BB391_321 Depth=1
	s_or_b32 exec_lo, exec_lo, s0
	v_and_b32_e32 v5, 0x7f800000, v6
	s_mov_b32 s0, exec_lo
                                        ; implicit-def: $vgpr38
	s_delay_alu instid0(VALU_DEP_1)
	v_cmpx_ne_u32_e32 0x7f800000, v5
	s_xor_b32 s0, exec_lo, s0
; %bb.326:                              ;   in Loop: Header=BB391_321 Depth=1
	v_bfe_u32 v5, v6, 16, 1
	s_delay_alu instid0(VALU_DEP_1)
	v_add3_u32 v38, v6, v5, 0x7fff
; %bb.327:                              ;   in Loop: Header=BB391_321 Depth=1
	s_and_not1_saveexec_b32 s0, s0
; %bb.328:                              ;   in Loop: Header=BB391_321 Depth=1
	v_and_b32_e32 v5, 0xffff, v6
	v_or_b32_e32 v24, 0x10000, v6
	s_delay_alu instid0(VALU_DEP_2) | instskip(NEXT) | instid1(VALU_DEP_2)
	v_cmp_eq_u32_e32 vcc_lo, 0, v5
	v_cndmask_b32_e32 v38, v24, v6, vcc_lo
; %bb.329:                              ;   in Loop: Header=BB391_321 Depth=1
	s_or_b32 exec_lo, exec_lo, s0
	v_and_b32_e32 v5, 0x7f800000, v7
	s_mov_b32 s0, exec_lo
                                        ; implicit-def: $vgpr24
	s_delay_alu instid0(VALU_DEP_1)
	v_cmpx_ne_u32_e32 0x7f800000, v5
	s_xor_b32 s0, exec_lo, s0
; %bb.330:                              ;   in Loop: Header=BB391_321 Depth=1
	v_bfe_u32 v5, v7, 16, 1
	s_delay_alu instid0(VALU_DEP_1)
	v_add3_u32 v24, v7, v5, 0x7fff
; %bb.331:                              ;   in Loop: Header=BB391_321 Depth=1
	s_and_not1_saveexec_b32 s0, s0
; %bb.332:                              ;   in Loop: Header=BB391_321 Depth=1
	v_and_b32_e32 v5, 0xffff, v7
	v_or_b32_e32 v6, 0x10000, v7
	s_delay_alu instid0(VALU_DEP_2) | instskip(NEXT) | instid1(VALU_DEP_2)
	v_cmp_eq_u32_e32 vcc_lo, 0, v5
	v_cndmask_b32_e32 v24, v6, v7, vcc_lo
; %bb.333:                              ;   in Loop: Header=BB391_321 Depth=1
	s_or_b32 exec_lo, exec_lo, s0
	v_and_b32_e32 v5, 0x7f800000, v8
	s_mov_b32 s0, exec_lo
                                        ; implicit-def: $vgpr25
	s_delay_alu instid0(VALU_DEP_1)
	v_cmpx_ne_u32_e32 0x7f800000, v5
	s_xor_b32 s0, exec_lo, s0
; %bb.334:                              ;   in Loop: Header=BB391_321 Depth=1
	v_bfe_u32 v5, v8, 16, 1
	s_delay_alu instid0(VALU_DEP_1)
	v_add3_u32 v25, v8, v5, 0x7fff
                                        ; implicit-def: $vgpr5_vgpr6_vgpr7_vgpr8
; %bb.335:                              ;   in Loop: Header=BB391_321 Depth=1
	s_and_not1_saveexec_b32 s0, s0
; %bb.336:                              ;   in Loop: Header=BB391_321 Depth=1
	v_and_b32_e32 v5, 0xffff, v8
	v_or_b32_e32 v6, 0x10000, v8
	s_delay_alu instid0(VALU_DEP_2) | instskip(NEXT) | instid1(VALU_DEP_2)
	v_cmp_eq_u32_e32 vcc_lo, 0, v5
	v_cndmask_b32_e32 v25, v6, v8, vcc_lo
; %bb.337:                              ;   in Loop: Header=BB391_321 Depth=1
	s_or_b32 exec_lo, exec_lo, s0
	v_and_b32_e32 v5, 0x7f800000, v1
	s_mov_b32 s0, exec_lo
                                        ; implicit-def: $vgpr26
	s_delay_alu instid0(VALU_DEP_1)
	v_cmpx_ne_u32_e32 0x7f800000, v5
	s_xor_b32 s0, exec_lo, s0
; %bb.338:                              ;   in Loop: Header=BB391_321 Depth=1
	v_bfe_u32 v5, v1, 16, 1
	s_delay_alu instid0(VALU_DEP_1)
	v_add3_u32 v26, v1, v5, 0x7fff
; %bb.339:                              ;   in Loop: Header=BB391_321 Depth=1
	s_and_not1_saveexec_b32 s0, s0
; %bb.340:                              ;   in Loop: Header=BB391_321 Depth=1
	v_and_b32_e32 v5, 0xffff, v1
	v_or_b32_e32 v6, 0x10000, v1
	s_delay_alu instid0(VALU_DEP_2) | instskip(NEXT) | instid1(VALU_DEP_2)
	v_cmp_eq_u32_e32 vcc_lo, 0, v5
	v_cndmask_b32_e32 v26, v6, v1, vcc_lo
; %bb.341:                              ;   in Loop: Header=BB391_321 Depth=1
	s_or_b32 exec_lo, exec_lo, s0
	v_and_b32_e32 v1, 0x7f800000, v2
	s_mov_b32 s0, exec_lo
                                        ; implicit-def: $vgpr27
	s_delay_alu instid0(VALU_DEP_1)
	v_cmpx_ne_u32_e32 0x7f800000, v1
	s_xor_b32 s0, exec_lo, s0
; %bb.342:                              ;   in Loop: Header=BB391_321 Depth=1
	v_bfe_u32 v1, v2, 16, 1
	s_delay_alu instid0(VALU_DEP_1)
	v_add3_u32 v27, v2, v1, 0x7fff
; %bb.343:                              ;   in Loop: Header=BB391_321 Depth=1
	s_and_not1_saveexec_b32 s0, s0
; %bb.344:                              ;   in Loop: Header=BB391_321 Depth=1
	v_and_b32_e32 v1, 0xffff, v2
	v_or_b32_e32 v5, 0x10000, v2
	s_delay_alu instid0(VALU_DEP_2) | instskip(NEXT) | instid1(VALU_DEP_2)
	v_cmp_eq_u32_e32 vcc_lo, 0, v1
	v_cndmask_b32_e32 v27, v5, v2, vcc_lo
; %bb.345:                              ;   in Loop: Header=BB391_321 Depth=1
	s_or_b32 exec_lo, exec_lo, s0
	v_and_b32_e32 v1, 0x7f800000, v3
	s_mov_b32 s0, exec_lo
                                        ; implicit-def: $vgpr28
	s_delay_alu instid0(VALU_DEP_1)
	v_cmpx_ne_u32_e32 0x7f800000, v1
	s_xor_b32 s0, exec_lo, s0
; %bb.346:                              ;   in Loop: Header=BB391_321 Depth=1
	v_bfe_u32 v1, v3, 16, 1
	s_delay_alu instid0(VALU_DEP_1)
	v_add3_u32 v28, v3, v1, 0x7fff
; %bb.347:                              ;   in Loop: Header=BB391_321 Depth=1
	s_and_not1_saveexec_b32 s0, s0
; %bb.348:                              ;   in Loop: Header=BB391_321 Depth=1
	v_and_b32_e32 v1, 0xffff, v3
	v_or_b32_e32 v2, 0x10000, v3
	s_delay_alu instid0(VALU_DEP_2) | instskip(NEXT) | instid1(VALU_DEP_2)
	v_cmp_eq_u32_e32 vcc_lo, 0, v1
	v_cndmask_b32_e32 v28, v2, v3, vcc_lo
; %bb.349:                              ;   in Loop: Header=BB391_321 Depth=1
	s_or_b32 exec_lo, exec_lo, s0
	v_and_b32_e32 v1, 0x7f800000, v4
	s_mov_b32 s0, exec_lo
                                        ; implicit-def: $vgpr29
	s_delay_alu instid0(VALU_DEP_1)
	v_cmpx_ne_u32_e32 0x7f800000, v1
	s_xor_b32 s0, exec_lo, s0
; %bb.350:                              ;   in Loop: Header=BB391_321 Depth=1
	v_bfe_u32 v1, v4, 16, 1
	s_delay_alu instid0(VALU_DEP_1)
	v_add3_u32 v29, v4, v1, 0x7fff
                                        ; implicit-def: $vgpr1_vgpr2_vgpr3_vgpr4
; %bb.351:                              ;   in Loop: Header=BB391_321 Depth=1
	s_and_not1_saveexec_b32 s0, s0
; %bb.352:                              ;   in Loop: Header=BB391_321 Depth=1
	v_and_b32_e32 v1, 0xffff, v4
	v_or_b32_e32 v2, 0x10000, v4
	s_delay_alu instid0(VALU_DEP_2) | instskip(NEXT) | instid1(VALU_DEP_2)
	v_cmp_eq_u32_e32 vcc_lo, 0, v1
	v_cndmask_b32_e32 v29, v2, v4, vcc_lo
; %bb.353:                              ;   in Loop: Header=BB391_321 Depth=1
	s_or_b32 exec_lo, exec_lo, s0
	s_waitcnt vmcnt(0)
	v_mad_i64_i32 v[1:2], null, v11, s5, v[13:14]
	s_mov_b32 s0, exec_lo
	v_mov_b32_e32 v5, 0
	global_load_b64 v[3:4], v[1:2], off
	s_waitcnt vmcnt(0)
	v_and_b32_e32 v6, 0xff, v3
	s_delay_alu instid0(VALU_DEP_1)
	v_cmpx_ne_u16_e32 0, v6
	s_cbranch_execz .LBB391_359
; %bb.354:                              ;   in Loop: Header=BB391_321 Depth=1
	v_bfrev_b32_e32 v5, 1
	s_mov_b32 s10, exec_lo
	v_cmpx_ne_u16_e32 0x80, v6
	s_cbranch_execz .LBB391_358
; %bb.355:                              ;   in Loop: Header=BB391_321 Depth=1
	v_and_b32_e32 v6, 0x7f, v3
	v_mov_b32_e32 v5, 0x7f800001
	s_mov_b32 s11, exec_lo
	s_delay_alu instid0(VALU_DEP_2)
	v_cmpx_ne_u32_e32 0x7f, v6
	s_cbranch_execz .LBB391_357
; %bb.356:                              ;   in Loop: Header=BB391_321 Depth=1
	v_and_b32_e32 v5, 7, v3
	v_lshrrev_b32_e32 v7, 3, v6
	v_cmp_gt_u32_e32 vcc_lo, 8, v6
	s_delay_alu instid0(VALU_DEP_3) | instskip(NEXT) | instid1(VALU_DEP_1)
	v_clz_i32_u32_e32 v5, v5
	v_min_u32_e32 v5, 32, v5
	s_delay_alu instid0(VALU_DEP_1) | instskip(SKIP_1) | instid1(VALU_DEP_1)
	v_subrev_nc_u32_e32 v8, 28, v5
	v_sub_nc_u32_e32 v5, 29, v5
	v_cndmask_b32_e32 v7, v7, v5, vcc_lo
	s_delay_alu instid0(VALU_DEP_3) | instskip(NEXT) | instid1(VALU_DEP_1)
	v_cndmask_b32_e32 v5, 0, v8, vcc_lo
	v_lshlrev_b64 v[5:6], v5, v[3:4]
	v_lshlrev_b32_e32 v6, 24, v3
	s_delay_alu instid0(VALU_DEP_4) | instskip(NEXT) | instid1(VALU_DEP_2)
	v_lshl_add_u32 v7, v7, 23, 0x3c000000
	v_and_b32_e32 v6, 0x80000000, v6
	s_delay_alu instid0(VALU_DEP_4) | instskip(NEXT) | instid1(VALU_DEP_1)
	v_lshlrev_b32_e32 v5, 20, v5
	v_and_b32_e32 v5, 0x700000, v5
	s_delay_alu instid0(VALU_DEP_1)
	v_or3_b32 v5, v5, v6, v7
.LBB391_357:                            ;   in Loop: Header=BB391_321 Depth=1
	s_or_b32 exec_lo, exec_lo, s11
.LBB391_358:                            ;   in Loop: Header=BB391_321 Depth=1
	s_delay_alu instid0(SALU_CYCLE_1)
	s_or_b32 exec_lo, exec_lo, s10
.LBB391_359:                            ;   in Loop: Header=BB391_321 Depth=1
	s_delay_alu instid0(SALU_CYCLE_1) | instskip(NEXT) | instid1(VALU_DEP_1)
	s_or_b32 exec_lo, exec_lo, s0
	v_mul_f32_e32 v5, s8, v5
	s_mov_b32 s0, exec_lo
                                        ; implicit-def: $vgpr7
	s_delay_alu instid0(VALU_DEP_1) | instskip(NEXT) | instid1(VALU_DEP_1)
	v_and_b32_e32 v6, 0x7f800000, v5
	v_cmpx_ne_u32_e32 0x7f800000, v6
	s_xor_b32 s0, exec_lo, s0
; %bb.360:                              ;   in Loop: Header=BB391_321 Depth=1
	v_bfe_u32 v6, v5, 16, 1
	s_delay_alu instid0(VALU_DEP_1)
	v_add3_u32 v7, v5, v6, 0x7fff
                                        ; implicit-def: $vgpr5
; %bb.361:                              ;   in Loop: Header=BB391_321 Depth=1
	s_and_not1_saveexec_b32 s0, s0
; %bb.362:                              ;   in Loop: Header=BB391_321 Depth=1
	v_and_b32_e32 v6, 0xffff, v5
	v_or_b32_e32 v7, 0x10000, v5
	s_delay_alu instid0(VALU_DEP_2) | instskip(NEXT) | instid1(VALU_DEP_2)
	v_cmp_eq_u32_e32 vcc_lo, 0, v6
	v_cndmask_b32_e32 v7, v7, v5, vcc_lo
; %bb.363:                              ;   in Loop: Header=BB391_321 Depth=1
	s_or_b32 exec_lo, exec_lo, s0
	v_lshrrev_b16 v6, 8, v3
	v_mov_b32_e32 v5, 0
	s_mov_b32 s0, exec_lo
	s_delay_alu instid0(VALU_DEP_2)
	v_cmpx_ne_u16_e32 0, v6
	s_cbranch_execz .LBB391_371
; %bb.364:                              ;   in Loop: Header=BB391_321 Depth=1
	v_bfrev_b32_e32 v5, 1
	s_mov_b32 s10, exec_lo
	v_cmpx_ne_u16_e32 0x80, v6
	s_cbranch_execz .LBB391_370
; %bb.365:                              ;   in Loop: Header=BB391_321 Depth=1
	v_and_b32_e32 v8, 0xffff, v6
	v_mov_b32_e32 v5, 0x7f800001
	s_mov_b32 s11, exec_lo
	s_delay_alu instid0(VALU_DEP_2) | instskip(NEXT) | instid1(VALU_DEP_1)
	v_and_b32_e32 v6, 0x7f, v8
	v_cmpx_ne_u32_e32 0x7f, v6
	s_cbranch_execz .LBB391_369
; %bb.366:                              ;   in Loop: Header=BB391_321 Depth=1
	v_and_b32_e32 v11, 7, v8
	v_lshrrev_b32_e32 v5, 3, v6
	s_mov_b32 s13, exec_lo
	v_cmpx_gt_u32_e32 8, v6
; %bb.367:                              ;   in Loop: Header=BB391_321 Depth=1
	s_delay_alu instid0(VALU_DEP_3) | instskip(NEXT) | instid1(VALU_DEP_1)
	v_clz_i32_u32_e32 v5, v11
	v_min_u32_e32 v5, 32, v5
	s_delay_alu instid0(VALU_DEP_1) | instskip(SKIP_1) | instid1(VALU_DEP_2)
	v_subrev_nc_u32_e32 v6, 28, v5
	v_sub_nc_u32_e32 v5, 29, v5
	v_lshlrev_b64 v[30:31], v6, v[11:12]
	s_delay_alu instid0(VALU_DEP_1)
	v_and_b32_e32 v11, 7, v30
; %bb.368:                              ;   in Loop: Header=BB391_321 Depth=1
	s_or_b32 exec_lo, exec_lo, s13
	v_lshlrev_b32_e32 v6, 16, v3
	s_delay_alu instid0(VALU_DEP_2) | instskip(SKIP_1) | instid1(VALU_DEP_3)
	v_lshlrev_b32_e32 v8, 20, v11
	v_lshl_add_u32 v5, v5, 23, 0x3c000000
	v_and_b32_e32 v6, 0x80000000, v6
	s_delay_alu instid0(VALU_DEP_1)
	v_or3_b32 v5, v8, v6, v5
.LBB391_369:                            ;   in Loop: Header=BB391_321 Depth=1
	s_or_b32 exec_lo, exec_lo, s11
.LBB391_370:                            ;   in Loop: Header=BB391_321 Depth=1
	s_delay_alu instid0(SALU_CYCLE_1)
	s_or_b32 exec_lo, exec_lo, s10
.LBB391_371:                            ;   in Loop: Header=BB391_321 Depth=1
	s_delay_alu instid0(SALU_CYCLE_1) | instskip(NEXT) | instid1(VALU_DEP_1)
	s_or_b32 exec_lo, exec_lo, s0
	v_mul_f32_e32 v5, s8, v5
	s_mov_b32 s0, exec_lo
                                        ; implicit-def: $vgpr8
	s_delay_alu instid0(VALU_DEP_1) | instskip(NEXT) | instid1(VALU_DEP_1)
	v_and_b32_e32 v6, 0x7f800000, v5
	v_cmpx_ne_u32_e32 0x7f800000, v6
	s_xor_b32 s0, exec_lo, s0
; %bb.372:                              ;   in Loop: Header=BB391_321 Depth=1
	v_bfe_u32 v6, v5, 16, 1
	s_delay_alu instid0(VALU_DEP_1)
	v_add3_u32 v8, v5, v6, 0x7fff
                                        ; implicit-def: $vgpr5
; %bb.373:                              ;   in Loop: Header=BB391_321 Depth=1
	s_and_not1_saveexec_b32 s0, s0
; %bb.374:                              ;   in Loop: Header=BB391_321 Depth=1
	v_and_b32_e32 v6, 0xffff, v5
	v_or_b32_e32 v8, 0x10000, v5
	s_delay_alu instid0(VALU_DEP_2) | instskip(NEXT) | instid1(VALU_DEP_2)
	v_cmp_eq_u32_e32 vcc_lo, 0, v6
	v_cndmask_b32_e32 v8, v8, v5, vcc_lo
; %bb.375:                              ;   in Loop: Header=BB391_321 Depth=1
	s_or_b32 exec_lo, exec_lo, s0
	v_lshrrev_b32_e32 v5, 16, v3
	s_mov_b32 s0, exec_lo
	s_delay_alu instid0(VALU_DEP_1) | instskip(NEXT) | instid1(VALU_DEP_1)
	v_dual_mov_b32 v6, 0 :: v_dual_and_b32 v11, 0xff, v5
	v_cmpx_ne_u16_e32 0, v11
	s_cbranch_execz .LBB391_383
; %bb.376:                              ;   in Loop: Header=BB391_321 Depth=1
	v_bfrev_b32_e32 v6, 1
	s_mov_b32 s10, exec_lo
	v_cmpx_ne_u16_e32 0x80, v11
	s_cbranch_execz .LBB391_382
; %bb.377:                              ;   in Loop: Header=BB391_321 Depth=1
	v_bfe_u32 v30, v3, 16, 7
	v_mov_b32_e32 v6, 0x7f800001
	s_mov_b32 s11, exec_lo
	s_delay_alu instid0(VALU_DEP_2)
	v_cmpx_ne_u32_e32 0x7f, v30
	s_cbranch_execz .LBB391_381
; %bb.378:                              ;   in Loop: Header=BB391_321 Depth=1
	v_and_b32_e32 v11, 7, v5
	v_lshrrev_b32_e32 v6, 3, v30
	s_mov_b32 s13, exec_lo
	v_cmpx_gt_u32_e32 8, v30
; %bb.379:                              ;   in Loop: Header=BB391_321 Depth=1
	s_delay_alu instid0(VALU_DEP_3) | instskip(NEXT) | instid1(VALU_DEP_1)
	v_clz_i32_u32_e32 v6, v11
	v_min_u32_e32 v6, 32, v6
	s_delay_alu instid0(VALU_DEP_1) | instskip(SKIP_1) | instid1(VALU_DEP_2)
	v_subrev_nc_u32_e32 v30, 28, v6
	v_sub_nc_u32_e32 v6, 29, v6
	v_lshlrev_b64 v[30:31], v30, v[11:12]
	s_delay_alu instid0(VALU_DEP_1)
	v_and_b32_e32 v11, 7, v30
; %bb.380:                              ;   in Loop: Header=BB391_321 Depth=1
	s_or_b32 exec_lo, exec_lo, s13
	v_lshlrev_b32_e32 v5, 24, v5
	s_delay_alu instid0(VALU_DEP_2) | instskip(SKIP_1) | instid1(VALU_DEP_3)
	v_lshlrev_b32_e32 v11, 20, v11
	v_lshl_add_u32 v6, v6, 23, 0x3c000000
	v_and_b32_e32 v5, 0x80000000, v5
	s_delay_alu instid0(VALU_DEP_1)
	v_or3_b32 v6, v11, v5, v6
.LBB391_381:                            ;   in Loop: Header=BB391_321 Depth=1
	s_or_b32 exec_lo, exec_lo, s11
.LBB391_382:                            ;   in Loop: Header=BB391_321 Depth=1
	s_delay_alu instid0(SALU_CYCLE_1)
	s_or_b32 exec_lo, exec_lo, s10
.LBB391_383:                            ;   in Loop: Header=BB391_321 Depth=1
	s_delay_alu instid0(SALU_CYCLE_1) | instskip(NEXT) | instid1(VALU_DEP_1)
	s_or_b32 exec_lo, exec_lo, s0
	v_mul_f32_e32 v5, s8, v6
	s_mov_b32 s0, exec_lo
                                        ; implicit-def: $vgpr31
	s_delay_alu instid0(VALU_DEP_1) | instskip(NEXT) | instid1(VALU_DEP_1)
	v_and_b32_e32 v6, 0x7f800000, v5
	v_cmpx_ne_u32_e32 0x7f800000, v6
	s_xor_b32 s0, exec_lo, s0
; %bb.384:                              ;   in Loop: Header=BB391_321 Depth=1
	v_bfe_u32 v6, v5, 16, 1
	s_delay_alu instid0(VALU_DEP_1)
	v_add3_u32 v31, v5, v6, 0x7fff
                                        ; implicit-def: $vgpr5
; %bb.385:                              ;   in Loop: Header=BB391_321 Depth=1
	s_and_not1_saveexec_b32 s0, s0
; %bb.386:                              ;   in Loop: Header=BB391_321 Depth=1
	v_and_b32_e32 v6, 0xffff, v5
	v_or_b32_e32 v11, 0x10000, v5
	s_delay_alu instid0(VALU_DEP_2) | instskip(NEXT) | instid1(VALU_DEP_2)
	v_cmp_eq_u32_e32 vcc_lo, 0, v6
	v_cndmask_b32_e32 v31, v11, v5, vcc_lo
; %bb.387:                              ;   in Loop: Header=BB391_321 Depth=1
	s_or_b32 exec_lo, exec_lo, s0
	v_mov_b32_e32 v6, 0
	s_mov_b32 s0, exec_lo
	v_cmpx_lt_u32_e32 0xffffff, v3
	s_cbranch_execz .LBB391_395
; %bb.388:                              ;   in Loop: Header=BB391_321 Depth=1
	v_lshrrev_b32_e32 v5, 24, v3
	v_bfrev_b32_e32 v6, 1
	s_mov_b32 s10, exec_lo
	s_delay_alu instid0(VALU_DEP_2)
	v_cmpx_ne_u32_e32 0x80, v5
	s_cbranch_execz .LBB391_394
; %bb.389:                              ;   in Loop: Header=BB391_321 Depth=1
	v_bfe_u32 v30, v3, 24, 7
	v_mov_b32_e32 v6, 0x7f800001
	s_mov_b32 s11, exec_lo
	s_delay_alu instid0(VALU_DEP_2)
	v_cmpx_ne_u32_e32 0x7f, v30
	s_cbranch_execz .LBB391_393
; %bb.390:                              ;   in Loop: Header=BB391_321 Depth=1
	v_and_b32_e32 v11, 7, v5
	v_lshrrev_b32_e32 v6, 3, v30
	s_mov_b32 s13, exec_lo
	v_cmpx_gt_u32_e32 8, v30
; %bb.391:                              ;   in Loop: Header=BB391_321 Depth=1
	s_delay_alu instid0(VALU_DEP_3) | instskip(NEXT) | instid1(VALU_DEP_1)
	v_clz_i32_u32_e32 v6, v11
	v_min_u32_e32 v6, 32, v6
	s_delay_alu instid0(VALU_DEP_1) | instskip(SKIP_1) | instid1(VALU_DEP_2)
	v_subrev_nc_u32_e32 v30, 28, v6
	v_sub_nc_u32_e32 v6, 29, v6
	v_lshlrev_b64 v[32:33], v30, v[11:12]
	s_delay_alu instid0(VALU_DEP_1)
	v_and_b32_e32 v11, 7, v32
; %bb.392:                              ;   in Loop: Header=BB391_321 Depth=1
	s_or_b32 exec_lo, exec_lo, s13
	v_lshlrev_b32_e32 v5, 24, v5
	s_delay_alu instid0(VALU_DEP_2) | instskip(SKIP_1) | instid1(VALU_DEP_3)
	v_lshlrev_b32_e32 v11, 20, v11
	v_lshl_add_u32 v6, v6, 23, 0x3c000000
	v_and_b32_e32 v5, 0x80000000, v5
	s_delay_alu instid0(VALU_DEP_1)
	v_or3_b32 v6, v11, v5, v6
.LBB391_393:                            ;   in Loop: Header=BB391_321 Depth=1
	s_or_b32 exec_lo, exec_lo, s11
.LBB391_394:                            ;   in Loop: Header=BB391_321 Depth=1
	s_delay_alu instid0(SALU_CYCLE_1)
	s_or_b32 exec_lo, exec_lo, s10
.LBB391_395:                            ;   in Loop: Header=BB391_321 Depth=1
	s_delay_alu instid0(SALU_CYCLE_1) | instskip(NEXT) | instid1(VALU_DEP_1)
	s_or_b32 exec_lo, exec_lo, s0
	v_mul_f32_e32 v5, s8, v6
	s_mov_b32 s0, exec_lo
                                        ; implicit-def: $vgpr32
	s_delay_alu instid0(VALU_DEP_1) | instskip(NEXT) | instid1(VALU_DEP_1)
	v_and_b32_e32 v6, 0x7f800000, v5
	v_cmpx_ne_u32_e32 0x7f800000, v6
	s_xor_b32 s0, exec_lo, s0
; %bb.396:                              ;   in Loop: Header=BB391_321 Depth=1
	v_bfe_u32 v6, v5, 16, 1
	s_delay_alu instid0(VALU_DEP_1)
	v_add3_u32 v32, v5, v6, 0x7fff
                                        ; implicit-def: $vgpr5
; %bb.397:                              ;   in Loop: Header=BB391_321 Depth=1
	s_and_not1_saveexec_b32 s0, s0
; %bb.398:                              ;   in Loop: Header=BB391_321 Depth=1
	v_and_b32_e32 v6, 0xffff, v5
	v_or_b32_e32 v11, 0x10000, v5
	s_delay_alu instid0(VALU_DEP_2) | instskip(NEXT) | instid1(VALU_DEP_2)
	v_cmp_eq_u32_e32 vcc_lo, 0, v6
	v_cndmask_b32_e32 v32, v11, v5, vcc_lo
; %bb.399:                              ;   in Loop: Header=BB391_321 Depth=1
	s_or_b32 exec_lo, exec_lo, s0
	v_dual_mov_b32 v11, v4 :: v_dual_and_b32 v6, 0xff, v4
	v_mov_b32_e32 v5, 0
	s_mov_b32 s0, exec_lo
	s_delay_alu instid0(VALU_DEP_2)
	v_cmpx_ne_u16_e32 0, v6
	s_cbranch_execz .LBB391_405
; %bb.400:                              ;   in Loop: Header=BB391_321 Depth=1
	v_bfrev_b32_e32 v5, 1
	s_mov_b32 s10, exec_lo
	v_cmpx_ne_u16_e32 0x80, v6
	s_cbranch_execz .LBB391_404
; %bb.401:                              ;   in Loop: Header=BB391_321 Depth=1
	v_and_b32_e32 v6, 0x7f, v4
	v_mov_b32_e32 v5, 0x7f800001
	s_mov_b32 s11, exec_lo
	s_delay_alu instid0(VALU_DEP_2)
	v_cmpx_ne_u32_e32 0x7f, v6
	s_cbranch_execz .LBB391_403
; %bb.402:                              ;   in Loop: Header=BB391_321 Depth=1
	v_and_b32_e32 v5, 7, v4
	v_lshrrev_b32_e32 v30, 3, v6
	v_cmp_gt_u32_e32 vcc_lo, 8, v6
	s_delay_alu instid0(VALU_DEP_3) | instskip(NEXT) | instid1(VALU_DEP_1)
	v_clz_i32_u32_e32 v5, v5
	v_min_u32_e32 v5, 32, v5
	s_delay_alu instid0(VALU_DEP_1) | instskip(SKIP_1) | instid1(VALU_DEP_1)
	v_subrev_nc_u32_e32 v33, 28, v5
	v_sub_nc_u32_e32 v5, 29, v5
	v_cndmask_b32_e32 v30, v30, v5, vcc_lo
	s_delay_alu instid0(VALU_DEP_3) | instskip(NEXT) | instid1(VALU_DEP_2)
	v_cndmask_b32_e32 v5, 0, v33, vcc_lo
	v_lshl_add_u32 v30, v30, 23, 0x3c000000
	s_delay_alu instid0(VALU_DEP_2) | instskip(SKIP_1) | instid1(VALU_DEP_2)
	v_lshlrev_b64 v[5:6], v5, v[11:12]
	v_lshlrev_b32_e32 v6, 24, v11
	v_lshlrev_b32_e32 v5, 20, v5
	s_delay_alu instid0(VALU_DEP_2) | instskip(NEXT) | instid1(VALU_DEP_2)
	v_and_b32_e32 v6, 0x80000000, v6
	v_and_b32_e32 v5, 0x700000, v5
	s_delay_alu instid0(VALU_DEP_1)
	v_or3_b32 v5, v5, v6, v30
.LBB391_403:                            ;   in Loop: Header=BB391_321 Depth=1
	s_or_b32 exec_lo, exec_lo, s11
.LBB391_404:                            ;   in Loop: Header=BB391_321 Depth=1
	s_delay_alu instid0(SALU_CYCLE_1)
	s_or_b32 exec_lo, exec_lo, s10
.LBB391_405:                            ;   in Loop: Header=BB391_321 Depth=1
	s_delay_alu instid0(SALU_CYCLE_1) | instskip(NEXT) | instid1(VALU_DEP_1)
	s_or_b32 exec_lo, exec_lo, s0
	v_mul_f32_e32 v5, s8, v5
	s_mov_b32 s0, exec_lo
                                        ; implicit-def: $vgpr33
	s_delay_alu instid0(VALU_DEP_1) | instskip(NEXT) | instid1(VALU_DEP_1)
	v_and_b32_e32 v6, 0x7f800000, v5
	v_cmpx_ne_u32_e32 0x7f800000, v6
	s_xor_b32 s0, exec_lo, s0
; %bb.406:                              ;   in Loop: Header=BB391_321 Depth=1
	v_bfe_u32 v6, v5, 16, 1
	s_delay_alu instid0(VALU_DEP_1)
	v_add3_u32 v33, v5, v6, 0x7fff
                                        ; implicit-def: $vgpr5
; %bb.407:                              ;   in Loop: Header=BB391_321 Depth=1
	s_and_not1_saveexec_b32 s0, s0
; %bb.408:                              ;   in Loop: Header=BB391_321 Depth=1
	v_and_b32_e32 v6, 0xffff, v5
	v_or_b32_e32 v30, 0x10000, v5
	s_delay_alu instid0(VALU_DEP_2) | instskip(NEXT) | instid1(VALU_DEP_2)
	v_cmp_eq_u32_e32 vcc_lo, 0, v6
	v_cndmask_b32_e32 v33, v30, v5, vcc_lo
; %bb.409:                              ;   in Loop: Header=BB391_321 Depth=1
	s_or_b32 exec_lo, exec_lo, s0
	v_lshrrev_b16 v6, 8, v11
	v_mov_b32_e32 v5, 0
	s_mov_b32 s0, exec_lo
	s_delay_alu instid0(VALU_DEP_2)
	v_cmpx_ne_u16_e32 0, v6
	s_cbranch_execz .LBB391_417
; %bb.410:                              ;   in Loop: Header=BB391_321 Depth=1
	v_bfrev_b32_e32 v5, 1
	s_mov_b32 s10, exec_lo
	v_cmpx_ne_u16_e32 0x80, v6
	s_cbranch_execz .LBB391_416
; %bb.411:                              ;   in Loop: Header=BB391_321 Depth=1
	v_and_b32_e32 v6, 0xffff, v6
	v_mov_b32_e32 v5, 0x7f800001
	s_mov_b32 s11, exec_lo
	s_delay_alu instid0(VALU_DEP_2) | instskip(NEXT) | instid1(VALU_DEP_1)
	v_and_b32_e32 v34, 0x7f, v6
	v_cmpx_ne_u32_e32 0x7f, v34
	s_cbranch_execz .LBB391_415
; %bb.412:                              ;   in Loop: Header=BB391_321 Depth=1
	v_dual_mov_b32 v6, v12 :: v_dual_and_b32 v5, 7, v6
	v_lshrrev_b32_e32 v30, 3, v34
	s_mov_b32 s13, exec_lo
	v_cmpx_gt_u32_e32 8, v34
; %bb.413:                              ;   in Loop: Header=BB391_321 Depth=1
	s_delay_alu instid0(VALU_DEP_3) | instskip(NEXT) | instid1(VALU_DEP_1)
	v_clz_i32_u32_e32 v30, v5
	v_min_u32_e32 v30, 32, v30
	s_delay_alu instid0(VALU_DEP_1) | instskip(SKIP_1) | instid1(VALU_DEP_2)
	v_subrev_nc_u32_e32 v34, 28, v30
	v_sub_nc_u32_e32 v30, 29, v30
	v_lshlrev_b64 v[5:6], v34, v[5:6]
	s_delay_alu instid0(VALU_DEP_1)
	v_and_b32_e32 v5, 7, v5
; %bb.414:                              ;   in Loop: Header=BB391_321 Depth=1
	s_or_b32 exec_lo, exec_lo, s13
	v_lshlrev_b32_e32 v6, 16, v11
	s_delay_alu instid0(VALU_DEP_2) | instskip(SKIP_1) | instid1(VALU_DEP_3)
	v_lshlrev_b32_e32 v5, 20, v5
	v_lshl_add_u32 v11, v30, 23, 0x3c000000
	v_and_b32_e32 v6, 0x80000000, v6
	s_delay_alu instid0(VALU_DEP_1)
	v_or3_b32 v5, v5, v6, v11
.LBB391_415:                            ;   in Loop: Header=BB391_321 Depth=1
	s_or_b32 exec_lo, exec_lo, s11
.LBB391_416:                            ;   in Loop: Header=BB391_321 Depth=1
	s_delay_alu instid0(SALU_CYCLE_1)
	s_or_b32 exec_lo, exec_lo, s10
.LBB391_417:                            ;   in Loop: Header=BB391_321 Depth=1
	s_delay_alu instid0(SALU_CYCLE_1) | instskip(NEXT) | instid1(VALU_DEP_1)
	s_or_b32 exec_lo, exec_lo, s0
	v_mul_f32_e32 v6, s8, v5
	s_delay_alu instid0(VALU_DEP_1) | instskip(NEXT) | instid1(VALU_DEP_1)
	v_and_b32_e32 v5, 0x7f800000, v6
	v_cmp_ne_u32_e32 vcc_lo, 0x7f800000, v5
                                        ; implicit-def: $vgpr5
	s_and_saveexec_b32 s0, vcc_lo
	s_delay_alu instid0(SALU_CYCLE_1)
	s_xor_b32 s0, exec_lo, s0
; %bb.418:                              ;   in Loop: Header=BB391_321 Depth=1
	v_bfe_u32 v5, v6, 16, 1
	s_delay_alu instid0(VALU_DEP_1)
	v_add3_u32 v5, v6, v5, 0x7fff
                                        ; implicit-def: $vgpr6
; %bb.419:                              ;   in Loop: Header=BB391_321 Depth=1
	s_and_not1_saveexec_b32 s0, s0
; %bb.420:                              ;   in Loop: Header=BB391_321 Depth=1
	v_and_b32_e32 v5, 0xffff, v6
	v_or_b32_e32 v11, 0x10000, v6
	s_delay_alu instid0(VALU_DEP_2) | instskip(NEXT) | instid1(VALU_DEP_2)
	v_cmp_eq_u32_e32 vcc_lo, 0, v5
	v_cndmask_b32_e32 v5, v11, v6, vcc_lo
; %bb.421:                              ;   in Loop: Header=BB391_321 Depth=1
	s_or_b32 exec_lo, exec_lo, s0
	v_lshrrev_b32_e32 v6, 16, v4
	s_mov_b32 s0, exec_lo
	s_delay_alu instid0(VALU_DEP_1) | instskip(NEXT) | instid1(VALU_DEP_1)
	v_dual_mov_b32 v11, 0 :: v_dual_and_b32 v30, 0xff, v6
	v_cmpx_ne_u16_e32 0, v30
	s_cbranch_execz .LBB391_429
; %bb.422:                              ;   in Loop: Header=BB391_321 Depth=1
	v_bfrev_b32_e32 v11, 1
	s_mov_b32 s10, exec_lo
	v_cmpx_ne_u16_e32 0x80, v30
	s_cbranch_execz .LBB391_428
; %bb.423:                              ;   in Loop: Header=BB391_321 Depth=1
	v_bfe_u32 v34, v4, 16, 7
	v_mov_b32_e32 v11, 0x7f800001
	s_mov_b32 s11, exec_lo
	s_delay_alu instid0(VALU_DEP_2)
	v_cmpx_ne_u32_e32 0x7f, v34
	s_cbranch_execz .LBB391_427
; %bb.424:                              ;   in Loop: Header=BB391_321 Depth=1
	v_and_b32_e32 v11, 7, v6
	v_lshrrev_b32_e32 v30, 3, v34
	s_mov_b32 s13, exec_lo
	v_cmpx_gt_u32_e32 8, v34
; %bb.425:                              ;   in Loop: Header=BB391_321 Depth=1
	s_delay_alu instid0(VALU_DEP_3) | instskip(NEXT) | instid1(VALU_DEP_1)
	v_clz_i32_u32_e32 v30, v11
	v_min_u32_e32 v30, 32, v30
	s_delay_alu instid0(VALU_DEP_1) | instskip(SKIP_1) | instid1(VALU_DEP_2)
	v_subrev_nc_u32_e32 v34, 28, v30
	v_sub_nc_u32_e32 v30, 29, v30
	v_lshlrev_b64 v[34:35], v34, v[11:12]
	s_delay_alu instid0(VALU_DEP_1)
	v_and_b32_e32 v11, 7, v34
; %bb.426:                              ;   in Loop: Header=BB391_321 Depth=1
	s_or_b32 exec_lo, exec_lo, s13
	v_lshlrev_b32_e32 v6, 24, v6
	s_delay_alu instid0(VALU_DEP_2) | instskip(SKIP_1) | instid1(VALU_DEP_3)
	v_lshlrev_b32_e32 v11, 20, v11
	v_lshl_add_u32 v30, v30, 23, 0x3c000000
	v_and_b32_e32 v6, 0x80000000, v6
	s_delay_alu instid0(VALU_DEP_1)
	v_or3_b32 v11, v11, v6, v30
.LBB391_427:                            ;   in Loop: Header=BB391_321 Depth=1
	s_or_b32 exec_lo, exec_lo, s11
.LBB391_428:                            ;   in Loop: Header=BB391_321 Depth=1
	s_delay_alu instid0(SALU_CYCLE_1)
	s_or_b32 exec_lo, exec_lo, s10
.LBB391_429:                            ;   in Loop: Header=BB391_321 Depth=1
	s_delay_alu instid0(SALU_CYCLE_1) | instskip(NEXT) | instid1(VALU_DEP_1)
	s_or_b32 exec_lo, exec_lo, s0
	v_mul_f32_e32 v6, s8, v11
	s_mov_b32 s0, exec_lo
                                        ; implicit-def: $vgpr34
	s_delay_alu instid0(VALU_DEP_1) | instskip(NEXT) | instid1(VALU_DEP_1)
	v_and_b32_e32 v11, 0x7f800000, v6
	v_cmpx_ne_u32_e32 0x7f800000, v11
	s_xor_b32 s0, exec_lo, s0
; %bb.430:                              ;   in Loop: Header=BB391_321 Depth=1
	v_bfe_u32 v11, v6, 16, 1
	s_delay_alu instid0(VALU_DEP_1)
	v_add3_u32 v34, v6, v11, 0x7fff
                                        ; implicit-def: $vgpr6
; %bb.431:                              ;   in Loop: Header=BB391_321 Depth=1
	s_and_not1_saveexec_b32 s0, s0
; %bb.432:                              ;   in Loop: Header=BB391_321 Depth=1
	v_and_b32_e32 v11, 0xffff, v6
	v_or_b32_e32 v30, 0x10000, v6
	s_delay_alu instid0(VALU_DEP_2) | instskip(NEXT) | instid1(VALU_DEP_2)
	v_cmp_eq_u32_e32 vcc_lo, 0, v11
	v_cndmask_b32_e32 v34, v30, v6, vcc_lo
; %bb.433:                              ;   in Loop: Header=BB391_321 Depth=1
	s_or_b32 exec_lo, exec_lo, s0
	v_mov_b32_e32 v6, 0
	s_mov_b32 s0, exec_lo
	v_cmpx_lt_u64_e64 s[2:3], v[3:4]
	s_cbranch_execz .LBB391_441
; %bb.434:                              ;   in Loop: Header=BB391_321 Depth=1
	v_lshrrev_b32_e32 v3, 24, v4
	v_bfrev_b32_e32 v6, 1
	s_mov_b32 s10, exec_lo
	s_delay_alu instid0(VALU_DEP_2)
	v_cmpx_ne_u32_e32 0x80, v3
	s_cbranch_execz .LBB391_440
; %bb.435:                              ;   in Loop: Header=BB391_321 Depth=1
	v_bfe_u32 v30, v4, 24, 7
	v_mov_b32_e32 v6, 0x7f800001
	s_mov_b32 s11, exec_lo
	s_delay_alu instid0(VALU_DEP_2)
	v_cmpx_ne_u32_e32 0x7f, v30
	s_cbranch_execz .LBB391_439
; %bb.436:                              ;   in Loop: Header=BB391_321 Depth=1
	v_and_b32_e32 v11, 7, v3
	v_lshrrev_b32_e32 v4, 3, v30
	s_mov_b32 s13, exec_lo
	v_cmpx_gt_u32_e32 8, v30
; %bb.437:                              ;   in Loop: Header=BB391_321 Depth=1
	s_delay_alu instid0(VALU_DEP_3) | instskip(NEXT) | instid1(VALU_DEP_1)
	v_clz_i32_u32_e32 v4, v11
	v_min_u32_e32 v4, 32, v4
	s_delay_alu instid0(VALU_DEP_1) | instskip(SKIP_1) | instid1(VALU_DEP_2)
	v_subrev_nc_u32_e32 v6, 28, v4
	v_sub_nc_u32_e32 v4, 29, v4
	v_lshlrev_b64 v[35:36], v6, v[11:12]
	s_delay_alu instid0(VALU_DEP_1)
	v_and_b32_e32 v11, 7, v35
; %bb.438:                              ;   in Loop: Header=BB391_321 Depth=1
	s_or_b32 exec_lo, exec_lo, s13
	v_lshlrev_b32_e32 v3, 24, v3
	s_delay_alu instid0(VALU_DEP_2) | instskip(SKIP_1) | instid1(VALU_DEP_3)
	v_lshlrev_b32_e32 v6, 20, v11
	v_lshl_add_u32 v4, v4, 23, 0x3c000000
	v_and_b32_e32 v3, 0x80000000, v3
	s_delay_alu instid0(VALU_DEP_1)
	v_or3_b32 v6, v6, v3, v4
.LBB391_439:                            ;   in Loop: Header=BB391_321 Depth=1
	s_or_b32 exec_lo, exec_lo, s11
.LBB391_440:                            ;   in Loop: Header=BB391_321 Depth=1
	s_delay_alu instid0(SALU_CYCLE_1)
	s_or_b32 exec_lo, exec_lo, s10
.LBB391_441:                            ;   in Loop: Header=BB391_321 Depth=1
	s_delay_alu instid0(SALU_CYCLE_1) | instskip(NEXT) | instid1(VALU_DEP_1)
	s_or_b32 exec_lo, exec_lo, s0
	v_mul_f32_e32 v4, s8, v6
	s_delay_alu instid0(VALU_DEP_1) | instskip(NEXT) | instid1(VALU_DEP_1)
	v_and_b32_e32 v3, 0x7f800000, v4
	v_cmp_ne_u32_e32 vcc_lo, 0x7f800000, v3
                                        ; implicit-def: $vgpr3
	s_and_saveexec_b32 s0, vcc_lo
	s_delay_alu instid0(SALU_CYCLE_1)
	s_xor_b32 s0, exec_lo, s0
; %bb.442:                              ;   in Loop: Header=BB391_321 Depth=1
	v_bfe_u32 v3, v4, 16, 1
	s_delay_alu instid0(VALU_DEP_1)
	v_add3_u32 v3, v4, v3, 0x7fff
                                        ; implicit-def: $vgpr4
; %bb.443:                              ;   in Loop: Header=BB391_321 Depth=1
	s_and_not1_saveexec_b32 s0, s0
; %bb.444:                              ;   in Loop: Header=BB391_321 Depth=1
	v_and_b32_e32 v3, 0xffff, v4
	v_or_b32_e32 v6, 0x10000, v4
	s_delay_alu instid0(VALU_DEP_2) | instskip(NEXT) | instid1(VALU_DEP_2)
	v_cmp_eq_u32_e32 vcc_lo, 0, v3
	v_cndmask_b32_e32 v3, v6, v4, vcc_lo
; %bb.445:                              ;   in Loop: Header=BB391_321 Depth=1
	s_or_b32 exec_lo, exec_lo, s0
	v_cmp_eq_u32_e32 vcc_lo, s9, v10
	v_add_nc_u32_e32 v30, -7, v22
	v_lshrrev_b32_e32 v5, 16, v5
	v_lshrrev_b32_e32 v6, 16, v33
	;; [unrolled: 1-line block ×8, first 2 shown]
	v_add_nc_u32_e32 v36, -6, v22
	v_add_nc_u32_e32 v35, -5, v22
	v_add_nc_u32_e32 v34, -4, v22
	v_add_nc_u32_e32 v33, -3, v22
	v_add_nc_u32_e32 v32, -2, v22
	v_add_nc_u32_e32 v31, -1, v22
	s_and_saveexec_b32 s10, vcc_lo
	s_cbranch_execz .LBB391_447
; %bb.446:                              ;   in Loop: Header=BB391_321 Depth=1
	v_cmp_gt_i32_e64 s0, s15, v30
	s_delay_alu instid0(VALU_DEP_1) | instskip(SKIP_1) | instid1(VALU_DEP_1)
	v_cndmask_b32_e64 v7, 0, v7, s0
	v_cmp_gt_i32_e64 s0, s15, v36
	v_cndmask_b32_e64 v8, 0, v8, s0
	v_cmp_gt_i32_e64 s0, s15, v35
	s_delay_alu instid0(VALU_DEP_1) | instskip(SKIP_1) | instid1(VALU_DEP_1)
	v_cndmask_b32_e64 v40, 0, v40, s0
	v_cmp_gt_i32_e64 s0, s15, v34
	v_cndmask_b32_e64 v11, 0, v11, s0
	;; [unrolled: 5-line block ×4, first 2 shown]
.LBB391_447:                            ;   in Loop: Header=BB391_321 Depth=1
	s_or_b32 exec_lo, exec_lo, s10
	v_and_b32_e32 v37, 0xffff0000, v37
	v_lshlrev_b32_e32 v7, 16, v7
	s_delay_alu instid0(VALU_DEP_1) | instskip(NEXT) | instid1(VALU_DEP_1)
	v_mul_f32_e32 v39, v37, v7
	v_and_b32_e32 v7, 0x7f800000, v39
	s_delay_alu instid0(VALU_DEP_1) | instskip(NEXT) | instid1(VALU_DEP_1)
	v_cmp_ne_u32_e64 s0, 0x7f800000, v7
                                        ; implicit-def: $vgpr7
	s_and_saveexec_b32 s10, s0
	s_delay_alu instid0(SALU_CYCLE_1)
	s_xor_b32 s0, exec_lo, s10
; %bb.448:                              ;   in Loop: Header=BB391_321 Depth=1
	v_bfe_u32 v7, v39, 16, 1
	s_delay_alu instid0(VALU_DEP_1)
	v_add3_u32 v7, v39, v7, 0x7fff
                                        ; implicit-def: $vgpr39
; %bb.449:                              ;   in Loop: Header=BB391_321 Depth=1
	s_and_not1_saveexec_b32 s10, s0
; %bb.450:                              ;   in Loop: Header=BB391_321 Depth=1
	v_and_b32_e32 v7, 0xffff, v39
	v_or_b32_e32 v41, 0x10000, v39
	s_delay_alu instid0(VALU_DEP_2) | instskip(NEXT) | instid1(VALU_DEP_1)
	v_cmp_eq_u32_e64 s0, 0, v7
	v_cndmask_b32_e64 v7, v41, v39, s0
; %bb.451:                              ;   in Loop: Header=BB391_321 Depth=1
	s_or_b32 exec_lo, exec_lo, s10
	v_and_b32_e32 v38, 0xffff0000, v38
	v_lshlrev_b32_e32 v8, 16, v8
	s_delay_alu instid0(VALU_DEP_1) | instskip(NEXT) | instid1(VALU_DEP_1)
	v_mul_f32_e32 v39, v38, v8
	v_and_b32_e32 v8, 0x7f800000, v39
	s_delay_alu instid0(VALU_DEP_1) | instskip(NEXT) | instid1(VALU_DEP_1)
	v_cmp_ne_u32_e64 s0, 0x7f800000, v8
                                        ; implicit-def: $vgpr8
	s_and_saveexec_b32 s10, s0
	s_delay_alu instid0(SALU_CYCLE_1)
	s_xor_b32 s0, exec_lo, s10
; %bb.452:                              ;   in Loop: Header=BB391_321 Depth=1
	v_bfe_u32 v8, v39, 16, 1
	s_delay_alu instid0(VALU_DEP_1)
	v_add3_u32 v8, v39, v8, 0x7fff
                                        ; implicit-def: $vgpr39
; %bb.453:                              ;   in Loop: Header=BB391_321 Depth=1
	s_and_not1_saveexec_b32 s10, s0
; %bb.454:                              ;   in Loop: Header=BB391_321 Depth=1
	v_and_b32_e32 v8, 0xffff, v39
	v_or_b32_e32 v41, 0x10000, v39
	s_delay_alu instid0(VALU_DEP_2) | instskip(NEXT) | instid1(VALU_DEP_1)
	v_cmp_eq_u32_e64 s0, 0, v8
	v_cndmask_b32_e64 v8, v41, v39, s0
; %bb.455:                              ;   in Loop: Header=BB391_321 Depth=1
	s_or_b32 exec_lo, exec_lo, s10
	v_and_b32_e32 v39, 0xffff0000, v24
	v_lshlrev_b32_e32 v24, 16, v40
	s_delay_alu instid0(VALU_DEP_1) | instskip(NEXT) | instid1(VALU_DEP_1)
	v_mul_f32_e32 v40, v39, v24
	v_and_b32_e32 v24, 0x7f800000, v40
	s_delay_alu instid0(VALU_DEP_1) | instskip(NEXT) | instid1(VALU_DEP_1)
	v_cmp_ne_u32_e64 s0, 0x7f800000, v24
                                        ; implicit-def: $vgpr24
	s_and_saveexec_b32 s10, s0
	s_delay_alu instid0(SALU_CYCLE_1)
	s_xor_b32 s0, exec_lo, s10
; %bb.456:                              ;   in Loop: Header=BB391_321 Depth=1
	v_bfe_u32 v24, v40, 16, 1
	s_delay_alu instid0(VALU_DEP_1)
	v_add3_u32 v24, v40, v24, 0x7fff
                                        ; implicit-def: $vgpr40
; %bb.457:                              ;   in Loop: Header=BB391_321 Depth=1
	s_and_not1_saveexec_b32 s10, s0
; %bb.458:                              ;   in Loop: Header=BB391_321 Depth=1
	v_and_b32_e32 v24, 0xffff, v40
	v_or_b32_e32 v41, 0x10000, v40
	s_delay_alu instid0(VALU_DEP_2) | instskip(NEXT) | instid1(VALU_DEP_1)
	v_cmp_eq_u32_e64 s0, 0, v24
	v_cndmask_b32_e64 v24, v41, v40, s0
; %bb.459:                              ;   in Loop: Header=BB391_321 Depth=1
	s_or_b32 exec_lo, exec_lo, s10
	v_and_b32_e32 v40, 0xffff0000, v25
	v_lshlrev_b32_e32 v11, 16, v11
	s_delay_alu instid0(VALU_DEP_1) | instskip(NEXT) | instid1(VALU_DEP_1)
	v_mul_f32_e32 v11, v40, v11
	v_and_b32_e32 v25, 0x7f800000, v11
	s_delay_alu instid0(VALU_DEP_1) | instskip(NEXT) | instid1(VALU_DEP_1)
	v_cmp_ne_u32_e64 s0, 0x7f800000, v25
                                        ; implicit-def: $vgpr25
	s_and_saveexec_b32 s10, s0
	s_delay_alu instid0(SALU_CYCLE_1)
	s_xor_b32 s0, exec_lo, s10
; %bb.460:                              ;   in Loop: Header=BB391_321 Depth=1
	v_bfe_u32 v25, v11, 16, 1
	s_delay_alu instid0(VALU_DEP_1)
	v_add3_u32 v25, v11, v25, 0x7fff
                                        ; implicit-def: $vgpr11
; %bb.461:                              ;   in Loop: Header=BB391_321 Depth=1
	s_and_not1_saveexec_b32 s10, s0
; %bb.462:                              ;   in Loop: Header=BB391_321 Depth=1
	v_and_b32_e32 v25, 0xffff, v11
	v_or_b32_e32 v41, 0x10000, v11
	s_delay_alu instid0(VALU_DEP_2) | instskip(NEXT) | instid1(VALU_DEP_1)
	v_cmp_eq_u32_e64 s0, 0, v25
	v_cndmask_b32_e64 v25, v41, v11, s0
; %bb.463:                              ;   in Loop: Header=BB391_321 Depth=1
	s_or_b32 exec_lo, exec_lo, s10
	v_and_b32_e32 v41, 0xffff0000, v26
	v_lshlrev_b32_e32 v6, 16, v6
                                        ; implicit-def: $vgpr26
	s_delay_alu instid0(VALU_DEP_1) | instskip(NEXT) | instid1(VALU_DEP_1)
	v_mul_f32_e32 v6, v41, v6
	v_and_b32_e32 v11, 0x7f800000, v6
	s_delay_alu instid0(VALU_DEP_1) | instskip(NEXT) | instid1(VALU_DEP_1)
	v_cmp_ne_u32_e64 s0, 0x7f800000, v11
	s_and_saveexec_b32 s10, s0
	s_delay_alu instid0(SALU_CYCLE_1)
	s_xor_b32 s0, exec_lo, s10
; %bb.464:                              ;   in Loop: Header=BB391_321 Depth=1
	v_bfe_u32 v11, v6, 16, 1
	s_delay_alu instid0(VALU_DEP_1)
	v_add3_u32 v26, v6, v11, 0x7fff
                                        ; implicit-def: $vgpr6
; %bb.465:                              ;   in Loop: Header=BB391_321 Depth=1
	s_and_not1_saveexec_b32 s10, s0
; %bb.466:                              ;   in Loop: Header=BB391_321 Depth=1
	v_and_b32_e32 v11, 0xffff, v6
	v_or_b32_e32 v26, 0x10000, v6
	s_delay_alu instid0(VALU_DEP_2) | instskip(NEXT) | instid1(VALU_DEP_1)
	v_cmp_eq_u32_e64 s0, 0, v11
	v_cndmask_b32_e64 v26, v26, v6, s0
; %bb.467:                              ;   in Loop: Header=BB391_321 Depth=1
	s_or_b32 exec_lo, exec_lo, s10
	v_and_b32_e32 v42, 0xffff0000, v27
	v_lshlrev_b32_e32 v5, 16, v5
                                        ; implicit-def: $vgpr27
	s_delay_alu instid0(VALU_DEP_1) | instskip(NEXT) | instid1(VALU_DEP_1)
	v_mul_f32_e32 v5, v42, v5
	v_and_b32_e32 v6, 0x7f800000, v5
	s_delay_alu instid0(VALU_DEP_1) | instskip(NEXT) | instid1(VALU_DEP_1)
	v_cmp_ne_u32_e64 s0, 0x7f800000, v6
	s_and_saveexec_b32 s10, s0
	s_delay_alu instid0(SALU_CYCLE_1)
	s_xor_b32 s0, exec_lo, s10
; %bb.468:                              ;   in Loop: Header=BB391_321 Depth=1
	v_bfe_u32 v6, v5, 16, 1
	s_delay_alu instid0(VALU_DEP_1)
	v_add3_u32 v27, v5, v6, 0x7fff
                                        ; implicit-def: $vgpr5
; %bb.469:                              ;   in Loop: Header=BB391_321 Depth=1
	s_and_not1_saveexec_b32 s10, s0
; %bb.470:                              ;   in Loop: Header=BB391_321 Depth=1
	v_and_b32_e32 v6, 0xffff, v5
	v_or_b32_e32 v11, 0x10000, v5
	s_delay_alu instid0(VALU_DEP_2) | instskip(NEXT) | instid1(VALU_DEP_1)
	v_cmp_eq_u32_e64 s0, 0, v6
	v_cndmask_b32_e64 v27, v11, v5, s0
; %bb.471:                              ;   in Loop: Header=BB391_321 Depth=1
	s_or_b32 exec_lo, exec_lo, s10
	v_and_b32_e32 v43, 0xffff0000, v28
	v_lshlrev_b32_e32 v4, 16, v4
                                        ; implicit-def: $vgpr28
	s_delay_alu instid0(VALU_DEP_1) | instskip(NEXT) | instid1(VALU_DEP_1)
	v_mul_f32_e32 v4, v43, v4
	v_and_b32_e32 v5, 0x7f800000, v4
	s_delay_alu instid0(VALU_DEP_1) | instskip(NEXT) | instid1(VALU_DEP_1)
	v_cmp_ne_u32_e64 s0, 0x7f800000, v5
	s_and_saveexec_b32 s10, s0
	s_delay_alu instid0(SALU_CYCLE_1)
	s_xor_b32 s0, exec_lo, s10
; %bb.472:                              ;   in Loop: Header=BB391_321 Depth=1
	v_bfe_u32 v5, v4, 16, 1
	s_delay_alu instid0(VALU_DEP_1)
	v_add3_u32 v28, v4, v5, 0x7fff
                                        ; implicit-def: $vgpr4
; %bb.473:                              ;   in Loop: Header=BB391_321 Depth=1
	s_and_not1_saveexec_b32 s10, s0
; %bb.474:                              ;   in Loop: Header=BB391_321 Depth=1
	v_and_b32_e32 v5, 0xffff, v4
	v_or_b32_e32 v6, 0x10000, v4
	s_delay_alu instid0(VALU_DEP_2) | instskip(NEXT) | instid1(VALU_DEP_1)
	v_cmp_eq_u32_e64 s0, 0, v5
	v_cndmask_b32_e64 v28, v6, v4, s0
; %bb.475:                              ;   in Loop: Header=BB391_321 Depth=1
	s_or_b32 exec_lo, exec_lo, s10
	v_and_b32_e32 v44, 0xffff0000, v29
	v_lshlrev_b32_e32 v3, 16, v3
                                        ; implicit-def: $vgpr29
	s_delay_alu instid0(VALU_DEP_1) | instskip(NEXT) | instid1(VALU_DEP_1)
	v_mul_f32_e32 v3, v44, v3
	v_and_b32_e32 v4, 0x7f800000, v3
	s_delay_alu instid0(VALU_DEP_1) | instskip(NEXT) | instid1(VALU_DEP_1)
	v_cmp_ne_u32_e64 s0, 0x7f800000, v4
	s_and_saveexec_b32 s10, s0
	s_delay_alu instid0(SALU_CYCLE_1)
	s_xor_b32 s0, exec_lo, s10
; %bb.476:                              ;   in Loop: Header=BB391_321 Depth=1
	v_bfe_u32 v4, v3, 16, 1
	s_delay_alu instid0(VALU_DEP_1)
	v_add3_u32 v29, v3, v4, 0x7fff
                                        ; implicit-def: $vgpr3
; %bb.477:                              ;   in Loop: Header=BB391_321 Depth=1
	s_and_not1_saveexec_b32 s10, s0
; %bb.478:                              ;   in Loop: Header=BB391_321 Depth=1
	v_and_b32_e32 v4, 0xffff, v3
	v_or_b32_e32 v5, 0x10000, v3
	s_delay_alu instid0(VALU_DEP_2) | instskip(NEXT) | instid1(VALU_DEP_1)
	v_cmp_eq_u32_e64 s0, 0, v4
	v_cndmask_b32_e64 v29, v5, v3, s0
; %bb.479:                              ;   in Loop: Header=BB391_321 Depth=1
	s_or_b32 exec_lo, exec_lo, s10
	global_load_b64 v[3:4], v[1:2], off offset:256
	s_mov_b32 s10, exec_lo
	s_waitcnt vmcnt(0)
	v_dual_mov_b32 v5, 0 :: v_dual_and_b32 v6, 0xff, v3
	s_delay_alu instid0(VALU_DEP_1)
	v_cmpx_ne_u16_e32 0, v6
	s_cbranch_execz .LBB391_485
; %bb.480:                              ;   in Loop: Header=BB391_321 Depth=1
	v_bfrev_b32_e32 v5, 1
	s_mov_b32 s11, exec_lo
	v_cmpx_ne_u16_e32 0x80, v6
	s_cbranch_execz .LBB391_484
; %bb.481:                              ;   in Loop: Header=BB391_321 Depth=1
	v_and_b32_e32 v6, 0x7f, v3
	v_mov_b32_e32 v5, 0x7f800001
	s_mov_b32 s13, exec_lo
	s_delay_alu instid0(VALU_DEP_2)
	v_cmpx_ne_u32_e32 0x7f, v6
	s_cbranch_execz .LBB391_483
; %bb.482:                              ;   in Loop: Header=BB391_321 Depth=1
	v_and_b32_e32 v5, 7, v3
	v_lshrrev_b32_e32 v11, 3, v6
	v_cmp_gt_u32_e64 s0, 8, v6
	s_delay_alu instid0(VALU_DEP_3) | instskip(NEXT) | instid1(VALU_DEP_1)
	v_clz_i32_u32_e32 v5, v5
	v_min_u32_e32 v5, 32, v5
	s_delay_alu instid0(VALU_DEP_1) | instskip(SKIP_1) | instid1(VALU_DEP_1)
	v_subrev_nc_u32_e32 v45, 28, v5
	v_sub_nc_u32_e32 v5, 29, v5
	v_cndmask_b32_e64 v11, v11, v5, s0
	s_delay_alu instid0(VALU_DEP_3) | instskip(NEXT) | instid1(VALU_DEP_2)
	v_cndmask_b32_e64 v5, 0, v45, s0
	v_lshl_add_u32 v11, v11, 23, 0x3c000000
	s_delay_alu instid0(VALU_DEP_2) | instskip(SKIP_1) | instid1(VALU_DEP_2)
	v_lshlrev_b64 v[5:6], v5, v[3:4]
	v_lshlrev_b32_e32 v6, 24, v3
	v_lshlrev_b32_e32 v5, 20, v5
	s_delay_alu instid0(VALU_DEP_2) | instskip(NEXT) | instid1(VALU_DEP_2)
	v_and_b32_e32 v6, 0x80000000, v6
	v_and_b32_e32 v5, 0x700000, v5
	s_delay_alu instid0(VALU_DEP_1)
	v_or3_b32 v5, v5, v6, v11
.LBB391_483:                            ;   in Loop: Header=BB391_321 Depth=1
	s_or_b32 exec_lo, exec_lo, s13
.LBB391_484:                            ;   in Loop: Header=BB391_321 Depth=1
	s_delay_alu instid0(SALU_CYCLE_1)
	s_or_b32 exec_lo, exec_lo, s11
.LBB391_485:                            ;   in Loop: Header=BB391_321 Depth=1
	s_delay_alu instid0(SALU_CYCLE_1) | instskip(NEXT) | instid1(VALU_DEP_1)
	s_or_b32 exec_lo, exec_lo, s10
	v_mul_f32_e32 v5, s8, v5
                                        ; implicit-def: $vgpr45
	s_delay_alu instid0(VALU_DEP_1) | instskip(NEXT) | instid1(VALU_DEP_1)
	v_and_b32_e32 v6, 0x7f800000, v5
	v_cmp_ne_u32_e64 s0, 0x7f800000, v6
	s_delay_alu instid0(VALU_DEP_1) | instskip(NEXT) | instid1(SALU_CYCLE_1)
	s_and_saveexec_b32 s10, s0
	s_xor_b32 s0, exec_lo, s10
; %bb.486:                              ;   in Loop: Header=BB391_321 Depth=1
	v_bfe_u32 v6, v5, 16, 1
	s_delay_alu instid0(VALU_DEP_1)
	v_add3_u32 v45, v5, v6, 0x7fff
                                        ; implicit-def: $vgpr5
; %bb.487:                              ;   in Loop: Header=BB391_321 Depth=1
	s_and_not1_saveexec_b32 s10, s0
; %bb.488:                              ;   in Loop: Header=BB391_321 Depth=1
	v_and_b32_e32 v6, 0xffff, v5
	v_or_b32_e32 v11, 0x10000, v5
	s_delay_alu instid0(VALU_DEP_2) | instskip(NEXT) | instid1(VALU_DEP_1)
	v_cmp_eq_u32_e64 s0, 0, v6
	v_cndmask_b32_e64 v45, v11, v5, s0
; %bb.489:                              ;   in Loop: Header=BB391_321 Depth=1
	s_or_b32 exec_lo, exec_lo, s10
	v_lshrrev_b16 v6, 8, v3
	v_mov_b32_e32 v5, 0
	s_mov_b32 s10, exec_lo
	s_delay_alu instid0(VALU_DEP_2)
	v_cmpx_ne_u16_e32 0, v6
	s_cbranch_execz .LBB391_497
; %bb.490:                              ;   in Loop: Header=BB391_321 Depth=1
	v_bfrev_b32_e32 v5, 1
	s_mov_b32 s11, exec_lo
	v_cmpx_ne_u16_e32 0x80, v6
	s_cbranch_execz .LBB391_496
; %bb.491:                              ;   in Loop: Header=BB391_321 Depth=1
	v_and_b32_e32 v11, 0xffff, v6
	v_mov_b32_e32 v5, 0x7f800001
	s_mov_b32 s13, exec_lo
	s_delay_alu instid0(VALU_DEP_2) | instskip(NEXT) | instid1(VALU_DEP_1)
	v_and_b32_e32 v6, 0x7f, v11
	v_cmpx_ne_u32_e32 0x7f, v6
	s_cbranch_execz .LBB391_495
; %bb.492:                              ;   in Loop: Header=BB391_321 Depth=1
	v_and_b32_e32 v11, 7, v11
	v_lshrrev_b32_e32 v5, 3, v6
	s_mov_b32 s14, exec_lo
	v_cmpx_gt_u32_e32 8, v6
; %bb.493:                              ;   in Loop: Header=BB391_321 Depth=1
	s_delay_alu instid0(VALU_DEP_3) | instskip(NEXT) | instid1(VALU_DEP_1)
	v_clz_i32_u32_e32 v5, v11
	v_min_u32_e32 v5, 32, v5
	s_delay_alu instid0(VALU_DEP_1) | instskip(SKIP_1) | instid1(VALU_DEP_2)
	v_subrev_nc_u32_e32 v6, 28, v5
	v_sub_nc_u32_e32 v5, 29, v5
	v_lshlrev_b64 v[46:47], v6, v[11:12]
	s_delay_alu instid0(VALU_DEP_1)
	v_and_b32_e32 v11, 7, v46
; %bb.494:                              ;   in Loop: Header=BB391_321 Depth=1
	s_or_b32 exec_lo, exec_lo, s14
	v_lshlrev_b32_e32 v6, 16, v3
	s_delay_alu instid0(VALU_DEP_2) | instskip(SKIP_1) | instid1(VALU_DEP_3)
	v_lshlrev_b32_e32 v11, 20, v11
	v_lshl_add_u32 v5, v5, 23, 0x3c000000
	v_and_b32_e32 v6, 0x80000000, v6
	s_delay_alu instid0(VALU_DEP_1)
	v_or3_b32 v5, v11, v6, v5
.LBB391_495:                            ;   in Loop: Header=BB391_321 Depth=1
	s_or_b32 exec_lo, exec_lo, s13
.LBB391_496:                            ;   in Loop: Header=BB391_321 Depth=1
	s_delay_alu instid0(SALU_CYCLE_1)
	s_or_b32 exec_lo, exec_lo, s11
.LBB391_497:                            ;   in Loop: Header=BB391_321 Depth=1
	s_delay_alu instid0(SALU_CYCLE_1) | instskip(NEXT) | instid1(VALU_DEP_1)
	s_or_b32 exec_lo, exec_lo, s10
	v_mul_f32_e32 v5, s8, v5
                                        ; implicit-def: $vgpr46
	s_delay_alu instid0(VALU_DEP_1) | instskip(NEXT) | instid1(VALU_DEP_1)
	v_and_b32_e32 v6, 0x7f800000, v5
	v_cmp_ne_u32_e64 s0, 0x7f800000, v6
	s_delay_alu instid0(VALU_DEP_1) | instskip(NEXT) | instid1(SALU_CYCLE_1)
	s_and_saveexec_b32 s10, s0
	s_xor_b32 s0, exec_lo, s10
; %bb.498:                              ;   in Loop: Header=BB391_321 Depth=1
	v_bfe_u32 v6, v5, 16, 1
	s_delay_alu instid0(VALU_DEP_1)
	v_add3_u32 v46, v5, v6, 0x7fff
                                        ; implicit-def: $vgpr5
; %bb.499:                              ;   in Loop: Header=BB391_321 Depth=1
	s_and_not1_saveexec_b32 s10, s0
; %bb.500:                              ;   in Loop: Header=BB391_321 Depth=1
	v_and_b32_e32 v6, 0xffff, v5
	v_or_b32_e32 v11, 0x10000, v5
	s_delay_alu instid0(VALU_DEP_2) | instskip(NEXT) | instid1(VALU_DEP_1)
	v_cmp_eq_u32_e64 s0, 0, v6
	v_cndmask_b32_e64 v46, v11, v5, s0
; %bb.501:                              ;   in Loop: Header=BB391_321 Depth=1
	s_or_b32 exec_lo, exec_lo, s10
	v_lshrrev_b32_e32 v5, 16, v3
	s_mov_b32 s10, exec_lo
	s_delay_alu instid0(VALU_DEP_1) | instskip(NEXT) | instid1(VALU_DEP_1)
	v_dual_mov_b32 v6, 0 :: v_dual_and_b32 v11, 0xff, v5
	v_cmpx_ne_u16_e32 0, v11
	s_cbranch_execz .LBB391_509
; %bb.502:                              ;   in Loop: Header=BB391_321 Depth=1
	v_bfrev_b32_e32 v6, 1
	s_mov_b32 s11, exec_lo
	v_cmpx_ne_u16_e32 0x80, v11
	s_cbranch_execz .LBB391_508
; %bb.503:                              ;   in Loop: Header=BB391_321 Depth=1
	v_bfe_u32 v47, v3, 16, 7
	v_mov_b32_e32 v6, 0x7f800001
	s_mov_b32 s13, exec_lo
	s_delay_alu instid0(VALU_DEP_2)
	v_cmpx_ne_u32_e32 0x7f, v47
	s_cbranch_execz .LBB391_507
; %bb.504:                              ;   in Loop: Header=BB391_321 Depth=1
	v_and_b32_e32 v11, 7, v5
	v_lshrrev_b32_e32 v6, 3, v47
	s_mov_b32 s14, exec_lo
	v_cmpx_gt_u32_e32 8, v47
; %bb.505:                              ;   in Loop: Header=BB391_321 Depth=1
	s_delay_alu instid0(VALU_DEP_3) | instskip(NEXT) | instid1(VALU_DEP_1)
	v_clz_i32_u32_e32 v6, v11
	v_min_u32_e32 v6, 32, v6
	s_delay_alu instid0(VALU_DEP_1) | instskip(SKIP_1) | instid1(VALU_DEP_2)
	v_subrev_nc_u32_e32 v47, 28, v6
	v_sub_nc_u32_e32 v6, 29, v6
	v_lshlrev_b64 v[47:48], v47, v[11:12]
	s_delay_alu instid0(VALU_DEP_1)
	v_and_b32_e32 v11, 7, v47
; %bb.506:                              ;   in Loop: Header=BB391_321 Depth=1
	s_or_b32 exec_lo, exec_lo, s14
	v_lshlrev_b32_e32 v5, 24, v5
	s_delay_alu instid0(VALU_DEP_2) | instskip(SKIP_1) | instid1(VALU_DEP_3)
	v_lshlrev_b32_e32 v11, 20, v11
	v_lshl_add_u32 v6, v6, 23, 0x3c000000
	v_and_b32_e32 v5, 0x80000000, v5
	s_delay_alu instid0(VALU_DEP_1)
	v_or3_b32 v6, v11, v5, v6
.LBB391_507:                            ;   in Loop: Header=BB391_321 Depth=1
	s_or_b32 exec_lo, exec_lo, s13
.LBB391_508:                            ;   in Loop: Header=BB391_321 Depth=1
	s_delay_alu instid0(SALU_CYCLE_1)
	s_or_b32 exec_lo, exec_lo, s11
.LBB391_509:                            ;   in Loop: Header=BB391_321 Depth=1
	s_delay_alu instid0(SALU_CYCLE_1) | instskip(NEXT) | instid1(VALU_DEP_1)
	s_or_b32 exec_lo, exec_lo, s10
	v_mul_f32_e32 v5, s8, v6
                                        ; implicit-def: $vgpr47
	s_delay_alu instid0(VALU_DEP_1) | instskip(NEXT) | instid1(VALU_DEP_1)
	v_and_b32_e32 v6, 0x7f800000, v5
	v_cmp_ne_u32_e64 s0, 0x7f800000, v6
	s_delay_alu instid0(VALU_DEP_1) | instskip(NEXT) | instid1(SALU_CYCLE_1)
	s_and_saveexec_b32 s10, s0
	s_xor_b32 s0, exec_lo, s10
; %bb.510:                              ;   in Loop: Header=BB391_321 Depth=1
	v_bfe_u32 v6, v5, 16, 1
	s_delay_alu instid0(VALU_DEP_1)
	v_add3_u32 v47, v5, v6, 0x7fff
                                        ; implicit-def: $vgpr5
; %bb.511:                              ;   in Loop: Header=BB391_321 Depth=1
	s_and_not1_saveexec_b32 s10, s0
; %bb.512:                              ;   in Loop: Header=BB391_321 Depth=1
	v_and_b32_e32 v6, 0xffff, v5
	v_or_b32_e32 v11, 0x10000, v5
	s_delay_alu instid0(VALU_DEP_2) | instskip(NEXT) | instid1(VALU_DEP_1)
	v_cmp_eq_u32_e64 s0, 0, v6
	v_cndmask_b32_e64 v47, v11, v5, s0
; %bb.513:                              ;   in Loop: Header=BB391_321 Depth=1
	s_or_b32 exec_lo, exec_lo, s10
	v_mov_b32_e32 v6, 0
	s_mov_b32 s10, exec_lo
	v_cmpx_lt_u32_e32 0xffffff, v3
	s_cbranch_execz .LBB391_521
; %bb.514:                              ;   in Loop: Header=BB391_321 Depth=1
	v_lshrrev_b32_e32 v5, 24, v3
	v_bfrev_b32_e32 v6, 1
	s_mov_b32 s11, exec_lo
	s_delay_alu instid0(VALU_DEP_2)
	v_cmpx_ne_u32_e32 0x80, v5
	s_cbranch_execz .LBB391_520
; %bb.515:                              ;   in Loop: Header=BB391_321 Depth=1
	v_bfe_u32 v48, v3, 24, 7
	v_mov_b32_e32 v6, 0x7f800001
	s_mov_b32 s13, exec_lo
	s_delay_alu instid0(VALU_DEP_2)
	v_cmpx_ne_u32_e32 0x7f, v48
	s_cbranch_execz .LBB391_519
; %bb.516:                              ;   in Loop: Header=BB391_321 Depth=1
	v_and_b32_e32 v11, 7, v5
	v_lshrrev_b32_e32 v6, 3, v48
	s_mov_b32 s14, exec_lo
	v_cmpx_gt_u32_e32 8, v48
; %bb.517:                              ;   in Loop: Header=BB391_321 Depth=1
	s_delay_alu instid0(VALU_DEP_3) | instskip(NEXT) | instid1(VALU_DEP_1)
	v_clz_i32_u32_e32 v6, v11
	v_min_u32_e32 v6, 32, v6
	s_delay_alu instid0(VALU_DEP_1) | instskip(SKIP_1) | instid1(VALU_DEP_2)
	v_subrev_nc_u32_e32 v48, 28, v6
	v_sub_nc_u32_e32 v6, 29, v6
	v_lshlrev_b64 v[48:49], v48, v[11:12]
	s_delay_alu instid0(VALU_DEP_1)
	v_and_b32_e32 v11, 7, v48
; %bb.518:                              ;   in Loop: Header=BB391_321 Depth=1
	s_or_b32 exec_lo, exec_lo, s14
	v_lshlrev_b32_e32 v5, 24, v5
	s_delay_alu instid0(VALU_DEP_2) | instskip(SKIP_1) | instid1(VALU_DEP_3)
	v_lshlrev_b32_e32 v11, 20, v11
	v_lshl_add_u32 v6, v6, 23, 0x3c000000
	v_and_b32_e32 v5, 0x80000000, v5
	s_delay_alu instid0(VALU_DEP_1)
	v_or3_b32 v6, v11, v5, v6
.LBB391_519:                            ;   in Loop: Header=BB391_321 Depth=1
	s_or_b32 exec_lo, exec_lo, s13
.LBB391_520:                            ;   in Loop: Header=BB391_321 Depth=1
	s_delay_alu instid0(SALU_CYCLE_1)
	s_or_b32 exec_lo, exec_lo, s11
.LBB391_521:                            ;   in Loop: Header=BB391_321 Depth=1
	s_delay_alu instid0(SALU_CYCLE_1) | instskip(NEXT) | instid1(VALU_DEP_1)
	s_or_b32 exec_lo, exec_lo, s10
	v_mul_f32_e32 v5, s8, v6
                                        ; implicit-def: $vgpr48
	s_delay_alu instid0(VALU_DEP_1) | instskip(NEXT) | instid1(VALU_DEP_1)
	v_and_b32_e32 v6, 0x7f800000, v5
	v_cmp_ne_u32_e64 s0, 0x7f800000, v6
	s_delay_alu instid0(VALU_DEP_1) | instskip(NEXT) | instid1(SALU_CYCLE_1)
	s_and_saveexec_b32 s10, s0
	s_xor_b32 s0, exec_lo, s10
; %bb.522:                              ;   in Loop: Header=BB391_321 Depth=1
	v_bfe_u32 v6, v5, 16, 1
	s_delay_alu instid0(VALU_DEP_1)
	v_add3_u32 v48, v5, v6, 0x7fff
                                        ; implicit-def: $vgpr5
; %bb.523:                              ;   in Loop: Header=BB391_321 Depth=1
	s_and_not1_saveexec_b32 s10, s0
; %bb.524:                              ;   in Loop: Header=BB391_321 Depth=1
	v_and_b32_e32 v6, 0xffff, v5
	v_or_b32_e32 v11, 0x10000, v5
	s_delay_alu instid0(VALU_DEP_2) | instskip(NEXT) | instid1(VALU_DEP_1)
	v_cmp_eq_u32_e64 s0, 0, v6
	v_cndmask_b32_e64 v48, v11, v5, s0
; %bb.525:                              ;   in Loop: Header=BB391_321 Depth=1
	s_or_b32 exec_lo, exec_lo, s10
	v_dual_mov_b32 v11, v4 :: v_dual_and_b32 v6, 0xff, v4
	v_mov_b32_e32 v5, 0
	s_mov_b32 s10, exec_lo
	s_delay_alu instid0(VALU_DEP_2)
	v_cmpx_ne_u16_e32 0, v6
	s_cbranch_execz .LBB391_531
; %bb.526:                              ;   in Loop: Header=BB391_321 Depth=1
	v_bfrev_b32_e32 v5, 1
	s_mov_b32 s11, exec_lo
	v_cmpx_ne_u16_e32 0x80, v6
	s_cbranch_execz .LBB391_530
; %bb.527:                              ;   in Loop: Header=BB391_321 Depth=1
	v_and_b32_e32 v6, 0x7f, v4
	v_mov_b32_e32 v5, 0x7f800001
	s_mov_b32 s13, exec_lo
	s_delay_alu instid0(VALU_DEP_2)
	v_cmpx_ne_u32_e32 0x7f, v6
	s_cbranch_execz .LBB391_529
; %bb.528:                              ;   in Loop: Header=BB391_321 Depth=1
	v_and_b32_e32 v5, 7, v4
	v_lshrrev_b32_e32 v49, 3, v6
	v_cmp_gt_u32_e64 s0, 8, v6
	s_delay_alu instid0(VALU_DEP_3) | instskip(NEXT) | instid1(VALU_DEP_1)
	v_clz_i32_u32_e32 v5, v5
	v_min_u32_e32 v5, 32, v5
	s_delay_alu instid0(VALU_DEP_1) | instskip(SKIP_1) | instid1(VALU_DEP_1)
	v_subrev_nc_u32_e32 v50, 28, v5
	v_sub_nc_u32_e32 v5, 29, v5
	v_cndmask_b32_e64 v49, v49, v5, s0
	s_delay_alu instid0(VALU_DEP_3) | instskip(NEXT) | instid1(VALU_DEP_2)
	v_cndmask_b32_e64 v5, 0, v50, s0
	v_lshl_add_u32 v49, v49, 23, 0x3c000000
	s_delay_alu instid0(VALU_DEP_2) | instskip(SKIP_1) | instid1(VALU_DEP_2)
	v_lshlrev_b64 v[5:6], v5, v[11:12]
	v_lshlrev_b32_e32 v6, 24, v11
	v_lshlrev_b32_e32 v5, 20, v5
	s_delay_alu instid0(VALU_DEP_2) | instskip(NEXT) | instid1(VALU_DEP_2)
	v_and_b32_e32 v6, 0x80000000, v6
	v_and_b32_e32 v5, 0x700000, v5
	s_delay_alu instid0(VALU_DEP_1)
	v_or3_b32 v5, v5, v6, v49
.LBB391_529:                            ;   in Loop: Header=BB391_321 Depth=1
	s_or_b32 exec_lo, exec_lo, s13
.LBB391_530:                            ;   in Loop: Header=BB391_321 Depth=1
	s_delay_alu instid0(SALU_CYCLE_1)
	s_or_b32 exec_lo, exec_lo, s11
.LBB391_531:                            ;   in Loop: Header=BB391_321 Depth=1
	s_delay_alu instid0(SALU_CYCLE_1) | instskip(NEXT) | instid1(VALU_DEP_1)
	s_or_b32 exec_lo, exec_lo, s10
	v_mul_f32_e32 v5, s8, v5
                                        ; implicit-def: $vgpr49
	s_delay_alu instid0(VALU_DEP_1) | instskip(NEXT) | instid1(VALU_DEP_1)
	v_and_b32_e32 v6, 0x7f800000, v5
	v_cmp_ne_u32_e64 s0, 0x7f800000, v6
	s_delay_alu instid0(VALU_DEP_1) | instskip(NEXT) | instid1(SALU_CYCLE_1)
	s_and_saveexec_b32 s10, s0
	s_xor_b32 s0, exec_lo, s10
; %bb.532:                              ;   in Loop: Header=BB391_321 Depth=1
	v_bfe_u32 v6, v5, 16, 1
	s_delay_alu instid0(VALU_DEP_1)
	v_add3_u32 v49, v5, v6, 0x7fff
                                        ; implicit-def: $vgpr5
; %bb.533:                              ;   in Loop: Header=BB391_321 Depth=1
	s_and_not1_saveexec_b32 s10, s0
; %bb.534:                              ;   in Loop: Header=BB391_321 Depth=1
	v_and_b32_e32 v6, 0xffff, v5
	v_or_b32_e32 v49, 0x10000, v5
	s_delay_alu instid0(VALU_DEP_2) | instskip(NEXT) | instid1(VALU_DEP_1)
	v_cmp_eq_u32_e64 s0, 0, v6
	v_cndmask_b32_e64 v49, v49, v5, s0
; %bb.535:                              ;   in Loop: Header=BB391_321 Depth=1
	s_or_b32 exec_lo, exec_lo, s10
	v_lshrrev_b16 v6, 8, v11
	v_mov_b32_e32 v5, 0
	s_mov_b32 s10, exec_lo
	s_delay_alu instid0(VALU_DEP_2)
	v_cmpx_ne_u16_e32 0, v6
	s_cbranch_execz .LBB391_543
; %bb.536:                              ;   in Loop: Header=BB391_321 Depth=1
	v_bfrev_b32_e32 v5, 1
	s_mov_b32 s11, exec_lo
	v_cmpx_ne_u16_e32 0x80, v6
	s_cbranch_execz .LBB391_542
; %bb.537:                              ;   in Loop: Header=BB391_321 Depth=1
	v_and_b32_e32 v6, 0xffff, v6
	v_mov_b32_e32 v5, 0x7f800001
	s_mov_b32 s13, exec_lo
	s_delay_alu instid0(VALU_DEP_2) | instskip(NEXT) | instid1(VALU_DEP_1)
	v_and_b32_e32 v51, 0x7f, v6
	v_cmpx_ne_u32_e32 0x7f, v51
	s_cbranch_execz .LBB391_541
; %bb.538:                              ;   in Loop: Header=BB391_321 Depth=1
	v_dual_mov_b32 v6, v12 :: v_dual_and_b32 v5, 7, v6
	v_lshrrev_b32_e32 v50, 3, v51
	s_mov_b32 s14, exec_lo
	v_cmpx_gt_u32_e32 8, v51
; %bb.539:                              ;   in Loop: Header=BB391_321 Depth=1
	s_delay_alu instid0(VALU_DEP_3) | instskip(NEXT) | instid1(VALU_DEP_1)
	v_clz_i32_u32_e32 v50, v5
	v_min_u32_e32 v50, 32, v50
	s_delay_alu instid0(VALU_DEP_1) | instskip(SKIP_1) | instid1(VALU_DEP_2)
	v_subrev_nc_u32_e32 v51, 28, v50
	v_sub_nc_u32_e32 v50, 29, v50
	v_lshlrev_b64 v[5:6], v51, v[5:6]
	s_delay_alu instid0(VALU_DEP_1)
	v_and_b32_e32 v5, 7, v5
; %bb.540:                              ;   in Loop: Header=BB391_321 Depth=1
	s_or_b32 exec_lo, exec_lo, s14
	v_lshlrev_b32_e32 v6, 16, v11
	s_delay_alu instid0(VALU_DEP_2) | instskip(SKIP_1) | instid1(VALU_DEP_3)
	v_lshlrev_b32_e32 v5, 20, v5
	v_lshl_add_u32 v11, v50, 23, 0x3c000000
	v_and_b32_e32 v6, 0x80000000, v6
	s_delay_alu instid0(VALU_DEP_1)
	v_or3_b32 v5, v5, v6, v11
.LBB391_541:                            ;   in Loop: Header=BB391_321 Depth=1
	s_or_b32 exec_lo, exec_lo, s13
.LBB391_542:                            ;   in Loop: Header=BB391_321 Depth=1
	s_delay_alu instid0(SALU_CYCLE_1)
	s_or_b32 exec_lo, exec_lo, s11
.LBB391_543:                            ;   in Loop: Header=BB391_321 Depth=1
	s_delay_alu instid0(SALU_CYCLE_1) | instskip(NEXT) | instid1(VALU_DEP_1)
	s_or_b32 exec_lo, exec_lo, s10
	v_mul_f32_e32 v6, s8, v5
	s_delay_alu instid0(VALU_DEP_1) | instskip(NEXT) | instid1(VALU_DEP_1)
	v_and_b32_e32 v5, 0x7f800000, v6
	v_cmp_ne_u32_e64 s0, 0x7f800000, v5
                                        ; implicit-def: $vgpr5
	s_delay_alu instid0(VALU_DEP_1) | instskip(NEXT) | instid1(SALU_CYCLE_1)
	s_and_saveexec_b32 s10, s0
	s_xor_b32 s0, exec_lo, s10
; %bb.544:                              ;   in Loop: Header=BB391_321 Depth=1
	v_bfe_u32 v5, v6, 16, 1
	s_delay_alu instid0(VALU_DEP_1)
	v_add3_u32 v5, v6, v5, 0x7fff
                                        ; implicit-def: $vgpr6
; %bb.545:                              ;   in Loop: Header=BB391_321 Depth=1
	s_and_not1_saveexec_b32 s10, s0
; %bb.546:                              ;   in Loop: Header=BB391_321 Depth=1
	v_and_b32_e32 v5, 0xffff, v6
	v_or_b32_e32 v11, 0x10000, v6
	s_delay_alu instid0(VALU_DEP_2) | instskip(NEXT) | instid1(VALU_DEP_1)
	v_cmp_eq_u32_e64 s0, 0, v5
	v_cndmask_b32_e64 v5, v11, v6, s0
; %bb.547:                              ;   in Loop: Header=BB391_321 Depth=1
	s_or_b32 exec_lo, exec_lo, s10
	v_lshrrev_b32_e32 v6, 16, v4
	s_mov_b32 s10, exec_lo
	s_delay_alu instid0(VALU_DEP_1) | instskip(NEXT) | instid1(VALU_DEP_1)
	v_dual_mov_b32 v11, 0 :: v_dual_and_b32 v50, 0xff, v6
	v_cmpx_ne_u16_e32 0, v50
	s_cbranch_execz .LBB391_555
; %bb.548:                              ;   in Loop: Header=BB391_321 Depth=1
	v_bfrev_b32_e32 v11, 1
	s_mov_b32 s11, exec_lo
	v_cmpx_ne_u16_e32 0x80, v50
	s_cbranch_execz .LBB391_554
; %bb.549:                              ;   in Loop: Header=BB391_321 Depth=1
	v_bfe_u32 v51, v4, 16, 7
	v_mov_b32_e32 v11, 0x7f800001
	s_mov_b32 s13, exec_lo
	s_delay_alu instid0(VALU_DEP_2)
	v_cmpx_ne_u32_e32 0x7f, v51
	s_cbranch_execz .LBB391_553
; %bb.550:                              ;   in Loop: Header=BB391_321 Depth=1
	v_and_b32_e32 v11, 7, v6
	v_lshrrev_b32_e32 v50, 3, v51
	s_mov_b32 s14, exec_lo
	v_cmpx_gt_u32_e32 8, v51
; %bb.551:                              ;   in Loop: Header=BB391_321 Depth=1
	s_delay_alu instid0(VALU_DEP_3) | instskip(NEXT) | instid1(VALU_DEP_1)
	v_clz_i32_u32_e32 v50, v11
	v_min_u32_e32 v50, 32, v50
	s_delay_alu instid0(VALU_DEP_1) | instskip(SKIP_1) | instid1(VALU_DEP_2)
	v_subrev_nc_u32_e32 v51, 28, v50
	v_sub_nc_u32_e32 v50, 29, v50
	v_lshlrev_b64 v[51:52], v51, v[11:12]
	s_delay_alu instid0(VALU_DEP_1)
	v_and_b32_e32 v11, 7, v51
; %bb.552:                              ;   in Loop: Header=BB391_321 Depth=1
	s_or_b32 exec_lo, exec_lo, s14
	v_lshlrev_b32_e32 v6, 24, v6
	s_delay_alu instid0(VALU_DEP_2) | instskip(SKIP_1) | instid1(VALU_DEP_3)
	v_lshlrev_b32_e32 v11, 20, v11
	v_lshl_add_u32 v50, v50, 23, 0x3c000000
	v_and_b32_e32 v6, 0x80000000, v6
	s_delay_alu instid0(VALU_DEP_1)
	v_or3_b32 v11, v11, v6, v50
.LBB391_553:                            ;   in Loop: Header=BB391_321 Depth=1
	s_or_b32 exec_lo, exec_lo, s13
.LBB391_554:                            ;   in Loop: Header=BB391_321 Depth=1
	s_delay_alu instid0(SALU_CYCLE_1)
	s_or_b32 exec_lo, exec_lo, s11
.LBB391_555:                            ;   in Loop: Header=BB391_321 Depth=1
	s_delay_alu instid0(SALU_CYCLE_1) | instskip(NEXT) | instid1(VALU_DEP_1)
	s_or_b32 exec_lo, exec_lo, s10
	v_mul_f32_e32 v11, s8, v11
	s_delay_alu instid0(VALU_DEP_1) | instskip(NEXT) | instid1(VALU_DEP_1)
	v_and_b32_e32 v6, 0x7f800000, v11
	v_cmp_ne_u32_e64 s0, 0x7f800000, v6
                                        ; implicit-def: $vgpr6
	s_delay_alu instid0(VALU_DEP_1) | instskip(NEXT) | instid1(SALU_CYCLE_1)
	s_and_saveexec_b32 s10, s0
	s_xor_b32 s0, exec_lo, s10
; %bb.556:                              ;   in Loop: Header=BB391_321 Depth=1
	v_bfe_u32 v6, v11, 16, 1
	s_delay_alu instid0(VALU_DEP_1)
	v_add3_u32 v6, v11, v6, 0x7fff
                                        ; implicit-def: $vgpr11
; %bb.557:                              ;   in Loop: Header=BB391_321 Depth=1
	s_and_not1_saveexec_b32 s10, s0
; %bb.558:                              ;   in Loop: Header=BB391_321 Depth=1
	v_and_b32_e32 v6, 0xffff, v11
	v_or_b32_e32 v50, 0x10000, v11
	s_delay_alu instid0(VALU_DEP_2) | instskip(NEXT) | instid1(VALU_DEP_1)
	v_cmp_eq_u32_e64 s0, 0, v6
	v_cndmask_b32_e64 v6, v50, v11, s0
; %bb.559:                              ;   in Loop: Header=BB391_321 Depth=1
	s_or_b32 exec_lo, exec_lo, s10
	v_mov_b32_e32 v11, 0
	s_mov_b32 s10, exec_lo
	v_cmpx_lt_u64_e64 s[2:3], v[3:4]
	s_cbranch_execz .LBB391_567
; %bb.560:                              ;   in Loop: Header=BB391_321 Depth=1
	v_lshrrev_b32_e32 v3, 24, v4
	v_bfrev_b32_e32 v11, 1
	s_mov_b32 s11, exec_lo
	s_delay_alu instid0(VALU_DEP_2)
	v_cmpx_ne_u32_e32 0x80, v3
	s_cbranch_execz .LBB391_566
; %bb.561:                              ;   in Loop: Header=BB391_321 Depth=1
	v_bfe_u32 v50, v4, 24, 7
	v_mov_b32_e32 v11, 0x7f800001
	s_mov_b32 s13, exec_lo
	s_delay_alu instid0(VALU_DEP_2)
	v_cmpx_ne_u32_e32 0x7f, v50
	s_cbranch_execz .LBB391_565
; %bb.562:                              ;   in Loop: Header=BB391_321 Depth=1
	v_and_b32_e32 v11, 7, v3
	v_lshrrev_b32_e32 v4, 3, v50
	s_mov_b32 s14, exec_lo
	v_cmpx_gt_u32_e32 8, v50
; %bb.563:                              ;   in Loop: Header=BB391_321 Depth=1
	s_delay_alu instid0(VALU_DEP_3) | instskip(NEXT) | instid1(VALU_DEP_1)
	v_clz_i32_u32_e32 v4, v11
	v_min_u32_e32 v4, 32, v4
	s_delay_alu instid0(VALU_DEP_1) | instskip(SKIP_1) | instid1(VALU_DEP_2)
	v_subrev_nc_u32_e32 v50, 28, v4
	v_sub_nc_u32_e32 v4, 29, v4
	v_lshlrev_b64 v[50:51], v50, v[11:12]
	s_delay_alu instid0(VALU_DEP_1)
	v_and_b32_e32 v11, 7, v50
; %bb.564:                              ;   in Loop: Header=BB391_321 Depth=1
	s_or_b32 exec_lo, exec_lo, s14
	v_lshlrev_b32_e32 v3, 24, v3
	s_delay_alu instid0(VALU_DEP_2) | instskip(SKIP_1) | instid1(VALU_DEP_3)
	v_lshlrev_b32_e32 v11, 20, v11
	v_lshl_add_u32 v4, v4, 23, 0x3c000000
	v_and_b32_e32 v3, 0x80000000, v3
	s_delay_alu instid0(VALU_DEP_1)
	v_or3_b32 v11, v11, v3, v4
.LBB391_565:                            ;   in Loop: Header=BB391_321 Depth=1
	s_or_b32 exec_lo, exec_lo, s13
.LBB391_566:                            ;   in Loop: Header=BB391_321 Depth=1
	s_delay_alu instid0(SALU_CYCLE_1)
	s_or_b32 exec_lo, exec_lo, s11
.LBB391_567:                            ;   in Loop: Header=BB391_321 Depth=1
	s_delay_alu instid0(SALU_CYCLE_1) | instskip(NEXT) | instid1(VALU_DEP_1)
	s_or_b32 exec_lo, exec_lo, s10
	v_mul_f32_e32 v4, s8, v11
	s_delay_alu instid0(VALU_DEP_1) | instskip(NEXT) | instid1(VALU_DEP_1)
	v_and_b32_e32 v3, 0x7f800000, v4
	v_cmp_ne_u32_e64 s0, 0x7f800000, v3
                                        ; implicit-def: $vgpr3
	s_delay_alu instid0(VALU_DEP_1) | instskip(NEXT) | instid1(SALU_CYCLE_1)
	s_and_saveexec_b32 s10, s0
	s_xor_b32 s0, exec_lo, s10
; %bb.568:                              ;   in Loop: Header=BB391_321 Depth=1
	v_bfe_u32 v3, v4, 16, 1
	s_delay_alu instid0(VALU_DEP_1)
	v_add3_u32 v3, v4, v3, 0x7fff
                                        ; implicit-def: $vgpr4
; %bb.569:                              ;   in Loop: Header=BB391_321 Depth=1
	s_and_not1_saveexec_b32 s10, s0
; %bb.570:                              ;   in Loop: Header=BB391_321 Depth=1
	v_and_b32_e32 v3, 0xffff, v4
	v_or_b32_e32 v11, 0x10000, v4
	s_delay_alu instid0(VALU_DEP_2) | instskip(NEXT) | instid1(VALU_DEP_1)
	v_cmp_eq_u32_e64 s0, 0, v3
	v_cndmask_b32_e64 v3, v11, v4, s0
; %bb.571:                              ;   in Loop: Header=BB391_321 Depth=1
	s_or_b32 exec_lo, exec_lo, s10
	v_lshrrev_b32_e32 v11, 16, v5
	v_lshrrev_b32_e32 v49, 16, v49
	;; [unrolled: 1-line block ×8, first 2 shown]
	s_and_saveexec_b32 s10, vcc_lo
	s_cbranch_execz .LBB391_573
; %bb.572:                              ;   in Loop: Header=BB391_321 Depth=1
	v_cmp_gt_i32_e64 s0, s15, v30
	s_delay_alu instid0(VALU_DEP_1) | instskip(SKIP_1) | instid1(VALU_DEP_1)
	v_cndmask_b32_e64 v5, 0, v5, s0
	v_cmp_gt_i32_e64 s0, s15, v36
	v_cndmask_b32_e64 v46, 0, v46, s0
	v_cmp_gt_i32_e64 s0, s15, v35
	s_delay_alu instid0(VALU_DEP_1) | instskip(SKIP_1) | instid1(VALU_DEP_1)
	v_cndmask_b32_e64 v47, 0, v47, s0
	v_cmp_gt_i32_e64 s0, s15, v34
	v_cndmask_b32_e64 v48, 0, v48, s0
	;; [unrolled: 5-line block ×4, first 2 shown]
.LBB391_573:                            ;   in Loop: Header=BB391_321 Depth=1
	s_or_b32 exec_lo, exec_lo, s10
	v_lshlrev_b32_e32 v5, 16, v5
	s_delay_alu instid0(VALU_DEP_1) | instskip(NEXT) | instid1(VALU_DEP_1)
	v_mul_f32_e32 v6, v37, v5
	v_and_b32_e32 v5, 0x7f800000, v6
	s_delay_alu instid0(VALU_DEP_1) | instskip(NEXT) | instid1(VALU_DEP_1)
	v_cmp_ne_u32_e64 s0, 0x7f800000, v5
                                        ; implicit-def: $vgpr5
	s_and_saveexec_b32 s10, s0
	s_delay_alu instid0(SALU_CYCLE_1)
	s_xor_b32 s0, exec_lo, s10
; %bb.574:                              ;   in Loop: Header=BB391_321 Depth=1
	v_bfe_u32 v5, v6, 16, 1
	s_delay_alu instid0(VALU_DEP_1)
	v_add3_u32 v5, v6, v5, 0x7fff
                                        ; implicit-def: $vgpr6
; %bb.575:                              ;   in Loop: Header=BB391_321 Depth=1
	s_and_not1_saveexec_b32 s10, s0
; %bb.576:                              ;   in Loop: Header=BB391_321 Depth=1
	v_and_b32_e32 v5, 0xffff, v6
	v_or_b32_e32 v45, 0x10000, v6
	s_delay_alu instid0(VALU_DEP_2) | instskip(NEXT) | instid1(VALU_DEP_1)
	v_cmp_eq_u32_e64 s0, 0, v5
	v_cndmask_b32_e64 v5, v45, v6, s0
; %bb.577:                              ;   in Loop: Header=BB391_321 Depth=1
	s_or_b32 exec_lo, exec_lo, s10
	v_lshlrev_b32_e32 v6, 16, v46
	s_delay_alu instid0(VALU_DEP_1) | instskip(NEXT) | instid1(VALU_DEP_1)
	v_mul_f32_e32 v45, v38, v6
	v_and_b32_e32 v6, 0x7f800000, v45
	s_delay_alu instid0(VALU_DEP_1) | instskip(NEXT) | instid1(VALU_DEP_1)
	v_cmp_ne_u32_e64 s0, 0x7f800000, v6
                                        ; implicit-def: $vgpr6
	s_and_saveexec_b32 s10, s0
	s_delay_alu instid0(SALU_CYCLE_1)
	s_xor_b32 s0, exec_lo, s10
; %bb.578:                              ;   in Loop: Header=BB391_321 Depth=1
	v_bfe_u32 v6, v45, 16, 1
	s_delay_alu instid0(VALU_DEP_1)
	v_add3_u32 v6, v45, v6, 0x7fff
                                        ; implicit-def: $vgpr45
; %bb.579:                              ;   in Loop: Header=BB391_321 Depth=1
	s_and_not1_saveexec_b32 s10, s0
; %bb.580:                              ;   in Loop: Header=BB391_321 Depth=1
	v_and_b32_e32 v6, 0xffff, v45
	v_or_b32_e32 v46, 0x10000, v45
	s_delay_alu instid0(VALU_DEP_2) | instskip(NEXT) | instid1(VALU_DEP_1)
	v_cmp_eq_u32_e64 s0, 0, v6
	v_cndmask_b32_e64 v6, v46, v45, s0
; %bb.581:                              ;   in Loop: Header=BB391_321 Depth=1
	s_or_b32 exec_lo, exec_lo, s10
	v_lshlrev_b32_e32 v45, 16, v47
	s_delay_alu instid0(VALU_DEP_1) | instskip(NEXT) | instid1(VALU_DEP_1)
	v_mul_f32_e32 v46, v39, v45
	v_and_b32_e32 v45, 0x7f800000, v46
	s_delay_alu instid0(VALU_DEP_1) | instskip(NEXT) | instid1(VALU_DEP_1)
	v_cmp_ne_u32_e64 s0, 0x7f800000, v45
                                        ; implicit-def: $vgpr45
	s_and_saveexec_b32 s10, s0
	s_delay_alu instid0(SALU_CYCLE_1)
	s_xor_b32 s0, exec_lo, s10
; %bb.582:                              ;   in Loop: Header=BB391_321 Depth=1
	v_bfe_u32 v45, v46, 16, 1
	s_delay_alu instid0(VALU_DEP_1)
	v_add3_u32 v45, v46, v45, 0x7fff
                                        ; implicit-def: $vgpr46
; %bb.583:                              ;   in Loop: Header=BB391_321 Depth=1
	s_and_not1_saveexec_b32 s10, s0
; %bb.584:                              ;   in Loop: Header=BB391_321 Depth=1
	v_and_b32_e32 v45, 0xffff, v46
	v_or_b32_e32 v47, 0x10000, v46
	s_delay_alu instid0(VALU_DEP_2) | instskip(NEXT) | instid1(VALU_DEP_1)
	v_cmp_eq_u32_e64 s0, 0, v45
	v_cndmask_b32_e64 v45, v47, v46, s0
; %bb.585:                              ;   in Loop: Header=BB391_321 Depth=1
	s_or_b32 exec_lo, exec_lo, s10
	v_lshlrev_b32_e32 v46, 16, v48
	s_delay_alu instid0(VALU_DEP_1) | instskip(NEXT) | instid1(VALU_DEP_1)
	v_mul_f32_e32 v47, v40, v46
	v_and_b32_e32 v46, 0x7f800000, v47
	s_delay_alu instid0(VALU_DEP_1) | instskip(NEXT) | instid1(VALU_DEP_1)
	v_cmp_ne_u32_e64 s0, 0x7f800000, v46
                                        ; implicit-def: $vgpr46
	s_and_saveexec_b32 s10, s0
	s_delay_alu instid0(SALU_CYCLE_1)
	s_xor_b32 s0, exec_lo, s10
; %bb.586:                              ;   in Loop: Header=BB391_321 Depth=1
	v_bfe_u32 v46, v47, 16, 1
	s_delay_alu instid0(VALU_DEP_1)
	v_add3_u32 v46, v47, v46, 0x7fff
                                        ; implicit-def: $vgpr47
; %bb.587:                              ;   in Loop: Header=BB391_321 Depth=1
	s_and_not1_saveexec_b32 s10, s0
; %bb.588:                              ;   in Loop: Header=BB391_321 Depth=1
	v_and_b32_e32 v46, 0xffff, v47
	v_or_b32_e32 v48, 0x10000, v47
	s_delay_alu instid0(VALU_DEP_2) | instskip(NEXT) | instid1(VALU_DEP_1)
	v_cmp_eq_u32_e64 s0, 0, v46
	v_cndmask_b32_e64 v46, v48, v47, s0
; %bb.589:                              ;   in Loop: Header=BB391_321 Depth=1
	s_or_b32 exec_lo, exec_lo, s10
	v_lshlrev_b32_e32 v47, 16, v49
	s_delay_alu instid0(VALU_DEP_1) | instskip(NEXT) | instid1(VALU_DEP_1)
	v_mul_f32_e32 v48, v41, v47
	v_and_b32_e32 v47, 0x7f800000, v48
	s_delay_alu instid0(VALU_DEP_1) | instskip(NEXT) | instid1(VALU_DEP_1)
	v_cmp_ne_u32_e64 s0, 0x7f800000, v47
                                        ; implicit-def: $vgpr47
	s_and_saveexec_b32 s10, s0
	s_delay_alu instid0(SALU_CYCLE_1)
	s_xor_b32 s0, exec_lo, s10
; %bb.590:                              ;   in Loop: Header=BB391_321 Depth=1
	v_bfe_u32 v47, v48, 16, 1
	s_delay_alu instid0(VALU_DEP_1)
	v_add3_u32 v47, v48, v47, 0x7fff
                                        ; implicit-def: $vgpr48
; %bb.591:                              ;   in Loop: Header=BB391_321 Depth=1
	s_and_not1_saveexec_b32 s10, s0
; %bb.592:                              ;   in Loop: Header=BB391_321 Depth=1
	v_and_b32_e32 v47, 0xffff, v48
	v_or_b32_e32 v49, 0x10000, v48
	s_delay_alu instid0(VALU_DEP_2) | instskip(NEXT) | instid1(VALU_DEP_1)
	v_cmp_eq_u32_e64 s0, 0, v47
	v_cndmask_b32_e64 v47, v49, v48, s0
; %bb.593:                              ;   in Loop: Header=BB391_321 Depth=1
	s_or_b32 exec_lo, exec_lo, s10
	v_lshlrev_b32_e32 v11, 16, v11
	s_delay_alu instid0(VALU_DEP_1) | instskip(NEXT) | instid1(VALU_DEP_1)
	v_mul_f32_e32 v11, v42, v11
	v_and_b32_e32 v48, 0x7f800000, v11
	s_delay_alu instid0(VALU_DEP_1) | instskip(NEXT) | instid1(VALU_DEP_1)
	v_cmp_ne_u32_e64 s0, 0x7f800000, v48
                                        ; implicit-def: $vgpr48
	s_and_saveexec_b32 s10, s0
	s_delay_alu instid0(SALU_CYCLE_1)
	s_xor_b32 s0, exec_lo, s10
; %bb.594:                              ;   in Loop: Header=BB391_321 Depth=1
	v_bfe_u32 v48, v11, 16, 1
	s_delay_alu instid0(VALU_DEP_1)
	v_add3_u32 v48, v11, v48, 0x7fff
                                        ; implicit-def: $vgpr11
; %bb.595:                              ;   in Loop: Header=BB391_321 Depth=1
	s_and_not1_saveexec_b32 s10, s0
; %bb.596:                              ;   in Loop: Header=BB391_321 Depth=1
	v_and_b32_e32 v48, 0xffff, v11
	v_or_b32_e32 v49, 0x10000, v11
	s_delay_alu instid0(VALU_DEP_2) | instskip(NEXT) | instid1(VALU_DEP_1)
	v_cmp_eq_u32_e64 s0, 0, v48
	v_cndmask_b32_e64 v48, v49, v11, s0
; %bb.597:                              ;   in Loop: Header=BB391_321 Depth=1
	s_or_b32 exec_lo, exec_lo, s10
	v_lshlrev_b32_e32 v4, 16, v4
                                        ; implicit-def: $vgpr49
	s_delay_alu instid0(VALU_DEP_1) | instskip(NEXT) | instid1(VALU_DEP_1)
	v_mul_f32_e32 v4, v43, v4
	v_and_b32_e32 v11, 0x7f800000, v4
	s_delay_alu instid0(VALU_DEP_1) | instskip(NEXT) | instid1(VALU_DEP_1)
	v_cmp_ne_u32_e64 s0, 0x7f800000, v11
	s_and_saveexec_b32 s10, s0
	s_delay_alu instid0(SALU_CYCLE_1)
	s_xor_b32 s0, exec_lo, s10
; %bb.598:                              ;   in Loop: Header=BB391_321 Depth=1
	v_bfe_u32 v11, v4, 16, 1
	s_delay_alu instid0(VALU_DEP_1)
	v_add3_u32 v49, v4, v11, 0x7fff
                                        ; implicit-def: $vgpr4
; %bb.599:                              ;   in Loop: Header=BB391_321 Depth=1
	s_and_not1_saveexec_b32 s10, s0
; %bb.600:                              ;   in Loop: Header=BB391_321 Depth=1
	v_and_b32_e32 v11, 0xffff, v4
	v_or_b32_e32 v49, 0x10000, v4
	s_delay_alu instid0(VALU_DEP_2) | instskip(NEXT) | instid1(VALU_DEP_1)
	v_cmp_eq_u32_e64 s0, 0, v11
	v_cndmask_b32_e64 v49, v49, v4, s0
; %bb.601:                              ;   in Loop: Header=BB391_321 Depth=1
	s_or_b32 exec_lo, exec_lo, s10
	v_lshlrev_b32_e32 v3, 16, v3
                                        ; implicit-def: $vgpr50
	s_delay_alu instid0(VALU_DEP_1) | instskip(NEXT) | instid1(VALU_DEP_1)
	v_mul_f32_e32 v3, v44, v3
	v_and_b32_e32 v4, 0x7f800000, v3
	s_delay_alu instid0(VALU_DEP_1) | instskip(NEXT) | instid1(VALU_DEP_1)
	v_cmp_ne_u32_e64 s0, 0x7f800000, v4
	s_and_saveexec_b32 s10, s0
	s_delay_alu instid0(SALU_CYCLE_1)
	s_xor_b32 s0, exec_lo, s10
; %bb.602:                              ;   in Loop: Header=BB391_321 Depth=1
	v_bfe_u32 v4, v3, 16, 1
	s_delay_alu instid0(VALU_DEP_1)
	v_add3_u32 v50, v3, v4, 0x7fff
                                        ; implicit-def: $vgpr3
; %bb.603:                              ;   in Loop: Header=BB391_321 Depth=1
	s_and_not1_saveexec_b32 s10, s0
; %bb.604:                              ;   in Loop: Header=BB391_321 Depth=1
	v_and_b32_e32 v4, 0xffff, v3
	v_or_b32_e32 v11, 0x10000, v3
	s_delay_alu instid0(VALU_DEP_2) | instskip(NEXT) | instid1(VALU_DEP_1)
	v_cmp_eq_u32_e64 s0, 0, v4
	v_cndmask_b32_e64 v50, v11, v3, s0
; %bb.605:                              ;   in Loop: Header=BB391_321 Depth=1
	s_or_b32 exec_lo, exec_lo, s10
	global_load_b64 v[1:2], v[1:2], off offset:512
	s_mov_b32 s10, exec_lo
	s_waitcnt vmcnt(0)
	v_dual_mov_b32 v3, 0 :: v_dual_and_b32 v4, 0xff, v1
	s_delay_alu instid0(VALU_DEP_1)
	v_cmpx_ne_u16_e32 0, v4
	s_cbranch_execz .LBB391_611
; %bb.606:                              ;   in Loop: Header=BB391_321 Depth=1
	v_bfrev_b32_e32 v3, 1
	s_mov_b32 s11, exec_lo
	v_cmpx_ne_u16_e32 0x80, v4
	s_cbranch_execz .LBB391_610
; %bb.607:                              ;   in Loop: Header=BB391_321 Depth=1
	v_and_b32_e32 v4, 0x7f, v1
	v_mov_b32_e32 v3, 0x7f800001
	s_mov_b32 s13, exec_lo
	s_delay_alu instid0(VALU_DEP_2)
	v_cmpx_ne_u32_e32 0x7f, v4
	s_cbranch_execz .LBB391_609
; %bb.608:                              ;   in Loop: Header=BB391_321 Depth=1
	v_and_b32_e32 v3, 7, v1
	v_lshrrev_b32_e32 v11, 3, v4
	v_cmp_gt_u32_e64 s0, 8, v4
	s_delay_alu instid0(VALU_DEP_3) | instskip(NEXT) | instid1(VALU_DEP_1)
	v_clz_i32_u32_e32 v3, v3
	v_min_u32_e32 v3, 32, v3
	s_delay_alu instid0(VALU_DEP_1) | instskip(SKIP_1) | instid1(VALU_DEP_1)
	v_subrev_nc_u32_e32 v51, 28, v3
	v_sub_nc_u32_e32 v3, 29, v3
	v_cndmask_b32_e64 v11, v11, v3, s0
	s_delay_alu instid0(VALU_DEP_3) | instskip(NEXT) | instid1(VALU_DEP_2)
	v_cndmask_b32_e64 v3, 0, v51, s0
	v_lshl_add_u32 v11, v11, 23, 0x3c000000
	s_delay_alu instid0(VALU_DEP_2) | instskip(SKIP_1) | instid1(VALU_DEP_2)
	v_lshlrev_b64 v[3:4], v3, v[1:2]
	v_lshlrev_b32_e32 v4, 24, v1
	v_lshlrev_b32_e32 v3, 20, v3
	s_delay_alu instid0(VALU_DEP_2) | instskip(NEXT) | instid1(VALU_DEP_2)
	v_and_b32_e32 v4, 0x80000000, v4
	v_and_b32_e32 v3, 0x700000, v3
	s_delay_alu instid0(VALU_DEP_1)
	v_or3_b32 v3, v3, v4, v11
.LBB391_609:                            ;   in Loop: Header=BB391_321 Depth=1
	s_or_b32 exec_lo, exec_lo, s13
.LBB391_610:                            ;   in Loop: Header=BB391_321 Depth=1
	s_delay_alu instid0(SALU_CYCLE_1)
	s_or_b32 exec_lo, exec_lo, s11
.LBB391_611:                            ;   in Loop: Header=BB391_321 Depth=1
	s_delay_alu instid0(SALU_CYCLE_1) | instskip(NEXT) | instid1(VALU_DEP_1)
	s_or_b32 exec_lo, exec_lo, s10
	v_mul_f32_e32 v3, s8, v3
                                        ; implicit-def: $vgpr51
	s_delay_alu instid0(VALU_DEP_1) | instskip(NEXT) | instid1(VALU_DEP_1)
	v_and_b32_e32 v4, 0x7f800000, v3
	v_cmp_ne_u32_e64 s0, 0x7f800000, v4
	s_delay_alu instid0(VALU_DEP_1) | instskip(NEXT) | instid1(SALU_CYCLE_1)
	s_and_saveexec_b32 s10, s0
	s_xor_b32 s0, exec_lo, s10
; %bb.612:                              ;   in Loop: Header=BB391_321 Depth=1
	v_bfe_u32 v4, v3, 16, 1
	s_delay_alu instid0(VALU_DEP_1)
	v_add3_u32 v51, v3, v4, 0x7fff
                                        ; implicit-def: $vgpr3
; %bb.613:                              ;   in Loop: Header=BB391_321 Depth=1
	s_and_not1_saveexec_b32 s10, s0
; %bb.614:                              ;   in Loop: Header=BB391_321 Depth=1
	v_and_b32_e32 v4, 0xffff, v3
	v_or_b32_e32 v11, 0x10000, v3
	s_delay_alu instid0(VALU_DEP_2) | instskip(NEXT) | instid1(VALU_DEP_1)
	v_cmp_eq_u32_e64 s0, 0, v4
	v_cndmask_b32_e64 v51, v11, v3, s0
; %bb.615:                              ;   in Loop: Header=BB391_321 Depth=1
	s_or_b32 exec_lo, exec_lo, s10
	v_lshrrev_b16 v4, 8, v1
	v_mov_b32_e32 v3, 0
	s_mov_b32 s10, exec_lo
	s_delay_alu instid0(VALU_DEP_2)
	v_cmpx_ne_u16_e32 0, v4
	s_cbranch_execz .LBB391_623
; %bb.616:                              ;   in Loop: Header=BB391_321 Depth=1
	v_bfrev_b32_e32 v3, 1
	s_mov_b32 s11, exec_lo
	v_cmpx_ne_u16_e32 0x80, v4
	s_cbranch_execz .LBB391_622
; %bb.617:                              ;   in Loop: Header=BB391_321 Depth=1
	v_and_b32_e32 v11, 0xffff, v4
	v_mov_b32_e32 v3, 0x7f800001
	s_mov_b32 s13, exec_lo
	s_delay_alu instid0(VALU_DEP_2) | instskip(NEXT) | instid1(VALU_DEP_1)
	v_and_b32_e32 v4, 0x7f, v11
	v_cmpx_ne_u32_e32 0x7f, v4
	s_cbranch_execz .LBB391_621
; %bb.618:                              ;   in Loop: Header=BB391_321 Depth=1
	v_and_b32_e32 v11, 7, v11
	v_lshrrev_b32_e32 v3, 3, v4
	s_mov_b32 s14, exec_lo
	v_cmpx_gt_u32_e32 8, v4
; %bb.619:                              ;   in Loop: Header=BB391_321 Depth=1
	s_delay_alu instid0(VALU_DEP_3) | instskip(NEXT) | instid1(VALU_DEP_1)
	v_clz_i32_u32_e32 v3, v11
	v_min_u32_e32 v3, 32, v3
	s_delay_alu instid0(VALU_DEP_1) | instskip(SKIP_1) | instid1(VALU_DEP_2)
	v_subrev_nc_u32_e32 v4, 28, v3
	v_sub_nc_u32_e32 v3, 29, v3
	v_lshlrev_b64 v[52:53], v4, v[11:12]
	s_delay_alu instid0(VALU_DEP_1)
	v_and_b32_e32 v11, 7, v52
; %bb.620:                              ;   in Loop: Header=BB391_321 Depth=1
	s_or_b32 exec_lo, exec_lo, s14
	v_lshlrev_b32_e32 v4, 16, v1
	s_delay_alu instid0(VALU_DEP_2) | instskip(SKIP_1) | instid1(VALU_DEP_3)
	v_lshlrev_b32_e32 v11, 20, v11
	v_lshl_add_u32 v3, v3, 23, 0x3c000000
	v_and_b32_e32 v4, 0x80000000, v4
	s_delay_alu instid0(VALU_DEP_1)
	v_or3_b32 v3, v11, v4, v3
.LBB391_621:                            ;   in Loop: Header=BB391_321 Depth=1
	s_or_b32 exec_lo, exec_lo, s13
.LBB391_622:                            ;   in Loop: Header=BB391_321 Depth=1
	s_delay_alu instid0(SALU_CYCLE_1)
	s_or_b32 exec_lo, exec_lo, s11
.LBB391_623:                            ;   in Loop: Header=BB391_321 Depth=1
	s_delay_alu instid0(SALU_CYCLE_1) | instskip(NEXT) | instid1(VALU_DEP_1)
	s_or_b32 exec_lo, exec_lo, s10
	v_mul_f32_e32 v3, s8, v3
                                        ; implicit-def: $vgpr52
	s_delay_alu instid0(VALU_DEP_1) | instskip(NEXT) | instid1(VALU_DEP_1)
	v_and_b32_e32 v4, 0x7f800000, v3
	v_cmp_ne_u32_e64 s0, 0x7f800000, v4
	s_delay_alu instid0(VALU_DEP_1) | instskip(NEXT) | instid1(SALU_CYCLE_1)
	s_and_saveexec_b32 s10, s0
	s_xor_b32 s0, exec_lo, s10
; %bb.624:                              ;   in Loop: Header=BB391_321 Depth=1
	v_bfe_u32 v4, v3, 16, 1
	s_delay_alu instid0(VALU_DEP_1)
	v_add3_u32 v52, v3, v4, 0x7fff
                                        ; implicit-def: $vgpr3
; %bb.625:                              ;   in Loop: Header=BB391_321 Depth=1
	s_and_not1_saveexec_b32 s10, s0
; %bb.626:                              ;   in Loop: Header=BB391_321 Depth=1
	v_and_b32_e32 v4, 0xffff, v3
	v_or_b32_e32 v11, 0x10000, v3
	s_delay_alu instid0(VALU_DEP_2) | instskip(NEXT) | instid1(VALU_DEP_1)
	v_cmp_eq_u32_e64 s0, 0, v4
	v_cndmask_b32_e64 v52, v11, v3, s0
; %bb.627:                              ;   in Loop: Header=BB391_321 Depth=1
	s_or_b32 exec_lo, exec_lo, s10
	v_lshrrev_b32_e32 v3, 16, v1
	s_mov_b32 s10, exec_lo
	s_delay_alu instid0(VALU_DEP_1) | instskip(NEXT) | instid1(VALU_DEP_1)
	v_dual_mov_b32 v4, 0 :: v_dual_and_b32 v11, 0xff, v3
	v_cmpx_ne_u16_e32 0, v11
	s_cbranch_execz .LBB391_635
; %bb.628:                              ;   in Loop: Header=BB391_321 Depth=1
	v_bfrev_b32_e32 v4, 1
	s_mov_b32 s11, exec_lo
	v_cmpx_ne_u16_e32 0x80, v11
	s_cbranch_execz .LBB391_634
; %bb.629:                              ;   in Loop: Header=BB391_321 Depth=1
	v_bfe_u32 v53, v1, 16, 7
	v_mov_b32_e32 v4, 0x7f800001
	s_mov_b32 s13, exec_lo
	s_delay_alu instid0(VALU_DEP_2)
	v_cmpx_ne_u32_e32 0x7f, v53
	s_cbranch_execz .LBB391_633
; %bb.630:                              ;   in Loop: Header=BB391_321 Depth=1
	v_and_b32_e32 v11, 7, v3
	v_lshrrev_b32_e32 v4, 3, v53
	s_mov_b32 s14, exec_lo
	v_cmpx_gt_u32_e32 8, v53
; %bb.631:                              ;   in Loop: Header=BB391_321 Depth=1
	s_delay_alu instid0(VALU_DEP_3) | instskip(NEXT) | instid1(VALU_DEP_1)
	v_clz_i32_u32_e32 v4, v11
	v_min_u32_e32 v4, 32, v4
	s_delay_alu instid0(VALU_DEP_1) | instskip(SKIP_1) | instid1(VALU_DEP_2)
	v_subrev_nc_u32_e32 v53, 28, v4
	v_sub_nc_u32_e32 v4, 29, v4
	v_lshlrev_b64 v[53:54], v53, v[11:12]
	s_delay_alu instid0(VALU_DEP_1)
	v_and_b32_e32 v11, 7, v53
; %bb.632:                              ;   in Loop: Header=BB391_321 Depth=1
	s_or_b32 exec_lo, exec_lo, s14
	v_lshlrev_b32_e32 v3, 24, v3
	s_delay_alu instid0(VALU_DEP_2) | instskip(SKIP_1) | instid1(VALU_DEP_3)
	v_lshlrev_b32_e32 v11, 20, v11
	v_lshl_add_u32 v4, v4, 23, 0x3c000000
	v_and_b32_e32 v3, 0x80000000, v3
	s_delay_alu instid0(VALU_DEP_1)
	v_or3_b32 v4, v11, v3, v4
.LBB391_633:                            ;   in Loop: Header=BB391_321 Depth=1
	s_or_b32 exec_lo, exec_lo, s13
.LBB391_634:                            ;   in Loop: Header=BB391_321 Depth=1
	s_delay_alu instid0(SALU_CYCLE_1)
	s_or_b32 exec_lo, exec_lo, s11
.LBB391_635:                            ;   in Loop: Header=BB391_321 Depth=1
	s_delay_alu instid0(SALU_CYCLE_1) | instskip(NEXT) | instid1(VALU_DEP_1)
	s_or_b32 exec_lo, exec_lo, s10
	v_mul_f32_e32 v3, s8, v4
                                        ; implicit-def: $vgpr53
	s_delay_alu instid0(VALU_DEP_1) | instskip(NEXT) | instid1(VALU_DEP_1)
	v_and_b32_e32 v4, 0x7f800000, v3
	v_cmp_ne_u32_e64 s0, 0x7f800000, v4
	s_delay_alu instid0(VALU_DEP_1) | instskip(NEXT) | instid1(SALU_CYCLE_1)
	s_and_saveexec_b32 s10, s0
	s_xor_b32 s0, exec_lo, s10
; %bb.636:                              ;   in Loop: Header=BB391_321 Depth=1
	v_bfe_u32 v4, v3, 16, 1
	s_delay_alu instid0(VALU_DEP_1)
	v_add3_u32 v53, v3, v4, 0x7fff
                                        ; implicit-def: $vgpr3
; %bb.637:                              ;   in Loop: Header=BB391_321 Depth=1
	s_and_not1_saveexec_b32 s10, s0
; %bb.638:                              ;   in Loop: Header=BB391_321 Depth=1
	v_and_b32_e32 v4, 0xffff, v3
	v_or_b32_e32 v11, 0x10000, v3
	s_delay_alu instid0(VALU_DEP_2) | instskip(NEXT) | instid1(VALU_DEP_1)
	v_cmp_eq_u32_e64 s0, 0, v4
	v_cndmask_b32_e64 v53, v11, v3, s0
; %bb.639:                              ;   in Loop: Header=BB391_321 Depth=1
	s_or_b32 exec_lo, exec_lo, s10
	v_mov_b32_e32 v4, 0
	s_mov_b32 s10, exec_lo
	v_cmpx_lt_u32_e32 0xffffff, v1
	s_cbranch_execz .LBB391_647
; %bb.640:                              ;   in Loop: Header=BB391_321 Depth=1
	v_lshrrev_b32_e32 v3, 24, v1
	v_bfrev_b32_e32 v4, 1
	s_mov_b32 s11, exec_lo
	s_delay_alu instid0(VALU_DEP_2)
	v_cmpx_ne_u32_e32 0x80, v3
	s_cbranch_execz .LBB391_646
; %bb.641:                              ;   in Loop: Header=BB391_321 Depth=1
	v_bfe_u32 v54, v1, 24, 7
	v_mov_b32_e32 v4, 0x7f800001
	s_mov_b32 s13, exec_lo
	s_delay_alu instid0(VALU_DEP_2)
	v_cmpx_ne_u32_e32 0x7f, v54
	s_cbranch_execz .LBB391_645
; %bb.642:                              ;   in Loop: Header=BB391_321 Depth=1
	v_and_b32_e32 v11, 7, v3
	v_lshrrev_b32_e32 v4, 3, v54
	s_mov_b32 s14, exec_lo
	v_cmpx_gt_u32_e32 8, v54
; %bb.643:                              ;   in Loop: Header=BB391_321 Depth=1
	s_delay_alu instid0(VALU_DEP_3) | instskip(NEXT) | instid1(VALU_DEP_1)
	v_clz_i32_u32_e32 v4, v11
	v_min_u32_e32 v4, 32, v4
	s_delay_alu instid0(VALU_DEP_1) | instskip(SKIP_1) | instid1(VALU_DEP_2)
	v_subrev_nc_u32_e32 v54, 28, v4
	v_sub_nc_u32_e32 v4, 29, v4
	v_lshlrev_b64 v[54:55], v54, v[11:12]
	s_delay_alu instid0(VALU_DEP_1)
	v_and_b32_e32 v11, 7, v54
; %bb.644:                              ;   in Loop: Header=BB391_321 Depth=1
	s_or_b32 exec_lo, exec_lo, s14
	v_lshlrev_b32_e32 v3, 24, v3
	s_delay_alu instid0(VALU_DEP_2) | instskip(SKIP_1) | instid1(VALU_DEP_3)
	v_lshlrev_b32_e32 v11, 20, v11
	v_lshl_add_u32 v4, v4, 23, 0x3c000000
	v_and_b32_e32 v3, 0x80000000, v3
	s_delay_alu instid0(VALU_DEP_1)
	v_or3_b32 v4, v11, v3, v4
.LBB391_645:                            ;   in Loop: Header=BB391_321 Depth=1
	s_or_b32 exec_lo, exec_lo, s13
.LBB391_646:                            ;   in Loop: Header=BB391_321 Depth=1
	s_delay_alu instid0(SALU_CYCLE_1)
	s_or_b32 exec_lo, exec_lo, s11
.LBB391_647:                            ;   in Loop: Header=BB391_321 Depth=1
	s_delay_alu instid0(SALU_CYCLE_1) | instskip(NEXT) | instid1(VALU_DEP_1)
	s_or_b32 exec_lo, exec_lo, s10
	v_mul_f32_e32 v3, s8, v4
                                        ; implicit-def: $vgpr54
	s_delay_alu instid0(VALU_DEP_1) | instskip(NEXT) | instid1(VALU_DEP_1)
	v_and_b32_e32 v4, 0x7f800000, v3
	v_cmp_ne_u32_e64 s0, 0x7f800000, v4
	s_delay_alu instid0(VALU_DEP_1) | instskip(NEXT) | instid1(SALU_CYCLE_1)
	s_and_saveexec_b32 s10, s0
	s_xor_b32 s0, exec_lo, s10
; %bb.648:                              ;   in Loop: Header=BB391_321 Depth=1
	v_bfe_u32 v4, v3, 16, 1
	s_delay_alu instid0(VALU_DEP_1)
	v_add3_u32 v54, v3, v4, 0x7fff
                                        ; implicit-def: $vgpr3
; %bb.649:                              ;   in Loop: Header=BB391_321 Depth=1
	s_and_not1_saveexec_b32 s10, s0
; %bb.650:                              ;   in Loop: Header=BB391_321 Depth=1
	v_and_b32_e32 v4, 0xffff, v3
	v_or_b32_e32 v11, 0x10000, v3
	s_delay_alu instid0(VALU_DEP_2) | instskip(NEXT) | instid1(VALU_DEP_1)
	v_cmp_eq_u32_e64 s0, 0, v4
	v_cndmask_b32_e64 v54, v11, v3, s0
; %bb.651:                              ;   in Loop: Header=BB391_321 Depth=1
	s_or_b32 exec_lo, exec_lo, s10
	v_dual_mov_b32 v11, v2 :: v_dual_and_b32 v4, 0xff, v2
	v_mov_b32_e32 v3, 0
	s_mov_b32 s10, exec_lo
	s_delay_alu instid0(VALU_DEP_2)
	v_cmpx_ne_u16_e32 0, v4
	s_cbranch_execz .LBB391_657
; %bb.652:                              ;   in Loop: Header=BB391_321 Depth=1
	v_bfrev_b32_e32 v3, 1
	s_mov_b32 s11, exec_lo
	v_cmpx_ne_u16_e32 0x80, v4
	s_cbranch_execz .LBB391_656
; %bb.653:                              ;   in Loop: Header=BB391_321 Depth=1
	v_and_b32_e32 v4, 0x7f, v2
	v_mov_b32_e32 v3, 0x7f800001
	s_mov_b32 s13, exec_lo
	s_delay_alu instid0(VALU_DEP_2)
	v_cmpx_ne_u32_e32 0x7f, v4
	s_cbranch_execz .LBB391_655
; %bb.654:                              ;   in Loop: Header=BB391_321 Depth=1
	v_and_b32_e32 v3, 7, v2
	v_lshrrev_b32_e32 v55, 3, v4
	v_cmp_gt_u32_e64 s0, 8, v4
	s_delay_alu instid0(VALU_DEP_3) | instskip(NEXT) | instid1(VALU_DEP_1)
	v_clz_i32_u32_e32 v3, v3
	v_min_u32_e32 v3, 32, v3
	s_delay_alu instid0(VALU_DEP_1) | instskip(SKIP_1) | instid1(VALU_DEP_1)
	v_subrev_nc_u32_e32 v56, 28, v3
	v_sub_nc_u32_e32 v3, 29, v3
	v_cndmask_b32_e64 v55, v55, v3, s0
	s_delay_alu instid0(VALU_DEP_3) | instskip(NEXT) | instid1(VALU_DEP_2)
	v_cndmask_b32_e64 v3, 0, v56, s0
	v_lshl_add_u32 v55, v55, 23, 0x3c000000
	s_delay_alu instid0(VALU_DEP_2) | instskip(SKIP_1) | instid1(VALU_DEP_2)
	v_lshlrev_b64 v[3:4], v3, v[11:12]
	v_lshlrev_b32_e32 v4, 24, v11
	v_lshlrev_b32_e32 v3, 20, v3
	s_delay_alu instid0(VALU_DEP_2) | instskip(NEXT) | instid1(VALU_DEP_2)
	v_and_b32_e32 v4, 0x80000000, v4
	v_and_b32_e32 v3, 0x700000, v3
	s_delay_alu instid0(VALU_DEP_1)
	v_or3_b32 v3, v3, v4, v55
.LBB391_655:                            ;   in Loop: Header=BB391_321 Depth=1
	s_or_b32 exec_lo, exec_lo, s13
.LBB391_656:                            ;   in Loop: Header=BB391_321 Depth=1
	s_delay_alu instid0(SALU_CYCLE_1)
	s_or_b32 exec_lo, exec_lo, s11
.LBB391_657:                            ;   in Loop: Header=BB391_321 Depth=1
	s_delay_alu instid0(SALU_CYCLE_1) | instskip(NEXT) | instid1(VALU_DEP_1)
	s_or_b32 exec_lo, exec_lo, s10
	v_mul_f32_e32 v3, s8, v3
                                        ; implicit-def: $vgpr55
	s_delay_alu instid0(VALU_DEP_1) | instskip(NEXT) | instid1(VALU_DEP_1)
	v_and_b32_e32 v4, 0x7f800000, v3
	v_cmp_ne_u32_e64 s0, 0x7f800000, v4
	s_delay_alu instid0(VALU_DEP_1) | instskip(NEXT) | instid1(SALU_CYCLE_1)
	s_and_saveexec_b32 s10, s0
	s_xor_b32 s0, exec_lo, s10
; %bb.658:                              ;   in Loop: Header=BB391_321 Depth=1
	v_bfe_u32 v4, v3, 16, 1
	s_delay_alu instid0(VALU_DEP_1)
	v_add3_u32 v55, v3, v4, 0x7fff
                                        ; implicit-def: $vgpr3
; %bb.659:                              ;   in Loop: Header=BB391_321 Depth=1
	s_and_not1_saveexec_b32 s10, s0
; %bb.660:                              ;   in Loop: Header=BB391_321 Depth=1
	v_and_b32_e32 v4, 0xffff, v3
	v_or_b32_e32 v55, 0x10000, v3
	s_delay_alu instid0(VALU_DEP_2) | instskip(NEXT) | instid1(VALU_DEP_1)
	v_cmp_eq_u32_e64 s0, 0, v4
	v_cndmask_b32_e64 v55, v55, v3, s0
; %bb.661:                              ;   in Loop: Header=BB391_321 Depth=1
	s_or_b32 exec_lo, exec_lo, s10
	v_lshrrev_b16 v4, 8, v11
	v_mov_b32_e32 v3, 0
	s_mov_b32 s10, exec_lo
	s_delay_alu instid0(VALU_DEP_2)
	v_cmpx_ne_u16_e32 0, v4
	s_cbranch_execz .LBB391_669
; %bb.662:                              ;   in Loop: Header=BB391_321 Depth=1
	v_bfrev_b32_e32 v3, 1
	s_mov_b32 s11, exec_lo
	v_cmpx_ne_u16_e32 0x80, v4
	s_cbranch_execz .LBB391_668
; %bb.663:                              ;   in Loop: Header=BB391_321 Depth=1
	v_and_b32_e32 v4, 0xffff, v4
	v_mov_b32_e32 v3, 0x7f800001
	s_mov_b32 s13, exec_lo
	s_delay_alu instid0(VALU_DEP_2) | instskip(NEXT) | instid1(VALU_DEP_1)
	v_and_b32_e32 v57, 0x7f, v4
	v_cmpx_ne_u32_e32 0x7f, v57
	s_cbranch_execz .LBB391_667
; %bb.664:                              ;   in Loop: Header=BB391_321 Depth=1
	v_dual_mov_b32 v4, v12 :: v_dual_and_b32 v3, 7, v4
	v_lshrrev_b32_e32 v56, 3, v57
	s_mov_b32 s14, exec_lo
	v_cmpx_gt_u32_e32 8, v57
; %bb.665:                              ;   in Loop: Header=BB391_321 Depth=1
	s_delay_alu instid0(VALU_DEP_3) | instskip(NEXT) | instid1(VALU_DEP_1)
	v_clz_i32_u32_e32 v56, v3
	v_min_u32_e32 v56, 32, v56
	s_delay_alu instid0(VALU_DEP_1) | instskip(SKIP_1) | instid1(VALU_DEP_2)
	v_subrev_nc_u32_e32 v57, 28, v56
	v_sub_nc_u32_e32 v56, 29, v56
	v_lshlrev_b64 v[3:4], v57, v[3:4]
	s_delay_alu instid0(VALU_DEP_1)
	v_and_b32_e32 v3, 7, v3
; %bb.666:                              ;   in Loop: Header=BB391_321 Depth=1
	s_or_b32 exec_lo, exec_lo, s14
	v_lshlrev_b32_e32 v4, 16, v11
	s_delay_alu instid0(VALU_DEP_2) | instskip(SKIP_1) | instid1(VALU_DEP_3)
	v_lshlrev_b32_e32 v3, 20, v3
	v_lshl_add_u32 v11, v56, 23, 0x3c000000
	v_and_b32_e32 v4, 0x80000000, v4
	s_delay_alu instid0(VALU_DEP_1)
	v_or3_b32 v3, v3, v4, v11
.LBB391_667:                            ;   in Loop: Header=BB391_321 Depth=1
	s_or_b32 exec_lo, exec_lo, s13
.LBB391_668:                            ;   in Loop: Header=BB391_321 Depth=1
	s_delay_alu instid0(SALU_CYCLE_1)
	s_or_b32 exec_lo, exec_lo, s11
.LBB391_669:                            ;   in Loop: Header=BB391_321 Depth=1
	s_delay_alu instid0(SALU_CYCLE_1) | instskip(NEXT) | instid1(VALU_DEP_1)
	s_or_b32 exec_lo, exec_lo, s10
	v_mul_f32_e32 v4, s8, v3
	s_delay_alu instid0(VALU_DEP_1) | instskip(NEXT) | instid1(VALU_DEP_1)
	v_and_b32_e32 v3, 0x7f800000, v4
	v_cmp_ne_u32_e64 s0, 0x7f800000, v3
                                        ; implicit-def: $vgpr3
	s_delay_alu instid0(VALU_DEP_1) | instskip(NEXT) | instid1(SALU_CYCLE_1)
	s_and_saveexec_b32 s10, s0
	s_xor_b32 s0, exec_lo, s10
; %bb.670:                              ;   in Loop: Header=BB391_321 Depth=1
	v_bfe_u32 v3, v4, 16, 1
	s_delay_alu instid0(VALU_DEP_1)
	v_add3_u32 v3, v4, v3, 0x7fff
                                        ; implicit-def: $vgpr4
; %bb.671:                              ;   in Loop: Header=BB391_321 Depth=1
	s_and_not1_saveexec_b32 s10, s0
; %bb.672:                              ;   in Loop: Header=BB391_321 Depth=1
	v_and_b32_e32 v3, 0xffff, v4
	v_or_b32_e32 v11, 0x10000, v4
	s_delay_alu instid0(VALU_DEP_2) | instskip(NEXT) | instid1(VALU_DEP_1)
	v_cmp_eq_u32_e64 s0, 0, v3
	v_cndmask_b32_e64 v3, v11, v4, s0
; %bb.673:                              ;   in Loop: Header=BB391_321 Depth=1
	s_or_b32 exec_lo, exec_lo, s10
	v_lshrrev_b32_e32 v4, 16, v2
	s_mov_b32 s10, exec_lo
	s_delay_alu instid0(VALU_DEP_1) | instskip(NEXT) | instid1(VALU_DEP_1)
	v_dual_mov_b32 v11, 0 :: v_dual_and_b32 v56, 0xff, v4
	v_cmpx_ne_u16_e32 0, v56
	s_cbranch_execz .LBB391_681
; %bb.674:                              ;   in Loop: Header=BB391_321 Depth=1
	v_bfrev_b32_e32 v11, 1
	s_mov_b32 s11, exec_lo
	v_cmpx_ne_u16_e32 0x80, v56
	s_cbranch_execz .LBB391_680
; %bb.675:                              ;   in Loop: Header=BB391_321 Depth=1
	v_bfe_u32 v57, v2, 16, 7
	v_mov_b32_e32 v11, 0x7f800001
	s_mov_b32 s13, exec_lo
	s_delay_alu instid0(VALU_DEP_2)
	v_cmpx_ne_u32_e32 0x7f, v57
	s_cbranch_execz .LBB391_679
; %bb.676:                              ;   in Loop: Header=BB391_321 Depth=1
	v_and_b32_e32 v11, 7, v4
	v_lshrrev_b32_e32 v56, 3, v57
	s_mov_b32 s14, exec_lo
	v_cmpx_gt_u32_e32 8, v57
; %bb.677:                              ;   in Loop: Header=BB391_321 Depth=1
	s_delay_alu instid0(VALU_DEP_3) | instskip(NEXT) | instid1(VALU_DEP_1)
	v_clz_i32_u32_e32 v56, v11
	v_min_u32_e32 v56, 32, v56
	s_delay_alu instid0(VALU_DEP_1) | instskip(SKIP_1) | instid1(VALU_DEP_2)
	v_subrev_nc_u32_e32 v57, 28, v56
	v_sub_nc_u32_e32 v56, 29, v56
	v_lshlrev_b64 v[57:58], v57, v[11:12]
	s_delay_alu instid0(VALU_DEP_1)
	v_and_b32_e32 v11, 7, v57
; %bb.678:                              ;   in Loop: Header=BB391_321 Depth=1
	s_or_b32 exec_lo, exec_lo, s14
	v_lshlrev_b32_e32 v4, 24, v4
	s_delay_alu instid0(VALU_DEP_2) | instskip(SKIP_1) | instid1(VALU_DEP_3)
	v_lshlrev_b32_e32 v11, 20, v11
	v_lshl_add_u32 v56, v56, 23, 0x3c000000
	v_and_b32_e32 v4, 0x80000000, v4
	s_delay_alu instid0(VALU_DEP_1)
	v_or3_b32 v11, v11, v4, v56
.LBB391_679:                            ;   in Loop: Header=BB391_321 Depth=1
	s_or_b32 exec_lo, exec_lo, s13
.LBB391_680:                            ;   in Loop: Header=BB391_321 Depth=1
	s_delay_alu instid0(SALU_CYCLE_1)
	s_or_b32 exec_lo, exec_lo, s11
.LBB391_681:                            ;   in Loop: Header=BB391_321 Depth=1
	s_delay_alu instid0(SALU_CYCLE_1) | instskip(NEXT) | instid1(VALU_DEP_1)
	s_or_b32 exec_lo, exec_lo, s10
	v_mul_f32_e32 v11, s8, v11
	s_delay_alu instid0(VALU_DEP_1) | instskip(NEXT) | instid1(VALU_DEP_1)
	v_and_b32_e32 v4, 0x7f800000, v11
	v_cmp_ne_u32_e64 s0, 0x7f800000, v4
                                        ; implicit-def: $vgpr4
	s_delay_alu instid0(VALU_DEP_1) | instskip(NEXT) | instid1(SALU_CYCLE_1)
	s_and_saveexec_b32 s10, s0
	s_xor_b32 s0, exec_lo, s10
; %bb.682:                              ;   in Loop: Header=BB391_321 Depth=1
	v_bfe_u32 v4, v11, 16, 1
	s_delay_alu instid0(VALU_DEP_1)
	v_add3_u32 v4, v11, v4, 0x7fff
                                        ; implicit-def: $vgpr11
; %bb.683:                              ;   in Loop: Header=BB391_321 Depth=1
	s_and_not1_saveexec_b32 s10, s0
; %bb.684:                              ;   in Loop: Header=BB391_321 Depth=1
	v_and_b32_e32 v4, 0xffff, v11
	v_or_b32_e32 v56, 0x10000, v11
	s_delay_alu instid0(VALU_DEP_2) | instskip(NEXT) | instid1(VALU_DEP_1)
	v_cmp_eq_u32_e64 s0, 0, v4
	v_cndmask_b32_e64 v4, v56, v11, s0
; %bb.685:                              ;   in Loop: Header=BB391_321 Depth=1
	s_or_b32 exec_lo, exec_lo, s10
	v_mov_b32_e32 v11, 0
	s_mov_b32 s10, exec_lo
	v_cmpx_lt_u64_e64 s[2:3], v[1:2]
	s_cbranch_execz .LBB391_693
; %bb.686:                              ;   in Loop: Header=BB391_321 Depth=1
	v_lshrrev_b32_e32 v1, 24, v2
	v_bfrev_b32_e32 v11, 1
	s_mov_b32 s11, exec_lo
	s_delay_alu instid0(VALU_DEP_2)
	v_cmpx_ne_u32_e32 0x80, v1
	s_cbranch_execz .LBB391_692
; %bb.687:                              ;   in Loop: Header=BB391_321 Depth=1
	v_bfe_u32 v56, v2, 24, 7
	v_mov_b32_e32 v11, 0x7f800001
	s_mov_b32 s13, exec_lo
	s_delay_alu instid0(VALU_DEP_2)
	v_cmpx_ne_u32_e32 0x7f, v56
	s_cbranch_execz .LBB391_691
; %bb.688:                              ;   in Loop: Header=BB391_321 Depth=1
	v_and_b32_e32 v11, 7, v1
	v_lshrrev_b32_e32 v2, 3, v56
	s_mov_b32 s14, exec_lo
	v_cmpx_gt_u32_e32 8, v56
; %bb.689:                              ;   in Loop: Header=BB391_321 Depth=1
	s_delay_alu instid0(VALU_DEP_3) | instskip(NEXT) | instid1(VALU_DEP_1)
	v_clz_i32_u32_e32 v2, v11
	v_min_u32_e32 v2, 32, v2
	s_delay_alu instid0(VALU_DEP_1) | instskip(SKIP_1) | instid1(VALU_DEP_2)
	v_subrev_nc_u32_e32 v56, 28, v2
	v_sub_nc_u32_e32 v2, 29, v2
	v_lshlrev_b64 v[56:57], v56, v[11:12]
	s_delay_alu instid0(VALU_DEP_1)
	v_and_b32_e32 v11, 7, v56
; %bb.690:                              ;   in Loop: Header=BB391_321 Depth=1
	s_or_b32 exec_lo, exec_lo, s14
	v_lshlrev_b32_e32 v1, 24, v1
	s_delay_alu instid0(VALU_DEP_2) | instskip(SKIP_1) | instid1(VALU_DEP_3)
	v_lshlrev_b32_e32 v11, 20, v11
	v_lshl_add_u32 v2, v2, 23, 0x3c000000
	v_and_b32_e32 v1, 0x80000000, v1
	s_delay_alu instid0(VALU_DEP_1)
	v_or3_b32 v11, v11, v1, v2
.LBB391_691:                            ;   in Loop: Header=BB391_321 Depth=1
	s_or_b32 exec_lo, exec_lo, s13
.LBB391_692:                            ;   in Loop: Header=BB391_321 Depth=1
	s_delay_alu instid0(SALU_CYCLE_1)
	s_or_b32 exec_lo, exec_lo, s11
.LBB391_693:                            ;   in Loop: Header=BB391_321 Depth=1
	s_delay_alu instid0(SALU_CYCLE_1) | instskip(NEXT) | instid1(VALU_DEP_1)
	s_or_b32 exec_lo, exec_lo, s10
	v_mul_f32_e32 v1, s8, v11
	s_delay_alu instid0(VALU_DEP_1) | instskip(NEXT) | instid1(VALU_DEP_1)
	v_and_b32_e32 v2, 0x7f800000, v1
	v_cmp_ne_u32_e64 s0, 0x7f800000, v2
                                        ; implicit-def: $vgpr2
	s_delay_alu instid0(VALU_DEP_1) | instskip(NEXT) | instid1(SALU_CYCLE_1)
	s_and_saveexec_b32 s10, s0
	s_xor_b32 s0, exec_lo, s10
; %bb.694:                              ;   in Loop: Header=BB391_321 Depth=1
	v_bfe_u32 v2, v1, 16, 1
	s_delay_alu instid0(VALU_DEP_1)
	v_add3_u32 v2, v1, v2, 0x7fff
                                        ; implicit-def: $vgpr1
; %bb.695:                              ;   in Loop: Header=BB391_321 Depth=1
	s_and_not1_saveexec_b32 s10, s0
; %bb.696:                              ;   in Loop: Header=BB391_321 Depth=1
	v_and_b32_e32 v2, 0xffff, v1
	v_or_b32_e32 v11, 0x10000, v1
	s_delay_alu instid0(VALU_DEP_2) | instskip(NEXT) | instid1(VALU_DEP_1)
	v_cmp_eq_u32_e64 s0, 0, v2
	v_cndmask_b32_e64 v2, v11, v1, s0
; %bb.697:                              ;   in Loop: Header=BB391_321 Depth=1
	s_or_b32 exec_lo, exec_lo, s10
	v_lshrrev_b32_e32 v56, 16, v3
	v_lshrrev_b32_e32 v55, 16, v55
	;; [unrolled: 1-line block ×8, first 2 shown]
	s_and_saveexec_b32 s0, vcc_lo
	s_cbranch_execz .LBB391_699
; %bb.698:                              ;   in Loop: Header=BB391_321 Depth=1
	v_cmp_gt_i32_e32 vcc_lo, s15, v30
	v_cndmask_b32_e32 v1, 0, v1, vcc_lo
	v_cmp_gt_i32_e32 vcc_lo, s15, v36
	v_cndmask_b32_e32 v3, 0, v3, vcc_lo
	;; [unrolled: 2-line block ×8, first 2 shown]
.LBB391_699:                            ;   in Loop: Header=BB391_321 Depth=1
	s_or_b32 exec_lo, exec_lo, s0
	v_lshlrev_b32_e32 v1, 16, v1
	s_delay_alu instid0(VALU_DEP_1) | instskip(NEXT) | instid1(VALU_DEP_1)
	v_mul_f32_e32 v30, v37, v1
	v_and_b32_e32 v1, 0x7f800000, v30
	s_delay_alu instid0(VALU_DEP_1) | instskip(SKIP_1) | instid1(SALU_CYCLE_1)
	v_cmp_ne_u32_e32 vcc_lo, 0x7f800000, v1
                                        ; implicit-def: $vgpr1
	s_and_saveexec_b32 s0, vcc_lo
	s_xor_b32 s0, exec_lo, s0
; %bb.700:                              ;   in Loop: Header=BB391_321 Depth=1
	v_bfe_u32 v1, v30, 16, 1
	s_delay_alu instid0(VALU_DEP_1)
	v_add3_u32 v1, v30, v1, 0x7fff
                                        ; implicit-def: $vgpr30
; %bb.701:                              ;   in Loop: Header=BB391_321 Depth=1
	s_and_not1_saveexec_b32 s0, s0
; %bb.702:                              ;   in Loop: Header=BB391_321 Depth=1
	v_and_b32_e32 v1, 0xffff, v30
	v_or_b32_e32 v31, 0x10000, v30
	s_delay_alu instid0(VALU_DEP_2) | instskip(NEXT) | instid1(VALU_DEP_2)
	v_cmp_eq_u32_e32 vcc_lo, 0, v1
	v_cndmask_b32_e32 v1, v31, v30, vcc_lo
; %bb.703:                              ;   in Loop: Header=BB391_321 Depth=1
	s_or_b32 exec_lo, exec_lo, s0
	v_lshlrev_b32_e32 v3, 16, v3
	s_delay_alu instid0(VALU_DEP_1) | instskip(NEXT) | instid1(VALU_DEP_1)
	v_mul_f32_e32 v30, v38, v3
	v_and_b32_e32 v3, 0x7f800000, v30
	s_delay_alu instid0(VALU_DEP_1) | instskip(SKIP_1) | instid1(SALU_CYCLE_1)
	v_cmp_ne_u32_e32 vcc_lo, 0x7f800000, v3
                                        ; implicit-def: $vgpr3
	s_and_saveexec_b32 s0, vcc_lo
	s_xor_b32 s0, exec_lo, s0
; %bb.704:                              ;   in Loop: Header=BB391_321 Depth=1
	v_bfe_u32 v3, v30, 16, 1
	s_delay_alu instid0(VALU_DEP_1)
	v_add3_u32 v3, v30, v3, 0x7fff
                                        ; implicit-def: $vgpr30
; %bb.705:                              ;   in Loop: Header=BB391_321 Depth=1
	s_and_not1_saveexec_b32 s0, s0
; %bb.706:                              ;   in Loop: Header=BB391_321 Depth=1
	v_and_b32_e32 v3, 0xffff, v30
	v_or_b32_e32 v31, 0x10000, v30
	s_delay_alu instid0(VALU_DEP_2) | instskip(NEXT) | instid1(VALU_DEP_2)
	v_cmp_eq_u32_e32 vcc_lo, 0, v3
	v_cndmask_b32_e32 v3, v31, v30, vcc_lo
; %bb.707:                              ;   in Loop: Header=BB391_321 Depth=1
	s_or_b32 exec_lo, exec_lo, s0
	v_lshlrev_b32_e32 v11, 16, v11
	s_delay_alu instid0(VALU_DEP_1) | instskip(NEXT) | instid1(VALU_DEP_1)
	v_mul_f32_e32 v30, v39, v11
	v_and_b32_e32 v11, 0x7f800000, v30
	s_delay_alu instid0(VALU_DEP_1) | instskip(SKIP_1) | instid1(SALU_CYCLE_1)
	v_cmp_ne_u32_e32 vcc_lo, 0x7f800000, v11
                                        ; implicit-def: $vgpr11
	s_and_saveexec_b32 s0, vcc_lo
	s_xor_b32 s0, exec_lo, s0
; %bb.708:                              ;   in Loop: Header=BB391_321 Depth=1
	v_bfe_u32 v11, v30, 16, 1
	s_delay_alu instid0(VALU_DEP_1)
	v_add3_u32 v11, v30, v11, 0x7fff
                                        ; implicit-def: $vgpr30
; %bb.709:                              ;   in Loop: Header=BB391_321 Depth=1
	s_and_not1_saveexec_b32 s0, s0
; %bb.710:                              ;   in Loop: Header=BB391_321 Depth=1
	v_and_b32_e32 v11, 0xffff, v30
	v_or_b32_e32 v31, 0x10000, v30
	s_delay_alu instid0(VALU_DEP_2) | instskip(NEXT) | instid1(VALU_DEP_2)
	v_cmp_eq_u32_e32 vcc_lo, 0, v11
	v_cndmask_b32_e32 v11, v31, v30, vcc_lo
; %bb.711:                              ;   in Loop: Header=BB391_321 Depth=1
	s_or_b32 exec_lo, exec_lo, s0
	v_lshlrev_b32_e32 v30, 16, v54
	s_delay_alu instid0(VALU_DEP_1) | instskip(NEXT) | instid1(VALU_DEP_1)
	v_mul_f32_e32 v31, v40, v30
	v_and_b32_e32 v30, 0x7f800000, v31
	s_delay_alu instid0(VALU_DEP_1) | instskip(SKIP_1) | instid1(SALU_CYCLE_1)
	v_cmp_ne_u32_e32 vcc_lo, 0x7f800000, v30
                                        ; implicit-def: $vgpr30
	s_and_saveexec_b32 s0, vcc_lo
	s_xor_b32 s0, exec_lo, s0
; %bb.712:                              ;   in Loop: Header=BB391_321 Depth=1
	v_bfe_u32 v30, v31, 16, 1
	s_delay_alu instid0(VALU_DEP_1)
	v_add3_u32 v30, v31, v30, 0x7fff
                                        ; implicit-def: $vgpr31
; %bb.713:                              ;   in Loop: Header=BB391_321 Depth=1
	s_and_not1_saveexec_b32 s0, s0
; %bb.714:                              ;   in Loop: Header=BB391_321 Depth=1
	v_and_b32_e32 v30, 0xffff, v31
	v_or_b32_e32 v32, 0x10000, v31
	s_delay_alu instid0(VALU_DEP_2) | instskip(NEXT) | instid1(VALU_DEP_2)
	v_cmp_eq_u32_e32 vcc_lo, 0, v30
	v_cndmask_b32_e32 v30, v32, v31, vcc_lo
; %bb.715:                              ;   in Loop: Header=BB391_321 Depth=1
	s_or_b32 exec_lo, exec_lo, s0
	v_lshlrev_b32_e32 v31, 16, v55
	s_delay_alu instid0(VALU_DEP_1) | instskip(NEXT) | instid1(VALU_DEP_1)
	v_mul_f32_e32 v32, v41, v31
	v_and_b32_e32 v31, 0x7f800000, v32
	s_delay_alu instid0(VALU_DEP_1) | instskip(SKIP_1) | instid1(SALU_CYCLE_1)
	v_cmp_ne_u32_e32 vcc_lo, 0x7f800000, v31
                                        ; implicit-def: $vgpr31
	s_and_saveexec_b32 s0, vcc_lo
	s_xor_b32 s0, exec_lo, s0
; %bb.716:                              ;   in Loop: Header=BB391_321 Depth=1
	v_bfe_u32 v31, v32, 16, 1
	s_delay_alu instid0(VALU_DEP_1)
	v_add3_u32 v31, v32, v31, 0x7fff
                                        ; implicit-def: $vgpr32
; %bb.717:                              ;   in Loop: Header=BB391_321 Depth=1
	s_and_not1_saveexec_b32 s0, s0
; %bb.718:                              ;   in Loop: Header=BB391_321 Depth=1
	v_and_b32_e32 v31, 0xffff, v32
	v_or_b32_e32 v33, 0x10000, v32
	s_delay_alu instid0(VALU_DEP_2) | instskip(NEXT) | instid1(VALU_DEP_2)
	v_cmp_eq_u32_e32 vcc_lo, 0, v31
	v_cndmask_b32_e32 v31, v33, v32, vcc_lo
; %bb.719:                              ;   in Loop: Header=BB391_321 Depth=1
	s_or_b32 exec_lo, exec_lo, s0
	v_lshlrev_b32_e32 v32, 16, v56
	s_delay_alu instid0(VALU_DEP_1) | instskip(NEXT) | instid1(VALU_DEP_1)
	v_mul_f32_e32 v33, v42, v32
	v_and_b32_e32 v32, 0x7f800000, v33
	s_delay_alu instid0(VALU_DEP_1) | instskip(SKIP_1) | instid1(SALU_CYCLE_1)
	v_cmp_ne_u32_e32 vcc_lo, 0x7f800000, v32
                                        ; implicit-def: $vgpr32
	s_and_saveexec_b32 s0, vcc_lo
	s_xor_b32 s0, exec_lo, s0
; %bb.720:                              ;   in Loop: Header=BB391_321 Depth=1
	v_bfe_u32 v32, v33, 16, 1
	s_delay_alu instid0(VALU_DEP_1)
	v_add3_u32 v32, v33, v32, 0x7fff
                                        ; implicit-def: $vgpr33
; %bb.721:                              ;   in Loop: Header=BB391_321 Depth=1
	s_and_not1_saveexec_b32 s0, s0
; %bb.722:                              ;   in Loop: Header=BB391_321 Depth=1
	v_and_b32_e32 v32, 0xffff, v33
	v_or_b32_e32 v34, 0x10000, v33
	s_delay_alu instid0(VALU_DEP_2) | instskip(NEXT) | instid1(VALU_DEP_2)
	v_cmp_eq_u32_e32 vcc_lo, 0, v32
	v_cndmask_b32_e32 v32, v34, v33, vcc_lo
; %bb.723:                              ;   in Loop: Header=BB391_321 Depth=1
	s_or_b32 exec_lo, exec_lo, s0
	v_lshlrev_b32_e32 v4, 16, v4
	s_delay_alu instid0(VALU_DEP_1) | instskip(NEXT) | instid1(VALU_DEP_1)
	v_mul_f32_e32 v33, v43, v4
	v_and_b32_e32 v4, 0x7f800000, v33
	s_delay_alu instid0(VALU_DEP_1) | instskip(SKIP_1) | instid1(SALU_CYCLE_1)
	v_cmp_ne_u32_e32 vcc_lo, 0x7f800000, v4
                                        ; implicit-def: $vgpr4
	s_and_saveexec_b32 s0, vcc_lo
	s_xor_b32 s0, exec_lo, s0
; %bb.724:                              ;   in Loop: Header=BB391_321 Depth=1
	v_bfe_u32 v4, v33, 16, 1
	s_delay_alu instid0(VALU_DEP_1)
	v_add3_u32 v4, v33, v4, 0x7fff
                                        ; implicit-def: $vgpr33
; %bb.725:                              ;   in Loop: Header=BB391_321 Depth=1
	s_and_not1_saveexec_b32 s0, s0
; %bb.726:                              ;   in Loop: Header=BB391_321 Depth=1
	v_and_b32_e32 v4, 0xffff, v33
	v_or_b32_e32 v34, 0x10000, v33
	s_delay_alu instid0(VALU_DEP_2) | instskip(NEXT) | instid1(VALU_DEP_2)
	v_cmp_eq_u32_e32 vcc_lo, 0, v4
	v_cndmask_b32_e32 v4, v34, v33, vcc_lo
; %bb.727:                              ;   in Loop: Header=BB391_321 Depth=1
	s_or_b32 exec_lo, exec_lo, s0
	v_lshlrev_b32_e32 v2, 16, v2
	s_delay_alu instid0(VALU_DEP_1) | instskip(NEXT) | instid1(VALU_DEP_1)
	v_mul_f32_e32 v33, v44, v2
	v_and_b32_e32 v2, 0x7f800000, v33
	s_delay_alu instid0(VALU_DEP_1) | instskip(SKIP_1) | instid1(SALU_CYCLE_1)
	v_cmp_ne_u32_e32 vcc_lo, 0x7f800000, v2
                                        ; implicit-def: $vgpr2
	s_and_saveexec_b32 s0, vcc_lo
	s_xor_b32 s0, exec_lo, s0
; %bb.728:                              ;   in Loop: Header=BB391_321 Depth=1
	v_bfe_u32 v2, v33, 16, 1
	s_delay_alu instid0(VALU_DEP_1)
	v_add3_u32 v2, v33, v2, 0x7fff
                                        ; implicit-def: $vgpr33
; %bb.729:                              ;   in Loop: Header=BB391_321 Depth=1
	s_and_not1_saveexec_b32 s0, s0
	s_cbranch_execz .LBB391_320
; %bb.730:                              ;   in Loop: Header=BB391_321 Depth=1
	v_and_b32_e32 v2, 0xffff, v33
	v_or_b32_e32 v34, 0x10000, v33
	s_delay_alu instid0(VALU_DEP_2) | instskip(NEXT) | instid1(VALU_DEP_2)
	v_cmp_eq_u32_e32 vcc_lo, 0, v2
	v_cndmask_b32_e32 v2, v34, v33, vcc_lo
	s_branch .LBB391_320
.LBB391_731:
	s_or_b32 exec_lo, exec_lo, s7
.LBB391_732:
	s_delay_alu instid0(SALU_CYCLE_1)
	s_or_b32 exec_lo, exec_lo, s1
	s_movk_i32 s0, 0x180
	v_and_b32_e32 v2, 0x3c0, v0
	v_mad_u32_u24 v1, v17, s0, 0xe0
	s_mov_b32 s0, exec_lo
	s_waitcnt_vscnt null, 0x0
	s_barrier
	buffer_gl0_inv
	v_cmpx_eq_u32_e32 64, v2
	s_cbranch_execz .LBB391_734
; %bb.733:
	v_add3_u32 v2, v1, v19, 0xfffffd00
	ds_store_2addr_b32 v2, v21, v20 offset1:32
	ds_store_b32 v2, v9 offset:256
.LBB391_734:
	s_or_b32 exec_lo, exec_lo, s0
	v_lshl_add_u32 v2, v18, 2, v1
	s_mov_b32 s0, exec_lo
	s_waitcnt lgkmcnt(0)
	s_barrier
	buffer_gl0_inv
	v_cmpx_gt_u32_e32 64, v0
	s_cbranch_execz .LBB391_736
; %bb.735:
	v_lshl_or_b32 v3, v0, 2, 0x80
	s_delay_alu instid0(VALU_DEP_1)
	v_add_nc_u32_e32 v5, v1, v3
	ds_load_2addr_stride64_b32 v[3:4], v2 offset1:1
	ds_load_b32 v5, v5
	s_waitcnt lgkmcnt(0)
	v_dual_add_f32 v21, v21, v3 :: v_dual_add_f32 v20, v20, v5
	v_add_f32_e32 v9, v9, v4
.LBB391_736:
	s_or_b32 exec_lo, exec_lo, s0
	v_and_b32_e32 v3, 0x3e0, v0
	s_mov_b32 s0, exec_lo
	s_barrier
	buffer_gl0_inv
	v_cmpx_eq_u32_e32 32, v3
	s_cbranch_execz .LBB391_738
; %bb.737:
	v_add_nc_u32_e32 v3, 0xfffffe80, v1
	s_delay_alu instid0(VALU_DEP_1)
	v_lshl_add_u32 v4, v18, 2, v3
	v_lshl_add_u32 v3, v0, 2, v3
	ds_store_b32 v4, v21
	ds_store_b32 v3, v20
	ds_store_b32 v4, v9 offset:256
.LBB391_738:
	s_or_b32 exec_lo, exec_lo, s0
	v_cmp_gt_u32_e32 vcc_lo, 32, v0
	s_waitcnt lgkmcnt(0)
	s_barrier
	buffer_gl0_inv
	s_and_saveexec_b32 s0, vcc_lo
	s_cbranch_execz .LBB391_740
; %bb.739:
	v_lshl_add_u32 v1, v0, 2, v1
	ds_load_b32 v3, v2
	ds_load_2addr_b32 v[1:2], v1 offset0:32 offset1:64
	s_waitcnt lgkmcnt(0)
	v_dual_add_f32 v21, v21, v3 :: v_dual_add_f32 v20, v20, v1
	v_add_f32_e32 v9, v9, v2
.LBB391_740:
	s_or_b32 exec_lo, exec_lo, s0
	s_barrier
	buffer_gl0_inv
	s_and_saveexec_b32 s0, vcc_lo
	s_cbranch_execz .LBB391_754
; %bb.741:
	v_and_b32_e32 v1, 0x7f800000, v21
	s_mov_b32 s0, exec_lo
                                        ; implicit-def: $vgpr2
	s_delay_alu instid0(VALU_DEP_1)
	v_cmpx_ne_u32_e32 0x7f800000, v1
	s_xor_b32 s0, exec_lo, s0
; %bb.742:
	v_bfe_u32 v1, v21, 16, 1
	s_delay_alu instid0(VALU_DEP_1)
	v_add3_u32 v2, v21, v1, 0x7fff
; %bb.743:
	s_and_not1_saveexec_b32 s0, s0
; %bb.744:
	v_and_b32_e32 v1, 0xffff, v21
	v_or_b32_e32 v2, 0x10000, v21
	s_delay_alu instid0(VALU_DEP_2) | instskip(NEXT) | instid1(VALU_DEP_2)
	v_cmp_eq_u32_e32 vcc_lo, 0, v1
	v_cndmask_b32_e32 v2, v2, v21, vcc_lo
; %bb.745:
	s_or_b32 exec_lo, exec_lo, s0
	s_mul_i32 s0, s6, 0x60
	s_mul_i32 s2, s4, s20
	s_ashr_i32 s1, s0, 31
	v_lshlrev_b32_e32 v3, 1, v0
	s_lshl_b64 s[0:1], s[0:1], 1
	v_and_b32_e32 v4, 0x7f800000, v20
	s_add_u32 s4, s22, s0
	s_addc_u32 s5, s23, s1
	s_ashr_i32 s3, s2, 31
	s_delay_alu instid0(SALU_CYCLE_1) | instskip(SKIP_4) | instid1(SALU_CYCLE_1)
	s_lshl_b64 s[0:1], s[2:3], 1
	s_mul_i32 s2, s12, 0x60
	s_add_u32 s4, s4, s0
	s_addc_u32 s5, s5, s1
	s_ashr_i32 s3, s2, 31
	s_lshl_b64 s[0:1], s[2:3], 1
	s_delay_alu instid0(SALU_CYCLE_1) | instskip(SKIP_2) | instid1(VALU_DEP_1)
	s_add_u32 s0, s4, s0
	s_addc_u32 s1, s5, s1
	v_add_co_u32 v0, s2, s0, v3
	v_add_co_ci_u32_e64 v1, null, s1, 0, s2
	global_store_d16_hi_b16 v3, v2, s[0:1]
	s_mov_b32 s0, exec_lo
                                        ; implicit-def: $vgpr2
	v_cmpx_ne_u32_e32 0x7f800000, v4
	s_xor_b32 s0, exec_lo, s0
; %bb.746:
	v_bfe_u32 v2, v20, 16, 1
	s_delay_alu instid0(VALU_DEP_1)
	v_add3_u32 v2, v20, v2, 0x7fff
; %bb.747:
	s_and_not1_saveexec_b32 s0, s0
; %bb.748:
	v_and_b32_e32 v2, 0xffff, v20
	v_or_b32_e32 v3, 0x10000, v20
	s_delay_alu instid0(VALU_DEP_2) | instskip(NEXT) | instid1(VALU_DEP_2)
	v_cmp_eq_u32_e32 vcc_lo, 0, v2
	v_cndmask_b32_e32 v2, v3, v20, vcc_lo
; %bb.749:
	s_or_b32 exec_lo, exec_lo, s0
	v_and_b32_e32 v3, 0x7f800000, v9
	s_mov_b32 s0, exec_lo
	global_store_d16_hi_b16 v[0:1], v2, off offset:64
                                        ; implicit-def: $vgpr2
	v_cmpx_ne_u32_e32 0x7f800000, v3
	s_xor_b32 s0, exec_lo, s0
; %bb.750:
	v_bfe_u32 v2, v9, 16, 1
	s_delay_alu instid0(VALU_DEP_1)
	v_add3_u32 v2, v9, v2, 0x7fff
                                        ; implicit-def: $vgpr7_vgpr8_vgpr9
; %bb.751:
	s_and_not1_saveexec_b32 s0, s0
; %bb.752:
	v_and_b32_e32 v2, 0xffff, v9
	v_or_b32_e32 v3, 0x10000, v9
	s_delay_alu instid0(VALU_DEP_2) | instskip(NEXT) | instid1(VALU_DEP_2)
	v_cmp_eq_u32_e32 vcc_lo, 0, v2
	v_cndmask_b32_e32 v2, v3, v9, vcc_lo
; %bb.753:
	s_or_b32 exec_lo, exec_lo, s0
	global_store_d16_hi_b16 v[0:1], v2, off offset:128
.LBB391_754:
	s_nop 0
	s_sendmsg sendmsg(MSG_DEALLOC_VGPRS)
	s_endpgm
	.section	.rodata,"a",@progbits
	.p2align	6, 0x0
	.amdhsa_kernel _ZN4vllm25paged_attention_v2_kernelI14__hip_bfloat16hLi96ELi8ELi128ELNS_18Fp8KVCacheDataTypeE1ELb0ELi512EEEvPfS3_PT_PKS4_PKT0_SA_ifPKiSC_iPKfiiiSE_SE_iiiii
		.amdhsa_group_segment_fixed_size 224
		.amdhsa_private_segment_fixed_size 0
		.amdhsa_kernarg_size 400
		.amdhsa_user_sgpr_count 13
		.amdhsa_user_sgpr_dispatch_ptr 0
		.amdhsa_user_sgpr_queue_ptr 0
		.amdhsa_user_sgpr_kernarg_segment_ptr 1
		.amdhsa_user_sgpr_dispatch_id 0
		.amdhsa_user_sgpr_private_segment_size 0
		.amdhsa_wavefront_size32 1
		.amdhsa_uses_dynamic_stack 0
		.amdhsa_enable_private_segment 0
		.amdhsa_system_sgpr_workgroup_id_x 1
		.amdhsa_system_sgpr_workgroup_id_y 1
		.amdhsa_system_sgpr_workgroup_id_z 1
		.amdhsa_system_sgpr_workgroup_info 0
		.amdhsa_system_vgpr_workitem_id 0
		.amdhsa_next_free_vgpr 71
		.amdhsa_next_free_sgpr 42
		.amdhsa_reserve_vcc 1
		.amdhsa_float_round_mode_32 0
		.amdhsa_float_round_mode_16_64 0
		.amdhsa_float_denorm_mode_32 3
		.amdhsa_float_denorm_mode_16_64 3
		.amdhsa_dx10_clamp 1
		.amdhsa_ieee_mode 1
		.amdhsa_fp16_overflow 0
		.amdhsa_workgroup_processor_mode 1
		.amdhsa_memory_ordered 1
		.amdhsa_forward_progress 0
		.amdhsa_shared_vgpr_count 0
		.amdhsa_exception_fp_ieee_invalid_op 0
		.amdhsa_exception_fp_denorm_src 0
		.amdhsa_exception_fp_ieee_div_zero 0
		.amdhsa_exception_fp_ieee_overflow 0
		.amdhsa_exception_fp_ieee_underflow 0
		.amdhsa_exception_fp_ieee_inexact 0
		.amdhsa_exception_int_div_zero 0
	.end_amdhsa_kernel
	.section	.text._ZN4vllm25paged_attention_v2_kernelI14__hip_bfloat16hLi96ELi8ELi128ELNS_18Fp8KVCacheDataTypeE1ELb0ELi512EEEvPfS3_PT_PKS4_PKT0_SA_ifPKiSC_iPKfiiiSE_SE_iiiii,"axG",@progbits,_ZN4vllm25paged_attention_v2_kernelI14__hip_bfloat16hLi96ELi8ELi128ELNS_18Fp8KVCacheDataTypeE1ELb0ELi512EEEvPfS3_PT_PKS4_PKT0_SA_ifPKiSC_iPKfiiiSE_SE_iiiii,comdat
.Lfunc_end391:
	.size	_ZN4vllm25paged_attention_v2_kernelI14__hip_bfloat16hLi96ELi8ELi128ELNS_18Fp8KVCacheDataTypeE1ELb0ELi512EEEvPfS3_PT_PKS4_PKT0_SA_ifPKiSC_iPKfiiiSE_SE_iiiii, .Lfunc_end391-_ZN4vllm25paged_attention_v2_kernelI14__hip_bfloat16hLi96ELi8ELi128ELNS_18Fp8KVCacheDataTypeE1ELb0ELi512EEEvPfS3_PT_PKS4_PKT0_SA_ifPKiSC_iPKfiiiSE_SE_iiiii
                                        ; -- End function
	.section	.AMDGPU.csdata,"",@progbits
; Kernel info:
; codeLenInByte = 23876
; NumSgprs: 44
; NumVgprs: 71
; ScratchSize: 0
; MemoryBound: 0
; FloatMode: 240
; IeeeMode: 1
; LDSByteSize: 224 bytes/workgroup (compile time only)
; SGPRBlocks: 5
; VGPRBlocks: 8
; NumSGPRsForWavesPerEU: 44
; NumVGPRsForWavesPerEU: 71
; Occupancy: 16
; WaveLimiterHint : 1
; COMPUTE_PGM_RSRC2:SCRATCH_EN: 0
; COMPUTE_PGM_RSRC2:USER_SGPR: 13
; COMPUTE_PGM_RSRC2:TRAP_HANDLER: 0
; COMPUTE_PGM_RSRC2:TGID_X_EN: 1
; COMPUTE_PGM_RSRC2:TGID_Y_EN: 1
; COMPUTE_PGM_RSRC2:TGID_Z_EN: 1
; COMPUTE_PGM_RSRC2:TIDIG_COMP_CNT: 0
	.section	.text._ZN4vllm25paged_attention_v2_kernelI14__hip_bfloat16hLi112ELi8ELi128ELNS_18Fp8KVCacheDataTypeE1ELb0ELi512EEEvPfS3_PT_PKS4_PKT0_SA_ifPKiSC_iPKfiiiSE_SE_iiiii,"axG",@progbits,_ZN4vllm25paged_attention_v2_kernelI14__hip_bfloat16hLi112ELi8ELi128ELNS_18Fp8KVCacheDataTypeE1ELb0ELi512EEEvPfS3_PT_PKS4_PKT0_SA_ifPKiSC_iPKfiiiSE_SE_iiiii,comdat
	.protected	_ZN4vllm25paged_attention_v2_kernelI14__hip_bfloat16hLi112ELi8ELi128ELNS_18Fp8KVCacheDataTypeE1ELb0ELi512EEEvPfS3_PT_PKS4_PKT0_SA_ifPKiSC_iPKfiiiSE_SE_iiiii ; -- Begin function _ZN4vllm25paged_attention_v2_kernelI14__hip_bfloat16hLi112ELi8ELi128ELNS_18Fp8KVCacheDataTypeE1ELb0ELi512EEEvPfS3_PT_PKS4_PKT0_SA_ifPKiSC_iPKfiiiSE_SE_iiiii
	.globl	_ZN4vllm25paged_attention_v2_kernelI14__hip_bfloat16hLi112ELi8ELi128ELNS_18Fp8KVCacheDataTypeE1ELb0ELi512EEEvPfS3_PT_PKS4_PKT0_SA_ifPKiSC_iPKfiiiSE_SE_iiiii
	.p2align	8
	.type	_ZN4vllm25paged_attention_v2_kernelI14__hip_bfloat16hLi112ELi8ELi128ELNS_18Fp8KVCacheDataTypeE1ELb0ELi512EEEvPfS3_PT_PKS4_PKT0_SA_ifPKiSC_iPKfiiiSE_SE_iiiii,@function
_ZN4vllm25paged_attention_v2_kernelI14__hip_bfloat16hLi112ELi8ELi128ELNS_18Fp8KVCacheDataTypeE1ELb0ELi512EEEvPfS3_PT_PKS4_PKT0_SA_ifPKiSC_iPKfiiiSE_SE_iiiii: ; @_ZN4vllm25paged_attention_v2_kernelI14__hip_bfloat16hLi112ELi8ELi128ELNS_18Fp8KVCacheDataTypeE1ELb0ELi512EEEvPfS3_PT_PKS4_PKT0_SA_ifPKiSC_iPKfiiiSE_SE_iiiii
; %bb.0:
	s_load_b64 s[2:3], s[0:1], 0x40
	s_mov_b32 s20, s15
	s_ashr_i32 s15, s14, 31
	s_delay_alu instid0(SALU_CYCLE_1)
	s_lshl_b64 s[4:5], s[14:15], 2
	s_waitcnt lgkmcnt(0)
	s_add_u32 s2, s2, s4
	s_addc_u32 s3, s3, s5
	s_lshl_b32 s36, s20, 9
	s_load_b32 s33, s[2:3], 0x0
	s_waitcnt lgkmcnt(0)
	s_cmp_ge_i32 s36, s33
	s_cbranch_scc1 .LBB392_941
; %bb.1:
	s_mov_b32 s26, s13
	s_clause 0x1
	s_load_b32 s15, s[0:1], 0x90
	s_load_b64 s[12:13], s[0:1], 0x30
	s_waitcnt lgkmcnt(0)
	s_abs_i32 s5, s15
	s_abs_i32 s2, s12
	s_delay_alu instid0(SALU_CYCLE_1) | instskip(SKIP_1) | instid1(VALU_DEP_1)
	v_cvt_f32_u32_e32 v1, s2
	s_sub_i32 s4, 0, s2
	v_rcp_iflag_f32_e32 v1, v1
	s_waitcnt_depctr 0xfff
	v_mul_f32_e32 v1, 0x4f7ffffe, v1
	s_delay_alu instid0(VALU_DEP_1) | instskip(NEXT) | instid1(VALU_DEP_1)
	v_cvt_u32_f32_e32 v1, v1
	v_readfirstlane_b32 s3, v1
	s_delay_alu instid0(VALU_DEP_1) | instskip(NEXT) | instid1(SALU_CYCLE_1)
	s_mul_i32 s4, s4, s3
	s_mul_hi_u32 s4, s3, s4
	s_delay_alu instid0(SALU_CYCLE_1)
	s_add_i32 s3, s3, s4
	s_xor_b32 s4, s15, s12
	s_mul_hi_u32 s3, s5, s3
	s_ashr_i32 s4, s4, 31
	s_mul_i32 s6, s3, s2
	s_mov_b32 s12, 0
	s_sub_i32 s5, s5, s6
	s_add_i32 s6, s3, 1
	s_sub_i32 s7, s5, s2
	s_cmp_ge_u32 s5, s2
	s_cselect_b32 s3, s6, s3
	s_cselect_b32 s5, s7, s5
	s_add_i32 s6, s3, 1
	s_cmp_ge_u32 s5, s2
	s_cselect_b32 s2, s6, s3
	s_delay_alu instid0(SALU_CYCLE_1) | instskip(NEXT) | instid1(SALU_CYCLE_1)
	s_xor_b32 s2, s2, s4
	s_sub_i32 s7, s2, s4
	s_load_b64 s[2:3], s[0:1], 0x50
	s_abs_i32 s4, s7
	s_delay_alu instid0(SALU_CYCLE_1) | instskip(SKIP_1) | instid1(VALU_DEP_1)
	v_cvt_f32_u32_e32 v1, s4
	s_sub_i32 s6, 0, s4
	v_rcp_iflag_f32_e32 v1, v1
	s_waitcnt_depctr 0xfff
	v_mul_f32_e32 v1, 0x4f7ffffe, v1
	s_delay_alu instid0(VALU_DEP_1) | instskip(NEXT) | instid1(VALU_DEP_1)
	v_cvt_u32_f32_e32 v1, v1
	v_readfirstlane_b32 s5, v1
	s_delay_alu instid0(VALU_DEP_1) | instskip(NEXT) | instid1(SALU_CYCLE_1)
	s_mul_i32 s6, s6, s5
	s_mul_hi_u32 s8, s5, s6
	s_abs_i32 s6, s26
	s_add_i32 s5, s5, s8
	s_waitcnt lgkmcnt(0)
	s_cmp_eq_u64 s[2:3], 0
	s_mul_hi_u32 s5, s6, s5
	s_cbranch_scc1 .LBB392_3
; %bb.2:
	s_ashr_i32 s27, s26, 31
	s_delay_alu instid0(SALU_CYCLE_1) | instskip(NEXT) | instid1(SALU_CYCLE_1)
	s_lshl_b64 s[8:9], s[26:27], 2
	s_add_u32 s2, s2, s8
	s_addc_u32 s3, s3, s9
	s_load_b32 s12, s[2:3], 0x0
.LBB392_3:
	s_load_b128 s[8:11], s[0:1], 0x58
	v_and_b32_e32 v1, 3, v0
	s_ashr_i32 s2, s26, 31
	s_ashr_i32 s3, s7, 31
	s_mul_i32 s22, s26, 0x70
	s_mov_b32 s7, exec_lo
	v_cmpx_gt_u32_e32 56, v0
	s_cbranch_execz .LBB392_5
; %bb.4:
	s_load_b64 s[16:17], s[0:1], 0x18
	s_waitcnt lgkmcnt(0)
	s_mul_i32 s18, s14, s8
	v_lshlrev_b32_e32 v2, 2, v0
	s_ashr_i32 s19, s18, 31
	v_and_b32_e32 v3, 0x3fc, v0
	s_lshl_b64 s[18:19], s[18:19], 1
	s_delay_alu instid0(VALU_DEP_1) | instskip(SKIP_3) | instid1(SALU_CYCLE_1)
	v_mad_u32_u24 v3, v1, 56, v3
	s_add_u32 s8, s16, s18
	s_addc_u32 s11, s17, s19
	s_ashr_i32 s23, s22, 31
	s_lshl_b64 s[16:17], s[22:23], 1
	s_delay_alu instid0(SALU_CYCLE_1)
	s_add_u32 s16, s8, s16
	s_addc_u32 s17, s11, s17
	global_load_b32 v2, v2, s[16:17]
	s_waitcnt vmcnt(0)
	ds_store_b32 v3, v2
.LBB392_5:
	s_or_b32 exec_lo, exec_lo, s7
	s_add_i32 s7, s33, 7
	s_waitcnt lgkmcnt(0)
	s_lshl_b32 s11, s20, 6
	s_ashr_i32 s8, s7, 31
	s_xor_b32 s2, s2, s3
	s_lshr_b32 s8, s8, 29
	s_add_i32 s3, s11, 64
	s_add_i32 s7, s7, s8
	v_lshrrev_b32_e32 v18, 5, v0
	s_ashr_i32 s27, s7, 3
	s_mul_i32 s7, s5, s4
	s_min_i32 s23, s3, s27
	s_clause 0x1
	s_load_b64 s[28:29], s[0:1], 0x38
	s_load_b32 s3, s[0:1], 0x48
	s_sub_i32 s6, s6, s7
	s_add_i32 s7, s5, 1
	s_sub_i32 s8, s6, s4
	s_cmp_ge_u32 s6, s4
	v_or_b32_e32 v13, s11, v18
	s_cselect_b32 s5, s7, s5
	s_cselect_b32 s6, s8, s6
	s_add_i32 s7, s5, 1
	s_cmp_ge_u32 s6, s4
	v_mbcnt_lo_u32_b32 v10, -1, 0
	s_cselect_b32 s4, s7, s5
	s_waitcnt lgkmcnt(0)
	s_xor_b32 s4, s4, s2
	s_barrier
	s_sub_i32 s37, s4, s2
	v_cmp_gt_i32_e64 s2, s23, v13
	s_mov_b32 s4, exec_lo
	buffer_gl0_inv
                                        ; implicit-def: $vgpr11
	s_mul_i32 s30, s14, s3
                                        ; implicit-def: $sgpr3
	s_delay_alu instid0(SALU_CYCLE_1)
	s_ashr_i32 s31, s30, 31
	v_cmpx_le_i32_e64 s23, v13
	s_xor_b32 s4, exec_lo, s4
; %bb.6:
	v_mbcnt_lo_u32_b32 v10, -1, 0
	v_mov_b32_e32 v11, 32
	s_mov_b32 s3, 0xff7fffff
                                        ; implicit-def: $vgpr1
; %bb.7:
	s_or_saveexec_b32 s21, s4
	s_clause 0x4
	s_load_b128 s[16:19], s[0:1], 0x0
	s_load_b64 s[24:25], s[0:1], 0x10
	s_load_b32 s8, s[0:1], 0x98
	s_load_b64 s[34:35], s[0:1], 0x28
	s_load_b128 s[4:7], s[0:1], 0x68
	v_mov_b32_e32 v43, s3
	v_ashrrev_i32_e32 v14, 31, v13
	v_lshlrev_b32_e32 v9, 3, v18
	s_mul_i32 s37, s37, s10
	s_xor_b32 exec_lo, exec_lo, s21
	s_cbranch_execz .LBB392_349
; %bb.8:
	v_mul_u32_u24_e32 v3, 56, v1
	s_load_b64 s[0:1], s[0:1], 0x20
	v_bfe_u32 v47, v0, 2, 3
	s_ashr_i32 s3, s37, 31
	v_dual_mov_b32 v11, 32 :: v_dual_lshlrev_b32 v12, 1, v1
	ds_load_2addr_b64 v[5:8], v3 offset1:1
	ds_load_2addr_b64 v[28:31], v3 offset0:2 offset1:3
	v_mov_b32_e32 v2, 0
	ds_load_2addr_b64 v[36:39], v3 offset0:4 offset1:5
	ds_load_b64 v[42:43], v3 offset:48
	s_waitcnt lgkmcnt(0)
	s_load_b32 s4, s[4:5], 0x0
	s_mov_b32 s10, 0
	v_mov_b32_e32 v49, v13
	s_add_u32 s0, s0, s37
	s_addc_u32 s1, s1, s3
	s_lshl_b64 s[38:39], s[30:31], 2
	s_sub_i32 s5, 1, s33
	v_lshlrev_b32_e32 v15, 16, v5
	v_and_b32_e32 v16, 0xffff0000, v5
	v_xor_b32_e32 v5, 2, v10
	v_lshlrev_b32_e32 v17, 16, v6
	v_and_b32_e32 v19, 0xffff0000, v6
	v_xor_b32_e32 v6, 1, v10
	v_lshlrev_b32_e32 v20, 16, v7
	v_cmp_gt_i32_e32 vcc_lo, 32, v5
	v_lshlrev_b32_e32 v4, 4, v47
	v_lshlrev_b32_e32 v22, 16, v8
	v_and_b32_e32 v23, 0xffff0000, v8
	v_dual_cndmask_b32 v5, v10, v5 :: v_dual_lshlrev_b32 v24, 16, v28
	v_cmp_gt_i32_e32 vcc_lo, 32, v6
	v_and_b32_e32 v21, 0xffff0000, v7
	v_add_co_u32 v3, s0, s0, v4
	s_delay_alu instid0(VALU_DEP_4) | instskip(SKIP_3) | instid1(VALU_DEP_4)
	v_dual_cndmask_b32 v6, v10, v6 :: v_dual_lshlrev_b32 v45, 2, v5
	v_lshlrev_b32_e32 v5, 2, v47
	v_cmp_eq_u32_e32 vcc_lo, 0, v1
	v_add_co_ci_u32_e64 v4, null, s1, 0, s0
	v_lshlrev_b32_e32 v46, 2, v6
	s_delay_alu instid0(VALU_DEP_4)
	v_lshl_or_b32 v1, v18, 5, v5
	v_lshlrev_b64 v[5:6], 2, v[13:14]
	s_add_u32 s1, s28, s38
	s_addc_u32 s3, s29, s39
	v_and_b32_e32 v25, 0xffff0000, v28
	v_lshlrev_b32_e32 v26, 16, v29
	v_and_b32_e32 v27, 0xffff0000, v29
	v_add_co_u32 v5, s1, s1, v5
	v_lshlrev_b32_e32 v28, 16, v30
	v_and_b32_e32 v29, 0xffff0000, v30
	v_lshlrev_b32_e32 v30, 16, v31
	v_and_b32_e32 v31, 0xffff0000, v31
	;; [unrolled: 2-line block ×8, first 2 shown]
	v_cmp_neq_f32_e64 s0, s12, 0
	v_add3_u32 v47, s36, v9, v47
	v_add_nc_u32_e32 v48, 0x100, v1
	v_add_co_ci_u32_e64 v6, s1, s3, v6, s1
	v_mov_b32_e32 v43, 0xff7fffff
	s_mov_b32 s38, s9
	s_branch .LBB392_10
.LBB392_9:                              ;   in Loop: Header=BB392_10 Depth=1
	s_or_b32 exec_lo, exec_lo, s3
	v_add_nc_u32_e32 v49, 4, v49
	v_add_co_u32 v5, s3, v5, 16
	v_add_nc_u32_e32 v47, 32, v47
	v_add_nc_u32_e32 v48, 0x80, v48
	s_delay_alu instid0(VALU_DEP_4) | instskip(SKIP_1) | instid1(VALU_DEP_2)
	v_cmp_le_i32_e64 s1, s23, v49
	v_add_co_ci_u32_e64 v6, s3, 0, v6, s3
	s_or_b32 s10, s1, s10
	s_delay_alu instid0(SALU_CYCLE_1)
	s_and_not1_b32 exec_lo, exec_lo, s10
	s_cbranch_execz .LBB392_348
.LBB392_10:                             ; =>This Inner Loop Header: Depth=1
	global_load_b32 v1, v[5:6], off
	s_mov_b32 s3, exec_lo
	s_waitcnt vmcnt(0) lgkmcnt(0)
	v_mad_i64_i32 v[7:8], null, v1, s38, v[3:4]
	s_delay_alu instid0(VALU_DEP_1) | instskip(NEXT) | instid1(VALU_DEP_1)
	v_add_co_u32 v7, s1, v7, v12
	v_add_co_ci_u32_e64 v8, s1, 0, v8, s1
	global_load_u16 v1, v[7:8], off
	s_waitcnt vmcnt(0)
	v_and_b32_e32 v50, 0xff, v1
	v_and_b32_e32 v51, 0xffff, v1
	v_mov_b32_e32 v1, 0
	s_delay_alu instid0(VALU_DEP_3)
	v_cmpx_ne_u16_e32 0, v50
	s_cbranch_execz .LBB392_18
; %bb.11:                               ;   in Loop: Header=BB392_10 Depth=1
	s_delay_alu instid0(VALU_DEP_3) | instskip(NEXT) | instid1(VALU_DEP_1)
	v_and_b32_e32 v1, 0xff, v51
	v_cmp_ne_u16_e64 s1, 0x80, v1
	v_bfrev_b32_e32 v1, 1
	s_delay_alu instid0(VALU_DEP_2)
	s_and_saveexec_b32 s39, s1
	s_cbranch_execz .LBB392_17
; %bb.12:                               ;   in Loop: Header=BB392_10 Depth=1
	v_and_b32_e32 v52, 0x7f, v51
	v_mov_b32_e32 v1, 0x7f800001
	s_mov_b32 s40, exec_lo
	s_delay_alu instid0(VALU_DEP_2)
	v_cmpx_ne_u32_e32 0x7f, v52
	s_cbranch_execz .LBB392_16
; %bb.13:                               ;   in Loop: Header=BB392_10 Depth=1
	v_and_b32_e32 v1, 7, v51
	v_lshrrev_b32_e32 v50, 3, v52
	s_mov_b32 s41, exec_lo
	v_cmpx_gt_u32_e32 8, v52
; %bb.14:                               ;   in Loop: Header=BB392_10 Depth=1
	s_delay_alu instid0(VALU_DEP_3) | instskip(NEXT) | instid1(VALU_DEP_1)
	v_clz_i32_u32_e32 v50, v1
	v_min_u32_e32 v50, 32, v50
	s_delay_alu instid0(VALU_DEP_1) | instskip(SKIP_1) | instid1(VALU_DEP_2)
	v_subrev_nc_u32_e32 v52, 28, v50
	v_sub_nc_u32_e32 v50, 29, v50
	v_lshlrev_b64 v[52:53], v52, v[1:2]
	s_delay_alu instid0(VALU_DEP_1)
	v_and_b32_e32 v1, 7, v52
; %bb.15:                               ;   in Loop: Header=BB392_10 Depth=1
	s_or_b32 exec_lo, exec_lo, s41
	v_lshlrev_b32_e32 v52, 24, v51
	s_delay_alu instid0(VALU_DEP_2) | instskip(SKIP_1) | instid1(VALU_DEP_3)
	v_lshlrev_b32_e32 v1, 20, v1
	v_lshl_add_u32 v50, v50, 23, 0x3c000000
	v_and_b32_e32 v52, 0x80000000, v52
	s_delay_alu instid0(VALU_DEP_1)
	v_or3_b32 v1, v1, v52, v50
.LBB392_16:                             ;   in Loop: Header=BB392_10 Depth=1
	s_or_b32 exec_lo, exec_lo, s40
.LBB392_17:                             ;   in Loop: Header=BB392_10 Depth=1
	s_delay_alu instid0(SALU_CYCLE_1)
	s_or_b32 exec_lo, exec_lo, s39
.LBB392_18:                             ;   in Loop: Header=BB392_10 Depth=1
	s_delay_alu instid0(SALU_CYCLE_1) | instskip(SKIP_2) | instid1(VALU_DEP_1)
	s_or_b32 exec_lo, exec_lo, s3
	s_waitcnt lgkmcnt(0)
	v_mul_f32_e32 v1, s4, v1
	v_and_b32_e32 v50, 0x7f800000, v1
	s_delay_alu instid0(VALU_DEP_1) | instskip(NEXT) | instid1(VALU_DEP_1)
	v_cmp_ne_u32_e64 s1, 0x7f800000, v50
                                        ; implicit-def: $vgpr50
	s_and_saveexec_b32 s3, s1
	s_delay_alu instid0(SALU_CYCLE_1)
	s_xor_b32 s1, exec_lo, s3
; %bb.19:                               ;   in Loop: Header=BB392_10 Depth=1
	v_bfe_u32 v50, v1, 16, 1
	s_delay_alu instid0(VALU_DEP_1)
	v_add3_u32 v50, v1, v50, 0x7fff
                                        ; implicit-def: $vgpr1
; %bb.20:                               ;   in Loop: Header=BB392_10 Depth=1
	s_and_not1_saveexec_b32 s3, s1
; %bb.21:                               ;   in Loop: Header=BB392_10 Depth=1
	v_and_b32_e32 v50, 0xffff, v1
	v_or_b32_e32 v52, 0x10000, v1
	s_delay_alu instid0(VALU_DEP_2) | instskip(NEXT) | instid1(VALU_DEP_1)
	v_cmp_eq_u32_e64 s1, 0, v50
	v_cndmask_b32_e64 v50, v52, v1, s1
; %bb.22:                               ;   in Loop: Header=BB392_10 Depth=1
	s_or_b32 exec_lo, exec_lo, s3
	v_lshrrev_b16 v52, 8, v51
	v_mov_b32_e32 v1, 0
	s_mov_b32 s3, exec_lo
	s_delay_alu instid0(VALU_DEP_2)
	v_cmpx_ne_u16_e32 0, v52
	s_cbranch_execz .LBB392_30
; %bb.23:                               ;   in Loop: Header=BB392_10 Depth=1
	v_bfrev_b32_e32 v1, 1
	s_mov_b32 s39, exec_lo
	v_cmpx_ne_u16_e32 0x80, v52
	s_cbranch_execz .LBB392_29
; %bb.24:                               ;   in Loop: Header=BB392_10 Depth=1
	v_and_b32_e32 v52, 0xffff, v52
	v_mov_b32_e32 v1, 0x7f800001
	s_mov_b32 s40, exec_lo
	s_delay_alu instid0(VALU_DEP_2) | instskip(NEXT) | instid1(VALU_DEP_1)
	v_and_b32_e32 v53, 0x7f, v52
	v_cmpx_ne_u32_e32 0x7f, v53
	s_cbranch_execz .LBB392_28
; %bb.25:                               ;   in Loop: Header=BB392_10 Depth=1
	v_and_b32_e32 v1, 7, v52
	v_lshrrev_b32_e32 v52, 3, v53
	s_mov_b32 s41, exec_lo
	v_cmpx_gt_u32_e32 8, v53
; %bb.26:                               ;   in Loop: Header=BB392_10 Depth=1
	s_delay_alu instid0(VALU_DEP_3) | instskip(NEXT) | instid1(VALU_DEP_1)
	v_clz_i32_u32_e32 v52, v1
	v_min_u32_e32 v52, 32, v52
	s_delay_alu instid0(VALU_DEP_1) | instskip(SKIP_1) | instid1(VALU_DEP_2)
	v_subrev_nc_u32_e32 v53, 28, v52
	v_sub_nc_u32_e32 v52, 29, v52
	v_lshlrev_b64 v[53:54], v53, v[1:2]
	s_delay_alu instid0(VALU_DEP_1)
	v_and_b32_e32 v1, 7, v53
; %bb.27:                               ;   in Loop: Header=BB392_10 Depth=1
	s_or_b32 exec_lo, exec_lo, s41
	v_lshlrev_b32_e32 v51, 16, v51
	s_delay_alu instid0(VALU_DEP_2) | instskip(SKIP_1) | instid1(VALU_DEP_3)
	v_lshlrev_b32_e32 v1, 20, v1
	v_lshl_add_u32 v52, v52, 23, 0x3c000000
	v_and_b32_e32 v51, 0x80000000, v51
	s_delay_alu instid0(VALU_DEP_1)
	v_or3_b32 v1, v1, v51, v52
.LBB392_28:                             ;   in Loop: Header=BB392_10 Depth=1
	s_or_b32 exec_lo, exec_lo, s40
.LBB392_29:                             ;   in Loop: Header=BB392_10 Depth=1
	s_delay_alu instid0(SALU_CYCLE_1)
	s_or_b32 exec_lo, exec_lo, s39
.LBB392_30:                             ;   in Loop: Header=BB392_10 Depth=1
	s_delay_alu instid0(SALU_CYCLE_1) | instskip(NEXT) | instid1(VALU_DEP_1)
	s_or_b32 exec_lo, exec_lo, s3
	v_mul_f32_e32 v1, s4, v1
	s_delay_alu instid0(VALU_DEP_1) | instskip(NEXT) | instid1(VALU_DEP_1)
	v_and_b32_e32 v51, 0x7f800000, v1
	v_cmp_ne_u32_e64 s1, 0x7f800000, v51
                                        ; implicit-def: $vgpr51
	s_delay_alu instid0(VALU_DEP_1) | instskip(NEXT) | instid1(SALU_CYCLE_1)
	s_and_saveexec_b32 s3, s1
	s_xor_b32 s1, exec_lo, s3
; %bb.31:                               ;   in Loop: Header=BB392_10 Depth=1
	v_bfe_u32 v51, v1, 16, 1
	s_delay_alu instid0(VALU_DEP_1)
	v_add3_u32 v51, v1, v51, 0x7fff
                                        ; implicit-def: $vgpr1
; %bb.32:                               ;   in Loop: Header=BB392_10 Depth=1
	s_and_not1_saveexec_b32 s3, s1
; %bb.33:                               ;   in Loop: Header=BB392_10 Depth=1
	v_and_b32_e32 v51, 0xffff, v1
	v_or_b32_e32 v52, 0x10000, v1
	s_delay_alu instid0(VALU_DEP_2) | instskip(NEXT) | instid1(VALU_DEP_1)
	v_cmp_eq_u32_e64 s1, 0, v51
	v_cndmask_b32_e64 v51, v52, v1, s1
; %bb.34:                               ;   in Loop: Header=BB392_10 Depth=1
	s_or_b32 exec_lo, exec_lo, s3
	global_load_u16 v1, v[7:8], off offset:8
	s_mov_b32 s3, exec_lo
	s_waitcnt vmcnt(0)
	v_and_b32_e32 v52, 0xff, v1
	v_and_b32_e32 v53, 0xffff, v1
	v_mov_b32_e32 v1, 0
	s_delay_alu instid0(VALU_DEP_3)
	v_cmpx_ne_u16_e32 0, v52
	s_cbranch_execz .LBB392_42
; %bb.35:                               ;   in Loop: Header=BB392_10 Depth=1
	s_delay_alu instid0(VALU_DEP_3) | instskip(NEXT) | instid1(VALU_DEP_1)
	v_and_b32_e32 v1, 0xff, v53
	v_cmp_ne_u16_e64 s1, 0x80, v1
	v_bfrev_b32_e32 v1, 1
	s_delay_alu instid0(VALU_DEP_2)
	s_and_saveexec_b32 s39, s1
	s_cbranch_execz .LBB392_41
; %bb.36:                               ;   in Loop: Header=BB392_10 Depth=1
	v_and_b32_e32 v54, 0x7f, v53
	v_mov_b32_e32 v1, 0x7f800001
	s_mov_b32 s40, exec_lo
	s_delay_alu instid0(VALU_DEP_2)
	v_cmpx_ne_u32_e32 0x7f, v54
	s_cbranch_execz .LBB392_40
; %bb.37:                               ;   in Loop: Header=BB392_10 Depth=1
	v_and_b32_e32 v1, 7, v53
	v_lshrrev_b32_e32 v52, 3, v54
	s_mov_b32 s41, exec_lo
	v_cmpx_gt_u32_e32 8, v54
; %bb.38:                               ;   in Loop: Header=BB392_10 Depth=1
	s_delay_alu instid0(VALU_DEP_3) | instskip(NEXT) | instid1(VALU_DEP_1)
	v_clz_i32_u32_e32 v52, v1
	v_min_u32_e32 v52, 32, v52
	s_delay_alu instid0(VALU_DEP_1) | instskip(SKIP_1) | instid1(VALU_DEP_2)
	v_subrev_nc_u32_e32 v54, 28, v52
	v_sub_nc_u32_e32 v52, 29, v52
	v_lshlrev_b64 v[54:55], v54, v[1:2]
	s_delay_alu instid0(VALU_DEP_1)
	v_and_b32_e32 v1, 7, v54
; %bb.39:                               ;   in Loop: Header=BB392_10 Depth=1
	s_or_b32 exec_lo, exec_lo, s41
	v_lshlrev_b32_e32 v54, 24, v53
	s_delay_alu instid0(VALU_DEP_2) | instskip(SKIP_1) | instid1(VALU_DEP_3)
	v_lshlrev_b32_e32 v1, 20, v1
	v_lshl_add_u32 v52, v52, 23, 0x3c000000
	v_and_b32_e32 v54, 0x80000000, v54
	s_delay_alu instid0(VALU_DEP_1)
	v_or3_b32 v1, v1, v54, v52
.LBB392_40:                             ;   in Loop: Header=BB392_10 Depth=1
	s_or_b32 exec_lo, exec_lo, s40
.LBB392_41:                             ;   in Loop: Header=BB392_10 Depth=1
	s_delay_alu instid0(SALU_CYCLE_1)
	s_or_b32 exec_lo, exec_lo, s39
.LBB392_42:                             ;   in Loop: Header=BB392_10 Depth=1
	s_delay_alu instid0(SALU_CYCLE_1) | instskip(NEXT) | instid1(VALU_DEP_1)
	s_or_b32 exec_lo, exec_lo, s3
	v_mul_f32_e32 v1, s4, v1
	s_delay_alu instid0(VALU_DEP_1) | instskip(NEXT) | instid1(VALU_DEP_1)
	v_and_b32_e32 v52, 0x7f800000, v1
	v_cmp_ne_u32_e64 s1, 0x7f800000, v52
                                        ; implicit-def: $vgpr52
	s_delay_alu instid0(VALU_DEP_1) | instskip(NEXT) | instid1(SALU_CYCLE_1)
	s_and_saveexec_b32 s3, s1
	s_xor_b32 s1, exec_lo, s3
; %bb.43:                               ;   in Loop: Header=BB392_10 Depth=1
	v_bfe_u32 v52, v1, 16, 1
	s_delay_alu instid0(VALU_DEP_1)
	v_add3_u32 v52, v1, v52, 0x7fff
                                        ; implicit-def: $vgpr1
; %bb.44:                               ;   in Loop: Header=BB392_10 Depth=1
	s_and_not1_saveexec_b32 s3, s1
; %bb.45:                               ;   in Loop: Header=BB392_10 Depth=1
	v_and_b32_e32 v52, 0xffff, v1
	v_or_b32_e32 v54, 0x10000, v1
	s_delay_alu instid0(VALU_DEP_2) | instskip(NEXT) | instid1(VALU_DEP_1)
	v_cmp_eq_u32_e64 s1, 0, v52
	v_cndmask_b32_e64 v52, v54, v1, s1
; %bb.46:                               ;   in Loop: Header=BB392_10 Depth=1
	s_or_b32 exec_lo, exec_lo, s3
	v_lshrrev_b16 v54, 8, v53
	v_mov_b32_e32 v1, 0
	s_mov_b32 s3, exec_lo
	s_delay_alu instid0(VALU_DEP_2)
	v_cmpx_ne_u16_e32 0, v54
	s_cbranch_execz .LBB392_54
; %bb.47:                               ;   in Loop: Header=BB392_10 Depth=1
	v_bfrev_b32_e32 v1, 1
	s_mov_b32 s39, exec_lo
	v_cmpx_ne_u16_e32 0x80, v54
	s_cbranch_execz .LBB392_53
; %bb.48:                               ;   in Loop: Header=BB392_10 Depth=1
	v_and_b32_e32 v54, 0xffff, v54
	v_mov_b32_e32 v1, 0x7f800001
	s_mov_b32 s40, exec_lo
	s_delay_alu instid0(VALU_DEP_2) | instskip(NEXT) | instid1(VALU_DEP_1)
	v_and_b32_e32 v55, 0x7f, v54
	v_cmpx_ne_u32_e32 0x7f, v55
	s_cbranch_execz .LBB392_52
; %bb.49:                               ;   in Loop: Header=BB392_10 Depth=1
	v_and_b32_e32 v1, 7, v54
	v_lshrrev_b32_e32 v54, 3, v55
	s_mov_b32 s41, exec_lo
	v_cmpx_gt_u32_e32 8, v55
; %bb.50:                               ;   in Loop: Header=BB392_10 Depth=1
	s_delay_alu instid0(VALU_DEP_3) | instskip(NEXT) | instid1(VALU_DEP_1)
	v_clz_i32_u32_e32 v54, v1
	v_min_u32_e32 v54, 32, v54
	s_delay_alu instid0(VALU_DEP_1) | instskip(SKIP_1) | instid1(VALU_DEP_2)
	v_subrev_nc_u32_e32 v55, 28, v54
	v_sub_nc_u32_e32 v54, 29, v54
	v_lshlrev_b64 v[55:56], v55, v[1:2]
	s_delay_alu instid0(VALU_DEP_1)
	v_and_b32_e32 v1, 7, v55
; %bb.51:                               ;   in Loop: Header=BB392_10 Depth=1
	s_or_b32 exec_lo, exec_lo, s41
	v_lshlrev_b32_e32 v53, 16, v53
	s_delay_alu instid0(VALU_DEP_2) | instskip(SKIP_1) | instid1(VALU_DEP_3)
	v_lshlrev_b32_e32 v1, 20, v1
	v_lshl_add_u32 v54, v54, 23, 0x3c000000
	v_and_b32_e32 v53, 0x80000000, v53
	s_delay_alu instid0(VALU_DEP_1)
	v_or3_b32 v1, v1, v53, v54
.LBB392_52:                             ;   in Loop: Header=BB392_10 Depth=1
	s_or_b32 exec_lo, exec_lo, s40
.LBB392_53:                             ;   in Loop: Header=BB392_10 Depth=1
	s_delay_alu instid0(SALU_CYCLE_1)
	s_or_b32 exec_lo, exec_lo, s39
.LBB392_54:                             ;   in Loop: Header=BB392_10 Depth=1
	s_delay_alu instid0(SALU_CYCLE_1) | instskip(NEXT) | instid1(VALU_DEP_1)
	s_or_b32 exec_lo, exec_lo, s3
	v_mul_f32_e32 v1, s4, v1
	s_delay_alu instid0(VALU_DEP_1) | instskip(NEXT) | instid1(VALU_DEP_1)
	v_and_b32_e32 v53, 0x7f800000, v1
	v_cmp_ne_u32_e64 s1, 0x7f800000, v53
                                        ; implicit-def: $vgpr53
	s_delay_alu instid0(VALU_DEP_1) | instskip(NEXT) | instid1(SALU_CYCLE_1)
	s_and_saveexec_b32 s3, s1
	s_xor_b32 s1, exec_lo, s3
; %bb.55:                               ;   in Loop: Header=BB392_10 Depth=1
	v_bfe_u32 v53, v1, 16, 1
	s_delay_alu instid0(VALU_DEP_1)
	v_add3_u32 v53, v1, v53, 0x7fff
                                        ; implicit-def: $vgpr1
; %bb.56:                               ;   in Loop: Header=BB392_10 Depth=1
	s_and_not1_saveexec_b32 s3, s1
; %bb.57:                               ;   in Loop: Header=BB392_10 Depth=1
	v_and_b32_e32 v53, 0xffff, v1
	v_or_b32_e32 v54, 0x10000, v1
	s_delay_alu instid0(VALU_DEP_2) | instskip(NEXT) | instid1(VALU_DEP_1)
	v_cmp_eq_u32_e64 s1, 0, v53
	v_cndmask_b32_e64 v53, v54, v1, s1
; %bb.58:                               ;   in Loop: Header=BB392_10 Depth=1
	s_or_b32 exec_lo, exec_lo, s3
	global_load_u16 v1, v[7:8], off offset:128
	s_mov_b32 s3, exec_lo
	s_waitcnt vmcnt(0)
	v_and_b32_e32 v54, 0xff, v1
	v_and_b32_e32 v55, 0xffff, v1
	v_mov_b32_e32 v1, 0
	s_delay_alu instid0(VALU_DEP_3)
	v_cmpx_ne_u16_e32 0, v54
	s_cbranch_execz .LBB392_66
; %bb.59:                               ;   in Loop: Header=BB392_10 Depth=1
	s_delay_alu instid0(VALU_DEP_3) | instskip(NEXT) | instid1(VALU_DEP_1)
	v_and_b32_e32 v1, 0xff, v55
	v_cmp_ne_u16_e64 s1, 0x80, v1
	v_bfrev_b32_e32 v1, 1
	s_delay_alu instid0(VALU_DEP_2)
	s_and_saveexec_b32 s39, s1
	s_cbranch_execz .LBB392_65
; %bb.60:                               ;   in Loop: Header=BB392_10 Depth=1
	v_and_b32_e32 v56, 0x7f, v55
	v_mov_b32_e32 v1, 0x7f800001
	s_mov_b32 s40, exec_lo
	s_delay_alu instid0(VALU_DEP_2)
	v_cmpx_ne_u32_e32 0x7f, v56
	s_cbranch_execz .LBB392_64
; %bb.61:                               ;   in Loop: Header=BB392_10 Depth=1
	v_and_b32_e32 v1, 7, v55
	v_lshrrev_b32_e32 v54, 3, v56
	s_mov_b32 s41, exec_lo
	v_cmpx_gt_u32_e32 8, v56
; %bb.62:                               ;   in Loop: Header=BB392_10 Depth=1
	s_delay_alu instid0(VALU_DEP_3) | instskip(NEXT) | instid1(VALU_DEP_1)
	v_clz_i32_u32_e32 v54, v1
	v_min_u32_e32 v54, 32, v54
	s_delay_alu instid0(VALU_DEP_1) | instskip(SKIP_1) | instid1(VALU_DEP_2)
	v_subrev_nc_u32_e32 v56, 28, v54
	v_sub_nc_u32_e32 v54, 29, v54
	v_lshlrev_b64 v[56:57], v56, v[1:2]
	s_delay_alu instid0(VALU_DEP_1)
	v_and_b32_e32 v1, 7, v56
; %bb.63:                               ;   in Loop: Header=BB392_10 Depth=1
	s_or_b32 exec_lo, exec_lo, s41
	v_lshlrev_b32_e32 v56, 24, v55
	s_delay_alu instid0(VALU_DEP_2) | instskip(SKIP_1) | instid1(VALU_DEP_3)
	v_lshlrev_b32_e32 v1, 20, v1
	v_lshl_add_u32 v54, v54, 23, 0x3c000000
	v_and_b32_e32 v56, 0x80000000, v56
	s_delay_alu instid0(VALU_DEP_1)
	v_or3_b32 v1, v1, v56, v54
.LBB392_64:                             ;   in Loop: Header=BB392_10 Depth=1
	s_or_b32 exec_lo, exec_lo, s40
.LBB392_65:                             ;   in Loop: Header=BB392_10 Depth=1
	s_delay_alu instid0(SALU_CYCLE_1)
	s_or_b32 exec_lo, exec_lo, s39
.LBB392_66:                             ;   in Loop: Header=BB392_10 Depth=1
	s_delay_alu instid0(SALU_CYCLE_1) | instskip(NEXT) | instid1(VALU_DEP_1)
	s_or_b32 exec_lo, exec_lo, s3
	v_mul_f32_e32 v1, s4, v1
	s_delay_alu instid0(VALU_DEP_1) | instskip(NEXT) | instid1(VALU_DEP_1)
	v_and_b32_e32 v54, 0x7f800000, v1
	v_cmp_ne_u32_e64 s1, 0x7f800000, v54
                                        ; implicit-def: $vgpr54
	s_delay_alu instid0(VALU_DEP_1) | instskip(NEXT) | instid1(SALU_CYCLE_1)
	s_and_saveexec_b32 s3, s1
	s_xor_b32 s1, exec_lo, s3
; %bb.67:                               ;   in Loop: Header=BB392_10 Depth=1
	v_bfe_u32 v54, v1, 16, 1
	s_delay_alu instid0(VALU_DEP_1)
	v_add3_u32 v54, v1, v54, 0x7fff
                                        ; implicit-def: $vgpr1
; %bb.68:                               ;   in Loop: Header=BB392_10 Depth=1
	s_and_not1_saveexec_b32 s3, s1
; %bb.69:                               ;   in Loop: Header=BB392_10 Depth=1
	v_and_b32_e32 v54, 0xffff, v1
	v_or_b32_e32 v56, 0x10000, v1
	s_delay_alu instid0(VALU_DEP_2) | instskip(NEXT) | instid1(VALU_DEP_1)
	v_cmp_eq_u32_e64 s1, 0, v54
	v_cndmask_b32_e64 v54, v56, v1, s1
; %bb.70:                               ;   in Loop: Header=BB392_10 Depth=1
	s_or_b32 exec_lo, exec_lo, s3
	v_lshrrev_b16 v56, 8, v55
	v_mov_b32_e32 v1, 0
	s_mov_b32 s3, exec_lo
	s_delay_alu instid0(VALU_DEP_2)
	v_cmpx_ne_u16_e32 0, v56
	s_cbranch_execz .LBB392_78
; %bb.71:                               ;   in Loop: Header=BB392_10 Depth=1
	v_bfrev_b32_e32 v1, 1
	s_mov_b32 s39, exec_lo
	v_cmpx_ne_u16_e32 0x80, v56
	s_cbranch_execz .LBB392_77
; %bb.72:                               ;   in Loop: Header=BB392_10 Depth=1
	v_and_b32_e32 v56, 0xffff, v56
	v_mov_b32_e32 v1, 0x7f800001
	s_mov_b32 s40, exec_lo
	s_delay_alu instid0(VALU_DEP_2) | instskip(NEXT) | instid1(VALU_DEP_1)
	v_and_b32_e32 v57, 0x7f, v56
	v_cmpx_ne_u32_e32 0x7f, v57
	s_cbranch_execz .LBB392_76
; %bb.73:                               ;   in Loop: Header=BB392_10 Depth=1
	v_and_b32_e32 v1, 7, v56
	v_lshrrev_b32_e32 v56, 3, v57
	s_mov_b32 s41, exec_lo
	v_cmpx_gt_u32_e32 8, v57
; %bb.74:                               ;   in Loop: Header=BB392_10 Depth=1
	s_delay_alu instid0(VALU_DEP_3) | instskip(NEXT) | instid1(VALU_DEP_1)
	v_clz_i32_u32_e32 v56, v1
	v_min_u32_e32 v56, 32, v56
	s_delay_alu instid0(VALU_DEP_1) | instskip(SKIP_1) | instid1(VALU_DEP_2)
	v_subrev_nc_u32_e32 v57, 28, v56
	v_sub_nc_u32_e32 v56, 29, v56
	v_lshlrev_b64 v[57:58], v57, v[1:2]
	s_delay_alu instid0(VALU_DEP_1)
	v_and_b32_e32 v1, 7, v57
; %bb.75:                               ;   in Loop: Header=BB392_10 Depth=1
	s_or_b32 exec_lo, exec_lo, s41
	v_lshlrev_b32_e32 v55, 16, v55
	s_delay_alu instid0(VALU_DEP_2) | instskip(SKIP_1) | instid1(VALU_DEP_3)
	v_lshlrev_b32_e32 v1, 20, v1
	v_lshl_add_u32 v56, v56, 23, 0x3c000000
	v_and_b32_e32 v55, 0x80000000, v55
	s_delay_alu instid0(VALU_DEP_1)
	v_or3_b32 v1, v1, v55, v56
.LBB392_76:                             ;   in Loop: Header=BB392_10 Depth=1
	s_or_b32 exec_lo, exec_lo, s40
.LBB392_77:                             ;   in Loop: Header=BB392_10 Depth=1
	s_delay_alu instid0(SALU_CYCLE_1)
	s_or_b32 exec_lo, exec_lo, s39
.LBB392_78:                             ;   in Loop: Header=BB392_10 Depth=1
	s_delay_alu instid0(SALU_CYCLE_1) | instskip(NEXT) | instid1(VALU_DEP_1)
	s_or_b32 exec_lo, exec_lo, s3
	v_mul_f32_e32 v1, s4, v1
	s_delay_alu instid0(VALU_DEP_1) | instskip(NEXT) | instid1(VALU_DEP_1)
	v_and_b32_e32 v55, 0x7f800000, v1
	v_cmp_ne_u32_e64 s1, 0x7f800000, v55
                                        ; implicit-def: $vgpr55
	s_delay_alu instid0(VALU_DEP_1) | instskip(NEXT) | instid1(SALU_CYCLE_1)
	s_and_saveexec_b32 s3, s1
	s_xor_b32 s1, exec_lo, s3
; %bb.79:                               ;   in Loop: Header=BB392_10 Depth=1
	v_bfe_u32 v55, v1, 16, 1
	s_delay_alu instid0(VALU_DEP_1)
	v_add3_u32 v55, v1, v55, 0x7fff
                                        ; implicit-def: $vgpr1
; %bb.80:                               ;   in Loop: Header=BB392_10 Depth=1
	s_and_not1_saveexec_b32 s3, s1
; %bb.81:                               ;   in Loop: Header=BB392_10 Depth=1
	v_and_b32_e32 v55, 0xffff, v1
	v_or_b32_e32 v56, 0x10000, v1
	s_delay_alu instid0(VALU_DEP_2) | instskip(NEXT) | instid1(VALU_DEP_1)
	v_cmp_eq_u32_e64 s1, 0, v55
	v_cndmask_b32_e64 v55, v56, v1, s1
; %bb.82:                               ;   in Loop: Header=BB392_10 Depth=1
	s_or_b32 exec_lo, exec_lo, s3
	global_load_u16 v1, v[7:8], off offset:136
	s_mov_b32 s3, exec_lo
	s_waitcnt vmcnt(0)
	v_and_b32_e32 v56, 0xff, v1
	v_and_b32_e32 v57, 0xffff, v1
	v_mov_b32_e32 v1, 0
	s_delay_alu instid0(VALU_DEP_3)
	v_cmpx_ne_u16_e32 0, v56
	s_cbranch_execz .LBB392_90
; %bb.83:                               ;   in Loop: Header=BB392_10 Depth=1
	s_delay_alu instid0(VALU_DEP_3) | instskip(NEXT) | instid1(VALU_DEP_1)
	v_and_b32_e32 v1, 0xff, v57
	v_cmp_ne_u16_e64 s1, 0x80, v1
	v_bfrev_b32_e32 v1, 1
	s_delay_alu instid0(VALU_DEP_2)
	s_and_saveexec_b32 s39, s1
	s_cbranch_execz .LBB392_89
; %bb.84:                               ;   in Loop: Header=BB392_10 Depth=1
	v_and_b32_e32 v58, 0x7f, v57
	v_mov_b32_e32 v1, 0x7f800001
	s_mov_b32 s40, exec_lo
	s_delay_alu instid0(VALU_DEP_2)
	v_cmpx_ne_u32_e32 0x7f, v58
	s_cbranch_execz .LBB392_88
; %bb.85:                               ;   in Loop: Header=BB392_10 Depth=1
	v_and_b32_e32 v1, 7, v57
	v_lshrrev_b32_e32 v56, 3, v58
	s_mov_b32 s41, exec_lo
	v_cmpx_gt_u32_e32 8, v58
; %bb.86:                               ;   in Loop: Header=BB392_10 Depth=1
	s_delay_alu instid0(VALU_DEP_3) | instskip(NEXT) | instid1(VALU_DEP_1)
	v_clz_i32_u32_e32 v56, v1
	v_min_u32_e32 v56, 32, v56
	s_delay_alu instid0(VALU_DEP_1) | instskip(SKIP_1) | instid1(VALU_DEP_2)
	v_subrev_nc_u32_e32 v58, 28, v56
	v_sub_nc_u32_e32 v56, 29, v56
	v_lshlrev_b64 v[58:59], v58, v[1:2]
	s_delay_alu instid0(VALU_DEP_1)
	v_and_b32_e32 v1, 7, v58
; %bb.87:                               ;   in Loop: Header=BB392_10 Depth=1
	s_or_b32 exec_lo, exec_lo, s41
	v_lshlrev_b32_e32 v58, 24, v57
	s_delay_alu instid0(VALU_DEP_2) | instskip(SKIP_1) | instid1(VALU_DEP_3)
	v_lshlrev_b32_e32 v1, 20, v1
	v_lshl_add_u32 v56, v56, 23, 0x3c000000
	v_and_b32_e32 v58, 0x80000000, v58
	s_delay_alu instid0(VALU_DEP_1)
	v_or3_b32 v1, v1, v58, v56
.LBB392_88:                             ;   in Loop: Header=BB392_10 Depth=1
	s_or_b32 exec_lo, exec_lo, s40
.LBB392_89:                             ;   in Loop: Header=BB392_10 Depth=1
	s_delay_alu instid0(SALU_CYCLE_1)
	s_or_b32 exec_lo, exec_lo, s39
.LBB392_90:                             ;   in Loop: Header=BB392_10 Depth=1
	s_delay_alu instid0(SALU_CYCLE_1) | instskip(NEXT) | instid1(VALU_DEP_1)
	s_or_b32 exec_lo, exec_lo, s3
	v_mul_f32_e32 v1, s4, v1
	s_delay_alu instid0(VALU_DEP_1) | instskip(NEXT) | instid1(VALU_DEP_1)
	v_and_b32_e32 v56, 0x7f800000, v1
	v_cmp_ne_u32_e64 s1, 0x7f800000, v56
                                        ; implicit-def: $vgpr56
	s_delay_alu instid0(VALU_DEP_1) | instskip(NEXT) | instid1(SALU_CYCLE_1)
	s_and_saveexec_b32 s3, s1
	s_xor_b32 s1, exec_lo, s3
; %bb.91:                               ;   in Loop: Header=BB392_10 Depth=1
	v_bfe_u32 v56, v1, 16, 1
	s_delay_alu instid0(VALU_DEP_1)
	v_add3_u32 v56, v1, v56, 0x7fff
                                        ; implicit-def: $vgpr1
; %bb.92:                               ;   in Loop: Header=BB392_10 Depth=1
	s_and_not1_saveexec_b32 s3, s1
; %bb.93:                               ;   in Loop: Header=BB392_10 Depth=1
	v_and_b32_e32 v56, 0xffff, v1
	v_or_b32_e32 v58, 0x10000, v1
	s_delay_alu instid0(VALU_DEP_2) | instskip(NEXT) | instid1(VALU_DEP_1)
	v_cmp_eq_u32_e64 s1, 0, v56
	v_cndmask_b32_e64 v56, v58, v1, s1
; %bb.94:                               ;   in Loop: Header=BB392_10 Depth=1
	s_or_b32 exec_lo, exec_lo, s3
	v_lshrrev_b16 v58, 8, v57
	v_mov_b32_e32 v1, 0
	s_mov_b32 s3, exec_lo
	s_delay_alu instid0(VALU_DEP_2)
	v_cmpx_ne_u16_e32 0, v58
	s_cbranch_execz .LBB392_102
; %bb.95:                               ;   in Loop: Header=BB392_10 Depth=1
	v_bfrev_b32_e32 v1, 1
	s_mov_b32 s39, exec_lo
	v_cmpx_ne_u16_e32 0x80, v58
	s_cbranch_execz .LBB392_101
; %bb.96:                               ;   in Loop: Header=BB392_10 Depth=1
	v_and_b32_e32 v58, 0xffff, v58
	v_mov_b32_e32 v1, 0x7f800001
	s_mov_b32 s40, exec_lo
	s_delay_alu instid0(VALU_DEP_2) | instskip(NEXT) | instid1(VALU_DEP_1)
	v_and_b32_e32 v59, 0x7f, v58
	v_cmpx_ne_u32_e32 0x7f, v59
	s_cbranch_execz .LBB392_100
; %bb.97:                               ;   in Loop: Header=BB392_10 Depth=1
	v_and_b32_e32 v1, 7, v58
	v_lshrrev_b32_e32 v58, 3, v59
	s_mov_b32 s41, exec_lo
	v_cmpx_gt_u32_e32 8, v59
; %bb.98:                               ;   in Loop: Header=BB392_10 Depth=1
	s_delay_alu instid0(VALU_DEP_3) | instskip(NEXT) | instid1(VALU_DEP_1)
	v_clz_i32_u32_e32 v58, v1
	v_min_u32_e32 v58, 32, v58
	s_delay_alu instid0(VALU_DEP_1) | instskip(SKIP_1) | instid1(VALU_DEP_2)
	v_subrev_nc_u32_e32 v59, 28, v58
	v_sub_nc_u32_e32 v58, 29, v58
	v_lshlrev_b64 v[59:60], v59, v[1:2]
	s_delay_alu instid0(VALU_DEP_1)
	v_and_b32_e32 v1, 7, v59
; %bb.99:                               ;   in Loop: Header=BB392_10 Depth=1
	s_or_b32 exec_lo, exec_lo, s41
	v_lshlrev_b32_e32 v57, 16, v57
	s_delay_alu instid0(VALU_DEP_2) | instskip(SKIP_1) | instid1(VALU_DEP_3)
	v_lshlrev_b32_e32 v1, 20, v1
	v_lshl_add_u32 v58, v58, 23, 0x3c000000
	v_and_b32_e32 v57, 0x80000000, v57
	s_delay_alu instid0(VALU_DEP_1)
	v_or3_b32 v1, v1, v57, v58
.LBB392_100:                            ;   in Loop: Header=BB392_10 Depth=1
	s_or_b32 exec_lo, exec_lo, s40
.LBB392_101:                            ;   in Loop: Header=BB392_10 Depth=1
	s_delay_alu instid0(SALU_CYCLE_1)
	s_or_b32 exec_lo, exec_lo, s39
.LBB392_102:                            ;   in Loop: Header=BB392_10 Depth=1
	s_delay_alu instid0(SALU_CYCLE_1) | instskip(NEXT) | instid1(VALU_DEP_1)
	s_or_b32 exec_lo, exec_lo, s3
	v_mul_f32_e32 v1, s4, v1
	s_delay_alu instid0(VALU_DEP_1) | instskip(NEXT) | instid1(VALU_DEP_1)
	v_and_b32_e32 v57, 0x7f800000, v1
	v_cmp_ne_u32_e64 s1, 0x7f800000, v57
                                        ; implicit-def: $vgpr57
	s_delay_alu instid0(VALU_DEP_1) | instskip(NEXT) | instid1(SALU_CYCLE_1)
	s_and_saveexec_b32 s3, s1
	s_xor_b32 s1, exec_lo, s3
; %bb.103:                              ;   in Loop: Header=BB392_10 Depth=1
	v_bfe_u32 v57, v1, 16, 1
	s_delay_alu instid0(VALU_DEP_1)
	v_add3_u32 v57, v1, v57, 0x7fff
                                        ; implicit-def: $vgpr1
; %bb.104:                              ;   in Loop: Header=BB392_10 Depth=1
	s_and_not1_saveexec_b32 s3, s1
; %bb.105:                              ;   in Loop: Header=BB392_10 Depth=1
	v_and_b32_e32 v57, 0xffff, v1
	v_or_b32_e32 v58, 0x10000, v1
	s_delay_alu instid0(VALU_DEP_2) | instskip(NEXT) | instid1(VALU_DEP_1)
	v_cmp_eq_u32_e64 s1, 0, v57
	v_cndmask_b32_e64 v57, v58, v1, s1
; %bb.106:                              ;   in Loop: Header=BB392_10 Depth=1
	s_or_b32 exec_lo, exec_lo, s3
	global_load_u16 v1, v[7:8], off offset:256
	s_mov_b32 s3, exec_lo
	s_waitcnt vmcnt(0)
	v_and_b32_e32 v58, 0xff, v1
	v_and_b32_e32 v59, 0xffff, v1
	v_mov_b32_e32 v1, 0
	s_delay_alu instid0(VALU_DEP_3)
	v_cmpx_ne_u16_e32 0, v58
	s_cbranch_execz .LBB392_114
; %bb.107:                              ;   in Loop: Header=BB392_10 Depth=1
	s_delay_alu instid0(VALU_DEP_3) | instskip(NEXT) | instid1(VALU_DEP_1)
	v_and_b32_e32 v1, 0xff, v59
	v_cmp_ne_u16_e64 s1, 0x80, v1
	v_bfrev_b32_e32 v1, 1
	s_delay_alu instid0(VALU_DEP_2)
	s_and_saveexec_b32 s39, s1
	s_cbranch_execz .LBB392_113
; %bb.108:                              ;   in Loop: Header=BB392_10 Depth=1
	v_and_b32_e32 v60, 0x7f, v59
	v_mov_b32_e32 v1, 0x7f800001
	s_mov_b32 s40, exec_lo
	s_delay_alu instid0(VALU_DEP_2)
	v_cmpx_ne_u32_e32 0x7f, v60
	s_cbranch_execz .LBB392_112
; %bb.109:                              ;   in Loop: Header=BB392_10 Depth=1
	v_and_b32_e32 v1, 7, v59
	v_lshrrev_b32_e32 v58, 3, v60
	s_mov_b32 s41, exec_lo
	v_cmpx_gt_u32_e32 8, v60
; %bb.110:                              ;   in Loop: Header=BB392_10 Depth=1
	s_delay_alu instid0(VALU_DEP_3) | instskip(NEXT) | instid1(VALU_DEP_1)
	v_clz_i32_u32_e32 v58, v1
	v_min_u32_e32 v58, 32, v58
	s_delay_alu instid0(VALU_DEP_1) | instskip(SKIP_1) | instid1(VALU_DEP_2)
	v_subrev_nc_u32_e32 v60, 28, v58
	v_sub_nc_u32_e32 v58, 29, v58
	v_lshlrev_b64 v[60:61], v60, v[1:2]
	s_delay_alu instid0(VALU_DEP_1)
	v_and_b32_e32 v1, 7, v60
; %bb.111:                              ;   in Loop: Header=BB392_10 Depth=1
	s_or_b32 exec_lo, exec_lo, s41
	v_lshlrev_b32_e32 v60, 24, v59
	s_delay_alu instid0(VALU_DEP_2) | instskip(SKIP_1) | instid1(VALU_DEP_3)
	v_lshlrev_b32_e32 v1, 20, v1
	v_lshl_add_u32 v58, v58, 23, 0x3c000000
	v_and_b32_e32 v60, 0x80000000, v60
	s_delay_alu instid0(VALU_DEP_1)
	v_or3_b32 v1, v1, v60, v58
.LBB392_112:                            ;   in Loop: Header=BB392_10 Depth=1
	s_or_b32 exec_lo, exec_lo, s40
.LBB392_113:                            ;   in Loop: Header=BB392_10 Depth=1
	s_delay_alu instid0(SALU_CYCLE_1)
	s_or_b32 exec_lo, exec_lo, s39
.LBB392_114:                            ;   in Loop: Header=BB392_10 Depth=1
	s_delay_alu instid0(SALU_CYCLE_1) | instskip(NEXT) | instid1(VALU_DEP_1)
	s_or_b32 exec_lo, exec_lo, s3
	v_mul_f32_e32 v1, s4, v1
	s_delay_alu instid0(VALU_DEP_1) | instskip(NEXT) | instid1(VALU_DEP_1)
	v_and_b32_e32 v58, 0x7f800000, v1
	v_cmp_ne_u32_e64 s1, 0x7f800000, v58
                                        ; implicit-def: $vgpr58
	s_delay_alu instid0(VALU_DEP_1) | instskip(NEXT) | instid1(SALU_CYCLE_1)
	s_and_saveexec_b32 s3, s1
	s_xor_b32 s1, exec_lo, s3
; %bb.115:                              ;   in Loop: Header=BB392_10 Depth=1
	v_bfe_u32 v58, v1, 16, 1
	s_delay_alu instid0(VALU_DEP_1)
	v_add3_u32 v58, v1, v58, 0x7fff
                                        ; implicit-def: $vgpr1
; %bb.116:                              ;   in Loop: Header=BB392_10 Depth=1
	s_and_not1_saveexec_b32 s3, s1
; %bb.117:                              ;   in Loop: Header=BB392_10 Depth=1
	v_and_b32_e32 v58, 0xffff, v1
	v_or_b32_e32 v60, 0x10000, v1
	s_delay_alu instid0(VALU_DEP_2) | instskip(NEXT) | instid1(VALU_DEP_1)
	v_cmp_eq_u32_e64 s1, 0, v58
	v_cndmask_b32_e64 v58, v60, v1, s1
; %bb.118:                              ;   in Loop: Header=BB392_10 Depth=1
	s_or_b32 exec_lo, exec_lo, s3
	v_lshrrev_b16 v60, 8, v59
	v_mov_b32_e32 v1, 0
	s_mov_b32 s3, exec_lo
	s_delay_alu instid0(VALU_DEP_2)
	v_cmpx_ne_u16_e32 0, v60
	s_cbranch_execz .LBB392_126
; %bb.119:                              ;   in Loop: Header=BB392_10 Depth=1
	v_bfrev_b32_e32 v1, 1
	s_mov_b32 s39, exec_lo
	v_cmpx_ne_u16_e32 0x80, v60
	s_cbranch_execz .LBB392_125
; %bb.120:                              ;   in Loop: Header=BB392_10 Depth=1
	v_and_b32_e32 v60, 0xffff, v60
	v_mov_b32_e32 v1, 0x7f800001
	s_mov_b32 s40, exec_lo
	s_delay_alu instid0(VALU_DEP_2) | instskip(NEXT) | instid1(VALU_DEP_1)
	v_and_b32_e32 v61, 0x7f, v60
	v_cmpx_ne_u32_e32 0x7f, v61
	s_cbranch_execz .LBB392_124
; %bb.121:                              ;   in Loop: Header=BB392_10 Depth=1
	v_and_b32_e32 v1, 7, v60
	v_lshrrev_b32_e32 v60, 3, v61
	s_mov_b32 s41, exec_lo
	v_cmpx_gt_u32_e32 8, v61
; %bb.122:                              ;   in Loop: Header=BB392_10 Depth=1
	s_delay_alu instid0(VALU_DEP_3) | instskip(NEXT) | instid1(VALU_DEP_1)
	v_clz_i32_u32_e32 v60, v1
	v_min_u32_e32 v60, 32, v60
	s_delay_alu instid0(VALU_DEP_1) | instskip(SKIP_1) | instid1(VALU_DEP_2)
	v_subrev_nc_u32_e32 v61, 28, v60
	v_sub_nc_u32_e32 v60, 29, v60
	v_lshlrev_b64 v[61:62], v61, v[1:2]
	s_delay_alu instid0(VALU_DEP_1)
	v_and_b32_e32 v1, 7, v61
; %bb.123:                              ;   in Loop: Header=BB392_10 Depth=1
	s_or_b32 exec_lo, exec_lo, s41
	v_lshlrev_b32_e32 v59, 16, v59
	s_delay_alu instid0(VALU_DEP_2) | instskip(SKIP_1) | instid1(VALU_DEP_3)
	v_lshlrev_b32_e32 v1, 20, v1
	v_lshl_add_u32 v60, v60, 23, 0x3c000000
	v_and_b32_e32 v59, 0x80000000, v59
	s_delay_alu instid0(VALU_DEP_1)
	v_or3_b32 v1, v1, v59, v60
.LBB392_124:                            ;   in Loop: Header=BB392_10 Depth=1
	s_or_b32 exec_lo, exec_lo, s40
.LBB392_125:                            ;   in Loop: Header=BB392_10 Depth=1
	s_delay_alu instid0(SALU_CYCLE_1)
	s_or_b32 exec_lo, exec_lo, s39
.LBB392_126:                            ;   in Loop: Header=BB392_10 Depth=1
	s_delay_alu instid0(SALU_CYCLE_1) | instskip(NEXT) | instid1(VALU_DEP_1)
	s_or_b32 exec_lo, exec_lo, s3
	v_mul_f32_e32 v1, s4, v1
	s_delay_alu instid0(VALU_DEP_1) | instskip(NEXT) | instid1(VALU_DEP_1)
	v_and_b32_e32 v59, 0x7f800000, v1
	v_cmp_ne_u32_e64 s1, 0x7f800000, v59
                                        ; implicit-def: $vgpr59
	s_delay_alu instid0(VALU_DEP_1) | instskip(NEXT) | instid1(SALU_CYCLE_1)
	s_and_saveexec_b32 s3, s1
	s_xor_b32 s1, exec_lo, s3
; %bb.127:                              ;   in Loop: Header=BB392_10 Depth=1
	v_bfe_u32 v59, v1, 16, 1
	s_delay_alu instid0(VALU_DEP_1)
	v_add3_u32 v59, v1, v59, 0x7fff
                                        ; implicit-def: $vgpr1
; %bb.128:                              ;   in Loop: Header=BB392_10 Depth=1
	s_and_not1_saveexec_b32 s3, s1
; %bb.129:                              ;   in Loop: Header=BB392_10 Depth=1
	v_and_b32_e32 v59, 0xffff, v1
	v_or_b32_e32 v60, 0x10000, v1
	s_delay_alu instid0(VALU_DEP_2) | instskip(NEXT) | instid1(VALU_DEP_1)
	v_cmp_eq_u32_e64 s1, 0, v59
	v_cndmask_b32_e64 v59, v60, v1, s1
; %bb.130:                              ;   in Loop: Header=BB392_10 Depth=1
	s_or_b32 exec_lo, exec_lo, s3
	global_load_u16 v1, v[7:8], off offset:264
	s_mov_b32 s3, exec_lo
	s_waitcnt vmcnt(0)
	v_and_b32_e32 v60, 0xff, v1
	v_and_b32_e32 v61, 0xffff, v1
	v_mov_b32_e32 v1, 0
	s_delay_alu instid0(VALU_DEP_3)
	v_cmpx_ne_u16_e32 0, v60
	s_cbranch_execz .LBB392_138
; %bb.131:                              ;   in Loop: Header=BB392_10 Depth=1
	s_delay_alu instid0(VALU_DEP_3) | instskip(NEXT) | instid1(VALU_DEP_1)
	v_and_b32_e32 v1, 0xff, v61
	v_cmp_ne_u16_e64 s1, 0x80, v1
	v_bfrev_b32_e32 v1, 1
	s_delay_alu instid0(VALU_DEP_2)
	s_and_saveexec_b32 s39, s1
	s_cbranch_execz .LBB392_137
; %bb.132:                              ;   in Loop: Header=BB392_10 Depth=1
	v_and_b32_e32 v62, 0x7f, v61
	v_mov_b32_e32 v1, 0x7f800001
	s_mov_b32 s40, exec_lo
	s_delay_alu instid0(VALU_DEP_2)
	v_cmpx_ne_u32_e32 0x7f, v62
	s_cbranch_execz .LBB392_136
; %bb.133:                              ;   in Loop: Header=BB392_10 Depth=1
	v_and_b32_e32 v1, 7, v61
	v_lshrrev_b32_e32 v60, 3, v62
	s_mov_b32 s41, exec_lo
	v_cmpx_gt_u32_e32 8, v62
; %bb.134:                              ;   in Loop: Header=BB392_10 Depth=1
	s_delay_alu instid0(VALU_DEP_3) | instskip(NEXT) | instid1(VALU_DEP_1)
	v_clz_i32_u32_e32 v60, v1
	v_min_u32_e32 v60, 32, v60
	s_delay_alu instid0(VALU_DEP_1) | instskip(SKIP_1) | instid1(VALU_DEP_2)
	v_subrev_nc_u32_e32 v62, 28, v60
	v_sub_nc_u32_e32 v60, 29, v60
	v_lshlrev_b64 v[62:63], v62, v[1:2]
	s_delay_alu instid0(VALU_DEP_1)
	v_and_b32_e32 v1, 7, v62
; %bb.135:                              ;   in Loop: Header=BB392_10 Depth=1
	s_or_b32 exec_lo, exec_lo, s41
	v_lshlrev_b32_e32 v62, 24, v61
	s_delay_alu instid0(VALU_DEP_2) | instskip(SKIP_1) | instid1(VALU_DEP_3)
	v_lshlrev_b32_e32 v1, 20, v1
	v_lshl_add_u32 v60, v60, 23, 0x3c000000
	v_and_b32_e32 v62, 0x80000000, v62
	s_delay_alu instid0(VALU_DEP_1)
	v_or3_b32 v1, v1, v62, v60
.LBB392_136:                            ;   in Loop: Header=BB392_10 Depth=1
	s_or_b32 exec_lo, exec_lo, s40
.LBB392_137:                            ;   in Loop: Header=BB392_10 Depth=1
	s_delay_alu instid0(SALU_CYCLE_1)
	s_or_b32 exec_lo, exec_lo, s39
.LBB392_138:                            ;   in Loop: Header=BB392_10 Depth=1
	s_delay_alu instid0(SALU_CYCLE_1) | instskip(NEXT) | instid1(VALU_DEP_1)
	s_or_b32 exec_lo, exec_lo, s3
	v_mul_f32_e32 v1, s4, v1
	s_delay_alu instid0(VALU_DEP_1) | instskip(NEXT) | instid1(VALU_DEP_1)
	v_and_b32_e32 v60, 0x7f800000, v1
	v_cmp_ne_u32_e64 s1, 0x7f800000, v60
                                        ; implicit-def: $vgpr60
	s_delay_alu instid0(VALU_DEP_1) | instskip(NEXT) | instid1(SALU_CYCLE_1)
	s_and_saveexec_b32 s3, s1
	s_xor_b32 s1, exec_lo, s3
; %bb.139:                              ;   in Loop: Header=BB392_10 Depth=1
	v_bfe_u32 v60, v1, 16, 1
	s_delay_alu instid0(VALU_DEP_1)
	v_add3_u32 v60, v1, v60, 0x7fff
                                        ; implicit-def: $vgpr1
; %bb.140:                              ;   in Loop: Header=BB392_10 Depth=1
	s_and_not1_saveexec_b32 s3, s1
; %bb.141:                              ;   in Loop: Header=BB392_10 Depth=1
	v_and_b32_e32 v60, 0xffff, v1
	v_or_b32_e32 v62, 0x10000, v1
	s_delay_alu instid0(VALU_DEP_2) | instskip(NEXT) | instid1(VALU_DEP_1)
	v_cmp_eq_u32_e64 s1, 0, v60
	v_cndmask_b32_e64 v60, v62, v1, s1
; %bb.142:                              ;   in Loop: Header=BB392_10 Depth=1
	s_or_b32 exec_lo, exec_lo, s3
	v_lshrrev_b16 v62, 8, v61
	v_mov_b32_e32 v1, 0
	s_mov_b32 s3, exec_lo
	s_delay_alu instid0(VALU_DEP_2)
	v_cmpx_ne_u16_e32 0, v62
	s_cbranch_execz .LBB392_150
; %bb.143:                              ;   in Loop: Header=BB392_10 Depth=1
	v_bfrev_b32_e32 v1, 1
	s_mov_b32 s39, exec_lo
	v_cmpx_ne_u16_e32 0x80, v62
	s_cbranch_execz .LBB392_149
; %bb.144:                              ;   in Loop: Header=BB392_10 Depth=1
	v_and_b32_e32 v62, 0xffff, v62
	v_mov_b32_e32 v1, 0x7f800001
	s_mov_b32 s40, exec_lo
	s_delay_alu instid0(VALU_DEP_2) | instskip(NEXT) | instid1(VALU_DEP_1)
	v_and_b32_e32 v63, 0x7f, v62
	v_cmpx_ne_u32_e32 0x7f, v63
	s_cbranch_execz .LBB392_148
; %bb.145:                              ;   in Loop: Header=BB392_10 Depth=1
	v_and_b32_e32 v1, 7, v62
	v_lshrrev_b32_e32 v62, 3, v63
	s_mov_b32 s41, exec_lo
	v_cmpx_gt_u32_e32 8, v63
; %bb.146:                              ;   in Loop: Header=BB392_10 Depth=1
	s_delay_alu instid0(VALU_DEP_3) | instskip(NEXT) | instid1(VALU_DEP_1)
	v_clz_i32_u32_e32 v62, v1
	v_min_u32_e32 v62, 32, v62
	s_delay_alu instid0(VALU_DEP_1) | instskip(SKIP_1) | instid1(VALU_DEP_2)
	v_subrev_nc_u32_e32 v63, 28, v62
	v_sub_nc_u32_e32 v62, 29, v62
	v_lshlrev_b64 v[63:64], v63, v[1:2]
	s_delay_alu instid0(VALU_DEP_1)
	v_and_b32_e32 v1, 7, v63
; %bb.147:                              ;   in Loop: Header=BB392_10 Depth=1
	s_or_b32 exec_lo, exec_lo, s41
	v_lshlrev_b32_e32 v61, 16, v61
	s_delay_alu instid0(VALU_DEP_2) | instskip(SKIP_1) | instid1(VALU_DEP_3)
	v_lshlrev_b32_e32 v1, 20, v1
	v_lshl_add_u32 v62, v62, 23, 0x3c000000
	v_and_b32_e32 v61, 0x80000000, v61
	s_delay_alu instid0(VALU_DEP_1)
	v_or3_b32 v1, v1, v61, v62
.LBB392_148:                            ;   in Loop: Header=BB392_10 Depth=1
	s_or_b32 exec_lo, exec_lo, s40
.LBB392_149:                            ;   in Loop: Header=BB392_10 Depth=1
	s_delay_alu instid0(SALU_CYCLE_1)
	s_or_b32 exec_lo, exec_lo, s39
.LBB392_150:                            ;   in Loop: Header=BB392_10 Depth=1
	s_delay_alu instid0(SALU_CYCLE_1) | instskip(NEXT) | instid1(VALU_DEP_1)
	s_or_b32 exec_lo, exec_lo, s3
	v_mul_f32_e32 v1, s4, v1
	s_delay_alu instid0(VALU_DEP_1) | instskip(NEXT) | instid1(VALU_DEP_1)
	v_and_b32_e32 v61, 0x7f800000, v1
	v_cmp_ne_u32_e64 s1, 0x7f800000, v61
                                        ; implicit-def: $vgpr61
	s_delay_alu instid0(VALU_DEP_1) | instskip(NEXT) | instid1(SALU_CYCLE_1)
	s_and_saveexec_b32 s3, s1
	s_xor_b32 s1, exec_lo, s3
; %bb.151:                              ;   in Loop: Header=BB392_10 Depth=1
	v_bfe_u32 v61, v1, 16, 1
	s_delay_alu instid0(VALU_DEP_1)
	v_add3_u32 v61, v1, v61, 0x7fff
                                        ; implicit-def: $vgpr1
; %bb.152:                              ;   in Loop: Header=BB392_10 Depth=1
	s_and_not1_saveexec_b32 s3, s1
; %bb.153:                              ;   in Loop: Header=BB392_10 Depth=1
	v_and_b32_e32 v61, 0xffff, v1
	v_or_b32_e32 v62, 0x10000, v1
	s_delay_alu instid0(VALU_DEP_2) | instskip(NEXT) | instid1(VALU_DEP_1)
	v_cmp_eq_u32_e64 s1, 0, v61
	v_cndmask_b32_e64 v61, v62, v1, s1
; %bb.154:                              ;   in Loop: Header=BB392_10 Depth=1
	s_or_b32 exec_lo, exec_lo, s3
	global_load_u16 v1, v[7:8], off offset:384
	s_mov_b32 s3, exec_lo
	s_waitcnt vmcnt(0)
	v_and_b32_e32 v62, 0xff, v1
	v_and_b32_e32 v63, 0xffff, v1
	v_mov_b32_e32 v1, 0
	s_delay_alu instid0(VALU_DEP_3)
	v_cmpx_ne_u16_e32 0, v62
	s_cbranch_execz .LBB392_162
; %bb.155:                              ;   in Loop: Header=BB392_10 Depth=1
	s_delay_alu instid0(VALU_DEP_3) | instskip(NEXT) | instid1(VALU_DEP_1)
	v_and_b32_e32 v1, 0xff, v63
	v_cmp_ne_u16_e64 s1, 0x80, v1
	v_bfrev_b32_e32 v1, 1
	s_delay_alu instid0(VALU_DEP_2)
	s_and_saveexec_b32 s39, s1
	s_cbranch_execz .LBB392_161
; %bb.156:                              ;   in Loop: Header=BB392_10 Depth=1
	v_and_b32_e32 v64, 0x7f, v63
	v_mov_b32_e32 v1, 0x7f800001
	s_mov_b32 s40, exec_lo
	s_delay_alu instid0(VALU_DEP_2)
	v_cmpx_ne_u32_e32 0x7f, v64
	s_cbranch_execz .LBB392_160
; %bb.157:                              ;   in Loop: Header=BB392_10 Depth=1
	v_and_b32_e32 v1, 7, v63
	v_lshrrev_b32_e32 v62, 3, v64
	s_mov_b32 s41, exec_lo
	v_cmpx_gt_u32_e32 8, v64
; %bb.158:                              ;   in Loop: Header=BB392_10 Depth=1
	s_delay_alu instid0(VALU_DEP_3) | instskip(NEXT) | instid1(VALU_DEP_1)
	v_clz_i32_u32_e32 v62, v1
	v_min_u32_e32 v62, 32, v62
	s_delay_alu instid0(VALU_DEP_1) | instskip(SKIP_1) | instid1(VALU_DEP_2)
	v_subrev_nc_u32_e32 v64, 28, v62
	v_sub_nc_u32_e32 v62, 29, v62
	v_lshlrev_b64 v[64:65], v64, v[1:2]
	s_delay_alu instid0(VALU_DEP_1)
	v_and_b32_e32 v1, 7, v64
; %bb.159:                              ;   in Loop: Header=BB392_10 Depth=1
	s_or_b32 exec_lo, exec_lo, s41
	v_lshlrev_b32_e32 v64, 24, v63
	s_delay_alu instid0(VALU_DEP_2) | instskip(SKIP_1) | instid1(VALU_DEP_3)
	v_lshlrev_b32_e32 v1, 20, v1
	v_lshl_add_u32 v62, v62, 23, 0x3c000000
	v_and_b32_e32 v64, 0x80000000, v64
	s_delay_alu instid0(VALU_DEP_1)
	v_or3_b32 v1, v1, v64, v62
.LBB392_160:                            ;   in Loop: Header=BB392_10 Depth=1
	s_or_b32 exec_lo, exec_lo, s40
.LBB392_161:                            ;   in Loop: Header=BB392_10 Depth=1
	s_delay_alu instid0(SALU_CYCLE_1)
	s_or_b32 exec_lo, exec_lo, s39
.LBB392_162:                            ;   in Loop: Header=BB392_10 Depth=1
	s_delay_alu instid0(SALU_CYCLE_1) | instskip(NEXT) | instid1(VALU_DEP_1)
	s_or_b32 exec_lo, exec_lo, s3
	v_mul_f32_e32 v1, s4, v1
	s_delay_alu instid0(VALU_DEP_1) | instskip(NEXT) | instid1(VALU_DEP_1)
	v_and_b32_e32 v62, 0x7f800000, v1
	v_cmp_ne_u32_e64 s1, 0x7f800000, v62
                                        ; implicit-def: $vgpr62
	s_delay_alu instid0(VALU_DEP_1) | instskip(NEXT) | instid1(SALU_CYCLE_1)
	s_and_saveexec_b32 s3, s1
	s_xor_b32 s1, exec_lo, s3
; %bb.163:                              ;   in Loop: Header=BB392_10 Depth=1
	v_bfe_u32 v62, v1, 16, 1
	s_delay_alu instid0(VALU_DEP_1)
	v_add3_u32 v62, v1, v62, 0x7fff
                                        ; implicit-def: $vgpr1
; %bb.164:                              ;   in Loop: Header=BB392_10 Depth=1
	s_and_not1_saveexec_b32 s3, s1
; %bb.165:                              ;   in Loop: Header=BB392_10 Depth=1
	v_and_b32_e32 v62, 0xffff, v1
	v_or_b32_e32 v64, 0x10000, v1
	s_delay_alu instid0(VALU_DEP_2) | instskip(NEXT) | instid1(VALU_DEP_1)
	v_cmp_eq_u32_e64 s1, 0, v62
	v_cndmask_b32_e64 v62, v64, v1, s1
; %bb.166:                              ;   in Loop: Header=BB392_10 Depth=1
	s_or_b32 exec_lo, exec_lo, s3
	v_lshrrev_b16 v64, 8, v63
	v_mov_b32_e32 v1, 0
	s_mov_b32 s3, exec_lo
	s_delay_alu instid0(VALU_DEP_2)
	v_cmpx_ne_u16_e32 0, v64
	s_cbranch_execz .LBB392_174
; %bb.167:                              ;   in Loop: Header=BB392_10 Depth=1
	v_bfrev_b32_e32 v1, 1
	s_mov_b32 s39, exec_lo
	v_cmpx_ne_u16_e32 0x80, v64
	s_cbranch_execz .LBB392_173
; %bb.168:                              ;   in Loop: Header=BB392_10 Depth=1
	v_and_b32_e32 v64, 0xffff, v64
	v_mov_b32_e32 v1, 0x7f800001
	s_mov_b32 s40, exec_lo
	s_delay_alu instid0(VALU_DEP_2) | instskip(NEXT) | instid1(VALU_DEP_1)
	v_and_b32_e32 v65, 0x7f, v64
	v_cmpx_ne_u32_e32 0x7f, v65
	s_cbranch_execz .LBB392_172
; %bb.169:                              ;   in Loop: Header=BB392_10 Depth=1
	v_and_b32_e32 v1, 7, v64
	v_lshrrev_b32_e32 v64, 3, v65
	s_mov_b32 s41, exec_lo
	v_cmpx_gt_u32_e32 8, v65
; %bb.170:                              ;   in Loop: Header=BB392_10 Depth=1
	s_delay_alu instid0(VALU_DEP_3) | instskip(NEXT) | instid1(VALU_DEP_1)
	v_clz_i32_u32_e32 v64, v1
	v_min_u32_e32 v64, 32, v64
	s_delay_alu instid0(VALU_DEP_1) | instskip(SKIP_1) | instid1(VALU_DEP_2)
	v_subrev_nc_u32_e32 v65, 28, v64
	v_sub_nc_u32_e32 v64, 29, v64
	v_lshlrev_b64 v[65:66], v65, v[1:2]
	s_delay_alu instid0(VALU_DEP_1)
	v_and_b32_e32 v1, 7, v65
; %bb.171:                              ;   in Loop: Header=BB392_10 Depth=1
	s_or_b32 exec_lo, exec_lo, s41
	v_lshlrev_b32_e32 v63, 16, v63
	s_delay_alu instid0(VALU_DEP_2) | instskip(SKIP_1) | instid1(VALU_DEP_3)
	v_lshlrev_b32_e32 v1, 20, v1
	v_lshl_add_u32 v64, v64, 23, 0x3c000000
	v_and_b32_e32 v63, 0x80000000, v63
	s_delay_alu instid0(VALU_DEP_1)
	v_or3_b32 v1, v1, v63, v64
.LBB392_172:                            ;   in Loop: Header=BB392_10 Depth=1
	s_or_b32 exec_lo, exec_lo, s40
.LBB392_173:                            ;   in Loop: Header=BB392_10 Depth=1
	s_delay_alu instid0(SALU_CYCLE_1)
	s_or_b32 exec_lo, exec_lo, s39
.LBB392_174:                            ;   in Loop: Header=BB392_10 Depth=1
	s_delay_alu instid0(SALU_CYCLE_1) | instskip(NEXT) | instid1(VALU_DEP_1)
	s_or_b32 exec_lo, exec_lo, s3
	v_mul_f32_e32 v1, s4, v1
	s_delay_alu instid0(VALU_DEP_1) | instskip(NEXT) | instid1(VALU_DEP_1)
	v_and_b32_e32 v63, 0x7f800000, v1
	v_cmp_ne_u32_e64 s1, 0x7f800000, v63
                                        ; implicit-def: $vgpr63
	s_delay_alu instid0(VALU_DEP_1) | instskip(NEXT) | instid1(SALU_CYCLE_1)
	s_and_saveexec_b32 s3, s1
	s_xor_b32 s1, exec_lo, s3
; %bb.175:                              ;   in Loop: Header=BB392_10 Depth=1
	v_bfe_u32 v63, v1, 16, 1
	s_delay_alu instid0(VALU_DEP_1)
	v_add3_u32 v63, v1, v63, 0x7fff
                                        ; implicit-def: $vgpr1
; %bb.176:                              ;   in Loop: Header=BB392_10 Depth=1
	s_and_not1_saveexec_b32 s3, s1
; %bb.177:                              ;   in Loop: Header=BB392_10 Depth=1
	v_and_b32_e32 v63, 0xffff, v1
	v_or_b32_e32 v64, 0x10000, v1
	s_delay_alu instid0(VALU_DEP_2) | instskip(NEXT) | instid1(VALU_DEP_1)
	v_cmp_eq_u32_e64 s1, 0, v63
	v_cndmask_b32_e64 v63, v64, v1, s1
; %bb.178:                              ;   in Loop: Header=BB392_10 Depth=1
	s_or_b32 exec_lo, exec_lo, s3
	global_load_u16 v1, v[7:8], off offset:392
	s_mov_b32 s3, exec_lo
	s_waitcnt vmcnt(0)
	v_and_b32_e32 v64, 0xff, v1
	v_and_b32_e32 v65, 0xffff, v1
	v_mov_b32_e32 v1, 0
	s_delay_alu instid0(VALU_DEP_3)
	v_cmpx_ne_u16_e32 0, v64
	s_cbranch_execz .LBB392_186
; %bb.179:                              ;   in Loop: Header=BB392_10 Depth=1
	s_delay_alu instid0(VALU_DEP_3) | instskip(NEXT) | instid1(VALU_DEP_1)
	v_and_b32_e32 v1, 0xff, v65
	v_cmp_ne_u16_e64 s1, 0x80, v1
	v_bfrev_b32_e32 v1, 1
	s_delay_alu instid0(VALU_DEP_2)
	s_and_saveexec_b32 s39, s1
	s_cbranch_execz .LBB392_185
; %bb.180:                              ;   in Loop: Header=BB392_10 Depth=1
	v_and_b32_e32 v66, 0x7f, v65
	v_mov_b32_e32 v1, 0x7f800001
	s_mov_b32 s40, exec_lo
	s_delay_alu instid0(VALU_DEP_2)
	v_cmpx_ne_u32_e32 0x7f, v66
	s_cbranch_execz .LBB392_184
; %bb.181:                              ;   in Loop: Header=BB392_10 Depth=1
	v_and_b32_e32 v1, 7, v65
	v_lshrrev_b32_e32 v64, 3, v66
	s_mov_b32 s41, exec_lo
	v_cmpx_gt_u32_e32 8, v66
; %bb.182:                              ;   in Loop: Header=BB392_10 Depth=1
	s_delay_alu instid0(VALU_DEP_3) | instskip(NEXT) | instid1(VALU_DEP_1)
	v_clz_i32_u32_e32 v64, v1
	v_min_u32_e32 v64, 32, v64
	s_delay_alu instid0(VALU_DEP_1) | instskip(SKIP_1) | instid1(VALU_DEP_2)
	v_subrev_nc_u32_e32 v66, 28, v64
	v_sub_nc_u32_e32 v64, 29, v64
	v_lshlrev_b64 v[66:67], v66, v[1:2]
	s_delay_alu instid0(VALU_DEP_1)
	v_and_b32_e32 v1, 7, v66
; %bb.183:                              ;   in Loop: Header=BB392_10 Depth=1
	s_or_b32 exec_lo, exec_lo, s41
	v_lshlrev_b32_e32 v66, 24, v65
	s_delay_alu instid0(VALU_DEP_2) | instskip(SKIP_1) | instid1(VALU_DEP_3)
	v_lshlrev_b32_e32 v1, 20, v1
	v_lshl_add_u32 v64, v64, 23, 0x3c000000
	v_and_b32_e32 v66, 0x80000000, v66
	s_delay_alu instid0(VALU_DEP_1)
	v_or3_b32 v1, v1, v66, v64
.LBB392_184:                            ;   in Loop: Header=BB392_10 Depth=1
	s_or_b32 exec_lo, exec_lo, s40
.LBB392_185:                            ;   in Loop: Header=BB392_10 Depth=1
	s_delay_alu instid0(SALU_CYCLE_1)
	s_or_b32 exec_lo, exec_lo, s39
.LBB392_186:                            ;   in Loop: Header=BB392_10 Depth=1
	s_delay_alu instid0(SALU_CYCLE_1) | instskip(NEXT) | instid1(VALU_DEP_1)
	s_or_b32 exec_lo, exec_lo, s3
	v_mul_f32_e32 v1, s4, v1
	s_delay_alu instid0(VALU_DEP_1) | instskip(NEXT) | instid1(VALU_DEP_1)
	v_and_b32_e32 v64, 0x7f800000, v1
	v_cmp_ne_u32_e64 s1, 0x7f800000, v64
                                        ; implicit-def: $vgpr64
	s_delay_alu instid0(VALU_DEP_1) | instskip(NEXT) | instid1(SALU_CYCLE_1)
	s_and_saveexec_b32 s3, s1
	s_xor_b32 s1, exec_lo, s3
; %bb.187:                              ;   in Loop: Header=BB392_10 Depth=1
	v_bfe_u32 v64, v1, 16, 1
	s_delay_alu instid0(VALU_DEP_1)
	v_add3_u32 v64, v1, v64, 0x7fff
                                        ; implicit-def: $vgpr1
; %bb.188:                              ;   in Loop: Header=BB392_10 Depth=1
	s_and_not1_saveexec_b32 s3, s1
; %bb.189:                              ;   in Loop: Header=BB392_10 Depth=1
	v_and_b32_e32 v64, 0xffff, v1
	v_or_b32_e32 v66, 0x10000, v1
	s_delay_alu instid0(VALU_DEP_2) | instskip(NEXT) | instid1(VALU_DEP_1)
	v_cmp_eq_u32_e64 s1, 0, v64
	v_cndmask_b32_e64 v64, v66, v1, s1
; %bb.190:                              ;   in Loop: Header=BB392_10 Depth=1
	s_or_b32 exec_lo, exec_lo, s3
	v_lshrrev_b16 v66, 8, v65
	v_mov_b32_e32 v1, 0
	s_mov_b32 s3, exec_lo
	s_delay_alu instid0(VALU_DEP_2)
	v_cmpx_ne_u16_e32 0, v66
	s_cbranch_execz .LBB392_198
; %bb.191:                              ;   in Loop: Header=BB392_10 Depth=1
	v_bfrev_b32_e32 v1, 1
	s_mov_b32 s39, exec_lo
	v_cmpx_ne_u16_e32 0x80, v66
	s_cbranch_execz .LBB392_197
; %bb.192:                              ;   in Loop: Header=BB392_10 Depth=1
	v_and_b32_e32 v66, 0xffff, v66
	v_mov_b32_e32 v1, 0x7f800001
	s_mov_b32 s40, exec_lo
	s_delay_alu instid0(VALU_DEP_2) | instskip(NEXT) | instid1(VALU_DEP_1)
	v_and_b32_e32 v67, 0x7f, v66
	v_cmpx_ne_u32_e32 0x7f, v67
	s_cbranch_execz .LBB392_196
; %bb.193:                              ;   in Loop: Header=BB392_10 Depth=1
	v_and_b32_e32 v1, 7, v66
	v_lshrrev_b32_e32 v66, 3, v67
	s_mov_b32 s41, exec_lo
	v_cmpx_gt_u32_e32 8, v67
; %bb.194:                              ;   in Loop: Header=BB392_10 Depth=1
	s_delay_alu instid0(VALU_DEP_3) | instskip(NEXT) | instid1(VALU_DEP_1)
	v_clz_i32_u32_e32 v66, v1
	v_min_u32_e32 v66, 32, v66
	s_delay_alu instid0(VALU_DEP_1) | instskip(SKIP_1) | instid1(VALU_DEP_2)
	v_subrev_nc_u32_e32 v67, 28, v66
	v_sub_nc_u32_e32 v66, 29, v66
	v_lshlrev_b64 v[67:68], v67, v[1:2]
	s_delay_alu instid0(VALU_DEP_1)
	v_and_b32_e32 v1, 7, v67
; %bb.195:                              ;   in Loop: Header=BB392_10 Depth=1
	s_or_b32 exec_lo, exec_lo, s41
	v_lshlrev_b32_e32 v65, 16, v65
	s_delay_alu instid0(VALU_DEP_2) | instskip(SKIP_1) | instid1(VALU_DEP_3)
	v_lshlrev_b32_e32 v1, 20, v1
	v_lshl_add_u32 v66, v66, 23, 0x3c000000
	v_and_b32_e32 v65, 0x80000000, v65
	s_delay_alu instid0(VALU_DEP_1)
	v_or3_b32 v1, v1, v65, v66
.LBB392_196:                            ;   in Loop: Header=BB392_10 Depth=1
	s_or_b32 exec_lo, exec_lo, s40
.LBB392_197:                            ;   in Loop: Header=BB392_10 Depth=1
	s_delay_alu instid0(SALU_CYCLE_1)
	s_or_b32 exec_lo, exec_lo, s39
.LBB392_198:                            ;   in Loop: Header=BB392_10 Depth=1
	s_delay_alu instid0(SALU_CYCLE_1) | instskip(NEXT) | instid1(VALU_DEP_1)
	s_or_b32 exec_lo, exec_lo, s3
	v_mul_f32_e32 v1, s4, v1
	s_delay_alu instid0(VALU_DEP_1) | instskip(NEXT) | instid1(VALU_DEP_1)
	v_and_b32_e32 v65, 0x7f800000, v1
	v_cmp_ne_u32_e64 s1, 0x7f800000, v65
                                        ; implicit-def: $vgpr65
	s_delay_alu instid0(VALU_DEP_1) | instskip(NEXT) | instid1(SALU_CYCLE_1)
	s_and_saveexec_b32 s3, s1
	s_xor_b32 s1, exec_lo, s3
; %bb.199:                              ;   in Loop: Header=BB392_10 Depth=1
	v_bfe_u32 v65, v1, 16, 1
	s_delay_alu instid0(VALU_DEP_1)
	v_add3_u32 v65, v1, v65, 0x7fff
                                        ; implicit-def: $vgpr1
; %bb.200:                              ;   in Loop: Header=BB392_10 Depth=1
	s_and_not1_saveexec_b32 s3, s1
; %bb.201:                              ;   in Loop: Header=BB392_10 Depth=1
	v_and_b32_e32 v65, 0xffff, v1
	v_or_b32_e32 v66, 0x10000, v1
	s_delay_alu instid0(VALU_DEP_2) | instskip(NEXT) | instid1(VALU_DEP_1)
	v_cmp_eq_u32_e64 s1, 0, v65
	v_cndmask_b32_e64 v65, v66, v1, s1
; %bb.202:                              ;   in Loop: Header=BB392_10 Depth=1
	s_or_b32 exec_lo, exec_lo, s3
	global_load_u16 v1, v[7:8], off offset:512
	s_mov_b32 s3, exec_lo
	s_waitcnt vmcnt(0)
	v_and_b32_e32 v66, 0xff, v1
	v_and_b32_e32 v67, 0xffff, v1
	v_mov_b32_e32 v1, 0
	s_delay_alu instid0(VALU_DEP_3)
	v_cmpx_ne_u16_e32 0, v66
	s_cbranch_execz .LBB392_210
; %bb.203:                              ;   in Loop: Header=BB392_10 Depth=1
	s_delay_alu instid0(VALU_DEP_3) | instskip(NEXT) | instid1(VALU_DEP_1)
	v_and_b32_e32 v1, 0xff, v67
	v_cmp_ne_u16_e64 s1, 0x80, v1
	v_bfrev_b32_e32 v1, 1
	s_delay_alu instid0(VALU_DEP_2)
	s_and_saveexec_b32 s39, s1
	s_cbranch_execz .LBB392_209
; %bb.204:                              ;   in Loop: Header=BB392_10 Depth=1
	v_and_b32_e32 v68, 0x7f, v67
	v_mov_b32_e32 v1, 0x7f800001
	s_mov_b32 s40, exec_lo
	s_delay_alu instid0(VALU_DEP_2)
	v_cmpx_ne_u32_e32 0x7f, v68
	s_cbranch_execz .LBB392_208
; %bb.205:                              ;   in Loop: Header=BB392_10 Depth=1
	v_and_b32_e32 v1, 7, v67
	v_lshrrev_b32_e32 v66, 3, v68
	s_mov_b32 s41, exec_lo
	v_cmpx_gt_u32_e32 8, v68
; %bb.206:                              ;   in Loop: Header=BB392_10 Depth=1
	s_delay_alu instid0(VALU_DEP_3) | instskip(NEXT) | instid1(VALU_DEP_1)
	v_clz_i32_u32_e32 v66, v1
	v_min_u32_e32 v66, 32, v66
	s_delay_alu instid0(VALU_DEP_1) | instskip(SKIP_1) | instid1(VALU_DEP_2)
	v_subrev_nc_u32_e32 v68, 28, v66
	v_sub_nc_u32_e32 v66, 29, v66
	v_lshlrev_b64 v[68:69], v68, v[1:2]
	s_delay_alu instid0(VALU_DEP_1)
	v_and_b32_e32 v1, 7, v68
; %bb.207:                              ;   in Loop: Header=BB392_10 Depth=1
	s_or_b32 exec_lo, exec_lo, s41
	v_lshlrev_b32_e32 v68, 24, v67
	s_delay_alu instid0(VALU_DEP_2) | instskip(SKIP_1) | instid1(VALU_DEP_3)
	v_lshlrev_b32_e32 v1, 20, v1
	v_lshl_add_u32 v66, v66, 23, 0x3c000000
	v_and_b32_e32 v68, 0x80000000, v68
	s_delay_alu instid0(VALU_DEP_1)
	v_or3_b32 v1, v1, v68, v66
.LBB392_208:                            ;   in Loop: Header=BB392_10 Depth=1
	s_or_b32 exec_lo, exec_lo, s40
.LBB392_209:                            ;   in Loop: Header=BB392_10 Depth=1
	s_delay_alu instid0(SALU_CYCLE_1)
	s_or_b32 exec_lo, exec_lo, s39
.LBB392_210:                            ;   in Loop: Header=BB392_10 Depth=1
	s_delay_alu instid0(SALU_CYCLE_1) | instskip(NEXT) | instid1(VALU_DEP_1)
	s_or_b32 exec_lo, exec_lo, s3
	v_mul_f32_e32 v1, s4, v1
	s_delay_alu instid0(VALU_DEP_1) | instskip(NEXT) | instid1(VALU_DEP_1)
	v_and_b32_e32 v66, 0x7f800000, v1
	v_cmp_ne_u32_e64 s1, 0x7f800000, v66
                                        ; implicit-def: $vgpr66
	s_delay_alu instid0(VALU_DEP_1) | instskip(NEXT) | instid1(SALU_CYCLE_1)
	s_and_saveexec_b32 s3, s1
	s_xor_b32 s1, exec_lo, s3
; %bb.211:                              ;   in Loop: Header=BB392_10 Depth=1
	v_bfe_u32 v66, v1, 16, 1
	s_delay_alu instid0(VALU_DEP_1)
	v_add3_u32 v66, v1, v66, 0x7fff
                                        ; implicit-def: $vgpr1
; %bb.212:                              ;   in Loop: Header=BB392_10 Depth=1
	s_and_not1_saveexec_b32 s3, s1
; %bb.213:                              ;   in Loop: Header=BB392_10 Depth=1
	v_and_b32_e32 v66, 0xffff, v1
	v_or_b32_e32 v68, 0x10000, v1
	s_delay_alu instid0(VALU_DEP_2) | instskip(NEXT) | instid1(VALU_DEP_1)
	v_cmp_eq_u32_e64 s1, 0, v66
	v_cndmask_b32_e64 v66, v68, v1, s1
; %bb.214:                              ;   in Loop: Header=BB392_10 Depth=1
	s_or_b32 exec_lo, exec_lo, s3
	v_lshrrev_b16 v68, 8, v67
	v_mov_b32_e32 v1, 0
	s_mov_b32 s3, exec_lo
	s_delay_alu instid0(VALU_DEP_2)
	v_cmpx_ne_u16_e32 0, v68
	s_cbranch_execz .LBB392_222
; %bb.215:                              ;   in Loop: Header=BB392_10 Depth=1
	v_bfrev_b32_e32 v1, 1
	s_mov_b32 s39, exec_lo
	v_cmpx_ne_u16_e32 0x80, v68
	s_cbranch_execz .LBB392_221
; %bb.216:                              ;   in Loop: Header=BB392_10 Depth=1
	v_and_b32_e32 v68, 0xffff, v68
	v_mov_b32_e32 v1, 0x7f800001
	s_mov_b32 s40, exec_lo
	s_delay_alu instid0(VALU_DEP_2) | instskip(NEXT) | instid1(VALU_DEP_1)
	v_and_b32_e32 v69, 0x7f, v68
	v_cmpx_ne_u32_e32 0x7f, v69
	s_cbranch_execz .LBB392_220
; %bb.217:                              ;   in Loop: Header=BB392_10 Depth=1
	v_and_b32_e32 v1, 7, v68
	v_lshrrev_b32_e32 v68, 3, v69
	s_mov_b32 s41, exec_lo
	v_cmpx_gt_u32_e32 8, v69
; %bb.218:                              ;   in Loop: Header=BB392_10 Depth=1
	s_delay_alu instid0(VALU_DEP_3) | instskip(NEXT) | instid1(VALU_DEP_1)
	v_clz_i32_u32_e32 v68, v1
	v_min_u32_e32 v68, 32, v68
	s_delay_alu instid0(VALU_DEP_1) | instskip(SKIP_1) | instid1(VALU_DEP_2)
	v_subrev_nc_u32_e32 v69, 28, v68
	v_sub_nc_u32_e32 v68, 29, v68
	v_lshlrev_b64 v[69:70], v69, v[1:2]
	s_delay_alu instid0(VALU_DEP_1)
	v_and_b32_e32 v1, 7, v69
; %bb.219:                              ;   in Loop: Header=BB392_10 Depth=1
	s_or_b32 exec_lo, exec_lo, s41
	v_lshlrev_b32_e32 v67, 16, v67
	s_delay_alu instid0(VALU_DEP_2) | instskip(SKIP_1) | instid1(VALU_DEP_3)
	v_lshlrev_b32_e32 v1, 20, v1
	v_lshl_add_u32 v68, v68, 23, 0x3c000000
	v_and_b32_e32 v67, 0x80000000, v67
	s_delay_alu instid0(VALU_DEP_1)
	v_or3_b32 v1, v1, v67, v68
.LBB392_220:                            ;   in Loop: Header=BB392_10 Depth=1
	s_or_b32 exec_lo, exec_lo, s40
.LBB392_221:                            ;   in Loop: Header=BB392_10 Depth=1
	s_delay_alu instid0(SALU_CYCLE_1)
	s_or_b32 exec_lo, exec_lo, s39
.LBB392_222:                            ;   in Loop: Header=BB392_10 Depth=1
	s_delay_alu instid0(SALU_CYCLE_1) | instskip(NEXT) | instid1(VALU_DEP_1)
	s_or_b32 exec_lo, exec_lo, s3
	v_mul_f32_e32 v1, s4, v1
	s_delay_alu instid0(VALU_DEP_1) | instskip(NEXT) | instid1(VALU_DEP_1)
	v_and_b32_e32 v67, 0x7f800000, v1
	v_cmp_ne_u32_e64 s1, 0x7f800000, v67
                                        ; implicit-def: $vgpr67
	s_delay_alu instid0(VALU_DEP_1) | instskip(NEXT) | instid1(SALU_CYCLE_1)
	s_and_saveexec_b32 s3, s1
	s_xor_b32 s1, exec_lo, s3
; %bb.223:                              ;   in Loop: Header=BB392_10 Depth=1
	v_bfe_u32 v67, v1, 16, 1
	s_delay_alu instid0(VALU_DEP_1)
	v_add3_u32 v67, v1, v67, 0x7fff
                                        ; implicit-def: $vgpr1
; %bb.224:                              ;   in Loop: Header=BB392_10 Depth=1
	s_and_not1_saveexec_b32 s3, s1
; %bb.225:                              ;   in Loop: Header=BB392_10 Depth=1
	v_and_b32_e32 v67, 0xffff, v1
	v_or_b32_e32 v68, 0x10000, v1
	s_delay_alu instid0(VALU_DEP_2) | instskip(NEXT) | instid1(VALU_DEP_1)
	v_cmp_eq_u32_e64 s1, 0, v67
	v_cndmask_b32_e64 v67, v68, v1, s1
; %bb.226:                              ;   in Loop: Header=BB392_10 Depth=1
	s_or_b32 exec_lo, exec_lo, s3
	global_load_u16 v1, v[7:8], off offset:520
	s_mov_b32 s3, exec_lo
	s_waitcnt vmcnt(0)
	v_and_b32_e32 v68, 0xff, v1
	v_and_b32_e32 v69, 0xffff, v1
	v_mov_b32_e32 v1, 0
	s_delay_alu instid0(VALU_DEP_3)
	v_cmpx_ne_u16_e32 0, v68
	s_cbranch_execz .LBB392_234
; %bb.227:                              ;   in Loop: Header=BB392_10 Depth=1
	s_delay_alu instid0(VALU_DEP_3) | instskip(NEXT) | instid1(VALU_DEP_1)
	v_and_b32_e32 v1, 0xff, v69
	v_cmp_ne_u16_e64 s1, 0x80, v1
	v_bfrev_b32_e32 v1, 1
	s_delay_alu instid0(VALU_DEP_2)
	s_and_saveexec_b32 s39, s1
	s_cbranch_execz .LBB392_233
; %bb.228:                              ;   in Loop: Header=BB392_10 Depth=1
	v_and_b32_e32 v70, 0x7f, v69
	v_mov_b32_e32 v1, 0x7f800001
	s_mov_b32 s40, exec_lo
	s_delay_alu instid0(VALU_DEP_2)
	v_cmpx_ne_u32_e32 0x7f, v70
	s_cbranch_execz .LBB392_232
; %bb.229:                              ;   in Loop: Header=BB392_10 Depth=1
	v_and_b32_e32 v1, 7, v69
	v_lshrrev_b32_e32 v68, 3, v70
	s_mov_b32 s41, exec_lo
	v_cmpx_gt_u32_e32 8, v70
; %bb.230:                              ;   in Loop: Header=BB392_10 Depth=1
	s_delay_alu instid0(VALU_DEP_3) | instskip(NEXT) | instid1(VALU_DEP_1)
	v_clz_i32_u32_e32 v68, v1
	v_min_u32_e32 v68, 32, v68
	s_delay_alu instid0(VALU_DEP_1) | instskip(SKIP_1) | instid1(VALU_DEP_2)
	v_subrev_nc_u32_e32 v70, 28, v68
	v_sub_nc_u32_e32 v68, 29, v68
	v_lshlrev_b64 v[70:71], v70, v[1:2]
	s_delay_alu instid0(VALU_DEP_1)
	v_and_b32_e32 v1, 7, v70
; %bb.231:                              ;   in Loop: Header=BB392_10 Depth=1
	s_or_b32 exec_lo, exec_lo, s41
	v_lshlrev_b32_e32 v70, 24, v69
	s_delay_alu instid0(VALU_DEP_2) | instskip(SKIP_1) | instid1(VALU_DEP_3)
	v_lshlrev_b32_e32 v1, 20, v1
	v_lshl_add_u32 v68, v68, 23, 0x3c000000
	v_and_b32_e32 v70, 0x80000000, v70
	s_delay_alu instid0(VALU_DEP_1)
	v_or3_b32 v1, v1, v70, v68
.LBB392_232:                            ;   in Loop: Header=BB392_10 Depth=1
	s_or_b32 exec_lo, exec_lo, s40
.LBB392_233:                            ;   in Loop: Header=BB392_10 Depth=1
	s_delay_alu instid0(SALU_CYCLE_1)
	s_or_b32 exec_lo, exec_lo, s39
.LBB392_234:                            ;   in Loop: Header=BB392_10 Depth=1
	s_delay_alu instid0(SALU_CYCLE_1) | instskip(NEXT) | instid1(VALU_DEP_1)
	s_or_b32 exec_lo, exec_lo, s3
	v_mul_f32_e32 v1, s4, v1
	s_delay_alu instid0(VALU_DEP_1) | instskip(NEXT) | instid1(VALU_DEP_1)
	v_and_b32_e32 v68, 0x7f800000, v1
	v_cmp_ne_u32_e64 s1, 0x7f800000, v68
                                        ; implicit-def: $vgpr68
	s_delay_alu instid0(VALU_DEP_1) | instskip(NEXT) | instid1(SALU_CYCLE_1)
	s_and_saveexec_b32 s3, s1
	s_xor_b32 s1, exec_lo, s3
; %bb.235:                              ;   in Loop: Header=BB392_10 Depth=1
	v_bfe_u32 v68, v1, 16, 1
	s_delay_alu instid0(VALU_DEP_1)
	v_add3_u32 v68, v1, v68, 0x7fff
                                        ; implicit-def: $vgpr1
; %bb.236:                              ;   in Loop: Header=BB392_10 Depth=1
	s_and_not1_saveexec_b32 s3, s1
; %bb.237:                              ;   in Loop: Header=BB392_10 Depth=1
	v_and_b32_e32 v68, 0xffff, v1
	v_or_b32_e32 v70, 0x10000, v1
	s_delay_alu instid0(VALU_DEP_2) | instskip(NEXT) | instid1(VALU_DEP_1)
	v_cmp_eq_u32_e64 s1, 0, v68
	v_cndmask_b32_e64 v68, v70, v1, s1
; %bb.238:                              ;   in Loop: Header=BB392_10 Depth=1
	s_or_b32 exec_lo, exec_lo, s3
	v_lshrrev_b16 v70, 8, v69
	v_mov_b32_e32 v1, 0
	s_mov_b32 s3, exec_lo
	s_delay_alu instid0(VALU_DEP_2)
	v_cmpx_ne_u16_e32 0, v70
	s_cbranch_execz .LBB392_246
; %bb.239:                              ;   in Loop: Header=BB392_10 Depth=1
	v_bfrev_b32_e32 v1, 1
	s_mov_b32 s39, exec_lo
	v_cmpx_ne_u16_e32 0x80, v70
	s_cbranch_execz .LBB392_245
; %bb.240:                              ;   in Loop: Header=BB392_10 Depth=1
	v_and_b32_e32 v70, 0xffff, v70
	v_mov_b32_e32 v1, 0x7f800001
	s_mov_b32 s40, exec_lo
	s_delay_alu instid0(VALU_DEP_2) | instskip(NEXT) | instid1(VALU_DEP_1)
	v_and_b32_e32 v71, 0x7f, v70
	v_cmpx_ne_u32_e32 0x7f, v71
	s_cbranch_execz .LBB392_244
; %bb.241:                              ;   in Loop: Header=BB392_10 Depth=1
	v_and_b32_e32 v1, 7, v70
	v_lshrrev_b32_e32 v70, 3, v71
	s_mov_b32 s41, exec_lo
	v_cmpx_gt_u32_e32 8, v71
; %bb.242:                              ;   in Loop: Header=BB392_10 Depth=1
	s_delay_alu instid0(VALU_DEP_3) | instskip(NEXT) | instid1(VALU_DEP_1)
	v_clz_i32_u32_e32 v70, v1
	v_min_u32_e32 v70, 32, v70
	s_delay_alu instid0(VALU_DEP_1) | instskip(SKIP_1) | instid1(VALU_DEP_2)
	v_subrev_nc_u32_e32 v71, 28, v70
	v_sub_nc_u32_e32 v70, 29, v70
	v_lshlrev_b64 v[71:72], v71, v[1:2]
	s_delay_alu instid0(VALU_DEP_1)
	v_and_b32_e32 v1, 7, v71
; %bb.243:                              ;   in Loop: Header=BB392_10 Depth=1
	s_or_b32 exec_lo, exec_lo, s41
	v_lshlrev_b32_e32 v69, 16, v69
	s_delay_alu instid0(VALU_DEP_2) | instskip(SKIP_1) | instid1(VALU_DEP_3)
	v_lshlrev_b32_e32 v1, 20, v1
	v_lshl_add_u32 v70, v70, 23, 0x3c000000
	v_and_b32_e32 v69, 0x80000000, v69
	s_delay_alu instid0(VALU_DEP_1)
	v_or3_b32 v1, v1, v69, v70
.LBB392_244:                            ;   in Loop: Header=BB392_10 Depth=1
	s_or_b32 exec_lo, exec_lo, s40
.LBB392_245:                            ;   in Loop: Header=BB392_10 Depth=1
	s_delay_alu instid0(SALU_CYCLE_1)
	s_or_b32 exec_lo, exec_lo, s39
.LBB392_246:                            ;   in Loop: Header=BB392_10 Depth=1
	s_delay_alu instid0(SALU_CYCLE_1) | instskip(NEXT) | instid1(VALU_DEP_1)
	s_or_b32 exec_lo, exec_lo, s3
	v_mul_f32_e32 v1, s4, v1
	s_delay_alu instid0(VALU_DEP_1) | instskip(NEXT) | instid1(VALU_DEP_1)
	v_and_b32_e32 v69, 0x7f800000, v1
	v_cmp_ne_u32_e64 s1, 0x7f800000, v69
                                        ; implicit-def: $vgpr69
	s_delay_alu instid0(VALU_DEP_1) | instskip(NEXT) | instid1(SALU_CYCLE_1)
	s_and_saveexec_b32 s3, s1
	s_xor_b32 s1, exec_lo, s3
; %bb.247:                              ;   in Loop: Header=BB392_10 Depth=1
	v_bfe_u32 v69, v1, 16, 1
	s_delay_alu instid0(VALU_DEP_1)
	v_add3_u32 v69, v1, v69, 0x7fff
                                        ; implicit-def: $vgpr1
; %bb.248:                              ;   in Loop: Header=BB392_10 Depth=1
	s_and_not1_saveexec_b32 s3, s1
; %bb.249:                              ;   in Loop: Header=BB392_10 Depth=1
	v_and_b32_e32 v69, 0xffff, v1
	v_or_b32_e32 v70, 0x10000, v1
	s_delay_alu instid0(VALU_DEP_2) | instskip(NEXT) | instid1(VALU_DEP_1)
	v_cmp_eq_u32_e64 s1, 0, v69
	v_cndmask_b32_e64 v69, v70, v1, s1
; %bb.250:                              ;   in Loop: Header=BB392_10 Depth=1
	s_or_b32 exec_lo, exec_lo, s3
	global_load_u16 v1, v[7:8], off offset:640
	s_mov_b32 s3, exec_lo
	s_waitcnt vmcnt(0)
	v_and_b32_e32 v70, 0xff, v1
	v_and_b32_e32 v71, 0xffff, v1
	v_mov_b32_e32 v1, 0
	s_delay_alu instid0(VALU_DEP_3)
	v_cmpx_ne_u16_e32 0, v70
	s_cbranch_execz .LBB392_258
; %bb.251:                              ;   in Loop: Header=BB392_10 Depth=1
	s_delay_alu instid0(VALU_DEP_3) | instskip(NEXT) | instid1(VALU_DEP_1)
	v_and_b32_e32 v1, 0xff, v71
	v_cmp_ne_u16_e64 s1, 0x80, v1
	v_bfrev_b32_e32 v1, 1
	s_delay_alu instid0(VALU_DEP_2)
	s_and_saveexec_b32 s39, s1
	s_cbranch_execz .LBB392_257
; %bb.252:                              ;   in Loop: Header=BB392_10 Depth=1
	v_and_b32_e32 v72, 0x7f, v71
	v_mov_b32_e32 v1, 0x7f800001
	s_mov_b32 s40, exec_lo
	s_delay_alu instid0(VALU_DEP_2)
	v_cmpx_ne_u32_e32 0x7f, v72
	s_cbranch_execz .LBB392_256
; %bb.253:                              ;   in Loop: Header=BB392_10 Depth=1
	v_and_b32_e32 v1, 7, v71
	v_lshrrev_b32_e32 v70, 3, v72
	s_mov_b32 s41, exec_lo
	v_cmpx_gt_u32_e32 8, v72
; %bb.254:                              ;   in Loop: Header=BB392_10 Depth=1
	s_delay_alu instid0(VALU_DEP_3) | instskip(NEXT) | instid1(VALU_DEP_1)
	v_clz_i32_u32_e32 v70, v1
	v_min_u32_e32 v70, 32, v70
	s_delay_alu instid0(VALU_DEP_1) | instskip(SKIP_1) | instid1(VALU_DEP_2)
	v_subrev_nc_u32_e32 v72, 28, v70
	v_sub_nc_u32_e32 v70, 29, v70
	v_lshlrev_b64 v[72:73], v72, v[1:2]
	s_delay_alu instid0(VALU_DEP_1)
	v_and_b32_e32 v1, 7, v72
; %bb.255:                              ;   in Loop: Header=BB392_10 Depth=1
	s_or_b32 exec_lo, exec_lo, s41
	v_lshlrev_b32_e32 v72, 24, v71
	s_delay_alu instid0(VALU_DEP_2) | instskip(SKIP_1) | instid1(VALU_DEP_3)
	v_lshlrev_b32_e32 v1, 20, v1
	v_lshl_add_u32 v70, v70, 23, 0x3c000000
	v_and_b32_e32 v72, 0x80000000, v72
	s_delay_alu instid0(VALU_DEP_1)
	v_or3_b32 v1, v1, v72, v70
.LBB392_256:                            ;   in Loop: Header=BB392_10 Depth=1
	s_or_b32 exec_lo, exec_lo, s40
.LBB392_257:                            ;   in Loop: Header=BB392_10 Depth=1
	s_delay_alu instid0(SALU_CYCLE_1)
	s_or_b32 exec_lo, exec_lo, s39
.LBB392_258:                            ;   in Loop: Header=BB392_10 Depth=1
	s_delay_alu instid0(SALU_CYCLE_1) | instskip(NEXT) | instid1(VALU_DEP_1)
	s_or_b32 exec_lo, exec_lo, s3
	v_mul_f32_e32 v1, s4, v1
	s_delay_alu instid0(VALU_DEP_1) | instskip(NEXT) | instid1(VALU_DEP_1)
	v_and_b32_e32 v70, 0x7f800000, v1
	v_cmp_ne_u32_e64 s1, 0x7f800000, v70
                                        ; implicit-def: $vgpr70
	s_delay_alu instid0(VALU_DEP_1) | instskip(NEXT) | instid1(SALU_CYCLE_1)
	s_and_saveexec_b32 s3, s1
	s_xor_b32 s1, exec_lo, s3
; %bb.259:                              ;   in Loop: Header=BB392_10 Depth=1
	v_bfe_u32 v70, v1, 16, 1
	s_delay_alu instid0(VALU_DEP_1)
	v_add3_u32 v70, v1, v70, 0x7fff
                                        ; implicit-def: $vgpr1
; %bb.260:                              ;   in Loop: Header=BB392_10 Depth=1
	s_and_not1_saveexec_b32 s3, s1
; %bb.261:                              ;   in Loop: Header=BB392_10 Depth=1
	v_and_b32_e32 v70, 0xffff, v1
	v_or_b32_e32 v72, 0x10000, v1
	s_delay_alu instid0(VALU_DEP_2) | instskip(NEXT) | instid1(VALU_DEP_1)
	v_cmp_eq_u32_e64 s1, 0, v70
	v_cndmask_b32_e64 v70, v72, v1, s1
; %bb.262:                              ;   in Loop: Header=BB392_10 Depth=1
	s_or_b32 exec_lo, exec_lo, s3
	v_lshrrev_b16 v72, 8, v71
	v_mov_b32_e32 v1, 0
	s_mov_b32 s3, exec_lo
	s_delay_alu instid0(VALU_DEP_2)
	v_cmpx_ne_u16_e32 0, v72
	s_cbranch_execz .LBB392_270
; %bb.263:                              ;   in Loop: Header=BB392_10 Depth=1
	v_bfrev_b32_e32 v1, 1
	s_mov_b32 s39, exec_lo
	v_cmpx_ne_u16_e32 0x80, v72
	s_cbranch_execz .LBB392_269
; %bb.264:                              ;   in Loop: Header=BB392_10 Depth=1
	v_and_b32_e32 v72, 0xffff, v72
	v_mov_b32_e32 v1, 0x7f800001
	s_mov_b32 s40, exec_lo
	s_delay_alu instid0(VALU_DEP_2) | instskip(NEXT) | instid1(VALU_DEP_1)
	v_and_b32_e32 v73, 0x7f, v72
	v_cmpx_ne_u32_e32 0x7f, v73
	s_cbranch_execz .LBB392_268
; %bb.265:                              ;   in Loop: Header=BB392_10 Depth=1
	v_and_b32_e32 v1, 7, v72
	v_lshrrev_b32_e32 v72, 3, v73
	s_mov_b32 s41, exec_lo
	v_cmpx_gt_u32_e32 8, v73
; %bb.266:                              ;   in Loop: Header=BB392_10 Depth=1
	s_delay_alu instid0(VALU_DEP_3) | instskip(NEXT) | instid1(VALU_DEP_1)
	v_clz_i32_u32_e32 v72, v1
	v_min_u32_e32 v72, 32, v72
	s_delay_alu instid0(VALU_DEP_1) | instskip(SKIP_1) | instid1(VALU_DEP_2)
	v_subrev_nc_u32_e32 v73, 28, v72
	v_sub_nc_u32_e32 v72, 29, v72
	v_lshlrev_b64 v[73:74], v73, v[1:2]
	s_delay_alu instid0(VALU_DEP_1)
	v_and_b32_e32 v1, 7, v73
; %bb.267:                              ;   in Loop: Header=BB392_10 Depth=1
	s_or_b32 exec_lo, exec_lo, s41
	v_lshlrev_b32_e32 v71, 16, v71
	s_delay_alu instid0(VALU_DEP_2) | instskip(SKIP_1) | instid1(VALU_DEP_3)
	v_lshlrev_b32_e32 v1, 20, v1
	v_lshl_add_u32 v72, v72, 23, 0x3c000000
	v_and_b32_e32 v71, 0x80000000, v71
	s_delay_alu instid0(VALU_DEP_1)
	v_or3_b32 v1, v1, v71, v72
.LBB392_268:                            ;   in Loop: Header=BB392_10 Depth=1
	s_or_b32 exec_lo, exec_lo, s40
.LBB392_269:                            ;   in Loop: Header=BB392_10 Depth=1
	s_delay_alu instid0(SALU_CYCLE_1)
	s_or_b32 exec_lo, exec_lo, s39
.LBB392_270:                            ;   in Loop: Header=BB392_10 Depth=1
	s_delay_alu instid0(SALU_CYCLE_1) | instskip(NEXT) | instid1(VALU_DEP_1)
	s_or_b32 exec_lo, exec_lo, s3
	v_mul_f32_e32 v1, s4, v1
	s_delay_alu instid0(VALU_DEP_1) | instskip(NEXT) | instid1(VALU_DEP_1)
	v_and_b32_e32 v71, 0x7f800000, v1
	v_cmp_ne_u32_e64 s1, 0x7f800000, v71
                                        ; implicit-def: $vgpr71
	s_delay_alu instid0(VALU_DEP_1) | instskip(NEXT) | instid1(SALU_CYCLE_1)
	s_and_saveexec_b32 s3, s1
	s_xor_b32 s1, exec_lo, s3
; %bb.271:                              ;   in Loop: Header=BB392_10 Depth=1
	v_bfe_u32 v71, v1, 16, 1
	s_delay_alu instid0(VALU_DEP_1)
	v_add3_u32 v71, v1, v71, 0x7fff
                                        ; implicit-def: $vgpr1
; %bb.272:                              ;   in Loop: Header=BB392_10 Depth=1
	s_and_not1_saveexec_b32 s3, s1
; %bb.273:                              ;   in Loop: Header=BB392_10 Depth=1
	v_and_b32_e32 v71, 0xffff, v1
	v_or_b32_e32 v72, 0x10000, v1
	s_delay_alu instid0(VALU_DEP_2) | instskip(NEXT) | instid1(VALU_DEP_1)
	v_cmp_eq_u32_e64 s1, 0, v71
	v_cndmask_b32_e64 v71, v72, v1, s1
; %bb.274:                              ;   in Loop: Header=BB392_10 Depth=1
	s_or_b32 exec_lo, exec_lo, s3
	global_load_u16 v1, v[7:8], off offset:648
	s_mov_b32 s3, exec_lo
	s_waitcnt vmcnt(0)
	v_and_b32_e32 v72, 0xff, v1
	v_and_b32_e32 v73, 0xffff, v1
	v_mov_b32_e32 v1, 0
	s_delay_alu instid0(VALU_DEP_3)
	v_cmpx_ne_u16_e32 0, v72
	s_cbranch_execz .LBB392_282
; %bb.275:                              ;   in Loop: Header=BB392_10 Depth=1
	s_delay_alu instid0(VALU_DEP_3) | instskip(NEXT) | instid1(VALU_DEP_1)
	v_and_b32_e32 v1, 0xff, v73
	v_cmp_ne_u16_e64 s1, 0x80, v1
	v_bfrev_b32_e32 v1, 1
	s_delay_alu instid0(VALU_DEP_2)
	s_and_saveexec_b32 s39, s1
	s_cbranch_execz .LBB392_281
; %bb.276:                              ;   in Loop: Header=BB392_10 Depth=1
	v_and_b32_e32 v74, 0x7f, v73
	v_mov_b32_e32 v1, 0x7f800001
	s_mov_b32 s40, exec_lo
	s_delay_alu instid0(VALU_DEP_2)
	v_cmpx_ne_u32_e32 0x7f, v74
	s_cbranch_execz .LBB392_280
; %bb.277:                              ;   in Loop: Header=BB392_10 Depth=1
	v_and_b32_e32 v1, 7, v73
	v_lshrrev_b32_e32 v72, 3, v74
	s_mov_b32 s41, exec_lo
	v_cmpx_gt_u32_e32 8, v74
; %bb.278:                              ;   in Loop: Header=BB392_10 Depth=1
	s_delay_alu instid0(VALU_DEP_3) | instskip(NEXT) | instid1(VALU_DEP_1)
	v_clz_i32_u32_e32 v72, v1
	v_min_u32_e32 v72, 32, v72
	s_delay_alu instid0(VALU_DEP_1) | instskip(SKIP_1) | instid1(VALU_DEP_2)
	v_subrev_nc_u32_e32 v74, 28, v72
	v_sub_nc_u32_e32 v72, 29, v72
	v_lshlrev_b64 v[74:75], v74, v[1:2]
	s_delay_alu instid0(VALU_DEP_1)
	v_and_b32_e32 v1, 7, v74
; %bb.279:                              ;   in Loop: Header=BB392_10 Depth=1
	s_or_b32 exec_lo, exec_lo, s41
	v_lshlrev_b32_e32 v74, 24, v73
	s_delay_alu instid0(VALU_DEP_2) | instskip(SKIP_1) | instid1(VALU_DEP_3)
	v_lshlrev_b32_e32 v1, 20, v1
	v_lshl_add_u32 v72, v72, 23, 0x3c000000
	v_and_b32_e32 v74, 0x80000000, v74
	s_delay_alu instid0(VALU_DEP_1)
	v_or3_b32 v1, v1, v74, v72
.LBB392_280:                            ;   in Loop: Header=BB392_10 Depth=1
	s_or_b32 exec_lo, exec_lo, s40
.LBB392_281:                            ;   in Loop: Header=BB392_10 Depth=1
	s_delay_alu instid0(SALU_CYCLE_1)
	s_or_b32 exec_lo, exec_lo, s39
.LBB392_282:                            ;   in Loop: Header=BB392_10 Depth=1
	s_delay_alu instid0(SALU_CYCLE_1) | instskip(NEXT) | instid1(VALU_DEP_1)
	s_or_b32 exec_lo, exec_lo, s3
	v_mul_f32_e32 v1, s4, v1
	s_delay_alu instid0(VALU_DEP_1) | instskip(NEXT) | instid1(VALU_DEP_1)
	v_and_b32_e32 v72, 0x7f800000, v1
	v_cmp_ne_u32_e64 s1, 0x7f800000, v72
                                        ; implicit-def: $vgpr72
	s_delay_alu instid0(VALU_DEP_1) | instskip(NEXT) | instid1(SALU_CYCLE_1)
	s_and_saveexec_b32 s3, s1
	s_xor_b32 s1, exec_lo, s3
; %bb.283:                              ;   in Loop: Header=BB392_10 Depth=1
	v_bfe_u32 v72, v1, 16, 1
	s_delay_alu instid0(VALU_DEP_1)
	v_add3_u32 v72, v1, v72, 0x7fff
                                        ; implicit-def: $vgpr1
; %bb.284:                              ;   in Loop: Header=BB392_10 Depth=1
	s_and_not1_saveexec_b32 s3, s1
; %bb.285:                              ;   in Loop: Header=BB392_10 Depth=1
	v_and_b32_e32 v72, 0xffff, v1
	v_or_b32_e32 v74, 0x10000, v1
	s_delay_alu instid0(VALU_DEP_2) | instskip(NEXT) | instid1(VALU_DEP_1)
	v_cmp_eq_u32_e64 s1, 0, v72
	v_cndmask_b32_e64 v72, v74, v1, s1
; %bb.286:                              ;   in Loop: Header=BB392_10 Depth=1
	s_or_b32 exec_lo, exec_lo, s3
	v_lshrrev_b16 v74, 8, v73
	v_mov_b32_e32 v1, 0
	s_mov_b32 s3, exec_lo
	s_delay_alu instid0(VALU_DEP_2)
	v_cmpx_ne_u16_e32 0, v74
	s_cbranch_execz .LBB392_294
; %bb.287:                              ;   in Loop: Header=BB392_10 Depth=1
	v_bfrev_b32_e32 v1, 1
	s_mov_b32 s39, exec_lo
	v_cmpx_ne_u16_e32 0x80, v74
	s_cbranch_execz .LBB392_293
; %bb.288:                              ;   in Loop: Header=BB392_10 Depth=1
	v_and_b32_e32 v74, 0xffff, v74
	v_mov_b32_e32 v1, 0x7f800001
	s_mov_b32 s40, exec_lo
	s_delay_alu instid0(VALU_DEP_2) | instskip(NEXT) | instid1(VALU_DEP_1)
	v_and_b32_e32 v75, 0x7f, v74
	v_cmpx_ne_u32_e32 0x7f, v75
	s_cbranch_execz .LBB392_292
; %bb.289:                              ;   in Loop: Header=BB392_10 Depth=1
	v_and_b32_e32 v1, 7, v74
	v_lshrrev_b32_e32 v74, 3, v75
	s_mov_b32 s41, exec_lo
	v_cmpx_gt_u32_e32 8, v75
; %bb.290:                              ;   in Loop: Header=BB392_10 Depth=1
	s_delay_alu instid0(VALU_DEP_3) | instskip(NEXT) | instid1(VALU_DEP_1)
	v_clz_i32_u32_e32 v74, v1
	v_min_u32_e32 v74, 32, v74
	s_delay_alu instid0(VALU_DEP_1) | instskip(SKIP_1) | instid1(VALU_DEP_2)
	v_subrev_nc_u32_e32 v75, 28, v74
	v_sub_nc_u32_e32 v74, 29, v74
	v_lshlrev_b64 v[75:76], v75, v[1:2]
	s_delay_alu instid0(VALU_DEP_1)
	v_and_b32_e32 v1, 7, v75
; %bb.291:                              ;   in Loop: Header=BB392_10 Depth=1
	s_or_b32 exec_lo, exec_lo, s41
	v_lshlrev_b32_e32 v73, 16, v73
	s_delay_alu instid0(VALU_DEP_2) | instskip(SKIP_1) | instid1(VALU_DEP_3)
	v_lshlrev_b32_e32 v1, 20, v1
	v_lshl_add_u32 v74, v74, 23, 0x3c000000
	v_and_b32_e32 v73, 0x80000000, v73
	s_delay_alu instid0(VALU_DEP_1)
	v_or3_b32 v1, v1, v73, v74
.LBB392_292:                            ;   in Loop: Header=BB392_10 Depth=1
	s_or_b32 exec_lo, exec_lo, s40
.LBB392_293:                            ;   in Loop: Header=BB392_10 Depth=1
	s_delay_alu instid0(SALU_CYCLE_1)
	s_or_b32 exec_lo, exec_lo, s39
.LBB392_294:                            ;   in Loop: Header=BB392_10 Depth=1
	s_delay_alu instid0(SALU_CYCLE_1) | instskip(NEXT) | instid1(VALU_DEP_1)
	s_or_b32 exec_lo, exec_lo, s3
	v_mul_f32_e32 v1, s4, v1
	s_delay_alu instid0(VALU_DEP_1) | instskip(NEXT) | instid1(VALU_DEP_1)
	v_and_b32_e32 v73, 0x7f800000, v1
	v_cmp_ne_u32_e64 s1, 0x7f800000, v73
                                        ; implicit-def: $vgpr73
	s_delay_alu instid0(VALU_DEP_1) | instskip(NEXT) | instid1(SALU_CYCLE_1)
	s_and_saveexec_b32 s3, s1
	s_xor_b32 s1, exec_lo, s3
; %bb.295:                              ;   in Loop: Header=BB392_10 Depth=1
	v_bfe_u32 v73, v1, 16, 1
	s_delay_alu instid0(VALU_DEP_1)
	v_add3_u32 v73, v1, v73, 0x7fff
                                        ; implicit-def: $vgpr1
; %bb.296:                              ;   in Loop: Header=BB392_10 Depth=1
	s_and_not1_saveexec_b32 s3, s1
; %bb.297:                              ;   in Loop: Header=BB392_10 Depth=1
	v_and_b32_e32 v73, 0xffff, v1
	v_or_b32_e32 v74, 0x10000, v1
	s_delay_alu instid0(VALU_DEP_2) | instskip(NEXT) | instid1(VALU_DEP_1)
	v_cmp_eq_u32_e64 s1, 0, v73
	v_cndmask_b32_e64 v73, v74, v1, s1
; %bb.298:                              ;   in Loop: Header=BB392_10 Depth=1
	s_or_b32 exec_lo, exec_lo, s3
	global_load_u16 v1, v[7:8], off offset:768
	s_mov_b32 s3, exec_lo
	s_waitcnt vmcnt(0)
	v_and_b32_e32 v74, 0xff, v1
	v_and_b32_e32 v75, 0xffff, v1
	v_mov_b32_e32 v1, 0
	s_delay_alu instid0(VALU_DEP_3)
	v_cmpx_ne_u16_e32 0, v74
	s_cbranch_execz .LBB392_306
; %bb.299:                              ;   in Loop: Header=BB392_10 Depth=1
	s_delay_alu instid0(VALU_DEP_3) | instskip(NEXT) | instid1(VALU_DEP_1)
	v_and_b32_e32 v1, 0xff, v75
	v_cmp_ne_u16_e64 s1, 0x80, v1
	v_bfrev_b32_e32 v1, 1
	s_delay_alu instid0(VALU_DEP_2)
	s_and_saveexec_b32 s39, s1
	s_cbranch_execz .LBB392_305
; %bb.300:                              ;   in Loop: Header=BB392_10 Depth=1
	v_and_b32_e32 v76, 0x7f, v75
	v_mov_b32_e32 v1, 0x7f800001
	s_mov_b32 s40, exec_lo
	s_delay_alu instid0(VALU_DEP_2)
	v_cmpx_ne_u32_e32 0x7f, v76
	s_cbranch_execz .LBB392_304
; %bb.301:                              ;   in Loop: Header=BB392_10 Depth=1
	v_and_b32_e32 v1, 7, v75
	v_lshrrev_b32_e32 v74, 3, v76
	s_mov_b32 s41, exec_lo
	v_cmpx_gt_u32_e32 8, v76
; %bb.302:                              ;   in Loop: Header=BB392_10 Depth=1
	s_delay_alu instid0(VALU_DEP_3) | instskip(NEXT) | instid1(VALU_DEP_1)
	v_clz_i32_u32_e32 v74, v1
	v_min_u32_e32 v74, 32, v74
	s_delay_alu instid0(VALU_DEP_1) | instskip(SKIP_1) | instid1(VALU_DEP_2)
	v_subrev_nc_u32_e32 v76, 28, v74
	v_sub_nc_u32_e32 v74, 29, v74
	v_lshlrev_b64 v[76:77], v76, v[1:2]
	s_delay_alu instid0(VALU_DEP_1)
	v_and_b32_e32 v1, 7, v76
; %bb.303:                              ;   in Loop: Header=BB392_10 Depth=1
	s_or_b32 exec_lo, exec_lo, s41
	v_lshlrev_b32_e32 v76, 24, v75
	s_delay_alu instid0(VALU_DEP_2) | instskip(SKIP_1) | instid1(VALU_DEP_3)
	v_lshlrev_b32_e32 v1, 20, v1
	v_lshl_add_u32 v74, v74, 23, 0x3c000000
	v_and_b32_e32 v76, 0x80000000, v76
	s_delay_alu instid0(VALU_DEP_1)
	v_or3_b32 v1, v1, v76, v74
.LBB392_304:                            ;   in Loop: Header=BB392_10 Depth=1
	s_or_b32 exec_lo, exec_lo, s40
.LBB392_305:                            ;   in Loop: Header=BB392_10 Depth=1
	s_delay_alu instid0(SALU_CYCLE_1)
	s_or_b32 exec_lo, exec_lo, s39
.LBB392_306:                            ;   in Loop: Header=BB392_10 Depth=1
	s_delay_alu instid0(SALU_CYCLE_1) | instskip(NEXT) | instid1(VALU_DEP_1)
	s_or_b32 exec_lo, exec_lo, s3
	v_mul_f32_e32 v1, s4, v1
	s_delay_alu instid0(VALU_DEP_1) | instskip(NEXT) | instid1(VALU_DEP_1)
	v_and_b32_e32 v74, 0x7f800000, v1
	v_cmp_ne_u32_e64 s1, 0x7f800000, v74
                                        ; implicit-def: $vgpr74
	s_delay_alu instid0(VALU_DEP_1) | instskip(NEXT) | instid1(SALU_CYCLE_1)
	s_and_saveexec_b32 s3, s1
	s_xor_b32 s1, exec_lo, s3
; %bb.307:                              ;   in Loop: Header=BB392_10 Depth=1
	v_bfe_u32 v74, v1, 16, 1
	s_delay_alu instid0(VALU_DEP_1)
	v_add3_u32 v74, v1, v74, 0x7fff
                                        ; implicit-def: $vgpr1
; %bb.308:                              ;   in Loop: Header=BB392_10 Depth=1
	s_and_not1_saveexec_b32 s3, s1
; %bb.309:                              ;   in Loop: Header=BB392_10 Depth=1
	v_and_b32_e32 v74, 0xffff, v1
	v_or_b32_e32 v76, 0x10000, v1
	s_delay_alu instid0(VALU_DEP_2) | instskip(NEXT) | instid1(VALU_DEP_1)
	v_cmp_eq_u32_e64 s1, 0, v74
	v_cndmask_b32_e64 v74, v76, v1, s1
; %bb.310:                              ;   in Loop: Header=BB392_10 Depth=1
	s_or_b32 exec_lo, exec_lo, s3
	v_lshrrev_b16 v76, 8, v75
	v_mov_b32_e32 v1, 0
	s_mov_b32 s3, exec_lo
	s_delay_alu instid0(VALU_DEP_2)
	v_cmpx_ne_u16_e32 0, v76
	s_cbranch_execz .LBB392_318
; %bb.311:                              ;   in Loop: Header=BB392_10 Depth=1
	v_bfrev_b32_e32 v1, 1
	s_mov_b32 s39, exec_lo
	v_cmpx_ne_u16_e32 0x80, v76
	s_cbranch_execz .LBB392_317
; %bb.312:                              ;   in Loop: Header=BB392_10 Depth=1
	v_and_b32_e32 v76, 0xffff, v76
	v_mov_b32_e32 v1, 0x7f800001
	s_mov_b32 s40, exec_lo
	s_delay_alu instid0(VALU_DEP_2) | instskip(NEXT) | instid1(VALU_DEP_1)
	v_and_b32_e32 v77, 0x7f, v76
	v_cmpx_ne_u32_e32 0x7f, v77
	s_cbranch_execz .LBB392_316
; %bb.313:                              ;   in Loop: Header=BB392_10 Depth=1
	v_and_b32_e32 v1, 7, v76
	v_lshrrev_b32_e32 v76, 3, v77
	s_mov_b32 s41, exec_lo
	v_cmpx_gt_u32_e32 8, v77
; %bb.314:                              ;   in Loop: Header=BB392_10 Depth=1
	s_delay_alu instid0(VALU_DEP_3) | instskip(NEXT) | instid1(VALU_DEP_1)
	v_clz_i32_u32_e32 v76, v1
	v_min_u32_e32 v76, 32, v76
	s_delay_alu instid0(VALU_DEP_1) | instskip(SKIP_1) | instid1(VALU_DEP_2)
	v_subrev_nc_u32_e32 v77, 28, v76
	v_sub_nc_u32_e32 v76, 29, v76
	v_lshlrev_b64 v[77:78], v77, v[1:2]
	s_delay_alu instid0(VALU_DEP_1)
	v_and_b32_e32 v1, 7, v77
; %bb.315:                              ;   in Loop: Header=BB392_10 Depth=1
	s_or_b32 exec_lo, exec_lo, s41
	v_lshlrev_b32_e32 v75, 16, v75
	s_delay_alu instid0(VALU_DEP_2) | instskip(SKIP_1) | instid1(VALU_DEP_3)
	v_lshlrev_b32_e32 v1, 20, v1
	v_lshl_add_u32 v76, v76, 23, 0x3c000000
	v_and_b32_e32 v75, 0x80000000, v75
	s_delay_alu instid0(VALU_DEP_1)
	v_or3_b32 v1, v1, v75, v76
.LBB392_316:                            ;   in Loop: Header=BB392_10 Depth=1
	s_or_b32 exec_lo, exec_lo, s40
.LBB392_317:                            ;   in Loop: Header=BB392_10 Depth=1
	s_delay_alu instid0(SALU_CYCLE_1)
	s_or_b32 exec_lo, exec_lo, s39
.LBB392_318:                            ;   in Loop: Header=BB392_10 Depth=1
	s_delay_alu instid0(SALU_CYCLE_1) | instskip(NEXT) | instid1(VALU_DEP_1)
	s_or_b32 exec_lo, exec_lo, s3
	v_mul_f32_e32 v1, s4, v1
	s_delay_alu instid0(VALU_DEP_1) | instskip(NEXT) | instid1(VALU_DEP_1)
	v_and_b32_e32 v75, 0x7f800000, v1
	v_cmp_ne_u32_e64 s1, 0x7f800000, v75
                                        ; implicit-def: $vgpr75
	s_delay_alu instid0(VALU_DEP_1) | instskip(NEXT) | instid1(SALU_CYCLE_1)
	s_and_saveexec_b32 s3, s1
	s_xor_b32 s1, exec_lo, s3
; %bb.319:                              ;   in Loop: Header=BB392_10 Depth=1
	v_bfe_u32 v75, v1, 16, 1
	s_delay_alu instid0(VALU_DEP_1)
	v_add3_u32 v75, v1, v75, 0x7fff
                                        ; implicit-def: $vgpr1
; %bb.320:                              ;   in Loop: Header=BB392_10 Depth=1
	s_and_not1_saveexec_b32 s3, s1
; %bb.321:                              ;   in Loop: Header=BB392_10 Depth=1
	v_and_b32_e32 v75, 0xffff, v1
	v_or_b32_e32 v76, 0x10000, v1
	s_delay_alu instid0(VALU_DEP_2) | instskip(NEXT) | instid1(VALU_DEP_1)
	v_cmp_eq_u32_e64 s1, 0, v75
	v_cndmask_b32_e64 v75, v76, v1, s1
; %bb.322:                              ;   in Loop: Header=BB392_10 Depth=1
	s_or_b32 exec_lo, exec_lo, s3
	global_load_u16 v1, v[7:8], off offset:776
	s_mov_b32 s3, exec_lo
	s_waitcnt vmcnt(0)
	v_and_b32_e32 v7, 0xff, v1
	v_dual_mov_b32 v1, 0 :: v_dual_and_b32 v8, 0xffff, v1
	s_delay_alu instid0(VALU_DEP_2)
	v_cmpx_ne_u16_e32 0, v7
	s_cbranch_execz .LBB392_330
; %bb.323:                              ;   in Loop: Header=BB392_10 Depth=1
	s_delay_alu instid0(VALU_DEP_2) | instskip(NEXT) | instid1(VALU_DEP_1)
	v_and_b32_e32 v1, 0xff, v8
	v_cmp_ne_u16_e64 s1, 0x80, v1
	v_bfrev_b32_e32 v1, 1
	s_delay_alu instid0(VALU_DEP_2)
	s_and_saveexec_b32 s39, s1
	s_cbranch_execz .LBB392_329
; %bb.324:                              ;   in Loop: Header=BB392_10 Depth=1
	v_and_b32_e32 v76, 0x7f, v8
	v_mov_b32_e32 v1, 0x7f800001
	s_mov_b32 s40, exec_lo
	s_delay_alu instid0(VALU_DEP_2)
	v_cmpx_ne_u32_e32 0x7f, v76
	s_cbranch_execz .LBB392_328
; %bb.325:                              ;   in Loop: Header=BB392_10 Depth=1
	v_and_b32_e32 v1, 7, v8
	v_lshrrev_b32_e32 v7, 3, v76
	s_mov_b32 s41, exec_lo
	v_cmpx_gt_u32_e32 8, v76
; %bb.326:                              ;   in Loop: Header=BB392_10 Depth=1
	s_delay_alu instid0(VALU_DEP_3) | instskip(NEXT) | instid1(VALU_DEP_1)
	v_clz_i32_u32_e32 v7, v1
	v_min_u32_e32 v7, 32, v7
	s_delay_alu instid0(VALU_DEP_1) | instskip(SKIP_1) | instid1(VALU_DEP_2)
	v_subrev_nc_u32_e32 v76, 28, v7
	v_sub_nc_u32_e32 v7, 29, v7
	v_lshlrev_b64 v[76:77], v76, v[1:2]
	s_delay_alu instid0(VALU_DEP_1)
	v_and_b32_e32 v1, 7, v76
; %bb.327:                              ;   in Loop: Header=BB392_10 Depth=1
	s_or_b32 exec_lo, exec_lo, s41
	v_lshlrev_b32_e32 v76, 24, v8
	s_delay_alu instid0(VALU_DEP_2) | instskip(SKIP_1) | instid1(VALU_DEP_3)
	v_lshlrev_b32_e32 v1, 20, v1
	v_lshl_add_u32 v7, v7, 23, 0x3c000000
	v_and_b32_e32 v76, 0x80000000, v76
	s_delay_alu instid0(VALU_DEP_1)
	v_or3_b32 v1, v1, v76, v7
.LBB392_328:                            ;   in Loop: Header=BB392_10 Depth=1
	s_or_b32 exec_lo, exec_lo, s40
.LBB392_329:                            ;   in Loop: Header=BB392_10 Depth=1
	s_delay_alu instid0(SALU_CYCLE_1)
	s_or_b32 exec_lo, exec_lo, s39
.LBB392_330:                            ;   in Loop: Header=BB392_10 Depth=1
	s_delay_alu instid0(SALU_CYCLE_1) | instskip(NEXT) | instid1(VALU_DEP_1)
	s_or_b32 exec_lo, exec_lo, s3
	v_mul_f32_e32 v1, s4, v1
	s_delay_alu instid0(VALU_DEP_1) | instskip(NEXT) | instid1(VALU_DEP_1)
	v_and_b32_e32 v7, 0x7f800000, v1
	v_cmp_ne_u32_e64 s1, 0x7f800000, v7
                                        ; implicit-def: $vgpr7
	s_delay_alu instid0(VALU_DEP_1) | instskip(NEXT) | instid1(SALU_CYCLE_1)
	s_and_saveexec_b32 s3, s1
	s_xor_b32 s1, exec_lo, s3
; %bb.331:                              ;   in Loop: Header=BB392_10 Depth=1
	v_bfe_u32 v7, v1, 16, 1
	s_delay_alu instid0(VALU_DEP_1)
	v_add3_u32 v7, v1, v7, 0x7fff
                                        ; implicit-def: $vgpr1
; %bb.332:                              ;   in Loop: Header=BB392_10 Depth=1
	s_and_not1_saveexec_b32 s3, s1
; %bb.333:                              ;   in Loop: Header=BB392_10 Depth=1
	v_and_b32_e32 v7, 0xffff, v1
	v_or_b32_e32 v76, 0x10000, v1
	s_delay_alu instid0(VALU_DEP_2) | instskip(NEXT) | instid1(VALU_DEP_1)
	v_cmp_eq_u32_e64 s1, 0, v7
	v_cndmask_b32_e64 v7, v76, v1, s1
; %bb.334:                              ;   in Loop: Header=BB392_10 Depth=1
	s_or_b32 exec_lo, exec_lo, s3
	v_lshrrev_b16 v76, 8, v8
	v_mov_b32_e32 v1, 0
	s_mov_b32 s3, exec_lo
	s_delay_alu instid0(VALU_DEP_2)
	v_cmpx_ne_u16_e32 0, v76
	s_cbranch_execz .LBB392_342
; %bb.335:                              ;   in Loop: Header=BB392_10 Depth=1
	v_bfrev_b32_e32 v1, 1
	s_mov_b32 s39, exec_lo
	v_cmpx_ne_u16_e32 0x80, v76
	s_cbranch_execz .LBB392_341
; %bb.336:                              ;   in Loop: Header=BB392_10 Depth=1
	v_and_b32_e32 v76, 0xffff, v76
	v_mov_b32_e32 v1, 0x7f800001
	s_mov_b32 s40, exec_lo
	s_delay_alu instid0(VALU_DEP_2) | instskip(NEXT) | instid1(VALU_DEP_1)
	v_and_b32_e32 v77, 0x7f, v76
	v_cmpx_ne_u32_e32 0x7f, v77
	s_cbranch_execz .LBB392_340
; %bb.337:                              ;   in Loop: Header=BB392_10 Depth=1
	v_and_b32_e32 v1, 7, v76
	v_lshrrev_b32_e32 v76, 3, v77
	s_mov_b32 s41, exec_lo
	v_cmpx_gt_u32_e32 8, v77
; %bb.338:                              ;   in Loop: Header=BB392_10 Depth=1
	s_delay_alu instid0(VALU_DEP_3) | instskip(NEXT) | instid1(VALU_DEP_1)
	v_clz_i32_u32_e32 v76, v1
	v_min_u32_e32 v76, 32, v76
	s_delay_alu instid0(VALU_DEP_1) | instskip(SKIP_1) | instid1(VALU_DEP_2)
	v_subrev_nc_u32_e32 v77, 28, v76
	v_sub_nc_u32_e32 v76, 29, v76
	v_lshlrev_b64 v[77:78], v77, v[1:2]
	s_delay_alu instid0(VALU_DEP_1)
	v_and_b32_e32 v1, 7, v77
; %bb.339:                              ;   in Loop: Header=BB392_10 Depth=1
	s_or_b32 exec_lo, exec_lo, s41
	v_lshlrev_b32_e32 v8, 16, v8
	s_delay_alu instid0(VALU_DEP_2) | instskip(SKIP_1) | instid1(VALU_DEP_3)
	v_lshlrev_b32_e32 v1, 20, v1
	v_lshl_add_u32 v76, v76, 23, 0x3c000000
	v_and_b32_e32 v8, 0x80000000, v8
	s_delay_alu instid0(VALU_DEP_1)
	v_or3_b32 v1, v1, v8, v76
.LBB392_340:                            ;   in Loop: Header=BB392_10 Depth=1
	s_or_b32 exec_lo, exec_lo, s40
.LBB392_341:                            ;   in Loop: Header=BB392_10 Depth=1
	s_delay_alu instid0(SALU_CYCLE_1)
	s_or_b32 exec_lo, exec_lo, s39
.LBB392_342:                            ;   in Loop: Header=BB392_10 Depth=1
	s_delay_alu instid0(SALU_CYCLE_1) | instskip(NEXT) | instid1(VALU_DEP_1)
	s_or_b32 exec_lo, exec_lo, s3
	v_mul_f32_e32 v8, s4, v1
	s_delay_alu instid0(VALU_DEP_1) | instskip(NEXT) | instid1(VALU_DEP_1)
	v_and_b32_e32 v1, 0x7f800000, v8
	v_cmp_ne_u32_e64 s1, 0x7f800000, v1
                                        ; implicit-def: $vgpr1
	s_delay_alu instid0(VALU_DEP_1) | instskip(NEXT) | instid1(SALU_CYCLE_1)
	s_and_saveexec_b32 s3, s1
	s_xor_b32 s1, exec_lo, s3
; %bb.343:                              ;   in Loop: Header=BB392_10 Depth=1
	v_bfe_u32 v1, v8, 16, 1
	s_delay_alu instid0(VALU_DEP_1)
	v_add3_u32 v1, v8, v1, 0x7fff
                                        ; implicit-def: $vgpr8
; %bb.344:                              ;   in Loop: Header=BB392_10 Depth=1
	s_and_not1_saveexec_b32 s3, s1
; %bb.345:                              ;   in Loop: Header=BB392_10 Depth=1
	v_and_b32_e32 v1, 0xffff, v8
	v_or_b32_e32 v76, 0x10000, v8
	s_delay_alu instid0(VALU_DEP_2) | instskip(NEXT) | instid1(VALU_DEP_1)
	v_cmp_eq_u32_e64 s1, 0, v1
	v_cndmask_b32_e64 v1, v76, v8, s1
; %bb.346:                              ;   in Loop: Header=BB392_10 Depth=1
	s_or_b32 exec_lo, exec_lo, s3
	v_and_b32_e32 v8, 0xffff0000, v52
	v_and_b32_e32 v52, 0xffff0000, v53
	v_and_b32_e32 v51, 0xffff0000, v51
	v_and_b32_e32 v50, 0xffff0000, v50
	v_and_b32_e32 v54, 0xffff0000, v54
	v_mul_f32_e32 v8, v17, v8
	v_dual_mul_f32 v52, v19, v52 :: v_dual_and_b32 v53, 0xffff0000, v55
	v_and_b32_e32 v7, 0xffff0000, v7
	s_delay_alu instid0(VALU_DEP_3) | instskip(NEXT) | instid1(VALU_DEP_3)
	v_dual_fmac_f32 v8, v15, v50 :: v_dual_and_b32 v1, 0xffff0000, v1
	v_dual_fmac_f32 v52, v16, v51 :: v_dual_and_b32 v51, 0xffff0000, v56
	v_and_b32_e32 v50, 0xffff0000, v57
	s_delay_alu instid0(VALU_DEP_3) | instskip(SKIP_1) | instid1(VALU_DEP_2)
	v_fmac_f32_e32 v8, v20, v54
	v_and_b32_e32 v54, 0xffff0000, v58
	v_dual_fmac_f32 v8, v22, v51 :: v_dual_and_b32 v51, 0xffff0000, v60
	v_dual_fmac_f32 v52, v21, v53 :: v_dual_and_b32 v53, 0xffff0000, v59
	s_delay_alu instid0(VALU_DEP_2) | instskip(SKIP_1) | instid1(VALU_DEP_3)
	v_fmac_f32_e32 v8, v24, v54
	v_and_b32_e32 v54, 0xffff0000, v62
	v_fmac_f32_e32 v52, v23, v50
	v_and_b32_e32 v50, 0xffff0000, v61
	s_delay_alu instid0(VALU_DEP_4) | instskip(NEXT) | instid1(VALU_DEP_3)
	v_dual_fmac_f32 v8, v26, v51 :: v_dual_and_b32 v51, 0xffff0000, v64
	v_dual_fmac_f32 v52, v25, v53 :: v_dual_and_b32 v53, 0xffff0000, v63
	s_delay_alu instid0(VALU_DEP_2) | instskip(SKIP_1) | instid1(VALU_DEP_3)
	v_fmac_f32_e32 v8, v28, v54
	v_and_b32_e32 v54, 0xffff0000, v66
	v_fmac_f32_e32 v52, v27, v50
	v_and_b32_e32 v50, 0xffff0000, v65
	s_delay_alu instid0(VALU_DEP_4) | instskip(NEXT) | instid1(VALU_DEP_3)
	;; [unrolled: 8-line block ×4, first 2 shown]
	v_fmac_f32_e32 v8, v38, v51
	v_dual_fmac_f32 v52, v37, v53 :: v_dual_and_b32 v53, 0xffff0000, v75
	s_delay_alu instid0(VALU_DEP_2) | instskip(NEXT) | instid1(VALU_DEP_2)
	v_fmac_f32_e32 v8, v40, v54
	v_fmac_f32_e32 v52, v39, v50
	s_delay_alu instid0(VALU_DEP_2) | instskip(NEXT) | instid1(VALU_DEP_2)
	v_fmac_f32_e32 v8, v42, v7
	v_fmac_f32_e32 v52, v41, v53
	s_delay_alu instid0(VALU_DEP_1) | instskip(NEXT) | instid1(VALU_DEP_1)
	v_fmac_f32_e32 v52, v44, v1
	v_add_f32_e32 v1, v8, v52
	ds_bpermute_b32 v7, v45, v1
	s_waitcnt lgkmcnt(0)
	v_add_f32_e32 v1, v1, v7
	ds_bpermute_b32 v7, v46, v1
	s_and_saveexec_b32 s3, vcc_lo
	s_cbranch_execz .LBB392_9
; %bb.347:                              ;   in Loop: Header=BB392_10 Depth=1
	s_waitcnt lgkmcnt(0)
	v_add_f32_e32 v1, v1, v7
	v_add_nc_u32_e32 v8, s5, v47
	v_cmp_gt_i32_e64 s1, s33, v47
	s_delay_alu instid0(VALU_DEP_2) | instskip(NEXT) | instid1(VALU_DEP_1)
	v_cvt_f32_i32_e32 v8, v8
	v_mul_f32_e32 v8, s12, v8
	s_delay_alu instid0(VALU_DEP_1) | instskip(NEXT) | instid1(VALU_DEP_1)
	v_cndmask_b32_e64 v7, 0, v8, s0
	v_dual_max_f32 v8, v43, v43 :: v_dual_fmac_f32 v7, s13, v1
	s_delay_alu instid0(VALU_DEP_1) | instskip(SKIP_1) | instid1(VALU_DEP_2)
	v_max_f32_e32 v1, v8, v7
	v_cndmask_b32_e64 v7, 0, v7, s1
	v_cndmask_b32_e64 v43, v43, v1, s1
	ds_store_b32 v48, v7
	s_branch .LBB392_9
.LBB392_348:
	s_or_b32 exec_lo, exec_lo, s10
.LBB392_349:
	s_delay_alu instid0(SALU_CYCLE_1) | instskip(SKIP_4) | instid1(VALU_DEP_4)
	s_or_b32 exec_lo, exec_lo, s21
	v_xor_b32_e32 v1, 16, v10
	v_xor_b32_e32 v3, 8, v10
	v_and_b32_e32 v19, 31, v0
	v_max_f32_e32 v5, v43, v43
	v_cmp_lt_i32_e32 vcc_lo, v1, v11
	v_cndmask_b32_e32 v1, v10, v1, vcc_lo
	v_cmp_lt_i32_e32 vcc_lo, v3, v11
	v_cndmask_b32_e32 v3, v10, v3, vcc_lo
	s_delay_alu instid0(VALU_DEP_1) | instskip(NEXT) | instid1(VALU_DEP_4)
	v_lshlrev_b32_e32 v4, 2, v3
	v_lshlrev_b32_e32 v2, 2, v1
	ds_bpermute_b32 v1, v2, v43
	s_waitcnt lgkmcnt(0)
	v_max_f32_e32 v1, v1, v1
	s_delay_alu instid0(VALU_DEP_1)
	v_max_f32_e32 v1, v5, v1
	v_xor_b32_e32 v5, 4, v10
	ds_bpermute_b32 v3, v4, v1
	v_cmp_lt_i32_e32 vcc_lo, v5, v11
	v_cndmask_b32_e32 v5, v10, v5, vcc_lo
	v_cmp_eq_u32_e32 vcc_lo, 0, v19
	s_delay_alu instid0(VALU_DEP_2) | instskip(SKIP_3) | instid1(VALU_DEP_1)
	v_lshlrev_b32_e32 v7, 2, v5
	v_lshlrev_b32_e32 v5, 2, v18
	s_waitcnt lgkmcnt(0)
	v_max_f32_e32 v3, v3, v3
	v_max_f32_e32 v1, v1, v3
	ds_bpermute_b32 v3, v7, v1
	s_and_saveexec_b32 s0, vcc_lo
	s_cbranch_execz .LBB392_351
; %bb.350:
	s_waitcnt lgkmcnt(0)
	v_max_f32_e32 v3, v3, v3
	v_max_f32_e32 v1, v1, v1
	s_delay_alu instid0(VALU_DEP_1)
	v_max_f32_e32 v1, v1, v3
	ds_store_b32 v5, v1 offset:224
.LBB392_351:
	s_or_b32 exec_lo, exec_lo, s0
	v_cmp_gt_u32_e64 s0, 4, v19
	v_dual_mov_b32 v1, 0xff7fffff :: v_dual_lshlrev_b32 v6, 2, v19
	s_waitcnt lgkmcnt(0)
	s_barrier
	buffer_gl0_inv
	s_and_saveexec_b32 s1, s0
	s_cbranch_execz .LBB392_353
; %bb.352:
	ds_load_b32 v1, v6 offset:224
.LBB392_353:
	s_or_b32 exec_lo, exec_lo, s1
	v_xor_b32_e32 v3, 2, v10
	v_xor_b32_e32 v12, 1, v10
	s_delay_alu instid0(VALU_DEP_2) | instskip(NEXT) | instid1(VALU_DEP_1)
	v_cmp_lt_i32_e64 s1, v3, v11
	v_cndmask_b32_e64 v3, v10, v3, s1
	s_delay_alu instid0(VALU_DEP_3) | instskip(NEXT) | instid1(VALU_DEP_2)
	v_cmp_lt_i32_e64 s1, v12, v11
	v_lshlrev_b32_e32 v8, 2, v3
	s_delay_alu instid0(VALU_DEP_2)
	v_cndmask_b32_e64 v11, v10, v12, s1
	s_sub_i32 s1, s23, s11
	v_mov_b32_e32 v12, 0
	s_lshl_b32 s1, s1, 3
	s_waitcnt lgkmcnt(0)
	ds_bpermute_b32 v3, v8, v1
	v_max_f32_e32 v1, v1, v1
	v_lshlrev_b32_e32 v11, 2, v11
	s_add_i32 s1, s1, s36
	v_lshlrev_b32_e32 v10, 2, v10
	s_min_i32 s1, s1, s33
	s_delay_alu instid0(SALU_CYCLE_1) | instskip(NEXT) | instid1(SALU_CYCLE_1)
	s_sub_i32 s4, s1, s36
	v_cmp_gt_i32_e64 s1, s4, v0
	s_waitcnt lgkmcnt(0)
	v_dual_max_f32 v3, v3, v3 :: v_dual_and_b32 v10, 0xffffff80, v10
	s_delay_alu instid0(VALU_DEP_1) | instskip(SKIP_3) | instid1(VALU_DEP_1)
	v_max_f32_e32 v1, v1, v3
	ds_bpermute_b32 v3, v11, v1
	s_waitcnt lgkmcnt(0)
	v_max_f32_e32 v3, v3, v3
	v_max_f32_e32 v1, v1, v3
	v_lshl_add_u32 v3, v0, 2, 0x100
	ds_bpermute_b32 v1, v10, v1
	s_and_saveexec_b32 s5, s1
	s_cbranch_execz .LBB392_357
; %bb.354:
	v_lshl_add_u32 v15, v0, 2, 0x100
	v_mov_b32_e32 v12, 0
	v_mov_b32_e32 v16, v0
	s_mov_b32 s10, 0
	.p2align	6
.LBB392_355:                            ; =>This Inner Loop Header: Depth=1
	ds_load_b32 v17, v15
	v_add_nc_u32_e32 v16, 0x80, v16
	s_delay_alu instid0(VALU_DEP_1) | instskip(NEXT) | instid1(VALU_DEP_1)
	v_cmp_le_i32_e64 s3, s4, v16
	s_or_b32 s10, s3, s10
	s_waitcnt lgkmcnt(0)
	v_sub_f32_e32 v17, v17, v1
	s_delay_alu instid0(VALU_DEP_1) | instskip(NEXT) | instid1(VALU_DEP_1)
	v_mul_f32_e32 v17, 0x3fb8aa3b, v17
	v_exp_f32_e32 v17, v17
	ds_store_b32 v15, v17
	v_dual_add_f32 v12, v12, v17 :: v_dual_add_nc_u32 v15, 0x200, v15
	s_and_not1_b32 exec_lo, exec_lo, s10
	s_cbranch_execnz .LBB392_355
; %bb.356:
	s_or_b32 exec_lo, exec_lo, s10
.LBB392_357:
	s_delay_alu instid0(SALU_CYCLE_1)
	s_or_b32 exec_lo, exec_lo, s5
	ds_bpermute_b32 v2, v2, v12
	s_waitcnt lgkmcnt(0)
	v_add_f32_e32 v2, v12, v2
	ds_bpermute_b32 v4, v4, v2
	s_waitcnt lgkmcnt(0)
	v_add_f32_e32 v2, v2, v4
	;; [unrolled: 3-line block ×5, first 2 shown]
	s_and_saveexec_b32 s3, vcc_lo
	s_cbranch_execz .LBB392_359
; %bb.358:
	ds_store_b32 v5, v2 offset:240
.LBB392_359:
	s_or_b32 exec_lo, exec_lo, s3
	s_waitcnt lgkmcnt(0)
	s_barrier
	buffer_gl0_inv
	s_and_saveexec_b32 s3, s0
	s_cbranch_execz .LBB392_361
; %bb.360:
	ds_load_b32 v2, v6 offset:240
.LBB392_361:
	s_or_b32 exec_lo, exec_lo, s3
	s_waitcnt lgkmcnt(0)
	ds_bpermute_b32 v4, v8, v2
	s_waitcnt lgkmcnt(0)
	v_add_f32_e32 v2, v2, v4
	ds_bpermute_b32 v4, v11, v2
	s_waitcnt lgkmcnt(0)
	v_add_f32_e32 v2, v2, v4
	ds_bpermute_b32 v2, v10, v2
	s_and_saveexec_b32 s0, s1
	s_cbranch_execz .LBB392_364
; %bb.362:
	s_waitcnt lgkmcnt(0)
	v_add_f32_e32 v4, 0x358637bd, v2
	s_mov_b32 s1, 0
	s_delay_alu instid0(VALU_DEP_1) | instskip(SKIP_1) | instid1(VALU_DEP_2)
	v_div_scale_f32 v5, null, v4, v4, 1.0
	v_div_scale_f32 v8, vcc_lo, 1.0, v4, 1.0
	v_rcp_f32_e32 v6, v5
	s_waitcnt_depctr 0xfff
	v_fma_f32 v7, -v5, v6, 1.0
	s_delay_alu instid0(VALU_DEP_1) | instskip(NEXT) | instid1(VALU_DEP_1)
	v_fmac_f32_e32 v6, v7, v6
	v_mul_f32_e32 v7, v8, v6
	s_delay_alu instid0(VALU_DEP_1) | instskip(NEXT) | instid1(VALU_DEP_1)
	v_fma_f32 v10, -v5, v7, v8
	v_fmac_f32_e32 v7, v10, v6
	s_delay_alu instid0(VALU_DEP_1) | instskip(NEXT) | instid1(VALU_DEP_1)
	v_fma_f32 v5, -v5, v7, v8
	v_div_fmas_f32 v5, v5, v6, v7
	s_delay_alu instid0(VALU_DEP_1)
	v_div_fixup_f32 v4, v5, v4, 1.0
	v_mov_b32_e32 v5, v0
.LBB392_363:                            ; =>This Inner Loop Header: Depth=1
	ds_load_b32 v6, v3
	s_waitcnt lgkmcnt(0)
	v_dual_mul_f32 v6, v4, v6 :: v_dual_add_nc_u32 v5, 0x80, v5
	s_delay_alu instid0(VALU_DEP_1) | instskip(SKIP_3) | instid1(SALU_CYCLE_1)
	v_cmp_le_i32_e32 vcc_lo, s4, v5
	ds_store_b32 v3, v6
	v_add_nc_u32_e32 v3, 0x200, v3
	s_or_b32 s1, vcc_lo, s1
	s_and_not1_b32 exec_lo, exec_lo, s1
	s_cbranch_execnz .LBB392_363
.LBB392_364:
	s_or_b32 exec_lo, exec_lo, s0
	s_mul_i32 s0, s8, s14
	s_mov_b32 s12, 0
	s_mul_i32 s10, s0, s15
	s_mov_b32 s0, exec_lo
	s_waitcnt lgkmcnt(0)
	s_barrier
	buffer_gl0_inv
	v_cmpx_eq_u32_e32 0, v0
	s_cbranch_execz .LBB392_366
; %bb.365:
	s_ashr_i32 s11, s10, 31
	s_mul_i32 s14, s8, s26
	s_lshl_b64 s[4:5], s[10:11], 2
	v_mov_b32_e32 v3, 0
	s_add_u32 s1, s18, s4
	s_addc_u32 s3, s19, s5
	s_ashr_i32 s15, s14, 31
	s_delay_alu instid0(SALU_CYCLE_1) | instskip(NEXT) | instid1(SALU_CYCLE_1)
	s_lshl_b64 s[14:15], s[14:15], 2
	s_add_u32 s1, s1, s14
	s_addc_u32 s3, s3, s15
	s_ashr_i32 s21, s20, 31
	s_delay_alu instid0(SALU_CYCLE_1) | instskip(NEXT) | instid1(SALU_CYCLE_1)
	s_lshl_b64 s[18:19], s[20:21], 2
	s_add_u32 s38, s1, s18
	s_addc_u32 s39, s3, s19
	s_add_u32 s1, s16, s4
	s_addc_u32 s3, s17, s5
	;; [unrolled: 2-line block ×4, first 2 shown]
	s_clause 0x1
	global_store_b32 v3, v1, s[38:39]
	global_store_b32 v3, v2, s[4:5]
.LBB392_366:
	s_or_b32 exec_lo, exec_lo, s0
	s_mov_b32 s13, s12
	s_mov_b32 s14, s12
	;; [unrolled: 1-line block ×3, first 2 shown]
	v_dual_mov_b32 v1, s12 :: v_dual_mov_b32 v2, s13
	v_dual_mov_b32 v3, s14 :: v_dual_mov_b32 v4, s15
	s_and_saveexec_b32 s11, s2
	s_cbranch_execz .LBB392_908
; %bb.367:
	s_load_b32 s15, s[6:7], 0x0
	v_or_b32_e32 v1, 0x60, v19
	s_mov_b32 s4, 0
	s_ashr_i32 s0, s37, 31
	s_mov_b32 s5, s4
	s_mov_b32 s6, s4
	v_cmp_gt_u32_e32 vcc_lo, 0x70, v1
	s_mov_b32 s7, s4
	v_lshlrev_b32_e32 v21, 3, v1
	v_lshlrev_b64 v[1:2], 2, v[13:14]
	s_add_u32 s2, s34, s37
	s_addc_u32 s3, s35, s0
	s_lshl_b64 s[0:1], s[30:31], 2
	s_add_i32 s14, s27, -1
	s_add_u32 s0, s28, s0
	s_addc_u32 s1, s29, s1
	v_add_co_u32 v16, s0, s0, v1
	s_delay_alu instid0(VALU_DEP_1)
	v_add_co_ci_u32_e64 v17, s0, s1, v2, s0
	v_dual_mov_b32 v1, s4 :: v_dual_mov_b32 v4, s7
	v_dual_mov_b32 v15, 0 :: v_dual_lshlrev_b32 v20, 3, v19
	v_add3_u32 v22, s36, v9, 7
	v_lshl_add_u32 v23, v18, 5, 0x100
	v_dual_mov_b32 v2, s5 :: v_dual_mov_b32 v3, s6
	s_mov_b32 s12, -1
	s_mov_b32 s13, 0xffffff
	s_mov_b32 s5, s9
	s_branch .LBB392_370
.LBB392_368:                            ;   in Loop: Header=BB392_370 Depth=1
	s_or_b32 exec_lo, exec_lo, s1
	v_and_b32_e32 v9, 0xffff0000, v9
	v_and_b32_e32 v7, 0xffff0000, v7
	;; [unrolled: 1-line block ×5, first 2 shown]
	s_delay_alu instid0(VALU_DEP_4) | instskip(NEXT) | instid1(VALU_DEP_1)
	v_dual_add_f32 v7, v7, v9 :: v_dual_and_b32 v12, 0xffff0000, v12
	v_dual_add_f32 v8, v12, v8 :: v_dual_and_b32 v11, 0xffff0000, v11
	s_delay_alu instid0(VALU_DEP_1) | instskip(NEXT) | instid1(VALU_DEP_1)
	v_add_f32_e32 v9, v10, v11
	v_dual_add_f32 v7, v7, v9 :: v_dual_and_b32 v6, 0xffff0000, v6
	s_delay_alu instid0(VALU_DEP_1) | instskip(NEXT) | instid1(VALU_DEP_2)
	v_add_f32_e32 v7, v7, v8
	v_add_f32_e32 v5, v6, v5
	s_delay_alu instid0(VALU_DEP_1) | instskip(NEXT) | instid1(VALU_DEP_1)
	v_add_f32_e32 v5, v7, v5
	v_add_f32_e32 v4, v4, v5
.LBB392_369:                            ;   in Loop: Header=BB392_370 Depth=1
	s_or_b32 exec_lo, exec_lo, s6
	v_add_nc_u32_e32 v13, 4, v13
	v_add_co_u32 v16, s1, v16, 16
	v_add_nc_u32_e32 v22, 32, v22
	v_add_nc_u32_e32 v23, 0x80, v23
	s_delay_alu instid0(VALU_DEP_4) | instskip(SKIP_1) | instid1(VALU_DEP_2)
	v_cmp_le_i32_e64 s0, s23, v13
	v_add_co_ci_u32_e64 v17, s1, 0, v17, s1
	s_or_b32 s4, s0, s4
	s_delay_alu instid0(SALU_CYCLE_1)
	s_and_not1_b32 exec_lo, exec_lo, s4
	s_cbranch_execz .LBB392_907
.LBB392_370:                            ; =>This Inner Loop Header: Depth=1
	global_load_b32 v14, v[16:17], off
	ds_load_2addr_b64 v[9:12], v23 offset1:1
	ds_load_2addr_b64 v[5:8], v23 offset0:2 offset1:3
                                        ; implicit-def: $vgpr25
	s_waitcnt lgkmcnt(0)
	v_and_b32_e32 v24, 0x7f800000, v9
	s_delay_alu instid0(VALU_DEP_1) | instskip(NEXT) | instid1(VALU_DEP_1)
	v_cmp_ne_u32_e64 s0, 0x7f800000, v24
	s_and_saveexec_b32 s1, s0
	s_delay_alu instid0(SALU_CYCLE_1)
	s_xor_b32 s0, exec_lo, s1
; %bb.371:                              ;   in Loop: Header=BB392_370 Depth=1
	v_bfe_u32 v24, v9, 16, 1
	s_delay_alu instid0(VALU_DEP_1)
	v_add3_u32 v25, v9, v24, 0x7fff
; %bb.372:                              ;   in Loop: Header=BB392_370 Depth=1
	s_and_not1_saveexec_b32 s1, s0
; %bb.373:                              ;   in Loop: Header=BB392_370 Depth=1
	v_and_b32_e32 v24, 0xffff, v9
	v_or_b32_e32 v25, 0x10000, v9
	s_delay_alu instid0(VALU_DEP_2) | instskip(NEXT) | instid1(VALU_DEP_1)
	v_cmp_eq_u32_e64 s0, 0, v24
	v_cndmask_b32_e64 v25, v25, v9, s0
; %bb.374:                              ;   in Loop: Header=BB392_370 Depth=1
	s_or_b32 exec_lo, exec_lo, s1
	v_and_b32_e32 v9, 0x7f800000, v10
                                        ; implicit-def: $vgpr26
	s_delay_alu instid0(VALU_DEP_1) | instskip(NEXT) | instid1(VALU_DEP_1)
	v_cmp_ne_u32_e64 s0, 0x7f800000, v9
	s_and_saveexec_b32 s1, s0
	s_delay_alu instid0(SALU_CYCLE_1)
	s_xor_b32 s0, exec_lo, s1
; %bb.375:                              ;   in Loop: Header=BB392_370 Depth=1
	v_bfe_u32 v9, v10, 16, 1
	s_delay_alu instid0(VALU_DEP_1)
	v_add3_u32 v26, v10, v9, 0x7fff
; %bb.376:                              ;   in Loop: Header=BB392_370 Depth=1
	s_and_not1_saveexec_b32 s1, s0
; %bb.377:                              ;   in Loop: Header=BB392_370 Depth=1
	v_and_b32_e32 v9, 0xffff, v10
	v_or_b32_e32 v24, 0x10000, v10
	s_delay_alu instid0(VALU_DEP_2) | instskip(NEXT) | instid1(VALU_DEP_1)
	v_cmp_eq_u32_e64 s0, 0, v9
	v_cndmask_b32_e64 v26, v24, v10, s0
; %bb.378:                              ;   in Loop: Header=BB392_370 Depth=1
	s_or_b32 exec_lo, exec_lo, s1
	v_and_b32_e32 v9, 0x7f800000, v11
                                        ; implicit-def: $vgpr27
	s_delay_alu instid0(VALU_DEP_1) | instskip(NEXT) | instid1(VALU_DEP_1)
	v_cmp_ne_u32_e64 s0, 0x7f800000, v9
	s_and_saveexec_b32 s1, s0
	s_delay_alu instid0(SALU_CYCLE_1)
	s_xor_b32 s0, exec_lo, s1
; %bb.379:                              ;   in Loop: Header=BB392_370 Depth=1
	v_bfe_u32 v9, v11, 16, 1
	s_delay_alu instid0(VALU_DEP_1)
	v_add3_u32 v27, v11, v9, 0x7fff
; %bb.380:                              ;   in Loop: Header=BB392_370 Depth=1
	s_and_not1_saveexec_b32 s1, s0
; %bb.381:                              ;   in Loop: Header=BB392_370 Depth=1
	v_and_b32_e32 v9, 0xffff, v11
	v_or_b32_e32 v10, 0x10000, v11
	s_delay_alu instid0(VALU_DEP_2) | instskip(NEXT) | instid1(VALU_DEP_1)
	v_cmp_eq_u32_e64 s0, 0, v9
	v_cndmask_b32_e64 v27, v10, v11, s0
; %bb.382:                              ;   in Loop: Header=BB392_370 Depth=1
	s_or_b32 exec_lo, exec_lo, s1
	v_and_b32_e32 v9, 0x7f800000, v12
                                        ; implicit-def: $vgpr28
	s_delay_alu instid0(VALU_DEP_1) | instskip(NEXT) | instid1(VALU_DEP_1)
	v_cmp_ne_u32_e64 s0, 0x7f800000, v9
	s_and_saveexec_b32 s1, s0
	s_delay_alu instid0(SALU_CYCLE_1)
	s_xor_b32 s0, exec_lo, s1
; %bb.383:                              ;   in Loop: Header=BB392_370 Depth=1
	v_bfe_u32 v9, v12, 16, 1
	s_delay_alu instid0(VALU_DEP_1)
	v_add3_u32 v28, v12, v9, 0x7fff
                                        ; implicit-def: $vgpr9_vgpr10_vgpr11_vgpr12
; %bb.384:                              ;   in Loop: Header=BB392_370 Depth=1
	s_and_not1_saveexec_b32 s1, s0
; %bb.385:                              ;   in Loop: Header=BB392_370 Depth=1
	v_and_b32_e32 v9, 0xffff, v12
	v_or_b32_e32 v10, 0x10000, v12
	s_delay_alu instid0(VALU_DEP_2) | instskip(NEXT) | instid1(VALU_DEP_1)
	v_cmp_eq_u32_e64 s0, 0, v9
	v_cndmask_b32_e64 v28, v10, v12, s0
; %bb.386:                              ;   in Loop: Header=BB392_370 Depth=1
	s_or_b32 exec_lo, exec_lo, s1
	v_and_b32_e32 v9, 0x7f800000, v5
                                        ; implicit-def: $vgpr29
	s_delay_alu instid0(VALU_DEP_1) | instskip(NEXT) | instid1(VALU_DEP_1)
	v_cmp_ne_u32_e64 s0, 0x7f800000, v9
	s_and_saveexec_b32 s1, s0
	s_delay_alu instid0(SALU_CYCLE_1)
	s_xor_b32 s0, exec_lo, s1
; %bb.387:                              ;   in Loop: Header=BB392_370 Depth=1
	v_bfe_u32 v9, v5, 16, 1
	s_delay_alu instid0(VALU_DEP_1)
	v_add3_u32 v29, v5, v9, 0x7fff
; %bb.388:                              ;   in Loop: Header=BB392_370 Depth=1
	s_and_not1_saveexec_b32 s1, s0
; %bb.389:                              ;   in Loop: Header=BB392_370 Depth=1
	v_and_b32_e32 v9, 0xffff, v5
	v_or_b32_e32 v10, 0x10000, v5
	s_delay_alu instid0(VALU_DEP_2) | instskip(NEXT) | instid1(VALU_DEP_1)
	v_cmp_eq_u32_e64 s0, 0, v9
	v_cndmask_b32_e64 v29, v10, v5, s0
; %bb.390:                              ;   in Loop: Header=BB392_370 Depth=1
	s_or_b32 exec_lo, exec_lo, s1
	v_and_b32_e32 v5, 0x7f800000, v6
                                        ; implicit-def: $vgpr30
	s_delay_alu instid0(VALU_DEP_1) | instskip(NEXT) | instid1(VALU_DEP_1)
	v_cmp_ne_u32_e64 s0, 0x7f800000, v5
	s_and_saveexec_b32 s1, s0
	s_delay_alu instid0(SALU_CYCLE_1)
	s_xor_b32 s0, exec_lo, s1
; %bb.391:                              ;   in Loop: Header=BB392_370 Depth=1
	v_bfe_u32 v5, v6, 16, 1
	s_delay_alu instid0(VALU_DEP_1)
	v_add3_u32 v30, v6, v5, 0x7fff
; %bb.392:                              ;   in Loop: Header=BB392_370 Depth=1
	s_and_not1_saveexec_b32 s1, s0
; %bb.393:                              ;   in Loop: Header=BB392_370 Depth=1
	v_and_b32_e32 v5, 0xffff, v6
	v_or_b32_e32 v9, 0x10000, v6
	s_delay_alu instid0(VALU_DEP_2) | instskip(NEXT) | instid1(VALU_DEP_1)
	v_cmp_eq_u32_e64 s0, 0, v5
	v_cndmask_b32_e64 v30, v9, v6, s0
; %bb.394:                              ;   in Loop: Header=BB392_370 Depth=1
	s_or_b32 exec_lo, exec_lo, s1
	v_and_b32_e32 v5, 0x7f800000, v7
                                        ; implicit-def: $vgpr31
	s_delay_alu instid0(VALU_DEP_1) | instskip(NEXT) | instid1(VALU_DEP_1)
	v_cmp_ne_u32_e64 s0, 0x7f800000, v5
	s_and_saveexec_b32 s1, s0
	s_delay_alu instid0(SALU_CYCLE_1)
	s_xor_b32 s0, exec_lo, s1
; %bb.395:                              ;   in Loop: Header=BB392_370 Depth=1
	v_bfe_u32 v5, v7, 16, 1
	s_delay_alu instid0(VALU_DEP_1)
	v_add3_u32 v31, v7, v5, 0x7fff
; %bb.396:                              ;   in Loop: Header=BB392_370 Depth=1
	s_and_not1_saveexec_b32 s1, s0
; %bb.397:                              ;   in Loop: Header=BB392_370 Depth=1
	v_and_b32_e32 v5, 0xffff, v7
	v_or_b32_e32 v6, 0x10000, v7
	s_delay_alu instid0(VALU_DEP_2) | instskip(NEXT) | instid1(VALU_DEP_1)
	v_cmp_eq_u32_e64 s0, 0, v5
	v_cndmask_b32_e64 v31, v6, v7, s0
; %bb.398:                              ;   in Loop: Header=BB392_370 Depth=1
	s_or_b32 exec_lo, exec_lo, s1
	v_and_b32_e32 v5, 0x7f800000, v8
                                        ; implicit-def: $vgpr32
	s_delay_alu instid0(VALU_DEP_1) | instskip(NEXT) | instid1(VALU_DEP_1)
	v_cmp_ne_u32_e64 s0, 0x7f800000, v5
	s_and_saveexec_b32 s1, s0
	s_delay_alu instid0(SALU_CYCLE_1)
	s_xor_b32 s0, exec_lo, s1
; %bb.399:                              ;   in Loop: Header=BB392_370 Depth=1
	v_bfe_u32 v5, v8, 16, 1
	s_delay_alu instid0(VALU_DEP_1)
	v_add3_u32 v32, v8, v5, 0x7fff
                                        ; implicit-def: $vgpr5_vgpr6_vgpr7_vgpr8
; %bb.400:                              ;   in Loop: Header=BB392_370 Depth=1
	s_and_not1_saveexec_b32 s1, s0
; %bb.401:                              ;   in Loop: Header=BB392_370 Depth=1
	v_and_b32_e32 v5, 0xffff, v8
	v_or_b32_e32 v6, 0x10000, v8
	s_delay_alu instid0(VALU_DEP_2) | instskip(NEXT) | instid1(VALU_DEP_1)
	v_cmp_eq_u32_e64 s0, 0, v5
	v_cndmask_b32_e64 v32, v6, v8, s0
; %bb.402:                              ;   in Loop: Header=BB392_370 Depth=1
	s_or_b32 exec_lo, exec_lo, s1
	s_waitcnt vmcnt(0)
	v_mad_i64_i32 v[5:6], null, v14, s5, s[2:3]
	s_mov_b32 s1, exec_lo
	v_mov_b32_e32 v11, 0
	s_delay_alu instid0(VALU_DEP_2) | instskip(NEXT) | instid1(VALU_DEP_1)
	v_add_co_u32 v7, s0, v5, v20
	v_add_co_ci_u32_e64 v8, s0, 0, v6, s0
	global_load_b64 v[9:10], v[7:8], off
	s_waitcnt vmcnt(0)
	v_and_b32_e32 v12, 0xff, v9
	s_delay_alu instid0(VALU_DEP_1)
	v_cmpx_ne_u16_e32 0, v12
	s_cbranch_execz .LBB392_408
; %bb.403:                              ;   in Loop: Header=BB392_370 Depth=1
	v_bfrev_b32_e32 v11, 1
	s_mov_b32 s6, exec_lo
	v_cmpx_ne_u16_e32 0x80, v12
	s_cbranch_execz .LBB392_407
; %bb.404:                              ;   in Loop: Header=BB392_370 Depth=1
	v_and_b32_e32 v12, 0x7f, v9
	v_mov_b32_e32 v11, 0x7f800001
	s_mov_b32 s7, exec_lo
	s_delay_alu instid0(VALU_DEP_2)
	v_cmpx_ne_u32_e32 0x7f, v12
	s_cbranch_execz .LBB392_406
; %bb.405:                              ;   in Loop: Header=BB392_370 Depth=1
	v_and_b32_e32 v11, 7, v9
	v_lshrrev_b32_e32 v14, 3, v12
	v_cmp_gt_u32_e64 s0, 8, v12
	s_delay_alu instid0(VALU_DEP_3) | instskip(NEXT) | instid1(VALU_DEP_1)
	v_clz_i32_u32_e32 v11, v11
	v_min_u32_e32 v11, 32, v11
	s_delay_alu instid0(VALU_DEP_1) | instskip(SKIP_1) | instid1(VALU_DEP_1)
	v_subrev_nc_u32_e32 v24, 28, v11
	v_sub_nc_u32_e32 v11, 29, v11
	v_cndmask_b32_e64 v14, v14, v11, s0
	s_delay_alu instid0(VALU_DEP_3) | instskip(NEXT) | instid1(VALU_DEP_2)
	v_cndmask_b32_e64 v11, 0, v24, s0
	v_lshl_add_u32 v14, v14, 23, 0x3c000000
	s_delay_alu instid0(VALU_DEP_2) | instskip(SKIP_1) | instid1(VALU_DEP_2)
	v_lshlrev_b64 v[11:12], v11, v[9:10]
	v_lshlrev_b32_e32 v12, 24, v9
	v_lshlrev_b32_e32 v11, 20, v11
	s_delay_alu instid0(VALU_DEP_2) | instskip(NEXT) | instid1(VALU_DEP_2)
	v_and_b32_e32 v12, 0x80000000, v12
	v_and_b32_e32 v11, 0x700000, v11
	s_delay_alu instid0(VALU_DEP_1)
	v_or3_b32 v11, v11, v12, v14
.LBB392_406:                            ;   in Loop: Header=BB392_370 Depth=1
	s_or_b32 exec_lo, exec_lo, s7
.LBB392_407:                            ;   in Loop: Header=BB392_370 Depth=1
	s_delay_alu instid0(SALU_CYCLE_1)
	s_or_b32 exec_lo, exec_lo, s6
.LBB392_408:                            ;   in Loop: Header=BB392_370 Depth=1
	s_delay_alu instid0(SALU_CYCLE_1) | instskip(NEXT) | instid1(VALU_DEP_1)
	s_or_b32 exec_lo, exec_lo, s1
	v_mul_f32_e32 v11, s15, v11
                                        ; implicit-def: $vgpr33
	s_delay_alu instid0(VALU_DEP_1) | instskip(NEXT) | instid1(VALU_DEP_1)
	v_and_b32_e32 v12, 0x7f800000, v11
	v_cmp_ne_u32_e64 s0, 0x7f800000, v12
	s_delay_alu instid0(VALU_DEP_1) | instskip(NEXT) | instid1(SALU_CYCLE_1)
	s_and_saveexec_b32 s1, s0
	s_xor_b32 s0, exec_lo, s1
; %bb.409:                              ;   in Loop: Header=BB392_370 Depth=1
	v_bfe_u32 v12, v11, 16, 1
	s_delay_alu instid0(VALU_DEP_1)
	v_add3_u32 v33, v11, v12, 0x7fff
                                        ; implicit-def: $vgpr11
; %bb.410:                              ;   in Loop: Header=BB392_370 Depth=1
	s_and_not1_saveexec_b32 s1, s0
; %bb.411:                              ;   in Loop: Header=BB392_370 Depth=1
	v_and_b32_e32 v12, 0xffff, v11
	v_or_b32_e32 v14, 0x10000, v11
	s_delay_alu instid0(VALU_DEP_2) | instskip(NEXT) | instid1(VALU_DEP_1)
	v_cmp_eq_u32_e64 s0, 0, v12
	v_cndmask_b32_e64 v33, v14, v11, s0
; %bb.412:                              ;   in Loop: Header=BB392_370 Depth=1
	s_or_b32 exec_lo, exec_lo, s1
	v_lshrrev_b16 v12, 8, v9
	v_mov_b32_e32 v11, 0
	s_mov_b32 s1, exec_lo
	s_delay_alu instid0(VALU_DEP_2)
	v_cmpx_ne_u16_e32 0, v12
	s_cbranch_execz .LBB392_420
; %bb.413:                              ;   in Loop: Header=BB392_370 Depth=1
	v_bfrev_b32_e32 v11, 1
	s_mov_b32 s6, exec_lo
	v_cmpx_ne_u16_e32 0x80, v12
	s_cbranch_execz .LBB392_419
; %bb.414:                              ;   in Loop: Header=BB392_370 Depth=1
	v_and_b32_e32 v14, 0xffff, v12
	v_mov_b32_e32 v11, 0x7f800001
	s_mov_b32 s7, exec_lo
	s_delay_alu instid0(VALU_DEP_2) | instskip(NEXT) | instid1(VALU_DEP_1)
	v_and_b32_e32 v12, 0x7f, v14
	v_cmpx_ne_u32_e32 0x7f, v12
	s_cbranch_execz .LBB392_418
; %bb.415:                              ;   in Loop: Header=BB392_370 Depth=1
	v_and_b32_e32 v14, 7, v14
	v_lshrrev_b32_e32 v11, 3, v12
	s_mov_b32 s9, exec_lo
	v_cmpx_gt_u32_e32 8, v12
; %bb.416:                              ;   in Loop: Header=BB392_370 Depth=1
	s_delay_alu instid0(VALU_DEP_3) | instskip(NEXT) | instid1(VALU_DEP_1)
	v_clz_i32_u32_e32 v11, v14
	v_min_u32_e32 v11, 32, v11
	s_delay_alu instid0(VALU_DEP_1) | instskip(SKIP_1) | instid1(VALU_DEP_2)
	v_subrev_nc_u32_e32 v12, 28, v11
	v_sub_nc_u32_e32 v11, 29, v11
	v_lshlrev_b64 v[34:35], v12, v[14:15]
	s_delay_alu instid0(VALU_DEP_1)
	v_and_b32_e32 v14, 7, v34
; %bb.417:                              ;   in Loop: Header=BB392_370 Depth=1
	s_or_b32 exec_lo, exec_lo, s9
	v_lshlrev_b32_e32 v12, 16, v9
	s_delay_alu instid0(VALU_DEP_2) | instskip(SKIP_1) | instid1(VALU_DEP_3)
	v_lshlrev_b32_e32 v14, 20, v14
	v_lshl_add_u32 v11, v11, 23, 0x3c000000
	v_and_b32_e32 v12, 0x80000000, v12
	s_delay_alu instid0(VALU_DEP_1)
	v_or3_b32 v11, v14, v12, v11
.LBB392_418:                            ;   in Loop: Header=BB392_370 Depth=1
	s_or_b32 exec_lo, exec_lo, s7
.LBB392_419:                            ;   in Loop: Header=BB392_370 Depth=1
	s_delay_alu instid0(SALU_CYCLE_1)
	s_or_b32 exec_lo, exec_lo, s6
.LBB392_420:                            ;   in Loop: Header=BB392_370 Depth=1
	s_delay_alu instid0(SALU_CYCLE_1) | instskip(NEXT) | instid1(VALU_DEP_1)
	s_or_b32 exec_lo, exec_lo, s1
	v_mul_f32_e32 v11, s15, v11
                                        ; implicit-def: $vgpr34
	s_delay_alu instid0(VALU_DEP_1) | instskip(NEXT) | instid1(VALU_DEP_1)
	v_and_b32_e32 v12, 0x7f800000, v11
	v_cmp_ne_u32_e64 s0, 0x7f800000, v12
	s_delay_alu instid0(VALU_DEP_1) | instskip(NEXT) | instid1(SALU_CYCLE_1)
	s_and_saveexec_b32 s1, s0
	s_xor_b32 s0, exec_lo, s1
; %bb.421:                              ;   in Loop: Header=BB392_370 Depth=1
	v_bfe_u32 v12, v11, 16, 1
	s_delay_alu instid0(VALU_DEP_1)
	v_add3_u32 v34, v11, v12, 0x7fff
                                        ; implicit-def: $vgpr11
; %bb.422:                              ;   in Loop: Header=BB392_370 Depth=1
	s_and_not1_saveexec_b32 s1, s0
; %bb.423:                              ;   in Loop: Header=BB392_370 Depth=1
	v_and_b32_e32 v12, 0xffff, v11
	v_or_b32_e32 v14, 0x10000, v11
	s_delay_alu instid0(VALU_DEP_2) | instskip(NEXT) | instid1(VALU_DEP_1)
	v_cmp_eq_u32_e64 s0, 0, v12
	v_cndmask_b32_e64 v34, v14, v11, s0
; %bb.424:                              ;   in Loop: Header=BB392_370 Depth=1
	s_or_b32 exec_lo, exec_lo, s1
	v_lshrrev_b32_e32 v11, 16, v9
	v_mov_b32_e32 v12, 0
	s_mov_b32 s1, exec_lo
	s_delay_alu instid0(VALU_DEP_2) | instskip(NEXT) | instid1(VALU_DEP_1)
	v_and_b32_e32 v14, 0xff, v11
	v_cmpx_ne_u16_e32 0, v14
	s_cbranch_execz .LBB392_432
; %bb.425:                              ;   in Loop: Header=BB392_370 Depth=1
	v_bfrev_b32_e32 v12, 1
	s_mov_b32 s6, exec_lo
	v_cmpx_ne_u16_e32 0x80, v14
	s_cbranch_execz .LBB392_431
; %bb.426:                              ;   in Loop: Header=BB392_370 Depth=1
	v_bfe_u32 v24, v9, 16, 7
	v_mov_b32_e32 v12, 0x7f800001
	s_mov_b32 s7, exec_lo
	s_delay_alu instid0(VALU_DEP_2)
	v_cmpx_ne_u32_e32 0x7f, v24
	s_cbranch_execz .LBB392_430
; %bb.427:                              ;   in Loop: Header=BB392_370 Depth=1
	v_and_b32_e32 v14, 7, v11
	v_lshrrev_b32_e32 v12, 3, v24
	s_mov_b32 s9, exec_lo
	v_cmpx_gt_u32_e32 8, v24
; %bb.428:                              ;   in Loop: Header=BB392_370 Depth=1
	s_delay_alu instid0(VALU_DEP_3) | instskip(NEXT) | instid1(VALU_DEP_1)
	v_clz_i32_u32_e32 v12, v14
	v_min_u32_e32 v12, 32, v12
	s_delay_alu instid0(VALU_DEP_1) | instskip(SKIP_1) | instid1(VALU_DEP_2)
	v_subrev_nc_u32_e32 v24, 28, v12
	v_sub_nc_u32_e32 v12, 29, v12
	v_lshlrev_b64 v[35:36], v24, v[14:15]
	s_delay_alu instid0(VALU_DEP_1)
	v_and_b32_e32 v14, 7, v35
; %bb.429:                              ;   in Loop: Header=BB392_370 Depth=1
	s_or_b32 exec_lo, exec_lo, s9
	v_lshlrev_b32_e32 v11, 24, v11
	s_delay_alu instid0(VALU_DEP_2) | instskip(SKIP_1) | instid1(VALU_DEP_3)
	v_lshlrev_b32_e32 v14, 20, v14
	v_lshl_add_u32 v12, v12, 23, 0x3c000000
	v_and_b32_e32 v11, 0x80000000, v11
	s_delay_alu instid0(VALU_DEP_1)
	v_or3_b32 v12, v14, v11, v12
.LBB392_430:                            ;   in Loop: Header=BB392_370 Depth=1
	s_or_b32 exec_lo, exec_lo, s7
.LBB392_431:                            ;   in Loop: Header=BB392_370 Depth=1
	s_delay_alu instid0(SALU_CYCLE_1)
	s_or_b32 exec_lo, exec_lo, s6
.LBB392_432:                            ;   in Loop: Header=BB392_370 Depth=1
	s_delay_alu instid0(SALU_CYCLE_1) | instskip(NEXT) | instid1(VALU_DEP_1)
	s_or_b32 exec_lo, exec_lo, s1
	v_mul_f32_e32 v11, s15, v12
                                        ; implicit-def: $vgpr35
	s_delay_alu instid0(VALU_DEP_1) | instskip(NEXT) | instid1(VALU_DEP_1)
	v_and_b32_e32 v12, 0x7f800000, v11
	v_cmp_ne_u32_e64 s0, 0x7f800000, v12
	s_delay_alu instid0(VALU_DEP_1) | instskip(NEXT) | instid1(SALU_CYCLE_1)
	s_and_saveexec_b32 s1, s0
	s_xor_b32 s0, exec_lo, s1
; %bb.433:                              ;   in Loop: Header=BB392_370 Depth=1
	v_bfe_u32 v12, v11, 16, 1
	s_delay_alu instid0(VALU_DEP_1)
	v_add3_u32 v35, v11, v12, 0x7fff
                                        ; implicit-def: $vgpr11
; %bb.434:                              ;   in Loop: Header=BB392_370 Depth=1
	s_and_not1_saveexec_b32 s1, s0
; %bb.435:                              ;   in Loop: Header=BB392_370 Depth=1
	v_and_b32_e32 v12, 0xffff, v11
	v_or_b32_e32 v14, 0x10000, v11
	s_delay_alu instid0(VALU_DEP_2) | instskip(NEXT) | instid1(VALU_DEP_1)
	v_cmp_eq_u32_e64 s0, 0, v12
	v_cndmask_b32_e64 v35, v14, v11, s0
; %bb.436:                              ;   in Loop: Header=BB392_370 Depth=1
	s_or_b32 exec_lo, exec_lo, s1
	v_mov_b32_e32 v12, 0
	s_mov_b32 s1, exec_lo
	v_cmpx_lt_u32_e32 0xffffff, v9
	s_cbranch_execz .LBB392_444
; %bb.437:                              ;   in Loop: Header=BB392_370 Depth=1
	v_lshrrev_b32_e32 v11, 24, v9
	v_bfrev_b32_e32 v12, 1
	s_mov_b32 s6, exec_lo
	s_delay_alu instid0(VALU_DEP_2)
	v_cmpx_ne_u32_e32 0x80, v11
	s_cbranch_execz .LBB392_443
; %bb.438:                              ;   in Loop: Header=BB392_370 Depth=1
	v_bfe_u32 v24, v9, 24, 7
	v_mov_b32_e32 v12, 0x7f800001
	s_mov_b32 s7, exec_lo
	s_delay_alu instid0(VALU_DEP_2)
	v_cmpx_ne_u32_e32 0x7f, v24
	s_cbranch_execz .LBB392_442
; %bb.439:                              ;   in Loop: Header=BB392_370 Depth=1
	v_and_b32_e32 v14, 7, v11
	v_lshrrev_b32_e32 v12, 3, v24
	s_mov_b32 s9, exec_lo
	v_cmpx_gt_u32_e32 8, v24
; %bb.440:                              ;   in Loop: Header=BB392_370 Depth=1
	s_delay_alu instid0(VALU_DEP_3) | instskip(NEXT) | instid1(VALU_DEP_1)
	v_clz_i32_u32_e32 v12, v14
	v_min_u32_e32 v12, 32, v12
	s_delay_alu instid0(VALU_DEP_1) | instskip(SKIP_1) | instid1(VALU_DEP_2)
	v_subrev_nc_u32_e32 v24, 28, v12
	v_sub_nc_u32_e32 v12, 29, v12
	v_lshlrev_b64 v[36:37], v24, v[14:15]
	s_delay_alu instid0(VALU_DEP_1)
	v_and_b32_e32 v14, 7, v36
; %bb.441:                              ;   in Loop: Header=BB392_370 Depth=1
	s_or_b32 exec_lo, exec_lo, s9
	v_lshlrev_b32_e32 v11, 24, v11
	s_delay_alu instid0(VALU_DEP_2) | instskip(SKIP_1) | instid1(VALU_DEP_3)
	v_lshlrev_b32_e32 v14, 20, v14
	v_lshl_add_u32 v12, v12, 23, 0x3c000000
	v_and_b32_e32 v11, 0x80000000, v11
	s_delay_alu instid0(VALU_DEP_1)
	v_or3_b32 v12, v14, v11, v12
.LBB392_442:                            ;   in Loop: Header=BB392_370 Depth=1
	s_or_b32 exec_lo, exec_lo, s7
.LBB392_443:                            ;   in Loop: Header=BB392_370 Depth=1
	s_delay_alu instid0(SALU_CYCLE_1)
	s_or_b32 exec_lo, exec_lo, s6
.LBB392_444:                            ;   in Loop: Header=BB392_370 Depth=1
	s_delay_alu instid0(SALU_CYCLE_1) | instskip(NEXT) | instid1(VALU_DEP_1)
	s_or_b32 exec_lo, exec_lo, s1
	v_mul_f32_e32 v11, s15, v12
                                        ; implicit-def: $vgpr36
	s_delay_alu instid0(VALU_DEP_1) | instskip(NEXT) | instid1(VALU_DEP_1)
	v_and_b32_e32 v12, 0x7f800000, v11
	v_cmp_ne_u32_e64 s0, 0x7f800000, v12
	s_delay_alu instid0(VALU_DEP_1) | instskip(NEXT) | instid1(SALU_CYCLE_1)
	s_and_saveexec_b32 s1, s0
	s_xor_b32 s0, exec_lo, s1
; %bb.445:                              ;   in Loop: Header=BB392_370 Depth=1
	v_bfe_u32 v12, v11, 16, 1
	s_delay_alu instid0(VALU_DEP_1)
	v_add3_u32 v36, v11, v12, 0x7fff
                                        ; implicit-def: $vgpr11
; %bb.446:                              ;   in Loop: Header=BB392_370 Depth=1
	s_and_not1_saveexec_b32 s1, s0
; %bb.447:                              ;   in Loop: Header=BB392_370 Depth=1
	v_and_b32_e32 v12, 0xffff, v11
	v_or_b32_e32 v14, 0x10000, v11
	s_delay_alu instid0(VALU_DEP_2) | instskip(NEXT) | instid1(VALU_DEP_1)
	v_cmp_eq_u32_e64 s0, 0, v12
	v_cndmask_b32_e64 v36, v14, v11, s0
; %bb.448:                              ;   in Loop: Header=BB392_370 Depth=1
	s_or_b32 exec_lo, exec_lo, s1
	v_dual_mov_b32 v11, 0 :: v_dual_and_b32 v12, 0xff, v10
	v_mov_b32_e32 v14, v10
	s_mov_b32 s1, exec_lo
	s_delay_alu instid0(VALU_DEP_2)
	v_cmpx_ne_u16_e32 0, v12
	s_cbranch_execz .LBB392_454
; %bb.449:                              ;   in Loop: Header=BB392_370 Depth=1
	v_bfrev_b32_e32 v11, 1
	s_mov_b32 s6, exec_lo
	v_cmpx_ne_u16_e32 0x80, v12
	s_cbranch_execz .LBB392_453
; %bb.450:                              ;   in Loop: Header=BB392_370 Depth=1
	v_and_b32_e32 v12, 0x7f, v10
	v_mov_b32_e32 v11, 0x7f800001
	s_mov_b32 s7, exec_lo
	s_delay_alu instid0(VALU_DEP_2)
	v_cmpx_ne_u32_e32 0x7f, v12
	s_cbranch_execz .LBB392_452
; %bb.451:                              ;   in Loop: Header=BB392_370 Depth=1
	v_and_b32_e32 v11, 7, v10
	v_lshrrev_b32_e32 v24, 3, v12
	v_cmp_gt_u32_e64 s0, 8, v12
	s_delay_alu instid0(VALU_DEP_3) | instskip(NEXT) | instid1(VALU_DEP_1)
	v_clz_i32_u32_e32 v11, v11
	v_min_u32_e32 v11, 32, v11
	s_delay_alu instid0(VALU_DEP_1) | instskip(SKIP_1) | instid1(VALU_DEP_1)
	v_subrev_nc_u32_e32 v37, 28, v11
	v_sub_nc_u32_e32 v11, 29, v11
	v_cndmask_b32_e64 v24, v24, v11, s0
	s_delay_alu instid0(VALU_DEP_3) | instskip(NEXT) | instid1(VALU_DEP_2)
	v_cndmask_b32_e64 v11, 0, v37, s0
	v_lshl_add_u32 v24, v24, 23, 0x3c000000
	s_delay_alu instid0(VALU_DEP_2) | instskip(SKIP_1) | instid1(VALU_DEP_2)
	v_lshlrev_b64 v[11:12], v11, v[14:15]
	v_lshlrev_b32_e32 v12, 24, v14
	v_lshlrev_b32_e32 v11, 20, v11
	s_delay_alu instid0(VALU_DEP_2) | instskip(NEXT) | instid1(VALU_DEP_2)
	v_and_b32_e32 v12, 0x80000000, v12
	v_and_b32_e32 v11, 0x700000, v11
	s_delay_alu instid0(VALU_DEP_1)
	v_or3_b32 v11, v11, v12, v24
.LBB392_452:                            ;   in Loop: Header=BB392_370 Depth=1
	s_or_b32 exec_lo, exec_lo, s7
.LBB392_453:                            ;   in Loop: Header=BB392_370 Depth=1
	s_delay_alu instid0(SALU_CYCLE_1)
	s_or_b32 exec_lo, exec_lo, s6
.LBB392_454:                            ;   in Loop: Header=BB392_370 Depth=1
	s_delay_alu instid0(SALU_CYCLE_1) | instskip(NEXT) | instid1(VALU_DEP_1)
	s_or_b32 exec_lo, exec_lo, s1
	v_mul_f32_e32 v11, s15, v11
                                        ; implicit-def: $vgpr37
	s_delay_alu instid0(VALU_DEP_1) | instskip(NEXT) | instid1(VALU_DEP_1)
	v_and_b32_e32 v12, 0x7f800000, v11
	v_cmp_ne_u32_e64 s0, 0x7f800000, v12
	s_delay_alu instid0(VALU_DEP_1) | instskip(NEXT) | instid1(SALU_CYCLE_1)
	s_and_saveexec_b32 s1, s0
	s_xor_b32 s0, exec_lo, s1
; %bb.455:                              ;   in Loop: Header=BB392_370 Depth=1
	v_bfe_u32 v12, v11, 16, 1
	s_delay_alu instid0(VALU_DEP_1)
	v_add3_u32 v37, v11, v12, 0x7fff
                                        ; implicit-def: $vgpr11
; %bb.456:                              ;   in Loop: Header=BB392_370 Depth=1
	s_and_not1_saveexec_b32 s1, s0
; %bb.457:                              ;   in Loop: Header=BB392_370 Depth=1
	v_and_b32_e32 v12, 0xffff, v11
	v_or_b32_e32 v24, 0x10000, v11
	s_delay_alu instid0(VALU_DEP_2) | instskip(NEXT) | instid1(VALU_DEP_1)
	v_cmp_eq_u32_e64 s0, 0, v12
	v_cndmask_b32_e64 v37, v24, v11, s0
; %bb.458:                              ;   in Loop: Header=BB392_370 Depth=1
	s_or_b32 exec_lo, exec_lo, s1
	v_lshrrev_b16 v12, 8, v14
	v_mov_b32_e32 v11, 0
	s_mov_b32 s1, exec_lo
	s_delay_alu instid0(VALU_DEP_2)
	v_cmpx_ne_u16_e32 0, v12
	s_cbranch_execz .LBB392_466
; %bb.459:                              ;   in Loop: Header=BB392_370 Depth=1
	v_bfrev_b32_e32 v11, 1
	s_mov_b32 s6, exec_lo
	v_cmpx_ne_u16_e32 0x80, v12
	s_cbranch_execz .LBB392_465
; %bb.460:                              ;   in Loop: Header=BB392_370 Depth=1
	v_and_b32_e32 v12, 0xffff, v12
	v_mov_b32_e32 v11, 0x7f800001
	s_mov_b32 s7, exec_lo
	s_delay_alu instid0(VALU_DEP_2) | instskip(NEXT) | instid1(VALU_DEP_1)
	v_and_b32_e32 v38, 0x7f, v12
	v_cmpx_ne_u32_e32 0x7f, v38
	s_cbranch_execz .LBB392_464
; %bb.461:                              ;   in Loop: Header=BB392_370 Depth=1
	v_dual_mov_b32 v12, v15 :: v_dual_and_b32 v11, 7, v12
	v_lshrrev_b32_e32 v24, 3, v38
	s_mov_b32 s9, exec_lo
	v_cmpx_gt_u32_e32 8, v38
; %bb.462:                              ;   in Loop: Header=BB392_370 Depth=1
	s_delay_alu instid0(VALU_DEP_3) | instskip(NEXT) | instid1(VALU_DEP_1)
	v_clz_i32_u32_e32 v24, v11
	v_min_u32_e32 v24, 32, v24
	s_delay_alu instid0(VALU_DEP_1) | instskip(SKIP_1) | instid1(VALU_DEP_2)
	v_subrev_nc_u32_e32 v38, 28, v24
	v_sub_nc_u32_e32 v24, 29, v24
	v_lshlrev_b64 v[11:12], v38, v[11:12]
	s_delay_alu instid0(VALU_DEP_1)
	v_and_b32_e32 v11, 7, v11
; %bb.463:                              ;   in Loop: Header=BB392_370 Depth=1
	s_or_b32 exec_lo, exec_lo, s9
	v_lshlrev_b32_e32 v12, 16, v14
	s_delay_alu instid0(VALU_DEP_2) | instskip(SKIP_1) | instid1(VALU_DEP_3)
	v_lshlrev_b32_e32 v11, 20, v11
	v_lshl_add_u32 v14, v24, 23, 0x3c000000
	v_and_b32_e32 v12, 0x80000000, v12
	s_delay_alu instid0(VALU_DEP_1)
	v_or3_b32 v11, v11, v12, v14
.LBB392_464:                            ;   in Loop: Header=BB392_370 Depth=1
	s_or_b32 exec_lo, exec_lo, s7
.LBB392_465:                            ;   in Loop: Header=BB392_370 Depth=1
	s_delay_alu instid0(SALU_CYCLE_1)
	s_or_b32 exec_lo, exec_lo, s6
.LBB392_466:                            ;   in Loop: Header=BB392_370 Depth=1
	s_delay_alu instid0(SALU_CYCLE_1) | instskip(NEXT) | instid1(VALU_DEP_1)
	s_or_b32 exec_lo, exec_lo, s1
	v_mul_f32_e32 v12, s15, v11
	s_delay_alu instid0(VALU_DEP_1) | instskip(NEXT) | instid1(VALU_DEP_1)
	v_and_b32_e32 v11, 0x7f800000, v12
	v_cmp_ne_u32_e64 s0, 0x7f800000, v11
                                        ; implicit-def: $vgpr11
	s_delay_alu instid0(VALU_DEP_1) | instskip(NEXT) | instid1(SALU_CYCLE_1)
	s_and_saveexec_b32 s1, s0
	s_xor_b32 s0, exec_lo, s1
; %bb.467:                              ;   in Loop: Header=BB392_370 Depth=1
	v_bfe_u32 v11, v12, 16, 1
	s_delay_alu instid0(VALU_DEP_1)
	v_add3_u32 v11, v12, v11, 0x7fff
                                        ; implicit-def: $vgpr12
; %bb.468:                              ;   in Loop: Header=BB392_370 Depth=1
	s_and_not1_saveexec_b32 s1, s0
; %bb.469:                              ;   in Loop: Header=BB392_370 Depth=1
	v_and_b32_e32 v11, 0xffff, v12
	v_or_b32_e32 v14, 0x10000, v12
	s_delay_alu instid0(VALU_DEP_2) | instskip(NEXT) | instid1(VALU_DEP_1)
	v_cmp_eq_u32_e64 s0, 0, v11
	v_cndmask_b32_e64 v11, v14, v12, s0
; %bb.470:                              ;   in Loop: Header=BB392_370 Depth=1
	s_or_b32 exec_lo, exec_lo, s1
	v_lshrrev_b32_e32 v12, 16, v10
	v_mov_b32_e32 v14, 0
	s_mov_b32 s1, exec_lo
	s_delay_alu instid0(VALU_DEP_2) | instskip(NEXT) | instid1(VALU_DEP_1)
	v_and_b32_e32 v24, 0xff, v12
	v_cmpx_ne_u16_e32 0, v24
	s_cbranch_execz .LBB392_478
; %bb.471:                              ;   in Loop: Header=BB392_370 Depth=1
	v_bfrev_b32_e32 v14, 1
	s_mov_b32 s6, exec_lo
	v_cmpx_ne_u16_e32 0x80, v24
	s_cbranch_execz .LBB392_477
; %bb.472:                              ;   in Loop: Header=BB392_370 Depth=1
	v_bfe_u32 v38, v10, 16, 7
	v_mov_b32_e32 v14, 0x7f800001
	s_mov_b32 s7, exec_lo
	s_delay_alu instid0(VALU_DEP_2)
	v_cmpx_ne_u32_e32 0x7f, v38
	s_cbranch_execz .LBB392_476
; %bb.473:                              ;   in Loop: Header=BB392_370 Depth=1
	v_and_b32_e32 v14, 7, v12
	v_lshrrev_b32_e32 v24, 3, v38
	s_mov_b32 s9, exec_lo
	v_cmpx_gt_u32_e32 8, v38
; %bb.474:                              ;   in Loop: Header=BB392_370 Depth=1
	s_delay_alu instid0(VALU_DEP_3) | instskip(NEXT) | instid1(VALU_DEP_1)
	v_clz_i32_u32_e32 v24, v14
	v_min_u32_e32 v24, 32, v24
	s_delay_alu instid0(VALU_DEP_1) | instskip(SKIP_1) | instid1(VALU_DEP_2)
	v_subrev_nc_u32_e32 v38, 28, v24
	v_sub_nc_u32_e32 v24, 29, v24
	v_lshlrev_b64 v[38:39], v38, v[14:15]
	s_delay_alu instid0(VALU_DEP_1)
	v_and_b32_e32 v14, 7, v38
; %bb.475:                              ;   in Loop: Header=BB392_370 Depth=1
	s_or_b32 exec_lo, exec_lo, s9
	v_lshlrev_b32_e32 v12, 24, v12
	s_delay_alu instid0(VALU_DEP_2) | instskip(SKIP_1) | instid1(VALU_DEP_3)
	v_lshlrev_b32_e32 v14, 20, v14
	v_lshl_add_u32 v24, v24, 23, 0x3c000000
	v_and_b32_e32 v12, 0x80000000, v12
	s_delay_alu instid0(VALU_DEP_1)
	v_or3_b32 v14, v14, v12, v24
.LBB392_476:                            ;   in Loop: Header=BB392_370 Depth=1
	s_or_b32 exec_lo, exec_lo, s7
.LBB392_477:                            ;   in Loop: Header=BB392_370 Depth=1
	s_delay_alu instid0(SALU_CYCLE_1)
	s_or_b32 exec_lo, exec_lo, s6
.LBB392_478:                            ;   in Loop: Header=BB392_370 Depth=1
	s_delay_alu instid0(SALU_CYCLE_1) | instskip(NEXT) | instid1(VALU_DEP_1)
	s_or_b32 exec_lo, exec_lo, s1
	v_mul_f32_e32 v12, s15, v14
                                        ; implicit-def: $vgpr38
	s_delay_alu instid0(VALU_DEP_1) | instskip(NEXT) | instid1(VALU_DEP_1)
	v_and_b32_e32 v14, 0x7f800000, v12
	v_cmp_ne_u32_e64 s0, 0x7f800000, v14
	s_delay_alu instid0(VALU_DEP_1) | instskip(NEXT) | instid1(SALU_CYCLE_1)
	s_and_saveexec_b32 s1, s0
	s_xor_b32 s0, exec_lo, s1
; %bb.479:                              ;   in Loop: Header=BB392_370 Depth=1
	v_bfe_u32 v14, v12, 16, 1
	s_delay_alu instid0(VALU_DEP_1)
	v_add3_u32 v38, v12, v14, 0x7fff
                                        ; implicit-def: $vgpr12
; %bb.480:                              ;   in Loop: Header=BB392_370 Depth=1
	s_and_not1_saveexec_b32 s1, s0
; %bb.481:                              ;   in Loop: Header=BB392_370 Depth=1
	v_and_b32_e32 v14, 0xffff, v12
	v_or_b32_e32 v24, 0x10000, v12
	s_delay_alu instid0(VALU_DEP_2) | instskip(NEXT) | instid1(VALU_DEP_1)
	v_cmp_eq_u32_e64 s0, 0, v14
	v_cndmask_b32_e64 v38, v24, v12, s0
; %bb.482:                              ;   in Loop: Header=BB392_370 Depth=1
	s_or_b32 exec_lo, exec_lo, s1
	v_mov_b32_e32 v12, 0
	s_mov_b32 s1, exec_lo
	v_cmpx_lt_u64_e64 s[12:13], v[9:10]
	s_cbranch_execz .LBB392_490
; %bb.483:                              ;   in Loop: Header=BB392_370 Depth=1
	v_lshrrev_b32_e32 v9, 24, v10
	v_bfrev_b32_e32 v12, 1
	s_mov_b32 s6, exec_lo
	s_delay_alu instid0(VALU_DEP_2)
	v_cmpx_ne_u32_e32 0x80, v9
	s_cbranch_execz .LBB392_489
; %bb.484:                              ;   in Loop: Header=BB392_370 Depth=1
	v_bfe_u32 v24, v10, 24, 7
	v_mov_b32_e32 v12, 0x7f800001
	s_mov_b32 s7, exec_lo
	s_delay_alu instid0(VALU_DEP_2)
	v_cmpx_ne_u32_e32 0x7f, v24
	s_cbranch_execz .LBB392_488
; %bb.485:                              ;   in Loop: Header=BB392_370 Depth=1
	v_and_b32_e32 v14, 7, v9
	v_lshrrev_b32_e32 v10, 3, v24
	s_mov_b32 s9, exec_lo
	v_cmpx_gt_u32_e32 8, v24
; %bb.486:                              ;   in Loop: Header=BB392_370 Depth=1
	s_delay_alu instid0(VALU_DEP_3) | instskip(NEXT) | instid1(VALU_DEP_1)
	v_clz_i32_u32_e32 v10, v14
	v_min_u32_e32 v10, 32, v10
	s_delay_alu instid0(VALU_DEP_1) | instskip(SKIP_1) | instid1(VALU_DEP_2)
	v_subrev_nc_u32_e32 v12, 28, v10
	v_sub_nc_u32_e32 v10, 29, v10
	v_lshlrev_b64 v[39:40], v12, v[14:15]
	s_delay_alu instid0(VALU_DEP_1)
	v_and_b32_e32 v14, 7, v39
; %bb.487:                              ;   in Loop: Header=BB392_370 Depth=1
	s_or_b32 exec_lo, exec_lo, s9
	v_lshlrev_b32_e32 v9, 24, v9
	s_delay_alu instid0(VALU_DEP_2) | instskip(SKIP_1) | instid1(VALU_DEP_3)
	v_lshlrev_b32_e32 v12, 20, v14
	v_lshl_add_u32 v10, v10, 23, 0x3c000000
	v_and_b32_e32 v9, 0x80000000, v9
	s_delay_alu instid0(VALU_DEP_1)
	v_or3_b32 v12, v12, v9, v10
.LBB392_488:                            ;   in Loop: Header=BB392_370 Depth=1
	s_or_b32 exec_lo, exec_lo, s7
.LBB392_489:                            ;   in Loop: Header=BB392_370 Depth=1
	s_delay_alu instid0(SALU_CYCLE_1)
	s_or_b32 exec_lo, exec_lo, s6
.LBB392_490:                            ;   in Loop: Header=BB392_370 Depth=1
	s_delay_alu instid0(SALU_CYCLE_1) | instskip(NEXT) | instid1(VALU_DEP_1)
	s_or_b32 exec_lo, exec_lo, s1
	v_mul_f32_e32 v10, s15, v12
	s_delay_alu instid0(VALU_DEP_1) | instskip(NEXT) | instid1(VALU_DEP_1)
	v_and_b32_e32 v9, 0x7f800000, v10
	v_cmp_ne_u32_e64 s0, 0x7f800000, v9
                                        ; implicit-def: $vgpr9
	s_delay_alu instid0(VALU_DEP_1) | instskip(NEXT) | instid1(SALU_CYCLE_1)
	s_and_saveexec_b32 s1, s0
	s_xor_b32 s0, exec_lo, s1
; %bb.491:                              ;   in Loop: Header=BB392_370 Depth=1
	v_bfe_u32 v9, v10, 16, 1
	s_delay_alu instid0(VALU_DEP_1)
	v_add3_u32 v9, v10, v9, 0x7fff
                                        ; implicit-def: $vgpr10
; %bb.492:                              ;   in Loop: Header=BB392_370 Depth=1
	s_and_not1_saveexec_b32 s1, s0
; %bb.493:                              ;   in Loop: Header=BB392_370 Depth=1
	v_and_b32_e32 v9, 0xffff, v10
	v_or_b32_e32 v12, 0x10000, v10
	s_delay_alu instid0(VALU_DEP_2) | instskip(NEXT) | instid1(VALU_DEP_1)
	v_cmp_eq_u32_e64 s0, 0, v9
	v_cndmask_b32_e64 v9, v12, v10, s0
; %bb.494:                              ;   in Loop: Header=BB392_370 Depth=1
	s_or_b32 exec_lo, exec_lo, s1
	v_cmp_eq_u32_e64 s0, s14, v13
	v_add_nc_u32_e32 v24, -7, v22
	v_lshrrev_b32_e32 v11, 16, v11
	v_lshrrev_b32_e32 v12, 16, v37
	;; [unrolled: 1-line block ×8, first 2 shown]
	s_and_saveexec_b32 s6, s0
	s_cbranch_execz .LBB392_496
; %bb.495:                              ;   in Loop: Header=BB392_370 Depth=1
	v_add_nc_u32_e32 v36, -6, v22
	v_cmp_gt_i32_e64 s1, s33, v24
	v_add_nc_u32_e32 v37, -5, v22
	v_add_nc_u32_e32 v38, -2, v22
	s_delay_alu instid0(VALU_DEP_3) | instskip(SKIP_2) | instid1(VALU_DEP_2)
	v_cndmask_b32_e64 v33, 0, v33, s1
	v_cmp_gt_i32_e64 s1, s33, v36
	v_add_nc_u32_e32 v36, -4, v22
	v_cndmask_b32_e64 v34, 0, v34, s1
	v_cmp_gt_i32_e64 s1, s33, v37
	v_add_nc_u32_e32 v37, -3, v22
	s_delay_alu instid0(VALU_DEP_2) | instskip(SKIP_2) | instid1(VALU_DEP_2)
	v_cndmask_b32_e64 v35, 0, v35, s1
	v_cmp_gt_i32_e64 s1, s33, v36
	v_add_nc_u32_e32 v36, -1, v22
	v_cndmask_b32_e64 v14, 0, v14, s1
	v_cmp_gt_i32_e64 s1, s33, v37
	s_delay_alu instid0(VALU_DEP_1) | instskip(SKIP_1) | instid1(VALU_DEP_1)
	v_cndmask_b32_e64 v12, 0, v12, s1
	v_cmp_gt_i32_e64 s1, s33, v38
	v_cndmask_b32_e64 v11, 0, v11, s1
	v_cmp_gt_i32_e64 s1, s33, v36
	s_delay_alu instid0(VALU_DEP_1) | instskip(SKIP_1) | instid1(VALU_DEP_1)
	v_cndmask_b32_e64 v10, 0, v10, s1
	v_cmp_gt_i32_e64 s1, s33, v22
	v_cndmask_b32_e64 v9, 0, v9, s1
.LBB392_496:                            ;   in Loop: Header=BB392_370 Depth=1
	s_or_b32 exec_lo, exec_lo, s6
	v_and_b32_e32 v25, 0xffff0000, v25
	v_lshlrev_b32_e32 v33, 16, v33
	s_delay_alu instid0(VALU_DEP_1) | instskip(NEXT) | instid1(VALU_DEP_1)
	v_mul_f32_e32 v36, v25, v33
	v_and_b32_e32 v33, 0x7f800000, v36
	s_delay_alu instid0(VALU_DEP_1) | instskip(NEXT) | instid1(VALU_DEP_1)
	v_cmp_ne_u32_e64 s1, 0x7f800000, v33
                                        ; implicit-def: $vgpr33
	s_and_saveexec_b32 s6, s1
	s_delay_alu instid0(SALU_CYCLE_1)
	s_xor_b32 s1, exec_lo, s6
; %bb.497:                              ;   in Loop: Header=BB392_370 Depth=1
	v_bfe_u32 v33, v36, 16, 1
	s_delay_alu instid0(VALU_DEP_1)
	v_add3_u32 v33, v36, v33, 0x7fff
                                        ; implicit-def: $vgpr36
; %bb.498:                              ;   in Loop: Header=BB392_370 Depth=1
	s_and_not1_saveexec_b32 s6, s1
; %bb.499:                              ;   in Loop: Header=BB392_370 Depth=1
	v_and_b32_e32 v33, 0xffff, v36
	v_or_b32_e32 v37, 0x10000, v36
	s_delay_alu instid0(VALU_DEP_2) | instskip(NEXT) | instid1(VALU_DEP_1)
	v_cmp_eq_u32_e64 s1, 0, v33
	v_cndmask_b32_e64 v33, v37, v36, s1
; %bb.500:                              ;   in Loop: Header=BB392_370 Depth=1
	s_or_b32 exec_lo, exec_lo, s6
	v_and_b32_e32 v26, 0xffff0000, v26
	v_lshlrev_b32_e32 v34, 16, v34
	s_delay_alu instid0(VALU_DEP_1) | instskip(NEXT) | instid1(VALU_DEP_1)
	v_mul_f32_e32 v36, v26, v34
	v_and_b32_e32 v34, 0x7f800000, v36
	s_delay_alu instid0(VALU_DEP_1) | instskip(NEXT) | instid1(VALU_DEP_1)
	v_cmp_ne_u32_e64 s1, 0x7f800000, v34
                                        ; implicit-def: $vgpr34
	s_and_saveexec_b32 s6, s1
	s_delay_alu instid0(SALU_CYCLE_1)
	s_xor_b32 s1, exec_lo, s6
; %bb.501:                              ;   in Loop: Header=BB392_370 Depth=1
	v_bfe_u32 v34, v36, 16, 1
	s_delay_alu instid0(VALU_DEP_1)
	v_add3_u32 v34, v36, v34, 0x7fff
                                        ; implicit-def: $vgpr36
; %bb.502:                              ;   in Loop: Header=BB392_370 Depth=1
	s_and_not1_saveexec_b32 s6, s1
; %bb.503:                              ;   in Loop: Header=BB392_370 Depth=1
	v_and_b32_e32 v34, 0xffff, v36
	v_or_b32_e32 v37, 0x10000, v36
	s_delay_alu instid0(VALU_DEP_2) | instskip(NEXT) | instid1(VALU_DEP_1)
	v_cmp_eq_u32_e64 s1, 0, v34
	v_cndmask_b32_e64 v34, v37, v36, s1
; %bb.504:                              ;   in Loop: Header=BB392_370 Depth=1
	s_or_b32 exec_lo, exec_lo, s6
	v_and_b32_e32 v27, 0xffff0000, v27
	v_lshlrev_b32_e32 v35, 16, v35
	s_delay_alu instid0(VALU_DEP_1) | instskip(NEXT) | instid1(VALU_DEP_1)
	v_mul_f32_e32 v36, v27, v35
	v_and_b32_e32 v35, 0x7f800000, v36
	s_delay_alu instid0(VALU_DEP_1) | instskip(NEXT) | instid1(VALU_DEP_1)
	v_cmp_ne_u32_e64 s1, 0x7f800000, v35
                                        ; implicit-def: $vgpr35
	s_and_saveexec_b32 s6, s1
	s_delay_alu instid0(SALU_CYCLE_1)
	s_xor_b32 s1, exec_lo, s6
; %bb.505:                              ;   in Loop: Header=BB392_370 Depth=1
	v_bfe_u32 v35, v36, 16, 1
	s_delay_alu instid0(VALU_DEP_1)
	v_add3_u32 v35, v36, v35, 0x7fff
                                        ; implicit-def: $vgpr36
; %bb.506:                              ;   in Loop: Header=BB392_370 Depth=1
	s_and_not1_saveexec_b32 s6, s1
; %bb.507:                              ;   in Loop: Header=BB392_370 Depth=1
	v_and_b32_e32 v35, 0xffff, v36
	v_or_b32_e32 v37, 0x10000, v36
	s_delay_alu instid0(VALU_DEP_2) | instskip(NEXT) | instid1(VALU_DEP_1)
	v_cmp_eq_u32_e64 s1, 0, v35
	v_cndmask_b32_e64 v35, v37, v36, s1
; %bb.508:                              ;   in Loop: Header=BB392_370 Depth=1
	s_or_b32 exec_lo, exec_lo, s6
	v_and_b32_e32 v28, 0xffff0000, v28
	v_lshlrev_b32_e32 v14, 16, v14
	s_delay_alu instid0(VALU_DEP_1) | instskip(NEXT) | instid1(VALU_DEP_1)
	v_mul_f32_e32 v14, v28, v14
	v_and_b32_e32 v36, 0x7f800000, v14
	s_delay_alu instid0(VALU_DEP_1) | instskip(NEXT) | instid1(VALU_DEP_1)
	v_cmp_ne_u32_e64 s1, 0x7f800000, v36
                                        ; implicit-def: $vgpr36
	s_and_saveexec_b32 s6, s1
	s_delay_alu instid0(SALU_CYCLE_1)
	s_xor_b32 s1, exec_lo, s6
; %bb.509:                              ;   in Loop: Header=BB392_370 Depth=1
	v_bfe_u32 v36, v14, 16, 1
	s_delay_alu instid0(VALU_DEP_1)
	v_add3_u32 v36, v14, v36, 0x7fff
                                        ; implicit-def: $vgpr14
; %bb.510:                              ;   in Loop: Header=BB392_370 Depth=1
	s_and_not1_saveexec_b32 s6, s1
; %bb.511:                              ;   in Loop: Header=BB392_370 Depth=1
	v_and_b32_e32 v36, 0xffff, v14
	v_or_b32_e32 v37, 0x10000, v14
	s_delay_alu instid0(VALU_DEP_2) | instskip(NEXT) | instid1(VALU_DEP_1)
	v_cmp_eq_u32_e64 s1, 0, v36
	v_cndmask_b32_e64 v36, v37, v14, s1
; %bb.512:                              ;   in Loop: Header=BB392_370 Depth=1
	s_or_b32 exec_lo, exec_lo, s6
	v_and_b32_e32 v29, 0xffff0000, v29
	v_lshlrev_b32_e32 v12, 16, v12
                                        ; implicit-def: $vgpr37
	s_delay_alu instid0(VALU_DEP_1) | instskip(NEXT) | instid1(VALU_DEP_1)
	v_mul_f32_e32 v12, v29, v12
	v_and_b32_e32 v14, 0x7f800000, v12
	s_delay_alu instid0(VALU_DEP_1) | instskip(NEXT) | instid1(VALU_DEP_1)
	v_cmp_ne_u32_e64 s1, 0x7f800000, v14
	s_and_saveexec_b32 s6, s1
	s_delay_alu instid0(SALU_CYCLE_1)
	s_xor_b32 s1, exec_lo, s6
; %bb.513:                              ;   in Loop: Header=BB392_370 Depth=1
	v_bfe_u32 v14, v12, 16, 1
	s_delay_alu instid0(VALU_DEP_1)
	v_add3_u32 v37, v12, v14, 0x7fff
                                        ; implicit-def: $vgpr12
; %bb.514:                              ;   in Loop: Header=BB392_370 Depth=1
	s_and_not1_saveexec_b32 s6, s1
; %bb.515:                              ;   in Loop: Header=BB392_370 Depth=1
	v_and_b32_e32 v14, 0xffff, v12
	v_or_b32_e32 v37, 0x10000, v12
	s_delay_alu instid0(VALU_DEP_2) | instskip(NEXT) | instid1(VALU_DEP_1)
	v_cmp_eq_u32_e64 s1, 0, v14
	v_cndmask_b32_e64 v37, v37, v12, s1
; %bb.516:                              ;   in Loop: Header=BB392_370 Depth=1
	s_or_b32 exec_lo, exec_lo, s6
	v_and_b32_e32 v30, 0xffff0000, v30
	v_lshlrev_b32_e32 v11, 16, v11
                                        ; implicit-def: $vgpr38
	s_delay_alu instid0(VALU_DEP_1) | instskip(NEXT) | instid1(VALU_DEP_1)
	v_mul_f32_e32 v11, v30, v11
	v_and_b32_e32 v12, 0x7f800000, v11
	s_delay_alu instid0(VALU_DEP_1) | instskip(NEXT) | instid1(VALU_DEP_1)
	v_cmp_ne_u32_e64 s1, 0x7f800000, v12
	s_and_saveexec_b32 s6, s1
	s_delay_alu instid0(SALU_CYCLE_1)
	s_xor_b32 s1, exec_lo, s6
; %bb.517:                              ;   in Loop: Header=BB392_370 Depth=1
	v_bfe_u32 v12, v11, 16, 1
	s_delay_alu instid0(VALU_DEP_1)
	v_add3_u32 v38, v11, v12, 0x7fff
                                        ; implicit-def: $vgpr11
; %bb.518:                              ;   in Loop: Header=BB392_370 Depth=1
	s_and_not1_saveexec_b32 s6, s1
; %bb.519:                              ;   in Loop: Header=BB392_370 Depth=1
	v_and_b32_e32 v12, 0xffff, v11
	v_or_b32_e32 v14, 0x10000, v11
	s_delay_alu instid0(VALU_DEP_2) | instskip(NEXT) | instid1(VALU_DEP_1)
	v_cmp_eq_u32_e64 s1, 0, v12
	v_cndmask_b32_e64 v38, v14, v11, s1
; %bb.520:                              ;   in Loop: Header=BB392_370 Depth=1
	s_or_b32 exec_lo, exec_lo, s6
	v_and_b32_e32 v31, 0xffff0000, v31
	v_lshlrev_b32_e32 v10, 16, v10
                                        ; implicit-def: $vgpr39
	s_delay_alu instid0(VALU_DEP_1) | instskip(NEXT) | instid1(VALU_DEP_1)
	v_mul_f32_e32 v10, v31, v10
	v_and_b32_e32 v11, 0x7f800000, v10
	s_delay_alu instid0(VALU_DEP_1) | instskip(NEXT) | instid1(VALU_DEP_1)
	v_cmp_ne_u32_e64 s1, 0x7f800000, v11
	s_and_saveexec_b32 s6, s1
	s_delay_alu instid0(SALU_CYCLE_1)
	s_xor_b32 s1, exec_lo, s6
; %bb.521:                              ;   in Loop: Header=BB392_370 Depth=1
	v_bfe_u32 v11, v10, 16, 1
	s_delay_alu instid0(VALU_DEP_1)
	v_add3_u32 v39, v10, v11, 0x7fff
                                        ; implicit-def: $vgpr10
; %bb.522:                              ;   in Loop: Header=BB392_370 Depth=1
	s_and_not1_saveexec_b32 s6, s1
; %bb.523:                              ;   in Loop: Header=BB392_370 Depth=1
	v_and_b32_e32 v11, 0xffff, v10
	v_or_b32_e32 v12, 0x10000, v10
	s_delay_alu instid0(VALU_DEP_2) | instskip(NEXT) | instid1(VALU_DEP_1)
	v_cmp_eq_u32_e64 s1, 0, v11
	v_cndmask_b32_e64 v39, v12, v10, s1
; %bb.524:                              ;   in Loop: Header=BB392_370 Depth=1
	s_or_b32 exec_lo, exec_lo, s6
	v_and_b32_e32 v32, 0xffff0000, v32
	v_lshlrev_b32_e32 v9, 16, v9
                                        ; implicit-def: $vgpr40
	s_delay_alu instid0(VALU_DEP_1) | instskip(NEXT) | instid1(VALU_DEP_1)
	v_mul_f32_e32 v9, v32, v9
	v_and_b32_e32 v10, 0x7f800000, v9
	s_delay_alu instid0(VALU_DEP_1) | instskip(NEXT) | instid1(VALU_DEP_1)
	v_cmp_ne_u32_e64 s1, 0x7f800000, v10
	s_and_saveexec_b32 s6, s1
	s_delay_alu instid0(SALU_CYCLE_1)
	s_xor_b32 s1, exec_lo, s6
; %bb.525:                              ;   in Loop: Header=BB392_370 Depth=1
	v_bfe_u32 v10, v9, 16, 1
	s_delay_alu instid0(VALU_DEP_1)
	v_add3_u32 v40, v9, v10, 0x7fff
                                        ; implicit-def: $vgpr9
; %bb.526:                              ;   in Loop: Header=BB392_370 Depth=1
	s_and_not1_saveexec_b32 s6, s1
; %bb.527:                              ;   in Loop: Header=BB392_370 Depth=1
	v_and_b32_e32 v10, 0xffff, v9
	v_or_b32_e32 v11, 0x10000, v9
	s_delay_alu instid0(VALU_DEP_2) | instskip(NEXT) | instid1(VALU_DEP_1)
	v_cmp_eq_u32_e64 s1, 0, v10
	v_cndmask_b32_e64 v40, v11, v9, s1
; %bb.528:                              ;   in Loop: Header=BB392_370 Depth=1
	s_or_b32 exec_lo, exec_lo, s6
	global_load_b64 v[9:10], v[7:8], off offset:256
	s_mov_b32 s6, exec_lo
	s_waitcnt vmcnt(0)
	v_dual_mov_b32 v11, 0 :: v_dual_and_b32 v12, 0xff, v9
	s_delay_alu instid0(VALU_DEP_1)
	v_cmpx_ne_u16_e32 0, v12
	s_cbranch_execz .LBB392_534
; %bb.529:                              ;   in Loop: Header=BB392_370 Depth=1
	v_bfrev_b32_e32 v11, 1
	s_mov_b32 s7, exec_lo
	v_cmpx_ne_u16_e32 0x80, v12
	s_cbranch_execz .LBB392_533
; %bb.530:                              ;   in Loop: Header=BB392_370 Depth=1
	v_and_b32_e32 v12, 0x7f, v9
	v_mov_b32_e32 v11, 0x7f800001
	s_mov_b32 s9, exec_lo
	s_delay_alu instid0(VALU_DEP_2)
	v_cmpx_ne_u32_e32 0x7f, v12
	s_cbranch_execz .LBB392_532
; %bb.531:                              ;   in Loop: Header=BB392_370 Depth=1
	v_and_b32_e32 v11, 7, v9
	v_lshrrev_b32_e32 v14, 3, v12
	v_cmp_gt_u32_e64 s1, 8, v12
	s_delay_alu instid0(VALU_DEP_3) | instskip(NEXT) | instid1(VALU_DEP_1)
	v_clz_i32_u32_e32 v11, v11
	v_min_u32_e32 v11, 32, v11
	s_delay_alu instid0(VALU_DEP_1) | instskip(SKIP_1) | instid1(VALU_DEP_1)
	v_subrev_nc_u32_e32 v41, 28, v11
	v_sub_nc_u32_e32 v11, 29, v11
	v_cndmask_b32_e64 v14, v14, v11, s1
	s_delay_alu instid0(VALU_DEP_3) | instskip(NEXT) | instid1(VALU_DEP_2)
	v_cndmask_b32_e64 v11, 0, v41, s1
	v_lshl_add_u32 v14, v14, 23, 0x3c000000
	s_delay_alu instid0(VALU_DEP_2) | instskip(SKIP_1) | instid1(VALU_DEP_2)
	v_lshlrev_b64 v[11:12], v11, v[9:10]
	v_lshlrev_b32_e32 v12, 24, v9
	v_lshlrev_b32_e32 v11, 20, v11
	s_delay_alu instid0(VALU_DEP_2) | instskip(NEXT) | instid1(VALU_DEP_2)
	v_and_b32_e32 v12, 0x80000000, v12
	v_and_b32_e32 v11, 0x700000, v11
	s_delay_alu instid0(VALU_DEP_1)
	v_or3_b32 v11, v11, v12, v14
.LBB392_532:                            ;   in Loop: Header=BB392_370 Depth=1
	s_or_b32 exec_lo, exec_lo, s9
.LBB392_533:                            ;   in Loop: Header=BB392_370 Depth=1
	s_delay_alu instid0(SALU_CYCLE_1)
	s_or_b32 exec_lo, exec_lo, s7
.LBB392_534:                            ;   in Loop: Header=BB392_370 Depth=1
	s_delay_alu instid0(SALU_CYCLE_1) | instskip(NEXT) | instid1(VALU_DEP_1)
	s_or_b32 exec_lo, exec_lo, s6
	v_mul_f32_e32 v11, s15, v11
                                        ; implicit-def: $vgpr41
	s_delay_alu instid0(VALU_DEP_1) | instskip(NEXT) | instid1(VALU_DEP_1)
	v_and_b32_e32 v12, 0x7f800000, v11
	v_cmp_ne_u32_e64 s1, 0x7f800000, v12
	s_delay_alu instid0(VALU_DEP_1) | instskip(NEXT) | instid1(SALU_CYCLE_1)
	s_and_saveexec_b32 s6, s1
	s_xor_b32 s1, exec_lo, s6
; %bb.535:                              ;   in Loop: Header=BB392_370 Depth=1
	v_bfe_u32 v12, v11, 16, 1
	s_delay_alu instid0(VALU_DEP_1)
	v_add3_u32 v41, v11, v12, 0x7fff
                                        ; implicit-def: $vgpr11
; %bb.536:                              ;   in Loop: Header=BB392_370 Depth=1
	s_and_not1_saveexec_b32 s6, s1
; %bb.537:                              ;   in Loop: Header=BB392_370 Depth=1
	v_and_b32_e32 v12, 0xffff, v11
	v_or_b32_e32 v14, 0x10000, v11
	s_delay_alu instid0(VALU_DEP_2) | instskip(NEXT) | instid1(VALU_DEP_1)
	v_cmp_eq_u32_e64 s1, 0, v12
	v_cndmask_b32_e64 v41, v14, v11, s1
; %bb.538:                              ;   in Loop: Header=BB392_370 Depth=1
	s_or_b32 exec_lo, exec_lo, s6
	v_lshrrev_b16 v12, 8, v9
	v_mov_b32_e32 v11, 0
	s_mov_b32 s6, exec_lo
	s_delay_alu instid0(VALU_DEP_2)
	v_cmpx_ne_u16_e32 0, v12
	s_cbranch_execz .LBB392_546
; %bb.539:                              ;   in Loop: Header=BB392_370 Depth=1
	v_bfrev_b32_e32 v11, 1
	s_mov_b32 s7, exec_lo
	v_cmpx_ne_u16_e32 0x80, v12
	s_cbranch_execz .LBB392_545
; %bb.540:                              ;   in Loop: Header=BB392_370 Depth=1
	v_and_b32_e32 v14, 0xffff, v12
	v_mov_b32_e32 v11, 0x7f800001
	s_mov_b32 s9, exec_lo
	s_delay_alu instid0(VALU_DEP_2) | instskip(NEXT) | instid1(VALU_DEP_1)
	v_and_b32_e32 v12, 0x7f, v14
	v_cmpx_ne_u32_e32 0x7f, v12
	s_cbranch_execz .LBB392_544
; %bb.541:                              ;   in Loop: Header=BB392_370 Depth=1
	v_and_b32_e32 v14, 7, v14
	v_lshrrev_b32_e32 v11, 3, v12
	s_mov_b32 s16, exec_lo
	v_cmpx_gt_u32_e32 8, v12
; %bb.542:                              ;   in Loop: Header=BB392_370 Depth=1
	s_delay_alu instid0(VALU_DEP_3) | instskip(NEXT) | instid1(VALU_DEP_1)
	v_clz_i32_u32_e32 v11, v14
	v_min_u32_e32 v11, 32, v11
	s_delay_alu instid0(VALU_DEP_1) | instskip(SKIP_1) | instid1(VALU_DEP_2)
	v_subrev_nc_u32_e32 v12, 28, v11
	v_sub_nc_u32_e32 v11, 29, v11
	v_lshlrev_b64 v[42:43], v12, v[14:15]
	s_delay_alu instid0(VALU_DEP_1)
	v_and_b32_e32 v14, 7, v42
; %bb.543:                              ;   in Loop: Header=BB392_370 Depth=1
	s_or_b32 exec_lo, exec_lo, s16
	v_lshlrev_b32_e32 v12, 16, v9
	s_delay_alu instid0(VALU_DEP_2) | instskip(SKIP_1) | instid1(VALU_DEP_3)
	v_lshlrev_b32_e32 v14, 20, v14
	v_lshl_add_u32 v11, v11, 23, 0x3c000000
	v_and_b32_e32 v12, 0x80000000, v12
	s_delay_alu instid0(VALU_DEP_1)
	v_or3_b32 v11, v14, v12, v11
.LBB392_544:                            ;   in Loop: Header=BB392_370 Depth=1
	s_or_b32 exec_lo, exec_lo, s9
.LBB392_545:                            ;   in Loop: Header=BB392_370 Depth=1
	s_delay_alu instid0(SALU_CYCLE_1)
	s_or_b32 exec_lo, exec_lo, s7
.LBB392_546:                            ;   in Loop: Header=BB392_370 Depth=1
	s_delay_alu instid0(SALU_CYCLE_1) | instskip(NEXT) | instid1(VALU_DEP_1)
	s_or_b32 exec_lo, exec_lo, s6
	v_mul_f32_e32 v11, s15, v11
                                        ; implicit-def: $vgpr42
	s_delay_alu instid0(VALU_DEP_1) | instskip(NEXT) | instid1(VALU_DEP_1)
	v_and_b32_e32 v12, 0x7f800000, v11
	v_cmp_ne_u32_e64 s1, 0x7f800000, v12
	s_delay_alu instid0(VALU_DEP_1) | instskip(NEXT) | instid1(SALU_CYCLE_1)
	s_and_saveexec_b32 s6, s1
	s_xor_b32 s1, exec_lo, s6
; %bb.547:                              ;   in Loop: Header=BB392_370 Depth=1
	v_bfe_u32 v12, v11, 16, 1
	s_delay_alu instid0(VALU_DEP_1)
	v_add3_u32 v42, v11, v12, 0x7fff
                                        ; implicit-def: $vgpr11
; %bb.548:                              ;   in Loop: Header=BB392_370 Depth=1
	s_and_not1_saveexec_b32 s6, s1
; %bb.549:                              ;   in Loop: Header=BB392_370 Depth=1
	v_and_b32_e32 v12, 0xffff, v11
	v_or_b32_e32 v14, 0x10000, v11
	s_delay_alu instid0(VALU_DEP_2) | instskip(NEXT) | instid1(VALU_DEP_1)
	v_cmp_eq_u32_e64 s1, 0, v12
	v_cndmask_b32_e64 v42, v14, v11, s1
; %bb.550:                              ;   in Loop: Header=BB392_370 Depth=1
	s_or_b32 exec_lo, exec_lo, s6
	v_lshrrev_b32_e32 v11, 16, v9
	v_mov_b32_e32 v12, 0
	s_mov_b32 s6, exec_lo
	s_delay_alu instid0(VALU_DEP_2) | instskip(NEXT) | instid1(VALU_DEP_1)
	v_and_b32_e32 v14, 0xff, v11
	v_cmpx_ne_u16_e32 0, v14
	s_cbranch_execz .LBB392_558
; %bb.551:                              ;   in Loop: Header=BB392_370 Depth=1
	v_bfrev_b32_e32 v12, 1
	s_mov_b32 s7, exec_lo
	v_cmpx_ne_u16_e32 0x80, v14
	s_cbranch_execz .LBB392_557
; %bb.552:                              ;   in Loop: Header=BB392_370 Depth=1
	v_bfe_u32 v43, v9, 16, 7
	v_mov_b32_e32 v12, 0x7f800001
	s_mov_b32 s9, exec_lo
	s_delay_alu instid0(VALU_DEP_2)
	v_cmpx_ne_u32_e32 0x7f, v43
	s_cbranch_execz .LBB392_556
; %bb.553:                              ;   in Loop: Header=BB392_370 Depth=1
	v_and_b32_e32 v14, 7, v11
	v_lshrrev_b32_e32 v12, 3, v43
	s_mov_b32 s16, exec_lo
	v_cmpx_gt_u32_e32 8, v43
; %bb.554:                              ;   in Loop: Header=BB392_370 Depth=1
	s_delay_alu instid0(VALU_DEP_3) | instskip(NEXT) | instid1(VALU_DEP_1)
	v_clz_i32_u32_e32 v12, v14
	v_min_u32_e32 v12, 32, v12
	s_delay_alu instid0(VALU_DEP_1) | instskip(SKIP_1) | instid1(VALU_DEP_2)
	v_subrev_nc_u32_e32 v43, 28, v12
	v_sub_nc_u32_e32 v12, 29, v12
	v_lshlrev_b64 v[43:44], v43, v[14:15]
	s_delay_alu instid0(VALU_DEP_1)
	v_and_b32_e32 v14, 7, v43
; %bb.555:                              ;   in Loop: Header=BB392_370 Depth=1
	s_or_b32 exec_lo, exec_lo, s16
	v_lshlrev_b32_e32 v11, 24, v11
	s_delay_alu instid0(VALU_DEP_2) | instskip(SKIP_1) | instid1(VALU_DEP_3)
	v_lshlrev_b32_e32 v14, 20, v14
	v_lshl_add_u32 v12, v12, 23, 0x3c000000
	v_and_b32_e32 v11, 0x80000000, v11
	s_delay_alu instid0(VALU_DEP_1)
	v_or3_b32 v12, v14, v11, v12
.LBB392_556:                            ;   in Loop: Header=BB392_370 Depth=1
	s_or_b32 exec_lo, exec_lo, s9
.LBB392_557:                            ;   in Loop: Header=BB392_370 Depth=1
	s_delay_alu instid0(SALU_CYCLE_1)
	s_or_b32 exec_lo, exec_lo, s7
.LBB392_558:                            ;   in Loop: Header=BB392_370 Depth=1
	s_delay_alu instid0(SALU_CYCLE_1) | instskip(NEXT) | instid1(VALU_DEP_1)
	s_or_b32 exec_lo, exec_lo, s6
	v_mul_f32_e32 v11, s15, v12
                                        ; implicit-def: $vgpr43
	s_delay_alu instid0(VALU_DEP_1) | instskip(NEXT) | instid1(VALU_DEP_1)
	v_and_b32_e32 v12, 0x7f800000, v11
	v_cmp_ne_u32_e64 s1, 0x7f800000, v12
	s_delay_alu instid0(VALU_DEP_1) | instskip(NEXT) | instid1(SALU_CYCLE_1)
	s_and_saveexec_b32 s6, s1
	s_xor_b32 s1, exec_lo, s6
; %bb.559:                              ;   in Loop: Header=BB392_370 Depth=1
	v_bfe_u32 v12, v11, 16, 1
	s_delay_alu instid0(VALU_DEP_1)
	v_add3_u32 v43, v11, v12, 0x7fff
                                        ; implicit-def: $vgpr11
; %bb.560:                              ;   in Loop: Header=BB392_370 Depth=1
	s_and_not1_saveexec_b32 s6, s1
; %bb.561:                              ;   in Loop: Header=BB392_370 Depth=1
	v_and_b32_e32 v12, 0xffff, v11
	v_or_b32_e32 v14, 0x10000, v11
	s_delay_alu instid0(VALU_DEP_2) | instskip(NEXT) | instid1(VALU_DEP_1)
	v_cmp_eq_u32_e64 s1, 0, v12
	v_cndmask_b32_e64 v43, v14, v11, s1
; %bb.562:                              ;   in Loop: Header=BB392_370 Depth=1
	s_or_b32 exec_lo, exec_lo, s6
	v_mov_b32_e32 v12, 0
	s_mov_b32 s6, exec_lo
	v_cmpx_lt_u32_e32 0xffffff, v9
	s_cbranch_execz .LBB392_570
; %bb.563:                              ;   in Loop: Header=BB392_370 Depth=1
	v_lshrrev_b32_e32 v11, 24, v9
	v_bfrev_b32_e32 v12, 1
	s_mov_b32 s7, exec_lo
	s_delay_alu instid0(VALU_DEP_2)
	v_cmpx_ne_u32_e32 0x80, v11
	s_cbranch_execz .LBB392_569
; %bb.564:                              ;   in Loop: Header=BB392_370 Depth=1
	v_bfe_u32 v44, v9, 24, 7
	v_mov_b32_e32 v12, 0x7f800001
	s_mov_b32 s9, exec_lo
	s_delay_alu instid0(VALU_DEP_2)
	v_cmpx_ne_u32_e32 0x7f, v44
	s_cbranch_execz .LBB392_568
; %bb.565:                              ;   in Loop: Header=BB392_370 Depth=1
	v_and_b32_e32 v14, 7, v11
	v_lshrrev_b32_e32 v12, 3, v44
	s_mov_b32 s16, exec_lo
	v_cmpx_gt_u32_e32 8, v44
; %bb.566:                              ;   in Loop: Header=BB392_370 Depth=1
	s_delay_alu instid0(VALU_DEP_3) | instskip(NEXT) | instid1(VALU_DEP_1)
	v_clz_i32_u32_e32 v12, v14
	v_min_u32_e32 v12, 32, v12
	s_delay_alu instid0(VALU_DEP_1) | instskip(SKIP_1) | instid1(VALU_DEP_2)
	v_subrev_nc_u32_e32 v44, 28, v12
	v_sub_nc_u32_e32 v12, 29, v12
	v_lshlrev_b64 v[44:45], v44, v[14:15]
	s_delay_alu instid0(VALU_DEP_1)
	v_and_b32_e32 v14, 7, v44
; %bb.567:                              ;   in Loop: Header=BB392_370 Depth=1
	s_or_b32 exec_lo, exec_lo, s16
	v_lshlrev_b32_e32 v11, 24, v11
	s_delay_alu instid0(VALU_DEP_2) | instskip(SKIP_1) | instid1(VALU_DEP_3)
	v_lshlrev_b32_e32 v14, 20, v14
	v_lshl_add_u32 v12, v12, 23, 0x3c000000
	v_and_b32_e32 v11, 0x80000000, v11
	s_delay_alu instid0(VALU_DEP_1)
	v_or3_b32 v12, v14, v11, v12
.LBB392_568:                            ;   in Loop: Header=BB392_370 Depth=1
	s_or_b32 exec_lo, exec_lo, s9
.LBB392_569:                            ;   in Loop: Header=BB392_370 Depth=1
	s_delay_alu instid0(SALU_CYCLE_1)
	s_or_b32 exec_lo, exec_lo, s7
.LBB392_570:                            ;   in Loop: Header=BB392_370 Depth=1
	s_delay_alu instid0(SALU_CYCLE_1) | instskip(NEXT) | instid1(VALU_DEP_1)
	s_or_b32 exec_lo, exec_lo, s6
	v_mul_f32_e32 v11, s15, v12
                                        ; implicit-def: $vgpr44
	s_delay_alu instid0(VALU_DEP_1) | instskip(NEXT) | instid1(VALU_DEP_1)
	v_and_b32_e32 v12, 0x7f800000, v11
	v_cmp_ne_u32_e64 s1, 0x7f800000, v12
	s_delay_alu instid0(VALU_DEP_1) | instskip(NEXT) | instid1(SALU_CYCLE_1)
	s_and_saveexec_b32 s6, s1
	s_xor_b32 s1, exec_lo, s6
; %bb.571:                              ;   in Loop: Header=BB392_370 Depth=1
	v_bfe_u32 v12, v11, 16, 1
	s_delay_alu instid0(VALU_DEP_1)
	v_add3_u32 v44, v11, v12, 0x7fff
                                        ; implicit-def: $vgpr11
; %bb.572:                              ;   in Loop: Header=BB392_370 Depth=1
	s_and_not1_saveexec_b32 s6, s1
; %bb.573:                              ;   in Loop: Header=BB392_370 Depth=1
	v_and_b32_e32 v12, 0xffff, v11
	v_or_b32_e32 v14, 0x10000, v11
	s_delay_alu instid0(VALU_DEP_2) | instskip(NEXT) | instid1(VALU_DEP_1)
	v_cmp_eq_u32_e64 s1, 0, v12
	v_cndmask_b32_e64 v44, v14, v11, s1
; %bb.574:                              ;   in Loop: Header=BB392_370 Depth=1
	s_or_b32 exec_lo, exec_lo, s6
	v_dual_mov_b32 v11, 0 :: v_dual_and_b32 v12, 0xff, v10
	v_mov_b32_e32 v14, v10
	s_mov_b32 s6, exec_lo
	s_delay_alu instid0(VALU_DEP_2)
	v_cmpx_ne_u16_e32 0, v12
	s_cbranch_execz .LBB392_580
; %bb.575:                              ;   in Loop: Header=BB392_370 Depth=1
	v_bfrev_b32_e32 v11, 1
	s_mov_b32 s7, exec_lo
	v_cmpx_ne_u16_e32 0x80, v12
	s_cbranch_execz .LBB392_579
; %bb.576:                              ;   in Loop: Header=BB392_370 Depth=1
	v_and_b32_e32 v12, 0x7f, v10
	v_mov_b32_e32 v11, 0x7f800001
	s_mov_b32 s9, exec_lo
	s_delay_alu instid0(VALU_DEP_2)
	v_cmpx_ne_u32_e32 0x7f, v12
	s_cbranch_execz .LBB392_578
; %bb.577:                              ;   in Loop: Header=BB392_370 Depth=1
	v_and_b32_e32 v11, 7, v10
	v_lshrrev_b32_e32 v45, 3, v12
	v_cmp_gt_u32_e64 s1, 8, v12
	s_delay_alu instid0(VALU_DEP_3) | instskip(NEXT) | instid1(VALU_DEP_1)
	v_clz_i32_u32_e32 v11, v11
	v_min_u32_e32 v11, 32, v11
	s_delay_alu instid0(VALU_DEP_1) | instskip(SKIP_1) | instid1(VALU_DEP_1)
	v_subrev_nc_u32_e32 v46, 28, v11
	v_sub_nc_u32_e32 v11, 29, v11
	v_cndmask_b32_e64 v45, v45, v11, s1
	s_delay_alu instid0(VALU_DEP_3) | instskip(NEXT) | instid1(VALU_DEP_2)
	v_cndmask_b32_e64 v11, 0, v46, s1
	v_lshl_add_u32 v45, v45, 23, 0x3c000000
	s_delay_alu instid0(VALU_DEP_2) | instskip(SKIP_1) | instid1(VALU_DEP_2)
	v_lshlrev_b64 v[11:12], v11, v[14:15]
	v_lshlrev_b32_e32 v12, 24, v14
	v_lshlrev_b32_e32 v11, 20, v11
	s_delay_alu instid0(VALU_DEP_2) | instskip(NEXT) | instid1(VALU_DEP_2)
	v_and_b32_e32 v12, 0x80000000, v12
	v_and_b32_e32 v11, 0x700000, v11
	s_delay_alu instid0(VALU_DEP_1)
	v_or3_b32 v11, v11, v12, v45
.LBB392_578:                            ;   in Loop: Header=BB392_370 Depth=1
	s_or_b32 exec_lo, exec_lo, s9
.LBB392_579:                            ;   in Loop: Header=BB392_370 Depth=1
	s_delay_alu instid0(SALU_CYCLE_1)
	s_or_b32 exec_lo, exec_lo, s7
.LBB392_580:                            ;   in Loop: Header=BB392_370 Depth=1
	s_delay_alu instid0(SALU_CYCLE_1) | instskip(NEXT) | instid1(VALU_DEP_1)
	s_or_b32 exec_lo, exec_lo, s6
	v_mul_f32_e32 v11, s15, v11
                                        ; implicit-def: $vgpr45
	s_delay_alu instid0(VALU_DEP_1) | instskip(NEXT) | instid1(VALU_DEP_1)
	v_and_b32_e32 v12, 0x7f800000, v11
	v_cmp_ne_u32_e64 s1, 0x7f800000, v12
	s_delay_alu instid0(VALU_DEP_1) | instskip(NEXT) | instid1(SALU_CYCLE_1)
	s_and_saveexec_b32 s6, s1
	s_xor_b32 s1, exec_lo, s6
; %bb.581:                              ;   in Loop: Header=BB392_370 Depth=1
	v_bfe_u32 v12, v11, 16, 1
	s_delay_alu instid0(VALU_DEP_1)
	v_add3_u32 v45, v11, v12, 0x7fff
                                        ; implicit-def: $vgpr11
; %bb.582:                              ;   in Loop: Header=BB392_370 Depth=1
	s_and_not1_saveexec_b32 s6, s1
; %bb.583:                              ;   in Loop: Header=BB392_370 Depth=1
	v_and_b32_e32 v12, 0xffff, v11
	v_or_b32_e32 v45, 0x10000, v11
	s_delay_alu instid0(VALU_DEP_2) | instskip(NEXT) | instid1(VALU_DEP_1)
	v_cmp_eq_u32_e64 s1, 0, v12
	v_cndmask_b32_e64 v45, v45, v11, s1
; %bb.584:                              ;   in Loop: Header=BB392_370 Depth=1
	s_or_b32 exec_lo, exec_lo, s6
	v_lshrrev_b16 v12, 8, v14
	v_mov_b32_e32 v11, 0
	s_mov_b32 s6, exec_lo
	s_delay_alu instid0(VALU_DEP_2)
	v_cmpx_ne_u16_e32 0, v12
	s_cbranch_execz .LBB392_592
; %bb.585:                              ;   in Loop: Header=BB392_370 Depth=1
	v_bfrev_b32_e32 v11, 1
	s_mov_b32 s7, exec_lo
	v_cmpx_ne_u16_e32 0x80, v12
	s_cbranch_execz .LBB392_591
; %bb.586:                              ;   in Loop: Header=BB392_370 Depth=1
	v_and_b32_e32 v12, 0xffff, v12
	v_mov_b32_e32 v11, 0x7f800001
	s_mov_b32 s9, exec_lo
	s_delay_alu instid0(VALU_DEP_2) | instskip(NEXT) | instid1(VALU_DEP_1)
	v_and_b32_e32 v47, 0x7f, v12
	v_cmpx_ne_u32_e32 0x7f, v47
	s_cbranch_execz .LBB392_590
; %bb.587:                              ;   in Loop: Header=BB392_370 Depth=1
	v_dual_mov_b32 v12, v15 :: v_dual_and_b32 v11, 7, v12
	v_lshrrev_b32_e32 v46, 3, v47
	s_mov_b32 s16, exec_lo
	v_cmpx_gt_u32_e32 8, v47
; %bb.588:                              ;   in Loop: Header=BB392_370 Depth=1
	s_delay_alu instid0(VALU_DEP_3) | instskip(NEXT) | instid1(VALU_DEP_1)
	v_clz_i32_u32_e32 v46, v11
	v_min_u32_e32 v46, 32, v46
	s_delay_alu instid0(VALU_DEP_1) | instskip(SKIP_1) | instid1(VALU_DEP_2)
	v_subrev_nc_u32_e32 v47, 28, v46
	v_sub_nc_u32_e32 v46, 29, v46
	v_lshlrev_b64 v[11:12], v47, v[11:12]
	s_delay_alu instid0(VALU_DEP_1)
	v_and_b32_e32 v11, 7, v11
; %bb.589:                              ;   in Loop: Header=BB392_370 Depth=1
	s_or_b32 exec_lo, exec_lo, s16
	v_lshlrev_b32_e32 v12, 16, v14
	s_delay_alu instid0(VALU_DEP_2) | instskip(SKIP_1) | instid1(VALU_DEP_3)
	v_lshlrev_b32_e32 v11, 20, v11
	v_lshl_add_u32 v14, v46, 23, 0x3c000000
	v_and_b32_e32 v12, 0x80000000, v12
	s_delay_alu instid0(VALU_DEP_1)
	v_or3_b32 v11, v11, v12, v14
.LBB392_590:                            ;   in Loop: Header=BB392_370 Depth=1
	s_or_b32 exec_lo, exec_lo, s9
.LBB392_591:                            ;   in Loop: Header=BB392_370 Depth=1
	s_delay_alu instid0(SALU_CYCLE_1)
	s_or_b32 exec_lo, exec_lo, s7
.LBB392_592:                            ;   in Loop: Header=BB392_370 Depth=1
	s_delay_alu instid0(SALU_CYCLE_1) | instskip(NEXT) | instid1(VALU_DEP_1)
	s_or_b32 exec_lo, exec_lo, s6
	v_mul_f32_e32 v12, s15, v11
	s_delay_alu instid0(VALU_DEP_1) | instskip(NEXT) | instid1(VALU_DEP_1)
	v_and_b32_e32 v11, 0x7f800000, v12
	v_cmp_ne_u32_e64 s1, 0x7f800000, v11
                                        ; implicit-def: $vgpr11
	s_delay_alu instid0(VALU_DEP_1) | instskip(NEXT) | instid1(SALU_CYCLE_1)
	s_and_saveexec_b32 s6, s1
	s_xor_b32 s1, exec_lo, s6
; %bb.593:                              ;   in Loop: Header=BB392_370 Depth=1
	v_bfe_u32 v11, v12, 16, 1
	s_delay_alu instid0(VALU_DEP_1)
	v_add3_u32 v11, v12, v11, 0x7fff
                                        ; implicit-def: $vgpr12
; %bb.594:                              ;   in Loop: Header=BB392_370 Depth=1
	s_and_not1_saveexec_b32 s6, s1
; %bb.595:                              ;   in Loop: Header=BB392_370 Depth=1
	v_and_b32_e32 v11, 0xffff, v12
	v_or_b32_e32 v14, 0x10000, v12
	s_delay_alu instid0(VALU_DEP_2) | instskip(NEXT) | instid1(VALU_DEP_1)
	v_cmp_eq_u32_e64 s1, 0, v11
	v_cndmask_b32_e64 v11, v14, v12, s1
; %bb.596:                              ;   in Loop: Header=BB392_370 Depth=1
	s_or_b32 exec_lo, exec_lo, s6
	v_lshrrev_b32_e32 v12, 16, v10
	v_mov_b32_e32 v14, 0
	s_mov_b32 s6, exec_lo
	s_delay_alu instid0(VALU_DEP_2) | instskip(NEXT) | instid1(VALU_DEP_1)
	v_and_b32_e32 v46, 0xff, v12
	v_cmpx_ne_u16_e32 0, v46
	s_cbranch_execz .LBB392_604
; %bb.597:                              ;   in Loop: Header=BB392_370 Depth=1
	v_bfrev_b32_e32 v14, 1
	s_mov_b32 s7, exec_lo
	v_cmpx_ne_u16_e32 0x80, v46
	s_cbranch_execz .LBB392_603
; %bb.598:                              ;   in Loop: Header=BB392_370 Depth=1
	v_bfe_u32 v47, v10, 16, 7
	v_mov_b32_e32 v14, 0x7f800001
	s_mov_b32 s9, exec_lo
	s_delay_alu instid0(VALU_DEP_2)
	v_cmpx_ne_u32_e32 0x7f, v47
	s_cbranch_execz .LBB392_602
; %bb.599:                              ;   in Loop: Header=BB392_370 Depth=1
	v_and_b32_e32 v14, 7, v12
	v_lshrrev_b32_e32 v46, 3, v47
	s_mov_b32 s16, exec_lo
	v_cmpx_gt_u32_e32 8, v47
; %bb.600:                              ;   in Loop: Header=BB392_370 Depth=1
	s_delay_alu instid0(VALU_DEP_3) | instskip(NEXT) | instid1(VALU_DEP_1)
	v_clz_i32_u32_e32 v46, v14
	v_min_u32_e32 v46, 32, v46
	s_delay_alu instid0(VALU_DEP_1) | instskip(SKIP_1) | instid1(VALU_DEP_2)
	v_subrev_nc_u32_e32 v47, 28, v46
	v_sub_nc_u32_e32 v46, 29, v46
	v_lshlrev_b64 v[47:48], v47, v[14:15]
	s_delay_alu instid0(VALU_DEP_1)
	v_and_b32_e32 v14, 7, v47
; %bb.601:                              ;   in Loop: Header=BB392_370 Depth=1
	s_or_b32 exec_lo, exec_lo, s16
	v_lshlrev_b32_e32 v12, 24, v12
	s_delay_alu instid0(VALU_DEP_2) | instskip(SKIP_1) | instid1(VALU_DEP_3)
	v_lshlrev_b32_e32 v14, 20, v14
	v_lshl_add_u32 v46, v46, 23, 0x3c000000
	v_and_b32_e32 v12, 0x80000000, v12
	s_delay_alu instid0(VALU_DEP_1)
	v_or3_b32 v14, v14, v12, v46
.LBB392_602:                            ;   in Loop: Header=BB392_370 Depth=1
	s_or_b32 exec_lo, exec_lo, s9
.LBB392_603:                            ;   in Loop: Header=BB392_370 Depth=1
	s_delay_alu instid0(SALU_CYCLE_1)
	s_or_b32 exec_lo, exec_lo, s7
.LBB392_604:                            ;   in Loop: Header=BB392_370 Depth=1
	s_delay_alu instid0(SALU_CYCLE_1) | instskip(NEXT) | instid1(VALU_DEP_1)
	s_or_b32 exec_lo, exec_lo, s6
	v_mul_f32_e32 v14, s15, v14
	s_delay_alu instid0(VALU_DEP_1) | instskip(NEXT) | instid1(VALU_DEP_1)
	v_and_b32_e32 v12, 0x7f800000, v14
	v_cmp_ne_u32_e64 s1, 0x7f800000, v12
                                        ; implicit-def: $vgpr12
	s_delay_alu instid0(VALU_DEP_1) | instskip(NEXT) | instid1(SALU_CYCLE_1)
	s_and_saveexec_b32 s6, s1
	s_xor_b32 s1, exec_lo, s6
; %bb.605:                              ;   in Loop: Header=BB392_370 Depth=1
	v_bfe_u32 v12, v14, 16, 1
	s_delay_alu instid0(VALU_DEP_1)
	v_add3_u32 v12, v14, v12, 0x7fff
                                        ; implicit-def: $vgpr14
; %bb.606:                              ;   in Loop: Header=BB392_370 Depth=1
	s_and_not1_saveexec_b32 s6, s1
; %bb.607:                              ;   in Loop: Header=BB392_370 Depth=1
	v_and_b32_e32 v12, 0xffff, v14
	v_or_b32_e32 v46, 0x10000, v14
	s_delay_alu instid0(VALU_DEP_2) | instskip(NEXT) | instid1(VALU_DEP_1)
	v_cmp_eq_u32_e64 s1, 0, v12
	v_cndmask_b32_e64 v12, v46, v14, s1
; %bb.608:                              ;   in Loop: Header=BB392_370 Depth=1
	s_or_b32 exec_lo, exec_lo, s6
	v_mov_b32_e32 v14, 0
	s_mov_b32 s6, exec_lo
	v_cmpx_lt_u64_e64 s[12:13], v[9:10]
	s_cbranch_execz .LBB392_616
; %bb.609:                              ;   in Loop: Header=BB392_370 Depth=1
	v_lshrrev_b32_e32 v9, 24, v10
	v_bfrev_b32_e32 v14, 1
	s_mov_b32 s7, exec_lo
	s_delay_alu instid0(VALU_DEP_2)
	v_cmpx_ne_u32_e32 0x80, v9
	s_cbranch_execz .LBB392_615
; %bb.610:                              ;   in Loop: Header=BB392_370 Depth=1
	v_bfe_u32 v46, v10, 24, 7
	v_mov_b32_e32 v14, 0x7f800001
	s_mov_b32 s9, exec_lo
	s_delay_alu instid0(VALU_DEP_2)
	v_cmpx_ne_u32_e32 0x7f, v46
	s_cbranch_execz .LBB392_614
; %bb.611:                              ;   in Loop: Header=BB392_370 Depth=1
	v_and_b32_e32 v14, 7, v9
	v_lshrrev_b32_e32 v10, 3, v46
	s_mov_b32 s16, exec_lo
	v_cmpx_gt_u32_e32 8, v46
; %bb.612:                              ;   in Loop: Header=BB392_370 Depth=1
	s_delay_alu instid0(VALU_DEP_3) | instskip(NEXT) | instid1(VALU_DEP_1)
	v_clz_i32_u32_e32 v10, v14
	v_min_u32_e32 v10, 32, v10
	s_delay_alu instid0(VALU_DEP_1) | instskip(SKIP_1) | instid1(VALU_DEP_2)
	v_subrev_nc_u32_e32 v46, 28, v10
	v_sub_nc_u32_e32 v10, 29, v10
	v_lshlrev_b64 v[46:47], v46, v[14:15]
	s_delay_alu instid0(VALU_DEP_1)
	v_and_b32_e32 v14, 7, v46
; %bb.613:                              ;   in Loop: Header=BB392_370 Depth=1
	s_or_b32 exec_lo, exec_lo, s16
	v_lshlrev_b32_e32 v9, 24, v9
	s_delay_alu instid0(VALU_DEP_2) | instskip(SKIP_1) | instid1(VALU_DEP_3)
	v_lshlrev_b32_e32 v14, 20, v14
	v_lshl_add_u32 v10, v10, 23, 0x3c000000
	v_and_b32_e32 v9, 0x80000000, v9
	s_delay_alu instid0(VALU_DEP_1)
	v_or3_b32 v14, v14, v9, v10
.LBB392_614:                            ;   in Loop: Header=BB392_370 Depth=1
	s_or_b32 exec_lo, exec_lo, s9
.LBB392_615:                            ;   in Loop: Header=BB392_370 Depth=1
	s_delay_alu instid0(SALU_CYCLE_1)
	s_or_b32 exec_lo, exec_lo, s7
.LBB392_616:                            ;   in Loop: Header=BB392_370 Depth=1
	s_delay_alu instid0(SALU_CYCLE_1) | instskip(NEXT) | instid1(VALU_DEP_1)
	s_or_b32 exec_lo, exec_lo, s6
	v_mul_f32_e32 v10, s15, v14
	s_delay_alu instid0(VALU_DEP_1) | instskip(NEXT) | instid1(VALU_DEP_1)
	v_and_b32_e32 v9, 0x7f800000, v10
	v_cmp_ne_u32_e64 s1, 0x7f800000, v9
                                        ; implicit-def: $vgpr9
	s_delay_alu instid0(VALU_DEP_1) | instskip(NEXT) | instid1(SALU_CYCLE_1)
	s_and_saveexec_b32 s6, s1
	s_xor_b32 s1, exec_lo, s6
; %bb.617:                              ;   in Loop: Header=BB392_370 Depth=1
	v_bfe_u32 v9, v10, 16, 1
	s_delay_alu instid0(VALU_DEP_1)
	v_add3_u32 v9, v10, v9, 0x7fff
                                        ; implicit-def: $vgpr10
; %bb.618:                              ;   in Loop: Header=BB392_370 Depth=1
	s_and_not1_saveexec_b32 s6, s1
; %bb.619:                              ;   in Loop: Header=BB392_370 Depth=1
	v_and_b32_e32 v9, 0xffff, v10
	v_or_b32_e32 v14, 0x10000, v10
	s_delay_alu instid0(VALU_DEP_2) | instskip(NEXT) | instid1(VALU_DEP_1)
	v_cmp_eq_u32_e64 s1, 0, v9
	v_cndmask_b32_e64 v9, v14, v10, s1
; %bb.620:                              ;   in Loop: Header=BB392_370 Depth=1
	s_or_b32 exec_lo, exec_lo, s6
	v_lshrrev_b32_e32 v14, 16, v11
	v_lshrrev_b32_e32 v45, 16, v45
	v_lshrrev_b32_e32 v44, 16, v44
	v_lshrrev_b32_e32 v43, 16, v43
	v_lshrrev_b32_e32 v42, 16, v42
	v_lshrrev_b32_e32 v11, 16, v41
	v_lshrrev_b32_e32 v10, 16, v12
	v_lshrrev_b32_e32 v9, 16, v9
	s_and_saveexec_b32 s6, s0
	s_cbranch_execz .LBB392_622
; %bb.621:                              ;   in Loop: Header=BB392_370 Depth=1
	v_add_nc_u32_e32 v12, -6, v22
	v_cmp_gt_i32_e64 s1, s33, v24
	v_add_nc_u32_e32 v41, -5, v22
	v_add_nc_u32_e32 v46, -2, v22
	s_delay_alu instid0(VALU_DEP_3) | instskip(SKIP_2) | instid1(VALU_DEP_2)
	v_cndmask_b32_e64 v11, 0, v11, s1
	v_cmp_gt_i32_e64 s1, s33, v12
	v_add_nc_u32_e32 v12, -4, v22
	v_cndmask_b32_e64 v42, 0, v42, s1
	v_cmp_gt_i32_e64 s1, s33, v41
	v_add_nc_u32_e32 v41, -3, v22
	s_delay_alu instid0(VALU_DEP_2) | instskip(SKIP_2) | instid1(VALU_DEP_2)
	v_cndmask_b32_e64 v43, 0, v43, s1
	v_cmp_gt_i32_e64 s1, s33, v12
	v_add_nc_u32_e32 v12, -1, v22
	v_cndmask_b32_e64 v44, 0, v44, s1
	v_cmp_gt_i32_e64 s1, s33, v41
	s_delay_alu instid0(VALU_DEP_1) | instskip(SKIP_1) | instid1(VALU_DEP_1)
	v_cndmask_b32_e64 v45, 0, v45, s1
	v_cmp_gt_i32_e64 s1, s33, v46
	v_cndmask_b32_e64 v14, 0, v14, s1
	v_cmp_gt_i32_e64 s1, s33, v12
	s_delay_alu instid0(VALU_DEP_1) | instskip(SKIP_1) | instid1(VALU_DEP_1)
	v_cndmask_b32_e64 v10, 0, v10, s1
	v_cmp_gt_i32_e64 s1, s33, v22
	v_cndmask_b32_e64 v9, 0, v9, s1
.LBB392_622:                            ;   in Loop: Header=BB392_370 Depth=1
	s_or_b32 exec_lo, exec_lo, s6
	v_lshlrev_b32_e32 v11, 16, v11
	s_delay_alu instid0(VALU_DEP_1) | instskip(NEXT) | instid1(VALU_DEP_1)
	v_mul_f32_e32 v12, v25, v11
	v_and_b32_e32 v11, 0x7f800000, v12
	s_delay_alu instid0(VALU_DEP_1) | instskip(NEXT) | instid1(VALU_DEP_1)
	v_cmp_ne_u32_e64 s1, 0x7f800000, v11
                                        ; implicit-def: $vgpr11
	s_and_saveexec_b32 s6, s1
	s_delay_alu instid0(SALU_CYCLE_1)
	s_xor_b32 s1, exec_lo, s6
; %bb.623:                              ;   in Loop: Header=BB392_370 Depth=1
	v_bfe_u32 v11, v12, 16, 1
	s_delay_alu instid0(VALU_DEP_1)
	v_add3_u32 v11, v12, v11, 0x7fff
                                        ; implicit-def: $vgpr12
; %bb.624:                              ;   in Loop: Header=BB392_370 Depth=1
	s_and_not1_saveexec_b32 s6, s1
; %bb.625:                              ;   in Loop: Header=BB392_370 Depth=1
	v_and_b32_e32 v11, 0xffff, v12
	v_or_b32_e32 v41, 0x10000, v12
	s_delay_alu instid0(VALU_DEP_2) | instskip(NEXT) | instid1(VALU_DEP_1)
	v_cmp_eq_u32_e64 s1, 0, v11
	v_cndmask_b32_e64 v11, v41, v12, s1
; %bb.626:                              ;   in Loop: Header=BB392_370 Depth=1
	s_or_b32 exec_lo, exec_lo, s6
	v_lshlrev_b32_e32 v12, 16, v42
	s_delay_alu instid0(VALU_DEP_1) | instskip(NEXT) | instid1(VALU_DEP_1)
	v_mul_f32_e32 v41, v26, v12
	v_and_b32_e32 v12, 0x7f800000, v41
	s_delay_alu instid0(VALU_DEP_1) | instskip(NEXT) | instid1(VALU_DEP_1)
	v_cmp_ne_u32_e64 s1, 0x7f800000, v12
                                        ; implicit-def: $vgpr12
	s_and_saveexec_b32 s6, s1
	s_delay_alu instid0(SALU_CYCLE_1)
	s_xor_b32 s1, exec_lo, s6
; %bb.627:                              ;   in Loop: Header=BB392_370 Depth=1
	v_bfe_u32 v12, v41, 16, 1
	s_delay_alu instid0(VALU_DEP_1)
	v_add3_u32 v12, v41, v12, 0x7fff
                                        ; implicit-def: $vgpr41
; %bb.628:                              ;   in Loop: Header=BB392_370 Depth=1
	s_and_not1_saveexec_b32 s6, s1
; %bb.629:                              ;   in Loop: Header=BB392_370 Depth=1
	v_and_b32_e32 v12, 0xffff, v41
	v_or_b32_e32 v42, 0x10000, v41
	s_delay_alu instid0(VALU_DEP_2) | instskip(NEXT) | instid1(VALU_DEP_1)
	v_cmp_eq_u32_e64 s1, 0, v12
	v_cndmask_b32_e64 v12, v42, v41, s1
; %bb.630:                              ;   in Loop: Header=BB392_370 Depth=1
	s_or_b32 exec_lo, exec_lo, s6
	v_lshlrev_b32_e32 v41, 16, v43
	s_delay_alu instid0(VALU_DEP_1) | instskip(NEXT) | instid1(VALU_DEP_1)
	v_mul_f32_e32 v42, v27, v41
	v_and_b32_e32 v41, 0x7f800000, v42
	s_delay_alu instid0(VALU_DEP_1) | instskip(NEXT) | instid1(VALU_DEP_1)
	v_cmp_ne_u32_e64 s1, 0x7f800000, v41
                                        ; implicit-def: $vgpr41
	s_and_saveexec_b32 s6, s1
	s_delay_alu instid0(SALU_CYCLE_1)
	s_xor_b32 s1, exec_lo, s6
; %bb.631:                              ;   in Loop: Header=BB392_370 Depth=1
	v_bfe_u32 v41, v42, 16, 1
	s_delay_alu instid0(VALU_DEP_1)
	v_add3_u32 v41, v42, v41, 0x7fff
                                        ; implicit-def: $vgpr42
; %bb.632:                              ;   in Loop: Header=BB392_370 Depth=1
	s_and_not1_saveexec_b32 s6, s1
; %bb.633:                              ;   in Loop: Header=BB392_370 Depth=1
	v_and_b32_e32 v41, 0xffff, v42
	v_or_b32_e32 v43, 0x10000, v42
	s_delay_alu instid0(VALU_DEP_2) | instskip(NEXT) | instid1(VALU_DEP_1)
	v_cmp_eq_u32_e64 s1, 0, v41
	v_cndmask_b32_e64 v41, v43, v42, s1
; %bb.634:                              ;   in Loop: Header=BB392_370 Depth=1
	s_or_b32 exec_lo, exec_lo, s6
	v_lshlrev_b32_e32 v42, 16, v44
	s_delay_alu instid0(VALU_DEP_1) | instskip(NEXT) | instid1(VALU_DEP_1)
	v_mul_f32_e32 v43, v28, v42
	v_and_b32_e32 v42, 0x7f800000, v43
	s_delay_alu instid0(VALU_DEP_1) | instskip(NEXT) | instid1(VALU_DEP_1)
	v_cmp_ne_u32_e64 s1, 0x7f800000, v42
                                        ; implicit-def: $vgpr42
	s_and_saveexec_b32 s6, s1
	s_delay_alu instid0(SALU_CYCLE_1)
	s_xor_b32 s1, exec_lo, s6
; %bb.635:                              ;   in Loop: Header=BB392_370 Depth=1
	v_bfe_u32 v42, v43, 16, 1
	s_delay_alu instid0(VALU_DEP_1)
	v_add3_u32 v42, v43, v42, 0x7fff
                                        ; implicit-def: $vgpr43
; %bb.636:                              ;   in Loop: Header=BB392_370 Depth=1
	s_and_not1_saveexec_b32 s6, s1
; %bb.637:                              ;   in Loop: Header=BB392_370 Depth=1
	v_and_b32_e32 v42, 0xffff, v43
	v_or_b32_e32 v44, 0x10000, v43
	s_delay_alu instid0(VALU_DEP_2) | instskip(NEXT) | instid1(VALU_DEP_1)
	v_cmp_eq_u32_e64 s1, 0, v42
	v_cndmask_b32_e64 v42, v44, v43, s1
; %bb.638:                              ;   in Loop: Header=BB392_370 Depth=1
	s_or_b32 exec_lo, exec_lo, s6
	v_lshlrev_b32_e32 v43, 16, v45
	s_delay_alu instid0(VALU_DEP_1) | instskip(NEXT) | instid1(VALU_DEP_1)
	v_mul_f32_e32 v44, v29, v43
	v_and_b32_e32 v43, 0x7f800000, v44
	s_delay_alu instid0(VALU_DEP_1) | instskip(NEXT) | instid1(VALU_DEP_1)
	v_cmp_ne_u32_e64 s1, 0x7f800000, v43
                                        ; implicit-def: $vgpr43
	s_and_saveexec_b32 s6, s1
	s_delay_alu instid0(SALU_CYCLE_1)
	s_xor_b32 s1, exec_lo, s6
; %bb.639:                              ;   in Loop: Header=BB392_370 Depth=1
	v_bfe_u32 v43, v44, 16, 1
	s_delay_alu instid0(VALU_DEP_1)
	v_add3_u32 v43, v44, v43, 0x7fff
                                        ; implicit-def: $vgpr44
; %bb.640:                              ;   in Loop: Header=BB392_370 Depth=1
	s_and_not1_saveexec_b32 s6, s1
; %bb.641:                              ;   in Loop: Header=BB392_370 Depth=1
	v_and_b32_e32 v43, 0xffff, v44
	v_or_b32_e32 v45, 0x10000, v44
	s_delay_alu instid0(VALU_DEP_2) | instskip(NEXT) | instid1(VALU_DEP_1)
	v_cmp_eq_u32_e64 s1, 0, v43
	v_cndmask_b32_e64 v43, v45, v44, s1
; %bb.642:                              ;   in Loop: Header=BB392_370 Depth=1
	s_or_b32 exec_lo, exec_lo, s6
	v_lshlrev_b32_e32 v14, 16, v14
	s_delay_alu instid0(VALU_DEP_1) | instskip(NEXT) | instid1(VALU_DEP_1)
	v_mul_f32_e32 v14, v30, v14
	v_and_b32_e32 v44, 0x7f800000, v14
	s_delay_alu instid0(VALU_DEP_1) | instskip(NEXT) | instid1(VALU_DEP_1)
	v_cmp_ne_u32_e64 s1, 0x7f800000, v44
                                        ; implicit-def: $vgpr44
	s_and_saveexec_b32 s6, s1
	s_delay_alu instid0(SALU_CYCLE_1)
	s_xor_b32 s1, exec_lo, s6
; %bb.643:                              ;   in Loop: Header=BB392_370 Depth=1
	v_bfe_u32 v44, v14, 16, 1
	s_delay_alu instid0(VALU_DEP_1)
	v_add3_u32 v44, v14, v44, 0x7fff
                                        ; implicit-def: $vgpr14
; %bb.644:                              ;   in Loop: Header=BB392_370 Depth=1
	s_and_not1_saveexec_b32 s6, s1
; %bb.645:                              ;   in Loop: Header=BB392_370 Depth=1
	v_and_b32_e32 v44, 0xffff, v14
	v_or_b32_e32 v45, 0x10000, v14
	s_delay_alu instid0(VALU_DEP_2) | instskip(NEXT) | instid1(VALU_DEP_1)
	v_cmp_eq_u32_e64 s1, 0, v44
	v_cndmask_b32_e64 v44, v45, v14, s1
; %bb.646:                              ;   in Loop: Header=BB392_370 Depth=1
	s_or_b32 exec_lo, exec_lo, s6
	v_lshlrev_b32_e32 v10, 16, v10
                                        ; implicit-def: $vgpr45
	s_delay_alu instid0(VALU_DEP_1) | instskip(NEXT) | instid1(VALU_DEP_1)
	v_mul_f32_e32 v10, v31, v10
	v_and_b32_e32 v14, 0x7f800000, v10
	s_delay_alu instid0(VALU_DEP_1) | instskip(NEXT) | instid1(VALU_DEP_1)
	v_cmp_ne_u32_e64 s1, 0x7f800000, v14
	s_and_saveexec_b32 s6, s1
	s_delay_alu instid0(SALU_CYCLE_1)
	s_xor_b32 s1, exec_lo, s6
; %bb.647:                              ;   in Loop: Header=BB392_370 Depth=1
	v_bfe_u32 v14, v10, 16, 1
	s_delay_alu instid0(VALU_DEP_1)
	v_add3_u32 v45, v10, v14, 0x7fff
                                        ; implicit-def: $vgpr10
; %bb.648:                              ;   in Loop: Header=BB392_370 Depth=1
	s_and_not1_saveexec_b32 s6, s1
; %bb.649:                              ;   in Loop: Header=BB392_370 Depth=1
	v_and_b32_e32 v14, 0xffff, v10
	v_or_b32_e32 v45, 0x10000, v10
	s_delay_alu instid0(VALU_DEP_2) | instskip(NEXT) | instid1(VALU_DEP_1)
	v_cmp_eq_u32_e64 s1, 0, v14
	v_cndmask_b32_e64 v45, v45, v10, s1
; %bb.650:                              ;   in Loop: Header=BB392_370 Depth=1
	s_or_b32 exec_lo, exec_lo, s6
	v_lshlrev_b32_e32 v9, 16, v9
                                        ; implicit-def: $vgpr46
	s_delay_alu instid0(VALU_DEP_1) | instskip(NEXT) | instid1(VALU_DEP_1)
	v_mul_f32_e32 v9, v32, v9
	v_and_b32_e32 v10, 0x7f800000, v9
	s_delay_alu instid0(VALU_DEP_1) | instskip(NEXT) | instid1(VALU_DEP_1)
	v_cmp_ne_u32_e64 s1, 0x7f800000, v10
	s_and_saveexec_b32 s6, s1
	s_delay_alu instid0(SALU_CYCLE_1)
	s_xor_b32 s1, exec_lo, s6
; %bb.651:                              ;   in Loop: Header=BB392_370 Depth=1
	v_bfe_u32 v10, v9, 16, 1
	s_delay_alu instid0(VALU_DEP_1)
	v_add3_u32 v46, v9, v10, 0x7fff
                                        ; implicit-def: $vgpr9
; %bb.652:                              ;   in Loop: Header=BB392_370 Depth=1
	s_and_not1_saveexec_b32 s6, s1
; %bb.653:                              ;   in Loop: Header=BB392_370 Depth=1
	v_and_b32_e32 v10, 0xffff, v9
	v_or_b32_e32 v14, 0x10000, v9
	s_delay_alu instid0(VALU_DEP_2) | instskip(NEXT) | instid1(VALU_DEP_1)
	v_cmp_eq_u32_e64 s1, 0, v10
	v_cndmask_b32_e64 v46, v14, v9, s1
; %bb.654:                              ;   in Loop: Header=BB392_370 Depth=1
	s_or_b32 exec_lo, exec_lo, s6
	global_load_b64 v[7:8], v[7:8], off offset:512
	s_mov_b32 s6, exec_lo
	s_waitcnt vmcnt(0)
	v_dual_mov_b32 v9, 0 :: v_dual_and_b32 v10, 0xff, v7
	s_delay_alu instid0(VALU_DEP_1)
	v_cmpx_ne_u16_e32 0, v10
	s_cbranch_execz .LBB392_660
; %bb.655:                              ;   in Loop: Header=BB392_370 Depth=1
	v_bfrev_b32_e32 v9, 1
	s_mov_b32 s7, exec_lo
	v_cmpx_ne_u16_e32 0x80, v10
	s_cbranch_execz .LBB392_659
; %bb.656:                              ;   in Loop: Header=BB392_370 Depth=1
	v_and_b32_e32 v10, 0x7f, v7
	v_mov_b32_e32 v9, 0x7f800001
	s_mov_b32 s9, exec_lo
	s_delay_alu instid0(VALU_DEP_2)
	v_cmpx_ne_u32_e32 0x7f, v10
	s_cbranch_execz .LBB392_658
; %bb.657:                              ;   in Loop: Header=BB392_370 Depth=1
	v_and_b32_e32 v9, 7, v7
	v_lshrrev_b32_e32 v14, 3, v10
	v_cmp_gt_u32_e64 s1, 8, v10
	s_delay_alu instid0(VALU_DEP_3) | instskip(NEXT) | instid1(VALU_DEP_1)
	v_clz_i32_u32_e32 v9, v9
	v_min_u32_e32 v9, 32, v9
	s_delay_alu instid0(VALU_DEP_1) | instskip(SKIP_1) | instid1(VALU_DEP_1)
	v_subrev_nc_u32_e32 v47, 28, v9
	v_sub_nc_u32_e32 v9, 29, v9
	v_cndmask_b32_e64 v14, v14, v9, s1
	s_delay_alu instid0(VALU_DEP_3) | instskip(NEXT) | instid1(VALU_DEP_2)
	v_cndmask_b32_e64 v9, 0, v47, s1
	v_lshl_add_u32 v14, v14, 23, 0x3c000000
	s_delay_alu instid0(VALU_DEP_2) | instskip(SKIP_1) | instid1(VALU_DEP_2)
	v_lshlrev_b64 v[9:10], v9, v[7:8]
	v_lshlrev_b32_e32 v10, 24, v7
	v_lshlrev_b32_e32 v9, 20, v9
	s_delay_alu instid0(VALU_DEP_2) | instskip(NEXT) | instid1(VALU_DEP_2)
	v_and_b32_e32 v10, 0x80000000, v10
	v_and_b32_e32 v9, 0x700000, v9
	s_delay_alu instid0(VALU_DEP_1)
	v_or3_b32 v9, v9, v10, v14
.LBB392_658:                            ;   in Loop: Header=BB392_370 Depth=1
	s_or_b32 exec_lo, exec_lo, s9
.LBB392_659:                            ;   in Loop: Header=BB392_370 Depth=1
	s_delay_alu instid0(SALU_CYCLE_1)
	s_or_b32 exec_lo, exec_lo, s7
.LBB392_660:                            ;   in Loop: Header=BB392_370 Depth=1
	s_delay_alu instid0(SALU_CYCLE_1) | instskip(NEXT) | instid1(VALU_DEP_1)
	s_or_b32 exec_lo, exec_lo, s6
	v_mul_f32_e32 v9, s15, v9
                                        ; implicit-def: $vgpr47
	s_delay_alu instid0(VALU_DEP_1) | instskip(NEXT) | instid1(VALU_DEP_1)
	v_and_b32_e32 v10, 0x7f800000, v9
	v_cmp_ne_u32_e64 s1, 0x7f800000, v10
	s_delay_alu instid0(VALU_DEP_1) | instskip(NEXT) | instid1(SALU_CYCLE_1)
	s_and_saveexec_b32 s6, s1
	s_xor_b32 s1, exec_lo, s6
; %bb.661:                              ;   in Loop: Header=BB392_370 Depth=1
	v_bfe_u32 v10, v9, 16, 1
	s_delay_alu instid0(VALU_DEP_1)
	v_add3_u32 v47, v9, v10, 0x7fff
                                        ; implicit-def: $vgpr9
; %bb.662:                              ;   in Loop: Header=BB392_370 Depth=1
	s_and_not1_saveexec_b32 s6, s1
; %bb.663:                              ;   in Loop: Header=BB392_370 Depth=1
	v_and_b32_e32 v10, 0xffff, v9
	v_or_b32_e32 v14, 0x10000, v9
	s_delay_alu instid0(VALU_DEP_2) | instskip(NEXT) | instid1(VALU_DEP_1)
	v_cmp_eq_u32_e64 s1, 0, v10
	v_cndmask_b32_e64 v47, v14, v9, s1
; %bb.664:                              ;   in Loop: Header=BB392_370 Depth=1
	s_or_b32 exec_lo, exec_lo, s6
	v_lshrrev_b16 v10, 8, v7
	v_mov_b32_e32 v9, 0
	s_mov_b32 s6, exec_lo
	s_delay_alu instid0(VALU_DEP_2)
	v_cmpx_ne_u16_e32 0, v10
	s_cbranch_execz .LBB392_672
; %bb.665:                              ;   in Loop: Header=BB392_370 Depth=1
	v_bfrev_b32_e32 v9, 1
	s_mov_b32 s7, exec_lo
	v_cmpx_ne_u16_e32 0x80, v10
	s_cbranch_execz .LBB392_671
; %bb.666:                              ;   in Loop: Header=BB392_370 Depth=1
	v_and_b32_e32 v14, 0xffff, v10
	v_mov_b32_e32 v9, 0x7f800001
	s_mov_b32 s9, exec_lo
	s_delay_alu instid0(VALU_DEP_2) | instskip(NEXT) | instid1(VALU_DEP_1)
	v_and_b32_e32 v10, 0x7f, v14
	v_cmpx_ne_u32_e32 0x7f, v10
	s_cbranch_execz .LBB392_670
; %bb.667:                              ;   in Loop: Header=BB392_370 Depth=1
	v_and_b32_e32 v14, 7, v14
	v_lshrrev_b32_e32 v9, 3, v10
	s_mov_b32 s16, exec_lo
	v_cmpx_gt_u32_e32 8, v10
; %bb.668:                              ;   in Loop: Header=BB392_370 Depth=1
	s_delay_alu instid0(VALU_DEP_3) | instskip(NEXT) | instid1(VALU_DEP_1)
	v_clz_i32_u32_e32 v9, v14
	v_min_u32_e32 v9, 32, v9
	s_delay_alu instid0(VALU_DEP_1) | instskip(SKIP_1) | instid1(VALU_DEP_2)
	v_subrev_nc_u32_e32 v10, 28, v9
	v_sub_nc_u32_e32 v9, 29, v9
	v_lshlrev_b64 v[48:49], v10, v[14:15]
	s_delay_alu instid0(VALU_DEP_1)
	v_and_b32_e32 v14, 7, v48
; %bb.669:                              ;   in Loop: Header=BB392_370 Depth=1
	s_or_b32 exec_lo, exec_lo, s16
	v_lshlrev_b32_e32 v10, 16, v7
	s_delay_alu instid0(VALU_DEP_2) | instskip(SKIP_1) | instid1(VALU_DEP_3)
	v_lshlrev_b32_e32 v14, 20, v14
	v_lshl_add_u32 v9, v9, 23, 0x3c000000
	v_and_b32_e32 v10, 0x80000000, v10
	s_delay_alu instid0(VALU_DEP_1)
	v_or3_b32 v9, v14, v10, v9
.LBB392_670:                            ;   in Loop: Header=BB392_370 Depth=1
	s_or_b32 exec_lo, exec_lo, s9
.LBB392_671:                            ;   in Loop: Header=BB392_370 Depth=1
	s_delay_alu instid0(SALU_CYCLE_1)
	s_or_b32 exec_lo, exec_lo, s7
.LBB392_672:                            ;   in Loop: Header=BB392_370 Depth=1
	s_delay_alu instid0(SALU_CYCLE_1) | instskip(NEXT) | instid1(VALU_DEP_1)
	s_or_b32 exec_lo, exec_lo, s6
	v_mul_f32_e32 v9, s15, v9
                                        ; implicit-def: $vgpr48
	s_delay_alu instid0(VALU_DEP_1) | instskip(NEXT) | instid1(VALU_DEP_1)
	v_and_b32_e32 v10, 0x7f800000, v9
	v_cmp_ne_u32_e64 s1, 0x7f800000, v10
	s_delay_alu instid0(VALU_DEP_1) | instskip(NEXT) | instid1(SALU_CYCLE_1)
	s_and_saveexec_b32 s6, s1
	s_xor_b32 s1, exec_lo, s6
; %bb.673:                              ;   in Loop: Header=BB392_370 Depth=1
	v_bfe_u32 v10, v9, 16, 1
	s_delay_alu instid0(VALU_DEP_1)
	v_add3_u32 v48, v9, v10, 0x7fff
                                        ; implicit-def: $vgpr9
; %bb.674:                              ;   in Loop: Header=BB392_370 Depth=1
	s_and_not1_saveexec_b32 s6, s1
; %bb.675:                              ;   in Loop: Header=BB392_370 Depth=1
	v_and_b32_e32 v10, 0xffff, v9
	v_or_b32_e32 v14, 0x10000, v9
	s_delay_alu instid0(VALU_DEP_2) | instskip(NEXT) | instid1(VALU_DEP_1)
	v_cmp_eq_u32_e64 s1, 0, v10
	v_cndmask_b32_e64 v48, v14, v9, s1
; %bb.676:                              ;   in Loop: Header=BB392_370 Depth=1
	s_or_b32 exec_lo, exec_lo, s6
	v_lshrrev_b32_e32 v9, 16, v7
	v_mov_b32_e32 v10, 0
	s_mov_b32 s6, exec_lo
	s_delay_alu instid0(VALU_DEP_2) | instskip(NEXT) | instid1(VALU_DEP_1)
	v_and_b32_e32 v14, 0xff, v9
	v_cmpx_ne_u16_e32 0, v14
	s_cbranch_execz .LBB392_684
; %bb.677:                              ;   in Loop: Header=BB392_370 Depth=1
	v_bfrev_b32_e32 v10, 1
	s_mov_b32 s7, exec_lo
	v_cmpx_ne_u16_e32 0x80, v14
	s_cbranch_execz .LBB392_683
; %bb.678:                              ;   in Loop: Header=BB392_370 Depth=1
	v_bfe_u32 v49, v7, 16, 7
	v_mov_b32_e32 v10, 0x7f800001
	s_mov_b32 s9, exec_lo
	s_delay_alu instid0(VALU_DEP_2)
	v_cmpx_ne_u32_e32 0x7f, v49
	s_cbranch_execz .LBB392_682
; %bb.679:                              ;   in Loop: Header=BB392_370 Depth=1
	v_and_b32_e32 v14, 7, v9
	v_lshrrev_b32_e32 v10, 3, v49
	s_mov_b32 s16, exec_lo
	v_cmpx_gt_u32_e32 8, v49
; %bb.680:                              ;   in Loop: Header=BB392_370 Depth=1
	s_delay_alu instid0(VALU_DEP_3) | instskip(NEXT) | instid1(VALU_DEP_1)
	v_clz_i32_u32_e32 v10, v14
	v_min_u32_e32 v10, 32, v10
	s_delay_alu instid0(VALU_DEP_1) | instskip(SKIP_1) | instid1(VALU_DEP_2)
	v_subrev_nc_u32_e32 v49, 28, v10
	v_sub_nc_u32_e32 v10, 29, v10
	v_lshlrev_b64 v[49:50], v49, v[14:15]
	s_delay_alu instid0(VALU_DEP_1)
	v_and_b32_e32 v14, 7, v49
; %bb.681:                              ;   in Loop: Header=BB392_370 Depth=1
	s_or_b32 exec_lo, exec_lo, s16
	v_lshlrev_b32_e32 v9, 24, v9
	s_delay_alu instid0(VALU_DEP_2) | instskip(SKIP_1) | instid1(VALU_DEP_3)
	v_lshlrev_b32_e32 v14, 20, v14
	v_lshl_add_u32 v10, v10, 23, 0x3c000000
	v_and_b32_e32 v9, 0x80000000, v9
	s_delay_alu instid0(VALU_DEP_1)
	v_or3_b32 v10, v14, v9, v10
.LBB392_682:                            ;   in Loop: Header=BB392_370 Depth=1
	s_or_b32 exec_lo, exec_lo, s9
.LBB392_683:                            ;   in Loop: Header=BB392_370 Depth=1
	s_delay_alu instid0(SALU_CYCLE_1)
	s_or_b32 exec_lo, exec_lo, s7
.LBB392_684:                            ;   in Loop: Header=BB392_370 Depth=1
	s_delay_alu instid0(SALU_CYCLE_1) | instskip(NEXT) | instid1(VALU_DEP_1)
	s_or_b32 exec_lo, exec_lo, s6
	v_mul_f32_e32 v9, s15, v10
                                        ; implicit-def: $vgpr49
	s_delay_alu instid0(VALU_DEP_1) | instskip(NEXT) | instid1(VALU_DEP_1)
	v_and_b32_e32 v10, 0x7f800000, v9
	v_cmp_ne_u32_e64 s1, 0x7f800000, v10
	s_delay_alu instid0(VALU_DEP_1) | instskip(NEXT) | instid1(SALU_CYCLE_1)
	s_and_saveexec_b32 s6, s1
	s_xor_b32 s1, exec_lo, s6
; %bb.685:                              ;   in Loop: Header=BB392_370 Depth=1
	v_bfe_u32 v10, v9, 16, 1
	s_delay_alu instid0(VALU_DEP_1)
	v_add3_u32 v49, v9, v10, 0x7fff
                                        ; implicit-def: $vgpr9
; %bb.686:                              ;   in Loop: Header=BB392_370 Depth=1
	s_and_not1_saveexec_b32 s6, s1
; %bb.687:                              ;   in Loop: Header=BB392_370 Depth=1
	v_and_b32_e32 v10, 0xffff, v9
	v_or_b32_e32 v14, 0x10000, v9
	s_delay_alu instid0(VALU_DEP_2) | instskip(NEXT) | instid1(VALU_DEP_1)
	v_cmp_eq_u32_e64 s1, 0, v10
	v_cndmask_b32_e64 v49, v14, v9, s1
; %bb.688:                              ;   in Loop: Header=BB392_370 Depth=1
	s_or_b32 exec_lo, exec_lo, s6
	v_mov_b32_e32 v10, 0
	s_mov_b32 s6, exec_lo
	v_cmpx_lt_u32_e32 0xffffff, v7
	s_cbranch_execz .LBB392_696
; %bb.689:                              ;   in Loop: Header=BB392_370 Depth=1
	v_lshrrev_b32_e32 v9, 24, v7
	v_bfrev_b32_e32 v10, 1
	s_mov_b32 s7, exec_lo
	s_delay_alu instid0(VALU_DEP_2)
	v_cmpx_ne_u32_e32 0x80, v9
	s_cbranch_execz .LBB392_695
; %bb.690:                              ;   in Loop: Header=BB392_370 Depth=1
	v_bfe_u32 v50, v7, 24, 7
	v_mov_b32_e32 v10, 0x7f800001
	s_mov_b32 s9, exec_lo
	s_delay_alu instid0(VALU_DEP_2)
	v_cmpx_ne_u32_e32 0x7f, v50
	s_cbranch_execz .LBB392_694
; %bb.691:                              ;   in Loop: Header=BB392_370 Depth=1
	v_and_b32_e32 v14, 7, v9
	v_lshrrev_b32_e32 v10, 3, v50
	s_mov_b32 s16, exec_lo
	v_cmpx_gt_u32_e32 8, v50
; %bb.692:                              ;   in Loop: Header=BB392_370 Depth=1
	s_delay_alu instid0(VALU_DEP_3) | instskip(NEXT) | instid1(VALU_DEP_1)
	v_clz_i32_u32_e32 v10, v14
	v_min_u32_e32 v10, 32, v10
	s_delay_alu instid0(VALU_DEP_1) | instskip(SKIP_1) | instid1(VALU_DEP_2)
	v_subrev_nc_u32_e32 v50, 28, v10
	v_sub_nc_u32_e32 v10, 29, v10
	v_lshlrev_b64 v[50:51], v50, v[14:15]
	s_delay_alu instid0(VALU_DEP_1)
	v_and_b32_e32 v14, 7, v50
; %bb.693:                              ;   in Loop: Header=BB392_370 Depth=1
	s_or_b32 exec_lo, exec_lo, s16
	v_lshlrev_b32_e32 v9, 24, v9
	s_delay_alu instid0(VALU_DEP_2) | instskip(SKIP_1) | instid1(VALU_DEP_3)
	v_lshlrev_b32_e32 v14, 20, v14
	v_lshl_add_u32 v10, v10, 23, 0x3c000000
	v_and_b32_e32 v9, 0x80000000, v9
	s_delay_alu instid0(VALU_DEP_1)
	v_or3_b32 v10, v14, v9, v10
.LBB392_694:                            ;   in Loop: Header=BB392_370 Depth=1
	s_or_b32 exec_lo, exec_lo, s9
.LBB392_695:                            ;   in Loop: Header=BB392_370 Depth=1
	s_delay_alu instid0(SALU_CYCLE_1)
	s_or_b32 exec_lo, exec_lo, s7
.LBB392_696:                            ;   in Loop: Header=BB392_370 Depth=1
	s_delay_alu instid0(SALU_CYCLE_1) | instskip(NEXT) | instid1(VALU_DEP_1)
	s_or_b32 exec_lo, exec_lo, s6
	v_mul_f32_e32 v9, s15, v10
                                        ; implicit-def: $vgpr50
	s_delay_alu instid0(VALU_DEP_1) | instskip(NEXT) | instid1(VALU_DEP_1)
	v_and_b32_e32 v10, 0x7f800000, v9
	v_cmp_ne_u32_e64 s1, 0x7f800000, v10
	s_delay_alu instid0(VALU_DEP_1) | instskip(NEXT) | instid1(SALU_CYCLE_1)
	s_and_saveexec_b32 s6, s1
	s_xor_b32 s1, exec_lo, s6
; %bb.697:                              ;   in Loop: Header=BB392_370 Depth=1
	v_bfe_u32 v10, v9, 16, 1
	s_delay_alu instid0(VALU_DEP_1)
	v_add3_u32 v50, v9, v10, 0x7fff
                                        ; implicit-def: $vgpr9
; %bb.698:                              ;   in Loop: Header=BB392_370 Depth=1
	s_and_not1_saveexec_b32 s6, s1
; %bb.699:                              ;   in Loop: Header=BB392_370 Depth=1
	v_and_b32_e32 v10, 0xffff, v9
	v_or_b32_e32 v14, 0x10000, v9
	s_delay_alu instid0(VALU_DEP_2) | instskip(NEXT) | instid1(VALU_DEP_1)
	v_cmp_eq_u32_e64 s1, 0, v10
	v_cndmask_b32_e64 v50, v14, v9, s1
; %bb.700:                              ;   in Loop: Header=BB392_370 Depth=1
	s_or_b32 exec_lo, exec_lo, s6
	v_dual_mov_b32 v9, 0 :: v_dual_and_b32 v10, 0xff, v8
	v_mov_b32_e32 v14, v8
	s_mov_b32 s6, exec_lo
	s_delay_alu instid0(VALU_DEP_2)
	v_cmpx_ne_u16_e32 0, v10
	s_cbranch_execz .LBB392_706
; %bb.701:                              ;   in Loop: Header=BB392_370 Depth=1
	v_bfrev_b32_e32 v9, 1
	s_mov_b32 s7, exec_lo
	v_cmpx_ne_u16_e32 0x80, v10
	s_cbranch_execz .LBB392_705
; %bb.702:                              ;   in Loop: Header=BB392_370 Depth=1
	v_and_b32_e32 v10, 0x7f, v8
	v_mov_b32_e32 v9, 0x7f800001
	s_mov_b32 s9, exec_lo
	s_delay_alu instid0(VALU_DEP_2)
	v_cmpx_ne_u32_e32 0x7f, v10
	s_cbranch_execz .LBB392_704
; %bb.703:                              ;   in Loop: Header=BB392_370 Depth=1
	v_and_b32_e32 v9, 7, v8
	v_lshrrev_b32_e32 v51, 3, v10
	v_cmp_gt_u32_e64 s1, 8, v10
	s_delay_alu instid0(VALU_DEP_3) | instskip(NEXT) | instid1(VALU_DEP_1)
	v_clz_i32_u32_e32 v9, v9
	v_min_u32_e32 v9, 32, v9
	s_delay_alu instid0(VALU_DEP_1) | instskip(SKIP_1) | instid1(VALU_DEP_1)
	v_subrev_nc_u32_e32 v52, 28, v9
	v_sub_nc_u32_e32 v9, 29, v9
	v_cndmask_b32_e64 v51, v51, v9, s1
	s_delay_alu instid0(VALU_DEP_3) | instskip(NEXT) | instid1(VALU_DEP_2)
	v_cndmask_b32_e64 v9, 0, v52, s1
	v_lshl_add_u32 v51, v51, 23, 0x3c000000
	s_delay_alu instid0(VALU_DEP_2) | instskip(SKIP_1) | instid1(VALU_DEP_2)
	v_lshlrev_b64 v[9:10], v9, v[14:15]
	v_lshlrev_b32_e32 v10, 24, v14
	v_lshlrev_b32_e32 v9, 20, v9
	s_delay_alu instid0(VALU_DEP_2) | instskip(NEXT) | instid1(VALU_DEP_2)
	v_and_b32_e32 v10, 0x80000000, v10
	v_and_b32_e32 v9, 0x700000, v9
	s_delay_alu instid0(VALU_DEP_1)
	v_or3_b32 v9, v9, v10, v51
.LBB392_704:                            ;   in Loop: Header=BB392_370 Depth=1
	s_or_b32 exec_lo, exec_lo, s9
.LBB392_705:                            ;   in Loop: Header=BB392_370 Depth=1
	s_delay_alu instid0(SALU_CYCLE_1)
	s_or_b32 exec_lo, exec_lo, s7
.LBB392_706:                            ;   in Loop: Header=BB392_370 Depth=1
	s_delay_alu instid0(SALU_CYCLE_1) | instskip(NEXT) | instid1(VALU_DEP_1)
	s_or_b32 exec_lo, exec_lo, s6
	v_mul_f32_e32 v9, s15, v9
                                        ; implicit-def: $vgpr51
	s_delay_alu instid0(VALU_DEP_1) | instskip(NEXT) | instid1(VALU_DEP_1)
	v_and_b32_e32 v10, 0x7f800000, v9
	v_cmp_ne_u32_e64 s1, 0x7f800000, v10
	s_delay_alu instid0(VALU_DEP_1) | instskip(NEXT) | instid1(SALU_CYCLE_1)
	s_and_saveexec_b32 s6, s1
	s_xor_b32 s1, exec_lo, s6
; %bb.707:                              ;   in Loop: Header=BB392_370 Depth=1
	v_bfe_u32 v10, v9, 16, 1
	s_delay_alu instid0(VALU_DEP_1)
	v_add3_u32 v51, v9, v10, 0x7fff
                                        ; implicit-def: $vgpr9
; %bb.708:                              ;   in Loop: Header=BB392_370 Depth=1
	s_and_not1_saveexec_b32 s6, s1
; %bb.709:                              ;   in Loop: Header=BB392_370 Depth=1
	v_and_b32_e32 v10, 0xffff, v9
	v_or_b32_e32 v51, 0x10000, v9
	s_delay_alu instid0(VALU_DEP_2) | instskip(NEXT) | instid1(VALU_DEP_1)
	v_cmp_eq_u32_e64 s1, 0, v10
	v_cndmask_b32_e64 v51, v51, v9, s1
; %bb.710:                              ;   in Loop: Header=BB392_370 Depth=1
	s_or_b32 exec_lo, exec_lo, s6
	v_lshrrev_b16 v10, 8, v14
	v_mov_b32_e32 v9, 0
	s_mov_b32 s6, exec_lo
	s_delay_alu instid0(VALU_DEP_2)
	v_cmpx_ne_u16_e32 0, v10
	s_cbranch_execz .LBB392_718
; %bb.711:                              ;   in Loop: Header=BB392_370 Depth=1
	v_bfrev_b32_e32 v9, 1
	s_mov_b32 s7, exec_lo
	v_cmpx_ne_u16_e32 0x80, v10
	s_cbranch_execz .LBB392_717
; %bb.712:                              ;   in Loop: Header=BB392_370 Depth=1
	v_and_b32_e32 v10, 0xffff, v10
	v_mov_b32_e32 v9, 0x7f800001
	s_mov_b32 s9, exec_lo
	s_delay_alu instid0(VALU_DEP_2) | instskip(NEXT) | instid1(VALU_DEP_1)
	v_and_b32_e32 v53, 0x7f, v10
	v_cmpx_ne_u32_e32 0x7f, v53
	s_cbranch_execz .LBB392_716
; %bb.713:                              ;   in Loop: Header=BB392_370 Depth=1
	v_dual_mov_b32 v10, v15 :: v_dual_and_b32 v9, 7, v10
	v_lshrrev_b32_e32 v52, 3, v53
	s_mov_b32 s16, exec_lo
	v_cmpx_gt_u32_e32 8, v53
; %bb.714:                              ;   in Loop: Header=BB392_370 Depth=1
	s_delay_alu instid0(VALU_DEP_3) | instskip(NEXT) | instid1(VALU_DEP_1)
	v_clz_i32_u32_e32 v52, v9
	v_min_u32_e32 v52, 32, v52
	s_delay_alu instid0(VALU_DEP_1) | instskip(SKIP_1) | instid1(VALU_DEP_2)
	v_subrev_nc_u32_e32 v53, 28, v52
	v_sub_nc_u32_e32 v52, 29, v52
	v_lshlrev_b64 v[9:10], v53, v[9:10]
	s_delay_alu instid0(VALU_DEP_1)
	v_and_b32_e32 v9, 7, v9
; %bb.715:                              ;   in Loop: Header=BB392_370 Depth=1
	s_or_b32 exec_lo, exec_lo, s16
	v_lshlrev_b32_e32 v10, 16, v14
	s_delay_alu instid0(VALU_DEP_2) | instskip(SKIP_1) | instid1(VALU_DEP_3)
	v_lshlrev_b32_e32 v9, 20, v9
	v_lshl_add_u32 v14, v52, 23, 0x3c000000
	v_and_b32_e32 v10, 0x80000000, v10
	s_delay_alu instid0(VALU_DEP_1)
	v_or3_b32 v9, v9, v10, v14
.LBB392_716:                            ;   in Loop: Header=BB392_370 Depth=1
	s_or_b32 exec_lo, exec_lo, s9
.LBB392_717:                            ;   in Loop: Header=BB392_370 Depth=1
	s_delay_alu instid0(SALU_CYCLE_1)
	s_or_b32 exec_lo, exec_lo, s7
.LBB392_718:                            ;   in Loop: Header=BB392_370 Depth=1
	s_delay_alu instid0(SALU_CYCLE_1) | instskip(NEXT) | instid1(VALU_DEP_1)
	s_or_b32 exec_lo, exec_lo, s6
	v_mul_f32_e32 v10, s15, v9
	s_delay_alu instid0(VALU_DEP_1) | instskip(NEXT) | instid1(VALU_DEP_1)
	v_and_b32_e32 v9, 0x7f800000, v10
	v_cmp_ne_u32_e64 s1, 0x7f800000, v9
                                        ; implicit-def: $vgpr9
	s_delay_alu instid0(VALU_DEP_1) | instskip(NEXT) | instid1(SALU_CYCLE_1)
	s_and_saveexec_b32 s6, s1
	s_xor_b32 s1, exec_lo, s6
; %bb.719:                              ;   in Loop: Header=BB392_370 Depth=1
	v_bfe_u32 v9, v10, 16, 1
	s_delay_alu instid0(VALU_DEP_1)
	v_add3_u32 v9, v10, v9, 0x7fff
                                        ; implicit-def: $vgpr10
; %bb.720:                              ;   in Loop: Header=BB392_370 Depth=1
	s_and_not1_saveexec_b32 s6, s1
; %bb.721:                              ;   in Loop: Header=BB392_370 Depth=1
	v_and_b32_e32 v9, 0xffff, v10
	v_or_b32_e32 v14, 0x10000, v10
	s_delay_alu instid0(VALU_DEP_2) | instskip(NEXT) | instid1(VALU_DEP_1)
	v_cmp_eq_u32_e64 s1, 0, v9
	v_cndmask_b32_e64 v9, v14, v10, s1
; %bb.722:                              ;   in Loop: Header=BB392_370 Depth=1
	s_or_b32 exec_lo, exec_lo, s6
	v_lshrrev_b32_e32 v10, 16, v8
	v_mov_b32_e32 v14, 0
	s_mov_b32 s6, exec_lo
	s_delay_alu instid0(VALU_DEP_2) | instskip(NEXT) | instid1(VALU_DEP_1)
	v_and_b32_e32 v52, 0xff, v10
	v_cmpx_ne_u16_e32 0, v52
	s_cbranch_execz .LBB392_730
; %bb.723:                              ;   in Loop: Header=BB392_370 Depth=1
	v_bfrev_b32_e32 v14, 1
	s_mov_b32 s7, exec_lo
	v_cmpx_ne_u16_e32 0x80, v52
	s_cbranch_execz .LBB392_729
; %bb.724:                              ;   in Loop: Header=BB392_370 Depth=1
	v_bfe_u32 v53, v8, 16, 7
	v_mov_b32_e32 v14, 0x7f800001
	s_mov_b32 s9, exec_lo
	s_delay_alu instid0(VALU_DEP_2)
	v_cmpx_ne_u32_e32 0x7f, v53
	s_cbranch_execz .LBB392_728
; %bb.725:                              ;   in Loop: Header=BB392_370 Depth=1
	v_and_b32_e32 v14, 7, v10
	v_lshrrev_b32_e32 v52, 3, v53
	s_mov_b32 s16, exec_lo
	v_cmpx_gt_u32_e32 8, v53
; %bb.726:                              ;   in Loop: Header=BB392_370 Depth=1
	s_delay_alu instid0(VALU_DEP_3) | instskip(NEXT) | instid1(VALU_DEP_1)
	v_clz_i32_u32_e32 v52, v14
	v_min_u32_e32 v52, 32, v52
	s_delay_alu instid0(VALU_DEP_1) | instskip(SKIP_1) | instid1(VALU_DEP_2)
	v_subrev_nc_u32_e32 v53, 28, v52
	v_sub_nc_u32_e32 v52, 29, v52
	v_lshlrev_b64 v[53:54], v53, v[14:15]
	s_delay_alu instid0(VALU_DEP_1)
	v_and_b32_e32 v14, 7, v53
; %bb.727:                              ;   in Loop: Header=BB392_370 Depth=1
	s_or_b32 exec_lo, exec_lo, s16
	v_lshlrev_b32_e32 v10, 24, v10
	s_delay_alu instid0(VALU_DEP_2) | instskip(SKIP_1) | instid1(VALU_DEP_3)
	v_lshlrev_b32_e32 v14, 20, v14
	v_lshl_add_u32 v52, v52, 23, 0x3c000000
	v_and_b32_e32 v10, 0x80000000, v10
	s_delay_alu instid0(VALU_DEP_1)
	v_or3_b32 v14, v14, v10, v52
.LBB392_728:                            ;   in Loop: Header=BB392_370 Depth=1
	s_or_b32 exec_lo, exec_lo, s9
.LBB392_729:                            ;   in Loop: Header=BB392_370 Depth=1
	s_delay_alu instid0(SALU_CYCLE_1)
	s_or_b32 exec_lo, exec_lo, s7
.LBB392_730:                            ;   in Loop: Header=BB392_370 Depth=1
	s_delay_alu instid0(SALU_CYCLE_1) | instskip(NEXT) | instid1(VALU_DEP_1)
	s_or_b32 exec_lo, exec_lo, s6
	v_mul_f32_e32 v14, s15, v14
	s_delay_alu instid0(VALU_DEP_1) | instskip(NEXT) | instid1(VALU_DEP_1)
	v_and_b32_e32 v10, 0x7f800000, v14
	v_cmp_ne_u32_e64 s1, 0x7f800000, v10
                                        ; implicit-def: $vgpr10
	s_delay_alu instid0(VALU_DEP_1) | instskip(NEXT) | instid1(SALU_CYCLE_1)
	s_and_saveexec_b32 s6, s1
	s_xor_b32 s1, exec_lo, s6
; %bb.731:                              ;   in Loop: Header=BB392_370 Depth=1
	v_bfe_u32 v10, v14, 16, 1
	s_delay_alu instid0(VALU_DEP_1)
	v_add3_u32 v10, v14, v10, 0x7fff
                                        ; implicit-def: $vgpr14
; %bb.732:                              ;   in Loop: Header=BB392_370 Depth=1
	s_and_not1_saveexec_b32 s6, s1
; %bb.733:                              ;   in Loop: Header=BB392_370 Depth=1
	v_and_b32_e32 v10, 0xffff, v14
	v_or_b32_e32 v52, 0x10000, v14
	s_delay_alu instid0(VALU_DEP_2) | instskip(NEXT) | instid1(VALU_DEP_1)
	v_cmp_eq_u32_e64 s1, 0, v10
	v_cndmask_b32_e64 v10, v52, v14, s1
; %bb.734:                              ;   in Loop: Header=BB392_370 Depth=1
	s_or_b32 exec_lo, exec_lo, s6
	v_mov_b32_e32 v14, 0
	s_mov_b32 s6, exec_lo
	v_cmpx_lt_u64_e64 s[12:13], v[7:8]
	s_cbranch_execz .LBB392_742
; %bb.735:                              ;   in Loop: Header=BB392_370 Depth=1
	v_lshrrev_b32_e32 v7, 24, v8
	v_bfrev_b32_e32 v14, 1
	s_mov_b32 s7, exec_lo
	s_delay_alu instid0(VALU_DEP_2)
	v_cmpx_ne_u32_e32 0x80, v7
	s_cbranch_execz .LBB392_741
; %bb.736:                              ;   in Loop: Header=BB392_370 Depth=1
	v_bfe_u32 v52, v8, 24, 7
	v_mov_b32_e32 v14, 0x7f800001
	s_mov_b32 s9, exec_lo
	s_delay_alu instid0(VALU_DEP_2)
	v_cmpx_ne_u32_e32 0x7f, v52
	s_cbranch_execz .LBB392_740
; %bb.737:                              ;   in Loop: Header=BB392_370 Depth=1
	v_and_b32_e32 v14, 7, v7
	v_lshrrev_b32_e32 v8, 3, v52
	s_mov_b32 s16, exec_lo
	v_cmpx_gt_u32_e32 8, v52
; %bb.738:                              ;   in Loop: Header=BB392_370 Depth=1
	s_delay_alu instid0(VALU_DEP_3) | instskip(NEXT) | instid1(VALU_DEP_1)
	v_clz_i32_u32_e32 v8, v14
	v_min_u32_e32 v8, 32, v8
	s_delay_alu instid0(VALU_DEP_1) | instskip(SKIP_1) | instid1(VALU_DEP_2)
	v_subrev_nc_u32_e32 v52, 28, v8
	v_sub_nc_u32_e32 v8, 29, v8
	v_lshlrev_b64 v[52:53], v52, v[14:15]
	s_delay_alu instid0(VALU_DEP_1)
	v_and_b32_e32 v14, 7, v52
; %bb.739:                              ;   in Loop: Header=BB392_370 Depth=1
	s_or_b32 exec_lo, exec_lo, s16
	v_lshlrev_b32_e32 v7, 24, v7
	s_delay_alu instid0(VALU_DEP_2) | instskip(SKIP_1) | instid1(VALU_DEP_3)
	v_lshlrev_b32_e32 v14, 20, v14
	v_lshl_add_u32 v8, v8, 23, 0x3c000000
	v_and_b32_e32 v7, 0x80000000, v7
	s_delay_alu instid0(VALU_DEP_1)
	v_or3_b32 v14, v14, v7, v8
.LBB392_740:                            ;   in Loop: Header=BB392_370 Depth=1
	s_or_b32 exec_lo, exec_lo, s9
.LBB392_741:                            ;   in Loop: Header=BB392_370 Depth=1
	s_delay_alu instid0(SALU_CYCLE_1)
	s_or_b32 exec_lo, exec_lo, s7
.LBB392_742:                            ;   in Loop: Header=BB392_370 Depth=1
	s_delay_alu instid0(SALU_CYCLE_1) | instskip(NEXT) | instid1(VALU_DEP_1)
	s_or_b32 exec_lo, exec_lo, s6
	v_mul_f32_e32 v7, s15, v14
	s_delay_alu instid0(VALU_DEP_1) | instskip(NEXT) | instid1(VALU_DEP_1)
	v_and_b32_e32 v8, 0x7f800000, v7
	v_cmp_ne_u32_e64 s1, 0x7f800000, v8
                                        ; implicit-def: $vgpr8
	s_delay_alu instid0(VALU_DEP_1) | instskip(NEXT) | instid1(SALU_CYCLE_1)
	s_and_saveexec_b32 s6, s1
	s_xor_b32 s1, exec_lo, s6
; %bb.743:                              ;   in Loop: Header=BB392_370 Depth=1
	v_bfe_u32 v8, v7, 16, 1
	s_delay_alu instid0(VALU_DEP_1)
	v_add3_u32 v8, v7, v8, 0x7fff
                                        ; implicit-def: $vgpr7
; %bb.744:                              ;   in Loop: Header=BB392_370 Depth=1
	s_and_not1_saveexec_b32 s6, s1
; %bb.745:                              ;   in Loop: Header=BB392_370 Depth=1
	v_and_b32_e32 v8, 0xffff, v7
	v_or_b32_e32 v14, 0x10000, v7
	s_delay_alu instid0(VALU_DEP_2) | instskip(NEXT) | instid1(VALU_DEP_1)
	v_cmp_eq_u32_e64 s1, 0, v8
	v_cndmask_b32_e64 v8, v14, v7, s1
; %bb.746:                              ;   in Loop: Header=BB392_370 Depth=1
	s_or_b32 exec_lo, exec_lo, s6
	v_lshrrev_b32_e32 v14, 16, v9
	v_lshrrev_b32_e32 v51, 16, v51
	;; [unrolled: 1-line block ×8, first 2 shown]
	s_and_saveexec_b32 s6, s0
	s_cbranch_execz .LBB392_748
; %bb.747:                              ;   in Loop: Header=BB392_370 Depth=1
	v_add_nc_u32_e32 v47, -6, v22
	v_cmp_gt_i32_e64 s1, s33, v24
	v_add_nc_u32_e32 v48, -5, v22
	v_add_nc_u32_e32 v52, -2, v22
	s_delay_alu instid0(VALU_DEP_3) | instskip(SKIP_2) | instid1(VALU_DEP_2)
	v_cndmask_b32_e64 v7, 0, v7, s1
	v_cmp_gt_i32_e64 s1, s33, v47
	v_add_nc_u32_e32 v47, -4, v22
	v_cndmask_b32_e64 v9, 0, v9, s1
	v_cmp_gt_i32_e64 s1, s33, v48
	v_add_nc_u32_e32 v48, -3, v22
	s_delay_alu instid0(VALU_DEP_2) | instskip(SKIP_2) | instid1(VALU_DEP_2)
	v_cndmask_b32_e64 v49, 0, v49, s1
	v_cmp_gt_i32_e64 s1, s33, v47
	v_add_nc_u32_e32 v47, -1, v22
	v_cndmask_b32_e64 v50, 0, v50, s1
	v_cmp_gt_i32_e64 s1, s33, v48
	s_delay_alu instid0(VALU_DEP_1) | instskip(SKIP_1) | instid1(VALU_DEP_1)
	v_cndmask_b32_e64 v51, 0, v51, s1
	v_cmp_gt_i32_e64 s1, s33, v52
	v_cndmask_b32_e64 v14, 0, v14, s1
	v_cmp_gt_i32_e64 s1, s33, v47
	s_delay_alu instid0(VALU_DEP_1) | instskip(SKIP_1) | instid1(VALU_DEP_1)
	v_cndmask_b32_e64 v10, 0, v10, s1
	v_cmp_gt_i32_e64 s1, s33, v22
	v_cndmask_b32_e64 v8, 0, v8, s1
.LBB392_748:                            ;   in Loop: Header=BB392_370 Depth=1
	s_or_b32 exec_lo, exec_lo, s6
	v_lshlrev_b32_e32 v7, 16, v7
	s_delay_alu instid0(VALU_DEP_1) | instskip(NEXT) | instid1(VALU_DEP_1)
	v_mul_f32_e32 v47, v25, v7
	v_and_b32_e32 v7, 0x7f800000, v47
	s_delay_alu instid0(VALU_DEP_1) | instskip(NEXT) | instid1(VALU_DEP_1)
	v_cmp_ne_u32_e64 s1, 0x7f800000, v7
                                        ; implicit-def: $vgpr7
	s_and_saveexec_b32 s6, s1
	s_delay_alu instid0(SALU_CYCLE_1)
	s_xor_b32 s1, exec_lo, s6
; %bb.749:                              ;   in Loop: Header=BB392_370 Depth=1
	v_bfe_u32 v7, v47, 16, 1
	s_delay_alu instid0(VALU_DEP_1)
	v_add3_u32 v7, v47, v7, 0x7fff
                                        ; implicit-def: $vgpr47
; %bb.750:                              ;   in Loop: Header=BB392_370 Depth=1
	s_and_not1_saveexec_b32 s6, s1
; %bb.751:                              ;   in Loop: Header=BB392_370 Depth=1
	v_and_b32_e32 v7, 0xffff, v47
	v_or_b32_e32 v48, 0x10000, v47
	s_delay_alu instid0(VALU_DEP_2) | instskip(NEXT) | instid1(VALU_DEP_1)
	v_cmp_eq_u32_e64 s1, 0, v7
	v_cndmask_b32_e64 v7, v48, v47, s1
; %bb.752:                              ;   in Loop: Header=BB392_370 Depth=1
	s_or_b32 exec_lo, exec_lo, s6
	v_lshlrev_b32_e32 v9, 16, v9
	s_delay_alu instid0(VALU_DEP_1) | instskip(NEXT) | instid1(VALU_DEP_1)
	v_mul_f32_e32 v47, v26, v9
	v_and_b32_e32 v9, 0x7f800000, v47
	s_delay_alu instid0(VALU_DEP_1) | instskip(NEXT) | instid1(VALU_DEP_1)
	v_cmp_ne_u32_e64 s1, 0x7f800000, v9
                                        ; implicit-def: $vgpr9
	s_and_saveexec_b32 s6, s1
	s_delay_alu instid0(SALU_CYCLE_1)
	s_xor_b32 s1, exec_lo, s6
; %bb.753:                              ;   in Loop: Header=BB392_370 Depth=1
	v_bfe_u32 v9, v47, 16, 1
	s_delay_alu instid0(VALU_DEP_1)
	v_add3_u32 v9, v47, v9, 0x7fff
                                        ; implicit-def: $vgpr47
; %bb.754:                              ;   in Loop: Header=BB392_370 Depth=1
	s_and_not1_saveexec_b32 s6, s1
; %bb.755:                              ;   in Loop: Header=BB392_370 Depth=1
	v_and_b32_e32 v9, 0xffff, v47
	v_or_b32_e32 v48, 0x10000, v47
	s_delay_alu instid0(VALU_DEP_2) | instskip(NEXT) | instid1(VALU_DEP_1)
	v_cmp_eq_u32_e64 s1, 0, v9
	v_cndmask_b32_e64 v9, v48, v47, s1
; %bb.756:                              ;   in Loop: Header=BB392_370 Depth=1
	s_or_b32 exec_lo, exec_lo, s6
	v_lshlrev_b32_e32 v47, 16, v49
	s_delay_alu instid0(VALU_DEP_1) | instskip(NEXT) | instid1(VALU_DEP_1)
	v_mul_f32_e32 v48, v27, v47
	v_and_b32_e32 v47, 0x7f800000, v48
	s_delay_alu instid0(VALU_DEP_1) | instskip(NEXT) | instid1(VALU_DEP_1)
	v_cmp_ne_u32_e64 s1, 0x7f800000, v47
                                        ; implicit-def: $vgpr47
	s_and_saveexec_b32 s6, s1
	s_delay_alu instid0(SALU_CYCLE_1)
	s_xor_b32 s1, exec_lo, s6
; %bb.757:                              ;   in Loop: Header=BB392_370 Depth=1
	v_bfe_u32 v47, v48, 16, 1
	s_delay_alu instid0(VALU_DEP_1)
	v_add3_u32 v47, v48, v47, 0x7fff
                                        ; implicit-def: $vgpr48
; %bb.758:                              ;   in Loop: Header=BB392_370 Depth=1
	s_and_not1_saveexec_b32 s6, s1
; %bb.759:                              ;   in Loop: Header=BB392_370 Depth=1
	v_and_b32_e32 v47, 0xffff, v48
	v_or_b32_e32 v49, 0x10000, v48
	s_delay_alu instid0(VALU_DEP_2) | instskip(NEXT) | instid1(VALU_DEP_1)
	v_cmp_eq_u32_e64 s1, 0, v47
	v_cndmask_b32_e64 v47, v49, v48, s1
; %bb.760:                              ;   in Loop: Header=BB392_370 Depth=1
	s_or_b32 exec_lo, exec_lo, s6
	v_lshlrev_b32_e32 v48, 16, v50
	s_delay_alu instid0(VALU_DEP_1) | instskip(NEXT) | instid1(VALU_DEP_1)
	v_mul_f32_e32 v49, v28, v48
	v_and_b32_e32 v48, 0x7f800000, v49
	s_delay_alu instid0(VALU_DEP_1) | instskip(NEXT) | instid1(VALU_DEP_1)
	v_cmp_ne_u32_e64 s1, 0x7f800000, v48
                                        ; implicit-def: $vgpr48
	s_and_saveexec_b32 s6, s1
	s_delay_alu instid0(SALU_CYCLE_1)
	s_xor_b32 s1, exec_lo, s6
; %bb.761:                              ;   in Loop: Header=BB392_370 Depth=1
	v_bfe_u32 v48, v49, 16, 1
	s_delay_alu instid0(VALU_DEP_1)
	v_add3_u32 v48, v49, v48, 0x7fff
                                        ; implicit-def: $vgpr49
; %bb.762:                              ;   in Loop: Header=BB392_370 Depth=1
	s_and_not1_saveexec_b32 s6, s1
; %bb.763:                              ;   in Loop: Header=BB392_370 Depth=1
	v_and_b32_e32 v48, 0xffff, v49
	v_or_b32_e32 v50, 0x10000, v49
	s_delay_alu instid0(VALU_DEP_2) | instskip(NEXT) | instid1(VALU_DEP_1)
	v_cmp_eq_u32_e64 s1, 0, v48
	v_cndmask_b32_e64 v48, v50, v49, s1
; %bb.764:                              ;   in Loop: Header=BB392_370 Depth=1
	s_or_b32 exec_lo, exec_lo, s6
	v_lshlrev_b32_e32 v49, 16, v51
	s_delay_alu instid0(VALU_DEP_1) | instskip(NEXT) | instid1(VALU_DEP_1)
	v_mul_f32_e32 v50, v29, v49
	v_and_b32_e32 v49, 0x7f800000, v50
	s_delay_alu instid0(VALU_DEP_1) | instskip(NEXT) | instid1(VALU_DEP_1)
	v_cmp_ne_u32_e64 s1, 0x7f800000, v49
                                        ; implicit-def: $vgpr49
	s_and_saveexec_b32 s6, s1
	s_delay_alu instid0(SALU_CYCLE_1)
	s_xor_b32 s1, exec_lo, s6
; %bb.765:                              ;   in Loop: Header=BB392_370 Depth=1
	v_bfe_u32 v49, v50, 16, 1
	s_delay_alu instid0(VALU_DEP_1)
	v_add3_u32 v49, v50, v49, 0x7fff
                                        ; implicit-def: $vgpr50
; %bb.766:                              ;   in Loop: Header=BB392_370 Depth=1
	s_and_not1_saveexec_b32 s6, s1
; %bb.767:                              ;   in Loop: Header=BB392_370 Depth=1
	v_and_b32_e32 v49, 0xffff, v50
	v_or_b32_e32 v51, 0x10000, v50
	s_delay_alu instid0(VALU_DEP_2) | instskip(NEXT) | instid1(VALU_DEP_1)
	v_cmp_eq_u32_e64 s1, 0, v49
	v_cndmask_b32_e64 v49, v51, v50, s1
; %bb.768:                              ;   in Loop: Header=BB392_370 Depth=1
	s_or_b32 exec_lo, exec_lo, s6
	v_lshlrev_b32_e32 v14, 16, v14
	s_delay_alu instid0(VALU_DEP_1) | instskip(NEXT) | instid1(VALU_DEP_1)
	v_mul_f32_e32 v50, v30, v14
	v_and_b32_e32 v14, 0x7f800000, v50
	s_delay_alu instid0(VALU_DEP_1) | instskip(NEXT) | instid1(VALU_DEP_1)
	v_cmp_ne_u32_e64 s1, 0x7f800000, v14
                                        ; implicit-def: $vgpr14
	s_and_saveexec_b32 s6, s1
	s_delay_alu instid0(SALU_CYCLE_1)
	s_xor_b32 s1, exec_lo, s6
; %bb.769:                              ;   in Loop: Header=BB392_370 Depth=1
	v_bfe_u32 v14, v50, 16, 1
	s_delay_alu instid0(VALU_DEP_1)
	v_add3_u32 v14, v50, v14, 0x7fff
                                        ; implicit-def: $vgpr50
; %bb.770:                              ;   in Loop: Header=BB392_370 Depth=1
	s_and_not1_saveexec_b32 s6, s1
; %bb.771:                              ;   in Loop: Header=BB392_370 Depth=1
	v_and_b32_e32 v14, 0xffff, v50
	v_or_b32_e32 v51, 0x10000, v50
	s_delay_alu instid0(VALU_DEP_2) | instskip(NEXT) | instid1(VALU_DEP_1)
	v_cmp_eq_u32_e64 s1, 0, v14
	v_cndmask_b32_e64 v14, v51, v50, s1
; %bb.772:                              ;   in Loop: Header=BB392_370 Depth=1
	s_or_b32 exec_lo, exec_lo, s6
	v_lshlrev_b32_e32 v10, 16, v10
	s_delay_alu instid0(VALU_DEP_1) | instskip(NEXT) | instid1(VALU_DEP_1)
	v_mul_f32_e32 v50, v31, v10
	v_and_b32_e32 v10, 0x7f800000, v50
	s_delay_alu instid0(VALU_DEP_1) | instskip(NEXT) | instid1(VALU_DEP_1)
	v_cmp_ne_u32_e64 s1, 0x7f800000, v10
                                        ; implicit-def: $vgpr10
	s_and_saveexec_b32 s6, s1
	s_delay_alu instid0(SALU_CYCLE_1)
	s_xor_b32 s1, exec_lo, s6
; %bb.773:                              ;   in Loop: Header=BB392_370 Depth=1
	v_bfe_u32 v10, v50, 16, 1
	s_delay_alu instid0(VALU_DEP_1)
	v_add3_u32 v10, v50, v10, 0x7fff
                                        ; implicit-def: $vgpr50
; %bb.774:                              ;   in Loop: Header=BB392_370 Depth=1
	s_and_not1_saveexec_b32 s6, s1
; %bb.775:                              ;   in Loop: Header=BB392_370 Depth=1
	v_and_b32_e32 v10, 0xffff, v50
	v_or_b32_e32 v51, 0x10000, v50
	s_delay_alu instid0(VALU_DEP_2) | instskip(NEXT) | instid1(VALU_DEP_1)
	v_cmp_eq_u32_e64 s1, 0, v10
	v_cndmask_b32_e64 v10, v51, v50, s1
; %bb.776:                              ;   in Loop: Header=BB392_370 Depth=1
	s_or_b32 exec_lo, exec_lo, s6
	v_lshlrev_b32_e32 v8, 16, v8
	s_delay_alu instid0(VALU_DEP_1) | instskip(NEXT) | instid1(VALU_DEP_1)
	v_mul_f32_e32 v50, v32, v8
	v_and_b32_e32 v8, 0x7f800000, v50
	s_delay_alu instid0(VALU_DEP_1) | instskip(NEXT) | instid1(VALU_DEP_1)
	v_cmp_ne_u32_e64 s1, 0x7f800000, v8
                                        ; implicit-def: $vgpr8
	s_and_saveexec_b32 s6, s1
	s_delay_alu instid0(SALU_CYCLE_1)
	s_xor_b32 s1, exec_lo, s6
; %bb.777:                              ;   in Loop: Header=BB392_370 Depth=1
	v_bfe_u32 v8, v50, 16, 1
	s_delay_alu instid0(VALU_DEP_1)
	v_add3_u32 v8, v50, v8, 0x7fff
                                        ; implicit-def: $vgpr50
; %bb.778:                              ;   in Loop: Header=BB392_370 Depth=1
	s_and_not1_saveexec_b32 s6, s1
; %bb.779:                              ;   in Loop: Header=BB392_370 Depth=1
	v_and_b32_e32 v8, 0xffff, v50
	v_or_b32_e32 v51, 0x10000, v50
	s_delay_alu instid0(VALU_DEP_2) | instskip(NEXT) | instid1(VALU_DEP_1)
	v_cmp_eq_u32_e64 s1, 0, v8
	v_cndmask_b32_e64 v8, v51, v50, s1
; %bb.780:                              ;   in Loop: Header=BB392_370 Depth=1
	s_or_b32 exec_lo, exec_lo, s6
	v_and_b32_e32 v12, 0xffff0000, v12
	v_and_b32_e32 v10, 0xffff0000, v10
	s_delay_alu instid0(VALU_DEP_3) | instskip(SKIP_3) | instid1(VALU_DEP_4)
	v_and_b32_e32 v8, 0xffff0000, v8
	v_and_b32_e32 v11, 0xffff0000, v11
	;; [unrolled: 1-line block ×4, first 2 shown]
	v_dual_add_f32 v8, v10, v8 :: v_dual_and_b32 v9, 0xffff0000, v9
	s_delay_alu instid0(VALU_DEP_4)
	v_dual_add_f32 v11, v11, v12 :: v_dual_and_b32 v38, 0xffff0000, v38
	v_and_b32_e32 v35, 0xffff0000, v35
	v_and_b32_e32 v33, 0xffff0000, v33
	;; [unrolled: 1-line block ×5, first 2 shown]
	s_delay_alu instid0(VALU_DEP_3) | instskip(SKIP_1) | instid1(VALU_DEP_4)
	v_dual_add_f32 v33, v33, v34 :: v_dual_add_f32 v34, v35, v36
	v_add_f32_e32 v36, v37, v38
	v_dual_add_f32 v7, v7, v9 :: v_dual_and_b32 v38, 0xffff0000, v43
	v_and_b32_e32 v43, 0xffff0000, v47
	s_delay_alu instid0(VALU_DEP_4) | instskip(SKIP_2) | instid1(VALU_DEP_3)
	v_dual_add_f32 v33, v33, v34 :: v_dual_and_b32 v34, 0xffff0000, v40
	v_and_b32_e32 v37, 0xffff0000, v44
	v_and_b32_e32 v35, 0xffff0000, v39
	v_dual_add_f32 v33, v33, v36 :: v_dual_and_b32 v40, 0xffff0000, v45
	v_and_b32_e32 v36, 0xffff0000, v41
	v_and_b32_e32 v41, 0xffff0000, v46
	;; [unrolled: 1-line block ×4, first 2 shown]
	s_delay_alu instid0(VALU_DEP_1) | instskip(SKIP_1) | instid1(VALU_DEP_2)
	v_dual_add_f32 v9, v43, v42 :: v_dual_add_f32 v12, v36, v39
	v_and_b32_e32 v36, 0xffff0000, v49
	v_add_f32_e32 v7, v7, v9
	s_delay_alu instid0(VALU_DEP_3) | instskip(NEXT) | instid1(VALU_DEP_1)
	v_dual_add_f32 v11, v11, v12 :: v_dual_add_f32 v12, v38, v37
	v_add_f32_e32 v11, v11, v12
	s_delay_alu instid0(VALU_DEP_4) | instskip(SKIP_2) | instid1(VALU_DEP_3)
	v_add_f32_e32 v9, v36, v14
	v_add_f32_e32 v14, v35, v34
	;; [unrolled: 1-line block ×4, first 2 shown]
	s_delay_alu instid0(VALU_DEP_2) | instskip(NEXT) | instid1(VALU_DEP_2)
	v_dual_add_f32 v9, v33, v14 :: v_dual_add_f32 v10, v11, v12
	v_add_f32_e32 v7, v7, v8
	s_delay_alu instid0(VALU_DEP_2) | instskip(NEXT) | instid1(VALU_DEP_2)
	v_dual_add_f32 v1, v1, v9 :: v_dual_add_f32 v2, v2, v10
	v_add_f32_e32 v3, v3, v7
	s_and_saveexec_b32 s6, vcc_lo
	s_cbranch_execz .LBB392_369
; %bb.781:                              ;   in Loop: Header=BB392_370 Depth=1
	v_add_co_u32 v5, s1, v5, v21
	s_delay_alu instid0(VALU_DEP_1)
	v_add_co_ci_u32_e64 v6, s1, 0, v6, s1
	s_mov_b32 s7, exec_lo
	v_mov_b32_e32 v7, 0
	global_load_b64 v[5:6], v[5:6], off
	s_waitcnt vmcnt(0)
	v_and_b32_e32 v8, 0xff, v5
	s_delay_alu instid0(VALU_DEP_1)
	v_cmpx_ne_u16_e32 0, v8
	s_cbranch_execz .LBB392_787
; %bb.782:                              ;   in Loop: Header=BB392_370 Depth=1
	v_bfrev_b32_e32 v7, 1
	s_mov_b32 s9, exec_lo
	v_cmpx_ne_u16_e32 0x80, v8
	s_cbranch_execz .LBB392_786
; %bb.783:                              ;   in Loop: Header=BB392_370 Depth=1
	v_and_b32_e32 v8, 0x7f, v5
	v_mov_b32_e32 v7, 0x7f800001
	s_mov_b32 s16, exec_lo
	s_delay_alu instid0(VALU_DEP_2)
	v_cmpx_ne_u32_e32 0x7f, v8
	s_cbranch_execz .LBB392_785
; %bb.784:                              ;   in Loop: Header=BB392_370 Depth=1
	v_and_b32_e32 v7, 7, v5
	v_lshrrev_b32_e32 v9, 3, v8
	v_cmp_gt_u32_e64 s1, 8, v8
	s_delay_alu instid0(VALU_DEP_3) | instskip(NEXT) | instid1(VALU_DEP_1)
	v_clz_i32_u32_e32 v7, v7
	v_min_u32_e32 v7, 32, v7
	s_delay_alu instid0(VALU_DEP_1) | instskip(SKIP_1) | instid1(VALU_DEP_1)
	v_subrev_nc_u32_e32 v10, 28, v7
	v_sub_nc_u32_e32 v7, 29, v7
	v_cndmask_b32_e64 v9, v9, v7, s1
	s_delay_alu instid0(VALU_DEP_3) | instskip(NEXT) | instid1(VALU_DEP_2)
	v_cndmask_b32_e64 v7, 0, v10, s1
	v_lshl_add_u32 v9, v9, 23, 0x3c000000
	s_delay_alu instid0(VALU_DEP_2) | instskip(SKIP_1) | instid1(VALU_DEP_2)
	v_lshlrev_b64 v[7:8], v7, v[5:6]
	v_lshlrev_b32_e32 v8, 24, v5
	v_lshlrev_b32_e32 v7, 20, v7
	s_delay_alu instid0(VALU_DEP_2) | instskip(NEXT) | instid1(VALU_DEP_2)
	v_and_b32_e32 v8, 0x80000000, v8
	v_and_b32_e32 v7, 0x700000, v7
	s_delay_alu instid0(VALU_DEP_1)
	v_or3_b32 v7, v7, v8, v9
.LBB392_785:                            ;   in Loop: Header=BB392_370 Depth=1
	s_or_b32 exec_lo, exec_lo, s16
.LBB392_786:                            ;   in Loop: Header=BB392_370 Depth=1
	s_delay_alu instid0(SALU_CYCLE_1)
	s_or_b32 exec_lo, exec_lo, s9
.LBB392_787:                            ;   in Loop: Header=BB392_370 Depth=1
	s_delay_alu instid0(SALU_CYCLE_1) | instskip(NEXT) | instid1(VALU_DEP_1)
	s_or_b32 exec_lo, exec_lo, s7
	v_mul_f32_e32 v7, s15, v7
                                        ; implicit-def: $vgpr9
	s_delay_alu instid0(VALU_DEP_1) | instskip(NEXT) | instid1(VALU_DEP_1)
	v_and_b32_e32 v8, 0x7f800000, v7
	v_cmp_ne_u32_e64 s1, 0x7f800000, v8
	s_delay_alu instid0(VALU_DEP_1) | instskip(NEXT) | instid1(SALU_CYCLE_1)
	s_and_saveexec_b32 s7, s1
	s_xor_b32 s1, exec_lo, s7
; %bb.788:                              ;   in Loop: Header=BB392_370 Depth=1
	v_bfe_u32 v8, v7, 16, 1
	s_delay_alu instid0(VALU_DEP_1)
	v_add3_u32 v9, v7, v8, 0x7fff
                                        ; implicit-def: $vgpr7
; %bb.789:                              ;   in Loop: Header=BB392_370 Depth=1
	s_and_not1_saveexec_b32 s7, s1
; %bb.790:                              ;   in Loop: Header=BB392_370 Depth=1
	v_and_b32_e32 v8, 0xffff, v7
	v_or_b32_e32 v9, 0x10000, v7
	s_delay_alu instid0(VALU_DEP_2) | instskip(NEXT) | instid1(VALU_DEP_1)
	v_cmp_eq_u32_e64 s1, 0, v8
	v_cndmask_b32_e64 v9, v9, v7, s1
; %bb.791:                              ;   in Loop: Header=BB392_370 Depth=1
	s_or_b32 exec_lo, exec_lo, s7
	v_lshrrev_b16 v8, 8, v5
	v_mov_b32_e32 v7, 0
	s_mov_b32 s7, exec_lo
	s_delay_alu instid0(VALU_DEP_2)
	v_cmpx_ne_u16_e32 0, v8
	s_cbranch_execz .LBB392_799
; %bb.792:                              ;   in Loop: Header=BB392_370 Depth=1
	v_bfrev_b32_e32 v7, 1
	s_mov_b32 s9, exec_lo
	v_cmpx_ne_u16_e32 0x80, v8
	s_cbranch_execz .LBB392_798
; %bb.793:                              ;   in Loop: Header=BB392_370 Depth=1
	v_and_b32_e32 v10, 0xffff, v8
	v_mov_b32_e32 v7, 0x7f800001
	s_mov_b32 s16, exec_lo
	s_delay_alu instid0(VALU_DEP_2) | instskip(NEXT) | instid1(VALU_DEP_1)
	v_and_b32_e32 v8, 0x7f, v10
	v_cmpx_ne_u32_e32 0x7f, v8
	s_cbranch_execz .LBB392_797
; %bb.794:                              ;   in Loop: Header=BB392_370 Depth=1
	v_and_b32_e32 v14, 7, v10
	v_lshrrev_b32_e32 v7, 3, v8
	s_mov_b32 s17, exec_lo
	v_cmpx_gt_u32_e32 8, v8
; %bb.795:                              ;   in Loop: Header=BB392_370 Depth=1
	s_delay_alu instid0(VALU_DEP_3) | instskip(NEXT) | instid1(VALU_DEP_1)
	v_clz_i32_u32_e32 v7, v14
	v_min_u32_e32 v7, 32, v7
	s_delay_alu instid0(VALU_DEP_1) | instskip(SKIP_1) | instid1(VALU_DEP_2)
	v_subrev_nc_u32_e32 v8, 28, v7
	v_sub_nc_u32_e32 v7, 29, v7
	v_lshlrev_b64 v[10:11], v8, v[14:15]
	s_delay_alu instid0(VALU_DEP_1)
	v_and_b32_e32 v14, 7, v10
; %bb.796:                              ;   in Loop: Header=BB392_370 Depth=1
	s_or_b32 exec_lo, exec_lo, s17
	v_lshlrev_b32_e32 v8, 16, v5
	s_delay_alu instid0(VALU_DEP_2) | instskip(SKIP_1) | instid1(VALU_DEP_3)
	v_lshlrev_b32_e32 v10, 20, v14
	v_lshl_add_u32 v7, v7, 23, 0x3c000000
	v_and_b32_e32 v8, 0x80000000, v8
	s_delay_alu instid0(VALU_DEP_1)
	v_or3_b32 v7, v10, v8, v7
.LBB392_797:                            ;   in Loop: Header=BB392_370 Depth=1
	s_or_b32 exec_lo, exec_lo, s16
.LBB392_798:                            ;   in Loop: Header=BB392_370 Depth=1
	s_delay_alu instid0(SALU_CYCLE_1)
	s_or_b32 exec_lo, exec_lo, s9
.LBB392_799:                            ;   in Loop: Header=BB392_370 Depth=1
	s_delay_alu instid0(SALU_CYCLE_1) | instskip(NEXT) | instid1(VALU_DEP_1)
	s_or_b32 exec_lo, exec_lo, s7
	v_mul_f32_e32 v7, s15, v7
                                        ; implicit-def: $vgpr10
	s_delay_alu instid0(VALU_DEP_1) | instskip(NEXT) | instid1(VALU_DEP_1)
	v_and_b32_e32 v8, 0x7f800000, v7
	v_cmp_ne_u32_e64 s1, 0x7f800000, v8
	s_delay_alu instid0(VALU_DEP_1) | instskip(NEXT) | instid1(SALU_CYCLE_1)
	s_and_saveexec_b32 s7, s1
	s_xor_b32 s1, exec_lo, s7
; %bb.800:                              ;   in Loop: Header=BB392_370 Depth=1
	v_bfe_u32 v8, v7, 16, 1
	s_delay_alu instid0(VALU_DEP_1)
	v_add3_u32 v10, v7, v8, 0x7fff
                                        ; implicit-def: $vgpr7
; %bb.801:                              ;   in Loop: Header=BB392_370 Depth=1
	s_and_not1_saveexec_b32 s7, s1
; %bb.802:                              ;   in Loop: Header=BB392_370 Depth=1
	v_and_b32_e32 v8, 0xffff, v7
	v_or_b32_e32 v10, 0x10000, v7
	s_delay_alu instid0(VALU_DEP_2) | instskip(NEXT) | instid1(VALU_DEP_1)
	v_cmp_eq_u32_e64 s1, 0, v8
	v_cndmask_b32_e64 v10, v10, v7, s1
; %bb.803:                              ;   in Loop: Header=BB392_370 Depth=1
	s_or_b32 exec_lo, exec_lo, s7
	v_lshrrev_b32_e32 v7, 16, v5
	s_mov_b32 s7, exec_lo
	s_delay_alu instid0(VALU_DEP_1) | instskip(NEXT) | instid1(VALU_DEP_1)
	v_dual_mov_b32 v8, 0 :: v_dual_and_b32 v11, 0xff, v7
	v_cmpx_ne_u16_e32 0, v11
	s_cbranch_execz .LBB392_811
; %bb.804:                              ;   in Loop: Header=BB392_370 Depth=1
	v_bfrev_b32_e32 v8, 1
	s_mov_b32 s9, exec_lo
	v_cmpx_ne_u16_e32 0x80, v11
	s_cbranch_execz .LBB392_810
; %bb.805:                              ;   in Loop: Header=BB392_370 Depth=1
	v_bfe_u32 v11, v5, 16, 7
	v_mov_b32_e32 v8, 0x7f800001
	s_mov_b32 s16, exec_lo
	s_delay_alu instid0(VALU_DEP_2)
	v_cmpx_ne_u32_e32 0x7f, v11
	s_cbranch_execz .LBB392_809
; %bb.806:                              ;   in Loop: Header=BB392_370 Depth=1
	v_and_b32_e32 v14, 7, v7
	v_lshrrev_b32_e32 v8, 3, v11
	s_mov_b32 s17, exec_lo
	v_cmpx_gt_u32_e32 8, v11
; %bb.807:                              ;   in Loop: Header=BB392_370 Depth=1
	s_delay_alu instid0(VALU_DEP_3) | instskip(NEXT) | instid1(VALU_DEP_1)
	v_clz_i32_u32_e32 v8, v14
	v_min_u32_e32 v8, 32, v8
	s_delay_alu instid0(VALU_DEP_1) | instskip(SKIP_1) | instid1(VALU_DEP_2)
	v_subrev_nc_u32_e32 v11, 28, v8
	v_sub_nc_u32_e32 v8, 29, v8
	v_lshlrev_b64 v[11:12], v11, v[14:15]
	s_delay_alu instid0(VALU_DEP_1)
	v_and_b32_e32 v14, 7, v11
; %bb.808:                              ;   in Loop: Header=BB392_370 Depth=1
	s_or_b32 exec_lo, exec_lo, s17
	v_lshlrev_b32_e32 v7, 24, v7
	s_delay_alu instid0(VALU_DEP_2) | instskip(SKIP_1) | instid1(VALU_DEP_3)
	v_lshlrev_b32_e32 v11, 20, v14
	v_lshl_add_u32 v8, v8, 23, 0x3c000000
	v_and_b32_e32 v7, 0x80000000, v7
	s_delay_alu instid0(VALU_DEP_1)
	v_or3_b32 v8, v11, v7, v8
.LBB392_809:                            ;   in Loop: Header=BB392_370 Depth=1
	s_or_b32 exec_lo, exec_lo, s16
.LBB392_810:                            ;   in Loop: Header=BB392_370 Depth=1
	s_delay_alu instid0(SALU_CYCLE_1)
	s_or_b32 exec_lo, exec_lo, s9
.LBB392_811:                            ;   in Loop: Header=BB392_370 Depth=1
	s_delay_alu instid0(SALU_CYCLE_1) | instskip(NEXT) | instid1(VALU_DEP_1)
	s_or_b32 exec_lo, exec_lo, s7
	v_mul_f32_e32 v7, s15, v8
                                        ; implicit-def: $vgpr11
	s_delay_alu instid0(VALU_DEP_1) | instskip(NEXT) | instid1(VALU_DEP_1)
	v_and_b32_e32 v8, 0x7f800000, v7
	v_cmp_ne_u32_e64 s1, 0x7f800000, v8
	s_delay_alu instid0(VALU_DEP_1) | instskip(NEXT) | instid1(SALU_CYCLE_1)
	s_and_saveexec_b32 s7, s1
	s_xor_b32 s1, exec_lo, s7
; %bb.812:                              ;   in Loop: Header=BB392_370 Depth=1
	v_bfe_u32 v8, v7, 16, 1
	s_delay_alu instid0(VALU_DEP_1)
	v_add3_u32 v11, v7, v8, 0x7fff
                                        ; implicit-def: $vgpr7
; %bb.813:                              ;   in Loop: Header=BB392_370 Depth=1
	s_and_not1_saveexec_b32 s7, s1
; %bb.814:                              ;   in Loop: Header=BB392_370 Depth=1
	v_and_b32_e32 v8, 0xffff, v7
	v_or_b32_e32 v11, 0x10000, v7
	s_delay_alu instid0(VALU_DEP_2) | instskip(NEXT) | instid1(VALU_DEP_1)
	v_cmp_eq_u32_e64 s1, 0, v8
	v_cndmask_b32_e64 v11, v11, v7, s1
; %bb.815:                              ;   in Loop: Header=BB392_370 Depth=1
	s_or_b32 exec_lo, exec_lo, s7
	v_mov_b32_e32 v8, 0
	s_mov_b32 s7, exec_lo
	v_cmpx_lt_u32_e32 0xffffff, v5
	s_cbranch_execz .LBB392_823
; %bb.816:                              ;   in Loop: Header=BB392_370 Depth=1
	v_lshrrev_b32_e32 v7, 24, v5
	v_bfrev_b32_e32 v8, 1
	s_mov_b32 s9, exec_lo
	s_delay_alu instid0(VALU_DEP_2)
	v_cmpx_ne_u32_e32 0x80, v7
	s_cbranch_execz .LBB392_822
; %bb.817:                              ;   in Loop: Header=BB392_370 Depth=1
	v_bfe_u32 v12, v5, 24, 7
	v_mov_b32_e32 v8, 0x7f800001
	s_mov_b32 s16, exec_lo
	s_delay_alu instid0(VALU_DEP_2)
	v_cmpx_ne_u32_e32 0x7f, v12
	s_cbranch_execz .LBB392_821
; %bb.818:                              ;   in Loop: Header=BB392_370 Depth=1
	v_and_b32_e32 v14, 7, v7
	v_lshrrev_b32_e32 v8, 3, v12
	s_mov_b32 s17, exec_lo
	v_cmpx_gt_u32_e32 8, v12
; %bb.819:                              ;   in Loop: Header=BB392_370 Depth=1
	s_delay_alu instid0(VALU_DEP_3) | instskip(NEXT) | instid1(VALU_DEP_1)
	v_clz_i32_u32_e32 v8, v14
	v_min_u32_e32 v8, 32, v8
	s_delay_alu instid0(VALU_DEP_1) | instskip(SKIP_1) | instid1(VALU_DEP_2)
	v_subrev_nc_u32_e32 v12, 28, v8
	v_sub_nc_u32_e32 v8, 29, v8
	v_lshlrev_b64 v[33:34], v12, v[14:15]
	s_delay_alu instid0(VALU_DEP_1)
	v_and_b32_e32 v14, 7, v33
; %bb.820:                              ;   in Loop: Header=BB392_370 Depth=1
	s_or_b32 exec_lo, exec_lo, s17
	v_lshlrev_b32_e32 v7, 24, v7
	s_delay_alu instid0(VALU_DEP_2) | instskip(SKIP_1) | instid1(VALU_DEP_3)
	v_lshlrev_b32_e32 v12, 20, v14
	v_lshl_add_u32 v8, v8, 23, 0x3c000000
	v_and_b32_e32 v7, 0x80000000, v7
	s_delay_alu instid0(VALU_DEP_1)
	v_or3_b32 v8, v12, v7, v8
.LBB392_821:                            ;   in Loop: Header=BB392_370 Depth=1
	s_or_b32 exec_lo, exec_lo, s16
.LBB392_822:                            ;   in Loop: Header=BB392_370 Depth=1
	s_delay_alu instid0(SALU_CYCLE_1)
	s_or_b32 exec_lo, exec_lo, s9
.LBB392_823:                            ;   in Loop: Header=BB392_370 Depth=1
	s_delay_alu instid0(SALU_CYCLE_1) | instskip(NEXT) | instid1(VALU_DEP_1)
	s_or_b32 exec_lo, exec_lo, s7
	v_mul_f32_e32 v7, s15, v8
                                        ; implicit-def: $vgpr12
	s_delay_alu instid0(VALU_DEP_1) | instskip(NEXT) | instid1(VALU_DEP_1)
	v_and_b32_e32 v8, 0x7f800000, v7
	v_cmp_ne_u32_e64 s1, 0x7f800000, v8
	s_delay_alu instid0(VALU_DEP_1) | instskip(NEXT) | instid1(SALU_CYCLE_1)
	s_and_saveexec_b32 s7, s1
	s_xor_b32 s1, exec_lo, s7
; %bb.824:                              ;   in Loop: Header=BB392_370 Depth=1
	v_bfe_u32 v8, v7, 16, 1
	s_delay_alu instid0(VALU_DEP_1)
	v_add3_u32 v12, v7, v8, 0x7fff
                                        ; implicit-def: $vgpr7
; %bb.825:                              ;   in Loop: Header=BB392_370 Depth=1
	s_and_not1_saveexec_b32 s7, s1
; %bb.826:                              ;   in Loop: Header=BB392_370 Depth=1
	v_and_b32_e32 v8, 0xffff, v7
	v_or_b32_e32 v12, 0x10000, v7
	s_delay_alu instid0(VALU_DEP_2) | instskip(NEXT) | instid1(VALU_DEP_1)
	v_cmp_eq_u32_e64 s1, 0, v8
	v_cndmask_b32_e64 v12, v12, v7, s1
; %bb.827:                              ;   in Loop: Header=BB392_370 Depth=1
	s_or_b32 exec_lo, exec_lo, s7
	v_dual_mov_b32 v7, 0 :: v_dual_and_b32 v8, 0xff, v6
	v_mov_b32_e32 v14, v6
	s_mov_b32 s7, exec_lo
	s_delay_alu instid0(VALU_DEP_2)
	v_cmpx_ne_u16_e32 0, v8
	s_cbranch_execz .LBB392_833
; %bb.828:                              ;   in Loop: Header=BB392_370 Depth=1
	v_bfrev_b32_e32 v7, 1
	s_mov_b32 s9, exec_lo
	v_cmpx_ne_u16_e32 0x80, v8
	s_cbranch_execz .LBB392_832
; %bb.829:                              ;   in Loop: Header=BB392_370 Depth=1
	v_and_b32_e32 v8, 0x7f, v6
	v_mov_b32_e32 v7, 0x7f800001
	s_mov_b32 s16, exec_lo
	s_delay_alu instid0(VALU_DEP_2)
	v_cmpx_ne_u32_e32 0x7f, v8
	s_cbranch_execz .LBB392_831
; %bb.830:                              ;   in Loop: Header=BB392_370 Depth=1
	v_and_b32_e32 v7, 7, v6
	v_lshrrev_b32_e32 v33, 3, v8
	v_cmp_gt_u32_e64 s1, 8, v8
	s_delay_alu instid0(VALU_DEP_3) | instskip(NEXT) | instid1(VALU_DEP_1)
	v_clz_i32_u32_e32 v7, v7
	v_min_u32_e32 v7, 32, v7
	s_delay_alu instid0(VALU_DEP_1) | instskip(SKIP_1) | instid1(VALU_DEP_1)
	v_subrev_nc_u32_e32 v34, 28, v7
	v_sub_nc_u32_e32 v7, 29, v7
	v_cndmask_b32_e64 v33, v33, v7, s1
	s_delay_alu instid0(VALU_DEP_3) | instskip(NEXT) | instid1(VALU_DEP_2)
	v_cndmask_b32_e64 v7, 0, v34, s1
	v_lshl_add_u32 v33, v33, 23, 0x3c000000
	s_delay_alu instid0(VALU_DEP_2) | instskip(SKIP_1) | instid1(VALU_DEP_2)
	v_lshlrev_b64 v[7:8], v7, v[14:15]
	v_lshlrev_b32_e32 v8, 24, v14
	v_lshlrev_b32_e32 v7, 20, v7
	s_delay_alu instid0(VALU_DEP_2) | instskip(NEXT) | instid1(VALU_DEP_2)
	v_and_b32_e32 v8, 0x80000000, v8
	v_and_b32_e32 v7, 0x700000, v7
	s_delay_alu instid0(VALU_DEP_1)
	v_or3_b32 v7, v7, v8, v33
.LBB392_831:                            ;   in Loop: Header=BB392_370 Depth=1
	s_or_b32 exec_lo, exec_lo, s16
.LBB392_832:                            ;   in Loop: Header=BB392_370 Depth=1
	s_delay_alu instid0(SALU_CYCLE_1)
	s_or_b32 exec_lo, exec_lo, s9
.LBB392_833:                            ;   in Loop: Header=BB392_370 Depth=1
	s_delay_alu instid0(SALU_CYCLE_1) | instskip(NEXT) | instid1(VALU_DEP_1)
	s_or_b32 exec_lo, exec_lo, s7
	v_mul_f32_e32 v7, s15, v7
                                        ; implicit-def: $vgpr33
	s_delay_alu instid0(VALU_DEP_1) | instskip(NEXT) | instid1(VALU_DEP_1)
	v_and_b32_e32 v8, 0x7f800000, v7
	v_cmp_ne_u32_e64 s1, 0x7f800000, v8
	s_delay_alu instid0(VALU_DEP_1) | instskip(NEXT) | instid1(SALU_CYCLE_1)
	s_and_saveexec_b32 s7, s1
	s_xor_b32 s1, exec_lo, s7
; %bb.834:                              ;   in Loop: Header=BB392_370 Depth=1
	v_bfe_u32 v8, v7, 16, 1
	s_delay_alu instid0(VALU_DEP_1)
	v_add3_u32 v33, v7, v8, 0x7fff
                                        ; implicit-def: $vgpr7
; %bb.835:                              ;   in Loop: Header=BB392_370 Depth=1
	s_and_not1_saveexec_b32 s7, s1
; %bb.836:                              ;   in Loop: Header=BB392_370 Depth=1
	v_and_b32_e32 v8, 0xffff, v7
	v_or_b32_e32 v33, 0x10000, v7
	s_delay_alu instid0(VALU_DEP_2) | instskip(NEXT) | instid1(VALU_DEP_1)
	v_cmp_eq_u32_e64 s1, 0, v8
	v_cndmask_b32_e64 v33, v33, v7, s1
; %bb.837:                              ;   in Loop: Header=BB392_370 Depth=1
	s_or_b32 exec_lo, exec_lo, s7
	v_lshrrev_b16 v8, 8, v14
	v_mov_b32_e32 v7, 0
	s_mov_b32 s7, exec_lo
	s_delay_alu instid0(VALU_DEP_2)
	v_cmpx_ne_u16_e32 0, v8
	s_cbranch_execz .LBB392_845
; %bb.838:                              ;   in Loop: Header=BB392_370 Depth=1
	v_bfrev_b32_e32 v7, 1
	s_mov_b32 s9, exec_lo
	v_cmpx_ne_u16_e32 0x80, v8
	s_cbranch_execz .LBB392_844
; %bb.839:                              ;   in Loop: Header=BB392_370 Depth=1
	v_and_b32_e32 v8, 0xffff, v8
	v_mov_b32_e32 v7, 0x7f800001
	s_mov_b32 s16, exec_lo
	s_delay_alu instid0(VALU_DEP_2) | instskip(NEXT) | instid1(VALU_DEP_1)
	v_and_b32_e32 v35, 0x7f, v8
	v_cmpx_ne_u32_e32 0x7f, v35
	s_cbranch_execz .LBB392_843
; %bb.840:                              ;   in Loop: Header=BB392_370 Depth=1
	v_dual_mov_b32 v8, v15 :: v_dual_and_b32 v7, 7, v8
	v_lshrrev_b32_e32 v34, 3, v35
	s_mov_b32 s17, exec_lo
	v_cmpx_gt_u32_e32 8, v35
; %bb.841:                              ;   in Loop: Header=BB392_370 Depth=1
	s_delay_alu instid0(VALU_DEP_3) | instskip(NEXT) | instid1(VALU_DEP_1)
	v_clz_i32_u32_e32 v34, v7
	v_min_u32_e32 v34, 32, v34
	s_delay_alu instid0(VALU_DEP_1) | instskip(SKIP_1) | instid1(VALU_DEP_2)
	v_subrev_nc_u32_e32 v35, 28, v34
	v_sub_nc_u32_e32 v34, 29, v34
	v_lshlrev_b64 v[7:8], v35, v[7:8]
	s_delay_alu instid0(VALU_DEP_1)
	v_and_b32_e32 v7, 7, v7
; %bb.842:                              ;   in Loop: Header=BB392_370 Depth=1
	s_or_b32 exec_lo, exec_lo, s17
	v_lshlrev_b32_e32 v8, 16, v14
	s_delay_alu instid0(VALU_DEP_2) | instskip(SKIP_1) | instid1(VALU_DEP_3)
	v_lshlrev_b32_e32 v7, 20, v7
	v_lshl_add_u32 v14, v34, 23, 0x3c000000
	v_and_b32_e32 v8, 0x80000000, v8
	s_delay_alu instid0(VALU_DEP_1)
	v_or3_b32 v7, v7, v8, v14
.LBB392_843:                            ;   in Loop: Header=BB392_370 Depth=1
	s_or_b32 exec_lo, exec_lo, s16
.LBB392_844:                            ;   in Loop: Header=BB392_370 Depth=1
	s_delay_alu instid0(SALU_CYCLE_1)
	s_or_b32 exec_lo, exec_lo, s9
.LBB392_845:                            ;   in Loop: Header=BB392_370 Depth=1
	s_delay_alu instid0(SALU_CYCLE_1) | instskip(NEXT) | instid1(VALU_DEP_1)
	s_or_b32 exec_lo, exec_lo, s7
	v_mul_f32_e32 v8, s15, v7
	s_delay_alu instid0(VALU_DEP_1) | instskip(NEXT) | instid1(VALU_DEP_1)
	v_and_b32_e32 v7, 0x7f800000, v8
	v_cmp_ne_u32_e64 s1, 0x7f800000, v7
                                        ; implicit-def: $vgpr7
	s_delay_alu instid0(VALU_DEP_1) | instskip(NEXT) | instid1(SALU_CYCLE_1)
	s_and_saveexec_b32 s7, s1
	s_xor_b32 s1, exec_lo, s7
; %bb.846:                              ;   in Loop: Header=BB392_370 Depth=1
	v_bfe_u32 v7, v8, 16, 1
	s_delay_alu instid0(VALU_DEP_1)
	v_add3_u32 v7, v8, v7, 0x7fff
                                        ; implicit-def: $vgpr8
; %bb.847:                              ;   in Loop: Header=BB392_370 Depth=1
	s_and_not1_saveexec_b32 s7, s1
; %bb.848:                              ;   in Loop: Header=BB392_370 Depth=1
	v_and_b32_e32 v7, 0xffff, v8
	v_or_b32_e32 v14, 0x10000, v8
	s_delay_alu instid0(VALU_DEP_2) | instskip(NEXT) | instid1(VALU_DEP_1)
	v_cmp_eq_u32_e64 s1, 0, v7
	v_cndmask_b32_e64 v7, v14, v8, s1
; %bb.849:                              ;   in Loop: Header=BB392_370 Depth=1
	s_or_b32 exec_lo, exec_lo, s7
	v_lshrrev_b32_e32 v8, 16, v6
	v_mov_b32_e32 v14, 0
	s_mov_b32 s7, exec_lo
	s_delay_alu instid0(VALU_DEP_2) | instskip(NEXT) | instid1(VALU_DEP_1)
	v_and_b32_e32 v34, 0xff, v8
	v_cmpx_ne_u16_e32 0, v34
	s_cbranch_execz .LBB392_857
; %bb.850:                              ;   in Loop: Header=BB392_370 Depth=1
	v_bfrev_b32_e32 v14, 1
	s_mov_b32 s9, exec_lo
	v_cmpx_ne_u16_e32 0x80, v34
	s_cbranch_execz .LBB392_856
; %bb.851:                              ;   in Loop: Header=BB392_370 Depth=1
	v_bfe_u32 v35, v6, 16, 7
	v_mov_b32_e32 v14, 0x7f800001
	s_mov_b32 s16, exec_lo
	s_delay_alu instid0(VALU_DEP_2)
	v_cmpx_ne_u32_e32 0x7f, v35
	s_cbranch_execz .LBB392_855
; %bb.852:                              ;   in Loop: Header=BB392_370 Depth=1
	v_and_b32_e32 v14, 7, v8
	v_lshrrev_b32_e32 v34, 3, v35
	s_mov_b32 s17, exec_lo
	v_cmpx_gt_u32_e32 8, v35
; %bb.853:                              ;   in Loop: Header=BB392_370 Depth=1
	s_delay_alu instid0(VALU_DEP_3) | instskip(NEXT) | instid1(VALU_DEP_1)
	v_clz_i32_u32_e32 v34, v14
	v_min_u32_e32 v34, 32, v34
	s_delay_alu instid0(VALU_DEP_1) | instskip(SKIP_1) | instid1(VALU_DEP_2)
	v_subrev_nc_u32_e32 v35, 28, v34
	v_sub_nc_u32_e32 v34, 29, v34
	v_lshlrev_b64 v[35:36], v35, v[14:15]
	s_delay_alu instid0(VALU_DEP_1)
	v_and_b32_e32 v14, 7, v35
; %bb.854:                              ;   in Loop: Header=BB392_370 Depth=1
	s_or_b32 exec_lo, exec_lo, s17
	v_lshlrev_b32_e32 v8, 24, v8
	s_delay_alu instid0(VALU_DEP_2) | instskip(SKIP_1) | instid1(VALU_DEP_3)
	v_lshlrev_b32_e32 v14, 20, v14
	v_lshl_add_u32 v34, v34, 23, 0x3c000000
	v_and_b32_e32 v8, 0x80000000, v8
	s_delay_alu instid0(VALU_DEP_1)
	v_or3_b32 v14, v14, v8, v34
.LBB392_855:                            ;   in Loop: Header=BB392_370 Depth=1
	s_or_b32 exec_lo, exec_lo, s16
.LBB392_856:                            ;   in Loop: Header=BB392_370 Depth=1
	s_delay_alu instid0(SALU_CYCLE_1)
	s_or_b32 exec_lo, exec_lo, s9
.LBB392_857:                            ;   in Loop: Header=BB392_370 Depth=1
	s_delay_alu instid0(SALU_CYCLE_1) | instskip(NEXT) | instid1(VALU_DEP_1)
	s_or_b32 exec_lo, exec_lo, s7
	v_mul_f32_e32 v8, s15, v14
                                        ; implicit-def: $vgpr34
	s_delay_alu instid0(VALU_DEP_1) | instskip(NEXT) | instid1(VALU_DEP_1)
	v_and_b32_e32 v14, 0x7f800000, v8
	v_cmp_ne_u32_e64 s1, 0x7f800000, v14
	s_delay_alu instid0(VALU_DEP_1) | instskip(NEXT) | instid1(SALU_CYCLE_1)
	s_and_saveexec_b32 s7, s1
	s_xor_b32 s1, exec_lo, s7
; %bb.858:                              ;   in Loop: Header=BB392_370 Depth=1
	v_bfe_u32 v14, v8, 16, 1
	s_delay_alu instid0(VALU_DEP_1)
	v_add3_u32 v34, v8, v14, 0x7fff
                                        ; implicit-def: $vgpr8
; %bb.859:                              ;   in Loop: Header=BB392_370 Depth=1
	s_and_not1_saveexec_b32 s7, s1
; %bb.860:                              ;   in Loop: Header=BB392_370 Depth=1
	v_and_b32_e32 v14, 0xffff, v8
	v_or_b32_e32 v34, 0x10000, v8
	s_delay_alu instid0(VALU_DEP_2) | instskip(NEXT) | instid1(VALU_DEP_1)
	v_cmp_eq_u32_e64 s1, 0, v14
	v_cndmask_b32_e64 v34, v34, v8, s1
; %bb.861:                              ;   in Loop: Header=BB392_370 Depth=1
	s_or_b32 exec_lo, exec_lo, s7
	v_mov_b32_e32 v8, 0
	s_mov_b32 s7, exec_lo
	v_cmpx_lt_u64_e64 s[12:13], v[5:6]
	s_cbranch_execz .LBB392_869
; %bb.862:                              ;   in Loop: Header=BB392_370 Depth=1
	v_lshrrev_b32_e32 v5, 24, v6
	v_bfrev_b32_e32 v8, 1
	s_mov_b32 s9, exec_lo
	s_delay_alu instid0(VALU_DEP_2)
	v_cmpx_ne_u32_e32 0x80, v5
	s_cbranch_execz .LBB392_868
; %bb.863:                              ;   in Loop: Header=BB392_370 Depth=1
	v_bfe_u32 v35, v6, 24, 7
	v_mov_b32_e32 v8, 0x7f800001
	s_mov_b32 s16, exec_lo
	s_delay_alu instid0(VALU_DEP_2)
	v_cmpx_ne_u32_e32 0x7f, v35
	s_cbranch_execz .LBB392_867
; %bb.864:                              ;   in Loop: Header=BB392_370 Depth=1
	v_and_b32_e32 v14, 7, v5
	v_lshrrev_b32_e32 v6, 3, v35
	s_mov_b32 s17, exec_lo
	v_cmpx_gt_u32_e32 8, v35
; %bb.865:                              ;   in Loop: Header=BB392_370 Depth=1
	s_delay_alu instid0(VALU_DEP_3) | instskip(NEXT) | instid1(VALU_DEP_1)
	v_clz_i32_u32_e32 v6, v14
	v_min_u32_e32 v6, 32, v6
	s_delay_alu instid0(VALU_DEP_1) | instskip(SKIP_1) | instid1(VALU_DEP_2)
	v_subrev_nc_u32_e32 v8, 28, v6
	v_sub_nc_u32_e32 v6, 29, v6
	v_lshlrev_b64 v[35:36], v8, v[14:15]
	s_delay_alu instid0(VALU_DEP_1)
	v_and_b32_e32 v14, 7, v35
; %bb.866:                              ;   in Loop: Header=BB392_370 Depth=1
	s_or_b32 exec_lo, exec_lo, s17
	v_lshlrev_b32_e32 v5, 24, v5
	s_delay_alu instid0(VALU_DEP_2) | instskip(SKIP_1) | instid1(VALU_DEP_3)
	v_lshlrev_b32_e32 v8, 20, v14
	v_lshl_add_u32 v6, v6, 23, 0x3c000000
	v_and_b32_e32 v5, 0x80000000, v5
	s_delay_alu instid0(VALU_DEP_1)
	v_or3_b32 v8, v8, v5, v6
.LBB392_867:                            ;   in Loop: Header=BB392_370 Depth=1
	s_or_b32 exec_lo, exec_lo, s16
.LBB392_868:                            ;   in Loop: Header=BB392_370 Depth=1
	s_delay_alu instid0(SALU_CYCLE_1)
	s_or_b32 exec_lo, exec_lo, s9
.LBB392_869:                            ;   in Loop: Header=BB392_370 Depth=1
	s_delay_alu instid0(SALU_CYCLE_1) | instskip(NEXT) | instid1(VALU_DEP_1)
	s_or_b32 exec_lo, exec_lo, s7
	v_mul_f32_e32 v6, s15, v8
	s_delay_alu instid0(VALU_DEP_1) | instskip(NEXT) | instid1(VALU_DEP_1)
	v_and_b32_e32 v5, 0x7f800000, v6
	v_cmp_ne_u32_e64 s1, 0x7f800000, v5
                                        ; implicit-def: $vgpr5
	s_delay_alu instid0(VALU_DEP_1) | instskip(NEXT) | instid1(SALU_CYCLE_1)
	s_and_saveexec_b32 s7, s1
	s_xor_b32 s1, exec_lo, s7
; %bb.870:                              ;   in Loop: Header=BB392_370 Depth=1
	v_bfe_u32 v5, v6, 16, 1
	s_delay_alu instid0(VALU_DEP_1)
	v_add3_u32 v5, v6, v5, 0x7fff
                                        ; implicit-def: $vgpr6
; %bb.871:                              ;   in Loop: Header=BB392_370 Depth=1
	s_and_not1_saveexec_b32 s7, s1
; %bb.872:                              ;   in Loop: Header=BB392_370 Depth=1
	v_and_b32_e32 v5, 0xffff, v6
	v_or_b32_e32 v8, 0x10000, v6
	s_delay_alu instid0(VALU_DEP_2) | instskip(NEXT) | instid1(VALU_DEP_1)
	v_cmp_eq_u32_e64 s1, 0, v5
	v_cndmask_b32_e64 v5, v8, v6, s1
; %bb.873:                              ;   in Loop: Header=BB392_370 Depth=1
	s_or_b32 exec_lo, exec_lo, s7
	v_lshrrev_b32_e32 v8, 16, v7
	v_lshrrev_b32_e32 v14, 16, v33
	;; [unrolled: 1-line block ×8, first 2 shown]
	s_and_saveexec_b32 s1, s0
	s_cbranch_execz .LBB392_875
; %bb.874:                              ;   in Loop: Header=BB392_370 Depth=1
	v_add_nc_u32_e32 v9, -6, v22
	v_cmp_gt_i32_e64 s0, s33, v24
	v_add_nc_u32_e32 v33, -5, v22
	v_add_nc_u32_e32 v24, -3, v22
	s_delay_alu instid0(VALU_DEP_3) | instskip(SKIP_2) | instid1(VALU_DEP_2)
	v_cndmask_b32_e64 v7, 0, v7, s0
	v_cmp_gt_i32_e64 s0, s33, v9
	v_add_nc_u32_e32 v9, -4, v22
	v_cndmask_b32_e64 v10, 0, v10, s0
	v_cmp_gt_i32_e64 s0, s33, v33
	v_add_nc_u32_e32 v33, -2, v22
	s_delay_alu instid0(VALU_DEP_2) | instskip(SKIP_2) | instid1(VALU_DEP_2)
	v_cndmask_b32_e64 v11, 0, v11, s0
	v_cmp_gt_i32_e64 s0, s33, v9
	v_add_nc_u32_e32 v9, -1, v22
	v_cndmask_b32_e64 v12, 0, v12, s0
	v_cmp_gt_i32_e64 s0, s33, v24
	s_delay_alu instid0(VALU_DEP_1) | instskip(SKIP_1) | instid1(VALU_DEP_1)
	v_cndmask_b32_e64 v14, 0, v14, s0
	v_cmp_gt_i32_e64 s0, s33, v33
	v_cndmask_b32_e64 v8, 0, v8, s0
	v_cmp_gt_i32_e64 s0, s33, v9
	s_delay_alu instid0(VALU_DEP_1) | instskip(SKIP_1) | instid1(VALU_DEP_1)
	v_cndmask_b32_e64 v6, 0, v6, s0
	v_cmp_gt_i32_e64 s0, s33, v22
	v_cndmask_b32_e64 v5, 0, v5, s0
.LBB392_875:                            ;   in Loop: Header=BB392_370 Depth=1
	s_or_b32 exec_lo, exec_lo, s1
	v_lshlrev_b32_e32 v7, 16, v7
	s_delay_alu instid0(VALU_DEP_1) | instskip(NEXT) | instid1(VALU_DEP_1)
	v_mul_f32_e32 v9, v25, v7
	v_and_b32_e32 v7, 0x7f800000, v9
	s_delay_alu instid0(VALU_DEP_1) | instskip(NEXT) | instid1(VALU_DEP_1)
	v_cmp_ne_u32_e64 s0, 0x7f800000, v7
                                        ; implicit-def: $vgpr7
	s_and_saveexec_b32 s1, s0
	s_delay_alu instid0(SALU_CYCLE_1)
	s_xor_b32 s0, exec_lo, s1
; %bb.876:                              ;   in Loop: Header=BB392_370 Depth=1
	v_bfe_u32 v7, v9, 16, 1
	s_delay_alu instid0(VALU_DEP_1)
	v_add3_u32 v7, v9, v7, 0x7fff
                                        ; implicit-def: $vgpr9
; %bb.877:                              ;   in Loop: Header=BB392_370 Depth=1
	s_and_not1_saveexec_b32 s1, s0
; %bb.878:                              ;   in Loop: Header=BB392_370 Depth=1
	v_and_b32_e32 v7, 0xffff, v9
	v_or_b32_e32 v24, 0x10000, v9
	s_delay_alu instid0(VALU_DEP_2) | instskip(NEXT) | instid1(VALU_DEP_1)
	v_cmp_eq_u32_e64 s0, 0, v7
	v_cndmask_b32_e64 v7, v24, v9, s0
; %bb.879:                              ;   in Loop: Header=BB392_370 Depth=1
	s_or_b32 exec_lo, exec_lo, s1
	v_lshlrev_b32_e32 v9, 16, v10
	s_delay_alu instid0(VALU_DEP_1) | instskip(NEXT) | instid1(VALU_DEP_1)
	v_mul_f32_e32 v10, v26, v9
	v_and_b32_e32 v9, 0x7f800000, v10
	s_delay_alu instid0(VALU_DEP_1) | instskip(NEXT) | instid1(VALU_DEP_1)
	v_cmp_ne_u32_e64 s0, 0x7f800000, v9
                                        ; implicit-def: $vgpr9
	s_and_saveexec_b32 s1, s0
	s_delay_alu instid0(SALU_CYCLE_1)
	s_xor_b32 s0, exec_lo, s1
; %bb.880:                              ;   in Loop: Header=BB392_370 Depth=1
	v_bfe_u32 v9, v10, 16, 1
	s_delay_alu instid0(VALU_DEP_1)
	v_add3_u32 v9, v10, v9, 0x7fff
                                        ; implicit-def: $vgpr10
; %bb.881:                              ;   in Loop: Header=BB392_370 Depth=1
	s_and_not1_saveexec_b32 s1, s0
; %bb.882:                              ;   in Loop: Header=BB392_370 Depth=1
	v_and_b32_e32 v9, 0xffff, v10
	v_or_b32_e32 v24, 0x10000, v10
	s_delay_alu instid0(VALU_DEP_2) | instskip(NEXT) | instid1(VALU_DEP_1)
	v_cmp_eq_u32_e64 s0, 0, v9
	v_cndmask_b32_e64 v9, v24, v10, s0
; %bb.883:                              ;   in Loop: Header=BB392_370 Depth=1
	s_or_b32 exec_lo, exec_lo, s1
	v_lshlrev_b32_e32 v10, 16, v11
	s_delay_alu instid0(VALU_DEP_1) | instskip(NEXT) | instid1(VALU_DEP_1)
	v_mul_f32_e32 v11, v27, v10
	v_and_b32_e32 v10, 0x7f800000, v11
	s_delay_alu instid0(VALU_DEP_1) | instskip(NEXT) | instid1(VALU_DEP_1)
	v_cmp_ne_u32_e64 s0, 0x7f800000, v10
                                        ; implicit-def: $vgpr10
	s_and_saveexec_b32 s1, s0
	s_delay_alu instid0(SALU_CYCLE_1)
	s_xor_b32 s0, exec_lo, s1
; %bb.884:                              ;   in Loop: Header=BB392_370 Depth=1
	v_bfe_u32 v10, v11, 16, 1
	s_delay_alu instid0(VALU_DEP_1)
	v_add3_u32 v10, v11, v10, 0x7fff
                                        ; implicit-def: $vgpr11
; %bb.885:                              ;   in Loop: Header=BB392_370 Depth=1
	s_and_not1_saveexec_b32 s1, s0
; %bb.886:                              ;   in Loop: Header=BB392_370 Depth=1
	v_and_b32_e32 v10, 0xffff, v11
	v_or_b32_e32 v24, 0x10000, v11
	s_delay_alu instid0(VALU_DEP_2) | instskip(NEXT) | instid1(VALU_DEP_1)
	v_cmp_eq_u32_e64 s0, 0, v10
	v_cndmask_b32_e64 v10, v24, v11, s0
; %bb.887:                              ;   in Loop: Header=BB392_370 Depth=1
	s_or_b32 exec_lo, exec_lo, s1
	v_lshlrev_b32_e32 v11, 16, v12
	s_delay_alu instid0(VALU_DEP_1) | instskip(NEXT) | instid1(VALU_DEP_1)
	v_mul_f32_e32 v12, v28, v11
	v_and_b32_e32 v11, 0x7f800000, v12
	s_delay_alu instid0(VALU_DEP_1) | instskip(NEXT) | instid1(VALU_DEP_1)
	v_cmp_ne_u32_e64 s0, 0x7f800000, v11
                                        ; implicit-def: $vgpr11
	s_and_saveexec_b32 s1, s0
	s_delay_alu instid0(SALU_CYCLE_1)
	s_xor_b32 s0, exec_lo, s1
; %bb.888:                              ;   in Loop: Header=BB392_370 Depth=1
	v_bfe_u32 v11, v12, 16, 1
	s_delay_alu instid0(VALU_DEP_1)
	v_add3_u32 v11, v12, v11, 0x7fff
                                        ; implicit-def: $vgpr12
; %bb.889:                              ;   in Loop: Header=BB392_370 Depth=1
	s_and_not1_saveexec_b32 s1, s0
; %bb.890:                              ;   in Loop: Header=BB392_370 Depth=1
	v_and_b32_e32 v11, 0xffff, v12
	v_or_b32_e32 v24, 0x10000, v12
	s_delay_alu instid0(VALU_DEP_2) | instskip(NEXT) | instid1(VALU_DEP_1)
	v_cmp_eq_u32_e64 s0, 0, v11
	v_cndmask_b32_e64 v11, v24, v12, s0
; %bb.891:                              ;   in Loop: Header=BB392_370 Depth=1
	s_or_b32 exec_lo, exec_lo, s1
	v_lshlrev_b32_e32 v12, 16, v14
	s_delay_alu instid0(VALU_DEP_1) | instskip(NEXT) | instid1(VALU_DEP_1)
	v_mul_f32_e32 v14, v29, v12
	v_and_b32_e32 v12, 0x7f800000, v14
	s_delay_alu instid0(VALU_DEP_1) | instskip(NEXT) | instid1(VALU_DEP_1)
	v_cmp_ne_u32_e64 s0, 0x7f800000, v12
                                        ; implicit-def: $vgpr12
	s_and_saveexec_b32 s1, s0
	s_delay_alu instid0(SALU_CYCLE_1)
	s_xor_b32 s0, exec_lo, s1
; %bb.892:                              ;   in Loop: Header=BB392_370 Depth=1
	v_bfe_u32 v12, v14, 16, 1
	s_delay_alu instid0(VALU_DEP_1)
	v_add3_u32 v12, v14, v12, 0x7fff
                                        ; implicit-def: $vgpr14
; %bb.893:                              ;   in Loop: Header=BB392_370 Depth=1
	s_and_not1_saveexec_b32 s1, s0
; %bb.894:                              ;   in Loop: Header=BB392_370 Depth=1
	v_and_b32_e32 v12, 0xffff, v14
	v_or_b32_e32 v24, 0x10000, v14
	s_delay_alu instid0(VALU_DEP_2) | instskip(NEXT) | instid1(VALU_DEP_1)
	v_cmp_eq_u32_e64 s0, 0, v12
	v_cndmask_b32_e64 v12, v24, v14, s0
; %bb.895:                              ;   in Loop: Header=BB392_370 Depth=1
	s_or_b32 exec_lo, exec_lo, s1
	v_lshlrev_b32_e32 v8, 16, v8
	s_delay_alu instid0(VALU_DEP_1) | instskip(NEXT) | instid1(VALU_DEP_1)
	v_mul_f32_e32 v14, v30, v8
	v_and_b32_e32 v8, 0x7f800000, v14
	s_delay_alu instid0(VALU_DEP_1) | instskip(NEXT) | instid1(VALU_DEP_1)
	v_cmp_ne_u32_e64 s0, 0x7f800000, v8
                                        ; implicit-def: $vgpr8
	s_and_saveexec_b32 s1, s0
	s_delay_alu instid0(SALU_CYCLE_1)
	s_xor_b32 s0, exec_lo, s1
; %bb.896:                              ;   in Loop: Header=BB392_370 Depth=1
	v_bfe_u32 v8, v14, 16, 1
	s_delay_alu instid0(VALU_DEP_1)
	v_add3_u32 v8, v14, v8, 0x7fff
                                        ; implicit-def: $vgpr14
; %bb.897:                              ;   in Loop: Header=BB392_370 Depth=1
	s_and_not1_saveexec_b32 s1, s0
; %bb.898:                              ;   in Loop: Header=BB392_370 Depth=1
	v_and_b32_e32 v8, 0xffff, v14
	v_or_b32_e32 v24, 0x10000, v14
	s_delay_alu instid0(VALU_DEP_2) | instskip(NEXT) | instid1(VALU_DEP_1)
	v_cmp_eq_u32_e64 s0, 0, v8
	v_cndmask_b32_e64 v8, v24, v14, s0
; %bb.899:                              ;   in Loop: Header=BB392_370 Depth=1
	s_or_b32 exec_lo, exec_lo, s1
	v_lshlrev_b32_e32 v6, 16, v6
	s_delay_alu instid0(VALU_DEP_1) | instskip(NEXT) | instid1(VALU_DEP_1)
	v_mul_f32_e32 v14, v31, v6
	v_and_b32_e32 v6, 0x7f800000, v14
	s_delay_alu instid0(VALU_DEP_1) | instskip(NEXT) | instid1(VALU_DEP_1)
	v_cmp_ne_u32_e64 s0, 0x7f800000, v6
                                        ; implicit-def: $vgpr6
	s_and_saveexec_b32 s1, s0
	s_delay_alu instid0(SALU_CYCLE_1)
	s_xor_b32 s0, exec_lo, s1
; %bb.900:                              ;   in Loop: Header=BB392_370 Depth=1
	v_bfe_u32 v6, v14, 16, 1
	s_delay_alu instid0(VALU_DEP_1)
	v_add3_u32 v6, v14, v6, 0x7fff
                                        ; implicit-def: $vgpr14
; %bb.901:                              ;   in Loop: Header=BB392_370 Depth=1
	s_and_not1_saveexec_b32 s1, s0
; %bb.902:                              ;   in Loop: Header=BB392_370 Depth=1
	v_and_b32_e32 v6, 0xffff, v14
	v_or_b32_e32 v24, 0x10000, v14
	s_delay_alu instid0(VALU_DEP_2) | instskip(NEXT) | instid1(VALU_DEP_1)
	v_cmp_eq_u32_e64 s0, 0, v6
	v_cndmask_b32_e64 v6, v24, v14, s0
; %bb.903:                              ;   in Loop: Header=BB392_370 Depth=1
	s_or_b32 exec_lo, exec_lo, s1
	v_lshlrev_b32_e32 v5, 16, v5
	s_delay_alu instid0(VALU_DEP_1) | instskip(NEXT) | instid1(VALU_DEP_1)
	v_mul_f32_e32 v14, v32, v5
	v_and_b32_e32 v5, 0x7f800000, v14
	s_delay_alu instid0(VALU_DEP_1) | instskip(NEXT) | instid1(VALU_DEP_1)
	v_cmp_ne_u32_e64 s0, 0x7f800000, v5
                                        ; implicit-def: $vgpr5
	s_and_saveexec_b32 s1, s0
	s_delay_alu instid0(SALU_CYCLE_1)
	s_xor_b32 s0, exec_lo, s1
; %bb.904:                              ;   in Loop: Header=BB392_370 Depth=1
	v_bfe_u32 v5, v14, 16, 1
	s_delay_alu instid0(VALU_DEP_1)
	v_add3_u32 v5, v14, v5, 0x7fff
                                        ; implicit-def: $vgpr14
; %bb.905:                              ;   in Loop: Header=BB392_370 Depth=1
	s_and_not1_saveexec_b32 s1, s0
	s_cbranch_execz .LBB392_368
; %bb.906:                              ;   in Loop: Header=BB392_370 Depth=1
	v_and_b32_e32 v5, 0xffff, v14
	v_or_b32_e32 v24, 0x10000, v14
	s_delay_alu instid0(VALU_DEP_2) | instskip(NEXT) | instid1(VALU_DEP_1)
	v_cmp_eq_u32_e64 s0, 0, v5
	v_cndmask_b32_e64 v5, v24, v14, s0
	s_branch .LBB392_368
.LBB392_907:
	s_or_b32 exec_lo, exec_lo, s4
.LBB392_908:
	s_delay_alu instid0(SALU_CYCLE_1)
	s_or_b32 exec_lo, exec_lo, s11
	s_movk_i32 s0, 0x1c0
	v_and_b32_e32 v6, 0x3c0, v0
	v_mad_u32_u24 v5, v18, s0, 0x100
	v_or_b32_e32 v7, 0x60, v0
	s_mov_b32 s0, exec_lo
	s_waitcnt_vscnt null, 0x0
	s_barrier
	buffer_gl0_inv
	v_cmpx_eq_u32_e32 64, v6
	s_cbranch_execz .LBB392_911
; %bb.909:
	v_add_nc_u32_e32 v6, 0xfffffc80, v5
	v_cmp_gt_u32_e32 vcc_lo, 0x70, v7
	s_delay_alu instid0(VALU_DEP_2)
	v_lshl_add_u32 v8, v19, 2, v6
	ds_store_2addr_b32 v8, v1, v2 offset1:32
	ds_store_b32 v8, v3 offset:256
	s_and_b32 exec_lo, exec_lo, vcc_lo
	s_cbranch_execz .LBB392_911
; %bb.910:
	v_lshl_add_u32 v6, v7, 2, v6
	ds_store_b32 v6, v4
.LBB392_911:
	s_or_b32 exec_lo, exec_lo, s0
	v_lshl_add_u32 v6, v19, 2, v5
	s_mov_b32 s0, exec_lo
	s_waitcnt lgkmcnt(0)
	s_barrier
	buffer_gl0_inv
	v_cmpx_gt_u32_e32 64, v0
	s_cbranch_execz .LBB392_915
; %bb.912:
	v_lshl_or_b32 v8, v0, 2, 0x80
	s_mov_b32 s1, exec_lo
	s_delay_alu instid0(VALU_DEP_1)
	v_add_nc_u32_e32 v10, v5, v8
	ds_load_2addr_stride64_b32 v[8:9], v6 offset1:1
	ds_load_b32 v10, v10
	s_waitcnt lgkmcnt(1)
	v_add_f32_e32 v3, v3, v9
	s_waitcnt lgkmcnt(0)
	v_dual_add_f32 v1, v1, v8 :: v_dual_add_f32 v2, v2, v10
	v_cmpx_gt_u32_e32 0x70, v7
	s_cbranch_execz .LBB392_914
; %bb.913:
	v_lshl_add_u32 v8, v7, 2, v5
	ds_load_b32 v8, v8
	s_waitcnt lgkmcnt(0)
	v_add_f32_e32 v4, v4, v8
.LBB392_914:
	s_or_b32 exec_lo, exec_lo, s1
.LBB392_915:
	s_delay_alu instid0(SALU_CYCLE_1)
	s_or_b32 exec_lo, exec_lo, s0
	v_and_b32_e32 v8, 0x3e0, v0
	s_mov_b32 s0, exec_lo
	s_barrier
	buffer_gl0_inv
	v_cmpx_eq_u32_e32 32, v8
	s_cbranch_execz .LBB392_918
; %bb.916:
	v_add_nc_u32_e32 v8, 0xfffffe40, v5
	v_cmp_gt_u32_e32 vcc_lo, 0x70, v7
	s_delay_alu instid0(VALU_DEP_2)
	v_lshl_add_u32 v9, v19, 2, v8
	v_lshl_add_u32 v10, v0, 2, v8
	ds_store_b32 v9, v1
	ds_store_b32 v10, v2
	ds_store_b32 v9, v3 offset:256
	s_and_b32 exec_lo, exec_lo, vcc_lo
	s_cbranch_execz .LBB392_918
; %bb.917:
	v_lshl_add_u32 v8, v7, 2, v8
	ds_store_b32 v8, v4
.LBB392_918:
	s_or_b32 exec_lo, exec_lo, s0
	v_cmp_gt_u32_e32 vcc_lo, 32, v0
	s_waitcnt lgkmcnt(0)
	s_barrier
	buffer_gl0_inv
	s_and_saveexec_b32 s1, vcc_lo
	s_cbranch_execz .LBB392_922
; %bb.919:
	v_lshl_add_u32 v5, v0, 2, v5
	s_mov_b32 s2, exec_lo
	ds_load_b32 v6, v6
	ds_load_2addr_b32 v[8:9], v5 offset0:32 offset1:64
	s_waitcnt lgkmcnt(0)
	v_dual_add_f32 v1, v1, v6 :: v_dual_add_f32 v2, v2, v8
	v_add_f32_e32 v3, v3, v9
	v_cmpx_gt_u32_e32 0x70, v7
	s_cbranch_execz .LBB392_921
; %bb.920:
	ds_load_b32 v5, v5 offset:384
	s_waitcnt lgkmcnt(0)
	v_add_f32_e32 v4, v4, v5
.LBB392_921:
	s_or_b32 exec_lo, exec_lo, s2
.LBB392_922:
	s_delay_alu instid0(SALU_CYCLE_1)
	s_or_b32 exec_lo, exec_lo, s1
	s_barrier
	buffer_gl0_inv
	s_and_saveexec_b32 s0, vcc_lo
	s_cbranch_execz .LBB392_941
; %bb.923:
	v_and_b32_e32 v5, 0x7f800000, v1
	s_mov_b32 s0, exec_lo
                                        ; implicit-def: $vgpr8
	s_delay_alu instid0(VALU_DEP_1)
	v_cmpx_ne_u32_e32 0x7f800000, v5
	s_xor_b32 s0, exec_lo, s0
; %bb.924:
	v_bfe_u32 v5, v1, 16, 1
	s_delay_alu instid0(VALU_DEP_1)
	v_add3_u32 v8, v1, v5, 0x7fff
; %bb.925:
	s_and_not1_saveexec_b32 s0, s0
; %bb.926:
	v_and_b32_e32 v5, 0xffff, v1
	v_or_b32_e32 v6, 0x10000, v1
	s_delay_alu instid0(VALU_DEP_2) | instskip(NEXT) | instid1(VALU_DEP_2)
	v_cmp_eq_u32_e32 vcc_lo, 0, v5
	v_cndmask_b32_e32 v8, v6, v1, vcc_lo
; %bb.927:
	s_or_b32 exec_lo, exec_lo, s0
	s_mul_i32 s0, s10, 0x70
	s_mul_i32 s2, s8, s22
	s_ashr_i32 s1, s0, 31
	v_lshlrev_b32_e32 v0, 1, v0
	s_lshl_b64 s[0:1], s[0:1], 1
	v_and_b32_e32 v1, 0x7f800000, v2
	s_add_u32 s4, s24, s0
	s_addc_u32 s5, s25, s1
	s_ashr_i32 s3, s2, 31
	s_delay_alu instid0(SALU_CYCLE_1) | instskip(SKIP_4) | instid1(SALU_CYCLE_1)
	s_lshl_b64 s[0:1], s[2:3], 1
	s_mul_i32 s2, s20, 0x70
	s_add_u32 s4, s4, s0
	s_addc_u32 s5, s5, s1
	s_ashr_i32 s3, s2, 31
	s_lshl_b64 s[0:1], s[2:3], 1
	s_delay_alu instid0(SALU_CYCLE_1) | instskip(SKIP_2) | instid1(VALU_DEP_1)
	s_add_u32 s0, s4, s0
	s_addc_u32 s1, s5, s1
	v_add_co_u32 v5, s2, s0, v0
	v_add_co_ci_u32_e64 v6, null, s1, 0, s2
	global_store_d16_hi_b16 v0, v8, s[0:1]
	s_mov_b32 s0, exec_lo
                                        ; implicit-def: $vgpr0
	v_cmpx_ne_u32_e32 0x7f800000, v1
	s_xor_b32 s0, exec_lo, s0
; %bb.928:
	v_bfe_u32 v0, v2, 16, 1
	s_delay_alu instid0(VALU_DEP_1)
	v_add3_u32 v0, v2, v0, 0x7fff
; %bb.929:
	s_and_not1_saveexec_b32 s0, s0
; %bb.930:
	v_and_b32_e32 v0, 0xffff, v2
	v_or_b32_e32 v1, 0x10000, v2
	s_delay_alu instid0(VALU_DEP_2) | instskip(NEXT) | instid1(VALU_DEP_2)
	v_cmp_eq_u32_e32 vcc_lo, 0, v0
	v_cndmask_b32_e32 v0, v1, v2, vcc_lo
; %bb.931:
	s_or_b32 exec_lo, exec_lo, s0
	v_and_b32_e32 v1, 0x7f800000, v3
	s_mov_b32 s0, exec_lo
	global_store_d16_hi_b16 v[5:6], v0, off offset:64
                                        ; implicit-def: $vgpr0
	v_cmpx_ne_u32_e32 0x7f800000, v1
	s_xor_b32 s0, exec_lo, s0
; %bb.932:
	v_bfe_u32 v0, v3, 16, 1
	s_delay_alu instid0(VALU_DEP_1)
	v_add3_u32 v0, v3, v0, 0x7fff
; %bb.933:
	s_and_not1_saveexec_b32 s0, s0
; %bb.934:
	v_and_b32_e32 v0, 0xffff, v3
	v_or_b32_e32 v1, 0x10000, v3
	s_delay_alu instid0(VALU_DEP_2) | instskip(NEXT) | instid1(VALU_DEP_2)
	v_cmp_eq_u32_e32 vcc_lo, 0, v0
	v_cndmask_b32_e32 v0, v1, v3, vcc_lo
; %bb.935:
	s_or_b32 exec_lo, exec_lo, s0
	v_cmp_gt_u32_e32 vcc_lo, 0x70, v7
	global_store_d16_hi_b16 v[5:6], v0, off offset:128
	s_and_b32 exec_lo, exec_lo, vcc_lo
	s_cbranch_execz .LBB392_941
; %bb.936:
	v_and_b32_e32 v0, 0x7f800000, v4
	s_delay_alu instid0(VALU_DEP_1) | instskip(SKIP_1) | instid1(SALU_CYCLE_1)
	v_cmp_ne_u32_e32 vcc_lo, 0x7f800000, v0
                                        ; implicit-def: $vgpr0
	s_and_saveexec_b32 s0, vcc_lo
	s_xor_b32 s0, exec_lo, s0
; %bb.937:
	v_bfe_u32 v0, v4, 16, 1
	s_delay_alu instid0(VALU_DEP_1)
	v_add3_u32 v0, v4, v0, 0x7fff
                                        ; implicit-def: $vgpr1_vgpr2_vgpr3_vgpr4
; %bb.938:
	s_and_not1_saveexec_b32 s0, s0
; %bb.939:
	v_and_b32_e32 v0, 0xffff, v4
	v_or_b32_e32 v1, 0x10000, v4
	s_delay_alu instid0(VALU_DEP_2) | instskip(NEXT) | instid1(VALU_DEP_2)
	v_cmp_eq_u32_e32 vcc_lo, 0, v0
	v_cndmask_b32_e32 v0, v1, v4, vcc_lo
; %bb.940:
	s_or_b32 exec_lo, exec_lo, s0
	global_store_d16_hi_b16 v[5:6], v0, off offset:192
.LBB392_941:
	s_nop 0
	s_sendmsg sendmsg(MSG_DEALLOC_VGPRS)
	s_endpgm
	.section	.rodata,"a",@progbits
	.p2align	6, 0x0
	.amdhsa_kernel _ZN4vllm25paged_attention_v2_kernelI14__hip_bfloat16hLi112ELi8ELi128ELNS_18Fp8KVCacheDataTypeE1ELb0ELi512EEEvPfS3_PT_PKS4_PKT0_SA_ifPKiSC_iPKfiiiSE_SE_iiiii
		.amdhsa_group_segment_fixed_size 256
		.amdhsa_private_segment_fixed_size 0
		.amdhsa_kernarg_size 400
		.amdhsa_user_sgpr_count 13
		.amdhsa_user_sgpr_dispatch_ptr 0
		.amdhsa_user_sgpr_queue_ptr 0
		.amdhsa_user_sgpr_kernarg_segment_ptr 1
		.amdhsa_user_sgpr_dispatch_id 0
		.amdhsa_user_sgpr_private_segment_size 0
		.amdhsa_wavefront_size32 1
		.amdhsa_uses_dynamic_stack 0
		.amdhsa_enable_private_segment 0
		.amdhsa_system_sgpr_workgroup_id_x 1
		.amdhsa_system_sgpr_workgroup_id_y 1
		.amdhsa_system_sgpr_workgroup_id_z 1
		.amdhsa_system_sgpr_workgroup_info 0
		.amdhsa_system_vgpr_workitem_id 0
		.amdhsa_next_free_vgpr 79
		.amdhsa_next_free_sgpr 42
		.amdhsa_reserve_vcc 1
		.amdhsa_float_round_mode_32 0
		.amdhsa_float_round_mode_16_64 0
		.amdhsa_float_denorm_mode_32 3
		.amdhsa_float_denorm_mode_16_64 3
		.amdhsa_dx10_clamp 1
		.amdhsa_ieee_mode 1
		.amdhsa_fp16_overflow 0
		.amdhsa_workgroup_processor_mode 1
		.amdhsa_memory_ordered 1
		.amdhsa_forward_progress 0
		.amdhsa_shared_vgpr_count 0
		.amdhsa_exception_fp_ieee_invalid_op 0
		.amdhsa_exception_fp_denorm_src 0
		.amdhsa_exception_fp_ieee_div_zero 0
		.amdhsa_exception_fp_ieee_overflow 0
		.amdhsa_exception_fp_ieee_underflow 0
		.amdhsa_exception_fp_ieee_inexact 0
		.amdhsa_exception_int_div_zero 0
	.end_amdhsa_kernel
	.section	.text._ZN4vllm25paged_attention_v2_kernelI14__hip_bfloat16hLi112ELi8ELi128ELNS_18Fp8KVCacheDataTypeE1ELb0ELi512EEEvPfS3_PT_PKS4_PKT0_SA_ifPKiSC_iPKfiiiSE_SE_iiiii,"axG",@progbits,_ZN4vllm25paged_attention_v2_kernelI14__hip_bfloat16hLi112ELi8ELi128ELNS_18Fp8KVCacheDataTypeE1ELb0ELi512EEEvPfS3_PT_PKS4_PKT0_SA_ifPKiSC_iPKfiiiSE_SE_iiiii,comdat
.Lfunc_end392:
	.size	_ZN4vllm25paged_attention_v2_kernelI14__hip_bfloat16hLi112ELi8ELi128ELNS_18Fp8KVCacheDataTypeE1ELb0ELi512EEEvPfS3_PT_PKS4_PKT0_SA_ifPKiSC_iPKfiiiSE_SE_iiiii, .Lfunc_end392-_ZN4vllm25paged_attention_v2_kernelI14__hip_bfloat16hLi112ELi8ELi128ELNS_18Fp8KVCacheDataTypeE1ELb0ELi512EEEvPfS3_PT_PKS4_PKT0_SA_ifPKiSC_iPKfiiiSE_SE_iiiii
                                        ; -- End function
	.section	.AMDGPU.csdata,"",@progbits
; Kernel info:
; codeLenInByte = 30120
; NumSgprs: 44
; NumVgprs: 79
; ScratchSize: 0
; MemoryBound: 0
; FloatMode: 240
; IeeeMode: 1
; LDSByteSize: 256 bytes/workgroup (compile time only)
; SGPRBlocks: 5
; VGPRBlocks: 9
; NumSGPRsForWavesPerEU: 44
; NumVGPRsForWavesPerEU: 79
; Occupancy: 16
; WaveLimiterHint : 1
; COMPUTE_PGM_RSRC2:SCRATCH_EN: 0
; COMPUTE_PGM_RSRC2:USER_SGPR: 13
; COMPUTE_PGM_RSRC2:TRAP_HANDLER: 0
; COMPUTE_PGM_RSRC2:TGID_X_EN: 1
; COMPUTE_PGM_RSRC2:TGID_Y_EN: 1
; COMPUTE_PGM_RSRC2:TGID_Z_EN: 1
; COMPUTE_PGM_RSRC2:TIDIG_COMP_CNT: 0
	.section	.text._ZN4vllm25paged_attention_v2_kernelI14__hip_bfloat16hLi120ELi8ELi128ELNS_18Fp8KVCacheDataTypeE1ELb0ELi512EEEvPfS3_PT_PKS4_PKT0_SA_ifPKiSC_iPKfiiiSE_SE_iiiii,"axG",@progbits,_ZN4vllm25paged_attention_v2_kernelI14__hip_bfloat16hLi120ELi8ELi128ELNS_18Fp8KVCacheDataTypeE1ELb0ELi512EEEvPfS3_PT_PKS4_PKT0_SA_ifPKiSC_iPKfiiiSE_SE_iiiii,comdat
	.protected	_ZN4vllm25paged_attention_v2_kernelI14__hip_bfloat16hLi120ELi8ELi128ELNS_18Fp8KVCacheDataTypeE1ELb0ELi512EEEvPfS3_PT_PKS4_PKT0_SA_ifPKiSC_iPKfiiiSE_SE_iiiii ; -- Begin function _ZN4vllm25paged_attention_v2_kernelI14__hip_bfloat16hLi120ELi8ELi128ELNS_18Fp8KVCacheDataTypeE1ELb0ELi512EEEvPfS3_PT_PKS4_PKT0_SA_ifPKiSC_iPKfiiiSE_SE_iiiii
	.globl	_ZN4vllm25paged_attention_v2_kernelI14__hip_bfloat16hLi120ELi8ELi128ELNS_18Fp8KVCacheDataTypeE1ELb0ELi512EEEvPfS3_PT_PKS4_PKT0_SA_ifPKiSC_iPKfiiiSE_SE_iiiii
	.p2align	8
	.type	_ZN4vllm25paged_attention_v2_kernelI14__hip_bfloat16hLi120ELi8ELi128ELNS_18Fp8KVCacheDataTypeE1ELb0ELi512EEEvPfS3_PT_PKS4_PKT0_SA_ifPKiSC_iPKfiiiSE_SE_iiiii,@function
_ZN4vllm25paged_attention_v2_kernelI14__hip_bfloat16hLi120ELi8ELi128ELNS_18Fp8KVCacheDataTypeE1ELb0ELi512EEEvPfS3_PT_PKS4_PKT0_SA_ifPKiSC_iPKfiiiSE_SE_iiiii: ; @_ZN4vllm25paged_attention_v2_kernelI14__hip_bfloat16hLi120ELi8ELi128ELNS_18Fp8KVCacheDataTypeE1ELb0ELi512EEEvPfS3_PT_PKS4_PKT0_SA_ifPKiSC_iPKfiiiSE_SE_iiiii
; %bb.0:
	s_load_b64 s[2:3], s[0:1], 0x40
	s_mov_b32 s20, s15
	s_ashr_i32 s15, s14, 31
	s_delay_alu instid0(SALU_CYCLE_1)
	s_lshl_b64 s[4:5], s[14:15], 2
	s_waitcnt lgkmcnt(0)
	s_add_u32 s2, s2, s4
	s_addc_u32 s3, s3, s5
	s_lshl_b32 s36, s20, 9
	s_load_b32 s33, s[2:3], 0x0
	s_waitcnt lgkmcnt(0)
	s_cmp_ge_i32 s36, s33
	s_cbranch_scc1 .LBB393_965
; %bb.1:
	s_mov_b32 s26, s13
	s_clause 0x1
	s_load_b32 s15, s[0:1], 0x90
	s_load_b64 s[12:13], s[0:1], 0x30
	s_waitcnt lgkmcnt(0)
	s_abs_i32 s5, s15
	s_abs_i32 s2, s12
	s_delay_alu instid0(SALU_CYCLE_1) | instskip(SKIP_1) | instid1(VALU_DEP_1)
	v_cvt_f32_u32_e32 v1, s2
	s_sub_i32 s4, 0, s2
	v_rcp_iflag_f32_e32 v1, v1
	s_waitcnt_depctr 0xfff
	v_mul_f32_e32 v1, 0x4f7ffffe, v1
	s_delay_alu instid0(VALU_DEP_1) | instskip(NEXT) | instid1(VALU_DEP_1)
	v_cvt_u32_f32_e32 v1, v1
	v_readfirstlane_b32 s3, v1
	s_delay_alu instid0(VALU_DEP_1) | instskip(NEXT) | instid1(SALU_CYCLE_1)
	s_mul_i32 s4, s4, s3
	s_mul_hi_u32 s4, s3, s4
	s_delay_alu instid0(SALU_CYCLE_1)
	s_add_i32 s3, s3, s4
	s_xor_b32 s4, s15, s12
	s_mul_hi_u32 s3, s5, s3
	s_ashr_i32 s4, s4, 31
	s_mul_i32 s6, s3, s2
	s_mov_b32 s12, 0
	s_sub_i32 s5, s5, s6
	s_add_i32 s6, s3, 1
	s_sub_i32 s7, s5, s2
	s_cmp_ge_u32 s5, s2
	s_cselect_b32 s3, s6, s3
	s_cselect_b32 s5, s7, s5
	s_add_i32 s6, s3, 1
	s_cmp_ge_u32 s5, s2
	s_cselect_b32 s2, s6, s3
	s_delay_alu instid0(SALU_CYCLE_1) | instskip(NEXT) | instid1(SALU_CYCLE_1)
	s_xor_b32 s2, s2, s4
	s_sub_i32 s7, s2, s4
	s_load_b64 s[2:3], s[0:1], 0x50
	s_abs_i32 s4, s7
	s_delay_alu instid0(SALU_CYCLE_1) | instskip(SKIP_1) | instid1(VALU_DEP_1)
	v_cvt_f32_u32_e32 v1, s4
	s_sub_i32 s6, 0, s4
	v_rcp_iflag_f32_e32 v1, v1
	s_waitcnt_depctr 0xfff
	v_mul_f32_e32 v1, 0x4f7ffffe, v1
	s_delay_alu instid0(VALU_DEP_1) | instskip(NEXT) | instid1(VALU_DEP_1)
	v_cvt_u32_f32_e32 v1, v1
	v_readfirstlane_b32 s5, v1
	s_delay_alu instid0(VALU_DEP_1) | instskip(NEXT) | instid1(SALU_CYCLE_1)
	s_mul_i32 s6, s6, s5
	s_mul_hi_u32 s8, s5, s6
	s_abs_i32 s6, s26
	s_add_i32 s5, s5, s8
	s_waitcnt lgkmcnt(0)
	s_cmp_eq_u64 s[2:3], 0
	s_mul_hi_u32 s5, s6, s5
	s_cbranch_scc1 .LBB393_3
; %bb.2:
	s_ashr_i32 s27, s26, 31
	s_delay_alu instid0(SALU_CYCLE_1) | instskip(NEXT) | instid1(SALU_CYCLE_1)
	s_lshl_b64 s[8:9], s[26:27], 2
	s_add_u32 s2, s2, s8
	s_addc_u32 s3, s3, s9
	s_load_b32 s12, s[2:3], 0x0
.LBB393_3:
	s_load_b128 s[8:11], s[0:1], 0x58
	v_and_b32_e32 v1, 3, v0
	s_ashr_i32 s2, s26, 31
	s_ashr_i32 s3, s7, 31
	s_mul_i32 s22, s26, 0x78
	s_mov_b32 s7, exec_lo
	v_cmpx_gt_u32_e32 60, v0
	s_cbranch_execz .LBB393_5
; %bb.4:
	s_load_b64 s[16:17], s[0:1], 0x18
	s_waitcnt lgkmcnt(0)
	s_mul_i32 s18, s14, s8
	v_lshlrev_b32_e32 v2, 2, v0
	s_ashr_i32 s19, s18, 31
	v_and_b32_e32 v3, 0x3fc, v0
	s_lshl_b64 s[18:19], s[18:19], 1
	s_delay_alu instid0(VALU_DEP_1) | instskip(SKIP_3) | instid1(SALU_CYCLE_1)
	v_mad_u32_u24 v3, v1, 60, v3
	s_add_u32 s8, s16, s18
	s_addc_u32 s11, s17, s19
	s_ashr_i32 s23, s22, 31
	s_lshl_b64 s[16:17], s[22:23], 1
	s_delay_alu instid0(SALU_CYCLE_1)
	s_add_u32 s16, s8, s16
	s_addc_u32 s17, s11, s17
	global_load_b32 v2, v2, s[16:17]
	s_waitcnt vmcnt(0)
	ds_store_b32 v3, v2
.LBB393_5:
	s_or_b32 exec_lo, exec_lo, s7
	s_add_i32 s7, s33, 7
	s_waitcnt lgkmcnt(0)
	s_lshl_b32 s11, s20, 6
	s_ashr_i32 s8, s7, 31
	s_xor_b32 s2, s2, s3
	s_lshr_b32 s8, s8, 29
	s_add_i32 s3, s11, 64
	s_add_i32 s7, s7, s8
	v_lshrrev_b32_e32 v18, 5, v0
	s_ashr_i32 s27, s7, 3
	s_mul_i32 s7, s5, s4
	s_min_i32 s23, s3, s27
	s_clause 0x1
	s_load_b64 s[28:29], s[0:1], 0x38
	s_load_b32 s3, s[0:1], 0x48
	s_sub_i32 s6, s6, s7
	s_add_i32 s7, s5, 1
	s_sub_i32 s8, s6, s4
	s_cmp_ge_u32 s6, s4
	v_or_b32_e32 v13, s11, v18
	s_cselect_b32 s5, s7, s5
	s_cselect_b32 s6, s8, s6
	s_add_i32 s7, s5, 1
	s_cmp_ge_u32 s6, s4
	v_mbcnt_lo_u32_b32 v10, -1, 0
	s_cselect_b32 s4, s7, s5
	s_waitcnt lgkmcnt(0)
	s_xor_b32 s4, s4, s2
	s_barrier
	s_sub_i32 s37, s4, s2
	v_cmp_gt_i32_e64 s2, s23, v13
	s_mov_b32 s4, exec_lo
	buffer_gl0_inv
                                        ; implicit-def: $vgpr11
	s_mul_i32 s30, s14, s3
                                        ; implicit-def: $sgpr3
	s_delay_alu instid0(SALU_CYCLE_1)
	s_ashr_i32 s31, s30, 31
	v_cmpx_le_i32_e64 s23, v13
	s_xor_b32 s4, exec_lo, s4
; %bb.6:
	v_mbcnt_lo_u32_b32 v10, -1, 0
	v_mov_b32_e32 v11, 32
	s_mov_b32 s3, 0xff7fffff
                                        ; implicit-def: $vgpr1
; %bb.7:
	s_or_saveexec_b32 s21, s4
	s_clause 0x4
	s_load_b128 s[16:19], s[0:1], 0x0
	s_load_b64 s[24:25], s[0:1], 0x10
	s_load_b32 s8, s[0:1], 0x98
	s_load_b64 s[34:35], s[0:1], 0x28
	s_load_b128 s[4:7], s[0:1], 0x68
	v_mov_b32_e32 v45, s3
	v_ashrrev_i32_e32 v14, 31, v13
	v_lshlrev_b32_e32 v9, 3, v18
	s_mul_i32 s37, s37, s10
	s_xor_b32 exec_lo, exec_lo, s21
	s_cbranch_execz .LBB393_373
; %bb.8:
	v_mul_u32_u24_e32 v11, 60, v1
	s_load_b64 s[0:1], s[0:1], 0x20
	v_bfe_u32 v45, v0, 2, 3
	v_mov_b32_e32 v2, 0
	s_ashr_i32 s3, s37, 31
	ds_load_2addr_b32 v[5:6], v11 offset1:1
	ds_load_2addr_b32 v[7:8], v11 offset0:2 offset1:3
	ds_load_2addr_b32 v[26:27], v11 offset0:4 offset1:5
	;; [unrolled: 1-line block ×5, first 2 shown]
	s_waitcnt lgkmcnt(0)
	s_load_b32 s4, s[4:5], 0x0
	v_lshlrev_b32_e32 v3, 4, v45
	v_lshlrev_b32_e32 v12, 1, v1
	v_add3_u32 v49, s36, v9, v45
	s_mov_b32 s10, 0
	v_mov_b32_e32 v51, v13
	s_add_u32 s0, s0, s37
	s_addc_u32 s1, s1, s3
	v_add_co_u32 v3, s0, s0, v3
	v_and_b32_e32 v16, 0xffff0000, v5
	v_lshlrev_b32_e32 v17, 16, v6
	v_and_b32_e32 v19, 0xffff0000, v6
	v_lshlrev_b32_e32 v22, 16, v8
	v_and_b32_e32 v23, 0xffff0000, v8
	v_xor_b32_e32 v8, 1, v10
	v_lshlrev_b32_e32 v15, 16, v5
	ds_load_2addr_b32 v[5:6], v11 offset0:12 offset1:13
	v_lshlrev_b32_e32 v20, 16, v7
	v_and_b32_e32 v21, 0xffff0000, v7
	ds_load_b32 v7, v11 offset:56
	s_lshl_b64 s[38:39], s[30:31], 2
	s_sub_i32 s5, 1, s33
	v_add_co_ci_u32_e64 v4, null, s1, 0, s0
	s_add_u32 s1, s28, s38
	s_addc_u32 s3, s29, s39
	v_lshlrev_b32_e32 v24, 16, v26
	v_and_b32_e32 v25, 0xffff0000, v26
	v_lshlrev_b32_e32 v26, 16, v27
	v_and_b32_e32 v27, 0xffff0000, v27
	;; [unrolled: 2-line block ×5, first 2 shown]
	s_waitcnt lgkmcnt(0)
	v_lshlrev_b32_e32 v40, 16, v5
	v_and_b32_e32 v41, 0xffff0000, v5
	v_xor_b32_e32 v5, 2, v10
	v_lshlrev_b32_e32 v42, 16, v6
	v_and_b32_e32 v43, 0xffff0000, v6
	v_lshlrev_b32_e32 v34, 16, v35
	v_and_b32_e32 v35, 0xffff0000, v35
	v_cmp_gt_i32_e32 vcc_lo, 32, v5
	v_lshlrev_b32_e32 v36, 16, v38
	v_and_b32_e32 v37, 0xffff0000, v38
	v_lshlrev_b32_e32 v38, 16, v39
	v_and_b32_e32 v39, 0xffff0000, v39
	v_cndmask_b32_e32 v5, v10, v5, vcc_lo
	v_cmp_gt_i32_e32 vcc_lo, 32, v8
	v_lshlrev_b32_e32 v44, 16, v7
	v_dual_mov_b32 v11, 32 :: v_dual_and_b32 v46, 0xffff0000, v7
	s_delay_alu instid0(VALU_DEP_4) | instskip(SKIP_3) | instid1(VALU_DEP_4)
	v_dual_cndmask_b32 v6, v10, v8 :: v_dual_lshlrev_b32 v47, 2, v5
	v_lshlrev_b32_e32 v5, 2, v45
	v_cmp_eq_u32_e32 vcc_lo, 0, v1
	v_cmp_neq_f32_e64 s0, s12, 0
	v_dual_mov_b32 v45, 0xff7fffff :: v_dual_lshlrev_b32 v48, 2, v6
	s_delay_alu instid0(VALU_DEP_4) | instskip(SKIP_2) | instid1(VALU_DEP_2)
	v_lshl_or_b32 v1, v18, 5, v5
	v_lshlrev_b64 v[5:6], 2, v[13:14]
	s_mov_b32 s38, s9
	v_add_nc_u32_e32 v50, 0x110, v1
	s_delay_alu instid0(VALU_DEP_2) | instskip(NEXT) | instid1(VALU_DEP_1)
	v_add_co_u32 v5, s1, s1, v5
	v_add_co_ci_u32_e64 v6, s1, s3, v6, s1
	s_branch .LBB393_10
.LBB393_9:                              ;   in Loop: Header=BB393_10 Depth=1
	s_or_b32 exec_lo, exec_lo, s3
	v_add_nc_u32_e32 v51, 4, v51
	v_add_co_u32 v5, s3, v5, 16
	v_add_nc_u32_e32 v49, 32, v49
	v_add_nc_u32_e32 v50, 0x80, v50
	s_delay_alu instid0(VALU_DEP_4) | instskip(SKIP_1) | instid1(VALU_DEP_2)
	v_cmp_le_i32_e64 s1, s23, v51
	v_add_co_ci_u32_e64 v6, s3, 0, v6, s3
	s_or_b32 s10, s1, s10
	s_delay_alu instid0(SALU_CYCLE_1)
	s_and_not1_b32 exec_lo, exec_lo, s10
	s_cbranch_execz .LBB393_372
.LBB393_10:                             ; =>This Inner Loop Header: Depth=1
	global_load_b32 v1, v[5:6], off
	s_mov_b32 s3, exec_lo
	s_waitcnt vmcnt(0) lgkmcnt(0)
	v_mad_i64_i32 v[7:8], null, v1, s38, v[3:4]
	s_delay_alu instid0(VALU_DEP_1) | instskip(NEXT) | instid1(VALU_DEP_1)
	v_add_co_u32 v7, s1, v7, v12
	v_add_co_ci_u32_e64 v8, s1, 0, v8, s1
	global_load_u16 v1, v[7:8], off
	s_waitcnt vmcnt(0)
	v_and_b32_e32 v52, 0xff, v1
	v_and_b32_e32 v53, 0xffff, v1
	v_mov_b32_e32 v1, 0
	s_delay_alu instid0(VALU_DEP_3)
	v_cmpx_ne_u16_e32 0, v52
	s_cbranch_execz .LBB393_18
; %bb.11:                               ;   in Loop: Header=BB393_10 Depth=1
	s_delay_alu instid0(VALU_DEP_3) | instskip(NEXT) | instid1(VALU_DEP_1)
	v_and_b32_e32 v1, 0xff, v53
	v_cmp_ne_u16_e64 s1, 0x80, v1
	v_bfrev_b32_e32 v1, 1
	s_delay_alu instid0(VALU_DEP_2)
	s_and_saveexec_b32 s39, s1
	s_cbranch_execz .LBB393_17
; %bb.12:                               ;   in Loop: Header=BB393_10 Depth=1
	v_and_b32_e32 v54, 0x7f, v53
	v_mov_b32_e32 v1, 0x7f800001
	s_mov_b32 s40, exec_lo
	s_delay_alu instid0(VALU_DEP_2)
	v_cmpx_ne_u32_e32 0x7f, v54
	s_cbranch_execz .LBB393_16
; %bb.13:                               ;   in Loop: Header=BB393_10 Depth=1
	v_and_b32_e32 v1, 7, v53
	v_lshrrev_b32_e32 v52, 3, v54
	s_mov_b32 s41, exec_lo
	v_cmpx_gt_u32_e32 8, v54
; %bb.14:                               ;   in Loop: Header=BB393_10 Depth=1
	s_delay_alu instid0(VALU_DEP_3) | instskip(NEXT) | instid1(VALU_DEP_1)
	v_clz_i32_u32_e32 v52, v1
	v_min_u32_e32 v52, 32, v52
	s_delay_alu instid0(VALU_DEP_1) | instskip(SKIP_1) | instid1(VALU_DEP_2)
	v_subrev_nc_u32_e32 v54, 28, v52
	v_sub_nc_u32_e32 v52, 29, v52
	v_lshlrev_b64 v[54:55], v54, v[1:2]
	s_delay_alu instid0(VALU_DEP_1)
	v_and_b32_e32 v1, 7, v54
; %bb.15:                               ;   in Loop: Header=BB393_10 Depth=1
	s_or_b32 exec_lo, exec_lo, s41
	v_lshlrev_b32_e32 v54, 24, v53
	s_delay_alu instid0(VALU_DEP_2) | instskip(SKIP_1) | instid1(VALU_DEP_3)
	v_lshlrev_b32_e32 v1, 20, v1
	v_lshl_add_u32 v52, v52, 23, 0x3c000000
	v_and_b32_e32 v54, 0x80000000, v54
	s_delay_alu instid0(VALU_DEP_1)
	v_or3_b32 v1, v1, v54, v52
.LBB393_16:                             ;   in Loop: Header=BB393_10 Depth=1
	s_or_b32 exec_lo, exec_lo, s40
.LBB393_17:                             ;   in Loop: Header=BB393_10 Depth=1
	s_delay_alu instid0(SALU_CYCLE_1)
	s_or_b32 exec_lo, exec_lo, s39
.LBB393_18:                             ;   in Loop: Header=BB393_10 Depth=1
	s_delay_alu instid0(SALU_CYCLE_1) | instskip(NEXT) | instid1(VALU_DEP_1)
	s_or_b32 exec_lo, exec_lo, s3
	v_mul_f32_e32 v1, s4, v1
	s_delay_alu instid0(VALU_DEP_1) | instskip(NEXT) | instid1(VALU_DEP_1)
	v_and_b32_e32 v52, 0x7f800000, v1
	v_cmp_ne_u32_e64 s1, 0x7f800000, v52
                                        ; implicit-def: $vgpr52
	s_delay_alu instid0(VALU_DEP_1) | instskip(NEXT) | instid1(SALU_CYCLE_1)
	s_and_saveexec_b32 s3, s1
	s_xor_b32 s1, exec_lo, s3
; %bb.19:                               ;   in Loop: Header=BB393_10 Depth=1
	v_bfe_u32 v52, v1, 16, 1
	s_delay_alu instid0(VALU_DEP_1)
	v_add3_u32 v52, v1, v52, 0x7fff
                                        ; implicit-def: $vgpr1
; %bb.20:                               ;   in Loop: Header=BB393_10 Depth=1
	s_and_not1_saveexec_b32 s3, s1
; %bb.21:                               ;   in Loop: Header=BB393_10 Depth=1
	v_and_b32_e32 v52, 0xffff, v1
	v_or_b32_e32 v54, 0x10000, v1
	s_delay_alu instid0(VALU_DEP_2) | instskip(NEXT) | instid1(VALU_DEP_1)
	v_cmp_eq_u32_e64 s1, 0, v52
	v_cndmask_b32_e64 v52, v54, v1, s1
; %bb.22:                               ;   in Loop: Header=BB393_10 Depth=1
	s_or_b32 exec_lo, exec_lo, s3
	v_lshrrev_b16 v54, 8, v53
	v_mov_b32_e32 v1, 0
	s_mov_b32 s3, exec_lo
	s_delay_alu instid0(VALU_DEP_2)
	v_cmpx_ne_u16_e32 0, v54
	s_cbranch_execz .LBB393_30
; %bb.23:                               ;   in Loop: Header=BB393_10 Depth=1
	v_bfrev_b32_e32 v1, 1
	s_mov_b32 s39, exec_lo
	v_cmpx_ne_u16_e32 0x80, v54
	s_cbranch_execz .LBB393_29
; %bb.24:                               ;   in Loop: Header=BB393_10 Depth=1
	v_and_b32_e32 v54, 0xffff, v54
	v_mov_b32_e32 v1, 0x7f800001
	s_mov_b32 s40, exec_lo
	s_delay_alu instid0(VALU_DEP_2) | instskip(NEXT) | instid1(VALU_DEP_1)
	v_and_b32_e32 v55, 0x7f, v54
	v_cmpx_ne_u32_e32 0x7f, v55
	s_cbranch_execz .LBB393_28
; %bb.25:                               ;   in Loop: Header=BB393_10 Depth=1
	v_and_b32_e32 v1, 7, v54
	v_lshrrev_b32_e32 v54, 3, v55
	s_mov_b32 s41, exec_lo
	v_cmpx_gt_u32_e32 8, v55
; %bb.26:                               ;   in Loop: Header=BB393_10 Depth=1
	s_delay_alu instid0(VALU_DEP_3) | instskip(NEXT) | instid1(VALU_DEP_1)
	v_clz_i32_u32_e32 v54, v1
	v_min_u32_e32 v54, 32, v54
	s_delay_alu instid0(VALU_DEP_1) | instskip(SKIP_1) | instid1(VALU_DEP_2)
	v_subrev_nc_u32_e32 v55, 28, v54
	v_sub_nc_u32_e32 v54, 29, v54
	v_lshlrev_b64 v[55:56], v55, v[1:2]
	s_delay_alu instid0(VALU_DEP_1)
	v_and_b32_e32 v1, 7, v55
; %bb.27:                               ;   in Loop: Header=BB393_10 Depth=1
	s_or_b32 exec_lo, exec_lo, s41
	v_lshlrev_b32_e32 v53, 16, v53
	s_delay_alu instid0(VALU_DEP_2) | instskip(SKIP_1) | instid1(VALU_DEP_3)
	v_lshlrev_b32_e32 v1, 20, v1
	v_lshl_add_u32 v54, v54, 23, 0x3c000000
	v_and_b32_e32 v53, 0x80000000, v53
	s_delay_alu instid0(VALU_DEP_1)
	v_or3_b32 v1, v1, v53, v54
.LBB393_28:                             ;   in Loop: Header=BB393_10 Depth=1
	s_or_b32 exec_lo, exec_lo, s40
.LBB393_29:                             ;   in Loop: Header=BB393_10 Depth=1
	s_delay_alu instid0(SALU_CYCLE_1)
	s_or_b32 exec_lo, exec_lo, s39
.LBB393_30:                             ;   in Loop: Header=BB393_10 Depth=1
	s_delay_alu instid0(SALU_CYCLE_1) | instskip(NEXT) | instid1(VALU_DEP_1)
	s_or_b32 exec_lo, exec_lo, s3
	v_mul_f32_e32 v1, s4, v1
	s_delay_alu instid0(VALU_DEP_1) | instskip(NEXT) | instid1(VALU_DEP_1)
	v_and_b32_e32 v53, 0x7f800000, v1
	v_cmp_ne_u32_e64 s1, 0x7f800000, v53
                                        ; implicit-def: $vgpr53
	s_delay_alu instid0(VALU_DEP_1) | instskip(NEXT) | instid1(SALU_CYCLE_1)
	s_and_saveexec_b32 s3, s1
	s_xor_b32 s1, exec_lo, s3
; %bb.31:                               ;   in Loop: Header=BB393_10 Depth=1
	v_bfe_u32 v53, v1, 16, 1
	s_delay_alu instid0(VALU_DEP_1)
	v_add3_u32 v53, v1, v53, 0x7fff
                                        ; implicit-def: $vgpr1
; %bb.32:                               ;   in Loop: Header=BB393_10 Depth=1
	s_and_not1_saveexec_b32 s3, s1
; %bb.33:                               ;   in Loop: Header=BB393_10 Depth=1
	v_and_b32_e32 v53, 0xffff, v1
	v_or_b32_e32 v54, 0x10000, v1
	s_delay_alu instid0(VALU_DEP_2) | instskip(NEXT) | instid1(VALU_DEP_1)
	v_cmp_eq_u32_e64 s1, 0, v53
	v_cndmask_b32_e64 v53, v54, v1, s1
; %bb.34:                               ;   in Loop: Header=BB393_10 Depth=1
	s_or_b32 exec_lo, exec_lo, s3
	global_load_u16 v1, v[7:8], off offset:8
	s_mov_b32 s3, exec_lo
	s_waitcnt vmcnt(0)
	v_and_b32_e32 v54, 0xff, v1
	v_and_b32_e32 v55, 0xffff, v1
	v_mov_b32_e32 v1, 0
	s_delay_alu instid0(VALU_DEP_3)
	v_cmpx_ne_u16_e32 0, v54
	s_cbranch_execz .LBB393_42
; %bb.35:                               ;   in Loop: Header=BB393_10 Depth=1
	s_delay_alu instid0(VALU_DEP_3) | instskip(NEXT) | instid1(VALU_DEP_1)
	v_and_b32_e32 v1, 0xff, v55
	v_cmp_ne_u16_e64 s1, 0x80, v1
	v_bfrev_b32_e32 v1, 1
	s_delay_alu instid0(VALU_DEP_2)
	s_and_saveexec_b32 s39, s1
	s_cbranch_execz .LBB393_41
; %bb.36:                               ;   in Loop: Header=BB393_10 Depth=1
	v_and_b32_e32 v56, 0x7f, v55
	v_mov_b32_e32 v1, 0x7f800001
	s_mov_b32 s40, exec_lo
	s_delay_alu instid0(VALU_DEP_2)
	v_cmpx_ne_u32_e32 0x7f, v56
	s_cbranch_execz .LBB393_40
; %bb.37:                               ;   in Loop: Header=BB393_10 Depth=1
	v_and_b32_e32 v1, 7, v55
	v_lshrrev_b32_e32 v54, 3, v56
	s_mov_b32 s41, exec_lo
	v_cmpx_gt_u32_e32 8, v56
; %bb.38:                               ;   in Loop: Header=BB393_10 Depth=1
	s_delay_alu instid0(VALU_DEP_3) | instskip(NEXT) | instid1(VALU_DEP_1)
	v_clz_i32_u32_e32 v54, v1
	v_min_u32_e32 v54, 32, v54
	s_delay_alu instid0(VALU_DEP_1) | instskip(SKIP_1) | instid1(VALU_DEP_2)
	v_subrev_nc_u32_e32 v56, 28, v54
	v_sub_nc_u32_e32 v54, 29, v54
	v_lshlrev_b64 v[56:57], v56, v[1:2]
	s_delay_alu instid0(VALU_DEP_1)
	v_and_b32_e32 v1, 7, v56
; %bb.39:                               ;   in Loop: Header=BB393_10 Depth=1
	s_or_b32 exec_lo, exec_lo, s41
	v_lshlrev_b32_e32 v56, 24, v55
	s_delay_alu instid0(VALU_DEP_2) | instskip(SKIP_1) | instid1(VALU_DEP_3)
	v_lshlrev_b32_e32 v1, 20, v1
	v_lshl_add_u32 v54, v54, 23, 0x3c000000
	v_and_b32_e32 v56, 0x80000000, v56
	s_delay_alu instid0(VALU_DEP_1)
	v_or3_b32 v1, v1, v56, v54
.LBB393_40:                             ;   in Loop: Header=BB393_10 Depth=1
	s_or_b32 exec_lo, exec_lo, s40
.LBB393_41:                             ;   in Loop: Header=BB393_10 Depth=1
	s_delay_alu instid0(SALU_CYCLE_1)
	s_or_b32 exec_lo, exec_lo, s39
.LBB393_42:                             ;   in Loop: Header=BB393_10 Depth=1
	s_delay_alu instid0(SALU_CYCLE_1) | instskip(NEXT) | instid1(VALU_DEP_1)
	s_or_b32 exec_lo, exec_lo, s3
	v_mul_f32_e32 v1, s4, v1
	s_delay_alu instid0(VALU_DEP_1) | instskip(NEXT) | instid1(VALU_DEP_1)
	v_and_b32_e32 v54, 0x7f800000, v1
	v_cmp_ne_u32_e64 s1, 0x7f800000, v54
                                        ; implicit-def: $vgpr54
	s_delay_alu instid0(VALU_DEP_1) | instskip(NEXT) | instid1(SALU_CYCLE_1)
	s_and_saveexec_b32 s3, s1
	s_xor_b32 s1, exec_lo, s3
; %bb.43:                               ;   in Loop: Header=BB393_10 Depth=1
	v_bfe_u32 v54, v1, 16, 1
	s_delay_alu instid0(VALU_DEP_1)
	v_add3_u32 v54, v1, v54, 0x7fff
                                        ; implicit-def: $vgpr1
; %bb.44:                               ;   in Loop: Header=BB393_10 Depth=1
	s_and_not1_saveexec_b32 s3, s1
; %bb.45:                               ;   in Loop: Header=BB393_10 Depth=1
	v_and_b32_e32 v54, 0xffff, v1
	v_or_b32_e32 v56, 0x10000, v1
	s_delay_alu instid0(VALU_DEP_2) | instskip(NEXT) | instid1(VALU_DEP_1)
	v_cmp_eq_u32_e64 s1, 0, v54
	v_cndmask_b32_e64 v54, v56, v1, s1
; %bb.46:                               ;   in Loop: Header=BB393_10 Depth=1
	s_or_b32 exec_lo, exec_lo, s3
	v_lshrrev_b16 v56, 8, v55
	v_mov_b32_e32 v1, 0
	s_mov_b32 s3, exec_lo
	s_delay_alu instid0(VALU_DEP_2)
	v_cmpx_ne_u16_e32 0, v56
	s_cbranch_execz .LBB393_54
; %bb.47:                               ;   in Loop: Header=BB393_10 Depth=1
	v_bfrev_b32_e32 v1, 1
	s_mov_b32 s39, exec_lo
	v_cmpx_ne_u16_e32 0x80, v56
	s_cbranch_execz .LBB393_53
; %bb.48:                               ;   in Loop: Header=BB393_10 Depth=1
	v_and_b32_e32 v56, 0xffff, v56
	v_mov_b32_e32 v1, 0x7f800001
	s_mov_b32 s40, exec_lo
	s_delay_alu instid0(VALU_DEP_2) | instskip(NEXT) | instid1(VALU_DEP_1)
	v_and_b32_e32 v57, 0x7f, v56
	v_cmpx_ne_u32_e32 0x7f, v57
	s_cbranch_execz .LBB393_52
; %bb.49:                               ;   in Loop: Header=BB393_10 Depth=1
	v_and_b32_e32 v1, 7, v56
	v_lshrrev_b32_e32 v56, 3, v57
	s_mov_b32 s41, exec_lo
	v_cmpx_gt_u32_e32 8, v57
; %bb.50:                               ;   in Loop: Header=BB393_10 Depth=1
	s_delay_alu instid0(VALU_DEP_3) | instskip(NEXT) | instid1(VALU_DEP_1)
	v_clz_i32_u32_e32 v56, v1
	v_min_u32_e32 v56, 32, v56
	s_delay_alu instid0(VALU_DEP_1) | instskip(SKIP_1) | instid1(VALU_DEP_2)
	v_subrev_nc_u32_e32 v57, 28, v56
	v_sub_nc_u32_e32 v56, 29, v56
	v_lshlrev_b64 v[57:58], v57, v[1:2]
	s_delay_alu instid0(VALU_DEP_1)
	v_and_b32_e32 v1, 7, v57
; %bb.51:                               ;   in Loop: Header=BB393_10 Depth=1
	s_or_b32 exec_lo, exec_lo, s41
	v_lshlrev_b32_e32 v55, 16, v55
	s_delay_alu instid0(VALU_DEP_2) | instskip(SKIP_1) | instid1(VALU_DEP_3)
	v_lshlrev_b32_e32 v1, 20, v1
	v_lshl_add_u32 v56, v56, 23, 0x3c000000
	v_and_b32_e32 v55, 0x80000000, v55
	s_delay_alu instid0(VALU_DEP_1)
	v_or3_b32 v1, v1, v55, v56
.LBB393_52:                             ;   in Loop: Header=BB393_10 Depth=1
	s_or_b32 exec_lo, exec_lo, s40
.LBB393_53:                             ;   in Loop: Header=BB393_10 Depth=1
	s_delay_alu instid0(SALU_CYCLE_1)
	s_or_b32 exec_lo, exec_lo, s39
.LBB393_54:                             ;   in Loop: Header=BB393_10 Depth=1
	s_delay_alu instid0(SALU_CYCLE_1) | instskip(NEXT) | instid1(VALU_DEP_1)
	s_or_b32 exec_lo, exec_lo, s3
	v_mul_f32_e32 v1, s4, v1
	s_delay_alu instid0(VALU_DEP_1) | instskip(NEXT) | instid1(VALU_DEP_1)
	v_and_b32_e32 v55, 0x7f800000, v1
	v_cmp_ne_u32_e64 s1, 0x7f800000, v55
                                        ; implicit-def: $vgpr55
	s_delay_alu instid0(VALU_DEP_1) | instskip(NEXT) | instid1(SALU_CYCLE_1)
	s_and_saveexec_b32 s3, s1
	s_xor_b32 s1, exec_lo, s3
; %bb.55:                               ;   in Loop: Header=BB393_10 Depth=1
	v_bfe_u32 v55, v1, 16, 1
	s_delay_alu instid0(VALU_DEP_1)
	v_add3_u32 v55, v1, v55, 0x7fff
                                        ; implicit-def: $vgpr1
; %bb.56:                               ;   in Loop: Header=BB393_10 Depth=1
	s_and_not1_saveexec_b32 s3, s1
; %bb.57:                               ;   in Loop: Header=BB393_10 Depth=1
	v_and_b32_e32 v55, 0xffff, v1
	v_or_b32_e32 v56, 0x10000, v1
	s_delay_alu instid0(VALU_DEP_2) | instskip(NEXT) | instid1(VALU_DEP_1)
	v_cmp_eq_u32_e64 s1, 0, v55
	v_cndmask_b32_e64 v55, v56, v1, s1
; %bb.58:                               ;   in Loop: Header=BB393_10 Depth=1
	s_or_b32 exec_lo, exec_lo, s3
	global_load_u16 v1, v[7:8], off offset:128
	s_mov_b32 s3, exec_lo
	s_waitcnt vmcnt(0)
	v_and_b32_e32 v56, 0xff, v1
	v_and_b32_e32 v57, 0xffff, v1
	v_mov_b32_e32 v1, 0
	s_delay_alu instid0(VALU_DEP_3)
	v_cmpx_ne_u16_e32 0, v56
	s_cbranch_execz .LBB393_66
; %bb.59:                               ;   in Loop: Header=BB393_10 Depth=1
	s_delay_alu instid0(VALU_DEP_3) | instskip(NEXT) | instid1(VALU_DEP_1)
	v_and_b32_e32 v1, 0xff, v57
	v_cmp_ne_u16_e64 s1, 0x80, v1
	v_bfrev_b32_e32 v1, 1
	s_delay_alu instid0(VALU_DEP_2)
	s_and_saveexec_b32 s39, s1
	s_cbranch_execz .LBB393_65
; %bb.60:                               ;   in Loop: Header=BB393_10 Depth=1
	v_and_b32_e32 v58, 0x7f, v57
	v_mov_b32_e32 v1, 0x7f800001
	s_mov_b32 s40, exec_lo
	s_delay_alu instid0(VALU_DEP_2)
	v_cmpx_ne_u32_e32 0x7f, v58
	s_cbranch_execz .LBB393_64
; %bb.61:                               ;   in Loop: Header=BB393_10 Depth=1
	v_and_b32_e32 v1, 7, v57
	v_lshrrev_b32_e32 v56, 3, v58
	s_mov_b32 s41, exec_lo
	v_cmpx_gt_u32_e32 8, v58
; %bb.62:                               ;   in Loop: Header=BB393_10 Depth=1
	s_delay_alu instid0(VALU_DEP_3) | instskip(NEXT) | instid1(VALU_DEP_1)
	v_clz_i32_u32_e32 v56, v1
	v_min_u32_e32 v56, 32, v56
	s_delay_alu instid0(VALU_DEP_1) | instskip(SKIP_1) | instid1(VALU_DEP_2)
	v_subrev_nc_u32_e32 v58, 28, v56
	v_sub_nc_u32_e32 v56, 29, v56
	v_lshlrev_b64 v[58:59], v58, v[1:2]
	s_delay_alu instid0(VALU_DEP_1)
	v_and_b32_e32 v1, 7, v58
; %bb.63:                               ;   in Loop: Header=BB393_10 Depth=1
	s_or_b32 exec_lo, exec_lo, s41
	v_lshlrev_b32_e32 v58, 24, v57
	s_delay_alu instid0(VALU_DEP_2) | instskip(SKIP_1) | instid1(VALU_DEP_3)
	v_lshlrev_b32_e32 v1, 20, v1
	v_lshl_add_u32 v56, v56, 23, 0x3c000000
	v_and_b32_e32 v58, 0x80000000, v58
	s_delay_alu instid0(VALU_DEP_1)
	v_or3_b32 v1, v1, v58, v56
.LBB393_64:                             ;   in Loop: Header=BB393_10 Depth=1
	s_or_b32 exec_lo, exec_lo, s40
.LBB393_65:                             ;   in Loop: Header=BB393_10 Depth=1
	s_delay_alu instid0(SALU_CYCLE_1)
	s_or_b32 exec_lo, exec_lo, s39
.LBB393_66:                             ;   in Loop: Header=BB393_10 Depth=1
	s_delay_alu instid0(SALU_CYCLE_1) | instskip(NEXT) | instid1(VALU_DEP_1)
	s_or_b32 exec_lo, exec_lo, s3
	v_mul_f32_e32 v1, s4, v1
	s_delay_alu instid0(VALU_DEP_1) | instskip(NEXT) | instid1(VALU_DEP_1)
	v_and_b32_e32 v56, 0x7f800000, v1
	v_cmp_ne_u32_e64 s1, 0x7f800000, v56
                                        ; implicit-def: $vgpr56
	s_delay_alu instid0(VALU_DEP_1) | instskip(NEXT) | instid1(SALU_CYCLE_1)
	s_and_saveexec_b32 s3, s1
	s_xor_b32 s1, exec_lo, s3
; %bb.67:                               ;   in Loop: Header=BB393_10 Depth=1
	v_bfe_u32 v56, v1, 16, 1
	s_delay_alu instid0(VALU_DEP_1)
	v_add3_u32 v56, v1, v56, 0x7fff
                                        ; implicit-def: $vgpr1
; %bb.68:                               ;   in Loop: Header=BB393_10 Depth=1
	s_and_not1_saveexec_b32 s3, s1
; %bb.69:                               ;   in Loop: Header=BB393_10 Depth=1
	v_and_b32_e32 v56, 0xffff, v1
	v_or_b32_e32 v58, 0x10000, v1
	s_delay_alu instid0(VALU_DEP_2) | instskip(NEXT) | instid1(VALU_DEP_1)
	v_cmp_eq_u32_e64 s1, 0, v56
	v_cndmask_b32_e64 v56, v58, v1, s1
; %bb.70:                               ;   in Loop: Header=BB393_10 Depth=1
	s_or_b32 exec_lo, exec_lo, s3
	v_lshrrev_b16 v58, 8, v57
	v_mov_b32_e32 v1, 0
	s_mov_b32 s3, exec_lo
	s_delay_alu instid0(VALU_DEP_2)
	v_cmpx_ne_u16_e32 0, v58
	s_cbranch_execz .LBB393_78
; %bb.71:                               ;   in Loop: Header=BB393_10 Depth=1
	v_bfrev_b32_e32 v1, 1
	s_mov_b32 s39, exec_lo
	v_cmpx_ne_u16_e32 0x80, v58
	s_cbranch_execz .LBB393_77
; %bb.72:                               ;   in Loop: Header=BB393_10 Depth=1
	v_and_b32_e32 v58, 0xffff, v58
	v_mov_b32_e32 v1, 0x7f800001
	s_mov_b32 s40, exec_lo
	s_delay_alu instid0(VALU_DEP_2) | instskip(NEXT) | instid1(VALU_DEP_1)
	v_and_b32_e32 v59, 0x7f, v58
	v_cmpx_ne_u32_e32 0x7f, v59
	s_cbranch_execz .LBB393_76
; %bb.73:                               ;   in Loop: Header=BB393_10 Depth=1
	v_and_b32_e32 v1, 7, v58
	v_lshrrev_b32_e32 v58, 3, v59
	s_mov_b32 s41, exec_lo
	v_cmpx_gt_u32_e32 8, v59
; %bb.74:                               ;   in Loop: Header=BB393_10 Depth=1
	s_delay_alu instid0(VALU_DEP_3) | instskip(NEXT) | instid1(VALU_DEP_1)
	v_clz_i32_u32_e32 v58, v1
	v_min_u32_e32 v58, 32, v58
	s_delay_alu instid0(VALU_DEP_1) | instskip(SKIP_1) | instid1(VALU_DEP_2)
	v_subrev_nc_u32_e32 v59, 28, v58
	v_sub_nc_u32_e32 v58, 29, v58
	v_lshlrev_b64 v[59:60], v59, v[1:2]
	s_delay_alu instid0(VALU_DEP_1)
	v_and_b32_e32 v1, 7, v59
; %bb.75:                               ;   in Loop: Header=BB393_10 Depth=1
	s_or_b32 exec_lo, exec_lo, s41
	v_lshlrev_b32_e32 v57, 16, v57
	s_delay_alu instid0(VALU_DEP_2) | instskip(SKIP_1) | instid1(VALU_DEP_3)
	v_lshlrev_b32_e32 v1, 20, v1
	v_lshl_add_u32 v58, v58, 23, 0x3c000000
	v_and_b32_e32 v57, 0x80000000, v57
	s_delay_alu instid0(VALU_DEP_1)
	v_or3_b32 v1, v1, v57, v58
.LBB393_76:                             ;   in Loop: Header=BB393_10 Depth=1
	s_or_b32 exec_lo, exec_lo, s40
.LBB393_77:                             ;   in Loop: Header=BB393_10 Depth=1
	s_delay_alu instid0(SALU_CYCLE_1)
	s_or_b32 exec_lo, exec_lo, s39
.LBB393_78:                             ;   in Loop: Header=BB393_10 Depth=1
	s_delay_alu instid0(SALU_CYCLE_1) | instskip(NEXT) | instid1(VALU_DEP_1)
	s_or_b32 exec_lo, exec_lo, s3
	v_mul_f32_e32 v1, s4, v1
	s_delay_alu instid0(VALU_DEP_1) | instskip(NEXT) | instid1(VALU_DEP_1)
	v_and_b32_e32 v57, 0x7f800000, v1
	v_cmp_ne_u32_e64 s1, 0x7f800000, v57
                                        ; implicit-def: $vgpr57
	s_delay_alu instid0(VALU_DEP_1) | instskip(NEXT) | instid1(SALU_CYCLE_1)
	s_and_saveexec_b32 s3, s1
	s_xor_b32 s1, exec_lo, s3
; %bb.79:                               ;   in Loop: Header=BB393_10 Depth=1
	v_bfe_u32 v57, v1, 16, 1
	s_delay_alu instid0(VALU_DEP_1)
	v_add3_u32 v57, v1, v57, 0x7fff
                                        ; implicit-def: $vgpr1
; %bb.80:                               ;   in Loop: Header=BB393_10 Depth=1
	s_and_not1_saveexec_b32 s3, s1
; %bb.81:                               ;   in Loop: Header=BB393_10 Depth=1
	v_and_b32_e32 v57, 0xffff, v1
	v_or_b32_e32 v58, 0x10000, v1
	s_delay_alu instid0(VALU_DEP_2) | instskip(NEXT) | instid1(VALU_DEP_1)
	v_cmp_eq_u32_e64 s1, 0, v57
	v_cndmask_b32_e64 v57, v58, v1, s1
; %bb.82:                               ;   in Loop: Header=BB393_10 Depth=1
	s_or_b32 exec_lo, exec_lo, s3
	global_load_u16 v1, v[7:8], off offset:136
	s_mov_b32 s3, exec_lo
	s_waitcnt vmcnt(0)
	v_and_b32_e32 v58, 0xff, v1
	v_and_b32_e32 v59, 0xffff, v1
	v_mov_b32_e32 v1, 0
	s_delay_alu instid0(VALU_DEP_3)
	v_cmpx_ne_u16_e32 0, v58
	s_cbranch_execz .LBB393_90
; %bb.83:                               ;   in Loop: Header=BB393_10 Depth=1
	s_delay_alu instid0(VALU_DEP_3) | instskip(NEXT) | instid1(VALU_DEP_1)
	v_and_b32_e32 v1, 0xff, v59
	v_cmp_ne_u16_e64 s1, 0x80, v1
	v_bfrev_b32_e32 v1, 1
	s_delay_alu instid0(VALU_DEP_2)
	s_and_saveexec_b32 s39, s1
	s_cbranch_execz .LBB393_89
; %bb.84:                               ;   in Loop: Header=BB393_10 Depth=1
	v_and_b32_e32 v60, 0x7f, v59
	v_mov_b32_e32 v1, 0x7f800001
	s_mov_b32 s40, exec_lo
	s_delay_alu instid0(VALU_DEP_2)
	v_cmpx_ne_u32_e32 0x7f, v60
	s_cbranch_execz .LBB393_88
; %bb.85:                               ;   in Loop: Header=BB393_10 Depth=1
	v_and_b32_e32 v1, 7, v59
	v_lshrrev_b32_e32 v58, 3, v60
	s_mov_b32 s41, exec_lo
	v_cmpx_gt_u32_e32 8, v60
; %bb.86:                               ;   in Loop: Header=BB393_10 Depth=1
	s_delay_alu instid0(VALU_DEP_3) | instskip(NEXT) | instid1(VALU_DEP_1)
	v_clz_i32_u32_e32 v58, v1
	v_min_u32_e32 v58, 32, v58
	s_delay_alu instid0(VALU_DEP_1) | instskip(SKIP_1) | instid1(VALU_DEP_2)
	v_subrev_nc_u32_e32 v60, 28, v58
	v_sub_nc_u32_e32 v58, 29, v58
	v_lshlrev_b64 v[60:61], v60, v[1:2]
	s_delay_alu instid0(VALU_DEP_1)
	v_and_b32_e32 v1, 7, v60
; %bb.87:                               ;   in Loop: Header=BB393_10 Depth=1
	s_or_b32 exec_lo, exec_lo, s41
	v_lshlrev_b32_e32 v60, 24, v59
	s_delay_alu instid0(VALU_DEP_2) | instskip(SKIP_1) | instid1(VALU_DEP_3)
	v_lshlrev_b32_e32 v1, 20, v1
	v_lshl_add_u32 v58, v58, 23, 0x3c000000
	v_and_b32_e32 v60, 0x80000000, v60
	s_delay_alu instid0(VALU_DEP_1)
	v_or3_b32 v1, v1, v60, v58
.LBB393_88:                             ;   in Loop: Header=BB393_10 Depth=1
	s_or_b32 exec_lo, exec_lo, s40
.LBB393_89:                             ;   in Loop: Header=BB393_10 Depth=1
	s_delay_alu instid0(SALU_CYCLE_1)
	s_or_b32 exec_lo, exec_lo, s39
.LBB393_90:                             ;   in Loop: Header=BB393_10 Depth=1
	s_delay_alu instid0(SALU_CYCLE_1) | instskip(NEXT) | instid1(VALU_DEP_1)
	s_or_b32 exec_lo, exec_lo, s3
	v_mul_f32_e32 v1, s4, v1
	s_delay_alu instid0(VALU_DEP_1) | instskip(NEXT) | instid1(VALU_DEP_1)
	v_and_b32_e32 v58, 0x7f800000, v1
	v_cmp_ne_u32_e64 s1, 0x7f800000, v58
                                        ; implicit-def: $vgpr58
	s_delay_alu instid0(VALU_DEP_1) | instskip(NEXT) | instid1(SALU_CYCLE_1)
	s_and_saveexec_b32 s3, s1
	s_xor_b32 s1, exec_lo, s3
; %bb.91:                               ;   in Loop: Header=BB393_10 Depth=1
	v_bfe_u32 v58, v1, 16, 1
	s_delay_alu instid0(VALU_DEP_1)
	v_add3_u32 v58, v1, v58, 0x7fff
                                        ; implicit-def: $vgpr1
; %bb.92:                               ;   in Loop: Header=BB393_10 Depth=1
	s_and_not1_saveexec_b32 s3, s1
; %bb.93:                               ;   in Loop: Header=BB393_10 Depth=1
	v_and_b32_e32 v58, 0xffff, v1
	v_or_b32_e32 v60, 0x10000, v1
	s_delay_alu instid0(VALU_DEP_2) | instskip(NEXT) | instid1(VALU_DEP_1)
	v_cmp_eq_u32_e64 s1, 0, v58
	v_cndmask_b32_e64 v58, v60, v1, s1
; %bb.94:                               ;   in Loop: Header=BB393_10 Depth=1
	s_or_b32 exec_lo, exec_lo, s3
	v_lshrrev_b16 v60, 8, v59
	v_mov_b32_e32 v1, 0
	s_mov_b32 s3, exec_lo
	s_delay_alu instid0(VALU_DEP_2)
	v_cmpx_ne_u16_e32 0, v60
	s_cbranch_execz .LBB393_102
; %bb.95:                               ;   in Loop: Header=BB393_10 Depth=1
	v_bfrev_b32_e32 v1, 1
	s_mov_b32 s39, exec_lo
	v_cmpx_ne_u16_e32 0x80, v60
	s_cbranch_execz .LBB393_101
; %bb.96:                               ;   in Loop: Header=BB393_10 Depth=1
	v_and_b32_e32 v60, 0xffff, v60
	v_mov_b32_e32 v1, 0x7f800001
	s_mov_b32 s40, exec_lo
	s_delay_alu instid0(VALU_DEP_2) | instskip(NEXT) | instid1(VALU_DEP_1)
	v_and_b32_e32 v61, 0x7f, v60
	v_cmpx_ne_u32_e32 0x7f, v61
	s_cbranch_execz .LBB393_100
; %bb.97:                               ;   in Loop: Header=BB393_10 Depth=1
	v_and_b32_e32 v1, 7, v60
	v_lshrrev_b32_e32 v60, 3, v61
	s_mov_b32 s41, exec_lo
	v_cmpx_gt_u32_e32 8, v61
; %bb.98:                               ;   in Loop: Header=BB393_10 Depth=1
	s_delay_alu instid0(VALU_DEP_3) | instskip(NEXT) | instid1(VALU_DEP_1)
	v_clz_i32_u32_e32 v60, v1
	v_min_u32_e32 v60, 32, v60
	s_delay_alu instid0(VALU_DEP_1) | instskip(SKIP_1) | instid1(VALU_DEP_2)
	v_subrev_nc_u32_e32 v61, 28, v60
	v_sub_nc_u32_e32 v60, 29, v60
	v_lshlrev_b64 v[61:62], v61, v[1:2]
	s_delay_alu instid0(VALU_DEP_1)
	v_and_b32_e32 v1, 7, v61
; %bb.99:                               ;   in Loop: Header=BB393_10 Depth=1
	s_or_b32 exec_lo, exec_lo, s41
	v_lshlrev_b32_e32 v59, 16, v59
	s_delay_alu instid0(VALU_DEP_2) | instskip(SKIP_1) | instid1(VALU_DEP_3)
	v_lshlrev_b32_e32 v1, 20, v1
	v_lshl_add_u32 v60, v60, 23, 0x3c000000
	v_and_b32_e32 v59, 0x80000000, v59
	s_delay_alu instid0(VALU_DEP_1)
	v_or3_b32 v1, v1, v59, v60
.LBB393_100:                            ;   in Loop: Header=BB393_10 Depth=1
	s_or_b32 exec_lo, exec_lo, s40
.LBB393_101:                            ;   in Loop: Header=BB393_10 Depth=1
	s_delay_alu instid0(SALU_CYCLE_1)
	s_or_b32 exec_lo, exec_lo, s39
.LBB393_102:                            ;   in Loop: Header=BB393_10 Depth=1
	s_delay_alu instid0(SALU_CYCLE_1) | instskip(NEXT) | instid1(VALU_DEP_1)
	s_or_b32 exec_lo, exec_lo, s3
	v_mul_f32_e32 v1, s4, v1
	s_delay_alu instid0(VALU_DEP_1) | instskip(NEXT) | instid1(VALU_DEP_1)
	v_and_b32_e32 v59, 0x7f800000, v1
	v_cmp_ne_u32_e64 s1, 0x7f800000, v59
                                        ; implicit-def: $vgpr59
	s_delay_alu instid0(VALU_DEP_1) | instskip(NEXT) | instid1(SALU_CYCLE_1)
	s_and_saveexec_b32 s3, s1
	s_xor_b32 s1, exec_lo, s3
; %bb.103:                              ;   in Loop: Header=BB393_10 Depth=1
	v_bfe_u32 v59, v1, 16, 1
	s_delay_alu instid0(VALU_DEP_1)
	v_add3_u32 v59, v1, v59, 0x7fff
                                        ; implicit-def: $vgpr1
; %bb.104:                              ;   in Loop: Header=BB393_10 Depth=1
	s_and_not1_saveexec_b32 s3, s1
; %bb.105:                              ;   in Loop: Header=BB393_10 Depth=1
	v_and_b32_e32 v59, 0xffff, v1
	v_or_b32_e32 v60, 0x10000, v1
	s_delay_alu instid0(VALU_DEP_2) | instskip(NEXT) | instid1(VALU_DEP_1)
	v_cmp_eq_u32_e64 s1, 0, v59
	v_cndmask_b32_e64 v59, v60, v1, s1
; %bb.106:                              ;   in Loop: Header=BB393_10 Depth=1
	s_or_b32 exec_lo, exec_lo, s3
	global_load_u16 v1, v[7:8], off offset:256
	s_mov_b32 s3, exec_lo
	s_waitcnt vmcnt(0)
	v_and_b32_e32 v60, 0xff, v1
	v_and_b32_e32 v61, 0xffff, v1
	v_mov_b32_e32 v1, 0
	s_delay_alu instid0(VALU_DEP_3)
	v_cmpx_ne_u16_e32 0, v60
	s_cbranch_execz .LBB393_114
; %bb.107:                              ;   in Loop: Header=BB393_10 Depth=1
	s_delay_alu instid0(VALU_DEP_3) | instskip(NEXT) | instid1(VALU_DEP_1)
	v_and_b32_e32 v1, 0xff, v61
	v_cmp_ne_u16_e64 s1, 0x80, v1
	v_bfrev_b32_e32 v1, 1
	s_delay_alu instid0(VALU_DEP_2)
	s_and_saveexec_b32 s39, s1
	s_cbranch_execz .LBB393_113
; %bb.108:                              ;   in Loop: Header=BB393_10 Depth=1
	v_and_b32_e32 v62, 0x7f, v61
	v_mov_b32_e32 v1, 0x7f800001
	s_mov_b32 s40, exec_lo
	s_delay_alu instid0(VALU_DEP_2)
	v_cmpx_ne_u32_e32 0x7f, v62
	s_cbranch_execz .LBB393_112
; %bb.109:                              ;   in Loop: Header=BB393_10 Depth=1
	v_and_b32_e32 v1, 7, v61
	v_lshrrev_b32_e32 v60, 3, v62
	s_mov_b32 s41, exec_lo
	v_cmpx_gt_u32_e32 8, v62
; %bb.110:                              ;   in Loop: Header=BB393_10 Depth=1
	s_delay_alu instid0(VALU_DEP_3) | instskip(NEXT) | instid1(VALU_DEP_1)
	v_clz_i32_u32_e32 v60, v1
	v_min_u32_e32 v60, 32, v60
	s_delay_alu instid0(VALU_DEP_1) | instskip(SKIP_1) | instid1(VALU_DEP_2)
	v_subrev_nc_u32_e32 v62, 28, v60
	v_sub_nc_u32_e32 v60, 29, v60
	v_lshlrev_b64 v[62:63], v62, v[1:2]
	s_delay_alu instid0(VALU_DEP_1)
	v_and_b32_e32 v1, 7, v62
; %bb.111:                              ;   in Loop: Header=BB393_10 Depth=1
	s_or_b32 exec_lo, exec_lo, s41
	v_lshlrev_b32_e32 v62, 24, v61
	s_delay_alu instid0(VALU_DEP_2) | instskip(SKIP_1) | instid1(VALU_DEP_3)
	v_lshlrev_b32_e32 v1, 20, v1
	v_lshl_add_u32 v60, v60, 23, 0x3c000000
	v_and_b32_e32 v62, 0x80000000, v62
	s_delay_alu instid0(VALU_DEP_1)
	v_or3_b32 v1, v1, v62, v60
.LBB393_112:                            ;   in Loop: Header=BB393_10 Depth=1
	s_or_b32 exec_lo, exec_lo, s40
.LBB393_113:                            ;   in Loop: Header=BB393_10 Depth=1
	s_delay_alu instid0(SALU_CYCLE_1)
	s_or_b32 exec_lo, exec_lo, s39
.LBB393_114:                            ;   in Loop: Header=BB393_10 Depth=1
	s_delay_alu instid0(SALU_CYCLE_1) | instskip(NEXT) | instid1(VALU_DEP_1)
	s_or_b32 exec_lo, exec_lo, s3
	v_mul_f32_e32 v1, s4, v1
	s_delay_alu instid0(VALU_DEP_1) | instskip(NEXT) | instid1(VALU_DEP_1)
	v_and_b32_e32 v60, 0x7f800000, v1
	v_cmp_ne_u32_e64 s1, 0x7f800000, v60
                                        ; implicit-def: $vgpr60
	s_delay_alu instid0(VALU_DEP_1) | instskip(NEXT) | instid1(SALU_CYCLE_1)
	s_and_saveexec_b32 s3, s1
	s_xor_b32 s1, exec_lo, s3
; %bb.115:                              ;   in Loop: Header=BB393_10 Depth=1
	v_bfe_u32 v60, v1, 16, 1
	s_delay_alu instid0(VALU_DEP_1)
	v_add3_u32 v60, v1, v60, 0x7fff
                                        ; implicit-def: $vgpr1
; %bb.116:                              ;   in Loop: Header=BB393_10 Depth=1
	s_and_not1_saveexec_b32 s3, s1
; %bb.117:                              ;   in Loop: Header=BB393_10 Depth=1
	v_and_b32_e32 v60, 0xffff, v1
	v_or_b32_e32 v62, 0x10000, v1
	s_delay_alu instid0(VALU_DEP_2) | instskip(NEXT) | instid1(VALU_DEP_1)
	v_cmp_eq_u32_e64 s1, 0, v60
	v_cndmask_b32_e64 v60, v62, v1, s1
; %bb.118:                              ;   in Loop: Header=BB393_10 Depth=1
	s_or_b32 exec_lo, exec_lo, s3
	v_lshrrev_b16 v62, 8, v61
	v_mov_b32_e32 v1, 0
	s_mov_b32 s3, exec_lo
	s_delay_alu instid0(VALU_DEP_2)
	v_cmpx_ne_u16_e32 0, v62
	s_cbranch_execz .LBB393_126
; %bb.119:                              ;   in Loop: Header=BB393_10 Depth=1
	v_bfrev_b32_e32 v1, 1
	s_mov_b32 s39, exec_lo
	v_cmpx_ne_u16_e32 0x80, v62
	s_cbranch_execz .LBB393_125
; %bb.120:                              ;   in Loop: Header=BB393_10 Depth=1
	v_and_b32_e32 v62, 0xffff, v62
	v_mov_b32_e32 v1, 0x7f800001
	s_mov_b32 s40, exec_lo
	s_delay_alu instid0(VALU_DEP_2) | instskip(NEXT) | instid1(VALU_DEP_1)
	v_and_b32_e32 v63, 0x7f, v62
	v_cmpx_ne_u32_e32 0x7f, v63
	s_cbranch_execz .LBB393_124
; %bb.121:                              ;   in Loop: Header=BB393_10 Depth=1
	v_and_b32_e32 v1, 7, v62
	v_lshrrev_b32_e32 v62, 3, v63
	s_mov_b32 s41, exec_lo
	v_cmpx_gt_u32_e32 8, v63
; %bb.122:                              ;   in Loop: Header=BB393_10 Depth=1
	s_delay_alu instid0(VALU_DEP_3) | instskip(NEXT) | instid1(VALU_DEP_1)
	v_clz_i32_u32_e32 v62, v1
	v_min_u32_e32 v62, 32, v62
	s_delay_alu instid0(VALU_DEP_1) | instskip(SKIP_1) | instid1(VALU_DEP_2)
	v_subrev_nc_u32_e32 v63, 28, v62
	v_sub_nc_u32_e32 v62, 29, v62
	v_lshlrev_b64 v[63:64], v63, v[1:2]
	s_delay_alu instid0(VALU_DEP_1)
	v_and_b32_e32 v1, 7, v63
; %bb.123:                              ;   in Loop: Header=BB393_10 Depth=1
	s_or_b32 exec_lo, exec_lo, s41
	v_lshlrev_b32_e32 v61, 16, v61
	s_delay_alu instid0(VALU_DEP_2) | instskip(SKIP_1) | instid1(VALU_DEP_3)
	v_lshlrev_b32_e32 v1, 20, v1
	v_lshl_add_u32 v62, v62, 23, 0x3c000000
	v_and_b32_e32 v61, 0x80000000, v61
	s_delay_alu instid0(VALU_DEP_1)
	v_or3_b32 v1, v1, v61, v62
.LBB393_124:                            ;   in Loop: Header=BB393_10 Depth=1
	s_or_b32 exec_lo, exec_lo, s40
.LBB393_125:                            ;   in Loop: Header=BB393_10 Depth=1
	s_delay_alu instid0(SALU_CYCLE_1)
	s_or_b32 exec_lo, exec_lo, s39
.LBB393_126:                            ;   in Loop: Header=BB393_10 Depth=1
	s_delay_alu instid0(SALU_CYCLE_1) | instskip(NEXT) | instid1(VALU_DEP_1)
	s_or_b32 exec_lo, exec_lo, s3
	v_mul_f32_e32 v1, s4, v1
	s_delay_alu instid0(VALU_DEP_1) | instskip(NEXT) | instid1(VALU_DEP_1)
	v_and_b32_e32 v61, 0x7f800000, v1
	v_cmp_ne_u32_e64 s1, 0x7f800000, v61
                                        ; implicit-def: $vgpr61
	s_delay_alu instid0(VALU_DEP_1) | instskip(NEXT) | instid1(SALU_CYCLE_1)
	s_and_saveexec_b32 s3, s1
	s_xor_b32 s1, exec_lo, s3
; %bb.127:                              ;   in Loop: Header=BB393_10 Depth=1
	v_bfe_u32 v61, v1, 16, 1
	s_delay_alu instid0(VALU_DEP_1)
	v_add3_u32 v61, v1, v61, 0x7fff
                                        ; implicit-def: $vgpr1
; %bb.128:                              ;   in Loop: Header=BB393_10 Depth=1
	s_and_not1_saveexec_b32 s3, s1
; %bb.129:                              ;   in Loop: Header=BB393_10 Depth=1
	v_and_b32_e32 v61, 0xffff, v1
	v_or_b32_e32 v62, 0x10000, v1
	s_delay_alu instid0(VALU_DEP_2) | instskip(NEXT) | instid1(VALU_DEP_1)
	v_cmp_eq_u32_e64 s1, 0, v61
	v_cndmask_b32_e64 v61, v62, v1, s1
; %bb.130:                              ;   in Loop: Header=BB393_10 Depth=1
	s_or_b32 exec_lo, exec_lo, s3
	global_load_u16 v1, v[7:8], off offset:264
	s_mov_b32 s3, exec_lo
	s_waitcnt vmcnt(0)
	v_and_b32_e32 v62, 0xff, v1
	v_and_b32_e32 v63, 0xffff, v1
	v_mov_b32_e32 v1, 0
	s_delay_alu instid0(VALU_DEP_3)
	v_cmpx_ne_u16_e32 0, v62
	s_cbranch_execz .LBB393_138
; %bb.131:                              ;   in Loop: Header=BB393_10 Depth=1
	s_delay_alu instid0(VALU_DEP_3) | instskip(NEXT) | instid1(VALU_DEP_1)
	v_and_b32_e32 v1, 0xff, v63
	v_cmp_ne_u16_e64 s1, 0x80, v1
	v_bfrev_b32_e32 v1, 1
	s_delay_alu instid0(VALU_DEP_2)
	s_and_saveexec_b32 s39, s1
	s_cbranch_execz .LBB393_137
; %bb.132:                              ;   in Loop: Header=BB393_10 Depth=1
	v_and_b32_e32 v64, 0x7f, v63
	v_mov_b32_e32 v1, 0x7f800001
	s_mov_b32 s40, exec_lo
	s_delay_alu instid0(VALU_DEP_2)
	v_cmpx_ne_u32_e32 0x7f, v64
	s_cbranch_execz .LBB393_136
; %bb.133:                              ;   in Loop: Header=BB393_10 Depth=1
	v_and_b32_e32 v1, 7, v63
	v_lshrrev_b32_e32 v62, 3, v64
	s_mov_b32 s41, exec_lo
	v_cmpx_gt_u32_e32 8, v64
; %bb.134:                              ;   in Loop: Header=BB393_10 Depth=1
	s_delay_alu instid0(VALU_DEP_3) | instskip(NEXT) | instid1(VALU_DEP_1)
	v_clz_i32_u32_e32 v62, v1
	v_min_u32_e32 v62, 32, v62
	s_delay_alu instid0(VALU_DEP_1) | instskip(SKIP_1) | instid1(VALU_DEP_2)
	v_subrev_nc_u32_e32 v64, 28, v62
	v_sub_nc_u32_e32 v62, 29, v62
	v_lshlrev_b64 v[64:65], v64, v[1:2]
	s_delay_alu instid0(VALU_DEP_1)
	v_and_b32_e32 v1, 7, v64
; %bb.135:                              ;   in Loop: Header=BB393_10 Depth=1
	s_or_b32 exec_lo, exec_lo, s41
	v_lshlrev_b32_e32 v64, 24, v63
	s_delay_alu instid0(VALU_DEP_2) | instskip(SKIP_1) | instid1(VALU_DEP_3)
	v_lshlrev_b32_e32 v1, 20, v1
	v_lshl_add_u32 v62, v62, 23, 0x3c000000
	v_and_b32_e32 v64, 0x80000000, v64
	s_delay_alu instid0(VALU_DEP_1)
	v_or3_b32 v1, v1, v64, v62
.LBB393_136:                            ;   in Loop: Header=BB393_10 Depth=1
	s_or_b32 exec_lo, exec_lo, s40
.LBB393_137:                            ;   in Loop: Header=BB393_10 Depth=1
	s_delay_alu instid0(SALU_CYCLE_1)
	s_or_b32 exec_lo, exec_lo, s39
.LBB393_138:                            ;   in Loop: Header=BB393_10 Depth=1
	s_delay_alu instid0(SALU_CYCLE_1) | instskip(NEXT) | instid1(VALU_DEP_1)
	s_or_b32 exec_lo, exec_lo, s3
	v_mul_f32_e32 v1, s4, v1
	s_delay_alu instid0(VALU_DEP_1) | instskip(NEXT) | instid1(VALU_DEP_1)
	v_and_b32_e32 v62, 0x7f800000, v1
	v_cmp_ne_u32_e64 s1, 0x7f800000, v62
                                        ; implicit-def: $vgpr62
	s_delay_alu instid0(VALU_DEP_1) | instskip(NEXT) | instid1(SALU_CYCLE_1)
	s_and_saveexec_b32 s3, s1
	s_xor_b32 s1, exec_lo, s3
; %bb.139:                              ;   in Loop: Header=BB393_10 Depth=1
	v_bfe_u32 v62, v1, 16, 1
	s_delay_alu instid0(VALU_DEP_1)
	v_add3_u32 v62, v1, v62, 0x7fff
                                        ; implicit-def: $vgpr1
; %bb.140:                              ;   in Loop: Header=BB393_10 Depth=1
	s_and_not1_saveexec_b32 s3, s1
; %bb.141:                              ;   in Loop: Header=BB393_10 Depth=1
	v_and_b32_e32 v62, 0xffff, v1
	v_or_b32_e32 v64, 0x10000, v1
	s_delay_alu instid0(VALU_DEP_2) | instskip(NEXT) | instid1(VALU_DEP_1)
	v_cmp_eq_u32_e64 s1, 0, v62
	v_cndmask_b32_e64 v62, v64, v1, s1
; %bb.142:                              ;   in Loop: Header=BB393_10 Depth=1
	s_or_b32 exec_lo, exec_lo, s3
	v_lshrrev_b16 v64, 8, v63
	v_mov_b32_e32 v1, 0
	s_mov_b32 s3, exec_lo
	s_delay_alu instid0(VALU_DEP_2)
	v_cmpx_ne_u16_e32 0, v64
	s_cbranch_execz .LBB393_150
; %bb.143:                              ;   in Loop: Header=BB393_10 Depth=1
	v_bfrev_b32_e32 v1, 1
	s_mov_b32 s39, exec_lo
	v_cmpx_ne_u16_e32 0x80, v64
	s_cbranch_execz .LBB393_149
; %bb.144:                              ;   in Loop: Header=BB393_10 Depth=1
	v_and_b32_e32 v64, 0xffff, v64
	v_mov_b32_e32 v1, 0x7f800001
	s_mov_b32 s40, exec_lo
	s_delay_alu instid0(VALU_DEP_2) | instskip(NEXT) | instid1(VALU_DEP_1)
	v_and_b32_e32 v65, 0x7f, v64
	v_cmpx_ne_u32_e32 0x7f, v65
	s_cbranch_execz .LBB393_148
; %bb.145:                              ;   in Loop: Header=BB393_10 Depth=1
	v_and_b32_e32 v1, 7, v64
	v_lshrrev_b32_e32 v64, 3, v65
	s_mov_b32 s41, exec_lo
	v_cmpx_gt_u32_e32 8, v65
; %bb.146:                              ;   in Loop: Header=BB393_10 Depth=1
	s_delay_alu instid0(VALU_DEP_3) | instskip(NEXT) | instid1(VALU_DEP_1)
	v_clz_i32_u32_e32 v64, v1
	v_min_u32_e32 v64, 32, v64
	s_delay_alu instid0(VALU_DEP_1) | instskip(SKIP_1) | instid1(VALU_DEP_2)
	v_subrev_nc_u32_e32 v65, 28, v64
	v_sub_nc_u32_e32 v64, 29, v64
	v_lshlrev_b64 v[65:66], v65, v[1:2]
	s_delay_alu instid0(VALU_DEP_1)
	v_and_b32_e32 v1, 7, v65
; %bb.147:                              ;   in Loop: Header=BB393_10 Depth=1
	s_or_b32 exec_lo, exec_lo, s41
	v_lshlrev_b32_e32 v63, 16, v63
	s_delay_alu instid0(VALU_DEP_2) | instskip(SKIP_1) | instid1(VALU_DEP_3)
	v_lshlrev_b32_e32 v1, 20, v1
	v_lshl_add_u32 v64, v64, 23, 0x3c000000
	v_and_b32_e32 v63, 0x80000000, v63
	s_delay_alu instid0(VALU_DEP_1)
	v_or3_b32 v1, v1, v63, v64
.LBB393_148:                            ;   in Loop: Header=BB393_10 Depth=1
	s_or_b32 exec_lo, exec_lo, s40
.LBB393_149:                            ;   in Loop: Header=BB393_10 Depth=1
	s_delay_alu instid0(SALU_CYCLE_1)
	s_or_b32 exec_lo, exec_lo, s39
.LBB393_150:                            ;   in Loop: Header=BB393_10 Depth=1
	s_delay_alu instid0(SALU_CYCLE_1) | instskip(NEXT) | instid1(VALU_DEP_1)
	s_or_b32 exec_lo, exec_lo, s3
	v_mul_f32_e32 v1, s4, v1
	s_delay_alu instid0(VALU_DEP_1) | instskip(NEXT) | instid1(VALU_DEP_1)
	v_and_b32_e32 v63, 0x7f800000, v1
	v_cmp_ne_u32_e64 s1, 0x7f800000, v63
                                        ; implicit-def: $vgpr63
	s_delay_alu instid0(VALU_DEP_1) | instskip(NEXT) | instid1(SALU_CYCLE_1)
	s_and_saveexec_b32 s3, s1
	s_xor_b32 s1, exec_lo, s3
; %bb.151:                              ;   in Loop: Header=BB393_10 Depth=1
	v_bfe_u32 v63, v1, 16, 1
	s_delay_alu instid0(VALU_DEP_1)
	v_add3_u32 v63, v1, v63, 0x7fff
                                        ; implicit-def: $vgpr1
; %bb.152:                              ;   in Loop: Header=BB393_10 Depth=1
	s_and_not1_saveexec_b32 s3, s1
; %bb.153:                              ;   in Loop: Header=BB393_10 Depth=1
	v_and_b32_e32 v63, 0xffff, v1
	v_or_b32_e32 v64, 0x10000, v1
	s_delay_alu instid0(VALU_DEP_2) | instskip(NEXT) | instid1(VALU_DEP_1)
	v_cmp_eq_u32_e64 s1, 0, v63
	v_cndmask_b32_e64 v63, v64, v1, s1
; %bb.154:                              ;   in Loop: Header=BB393_10 Depth=1
	s_or_b32 exec_lo, exec_lo, s3
	global_load_u16 v1, v[7:8], off offset:384
	s_mov_b32 s3, exec_lo
	s_waitcnt vmcnt(0)
	v_and_b32_e32 v64, 0xff, v1
	v_and_b32_e32 v65, 0xffff, v1
	v_mov_b32_e32 v1, 0
	s_delay_alu instid0(VALU_DEP_3)
	v_cmpx_ne_u16_e32 0, v64
	s_cbranch_execz .LBB393_162
; %bb.155:                              ;   in Loop: Header=BB393_10 Depth=1
	s_delay_alu instid0(VALU_DEP_3) | instskip(NEXT) | instid1(VALU_DEP_1)
	v_and_b32_e32 v1, 0xff, v65
	v_cmp_ne_u16_e64 s1, 0x80, v1
	v_bfrev_b32_e32 v1, 1
	s_delay_alu instid0(VALU_DEP_2)
	s_and_saveexec_b32 s39, s1
	s_cbranch_execz .LBB393_161
; %bb.156:                              ;   in Loop: Header=BB393_10 Depth=1
	v_and_b32_e32 v66, 0x7f, v65
	v_mov_b32_e32 v1, 0x7f800001
	s_mov_b32 s40, exec_lo
	s_delay_alu instid0(VALU_DEP_2)
	v_cmpx_ne_u32_e32 0x7f, v66
	s_cbranch_execz .LBB393_160
; %bb.157:                              ;   in Loop: Header=BB393_10 Depth=1
	v_and_b32_e32 v1, 7, v65
	v_lshrrev_b32_e32 v64, 3, v66
	s_mov_b32 s41, exec_lo
	v_cmpx_gt_u32_e32 8, v66
; %bb.158:                              ;   in Loop: Header=BB393_10 Depth=1
	s_delay_alu instid0(VALU_DEP_3) | instskip(NEXT) | instid1(VALU_DEP_1)
	v_clz_i32_u32_e32 v64, v1
	v_min_u32_e32 v64, 32, v64
	s_delay_alu instid0(VALU_DEP_1) | instskip(SKIP_1) | instid1(VALU_DEP_2)
	v_subrev_nc_u32_e32 v66, 28, v64
	v_sub_nc_u32_e32 v64, 29, v64
	v_lshlrev_b64 v[66:67], v66, v[1:2]
	s_delay_alu instid0(VALU_DEP_1)
	v_and_b32_e32 v1, 7, v66
; %bb.159:                              ;   in Loop: Header=BB393_10 Depth=1
	s_or_b32 exec_lo, exec_lo, s41
	v_lshlrev_b32_e32 v66, 24, v65
	s_delay_alu instid0(VALU_DEP_2) | instskip(SKIP_1) | instid1(VALU_DEP_3)
	v_lshlrev_b32_e32 v1, 20, v1
	v_lshl_add_u32 v64, v64, 23, 0x3c000000
	v_and_b32_e32 v66, 0x80000000, v66
	s_delay_alu instid0(VALU_DEP_1)
	v_or3_b32 v1, v1, v66, v64
.LBB393_160:                            ;   in Loop: Header=BB393_10 Depth=1
	s_or_b32 exec_lo, exec_lo, s40
.LBB393_161:                            ;   in Loop: Header=BB393_10 Depth=1
	s_delay_alu instid0(SALU_CYCLE_1)
	s_or_b32 exec_lo, exec_lo, s39
.LBB393_162:                            ;   in Loop: Header=BB393_10 Depth=1
	s_delay_alu instid0(SALU_CYCLE_1) | instskip(NEXT) | instid1(VALU_DEP_1)
	s_or_b32 exec_lo, exec_lo, s3
	v_mul_f32_e32 v1, s4, v1
	s_delay_alu instid0(VALU_DEP_1) | instskip(NEXT) | instid1(VALU_DEP_1)
	v_and_b32_e32 v64, 0x7f800000, v1
	v_cmp_ne_u32_e64 s1, 0x7f800000, v64
                                        ; implicit-def: $vgpr64
	s_delay_alu instid0(VALU_DEP_1) | instskip(NEXT) | instid1(SALU_CYCLE_1)
	s_and_saveexec_b32 s3, s1
	s_xor_b32 s1, exec_lo, s3
; %bb.163:                              ;   in Loop: Header=BB393_10 Depth=1
	v_bfe_u32 v64, v1, 16, 1
	s_delay_alu instid0(VALU_DEP_1)
	v_add3_u32 v64, v1, v64, 0x7fff
                                        ; implicit-def: $vgpr1
; %bb.164:                              ;   in Loop: Header=BB393_10 Depth=1
	s_and_not1_saveexec_b32 s3, s1
; %bb.165:                              ;   in Loop: Header=BB393_10 Depth=1
	v_and_b32_e32 v64, 0xffff, v1
	v_or_b32_e32 v66, 0x10000, v1
	s_delay_alu instid0(VALU_DEP_2) | instskip(NEXT) | instid1(VALU_DEP_1)
	v_cmp_eq_u32_e64 s1, 0, v64
	v_cndmask_b32_e64 v64, v66, v1, s1
; %bb.166:                              ;   in Loop: Header=BB393_10 Depth=1
	s_or_b32 exec_lo, exec_lo, s3
	v_lshrrev_b16 v66, 8, v65
	v_mov_b32_e32 v1, 0
	s_mov_b32 s3, exec_lo
	s_delay_alu instid0(VALU_DEP_2)
	v_cmpx_ne_u16_e32 0, v66
	s_cbranch_execz .LBB393_174
; %bb.167:                              ;   in Loop: Header=BB393_10 Depth=1
	v_bfrev_b32_e32 v1, 1
	s_mov_b32 s39, exec_lo
	v_cmpx_ne_u16_e32 0x80, v66
	s_cbranch_execz .LBB393_173
; %bb.168:                              ;   in Loop: Header=BB393_10 Depth=1
	v_and_b32_e32 v66, 0xffff, v66
	v_mov_b32_e32 v1, 0x7f800001
	s_mov_b32 s40, exec_lo
	s_delay_alu instid0(VALU_DEP_2) | instskip(NEXT) | instid1(VALU_DEP_1)
	v_and_b32_e32 v67, 0x7f, v66
	v_cmpx_ne_u32_e32 0x7f, v67
	s_cbranch_execz .LBB393_172
; %bb.169:                              ;   in Loop: Header=BB393_10 Depth=1
	v_and_b32_e32 v1, 7, v66
	v_lshrrev_b32_e32 v66, 3, v67
	s_mov_b32 s41, exec_lo
	v_cmpx_gt_u32_e32 8, v67
; %bb.170:                              ;   in Loop: Header=BB393_10 Depth=1
	s_delay_alu instid0(VALU_DEP_3) | instskip(NEXT) | instid1(VALU_DEP_1)
	v_clz_i32_u32_e32 v66, v1
	v_min_u32_e32 v66, 32, v66
	s_delay_alu instid0(VALU_DEP_1) | instskip(SKIP_1) | instid1(VALU_DEP_2)
	v_subrev_nc_u32_e32 v67, 28, v66
	v_sub_nc_u32_e32 v66, 29, v66
	v_lshlrev_b64 v[67:68], v67, v[1:2]
	s_delay_alu instid0(VALU_DEP_1)
	v_and_b32_e32 v1, 7, v67
; %bb.171:                              ;   in Loop: Header=BB393_10 Depth=1
	s_or_b32 exec_lo, exec_lo, s41
	v_lshlrev_b32_e32 v65, 16, v65
	s_delay_alu instid0(VALU_DEP_2) | instskip(SKIP_1) | instid1(VALU_DEP_3)
	v_lshlrev_b32_e32 v1, 20, v1
	v_lshl_add_u32 v66, v66, 23, 0x3c000000
	v_and_b32_e32 v65, 0x80000000, v65
	s_delay_alu instid0(VALU_DEP_1)
	v_or3_b32 v1, v1, v65, v66
.LBB393_172:                            ;   in Loop: Header=BB393_10 Depth=1
	s_or_b32 exec_lo, exec_lo, s40
.LBB393_173:                            ;   in Loop: Header=BB393_10 Depth=1
	s_delay_alu instid0(SALU_CYCLE_1)
	s_or_b32 exec_lo, exec_lo, s39
.LBB393_174:                            ;   in Loop: Header=BB393_10 Depth=1
	s_delay_alu instid0(SALU_CYCLE_1) | instskip(NEXT) | instid1(VALU_DEP_1)
	s_or_b32 exec_lo, exec_lo, s3
	v_mul_f32_e32 v1, s4, v1
	s_delay_alu instid0(VALU_DEP_1) | instskip(NEXT) | instid1(VALU_DEP_1)
	v_and_b32_e32 v65, 0x7f800000, v1
	v_cmp_ne_u32_e64 s1, 0x7f800000, v65
                                        ; implicit-def: $vgpr65
	s_delay_alu instid0(VALU_DEP_1) | instskip(NEXT) | instid1(SALU_CYCLE_1)
	s_and_saveexec_b32 s3, s1
	s_xor_b32 s1, exec_lo, s3
; %bb.175:                              ;   in Loop: Header=BB393_10 Depth=1
	v_bfe_u32 v65, v1, 16, 1
	s_delay_alu instid0(VALU_DEP_1)
	v_add3_u32 v65, v1, v65, 0x7fff
                                        ; implicit-def: $vgpr1
; %bb.176:                              ;   in Loop: Header=BB393_10 Depth=1
	s_and_not1_saveexec_b32 s3, s1
; %bb.177:                              ;   in Loop: Header=BB393_10 Depth=1
	v_and_b32_e32 v65, 0xffff, v1
	v_or_b32_e32 v66, 0x10000, v1
	s_delay_alu instid0(VALU_DEP_2) | instskip(NEXT) | instid1(VALU_DEP_1)
	v_cmp_eq_u32_e64 s1, 0, v65
	v_cndmask_b32_e64 v65, v66, v1, s1
; %bb.178:                              ;   in Loop: Header=BB393_10 Depth=1
	s_or_b32 exec_lo, exec_lo, s3
	global_load_u16 v1, v[7:8], off offset:392
	s_mov_b32 s3, exec_lo
	s_waitcnt vmcnt(0)
	v_and_b32_e32 v66, 0xff, v1
	v_and_b32_e32 v67, 0xffff, v1
	v_mov_b32_e32 v1, 0
	s_delay_alu instid0(VALU_DEP_3)
	v_cmpx_ne_u16_e32 0, v66
	s_cbranch_execz .LBB393_186
; %bb.179:                              ;   in Loop: Header=BB393_10 Depth=1
	s_delay_alu instid0(VALU_DEP_3) | instskip(NEXT) | instid1(VALU_DEP_1)
	v_and_b32_e32 v1, 0xff, v67
	v_cmp_ne_u16_e64 s1, 0x80, v1
	v_bfrev_b32_e32 v1, 1
	s_delay_alu instid0(VALU_DEP_2)
	s_and_saveexec_b32 s39, s1
	s_cbranch_execz .LBB393_185
; %bb.180:                              ;   in Loop: Header=BB393_10 Depth=1
	v_and_b32_e32 v68, 0x7f, v67
	v_mov_b32_e32 v1, 0x7f800001
	s_mov_b32 s40, exec_lo
	s_delay_alu instid0(VALU_DEP_2)
	v_cmpx_ne_u32_e32 0x7f, v68
	s_cbranch_execz .LBB393_184
; %bb.181:                              ;   in Loop: Header=BB393_10 Depth=1
	v_and_b32_e32 v1, 7, v67
	v_lshrrev_b32_e32 v66, 3, v68
	s_mov_b32 s41, exec_lo
	v_cmpx_gt_u32_e32 8, v68
; %bb.182:                              ;   in Loop: Header=BB393_10 Depth=1
	s_delay_alu instid0(VALU_DEP_3) | instskip(NEXT) | instid1(VALU_DEP_1)
	v_clz_i32_u32_e32 v66, v1
	v_min_u32_e32 v66, 32, v66
	s_delay_alu instid0(VALU_DEP_1) | instskip(SKIP_1) | instid1(VALU_DEP_2)
	v_subrev_nc_u32_e32 v68, 28, v66
	v_sub_nc_u32_e32 v66, 29, v66
	v_lshlrev_b64 v[68:69], v68, v[1:2]
	s_delay_alu instid0(VALU_DEP_1)
	v_and_b32_e32 v1, 7, v68
; %bb.183:                              ;   in Loop: Header=BB393_10 Depth=1
	s_or_b32 exec_lo, exec_lo, s41
	v_lshlrev_b32_e32 v68, 24, v67
	s_delay_alu instid0(VALU_DEP_2) | instskip(SKIP_1) | instid1(VALU_DEP_3)
	v_lshlrev_b32_e32 v1, 20, v1
	v_lshl_add_u32 v66, v66, 23, 0x3c000000
	v_and_b32_e32 v68, 0x80000000, v68
	s_delay_alu instid0(VALU_DEP_1)
	v_or3_b32 v1, v1, v68, v66
.LBB393_184:                            ;   in Loop: Header=BB393_10 Depth=1
	s_or_b32 exec_lo, exec_lo, s40
.LBB393_185:                            ;   in Loop: Header=BB393_10 Depth=1
	s_delay_alu instid0(SALU_CYCLE_1)
	s_or_b32 exec_lo, exec_lo, s39
.LBB393_186:                            ;   in Loop: Header=BB393_10 Depth=1
	s_delay_alu instid0(SALU_CYCLE_1) | instskip(NEXT) | instid1(VALU_DEP_1)
	s_or_b32 exec_lo, exec_lo, s3
	v_mul_f32_e32 v1, s4, v1
	s_delay_alu instid0(VALU_DEP_1) | instskip(NEXT) | instid1(VALU_DEP_1)
	v_and_b32_e32 v66, 0x7f800000, v1
	v_cmp_ne_u32_e64 s1, 0x7f800000, v66
                                        ; implicit-def: $vgpr66
	s_delay_alu instid0(VALU_DEP_1) | instskip(NEXT) | instid1(SALU_CYCLE_1)
	s_and_saveexec_b32 s3, s1
	s_xor_b32 s1, exec_lo, s3
; %bb.187:                              ;   in Loop: Header=BB393_10 Depth=1
	v_bfe_u32 v66, v1, 16, 1
	s_delay_alu instid0(VALU_DEP_1)
	v_add3_u32 v66, v1, v66, 0x7fff
                                        ; implicit-def: $vgpr1
; %bb.188:                              ;   in Loop: Header=BB393_10 Depth=1
	s_and_not1_saveexec_b32 s3, s1
; %bb.189:                              ;   in Loop: Header=BB393_10 Depth=1
	v_and_b32_e32 v66, 0xffff, v1
	v_or_b32_e32 v68, 0x10000, v1
	s_delay_alu instid0(VALU_DEP_2) | instskip(NEXT) | instid1(VALU_DEP_1)
	v_cmp_eq_u32_e64 s1, 0, v66
	v_cndmask_b32_e64 v66, v68, v1, s1
; %bb.190:                              ;   in Loop: Header=BB393_10 Depth=1
	s_or_b32 exec_lo, exec_lo, s3
	v_lshrrev_b16 v68, 8, v67
	v_mov_b32_e32 v1, 0
	s_mov_b32 s3, exec_lo
	s_delay_alu instid0(VALU_DEP_2)
	v_cmpx_ne_u16_e32 0, v68
	s_cbranch_execz .LBB393_198
; %bb.191:                              ;   in Loop: Header=BB393_10 Depth=1
	v_bfrev_b32_e32 v1, 1
	s_mov_b32 s39, exec_lo
	v_cmpx_ne_u16_e32 0x80, v68
	s_cbranch_execz .LBB393_197
; %bb.192:                              ;   in Loop: Header=BB393_10 Depth=1
	v_and_b32_e32 v68, 0xffff, v68
	v_mov_b32_e32 v1, 0x7f800001
	s_mov_b32 s40, exec_lo
	s_delay_alu instid0(VALU_DEP_2) | instskip(NEXT) | instid1(VALU_DEP_1)
	v_and_b32_e32 v69, 0x7f, v68
	v_cmpx_ne_u32_e32 0x7f, v69
	s_cbranch_execz .LBB393_196
; %bb.193:                              ;   in Loop: Header=BB393_10 Depth=1
	v_and_b32_e32 v1, 7, v68
	v_lshrrev_b32_e32 v68, 3, v69
	s_mov_b32 s41, exec_lo
	v_cmpx_gt_u32_e32 8, v69
; %bb.194:                              ;   in Loop: Header=BB393_10 Depth=1
	s_delay_alu instid0(VALU_DEP_3) | instskip(NEXT) | instid1(VALU_DEP_1)
	v_clz_i32_u32_e32 v68, v1
	v_min_u32_e32 v68, 32, v68
	s_delay_alu instid0(VALU_DEP_1) | instskip(SKIP_1) | instid1(VALU_DEP_2)
	v_subrev_nc_u32_e32 v69, 28, v68
	v_sub_nc_u32_e32 v68, 29, v68
	v_lshlrev_b64 v[69:70], v69, v[1:2]
	s_delay_alu instid0(VALU_DEP_1)
	v_and_b32_e32 v1, 7, v69
; %bb.195:                              ;   in Loop: Header=BB393_10 Depth=1
	s_or_b32 exec_lo, exec_lo, s41
	v_lshlrev_b32_e32 v67, 16, v67
	s_delay_alu instid0(VALU_DEP_2) | instskip(SKIP_1) | instid1(VALU_DEP_3)
	v_lshlrev_b32_e32 v1, 20, v1
	v_lshl_add_u32 v68, v68, 23, 0x3c000000
	v_and_b32_e32 v67, 0x80000000, v67
	s_delay_alu instid0(VALU_DEP_1)
	v_or3_b32 v1, v1, v67, v68
.LBB393_196:                            ;   in Loop: Header=BB393_10 Depth=1
	s_or_b32 exec_lo, exec_lo, s40
.LBB393_197:                            ;   in Loop: Header=BB393_10 Depth=1
	s_delay_alu instid0(SALU_CYCLE_1)
	s_or_b32 exec_lo, exec_lo, s39
.LBB393_198:                            ;   in Loop: Header=BB393_10 Depth=1
	s_delay_alu instid0(SALU_CYCLE_1) | instskip(NEXT) | instid1(VALU_DEP_1)
	s_or_b32 exec_lo, exec_lo, s3
	v_mul_f32_e32 v1, s4, v1
	s_delay_alu instid0(VALU_DEP_1) | instskip(NEXT) | instid1(VALU_DEP_1)
	v_and_b32_e32 v67, 0x7f800000, v1
	v_cmp_ne_u32_e64 s1, 0x7f800000, v67
                                        ; implicit-def: $vgpr67
	s_delay_alu instid0(VALU_DEP_1) | instskip(NEXT) | instid1(SALU_CYCLE_1)
	s_and_saveexec_b32 s3, s1
	s_xor_b32 s1, exec_lo, s3
; %bb.199:                              ;   in Loop: Header=BB393_10 Depth=1
	v_bfe_u32 v67, v1, 16, 1
	s_delay_alu instid0(VALU_DEP_1)
	v_add3_u32 v67, v1, v67, 0x7fff
                                        ; implicit-def: $vgpr1
; %bb.200:                              ;   in Loop: Header=BB393_10 Depth=1
	s_and_not1_saveexec_b32 s3, s1
; %bb.201:                              ;   in Loop: Header=BB393_10 Depth=1
	v_and_b32_e32 v67, 0xffff, v1
	v_or_b32_e32 v68, 0x10000, v1
	s_delay_alu instid0(VALU_DEP_2) | instskip(NEXT) | instid1(VALU_DEP_1)
	v_cmp_eq_u32_e64 s1, 0, v67
	v_cndmask_b32_e64 v67, v68, v1, s1
; %bb.202:                              ;   in Loop: Header=BB393_10 Depth=1
	s_or_b32 exec_lo, exec_lo, s3
	global_load_u16 v1, v[7:8], off offset:512
	s_mov_b32 s3, exec_lo
	s_waitcnt vmcnt(0)
	v_and_b32_e32 v68, 0xff, v1
	v_and_b32_e32 v69, 0xffff, v1
	v_mov_b32_e32 v1, 0
	s_delay_alu instid0(VALU_DEP_3)
	v_cmpx_ne_u16_e32 0, v68
	s_cbranch_execz .LBB393_210
; %bb.203:                              ;   in Loop: Header=BB393_10 Depth=1
	s_delay_alu instid0(VALU_DEP_3) | instskip(NEXT) | instid1(VALU_DEP_1)
	v_and_b32_e32 v1, 0xff, v69
	v_cmp_ne_u16_e64 s1, 0x80, v1
	v_bfrev_b32_e32 v1, 1
	s_delay_alu instid0(VALU_DEP_2)
	s_and_saveexec_b32 s39, s1
	s_cbranch_execz .LBB393_209
; %bb.204:                              ;   in Loop: Header=BB393_10 Depth=1
	v_and_b32_e32 v70, 0x7f, v69
	v_mov_b32_e32 v1, 0x7f800001
	s_mov_b32 s40, exec_lo
	s_delay_alu instid0(VALU_DEP_2)
	v_cmpx_ne_u32_e32 0x7f, v70
	s_cbranch_execz .LBB393_208
; %bb.205:                              ;   in Loop: Header=BB393_10 Depth=1
	v_and_b32_e32 v1, 7, v69
	v_lshrrev_b32_e32 v68, 3, v70
	s_mov_b32 s41, exec_lo
	v_cmpx_gt_u32_e32 8, v70
; %bb.206:                              ;   in Loop: Header=BB393_10 Depth=1
	s_delay_alu instid0(VALU_DEP_3) | instskip(NEXT) | instid1(VALU_DEP_1)
	v_clz_i32_u32_e32 v68, v1
	v_min_u32_e32 v68, 32, v68
	s_delay_alu instid0(VALU_DEP_1) | instskip(SKIP_1) | instid1(VALU_DEP_2)
	v_subrev_nc_u32_e32 v70, 28, v68
	v_sub_nc_u32_e32 v68, 29, v68
	v_lshlrev_b64 v[70:71], v70, v[1:2]
	s_delay_alu instid0(VALU_DEP_1)
	v_and_b32_e32 v1, 7, v70
; %bb.207:                              ;   in Loop: Header=BB393_10 Depth=1
	s_or_b32 exec_lo, exec_lo, s41
	v_lshlrev_b32_e32 v70, 24, v69
	s_delay_alu instid0(VALU_DEP_2) | instskip(SKIP_1) | instid1(VALU_DEP_3)
	v_lshlrev_b32_e32 v1, 20, v1
	v_lshl_add_u32 v68, v68, 23, 0x3c000000
	v_and_b32_e32 v70, 0x80000000, v70
	s_delay_alu instid0(VALU_DEP_1)
	v_or3_b32 v1, v1, v70, v68
.LBB393_208:                            ;   in Loop: Header=BB393_10 Depth=1
	s_or_b32 exec_lo, exec_lo, s40
.LBB393_209:                            ;   in Loop: Header=BB393_10 Depth=1
	s_delay_alu instid0(SALU_CYCLE_1)
	s_or_b32 exec_lo, exec_lo, s39
.LBB393_210:                            ;   in Loop: Header=BB393_10 Depth=1
	s_delay_alu instid0(SALU_CYCLE_1) | instskip(NEXT) | instid1(VALU_DEP_1)
	s_or_b32 exec_lo, exec_lo, s3
	v_mul_f32_e32 v1, s4, v1
	s_delay_alu instid0(VALU_DEP_1) | instskip(NEXT) | instid1(VALU_DEP_1)
	v_and_b32_e32 v68, 0x7f800000, v1
	v_cmp_ne_u32_e64 s1, 0x7f800000, v68
                                        ; implicit-def: $vgpr68
	s_delay_alu instid0(VALU_DEP_1) | instskip(NEXT) | instid1(SALU_CYCLE_1)
	s_and_saveexec_b32 s3, s1
	s_xor_b32 s1, exec_lo, s3
; %bb.211:                              ;   in Loop: Header=BB393_10 Depth=1
	v_bfe_u32 v68, v1, 16, 1
	s_delay_alu instid0(VALU_DEP_1)
	v_add3_u32 v68, v1, v68, 0x7fff
                                        ; implicit-def: $vgpr1
; %bb.212:                              ;   in Loop: Header=BB393_10 Depth=1
	s_and_not1_saveexec_b32 s3, s1
; %bb.213:                              ;   in Loop: Header=BB393_10 Depth=1
	v_and_b32_e32 v68, 0xffff, v1
	v_or_b32_e32 v70, 0x10000, v1
	s_delay_alu instid0(VALU_DEP_2) | instskip(NEXT) | instid1(VALU_DEP_1)
	v_cmp_eq_u32_e64 s1, 0, v68
	v_cndmask_b32_e64 v68, v70, v1, s1
; %bb.214:                              ;   in Loop: Header=BB393_10 Depth=1
	s_or_b32 exec_lo, exec_lo, s3
	v_lshrrev_b16 v70, 8, v69
	v_mov_b32_e32 v1, 0
	s_mov_b32 s3, exec_lo
	s_delay_alu instid0(VALU_DEP_2)
	v_cmpx_ne_u16_e32 0, v70
	s_cbranch_execz .LBB393_222
; %bb.215:                              ;   in Loop: Header=BB393_10 Depth=1
	v_bfrev_b32_e32 v1, 1
	s_mov_b32 s39, exec_lo
	v_cmpx_ne_u16_e32 0x80, v70
	s_cbranch_execz .LBB393_221
; %bb.216:                              ;   in Loop: Header=BB393_10 Depth=1
	v_and_b32_e32 v70, 0xffff, v70
	v_mov_b32_e32 v1, 0x7f800001
	s_mov_b32 s40, exec_lo
	s_delay_alu instid0(VALU_DEP_2) | instskip(NEXT) | instid1(VALU_DEP_1)
	v_and_b32_e32 v71, 0x7f, v70
	v_cmpx_ne_u32_e32 0x7f, v71
	s_cbranch_execz .LBB393_220
; %bb.217:                              ;   in Loop: Header=BB393_10 Depth=1
	v_and_b32_e32 v1, 7, v70
	v_lshrrev_b32_e32 v70, 3, v71
	s_mov_b32 s41, exec_lo
	v_cmpx_gt_u32_e32 8, v71
; %bb.218:                              ;   in Loop: Header=BB393_10 Depth=1
	s_delay_alu instid0(VALU_DEP_3) | instskip(NEXT) | instid1(VALU_DEP_1)
	v_clz_i32_u32_e32 v70, v1
	v_min_u32_e32 v70, 32, v70
	s_delay_alu instid0(VALU_DEP_1) | instskip(SKIP_1) | instid1(VALU_DEP_2)
	v_subrev_nc_u32_e32 v71, 28, v70
	v_sub_nc_u32_e32 v70, 29, v70
	v_lshlrev_b64 v[71:72], v71, v[1:2]
	s_delay_alu instid0(VALU_DEP_1)
	v_and_b32_e32 v1, 7, v71
; %bb.219:                              ;   in Loop: Header=BB393_10 Depth=1
	s_or_b32 exec_lo, exec_lo, s41
	v_lshlrev_b32_e32 v69, 16, v69
	s_delay_alu instid0(VALU_DEP_2) | instskip(SKIP_1) | instid1(VALU_DEP_3)
	v_lshlrev_b32_e32 v1, 20, v1
	v_lshl_add_u32 v70, v70, 23, 0x3c000000
	v_and_b32_e32 v69, 0x80000000, v69
	s_delay_alu instid0(VALU_DEP_1)
	v_or3_b32 v1, v1, v69, v70
.LBB393_220:                            ;   in Loop: Header=BB393_10 Depth=1
	s_or_b32 exec_lo, exec_lo, s40
.LBB393_221:                            ;   in Loop: Header=BB393_10 Depth=1
	s_delay_alu instid0(SALU_CYCLE_1)
	s_or_b32 exec_lo, exec_lo, s39
.LBB393_222:                            ;   in Loop: Header=BB393_10 Depth=1
	s_delay_alu instid0(SALU_CYCLE_1) | instskip(NEXT) | instid1(VALU_DEP_1)
	s_or_b32 exec_lo, exec_lo, s3
	v_mul_f32_e32 v1, s4, v1
	s_delay_alu instid0(VALU_DEP_1) | instskip(NEXT) | instid1(VALU_DEP_1)
	v_and_b32_e32 v69, 0x7f800000, v1
	v_cmp_ne_u32_e64 s1, 0x7f800000, v69
                                        ; implicit-def: $vgpr69
	s_delay_alu instid0(VALU_DEP_1) | instskip(NEXT) | instid1(SALU_CYCLE_1)
	s_and_saveexec_b32 s3, s1
	s_xor_b32 s1, exec_lo, s3
; %bb.223:                              ;   in Loop: Header=BB393_10 Depth=1
	v_bfe_u32 v69, v1, 16, 1
	s_delay_alu instid0(VALU_DEP_1)
	v_add3_u32 v69, v1, v69, 0x7fff
                                        ; implicit-def: $vgpr1
; %bb.224:                              ;   in Loop: Header=BB393_10 Depth=1
	s_and_not1_saveexec_b32 s3, s1
; %bb.225:                              ;   in Loop: Header=BB393_10 Depth=1
	v_and_b32_e32 v69, 0xffff, v1
	v_or_b32_e32 v70, 0x10000, v1
	s_delay_alu instid0(VALU_DEP_2) | instskip(NEXT) | instid1(VALU_DEP_1)
	v_cmp_eq_u32_e64 s1, 0, v69
	v_cndmask_b32_e64 v69, v70, v1, s1
; %bb.226:                              ;   in Loop: Header=BB393_10 Depth=1
	s_or_b32 exec_lo, exec_lo, s3
	global_load_u16 v1, v[7:8], off offset:520
	s_mov_b32 s3, exec_lo
	s_waitcnt vmcnt(0)
	v_and_b32_e32 v70, 0xff, v1
	v_and_b32_e32 v71, 0xffff, v1
	v_mov_b32_e32 v1, 0
	s_delay_alu instid0(VALU_DEP_3)
	v_cmpx_ne_u16_e32 0, v70
	s_cbranch_execz .LBB393_234
; %bb.227:                              ;   in Loop: Header=BB393_10 Depth=1
	s_delay_alu instid0(VALU_DEP_3) | instskip(NEXT) | instid1(VALU_DEP_1)
	v_and_b32_e32 v1, 0xff, v71
	v_cmp_ne_u16_e64 s1, 0x80, v1
	v_bfrev_b32_e32 v1, 1
	s_delay_alu instid0(VALU_DEP_2)
	s_and_saveexec_b32 s39, s1
	s_cbranch_execz .LBB393_233
; %bb.228:                              ;   in Loop: Header=BB393_10 Depth=1
	v_and_b32_e32 v72, 0x7f, v71
	v_mov_b32_e32 v1, 0x7f800001
	s_mov_b32 s40, exec_lo
	s_delay_alu instid0(VALU_DEP_2)
	v_cmpx_ne_u32_e32 0x7f, v72
	s_cbranch_execz .LBB393_232
; %bb.229:                              ;   in Loop: Header=BB393_10 Depth=1
	v_and_b32_e32 v1, 7, v71
	v_lshrrev_b32_e32 v70, 3, v72
	s_mov_b32 s41, exec_lo
	v_cmpx_gt_u32_e32 8, v72
; %bb.230:                              ;   in Loop: Header=BB393_10 Depth=1
	s_delay_alu instid0(VALU_DEP_3) | instskip(NEXT) | instid1(VALU_DEP_1)
	v_clz_i32_u32_e32 v70, v1
	v_min_u32_e32 v70, 32, v70
	s_delay_alu instid0(VALU_DEP_1) | instskip(SKIP_1) | instid1(VALU_DEP_2)
	v_subrev_nc_u32_e32 v72, 28, v70
	v_sub_nc_u32_e32 v70, 29, v70
	v_lshlrev_b64 v[72:73], v72, v[1:2]
	s_delay_alu instid0(VALU_DEP_1)
	v_and_b32_e32 v1, 7, v72
; %bb.231:                              ;   in Loop: Header=BB393_10 Depth=1
	s_or_b32 exec_lo, exec_lo, s41
	v_lshlrev_b32_e32 v72, 24, v71
	s_delay_alu instid0(VALU_DEP_2) | instskip(SKIP_1) | instid1(VALU_DEP_3)
	v_lshlrev_b32_e32 v1, 20, v1
	v_lshl_add_u32 v70, v70, 23, 0x3c000000
	v_and_b32_e32 v72, 0x80000000, v72
	s_delay_alu instid0(VALU_DEP_1)
	v_or3_b32 v1, v1, v72, v70
.LBB393_232:                            ;   in Loop: Header=BB393_10 Depth=1
	s_or_b32 exec_lo, exec_lo, s40
.LBB393_233:                            ;   in Loop: Header=BB393_10 Depth=1
	s_delay_alu instid0(SALU_CYCLE_1)
	s_or_b32 exec_lo, exec_lo, s39
.LBB393_234:                            ;   in Loop: Header=BB393_10 Depth=1
	s_delay_alu instid0(SALU_CYCLE_1) | instskip(NEXT) | instid1(VALU_DEP_1)
	s_or_b32 exec_lo, exec_lo, s3
	v_mul_f32_e32 v1, s4, v1
	s_delay_alu instid0(VALU_DEP_1) | instskip(NEXT) | instid1(VALU_DEP_1)
	v_and_b32_e32 v70, 0x7f800000, v1
	v_cmp_ne_u32_e64 s1, 0x7f800000, v70
                                        ; implicit-def: $vgpr70
	s_delay_alu instid0(VALU_DEP_1) | instskip(NEXT) | instid1(SALU_CYCLE_1)
	s_and_saveexec_b32 s3, s1
	s_xor_b32 s1, exec_lo, s3
; %bb.235:                              ;   in Loop: Header=BB393_10 Depth=1
	v_bfe_u32 v70, v1, 16, 1
	s_delay_alu instid0(VALU_DEP_1)
	v_add3_u32 v70, v1, v70, 0x7fff
                                        ; implicit-def: $vgpr1
; %bb.236:                              ;   in Loop: Header=BB393_10 Depth=1
	s_and_not1_saveexec_b32 s3, s1
; %bb.237:                              ;   in Loop: Header=BB393_10 Depth=1
	v_and_b32_e32 v70, 0xffff, v1
	v_or_b32_e32 v72, 0x10000, v1
	s_delay_alu instid0(VALU_DEP_2) | instskip(NEXT) | instid1(VALU_DEP_1)
	v_cmp_eq_u32_e64 s1, 0, v70
	v_cndmask_b32_e64 v70, v72, v1, s1
; %bb.238:                              ;   in Loop: Header=BB393_10 Depth=1
	s_or_b32 exec_lo, exec_lo, s3
	v_lshrrev_b16 v72, 8, v71
	v_mov_b32_e32 v1, 0
	s_mov_b32 s3, exec_lo
	s_delay_alu instid0(VALU_DEP_2)
	v_cmpx_ne_u16_e32 0, v72
	s_cbranch_execz .LBB393_246
; %bb.239:                              ;   in Loop: Header=BB393_10 Depth=1
	v_bfrev_b32_e32 v1, 1
	s_mov_b32 s39, exec_lo
	v_cmpx_ne_u16_e32 0x80, v72
	s_cbranch_execz .LBB393_245
; %bb.240:                              ;   in Loop: Header=BB393_10 Depth=1
	v_and_b32_e32 v72, 0xffff, v72
	v_mov_b32_e32 v1, 0x7f800001
	s_mov_b32 s40, exec_lo
	s_delay_alu instid0(VALU_DEP_2) | instskip(NEXT) | instid1(VALU_DEP_1)
	v_and_b32_e32 v73, 0x7f, v72
	v_cmpx_ne_u32_e32 0x7f, v73
	s_cbranch_execz .LBB393_244
; %bb.241:                              ;   in Loop: Header=BB393_10 Depth=1
	v_and_b32_e32 v1, 7, v72
	v_lshrrev_b32_e32 v72, 3, v73
	s_mov_b32 s41, exec_lo
	v_cmpx_gt_u32_e32 8, v73
; %bb.242:                              ;   in Loop: Header=BB393_10 Depth=1
	s_delay_alu instid0(VALU_DEP_3) | instskip(NEXT) | instid1(VALU_DEP_1)
	v_clz_i32_u32_e32 v72, v1
	v_min_u32_e32 v72, 32, v72
	s_delay_alu instid0(VALU_DEP_1) | instskip(SKIP_1) | instid1(VALU_DEP_2)
	v_subrev_nc_u32_e32 v73, 28, v72
	v_sub_nc_u32_e32 v72, 29, v72
	v_lshlrev_b64 v[73:74], v73, v[1:2]
	s_delay_alu instid0(VALU_DEP_1)
	v_and_b32_e32 v1, 7, v73
; %bb.243:                              ;   in Loop: Header=BB393_10 Depth=1
	s_or_b32 exec_lo, exec_lo, s41
	v_lshlrev_b32_e32 v71, 16, v71
	s_delay_alu instid0(VALU_DEP_2) | instskip(SKIP_1) | instid1(VALU_DEP_3)
	v_lshlrev_b32_e32 v1, 20, v1
	v_lshl_add_u32 v72, v72, 23, 0x3c000000
	v_and_b32_e32 v71, 0x80000000, v71
	s_delay_alu instid0(VALU_DEP_1)
	v_or3_b32 v1, v1, v71, v72
.LBB393_244:                            ;   in Loop: Header=BB393_10 Depth=1
	s_or_b32 exec_lo, exec_lo, s40
.LBB393_245:                            ;   in Loop: Header=BB393_10 Depth=1
	s_delay_alu instid0(SALU_CYCLE_1)
	s_or_b32 exec_lo, exec_lo, s39
.LBB393_246:                            ;   in Loop: Header=BB393_10 Depth=1
	s_delay_alu instid0(SALU_CYCLE_1) | instskip(NEXT) | instid1(VALU_DEP_1)
	s_or_b32 exec_lo, exec_lo, s3
	v_mul_f32_e32 v1, s4, v1
	s_delay_alu instid0(VALU_DEP_1) | instskip(NEXT) | instid1(VALU_DEP_1)
	v_and_b32_e32 v71, 0x7f800000, v1
	v_cmp_ne_u32_e64 s1, 0x7f800000, v71
                                        ; implicit-def: $vgpr71
	s_delay_alu instid0(VALU_DEP_1) | instskip(NEXT) | instid1(SALU_CYCLE_1)
	s_and_saveexec_b32 s3, s1
	s_xor_b32 s1, exec_lo, s3
; %bb.247:                              ;   in Loop: Header=BB393_10 Depth=1
	v_bfe_u32 v71, v1, 16, 1
	s_delay_alu instid0(VALU_DEP_1)
	v_add3_u32 v71, v1, v71, 0x7fff
                                        ; implicit-def: $vgpr1
; %bb.248:                              ;   in Loop: Header=BB393_10 Depth=1
	s_and_not1_saveexec_b32 s3, s1
; %bb.249:                              ;   in Loop: Header=BB393_10 Depth=1
	v_and_b32_e32 v71, 0xffff, v1
	v_or_b32_e32 v72, 0x10000, v1
	s_delay_alu instid0(VALU_DEP_2) | instskip(NEXT) | instid1(VALU_DEP_1)
	v_cmp_eq_u32_e64 s1, 0, v71
	v_cndmask_b32_e64 v71, v72, v1, s1
; %bb.250:                              ;   in Loop: Header=BB393_10 Depth=1
	s_or_b32 exec_lo, exec_lo, s3
	global_load_u16 v1, v[7:8], off offset:640
	s_mov_b32 s3, exec_lo
	s_waitcnt vmcnt(0)
	v_and_b32_e32 v72, 0xff, v1
	v_and_b32_e32 v73, 0xffff, v1
	v_mov_b32_e32 v1, 0
	s_delay_alu instid0(VALU_DEP_3)
	v_cmpx_ne_u16_e32 0, v72
	s_cbranch_execz .LBB393_258
; %bb.251:                              ;   in Loop: Header=BB393_10 Depth=1
	s_delay_alu instid0(VALU_DEP_3) | instskip(NEXT) | instid1(VALU_DEP_1)
	v_and_b32_e32 v1, 0xff, v73
	v_cmp_ne_u16_e64 s1, 0x80, v1
	v_bfrev_b32_e32 v1, 1
	s_delay_alu instid0(VALU_DEP_2)
	s_and_saveexec_b32 s39, s1
	s_cbranch_execz .LBB393_257
; %bb.252:                              ;   in Loop: Header=BB393_10 Depth=1
	v_and_b32_e32 v74, 0x7f, v73
	v_mov_b32_e32 v1, 0x7f800001
	s_mov_b32 s40, exec_lo
	s_delay_alu instid0(VALU_DEP_2)
	v_cmpx_ne_u32_e32 0x7f, v74
	s_cbranch_execz .LBB393_256
; %bb.253:                              ;   in Loop: Header=BB393_10 Depth=1
	v_and_b32_e32 v1, 7, v73
	v_lshrrev_b32_e32 v72, 3, v74
	s_mov_b32 s41, exec_lo
	v_cmpx_gt_u32_e32 8, v74
; %bb.254:                              ;   in Loop: Header=BB393_10 Depth=1
	s_delay_alu instid0(VALU_DEP_3) | instskip(NEXT) | instid1(VALU_DEP_1)
	v_clz_i32_u32_e32 v72, v1
	v_min_u32_e32 v72, 32, v72
	s_delay_alu instid0(VALU_DEP_1) | instskip(SKIP_1) | instid1(VALU_DEP_2)
	v_subrev_nc_u32_e32 v74, 28, v72
	v_sub_nc_u32_e32 v72, 29, v72
	v_lshlrev_b64 v[74:75], v74, v[1:2]
	s_delay_alu instid0(VALU_DEP_1)
	v_and_b32_e32 v1, 7, v74
; %bb.255:                              ;   in Loop: Header=BB393_10 Depth=1
	s_or_b32 exec_lo, exec_lo, s41
	v_lshlrev_b32_e32 v74, 24, v73
	s_delay_alu instid0(VALU_DEP_2) | instskip(SKIP_1) | instid1(VALU_DEP_3)
	v_lshlrev_b32_e32 v1, 20, v1
	v_lshl_add_u32 v72, v72, 23, 0x3c000000
	v_and_b32_e32 v74, 0x80000000, v74
	s_delay_alu instid0(VALU_DEP_1)
	v_or3_b32 v1, v1, v74, v72
.LBB393_256:                            ;   in Loop: Header=BB393_10 Depth=1
	s_or_b32 exec_lo, exec_lo, s40
.LBB393_257:                            ;   in Loop: Header=BB393_10 Depth=1
	s_delay_alu instid0(SALU_CYCLE_1)
	s_or_b32 exec_lo, exec_lo, s39
.LBB393_258:                            ;   in Loop: Header=BB393_10 Depth=1
	s_delay_alu instid0(SALU_CYCLE_1) | instskip(NEXT) | instid1(VALU_DEP_1)
	s_or_b32 exec_lo, exec_lo, s3
	v_mul_f32_e32 v1, s4, v1
	s_delay_alu instid0(VALU_DEP_1) | instskip(NEXT) | instid1(VALU_DEP_1)
	v_and_b32_e32 v72, 0x7f800000, v1
	v_cmp_ne_u32_e64 s1, 0x7f800000, v72
                                        ; implicit-def: $vgpr72
	s_delay_alu instid0(VALU_DEP_1) | instskip(NEXT) | instid1(SALU_CYCLE_1)
	s_and_saveexec_b32 s3, s1
	s_xor_b32 s1, exec_lo, s3
; %bb.259:                              ;   in Loop: Header=BB393_10 Depth=1
	v_bfe_u32 v72, v1, 16, 1
	s_delay_alu instid0(VALU_DEP_1)
	v_add3_u32 v72, v1, v72, 0x7fff
                                        ; implicit-def: $vgpr1
; %bb.260:                              ;   in Loop: Header=BB393_10 Depth=1
	s_and_not1_saveexec_b32 s3, s1
; %bb.261:                              ;   in Loop: Header=BB393_10 Depth=1
	v_and_b32_e32 v72, 0xffff, v1
	v_or_b32_e32 v74, 0x10000, v1
	s_delay_alu instid0(VALU_DEP_2) | instskip(NEXT) | instid1(VALU_DEP_1)
	v_cmp_eq_u32_e64 s1, 0, v72
	v_cndmask_b32_e64 v72, v74, v1, s1
; %bb.262:                              ;   in Loop: Header=BB393_10 Depth=1
	s_or_b32 exec_lo, exec_lo, s3
	v_lshrrev_b16 v74, 8, v73
	v_mov_b32_e32 v1, 0
	s_mov_b32 s3, exec_lo
	s_delay_alu instid0(VALU_DEP_2)
	v_cmpx_ne_u16_e32 0, v74
	s_cbranch_execz .LBB393_270
; %bb.263:                              ;   in Loop: Header=BB393_10 Depth=1
	v_bfrev_b32_e32 v1, 1
	s_mov_b32 s39, exec_lo
	v_cmpx_ne_u16_e32 0x80, v74
	s_cbranch_execz .LBB393_269
; %bb.264:                              ;   in Loop: Header=BB393_10 Depth=1
	v_and_b32_e32 v74, 0xffff, v74
	v_mov_b32_e32 v1, 0x7f800001
	s_mov_b32 s40, exec_lo
	s_delay_alu instid0(VALU_DEP_2) | instskip(NEXT) | instid1(VALU_DEP_1)
	v_and_b32_e32 v75, 0x7f, v74
	v_cmpx_ne_u32_e32 0x7f, v75
	s_cbranch_execz .LBB393_268
; %bb.265:                              ;   in Loop: Header=BB393_10 Depth=1
	v_and_b32_e32 v1, 7, v74
	v_lshrrev_b32_e32 v74, 3, v75
	s_mov_b32 s41, exec_lo
	v_cmpx_gt_u32_e32 8, v75
; %bb.266:                              ;   in Loop: Header=BB393_10 Depth=1
	s_delay_alu instid0(VALU_DEP_3) | instskip(NEXT) | instid1(VALU_DEP_1)
	v_clz_i32_u32_e32 v74, v1
	v_min_u32_e32 v74, 32, v74
	s_delay_alu instid0(VALU_DEP_1) | instskip(SKIP_1) | instid1(VALU_DEP_2)
	v_subrev_nc_u32_e32 v75, 28, v74
	v_sub_nc_u32_e32 v74, 29, v74
	v_lshlrev_b64 v[75:76], v75, v[1:2]
	s_delay_alu instid0(VALU_DEP_1)
	v_and_b32_e32 v1, 7, v75
; %bb.267:                              ;   in Loop: Header=BB393_10 Depth=1
	s_or_b32 exec_lo, exec_lo, s41
	v_lshlrev_b32_e32 v73, 16, v73
	s_delay_alu instid0(VALU_DEP_2) | instskip(SKIP_1) | instid1(VALU_DEP_3)
	v_lshlrev_b32_e32 v1, 20, v1
	v_lshl_add_u32 v74, v74, 23, 0x3c000000
	v_and_b32_e32 v73, 0x80000000, v73
	s_delay_alu instid0(VALU_DEP_1)
	v_or3_b32 v1, v1, v73, v74
.LBB393_268:                            ;   in Loop: Header=BB393_10 Depth=1
	s_or_b32 exec_lo, exec_lo, s40
.LBB393_269:                            ;   in Loop: Header=BB393_10 Depth=1
	s_delay_alu instid0(SALU_CYCLE_1)
	s_or_b32 exec_lo, exec_lo, s39
.LBB393_270:                            ;   in Loop: Header=BB393_10 Depth=1
	s_delay_alu instid0(SALU_CYCLE_1) | instskip(NEXT) | instid1(VALU_DEP_1)
	s_or_b32 exec_lo, exec_lo, s3
	v_mul_f32_e32 v1, s4, v1
	s_delay_alu instid0(VALU_DEP_1) | instskip(NEXT) | instid1(VALU_DEP_1)
	v_and_b32_e32 v73, 0x7f800000, v1
	v_cmp_ne_u32_e64 s1, 0x7f800000, v73
                                        ; implicit-def: $vgpr73
	s_delay_alu instid0(VALU_DEP_1) | instskip(NEXT) | instid1(SALU_CYCLE_1)
	s_and_saveexec_b32 s3, s1
	s_xor_b32 s1, exec_lo, s3
; %bb.271:                              ;   in Loop: Header=BB393_10 Depth=1
	v_bfe_u32 v73, v1, 16, 1
	s_delay_alu instid0(VALU_DEP_1)
	v_add3_u32 v73, v1, v73, 0x7fff
                                        ; implicit-def: $vgpr1
; %bb.272:                              ;   in Loop: Header=BB393_10 Depth=1
	s_and_not1_saveexec_b32 s3, s1
; %bb.273:                              ;   in Loop: Header=BB393_10 Depth=1
	v_and_b32_e32 v73, 0xffff, v1
	v_or_b32_e32 v74, 0x10000, v1
	s_delay_alu instid0(VALU_DEP_2) | instskip(NEXT) | instid1(VALU_DEP_1)
	v_cmp_eq_u32_e64 s1, 0, v73
	v_cndmask_b32_e64 v73, v74, v1, s1
; %bb.274:                              ;   in Loop: Header=BB393_10 Depth=1
	s_or_b32 exec_lo, exec_lo, s3
	global_load_u16 v1, v[7:8], off offset:648
	s_mov_b32 s3, exec_lo
	s_waitcnt vmcnt(0)
	v_and_b32_e32 v74, 0xff, v1
	v_and_b32_e32 v75, 0xffff, v1
	v_mov_b32_e32 v1, 0
	s_delay_alu instid0(VALU_DEP_3)
	v_cmpx_ne_u16_e32 0, v74
	s_cbranch_execz .LBB393_282
; %bb.275:                              ;   in Loop: Header=BB393_10 Depth=1
	s_delay_alu instid0(VALU_DEP_3) | instskip(NEXT) | instid1(VALU_DEP_1)
	v_and_b32_e32 v1, 0xff, v75
	v_cmp_ne_u16_e64 s1, 0x80, v1
	v_bfrev_b32_e32 v1, 1
	s_delay_alu instid0(VALU_DEP_2)
	s_and_saveexec_b32 s39, s1
	s_cbranch_execz .LBB393_281
; %bb.276:                              ;   in Loop: Header=BB393_10 Depth=1
	v_and_b32_e32 v76, 0x7f, v75
	v_mov_b32_e32 v1, 0x7f800001
	s_mov_b32 s40, exec_lo
	s_delay_alu instid0(VALU_DEP_2)
	v_cmpx_ne_u32_e32 0x7f, v76
	s_cbranch_execz .LBB393_280
; %bb.277:                              ;   in Loop: Header=BB393_10 Depth=1
	v_and_b32_e32 v1, 7, v75
	v_lshrrev_b32_e32 v74, 3, v76
	s_mov_b32 s41, exec_lo
	v_cmpx_gt_u32_e32 8, v76
; %bb.278:                              ;   in Loop: Header=BB393_10 Depth=1
	s_delay_alu instid0(VALU_DEP_3) | instskip(NEXT) | instid1(VALU_DEP_1)
	v_clz_i32_u32_e32 v74, v1
	v_min_u32_e32 v74, 32, v74
	s_delay_alu instid0(VALU_DEP_1) | instskip(SKIP_1) | instid1(VALU_DEP_2)
	v_subrev_nc_u32_e32 v76, 28, v74
	v_sub_nc_u32_e32 v74, 29, v74
	v_lshlrev_b64 v[76:77], v76, v[1:2]
	s_delay_alu instid0(VALU_DEP_1)
	v_and_b32_e32 v1, 7, v76
; %bb.279:                              ;   in Loop: Header=BB393_10 Depth=1
	s_or_b32 exec_lo, exec_lo, s41
	v_lshlrev_b32_e32 v76, 24, v75
	s_delay_alu instid0(VALU_DEP_2) | instskip(SKIP_1) | instid1(VALU_DEP_3)
	v_lshlrev_b32_e32 v1, 20, v1
	v_lshl_add_u32 v74, v74, 23, 0x3c000000
	v_and_b32_e32 v76, 0x80000000, v76
	s_delay_alu instid0(VALU_DEP_1)
	v_or3_b32 v1, v1, v76, v74
.LBB393_280:                            ;   in Loop: Header=BB393_10 Depth=1
	s_or_b32 exec_lo, exec_lo, s40
.LBB393_281:                            ;   in Loop: Header=BB393_10 Depth=1
	s_delay_alu instid0(SALU_CYCLE_1)
	s_or_b32 exec_lo, exec_lo, s39
.LBB393_282:                            ;   in Loop: Header=BB393_10 Depth=1
	s_delay_alu instid0(SALU_CYCLE_1) | instskip(NEXT) | instid1(VALU_DEP_1)
	s_or_b32 exec_lo, exec_lo, s3
	v_mul_f32_e32 v1, s4, v1
	s_delay_alu instid0(VALU_DEP_1) | instskip(NEXT) | instid1(VALU_DEP_1)
	v_and_b32_e32 v74, 0x7f800000, v1
	v_cmp_ne_u32_e64 s1, 0x7f800000, v74
                                        ; implicit-def: $vgpr74
	s_delay_alu instid0(VALU_DEP_1) | instskip(NEXT) | instid1(SALU_CYCLE_1)
	s_and_saveexec_b32 s3, s1
	s_xor_b32 s1, exec_lo, s3
; %bb.283:                              ;   in Loop: Header=BB393_10 Depth=1
	v_bfe_u32 v74, v1, 16, 1
	s_delay_alu instid0(VALU_DEP_1)
	v_add3_u32 v74, v1, v74, 0x7fff
                                        ; implicit-def: $vgpr1
; %bb.284:                              ;   in Loop: Header=BB393_10 Depth=1
	s_and_not1_saveexec_b32 s3, s1
; %bb.285:                              ;   in Loop: Header=BB393_10 Depth=1
	v_and_b32_e32 v74, 0xffff, v1
	v_or_b32_e32 v76, 0x10000, v1
	s_delay_alu instid0(VALU_DEP_2) | instskip(NEXT) | instid1(VALU_DEP_1)
	v_cmp_eq_u32_e64 s1, 0, v74
	v_cndmask_b32_e64 v74, v76, v1, s1
; %bb.286:                              ;   in Loop: Header=BB393_10 Depth=1
	s_or_b32 exec_lo, exec_lo, s3
	v_lshrrev_b16 v76, 8, v75
	v_mov_b32_e32 v1, 0
	s_mov_b32 s3, exec_lo
	s_delay_alu instid0(VALU_DEP_2)
	v_cmpx_ne_u16_e32 0, v76
	s_cbranch_execz .LBB393_294
; %bb.287:                              ;   in Loop: Header=BB393_10 Depth=1
	v_bfrev_b32_e32 v1, 1
	s_mov_b32 s39, exec_lo
	v_cmpx_ne_u16_e32 0x80, v76
	s_cbranch_execz .LBB393_293
; %bb.288:                              ;   in Loop: Header=BB393_10 Depth=1
	v_and_b32_e32 v76, 0xffff, v76
	v_mov_b32_e32 v1, 0x7f800001
	s_mov_b32 s40, exec_lo
	s_delay_alu instid0(VALU_DEP_2) | instskip(NEXT) | instid1(VALU_DEP_1)
	v_and_b32_e32 v77, 0x7f, v76
	v_cmpx_ne_u32_e32 0x7f, v77
	s_cbranch_execz .LBB393_292
; %bb.289:                              ;   in Loop: Header=BB393_10 Depth=1
	v_and_b32_e32 v1, 7, v76
	v_lshrrev_b32_e32 v76, 3, v77
	s_mov_b32 s41, exec_lo
	v_cmpx_gt_u32_e32 8, v77
; %bb.290:                              ;   in Loop: Header=BB393_10 Depth=1
	s_delay_alu instid0(VALU_DEP_3) | instskip(NEXT) | instid1(VALU_DEP_1)
	v_clz_i32_u32_e32 v76, v1
	v_min_u32_e32 v76, 32, v76
	s_delay_alu instid0(VALU_DEP_1) | instskip(SKIP_1) | instid1(VALU_DEP_2)
	v_subrev_nc_u32_e32 v77, 28, v76
	v_sub_nc_u32_e32 v76, 29, v76
	v_lshlrev_b64 v[77:78], v77, v[1:2]
	s_delay_alu instid0(VALU_DEP_1)
	v_and_b32_e32 v1, 7, v77
; %bb.291:                              ;   in Loop: Header=BB393_10 Depth=1
	s_or_b32 exec_lo, exec_lo, s41
	v_lshlrev_b32_e32 v75, 16, v75
	s_delay_alu instid0(VALU_DEP_2) | instskip(SKIP_1) | instid1(VALU_DEP_3)
	v_lshlrev_b32_e32 v1, 20, v1
	v_lshl_add_u32 v76, v76, 23, 0x3c000000
	v_and_b32_e32 v75, 0x80000000, v75
	s_delay_alu instid0(VALU_DEP_1)
	v_or3_b32 v1, v1, v75, v76
.LBB393_292:                            ;   in Loop: Header=BB393_10 Depth=1
	s_or_b32 exec_lo, exec_lo, s40
.LBB393_293:                            ;   in Loop: Header=BB393_10 Depth=1
	s_delay_alu instid0(SALU_CYCLE_1)
	s_or_b32 exec_lo, exec_lo, s39
.LBB393_294:                            ;   in Loop: Header=BB393_10 Depth=1
	s_delay_alu instid0(SALU_CYCLE_1) | instskip(NEXT) | instid1(VALU_DEP_1)
	s_or_b32 exec_lo, exec_lo, s3
	v_mul_f32_e32 v1, s4, v1
	s_delay_alu instid0(VALU_DEP_1) | instskip(NEXT) | instid1(VALU_DEP_1)
	v_and_b32_e32 v75, 0x7f800000, v1
	v_cmp_ne_u32_e64 s1, 0x7f800000, v75
                                        ; implicit-def: $vgpr75
	s_delay_alu instid0(VALU_DEP_1) | instskip(NEXT) | instid1(SALU_CYCLE_1)
	s_and_saveexec_b32 s3, s1
	s_xor_b32 s1, exec_lo, s3
; %bb.295:                              ;   in Loop: Header=BB393_10 Depth=1
	v_bfe_u32 v75, v1, 16, 1
	s_delay_alu instid0(VALU_DEP_1)
	v_add3_u32 v75, v1, v75, 0x7fff
                                        ; implicit-def: $vgpr1
; %bb.296:                              ;   in Loop: Header=BB393_10 Depth=1
	s_and_not1_saveexec_b32 s3, s1
; %bb.297:                              ;   in Loop: Header=BB393_10 Depth=1
	v_and_b32_e32 v75, 0xffff, v1
	v_or_b32_e32 v76, 0x10000, v1
	s_delay_alu instid0(VALU_DEP_2) | instskip(NEXT) | instid1(VALU_DEP_1)
	v_cmp_eq_u32_e64 s1, 0, v75
	v_cndmask_b32_e64 v75, v76, v1, s1
; %bb.298:                              ;   in Loop: Header=BB393_10 Depth=1
	s_or_b32 exec_lo, exec_lo, s3
	global_load_u16 v1, v[7:8], off offset:768
	s_mov_b32 s3, exec_lo
	s_waitcnt vmcnt(0)
	v_and_b32_e32 v76, 0xff, v1
	v_and_b32_e32 v77, 0xffff, v1
	v_mov_b32_e32 v1, 0
	s_delay_alu instid0(VALU_DEP_3)
	v_cmpx_ne_u16_e32 0, v76
	s_cbranch_execz .LBB393_306
; %bb.299:                              ;   in Loop: Header=BB393_10 Depth=1
	s_delay_alu instid0(VALU_DEP_3) | instskip(NEXT) | instid1(VALU_DEP_1)
	v_and_b32_e32 v1, 0xff, v77
	v_cmp_ne_u16_e64 s1, 0x80, v1
	v_bfrev_b32_e32 v1, 1
	s_delay_alu instid0(VALU_DEP_2)
	s_and_saveexec_b32 s39, s1
	s_cbranch_execz .LBB393_305
; %bb.300:                              ;   in Loop: Header=BB393_10 Depth=1
	v_and_b32_e32 v78, 0x7f, v77
	v_mov_b32_e32 v1, 0x7f800001
	s_mov_b32 s40, exec_lo
	s_delay_alu instid0(VALU_DEP_2)
	v_cmpx_ne_u32_e32 0x7f, v78
	s_cbranch_execz .LBB393_304
; %bb.301:                              ;   in Loop: Header=BB393_10 Depth=1
	v_and_b32_e32 v1, 7, v77
	v_lshrrev_b32_e32 v76, 3, v78
	s_mov_b32 s41, exec_lo
	v_cmpx_gt_u32_e32 8, v78
; %bb.302:                              ;   in Loop: Header=BB393_10 Depth=1
	s_delay_alu instid0(VALU_DEP_3) | instskip(NEXT) | instid1(VALU_DEP_1)
	v_clz_i32_u32_e32 v76, v1
	v_min_u32_e32 v76, 32, v76
	s_delay_alu instid0(VALU_DEP_1) | instskip(SKIP_1) | instid1(VALU_DEP_2)
	v_subrev_nc_u32_e32 v78, 28, v76
	v_sub_nc_u32_e32 v76, 29, v76
	v_lshlrev_b64 v[78:79], v78, v[1:2]
	s_delay_alu instid0(VALU_DEP_1)
	v_and_b32_e32 v1, 7, v78
; %bb.303:                              ;   in Loop: Header=BB393_10 Depth=1
	s_or_b32 exec_lo, exec_lo, s41
	v_lshlrev_b32_e32 v78, 24, v77
	s_delay_alu instid0(VALU_DEP_2) | instskip(SKIP_1) | instid1(VALU_DEP_3)
	v_lshlrev_b32_e32 v1, 20, v1
	v_lshl_add_u32 v76, v76, 23, 0x3c000000
	v_and_b32_e32 v78, 0x80000000, v78
	s_delay_alu instid0(VALU_DEP_1)
	v_or3_b32 v1, v1, v78, v76
.LBB393_304:                            ;   in Loop: Header=BB393_10 Depth=1
	s_or_b32 exec_lo, exec_lo, s40
.LBB393_305:                            ;   in Loop: Header=BB393_10 Depth=1
	s_delay_alu instid0(SALU_CYCLE_1)
	s_or_b32 exec_lo, exec_lo, s39
.LBB393_306:                            ;   in Loop: Header=BB393_10 Depth=1
	s_delay_alu instid0(SALU_CYCLE_1) | instskip(NEXT) | instid1(VALU_DEP_1)
	s_or_b32 exec_lo, exec_lo, s3
	v_mul_f32_e32 v1, s4, v1
	s_delay_alu instid0(VALU_DEP_1) | instskip(NEXT) | instid1(VALU_DEP_1)
	v_and_b32_e32 v76, 0x7f800000, v1
	v_cmp_ne_u32_e64 s1, 0x7f800000, v76
                                        ; implicit-def: $vgpr76
	s_delay_alu instid0(VALU_DEP_1) | instskip(NEXT) | instid1(SALU_CYCLE_1)
	s_and_saveexec_b32 s3, s1
	s_xor_b32 s1, exec_lo, s3
; %bb.307:                              ;   in Loop: Header=BB393_10 Depth=1
	v_bfe_u32 v76, v1, 16, 1
	s_delay_alu instid0(VALU_DEP_1)
	v_add3_u32 v76, v1, v76, 0x7fff
                                        ; implicit-def: $vgpr1
; %bb.308:                              ;   in Loop: Header=BB393_10 Depth=1
	s_and_not1_saveexec_b32 s3, s1
; %bb.309:                              ;   in Loop: Header=BB393_10 Depth=1
	v_and_b32_e32 v76, 0xffff, v1
	v_or_b32_e32 v78, 0x10000, v1
	s_delay_alu instid0(VALU_DEP_2) | instskip(NEXT) | instid1(VALU_DEP_1)
	v_cmp_eq_u32_e64 s1, 0, v76
	v_cndmask_b32_e64 v76, v78, v1, s1
; %bb.310:                              ;   in Loop: Header=BB393_10 Depth=1
	s_or_b32 exec_lo, exec_lo, s3
	v_lshrrev_b16 v78, 8, v77
	v_mov_b32_e32 v1, 0
	s_mov_b32 s3, exec_lo
	s_delay_alu instid0(VALU_DEP_2)
	v_cmpx_ne_u16_e32 0, v78
	s_cbranch_execz .LBB393_318
; %bb.311:                              ;   in Loop: Header=BB393_10 Depth=1
	v_bfrev_b32_e32 v1, 1
	s_mov_b32 s39, exec_lo
	v_cmpx_ne_u16_e32 0x80, v78
	s_cbranch_execz .LBB393_317
; %bb.312:                              ;   in Loop: Header=BB393_10 Depth=1
	v_and_b32_e32 v78, 0xffff, v78
	v_mov_b32_e32 v1, 0x7f800001
	s_mov_b32 s40, exec_lo
	s_delay_alu instid0(VALU_DEP_2) | instskip(NEXT) | instid1(VALU_DEP_1)
	v_and_b32_e32 v79, 0x7f, v78
	v_cmpx_ne_u32_e32 0x7f, v79
	s_cbranch_execz .LBB393_316
; %bb.313:                              ;   in Loop: Header=BB393_10 Depth=1
	v_and_b32_e32 v1, 7, v78
	v_lshrrev_b32_e32 v78, 3, v79
	s_mov_b32 s41, exec_lo
	v_cmpx_gt_u32_e32 8, v79
; %bb.314:                              ;   in Loop: Header=BB393_10 Depth=1
	s_delay_alu instid0(VALU_DEP_3) | instskip(NEXT) | instid1(VALU_DEP_1)
	v_clz_i32_u32_e32 v78, v1
	v_min_u32_e32 v78, 32, v78
	s_delay_alu instid0(VALU_DEP_1) | instskip(SKIP_1) | instid1(VALU_DEP_2)
	v_subrev_nc_u32_e32 v79, 28, v78
	v_sub_nc_u32_e32 v78, 29, v78
	v_lshlrev_b64 v[79:80], v79, v[1:2]
	s_delay_alu instid0(VALU_DEP_1)
	v_and_b32_e32 v1, 7, v79
; %bb.315:                              ;   in Loop: Header=BB393_10 Depth=1
	s_or_b32 exec_lo, exec_lo, s41
	v_lshlrev_b32_e32 v77, 16, v77
	s_delay_alu instid0(VALU_DEP_2) | instskip(SKIP_1) | instid1(VALU_DEP_3)
	v_lshlrev_b32_e32 v1, 20, v1
	v_lshl_add_u32 v78, v78, 23, 0x3c000000
	v_and_b32_e32 v77, 0x80000000, v77
	s_delay_alu instid0(VALU_DEP_1)
	v_or3_b32 v1, v1, v77, v78
.LBB393_316:                            ;   in Loop: Header=BB393_10 Depth=1
	s_or_b32 exec_lo, exec_lo, s40
.LBB393_317:                            ;   in Loop: Header=BB393_10 Depth=1
	s_delay_alu instid0(SALU_CYCLE_1)
	s_or_b32 exec_lo, exec_lo, s39
.LBB393_318:                            ;   in Loop: Header=BB393_10 Depth=1
	s_delay_alu instid0(SALU_CYCLE_1) | instskip(NEXT) | instid1(VALU_DEP_1)
	s_or_b32 exec_lo, exec_lo, s3
	v_mul_f32_e32 v1, s4, v1
	s_delay_alu instid0(VALU_DEP_1) | instskip(NEXT) | instid1(VALU_DEP_1)
	v_and_b32_e32 v77, 0x7f800000, v1
	v_cmp_ne_u32_e64 s1, 0x7f800000, v77
                                        ; implicit-def: $vgpr77
	s_delay_alu instid0(VALU_DEP_1) | instskip(NEXT) | instid1(SALU_CYCLE_1)
	s_and_saveexec_b32 s3, s1
	s_xor_b32 s1, exec_lo, s3
; %bb.319:                              ;   in Loop: Header=BB393_10 Depth=1
	v_bfe_u32 v77, v1, 16, 1
	s_delay_alu instid0(VALU_DEP_1)
	v_add3_u32 v77, v1, v77, 0x7fff
                                        ; implicit-def: $vgpr1
; %bb.320:                              ;   in Loop: Header=BB393_10 Depth=1
	s_and_not1_saveexec_b32 s3, s1
; %bb.321:                              ;   in Loop: Header=BB393_10 Depth=1
	v_and_b32_e32 v77, 0xffff, v1
	v_or_b32_e32 v78, 0x10000, v1
	s_delay_alu instid0(VALU_DEP_2) | instskip(NEXT) | instid1(VALU_DEP_1)
	v_cmp_eq_u32_e64 s1, 0, v77
	v_cndmask_b32_e64 v77, v78, v1, s1
; %bb.322:                              ;   in Loop: Header=BB393_10 Depth=1
	s_or_b32 exec_lo, exec_lo, s3
	global_load_u16 v1, v[7:8], off offset:776
	s_mov_b32 s3, exec_lo
	s_waitcnt vmcnt(0)
	v_and_b32_e32 v78, 0xff, v1
	v_and_b32_e32 v79, 0xffff, v1
	v_mov_b32_e32 v1, 0
	s_delay_alu instid0(VALU_DEP_3)
	v_cmpx_ne_u16_e32 0, v78
	s_cbranch_execz .LBB393_330
; %bb.323:                              ;   in Loop: Header=BB393_10 Depth=1
	s_delay_alu instid0(VALU_DEP_3) | instskip(NEXT) | instid1(VALU_DEP_1)
	v_and_b32_e32 v1, 0xff, v79
	v_cmp_ne_u16_e64 s1, 0x80, v1
	v_bfrev_b32_e32 v1, 1
	s_delay_alu instid0(VALU_DEP_2)
	s_and_saveexec_b32 s39, s1
	s_cbranch_execz .LBB393_329
; %bb.324:                              ;   in Loop: Header=BB393_10 Depth=1
	v_and_b32_e32 v80, 0x7f, v79
	v_mov_b32_e32 v1, 0x7f800001
	s_mov_b32 s40, exec_lo
	s_delay_alu instid0(VALU_DEP_2)
	v_cmpx_ne_u32_e32 0x7f, v80
	s_cbranch_execz .LBB393_328
; %bb.325:                              ;   in Loop: Header=BB393_10 Depth=1
	v_and_b32_e32 v1, 7, v79
	v_lshrrev_b32_e32 v78, 3, v80
	s_mov_b32 s41, exec_lo
	v_cmpx_gt_u32_e32 8, v80
; %bb.326:                              ;   in Loop: Header=BB393_10 Depth=1
	s_delay_alu instid0(VALU_DEP_3) | instskip(NEXT) | instid1(VALU_DEP_1)
	v_clz_i32_u32_e32 v78, v1
	v_min_u32_e32 v78, 32, v78
	s_delay_alu instid0(VALU_DEP_1) | instskip(SKIP_1) | instid1(VALU_DEP_2)
	v_subrev_nc_u32_e32 v80, 28, v78
	v_sub_nc_u32_e32 v78, 29, v78
	v_lshlrev_b64 v[80:81], v80, v[1:2]
	s_delay_alu instid0(VALU_DEP_1)
	v_and_b32_e32 v1, 7, v80
; %bb.327:                              ;   in Loop: Header=BB393_10 Depth=1
	s_or_b32 exec_lo, exec_lo, s41
	v_lshlrev_b32_e32 v80, 24, v79
	s_delay_alu instid0(VALU_DEP_2) | instskip(SKIP_1) | instid1(VALU_DEP_3)
	v_lshlrev_b32_e32 v1, 20, v1
	v_lshl_add_u32 v78, v78, 23, 0x3c000000
	v_and_b32_e32 v80, 0x80000000, v80
	s_delay_alu instid0(VALU_DEP_1)
	v_or3_b32 v1, v1, v80, v78
.LBB393_328:                            ;   in Loop: Header=BB393_10 Depth=1
	s_or_b32 exec_lo, exec_lo, s40
.LBB393_329:                            ;   in Loop: Header=BB393_10 Depth=1
	s_delay_alu instid0(SALU_CYCLE_1)
	s_or_b32 exec_lo, exec_lo, s39
.LBB393_330:                            ;   in Loop: Header=BB393_10 Depth=1
	s_delay_alu instid0(SALU_CYCLE_1) | instskip(NEXT) | instid1(VALU_DEP_1)
	s_or_b32 exec_lo, exec_lo, s3
	v_mul_f32_e32 v1, s4, v1
	s_delay_alu instid0(VALU_DEP_1) | instskip(NEXT) | instid1(VALU_DEP_1)
	v_and_b32_e32 v78, 0x7f800000, v1
	v_cmp_ne_u32_e64 s1, 0x7f800000, v78
                                        ; implicit-def: $vgpr78
	s_delay_alu instid0(VALU_DEP_1) | instskip(NEXT) | instid1(SALU_CYCLE_1)
	s_and_saveexec_b32 s3, s1
	s_xor_b32 s1, exec_lo, s3
; %bb.331:                              ;   in Loop: Header=BB393_10 Depth=1
	v_bfe_u32 v78, v1, 16, 1
	s_delay_alu instid0(VALU_DEP_1)
	v_add3_u32 v78, v1, v78, 0x7fff
                                        ; implicit-def: $vgpr1
; %bb.332:                              ;   in Loop: Header=BB393_10 Depth=1
	s_and_not1_saveexec_b32 s3, s1
; %bb.333:                              ;   in Loop: Header=BB393_10 Depth=1
	v_and_b32_e32 v78, 0xffff, v1
	v_or_b32_e32 v80, 0x10000, v1
	s_delay_alu instid0(VALU_DEP_2) | instskip(NEXT) | instid1(VALU_DEP_1)
	v_cmp_eq_u32_e64 s1, 0, v78
	v_cndmask_b32_e64 v78, v80, v1, s1
; %bb.334:                              ;   in Loop: Header=BB393_10 Depth=1
	s_or_b32 exec_lo, exec_lo, s3
	v_lshrrev_b16 v80, 8, v79
	v_mov_b32_e32 v1, 0
	s_mov_b32 s3, exec_lo
	s_delay_alu instid0(VALU_DEP_2)
	v_cmpx_ne_u16_e32 0, v80
	s_cbranch_execz .LBB393_342
; %bb.335:                              ;   in Loop: Header=BB393_10 Depth=1
	v_bfrev_b32_e32 v1, 1
	s_mov_b32 s39, exec_lo
	v_cmpx_ne_u16_e32 0x80, v80
	s_cbranch_execz .LBB393_341
; %bb.336:                              ;   in Loop: Header=BB393_10 Depth=1
	v_and_b32_e32 v80, 0xffff, v80
	v_mov_b32_e32 v1, 0x7f800001
	s_mov_b32 s40, exec_lo
	s_delay_alu instid0(VALU_DEP_2) | instskip(NEXT) | instid1(VALU_DEP_1)
	v_and_b32_e32 v81, 0x7f, v80
	v_cmpx_ne_u32_e32 0x7f, v81
	s_cbranch_execz .LBB393_340
; %bb.337:                              ;   in Loop: Header=BB393_10 Depth=1
	v_and_b32_e32 v1, 7, v80
	v_lshrrev_b32_e32 v80, 3, v81
	s_mov_b32 s41, exec_lo
	v_cmpx_gt_u32_e32 8, v81
; %bb.338:                              ;   in Loop: Header=BB393_10 Depth=1
	s_delay_alu instid0(VALU_DEP_3) | instskip(NEXT) | instid1(VALU_DEP_1)
	v_clz_i32_u32_e32 v80, v1
	v_min_u32_e32 v80, 32, v80
	s_delay_alu instid0(VALU_DEP_1) | instskip(SKIP_1) | instid1(VALU_DEP_2)
	v_subrev_nc_u32_e32 v81, 28, v80
	v_sub_nc_u32_e32 v80, 29, v80
	v_lshlrev_b64 v[81:82], v81, v[1:2]
	s_delay_alu instid0(VALU_DEP_1)
	v_and_b32_e32 v1, 7, v81
; %bb.339:                              ;   in Loop: Header=BB393_10 Depth=1
	s_or_b32 exec_lo, exec_lo, s41
	v_lshlrev_b32_e32 v79, 16, v79
	s_delay_alu instid0(VALU_DEP_2) | instskip(SKIP_1) | instid1(VALU_DEP_3)
	v_lshlrev_b32_e32 v1, 20, v1
	v_lshl_add_u32 v80, v80, 23, 0x3c000000
	v_and_b32_e32 v79, 0x80000000, v79
	s_delay_alu instid0(VALU_DEP_1)
	v_or3_b32 v1, v1, v79, v80
.LBB393_340:                            ;   in Loop: Header=BB393_10 Depth=1
	s_or_b32 exec_lo, exec_lo, s40
.LBB393_341:                            ;   in Loop: Header=BB393_10 Depth=1
	s_delay_alu instid0(SALU_CYCLE_1)
	s_or_b32 exec_lo, exec_lo, s39
.LBB393_342:                            ;   in Loop: Header=BB393_10 Depth=1
	s_delay_alu instid0(SALU_CYCLE_1) | instskip(NEXT) | instid1(VALU_DEP_1)
	s_or_b32 exec_lo, exec_lo, s3
	v_mul_f32_e32 v1, s4, v1
	s_delay_alu instid0(VALU_DEP_1) | instskip(NEXT) | instid1(VALU_DEP_1)
	v_and_b32_e32 v79, 0x7f800000, v1
	v_cmp_ne_u32_e64 s1, 0x7f800000, v79
                                        ; implicit-def: $vgpr79
	s_delay_alu instid0(VALU_DEP_1) | instskip(NEXT) | instid1(SALU_CYCLE_1)
	s_and_saveexec_b32 s3, s1
	s_xor_b32 s1, exec_lo, s3
; %bb.343:                              ;   in Loop: Header=BB393_10 Depth=1
	v_bfe_u32 v79, v1, 16, 1
	s_delay_alu instid0(VALU_DEP_1)
	v_add3_u32 v79, v1, v79, 0x7fff
                                        ; implicit-def: $vgpr1
; %bb.344:                              ;   in Loop: Header=BB393_10 Depth=1
	s_and_not1_saveexec_b32 s3, s1
; %bb.345:                              ;   in Loop: Header=BB393_10 Depth=1
	v_and_b32_e32 v79, 0xffff, v1
	v_or_b32_e32 v80, 0x10000, v1
	s_delay_alu instid0(VALU_DEP_2) | instskip(NEXT) | instid1(VALU_DEP_1)
	v_cmp_eq_u32_e64 s1, 0, v79
	v_cndmask_b32_e64 v79, v80, v1, s1
; %bb.346:                              ;   in Loop: Header=BB393_10 Depth=1
	s_or_b32 exec_lo, exec_lo, s3
	global_load_u16 v1, v[7:8], off offset:896
	s_mov_b32 s3, exec_lo
	s_waitcnt vmcnt(0)
	v_and_b32_e32 v7, 0xff, v1
	v_dual_mov_b32 v1, 0 :: v_dual_and_b32 v8, 0xffff, v1
	s_delay_alu instid0(VALU_DEP_2)
	v_cmpx_ne_u16_e32 0, v7
	s_cbranch_execz .LBB393_354
; %bb.347:                              ;   in Loop: Header=BB393_10 Depth=1
	s_delay_alu instid0(VALU_DEP_2) | instskip(NEXT) | instid1(VALU_DEP_1)
	v_and_b32_e32 v1, 0xff, v8
	v_cmp_ne_u16_e64 s1, 0x80, v1
	v_bfrev_b32_e32 v1, 1
	s_delay_alu instid0(VALU_DEP_2)
	s_and_saveexec_b32 s39, s1
	s_cbranch_execz .LBB393_353
; %bb.348:                              ;   in Loop: Header=BB393_10 Depth=1
	v_and_b32_e32 v80, 0x7f, v8
	v_mov_b32_e32 v1, 0x7f800001
	s_mov_b32 s40, exec_lo
	s_delay_alu instid0(VALU_DEP_2)
	v_cmpx_ne_u32_e32 0x7f, v80
	s_cbranch_execz .LBB393_352
; %bb.349:                              ;   in Loop: Header=BB393_10 Depth=1
	v_and_b32_e32 v1, 7, v8
	v_lshrrev_b32_e32 v7, 3, v80
	s_mov_b32 s41, exec_lo
	v_cmpx_gt_u32_e32 8, v80
; %bb.350:                              ;   in Loop: Header=BB393_10 Depth=1
	s_delay_alu instid0(VALU_DEP_3) | instskip(NEXT) | instid1(VALU_DEP_1)
	v_clz_i32_u32_e32 v7, v1
	v_min_u32_e32 v7, 32, v7
	s_delay_alu instid0(VALU_DEP_1) | instskip(SKIP_1) | instid1(VALU_DEP_2)
	v_subrev_nc_u32_e32 v80, 28, v7
	v_sub_nc_u32_e32 v7, 29, v7
	v_lshlrev_b64 v[80:81], v80, v[1:2]
	s_delay_alu instid0(VALU_DEP_1)
	v_and_b32_e32 v1, 7, v80
; %bb.351:                              ;   in Loop: Header=BB393_10 Depth=1
	s_or_b32 exec_lo, exec_lo, s41
	v_lshlrev_b32_e32 v80, 24, v8
	s_delay_alu instid0(VALU_DEP_2) | instskip(SKIP_1) | instid1(VALU_DEP_3)
	v_lshlrev_b32_e32 v1, 20, v1
	v_lshl_add_u32 v7, v7, 23, 0x3c000000
	v_and_b32_e32 v80, 0x80000000, v80
	s_delay_alu instid0(VALU_DEP_1)
	v_or3_b32 v1, v1, v80, v7
.LBB393_352:                            ;   in Loop: Header=BB393_10 Depth=1
	s_or_b32 exec_lo, exec_lo, s40
.LBB393_353:                            ;   in Loop: Header=BB393_10 Depth=1
	s_delay_alu instid0(SALU_CYCLE_1)
	s_or_b32 exec_lo, exec_lo, s39
.LBB393_354:                            ;   in Loop: Header=BB393_10 Depth=1
	s_delay_alu instid0(SALU_CYCLE_1) | instskip(NEXT) | instid1(VALU_DEP_1)
	s_or_b32 exec_lo, exec_lo, s3
	v_mul_f32_e32 v1, s4, v1
	s_delay_alu instid0(VALU_DEP_1) | instskip(NEXT) | instid1(VALU_DEP_1)
	v_and_b32_e32 v7, 0x7f800000, v1
	v_cmp_ne_u32_e64 s1, 0x7f800000, v7
                                        ; implicit-def: $vgpr7
	s_delay_alu instid0(VALU_DEP_1) | instskip(NEXT) | instid1(SALU_CYCLE_1)
	s_and_saveexec_b32 s3, s1
	s_xor_b32 s1, exec_lo, s3
; %bb.355:                              ;   in Loop: Header=BB393_10 Depth=1
	v_bfe_u32 v7, v1, 16, 1
	s_delay_alu instid0(VALU_DEP_1)
	v_add3_u32 v7, v1, v7, 0x7fff
                                        ; implicit-def: $vgpr1
; %bb.356:                              ;   in Loop: Header=BB393_10 Depth=1
	s_and_not1_saveexec_b32 s3, s1
; %bb.357:                              ;   in Loop: Header=BB393_10 Depth=1
	v_and_b32_e32 v7, 0xffff, v1
	v_or_b32_e32 v80, 0x10000, v1
	s_delay_alu instid0(VALU_DEP_2) | instskip(NEXT) | instid1(VALU_DEP_1)
	v_cmp_eq_u32_e64 s1, 0, v7
	v_cndmask_b32_e64 v7, v80, v1, s1
; %bb.358:                              ;   in Loop: Header=BB393_10 Depth=1
	s_or_b32 exec_lo, exec_lo, s3
	v_lshrrev_b16 v80, 8, v8
	v_mov_b32_e32 v1, 0
	s_mov_b32 s3, exec_lo
	s_delay_alu instid0(VALU_DEP_2)
	v_cmpx_ne_u16_e32 0, v80
	s_cbranch_execz .LBB393_366
; %bb.359:                              ;   in Loop: Header=BB393_10 Depth=1
	v_bfrev_b32_e32 v1, 1
	s_mov_b32 s39, exec_lo
	v_cmpx_ne_u16_e32 0x80, v80
	s_cbranch_execz .LBB393_365
; %bb.360:                              ;   in Loop: Header=BB393_10 Depth=1
	v_and_b32_e32 v80, 0xffff, v80
	v_mov_b32_e32 v1, 0x7f800001
	s_mov_b32 s40, exec_lo
	s_delay_alu instid0(VALU_DEP_2) | instskip(NEXT) | instid1(VALU_DEP_1)
	v_and_b32_e32 v81, 0x7f, v80
	v_cmpx_ne_u32_e32 0x7f, v81
	s_cbranch_execz .LBB393_364
; %bb.361:                              ;   in Loop: Header=BB393_10 Depth=1
	v_and_b32_e32 v1, 7, v80
	v_lshrrev_b32_e32 v80, 3, v81
	s_mov_b32 s41, exec_lo
	v_cmpx_gt_u32_e32 8, v81
; %bb.362:                              ;   in Loop: Header=BB393_10 Depth=1
	s_delay_alu instid0(VALU_DEP_3) | instskip(NEXT) | instid1(VALU_DEP_1)
	v_clz_i32_u32_e32 v80, v1
	v_min_u32_e32 v80, 32, v80
	s_delay_alu instid0(VALU_DEP_1) | instskip(SKIP_1) | instid1(VALU_DEP_2)
	v_subrev_nc_u32_e32 v81, 28, v80
	v_sub_nc_u32_e32 v80, 29, v80
	v_lshlrev_b64 v[81:82], v81, v[1:2]
	s_delay_alu instid0(VALU_DEP_1)
	v_and_b32_e32 v1, 7, v81
; %bb.363:                              ;   in Loop: Header=BB393_10 Depth=1
	s_or_b32 exec_lo, exec_lo, s41
	v_lshlrev_b32_e32 v8, 16, v8
	s_delay_alu instid0(VALU_DEP_2) | instskip(SKIP_1) | instid1(VALU_DEP_3)
	v_lshlrev_b32_e32 v1, 20, v1
	v_lshl_add_u32 v80, v80, 23, 0x3c000000
	v_and_b32_e32 v8, 0x80000000, v8
	s_delay_alu instid0(VALU_DEP_1)
	v_or3_b32 v1, v1, v8, v80
.LBB393_364:                            ;   in Loop: Header=BB393_10 Depth=1
	s_or_b32 exec_lo, exec_lo, s40
.LBB393_365:                            ;   in Loop: Header=BB393_10 Depth=1
	s_delay_alu instid0(SALU_CYCLE_1)
	s_or_b32 exec_lo, exec_lo, s39
.LBB393_366:                            ;   in Loop: Header=BB393_10 Depth=1
	s_delay_alu instid0(SALU_CYCLE_1) | instskip(NEXT) | instid1(VALU_DEP_1)
	s_or_b32 exec_lo, exec_lo, s3
	v_mul_f32_e32 v8, s4, v1
	s_delay_alu instid0(VALU_DEP_1) | instskip(NEXT) | instid1(VALU_DEP_1)
	v_and_b32_e32 v1, 0x7f800000, v8
	v_cmp_ne_u32_e64 s1, 0x7f800000, v1
                                        ; implicit-def: $vgpr1
	s_delay_alu instid0(VALU_DEP_1) | instskip(NEXT) | instid1(SALU_CYCLE_1)
	s_and_saveexec_b32 s3, s1
	s_xor_b32 s1, exec_lo, s3
; %bb.367:                              ;   in Loop: Header=BB393_10 Depth=1
	v_bfe_u32 v1, v8, 16, 1
	s_delay_alu instid0(VALU_DEP_1)
	v_add3_u32 v1, v8, v1, 0x7fff
                                        ; implicit-def: $vgpr8
; %bb.368:                              ;   in Loop: Header=BB393_10 Depth=1
	s_and_not1_saveexec_b32 s3, s1
; %bb.369:                              ;   in Loop: Header=BB393_10 Depth=1
	v_and_b32_e32 v1, 0xffff, v8
	v_or_b32_e32 v80, 0x10000, v8
	s_delay_alu instid0(VALU_DEP_2) | instskip(NEXT) | instid1(VALU_DEP_1)
	v_cmp_eq_u32_e64 s1, 0, v1
	v_cndmask_b32_e64 v1, v80, v8, s1
; %bb.370:                              ;   in Loop: Header=BB393_10 Depth=1
	s_or_b32 exec_lo, exec_lo, s3
	v_and_b32_e32 v8, 0xffff0000, v54
	v_and_b32_e32 v54, 0xffff0000, v55
	;; [unrolled: 1-line block ×5, first 2 shown]
	v_mul_f32_e32 v8, v17, v8
	v_dual_mul_f32 v54, v19, v54 :: v_dual_and_b32 v55, 0xffff0000, v57
	v_and_b32_e32 v1, 0xffff0000, v1
	s_delay_alu instid0(VALU_DEP_3) | instskip(NEXT) | instid1(VALU_DEP_3)
	v_dual_fmac_f32 v8, v15, v52 :: v_dual_and_b32 v7, 0xffff0000, v7
	v_dual_fmac_f32 v54, v16, v53 :: v_dual_and_b32 v53, 0xffff0000, v58
	v_and_b32_e32 v52, 0xffff0000, v59
	s_delay_alu instid0(VALU_DEP_3) | instskip(SKIP_1) | instid1(VALU_DEP_2)
	v_fmac_f32_e32 v8, v20, v56
	v_and_b32_e32 v56, 0xffff0000, v60
	v_dual_fmac_f32 v8, v22, v53 :: v_dual_and_b32 v53, 0xffff0000, v62
	v_dual_fmac_f32 v54, v21, v55 :: v_dual_and_b32 v55, 0xffff0000, v61
	s_delay_alu instid0(VALU_DEP_2) | instskip(SKIP_1) | instid1(VALU_DEP_3)
	v_fmac_f32_e32 v8, v24, v56
	v_and_b32_e32 v56, 0xffff0000, v64
	v_fmac_f32_e32 v54, v23, v52
	v_and_b32_e32 v52, 0xffff0000, v63
	s_delay_alu instid0(VALU_DEP_4) | instskip(NEXT) | instid1(VALU_DEP_3)
	v_dual_fmac_f32 v8, v26, v53 :: v_dual_and_b32 v53, 0xffff0000, v66
	v_dual_fmac_f32 v54, v25, v55 :: v_dual_and_b32 v55, 0xffff0000, v65
	s_delay_alu instid0(VALU_DEP_2) | instskip(SKIP_1) | instid1(VALU_DEP_3)
	v_fmac_f32_e32 v8, v28, v56
	v_and_b32_e32 v56, 0xffff0000, v68
	v_fmac_f32_e32 v54, v27, v52
	v_and_b32_e32 v52, 0xffff0000, v67
	s_delay_alu instid0(VALU_DEP_4) | instskip(NEXT) | instid1(VALU_DEP_3)
	;; [unrolled: 8-line block ×4, first 2 shown]
	v_dual_fmac_f32 v8, v38, v53 :: v_dual_and_b32 v53, 0xffff0000, v78
	v_dual_fmac_f32 v54, v37, v55 :: v_dual_and_b32 v55, 0xffff0000, v77
	s_delay_alu instid0(VALU_DEP_2) | instskip(NEXT) | instid1(VALU_DEP_2)
	v_fmac_f32_e32 v8, v40, v56
	v_fmac_f32_e32 v54, v39, v52
	v_and_b32_e32 v52, 0xffff0000, v79
	s_delay_alu instid0(VALU_DEP_3) | instskip(NEXT) | instid1(VALU_DEP_3)
	v_fmac_f32_e32 v8, v42, v53
	v_fmac_f32_e32 v54, v41, v55
	s_delay_alu instid0(VALU_DEP_2) | instskip(NEXT) | instid1(VALU_DEP_2)
	v_fmac_f32_e32 v8, v44, v7
	v_fmac_f32_e32 v54, v43, v52
	s_delay_alu instid0(VALU_DEP_1) | instskip(NEXT) | instid1(VALU_DEP_1)
	v_fmac_f32_e32 v54, v46, v1
	v_add_f32_e32 v1, v8, v54
	ds_bpermute_b32 v7, v47, v1
	s_waitcnt lgkmcnt(0)
	v_add_f32_e32 v1, v1, v7
	ds_bpermute_b32 v7, v48, v1
	s_and_saveexec_b32 s3, vcc_lo
	s_cbranch_execz .LBB393_9
; %bb.371:                              ;   in Loop: Header=BB393_10 Depth=1
	s_waitcnt lgkmcnt(0)
	v_dual_add_f32 v1, v1, v7 :: v_dual_add_nc_u32 v8, s5, v49
	v_cmp_gt_i32_e64 s1, s33, v49
	s_delay_alu instid0(VALU_DEP_2) | instskip(NEXT) | instid1(VALU_DEP_1)
	v_cvt_f32_i32_e32 v8, v8
	v_mul_f32_e32 v8, s12, v8
	s_delay_alu instid0(VALU_DEP_1) | instskip(SKIP_1) | instid1(VALU_DEP_2)
	v_cndmask_b32_e64 v7, 0, v8, s0
	v_max_f32_e32 v8, v45, v45
	v_fmac_f32_e32 v7, s13, v1
	s_delay_alu instid0(VALU_DEP_1) | instskip(SKIP_1) | instid1(VALU_DEP_2)
	v_max_f32_e32 v1, v8, v7
	v_cndmask_b32_e64 v7, 0, v7, s1
	v_cndmask_b32_e64 v45, v45, v1, s1
	ds_store_b32 v50, v7
	s_branch .LBB393_9
.LBB393_372:
	s_or_b32 exec_lo, exec_lo, s10
.LBB393_373:
	s_delay_alu instid0(SALU_CYCLE_1) | instskip(SKIP_4) | instid1(VALU_DEP_4)
	s_or_b32 exec_lo, exec_lo, s21
	v_xor_b32_e32 v1, 16, v10
	v_xor_b32_e32 v3, 8, v10
	v_max_f32_e32 v5, v45, v45
	v_and_b32_e32 v19, 31, v0
	v_cmp_lt_i32_e32 vcc_lo, v1, v11
	v_cndmask_b32_e32 v1, v10, v1, vcc_lo
	v_cmp_lt_i32_e32 vcc_lo, v3, v11
	v_cndmask_b32_e32 v3, v10, v3, vcc_lo
	s_delay_alu instid0(VALU_DEP_1) | instskip(NEXT) | instid1(VALU_DEP_4)
	v_lshlrev_b32_e32 v4, 2, v3
	v_lshlrev_b32_e32 v2, 2, v1
	ds_bpermute_b32 v1, v2, v45
	s_waitcnt lgkmcnt(0)
	v_max_f32_e32 v1, v1, v1
	s_delay_alu instid0(VALU_DEP_1)
	v_max_f32_e32 v1, v5, v1
	v_xor_b32_e32 v5, 4, v10
	ds_bpermute_b32 v3, v4, v1
	v_cmp_lt_i32_e32 vcc_lo, v5, v11
	v_cndmask_b32_e32 v5, v10, v5, vcc_lo
	v_cmp_eq_u32_e32 vcc_lo, 0, v19
	s_delay_alu instid0(VALU_DEP_2) | instskip(SKIP_3) | instid1(VALU_DEP_1)
	v_lshlrev_b32_e32 v7, 2, v5
	v_lshlrev_b32_e32 v5, 2, v18
	s_waitcnt lgkmcnt(0)
	v_max_f32_e32 v3, v3, v3
	v_max_f32_e32 v1, v1, v3
	ds_bpermute_b32 v3, v7, v1
	s_and_saveexec_b32 s0, vcc_lo
	s_cbranch_execz .LBB393_375
; %bb.374:
	s_waitcnt lgkmcnt(0)
	v_max_f32_e32 v3, v3, v3
	v_max_f32_e32 v1, v1, v1
	s_delay_alu instid0(VALU_DEP_1)
	v_max_f32_e32 v1, v1, v3
	ds_store_b32 v5, v1 offset:240
.LBB393_375:
	s_or_b32 exec_lo, exec_lo, s0
	v_cmp_gt_u32_e64 s0, 4, v19
	v_dual_mov_b32 v1, 0xff7fffff :: v_dual_lshlrev_b32 v6, 2, v19
	s_waitcnt lgkmcnt(0)
	s_barrier
	buffer_gl0_inv
	s_and_saveexec_b32 s1, s0
	s_cbranch_execz .LBB393_377
; %bb.376:
	ds_load_b32 v1, v6 offset:240
.LBB393_377:
	s_or_b32 exec_lo, exec_lo, s1
	v_xor_b32_e32 v3, 2, v10
	v_xor_b32_e32 v12, 1, v10
	s_delay_alu instid0(VALU_DEP_2) | instskip(NEXT) | instid1(VALU_DEP_1)
	v_cmp_lt_i32_e64 s1, v3, v11
	v_cndmask_b32_e64 v3, v10, v3, s1
	s_delay_alu instid0(VALU_DEP_3) | instskip(NEXT) | instid1(VALU_DEP_2)
	v_cmp_lt_i32_e64 s1, v12, v11
	v_lshlrev_b32_e32 v8, 2, v3
	s_delay_alu instid0(VALU_DEP_2)
	v_cndmask_b32_e64 v11, v10, v12, s1
	s_sub_i32 s1, s23, s11
	v_mov_b32_e32 v12, 0
	s_lshl_b32 s1, s1, 3
	s_waitcnt lgkmcnt(0)
	ds_bpermute_b32 v3, v8, v1
	v_max_f32_e32 v1, v1, v1
	v_lshlrev_b32_e32 v11, 2, v11
	s_add_i32 s1, s1, s36
	v_lshlrev_b32_e32 v10, 2, v10
	s_min_i32 s1, s1, s33
	s_delay_alu instid0(SALU_CYCLE_1) | instskip(NEXT) | instid1(SALU_CYCLE_1)
	s_sub_i32 s4, s1, s36
	v_cmp_gt_i32_e64 s1, s4, v0
	s_waitcnt lgkmcnt(0)
	v_dual_max_f32 v3, v3, v3 :: v_dual_and_b32 v10, 0xffffff80, v10
	s_delay_alu instid0(VALU_DEP_1) | instskip(SKIP_3) | instid1(VALU_DEP_1)
	v_max_f32_e32 v1, v1, v3
	ds_bpermute_b32 v3, v11, v1
	s_waitcnt lgkmcnt(0)
	v_max_f32_e32 v3, v3, v3
	v_max_f32_e32 v1, v1, v3
	v_lshl_add_u32 v3, v0, 2, 0x110
	ds_bpermute_b32 v1, v10, v1
	s_and_saveexec_b32 s5, s1
	s_cbranch_execz .LBB393_381
; %bb.378:
	v_lshl_add_u32 v15, v0, 2, 0x110
	v_mov_b32_e32 v12, 0
	v_mov_b32_e32 v16, v0
	s_mov_b32 s10, 0
	.p2align	6
.LBB393_379:                            ; =>This Inner Loop Header: Depth=1
	ds_load_b32 v17, v15
	v_add_nc_u32_e32 v16, 0x80, v16
	s_delay_alu instid0(VALU_DEP_1) | instskip(NEXT) | instid1(VALU_DEP_1)
	v_cmp_le_i32_e64 s3, s4, v16
	s_or_b32 s10, s3, s10
	s_waitcnt lgkmcnt(0)
	v_sub_f32_e32 v17, v17, v1
	s_delay_alu instid0(VALU_DEP_1) | instskip(NEXT) | instid1(VALU_DEP_1)
	v_mul_f32_e32 v17, 0x3fb8aa3b, v17
	v_exp_f32_e32 v17, v17
	ds_store_b32 v15, v17
	v_dual_add_f32 v12, v12, v17 :: v_dual_add_nc_u32 v15, 0x200, v15
	s_and_not1_b32 exec_lo, exec_lo, s10
	s_cbranch_execnz .LBB393_379
; %bb.380:
	s_or_b32 exec_lo, exec_lo, s10
.LBB393_381:
	s_delay_alu instid0(SALU_CYCLE_1)
	s_or_b32 exec_lo, exec_lo, s5
	ds_bpermute_b32 v2, v2, v12
	s_waitcnt lgkmcnt(0)
	v_add_f32_e32 v2, v12, v2
	ds_bpermute_b32 v4, v4, v2
	s_waitcnt lgkmcnt(0)
	v_add_f32_e32 v2, v2, v4
	;; [unrolled: 3-line block ×5, first 2 shown]
	s_and_saveexec_b32 s3, vcc_lo
	s_cbranch_execz .LBB393_383
; %bb.382:
	ds_store_b32 v5, v2 offset:256
.LBB393_383:
	s_or_b32 exec_lo, exec_lo, s3
	s_waitcnt lgkmcnt(0)
	s_barrier
	buffer_gl0_inv
	s_and_saveexec_b32 s3, s0
	s_cbranch_execz .LBB393_385
; %bb.384:
	ds_load_b32 v2, v6 offset:256
.LBB393_385:
	s_or_b32 exec_lo, exec_lo, s3
	s_waitcnt lgkmcnt(0)
	ds_bpermute_b32 v4, v8, v2
	s_waitcnt lgkmcnt(0)
	v_add_f32_e32 v2, v2, v4
	ds_bpermute_b32 v4, v11, v2
	s_waitcnt lgkmcnt(0)
	v_add_f32_e32 v2, v2, v4
	ds_bpermute_b32 v2, v10, v2
	s_and_saveexec_b32 s0, s1
	s_cbranch_execz .LBB393_388
; %bb.386:
	s_waitcnt lgkmcnt(0)
	v_add_f32_e32 v4, 0x358637bd, v2
	s_mov_b32 s1, 0
	s_delay_alu instid0(VALU_DEP_1) | instskip(SKIP_1) | instid1(VALU_DEP_2)
	v_div_scale_f32 v5, null, v4, v4, 1.0
	v_div_scale_f32 v8, vcc_lo, 1.0, v4, 1.0
	v_rcp_f32_e32 v6, v5
	s_waitcnt_depctr 0xfff
	v_fma_f32 v7, -v5, v6, 1.0
	s_delay_alu instid0(VALU_DEP_1) | instskip(NEXT) | instid1(VALU_DEP_1)
	v_fmac_f32_e32 v6, v7, v6
	v_mul_f32_e32 v7, v8, v6
	s_delay_alu instid0(VALU_DEP_1) | instskip(NEXT) | instid1(VALU_DEP_1)
	v_fma_f32 v10, -v5, v7, v8
	v_fmac_f32_e32 v7, v10, v6
	s_delay_alu instid0(VALU_DEP_1) | instskip(NEXT) | instid1(VALU_DEP_1)
	v_fma_f32 v5, -v5, v7, v8
	v_div_fmas_f32 v5, v5, v6, v7
	s_delay_alu instid0(VALU_DEP_1)
	v_div_fixup_f32 v4, v5, v4, 1.0
	v_mov_b32_e32 v5, v0
.LBB393_387:                            ; =>This Inner Loop Header: Depth=1
	ds_load_b32 v6, v3
	s_waitcnt lgkmcnt(0)
	v_dual_mul_f32 v6, v4, v6 :: v_dual_add_nc_u32 v5, 0x80, v5
	s_delay_alu instid0(VALU_DEP_1) | instskip(SKIP_3) | instid1(SALU_CYCLE_1)
	v_cmp_le_i32_e32 vcc_lo, s4, v5
	ds_store_b32 v3, v6
	v_add_nc_u32_e32 v3, 0x200, v3
	s_or_b32 s1, vcc_lo, s1
	s_and_not1_b32 exec_lo, exec_lo, s1
	s_cbranch_execnz .LBB393_387
.LBB393_388:
	s_or_b32 exec_lo, exec_lo, s0
	s_mul_i32 s0, s8, s14
	s_mov_b32 s12, 0
	s_mul_i32 s10, s0, s15
	s_mov_b32 s0, exec_lo
	s_waitcnt lgkmcnt(0)
	s_barrier
	buffer_gl0_inv
	v_cmpx_eq_u32_e32 0, v0
	s_cbranch_execz .LBB393_390
; %bb.389:
	s_ashr_i32 s11, s10, 31
	s_mul_i32 s14, s8, s26
	s_lshl_b64 s[4:5], s[10:11], 2
	v_mov_b32_e32 v3, 0
	s_add_u32 s1, s18, s4
	s_addc_u32 s3, s19, s5
	s_ashr_i32 s15, s14, 31
	s_delay_alu instid0(SALU_CYCLE_1) | instskip(NEXT) | instid1(SALU_CYCLE_1)
	s_lshl_b64 s[14:15], s[14:15], 2
	s_add_u32 s1, s1, s14
	s_addc_u32 s3, s3, s15
	s_ashr_i32 s21, s20, 31
	s_delay_alu instid0(SALU_CYCLE_1) | instskip(NEXT) | instid1(SALU_CYCLE_1)
	s_lshl_b64 s[18:19], s[20:21], 2
	s_add_u32 s38, s1, s18
	s_addc_u32 s39, s3, s19
	s_add_u32 s1, s16, s4
	s_addc_u32 s3, s17, s5
	;; [unrolled: 2-line block ×4, first 2 shown]
	s_clause 0x1
	global_store_b32 v3, v1, s[38:39]
	global_store_b32 v3, v2, s[4:5]
.LBB393_390:
	s_or_b32 exec_lo, exec_lo, s0
	s_mov_b32 s13, s12
	s_mov_b32 s14, s12
	;; [unrolled: 1-line block ×3, first 2 shown]
	v_dual_mov_b32 v1, s12 :: v_dual_mov_b32 v2, s13
	v_dual_mov_b32 v3, s14 :: v_dual_mov_b32 v4, s15
	s_and_saveexec_b32 s11, s2
	s_cbranch_execz .LBB393_932
; %bb.391:
	s_load_b32 s15, s[6:7], 0x0
	v_or_b32_e32 v1, 0x60, v19
	s_mov_b32 s4, 0
	s_ashr_i32 s0, s37, 31
	s_mov_b32 s5, s4
	s_mov_b32 s6, s4
	v_cmp_gt_u32_e32 vcc_lo, 0x78, v1
	s_mov_b32 s7, s4
	v_lshlrev_b32_e32 v21, 3, v1
	v_lshlrev_b64 v[1:2], 2, v[13:14]
	s_add_u32 s2, s34, s37
	s_addc_u32 s3, s35, s0
	s_lshl_b64 s[0:1], s[30:31], 2
	s_add_i32 s14, s27, -1
	s_add_u32 s0, s28, s0
	s_addc_u32 s1, s29, s1
	v_add_co_u32 v16, s0, s0, v1
	s_delay_alu instid0(VALU_DEP_1)
	v_add_co_ci_u32_e64 v17, s0, s1, v2, s0
	v_dual_mov_b32 v1, s4 :: v_dual_mov_b32 v4, s7
	v_dual_mov_b32 v15, 0 :: v_dual_lshlrev_b32 v20, 3, v19
	v_add3_u32 v22, s36, v9, 7
	v_lshl_add_u32 v23, v18, 5, 0x110
	v_dual_mov_b32 v2, s5 :: v_dual_mov_b32 v3, s6
	s_mov_b32 s12, -1
	s_mov_b32 s13, 0xffffff
	s_mov_b32 s5, s9
	s_branch .LBB393_394
.LBB393_392:                            ;   in Loop: Header=BB393_394 Depth=1
	s_or_b32 exec_lo, exec_lo, s1
	v_and_b32_e32 v9, 0xffff0000, v9
	v_and_b32_e32 v7, 0xffff0000, v7
	;; [unrolled: 1-line block ×5, first 2 shown]
	s_delay_alu instid0(VALU_DEP_4) | instskip(NEXT) | instid1(VALU_DEP_1)
	v_dual_add_f32 v7, v7, v9 :: v_dual_and_b32 v12, 0xffff0000, v12
	v_dual_add_f32 v8, v12, v8 :: v_dual_and_b32 v11, 0xffff0000, v11
	s_delay_alu instid0(VALU_DEP_1) | instskip(NEXT) | instid1(VALU_DEP_1)
	v_add_f32_e32 v9, v10, v11
	v_dual_add_f32 v7, v7, v9 :: v_dual_and_b32 v6, 0xffff0000, v6
	s_delay_alu instid0(VALU_DEP_1) | instskip(NEXT) | instid1(VALU_DEP_2)
	v_add_f32_e32 v7, v7, v8
	v_add_f32_e32 v5, v6, v5
	s_delay_alu instid0(VALU_DEP_1) | instskip(NEXT) | instid1(VALU_DEP_1)
	v_add_f32_e32 v5, v7, v5
	v_add_f32_e32 v4, v4, v5
.LBB393_393:                            ;   in Loop: Header=BB393_394 Depth=1
	s_or_b32 exec_lo, exec_lo, s6
	v_add_nc_u32_e32 v13, 4, v13
	v_add_co_u32 v16, s1, v16, 16
	v_add_nc_u32_e32 v22, 32, v22
	v_add_nc_u32_e32 v23, 0x80, v23
	s_delay_alu instid0(VALU_DEP_4) | instskip(SKIP_1) | instid1(VALU_DEP_2)
	v_cmp_le_i32_e64 s0, s23, v13
	v_add_co_ci_u32_e64 v17, s1, 0, v17, s1
	s_or_b32 s4, s0, s4
	s_delay_alu instid0(SALU_CYCLE_1)
	s_and_not1_b32 exec_lo, exec_lo, s4
	s_cbranch_execz .LBB393_931
.LBB393_394:                            ; =>This Inner Loop Header: Depth=1
	global_load_b32 v14, v[16:17], off
	ds_load_2addr_b64 v[9:12], v23 offset1:1
	ds_load_2addr_b64 v[5:8], v23 offset0:2 offset1:3
                                        ; implicit-def: $vgpr25
	s_waitcnt lgkmcnt(0)
	v_and_b32_e32 v24, 0x7f800000, v9
	s_delay_alu instid0(VALU_DEP_1) | instskip(NEXT) | instid1(VALU_DEP_1)
	v_cmp_ne_u32_e64 s0, 0x7f800000, v24
	s_and_saveexec_b32 s1, s0
	s_delay_alu instid0(SALU_CYCLE_1)
	s_xor_b32 s0, exec_lo, s1
; %bb.395:                              ;   in Loop: Header=BB393_394 Depth=1
	v_bfe_u32 v24, v9, 16, 1
	s_delay_alu instid0(VALU_DEP_1)
	v_add3_u32 v25, v9, v24, 0x7fff
; %bb.396:                              ;   in Loop: Header=BB393_394 Depth=1
	s_and_not1_saveexec_b32 s1, s0
; %bb.397:                              ;   in Loop: Header=BB393_394 Depth=1
	v_and_b32_e32 v24, 0xffff, v9
	v_or_b32_e32 v25, 0x10000, v9
	s_delay_alu instid0(VALU_DEP_2) | instskip(NEXT) | instid1(VALU_DEP_1)
	v_cmp_eq_u32_e64 s0, 0, v24
	v_cndmask_b32_e64 v25, v25, v9, s0
; %bb.398:                              ;   in Loop: Header=BB393_394 Depth=1
	s_or_b32 exec_lo, exec_lo, s1
	v_and_b32_e32 v9, 0x7f800000, v10
                                        ; implicit-def: $vgpr26
	s_delay_alu instid0(VALU_DEP_1) | instskip(NEXT) | instid1(VALU_DEP_1)
	v_cmp_ne_u32_e64 s0, 0x7f800000, v9
	s_and_saveexec_b32 s1, s0
	s_delay_alu instid0(SALU_CYCLE_1)
	s_xor_b32 s0, exec_lo, s1
; %bb.399:                              ;   in Loop: Header=BB393_394 Depth=1
	v_bfe_u32 v9, v10, 16, 1
	s_delay_alu instid0(VALU_DEP_1)
	v_add3_u32 v26, v10, v9, 0x7fff
; %bb.400:                              ;   in Loop: Header=BB393_394 Depth=1
	s_and_not1_saveexec_b32 s1, s0
; %bb.401:                              ;   in Loop: Header=BB393_394 Depth=1
	v_and_b32_e32 v9, 0xffff, v10
	v_or_b32_e32 v24, 0x10000, v10
	s_delay_alu instid0(VALU_DEP_2) | instskip(NEXT) | instid1(VALU_DEP_1)
	v_cmp_eq_u32_e64 s0, 0, v9
	v_cndmask_b32_e64 v26, v24, v10, s0
; %bb.402:                              ;   in Loop: Header=BB393_394 Depth=1
	s_or_b32 exec_lo, exec_lo, s1
	v_and_b32_e32 v9, 0x7f800000, v11
                                        ; implicit-def: $vgpr27
	s_delay_alu instid0(VALU_DEP_1) | instskip(NEXT) | instid1(VALU_DEP_1)
	v_cmp_ne_u32_e64 s0, 0x7f800000, v9
	s_and_saveexec_b32 s1, s0
	s_delay_alu instid0(SALU_CYCLE_1)
	s_xor_b32 s0, exec_lo, s1
; %bb.403:                              ;   in Loop: Header=BB393_394 Depth=1
	v_bfe_u32 v9, v11, 16, 1
	s_delay_alu instid0(VALU_DEP_1)
	v_add3_u32 v27, v11, v9, 0x7fff
; %bb.404:                              ;   in Loop: Header=BB393_394 Depth=1
	s_and_not1_saveexec_b32 s1, s0
; %bb.405:                              ;   in Loop: Header=BB393_394 Depth=1
	v_and_b32_e32 v9, 0xffff, v11
	v_or_b32_e32 v10, 0x10000, v11
	s_delay_alu instid0(VALU_DEP_2) | instskip(NEXT) | instid1(VALU_DEP_1)
	v_cmp_eq_u32_e64 s0, 0, v9
	v_cndmask_b32_e64 v27, v10, v11, s0
; %bb.406:                              ;   in Loop: Header=BB393_394 Depth=1
	s_or_b32 exec_lo, exec_lo, s1
	v_and_b32_e32 v9, 0x7f800000, v12
                                        ; implicit-def: $vgpr28
	s_delay_alu instid0(VALU_DEP_1) | instskip(NEXT) | instid1(VALU_DEP_1)
	v_cmp_ne_u32_e64 s0, 0x7f800000, v9
	s_and_saveexec_b32 s1, s0
	s_delay_alu instid0(SALU_CYCLE_1)
	s_xor_b32 s0, exec_lo, s1
; %bb.407:                              ;   in Loop: Header=BB393_394 Depth=1
	v_bfe_u32 v9, v12, 16, 1
	s_delay_alu instid0(VALU_DEP_1)
	v_add3_u32 v28, v12, v9, 0x7fff
                                        ; implicit-def: $vgpr9_vgpr10_vgpr11_vgpr12
; %bb.408:                              ;   in Loop: Header=BB393_394 Depth=1
	s_and_not1_saveexec_b32 s1, s0
; %bb.409:                              ;   in Loop: Header=BB393_394 Depth=1
	v_and_b32_e32 v9, 0xffff, v12
	v_or_b32_e32 v10, 0x10000, v12
	s_delay_alu instid0(VALU_DEP_2) | instskip(NEXT) | instid1(VALU_DEP_1)
	v_cmp_eq_u32_e64 s0, 0, v9
	v_cndmask_b32_e64 v28, v10, v12, s0
; %bb.410:                              ;   in Loop: Header=BB393_394 Depth=1
	s_or_b32 exec_lo, exec_lo, s1
	v_and_b32_e32 v9, 0x7f800000, v5
                                        ; implicit-def: $vgpr29
	s_delay_alu instid0(VALU_DEP_1) | instskip(NEXT) | instid1(VALU_DEP_1)
	v_cmp_ne_u32_e64 s0, 0x7f800000, v9
	s_and_saveexec_b32 s1, s0
	s_delay_alu instid0(SALU_CYCLE_1)
	s_xor_b32 s0, exec_lo, s1
; %bb.411:                              ;   in Loop: Header=BB393_394 Depth=1
	v_bfe_u32 v9, v5, 16, 1
	s_delay_alu instid0(VALU_DEP_1)
	v_add3_u32 v29, v5, v9, 0x7fff
; %bb.412:                              ;   in Loop: Header=BB393_394 Depth=1
	s_and_not1_saveexec_b32 s1, s0
; %bb.413:                              ;   in Loop: Header=BB393_394 Depth=1
	v_and_b32_e32 v9, 0xffff, v5
	v_or_b32_e32 v10, 0x10000, v5
	s_delay_alu instid0(VALU_DEP_2) | instskip(NEXT) | instid1(VALU_DEP_1)
	v_cmp_eq_u32_e64 s0, 0, v9
	v_cndmask_b32_e64 v29, v10, v5, s0
; %bb.414:                              ;   in Loop: Header=BB393_394 Depth=1
	s_or_b32 exec_lo, exec_lo, s1
	v_and_b32_e32 v5, 0x7f800000, v6
                                        ; implicit-def: $vgpr30
	s_delay_alu instid0(VALU_DEP_1) | instskip(NEXT) | instid1(VALU_DEP_1)
	v_cmp_ne_u32_e64 s0, 0x7f800000, v5
	s_and_saveexec_b32 s1, s0
	s_delay_alu instid0(SALU_CYCLE_1)
	s_xor_b32 s0, exec_lo, s1
; %bb.415:                              ;   in Loop: Header=BB393_394 Depth=1
	v_bfe_u32 v5, v6, 16, 1
	s_delay_alu instid0(VALU_DEP_1)
	v_add3_u32 v30, v6, v5, 0x7fff
; %bb.416:                              ;   in Loop: Header=BB393_394 Depth=1
	s_and_not1_saveexec_b32 s1, s0
; %bb.417:                              ;   in Loop: Header=BB393_394 Depth=1
	v_and_b32_e32 v5, 0xffff, v6
	v_or_b32_e32 v9, 0x10000, v6
	s_delay_alu instid0(VALU_DEP_2) | instskip(NEXT) | instid1(VALU_DEP_1)
	v_cmp_eq_u32_e64 s0, 0, v5
	v_cndmask_b32_e64 v30, v9, v6, s0
; %bb.418:                              ;   in Loop: Header=BB393_394 Depth=1
	s_or_b32 exec_lo, exec_lo, s1
	v_and_b32_e32 v5, 0x7f800000, v7
                                        ; implicit-def: $vgpr31
	s_delay_alu instid0(VALU_DEP_1) | instskip(NEXT) | instid1(VALU_DEP_1)
	v_cmp_ne_u32_e64 s0, 0x7f800000, v5
	s_and_saveexec_b32 s1, s0
	s_delay_alu instid0(SALU_CYCLE_1)
	s_xor_b32 s0, exec_lo, s1
; %bb.419:                              ;   in Loop: Header=BB393_394 Depth=1
	v_bfe_u32 v5, v7, 16, 1
	s_delay_alu instid0(VALU_DEP_1)
	v_add3_u32 v31, v7, v5, 0x7fff
; %bb.420:                              ;   in Loop: Header=BB393_394 Depth=1
	s_and_not1_saveexec_b32 s1, s0
; %bb.421:                              ;   in Loop: Header=BB393_394 Depth=1
	v_and_b32_e32 v5, 0xffff, v7
	v_or_b32_e32 v6, 0x10000, v7
	s_delay_alu instid0(VALU_DEP_2) | instskip(NEXT) | instid1(VALU_DEP_1)
	v_cmp_eq_u32_e64 s0, 0, v5
	v_cndmask_b32_e64 v31, v6, v7, s0
; %bb.422:                              ;   in Loop: Header=BB393_394 Depth=1
	s_or_b32 exec_lo, exec_lo, s1
	v_and_b32_e32 v5, 0x7f800000, v8
                                        ; implicit-def: $vgpr32
	s_delay_alu instid0(VALU_DEP_1) | instskip(NEXT) | instid1(VALU_DEP_1)
	v_cmp_ne_u32_e64 s0, 0x7f800000, v5
	s_and_saveexec_b32 s1, s0
	s_delay_alu instid0(SALU_CYCLE_1)
	s_xor_b32 s0, exec_lo, s1
; %bb.423:                              ;   in Loop: Header=BB393_394 Depth=1
	v_bfe_u32 v5, v8, 16, 1
	s_delay_alu instid0(VALU_DEP_1)
	v_add3_u32 v32, v8, v5, 0x7fff
                                        ; implicit-def: $vgpr5_vgpr6_vgpr7_vgpr8
; %bb.424:                              ;   in Loop: Header=BB393_394 Depth=1
	s_and_not1_saveexec_b32 s1, s0
; %bb.425:                              ;   in Loop: Header=BB393_394 Depth=1
	v_and_b32_e32 v5, 0xffff, v8
	v_or_b32_e32 v6, 0x10000, v8
	s_delay_alu instid0(VALU_DEP_2) | instskip(NEXT) | instid1(VALU_DEP_1)
	v_cmp_eq_u32_e64 s0, 0, v5
	v_cndmask_b32_e64 v32, v6, v8, s0
; %bb.426:                              ;   in Loop: Header=BB393_394 Depth=1
	s_or_b32 exec_lo, exec_lo, s1
	s_waitcnt vmcnt(0)
	v_mad_i64_i32 v[5:6], null, v14, s5, s[2:3]
	s_mov_b32 s1, exec_lo
	v_mov_b32_e32 v11, 0
	s_delay_alu instid0(VALU_DEP_2) | instskip(NEXT) | instid1(VALU_DEP_1)
	v_add_co_u32 v7, s0, v5, v20
	v_add_co_ci_u32_e64 v8, s0, 0, v6, s0
	global_load_b64 v[9:10], v[7:8], off
	s_waitcnt vmcnt(0)
	v_and_b32_e32 v12, 0xff, v9
	s_delay_alu instid0(VALU_DEP_1)
	v_cmpx_ne_u16_e32 0, v12
	s_cbranch_execz .LBB393_432
; %bb.427:                              ;   in Loop: Header=BB393_394 Depth=1
	v_bfrev_b32_e32 v11, 1
	s_mov_b32 s6, exec_lo
	v_cmpx_ne_u16_e32 0x80, v12
	s_cbranch_execz .LBB393_431
; %bb.428:                              ;   in Loop: Header=BB393_394 Depth=1
	v_and_b32_e32 v12, 0x7f, v9
	v_mov_b32_e32 v11, 0x7f800001
	s_mov_b32 s7, exec_lo
	s_delay_alu instid0(VALU_DEP_2)
	v_cmpx_ne_u32_e32 0x7f, v12
	s_cbranch_execz .LBB393_430
; %bb.429:                              ;   in Loop: Header=BB393_394 Depth=1
	v_and_b32_e32 v11, 7, v9
	v_lshrrev_b32_e32 v14, 3, v12
	v_cmp_gt_u32_e64 s0, 8, v12
	s_delay_alu instid0(VALU_DEP_3) | instskip(NEXT) | instid1(VALU_DEP_1)
	v_clz_i32_u32_e32 v11, v11
	v_min_u32_e32 v11, 32, v11
	s_delay_alu instid0(VALU_DEP_1) | instskip(SKIP_1) | instid1(VALU_DEP_1)
	v_subrev_nc_u32_e32 v24, 28, v11
	v_sub_nc_u32_e32 v11, 29, v11
	v_cndmask_b32_e64 v14, v14, v11, s0
	s_delay_alu instid0(VALU_DEP_3) | instskip(NEXT) | instid1(VALU_DEP_2)
	v_cndmask_b32_e64 v11, 0, v24, s0
	v_lshl_add_u32 v14, v14, 23, 0x3c000000
	s_delay_alu instid0(VALU_DEP_2) | instskip(SKIP_1) | instid1(VALU_DEP_2)
	v_lshlrev_b64 v[11:12], v11, v[9:10]
	v_lshlrev_b32_e32 v12, 24, v9
	v_lshlrev_b32_e32 v11, 20, v11
	s_delay_alu instid0(VALU_DEP_2) | instskip(NEXT) | instid1(VALU_DEP_2)
	v_and_b32_e32 v12, 0x80000000, v12
	v_and_b32_e32 v11, 0x700000, v11
	s_delay_alu instid0(VALU_DEP_1)
	v_or3_b32 v11, v11, v12, v14
.LBB393_430:                            ;   in Loop: Header=BB393_394 Depth=1
	s_or_b32 exec_lo, exec_lo, s7
.LBB393_431:                            ;   in Loop: Header=BB393_394 Depth=1
	s_delay_alu instid0(SALU_CYCLE_1)
	s_or_b32 exec_lo, exec_lo, s6
.LBB393_432:                            ;   in Loop: Header=BB393_394 Depth=1
	s_delay_alu instid0(SALU_CYCLE_1) | instskip(NEXT) | instid1(VALU_DEP_1)
	s_or_b32 exec_lo, exec_lo, s1
	v_mul_f32_e32 v11, s15, v11
                                        ; implicit-def: $vgpr33
	s_delay_alu instid0(VALU_DEP_1) | instskip(NEXT) | instid1(VALU_DEP_1)
	v_and_b32_e32 v12, 0x7f800000, v11
	v_cmp_ne_u32_e64 s0, 0x7f800000, v12
	s_delay_alu instid0(VALU_DEP_1) | instskip(NEXT) | instid1(SALU_CYCLE_1)
	s_and_saveexec_b32 s1, s0
	s_xor_b32 s0, exec_lo, s1
; %bb.433:                              ;   in Loop: Header=BB393_394 Depth=1
	v_bfe_u32 v12, v11, 16, 1
	s_delay_alu instid0(VALU_DEP_1)
	v_add3_u32 v33, v11, v12, 0x7fff
                                        ; implicit-def: $vgpr11
; %bb.434:                              ;   in Loop: Header=BB393_394 Depth=1
	s_and_not1_saveexec_b32 s1, s0
; %bb.435:                              ;   in Loop: Header=BB393_394 Depth=1
	v_and_b32_e32 v12, 0xffff, v11
	v_or_b32_e32 v14, 0x10000, v11
	s_delay_alu instid0(VALU_DEP_2) | instskip(NEXT) | instid1(VALU_DEP_1)
	v_cmp_eq_u32_e64 s0, 0, v12
	v_cndmask_b32_e64 v33, v14, v11, s0
; %bb.436:                              ;   in Loop: Header=BB393_394 Depth=1
	s_or_b32 exec_lo, exec_lo, s1
	v_lshrrev_b16 v12, 8, v9
	v_mov_b32_e32 v11, 0
	s_mov_b32 s1, exec_lo
	s_delay_alu instid0(VALU_DEP_2)
	v_cmpx_ne_u16_e32 0, v12
	s_cbranch_execz .LBB393_444
; %bb.437:                              ;   in Loop: Header=BB393_394 Depth=1
	v_bfrev_b32_e32 v11, 1
	s_mov_b32 s6, exec_lo
	v_cmpx_ne_u16_e32 0x80, v12
	s_cbranch_execz .LBB393_443
; %bb.438:                              ;   in Loop: Header=BB393_394 Depth=1
	v_and_b32_e32 v14, 0xffff, v12
	v_mov_b32_e32 v11, 0x7f800001
	s_mov_b32 s7, exec_lo
	s_delay_alu instid0(VALU_DEP_2) | instskip(NEXT) | instid1(VALU_DEP_1)
	v_and_b32_e32 v12, 0x7f, v14
	v_cmpx_ne_u32_e32 0x7f, v12
	s_cbranch_execz .LBB393_442
; %bb.439:                              ;   in Loop: Header=BB393_394 Depth=1
	v_and_b32_e32 v14, 7, v14
	v_lshrrev_b32_e32 v11, 3, v12
	s_mov_b32 s9, exec_lo
	v_cmpx_gt_u32_e32 8, v12
; %bb.440:                              ;   in Loop: Header=BB393_394 Depth=1
	s_delay_alu instid0(VALU_DEP_3) | instskip(NEXT) | instid1(VALU_DEP_1)
	v_clz_i32_u32_e32 v11, v14
	v_min_u32_e32 v11, 32, v11
	s_delay_alu instid0(VALU_DEP_1) | instskip(SKIP_1) | instid1(VALU_DEP_2)
	v_subrev_nc_u32_e32 v12, 28, v11
	v_sub_nc_u32_e32 v11, 29, v11
	v_lshlrev_b64 v[34:35], v12, v[14:15]
	s_delay_alu instid0(VALU_DEP_1)
	v_and_b32_e32 v14, 7, v34
; %bb.441:                              ;   in Loop: Header=BB393_394 Depth=1
	s_or_b32 exec_lo, exec_lo, s9
	v_lshlrev_b32_e32 v12, 16, v9
	s_delay_alu instid0(VALU_DEP_2) | instskip(SKIP_1) | instid1(VALU_DEP_3)
	v_lshlrev_b32_e32 v14, 20, v14
	v_lshl_add_u32 v11, v11, 23, 0x3c000000
	v_and_b32_e32 v12, 0x80000000, v12
	s_delay_alu instid0(VALU_DEP_1)
	v_or3_b32 v11, v14, v12, v11
.LBB393_442:                            ;   in Loop: Header=BB393_394 Depth=1
	s_or_b32 exec_lo, exec_lo, s7
.LBB393_443:                            ;   in Loop: Header=BB393_394 Depth=1
	s_delay_alu instid0(SALU_CYCLE_1)
	s_or_b32 exec_lo, exec_lo, s6
.LBB393_444:                            ;   in Loop: Header=BB393_394 Depth=1
	s_delay_alu instid0(SALU_CYCLE_1) | instskip(NEXT) | instid1(VALU_DEP_1)
	s_or_b32 exec_lo, exec_lo, s1
	v_mul_f32_e32 v11, s15, v11
                                        ; implicit-def: $vgpr34
	s_delay_alu instid0(VALU_DEP_1) | instskip(NEXT) | instid1(VALU_DEP_1)
	v_and_b32_e32 v12, 0x7f800000, v11
	v_cmp_ne_u32_e64 s0, 0x7f800000, v12
	s_delay_alu instid0(VALU_DEP_1) | instskip(NEXT) | instid1(SALU_CYCLE_1)
	s_and_saveexec_b32 s1, s0
	s_xor_b32 s0, exec_lo, s1
; %bb.445:                              ;   in Loop: Header=BB393_394 Depth=1
	v_bfe_u32 v12, v11, 16, 1
	s_delay_alu instid0(VALU_DEP_1)
	v_add3_u32 v34, v11, v12, 0x7fff
                                        ; implicit-def: $vgpr11
; %bb.446:                              ;   in Loop: Header=BB393_394 Depth=1
	s_and_not1_saveexec_b32 s1, s0
; %bb.447:                              ;   in Loop: Header=BB393_394 Depth=1
	v_and_b32_e32 v12, 0xffff, v11
	v_or_b32_e32 v14, 0x10000, v11
	s_delay_alu instid0(VALU_DEP_2) | instskip(NEXT) | instid1(VALU_DEP_1)
	v_cmp_eq_u32_e64 s0, 0, v12
	v_cndmask_b32_e64 v34, v14, v11, s0
; %bb.448:                              ;   in Loop: Header=BB393_394 Depth=1
	s_or_b32 exec_lo, exec_lo, s1
	v_lshrrev_b32_e32 v11, 16, v9
	v_mov_b32_e32 v12, 0
	s_mov_b32 s1, exec_lo
	s_delay_alu instid0(VALU_DEP_2) | instskip(NEXT) | instid1(VALU_DEP_1)
	v_and_b32_e32 v14, 0xff, v11
	v_cmpx_ne_u16_e32 0, v14
	s_cbranch_execz .LBB393_456
; %bb.449:                              ;   in Loop: Header=BB393_394 Depth=1
	v_bfrev_b32_e32 v12, 1
	s_mov_b32 s6, exec_lo
	v_cmpx_ne_u16_e32 0x80, v14
	s_cbranch_execz .LBB393_455
; %bb.450:                              ;   in Loop: Header=BB393_394 Depth=1
	v_bfe_u32 v24, v9, 16, 7
	v_mov_b32_e32 v12, 0x7f800001
	s_mov_b32 s7, exec_lo
	s_delay_alu instid0(VALU_DEP_2)
	v_cmpx_ne_u32_e32 0x7f, v24
	s_cbranch_execz .LBB393_454
; %bb.451:                              ;   in Loop: Header=BB393_394 Depth=1
	v_and_b32_e32 v14, 7, v11
	v_lshrrev_b32_e32 v12, 3, v24
	s_mov_b32 s9, exec_lo
	v_cmpx_gt_u32_e32 8, v24
; %bb.452:                              ;   in Loop: Header=BB393_394 Depth=1
	s_delay_alu instid0(VALU_DEP_3) | instskip(NEXT) | instid1(VALU_DEP_1)
	v_clz_i32_u32_e32 v12, v14
	v_min_u32_e32 v12, 32, v12
	s_delay_alu instid0(VALU_DEP_1) | instskip(SKIP_1) | instid1(VALU_DEP_2)
	v_subrev_nc_u32_e32 v24, 28, v12
	v_sub_nc_u32_e32 v12, 29, v12
	v_lshlrev_b64 v[35:36], v24, v[14:15]
	s_delay_alu instid0(VALU_DEP_1)
	v_and_b32_e32 v14, 7, v35
; %bb.453:                              ;   in Loop: Header=BB393_394 Depth=1
	s_or_b32 exec_lo, exec_lo, s9
	v_lshlrev_b32_e32 v11, 24, v11
	s_delay_alu instid0(VALU_DEP_2) | instskip(SKIP_1) | instid1(VALU_DEP_3)
	v_lshlrev_b32_e32 v14, 20, v14
	v_lshl_add_u32 v12, v12, 23, 0x3c000000
	v_and_b32_e32 v11, 0x80000000, v11
	s_delay_alu instid0(VALU_DEP_1)
	v_or3_b32 v12, v14, v11, v12
.LBB393_454:                            ;   in Loop: Header=BB393_394 Depth=1
	s_or_b32 exec_lo, exec_lo, s7
.LBB393_455:                            ;   in Loop: Header=BB393_394 Depth=1
	s_delay_alu instid0(SALU_CYCLE_1)
	s_or_b32 exec_lo, exec_lo, s6
.LBB393_456:                            ;   in Loop: Header=BB393_394 Depth=1
	s_delay_alu instid0(SALU_CYCLE_1) | instskip(NEXT) | instid1(VALU_DEP_1)
	s_or_b32 exec_lo, exec_lo, s1
	v_mul_f32_e32 v11, s15, v12
                                        ; implicit-def: $vgpr35
	s_delay_alu instid0(VALU_DEP_1) | instskip(NEXT) | instid1(VALU_DEP_1)
	v_and_b32_e32 v12, 0x7f800000, v11
	v_cmp_ne_u32_e64 s0, 0x7f800000, v12
	s_delay_alu instid0(VALU_DEP_1) | instskip(NEXT) | instid1(SALU_CYCLE_1)
	s_and_saveexec_b32 s1, s0
	s_xor_b32 s0, exec_lo, s1
; %bb.457:                              ;   in Loop: Header=BB393_394 Depth=1
	v_bfe_u32 v12, v11, 16, 1
	s_delay_alu instid0(VALU_DEP_1)
	v_add3_u32 v35, v11, v12, 0x7fff
                                        ; implicit-def: $vgpr11
; %bb.458:                              ;   in Loop: Header=BB393_394 Depth=1
	s_and_not1_saveexec_b32 s1, s0
; %bb.459:                              ;   in Loop: Header=BB393_394 Depth=1
	v_and_b32_e32 v12, 0xffff, v11
	v_or_b32_e32 v14, 0x10000, v11
	s_delay_alu instid0(VALU_DEP_2) | instskip(NEXT) | instid1(VALU_DEP_1)
	v_cmp_eq_u32_e64 s0, 0, v12
	v_cndmask_b32_e64 v35, v14, v11, s0
; %bb.460:                              ;   in Loop: Header=BB393_394 Depth=1
	s_or_b32 exec_lo, exec_lo, s1
	v_mov_b32_e32 v12, 0
	s_mov_b32 s1, exec_lo
	v_cmpx_lt_u32_e32 0xffffff, v9
	s_cbranch_execz .LBB393_468
; %bb.461:                              ;   in Loop: Header=BB393_394 Depth=1
	v_lshrrev_b32_e32 v11, 24, v9
	v_bfrev_b32_e32 v12, 1
	s_mov_b32 s6, exec_lo
	s_delay_alu instid0(VALU_DEP_2)
	v_cmpx_ne_u32_e32 0x80, v11
	s_cbranch_execz .LBB393_467
; %bb.462:                              ;   in Loop: Header=BB393_394 Depth=1
	v_bfe_u32 v24, v9, 24, 7
	v_mov_b32_e32 v12, 0x7f800001
	s_mov_b32 s7, exec_lo
	s_delay_alu instid0(VALU_DEP_2)
	v_cmpx_ne_u32_e32 0x7f, v24
	s_cbranch_execz .LBB393_466
; %bb.463:                              ;   in Loop: Header=BB393_394 Depth=1
	v_and_b32_e32 v14, 7, v11
	v_lshrrev_b32_e32 v12, 3, v24
	s_mov_b32 s9, exec_lo
	v_cmpx_gt_u32_e32 8, v24
; %bb.464:                              ;   in Loop: Header=BB393_394 Depth=1
	s_delay_alu instid0(VALU_DEP_3) | instskip(NEXT) | instid1(VALU_DEP_1)
	v_clz_i32_u32_e32 v12, v14
	v_min_u32_e32 v12, 32, v12
	s_delay_alu instid0(VALU_DEP_1) | instskip(SKIP_1) | instid1(VALU_DEP_2)
	v_subrev_nc_u32_e32 v24, 28, v12
	v_sub_nc_u32_e32 v12, 29, v12
	v_lshlrev_b64 v[36:37], v24, v[14:15]
	s_delay_alu instid0(VALU_DEP_1)
	v_and_b32_e32 v14, 7, v36
; %bb.465:                              ;   in Loop: Header=BB393_394 Depth=1
	s_or_b32 exec_lo, exec_lo, s9
	v_lshlrev_b32_e32 v11, 24, v11
	s_delay_alu instid0(VALU_DEP_2) | instskip(SKIP_1) | instid1(VALU_DEP_3)
	v_lshlrev_b32_e32 v14, 20, v14
	v_lshl_add_u32 v12, v12, 23, 0x3c000000
	v_and_b32_e32 v11, 0x80000000, v11
	s_delay_alu instid0(VALU_DEP_1)
	v_or3_b32 v12, v14, v11, v12
.LBB393_466:                            ;   in Loop: Header=BB393_394 Depth=1
	s_or_b32 exec_lo, exec_lo, s7
.LBB393_467:                            ;   in Loop: Header=BB393_394 Depth=1
	s_delay_alu instid0(SALU_CYCLE_1)
	s_or_b32 exec_lo, exec_lo, s6
.LBB393_468:                            ;   in Loop: Header=BB393_394 Depth=1
	s_delay_alu instid0(SALU_CYCLE_1) | instskip(NEXT) | instid1(VALU_DEP_1)
	s_or_b32 exec_lo, exec_lo, s1
	v_mul_f32_e32 v11, s15, v12
                                        ; implicit-def: $vgpr36
	s_delay_alu instid0(VALU_DEP_1) | instskip(NEXT) | instid1(VALU_DEP_1)
	v_and_b32_e32 v12, 0x7f800000, v11
	v_cmp_ne_u32_e64 s0, 0x7f800000, v12
	s_delay_alu instid0(VALU_DEP_1) | instskip(NEXT) | instid1(SALU_CYCLE_1)
	s_and_saveexec_b32 s1, s0
	s_xor_b32 s0, exec_lo, s1
; %bb.469:                              ;   in Loop: Header=BB393_394 Depth=1
	v_bfe_u32 v12, v11, 16, 1
	s_delay_alu instid0(VALU_DEP_1)
	v_add3_u32 v36, v11, v12, 0x7fff
                                        ; implicit-def: $vgpr11
; %bb.470:                              ;   in Loop: Header=BB393_394 Depth=1
	s_and_not1_saveexec_b32 s1, s0
; %bb.471:                              ;   in Loop: Header=BB393_394 Depth=1
	v_and_b32_e32 v12, 0xffff, v11
	v_or_b32_e32 v14, 0x10000, v11
	s_delay_alu instid0(VALU_DEP_2) | instskip(NEXT) | instid1(VALU_DEP_1)
	v_cmp_eq_u32_e64 s0, 0, v12
	v_cndmask_b32_e64 v36, v14, v11, s0
; %bb.472:                              ;   in Loop: Header=BB393_394 Depth=1
	s_or_b32 exec_lo, exec_lo, s1
	v_dual_mov_b32 v11, 0 :: v_dual_and_b32 v12, 0xff, v10
	v_mov_b32_e32 v14, v10
	s_mov_b32 s1, exec_lo
	s_delay_alu instid0(VALU_DEP_2)
	v_cmpx_ne_u16_e32 0, v12
	s_cbranch_execz .LBB393_478
; %bb.473:                              ;   in Loop: Header=BB393_394 Depth=1
	v_bfrev_b32_e32 v11, 1
	s_mov_b32 s6, exec_lo
	v_cmpx_ne_u16_e32 0x80, v12
	s_cbranch_execz .LBB393_477
; %bb.474:                              ;   in Loop: Header=BB393_394 Depth=1
	v_and_b32_e32 v12, 0x7f, v10
	v_mov_b32_e32 v11, 0x7f800001
	s_mov_b32 s7, exec_lo
	s_delay_alu instid0(VALU_DEP_2)
	v_cmpx_ne_u32_e32 0x7f, v12
	s_cbranch_execz .LBB393_476
; %bb.475:                              ;   in Loop: Header=BB393_394 Depth=1
	v_and_b32_e32 v11, 7, v10
	v_lshrrev_b32_e32 v24, 3, v12
	v_cmp_gt_u32_e64 s0, 8, v12
	s_delay_alu instid0(VALU_DEP_3) | instskip(NEXT) | instid1(VALU_DEP_1)
	v_clz_i32_u32_e32 v11, v11
	v_min_u32_e32 v11, 32, v11
	s_delay_alu instid0(VALU_DEP_1) | instskip(SKIP_1) | instid1(VALU_DEP_1)
	v_subrev_nc_u32_e32 v37, 28, v11
	v_sub_nc_u32_e32 v11, 29, v11
	v_cndmask_b32_e64 v24, v24, v11, s0
	s_delay_alu instid0(VALU_DEP_3) | instskip(NEXT) | instid1(VALU_DEP_2)
	v_cndmask_b32_e64 v11, 0, v37, s0
	v_lshl_add_u32 v24, v24, 23, 0x3c000000
	s_delay_alu instid0(VALU_DEP_2) | instskip(SKIP_1) | instid1(VALU_DEP_2)
	v_lshlrev_b64 v[11:12], v11, v[14:15]
	v_lshlrev_b32_e32 v12, 24, v14
	v_lshlrev_b32_e32 v11, 20, v11
	s_delay_alu instid0(VALU_DEP_2) | instskip(NEXT) | instid1(VALU_DEP_2)
	v_and_b32_e32 v12, 0x80000000, v12
	v_and_b32_e32 v11, 0x700000, v11
	s_delay_alu instid0(VALU_DEP_1)
	v_or3_b32 v11, v11, v12, v24
.LBB393_476:                            ;   in Loop: Header=BB393_394 Depth=1
	s_or_b32 exec_lo, exec_lo, s7
.LBB393_477:                            ;   in Loop: Header=BB393_394 Depth=1
	s_delay_alu instid0(SALU_CYCLE_1)
	s_or_b32 exec_lo, exec_lo, s6
.LBB393_478:                            ;   in Loop: Header=BB393_394 Depth=1
	s_delay_alu instid0(SALU_CYCLE_1) | instskip(NEXT) | instid1(VALU_DEP_1)
	s_or_b32 exec_lo, exec_lo, s1
	v_mul_f32_e32 v11, s15, v11
                                        ; implicit-def: $vgpr37
	s_delay_alu instid0(VALU_DEP_1) | instskip(NEXT) | instid1(VALU_DEP_1)
	v_and_b32_e32 v12, 0x7f800000, v11
	v_cmp_ne_u32_e64 s0, 0x7f800000, v12
	s_delay_alu instid0(VALU_DEP_1) | instskip(NEXT) | instid1(SALU_CYCLE_1)
	s_and_saveexec_b32 s1, s0
	s_xor_b32 s0, exec_lo, s1
; %bb.479:                              ;   in Loop: Header=BB393_394 Depth=1
	v_bfe_u32 v12, v11, 16, 1
	s_delay_alu instid0(VALU_DEP_1)
	v_add3_u32 v37, v11, v12, 0x7fff
                                        ; implicit-def: $vgpr11
; %bb.480:                              ;   in Loop: Header=BB393_394 Depth=1
	s_and_not1_saveexec_b32 s1, s0
; %bb.481:                              ;   in Loop: Header=BB393_394 Depth=1
	v_and_b32_e32 v12, 0xffff, v11
	v_or_b32_e32 v24, 0x10000, v11
	s_delay_alu instid0(VALU_DEP_2) | instskip(NEXT) | instid1(VALU_DEP_1)
	v_cmp_eq_u32_e64 s0, 0, v12
	v_cndmask_b32_e64 v37, v24, v11, s0
; %bb.482:                              ;   in Loop: Header=BB393_394 Depth=1
	s_or_b32 exec_lo, exec_lo, s1
	v_lshrrev_b16 v12, 8, v14
	v_mov_b32_e32 v11, 0
	s_mov_b32 s1, exec_lo
	s_delay_alu instid0(VALU_DEP_2)
	v_cmpx_ne_u16_e32 0, v12
	s_cbranch_execz .LBB393_490
; %bb.483:                              ;   in Loop: Header=BB393_394 Depth=1
	v_bfrev_b32_e32 v11, 1
	s_mov_b32 s6, exec_lo
	v_cmpx_ne_u16_e32 0x80, v12
	s_cbranch_execz .LBB393_489
; %bb.484:                              ;   in Loop: Header=BB393_394 Depth=1
	v_and_b32_e32 v12, 0xffff, v12
	v_mov_b32_e32 v11, 0x7f800001
	s_mov_b32 s7, exec_lo
	s_delay_alu instid0(VALU_DEP_2) | instskip(NEXT) | instid1(VALU_DEP_1)
	v_and_b32_e32 v38, 0x7f, v12
	v_cmpx_ne_u32_e32 0x7f, v38
	s_cbranch_execz .LBB393_488
; %bb.485:                              ;   in Loop: Header=BB393_394 Depth=1
	v_dual_mov_b32 v12, v15 :: v_dual_and_b32 v11, 7, v12
	v_lshrrev_b32_e32 v24, 3, v38
	s_mov_b32 s9, exec_lo
	v_cmpx_gt_u32_e32 8, v38
; %bb.486:                              ;   in Loop: Header=BB393_394 Depth=1
	s_delay_alu instid0(VALU_DEP_3) | instskip(NEXT) | instid1(VALU_DEP_1)
	v_clz_i32_u32_e32 v24, v11
	v_min_u32_e32 v24, 32, v24
	s_delay_alu instid0(VALU_DEP_1) | instskip(SKIP_1) | instid1(VALU_DEP_2)
	v_subrev_nc_u32_e32 v38, 28, v24
	v_sub_nc_u32_e32 v24, 29, v24
	v_lshlrev_b64 v[11:12], v38, v[11:12]
	s_delay_alu instid0(VALU_DEP_1)
	v_and_b32_e32 v11, 7, v11
; %bb.487:                              ;   in Loop: Header=BB393_394 Depth=1
	s_or_b32 exec_lo, exec_lo, s9
	v_lshlrev_b32_e32 v12, 16, v14
	s_delay_alu instid0(VALU_DEP_2) | instskip(SKIP_1) | instid1(VALU_DEP_3)
	v_lshlrev_b32_e32 v11, 20, v11
	v_lshl_add_u32 v14, v24, 23, 0x3c000000
	v_and_b32_e32 v12, 0x80000000, v12
	s_delay_alu instid0(VALU_DEP_1)
	v_or3_b32 v11, v11, v12, v14
.LBB393_488:                            ;   in Loop: Header=BB393_394 Depth=1
	s_or_b32 exec_lo, exec_lo, s7
.LBB393_489:                            ;   in Loop: Header=BB393_394 Depth=1
	s_delay_alu instid0(SALU_CYCLE_1)
	s_or_b32 exec_lo, exec_lo, s6
.LBB393_490:                            ;   in Loop: Header=BB393_394 Depth=1
	s_delay_alu instid0(SALU_CYCLE_1) | instskip(NEXT) | instid1(VALU_DEP_1)
	s_or_b32 exec_lo, exec_lo, s1
	v_mul_f32_e32 v12, s15, v11
	s_delay_alu instid0(VALU_DEP_1) | instskip(NEXT) | instid1(VALU_DEP_1)
	v_and_b32_e32 v11, 0x7f800000, v12
	v_cmp_ne_u32_e64 s0, 0x7f800000, v11
                                        ; implicit-def: $vgpr11
	s_delay_alu instid0(VALU_DEP_1) | instskip(NEXT) | instid1(SALU_CYCLE_1)
	s_and_saveexec_b32 s1, s0
	s_xor_b32 s0, exec_lo, s1
; %bb.491:                              ;   in Loop: Header=BB393_394 Depth=1
	v_bfe_u32 v11, v12, 16, 1
	s_delay_alu instid0(VALU_DEP_1)
	v_add3_u32 v11, v12, v11, 0x7fff
                                        ; implicit-def: $vgpr12
; %bb.492:                              ;   in Loop: Header=BB393_394 Depth=1
	s_and_not1_saveexec_b32 s1, s0
; %bb.493:                              ;   in Loop: Header=BB393_394 Depth=1
	v_and_b32_e32 v11, 0xffff, v12
	v_or_b32_e32 v14, 0x10000, v12
	s_delay_alu instid0(VALU_DEP_2) | instskip(NEXT) | instid1(VALU_DEP_1)
	v_cmp_eq_u32_e64 s0, 0, v11
	v_cndmask_b32_e64 v11, v14, v12, s0
; %bb.494:                              ;   in Loop: Header=BB393_394 Depth=1
	s_or_b32 exec_lo, exec_lo, s1
	v_lshrrev_b32_e32 v12, 16, v10
	v_mov_b32_e32 v14, 0
	s_mov_b32 s1, exec_lo
	s_delay_alu instid0(VALU_DEP_2) | instskip(NEXT) | instid1(VALU_DEP_1)
	v_and_b32_e32 v24, 0xff, v12
	v_cmpx_ne_u16_e32 0, v24
	s_cbranch_execz .LBB393_502
; %bb.495:                              ;   in Loop: Header=BB393_394 Depth=1
	v_bfrev_b32_e32 v14, 1
	s_mov_b32 s6, exec_lo
	v_cmpx_ne_u16_e32 0x80, v24
	s_cbranch_execz .LBB393_501
; %bb.496:                              ;   in Loop: Header=BB393_394 Depth=1
	v_bfe_u32 v38, v10, 16, 7
	v_mov_b32_e32 v14, 0x7f800001
	s_mov_b32 s7, exec_lo
	s_delay_alu instid0(VALU_DEP_2)
	v_cmpx_ne_u32_e32 0x7f, v38
	s_cbranch_execz .LBB393_500
; %bb.497:                              ;   in Loop: Header=BB393_394 Depth=1
	v_and_b32_e32 v14, 7, v12
	v_lshrrev_b32_e32 v24, 3, v38
	s_mov_b32 s9, exec_lo
	v_cmpx_gt_u32_e32 8, v38
; %bb.498:                              ;   in Loop: Header=BB393_394 Depth=1
	s_delay_alu instid0(VALU_DEP_3) | instskip(NEXT) | instid1(VALU_DEP_1)
	v_clz_i32_u32_e32 v24, v14
	v_min_u32_e32 v24, 32, v24
	s_delay_alu instid0(VALU_DEP_1) | instskip(SKIP_1) | instid1(VALU_DEP_2)
	v_subrev_nc_u32_e32 v38, 28, v24
	v_sub_nc_u32_e32 v24, 29, v24
	v_lshlrev_b64 v[38:39], v38, v[14:15]
	s_delay_alu instid0(VALU_DEP_1)
	v_and_b32_e32 v14, 7, v38
; %bb.499:                              ;   in Loop: Header=BB393_394 Depth=1
	s_or_b32 exec_lo, exec_lo, s9
	v_lshlrev_b32_e32 v12, 24, v12
	s_delay_alu instid0(VALU_DEP_2) | instskip(SKIP_1) | instid1(VALU_DEP_3)
	v_lshlrev_b32_e32 v14, 20, v14
	v_lshl_add_u32 v24, v24, 23, 0x3c000000
	v_and_b32_e32 v12, 0x80000000, v12
	s_delay_alu instid0(VALU_DEP_1)
	v_or3_b32 v14, v14, v12, v24
.LBB393_500:                            ;   in Loop: Header=BB393_394 Depth=1
	s_or_b32 exec_lo, exec_lo, s7
.LBB393_501:                            ;   in Loop: Header=BB393_394 Depth=1
	s_delay_alu instid0(SALU_CYCLE_1)
	s_or_b32 exec_lo, exec_lo, s6
.LBB393_502:                            ;   in Loop: Header=BB393_394 Depth=1
	s_delay_alu instid0(SALU_CYCLE_1) | instskip(NEXT) | instid1(VALU_DEP_1)
	s_or_b32 exec_lo, exec_lo, s1
	v_mul_f32_e32 v12, s15, v14
                                        ; implicit-def: $vgpr38
	s_delay_alu instid0(VALU_DEP_1) | instskip(NEXT) | instid1(VALU_DEP_1)
	v_and_b32_e32 v14, 0x7f800000, v12
	v_cmp_ne_u32_e64 s0, 0x7f800000, v14
	s_delay_alu instid0(VALU_DEP_1) | instskip(NEXT) | instid1(SALU_CYCLE_1)
	s_and_saveexec_b32 s1, s0
	s_xor_b32 s0, exec_lo, s1
; %bb.503:                              ;   in Loop: Header=BB393_394 Depth=1
	v_bfe_u32 v14, v12, 16, 1
	s_delay_alu instid0(VALU_DEP_1)
	v_add3_u32 v38, v12, v14, 0x7fff
                                        ; implicit-def: $vgpr12
; %bb.504:                              ;   in Loop: Header=BB393_394 Depth=1
	s_and_not1_saveexec_b32 s1, s0
; %bb.505:                              ;   in Loop: Header=BB393_394 Depth=1
	v_and_b32_e32 v14, 0xffff, v12
	v_or_b32_e32 v24, 0x10000, v12
	s_delay_alu instid0(VALU_DEP_2) | instskip(NEXT) | instid1(VALU_DEP_1)
	v_cmp_eq_u32_e64 s0, 0, v14
	v_cndmask_b32_e64 v38, v24, v12, s0
; %bb.506:                              ;   in Loop: Header=BB393_394 Depth=1
	s_or_b32 exec_lo, exec_lo, s1
	v_mov_b32_e32 v12, 0
	s_mov_b32 s1, exec_lo
	v_cmpx_lt_u64_e64 s[12:13], v[9:10]
	s_cbranch_execz .LBB393_514
; %bb.507:                              ;   in Loop: Header=BB393_394 Depth=1
	v_lshrrev_b32_e32 v9, 24, v10
	v_bfrev_b32_e32 v12, 1
	s_mov_b32 s6, exec_lo
	s_delay_alu instid0(VALU_DEP_2)
	v_cmpx_ne_u32_e32 0x80, v9
	s_cbranch_execz .LBB393_513
; %bb.508:                              ;   in Loop: Header=BB393_394 Depth=1
	v_bfe_u32 v24, v10, 24, 7
	v_mov_b32_e32 v12, 0x7f800001
	s_mov_b32 s7, exec_lo
	s_delay_alu instid0(VALU_DEP_2)
	v_cmpx_ne_u32_e32 0x7f, v24
	s_cbranch_execz .LBB393_512
; %bb.509:                              ;   in Loop: Header=BB393_394 Depth=1
	v_and_b32_e32 v14, 7, v9
	v_lshrrev_b32_e32 v10, 3, v24
	s_mov_b32 s9, exec_lo
	v_cmpx_gt_u32_e32 8, v24
; %bb.510:                              ;   in Loop: Header=BB393_394 Depth=1
	s_delay_alu instid0(VALU_DEP_3) | instskip(NEXT) | instid1(VALU_DEP_1)
	v_clz_i32_u32_e32 v10, v14
	v_min_u32_e32 v10, 32, v10
	s_delay_alu instid0(VALU_DEP_1) | instskip(SKIP_1) | instid1(VALU_DEP_2)
	v_subrev_nc_u32_e32 v12, 28, v10
	v_sub_nc_u32_e32 v10, 29, v10
	v_lshlrev_b64 v[39:40], v12, v[14:15]
	s_delay_alu instid0(VALU_DEP_1)
	v_and_b32_e32 v14, 7, v39
; %bb.511:                              ;   in Loop: Header=BB393_394 Depth=1
	s_or_b32 exec_lo, exec_lo, s9
	v_lshlrev_b32_e32 v9, 24, v9
	s_delay_alu instid0(VALU_DEP_2) | instskip(SKIP_1) | instid1(VALU_DEP_3)
	v_lshlrev_b32_e32 v12, 20, v14
	v_lshl_add_u32 v10, v10, 23, 0x3c000000
	v_and_b32_e32 v9, 0x80000000, v9
	s_delay_alu instid0(VALU_DEP_1)
	v_or3_b32 v12, v12, v9, v10
.LBB393_512:                            ;   in Loop: Header=BB393_394 Depth=1
	s_or_b32 exec_lo, exec_lo, s7
.LBB393_513:                            ;   in Loop: Header=BB393_394 Depth=1
	s_delay_alu instid0(SALU_CYCLE_1)
	s_or_b32 exec_lo, exec_lo, s6
.LBB393_514:                            ;   in Loop: Header=BB393_394 Depth=1
	s_delay_alu instid0(SALU_CYCLE_1) | instskip(NEXT) | instid1(VALU_DEP_1)
	s_or_b32 exec_lo, exec_lo, s1
	v_mul_f32_e32 v10, s15, v12
	s_delay_alu instid0(VALU_DEP_1) | instskip(NEXT) | instid1(VALU_DEP_1)
	v_and_b32_e32 v9, 0x7f800000, v10
	v_cmp_ne_u32_e64 s0, 0x7f800000, v9
                                        ; implicit-def: $vgpr9
	s_delay_alu instid0(VALU_DEP_1) | instskip(NEXT) | instid1(SALU_CYCLE_1)
	s_and_saveexec_b32 s1, s0
	s_xor_b32 s0, exec_lo, s1
; %bb.515:                              ;   in Loop: Header=BB393_394 Depth=1
	v_bfe_u32 v9, v10, 16, 1
	s_delay_alu instid0(VALU_DEP_1)
	v_add3_u32 v9, v10, v9, 0x7fff
                                        ; implicit-def: $vgpr10
; %bb.516:                              ;   in Loop: Header=BB393_394 Depth=1
	s_and_not1_saveexec_b32 s1, s0
; %bb.517:                              ;   in Loop: Header=BB393_394 Depth=1
	v_and_b32_e32 v9, 0xffff, v10
	v_or_b32_e32 v12, 0x10000, v10
	s_delay_alu instid0(VALU_DEP_2) | instskip(NEXT) | instid1(VALU_DEP_1)
	v_cmp_eq_u32_e64 s0, 0, v9
	v_cndmask_b32_e64 v9, v12, v10, s0
; %bb.518:                              ;   in Loop: Header=BB393_394 Depth=1
	s_or_b32 exec_lo, exec_lo, s1
	v_cmp_eq_u32_e64 s0, s14, v13
	v_add_nc_u32_e32 v24, -7, v22
	v_lshrrev_b32_e32 v11, 16, v11
	v_lshrrev_b32_e32 v12, 16, v37
	;; [unrolled: 1-line block ×8, first 2 shown]
	s_and_saveexec_b32 s6, s0
	s_cbranch_execz .LBB393_520
; %bb.519:                              ;   in Loop: Header=BB393_394 Depth=1
	v_add_nc_u32_e32 v36, -6, v22
	v_cmp_gt_i32_e64 s1, s33, v24
	v_add_nc_u32_e32 v37, -5, v22
	v_add_nc_u32_e32 v38, -2, v22
	s_delay_alu instid0(VALU_DEP_3) | instskip(SKIP_2) | instid1(VALU_DEP_2)
	v_cndmask_b32_e64 v33, 0, v33, s1
	v_cmp_gt_i32_e64 s1, s33, v36
	v_add_nc_u32_e32 v36, -4, v22
	v_cndmask_b32_e64 v34, 0, v34, s1
	v_cmp_gt_i32_e64 s1, s33, v37
	v_add_nc_u32_e32 v37, -3, v22
	s_delay_alu instid0(VALU_DEP_2) | instskip(SKIP_2) | instid1(VALU_DEP_2)
	v_cndmask_b32_e64 v35, 0, v35, s1
	v_cmp_gt_i32_e64 s1, s33, v36
	v_add_nc_u32_e32 v36, -1, v22
	v_cndmask_b32_e64 v14, 0, v14, s1
	v_cmp_gt_i32_e64 s1, s33, v37
	s_delay_alu instid0(VALU_DEP_1) | instskip(SKIP_1) | instid1(VALU_DEP_1)
	v_cndmask_b32_e64 v12, 0, v12, s1
	v_cmp_gt_i32_e64 s1, s33, v38
	v_cndmask_b32_e64 v11, 0, v11, s1
	v_cmp_gt_i32_e64 s1, s33, v36
	s_delay_alu instid0(VALU_DEP_1) | instskip(SKIP_1) | instid1(VALU_DEP_1)
	v_cndmask_b32_e64 v10, 0, v10, s1
	v_cmp_gt_i32_e64 s1, s33, v22
	v_cndmask_b32_e64 v9, 0, v9, s1
.LBB393_520:                            ;   in Loop: Header=BB393_394 Depth=1
	s_or_b32 exec_lo, exec_lo, s6
	v_and_b32_e32 v25, 0xffff0000, v25
	v_lshlrev_b32_e32 v33, 16, v33
	s_delay_alu instid0(VALU_DEP_1) | instskip(NEXT) | instid1(VALU_DEP_1)
	v_mul_f32_e32 v36, v25, v33
	v_and_b32_e32 v33, 0x7f800000, v36
	s_delay_alu instid0(VALU_DEP_1) | instskip(NEXT) | instid1(VALU_DEP_1)
	v_cmp_ne_u32_e64 s1, 0x7f800000, v33
                                        ; implicit-def: $vgpr33
	s_and_saveexec_b32 s6, s1
	s_delay_alu instid0(SALU_CYCLE_1)
	s_xor_b32 s1, exec_lo, s6
; %bb.521:                              ;   in Loop: Header=BB393_394 Depth=1
	v_bfe_u32 v33, v36, 16, 1
	s_delay_alu instid0(VALU_DEP_1)
	v_add3_u32 v33, v36, v33, 0x7fff
                                        ; implicit-def: $vgpr36
; %bb.522:                              ;   in Loop: Header=BB393_394 Depth=1
	s_and_not1_saveexec_b32 s6, s1
; %bb.523:                              ;   in Loop: Header=BB393_394 Depth=1
	v_and_b32_e32 v33, 0xffff, v36
	v_or_b32_e32 v37, 0x10000, v36
	s_delay_alu instid0(VALU_DEP_2) | instskip(NEXT) | instid1(VALU_DEP_1)
	v_cmp_eq_u32_e64 s1, 0, v33
	v_cndmask_b32_e64 v33, v37, v36, s1
; %bb.524:                              ;   in Loop: Header=BB393_394 Depth=1
	s_or_b32 exec_lo, exec_lo, s6
	v_and_b32_e32 v26, 0xffff0000, v26
	v_lshlrev_b32_e32 v34, 16, v34
	s_delay_alu instid0(VALU_DEP_1) | instskip(NEXT) | instid1(VALU_DEP_1)
	v_mul_f32_e32 v36, v26, v34
	v_and_b32_e32 v34, 0x7f800000, v36
	s_delay_alu instid0(VALU_DEP_1) | instskip(NEXT) | instid1(VALU_DEP_1)
	v_cmp_ne_u32_e64 s1, 0x7f800000, v34
                                        ; implicit-def: $vgpr34
	s_and_saveexec_b32 s6, s1
	s_delay_alu instid0(SALU_CYCLE_1)
	s_xor_b32 s1, exec_lo, s6
; %bb.525:                              ;   in Loop: Header=BB393_394 Depth=1
	v_bfe_u32 v34, v36, 16, 1
	s_delay_alu instid0(VALU_DEP_1)
	v_add3_u32 v34, v36, v34, 0x7fff
                                        ; implicit-def: $vgpr36
; %bb.526:                              ;   in Loop: Header=BB393_394 Depth=1
	s_and_not1_saveexec_b32 s6, s1
; %bb.527:                              ;   in Loop: Header=BB393_394 Depth=1
	v_and_b32_e32 v34, 0xffff, v36
	v_or_b32_e32 v37, 0x10000, v36
	s_delay_alu instid0(VALU_DEP_2) | instskip(NEXT) | instid1(VALU_DEP_1)
	v_cmp_eq_u32_e64 s1, 0, v34
	v_cndmask_b32_e64 v34, v37, v36, s1
; %bb.528:                              ;   in Loop: Header=BB393_394 Depth=1
	s_or_b32 exec_lo, exec_lo, s6
	v_and_b32_e32 v27, 0xffff0000, v27
	v_lshlrev_b32_e32 v35, 16, v35
	s_delay_alu instid0(VALU_DEP_1) | instskip(NEXT) | instid1(VALU_DEP_1)
	v_mul_f32_e32 v36, v27, v35
	v_and_b32_e32 v35, 0x7f800000, v36
	s_delay_alu instid0(VALU_DEP_1) | instskip(NEXT) | instid1(VALU_DEP_1)
	v_cmp_ne_u32_e64 s1, 0x7f800000, v35
                                        ; implicit-def: $vgpr35
	s_and_saveexec_b32 s6, s1
	s_delay_alu instid0(SALU_CYCLE_1)
	s_xor_b32 s1, exec_lo, s6
; %bb.529:                              ;   in Loop: Header=BB393_394 Depth=1
	v_bfe_u32 v35, v36, 16, 1
	s_delay_alu instid0(VALU_DEP_1)
	v_add3_u32 v35, v36, v35, 0x7fff
                                        ; implicit-def: $vgpr36
; %bb.530:                              ;   in Loop: Header=BB393_394 Depth=1
	s_and_not1_saveexec_b32 s6, s1
; %bb.531:                              ;   in Loop: Header=BB393_394 Depth=1
	v_and_b32_e32 v35, 0xffff, v36
	v_or_b32_e32 v37, 0x10000, v36
	s_delay_alu instid0(VALU_DEP_2) | instskip(NEXT) | instid1(VALU_DEP_1)
	v_cmp_eq_u32_e64 s1, 0, v35
	v_cndmask_b32_e64 v35, v37, v36, s1
; %bb.532:                              ;   in Loop: Header=BB393_394 Depth=1
	s_or_b32 exec_lo, exec_lo, s6
	v_and_b32_e32 v28, 0xffff0000, v28
	v_lshlrev_b32_e32 v14, 16, v14
	s_delay_alu instid0(VALU_DEP_1) | instskip(NEXT) | instid1(VALU_DEP_1)
	v_mul_f32_e32 v14, v28, v14
	v_and_b32_e32 v36, 0x7f800000, v14
	s_delay_alu instid0(VALU_DEP_1) | instskip(NEXT) | instid1(VALU_DEP_1)
	v_cmp_ne_u32_e64 s1, 0x7f800000, v36
                                        ; implicit-def: $vgpr36
	s_and_saveexec_b32 s6, s1
	s_delay_alu instid0(SALU_CYCLE_1)
	s_xor_b32 s1, exec_lo, s6
; %bb.533:                              ;   in Loop: Header=BB393_394 Depth=1
	v_bfe_u32 v36, v14, 16, 1
	s_delay_alu instid0(VALU_DEP_1)
	v_add3_u32 v36, v14, v36, 0x7fff
                                        ; implicit-def: $vgpr14
; %bb.534:                              ;   in Loop: Header=BB393_394 Depth=1
	s_and_not1_saveexec_b32 s6, s1
; %bb.535:                              ;   in Loop: Header=BB393_394 Depth=1
	v_and_b32_e32 v36, 0xffff, v14
	v_or_b32_e32 v37, 0x10000, v14
	s_delay_alu instid0(VALU_DEP_2) | instskip(NEXT) | instid1(VALU_DEP_1)
	v_cmp_eq_u32_e64 s1, 0, v36
	v_cndmask_b32_e64 v36, v37, v14, s1
; %bb.536:                              ;   in Loop: Header=BB393_394 Depth=1
	s_or_b32 exec_lo, exec_lo, s6
	v_and_b32_e32 v29, 0xffff0000, v29
	v_lshlrev_b32_e32 v12, 16, v12
                                        ; implicit-def: $vgpr37
	s_delay_alu instid0(VALU_DEP_1) | instskip(NEXT) | instid1(VALU_DEP_1)
	v_mul_f32_e32 v12, v29, v12
	v_and_b32_e32 v14, 0x7f800000, v12
	s_delay_alu instid0(VALU_DEP_1) | instskip(NEXT) | instid1(VALU_DEP_1)
	v_cmp_ne_u32_e64 s1, 0x7f800000, v14
	s_and_saveexec_b32 s6, s1
	s_delay_alu instid0(SALU_CYCLE_1)
	s_xor_b32 s1, exec_lo, s6
; %bb.537:                              ;   in Loop: Header=BB393_394 Depth=1
	v_bfe_u32 v14, v12, 16, 1
	s_delay_alu instid0(VALU_DEP_1)
	v_add3_u32 v37, v12, v14, 0x7fff
                                        ; implicit-def: $vgpr12
; %bb.538:                              ;   in Loop: Header=BB393_394 Depth=1
	s_and_not1_saveexec_b32 s6, s1
; %bb.539:                              ;   in Loop: Header=BB393_394 Depth=1
	v_and_b32_e32 v14, 0xffff, v12
	v_or_b32_e32 v37, 0x10000, v12
	s_delay_alu instid0(VALU_DEP_2) | instskip(NEXT) | instid1(VALU_DEP_1)
	v_cmp_eq_u32_e64 s1, 0, v14
	v_cndmask_b32_e64 v37, v37, v12, s1
; %bb.540:                              ;   in Loop: Header=BB393_394 Depth=1
	s_or_b32 exec_lo, exec_lo, s6
	v_and_b32_e32 v30, 0xffff0000, v30
	v_lshlrev_b32_e32 v11, 16, v11
                                        ; implicit-def: $vgpr38
	s_delay_alu instid0(VALU_DEP_1) | instskip(NEXT) | instid1(VALU_DEP_1)
	v_mul_f32_e32 v11, v30, v11
	v_and_b32_e32 v12, 0x7f800000, v11
	s_delay_alu instid0(VALU_DEP_1) | instskip(NEXT) | instid1(VALU_DEP_1)
	v_cmp_ne_u32_e64 s1, 0x7f800000, v12
	s_and_saveexec_b32 s6, s1
	s_delay_alu instid0(SALU_CYCLE_1)
	s_xor_b32 s1, exec_lo, s6
; %bb.541:                              ;   in Loop: Header=BB393_394 Depth=1
	v_bfe_u32 v12, v11, 16, 1
	s_delay_alu instid0(VALU_DEP_1)
	v_add3_u32 v38, v11, v12, 0x7fff
                                        ; implicit-def: $vgpr11
; %bb.542:                              ;   in Loop: Header=BB393_394 Depth=1
	s_and_not1_saveexec_b32 s6, s1
; %bb.543:                              ;   in Loop: Header=BB393_394 Depth=1
	v_and_b32_e32 v12, 0xffff, v11
	v_or_b32_e32 v14, 0x10000, v11
	s_delay_alu instid0(VALU_DEP_2) | instskip(NEXT) | instid1(VALU_DEP_1)
	v_cmp_eq_u32_e64 s1, 0, v12
	v_cndmask_b32_e64 v38, v14, v11, s1
; %bb.544:                              ;   in Loop: Header=BB393_394 Depth=1
	s_or_b32 exec_lo, exec_lo, s6
	v_and_b32_e32 v31, 0xffff0000, v31
	v_lshlrev_b32_e32 v10, 16, v10
                                        ; implicit-def: $vgpr39
	s_delay_alu instid0(VALU_DEP_1) | instskip(NEXT) | instid1(VALU_DEP_1)
	v_mul_f32_e32 v10, v31, v10
	v_and_b32_e32 v11, 0x7f800000, v10
	s_delay_alu instid0(VALU_DEP_1) | instskip(NEXT) | instid1(VALU_DEP_1)
	v_cmp_ne_u32_e64 s1, 0x7f800000, v11
	s_and_saveexec_b32 s6, s1
	s_delay_alu instid0(SALU_CYCLE_1)
	s_xor_b32 s1, exec_lo, s6
; %bb.545:                              ;   in Loop: Header=BB393_394 Depth=1
	v_bfe_u32 v11, v10, 16, 1
	s_delay_alu instid0(VALU_DEP_1)
	v_add3_u32 v39, v10, v11, 0x7fff
                                        ; implicit-def: $vgpr10
; %bb.546:                              ;   in Loop: Header=BB393_394 Depth=1
	s_and_not1_saveexec_b32 s6, s1
; %bb.547:                              ;   in Loop: Header=BB393_394 Depth=1
	v_and_b32_e32 v11, 0xffff, v10
	v_or_b32_e32 v12, 0x10000, v10
	s_delay_alu instid0(VALU_DEP_2) | instskip(NEXT) | instid1(VALU_DEP_1)
	v_cmp_eq_u32_e64 s1, 0, v11
	v_cndmask_b32_e64 v39, v12, v10, s1
; %bb.548:                              ;   in Loop: Header=BB393_394 Depth=1
	s_or_b32 exec_lo, exec_lo, s6
	v_and_b32_e32 v32, 0xffff0000, v32
	v_lshlrev_b32_e32 v9, 16, v9
                                        ; implicit-def: $vgpr40
	s_delay_alu instid0(VALU_DEP_1) | instskip(NEXT) | instid1(VALU_DEP_1)
	v_mul_f32_e32 v9, v32, v9
	v_and_b32_e32 v10, 0x7f800000, v9
	s_delay_alu instid0(VALU_DEP_1) | instskip(NEXT) | instid1(VALU_DEP_1)
	v_cmp_ne_u32_e64 s1, 0x7f800000, v10
	s_and_saveexec_b32 s6, s1
	s_delay_alu instid0(SALU_CYCLE_1)
	s_xor_b32 s1, exec_lo, s6
; %bb.549:                              ;   in Loop: Header=BB393_394 Depth=1
	v_bfe_u32 v10, v9, 16, 1
	s_delay_alu instid0(VALU_DEP_1)
	v_add3_u32 v40, v9, v10, 0x7fff
                                        ; implicit-def: $vgpr9
; %bb.550:                              ;   in Loop: Header=BB393_394 Depth=1
	s_and_not1_saveexec_b32 s6, s1
; %bb.551:                              ;   in Loop: Header=BB393_394 Depth=1
	v_and_b32_e32 v10, 0xffff, v9
	v_or_b32_e32 v11, 0x10000, v9
	s_delay_alu instid0(VALU_DEP_2) | instskip(NEXT) | instid1(VALU_DEP_1)
	v_cmp_eq_u32_e64 s1, 0, v10
	v_cndmask_b32_e64 v40, v11, v9, s1
; %bb.552:                              ;   in Loop: Header=BB393_394 Depth=1
	s_or_b32 exec_lo, exec_lo, s6
	global_load_b64 v[9:10], v[7:8], off offset:256
	s_mov_b32 s6, exec_lo
	s_waitcnt vmcnt(0)
	v_dual_mov_b32 v11, 0 :: v_dual_and_b32 v12, 0xff, v9
	s_delay_alu instid0(VALU_DEP_1)
	v_cmpx_ne_u16_e32 0, v12
	s_cbranch_execz .LBB393_558
; %bb.553:                              ;   in Loop: Header=BB393_394 Depth=1
	v_bfrev_b32_e32 v11, 1
	s_mov_b32 s7, exec_lo
	v_cmpx_ne_u16_e32 0x80, v12
	s_cbranch_execz .LBB393_557
; %bb.554:                              ;   in Loop: Header=BB393_394 Depth=1
	v_and_b32_e32 v12, 0x7f, v9
	v_mov_b32_e32 v11, 0x7f800001
	s_mov_b32 s9, exec_lo
	s_delay_alu instid0(VALU_DEP_2)
	v_cmpx_ne_u32_e32 0x7f, v12
	s_cbranch_execz .LBB393_556
; %bb.555:                              ;   in Loop: Header=BB393_394 Depth=1
	v_and_b32_e32 v11, 7, v9
	v_lshrrev_b32_e32 v14, 3, v12
	v_cmp_gt_u32_e64 s1, 8, v12
	s_delay_alu instid0(VALU_DEP_3) | instskip(NEXT) | instid1(VALU_DEP_1)
	v_clz_i32_u32_e32 v11, v11
	v_min_u32_e32 v11, 32, v11
	s_delay_alu instid0(VALU_DEP_1) | instskip(SKIP_1) | instid1(VALU_DEP_1)
	v_subrev_nc_u32_e32 v41, 28, v11
	v_sub_nc_u32_e32 v11, 29, v11
	v_cndmask_b32_e64 v14, v14, v11, s1
	s_delay_alu instid0(VALU_DEP_3) | instskip(NEXT) | instid1(VALU_DEP_2)
	v_cndmask_b32_e64 v11, 0, v41, s1
	v_lshl_add_u32 v14, v14, 23, 0x3c000000
	s_delay_alu instid0(VALU_DEP_2) | instskip(SKIP_1) | instid1(VALU_DEP_2)
	v_lshlrev_b64 v[11:12], v11, v[9:10]
	v_lshlrev_b32_e32 v12, 24, v9
	v_lshlrev_b32_e32 v11, 20, v11
	s_delay_alu instid0(VALU_DEP_2) | instskip(NEXT) | instid1(VALU_DEP_2)
	v_and_b32_e32 v12, 0x80000000, v12
	v_and_b32_e32 v11, 0x700000, v11
	s_delay_alu instid0(VALU_DEP_1)
	v_or3_b32 v11, v11, v12, v14
.LBB393_556:                            ;   in Loop: Header=BB393_394 Depth=1
	s_or_b32 exec_lo, exec_lo, s9
.LBB393_557:                            ;   in Loop: Header=BB393_394 Depth=1
	s_delay_alu instid0(SALU_CYCLE_1)
	s_or_b32 exec_lo, exec_lo, s7
.LBB393_558:                            ;   in Loop: Header=BB393_394 Depth=1
	s_delay_alu instid0(SALU_CYCLE_1) | instskip(NEXT) | instid1(VALU_DEP_1)
	s_or_b32 exec_lo, exec_lo, s6
	v_mul_f32_e32 v11, s15, v11
                                        ; implicit-def: $vgpr41
	s_delay_alu instid0(VALU_DEP_1) | instskip(NEXT) | instid1(VALU_DEP_1)
	v_and_b32_e32 v12, 0x7f800000, v11
	v_cmp_ne_u32_e64 s1, 0x7f800000, v12
	s_delay_alu instid0(VALU_DEP_1) | instskip(NEXT) | instid1(SALU_CYCLE_1)
	s_and_saveexec_b32 s6, s1
	s_xor_b32 s1, exec_lo, s6
; %bb.559:                              ;   in Loop: Header=BB393_394 Depth=1
	v_bfe_u32 v12, v11, 16, 1
	s_delay_alu instid0(VALU_DEP_1)
	v_add3_u32 v41, v11, v12, 0x7fff
                                        ; implicit-def: $vgpr11
; %bb.560:                              ;   in Loop: Header=BB393_394 Depth=1
	s_and_not1_saveexec_b32 s6, s1
; %bb.561:                              ;   in Loop: Header=BB393_394 Depth=1
	v_and_b32_e32 v12, 0xffff, v11
	v_or_b32_e32 v14, 0x10000, v11
	s_delay_alu instid0(VALU_DEP_2) | instskip(NEXT) | instid1(VALU_DEP_1)
	v_cmp_eq_u32_e64 s1, 0, v12
	v_cndmask_b32_e64 v41, v14, v11, s1
; %bb.562:                              ;   in Loop: Header=BB393_394 Depth=1
	s_or_b32 exec_lo, exec_lo, s6
	v_lshrrev_b16 v12, 8, v9
	v_mov_b32_e32 v11, 0
	s_mov_b32 s6, exec_lo
	s_delay_alu instid0(VALU_DEP_2)
	v_cmpx_ne_u16_e32 0, v12
	s_cbranch_execz .LBB393_570
; %bb.563:                              ;   in Loop: Header=BB393_394 Depth=1
	v_bfrev_b32_e32 v11, 1
	s_mov_b32 s7, exec_lo
	v_cmpx_ne_u16_e32 0x80, v12
	s_cbranch_execz .LBB393_569
; %bb.564:                              ;   in Loop: Header=BB393_394 Depth=1
	v_and_b32_e32 v14, 0xffff, v12
	v_mov_b32_e32 v11, 0x7f800001
	s_mov_b32 s9, exec_lo
	s_delay_alu instid0(VALU_DEP_2) | instskip(NEXT) | instid1(VALU_DEP_1)
	v_and_b32_e32 v12, 0x7f, v14
	v_cmpx_ne_u32_e32 0x7f, v12
	s_cbranch_execz .LBB393_568
; %bb.565:                              ;   in Loop: Header=BB393_394 Depth=1
	v_and_b32_e32 v14, 7, v14
	v_lshrrev_b32_e32 v11, 3, v12
	s_mov_b32 s16, exec_lo
	v_cmpx_gt_u32_e32 8, v12
; %bb.566:                              ;   in Loop: Header=BB393_394 Depth=1
	s_delay_alu instid0(VALU_DEP_3) | instskip(NEXT) | instid1(VALU_DEP_1)
	v_clz_i32_u32_e32 v11, v14
	v_min_u32_e32 v11, 32, v11
	s_delay_alu instid0(VALU_DEP_1) | instskip(SKIP_1) | instid1(VALU_DEP_2)
	v_subrev_nc_u32_e32 v12, 28, v11
	v_sub_nc_u32_e32 v11, 29, v11
	v_lshlrev_b64 v[42:43], v12, v[14:15]
	s_delay_alu instid0(VALU_DEP_1)
	v_and_b32_e32 v14, 7, v42
; %bb.567:                              ;   in Loop: Header=BB393_394 Depth=1
	s_or_b32 exec_lo, exec_lo, s16
	v_lshlrev_b32_e32 v12, 16, v9
	s_delay_alu instid0(VALU_DEP_2) | instskip(SKIP_1) | instid1(VALU_DEP_3)
	v_lshlrev_b32_e32 v14, 20, v14
	v_lshl_add_u32 v11, v11, 23, 0x3c000000
	v_and_b32_e32 v12, 0x80000000, v12
	s_delay_alu instid0(VALU_DEP_1)
	v_or3_b32 v11, v14, v12, v11
.LBB393_568:                            ;   in Loop: Header=BB393_394 Depth=1
	s_or_b32 exec_lo, exec_lo, s9
.LBB393_569:                            ;   in Loop: Header=BB393_394 Depth=1
	s_delay_alu instid0(SALU_CYCLE_1)
	s_or_b32 exec_lo, exec_lo, s7
.LBB393_570:                            ;   in Loop: Header=BB393_394 Depth=1
	s_delay_alu instid0(SALU_CYCLE_1) | instskip(NEXT) | instid1(VALU_DEP_1)
	s_or_b32 exec_lo, exec_lo, s6
	v_mul_f32_e32 v11, s15, v11
                                        ; implicit-def: $vgpr42
	s_delay_alu instid0(VALU_DEP_1) | instskip(NEXT) | instid1(VALU_DEP_1)
	v_and_b32_e32 v12, 0x7f800000, v11
	v_cmp_ne_u32_e64 s1, 0x7f800000, v12
	s_delay_alu instid0(VALU_DEP_1) | instskip(NEXT) | instid1(SALU_CYCLE_1)
	s_and_saveexec_b32 s6, s1
	s_xor_b32 s1, exec_lo, s6
; %bb.571:                              ;   in Loop: Header=BB393_394 Depth=1
	v_bfe_u32 v12, v11, 16, 1
	s_delay_alu instid0(VALU_DEP_1)
	v_add3_u32 v42, v11, v12, 0x7fff
                                        ; implicit-def: $vgpr11
; %bb.572:                              ;   in Loop: Header=BB393_394 Depth=1
	s_and_not1_saveexec_b32 s6, s1
; %bb.573:                              ;   in Loop: Header=BB393_394 Depth=1
	v_and_b32_e32 v12, 0xffff, v11
	v_or_b32_e32 v14, 0x10000, v11
	s_delay_alu instid0(VALU_DEP_2) | instskip(NEXT) | instid1(VALU_DEP_1)
	v_cmp_eq_u32_e64 s1, 0, v12
	v_cndmask_b32_e64 v42, v14, v11, s1
; %bb.574:                              ;   in Loop: Header=BB393_394 Depth=1
	s_or_b32 exec_lo, exec_lo, s6
	v_lshrrev_b32_e32 v11, 16, v9
	v_mov_b32_e32 v12, 0
	s_mov_b32 s6, exec_lo
	s_delay_alu instid0(VALU_DEP_2) | instskip(NEXT) | instid1(VALU_DEP_1)
	v_and_b32_e32 v14, 0xff, v11
	v_cmpx_ne_u16_e32 0, v14
	s_cbranch_execz .LBB393_582
; %bb.575:                              ;   in Loop: Header=BB393_394 Depth=1
	v_bfrev_b32_e32 v12, 1
	s_mov_b32 s7, exec_lo
	v_cmpx_ne_u16_e32 0x80, v14
	s_cbranch_execz .LBB393_581
; %bb.576:                              ;   in Loop: Header=BB393_394 Depth=1
	v_bfe_u32 v43, v9, 16, 7
	v_mov_b32_e32 v12, 0x7f800001
	s_mov_b32 s9, exec_lo
	s_delay_alu instid0(VALU_DEP_2)
	v_cmpx_ne_u32_e32 0x7f, v43
	s_cbranch_execz .LBB393_580
; %bb.577:                              ;   in Loop: Header=BB393_394 Depth=1
	v_and_b32_e32 v14, 7, v11
	v_lshrrev_b32_e32 v12, 3, v43
	s_mov_b32 s16, exec_lo
	v_cmpx_gt_u32_e32 8, v43
; %bb.578:                              ;   in Loop: Header=BB393_394 Depth=1
	s_delay_alu instid0(VALU_DEP_3) | instskip(NEXT) | instid1(VALU_DEP_1)
	v_clz_i32_u32_e32 v12, v14
	v_min_u32_e32 v12, 32, v12
	s_delay_alu instid0(VALU_DEP_1) | instskip(SKIP_1) | instid1(VALU_DEP_2)
	v_subrev_nc_u32_e32 v43, 28, v12
	v_sub_nc_u32_e32 v12, 29, v12
	v_lshlrev_b64 v[43:44], v43, v[14:15]
	s_delay_alu instid0(VALU_DEP_1)
	v_and_b32_e32 v14, 7, v43
; %bb.579:                              ;   in Loop: Header=BB393_394 Depth=1
	s_or_b32 exec_lo, exec_lo, s16
	v_lshlrev_b32_e32 v11, 24, v11
	s_delay_alu instid0(VALU_DEP_2) | instskip(SKIP_1) | instid1(VALU_DEP_3)
	v_lshlrev_b32_e32 v14, 20, v14
	v_lshl_add_u32 v12, v12, 23, 0x3c000000
	v_and_b32_e32 v11, 0x80000000, v11
	s_delay_alu instid0(VALU_DEP_1)
	v_or3_b32 v12, v14, v11, v12
.LBB393_580:                            ;   in Loop: Header=BB393_394 Depth=1
	s_or_b32 exec_lo, exec_lo, s9
.LBB393_581:                            ;   in Loop: Header=BB393_394 Depth=1
	s_delay_alu instid0(SALU_CYCLE_1)
	s_or_b32 exec_lo, exec_lo, s7
.LBB393_582:                            ;   in Loop: Header=BB393_394 Depth=1
	s_delay_alu instid0(SALU_CYCLE_1) | instskip(NEXT) | instid1(VALU_DEP_1)
	s_or_b32 exec_lo, exec_lo, s6
	v_mul_f32_e32 v11, s15, v12
                                        ; implicit-def: $vgpr43
	s_delay_alu instid0(VALU_DEP_1) | instskip(NEXT) | instid1(VALU_DEP_1)
	v_and_b32_e32 v12, 0x7f800000, v11
	v_cmp_ne_u32_e64 s1, 0x7f800000, v12
	s_delay_alu instid0(VALU_DEP_1) | instskip(NEXT) | instid1(SALU_CYCLE_1)
	s_and_saveexec_b32 s6, s1
	s_xor_b32 s1, exec_lo, s6
; %bb.583:                              ;   in Loop: Header=BB393_394 Depth=1
	v_bfe_u32 v12, v11, 16, 1
	s_delay_alu instid0(VALU_DEP_1)
	v_add3_u32 v43, v11, v12, 0x7fff
                                        ; implicit-def: $vgpr11
; %bb.584:                              ;   in Loop: Header=BB393_394 Depth=1
	s_and_not1_saveexec_b32 s6, s1
; %bb.585:                              ;   in Loop: Header=BB393_394 Depth=1
	v_and_b32_e32 v12, 0xffff, v11
	v_or_b32_e32 v14, 0x10000, v11
	s_delay_alu instid0(VALU_DEP_2) | instskip(NEXT) | instid1(VALU_DEP_1)
	v_cmp_eq_u32_e64 s1, 0, v12
	v_cndmask_b32_e64 v43, v14, v11, s1
; %bb.586:                              ;   in Loop: Header=BB393_394 Depth=1
	s_or_b32 exec_lo, exec_lo, s6
	v_mov_b32_e32 v12, 0
	s_mov_b32 s6, exec_lo
	v_cmpx_lt_u32_e32 0xffffff, v9
	s_cbranch_execz .LBB393_594
; %bb.587:                              ;   in Loop: Header=BB393_394 Depth=1
	v_lshrrev_b32_e32 v11, 24, v9
	v_bfrev_b32_e32 v12, 1
	s_mov_b32 s7, exec_lo
	s_delay_alu instid0(VALU_DEP_2)
	v_cmpx_ne_u32_e32 0x80, v11
	s_cbranch_execz .LBB393_593
; %bb.588:                              ;   in Loop: Header=BB393_394 Depth=1
	v_bfe_u32 v44, v9, 24, 7
	v_mov_b32_e32 v12, 0x7f800001
	s_mov_b32 s9, exec_lo
	s_delay_alu instid0(VALU_DEP_2)
	v_cmpx_ne_u32_e32 0x7f, v44
	s_cbranch_execz .LBB393_592
; %bb.589:                              ;   in Loop: Header=BB393_394 Depth=1
	v_and_b32_e32 v14, 7, v11
	v_lshrrev_b32_e32 v12, 3, v44
	s_mov_b32 s16, exec_lo
	v_cmpx_gt_u32_e32 8, v44
; %bb.590:                              ;   in Loop: Header=BB393_394 Depth=1
	s_delay_alu instid0(VALU_DEP_3) | instskip(NEXT) | instid1(VALU_DEP_1)
	v_clz_i32_u32_e32 v12, v14
	v_min_u32_e32 v12, 32, v12
	s_delay_alu instid0(VALU_DEP_1) | instskip(SKIP_1) | instid1(VALU_DEP_2)
	v_subrev_nc_u32_e32 v44, 28, v12
	v_sub_nc_u32_e32 v12, 29, v12
	v_lshlrev_b64 v[44:45], v44, v[14:15]
	s_delay_alu instid0(VALU_DEP_1)
	v_and_b32_e32 v14, 7, v44
; %bb.591:                              ;   in Loop: Header=BB393_394 Depth=1
	s_or_b32 exec_lo, exec_lo, s16
	v_lshlrev_b32_e32 v11, 24, v11
	s_delay_alu instid0(VALU_DEP_2) | instskip(SKIP_1) | instid1(VALU_DEP_3)
	v_lshlrev_b32_e32 v14, 20, v14
	v_lshl_add_u32 v12, v12, 23, 0x3c000000
	v_and_b32_e32 v11, 0x80000000, v11
	s_delay_alu instid0(VALU_DEP_1)
	v_or3_b32 v12, v14, v11, v12
.LBB393_592:                            ;   in Loop: Header=BB393_394 Depth=1
	s_or_b32 exec_lo, exec_lo, s9
.LBB393_593:                            ;   in Loop: Header=BB393_394 Depth=1
	s_delay_alu instid0(SALU_CYCLE_1)
	s_or_b32 exec_lo, exec_lo, s7
.LBB393_594:                            ;   in Loop: Header=BB393_394 Depth=1
	s_delay_alu instid0(SALU_CYCLE_1) | instskip(NEXT) | instid1(VALU_DEP_1)
	s_or_b32 exec_lo, exec_lo, s6
	v_mul_f32_e32 v11, s15, v12
                                        ; implicit-def: $vgpr44
	s_delay_alu instid0(VALU_DEP_1) | instskip(NEXT) | instid1(VALU_DEP_1)
	v_and_b32_e32 v12, 0x7f800000, v11
	v_cmp_ne_u32_e64 s1, 0x7f800000, v12
	s_delay_alu instid0(VALU_DEP_1) | instskip(NEXT) | instid1(SALU_CYCLE_1)
	s_and_saveexec_b32 s6, s1
	s_xor_b32 s1, exec_lo, s6
; %bb.595:                              ;   in Loop: Header=BB393_394 Depth=1
	v_bfe_u32 v12, v11, 16, 1
	s_delay_alu instid0(VALU_DEP_1)
	v_add3_u32 v44, v11, v12, 0x7fff
                                        ; implicit-def: $vgpr11
; %bb.596:                              ;   in Loop: Header=BB393_394 Depth=1
	s_and_not1_saveexec_b32 s6, s1
; %bb.597:                              ;   in Loop: Header=BB393_394 Depth=1
	v_and_b32_e32 v12, 0xffff, v11
	v_or_b32_e32 v14, 0x10000, v11
	s_delay_alu instid0(VALU_DEP_2) | instskip(NEXT) | instid1(VALU_DEP_1)
	v_cmp_eq_u32_e64 s1, 0, v12
	v_cndmask_b32_e64 v44, v14, v11, s1
; %bb.598:                              ;   in Loop: Header=BB393_394 Depth=1
	s_or_b32 exec_lo, exec_lo, s6
	v_dual_mov_b32 v11, 0 :: v_dual_and_b32 v12, 0xff, v10
	v_mov_b32_e32 v14, v10
	s_mov_b32 s6, exec_lo
	s_delay_alu instid0(VALU_DEP_2)
	v_cmpx_ne_u16_e32 0, v12
	s_cbranch_execz .LBB393_604
; %bb.599:                              ;   in Loop: Header=BB393_394 Depth=1
	v_bfrev_b32_e32 v11, 1
	s_mov_b32 s7, exec_lo
	v_cmpx_ne_u16_e32 0x80, v12
	s_cbranch_execz .LBB393_603
; %bb.600:                              ;   in Loop: Header=BB393_394 Depth=1
	v_and_b32_e32 v12, 0x7f, v10
	v_mov_b32_e32 v11, 0x7f800001
	s_mov_b32 s9, exec_lo
	s_delay_alu instid0(VALU_DEP_2)
	v_cmpx_ne_u32_e32 0x7f, v12
	s_cbranch_execz .LBB393_602
; %bb.601:                              ;   in Loop: Header=BB393_394 Depth=1
	v_and_b32_e32 v11, 7, v10
	v_lshrrev_b32_e32 v45, 3, v12
	v_cmp_gt_u32_e64 s1, 8, v12
	s_delay_alu instid0(VALU_DEP_3) | instskip(NEXT) | instid1(VALU_DEP_1)
	v_clz_i32_u32_e32 v11, v11
	v_min_u32_e32 v11, 32, v11
	s_delay_alu instid0(VALU_DEP_1) | instskip(SKIP_1) | instid1(VALU_DEP_1)
	v_subrev_nc_u32_e32 v46, 28, v11
	v_sub_nc_u32_e32 v11, 29, v11
	v_cndmask_b32_e64 v45, v45, v11, s1
	s_delay_alu instid0(VALU_DEP_3) | instskip(NEXT) | instid1(VALU_DEP_2)
	v_cndmask_b32_e64 v11, 0, v46, s1
	v_lshl_add_u32 v45, v45, 23, 0x3c000000
	s_delay_alu instid0(VALU_DEP_2) | instskip(SKIP_1) | instid1(VALU_DEP_2)
	v_lshlrev_b64 v[11:12], v11, v[14:15]
	v_lshlrev_b32_e32 v12, 24, v14
	v_lshlrev_b32_e32 v11, 20, v11
	s_delay_alu instid0(VALU_DEP_2) | instskip(NEXT) | instid1(VALU_DEP_2)
	v_and_b32_e32 v12, 0x80000000, v12
	v_and_b32_e32 v11, 0x700000, v11
	s_delay_alu instid0(VALU_DEP_1)
	v_or3_b32 v11, v11, v12, v45
.LBB393_602:                            ;   in Loop: Header=BB393_394 Depth=1
	s_or_b32 exec_lo, exec_lo, s9
.LBB393_603:                            ;   in Loop: Header=BB393_394 Depth=1
	s_delay_alu instid0(SALU_CYCLE_1)
	s_or_b32 exec_lo, exec_lo, s7
.LBB393_604:                            ;   in Loop: Header=BB393_394 Depth=1
	s_delay_alu instid0(SALU_CYCLE_1) | instskip(NEXT) | instid1(VALU_DEP_1)
	s_or_b32 exec_lo, exec_lo, s6
	v_mul_f32_e32 v11, s15, v11
                                        ; implicit-def: $vgpr45
	s_delay_alu instid0(VALU_DEP_1) | instskip(NEXT) | instid1(VALU_DEP_1)
	v_and_b32_e32 v12, 0x7f800000, v11
	v_cmp_ne_u32_e64 s1, 0x7f800000, v12
	s_delay_alu instid0(VALU_DEP_1) | instskip(NEXT) | instid1(SALU_CYCLE_1)
	s_and_saveexec_b32 s6, s1
	s_xor_b32 s1, exec_lo, s6
; %bb.605:                              ;   in Loop: Header=BB393_394 Depth=1
	v_bfe_u32 v12, v11, 16, 1
	s_delay_alu instid0(VALU_DEP_1)
	v_add3_u32 v45, v11, v12, 0x7fff
                                        ; implicit-def: $vgpr11
; %bb.606:                              ;   in Loop: Header=BB393_394 Depth=1
	s_and_not1_saveexec_b32 s6, s1
; %bb.607:                              ;   in Loop: Header=BB393_394 Depth=1
	v_and_b32_e32 v12, 0xffff, v11
	v_or_b32_e32 v45, 0x10000, v11
	s_delay_alu instid0(VALU_DEP_2) | instskip(NEXT) | instid1(VALU_DEP_1)
	v_cmp_eq_u32_e64 s1, 0, v12
	v_cndmask_b32_e64 v45, v45, v11, s1
; %bb.608:                              ;   in Loop: Header=BB393_394 Depth=1
	s_or_b32 exec_lo, exec_lo, s6
	v_lshrrev_b16 v12, 8, v14
	v_mov_b32_e32 v11, 0
	s_mov_b32 s6, exec_lo
	s_delay_alu instid0(VALU_DEP_2)
	v_cmpx_ne_u16_e32 0, v12
	s_cbranch_execz .LBB393_616
; %bb.609:                              ;   in Loop: Header=BB393_394 Depth=1
	v_bfrev_b32_e32 v11, 1
	s_mov_b32 s7, exec_lo
	v_cmpx_ne_u16_e32 0x80, v12
	s_cbranch_execz .LBB393_615
; %bb.610:                              ;   in Loop: Header=BB393_394 Depth=1
	v_and_b32_e32 v12, 0xffff, v12
	v_mov_b32_e32 v11, 0x7f800001
	s_mov_b32 s9, exec_lo
	s_delay_alu instid0(VALU_DEP_2) | instskip(NEXT) | instid1(VALU_DEP_1)
	v_and_b32_e32 v47, 0x7f, v12
	v_cmpx_ne_u32_e32 0x7f, v47
	s_cbranch_execz .LBB393_614
; %bb.611:                              ;   in Loop: Header=BB393_394 Depth=1
	v_dual_mov_b32 v12, v15 :: v_dual_and_b32 v11, 7, v12
	v_lshrrev_b32_e32 v46, 3, v47
	s_mov_b32 s16, exec_lo
	v_cmpx_gt_u32_e32 8, v47
; %bb.612:                              ;   in Loop: Header=BB393_394 Depth=1
	s_delay_alu instid0(VALU_DEP_3) | instskip(NEXT) | instid1(VALU_DEP_1)
	v_clz_i32_u32_e32 v46, v11
	v_min_u32_e32 v46, 32, v46
	s_delay_alu instid0(VALU_DEP_1) | instskip(SKIP_1) | instid1(VALU_DEP_2)
	v_subrev_nc_u32_e32 v47, 28, v46
	v_sub_nc_u32_e32 v46, 29, v46
	v_lshlrev_b64 v[11:12], v47, v[11:12]
	s_delay_alu instid0(VALU_DEP_1)
	v_and_b32_e32 v11, 7, v11
; %bb.613:                              ;   in Loop: Header=BB393_394 Depth=1
	s_or_b32 exec_lo, exec_lo, s16
	v_lshlrev_b32_e32 v12, 16, v14
	s_delay_alu instid0(VALU_DEP_2) | instskip(SKIP_1) | instid1(VALU_DEP_3)
	v_lshlrev_b32_e32 v11, 20, v11
	v_lshl_add_u32 v14, v46, 23, 0x3c000000
	v_and_b32_e32 v12, 0x80000000, v12
	s_delay_alu instid0(VALU_DEP_1)
	v_or3_b32 v11, v11, v12, v14
.LBB393_614:                            ;   in Loop: Header=BB393_394 Depth=1
	s_or_b32 exec_lo, exec_lo, s9
.LBB393_615:                            ;   in Loop: Header=BB393_394 Depth=1
	s_delay_alu instid0(SALU_CYCLE_1)
	s_or_b32 exec_lo, exec_lo, s7
.LBB393_616:                            ;   in Loop: Header=BB393_394 Depth=1
	s_delay_alu instid0(SALU_CYCLE_1) | instskip(NEXT) | instid1(VALU_DEP_1)
	s_or_b32 exec_lo, exec_lo, s6
	v_mul_f32_e32 v12, s15, v11
	s_delay_alu instid0(VALU_DEP_1) | instskip(NEXT) | instid1(VALU_DEP_1)
	v_and_b32_e32 v11, 0x7f800000, v12
	v_cmp_ne_u32_e64 s1, 0x7f800000, v11
                                        ; implicit-def: $vgpr11
	s_delay_alu instid0(VALU_DEP_1) | instskip(NEXT) | instid1(SALU_CYCLE_1)
	s_and_saveexec_b32 s6, s1
	s_xor_b32 s1, exec_lo, s6
; %bb.617:                              ;   in Loop: Header=BB393_394 Depth=1
	v_bfe_u32 v11, v12, 16, 1
	s_delay_alu instid0(VALU_DEP_1)
	v_add3_u32 v11, v12, v11, 0x7fff
                                        ; implicit-def: $vgpr12
; %bb.618:                              ;   in Loop: Header=BB393_394 Depth=1
	s_and_not1_saveexec_b32 s6, s1
; %bb.619:                              ;   in Loop: Header=BB393_394 Depth=1
	v_and_b32_e32 v11, 0xffff, v12
	v_or_b32_e32 v14, 0x10000, v12
	s_delay_alu instid0(VALU_DEP_2) | instskip(NEXT) | instid1(VALU_DEP_1)
	v_cmp_eq_u32_e64 s1, 0, v11
	v_cndmask_b32_e64 v11, v14, v12, s1
; %bb.620:                              ;   in Loop: Header=BB393_394 Depth=1
	s_or_b32 exec_lo, exec_lo, s6
	v_lshrrev_b32_e32 v12, 16, v10
	v_mov_b32_e32 v14, 0
	s_mov_b32 s6, exec_lo
	s_delay_alu instid0(VALU_DEP_2) | instskip(NEXT) | instid1(VALU_DEP_1)
	v_and_b32_e32 v46, 0xff, v12
	v_cmpx_ne_u16_e32 0, v46
	s_cbranch_execz .LBB393_628
; %bb.621:                              ;   in Loop: Header=BB393_394 Depth=1
	v_bfrev_b32_e32 v14, 1
	s_mov_b32 s7, exec_lo
	v_cmpx_ne_u16_e32 0x80, v46
	s_cbranch_execz .LBB393_627
; %bb.622:                              ;   in Loop: Header=BB393_394 Depth=1
	v_bfe_u32 v47, v10, 16, 7
	v_mov_b32_e32 v14, 0x7f800001
	s_mov_b32 s9, exec_lo
	s_delay_alu instid0(VALU_DEP_2)
	v_cmpx_ne_u32_e32 0x7f, v47
	s_cbranch_execz .LBB393_626
; %bb.623:                              ;   in Loop: Header=BB393_394 Depth=1
	v_and_b32_e32 v14, 7, v12
	v_lshrrev_b32_e32 v46, 3, v47
	s_mov_b32 s16, exec_lo
	v_cmpx_gt_u32_e32 8, v47
; %bb.624:                              ;   in Loop: Header=BB393_394 Depth=1
	s_delay_alu instid0(VALU_DEP_3) | instskip(NEXT) | instid1(VALU_DEP_1)
	v_clz_i32_u32_e32 v46, v14
	v_min_u32_e32 v46, 32, v46
	s_delay_alu instid0(VALU_DEP_1) | instskip(SKIP_1) | instid1(VALU_DEP_2)
	v_subrev_nc_u32_e32 v47, 28, v46
	v_sub_nc_u32_e32 v46, 29, v46
	v_lshlrev_b64 v[47:48], v47, v[14:15]
	s_delay_alu instid0(VALU_DEP_1)
	v_and_b32_e32 v14, 7, v47
; %bb.625:                              ;   in Loop: Header=BB393_394 Depth=1
	s_or_b32 exec_lo, exec_lo, s16
	v_lshlrev_b32_e32 v12, 24, v12
	s_delay_alu instid0(VALU_DEP_2) | instskip(SKIP_1) | instid1(VALU_DEP_3)
	v_lshlrev_b32_e32 v14, 20, v14
	v_lshl_add_u32 v46, v46, 23, 0x3c000000
	v_and_b32_e32 v12, 0x80000000, v12
	s_delay_alu instid0(VALU_DEP_1)
	v_or3_b32 v14, v14, v12, v46
.LBB393_626:                            ;   in Loop: Header=BB393_394 Depth=1
	s_or_b32 exec_lo, exec_lo, s9
.LBB393_627:                            ;   in Loop: Header=BB393_394 Depth=1
	s_delay_alu instid0(SALU_CYCLE_1)
	s_or_b32 exec_lo, exec_lo, s7
.LBB393_628:                            ;   in Loop: Header=BB393_394 Depth=1
	s_delay_alu instid0(SALU_CYCLE_1) | instskip(NEXT) | instid1(VALU_DEP_1)
	s_or_b32 exec_lo, exec_lo, s6
	v_mul_f32_e32 v14, s15, v14
	s_delay_alu instid0(VALU_DEP_1) | instskip(NEXT) | instid1(VALU_DEP_1)
	v_and_b32_e32 v12, 0x7f800000, v14
	v_cmp_ne_u32_e64 s1, 0x7f800000, v12
                                        ; implicit-def: $vgpr12
	s_delay_alu instid0(VALU_DEP_1) | instskip(NEXT) | instid1(SALU_CYCLE_1)
	s_and_saveexec_b32 s6, s1
	s_xor_b32 s1, exec_lo, s6
; %bb.629:                              ;   in Loop: Header=BB393_394 Depth=1
	v_bfe_u32 v12, v14, 16, 1
	s_delay_alu instid0(VALU_DEP_1)
	v_add3_u32 v12, v14, v12, 0x7fff
                                        ; implicit-def: $vgpr14
; %bb.630:                              ;   in Loop: Header=BB393_394 Depth=1
	s_and_not1_saveexec_b32 s6, s1
; %bb.631:                              ;   in Loop: Header=BB393_394 Depth=1
	v_and_b32_e32 v12, 0xffff, v14
	v_or_b32_e32 v46, 0x10000, v14
	s_delay_alu instid0(VALU_DEP_2) | instskip(NEXT) | instid1(VALU_DEP_1)
	v_cmp_eq_u32_e64 s1, 0, v12
	v_cndmask_b32_e64 v12, v46, v14, s1
; %bb.632:                              ;   in Loop: Header=BB393_394 Depth=1
	s_or_b32 exec_lo, exec_lo, s6
	v_mov_b32_e32 v14, 0
	s_mov_b32 s6, exec_lo
	v_cmpx_lt_u64_e64 s[12:13], v[9:10]
	s_cbranch_execz .LBB393_640
; %bb.633:                              ;   in Loop: Header=BB393_394 Depth=1
	v_lshrrev_b32_e32 v9, 24, v10
	v_bfrev_b32_e32 v14, 1
	s_mov_b32 s7, exec_lo
	s_delay_alu instid0(VALU_DEP_2)
	v_cmpx_ne_u32_e32 0x80, v9
	s_cbranch_execz .LBB393_639
; %bb.634:                              ;   in Loop: Header=BB393_394 Depth=1
	v_bfe_u32 v46, v10, 24, 7
	v_mov_b32_e32 v14, 0x7f800001
	s_mov_b32 s9, exec_lo
	s_delay_alu instid0(VALU_DEP_2)
	v_cmpx_ne_u32_e32 0x7f, v46
	s_cbranch_execz .LBB393_638
; %bb.635:                              ;   in Loop: Header=BB393_394 Depth=1
	v_and_b32_e32 v14, 7, v9
	v_lshrrev_b32_e32 v10, 3, v46
	s_mov_b32 s16, exec_lo
	v_cmpx_gt_u32_e32 8, v46
; %bb.636:                              ;   in Loop: Header=BB393_394 Depth=1
	s_delay_alu instid0(VALU_DEP_3) | instskip(NEXT) | instid1(VALU_DEP_1)
	v_clz_i32_u32_e32 v10, v14
	v_min_u32_e32 v10, 32, v10
	s_delay_alu instid0(VALU_DEP_1) | instskip(SKIP_1) | instid1(VALU_DEP_2)
	v_subrev_nc_u32_e32 v46, 28, v10
	v_sub_nc_u32_e32 v10, 29, v10
	v_lshlrev_b64 v[46:47], v46, v[14:15]
	s_delay_alu instid0(VALU_DEP_1)
	v_and_b32_e32 v14, 7, v46
; %bb.637:                              ;   in Loop: Header=BB393_394 Depth=1
	s_or_b32 exec_lo, exec_lo, s16
	v_lshlrev_b32_e32 v9, 24, v9
	s_delay_alu instid0(VALU_DEP_2) | instskip(SKIP_1) | instid1(VALU_DEP_3)
	v_lshlrev_b32_e32 v14, 20, v14
	v_lshl_add_u32 v10, v10, 23, 0x3c000000
	v_and_b32_e32 v9, 0x80000000, v9
	s_delay_alu instid0(VALU_DEP_1)
	v_or3_b32 v14, v14, v9, v10
.LBB393_638:                            ;   in Loop: Header=BB393_394 Depth=1
	s_or_b32 exec_lo, exec_lo, s9
.LBB393_639:                            ;   in Loop: Header=BB393_394 Depth=1
	s_delay_alu instid0(SALU_CYCLE_1)
	s_or_b32 exec_lo, exec_lo, s7
.LBB393_640:                            ;   in Loop: Header=BB393_394 Depth=1
	s_delay_alu instid0(SALU_CYCLE_1) | instskip(NEXT) | instid1(VALU_DEP_1)
	s_or_b32 exec_lo, exec_lo, s6
	v_mul_f32_e32 v10, s15, v14
	s_delay_alu instid0(VALU_DEP_1) | instskip(NEXT) | instid1(VALU_DEP_1)
	v_and_b32_e32 v9, 0x7f800000, v10
	v_cmp_ne_u32_e64 s1, 0x7f800000, v9
                                        ; implicit-def: $vgpr9
	s_delay_alu instid0(VALU_DEP_1) | instskip(NEXT) | instid1(SALU_CYCLE_1)
	s_and_saveexec_b32 s6, s1
	s_xor_b32 s1, exec_lo, s6
; %bb.641:                              ;   in Loop: Header=BB393_394 Depth=1
	v_bfe_u32 v9, v10, 16, 1
	s_delay_alu instid0(VALU_DEP_1)
	v_add3_u32 v9, v10, v9, 0x7fff
                                        ; implicit-def: $vgpr10
; %bb.642:                              ;   in Loop: Header=BB393_394 Depth=1
	s_and_not1_saveexec_b32 s6, s1
; %bb.643:                              ;   in Loop: Header=BB393_394 Depth=1
	v_and_b32_e32 v9, 0xffff, v10
	v_or_b32_e32 v14, 0x10000, v10
	s_delay_alu instid0(VALU_DEP_2) | instskip(NEXT) | instid1(VALU_DEP_1)
	v_cmp_eq_u32_e64 s1, 0, v9
	v_cndmask_b32_e64 v9, v14, v10, s1
; %bb.644:                              ;   in Loop: Header=BB393_394 Depth=1
	s_or_b32 exec_lo, exec_lo, s6
	v_lshrrev_b32_e32 v14, 16, v11
	v_lshrrev_b32_e32 v45, 16, v45
	;; [unrolled: 1-line block ×8, first 2 shown]
	s_and_saveexec_b32 s6, s0
	s_cbranch_execz .LBB393_646
; %bb.645:                              ;   in Loop: Header=BB393_394 Depth=1
	v_add_nc_u32_e32 v12, -6, v22
	v_cmp_gt_i32_e64 s1, s33, v24
	v_add_nc_u32_e32 v41, -5, v22
	v_add_nc_u32_e32 v46, -2, v22
	s_delay_alu instid0(VALU_DEP_3) | instskip(SKIP_2) | instid1(VALU_DEP_2)
	v_cndmask_b32_e64 v11, 0, v11, s1
	v_cmp_gt_i32_e64 s1, s33, v12
	v_add_nc_u32_e32 v12, -4, v22
	v_cndmask_b32_e64 v42, 0, v42, s1
	v_cmp_gt_i32_e64 s1, s33, v41
	v_add_nc_u32_e32 v41, -3, v22
	s_delay_alu instid0(VALU_DEP_2) | instskip(SKIP_2) | instid1(VALU_DEP_2)
	v_cndmask_b32_e64 v43, 0, v43, s1
	v_cmp_gt_i32_e64 s1, s33, v12
	v_add_nc_u32_e32 v12, -1, v22
	v_cndmask_b32_e64 v44, 0, v44, s1
	v_cmp_gt_i32_e64 s1, s33, v41
	s_delay_alu instid0(VALU_DEP_1) | instskip(SKIP_1) | instid1(VALU_DEP_1)
	v_cndmask_b32_e64 v45, 0, v45, s1
	v_cmp_gt_i32_e64 s1, s33, v46
	v_cndmask_b32_e64 v14, 0, v14, s1
	v_cmp_gt_i32_e64 s1, s33, v12
	s_delay_alu instid0(VALU_DEP_1) | instskip(SKIP_1) | instid1(VALU_DEP_1)
	v_cndmask_b32_e64 v10, 0, v10, s1
	v_cmp_gt_i32_e64 s1, s33, v22
	v_cndmask_b32_e64 v9, 0, v9, s1
.LBB393_646:                            ;   in Loop: Header=BB393_394 Depth=1
	s_or_b32 exec_lo, exec_lo, s6
	v_lshlrev_b32_e32 v11, 16, v11
	s_delay_alu instid0(VALU_DEP_1) | instskip(NEXT) | instid1(VALU_DEP_1)
	v_mul_f32_e32 v12, v25, v11
	v_and_b32_e32 v11, 0x7f800000, v12
	s_delay_alu instid0(VALU_DEP_1) | instskip(NEXT) | instid1(VALU_DEP_1)
	v_cmp_ne_u32_e64 s1, 0x7f800000, v11
                                        ; implicit-def: $vgpr11
	s_and_saveexec_b32 s6, s1
	s_delay_alu instid0(SALU_CYCLE_1)
	s_xor_b32 s1, exec_lo, s6
; %bb.647:                              ;   in Loop: Header=BB393_394 Depth=1
	v_bfe_u32 v11, v12, 16, 1
	s_delay_alu instid0(VALU_DEP_1)
	v_add3_u32 v11, v12, v11, 0x7fff
                                        ; implicit-def: $vgpr12
; %bb.648:                              ;   in Loop: Header=BB393_394 Depth=1
	s_and_not1_saveexec_b32 s6, s1
; %bb.649:                              ;   in Loop: Header=BB393_394 Depth=1
	v_and_b32_e32 v11, 0xffff, v12
	v_or_b32_e32 v41, 0x10000, v12
	s_delay_alu instid0(VALU_DEP_2) | instskip(NEXT) | instid1(VALU_DEP_1)
	v_cmp_eq_u32_e64 s1, 0, v11
	v_cndmask_b32_e64 v11, v41, v12, s1
; %bb.650:                              ;   in Loop: Header=BB393_394 Depth=1
	s_or_b32 exec_lo, exec_lo, s6
	v_lshlrev_b32_e32 v12, 16, v42
	s_delay_alu instid0(VALU_DEP_1) | instskip(NEXT) | instid1(VALU_DEP_1)
	v_mul_f32_e32 v41, v26, v12
	v_and_b32_e32 v12, 0x7f800000, v41
	s_delay_alu instid0(VALU_DEP_1) | instskip(NEXT) | instid1(VALU_DEP_1)
	v_cmp_ne_u32_e64 s1, 0x7f800000, v12
                                        ; implicit-def: $vgpr12
	s_and_saveexec_b32 s6, s1
	s_delay_alu instid0(SALU_CYCLE_1)
	s_xor_b32 s1, exec_lo, s6
; %bb.651:                              ;   in Loop: Header=BB393_394 Depth=1
	v_bfe_u32 v12, v41, 16, 1
	s_delay_alu instid0(VALU_DEP_1)
	v_add3_u32 v12, v41, v12, 0x7fff
                                        ; implicit-def: $vgpr41
; %bb.652:                              ;   in Loop: Header=BB393_394 Depth=1
	s_and_not1_saveexec_b32 s6, s1
; %bb.653:                              ;   in Loop: Header=BB393_394 Depth=1
	v_and_b32_e32 v12, 0xffff, v41
	v_or_b32_e32 v42, 0x10000, v41
	s_delay_alu instid0(VALU_DEP_2) | instskip(NEXT) | instid1(VALU_DEP_1)
	v_cmp_eq_u32_e64 s1, 0, v12
	v_cndmask_b32_e64 v12, v42, v41, s1
; %bb.654:                              ;   in Loop: Header=BB393_394 Depth=1
	s_or_b32 exec_lo, exec_lo, s6
	v_lshlrev_b32_e32 v41, 16, v43
	s_delay_alu instid0(VALU_DEP_1) | instskip(NEXT) | instid1(VALU_DEP_1)
	v_mul_f32_e32 v42, v27, v41
	v_and_b32_e32 v41, 0x7f800000, v42
	s_delay_alu instid0(VALU_DEP_1) | instskip(NEXT) | instid1(VALU_DEP_1)
	v_cmp_ne_u32_e64 s1, 0x7f800000, v41
                                        ; implicit-def: $vgpr41
	s_and_saveexec_b32 s6, s1
	s_delay_alu instid0(SALU_CYCLE_1)
	s_xor_b32 s1, exec_lo, s6
; %bb.655:                              ;   in Loop: Header=BB393_394 Depth=1
	v_bfe_u32 v41, v42, 16, 1
	s_delay_alu instid0(VALU_DEP_1)
	v_add3_u32 v41, v42, v41, 0x7fff
                                        ; implicit-def: $vgpr42
; %bb.656:                              ;   in Loop: Header=BB393_394 Depth=1
	s_and_not1_saveexec_b32 s6, s1
; %bb.657:                              ;   in Loop: Header=BB393_394 Depth=1
	v_and_b32_e32 v41, 0xffff, v42
	v_or_b32_e32 v43, 0x10000, v42
	s_delay_alu instid0(VALU_DEP_2) | instskip(NEXT) | instid1(VALU_DEP_1)
	v_cmp_eq_u32_e64 s1, 0, v41
	v_cndmask_b32_e64 v41, v43, v42, s1
; %bb.658:                              ;   in Loop: Header=BB393_394 Depth=1
	s_or_b32 exec_lo, exec_lo, s6
	v_lshlrev_b32_e32 v42, 16, v44
	s_delay_alu instid0(VALU_DEP_1) | instskip(NEXT) | instid1(VALU_DEP_1)
	v_mul_f32_e32 v43, v28, v42
	v_and_b32_e32 v42, 0x7f800000, v43
	s_delay_alu instid0(VALU_DEP_1) | instskip(NEXT) | instid1(VALU_DEP_1)
	v_cmp_ne_u32_e64 s1, 0x7f800000, v42
                                        ; implicit-def: $vgpr42
	s_and_saveexec_b32 s6, s1
	s_delay_alu instid0(SALU_CYCLE_1)
	s_xor_b32 s1, exec_lo, s6
; %bb.659:                              ;   in Loop: Header=BB393_394 Depth=1
	v_bfe_u32 v42, v43, 16, 1
	s_delay_alu instid0(VALU_DEP_1)
	v_add3_u32 v42, v43, v42, 0x7fff
                                        ; implicit-def: $vgpr43
; %bb.660:                              ;   in Loop: Header=BB393_394 Depth=1
	s_and_not1_saveexec_b32 s6, s1
; %bb.661:                              ;   in Loop: Header=BB393_394 Depth=1
	v_and_b32_e32 v42, 0xffff, v43
	v_or_b32_e32 v44, 0x10000, v43
	s_delay_alu instid0(VALU_DEP_2) | instskip(NEXT) | instid1(VALU_DEP_1)
	v_cmp_eq_u32_e64 s1, 0, v42
	v_cndmask_b32_e64 v42, v44, v43, s1
; %bb.662:                              ;   in Loop: Header=BB393_394 Depth=1
	s_or_b32 exec_lo, exec_lo, s6
	v_lshlrev_b32_e32 v43, 16, v45
	s_delay_alu instid0(VALU_DEP_1) | instskip(NEXT) | instid1(VALU_DEP_1)
	v_mul_f32_e32 v44, v29, v43
	v_and_b32_e32 v43, 0x7f800000, v44
	s_delay_alu instid0(VALU_DEP_1) | instskip(NEXT) | instid1(VALU_DEP_1)
	v_cmp_ne_u32_e64 s1, 0x7f800000, v43
                                        ; implicit-def: $vgpr43
	s_and_saveexec_b32 s6, s1
	s_delay_alu instid0(SALU_CYCLE_1)
	s_xor_b32 s1, exec_lo, s6
; %bb.663:                              ;   in Loop: Header=BB393_394 Depth=1
	v_bfe_u32 v43, v44, 16, 1
	s_delay_alu instid0(VALU_DEP_1)
	v_add3_u32 v43, v44, v43, 0x7fff
                                        ; implicit-def: $vgpr44
; %bb.664:                              ;   in Loop: Header=BB393_394 Depth=1
	s_and_not1_saveexec_b32 s6, s1
; %bb.665:                              ;   in Loop: Header=BB393_394 Depth=1
	v_and_b32_e32 v43, 0xffff, v44
	v_or_b32_e32 v45, 0x10000, v44
	s_delay_alu instid0(VALU_DEP_2) | instskip(NEXT) | instid1(VALU_DEP_1)
	v_cmp_eq_u32_e64 s1, 0, v43
	v_cndmask_b32_e64 v43, v45, v44, s1
; %bb.666:                              ;   in Loop: Header=BB393_394 Depth=1
	s_or_b32 exec_lo, exec_lo, s6
	v_lshlrev_b32_e32 v14, 16, v14
	s_delay_alu instid0(VALU_DEP_1) | instskip(NEXT) | instid1(VALU_DEP_1)
	v_mul_f32_e32 v14, v30, v14
	v_and_b32_e32 v44, 0x7f800000, v14
	s_delay_alu instid0(VALU_DEP_1) | instskip(NEXT) | instid1(VALU_DEP_1)
	v_cmp_ne_u32_e64 s1, 0x7f800000, v44
                                        ; implicit-def: $vgpr44
	s_and_saveexec_b32 s6, s1
	s_delay_alu instid0(SALU_CYCLE_1)
	s_xor_b32 s1, exec_lo, s6
; %bb.667:                              ;   in Loop: Header=BB393_394 Depth=1
	v_bfe_u32 v44, v14, 16, 1
	s_delay_alu instid0(VALU_DEP_1)
	v_add3_u32 v44, v14, v44, 0x7fff
                                        ; implicit-def: $vgpr14
; %bb.668:                              ;   in Loop: Header=BB393_394 Depth=1
	s_and_not1_saveexec_b32 s6, s1
; %bb.669:                              ;   in Loop: Header=BB393_394 Depth=1
	v_and_b32_e32 v44, 0xffff, v14
	v_or_b32_e32 v45, 0x10000, v14
	s_delay_alu instid0(VALU_DEP_2) | instskip(NEXT) | instid1(VALU_DEP_1)
	v_cmp_eq_u32_e64 s1, 0, v44
	v_cndmask_b32_e64 v44, v45, v14, s1
; %bb.670:                              ;   in Loop: Header=BB393_394 Depth=1
	s_or_b32 exec_lo, exec_lo, s6
	v_lshlrev_b32_e32 v10, 16, v10
                                        ; implicit-def: $vgpr45
	s_delay_alu instid0(VALU_DEP_1) | instskip(NEXT) | instid1(VALU_DEP_1)
	v_mul_f32_e32 v10, v31, v10
	v_and_b32_e32 v14, 0x7f800000, v10
	s_delay_alu instid0(VALU_DEP_1) | instskip(NEXT) | instid1(VALU_DEP_1)
	v_cmp_ne_u32_e64 s1, 0x7f800000, v14
	s_and_saveexec_b32 s6, s1
	s_delay_alu instid0(SALU_CYCLE_1)
	s_xor_b32 s1, exec_lo, s6
; %bb.671:                              ;   in Loop: Header=BB393_394 Depth=1
	v_bfe_u32 v14, v10, 16, 1
	s_delay_alu instid0(VALU_DEP_1)
	v_add3_u32 v45, v10, v14, 0x7fff
                                        ; implicit-def: $vgpr10
; %bb.672:                              ;   in Loop: Header=BB393_394 Depth=1
	s_and_not1_saveexec_b32 s6, s1
; %bb.673:                              ;   in Loop: Header=BB393_394 Depth=1
	v_and_b32_e32 v14, 0xffff, v10
	v_or_b32_e32 v45, 0x10000, v10
	s_delay_alu instid0(VALU_DEP_2) | instskip(NEXT) | instid1(VALU_DEP_1)
	v_cmp_eq_u32_e64 s1, 0, v14
	v_cndmask_b32_e64 v45, v45, v10, s1
; %bb.674:                              ;   in Loop: Header=BB393_394 Depth=1
	s_or_b32 exec_lo, exec_lo, s6
	v_lshlrev_b32_e32 v9, 16, v9
                                        ; implicit-def: $vgpr46
	s_delay_alu instid0(VALU_DEP_1) | instskip(NEXT) | instid1(VALU_DEP_1)
	v_mul_f32_e32 v9, v32, v9
	v_and_b32_e32 v10, 0x7f800000, v9
	s_delay_alu instid0(VALU_DEP_1) | instskip(NEXT) | instid1(VALU_DEP_1)
	v_cmp_ne_u32_e64 s1, 0x7f800000, v10
	s_and_saveexec_b32 s6, s1
	s_delay_alu instid0(SALU_CYCLE_1)
	s_xor_b32 s1, exec_lo, s6
; %bb.675:                              ;   in Loop: Header=BB393_394 Depth=1
	v_bfe_u32 v10, v9, 16, 1
	s_delay_alu instid0(VALU_DEP_1)
	v_add3_u32 v46, v9, v10, 0x7fff
                                        ; implicit-def: $vgpr9
; %bb.676:                              ;   in Loop: Header=BB393_394 Depth=1
	s_and_not1_saveexec_b32 s6, s1
; %bb.677:                              ;   in Loop: Header=BB393_394 Depth=1
	v_and_b32_e32 v10, 0xffff, v9
	v_or_b32_e32 v14, 0x10000, v9
	s_delay_alu instid0(VALU_DEP_2) | instskip(NEXT) | instid1(VALU_DEP_1)
	v_cmp_eq_u32_e64 s1, 0, v10
	v_cndmask_b32_e64 v46, v14, v9, s1
; %bb.678:                              ;   in Loop: Header=BB393_394 Depth=1
	s_or_b32 exec_lo, exec_lo, s6
	global_load_b64 v[7:8], v[7:8], off offset:512
	s_mov_b32 s6, exec_lo
	s_waitcnt vmcnt(0)
	v_dual_mov_b32 v9, 0 :: v_dual_and_b32 v10, 0xff, v7
	s_delay_alu instid0(VALU_DEP_1)
	v_cmpx_ne_u16_e32 0, v10
	s_cbranch_execz .LBB393_684
; %bb.679:                              ;   in Loop: Header=BB393_394 Depth=1
	v_bfrev_b32_e32 v9, 1
	s_mov_b32 s7, exec_lo
	v_cmpx_ne_u16_e32 0x80, v10
	s_cbranch_execz .LBB393_683
; %bb.680:                              ;   in Loop: Header=BB393_394 Depth=1
	v_and_b32_e32 v10, 0x7f, v7
	v_mov_b32_e32 v9, 0x7f800001
	s_mov_b32 s9, exec_lo
	s_delay_alu instid0(VALU_DEP_2)
	v_cmpx_ne_u32_e32 0x7f, v10
	s_cbranch_execz .LBB393_682
; %bb.681:                              ;   in Loop: Header=BB393_394 Depth=1
	v_and_b32_e32 v9, 7, v7
	v_lshrrev_b32_e32 v14, 3, v10
	v_cmp_gt_u32_e64 s1, 8, v10
	s_delay_alu instid0(VALU_DEP_3) | instskip(NEXT) | instid1(VALU_DEP_1)
	v_clz_i32_u32_e32 v9, v9
	v_min_u32_e32 v9, 32, v9
	s_delay_alu instid0(VALU_DEP_1) | instskip(SKIP_1) | instid1(VALU_DEP_1)
	v_subrev_nc_u32_e32 v47, 28, v9
	v_sub_nc_u32_e32 v9, 29, v9
	v_cndmask_b32_e64 v14, v14, v9, s1
	s_delay_alu instid0(VALU_DEP_3) | instskip(NEXT) | instid1(VALU_DEP_2)
	v_cndmask_b32_e64 v9, 0, v47, s1
	v_lshl_add_u32 v14, v14, 23, 0x3c000000
	s_delay_alu instid0(VALU_DEP_2) | instskip(SKIP_1) | instid1(VALU_DEP_2)
	v_lshlrev_b64 v[9:10], v9, v[7:8]
	v_lshlrev_b32_e32 v10, 24, v7
	v_lshlrev_b32_e32 v9, 20, v9
	s_delay_alu instid0(VALU_DEP_2) | instskip(NEXT) | instid1(VALU_DEP_2)
	v_and_b32_e32 v10, 0x80000000, v10
	v_and_b32_e32 v9, 0x700000, v9
	s_delay_alu instid0(VALU_DEP_1)
	v_or3_b32 v9, v9, v10, v14
.LBB393_682:                            ;   in Loop: Header=BB393_394 Depth=1
	s_or_b32 exec_lo, exec_lo, s9
.LBB393_683:                            ;   in Loop: Header=BB393_394 Depth=1
	s_delay_alu instid0(SALU_CYCLE_1)
	s_or_b32 exec_lo, exec_lo, s7
.LBB393_684:                            ;   in Loop: Header=BB393_394 Depth=1
	s_delay_alu instid0(SALU_CYCLE_1) | instskip(NEXT) | instid1(VALU_DEP_1)
	s_or_b32 exec_lo, exec_lo, s6
	v_mul_f32_e32 v9, s15, v9
                                        ; implicit-def: $vgpr47
	s_delay_alu instid0(VALU_DEP_1) | instskip(NEXT) | instid1(VALU_DEP_1)
	v_and_b32_e32 v10, 0x7f800000, v9
	v_cmp_ne_u32_e64 s1, 0x7f800000, v10
	s_delay_alu instid0(VALU_DEP_1) | instskip(NEXT) | instid1(SALU_CYCLE_1)
	s_and_saveexec_b32 s6, s1
	s_xor_b32 s1, exec_lo, s6
; %bb.685:                              ;   in Loop: Header=BB393_394 Depth=1
	v_bfe_u32 v10, v9, 16, 1
	s_delay_alu instid0(VALU_DEP_1)
	v_add3_u32 v47, v9, v10, 0x7fff
                                        ; implicit-def: $vgpr9
; %bb.686:                              ;   in Loop: Header=BB393_394 Depth=1
	s_and_not1_saveexec_b32 s6, s1
; %bb.687:                              ;   in Loop: Header=BB393_394 Depth=1
	v_and_b32_e32 v10, 0xffff, v9
	v_or_b32_e32 v14, 0x10000, v9
	s_delay_alu instid0(VALU_DEP_2) | instskip(NEXT) | instid1(VALU_DEP_1)
	v_cmp_eq_u32_e64 s1, 0, v10
	v_cndmask_b32_e64 v47, v14, v9, s1
; %bb.688:                              ;   in Loop: Header=BB393_394 Depth=1
	s_or_b32 exec_lo, exec_lo, s6
	v_lshrrev_b16 v10, 8, v7
	v_mov_b32_e32 v9, 0
	s_mov_b32 s6, exec_lo
	s_delay_alu instid0(VALU_DEP_2)
	v_cmpx_ne_u16_e32 0, v10
	s_cbranch_execz .LBB393_696
; %bb.689:                              ;   in Loop: Header=BB393_394 Depth=1
	v_bfrev_b32_e32 v9, 1
	s_mov_b32 s7, exec_lo
	v_cmpx_ne_u16_e32 0x80, v10
	s_cbranch_execz .LBB393_695
; %bb.690:                              ;   in Loop: Header=BB393_394 Depth=1
	v_and_b32_e32 v14, 0xffff, v10
	v_mov_b32_e32 v9, 0x7f800001
	s_mov_b32 s9, exec_lo
	s_delay_alu instid0(VALU_DEP_2) | instskip(NEXT) | instid1(VALU_DEP_1)
	v_and_b32_e32 v10, 0x7f, v14
	v_cmpx_ne_u32_e32 0x7f, v10
	s_cbranch_execz .LBB393_694
; %bb.691:                              ;   in Loop: Header=BB393_394 Depth=1
	v_and_b32_e32 v14, 7, v14
	v_lshrrev_b32_e32 v9, 3, v10
	s_mov_b32 s16, exec_lo
	v_cmpx_gt_u32_e32 8, v10
; %bb.692:                              ;   in Loop: Header=BB393_394 Depth=1
	s_delay_alu instid0(VALU_DEP_3) | instskip(NEXT) | instid1(VALU_DEP_1)
	v_clz_i32_u32_e32 v9, v14
	v_min_u32_e32 v9, 32, v9
	s_delay_alu instid0(VALU_DEP_1) | instskip(SKIP_1) | instid1(VALU_DEP_2)
	v_subrev_nc_u32_e32 v10, 28, v9
	v_sub_nc_u32_e32 v9, 29, v9
	v_lshlrev_b64 v[48:49], v10, v[14:15]
	s_delay_alu instid0(VALU_DEP_1)
	v_and_b32_e32 v14, 7, v48
; %bb.693:                              ;   in Loop: Header=BB393_394 Depth=1
	s_or_b32 exec_lo, exec_lo, s16
	v_lshlrev_b32_e32 v10, 16, v7
	s_delay_alu instid0(VALU_DEP_2) | instskip(SKIP_1) | instid1(VALU_DEP_3)
	v_lshlrev_b32_e32 v14, 20, v14
	v_lshl_add_u32 v9, v9, 23, 0x3c000000
	v_and_b32_e32 v10, 0x80000000, v10
	s_delay_alu instid0(VALU_DEP_1)
	v_or3_b32 v9, v14, v10, v9
.LBB393_694:                            ;   in Loop: Header=BB393_394 Depth=1
	s_or_b32 exec_lo, exec_lo, s9
.LBB393_695:                            ;   in Loop: Header=BB393_394 Depth=1
	s_delay_alu instid0(SALU_CYCLE_1)
	s_or_b32 exec_lo, exec_lo, s7
.LBB393_696:                            ;   in Loop: Header=BB393_394 Depth=1
	s_delay_alu instid0(SALU_CYCLE_1) | instskip(NEXT) | instid1(VALU_DEP_1)
	s_or_b32 exec_lo, exec_lo, s6
	v_mul_f32_e32 v9, s15, v9
                                        ; implicit-def: $vgpr48
	s_delay_alu instid0(VALU_DEP_1) | instskip(NEXT) | instid1(VALU_DEP_1)
	v_and_b32_e32 v10, 0x7f800000, v9
	v_cmp_ne_u32_e64 s1, 0x7f800000, v10
	s_delay_alu instid0(VALU_DEP_1) | instskip(NEXT) | instid1(SALU_CYCLE_1)
	s_and_saveexec_b32 s6, s1
	s_xor_b32 s1, exec_lo, s6
; %bb.697:                              ;   in Loop: Header=BB393_394 Depth=1
	v_bfe_u32 v10, v9, 16, 1
	s_delay_alu instid0(VALU_DEP_1)
	v_add3_u32 v48, v9, v10, 0x7fff
                                        ; implicit-def: $vgpr9
; %bb.698:                              ;   in Loop: Header=BB393_394 Depth=1
	s_and_not1_saveexec_b32 s6, s1
; %bb.699:                              ;   in Loop: Header=BB393_394 Depth=1
	v_and_b32_e32 v10, 0xffff, v9
	v_or_b32_e32 v14, 0x10000, v9
	s_delay_alu instid0(VALU_DEP_2) | instskip(NEXT) | instid1(VALU_DEP_1)
	v_cmp_eq_u32_e64 s1, 0, v10
	v_cndmask_b32_e64 v48, v14, v9, s1
; %bb.700:                              ;   in Loop: Header=BB393_394 Depth=1
	s_or_b32 exec_lo, exec_lo, s6
	v_lshrrev_b32_e32 v9, 16, v7
	v_mov_b32_e32 v10, 0
	s_mov_b32 s6, exec_lo
	s_delay_alu instid0(VALU_DEP_2) | instskip(NEXT) | instid1(VALU_DEP_1)
	v_and_b32_e32 v14, 0xff, v9
	v_cmpx_ne_u16_e32 0, v14
	s_cbranch_execz .LBB393_708
; %bb.701:                              ;   in Loop: Header=BB393_394 Depth=1
	v_bfrev_b32_e32 v10, 1
	s_mov_b32 s7, exec_lo
	v_cmpx_ne_u16_e32 0x80, v14
	s_cbranch_execz .LBB393_707
; %bb.702:                              ;   in Loop: Header=BB393_394 Depth=1
	v_bfe_u32 v49, v7, 16, 7
	v_mov_b32_e32 v10, 0x7f800001
	s_mov_b32 s9, exec_lo
	s_delay_alu instid0(VALU_DEP_2)
	v_cmpx_ne_u32_e32 0x7f, v49
	s_cbranch_execz .LBB393_706
; %bb.703:                              ;   in Loop: Header=BB393_394 Depth=1
	v_and_b32_e32 v14, 7, v9
	v_lshrrev_b32_e32 v10, 3, v49
	s_mov_b32 s16, exec_lo
	v_cmpx_gt_u32_e32 8, v49
; %bb.704:                              ;   in Loop: Header=BB393_394 Depth=1
	s_delay_alu instid0(VALU_DEP_3) | instskip(NEXT) | instid1(VALU_DEP_1)
	v_clz_i32_u32_e32 v10, v14
	v_min_u32_e32 v10, 32, v10
	s_delay_alu instid0(VALU_DEP_1) | instskip(SKIP_1) | instid1(VALU_DEP_2)
	v_subrev_nc_u32_e32 v49, 28, v10
	v_sub_nc_u32_e32 v10, 29, v10
	v_lshlrev_b64 v[49:50], v49, v[14:15]
	s_delay_alu instid0(VALU_DEP_1)
	v_and_b32_e32 v14, 7, v49
; %bb.705:                              ;   in Loop: Header=BB393_394 Depth=1
	s_or_b32 exec_lo, exec_lo, s16
	v_lshlrev_b32_e32 v9, 24, v9
	s_delay_alu instid0(VALU_DEP_2) | instskip(SKIP_1) | instid1(VALU_DEP_3)
	v_lshlrev_b32_e32 v14, 20, v14
	v_lshl_add_u32 v10, v10, 23, 0x3c000000
	v_and_b32_e32 v9, 0x80000000, v9
	s_delay_alu instid0(VALU_DEP_1)
	v_or3_b32 v10, v14, v9, v10
.LBB393_706:                            ;   in Loop: Header=BB393_394 Depth=1
	s_or_b32 exec_lo, exec_lo, s9
.LBB393_707:                            ;   in Loop: Header=BB393_394 Depth=1
	s_delay_alu instid0(SALU_CYCLE_1)
	s_or_b32 exec_lo, exec_lo, s7
.LBB393_708:                            ;   in Loop: Header=BB393_394 Depth=1
	s_delay_alu instid0(SALU_CYCLE_1) | instskip(NEXT) | instid1(VALU_DEP_1)
	s_or_b32 exec_lo, exec_lo, s6
	v_mul_f32_e32 v9, s15, v10
                                        ; implicit-def: $vgpr49
	s_delay_alu instid0(VALU_DEP_1) | instskip(NEXT) | instid1(VALU_DEP_1)
	v_and_b32_e32 v10, 0x7f800000, v9
	v_cmp_ne_u32_e64 s1, 0x7f800000, v10
	s_delay_alu instid0(VALU_DEP_1) | instskip(NEXT) | instid1(SALU_CYCLE_1)
	s_and_saveexec_b32 s6, s1
	s_xor_b32 s1, exec_lo, s6
; %bb.709:                              ;   in Loop: Header=BB393_394 Depth=1
	v_bfe_u32 v10, v9, 16, 1
	s_delay_alu instid0(VALU_DEP_1)
	v_add3_u32 v49, v9, v10, 0x7fff
                                        ; implicit-def: $vgpr9
; %bb.710:                              ;   in Loop: Header=BB393_394 Depth=1
	s_and_not1_saveexec_b32 s6, s1
; %bb.711:                              ;   in Loop: Header=BB393_394 Depth=1
	v_and_b32_e32 v10, 0xffff, v9
	v_or_b32_e32 v14, 0x10000, v9
	s_delay_alu instid0(VALU_DEP_2) | instskip(NEXT) | instid1(VALU_DEP_1)
	v_cmp_eq_u32_e64 s1, 0, v10
	v_cndmask_b32_e64 v49, v14, v9, s1
; %bb.712:                              ;   in Loop: Header=BB393_394 Depth=1
	s_or_b32 exec_lo, exec_lo, s6
	v_mov_b32_e32 v10, 0
	s_mov_b32 s6, exec_lo
	v_cmpx_lt_u32_e32 0xffffff, v7
	s_cbranch_execz .LBB393_720
; %bb.713:                              ;   in Loop: Header=BB393_394 Depth=1
	v_lshrrev_b32_e32 v9, 24, v7
	v_bfrev_b32_e32 v10, 1
	s_mov_b32 s7, exec_lo
	s_delay_alu instid0(VALU_DEP_2)
	v_cmpx_ne_u32_e32 0x80, v9
	s_cbranch_execz .LBB393_719
; %bb.714:                              ;   in Loop: Header=BB393_394 Depth=1
	v_bfe_u32 v50, v7, 24, 7
	v_mov_b32_e32 v10, 0x7f800001
	s_mov_b32 s9, exec_lo
	s_delay_alu instid0(VALU_DEP_2)
	v_cmpx_ne_u32_e32 0x7f, v50
	s_cbranch_execz .LBB393_718
; %bb.715:                              ;   in Loop: Header=BB393_394 Depth=1
	v_and_b32_e32 v14, 7, v9
	v_lshrrev_b32_e32 v10, 3, v50
	s_mov_b32 s16, exec_lo
	v_cmpx_gt_u32_e32 8, v50
; %bb.716:                              ;   in Loop: Header=BB393_394 Depth=1
	s_delay_alu instid0(VALU_DEP_3) | instskip(NEXT) | instid1(VALU_DEP_1)
	v_clz_i32_u32_e32 v10, v14
	v_min_u32_e32 v10, 32, v10
	s_delay_alu instid0(VALU_DEP_1) | instskip(SKIP_1) | instid1(VALU_DEP_2)
	v_subrev_nc_u32_e32 v50, 28, v10
	v_sub_nc_u32_e32 v10, 29, v10
	v_lshlrev_b64 v[50:51], v50, v[14:15]
	s_delay_alu instid0(VALU_DEP_1)
	v_and_b32_e32 v14, 7, v50
; %bb.717:                              ;   in Loop: Header=BB393_394 Depth=1
	s_or_b32 exec_lo, exec_lo, s16
	v_lshlrev_b32_e32 v9, 24, v9
	s_delay_alu instid0(VALU_DEP_2) | instskip(SKIP_1) | instid1(VALU_DEP_3)
	v_lshlrev_b32_e32 v14, 20, v14
	v_lshl_add_u32 v10, v10, 23, 0x3c000000
	v_and_b32_e32 v9, 0x80000000, v9
	s_delay_alu instid0(VALU_DEP_1)
	v_or3_b32 v10, v14, v9, v10
.LBB393_718:                            ;   in Loop: Header=BB393_394 Depth=1
	s_or_b32 exec_lo, exec_lo, s9
.LBB393_719:                            ;   in Loop: Header=BB393_394 Depth=1
	s_delay_alu instid0(SALU_CYCLE_1)
	s_or_b32 exec_lo, exec_lo, s7
.LBB393_720:                            ;   in Loop: Header=BB393_394 Depth=1
	s_delay_alu instid0(SALU_CYCLE_1) | instskip(NEXT) | instid1(VALU_DEP_1)
	s_or_b32 exec_lo, exec_lo, s6
	v_mul_f32_e32 v9, s15, v10
                                        ; implicit-def: $vgpr50
	s_delay_alu instid0(VALU_DEP_1) | instskip(NEXT) | instid1(VALU_DEP_1)
	v_and_b32_e32 v10, 0x7f800000, v9
	v_cmp_ne_u32_e64 s1, 0x7f800000, v10
	s_delay_alu instid0(VALU_DEP_1) | instskip(NEXT) | instid1(SALU_CYCLE_1)
	s_and_saveexec_b32 s6, s1
	s_xor_b32 s1, exec_lo, s6
; %bb.721:                              ;   in Loop: Header=BB393_394 Depth=1
	v_bfe_u32 v10, v9, 16, 1
	s_delay_alu instid0(VALU_DEP_1)
	v_add3_u32 v50, v9, v10, 0x7fff
                                        ; implicit-def: $vgpr9
; %bb.722:                              ;   in Loop: Header=BB393_394 Depth=1
	s_and_not1_saveexec_b32 s6, s1
; %bb.723:                              ;   in Loop: Header=BB393_394 Depth=1
	v_and_b32_e32 v10, 0xffff, v9
	v_or_b32_e32 v14, 0x10000, v9
	s_delay_alu instid0(VALU_DEP_2) | instskip(NEXT) | instid1(VALU_DEP_1)
	v_cmp_eq_u32_e64 s1, 0, v10
	v_cndmask_b32_e64 v50, v14, v9, s1
; %bb.724:                              ;   in Loop: Header=BB393_394 Depth=1
	s_or_b32 exec_lo, exec_lo, s6
	v_dual_mov_b32 v9, 0 :: v_dual_and_b32 v10, 0xff, v8
	v_mov_b32_e32 v14, v8
	s_mov_b32 s6, exec_lo
	s_delay_alu instid0(VALU_DEP_2)
	v_cmpx_ne_u16_e32 0, v10
	s_cbranch_execz .LBB393_730
; %bb.725:                              ;   in Loop: Header=BB393_394 Depth=1
	v_bfrev_b32_e32 v9, 1
	s_mov_b32 s7, exec_lo
	v_cmpx_ne_u16_e32 0x80, v10
	s_cbranch_execz .LBB393_729
; %bb.726:                              ;   in Loop: Header=BB393_394 Depth=1
	v_and_b32_e32 v10, 0x7f, v8
	v_mov_b32_e32 v9, 0x7f800001
	s_mov_b32 s9, exec_lo
	s_delay_alu instid0(VALU_DEP_2)
	v_cmpx_ne_u32_e32 0x7f, v10
	s_cbranch_execz .LBB393_728
; %bb.727:                              ;   in Loop: Header=BB393_394 Depth=1
	v_and_b32_e32 v9, 7, v8
	v_lshrrev_b32_e32 v51, 3, v10
	v_cmp_gt_u32_e64 s1, 8, v10
	s_delay_alu instid0(VALU_DEP_3) | instskip(NEXT) | instid1(VALU_DEP_1)
	v_clz_i32_u32_e32 v9, v9
	v_min_u32_e32 v9, 32, v9
	s_delay_alu instid0(VALU_DEP_1) | instskip(SKIP_1) | instid1(VALU_DEP_1)
	v_subrev_nc_u32_e32 v52, 28, v9
	v_sub_nc_u32_e32 v9, 29, v9
	v_cndmask_b32_e64 v51, v51, v9, s1
	s_delay_alu instid0(VALU_DEP_3) | instskip(NEXT) | instid1(VALU_DEP_2)
	v_cndmask_b32_e64 v9, 0, v52, s1
	v_lshl_add_u32 v51, v51, 23, 0x3c000000
	s_delay_alu instid0(VALU_DEP_2) | instskip(SKIP_1) | instid1(VALU_DEP_2)
	v_lshlrev_b64 v[9:10], v9, v[14:15]
	v_lshlrev_b32_e32 v10, 24, v14
	v_lshlrev_b32_e32 v9, 20, v9
	s_delay_alu instid0(VALU_DEP_2) | instskip(NEXT) | instid1(VALU_DEP_2)
	v_and_b32_e32 v10, 0x80000000, v10
	v_and_b32_e32 v9, 0x700000, v9
	s_delay_alu instid0(VALU_DEP_1)
	v_or3_b32 v9, v9, v10, v51
.LBB393_728:                            ;   in Loop: Header=BB393_394 Depth=1
	s_or_b32 exec_lo, exec_lo, s9
.LBB393_729:                            ;   in Loop: Header=BB393_394 Depth=1
	s_delay_alu instid0(SALU_CYCLE_1)
	s_or_b32 exec_lo, exec_lo, s7
.LBB393_730:                            ;   in Loop: Header=BB393_394 Depth=1
	s_delay_alu instid0(SALU_CYCLE_1) | instskip(NEXT) | instid1(VALU_DEP_1)
	s_or_b32 exec_lo, exec_lo, s6
	v_mul_f32_e32 v9, s15, v9
                                        ; implicit-def: $vgpr51
	s_delay_alu instid0(VALU_DEP_1) | instskip(NEXT) | instid1(VALU_DEP_1)
	v_and_b32_e32 v10, 0x7f800000, v9
	v_cmp_ne_u32_e64 s1, 0x7f800000, v10
	s_delay_alu instid0(VALU_DEP_1) | instskip(NEXT) | instid1(SALU_CYCLE_1)
	s_and_saveexec_b32 s6, s1
	s_xor_b32 s1, exec_lo, s6
; %bb.731:                              ;   in Loop: Header=BB393_394 Depth=1
	v_bfe_u32 v10, v9, 16, 1
	s_delay_alu instid0(VALU_DEP_1)
	v_add3_u32 v51, v9, v10, 0x7fff
                                        ; implicit-def: $vgpr9
; %bb.732:                              ;   in Loop: Header=BB393_394 Depth=1
	s_and_not1_saveexec_b32 s6, s1
; %bb.733:                              ;   in Loop: Header=BB393_394 Depth=1
	v_and_b32_e32 v10, 0xffff, v9
	v_or_b32_e32 v51, 0x10000, v9
	s_delay_alu instid0(VALU_DEP_2) | instskip(NEXT) | instid1(VALU_DEP_1)
	v_cmp_eq_u32_e64 s1, 0, v10
	v_cndmask_b32_e64 v51, v51, v9, s1
; %bb.734:                              ;   in Loop: Header=BB393_394 Depth=1
	s_or_b32 exec_lo, exec_lo, s6
	v_lshrrev_b16 v10, 8, v14
	v_mov_b32_e32 v9, 0
	s_mov_b32 s6, exec_lo
	s_delay_alu instid0(VALU_DEP_2)
	v_cmpx_ne_u16_e32 0, v10
	s_cbranch_execz .LBB393_742
; %bb.735:                              ;   in Loop: Header=BB393_394 Depth=1
	v_bfrev_b32_e32 v9, 1
	s_mov_b32 s7, exec_lo
	v_cmpx_ne_u16_e32 0x80, v10
	s_cbranch_execz .LBB393_741
; %bb.736:                              ;   in Loop: Header=BB393_394 Depth=1
	v_and_b32_e32 v10, 0xffff, v10
	v_mov_b32_e32 v9, 0x7f800001
	s_mov_b32 s9, exec_lo
	s_delay_alu instid0(VALU_DEP_2) | instskip(NEXT) | instid1(VALU_DEP_1)
	v_and_b32_e32 v53, 0x7f, v10
	v_cmpx_ne_u32_e32 0x7f, v53
	s_cbranch_execz .LBB393_740
; %bb.737:                              ;   in Loop: Header=BB393_394 Depth=1
	v_dual_mov_b32 v10, v15 :: v_dual_and_b32 v9, 7, v10
	v_lshrrev_b32_e32 v52, 3, v53
	s_mov_b32 s16, exec_lo
	v_cmpx_gt_u32_e32 8, v53
; %bb.738:                              ;   in Loop: Header=BB393_394 Depth=1
	s_delay_alu instid0(VALU_DEP_3) | instskip(NEXT) | instid1(VALU_DEP_1)
	v_clz_i32_u32_e32 v52, v9
	v_min_u32_e32 v52, 32, v52
	s_delay_alu instid0(VALU_DEP_1) | instskip(SKIP_1) | instid1(VALU_DEP_2)
	v_subrev_nc_u32_e32 v53, 28, v52
	v_sub_nc_u32_e32 v52, 29, v52
	v_lshlrev_b64 v[9:10], v53, v[9:10]
	s_delay_alu instid0(VALU_DEP_1)
	v_and_b32_e32 v9, 7, v9
; %bb.739:                              ;   in Loop: Header=BB393_394 Depth=1
	s_or_b32 exec_lo, exec_lo, s16
	v_lshlrev_b32_e32 v10, 16, v14
	s_delay_alu instid0(VALU_DEP_2) | instskip(SKIP_1) | instid1(VALU_DEP_3)
	v_lshlrev_b32_e32 v9, 20, v9
	v_lshl_add_u32 v14, v52, 23, 0x3c000000
	v_and_b32_e32 v10, 0x80000000, v10
	s_delay_alu instid0(VALU_DEP_1)
	v_or3_b32 v9, v9, v10, v14
.LBB393_740:                            ;   in Loop: Header=BB393_394 Depth=1
	s_or_b32 exec_lo, exec_lo, s9
.LBB393_741:                            ;   in Loop: Header=BB393_394 Depth=1
	s_delay_alu instid0(SALU_CYCLE_1)
	s_or_b32 exec_lo, exec_lo, s7
.LBB393_742:                            ;   in Loop: Header=BB393_394 Depth=1
	s_delay_alu instid0(SALU_CYCLE_1) | instskip(NEXT) | instid1(VALU_DEP_1)
	s_or_b32 exec_lo, exec_lo, s6
	v_mul_f32_e32 v10, s15, v9
	s_delay_alu instid0(VALU_DEP_1) | instskip(NEXT) | instid1(VALU_DEP_1)
	v_and_b32_e32 v9, 0x7f800000, v10
	v_cmp_ne_u32_e64 s1, 0x7f800000, v9
                                        ; implicit-def: $vgpr9
	s_delay_alu instid0(VALU_DEP_1) | instskip(NEXT) | instid1(SALU_CYCLE_1)
	s_and_saveexec_b32 s6, s1
	s_xor_b32 s1, exec_lo, s6
; %bb.743:                              ;   in Loop: Header=BB393_394 Depth=1
	v_bfe_u32 v9, v10, 16, 1
	s_delay_alu instid0(VALU_DEP_1)
	v_add3_u32 v9, v10, v9, 0x7fff
                                        ; implicit-def: $vgpr10
; %bb.744:                              ;   in Loop: Header=BB393_394 Depth=1
	s_and_not1_saveexec_b32 s6, s1
; %bb.745:                              ;   in Loop: Header=BB393_394 Depth=1
	v_and_b32_e32 v9, 0xffff, v10
	v_or_b32_e32 v14, 0x10000, v10
	s_delay_alu instid0(VALU_DEP_2) | instskip(NEXT) | instid1(VALU_DEP_1)
	v_cmp_eq_u32_e64 s1, 0, v9
	v_cndmask_b32_e64 v9, v14, v10, s1
; %bb.746:                              ;   in Loop: Header=BB393_394 Depth=1
	s_or_b32 exec_lo, exec_lo, s6
	v_lshrrev_b32_e32 v10, 16, v8
	v_mov_b32_e32 v14, 0
	s_mov_b32 s6, exec_lo
	s_delay_alu instid0(VALU_DEP_2) | instskip(NEXT) | instid1(VALU_DEP_1)
	v_and_b32_e32 v52, 0xff, v10
	v_cmpx_ne_u16_e32 0, v52
	s_cbranch_execz .LBB393_754
; %bb.747:                              ;   in Loop: Header=BB393_394 Depth=1
	v_bfrev_b32_e32 v14, 1
	s_mov_b32 s7, exec_lo
	v_cmpx_ne_u16_e32 0x80, v52
	s_cbranch_execz .LBB393_753
; %bb.748:                              ;   in Loop: Header=BB393_394 Depth=1
	v_bfe_u32 v53, v8, 16, 7
	v_mov_b32_e32 v14, 0x7f800001
	s_mov_b32 s9, exec_lo
	s_delay_alu instid0(VALU_DEP_2)
	v_cmpx_ne_u32_e32 0x7f, v53
	s_cbranch_execz .LBB393_752
; %bb.749:                              ;   in Loop: Header=BB393_394 Depth=1
	v_and_b32_e32 v14, 7, v10
	v_lshrrev_b32_e32 v52, 3, v53
	s_mov_b32 s16, exec_lo
	v_cmpx_gt_u32_e32 8, v53
; %bb.750:                              ;   in Loop: Header=BB393_394 Depth=1
	s_delay_alu instid0(VALU_DEP_3) | instskip(NEXT) | instid1(VALU_DEP_1)
	v_clz_i32_u32_e32 v52, v14
	v_min_u32_e32 v52, 32, v52
	s_delay_alu instid0(VALU_DEP_1) | instskip(SKIP_1) | instid1(VALU_DEP_2)
	v_subrev_nc_u32_e32 v53, 28, v52
	v_sub_nc_u32_e32 v52, 29, v52
	v_lshlrev_b64 v[53:54], v53, v[14:15]
	s_delay_alu instid0(VALU_DEP_1)
	v_and_b32_e32 v14, 7, v53
; %bb.751:                              ;   in Loop: Header=BB393_394 Depth=1
	s_or_b32 exec_lo, exec_lo, s16
	v_lshlrev_b32_e32 v10, 24, v10
	s_delay_alu instid0(VALU_DEP_2) | instskip(SKIP_1) | instid1(VALU_DEP_3)
	v_lshlrev_b32_e32 v14, 20, v14
	v_lshl_add_u32 v52, v52, 23, 0x3c000000
	v_and_b32_e32 v10, 0x80000000, v10
	s_delay_alu instid0(VALU_DEP_1)
	v_or3_b32 v14, v14, v10, v52
.LBB393_752:                            ;   in Loop: Header=BB393_394 Depth=1
	s_or_b32 exec_lo, exec_lo, s9
.LBB393_753:                            ;   in Loop: Header=BB393_394 Depth=1
	s_delay_alu instid0(SALU_CYCLE_1)
	s_or_b32 exec_lo, exec_lo, s7
.LBB393_754:                            ;   in Loop: Header=BB393_394 Depth=1
	s_delay_alu instid0(SALU_CYCLE_1) | instskip(NEXT) | instid1(VALU_DEP_1)
	s_or_b32 exec_lo, exec_lo, s6
	v_mul_f32_e32 v14, s15, v14
	s_delay_alu instid0(VALU_DEP_1) | instskip(NEXT) | instid1(VALU_DEP_1)
	v_and_b32_e32 v10, 0x7f800000, v14
	v_cmp_ne_u32_e64 s1, 0x7f800000, v10
                                        ; implicit-def: $vgpr10
	s_delay_alu instid0(VALU_DEP_1) | instskip(NEXT) | instid1(SALU_CYCLE_1)
	s_and_saveexec_b32 s6, s1
	s_xor_b32 s1, exec_lo, s6
; %bb.755:                              ;   in Loop: Header=BB393_394 Depth=1
	v_bfe_u32 v10, v14, 16, 1
	s_delay_alu instid0(VALU_DEP_1)
	v_add3_u32 v10, v14, v10, 0x7fff
                                        ; implicit-def: $vgpr14
; %bb.756:                              ;   in Loop: Header=BB393_394 Depth=1
	s_and_not1_saveexec_b32 s6, s1
; %bb.757:                              ;   in Loop: Header=BB393_394 Depth=1
	v_and_b32_e32 v10, 0xffff, v14
	v_or_b32_e32 v52, 0x10000, v14
	s_delay_alu instid0(VALU_DEP_2) | instskip(NEXT) | instid1(VALU_DEP_1)
	v_cmp_eq_u32_e64 s1, 0, v10
	v_cndmask_b32_e64 v10, v52, v14, s1
; %bb.758:                              ;   in Loop: Header=BB393_394 Depth=1
	s_or_b32 exec_lo, exec_lo, s6
	v_mov_b32_e32 v14, 0
	s_mov_b32 s6, exec_lo
	v_cmpx_lt_u64_e64 s[12:13], v[7:8]
	s_cbranch_execz .LBB393_766
; %bb.759:                              ;   in Loop: Header=BB393_394 Depth=1
	v_lshrrev_b32_e32 v7, 24, v8
	v_bfrev_b32_e32 v14, 1
	s_mov_b32 s7, exec_lo
	s_delay_alu instid0(VALU_DEP_2)
	v_cmpx_ne_u32_e32 0x80, v7
	s_cbranch_execz .LBB393_765
; %bb.760:                              ;   in Loop: Header=BB393_394 Depth=1
	v_bfe_u32 v52, v8, 24, 7
	v_mov_b32_e32 v14, 0x7f800001
	s_mov_b32 s9, exec_lo
	s_delay_alu instid0(VALU_DEP_2)
	v_cmpx_ne_u32_e32 0x7f, v52
	s_cbranch_execz .LBB393_764
; %bb.761:                              ;   in Loop: Header=BB393_394 Depth=1
	v_and_b32_e32 v14, 7, v7
	v_lshrrev_b32_e32 v8, 3, v52
	s_mov_b32 s16, exec_lo
	v_cmpx_gt_u32_e32 8, v52
; %bb.762:                              ;   in Loop: Header=BB393_394 Depth=1
	s_delay_alu instid0(VALU_DEP_3) | instskip(NEXT) | instid1(VALU_DEP_1)
	v_clz_i32_u32_e32 v8, v14
	v_min_u32_e32 v8, 32, v8
	s_delay_alu instid0(VALU_DEP_1) | instskip(SKIP_1) | instid1(VALU_DEP_2)
	v_subrev_nc_u32_e32 v52, 28, v8
	v_sub_nc_u32_e32 v8, 29, v8
	v_lshlrev_b64 v[52:53], v52, v[14:15]
	s_delay_alu instid0(VALU_DEP_1)
	v_and_b32_e32 v14, 7, v52
; %bb.763:                              ;   in Loop: Header=BB393_394 Depth=1
	s_or_b32 exec_lo, exec_lo, s16
	v_lshlrev_b32_e32 v7, 24, v7
	s_delay_alu instid0(VALU_DEP_2) | instskip(SKIP_1) | instid1(VALU_DEP_3)
	v_lshlrev_b32_e32 v14, 20, v14
	v_lshl_add_u32 v8, v8, 23, 0x3c000000
	v_and_b32_e32 v7, 0x80000000, v7
	s_delay_alu instid0(VALU_DEP_1)
	v_or3_b32 v14, v14, v7, v8
.LBB393_764:                            ;   in Loop: Header=BB393_394 Depth=1
	s_or_b32 exec_lo, exec_lo, s9
.LBB393_765:                            ;   in Loop: Header=BB393_394 Depth=1
	s_delay_alu instid0(SALU_CYCLE_1)
	s_or_b32 exec_lo, exec_lo, s7
.LBB393_766:                            ;   in Loop: Header=BB393_394 Depth=1
	s_delay_alu instid0(SALU_CYCLE_1) | instskip(NEXT) | instid1(VALU_DEP_1)
	s_or_b32 exec_lo, exec_lo, s6
	v_mul_f32_e32 v7, s15, v14
	s_delay_alu instid0(VALU_DEP_1) | instskip(NEXT) | instid1(VALU_DEP_1)
	v_and_b32_e32 v8, 0x7f800000, v7
	v_cmp_ne_u32_e64 s1, 0x7f800000, v8
                                        ; implicit-def: $vgpr8
	s_delay_alu instid0(VALU_DEP_1) | instskip(NEXT) | instid1(SALU_CYCLE_1)
	s_and_saveexec_b32 s6, s1
	s_xor_b32 s1, exec_lo, s6
; %bb.767:                              ;   in Loop: Header=BB393_394 Depth=1
	v_bfe_u32 v8, v7, 16, 1
	s_delay_alu instid0(VALU_DEP_1)
	v_add3_u32 v8, v7, v8, 0x7fff
                                        ; implicit-def: $vgpr7
; %bb.768:                              ;   in Loop: Header=BB393_394 Depth=1
	s_and_not1_saveexec_b32 s6, s1
; %bb.769:                              ;   in Loop: Header=BB393_394 Depth=1
	v_and_b32_e32 v8, 0xffff, v7
	v_or_b32_e32 v14, 0x10000, v7
	s_delay_alu instid0(VALU_DEP_2) | instskip(NEXT) | instid1(VALU_DEP_1)
	v_cmp_eq_u32_e64 s1, 0, v8
	v_cndmask_b32_e64 v8, v14, v7, s1
; %bb.770:                              ;   in Loop: Header=BB393_394 Depth=1
	s_or_b32 exec_lo, exec_lo, s6
	v_lshrrev_b32_e32 v14, 16, v9
	v_lshrrev_b32_e32 v51, 16, v51
	;; [unrolled: 1-line block ×8, first 2 shown]
	s_and_saveexec_b32 s6, s0
	s_cbranch_execz .LBB393_772
; %bb.771:                              ;   in Loop: Header=BB393_394 Depth=1
	v_add_nc_u32_e32 v47, -6, v22
	v_cmp_gt_i32_e64 s1, s33, v24
	v_add_nc_u32_e32 v48, -5, v22
	v_add_nc_u32_e32 v52, -2, v22
	s_delay_alu instid0(VALU_DEP_3) | instskip(SKIP_2) | instid1(VALU_DEP_2)
	v_cndmask_b32_e64 v7, 0, v7, s1
	v_cmp_gt_i32_e64 s1, s33, v47
	v_add_nc_u32_e32 v47, -4, v22
	v_cndmask_b32_e64 v9, 0, v9, s1
	v_cmp_gt_i32_e64 s1, s33, v48
	v_add_nc_u32_e32 v48, -3, v22
	s_delay_alu instid0(VALU_DEP_2) | instskip(SKIP_2) | instid1(VALU_DEP_2)
	v_cndmask_b32_e64 v49, 0, v49, s1
	v_cmp_gt_i32_e64 s1, s33, v47
	v_add_nc_u32_e32 v47, -1, v22
	v_cndmask_b32_e64 v50, 0, v50, s1
	v_cmp_gt_i32_e64 s1, s33, v48
	s_delay_alu instid0(VALU_DEP_1) | instskip(SKIP_1) | instid1(VALU_DEP_1)
	v_cndmask_b32_e64 v51, 0, v51, s1
	v_cmp_gt_i32_e64 s1, s33, v52
	v_cndmask_b32_e64 v14, 0, v14, s1
	v_cmp_gt_i32_e64 s1, s33, v47
	s_delay_alu instid0(VALU_DEP_1) | instskip(SKIP_1) | instid1(VALU_DEP_1)
	v_cndmask_b32_e64 v10, 0, v10, s1
	v_cmp_gt_i32_e64 s1, s33, v22
	v_cndmask_b32_e64 v8, 0, v8, s1
.LBB393_772:                            ;   in Loop: Header=BB393_394 Depth=1
	s_or_b32 exec_lo, exec_lo, s6
	v_lshlrev_b32_e32 v7, 16, v7
	s_delay_alu instid0(VALU_DEP_1) | instskip(NEXT) | instid1(VALU_DEP_1)
	v_mul_f32_e32 v47, v25, v7
	v_and_b32_e32 v7, 0x7f800000, v47
	s_delay_alu instid0(VALU_DEP_1) | instskip(NEXT) | instid1(VALU_DEP_1)
	v_cmp_ne_u32_e64 s1, 0x7f800000, v7
                                        ; implicit-def: $vgpr7
	s_and_saveexec_b32 s6, s1
	s_delay_alu instid0(SALU_CYCLE_1)
	s_xor_b32 s1, exec_lo, s6
; %bb.773:                              ;   in Loop: Header=BB393_394 Depth=1
	v_bfe_u32 v7, v47, 16, 1
	s_delay_alu instid0(VALU_DEP_1)
	v_add3_u32 v7, v47, v7, 0x7fff
                                        ; implicit-def: $vgpr47
; %bb.774:                              ;   in Loop: Header=BB393_394 Depth=1
	s_and_not1_saveexec_b32 s6, s1
; %bb.775:                              ;   in Loop: Header=BB393_394 Depth=1
	v_and_b32_e32 v7, 0xffff, v47
	v_or_b32_e32 v48, 0x10000, v47
	s_delay_alu instid0(VALU_DEP_2) | instskip(NEXT) | instid1(VALU_DEP_1)
	v_cmp_eq_u32_e64 s1, 0, v7
	v_cndmask_b32_e64 v7, v48, v47, s1
; %bb.776:                              ;   in Loop: Header=BB393_394 Depth=1
	s_or_b32 exec_lo, exec_lo, s6
	v_lshlrev_b32_e32 v9, 16, v9
	s_delay_alu instid0(VALU_DEP_1) | instskip(NEXT) | instid1(VALU_DEP_1)
	v_mul_f32_e32 v47, v26, v9
	v_and_b32_e32 v9, 0x7f800000, v47
	s_delay_alu instid0(VALU_DEP_1) | instskip(NEXT) | instid1(VALU_DEP_1)
	v_cmp_ne_u32_e64 s1, 0x7f800000, v9
                                        ; implicit-def: $vgpr9
	s_and_saveexec_b32 s6, s1
	s_delay_alu instid0(SALU_CYCLE_1)
	s_xor_b32 s1, exec_lo, s6
; %bb.777:                              ;   in Loop: Header=BB393_394 Depth=1
	v_bfe_u32 v9, v47, 16, 1
	s_delay_alu instid0(VALU_DEP_1)
	v_add3_u32 v9, v47, v9, 0x7fff
                                        ; implicit-def: $vgpr47
; %bb.778:                              ;   in Loop: Header=BB393_394 Depth=1
	s_and_not1_saveexec_b32 s6, s1
; %bb.779:                              ;   in Loop: Header=BB393_394 Depth=1
	v_and_b32_e32 v9, 0xffff, v47
	v_or_b32_e32 v48, 0x10000, v47
	s_delay_alu instid0(VALU_DEP_2) | instskip(NEXT) | instid1(VALU_DEP_1)
	v_cmp_eq_u32_e64 s1, 0, v9
	v_cndmask_b32_e64 v9, v48, v47, s1
; %bb.780:                              ;   in Loop: Header=BB393_394 Depth=1
	s_or_b32 exec_lo, exec_lo, s6
	v_lshlrev_b32_e32 v47, 16, v49
	s_delay_alu instid0(VALU_DEP_1) | instskip(NEXT) | instid1(VALU_DEP_1)
	v_mul_f32_e32 v48, v27, v47
	v_and_b32_e32 v47, 0x7f800000, v48
	s_delay_alu instid0(VALU_DEP_1) | instskip(NEXT) | instid1(VALU_DEP_1)
	v_cmp_ne_u32_e64 s1, 0x7f800000, v47
                                        ; implicit-def: $vgpr47
	s_and_saveexec_b32 s6, s1
	s_delay_alu instid0(SALU_CYCLE_1)
	s_xor_b32 s1, exec_lo, s6
; %bb.781:                              ;   in Loop: Header=BB393_394 Depth=1
	v_bfe_u32 v47, v48, 16, 1
	s_delay_alu instid0(VALU_DEP_1)
	v_add3_u32 v47, v48, v47, 0x7fff
                                        ; implicit-def: $vgpr48
; %bb.782:                              ;   in Loop: Header=BB393_394 Depth=1
	s_and_not1_saveexec_b32 s6, s1
; %bb.783:                              ;   in Loop: Header=BB393_394 Depth=1
	v_and_b32_e32 v47, 0xffff, v48
	v_or_b32_e32 v49, 0x10000, v48
	s_delay_alu instid0(VALU_DEP_2) | instskip(NEXT) | instid1(VALU_DEP_1)
	v_cmp_eq_u32_e64 s1, 0, v47
	v_cndmask_b32_e64 v47, v49, v48, s1
; %bb.784:                              ;   in Loop: Header=BB393_394 Depth=1
	s_or_b32 exec_lo, exec_lo, s6
	v_lshlrev_b32_e32 v48, 16, v50
	s_delay_alu instid0(VALU_DEP_1) | instskip(NEXT) | instid1(VALU_DEP_1)
	v_mul_f32_e32 v49, v28, v48
	v_and_b32_e32 v48, 0x7f800000, v49
	s_delay_alu instid0(VALU_DEP_1) | instskip(NEXT) | instid1(VALU_DEP_1)
	v_cmp_ne_u32_e64 s1, 0x7f800000, v48
                                        ; implicit-def: $vgpr48
	s_and_saveexec_b32 s6, s1
	s_delay_alu instid0(SALU_CYCLE_1)
	s_xor_b32 s1, exec_lo, s6
; %bb.785:                              ;   in Loop: Header=BB393_394 Depth=1
	v_bfe_u32 v48, v49, 16, 1
	s_delay_alu instid0(VALU_DEP_1)
	v_add3_u32 v48, v49, v48, 0x7fff
                                        ; implicit-def: $vgpr49
; %bb.786:                              ;   in Loop: Header=BB393_394 Depth=1
	s_and_not1_saveexec_b32 s6, s1
; %bb.787:                              ;   in Loop: Header=BB393_394 Depth=1
	v_and_b32_e32 v48, 0xffff, v49
	v_or_b32_e32 v50, 0x10000, v49
	s_delay_alu instid0(VALU_DEP_2) | instskip(NEXT) | instid1(VALU_DEP_1)
	v_cmp_eq_u32_e64 s1, 0, v48
	v_cndmask_b32_e64 v48, v50, v49, s1
; %bb.788:                              ;   in Loop: Header=BB393_394 Depth=1
	s_or_b32 exec_lo, exec_lo, s6
	v_lshlrev_b32_e32 v49, 16, v51
	s_delay_alu instid0(VALU_DEP_1) | instskip(NEXT) | instid1(VALU_DEP_1)
	v_mul_f32_e32 v50, v29, v49
	v_and_b32_e32 v49, 0x7f800000, v50
	s_delay_alu instid0(VALU_DEP_1) | instskip(NEXT) | instid1(VALU_DEP_1)
	v_cmp_ne_u32_e64 s1, 0x7f800000, v49
                                        ; implicit-def: $vgpr49
	s_and_saveexec_b32 s6, s1
	s_delay_alu instid0(SALU_CYCLE_1)
	s_xor_b32 s1, exec_lo, s6
; %bb.789:                              ;   in Loop: Header=BB393_394 Depth=1
	v_bfe_u32 v49, v50, 16, 1
	s_delay_alu instid0(VALU_DEP_1)
	v_add3_u32 v49, v50, v49, 0x7fff
                                        ; implicit-def: $vgpr50
; %bb.790:                              ;   in Loop: Header=BB393_394 Depth=1
	s_and_not1_saveexec_b32 s6, s1
; %bb.791:                              ;   in Loop: Header=BB393_394 Depth=1
	v_and_b32_e32 v49, 0xffff, v50
	v_or_b32_e32 v51, 0x10000, v50
	s_delay_alu instid0(VALU_DEP_2) | instskip(NEXT) | instid1(VALU_DEP_1)
	v_cmp_eq_u32_e64 s1, 0, v49
	v_cndmask_b32_e64 v49, v51, v50, s1
; %bb.792:                              ;   in Loop: Header=BB393_394 Depth=1
	s_or_b32 exec_lo, exec_lo, s6
	v_lshlrev_b32_e32 v14, 16, v14
	s_delay_alu instid0(VALU_DEP_1) | instskip(NEXT) | instid1(VALU_DEP_1)
	v_mul_f32_e32 v50, v30, v14
	v_and_b32_e32 v14, 0x7f800000, v50
	s_delay_alu instid0(VALU_DEP_1) | instskip(NEXT) | instid1(VALU_DEP_1)
	v_cmp_ne_u32_e64 s1, 0x7f800000, v14
                                        ; implicit-def: $vgpr14
	s_and_saveexec_b32 s6, s1
	s_delay_alu instid0(SALU_CYCLE_1)
	s_xor_b32 s1, exec_lo, s6
; %bb.793:                              ;   in Loop: Header=BB393_394 Depth=1
	v_bfe_u32 v14, v50, 16, 1
	s_delay_alu instid0(VALU_DEP_1)
	v_add3_u32 v14, v50, v14, 0x7fff
                                        ; implicit-def: $vgpr50
; %bb.794:                              ;   in Loop: Header=BB393_394 Depth=1
	s_and_not1_saveexec_b32 s6, s1
; %bb.795:                              ;   in Loop: Header=BB393_394 Depth=1
	v_and_b32_e32 v14, 0xffff, v50
	v_or_b32_e32 v51, 0x10000, v50
	s_delay_alu instid0(VALU_DEP_2) | instskip(NEXT) | instid1(VALU_DEP_1)
	v_cmp_eq_u32_e64 s1, 0, v14
	v_cndmask_b32_e64 v14, v51, v50, s1
; %bb.796:                              ;   in Loop: Header=BB393_394 Depth=1
	s_or_b32 exec_lo, exec_lo, s6
	v_lshlrev_b32_e32 v10, 16, v10
	s_delay_alu instid0(VALU_DEP_1) | instskip(NEXT) | instid1(VALU_DEP_1)
	v_mul_f32_e32 v50, v31, v10
	v_and_b32_e32 v10, 0x7f800000, v50
	s_delay_alu instid0(VALU_DEP_1) | instskip(NEXT) | instid1(VALU_DEP_1)
	v_cmp_ne_u32_e64 s1, 0x7f800000, v10
                                        ; implicit-def: $vgpr10
	s_and_saveexec_b32 s6, s1
	s_delay_alu instid0(SALU_CYCLE_1)
	s_xor_b32 s1, exec_lo, s6
; %bb.797:                              ;   in Loop: Header=BB393_394 Depth=1
	v_bfe_u32 v10, v50, 16, 1
	s_delay_alu instid0(VALU_DEP_1)
	v_add3_u32 v10, v50, v10, 0x7fff
                                        ; implicit-def: $vgpr50
; %bb.798:                              ;   in Loop: Header=BB393_394 Depth=1
	s_and_not1_saveexec_b32 s6, s1
; %bb.799:                              ;   in Loop: Header=BB393_394 Depth=1
	v_and_b32_e32 v10, 0xffff, v50
	v_or_b32_e32 v51, 0x10000, v50
	s_delay_alu instid0(VALU_DEP_2) | instskip(NEXT) | instid1(VALU_DEP_1)
	v_cmp_eq_u32_e64 s1, 0, v10
	v_cndmask_b32_e64 v10, v51, v50, s1
; %bb.800:                              ;   in Loop: Header=BB393_394 Depth=1
	s_or_b32 exec_lo, exec_lo, s6
	v_lshlrev_b32_e32 v8, 16, v8
	s_delay_alu instid0(VALU_DEP_1) | instskip(NEXT) | instid1(VALU_DEP_1)
	v_mul_f32_e32 v50, v32, v8
	v_and_b32_e32 v8, 0x7f800000, v50
	s_delay_alu instid0(VALU_DEP_1) | instskip(NEXT) | instid1(VALU_DEP_1)
	v_cmp_ne_u32_e64 s1, 0x7f800000, v8
                                        ; implicit-def: $vgpr8
	s_and_saveexec_b32 s6, s1
	s_delay_alu instid0(SALU_CYCLE_1)
	s_xor_b32 s1, exec_lo, s6
; %bb.801:                              ;   in Loop: Header=BB393_394 Depth=1
	v_bfe_u32 v8, v50, 16, 1
	s_delay_alu instid0(VALU_DEP_1)
	v_add3_u32 v8, v50, v8, 0x7fff
                                        ; implicit-def: $vgpr50
; %bb.802:                              ;   in Loop: Header=BB393_394 Depth=1
	s_and_not1_saveexec_b32 s6, s1
; %bb.803:                              ;   in Loop: Header=BB393_394 Depth=1
	v_and_b32_e32 v8, 0xffff, v50
	v_or_b32_e32 v51, 0x10000, v50
	s_delay_alu instid0(VALU_DEP_2) | instskip(NEXT) | instid1(VALU_DEP_1)
	v_cmp_eq_u32_e64 s1, 0, v8
	v_cndmask_b32_e64 v8, v51, v50, s1
; %bb.804:                              ;   in Loop: Header=BB393_394 Depth=1
	s_or_b32 exec_lo, exec_lo, s6
	v_and_b32_e32 v12, 0xffff0000, v12
	v_and_b32_e32 v10, 0xffff0000, v10
	s_delay_alu instid0(VALU_DEP_3) | instskip(SKIP_3) | instid1(VALU_DEP_4)
	v_and_b32_e32 v8, 0xffff0000, v8
	v_and_b32_e32 v11, 0xffff0000, v11
	;; [unrolled: 1-line block ×4, first 2 shown]
	v_dual_add_f32 v8, v10, v8 :: v_dual_and_b32 v9, 0xffff0000, v9
	s_delay_alu instid0(VALU_DEP_4)
	v_dual_add_f32 v11, v11, v12 :: v_dual_and_b32 v38, 0xffff0000, v38
	v_and_b32_e32 v35, 0xffff0000, v35
	v_and_b32_e32 v33, 0xffff0000, v33
	;; [unrolled: 1-line block ×5, first 2 shown]
	s_delay_alu instid0(VALU_DEP_3) | instskip(SKIP_1) | instid1(VALU_DEP_4)
	v_dual_add_f32 v33, v33, v34 :: v_dual_add_f32 v34, v35, v36
	v_add_f32_e32 v36, v37, v38
	v_dual_add_f32 v7, v7, v9 :: v_dual_and_b32 v38, 0xffff0000, v43
	v_and_b32_e32 v43, 0xffff0000, v47
	s_delay_alu instid0(VALU_DEP_4) | instskip(SKIP_2) | instid1(VALU_DEP_3)
	v_dual_add_f32 v33, v33, v34 :: v_dual_and_b32 v34, 0xffff0000, v40
	v_and_b32_e32 v37, 0xffff0000, v44
	v_and_b32_e32 v35, 0xffff0000, v39
	v_dual_add_f32 v33, v33, v36 :: v_dual_and_b32 v40, 0xffff0000, v45
	v_and_b32_e32 v36, 0xffff0000, v41
	v_and_b32_e32 v41, 0xffff0000, v46
	v_and_b32_e32 v39, 0xffff0000, v42
	v_and_b32_e32 v42, 0xffff0000, v48
	s_delay_alu instid0(VALU_DEP_1) | instskip(SKIP_1) | instid1(VALU_DEP_2)
	v_dual_add_f32 v9, v43, v42 :: v_dual_add_f32 v12, v36, v39
	v_and_b32_e32 v36, 0xffff0000, v49
	v_add_f32_e32 v7, v7, v9
	s_delay_alu instid0(VALU_DEP_3) | instskip(NEXT) | instid1(VALU_DEP_1)
	v_dual_add_f32 v11, v11, v12 :: v_dual_add_f32 v12, v38, v37
	v_add_f32_e32 v11, v11, v12
	s_delay_alu instid0(VALU_DEP_4) | instskip(SKIP_2) | instid1(VALU_DEP_3)
	v_add_f32_e32 v9, v36, v14
	v_add_f32_e32 v14, v35, v34
	;; [unrolled: 1-line block ×4, first 2 shown]
	s_delay_alu instid0(VALU_DEP_2) | instskip(NEXT) | instid1(VALU_DEP_2)
	v_dual_add_f32 v9, v33, v14 :: v_dual_add_f32 v10, v11, v12
	v_add_f32_e32 v7, v7, v8
	s_delay_alu instid0(VALU_DEP_2) | instskip(NEXT) | instid1(VALU_DEP_2)
	v_dual_add_f32 v1, v1, v9 :: v_dual_add_f32 v2, v2, v10
	v_add_f32_e32 v3, v3, v7
	s_and_saveexec_b32 s6, vcc_lo
	s_cbranch_execz .LBB393_393
; %bb.805:                              ;   in Loop: Header=BB393_394 Depth=1
	v_add_co_u32 v5, s1, v5, v21
	s_delay_alu instid0(VALU_DEP_1)
	v_add_co_ci_u32_e64 v6, s1, 0, v6, s1
	s_mov_b32 s7, exec_lo
	v_mov_b32_e32 v7, 0
	global_load_b64 v[5:6], v[5:6], off
	s_waitcnt vmcnt(0)
	v_and_b32_e32 v8, 0xff, v5
	s_delay_alu instid0(VALU_DEP_1)
	v_cmpx_ne_u16_e32 0, v8
	s_cbranch_execz .LBB393_811
; %bb.806:                              ;   in Loop: Header=BB393_394 Depth=1
	v_bfrev_b32_e32 v7, 1
	s_mov_b32 s9, exec_lo
	v_cmpx_ne_u16_e32 0x80, v8
	s_cbranch_execz .LBB393_810
; %bb.807:                              ;   in Loop: Header=BB393_394 Depth=1
	v_and_b32_e32 v8, 0x7f, v5
	v_mov_b32_e32 v7, 0x7f800001
	s_mov_b32 s16, exec_lo
	s_delay_alu instid0(VALU_DEP_2)
	v_cmpx_ne_u32_e32 0x7f, v8
	s_cbranch_execz .LBB393_809
; %bb.808:                              ;   in Loop: Header=BB393_394 Depth=1
	v_and_b32_e32 v7, 7, v5
	v_lshrrev_b32_e32 v9, 3, v8
	v_cmp_gt_u32_e64 s1, 8, v8
	s_delay_alu instid0(VALU_DEP_3) | instskip(NEXT) | instid1(VALU_DEP_1)
	v_clz_i32_u32_e32 v7, v7
	v_min_u32_e32 v7, 32, v7
	s_delay_alu instid0(VALU_DEP_1) | instskip(SKIP_1) | instid1(VALU_DEP_1)
	v_subrev_nc_u32_e32 v10, 28, v7
	v_sub_nc_u32_e32 v7, 29, v7
	v_cndmask_b32_e64 v9, v9, v7, s1
	s_delay_alu instid0(VALU_DEP_3) | instskip(NEXT) | instid1(VALU_DEP_2)
	v_cndmask_b32_e64 v7, 0, v10, s1
	v_lshl_add_u32 v9, v9, 23, 0x3c000000
	s_delay_alu instid0(VALU_DEP_2) | instskip(SKIP_1) | instid1(VALU_DEP_2)
	v_lshlrev_b64 v[7:8], v7, v[5:6]
	v_lshlrev_b32_e32 v8, 24, v5
	v_lshlrev_b32_e32 v7, 20, v7
	s_delay_alu instid0(VALU_DEP_2) | instskip(NEXT) | instid1(VALU_DEP_2)
	v_and_b32_e32 v8, 0x80000000, v8
	v_and_b32_e32 v7, 0x700000, v7
	s_delay_alu instid0(VALU_DEP_1)
	v_or3_b32 v7, v7, v8, v9
.LBB393_809:                            ;   in Loop: Header=BB393_394 Depth=1
	s_or_b32 exec_lo, exec_lo, s16
.LBB393_810:                            ;   in Loop: Header=BB393_394 Depth=1
	s_delay_alu instid0(SALU_CYCLE_1)
	s_or_b32 exec_lo, exec_lo, s9
.LBB393_811:                            ;   in Loop: Header=BB393_394 Depth=1
	s_delay_alu instid0(SALU_CYCLE_1) | instskip(NEXT) | instid1(VALU_DEP_1)
	s_or_b32 exec_lo, exec_lo, s7
	v_mul_f32_e32 v7, s15, v7
                                        ; implicit-def: $vgpr9
	s_delay_alu instid0(VALU_DEP_1) | instskip(NEXT) | instid1(VALU_DEP_1)
	v_and_b32_e32 v8, 0x7f800000, v7
	v_cmp_ne_u32_e64 s1, 0x7f800000, v8
	s_delay_alu instid0(VALU_DEP_1) | instskip(NEXT) | instid1(SALU_CYCLE_1)
	s_and_saveexec_b32 s7, s1
	s_xor_b32 s1, exec_lo, s7
; %bb.812:                              ;   in Loop: Header=BB393_394 Depth=1
	v_bfe_u32 v8, v7, 16, 1
	s_delay_alu instid0(VALU_DEP_1)
	v_add3_u32 v9, v7, v8, 0x7fff
                                        ; implicit-def: $vgpr7
; %bb.813:                              ;   in Loop: Header=BB393_394 Depth=1
	s_and_not1_saveexec_b32 s7, s1
; %bb.814:                              ;   in Loop: Header=BB393_394 Depth=1
	v_and_b32_e32 v8, 0xffff, v7
	v_or_b32_e32 v9, 0x10000, v7
	s_delay_alu instid0(VALU_DEP_2) | instskip(NEXT) | instid1(VALU_DEP_1)
	v_cmp_eq_u32_e64 s1, 0, v8
	v_cndmask_b32_e64 v9, v9, v7, s1
; %bb.815:                              ;   in Loop: Header=BB393_394 Depth=1
	s_or_b32 exec_lo, exec_lo, s7
	v_lshrrev_b16 v8, 8, v5
	v_mov_b32_e32 v7, 0
	s_mov_b32 s7, exec_lo
	s_delay_alu instid0(VALU_DEP_2)
	v_cmpx_ne_u16_e32 0, v8
	s_cbranch_execz .LBB393_823
; %bb.816:                              ;   in Loop: Header=BB393_394 Depth=1
	v_bfrev_b32_e32 v7, 1
	s_mov_b32 s9, exec_lo
	v_cmpx_ne_u16_e32 0x80, v8
	s_cbranch_execz .LBB393_822
; %bb.817:                              ;   in Loop: Header=BB393_394 Depth=1
	v_and_b32_e32 v10, 0xffff, v8
	v_mov_b32_e32 v7, 0x7f800001
	s_mov_b32 s16, exec_lo
	s_delay_alu instid0(VALU_DEP_2) | instskip(NEXT) | instid1(VALU_DEP_1)
	v_and_b32_e32 v8, 0x7f, v10
	v_cmpx_ne_u32_e32 0x7f, v8
	s_cbranch_execz .LBB393_821
; %bb.818:                              ;   in Loop: Header=BB393_394 Depth=1
	v_and_b32_e32 v14, 7, v10
	v_lshrrev_b32_e32 v7, 3, v8
	s_mov_b32 s17, exec_lo
	v_cmpx_gt_u32_e32 8, v8
; %bb.819:                              ;   in Loop: Header=BB393_394 Depth=1
	s_delay_alu instid0(VALU_DEP_3) | instskip(NEXT) | instid1(VALU_DEP_1)
	v_clz_i32_u32_e32 v7, v14
	v_min_u32_e32 v7, 32, v7
	s_delay_alu instid0(VALU_DEP_1) | instskip(SKIP_1) | instid1(VALU_DEP_2)
	v_subrev_nc_u32_e32 v8, 28, v7
	v_sub_nc_u32_e32 v7, 29, v7
	v_lshlrev_b64 v[10:11], v8, v[14:15]
	s_delay_alu instid0(VALU_DEP_1)
	v_and_b32_e32 v14, 7, v10
; %bb.820:                              ;   in Loop: Header=BB393_394 Depth=1
	s_or_b32 exec_lo, exec_lo, s17
	v_lshlrev_b32_e32 v8, 16, v5
	s_delay_alu instid0(VALU_DEP_2) | instskip(SKIP_1) | instid1(VALU_DEP_3)
	v_lshlrev_b32_e32 v10, 20, v14
	v_lshl_add_u32 v7, v7, 23, 0x3c000000
	v_and_b32_e32 v8, 0x80000000, v8
	s_delay_alu instid0(VALU_DEP_1)
	v_or3_b32 v7, v10, v8, v7
.LBB393_821:                            ;   in Loop: Header=BB393_394 Depth=1
	s_or_b32 exec_lo, exec_lo, s16
.LBB393_822:                            ;   in Loop: Header=BB393_394 Depth=1
	s_delay_alu instid0(SALU_CYCLE_1)
	s_or_b32 exec_lo, exec_lo, s9
.LBB393_823:                            ;   in Loop: Header=BB393_394 Depth=1
	s_delay_alu instid0(SALU_CYCLE_1) | instskip(NEXT) | instid1(VALU_DEP_1)
	s_or_b32 exec_lo, exec_lo, s7
	v_mul_f32_e32 v7, s15, v7
                                        ; implicit-def: $vgpr10
	s_delay_alu instid0(VALU_DEP_1) | instskip(NEXT) | instid1(VALU_DEP_1)
	v_and_b32_e32 v8, 0x7f800000, v7
	v_cmp_ne_u32_e64 s1, 0x7f800000, v8
	s_delay_alu instid0(VALU_DEP_1) | instskip(NEXT) | instid1(SALU_CYCLE_1)
	s_and_saveexec_b32 s7, s1
	s_xor_b32 s1, exec_lo, s7
; %bb.824:                              ;   in Loop: Header=BB393_394 Depth=1
	v_bfe_u32 v8, v7, 16, 1
	s_delay_alu instid0(VALU_DEP_1)
	v_add3_u32 v10, v7, v8, 0x7fff
                                        ; implicit-def: $vgpr7
; %bb.825:                              ;   in Loop: Header=BB393_394 Depth=1
	s_and_not1_saveexec_b32 s7, s1
; %bb.826:                              ;   in Loop: Header=BB393_394 Depth=1
	v_and_b32_e32 v8, 0xffff, v7
	v_or_b32_e32 v10, 0x10000, v7
	s_delay_alu instid0(VALU_DEP_2) | instskip(NEXT) | instid1(VALU_DEP_1)
	v_cmp_eq_u32_e64 s1, 0, v8
	v_cndmask_b32_e64 v10, v10, v7, s1
; %bb.827:                              ;   in Loop: Header=BB393_394 Depth=1
	s_or_b32 exec_lo, exec_lo, s7
	v_lshrrev_b32_e32 v7, 16, v5
	s_mov_b32 s7, exec_lo
	s_delay_alu instid0(VALU_DEP_1) | instskip(NEXT) | instid1(VALU_DEP_1)
	v_dual_mov_b32 v8, 0 :: v_dual_and_b32 v11, 0xff, v7
	v_cmpx_ne_u16_e32 0, v11
	s_cbranch_execz .LBB393_835
; %bb.828:                              ;   in Loop: Header=BB393_394 Depth=1
	v_bfrev_b32_e32 v8, 1
	s_mov_b32 s9, exec_lo
	v_cmpx_ne_u16_e32 0x80, v11
	s_cbranch_execz .LBB393_834
; %bb.829:                              ;   in Loop: Header=BB393_394 Depth=1
	v_bfe_u32 v11, v5, 16, 7
	v_mov_b32_e32 v8, 0x7f800001
	s_mov_b32 s16, exec_lo
	s_delay_alu instid0(VALU_DEP_2)
	v_cmpx_ne_u32_e32 0x7f, v11
	s_cbranch_execz .LBB393_833
; %bb.830:                              ;   in Loop: Header=BB393_394 Depth=1
	v_and_b32_e32 v14, 7, v7
	v_lshrrev_b32_e32 v8, 3, v11
	s_mov_b32 s17, exec_lo
	v_cmpx_gt_u32_e32 8, v11
; %bb.831:                              ;   in Loop: Header=BB393_394 Depth=1
	s_delay_alu instid0(VALU_DEP_3) | instskip(NEXT) | instid1(VALU_DEP_1)
	v_clz_i32_u32_e32 v8, v14
	v_min_u32_e32 v8, 32, v8
	s_delay_alu instid0(VALU_DEP_1) | instskip(SKIP_1) | instid1(VALU_DEP_2)
	v_subrev_nc_u32_e32 v11, 28, v8
	v_sub_nc_u32_e32 v8, 29, v8
	v_lshlrev_b64 v[11:12], v11, v[14:15]
	s_delay_alu instid0(VALU_DEP_1)
	v_and_b32_e32 v14, 7, v11
; %bb.832:                              ;   in Loop: Header=BB393_394 Depth=1
	s_or_b32 exec_lo, exec_lo, s17
	v_lshlrev_b32_e32 v7, 24, v7
	s_delay_alu instid0(VALU_DEP_2) | instskip(SKIP_1) | instid1(VALU_DEP_3)
	v_lshlrev_b32_e32 v11, 20, v14
	v_lshl_add_u32 v8, v8, 23, 0x3c000000
	v_and_b32_e32 v7, 0x80000000, v7
	s_delay_alu instid0(VALU_DEP_1)
	v_or3_b32 v8, v11, v7, v8
.LBB393_833:                            ;   in Loop: Header=BB393_394 Depth=1
	s_or_b32 exec_lo, exec_lo, s16
.LBB393_834:                            ;   in Loop: Header=BB393_394 Depth=1
	s_delay_alu instid0(SALU_CYCLE_1)
	s_or_b32 exec_lo, exec_lo, s9
.LBB393_835:                            ;   in Loop: Header=BB393_394 Depth=1
	s_delay_alu instid0(SALU_CYCLE_1) | instskip(NEXT) | instid1(VALU_DEP_1)
	s_or_b32 exec_lo, exec_lo, s7
	v_mul_f32_e32 v7, s15, v8
                                        ; implicit-def: $vgpr11
	s_delay_alu instid0(VALU_DEP_1) | instskip(NEXT) | instid1(VALU_DEP_1)
	v_and_b32_e32 v8, 0x7f800000, v7
	v_cmp_ne_u32_e64 s1, 0x7f800000, v8
	s_delay_alu instid0(VALU_DEP_1) | instskip(NEXT) | instid1(SALU_CYCLE_1)
	s_and_saveexec_b32 s7, s1
	s_xor_b32 s1, exec_lo, s7
; %bb.836:                              ;   in Loop: Header=BB393_394 Depth=1
	v_bfe_u32 v8, v7, 16, 1
	s_delay_alu instid0(VALU_DEP_1)
	v_add3_u32 v11, v7, v8, 0x7fff
                                        ; implicit-def: $vgpr7
; %bb.837:                              ;   in Loop: Header=BB393_394 Depth=1
	s_and_not1_saveexec_b32 s7, s1
; %bb.838:                              ;   in Loop: Header=BB393_394 Depth=1
	v_and_b32_e32 v8, 0xffff, v7
	v_or_b32_e32 v11, 0x10000, v7
	s_delay_alu instid0(VALU_DEP_2) | instskip(NEXT) | instid1(VALU_DEP_1)
	v_cmp_eq_u32_e64 s1, 0, v8
	v_cndmask_b32_e64 v11, v11, v7, s1
; %bb.839:                              ;   in Loop: Header=BB393_394 Depth=1
	s_or_b32 exec_lo, exec_lo, s7
	v_mov_b32_e32 v8, 0
	s_mov_b32 s7, exec_lo
	v_cmpx_lt_u32_e32 0xffffff, v5
	s_cbranch_execz .LBB393_847
; %bb.840:                              ;   in Loop: Header=BB393_394 Depth=1
	v_lshrrev_b32_e32 v7, 24, v5
	v_bfrev_b32_e32 v8, 1
	s_mov_b32 s9, exec_lo
	s_delay_alu instid0(VALU_DEP_2)
	v_cmpx_ne_u32_e32 0x80, v7
	s_cbranch_execz .LBB393_846
; %bb.841:                              ;   in Loop: Header=BB393_394 Depth=1
	v_bfe_u32 v12, v5, 24, 7
	v_mov_b32_e32 v8, 0x7f800001
	s_mov_b32 s16, exec_lo
	s_delay_alu instid0(VALU_DEP_2)
	v_cmpx_ne_u32_e32 0x7f, v12
	s_cbranch_execz .LBB393_845
; %bb.842:                              ;   in Loop: Header=BB393_394 Depth=1
	v_and_b32_e32 v14, 7, v7
	v_lshrrev_b32_e32 v8, 3, v12
	s_mov_b32 s17, exec_lo
	v_cmpx_gt_u32_e32 8, v12
; %bb.843:                              ;   in Loop: Header=BB393_394 Depth=1
	s_delay_alu instid0(VALU_DEP_3) | instskip(NEXT) | instid1(VALU_DEP_1)
	v_clz_i32_u32_e32 v8, v14
	v_min_u32_e32 v8, 32, v8
	s_delay_alu instid0(VALU_DEP_1) | instskip(SKIP_1) | instid1(VALU_DEP_2)
	v_subrev_nc_u32_e32 v12, 28, v8
	v_sub_nc_u32_e32 v8, 29, v8
	v_lshlrev_b64 v[33:34], v12, v[14:15]
	s_delay_alu instid0(VALU_DEP_1)
	v_and_b32_e32 v14, 7, v33
; %bb.844:                              ;   in Loop: Header=BB393_394 Depth=1
	s_or_b32 exec_lo, exec_lo, s17
	v_lshlrev_b32_e32 v7, 24, v7
	s_delay_alu instid0(VALU_DEP_2) | instskip(SKIP_1) | instid1(VALU_DEP_3)
	v_lshlrev_b32_e32 v12, 20, v14
	v_lshl_add_u32 v8, v8, 23, 0x3c000000
	v_and_b32_e32 v7, 0x80000000, v7
	s_delay_alu instid0(VALU_DEP_1)
	v_or3_b32 v8, v12, v7, v8
.LBB393_845:                            ;   in Loop: Header=BB393_394 Depth=1
	s_or_b32 exec_lo, exec_lo, s16
.LBB393_846:                            ;   in Loop: Header=BB393_394 Depth=1
	s_delay_alu instid0(SALU_CYCLE_1)
	s_or_b32 exec_lo, exec_lo, s9
.LBB393_847:                            ;   in Loop: Header=BB393_394 Depth=1
	s_delay_alu instid0(SALU_CYCLE_1) | instskip(NEXT) | instid1(VALU_DEP_1)
	s_or_b32 exec_lo, exec_lo, s7
	v_mul_f32_e32 v7, s15, v8
                                        ; implicit-def: $vgpr12
	s_delay_alu instid0(VALU_DEP_1) | instskip(NEXT) | instid1(VALU_DEP_1)
	v_and_b32_e32 v8, 0x7f800000, v7
	v_cmp_ne_u32_e64 s1, 0x7f800000, v8
	s_delay_alu instid0(VALU_DEP_1) | instskip(NEXT) | instid1(SALU_CYCLE_1)
	s_and_saveexec_b32 s7, s1
	s_xor_b32 s1, exec_lo, s7
; %bb.848:                              ;   in Loop: Header=BB393_394 Depth=1
	v_bfe_u32 v8, v7, 16, 1
	s_delay_alu instid0(VALU_DEP_1)
	v_add3_u32 v12, v7, v8, 0x7fff
                                        ; implicit-def: $vgpr7
; %bb.849:                              ;   in Loop: Header=BB393_394 Depth=1
	s_and_not1_saveexec_b32 s7, s1
; %bb.850:                              ;   in Loop: Header=BB393_394 Depth=1
	v_and_b32_e32 v8, 0xffff, v7
	v_or_b32_e32 v12, 0x10000, v7
	s_delay_alu instid0(VALU_DEP_2) | instskip(NEXT) | instid1(VALU_DEP_1)
	v_cmp_eq_u32_e64 s1, 0, v8
	v_cndmask_b32_e64 v12, v12, v7, s1
; %bb.851:                              ;   in Loop: Header=BB393_394 Depth=1
	s_or_b32 exec_lo, exec_lo, s7
	v_dual_mov_b32 v7, 0 :: v_dual_and_b32 v8, 0xff, v6
	v_mov_b32_e32 v14, v6
	s_mov_b32 s7, exec_lo
	s_delay_alu instid0(VALU_DEP_2)
	v_cmpx_ne_u16_e32 0, v8
	s_cbranch_execz .LBB393_857
; %bb.852:                              ;   in Loop: Header=BB393_394 Depth=1
	v_bfrev_b32_e32 v7, 1
	s_mov_b32 s9, exec_lo
	v_cmpx_ne_u16_e32 0x80, v8
	s_cbranch_execz .LBB393_856
; %bb.853:                              ;   in Loop: Header=BB393_394 Depth=1
	v_and_b32_e32 v8, 0x7f, v6
	v_mov_b32_e32 v7, 0x7f800001
	s_mov_b32 s16, exec_lo
	s_delay_alu instid0(VALU_DEP_2)
	v_cmpx_ne_u32_e32 0x7f, v8
	s_cbranch_execz .LBB393_855
; %bb.854:                              ;   in Loop: Header=BB393_394 Depth=1
	v_and_b32_e32 v7, 7, v6
	v_lshrrev_b32_e32 v33, 3, v8
	v_cmp_gt_u32_e64 s1, 8, v8
	s_delay_alu instid0(VALU_DEP_3) | instskip(NEXT) | instid1(VALU_DEP_1)
	v_clz_i32_u32_e32 v7, v7
	v_min_u32_e32 v7, 32, v7
	s_delay_alu instid0(VALU_DEP_1) | instskip(SKIP_1) | instid1(VALU_DEP_1)
	v_subrev_nc_u32_e32 v34, 28, v7
	v_sub_nc_u32_e32 v7, 29, v7
	v_cndmask_b32_e64 v33, v33, v7, s1
	s_delay_alu instid0(VALU_DEP_3) | instskip(NEXT) | instid1(VALU_DEP_2)
	v_cndmask_b32_e64 v7, 0, v34, s1
	v_lshl_add_u32 v33, v33, 23, 0x3c000000
	s_delay_alu instid0(VALU_DEP_2) | instskip(SKIP_1) | instid1(VALU_DEP_2)
	v_lshlrev_b64 v[7:8], v7, v[14:15]
	v_lshlrev_b32_e32 v8, 24, v14
	v_lshlrev_b32_e32 v7, 20, v7
	s_delay_alu instid0(VALU_DEP_2) | instskip(NEXT) | instid1(VALU_DEP_2)
	v_and_b32_e32 v8, 0x80000000, v8
	v_and_b32_e32 v7, 0x700000, v7
	s_delay_alu instid0(VALU_DEP_1)
	v_or3_b32 v7, v7, v8, v33
.LBB393_855:                            ;   in Loop: Header=BB393_394 Depth=1
	s_or_b32 exec_lo, exec_lo, s16
.LBB393_856:                            ;   in Loop: Header=BB393_394 Depth=1
	s_delay_alu instid0(SALU_CYCLE_1)
	s_or_b32 exec_lo, exec_lo, s9
.LBB393_857:                            ;   in Loop: Header=BB393_394 Depth=1
	s_delay_alu instid0(SALU_CYCLE_1) | instskip(NEXT) | instid1(VALU_DEP_1)
	s_or_b32 exec_lo, exec_lo, s7
	v_mul_f32_e32 v7, s15, v7
                                        ; implicit-def: $vgpr33
	s_delay_alu instid0(VALU_DEP_1) | instskip(NEXT) | instid1(VALU_DEP_1)
	v_and_b32_e32 v8, 0x7f800000, v7
	v_cmp_ne_u32_e64 s1, 0x7f800000, v8
	s_delay_alu instid0(VALU_DEP_1) | instskip(NEXT) | instid1(SALU_CYCLE_1)
	s_and_saveexec_b32 s7, s1
	s_xor_b32 s1, exec_lo, s7
; %bb.858:                              ;   in Loop: Header=BB393_394 Depth=1
	v_bfe_u32 v8, v7, 16, 1
	s_delay_alu instid0(VALU_DEP_1)
	v_add3_u32 v33, v7, v8, 0x7fff
                                        ; implicit-def: $vgpr7
; %bb.859:                              ;   in Loop: Header=BB393_394 Depth=1
	s_and_not1_saveexec_b32 s7, s1
; %bb.860:                              ;   in Loop: Header=BB393_394 Depth=1
	v_and_b32_e32 v8, 0xffff, v7
	v_or_b32_e32 v33, 0x10000, v7
	s_delay_alu instid0(VALU_DEP_2) | instskip(NEXT) | instid1(VALU_DEP_1)
	v_cmp_eq_u32_e64 s1, 0, v8
	v_cndmask_b32_e64 v33, v33, v7, s1
; %bb.861:                              ;   in Loop: Header=BB393_394 Depth=1
	s_or_b32 exec_lo, exec_lo, s7
	v_lshrrev_b16 v8, 8, v14
	v_mov_b32_e32 v7, 0
	s_mov_b32 s7, exec_lo
	s_delay_alu instid0(VALU_DEP_2)
	v_cmpx_ne_u16_e32 0, v8
	s_cbranch_execz .LBB393_869
; %bb.862:                              ;   in Loop: Header=BB393_394 Depth=1
	v_bfrev_b32_e32 v7, 1
	s_mov_b32 s9, exec_lo
	v_cmpx_ne_u16_e32 0x80, v8
	s_cbranch_execz .LBB393_868
; %bb.863:                              ;   in Loop: Header=BB393_394 Depth=1
	v_and_b32_e32 v8, 0xffff, v8
	v_mov_b32_e32 v7, 0x7f800001
	s_mov_b32 s16, exec_lo
	s_delay_alu instid0(VALU_DEP_2) | instskip(NEXT) | instid1(VALU_DEP_1)
	v_and_b32_e32 v35, 0x7f, v8
	v_cmpx_ne_u32_e32 0x7f, v35
	s_cbranch_execz .LBB393_867
; %bb.864:                              ;   in Loop: Header=BB393_394 Depth=1
	v_dual_mov_b32 v8, v15 :: v_dual_and_b32 v7, 7, v8
	v_lshrrev_b32_e32 v34, 3, v35
	s_mov_b32 s17, exec_lo
	v_cmpx_gt_u32_e32 8, v35
; %bb.865:                              ;   in Loop: Header=BB393_394 Depth=1
	s_delay_alu instid0(VALU_DEP_3) | instskip(NEXT) | instid1(VALU_DEP_1)
	v_clz_i32_u32_e32 v34, v7
	v_min_u32_e32 v34, 32, v34
	s_delay_alu instid0(VALU_DEP_1) | instskip(SKIP_1) | instid1(VALU_DEP_2)
	v_subrev_nc_u32_e32 v35, 28, v34
	v_sub_nc_u32_e32 v34, 29, v34
	v_lshlrev_b64 v[7:8], v35, v[7:8]
	s_delay_alu instid0(VALU_DEP_1)
	v_and_b32_e32 v7, 7, v7
; %bb.866:                              ;   in Loop: Header=BB393_394 Depth=1
	s_or_b32 exec_lo, exec_lo, s17
	v_lshlrev_b32_e32 v8, 16, v14
	s_delay_alu instid0(VALU_DEP_2) | instskip(SKIP_1) | instid1(VALU_DEP_3)
	v_lshlrev_b32_e32 v7, 20, v7
	v_lshl_add_u32 v14, v34, 23, 0x3c000000
	v_and_b32_e32 v8, 0x80000000, v8
	s_delay_alu instid0(VALU_DEP_1)
	v_or3_b32 v7, v7, v8, v14
.LBB393_867:                            ;   in Loop: Header=BB393_394 Depth=1
	s_or_b32 exec_lo, exec_lo, s16
.LBB393_868:                            ;   in Loop: Header=BB393_394 Depth=1
	s_delay_alu instid0(SALU_CYCLE_1)
	s_or_b32 exec_lo, exec_lo, s9
.LBB393_869:                            ;   in Loop: Header=BB393_394 Depth=1
	s_delay_alu instid0(SALU_CYCLE_1) | instskip(NEXT) | instid1(VALU_DEP_1)
	s_or_b32 exec_lo, exec_lo, s7
	v_mul_f32_e32 v8, s15, v7
	s_delay_alu instid0(VALU_DEP_1) | instskip(NEXT) | instid1(VALU_DEP_1)
	v_and_b32_e32 v7, 0x7f800000, v8
	v_cmp_ne_u32_e64 s1, 0x7f800000, v7
                                        ; implicit-def: $vgpr7
	s_delay_alu instid0(VALU_DEP_1) | instskip(NEXT) | instid1(SALU_CYCLE_1)
	s_and_saveexec_b32 s7, s1
	s_xor_b32 s1, exec_lo, s7
; %bb.870:                              ;   in Loop: Header=BB393_394 Depth=1
	v_bfe_u32 v7, v8, 16, 1
	s_delay_alu instid0(VALU_DEP_1)
	v_add3_u32 v7, v8, v7, 0x7fff
                                        ; implicit-def: $vgpr8
; %bb.871:                              ;   in Loop: Header=BB393_394 Depth=1
	s_and_not1_saveexec_b32 s7, s1
; %bb.872:                              ;   in Loop: Header=BB393_394 Depth=1
	v_and_b32_e32 v7, 0xffff, v8
	v_or_b32_e32 v14, 0x10000, v8
	s_delay_alu instid0(VALU_DEP_2) | instskip(NEXT) | instid1(VALU_DEP_1)
	v_cmp_eq_u32_e64 s1, 0, v7
	v_cndmask_b32_e64 v7, v14, v8, s1
; %bb.873:                              ;   in Loop: Header=BB393_394 Depth=1
	s_or_b32 exec_lo, exec_lo, s7
	v_lshrrev_b32_e32 v8, 16, v6
	v_mov_b32_e32 v14, 0
	s_mov_b32 s7, exec_lo
	s_delay_alu instid0(VALU_DEP_2) | instskip(NEXT) | instid1(VALU_DEP_1)
	v_and_b32_e32 v34, 0xff, v8
	v_cmpx_ne_u16_e32 0, v34
	s_cbranch_execz .LBB393_881
; %bb.874:                              ;   in Loop: Header=BB393_394 Depth=1
	v_bfrev_b32_e32 v14, 1
	s_mov_b32 s9, exec_lo
	v_cmpx_ne_u16_e32 0x80, v34
	s_cbranch_execz .LBB393_880
; %bb.875:                              ;   in Loop: Header=BB393_394 Depth=1
	v_bfe_u32 v35, v6, 16, 7
	v_mov_b32_e32 v14, 0x7f800001
	s_mov_b32 s16, exec_lo
	s_delay_alu instid0(VALU_DEP_2)
	v_cmpx_ne_u32_e32 0x7f, v35
	s_cbranch_execz .LBB393_879
; %bb.876:                              ;   in Loop: Header=BB393_394 Depth=1
	v_and_b32_e32 v14, 7, v8
	v_lshrrev_b32_e32 v34, 3, v35
	s_mov_b32 s17, exec_lo
	v_cmpx_gt_u32_e32 8, v35
; %bb.877:                              ;   in Loop: Header=BB393_394 Depth=1
	s_delay_alu instid0(VALU_DEP_3) | instskip(NEXT) | instid1(VALU_DEP_1)
	v_clz_i32_u32_e32 v34, v14
	v_min_u32_e32 v34, 32, v34
	s_delay_alu instid0(VALU_DEP_1) | instskip(SKIP_1) | instid1(VALU_DEP_2)
	v_subrev_nc_u32_e32 v35, 28, v34
	v_sub_nc_u32_e32 v34, 29, v34
	v_lshlrev_b64 v[35:36], v35, v[14:15]
	s_delay_alu instid0(VALU_DEP_1)
	v_and_b32_e32 v14, 7, v35
; %bb.878:                              ;   in Loop: Header=BB393_394 Depth=1
	s_or_b32 exec_lo, exec_lo, s17
	v_lshlrev_b32_e32 v8, 24, v8
	s_delay_alu instid0(VALU_DEP_2) | instskip(SKIP_1) | instid1(VALU_DEP_3)
	v_lshlrev_b32_e32 v14, 20, v14
	v_lshl_add_u32 v34, v34, 23, 0x3c000000
	v_and_b32_e32 v8, 0x80000000, v8
	s_delay_alu instid0(VALU_DEP_1)
	v_or3_b32 v14, v14, v8, v34
.LBB393_879:                            ;   in Loop: Header=BB393_394 Depth=1
	s_or_b32 exec_lo, exec_lo, s16
.LBB393_880:                            ;   in Loop: Header=BB393_394 Depth=1
	s_delay_alu instid0(SALU_CYCLE_1)
	s_or_b32 exec_lo, exec_lo, s9
.LBB393_881:                            ;   in Loop: Header=BB393_394 Depth=1
	s_delay_alu instid0(SALU_CYCLE_1) | instskip(NEXT) | instid1(VALU_DEP_1)
	s_or_b32 exec_lo, exec_lo, s7
	v_mul_f32_e32 v8, s15, v14
                                        ; implicit-def: $vgpr34
	s_delay_alu instid0(VALU_DEP_1) | instskip(NEXT) | instid1(VALU_DEP_1)
	v_and_b32_e32 v14, 0x7f800000, v8
	v_cmp_ne_u32_e64 s1, 0x7f800000, v14
	s_delay_alu instid0(VALU_DEP_1) | instskip(NEXT) | instid1(SALU_CYCLE_1)
	s_and_saveexec_b32 s7, s1
	s_xor_b32 s1, exec_lo, s7
; %bb.882:                              ;   in Loop: Header=BB393_394 Depth=1
	v_bfe_u32 v14, v8, 16, 1
	s_delay_alu instid0(VALU_DEP_1)
	v_add3_u32 v34, v8, v14, 0x7fff
                                        ; implicit-def: $vgpr8
; %bb.883:                              ;   in Loop: Header=BB393_394 Depth=1
	s_and_not1_saveexec_b32 s7, s1
; %bb.884:                              ;   in Loop: Header=BB393_394 Depth=1
	v_and_b32_e32 v14, 0xffff, v8
	v_or_b32_e32 v34, 0x10000, v8
	s_delay_alu instid0(VALU_DEP_2) | instskip(NEXT) | instid1(VALU_DEP_1)
	v_cmp_eq_u32_e64 s1, 0, v14
	v_cndmask_b32_e64 v34, v34, v8, s1
; %bb.885:                              ;   in Loop: Header=BB393_394 Depth=1
	s_or_b32 exec_lo, exec_lo, s7
	v_mov_b32_e32 v8, 0
	s_mov_b32 s7, exec_lo
	v_cmpx_lt_u64_e64 s[12:13], v[5:6]
	s_cbranch_execz .LBB393_893
; %bb.886:                              ;   in Loop: Header=BB393_394 Depth=1
	v_lshrrev_b32_e32 v5, 24, v6
	v_bfrev_b32_e32 v8, 1
	s_mov_b32 s9, exec_lo
	s_delay_alu instid0(VALU_DEP_2)
	v_cmpx_ne_u32_e32 0x80, v5
	s_cbranch_execz .LBB393_892
; %bb.887:                              ;   in Loop: Header=BB393_394 Depth=1
	v_bfe_u32 v35, v6, 24, 7
	v_mov_b32_e32 v8, 0x7f800001
	s_mov_b32 s16, exec_lo
	s_delay_alu instid0(VALU_DEP_2)
	v_cmpx_ne_u32_e32 0x7f, v35
	s_cbranch_execz .LBB393_891
; %bb.888:                              ;   in Loop: Header=BB393_394 Depth=1
	v_and_b32_e32 v14, 7, v5
	v_lshrrev_b32_e32 v6, 3, v35
	s_mov_b32 s17, exec_lo
	v_cmpx_gt_u32_e32 8, v35
; %bb.889:                              ;   in Loop: Header=BB393_394 Depth=1
	s_delay_alu instid0(VALU_DEP_3) | instskip(NEXT) | instid1(VALU_DEP_1)
	v_clz_i32_u32_e32 v6, v14
	v_min_u32_e32 v6, 32, v6
	s_delay_alu instid0(VALU_DEP_1) | instskip(SKIP_1) | instid1(VALU_DEP_2)
	v_subrev_nc_u32_e32 v8, 28, v6
	v_sub_nc_u32_e32 v6, 29, v6
	v_lshlrev_b64 v[35:36], v8, v[14:15]
	s_delay_alu instid0(VALU_DEP_1)
	v_and_b32_e32 v14, 7, v35
; %bb.890:                              ;   in Loop: Header=BB393_394 Depth=1
	s_or_b32 exec_lo, exec_lo, s17
	v_lshlrev_b32_e32 v5, 24, v5
	s_delay_alu instid0(VALU_DEP_2) | instskip(SKIP_1) | instid1(VALU_DEP_3)
	v_lshlrev_b32_e32 v8, 20, v14
	v_lshl_add_u32 v6, v6, 23, 0x3c000000
	v_and_b32_e32 v5, 0x80000000, v5
	s_delay_alu instid0(VALU_DEP_1)
	v_or3_b32 v8, v8, v5, v6
.LBB393_891:                            ;   in Loop: Header=BB393_394 Depth=1
	s_or_b32 exec_lo, exec_lo, s16
.LBB393_892:                            ;   in Loop: Header=BB393_394 Depth=1
	s_delay_alu instid0(SALU_CYCLE_1)
	s_or_b32 exec_lo, exec_lo, s9
.LBB393_893:                            ;   in Loop: Header=BB393_394 Depth=1
	s_delay_alu instid0(SALU_CYCLE_1) | instskip(NEXT) | instid1(VALU_DEP_1)
	s_or_b32 exec_lo, exec_lo, s7
	v_mul_f32_e32 v6, s15, v8
	s_delay_alu instid0(VALU_DEP_1) | instskip(NEXT) | instid1(VALU_DEP_1)
	v_and_b32_e32 v5, 0x7f800000, v6
	v_cmp_ne_u32_e64 s1, 0x7f800000, v5
                                        ; implicit-def: $vgpr5
	s_delay_alu instid0(VALU_DEP_1) | instskip(NEXT) | instid1(SALU_CYCLE_1)
	s_and_saveexec_b32 s7, s1
	s_xor_b32 s1, exec_lo, s7
; %bb.894:                              ;   in Loop: Header=BB393_394 Depth=1
	v_bfe_u32 v5, v6, 16, 1
	s_delay_alu instid0(VALU_DEP_1)
	v_add3_u32 v5, v6, v5, 0x7fff
                                        ; implicit-def: $vgpr6
; %bb.895:                              ;   in Loop: Header=BB393_394 Depth=1
	s_and_not1_saveexec_b32 s7, s1
; %bb.896:                              ;   in Loop: Header=BB393_394 Depth=1
	v_and_b32_e32 v5, 0xffff, v6
	v_or_b32_e32 v8, 0x10000, v6
	s_delay_alu instid0(VALU_DEP_2) | instskip(NEXT) | instid1(VALU_DEP_1)
	v_cmp_eq_u32_e64 s1, 0, v5
	v_cndmask_b32_e64 v5, v8, v6, s1
; %bb.897:                              ;   in Loop: Header=BB393_394 Depth=1
	s_or_b32 exec_lo, exec_lo, s7
	v_lshrrev_b32_e32 v8, 16, v7
	v_lshrrev_b32_e32 v14, 16, v33
	;; [unrolled: 1-line block ×8, first 2 shown]
	s_and_saveexec_b32 s1, s0
	s_cbranch_execz .LBB393_899
; %bb.898:                              ;   in Loop: Header=BB393_394 Depth=1
	v_add_nc_u32_e32 v9, -6, v22
	v_cmp_gt_i32_e64 s0, s33, v24
	v_add_nc_u32_e32 v33, -5, v22
	v_add_nc_u32_e32 v24, -3, v22
	s_delay_alu instid0(VALU_DEP_3) | instskip(SKIP_2) | instid1(VALU_DEP_2)
	v_cndmask_b32_e64 v7, 0, v7, s0
	v_cmp_gt_i32_e64 s0, s33, v9
	v_add_nc_u32_e32 v9, -4, v22
	v_cndmask_b32_e64 v10, 0, v10, s0
	v_cmp_gt_i32_e64 s0, s33, v33
	v_add_nc_u32_e32 v33, -2, v22
	s_delay_alu instid0(VALU_DEP_2) | instskip(SKIP_2) | instid1(VALU_DEP_2)
	v_cndmask_b32_e64 v11, 0, v11, s0
	v_cmp_gt_i32_e64 s0, s33, v9
	v_add_nc_u32_e32 v9, -1, v22
	v_cndmask_b32_e64 v12, 0, v12, s0
	v_cmp_gt_i32_e64 s0, s33, v24
	s_delay_alu instid0(VALU_DEP_1) | instskip(SKIP_1) | instid1(VALU_DEP_1)
	v_cndmask_b32_e64 v14, 0, v14, s0
	v_cmp_gt_i32_e64 s0, s33, v33
	v_cndmask_b32_e64 v8, 0, v8, s0
	v_cmp_gt_i32_e64 s0, s33, v9
	s_delay_alu instid0(VALU_DEP_1) | instskip(SKIP_1) | instid1(VALU_DEP_1)
	v_cndmask_b32_e64 v6, 0, v6, s0
	v_cmp_gt_i32_e64 s0, s33, v22
	v_cndmask_b32_e64 v5, 0, v5, s0
.LBB393_899:                            ;   in Loop: Header=BB393_394 Depth=1
	s_or_b32 exec_lo, exec_lo, s1
	v_lshlrev_b32_e32 v7, 16, v7
	s_delay_alu instid0(VALU_DEP_1) | instskip(NEXT) | instid1(VALU_DEP_1)
	v_mul_f32_e32 v9, v25, v7
	v_and_b32_e32 v7, 0x7f800000, v9
	s_delay_alu instid0(VALU_DEP_1) | instskip(NEXT) | instid1(VALU_DEP_1)
	v_cmp_ne_u32_e64 s0, 0x7f800000, v7
                                        ; implicit-def: $vgpr7
	s_and_saveexec_b32 s1, s0
	s_delay_alu instid0(SALU_CYCLE_1)
	s_xor_b32 s0, exec_lo, s1
; %bb.900:                              ;   in Loop: Header=BB393_394 Depth=1
	v_bfe_u32 v7, v9, 16, 1
	s_delay_alu instid0(VALU_DEP_1)
	v_add3_u32 v7, v9, v7, 0x7fff
                                        ; implicit-def: $vgpr9
; %bb.901:                              ;   in Loop: Header=BB393_394 Depth=1
	s_and_not1_saveexec_b32 s1, s0
; %bb.902:                              ;   in Loop: Header=BB393_394 Depth=1
	v_and_b32_e32 v7, 0xffff, v9
	v_or_b32_e32 v24, 0x10000, v9
	s_delay_alu instid0(VALU_DEP_2) | instskip(NEXT) | instid1(VALU_DEP_1)
	v_cmp_eq_u32_e64 s0, 0, v7
	v_cndmask_b32_e64 v7, v24, v9, s0
; %bb.903:                              ;   in Loop: Header=BB393_394 Depth=1
	s_or_b32 exec_lo, exec_lo, s1
	v_lshlrev_b32_e32 v9, 16, v10
	s_delay_alu instid0(VALU_DEP_1) | instskip(NEXT) | instid1(VALU_DEP_1)
	v_mul_f32_e32 v10, v26, v9
	v_and_b32_e32 v9, 0x7f800000, v10
	s_delay_alu instid0(VALU_DEP_1) | instskip(NEXT) | instid1(VALU_DEP_1)
	v_cmp_ne_u32_e64 s0, 0x7f800000, v9
                                        ; implicit-def: $vgpr9
	s_and_saveexec_b32 s1, s0
	s_delay_alu instid0(SALU_CYCLE_1)
	s_xor_b32 s0, exec_lo, s1
; %bb.904:                              ;   in Loop: Header=BB393_394 Depth=1
	v_bfe_u32 v9, v10, 16, 1
	s_delay_alu instid0(VALU_DEP_1)
	v_add3_u32 v9, v10, v9, 0x7fff
                                        ; implicit-def: $vgpr10
; %bb.905:                              ;   in Loop: Header=BB393_394 Depth=1
	s_and_not1_saveexec_b32 s1, s0
; %bb.906:                              ;   in Loop: Header=BB393_394 Depth=1
	v_and_b32_e32 v9, 0xffff, v10
	v_or_b32_e32 v24, 0x10000, v10
	s_delay_alu instid0(VALU_DEP_2) | instskip(NEXT) | instid1(VALU_DEP_1)
	v_cmp_eq_u32_e64 s0, 0, v9
	v_cndmask_b32_e64 v9, v24, v10, s0
; %bb.907:                              ;   in Loop: Header=BB393_394 Depth=1
	s_or_b32 exec_lo, exec_lo, s1
	v_lshlrev_b32_e32 v10, 16, v11
	s_delay_alu instid0(VALU_DEP_1) | instskip(NEXT) | instid1(VALU_DEP_1)
	v_mul_f32_e32 v11, v27, v10
	v_and_b32_e32 v10, 0x7f800000, v11
	s_delay_alu instid0(VALU_DEP_1) | instskip(NEXT) | instid1(VALU_DEP_1)
	v_cmp_ne_u32_e64 s0, 0x7f800000, v10
                                        ; implicit-def: $vgpr10
	s_and_saveexec_b32 s1, s0
	s_delay_alu instid0(SALU_CYCLE_1)
	s_xor_b32 s0, exec_lo, s1
; %bb.908:                              ;   in Loop: Header=BB393_394 Depth=1
	v_bfe_u32 v10, v11, 16, 1
	s_delay_alu instid0(VALU_DEP_1)
	v_add3_u32 v10, v11, v10, 0x7fff
                                        ; implicit-def: $vgpr11
; %bb.909:                              ;   in Loop: Header=BB393_394 Depth=1
	s_and_not1_saveexec_b32 s1, s0
; %bb.910:                              ;   in Loop: Header=BB393_394 Depth=1
	v_and_b32_e32 v10, 0xffff, v11
	v_or_b32_e32 v24, 0x10000, v11
	s_delay_alu instid0(VALU_DEP_2) | instskip(NEXT) | instid1(VALU_DEP_1)
	v_cmp_eq_u32_e64 s0, 0, v10
	v_cndmask_b32_e64 v10, v24, v11, s0
; %bb.911:                              ;   in Loop: Header=BB393_394 Depth=1
	s_or_b32 exec_lo, exec_lo, s1
	v_lshlrev_b32_e32 v11, 16, v12
	s_delay_alu instid0(VALU_DEP_1) | instskip(NEXT) | instid1(VALU_DEP_1)
	v_mul_f32_e32 v12, v28, v11
	v_and_b32_e32 v11, 0x7f800000, v12
	s_delay_alu instid0(VALU_DEP_1) | instskip(NEXT) | instid1(VALU_DEP_1)
	v_cmp_ne_u32_e64 s0, 0x7f800000, v11
                                        ; implicit-def: $vgpr11
	s_and_saveexec_b32 s1, s0
	s_delay_alu instid0(SALU_CYCLE_1)
	s_xor_b32 s0, exec_lo, s1
; %bb.912:                              ;   in Loop: Header=BB393_394 Depth=1
	v_bfe_u32 v11, v12, 16, 1
	s_delay_alu instid0(VALU_DEP_1)
	v_add3_u32 v11, v12, v11, 0x7fff
                                        ; implicit-def: $vgpr12
; %bb.913:                              ;   in Loop: Header=BB393_394 Depth=1
	s_and_not1_saveexec_b32 s1, s0
; %bb.914:                              ;   in Loop: Header=BB393_394 Depth=1
	v_and_b32_e32 v11, 0xffff, v12
	v_or_b32_e32 v24, 0x10000, v12
	s_delay_alu instid0(VALU_DEP_2) | instskip(NEXT) | instid1(VALU_DEP_1)
	v_cmp_eq_u32_e64 s0, 0, v11
	v_cndmask_b32_e64 v11, v24, v12, s0
; %bb.915:                              ;   in Loop: Header=BB393_394 Depth=1
	s_or_b32 exec_lo, exec_lo, s1
	v_lshlrev_b32_e32 v12, 16, v14
	s_delay_alu instid0(VALU_DEP_1) | instskip(NEXT) | instid1(VALU_DEP_1)
	v_mul_f32_e32 v14, v29, v12
	v_and_b32_e32 v12, 0x7f800000, v14
	s_delay_alu instid0(VALU_DEP_1) | instskip(NEXT) | instid1(VALU_DEP_1)
	v_cmp_ne_u32_e64 s0, 0x7f800000, v12
                                        ; implicit-def: $vgpr12
	s_and_saveexec_b32 s1, s0
	s_delay_alu instid0(SALU_CYCLE_1)
	s_xor_b32 s0, exec_lo, s1
; %bb.916:                              ;   in Loop: Header=BB393_394 Depth=1
	v_bfe_u32 v12, v14, 16, 1
	s_delay_alu instid0(VALU_DEP_1)
	v_add3_u32 v12, v14, v12, 0x7fff
                                        ; implicit-def: $vgpr14
; %bb.917:                              ;   in Loop: Header=BB393_394 Depth=1
	s_and_not1_saveexec_b32 s1, s0
; %bb.918:                              ;   in Loop: Header=BB393_394 Depth=1
	v_and_b32_e32 v12, 0xffff, v14
	v_or_b32_e32 v24, 0x10000, v14
	s_delay_alu instid0(VALU_DEP_2) | instskip(NEXT) | instid1(VALU_DEP_1)
	v_cmp_eq_u32_e64 s0, 0, v12
	v_cndmask_b32_e64 v12, v24, v14, s0
; %bb.919:                              ;   in Loop: Header=BB393_394 Depth=1
	s_or_b32 exec_lo, exec_lo, s1
	v_lshlrev_b32_e32 v8, 16, v8
	s_delay_alu instid0(VALU_DEP_1) | instskip(NEXT) | instid1(VALU_DEP_1)
	v_mul_f32_e32 v14, v30, v8
	v_and_b32_e32 v8, 0x7f800000, v14
	s_delay_alu instid0(VALU_DEP_1) | instskip(NEXT) | instid1(VALU_DEP_1)
	v_cmp_ne_u32_e64 s0, 0x7f800000, v8
                                        ; implicit-def: $vgpr8
	s_and_saveexec_b32 s1, s0
	s_delay_alu instid0(SALU_CYCLE_1)
	s_xor_b32 s0, exec_lo, s1
; %bb.920:                              ;   in Loop: Header=BB393_394 Depth=1
	v_bfe_u32 v8, v14, 16, 1
	s_delay_alu instid0(VALU_DEP_1)
	v_add3_u32 v8, v14, v8, 0x7fff
                                        ; implicit-def: $vgpr14
; %bb.921:                              ;   in Loop: Header=BB393_394 Depth=1
	s_and_not1_saveexec_b32 s1, s0
; %bb.922:                              ;   in Loop: Header=BB393_394 Depth=1
	v_and_b32_e32 v8, 0xffff, v14
	v_or_b32_e32 v24, 0x10000, v14
	s_delay_alu instid0(VALU_DEP_2) | instskip(NEXT) | instid1(VALU_DEP_1)
	v_cmp_eq_u32_e64 s0, 0, v8
	v_cndmask_b32_e64 v8, v24, v14, s0
; %bb.923:                              ;   in Loop: Header=BB393_394 Depth=1
	s_or_b32 exec_lo, exec_lo, s1
	v_lshlrev_b32_e32 v6, 16, v6
	s_delay_alu instid0(VALU_DEP_1) | instskip(NEXT) | instid1(VALU_DEP_1)
	v_mul_f32_e32 v14, v31, v6
	v_and_b32_e32 v6, 0x7f800000, v14
	s_delay_alu instid0(VALU_DEP_1) | instskip(NEXT) | instid1(VALU_DEP_1)
	v_cmp_ne_u32_e64 s0, 0x7f800000, v6
                                        ; implicit-def: $vgpr6
	s_and_saveexec_b32 s1, s0
	s_delay_alu instid0(SALU_CYCLE_1)
	s_xor_b32 s0, exec_lo, s1
; %bb.924:                              ;   in Loop: Header=BB393_394 Depth=1
	v_bfe_u32 v6, v14, 16, 1
	s_delay_alu instid0(VALU_DEP_1)
	v_add3_u32 v6, v14, v6, 0x7fff
                                        ; implicit-def: $vgpr14
; %bb.925:                              ;   in Loop: Header=BB393_394 Depth=1
	s_and_not1_saveexec_b32 s1, s0
; %bb.926:                              ;   in Loop: Header=BB393_394 Depth=1
	v_and_b32_e32 v6, 0xffff, v14
	v_or_b32_e32 v24, 0x10000, v14
	s_delay_alu instid0(VALU_DEP_2) | instskip(NEXT) | instid1(VALU_DEP_1)
	v_cmp_eq_u32_e64 s0, 0, v6
	v_cndmask_b32_e64 v6, v24, v14, s0
; %bb.927:                              ;   in Loop: Header=BB393_394 Depth=1
	s_or_b32 exec_lo, exec_lo, s1
	v_lshlrev_b32_e32 v5, 16, v5
	s_delay_alu instid0(VALU_DEP_1) | instskip(NEXT) | instid1(VALU_DEP_1)
	v_mul_f32_e32 v14, v32, v5
	v_and_b32_e32 v5, 0x7f800000, v14
	s_delay_alu instid0(VALU_DEP_1) | instskip(NEXT) | instid1(VALU_DEP_1)
	v_cmp_ne_u32_e64 s0, 0x7f800000, v5
                                        ; implicit-def: $vgpr5
	s_and_saveexec_b32 s1, s0
	s_delay_alu instid0(SALU_CYCLE_1)
	s_xor_b32 s0, exec_lo, s1
; %bb.928:                              ;   in Loop: Header=BB393_394 Depth=1
	v_bfe_u32 v5, v14, 16, 1
	s_delay_alu instid0(VALU_DEP_1)
	v_add3_u32 v5, v14, v5, 0x7fff
                                        ; implicit-def: $vgpr14
; %bb.929:                              ;   in Loop: Header=BB393_394 Depth=1
	s_and_not1_saveexec_b32 s1, s0
	s_cbranch_execz .LBB393_392
; %bb.930:                              ;   in Loop: Header=BB393_394 Depth=1
	v_and_b32_e32 v5, 0xffff, v14
	v_or_b32_e32 v24, 0x10000, v14
	s_delay_alu instid0(VALU_DEP_2) | instskip(NEXT) | instid1(VALU_DEP_1)
	v_cmp_eq_u32_e64 s0, 0, v5
	v_cndmask_b32_e64 v5, v24, v14, s0
	s_branch .LBB393_392
.LBB393_931:
	s_or_b32 exec_lo, exec_lo, s4
.LBB393_932:
	s_delay_alu instid0(SALU_CYCLE_1)
	s_or_b32 exec_lo, exec_lo, s11
	s_movk_i32 s0, 0x1e0
	v_and_b32_e32 v6, 0x3c0, v0
	v_mad_u32_u24 v5, v18, s0, 0x110
	v_or_b32_e32 v7, 0x60, v0
	s_mov_b32 s0, exec_lo
	s_waitcnt_vscnt null, 0x0
	s_barrier
	buffer_gl0_inv
	v_cmpx_eq_u32_e32 64, v6
	s_cbranch_execz .LBB393_935
; %bb.933:
	v_add_nc_u32_e32 v6, 0xfffffc40, v5
	v_cmp_gt_u32_e32 vcc_lo, 0x78, v7
	s_delay_alu instid0(VALU_DEP_2)
	v_lshl_add_u32 v8, v19, 2, v6
	ds_store_2addr_b32 v8, v1, v2 offset1:32
	ds_store_b32 v8, v3 offset:256
	s_and_b32 exec_lo, exec_lo, vcc_lo
	s_cbranch_execz .LBB393_935
; %bb.934:
	v_lshl_add_u32 v6, v7, 2, v6
	ds_store_b32 v6, v4
.LBB393_935:
	s_or_b32 exec_lo, exec_lo, s0
	v_lshl_add_u32 v6, v19, 2, v5
	s_mov_b32 s0, exec_lo
	s_waitcnt lgkmcnt(0)
	s_barrier
	buffer_gl0_inv
	v_cmpx_gt_u32_e32 64, v0
	s_cbranch_execz .LBB393_939
; %bb.936:
	v_lshl_or_b32 v8, v0, 2, 0x80
	s_mov_b32 s1, exec_lo
	s_delay_alu instid0(VALU_DEP_1)
	v_add_nc_u32_e32 v10, v5, v8
	ds_load_2addr_stride64_b32 v[8:9], v6 offset1:1
	ds_load_b32 v10, v10
	s_waitcnt lgkmcnt(1)
	v_add_f32_e32 v3, v3, v9
	s_waitcnt lgkmcnt(0)
	v_dual_add_f32 v1, v1, v8 :: v_dual_add_f32 v2, v2, v10
	v_cmpx_gt_u32_e32 0x78, v7
	s_cbranch_execz .LBB393_938
; %bb.937:
	v_lshl_add_u32 v8, v7, 2, v5
	ds_load_b32 v8, v8
	s_waitcnt lgkmcnt(0)
	v_add_f32_e32 v4, v4, v8
.LBB393_938:
	s_or_b32 exec_lo, exec_lo, s1
.LBB393_939:
	s_delay_alu instid0(SALU_CYCLE_1)
	s_or_b32 exec_lo, exec_lo, s0
	v_and_b32_e32 v8, 0x3e0, v0
	s_mov_b32 s0, exec_lo
	s_barrier
	buffer_gl0_inv
	v_cmpx_eq_u32_e32 32, v8
	s_cbranch_execz .LBB393_942
; %bb.940:
	v_add_nc_u32_e32 v8, 0xfffffe20, v5
	v_cmp_gt_u32_e32 vcc_lo, 0x78, v7
	s_delay_alu instid0(VALU_DEP_2)
	v_lshl_add_u32 v9, v19, 2, v8
	v_lshl_add_u32 v10, v0, 2, v8
	ds_store_b32 v9, v1
	ds_store_b32 v10, v2
	ds_store_b32 v9, v3 offset:256
	s_and_b32 exec_lo, exec_lo, vcc_lo
	s_cbranch_execz .LBB393_942
; %bb.941:
	v_lshl_add_u32 v8, v7, 2, v8
	ds_store_b32 v8, v4
.LBB393_942:
	s_or_b32 exec_lo, exec_lo, s0
	v_cmp_gt_u32_e32 vcc_lo, 32, v0
	s_waitcnt lgkmcnt(0)
	s_barrier
	buffer_gl0_inv
	s_and_saveexec_b32 s1, vcc_lo
	s_cbranch_execz .LBB393_946
; %bb.943:
	v_lshl_add_u32 v5, v0, 2, v5
	s_mov_b32 s2, exec_lo
	ds_load_b32 v6, v6
	ds_load_2addr_b32 v[8:9], v5 offset0:32 offset1:64
	s_waitcnt lgkmcnt(0)
	v_dual_add_f32 v1, v1, v6 :: v_dual_add_f32 v2, v2, v8
	v_add_f32_e32 v3, v3, v9
	v_cmpx_gt_u32_e32 0x78, v7
	s_cbranch_execz .LBB393_945
; %bb.944:
	ds_load_b32 v5, v5 offset:384
	s_waitcnt lgkmcnt(0)
	v_add_f32_e32 v4, v4, v5
.LBB393_945:
	s_or_b32 exec_lo, exec_lo, s2
.LBB393_946:
	s_delay_alu instid0(SALU_CYCLE_1)
	s_or_b32 exec_lo, exec_lo, s1
	s_barrier
	buffer_gl0_inv
	s_and_saveexec_b32 s0, vcc_lo
	s_cbranch_execz .LBB393_965
; %bb.947:
	v_and_b32_e32 v5, 0x7f800000, v1
	s_mov_b32 s0, exec_lo
                                        ; implicit-def: $vgpr8
	s_delay_alu instid0(VALU_DEP_1)
	v_cmpx_ne_u32_e32 0x7f800000, v5
	s_xor_b32 s0, exec_lo, s0
; %bb.948:
	v_bfe_u32 v5, v1, 16, 1
	s_delay_alu instid0(VALU_DEP_1)
	v_add3_u32 v8, v1, v5, 0x7fff
; %bb.949:
	s_and_not1_saveexec_b32 s0, s0
; %bb.950:
	v_and_b32_e32 v5, 0xffff, v1
	v_or_b32_e32 v6, 0x10000, v1
	s_delay_alu instid0(VALU_DEP_2) | instskip(NEXT) | instid1(VALU_DEP_2)
	v_cmp_eq_u32_e32 vcc_lo, 0, v5
	v_cndmask_b32_e32 v8, v6, v1, vcc_lo
; %bb.951:
	s_or_b32 exec_lo, exec_lo, s0
	s_mul_i32 s0, s10, 0x78
	s_mul_i32 s2, s8, s22
	s_ashr_i32 s1, s0, 31
	v_lshlrev_b32_e32 v0, 1, v0
	s_lshl_b64 s[0:1], s[0:1], 1
	v_and_b32_e32 v1, 0x7f800000, v2
	s_add_u32 s4, s24, s0
	s_addc_u32 s5, s25, s1
	s_ashr_i32 s3, s2, 31
	s_delay_alu instid0(SALU_CYCLE_1) | instskip(SKIP_4) | instid1(SALU_CYCLE_1)
	s_lshl_b64 s[0:1], s[2:3], 1
	s_mul_i32 s2, s20, 0x78
	s_add_u32 s4, s4, s0
	s_addc_u32 s5, s5, s1
	s_ashr_i32 s3, s2, 31
	s_lshl_b64 s[0:1], s[2:3], 1
	s_delay_alu instid0(SALU_CYCLE_1) | instskip(SKIP_2) | instid1(VALU_DEP_1)
	s_add_u32 s0, s4, s0
	s_addc_u32 s1, s5, s1
	v_add_co_u32 v5, s2, s0, v0
	v_add_co_ci_u32_e64 v6, null, s1, 0, s2
	global_store_d16_hi_b16 v0, v8, s[0:1]
	s_mov_b32 s0, exec_lo
                                        ; implicit-def: $vgpr0
	v_cmpx_ne_u32_e32 0x7f800000, v1
	s_xor_b32 s0, exec_lo, s0
; %bb.952:
	v_bfe_u32 v0, v2, 16, 1
	s_delay_alu instid0(VALU_DEP_1)
	v_add3_u32 v0, v2, v0, 0x7fff
; %bb.953:
	s_and_not1_saveexec_b32 s0, s0
; %bb.954:
	v_and_b32_e32 v0, 0xffff, v2
	v_or_b32_e32 v1, 0x10000, v2
	s_delay_alu instid0(VALU_DEP_2) | instskip(NEXT) | instid1(VALU_DEP_2)
	v_cmp_eq_u32_e32 vcc_lo, 0, v0
	v_cndmask_b32_e32 v0, v1, v2, vcc_lo
; %bb.955:
	s_or_b32 exec_lo, exec_lo, s0
	v_and_b32_e32 v1, 0x7f800000, v3
	s_mov_b32 s0, exec_lo
	global_store_d16_hi_b16 v[5:6], v0, off offset:64
                                        ; implicit-def: $vgpr0
	v_cmpx_ne_u32_e32 0x7f800000, v1
	s_xor_b32 s0, exec_lo, s0
; %bb.956:
	v_bfe_u32 v0, v3, 16, 1
	s_delay_alu instid0(VALU_DEP_1)
	v_add3_u32 v0, v3, v0, 0x7fff
; %bb.957:
	s_and_not1_saveexec_b32 s0, s0
; %bb.958:
	v_and_b32_e32 v0, 0xffff, v3
	v_or_b32_e32 v1, 0x10000, v3
	s_delay_alu instid0(VALU_DEP_2) | instskip(NEXT) | instid1(VALU_DEP_2)
	v_cmp_eq_u32_e32 vcc_lo, 0, v0
	v_cndmask_b32_e32 v0, v1, v3, vcc_lo
; %bb.959:
	s_or_b32 exec_lo, exec_lo, s0
	v_cmp_gt_u32_e32 vcc_lo, 0x78, v7
	global_store_d16_hi_b16 v[5:6], v0, off offset:128
	s_and_b32 exec_lo, exec_lo, vcc_lo
	s_cbranch_execz .LBB393_965
; %bb.960:
	v_and_b32_e32 v0, 0x7f800000, v4
	s_delay_alu instid0(VALU_DEP_1) | instskip(SKIP_1) | instid1(SALU_CYCLE_1)
	v_cmp_ne_u32_e32 vcc_lo, 0x7f800000, v0
                                        ; implicit-def: $vgpr0
	s_and_saveexec_b32 s0, vcc_lo
	s_xor_b32 s0, exec_lo, s0
; %bb.961:
	v_bfe_u32 v0, v4, 16, 1
	s_delay_alu instid0(VALU_DEP_1)
	v_add3_u32 v0, v4, v0, 0x7fff
                                        ; implicit-def: $vgpr1_vgpr2_vgpr3_vgpr4
; %bb.962:
	s_and_not1_saveexec_b32 s0, s0
; %bb.963:
	v_and_b32_e32 v0, 0xffff, v4
	v_or_b32_e32 v1, 0x10000, v4
	s_delay_alu instid0(VALU_DEP_2) | instskip(NEXT) | instid1(VALU_DEP_2)
	v_cmp_eq_u32_e32 vcc_lo, 0, v0
	v_cndmask_b32_e32 v0, v1, v4, vcc_lo
; %bb.964:
	s_or_b32 exec_lo, exec_lo, s0
	global_store_d16_hi_b16 v[5:6], v0, off offset:192
.LBB393_965:
	s_nop 0
	s_sendmsg sendmsg(MSG_DEALLOC_VGPRS)
	s_endpgm
	.section	.rodata,"a",@progbits
	.p2align	6, 0x0
	.amdhsa_kernel _ZN4vllm25paged_attention_v2_kernelI14__hip_bfloat16hLi120ELi8ELi128ELNS_18Fp8KVCacheDataTypeE1ELb0ELi512EEEvPfS3_PT_PKS4_PKT0_SA_ifPKiSC_iPKfiiiSE_SE_iiiii
		.amdhsa_group_segment_fixed_size 272
		.amdhsa_private_segment_fixed_size 0
		.amdhsa_kernarg_size 400
		.amdhsa_user_sgpr_count 13
		.amdhsa_user_sgpr_dispatch_ptr 0
		.amdhsa_user_sgpr_queue_ptr 0
		.amdhsa_user_sgpr_kernarg_segment_ptr 1
		.amdhsa_user_sgpr_dispatch_id 0
		.amdhsa_user_sgpr_private_segment_size 0
		.amdhsa_wavefront_size32 1
		.amdhsa_uses_dynamic_stack 0
		.amdhsa_enable_private_segment 0
		.amdhsa_system_sgpr_workgroup_id_x 1
		.amdhsa_system_sgpr_workgroup_id_y 1
		.amdhsa_system_sgpr_workgroup_id_z 1
		.amdhsa_system_sgpr_workgroup_info 0
		.amdhsa_system_vgpr_workitem_id 0
		.amdhsa_next_free_vgpr 83
		.amdhsa_next_free_sgpr 42
		.amdhsa_reserve_vcc 1
		.amdhsa_float_round_mode_32 0
		.amdhsa_float_round_mode_16_64 0
		.amdhsa_float_denorm_mode_32 3
		.amdhsa_float_denorm_mode_16_64 3
		.amdhsa_dx10_clamp 1
		.amdhsa_ieee_mode 1
		.amdhsa_fp16_overflow 0
		.amdhsa_workgroup_processor_mode 1
		.amdhsa_memory_ordered 1
		.amdhsa_forward_progress 0
		.amdhsa_shared_vgpr_count 0
		.amdhsa_exception_fp_ieee_invalid_op 0
		.amdhsa_exception_fp_denorm_src 0
		.amdhsa_exception_fp_ieee_div_zero 0
		.amdhsa_exception_fp_ieee_overflow 0
		.amdhsa_exception_fp_ieee_underflow 0
		.amdhsa_exception_fp_ieee_inexact 0
		.amdhsa_exception_int_div_zero 0
	.end_amdhsa_kernel
	.section	.text._ZN4vllm25paged_attention_v2_kernelI14__hip_bfloat16hLi120ELi8ELi128ELNS_18Fp8KVCacheDataTypeE1ELb0ELi512EEEvPfS3_PT_PKS4_PKT0_SA_ifPKiSC_iPKfiiiSE_SE_iiiii,"axG",@progbits,_ZN4vllm25paged_attention_v2_kernelI14__hip_bfloat16hLi120ELi8ELi128ELNS_18Fp8KVCacheDataTypeE1ELb0ELi512EEEvPfS3_PT_PKS4_PKT0_SA_ifPKiSC_iPKfiiiSE_SE_iiiii,comdat
.Lfunc_end393:
	.size	_ZN4vllm25paged_attention_v2_kernelI14__hip_bfloat16hLi120ELi8ELi128ELNS_18Fp8KVCacheDataTypeE1ELb0ELi512EEEvPfS3_PT_PKS4_PKT0_SA_ifPKiSC_iPKfiiiSE_SE_iiiii, .Lfunc_end393-_ZN4vllm25paged_attention_v2_kernelI14__hip_bfloat16hLi120ELi8ELi128ELNS_18Fp8KVCacheDataTypeE1ELb0ELi512EEEvPfS3_PT_PKS4_PKT0_SA_ifPKiSC_iPKfiiiSE_SE_iiiii
                                        ; -- End function
	.section	.AMDGPU.csdata,"",@progbits
; Kernel info:
; codeLenInByte = 30876
; NumSgprs: 44
; NumVgprs: 83
; ScratchSize: 0
; MemoryBound: 0
; FloatMode: 240
; IeeeMode: 1
; LDSByteSize: 272 bytes/workgroup (compile time only)
; SGPRBlocks: 5
; VGPRBlocks: 10
; NumSGPRsForWavesPerEU: 44
; NumVGPRsForWavesPerEU: 83
; Occupancy: 16
; WaveLimiterHint : 1
; COMPUTE_PGM_RSRC2:SCRATCH_EN: 0
; COMPUTE_PGM_RSRC2:USER_SGPR: 13
; COMPUTE_PGM_RSRC2:TRAP_HANDLER: 0
; COMPUTE_PGM_RSRC2:TGID_X_EN: 1
; COMPUTE_PGM_RSRC2:TGID_Y_EN: 1
; COMPUTE_PGM_RSRC2:TGID_Z_EN: 1
; COMPUTE_PGM_RSRC2:TIDIG_COMP_CNT: 0
	.text
	.p2align	2                               ; -- Begin function _ZN4vllm22paged_attention_kernelI14__hip_bfloat16hLi128ELi8ELi128ELNS_18Fp8KVCacheDataTypeE1ELb0ELi512EEEvPfS3_PT_PKS4_PKT0_SA_ifPKiSC_iPKfiiiSE_SE_iiiii
	.type	_ZN4vllm22paged_attention_kernelI14__hip_bfloat16hLi128ELi8ELi128ELNS_18Fp8KVCacheDataTypeE1ELb0ELi512EEEvPfS3_PT_PKS4_PKT0_SA_ifPKiSC_iPKfiiiSE_SE_iiiii,@function
_ZN4vllm22paged_attention_kernelI14__hip_bfloat16hLi128ELi8ELi128ELNS_18Fp8KVCacheDataTypeE1ELb0ELi512EEEvPfS3_PT_PKS4_PKT0_SA_ifPKiSC_iPKfiiiSE_SE_iiiii: ; @_ZN4vllm22paged_attention_kernelI14__hip_bfloat16hLi128ELi8ELi128ELNS_18Fp8KVCacheDataTypeE1ELb0ELi512EEEvPfS3_PT_PKS4_PKT0_SA_ifPKiSC_iPKfiiiSE_SE_iiiii
; %bb.0:
	s_waitcnt vmcnt(0) expcnt(0) lgkmcnt(0)
	s_clause 0x1
	scratch_store_b32 off, v40, s32 offset:4
	; meta instruction
	scratch_store_b32 off, v41, s32
	s_mov_b32 s16, s13
	s_ashr_i32 s17, s13, 31
	s_lshl_b32 s18, s14, 9
	s_lshl_b64 s[0:1], s[16:17], 2
	s_mov_b32 s17, exec_lo
	v_add_co_u32 v16, vcc_lo, v16, s0
	v_add_co_ci_u32_e32 v17, vcc_lo, s1, v17, vcc_lo
	flat_load_b32 v32, v[16:17]
	s_waitcnt vmcnt(0) lgkmcnt(0)
	v_cmpx_lt_i32_e64 s18, v32
	s_cbranch_execz .LBB394_998
; %bb.1:
	v_sub_nc_u32_e32 v16, 0, v12
	s_clause 0x1
	s_load_b32 s0, s[8:9], 0x10
	s_load_b32 s1, s[8:9], 0x0
	s_mov_b32 s10, s15
	v_mov_b32_e32 v39, 0
	v_max_i32_e32 v16, v12, v16
	s_delay_alu instid0(VALU_DEP_1) | instskip(SKIP_1) | instid1(VALU_DEP_2)
	v_cvt_f32_u32_e32 v17, v16
	v_sub_nc_u32_e32 v28, 0, v16
	v_rcp_iflag_f32_e32 v17, v17
	s_waitcnt lgkmcnt(0)
	s_lshr_b32 s0, s0, 16
	s_delay_alu instid0(SALU_CYCLE_1) | instskip(SKIP_3) | instid1(SALU_CYCLE_1)
	s_cmp_lg_u32 s0, 0
	s_waitcnt_depctr 0xfff
	v_mul_f32_e32 v17, 0x4f7ffffe, v17
	s_cselect_b32 s0, -1, 0
	s_cmp_lg_u32 s0, 0
	s_delay_alu instid0(VALU_DEP_1)
	v_cvt_u32_f32_e32 v17, v17
	s_addc_u32 s5, s1, 0
	s_abs_i32 s1, s12
	s_abs_i32 s0, s5
	v_xor_b32_e32 v12, s5, v12
	v_mul_lo_u32 v28, v28, v17
	s_delay_alu instid0(VALU_DEP_2) | instskip(NEXT) | instid1(VALU_DEP_2)
	v_ashrrev_i32_e32 v12, 31, v12
	v_mul_hi_u32 v28, v17, v28
	s_delay_alu instid0(VALU_DEP_1) | instskip(NEXT) | instid1(VALU_DEP_1)
	v_add_nc_u32_e32 v17, v17, v28
	v_mul_hi_u32 v17, s0, v17
	s_delay_alu instid0(VALU_DEP_1) | instskip(SKIP_1) | instid1(VALU_DEP_2)
	v_mul_lo_u32 v28, v17, v16
	v_add_nc_u32_e32 v29, 1, v17
	v_sub_nc_u32_e32 v28, s0, v28
	s_mov_b32 s0, exec_lo
	s_delay_alu instid0(VALU_DEP_1) | instskip(SKIP_1) | instid1(VALU_DEP_2)
	v_sub_nc_u32_e32 v30, v28, v16
	v_cmp_ge_u32_e32 vcc_lo, v28, v16
	v_dual_cndmask_b32 v17, v17, v29 :: v_dual_cndmask_b32 v28, v28, v30
	s_delay_alu instid0(VALU_DEP_1) | instskip(NEXT) | instid1(VALU_DEP_2)
	v_add_nc_u32_e32 v29, 1, v17
	v_cmp_ge_u32_e32 vcc_lo, v28, v16
	s_delay_alu instid0(VALU_DEP_2) | instskip(NEXT) | instid1(VALU_DEP_1)
	v_cndmask_b32_e32 v16, v17, v29, vcc_lo
	v_xor_b32_e32 v16, v16, v12
	s_delay_alu instid0(VALU_DEP_1) | instskip(NEXT) | instid1(VALU_DEP_1)
	v_sub_nc_u32_e32 v12, v16, v12
	v_sub_nc_u32_e32 v16, 0, v12
	s_delay_alu instid0(VALU_DEP_1) | instskip(NEXT) | instid1(VALU_DEP_1)
	v_max_i32_e32 v28, v12, v16
	v_cvt_f32_u32_e32 v16, v28
	v_sub_nc_u32_e32 v17, 0, v28
	s_delay_alu instid0(VALU_DEP_2) | instskip(SKIP_2) | instid1(VALU_DEP_1)
	v_rcp_iflag_f32_e32 v16, v16
	s_waitcnt_depctr 0xfff
	v_mul_f32_e32 v16, 0x4f7ffffe, v16
	v_cvt_u32_f32_e32 v16, v16
	s_delay_alu instid0(VALU_DEP_1) | instskip(NEXT) | instid1(VALU_DEP_1)
	v_mul_lo_u32 v17, v17, v16
	v_mul_hi_u32 v17, v16, v17
	s_delay_alu instid0(VALU_DEP_1) | instskip(NEXT) | instid1(VALU_DEP_1)
	v_add_nc_u32_e32 v29, v16, v17
	v_mad_u64_u32 v[16:17], null, s1, v29, 0
	v_cmpx_ne_u64_e32 0, v[19:20]
	s_cbranch_execz .LBB394_3
; %bb.2:
	s_ashr_i32 s13, s12, 31
	s_delay_alu instid0(SALU_CYCLE_1) | instskip(NEXT) | instid1(SALU_CYCLE_1)
	s_lshl_b64 s[2:3], s[12:13], 2
	v_add_co_u32 v19, vcc_lo, v19, s2
	v_add_co_ci_u32_e32 v20, vcc_lo, s3, v20, vcc_lo
	flat_load_b32 v39, v[19:20]
.LBB394_3:
	s_or_b32 exec_lo, exec_lo, s0
	v_and_b32_e32 v30, 0x3ff, v31
	v_ashrrev_i32_e32 v12, 31, v12
	s_ashr_i32 s2, s12, 31
	s_lshl_b32 s6, s12, 7
	s_delay_alu instid0(VALU_DEP_2) | instskip(SKIP_2) | instid1(VALU_DEP_2)
	v_and_b32_e32 v20, 3, v30
	v_cmp_gt_u32_e64 s0, 64, v30
	v_lshlrev_b32_e32 v31, 2, v30
	s_and_saveexec_b32 s3, s0
	s_cbranch_execz .LBB394_5
; %bb.4:
	v_mul_lo_u32 v33, s16, v21
	s_ashr_i32 s7, s6, 31
	s_delay_alu instid0(SALU_CYCLE_1) | instskip(NEXT) | instid1(VALU_DEP_1)
	s_lshl_b64 s[20:21], s[6:7], 1
	v_ashrrev_i32_e32 v34, 31, v33
	s_delay_alu instid0(VALU_DEP_1) | instskip(NEXT) | instid1(VALU_DEP_1)
	v_lshlrev_b64 v[33:34], 1, v[33:34]
	v_add_co_u32 v6, vcc_lo, v6, v33
	s_delay_alu instid0(VALU_DEP_2) | instskip(NEXT) | instid1(VALU_DEP_2)
	v_add_co_ci_u32_e32 v7, vcc_lo, v7, v34, vcc_lo
	v_add_co_u32 v6, vcc_lo, v6, s20
	s_delay_alu instid0(VALU_DEP_2) | instskip(NEXT) | instid1(VALU_DEP_2)
	v_add_co_ci_u32_e32 v7, vcc_lo, s21, v7, vcc_lo
	v_add_co_u32 v6, vcc_lo, v6, v31
	s_delay_alu instid0(VALU_DEP_2) | instskip(SKIP_2) | instid1(VALU_DEP_1)
	v_add_co_ci_u32_e32 v7, vcc_lo, 0, v7, vcc_lo
	flat_load_b32 v6, v[6:7]
	v_and_b32_e32 v7, 0x3fc, v30
	v_lshl_add_u32 v7, v20, 6, v7
	s_waitcnt vmcnt(0) lgkmcnt(0)
	ds_store_b32 v7, v6
.LBB394_5:
	s_or_b32 exec_lo, exec_lo, s3
	v_mul_lo_u32 v6, v17, v28
	v_add_nc_u32_e32 v19, 1, v17
	v_lshrrev_b32_e32 v33, 5, v30
	s_lshl_b32 s13, s14, 6
	v_mbcnt_lo_u32_b32 v38, -1, 0
	s_waitcnt vmcnt(0) lgkmcnt(0)
	s_waitcnt_vscnt null, 0x0
	s_barrier
	buffer_gl0_inv
	v_sub_nc_u32_e32 v6, s1, v6
	s_add_i32 s1, s13, 64
                                        ; implicit-def: $vgpr48
	s_delay_alu instid0(VALU_DEP_1) | instskip(SKIP_3) | instid1(VALU_DEP_2)
	v_sub_nc_u32_e32 v21, v6, v28
	v_cmp_ge_u32_e32 vcc_lo, v6, v28
	v_add_nc_u32_e32 v7, 7, v32
	v_cndmask_b32_e32 v17, v17, v19, vcc_lo
	v_ashrrev_i32_e32 v16, 31, v7
	s_delay_alu instid0(VALU_DEP_2) | instskip(NEXT) | instid1(VALU_DEP_2)
	v_add_nc_u32_e32 v19, 1, v17
	v_lshrrev_b32_e32 v16, 29, v16
	s_delay_alu instid0(VALU_DEP_1) | instskip(SKIP_2) | instid1(VALU_DEP_3)
	v_dual_cndmask_b32 v16, v6, v21 :: v_dual_add_nc_u32 v7, v7, v16
	v_xor_b32_e32 v21, s2, v12
	v_mul_lo_u32 v6, s16, v18
                                        ; implicit-def: $sgpr2
	v_ashrrev_i32_e32 v12, 3, v7
	s_delay_alu instid0(VALU_DEP_4) | instskip(SKIP_1) | instid1(VALU_DEP_3)
	v_cmp_ge_u32_e32 vcc_lo, v16, v28
	v_or_b32_e32 v16, s13, v33
	v_min_i32_e32 v34, s1, v12
	v_cndmask_b32_e32 v7, v17, v19, vcc_lo
	s_delay_alu instid0(VALU_DEP_2) | instskip(NEXT) | instid1(VALU_DEP_2)
	v_cmp_ge_i32_e64 s1, v16, v34
	v_xor_b32_e32 v17, v7, v21
	v_ashrrev_i32_e32 v7, 31, v6
	s_delay_alu instid0(VALU_DEP_2) | instskip(NEXT) | instid1(VALU_DEP_4)
	v_sub_nc_u32_e32 v17, v17, v21
	s_and_saveexec_b32 s3, s1
	s_delay_alu instid0(SALU_CYCLE_1)
	s_xor_b32 s3, exec_lo, s3
; %bb.6:
	v_mbcnt_lo_u32_b32 v38, -1, 0
	v_mov_b32_e32 v48, 32
	s_mov_b32 s2, 0xff7fffff
                                        ; implicit-def: $vgpr39
                                        ; implicit-def: $vgpr13
                                        ; implicit-def: $vgpr24
                                        ; implicit-def: $vgpr8
                                        ; implicit-def: $vgpr9
                                        ; implicit-def: $vgpr20
; %bb.7:
	s_or_saveexec_b32 s15, s3
	s_clause 0x1
	s_load_b32 s19, s[8:9], 0x14
	s_load_b32 s7, s[8:9], 0x8
	v_mul_lo_u32 v36, v17, v23
	v_lshlrev_b64 v[6:7], 2, v[6:7]
	v_dual_mov_b32 v112, s2 :: v_dual_lshlrev_b32 v35, 3, v33
	v_ashrrev_i32_e32 v17, 31, v16
	s_delay_alu instid0(VALU_DEP_4)
	v_ashrrev_i32_e32 v37, 31, v36
	s_xor_b32 exec_lo, exec_lo, s15
	s_cbranch_execz .LBB394_397
; %bb.8:
	v_lshlrev_b32_e32 v18, 6, v20
	v_add_co_u32 v8, vcc_lo, v8, v36
	v_bfe_u32 v28, v30, 2, 3
	v_add_co_ci_u32_e32 v19, vcc_lo, v9, v37, vcc_lo
	v_mov_b32_e32 v9, 0
	ds_load_b128 v[64:67], v18
	ds_load_b128 v[80:83], v18 offset:16
	v_dual_mov_b32 v48, 32 :: v_dual_lshlrev_b32 v21, 4, v28
	ds_load_b128 v[96:99], v18 offset:32
	ds_load_b128 v[112:115], v18 offset:48
	v_lshlrev_b32_e32 v23, 1, v20
	v_lshlrev_b32_e32 v29, 2, v28
	v_add_co_u32 v18, vcc_lo, v8, v21
	v_xor_b32_e32 v8, 2, v38
	v_add_co_ci_u32_e32 v19, vcc_lo, 0, v19, vcc_lo
	v_xor_b32_e32 v21, 1, v38
	s_ashr_i32 s11, s10, 31
	s_delay_alu instid0(VALU_DEP_3)
	v_cmp_gt_i32_e32 vcc_lo, 32, v8
	v_cmp_neq_f32_e64 s2, 0, v39
	s_lshl_b64 s[8:9], s[10:11], 2
	v_sub_nc_u32_e32 v116, 1, v32
	v_add3_u32 v117, s18, v35, v28
	s_waitcnt lgkmcnt(0)
	v_dual_cndmask_b32 v8, v38, v8 :: v_dual_lshlrev_b32 v51, 16, v65
	v_cmp_gt_i32_e32 vcc_lo, 32, v21
	v_and_b32_e32 v50, 0xffff0000, v64
	v_lshlrev_b32_e32 v49, 16, v64
	v_lshlrev_b32_e32 v55, 16, v67
	v_dual_cndmask_b32 v21, v38, v21 :: v_dual_and_b32 v64, 0xffff0000, v67
	v_lshlrev_b32_e32 v67, 16, v81
	v_and_b32_e32 v68, 0xffff0000, v81
	v_lshlrev_b32_e32 v69, 16, v82
	v_and_b32_e32 v70, 0xffff0000, v82
	;; [unrolled: 2-line block ×6, first 2 shown]
	v_lshlrev_b32_e32 v115, 2, v21
	v_cmp_eq_u32_e32 vcc_lo, 0, v20
	v_lshlrev_b64 v[20:21], 2, v[16:17]
	v_lshlrev_b32_e32 v101, 16, v114
	v_and_b32_e32 v102, 0xffff0000, v114
	v_lshlrev_b32_e32 v114, 2, v8
	v_dual_mov_b32 v119, v16 :: v_dual_and_b32 v52, 0xffff0000, v65
	v_add_co_u32 v8, s3, v6, v20
	s_delay_alu instid0(VALU_DEP_1) | instskip(SKIP_1) | instid1(VALU_DEP_3)
	v_add_co_ci_u32_e64 v21, s3, v7, v21, s3
	v_lshlrev_b32_e32 v53, 16, v66
	v_add_co_u32 v20, s3, v14, v8
	v_and_b32_e32 v54, 0xffff0000, v66
	v_lshlrev_b32_e32 v65, 16, v80
	v_and_b32_e32 v66, 0xffff0000, v80
	v_lshlrev_b32_e32 v71, 16, v83
	;; [unrolled: 2-line block ×5, first 2 shown]
	v_and_b32_e32 v98, 0xffff0000, v112
	v_add_co_ci_u32_e64 v21, s3, v15, v21, s3
	v_lshl_or_b32 v118, v33, 5, v29
	v_mov_b32_e32 v112, 0xff7fffff
	s_getpc_b64 s[20:21]
	s_add_u32 s20, s20, llvm.amdgcn.dynlds.offset.table@rel32@lo+4
	s_addc_u32 s21, s21, llvm.amdgcn.dynlds.offset.table@rel32@hi+12
	s_add_u32 s8, s8, s20
	s_mov_b32 s11, 0
	s_addc_u32 s9, s9, s21
	s_branch .LBB394_10
.LBB394_9:                              ;   in Loop: Header=BB394_10 Depth=1
	s_or_b32 exec_lo, exec_lo, s4
	v_add_nc_u32_e32 v119, 4, v119
	v_add_co_u32 v20, s4, v20, 16
	s_delay_alu instid0(VALU_DEP_1) | instskip(NEXT) | instid1(VALU_DEP_3)
	v_add_co_ci_u32_e64 v21, s4, 0, v21, s4
	v_cmp_ge_i32_e64 s3, v119, v34
	v_add_nc_u32_e32 v117, 32, v117
	v_add_nc_u32_e32 v118, 0x80, v118
	s_delay_alu instid0(VALU_DEP_3) | instskip(NEXT) | instid1(SALU_CYCLE_1)
	s_or_b32 s11, s3, s11
	s_and_not1_b32 exec_lo, exec_lo, s11
	s_cbranch_execz .LBB394_396
.LBB394_10:                             ; =>This Inner Loop Header: Depth=1
	flat_load_b32 v8, v[20:21]
	s_mov_b32 s4, exec_lo
	s_waitcnt vmcnt(0) lgkmcnt(0)
	v_mad_i64_i32 v[28:29], null, v8, v22, v[18:19]
	s_delay_alu instid0(VALU_DEP_1) | instskip(NEXT) | instid1(VALU_DEP_1)
	v_add_co_u32 v28, s3, v28, v23
	v_add_co_ci_u32_e64 v29, s3, 0, v29, s3
	flat_load_u16 v8, v[28:29]
	flat_load_b32 v128, v[24:25]
	s_waitcnt vmcnt(1) lgkmcnt(1)
	v_and_b32_e32 v129, 0xff, v8
	v_and_b32_e32 v130, 0xffff, v8
	v_mov_b32_e32 v8, 0
	s_delay_alu instid0(VALU_DEP_3)
	v_cmpx_ne_u16_e64 0, v129
	s_cbranch_execz .LBB394_18
; %bb.11:                               ;   in Loop: Header=BB394_10 Depth=1
	s_delay_alu instid0(VALU_DEP_3) | instskip(NEXT) | instid1(VALU_DEP_1)
	v_and_b32_e32 v8, 0xff, v130
	v_cmp_ne_u16_e64 s3, 0x80, v8
	v_bfrev_b32_e32 v8, 1
	s_delay_alu instid0(VALU_DEP_2)
	s_and_saveexec_b32 s20, s3
	s_cbranch_execz .LBB394_17
; %bb.12:                               ;   in Loop: Header=BB394_10 Depth=1
	v_and_b32_e32 v131, 0x7f, v130
	v_mov_b32_e32 v8, 0x7f800001
	s_mov_b32 s21, exec_lo
	s_delay_alu instid0(VALU_DEP_2)
	v_cmpx_ne_u32_e32 0x7f, v131
	s_cbranch_execz .LBB394_16
; %bb.13:                               ;   in Loop: Header=BB394_10 Depth=1
	v_and_b32_e32 v8, 7, v130
	v_lshrrev_b32_e32 v129, 3, v131
	s_mov_b32 s22, exec_lo
	v_cmpx_gt_u32_e32 8, v131
; %bb.14:                               ;   in Loop: Header=BB394_10 Depth=1
	s_delay_alu instid0(VALU_DEP_3) | instskip(NEXT) | instid1(VALU_DEP_1)
	v_clz_i32_u32_e32 v129, v8
	v_min_u32_e32 v129, 32, v129
	s_delay_alu instid0(VALU_DEP_1) | instskip(SKIP_1) | instid1(VALU_DEP_2)
	v_subrev_nc_u32_e32 v131, 28, v129
	v_sub_nc_u32_e32 v129, 29, v129
	v_lshlrev_b64 v[131:132], v131, v[8:9]
	s_delay_alu instid0(VALU_DEP_1)
	v_and_b32_e32 v8, 7, v131
; %bb.15:                               ;   in Loop: Header=BB394_10 Depth=1
	s_or_b32 exec_lo, exec_lo, s22
	v_lshlrev_b32_e32 v131, 24, v130
	s_delay_alu instid0(VALU_DEP_2) | instskip(SKIP_1) | instid1(VALU_DEP_3)
	v_lshlrev_b32_e32 v8, 20, v8
	v_lshl_add_u32 v129, v129, 23, 0x3c000000
	v_and_b32_e32 v131, 0x80000000, v131
	s_delay_alu instid0(VALU_DEP_1)
	v_or3_b32 v8, v8, v131, v129
.LBB394_16:                             ;   in Loop: Header=BB394_10 Depth=1
	s_or_b32 exec_lo, exec_lo, s21
.LBB394_17:                             ;   in Loop: Header=BB394_10 Depth=1
	s_delay_alu instid0(SALU_CYCLE_1)
	s_or_b32 exec_lo, exec_lo, s20
.LBB394_18:                             ;   in Loop: Header=BB394_10 Depth=1
	s_delay_alu instid0(SALU_CYCLE_1) | instskip(SKIP_2) | instid1(VALU_DEP_1)
	s_or_b32 exec_lo, exec_lo, s4
	s_waitcnt vmcnt(0) lgkmcnt(0)
	v_mul_f32_e32 v8, v128, v8
	v_and_b32_e32 v129, 0x7f800000, v8
	s_delay_alu instid0(VALU_DEP_1) | instskip(NEXT) | instid1(VALU_DEP_1)
	v_cmp_ne_u32_e64 s3, 0x7f800000, v129
                                        ; implicit-def: $vgpr129
	s_and_saveexec_b32 s4, s3
	s_delay_alu instid0(SALU_CYCLE_1)
	s_xor_b32 s3, exec_lo, s4
; %bb.19:                               ;   in Loop: Header=BB394_10 Depth=1
	v_bfe_u32 v129, v8, 16, 1
	s_delay_alu instid0(VALU_DEP_1)
	v_add3_u32 v129, v8, v129, 0x7fff
                                        ; implicit-def: $vgpr8
; %bb.20:                               ;   in Loop: Header=BB394_10 Depth=1
	s_and_not1_saveexec_b32 s4, s3
; %bb.21:                               ;   in Loop: Header=BB394_10 Depth=1
	v_and_b32_e32 v129, 0xffff, v8
	v_or_b32_e32 v131, 0x10000, v8
	s_delay_alu instid0(VALU_DEP_2) | instskip(NEXT) | instid1(VALU_DEP_1)
	v_cmp_eq_u32_e64 s3, 0, v129
	v_cndmask_b32_e64 v129, v131, v8, s3
; %bb.22:                               ;   in Loop: Header=BB394_10 Depth=1
	s_or_b32 exec_lo, exec_lo, s4
	v_lshrrev_b16 v131, 8, v130
	v_mov_b32_e32 v8, 0
	s_mov_b32 s4, exec_lo
	s_delay_alu instid0(VALU_DEP_2)
	v_cmpx_ne_u16_e64 0, v131
	s_cbranch_execz .LBB394_30
; %bb.23:                               ;   in Loop: Header=BB394_10 Depth=1
	v_bfrev_b32_e32 v8, 1
	s_mov_b32 s20, exec_lo
	v_cmpx_ne_u16_e64 0x80, v131
	s_cbranch_execz .LBB394_29
; %bb.24:                               ;   in Loop: Header=BB394_10 Depth=1
	v_and_b32_e32 v131, 0xffff, v131
	v_mov_b32_e32 v8, 0x7f800001
	s_mov_b32 s21, exec_lo
	s_delay_alu instid0(VALU_DEP_2) | instskip(NEXT) | instid1(VALU_DEP_1)
	v_and_b32_e32 v132, 0x7f, v131
	v_cmpx_ne_u32_e32 0x7f, v132
	s_cbranch_execz .LBB394_28
; %bb.25:                               ;   in Loop: Header=BB394_10 Depth=1
	v_and_b32_e32 v8, 7, v131
	v_lshrrev_b32_e32 v131, 3, v132
	s_mov_b32 s22, exec_lo
	v_cmpx_gt_u32_e32 8, v132
; %bb.26:                               ;   in Loop: Header=BB394_10 Depth=1
	s_delay_alu instid0(VALU_DEP_3) | instskip(NEXT) | instid1(VALU_DEP_1)
	v_clz_i32_u32_e32 v131, v8
	v_min_u32_e32 v131, 32, v131
	s_delay_alu instid0(VALU_DEP_1) | instskip(SKIP_1) | instid1(VALU_DEP_2)
	v_subrev_nc_u32_e32 v132, 28, v131
	v_sub_nc_u32_e32 v131, 29, v131
	v_lshlrev_b64 v[132:133], v132, v[8:9]
	s_delay_alu instid0(VALU_DEP_1)
	v_and_b32_e32 v8, 7, v132
; %bb.27:                               ;   in Loop: Header=BB394_10 Depth=1
	s_or_b32 exec_lo, exec_lo, s22
	v_lshlrev_b32_e32 v130, 16, v130
	s_delay_alu instid0(VALU_DEP_2) | instskip(SKIP_1) | instid1(VALU_DEP_3)
	v_lshlrev_b32_e32 v8, 20, v8
	v_lshl_add_u32 v131, v131, 23, 0x3c000000
	v_and_b32_e32 v130, 0x80000000, v130
	s_delay_alu instid0(VALU_DEP_1)
	v_or3_b32 v8, v8, v130, v131
.LBB394_28:                             ;   in Loop: Header=BB394_10 Depth=1
	s_or_b32 exec_lo, exec_lo, s21
.LBB394_29:                             ;   in Loop: Header=BB394_10 Depth=1
	s_delay_alu instid0(SALU_CYCLE_1)
	s_or_b32 exec_lo, exec_lo, s20
.LBB394_30:                             ;   in Loop: Header=BB394_10 Depth=1
	s_delay_alu instid0(SALU_CYCLE_1) | instskip(NEXT) | instid1(VALU_DEP_1)
	s_or_b32 exec_lo, exec_lo, s4
	v_mul_f32_e32 v8, v128, v8
	s_delay_alu instid0(VALU_DEP_1) | instskip(NEXT) | instid1(VALU_DEP_1)
	v_and_b32_e32 v130, 0x7f800000, v8
	v_cmp_ne_u32_e64 s3, 0x7f800000, v130
                                        ; implicit-def: $vgpr130
	s_delay_alu instid0(VALU_DEP_1) | instskip(NEXT) | instid1(SALU_CYCLE_1)
	s_and_saveexec_b32 s4, s3
	s_xor_b32 s3, exec_lo, s4
; %bb.31:                               ;   in Loop: Header=BB394_10 Depth=1
	v_bfe_u32 v130, v8, 16, 1
	s_delay_alu instid0(VALU_DEP_1)
	v_add3_u32 v130, v8, v130, 0x7fff
                                        ; implicit-def: $vgpr8
; %bb.32:                               ;   in Loop: Header=BB394_10 Depth=1
	s_and_not1_saveexec_b32 s4, s3
; %bb.33:                               ;   in Loop: Header=BB394_10 Depth=1
	v_and_b32_e32 v130, 0xffff, v8
	v_or_b32_e32 v131, 0x10000, v8
	s_delay_alu instid0(VALU_DEP_2) | instskip(NEXT) | instid1(VALU_DEP_1)
	v_cmp_eq_u32_e64 s3, 0, v130
	v_cndmask_b32_e64 v130, v131, v8, s3
; %bb.34:                               ;   in Loop: Header=BB394_10 Depth=1
	s_or_b32 exec_lo, exec_lo, s4
	flat_load_u16 v8, v[28:29] offset:8
	s_mov_b32 s4, exec_lo
	s_waitcnt vmcnt(0) lgkmcnt(0)
	v_and_b32_e32 v131, 0xff, v8
	v_and_b32_e32 v132, 0xffff, v8
	v_mov_b32_e32 v8, 0
	s_delay_alu instid0(VALU_DEP_3)
	v_cmpx_ne_u16_e64 0, v131
	s_cbranch_execz .LBB394_42
; %bb.35:                               ;   in Loop: Header=BB394_10 Depth=1
	s_delay_alu instid0(VALU_DEP_3) | instskip(NEXT) | instid1(VALU_DEP_1)
	v_and_b32_e32 v8, 0xff, v132
	v_cmp_ne_u16_e64 s3, 0x80, v8
	v_bfrev_b32_e32 v8, 1
	s_delay_alu instid0(VALU_DEP_2)
	s_and_saveexec_b32 s20, s3
	s_cbranch_execz .LBB394_41
; %bb.36:                               ;   in Loop: Header=BB394_10 Depth=1
	v_and_b32_e32 v133, 0x7f, v132
	v_mov_b32_e32 v8, 0x7f800001
	s_mov_b32 s21, exec_lo
	s_delay_alu instid0(VALU_DEP_2)
	v_cmpx_ne_u32_e32 0x7f, v133
	s_cbranch_execz .LBB394_40
; %bb.37:                               ;   in Loop: Header=BB394_10 Depth=1
	v_and_b32_e32 v8, 7, v132
	v_lshrrev_b32_e32 v131, 3, v133
	s_mov_b32 s22, exec_lo
	v_cmpx_gt_u32_e32 8, v133
; %bb.38:                               ;   in Loop: Header=BB394_10 Depth=1
	s_delay_alu instid0(VALU_DEP_3) | instskip(NEXT) | instid1(VALU_DEP_1)
	v_clz_i32_u32_e32 v131, v8
	v_min_u32_e32 v131, 32, v131
	s_delay_alu instid0(VALU_DEP_1) | instskip(SKIP_1) | instid1(VALU_DEP_2)
	v_subrev_nc_u32_e32 v133, 28, v131
	v_sub_nc_u32_e32 v131, 29, v131
	v_lshlrev_b64 v[133:134], v133, v[8:9]
	s_delay_alu instid0(VALU_DEP_1)
	v_and_b32_e32 v8, 7, v133
; %bb.39:                               ;   in Loop: Header=BB394_10 Depth=1
	s_or_b32 exec_lo, exec_lo, s22
	v_lshlrev_b32_e32 v133, 24, v132
	s_delay_alu instid0(VALU_DEP_2) | instskip(SKIP_1) | instid1(VALU_DEP_3)
	v_lshlrev_b32_e32 v8, 20, v8
	v_lshl_add_u32 v131, v131, 23, 0x3c000000
	v_and_b32_e32 v133, 0x80000000, v133
	s_delay_alu instid0(VALU_DEP_1)
	v_or3_b32 v8, v8, v133, v131
.LBB394_40:                             ;   in Loop: Header=BB394_10 Depth=1
	s_or_b32 exec_lo, exec_lo, s21
.LBB394_41:                             ;   in Loop: Header=BB394_10 Depth=1
	s_delay_alu instid0(SALU_CYCLE_1)
	s_or_b32 exec_lo, exec_lo, s20
.LBB394_42:                             ;   in Loop: Header=BB394_10 Depth=1
	s_delay_alu instid0(SALU_CYCLE_1) | instskip(NEXT) | instid1(VALU_DEP_1)
	s_or_b32 exec_lo, exec_lo, s4
	v_mul_f32_e32 v8, v128, v8
	s_delay_alu instid0(VALU_DEP_1) | instskip(NEXT) | instid1(VALU_DEP_1)
	v_and_b32_e32 v131, 0x7f800000, v8
	v_cmp_ne_u32_e64 s3, 0x7f800000, v131
                                        ; implicit-def: $vgpr131
	s_delay_alu instid0(VALU_DEP_1) | instskip(NEXT) | instid1(SALU_CYCLE_1)
	s_and_saveexec_b32 s4, s3
	s_xor_b32 s3, exec_lo, s4
; %bb.43:                               ;   in Loop: Header=BB394_10 Depth=1
	v_bfe_u32 v131, v8, 16, 1
	s_delay_alu instid0(VALU_DEP_1)
	v_add3_u32 v131, v8, v131, 0x7fff
                                        ; implicit-def: $vgpr8
; %bb.44:                               ;   in Loop: Header=BB394_10 Depth=1
	s_and_not1_saveexec_b32 s4, s3
; %bb.45:                               ;   in Loop: Header=BB394_10 Depth=1
	v_and_b32_e32 v131, 0xffff, v8
	v_or_b32_e32 v133, 0x10000, v8
	s_delay_alu instid0(VALU_DEP_2) | instskip(NEXT) | instid1(VALU_DEP_1)
	v_cmp_eq_u32_e64 s3, 0, v131
	v_cndmask_b32_e64 v131, v133, v8, s3
; %bb.46:                               ;   in Loop: Header=BB394_10 Depth=1
	s_or_b32 exec_lo, exec_lo, s4
	v_lshrrev_b16 v133, 8, v132
	v_mov_b32_e32 v8, 0
	s_mov_b32 s4, exec_lo
	s_delay_alu instid0(VALU_DEP_2)
	v_cmpx_ne_u16_e64 0, v133
	s_cbranch_execz .LBB394_54
; %bb.47:                               ;   in Loop: Header=BB394_10 Depth=1
	v_bfrev_b32_e32 v8, 1
	s_mov_b32 s20, exec_lo
	v_cmpx_ne_u16_e64 0x80, v133
	s_cbranch_execz .LBB394_53
; %bb.48:                               ;   in Loop: Header=BB394_10 Depth=1
	v_and_b32_e32 v133, 0xffff, v133
	v_mov_b32_e32 v8, 0x7f800001
	s_mov_b32 s21, exec_lo
	s_delay_alu instid0(VALU_DEP_2) | instskip(NEXT) | instid1(VALU_DEP_1)
	v_and_b32_e32 v134, 0x7f, v133
	v_cmpx_ne_u32_e32 0x7f, v134
	s_cbranch_execz .LBB394_52
; %bb.49:                               ;   in Loop: Header=BB394_10 Depth=1
	v_and_b32_e32 v8, 7, v133
	v_lshrrev_b32_e32 v133, 3, v134
	s_mov_b32 s22, exec_lo
	v_cmpx_gt_u32_e32 8, v134
; %bb.50:                               ;   in Loop: Header=BB394_10 Depth=1
	s_delay_alu instid0(VALU_DEP_3) | instskip(NEXT) | instid1(VALU_DEP_1)
	v_clz_i32_u32_e32 v133, v8
	v_min_u32_e32 v133, 32, v133
	s_delay_alu instid0(VALU_DEP_1) | instskip(SKIP_1) | instid1(VALU_DEP_2)
	v_subrev_nc_u32_e32 v134, 28, v133
	v_sub_nc_u32_e32 v133, 29, v133
	v_lshlrev_b64 v[134:135], v134, v[8:9]
	s_delay_alu instid0(VALU_DEP_1)
	v_and_b32_e32 v8, 7, v134
; %bb.51:                               ;   in Loop: Header=BB394_10 Depth=1
	s_or_b32 exec_lo, exec_lo, s22
	v_lshlrev_b32_e32 v132, 16, v132
	s_delay_alu instid0(VALU_DEP_2) | instskip(SKIP_1) | instid1(VALU_DEP_3)
	v_lshlrev_b32_e32 v8, 20, v8
	v_lshl_add_u32 v133, v133, 23, 0x3c000000
	v_and_b32_e32 v132, 0x80000000, v132
	s_delay_alu instid0(VALU_DEP_1)
	v_or3_b32 v8, v8, v132, v133
.LBB394_52:                             ;   in Loop: Header=BB394_10 Depth=1
	s_or_b32 exec_lo, exec_lo, s21
.LBB394_53:                             ;   in Loop: Header=BB394_10 Depth=1
	s_delay_alu instid0(SALU_CYCLE_1)
	s_or_b32 exec_lo, exec_lo, s20
.LBB394_54:                             ;   in Loop: Header=BB394_10 Depth=1
	s_delay_alu instid0(SALU_CYCLE_1) | instskip(NEXT) | instid1(VALU_DEP_1)
	s_or_b32 exec_lo, exec_lo, s4
	v_mul_f32_e32 v8, v128, v8
	s_delay_alu instid0(VALU_DEP_1) | instskip(NEXT) | instid1(VALU_DEP_1)
	v_and_b32_e32 v132, 0x7f800000, v8
	v_cmp_ne_u32_e64 s3, 0x7f800000, v132
                                        ; implicit-def: $vgpr132
	s_delay_alu instid0(VALU_DEP_1) | instskip(NEXT) | instid1(SALU_CYCLE_1)
	s_and_saveexec_b32 s4, s3
	s_xor_b32 s3, exec_lo, s4
; %bb.55:                               ;   in Loop: Header=BB394_10 Depth=1
	v_bfe_u32 v132, v8, 16, 1
	s_delay_alu instid0(VALU_DEP_1)
	v_add3_u32 v132, v8, v132, 0x7fff
                                        ; implicit-def: $vgpr8
; %bb.56:                               ;   in Loop: Header=BB394_10 Depth=1
	s_and_not1_saveexec_b32 s4, s3
; %bb.57:                               ;   in Loop: Header=BB394_10 Depth=1
	v_and_b32_e32 v132, 0xffff, v8
	v_or_b32_e32 v133, 0x10000, v8
	s_delay_alu instid0(VALU_DEP_2) | instskip(NEXT) | instid1(VALU_DEP_1)
	v_cmp_eq_u32_e64 s3, 0, v132
	v_cndmask_b32_e64 v132, v133, v8, s3
; %bb.58:                               ;   in Loop: Header=BB394_10 Depth=1
	s_or_b32 exec_lo, exec_lo, s4
	flat_load_u16 v8, v[28:29] offset:128
	s_mov_b32 s4, exec_lo
	s_waitcnt vmcnt(0) lgkmcnt(0)
	v_and_b32_e32 v133, 0xff, v8
	v_and_b32_e32 v134, 0xffff, v8
	v_mov_b32_e32 v8, 0
	s_delay_alu instid0(VALU_DEP_3)
	v_cmpx_ne_u16_e64 0, v133
	s_cbranch_execz .LBB394_66
; %bb.59:                               ;   in Loop: Header=BB394_10 Depth=1
	s_delay_alu instid0(VALU_DEP_3) | instskip(NEXT) | instid1(VALU_DEP_1)
	v_and_b32_e32 v8, 0xff, v134
	v_cmp_ne_u16_e64 s3, 0x80, v8
	v_bfrev_b32_e32 v8, 1
	s_delay_alu instid0(VALU_DEP_2)
	s_and_saveexec_b32 s20, s3
	s_cbranch_execz .LBB394_65
; %bb.60:                               ;   in Loop: Header=BB394_10 Depth=1
	v_and_b32_e32 v135, 0x7f, v134
	v_mov_b32_e32 v8, 0x7f800001
	s_mov_b32 s21, exec_lo
	s_delay_alu instid0(VALU_DEP_2)
	v_cmpx_ne_u32_e32 0x7f, v135
	s_cbranch_execz .LBB394_64
; %bb.61:                               ;   in Loop: Header=BB394_10 Depth=1
	v_and_b32_e32 v8, 7, v134
	v_lshrrev_b32_e32 v133, 3, v135
	s_mov_b32 s22, exec_lo
	v_cmpx_gt_u32_e32 8, v135
; %bb.62:                               ;   in Loop: Header=BB394_10 Depth=1
	s_delay_alu instid0(VALU_DEP_3) | instskip(NEXT) | instid1(VALU_DEP_1)
	v_clz_i32_u32_e32 v133, v8
	v_min_u32_e32 v133, 32, v133
	s_delay_alu instid0(VALU_DEP_1) | instskip(SKIP_1) | instid1(VALU_DEP_2)
	v_subrev_nc_u32_e32 v135, 28, v133
	v_sub_nc_u32_e32 v133, 29, v133
	v_lshlrev_b64 v[144:145], v135, v[8:9]
	s_delay_alu instid0(VALU_DEP_1)
	v_and_b32_e32 v8, 7, v144
; %bb.63:                               ;   in Loop: Header=BB394_10 Depth=1
	s_or_b32 exec_lo, exec_lo, s22
	v_lshlrev_b32_e32 v135, 24, v134
	s_delay_alu instid0(VALU_DEP_2) | instskip(SKIP_1) | instid1(VALU_DEP_3)
	v_lshlrev_b32_e32 v8, 20, v8
	v_lshl_add_u32 v133, v133, 23, 0x3c000000
	v_and_b32_e32 v135, 0x80000000, v135
	s_delay_alu instid0(VALU_DEP_1)
	v_or3_b32 v8, v8, v135, v133
.LBB394_64:                             ;   in Loop: Header=BB394_10 Depth=1
	s_or_b32 exec_lo, exec_lo, s21
.LBB394_65:                             ;   in Loop: Header=BB394_10 Depth=1
	s_delay_alu instid0(SALU_CYCLE_1)
	s_or_b32 exec_lo, exec_lo, s20
.LBB394_66:                             ;   in Loop: Header=BB394_10 Depth=1
	s_delay_alu instid0(SALU_CYCLE_1) | instskip(NEXT) | instid1(VALU_DEP_1)
	s_or_b32 exec_lo, exec_lo, s4
	v_mul_f32_e32 v8, v128, v8
	s_delay_alu instid0(VALU_DEP_1) | instskip(NEXT) | instid1(VALU_DEP_1)
	v_and_b32_e32 v133, 0x7f800000, v8
	v_cmp_ne_u32_e64 s3, 0x7f800000, v133
                                        ; implicit-def: $vgpr133
	s_delay_alu instid0(VALU_DEP_1) | instskip(NEXT) | instid1(SALU_CYCLE_1)
	s_and_saveexec_b32 s4, s3
	s_xor_b32 s3, exec_lo, s4
; %bb.67:                               ;   in Loop: Header=BB394_10 Depth=1
	v_bfe_u32 v133, v8, 16, 1
	s_delay_alu instid0(VALU_DEP_1)
	v_add3_u32 v133, v8, v133, 0x7fff
                                        ; implicit-def: $vgpr8
; %bb.68:                               ;   in Loop: Header=BB394_10 Depth=1
	s_and_not1_saveexec_b32 s4, s3
; %bb.69:                               ;   in Loop: Header=BB394_10 Depth=1
	v_and_b32_e32 v133, 0xffff, v8
	v_or_b32_e32 v135, 0x10000, v8
	s_delay_alu instid0(VALU_DEP_2) | instskip(NEXT) | instid1(VALU_DEP_1)
	v_cmp_eq_u32_e64 s3, 0, v133
	v_cndmask_b32_e64 v133, v135, v8, s3
; %bb.70:                               ;   in Loop: Header=BB394_10 Depth=1
	s_or_b32 exec_lo, exec_lo, s4
	v_lshrrev_b16 v135, 8, v134
	v_mov_b32_e32 v8, 0
	s_mov_b32 s4, exec_lo
	s_delay_alu instid0(VALU_DEP_2)
	v_cmpx_ne_u16_e64 0, v135
	s_cbranch_execz .LBB394_78
; %bb.71:                               ;   in Loop: Header=BB394_10 Depth=1
	v_bfrev_b32_e32 v8, 1
	s_mov_b32 s20, exec_lo
	v_cmpx_ne_u16_e64 0x80, v135
	s_cbranch_execz .LBB394_77
; %bb.72:                               ;   in Loop: Header=BB394_10 Depth=1
	v_and_b32_e32 v135, 0xffff, v135
	v_mov_b32_e32 v8, 0x7f800001
	s_mov_b32 s21, exec_lo
	s_delay_alu instid0(VALU_DEP_2) | instskip(NEXT) | instid1(VALU_DEP_1)
	v_and_b32_e32 v144, 0x7f, v135
	v_cmpx_ne_u32_e32 0x7f, v144
	s_cbranch_execz .LBB394_76
; %bb.73:                               ;   in Loop: Header=BB394_10 Depth=1
	v_and_b32_e32 v8, 7, v135
	v_lshrrev_b32_e32 v135, 3, v144
	s_mov_b32 s22, exec_lo
	v_cmpx_gt_u32_e32 8, v144
; %bb.74:                               ;   in Loop: Header=BB394_10 Depth=1
	s_delay_alu instid0(VALU_DEP_3) | instskip(NEXT) | instid1(VALU_DEP_1)
	v_clz_i32_u32_e32 v135, v8
	v_min_u32_e32 v135, 32, v135
	s_delay_alu instid0(VALU_DEP_1) | instskip(SKIP_1) | instid1(VALU_DEP_2)
	v_subrev_nc_u32_e32 v144, 28, v135
	v_sub_nc_u32_e32 v135, 29, v135
	v_lshlrev_b64 v[144:145], v144, v[8:9]
	s_delay_alu instid0(VALU_DEP_1)
	v_and_b32_e32 v8, 7, v144
; %bb.75:                               ;   in Loop: Header=BB394_10 Depth=1
	s_or_b32 exec_lo, exec_lo, s22
	v_lshlrev_b32_e32 v134, 16, v134
	s_delay_alu instid0(VALU_DEP_2) | instskip(SKIP_1) | instid1(VALU_DEP_3)
	v_lshlrev_b32_e32 v8, 20, v8
	v_lshl_add_u32 v135, v135, 23, 0x3c000000
	v_and_b32_e32 v134, 0x80000000, v134
	s_delay_alu instid0(VALU_DEP_1)
	v_or3_b32 v8, v8, v134, v135
.LBB394_76:                             ;   in Loop: Header=BB394_10 Depth=1
	s_or_b32 exec_lo, exec_lo, s21
.LBB394_77:                             ;   in Loop: Header=BB394_10 Depth=1
	s_delay_alu instid0(SALU_CYCLE_1)
	s_or_b32 exec_lo, exec_lo, s20
.LBB394_78:                             ;   in Loop: Header=BB394_10 Depth=1
	s_delay_alu instid0(SALU_CYCLE_1) | instskip(NEXT) | instid1(VALU_DEP_1)
	s_or_b32 exec_lo, exec_lo, s4
	v_mul_f32_e32 v8, v128, v8
	s_delay_alu instid0(VALU_DEP_1) | instskip(NEXT) | instid1(VALU_DEP_1)
	v_and_b32_e32 v134, 0x7f800000, v8
	v_cmp_ne_u32_e64 s3, 0x7f800000, v134
                                        ; implicit-def: $vgpr134
	s_delay_alu instid0(VALU_DEP_1) | instskip(NEXT) | instid1(SALU_CYCLE_1)
	s_and_saveexec_b32 s4, s3
	s_xor_b32 s3, exec_lo, s4
; %bb.79:                               ;   in Loop: Header=BB394_10 Depth=1
	v_bfe_u32 v134, v8, 16, 1
	s_delay_alu instid0(VALU_DEP_1)
	v_add3_u32 v134, v8, v134, 0x7fff
                                        ; implicit-def: $vgpr8
; %bb.80:                               ;   in Loop: Header=BB394_10 Depth=1
	s_and_not1_saveexec_b32 s4, s3
; %bb.81:                               ;   in Loop: Header=BB394_10 Depth=1
	v_and_b32_e32 v134, 0xffff, v8
	v_or_b32_e32 v135, 0x10000, v8
	s_delay_alu instid0(VALU_DEP_2) | instskip(NEXT) | instid1(VALU_DEP_1)
	v_cmp_eq_u32_e64 s3, 0, v134
	v_cndmask_b32_e64 v134, v135, v8, s3
; %bb.82:                               ;   in Loop: Header=BB394_10 Depth=1
	s_or_b32 exec_lo, exec_lo, s4
	flat_load_u16 v8, v[28:29] offset:136
	s_mov_b32 s4, exec_lo
	s_waitcnt vmcnt(0) lgkmcnt(0)
	v_and_b32_e32 v135, 0xff, v8
	v_and_b32_e32 v144, 0xffff, v8
	v_mov_b32_e32 v8, 0
	s_delay_alu instid0(VALU_DEP_3)
	v_cmpx_ne_u16_e64 0, v135
	s_cbranch_execz .LBB394_90
; %bb.83:                               ;   in Loop: Header=BB394_10 Depth=1
	s_delay_alu instid0(VALU_DEP_3) | instskip(NEXT) | instid1(VALU_DEP_1)
	v_and_b32_e32 v8, 0xff, v144
	v_cmp_ne_u16_e64 s3, 0x80, v8
	v_bfrev_b32_e32 v8, 1
	s_delay_alu instid0(VALU_DEP_2)
	s_and_saveexec_b32 s20, s3
	s_cbranch_execz .LBB394_89
; %bb.84:                               ;   in Loop: Header=BB394_10 Depth=1
	v_and_b32_e32 v145, 0x7f, v144
	v_mov_b32_e32 v8, 0x7f800001
	s_mov_b32 s21, exec_lo
	s_delay_alu instid0(VALU_DEP_2)
	v_cmpx_ne_u32_e32 0x7f, v145
	s_cbranch_execz .LBB394_88
; %bb.85:                               ;   in Loop: Header=BB394_10 Depth=1
	v_and_b32_e32 v8, 7, v144
	v_lshrrev_b32_e32 v135, 3, v145
	s_mov_b32 s22, exec_lo
	v_cmpx_gt_u32_e32 8, v145
; %bb.86:                               ;   in Loop: Header=BB394_10 Depth=1
	s_delay_alu instid0(VALU_DEP_3) | instskip(NEXT) | instid1(VALU_DEP_1)
	v_clz_i32_u32_e32 v135, v8
	v_min_u32_e32 v135, 32, v135
	s_delay_alu instid0(VALU_DEP_1) | instskip(SKIP_1) | instid1(VALU_DEP_2)
	v_subrev_nc_u32_e32 v145, 28, v135
	v_sub_nc_u32_e32 v135, 29, v135
	v_lshlrev_b64 v[145:146], v145, v[8:9]
	s_delay_alu instid0(VALU_DEP_1)
	v_and_b32_e32 v8, 7, v145
; %bb.87:                               ;   in Loop: Header=BB394_10 Depth=1
	s_or_b32 exec_lo, exec_lo, s22
	v_lshlrev_b32_e32 v145, 24, v144
	s_delay_alu instid0(VALU_DEP_2) | instskip(SKIP_1) | instid1(VALU_DEP_3)
	v_lshlrev_b32_e32 v8, 20, v8
	v_lshl_add_u32 v135, v135, 23, 0x3c000000
	v_and_b32_e32 v145, 0x80000000, v145
	s_delay_alu instid0(VALU_DEP_1)
	v_or3_b32 v8, v8, v145, v135
.LBB394_88:                             ;   in Loop: Header=BB394_10 Depth=1
	s_or_b32 exec_lo, exec_lo, s21
.LBB394_89:                             ;   in Loop: Header=BB394_10 Depth=1
	s_delay_alu instid0(SALU_CYCLE_1)
	s_or_b32 exec_lo, exec_lo, s20
.LBB394_90:                             ;   in Loop: Header=BB394_10 Depth=1
	s_delay_alu instid0(SALU_CYCLE_1) | instskip(NEXT) | instid1(VALU_DEP_1)
	s_or_b32 exec_lo, exec_lo, s4
	v_mul_f32_e32 v8, v128, v8
	s_delay_alu instid0(VALU_DEP_1) | instskip(NEXT) | instid1(VALU_DEP_1)
	v_and_b32_e32 v135, 0x7f800000, v8
	v_cmp_ne_u32_e64 s3, 0x7f800000, v135
                                        ; implicit-def: $vgpr135
	s_delay_alu instid0(VALU_DEP_1) | instskip(NEXT) | instid1(SALU_CYCLE_1)
	s_and_saveexec_b32 s4, s3
	s_xor_b32 s3, exec_lo, s4
; %bb.91:                               ;   in Loop: Header=BB394_10 Depth=1
	v_bfe_u32 v135, v8, 16, 1
	s_delay_alu instid0(VALU_DEP_1)
	v_add3_u32 v135, v8, v135, 0x7fff
                                        ; implicit-def: $vgpr8
; %bb.92:                               ;   in Loop: Header=BB394_10 Depth=1
	s_and_not1_saveexec_b32 s4, s3
; %bb.93:                               ;   in Loop: Header=BB394_10 Depth=1
	v_and_b32_e32 v135, 0xffff, v8
	v_or_b32_e32 v145, 0x10000, v8
	s_delay_alu instid0(VALU_DEP_2) | instskip(NEXT) | instid1(VALU_DEP_1)
	v_cmp_eq_u32_e64 s3, 0, v135
	v_cndmask_b32_e64 v135, v145, v8, s3
; %bb.94:                               ;   in Loop: Header=BB394_10 Depth=1
	s_or_b32 exec_lo, exec_lo, s4
	v_lshrrev_b16 v145, 8, v144
	v_mov_b32_e32 v8, 0
	s_mov_b32 s4, exec_lo
	s_delay_alu instid0(VALU_DEP_2)
	v_cmpx_ne_u16_e64 0, v145
	s_cbranch_execz .LBB394_102
; %bb.95:                               ;   in Loop: Header=BB394_10 Depth=1
	v_bfrev_b32_e32 v8, 1
	s_mov_b32 s20, exec_lo
	v_cmpx_ne_u16_e64 0x80, v145
	s_cbranch_execz .LBB394_101
; %bb.96:                               ;   in Loop: Header=BB394_10 Depth=1
	v_and_b32_e32 v145, 0xffff, v145
	v_mov_b32_e32 v8, 0x7f800001
	s_mov_b32 s21, exec_lo
	s_delay_alu instid0(VALU_DEP_2) | instskip(NEXT) | instid1(VALU_DEP_1)
	v_and_b32_e32 v146, 0x7f, v145
	v_cmpx_ne_u32_e32 0x7f, v146
	s_cbranch_execz .LBB394_100
; %bb.97:                               ;   in Loop: Header=BB394_10 Depth=1
	v_and_b32_e32 v8, 7, v145
	v_lshrrev_b32_e32 v145, 3, v146
	s_mov_b32 s22, exec_lo
	v_cmpx_gt_u32_e32 8, v146
; %bb.98:                               ;   in Loop: Header=BB394_10 Depth=1
	s_delay_alu instid0(VALU_DEP_3) | instskip(NEXT) | instid1(VALU_DEP_1)
	v_clz_i32_u32_e32 v145, v8
	v_min_u32_e32 v145, 32, v145
	s_delay_alu instid0(VALU_DEP_1) | instskip(SKIP_1) | instid1(VALU_DEP_2)
	v_subrev_nc_u32_e32 v146, 28, v145
	v_sub_nc_u32_e32 v145, 29, v145
	v_lshlrev_b64 v[146:147], v146, v[8:9]
	s_delay_alu instid0(VALU_DEP_1)
	v_and_b32_e32 v8, 7, v146
; %bb.99:                               ;   in Loop: Header=BB394_10 Depth=1
	s_or_b32 exec_lo, exec_lo, s22
	v_lshlrev_b32_e32 v144, 16, v144
	s_delay_alu instid0(VALU_DEP_2) | instskip(SKIP_1) | instid1(VALU_DEP_3)
	v_lshlrev_b32_e32 v8, 20, v8
	v_lshl_add_u32 v145, v145, 23, 0x3c000000
	v_and_b32_e32 v144, 0x80000000, v144
	s_delay_alu instid0(VALU_DEP_1)
	v_or3_b32 v8, v8, v144, v145
.LBB394_100:                            ;   in Loop: Header=BB394_10 Depth=1
	s_or_b32 exec_lo, exec_lo, s21
.LBB394_101:                            ;   in Loop: Header=BB394_10 Depth=1
	s_delay_alu instid0(SALU_CYCLE_1)
	s_or_b32 exec_lo, exec_lo, s20
.LBB394_102:                            ;   in Loop: Header=BB394_10 Depth=1
	s_delay_alu instid0(SALU_CYCLE_1) | instskip(NEXT) | instid1(VALU_DEP_1)
	s_or_b32 exec_lo, exec_lo, s4
	v_mul_f32_e32 v8, v128, v8
	s_delay_alu instid0(VALU_DEP_1) | instskip(NEXT) | instid1(VALU_DEP_1)
	v_and_b32_e32 v144, 0x7f800000, v8
	v_cmp_ne_u32_e64 s3, 0x7f800000, v144
                                        ; implicit-def: $vgpr144
	s_delay_alu instid0(VALU_DEP_1) | instskip(NEXT) | instid1(SALU_CYCLE_1)
	s_and_saveexec_b32 s4, s3
	s_xor_b32 s3, exec_lo, s4
; %bb.103:                              ;   in Loop: Header=BB394_10 Depth=1
	v_bfe_u32 v144, v8, 16, 1
	s_delay_alu instid0(VALU_DEP_1)
	v_add3_u32 v144, v8, v144, 0x7fff
                                        ; implicit-def: $vgpr8
; %bb.104:                              ;   in Loop: Header=BB394_10 Depth=1
	s_and_not1_saveexec_b32 s4, s3
; %bb.105:                              ;   in Loop: Header=BB394_10 Depth=1
	v_and_b32_e32 v144, 0xffff, v8
	v_or_b32_e32 v145, 0x10000, v8
	s_delay_alu instid0(VALU_DEP_2) | instskip(NEXT) | instid1(VALU_DEP_1)
	v_cmp_eq_u32_e64 s3, 0, v144
	v_cndmask_b32_e64 v144, v145, v8, s3
; %bb.106:                              ;   in Loop: Header=BB394_10 Depth=1
	s_or_b32 exec_lo, exec_lo, s4
	flat_load_u16 v8, v[28:29] offset:256
	s_mov_b32 s4, exec_lo
	s_waitcnt vmcnt(0) lgkmcnt(0)
	v_and_b32_e32 v145, 0xff, v8
	v_and_b32_e32 v146, 0xffff, v8
	v_mov_b32_e32 v8, 0
	s_delay_alu instid0(VALU_DEP_3)
	v_cmpx_ne_u16_e64 0, v145
	s_cbranch_execz .LBB394_114
; %bb.107:                              ;   in Loop: Header=BB394_10 Depth=1
	s_delay_alu instid0(VALU_DEP_3) | instskip(NEXT) | instid1(VALU_DEP_1)
	v_and_b32_e32 v8, 0xff, v146
	v_cmp_ne_u16_e64 s3, 0x80, v8
	v_bfrev_b32_e32 v8, 1
	s_delay_alu instid0(VALU_DEP_2)
	s_and_saveexec_b32 s20, s3
	s_cbranch_execz .LBB394_113
; %bb.108:                              ;   in Loop: Header=BB394_10 Depth=1
	v_and_b32_e32 v147, 0x7f, v146
	v_mov_b32_e32 v8, 0x7f800001
	s_mov_b32 s21, exec_lo
	s_delay_alu instid0(VALU_DEP_2)
	v_cmpx_ne_u32_e32 0x7f, v147
	s_cbranch_execz .LBB394_112
; %bb.109:                              ;   in Loop: Header=BB394_10 Depth=1
	v_and_b32_e32 v8, 7, v146
	v_lshrrev_b32_e32 v145, 3, v147
	s_mov_b32 s22, exec_lo
	v_cmpx_gt_u32_e32 8, v147
; %bb.110:                              ;   in Loop: Header=BB394_10 Depth=1
	s_delay_alu instid0(VALU_DEP_3) | instskip(NEXT) | instid1(VALU_DEP_1)
	v_clz_i32_u32_e32 v145, v8
	v_min_u32_e32 v145, 32, v145
	s_delay_alu instid0(VALU_DEP_1) | instskip(SKIP_1) | instid1(VALU_DEP_2)
	v_subrev_nc_u32_e32 v147, 28, v145
	v_sub_nc_u32_e32 v145, 29, v145
	v_lshlrev_b64 v[147:148], v147, v[8:9]
	s_delay_alu instid0(VALU_DEP_1)
	v_and_b32_e32 v8, 7, v147
; %bb.111:                              ;   in Loop: Header=BB394_10 Depth=1
	s_or_b32 exec_lo, exec_lo, s22
	v_lshlrev_b32_e32 v147, 24, v146
	s_delay_alu instid0(VALU_DEP_2) | instskip(SKIP_1) | instid1(VALU_DEP_3)
	v_lshlrev_b32_e32 v8, 20, v8
	v_lshl_add_u32 v145, v145, 23, 0x3c000000
	v_and_b32_e32 v147, 0x80000000, v147
	s_delay_alu instid0(VALU_DEP_1)
	v_or3_b32 v8, v8, v147, v145
.LBB394_112:                            ;   in Loop: Header=BB394_10 Depth=1
	s_or_b32 exec_lo, exec_lo, s21
.LBB394_113:                            ;   in Loop: Header=BB394_10 Depth=1
	s_delay_alu instid0(SALU_CYCLE_1)
	s_or_b32 exec_lo, exec_lo, s20
.LBB394_114:                            ;   in Loop: Header=BB394_10 Depth=1
	s_delay_alu instid0(SALU_CYCLE_1) | instskip(NEXT) | instid1(VALU_DEP_1)
	s_or_b32 exec_lo, exec_lo, s4
	v_mul_f32_e32 v8, v128, v8
	s_delay_alu instid0(VALU_DEP_1) | instskip(NEXT) | instid1(VALU_DEP_1)
	v_and_b32_e32 v145, 0x7f800000, v8
	v_cmp_ne_u32_e64 s3, 0x7f800000, v145
                                        ; implicit-def: $vgpr145
	s_delay_alu instid0(VALU_DEP_1) | instskip(NEXT) | instid1(SALU_CYCLE_1)
	s_and_saveexec_b32 s4, s3
	s_xor_b32 s3, exec_lo, s4
; %bb.115:                              ;   in Loop: Header=BB394_10 Depth=1
	v_bfe_u32 v145, v8, 16, 1
	s_delay_alu instid0(VALU_DEP_1)
	v_add3_u32 v145, v8, v145, 0x7fff
                                        ; implicit-def: $vgpr8
; %bb.116:                              ;   in Loop: Header=BB394_10 Depth=1
	s_and_not1_saveexec_b32 s4, s3
; %bb.117:                              ;   in Loop: Header=BB394_10 Depth=1
	v_and_b32_e32 v145, 0xffff, v8
	v_or_b32_e32 v147, 0x10000, v8
	s_delay_alu instid0(VALU_DEP_2) | instskip(NEXT) | instid1(VALU_DEP_1)
	v_cmp_eq_u32_e64 s3, 0, v145
	v_cndmask_b32_e64 v145, v147, v8, s3
; %bb.118:                              ;   in Loop: Header=BB394_10 Depth=1
	s_or_b32 exec_lo, exec_lo, s4
	v_lshrrev_b16 v147, 8, v146
	v_mov_b32_e32 v8, 0
	s_mov_b32 s4, exec_lo
	s_delay_alu instid0(VALU_DEP_2)
	v_cmpx_ne_u16_e64 0, v147
	s_cbranch_execz .LBB394_126
; %bb.119:                              ;   in Loop: Header=BB394_10 Depth=1
	v_bfrev_b32_e32 v8, 1
	s_mov_b32 s20, exec_lo
	v_cmpx_ne_u16_e64 0x80, v147
	s_cbranch_execz .LBB394_125
; %bb.120:                              ;   in Loop: Header=BB394_10 Depth=1
	v_and_b32_e32 v147, 0xffff, v147
	v_mov_b32_e32 v8, 0x7f800001
	s_mov_b32 s21, exec_lo
	s_delay_alu instid0(VALU_DEP_2) | instskip(NEXT) | instid1(VALU_DEP_1)
	v_and_b32_e32 v148, 0x7f, v147
	v_cmpx_ne_u32_e32 0x7f, v148
	s_cbranch_execz .LBB394_124
; %bb.121:                              ;   in Loop: Header=BB394_10 Depth=1
	v_and_b32_e32 v8, 7, v147
	v_lshrrev_b32_e32 v147, 3, v148
	s_mov_b32 s22, exec_lo
	v_cmpx_gt_u32_e32 8, v148
; %bb.122:                              ;   in Loop: Header=BB394_10 Depth=1
	s_delay_alu instid0(VALU_DEP_3) | instskip(NEXT) | instid1(VALU_DEP_1)
	v_clz_i32_u32_e32 v147, v8
	v_min_u32_e32 v147, 32, v147
	s_delay_alu instid0(VALU_DEP_1) | instskip(SKIP_1) | instid1(VALU_DEP_2)
	v_subrev_nc_u32_e32 v148, 28, v147
	v_sub_nc_u32_e32 v147, 29, v147
	v_lshlrev_b64 v[148:149], v148, v[8:9]
	s_delay_alu instid0(VALU_DEP_1)
	v_and_b32_e32 v8, 7, v148
; %bb.123:                              ;   in Loop: Header=BB394_10 Depth=1
	s_or_b32 exec_lo, exec_lo, s22
	v_lshlrev_b32_e32 v146, 16, v146
	s_delay_alu instid0(VALU_DEP_2) | instskip(SKIP_1) | instid1(VALU_DEP_3)
	v_lshlrev_b32_e32 v8, 20, v8
	v_lshl_add_u32 v147, v147, 23, 0x3c000000
	v_and_b32_e32 v146, 0x80000000, v146
	s_delay_alu instid0(VALU_DEP_1)
	v_or3_b32 v8, v8, v146, v147
.LBB394_124:                            ;   in Loop: Header=BB394_10 Depth=1
	s_or_b32 exec_lo, exec_lo, s21
.LBB394_125:                            ;   in Loop: Header=BB394_10 Depth=1
	s_delay_alu instid0(SALU_CYCLE_1)
	s_or_b32 exec_lo, exec_lo, s20
.LBB394_126:                            ;   in Loop: Header=BB394_10 Depth=1
	s_delay_alu instid0(SALU_CYCLE_1) | instskip(NEXT) | instid1(VALU_DEP_1)
	s_or_b32 exec_lo, exec_lo, s4
	v_mul_f32_e32 v8, v128, v8
	s_delay_alu instid0(VALU_DEP_1) | instskip(NEXT) | instid1(VALU_DEP_1)
	v_and_b32_e32 v146, 0x7f800000, v8
	v_cmp_ne_u32_e64 s3, 0x7f800000, v146
                                        ; implicit-def: $vgpr146
	s_delay_alu instid0(VALU_DEP_1) | instskip(NEXT) | instid1(SALU_CYCLE_1)
	s_and_saveexec_b32 s4, s3
	s_xor_b32 s3, exec_lo, s4
; %bb.127:                              ;   in Loop: Header=BB394_10 Depth=1
	v_bfe_u32 v146, v8, 16, 1
	s_delay_alu instid0(VALU_DEP_1)
	v_add3_u32 v146, v8, v146, 0x7fff
                                        ; implicit-def: $vgpr8
; %bb.128:                              ;   in Loop: Header=BB394_10 Depth=1
	s_and_not1_saveexec_b32 s4, s3
; %bb.129:                              ;   in Loop: Header=BB394_10 Depth=1
	v_and_b32_e32 v146, 0xffff, v8
	v_or_b32_e32 v147, 0x10000, v8
	s_delay_alu instid0(VALU_DEP_2) | instskip(NEXT) | instid1(VALU_DEP_1)
	v_cmp_eq_u32_e64 s3, 0, v146
	v_cndmask_b32_e64 v146, v147, v8, s3
; %bb.130:                              ;   in Loop: Header=BB394_10 Depth=1
	s_or_b32 exec_lo, exec_lo, s4
	flat_load_u16 v8, v[28:29] offset:264
	s_mov_b32 s4, exec_lo
	s_waitcnt vmcnt(0) lgkmcnt(0)
	v_and_b32_e32 v147, 0xff, v8
	v_and_b32_e32 v148, 0xffff, v8
	v_mov_b32_e32 v8, 0
	s_delay_alu instid0(VALU_DEP_3)
	v_cmpx_ne_u16_e64 0, v147
	s_cbranch_execz .LBB394_138
; %bb.131:                              ;   in Loop: Header=BB394_10 Depth=1
	s_delay_alu instid0(VALU_DEP_3) | instskip(NEXT) | instid1(VALU_DEP_1)
	v_and_b32_e32 v8, 0xff, v148
	v_cmp_ne_u16_e64 s3, 0x80, v8
	v_bfrev_b32_e32 v8, 1
	s_delay_alu instid0(VALU_DEP_2)
	s_and_saveexec_b32 s20, s3
	s_cbranch_execz .LBB394_137
; %bb.132:                              ;   in Loop: Header=BB394_10 Depth=1
	v_and_b32_e32 v149, 0x7f, v148
	v_mov_b32_e32 v8, 0x7f800001
	s_mov_b32 s21, exec_lo
	s_delay_alu instid0(VALU_DEP_2)
	v_cmpx_ne_u32_e32 0x7f, v149
	s_cbranch_execz .LBB394_136
; %bb.133:                              ;   in Loop: Header=BB394_10 Depth=1
	v_and_b32_e32 v8, 7, v148
	v_lshrrev_b32_e32 v147, 3, v149
	s_mov_b32 s22, exec_lo
	v_cmpx_gt_u32_e32 8, v149
; %bb.134:                              ;   in Loop: Header=BB394_10 Depth=1
	s_delay_alu instid0(VALU_DEP_3) | instskip(NEXT) | instid1(VALU_DEP_1)
	v_clz_i32_u32_e32 v147, v8
	v_min_u32_e32 v147, 32, v147
	s_delay_alu instid0(VALU_DEP_1) | instskip(SKIP_1) | instid1(VALU_DEP_2)
	v_subrev_nc_u32_e32 v149, 28, v147
	v_sub_nc_u32_e32 v147, 29, v147
	v_lshlrev_b64 v[149:150], v149, v[8:9]
	s_delay_alu instid0(VALU_DEP_1)
	v_and_b32_e32 v8, 7, v149
; %bb.135:                              ;   in Loop: Header=BB394_10 Depth=1
	s_or_b32 exec_lo, exec_lo, s22
	v_lshlrev_b32_e32 v149, 24, v148
	s_delay_alu instid0(VALU_DEP_2) | instskip(SKIP_1) | instid1(VALU_DEP_3)
	v_lshlrev_b32_e32 v8, 20, v8
	v_lshl_add_u32 v147, v147, 23, 0x3c000000
	v_and_b32_e32 v149, 0x80000000, v149
	s_delay_alu instid0(VALU_DEP_1)
	v_or3_b32 v8, v8, v149, v147
.LBB394_136:                            ;   in Loop: Header=BB394_10 Depth=1
	s_or_b32 exec_lo, exec_lo, s21
.LBB394_137:                            ;   in Loop: Header=BB394_10 Depth=1
	s_delay_alu instid0(SALU_CYCLE_1)
	s_or_b32 exec_lo, exec_lo, s20
.LBB394_138:                            ;   in Loop: Header=BB394_10 Depth=1
	s_delay_alu instid0(SALU_CYCLE_1) | instskip(NEXT) | instid1(VALU_DEP_1)
	s_or_b32 exec_lo, exec_lo, s4
	v_mul_f32_e32 v8, v128, v8
	s_delay_alu instid0(VALU_DEP_1) | instskip(NEXT) | instid1(VALU_DEP_1)
	v_and_b32_e32 v147, 0x7f800000, v8
	v_cmp_ne_u32_e64 s3, 0x7f800000, v147
                                        ; implicit-def: $vgpr147
	s_delay_alu instid0(VALU_DEP_1) | instskip(NEXT) | instid1(SALU_CYCLE_1)
	s_and_saveexec_b32 s4, s3
	s_xor_b32 s3, exec_lo, s4
; %bb.139:                              ;   in Loop: Header=BB394_10 Depth=1
	v_bfe_u32 v147, v8, 16, 1
	s_delay_alu instid0(VALU_DEP_1)
	v_add3_u32 v147, v8, v147, 0x7fff
                                        ; implicit-def: $vgpr8
; %bb.140:                              ;   in Loop: Header=BB394_10 Depth=1
	s_and_not1_saveexec_b32 s4, s3
; %bb.141:                              ;   in Loop: Header=BB394_10 Depth=1
	v_and_b32_e32 v147, 0xffff, v8
	v_or_b32_e32 v149, 0x10000, v8
	s_delay_alu instid0(VALU_DEP_2) | instskip(NEXT) | instid1(VALU_DEP_1)
	v_cmp_eq_u32_e64 s3, 0, v147
	v_cndmask_b32_e64 v147, v149, v8, s3
; %bb.142:                              ;   in Loop: Header=BB394_10 Depth=1
	s_or_b32 exec_lo, exec_lo, s4
	v_lshrrev_b16 v149, 8, v148
	v_mov_b32_e32 v8, 0
	s_mov_b32 s4, exec_lo
	s_delay_alu instid0(VALU_DEP_2)
	v_cmpx_ne_u16_e64 0, v149
	s_cbranch_execz .LBB394_150
; %bb.143:                              ;   in Loop: Header=BB394_10 Depth=1
	v_bfrev_b32_e32 v8, 1
	s_mov_b32 s20, exec_lo
	v_cmpx_ne_u16_e64 0x80, v149
	s_cbranch_execz .LBB394_149
; %bb.144:                              ;   in Loop: Header=BB394_10 Depth=1
	v_and_b32_e32 v149, 0xffff, v149
	v_mov_b32_e32 v8, 0x7f800001
	s_mov_b32 s21, exec_lo
	s_delay_alu instid0(VALU_DEP_2) | instskip(NEXT) | instid1(VALU_DEP_1)
	v_and_b32_e32 v150, 0x7f, v149
	v_cmpx_ne_u32_e32 0x7f, v150
	s_cbranch_execz .LBB394_148
; %bb.145:                              ;   in Loop: Header=BB394_10 Depth=1
	v_and_b32_e32 v8, 7, v149
	v_lshrrev_b32_e32 v149, 3, v150
	s_mov_b32 s22, exec_lo
	v_cmpx_gt_u32_e32 8, v150
; %bb.146:                              ;   in Loop: Header=BB394_10 Depth=1
	s_delay_alu instid0(VALU_DEP_3) | instskip(NEXT) | instid1(VALU_DEP_1)
	v_clz_i32_u32_e32 v149, v8
	v_min_u32_e32 v149, 32, v149
	s_delay_alu instid0(VALU_DEP_1) | instskip(SKIP_1) | instid1(VALU_DEP_2)
	v_subrev_nc_u32_e32 v150, 28, v149
	v_sub_nc_u32_e32 v149, 29, v149
	v_lshlrev_b64 v[150:151], v150, v[8:9]
	s_delay_alu instid0(VALU_DEP_1)
	v_and_b32_e32 v8, 7, v150
; %bb.147:                              ;   in Loop: Header=BB394_10 Depth=1
	s_or_b32 exec_lo, exec_lo, s22
	v_lshlrev_b32_e32 v148, 16, v148
	s_delay_alu instid0(VALU_DEP_2) | instskip(SKIP_1) | instid1(VALU_DEP_3)
	v_lshlrev_b32_e32 v8, 20, v8
	v_lshl_add_u32 v149, v149, 23, 0x3c000000
	v_and_b32_e32 v148, 0x80000000, v148
	s_delay_alu instid0(VALU_DEP_1)
	v_or3_b32 v8, v8, v148, v149
.LBB394_148:                            ;   in Loop: Header=BB394_10 Depth=1
	s_or_b32 exec_lo, exec_lo, s21
.LBB394_149:                            ;   in Loop: Header=BB394_10 Depth=1
	s_delay_alu instid0(SALU_CYCLE_1)
	s_or_b32 exec_lo, exec_lo, s20
.LBB394_150:                            ;   in Loop: Header=BB394_10 Depth=1
	s_delay_alu instid0(SALU_CYCLE_1) | instskip(NEXT) | instid1(VALU_DEP_1)
	s_or_b32 exec_lo, exec_lo, s4
	v_mul_f32_e32 v8, v128, v8
	s_delay_alu instid0(VALU_DEP_1) | instskip(NEXT) | instid1(VALU_DEP_1)
	v_and_b32_e32 v148, 0x7f800000, v8
	v_cmp_ne_u32_e64 s3, 0x7f800000, v148
                                        ; implicit-def: $vgpr148
	s_delay_alu instid0(VALU_DEP_1) | instskip(NEXT) | instid1(SALU_CYCLE_1)
	s_and_saveexec_b32 s4, s3
	s_xor_b32 s3, exec_lo, s4
; %bb.151:                              ;   in Loop: Header=BB394_10 Depth=1
	v_bfe_u32 v148, v8, 16, 1
	s_delay_alu instid0(VALU_DEP_1)
	v_add3_u32 v148, v8, v148, 0x7fff
                                        ; implicit-def: $vgpr8
; %bb.152:                              ;   in Loop: Header=BB394_10 Depth=1
	s_and_not1_saveexec_b32 s4, s3
; %bb.153:                              ;   in Loop: Header=BB394_10 Depth=1
	v_and_b32_e32 v148, 0xffff, v8
	v_or_b32_e32 v149, 0x10000, v8
	s_delay_alu instid0(VALU_DEP_2) | instskip(NEXT) | instid1(VALU_DEP_1)
	v_cmp_eq_u32_e64 s3, 0, v148
	v_cndmask_b32_e64 v148, v149, v8, s3
; %bb.154:                              ;   in Loop: Header=BB394_10 Depth=1
	s_or_b32 exec_lo, exec_lo, s4
	flat_load_u16 v8, v[28:29] offset:384
	s_mov_b32 s4, exec_lo
	s_waitcnt vmcnt(0) lgkmcnt(0)
	v_and_b32_e32 v149, 0xff, v8
	v_and_b32_e32 v150, 0xffff, v8
	v_mov_b32_e32 v8, 0
	s_delay_alu instid0(VALU_DEP_3)
	v_cmpx_ne_u16_e64 0, v149
	s_cbranch_execz .LBB394_162
; %bb.155:                              ;   in Loop: Header=BB394_10 Depth=1
	s_delay_alu instid0(VALU_DEP_3) | instskip(NEXT) | instid1(VALU_DEP_1)
	v_and_b32_e32 v8, 0xff, v150
	v_cmp_ne_u16_e64 s3, 0x80, v8
	v_bfrev_b32_e32 v8, 1
	s_delay_alu instid0(VALU_DEP_2)
	s_and_saveexec_b32 s20, s3
	s_cbranch_execz .LBB394_161
; %bb.156:                              ;   in Loop: Header=BB394_10 Depth=1
	v_and_b32_e32 v151, 0x7f, v150
	v_mov_b32_e32 v8, 0x7f800001
	s_mov_b32 s21, exec_lo
	s_delay_alu instid0(VALU_DEP_2)
	v_cmpx_ne_u32_e32 0x7f, v151
	s_cbranch_execz .LBB394_160
; %bb.157:                              ;   in Loop: Header=BB394_10 Depth=1
	v_and_b32_e32 v8, 7, v150
	v_lshrrev_b32_e32 v149, 3, v151
	s_mov_b32 s22, exec_lo
	v_cmpx_gt_u32_e32 8, v151
; %bb.158:                              ;   in Loop: Header=BB394_10 Depth=1
	s_delay_alu instid0(VALU_DEP_3) | instskip(NEXT) | instid1(VALU_DEP_1)
	v_clz_i32_u32_e32 v149, v8
	v_min_u32_e32 v149, 32, v149
	s_delay_alu instid0(VALU_DEP_1) | instskip(SKIP_1) | instid1(VALU_DEP_2)
	v_subrev_nc_u32_e32 v151, 28, v149
	v_sub_nc_u32_e32 v149, 29, v149
	v_lshlrev_b64 v[160:161], v151, v[8:9]
	s_delay_alu instid0(VALU_DEP_1)
	v_and_b32_e32 v8, 7, v160
; %bb.159:                              ;   in Loop: Header=BB394_10 Depth=1
	s_or_b32 exec_lo, exec_lo, s22
	v_lshlrev_b32_e32 v151, 24, v150
	s_delay_alu instid0(VALU_DEP_2) | instskip(SKIP_1) | instid1(VALU_DEP_3)
	v_lshlrev_b32_e32 v8, 20, v8
	v_lshl_add_u32 v149, v149, 23, 0x3c000000
	v_and_b32_e32 v151, 0x80000000, v151
	s_delay_alu instid0(VALU_DEP_1)
	v_or3_b32 v8, v8, v151, v149
.LBB394_160:                            ;   in Loop: Header=BB394_10 Depth=1
	s_or_b32 exec_lo, exec_lo, s21
.LBB394_161:                            ;   in Loop: Header=BB394_10 Depth=1
	s_delay_alu instid0(SALU_CYCLE_1)
	s_or_b32 exec_lo, exec_lo, s20
.LBB394_162:                            ;   in Loop: Header=BB394_10 Depth=1
	s_delay_alu instid0(SALU_CYCLE_1) | instskip(NEXT) | instid1(VALU_DEP_1)
	s_or_b32 exec_lo, exec_lo, s4
	v_mul_f32_e32 v8, v128, v8
	s_delay_alu instid0(VALU_DEP_1) | instskip(NEXT) | instid1(VALU_DEP_1)
	v_and_b32_e32 v149, 0x7f800000, v8
	v_cmp_ne_u32_e64 s3, 0x7f800000, v149
                                        ; implicit-def: $vgpr149
	s_delay_alu instid0(VALU_DEP_1) | instskip(NEXT) | instid1(SALU_CYCLE_1)
	s_and_saveexec_b32 s4, s3
	s_xor_b32 s3, exec_lo, s4
; %bb.163:                              ;   in Loop: Header=BB394_10 Depth=1
	v_bfe_u32 v149, v8, 16, 1
	s_delay_alu instid0(VALU_DEP_1)
	v_add3_u32 v149, v8, v149, 0x7fff
                                        ; implicit-def: $vgpr8
; %bb.164:                              ;   in Loop: Header=BB394_10 Depth=1
	s_and_not1_saveexec_b32 s4, s3
; %bb.165:                              ;   in Loop: Header=BB394_10 Depth=1
	v_and_b32_e32 v149, 0xffff, v8
	v_or_b32_e32 v151, 0x10000, v8
	s_delay_alu instid0(VALU_DEP_2) | instskip(NEXT) | instid1(VALU_DEP_1)
	v_cmp_eq_u32_e64 s3, 0, v149
	v_cndmask_b32_e64 v149, v151, v8, s3
; %bb.166:                              ;   in Loop: Header=BB394_10 Depth=1
	s_or_b32 exec_lo, exec_lo, s4
	v_lshrrev_b16 v151, 8, v150
	v_mov_b32_e32 v8, 0
	s_mov_b32 s4, exec_lo
	s_delay_alu instid0(VALU_DEP_2)
	v_cmpx_ne_u16_e64 0, v151
	s_cbranch_execz .LBB394_174
; %bb.167:                              ;   in Loop: Header=BB394_10 Depth=1
	v_bfrev_b32_e32 v8, 1
	s_mov_b32 s20, exec_lo
	v_cmpx_ne_u16_e64 0x80, v151
	s_cbranch_execz .LBB394_173
; %bb.168:                              ;   in Loop: Header=BB394_10 Depth=1
	v_and_b32_e32 v151, 0xffff, v151
	v_mov_b32_e32 v8, 0x7f800001
	s_mov_b32 s21, exec_lo
	s_delay_alu instid0(VALU_DEP_2) | instskip(NEXT) | instid1(VALU_DEP_1)
	v_and_b32_e32 v160, 0x7f, v151
	v_cmpx_ne_u32_e32 0x7f, v160
	s_cbranch_execz .LBB394_172
; %bb.169:                              ;   in Loop: Header=BB394_10 Depth=1
	v_and_b32_e32 v8, 7, v151
	v_lshrrev_b32_e32 v151, 3, v160
	s_mov_b32 s22, exec_lo
	v_cmpx_gt_u32_e32 8, v160
; %bb.170:                              ;   in Loop: Header=BB394_10 Depth=1
	s_delay_alu instid0(VALU_DEP_3) | instskip(NEXT) | instid1(VALU_DEP_1)
	v_clz_i32_u32_e32 v151, v8
	v_min_u32_e32 v151, 32, v151
	s_delay_alu instid0(VALU_DEP_1) | instskip(SKIP_1) | instid1(VALU_DEP_2)
	v_subrev_nc_u32_e32 v160, 28, v151
	v_sub_nc_u32_e32 v151, 29, v151
	v_lshlrev_b64 v[160:161], v160, v[8:9]
	s_delay_alu instid0(VALU_DEP_1)
	v_and_b32_e32 v8, 7, v160
; %bb.171:                              ;   in Loop: Header=BB394_10 Depth=1
	s_or_b32 exec_lo, exec_lo, s22
	v_lshlrev_b32_e32 v150, 16, v150
	s_delay_alu instid0(VALU_DEP_2) | instskip(SKIP_1) | instid1(VALU_DEP_3)
	v_lshlrev_b32_e32 v8, 20, v8
	v_lshl_add_u32 v151, v151, 23, 0x3c000000
	v_and_b32_e32 v150, 0x80000000, v150
	s_delay_alu instid0(VALU_DEP_1)
	v_or3_b32 v8, v8, v150, v151
.LBB394_172:                            ;   in Loop: Header=BB394_10 Depth=1
	s_or_b32 exec_lo, exec_lo, s21
.LBB394_173:                            ;   in Loop: Header=BB394_10 Depth=1
	s_delay_alu instid0(SALU_CYCLE_1)
	s_or_b32 exec_lo, exec_lo, s20
.LBB394_174:                            ;   in Loop: Header=BB394_10 Depth=1
	s_delay_alu instid0(SALU_CYCLE_1) | instskip(NEXT) | instid1(VALU_DEP_1)
	s_or_b32 exec_lo, exec_lo, s4
	v_mul_f32_e32 v8, v128, v8
	s_delay_alu instid0(VALU_DEP_1) | instskip(NEXT) | instid1(VALU_DEP_1)
	v_and_b32_e32 v150, 0x7f800000, v8
	v_cmp_ne_u32_e64 s3, 0x7f800000, v150
                                        ; implicit-def: $vgpr150
	s_delay_alu instid0(VALU_DEP_1) | instskip(NEXT) | instid1(SALU_CYCLE_1)
	s_and_saveexec_b32 s4, s3
	s_xor_b32 s3, exec_lo, s4
; %bb.175:                              ;   in Loop: Header=BB394_10 Depth=1
	v_bfe_u32 v150, v8, 16, 1
	s_delay_alu instid0(VALU_DEP_1)
	v_add3_u32 v150, v8, v150, 0x7fff
                                        ; implicit-def: $vgpr8
; %bb.176:                              ;   in Loop: Header=BB394_10 Depth=1
	s_and_not1_saveexec_b32 s4, s3
; %bb.177:                              ;   in Loop: Header=BB394_10 Depth=1
	v_and_b32_e32 v150, 0xffff, v8
	v_or_b32_e32 v151, 0x10000, v8
	s_delay_alu instid0(VALU_DEP_2) | instskip(NEXT) | instid1(VALU_DEP_1)
	v_cmp_eq_u32_e64 s3, 0, v150
	v_cndmask_b32_e64 v150, v151, v8, s3
; %bb.178:                              ;   in Loop: Header=BB394_10 Depth=1
	s_or_b32 exec_lo, exec_lo, s4
	flat_load_u16 v8, v[28:29] offset:392
	s_mov_b32 s4, exec_lo
	s_waitcnt vmcnt(0) lgkmcnt(0)
	v_and_b32_e32 v151, 0xff, v8
	v_and_b32_e32 v160, 0xffff, v8
	v_mov_b32_e32 v8, 0
	s_delay_alu instid0(VALU_DEP_3)
	v_cmpx_ne_u16_e64 0, v151
	s_cbranch_execz .LBB394_186
; %bb.179:                              ;   in Loop: Header=BB394_10 Depth=1
	s_delay_alu instid0(VALU_DEP_3) | instskip(NEXT) | instid1(VALU_DEP_1)
	v_and_b32_e32 v8, 0xff, v160
	v_cmp_ne_u16_e64 s3, 0x80, v8
	v_bfrev_b32_e32 v8, 1
	s_delay_alu instid0(VALU_DEP_2)
	s_and_saveexec_b32 s20, s3
	s_cbranch_execz .LBB394_185
; %bb.180:                              ;   in Loop: Header=BB394_10 Depth=1
	v_and_b32_e32 v161, 0x7f, v160
	v_mov_b32_e32 v8, 0x7f800001
	s_mov_b32 s21, exec_lo
	s_delay_alu instid0(VALU_DEP_2)
	v_cmpx_ne_u32_e32 0x7f, v161
	s_cbranch_execz .LBB394_184
; %bb.181:                              ;   in Loop: Header=BB394_10 Depth=1
	v_and_b32_e32 v8, 7, v160
	v_lshrrev_b32_e32 v151, 3, v161
	s_mov_b32 s22, exec_lo
	v_cmpx_gt_u32_e32 8, v161
; %bb.182:                              ;   in Loop: Header=BB394_10 Depth=1
	s_delay_alu instid0(VALU_DEP_3) | instskip(NEXT) | instid1(VALU_DEP_1)
	v_clz_i32_u32_e32 v151, v8
	v_min_u32_e32 v151, 32, v151
	s_delay_alu instid0(VALU_DEP_1) | instskip(SKIP_1) | instid1(VALU_DEP_2)
	v_subrev_nc_u32_e32 v161, 28, v151
	v_sub_nc_u32_e32 v151, 29, v151
	v_lshlrev_b64 v[161:162], v161, v[8:9]
	s_delay_alu instid0(VALU_DEP_1)
	v_and_b32_e32 v8, 7, v161
; %bb.183:                              ;   in Loop: Header=BB394_10 Depth=1
	s_or_b32 exec_lo, exec_lo, s22
	v_lshlrev_b32_e32 v161, 24, v160
	s_delay_alu instid0(VALU_DEP_2) | instskip(SKIP_1) | instid1(VALU_DEP_3)
	v_lshlrev_b32_e32 v8, 20, v8
	v_lshl_add_u32 v151, v151, 23, 0x3c000000
	v_and_b32_e32 v161, 0x80000000, v161
	s_delay_alu instid0(VALU_DEP_1)
	v_or3_b32 v8, v8, v161, v151
.LBB394_184:                            ;   in Loop: Header=BB394_10 Depth=1
	s_or_b32 exec_lo, exec_lo, s21
.LBB394_185:                            ;   in Loop: Header=BB394_10 Depth=1
	s_delay_alu instid0(SALU_CYCLE_1)
	s_or_b32 exec_lo, exec_lo, s20
.LBB394_186:                            ;   in Loop: Header=BB394_10 Depth=1
	s_delay_alu instid0(SALU_CYCLE_1) | instskip(NEXT) | instid1(VALU_DEP_1)
	s_or_b32 exec_lo, exec_lo, s4
	v_mul_f32_e32 v8, v128, v8
	s_delay_alu instid0(VALU_DEP_1) | instskip(NEXT) | instid1(VALU_DEP_1)
	v_and_b32_e32 v151, 0x7f800000, v8
	v_cmp_ne_u32_e64 s3, 0x7f800000, v151
                                        ; implicit-def: $vgpr151
	s_delay_alu instid0(VALU_DEP_1) | instskip(NEXT) | instid1(SALU_CYCLE_1)
	s_and_saveexec_b32 s4, s3
	s_xor_b32 s3, exec_lo, s4
; %bb.187:                              ;   in Loop: Header=BB394_10 Depth=1
	v_bfe_u32 v151, v8, 16, 1
	s_delay_alu instid0(VALU_DEP_1)
	v_add3_u32 v151, v8, v151, 0x7fff
                                        ; implicit-def: $vgpr8
; %bb.188:                              ;   in Loop: Header=BB394_10 Depth=1
	s_and_not1_saveexec_b32 s4, s3
; %bb.189:                              ;   in Loop: Header=BB394_10 Depth=1
	v_and_b32_e32 v151, 0xffff, v8
	v_or_b32_e32 v161, 0x10000, v8
	s_delay_alu instid0(VALU_DEP_2) | instskip(NEXT) | instid1(VALU_DEP_1)
	v_cmp_eq_u32_e64 s3, 0, v151
	v_cndmask_b32_e64 v151, v161, v8, s3
; %bb.190:                              ;   in Loop: Header=BB394_10 Depth=1
	s_or_b32 exec_lo, exec_lo, s4
	v_lshrrev_b16 v161, 8, v160
	v_mov_b32_e32 v8, 0
	s_mov_b32 s4, exec_lo
	s_delay_alu instid0(VALU_DEP_2)
	v_cmpx_ne_u16_e64 0, v161
	s_cbranch_execz .LBB394_198
; %bb.191:                              ;   in Loop: Header=BB394_10 Depth=1
	v_bfrev_b32_e32 v8, 1
	s_mov_b32 s20, exec_lo
	v_cmpx_ne_u16_e64 0x80, v161
	s_cbranch_execz .LBB394_197
; %bb.192:                              ;   in Loop: Header=BB394_10 Depth=1
	v_and_b32_e32 v161, 0xffff, v161
	v_mov_b32_e32 v8, 0x7f800001
	s_mov_b32 s21, exec_lo
	s_delay_alu instid0(VALU_DEP_2) | instskip(NEXT) | instid1(VALU_DEP_1)
	v_and_b32_e32 v162, 0x7f, v161
	v_cmpx_ne_u32_e32 0x7f, v162
	s_cbranch_execz .LBB394_196
; %bb.193:                              ;   in Loop: Header=BB394_10 Depth=1
	v_and_b32_e32 v8, 7, v161
	v_lshrrev_b32_e32 v161, 3, v162
	s_mov_b32 s22, exec_lo
	v_cmpx_gt_u32_e32 8, v162
; %bb.194:                              ;   in Loop: Header=BB394_10 Depth=1
	s_delay_alu instid0(VALU_DEP_3) | instskip(NEXT) | instid1(VALU_DEP_1)
	v_clz_i32_u32_e32 v161, v8
	v_min_u32_e32 v161, 32, v161
	s_delay_alu instid0(VALU_DEP_1) | instskip(SKIP_1) | instid1(VALU_DEP_2)
	v_subrev_nc_u32_e32 v162, 28, v161
	v_sub_nc_u32_e32 v161, 29, v161
	v_lshlrev_b64 v[162:163], v162, v[8:9]
	s_delay_alu instid0(VALU_DEP_1)
	v_and_b32_e32 v8, 7, v162
; %bb.195:                              ;   in Loop: Header=BB394_10 Depth=1
	s_or_b32 exec_lo, exec_lo, s22
	v_lshlrev_b32_e32 v160, 16, v160
	s_delay_alu instid0(VALU_DEP_2) | instskip(SKIP_1) | instid1(VALU_DEP_3)
	v_lshlrev_b32_e32 v8, 20, v8
	v_lshl_add_u32 v161, v161, 23, 0x3c000000
	v_and_b32_e32 v160, 0x80000000, v160
	s_delay_alu instid0(VALU_DEP_1)
	v_or3_b32 v8, v8, v160, v161
.LBB394_196:                            ;   in Loop: Header=BB394_10 Depth=1
	s_or_b32 exec_lo, exec_lo, s21
.LBB394_197:                            ;   in Loop: Header=BB394_10 Depth=1
	s_delay_alu instid0(SALU_CYCLE_1)
	s_or_b32 exec_lo, exec_lo, s20
.LBB394_198:                            ;   in Loop: Header=BB394_10 Depth=1
	s_delay_alu instid0(SALU_CYCLE_1) | instskip(NEXT) | instid1(VALU_DEP_1)
	s_or_b32 exec_lo, exec_lo, s4
	v_mul_f32_e32 v8, v128, v8
	s_delay_alu instid0(VALU_DEP_1) | instskip(NEXT) | instid1(VALU_DEP_1)
	v_and_b32_e32 v160, 0x7f800000, v8
	v_cmp_ne_u32_e64 s3, 0x7f800000, v160
                                        ; implicit-def: $vgpr160
	s_delay_alu instid0(VALU_DEP_1) | instskip(NEXT) | instid1(SALU_CYCLE_1)
	s_and_saveexec_b32 s4, s3
	s_xor_b32 s3, exec_lo, s4
; %bb.199:                              ;   in Loop: Header=BB394_10 Depth=1
	v_bfe_u32 v160, v8, 16, 1
	s_delay_alu instid0(VALU_DEP_1)
	v_add3_u32 v160, v8, v160, 0x7fff
                                        ; implicit-def: $vgpr8
; %bb.200:                              ;   in Loop: Header=BB394_10 Depth=1
	s_and_not1_saveexec_b32 s4, s3
; %bb.201:                              ;   in Loop: Header=BB394_10 Depth=1
	v_and_b32_e32 v160, 0xffff, v8
	v_or_b32_e32 v161, 0x10000, v8
	s_delay_alu instid0(VALU_DEP_2) | instskip(NEXT) | instid1(VALU_DEP_1)
	v_cmp_eq_u32_e64 s3, 0, v160
	v_cndmask_b32_e64 v160, v161, v8, s3
; %bb.202:                              ;   in Loop: Header=BB394_10 Depth=1
	s_or_b32 exec_lo, exec_lo, s4
	flat_load_u16 v8, v[28:29] offset:512
	s_mov_b32 s4, exec_lo
	s_waitcnt vmcnt(0) lgkmcnt(0)
	v_and_b32_e32 v161, 0xff, v8
	v_and_b32_e32 v162, 0xffff, v8
	v_mov_b32_e32 v8, 0
	s_delay_alu instid0(VALU_DEP_3)
	v_cmpx_ne_u16_e64 0, v161
	s_cbranch_execz .LBB394_210
; %bb.203:                              ;   in Loop: Header=BB394_10 Depth=1
	s_delay_alu instid0(VALU_DEP_3) | instskip(NEXT) | instid1(VALU_DEP_1)
	v_and_b32_e32 v8, 0xff, v162
	v_cmp_ne_u16_e64 s3, 0x80, v8
	v_bfrev_b32_e32 v8, 1
	s_delay_alu instid0(VALU_DEP_2)
	s_and_saveexec_b32 s20, s3
	s_cbranch_execz .LBB394_209
; %bb.204:                              ;   in Loop: Header=BB394_10 Depth=1
	v_and_b32_e32 v163, 0x7f, v162
	v_mov_b32_e32 v8, 0x7f800001
	s_mov_b32 s21, exec_lo
	s_delay_alu instid0(VALU_DEP_2)
	v_cmpx_ne_u32_e32 0x7f, v163
	s_cbranch_execz .LBB394_208
; %bb.205:                              ;   in Loop: Header=BB394_10 Depth=1
	v_and_b32_e32 v8, 7, v162
	v_lshrrev_b32_e32 v161, 3, v163
	s_mov_b32 s22, exec_lo
	v_cmpx_gt_u32_e32 8, v163
; %bb.206:                              ;   in Loop: Header=BB394_10 Depth=1
	s_delay_alu instid0(VALU_DEP_3) | instskip(NEXT) | instid1(VALU_DEP_1)
	v_clz_i32_u32_e32 v161, v8
	v_min_u32_e32 v161, 32, v161
	s_delay_alu instid0(VALU_DEP_1) | instskip(SKIP_1) | instid1(VALU_DEP_2)
	v_subrev_nc_u32_e32 v163, 28, v161
	v_sub_nc_u32_e32 v161, 29, v161
	v_lshlrev_b64 v[163:164], v163, v[8:9]
	s_delay_alu instid0(VALU_DEP_1)
	v_and_b32_e32 v8, 7, v163
; %bb.207:                              ;   in Loop: Header=BB394_10 Depth=1
	s_or_b32 exec_lo, exec_lo, s22
	v_lshlrev_b32_e32 v163, 24, v162
	s_delay_alu instid0(VALU_DEP_2) | instskip(SKIP_1) | instid1(VALU_DEP_3)
	v_lshlrev_b32_e32 v8, 20, v8
	v_lshl_add_u32 v161, v161, 23, 0x3c000000
	v_and_b32_e32 v163, 0x80000000, v163
	s_delay_alu instid0(VALU_DEP_1)
	v_or3_b32 v8, v8, v163, v161
.LBB394_208:                            ;   in Loop: Header=BB394_10 Depth=1
	s_or_b32 exec_lo, exec_lo, s21
.LBB394_209:                            ;   in Loop: Header=BB394_10 Depth=1
	s_delay_alu instid0(SALU_CYCLE_1)
	s_or_b32 exec_lo, exec_lo, s20
.LBB394_210:                            ;   in Loop: Header=BB394_10 Depth=1
	s_delay_alu instid0(SALU_CYCLE_1) | instskip(NEXT) | instid1(VALU_DEP_1)
	s_or_b32 exec_lo, exec_lo, s4
	v_mul_f32_e32 v8, v128, v8
	s_delay_alu instid0(VALU_DEP_1) | instskip(NEXT) | instid1(VALU_DEP_1)
	v_and_b32_e32 v161, 0x7f800000, v8
	v_cmp_ne_u32_e64 s3, 0x7f800000, v161
                                        ; implicit-def: $vgpr161
	s_delay_alu instid0(VALU_DEP_1) | instskip(NEXT) | instid1(SALU_CYCLE_1)
	s_and_saveexec_b32 s4, s3
	s_xor_b32 s3, exec_lo, s4
; %bb.211:                              ;   in Loop: Header=BB394_10 Depth=1
	v_bfe_u32 v161, v8, 16, 1
	s_delay_alu instid0(VALU_DEP_1)
	v_add3_u32 v161, v8, v161, 0x7fff
                                        ; implicit-def: $vgpr8
; %bb.212:                              ;   in Loop: Header=BB394_10 Depth=1
	s_and_not1_saveexec_b32 s4, s3
; %bb.213:                              ;   in Loop: Header=BB394_10 Depth=1
	v_and_b32_e32 v161, 0xffff, v8
	v_or_b32_e32 v163, 0x10000, v8
	s_delay_alu instid0(VALU_DEP_2) | instskip(NEXT) | instid1(VALU_DEP_1)
	v_cmp_eq_u32_e64 s3, 0, v161
	v_cndmask_b32_e64 v161, v163, v8, s3
; %bb.214:                              ;   in Loop: Header=BB394_10 Depth=1
	s_or_b32 exec_lo, exec_lo, s4
	v_lshrrev_b16 v163, 8, v162
	v_mov_b32_e32 v8, 0
	s_mov_b32 s4, exec_lo
	s_delay_alu instid0(VALU_DEP_2)
	v_cmpx_ne_u16_e64 0, v163
	s_cbranch_execz .LBB394_222
; %bb.215:                              ;   in Loop: Header=BB394_10 Depth=1
	v_bfrev_b32_e32 v8, 1
	s_mov_b32 s20, exec_lo
	v_cmpx_ne_u16_e64 0x80, v163
	s_cbranch_execz .LBB394_221
; %bb.216:                              ;   in Loop: Header=BB394_10 Depth=1
	v_and_b32_e32 v163, 0xffff, v163
	v_mov_b32_e32 v8, 0x7f800001
	s_mov_b32 s21, exec_lo
	s_delay_alu instid0(VALU_DEP_2) | instskip(NEXT) | instid1(VALU_DEP_1)
	v_and_b32_e32 v164, 0x7f, v163
	v_cmpx_ne_u32_e32 0x7f, v164
	s_cbranch_execz .LBB394_220
; %bb.217:                              ;   in Loop: Header=BB394_10 Depth=1
	v_and_b32_e32 v8, 7, v163
	v_lshrrev_b32_e32 v163, 3, v164
	s_mov_b32 s22, exec_lo
	v_cmpx_gt_u32_e32 8, v164
; %bb.218:                              ;   in Loop: Header=BB394_10 Depth=1
	s_delay_alu instid0(VALU_DEP_3) | instskip(NEXT) | instid1(VALU_DEP_1)
	v_clz_i32_u32_e32 v163, v8
	v_min_u32_e32 v163, 32, v163
	s_delay_alu instid0(VALU_DEP_1) | instskip(SKIP_1) | instid1(VALU_DEP_2)
	v_subrev_nc_u32_e32 v164, 28, v163
	v_sub_nc_u32_e32 v163, 29, v163
	v_lshlrev_b64 v[164:165], v164, v[8:9]
	s_delay_alu instid0(VALU_DEP_1)
	v_and_b32_e32 v8, 7, v164
; %bb.219:                              ;   in Loop: Header=BB394_10 Depth=1
	s_or_b32 exec_lo, exec_lo, s22
	v_lshlrev_b32_e32 v162, 16, v162
	s_delay_alu instid0(VALU_DEP_2) | instskip(SKIP_1) | instid1(VALU_DEP_3)
	v_lshlrev_b32_e32 v8, 20, v8
	v_lshl_add_u32 v163, v163, 23, 0x3c000000
	v_and_b32_e32 v162, 0x80000000, v162
	s_delay_alu instid0(VALU_DEP_1)
	v_or3_b32 v8, v8, v162, v163
.LBB394_220:                            ;   in Loop: Header=BB394_10 Depth=1
	s_or_b32 exec_lo, exec_lo, s21
.LBB394_221:                            ;   in Loop: Header=BB394_10 Depth=1
	s_delay_alu instid0(SALU_CYCLE_1)
	s_or_b32 exec_lo, exec_lo, s20
.LBB394_222:                            ;   in Loop: Header=BB394_10 Depth=1
	s_delay_alu instid0(SALU_CYCLE_1) | instskip(NEXT) | instid1(VALU_DEP_1)
	s_or_b32 exec_lo, exec_lo, s4
	v_mul_f32_e32 v8, v128, v8
	s_delay_alu instid0(VALU_DEP_1) | instskip(NEXT) | instid1(VALU_DEP_1)
	v_and_b32_e32 v162, 0x7f800000, v8
	v_cmp_ne_u32_e64 s3, 0x7f800000, v162
                                        ; implicit-def: $vgpr162
	s_delay_alu instid0(VALU_DEP_1) | instskip(NEXT) | instid1(SALU_CYCLE_1)
	s_and_saveexec_b32 s4, s3
	s_xor_b32 s3, exec_lo, s4
; %bb.223:                              ;   in Loop: Header=BB394_10 Depth=1
	v_bfe_u32 v162, v8, 16, 1
	s_delay_alu instid0(VALU_DEP_1)
	v_add3_u32 v162, v8, v162, 0x7fff
                                        ; implicit-def: $vgpr8
; %bb.224:                              ;   in Loop: Header=BB394_10 Depth=1
	s_and_not1_saveexec_b32 s4, s3
; %bb.225:                              ;   in Loop: Header=BB394_10 Depth=1
	v_and_b32_e32 v162, 0xffff, v8
	v_or_b32_e32 v163, 0x10000, v8
	s_delay_alu instid0(VALU_DEP_2) | instskip(NEXT) | instid1(VALU_DEP_1)
	v_cmp_eq_u32_e64 s3, 0, v162
	v_cndmask_b32_e64 v162, v163, v8, s3
; %bb.226:                              ;   in Loop: Header=BB394_10 Depth=1
	s_or_b32 exec_lo, exec_lo, s4
	flat_load_u16 v8, v[28:29] offset:520
	s_mov_b32 s4, exec_lo
	s_waitcnt vmcnt(0) lgkmcnt(0)
	v_and_b32_e32 v163, 0xff, v8
	v_and_b32_e32 v164, 0xffff, v8
	v_mov_b32_e32 v8, 0
	s_delay_alu instid0(VALU_DEP_3)
	v_cmpx_ne_u16_e64 0, v163
	s_cbranch_execz .LBB394_234
; %bb.227:                              ;   in Loop: Header=BB394_10 Depth=1
	s_delay_alu instid0(VALU_DEP_3) | instskip(NEXT) | instid1(VALU_DEP_1)
	v_and_b32_e32 v8, 0xff, v164
	v_cmp_ne_u16_e64 s3, 0x80, v8
	v_bfrev_b32_e32 v8, 1
	s_delay_alu instid0(VALU_DEP_2)
	s_and_saveexec_b32 s20, s3
	s_cbranch_execz .LBB394_233
; %bb.228:                              ;   in Loop: Header=BB394_10 Depth=1
	v_and_b32_e32 v165, 0x7f, v164
	v_mov_b32_e32 v8, 0x7f800001
	s_mov_b32 s21, exec_lo
	s_delay_alu instid0(VALU_DEP_2)
	v_cmpx_ne_u32_e32 0x7f, v165
	s_cbranch_execz .LBB394_232
; %bb.229:                              ;   in Loop: Header=BB394_10 Depth=1
	v_and_b32_e32 v8, 7, v164
	v_lshrrev_b32_e32 v163, 3, v165
	s_mov_b32 s22, exec_lo
	v_cmpx_gt_u32_e32 8, v165
; %bb.230:                              ;   in Loop: Header=BB394_10 Depth=1
	s_delay_alu instid0(VALU_DEP_3) | instskip(NEXT) | instid1(VALU_DEP_1)
	v_clz_i32_u32_e32 v163, v8
	v_min_u32_e32 v163, 32, v163
	s_delay_alu instid0(VALU_DEP_1) | instskip(SKIP_1) | instid1(VALU_DEP_2)
	v_subrev_nc_u32_e32 v165, 28, v163
	v_sub_nc_u32_e32 v163, 29, v163
	v_lshlrev_b64 v[165:166], v165, v[8:9]
	s_delay_alu instid0(VALU_DEP_1)
	v_and_b32_e32 v8, 7, v165
; %bb.231:                              ;   in Loop: Header=BB394_10 Depth=1
	s_or_b32 exec_lo, exec_lo, s22
	v_lshlrev_b32_e32 v165, 24, v164
	s_delay_alu instid0(VALU_DEP_2) | instskip(SKIP_1) | instid1(VALU_DEP_3)
	v_lshlrev_b32_e32 v8, 20, v8
	v_lshl_add_u32 v163, v163, 23, 0x3c000000
	v_and_b32_e32 v165, 0x80000000, v165
	s_delay_alu instid0(VALU_DEP_1)
	v_or3_b32 v8, v8, v165, v163
.LBB394_232:                            ;   in Loop: Header=BB394_10 Depth=1
	s_or_b32 exec_lo, exec_lo, s21
.LBB394_233:                            ;   in Loop: Header=BB394_10 Depth=1
	s_delay_alu instid0(SALU_CYCLE_1)
	s_or_b32 exec_lo, exec_lo, s20
.LBB394_234:                            ;   in Loop: Header=BB394_10 Depth=1
	s_delay_alu instid0(SALU_CYCLE_1) | instskip(NEXT) | instid1(VALU_DEP_1)
	s_or_b32 exec_lo, exec_lo, s4
	v_mul_f32_e32 v8, v128, v8
	s_delay_alu instid0(VALU_DEP_1) | instskip(NEXT) | instid1(VALU_DEP_1)
	v_and_b32_e32 v163, 0x7f800000, v8
	v_cmp_ne_u32_e64 s3, 0x7f800000, v163
                                        ; implicit-def: $vgpr163
	s_delay_alu instid0(VALU_DEP_1) | instskip(NEXT) | instid1(SALU_CYCLE_1)
	s_and_saveexec_b32 s4, s3
	s_xor_b32 s3, exec_lo, s4
; %bb.235:                              ;   in Loop: Header=BB394_10 Depth=1
	v_bfe_u32 v163, v8, 16, 1
	s_delay_alu instid0(VALU_DEP_1)
	v_add3_u32 v163, v8, v163, 0x7fff
                                        ; implicit-def: $vgpr8
; %bb.236:                              ;   in Loop: Header=BB394_10 Depth=1
	s_and_not1_saveexec_b32 s4, s3
; %bb.237:                              ;   in Loop: Header=BB394_10 Depth=1
	v_and_b32_e32 v163, 0xffff, v8
	v_or_b32_e32 v165, 0x10000, v8
	s_delay_alu instid0(VALU_DEP_2) | instskip(NEXT) | instid1(VALU_DEP_1)
	v_cmp_eq_u32_e64 s3, 0, v163
	v_cndmask_b32_e64 v163, v165, v8, s3
; %bb.238:                              ;   in Loop: Header=BB394_10 Depth=1
	s_or_b32 exec_lo, exec_lo, s4
	v_lshrrev_b16 v165, 8, v164
	v_mov_b32_e32 v8, 0
	s_mov_b32 s4, exec_lo
	s_delay_alu instid0(VALU_DEP_2)
	v_cmpx_ne_u16_e64 0, v165
	s_cbranch_execz .LBB394_246
; %bb.239:                              ;   in Loop: Header=BB394_10 Depth=1
	v_bfrev_b32_e32 v8, 1
	s_mov_b32 s20, exec_lo
	v_cmpx_ne_u16_e64 0x80, v165
	s_cbranch_execz .LBB394_245
; %bb.240:                              ;   in Loop: Header=BB394_10 Depth=1
	v_and_b32_e32 v165, 0xffff, v165
	v_mov_b32_e32 v8, 0x7f800001
	s_mov_b32 s21, exec_lo
	s_delay_alu instid0(VALU_DEP_2) | instskip(NEXT) | instid1(VALU_DEP_1)
	v_and_b32_e32 v166, 0x7f, v165
	v_cmpx_ne_u32_e32 0x7f, v166
	s_cbranch_execz .LBB394_244
; %bb.241:                              ;   in Loop: Header=BB394_10 Depth=1
	v_and_b32_e32 v8, 7, v165
	v_lshrrev_b32_e32 v165, 3, v166
	s_mov_b32 s22, exec_lo
	v_cmpx_gt_u32_e32 8, v166
; %bb.242:                              ;   in Loop: Header=BB394_10 Depth=1
	s_delay_alu instid0(VALU_DEP_3) | instskip(NEXT) | instid1(VALU_DEP_1)
	v_clz_i32_u32_e32 v165, v8
	v_min_u32_e32 v165, 32, v165
	s_delay_alu instid0(VALU_DEP_1) | instskip(SKIP_1) | instid1(VALU_DEP_2)
	v_subrev_nc_u32_e32 v166, 28, v165
	v_sub_nc_u32_e32 v165, 29, v165
	v_lshlrev_b64 v[166:167], v166, v[8:9]
	s_delay_alu instid0(VALU_DEP_1)
	v_and_b32_e32 v8, 7, v166
; %bb.243:                              ;   in Loop: Header=BB394_10 Depth=1
	s_or_b32 exec_lo, exec_lo, s22
	v_lshlrev_b32_e32 v164, 16, v164
	s_delay_alu instid0(VALU_DEP_2) | instskip(SKIP_1) | instid1(VALU_DEP_3)
	v_lshlrev_b32_e32 v8, 20, v8
	v_lshl_add_u32 v165, v165, 23, 0x3c000000
	v_and_b32_e32 v164, 0x80000000, v164
	s_delay_alu instid0(VALU_DEP_1)
	v_or3_b32 v8, v8, v164, v165
.LBB394_244:                            ;   in Loop: Header=BB394_10 Depth=1
	s_or_b32 exec_lo, exec_lo, s21
.LBB394_245:                            ;   in Loop: Header=BB394_10 Depth=1
	s_delay_alu instid0(SALU_CYCLE_1)
	s_or_b32 exec_lo, exec_lo, s20
.LBB394_246:                            ;   in Loop: Header=BB394_10 Depth=1
	s_delay_alu instid0(SALU_CYCLE_1) | instskip(NEXT) | instid1(VALU_DEP_1)
	s_or_b32 exec_lo, exec_lo, s4
	v_mul_f32_e32 v8, v128, v8
	s_delay_alu instid0(VALU_DEP_1) | instskip(NEXT) | instid1(VALU_DEP_1)
	v_and_b32_e32 v164, 0x7f800000, v8
	v_cmp_ne_u32_e64 s3, 0x7f800000, v164
                                        ; implicit-def: $vgpr164
	s_delay_alu instid0(VALU_DEP_1) | instskip(NEXT) | instid1(SALU_CYCLE_1)
	s_and_saveexec_b32 s4, s3
	s_xor_b32 s3, exec_lo, s4
; %bb.247:                              ;   in Loop: Header=BB394_10 Depth=1
	v_bfe_u32 v164, v8, 16, 1
	s_delay_alu instid0(VALU_DEP_1)
	v_add3_u32 v164, v8, v164, 0x7fff
                                        ; implicit-def: $vgpr8
; %bb.248:                              ;   in Loop: Header=BB394_10 Depth=1
	s_and_not1_saveexec_b32 s4, s3
; %bb.249:                              ;   in Loop: Header=BB394_10 Depth=1
	v_and_b32_e32 v164, 0xffff, v8
	v_or_b32_e32 v165, 0x10000, v8
	s_delay_alu instid0(VALU_DEP_2) | instskip(NEXT) | instid1(VALU_DEP_1)
	v_cmp_eq_u32_e64 s3, 0, v164
	v_cndmask_b32_e64 v164, v165, v8, s3
; %bb.250:                              ;   in Loop: Header=BB394_10 Depth=1
	s_or_b32 exec_lo, exec_lo, s4
	flat_load_u16 v8, v[28:29] offset:640
	s_mov_b32 s4, exec_lo
	s_waitcnt vmcnt(0) lgkmcnt(0)
	v_and_b32_e32 v165, 0xff, v8
	v_and_b32_e32 v166, 0xffff, v8
	v_mov_b32_e32 v8, 0
	s_delay_alu instid0(VALU_DEP_3)
	v_cmpx_ne_u16_e64 0, v165
	s_cbranch_execz .LBB394_258
; %bb.251:                              ;   in Loop: Header=BB394_10 Depth=1
	s_delay_alu instid0(VALU_DEP_3) | instskip(NEXT) | instid1(VALU_DEP_1)
	v_and_b32_e32 v8, 0xff, v166
	v_cmp_ne_u16_e64 s3, 0x80, v8
	v_bfrev_b32_e32 v8, 1
	s_delay_alu instid0(VALU_DEP_2)
	s_and_saveexec_b32 s20, s3
	s_cbranch_execz .LBB394_257
; %bb.252:                              ;   in Loop: Header=BB394_10 Depth=1
	v_and_b32_e32 v167, 0x7f, v166
	v_mov_b32_e32 v8, 0x7f800001
	s_mov_b32 s21, exec_lo
	s_delay_alu instid0(VALU_DEP_2)
	v_cmpx_ne_u32_e32 0x7f, v167
	s_cbranch_execz .LBB394_256
; %bb.253:                              ;   in Loop: Header=BB394_10 Depth=1
	v_and_b32_e32 v8, 7, v166
	v_lshrrev_b32_e32 v165, 3, v167
	s_mov_b32 s22, exec_lo
	v_cmpx_gt_u32_e32 8, v167
; %bb.254:                              ;   in Loop: Header=BB394_10 Depth=1
	s_delay_alu instid0(VALU_DEP_3) | instskip(NEXT) | instid1(VALU_DEP_1)
	v_clz_i32_u32_e32 v165, v8
	v_min_u32_e32 v165, 32, v165
	s_delay_alu instid0(VALU_DEP_1) | instskip(SKIP_1) | instid1(VALU_DEP_2)
	v_subrev_nc_u32_e32 v167, 28, v165
	v_sub_nc_u32_e32 v165, 29, v165
	v_lshlrev_b64 v[176:177], v167, v[8:9]
	s_delay_alu instid0(VALU_DEP_1)
	v_and_b32_e32 v8, 7, v176
; %bb.255:                              ;   in Loop: Header=BB394_10 Depth=1
	s_or_b32 exec_lo, exec_lo, s22
	v_lshlrev_b32_e32 v167, 24, v166
	s_delay_alu instid0(VALU_DEP_2) | instskip(SKIP_1) | instid1(VALU_DEP_3)
	v_lshlrev_b32_e32 v8, 20, v8
	v_lshl_add_u32 v165, v165, 23, 0x3c000000
	v_and_b32_e32 v167, 0x80000000, v167
	s_delay_alu instid0(VALU_DEP_1)
	v_or3_b32 v8, v8, v167, v165
.LBB394_256:                            ;   in Loop: Header=BB394_10 Depth=1
	s_or_b32 exec_lo, exec_lo, s21
.LBB394_257:                            ;   in Loop: Header=BB394_10 Depth=1
	s_delay_alu instid0(SALU_CYCLE_1)
	s_or_b32 exec_lo, exec_lo, s20
.LBB394_258:                            ;   in Loop: Header=BB394_10 Depth=1
	s_delay_alu instid0(SALU_CYCLE_1) | instskip(NEXT) | instid1(VALU_DEP_1)
	s_or_b32 exec_lo, exec_lo, s4
	v_mul_f32_e32 v8, v128, v8
	s_delay_alu instid0(VALU_DEP_1) | instskip(NEXT) | instid1(VALU_DEP_1)
	v_and_b32_e32 v165, 0x7f800000, v8
	v_cmp_ne_u32_e64 s3, 0x7f800000, v165
                                        ; implicit-def: $vgpr165
	s_delay_alu instid0(VALU_DEP_1) | instskip(NEXT) | instid1(SALU_CYCLE_1)
	s_and_saveexec_b32 s4, s3
	s_xor_b32 s3, exec_lo, s4
; %bb.259:                              ;   in Loop: Header=BB394_10 Depth=1
	v_bfe_u32 v165, v8, 16, 1
	s_delay_alu instid0(VALU_DEP_1)
	v_add3_u32 v165, v8, v165, 0x7fff
                                        ; implicit-def: $vgpr8
; %bb.260:                              ;   in Loop: Header=BB394_10 Depth=1
	s_and_not1_saveexec_b32 s4, s3
; %bb.261:                              ;   in Loop: Header=BB394_10 Depth=1
	v_and_b32_e32 v165, 0xffff, v8
	v_or_b32_e32 v167, 0x10000, v8
	s_delay_alu instid0(VALU_DEP_2) | instskip(NEXT) | instid1(VALU_DEP_1)
	v_cmp_eq_u32_e64 s3, 0, v165
	v_cndmask_b32_e64 v165, v167, v8, s3
; %bb.262:                              ;   in Loop: Header=BB394_10 Depth=1
	s_or_b32 exec_lo, exec_lo, s4
	v_lshrrev_b16 v167, 8, v166
	v_mov_b32_e32 v8, 0
	s_mov_b32 s4, exec_lo
	s_delay_alu instid0(VALU_DEP_2)
	v_cmpx_ne_u16_e64 0, v167
	s_cbranch_execz .LBB394_270
; %bb.263:                              ;   in Loop: Header=BB394_10 Depth=1
	v_bfrev_b32_e32 v8, 1
	s_mov_b32 s20, exec_lo
	v_cmpx_ne_u16_e64 0x80, v167
	s_cbranch_execz .LBB394_269
; %bb.264:                              ;   in Loop: Header=BB394_10 Depth=1
	v_and_b32_e32 v167, 0xffff, v167
	v_mov_b32_e32 v8, 0x7f800001
	s_mov_b32 s21, exec_lo
	s_delay_alu instid0(VALU_DEP_2) | instskip(NEXT) | instid1(VALU_DEP_1)
	v_and_b32_e32 v176, 0x7f, v167
	v_cmpx_ne_u32_e32 0x7f, v176
	s_cbranch_execz .LBB394_268
; %bb.265:                              ;   in Loop: Header=BB394_10 Depth=1
	v_and_b32_e32 v8, 7, v167
	v_lshrrev_b32_e32 v167, 3, v176
	s_mov_b32 s22, exec_lo
	v_cmpx_gt_u32_e32 8, v176
; %bb.266:                              ;   in Loop: Header=BB394_10 Depth=1
	s_delay_alu instid0(VALU_DEP_3) | instskip(NEXT) | instid1(VALU_DEP_1)
	v_clz_i32_u32_e32 v167, v8
	v_min_u32_e32 v167, 32, v167
	s_delay_alu instid0(VALU_DEP_1) | instskip(SKIP_1) | instid1(VALU_DEP_2)
	v_subrev_nc_u32_e32 v176, 28, v167
	v_sub_nc_u32_e32 v167, 29, v167
	v_lshlrev_b64 v[176:177], v176, v[8:9]
	s_delay_alu instid0(VALU_DEP_1)
	v_and_b32_e32 v8, 7, v176
; %bb.267:                              ;   in Loop: Header=BB394_10 Depth=1
	s_or_b32 exec_lo, exec_lo, s22
	v_lshlrev_b32_e32 v166, 16, v166
	s_delay_alu instid0(VALU_DEP_2) | instskip(SKIP_1) | instid1(VALU_DEP_3)
	v_lshlrev_b32_e32 v8, 20, v8
	v_lshl_add_u32 v167, v167, 23, 0x3c000000
	v_and_b32_e32 v166, 0x80000000, v166
	s_delay_alu instid0(VALU_DEP_1)
	v_or3_b32 v8, v8, v166, v167
.LBB394_268:                            ;   in Loop: Header=BB394_10 Depth=1
	s_or_b32 exec_lo, exec_lo, s21
.LBB394_269:                            ;   in Loop: Header=BB394_10 Depth=1
	s_delay_alu instid0(SALU_CYCLE_1)
	s_or_b32 exec_lo, exec_lo, s20
.LBB394_270:                            ;   in Loop: Header=BB394_10 Depth=1
	s_delay_alu instid0(SALU_CYCLE_1) | instskip(NEXT) | instid1(VALU_DEP_1)
	s_or_b32 exec_lo, exec_lo, s4
	v_mul_f32_e32 v8, v128, v8
	s_delay_alu instid0(VALU_DEP_1) | instskip(NEXT) | instid1(VALU_DEP_1)
	v_and_b32_e32 v166, 0x7f800000, v8
	v_cmp_ne_u32_e64 s3, 0x7f800000, v166
                                        ; implicit-def: $vgpr166
	s_delay_alu instid0(VALU_DEP_1) | instskip(NEXT) | instid1(SALU_CYCLE_1)
	s_and_saveexec_b32 s4, s3
	s_xor_b32 s3, exec_lo, s4
; %bb.271:                              ;   in Loop: Header=BB394_10 Depth=1
	v_bfe_u32 v166, v8, 16, 1
	s_delay_alu instid0(VALU_DEP_1)
	v_add3_u32 v166, v8, v166, 0x7fff
                                        ; implicit-def: $vgpr8
; %bb.272:                              ;   in Loop: Header=BB394_10 Depth=1
	s_and_not1_saveexec_b32 s4, s3
; %bb.273:                              ;   in Loop: Header=BB394_10 Depth=1
	v_and_b32_e32 v166, 0xffff, v8
	v_or_b32_e32 v167, 0x10000, v8
	s_delay_alu instid0(VALU_DEP_2) | instskip(NEXT) | instid1(VALU_DEP_1)
	v_cmp_eq_u32_e64 s3, 0, v166
	v_cndmask_b32_e64 v166, v167, v8, s3
; %bb.274:                              ;   in Loop: Header=BB394_10 Depth=1
	s_or_b32 exec_lo, exec_lo, s4
	flat_load_u16 v8, v[28:29] offset:648
	s_mov_b32 s4, exec_lo
	s_waitcnt vmcnt(0) lgkmcnt(0)
	v_and_b32_e32 v167, 0xff, v8
	v_and_b32_e32 v176, 0xffff, v8
	v_mov_b32_e32 v8, 0
	s_delay_alu instid0(VALU_DEP_3)
	v_cmpx_ne_u16_e64 0, v167
	s_cbranch_execz .LBB394_282
; %bb.275:                              ;   in Loop: Header=BB394_10 Depth=1
	s_delay_alu instid0(VALU_DEP_3) | instskip(NEXT) | instid1(VALU_DEP_1)
	v_and_b32_e32 v8, 0xff, v176
	v_cmp_ne_u16_e64 s3, 0x80, v8
	v_bfrev_b32_e32 v8, 1
	s_delay_alu instid0(VALU_DEP_2)
	s_and_saveexec_b32 s20, s3
	s_cbranch_execz .LBB394_281
; %bb.276:                              ;   in Loop: Header=BB394_10 Depth=1
	v_and_b32_e32 v177, 0x7f, v176
	v_mov_b32_e32 v8, 0x7f800001
	s_mov_b32 s21, exec_lo
	s_delay_alu instid0(VALU_DEP_2)
	v_cmpx_ne_u32_e32 0x7f, v177
	s_cbranch_execz .LBB394_280
; %bb.277:                              ;   in Loop: Header=BB394_10 Depth=1
	v_and_b32_e32 v8, 7, v176
	v_lshrrev_b32_e32 v167, 3, v177
	s_mov_b32 s22, exec_lo
	v_cmpx_gt_u32_e32 8, v177
; %bb.278:                              ;   in Loop: Header=BB394_10 Depth=1
	s_delay_alu instid0(VALU_DEP_3) | instskip(NEXT) | instid1(VALU_DEP_1)
	v_clz_i32_u32_e32 v167, v8
	v_min_u32_e32 v167, 32, v167
	s_delay_alu instid0(VALU_DEP_1) | instskip(SKIP_1) | instid1(VALU_DEP_2)
	v_subrev_nc_u32_e32 v177, 28, v167
	v_sub_nc_u32_e32 v167, 29, v167
	v_lshlrev_b64 v[177:178], v177, v[8:9]
	s_delay_alu instid0(VALU_DEP_1)
	v_and_b32_e32 v8, 7, v177
; %bb.279:                              ;   in Loop: Header=BB394_10 Depth=1
	s_or_b32 exec_lo, exec_lo, s22
	v_lshlrev_b32_e32 v177, 24, v176
	s_delay_alu instid0(VALU_DEP_2) | instskip(SKIP_1) | instid1(VALU_DEP_3)
	v_lshlrev_b32_e32 v8, 20, v8
	v_lshl_add_u32 v167, v167, 23, 0x3c000000
	v_and_b32_e32 v177, 0x80000000, v177
	s_delay_alu instid0(VALU_DEP_1)
	v_or3_b32 v8, v8, v177, v167
.LBB394_280:                            ;   in Loop: Header=BB394_10 Depth=1
	s_or_b32 exec_lo, exec_lo, s21
.LBB394_281:                            ;   in Loop: Header=BB394_10 Depth=1
	s_delay_alu instid0(SALU_CYCLE_1)
	s_or_b32 exec_lo, exec_lo, s20
.LBB394_282:                            ;   in Loop: Header=BB394_10 Depth=1
	s_delay_alu instid0(SALU_CYCLE_1) | instskip(NEXT) | instid1(VALU_DEP_1)
	s_or_b32 exec_lo, exec_lo, s4
	v_mul_f32_e32 v8, v128, v8
	s_delay_alu instid0(VALU_DEP_1) | instskip(NEXT) | instid1(VALU_DEP_1)
	v_and_b32_e32 v167, 0x7f800000, v8
	v_cmp_ne_u32_e64 s3, 0x7f800000, v167
                                        ; implicit-def: $vgpr167
	s_delay_alu instid0(VALU_DEP_1) | instskip(NEXT) | instid1(SALU_CYCLE_1)
	s_and_saveexec_b32 s4, s3
	s_xor_b32 s3, exec_lo, s4
; %bb.283:                              ;   in Loop: Header=BB394_10 Depth=1
	v_bfe_u32 v167, v8, 16, 1
	s_delay_alu instid0(VALU_DEP_1)
	v_add3_u32 v167, v8, v167, 0x7fff
                                        ; implicit-def: $vgpr8
; %bb.284:                              ;   in Loop: Header=BB394_10 Depth=1
	s_and_not1_saveexec_b32 s4, s3
; %bb.285:                              ;   in Loop: Header=BB394_10 Depth=1
	v_and_b32_e32 v167, 0xffff, v8
	v_or_b32_e32 v177, 0x10000, v8
	s_delay_alu instid0(VALU_DEP_2) | instskip(NEXT) | instid1(VALU_DEP_1)
	v_cmp_eq_u32_e64 s3, 0, v167
	v_cndmask_b32_e64 v167, v177, v8, s3
; %bb.286:                              ;   in Loop: Header=BB394_10 Depth=1
	s_or_b32 exec_lo, exec_lo, s4
	v_lshrrev_b16 v177, 8, v176
	v_mov_b32_e32 v8, 0
	s_mov_b32 s4, exec_lo
	s_delay_alu instid0(VALU_DEP_2)
	v_cmpx_ne_u16_e64 0, v177
	s_cbranch_execz .LBB394_294
; %bb.287:                              ;   in Loop: Header=BB394_10 Depth=1
	v_bfrev_b32_e32 v8, 1
	s_mov_b32 s20, exec_lo
	v_cmpx_ne_u16_e64 0x80, v177
	s_cbranch_execz .LBB394_293
; %bb.288:                              ;   in Loop: Header=BB394_10 Depth=1
	v_and_b32_e32 v177, 0xffff, v177
	v_mov_b32_e32 v8, 0x7f800001
	s_mov_b32 s21, exec_lo
	s_delay_alu instid0(VALU_DEP_2) | instskip(NEXT) | instid1(VALU_DEP_1)
	v_and_b32_e32 v178, 0x7f, v177
	v_cmpx_ne_u32_e32 0x7f, v178
	s_cbranch_execz .LBB394_292
; %bb.289:                              ;   in Loop: Header=BB394_10 Depth=1
	v_and_b32_e32 v8, 7, v177
	v_lshrrev_b32_e32 v177, 3, v178
	s_mov_b32 s22, exec_lo
	v_cmpx_gt_u32_e32 8, v178
; %bb.290:                              ;   in Loop: Header=BB394_10 Depth=1
	s_delay_alu instid0(VALU_DEP_3) | instskip(NEXT) | instid1(VALU_DEP_1)
	v_clz_i32_u32_e32 v177, v8
	v_min_u32_e32 v177, 32, v177
	s_delay_alu instid0(VALU_DEP_1) | instskip(SKIP_1) | instid1(VALU_DEP_2)
	v_subrev_nc_u32_e32 v178, 28, v177
	v_sub_nc_u32_e32 v177, 29, v177
	v_lshlrev_b64 v[178:179], v178, v[8:9]
	s_delay_alu instid0(VALU_DEP_1)
	v_and_b32_e32 v8, 7, v178
; %bb.291:                              ;   in Loop: Header=BB394_10 Depth=1
	s_or_b32 exec_lo, exec_lo, s22
	v_lshlrev_b32_e32 v176, 16, v176
	s_delay_alu instid0(VALU_DEP_2) | instskip(SKIP_1) | instid1(VALU_DEP_3)
	v_lshlrev_b32_e32 v8, 20, v8
	v_lshl_add_u32 v177, v177, 23, 0x3c000000
	v_and_b32_e32 v176, 0x80000000, v176
	s_delay_alu instid0(VALU_DEP_1)
	v_or3_b32 v8, v8, v176, v177
.LBB394_292:                            ;   in Loop: Header=BB394_10 Depth=1
	s_or_b32 exec_lo, exec_lo, s21
.LBB394_293:                            ;   in Loop: Header=BB394_10 Depth=1
	s_delay_alu instid0(SALU_CYCLE_1)
	s_or_b32 exec_lo, exec_lo, s20
.LBB394_294:                            ;   in Loop: Header=BB394_10 Depth=1
	s_delay_alu instid0(SALU_CYCLE_1) | instskip(NEXT) | instid1(VALU_DEP_1)
	s_or_b32 exec_lo, exec_lo, s4
	v_mul_f32_e32 v8, v128, v8
	s_delay_alu instid0(VALU_DEP_1) | instskip(NEXT) | instid1(VALU_DEP_1)
	v_and_b32_e32 v176, 0x7f800000, v8
	v_cmp_ne_u32_e64 s3, 0x7f800000, v176
                                        ; implicit-def: $vgpr176
	s_delay_alu instid0(VALU_DEP_1) | instskip(NEXT) | instid1(SALU_CYCLE_1)
	s_and_saveexec_b32 s4, s3
	s_xor_b32 s3, exec_lo, s4
; %bb.295:                              ;   in Loop: Header=BB394_10 Depth=1
	v_bfe_u32 v176, v8, 16, 1
	s_delay_alu instid0(VALU_DEP_1)
	v_add3_u32 v176, v8, v176, 0x7fff
                                        ; implicit-def: $vgpr8
; %bb.296:                              ;   in Loop: Header=BB394_10 Depth=1
	s_and_not1_saveexec_b32 s4, s3
; %bb.297:                              ;   in Loop: Header=BB394_10 Depth=1
	v_and_b32_e32 v176, 0xffff, v8
	v_or_b32_e32 v177, 0x10000, v8
	s_delay_alu instid0(VALU_DEP_2) | instskip(NEXT) | instid1(VALU_DEP_1)
	v_cmp_eq_u32_e64 s3, 0, v176
	v_cndmask_b32_e64 v176, v177, v8, s3
; %bb.298:                              ;   in Loop: Header=BB394_10 Depth=1
	s_or_b32 exec_lo, exec_lo, s4
	flat_load_u16 v8, v[28:29] offset:768
	s_mov_b32 s4, exec_lo
	s_waitcnt vmcnt(0) lgkmcnt(0)
	v_and_b32_e32 v177, 0xff, v8
	v_and_b32_e32 v178, 0xffff, v8
	v_mov_b32_e32 v8, 0
	s_delay_alu instid0(VALU_DEP_3)
	v_cmpx_ne_u16_e64 0, v177
	s_cbranch_execz .LBB394_306
; %bb.299:                              ;   in Loop: Header=BB394_10 Depth=1
	s_delay_alu instid0(VALU_DEP_3) | instskip(NEXT) | instid1(VALU_DEP_1)
	v_and_b32_e32 v8, 0xff, v178
	v_cmp_ne_u16_e64 s3, 0x80, v8
	v_bfrev_b32_e32 v8, 1
	s_delay_alu instid0(VALU_DEP_2)
	s_and_saveexec_b32 s20, s3
	s_cbranch_execz .LBB394_305
; %bb.300:                              ;   in Loop: Header=BB394_10 Depth=1
	v_and_b32_e32 v179, 0x7f, v178
	v_mov_b32_e32 v8, 0x7f800001
	s_mov_b32 s21, exec_lo
	s_delay_alu instid0(VALU_DEP_2)
	v_cmpx_ne_u32_e32 0x7f, v179
	s_cbranch_execz .LBB394_304
; %bb.301:                              ;   in Loop: Header=BB394_10 Depth=1
	v_and_b32_e32 v8, 7, v178
	v_lshrrev_b32_e32 v177, 3, v179
	s_mov_b32 s22, exec_lo
	v_cmpx_gt_u32_e32 8, v179
; %bb.302:                              ;   in Loop: Header=BB394_10 Depth=1
	s_delay_alu instid0(VALU_DEP_3) | instskip(NEXT) | instid1(VALU_DEP_1)
	v_clz_i32_u32_e32 v177, v8
	v_min_u32_e32 v177, 32, v177
	s_delay_alu instid0(VALU_DEP_1) | instskip(SKIP_1) | instid1(VALU_DEP_2)
	v_subrev_nc_u32_e32 v179, 28, v177
	v_sub_nc_u32_e32 v177, 29, v177
	v_lshlrev_b64 v[179:180], v179, v[8:9]
	s_delay_alu instid0(VALU_DEP_1)
	v_and_b32_e32 v8, 7, v179
; %bb.303:                              ;   in Loop: Header=BB394_10 Depth=1
	s_or_b32 exec_lo, exec_lo, s22
	v_lshlrev_b32_e32 v179, 24, v178
	s_delay_alu instid0(VALU_DEP_2) | instskip(SKIP_1) | instid1(VALU_DEP_3)
	v_lshlrev_b32_e32 v8, 20, v8
	v_lshl_add_u32 v177, v177, 23, 0x3c000000
	v_and_b32_e32 v179, 0x80000000, v179
	s_delay_alu instid0(VALU_DEP_1)
	v_or3_b32 v8, v8, v179, v177
.LBB394_304:                            ;   in Loop: Header=BB394_10 Depth=1
	s_or_b32 exec_lo, exec_lo, s21
.LBB394_305:                            ;   in Loop: Header=BB394_10 Depth=1
	s_delay_alu instid0(SALU_CYCLE_1)
	s_or_b32 exec_lo, exec_lo, s20
.LBB394_306:                            ;   in Loop: Header=BB394_10 Depth=1
	s_delay_alu instid0(SALU_CYCLE_1) | instskip(NEXT) | instid1(VALU_DEP_1)
	s_or_b32 exec_lo, exec_lo, s4
	v_mul_f32_e32 v8, v128, v8
	s_delay_alu instid0(VALU_DEP_1) | instskip(NEXT) | instid1(VALU_DEP_1)
	v_and_b32_e32 v177, 0x7f800000, v8
	v_cmp_ne_u32_e64 s3, 0x7f800000, v177
                                        ; implicit-def: $vgpr177
	s_delay_alu instid0(VALU_DEP_1) | instskip(NEXT) | instid1(SALU_CYCLE_1)
	s_and_saveexec_b32 s4, s3
	s_xor_b32 s3, exec_lo, s4
; %bb.307:                              ;   in Loop: Header=BB394_10 Depth=1
	v_bfe_u32 v177, v8, 16, 1
	s_delay_alu instid0(VALU_DEP_1)
	v_add3_u32 v177, v8, v177, 0x7fff
                                        ; implicit-def: $vgpr8
; %bb.308:                              ;   in Loop: Header=BB394_10 Depth=1
	s_and_not1_saveexec_b32 s4, s3
; %bb.309:                              ;   in Loop: Header=BB394_10 Depth=1
	v_and_b32_e32 v177, 0xffff, v8
	v_or_b32_e32 v179, 0x10000, v8
	s_delay_alu instid0(VALU_DEP_2) | instskip(NEXT) | instid1(VALU_DEP_1)
	v_cmp_eq_u32_e64 s3, 0, v177
	v_cndmask_b32_e64 v177, v179, v8, s3
; %bb.310:                              ;   in Loop: Header=BB394_10 Depth=1
	s_or_b32 exec_lo, exec_lo, s4
	v_lshrrev_b16 v179, 8, v178
	v_mov_b32_e32 v8, 0
	s_mov_b32 s4, exec_lo
	s_delay_alu instid0(VALU_DEP_2)
	v_cmpx_ne_u16_e64 0, v179
	s_cbranch_execz .LBB394_318
; %bb.311:                              ;   in Loop: Header=BB394_10 Depth=1
	v_bfrev_b32_e32 v8, 1
	s_mov_b32 s20, exec_lo
	v_cmpx_ne_u16_e64 0x80, v179
	s_cbranch_execz .LBB394_317
; %bb.312:                              ;   in Loop: Header=BB394_10 Depth=1
	v_and_b32_e32 v179, 0xffff, v179
	v_mov_b32_e32 v8, 0x7f800001
	s_mov_b32 s21, exec_lo
	s_delay_alu instid0(VALU_DEP_2) | instskip(NEXT) | instid1(VALU_DEP_1)
	v_and_b32_e32 v180, 0x7f, v179
	v_cmpx_ne_u32_e32 0x7f, v180
	s_cbranch_execz .LBB394_316
; %bb.313:                              ;   in Loop: Header=BB394_10 Depth=1
	v_and_b32_e32 v8, 7, v179
	v_lshrrev_b32_e32 v179, 3, v180
	s_mov_b32 s22, exec_lo
	v_cmpx_gt_u32_e32 8, v180
; %bb.314:                              ;   in Loop: Header=BB394_10 Depth=1
	s_delay_alu instid0(VALU_DEP_3) | instskip(NEXT) | instid1(VALU_DEP_1)
	v_clz_i32_u32_e32 v179, v8
	v_min_u32_e32 v179, 32, v179
	s_delay_alu instid0(VALU_DEP_1) | instskip(SKIP_1) | instid1(VALU_DEP_2)
	v_subrev_nc_u32_e32 v180, 28, v179
	v_sub_nc_u32_e32 v179, 29, v179
	v_lshlrev_b64 v[180:181], v180, v[8:9]
	s_delay_alu instid0(VALU_DEP_1)
	v_and_b32_e32 v8, 7, v180
; %bb.315:                              ;   in Loop: Header=BB394_10 Depth=1
	s_or_b32 exec_lo, exec_lo, s22
	v_lshlrev_b32_e32 v178, 16, v178
	s_delay_alu instid0(VALU_DEP_2) | instskip(SKIP_1) | instid1(VALU_DEP_3)
	v_lshlrev_b32_e32 v8, 20, v8
	v_lshl_add_u32 v179, v179, 23, 0x3c000000
	v_and_b32_e32 v178, 0x80000000, v178
	s_delay_alu instid0(VALU_DEP_1)
	v_or3_b32 v8, v8, v178, v179
.LBB394_316:                            ;   in Loop: Header=BB394_10 Depth=1
	s_or_b32 exec_lo, exec_lo, s21
.LBB394_317:                            ;   in Loop: Header=BB394_10 Depth=1
	s_delay_alu instid0(SALU_CYCLE_1)
	s_or_b32 exec_lo, exec_lo, s20
.LBB394_318:                            ;   in Loop: Header=BB394_10 Depth=1
	s_delay_alu instid0(SALU_CYCLE_1) | instskip(NEXT) | instid1(VALU_DEP_1)
	s_or_b32 exec_lo, exec_lo, s4
	v_mul_f32_e32 v8, v128, v8
	s_delay_alu instid0(VALU_DEP_1) | instskip(NEXT) | instid1(VALU_DEP_1)
	v_and_b32_e32 v178, 0x7f800000, v8
	v_cmp_ne_u32_e64 s3, 0x7f800000, v178
                                        ; implicit-def: $vgpr178
	s_delay_alu instid0(VALU_DEP_1) | instskip(NEXT) | instid1(SALU_CYCLE_1)
	s_and_saveexec_b32 s4, s3
	s_xor_b32 s3, exec_lo, s4
; %bb.319:                              ;   in Loop: Header=BB394_10 Depth=1
	v_bfe_u32 v178, v8, 16, 1
	s_delay_alu instid0(VALU_DEP_1)
	v_add3_u32 v178, v8, v178, 0x7fff
                                        ; implicit-def: $vgpr8
; %bb.320:                              ;   in Loop: Header=BB394_10 Depth=1
	s_and_not1_saveexec_b32 s4, s3
; %bb.321:                              ;   in Loop: Header=BB394_10 Depth=1
	v_and_b32_e32 v178, 0xffff, v8
	v_or_b32_e32 v179, 0x10000, v8
	s_delay_alu instid0(VALU_DEP_2) | instskip(NEXT) | instid1(VALU_DEP_1)
	v_cmp_eq_u32_e64 s3, 0, v178
	v_cndmask_b32_e64 v178, v179, v8, s3
; %bb.322:                              ;   in Loop: Header=BB394_10 Depth=1
	s_or_b32 exec_lo, exec_lo, s4
	flat_load_u16 v8, v[28:29] offset:776
	s_mov_b32 s4, exec_lo
	s_waitcnt vmcnt(0) lgkmcnt(0)
	v_and_b32_e32 v179, 0xff, v8
	v_and_b32_e32 v180, 0xffff, v8
	v_mov_b32_e32 v8, 0
	s_delay_alu instid0(VALU_DEP_3)
	v_cmpx_ne_u16_e64 0, v179
	s_cbranch_execz .LBB394_330
; %bb.323:                              ;   in Loop: Header=BB394_10 Depth=1
	s_delay_alu instid0(VALU_DEP_3) | instskip(NEXT) | instid1(VALU_DEP_1)
	v_and_b32_e32 v8, 0xff, v180
	v_cmp_ne_u16_e64 s3, 0x80, v8
	v_bfrev_b32_e32 v8, 1
	s_delay_alu instid0(VALU_DEP_2)
	s_and_saveexec_b32 s20, s3
	s_cbranch_execz .LBB394_329
; %bb.324:                              ;   in Loop: Header=BB394_10 Depth=1
	v_and_b32_e32 v181, 0x7f, v180
	v_mov_b32_e32 v8, 0x7f800001
	s_mov_b32 s21, exec_lo
	s_delay_alu instid0(VALU_DEP_2)
	v_cmpx_ne_u32_e32 0x7f, v181
	s_cbranch_execz .LBB394_328
; %bb.325:                              ;   in Loop: Header=BB394_10 Depth=1
	v_and_b32_e32 v8, 7, v180
	v_lshrrev_b32_e32 v179, 3, v181
	s_mov_b32 s22, exec_lo
	v_cmpx_gt_u32_e32 8, v181
; %bb.326:                              ;   in Loop: Header=BB394_10 Depth=1
	s_delay_alu instid0(VALU_DEP_3) | instskip(NEXT) | instid1(VALU_DEP_1)
	v_clz_i32_u32_e32 v179, v8
	v_min_u32_e32 v179, 32, v179
	s_delay_alu instid0(VALU_DEP_1) | instskip(SKIP_1) | instid1(VALU_DEP_2)
	v_subrev_nc_u32_e32 v181, 28, v179
	v_sub_nc_u32_e32 v179, 29, v179
	v_lshlrev_b64 v[181:182], v181, v[8:9]
	s_delay_alu instid0(VALU_DEP_1)
	v_and_b32_e32 v8, 7, v181
; %bb.327:                              ;   in Loop: Header=BB394_10 Depth=1
	s_or_b32 exec_lo, exec_lo, s22
	v_lshlrev_b32_e32 v181, 24, v180
	s_delay_alu instid0(VALU_DEP_2) | instskip(SKIP_1) | instid1(VALU_DEP_3)
	v_lshlrev_b32_e32 v8, 20, v8
	v_lshl_add_u32 v179, v179, 23, 0x3c000000
	v_and_b32_e32 v181, 0x80000000, v181
	s_delay_alu instid0(VALU_DEP_1)
	v_or3_b32 v8, v8, v181, v179
.LBB394_328:                            ;   in Loop: Header=BB394_10 Depth=1
	s_or_b32 exec_lo, exec_lo, s21
.LBB394_329:                            ;   in Loop: Header=BB394_10 Depth=1
	s_delay_alu instid0(SALU_CYCLE_1)
	s_or_b32 exec_lo, exec_lo, s20
.LBB394_330:                            ;   in Loop: Header=BB394_10 Depth=1
	s_delay_alu instid0(SALU_CYCLE_1) | instskip(NEXT) | instid1(VALU_DEP_1)
	s_or_b32 exec_lo, exec_lo, s4
	v_mul_f32_e32 v8, v128, v8
	s_delay_alu instid0(VALU_DEP_1) | instskip(NEXT) | instid1(VALU_DEP_1)
	v_and_b32_e32 v179, 0x7f800000, v8
	v_cmp_ne_u32_e64 s3, 0x7f800000, v179
                                        ; implicit-def: $vgpr179
	s_delay_alu instid0(VALU_DEP_1) | instskip(NEXT) | instid1(SALU_CYCLE_1)
	s_and_saveexec_b32 s4, s3
	s_xor_b32 s3, exec_lo, s4
; %bb.331:                              ;   in Loop: Header=BB394_10 Depth=1
	v_bfe_u32 v179, v8, 16, 1
	s_delay_alu instid0(VALU_DEP_1)
	v_add3_u32 v179, v8, v179, 0x7fff
                                        ; implicit-def: $vgpr8
; %bb.332:                              ;   in Loop: Header=BB394_10 Depth=1
	s_and_not1_saveexec_b32 s4, s3
; %bb.333:                              ;   in Loop: Header=BB394_10 Depth=1
	v_and_b32_e32 v179, 0xffff, v8
	v_or_b32_e32 v181, 0x10000, v8
	s_delay_alu instid0(VALU_DEP_2) | instskip(NEXT) | instid1(VALU_DEP_1)
	v_cmp_eq_u32_e64 s3, 0, v179
	v_cndmask_b32_e64 v179, v181, v8, s3
; %bb.334:                              ;   in Loop: Header=BB394_10 Depth=1
	s_or_b32 exec_lo, exec_lo, s4
	v_lshrrev_b16 v181, 8, v180
	v_mov_b32_e32 v8, 0
	s_mov_b32 s4, exec_lo
	s_delay_alu instid0(VALU_DEP_2)
	v_cmpx_ne_u16_e64 0, v181
	s_cbranch_execz .LBB394_342
; %bb.335:                              ;   in Loop: Header=BB394_10 Depth=1
	v_bfrev_b32_e32 v8, 1
	s_mov_b32 s20, exec_lo
	v_cmpx_ne_u16_e64 0x80, v181
	s_cbranch_execz .LBB394_341
; %bb.336:                              ;   in Loop: Header=BB394_10 Depth=1
	v_and_b32_e32 v181, 0xffff, v181
	v_mov_b32_e32 v8, 0x7f800001
	s_mov_b32 s21, exec_lo
	s_delay_alu instid0(VALU_DEP_2) | instskip(NEXT) | instid1(VALU_DEP_1)
	v_and_b32_e32 v182, 0x7f, v181
	v_cmpx_ne_u32_e32 0x7f, v182
	s_cbranch_execz .LBB394_340
; %bb.337:                              ;   in Loop: Header=BB394_10 Depth=1
	v_and_b32_e32 v8, 7, v181
	v_lshrrev_b32_e32 v181, 3, v182
	s_mov_b32 s22, exec_lo
	v_cmpx_gt_u32_e32 8, v182
; %bb.338:                              ;   in Loop: Header=BB394_10 Depth=1
	s_delay_alu instid0(VALU_DEP_3) | instskip(NEXT) | instid1(VALU_DEP_1)
	v_clz_i32_u32_e32 v181, v8
	v_min_u32_e32 v181, 32, v181
	s_delay_alu instid0(VALU_DEP_1) | instskip(SKIP_1) | instid1(VALU_DEP_2)
	v_subrev_nc_u32_e32 v182, 28, v181
	v_sub_nc_u32_e32 v181, 29, v181
	v_lshlrev_b64 v[182:183], v182, v[8:9]
	s_delay_alu instid0(VALU_DEP_1)
	v_and_b32_e32 v8, 7, v182
; %bb.339:                              ;   in Loop: Header=BB394_10 Depth=1
	s_or_b32 exec_lo, exec_lo, s22
	v_lshlrev_b32_e32 v180, 16, v180
	s_delay_alu instid0(VALU_DEP_2) | instskip(SKIP_1) | instid1(VALU_DEP_3)
	v_lshlrev_b32_e32 v8, 20, v8
	v_lshl_add_u32 v181, v181, 23, 0x3c000000
	v_and_b32_e32 v180, 0x80000000, v180
	s_delay_alu instid0(VALU_DEP_1)
	v_or3_b32 v8, v8, v180, v181
.LBB394_340:                            ;   in Loop: Header=BB394_10 Depth=1
	s_or_b32 exec_lo, exec_lo, s21
.LBB394_341:                            ;   in Loop: Header=BB394_10 Depth=1
	s_delay_alu instid0(SALU_CYCLE_1)
	s_or_b32 exec_lo, exec_lo, s20
.LBB394_342:                            ;   in Loop: Header=BB394_10 Depth=1
	s_delay_alu instid0(SALU_CYCLE_1) | instskip(NEXT) | instid1(VALU_DEP_1)
	s_or_b32 exec_lo, exec_lo, s4
	v_mul_f32_e32 v8, v128, v8
	s_delay_alu instid0(VALU_DEP_1) | instskip(NEXT) | instid1(VALU_DEP_1)
	v_and_b32_e32 v180, 0x7f800000, v8
	v_cmp_ne_u32_e64 s3, 0x7f800000, v180
                                        ; implicit-def: $vgpr180
	s_delay_alu instid0(VALU_DEP_1) | instskip(NEXT) | instid1(SALU_CYCLE_1)
	s_and_saveexec_b32 s4, s3
	s_xor_b32 s3, exec_lo, s4
; %bb.343:                              ;   in Loop: Header=BB394_10 Depth=1
	v_bfe_u32 v180, v8, 16, 1
	s_delay_alu instid0(VALU_DEP_1)
	v_add3_u32 v180, v8, v180, 0x7fff
                                        ; implicit-def: $vgpr8
; %bb.344:                              ;   in Loop: Header=BB394_10 Depth=1
	s_and_not1_saveexec_b32 s4, s3
; %bb.345:                              ;   in Loop: Header=BB394_10 Depth=1
	v_and_b32_e32 v180, 0xffff, v8
	v_or_b32_e32 v181, 0x10000, v8
	s_delay_alu instid0(VALU_DEP_2) | instskip(NEXT) | instid1(VALU_DEP_1)
	v_cmp_eq_u32_e64 s3, 0, v180
	v_cndmask_b32_e64 v180, v181, v8, s3
; %bb.346:                              ;   in Loop: Header=BB394_10 Depth=1
	s_or_b32 exec_lo, exec_lo, s4
	flat_load_u16 v8, v[28:29] offset:896
	s_mov_b32 s4, exec_lo
	s_waitcnt vmcnt(0) lgkmcnt(0)
	v_and_b32_e32 v181, 0xff, v8
	v_and_b32_e32 v182, 0xffff, v8
	v_mov_b32_e32 v8, 0
	s_delay_alu instid0(VALU_DEP_3)
	v_cmpx_ne_u16_e64 0, v181
	s_cbranch_execz .LBB394_354
; %bb.347:                              ;   in Loop: Header=BB394_10 Depth=1
	s_delay_alu instid0(VALU_DEP_3) | instskip(NEXT) | instid1(VALU_DEP_1)
	v_and_b32_e32 v8, 0xff, v182
	v_cmp_ne_u16_e64 s3, 0x80, v8
	v_bfrev_b32_e32 v8, 1
	s_delay_alu instid0(VALU_DEP_2)
	s_and_saveexec_b32 s20, s3
	s_cbranch_execz .LBB394_353
; %bb.348:                              ;   in Loop: Header=BB394_10 Depth=1
	v_and_b32_e32 v183, 0x7f, v182
	v_mov_b32_e32 v8, 0x7f800001
	s_mov_b32 s21, exec_lo
	s_delay_alu instid0(VALU_DEP_2)
	v_cmpx_ne_u32_e32 0x7f, v183
	s_cbranch_execz .LBB394_352
; %bb.349:                              ;   in Loop: Header=BB394_10 Depth=1
	v_and_b32_e32 v8, 7, v182
	v_lshrrev_b32_e32 v181, 3, v183
	s_mov_b32 s22, exec_lo
	v_cmpx_gt_u32_e32 8, v183
; %bb.350:                              ;   in Loop: Header=BB394_10 Depth=1
	s_delay_alu instid0(VALU_DEP_3) | instskip(NEXT) | instid1(VALU_DEP_1)
	v_clz_i32_u32_e32 v181, v8
	v_min_u32_e32 v181, 32, v181
	s_delay_alu instid0(VALU_DEP_1) | instskip(SKIP_1) | instid1(VALU_DEP_2)
	v_subrev_nc_u32_e32 v183, 28, v181
	v_sub_nc_u32_e32 v181, 29, v181
	v_lshlrev_b64 v[40:41], v183, v[8:9]
	s_delay_alu instid0(VALU_DEP_1)
	v_and_b32_e32 v8, 7, v40
; %bb.351:                              ;   in Loop: Header=BB394_10 Depth=1
	s_or_b32 exec_lo, exec_lo, s22
	v_lshlrev_b32_e32 v183, 24, v182
	s_delay_alu instid0(VALU_DEP_2) | instskip(SKIP_1) | instid1(VALU_DEP_3)
	v_lshlrev_b32_e32 v8, 20, v8
	v_lshl_add_u32 v181, v181, 23, 0x3c000000
	v_and_b32_e32 v183, 0x80000000, v183
	s_delay_alu instid0(VALU_DEP_1)
	v_or3_b32 v8, v8, v183, v181
.LBB394_352:                            ;   in Loop: Header=BB394_10 Depth=1
	s_or_b32 exec_lo, exec_lo, s21
.LBB394_353:                            ;   in Loop: Header=BB394_10 Depth=1
	s_delay_alu instid0(SALU_CYCLE_1)
	s_or_b32 exec_lo, exec_lo, s20
.LBB394_354:                            ;   in Loop: Header=BB394_10 Depth=1
	s_delay_alu instid0(SALU_CYCLE_1) | instskip(NEXT) | instid1(VALU_DEP_1)
	s_or_b32 exec_lo, exec_lo, s4
	v_mul_f32_e32 v8, v128, v8
	s_delay_alu instid0(VALU_DEP_1) | instskip(NEXT) | instid1(VALU_DEP_1)
	v_and_b32_e32 v181, 0x7f800000, v8
	v_cmp_ne_u32_e64 s3, 0x7f800000, v181
                                        ; implicit-def: $vgpr181
	s_delay_alu instid0(VALU_DEP_1) | instskip(NEXT) | instid1(SALU_CYCLE_1)
	s_and_saveexec_b32 s4, s3
	s_xor_b32 s3, exec_lo, s4
; %bb.355:                              ;   in Loop: Header=BB394_10 Depth=1
	v_bfe_u32 v181, v8, 16, 1
	s_delay_alu instid0(VALU_DEP_1)
	v_add3_u32 v181, v8, v181, 0x7fff
                                        ; implicit-def: $vgpr8
; %bb.356:                              ;   in Loop: Header=BB394_10 Depth=1
	s_and_not1_saveexec_b32 s4, s3
; %bb.357:                              ;   in Loop: Header=BB394_10 Depth=1
	v_and_b32_e32 v181, 0xffff, v8
	v_or_b32_e32 v183, 0x10000, v8
	s_delay_alu instid0(VALU_DEP_2) | instskip(NEXT) | instid1(VALU_DEP_1)
	v_cmp_eq_u32_e64 s3, 0, v181
	v_cndmask_b32_e64 v181, v183, v8, s3
; %bb.358:                              ;   in Loop: Header=BB394_10 Depth=1
	s_or_b32 exec_lo, exec_lo, s4
	v_lshrrev_b16 v183, 8, v182
	v_mov_b32_e32 v8, 0
	s_mov_b32 s4, exec_lo
	s_delay_alu instid0(VALU_DEP_2)
	v_cmpx_ne_u16_e64 0, v183
	s_cbranch_execz .LBB394_366
; %bb.359:                              ;   in Loop: Header=BB394_10 Depth=1
	v_bfrev_b32_e32 v8, 1
	s_mov_b32 s20, exec_lo
	v_cmpx_ne_u16_e64 0x80, v183
	s_cbranch_execz .LBB394_365
; %bb.360:                              ;   in Loop: Header=BB394_10 Depth=1
	v_and_b32_e32 v183, 0xffff, v183
	v_mov_b32_e32 v8, 0x7f800001
	s_mov_b32 s21, exec_lo
	s_delay_alu instid0(VALU_DEP_2) | instskip(NEXT) | instid1(VALU_DEP_1)
	v_and_b32_e32 v40, 0x7f, v183
	v_cmpx_ne_u32_e32 0x7f, v40
	s_cbranch_execz .LBB394_364
; %bb.361:                              ;   in Loop: Header=BB394_10 Depth=1
	v_and_b32_e32 v8, 7, v183
	v_lshrrev_b32_e32 v183, 3, v40
	s_mov_b32 s22, exec_lo
	v_cmpx_gt_u32_e32 8, v40
; %bb.362:                              ;   in Loop: Header=BB394_10 Depth=1
	s_delay_alu instid0(VALU_DEP_3) | instskip(NEXT) | instid1(VALU_DEP_1)
	v_clz_i32_u32_e32 v183, v8
	v_min_u32_e32 v183, 32, v183
	s_delay_alu instid0(VALU_DEP_1) | instskip(SKIP_1) | instid1(VALU_DEP_2)
	v_subrev_nc_u32_e32 v40, 28, v183
	v_sub_nc_u32_e32 v183, 29, v183
	v_lshlrev_b64 v[40:41], v40, v[8:9]
	s_delay_alu instid0(VALU_DEP_1)
	v_and_b32_e32 v8, 7, v40
; %bb.363:                              ;   in Loop: Header=BB394_10 Depth=1
	s_or_b32 exec_lo, exec_lo, s22
	v_lshlrev_b32_e32 v182, 16, v182
	s_delay_alu instid0(VALU_DEP_2) | instskip(SKIP_1) | instid1(VALU_DEP_3)
	v_lshlrev_b32_e32 v8, 20, v8
	v_lshl_add_u32 v183, v183, 23, 0x3c000000
	v_and_b32_e32 v182, 0x80000000, v182
	s_delay_alu instid0(VALU_DEP_1)
	v_or3_b32 v8, v8, v182, v183
.LBB394_364:                            ;   in Loop: Header=BB394_10 Depth=1
	s_or_b32 exec_lo, exec_lo, s21
.LBB394_365:                            ;   in Loop: Header=BB394_10 Depth=1
	s_delay_alu instid0(SALU_CYCLE_1)
	s_or_b32 exec_lo, exec_lo, s20
.LBB394_366:                            ;   in Loop: Header=BB394_10 Depth=1
	s_delay_alu instid0(SALU_CYCLE_1) | instskip(NEXT) | instid1(VALU_DEP_1)
	s_or_b32 exec_lo, exec_lo, s4
	v_mul_f32_e32 v8, v128, v8
	s_delay_alu instid0(VALU_DEP_1) | instskip(NEXT) | instid1(VALU_DEP_1)
	v_and_b32_e32 v182, 0x7f800000, v8
	v_cmp_ne_u32_e64 s3, 0x7f800000, v182
                                        ; implicit-def: $vgpr182
	s_delay_alu instid0(VALU_DEP_1) | instskip(NEXT) | instid1(SALU_CYCLE_1)
	s_and_saveexec_b32 s4, s3
	s_xor_b32 s3, exec_lo, s4
; %bb.367:                              ;   in Loop: Header=BB394_10 Depth=1
	v_bfe_u32 v182, v8, 16, 1
	s_delay_alu instid0(VALU_DEP_1)
	v_add3_u32 v182, v8, v182, 0x7fff
                                        ; implicit-def: $vgpr8
; %bb.368:                              ;   in Loop: Header=BB394_10 Depth=1
	s_and_not1_saveexec_b32 s4, s3
; %bb.369:                              ;   in Loop: Header=BB394_10 Depth=1
	v_and_b32_e32 v182, 0xffff, v8
	v_or_b32_e32 v183, 0x10000, v8
	s_delay_alu instid0(VALU_DEP_2) | instskip(NEXT) | instid1(VALU_DEP_1)
	v_cmp_eq_u32_e64 s3, 0, v182
	v_cndmask_b32_e64 v182, v183, v8, s3
; %bb.370:                              ;   in Loop: Header=BB394_10 Depth=1
	s_or_b32 exec_lo, exec_lo, s4
	flat_load_u16 v8, v[28:29] offset:904
	s_mov_b32 s4, exec_lo
	s_waitcnt vmcnt(0) lgkmcnt(0)
	v_and_b32_e32 v28, 0xff, v8
	v_dual_mov_b32 v8, 0 :: v_dual_and_b32 v29, 0xffff, v8
	s_delay_alu instid0(VALU_DEP_2)
	v_cmpx_ne_u16_e32 0, v28
	s_cbranch_execz .LBB394_378
; %bb.371:                              ;   in Loop: Header=BB394_10 Depth=1
	s_delay_alu instid0(VALU_DEP_2) | instskip(NEXT) | instid1(VALU_DEP_1)
	v_and_b32_e32 v8, 0xff, v29
	v_cmp_ne_u16_e64 s3, 0x80, v8
	v_bfrev_b32_e32 v8, 1
	s_delay_alu instid0(VALU_DEP_2)
	s_and_saveexec_b32 s20, s3
	s_cbranch_execz .LBB394_377
; %bb.372:                              ;   in Loop: Header=BB394_10 Depth=1
	v_and_b32_e32 v183, 0x7f, v29
	v_mov_b32_e32 v8, 0x7f800001
	s_mov_b32 s21, exec_lo
	s_delay_alu instid0(VALU_DEP_2)
	v_cmpx_ne_u32_e32 0x7f, v183
	s_cbranch_execz .LBB394_376
; %bb.373:                              ;   in Loop: Header=BB394_10 Depth=1
	v_and_b32_e32 v8, 7, v29
	v_lshrrev_b32_e32 v28, 3, v183
	s_mov_b32 s22, exec_lo
	v_cmpx_gt_u32_e32 8, v183
; %bb.374:                              ;   in Loop: Header=BB394_10 Depth=1
	s_delay_alu instid0(VALU_DEP_3) | instskip(NEXT) | instid1(VALU_DEP_1)
	v_clz_i32_u32_e32 v28, v8
	v_min_u32_e32 v28, 32, v28
	s_delay_alu instid0(VALU_DEP_1) | instskip(SKIP_1) | instid1(VALU_DEP_2)
	v_subrev_nc_u32_e32 v183, 28, v28
	v_sub_nc_u32_e32 v28, 29, v28
	v_lshlrev_b64 v[40:41], v183, v[8:9]
	s_delay_alu instid0(VALU_DEP_1)
	v_and_b32_e32 v8, 7, v40
; %bb.375:                              ;   in Loop: Header=BB394_10 Depth=1
	s_or_b32 exec_lo, exec_lo, s22
	v_lshlrev_b32_e32 v183, 24, v29
	s_delay_alu instid0(VALU_DEP_2) | instskip(SKIP_1) | instid1(VALU_DEP_3)
	v_lshlrev_b32_e32 v8, 20, v8
	v_lshl_add_u32 v28, v28, 23, 0x3c000000
	v_and_b32_e32 v183, 0x80000000, v183
	s_delay_alu instid0(VALU_DEP_1)
	v_or3_b32 v8, v8, v183, v28
.LBB394_376:                            ;   in Loop: Header=BB394_10 Depth=1
	s_or_b32 exec_lo, exec_lo, s21
.LBB394_377:                            ;   in Loop: Header=BB394_10 Depth=1
	s_delay_alu instid0(SALU_CYCLE_1)
	s_or_b32 exec_lo, exec_lo, s20
.LBB394_378:                            ;   in Loop: Header=BB394_10 Depth=1
	s_delay_alu instid0(SALU_CYCLE_1) | instskip(NEXT) | instid1(VALU_DEP_1)
	s_or_b32 exec_lo, exec_lo, s4
	v_mul_f32_e32 v8, v128, v8
	s_delay_alu instid0(VALU_DEP_1) | instskip(NEXT) | instid1(VALU_DEP_1)
	v_and_b32_e32 v28, 0x7f800000, v8
	v_cmp_ne_u32_e64 s3, 0x7f800000, v28
                                        ; implicit-def: $vgpr28
	s_delay_alu instid0(VALU_DEP_1) | instskip(NEXT) | instid1(SALU_CYCLE_1)
	s_and_saveexec_b32 s4, s3
	s_xor_b32 s3, exec_lo, s4
; %bb.379:                              ;   in Loop: Header=BB394_10 Depth=1
	v_bfe_u32 v28, v8, 16, 1
	s_delay_alu instid0(VALU_DEP_1)
	v_add3_u32 v28, v8, v28, 0x7fff
                                        ; implicit-def: $vgpr8
; %bb.380:                              ;   in Loop: Header=BB394_10 Depth=1
	s_and_not1_saveexec_b32 s4, s3
; %bb.381:                              ;   in Loop: Header=BB394_10 Depth=1
	v_and_b32_e32 v28, 0xffff, v8
	v_or_b32_e32 v183, 0x10000, v8
	s_delay_alu instid0(VALU_DEP_2) | instskip(NEXT) | instid1(VALU_DEP_1)
	v_cmp_eq_u32_e64 s3, 0, v28
	v_cndmask_b32_e64 v28, v183, v8, s3
; %bb.382:                              ;   in Loop: Header=BB394_10 Depth=1
	s_or_b32 exec_lo, exec_lo, s4
	v_lshrrev_b16 v183, 8, v29
	v_mov_b32_e32 v8, 0
	s_mov_b32 s4, exec_lo
	s_delay_alu instid0(VALU_DEP_2)
	v_cmpx_ne_u16_e64 0, v183
	s_cbranch_execz .LBB394_390
; %bb.383:                              ;   in Loop: Header=BB394_10 Depth=1
	v_bfrev_b32_e32 v8, 1
	s_mov_b32 s20, exec_lo
	v_cmpx_ne_u16_e64 0x80, v183
	s_cbranch_execz .LBB394_389
; %bb.384:                              ;   in Loop: Header=BB394_10 Depth=1
	v_and_b32_e32 v183, 0xffff, v183
	v_mov_b32_e32 v8, 0x7f800001
	s_mov_b32 s21, exec_lo
	s_delay_alu instid0(VALU_DEP_2) | instskip(NEXT) | instid1(VALU_DEP_1)
	v_and_b32_e32 v40, 0x7f, v183
	v_cmpx_ne_u32_e32 0x7f, v40
	s_cbranch_execz .LBB394_388
; %bb.385:                              ;   in Loop: Header=BB394_10 Depth=1
	v_and_b32_e32 v8, 7, v183
	v_lshrrev_b32_e32 v183, 3, v40
	s_mov_b32 s22, exec_lo
	v_cmpx_gt_u32_e32 8, v40
; %bb.386:                              ;   in Loop: Header=BB394_10 Depth=1
	s_delay_alu instid0(VALU_DEP_3) | instskip(NEXT) | instid1(VALU_DEP_1)
	v_clz_i32_u32_e32 v183, v8
	v_min_u32_e32 v183, 32, v183
	s_delay_alu instid0(VALU_DEP_1) | instskip(SKIP_1) | instid1(VALU_DEP_2)
	v_subrev_nc_u32_e32 v40, 28, v183
	v_sub_nc_u32_e32 v183, 29, v183
	v_lshlrev_b64 v[40:41], v40, v[8:9]
	s_delay_alu instid0(VALU_DEP_1)
	v_and_b32_e32 v8, 7, v40
; %bb.387:                              ;   in Loop: Header=BB394_10 Depth=1
	s_or_b32 exec_lo, exec_lo, s22
	v_lshlrev_b32_e32 v29, 16, v29
	s_delay_alu instid0(VALU_DEP_2) | instskip(SKIP_1) | instid1(VALU_DEP_3)
	v_lshlrev_b32_e32 v8, 20, v8
	v_lshl_add_u32 v183, v183, 23, 0x3c000000
	v_and_b32_e32 v29, 0x80000000, v29
	s_delay_alu instid0(VALU_DEP_1)
	v_or3_b32 v8, v8, v29, v183
.LBB394_388:                            ;   in Loop: Header=BB394_10 Depth=1
	s_or_b32 exec_lo, exec_lo, s21
.LBB394_389:                            ;   in Loop: Header=BB394_10 Depth=1
	s_delay_alu instid0(SALU_CYCLE_1)
	s_or_b32 exec_lo, exec_lo, s20
.LBB394_390:                            ;   in Loop: Header=BB394_10 Depth=1
	s_delay_alu instid0(SALU_CYCLE_1) | instskip(NEXT) | instid1(VALU_DEP_1)
	s_or_b32 exec_lo, exec_lo, s4
	v_mul_f32_e32 v29, v128, v8
	s_delay_alu instid0(VALU_DEP_1) | instskip(NEXT) | instid1(VALU_DEP_1)
	v_and_b32_e32 v8, 0x7f800000, v29
	v_cmp_ne_u32_e64 s3, 0x7f800000, v8
                                        ; implicit-def: $vgpr8
	s_delay_alu instid0(VALU_DEP_1) | instskip(NEXT) | instid1(SALU_CYCLE_1)
	s_and_saveexec_b32 s4, s3
	s_xor_b32 s3, exec_lo, s4
; %bb.391:                              ;   in Loop: Header=BB394_10 Depth=1
	v_bfe_u32 v8, v29, 16, 1
	s_delay_alu instid0(VALU_DEP_1)
	v_add3_u32 v8, v29, v8, 0x7fff
                                        ; implicit-def: $vgpr29
; %bb.392:                              ;   in Loop: Header=BB394_10 Depth=1
	s_and_not1_saveexec_b32 s4, s3
; %bb.393:                              ;   in Loop: Header=BB394_10 Depth=1
	v_and_b32_e32 v8, 0xffff, v29
	v_or_b32_e32 v128, 0x10000, v29
	s_delay_alu instid0(VALU_DEP_2) | instskip(NEXT) | instid1(VALU_DEP_1)
	v_cmp_eq_u32_e64 s3, 0, v8
	v_cndmask_b32_e64 v8, v128, v29, s3
; %bb.394:                              ;   in Loop: Header=BB394_10 Depth=1
	s_or_b32 exec_lo, exec_lo, s4
	v_and_b32_e32 v128, 0xffff0000, v132
	v_and_b32_e32 v29, 0xffff0000, v131
	;; [unrolled: 1-line block ×4, first 2 shown]
	s_delay_alu instid0(VALU_DEP_4) | instskip(NEXT) | instid1(VALU_DEP_4)
	v_dual_mul_f32 v128, v52, v128 :: v_dual_and_b32 v129, 0xffff0000, v129
	v_dual_mul_f32 v29, v51, v29 :: v_dual_and_b32 v130, 0xffff0000, v130
	s_delay_alu instid0(VALU_DEP_1) | instskip(SKIP_4) | instid1(VALU_DEP_1)
	v_dual_fmac_f32 v29, v49, v129 :: v_dual_fmac_f32 v128, v50, v130
	v_and_b32_e32 v129, 0xffff0000, v144
	v_and_b32_e32 v131, 0xffff0000, v134
	v_and_b32_e32 v130, 0xffff0000, v135
	v_and_b32_e32 v132, 0xffff0000, v133
	v_dual_fmac_f32 v128, v54, v131 :: v_dual_fmac_f32 v29, v53, v132
	s_delay_alu instid0(VALU_DEP_1) | instskip(SKIP_1) | instid1(VALU_DEP_3)
	v_dual_fmac_f32 v128, v64, v129 :: v_dual_and_b32 v129, 0xffff0000, v148
	v_and_b32_e32 v131, 0xffff0000, v146
	v_dual_fmac_f32 v29, v55, v130 :: v_dual_and_b32 v130, 0xffff0000, v147
	v_and_b32_e32 v132, 0xffff0000, v145
	s_delay_alu instid0(VALU_DEP_1) | instskip(NEXT) | instid1(VALU_DEP_1)
	v_dual_fmac_f32 v128, v66, v131 :: v_dual_fmac_f32 v29, v65, v132
	v_dual_fmac_f32 v128, v68, v129 :: v_dual_and_b32 v129, 0xffff0000, v160
	v_and_b32_e32 v131, 0xffff0000, v150
	s_delay_alu instid0(VALU_DEP_3) | instskip(SKIP_1) | instid1(VALU_DEP_1)
	v_dual_fmac_f32 v29, v67, v130 :: v_dual_and_b32 v130, 0xffff0000, v151
	v_and_b32_e32 v132, 0xffff0000, v149
	v_dual_fmac_f32 v128, v70, v131 :: v_dual_fmac_f32 v29, v69, v132
	s_delay_alu instid0(VALU_DEP_1) | instskip(SKIP_1) | instid1(VALU_DEP_3)
	v_dual_fmac_f32 v128, v80, v129 :: v_dual_and_b32 v129, 0xffff0000, v164
	v_and_b32_e32 v131, 0xffff0000, v162
	v_dual_fmac_f32 v29, v71, v130 :: v_dual_and_b32 v130, 0xffff0000, v163
	v_and_b32_e32 v132, 0xffff0000, v161
	s_delay_alu instid0(VALU_DEP_1) | instskip(NEXT) | instid1(VALU_DEP_1)
	v_dual_fmac_f32 v128, v82, v131 :: v_dual_fmac_f32 v29, v81, v132
	v_dual_fmac_f32 v128, v84, v129 :: v_dual_and_b32 v129, 0xffff0000, v176
	v_and_b32_e32 v131, 0xffff0000, v166
	s_delay_alu instid0(VALU_DEP_3) | instskip(SKIP_1) | instid1(VALU_DEP_1)
	v_dual_fmac_f32 v29, v83, v130 :: v_dual_and_b32 v130, 0xffff0000, v167
	v_and_b32_e32 v132, 0xffff0000, v165
	v_dual_fmac_f32 v128, v86, v131 :: v_dual_fmac_f32 v29, v85, v132
	s_delay_alu instid0(VALU_DEP_1) | instskip(SKIP_1) | instid1(VALU_DEP_3)
	v_dual_fmac_f32 v128, v96, v129 :: v_dual_and_b32 v129, 0xffff0000, v180
	v_and_b32_e32 v131, 0xffff0000, v178
	v_dual_fmac_f32 v29, v87, v130 :: v_dual_and_b32 v130, 0xffff0000, v179
	v_and_b32_e32 v132, 0xffff0000, v177
	s_delay_alu instid0(VALU_DEP_3) | instskip(NEXT) | instid1(VALU_DEP_2)
	v_dual_fmac_f32 v128, v98, v131 :: v_dual_and_b32 v131, 0xffff0000, v182
	v_dual_fmac_f32 v29, v97, v132 :: v_dual_and_b32 v132, 0xffff0000, v181
	s_delay_alu instid0(VALU_DEP_1) | instskip(NEXT) | instid1(VALU_DEP_1)
	v_dual_fmac_f32 v128, v100, v129 :: v_dual_fmac_f32 v29, v99, v130
	v_dual_fmac_f32 v128, v102, v131 :: v_dual_fmac_f32 v29, v101, v132
	s_delay_alu instid0(VALU_DEP_1) | instskip(NEXT) | instid1(VALU_DEP_2)
	v_fmac_f32_e32 v128, v113, v8
	v_fmac_f32_e32 v29, v103, v28
	s_delay_alu instid0(VALU_DEP_1)
	v_add_f32_e32 v8, v29, v128
	ds_bpermute_b32 v28, v114, v8
	s_waitcnt lgkmcnt(0)
	v_add_f32_e32 v8, v8, v28
	ds_bpermute_b32 v28, v115, v8
	s_and_saveexec_b32 s4, vcc_lo
	s_cbranch_execz .LBB394_9
; %bb.395:                              ;   in Loop: Header=BB394_10 Depth=1
	v_add_nc_u32_e32 v29, v116, v117
	s_load_b32 s20, s[8:9], 0x0
	v_cmp_lt_i32_e64 s3, v117, v32
	s_waitcnt lgkmcnt(0)
	v_add_f32_e32 v8, v8, v28
	v_cvt_f32_i32_e32 v29, v29
	s_delay_alu instid0(VALU_DEP_1) | instskip(NEXT) | instid1(VALU_DEP_1)
	v_mul_f32_e32 v29, v39, v29
	v_cndmask_b32_e64 v28, 0, v29, s2
	v_max_f32_e32 v29, v112, v112
	s_delay_alu instid0(VALU_DEP_2) | instskip(NEXT) | instid1(VALU_DEP_1)
	v_fmac_f32_e32 v28, v8, v13
	v_dual_max_f32 v8, v29, v28 :: v_dual_add_nc_u32 v29, s20, v118
	v_cndmask_b32_e64 v28, 0, v28, s3
	s_delay_alu instid0(VALU_DEP_2)
	v_cndmask_b32_e64 v112, v112, v8, s3
	ds_store_b32 v29, v28
	s_branch .LBB394_9
.LBB394_396:
	s_or_b32 exec_lo, exec_lo, s11
.LBB394_397:
	s_delay_alu instid0(SALU_CYCLE_1)
	s_or_b32 exec_lo, exec_lo, s15
	v_xor_b32_e32 v8, 16, v38
	v_xor_b32_e32 v9, 8, v38
	v_lshlrev_b32_e32 v20, 2, v33
	s_waitcnt lgkmcnt(0)
	s_lshr_b32 s8, s19, 16
	v_cmp_lt_i32_e32 vcc_lo, v8, v48
	v_cndmask_b32_e32 v8, v38, v8, vcc_lo
	v_cmp_lt_i32_e32 vcc_lo, v9, v48
	s_delay_alu instid0(VALU_DEP_2) | instskip(SKIP_3) | instid1(VALU_DEP_1)
	v_lshlrev_b32_e32 v13, 2, v8
	ds_bpermute_b32 v8, v13, v112
	s_waitcnt lgkmcnt(0)
	v_dual_cndmask_b32 v9, v38, v9 :: v_dual_max_f32 v8, v8, v8
	v_dual_max_f32 v19, v112, v112 :: v_dual_lshlrev_b32 v18, 2, v9
	s_delay_alu instid0(VALU_DEP_1) | instskip(SKIP_1) | instid1(VALU_DEP_1)
	v_max_f32_e32 v8, v19, v8
	v_xor_b32_e32 v19, 4, v38
	v_cmp_lt_i32_e32 vcc_lo, v19, v48
	v_cndmask_b32_e32 v19, v38, v19, vcc_lo
	ds_bpermute_b32 v9, v18, v8
	v_lshlrev_b32_e32 v23, 2, v19
	v_and_b32_e32 v19, 31, v30
	s_delay_alu instid0(VALU_DEP_1) | instskip(SKIP_2) | instid1(VALU_DEP_1)
	v_cmp_eq_u32_e32 vcc_lo, 0, v19
	s_waitcnt lgkmcnt(0)
	v_max_f32_e32 v9, v9, v9
	v_max_f32_e32 v8, v8, v9
	ds_bpermute_b32 v9, v23, v8
	s_and_saveexec_b32 s2, vcc_lo
	s_cbranch_execz .LBB394_399
; %bb.398:
	s_waitcnt lgkmcnt(0)
	v_dual_max_f32 v9, v9, v9 :: v_dual_max_f32 v8, v8, v8
	s_delay_alu instid0(VALU_DEP_1)
	v_max_f32_e32 v8, v8, v9
	ds_store_b32 v20, v8 offset:256
.LBB394_399:
	s_or_b32 exec_lo, exec_lo, s2
	v_cmp_gt_u32_e64 s2, 4, v19
	v_dual_mov_b32 v8, 0xff7fffff :: v_dual_lshlrev_b32 v21, 2, v19
	s_waitcnt lgkmcnt(0)
	s_barrier
	buffer_gl0_inv
	s_and_saveexec_b32 s3, s2
	s_cbranch_execz .LBB394_401
; %bb.400:
	ds_load_b32 v8, v21 offset:256
.LBB394_401:
	s_or_b32 exec_lo, exec_lo, s3
	v_xor_b32_e32 v9, 2, v38
	v_xor_b32_e32 v25, 1, v38
	v_subrev_nc_u32_e32 v29, s13, v34
	v_lshlrev_b32_e32 v28, 2, v38
	s_delay_alu instid0(VALU_DEP_4) | instskip(NEXT) | instid1(VALU_DEP_2)
	v_cmp_lt_i32_e64 s3, v9, v48
	v_and_b32_e32 v28, 0xffffff80, v28
	s_delay_alu instid0(VALU_DEP_2) | instskip(SKIP_1) | instid1(VALU_DEP_2)
	v_cndmask_b32_e64 v9, v38, v9, s3
	v_cmp_lt_i32_e64 s3, v25, v48
	v_lshlrev_b32_e32 v24, 2, v9
	s_delay_alu instid0(VALU_DEP_2)
	v_cndmask_b32_e64 v25, v38, v25, s3
	s_waitcnt lgkmcnt(0)
	ds_bpermute_b32 v9, v24, v8
	v_dual_max_f32 v8, v8, v8 :: v_dual_lshlrev_b32 v25, 2, v25
	s_waitcnt lgkmcnt(0)
	v_max_f32_e32 v9, v9, v9
	s_delay_alu instid0(VALU_DEP_1) | instskip(SKIP_3) | instid1(VALU_DEP_1)
	v_max_f32_e32 v8, v8, v9
	ds_bpermute_b32 v9, v25, v8
	s_waitcnt lgkmcnt(0)
	v_max_f32_e32 v9, v9, v9
	v_max_f32_e32 v8, v8, v9
	v_lshl_add_u32 v9, v29, 3, s18
	v_mov_b32_e32 v29, 0
	ds_bpermute_b32 v8, v28, v8
	v_min_i32_e32 v9, v9, v32
	s_delay_alu instid0(VALU_DEP_1) | instskip(NEXT) | instid1(VALU_DEP_1)
	v_subrev_nc_u32_e32 v9, s18, v9
	v_cmp_lt_i32_e64 s3, v30, v9
	s_delay_alu instid0(VALU_DEP_1)
	s_and_saveexec_b32 s9, s3
	s_cbranch_execz .LBB394_405
; %bb.402:
	s_getpc_b64 s[20:21]
	s_add_u32 s20, s20, llvm.amdgcn.dynlds.offset.table@rel32@lo+4
	s_addc_u32 s21, s21, llvm.amdgcn.dynlds.offset.table@rel32@hi+12
	s_ashr_i32 s11, s10, 31
	v_mov_b32_e32 v29, 0
	s_lshl_b64 s[22:23], s[10:11], 2
	v_mov_b32_e32 v39, v30
	s_add_u32 s20, s22, s20
	s_addc_u32 s21, s23, s21
	s_mov_b32 s11, 0
	s_load_b32 s4, s[20:21], 0x0
	s_waitcnt lgkmcnt(0)
	v_lshl_add_u32 v38, v30, 2, s4
	.p2align	6
.LBB394_403:                            ; =>This Inner Loop Header: Depth=1
	ds_load_b32 v48, v38
	v_add_nc_u32_e32 v39, 0x80, v39
	s_delay_alu instid0(VALU_DEP_1) | instskip(NEXT) | instid1(VALU_DEP_1)
	v_cmp_ge_i32_e64 s4, v39, v9
	s_or_b32 s11, s4, s11
	s_waitcnt lgkmcnt(0)
	v_sub_f32_e32 v48, v48, v8
	s_delay_alu instid0(VALU_DEP_1) | instskip(NEXT) | instid1(VALU_DEP_1)
	v_mul_f32_e32 v48, 0x3fb8aa3b, v48
	v_exp_f32_e32 v48, v48
	ds_store_b32 v38, v48
	v_dual_add_f32 v29, v29, v48 :: v_dual_add_nc_u32 v38, 0x200, v38
	s_and_not1_b32 exec_lo, exec_lo, s11
	s_cbranch_execnz .LBB394_403
; %bb.404:
	s_or_b32 exec_lo, exec_lo, s11
.LBB394_405:
	s_delay_alu instid0(SALU_CYCLE_1)
	s_or_b32 exec_lo, exec_lo, s9
	ds_bpermute_b32 v13, v13, v29
	s_waitcnt lgkmcnt(0)
	v_add_f32_e32 v13, v29, v13
	ds_bpermute_b32 v18, v18, v13
	s_waitcnt lgkmcnt(0)
	v_add_f32_e32 v13, v13, v18
	;; [unrolled: 3-line block ×5, first 2 shown]
	s_and_saveexec_b32 s4, vcc_lo
	s_cbranch_execz .LBB394_407
; %bb.406:
	ds_store_b32 v20, v13 offset:272
.LBB394_407:
	s_or_b32 exec_lo, exec_lo, s4
	s_waitcnt lgkmcnt(0)
	s_barrier
	buffer_gl0_inv
	s_and_saveexec_b32 s4, s2
	s_cbranch_execz .LBB394_409
; %bb.408:
	ds_load_b32 v13, v21 offset:272
.LBB394_409:
	s_or_b32 exec_lo, exec_lo, s4
	s_waitcnt lgkmcnt(0)
	ds_bpermute_b32 v18, v24, v13
	s_waitcnt lgkmcnt(0)
	v_add_f32_e32 v13, v13, v18
	ds_bpermute_b32 v18, v25, v13
	s_waitcnt lgkmcnt(0)
	v_add_f32_e32 v13, v13, v18
	ds_bpermute_b32 v13, v28, v13
	s_and_saveexec_b32 s2, s3
	s_cbranch_execz .LBB394_412
; %bb.410:
	s_waitcnt lgkmcnt(0)
	v_add_f32_e32 v20, 0x358637bd, v13
	s_getpc_b64 s[20:21]
	s_add_u32 s20, s20, llvm.amdgcn.dynlds.offset.table@rel32@lo+4
	s_addc_u32 s21, s21, llvm.amdgcn.dynlds.offset.table@rel32@hi+12
	s_ashr_i32 s11, s10, 31
	s_delay_alu instid0(SALU_CYCLE_1) | instskip(SKIP_3) | instid1(VALU_DEP_2)
	s_lshl_b64 s[22:23], s[10:11], 2
	v_div_scale_f32 v18, null, v20, v20, 1.0
	v_div_scale_f32 v24, vcc_lo, 1.0, v20, 1.0
	s_add_u32 s20, s22, s20
	v_rcp_f32_e32 v21, v18
	s_addc_u32 s21, s23, s21
	s_load_b32 s3, s[20:21], 0x0
	s_waitcnt_depctr 0xfff
	v_fma_f32 v23, -v18, v21, 1.0
	s_delay_alu instid0(VALU_DEP_1) | instskip(NEXT) | instid1(VALU_DEP_1)
	v_fmac_f32_e32 v21, v23, v21
	v_mul_f32_e32 v23, v24, v21
	s_delay_alu instid0(VALU_DEP_1) | instskip(NEXT) | instid1(VALU_DEP_1)
	v_fma_f32 v25, -v18, v23, v24
	v_fmac_f32_e32 v23, v25, v21
	s_delay_alu instid0(VALU_DEP_1) | instskip(NEXT) | instid1(VALU_DEP_1)
	v_fma_f32 v18, -v18, v23, v24
	v_div_fmas_f32 v21, v18, v21, v23
	s_waitcnt lgkmcnt(0)
	v_lshl_add_u32 v18, v30, 2, s3
	s_mov_b32 s3, 0
	s_delay_alu instid0(VALU_DEP_2)
	v_div_fixup_f32 v20, v21, v20, 1.0
	v_mov_b32_e32 v21, v30
.LBB394_411:                            ; =>This Inner Loop Header: Depth=1
	ds_load_b32 v23, v18
	v_add_nc_u32_e32 v21, 0x80, v21
	s_delay_alu instid0(VALU_DEP_1)
	v_cmp_ge_i32_e32 vcc_lo, v21, v9
	s_or_b32 s3, vcc_lo, s3
	s_waitcnt lgkmcnt(0)
	v_mul_f32_e32 v23, v20, v23
	ds_store_b32 v18, v23
	v_add_nc_u32_e32 v18, 0x200, v18
	s_and_not1_b32 exec_lo, exec_lo, s3
	s_cbranch_execnz .LBB394_411
.LBB394_412:
	s_or_b32 exec_lo, exec_lo, s2
	v_cmp_ne_u16_e64 s2, s8, 0
	s_mov_b32 s4, exec_lo
	s_waitcnt lgkmcnt(0)
	s_barrier
	buffer_gl0_inv
	s_cmp_lg_u32 s2, 0
	s_addc_u32 s7, s7, 0
	s_delay_alu instid0(SALU_CYCLE_1) | instskip(NEXT) | instid1(SALU_CYCLE_1)
	s_mul_i32 s2, s7, s16
	s_mul_i32 s2, s2, s5
	v_cmpx_eq_u32_e32 0, v30
	s_cbranch_execz .LBB394_414
; %bb.413:
	s_mul_i32 s8, s7, s12
	s_ashr_i32 s15, s14, 31
	s_ashr_i32 s9, s8, 31
	;; [unrolled: 1-line block ×3, first 2 shown]
	s_lshl_b64 s[8:9], s[8:9], 2
	s_lshl_b64 s[12:13], s[14:15], 2
	;; [unrolled: 1-line block ×3, first 2 shown]
	s_add_u32 s3, s12, s8
	s_addc_u32 s5, s13, s9
	s_add_u32 s3, s3, s20
	s_addc_u32 s5, s5, s21
	v_add_co_u32 v2, vcc_lo, s3, v2
	v_add_co_ci_u32_e32 v3, vcc_lo, s5, v3, vcc_lo
	v_add_co_u32 v0, vcc_lo, s3, v0
	v_add_co_ci_u32_e32 v1, vcc_lo, s5, v1, vcc_lo
	flat_store_b32 v[2:3], v8
	flat_store_b32 v[0:1], v13
.LBB394_414:
	s_or_b32 exec_lo, exec_lo, s4
                                        ; implicit-def: $sgpr4
	s_and_saveexec_b32 s3, s1
	s_delay_alu instid0(SALU_CYCLE_1)
	s_xor_b32 s1, exec_lo, s3
; %bb.415:
	s_ashr_i32 s11, s10, 31
	s_mov_b32 s4, 0
                                        ; implicit-def: $vgpr32
                                        ; implicit-def: $vgpr12
                                        ; implicit-def: $vgpr34
                                        ; implicit-def: $vgpr16
                                        ; implicit-def: $vgpr10
                                        ; implicit-def: $vgpr11
                                        ; implicit-def: $vgpr14
                                        ; implicit-def: $vgpr15
                                        ; implicit-def: $vgpr22
                                        ; implicit-def: $vgpr26_vgpr27
                                        ; implicit-def: $vgpr36
                                        ; implicit-def: $vgpr37
                                        ; implicit-def: $vgpr6_vgpr7
                                        ; implicit-def: $vgpr35
; %bb.416:
	s_or_saveexec_b32 s3, s1
	v_dual_mov_b32 v3, s4 :: v_dual_mov_b32 v0, s10
	v_dual_mov_b32 v1, s11 :: v_dual_mov_b32 v2, s4
	;; [unrolled: 1-line block ×3, first 2 shown]
	s_xor_b32 exec_lo, exec_lo, s3
	s_cbranch_execz .LBB394_972
; %bb.417:
	flat_load_b32 v23, v[26:27]
	s_getpc_b64 s[4:5]
	s_add_u32 s4, s4, llvm.amdgcn.dynlds.offset.table@rel32@lo+4
	s_addc_u32 s5, s5, llvm.amdgcn.dynlds.offset.table@rel32@hi+12
	s_ashr_i32 s11, s10, 31
	v_lshlrev_b64 v[2:3], 2, v[16:17]
	s_lshl_b64 s[8:9], s[10:11], 2
	v_add_co_u32 v0, vcc_lo, v10, v36
	s_add_u32 s4, s8, s4
	s_addc_u32 s5, s9, s5
	v_dual_mov_b32 v20, 0 :: v_dual_lshlrev_b32 v9, 3, v19
	s_load_b32 s1, s[4:5], 0x0
	v_add_co_ci_u32_e32 v8, vcc_lo, v11, v37, vcc_lo
	v_add_co_u32 v2, vcc_lo, v6, v2
	v_add_co_ci_u32_e32 v3, vcc_lo, v7, v3, vcc_lo
	v_add_co_u32 v17, vcc_lo, v0, v9
	s_delay_alu instid0(VALU_DEP_4) | instskip(NEXT) | instid1(VALU_DEP_4)
	v_add_co_ci_u32_e32 v18, vcc_lo, 0, v8, vcc_lo
	v_add_co_u32 v14, vcc_lo, v14, v2
	v_dual_mov_b32 v1, 0 :: v_dual_add_nc_u32 v24, -1, v12
	v_add_co_ci_u32_e32 v15, vcc_lo, v15, v3, vcc_lo
	v_add3_u32 v25, s18, v35, 7
	v_dual_mov_b32 v21, 0 :: v_dual_mov_b32 v2, 0
	s_waitcnt lgkmcnt(0)
	v_lshl_add_u32 v26, v33, 5, s1
	v_mov_b32_e32 v3, 0
	s_mov_b32 s4, -1
	s_mov_b32 s5, 0xffffff
	s_mov_b32 s8, 0
	s_branch .LBB394_419
.LBB394_418:                            ;   in Loop: Header=BB394_419 Depth=1
	s_or_b32 exec_lo, exec_lo, s1
	v_and_b32_e32 v35, 0xffff0000, v35
	v_and_b32_e32 v36, 0xffff0000, v36
	;; [unrolled: 1-line block ×7, first 2 shown]
	v_add_f32_e32 v29, v29, v35
	v_and_b32_e32 v7, 0xffff0000, v7
	v_and_b32_e32 v51, 0xffff0000, v98
	;; [unrolled: 1-line block ×10, first 2 shown]
	v_dual_add_f32 v10, v10, v11 :: v_dual_and_b32 v13, 0xffff0000, v13
	v_and_b32_e32 v27, 0xffff0000, v27
	v_add_nc_u32_e32 v16, 4, v16
	v_add_co_u32 v14, s1, v14, 16
	s_delay_alu instid0(VALU_DEP_3) | instskip(SKIP_1) | instid1(VALU_DEP_4)
	v_dual_add_f32 v12, v12, v13 :: v_dual_add_f32 v13, v27, v28
	v_and_b32_e32 v28, 0xffff0000, v70
	v_cmp_ge_i32_e32 vcc_lo, v16, v34
	v_add_co_ci_u32_e64 v15, s1, 0, v15, s1
	s_delay_alu instid0(VALU_DEP_4) | instskip(NEXT) | instid1(VALU_DEP_4)
	v_dual_add_f32 v12, v12, v13 :: v_dual_and_b32 v27, 0xffff0000, v80
	v_dual_add_f32 v28, v49, v28 :: v_dual_and_b32 v13, 0xffff0000, v82
	v_add_nc_u32_e32 v25, 32, v25
	s_delay_alu instid0(VALU_DEP_3) | instskip(SKIP_4) | instid1(VALU_DEP_3)
	v_add_f32_e32 v12, v12, v29
	v_and_b32_e32 v6, 0xffff0000, v6
	v_and_b32_e32 v49, 0xffff0000, v81
	v_add_nc_u32_e32 v26, 0x80, v26
	s_or_b32 s8, vcc_lo, s8
	v_add_f32_e32 v0, v0, v6
	s_delay_alu instid0(VALU_DEP_3) | instskip(SKIP_3) | instid1(VALU_DEP_4)
	v_dual_add_f32 v6, v8, v38 :: v_dual_add_f32 v13, v49, v13
	v_add_f32_e32 v27, v50, v27
	v_and_b32_e32 v29, 0xffff0000, v83
	v_and_b32_e32 v8, 0xffff0000, v39
	v_dual_add_f32 v0, v0, v6 :: v_dual_and_b32 v49, 0xffff0000, v85
	s_delay_alu instid0(VALU_DEP_4) | instskip(SKIP_1) | instid1(VALU_DEP_3)
	v_add_f32_e32 v27, v28, v27
	v_add_f32_e32 v28, v36, v35
	v_dual_add_f32 v11, v49, v37 :: v_dual_and_b32 v36, 0xffff0000, v87
	v_and_b32_e32 v37, 0xffff0000, v48
	v_and_b32_e32 v35, 0xffff0000, v84
	v_add_f32_e32 v13, v27, v13
	s_delay_alu instid0(VALU_DEP_4) | instskip(NEXT) | instid1(VALU_DEP_4)
	v_dual_add_f32 v10, v10, v11 :: v_dual_and_b32 v27, 0xffff0000, v96
	v_add_f32_e32 v6, v8, v37
	s_delay_alu instid0(VALU_DEP_4) | instskip(NEXT) | instid1(VALU_DEP_3)
	v_add_f32_e32 v8, v29, v35
	v_dual_add_f32 v11, v36, v27 :: v_dual_and_b32 v50, 0xffff0000, v97
	s_delay_alu instid0(VALU_DEP_3) | instskip(NEXT) | instid1(VALU_DEP_3)
	v_add_f32_e32 v0, v0, v6
	v_add_f32_e32 v8, v13, v8
	s_delay_alu instid0(VALU_DEP_3) | instskip(NEXT) | instid1(VALU_DEP_2)
	v_add_f32_e32 v10, v10, v11
	v_add_f32_e32 v20, v20, v8
	;; [unrolled: 1-line block ×5, first 2 shown]
	s_delay_alu instid0(VALU_DEP_2) | instskip(NEXT) | instid1(VALU_DEP_2)
	v_dual_add_f32 v0, v0, v6 :: v_dual_add_f32 v9, v10, v11
	v_add_f32_e32 v21, v21, v7
	s_delay_alu instid0(VALU_DEP_2)
	v_dual_add_f32 v3, v3, v0 :: v_dual_add_f32 v2, v2, v9
	s_and_not1_b32 exec_lo, exec_lo, s8
	s_cbranch_execz .LBB394_971
.LBB394_419:                            ; =>This Inner Loop Header: Depth=1
	flat_load_b32 v0, v[14:15]
	ds_load_2addr_b64 v[10:13], v26 offset1:1
	ds_load_2addr_b64 v[6:9], v26 offset0:2 offset1:3
	s_mov_b32 s1, exec_lo
                                        ; implicit-def: $vgpr53
	s_waitcnt lgkmcnt(1)
	v_and_b32_e32 v27, 0x7f800000, v10
	s_delay_alu instid0(VALU_DEP_1)
	v_cmpx_ne_u32_e32 0x7f800000, v27
	s_xor_b32 s1, exec_lo, s1
; %bb.420:                              ;   in Loop: Header=BB394_419 Depth=1
	v_bfe_u32 v27, v10, 16, 1
	s_delay_alu instid0(VALU_DEP_1)
	v_add3_u32 v53, v10, v27, 0x7fff
; %bb.421:                              ;   in Loop: Header=BB394_419 Depth=1
	s_and_not1_saveexec_b32 s1, s1
; %bb.422:                              ;   in Loop: Header=BB394_419 Depth=1
	v_and_b32_e32 v27, 0xffff, v10
	v_or_b32_e32 v28, 0x10000, v10
	s_delay_alu instid0(VALU_DEP_2) | instskip(NEXT) | instid1(VALU_DEP_2)
	v_cmp_eq_u32_e32 vcc_lo, 0, v27
	v_cndmask_b32_e32 v53, v28, v10, vcc_lo
; %bb.423:                              ;   in Loop: Header=BB394_419 Depth=1
	s_or_b32 exec_lo, exec_lo, s1
	v_and_b32_e32 v10, 0x7f800000, v11
	s_mov_b32 s1, exec_lo
                                        ; implicit-def: $vgpr54
	s_delay_alu instid0(VALU_DEP_1)
	v_cmpx_ne_u32_e32 0x7f800000, v10
	s_xor_b32 s1, exec_lo, s1
; %bb.424:                              ;   in Loop: Header=BB394_419 Depth=1
	v_bfe_u32 v10, v11, 16, 1
	s_delay_alu instid0(VALU_DEP_1)
	v_add3_u32 v54, v11, v10, 0x7fff
; %bb.425:                              ;   in Loop: Header=BB394_419 Depth=1
	s_and_not1_saveexec_b32 s1, s1
; %bb.426:                              ;   in Loop: Header=BB394_419 Depth=1
	v_and_b32_e32 v10, 0xffff, v11
	v_or_b32_e32 v27, 0x10000, v11
	s_delay_alu instid0(VALU_DEP_2) | instskip(NEXT) | instid1(VALU_DEP_2)
	v_cmp_eq_u32_e32 vcc_lo, 0, v10
	v_cndmask_b32_e32 v54, v27, v11, vcc_lo
; %bb.427:                              ;   in Loop: Header=BB394_419 Depth=1
	s_or_b32 exec_lo, exec_lo, s1
	v_and_b32_e32 v10, 0x7f800000, v12
	s_mov_b32 s1, exec_lo
                                        ; implicit-def: $vgpr27
	s_delay_alu instid0(VALU_DEP_1)
	v_cmpx_ne_u32_e32 0x7f800000, v10
	s_xor_b32 s1, exec_lo, s1
; %bb.428:                              ;   in Loop: Header=BB394_419 Depth=1
	v_bfe_u32 v10, v12, 16, 1
	s_delay_alu instid0(VALU_DEP_1)
	v_add3_u32 v27, v12, v10, 0x7fff
; %bb.429:                              ;   in Loop: Header=BB394_419 Depth=1
	s_and_not1_saveexec_b32 s1, s1
; %bb.430:                              ;   in Loop: Header=BB394_419 Depth=1
	v_and_b32_e32 v10, 0xffff, v12
	v_or_b32_e32 v11, 0x10000, v12
	s_delay_alu instid0(VALU_DEP_2) | instskip(NEXT) | instid1(VALU_DEP_2)
	v_cmp_eq_u32_e32 vcc_lo, 0, v10
	v_cndmask_b32_e32 v27, v11, v12, vcc_lo
; %bb.431:                              ;   in Loop: Header=BB394_419 Depth=1
	s_or_b32 exec_lo, exec_lo, s1
	v_and_b32_e32 v10, 0x7f800000, v13
	s_mov_b32 s1, exec_lo
                                        ; implicit-def: $vgpr28
	s_delay_alu instid0(VALU_DEP_1)
	v_cmpx_ne_u32_e32 0x7f800000, v10
	s_xor_b32 s1, exec_lo, s1
; %bb.432:                              ;   in Loop: Header=BB394_419 Depth=1
	v_bfe_u32 v10, v13, 16, 1
	s_delay_alu instid0(VALU_DEP_1)
	v_add3_u32 v28, v13, v10, 0x7fff
                                        ; implicit-def: $vgpr10_vgpr11_vgpr12_vgpr13
; %bb.433:                              ;   in Loop: Header=BB394_419 Depth=1
	s_and_not1_saveexec_b32 s1, s1
; %bb.434:                              ;   in Loop: Header=BB394_419 Depth=1
	v_and_b32_e32 v10, 0xffff, v13
	v_or_b32_e32 v11, 0x10000, v13
	s_delay_alu instid0(VALU_DEP_2) | instskip(NEXT) | instid1(VALU_DEP_2)
	v_cmp_eq_u32_e32 vcc_lo, 0, v10
	v_cndmask_b32_e32 v28, v11, v13, vcc_lo
; %bb.435:                              ;   in Loop: Header=BB394_419 Depth=1
	s_or_b32 exec_lo, exec_lo, s1
	s_waitcnt lgkmcnt(0)
	v_and_b32_e32 v10, 0x7f800000, v6
	s_mov_b32 s1, exec_lo
                                        ; implicit-def: $vgpr29
	s_delay_alu instid0(VALU_DEP_1)
	v_cmpx_ne_u32_e32 0x7f800000, v10
	s_xor_b32 s1, exec_lo, s1
; %bb.436:                              ;   in Loop: Header=BB394_419 Depth=1
	v_bfe_u32 v10, v6, 16, 1
	s_delay_alu instid0(VALU_DEP_1)
	v_add3_u32 v29, v6, v10, 0x7fff
; %bb.437:                              ;   in Loop: Header=BB394_419 Depth=1
	s_and_not1_saveexec_b32 s1, s1
; %bb.438:                              ;   in Loop: Header=BB394_419 Depth=1
	v_and_b32_e32 v10, 0xffff, v6
	v_or_b32_e32 v11, 0x10000, v6
	s_delay_alu instid0(VALU_DEP_2) | instskip(NEXT) | instid1(VALU_DEP_2)
	v_cmp_eq_u32_e32 vcc_lo, 0, v10
	v_cndmask_b32_e32 v29, v11, v6, vcc_lo
; %bb.439:                              ;   in Loop: Header=BB394_419 Depth=1
	s_or_b32 exec_lo, exec_lo, s1
	v_and_b32_e32 v6, 0x7f800000, v7
	s_mov_b32 s1, exec_lo
                                        ; implicit-def: $vgpr35
	s_delay_alu instid0(VALU_DEP_1)
	v_cmpx_ne_u32_e32 0x7f800000, v6
	s_xor_b32 s1, exec_lo, s1
; %bb.440:                              ;   in Loop: Header=BB394_419 Depth=1
	v_bfe_u32 v6, v7, 16, 1
	s_delay_alu instid0(VALU_DEP_1)
	v_add3_u32 v35, v7, v6, 0x7fff
; %bb.441:                              ;   in Loop: Header=BB394_419 Depth=1
	s_and_not1_saveexec_b32 s1, s1
; %bb.442:                              ;   in Loop: Header=BB394_419 Depth=1
	v_and_b32_e32 v6, 0xffff, v7
	v_or_b32_e32 v10, 0x10000, v7
	s_delay_alu instid0(VALU_DEP_2) | instskip(NEXT) | instid1(VALU_DEP_2)
	v_cmp_eq_u32_e32 vcc_lo, 0, v6
	v_cndmask_b32_e32 v35, v10, v7, vcc_lo
; %bb.443:                              ;   in Loop: Header=BB394_419 Depth=1
	s_or_b32 exec_lo, exec_lo, s1
	v_and_b32_e32 v6, 0x7f800000, v8
	s_mov_b32 s1, exec_lo
                                        ; implicit-def: $vgpr36
	s_delay_alu instid0(VALU_DEP_1)
	v_cmpx_ne_u32_e32 0x7f800000, v6
	s_xor_b32 s1, exec_lo, s1
; %bb.444:                              ;   in Loop: Header=BB394_419 Depth=1
	v_bfe_u32 v6, v8, 16, 1
	s_delay_alu instid0(VALU_DEP_1)
	v_add3_u32 v36, v8, v6, 0x7fff
; %bb.445:                              ;   in Loop: Header=BB394_419 Depth=1
	s_and_not1_saveexec_b32 s1, s1
; %bb.446:                              ;   in Loop: Header=BB394_419 Depth=1
	v_and_b32_e32 v6, 0xffff, v8
	v_or_b32_e32 v7, 0x10000, v8
	s_delay_alu instid0(VALU_DEP_2) | instskip(NEXT) | instid1(VALU_DEP_2)
	v_cmp_eq_u32_e32 vcc_lo, 0, v6
	v_cndmask_b32_e32 v36, v7, v8, vcc_lo
; %bb.447:                              ;   in Loop: Header=BB394_419 Depth=1
	s_or_b32 exec_lo, exec_lo, s1
	v_and_b32_e32 v6, 0x7f800000, v9
	s_mov_b32 s1, exec_lo
                                        ; implicit-def: $vgpr37
	s_delay_alu instid0(VALU_DEP_1)
	v_cmpx_ne_u32_e32 0x7f800000, v6
	s_xor_b32 s1, exec_lo, s1
; %bb.448:                              ;   in Loop: Header=BB394_419 Depth=1
	v_bfe_u32 v6, v9, 16, 1
	s_delay_alu instid0(VALU_DEP_1)
	v_add3_u32 v37, v9, v6, 0x7fff
                                        ; implicit-def: $vgpr6_vgpr7_vgpr8_vgpr9
; %bb.449:                              ;   in Loop: Header=BB394_419 Depth=1
	s_and_not1_saveexec_b32 s1, s1
; %bb.450:                              ;   in Loop: Header=BB394_419 Depth=1
	v_and_b32_e32 v6, 0xffff, v9
	v_or_b32_e32 v7, 0x10000, v9
	s_delay_alu instid0(VALU_DEP_2) | instskip(NEXT) | instid1(VALU_DEP_2)
	v_cmp_eq_u32_e32 vcc_lo, 0, v6
	v_cndmask_b32_e32 v37, v7, v9, vcc_lo
; %bb.451:                              ;   in Loop: Header=BB394_419 Depth=1
	s_or_b32 exec_lo, exec_lo, s1
	s_waitcnt vmcnt(0)
	v_mad_i64_i32 v[6:7], null, v0, v22, v[17:18]
	v_mov_b32_e32 v0, 0
	s_mov_b32 s1, exec_lo
	flat_load_b64 v[8:9], v[6:7]
	s_waitcnt vmcnt(0) lgkmcnt(0)
	v_and_b32_e32 v10, 0xff, v8
	s_delay_alu instid0(VALU_DEP_1)
	v_cmpx_ne_u16_e32 0, v10
	s_cbranch_execz .LBB394_459
; %bb.452:                              ;   in Loop: Header=BB394_419 Depth=1
	v_bfrev_b32_e32 v0, 1
	s_mov_b32 s9, exec_lo
	v_cmpx_ne_u16_e32 0x80, v10
	s_cbranch_execz .LBB394_458
; %bb.453:                              ;   in Loop: Header=BB394_419 Depth=1
	v_and_b32_e32 v10, 0x7f, v8
	v_mov_b32_e32 v0, 0x7f800001
	s_mov_b32 s12, exec_lo
	s_delay_alu instid0(VALU_DEP_2)
	v_cmpx_ne_u32_e32 0x7f, v10
	s_cbranch_execz .LBB394_457
; %bb.454:                              ;   in Loop: Header=BB394_419 Depth=1
	v_lshrrev_b32_e32 v0, 3, v10
	v_cmp_gt_u32_e32 vcc_lo, 8, v10
	v_dual_mov_b32 v11, v9 :: v_dual_mov_b32 v10, v8
	s_and_saveexec_b32 s13, vcc_lo
; %bb.455:                              ;   in Loop: Header=BB394_419 Depth=1
	v_and_b32_e32 v0, 7, v8
	s_delay_alu instid0(VALU_DEP_1) | instskip(NEXT) | instid1(VALU_DEP_1)
	v_clz_i32_u32_e32 v0, v0
	v_min_u32_e32 v0, 32, v0
	s_delay_alu instid0(VALU_DEP_1) | instskip(SKIP_1) | instid1(VALU_DEP_2)
	v_subrev_nc_u32_e32 v10, 28, v0
	v_sub_nc_u32_e32 v0, 29, v0
	v_lshlrev_b64 v[10:11], v10, v[8:9]
; %bb.456:                              ;   in Loop: Header=BB394_419 Depth=1
	s_or_b32 exec_lo, exec_lo, s13
	s_delay_alu instid0(VALU_DEP_1) | instskip(SKIP_2) | instid1(VALU_DEP_3)
	v_lshlrev_b32_e32 v10, 20, v10
	v_lshlrev_b32_e32 v11, 24, v8
	v_lshl_add_u32 v0, v0, 23, 0x3c000000
	v_and_b32_e32 v10, 0x700000, v10
	s_delay_alu instid0(VALU_DEP_3) | instskip(NEXT) | instid1(VALU_DEP_1)
	v_and_b32_e32 v11, 0x80000000, v11
	v_or3_b32 v0, v10, v11, v0
.LBB394_457:                            ;   in Loop: Header=BB394_419 Depth=1
	s_or_b32 exec_lo, exec_lo, s12
.LBB394_458:                            ;   in Loop: Header=BB394_419 Depth=1
	s_delay_alu instid0(SALU_CYCLE_1)
	s_or_b32 exec_lo, exec_lo, s9
.LBB394_459:                            ;   in Loop: Header=BB394_419 Depth=1
	s_delay_alu instid0(SALU_CYCLE_1) | instskip(NEXT) | instid1(VALU_DEP_1)
	s_or_b32 exec_lo, exec_lo, s1
	v_mul_f32_e32 v0, v23, v0
	s_mov_b32 s1, exec_lo
                                        ; implicit-def: $vgpr12
	s_delay_alu instid0(VALU_DEP_1) | instskip(NEXT) | instid1(VALU_DEP_1)
	v_and_b32_e32 v10, 0x7f800000, v0
	v_cmpx_ne_u32_e32 0x7f800000, v10
	s_xor_b32 s1, exec_lo, s1
; %bb.460:                              ;   in Loop: Header=BB394_419 Depth=1
	v_bfe_u32 v10, v0, 16, 1
	s_delay_alu instid0(VALU_DEP_1)
	v_add3_u32 v12, v0, v10, 0x7fff
                                        ; implicit-def: $vgpr0
; %bb.461:                              ;   in Loop: Header=BB394_419 Depth=1
	s_and_not1_saveexec_b32 s1, s1
; %bb.462:                              ;   in Loop: Header=BB394_419 Depth=1
	v_and_b32_e32 v10, 0xffff, v0
	v_or_b32_e32 v11, 0x10000, v0
	s_delay_alu instid0(VALU_DEP_2) | instskip(NEXT) | instid1(VALU_DEP_2)
	v_cmp_eq_u32_e32 vcc_lo, 0, v10
	v_cndmask_b32_e32 v12, v11, v0, vcc_lo
; %bb.463:                              ;   in Loop: Header=BB394_419 Depth=1
	s_or_b32 exec_lo, exec_lo, s1
	v_lshrrev_b16 v10, 8, v8
	v_mov_b32_e32 v0, 0
	s_mov_b32 s1, exec_lo
	s_delay_alu instid0(VALU_DEP_2)
	v_cmpx_ne_u16_e32 0, v10
	s_cbranch_execz .LBB394_471
; %bb.464:                              ;   in Loop: Header=BB394_419 Depth=1
	v_bfrev_b32_e32 v0, 1
	s_mov_b32 s9, exec_lo
	v_cmpx_ne_u16_e32 0x80, v10
	s_cbranch_execz .LBB394_470
; %bb.465:                              ;   in Loop: Header=BB394_419 Depth=1
	v_and_b32_e32 v10, 0xffff, v10
	v_mov_b32_e32 v0, 0x7f800001
	s_mov_b32 s12, exec_lo
	s_delay_alu instid0(VALU_DEP_2) | instskip(NEXT) | instid1(VALU_DEP_1)
	v_and_b32_e32 v11, 0x7f, v10
	v_cmpx_ne_u32_e32 0x7f, v11
	s_cbranch_execz .LBB394_469
; %bb.466:                              ;   in Loop: Header=BB394_419 Depth=1
	v_and_b32_e32 v0, 7, v10
	v_lshrrev_b32_e32 v10, 3, v11
	s_mov_b32 s13, exec_lo
	v_cmpx_gt_u32_e32 8, v11
; %bb.467:                              ;   in Loop: Header=BB394_419 Depth=1
	s_delay_alu instid0(VALU_DEP_3) | instskip(NEXT) | instid1(VALU_DEP_1)
	v_clz_i32_u32_e32 v10, v0
	v_min_u32_e32 v10, 32, v10
	s_delay_alu instid0(VALU_DEP_1) | instskip(SKIP_1) | instid1(VALU_DEP_2)
	v_subrev_nc_u32_e32 v11, 28, v10
	v_sub_nc_u32_e32 v10, 29, v10
	v_lshlrev_b64 v[38:39], v11, v[0:1]
	s_delay_alu instid0(VALU_DEP_1)
	v_and_b32_e32 v0, 7, v38
; %bb.468:                              ;   in Loop: Header=BB394_419 Depth=1
	s_or_b32 exec_lo, exec_lo, s13
	v_lshlrev_b32_e32 v11, 16, v8
	s_delay_alu instid0(VALU_DEP_2) | instskip(SKIP_1) | instid1(VALU_DEP_3)
	v_lshlrev_b32_e32 v0, 20, v0
	v_lshl_add_u32 v10, v10, 23, 0x3c000000
	v_and_b32_e32 v11, 0x80000000, v11
	s_delay_alu instid0(VALU_DEP_1)
	v_or3_b32 v0, v0, v11, v10
.LBB394_469:                            ;   in Loop: Header=BB394_419 Depth=1
	s_or_b32 exec_lo, exec_lo, s12
.LBB394_470:                            ;   in Loop: Header=BB394_419 Depth=1
	s_delay_alu instid0(SALU_CYCLE_1)
	s_or_b32 exec_lo, exec_lo, s9
.LBB394_471:                            ;   in Loop: Header=BB394_419 Depth=1
	s_delay_alu instid0(SALU_CYCLE_1) | instskip(NEXT) | instid1(VALU_DEP_1)
	s_or_b32 exec_lo, exec_lo, s1
	v_mul_f32_e32 v0, v23, v0
	s_mov_b32 s1, exec_lo
                                        ; implicit-def: $vgpr13
	s_delay_alu instid0(VALU_DEP_1) | instskip(NEXT) | instid1(VALU_DEP_1)
	v_and_b32_e32 v10, 0x7f800000, v0
	v_cmpx_ne_u32_e32 0x7f800000, v10
	s_xor_b32 s1, exec_lo, s1
; %bb.472:                              ;   in Loop: Header=BB394_419 Depth=1
	v_bfe_u32 v10, v0, 16, 1
	s_delay_alu instid0(VALU_DEP_1)
	v_add3_u32 v13, v0, v10, 0x7fff
                                        ; implicit-def: $vgpr0
; %bb.473:                              ;   in Loop: Header=BB394_419 Depth=1
	s_and_not1_saveexec_b32 s1, s1
; %bb.474:                              ;   in Loop: Header=BB394_419 Depth=1
	v_and_b32_e32 v10, 0xffff, v0
	v_or_b32_e32 v11, 0x10000, v0
	s_delay_alu instid0(VALU_DEP_2) | instskip(NEXT) | instid1(VALU_DEP_2)
	v_cmp_eq_u32_e32 vcc_lo, 0, v10
	v_cndmask_b32_e32 v13, v11, v0, vcc_lo
; %bb.475:                              ;   in Loop: Header=BB394_419 Depth=1
	s_or_b32 exec_lo, exec_lo, s1
	v_lshrrev_b32_e32 v10, 16, v8
	s_mov_b32 s1, exec_lo
	s_delay_alu instid0(VALU_DEP_1) | instskip(NEXT) | instid1(VALU_DEP_1)
	v_dual_mov_b32 v0, 0 :: v_dual_and_b32 v11, 0xff, v10
	v_cmpx_ne_u16_e32 0, v11
	s_cbranch_execz .LBB394_483
; %bb.476:                              ;   in Loop: Header=BB394_419 Depth=1
	v_bfrev_b32_e32 v0, 1
	s_mov_b32 s9, exec_lo
	v_cmpx_ne_u16_e32 0x80, v11
	s_cbranch_execz .LBB394_482
; %bb.477:                              ;   in Loop: Header=BB394_419 Depth=1
	v_bfe_u32 v38, v8, 16, 7
	v_mov_b32_e32 v0, 0x7f800001
	s_mov_b32 s12, exec_lo
	s_delay_alu instid0(VALU_DEP_2)
	v_cmpx_ne_u32_e32 0x7f, v38
	s_cbranch_execz .LBB394_481
; %bb.478:                              ;   in Loop: Header=BB394_419 Depth=1
	v_and_b32_e32 v0, 7, v10
	v_lshrrev_b32_e32 v11, 3, v38
	s_mov_b32 s13, exec_lo
	v_cmpx_gt_u32_e32 8, v38
; %bb.479:                              ;   in Loop: Header=BB394_419 Depth=1
	s_delay_alu instid0(VALU_DEP_3) | instskip(NEXT) | instid1(VALU_DEP_1)
	v_clz_i32_u32_e32 v11, v0
	v_min_u32_e32 v11, 32, v11
	s_delay_alu instid0(VALU_DEP_1) | instskip(SKIP_1) | instid1(VALU_DEP_2)
	v_subrev_nc_u32_e32 v38, 28, v11
	v_sub_nc_u32_e32 v11, 29, v11
	v_lshlrev_b64 v[38:39], v38, v[0:1]
	s_delay_alu instid0(VALU_DEP_1)
	v_and_b32_e32 v0, 7, v38
; %bb.480:                              ;   in Loop: Header=BB394_419 Depth=1
	s_or_b32 exec_lo, exec_lo, s13
	v_lshlrev_b32_e32 v10, 24, v10
	s_delay_alu instid0(VALU_DEP_2) | instskip(SKIP_1) | instid1(VALU_DEP_3)
	v_lshlrev_b32_e32 v0, 20, v0
	v_lshl_add_u32 v11, v11, 23, 0x3c000000
	v_and_b32_e32 v10, 0x80000000, v10
	s_delay_alu instid0(VALU_DEP_1)
	v_or3_b32 v0, v0, v10, v11
.LBB394_481:                            ;   in Loop: Header=BB394_419 Depth=1
	s_or_b32 exec_lo, exec_lo, s12
.LBB394_482:                            ;   in Loop: Header=BB394_419 Depth=1
	s_delay_alu instid0(SALU_CYCLE_1)
	s_or_b32 exec_lo, exec_lo, s9
.LBB394_483:                            ;   in Loop: Header=BB394_419 Depth=1
	s_delay_alu instid0(SALU_CYCLE_1) | instskip(NEXT) | instid1(VALU_DEP_1)
	s_or_b32 exec_lo, exec_lo, s1
	v_mul_f32_e32 v0, v23, v0
	s_mov_b32 s1, exec_lo
                                        ; implicit-def: $vgpr39
	s_delay_alu instid0(VALU_DEP_1) | instskip(NEXT) | instid1(VALU_DEP_1)
	v_and_b32_e32 v10, 0x7f800000, v0
	v_cmpx_ne_u32_e32 0x7f800000, v10
	s_xor_b32 s1, exec_lo, s1
; %bb.484:                              ;   in Loop: Header=BB394_419 Depth=1
	v_bfe_u32 v10, v0, 16, 1
	s_delay_alu instid0(VALU_DEP_1)
	v_add3_u32 v39, v0, v10, 0x7fff
                                        ; implicit-def: $vgpr0
; %bb.485:                              ;   in Loop: Header=BB394_419 Depth=1
	s_and_not1_saveexec_b32 s1, s1
; %bb.486:                              ;   in Loop: Header=BB394_419 Depth=1
	v_and_b32_e32 v10, 0xffff, v0
	v_or_b32_e32 v11, 0x10000, v0
	s_delay_alu instid0(VALU_DEP_2) | instskip(NEXT) | instid1(VALU_DEP_2)
	v_cmp_eq_u32_e32 vcc_lo, 0, v10
	v_cndmask_b32_e32 v39, v11, v0, vcc_lo
; %bb.487:                              ;   in Loop: Header=BB394_419 Depth=1
	s_or_b32 exec_lo, exec_lo, s1
	v_mov_b32_e32 v0, 0
	s_mov_b32 s1, exec_lo
	v_cmpx_lt_u32_e32 0xffffff, v8
	s_cbranch_execz .LBB394_495
; %bb.488:                              ;   in Loop: Header=BB394_419 Depth=1
	v_lshrrev_b32_e32 v10, 24, v8
	v_bfrev_b32_e32 v0, 1
	s_mov_b32 s9, exec_lo
	s_delay_alu instid0(VALU_DEP_2)
	v_cmpx_ne_u32_e32 0x80, v10
	s_cbranch_execz .LBB394_494
; %bb.489:                              ;   in Loop: Header=BB394_419 Depth=1
	v_bfe_u32 v38, v8, 24, 7
	v_mov_b32_e32 v0, 0x7f800001
	s_mov_b32 s12, exec_lo
	s_delay_alu instid0(VALU_DEP_2)
	v_cmpx_ne_u32_e32 0x7f, v38
	s_cbranch_execz .LBB394_493
; %bb.490:                              ;   in Loop: Header=BB394_419 Depth=1
	v_and_b32_e32 v0, 7, v10
	v_lshrrev_b32_e32 v11, 3, v38
	s_mov_b32 s13, exec_lo
	v_cmpx_gt_u32_e32 8, v38
; %bb.491:                              ;   in Loop: Header=BB394_419 Depth=1
	s_delay_alu instid0(VALU_DEP_3) | instskip(NEXT) | instid1(VALU_DEP_1)
	v_clz_i32_u32_e32 v11, v0
	v_min_u32_e32 v11, 32, v11
	s_delay_alu instid0(VALU_DEP_1) | instskip(SKIP_1) | instid1(VALU_DEP_2)
	v_subrev_nc_u32_e32 v38, 28, v11
	v_sub_nc_u32_e32 v11, 29, v11
	v_lshlrev_b64 v[48:49], v38, v[0:1]
	s_delay_alu instid0(VALU_DEP_1)
	v_and_b32_e32 v0, 7, v48
; %bb.492:                              ;   in Loop: Header=BB394_419 Depth=1
	s_or_b32 exec_lo, exec_lo, s13
	v_lshlrev_b32_e32 v10, 24, v10
	s_delay_alu instid0(VALU_DEP_2) | instskip(SKIP_1) | instid1(VALU_DEP_3)
	v_lshlrev_b32_e32 v0, 20, v0
	v_lshl_add_u32 v11, v11, 23, 0x3c000000
	v_and_b32_e32 v10, 0x80000000, v10
	s_delay_alu instid0(VALU_DEP_1)
	v_or3_b32 v0, v0, v10, v11
.LBB394_493:                            ;   in Loop: Header=BB394_419 Depth=1
	s_or_b32 exec_lo, exec_lo, s12
.LBB394_494:                            ;   in Loop: Header=BB394_419 Depth=1
	s_delay_alu instid0(SALU_CYCLE_1)
	s_or_b32 exec_lo, exec_lo, s9
.LBB394_495:                            ;   in Loop: Header=BB394_419 Depth=1
	s_delay_alu instid0(SALU_CYCLE_1) | instskip(NEXT) | instid1(VALU_DEP_1)
	s_or_b32 exec_lo, exec_lo, s1
	v_mul_f32_e32 v0, v23, v0
	s_mov_b32 s1, exec_lo
                                        ; implicit-def: $vgpr48
	s_delay_alu instid0(VALU_DEP_1) | instskip(NEXT) | instid1(VALU_DEP_1)
	v_and_b32_e32 v10, 0x7f800000, v0
	v_cmpx_ne_u32_e32 0x7f800000, v10
	s_xor_b32 s1, exec_lo, s1
; %bb.496:                              ;   in Loop: Header=BB394_419 Depth=1
	v_bfe_u32 v10, v0, 16, 1
	s_delay_alu instid0(VALU_DEP_1)
	v_add3_u32 v48, v0, v10, 0x7fff
                                        ; implicit-def: $vgpr0
; %bb.497:                              ;   in Loop: Header=BB394_419 Depth=1
	s_and_not1_saveexec_b32 s1, s1
; %bb.498:                              ;   in Loop: Header=BB394_419 Depth=1
	v_and_b32_e32 v10, 0xffff, v0
	v_or_b32_e32 v11, 0x10000, v0
	s_delay_alu instid0(VALU_DEP_2) | instskip(NEXT) | instid1(VALU_DEP_2)
	v_cmp_eq_u32_e32 vcc_lo, 0, v10
	v_cndmask_b32_e32 v48, v11, v0, vcc_lo
; %bb.499:                              ;   in Loop: Header=BB394_419 Depth=1
	s_or_b32 exec_lo, exec_lo, s1
	v_dual_mov_b32 v0, v9 :: v_dual_and_b32 v11, 0xff, v9
	v_mov_b32_e32 v10, 0
	s_mov_b32 s1, exec_lo
	s_delay_alu instid0(VALU_DEP_2)
	v_cmpx_ne_u16_e32 0, v11
	s_cbranch_execz .LBB394_507
; %bb.500:                              ;   in Loop: Header=BB394_419 Depth=1
	v_bfrev_b32_e32 v10, 1
	s_mov_b32 s9, exec_lo
	v_cmpx_ne_u16_e32 0x80, v11
	s_cbranch_execz .LBB394_506
; %bb.501:                              ;   in Loop: Header=BB394_419 Depth=1
	v_and_b32_e32 v11, 0x7f, v9
	v_mov_b32_e32 v10, 0x7f800001
	s_mov_b32 s12, exec_lo
	s_delay_alu instid0(VALU_DEP_2)
	v_cmpx_ne_u32_e32 0x7f, v11
	s_cbranch_execz .LBB394_505
; %bb.502:                              ;   in Loop: Header=BB394_419 Depth=1
	v_lshrrev_b32_e32 v38, 3, v11
	v_cmp_gt_u32_e32 vcc_lo, 8, v11
	v_dual_mov_b32 v11, v1 :: v_dual_mov_b32 v10, v0
	s_and_saveexec_b32 s13, vcc_lo
; %bb.503:                              ;   in Loop: Header=BB394_419 Depth=1
	v_and_b32_e32 v10, 7, v9
	s_delay_alu instid0(VALU_DEP_1) | instskip(NEXT) | instid1(VALU_DEP_1)
	v_clz_i32_u32_e32 v10, v10
	v_min_u32_e32 v38, 32, v10
	s_delay_alu instid0(VALU_DEP_1) | instskip(SKIP_1) | instid1(VALU_DEP_2)
	v_subrev_nc_u32_e32 v10, 28, v38
	v_sub_nc_u32_e32 v38, 29, v38
	v_lshlrev_b64 v[10:11], v10, v[0:1]
; %bb.504:                              ;   in Loop: Header=BB394_419 Depth=1
	s_or_b32 exec_lo, exec_lo, s13
	s_delay_alu instid0(VALU_DEP_1) | instskip(SKIP_2) | instid1(VALU_DEP_3)
	v_lshlrev_b32_e32 v10, 20, v10
	v_lshlrev_b32_e32 v11, 24, v0
	v_lshl_add_u32 v38, v38, 23, 0x3c000000
	v_and_b32_e32 v10, 0x700000, v10
	s_delay_alu instid0(VALU_DEP_3) | instskip(NEXT) | instid1(VALU_DEP_1)
	v_and_b32_e32 v11, 0x80000000, v11
	v_or3_b32 v10, v10, v11, v38
.LBB394_505:                            ;   in Loop: Header=BB394_419 Depth=1
	s_or_b32 exec_lo, exec_lo, s12
.LBB394_506:                            ;   in Loop: Header=BB394_419 Depth=1
	s_delay_alu instid0(SALU_CYCLE_1)
	s_or_b32 exec_lo, exec_lo, s9
.LBB394_507:                            ;   in Loop: Header=BB394_419 Depth=1
	s_delay_alu instid0(SALU_CYCLE_1) | instskip(NEXT) | instid1(VALU_DEP_1)
	s_or_b32 exec_lo, exec_lo, s1
	v_mul_f32_e32 v10, v23, v10
	s_mov_b32 s1, exec_lo
                                        ; implicit-def: $vgpr49
	s_delay_alu instid0(VALU_DEP_1) | instskip(NEXT) | instid1(VALU_DEP_1)
	v_and_b32_e32 v11, 0x7f800000, v10
	v_cmpx_ne_u32_e32 0x7f800000, v11
	s_xor_b32 s1, exec_lo, s1
; %bb.508:                              ;   in Loop: Header=BB394_419 Depth=1
	v_bfe_u32 v11, v10, 16, 1
	s_delay_alu instid0(VALU_DEP_1)
	v_add3_u32 v49, v10, v11, 0x7fff
                                        ; implicit-def: $vgpr10
; %bb.509:                              ;   in Loop: Header=BB394_419 Depth=1
	s_and_not1_saveexec_b32 s1, s1
; %bb.510:                              ;   in Loop: Header=BB394_419 Depth=1
	v_and_b32_e32 v11, 0xffff, v10
	v_or_b32_e32 v38, 0x10000, v10
	s_delay_alu instid0(VALU_DEP_2) | instskip(NEXT) | instid1(VALU_DEP_2)
	v_cmp_eq_u32_e32 vcc_lo, 0, v11
	v_cndmask_b32_e32 v49, v38, v10, vcc_lo
; %bb.511:                              ;   in Loop: Header=BB394_419 Depth=1
	s_or_b32 exec_lo, exec_lo, s1
	v_lshrrev_b16 v11, 8, v0
	v_mov_b32_e32 v10, 0
	s_mov_b32 s1, exec_lo
	s_delay_alu instid0(VALU_DEP_2)
	v_cmpx_ne_u16_e32 0, v11
	s_cbranch_execz .LBB394_519
; %bb.512:                              ;   in Loop: Header=BB394_419 Depth=1
	v_bfrev_b32_e32 v10, 1
	s_mov_b32 s9, exec_lo
	v_cmpx_ne_u16_e32 0x80, v11
	s_cbranch_execz .LBB394_518
; %bb.513:                              ;   in Loop: Header=BB394_419 Depth=1
	v_and_b32_e32 v11, 0xffff, v11
	v_mov_b32_e32 v10, 0x7f800001
	s_mov_b32 s12, exec_lo
	s_delay_alu instid0(VALU_DEP_2) | instskip(NEXT) | instid1(VALU_DEP_1)
	v_and_b32_e32 v50, 0x7f, v11
	v_cmpx_ne_u32_e32 0x7f, v50
	s_cbranch_execz .LBB394_517
; %bb.514:                              ;   in Loop: Header=BB394_419 Depth=1
	v_dual_mov_b32 v11, v1 :: v_dual_and_b32 v10, 7, v11
	v_lshrrev_b32_e32 v38, 3, v50
	s_mov_b32 s13, exec_lo
	v_cmpx_gt_u32_e32 8, v50
; %bb.515:                              ;   in Loop: Header=BB394_419 Depth=1
	s_delay_alu instid0(VALU_DEP_3) | instskip(NEXT) | instid1(VALU_DEP_1)
	v_clz_i32_u32_e32 v38, v10
	v_min_u32_e32 v38, 32, v38
	s_delay_alu instid0(VALU_DEP_1) | instskip(SKIP_1) | instid1(VALU_DEP_2)
	v_subrev_nc_u32_e32 v50, 28, v38
	v_sub_nc_u32_e32 v38, 29, v38
	v_lshlrev_b64 v[10:11], v50, v[10:11]
	s_delay_alu instid0(VALU_DEP_1)
	v_and_b32_e32 v10, 7, v10
; %bb.516:                              ;   in Loop: Header=BB394_419 Depth=1
	s_or_b32 exec_lo, exec_lo, s13
	v_lshlrev_b32_e32 v0, 16, v0
	s_delay_alu instid0(VALU_DEP_2) | instskip(SKIP_1) | instid1(VALU_DEP_3)
	v_lshlrev_b32_e32 v10, 20, v10
	v_lshl_add_u32 v11, v38, 23, 0x3c000000
	v_and_b32_e32 v0, 0x80000000, v0
	s_delay_alu instid0(VALU_DEP_1)
	v_or3_b32 v10, v10, v0, v11
.LBB394_517:                            ;   in Loop: Header=BB394_419 Depth=1
	s_or_b32 exec_lo, exec_lo, s12
.LBB394_518:                            ;   in Loop: Header=BB394_419 Depth=1
	s_delay_alu instid0(SALU_CYCLE_1)
	s_or_b32 exec_lo, exec_lo, s9
.LBB394_519:                            ;   in Loop: Header=BB394_419 Depth=1
	s_delay_alu instid0(SALU_CYCLE_1) | instskip(NEXT) | instid1(VALU_DEP_1)
	s_or_b32 exec_lo, exec_lo, s1
	v_mul_f32_e32 v0, v23, v10
	s_delay_alu instid0(VALU_DEP_1) | instskip(NEXT) | instid1(VALU_DEP_1)
	v_and_b32_e32 v10, 0x7f800000, v0
	v_cmp_ne_u32_e32 vcc_lo, 0x7f800000, v10
                                        ; implicit-def: $vgpr10
	s_and_saveexec_b32 s1, vcc_lo
	s_delay_alu instid0(SALU_CYCLE_1)
	s_xor_b32 s1, exec_lo, s1
; %bb.520:                              ;   in Loop: Header=BB394_419 Depth=1
	v_bfe_u32 v10, v0, 16, 1
	s_delay_alu instid0(VALU_DEP_1)
	v_add3_u32 v10, v0, v10, 0x7fff
                                        ; implicit-def: $vgpr0
; %bb.521:                              ;   in Loop: Header=BB394_419 Depth=1
	s_and_not1_saveexec_b32 s1, s1
; %bb.522:                              ;   in Loop: Header=BB394_419 Depth=1
	v_and_b32_e32 v10, 0xffff, v0
	v_or_b32_e32 v11, 0x10000, v0
	s_delay_alu instid0(VALU_DEP_2) | instskip(NEXT) | instid1(VALU_DEP_2)
	v_cmp_eq_u32_e32 vcc_lo, 0, v10
	v_cndmask_b32_e32 v10, v11, v0, vcc_lo
; %bb.523:                              ;   in Loop: Header=BB394_419 Depth=1
	s_or_b32 exec_lo, exec_lo, s1
	v_lshrrev_b32_e32 v11, 16, v9
	v_mov_b32_e32 v0, 0
	s_mov_b32 s1, exec_lo
	s_delay_alu instid0(VALU_DEP_2) | instskip(NEXT) | instid1(VALU_DEP_1)
	v_and_b32_e32 v38, 0xff, v11
	v_cmpx_ne_u16_e32 0, v38
	s_cbranch_execz .LBB394_531
; %bb.524:                              ;   in Loop: Header=BB394_419 Depth=1
	v_bfrev_b32_e32 v0, 1
	s_mov_b32 s9, exec_lo
	v_cmpx_ne_u16_e32 0x80, v38
	s_cbranch_execz .LBB394_530
; %bb.525:                              ;   in Loop: Header=BB394_419 Depth=1
	v_bfe_u32 v50, v9, 16, 7
	v_mov_b32_e32 v0, 0x7f800001
	s_mov_b32 s12, exec_lo
	s_delay_alu instid0(VALU_DEP_2)
	v_cmpx_ne_u32_e32 0x7f, v50
	s_cbranch_execz .LBB394_529
; %bb.526:                              ;   in Loop: Header=BB394_419 Depth=1
	v_and_b32_e32 v0, 7, v11
	v_lshrrev_b32_e32 v38, 3, v50
	s_mov_b32 s13, exec_lo
	v_cmpx_gt_u32_e32 8, v50
; %bb.527:                              ;   in Loop: Header=BB394_419 Depth=1
	s_delay_alu instid0(VALU_DEP_3) | instskip(NEXT) | instid1(VALU_DEP_1)
	v_clz_i32_u32_e32 v38, v0
	v_min_u32_e32 v38, 32, v38
	s_delay_alu instid0(VALU_DEP_1) | instskip(SKIP_1) | instid1(VALU_DEP_2)
	v_subrev_nc_u32_e32 v50, 28, v38
	v_sub_nc_u32_e32 v38, 29, v38
	v_lshlrev_b64 v[50:51], v50, v[0:1]
	s_delay_alu instid0(VALU_DEP_1)
	v_and_b32_e32 v0, 7, v50
; %bb.528:                              ;   in Loop: Header=BB394_419 Depth=1
	s_or_b32 exec_lo, exec_lo, s13
	v_lshlrev_b32_e32 v11, 24, v11
	s_delay_alu instid0(VALU_DEP_2) | instskip(SKIP_1) | instid1(VALU_DEP_3)
	v_lshlrev_b32_e32 v0, 20, v0
	v_lshl_add_u32 v38, v38, 23, 0x3c000000
	v_and_b32_e32 v11, 0x80000000, v11
	s_delay_alu instid0(VALU_DEP_1)
	v_or3_b32 v0, v0, v11, v38
.LBB394_529:                            ;   in Loop: Header=BB394_419 Depth=1
	s_or_b32 exec_lo, exec_lo, s12
.LBB394_530:                            ;   in Loop: Header=BB394_419 Depth=1
	s_delay_alu instid0(SALU_CYCLE_1)
	s_or_b32 exec_lo, exec_lo, s9
.LBB394_531:                            ;   in Loop: Header=BB394_419 Depth=1
	s_delay_alu instid0(SALU_CYCLE_1) | instskip(NEXT) | instid1(VALU_DEP_1)
	s_or_b32 exec_lo, exec_lo, s1
	v_mul_f32_e32 v0, v23, v0
	s_mov_b32 s1, exec_lo
                                        ; implicit-def: $vgpr50
	s_delay_alu instid0(VALU_DEP_1) | instskip(NEXT) | instid1(VALU_DEP_1)
	v_and_b32_e32 v11, 0x7f800000, v0
	v_cmpx_ne_u32_e32 0x7f800000, v11
	s_xor_b32 s1, exec_lo, s1
; %bb.532:                              ;   in Loop: Header=BB394_419 Depth=1
	v_bfe_u32 v11, v0, 16, 1
	s_delay_alu instid0(VALU_DEP_1)
	v_add3_u32 v50, v0, v11, 0x7fff
                                        ; implicit-def: $vgpr0
; %bb.533:                              ;   in Loop: Header=BB394_419 Depth=1
	s_and_not1_saveexec_b32 s1, s1
; %bb.534:                              ;   in Loop: Header=BB394_419 Depth=1
	v_and_b32_e32 v11, 0xffff, v0
	v_or_b32_e32 v38, 0x10000, v0
	s_delay_alu instid0(VALU_DEP_2) | instskip(NEXT) | instid1(VALU_DEP_2)
	v_cmp_eq_u32_e32 vcc_lo, 0, v11
	v_cndmask_b32_e32 v50, v38, v0, vcc_lo
; %bb.535:                              ;   in Loop: Header=BB394_419 Depth=1
	s_or_b32 exec_lo, exec_lo, s1
	v_mov_b32_e32 v0, 0
	s_mov_b32 s1, exec_lo
	v_cmpx_lt_u64_e64 s[4:5], v[8:9]
	s_cbranch_execz .LBB394_543
; %bb.536:                              ;   in Loop: Header=BB394_419 Depth=1
	v_lshrrev_b32_e32 v8, 24, v9
	v_bfrev_b32_e32 v0, 1
	s_mov_b32 s9, exec_lo
	s_delay_alu instid0(VALU_DEP_2)
	v_cmpx_ne_u32_e32 0x80, v8
	s_cbranch_execz .LBB394_542
; %bb.537:                              ;   in Loop: Header=BB394_419 Depth=1
	v_bfe_u32 v11, v9, 24, 7
	v_mov_b32_e32 v0, 0x7f800001
	s_mov_b32 s12, exec_lo
	s_delay_alu instid0(VALU_DEP_2)
	v_cmpx_ne_u32_e32 0x7f, v11
	s_cbranch_execz .LBB394_541
; %bb.538:                              ;   in Loop: Header=BB394_419 Depth=1
	v_and_b32_e32 v0, 7, v8
	v_lshrrev_b32_e32 v9, 3, v11
	s_mov_b32 s13, exec_lo
	v_cmpx_gt_u32_e32 8, v11
; %bb.539:                              ;   in Loop: Header=BB394_419 Depth=1
	s_delay_alu instid0(VALU_DEP_3) | instskip(NEXT) | instid1(VALU_DEP_1)
	v_clz_i32_u32_e32 v9, v0
	v_min_u32_e32 v9, 32, v9
	s_delay_alu instid0(VALU_DEP_1) | instskip(SKIP_1) | instid1(VALU_DEP_2)
	v_subrev_nc_u32_e32 v11, 28, v9
	v_sub_nc_u32_e32 v9, 29, v9
	v_lshlrev_b64 v[51:52], v11, v[0:1]
	s_delay_alu instid0(VALU_DEP_1)
	v_and_b32_e32 v0, 7, v51
; %bb.540:                              ;   in Loop: Header=BB394_419 Depth=1
	s_or_b32 exec_lo, exec_lo, s13
	v_lshlrev_b32_e32 v8, 24, v8
	s_delay_alu instid0(VALU_DEP_2) | instskip(SKIP_1) | instid1(VALU_DEP_3)
	v_lshlrev_b32_e32 v0, 20, v0
	v_lshl_add_u32 v9, v9, 23, 0x3c000000
	v_and_b32_e32 v8, 0x80000000, v8
	s_delay_alu instid0(VALU_DEP_1)
	v_or3_b32 v0, v0, v8, v9
.LBB394_541:                            ;   in Loop: Header=BB394_419 Depth=1
	s_or_b32 exec_lo, exec_lo, s12
.LBB394_542:                            ;   in Loop: Header=BB394_419 Depth=1
	s_delay_alu instid0(SALU_CYCLE_1)
	s_or_b32 exec_lo, exec_lo, s9
.LBB394_543:                            ;   in Loop: Header=BB394_419 Depth=1
	s_delay_alu instid0(SALU_CYCLE_1) | instskip(NEXT) | instid1(VALU_DEP_1)
	s_or_b32 exec_lo, exec_lo, s1
	v_mul_f32_e32 v8, v23, v0
	s_delay_alu instid0(VALU_DEP_1) | instskip(NEXT) | instid1(VALU_DEP_1)
	v_and_b32_e32 v0, 0x7f800000, v8
	v_cmp_ne_u32_e32 vcc_lo, 0x7f800000, v0
                                        ; implicit-def: $vgpr0
	s_and_saveexec_b32 s1, vcc_lo
	s_delay_alu instid0(SALU_CYCLE_1)
	s_xor_b32 s1, exec_lo, s1
; %bb.544:                              ;   in Loop: Header=BB394_419 Depth=1
	v_bfe_u32 v0, v8, 16, 1
	s_delay_alu instid0(VALU_DEP_1)
	v_add3_u32 v0, v8, v0, 0x7fff
                                        ; implicit-def: $vgpr8
; %bb.545:                              ;   in Loop: Header=BB394_419 Depth=1
	s_and_not1_saveexec_b32 s1, s1
; %bb.546:                              ;   in Loop: Header=BB394_419 Depth=1
	v_and_b32_e32 v0, 0xffff, v8
	v_or_b32_e32 v9, 0x10000, v8
	s_delay_alu instid0(VALU_DEP_2) | instskip(NEXT) | instid1(VALU_DEP_2)
	v_cmp_eq_u32_e32 vcc_lo, 0, v0
	v_cndmask_b32_e32 v0, v9, v8, vcc_lo
; %bb.547:                              ;   in Loop: Header=BB394_419 Depth=1
	s_or_b32 exec_lo, exec_lo, s1
	v_cmp_eq_u32_e32 vcc_lo, v24, v16
	v_add_nc_u32_e32 v38, -7, v25
	v_lshrrev_b32_e32 v9, 16, v10
	v_lshrrev_b32_e32 v10, 16, v49
	;; [unrolled: 1-line block ×8, first 2 shown]
	v_add_nc_u32_e32 v52, -6, v25
	v_add_nc_u32_e32 v51, -5, v25
	;; [unrolled: 1-line block ×6, first 2 shown]
	s_and_saveexec_b32 s9, vcc_lo
	s_cbranch_execz .LBB394_549
; %bb.548:                              ;   in Loop: Header=BB394_419 Depth=1
	v_cmp_lt_i32_e64 s1, v38, v32
	s_delay_alu instid0(VALU_DEP_1) | instskip(SKIP_1) | instid1(VALU_DEP_1)
	v_cndmask_b32_e64 v12, 0, v12, s1
	v_cmp_lt_i32_e64 s1, v52, v32
	v_cndmask_b32_e64 v13, 0, v13, s1
	v_cmp_lt_i32_e64 s1, v51, v32
	s_delay_alu instid0(VALU_DEP_1) | instskip(SKIP_1) | instid1(VALU_DEP_1)
	v_cndmask_b32_e64 v64, 0, v64, s1
	v_cmp_lt_i32_e64 s1, v50, v32
	v_cndmask_b32_e64 v11, 0, v11, s1
	;; [unrolled: 5-line block ×4, first 2 shown]
.LBB394_549:                            ;   in Loop: Header=BB394_419 Depth=1
	s_or_b32 exec_lo, exec_lo, s9
	v_and_b32_e32 v53, 0xffff0000, v53
	v_lshlrev_b32_e32 v12, 16, v12
	s_delay_alu instid0(VALU_DEP_1) | instskip(NEXT) | instid1(VALU_DEP_1)
	v_mul_f32_e32 v55, v53, v12
	v_and_b32_e32 v12, 0x7f800000, v55
	s_delay_alu instid0(VALU_DEP_1) | instskip(NEXT) | instid1(VALU_DEP_1)
	v_cmp_ne_u32_e64 s1, 0x7f800000, v12
                                        ; implicit-def: $vgpr12
	s_and_saveexec_b32 s9, s1
	s_delay_alu instid0(SALU_CYCLE_1)
	s_xor_b32 s1, exec_lo, s9
; %bb.550:                              ;   in Loop: Header=BB394_419 Depth=1
	v_bfe_u32 v12, v55, 16, 1
	s_delay_alu instid0(VALU_DEP_1)
	v_add3_u32 v12, v55, v12, 0x7fff
                                        ; implicit-def: $vgpr55
; %bb.551:                              ;   in Loop: Header=BB394_419 Depth=1
	s_and_not1_saveexec_b32 s9, s1
; %bb.552:                              ;   in Loop: Header=BB394_419 Depth=1
	v_and_b32_e32 v12, 0xffff, v55
	v_or_b32_e32 v65, 0x10000, v55
	s_delay_alu instid0(VALU_DEP_2) | instskip(NEXT) | instid1(VALU_DEP_1)
	v_cmp_eq_u32_e64 s1, 0, v12
	v_cndmask_b32_e64 v12, v65, v55, s1
; %bb.553:                              ;   in Loop: Header=BB394_419 Depth=1
	s_or_b32 exec_lo, exec_lo, s9
	v_and_b32_e32 v54, 0xffff0000, v54
	v_lshlrev_b32_e32 v13, 16, v13
	s_delay_alu instid0(VALU_DEP_1) | instskip(NEXT) | instid1(VALU_DEP_1)
	v_mul_f32_e32 v55, v54, v13
	v_and_b32_e32 v13, 0x7f800000, v55
	s_delay_alu instid0(VALU_DEP_1) | instskip(NEXT) | instid1(VALU_DEP_1)
	v_cmp_ne_u32_e64 s1, 0x7f800000, v13
                                        ; implicit-def: $vgpr13
	s_and_saveexec_b32 s9, s1
	s_delay_alu instid0(SALU_CYCLE_1)
	s_xor_b32 s1, exec_lo, s9
; %bb.554:                              ;   in Loop: Header=BB394_419 Depth=1
	v_bfe_u32 v13, v55, 16, 1
	s_delay_alu instid0(VALU_DEP_1)
	v_add3_u32 v13, v55, v13, 0x7fff
                                        ; implicit-def: $vgpr55
; %bb.555:                              ;   in Loop: Header=BB394_419 Depth=1
	s_and_not1_saveexec_b32 s9, s1
; %bb.556:                              ;   in Loop: Header=BB394_419 Depth=1
	v_and_b32_e32 v13, 0xffff, v55
	v_or_b32_e32 v65, 0x10000, v55
	s_delay_alu instid0(VALU_DEP_2) | instskip(NEXT) | instid1(VALU_DEP_1)
	v_cmp_eq_u32_e64 s1, 0, v13
	v_cndmask_b32_e64 v13, v65, v55, s1
; %bb.557:                              ;   in Loop: Header=BB394_419 Depth=1
	s_or_b32 exec_lo, exec_lo, s9
	v_and_b32_e32 v55, 0xffff0000, v27
	v_lshlrev_b32_e32 v27, 16, v64
	s_delay_alu instid0(VALU_DEP_1) | instskip(NEXT) | instid1(VALU_DEP_1)
	v_mul_f32_e32 v64, v55, v27
	v_and_b32_e32 v27, 0x7f800000, v64
	s_delay_alu instid0(VALU_DEP_1) | instskip(NEXT) | instid1(VALU_DEP_1)
	v_cmp_ne_u32_e64 s1, 0x7f800000, v27
                                        ; implicit-def: $vgpr27
	s_and_saveexec_b32 s9, s1
	s_delay_alu instid0(SALU_CYCLE_1)
	s_xor_b32 s1, exec_lo, s9
; %bb.558:                              ;   in Loop: Header=BB394_419 Depth=1
	v_bfe_u32 v27, v64, 16, 1
	s_delay_alu instid0(VALU_DEP_1)
	v_add3_u32 v27, v64, v27, 0x7fff
                                        ; implicit-def: $vgpr64
; %bb.559:                              ;   in Loop: Header=BB394_419 Depth=1
	s_and_not1_saveexec_b32 s9, s1
; %bb.560:                              ;   in Loop: Header=BB394_419 Depth=1
	v_and_b32_e32 v27, 0xffff, v64
	v_or_b32_e32 v65, 0x10000, v64
	s_delay_alu instid0(VALU_DEP_2) | instskip(NEXT) | instid1(VALU_DEP_1)
	v_cmp_eq_u32_e64 s1, 0, v27
	v_cndmask_b32_e64 v27, v65, v64, s1
; %bb.561:                              ;   in Loop: Header=BB394_419 Depth=1
	s_or_b32 exec_lo, exec_lo, s9
	v_and_b32_e32 v64, 0xffff0000, v28
	v_lshlrev_b32_e32 v11, 16, v11
	s_delay_alu instid0(VALU_DEP_1) | instskip(NEXT) | instid1(VALU_DEP_1)
	v_mul_f32_e32 v11, v64, v11
	v_and_b32_e32 v28, 0x7f800000, v11
	s_delay_alu instid0(VALU_DEP_1) | instskip(NEXT) | instid1(VALU_DEP_1)
	v_cmp_ne_u32_e64 s1, 0x7f800000, v28
                                        ; implicit-def: $vgpr28
	s_and_saveexec_b32 s9, s1
	s_delay_alu instid0(SALU_CYCLE_1)
	s_xor_b32 s1, exec_lo, s9
; %bb.562:                              ;   in Loop: Header=BB394_419 Depth=1
	v_bfe_u32 v28, v11, 16, 1
	s_delay_alu instid0(VALU_DEP_1)
	v_add3_u32 v28, v11, v28, 0x7fff
                                        ; implicit-def: $vgpr11
; %bb.563:                              ;   in Loop: Header=BB394_419 Depth=1
	s_and_not1_saveexec_b32 s9, s1
; %bb.564:                              ;   in Loop: Header=BB394_419 Depth=1
	v_and_b32_e32 v28, 0xffff, v11
	v_or_b32_e32 v65, 0x10000, v11
	s_delay_alu instid0(VALU_DEP_2) | instskip(NEXT) | instid1(VALU_DEP_1)
	v_cmp_eq_u32_e64 s1, 0, v28
	v_cndmask_b32_e64 v28, v65, v11, s1
; %bb.565:                              ;   in Loop: Header=BB394_419 Depth=1
	s_or_b32 exec_lo, exec_lo, s9
	v_and_b32_e32 v65, 0xffff0000, v29
	v_lshlrev_b32_e32 v10, 16, v10
                                        ; implicit-def: $vgpr29
	s_delay_alu instid0(VALU_DEP_1) | instskip(NEXT) | instid1(VALU_DEP_1)
	v_mul_f32_e32 v10, v65, v10
	v_and_b32_e32 v11, 0x7f800000, v10
	s_delay_alu instid0(VALU_DEP_1) | instskip(NEXT) | instid1(VALU_DEP_1)
	v_cmp_ne_u32_e64 s1, 0x7f800000, v11
	s_and_saveexec_b32 s9, s1
	s_delay_alu instid0(SALU_CYCLE_1)
	s_xor_b32 s1, exec_lo, s9
; %bb.566:                              ;   in Loop: Header=BB394_419 Depth=1
	v_bfe_u32 v11, v10, 16, 1
	s_delay_alu instid0(VALU_DEP_1)
	v_add3_u32 v29, v10, v11, 0x7fff
                                        ; implicit-def: $vgpr10
; %bb.567:                              ;   in Loop: Header=BB394_419 Depth=1
	s_and_not1_saveexec_b32 s9, s1
; %bb.568:                              ;   in Loop: Header=BB394_419 Depth=1
	v_and_b32_e32 v11, 0xffff, v10
	v_or_b32_e32 v29, 0x10000, v10
	s_delay_alu instid0(VALU_DEP_2) | instskip(NEXT) | instid1(VALU_DEP_1)
	v_cmp_eq_u32_e64 s1, 0, v11
	v_cndmask_b32_e64 v29, v29, v10, s1
; %bb.569:                              ;   in Loop: Header=BB394_419 Depth=1
	s_or_b32 exec_lo, exec_lo, s9
	v_and_b32_e32 v66, 0xffff0000, v35
	v_lshlrev_b32_e32 v9, 16, v9
                                        ; implicit-def: $vgpr35
	s_delay_alu instid0(VALU_DEP_1) | instskip(NEXT) | instid1(VALU_DEP_1)
	v_mul_f32_e32 v9, v66, v9
	v_and_b32_e32 v10, 0x7f800000, v9
	s_delay_alu instid0(VALU_DEP_1) | instskip(NEXT) | instid1(VALU_DEP_1)
	v_cmp_ne_u32_e64 s1, 0x7f800000, v10
	s_and_saveexec_b32 s9, s1
	s_delay_alu instid0(SALU_CYCLE_1)
	s_xor_b32 s1, exec_lo, s9
; %bb.570:                              ;   in Loop: Header=BB394_419 Depth=1
	v_bfe_u32 v10, v9, 16, 1
	s_delay_alu instid0(VALU_DEP_1)
	v_add3_u32 v35, v9, v10, 0x7fff
                                        ; implicit-def: $vgpr9
; %bb.571:                              ;   in Loop: Header=BB394_419 Depth=1
	s_and_not1_saveexec_b32 s9, s1
; %bb.572:                              ;   in Loop: Header=BB394_419 Depth=1
	v_and_b32_e32 v10, 0xffff, v9
	v_or_b32_e32 v11, 0x10000, v9
	s_delay_alu instid0(VALU_DEP_2) | instskip(NEXT) | instid1(VALU_DEP_1)
	v_cmp_eq_u32_e64 s1, 0, v10
	v_cndmask_b32_e64 v35, v11, v9, s1
; %bb.573:                              ;   in Loop: Header=BB394_419 Depth=1
	s_or_b32 exec_lo, exec_lo, s9
	v_and_b32_e32 v67, 0xffff0000, v36
	v_lshlrev_b32_e32 v8, 16, v8
                                        ; implicit-def: $vgpr36
	s_delay_alu instid0(VALU_DEP_1) | instskip(NEXT) | instid1(VALU_DEP_1)
	v_mul_f32_e32 v8, v67, v8
	v_and_b32_e32 v9, 0x7f800000, v8
	s_delay_alu instid0(VALU_DEP_1) | instskip(NEXT) | instid1(VALU_DEP_1)
	v_cmp_ne_u32_e64 s1, 0x7f800000, v9
	s_and_saveexec_b32 s9, s1
	s_delay_alu instid0(SALU_CYCLE_1)
	s_xor_b32 s1, exec_lo, s9
; %bb.574:                              ;   in Loop: Header=BB394_419 Depth=1
	v_bfe_u32 v9, v8, 16, 1
	s_delay_alu instid0(VALU_DEP_1)
	v_add3_u32 v36, v8, v9, 0x7fff
                                        ; implicit-def: $vgpr8
; %bb.575:                              ;   in Loop: Header=BB394_419 Depth=1
	s_and_not1_saveexec_b32 s9, s1
; %bb.576:                              ;   in Loop: Header=BB394_419 Depth=1
	v_and_b32_e32 v9, 0xffff, v8
	v_or_b32_e32 v10, 0x10000, v8
	s_delay_alu instid0(VALU_DEP_2) | instskip(NEXT) | instid1(VALU_DEP_1)
	v_cmp_eq_u32_e64 s1, 0, v9
	v_cndmask_b32_e64 v36, v10, v8, s1
; %bb.577:                              ;   in Loop: Header=BB394_419 Depth=1
	s_or_b32 exec_lo, exec_lo, s9
	v_and_b32_e32 v68, 0xffff0000, v37
	v_lshlrev_b32_e32 v0, 16, v0
                                        ; implicit-def: $vgpr37
	s_delay_alu instid0(VALU_DEP_1) | instskip(NEXT) | instid1(VALU_DEP_1)
	v_mul_f32_e32 v0, v68, v0
	v_and_b32_e32 v8, 0x7f800000, v0
	s_delay_alu instid0(VALU_DEP_1) | instskip(NEXT) | instid1(VALU_DEP_1)
	v_cmp_ne_u32_e64 s1, 0x7f800000, v8
	s_and_saveexec_b32 s9, s1
	s_delay_alu instid0(SALU_CYCLE_1)
	s_xor_b32 s1, exec_lo, s9
; %bb.578:                              ;   in Loop: Header=BB394_419 Depth=1
	v_bfe_u32 v8, v0, 16, 1
	s_delay_alu instid0(VALU_DEP_1)
	v_add3_u32 v37, v0, v8, 0x7fff
                                        ; implicit-def: $vgpr0
; %bb.579:                              ;   in Loop: Header=BB394_419 Depth=1
	s_and_not1_saveexec_b32 s9, s1
; %bb.580:                              ;   in Loop: Header=BB394_419 Depth=1
	v_and_b32_e32 v8, 0xffff, v0
	v_or_b32_e32 v9, 0x10000, v0
	s_delay_alu instid0(VALU_DEP_2) | instskip(NEXT) | instid1(VALU_DEP_1)
	v_cmp_eq_u32_e64 s1, 0, v8
	v_cndmask_b32_e64 v37, v9, v0, s1
; %bb.581:                              ;   in Loop: Header=BB394_419 Depth=1
	s_or_b32 exec_lo, exec_lo, s9
	flat_load_b64 v[8:9], v[6:7] offset:256
	v_mov_b32_e32 v0, 0
	s_mov_b32 s9, exec_lo
	s_waitcnt vmcnt(0) lgkmcnt(0)
	v_and_b32_e32 v10, 0xff, v8
	s_delay_alu instid0(VALU_DEP_1)
	v_cmpx_ne_u16_e32 0, v10
	s_cbranch_execz .LBB394_589
; %bb.582:                              ;   in Loop: Header=BB394_419 Depth=1
	v_bfrev_b32_e32 v0, 1
	s_mov_b32 s12, exec_lo
	v_cmpx_ne_u16_e32 0x80, v10
	s_cbranch_execz .LBB394_588
; %bb.583:                              ;   in Loop: Header=BB394_419 Depth=1
	v_and_b32_e32 v10, 0x7f, v8
	v_mov_b32_e32 v0, 0x7f800001
	s_mov_b32 s13, exec_lo
	s_delay_alu instid0(VALU_DEP_2)
	v_cmpx_ne_u32_e32 0x7f, v10
	s_cbranch_execz .LBB394_587
; %bb.584:                              ;   in Loop: Header=BB394_419 Depth=1
	v_lshrrev_b32_e32 v0, 3, v10
	v_cmp_gt_u32_e64 s1, 8, v10
	v_dual_mov_b32 v11, v9 :: v_dual_mov_b32 v10, v8
	s_delay_alu instid0(VALU_DEP_2)
	s_and_saveexec_b32 s15, s1
; %bb.585:                              ;   in Loop: Header=BB394_419 Depth=1
	v_and_b32_e32 v0, 7, v8
	s_delay_alu instid0(VALU_DEP_1) | instskip(NEXT) | instid1(VALU_DEP_1)
	v_clz_i32_u32_e32 v0, v0
	v_min_u32_e32 v0, 32, v0
	s_delay_alu instid0(VALU_DEP_1) | instskip(SKIP_1) | instid1(VALU_DEP_2)
	v_subrev_nc_u32_e32 v10, 28, v0
	v_sub_nc_u32_e32 v0, 29, v0
	v_lshlrev_b64 v[10:11], v10, v[8:9]
; %bb.586:                              ;   in Loop: Header=BB394_419 Depth=1
	s_or_b32 exec_lo, exec_lo, s15
	s_delay_alu instid0(VALU_DEP_1) | instskip(SKIP_2) | instid1(VALU_DEP_3)
	v_lshlrev_b32_e32 v10, 20, v10
	v_lshlrev_b32_e32 v11, 24, v8
	v_lshl_add_u32 v0, v0, 23, 0x3c000000
	v_and_b32_e32 v10, 0x700000, v10
	s_delay_alu instid0(VALU_DEP_3) | instskip(NEXT) | instid1(VALU_DEP_1)
	v_and_b32_e32 v11, 0x80000000, v11
	v_or3_b32 v0, v10, v11, v0
.LBB394_587:                            ;   in Loop: Header=BB394_419 Depth=1
	s_or_b32 exec_lo, exec_lo, s13
.LBB394_588:                            ;   in Loop: Header=BB394_419 Depth=1
	s_delay_alu instid0(SALU_CYCLE_1)
	s_or_b32 exec_lo, exec_lo, s12
.LBB394_589:                            ;   in Loop: Header=BB394_419 Depth=1
	s_delay_alu instid0(SALU_CYCLE_1) | instskip(NEXT) | instid1(VALU_DEP_1)
	s_or_b32 exec_lo, exec_lo, s9
	v_mul_f32_e32 v0, v23, v0
                                        ; implicit-def: $vgpr69
	s_delay_alu instid0(VALU_DEP_1) | instskip(NEXT) | instid1(VALU_DEP_1)
	v_and_b32_e32 v10, 0x7f800000, v0
	v_cmp_ne_u32_e64 s1, 0x7f800000, v10
	s_delay_alu instid0(VALU_DEP_1) | instskip(NEXT) | instid1(SALU_CYCLE_1)
	s_and_saveexec_b32 s9, s1
	s_xor_b32 s1, exec_lo, s9
; %bb.590:                              ;   in Loop: Header=BB394_419 Depth=1
	v_bfe_u32 v10, v0, 16, 1
	s_delay_alu instid0(VALU_DEP_1)
	v_add3_u32 v69, v0, v10, 0x7fff
                                        ; implicit-def: $vgpr0
; %bb.591:                              ;   in Loop: Header=BB394_419 Depth=1
	s_and_not1_saveexec_b32 s9, s1
; %bb.592:                              ;   in Loop: Header=BB394_419 Depth=1
	v_and_b32_e32 v10, 0xffff, v0
	v_or_b32_e32 v11, 0x10000, v0
	s_delay_alu instid0(VALU_DEP_2) | instskip(NEXT) | instid1(VALU_DEP_1)
	v_cmp_eq_u32_e64 s1, 0, v10
	v_cndmask_b32_e64 v69, v11, v0, s1
; %bb.593:                              ;   in Loop: Header=BB394_419 Depth=1
	s_or_b32 exec_lo, exec_lo, s9
	v_lshrrev_b16 v10, 8, v8
	v_mov_b32_e32 v0, 0
	s_mov_b32 s9, exec_lo
	s_delay_alu instid0(VALU_DEP_2)
	v_cmpx_ne_u16_e32 0, v10
	s_cbranch_execz .LBB394_601
; %bb.594:                              ;   in Loop: Header=BB394_419 Depth=1
	v_bfrev_b32_e32 v0, 1
	s_mov_b32 s12, exec_lo
	v_cmpx_ne_u16_e32 0x80, v10
	s_cbranch_execz .LBB394_600
; %bb.595:                              ;   in Loop: Header=BB394_419 Depth=1
	v_and_b32_e32 v10, 0xffff, v10
	v_mov_b32_e32 v0, 0x7f800001
	s_mov_b32 s13, exec_lo
	s_delay_alu instid0(VALU_DEP_2) | instskip(NEXT) | instid1(VALU_DEP_1)
	v_and_b32_e32 v11, 0x7f, v10
	v_cmpx_ne_u32_e32 0x7f, v11
	s_cbranch_execz .LBB394_599
; %bb.596:                              ;   in Loop: Header=BB394_419 Depth=1
	v_and_b32_e32 v0, 7, v10
	v_lshrrev_b32_e32 v10, 3, v11
	s_mov_b32 s15, exec_lo
	v_cmpx_gt_u32_e32 8, v11
; %bb.597:                              ;   in Loop: Header=BB394_419 Depth=1
	s_delay_alu instid0(VALU_DEP_3) | instskip(NEXT) | instid1(VALU_DEP_1)
	v_clz_i32_u32_e32 v10, v0
	v_min_u32_e32 v10, 32, v10
	s_delay_alu instid0(VALU_DEP_1) | instskip(SKIP_1) | instid1(VALU_DEP_2)
	v_subrev_nc_u32_e32 v11, 28, v10
	v_sub_nc_u32_e32 v10, 29, v10
	v_lshlrev_b64 v[70:71], v11, v[0:1]
	s_delay_alu instid0(VALU_DEP_1)
	v_and_b32_e32 v0, 7, v70
; %bb.598:                              ;   in Loop: Header=BB394_419 Depth=1
	s_or_b32 exec_lo, exec_lo, s15
	v_lshlrev_b32_e32 v11, 16, v8
	s_delay_alu instid0(VALU_DEP_2) | instskip(SKIP_1) | instid1(VALU_DEP_3)
	v_lshlrev_b32_e32 v0, 20, v0
	v_lshl_add_u32 v10, v10, 23, 0x3c000000
	v_and_b32_e32 v11, 0x80000000, v11
	s_delay_alu instid0(VALU_DEP_1)
	v_or3_b32 v0, v0, v11, v10
.LBB394_599:                            ;   in Loop: Header=BB394_419 Depth=1
	s_or_b32 exec_lo, exec_lo, s13
.LBB394_600:                            ;   in Loop: Header=BB394_419 Depth=1
	s_delay_alu instid0(SALU_CYCLE_1)
	s_or_b32 exec_lo, exec_lo, s12
.LBB394_601:                            ;   in Loop: Header=BB394_419 Depth=1
	s_delay_alu instid0(SALU_CYCLE_1) | instskip(NEXT) | instid1(VALU_DEP_1)
	s_or_b32 exec_lo, exec_lo, s9
	v_mul_f32_e32 v0, v23, v0
                                        ; implicit-def: $vgpr70
	s_delay_alu instid0(VALU_DEP_1) | instskip(NEXT) | instid1(VALU_DEP_1)
	v_and_b32_e32 v10, 0x7f800000, v0
	v_cmp_ne_u32_e64 s1, 0x7f800000, v10
	s_delay_alu instid0(VALU_DEP_1) | instskip(NEXT) | instid1(SALU_CYCLE_1)
	s_and_saveexec_b32 s9, s1
	s_xor_b32 s1, exec_lo, s9
; %bb.602:                              ;   in Loop: Header=BB394_419 Depth=1
	v_bfe_u32 v10, v0, 16, 1
	s_delay_alu instid0(VALU_DEP_1)
	v_add3_u32 v70, v0, v10, 0x7fff
                                        ; implicit-def: $vgpr0
; %bb.603:                              ;   in Loop: Header=BB394_419 Depth=1
	s_and_not1_saveexec_b32 s9, s1
; %bb.604:                              ;   in Loop: Header=BB394_419 Depth=1
	v_and_b32_e32 v10, 0xffff, v0
	v_or_b32_e32 v11, 0x10000, v0
	s_delay_alu instid0(VALU_DEP_2) | instskip(NEXT) | instid1(VALU_DEP_1)
	v_cmp_eq_u32_e64 s1, 0, v10
	v_cndmask_b32_e64 v70, v11, v0, s1
; %bb.605:                              ;   in Loop: Header=BB394_419 Depth=1
	s_or_b32 exec_lo, exec_lo, s9
	v_lshrrev_b32_e32 v10, 16, v8
	s_mov_b32 s9, exec_lo
	s_delay_alu instid0(VALU_DEP_1) | instskip(NEXT) | instid1(VALU_DEP_1)
	v_dual_mov_b32 v0, 0 :: v_dual_and_b32 v11, 0xff, v10
	v_cmpx_ne_u16_e32 0, v11
	s_cbranch_execz .LBB394_613
; %bb.606:                              ;   in Loop: Header=BB394_419 Depth=1
	v_bfrev_b32_e32 v0, 1
	s_mov_b32 s12, exec_lo
	v_cmpx_ne_u16_e32 0x80, v11
	s_cbranch_execz .LBB394_612
; %bb.607:                              ;   in Loop: Header=BB394_419 Depth=1
	v_bfe_u32 v71, v8, 16, 7
	v_mov_b32_e32 v0, 0x7f800001
	s_mov_b32 s13, exec_lo
	s_delay_alu instid0(VALU_DEP_2)
	v_cmpx_ne_u32_e32 0x7f, v71
	s_cbranch_execz .LBB394_611
; %bb.608:                              ;   in Loop: Header=BB394_419 Depth=1
	v_and_b32_e32 v0, 7, v10
	v_lshrrev_b32_e32 v11, 3, v71
	s_mov_b32 s15, exec_lo
	v_cmpx_gt_u32_e32 8, v71
; %bb.609:                              ;   in Loop: Header=BB394_419 Depth=1
	s_delay_alu instid0(VALU_DEP_3) | instskip(NEXT) | instid1(VALU_DEP_1)
	v_clz_i32_u32_e32 v11, v0
	v_min_u32_e32 v11, 32, v11
	s_delay_alu instid0(VALU_DEP_1) | instskip(SKIP_1) | instid1(VALU_DEP_2)
	v_subrev_nc_u32_e32 v71, 28, v11
	v_sub_nc_u32_e32 v11, 29, v11
	v_lshlrev_b64 v[80:81], v71, v[0:1]
	s_delay_alu instid0(VALU_DEP_1)
	v_and_b32_e32 v0, 7, v80
; %bb.610:                              ;   in Loop: Header=BB394_419 Depth=1
	s_or_b32 exec_lo, exec_lo, s15
	v_lshlrev_b32_e32 v10, 24, v10
	s_delay_alu instid0(VALU_DEP_2) | instskip(SKIP_1) | instid1(VALU_DEP_3)
	v_lshlrev_b32_e32 v0, 20, v0
	v_lshl_add_u32 v11, v11, 23, 0x3c000000
	v_and_b32_e32 v10, 0x80000000, v10
	s_delay_alu instid0(VALU_DEP_1)
	v_or3_b32 v0, v0, v10, v11
.LBB394_611:                            ;   in Loop: Header=BB394_419 Depth=1
	s_or_b32 exec_lo, exec_lo, s13
.LBB394_612:                            ;   in Loop: Header=BB394_419 Depth=1
	s_delay_alu instid0(SALU_CYCLE_1)
	s_or_b32 exec_lo, exec_lo, s12
.LBB394_613:                            ;   in Loop: Header=BB394_419 Depth=1
	s_delay_alu instid0(SALU_CYCLE_1) | instskip(NEXT) | instid1(VALU_DEP_1)
	s_or_b32 exec_lo, exec_lo, s9
	v_mul_f32_e32 v0, v23, v0
                                        ; implicit-def: $vgpr71
	s_delay_alu instid0(VALU_DEP_1) | instskip(NEXT) | instid1(VALU_DEP_1)
	v_and_b32_e32 v10, 0x7f800000, v0
	v_cmp_ne_u32_e64 s1, 0x7f800000, v10
	s_delay_alu instid0(VALU_DEP_1) | instskip(NEXT) | instid1(SALU_CYCLE_1)
	s_and_saveexec_b32 s9, s1
	s_xor_b32 s1, exec_lo, s9
; %bb.614:                              ;   in Loop: Header=BB394_419 Depth=1
	v_bfe_u32 v10, v0, 16, 1
	s_delay_alu instid0(VALU_DEP_1)
	v_add3_u32 v71, v0, v10, 0x7fff
                                        ; implicit-def: $vgpr0
; %bb.615:                              ;   in Loop: Header=BB394_419 Depth=1
	s_and_not1_saveexec_b32 s9, s1
; %bb.616:                              ;   in Loop: Header=BB394_419 Depth=1
	v_and_b32_e32 v10, 0xffff, v0
	v_or_b32_e32 v11, 0x10000, v0
	s_delay_alu instid0(VALU_DEP_2) | instskip(NEXT) | instid1(VALU_DEP_1)
	v_cmp_eq_u32_e64 s1, 0, v10
	v_cndmask_b32_e64 v71, v11, v0, s1
; %bb.617:                              ;   in Loop: Header=BB394_419 Depth=1
	s_or_b32 exec_lo, exec_lo, s9
	v_mov_b32_e32 v0, 0
	s_mov_b32 s9, exec_lo
	v_cmpx_lt_u32_e32 0xffffff, v8
	s_cbranch_execz .LBB394_625
; %bb.618:                              ;   in Loop: Header=BB394_419 Depth=1
	v_lshrrev_b32_e32 v10, 24, v8
	v_bfrev_b32_e32 v0, 1
	s_mov_b32 s12, exec_lo
	s_delay_alu instid0(VALU_DEP_2)
	v_cmpx_ne_u32_e32 0x80, v10
	s_cbranch_execz .LBB394_624
; %bb.619:                              ;   in Loop: Header=BB394_419 Depth=1
	v_bfe_u32 v80, v8, 24, 7
	v_mov_b32_e32 v0, 0x7f800001
	s_mov_b32 s13, exec_lo
	s_delay_alu instid0(VALU_DEP_2)
	v_cmpx_ne_u32_e32 0x7f, v80
	s_cbranch_execz .LBB394_623
; %bb.620:                              ;   in Loop: Header=BB394_419 Depth=1
	v_and_b32_e32 v0, 7, v10
	v_lshrrev_b32_e32 v11, 3, v80
	s_mov_b32 s15, exec_lo
	v_cmpx_gt_u32_e32 8, v80
; %bb.621:                              ;   in Loop: Header=BB394_419 Depth=1
	s_delay_alu instid0(VALU_DEP_3) | instskip(NEXT) | instid1(VALU_DEP_1)
	v_clz_i32_u32_e32 v11, v0
	v_min_u32_e32 v11, 32, v11
	s_delay_alu instid0(VALU_DEP_1) | instskip(SKIP_1) | instid1(VALU_DEP_2)
	v_subrev_nc_u32_e32 v80, 28, v11
	v_sub_nc_u32_e32 v11, 29, v11
	v_lshlrev_b64 v[80:81], v80, v[0:1]
	s_delay_alu instid0(VALU_DEP_1)
	v_and_b32_e32 v0, 7, v80
; %bb.622:                              ;   in Loop: Header=BB394_419 Depth=1
	s_or_b32 exec_lo, exec_lo, s15
	v_lshlrev_b32_e32 v10, 24, v10
	s_delay_alu instid0(VALU_DEP_2) | instskip(SKIP_1) | instid1(VALU_DEP_3)
	v_lshlrev_b32_e32 v0, 20, v0
	v_lshl_add_u32 v11, v11, 23, 0x3c000000
	v_and_b32_e32 v10, 0x80000000, v10
	s_delay_alu instid0(VALU_DEP_1)
	v_or3_b32 v0, v0, v10, v11
.LBB394_623:                            ;   in Loop: Header=BB394_419 Depth=1
	s_or_b32 exec_lo, exec_lo, s13
.LBB394_624:                            ;   in Loop: Header=BB394_419 Depth=1
	s_delay_alu instid0(SALU_CYCLE_1)
	s_or_b32 exec_lo, exec_lo, s12
.LBB394_625:                            ;   in Loop: Header=BB394_419 Depth=1
	s_delay_alu instid0(SALU_CYCLE_1) | instskip(NEXT) | instid1(VALU_DEP_1)
	s_or_b32 exec_lo, exec_lo, s9
	v_mul_f32_e32 v0, v23, v0
                                        ; implicit-def: $vgpr80
	s_delay_alu instid0(VALU_DEP_1) | instskip(NEXT) | instid1(VALU_DEP_1)
	v_and_b32_e32 v10, 0x7f800000, v0
	v_cmp_ne_u32_e64 s1, 0x7f800000, v10
	s_delay_alu instid0(VALU_DEP_1) | instskip(NEXT) | instid1(SALU_CYCLE_1)
	s_and_saveexec_b32 s9, s1
	s_xor_b32 s1, exec_lo, s9
; %bb.626:                              ;   in Loop: Header=BB394_419 Depth=1
	v_bfe_u32 v10, v0, 16, 1
	s_delay_alu instid0(VALU_DEP_1)
	v_add3_u32 v80, v0, v10, 0x7fff
                                        ; implicit-def: $vgpr0
; %bb.627:                              ;   in Loop: Header=BB394_419 Depth=1
	s_and_not1_saveexec_b32 s9, s1
; %bb.628:                              ;   in Loop: Header=BB394_419 Depth=1
	v_and_b32_e32 v10, 0xffff, v0
	v_or_b32_e32 v11, 0x10000, v0
	s_delay_alu instid0(VALU_DEP_2) | instskip(NEXT) | instid1(VALU_DEP_1)
	v_cmp_eq_u32_e64 s1, 0, v10
	v_cndmask_b32_e64 v80, v11, v0, s1
; %bb.629:                              ;   in Loop: Header=BB394_419 Depth=1
	s_or_b32 exec_lo, exec_lo, s9
	v_dual_mov_b32 v0, v9 :: v_dual_and_b32 v11, 0xff, v9
	v_mov_b32_e32 v10, 0
	s_mov_b32 s9, exec_lo
	s_delay_alu instid0(VALU_DEP_2)
	v_cmpx_ne_u16_e32 0, v11
	s_cbranch_execz .LBB394_637
; %bb.630:                              ;   in Loop: Header=BB394_419 Depth=1
	v_bfrev_b32_e32 v10, 1
	s_mov_b32 s12, exec_lo
	v_cmpx_ne_u16_e32 0x80, v11
	s_cbranch_execz .LBB394_636
; %bb.631:                              ;   in Loop: Header=BB394_419 Depth=1
	v_and_b32_e32 v11, 0x7f, v9
	v_mov_b32_e32 v10, 0x7f800001
	s_mov_b32 s13, exec_lo
	s_delay_alu instid0(VALU_DEP_2)
	v_cmpx_ne_u32_e32 0x7f, v11
	s_cbranch_execz .LBB394_635
; %bb.632:                              ;   in Loop: Header=BB394_419 Depth=1
	v_lshrrev_b32_e32 v81, 3, v11
	v_cmp_gt_u32_e64 s1, 8, v11
	v_dual_mov_b32 v11, v1 :: v_dual_mov_b32 v10, v0
	s_delay_alu instid0(VALU_DEP_2)
	s_and_saveexec_b32 s15, s1
; %bb.633:                              ;   in Loop: Header=BB394_419 Depth=1
	v_and_b32_e32 v10, 7, v9
	s_delay_alu instid0(VALU_DEP_1) | instskip(NEXT) | instid1(VALU_DEP_1)
	v_clz_i32_u32_e32 v10, v10
	v_min_u32_e32 v81, 32, v10
	s_delay_alu instid0(VALU_DEP_1) | instskip(SKIP_1) | instid1(VALU_DEP_2)
	v_subrev_nc_u32_e32 v10, 28, v81
	v_sub_nc_u32_e32 v81, 29, v81
	v_lshlrev_b64 v[10:11], v10, v[0:1]
; %bb.634:                              ;   in Loop: Header=BB394_419 Depth=1
	s_or_b32 exec_lo, exec_lo, s15
	s_delay_alu instid0(VALU_DEP_1) | instskip(SKIP_2) | instid1(VALU_DEP_3)
	v_lshlrev_b32_e32 v10, 20, v10
	v_lshlrev_b32_e32 v11, 24, v0
	v_lshl_add_u32 v81, v81, 23, 0x3c000000
	v_and_b32_e32 v10, 0x700000, v10
	s_delay_alu instid0(VALU_DEP_3) | instskip(NEXT) | instid1(VALU_DEP_1)
	v_and_b32_e32 v11, 0x80000000, v11
	v_or3_b32 v10, v10, v11, v81
.LBB394_635:                            ;   in Loop: Header=BB394_419 Depth=1
	s_or_b32 exec_lo, exec_lo, s13
.LBB394_636:                            ;   in Loop: Header=BB394_419 Depth=1
	s_delay_alu instid0(SALU_CYCLE_1)
	s_or_b32 exec_lo, exec_lo, s12
.LBB394_637:                            ;   in Loop: Header=BB394_419 Depth=1
	s_delay_alu instid0(SALU_CYCLE_1) | instskip(NEXT) | instid1(VALU_DEP_1)
	s_or_b32 exec_lo, exec_lo, s9
	v_mul_f32_e32 v10, v23, v10
                                        ; implicit-def: $vgpr81
	s_delay_alu instid0(VALU_DEP_1) | instskip(NEXT) | instid1(VALU_DEP_1)
	v_and_b32_e32 v11, 0x7f800000, v10
	v_cmp_ne_u32_e64 s1, 0x7f800000, v11
	s_delay_alu instid0(VALU_DEP_1) | instskip(NEXT) | instid1(SALU_CYCLE_1)
	s_and_saveexec_b32 s9, s1
	s_xor_b32 s1, exec_lo, s9
; %bb.638:                              ;   in Loop: Header=BB394_419 Depth=1
	v_bfe_u32 v11, v10, 16, 1
	s_delay_alu instid0(VALU_DEP_1)
	v_add3_u32 v81, v10, v11, 0x7fff
                                        ; implicit-def: $vgpr10
; %bb.639:                              ;   in Loop: Header=BB394_419 Depth=1
	s_and_not1_saveexec_b32 s9, s1
; %bb.640:                              ;   in Loop: Header=BB394_419 Depth=1
	v_and_b32_e32 v11, 0xffff, v10
	v_or_b32_e32 v81, 0x10000, v10
	s_delay_alu instid0(VALU_DEP_2) | instskip(NEXT) | instid1(VALU_DEP_1)
	v_cmp_eq_u32_e64 s1, 0, v11
	v_cndmask_b32_e64 v81, v81, v10, s1
; %bb.641:                              ;   in Loop: Header=BB394_419 Depth=1
	s_or_b32 exec_lo, exec_lo, s9
	v_lshrrev_b16 v11, 8, v0
	v_mov_b32_e32 v10, 0
	s_mov_b32 s9, exec_lo
	s_delay_alu instid0(VALU_DEP_2)
	v_cmpx_ne_u16_e32 0, v11
	s_cbranch_execz .LBB394_649
; %bb.642:                              ;   in Loop: Header=BB394_419 Depth=1
	v_bfrev_b32_e32 v10, 1
	s_mov_b32 s12, exec_lo
	v_cmpx_ne_u16_e32 0x80, v11
	s_cbranch_execz .LBB394_648
; %bb.643:                              ;   in Loop: Header=BB394_419 Depth=1
	v_and_b32_e32 v11, 0xffff, v11
	v_mov_b32_e32 v10, 0x7f800001
	s_mov_b32 s13, exec_lo
	s_delay_alu instid0(VALU_DEP_2) | instskip(NEXT) | instid1(VALU_DEP_1)
	v_and_b32_e32 v83, 0x7f, v11
	v_cmpx_ne_u32_e32 0x7f, v83
	s_cbranch_execz .LBB394_647
; %bb.644:                              ;   in Loop: Header=BB394_419 Depth=1
	v_dual_mov_b32 v11, v1 :: v_dual_and_b32 v10, 7, v11
	v_lshrrev_b32_e32 v82, 3, v83
	s_mov_b32 s15, exec_lo
	v_cmpx_gt_u32_e32 8, v83
; %bb.645:                              ;   in Loop: Header=BB394_419 Depth=1
	s_delay_alu instid0(VALU_DEP_3) | instskip(NEXT) | instid1(VALU_DEP_1)
	v_clz_i32_u32_e32 v82, v10
	v_min_u32_e32 v82, 32, v82
	s_delay_alu instid0(VALU_DEP_1) | instskip(SKIP_1) | instid1(VALU_DEP_2)
	v_subrev_nc_u32_e32 v83, 28, v82
	v_sub_nc_u32_e32 v82, 29, v82
	v_lshlrev_b64 v[10:11], v83, v[10:11]
	s_delay_alu instid0(VALU_DEP_1)
	v_and_b32_e32 v10, 7, v10
; %bb.646:                              ;   in Loop: Header=BB394_419 Depth=1
	s_or_b32 exec_lo, exec_lo, s15
	v_lshlrev_b32_e32 v0, 16, v0
	s_delay_alu instid0(VALU_DEP_2) | instskip(SKIP_1) | instid1(VALU_DEP_3)
	v_lshlrev_b32_e32 v10, 20, v10
	v_lshl_add_u32 v11, v82, 23, 0x3c000000
	v_and_b32_e32 v0, 0x80000000, v0
	s_delay_alu instid0(VALU_DEP_1)
	v_or3_b32 v10, v10, v0, v11
.LBB394_647:                            ;   in Loop: Header=BB394_419 Depth=1
	s_or_b32 exec_lo, exec_lo, s13
.LBB394_648:                            ;   in Loop: Header=BB394_419 Depth=1
	s_delay_alu instid0(SALU_CYCLE_1)
	s_or_b32 exec_lo, exec_lo, s12
.LBB394_649:                            ;   in Loop: Header=BB394_419 Depth=1
	s_delay_alu instid0(SALU_CYCLE_1) | instskip(NEXT) | instid1(VALU_DEP_1)
	s_or_b32 exec_lo, exec_lo, s9
	v_mul_f32_e32 v0, v23, v10
	s_delay_alu instid0(VALU_DEP_1) | instskip(NEXT) | instid1(VALU_DEP_1)
	v_and_b32_e32 v10, 0x7f800000, v0
	v_cmp_ne_u32_e64 s1, 0x7f800000, v10
                                        ; implicit-def: $vgpr10
	s_delay_alu instid0(VALU_DEP_1) | instskip(NEXT) | instid1(SALU_CYCLE_1)
	s_and_saveexec_b32 s9, s1
	s_xor_b32 s1, exec_lo, s9
; %bb.650:                              ;   in Loop: Header=BB394_419 Depth=1
	v_bfe_u32 v10, v0, 16, 1
	s_delay_alu instid0(VALU_DEP_1)
	v_add3_u32 v10, v0, v10, 0x7fff
                                        ; implicit-def: $vgpr0
; %bb.651:                              ;   in Loop: Header=BB394_419 Depth=1
	s_and_not1_saveexec_b32 s9, s1
; %bb.652:                              ;   in Loop: Header=BB394_419 Depth=1
	v_and_b32_e32 v10, 0xffff, v0
	v_or_b32_e32 v11, 0x10000, v0
	s_delay_alu instid0(VALU_DEP_2) | instskip(NEXT) | instid1(VALU_DEP_1)
	v_cmp_eq_u32_e64 s1, 0, v10
	v_cndmask_b32_e64 v10, v11, v0, s1
; %bb.653:                              ;   in Loop: Header=BB394_419 Depth=1
	s_or_b32 exec_lo, exec_lo, s9
	v_lshrrev_b32_e32 v11, 16, v9
	v_mov_b32_e32 v0, 0
	s_mov_b32 s9, exec_lo
	s_delay_alu instid0(VALU_DEP_2) | instskip(NEXT) | instid1(VALU_DEP_1)
	v_and_b32_e32 v82, 0xff, v11
	v_cmpx_ne_u16_e32 0, v82
	s_cbranch_execz .LBB394_661
; %bb.654:                              ;   in Loop: Header=BB394_419 Depth=1
	v_bfrev_b32_e32 v0, 1
	s_mov_b32 s12, exec_lo
	v_cmpx_ne_u16_e32 0x80, v82
	s_cbranch_execz .LBB394_660
; %bb.655:                              ;   in Loop: Header=BB394_419 Depth=1
	v_bfe_u32 v83, v9, 16, 7
	v_mov_b32_e32 v0, 0x7f800001
	s_mov_b32 s13, exec_lo
	s_delay_alu instid0(VALU_DEP_2)
	v_cmpx_ne_u32_e32 0x7f, v83
	s_cbranch_execz .LBB394_659
; %bb.656:                              ;   in Loop: Header=BB394_419 Depth=1
	v_and_b32_e32 v0, 7, v11
	v_lshrrev_b32_e32 v82, 3, v83
	s_mov_b32 s15, exec_lo
	v_cmpx_gt_u32_e32 8, v83
; %bb.657:                              ;   in Loop: Header=BB394_419 Depth=1
	s_delay_alu instid0(VALU_DEP_3) | instskip(NEXT) | instid1(VALU_DEP_1)
	v_clz_i32_u32_e32 v82, v0
	v_min_u32_e32 v82, 32, v82
	s_delay_alu instid0(VALU_DEP_1) | instskip(SKIP_1) | instid1(VALU_DEP_2)
	v_subrev_nc_u32_e32 v83, 28, v82
	v_sub_nc_u32_e32 v82, 29, v82
	v_lshlrev_b64 v[83:84], v83, v[0:1]
	s_delay_alu instid0(VALU_DEP_1)
	v_and_b32_e32 v0, 7, v83
; %bb.658:                              ;   in Loop: Header=BB394_419 Depth=1
	s_or_b32 exec_lo, exec_lo, s15
	v_lshlrev_b32_e32 v11, 24, v11
	s_delay_alu instid0(VALU_DEP_2) | instskip(SKIP_1) | instid1(VALU_DEP_3)
	v_lshlrev_b32_e32 v0, 20, v0
	v_lshl_add_u32 v82, v82, 23, 0x3c000000
	v_and_b32_e32 v11, 0x80000000, v11
	s_delay_alu instid0(VALU_DEP_1)
	v_or3_b32 v0, v0, v11, v82
.LBB394_659:                            ;   in Loop: Header=BB394_419 Depth=1
	s_or_b32 exec_lo, exec_lo, s13
.LBB394_660:                            ;   in Loop: Header=BB394_419 Depth=1
	s_delay_alu instid0(SALU_CYCLE_1)
	s_or_b32 exec_lo, exec_lo, s12
.LBB394_661:                            ;   in Loop: Header=BB394_419 Depth=1
	s_delay_alu instid0(SALU_CYCLE_1) | instskip(NEXT) | instid1(VALU_DEP_1)
	s_or_b32 exec_lo, exec_lo, s9
	v_mul_f32_e32 v0, v23, v0
                                        ; implicit-def: $vgpr82
	s_delay_alu instid0(VALU_DEP_1) | instskip(NEXT) | instid1(VALU_DEP_1)
	v_and_b32_e32 v11, 0x7f800000, v0
	v_cmp_ne_u32_e64 s1, 0x7f800000, v11
	s_delay_alu instid0(VALU_DEP_1) | instskip(NEXT) | instid1(SALU_CYCLE_1)
	s_and_saveexec_b32 s9, s1
	s_xor_b32 s1, exec_lo, s9
; %bb.662:                              ;   in Loop: Header=BB394_419 Depth=1
	v_bfe_u32 v11, v0, 16, 1
	s_delay_alu instid0(VALU_DEP_1)
	v_add3_u32 v82, v0, v11, 0x7fff
                                        ; implicit-def: $vgpr0
; %bb.663:                              ;   in Loop: Header=BB394_419 Depth=1
	s_and_not1_saveexec_b32 s9, s1
; %bb.664:                              ;   in Loop: Header=BB394_419 Depth=1
	v_and_b32_e32 v11, 0xffff, v0
	v_or_b32_e32 v82, 0x10000, v0
	s_delay_alu instid0(VALU_DEP_2) | instskip(NEXT) | instid1(VALU_DEP_1)
	v_cmp_eq_u32_e64 s1, 0, v11
	v_cndmask_b32_e64 v82, v82, v0, s1
; %bb.665:                              ;   in Loop: Header=BB394_419 Depth=1
	s_or_b32 exec_lo, exec_lo, s9
	v_mov_b32_e32 v0, 0
	s_mov_b32 s9, exec_lo
	v_cmpx_lt_u64_e64 s[4:5], v[8:9]
	s_cbranch_execz .LBB394_673
; %bb.666:                              ;   in Loop: Header=BB394_419 Depth=1
	v_lshrrev_b32_e32 v8, 24, v9
	v_bfrev_b32_e32 v0, 1
	s_mov_b32 s12, exec_lo
	s_delay_alu instid0(VALU_DEP_2)
	v_cmpx_ne_u32_e32 0x80, v8
	s_cbranch_execz .LBB394_672
; %bb.667:                              ;   in Loop: Header=BB394_419 Depth=1
	v_bfe_u32 v11, v9, 24, 7
	v_mov_b32_e32 v0, 0x7f800001
	s_mov_b32 s13, exec_lo
	s_delay_alu instid0(VALU_DEP_2)
	v_cmpx_ne_u32_e32 0x7f, v11
	s_cbranch_execz .LBB394_671
; %bb.668:                              ;   in Loop: Header=BB394_419 Depth=1
	v_and_b32_e32 v0, 7, v8
	v_lshrrev_b32_e32 v9, 3, v11
	s_mov_b32 s15, exec_lo
	v_cmpx_gt_u32_e32 8, v11
; %bb.669:                              ;   in Loop: Header=BB394_419 Depth=1
	s_delay_alu instid0(VALU_DEP_3) | instskip(NEXT) | instid1(VALU_DEP_1)
	v_clz_i32_u32_e32 v9, v0
	v_min_u32_e32 v9, 32, v9
	s_delay_alu instid0(VALU_DEP_1) | instskip(SKIP_1) | instid1(VALU_DEP_2)
	v_subrev_nc_u32_e32 v11, 28, v9
	v_sub_nc_u32_e32 v9, 29, v9
	v_lshlrev_b64 v[83:84], v11, v[0:1]
	s_delay_alu instid0(VALU_DEP_1)
	v_and_b32_e32 v0, 7, v83
; %bb.670:                              ;   in Loop: Header=BB394_419 Depth=1
	s_or_b32 exec_lo, exec_lo, s15
	v_lshlrev_b32_e32 v8, 24, v8
	s_delay_alu instid0(VALU_DEP_2) | instskip(SKIP_1) | instid1(VALU_DEP_3)
	v_lshlrev_b32_e32 v0, 20, v0
	v_lshl_add_u32 v9, v9, 23, 0x3c000000
	v_and_b32_e32 v8, 0x80000000, v8
	s_delay_alu instid0(VALU_DEP_1)
	v_or3_b32 v0, v0, v8, v9
.LBB394_671:                            ;   in Loop: Header=BB394_419 Depth=1
	s_or_b32 exec_lo, exec_lo, s13
.LBB394_672:                            ;   in Loop: Header=BB394_419 Depth=1
	s_delay_alu instid0(SALU_CYCLE_1)
	s_or_b32 exec_lo, exec_lo, s12
.LBB394_673:                            ;   in Loop: Header=BB394_419 Depth=1
	s_delay_alu instid0(SALU_CYCLE_1) | instskip(NEXT) | instid1(VALU_DEP_1)
	s_or_b32 exec_lo, exec_lo, s9
	v_mul_f32_e32 v8, v23, v0
	s_delay_alu instid0(VALU_DEP_1) | instskip(NEXT) | instid1(VALU_DEP_1)
	v_and_b32_e32 v0, 0x7f800000, v8
	v_cmp_ne_u32_e64 s1, 0x7f800000, v0
                                        ; implicit-def: $vgpr0
	s_delay_alu instid0(VALU_DEP_1) | instskip(NEXT) | instid1(SALU_CYCLE_1)
	s_and_saveexec_b32 s9, s1
	s_xor_b32 s1, exec_lo, s9
; %bb.674:                              ;   in Loop: Header=BB394_419 Depth=1
	v_bfe_u32 v0, v8, 16, 1
	s_delay_alu instid0(VALU_DEP_1)
	v_add3_u32 v0, v8, v0, 0x7fff
                                        ; implicit-def: $vgpr8
; %bb.675:                              ;   in Loop: Header=BB394_419 Depth=1
	s_and_not1_saveexec_b32 s9, s1
; %bb.676:                              ;   in Loop: Header=BB394_419 Depth=1
	v_and_b32_e32 v0, 0xffff, v8
	v_or_b32_e32 v9, 0x10000, v8
	s_delay_alu instid0(VALU_DEP_2) | instskip(NEXT) | instid1(VALU_DEP_1)
	v_cmp_eq_u32_e64 s1, 0, v0
	v_cndmask_b32_e64 v0, v9, v8, s1
; %bb.677:                              ;   in Loop: Header=BB394_419 Depth=1
	s_or_b32 exec_lo, exec_lo, s9
	v_lshrrev_b32_e32 v9, 16, v10
	v_lshrrev_b32_e32 v10, 16, v81
	v_lshrrev_b32_e32 v11, 16, v80
	v_lshrrev_b32_e32 v71, 16, v71
	v_lshrrev_b32_e32 v70, 16, v70
	v_lshrrev_b32_e32 v69, 16, v69
	v_lshrrev_b32_e32 v8, 16, v82
	v_lshrrev_b32_e32 v0, 16, v0
	s_and_saveexec_b32 s9, vcc_lo
	s_cbranch_execz .LBB394_679
; %bb.678:                              ;   in Loop: Header=BB394_419 Depth=1
	v_cmp_lt_i32_e64 s1, v38, v32
	s_delay_alu instid0(VALU_DEP_1) | instskip(SKIP_1) | instid1(VALU_DEP_1)
	v_cndmask_b32_e64 v69, 0, v69, s1
	v_cmp_lt_i32_e64 s1, v52, v32
	v_cndmask_b32_e64 v70, 0, v70, s1
	v_cmp_lt_i32_e64 s1, v51, v32
	s_delay_alu instid0(VALU_DEP_1) | instskip(SKIP_1) | instid1(VALU_DEP_1)
	v_cndmask_b32_e64 v71, 0, v71, s1
	v_cmp_lt_i32_e64 s1, v50, v32
	v_cndmask_b32_e64 v11, 0, v11, s1
	v_cmp_lt_i32_e64 s1, v49, v32
	s_delay_alu instid0(VALU_DEP_1) | instskip(SKIP_1) | instid1(VALU_DEP_1)
	v_cndmask_b32_e64 v10, 0, v10, s1
	v_cmp_lt_i32_e64 s1, v48, v32
	v_cndmask_b32_e64 v9, 0, v9, s1
	v_cmp_lt_i32_e64 s1, v39, v32
	s_delay_alu instid0(VALU_DEP_1) | instskip(SKIP_1) | instid1(VALU_DEP_1)
	v_cndmask_b32_e64 v8, 0, v8, s1
	v_cmp_lt_i32_e64 s1, v25, v32
	v_cndmask_b32_e64 v0, 0, v0, s1
.LBB394_679:                            ;   in Loop: Header=BB394_419 Depth=1
	s_or_b32 exec_lo, exec_lo, s9
	v_lshlrev_b32_e32 v69, 16, v69
	s_delay_alu instid0(VALU_DEP_1) | instskip(NEXT) | instid1(VALU_DEP_1)
	v_mul_f32_e32 v80, v53, v69
	v_and_b32_e32 v69, 0x7f800000, v80
	s_delay_alu instid0(VALU_DEP_1) | instskip(NEXT) | instid1(VALU_DEP_1)
	v_cmp_ne_u32_e64 s1, 0x7f800000, v69
                                        ; implicit-def: $vgpr69
	s_and_saveexec_b32 s9, s1
	s_delay_alu instid0(SALU_CYCLE_1)
	s_xor_b32 s1, exec_lo, s9
; %bb.680:                              ;   in Loop: Header=BB394_419 Depth=1
	v_bfe_u32 v69, v80, 16, 1
	s_delay_alu instid0(VALU_DEP_1)
	v_add3_u32 v69, v80, v69, 0x7fff
                                        ; implicit-def: $vgpr80
; %bb.681:                              ;   in Loop: Header=BB394_419 Depth=1
	s_and_not1_saveexec_b32 s9, s1
; %bb.682:                              ;   in Loop: Header=BB394_419 Depth=1
	v_and_b32_e32 v69, 0xffff, v80
	v_or_b32_e32 v81, 0x10000, v80
	s_delay_alu instid0(VALU_DEP_2) | instskip(NEXT) | instid1(VALU_DEP_1)
	v_cmp_eq_u32_e64 s1, 0, v69
	v_cndmask_b32_e64 v69, v81, v80, s1
; %bb.683:                              ;   in Loop: Header=BB394_419 Depth=1
	s_or_b32 exec_lo, exec_lo, s9
	v_lshlrev_b32_e32 v70, 16, v70
	s_delay_alu instid0(VALU_DEP_1) | instskip(NEXT) | instid1(VALU_DEP_1)
	v_mul_f32_e32 v80, v54, v70
	v_and_b32_e32 v70, 0x7f800000, v80
	s_delay_alu instid0(VALU_DEP_1) | instskip(NEXT) | instid1(VALU_DEP_1)
	v_cmp_ne_u32_e64 s1, 0x7f800000, v70
                                        ; implicit-def: $vgpr70
	s_and_saveexec_b32 s9, s1
	s_delay_alu instid0(SALU_CYCLE_1)
	s_xor_b32 s1, exec_lo, s9
; %bb.684:                              ;   in Loop: Header=BB394_419 Depth=1
	v_bfe_u32 v70, v80, 16, 1
	s_delay_alu instid0(VALU_DEP_1)
	v_add3_u32 v70, v80, v70, 0x7fff
                                        ; implicit-def: $vgpr80
; %bb.685:                              ;   in Loop: Header=BB394_419 Depth=1
	s_and_not1_saveexec_b32 s9, s1
; %bb.686:                              ;   in Loop: Header=BB394_419 Depth=1
	v_and_b32_e32 v70, 0xffff, v80
	v_or_b32_e32 v81, 0x10000, v80
	s_delay_alu instid0(VALU_DEP_2) | instskip(NEXT) | instid1(VALU_DEP_1)
	v_cmp_eq_u32_e64 s1, 0, v70
	v_cndmask_b32_e64 v70, v81, v80, s1
; %bb.687:                              ;   in Loop: Header=BB394_419 Depth=1
	s_or_b32 exec_lo, exec_lo, s9
	v_lshlrev_b32_e32 v71, 16, v71
	s_delay_alu instid0(VALU_DEP_1) | instskip(NEXT) | instid1(VALU_DEP_1)
	v_mul_f32_e32 v80, v55, v71
	v_and_b32_e32 v71, 0x7f800000, v80
	s_delay_alu instid0(VALU_DEP_1) | instskip(NEXT) | instid1(VALU_DEP_1)
	v_cmp_ne_u32_e64 s1, 0x7f800000, v71
                                        ; implicit-def: $vgpr71
	s_and_saveexec_b32 s9, s1
	s_delay_alu instid0(SALU_CYCLE_1)
	s_xor_b32 s1, exec_lo, s9
; %bb.688:                              ;   in Loop: Header=BB394_419 Depth=1
	v_bfe_u32 v71, v80, 16, 1
	s_delay_alu instid0(VALU_DEP_1)
	v_add3_u32 v71, v80, v71, 0x7fff
                                        ; implicit-def: $vgpr80
; %bb.689:                              ;   in Loop: Header=BB394_419 Depth=1
	s_and_not1_saveexec_b32 s9, s1
; %bb.690:                              ;   in Loop: Header=BB394_419 Depth=1
	v_and_b32_e32 v71, 0xffff, v80
	v_or_b32_e32 v81, 0x10000, v80
	s_delay_alu instid0(VALU_DEP_2) | instskip(NEXT) | instid1(VALU_DEP_1)
	v_cmp_eq_u32_e64 s1, 0, v71
	v_cndmask_b32_e64 v71, v81, v80, s1
; %bb.691:                              ;   in Loop: Header=BB394_419 Depth=1
	s_or_b32 exec_lo, exec_lo, s9
	v_lshlrev_b32_e32 v11, 16, v11
	s_delay_alu instid0(VALU_DEP_1) | instskip(NEXT) | instid1(VALU_DEP_1)
	v_mul_f32_e32 v11, v64, v11
	v_and_b32_e32 v80, 0x7f800000, v11
	s_delay_alu instid0(VALU_DEP_1) | instskip(NEXT) | instid1(VALU_DEP_1)
	v_cmp_ne_u32_e64 s1, 0x7f800000, v80
                                        ; implicit-def: $vgpr80
	s_and_saveexec_b32 s9, s1
	s_delay_alu instid0(SALU_CYCLE_1)
	s_xor_b32 s1, exec_lo, s9
; %bb.692:                              ;   in Loop: Header=BB394_419 Depth=1
	v_bfe_u32 v80, v11, 16, 1
	s_delay_alu instid0(VALU_DEP_1)
	v_add3_u32 v80, v11, v80, 0x7fff
                                        ; implicit-def: $vgpr11
; %bb.693:                              ;   in Loop: Header=BB394_419 Depth=1
	s_and_not1_saveexec_b32 s9, s1
; %bb.694:                              ;   in Loop: Header=BB394_419 Depth=1
	v_and_b32_e32 v80, 0xffff, v11
	v_or_b32_e32 v81, 0x10000, v11
	s_delay_alu instid0(VALU_DEP_2) | instskip(NEXT) | instid1(VALU_DEP_1)
	v_cmp_eq_u32_e64 s1, 0, v80
	v_cndmask_b32_e64 v80, v81, v11, s1
; %bb.695:                              ;   in Loop: Header=BB394_419 Depth=1
	s_or_b32 exec_lo, exec_lo, s9
	v_lshlrev_b32_e32 v10, 16, v10
                                        ; implicit-def: $vgpr81
	s_delay_alu instid0(VALU_DEP_1) | instskip(NEXT) | instid1(VALU_DEP_1)
	v_mul_f32_e32 v10, v65, v10
	v_and_b32_e32 v11, 0x7f800000, v10
	s_delay_alu instid0(VALU_DEP_1) | instskip(NEXT) | instid1(VALU_DEP_1)
	v_cmp_ne_u32_e64 s1, 0x7f800000, v11
	s_and_saveexec_b32 s9, s1
	s_delay_alu instid0(SALU_CYCLE_1)
	s_xor_b32 s1, exec_lo, s9
; %bb.696:                              ;   in Loop: Header=BB394_419 Depth=1
	v_bfe_u32 v11, v10, 16, 1
	s_delay_alu instid0(VALU_DEP_1)
	v_add3_u32 v81, v10, v11, 0x7fff
                                        ; implicit-def: $vgpr10
; %bb.697:                              ;   in Loop: Header=BB394_419 Depth=1
	s_and_not1_saveexec_b32 s9, s1
; %bb.698:                              ;   in Loop: Header=BB394_419 Depth=1
	v_and_b32_e32 v11, 0xffff, v10
	v_or_b32_e32 v81, 0x10000, v10
	s_delay_alu instid0(VALU_DEP_2) | instskip(NEXT) | instid1(VALU_DEP_1)
	v_cmp_eq_u32_e64 s1, 0, v11
	v_cndmask_b32_e64 v81, v81, v10, s1
; %bb.699:                              ;   in Loop: Header=BB394_419 Depth=1
	s_or_b32 exec_lo, exec_lo, s9
	v_lshlrev_b32_e32 v9, 16, v9
                                        ; implicit-def: $vgpr82
	s_delay_alu instid0(VALU_DEP_1) | instskip(NEXT) | instid1(VALU_DEP_1)
	v_mul_f32_e32 v9, v66, v9
	v_and_b32_e32 v10, 0x7f800000, v9
	s_delay_alu instid0(VALU_DEP_1) | instskip(NEXT) | instid1(VALU_DEP_1)
	v_cmp_ne_u32_e64 s1, 0x7f800000, v10
	s_and_saveexec_b32 s9, s1
	s_delay_alu instid0(SALU_CYCLE_1)
	s_xor_b32 s1, exec_lo, s9
; %bb.700:                              ;   in Loop: Header=BB394_419 Depth=1
	v_bfe_u32 v10, v9, 16, 1
	s_delay_alu instid0(VALU_DEP_1)
	v_add3_u32 v82, v9, v10, 0x7fff
                                        ; implicit-def: $vgpr9
; %bb.701:                              ;   in Loop: Header=BB394_419 Depth=1
	s_and_not1_saveexec_b32 s9, s1
; %bb.702:                              ;   in Loop: Header=BB394_419 Depth=1
	v_and_b32_e32 v10, 0xffff, v9
	v_or_b32_e32 v11, 0x10000, v9
	s_delay_alu instid0(VALU_DEP_2) | instskip(NEXT) | instid1(VALU_DEP_1)
	v_cmp_eq_u32_e64 s1, 0, v10
	v_cndmask_b32_e64 v82, v11, v9, s1
; %bb.703:                              ;   in Loop: Header=BB394_419 Depth=1
	s_or_b32 exec_lo, exec_lo, s9
	v_lshlrev_b32_e32 v8, 16, v8
                                        ; implicit-def: $vgpr83
	s_delay_alu instid0(VALU_DEP_1) | instskip(NEXT) | instid1(VALU_DEP_1)
	v_mul_f32_e32 v8, v67, v8
	v_and_b32_e32 v9, 0x7f800000, v8
	s_delay_alu instid0(VALU_DEP_1) | instskip(NEXT) | instid1(VALU_DEP_1)
	v_cmp_ne_u32_e64 s1, 0x7f800000, v9
	s_and_saveexec_b32 s9, s1
	s_delay_alu instid0(SALU_CYCLE_1)
	s_xor_b32 s1, exec_lo, s9
; %bb.704:                              ;   in Loop: Header=BB394_419 Depth=1
	v_bfe_u32 v9, v8, 16, 1
	s_delay_alu instid0(VALU_DEP_1)
	v_add3_u32 v83, v8, v9, 0x7fff
                                        ; implicit-def: $vgpr8
; %bb.705:                              ;   in Loop: Header=BB394_419 Depth=1
	s_and_not1_saveexec_b32 s9, s1
; %bb.706:                              ;   in Loop: Header=BB394_419 Depth=1
	v_and_b32_e32 v9, 0xffff, v8
	v_or_b32_e32 v10, 0x10000, v8
	s_delay_alu instid0(VALU_DEP_2) | instskip(NEXT) | instid1(VALU_DEP_1)
	v_cmp_eq_u32_e64 s1, 0, v9
	v_cndmask_b32_e64 v83, v10, v8, s1
; %bb.707:                              ;   in Loop: Header=BB394_419 Depth=1
	s_or_b32 exec_lo, exec_lo, s9
	v_lshlrev_b32_e32 v0, 16, v0
                                        ; implicit-def: $vgpr84
	s_delay_alu instid0(VALU_DEP_1) | instskip(NEXT) | instid1(VALU_DEP_1)
	v_mul_f32_e32 v0, v68, v0
	v_and_b32_e32 v8, 0x7f800000, v0
	s_delay_alu instid0(VALU_DEP_1) | instskip(NEXT) | instid1(VALU_DEP_1)
	v_cmp_ne_u32_e64 s1, 0x7f800000, v8
	s_and_saveexec_b32 s9, s1
	s_delay_alu instid0(SALU_CYCLE_1)
	s_xor_b32 s1, exec_lo, s9
; %bb.708:                              ;   in Loop: Header=BB394_419 Depth=1
	v_bfe_u32 v8, v0, 16, 1
	s_delay_alu instid0(VALU_DEP_1)
	v_add3_u32 v84, v0, v8, 0x7fff
                                        ; implicit-def: $vgpr0
; %bb.709:                              ;   in Loop: Header=BB394_419 Depth=1
	s_and_not1_saveexec_b32 s9, s1
; %bb.710:                              ;   in Loop: Header=BB394_419 Depth=1
	v_and_b32_e32 v8, 0xffff, v0
	v_or_b32_e32 v9, 0x10000, v0
	s_delay_alu instid0(VALU_DEP_2) | instskip(NEXT) | instid1(VALU_DEP_1)
	v_cmp_eq_u32_e64 s1, 0, v8
	v_cndmask_b32_e64 v84, v9, v0, s1
; %bb.711:                              ;   in Loop: Header=BB394_419 Depth=1
	s_or_b32 exec_lo, exec_lo, s9
	flat_load_b64 v[8:9], v[6:7] offset:512
	v_mov_b32_e32 v0, 0
	s_mov_b32 s9, exec_lo
	s_waitcnt vmcnt(0) lgkmcnt(0)
	v_and_b32_e32 v10, 0xff, v8
	s_delay_alu instid0(VALU_DEP_1)
	v_cmpx_ne_u16_e32 0, v10
	s_cbranch_execz .LBB394_719
; %bb.712:                              ;   in Loop: Header=BB394_419 Depth=1
	v_bfrev_b32_e32 v0, 1
	s_mov_b32 s12, exec_lo
	v_cmpx_ne_u16_e32 0x80, v10
	s_cbranch_execz .LBB394_718
; %bb.713:                              ;   in Loop: Header=BB394_419 Depth=1
	v_and_b32_e32 v10, 0x7f, v8
	v_mov_b32_e32 v0, 0x7f800001
	s_mov_b32 s13, exec_lo
	s_delay_alu instid0(VALU_DEP_2)
	v_cmpx_ne_u32_e32 0x7f, v10
	s_cbranch_execz .LBB394_717
; %bb.714:                              ;   in Loop: Header=BB394_419 Depth=1
	v_lshrrev_b32_e32 v0, 3, v10
	v_cmp_gt_u32_e64 s1, 8, v10
	v_dual_mov_b32 v11, v9 :: v_dual_mov_b32 v10, v8
	s_delay_alu instid0(VALU_DEP_2)
	s_and_saveexec_b32 s15, s1
; %bb.715:                              ;   in Loop: Header=BB394_419 Depth=1
	v_and_b32_e32 v0, 7, v8
	s_delay_alu instid0(VALU_DEP_1) | instskip(NEXT) | instid1(VALU_DEP_1)
	v_clz_i32_u32_e32 v0, v0
	v_min_u32_e32 v0, 32, v0
	s_delay_alu instid0(VALU_DEP_1) | instskip(SKIP_1) | instid1(VALU_DEP_2)
	v_subrev_nc_u32_e32 v10, 28, v0
	v_sub_nc_u32_e32 v0, 29, v0
	v_lshlrev_b64 v[10:11], v10, v[8:9]
; %bb.716:                              ;   in Loop: Header=BB394_419 Depth=1
	s_or_b32 exec_lo, exec_lo, s15
	s_delay_alu instid0(VALU_DEP_1) | instskip(SKIP_2) | instid1(VALU_DEP_3)
	v_lshlrev_b32_e32 v10, 20, v10
	v_lshlrev_b32_e32 v11, 24, v8
	v_lshl_add_u32 v0, v0, 23, 0x3c000000
	v_and_b32_e32 v10, 0x700000, v10
	s_delay_alu instid0(VALU_DEP_3) | instskip(NEXT) | instid1(VALU_DEP_1)
	v_and_b32_e32 v11, 0x80000000, v11
	v_or3_b32 v0, v10, v11, v0
.LBB394_717:                            ;   in Loop: Header=BB394_419 Depth=1
	s_or_b32 exec_lo, exec_lo, s13
.LBB394_718:                            ;   in Loop: Header=BB394_419 Depth=1
	s_delay_alu instid0(SALU_CYCLE_1)
	s_or_b32 exec_lo, exec_lo, s12
.LBB394_719:                            ;   in Loop: Header=BB394_419 Depth=1
	s_delay_alu instid0(SALU_CYCLE_1) | instskip(NEXT) | instid1(VALU_DEP_1)
	s_or_b32 exec_lo, exec_lo, s9
	v_mul_f32_e32 v0, v23, v0
                                        ; implicit-def: $vgpr85
	s_delay_alu instid0(VALU_DEP_1) | instskip(NEXT) | instid1(VALU_DEP_1)
	v_and_b32_e32 v10, 0x7f800000, v0
	v_cmp_ne_u32_e64 s1, 0x7f800000, v10
	s_delay_alu instid0(VALU_DEP_1) | instskip(NEXT) | instid1(SALU_CYCLE_1)
	s_and_saveexec_b32 s9, s1
	s_xor_b32 s1, exec_lo, s9
; %bb.720:                              ;   in Loop: Header=BB394_419 Depth=1
	v_bfe_u32 v10, v0, 16, 1
	s_delay_alu instid0(VALU_DEP_1)
	v_add3_u32 v85, v0, v10, 0x7fff
                                        ; implicit-def: $vgpr0
; %bb.721:                              ;   in Loop: Header=BB394_419 Depth=1
	s_and_not1_saveexec_b32 s9, s1
; %bb.722:                              ;   in Loop: Header=BB394_419 Depth=1
	v_and_b32_e32 v10, 0xffff, v0
	v_or_b32_e32 v11, 0x10000, v0
	s_delay_alu instid0(VALU_DEP_2) | instskip(NEXT) | instid1(VALU_DEP_1)
	v_cmp_eq_u32_e64 s1, 0, v10
	v_cndmask_b32_e64 v85, v11, v0, s1
; %bb.723:                              ;   in Loop: Header=BB394_419 Depth=1
	s_or_b32 exec_lo, exec_lo, s9
	v_lshrrev_b16 v10, 8, v8
	v_mov_b32_e32 v0, 0
	s_mov_b32 s9, exec_lo
	s_delay_alu instid0(VALU_DEP_2)
	v_cmpx_ne_u16_e32 0, v10
	s_cbranch_execz .LBB394_731
; %bb.724:                              ;   in Loop: Header=BB394_419 Depth=1
	v_bfrev_b32_e32 v0, 1
	s_mov_b32 s12, exec_lo
	v_cmpx_ne_u16_e32 0x80, v10
	s_cbranch_execz .LBB394_730
; %bb.725:                              ;   in Loop: Header=BB394_419 Depth=1
	v_and_b32_e32 v10, 0xffff, v10
	v_mov_b32_e32 v0, 0x7f800001
	s_mov_b32 s13, exec_lo
	s_delay_alu instid0(VALU_DEP_2) | instskip(NEXT) | instid1(VALU_DEP_1)
	v_and_b32_e32 v11, 0x7f, v10
	v_cmpx_ne_u32_e32 0x7f, v11
	s_cbranch_execz .LBB394_729
; %bb.726:                              ;   in Loop: Header=BB394_419 Depth=1
	v_and_b32_e32 v0, 7, v10
	v_lshrrev_b32_e32 v10, 3, v11
	s_mov_b32 s15, exec_lo
	v_cmpx_gt_u32_e32 8, v11
; %bb.727:                              ;   in Loop: Header=BB394_419 Depth=1
	s_delay_alu instid0(VALU_DEP_3) | instskip(NEXT) | instid1(VALU_DEP_1)
	v_clz_i32_u32_e32 v10, v0
	v_min_u32_e32 v10, 32, v10
	s_delay_alu instid0(VALU_DEP_1) | instskip(SKIP_1) | instid1(VALU_DEP_2)
	v_subrev_nc_u32_e32 v11, 28, v10
	v_sub_nc_u32_e32 v10, 29, v10
	v_lshlrev_b64 v[86:87], v11, v[0:1]
	s_delay_alu instid0(VALU_DEP_1)
	v_and_b32_e32 v0, 7, v86
; %bb.728:                              ;   in Loop: Header=BB394_419 Depth=1
	s_or_b32 exec_lo, exec_lo, s15
	v_lshlrev_b32_e32 v11, 16, v8
	s_delay_alu instid0(VALU_DEP_2) | instskip(SKIP_1) | instid1(VALU_DEP_3)
	v_lshlrev_b32_e32 v0, 20, v0
	v_lshl_add_u32 v10, v10, 23, 0x3c000000
	v_and_b32_e32 v11, 0x80000000, v11
	s_delay_alu instid0(VALU_DEP_1)
	v_or3_b32 v0, v0, v11, v10
.LBB394_729:                            ;   in Loop: Header=BB394_419 Depth=1
	s_or_b32 exec_lo, exec_lo, s13
.LBB394_730:                            ;   in Loop: Header=BB394_419 Depth=1
	s_delay_alu instid0(SALU_CYCLE_1)
	s_or_b32 exec_lo, exec_lo, s12
.LBB394_731:                            ;   in Loop: Header=BB394_419 Depth=1
	s_delay_alu instid0(SALU_CYCLE_1) | instskip(NEXT) | instid1(VALU_DEP_1)
	s_or_b32 exec_lo, exec_lo, s9
	v_mul_f32_e32 v0, v23, v0
                                        ; implicit-def: $vgpr86
	s_delay_alu instid0(VALU_DEP_1) | instskip(NEXT) | instid1(VALU_DEP_1)
	v_and_b32_e32 v10, 0x7f800000, v0
	v_cmp_ne_u32_e64 s1, 0x7f800000, v10
	s_delay_alu instid0(VALU_DEP_1) | instskip(NEXT) | instid1(SALU_CYCLE_1)
	s_and_saveexec_b32 s9, s1
	s_xor_b32 s1, exec_lo, s9
; %bb.732:                              ;   in Loop: Header=BB394_419 Depth=1
	v_bfe_u32 v10, v0, 16, 1
	s_delay_alu instid0(VALU_DEP_1)
	v_add3_u32 v86, v0, v10, 0x7fff
                                        ; implicit-def: $vgpr0
; %bb.733:                              ;   in Loop: Header=BB394_419 Depth=1
	s_and_not1_saveexec_b32 s9, s1
; %bb.734:                              ;   in Loop: Header=BB394_419 Depth=1
	v_and_b32_e32 v10, 0xffff, v0
	v_or_b32_e32 v11, 0x10000, v0
	s_delay_alu instid0(VALU_DEP_2) | instskip(NEXT) | instid1(VALU_DEP_1)
	v_cmp_eq_u32_e64 s1, 0, v10
	v_cndmask_b32_e64 v86, v11, v0, s1
; %bb.735:                              ;   in Loop: Header=BB394_419 Depth=1
	s_or_b32 exec_lo, exec_lo, s9
	v_lshrrev_b32_e32 v10, 16, v8
	s_mov_b32 s9, exec_lo
	s_delay_alu instid0(VALU_DEP_1) | instskip(NEXT) | instid1(VALU_DEP_1)
	v_dual_mov_b32 v0, 0 :: v_dual_and_b32 v11, 0xff, v10
	v_cmpx_ne_u16_e32 0, v11
	s_cbranch_execz .LBB394_743
; %bb.736:                              ;   in Loop: Header=BB394_419 Depth=1
	v_bfrev_b32_e32 v0, 1
	s_mov_b32 s12, exec_lo
	v_cmpx_ne_u16_e32 0x80, v11
	s_cbranch_execz .LBB394_742
; %bb.737:                              ;   in Loop: Header=BB394_419 Depth=1
	v_bfe_u32 v87, v8, 16, 7
	v_mov_b32_e32 v0, 0x7f800001
	s_mov_b32 s13, exec_lo
	s_delay_alu instid0(VALU_DEP_2)
	v_cmpx_ne_u32_e32 0x7f, v87
	s_cbranch_execz .LBB394_741
; %bb.738:                              ;   in Loop: Header=BB394_419 Depth=1
	v_and_b32_e32 v0, 7, v10
	v_lshrrev_b32_e32 v11, 3, v87
	s_mov_b32 s15, exec_lo
	v_cmpx_gt_u32_e32 8, v87
; %bb.739:                              ;   in Loop: Header=BB394_419 Depth=1
	s_delay_alu instid0(VALU_DEP_3) | instskip(NEXT) | instid1(VALU_DEP_1)
	v_clz_i32_u32_e32 v11, v0
	v_min_u32_e32 v11, 32, v11
	s_delay_alu instid0(VALU_DEP_1) | instskip(SKIP_1) | instid1(VALU_DEP_2)
	v_subrev_nc_u32_e32 v87, 28, v11
	v_sub_nc_u32_e32 v11, 29, v11
	v_lshlrev_b64 v[96:97], v87, v[0:1]
	s_delay_alu instid0(VALU_DEP_1)
	v_and_b32_e32 v0, 7, v96
; %bb.740:                              ;   in Loop: Header=BB394_419 Depth=1
	s_or_b32 exec_lo, exec_lo, s15
	v_lshlrev_b32_e32 v10, 24, v10
	s_delay_alu instid0(VALU_DEP_2) | instskip(SKIP_1) | instid1(VALU_DEP_3)
	v_lshlrev_b32_e32 v0, 20, v0
	v_lshl_add_u32 v11, v11, 23, 0x3c000000
	v_and_b32_e32 v10, 0x80000000, v10
	s_delay_alu instid0(VALU_DEP_1)
	v_or3_b32 v0, v0, v10, v11
.LBB394_741:                            ;   in Loop: Header=BB394_419 Depth=1
	s_or_b32 exec_lo, exec_lo, s13
.LBB394_742:                            ;   in Loop: Header=BB394_419 Depth=1
	s_delay_alu instid0(SALU_CYCLE_1)
	s_or_b32 exec_lo, exec_lo, s12
.LBB394_743:                            ;   in Loop: Header=BB394_419 Depth=1
	s_delay_alu instid0(SALU_CYCLE_1) | instskip(NEXT) | instid1(VALU_DEP_1)
	s_or_b32 exec_lo, exec_lo, s9
	v_mul_f32_e32 v0, v23, v0
                                        ; implicit-def: $vgpr87
	s_delay_alu instid0(VALU_DEP_1) | instskip(NEXT) | instid1(VALU_DEP_1)
	v_and_b32_e32 v10, 0x7f800000, v0
	v_cmp_ne_u32_e64 s1, 0x7f800000, v10
	s_delay_alu instid0(VALU_DEP_1) | instskip(NEXT) | instid1(SALU_CYCLE_1)
	s_and_saveexec_b32 s9, s1
	s_xor_b32 s1, exec_lo, s9
; %bb.744:                              ;   in Loop: Header=BB394_419 Depth=1
	v_bfe_u32 v10, v0, 16, 1
	s_delay_alu instid0(VALU_DEP_1)
	v_add3_u32 v87, v0, v10, 0x7fff
                                        ; implicit-def: $vgpr0
; %bb.745:                              ;   in Loop: Header=BB394_419 Depth=1
	s_and_not1_saveexec_b32 s9, s1
; %bb.746:                              ;   in Loop: Header=BB394_419 Depth=1
	v_and_b32_e32 v10, 0xffff, v0
	v_or_b32_e32 v11, 0x10000, v0
	s_delay_alu instid0(VALU_DEP_2) | instskip(NEXT) | instid1(VALU_DEP_1)
	v_cmp_eq_u32_e64 s1, 0, v10
	v_cndmask_b32_e64 v87, v11, v0, s1
; %bb.747:                              ;   in Loop: Header=BB394_419 Depth=1
	s_or_b32 exec_lo, exec_lo, s9
	v_mov_b32_e32 v0, 0
	s_mov_b32 s9, exec_lo
	v_cmpx_lt_u32_e32 0xffffff, v8
	s_cbranch_execz .LBB394_755
; %bb.748:                              ;   in Loop: Header=BB394_419 Depth=1
	v_lshrrev_b32_e32 v10, 24, v8
	v_bfrev_b32_e32 v0, 1
	s_mov_b32 s12, exec_lo
	s_delay_alu instid0(VALU_DEP_2)
	v_cmpx_ne_u32_e32 0x80, v10
	s_cbranch_execz .LBB394_754
; %bb.749:                              ;   in Loop: Header=BB394_419 Depth=1
	v_bfe_u32 v96, v8, 24, 7
	v_mov_b32_e32 v0, 0x7f800001
	s_mov_b32 s13, exec_lo
	s_delay_alu instid0(VALU_DEP_2)
	v_cmpx_ne_u32_e32 0x7f, v96
	s_cbranch_execz .LBB394_753
; %bb.750:                              ;   in Loop: Header=BB394_419 Depth=1
	v_and_b32_e32 v0, 7, v10
	v_lshrrev_b32_e32 v11, 3, v96
	s_mov_b32 s15, exec_lo
	v_cmpx_gt_u32_e32 8, v96
; %bb.751:                              ;   in Loop: Header=BB394_419 Depth=1
	s_delay_alu instid0(VALU_DEP_3) | instskip(NEXT) | instid1(VALU_DEP_1)
	v_clz_i32_u32_e32 v11, v0
	v_min_u32_e32 v11, 32, v11
	s_delay_alu instid0(VALU_DEP_1) | instskip(SKIP_1) | instid1(VALU_DEP_2)
	v_subrev_nc_u32_e32 v96, 28, v11
	v_sub_nc_u32_e32 v11, 29, v11
	v_lshlrev_b64 v[96:97], v96, v[0:1]
	s_delay_alu instid0(VALU_DEP_1)
	v_and_b32_e32 v0, 7, v96
; %bb.752:                              ;   in Loop: Header=BB394_419 Depth=1
	s_or_b32 exec_lo, exec_lo, s15
	v_lshlrev_b32_e32 v10, 24, v10
	s_delay_alu instid0(VALU_DEP_2) | instskip(SKIP_1) | instid1(VALU_DEP_3)
	v_lshlrev_b32_e32 v0, 20, v0
	v_lshl_add_u32 v11, v11, 23, 0x3c000000
	v_and_b32_e32 v10, 0x80000000, v10
	s_delay_alu instid0(VALU_DEP_1)
	v_or3_b32 v0, v0, v10, v11
.LBB394_753:                            ;   in Loop: Header=BB394_419 Depth=1
	s_or_b32 exec_lo, exec_lo, s13
.LBB394_754:                            ;   in Loop: Header=BB394_419 Depth=1
	s_delay_alu instid0(SALU_CYCLE_1)
	s_or_b32 exec_lo, exec_lo, s12
.LBB394_755:                            ;   in Loop: Header=BB394_419 Depth=1
	s_delay_alu instid0(SALU_CYCLE_1) | instskip(NEXT) | instid1(VALU_DEP_1)
	s_or_b32 exec_lo, exec_lo, s9
	v_mul_f32_e32 v0, v23, v0
                                        ; implicit-def: $vgpr96
	s_delay_alu instid0(VALU_DEP_1) | instskip(NEXT) | instid1(VALU_DEP_1)
	v_and_b32_e32 v10, 0x7f800000, v0
	v_cmp_ne_u32_e64 s1, 0x7f800000, v10
	s_delay_alu instid0(VALU_DEP_1) | instskip(NEXT) | instid1(SALU_CYCLE_1)
	s_and_saveexec_b32 s9, s1
	s_xor_b32 s1, exec_lo, s9
; %bb.756:                              ;   in Loop: Header=BB394_419 Depth=1
	v_bfe_u32 v10, v0, 16, 1
	s_delay_alu instid0(VALU_DEP_1)
	v_add3_u32 v96, v0, v10, 0x7fff
                                        ; implicit-def: $vgpr0
; %bb.757:                              ;   in Loop: Header=BB394_419 Depth=1
	s_and_not1_saveexec_b32 s9, s1
; %bb.758:                              ;   in Loop: Header=BB394_419 Depth=1
	v_and_b32_e32 v10, 0xffff, v0
	v_or_b32_e32 v11, 0x10000, v0
	s_delay_alu instid0(VALU_DEP_2) | instskip(NEXT) | instid1(VALU_DEP_1)
	v_cmp_eq_u32_e64 s1, 0, v10
	v_cndmask_b32_e64 v96, v11, v0, s1
; %bb.759:                              ;   in Loop: Header=BB394_419 Depth=1
	s_or_b32 exec_lo, exec_lo, s9
	v_dual_mov_b32 v0, v9 :: v_dual_and_b32 v11, 0xff, v9
	v_mov_b32_e32 v10, 0
	s_mov_b32 s9, exec_lo
	s_delay_alu instid0(VALU_DEP_2)
	v_cmpx_ne_u16_e32 0, v11
	s_cbranch_execz .LBB394_767
; %bb.760:                              ;   in Loop: Header=BB394_419 Depth=1
	v_bfrev_b32_e32 v10, 1
	s_mov_b32 s12, exec_lo
	v_cmpx_ne_u16_e32 0x80, v11
	s_cbranch_execz .LBB394_766
; %bb.761:                              ;   in Loop: Header=BB394_419 Depth=1
	v_and_b32_e32 v11, 0x7f, v9
	v_mov_b32_e32 v10, 0x7f800001
	s_mov_b32 s13, exec_lo
	s_delay_alu instid0(VALU_DEP_2)
	v_cmpx_ne_u32_e32 0x7f, v11
	s_cbranch_execz .LBB394_765
; %bb.762:                              ;   in Loop: Header=BB394_419 Depth=1
	v_lshrrev_b32_e32 v97, 3, v11
	v_cmp_gt_u32_e64 s1, 8, v11
	v_dual_mov_b32 v11, v1 :: v_dual_mov_b32 v10, v0
	s_delay_alu instid0(VALU_DEP_2)
	s_and_saveexec_b32 s15, s1
; %bb.763:                              ;   in Loop: Header=BB394_419 Depth=1
	v_and_b32_e32 v10, 7, v9
	s_delay_alu instid0(VALU_DEP_1) | instskip(NEXT) | instid1(VALU_DEP_1)
	v_clz_i32_u32_e32 v10, v10
	v_min_u32_e32 v97, 32, v10
	s_delay_alu instid0(VALU_DEP_1) | instskip(SKIP_1) | instid1(VALU_DEP_2)
	v_subrev_nc_u32_e32 v10, 28, v97
	v_sub_nc_u32_e32 v97, 29, v97
	v_lshlrev_b64 v[10:11], v10, v[0:1]
; %bb.764:                              ;   in Loop: Header=BB394_419 Depth=1
	s_or_b32 exec_lo, exec_lo, s15
	s_delay_alu instid0(VALU_DEP_1) | instskip(SKIP_2) | instid1(VALU_DEP_3)
	v_lshlrev_b32_e32 v10, 20, v10
	v_lshlrev_b32_e32 v11, 24, v0
	v_lshl_add_u32 v97, v97, 23, 0x3c000000
	v_and_b32_e32 v10, 0x700000, v10
	s_delay_alu instid0(VALU_DEP_3) | instskip(NEXT) | instid1(VALU_DEP_1)
	v_and_b32_e32 v11, 0x80000000, v11
	v_or3_b32 v10, v10, v11, v97
.LBB394_765:                            ;   in Loop: Header=BB394_419 Depth=1
	s_or_b32 exec_lo, exec_lo, s13
.LBB394_766:                            ;   in Loop: Header=BB394_419 Depth=1
	s_delay_alu instid0(SALU_CYCLE_1)
	s_or_b32 exec_lo, exec_lo, s12
.LBB394_767:                            ;   in Loop: Header=BB394_419 Depth=1
	s_delay_alu instid0(SALU_CYCLE_1) | instskip(NEXT) | instid1(VALU_DEP_1)
	s_or_b32 exec_lo, exec_lo, s9
	v_mul_f32_e32 v10, v23, v10
                                        ; implicit-def: $vgpr97
	s_delay_alu instid0(VALU_DEP_1) | instskip(NEXT) | instid1(VALU_DEP_1)
	v_and_b32_e32 v11, 0x7f800000, v10
	v_cmp_ne_u32_e64 s1, 0x7f800000, v11
	s_delay_alu instid0(VALU_DEP_1) | instskip(NEXT) | instid1(SALU_CYCLE_1)
	s_and_saveexec_b32 s9, s1
	s_xor_b32 s1, exec_lo, s9
; %bb.768:                              ;   in Loop: Header=BB394_419 Depth=1
	v_bfe_u32 v11, v10, 16, 1
	s_delay_alu instid0(VALU_DEP_1)
	v_add3_u32 v97, v10, v11, 0x7fff
                                        ; implicit-def: $vgpr10
; %bb.769:                              ;   in Loop: Header=BB394_419 Depth=1
	s_and_not1_saveexec_b32 s9, s1
; %bb.770:                              ;   in Loop: Header=BB394_419 Depth=1
	v_and_b32_e32 v11, 0xffff, v10
	v_or_b32_e32 v97, 0x10000, v10
	s_delay_alu instid0(VALU_DEP_2) | instskip(NEXT) | instid1(VALU_DEP_1)
	v_cmp_eq_u32_e64 s1, 0, v11
	v_cndmask_b32_e64 v97, v97, v10, s1
; %bb.771:                              ;   in Loop: Header=BB394_419 Depth=1
	s_or_b32 exec_lo, exec_lo, s9
	v_lshrrev_b16 v11, 8, v0
	v_mov_b32_e32 v10, 0
	s_mov_b32 s9, exec_lo
	s_delay_alu instid0(VALU_DEP_2)
	v_cmpx_ne_u16_e32 0, v11
	s_cbranch_execz .LBB394_779
; %bb.772:                              ;   in Loop: Header=BB394_419 Depth=1
	v_bfrev_b32_e32 v10, 1
	s_mov_b32 s12, exec_lo
	v_cmpx_ne_u16_e32 0x80, v11
	s_cbranch_execz .LBB394_778
; %bb.773:                              ;   in Loop: Header=BB394_419 Depth=1
	v_and_b32_e32 v11, 0xffff, v11
	v_mov_b32_e32 v10, 0x7f800001
	s_mov_b32 s13, exec_lo
	s_delay_alu instid0(VALU_DEP_2) | instskip(NEXT) | instid1(VALU_DEP_1)
	v_and_b32_e32 v99, 0x7f, v11
	v_cmpx_ne_u32_e32 0x7f, v99
	s_cbranch_execz .LBB394_777
; %bb.774:                              ;   in Loop: Header=BB394_419 Depth=1
	v_dual_mov_b32 v11, v1 :: v_dual_and_b32 v10, 7, v11
	v_lshrrev_b32_e32 v98, 3, v99
	s_mov_b32 s15, exec_lo
	v_cmpx_gt_u32_e32 8, v99
; %bb.775:                              ;   in Loop: Header=BB394_419 Depth=1
	s_delay_alu instid0(VALU_DEP_3) | instskip(NEXT) | instid1(VALU_DEP_1)
	v_clz_i32_u32_e32 v98, v10
	v_min_u32_e32 v98, 32, v98
	s_delay_alu instid0(VALU_DEP_1) | instskip(SKIP_1) | instid1(VALU_DEP_2)
	v_subrev_nc_u32_e32 v99, 28, v98
	v_sub_nc_u32_e32 v98, 29, v98
	v_lshlrev_b64 v[10:11], v99, v[10:11]
	s_delay_alu instid0(VALU_DEP_1)
	v_and_b32_e32 v10, 7, v10
; %bb.776:                              ;   in Loop: Header=BB394_419 Depth=1
	s_or_b32 exec_lo, exec_lo, s15
	v_lshlrev_b32_e32 v0, 16, v0
	s_delay_alu instid0(VALU_DEP_2) | instskip(SKIP_1) | instid1(VALU_DEP_3)
	v_lshlrev_b32_e32 v10, 20, v10
	v_lshl_add_u32 v11, v98, 23, 0x3c000000
	v_and_b32_e32 v0, 0x80000000, v0
	s_delay_alu instid0(VALU_DEP_1)
	v_or3_b32 v10, v10, v0, v11
.LBB394_777:                            ;   in Loop: Header=BB394_419 Depth=1
	s_or_b32 exec_lo, exec_lo, s13
.LBB394_778:                            ;   in Loop: Header=BB394_419 Depth=1
	s_delay_alu instid0(SALU_CYCLE_1)
	s_or_b32 exec_lo, exec_lo, s12
.LBB394_779:                            ;   in Loop: Header=BB394_419 Depth=1
	s_delay_alu instid0(SALU_CYCLE_1) | instskip(NEXT) | instid1(VALU_DEP_1)
	s_or_b32 exec_lo, exec_lo, s9
	v_mul_f32_e32 v0, v23, v10
	s_delay_alu instid0(VALU_DEP_1) | instskip(NEXT) | instid1(VALU_DEP_1)
	v_and_b32_e32 v10, 0x7f800000, v0
	v_cmp_ne_u32_e64 s1, 0x7f800000, v10
                                        ; implicit-def: $vgpr10
	s_delay_alu instid0(VALU_DEP_1) | instskip(NEXT) | instid1(SALU_CYCLE_1)
	s_and_saveexec_b32 s9, s1
	s_xor_b32 s1, exec_lo, s9
; %bb.780:                              ;   in Loop: Header=BB394_419 Depth=1
	v_bfe_u32 v10, v0, 16, 1
	s_delay_alu instid0(VALU_DEP_1)
	v_add3_u32 v10, v0, v10, 0x7fff
                                        ; implicit-def: $vgpr0
; %bb.781:                              ;   in Loop: Header=BB394_419 Depth=1
	s_and_not1_saveexec_b32 s9, s1
; %bb.782:                              ;   in Loop: Header=BB394_419 Depth=1
	v_and_b32_e32 v10, 0xffff, v0
	v_or_b32_e32 v11, 0x10000, v0
	s_delay_alu instid0(VALU_DEP_2) | instskip(NEXT) | instid1(VALU_DEP_1)
	v_cmp_eq_u32_e64 s1, 0, v10
	v_cndmask_b32_e64 v10, v11, v0, s1
; %bb.783:                              ;   in Loop: Header=BB394_419 Depth=1
	s_or_b32 exec_lo, exec_lo, s9
	v_lshrrev_b32_e32 v11, 16, v9
	v_mov_b32_e32 v0, 0
	s_mov_b32 s9, exec_lo
	s_delay_alu instid0(VALU_DEP_2) | instskip(NEXT) | instid1(VALU_DEP_1)
	v_and_b32_e32 v98, 0xff, v11
	v_cmpx_ne_u16_e32 0, v98
	s_cbranch_execz .LBB394_791
; %bb.784:                              ;   in Loop: Header=BB394_419 Depth=1
	v_bfrev_b32_e32 v0, 1
	s_mov_b32 s12, exec_lo
	v_cmpx_ne_u16_e32 0x80, v98
	s_cbranch_execz .LBB394_790
; %bb.785:                              ;   in Loop: Header=BB394_419 Depth=1
	v_bfe_u32 v99, v9, 16, 7
	v_mov_b32_e32 v0, 0x7f800001
	s_mov_b32 s13, exec_lo
	s_delay_alu instid0(VALU_DEP_2)
	v_cmpx_ne_u32_e32 0x7f, v99
	s_cbranch_execz .LBB394_789
; %bb.786:                              ;   in Loop: Header=BB394_419 Depth=1
	v_and_b32_e32 v0, 7, v11
	v_lshrrev_b32_e32 v98, 3, v99
	s_mov_b32 s15, exec_lo
	v_cmpx_gt_u32_e32 8, v99
; %bb.787:                              ;   in Loop: Header=BB394_419 Depth=1
	s_delay_alu instid0(VALU_DEP_3) | instskip(NEXT) | instid1(VALU_DEP_1)
	v_clz_i32_u32_e32 v98, v0
	v_min_u32_e32 v98, 32, v98
	s_delay_alu instid0(VALU_DEP_1) | instskip(SKIP_1) | instid1(VALU_DEP_2)
	v_subrev_nc_u32_e32 v99, 28, v98
	v_sub_nc_u32_e32 v98, 29, v98
	v_lshlrev_b64 v[99:100], v99, v[0:1]
	s_delay_alu instid0(VALU_DEP_1)
	v_and_b32_e32 v0, 7, v99
; %bb.788:                              ;   in Loop: Header=BB394_419 Depth=1
	s_or_b32 exec_lo, exec_lo, s15
	v_lshlrev_b32_e32 v11, 24, v11
	s_delay_alu instid0(VALU_DEP_2) | instskip(SKIP_1) | instid1(VALU_DEP_3)
	v_lshlrev_b32_e32 v0, 20, v0
	v_lshl_add_u32 v98, v98, 23, 0x3c000000
	v_and_b32_e32 v11, 0x80000000, v11
	s_delay_alu instid0(VALU_DEP_1)
	v_or3_b32 v0, v0, v11, v98
.LBB394_789:                            ;   in Loop: Header=BB394_419 Depth=1
	s_or_b32 exec_lo, exec_lo, s13
.LBB394_790:                            ;   in Loop: Header=BB394_419 Depth=1
	s_delay_alu instid0(SALU_CYCLE_1)
	s_or_b32 exec_lo, exec_lo, s12
.LBB394_791:                            ;   in Loop: Header=BB394_419 Depth=1
	s_delay_alu instid0(SALU_CYCLE_1) | instskip(NEXT) | instid1(VALU_DEP_1)
	s_or_b32 exec_lo, exec_lo, s9
	v_mul_f32_e32 v0, v23, v0
	s_delay_alu instid0(VALU_DEP_1) | instskip(NEXT) | instid1(VALU_DEP_1)
	v_and_b32_e32 v11, 0x7f800000, v0
	v_cmp_ne_u32_e64 s1, 0x7f800000, v11
                                        ; implicit-def: $vgpr11
	s_delay_alu instid0(VALU_DEP_1) | instskip(NEXT) | instid1(SALU_CYCLE_1)
	s_and_saveexec_b32 s9, s1
	s_xor_b32 s1, exec_lo, s9
; %bb.792:                              ;   in Loop: Header=BB394_419 Depth=1
	v_bfe_u32 v11, v0, 16, 1
	s_delay_alu instid0(VALU_DEP_1)
	v_add3_u32 v11, v0, v11, 0x7fff
                                        ; implicit-def: $vgpr0
; %bb.793:                              ;   in Loop: Header=BB394_419 Depth=1
	s_and_not1_saveexec_b32 s9, s1
; %bb.794:                              ;   in Loop: Header=BB394_419 Depth=1
	v_and_b32_e32 v11, 0xffff, v0
	v_or_b32_e32 v98, 0x10000, v0
	s_delay_alu instid0(VALU_DEP_2) | instskip(NEXT) | instid1(VALU_DEP_1)
	v_cmp_eq_u32_e64 s1, 0, v11
	v_cndmask_b32_e64 v11, v98, v0, s1
; %bb.795:                              ;   in Loop: Header=BB394_419 Depth=1
	s_or_b32 exec_lo, exec_lo, s9
	v_mov_b32_e32 v0, 0
	s_mov_b32 s9, exec_lo
	v_cmpx_lt_u64_e64 s[4:5], v[8:9]
	s_cbranch_execz .LBB394_803
; %bb.796:                              ;   in Loop: Header=BB394_419 Depth=1
	v_lshrrev_b32_e32 v8, 24, v9
	v_bfrev_b32_e32 v0, 1
	s_mov_b32 s12, exec_lo
	s_delay_alu instid0(VALU_DEP_2)
	v_cmpx_ne_u32_e32 0x80, v8
	s_cbranch_execz .LBB394_802
; %bb.797:                              ;   in Loop: Header=BB394_419 Depth=1
	v_bfe_u32 v98, v9, 24, 7
	v_mov_b32_e32 v0, 0x7f800001
	s_mov_b32 s13, exec_lo
	s_delay_alu instid0(VALU_DEP_2)
	v_cmpx_ne_u32_e32 0x7f, v98
	s_cbranch_execz .LBB394_801
; %bb.798:                              ;   in Loop: Header=BB394_419 Depth=1
	v_and_b32_e32 v0, 7, v8
	v_lshrrev_b32_e32 v9, 3, v98
	s_mov_b32 s15, exec_lo
	v_cmpx_gt_u32_e32 8, v98
; %bb.799:                              ;   in Loop: Header=BB394_419 Depth=1
	s_delay_alu instid0(VALU_DEP_3) | instskip(NEXT) | instid1(VALU_DEP_1)
	v_clz_i32_u32_e32 v9, v0
	v_min_u32_e32 v9, 32, v9
	s_delay_alu instid0(VALU_DEP_1) | instskip(SKIP_1) | instid1(VALU_DEP_2)
	v_subrev_nc_u32_e32 v98, 28, v9
	v_sub_nc_u32_e32 v9, 29, v9
	v_lshlrev_b64 v[98:99], v98, v[0:1]
	s_delay_alu instid0(VALU_DEP_1)
	v_and_b32_e32 v0, 7, v98
; %bb.800:                              ;   in Loop: Header=BB394_419 Depth=1
	s_or_b32 exec_lo, exec_lo, s15
	v_lshlrev_b32_e32 v8, 24, v8
	s_delay_alu instid0(VALU_DEP_2) | instskip(SKIP_1) | instid1(VALU_DEP_3)
	v_lshlrev_b32_e32 v0, 20, v0
	v_lshl_add_u32 v9, v9, 23, 0x3c000000
	v_and_b32_e32 v8, 0x80000000, v8
	s_delay_alu instid0(VALU_DEP_1)
	v_or3_b32 v0, v0, v8, v9
.LBB394_801:                            ;   in Loop: Header=BB394_419 Depth=1
	s_or_b32 exec_lo, exec_lo, s13
.LBB394_802:                            ;   in Loop: Header=BB394_419 Depth=1
	s_delay_alu instid0(SALU_CYCLE_1)
	s_or_b32 exec_lo, exec_lo, s12
.LBB394_803:                            ;   in Loop: Header=BB394_419 Depth=1
	s_delay_alu instid0(SALU_CYCLE_1) | instskip(NEXT) | instid1(VALU_DEP_1)
	s_or_b32 exec_lo, exec_lo, s9
	v_mul_f32_e32 v8, v23, v0
	s_delay_alu instid0(VALU_DEP_1) | instskip(NEXT) | instid1(VALU_DEP_1)
	v_and_b32_e32 v0, 0x7f800000, v8
	v_cmp_ne_u32_e64 s1, 0x7f800000, v0
                                        ; implicit-def: $vgpr0
	s_delay_alu instid0(VALU_DEP_1) | instskip(NEXT) | instid1(SALU_CYCLE_1)
	s_and_saveexec_b32 s9, s1
	s_xor_b32 s1, exec_lo, s9
; %bb.804:                              ;   in Loop: Header=BB394_419 Depth=1
	v_bfe_u32 v0, v8, 16, 1
	s_delay_alu instid0(VALU_DEP_1)
	v_add3_u32 v0, v8, v0, 0x7fff
                                        ; implicit-def: $vgpr8
; %bb.805:                              ;   in Loop: Header=BB394_419 Depth=1
	s_and_not1_saveexec_b32 s9, s1
; %bb.806:                              ;   in Loop: Header=BB394_419 Depth=1
	v_and_b32_e32 v0, 0xffff, v8
	v_or_b32_e32 v9, 0x10000, v8
	s_delay_alu instid0(VALU_DEP_2) | instskip(NEXT) | instid1(VALU_DEP_1)
	v_cmp_eq_u32_e64 s1, 0, v0
	v_cndmask_b32_e64 v0, v9, v8, s1
; %bb.807:                              ;   in Loop: Header=BB394_419 Depth=1
	s_or_b32 exec_lo, exec_lo, s9
	v_lshrrev_b32_e32 v9, 16, v10
	v_lshrrev_b32_e32 v97, 16, v97
	;; [unrolled: 1-line block ×8, first 2 shown]
	s_and_saveexec_b32 s9, vcc_lo
	s_cbranch_execz .LBB394_809
; %bb.808:                              ;   in Loop: Header=BB394_419 Depth=1
	v_cmp_lt_i32_e64 s1, v38, v32
	s_delay_alu instid0(VALU_DEP_1) | instskip(SKIP_1) | instid1(VALU_DEP_1)
	v_cndmask_b32_e64 v10, 0, v10, s1
	v_cmp_lt_i32_e64 s1, v52, v32
	v_cndmask_b32_e64 v86, 0, v86, s1
	v_cmp_lt_i32_e64 s1, v51, v32
	s_delay_alu instid0(VALU_DEP_1) | instskip(SKIP_1) | instid1(VALU_DEP_1)
	v_cndmask_b32_e64 v87, 0, v87, s1
	v_cmp_lt_i32_e64 s1, v50, v32
	v_cndmask_b32_e64 v96, 0, v96, s1
	;; [unrolled: 5-line block ×4, first 2 shown]
.LBB394_809:                            ;   in Loop: Header=BB394_419 Depth=1
	s_or_b32 exec_lo, exec_lo, s9
	v_lshlrev_b32_e32 v10, 16, v10
	s_delay_alu instid0(VALU_DEP_1) | instskip(NEXT) | instid1(VALU_DEP_1)
	v_mul_f32_e32 v11, v53, v10
	v_and_b32_e32 v10, 0x7f800000, v11
	s_delay_alu instid0(VALU_DEP_1) | instskip(NEXT) | instid1(VALU_DEP_1)
	v_cmp_ne_u32_e64 s1, 0x7f800000, v10
                                        ; implicit-def: $vgpr10
	s_and_saveexec_b32 s9, s1
	s_delay_alu instid0(SALU_CYCLE_1)
	s_xor_b32 s1, exec_lo, s9
; %bb.810:                              ;   in Loop: Header=BB394_419 Depth=1
	v_bfe_u32 v10, v11, 16, 1
	s_delay_alu instid0(VALU_DEP_1)
	v_add3_u32 v10, v11, v10, 0x7fff
                                        ; implicit-def: $vgpr11
; %bb.811:                              ;   in Loop: Header=BB394_419 Depth=1
	s_and_not1_saveexec_b32 s9, s1
; %bb.812:                              ;   in Loop: Header=BB394_419 Depth=1
	v_and_b32_e32 v10, 0xffff, v11
	v_or_b32_e32 v85, 0x10000, v11
	s_delay_alu instid0(VALU_DEP_2) | instskip(NEXT) | instid1(VALU_DEP_1)
	v_cmp_eq_u32_e64 s1, 0, v10
	v_cndmask_b32_e64 v10, v85, v11, s1
; %bb.813:                              ;   in Loop: Header=BB394_419 Depth=1
	s_or_b32 exec_lo, exec_lo, s9
	v_lshlrev_b32_e32 v11, 16, v86
	s_delay_alu instid0(VALU_DEP_1) | instskip(NEXT) | instid1(VALU_DEP_1)
	v_mul_f32_e32 v85, v54, v11
	v_and_b32_e32 v11, 0x7f800000, v85
	s_delay_alu instid0(VALU_DEP_1) | instskip(NEXT) | instid1(VALU_DEP_1)
	v_cmp_ne_u32_e64 s1, 0x7f800000, v11
                                        ; implicit-def: $vgpr11
	s_and_saveexec_b32 s9, s1
	s_delay_alu instid0(SALU_CYCLE_1)
	s_xor_b32 s1, exec_lo, s9
; %bb.814:                              ;   in Loop: Header=BB394_419 Depth=1
	v_bfe_u32 v11, v85, 16, 1
	s_delay_alu instid0(VALU_DEP_1)
	v_add3_u32 v11, v85, v11, 0x7fff
                                        ; implicit-def: $vgpr85
; %bb.815:                              ;   in Loop: Header=BB394_419 Depth=1
	s_and_not1_saveexec_b32 s9, s1
; %bb.816:                              ;   in Loop: Header=BB394_419 Depth=1
	v_and_b32_e32 v11, 0xffff, v85
	v_or_b32_e32 v86, 0x10000, v85
	s_delay_alu instid0(VALU_DEP_2) | instskip(NEXT) | instid1(VALU_DEP_1)
	v_cmp_eq_u32_e64 s1, 0, v11
	v_cndmask_b32_e64 v11, v86, v85, s1
; %bb.817:                              ;   in Loop: Header=BB394_419 Depth=1
	s_or_b32 exec_lo, exec_lo, s9
	v_lshlrev_b32_e32 v85, 16, v87
	s_delay_alu instid0(VALU_DEP_1) | instskip(NEXT) | instid1(VALU_DEP_1)
	v_mul_f32_e32 v86, v55, v85
	v_and_b32_e32 v85, 0x7f800000, v86
	s_delay_alu instid0(VALU_DEP_1) | instskip(NEXT) | instid1(VALU_DEP_1)
	v_cmp_ne_u32_e64 s1, 0x7f800000, v85
                                        ; implicit-def: $vgpr85
	s_and_saveexec_b32 s9, s1
	s_delay_alu instid0(SALU_CYCLE_1)
	s_xor_b32 s1, exec_lo, s9
; %bb.818:                              ;   in Loop: Header=BB394_419 Depth=1
	v_bfe_u32 v85, v86, 16, 1
	s_delay_alu instid0(VALU_DEP_1)
	v_add3_u32 v85, v86, v85, 0x7fff
                                        ; implicit-def: $vgpr86
; %bb.819:                              ;   in Loop: Header=BB394_419 Depth=1
	s_and_not1_saveexec_b32 s9, s1
; %bb.820:                              ;   in Loop: Header=BB394_419 Depth=1
	v_and_b32_e32 v85, 0xffff, v86
	v_or_b32_e32 v87, 0x10000, v86
	s_delay_alu instid0(VALU_DEP_2) | instskip(NEXT) | instid1(VALU_DEP_1)
	v_cmp_eq_u32_e64 s1, 0, v85
	v_cndmask_b32_e64 v85, v87, v86, s1
; %bb.821:                              ;   in Loop: Header=BB394_419 Depth=1
	s_or_b32 exec_lo, exec_lo, s9
	v_lshlrev_b32_e32 v86, 16, v96
	s_delay_alu instid0(VALU_DEP_1) | instskip(NEXT) | instid1(VALU_DEP_1)
	v_mul_f32_e32 v87, v64, v86
	v_and_b32_e32 v86, 0x7f800000, v87
	s_delay_alu instid0(VALU_DEP_1) | instskip(NEXT) | instid1(VALU_DEP_1)
	v_cmp_ne_u32_e64 s1, 0x7f800000, v86
                                        ; implicit-def: $vgpr86
	s_and_saveexec_b32 s9, s1
	s_delay_alu instid0(SALU_CYCLE_1)
	s_xor_b32 s1, exec_lo, s9
; %bb.822:                              ;   in Loop: Header=BB394_419 Depth=1
	v_bfe_u32 v86, v87, 16, 1
	s_delay_alu instid0(VALU_DEP_1)
	v_add3_u32 v86, v87, v86, 0x7fff
                                        ; implicit-def: $vgpr87
; %bb.823:                              ;   in Loop: Header=BB394_419 Depth=1
	s_and_not1_saveexec_b32 s9, s1
; %bb.824:                              ;   in Loop: Header=BB394_419 Depth=1
	v_and_b32_e32 v86, 0xffff, v87
	v_or_b32_e32 v96, 0x10000, v87
	s_delay_alu instid0(VALU_DEP_2) | instskip(NEXT) | instid1(VALU_DEP_1)
	v_cmp_eq_u32_e64 s1, 0, v86
	v_cndmask_b32_e64 v86, v96, v87, s1
; %bb.825:                              ;   in Loop: Header=BB394_419 Depth=1
	s_or_b32 exec_lo, exec_lo, s9
	v_lshlrev_b32_e32 v87, 16, v97
	s_delay_alu instid0(VALU_DEP_1) | instskip(NEXT) | instid1(VALU_DEP_1)
	v_mul_f32_e32 v96, v65, v87
	v_and_b32_e32 v87, 0x7f800000, v96
	s_delay_alu instid0(VALU_DEP_1) | instskip(NEXT) | instid1(VALU_DEP_1)
	v_cmp_ne_u32_e64 s1, 0x7f800000, v87
                                        ; implicit-def: $vgpr87
	s_and_saveexec_b32 s9, s1
	s_delay_alu instid0(SALU_CYCLE_1)
	s_xor_b32 s1, exec_lo, s9
; %bb.826:                              ;   in Loop: Header=BB394_419 Depth=1
	v_bfe_u32 v87, v96, 16, 1
	s_delay_alu instid0(VALU_DEP_1)
	v_add3_u32 v87, v96, v87, 0x7fff
                                        ; implicit-def: $vgpr96
; %bb.827:                              ;   in Loop: Header=BB394_419 Depth=1
	s_and_not1_saveexec_b32 s9, s1
; %bb.828:                              ;   in Loop: Header=BB394_419 Depth=1
	v_and_b32_e32 v87, 0xffff, v96
	v_or_b32_e32 v97, 0x10000, v96
	s_delay_alu instid0(VALU_DEP_2) | instskip(NEXT) | instid1(VALU_DEP_1)
	v_cmp_eq_u32_e64 s1, 0, v87
	v_cndmask_b32_e64 v87, v97, v96, s1
; %bb.829:                              ;   in Loop: Header=BB394_419 Depth=1
	s_or_b32 exec_lo, exec_lo, s9
	v_lshlrev_b32_e32 v9, 16, v9
	s_delay_alu instid0(VALU_DEP_1) | instskip(NEXT) | instid1(VALU_DEP_1)
	v_mul_f32_e32 v9, v66, v9
	v_and_b32_e32 v96, 0x7f800000, v9
	s_delay_alu instid0(VALU_DEP_1) | instskip(NEXT) | instid1(VALU_DEP_1)
	v_cmp_ne_u32_e64 s1, 0x7f800000, v96
                                        ; implicit-def: $vgpr96
	s_and_saveexec_b32 s9, s1
	s_delay_alu instid0(SALU_CYCLE_1)
	s_xor_b32 s1, exec_lo, s9
; %bb.830:                              ;   in Loop: Header=BB394_419 Depth=1
	v_bfe_u32 v96, v9, 16, 1
	s_delay_alu instid0(VALU_DEP_1)
	v_add3_u32 v96, v9, v96, 0x7fff
                                        ; implicit-def: $vgpr9
; %bb.831:                              ;   in Loop: Header=BB394_419 Depth=1
	s_and_not1_saveexec_b32 s9, s1
; %bb.832:                              ;   in Loop: Header=BB394_419 Depth=1
	v_and_b32_e32 v96, 0xffff, v9
	v_or_b32_e32 v97, 0x10000, v9
	s_delay_alu instid0(VALU_DEP_2) | instskip(NEXT) | instid1(VALU_DEP_1)
	v_cmp_eq_u32_e64 s1, 0, v96
	v_cndmask_b32_e64 v96, v97, v9, s1
; %bb.833:                              ;   in Loop: Header=BB394_419 Depth=1
	s_or_b32 exec_lo, exec_lo, s9
	v_lshlrev_b32_e32 v8, 16, v8
                                        ; implicit-def: $vgpr97
	s_delay_alu instid0(VALU_DEP_1) | instskip(NEXT) | instid1(VALU_DEP_1)
	v_mul_f32_e32 v8, v67, v8
	v_and_b32_e32 v9, 0x7f800000, v8
	s_delay_alu instid0(VALU_DEP_1) | instskip(NEXT) | instid1(VALU_DEP_1)
	v_cmp_ne_u32_e64 s1, 0x7f800000, v9
	s_and_saveexec_b32 s9, s1
	s_delay_alu instid0(SALU_CYCLE_1)
	s_xor_b32 s1, exec_lo, s9
; %bb.834:                              ;   in Loop: Header=BB394_419 Depth=1
	v_bfe_u32 v9, v8, 16, 1
	s_delay_alu instid0(VALU_DEP_1)
	v_add3_u32 v97, v8, v9, 0x7fff
                                        ; implicit-def: $vgpr8
; %bb.835:                              ;   in Loop: Header=BB394_419 Depth=1
	s_and_not1_saveexec_b32 s9, s1
; %bb.836:                              ;   in Loop: Header=BB394_419 Depth=1
	v_and_b32_e32 v9, 0xffff, v8
	v_or_b32_e32 v97, 0x10000, v8
	s_delay_alu instid0(VALU_DEP_2) | instskip(NEXT) | instid1(VALU_DEP_1)
	v_cmp_eq_u32_e64 s1, 0, v9
	v_cndmask_b32_e64 v97, v97, v8, s1
; %bb.837:                              ;   in Loop: Header=BB394_419 Depth=1
	s_or_b32 exec_lo, exec_lo, s9
	v_lshlrev_b32_e32 v0, 16, v0
                                        ; implicit-def: $vgpr98
	s_delay_alu instid0(VALU_DEP_1) | instskip(NEXT) | instid1(VALU_DEP_1)
	v_mul_f32_e32 v0, v68, v0
	v_and_b32_e32 v8, 0x7f800000, v0
	s_delay_alu instid0(VALU_DEP_1) | instskip(NEXT) | instid1(VALU_DEP_1)
	v_cmp_ne_u32_e64 s1, 0x7f800000, v8
	s_and_saveexec_b32 s9, s1
	s_delay_alu instid0(SALU_CYCLE_1)
	s_xor_b32 s1, exec_lo, s9
; %bb.838:                              ;   in Loop: Header=BB394_419 Depth=1
	v_bfe_u32 v8, v0, 16, 1
	s_delay_alu instid0(VALU_DEP_1)
	v_add3_u32 v98, v0, v8, 0x7fff
                                        ; implicit-def: $vgpr0
; %bb.839:                              ;   in Loop: Header=BB394_419 Depth=1
	s_and_not1_saveexec_b32 s9, s1
; %bb.840:                              ;   in Loop: Header=BB394_419 Depth=1
	v_and_b32_e32 v8, 0xffff, v0
	v_or_b32_e32 v9, 0x10000, v0
	s_delay_alu instid0(VALU_DEP_2) | instskip(NEXT) | instid1(VALU_DEP_1)
	v_cmp_eq_u32_e64 s1, 0, v8
	v_cndmask_b32_e64 v98, v9, v0, s1
; %bb.841:                              ;   in Loop: Header=BB394_419 Depth=1
	s_or_b32 exec_lo, exec_lo, s9
	flat_load_b64 v[6:7], v[6:7] offset:768
	v_mov_b32_e32 v0, 0
	s_mov_b32 s9, exec_lo
	s_waitcnt vmcnt(0) lgkmcnt(0)
	v_and_b32_e32 v8, 0xff, v6
	s_delay_alu instid0(VALU_DEP_1)
	v_cmpx_ne_u16_e32 0, v8
	s_cbranch_execz .LBB394_849
; %bb.842:                              ;   in Loop: Header=BB394_419 Depth=1
	v_bfrev_b32_e32 v0, 1
	s_mov_b32 s12, exec_lo
	v_cmpx_ne_u16_e32 0x80, v8
	s_cbranch_execz .LBB394_848
; %bb.843:                              ;   in Loop: Header=BB394_419 Depth=1
	v_and_b32_e32 v8, 0x7f, v6
	v_mov_b32_e32 v0, 0x7f800001
	s_mov_b32 s13, exec_lo
	s_delay_alu instid0(VALU_DEP_2)
	v_cmpx_ne_u32_e32 0x7f, v8
	s_cbranch_execz .LBB394_847
; %bb.844:                              ;   in Loop: Header=BB394_419 Depth=1
	v_lshrrev_b32_e32 v0, 3, v8
	v_cmp_gt_u32_e64 s1, 8, v8
	v_dual_mov_b32 v9, v7 :: v_dual_mov_b32 v8, v6
	s_delay_alu instid0(VALU_DEP_2)
	s_and_saveexec_b32 s15, s1
; %bb.845:                              ;   in Loop: Header=BB394_419 Depth=1
	v_and_b32_e32 v0, 7, v6
	s_delay_alu instid0(VALU_DEP_1) | instskip(NEXT) | instid1(VALU_DEP_1)
	v_clz_i32_u32_e32 v0, v0
	v_min_u32_e32 v0, 32, v0
	s_delay_alu instid0(VALU_DEP_1) | instskip(SKIP_1) | instid1(VALU_DEP_2)
	v_subrev_nc_u32_e32 v8, 28, v0
	v_sub_nc_u32_e32 v0, 29, v0
	v_lshlrev_b64 v[8:9], v8, v[6:7]
; %bb.846:                              ;   in Loop: Header=BB394_419 Depth=1
	s_or_b32 exec_lo, exec_lo, s15
	s_delay_alu instid0(VALU_DEP_1) | instskip(SKIP_2) | instid1(VALU_DEP_3)
	v_lshlrev_b32_e32 v8, 20, v8
	v_lshlrev_b32_e32 v9, 24, v6
	v_lshl_add_u32 v0, v0, 23, 0x3c000000
	v_and_b32_e32 v8, 0x700000, v8
	s_delay_alu instid0(VALU_DEP_3) | instskip(NEXT) | instid1(VALU_DEP_1)
	v_and_b32_e32 v9, 0x80000000, v9
	v_or3_b32 v0, v8, v9, v0
.LBB394_847:                            ;   in Loop: Header=BB394_419 Depth=1
	s_or_b32 exec_lo, exec_lo, s13
.LBB394_848:                            ;   in Loop: Header=BB394_419 Depth=1
	s_delay_alu instid0(SALU_CYCLE_1)
	s_or_b32 exec_lo, exec_lo, s12
.LBB394_849:                            ;   in Loop: Header=BB394_419 Depth=1
	s_delay_alu instid0(SALU_CYCLE_1) | instskip(NEXT) | instid1(VALU_DEP_1)
	s_or_b32 exec_lo, exec_lo, s9
	v_mul_f32_e32 v0, v23, v0
                                        ; implicit-def: $vgpr99
	s_delay_alu instid0(VALU_DEP_1) | instskip(NEXT) | instid1(VALU_DEP_1)
	v_and_b32_e32 v8, 0x7f800000, v0
	v_cmp_ne_u32_e64 s1, 0x7f800000, v8
	s_delay_alu instid0(VALU_DEP_1) | instskip(NEXT) | instid1(SALU_CYCLE_1)
	s_and_saveexec_b32 s9, s1
	s_xor_b32 s1, exec_lo, s9
; %bb.850:                              ;   in Loop: Header=BB394_419 Depth=1
	v_bfe_u32 v8, v0, 16, 1
	s_delay_alu instid0(VALU_DEP_1)
	v_add3_u32 v99, v0, v8, 0x7fff
                                        ; implicit-def: $vgpr0
; %bb.851:                              ;   in Loop: Header=BB394_419 Depth=1
	s_and_not1_saveexec_b32 s9, s1
; %bb.852:                              ;   in Loop: Header=BB394_419 Depth=1
	v_and_b32_e32 v8, 0xffff, v0
	v_or_b32_e32 v9, 0x10000, v0
	s_delay_alu instid0(VALU_DEP_2) | instskip(NEXT) | instid1(VALU_DEP_1)
	v_cmp_eq_u32_e64 s1, 0, v8
	v_cndmask_b32_e64 v99, v9, v0, s1
; %bb.853:                              ;   in Loop: Header=BB394_419 Depth=1
	s_or_b32 exec_lo, exec_lo, s9
	v_lshrrev_b16 v8, 8, v6
	v_mov_b32_e32 v0, 0
	s_mov_b32 s9, exec_lo
	s_delay_alu instid0(VALU_DEP_2)
	v_cmpx_ne_u16_e32 0, v8
	s_cbranch_execz .LBB394_861
; %bb.854:                              ;   in Loop: Header=BB394_419 Depth=1
	v_bfrev_b32_e32 v0, 1
	s_mov_b32 s12, exec_lo
	v_cmpx_ne_u16_e32 0x80, v8
	s_cbranch_execz .LBB394_860
; %bb.855:                              ;   in Loop: Header=BB394_419 Depth=1
	v_and_b32_e32 v8, 0xffff, v8
	v_mov_b32_e32 v0, 0x7f800001
	s_mov_b32 s13, exec_lo
	s_delay_alu instid0(VALU_DEP_2) | instskip(NEXT) | instid1(VALU_DEP_1)
	v_and_b32_e32 v9, 0x7f, v8
	v_cmpx_ne_u32_e32 0x7f, v9
	s_cbranch_execz .LBB394_859
; %bb.856:                              ;   in Loop: Header=BB394_419 Depth=1
	v_and_b32_e32 v0, 7, v8
	v_lshrrev_b32_e32 v8, 3, v9
	s_mov_b32 s15, exec_lo
	v_cmpx_gt_u32_e32 8, v9
; %bb.857:                              ;   in Loop: Header=BB394_419 Depth=1
	s_delay_alu instid0(VALU_DEP_3) | instskip(NEXT) | instid1(VALU_DEP_1)
	v_clz_i32_u32_e32 v8, v0
	v_min_u32_e32 v8, 32, v8
	s_delay_alu instid0(VALU_DEP_1) | instskip(SKIP_1) | instid1(VALU_DEP_2)
	v_subrev_nc_u32_e32 v9, 28, v8
	v_sub_nc_u32_e32 v8, 29, v8
	v_lshlrev_b64 v[100:101], v9, v[0:1]
	s_delay_alu instid0(VALU_DEP_1)
	v_and_b32_e32 v0, 7, v100
; %bb.858:                              ;   in Loop: Header=BB394_419 Depth=1
	s_or_b32 exec_lo, exec_lo, s15
	v_lshlrev_b32_e32 v9, 16, v6
	s_delay_alu instid0(VALU_DEP_2) | instskip(SKIP_1) | instid1(VALU_DEP_3)
	v_lshlrev_b32_e32 v0, 20, v0
	v_lshl_add_u32 v8, v8, 23, 0x3c000000
	v_and_b32_e32 v9, 0x80000000, v9
	s_delay_alu instid0(VALU_DEP_1)
	v_or3_b32 v0, v0, v9, v8
.LBB394_859:                            ;   in Loop: Header=BB394_419 Depth=1
	s_or_b32 exec_lo, exec_lo, s13
.LBB394_860:                            ;   in Loop: Header=BB394_419 Depth=1
	s_delay_alu instid0(SALU_CYCLE_1)
	s_or_b32 exec_lo, exec_lo, s12
.LBB394_861:                            ;   in Loop: Header=BB394_419 Depth=1
	s_delay_alu instid0(SALU_CYCLE_1) | instskip(NEXT) | instid1(VALU_DEP_1)
	s_or_b32 exec_lo, exec_lo, s9
	v_mul_f32_e32 v0, v23, v0
                                        ; implicit-def: $vgpr100
	s_delay_alu instid0(VALU_DEP_1) | instskip(NEXT) | instid1(VALU_DEP_1)
	v_and_b32_e32 v8, 0x7f800000, v0
	v_cmp_ne_u32_e64 s1, 0x7f800000, v8
	s_delay_alu instid0(VALU_DEP_1) | instskip(NEXT) | instid1(SALU_CYCLE_1)
	s_and_saveexec_b32 s9, s1
	s_xor_b32 s1, exec_lo, s9
; %bb.862:                              ;   in Loop: Header=BB394_419 Depth=1
	v_bfe_u32 v8, v0, 16, 1
	s_delay_alu instid0(VALU_DEP_1)
	v_add3_u32 v100, v0, v8, 0x7fff
                                        ; implicit-def: $vgpr0
; %bb.863:                              ;   in Loop: Header=BB394_419 Depth=1
	s_and_not1_saveexec_b32 s9, s1
; %bb.864:                              ;   in Loop: Header=BB394_419 Depth=1
	v_and_b32_e32 v8, 0xffff, v0
	v_or_b32_e32 v9, 0x10000, v0
	s_delay_alu instid0(VALU_DEP_2) | instskip(NEXT) | instid1(VALU_DEP_1)
	v_cmp_eq_u32_e64 s1, 0, v8
	v_cndmask_b32_e64 v100, v9, v0, s1
; %bb.865:                              ;   in Loop: Header=BB394_419 Depth=1
	s_or_b32 exec_lo, exec_lo, s9
	v_lshrrev_b32_e32 v8, 16, v6
	s_mov_b32 s9, exec_lo
	s_delay_alu instid0(VALU_DEP_1) | instskip(NEXT) | instid1(VALU_DEP_1)
	v_dual_mov_b32 v0, 0 :: v_dual_and_b32 v9, 0xff, v8
	v_cmpx_ne_u16_e32 0, v9
	s_cbranch_execz .LBB394_873
; %bb.866:                              ;   in Loop: Header=BB394_419 Depth=1
	v_bfrev_b32_e32 v0, 1
	s_mov_b32 s12, exec_lo
	v_cmpx_ne_u16_e32 0x80, v9
	s_cbranch_execz .LBB394_872
; %bb.867:                              ;   in Loop: Header=BB394_419 Depth=1
	v_bfe_u32 v101, v6, 16, 7
	v_mov_b32_e32 v0, 0x7f800001
	s_mov_b32 s13, exec_lo
	s_delay_alu instid0(VALU_DEP_2)
	v_cmpx_ne_u32_e32 0x7f, v101
	s_cbranch_execz .LBB394_871
; %bb.868:                              ;   in Loop: Header=BB394_419 Depth=1
	v_and_b32_e32 v0, 7, v8
	v_lshrrev_b32_e32 v9, 3, v101
	s_mov_b32 s15, exec_lo
	v_cmpx_gt_u32_e32 8, v101
; %bb.869:                              ;   in Loop: Header=BB394_419 Depth=1
	s_delay_alu instid0(VALU_DEP_3) | instskip(NEXT) | instid1(VALU_DEP_1)
	v_clz_i32_u32_e32 v9, v0
	v_min_u32_e32 v9, 32, v9
	s_delay_alu instid0(VALU_DEP_1) | instskip(SKIP_1) | instid1(VALU_DEP_2)
	v_subrev_nc_u32_e32 v101, 28, v9
	v_sub_nc_u32_e32 v9, 29, v9
	v_lshlrev_b64 v[101:102], v101, v[0:1]
	s_delay_alu instid0(VALU_DEP_1)
	v_and_b32_e32 v0, 7, v101
; %bb.870:                              ;   in Loop: Header=BB394_419 Depth=1
	s_or_b32 exec_lo, exec_lo, s15
	v_lshlrev_b32_e32 v8, 24, v8
	s_delay_alu instid0(VALU_DEP_2) | instskip(SKIP_1) | instid1(VALU_DEP_3)
	v_lshlrev_b32_e32 v0, 20, v0
	v_lshl_add_u32 v9, v9, 23, 0x3c000000
	v_and_b32_e32 v8, 0x80000000, v8
	s_delay_alu instid0(VALU_DEP_1)
	v_or3_b32 v0, v0, v8, v9
.LBB394_871:                            ;   in Loop: Header=BB394_419 Depth=1
	s_or_b32 exec_lo, exec_lo, s13
.LBB394_872:                            ;   in Loop: Header=BB394_419 Depth=1
	s_delay_alu instid0(SALU_CYCLE_1)
	s_or_b32 exec_lo, exec_lo, s12
.LBB394_873:                            ;   in Loop: Header=BB394_419 Depth=1
	s_delay_alu instid0(SALU_CYCLE_1) | instskip(NEXT) | instid1(VALU_DEP_1)
	s_or_b32 exec_lo, exec_lo, s9
	v_mul_f32_e32 v0, v23, v0
                                        ; implicit-def: $vgpr101
	s_delay_alu instid0(VALU_DEP_1) | instskip(NEXT) | instid1(VALU_DEP_1)
	v_and_b32_e32 v8, 0x7f800000, v0
	v_cmp_ne_u32_e64 s1, 0x7f800000, v8
	s_delay_alu instid0(VALU_DEP_1) | instskip(NEXT) | instid1(SALU_CYCLE_1)
	s_and_saveexec_b32 s9, s1
	s_xor_b32 s1, exec_lo, s9
; %bb.874:                              ;   in Loop: Header=BB394_419 Depth=1
	v_bfe_u32 v8, v0, 16, 1
	s_delay_alu instid0(VALU_DEP_1)
	v_add3_u32 v101, v0, v8, 0x7fff
                                        ; implicit-def: $vgpr0
; %bb.875:                              ;   in Loop: Header=BB394_419 Depth=1
	s_and_not1_saveexec_b32 s9, s1
; %bb.876:                              ;   in Loop: Header=BB394_419 Depth=1
	v_and_b32_e32 v8, 0xffff, v0
	v_or_b32_e32 v9, 0x10000, v0
	s_delay_alu instid0(VALU_DEP_2) | instskip(NEXT) | instid1(VALU_DEP_1)
	v_cmp_eq_u32_e64 s1, 0, v8
	v_cndmask_b32_e64 v101, v9, v0, s1
; %bb.877:                              ;   in Loop: Header=BB394_419 Depth=1
	s_or_b32 exec_lo, exec_lo, s9
	v_mov_b32_e32 v0, 0
	s_mov_b32 s9, exec_lo
	v_cmpx_lt_u32_e32 0xffffff, v6
	s_cbranch_execz .LBB394_885
; %bb.878:                              ;   in Loop: Header=BB394_419 Depth=1
	v_lshrrev_b32_e32 v8, 24, v6
	v_bfrev_b32_e32 v0, 1
	s_mov_b32 s12, exec_lo
	s_delay_alu instid0(VALU_DEP_2)
	v_cmpx_ne_u32_e32 0x80, v8
	s_cbranch_execz .LBB394_884
; %bb.879:                              ;   in Loop: Header=BB394_419 Depth=1
	v_bfe_u32 v102, v6, 24, 7
	v_mov_b32_e32 v0, 0x7f800001
	s_mov_b32 s13, exec_lo
	s_delay_alu instid0(VALU_DEP_2)
	v_cmpx_ne_u32_e32 0x7f, v102
	s_cbranch_execz .LBB394_883
; %bb.880:                              ;   in Loop: Header=BB394_419 Depth=1
	v_and_b32_e32 v0, 7, v8
	v_lshrrev_b32_e32 v9, 3, v102
	s_mov_b32 s15, exec_lo
	v_cmpx_gt_u32_e32 8, v102
; %bb.881:                              ;   in Loop: Header=BB394_419 Depth=1
	s_delay_alu instid0(VALU_DEP_3) | instskip(NEXT) | instid1(VALU_DEP_1)
	v_clz_i32_u32_e32 v9, v0
	v_min_u32_e32 v9, 32, v9
	s_delay_alu instid0(VALU_DEP_1) | instskip(SKIP_1) | instid1(VALU_DEP_2)
	v_subrev_nc_u32_e32 v102, 28, v9
	v_sub_nc_u32_e32 v9, 29, v9
	v_lshlrev_b64 v[102:103], v102, v[0:1]
	s_delay_alu instid0(VALU_DEP_1)
	v_and_b32_e32 v0, 7, v102
; %bb.882:                              ;   in Loop: Header=BB394_419 Depth=1
	s_or_b32 exec_lo, exec_lo, s15
	v_lshlrev_b32_e32 v8, 24, v8
	s_delay_alu instid0(VALU_DEP_2) | instskip(SKIP_1) | instid1(VALU_DEP_3)
	v_lshlrev_b32_e32 v0, 20, v0
	v_lshl_add_u32 v9, v9, 23, 0x3c000000
	v_and_b32_e32 v8, 0x80000000, v8
	s_delay_alu instid0(VALU_DEP_1)
	v_or3_b32 v0, v0, v8, v9
.LBB394_883:                            ;   in Loop: Header=BB394_419 Depth=1
	s_or_b32 exec_lo, exec_lo, s13
.LBB394_884:                            ;   in Loop: Header=BB394_419 Depth=1
	s_delay_alu instid0(SALU_CYCLE_1)
	s_or_b32 exec_lo, exec_lo, s12
.LBB394_885:                            ;   in Loop: Header=BB394_419 Depth=1
	s_delay_alu instid0(SALU_CYCLE_1) | instskip(NEXT) | instid1(VALU_DEP_1)
	s_or_b32 exec_lo, exec_lo, s9
	v_mul_f32_e32 v0, v23, v0
                                        ; implicit-def: $vgpr102
	s_delay_alu instid0(VALU_DEP_1) | instskip(NEXT) | instid1(VALU_DEP_1)
	v_and_b32_e32 v8, 0x7f800000, v0
	v_cmp_ne_u32_e64 s1, 0x7f800000, v8
	s_delay_alu instid0(VALU_DEP_1) | instskip(NEXT) | instid1(SALU_CYCLE_1)
	s_and_saveexec_b32 s9, s1
	s_xor_b32 s1, exec_lo, s9
; %bb.886:                              ;   in Loop: Header=BB394_419 Depth=1
	v_bfe_u32 v8, v0, 16, 1
	s_delay_alu instid0(VALU_DEP_1)
	v_add3_u32 v102, v0, v8, 0x7fff
                                        ; implicit-def: $vgpr0
; %bb.887:                              ;   in Loop: Header=BB394_419 Depth=1
	s_and_not1_saveexec_b32 s9, s1
; %bb.888:                              ;   in Loop: Header=BB394_419 Depth=1
	v_and_b32_e32 v8, 0xffff, v0
	v_or_b32_e32 v9, 0x10000, v0
	s_delay_alu instid0(VALU_DEP_2) | instskip(NEXT) | instid1(VALU_DEP_1)
	v_cmp_eq_u32_e64 s1, 0, v8
	v_cndmask_b32_e64 v102, v9, v0, s1
; %bb.889:                              ;   in Loop: Header=BB394_419 Depth=1
	s_or_b32 exec_lo, exec_lo, s9
	v_dual_mov_b32 v0, v7 :: v_dual_and_b32 v9, 0xff, v7
	v_mov_b32_e32 v8, 0
	s_mov_b32 s9, exec_lo
	s_delay_alu instid0(VALU_DEP_2)
	v_cmpx_ne_u16_e32 0, v9
	s_cbranch_execz .LBB394_897
; %bb.890:                              ;   in Loop: Header=BB394_419 Depth=1
	v_bfrev_b32_e32 v8, 1
	s_mov_b32 s12, exec_lo
	v_cmpx_ne_u16_e32 0x80, v9
	s_cbranch_execz .LBB394_896
; %bb.891:                              ;   in Loop: Header=BB394_419 Depth=1
	v_and_b32_e32 v9, 0x7f, v7
	v_mov_b32_e32 v8, 0x7f800001
	s_mov_b32 s13, exec_lo
	s_delay_alu instid0(VALU_DEP_2)
	v_cmpx_ne_u32_e32 0x7f, v9
	s_cbranch_execz .LBB394_895
; %bb.892:                              ;   in Loop: Header=BB394_419 Depth=1
	v_lshrrev_b32_e32 v103, 3, v9
	v_cmp_gt_u32_e64 s1, 8, v9
	v_dual_mov_b32 v9, v1 :: v_dual_mov_b32 v8, v0
	s_delay_alu instid0(VALU_DEP_2)
	s_and_saveexec_b32 s15, s1
; %bb.893:                              ;   in Loop: Header=BB394_419 Depth=1
	v_and_b32_e32 v8, 7, v7
	s_delay_alu instid0(VALU_DEP_1) | instskip(NEXT) | instid1(VALU_DEP_1)
	v_clz_i32_u32_e32 v8, v8
	v_min_u32_e32 v103, 32, v8
	s_delay_alu instid0(VALU_DEP_1) | instskip(SKIP_1) | instid1(VALU_DEP_2)
	v_subrev_nc_u32_e32 v8, 28, v103
	v_sub_nc_u32_e32 v103, 29, v103
	v_lshlrev_b64 v[8:9], v8, v[0:1]
; %bb.894:                              ;   in Loop: Header=BB394_419 Depth=1
	s_or_b32 exec_lo, exec_lo, s15
	s_delay_alu instid0(VALU_DEP_1) | instskip(SKIP_2) | instid1(VALU_DEP_3)
	v_lshlrev_b32_e32 v8, 20, v8
	v_lshlrev_b32_e32 v9, 24, v0
	v_lshl_add_u32 v103, v103, 23, 0x3c000000
	v_and_b32_e32 v8, 0x700000, v8
	s_delay_alu instid0(VALU_DEP_3) | instskip(NEXT) | instid1(VALU_DEP_1)
	v_and_b32_e32 v9, 0x80000000, v9
	v_or3_b32 v8, v8, v9, v103
.LBB394_895:                            ;   in Loop: Header=BB394_419 Depth=1
	s_or_b32 exec_lo, exec_lo, s13
.LBB394_896:                            ;   in Loop: Header=BB394_419 Depth=1
	s_delay_alu instid0(SALU_CYCLE_1)
	s_or_b32 exec_lo, exec_lo, s12
.LBB394_897:                            ;   in Loop: Header=BB394_419 Depth=1
	s_delay_alu instid0(SALU_CYCLE_1) | instskip(NEXT) | instid1(VALU_DEP_1)
	s_or_b32 exec_lo, exec_lo, s9
	v_mul_f32_e32 v8, v23, v8
                                        ; implicit-def: $vgpr103
	s_delay_alu instid0(VALU_DEP_1) | instskip(NEXT) | instid1(VALU_DEP_1)
	v_and_b32_e32 v9, 0x7f800000, v8
	v_cmp_ne_u32_e64 s1, 0x7f800000, v9
	s_delay_alu instid0(VALU_DEP_1) | instskip(NEXT) | instid1(SALU_CYCLE_1)
	s_and_saveexec_b32 s9, s1
	s_xor_b32 s1, exec_lo, s9
; %bb.898:                              ;   in Loop: Header=BB394_419 Depth=1
	v_bfe_u32 v9, v8, 16, 1
	s_delay_alu instid0(VALU_DEP_1)
	v_add3_u32 v103, v8, v9, 0x7fff
                                        ; implicit-def: $vgpr8
; %bb.899:                              ;   in Loop: Header=BB394_419 Depth=1
	s_and_not1_saveexec_b32 s9, s1
; %bb.900:                              ;   in Loop: Header=BB394_419 Depth=1
	v_and_b32_e32 v9, 0xffff, v8
	v_or_b32_e32 v103, 0x10000, v8
	s_delay_alu instid0(VALU_DEP_2) | instskip(NEXT) | instid1(VALU_DEP_1)
	v_cmp_eq_u32_e64 s1, 0, v9
	v_cndmask_b32_e64 v103, v103, v8, s1
; %bb.901:                              ;   in Loop: Header=BB394_419 Depth=1
	s_or_b32 exec_lo, exec_lo, s9
	v_lshrrev_b16 v9, 8, v0
	v_mov_b32_e32 v8, 0
	s_mov_b32 s9, exec_lo
	s_delay_alu instid0(VALU_DEP_2)
	v_cmpx_ne_u16_e32 0, v9
	s_cbranch_execz .LBB394_909
; %bb.902:                              ;   in Loop: Header=BB394_419 Depth=1
	v_bfrev_b32_e32 v8, 1
	s_mov_b32 s12, exec_lo
	v_cmpx_ne_u16_e32 0x80, v9
	s_cbranch_execz .LBB394_908
; %bb.903:                              ;   in Loop: Header=BB394_419 Depth=1
	v_and_b32_e32 v9, 0xffff, v9
	v_mov_b32_e32 v8, 0x7f800001
	s_mov_b32 s13, exec_lo
	s_delay_alu instid0(VALU_DEP_2) | instskip(NEXT) | instid1(VALU_DEP_1)
	v_and_b32_e32 v113, 0x7f, v9
	v_cmpx_ne_u32_e32 0x7f, v113
	s_cbranch_execz .LBB394_907
; %bb.904:                              ;   in Loop: Header=BB394_419 Depth=1
	v_dual_mov_b32 v9, v1 :: v_dual_and_b32 v8, 7, v9
	v_lshrrev_b32_e32 v112, 3, v113
	s_mov_b32 s15, exec_lo
	v_cmpx_gt_u32_e32 8, v113
; %bb.905:                              ;   in Loop: Header=BB394_419 Depth=1
	s_delay_alu instid0(VALU_DEP_3) | instskip(NEXT) | instid1(VALU_DEP_1)
	v_clz_i32_u32_e32 v112, v8
	v_min_u32_e32 v112, 32, v112
	s_delay_alu instid0(VALU_DEP_1) | instskip(SKIP_1) | instid1(VALU_DEP_2)
	v_subrev_nc_u32_e32 v113, 28, v112
	v_sub_nc_u32_e32 v112, 29, v112
	v_lshlrev_b64 v[8:9], v113, v[8:9]
	s_delay_alu instid0(VALU_DEP_1)
	v_and_b32_e32 v8, 7, v8
; %bb.906:                              ;   in Loop: Header=BB394_419 Depth=1
	s_or_b32 exec_lo, exec_lo, s15
	v_lshlrev_b32_e32 v0, 16, v0
	s_delay_alu instid0(VALU_DEP_2) | instskip(SKIP_1) | instid1(VALU_DEP_3)
	v_lshlrev_b32_e32 v8, 20, v8
	v_lshl_add_u32 v9, v112, 23, 0x3c000000
	v_and_b32_e32 v0, 0x80000000, v0
	s_delay_alu instid0(VALU_DEP_1)
	v_or3_b32 v8, v8, v0, v9
.LBB394_907:                            ;   in Loop: Header=BB394_419 Depth=1
	s_or_b32 exec_lo, exec_lo, s13
.LBB394_908:                            ;   in Loop: Header=BB394_419 Depth=1
	s_delay_alu instid0(SALU_CYCLE_1)
	s_or_b32 exec_lo, exec_lo, s12
.LBB394_909:                            ;   in Loop: Header=BB394_419 Depth=1
	s_delay_alu instid0(SALU_CYCLE_1) | instskip(NEXT) | instid1(VALU_DEP_1)
	s_or_b32 exec_lo, exec_lo, s9
	v_mul_f32_e32 v0, v23, v8
	s_delay_alu instid0(VALU_DEP_1) | instskip(NEXT) | instid1(VALU_DEP_1)
	v_and_b32_e32 v8, 0x7f800000, v0
	v_cmp_ne_u32_e64 s1, 0x7f800000, v8
                                        ; implicit-def: $vgpr8
	s_delay_alu instid0(VALU_DEP_1) | instskip(NEXT) | instid1(SALU_CYCLE_1)
	s_and_saveexec_b32 s9, s1
	s_xor_b32 s1, exec_lo, s9
; %bb.910:                              ;   in Loop: Header=BB394_419 Depth=1
	v_bfe_u32 v8, v0, 16, 1
	s_delay_alu instid0(VALU_DEP_1)
	v_add3_u32 v8, v0, v8, 0x7fff
                                        ; implicit-def: $vgpr0
; %bb.911:                              ;   in Loop: Header=BB394_419 Depth=1
	s_and_not1_saveexec_b32 s9, s1
; %bb.912:                              ;   in Loop: Header=BB394_419 Depth=1
	v_and_b32_e32 v8, 0xffff, v0
	v_or_b32_e32 v9, 0x10000, v0
	s_delay_alu instid0(VALU_DEP_2) | instskip(NEXT) | instid1(VALU_DEP_1)
	v_cmp_eq_u32_e64 s1, 0, v8
	v_cndmask_b32_e64 v8, v9, v0, s1
; %bb.913:                              ;   in Loop: Header=BB394_419 Depth=1
	s_or_b32 exec_lo, exec_lo, s9
	v_lshrrev_b32_e32 v9, 16, v7
	v_mov_b32_e32 v0, 0
	s_mov_b32 s9, exec_lo
	s_delay_alu instid0(VALU_DEP_2) | instskip(NEXT) | instid1(VALU_DEP_1)
	v_and_b32_e32 v112, 0xff, v9
	v_cmpx_ne_u16_e32 0, v112
	s_cbranch_execz .LBB394_921
; %bb.914:                              ;   in Loop: Header=BB394_419 Depth=1
	v_bfrev_b32_e32 v0, 1
	s_mov_b32 s12, exec_lo
	v_cmpx_ne_u16_e32 0x80, v112
	s_cbranch_execz .LBB394_920
; %bb.915:                              ;   in Loop: Header=BB394_419 Depth=1
	v_bfe_u32 v113, v7, 16, 7
	v_mov_b32_e32 v0, 0x7f800001
	s_mov_b32 s13, exec_lo
	s_delay_alu instid0(VALU_DEP_2)
	v_cmpx_ne_u32_e32 0x7f, v113
	s_cbranch_execz .LBB394_919
; %bb.916:                              ;   in Loop: Header=BB394_419 Depth=1
	v_and_b32_e32 v0, 7, v9
	v_lshrrev_b32_e32 v112, 3, v113
	s_mov_b32 s15, exec_lo
	v_cmpx_gt_u32_e32 8, v113
; %bb.917:                              ;   in Loop: Header=BB394_419 Depth=1
	s_delay_alu instid0(VALU_DEP_3) | instskip(NEXT) | instid1(VALU_DEP_1)
	v_clz_i32_u32_e32 v112, v0
	v_min_u32_e32 v112, 32, v112
	s_delay_alu instid0(VALU_DEP_1) | instskip(SKIP_1) | instid1(VALU_DEP_2)
	v_subrev_nc_u32_e32 v113, 28, v112
	v_sub_nc_u32_e32 v112, 29, v112
	v_lshlrev_b64 v[113:114], v113, v[0:1]
	s_delay_alu instid0(VALU_DEP_1)
	v_and_b32_e32 v0, 7, v113
; %bb.918:                              ;   in Loop: Header=BB394_419 Depth=1
	s_or_b32 exec_lo, exec_lo, s15
	v_lshlrev_b32_e32 v9, 24, v9
	s_delay_alu instid0(VALU_DEP_2) | instskip(SKIP_1) | instid1(VALU_DEP_3)
	v_lshlrev_b32_e32 v0, 20, v0
	v_lshl_add_u32 v112, v112, 23, 0x3c000000
	v_and_b32_e32 v9, 0x80000000, v9
	s_delay_alu instid0(VALU_DEP_1)
	v_or3_b32 v0, v0, v9, v112
.LBB394_919:                            ;   in Loop: Header=BB394_419 Depth=1
	s_or_b32 exec_lo, exec_lo, s13
.LBB394_920:                            ;   in Loop: Header=BB394_419 Depth=1
	s_delay_alu instid0(SALU_CYCLE_1)
	s_or_b32 exec_lo, exec_lo, s12
.LBB394_921:                            ;   in Loop: Header=BB394_419 Depth=1
	s_delay_alu instid0(SALU_CYCLE_1) | instskip(NEXT) | instid1(VALU_DEP_1)
	s_or_b32 exec_lo, exec_lo, s9
	v_mul_f32_e32 v0, v23, v0
	s_delay_alu instid0(VALU_DEP_1) | instskip(NEXT) | instid1(VALU_DEP_1)
	v_and_b32_e32 v9, 0x7f800000, v0
	v_cmp_ne_u32_e64 s1, 0x7f800000, v9
                                        ; implicit-def: $vgpr9
	s_delay_alu instid0(VALU_DEP_1) | instskip(NEXT) | instid1(SALU_CYCLE_1)
	s_and_saveexec_b32 s9, s1
	s_xor_b32 s1, exec_lo, s9
; %bb.922:                              ;   in Loop: Header=BB394_419 Depth=1
	v_bfe_u32 v9, v0, 16, 1
	s_delay_alu instid0(VALU_DEP_1)
	v_add3_u32 v9, v0, v9, 0x7fff
                                        ; implicit-def: $vgpr0
; %bb.923:                              ;   in Loop: Header=BB394_419 Depth=1
	s_and_not1_saveexec_b32 s9, s1
; %bb.924:                              ;   in Loop: Header=BB394_419 Depth=1
	v_and_b32_e32 v9, 0xffff, v0
	v_or_b32_e32 v112, 0x10000, v0
	s_delay_alu instid0(VALU_DEP_2) | instskip(NEXT) | instid1(VALU_DEP_1)
	v_cmp_eq_u32_e64 s1, 0, v9
	v_cndmask_b32_e64 v9, v112, v0, s1
; %bb.925:                              ;   in Loop: Header=BB394_419 Depth=1
	s_or_b32 exec_lo, exec_lo, s9
	v_mov_b32_e32 v0, 0
	s_mov_b32 s9, exec_lo
	v_cmpx_lt_u64_e64 s[4:5], v[6:7]
	s_cbranch_execz .LBB394_933
; %bb.926:                              ;   in Loop: Header=BB394_419 Depth=1
	v_lshrrev_b32_e32 v6, 24, v7
	v_bfrev_b32_e32 v0, 1
	s_mov_b32 s12, exec_lo
	s_delay_alu instid0(VALU_DEP_2)
	v_cmpx_ne_u32_e32 0x80, v6
	s_cbranch_execz .LBB394_932
; %bb.927:                              ;   in Loop: Header=BB394_419 Depth=1
	v_bfe_u32 v112, v7, 24, 7
	v_mov_b32_e32 v0, 0x7f800001
	s_mov_b32 s13, exec_lo
	s_delay_alu instid0(VALU_DEP_2)
	v_cmpx_ne_u32_e32 0x7f, v112
	s_cbranch_execz .LBB394_931
; %bb.928:                              ;   in Loop: Header=BB394_419 Depth=1
	v_and_b32_e32 v0, 7, v6
	v_lshrrev_b32_e32 v7, 3, v112
	s_mov_b32 s15, exec_lo
	v_cmpx_gt_u32_e32 8, v112
; %bb.929:                              ;   in Loop: Header=BB394_419 Depth=1
	s_delay_alu instid0(VALU_DEP_3) | instskip(NEXT) | instid1(VALU_DEP_1)
	v_clz_i32_u32_e32 v7, v0
	v_min_u32_e32 v7, 32, v7
	s_delay_alu instid0(VALU_DEP_1) | instskip(SKIP_1) | instid1(VALU_DEP_2)
	v_subrev_nc_u32_e32 v112, 28, v7
	v_sub_nc_u32_e32 v7, 29, v7
	v_lshlrev_b64 v[112:113], v112, v[0:1]
	s_delay_alu instid0(VALU_DEP_1)
	v_and_b32_e32 v0, 7, v112
; %bb.930:                              ;   in Loop: Header=BB394_419 Depth=1
	s_or_b32 exec_lo, exec_lo, s15
	v_lshlrev_b32_e32 v6, 24, v6
	s_delay_alu instid0(VALU_DEP_2) | instskip(SKIP_1) | instid1(VALU_DEP_3)
	v_lshlrev_b32_e32 v0, 20, v0
	v_lshl_add_u32 v7, v7, 23, 0x3c000000
	v_and_b32_e32 v6, 0x80000000, v6
	s_delay_alu instid0(VALU_DEP_1)
	v_or3_b32 v0, v0, v6, v7
.LBB394_931:                            ;   in Loop: Header=BB394_419 Depth=1
	s_or_b32 exec_lo, exec_lo, s13
.LBB394_932:                            ;   in Loop: Header=BB394_419 Depth=1
	s_delay_alu instid0(SALU_CYCLE_1)
	s_or_b32 exec_lo, exec_lo, s12
.LBB394_933:                            ;   in Loop: Header=BB394_419 Depth=1
	s_delay_alu instid0(SALU_CYCLE_1) | instskip(NEXT) | instid1(VALU_DEP_1)
	s_or_b32 exec_lo, exec_lo, s9
	v_mul_f32_e32 v0, v23, v0
                                        ; implicit-def: $vgpr7
	s_delay_alu instid0(VALU_DEP_1) | instskip(NEXT) | instid1(VALU_DEP_1)
	v_and_b32_e32 v6, 0x7f800000, v0
	v_cmp_ne_u32_e64 s1, 0x7f800000, v6
	s_delay_alu instid0(VALU_DEP_1) | instskip(NEXT) | instid1(SALU_CYCLE_1)
	s_and_saveexec_b32 s9, s1
	s_xor_b32 s1, exec_lo, s9
; %bb.934:                              ;   in Loop: Header=BB394_419 Depth=1
	v_bfe_u32 v6, v0, 16, 1
	s_delay_alu instid0(VALU_DEP_1)
	v_add3_u32 v7, v0, v6, 0x7fff
                                        ; implicit-def: $vgpr0
; %bb.935:                              ;   in Loop: Header=BB394_419 Depth=1
	s_and_not1_saveexec_b32 s9, s1
; %bb.936:                              ;   in Loop: Header=BB394_419 Depth=1
	v_and_b32_e32 v6, 0xffff, v0
	v_or_b32_e32 v7, 0x10000, v0
	s_delay_alu instid0(VALU_DEP_2) | instskip(NEXT) | instid1(VALU_DEP_1)
	v_cmp_eq_u32_e64 s1, 0, v6
	v_cndmask_b32_e64 v7, v7, v0, s1
; %bb.937:                              ;   in Loop: Header=BB394_419 Depth=1
	s_or_b32 exec_lo, exec_lo, s9
	v_lshrrev_b32_e32 v112, 16, v8
	v_lshrrev_b32_e32 v103, 16, v103
	;; [unrolled: 1-line block ×8, first 2 shown]
	s_and_saveexec_b32 s1, vcc_lo
	s_cbranch_execz .LBB394_939
; %bb.938:                              ;   in Loop: Header=BB394_419 Depth=1
	v_cmp_lt_i32_e32 vcc_lo, v38, v32
	v_cndmask_b32_e32 v0, 0, v0, vcc_lo
	v_cmp_lt_i32_e32 vcc_lo, v52, v32
	v_cndmask_b32_e32 v6, 0, v6, vcc_lo
	v_cmp_lt_i32_e32 vcc_lo, v51, v32
	v_cndmask_b32_e32 v8, 0, v8, vcc_lo
	v_cmp_lt_i32_e32 vcc_lo, v50, v32
	v_cndmask_b32_e32 v102, 0, v102, vcc_lo
	v_cmp_lt_i32_e32 vcc_lo, v49, v32
	v_cndmask_b32_e32 v103, 0, v103, vcc_lo
	v_cmp_lt_i32_e32 vcc_lo, v48, v32
	v_cndmask_b32_e32 v112, 0, v112, vcc_lo
	v_cmp_lt_i32_e32 vcc_lo, v39, v32
	v_cndmask_b32_e32 v9, 0, v9, vcc_lo
	v_cmp_lt_i32_e32 vcc_lo, v25, v32
	v_cndmask_b32_e32 v7, 0, v7, vcc_lo
.LBB394_939:                            ;   in Loop: Header=BB394_419 Depth=1
	s_or_b32 exec_lo, exec_lo, s1
	v_lshlrev_b32_e32 v0, 16, v0
	s_delay_alu instid0(VALU_DEP_1) | instskip(NEXT) | instid1(VALU_DEP_1)
	v_mul_f32_e32 v38, v53, v0
	v_and_b32_e32 v0, 0x7f800000, v38
	s_delay_alu instid0(VALU_DEP_1) | instskip(SKIP_1) | instid1(SALU_CYCLE_1)
	v_cmp_ne_u32_e32 vcc_lo, 0x7f800000, v0
                                        ; implicit-def: $vgpr0
	s_and_saveexec_b32 s1, vcc_lo
	s_xor_b32 s1, exec_lo, s1
; %bb.940:                              ;   in Loop: Header=BB394_419 Depth=1
	v_bfe_u32 v0, v38, 16, 1
	s_delay_alu instid0(VALU_DEP_1)
	v_add3_u32 v0, v38, v0, 0x7fff
                                        ; implicit-def: $vgpr38
; %bb.941:                              ;   in Loop: Header=BB394_419 Depth=1
	s_and_not1_saveexec_b32 s1, s1
; %bb.942:                              ;   in Loop: Header=BB394_419 Depth=1
	v_and_b32_e32 v0, 0xffff, v38
	v_or_b32_e32 v39, 0x10000, v38
	s_delay_alu instid0(VALU_DEP_2) | instskip(NEXT) | instid1(VALU_DEP_2)
	v_cmp_eq_u32_e32 vcc_lo, 0, v0
	v_cndmask_b32_e32 v0, v39, v38, vcc_lo
; %bb.943:                              ;   in Loop: Header=BB394_419 Depth=1
	s_or_b32 exec_lo, exec_lo, s1
	v_lshlrev_b32_e32 v6, 16, v6
	s_delay_alu instid0(VALU_DEP_1) | instskip(NEXT) | instid1(VALU_DEP_1)
	v_mul_f32_e32 v38, v54, v6
	v_and_b32_e32 v6, 0x7f800000, v38
	s_delay_alu instid0(VALU_DEP_1) | instskip(SKIP_1) | instid1(SALU_CYCLE_1)
	v_cmp_ne_u32_e32 vcc_lo, 0x7f800000, v6
                                        ; implicit-def: $vgpr6
	s_and_saveexec_b32 s1, vcc_lo
	s_xor_b32 s1, exec_lo, s1
; %bb.944:                              ;   in Loop: Header=BB394_419 Depth=1
	v_bfe_u32 v6, v38, 16, 1
	s_delay_alu instid0(VALU_DEP_1)
	v_add3_u32 v6, v38, v6, 0x7fff
                                        ; implicit-def: $vgpr38
; %bb.945:                              ;   in Loop: Header=BB394_419 Depth=1
	s_and_not1_saveexec_b32 s1, s1
; %bb.946:                              ;   in Loop: Header=BB394_419 Depth=1
	v_and_b32_e32 v6, 0xffff, v38
	v_or_b32_e32 v39, 0x10000, v38
	s_delay_alu instid0(VALU_DEP_2) | instskip(NEXT) | instid1(VALU_DEP_2)
	v_cmp_eq_u32_e32 vcc_lo, 0, v6
	v_cndmask_b32_e32 v6, v39, v38, vcc_lo
; %bb.947:                              ;   in Loop: Header=BB394_419 Depth=1
	s_or_b32 exec_lo, exec_lo, s1
	v_lshlrev_b32_e32 v8, 16, v8
	s_delay_alu instid0(VALU_DEP_1) | instskip(NEXT) | instid1(VALU_DEP_1)
	v_mul_f32_e32 v38, v55, v8
	v_and_b32_e32 v8, 0x7f800000, v38
	s_delay_alu instid0(VALU_DEP_1) | instskip(SKIP_1) | instid1(SALU_CYCLE_1)
	v_cmp_ne_u32_e32 vcc_lo, 0x7f800000, v8
                                        ; implicit-def: $vgpr8
	s_and_saveexec_b32 s1, vcc_lo
	s_xor_b32 s1, exec_lo, s1
; %bb.948:                              ;   in Loop: Header=BB394_419 Depth=1
	v_bfe_u32 v8, v38, 16, 1
	s_delay_alu instid0(VALU_DEP_1)
	v_add3_u32 v8, v38, v8, 0x7fff
                                        ; implicit-def: $vgpr38
; %bb.949:                              ;   in Loop: Header=BB394_419 Depth=1
	s_and_not1_saveexec_b32 s1, s1
; %bb.950:                              ;   in Loop: Header=BB394_419 Depth=1
	v_and_b32_e32 v8, 0xffff, v38
	v_or_b32_e32 v39, 0x10000, v38
	s_delay_alu instid0(VALU_DEP_2) | instskip(NEXT) | instid1(VALU_DEP_2)
	v_cmp_eq_u32_e32 vcc_lo, 0, v8
	v_cndmask_b32_e32 v8, v39, v38, vcc_lo
; %bb.951:                              ;   in Loop: Header=BB394_419 Depth=1
	s_or_b32 exec_lo, exec_lo, s1
	v_lshlrev_b32_e32 v38, 16, v102
	s_delay_alu instid0(VALU_DEP_1) | instskip(NEXT) | instid1(VALU_DEP_1)
	v_mul_f32_e32 v39, v64, v38
	v_and_b32_e32 v38, 0x7f800000, v39
	s_delay_alu instid0(VALU_DEP_1) | instskip(SKIP_1) | instid1(SALU_CYCLE_1)
	v_cmp_ne_u32_e32 vcc_lo, 0x7f800000, v38
                                        ; implicit-def: $vgpr38
	s_and_saveexec_b32 s1, vcc_lo
	s_xor_b32 s1, exec_lo, s1
; %bb.952:                              ;   in Loop: Header=BB394_419 Depth=1
	v_bfe_u32 v38, v39, 16, 1
	s_delay_alu instid0(VALU_DEP_1)
	v_add3_u32 v38, v39, v38, 0x7fff
                                        ; implicit-def: $vgpr39
; %bb.953:                              ;   in Loop: Header=BB394_419 Depth=1
	s_and_not1_saveexec_b32 s1, s1
; %bb.954:                              ;   in Loop: Header=BB394_419 Depth=1
	v_and_b32_e32 v38, 0xffff, v39
	v_or_b32_e32 v48, 0x10000, v39
	s_delay_alu instid0(VALU_DEP_2) | instskip(NEXT) | instid1(VALU_DEP_2)
	v_cmp_eq_u32_e32 vcc_lo, 0, v38
	v_cndmask_b32_e32 v38, v48, v39, vcc_lo
; %bb.955:                              ;   in Loop: Header=BB394_419 Depth=1
	s_or_b32 exec_lo, exec_lo, s1
	v_lshlrev_b32_e32 v39, 16, v103
	s_delay_alu instid0(VALU_DEP_1) | instskip(NEXT) | instid1(VALU_DEP_1)
	v_mul_f32_e32 v48, v65, v39
	v_and_b32_e32 v39, 0x7f800000, v48
	s_delay_alu instid0(VALU_DEP_1) | instskip(SKIP_1) | instid1(SALU_CYCLE_1)
	v_cmp_ne_u32_e32 vcc_lo, 0x7f800000, v39
                                        ; implicit-def: $vgpr39
	s_and_saveexec_b32 s1, vcc_lo
	s_xor_b32 s1, exec_lo, s1
; %bb.956:                              ;   in Loop: Header=BB394_419 Depth=1
	v_bfe_u32 v39, v48, 16, 1
	s_delay_alu instid0(VALU_DEP_1)
	v_add3_u32 v39, v48, v39, 0x7fff
                                        ; implicit-def: $vgpr48
; %bb.957:                              ;   in Loop: Header=BB394_419 Depth=1
	s_and_not1_saveexec_b32 s1, s1
; %bb.958:                              ;   in Loop: Header=BB394_419 Depth=1
	v_and_b32_e32 v39, 0xffff, v48
	v_or_b32_e32 v49, 0x10000, v48
	s_delay_alu instid0(VALU_DEP_2) | instskip(NEXT) | instid1(VALU_DEP_2)
	v_cmp_eq_u32_e32 vcc_lo, 0, v39
	v_cndmask_b32_e32 v39, v49, v48, vcc_lo
; %bb.959:                              ;   in Loop: Header=BB394_419 Depth=1
	s_or_b32 exec_lo, exec_lo, s1
	v_lshlrev_b32_e32 v48, 16, v112
	s_delay_alu instid0(VALU_DEP_1) | instskip(NEXT) | instid1(VALU_DEP_1)
	v_mul_f32_e32 v49, v66, v48
	v_and_b32_e32 v48, 0x7f800000, v49
	s_delay_alu instid0(VALU_DEP_1) | instskip(SKIP_1) | instid1(SALU_CYCLE_1)
	v_cmp_ne_u32_e32 vcc_lo, 0x7f800000, v48
                                        ; implicit-def: $vgpr48
	s_and_saveexec_b32 s1, vcc_lo
	s_xor_b32 s1, exec_lo, s1
; %bb.960:                              ;   in Loop: Header=BB394_419 Depth=1
	v_bfe_u32 v48, v49, 16, 1
	s_delay_alu instid0(VALU_DEP_1)
	v_add3_u32 v48, v49, v48, 0x7fff
                                        ; implicit-def: $vgpr49
; %bb.961:                              ;   in Loop: Header=BB394_419 Depth=1
	s_and_not1_saveexec_b32 s1, s1
; %bb.962:                              ;   in Loop: Header=BB394_419 Depth=1
	v_and_b32_e32 v48, 0xffff, v49
	v_or_b32_e32 v50, 0x10000, v49
	s_delay_alu instid0(VALU_DEP_2) | instskip(NEXT) | instid1(VALU_DEP_2)
	v_cmp_eq_u32_e32 vcc_lo, 0, v48
	v_cndmask_b32_e32 v48, v50, v49, vcc_lo
; %bb.963:                              ;   in Loop: Header=BB394_419 Depth=1
	s_or_b32 exec_lo, exec_lo, s1
	v_lshlrev_b32_e32 v9, 16, v9
	s_delay_alu instid0(VALU_DEP_1) | instskip(NEXT) | instid1(VALU_DEP_1)
	v_mul_f32_e32 v49, v67, v9
	v_and_b32_e32 v9, 0x7f800000, v49
	s_delay_alu instid0(VALU_DEP_1) | instskip(SKIP_1) | instid1(SALU_CYCLE_1)
	v_cmp_ne_u32_e32 vcc_lo, 0x7f800000, v9
                                        ; implicit-def: $vgpr9
	s_and_saveexec_b32 s1, vcc_lo
	s_xor_b32 s1, exec_lo, s1
; %bb.964:                              ;   in Loop: Header=BB394_419 Depth=1
	v_bfe_u32 v9, v49, 16, 1
	s_delay_alu instid0(VALU_DEP_1)
	v_add3_u32 v9, v49, v9, 0x7fff
                                        ; implicit-def: $vgpr49
; %bb.965:                              ;   in Loop: Header=BB394_419 Depth=1
	s_and_not1_saveexec_b32 s1, s1
; %bb.966:                              ;   in Loop: Header=BB394_419 Depth=1
	v_and_b32_e32 v9, 0xffff, v49
	v_or_b32_e32 v50, 0x10000, v49
	s_delay_alu instid0(VALU_DEP_2) | instskip(NEXT) | instid1(VALU_DEP_2)
	v_cmp_eq_u32_e32 vcc_lo, 0, v9
	v_cndmask_b32_e32 v9, v50, v49, vcc_lo
; %bb.967:                              ;   in Loop: Header=BB394_419 Depth=1
	s_or_b32 exec_lo, exec_lo, s1
	v_lshlrev_b32_e32 v7, 16, v7
	s_delay_alu instid0(VALU_DEP_1) | instskip(NEXT) | instid1(VALU_DEP_1)
	v_mul_f32_e32 v49, v68, v7
	v_and_b32_e32 v7, 0x7f800000, v49
	s_delay_alu instid0(VALU_DEP_1) | instskip(SKIP_1) | instid1(SALU_CYCLE_1)
	v_cmp_ne_u32_e32 vcc_lo, 0x7f800000, v7
                                        ; implicit-def: $vgpr7
	s_and_saveexec_b32 s1, vcc_lo
	s_xor_b32 s1, exec_lo, s1
; %bb.968:                              ;   in Loop: Header=BB394_419 Depth=1
	v_bfe_u32 v7, v49, 16, 1
	s_delay_alu instid0(VALU_DEP_1)
	v_add3_u32 v7, v49, v7, 0x7fff
                                        ; implicit-def: $vgpr49
; %bb.969:                              ;   in Loop: Header=BB394_419 Depth=1
	s_and_not1_saveexec_b32 s1, s1
	s_cbranch_execz .LBB394_418
; %bb.970:                              ;   in Loop: Header=BB394_419 Depth=1
	v_and_b32_e32 v7, 0xffff, v49
	v_or_b32_e32 v50, 0x10000, v49
	s_delay_alu instid0(VALU_DEP_2) | instskip(NEXT) | instid1(VALU_DEP_2)
	v_cmp_eq_u32_e32 vcc_lo, 0, v7
	v_cndmask_b32_e32 v7, v50, v49, vcc_lo
	s_branch .LBB394_418
.LBB394_971:
	s_or_b32 exec_lo, exec_lo, s8
	v_dual_mov_b32 v0, s10 :: v_dual_mov_b32 v1, s11
.LBB394_972:
	s_or_b32 exec_lo, exec_lo, s3
	s_delay_alu instid0(VALU_DEP_1)
	v_lshlrev_b64 v[0:1], 2, v[0:1]
	s_getpc_b64 s[4:5]
	s_add_u32 s4, s4, llvm.amdgcn.dynlds.offset.table@rel32@lo+4
	s_addc_u32 s5, s5, llvm.amdgcn.dynlds.offset.table@rel32@hi+12
	s_waitcnt lgkmcnt(0)
	s_waitcnt_vscnt null, 0x0
	s_barrier
	buffer_gl0_inv
	v_and_b32_e32 v6, 0x3c0, v30
	v_add_co_u32 v0, vcc_lo, v0, s4
	v_add_co_ci_u32_e32 v1, vcc_lo, s5, v1, vcc_lo
	s_mov_b32 s1, exec_lo
	global_load_b32 v1, v[0:1], off
	s_waitcnt vmcnt(0)
	v_lshl_add_u32 v0, v33, 9, v1
	v_cmpx_eq_u32_e32 64, v6
	s_cbranch_execz .LBB394_974
; %bb.973:
	s_delay_alu instid0(VALU_DEP_2) | instskip(SKIP_1) | instid1(VALU_DEP_2)
	v_add_nc_u32_e32 v6, 0xfffffc00, v0
	v_lshl_or_b32 v7, v30, 2, 0x180
	v_lshl_add_u32 v8, v19, 2, v6
	s_delay_alu instid0(VALU_DEP_2)
	v_add_nc_u32_e32 v6, v6, v7
	ds_store_2addr_b32 v8, v21, v20 offset1:32
	ds_store_b32 v8, v2 offset:256
	ds_store_b32 v6, v3
.LBB394_974:
	s_or_b32 exec_lo, exec_lo, s1
	s_delay_alu instid0(VALU_DEP_2)
	v_lshl_add_u32 v6, v19, 2, v0
	s_waitcnt lgkmcnt(0)
	s_barrier
	buffer_gl0_inv
	s_and_saveexec_b32 s1, s0
	s_cbranch_execz .LBB394_976
; %bb.975:
	v_or_b32_e32 v7, 0x80, v31
	v_or_b32_e32 v8, 0x180, v31
	s_delay_alu instid0(VALU_DEP_2) | instskip(NEXT) | instid1(VALU_DEP_2)
	v_add_nc_u32_e32 v9, v0, v7
	v_add_nc_u32_e32 v10, v0, v8
	ds_load_2addr_stride64_b32 v[7:8], v6 offset1:1
	ds_load_b32 v9, v9
	ds_load_b32 v10, v10
	s_waitcnt lgkmcnt(2)
	v_dual_add_f32 v21, v21, v7 :: v_dual_add_f32 v2, v2, v8
	s_waitcnt lgkmcnt(0)
	v_dual_add_f32 v20, v20, v9 :: v_dual_add_f32 v3, v3, v10
.LBB394_976:
	s_or_b32 exec_lo, exec_lo, s1
	v_and_b32_e32 v7, 0x3e0, v30
	s_mov_b32 s0, exec_lo
	s_barrier
	buffer_gl0_inv
	v_cmpx_eq_u32_e32 32, v7
	s_cbranch_execz .LBB394_978
; %bb.977:
	v_or_b32_e32 v7, 0x180, v31
	v_lshl_add_u32 v8, v19, 2, v1
	v_add_nc_u32_e32 v9, v1, v31
	s_delay_alu instid0(VALU_DEP_3)
	v_add_nc_u32_e32 v1, v1, v7
	ds_store_b32 v8, v21
	ds_store_b32 v9, v20
	ds_store_b32 v8, v2 offset:256
	ds_store_b32 v1, v3
.LBB394_978:
	s_or_b32 exec_lo, exec_lo, s0
	v_cmp_gt_u32_e32 vcc_lo, 32, v30
	s_waitcnt lgkmcnt(0)
	s_barrier
	buffer_gl0_inv
	s_and_saveexec_b32 s0, vcc_lo
	s_cbranch_execz .LBB394_980
; %bb.979:
	v_lshl_add_u32 v7, v30, 2, v0
	ds_load_b32 v6, v6
	ds_load_2addr_b32 v[0:1], v7 offset0:32 offset1:64
	ds_load_b32 v7, v7 offset:384
	s_waitcnt lgkmcnt(1)
	v_dual_add_f32 v21, v21, v6 :: v_dual_add_f32 v20, v20, v0
	s_waitcnt lgkmcnt(0)
	v_dual_add_f32 v2, v2, v1 :: v_dual_add_f32 v3, v3, v7
.LBB394_980:
	s_or_b32 exec_lo, exec_lo, s0
	s_barrier
	buffer_gl0_inv
	s_and_b32 exec_lo, exec_lo, vcc_lo
	s_cbranch_execz .LBB394_998
; %bb.981:
	v_and_b32_e32 v0, 0x7f800000, v21
	s_delay_alu instid0(VALU_DEP_1) | instskip(SKIP_1) | instid1(SALU_CYCLE_1)
	v_cmp_ne_u32_e32 vcc_lo, 0x7f800000, v0
                                        ; implicit-def: $vgpr0
	s_and_saveexec_b32 s0, vcc_lo
	s_xor_b32 s0, exec_lo, s0
; %bb.982:
	v_bfe_u32 v0, v21, 16, 1
	s_delay_alu instid0(VALU_DEP_1)
	v_add3_u32 v0, v21, v0, 0x7fff
; %bb.983:
	s_and_not1_saveexec_b32 s0, s0
; %bb.984:
	v_and_b32_e32 v0, 0xffff, v21
	v_or_b32_e32 v1, 0x10000, v21
	s_delay_alu instid0(VALU_DEP_2) | instskip(NEXT) | instid1(VALU_DEP_2)
	v_cmp_eq_u32_e32 vcc_lo, 0, v0
	v_cndmask_b32_e32 v0, v1, v21, vcc_lo
; %bb.985:
	s_or_b32 exec_lo, exec_lo, s0
	s_lshl_b32 s0, s2, 7
	s_mul_i32 s2, s6, s7
	s_lshl_b32 s4, s14, 7
	s_ashr_i32 s3, s2, 31
	s_ashr_i32 s5, s4, 31
	;; [unrolled: 1-line block ×3, first 2 shown]
	s_lshl_b64 s[2:3], s[2:3], 1
	s_lshl_b64 s[4:5], s[4:5], 1
	;; [unrolled: 1-line block ×3, first 2 shown]
	s_add_u32 s2, s4, s2
	s_addc_u32 s3, s5, s3
	s_add_u32 s0, s2, s0
	s_addc_u32 s1, s3, s1
	v_lshlrev_b32_e32 v1, 1, v30
	v_add_co_u32 v4, vcc_lo, s0, v4
	v_add_co_ci_u32_e32 v5, vcc_lo, s1, v5, vcc_lo
	v_and_b32_e32 v6, 0x7f800000, v20
	s_delay_alu instid0(VALU_DEP_3) | instskip(NEXT) | instid1(VALU_DEP_3)
	v_add_co_u32 v4, vcc_lo, v4, v1
	v_add_co_ci_u32_e32 v5, vcc_lo, 0, v5, vcc_lo
	s_mov_b32 s0, exec_lo
	flat_store_d16_hi_b16 v[4:5], v0
                                        ; implicit-def: $vgpr0
	v_cmpx_ne_u32_e32 0x7f800000, v6
	s_xor_b32 s0, exec_lo, s0
; %bb.986:
	v_bfe_u32 v0, v20, 16, 1
	s_delay_alu instid0(VALU_DEP_1)
	v_add3_u32 v0, v20, v0, 0x7fff
; %bb.987:
	s_and_not1_saveexec_b32 s0, s0
; %bb.988:
	v_and_b32_e32 v0, 0xffff, v20
	v_or_b32_e32 v1, 0x10000, v20
	s_delay_alu instid0(VALU_DEP_2) | instskip(NEXT) | instid1(VALU_DEP_2)
	v_cmp_eq_u32_e32 vcc_lo, 0, v0
	v_cndmask_b32_e32 v0, v1, v20, vcc_lo
; %bb.989:
	s_or_b32 exec_lo, exec_lo, s0
	v_and_b32_e32 v1, 0x7f800000, v2
	s_mov_b32 s0, exec_lo
	flat_store_d16_hi_b16 v[4:5], v0 offset:64
                                        ; implicit-def: $vgpr0
	v_cmpx_ne_u32_e32 0x7f800000, v1
	s_xor_b32 s0, exec_lo, s0
; %bb.990:
	v_bfe_u32 v0, v2, 16, 1
	s_delay_alu instid0(VALU_DEP_1)
	v_add3_u32 v0, v2, v0, 0x7fff
; %bb.991:
	s_and_not1_saveexec_b32 s0, s0
; %bb.992:
	v_and_b32_e32 v0, 0xffff, v2
	v_or_b32_e32 v1, 0x10000, v2
	s_delay_alu instid0(VALU_DEP_2) | instskip(NEXT) | instid1(VALU_DEP_2)
	v_cmp_eq_u32_e32 vcc_lo, 0, v0
	v_cndmask_b32_e32 v0, v1, v2, vcc_lo
; %bb.993:
	s_or_b32 exec_lo, exec_lo, s0
	v_and_b32_e32 v1, 0x7f800000, v3
	s_mov_b32 s0, exec_lo
	flat_store_d16_hi_b16 v[4:5], v0 offset:128
                                        ; implicit-def: $vgpr6
	v_cmpx_ne_u32_e32 0x7f800000, v1
	s_xor_b32 s0, exec_lo, s0
; %bb.994:
	v_bfe_u32 v0, v3, 16, 1
	s_delay_alu instid0(VALU_DEP_1)
	v_add3_u32 v6, v3, v0, 0x7fff
                                        ; implicit-def: $vgpr0_vgpr1_vgpr2_vgpr3
; %bb.995:
	s_and_not1_saveexec_b32 s0, s0
; %bb.996:
	v_and_b32_e32 v0, 0xffff, v3
	v_or_b32_e32 v1, 0x10000, v3
	s_delay_alu instid0(VALU_DEP_2) | instskip(NEXT) | instid1(VALU_DEP_2)
	v_cmp_eq_u32_e32 vcc_lo, 0, v0
	v_cndmask_b32_e32 v6, v1, v3, vcc_lo
; %bb.997:
	s_or_b32 exec_lo, exec_lo, s0
	flat_store_d16_hi_b16 v[4:5], v6 offset:192
.LBB394_998:
	s_or_b32 exec_lo, exec_lo, s17
	s_clause 0x1
	scratch_load_b32 v41, off, s32
	scratch_load_b32 v40, off, s32 offset:4
	s_waitcnt vmcnt(0) lgkmcnt(0)
	s_setpc_b64 s[30:31]
.Lfunc_end394:
	.size	_ZN4vllm22paged_attention_kernelI14__hip_bfloat16hLi128ELi8ELi128ELNS_18Fp8KVCacheDataTypeE1ELb0ELi512EEEvPfS3_PT_PKS4_PKT0_SA_ifPKiSC_iPKfiiiSE_SE_iiiii, .Lfunc_end394-_ZN4vllm22paged_attention_kernelI14__hip_bfloat16hLi128ELi8ELi128ELNS_18Fp8KVCacheDataTypeE1ELb0ELi512EEEvPfS3_PT_PKS4_PKT0_SA_ifPKiSC_iPKfiiiSE_SE_iiiii
                                        ; -- End function
	.section	.AMDGPU.csdata,"",@progbits
; Function info:
; codeLenInByte = 31328
; NumSgprs: 35
; NumVgprs: 184
; ScratchSize: 12
; MemoryBound: 0
	.section	.text._ZN4vllm25paged_attention_v2_kernelI14__hip_bfloat16hLi128ELi8ELi128ELNS_18Fp8KVCacheDataTypeE1ELb0ELi512EEEvPfS3_PT_PKS4_PKT0_SA_ifPKiSC_iPKfiiiSE_SE_iiiii,"axG",@progbits,_ZN4vllm25paged_attention_v2_kernelI14__hip_bfloat16hLi128ELi8ELi128ELNS_18Fp8KVCacheDataTypeE1ELb0ELi512EEEvPfS3_PT_PKS4_PKT0_SA_ifPKiSC_iPKfiiiSE_SE_iiiii,comdat
	.protected	_ZN4vllm25paged_attention_v2_kernelI14__hip_bfloat16hLi128ELi8ELi128ELNS_18Fp8KVCacheDataTypeE1ELb0ELi512EEEvPfS3_PT_PKS4_PKT0_SA_ifPKiSC_iPKfiiiSE_SE_iiiii ; -- Begin function _ZN4vllm25paged_attention_v2_kernelI14__hip_bfloat16hLi128ELi8ELi128ELNS_18Fp8KVCacheDataTypeE1ELb0ELi512EEEvPfS3_PT_PKS4_PKT0_SA_ifPKiSC_iPKfiiiSE_SE_iiiii
	.globl	_ZN4vllm25paged_attention_v2_kernelI14__hip_bfloat16hLi128ELi8ELi128ELNS_18Fp8KVCacheDataTypeE1ELb0ELi512EEEvPfS3_PT_PKS4_PKT0_SA_ifPKiSC_iPKfiiiSE_SE_iiiii
	.p2align	8
	.type	_ZN4vllm25paged_attention_v2_kernelI14__hip_bfloat16hLi128ELi8ELi128ELNS_18Fp8KVCacheDataTypeE1ELb0ELi512EEEvPfS3_PT_PKS4_PKT0_SA_ifPKiSC_iPKfiiiSE_SE_iiiii,@function
_ZN4vllm25paged_attention_v2_kernelI14__hip_bfloat16hLi128ELi8ELi128ELNS_18Fp8KVCacheDataTypeE1ELb0ELi512EEEvPfS3_PT_PKS4_PKT0_SA_ifPKiSC_iPKfiiiSE_SE_iiiii: ; @_ZN4vllm25paged_attention_v2_kernelI14__hip_bfloat16hLi128ELi8ELi128ELNS_18Fp8KVCacheDataTypeE1ELb0ELi512EEEvPfS3_PT_PKS4_PKT0_SA_ifPKiSC_iPKfiiiSE_SE_iiiii
; %bb.0:
	s_clause 0x5
	s_load_b256 s[24:31], s[0:1], 0x0
	s_load_b256 s[16:23], s[0:1], 0x20
	s_load_b64 s[2:3], s[0:1], 0x40
	s_load_b64 s[4:5], s[0:1], 0x50
	s_load_b32 s6, s[0:1], 0x48
	s_load_b256 s[36:43], s[0:1], 0x58
	v_mov_b32_e32 v31, v0
	s_add_u32 s8, s0, 0x90
	s_mov_b32 s12, s13
	s_addc_u32 s9, s1, 0
	s_mov_b32 s13, s14
	s_mov_b32 s14, s15
	;; [unrolled: 1-line block ×4, first 2 shown]
	s_getpc_b64 s[0:1]
	s_add_u32 s0, s0, _ZN4vllm22paged_attention_kernelI14__hip_bfloat16hLi128ELi8ELi128ELNS_18Fp8KVCacheDataTypeE1ELb0ELi512EEEvPfS3_PT_PKS4_PKT0_SA_ifPKiSC_iPKfiiiSE_SE_iiiii@rel32@lo+4
	s_addc_u32 s1, s1, _ZN4vllm22paged_attention_kernelI14__hip_bfloat16hLi128ELi8ELi128ELNS_18Fp8KVCacheDataTypeE1ELb0ELi512EEEvPfS3_PT_PKS4_PKT0_SA_ifPKiSC_iPKfiiiSE_SE_iiiii@rel32@hi+12
	s_waitcnt lgkmcnt(0)
	v_dual_mov_b32 v0, s24 :: v_dual_mov_b32 v1, s25
	v_dual_mov_b32 v2, s26 :: v_dual_mov_b32 v3, s27
	;; [unrolled: 1-line block ×14, first 2 shown]
	s_swappc_b64 s[30:31], s[0:1]
	s_endpgm
	.section	.rodata,"a",@progbits
	.p2align	6, 0x0
	.amdhsa_kernel _ZN4vllm25paged_attention_v2_kernelI14__hip_bfloat16hLi128ELi8ELi128ELNS_18Fp8KVCacheDataTypeE1ELb0ELi512EEEvPfS3_PT_PKS4_PKT0_SA_ifPKiSC_iPKfiiiSE_SE_iiiii
		.amdhsa_group_segment_fixed_size 288
		.amdhsa_private_segment_fixed_size 12
		.amdhsa_kernarg_size 400
		.amdhsa_user_sgpr_count 13
		.amdhsa_user_sgpr_dispatch_ptr 0
		.amdhsa_user_sgpr_queue_ptr 0
		.amdhsa_user_sgpr_kernarg_segment_ptr 1
		.amdhsa_user_sgpr_dispatch_id 0
		.amdhsa_user_sgpr_private_segment_size 0
		.amdhsa_wavefront_size32 1
		.amdhsa_uses_dynamic_stack 0
		.amdhsa_enable_private_segment 1
		.amdhsa_system_sgpr_workgroup_id_x 1
		.amdhsa_system_sgpr_workgroup_id_y 1
		.amdhsa_system_sgpr_workgroup_id_z 1
		.amdhsa_system_sgpr_workgroup_info 0
		.amdhsa_system_vgpr_workitem_id 0
		.amdhsa_next_free_vgpr 184
		.amdhsa_next_free_sgpr 44
		.amdhsa_reserve_vcc 1
		.amdhsa_float_round_mode_32 0
		.amdhsa_float_round_mode_16_64 0
		.amdhsa_float_denorm_mode_32 3
		.amdhsa_float_denorm_mode_16_64 3
		.amdhsa_dx10_clamp 1
		.amdhsa_ieee_mode 1
		.amdhsa_fp16_overflow 0
		.amdhsa_workgroup_processor_mode 1
		.amdhsa_memory_ordered 1
		.amdhsa_forward_progress 0
		.amdhsa_shared_vgpr_count 0
		.amdhsa_exception_fp_ieee_invalid_op 0
		.amdhsa_exception_fp_denorm_src 0
		.amdhsa_exception_fp_ieee_div_zero 0
		.amdhsa_exception_fp_ieee_overflow 0
		.amdhsa_exception_fp_ieee_underflow 0
		.amdhsa_exception_fp_ieee_inexact 0
		.amdhsa_exception_int_div_zero 0
	.end_amdhsa_kernel
	.section	.text._ZN4vllm25paged_attention_v2_kernelI14__hip_bfloat16hLi128ELi8ELi128ELNS_18Fp8KVCacheDataTypeE1ELb0ELi512EEEvPfS3_PT_PKS4_PKT0_SA_ifPKiSC_iPKfiiiSE_SE_iiiii,"axG",@progbits,_ZN4vllm25paged_attention_v2_kernelI14__hip_bfloat16hLi128ELi8ELi128ELNS_18Fp8KVCacheDataTypeE1ELb0ELi512EEEvPfS3_PT_PKS4_PKT0_SA_ifPKiSC_iPKfiiiSE_SE_iiiii,comdat
.Lfunc_end395:
	.size	_ZN4vllm25paged_attention_v2_kernelI14__hip_bfloat16hLi128ELi8ELi128ELNS_18Fp8KVCacheDataTypeE1ELb0ELi512EEEvPfS3_PT_PKS4_PKT0_SA_ifPKiSC_iPKfiiiSE_SE_iiiii, .Lfunc_end395-_ZN4vllm25paged_attention_v2_kernelI14__hip_bfloat16hLi128ELi8ELi128ELNS_18Fp8KVCacheDataTypeE1ELb0ELi512EEEvPfS3_PT_PKS4_PKT0_SA_ifPKiSC_iPKfiiiSE_SE_iiiii
                                        ; -- End function
	.section	.AMDGPU.csdata,"",@progbits
; Kernel info:
; codeLenInByte = 232
; NumSgprs: 46
; NumVgprs: 184
; ScratchSize: 12
; MemoryBound: 0
; FloatMode: 240
; IeeeMode: 1
; LDSByteSize: 288 bytes/workgroup (compile time only)
; SGPRBlocks: 5
; VGPRBlocks: 22
; NumSGPRsForWavesPerEU: 46
; NumVGPRsForWavesPerEU: 184
; Occupancy: 8
; WaveLimiterHint : 1
; COMPUTE_PGM_RSRC2:SCRATCH_EN: 1
; COMPUTE_PGM_RSRC2:USER_SGPR: 13
; COMPUTE_PGM_RSRC2:TRAP_HANDLER: 0
; COMPUTE_PGM_RSRC2:TGID_X_EN: 1
; COMPUTE_PGM_RSRC2:TGID_Y_EN: 1
; COMPUTE_PGM_RSRC2:TGID_Z_EN: 1
; COMPUTE_PGM_RSRC2:TIDIG_COMP_CNT: 0
	.text
	.p2align	2                               ; -- Begin function _ZN4vllm22paged_attention_kernelI14__hip_bfloat16hLi192ELi8ELi128ELNS_18Fp8KVCacheDataTypeE1ELb0ELi512EEEvPfS3_PT_PKS4_PKT0_SA_ifPKiSC_iPKfiiiSE_SE_iiiii
	.type	_ZN4vllm22paged_attention_kernelI14__hip_bfloat16hLi192ELi8ELi128ELNS_18Fp8KVCacheDataTypeE1ELb0ELi512EEEvPfS3_PT_PKS4_PKT0_SA_ifPKiSC_iPKfiiiSE_SE_iiiii,@function
_ZN4vllm22paged_attention_kernelI14__hip_bfloat16hLi192ELi8ELi128ELNS_18Fp8KVCacheDataTypeE1ELb0ELi512EEEvPfS3_PT_PKS4_PKT0_SA_ifPKiSC_iPKfiiiSE_SE_iiiii: ; @_ZN4vllm22paged_attention_kernelI14__hip_bfloat16hLi192ELi8ELi128ELNS_18Fp8KVCacheDataTypeE1ELb0ELi512EEEvPfS3_PT_PKS4_PKT0_SA_ifPKiSC_iPKfiiiSE_SE_iiiii
; %bb.0:
	s_waitcnt vmcnt(0) expcnt(0) lgkmcnt(0)
	s_clause 0x1f
	scratch_store_b32 off, v40, s32 offset:132
	; meta instruction
	scratch_store_b32 off, v41, s32 offset:128
	; meta instruction
	;; [unrolled: 2-line block ×31, first 2 shown]
	scratch_store_b32 off, v95, s32 offset:8
	s_clause 0x1
	scratch_store_b32 off, v104, s32 offset:4
	; meta instruction
	scratch_store_b32 off, v105, s32
	s_mov_b32 s10, s13
	s_ashr_i32 s11, s13, 31
	s_lshl_b32 s16, s14, 9
	s_lshl_b64 s[0:1], s[10:11], 2
	s_mov_b32 s11, exec_lo
	v_add_co_u32 v16, vcc_lo, v16, s0
	v_add_co_ci_u32_e32 v17, vcc_lo, s1, v17, vcc_lo
	flat_load_b32 v32, v[16:17]
	s_waitcnt vmcnt(0) lgkmcnt(0)
	v_cmpx_lt_i32_e64 s16, v32
	s_cbranch_execz .LBB396_1458
; %bb.1:
	v_sub_nc_u32_e32 v16, 0, v12
	s_clause 0x1
	s_load_b32 s0, s[8:9], 0x10
	s_load_b32 s1, s[8:9], 0x0
	s_mov_b32 s6, s15
	v_mov_b32_e32 v39, 0
	v_max_i32_e32 v16, v12, v16
	s_delay_alu instid0(VALU_DEP_1) | instskip(SKIP_1) | instid1(VALU_DEP_2)
	v_cvt_f32_u32_e32 v17, v16
	v_sub_nc_u32_e32 v28, 0, v16
	v_rcp_iflag_f32_e32 v17, v17
	s_waitcnt lgkmcnt(0)
	s_lshr_b32 s0, s0, 16
	s_delay_alu instid0(SALU_CYCLE_1) | instskip(SKIP_3) | instid1(SALU_CYCLE_1)
	s_cmp_lg_u32 s0, 0
	s_waitcnt_depctr 0xfff
	v_mul_f32_e32 v17, 0x4f7ffffe, v17
	s_cselect_b32 s0, -1, 0
	s_cmp_lg_u32 s0, 0
	s_delay_alu instid0(VALU_DEP_1)
	v_cvt_u32_f32_e32 v17, v17
	s_addc_u32 s15, s1, 0
	s_mov_b32 s1, exec_lo
	s_abs_i32 s0, s15
	v_xor_b32_e32 v12, s15, v12
	v_mul_lo_u32 v28, v28, v17
	s_delay_alu instid0(VALU_DEP_2) | instskip(NEXT) | instid1(VALU_DEP_2)
	v_ashrrev_i32_e32 v12, 31, v12
	v_mul_hi_u32 v28, v17, v28
	s_delay_alu instid0(VALU_DEP_1) | instskip(NEXT) | instid1(VALU_DEP_1)
	v_add_nc_u32_e32 v17, v17, v28
	v_mul_hi_u32 v17, s0, v17
	s_delay_alu instid0(VALU_DEP_1) | instskip(SKIP_1) | instid1(VALU_DEP_2)
	v_mul_lo_u32 v28, v17, v16
	v_add_nc_u32_e32 v29, 1, v17
	v_sub_nc_u32_e32 v28, s0, v28
	s_abs_i32 s0, s12
	s_delay_alu instid0(VALU_DEP_1) | instskip(SKIP_1) | instid1(VALU_DEP_2)
	v_sub_nc_u32_e32 v30, v28, v16
	v_cmp_ge_u32_e32 vcc_lo, v28, v16
	v_dual_cndmask_b32 v17, v17, v29 :: v_dual_cndmask_b32 v28, v28, v30
	s_delay_alu instid0(VALU_DEP_1) | instskip(NEXT) | instid1(VALU_DEP_2)
	v_add_nc_u32_e32 v29, 1, v17
	v_cmp_ge_u32_e32 vcc_lo, v28, v16
	s_delay_alu instid0(VALU_DEP_2) | instskip(NEXT) | instid1(VALU_DEP_1)
	v_cndmask_b32_e32 v16, v17, v29, vcc_lo
	v_xor_b32_e32 v16, v16, v12
	s_delay_alu instid0(VALU_DEP_1) | instskip(NEXT) | instid1(VALU_DEP_1)
	v_sub_nc_u32_e32 v12, v16, v12
	v_sub_nc_u32_e32 v16, 0, v12
	s_delay_alu instid0(VALU_DEP_1) | instskip(NEXT) | instid1(VALU_DEP_1)
	v_max_i32_e32 v28, v12, v16
	v_cvt_f32_u32_e32 v16, v28
	v_sub_nc_u32_e32 v17, 0, v28
	s_delay_alu instid0(VALU_DEP_2) | instskip(SKIP_2) | instid1(VALU_DEP_1)
	v_rcp_iflag_f32_e32 v16, v16
	s_waitcnt_depctr 0xfff
	v_mul_f32_e32 v16, 0x4f7ffffe, v16
	v_cvt_u32_f32_e32 v16, v16
	s_delay_alu instid0(VALU_DEP_1) | instskip(NEXT) | instid1(VALU_DEP_1)
	v_mul_lo_u32 v17, v17, v16
	v_mul_hi_u32 v17, v16, v17
	s_delay_alu instid0(VALU_DEP_1) | instskip(NEXT) | instid1(VALU_DEP_1)
	v_add_nc_u32_e32 v29, v16, v17
	v_mad_u64_u32 v[16:17], null, s0, v29, 0
	v_cmpx_ne_u64_e32 0, v[19:20]
	s_cbranch_execz .LBB396_3
; %bb.2:
	s_ashr_i32 s13, s12, 31
	s_delay_alu instid0(SALU_CYCLE_1) | instskip(NEXT) | instid1(SALU_CYCLE_1)
	s_lshl_b64 s[2:3], s[12:13], 2
	v_add_co_u32 v19, vcc_lo, v19, s2
	v_add_co_ci_u32_e32 v20, vcc_lo, s3, v20, vcc_lo
	flat_load_b32 v39, v[19:20]
.LBB396_3:
	s_or_b32 exec_lo, exec_lo, s1
	v_and_b32_e32 v30, 0x3ff, v31
	v_ashrrev_i32_e32 v12, 31, v12
	s_ashr_i32 s1, s12, 31
	s_mul_i32 s4, s12, 0xc0
	s_mov_b32 s2, exec_lo
	v_and_b32_e32 v20, 3, v30
	v_lshlrev_b32_e32 v31, 2, v30
	v_cmpx_gt_u32_e32 0x60, v30
	s_cbranch_execz .LBB396_5
; %bb.4:
	v_mul_lo_u32 v33, s10, v21
	s_ashr_i32 s5, s4, 31
	s_delay_alu instid0(SALU_CYCLE_1) | instskip(NEXT) | instid1(VALU_DEP_1)
	s_lshl_b64 s[18:19], s[4:5], 1
	v_ashrrev_i32_e32 v34, 31, v33
	s_delay_alu instid0(VALU_DEP_1) | instskip(NEXT) | instid1(VALU_DEP_1)
	v_lshlrev_b64 v[33:34], 1, v[33:34]
	v_add_co_u32 v6, vcc_lo, v6, v33
	s_delay_alu instid0(VALU_DEP_2) | instskip(NEXT) | instid1(VALU_DEP_2)
	v_add_co_ci_u32_e32 v7, vcc_lo, v7, v34, vcc_lo
	v_add_co_u32 v6, vcc_lo, v6, s18
	s_delay_alu instid0(VALU_DEP_2) | instskip(NEXT) | instid1(VALU_DEP_2)
	v_add_co_ci_u32_e32 v7, vcc_lo, s19, v7, vcc_lo
	v_add_co_u32 v6, vcc_lo, v6, v31
	s_delay_alu instid0(VALU_DEP_2) | instskip(SKIP_2) | instid1(VALU_DEP_1)
	v_add_co_ci_u32_e32 v7, vcc_lo, 0, v7, vcc_lo
	flat_load_b32 v6, v[6:7]
	v_and_b32_e32 v7, 0x3fc, v30
	v_mad_u32_u24 v7, 0x60, v20, v7
	s_waitcnt vmcnt(0) lgkmcnt(0)
	ds_store_b32 v7, v6
.LBB396_5:
	s_or_b32 exec_lo, exec_lo, s2
	v_mul_lo_u32 v6, v17, v28
	v_add_nc_u32_e32 v19, 1, v17
	v_lshrrev_b32_e32 v33, 5, v30
	s_lshl_b32 s13, s14, 6
	v_mbcnt_lo_u32_b32 v38, -1, 0
	s_waitcnt vmcnt(0) lgkmcnt(0)
	s_waitcnt_vscnt null, 0x0
	s_barrier
	buffer_gl0_inv
	v_sub_nc_u32_e32 v6, s0, v6
	s_add_i32 s0, s13, 64
                                        ; implicit-def: $vgpr48
	s_delay_alu instid0(VALU_DEP_1) | instskip(SKIP_3) | instid1(VALU_DEP_2)
	v_sub_nc_u32_e32 v21, v6, v28
	v_cmp_ge_u32_e32 vcc_lo, v6, v28
	v_add_nc_u32_e32 v7, 7, v32
	v_cndmask_b32_e32 v17, v17, v19, vcc_lo
	v_ashrrev_i32_e32 v16, 31, v7
	s_delay_alu instid0(VALU_DEP_2) | instskip(NEXT) | instid1(VALU_DEP_2)
	v_add_nc_u32_e32 v19, 1, v17
	v_lshrrev_b32_e32 v16, 29, v16
	s_delay_alu instid0(VALU_DEP_1) | instskip(SKIP_2) | instid1(VALU_DEP_3)
	v_dual_cndmask_b32 v16, v6, v21 :: v_dual_add_nc_u32 v7, v7, v16
	v_xor_b32_e32 v21, s1, v12
	v_mul_lo_u32 v6, s10, v18
                                        ; implicit-def: $sgpr1
	v_ashrrev_i32_e32 v12, 3, v7
	s_delay_alu instid0(VALU_DEP_4) | instskip(SKIP_1) | instid1(VALU_DEP_3)
	v_cmp_ge_u32_e32 vcc_lo, v16, v28
	v_or_b32_e32 v16, s13, v33
	v_min_i32_e32 v34, s0, v12
	v_cndmask_b32_e32 v7, v17, v19, vcc_lo
	s_delay_alu instid0(VALU_DEP_2) | instskip(NEXT) | instid1(VALU_DEP_2)
	v_cmp_ge_i32_e64 s0, v16, v34
	v_xor_b32_e32 v17, v7, v21
	v_ashrrev_i32_e32 v7, 31, v6
	s_delay_alu instid0(VALU_DEP_2) | instskip(NEXT) | instid1(VALU_DEP_4)
	v_sub_nc_u32_e32 v17, v17, v21
	s_and_saveexec_b32 s2, s0
	s_delay_alu instid0(SALU_CYCLE_1)
	s_xor_b32 s2, exec_lo, s2
; %bb.6:
	v_mbcnt_lo_u32_b32 v38, -1, 0
	v_mov_b32_e32 v48, 32
	s_mov_b32 s1, 0xff7fffff
                                        ; implicit-def: $vgpr39
                                        ; implicit-def: $vgpr13
                                        ; implicit-def: $vgpr24
                                        ; implicit-def: $vgpr8
                                        ; implicit-def: $vgpr9
                                        ; implicit-def: $vgpr20
; %bb.7:
	s_or_saveexec_b32 s17, s2
	s_clause 0x1
	s_load_b32 s18, s[8:9], 0x14
	s_load_b32 s5, s[8:9], 0x8
	v_mul_lo_u32 v36, v17, v23
	v_lshlrev_b64 v[18:19], 2, v[6:7]
	v_dual_mov_b32 v144, s1 :: v_dual_lshlrev_b32 v35, 3, v33
	v_ashrrev_i32_e32 v17, 31, v16
	s_delay_alu instid0(VALU_DEP_4)
	v_ashrrev_i32_e32 v37, 31, v36
	s_xor_b32 exec_lo, exec_lo, s17
	s_cbranch_execz .LBB396_589
; %bb.8:
	v_mul_u32_u24_e32 v6, 0x60, v20
	v_bfe_u32 v28, v30, 2, 3
	v_add_co_u32 v8, vcc_lo, v8, v36
	v_add_co_ci_u32_e32 v9, vcc_lo, v9, v37, vcc_lo
	ds_load_b128 v[64:67], v6
	ds_load_b128 v[80:83], v6 offset:16
	ds_load_b128 v[96:99], v6 offset:32
	;; [unrolled: 1-line block ×5, first 2 shown]
	v_xor_b32_e32 v6, 2, v38
	v_lshlrev_b32_e32 v21, 4, v28
	v_mov_b32_e32 v7, 0
	v_dual_mov_b32 v48, 32 :: v_dual_lshlrev_b32 v23, 1, v20
	v_lshlrev_b32_e32 v29, 2, v28
	s_delay_alu instid0(VALU_DEP_4)
	v_add_co_u32 v8, vcc_lo, v8, v21
	v_add_co_ci_u32_e32 v9, vcc_lo, 0, v9, vcc_lo
	v_xor_b32_e32 v21, 1, v38
	v_cmp_gt_i32_e32 vcc_lo, 32, v6
	s_ashr_i32 s7, s6, 31
	v_cmp_neq_f32_e64 s1, 0, v39
	s_lshl_b64 s[8:9], s[6:7], 2
	s_waitcnt lgkmcnt(0)
	v_dual_cndmask_b32 v6, v38, v6 :: v_dual_lshlrev_b32 v49, 16, v64
	v_cmp_gt_i32_e32 vcc_lo, 32, v21
	v_and_b32_e32 v54, 0xffff0000, v66
	v_and_b32_e32 v50, 0xffff0000, v64
	v_lshlrev_b32_e32 v55, 16, v67
	v_dual_cndmask_b32 v21, v38, v21 :: v_dual_and_b32 v64, 0xffff0000, v67
	v_lshlrev_b32_e32 v67, 16, v81
	v_and_b32_e32 v68, 0xffff0000, v81
	v_lshlrev_b32_e32 v69, 16, v82
	v_and_b32_e32 v70, 0xffff0000, v82
	v_lshlrev_b32_e32 v81, 16, v96
	v_and_b32_e32 v82, 0xffff0000, v96
	v_lshlrev_b32_e32 v87, 16, v99
	v_and_b32_e32 v96, 0xffff0000, v99
	v_lshlrev_b32_e32 v99, 16, v113
	v_and_b32_e32 v100, 0xffff0000, v113
	v_lshlrev_b32_e32 v101, 16, v114
	v_and_b32_e32 v102, 0xffff0000, v114
	v_lshlrev_b32_e32 v113, 16, v128
	v_and_b32_e32 v114, 0xffff0000, v128
	v_lshlrev_b32_e32 v119, 16, v131
	v_and_b32_e32 v128, 0xffff0000, v131
	v_lshlrev_b32_e32 v131, 16, v145
	v_and_b32_e32 v132, 0xffff0000, v145
	v_lshlrev_b32_e32 v135, 16, v147
	v_and_b32_e32 v145, 0xffff0000, v147
	v_lshlrev_b32_e32 v147, 2, v21
	v_cmp_eq_u32_e32 vcc_lo, 0, v20
	v_lshlrev_b64 v[20:21], 2, v[16:17]
	v_lshlrev_b32_e32 v133, 16, v146
	v_and_b32_e32 v134, 0xffff0000, v146
	v_lshlrev_b32_e32 v146, 2, v6
	v_lshlrev_b32_e32 v51, 16, v65
	v_dual_mov_b32 v151, v16 :: v_dual_and_b32 v52, 0xffff0000, v65
	v_add_co_u32 v6, s2, v18, v20
	s_delay_alu instid0(VALU_DEP_1) | instskip(SKIP_1) | instid1(VALU_DEP_3)
	v_add_co_ci_u32_e64 v21, s2, v19, v21, s2
	v_lshlrev_b32_e32 v53, 16, v66
	v_add_co_u32 v20, s2, v14, v6
	v_lshlrev_b32_e32 v65, 16, v80
	v_and_b32_e32 v66, 0xffff0000, v80
	v_lshlrev_b32_e32 v71, 16, v83
	v_and_b32_e32 v80, 0xffff0000, v83
	;; [unrolled: 2-line block ×9, first 2 shown]
	v_add_co_ci_u32_e64 v21, s2, v15, v21, s2
	v_sub_nc_u32_e32 v148, 1, v32
	v_add3_u32 v149, s16, v35, v28
	v_lshl_or_b32 v150, v33, 5, v29
	v_mov_b32_e32 v144, 0xff7fffff
	s_getpc_b64 s[20:21]
	s_add_u32 s20, s20, llvm.amdgcn.dynlds.offset.table@rel32@lo+4
	s_addc_u32 s21, s21, llvm.amdgcn.dynlds.offset.table@rel32@hi+12
	s_add_u32 s8, s8, s20
	s_mov_b32 s7, 0
	s_addc_u32 s9, s9, s21
	s_branch .LBB396_10
.LBB396_9:                              ;   in Loop: Header=BB396_10 Depth=1
	s_or_b32 exec_lo, exec_lo, s3
	v_add_nc_u32_e32 v151, 4, v151
	v_add_co_u32 v20, s3, v20, 16
	s_delay_alu instid0(VALU_DEP_1) | instskip(NEXT) | instid1(VALU_DEP_3)
	v_add_co_ci_u32_e64 v21, s3, 0, v21, s3
	v_cmp_ge_i32_e64 s2, v151, v34
	v_add_nc_u32_e32 v149, 32, v149
	v_add_nc_u32_e32 v150, 0x80, v150
	s_delay_alu instid0(VALU_DEP_3) | instskip(NEXT) | instid1(SALU_CYCLE_1)
	s_or_b32 s7, s2, s7
	s_and_not1_b32 exec_lo, exec_lo, s7
	s_cbranch_execz .LBB396_588
.LBB396_10:                             ; =>This Inner Loop Header: Depth=1
	flat_load_b32 v6, v[20:21]
	s_mov_b32 s3, exec_lo
	s_waitcnt vmcnt(0) lgkmcnt(0)
	v_mad_i64_i32 v[28:29], null, v6, v22, v[8:9]
	s_delay_alu instid0(VALU_DEP_1) | instskip(NEXT) | instid1(VALU_DEP_1)
	v_add_co_u32 v28, s2, v28, v23
	v_add_co_ci_u32_e64 v29, s2, 0, v29, s2
	flat_load_u16 v6, v[28:29]
	flat_load_b32 v160, v[24:25]
	s_waitcnt vmcnt(1) lgkmcnt(1)
	v_and_b32_e32 v161, 0xff, v6
	v_and_b32_e32 v162, 0xffff, v6
	v_mov_b32_e32 v6, 0
	s_delay_alu instid0(VALU_DEP_3)
	v_cmpx_ne_u16_e64 0, v161
	s_cbranch_execz .LBB396_18
; %bb.11:                               ;   in Loop: Header=BB396_10 Depth=1
	s_delay_alu instid0(VALU_DEP_3) | instskip(NEXT) | instid1(VALU_DEP_1)
	v_and_b32_e32 v6, 0xff, v162
	v_cmp_ne_u16_e64 s2, 0x80, v6
	v_bfrev_b32_e32 v6, 1
	s_delay_alu instid0(VALU_DEP_2)
	s_and_saveexec_b32 s19, s2
	s_cbranch_execz .LBB396_17
; %bb.12:                               ;   in Loop: Header=BB396_10 Depth=1
	v_and_b32_e32 v163, 0x7f, v162
	v_mov_b32_e32 v6, 0x7f800001
	s_mov_b32 s20, exec_lo
	s_delay_alu instid0(VALU_DEP_2)
	v_cmpx_ne_u32_e32 0x7f, v163
	s_cbranch_execz .LBB396_16
; %bb.13:                               ;   in Loop: Header=BB396_10 Depth=1
	v_and_b32_e32 v6, 7, v162
	v_lshrrev_b32_e32 v161, 3, v163
	s_mov_b32 s21, exec_lo
	v_cmpx_gt_u32_e32 8, v163
; %bb.14:                               ;   in Loop: Header=BB396_10 Depth=1
	s_delay_alu instid0(VALU_DEP_3) | instskip(NEXT) | instid1(VALU_DEP_1)
	v_clz_i32_u32_e32 v161, v6
	v_min_u32_e32 v161, 32, v161
	s_delay_alu instid0(VALU_DEP_1) | instskip(SKIP_1) | instid1(VALU_DEP_2)
	v_subrev_nc_u32_e32 v163, 28, v161
	v_sub_nc_u32_e32 v161, 29, v161
	v_lshlrev_b64 v[163:164], v163, v[6:7]
	s_delay_alu instid0(VALU_DEP_1)
	v_and_b32_e32 v6, 7, v163
; %bb.15:                               ;   in Loop: Header=BB396_10 Depth=1
	s_or_b32 exec_lo, exec_lo, s21
	v_lshlrev_b32_e32 v163, 24, v162
	s_delay_alu instid0(VALU_DEP_2) | instskip(SKIP_1) | instid1(VALU_DEP_3)
	v_lshlrev_b32_e32 v6, 20, v6
	v_lshl_add_u32 v161, v161, 23, 0x3c000000
	v_and_b32_e32 v163, 0x80000000, v163
	s_delay_alu instid0(VALU_DEP_1)
	v_or3_b32 v6, v6, v163, v161
.LBB396_16:                             ;   in Loop: Header=BB396_10 Depth=1
	s_or_b32 exec_lo, exec_lo, s20
.LBB396_17:                             ;   in Loop: Header=BB396_10 Depth=1
	s_delay_alu instid0(SALU_CYCLE_1)
	s_or_b32 exec_lo, exec_lo, s19
.LBB396_18:                             ;   in Loop: Header=BB396_10 Depth=1
	s_delay_alu instid0(SALU_CYCLE_1) | instskip(SKIP_2) | instid1(VALU_DEP_1)
	s_or_b32 exec_lo, exec_lo, s3
	s_waitcnt vmcnt(0) lgkmcnt(0)
	v_mul_f32_e32 v6, v160, v6
	v_and_b32_e32 v161, 0x7f800000, v6
	s_delay_alu instid0(VALU_DEP_1) | instskip(NEXT) | instid1(VALU_DEP_1)
	v_cmp_ne_u32_e64 s2, 0x7f800000, v161
                                        ; implicit-def: $vgpr161
	s_and_saveexec_b32 s3, s2
	s_delay_alu instid0(SALU_CYCLE_1)
	s_xor_b32 s2, exec_lo, s3
; %bb.19:                               ;   in Loop: Header=BB396_10 Depth=1
	v_bfe_u32 v161, v6, 16, 1
	s_delay_alu instid0(VALU_DEP_1)
	v_add3_u32 v161, v6, v161, 0x7fff
                                        ; implicit-def: $vgpr6
; %bb.20:                               ;   in Loop: Header=BB396_10 Depth=1
	s_and_not1_saveexec_b32 s3, s2
; %bb.21:                               ;   in Loop: Header=BB396_10 Depth=1
	v_and_b32_e32 v161, 0xffff, v6
	v_or_b32_e32 v163, 0x10000, v6
	s_delay_alu instid0(VALU_DEP_2) | instskip(NEXT) | instid1(VALU_DEP_1)
	v_cmp_eq_u32_e64 s2, 0, v161
	v_cndmask_b32_e64 v161, v163, v6, s2
; %bb.22:                               ;   in Loop: Header=BB396_10 Depth=1
	s_or_b32 exec_lo, exec_lo, s3
	v_lshrrev_b16 v163, 8, v162
	v_mov_b32_e32 v6, 0
	s_mov_b32 s3, exec_lo
	s_delay_alu instid0(VALU_DEP_2)
	v_cmpx_ne_u16_e64 0, v163
	s_cbranch_execz .LBB396_30
; %bb.23:                               ;   in Loop: Header=BB396_10 Depth=1
	v_bfrev_b32_e32 v6, 1
	s_mov_b32 s19, exec_lo
	v_cmpx_ne_u16_e64 0x80, v163
	s_cbranch_execz .LBB396_29
; %bb.24:                               ;   in Loop: Header=BB396_10 Depth=1
	v_and_b32_e32 v163, 0xffff, v163
	v_mov_b32_e32 v6, 0x7f800001
	s_mov_b32 s20, exec_lo
	s_delay_alu instid0(VALU_DEP_2) | instskip(NEXT) | instid1(VALU_DEP_1)
	v_and_b32_e32 v164, 0x7f, v163
	v_cmpx_ne_u32_e32 0x7f, v164
	s_cbranch_execz .LBB396_28
; %bb.25:                               ;   in Loop: Header=BB396_10 Depth=1
	v_and_b32_e32 v6, 7, v163
	v_lshrrev_b32_e32 v163, 3, v164
	s_mov_b32 s21, exec_lo
	v_cmpx_gt_u32_e32 8, v164
; %bb.26:                               ;   in Loop: Header=BB396_10 Depth=1
	s_delay_alu instid0(VALU_DEP_3) | instskip(NEXT) | instid1(VALU_DEP_1)
	v_clz_i32_u32_e32 v163, v6
	v_min_u32_e32 v163, 32, v163
	s_delay_alu instid0(VALU_DEP_1) | instskip(SKIP_1) | instid1(VALU_DEP_2)
	v_subrev_nc_u32_e32 v164, 28, v163
	v_sub_nc_u32_e32 v163, 29, v163
	v_lshlrev_b64 v[164:165], v164, v[6:7]
	s_delay_alu instid0(VALU_DEP_1)
	v_and_b32_e32 v6, 7, v164
; %bb.27:                               ;   in Loop: Header=BB396_10 Depth=1
	s_or_b32 exec_lo, exec_lo, s21
	v_lshlrev_b32_e32 v162, 16, v162
	s_delay_alu instid0(VALU_DEP_2) | instskip(SKIP_1) | instid1(VALU_DEP_3)
	v_lshlrev_b32_e32 v6, 20, v6
	v_lshl_add_u32 v163, v163, 23, 0x3c000000
	v_and_b32_e32 v162, 0x80000000, v162
	s_delay_alu instid0(VALU_DEP_1)
	v_or3_b32 v6, v6, v162, v163
.LBB396_28:                             ;   in Loop: Header=BB396_10 Depth=1
	s_or_b32 exec_lo, exec_lo, s20
.LBB396_29:                             ;   in Loop: Header=BB396_10 Depth=1
	s_delay_alu instid0(SALU_CYCLE_1)
	s_or_b32 exec_lo, exec_lo, s19
.LBB396_30:                             ;   in Loop: Header=BB396_10 Depth=1
	s_delay_alu instid0(SALU_CYCLE_1) | instskip(NEXT) | instid1(VALU_DEP_1)
	s_or_b32 exec_lo, exec_lo, s3
	v_mul_f32_e32 v6, v160, v6
	s_delay_alu instid0(VALU_DEP_1) | instskip(NEXT) | instid1(VALU_DEP_1)
	v_and_b32_e32 v162, 0x7f800000, v6
	v_cmp_ne_u32_e64 s2, 0x7f800000, v162
                                        ; implicit-def: $vgpr162
	s_delay_alu instid0(VALU_DEP_1) | instskip(NEXT) | instid1(SALU_CYCLE_1)
	s_and_saveexec_b32 s3, s2
	s_xor_b32 s2, exec_lo, s3
; %bb.31:                               ;   in Loop: Header=BB396_10 Depth=1
	v_bfe_u32 v162, v6, 16, 1
	s_delay_alu instid0(VALU_DEP_1)
	v_add3_u32 v162, v6, v162, 0x7fff
                                        ; implicit-def: $vgpr6
; %bb.32:                               ;   in Loop: Header=BB396_10 Depth=1
	s_and_not1_saveexec_b32 s3, s2
; %bb.33:                               ;   in Loop: Header=BB396_10 Depth=1
	v_and_b32_e32 v162, 0xffff, v6
	v_or_b32_e32 v163, 0x10000, v6
	s_delay_alu instid0(VALU_DEP_2) | instskip(NEXT) | instid1(VALU_DEP_1)
	v_cmp_eq_u32_e64 s2, 0, v162
	v_cndmask_b32_e64 v162, v163, v6, s2
; %bb.34:                               ;   in Loop: Header=BB396_10 Depth=1
	s_or_b32 exec_lo, exec_lo, s3
	flat_load_u16 v6, v[28:29] offset:8
	s_mov_b32 s3, exec_lo
	s_waitcnt vmcnt(0) lgkmcnt(0)
	v_and_b32_e32 v163, 0xff, v6
	v_and_b32_e32 v164, 0xffff, v6
	v_mov_b32_e32 v6, 0
	s_delay_alu instid0(VALU_DEP_3)
	v_cmpx_ne_u16_e64 0, v163
	s_cbranch_execz .LBB396_42
; %bb.35:                               ;   in Loop: Header=BB396_10 Depth=1
	s_delay_alu instid0(VALU_DEP_3) | instskip(NEXT) | instid1(VALU_DEP_1)
	v_and_b32_e32 v6, 0xff, v164
	v_cmp_ne_u16_e64 s2, 0x80, v6
	v_bfrev_b32_e32 v6, 1
	s_delay_alu instid0(VALU_DEP_2)
	s_and_saveexec_b32 s19, s2
	s_cbranch_execz .LBB396_41
; %bb.36:                               ;   in Loop: Header=BB396_10 Depth=1
	v_and_b32_e32 v165, 0x7f, v164
	v_mov_b32_e32 v6, 0x7f800001
	s_mov_b32 s20, exec_lo
	s_delay_alu instid0(VALU_DEP_2)
	v_cmpx_ne_u32_e32 0x7f, v165
	s_cbranch_execz .LBB396_40
; %bb.37:                               ;   in Loop: Header=BB396_10 Depth=1
	v_and_b32_e32 v6, 7, v164
	v_lshrrev_b32_e32 v163, 3, v165
	s_mov_b32 s21, exec_lo
	v_cmpx_gt_u32_e32 8, v165
; %bb.38:                               ;   in Loop: Header=BB396_10 Depth=1
	s_delay_alu instid0(VALU_DEP_3) | instskip(NEXT) | instid1(VALU_DEP_1)
	v_clz_i32_u32_e32 v163, v6
	v_min_u32_e32 v163, 32, v163
	s_delay_alu instid0(VALU_DEP_1) | instskip(SKIP_1) | instid1(VALU_DEP_2)
	v_subrev_nc_u32_e32 v165, 28, v163
	v_sub_nc_u32_e32 v163, 29, v163
	v_lshlrev_b64 v[165:166], v165, v[6:7]
	s_delay_alu instid0(VALU_DEP_1)
	v_and_b32_e32 v6, 7, v165
; %bb.39:                               ;   in Loop: Header=BB396_10 Depth=1
	s_or_b32 exec_lo, exec_lo, s21
	v_lshlrev_b32_e32 v165, 24, v164
	s_delay_alu instid0(VALU_DEP_2) | instskip(SKIP_1) | instid1(VALU_DEP_3)
	v_lshlrev_b32_e32 v6, 20, v6
	v_lshl_add_u32 v163, v163, 23, 0x3c000000
	v_and_b32_e32 v165, 0x80000000, v165
	s_delay_alu instid0(VALU_DEP_1)
	v_or3_b32 v6, v6, v165, v163
.LBB396_40:                             ;   in Loop: Header=BB396_10 Depth=1
	s_or_b32 exec_lo, exec_lo, s20
.LBB396_41:                             ;   in Loop: Header=BB396_10 Depth=1
	s_delay_alu instid0(SALU_CYCLE_1)
	s_or_b32 exec_lo, exec_lo, s19
.LBB396_42:                             ;   in Loop: Header=BB396_10 Depth=1
	s_delay_alu instid0(SALU_CYCLE_1) | instskip(NEXT) | instid1(VALU_DEP_1)
	s_or_b32 exec_lo, exec_lo, s3
	v_mul_f32_e32 v6, v160, v6
	s_delay_alu instid0(VALU_DEP_1) | instskip(NEXT) | instid1(VALU_DEP_1)
	v_and_b32_e32 v163, 0x7f800000, v6
	v_cmp_ne_u32_e64 s2, 0x7f800000, v163
                                        ; implicit-def: $vgpr163
	s_delay_alu instid0(VALU_DEP_1) | instskip(NEXT) | instid1(SALU_CYCLE_1)
	s_and_saveexec_b32 s3, s2
	s_xor_b32 s2, exec_lo, s3
; %bb.43:                               ;   in Loop: Header=BB396_10 Depth=1
	v_bfe_u32 v163, v6, 16, 1
	s_delay_alu instid0(VALU_DEP_1)
	v_add3_u32 v163, v6, v163, 0x7fff
                                        ; implicit-def: $vgpr6
; %bb.44:                               ;   in Loop: Header=BB396_10 Depth=1
	s_and_not1_saveexec_b32 s3, s2
; %bb.45:                               ;   in Loop: Header=BB396_10 Depth=1
	v_and_b32_e32 v163, 0xffff, v6
	v_or_b32_e32 v165, 0x10000, v6
	s_delay_alu instid0(VALU_DEP_2) | instskip(NEXT) | instid1(VALU_DEP_1)
	v_cmp_eq_u32_e64 s2, 0, v163
	v_cndmask_b32_e64 v163, v165, v6, s2
; %bb.46:                               ;   in Loop: Header=BB396_10 Depth=1
	s_or_b32 exec_lo, exec_lo, s3
	v_lshrrev_b16 v165, 8, v164
	v_mov_b32_e32 v6, 0
	s_mov_b32 s3, exec_lo
	s_delay_alu instid0(VALU_DEP_2)
	v_cmpx_ne_u16_e64 0, v165
	s_cbranch_execz .LBB396_54
; %bb.47:                               ;   in Loop: Header=BB396_10 Depth=1
	v_bfrev_b32_e32 v6, 1
	s_mov_b32 s19, exec_lo
	v_cmpx_ne_u16_e64 0x80, v165
	s_cbranch_execz .LBB396_53
; %bb.48:                               ;   in Loop: Header=BB396_10 Depth=1
	v_and_b32_e32 v165, 0xffff, v165
	v_mov_b32_e32 v6, 0x7f800001
	s_mov_b32 s20, exec_lo
	s_delay_alu instid0(VALU_DEP_2) | instskip(NEXT) | instid1(VALU_DEP_1)
	v_and_b32_e32 v166, 0x7f, v165
	v_cmpx_ne_u32_e32 0x7f, v166
	s_cbranch_execz .LBB396_52
; %bb.49:                               ;   in Loop: Header=BB396_10 Depth=1
	v_and_b32_e32 v6, 7, v165
	v_lshrrev_b32_e32 v165, 3, v166
	s_mov_b32 s21, exec_lo
	v_cmpx_gt_u32_e32 8, v166
; %bb.50:                               ;   in Loop: Header=BB396_10 Depth=1
	s_delay_alu instid0(VALU_DEP_3) | instskip(NEXT) | instid1(VALU_DEP_1)
	v_clz_i32_u32_e32 v165, v6
	v_min_u32_e32 v165, 32, v165
	s_delay_alu instid0(VALU_DEP_1) | instskip(SKIP_1) | instid1(VALU_DEP_2)
	v_subrev_nc_u32_e32 v166, 28, v165
	v_sub_nc_u32_e32 v165, 29, v165
	v_lshlrev_b64 v[166:167], v166, v[6:7]
	s_delay_alu instid0(VALU_DEP_1)
	v_and_b32_e32 v6, 7, v166
; %bb.51:                               ;   in Loop: Header=BB396_10 Depth=1
	s_or_b32 exec_lo, exec_lo, s21
	v_lshlrev_b32_e32 v164, 16, v164
	s_delay_alu instid0(VALU_DEP_2) | instskip(SKIP_1) | instid1(VALU_DEP_3)
	v_lshlrev_b32_e32 v6, 20, v6
	v_lshl_add_u32 v165, v165, 23, 0x3c000000
	v_and_b32_e32 v164, 0x80000000, v164
	s_delay_alu instid0(VALU_DEP_1)
	v_or3_b32 v6, v6, v164, v165
.LBB396_52:                             ;   in Loop: Header=BB396_10 Depth=1
	s_or_b32 exec_lo, exec_lo, s20
.LBB396_53:                             ;   in Loop: Header=BB396_10 Depth=1
	s_delay_alu instid0(SALU_CYCLE_1)
	s_or_b32 exec_lo, exec_lo, s19
.LBB396_54:                             ;   in Loop: Header=BB396_10 Depth=1
	s_delay_alu instid0(SALU_CYCLE_1) | instskip(NEXT) | instid1(VALU_DEP_1)
	s_or_b32 exec_lo, exec_lo, s3
	v_mul_f32_e32 v6, v160, v6
	s_delay_alu instid0(VALU_DEP_1) | instskip(NEXT) | instid1(VALU_DEP_1)
	v_and_b32_e32 v164, 0x7f800000, v6
	v_cmp_ne_u32_e64 s2, 0x7f800000, v164
                                        ; implicit-def: $vgpr164
	s_delay_alu instid0(VALU_DEP_1) | instskip(NEXT) | instid1(SALU_CYCLE_1)
	s_and_saveexec_b32 s3, s2
	s_xor_b32 s2, exec_lo, s3
; %bb.55:                               ;   in Loop: Header=BB396_10 Depth=1
	v_bfe_u32 v164, v6, 16, 1
	s_delay_alu instid0(VALU_DEP_1)
	v_add3_u32 v164, v6, v164, 0x7fff
                                        ; implicit-def: $vgpr6
; %bb.56:                               ;   in Loop: Header=BB396_10 Depth=1
	s_and_not1_saveexec_b32 s3, s2
; %bb.57:                               ;   in Loop: Header=BB396_10 Depth=1
	v_and_b32_e32 v164, 0xffff, v6
	v_or_b32_e32 v165, 0x10000, v6
	s_delay_alu instid0(VALU_DEP_2) | instskip(NEXT) | instid1(VALU_DEP_1)
	v_cmp_eq_u32_e64 s2, 0, v164
	v_cndmask_b32_e64 v164, v165, v6, s2
; %bb.58:                               ;   in Loop: Header=BB396_10 Depth=1
	s_or_b32 exec_lo, exec_lo, s3
	flat_load_u16 v6, v[28:29] offset:128
	s_mov_b32 s3, exec_lo
	s_waitcnt vmcnt(0) lgkmcnt(0)
	v_and_b32_e32 v165, 0xff, v6
	v_and_b32_e32 v166, 0xffff, v6
	v_mov_b32_e32 v6, 0
	s_delay_alu instid0(VALU_DEP_3)
	v_cmpx_ne_u16_e64 0, v165
	s_cbranch_execz .LBB396_66
; %bb.59:                               ;   in Loop: Header=BB396_10 Depth=1
	s_delay_alu instid0(VALU_DEP_3) | instskip(NEXT) | instid1(VALU_DEP_1)
	v_and_b32_e32 v6, 0xff, v166
	v_cmp_ne_u16_e64 s2, 0x80, v6
	v_bfrev_b32_e32 v6, 1
	s_delay_alu instid0(VALU_DEP_2)
	s_and_saveexec_b32 s19, s2
	s_cbranch_execz .LBB396_65
; %bb.60:                               ;   in Loop: Header=BB396_10 Depth=1
	v_and_b32_e32 v167, 0x7f, v166
	v_mov_b32_e32 v6, 0x7f800001
	s_mov_b32 s20, exec_lo
	s_delay_alu instid0(VALU_DEP_2)
	v_cmpx_ne_u32_e32 0x7f, v167
	s_cbranch_execz .LBB396_64
; %bb.61:                               ;   in Loop: Header=BB396_10 Depth=1
	v_and_b32_e32 v6, 7, v166
	v_lshrrev_b32_e32 v165, 3, v167
	s_mov_b32 s21, exec_lo
	v_cmpx_gt_u32_e32 8, v167
; %bb.62:                               ;   in Loop: Header=BB396_10 Depth=1
	s_delay_alu instid0(VALU_DEP_3) | instskip(NEXT) | instid1(VALU_DEP_1)
	v_clz_i32_u32_e32 v165, v6
	v_min_u32_e32 v165, 32, v165
	s_delay_alu instid0(VALU_DEP_1) | instskip(SKIP_1) | instid1(VALU_DEP_2)
	v_subrev_nc_u32_e32 v167, 28, v165
	v_sub_nc_u32_e32 v165, 29, v165
	v_lshlrev_b64 v[176:177], v167, v[6:7]
	s_delay_alu instid0(VALU_DEP_1)
	v_and_b32_e32 v6, 7, v176
; %bb.63:                               ;   in Loop: Header=BB396_10 Depth=1
	s_or_b32 exec_lo, exec_lo, s21
	v_lshlrev_b32_e32 v167, 24, v166
	s_delay_alu instid0(VALU_DEP_2) | instskip(SKIP_1) | instid1(VALU_DEP_3)
	v_lshlrev_b32_e32 v6, 20, v6
	v_lshl_add_u32 v165, v165, 23, 0x3c000000
	v_and_b32_e32 v167, 0x80000000, v167
	s_delay_alu instid0(VALU_DEP_1)
	v_or3_b32 v6, v6, v167, v165
.LBB396_64:                             ;   in Loop: Header=BB396_10 Depth=1
	s_or_b32 exec_lo, exec_lo, s20
.LBB396_65:                             ;   in Loop: Header=BB396_10 Depth=1
	s_delay_alu instid0(SALU_CYCLE_1)
	s_or_b32 exec_lo, exec_lo, s19
.LBB396_66:                             ;   in Loop: Header=BB396_10 Depth=1
	s_delay_alu instid0(SALU_CYCLE_1) | instskip(NEXT) | instid1(VALU_DEP_1)
	s_or_b32 exec_lo, exec_lo, s3
	v_mul_f32_e32 v6, v160, v6
	s_delay_alu instid0(VALU_DEP_1) | instskip(NEXT) | instid1(VALU_DEP_1)
	v_and_b32_e32 v165, 0x7f800000, v6
	v_cmp_ne_u32_e64 s2, 0x7f800000, v165
                                        ; implicit-def: $vgpr165
	s_delay_alu instid0(VALU_DEP_1) | instskip(NEXT) | instid1(SALU_CYCLE_1)
	s_and_saveexec_b32 s3, s2
	s_xor_b32 s2, exec_lo, s3
; %bb.67:                               ;   in Loop: Header=BB396_10 Depth=1
	v_bfe_u32 v165, v6, 16, 1
	s_delay_alu instid0(VALU_DEP_1)
	v_add3_u32 v165, v6, v165, 0x7fff
                                        ; implicit-def: $vgpr6
; %bb.68:                               ;   in Loop: Header=BB396_10 Depth=1
	s_and_not1_saveexec_b32 s3, s2
; %bb.69:                               ;   in Loop: Header=BB396_10 Depth=1
	v_and_b32_e32 v165, 0xffff, v6
	v_or_b32_e32 v167, 0x10000, v6
	s_delay_alu instid0(VALU_DEP_2) | instskip(NEXT) | instid1(VALU_DEP_1)
	v_cmp_eq_u32_e64 s2, 0, v165
	v_cndmask_b32_e64 v165, v167, v6, s2
; %bb.70:                               ;   in Loop: Header=BB396_10 Depth=1
	s_or_b32 exec_lo, exec_lo, s3
	v_lshrrev_b16 v167, 8, v166
	v_mov_b32_e32 v6, 0
	s_mov_b32 s3, exec_lo
	s_delay_alu instid0(VALU_DEP_2)
	v_cmpx_ne_u16_e64 0, v167
	s_cbranch_execz .LBB396_78
; %bb.71:                               ;   in Loop: Header=BB396_10 Depth=1
	v_bfrev_b32_e32 v6, 1
	s_mov_b32 s19, exec_lo
	v_cmpx_ne_u16_e64 0x80, v167
	s_cbranch_execz .LBB396_77
; %bb.72:                               ;   in Loop: Header=BB396_10 Depth=1
	v_and_b32_e32 v167, 0xffff, v167
	v_mov_b32_e32 v6, 0x7f800001
	s_mov_b32 s20, exec_lo
	s_delay_alu instid0(VALU_DEP_2) | instskip(NEXT) | instid1(VALU_DEP_1)
	v_and_b32_e32 v176, 0x7f, v167
	v_cmpx_ne_u32_e32 0x7f, v176
	s_cbranch_execz .LBB396_76
; %bb.73:                               ;   in Loop: Header=BB396_10 Depth=1
	v_and_b32_e32 v6, 7, v167
	v_lshrrev_b32_e32 v167, 3, v176
	s_mov_b32 s21, exec_lo
	v_cmpx_gt_u32_e32 8, v176
; %bb.74:                               ;   in Loop: Header=BB396_10 Depth=1
	s_delay_alu instid0(VALU_DEP_3) | instskip(NEXT) | instid1(VALU_DEP_1)
	v_clz_i32_u32_e32 v167, v6
	v_min_u32_e32 v167, 32, v167
	s_delay_alu instid0(VALU_DEP_1) | instskip(SKIP_1) | instid1(VALU_DEP_2)
	v_subrev_nc_u32_e32 v176, 28, v167
	v_sub_nc_u32_e32 v167, 29, v167
	v_lshlrev_b64 v[176:177], v176, v[6:7]
	s_delay_alu instid0(VALU_DEP_1)
	v_and_b32_e32 v6, 7, v176
; %bb.75:                               ;   in Loop: Header=BB396_10 Depth=1
	s_or_b32 exec_lo, exec_lo, s21
	v_lshlrev_b32_e32 v166, 16, v166
	s_delay_alu instid0(VALU_DEP_2) | instskip(SKIP_1) | instid1(VALU_DEP_3)
	v_lshlrev_b32_e32 v6, 20, v6
	v_lshl_add_u32 v167, v167, 23, 0x3c000000
	v_and_b32_e32 v166, 0x80000000, v166
	s_delay_alu instid0(VALU_DEP_1)
	v_or3_b32 v6, v6, v166, v167
.LBB396_76:                             ;   in Loop: Header=BB396_10 Depth=1
	s_or_b32 exec_lo, exec_lo, s20
.LBB396_77:                             ;   in Loop: Header=BB396_10 Depth=1
	s_delay_alu instid0(SALU_CYCLE_1)
	s_or_b32 exec_lo, exec_lo, s19
.LBB396_78:                             ;   in Loop: Header=BB396_10 Depth=1
	s_delay_alu instid0(SALU_CYCLE_1) | instskip(NEXT) | instid1(VALU_DEP_1)
	s_or_b32 exec_lo, exec_lo, s3
	v_mul_f32_e32 v6, v160, v6
	s_delay_alu instid0(VALU_DEP_1) | instskip(NEXT) | instid1(VALU_DEP_1)
	v_and_b32_e32 v166, 0x7f800000, v6
	v_cmp_ne_u32_e64 s2, 0x7f800000, v166
                                        ; implicit-def: $vgpr166
	s_delay_alu instid0(VALU_DEP_1) | instskip(NEXT) | instid1(SALU_CYCLE_1)
	s_and_saveexec_b32 s3, s2
	s_xor_b32 s2, exec_lo, s3
; %bb.79:                               ;   in Loop: Header=BB396_10 Depth=1
	v_bfe_u32 v166, v6, 16, 1
	s_delay_alu instid0(VALU_DEP_1)
	v_add3_u32 v166, v6, v166, 0x7fff
                                        ; implicit-def: $vgpr6
; %bb.80:                               ;   in Loop: Header=BB396_10 Depth=1
	s_and_not1_saveexec_b32 s3, s2
; %bb.81:                               ;   in Loop: Header=BB396_10 Depth=1
	v_and_b32_e32 v166, 0xffff, v6
	v_or_b32_e32 v167, 0x10000, v6
	s_delay_alu instid0(VALU_DEP_2) | instskip(NEXT) | instid1(VALU_DEP_1)
	v_cmp_eq_u32_e64 s2, 0, v166
	v_cndmask_b32_e64 v166, v167, v6, s2
; %bb.82:                               ;   in Loop: Header=BB396_10 Depth=1
	s_or_b32 exec_lo, exec_lo, s3
	flat_load_u16 v6, v[28:29] offset:136
	s_mov_b32 s3, exec_lo
	s_waitcnt vmcnt(0) lgkmcnt(0)
	v_and_b32_e32 v167, 0xff, v6
	v_and_b32_e32 v176, 0xffff, v6
	v_mov_b32_e32 v6, 0
	s_delay_alu instid0(VALU_DEP_3)
	v_cmpx_ne_u16_e64 0, v167
	s_cbranch_execz .LBB396_90
; %bb.83:                               ;   in Loop: Header=BB396_10 Depth=1
	s_delay_alu instid0(VALU_DEP_3) | instskip(NEXT) | instid1(VALU_DEP_1)
	v_and_b32_e32 v6, 0xff, v176
	v_cmp_ne_u16_e64 s2, 0x80, v6
	v_bfrev_b32_e32 v6, 1
	s_delay_alu instid0(VALU_DEP_2)
	s_and_saveexec_b32 s19, s2
	s_cbranch_execz .LBB396_89
; %bb.84:                               ;   in Loop: Header=BB396_10 Depth=1
	v_and_b32_e32 v177, 0x7f, v176
	v_mov_b32_e32 v6, 0x7f800001
	s_mov_b32 s20, exec_lo
	s_delay_alu instid0(VALU_DEP_2)
	v_cmpx_ne_u32_e32 0x7f, v177
	s_cbranch_execz .LBB396_88
; %bb.85:                               ;   in Loop: Header=BB396_10 Depth=1
	v_and_b32_e32 v6, 7, v176
	v_lshrrev_b32_e32 v167, 3, v177
	s_mov_b32 s21, exec_lo
	v_cmpx_gt_u32_e32 8, v177
; %bb.86:                               ;   in Loop: Header=BB396_10 Depth=1
	s_delay_alu instid0(VALU_DEP_3) | instskip(NEXT) | instid1(VALU_DEP_1)
	v_clz_i32_u32_e32 v167, v6
	v_min_u32_e32 v167, 32, v167
	s_delay_alu instid0(VALU_DEP_1) | instskip(SKIP_1) | instid1(VALU_DEP_2)
	v_subrev_nc_u32_e32 v177, 28, v167
	v_sub_nc_u32_e32 v167, 29, v167
	v_lshlrev_b64 v[177:178], v177, v[6:7]
	s_delay_alu instid0(VALU_DEP_1)
	v_and_b32_e32 v6, 7, v177
; %bb.87:                               ;   in Loop: Header=BB396_10 Depth=1
	s_or_b32 exec_lo, exec_lo, s21
	v_lshlrev_b32_e32 v177, 24, v176
	s_delay_alu instid0(VALU_DEP_2) | instskip(SKIP_1) | instid1(VALU_DEP_3)
	v_lshlrev_b32_e32 v6, 20, v6
	v_lshl_add_u32 v167, v167, 23, 0x3c000000
	v_and_b32_e32 v177, 0x80000000, v177
	s_delay_alu instid0(VALU_DEP_1)
	v_or3_b32 v6, v6, v177, v167
.LBB396_88:                             ;   in Loop: Header=BB396_10 Depth=1
	s_or_b32 exec_lo, exec_lo, s20
.LBB396_89:                             ;   in Loop: Header=BB396_10 Depth=1
	s_delay_alu instid0(SALU_CYCLE_1)
	s_or_b32 exec_lo, exec_lo, s19
.LBB396_90:                             ;   in Loop: Header=BB396_10 Depth=1
	s_delay_alu instid0(SALU_CYCLE_1) | instskip(NEXT) | instid1(VALU_DEP_1)
	s_or_b32 exec_lo, exec_lo, s3
	v_mul_f32_e32 v6, v160, v6
	s_delay_alu instid0(VALU_DEP_1) | instskip(NEXT) | instid1(VALU_DEP_1)
	v_and_b32_e32 v167, 0x7f800000, v6
	v_cmp_ne_u32_e64 s2, 0x7f800000, v167
                                        ; implicit-def: $vgpr167
	s_delay_alu instid0(VALU_DEP_1) | instskip(NEXT) | instid1(SALU_CYCLE_1)
	s_and_saveexec_b32 s3, s2
	s_xor_b32 s2, exec_lo, s3
; %bb.91:                               ;   in Loop: Header=BB396_10 Depth=1
	v_bfe_u32 v167, v6, 16, 1
	s_delay_alu instid0(VALU_DEP_1)
	v_add3_u32 v167, v6, v167, 0x7fff
                                        ; implicit-def: $vgpr6
; %bb.92:                               ;   in Loop: Header=BB396_10 Depth=1
	s_and_not1_saveexec_b32 s3, s2
; %bb.93:                               ;   in Loop: Header=BB396_10 Depth=1
	v_and_b32_e32 v167, 0xffff, v6
	v_or_b32_e32 v177, 0x10000, v6
	s_delay_alu instid0(VALU_DEP_2) | instskip(NEXT) | instid1(VALU_DEP_1)
	v_cmp_eq_u32_e64 s2, 0, v167
	v_cndmask_b32_e64 v167, v177, v6, s2
; %bb.94:                               ;   in Loop: Header=BB396_10 Depth=1
	s_or_b32 exec_lo, exec_lo, s3
	v_lshrrev_b16 v177, 8, v176
	v_mov_b32_e32 v6, 0
	s_mov_b32 s3, exec_lo
	s_delay_alu instid0(VALU_DEP_2)
	v_cmpx_ne_u16_e64 0, v177
	s_cbranch_execz .LBB396_102
; %bb.95:                               ;   in Loop: Header=BB396_10 Depth=1
	v_bfrev_b32_e32 v6, 1
	s_mov_b32 s19, exec_lo
	v_cmpx_ne_u16_e64 0x80, v177
	s_cbranch_execz .LBB396_101
; %bb.96:                               ;   in Loop: Header=BB396_10 Depth=1
	v_and_b32_e32 v177, 0xffff, v177
	v_mov_b32_e32 v6, 0x7f800001
	s_mov_b32 s20, exec_lo
	s_delay_alu instid0(VALU_DEP_2) | instskip(NEXT) | instid1(VALU_DEP_1)
	v_and_b32_e32 v178, 0x7f, v177
	v_cmpx_ne_u32_e32 0x7f, v178
	s_cbranch_execz .LBB396_100
; %bb.97:                               ;   in Loop: Header=BB396_10 Depth=1
	v_and_b32_e32 v6, 7, v177
	v_lshrrev_b32_e32 v177, 3, v178
	s_mov_b32 s21, exec_lo
	v_cmpx_gt_u32_e32 8, v178
; %bb.98:                               ;   in Loop: Header=BB396_10 Depth=1
	s_delay_alu instid0(VALU_DEP_3) | instskip(NEXT) | instid1(VALU_DEP_1)
	v_clz_i32_u32_e32 v177, v6
	v_min_u32_e32 v177, 32, v177
	s_delay_alu instid0(VALU_DEP_1) | instskip(SKIP_1) | instid1(VALU_DEP_2)
	v_subrev_nc_u32_e32 v178, 28, v177
	v_sub_nc_u32_e32 v177, 29, v177
	v_lshlrev_b64 v[178:179], v178, v[6:7]
	s_delay_alu instid0(VALU_DEP_1)
	v_and_b32_e32 v6, 7, v178
; %bb.99:                               ;   in Loop: Header=BB396_10 Depth=1
	s_or_b32 exec_lo, exec_lo, s21
	v_lshlrev_b32_e32 v176, 16, v176
	s_delay_alu instid0(VALU_DEP_2) | instskip(SKIP_1) | instid1(VALU_DEP_3)
	v_lshlrev_b32_e32 v6, 20, v6
	v_lshl_add_u32 v177, v177, 23, 0x3c000000
	v_and_b32_e32 v176, 0x80000000, v176
	s_delay_alu instid0(VALU_DEP_1)
	v_or3_b32 v6, v6, v176, v177
.LBB396_100:                            ;   in Loop: Header=BB396_10 Depth=1
	s_or_b32 exec_lo, exec_lo, s20
.LBB396_101:                            ;   in Loop: Header=BB396_10 Depth=1
	s_delay_alu instid0(SALU_CYCLE_1)
	s_or_b32 exec_lo, exec_lo, s19
.LBB396_102:                            ;   in Loop: Header=BB396_10 Depth=1
	s_delay_alu instid0(SALU_CYCLE_1) | instskip(NEXT) | instid1(VALU_DEP_1)
	s_or_b32 exec_lo, exec_lo, s3
	v_mul_f32_e32 v6, v160, v6
	s_delay_alu instid0(VALU_DEP_1) | instskip(NEXT) | instid1(VALU_DEP_1)
	v_and_b32_e32 v176, 0x7f800000, v6
	v_cmp_ne_u32_e64 s2, 0x7f800000, v176
                                        ; implicit-def: $vgpr176
	s_delay_alu instid0(VALU_DEP_1) | instskip(NEXT) | instid1(SALU_CYCLE_1)
	s_and_saveexec_b32 s3, s2
	s_xor_b32 s2, exec_lo, s3
; %bb.103:                              ;   in Loop: Header=BB396_10 Depth=1
	v_bfe_u32 v176, v6, 16, 1
	s_delay_alu instid0(VALU_DEP_1)
	v_add3_u32 v176, v6, v176, 0x7fff
                                        ; implicit-def: $vgpr6
; %bb.104:                              ;   in Loop: Header=BB396_10 Depth=1
	s_and_not1_saveexec_b32 s3, s2
; %bb.105:                              ;   in Loop: Header=BB396_10 Depth=1
	v_and_b32_e32 v176, 0xffff, v6
	v_or_b32_e32 v177, 0x10000, v6
	s_delay_alu instid0(VALU_DEP_2) | instskip(NEXT) | instid1(VALU_DEP_1)
	v_cmp_eq_u32_e64 s2, 0, v176
	v_cndmask_b32_e64 v176, v177, v6, s2
; %bb.106:                              ;   in Loop: Header=BB396_10 Depth=1
	s_or_b32 exec_lo, exec_lo, s3
	flat_load_u16 v6, v[28:29] offset:256
	s_mov_b32 s3, exec_lo
	s_waitcnt vmcnt(0) lgkmcnt(0)
	v_and_b32_e32 v177, 0xff, v6
	v_and_b32_e32 v178, 0xffff, v6
	v_mov_b32_e32 v6, 0
	s_delay_alu instid0(VALU_DEP_3)
	v_cmpx_ne_u16_e64 0, v177
	s_cbranch_execz .LBB396_114
; %bb.107:                              ;   in Loop: Header=BB396_10 Depth=1
	s_delay_alu instid0(VALU_DEP_3) | instskip(NEXT) | instid1(VALU_DEP_1)
	v_and_b32_e32 v6, 0xff, v178
	v_cmp_ne_u16_e64 s2, 0x80, v6
	v_bfrev_b32_e32 v6, 1
	s_delay_alu instid0(VALU_DEP_2)
	s_and_saveexec_b32 s19, s2
	s_cbranch_execz .LBB396_113
; %bb.108:                              ;   in Loop: Header=BB396_10 Depth=1
	v_and_b32_e32 v179, 0x7f, v178
	v_mov_b32_e32 v6, 0x7f800001
	s_mov_b32 s20, exec_lo
	s_delay_alu instid0(VALU_DEP_2)
	v_cmpx_ne_u32_e32 0x7f, v179
	s_cbranch_execz .LBB396_112
; %bb.109:                              ;   in Loop: Header=BB396_10 Depth=1
	v_and_b32_e32 v6, 7, v178
	v_lshrrev_b32_e32 v177, 3, v179
	s_mov_b32 s21, exec_lo
	v_cmpx_gt_u32_e32 8, v179
; %bb.110:                              ;   in Loop: Header=BB396_10 Depth=1
	s_delay_alu instid0(VALU_DEP_3) | instskip(NEXT) | instid1(VALU_DEP_1)
	v_clz_i32_u32_e32 v177, v6
	v_min_u32_e32 v177, 32, v177
	s_delay_alu instid0(VALU_DEP_1) | instskip(SKIP_1) | instid1(VALU_DEP_2)
	v_subrev_nc_u32_e32 v179, 28, v177
	v_sub_nc_u32_e32 v177, 29, v177
	v_lshlrev_b64 v[179:180], v179, v[6:7]
	s_delay_alu instid0(VALU_DEP_1)
	v_and_b32_e32 v6, 7, v179
; %bb.111:                              ;   in Loop: Header=BB396_10 Depth=1
	s_or_b32 exec_lo, exec_lo, s21
	v_lshlrev_b32_e32 v179, 24, v178
	s_delay_alu instid0(VALU_DEP_2) | instskip(SKIP_1) | instid1(VALU_DEP_3)
	v_lshlrev_b32_e32 v6, 20, v6
	v_lshl_add_u32 v177, v177, 23, 0x3c000000
	v_and_b32_e32 v179, 0x80000000, v179
	s_delay_alu instid0(VALU_DEP_1)
	v_or3_b32 v6, v6, v179, v177
.LBB396_112:                            ;   in Loop: Header=BB396_10 Depth=1
	s_or_b32 exec_lo, exec_lo, s20
.LBB396_113:                            ;   in Loop: Header=BB396_10 Depth=1
	s_delay_alu instid0(SALU_CYCLE_1)
	s_or_b32 exec_lo, exec_lo, s19
.LBB396_114:                            ;   in Loop: Header=BB396_10 Depth=1
	s_delay_alu instid0(SALU_CYCLE_1) | instskip(NEXT) | instid1(VALU_DEP_1)
	s_or_b32 exec_lo, exec_lo, s3
	v_mul_f32_e32 v6, v160, v6
	s_delay_alu instid0(VALU_DEP_1) | instskip(NEXT) | instid1(VALU_DEP_1)
	v_and_b32_e32 v177, 0x7f800000, v6
	v_cmp_ne_u32_e64 s2, 0x7f800000, v177
                                        ; implicit-def: $vgpr177
	s_delay_alu instid0(VALU_DEP_1) | instskip(NEXT) | instid1(SALU_CYCLE_1)
	s_and_saveexec_b32 s3, s2
	s_xor_b32 s2, exec_lo, s3
; %bb.115:                              ;   in Loop: Header=BB396_10 Depth=1
	v_bfe_u32 v177, v6, 16, 1
	s_delay_alu instid0(VALU_DEP_1)
	v_add3_u32 v177, v6, v177, 0x7fff
                                        ; implicit-def: $vgpr6
; %bb.116:                              ;   in Loop: Header=BB396_10 Depth=1
	s_and_not1_saveexec_b32 s3, s2
; %bb.117:                              ;   in Loop: Header=BB396_10 Depth=1
	v_and_b32_e32 v177, 0xffff, v6
	v_or_b32_e32 v179, 0x10000, v6
	s_delay_alu instid0(VALU_DEP_2) | instskip(NEXT) | instid1(VALU_DEP_1)
	v_cmp_eq_u32_e64 s2, 0, v177
	v_cndmask_b32_e64 v177, v179, v6, s2
; %bb.118:                              ;   in Loop: Header=BB396_10 Depth=1
	s_or_b32 exec_lo, exec_lo, s3
	v_lshrrev_b16 v179, 8, v178
	v_mov_b32_e32 v6, 0
	s_mov_b32 s3, exec_lo
	s_delay_alu instid0(VALU_DEP_2)
	v_cmpx_ne_u16_e64 0, v179
	s_cbranch_execz .LBB396_126
; %bb.119:                              ;   in Loop: Header=BB396_10 Depth=1
	v_bfrev_b32_e32 v6, 1
	s_mov_b32 s19, exec_lo
	v_cmpx_ne_u16_e64 0x80, v179
	s_cbranch_execz .LBB396_125
; %bb.120:                              ;   in Loop: Header=BB396_10 Depth=1
	v_and_b32_e32 v179, 0xffff, v179
	v_mov_b32_e32 v6, 0x7f800001
	s_mov_b32 s20, exec_lo
	s_delay_alu instid0(VALU_DEP_2) | instskip(NEXT) | instid1(VALU_DEP_1)
	v_and_b32_e32 v180, 0x7f, v179
	v_cmpx_ne_u32_e32 0x7f, v180
	s_cbranch_execz .LBB396_124
; %bb.121:                              ;   in Loop: Header=BB396_10 Depth=1
	v_and_b32_e32 v6, 7, v179
	v_lshrrev_b32_e32 v179, 3, v180
	s_mov_b32 s21, exec_lo
	v_cmpx_gt_u32_e32 8, v180
; %bb.122:                              ;   in Loop: Header=BB396_10 Depth=1
	s_delay_alu instid0(VALU_DEP_3) | instskip(NEXT) | instid1(VALU_DEP_1)
	v_clz_i32_u32_e32 v179, v6
	v_min_u32_e32 v179, 32, v179
	s_delay_alu instid0(VALU_DEP_1) | instskip(SKIP_1) | instid1(VALU_DEP_2)
	v_subrev_nc_u32_e32 v180, 28, v179
	v_sub_nc_u32_e32 v179, 29, v179
	v_lshlrev_b64 v[180:181], v180, v[6:7]
	s_delay_alu instid0(VALU_DEP_1)
	v_and_b32_e32 v6, 7, v180
; %bb.123:                              ;   in Loop: Header=BB396_10 Depth=1
	s_or_b32 exec_lo, exec_lo, s21
	v_lshlrev_b32_e32 v178, 16, v178
	s_delay_alu instid0(VALU_DEP_2) | instskip(SKIP_1) | instid1(VALU_DEP_3)
	v_lshlrev_b32_e32 v6, 20, v6
	v_lshl_add_u32 v179, v179, 23, 0x3c000000
	v_and_b32_e32 v178, 0x80000000, v178
	s_delay_alu instid0(VALU_DEP_1)
	v_or3_b32 v6, v6, v178, v179
.LBB396_124:                            ;   in Loop: Header=BB396_10 Depth=1
	s_or_b32 exec_lo, exec_lo, s20
.LBB396_125:                            ;   in Loop: Header=BB396_10 Depth=1
	s_delay_alu instid0(SALU_CYCLE_1)
	s_or_b32 exec_lo, exec_lo, s19
.LBB396_126:                            ;   in Loop: Header=BB396_10 Depth=1
	s_delay_alu instid0(SALU_CYCLE_1) | instskip(NEXT) | instid1(VALU_DEP_1)
	s_or_b32 exec_lo, exec_lo, s3
	v_mul_f32_e32 v6, v160, v6
	s_delay_alu instid0(VALU_DEP_1) | instskip(NEXT) | instid1(VALU_DEP_1)
	v_and_b32_e32 v178, 0x7f800000, v6
	v_cmp_ne_u32_e64 s2, 0x7f800000, v178
                                        ; implicit-def: $vgpr178
	s_delay_alu instid0(VALU_DEP_1) | instskip(NEXT) | instid1(SALU_CYCLE_1)
	s_and_saveexec_b32 s3, s2
	s_xor_b32 s2, exec_lo, s3
; %bb.127:                              ;   in Loop: Header=BB396_10 Depth=1
	v_bfe_u32 v178, v6, 16, 1
	s_delay_alu instid0(VALU_DEP_1)
	v_add3_u32 v178, v6, v178, 0x7fff
                                        ; implicit-def: $vgpr6
; %bb.128:                              ;   in Loop: Header=BB396_10 Depth=1
	s_and_not1_saveexec_b32 s3, s2
; %bb.129:                              ;   in Loop: Header=BB396_10 Depth=1
	v_and_b32_e32 v178, 0xffff, v6
	v_or_b32_e32 v179, 0x10000, v6
	s_delay_alu instid0(VALU_DEP_2) | instskip(NEXT) | instid1(VALU_DEP_1)
	v_cmp_eq_u32_e64 s2, 0, v178
	v_cndmask_b32_e64 v178, v179, v6, s2
; %bb.130:                              ;   in Loop: Header=BB396_10 Depth=1
	s_or_b32 exec_lo, exec_lo, s3
	flat_load_u16 v6, v[28:29] offset:264
	s_mov_b32 s3, exec_lo
	s_waitcnt vmcnt(0) lgkmcnt(0)
	v_and_b32_e32 v179, 0xff, v6
	v_and_b32_e32 v180, 0xffff, v6
	v_mov_b32_e32 v6, 0
	s_delay_alu instid0(VALU_DEP_3)
	v_cmpx_ne_u16_e64 0, v179
	s_cbranch_execz .LBB396_138
; %bb.131:                              ;   in Loop: Header=BB396_10 Depth=1
	s_delay_alu instid0(VALU_DEP_3) | instskip(NEXT) | instid1(VALU_DEP_1)
	v_and_b32_e32 v6, 0xff, v180
	v_cmp_ne_u16_e64 s2, 0x80, v6
	v_bfrev_b32_e32 v6, 1
	s_delay_alu instid0(VALU_DEP_2)
	s_and_saveexec_b32 s19, s2
	s_cbranch_execz .LBB396_137
; %bb.132:                              ;   in Loop: Header=BB396_10 Depth=1
	v_and_b32_e32 v181, 0x7f, v180
	v_mov_b32_e32 v6, 0x7f800001
	s_mov_b32 s20, exec_lo
	s_delay_alu instid0(VALU_DEP_2)
	v_cmpx_ne_u32_e32 0x7f, v181
	s_cbranch_execz .LBB396_136
; %bb.133:                              ;   in Loop: Header=BB396_10 Depth=1
	v_and_b32_e32 v6, 7, v180
	v_lshrrev_b32_e32 v179, 3, v181
	s_mov_b32 s21, exec_lo
	v_cmpx_gt_u32_e32 8, v181
; %bb.134:                              ;   in Loop: Header=BB396_10 Depth=1
	s_delay_alu instid0(VALU_DEP_3) | instskip(NEXT) | instid1(VALU_DEP_1)
	v_clz_i32_u32_e32 v179, v6
	v_min_u32_e32 v179, 32, v179
	s_delay_alu instid0(VALU_DEP_1) | instskip(SKIP_1) | instid1(VALU_DEP_2)
	v_subrev_nc_u32_e32 v181, 28, v179
	v_sub_nc_u32_e32 v179, 29, v179
	v_lshlrev_b64 v[181:182], v181, v[6:7]
	s_delay_alu instid0(VALU_DEP_1)
	v_and_b32_e32 v6, 7, v181
; %bb.135:                              ;   in Loop: Header=BB396_10 Depth=1
	s_or_b32 exec_lo, exec_lo, s21
	v_lshlrev_b32_e32 v181, 24, v180
	s_delay_alu instid0(VALU_DEP_2) | instskip(SKIP_1) | instid1(VALU_DEP_3)
	v_lshlrev_b32_e32 v6, 20, v6
	v_lshl_add_u32 v179, v179, 23, 0x3c000000
	v_and_b32_e32 v181, 0x80000000, v181
	s_delay_alu instid0(VALU_DEP_1)
	v_or3_b32 v6, v6, v181, v179
.LBB396_136:                            ;   in Loop: Header=BB396_10 Depth=1
	s_or_b32 exec_lo, exec_lo, s20
.LBB396_137:                            ;   in Loop: Header=BB396_10 Depth=1
	s_delay_alu instid0(SALU_CYCLE_1)
	s_or_b32 exec_lo, exec_lo, s19
.LBB396_138:                            ;   in Loop: Header=BB396_10 Depth=1
	s_delay_alu instid0(SALU_CYCLE_1) | instskip(NEXT) | instid1(VALU_DEP_1)
	s_or_b32 exec_lo, exec_lo, s3
	v_mul_f32_e32 v6, v160, v6
	s_delay_alu instid0(VALU_DEP_1) | instskip(NEXT) | instid1(VALU_DEP_1)
	v_and_b32_e32 v179, 0x7f800000, v6
	v_cmp_ne_u32_e64 s2, 0x7f800000, v179
                                        ; implicit-def: $vgpr179
	s_delay_alu instid0(VALU_DEP_1) | instskip(NEXT) | instid1(SALU_CYCLE_1)
	s_and_saveexec_b32 s3, s2
	s_xor_b32 s2, exec_lo, s3
; %bb.139:                              ;   in Loop: Header=BB396_10 Depth=1
	v_bfe_u32 v179, v6, 16, 1
	s_delay_alu instid0(VALU_DEP_1)
	v_add3_u32 v179, v6, v179, 0x7fff
                                        ; implicit-def: $vgpr6
; %bb.140:                              ;   in Loop: Header=BB396_10 Depth=1
	s_and_not1_saveexec_b32 s3, s2
; %bb.141:                              ;   in Loop: Header=BB396_10 Depth=1
	v_and_b32_e32 v179, 0xffff, v6
	v_or_b32_e32 v181, 0x10000, v6
	s_delay_alu instid0(VALU_DEP_2) | instskip(NEXT) | instid1(VALU_DEP_1)
	v_cmp_eq_u32_e64 s2, 0, v179
	v_cndmask_b32_e64 v179, v181, v6, s2
; %bb.142:                              ;   in Loop: Header=BB396_10 Depth=1
	s_or_b32 exec_lo, exec_lo, s3
	v_lshrrev_b16 v181, 8, v180
	v_mov_b32_e32 v6, 0
	s_mov_b32 s3, exec_lo
	s_delay_alu instid0(VALU_DEP_2)
	v_cmpx_ne_u16_e64 0, v181
	s_cbranch_execz .LBB396_150
; %bb.143:                              ;   in Loop: Header=BB396_10 Depth=1
	v_bfrev_b32_e32 v6, 1
	s_mov_b32 s19, exec_lo
	v_cmpx_ne_u16_e64 0x80, v181
	s_cbranch_execz .LBB396_149
; %bb.144:                              ;   in Loop: Header=BB396_10 Depth=1
	v_and_b32_e32 v181, 0xffff, v181
	v_mov_b32_e32 v6, 0x7f800001
	s_mov_b32 s20, exec_lo
	s_delay_alu instid0(VALU_DEP_2) | instskip(NEXT) | instid1(VALU_DEP_1)
	v_and_b32_e32 v182, 0x7f, v181
	v_cmpx_ne_u32_e32 0x7f, v182
	s_cbranch_execz .LBB396_148
; %bb.145:                              ;   in Loop: Header=BB396_10 Depth=1
	v_and_b32_e32 v6, 7, v181
	v_lshrrev_b32_e32 v181, 3, v182
	s_mov_b32 s21, exec_lo
	v_cmpx_gt_u32_e32 8, v182
; %bb.146:                              ;   in Loop: Header=BB396_10 Depth=1
	s_delay_alu instid0(VALU_DEP_3) | instskip(NEXT) | instid1(VALU_DEP_1)
	v_clz_i32_u32_e32 v181, v6
	v_min_u32_e32 v181, 32, v181
	s_delay_alu instid0(VALU_DEP_1) | instskip(SKIP_1) | instid1(VALU_DEP_2)
	v_subrev_nc_u32_e32 v182, 28, v181
	v_sub_nc_u32_e32 v181, 29, v181
	v_lshlrev_b64 v[182:183], v182, v[6:7]
	s_delay_alu instid0(VALU_DEP_1)
	v_and_b32_e32 v6, 7, v182
; %bb.147:                              ;   in Loop: Header=BB396_10 Depth=1
	s_or_b32 exec_lo, exec_lo, s21
	v_lshlrev_b32_e32 v180, 16, v180
	s_delay_alu instid0(VALU_DEP_2) | instskip(SKIP_1) | instid1(VALU_DEP_3)
	v_lshlrev_b32_e32 v6, 20, v6
	v_lshl_add_u32 v181, v181, 23, 0x3c000000
	v_and_b32_e32 v180, 0x80000000, v180
	s_delay_alu instid0(VALU_DEP_1)
	v_or3_b32 v6, v6, v180, v181
.LBB396_148:                            ;   in Loop: Header=BB396_10 Depth=1
	s_or_b32 exec_lo, exec_lo, s20
.LBB396_149:                            ;   in Loop: Header=BB396_10 Depth=1
	s_delay_alu instid0(SALU_CYCLE_1)
	s_or_b32 exec_lo, exec_lo, s19
.LBB396_150:                            ;   in Loop: Header=BB396_10 Depth=1
	s_delay_alu instid0(SALU_CYCLE_1) | instskip(NEXT) | instid1(VALU_DEP_1)
	s_or_b32 exec_lo, exec_lo, s3
	v_mul_f32_e32 v6, v160, v6
	s_delay_alu instid0(VALU_DEP_1) | instskip(NEXT) | instid1(VALU_DEP_1)
	v_and_b32_e32 v180, 0x7f800000, v6
	v_cmp_ne_u32_e64 s2, 0x7f800000, v180
                                        ; implicit-def: $vgpr180
	s_delay_alu instid0(VALU_DEP_1) | instskip(NEXT) | instid1(SALU_CYCLE_1)
	s_and_saveexec_b32 s3, s2
	s_xor_b32 s2, exec_lo, s3
; %bb.151:                              ;   in Loop: Header=BB396_10 Depth=1
	v_bfe_u32 v180, v6, 16, 1
	s_delay_alu instid0(VALU_DEP_1)
	v_add3_u32 v180, v6, v180, 0x7fff
                                        ; implicit-def: $vgpr6
; %bb.152:                              ;   in Loop: Header=BB396_10 Depth=1
	s_and_not1_saveexec_b32 s3, s2
; %bb.153:                              ;   in Loop: Header=BB396_10 Depth=1
	v_and_b32_e32 v180, 0xffff, v6
	v_or_b32_e32 v181, 0x10000, v6
	s_delay_alu instid0(VALU_DEP_2) | instskip(NEXT) | instid1(VALU_DEP_1)
	v_cmp_eq_u32_e64 s2, 0, v180
	v_cndmask_b32_e64 v180, v181, v6, s2
; %bb.154:                              ;   in Loop: Header=BB396_10 Depth=1
	s_or_b32 exec_lo, exec_lo, s3
	flat_load_u16 v6, v[28:29] offset:384
	s_mov_b32 s3, exec_lo
	s_waitcnt vmcnt(0) lgkmcnt(0)
	v_and_b32_e32 v181, 0xff, v6
	v_and_b32_e32 v182, 0xffff, v6
	v_mov_b32_e32 v6, 0
	s_delay_alu instid0(VALU_DEP_3)
	v_cmpx_ne_u16_e64 0, v181
	s_cbranch_execz .LBB396_162
; %bb.155:                              ;   in Loop: Header=BB396_10 Depth=1
	s_delay_alu instid0(VALU_DEP_3) | instskip(NEXT) | instid1(VALU_DEP_1)
	v_and_b32_e32 v6, 0xff, v182
	v_cmp_ne_u16_e64 s2, 0x80, v6
	v_bfrev_b32_e32 v6, 1
	s_delay_alu instid0(VALU_DEP_2)
	s_and_saveexec_b32 s19, s2
	s_cbranch_execz .LBB396_161
; %bb.156:                              ;   in Loop: Header=BB396_10 Depth=1
	v_and_b32_e32 v183, 0x7f, v182
	v_mov_b32_e32 v6, 0x7f800001
	s_mov_b32 s20, exec_lo
	s_delay_alu instid0(VALU_DEP_2)
	v_cmpx_ne_u32_e32 0x7f, v183
	s_cbranch_execz .LBB396_160
; %bb.157:                              ;   in Loop: Header=BB396_10 Depth=1
	v_and_b32_e32 v6, 7, v182
	v_lshrrev_b32_e32 v181, 3, v183
	s_mov_b32 s21, exec_lo
	v_cmpx_gt_u32_e32 8, v183
; %bb.158:                              ;   in Loop: Header=BB396_10 Depth=1
	s_delay_alu instid0(VALU_DEP_3) | instskip(NEXT) | instid1(VALU_DEP_1)
	v_clz_i32_u32_e32 v181, v6
	v_min_u32_e32 v181, 32, v181
	s_delay_alu instid0(VALU_DEP_1) | instskip(SKIP_1) | instid1(VALU_DEP_2)
	v_subrev_nc_u32_e32 v183, 28, v181
	v_sub_nc_u32_e32 v181, 29, v181
	v_lshlrev_b64 v[40:41], v183, v[6:7]
	s_delay_alu instid0(VALU_DEP_1)
	v_and_b32_e32 v6, 7, v40
; %bb.159:                              ;   in Loop: Header=BB396_10 Depth=1
	s_or_b32 exec_lo, exec_lo, s21
	v_lshlrev_b32_e32 v183, 24, v182
	s_delay_alu instid0(VALU_DEP_2) | instskip(SKIP_1) | instid1(VALU_DEP_3)
	v_lshlrev_b32_e32 v6, 20, v6
	v_lshl_add_u32 v181, v181, 23, 0x3c000000
	v_and_b32_e32 v183, 0x80000000, v183
	s_delay_alu instid0(VALU_DEP_1)
	v_or3_b32 v6, v6, v183, v181
.LBB396_160:                            ;   in Loop: Header=BB396_10 Depth=1
	s_or_b32 exec_lo, exec_lo, s20
.LBB396_161:                            ;   in Loop: Header=BB396_10 Depth=1
	s_delay_alu instid0(SALU_CYCLE_1)
	s_or_b32 exec_lo, exec_lo, s19
.LBB396_162:                            ;   in Loop: Header=BB396_10 Depth=1
	s_delay_alu instid0(SALU_CYCLE_1) | instskip(NEXT) | instid1(VALU_DEP_1)
	s_or_b32 exec_lo, exec_lo, s3
	v_mul_f32_e32 v6, v160, v6
	s_delay_alu instid0(VALU_DEP_1) | instskip(NEXT) | instid1(VALU_DEP_1)
	v_and_b32_e32 v181, 0x7f800000, v6
	v_cmp_ne_u32_e64 s2, 0x7f800000, v181
                                        ; implicit-def: $vgpr181
	s_delay_alu instid0(VALU_DEP_1) | instskip(NEXT) | instid1(SALU_CYCLE_1)
	s_and_saveexec_b32 s3, s2
	s_xor_b32 s2, exec_lo, s3
; %bb.163:                              ;   in Loop: Header=BB396_10 Depth=1
	v_bfe_u32 v181, v6, 16, 1
	s_delay_alu instid0(VALU_DEP_1)
	v_add3_u32 v181, v6, v181, 0x7fff
                                        ; implicit-def: $vgpr6
; %bb.164:                              ;   in Loop: Header=BB396_10 Depth=1
	s_and_not1_saveexec_b32 s3, s2
; %bb.165:                              ;   in Loop: Header=BB396_10 Depth=1
	v_and_b32_e32 v181, 0xffff, v6
	v_or_b32_e32 v183, 0x10000, v6
	s_delay_alu instid0(VALU_DEP_2) | instskip(NEXT) | instid1(VALU_DEP_1)
	v_cmp_eq_u32_e64 s2, 0, v181
	v_cndmask_b32_e64 v181, v183, v6, s2
; %bb.166:                              ;   in Loop: Header=BB396_10 Depth=1
	s_or_b32 exec_lo, exec_lo, s3
	v_lshrrev_b16 v183, 8, v182
	v_mov_b32_e32 v6, 0
	s_mov_b32 s3, exec_lo
	s_delay_alu instid0(VALU_DEP_2)
	v_cmpx_ne_u16_e64 0, v183
	s_cbranch_execz .LBB396_174
; %bb.167:                              ;   in Loop: Header=BB396_10 Depth=1
	v_bfrev_b32_e32 v6, 1
	s_mov_b32 s19, exec_lo
	v_cmpx_ne_u16_e64 0x80, v183
	s_cbranch_execz .LBB396_173
; %bb.168:                              ;   in Loop: Header=BB396_10 Depth=1
	v_and_b32_e32 v183, 0xffff, v183
	v_mov_b32_e32 v6, 0x7f800001
	s_mov_b32 s20, exec_lo
	s_delay_alu instid0(VALU_DEP_2) | instskip(NEXT) | instid1(VALU_DEP_1)
	v_and_b32_e32 v40, 0x7f, v183
	v_cmpx_ne_u32_e32 0x7f, v40
	s_cbranch_execz .LBB396_172
; %bb.169:                              ;   in Loop: Header=BB396_10 Depth=1
	v_and_b32_e32 v6, 7, v183
	v_lshrrev_b32_e32 v183, 3, v40
	s_mov_b32 s21, exec_lo
	v_cmpx_gt_u32_e32 8, v40
; %bb.170:                              ;   in Loop: Header=BB396_10 Depth=1
	s_delay_alu instid0(VALU_DEP_3) | instskip(NEXT) | instid1(VALU_DEP_1)
	v_clz_i32_u32_e32 v183, v6
	v_min_u32_e32 v183, 32, v183
	s_delay_alu instid0(VALU_DEP_1) | instskip(SKIP_1) | instid1(VALU_DEP_2)
	v_subrev_nc_u32_e32 v40, 28, v183
	v_sub_nc_u32_e32 v183, 29, v183
	v_lshlrev_b64 v[40:41], v40, v[6:7]
	s_delay_alu instid0(VALU_DEP_1)
	v_and_b32_e32 v6, 7, v40
; %bb.171:                              ;   in Loop: Header=BB396_10 Depth=1
	s_or_b32 exec_lo, exec_lo, s21
	v_lshlrev_b32_e32 v182, 16, v182
	s_delay_alu instid0(VALU_DEP_2) | instskip(SKIP_1) | instid1(VALU_DEP_3)
	v_lshlrev_b32_e32 v6, 20, v6
	v_lshl_add_u32 v183, v183, 23, 0x3c000000
	v_and_b32_e32 v182, 0x80000000, v182
	s_delay_alu instid0(VALU_DEP_1)
	v_or3_b32 v6, v6, v182, v183
.LBB396_172:                            ;   in Loop: Header=BB396_10 Depth=1
	s_or_b32 exec_lo, exec_lo, s20
.LBB396_173:                            ;   in Loop: Header=BB396_10 Depth=1
	s_delay_alu instid0(SALU_CYCLE_1)
	s_or_b32 exec_lo, exec_lo, s19
.LBB396_174:                            ;   in Loop: Header=BB396_10 Depth=1
	s_delay_alu instid0(SALU_CYCLE_1) | instskip(NEXT) | instid1(VALU_DEP_1)
	s_or_b32 exec_lo, exec_lo, s3
	v_mul_f32_e32 v6, v160, v6
	s_delay_alu instid0(VALU_DEP_1) | instskip(NEXT) | instid1(VALU_DEP_1)
	v_and_b32_e32 v182, 0x7f800000, v6
	v_cmp_ne_u32_e64 s2, 0x7f800000, v182
                                        ; implicit-def: $vgpr182
	s_delay_alu instid0(VALU_DEP_1) | instskip(NEXT) | instid1(SALU_CYCLE_1)
	s_and_saveexec_b32 s3, s2
	s_xor_b32 s2, exec_lo, s3
; %bb.175:                              ;   in Loop: Header=BB396_10 Depth=1
	v_bfe_u32 v182, v6, 16, 1
	s_delay_alu instid0(VALU_DEP_1)
	v_add3_u32 v182, v6, v182, 0x7fff
                                        ; implicit-def: $vgpr6
; %bb.176:                              ;   in Loop: Header=BB396_10 Depth=1
	s_and_not1_saveexec_b32 s3, s2
; %bb.177:                              ;   in Loop: Header=BB396_10 Depth=1
	v_and_b32_e32 v182, 0xffff, v6
	v_or_b32_e32 v183, 0x10000, v6
	s_delay_alu instid0(VALU_DEP_2) | instskip(NEXT) | instid1(VALU_DEP_1)
	v_cmp_eq_u32_e64 s2, 0, v182
	v_cndmask_b32_e64 v182, v183, v6, s2
; %bb.178:                              ;   in Loop: Header=BB396_10 Depth=1
	s_or_b32 exec_lo, exec_lo, s3
	flat_load_u16 v6, v[28:29] offset:392
	s_mov_b32 s3, exec_lo
	s_waitcnt vmcnt(0) lgkmcnt(0)
	v_and_b32_e32 v183, 0xff, v6
	v_and_b32_e32 v40, 0xffff, v6
	v_mov_b32_e32 v6, 0
	s_delay_alu instid0(VALU_DEP_3)
	v_cmpx_ne_u16_e64 0, v183
	s_cbranch_execz .LBB396_186
; %bb.179:                              ;   in Loop: Header=BB396_10 Depth=1
	s_delay_alu instid0(VALU_DEP_3) | instskip(NEXT) | instid1(VALU_DEP_1)
	v_and_b32_e32 v6, 0xff, v40
	v_cmp_ne_u16_e64 s2, 0x80, v6
	v_bfrev_b32_e32 v6, 1
	s_delay_alu instid0(VALU_DEP_2)
	s_and_saveexec_b32 s19, s2
	s_cbranch_execz .LBB396_185
; %bb.180:                              ;   in Loop: Header=BB396_10 Depth=1
	v_and_b32_e32 v41, 0x7f, v40
	v_mov_b32_e32 v6, 0x7f800001
	s_mov_b32 s20, exec_lo
	s_delay_alu instid0(VALU_DEP_2)
	v_cmpx_ne_u32_e32 0x7f, v41
	s_cbranch_execz .LBB396_184
; %bb.181:                              ;   in Loop: Header=BB396_10 Depth=1
	v_and_b32_e32 v6, 7, v40
	v_lshrrev_b32_e32 v183, 3, v41
	s_mov_b32 s21, exec_lo
	v_cmpx_gt_u32_e32 8, v41
; %bb.182:                              ;   in Loop: Header=BB396_10 Depth=1
	s_delay_alu instid0(VALU_DEP_3) | instskip(NEXT) | instid1(VALU_DEP_1)
	v_clz_i32_u32_e32 v183, v6
	v_min_u32_e32 v183, 32, v183
	s_delay_alu instid0(VALU_DEP_1) | instskip(SKIP_1) | instid1(VALU_DEP_2)
	v_subrev_nc_u32_e32 v41, 28, v183
	v_sub_nc_u32_e32 v183, 29, v183
	v_lshlrev_b64 v[41:42], v41, v[6:7]
	s_delay_alu instid0(VALU_DEP_1)
	v_and_b32_e32 v6, 7, v41
; %bb.183:                              ;   in Loop: Header=BB396_10 Depth=1
	s_or_b32 exec_lo, exec_lo, s21
	v_lshlrev_b32_e32 v41, 24, v40
	s_delay_alu instid0(VALU_DEP_2) | instskip(SKIP_1) | instid1(VALU_DEP_3)
	v_lshlrev_b32_e32 v6, 20, v6
	v_lshl_add_u32 v183, v183, 23, 0x3c000000
	v_and_b32_e32 v41, 0x80000000, v41
	s_delay_alu instid0(VALU_DEP_1)
	v_or3_b32 v6, v6, v41, v183
.LBB396_184:                            ;   in Loop: Header=BB396_10 Depth=1
	s_or_b32 exec_lo, exec_lo, s20
.LBB396_185:                            ;   in Loop: Header=BB396_10 Depth=1
	s_delay_alu instid0(SALU_CYCLE_1)
	s_or_b32 exec_lo, exec_lo, s19
.LBB396_186:                            ;   in Loop: Header=BB396_10 Depth=1
	s_delay_alu instid0(SALU_CYCLE_1) | instskip(NEXT) | instid1(VALU_DEP_1)
	s_or_b32 exec_lo, exec_lo, s3
	v_mul_f32_e32 v6, v160, v6
	s_delay_alu instid0(VALU_DEP_1) | instskip(NEXT) | instid1(VALU_DEP_1)
	v_and_b32_e32 v183, 0x7f800000, v6
	v_cmp_ne_u32_e64 s2, 0x7f800000, v183
                                        ; implicit-def: $vgpr183
	s_delay_alu instid0(VALU_DEP_1) | instskip(NEXT) | instid1(SALU_CYCLE_1)
	s_and_saveexec_b32 s3, s2
	s_xor_b32 s2, exec_lo, s3
; %bb.187:                              ;   in Loop: Header=BB396_10 Depth=1
	v_bfe_u32 v183, v6, 16, 1
	s_delay_alu instid0(VALU_DEP_1)
	v_add3_u32 v183, v6, v183, 0x7fff
                                        ; implicit-def: $vgpr6
; %bb.188:                              ;   in Loop: Header=BB396_10 Depth=1
	s_and_not1_saveexec_b32 s3, s2
; %bb.189:                              ;   in Loop: Header=BB396_10 Depth=1
	v_and_b32_e32 v183, 0xffff, v6
	v_or_b32_e32 v41, 0x10000, v6
	s_delay_alu instid0(VALU_DEP_2) | instskip(NEXT) | instid1(VALU_DEP_1)
	v_cmp_eq_u32_e64 s2, 0, v183
	v_cndmask_b32_e64 v183, v41, v6, s2
; %bb.190:                              ;   in Loop: Header=BB396_10 Depth=1
	s_or_b32 exec_lo, exec_lo, s3
	v_lshrrev_b16 v41, 8, v40
	v_mov_b32_e32 v6, 0
	s_mov_b32 s3, exec_lo
	s_delay_alu instid0(VALU_DEP_2)
	v_cmpx_ne_u16_e32 0, v41
	s_cbranch_execz .LBB396_198
; %bb.191:                              ;   in Loop: Header=BB396_10 Depth=1
	v_bfrev_b32_e32 v6, 1
	s_mov_b32 s19, exec_lo
	v_cmpx_ne_u16_e32 0x80, v41
	s_cbranch_execz .LBB396_197
; %bb.192:                              ;   in Loop: Header=BB396_10 Depth=1
	v_and_b32_e32 v41, 0xffff, v41
	v_mov_b32_e32 v6, 0x7f800001
	s_mov_b32 s20, exec_lo
	s_delay_alu instid0(VALU_DEP_2) | instskip(NEXT) | instid1(VALU_DEP_1)
	v_and_b32_e32 v42, 0x7f, v41
	v_cmpx_ne_u32_e32 0x7f, v42
	s_cbranch_execz .LBB396_196
; %bb.193:                              ;   in Loop: Header=BB396_10 Depth=1
	v_and_b32_e32 v6, 7, v41
	v_lshrrev_b32_e32 v41, 3, v42
	s_mov_b32 s21, exec_lo
	v_cmpx_gt_u32_e32 8, v42
; %bb.194:                              ;   in Loop: Header=BB396_10 Depth=1
	s_delay_alu instid0(VALU_DEP_3) | instskip(NEXT) | instid1(VALU_DEP_1)
	v_clz_i32_u32_e32 v41, v6
	v_min_u32_e32 v41, 32, v41
	s_delay_alu instid0(VALU_DEP_1) | instskip(SKIP_1) | instid1(VALU_DEP_2)
	v_subrev_nc_u32_e32 v42, 28, v41
	v_sub_nc_u32_e32 v41, 29, v41
	v_lshlrev_b64 v[42:43], v42, v[6:7]
	s_delay_alu instid0(VALU_DEP_1)
	v_and_b32_e32 v6, 7, v42
; %bb.195:                              ;   in Loop: Header=BB396_10 Depth=1
	s_or_b32 exec_lo, exec_lo, s21
	v_lshlrev_b32_e32 v40, 16, v40
	s_delay_alu instid0(VALU_DEP_2) | instskip(SKIP_1) | instid1(VALU_DEP_3)
	v_lshlrev_b32_e32 v6, 20, v6
	v_lshl_add_u32 v41, v41, 23, 0x3c000000
	v_and_b32_e32 v40, 0x80000000, v40
	s_delay_alu instid0(VALU_DEP_1)
	v_or3_b32 v6, v6, v40, v41
.LBB396_196:                            ;   in Loop: Header=BB396_10 Depth=1
	s_or_b32 exec_lo, exec_lo, s20
.LBB396_197:                            ;   in Loop: Header=BB396_10 Depth=1
	s_delay_alu instid0(SALU_CYCLE_1)
	s_or_b32 exec_lo, exec_lo, s19
.LBB396_198:                            ;   in Loop: Header=BB396_10 Depth=1
	s_delay_alu instid0(SALU_CYCLE_1) | instskip(NEXT) | instid1(VALU_DEP_1)
	s_or_b32 exec_lo, exec_lo, s3
	v_mul_f32_e32 v6, v160, v6
	s_delay_alu instid0(VALU_DEP_1) | instskip(NEXT) | instid1(VALU_DEP_1)
	v_and_b32_e32 v40, 0x7f800000, v6
	v_cmp_ne_u32_e64 s2, 0x7f800000, v40
                                        ; implicit-def: $vgpr40
	s_delay_alu instid0(VALU_DEP_1) | instskip(NEXT) | instid1(SALU_CYCLE_1)
	s_and_saveexec_b32 s3, s2
	s_xor_b32 s2, exec_lo, s3
; %bb.199:                              ;   in Loop: Header=BB396_10 Depth=1
	v_bfe_u32 v40, v6, 16, 1
	s_delay_alu instid0(VALU_DEP_1)
	v_add3_u32 v40, v6, v40, 0x7fff
                                        ; implicit-def: $vgpr6
; %bb.200:                              ;   in Loop: Header=BB396_10 Depth=1
	s_and_not1_saveexec_b32 s3, s2
; %bb.201:                              ;   in Loop: Header=BB396_10 Depth=1
	v_and_b32_e32 v40, 0xffff, v6
	v_or_b32_e32 v41, 0x10000, v6
	s_delay_alu instid0(VALU_DEP_2) | instskip(NEXT) | instid1(VALU_DEP_1)
	v_cmp_eq_u32_e64 s2, 0, v40
	v_cndmask_b32_e64 v40, v41, v6, s2
; %bb.202:                              ;   in Loop: Header=BB396_10 Depth=1
	s_or_b32 exec_lo, exec_lo, s3
	flat_load_u16 v6, v[28:29] offset:512
	s_mov_b32 s3, exec_lo
	s_waitcnt vmcnt(0) lgkmcnt(0)
	v_and_b32_e32 v41, 0xff, v6
	v_and_b32_e32 v42, 0xffff, v6
	v_mov_b32_e32 v6, 0
	s_delay_alu instid0(VALU_DEP_3)
	v_cmpx_ne_u16_e32 0, v41
	s_cbranch_execz .LBB396_210
; %bb.203:                              ;   in Loop: Header=BB396_10 Depth=1
	s_delay_alu instid0(VALU_DEP_3) | instskip(NEXT) | instid1(VALU_DEP_1)
	v_and_b32_e32 v6, 0xff, v42
	v_cmp_ne_u16_e64 s2, 0x80, v6
	v_bfrev_b32_e32 v6, 1
	s_delay_alu instid0(VALU_DEP_2)
	s_and_saveexec_b32 s19, s2
	s_cbranch_execz .LBB396_209
; %bb.204:                              ;   in Loop: Header=BB396_10 Depth=1
	v_and_b32_e32 v43, 0x7f, v42
	v_mov_b32_e32 v6, 0x7f800001
	s_mov_b32 s20, exec_lo
	s_delay_alu instid0(VALU_DEP_2)
	v_cmpx_ne_u32_e32 0x7f, v43
	s_cbranch_execz .LBB396_208
; %bb.205:                              ;   in Loop: Header=BB396_10 Depth=1
	v_and_b32_e32 v6, 7, v42
	v_lshrrev_b32_e32 v41, 3, v43
	s_mov_b32 s21, exec_lo
	v_cmpx_gt_u32_e32 8, v43
; %bb.206:                              ;   in Loop: Header=BB396_10 Depth=1
	s_delay_alu instid0(VALU_DEP_3) | instskip(NEXT) | instid1(VALU_DEP_1)
	v_clz_i32_u32_e32 v41, v6
	v_min_u32_e32 v41, 32, v41
	s_delay_alu instid0(VALU_DEP_1) | instskip(SKIP_1) | instid1(VALU_DEP_2)
	v_subrev_nc_u32_e32 v43, 28, v41
	v_sub_nc_u32_e32 v41, 29, v41
	v_lshlrev_b64 v[43:44], v43, v[6:7]
	s_delay_alu instid0(VALU_DEP_1)
	v_and_b32_e32 v6, 7, v43
; %bb.207:                              ;   in Loop: Header=BB396_10 Depth=1
	s_or_b32 exec_lo, exec_lo, s21
	v_lshlrev_b32_e32 v43, 24, v42
	s_delay_alu instid0(VALU_DEP_2) | instskip(SKIP_1) | instid1(VALU_DEP_3)
	v_lshlrev_b32_e32 v6, 20, v6
	v_lshl_add_u32 v41, v41, 23, 0x3c000000
	v_and_b32_e32 v43, 0x80000000, v43
	s_delay_alu instid0(VALU_DEP_1)
	v_or3_b32 v6, v6, v43, v41
.LBB396_208:                            ;   in Loop: Header=BB396_10 Depth=1
	s_or_b32 exec_lo, exec_lo, s20
.LBB396_209:                            ;   in Loop: Header=BB396_10 Depth=1
	s_delay_alu instid0(SALU_CYCLE_1)
	s_or_b32 exec_lo, exec_lo, s19
.LBB396_210:                            ;   in Loop: Header=BB396_10 Depth=1
	s_delay_alu instid0(SALU_CYCLE_1) | instskip(NEXT) | instid1(VALU_DEP_1)
	s_or_b32 exec_lo, exec_lo, s3
	v_mul_f32_e32 v6, v160, v6
	s_delay_alu instid0(VALU_DEP_1) | instskip(NEXT) | instid1(VALU_DEP_1)
	v_and_b32_e32 v41, 0x7f800000, v6
	v_cmp_ne_u32_e64 s2, 0x7f800000, v41
                                        ; implicit-def: $vgpr41
	s_delay_alu instid0(VALU_DEP_1) | instskip(NEXT) | instid1(SALU_CYCLE_1)
	s_and_saveexec_b32 s3, s2
	s_xor_b32 s2, exec_lo, s3
; %bb.211:                              ;   in Loop: Header=BB396_10 Depth=1
	v_bfe_u32 v41, v6, 16, 1
	s_delay_alu instid0(VALU_DEP_1)
	v_add3_u32 v41, v6, v41, 0x7fff
                                        ; implicit-def: $vgpr6
; %bb.212:                              ;   in Loop: Header=BB396_10 Depth=1
	s_and_not1_saveexec_b32 s3, s2
; %bb.213:                              ;   in Loop: Header=BB396_10 Depth=1
	v_and_b32_e32 v41, 0xffff, v6
	v_or_b32_e32 v43, 0x10000, v6
	s_delay_alu instid0(VALU_DEP_2) | instskip(NEXT) | instid1(VALU_DEP_1)
	v_cmp_eq_u32_e64 s2, 0, v41
	v_cndmask_b32_e64 v41, v43, v6, s2
; %bb.214:                              ;   in Loop: Header=BB396_10 Depth=1
	s_or_b32 exec_lo, exec_lo, s3
	v_lshrrev_b16 v43, 8, v42
	v_mov_b32_e32 v6, 0
	s_mov_b32 s3, exec_lo
	s_delay_alu instid0(VALU_DEP_2)
	v_cmpx_ne_u16_e32 0, v43
	s_cbranch_execz .LBB396_222
; %bb.215:                              ;   in Loop: Header=BB396_10 Depth=1
	v_bfrev_b32_e32 v6, 1
	s_mov_b32 s19, exec_lo
	v_cmpx_ne_u16_e32 0x80, v43
	s_cbranch_execz .LBB396_221
; %bb.216:                              ;   in Loop: Header=BB396_10 Depth=1
	v_and_b32_e32 v43, 0xffff, v43
	v_mov_b32_e32 v6, 0x7f800001
	s_mov_b32 s20, exec_lo
	s_delay_alu instid0(VALU_DEP_2) | instskip(NEXT) | instid1(VALU_DEP_1)
	v_and_b32_e32 v44, 0x7f, v43
	v_cmpx_ne_u32_e32 0x7f, v44
	s_cbranch_execz .LBB396_220
; %bb.217:                              ;   in Loop: Header=BB396_10 Depth=1
	v_and_b32_e32 v6, 7, v43
	v_lshrrev_b32_e32 v43, 3, v44
	s_mov_b32 s21, exec_lo
	v_cmpx_gt_u32_e32 8, v44
; %bb.218:                              ;   in Loop: Header=BB396_10 Depth=1
	s_delay_alu instid0(VALU_DEP_3) | instskip(NEXT) | instid1(VALU_DEP_1)
	v_clz_i32_u32_e32 v43, v6
	v_min_u32_e32 v43, 32, v43
	s_delay_alu instid0(VALU_DEP_1) | instskip(SKIP_1) | instid1(VALU_DEP_2)
	v_subrev_nc_u32_e32 v44, 28, v43
	v_sub_nc_u32_e32 v43, 29, v43
	v_lshlrev_b64 v[44:45], v44, v[6:7]
	s_delay_alu instid0(VALU_DEP_1)
	v_and_b32_e32 v6, 7, v44
; %bb.219:                              ;   in Loop: Header=BB396_10 Depth=1
	s_or_b32 exec_lo, exec_lo, s21
	v_lshlrev_b32_e32 v42, 16, v42
	s_delay_alu instid0(VALU_DEP_2) | instskip(SKIP_1) | instid1(VALU_DEP_3)
	v_lshlrev_b32_e32 v6, 20, v6
	v_lshl_add_u32 v43, v43, 23, 0x3c000000
	v_and_b32_e32 v42, 0x80000000, v42
	s_delay_alu instid0(VALU_DEP_1)
	v_or3_b32 v6, v6, v42, v43
.LBB396_220:                            ;   in Loop: Header=BB396_10 Depth=1
	s_or_b32 exec_lo, exec_lo, s20
.LBB396_221:                            ;   in Loop: Header=BB396_10 Depth=1
	s_delay_alu instid0(SALU_CYCLE_1)
	s_or_b32 exec_lo, exec_lo, s19
.LBB396_222:                            ;   in Loop: Header=BB396_10 Depth=1
	s_delay_alu instid0(SALU_CYCLE_1) | instskip(NEXT) | instid1(VALU_DEP_1)
	s_or_b32 exec_lo, exec_lo, s3
	v_mul_f32_e32 v6, v160, v6
	s_delay_alu instid0(VALU_DEP_1) | instskip(NEXT) | instid1(VALU_DEP_1)
	v_and_b32_e32 v42, 0x7f800000, v6
	v_cmp_ne_u32_e64 s2, 0x7f800000, v42
                                        ; implicit-def: $vgpr42
	s_delay_alu instid0(VALU_DEP_1) | instskip(NEXT) | instid1(SALU_CYCLE_1)
	s_and_saveexec_b32 s3, s2
	s_xor_b32 s2, exec_lo, s3
; %bb.223:                              ;   in Loop: Header=BB396_10 Depth=1
	v_bfe_u32 v42, v6, 16, 1
	s_delay_alu instid0(VALU_DEP_1)
	v_add3_u32 v42, v6, v42, 0x7fff
                                        ; implicit-def: $vgpr6
; %bb.224:                              ;   in Loop: Header=BB396_10 Depth=1
	s_and_not1_saveexec_b32 s3, s2
; %bb.225:                              ;   in Loop: Header=BB396_10 Depth=1
	v_and_b32_e32 v42, 0xffff, v6
	v_or_b32_e32 v43, 0x10000, v6
	s_delay_alu instid0(VALU_DEP_2) | instskip(NEXT) | instid1(VALU_DEP_1)
	v_cmp_eq_u32_e64 s2, 0, v42
	v_cndmask_b32_e64 v42, v43, v6, s2
; %bb.226:                              ;   in Loop: Header=BB396_10 Depth=1
	s_or_b32 exec_lo, exec_lo, s3
	flat_load_u16 v6, v[28:29] offset:520
	s_mov_b32 s3, exec_lo
	s_waitcnt vmcnt(0) lgkmcnt(0)
	v_and_b32_e32 v43, 0xff, v6
	v_and_b32_e32 v44, 0xffff, v6
	v_mov_b32_e32 v6, 0
	s_delay_alu instid0(VALU_DEP_3)
	v_cmpx_ne_u16_e32 0, v43
	s_cbranch_execz .LBB396_234
; %bb.227:                              ;   in Loop: Header=BB396_10 Depth=1
	s_delay_alu instid0(VALU_DEP_3) | instskip(NEXT) | instid1(VALU_DEP_1)
	v_and_b32_e32 v6, 0xff, v44
	v_cmp_ne_u16_e64 s2, 0x80, v6
	v_bfrev_b32_e32 v6, 1
	s_delay_alu instid0(VALU_DEP_2)
	s_and_saveexec_b32 s19, s2
	s_cbranch_execz .LBB396_233
; %bb.228:                              ;   in Loop: Header=BB396_10 Depth=1
	v_and_b32_e32 v45, 0x7f, v44
	v_mov_b32_e32 v6, 0x7f800001
	s_mov_b32 s20, exec_lo
	s_delay_alu instid0(VALU_DEP_2)
	v_cmpx_ne_u32_e32 0x7f, v45
	s_cbranch_execz .LBB396_232
; %bb.229:                              ;   in Loop: Header=BB396_10 Depth=1
	v_and_b32_e32 v6, 7, v44
	v_lshrrev_b32_e32 v43, 3, v45
	s_mov_b32 s21, exec_lo
	v_cmpx_gt_u32_e32 8, v45
; %bb.230:                              ;   in Loop: Header=BB396_10 Depth=1
	s_delay_alu instid0(VALU_DEP_3) | instskip(NEXT) | instid1(VALU_DEP_1)
	v_clz_i32_u32_e32 v43, v6
	v_min_u32_e32 v43, 32, v43
	s_delay_alu instid0(VALU_DEP_1) | instskip(SKIP_1) | instid1(VALU_DEP_2)
	v_subrev_nc_u32_e32 v45, 28, v43
	v_sub_nc_u32_e32 v43, 29, v43
	v_lshlrev_b64 v[45:46], v45, v[6:7]
	s_delay_alu instid0(VALU_DEP_1)
	v_and_b32_e32 v6, 7, v45
; %bb.231:                              ;   in Loop: Header=BB396_10 Depth=1
	s_or_b32 exec_lo, exec_lo, s21
	v_lshlrev_b32_e32 v45, 24, v44
	s_delay_alu instid0(VALU_DEP_2) | instskip(SKIP_1) | instid1(VALU_DEP_3)
	v_lshlrev_b32_e32 v6, 20, v6
	v_lshl_add_u32 v43, v43, 23, 0x3c000000
	v_and_b32_e32 v45, 0x80000000, v45
	s_delay_alu instid0(VALU_DEP_1)
	v_or3_b32 v6, v6, v45, v43
.LBB396_232:                            ;   in Loop: Header=BB396_10 Depth=1
	s_or_b32 exec_lo, exec_lo, s20
.LBB396_233:                            ;   in Loop: Header=BB396_10 Depth=1
	s_delay_alu instid0(SALU_CYCLE_1)
	s_or_b32 exec_lo, exec_lo, s19
.LBB396_234:                            ;   in Loop: Header=BB396_10 Depth=1
	s_delay_alu instid0(SALU_CYCLE_1) | instskip(NEXT) | instid1(VALU_DEP_1)
	s_or_b32 exec_lo, exec_lo, s3
	v_mul_f32_e32 v6, v160, v6
	s_delay_alu instid0(VALU_DEP_1) | instskip(NEXT) | instid1(VALU_DEP_1)
	v_and_b32_e32 v43, 0x7f800000, v6
	v_cmp_ne_u32_e64 s2, 0x7f800000, v43
                                        ; implicit-def: $vgpr43
	s_delay_alu instid0(VALU_DEP_1) | instskip(NEXT) | instid1(SALU_CYCLE_1)
	s_and_saveexec_b32 s3, s2
	s_xor_b32 s2, exec_lo, s3
; %bb.235:                              ;   in Loop: Header=BB396_10 Depth=1
	v_bfe_u32 v43, v6, 16, 1
	s_delay_alu instid0(VALU_DEP_1)
	v_add3_u32 v43, v6, v43, 0x7fff
                                        ; implicit-def: $vgpr6
; %bb.236:                              ;   in Loop: Header=BB396_10 Depth=1
	s_and_not1_saveexec_b32 s3, s2
; %bb.237:                              ;   in Loop: Header=BB396_10 Depth=1
	v_and_b32_e32 v43, 0xffff, v6
	v_or_b32_e32 v45, 0x10000, v6
	s_delay_alu instid0(VALU_DEP_2) | instskip(NEXT) | instid1(VALU_DEP_1)
	v_cmp_eq_u32_e64 s2, 0, v43
	v_cndmask_b32_e64 v43, v45, v6, s2
; %bb.238:                              ;   in Loop: Header=BB396_10 Depth=1
	s_or_b32 exec_lo, exec_lo, s3
	v_lshrrev_b16 v45, 8, v44
	v_mov_b32_e32 v6, 0
	s_mov_b32 s3, exec_lo
	s_delay_alu instid0(VALU_DEP_2)
	v_cmpx_ne_u16_e32 0, v45
	s_cbranch_execz .LBB396_246
; %bb.239:                              ;   in Loop: Header=BB396_10 Depth=1
	v_bfrev_b32_e32 v6, 1
	s_mov_b32 s19, exec_lo
	v_cmpx_ne_u16_e32 0x80, v45
	s_cbranch_execz .LBB396_245
; %bb.240:                              ;   in Loop: Header=BB396_10 Depth=1
	v_and_b32_e32 v45, 0xffff, v45
	v_mov_b32_e32 v6, 0x7f800001
	s_mov_b32 s20, exec_lo
	s_delay_alu instid0(VALU_DEP_2) | instskip(NEXT) | instid1(VALU_DEP_1)
	v_and_b32_e32 v46, 0x7f, v45
	v_cmpx_ne_u32_e32 0x7f, v46
	s_cbranch_execz .LBB396_244
; %bb.241:                              ;   in Loop: Header=BB396_10 Depth=1
	v_and_b32_e32 v6, 7, v45
	v_lshrrev_b32_e32 v45, 3, v46
	s_mov_b32 s21, exec_lo
	v_cmpx_gt_u32_e32 8, v46
; %bb.242:                              ;   in Loop: Header=BB396_10 Depth=1
	s_delay_alu instid0(VALU_DEP_3) | instskip(NEXT) | instid1(VALU_DEP_1)
	v_clz_i32_u32_e32 v45, v6
	v_min_u32_e32 v45, 32, v45
	s_delay_alu instid0(VALU_DEP_1) | instskip(SKIP_1) | instid1(VALU_DEP_2)
	v_subrev_nc_u32_e32 v46, 28, v45
	v_sub_nc_u32_e32 v45, 29, v45
	v_lshlrev_b64 v[46:47], v46, v[6:7]
	s_delay_alu instid0(VALU_DEP_1)
	v_and_b32_e32 v6, 7, v46
; %bb.243:                              ;   in Loop: Header=BB396_10 Depth=1
	s_or_b32 exec_lo, exec_lo, s21
	v_lshlrev_b32_e32 v44, 16, v44
	s_delay_alu instid0(VALU_DEP_2) | instskip(SKIP_1) | instid1(VALU_DEP_3)
	v_lshlrev_b32_e32 v6, 20, v6
	v_lshl_add_u32 v45, v45, 23, 0x3c000000
	v_and_b32_e32 v44, 0x80000000, v44
	s_delay_alu instid0(VALU_DEP_1)
	v_or3_b32 v6, v6, v44, v45
.LBB396_244:                            ;   in Loop: Header=BB396_10 Depth=1
	s_or_b32 exec_lo, exec_lo, s20
.LBB396_245:                            ;   in Loop: Header=BB396_10 Depth=1
	s_delay_alu instid0(SALU_CYCLE_1)
	s_or_b32 exec_lo, exec_lo, s19
.LBB396_246:                            ;   in Loop: Header=BB396_10 Depth=1
	s_delay_alu instid0(SALU_CYCLE_1) | instskip(NEXT) | instid1(VALU_DEP_1)
	s_or_b32 exec_lo, exec_lo, s3
	v_mul_f32_e32 v6, v160, v6
	s_delay_alu instid0(VALU_DEP_1) | instskip(NEXT) | instid1(VALU_DEP_1)
	v_and_b32_e32 v44, 0x7f800000, v6
	v_cmp_ne_u32_e64 s2, 0x7f800000, v44
                                        ; implicit-def: $vgpr44
	s_delay_alu instid0(VALU_DEP_1) | instskip(NEXT) | instid1(SALU_CYCLE_1)
	s_and_saveexec_b32 s3, s2
	s_xor_b32 s2, exec_lo, s3
; %bb.247:                              ;   in Loop: Header=BB396_10 Depth=1
	v_bfe_u32 v44, v6, 16, 1
	s_delay_alu instid0(VALU_DEP_1)
	v_add3_u32 v44, v6, v44, 0x7fff
                                        ; implicit-def: $vgpr6
; %bb.248:                              ;   in Loop: Header=BB396_10 Depth=1
	s_and_not1_saveexec_b32 s3, s2
; %bb.249:                              ;   in Loop: Header=BB396_10 Depth=1
	v_and_b32_e32 v44, 0xffff, v6
	v_or_b32_e32 v45, 0x10000, v6
	s_delay_alu instid0(VALU_DEP_2) | instskip(NEXT) | instid1(VALU_DEP_1)
	v_cmp_eq_u32_e64 s2, 0, v44
	v_cndmask_b32_e64 v44, v45, v6, s2
; %bb.250:                              ;   in Loop: Header=BB396_10 Depth=1
	s_or_b32 exec_lo, exec_lo, s3
	flat_load_u16 v6, v[28:29] offset:640
	s_mov_b32 s3, exec_lo
	s_waitcnt vmcnt(0) lgkmcnt(0)
	v_and_b32_e32 v45, 0xff, v6
	v_and_b32_e32 v46, 0xffff, v6
	v_mov_b32_e32 v6, 0
	s_delay_alu instid0(VALU_DEP_3)
	v_cmpx_ne_u16_e32 0, v45
	s_cbranch_execz .LBB396_258
; %bb.251:                              ;   in Loop: Header=BB396_10 Depth=1
	s_delay_alu instid0(VALU_DEP_3) | instskip(NEXT) | instid1(VALU_DEP_1)
	v_and_b32_e32 v6, 0xff, v46
	v_cmp_ne_u16_e64 s2, 0x80, v6
	v_bfrev_b32_e32 v6, 1
	s_delay_alu instid0(VALU_DEP_2)
	s_and_saveexec_b32 s19, s2
	s_cbranch_execz .LBB396_257
; %bb.252:                              ;   in Loop: Header=BB396_10 Depth=1
	v_and_b32_e32 v47, 0x7f, v46
	v_mov_b32_e32 v6, 0x7f800001
	s_mov_b32 s20, exec_lo
	s_delay_alu instid0(VALU_DEP_2)
	v_cmpx_ne_u32_e32 0x7f, v47
	s_cbranch_execz .LBB396_256
; %bb.253:                              ;   in Loop: Header=BB396_10 Depth=1
	v_and_b32_e32 v6, 7, v46
	v_lshrrev_b32_e32 v45, 3, v47
	s_mov_b32 s21, exec_lo
	v_cmpx_gt_u32_e32 8, v47
; %bb.254:                              ;   in Loop: Header=BB396_10 Depth=1
	s_delay_alu instid0(VALU_DEP_3) | instskip(NEXT) | instid1(VALU_DEP_1)
	v_clz_i32_u32_e32 v45, v6
	v_min_u32_e32 v45, 32, v45
	s_delay_alu instid0(VALU_DEP_1) | instskip(SKIP_1) | instid1(VALU_DEP_2)
	v_subrev_nc_u32_e32 v47, 28, v45
	v_sub_nc_u32_e32 v45, 29, v45
	v_lshlrev_b64 v[56:57], v47, v[6:7]
	s_delay_alu instid0(VALU_DEP_1)
	v_and_b32_e32 v6, 7, v56
; %bb.255:                              ;   in Loop: Header=BB396_10 Depth=1
	s_or_b32 exec_lo, exec_lo, s21
	v_lshlrev_b32_e32 v47, 24, v46
	s_delay_alu instid0(VALU_DEP_2) | instskip(SKIP_1) | instid1(VALU_DEP_3)
	v_lshlrev_b32_e32 v6, 20, v6
	v_lshl_add_u32 v45, v45, 23, 0x3c000000
	v_and_b32_e32 v47, 0x80000000, v47
	s_delay_alu instid0(VALU_DEP_1)
	v_or3_b32 v6, v6, v47, v45
.LBB396_256:                            ;   in Loop: Header=BB396_10 Depth=1
	s_or_b32 exec_lo, exec_lo, s20
.LBB396_257:                            ;   in Loop: Header=BB396_10 Depth=1
	s_delay_alu instid0(SALU_CYCLE_1)
	s_or_b32 exec_lo, exec_lo, s19
.LBB396_258:                            ;   in Loop: Header=BB396_10 Depth=1
	s_delay_alu instid0(SALU_CYCLE_1) | instskip(NEXT) | instid1(VALU_DEP_1)
	s_or_b32 exec_lo, exec_lo, s3
	v_mul_f32_e32 v6, v160, v6
	s_delay_alu instid0(VALU_DEP_1) | instskip(NEXT) | instid1(VALU_DEP_1)
	v_and_b32_e32 v45, 0x7f800000, v6
	v_cmp_ne_u32_e64 s2, 0x7f800000, v45
                                        ; implicit-def: $vgpr45
	s_delay_alu instid0(VALU_DEP_1) | instskip(NEXT) | instid1(SALU_CYCLE_1)
	s_and_saveexec_b32 s3, s2
	s_xor_b32 s2, exec_lo, s3
; %bb.259:                              ;   in Loop: Header=BB396_10 Depth=1
	v_bfe_u32 v45, v6, 16, 1
	s_delay_alu instid0(VALU_DEP_1)
	v_add3_u32 v45, v6, v45, 0x7fff
                                        ; implicit-def: $vgpr6
; %bb.260:                              ;   in Loop: Header=BB396_10 Depth=1
	s_and_not1_saveexec_b32 s3, s2
; %bb.261:                              ;   in Loop: Header=BB396_10 Depth=1
	v_and_b32_e32 v45, 0xffff, v6
	v_or_b32_e32 v47, 0x10000, v6
	s_delay_alu instid0(VALU_DEP_2) | instskip(NEXT) | instid1(VALU_DEP_1)
	v_cmp_eq_u32_e64 s2, 0, v45
	v_cndmask_b32_e64 v45, v47, v6, s2
; %bb.262:                              ;   in Loop: Header=BB396_10 Depth=1
	s_or_b32 exec_lo, exec_lo, s3
	v_lshrrev_b16 v47, 8, v46
	v_mov_b32_e32 v6, 0
	s_mov_b32 s3, exec_lo
	s_delay_alu instid0(VALU_DEP_2)
	v_cmpx_ne_u16_e32 0, v47
	s_cbranch_execz .LBB396_270
; %bb.263:                              ;   in Loop: Header=BB396_10 Depth=1
	v_bfrev_b32_e32 v6, 1
	s_mov_b32 s19, exec_lo
	v_cmpx_ne_u16_e32 0x80, v47
	s_cbranch_execz .LBB396_269
; %bb.264:                              ;   in Loop: Header=BB396_10 Depth=1
	v_and_b32_e32 v47, 0xffff, v47
	v_mov_b32_e32 v6, 0x7f800001
	s_mov_b32 s20, exec_lo
	s_delay_alu instid0(VALU_DEP_2) | instskip(NEXT) | instid1(VALU_DEP_1)
	v_and_b32_e32 v56, 0x7f, v47
	v_cmpx_ne_u32_e32 0x7f, v56
	s_cbranch_execz .LBB396_268
; %bb.265:                              ;   in Loop: Header=BB396_10 Depth=1
	v_and_b32_e32 v6, 7, v47
	v_lshrrev_b32_e32 v47, 3, v56
	s_mov_b32 s21, exec_lo
	v_cmpx_gt_u32_e32 8, v56
; %bb.266:                              ;   in Loop: Header=BB396_10 Depth=1
	s_delay_alu instid0(VALU_DEP_3) | instskip(NEXT) | instid1(VALU_DEP_1)
	v_clz_i32_u32_e32 v47, v6
	v_min_u32_e32 v47, 32, v47
	s_delay_alu instid0(VALU_DEP_1) | instskip(SKIP_1) | instid1(VALU_DEP_2)
	v_subrev_nc_u32_e32 v56, 28, v47
	v_sub_nc_u32_e32 v47, 29, v47
	v_lshlrev_b64 v[56:57], v56, v[6:7]
	s_delay_alu instid0(VALU_DEP_1)
	v_and_b32_e32 v6, 7, v56
; %bb.267:                              ;   in Loop: Header=BB396_10 Depth=1
	s_or_b32 exec_lo, exec_lo, s21
	v_lshlrev_b32_e32 v46, 16, v46
	s_delay_alu instid0(VALU_DEP_2) | instskip(SKIP_1) | instid1(VALU_DEP_3)
	v_lshlrev_b32_e32 v6, 20, v6
	v_lshl_add_u32 v47, v47, 23, 0x3c000000
	v_and_b32_e32 v46, 0x80000000, v46
	s_delay_alu instid0(VALU_DEP_1)
	v_or3_b32 v6, v6, v46, v47
.LBB396_268:                            ;   in Loop: Header=BB396_10 Depth=1
	s_or_b32 exec_lo, exec_lo, s20
.LBB396_269:                            ;   in Loop: Header=BB396_10 Depth=1
	s_delay_alu instid0(SALU_CYCLE_1)
	s_or_b32 exec_lo, exec_lo, s19
.LBB396_270:                            ;   in Loop: Header=BB396_10 Depth=1
	s_delay_alu instid0(SALU_CYCLE_1) | instskip(NEXT) | instid1(VALU_DEP_1)
	s_or_b32 exec_lo, exec_lo, s3
	v_mul_f32_e32 v6, v160, v6
	s_delay_alu instid0(VALU_DEP_1) | instskip(NEXT) | instid1(VALU_DEP_1)
	v_and_b32_e32 v46, 0x7f800000, v6
	v_cmp_ne_u32_e64 s2, 0x7f800000, v46
                                        ; implicit-def: $vgpr46
	s_delay_alu instid0(VALU_DEP_1) | instskip(NEXT) | instid1(SALU_CYCLE_1)
	s_and_saveexec_b32 s3, s2
	s_xor_b32 s2, exec_lo, s3
; %bb.271:                              ;   in Loop: Header=BB396_10 Depth=1
	v_bfe_u32 v46, v6, 16, 1
	s_delay_alu instid0(VALU_DEP_1)
	v_add3_u32 v46, v6, v46, 0x7fff
                                        ; implicit-def: $vgpr6
; %bb.272:                              ;   in Loop: Header=BB396_10 Depth=1
	s_and_not1_saveexec_b32 s3, s2
; %bb.273:                              ;   in Loop: Header=BB396_10 Depth=1
	v_and_b32_e32 v46, 0xffff, v6
	v_or_b32_e32 v47, 0x10000, v6
	s_delay_alu instid0(VALU_DEP_2) | instskip(NEXT) | instid1(VALU_DEP_1)
	v_cmp_eq_u32_e64 s2, 0, v46
	v_cndmask_b32_e64 v46, v47, v6, s2
; %bb.274:                              ;   in Loop: Header=BB396_10 Depth=1
	s_or_b32 exec_lo, exec_lo, s3
	flat_load_u16 v6, v[28:29] offset:648
	s_mov_b32 s3, exec_lo
	s_waitcnt vmcnt(0) lgkmcnt(0)
	v_and_b32_e32 v47, 0xff, v6
	v_and_b32_e32 v56, 0xffff, v6
	v_mov_b32_e32 v6, 0
	s_delay_alu instid0(VALU_DEP_3)
	v_cmpx_ne_u16_e32 0, v47
	s_cbranch_execz .LBB396_282
; %bb.275:                              ;   in Loop: Header=BB396_10 Depth=1
	s_delay_alu instid0(VALU_DEP_3) | instskip(NEXT) | instid1(VALU_DEP_1)
	v_and_b32_e32 v6, 0xff, v56
	v_cmp_ne_u16_e64 s2, 0x80, v6
	v_bfrev_b32_e32 v6, 1
	s_delay_alu instid0(VALU_DEP_2)
	s_and_saveexec_b32 s19, s2
	s_cbranch_execz .LBB396_281
; %bb.276:                              ;   in Loop: Header=BB396_10 Depth=1
	v_and_b32_e32 v57, 0x7f, v56
	v_mov_b32_e32 v6, 0x7f800001
	s_mov_b32 s20, exec_lo
	s_delay_alu instid0(VALU_DEP_2)
	v_cmpx_ne_u32_e32 0x7f, v57
	s_cbranch_execz .LBB396_280
; %bb.277:                              ;   in Loop: Header=BB396_10 Depth=1
	v_and_b32_e32 v6, 7, v56
	v_lshrrev_b32_e32 v47, 3, v57
	s_mov_b32 s21, exec_lo
	v_cmpx_gt_u32_e32 8, v57
; %bb.278:                              ;   in Loop: Header=BB396_10 Depth=1
	s_delay_alu instid0(VALU_DEP_3) | instskip(NEXT) | instid1(VALU_DEP_1)
	v_clz_i32_u32_e32 v47, v6
	v_min_u32_e32 v47, 32, v47
	s_delay_alu instid0(VALU_DEP_1) | instskip(SKIP_1) | instid1(VALU_DEP_2)
	v_subrev_nc_u32_e32 v57, 28, v47
	v_sub_nc_u32_e32 v47, 29, v47
	v_lshlrev_b64 v[57:58], v57, v[6:7]
	s_delay_alu instid0(VALU_DEP_1)
	v_and_b32_e32 v6, 7, v57
; %bb.279:                              ;   in Loop: Header=BB396_10 Depth=1
	s_or_b32 exec_lo, exec_lo, s21
	v_lshlrev_b32_e32 v57, 24, v56
	s_delay_alu instid0(VALU_DEP_2) | instskip(SKIP_1) | instid1(VALU_DEP_3)
	v_lshlrev_b32_e32 v6, 20, v6
	v_lshl_add_u32 v47, v47, 23, 0x3c000000
	v_and_b32_e32 v57, 0x80000000, v57
	s_delay_alu instid0(VALU_DEP_1)
	v_or3_b32 v6, v6, v57, v47
.LBB396_280:                            ;   in Loop: Header=BB396_10 Depth=1
	s_or_b32 exec_lo, exec_lo, s20
.LBB396_281:                            ;   in Loop: Header=BB396_10 Depth=1
	s_delay_alu instid0(SALU_CYCLE_1)
	s_or_b32 exec_lo, exec_lo, s19
.LBB396_282:                            ;   in Loop: Header=BB396_10 Depth=1
	s_delay_alu instid0(SALU_CYCLE_1) | instskip(NEXT) | instid1(VALU_DEP_1)
	s_or_b32 exec_lo, exec_lo, s3
	v_mul_f32_e32 v6, v160, v6
	s_delay_alu instid0(VALU_DEP_1) | instskip(NEXT) | instid1(VALU_DEP_1)
	v_and_b32_e32 v47, 0x7f800000, v6
	v_cmp_ne_u32_e64 s2, 0x7f800000, v47
                                        ; implicit-def: $vgpr47
	s_delay_alu instid0(VALU_DEP_1) | instskip(NEXT) | instid1(SALU_CYCLE_1)
	s_and_saveexec_b32 s3, s2
	s_xor_b32 s2, exec_lo, s3
; %bb.283:                              ;   in Loop: Header=BB396_10 Depth=1
	v_bfe_u32 v47, v6, 16, 1
	s_delay_alu instid0(VALU_DEP_1)
	v_add3_u32 v47, v6, v47, 0x7fff
                                        ; implicit-def: $vgpr6
; %bb.284:                              ;   in Loop: Header=BB396_10 Depth=1
	s_and_not1_saveexec_b32 s3, s2
; %bb.285:                              ;   in Loop: Header=BB396_10 Depth=1
	v_and_b32_e32 v47, 0xffff, v6
	v_or_b32_e32 v57, 0x10000, v6
	s_delay_alu instid0(VALU_DEP_2) | instskip(NEXT) | instid1(VALU_DEP_1)
	v_cmp_eq_u32_e64 s2, 0, v47
	v_cndmask_b32_e64 v47, v57, v6, s2
; %bb.286:                              ;   in Loop: Header=BB396_10 Depth=1
	s_or_b32 exec_lo, exec_lo, s3
	v_lshrrev_b16 v57, 8, v56
	v_mov_b32_e32 v6, 0
	s_mov_b32 s3, exec_lo
	s_delay_alu instid0(VALU_DEP_2)
	v_cmpx_ne_u16_e32 0, v57
	s_cbranch_execz .LBB396_294
; %bb.287:                              ;   in Loop: Header=BB396_10 Depth=1
	v_bfrev_b32_e32 v6, 1
	s_mov_b32 s19, exec_lo
	v_cmpx_ne_u16_e32 0x80, v57
	s_cbranch_execz .LBB396_293
; %bb.288:                              ;   in Loop: Header=BB396_10 Depth=1
	v_and_b32_e32 v57, 0xffff, v57
	v_mov_b32_e32 v6, 0x7f800001
	s_mov_b32 s20, exec_lo
	s_delay_alu instid0(VALU_DEP_2) | instskip(NEXT) | instid1(VALU_DEP_1)
	v_and_b32_e32 v58, 0x7f, v57
	v_cmpx_ne_u32_e32 0x7f, v58
	s_cbranch_execz .LBB396_292
; %bb.289:                              ;   in Loop: Header=BB396_10 Depth=1
	v_and_b32_e32 v6, 7, v57
	v_lshrrev_b32_e32 v57, 3, v58
	s_mov_b32 s21, exec_lo
	v_cmpx_gt_u32_e32 8, v58
; %bb.290:                              ;   in Loop: Header=BB396_10 Depth=1
	s_delay_alu instid0(VALU_DEP_3) | instskip(NEXT) | instid1(VALU_DEP_1)
	v_clz_i32_u32_e32 v57, v6
	v_min_u32_e32 v57, 32, v57
	s_delay_alu instid0(VALU_DEP_1) | instskip(SKIP_1) | instid1(VALU_DEP_2)
	v_subrev_nc_u32_e32 v58, 28, v57
	v_sub_nc_u32_e32 v57, 29, v57
	v_lshlrev_b64 v[58:59], v58, v[6:7]
	s_delay_alu instid0(VALU_DEP_1)
	v_and_b32_e32 v6, 7, v58
; %bb.291:                              ;   in Loop: Header=BB396_10 Depth=1
	s_or_b32 exec_lo, exec_lo, s21
	v_lshlrev_b32_e32 v56, 16, v56
	s_delay_alu instid0(VALU_DEP_2) | instskip(SKIP_1) | instid1(VALU_DEP_3)
	v_lshlrev_b32_e32 v6, 20, v6
	v_lshl_add_u32 v57, v57, 23, 0x3c000000
	v_and_b32_e32 v56, 0x80000000, v56
	s_delay_alu instid0(VALU_DEP_1)
	v_or3_b32 v6, v6, v56, v57
.LBB396_292:                            ;   in Loop: Header=BB396_10 Depth=1
	s_or_b32 exec_lo, exec_lo, s20
.LBB396_293:                            ;   in Loop: Header=BB396_10 Depth=1
	s_delay_alu instid0(SALU_CYCLE_1)
	s_or_b32 exec_lo, exec_lo, s19
.LBB396_294:                            ;   in Loop: Header=BB396_10 Depth=1
	s_delay_alu instid0(SALU_CYCLE_1) | instskip(NEXT) | instid1(VALU_DEP_1)
	s_or_b32 exec_lo, exec_lo, s3
	v_mul_f32_e32 v6, v160, v6
	s_delay_alu instid0(VALU_DEP_1) | instskip(NEXT) | instid1(VALU_DEP_1)
	v_and_b32_e32 v56, 0x7f800000, v6
	v_cmp_ne_u32_e64 s2, 0x7f800000, v56
                                        ; implicit-def: $vgpr56
	s_delay_alu instid0(VALU_DEP_1) | instskip(NEXT) | instid1(SALU_CYCLE_1)
	s_and_saveexec_b32 s3, s2
	s_xor_b32 s2, exec_lo, s3
; %bb.295:                              ;   in Loop: Header=BB396_10 Depth=1
	v_bfe_u32 v56, v6, 16, 1
	s_delay_alu instid0(VALU_DEP_1)
	v_add3_u32 v56, v6, v56, 0x7fff
                                        ; implicit-def: $vgpr6
; %bb.296:                              ;   in Loop: Header=BB396_10 Depth=1
	s_and_not1_saveexec_b32 s3, s2
; %bb.297:                              ;   in Loop: Header=BB396_10 Depth=1
	v_and_b32_e32 v56, 0xffff, v6
	v_or_b32_e32 v57, 0x10000, v6
	s_delay_alu instid0(VALU_DEP_2) | instskip(NEXT) | instid1(VALU_DEP_1)
	v_cmp_eq_u32_e64 s2, 0, v56
	v_cndmask_b32_e64 v56, v57, v6, s2
; %bb.298:                              ;   in Loop: Header=BB396_10 Depth=1
	s_or_b32 exec_lo, exec_lo, s3
	flat_load_u16 v6, v[28:29] offset:768
	s_mov_b32 s3, exec_lo
	s_waitcnt vmcnt(0) lgkmcnt(0)
	v_and_b32_e32 v57, 0xff, v6
	v_and_b32_e32 v58, 0xffff, v6
	v_mov_b32_e32 v6, 0
	s_delay_alu instid0(VALU_DEP_3)
	v_cmpx_ne_u16_e32 0, v57
	s_cbranch_execz .LBB396_306
; %bb.299:                              ;   in Loop: Header=BB396_10 Depth=1
	s_delay_alu instid0(VALU_DEP_3) | instskip(NEXT) | instid1(VALU_DEP_1)
	v_and_b32_e32 v6, 0xff, v58
	v_cmp_ne_u16_e64 s2, 0x80, v6
	v_bfrev_b32_e32 v6, 1
	s_delay_alu instid0(VALU_DEP_2)
	s_and_saveexec_b32 s19, s2
	s_cbranch_execz .LBB396_305
; %bb.300:                              ;   in Loop: Header=BB396_10 Depth=1
	v_and_b32_e32 v59, 0x7f, v58
	v_mov_b32_e32 v6, 0x7f800001
	s_mov_b32 s20, exec_lo
	s_delay_alu instid0(VALU_DEP_2)
	v_cmpx_ne_u32_e32 0x7f, v59
	s_cbranch_execz .LBB396_304
; %bb.301:                              ;   in Loop: Header=BB396_10 Depth=1
	v_and_b32_e32 v6, 7, v58
	v_lshrrev_b32_e32 v57, 3, v59
	s_mov_b32 s21, exec_lo
	v_cmpx_gt_u32_e32 8, v59
; %bb.302:                              ;   in Loop: Header=BB396_10 Depth=1
	s_delay_alu instid0(VALU_DEP_3) | instskip(NEXT) | instid1(VALU_DEP_1)
	v_clz_i32_u32_e32 v57, v6
	v_min_u32_e32 v57, 32, v57
	s_delay_alu instid0(VALU_DEP_1) | instskip(SKIP_1) | instid1(VALU_DEP_2)
	v_subrev_nc_u32_e32 v59, 28, v57
	v_sub_nc_u32_e32 v57, 29, v57
	v_lshlrev_b64 v[59:60], v59, v[6:7]
	s_delay_alu instid0(VALU_DEP_1)
	v_and_b32_e32 v6, 7, v59
; %bb.303:                              ;   in Loop: Header=BB396_10 Depth=1
	s_or_b32 exec_lo, exec_lo, s21
	v_lshlrev_b32_e32 v59, 24, v58
	s_delay_alu instid0(VALU_DEP_2) | instskip(SKIP_1) | instid1(VALU_DEP_3)
	v_lshlrev_b32_e32 v6, 20, v6
	v_lshl_add_u32 v57, v57, 23, 0x3c000000
	v_and_b32_e32 v59, 0x80000000, v59
	s_delay_alu instid0(VALU_DEP_1)
	v_or3_b32 v6, v6, v59, v57
.LBB396_304:                            ;   in Loop: Header=BB396_10 Depth=1
	s_or_b32 exec_lo, exec_lo, s20
.LBB396_305:                            ;   in Loop: Header=BB396_10 Depth=1
	s_delay_alu instid0(SALU_CYCLE_1)
	s_or_b32 exec_lo, exec_lo, s19
.LBB396_306:                            ;   in Loop: Header=BB396_10 Depth=1
	s_delay_alu instid0(SALU_CYCLE_1) | instskip(NEXT) | instid1(VALU_DEP_1)
	s_or_b32 exec_lo, exec_lo, s3
	v_mul_f32_e32 v6, v160, v6
	s_delay_alu instid0(VALU_DEP_1) | instskip(NEXT) | instid1(VALU_DEP_1)
	v_and_b32_e32 v57, 0x7f800000, v6
	v_cmp_ne_u32_e64 s2, 0x7f800000, v57
                                        ; implicit-def: $vgpr57
	s_delay_alu instid0(VALU_DEP_1) | instskip(NEXT) | instid1(SALU_CYCLE_1)
	s_and_saveexec_b32 s3, s2
	s_xor_b32 s2, exec_lo, s3
; %bb.307:                              ;   in Loop: Header=BB396_10 Depth=1
	v_bfe_u32 v57, v6, 16, 1
	s_delay_alu instid0(VALU_DEP_1)
	v_add3_u32 v57, v6, v57, 0x7fff
                                        ; implicit-def: $vgpr6
; %bb.308:                              ;   in Loop: Header=BB396_10 Depth=1
	s_and_not1_saveexec_b32 s3, s2
; %bb.309:                              ;   in Loop: Header=BB396_10 Depth=1
	v_and_b32_e32 v57, 0xffff, v6
	v_or_b32_e32 v59, 0x10000, v6
	s_delay_alu instid0(VALU_DEP_2) | instskip(NEXT) | instid1(VALU_DEP_1)
	v_cmp_eq_u32_e64 s2, 0, v57
	v_cndmask_b32_e64 v57, v59, v6, s2
; %bb.310:                              ;   in Loop: Header=BB396_10 Depth=1
	s_or_b32 exec_lo, exec_lo, s3
	v_lshrrev_b16 v59, 8, v58
	v_mov_b32_e32 v6, 0
	s_mov_b32 s3, exec_lo
	s_delay_alu instid0(VALU_DEP_2)
	v_cmpx_ne_u16_e32 0, v59
	s_cbranch_execz .LBB396_318
; %bb.311:                              ;   in Loop: Header=BB396_10 Depth=1
	v_bfrev_b32_e32 v6, 1
	s_mov_b32 s19, exec_lo
	v_cmpx_ne_u16_e32 0x80, v59
	s_cbranch_execz .LBB396_317
; %bb.312:                              ;   in Loop: Header=BB396_10 Depth=1
	v_and_b32_e32 v59, 0xffff, v59
	v_mov_b32_e32 v6, 0x7f800001
	s_mov_b32 s20, exec_lo
	s_delay_alu instid0(VALU_DEP_2) | instskip(NEXT) | instid1(VALU_DEP_1)
	v_and_b32_e32 v60, 0x7f, v59
	v_cmpx_ne_u32_e32 0x7f, v60
	s_cbranch_execz .LBB396_316
; %bb.313:                              ;   in Loop: Header=BB396_10 Depth=1
	v_and_b32_e32 v6, 7, v59
	v_lshrrev_b32_e32 v59, 3, v60
	s_mov_b32 s21, exec_lo
	v_cmpx_gt_u32_e32 8, v60
; %bb.314:                              ;   in Loop: Header=BB396_10 Depth=1
	s_delay_alu instid0(VALU_DEP_3) | instskip(NEXT) | instid1(VALU_DEP_1)
	v_clz_i32_u32_e32 v59, v6
	v_min_u32_e32 v59, 32, v59
	s_delay_alu instid0(VALU_DEP_1) | instskip(SKIP_1) | instid1(VALU_DEP_2)
	v_subrev_nc_u32_e32 v60, 28, v59
	v_sub_nc_u32_e32 v59, 29, v59
	v_lshlrev_b64 v[60:61], v60, v[6:7]
	s_delay_alu instid0(VALU_DEP_1)
	v_and_b32_e32 v6, 7, v60
; %bb.315:                              ;   in Loop: Header=BB396_10 Depth=1
	s_or_b32 exec_lo, exec_lo, s21
	v_lshlrev_b32_e32 v58, 16, v58
	s_delay_alu instid0(VALU_DEP_2) | instskip(SKIP_1) | instid1(VALU_DEP_3)
	v_lshlrev_b32_e32 v6, 20, v6
	v_lshl_add_u32 v59, v59, 23, 0x3c000000
	v_and_b32_e32 v58, 0x80000000, v58
	s_delay_alu instid0(VALU_DEP_1)
	v_or3_b32 v6, v6, v58, v59
.LBB396_316:                            ;   in Loop: Header=BB396_10 Depth=1
	s_or_b32 exec_lo, exec_lo, s20
.LBB396_317:                            ;   in Loop: Header=BB396_10 Depth=1
	s_delay_alu instid0(SALU_CYCLE_1)
	s_or_b32 exec_lo, exec_lo, s19
.LBB396_318:                            ;   in Loop: Header=BB396_10 Depth=1
	s_delay_alu instid0(SALU_CYCLE_1) | instskip(NEXT) | instid1(VALU_DEP_1)
	s_or_b32 exec_lo, exec_lo, s3
	v_mul_f32_e32 v6, v160, v6
	s_delay_alu instid0(VALU_DEP_1) | instskip(NEXT) | instid1(VALU_DEP_1)
	v_and_b32_e32 v58, 0x7f800000, v6
	v_cmp_ne_u32_e64 s2, 0x7f800000, v58
                                        ; implicit-def: $vgpr58
	s_delay_alu instid0(VALU_DEP_1) | instskip(NEXT) | instid1(SALU_CYCLE_1)
	s_and_saveexec_b32 s3, s2
	s_xor_b32 s2, exec_lo, s3
; %bb.319:                              ;   in Loop: Header=BB396_10 Depth=1
	v_bfe_u32 v58, v6, 16, 1
	s_delay_alu instid0(VALU_DEP_1)
	v_add3_u32 v58, v6, v58, 0x7fff
                                        ; implicit-def: $vgpr6
; %bb.320:                              ;   in Loop: Header=BB396_10 Depth=1
	s_and_not1_saveexec_b32 s3, s2
; %bb.321:                              ;   in Loop: Header=BB396_10 Depth=1
	v_and_b32_e32 v58, 0xffff, v6
	v_or_b32_e32 v59, 0x10000, v6
	s_delay_alu instid0(VALU_DEP_2) | instskip(NEXT) | instid1(VALU_DEP_1)
	v_cmp_eq_u32_e64 s2, 0, v58
	v_cndmask_b32_e64 v58, v59, v6, s2
; %bb.322:                              ;   in Loop: Header=BB396_10 Depth=1
	s_or_b32 exec_lo, exec_lo, s3
	flat_load_u16 v6, v[28:29] offset:776
	s_mov_b32 s3, exec_lo
	s_waitcnt vmcnt(0) lgkmcnt(0)
	v_and_b32_e32 v59, 0xff, v6
	v_and_b32_e32 v60, 0xffff, v6
	v_mov_b32_e32 v6, 0
	s_delay_alu instid0(VALU_DEP_3)
	v_cmpx_ne_u16_e32 0, v59
	s_cbranch_execz .LBB396_330
; %bb.323:                              ;   in Loop: Header=BB396_10 Depth=1
	s_delay_alu instid0(VALU_DEP_3) | instskip(NEXT) | instid1(VALU_DEP_1)
	v_and_b32_e32 v6, 0xff, v60
	v_cmp_ne_u16_e64 s2, 0x80, v6
	v_bfrev_b32_e32 v6, 1
	s_delay_alu instid0(VALU_DEP_2)
	s_and_saveexec_b32 s19, s2
	s_cbranch_execz .LBB396_329
; %bb.324:                              ;   in Loop: Header=BB396_10 Depth=1
	v_and_b32_e32 v61, 0x7f, v60
	v_mov_b32_e32 v6, 0x7f800001
	s_mov_b32 s20, exec_lo
	s_delay_alu instid0(VALU_DEP_2)
	v_cmpx_ne_u32_e32 0x7f, v61
	s_cbranch_execz .LBB396_328
; %bb.325:                              ;   in Loop: Header=BB396_10 Depth=1
	v_and_b32_e32 v6, 7, v60
	v_lshrrev_b32_e32 v59, 3, v61
	s_mov_b32 s21, exec_lo
	v_cmpx_gt_u32_e32 8, v61
; %bb.326:                              ;   in Loop: Header=BB396_10 Depth=1
	s_delay_alu instid0(VALU_DEP_3) | instskip(NEXT) | instid1(VALU_DEP_1)
	v_clz_i32_u32_e32 v59, v6
	v_min_u32_e32 v59, 32, v59
	s_delay_alu instid0(VALU_DEP_1) | instskip(SKIP_1) | instid1(VALU_DEP_2)
	v_subrev_nc_u32_e32 v61, 28, v59
	v_sub_nc_u32_e32 v59, 29, v59
	v_lshlrev_b64 v[61:62], v61, v[6:7]
	s_delay_alu instid0(VALU_DEP_1)
	v_and_b32_e32 v6, 7, v61
; %bb.327:                              ;   in Loop: Header=BB396_10 Depth=1
	s_or_b32 exec_lo, exec_lo, s21
	v_lshlrev_b32_e32 v61, 24, v60
	s_delay_alu instid0(VALU_DEP_2) | instskip(SKIP_1) | instid1(VALU_DEP_3)
	v_lshlrev_b32_e32 v6, 20, v6
	v_lshl_add_u32 v59, v59, 23, 0x3c000000
	v_and_b32_e32 v61, 0x80000000, v61
	s_delay_alu instid0(VALU_DEP_1)
	v_or3_b32 v6, v6, v61, v59
.LBB396_328:                            ;   in Loop: Header=BB396_10 Depth=1
	s_or_b32 exec_lo, exec_lo, s20
.LBB396_329:                            ;   in Loop: Header=BB396_10 Depth=1
	s_delay_alu instid0(SALU_CYCLE_1)
	s_or_b32 exec_lo, exec_lo, s19
.LBB396_330:                            ;   in Loop: Header=BB396_10 Depth=1
	s_delay_alu instid0(SALU_CYCLE_1) | instskip(NEXT) | instid1(VALU_DEP_1)
	s_or_b32 exec_lo, exec_lo, s3
	v_mul_f32_e32 v6, v160, v6
	s_delay_alu instid0(VALU_DEP_1) | instskip(NEXT) | instid1(VALU_DEP_1)
	v_and_b32_e32 v59, 0x7f800000, v6
	v_cmp_ne_u32_e64 s2, 0x7f800000, v59
                                        ; implicit-def: $vgpr59
	s_delay_alu instid0(VALU_DEP_1) | instskip(NEXT) | instid1(SALU_CYCLE_1)
	s_and_saveexec_b32 s3, s2
	s_xor_b32 s2, exec_lo, s3
; %bb.331:                              ;   in Loop: Header=BB396_10 Depth=1
	v_bfe_u32 v59, v6, 16, 1
	s_delay_alu instid0(VALU_DEP_1)
	v_add3_u32 v59, v6, v59, 0x7fff
                                        ; implicit-def: $vgpr6
; %bb.332:                              ;   in Loop: Header=BB396_10 Depth=1
	s_and_not1_saveexec_b32 s3, s2
; %bb.333:                              ;   in Loop: Header=BB396_10 Depth=1
	v_and_b32_e32 v59, 0xffff, v6
	v_or_b32_e32 v61, 0x10000, v6
	s_delay_alu instid0(VALU_DEP_2) | instskip(NEXT) | instid1(VALU_DEP_1)
	v_cmp_eq_u32_e64 s2, 0, v59
	v_cndmask_b32_e64 v59, v61, v6, s2
; %bb.334:                              ;   in Loop: Header=BB396_10 Depth=1
	s_or_b32 exec_lo, exec_lo, s3
	v_lshrrev_b16 v61, 8, v60
	v_mov_b32_e32 v6, 0
	s_mov_b32 s3, exec_lo
	s_delay_alu instid0(VALU_DEP_2)
	v_cmpx_ne_u16_e32 0, v61
	s_cbranch_execz .LBB396_342
; %bb.335:                              ;   in Loop: Header=BB396_10 Depth=1
	v_bfrev_b32_e32 v6, 1
	s_mov_b32 s19, exec_lo
	v_cmpx_ne_u16_e32 0x80, v61
	s_cbranch_execz .LBB396_341
; %bb.336:                              ;   in Loop: Header=BB396_10 Depth=1
	v_and_b32_e32 v61, 0xffff, v61
	v_mov_b32_e32 v6, 0x7f800001
	s_mov_b32 s20, exec_lo
	s_delay_alu instid0(VALU_DEP_2) | instskip(NEXT) | instid1(VALU_DEP_1)
	v_and_b32_e32 v62, 0x7f, v61
	v_cmpx_ne_u32_e32 0x7f, v62
	s_cbranch_execz .LBB396_340
; %bb.337:                              ;   in Loop: Header=BB396_10 Depth=1
	v_and_b32_e32 v6, 7, v61
	v_lshrrev_b32_e32 v61, 3, v62
	s_mov_b32 s21, exec_lo
	v_cmpx_gt_u32_e32 8, v62
; %bb.338:                              ;   in Loop: Header=BB396_10 Depth=1
	s_delay_alu instid0(VALU_DEP_3) | instskip(NEXT) | instid1(VALU_DEP_1)
	v_clz_i32_u32_e32 v61, v6
	v_min_u32_e32 v61, 32, v61
	s_delay_alu instid0(VALU_DEP_1) | instskip(SKIP_1) | instid1(VALU_DEP_2)
	v_subrev_nc_u32_e32 v62, 28, v61
	v_sub_nc_u32_e32 v61, 29, v61
	v_lshlrev_b64 v[62:63], v62, v[6:7]
	s_delay_alu instid0(VALU_DEP_1)
	v_and_b32_e32 v6, 7, v62
; %bb.339:                              ;   in Loop: Header=BB396_10 Depth=1
	s_or_b32 exec_lo, exec_lo, s21
	v_lshlrev_b32_e32 v60, 16, v60
	s_delay_alu instid0(VALU_DEP_2) | instskip(SKIP_1) | instid1(VALU_DEP_3)
	v_lshlrev_b32_e32 v6, 20, v6
	v_lshl_add_u32 v61, v61, 23, 0x3c000000
	v_and_b32_e32 v60, 0x80000000, v60
	s_delay_alu instid0(VALU_DEP_1)
	v_or3_b32 v6, v6, v60, v61
.LBB396_340:                            ;   in Loop: Header=BB396_10 Depth=1
	s_or_b32 exec_lo, exec_lo, s20
.LBB396_341:                            ;   in Loop: Header=BB396_10 Depth=1
	s_delay_alu instid0(SALU_CYCLE_1)
	s_or_b32 exec_lo, exec_lo, s19
.LBB396_342:                            ;   in Loop: Header=BB396_10 Depth=1
	s_delay_alu instid0(SALU_CYCLE_1) | instskip(NEXT) | instid1(VALU_DEP_1)
	s_or_b32 exec_lo, exec_lo, s3
	v_mul_f32_e32 v6, v160, v6
	s_delay_alu instid0(VALU_DEP_1) | instskip(NEXT) | instid1(VALU_DEP_1)
	v_and_b32_e32 v60, 0x7f800000, v6
	v_cmp_ne_u32_e64 s2, 0x7f800000, v60
                                        ; implicit-def: $vgpr60
	s_delay_alu instid0(VALU_DEP_1) | instskip(NEXT) | instid1(SALU_CYCLE_1)
	s_and_saveexec_b32 s3, s2
	s_xor_b32 s2, exec_lo, s3
; %bb.343:                              ;   in Loop: Header=BB396_10 Depth=1
	v_bfe_u32 v60, v6, 16, 1
	s_delay_alu instid0(VALU_DEP_1)
	v_add3_u32 v60, v6, v60, 0x7fff
                                        ; implicit-def: $vgpr6
; %bb.344:                              ;   in Loop: Header=BB396_10 Depth=1
	s_and_not1_saveexec_b32 s3, s2
; %bb.345:                              ;   in Loop: Header=BB396_10 Depth=1
	v_and_b32_e32 v60, 0xffff, v6
	v_or_b32_e32 v61, 0x10000, v6
	s_delay_alu instid0(VALU_DEP_2) | instskip(NEXT) | instid1(VALU_DEP_1)
	v_cmp_eq_u32_e64 s2, 0, v60
	v_cndmask_b32_e64 v60, v61, v6, s2
; %bb.346:                              ;   in Loop: Header=BB396_10 Depth=1
	s_or_b32 exec_lo, exec_lo, s3
	flat_load_u16 v6, v[28:29] offset:896
	s_mov_b32 s3, exec_lo
	s_waitcnt vmcnt(0) lgkmcnt(0)
	v_and_b32_e32 v61, 0xff, v6
	v_and_b32_e32 v62, 0xffff, v6
	v_mov_b32_e32 v6, 0
	s_delay_alu instid0(VALU_DEP_3)
	v_cmpx_ne_u16_e32 0, v61
	s_cbranch_execz .LBB396_354
; %bb.347:                              ;   in Loop: Header=BB396_10 Depth=1
	s_delay_alu instid0(VALU_DEP_3) | instskip(NEXT) | instid1(VALU_DEP_1)
	v_and_b32_e32 v6, 0xff, v62
	v_cmp_ne_u16_e64 s2, 0x80, v6
	v_bfrev_b32_e32 v6, 1
	s_delay_alu instid0(VALU_DEP_2)
	s_and_saveexec_b32 s19, s2
	s_cbranch_execz .LBB396_353
; %bb.348:                              ;   in Loop: Header=BB396_10 Depth=1
	v_and_b32_e32 v63, 0x7f, v62
	v_mov_b32_e32 v6, 0x7f800001
	s_mov_b32 s20, exec_lo
	s_delay_alu instid0(VALU_DEP_2)
	v_cmpx_ne_u32_e32 0x7f, v63
	s_cbranch_execz .LBB396_352
; %bb.349:                              ;   in Loop: Header=BB396_10 Depth=1
	v_and_b32_e32 v6, 7, v62
	v_lshrrev_b32_e32 v61, 3, v63
	s_mov_b32 s21, exec_lo
	v_cmpx_gt_u32_e32 8, v63
; %bb.350:                              ;   in Loop: Header=BB396_10 Depth=1
	s_delay_alu instid0(VALU_DEP_3) | instskip(NEXT) | instid1(VALU_DEP_1)
	v_clz_i32_u32_e32 v61, v6
	v_min_u32_e32 v61, 32, v61
	s_delay_alu instid0(VALU_DEP_1) | instskip(SKIP_1) | instid1(VALU_DEP_2)
	v_subrev_nc_u32_e32 v63, 28, v61
	v_sub_nc_u32_e32 v61, 29, v61
	v_lshlrev_b64 v[72:73], v63, v[6:7]
	s_delay_alu instid0(VALU_DEP_1)
	v_and_b32_e32 v6, 7, v72
; %bb.351:                              ;   in Loop: Header=BB396_10 Depth=1
	s_or_b32 exec_lo, exec_lo, s21
	v_lshlrev_b32_e32 v63, 24, v62
	s_delay_alu instid0(VALU_DEP_2) | instskip(SKIP_1) | instid1(VALU_DEP_3)
	v_lshlrev_b32_e32 v6, 20, v6
	v_lshl_add_u32 v61, v61, 23, 0x3c000000
	v_and_b32_e32 v63, 0x80000000, v63
	s_delay_alu instid0(VALU_DEP_1)
	v_or3_b32 v6, v6, v63, v61
.LBB396_352:                            ;   in Loop: Header=BB396_10 Depth=1
	s_or_b32 exec_lo, exec_lo, s20
.LBB396_353:                            ;   in Loop: Header=BB396_10 Depth=1
	s_delay_alu instid0(SALU_CYCLE_1)
	s_or_b32 exec_lo, exec_lo, s19
.LBB396_354:                            ;   in Loop: Header=BB396_10 Depth=1
	s_delay_alu instid0(SALU_CYCLE_1) | instskip(NEXT) | instid1(VALU_DEP_1)
	s_or_b32 exec_lo, exec_lo, s3
	v_mul_f32_e32 v6, v160, v6
	s_delay_alu instid0(VALU_DEP_1) | instskip(NEXT) | instid1(VALU_DEP_1)
	v_and_b32_e32 v61, 0x7f800000, v6
	v_cmp_ne_u32_e64 s2, 0x7f800000, v61
                                        ; implicit-def: $vgpr61
	s_delay_alu instid0(VALU_DEP_1) | instskip(NEXT) | instid1(SALU_CYCLE_1)
	s_and_saveexec_b32 s3, s2
	s_xor_b32 s2, exec_lo, s3
; %bb.355:                              ;   in Loop: Header=BB396_10 Depth=1
	v_bfe_u32 v61, v6, 16, 1
	s_delay_alu instid0(VALU_DEP_1)
	v_add3_u32 v61, v6, v61, 0x7fff
                                        ; implicit-def: $vgpr6
; %bb.356:                              ;   in Loop: Header=BB396_10 Depth=1
	s_and_not1_saveexec_b32 s3, s2
; %bb.357:                              ;   in Loop: Header=BB396_10 Depth=1
	v_and_b32_e32 v61, 0xffff, v6
	v_or_b32_e32 v63, 0x10000, v6
	s_delay_alu instid0(VALU_DEP_2) | instskip(NEXT) | instid1(VALU_DEP_1)
	v_cmp_eq_u32_e64 s2, 0, v61
	v_cndmask_b32_e64 v61, v63, v6, s2
; %bb.358:                              ;   in Loop: Header=BB396_10 Depth=1
	s_or_b32 exec_lo, exec_lo, s3
	v_lshrrev_b16 v63, 8, v62
	v_mov_b32_e32 v6, 0
	s_mov_b32 s3, exec_lo
	s_delay_alu instid0(VALU_DEP_2)
	v_cmpx_ne_u16_e32 0, v63
	s_cbranch_execz .LBB396_366
; %bb.359:                              ;   in Loop: Header=BB396_10 Depth=1
	v_bfrev_b32_e32 v6, 1
	s_mov_b32 s19, exec_lo
	v_cmpx_ne_u16_e32 0x80, v63
	s_cbranch_execz .LBB396_365
; %bb.360:                              ;   in Loop: Header=BB396_10 Depth=1
	v_and_b32_e32 v63, 0xffff, v63
	v_mov_b32_e32 v6, 0x7f800001
	s_mov_b32 s20, exec_lo
	s_delay_alu instid0(VALU_DEP_2) | instskip(NEXT) | instid1(VALU_DEP_1)
	v_and_b32_e32 v72, 0x7f, v63
	v_cmpx_ne_u32_e32 0x7f, v72
	s_cbranch_execz .LBB396_364
; %bb.361:                              ;   in Loop: Header=BB396_10 Depth=1
	v_and_b32_e32 v6, 7, v63
	v_lshrrev_b32_e32 v63, 3, v72
	s_mov_b32 s21, exec_lo
	v_cmpx_gt_u32_e32 8, v72
; %bb.362:                              ;   in Loop: Header=BB396_10 Depth=1
	s_delay_alu instid0(VALU_DEP_3) | instskip(NEXT) | instid1(VALU_DEP_1)
	v_clz_i32_u32_e32 v63, v6
	v_min_u32_e32 v63, 32, v63
	s_delay_alu instid0(VALU_DEP_1) | instskip(SKIP_1) | instid1(VALU_DEP_2)
	v_subrev_nc_u32_e32 v72, 28, v63
	v_sub_nc_u32_e32 v63, 29, v63
	v_lshlrev_b64 v[72:73], v72, v[6:7]
	s_delay_alu instid0(VALU_DEP_1)
	v_and_b32_e32 v6, 7, v72
; %bb.363:                              ;   in Loop: Header=BB396_10 Depth=1
	s_or_b32 exec_lo, exec_lo, s21
	v_lshlrev_b32_e32 v62, 16, v62
	s_delay_alu instid0(VALU_DEP_2) | instskip(SKIP_1) | instid1(VALU_DEP_3)
	v_lshlrev_b32_e32 v6, 20, v6
	v_lshl_add_u32 v63, v63, 23, 0x3c000000
	v_and_b32_e32 v62, 0x80000000, v62
	s_delay_alu instid0(VALU_DEP_1)
	v_or3_b32 v6, v6, v62, v63
.LBB396_364:                            ;   in Loop: Header=BB396_10 Depth=1
	s_or_b32 exec_lo, exec_lo, s20
.LBB396_365:                            ;   in Loop: Header=BB396_10 Depth=1
	s_delay_alu instid0(SALU_CYCLE_1)
	s_or_b32 exec_lo, exec_lo, s19
.LBB396_366:                            ;   in Loop: Header=BB396_10 Depth=1
	s_delay_alu instid0(SALU_CYCLE_1) | instskip(NEXT) | instid1(VALU_DEP_1)
	s_or_b32 exec_lo, exec_lo, s3
	v_mul_f32_e32 v6, v160, v6
	s_delay_alu instid0(VALU_DEP_1) | instskip(NEXT) | instid1(VALU_DEP_1)
	v_and_b32_e32 v62, 0x7f800000, v6
	v_cmp_ne_u32_e64 s2, 0x7f800000, v62
                                        ; implicit-def: $vgpr62
	s_delay_alu instid0(VALU_DEP_1) | instskip(NEXT) | instid1(SALU_CYCLE_1)
	s_and_saveexec_b32 s3, s2
	s_xor_b32 s2, exec_lo, s3
; %bb.367:                              ;   in Loop: Header=BB396_10 Depth=1
	v_bfe_u32 v62, v6, 16, 1
	s_delay_alu instid0(VALU_DEP_1)
	v_add3_u32 v62, v6, v62, 0x7fff
                                        ; implicit-def: $vgpr6
; %bb.368:                              ;   in Loop: Header=BB396_10 Depth=1
	s_and_not1_saveexec_b32 s3, s2
; %bb.369:                              ;   in Loop: Header=BB396_10 Depth=1
	v_and_b32_e32 v62, 0xffff, v6
	v_or_b32_e32 v63, 0x10000, v6
	s_delay_alu instid0(VALU_DEP_2) | instskip(NEXT) | instid1(VALU_DEP_1)
	v_cmp_eq_u32_e64 s2, 0, v62
	v_cndmask_b32_e64 v62, v63, v6, s2
; %bb.370:                              ;   in Loop: Header=BB396_10 Depth=1
	s_or_b32 exec_lo, exec_lo, s3
	flat_load_u16 v6, v[28:29] offset:904
	s_mov_b32 s3, exec_lo
	s_waitcnt vmcnt(0) lgkmcnt(0)
	v_and_b32_e32 v63, 0xff, v6
	v_and_b32_e32 v72, 0xffff, v6
	v_mov_b32_e32 v6, 0
	s_delay_alu instid0(VALU_DEP_3)
	v_cmpx_ne_u16_e32 0, v63
	s_cbranch_execz .LBB396_378
; %bb.371:                              ;   in Loop: Header=BB396_10 Depth=1
	s_delay_alu instid0(VALU_DEP_3) | instskip(NEXT) | instid1(VALU_DEP_1)
	v_and_b32_e32 v6, 0xff, v72
	v_cmp_ne_u16_e64 s2, 0x80, v6
	v_bfrev_b32_e32 v6, 1
	s_delay_alu instid0(VALU_DEP_2)
	s_and_saveexec_b32 s19, s2
	s_cbranch_execz .LBB396_377
; %bb.372:                              ;   in Loop: Header=BB396_10 Depth=1
	v_and_b32_e32 v73, 0x7f, v72
	v_mov_b32_e32 v6, 0x7f800001
	s_mov_b32 s20, exec_lo
	s_delay_alu instid0(VALU_DEP_2)
	v_cmpx_ne_u32_e32 0x7f, v73
	s_cbranch_execz .LBB396_376
; %bb.373:                              ;   in Loop: Header=BB396_10 Depth=1
	v_and_b32_e32 v6, 7, v72
	v_lshrrev_b32_e32 v63, 3, v73
	s_mov_b32 s21, exec_lo
	v_cmpx_gt_u32_e32 8, v73
; %bb.374:                              ;   in Loop: Header=BB396_10 Depth=1
	s_delay_alu instid0(VALU_DEP_3) | instskip(NEXT) | instid1(VALU_DEP_1)
	v_clz_i32_u32_e32 v63, v6
	v_min_u32_e32 v63, 32, v63
	s_delay_alu instid0(VALU_DEP_1) | instskip(SKIP_1) | instid1(VALU_DEP_2)
	v_subrev_nc_u32_e32 v73, 28, v63
	v_sub_nc_u32_e32 v63, 29, v63
	v_lshlrev_b64 v[73:74], v73, v[6:7]
	s_delay_alu instid0(VALU_DEP_1)
	v_and_b32_e32 v6, 7, v73
; %bb.375:                              ;   in Loop: Header=BB396_10 Depth=1
	s_or_b32 exec_lo, exec_lo, s21
	v_lshlrev_b32_e32 v73, 24, v72
	s_delay_alu instid0(VALU_DEP_2) | instskip(SKIP_1) | instid1(VALU_DEP_3)
	v_lshlrev_b32_e32 v6, 20, v6
	v_lshl_add_u32 v63, v63, 23, 0x3c000000
	v_and_b32_e32 v73, 0x80000000, v73
	s_delay_alu instid0(VALU_DEP_1)
	v_or3_b32 v6, v6, v73, v63
.LBB396_376:                            ;   in Loop: Header=BB396_10 Depth=1
	s_or_b32 exec_lo, exec_lo, s20
.LBB396_377:                            ;   in Loop: Header=BB396_10 Depth=1
	s_delay_alu instid0(SALU_CYCLE_1)
	s_or_b32 exec_lo, exec_lo, s19
.LBB396_378:                            ;   in Loop: Header=BB396_10 Depth=1
	s_delay_alu instid0(SALU_CYCLE_1) | instskip(NEXT) | instid1(VALU_DEP_1)
	s_or_b32 exec_lo, exec_lo, s3
	v_mul_f32_e32 v6, v160, v6
	s_delay_alu instid0(VALU_DEP_1) | instskip(NEXT) | instid1(VALU_DEP_1)
	v_and_b32_e32 v63, 0x7f800000, v6
	v_cmp_ne_u32_e64 s2, 0x7f800000, v63
                                        ; implicit-def: $vgpr63
	s_delay_alu instid0(VALU_DEP_1) | instskip(NEXT) | instid1(SALU_CYCLE_1)
	s_and_saveexec_b32 s3, s2
	s_xor_b32 s2, exec_lo, s3
; %bb.379:                              ;   in Loop: Header=BB396_10 Depth=1
	v_bfe_u32 v63, v6, 16, 1
	s_delay_alu instid0(VALU_DEP_1)
	v_add3_u32 v63, v6, v63, 0x7fff
                                        ; implicit-def: $vgpr6
; %bb.380:                              ;   in Loop: Header=BB396_10 Depth=1
	s_and_not1_saveexec_b32 s3, s2
; %bb.381:                              ;   in Loop: Header=BB396_10 Depth=1
	v_and_b32_e32 v63, 0xffff, v6
	v_or_b32_e32 v73, 0x10000, v6
	s_delay_alu instid0(VALU_DEP_2) | instskip(NEXT) | instid1(VALU_DEP_1)
	v_cmp_eq_u32_e64 s2, 0, v63
	v_cndmask_b32_e64 v63, v73, v6, s2
; %bb.382:                              ;   in Loop: Header=BB396_10 Depth=1
	s_or_b32 exec_lo, exec_lo, s3
	v_lshrrev_b16 v73, 8, v72
	v_mov_b32_e32 v6, 0
	s_mov_b32 s3, exec_lo
	s_delay_alu instid0(VALU_DEP_2)
	v_cmpx_ne_u16_e32 0, v73
	s_cbranch_execz .LBB396_390
; %bb.383:                              ;   in Loop: Header=BB396_10 Depth=1
	v_bfrev_b32_e32 v6, 1
	s_mov_b32 s19, exec_lo
	v_cmpx_ne_u16_e32 0x80, v73
	s_cbranch_execz .LBB396_389
; %bb.384:                              ;   in Loop: Header=BB396_10 Depth=1
	v_and_b32_e32 v73, 0xffff, v73
	v_mov_b32_e32 v6, 0x7f800001
	s_mov_b32 s20, exec_lo
	s_delay_alu instid0(VALU_DEP_2) | instskip(NEXT) | instid1(VALU_DEP_1)
	v_and_b32_e32 v74, 0x7f, v73
	v_cmpx_ne_u32_e32 0x7f, v74
	s_cbranch_execz .LBB396_388
; %bb.385:                              ;   in Loop: Header=BB396_10 Depth=1
	v_and_b32_e32 v6, 7, v73
	v_lshrrev_b32_e32 v73, 3, v74
	s_mov_b32 s21, exec_lo
	v_cmpx_gt_u32_e32 8, v74
; %bb.386:                              ;   in Loop: Header=BB396_10 Depth=1
	s_delay_alu instid0(VALU_DEP_3) | instskip(NEXT) | instid1(VALU_DEP_1)
	v_clz_i32_u32_e32 v73, v6
	v_min_u32_e32 v73, 32, v73
	s_delay_alu instid0(VALU_DEP_1) | instskip(SKIP_1) | instid1(VALU_DEP_2)
	v_subrev_nc_u32_e32 v74, 28, v73
	v_sub_nc_u32_e32 v73, 29, v73
	v_lshlrev_b64 v[74:75], v74, v[6:7]
	s_delay_alu instid0(VALU_DEP_1)
	v_and_b32_e32 v6, 7, v74
; %bb.387:                              ;   in Loop: Header=BB396_10 Depth=1
	s_or_b32 exec_lo, exec_lo, s21
	v_lshlrev_b32_e32 v72, 16, v72
	s_delay_alu instid0(VALU_DEP_2) | instskip(SKIP_1) | instid1(VALU_DEP_3)
	v_lshlrev_b32_e32 v6, 20, v6
	v_lshl_add_u32 v73, v73, 23, 0x3c000000
	v_and_b32_e32 v72, 0x80000000, v72
	s_delay_alu instid0(VALU_DEP_1)
	v_or3_b32 v6, v6, v72, v73
.LBB396_388:                            ;   in Loop: Header=BB396_10 Depth=1
	s_or_b32 exec_lo, exec_lo, s20
.LBB396_389:                            ;   in Loop: Header=BB396_10 Depth=1
	s_delay_alu instid0(SALU_CYCLE_1)
	s_or_b32 exec_lo, exec_lo, s19
.LBB396_390:                            ;   in Loop: Header=BB396_10 Depth=1
	s_delay_alu instid0(SALU_CYCLE_1) | instskip(NEXT) | instid1(VALU_DEP_1)
	s_or_b32 exec_lo, exec_lo, s3
	v_mul_f32_e32 v6, v160, v6
	s_delay_alu instid0(VALU_DEP_1) | instskip(NEXT) | instid1(VALU_DEP_1)
	v_and_b32_e32 v72, 0x7f800000, v6
	v_cmp_ne_u32_e64 s2, 0x7f800000, v72
                                        ; implicit-def: $vgpr72
	s_delay_alu instid0(VALU_DEP_1) | instskip(NEXT) | instid1(SALU_CYCLE_1)
	s_and_saveexec_b32 s3, s2
	s_xor_b32 s2, exec_lo, s3
; %bb.391:                              ;   in Loop: Header=BB396_10 Depth=1
	v_bfe_u32 v72, v6, 16, 1
	s_delay_alu instid0(VALU_DEP_1)
	v_add3_u32 v72, v6, v72, 0x7fff
                                        ; implicit-def: $vgpr6
; %bb.392:                              ;   in Loop: Header=BB396_10 Depth=1
	s_and_not1_saveexec_b32 s3, s2
; %bb.393:                              ;   in Loop: Header=BB396_10 Depth=1
	v_and_b32_e32 v72, 0xffff, v6
	v_or_b32_e32 v73, 0x10000, v6
	s_delay_alu instid0(VALU_DEP_2) | instskip(NEXT) | instid1(VALU_DEP_1)
	v_cmp_eq_u32_e64 s2, 0, v72
	v_cndmask_b32_e64 v72, v73, v6, s2
; %bb.394:                              ;   in Loop: Header=BB396_10 Depth=1
	s_or_b32 exec_lo, exec_lo, s3
	flat_load_u16 v6, v[28:29] offset:1024
	s_mov_b32 s3, exec_lo
	s_waitcnt vmcnt(0) lgkmcnt(0)
	v_and_b32_e32 v73, 0xff, v6
	v_and_b32_e32 v74, 0xffff, v6
	v_mov_b32_e32 v6, 0
	s_delay_alu instid0(VALU_DEP_3)
	v_cmpx_ne_u16_e32 0, v73
	s_cbranch_execz .LBB396_402
; %bb.395:                              ;   in Loop: Header=BB396_10 Depth=1
	s_delay_alu instid0(VALU_DEP_3) | instskip(NEXT) | instid1(VALU_DEP_1)
	v_and_b32_e32 v6, 0xff, v74
	v_cmp_ne_u16_e64 s2, 0x80, v6
	v_bfrev_b32_e32 v6, 1
	s_delay_alu instid0(VALU_DEP_2)
	s_and_saveexec_b32 s19, s2
	s_cbranch_execz .LBB396_401
; %bb.396:                              ;   in Loop: Header=BB396_10 Depth=1
	v_and_b32_e32 v75, 0x7f, v74
	v_mov_b32_e32 v6, 0x7f800001
	s_mov_b32 s20, exec_lo
	s_delay_alu instid0(VALU_DEP_2)
	v_cmpx_ne_u32_e32 0x7f, v75
	s_cbranch_execz .LBB396_400
; %bb.397:                              ;   in Loop: Header=BB396_10 Depth=1
	v_and_b32_e32 v6, 7, v74
	v_lshrrev_b32_e32 v73, 3, v75
	s_mov_b32 s21, exec_lo
	v_cmpx_gt_u32_e32 8, v75
; %bb.398:                              ;   in Loop: Header=BB396_10 Depth=1
	s_delay_alu instid0(VALU_DEP_3) | instskip(NEXT) | instid1(VALU_DEP_1)
	v_clz_i32_u32_e32 v73, v6
	v_min_u32_e32 v73, 32, v73
	s_delay_alu instid0(VALU_DEP_1) | instskip(SKIP_1) | instid1(VALU_DEP_2)
	v_subrev_nc_u32_e32 v75, 28, v73
	v_sub_nc_u32_e32 v73, 29, v73
	v_lshlrev_b64 v[75:76], v75, v[6:7]
	s_delay_alu instid0(VALU_DEP_1)
	v_and_b32_e32 v6, 7, v75
; %bb.399:                              ;   in Loop: Header=BB396_10 Depth=1
	s_or_b32 exec_lo, exec_lo, s21
	v_lshlrev_b32_e32 v75, 24, v74
	s_delay_alu instid0(VALU_DEP_2) | instskip(SKIP_1) | instid1(VALU_DEP_3)
	v_lshlrev_b32_e32 v6, 20, v6
	v_lshl_add_u32 v73, v73, 23, 0x3c000000
	v_and_b32_e32 v75, 0x80000000, v75
	s_delay_alu instid0(VALU_DEP_1)
	v_or3_b32 v6, v6, v75, v73
.LBB396_400:                            ;   in Loop: Header=BB396_10 Depth=1
	s_or_b32 exec_lo, exec_lo, s20
.LBB396_401:                            ;   in Loop: Header=BB396_10 Depth=1
	s_delay_alu instid0(SALU_CYCLE_1)
	s_or_b32 exec_lo, exec_lo, s19
.LBB396_402:                            ;   in Loop: Header=BB396_10 Depth=1
	s_delay_alu instid0(SALU_CYCLE_1) | instskip(NEXT) | instid1(VALU_DEP_1)
	s_or_b32 exec_lo, exec_lo, s3
	v_mul_f32_e32 v6, v160, v6
	s_delay_alu instid0(VALU_DEP_1) | instskip(NEXT) | instid1(VALU_DEP_1)
	v_and_b32_e32 v73, 0x7f800000, v6
	v_cmp_ne_u32_e64 s2, 0x7f800000, v73
                                        ; implicit-def: $vgpr73
	s_delay_alu instid0(VALU_DEP_1) | instskip(NEXT) | instid1(SALU_CYCLE_1)
	s_and_saveexec_b32 s3, s2
	s_xor_b32 s2, exec_lo, s3
; %bb.403:                              ;   in Loop: Header=BB396_10 Depth=1
	v_bfe_u32 v73, v6, 16, 1
	s_delay_alu instid0(VALU_DEP_1)
	v_add3_u32 v73, v6, v73, 0x7fff
                                        ; implicit-def: $vgpr6
; %bb.404:                              ;   in Loop: Header=BB396_10 Depth=1
	s_and_not1_saveexec_b32 s3, s2
; %bb.405:                              ;   in Loop: Header=BB396_10 Depth=1
	v_and_b32_e32 v73, 0xffff, v6
	v_or_b32_e32 v75, 0x10000, v6
	s_delay_alu instid0(VALU_DEP_2) | instskip(NEXT) | instid1(VALU_DEP_1)
	v_cmp_eq_u32_e64 s2, 0, v73
	v_cndmask_b32_e64 v73, v75, v6, s2
; %bb.406:                              ;   in Loop: Header=BB396_10 Depth=1
	s_or_b32 exec_lo, exec_lo, s3
	v_lshrrev_b16 v75, 8, v74
	v_mov_b32_e32 v6, 0
	s_mov_b32 s3, exec_lo
	s_delay_alu instid0(VALU_DEP_2)
	v_cmpx_ne_u16_e32 0, v75
	s_cbranch_execz .LBB396_414
; %bb.407:                              ;   in Loop: Header=BB396_10 Depth=1
	v_bfrev_b32_e32 v6, 1
	s_mov_b32 s19, exec_lo
	v_cmpx_ne_u16_e32 0x80, v75
	s_cbranch_execz .LBB396_413
; %bb.408:                              ;   in Loop: Header=BB396_10 Depth=1
	v_and_b32_e32 v75, 0xffff, v75
	v_mov_b32_e32 v6, 0x7f800001
	s_mov_b32 s20, exec_lo
	s_delay_alu instid0(VALU_DEP_2) | instskip(NEXT) | instid1(VALU_DEP_1)
	v_and_b32_e32 v76, 0x7f, v75
	v_cmpx_ne_u32_e32 0x7f, v76
	s_cbranch_execz .LBB396_412
; %bb.409:                              ;   in Loop: Header=BB396_10 Depth=1
	v_and_b32_e32 v6, 7, v75
	v_lshrrev_b32_e32 v75, 3, v76
	s_mov_b32 s21, exec_lo
	v_cmpx_gt_u32_e32 8, v76
; %bb.410:                              ;   in Loop: Header=BB396_10 Depth=1
	s_delay_alu instid0(VALU_DEP_3) | instskip(NEXT) | instid1(VALU_DEP_1)
	v_clz_i32_u32_e32 v75, v6
	v_min_u32_e32 v75, 32, v75
	s_delay_alu instid0(VALU_DEP_1) | instskip(SKIP_1) | instid1(VALU_DEP_2)
	v_subrev_nc_u32_e32 v76, 28, v75
	v_sub_nc_u32_e32 v75, 29, v75
	v_lshlrev_b64 v[76:77], v76, v[6:7]
	s_delay_alu instid0(VALU_DEP_1)
	v_and_b32_e32 v6, 7, v76
; %bb.411:                              ;   in Loop: Header=BB396_10 Depth=1
	s_or_b32 exec_lo, exec_lo, s21
	v_lshlrev_b32_e32 v74, 16, v74
	s_delay_alu instid0(VALU_DEP_2) | instskip(SKIP_1) | instid1(VALU_DEP_3)
	v_lshlrev_b32_e32 v6, 20, v6
	v_lshl_add_u32 v75, v75, 23, 0x3c000000
	v_and_b32_e32 v74, 0x80000000, v74
	s_delay_alu instid0(VALU_DEP_1)
	v_or3_b32 v6, v6, v74, v75
.LBB396_412:                            ;   in Loop: Header=BB396_10 Depth=1
	s_or_b32 exec_lo, exec_lo, s20
.LBB396_413:                            ;   in Loop: Header=BB396_10 Depth=1
	s_delay_alu instid0(SALU_CYCLE_1)
	s_or_b32 exec_lo, exec_lo, s19
.LBB396_414:                            ;   in Loop: Header=BB396_10 Depth=1
	s_delay_alu instid0(SALU_CYCLE_1) | instskip(NEXT) | instid1(VALU_DEP_1)
	s_or_b32 exec_lo, exec_lo, s3
	v_mul_f32_e32 v6, v160, v6
	s_delay_alu instid0(VALU_DEP_1) | instskip(NEXT) | instid1(VALU_DEP_1)
	v_and_b32_e32 v74, 0x7f800000, v6
	v_cmp_ne_u32_e64 s2, 0x7f800000, v74
                                        ; implicit-def: $vgpr74
	s_delay_alu instid0(VALU_DEP_1) | instskip(NEXT) | instid1(SALU_CYCLE_1)
	s_and_saveexec_b32 s3, s2
	s_xor_b32 s2, exec_lo, s3
; %bb.415:                              ;   in Loop: Header=BB396_10 Depth=1
	v_bfe_u32 v74, v6, 16, 1
	s_delay_alu instid0(VALU_DEP_1)
	v_add3_u32 v74, v6, v74, 0x7fff
                                        ; implicit-def: $vgpr6
; %bb.416:                              ;   in Loop: Header=BB396_10 Depth=1
	s_and_not1_saveexec_b32 s3, s2
; %bb.417:                              ;   in Loop: Header=BB396_10 Depth=1
	v_and_b32_e32 v74, 0xffff, v6
	v_or_b32_e32 v75, 0x10000, v6
	s_delay_alu instid0(VALU_DEP_2) | instskip(NEXT) | instid1(VALU_DEP_1)
	v_cmp_eq_u32_e64 s2, 0, v74
	v_cndmask_b32_e64 v74, v75, v6, s2
; %bb.418:                              ;   in Loop: Header=BB396_10 Depth=1
	s_or_b32 exec_lo, exec_lo, s3
	flat_load_u16 v6, v[28:29] offset:1032
	s_mov_b32 s3, exec_lo
	s_waitcnt vmcnt(0) lgkmcnt(0)
	v_and_b32_e32 v75, 0xff, v6
	v_and_b32_e32 v76, 0xffff, v6
	v_mov_b32_e32 v6, 0
	s_delay_alu instid0(VALU_DEP_3)
	v_cmpx_ne_u16_e32 0, v75
	s_cbranch_execz .LBB396_426
; %bb.419:                              ;   in Loop: Header=BB396_10 Depth=1
	s_delay_alu instid0(VALU_DEP_3) | instskip(NEXT) | instid1(VALU_DEP_1)
	v_and_b32_e32 v6, 0xff, v76
	v_cmp_ne_u16_e64 s2, 0x80, v6
	v_bfrev_b32_e32 v6, 1
	s_delay_alu instid0(VALU_DEP_2)
	s_and_saveexec_b32 s19, s2
	s_cbranch_execz .LBB396_425
; %bb.420:                              ;   in Loop: Header=BB396_10 Depth=1
	v_and_b32_e32 v77, 0x7f, v76
	v_mov_b32_e32 v6, 0x7f800001
	s_mov_b32 s20, exec_lo
	s_delay_alu instid0(VALU_DEP_2)
	v_cmpx_ne_u32_e32 0x7f, v77
	s_cbranch_execz .LBB396_424
; %bb.421:                              ;   in Loop: Header=BB396_10 Depth=1
	v_and_b32_e32 v6, 7, v76
	v_lshrrev_b32_e32 v75, 3, v77
	s_mov_b32 s21, exec_lo
	v_cmpx_gt_u32_e32 8, v77
; %bb.422:                              ;   in Loop: Header=BB396_10 Depth=1
	s_delay_alu instid0(VALU_DEP_3) | instskip(NEXT) | instid1(VALU_DEP_1)
	v_clz_i32_u32_e32 v75, v6
	v_min_u32_e32 v75, 32, v75
	s_delay_alu instid0(VALU_DEP_1) | instskip(SKIP_1) | instid1(VALU_DEP_2)
	v_subrev_nc_u32_e32 v77, 28, v75
	v_sub_nc_u32_e32 v75, 29, v75
	v_lshlrev_b64 v[77:78], v77, v[6:7]
	s_delay_alu instid0(VALU_DEP_1)
	v_and_b32_e32 v6, 7, v77
; %bb.423:                              ;   in Loop: Header=BB396_10 Depth=1
	s_or_b32 exec_lo, exec_lo, s21
	v_lshlrev_b32_e32 v77, 24, v76
	s_delay_alu instid0(VALU_DEP_2) | instskip(SKIP_1) | instid1(VALU_DEP_3)
	v_lshlrev_b32_e32 v6, 20, v6
	v_lshl_add_u32 v75, v75, 23, 0x3c000000
	v_and_b32_e32 v77, 0x80000000, v77
	s_delay_alu instid0(VALU_DEP_1)
	v_or3_b32 v6, v6, v77, v75
.LBB396_424:                            ;   in Loop: Header=BB396_10 Depth=1
	s_or_b32 exec_lo, exec_lo, s20
.LBB396_425:                            ;   in Loop: Header=BB396_10 Depth=1
	s_delay_alu instid0(SALU_CYCLE_1)
	s_or_b32 exec_lo, exec_lo, s19
.LBB396_426:                            ;   in Loop: Header=BB396_10 Depth=1
	s_delay_alu instid0(SALU_CYCLE_1) | instskip(NEXT) | instid1(VALU_DEP_1)
	s_or_b32 exec_lo, exec_lo, s3
	v_mul_f32_e32 v6, v160, v6
	s_delay_alu instid0(VALU_DEP_1) | instskip(NEXT) | instid1(VALU_DEP_1)
	v_and_b32_e32 v75, 0x7f800000, v6
	v_cmp_ne_u32_e64 s2, 0x7f800000, v75
                                        ; implicit-def: $vgpr75
	s_delay_alu instid0(VALU_DEP_1) | instskip(NEXT) | instid1(SALU_CYCLE_1)
	s_and_saveexec_b32 s3, s2
	s_xor_b32 s2, exec_lo, s3
; %bb.427:                              ;   in Loop: Header=BB396_10 Depth=1
	v_bfe_u32 v75, v6, 16, 1
	s_delay_alu instid0(VALU_DEP_1)
	v_add3_u32 v75, v6, v75, 0x7fff
                                        ; implicit-def: $vgpr6
; %bb.428:                              ;   in Loop: Header=BB396_10 Depth=1
	s_and_not1_saveexec_b32 s3, s2
; %bb.429:                              ;   in Loop: Header=BB396_10 Depth=1
	v_and_b32_e32 v75, 0xffff, v6
	v_or_b32_e32 v77, 0x10000, v6
	s_delay_alu instid0(VALU_DEP_2) | instskip(NEXT) | instid1(VALU_DEP_1)
	v_cmp_eq_u32_e64 s2, 0, v75
	v_cndmask_b32_e64 v75, v77, v6, s2
; %bb.430:                              ;   in Loop: Header=BB396_10 Depth=1
	s_or_b32 exec_lo, exec_lo, s3
	v_lshrrev_b16 v77, 8, v76
	v_mov_b32_e32 v6, 0
	s_mov_b32 s3, exec_lo
	s_delay_alu instid0(VALU_DEP_2)
	v_cmpx_ne_u16_e32 0, v77
	s_cbranch_execz .LBB396_438
; %bb.431:                              ;   in Loop: Header=BB396_10 Depth=1
	v_bfrev_b32_e32 v6, 1
	s_mov_b32 s19, exec_lo
	v_cmpx_ne_u16_e32 0x80, v77
	s_cbranch_execz .LBB396_437
; %bb.432:                              ;   in Loop: Header=BB396_10 Depth=1
	v_and_b32_e32 v77, 0xffff, v77
	v_mov_b32_e32 v6, 0x7f800001
	s_mov_b32 s20, exec_lo
	s_delay_alu instid0(VALU_DEP_2) | instskip(NEXT) | instid1(VALU_DEP_1)
	v_and_b32_e32 v78, 0x7f, v77
	v_cmpx_ne_u32_e32 0x7f, v78
	s_cbranch_execz .LBB396_436
; %bb.433:                              ;   in Loop: Header=BB396_10 Depth=1
	v_and_b32_e32 v6, 7, v77
	v_lshrrev_b32_e32 v77, 3, v78
	s_mov_b32 s21, exec_lo
	v_cmpx_gt_u32_e32 8, v78
; %bb.434:                              ;   in Loop: Header=BB396_10 Depth=1
	s_delay_alu instid0(VALU_DEP_3) | instskip(NEXT) | instid1(VALU_DEP_1)
	v_clz_i32_u32_e32 v77, v6
	v_min_u32_e32 v77, 32, v77
	s_delay_alu instid0(VALU_DEP_1) | instskip(SKIP_1) | instid1(VALU_DEP_2)
	v_subrev_nc_u32_e32 v78, 28, v77
	v_sub_nc_u32_e32 v77, 29, v77
	v_lshlrev_b64 v[78:79], v78, v[6:7]
	s_delay_alu instid0(VALU_DEP_1)
	v_and_b32_e32 v6, 7, v78
; %bb.435:                              ;   in Loop: Header=BB396_10 Depth=1
	s_or_b32 exec_lo, exec_lo, s21
	v_lshlrev_b32_e32 v76, 16, v76
	s_delay_alu instid0(VALU_DEP_2) | instskip(SKIP_1) | instid1(VALU_DEP_3)
	v_lshlrev_b32_e32 v6, 20, v6
	v_lshl_add_u32 v77, v77, 23, 0x3c000000
	v_and_b32_e32 v76, 0x80000000, v76
	s_delay_alu instid0(VALU_DEP_1)
	v_or3_b32 v6, v6, v76, v77
.LBB396_436:                            ;   in Loop: Header=BB396_10 Depth=1
	s_or_b32 exec_lo, exec_lo, s20
.LBB396_437:                            ;   in Loop: Header=BB396_10 Depth=1
	s_delay_alu instid0(SALU_CYCLE_1)
	s_or_b32 exec_lo, exec_lo, s19
.LBB396_438:                            ;   in Loop: Header=BB396_10 Depth=1
	s_delay_alu instid0(SALU_CYCLE_1) | instskip(NEXT) | instid1(VALU_DEP_1)
	s_or_b32 exec_lo, exec_lo, s3
	v_mul_f32_e32 v6, v160, v6
	s_delay_alu instid0(VALU_DEP_1) | instskip(NEXT) | instid1(VALU_DEP_1)
	v_and_b32_e32 v76, 0x7f800000, v6
	v_cmp_ne_u32_e64 s2, 0x7f800000, v76
                                        ; implicit-def: $vgpr76
	s_delay_alu instid0(VALU_DEP_1) | instskip(NEXT) | instid1(SALU_CYCLE_1)
	s_and_saveexec_b32 s3, s2
	s_xor_b32 s2, exec_lo, s3
; %bb.439:                              ;   in Loop: Header=BB396_10 Depth=1
	v_bfe_u32 v76, v6, 16, 1
	s_delay_alu instid0(VALU_DEP_1)
	v_add3_u32 v76, v6, v76, 0x7fff
                                        ; implicit-def: $vgpr6
; %bb.440:                              ;   in Loop: Header=BB396_10 Depth=1
	s_and_not1_saveexec_b32 s3, s2
; %bb.441:                              ;   in Loop: Header=BB396_10 Depth=1
	v_and_b32_e32 v76, 0xffff, v6
	v_or_b32_e32 v77, 0x10000, v6
	s_delay_alu instid0(VALU_DEP_2) | instskip(NEXT) | instid1(VALU_DEP_1)
	v_cmp_eq_u32_e64 s2, 0, v76
	v_cndmask_b32_e64 v76, v77, v6, s2
; %bb.442:                              ;   in Loop: Header=BB396_10 Depth=1
	s_or_b32 exec_lo, exec_lo, s3
	flat_load_u16 v6, v[28:29] offset:1152
	s_mov_b32 s3, exec_lo
	s_waitcnt vmcnt(0) lgkmcnt(0)
	v_and_b32_e32 v77, 0xff, v6
	v_and_b32_e32 v78, 0xffff, v6
	v_mov_b32_e32 v6, 0
	s_delay_alu instid0(VALU_DEP_3)
	v_cmpx_ne_u16_e32 0, v77
	s_cbranch_execz .LBB396_450
; %bb.443:                              ;   in Loop: Header=BB396_10 Depth=1
	s_delay_alu instid0(VALU_DEP_3) | instskip(NEXT) | instid1(VALU_DEP_1)
	v_and_b32_e32 v6, 0xff, v78
	v_cmp_ne_u16_e64 s2, 0x80, v6
	v_bfrev_b32_e32 v6, 1
	s_delay_alu instid0(VALU_DEP_2)
	s_and_saveexec_b32 s19, s2
	s_cbranch_execz .LBB396_449
; %bb.444:                              ;   in Loop: Header=BB396_10 Depth=1
	v_and_b32_e32 v79, 0x7f, v78
	v_mov_b32_e32 v6, 0x7f800001
	s_mov_b32 s20, exec_lo
	s_delay_alu instid0(VALU_DEP_2)
	v_cmpx_ne_u32_e32 0x7f, v79
	s_cbranch_execz .LBB396_448
; %bb.445:                              ;   in Loop: Header=BB396_10 Depth=1
	v_and_b32_e32 v6, 7, v78
	v_lshrrev_b32_e32 v77, 3, v79
	s_mov_b32 s21, exec_lo
	v_cmpx_gt_u32_e32 8, v79
; %bb.446:                              ;   in Loop: Header=BB396_10 Depth=1
	s_delay_alu instid0(VALU_DEP_3) | instskip(NEXT) | instid1(VALU_DEP_1)
	v_clz_i32_u32_e32 v77, v6
	v_min_u32_e32 v77, 32, v77
	s_delay_alu instid0(VALU_DEP_1) | instskip(SKIP_1) | instid1(VALU_DEP_2)
	v_subrev_nc_u32_e32 v79, 28, v77
	v_sub_nc_u32_e32 v77, 29, v77
	v_lshlrev_b64 v[88:89], v79, v[6:7]
	s_delay_alu instid0(VALU_DEP_1)
	v_and_b32_e32 v6, 7, v88
; %bb.447:                              ;   in Loop: Header=BB396_10 Depth=1
	s_or_b32 exec_lo, exec_lo, s21
	v_lshlrev_b32_e32 v79, 24, v78
	s_delay_alu instid0(VALU_DEP_2) | instskip(SKIP_1) | instid1(VALU_DEP_3)
	v_lshlrev_b32_e32 v6, 20, v6
	v_lshl_add_u32 v77, v77, 23, 0x3c000000
	v_and_b32_e32 v79, 0x80000000, v79
	s_delay_alu instid0(VALU_DEP_1)
	v_or3_b32 v6, v6, v79, v77
.LBB396_448:                            ;   in Loop: Header=BB396_10 Depth=1
	s_or_b32 exec_lo, exec_lo, s20
.LBB396_449:                            ;   in Loop: Header=BB396_10 Depth=1
	s_delay_alu instid0(SALU_CYCLE_1)
	s_or_b32 exec_lo, exec_lo, s19
.LBB396_450:                            ;   in Loop: Header=BB396_10 Depth=1
	s_delay_alu instid0(SALU_CYCLE_1) | instskip(NEXT) | instid1(VALU_DEP_1)
	s_or_b32 exec_lo, exec_lo, s3
	v_mul_f32_e32 v6, v160, v6
	s_delay_alu instid0(VALU_DEP_1) | instskip(NEXT) | instid1(VALU_DEP_1)
	v_and_b32_e32 v77, 0x7f800000, v6
	v_cmp_ne_u32_e64 s2, 0x7f800000, v77
                                        ; implicit-def: $vgpr77
	s_delay_alu instid0(VALU_DEP_1) | instskip(NEXT) | instid1(SALU_CYCLE_1)
	s_and_saveexec_b32 s3, s2
	s_xor_b32 s2, exec_lo, s3
; %bb.451:                              ;   in Loop: Header=BB396_10 Depth=1
	v_bfe_u32 v77, v6, 16, 1
	s_delay_alu instid0(VALU_DEP_1)
	v_add3_u32 v77, v6, v77, 0x7fff
                                        ; implicit-def: $vgpr6
; %bb.452:                              ;   in Loop: Header=BB396_10 Depth=1
	s_and_not1_saveexec_b32 s3, s2
; %bb.453:                              ;   in Loop: Header=BB396_10 Depth=1
	v_and_b32_e32 v77, 0xffff, v6
	v_or_b32_e32 v79, 0x10000, v6
	s_delay_alu instid0(VALU_DEP_2) | instskip(NEXT) | instid1(VALU_DEP_1)
	v_cmp_eq_u32_e64 s2, 0, v77
	v_cndmask_b32_e64 v77, v79, v6, s2
; %bb.454:                              ;   in Loop: Header=BB396_10 Depth=1
	s_or_b32 exec_lo, exec_lo, s3
	v_lshrrev_b16 v79, 8, v78
	v_mov_b32_e32 v6, 0
	s_mov_b32 s3, exec_lo
	s_delay_alu instid0(VALU_DEP_2)
	v_cmpx_ne_u16_e32 0, v79
	s_cbranch_execz .LBB396_462
; %bb.455:                              ;   in Loop: Header=BB396_10 Depth=1
	v_bfrev_b32_e32 v6, 1
	s_mov_b32 s19, exec_lo
	v_cmpx_ne_u16_e32 0x80, v79
	s_cbranch_execz .LBB396_461
; %bb.456:                              ;   in Loop: Header=BB396_10 Depth=1
	v_and_b32_e32 v79, 0xffff, v79
	v_mov_b32_e32 v6, 0x7f800001
	s_mov_b32 s20, exec_lo
	s_delay_alu instid0(VALU_DEP_2) | instskip(NEXT) | instid1(VALU_DEP_1)
	v_and_b32_e32 v88, 0x7f, v79
	v_cmpx_ne_u32_e32 0x7f, v88
	s_cbranch_execz .LBB396_460
; %bb.457:                              ;   in Loop: Header=BB396_10 Depth=1
	v_and_b32_e32 v6, 7, v79
	v_lshrrev_b32_e32 v79, 3, v88
	s_mov_b32 s21, exec_lo
	v_cmpx_gt_u32_e32 8, v88
; %bb.458:                              ;   in Loop: Header=BB396_10 Depth=1
	s_delay_alu instid0(VALU_DEP_3) | instskip(NEXT) | instid1(VALU_DEP_1)
	v_clz_i32_u32_e32 v79, v6
	v_min_u32_e32 v79, 32, v79
	s_delay_alu instid0(VALU_DEP_1) | instskip(SKIP_1) | instid1(VALU_DEP_2)
	v_subrev_nc_u32_e32 v88, 28, v79
	v_sub_nc_u32_e32 v79, 29, v79
	v_lshlrev_b64 v[88:89], v88, v[6:7]
	s_delay_alu instid0(VALU_DEP_1)
	v_and_b32_e32 v6, 7, v88
; %bb.459:                              ;   in Loop: Header=BB396_10 Depth=1
	s_or_b32 exec_lo, exec_lo, s21
	v_lshlrev_b32_e32 v78, 16, v78
	s_delay_alu instid0(VALU_DEP_2) | instskip(SKIP_1) | instid1(VALU_DEP_3)
	v_lshlrev_b32_e32 v6, 20, v6
	v_lshl_add_u32 v79, v79, 23, 0x3c000000
	v_and_b32_e32 v78, 0x80000000, v78
	s_delay_alu instid0(VALU_DEP_1)
	v_or3_b32 v6, v6, v78, v79
.LBB396_460:                            ;   in Loop: Header=BB396_10 Depth=1
	s_or_b32 exec_lo, exec_lo, s20
.LBB396_461:                            ;   in Loop: Header=BB396_10 Depth=1
	s_delay_alu instid0(SALU_CYCLE_1)
	s_or_b32 exec_lo, exec_lo, s19
.LBB396_462:                            ;   in Loop: Header=BB396_10 Depth=1
	s_delay_alu instid0(SALU_CYCLE_1) | instskip(NEXT) | instid1(VALU_DEP_1)
	s_or_b32 exec_lo, exec_lo, s3
	v_mul_f32_e32 v6, v160, v6
	s_delay_alu instid0(VALU_DEP_1) | instskip(NEXT) | instid1(VALU_DEP_1)
	v_and_b32_e32 v78, 0x7f800000, v6
	v_cmp_ne_u32_e64 s2, 0x7f800000, v78
                                        ; implicit-def: $vgpr78
	s_delay_alu instid0(VALU_DEP_1) | instskip(NEXT) | instid1(SALU_CYCLE_1)
	s_and_saveexec_b32 s3, s2
	s_xor_b32 s2, exec_lo, s3
; %bb.463:                              ;   in Loop: Header=BB396_10 Depth=1
	v_bfe_u32 v78, v6, 16, 1
	s_delay_alu instid0(VALU_DEP_1)
	v_add3_u32 v78, v6, v78, 0x7fff
                                        ; implicit-def: $vgpr6
; %bb.464:                              ;   in Loop: Header=BB396_10 Depth=1
	s_and_not1_saveexec_b32 s3, s2
; %bb.465:                              ;   in Loop: Header=BB396_10 Depth=1
	v_and_b32_e32 v78, 0xffff, v6
	v_or_b32_e32 v79, 0x10000, v6
	s_delay_alu instid0(VALU_DEP_2) | instskip(NEXT) | instid1(VALU_DEP_1)
	v_cmp_eq_u32_e64 s2, 0, v78
	v_cndmask_b32_e64 v78, v79, v6, s2
; %bb.466:                              ;   in Loop: Header=BB396_10 Depth=1
	s_or_b32 exec_lo, exec_lo, s3
	flat_load_u16 v6, v[28:29] offset:1160
	s_mov_b32 s3, exec_lo
	s_waitcnt vmcnt(0) lgkmcnt(0)
	v_and_b32_e32 v79, 0xff, v6
	v_and_b32_e32 v88, 0xffff, v6
	v_mov_b32_e32 v6, 0
	s_delay_alu instid0(VALU_DEP_3)
	v_cmpx_ne_u16_e32 0, v79
	s_cbranch_execz .LBB396_474
; %bb.467:                              ;   in Loop: Header=BB396_10 Depth=1
	s_delay_alu instid0(VALU_DEP_3) | instskip(NEXT) | instid1(VALU_DEP_1)
	v_and_b32_e32 v6, 0xff, v88
	v_cmp_ne_u16_e64 s2, 0x80, v6
	v_bfrev_b32_e32 v6, 1
	s_delay_alu instid0(VALU_DEP_2)
	s_and_saveexec_b32 s19, s2
	s_cbranch_execz .LBB396_473
; %bb.468:                              ;   in Loop: Header=BB396_10 Depth=1
	v_and_b32_e32 v89, 0x7f, v88
	v_mov_b32_e32 v6, 0x7f800001
	s_mov_b32 s20, exec_lo
	s_delay_alu instid0(VALU_DEP_2)
	v_cmpx_ne_u32_e32 0x7f, v89
	s_cbranch_execz .LBB396_472
; %bb.469:                              ;   in Loop: Header=BB396_10 Depth=1
	v_and_b32_e32 v6, 7, v88
	v_lshrrev_b32_e32 v79, 3, v89
	s_mov_b32 s21, exec_lo
	v_cmpx_gt_u32_e32 8, v89
; %bb.470:                              ;   in Loop: Header=BB396_10 Depth=1
	s_delay_alu instid0(VALU_DEP_3) | instskip(NEXT) | instid1(VALU_DEP_1)
	v_clz_i32_u32_e32 v79, v6
	v_min_u32_e32 v79, 32, v79
	s_delay_alu instid0(VALU_DEP_1) | instskip(SKIP_1) | instid1(VALU_DEP_2)
	v_subrev_nc_u32_e32 v89, 28, v79
	v_sub_nc_u32_e32 v79, 29, v79
	v_lshlrev_b64 v[89:90], v89, v[6:7]
	s_delay_alu instid0(VALU_DEP_1)
	v_and_b32_e32 v6, 7, v89
; %bb.471:                              ;   in Loop: Header=BB396_10 Depth=1
	s_or_b32 exec_lo, exec_lo, s21
	v_lshlrev_b32_e32 v89, 24, v88
	s_delay_alu instid0(VALU_DEP_2) | instskip(SKIP_1) | instid1(VALU_DEP_3)
	v_lshlrev_b32_e32 v6, 20, v6
	v_lshl_add_u32 v79, v79, 23, 0x3c000000
	v_and_b32_e32 v89, 0x80000000, v89
	s_delay_alu instid0(VALU_DEP_1)
	v_or3_b32 v6, v6, v89, v79
.LBB396_472:                            ;   in Loop: Header=BB396_10 Depth=1
	s_or_b32 exec_lo, exec_lo, s20
.LBB396_473:                            ;   in Loop: Header=BB396_10 Depth=1
	s_delay_alu instid0(SALU_CYCLE_1)
	s_or_b32 exec_lo, exec_lo, s19
.LBB396_474:                            ;   in Loop: Header=BB396_10 Depth=1
	s_delay_alu instid0(SALU_CYCLE_1) | instskip(NEXT) | instid1(VALU_DEP_1)
	s_or_b32 exec_lo, exec_lo, s3
	v_mul_f32_e32 v6, v160, v6
	s_delay_alu instid0(VALU_DEP_1) | instskip(NEXT) | instid1(VALU_DEP_1)
	v_and_b32_e32 v79, 0x7f800000, v6
	v_cmp_ne_u32_e64 s2, 0x7f800000, v79
                                        ; implicit-def: $vgpr79
	s_delay_alu instid0(VALU_DEP_1) | instskip(NEXT) | instid1(SALU_CYCLE_1)
	s_and_saveexec_b32 s3, s2
	s_xor_b32 s2, exec_lo, s3
; %bb.475:                              ;   in Loop: Header=BB396_10 Depth=1
	v_bfe_u32 v79, v6, 16, 1
	s_delay_alu instid0(VALU_DEP_1)
	v_add3_u32 v79, v6, v79, 0x7fff
                                        ; implicit-def: $vgpr6
; %bb.476:                              ;   in Loop: Header=BB396_10 Depth=1
	s_and_not1_saveexec_b32 s3, s2
; %bb.477:                              ;   in Loop: Header=BB396_10 Depth=1
	v_and_b32_e32 v79, 0xffff, v6
	v_or_b32_e32 v89, 0x10000, v6
	s_delay_alu instid0(VALU_DEP_2) | instskip(NEXT) | instid1(VALU_DEP_1)
	v_cmp_eq_u32_e64 s2, 0, v79
	v_cndmask_b32_e64 v79, v89, v6, s2
; %bb.478:                              ;   in Loop: Header=BB396_10 Depth=1
	s_or_b32 exec_lo, exec_lo, s3
	v_lshrrev_b16 v89, 8, v88
	v_mov_b32_e32 v6, 0
	s_mov_b32 s3, exec_lo
	s_delay_alu instid0(VALU_DEP_2)
	v_cmpx_ne_u16_e32 0, v89
	s_cbranch_execz .LBB396_486
; %bb.479:                              ;   in Loop: Header=BB396_10 Depth=1
	v_bfrev_b32_e32 v6, 1
	s_mov_b32 s19, exec_lo
	v_cmpx_ne_u16_e32 0x80, v89
	s_cbranch_execz .LBB396_485
; %bb.480:                              ;   in Loop: Header=BB396_10 Depth=1
	v_and_b32_e32 v89, 0xffff, v89
	v_mov_b32_e32 v6, 0x7f800001
	s_mov_b32 s20, exec_lo
	s_delay_alu instid0(VALU_DEP_2) | instskip(NEXT) | instid1(VALU_DEP_1)
	v_and_b32_e32 v90, 0x7f, v89
	v_cmpx_ne_u32_e32 0x7f, v90
	s_cbranch_execz .LBB396_484
; %bb.481:                              ;   in Loop: Header=BB396_10 Depth=1
	v_and_b32_e32 v6, 7, v89
	v_lshrrev_b32_e32 v89, 3, v90
	s_mov_b32 s21, exec_lo
	v_cmpx_gt_u32_e32 8, v90
; %bb.482:                              ;   in Loop: Header=BB396_10 Depth=1
	s_delay_alu instid0(VALU_DEP_3) | instskip(NEXT) | instid1(VALU_DEP_1)
	v_clz_i32_u32_e32 v89, v6
	v_min_u32_e32 v89, 32, v89
	s_delay_alu instid0(VALU_DEP_1) | instskip(SKIP_1) | instid1(VALU_DEP_2)
	v_subrev_nc_u32_e32 v90, 28, v89
	v_sub_nc_u32_e32 v89, 29, v89
	v_lshlrev_b64 v[90:91], v90, v[6:7]
	s_delay_alu instid0(VALU_DEP_1)
	v_and_b32_e32 v6, 7, v90
; %bb.483:                              ;   in Loop: Header=BB396_10 Depth=1
	s_or_b32 exec_lo, exec_lo, s21
	v_lshlrev_b32_e32 v88, 16, v88
	s_delay_alu instid0(VALU_DEP_2) | instskip(SKIP_1) | instid1(VALU_DEP_3)
	v_lshlrev_b32_e32 v6, 20, v6
	v_lshl_add_u32 v89, v89, 23, 0x3c000000
	v_and_b32_e32 v88, 0x80000000, v88
	s_delay_alu instid0(VALU_DEP_1)
	v_or3_b32 v6, v6, v88, v89
.LBB396_484:                            ;   in Loop: Header=BB396_10 Depth=1
	s_or_b32 exec_lo, exec_lo, s20
.LBB396_485:                            ;   in Loop: Header=BB396_10 Depth=1
	s_delay_alu instid0(SALU_CYCLE_1)
	s_or_b32 exec_lo, exec_lo, s19
.LBB396_486:                            ;   in Loop: Header=BB396_10 Depth=1
	s_delay_alu instid0(SALU_CYCLE_1) | instskip(NEXT) | instid1(VALU_DEP_1)
	s_or_b32 exec_lo, exec_lo, s3
	v_mul_f32_e32 v6, v160, v6
	s_delay_alu instid0(VALU_DEP_1) | instskip(NEXT) | instid1(VALU_DEP_1)
	v_and_b32_e32 v88, 0x7f800000, v6
	v_cmp_ne_u32_e64 s2, 0x7f800000, v88
                                        ; implicit-def: $vgpr88
	s_delay_alu instid0(VALU_DEP_1) | instskip(NEXT) | instid1(SALU_CYCLE_1)
	s_and_saveexec_b32 s3, s2
	s_xor_b32 s2, exec_lo, s3
; %bb.487:                              ;   in Loop: Header=BB396_10 Depth=1
	v_bfe_u32 v88, v6, 16, 1
	s_delay_alu instid0(VALU_DEP_1)
	v_add3_u32 v88, v6, v88, 0x7fff
                                        ; implicit-def: $vgpr6
; %bb.488:                              ;   in Loop: Header=BB396_10 Depth=1
	s_and_not1_saveexec_b32 s3, s2
; %bb.489:                              ;   in Loop: Header=BB396_10 Depth=1
	v_and_b32_e32 v88, 0xffff, v6
	v_or_b32_e32 v89, 0x10000, v6
	s_delay_alu instid0(VALU_DEP_2) | instskip(NEXT) | instid1(VALU_DEP_1)
	v_cmp_eq_u32_e64 s2, 0, v88
	v_cndmask_b32_e64 v88, v89, v6, s2
; %bb.490:                              ;   in Loop: Header=BB396_10 Depth=1
	s_or_b32 exec_lo, exec_lo, s3
	flat_load_u16 v6, v[28:29] offset:1280
	s_mov_b32 s3, exec_lo
	s_waitcnt vmcnt(0) lgkmcnt(0)
	v_and_b32_e32 v89, 0xff, v6
	v_and_b32_e32 v90, 0xffff, v6
	v_mov_b32_e32 v6, 0
	s_delay_alu instid0(VALU_DEP_3)
	v_cmpx_ne_u16_e32 0, v89
	s_cbranch_execz .LBB396_498
; %bb.491:                              ;   in Loop: Header=BB396_10 Depth=1
	s_delay_alu instid0(VALU_DEP_3) | instskip(NEXT) | instid1(VALU_DEP_1)
	v_and_b32_e32 v6, 0xff, v90
	v_cmp_ne_u16_e64 s2, 0x80, v6
	v_bfrev_b32_e32 v6, 1
	s_delay_alu instid0(VALU_DEP_2)
	s_and_saveexec_b32 s19, s2
	s_cbranch_execz .LBB396_497
; %bb.492:                              ;   in Loop: Header=BB396_10 Depth=1
	v_and_b32_e32 v91, 0x7f, v90
	v_mov_b32_e32 v6, 0x7f800001
	s_mov_b32 s20, exec_lo
	s_delay_alu instid0(VALU_DEP_2)
	v_cmpx_ne_u32_e32 0x7f, v91
	s_cbranch_execz .LBB396_496
; %bb.493:                              ;   in Loop: Header=BB396_10 Depth=1
	v_and_b32_e32 v6, 7, v90
	v_lshrrev_b32_e32 v89, 3, v91
	s_mov_b32 s21, exec_lo
	v_cmpx_gt_u32_e32 8, v91
; %bb.494:                              ;   in Loop: Header=BB396_10 Depth=1
	s_delay_alu instid0(VALU_DEP_3) | instskip(NEXT) | instid1(VALU_DEP_1)
	v_clz_i32_u32_e32 v89, v6
	v_min_u32_e32 v89, 32, v89
	s_delay_alu instid0(VALU_DEP_1) | instskip(SKIP_1) | instid1(VALU_DEP_2)
	v_subrev_nc_u32_e32 v91, 28, v89
	v_sub_nc_u32_e32 v89, 29, v89
	v_lshlrev_b64 v[91:92], v91, v[6:7]
	s_delay_alu instid0(VALU_DEP_1)
	v_and_b32_e32 v6, 7, v91
; %bb.495:                              ;   in Loop: Header=BB396_10 Depth=1
	s_or_b32 exec_lo, exec_lo, s21
	v_lshlrev_b32_e32 v91, 24, v90
	s_delay_alu instid0(VALU_DEP_2) | instskip(SKIP_1) | instid1(VALU_DEP_3)
	v_lshlrev_b32_e32 v6, 20, v6
	v_lshl_add_u32 v89, v89, 23, 0x3c000000
	v_and_b32_e32 v91, 0x80000000, v91
	s_delay_alu instid0(VALU_DEP_1)
	v_or3_b32 v6, v6, v91, v89
.LBB396_496:                            ;   in Loop: Header=BB396_10 Depth=1
	s_or_b32 exec_lo, exec_lo, s20
.LBB396_497:                            ;   in Loop: Header=BB396_10 Depth=1
	s_delay_alu instid0(SALU_CYCLE_1)
	s_or_b32 exec_lo, exec_lo, s19
.LBB396_498:                            ;   in Loop: Header=BB396_10 Depth=1
	s_delay_alu instid0(SALU_CYCLE_1) | instskip(NEXT) | instid1(VALU_DEP_1)
	s_or_b32 exec_lo, exec_lo, s3
	v_mul_f32_e32 v6, v160, v6
	s_delay_alu instid0(VALU_DEP_1) | instskip(NEXT) | instid1(VALU_DEP_1)
	v_and_b32_e32 v89, 0x7f800000, v6
	v_cmp_ne_u32_e64 s2, 0x7f800000, v89
                                        ; implicit-def: $vgpr89
	s_delay_alu instid0(VALU_DEP_1) | instskip(NEXT) | instid1(SALU_CYCLE_1)
	s_and_saveexec_b32 s3, s2
	s_xor_b32 s2, exec_lo, s3
; %bb.499:                              ;   in Loop: Header=BB396_10 Depth=1
	v_bfe_u32 v89, v6, 16, 1
	s_delay_alu instid0(VALU_DEP_1)
	v_add3_u32 v89, v6, v89, 0x7fff
                                        ; implicit-def: $vgpr6
; %bb.500:                              ;   in Loop: Header=BB396_10 Depth=1
	s_and_not1_saveexec_b32 s3, s2
; %bb.501:                              ;   in Loop: Header=BB396_10 Depth=1
	v_and_b32_e32 v89, 0xffff, v6
	v_or_b32_e32 v91, 0x10000, v6
	s_delay_alu instid0(VALU_DEP_2) | instskip(NEXT) | instid1(VALU_DEP_1)
	v_cmp_eq_u32_e64 s2, 0, v89
	v_cndmask_b32_e64 v89, v91, v6, s2
; %bb.502:                              ;   in Loop: Header=BB396_10 Depth=1
	s_or_b32 exec_lo, exec_lo, s3
	v_lshrrev_b16 v91, 8, v90
	v_mov_b32_e32 v6, 0
	s_mov_b32 s3, exec_lo
	s_delay_alu instid0(VALU_DEP_2)
	v_cmpx_ne_u16_e32 0, v91
	s_cbranch_execz .LBB396_510
; %bb.503:                              ;   in Loop: Header=BB396_10 Depth=1
	v_bfrev_b32_e32 v6, 1
	s_mov_b32 s19, exec_lo
	v_cmpx_ne_u16_e32 0x80, v91
	s_cbranch_execz .LBB396_509
; %bb.504:                              ;   in Loop: Header=BB396_10 Depth=1
	v_and_b32_e32 v91, 0xffff, v91
	v_mov_b32_e32 v6, 0x7f800001
	s_mov_b32 s20, exec_lo
	s_delay_alu instid0(VALU_DEP_2) | instskip(NEXT) | instid1(VALU_DEP_1)
	v_and_b32_e32 v92, 0x7f, v91
	v_cmpx_ne_u32_e32 0x7f, v92
	s_cbranch_execz .LBB396_508
; %bb.505:                              ;   in Loop: Header=BB396_10 Depth=1
	v_and_b32_e32 v6, 7, v91
	v_lshrrev_b32_e32 v91, 3, v92
	s_mov_b32 s21, exec_lo
	v_cmpx_gt_u32_e32 8, v92
; %bb.506:                              ;   in Loop: Header=BB396_10 Depth=1
	s_delay_alu instid0(VALU_DEP_3) | instskip(NEXT) | instid1(VALU_DEP_1)
	v_clz_i32_u32_e32 v91, v6
	v_min_u32_e32 v91, 32, v91
	s_delay_alu instid0(VALU_DEP_1) | instskip(SKIP_1) | instid1(VALU_DEP_2)
	v_subrev_nc_u32_e32 v92, 28, v91
	v_sub_nc_u32_e32 v91, 29, v91
	v_lshlrev_b64 v[92:93], v92, v[6:7]
	s_delay_alu instid0(VALU_DEP_1)
	v_and_b32_e32 v6, 7, v92
; %bb.507:                              ;   in Loop: Header=BB396_10 Depth=1
	s_or_b32 exec_lo, exec_lo, s21
	v_lshlrev_b32_e32 v90, 16, v90
	s_delay_alu instid0(VALU_DEP_2) | instskip(SKIP_1) | instid1(VALU_DEP_3)
	v_lshlrev_b32_e32 v6, 20, v6
	v_lshl_add_u32 v91, v91, 23, 0x3c000000
	v_and_b32_e32 v90, 0x80000000, v90
	s_delay_alu instid0(VALU_DEP_1)
	v_or3_b32 v6, v6, v90, v91
.LBB396_508:                            ;   in Loop: Header=BB396_10 Depth=1
	s_or_b32 exec_lo, exec_lo, s20
.LBB396_509:                            ;   in Loop: Header=BB396_10 Depth=1
	s_delay_alu instid0(SALU_CYCLE_1)
	s_or_b32 exec_lo, exec_lo, s19
.LBB396_510:                            ;   in Loop: Header=BB396_10 Depth=1
	s_delay_alu instid0(SALU_CYCLE_1) | instskip(NEXT) | instid1(VALU_DEP_1)
	s_or_b32 exec_lo, exec_lo, s3
	v_mul_f32_e32 v6, v160, v6
	s_delay_alu instid0(VALU_DEP_1) | instskip(NEXT) | instid1(VALU_DEP_1)
	v_and_b32_e32 v90, 0x7f800000, v6
	v_cmp_ne_u32_e64 s2, 0x7f800000, v90
                                        ; implicit-def: $vgpr90
	s_delay_alu instid0(VALU_DEP_1) | instskip(NEXT) | instid1(SALU_CYCLE_1)
	s_and_saveexec_b32 s3, s2
	s_xor_b32 s2, exec_lo, s3
; %bb.511:                              ;   in Loop: Header=BB396_10 Depth=1
	v_bfe_u32 v90, v6, 16, 1
	s_delay_alu instid0(VALU_DEP_1)
	v_add3_u32 v90, v6, v90, 0x7fff
                                        ; implicit-def: $vgpr6
; %bb.512:                              ;   in Loop: Header=BB396_10 Depth=1
	s_and_not1_saveexec_b32 s3, s2
; %bb.513:                              ;   in Loop: Header=BB396_10 Depth=1
	v_and_b32_e32 v90, 0xffff, v6
	v_or_b32_e32 v91, 0x10000, v6
	s_delay_alu instid0(VALU_DEP_2) | instskip(NEXT) | instid1(VALU_DEP_1)
	v_cmp_eq_u32_e64 s2, 0, v90
	v_cndmask_b32_e64 v90, v91, v6, s2
; %bb.514:                              ;   in Loop: Header=BB396_10 Depth=1
	s_or_b32 exec_lo, exec_lo, s3
	flat_load_u16 v6, v[28:29] offset:1288
	s_mov_b32 s3, exec_lo
	s_waitcnt vmcnt(0) lgkmcnt(0)
	v_and_b32_e32 v91, 0xff, v6
	v_and_b32_e32 v92, 0xffff, v6
	v_mov_b32_e32 v6, 0
	s_delay_alu instid0(VALU_DEP_3)
	v_cmpx_ne_u16_e32 0, v91
	s_cbranch_execz .LBB396_522
; %bb.515:                              ;   in Loop: Header=BB396_10 Depth=1
	s_delay_alu instid0(VALU_DEP_3) | instskip(NEXT) | instid1(VALU_DEP_1)
	v_and_b32_e32 v6, 0xff, v92
	v_cmp_ne_u16_e64 s2, 0x80, v6
	v_bfrev_b32_e32 v6, 1
	s_delay_alu instid0(VALU_DEP_2)
	s_and_saveexec_b32 s19, s2
	s_cbranch_execz .LBB396_521
; %bb.516:                              ;   in Loop: Header=BB396_10 Depth=1
	v_and_b32_e32 v93, 0x7f, v92
	v_mov_b32_e32 v6, 0x7f800001
	s_mov_b32 s20, exec_lo
	s_delay_alu instid0(VALU_DEP_2)
	v_cmpx_ne_u32_e32 0x7f, v93
	s_cbranch_execz .LBB396_520
; %bb.517:                              ;   in Loop: Header=BB396_10 Depth=1
	v_and_b32_e32 v6, 7, v92
	v_lshrrev_b32_e32 v91, 3, v93
	s_mov_b32 s21, exec_lo
	v_cmpx_gt_u32_e32 8, v93
; %bb.518:                              ;   in Loop: Header=BB396_10 Depth=1
	s_delay_alu instid0(VALU_DEP_3) | instskip(NEXT) | instid1(VALU_DEP_1)
	v_clz_i32_u32_e32 v91, v6
	v_min_u32_e32 v91, 32, v91
	s_delay_alu instid0(VALU_DEP_1) | instskip(SKIP_1) | instid1(VALU_DEP_2)
	v_subrev_nc_u32_e32 v93, 28, v91
	v_sub_nc_u32_e32 v91, 29, v91
	v_lshlrev_b64 v[93:94], v93, v[6:7]
	s_delay_alu instid0(VALU_DEP_1)
	v_and_b32_e32 v6, 7, v93
; %bb.519:                              ;   in Loop: Header=BB396_10 Depth=1
	s_or_b32 exec_lo, exec_lo, s21
	v_lshlrev_b32_e32 v93, 24, v92
	s_delay_alu instid0(VALU_DEP_2) | instskip(SKIP_1) | instid1(VALU_DEP_3)
	v_lshlrev_b32_e32 v6, 20, v6
	v_lshl_add_u32 v91, v91, 23, 0x3c000000
	v_and_b32_e32 v93, 0x80000000, v93
	s_delay_alu instid0(VALU_DEP_1)
	v_or3_b32 v6, v6, v93, v91
.LBB396_520:                            ;   in Loop: Header=BB396_10 Depth=1
	s_or_b32 exec_lo, exec_lo, s20
.LBB396_521:                            ;   in Loop: Header=BB396_10 Depth=1
	s_delay_alu instid0(SALU_CYCLE_1)
	s_or_b32 exec_lo, exec_lo, s19
.LBB396_522:                            ;   in Loop: Header=BB396_10 Depth=1
	s_delay_alu instid0(SALU_CYCLE_1) | instskip(NEXT) | instid1(VALU_DEP_1)
	s_or_b32 exec_lo, exec_lo, s3
	v_mul_f32_e32 v6, v160, v6
	s_delay_alu instid0(VALU_DEP_1) | instskip(NEXT) | instid1(VALU_DEP_1)
	v_and_b32_e32 v91, 0x7f800000, v6
	v_cmp_ne_u32_e64 s2, 0x7f800000, v91
                                        ; implicit-def: $vgpr91
	s_delay_alu instid0(VALU_DEP_1) | instskip(NEXT) | instid1(SALU_CYCLE_1)
	s_and_saveexec_b32 s3, s2
	s_xor_b32 s2, exec_lo, s3
; %bb.523:                              ;   in Loop: Header=BB396_10 Depth=1
	v_bfe_u32 v91, v6, 16, 1
	s_delay_alu instid0(VALU_DEP_1)
	v_add3_u32 v91, v6, v91, 0x7fff
                                        ; implicit-def: $vgpr6
; %bb.524:                              ;   in Loop: Header=BB396_10 Depth=1
	s_and_not1_saveexec_b32 s3, s2
; %bb.525:                              ;   in Loop: Header=BB396_10 Depth=1
	v_and_b32_e32 v91, 0xffff, v6
	v_or_b32_e32 v93, 0x10000, v6
	s_delay_alu instid0(VALU_DEP_2) | instskip(NEXT) | instid1(VALU_DEP_1)
	v_cmp_eq_u32_e64 s2, 0, v91
	v_cndmask_b32_e64 v91, v93, v6, s2
; %bb.526:                              ;   in Loop: Header=BB396_10 Depth=1
	s_or_b32 exec_lo, exec_lo, s3
	v_lshrrev_b16 v93, 8, v92
	v_mov_b32_e32 v6, 0
	s_mov_b32 s3, exec_lo
	s_delay_alu instid0(VALU_DEP_2)
	v_cmpx_ne_u16_e32 0, v93
	s_cbranch_execz .LBB396_534
; %bb.527:                              ;   in Loop: Header=BB396_10 Depth=1
	v_bfrev_b32_e32 v6, 1
	s_mov_b32 s19, exec_lo
	v_cmpx_ne_u16_e32 0x80, v93
	s_cbranch_execz .LBB396_533
; %bb.528:                              ;   in Loop: Header=BB396_10 Depth=1
	v_and_b32_e32 v93, 0xffff, v93
	v_mov_b32_e32 v6, 0x7f800001
	s_mov_b32 s20, exec_lo
	s_delay_alu instid0(VALU_DEP_2) | instskip(NEXT) | instid1(VALU_DEP_1)
	v_and_b32_e32 v94, 0x7f, v93
	v_cmpx_ne_u32_e32 0x7f, v94
	s_cbranch_execz .LBB396_532
; %bb.529:                              ;   in Loop: Header=BB396_10 Depth=1
	v_and_b32_e32 v6, 7, v93
	v_lshrrev_b32_e32 v93, 3, v94
	s_mov_b32 s21, exec_lo
	v_cmpx_gt_u32_e32 8, v94
; %bb.530:                              ;   in Loop: Header=BB396_10 Depth=1
	s_delay_alu instid0(VALU_DEP_3) | instskip(NEXT) | instid1(VALU_DEP_1)
	v_clz_i32_u32_e32 v93, v6
	v_min_u32_e32 v93, 32, v93
	s_delay_alu instid0(VALU_DEP_1) | instskip(SKIP_1) | instid1(VALU_DEP_2)
	v_subrev_nc_u32_e32 v94, 28, v93
	v_sub_nc_u32_e32 v93, 29, v93
	v_lshlrev_b64 v[94:95], v94, v[6:7]
	s_delay_alu instid0(VALU_DEP_1)
	v_and_b32_e32 v6, 7, v94
; %bb.531:                              ;   in Loop: Header=BB396_10 Depth=1
	s_or_b32 exec_lo, exec_lo, s21
	v_lshlrev_b32_e32 v92, 16, v92
	s_delay_alu instid0(VALU_DEP_2) | instskip(SKIP_1) | instid1(VALU_DEP_3)
	v_lshlrev_b32_e32 v6, 20, v6
	v_lshl_add_u32 v93, v93, 23, 0x3c000000
	v_and_b32_e32 v92, 0x80000000, v92
	s_delay_alu instid0(VALU_DEP_1)
	v_or3_b32 v6, v6, v92, v93
.LBB396_532:                            ;   in Loop: Header=BB396_10 Depth=1
	s_or_b32 exec_lo, exec_lo, s20
.LBB396_533:                            ;   in Loop: Header=BB396_10 Depth=1
	s_delay_alu instid0(SALU_CYCLE_1)
	s_or_b32 exec_lo, exec_lo, s19
.LBB396_534:                            ;   in Loop: Header=BB396_10 Depth=1
	s_delay_alu instid0(SALU_CYCLE_1) | instskip(NEXT) | instid1(VALU_DEP_1)
	s_or_b32 exec_lo, exec_lo, s3
	v_mul_f32_e32 v6, v160, v6
	s_delay_alu instid0(VALU_DEP_1) | instskip(NEXT) | instid1(VALU_DEP_1)
	v_and_b32_e32 v92, 0x7f800000, v6
	v_cmp_ne_u32_e64 s2, 0x7f800000, v92
                                        ; implicit-def: $vgpr92
	s_delay_alu instid0(VALU_DEP_1) | instskip(NEXT) | instid1(SALU_CYCLE_1)
	s_and_saveexec_b32 s3, s2
	s_xor_b32 s2, exec_lo, s3
; %bb.535:                              ;   in Loop: Header=BB396_10 Depth=1
	v_bfe_u32 v92, v6, 16, 1
	s_delay_alu instid0(VALU_DEP_1)
	v_add3_u32 v92, v6, v92, 0x7fff
                                        ; implicit-def: $vgpr6
; %bb.536:                              ;   in Loop: Header=BB396_10 Depth=1
	s_and_not1_saveexec_b32 s3, s2
; %bb.537:                              ;   in Loop: Header=BB396_10 Depth=1
	v_and_b32_e32 v92, 0xffff, v6
	v_or_b32_e32 v93, 0x10000, v6
	s_delay_alu instid0(VALU_DEP_2) | instskip(NEXT) | instid1(VALU_DEP_1)
	v_cmp_eq_u32_e64 s2, 0, v92
	v_cndmask_b32_e64 v92, v93, v6, s2
; %bb.538:                              ;   in Loop: Header=BB396_10 Depth=1
	s_or_b32 exec_lo, exec_lo, s3
	flat_load_u16 v6, v[28:29] offset:1408
	s_mov_b32 s3, exec_lo
	s_waitcnt vmcnt(0) lgkmcnt(0)
	v_and_b32_e32 v93, 0xff, v6
	v_and_b32_e32 v94, 0xffff, v6
	v_mov_b32_e32 v6, 0
	s_delay_alu instid0(VALU_DEP_3)
	v_cmpx_ne_u16_e32 0, v93
	s_cbranch_execz .LBB396_546
; %bb.539:                              ;   in Loop: Header=BB396_10 Depth=1
	s_delay_alu instid0(VALU_DEP_3) | instskip(NEXT) | instid1(VALU_DEP_1)
	v_and_b32_e32 v6, 0xff, v94
	v_cmp_ne_u16_e64 s2, 0x80, v6
	v_bfrev_b32_e32 v6, 1
	s_delay_alu instid0(VALU_DEP_2)
	s_and_saveexec_b32 s19, s2
	s_cbranch_execz .LBB396_545
; %bb.540:                              ;   in Loop: Header=BB396_10 Depth=1
	v_and_b32_e32 v95, 0x7f, v94
	v_mov_b32_e32 v6, 0x7f800001
	s_mov_b32 s20, exec_lo
	s_delay_alu instid0(VALU_DEP_2)
	v_cmpx_ne_u32_e32 0x7f, v95
	s_cbranch_execz .LBB396_544
; %bb.541:                              ;   in Loop: Header=BB396_10 Depth=1
	v_and_b32_e32 v6, 7, v94
	v_lshrrev_b32_e32 v93, 3, v95
	s_mov_b32 s21, exec_lo
	v_cmpx_gt_u32_e32 8, v95
; %bb.542:                              ;   in Loop: Header=BB396_10 Depth=1
	s_delay_alu instid0(VALU_DEP_3) | instskip(NEXT) | instid1(VALU_DEP_1)
	v_clz_i32_u32_e32 v93, v6
	v_min_u32_e32 v93, 32, v93
	s_delay_alu instid0(VALU_DEP_1) | instskip(SKIP_1) | instid1(VALU_DEP_2)
	v_subrev_nc_u32_e32 v95, 28, v93
	v_sub_nc_u32_e32 v93, 29, v93
	v_lshlrev_b64 v[104:105], v95, v[6:7]
	s_delay_alu instid0(VALU_DEP_1)
	v_and_b32_e32 v6, 7, v104
; %bb.543:                              ;   in Loop: Header=BB396_10 Depth=1
	s_or_b32 exec_lo, exec_lo, s21
	v_lshlrev_b32_e32 v95, 24, v94
	s_delay_alu instid0(VALU_DEP_2) | instskip(SKIP_1) | instid1(VALU_DEP_3)
	v_lshlrev_b32_e32 v6, 20, v6
	v_lshl_add_u32 v93, v93, 23, 0x3c000000
	v_and_b32_e32 v95, 0x80000000, v95
	s_delay_alu instid0(VALU_DEP_1)
	v_or3_b32 v6, v6, v95, v93
.LBB396_544:                            ;   in Loop: Header=BB396_10 Depth=1
	s_or_b32 exec_lo, exec_lo, s20
.LBB396_545:                            ;   in Loop: Header=BB396_10 Depth=1
	s_delay_alu instid0(SALU_CYCLE_1)
	s_or_b32 exec_lo, exec_lo, s19
.LBB396_546:                            ;   in Loop: Header=BB396_10 Depth=1
	s_delay_alu instid0(SALU_CYCLE_1) | instskip(NEXT) | instid1(VALU_DEP_1)
	s_or_b32 exec_lo, exec_lo, s3
	v_mul_f32_e32 v6, v160, v6
	s_delay_alu instid0(VALU_DEP_1) | instskip(NEXT) | instid1(VALU_DEP_1)
	v_and_b32_e32 v93, 0x7f800000, v6
	v_cmp_ne_u32_e64 s2, 0x7f800000, v93
                                        ; implicit-def: $vgpr93
	s_delay_alu instid0(VALU_DEP_1) | instskip(NEXT) | instid1(SALU_CYCLE_1)
	s_and_saveexec_b32 s3, s2
	s_xor_b32 s2, exec_lo, s3
; %bb.547:                              ;   in Loop: Header=BB396_10 Depth=1
	v_bfe_u32 v93, v6, 16, 1
	s_delay_alu instid0(VALU_DEP_1)
	v_add3_u32 v93, v6, v93, 0x7fff
                                        ; implicit-def: $vgpr6
; %bb.548:                              ;   in Loop: Header=BB396_10 Depth=1
	s_and_not1_saveexec_b32 s3, s2
; %bb.549:                              ;   in Loop: Header=BB396_10 Depth=1
	v_and_b32_e32 v93, 0xffff, v6
	v_or_b32_e32 v95, 0x10000, v6
	s_delay_alu instid0(VALU_DEP_2) | instskip(NEXT) | instid1(VALU_DEP_1)
	v_cmp_eq_u32_e64 s2, 0, v93
	v_cndmask_b32_e64 v93, v95, v6, s2
; %bb.550:                              ;   in Loop: Header=BB396_10 Depth=1
	s_or_b32 exec_lo, exec_lo, s3
	v_lshrrev_b16 v95, 8, v94
	v_mov_b32_e32 v6, 0
	s_mov_b32 s3, exec_lo
	s_delay_alu instid0(VALU_DEP_2)
	v_cmpx_ne_u16_e32 0, v95
	s_cbranch_execz .LBB396_558
; %bb.551:                              ;   in Loop: Header=BB396_10 Depth=1
	v_bfrev_b32_e32 v6, 1
	s_mov_b32 s19, exec_lo
	v_cmpx_ne_u16_e32 0x80, v95
	s_cbranch_execz .LBB396_557
; %bb.552:                              ;   in Loop: Header=BB396_10 Depth=1
	v_and_b32_e32 v95, 0xffff, v95
	v_mov_b32_e32 v6, 0x7f800001
	s_mov_b32 s20, exec_lo
	s_delay_alu instid0(VALU_DEP_2) | instskip(NEXT) | instid1(VALU_DEP_1)
	v_and_b32_e32 v104, 0x7f, v95
	v_cmpx_ne_u32_e32 0x7f, v104
	s_cbranch_execz .LBB396_556
; %bb.553:                              ;   in Loop: Header=BB396_10 Depth=1
	v_and_b32_e32 v6, 7, v95
	v_lshrrev_b32_e32 v95, 3, v104
	s_mov_b32 s21, exec_lo
	v_cmpx_gt_u32_e32 8, v104
; %bb.554:                              ;   in Loop: Header=BB396_10 Depth=1
	s_delay_alu instid0(VALU_DEP_3) | instskip(NEXT) | instid1(VALU_DEP_1)
	v_clz_i32_u32_e32 v95, v6
	v_min_u32_e32 v95, 32, v95
	s_delay_alu instid0(VALU_DEP_1) | instskip(SKIP_1) | instid1(VALU_DEP_2)
	v_subrev_nc_u32_e32 v104, 28, v95
	v_sub_nc_u32_e32 v95, 29, v95
	v_lshlrev_b64 v[104:105], v104, v[6:7]
	s_delay_alu instid0(VALU_DEP_1)
	v_and_b32_e32 v6, 7, v104
; %bb.555:                              ;   in Loop: Header=BB396_10 Depth=1
	s_or_b32 exec_lo, exec_lo, s21
	v_lshlrev_b32_e32 v94, 16, v94
	s_delay_alu instid0(VALU_DEP_2) | instskip(SKIP_1) | instid1(VALU_DEP_3)
	v_lshlrev_b32_e32 v6, 20, v6
	v_lshl_add_u32 v95, v95, 23, 0x3c000000
	v_and_b32_e32 v94, 0x80000000, v94
	s_delay_alu instid0(VALU_DEP_1)
	v_or3_b32 v6, v6, v94, v95
.LBB396_556:                            ;   in Loop: Header=BB396_10 Depth=1
	s_or_b32 exec_lo, exec_lo, s20
.LBB396_557:                            ;   in Loop: Header=BB396_10 Depth=1
	s_delay_alu instid0(SALU_CYCLE_1)
	s_or_b32 exec_lo, exec_lo, s19
.LBB396_558:                            ;   in Loop: Header=BB396_10 Depth=1
	s_delay_alu instid0(SALU_CYCLE_1) | instskip(NEXT) | instid1(VALU_DEP_1)
	s_or_b32 exec_lo, exec_lo, s3
	v_mul_f32_e32 v6, v160, v6
	s_delay_alu instid0(VALU_DEP_1) | instskip(NEXT) | instid1(VALU_DEP_1)
	v_and_b32_e32 v94, 0x7f800000, v6
	v_cmp_ne_u32_e64 s2, 0x7f800000, v94
                                        ; implicit-def: $vgpr94
	s_delay_alu instid0(VALU_DEP_1) | instskip(NEXT) | instid1(SALU_CYCLE_1)
	s_and_saveexec_b32 s3, s2
	s_xor_b32 s2, exec_lo, s3
; %bb.559:                              ;   in Loop: Header=BB396_10 Depth=1
	v_bfe_u32 v94, v6, 16, 1
	s_delay_alu instid0(VALU_DEP_1)
	v_add3_u32 v94, v6, v94, 0x7fff
                                        ; implicit-def: $vgpr6
; %bb.560:                              ;   in Loop: Header=BB396_10 Depth=1
	s_and_not1_saveexec_b32 s3, s2
; %bb.561:                              ;   in Loop: Header=BB396_10 Depth=1
	v_and_b32_e32 v94, 0xffff, v6
	v_or_b32_e32 v95, 0x10000, v6
	s_delay_alu instid0(VALU_DEP_2) | instskip(NEXT) | instid1(VALU_DEP_1)
	v_cmp_eq_u32_e64 s2, 0, v94
	v_cndmask_b32_e64 v94, v95, v6, s2
; %bb.562:                              ;   in Loop: Header=BB396_10 Depth=1
	s_or_b32 exec_lo, exec_lo, s3
	flat_load_u16 v6, v[28:29] offset:1416
	s_mov_b32 s3, exec_lo
	s_waitcnt vmcnt(0) lgkmcnt(0)
	v_and_b32_e32 v28, 0xff, v6
	v_dual_mov_b32 v6, 0 :: v_dual_and_b32 v29, 0xffff, v6
	s_delay_alu instid0(VALU_DEP_2)
	v_cmpx_ne_u16_e32 0, v28
	s_cbranch_execz .LBB396_570
; %bb.563:                              ;   in Loop: Header=BB396_10 Depth=1
	s_delay_alu instid0(VALU_DEP_2) | instskip(NEXT) | instid1(VALU_DEP_1)
	v_and_b32_e32 v6, 0xff, v29
	v_cmp_ne_u16_e64 s2, 0x80, v6
	v_bfrev_b32_e32 v6, 1
	s_delay_alu instid0(VALU_DEP_2)
	s_and_saveexec_b32 s19, s2
	s_cbranch_execz .LBB396_569
; %bb.564:                              ;   in Loop: Header=BB396_10 Depth=1
	v_and_b32_e32 v95, 0x7f, v29
	v_mov_b32_e32 v6, 0x7f800001
	s_mov_b32 s20, exec_lo
	s_delay_alu instid0(VALU_DEP_2)
	v_cmpx_ne_u32_e32 0x7f, v95
	s_cbranch_execz .LBB396_568
; %bb.565:                              ;   in Loop: Header=BB396_10 Depth=1
	v_and_b32_e32 v6, 7, v29
	v_lshrrev_b32_e32 v28, 3, v95
	s_mov_b32 s21, exec_lo
	v_cmpx_gt_u32_e32 8, v95
; %bb.566:                              ;   in Loop: Header=BB396_10 Depth=1
	s_delay_alu instid0(VALU_DEP_3) | instskip(NEXT) | instid1(VALU_DEP_1)
	v_clz_i32_u32_e32 v28, v6
	v_min_u32_e32 v28, 32, v28
	s_delay_alu instid0(VALU_DEP_1) | instskip(SKIP_1) | instid1(VALU_DEP_2)
	v_subrev_nc_u32_e32 v95, 28, v28
	v_sub_nc_u32_e32 v28, 29, v28
	v_lshlrev_b64 v[104:105], v95, v[6:7]
	s_delay_alu instid0(VALU_DEP_1)
	v_and_b32_e32 v6, 7, v104
; %bb.567:                              ;   in Loop: Header=BB396_10 Depth=1
	s_or_b32 exec_lo, exec_lo, s21
	v_lshlrev_b32_e32 v95, 24, v29
	s_delay_alu instid0(VALU_DEP_2) | instskip(SKIP_1) | instid1(VALU_DEP_3)
	v_lshlrev_b32_e32 v6, 20, v6
	v_lshl_add_u32 v28, v28, 23, 0x3c000000
	v_and_b32_e32 v95, 0x80000000, v95
	s_delay_alu instid0(VALU_DEP_1)
	v_or3_b32 v6, v6, v95, v28
.LBB396_568:                            ;   in Loop: Header=BB396_10 Depth=1
	s_or_b32 exec_lo, exec_lo, s20
.LBB396_569:                            ;   in Loop: Header=BB396_10 Depth=1
	s_delay_alu instid0(SALU_CYCLE_1)
	s_or_b32 exec_lo, exec_lo, s19
.LBB396_570:                            ;   in Loop: Header=BB396_10 Depth=1
	s_delay_alu instid0(SALU_CYCLE_1) | instskip(NEXT) | instid1(VALU_DEP_1)
	s_or_b32 exec_lo, exec_lo, s3
	v_mul_f32_e32 v6, v160, v6
	s_delay_alu instid0(VALU_DEP_1) | instskip(NEXT) | instid1(VALU_DEP_1)
	v_and_b32_e32 v28, 0x7f800000, v6
	v_cmp_ne_u32_e64 s2, 0x7f800000, v28
                                        ; implicit-def: $vgpr28
	s_delay_alu instid0(VALU_DEP_1) | instskip(NEXT) | instid1(SALU_CYCLE_1)
	s_and_saveexec_b32 s3, s2
	s_xor_b32 s2, exec_lo, s3
; %bb.571:                              ;   in Loop: Header=BB396_10 Depth=1
	v_bfe_u32 v28, v6, 16, 1
	s_delay_alu instid0(VALU_DEP_1)
	v_add3_u32 v28, v6, v28, 0x7fff
                                        ; implicit-def: $vgpr6
; %bb.572:                              ;   in Loop: Header=BB396_10 Depth=1
	s_and_not1_saveexec_b32 s3, s2
; %bb.573:                              ;   in Loop: Header=BB396_10 Depth=1
	v_and_b32_e32 v28, 0xffff, v6
	v_or_b32_e32 v95, 0x10000, v6
	s_delay_alu instid0(VALU_DEP_2) | instskip(NEXT) | instid1(VALU_DEP_1)
	v_cmp_eq_u32_e64 s2, 0, v28
	v_cndmask_b32_e64 v28, v95, v6, s2
; %bb.574:                              ;   in Loop: Header=BB396_10 Depth=1
	s_or_b32 exec_lo, exec_lo, s3
	v_lshrrev_b16 v95, 8, v29
	v_mov_b32_e32 v6, 0
	s_mov_b32 s3, exec_lo
	s_delay_alu instid0(VALU_DEP_2)
	v_cmpx_ne_u16_e32 0, v95
	s_cbranch_execz .LBB396_582
; %bb.575:                              ;   in Loop: Header=BB396_10 Depth=1
	v_bfrev_b32_e32 v6, 1
	s_mov_b32 s19, exec_lo
	v_cmpx_ne_u16_e32 0x80, v95
	s_cbranch_execz .LBB396_581
; %bb.576:                              ;   in Loop: Header=BB396_10 Depth=1
	v_and_b32_e32 v95, 0xffff, v95
	v_mov_b32_e32 v6, 0x7f800001
	s_mov_b32 s20, exec_lo
	s_delay_alu instid0(VALU_DEP_2) | instskip(NEXT) | instid1(VALU_DEP_1)
	v_and_b32_e32 v104, 0x7f, v95
	v_cmpx_ne_u32_e32 0x7f, v104
	s_cbranch_execz .LBB396_580
; %bb.577:                              ;   in Loop: Header=BB396_10 Depth=1
	v_and_b32_e32 v6, 7, v95
	v_lshrrev_b32_e32 v95, 3, v104
	s_mov_b32 s21, exec_lo
	v_cmpx_gt_u32_e32 8, v104
; %bb.578:                              ;   in Loop: Header=BB396_10 Depth=1
	s_delay_alu instid0(VALU_DEP_3) | instskip(NEXT) | instid1(VALU_DEP_1)
	v_clz_i32_u32_e32 v95, v6
	v_min_u32_e32 v95, 32, v95
	s_delay_alu instid0(VALU_DEP_1) | instskip(SKIP_1) | instid1(VALU_DEP_2)
	v_subrev_nc_u32_e32 v104, 28, v95
	v_sub_nc_u32_e32 v95, 29, v95
	v_lshlrev_b64 v[104:105], v104, v[6:7]
	s_delay_alu instid0(VALU_DEP_1)
	v_and_b32_e32 v6, 7, v104
; %bb.579:                              ;   in Loop: Header=BB396_10 Depth=1
	s_or_b32 exec_lo, exec_lo, s21
	v_lshlrev_b32_e32 v29, 16, v29
	s_delay_alu instid0(VALU_DEP_2) | instskip(SKIP_1) | instid1(VALU_DEP_3)
	v_lshlrev_b32_e32 v6, 20, v6
	v_lshl_add_u32 v95, v95, 23, 0x3c000000
	v_and_b32_e32 v29, 0x80000000, v29
	s_delay_alu instid0(VALU_DEP_1)
	v_or3_b32 v6, v6, v29, v95
.LBB396_580:                            ;   in Loop: Header=BB396_10 Depth=1
	s_or_b32 exec_lo, exec_lo, s20
.LBB396_581:                            ;   in Loop: Header=BB396_10 Depth=1
	s_delay_alu instid0(SALU_CYCLE_1)
	s_or_b32 exec_lo, exec_lo, s19
.LBB396_582:                            ;   in Loop: Header=BB396_10 Depth=1
	s_delay_alu instid0(SALU_CYCLE_1) | instskip(NEXT) | instid1(VALU_DEP_1)
	s_or_b32 exec_lo, exec_lo, s3
	v_mul_f32_e32 v29, v160, v6
	s_delay_alu instid0(VALU_DEP_1) | instskip(NEXT) | instid1(VALU_DEP_1)
	v_and_b32_e32 v6, 0x7f800000, v29
	v_cmp_ne_u32_e64 s2, 0x7f800000, v6
                                        ; implicit-def: $vgpr6
	s_delay_alu instid0(VALU_DEP_1) | instskip(NEXT) | instid1(SALU_CYCLE_1)
	s_and_saveexec_b32 s3, s2
	s_xor_b32 s2, exec_lo, s3
; %bb.583:                              ;   in Loop: Header=BB396_10 Depth=1
	v_bfe_u32 v6, v29, 16, 1
	s_delay_alu instid0(VALU_DEP_1)
	v_add3_u32 v6, v29, v6, 0x7fff
                                        ; implicit-def: $vgpr29
; %bb.584:                              ;   in Loop: Header=BB396_10 Depth=1
	s_and_not1_saveexec_b32 s3, s2
; %bb.585:                              ;   in Loop: Header=BB396_10 Depth=1
	v_and_b32_e32 v6, 0xffff, v29
	v_or_b32_e32 v160, 0x10000, v29
	s_delay_alu instid0(VALU_DEP_2) | instskip(NEXT) | instid1(VALU_DEP_1)
	v_cmp_eq_u32_e64 s2, 0, v6
	v_cndmask_b32_e64 v6, v160, v29, s2
; %bb.586:                              ;   in Loop: Header=BB396_10 Depth=1
	s_or_b32 exec_lo, exec_lo, s3
	v_and_b32_e32 v160, 0xffff0000, v164
	v_and_b32_e32 v29, 0xffff0000, v163
	;; [unrolled: 1-line block ×3, first 2 shown]
	s_delay_alu instid0(VALU_DEP_3) | instskip(NEXT) | instid1(VALU_DEP_3)
	v_dual_mul_f32 v160, v52, v160 :: v_dual_and_b32 v161, 0xffff0000, v161
	v_dual_mul_f32 v29, v51, v29 :: v_dual_and_b32 v162, 0xffff0000, v162
	s_delay_alu instid0(VALU_DEP_1) | instskip(SKIP_4) | instid1(VALU_DEP_1)
	v_dual_fmac_f32 v29, v49, v161 :: v_dual_fmac_f32 v160, v50, v162
	v_and_b32_e32 v162, 0xffff0000, v167
	v_and_b32_e32 v164, 0xffff0000, v165
	;; [unrolled: 1-line block ×4, first 2 shown]
	v_dual_fmac_f32 v29, v53, v164 :: v_dual_fmac_f32 v160, v54, v163
	s_delay_alu instid0(VALU_DEP_1) | instskip(SKIP_1) | instid1(VALU_DEP_3)
	v_dual_fmac_f32 v29, v55, v162 :: v_dual_and_b32 v162, 0xffff0000, v179
	v_and_b32_e32 v164, 0xffff0000, v177
	v_dual_fmac_f32 v160, v64, v161 :: v_dual_and_b32 v161, 0xffff0000, v180
	v_and_b32_e32 v163, 0xffff0000, v178
	s_delay_alu instid0(VALU_DEP_1) | instskip(NEXT) | instid1(VALU_DEP_1)
	v_dual_fmac_f32 v29, v65, v164 :: v_dual_fmac_f32 v160, v66, v163
	v_dual_fmac_f32 v29, v67, v162 :: v_dual_and_b32 v162, 0xffff0000, v183
	v_and_b32_e32 v164, 0xffff0000, v181
	s_delay_alu instid0(VALU_DEP_3) | instskip(SKIP_1) | instid1(VALU_DEP_1)
	v_dual_fmac_f32 v160, v68, v161 :: v_dual_and_b32 v161, 0xffff0000, v40
	v_and_b32_e32 v163, 0xffff0000, v182
	v_dual_fmac_f32 v29, v69, v164 :: v_dual_fmac_f32 v160, v70, v163
	s_delay_alu instid0(VALU_DEP_1) | instskip(SKIP_1) | instid1(VALU_DEP_3)
	v_dual_fmac_f32 v29, v71, v162 :: v_dual_and_b32 v162, 0xffff0000, v43
	v_and_b32_e32 v164, 0xffff0000, v41
	v_dual_fmac_f32 v160, v80, v161 :: v_dual_and_b32 v161, 0xffff0000, v44
	v_and_b32_e32 v163, 0xffff0000, v42
	s_delay_alu instid0(VALU_DEP_1) | instskip(NEXT) | instid1(VALU_DEP_1)
	v_dual_fmac_f32 v29, v81, v164 :: v_dual_fmac_f32 v160, v82, v163
	v_dual_fmac_f32 v29, v83, v162 :: v_dual_and_b32 v162, 0xffff0000, v47
	v_and_b32_e32 v164, 0xffff0000, v45
	s_delay_alu instid0(VALU_DEP_3) | instskip(SKIP_1) | instid1(VALU_DEP_1)
	v_dual_fmac_f32 v160, v84, v161 :: v_dual_and_b32 v161, 0xffff0000, v56
	v_and_b32_e32 v163, 0xffff0000, v46
	;; [unrolled: 13-line block ×4, first 2 shown]
	v_dual_fmac_f32 v29, v117, v164 :: v_dual_fmac_f32 v160, v118, v163
	s_delay_alu instid0(VALU_DEP_1) | instskip(SKIP_1) | instid1(VALU_DEP_3)
	v_dual_fmac_f32 v29, v119, v162 :: v_dual_and_b32 v162, 0xffff0000, v91
	v_and_b32_e32 v164, 0xffff0000, v89
	v_dual_fmac_f32 v160, v128, v161 :: v_dual_and_b32 v161, 0xffff0000, v92
	v_and_b32_e32 v163, 0xffff0000, v90
	s_delay_alu instid0(VALU_DEP_3) | instskip(NEXT) | instid1(VALU_DEP_1)
	v_dual_fmac_f32 v29, v129, v164 :: v_dual_and_b32 v164, 0xffff0000, v93
	v_dual_fmac_f32 v160, v130, v163 :: v_dual_fmac_f32 v29, v131, v162
	v_and_b32_e32 v6, 0xffff0000, v6
	s_delay_alu instid0(VALU_DEP_2) | instskip(NEXT) | instid1(VALU_DEP_1)
	v_dual_fmac_f32 v160, v132, v161 :: v_dual_fmac_f32 v29, v133, v164
	v_fmac_f32_e32 v29, v135, v28
	v_and_b32_e32 v163, 0xffff0000, v94
	s_delay_alu instid0(VALU_DEP_1) | instskip(NEXT) | instid1(VALU_DEP_1)
	v_fmac_f32_e32 v160, v134, v163
	v_fmac_f32_e32 v160, v145, v6
	s_delay_alu instid0(VALU_DEP_1)
	v_add_f32_e32 v6, v29, v160
	ds_bpermute_b32 v28, v146, v6
	s_waitcnt lgkmcnt(0)
	v_add_f32_e32 v6, v6, v28
	ds_bpermute_b32 v28, v147, v6
	s_and_saveexec_b32 s3, vcc_lo
	s_cbranch_execz .LBB396_9
; %bb.587:                              ;   in Loop: Header=BB396_10 Depth=1
	s_waitcnt lgkmcnt(0)
	v_dual_add_f32 v6, v6, v28 :: v_dual_add_nc_u32 v29, v148, v149
	s_load_b32 s19, s[8:9], 0x0
	v_cmp_lt_i32_e64 s2, v149, v32
	s_delay_alu instid0(VALU_DEP_2) | instskip(NEXT) | instid1(VALU_DEP_1)
	v_cvt_f32_i32_e32 v29, v29
	v_mul_f32_e32 v29, v39, v29
	s_delay_alu instid0(VALU_DEP_1) | instskip(NEXT) | instid1(VALU_DEP_1)
	v_cndmask_b32_e64 v28, 0, v29, s1
	v_dual_max_f32 v29, v144, v144 :: v_dual_fmac_f32 v28, v6, v13
	s_waitcnt lgkmcnt(0)
	s_delay_alu instid0(VALU_DEP_1) | instskip(SKIP_1) | instid1(VALU_DEP_2)
	v_dual_max_f32 v6, v29, v28 :: v_dual_add_nc_u32 v29, s19, v150
	v_cndmask_b32_e64 v28, 0, v28, s2
	v_cndmask_b32_e64 v144, v144, v6, s2
	ds_store_b32 v29, v28
	s_branch .LBB396_9
.LBB396_588:
	s_or_b32 exec_lo, exec_lo, s7
.LBB396_589:
	s_delay_alu instid0(SALU_CYCLE_1)
	s_or_b32 exec_lo, exec_lo, s17
	v_xor_b32_e32 v6, 16, v38
	v_xor_b32_e32 v7, 8, v38
	s_waitcnt lgkmcnt(0)
	s_lshr_b32 s8, s18, 16
	v_dual_max_f32 v13, v144, v144 :: v_dual_and_b32 v20, 31, v30
	v_cmp_lt_i32_e32 vcc_lo, v6, v48
	v_cndmask_b32_e32 v6, v38, v6, vcc_lo
	v_cmp_lt_i32_e32 vcc_lo, v7, v48
	s_delay_alu instid0(VALU_DEP_2) | instskip(SKIP_3) | instid1(VALU_DEP_1)
	v_dual_cndmask_b32 v7, v38, v7 :: v_dual_lshlrev_b32 v8, 2, v6
	ds_bpermute_b32 v6, v8, v144
	s_waitcnt lgkmcnt(0)
	v_dual_max_f32 v6, v6, v6 :: v_dual_lshlrev_b32 v9, 2, v7
	v_max_f32_e32 v6, v13, v6
	v_xor_b32_e32 v13, 4, v38
	ds_bpermute_b32 v7, v9, v6
	v_cmp_lt_i32_e32 vcc_lo, v13, v48
	v_cndmask_b32_e32 v13, v38, v13, vcc_lo
	v_cmp_eq_u32_e32 vcc_lo, 0, v20
	s_delay_alu instid0(VALU_DEP_2) | instskip(SKIP_3) | instid1(VALU_DEP_1)
	v_lshlrev_b32_e32 v23, 2, v13
	v_lshlrev_b32_e32 v13, 2, v33
	s_waitcnt lgkmcnt(0)
	v_max_f32_e32 v7, v7, v7
	v_max_f32_e32 v6, v6, v7
	ds_bpermute_b32 v7, v23, v6
	s_and_saveexec_b32 s1, vcc_lo
	s_cbranch_execz .LBB396_591
; %bb.590:
	s_waitcnt lgkmcnt(0)
	v_dual_max_f32 v7, v7, v7 :: v_dual_max_f32 v6, v6, v6
	s_delay_alu instid0(VALU_DEP_1)
	v_max_f32_e32 v6, v6, v7
	ds_store_b32 v13, v6 offset:384
.LBB396_591:
	s_or_b32 exec_lo, exec_lo, s1
	v_cmp_gt_u32_e64 s1, 4, v20
	v_dual_mov_b32 v6, 0xff7fffff :: v_dual_lshlrev_b32 v21, 2, v20
	s_waitcnt lgkmcnt(0)
	s_barrier
	buffer_gl0_inv
	s_and_saveexec_b32 s2, s1
	s_cbranch_execz .LBB396_593
; %bb.592:
	ds_load_b32 v6, v21 offset:384
.LBB396_593:
	s_or_b32 exec_lo, exec_lo, s2
	v_xor_b32_e32 v7, 2, v38
	v_xor_b32_e32 v25, 1, v38
	v_subrev_nc_u32_e32 v29, s13, v34
	v_lshlrev_b32_e32 v28, 2, v38
	s_delay_alu instid0(VALU_DEP_4) | instskip(NEXT) | instid1(VALU_DEP_2)
	v_cmp_lt_i32_e64 s2, v7, v48
	v_and_b32_e32 v28, 0xffffff80, v28
	s_delay_alu instid0(VALU_DEP_2) | instskip(SKIP_1) | instid1(VALU_DEP_2)
	v_cndmask_b32_e64 v7, v38, v7, s2
	v_cmp_lt_i32_e64 s2, v25, v48
	v_lshlrev_b32_e32 v24, 2, v7
	s_delay_alu instid0(VALU_DEP_2) | instskip(SKIP_4) | instid1(VALU_DEP_1)
	v_cndmask_b32_e64 v25, v38, v25, s2
	s_waitcnt lgkmcnt(0)
	ds_bpermute_b32 v7, v24, v6
	s_waitcnt lgkmcnt(0)
	v_dual_max_f32 v6, v6, v6 :: v_dual_max_f32 v7, v7, v7
	v_dual_max_f32 v6, v6, v7 :: v_dual_lshlrev_b32 v25, 2, v25
	ds_bpermute_b32 v7, v25, v6
	s_waitcnt lgkmcnt(0)
	v_max_f32_e32 v7, v7, v7
	s_delay_alu instid0(VALU_DEP_1) | instskip(SKIP_4) | instid1(VALU_DEP_1)
	v_max_f32_e32 v6, v6, v7
	v_lshl_add_u32 v7, v29, 3, s16
	v_mov_b32_e32 v29, 0
	ds_bpermute_b32 v6, v28, v6
	v_min_i32_e32 v7, v7, v32
	v_subrev_nc_u32_e32 v7, s16, v7
	s_delay_alu instid0(VALU_DEP_1) | instskip(NEXT) | instid1(VALU_DEP_1)
	v_cmp_lt_i32_e64 s2, v30, v7
	s_and_saveexec_b32 s9, s2
	s_cbranch_execz .LBB396_597
; %bb.594:
	s_getpc_b64 s[18:19]
	s_add_u32 s18, s18, llvm.amdgcn.dynlds.offset.table@rel32@lo+4
	s_addc_u32 s19, s19, llvm.amdgcn.dynlds.offset.table@rel32@hi+12
	s_ashr_i32 s7, s6, 31
	v_mov_b32_e32 v29, 0
	s_lshl_b64 s[20:21], s[6:7], 2
	v_mov_b32_e32 v39, v30
	s_add_u32 s18, s20, s18
	s_addc_u32 s19, s21, s19
	s_mov_b32 s7, 0
	s_load_b32 s3, s[18:19], 0x0
	s_waitcnt lgkmcnt(0)
	v_lshl_add_u32 v38, v30, 2, s3
	.p2align	6
.LBB396_595:                            ; =>This Inner Loop Header: Depth=1
	ds_load_b32 v48, v38
	v_add_nc_u32_e32 v39, 0x80, v39
	s_delay_alu instid0(VALU_DEP_1) | instskip(NEXT) | instid1(VALU_DEP_1)
	v_cmp_ge_i32_e64 s3, v39, v7
	s_or_b32 s7, s3, s7
	s_waitcnt lgkmcnt(0)
	v_sub_f32_e32 v48, v48, v6
	s_delay_alu instid0(VALU_DEP_1) | instskip(NEXT) | instid1(VALU_DEP_1)
	v_mul_f32_e32 v48, 0x3fb8aa3b, v48
	v_exp_f32_e32 v48, v48
	ds_store_b32 v38, v48
	v_dual_add_f32 v29, v29, v48 :: v_dual_add_nc_u32 v38, 0x200, v38
	s_and_not1_b32 exec_lo, exec_lo, s7
	s_cbranch_execnz .LBB396_595
; %bb.596:
	s_or_b32 exec_lo, exec_lo, s7
.LBB396_597:
	s_delay_alu instid0(SALU_CYCLE_1)
	s_or_b32 exec_lo, exec_lo, s9
	ds_bpermute_b32 v8, v8, v29
	s_waitcnt lgkmcnt(0)
	v_add_f32_e32 v8, v29, v8
	ds_bpermute_b32 v9, v9, v8
	s_waitcnt lgkmcnt(0)
	v_add_f32_e32 v8, v8, v9
	;; [unrolled: 3-line block ×5, first 2 shown]
	s_and_saveexec_b32 s3, vcc_lo
	s_cbranch_execz .LBB396_599
; %bb.598:
	ds_store_b32 v13, v8 offset:400
.LBB396_599:
	s_or_b32 exec_lo, exec_lo, s3
	s_waitcnt lgkmcnt(0)
	s_barrier
	buffer_gl0_inv
	s_and_saveexec_b32 s3, s1
	s_cbranch_execz .LBB396_601
; %bb.600:
	ds_load_b32 v8, v21 offset:400
.LBB396_601:
	s_or_b32 exec_lo, exec_lo, s3
	s_waitcnt lgkmcnt(0)
	ds_bpermute_b32 v9, v24, v8
	s_waitcnt lgkmcnt(0)
	v_add_f32_e32 v8, v8, v9
	ds_bpermute_b32 v9, v25, v8
	s_waitcnt lgkmcnt(0)
	v_add_f32_e32 v8, v8, v9
	ds_bpermute_b32 v8, v28, v8
	s_and_saveexec_b32 s1, s2
	s_cbranch_execz .LBB396_604
; %bb.602:
	s_waitcnt lgkmcnt(0)
	v_add_f32_e32 v13, 0x358637bd, v8
	s_getpc_b64 s[2:3]
	s_add_u32 s2, s2, llvm.amdgcn.dynlds.offset.table@rel32@lo+4
	s_addc_u32 s3, s3, llvm.amdgcn.dynlds.offset.table@rel32@hi+12
	s_ashr_i32 s7, s6, 31
	s_delay_alu instid0(SALU_CYCLE_1) | instskip(SKIP_3) | instid1(VALU_DEP_2)
	s_lshl_b64 s[18:19], s[6:7], 2
	v_div_scale_f32 v9, null, v13, v13, 1.0
	v_div_scale_f32 v24, vcc_lo, 1.0, v13, 1.0
	s_add_u32 s2, s18, s2
	v_rcp_f32_e32 v21, v9
	s_addc_u32 s3, s19, s3
	s_load_b32 s2, s[2:3], 0x0
	s_waitcnt_depctr 0xfff
	v_fma_f32 v23, -v9, v21, 1.0
	s_delay_alu instid0(VALU_DEP_1) | instskip(NEXT) | instid1(VALU_DEP_1)
	v_fmac_f32_e32 v21, v23, v21
	v_mul_f32_e32 v23, v24, v21
	s_delay_alu instid0(VALU_DEP_1) | instskip(NEXT) | instid1(VALU_DEP_1)
	v_fma_f32 v25, -v9, v23, v24
	v_fmac_f32_e32 v23, v25, v21
	s_delay_alu instid0(VALU_DEP_1) | instskip(NEXT) | instid1(VALU_DEP_1)
	v_fma_f32 v9, -v9, v23, v24
	v_div_fmas_f32 v21, v9, v21, v23
	s_waitcnt lgkmcnt(0)
	v_lshl_add_u32 v9, v30, 2, s2
	s_mov_b32 s2, 0
	s_delay_alu instid0(VALU_DEP_2)
	v_div_fixup_f32 v13, v21, v13, 1.0
	v_mov_b32_e32 v21, v30
.LBB396_603:                            ; =>This Inner Loop Header: Depth=1
	ds_load_b32 v23, v9
	v_add_nc_u32_e32 v21, 0x80, v21
	s_delay_alu instid0(VALU_DEP_1)
	v_cmp_ge_i32_e32 vcc_lo, v21, v7
	s_or_b32 s2, vcc_lo, s2
	s_waitcnt lgkmcnt(0)
	v_mul_f32_e32 v23, v13, v23
	ds_store_b32 v9, v23
	v_add_nc_u32_e32 v9, 0x200, v9
	s_and_not1_b32 exec_lo, exec_lo, s2
	s_cbranch_execnz .LBB396_603
.LBB396_604:
	s_or_b32 exec_lo, exec_lo, s1
	v_cmp_ne_u16_e64 s1, s8, 0
	s_waitcnt lgkmcnt(0)
	s_barrier
	buffer_gl0_inv
	s_cmp_lg_u32 s1, 0
	s_addc_u32 s1, s5, 0
	s_mov_b32 s5, exec_lo
	s_mul_i32 s2, s1, s10
	s_delay_alu instid0(SALU_CYCLE_1)
	s_mul_i32 s2, s2, s15
	v_cmpx_eq_u32_e32 0, v30
	s_cbranch_execz .LBB396_606
; %bb.605:
	s_mul_i32 s8, s1, s12
	s_ashr_i32 s15, s14, 31
	s_ashr_i32 s9, s8, 31
	;; [unrolled: 1-line block ×3, first 2 shown]
	s_lshl_b64 s[8:9], s[8:9], 2
	s_lshl_b64 s[12:13], s[14:15], 2
	;; [unrolled: 1-line block ×3, first 2 shown]
	s_add_u32 s3, s12, s8
	s_addc_u32 s7, s13, s9
	s_add_u32 s3, s3, s18
	s_addc_u32 s7, s7, s19
	v_add_co_u32 v2, vcc_lo, s3, v2
	v_add_co_ci_u32_e32 v3, vcc_lo, s7, v3, vcc_lo
	v_add_co_u32 v0, vcc_lo, s3, v0
	v_add_co_ci_u32_e32 v1, vcc_lo, s7, v1, vcc_lo
	flat_store_b32 v[2:3], v6
	flat_store_b32 v[0:1], v8
.LBB396_606:
	s_or_b32 exec_lo, exec_lo, s5
                                        ; implicit-def: $sgpr5
	s_and_saveexec_b32 s3, s0
	s_delay_alu instid0(SALU_CYCLE_1)
	s_xor_b32 s0, exec_lo, s3
; %bb.607:
	s_ashr_i32 s7, s6, 31
	s_mov_b32 s5, 0
                                        ; implicit-def: $vgpr32
                                        ; implicit-def: $vgpr12
                                        ; implicit-def: $vgpr34
                                        ; implicit-def: $vgpr16
                                        ; implicit-def: $vgpr10
                                        ; implicit-def: $vgpr11
                                        ; implicit-def: $vgpr14
                                        ; implicit-def: $vgpr15
                                        ; implicit-def: $vgpr22
                                        ; implicit-def: $vgpr26_vgpr27
                                        ; implicit-def: $vgpr36
                                        ; implicit-def: $vgpr37
                                        ; implicit-def: $vgpr18_vgpr19
                                        ; implicit-def: $vgpr35
; %bb.608:
	s_or_saveexec_b32 s3, s0
	v_dual_mov_b32 v0, s6 :: v_dual_mov_b32 v21, s5
	v_dual_mov_b32 v6, s5 :: v_dual_mov_b32 v1, s7
	;; [unrolled: 1-line block ×4, first 2 shown]
	s_xor_b32 exec_lo, exec_lo, s3
	s_cbranch_execz .LBB396_1424
; %bb.609:
	flat_load_b32 v26, v[26:27]
	s_getpc_b64 s[8:9]
	s_add_u32 s8, s8, llvm.amdgcn.dynlds.offset.table@rel32@lo+4
	s_addc_u32 s9, s9, llvm.amdgcn.dynlds.offset.table@rel32@hi+12
	s_ashr_i32 s7, s6, 31
	v_lshlrev_b64 v[0:1], 2, v[16:17]
	s_lshl_b64 s[12:13], s[6:7], 2
	v_add_co_u32 v2, vcc_lo, v10, v36
	s_add_u32 s8, s12, s8
	s_addc_u32 s9, s13, s9
	v_lshlrev_b32_e32 v6, 3, v20
	s_load_b32 s0, s[8:9], 0x0
	v_add_co_ci_u32_e32 v3, vcc_lo, v11, v37, vcc_lo
	v_mov_b32_e32 v11, 0
	v_add_co_u32 v0, vcc_lo, v18, v0
	v_add_co_ci_u32_e32 v1, vcc_lo, v19, v1, vcc_lo
	v_dual_mov_b32 v28, 0 :: v_dual_add_nc_u32 v17, -1, v12
	v_add_co_u32 v12, vcc_lo, v2, v6
	v_add_co_ci_u32_e32 v13, vcc_lo, 0, v3, vcc_lo
	v_add_co_u32 v14, vcc_lo, v14, v0
	v_add_co_ci_u32_e32 v15, vcc_lo, v15, v1, vcc_lo
	v_add3_u32 v18, s16, v35, 7
	v_dual_mov_b32 v25, 0 :: v_dual_mov_b32 v24, 0
	s_waitcnt lgkmcnt(0)
	v_lshl_add_u32 v19, v33, 5, s0
	v_dual_mov_b32 v23, 0 :: v_dual_mov_b32 v6, 0
	v_mov_b32_e32 v21, 0
	s_mov_b32 s8, -1
	s_mov_b32 s9, 0xffffff
	s_mov_b32 s5, 0
	s_branch .LBB396_611
.LBB396_610:                            ;   in Loop: Header=BB396_611 Depth=1
	s_or_b32 exec_lo, exec_lo, s0
	v_and_b32_e32 v35, 0xffff0000, v35
	v_and_b32_e32 v27, 0xffff0000, v27
	;; [unrolled: 1-line block ×8, first 2 shown]
	s_delay_alu instid0(VALU_DEP_4)
	v_dual_add_f32 v9, v9, v27 :: v_dual_and_b32 v10, 0xffff0000, v10
	v_add_f32_e32 v27, v29, v35
	v_and_b32_e32 v1, 0xffff0000, v1
	v_and_b32_e32 v2, 0xffff0000, v2
	;; [unrolled: 1-line block ×5, first 2 shown]
	v_dual_add_f32 v35, v36, v37 :: v_dual_and_b32 v38, 0xffff0000, v71
	v_dual_add_f32 v9, v9, v27 :: v_dual_and_b32 v36, 0xffff0000, v82
	v_and_b32_e32 v54, 0xffff0000, v132
	v_dual_add_f32 v0, v0, v1 :: v_dual_add_f32 v1, v2, v10
	v_and_b32_e32 v2, 0xffff0000, v48
	v_and_b32_e32 v27, 0xffff0000, v39
	;; [unrolled: 1-line block ×3, first 2 shown]
	v_add_f32_e32 v9, v9, v35
	v_and_b32_e32 v35, 0xffff0000, v81
	v_and_b32_e32 v10, 0xffff0000, v50
	v_add_f32_e32 v0, v0, v1
	v_dual_add_f32 v1, v2, v49 :: v_dual_and_b32 v2, 0xffff0000, v3
	v_add_f32_e32 v27, v29, v27
	v_and_b32_e32 v29, 0xffff0000, v84
	v_add_f32_e32 v37, v38, v37
	v_dual_add_f32 v35, v35, v36 :: v_dual_and_b32 v52, 0xffff0000, v113
	v_dual_add_f32 v0, v0, v1 :: v_dual_add_f32 v1, v10, v2
	v_and_b32_e32 v39, 0xffff0000, v83
	v_dual_add_f32 v9, v9, v27 :: v_dual_and_b32 v38, 0xffff0000, v97
	v_and_b32_e32 v36, 0xffff0000, v96
	s_delay_alu instid0(VALU_DEP_4) | instskip(NEXT) | instid1(VALU_DEP_4)
	v_add_f32_e32 v0, v0, v1
	v_add_f32_e32 v27, v39, v29
	v_dual_add_f32 v29, v37, v35 :: v_dual_and_b32 v8, 0xffff0000, v8
	v_dual_add_f32 v28, v28, v9 :: v_dual_and_b32 v37, 0xffff0000, v87
	v_and_b32_e32 v9, 0xffff0000, v85
	s_delay_alu instid0(VALU_DEP_3) | instskip(SKIP_3) | instid1(VALU_DEP_3)
	v_dual_add_f32 v27, v29, v27 :: v_dual_add_nc_u32 v16, 4, v16
	v_and_b32_e32 v29, 0xffff0000, v98
	v_dual_add_f32 v6, v6, v0 :: v_dual_and_b32 v35, 0xffff0000, v86
	v_dual_add_f32 v36, v37, v36 :: v_dual_and_b32 v37, 0xffff0000, v114
	;; [unrolled: 1-line block ×3, first 2 shown]
	s_delay_alu instid0(VALU_DEP_3) | instskip(SKIP_1) | instid1(VALU_DEP_3)
	v_dual_add_f32 v9, v9, v35 :: v_dual_add_nc_u32 v18, 32, v18
	v_and_b32_e32 v35, 0xffff0000, v100
	v_dual_add_f32 v38, v51, v38 :: v_dual_and_b32 v39, 0xffff0000, v99
	v_add_f32_e32 v37, v52, v37
	v_and_b32_e32 v51, 0xffff0000, v115
	v_dual_add_f32 v29, v36, v29 :: v_dual_and_b32 v52, 0xffff0000, v119
	v_and_b32_e32 v36, 0xffff0000, v116
	v_and_b32_e32 v53, 0xffff0000, v101
	v_add_f32_e32 v35, v39, v35
	v_and_b32_e32 v39, 0xffff0000, v102
	v_add_f32_e32 v9, v27, v9
	v_dual_add_f32 v27, v38, v37 :: v_dual_add_f32 v36, v51, v36
	v_and_b32_e32 v51, 0xffff0000, v128
	v_add_f32_e32 v29, v29, v35
	v_add_f32_e32 v35, v53, v39
	v_and_b32_e32 v39, 0xffff0000, v129
	v_dual_add_f32 v27, v27, v36 :: v_dual_and_b32 v36, 0xffff0000, v130
	v_dual_add_f32 v7, v7, v8 :: v_dual_add_f32 v8, v52, v51
	v_and_b32_e32 v37, 0xffff0000, v117
	v_and_b32_e32 v38, 0xffff0000, v118
	;; [unrolled: 1-line block ×3, first 2 shown]
	s_delay_alu instid0(VALU_DEP_4) | instskip(NEXT) | instid1(VALU_DEP_3)
	v_dual_add_f32 v2, v29, v35 :: v_dual_add_f32 v7, v7, v8
	v_dual_add_f32 v8, v39, v36 :: v_dual_add_f32 v3, v37, v38
	v_cmp_ge_i32_e32 vcc_lo, v16, v34
	v_add_co_u32 v14, s0, v14, 16
	s_delay_alu instid0(VALU_DEP_3) | instskip(NEXT) | instid1(VALU_DEP_4)
	v_dual_add_f32 v7, v7, v8 :: v_dual_add_f32 v8, v53, v54
	v_add_f32_e32 v3, v27, v3
	v_dual_add_f32 v25, v25, v9 :: v_dual_add_f32 v24, v24, v2
	v_add_co_ci_u32_e64 v15, s0, 0, v15, s0
	s_delay_alu instid0(VALU_DEP_4) | instskip(NEXT) | instid1(VALU_DEP_4)
	v_add_f32_e32 v7, v7, v8
	v_add_f32_e32 v23, v23, v3
	v_add_nc_u32_e32 v19, 0x80, v19
	s_or_b32 s5, vcc_lo, s5
	s_delay_alu instid0(VALU_DEP_3)
	v_add_f32_e32 v21, v21, v7
	s_and_not1_b32 exec_lo, exec_lo, s5
	s_cbranch_execz .LBB396_1423
.LBB396_611:                            ; =>This Inner Loop Header: Depth=1
	flat_load_b32 v48, v[14:15]
	ds_load_2addr_b64 v[7:10], v19 offset1:1
	ds_load_2addr_b64 v[0:3], v19 offset0:2 offset1:3
	s_mov_b32 s0, exec_lo
                                        ; implicit-def: $vgpr55
	s_waitcnt lgkmcnt(1)
	v_and_b32_e32 v27, 0x7f800000, v7
	s_delay_alu instid0(VALU_DEP_1)
	v_cmpx_ne_u32_e32 0x7f800000, v27
	s_xor_b32 s0, exec_lo, s0
; %bb.612:                              ;   in Loop: Header=BB396_611 Depth=1
	v_bfe_u32 v27, v7, 16, 1
	s_delay_alu instid0(VALU_DEP_1)
	v_add3_u32 v55, v7, v27, 0x7fff
; %bb.613:                              ;   in Loop: Header=BB396_611 Depth=1
	s_and_not1_saveexec_b32 s0, s0
; %bb.614:                              ;   in Loop: Header=BB396_611 Depth=1
	v_and_b32_e32 v27, 0xffff, v7
	v_or_b32_e32 v29, 0x10000, v7
	s_delay_alu instid0(VALU_DEP_2) | instskip(NEXT) | instid1(VALU_DEP_2)
	v_cmp_eq_u32_e32 vcc_lo, 0, v27
	v_cndmask_b32_e32 v55, v29, v7, vcc_lo
; %bb.615:                              ;   in Loop: Header=BB396_611 Depth=1
	s_or_b32 exec_lo, exec_lo, s0
	v_and_b32_e32 v7, 0x7f800000, v8
	s_mov_b32 s0, exec_lo
                                        ; implicit-def: $vgpr27
	s_delay_alu instid0(VALU_DEP_1)
	v_cmpx_ne_u32_e32 0x7f800000, v7
	s_xor_b32 s0, exec_lo, s0
; %bb.616:                              ;   in Loop: Header=BB396_611 Depth=1
	v_bfe_u32 v7, v8, 16, 1
	s_delay_alu instid0(VALU_DEP_1)
	v_add3_u32 v27, v8, v7, 0x7fff
; %bb.617:                              ;   in Loop: Header=BB396_611 Depth=1
	s_and_not1_saveexec_b32 s0, s0
; %bb.618:                              ;   in Loop: Header=BB396_611 Depth=1
	v_and_b32_e32 v7, 0xffff, v8
	v_or_b32_e32 v27, 0x10000, v8
	s_delay_alu instid0(VALU_DEP_2) | instskip(NEXT) | instid1(VALU_DEP_2)
	v_cmp_eq_u32_e32 vcc_lo, 0, v7
	v_cndmask_b32_e32 v27, v27, v8, vcc_lo
; %bb.619:                              ;   in Loop: Header=BB396_611 Depth=1
	s_or_b32 exec_lo, exec_lo, s0
	v_and_b32_e32 v7, 0x7f800000, v9
	s_mov_b32 s0, exec_lo
                                        ; implicit-def: $vgpr29
	s_delay_alu instid0(VALU_DEP_1)
	v_cmpx_ne_u32_e32 0x7f800000, v7
	s_xor_b32 s0, exec_lo, s0
; %bb.620:                              ;   in Loop: Header=BB396_611 Depth=1
	v_bfe_u32 v7, v9, 16, 1
	s_delay_alu instid0(VALU_DEP_1)
	v_add3_u32 v29, v9, v7, 0x7fff
; %bb.621:                              ;   in Loop: Header=BB396_611 Depth=1
	s_and_not1_saveexec_b32 s0, s0
; %bb.622:                              ;   in Loop: Header=BB396_611 Depth=1
	v_and_b32_e32 v7, 0xffff, v9
	v_or_b32_e32 v8, 0x10000, v9
	s_delay_alu instid0(VALU_DEP_2) | instskip(NEXT) | instid1(VALU_DEP_2)
	v_cmp_eq_u32_e32 vcc_lo, 0, v7
	v_cndmask_b32_e32 v29, v8, v9, vcc_lo
; %bb.623:                              ;   in Loop: Header=BB396_611 Depth=1
	s_or_b32 exec_lo, exec_lo, s0
	v_and_b32_e32 v7, 0x7f800000, v10
	s_mov_b32 s0, exec_lo
                                        ; implicit-def: $vgpr35
	s_delay_alu instid0(VALU_DEP_1)
	v_cmpx_ne_u32_e32 0x7f800000, v7
	s_xor_b32 s0, exec_lo, s0
; %bb.624:                              ;   in Loop: Header=BB396_611 Depth=1
	v_bfe_u32 v7, v10, 16, 1
	s_delay_alu instid0(VALU_DEP_1)
	v_add3_u32 v35, v10, v7, 0x7fff
                                        ; implicit-def: $vgpr7_vgpr8_vgpr9_vgpr10
; %bb.625:                              ;   in Loop: Header=BB396_611 Depth=1
	s_and_not1_saveexec_b32 s0, s0
; %bb.626:                              ;   in Loop: Header=BB396_611 Depth=1
	v_and_b32_e32 v7, 0xffff, v10
	v_or_b32_e32 v8, 0x10000, v10
	s_delay_alu instid0(VALU_DEP_2) | instskip(NEXT) | instid1(VALU_DEP_2)
	v_cmp_eq_u32_e32 vcc_lo, 0, v7
	v_cndmask_b32_e32 v35, v8, v10, vcc_lo
; %bb.627:                              ;   in Loop: Header=BB396_611 Depth=1
	s_or_b32 exec_lo, exec_lo, s0
	s_waitcnt lgkmcnt(0)
	v_and_b32_e32 v7, 0x7f800000, v0
	s_mov_b32 s0, exec_lo
                                        ; implicit-def: $vgpr36
	s_delay_alu instid0(VALU_DEP_1)
	v_cmpx_ne_u32_e32 0x7f800000, v7
	s_xor_b32 s0, exec_lo, s0
; %bb.628:                              ;   in Loop: Header=BB396_611 Depth=1
	v_bfe_u32 v7, v0, 16, 1
	s_delay_alu instid0(VALU_DEP_1)
	v_add3_u32 v36, v0, v7, 0x7fff
; %bb.629:                              ;   in Loop: Header=BB396_611 Depth=1
	s_and_not1_saveexec_b32 s0, s0
; %bb.630:                              ;   in Loop: Header=BB396_611 Depth=1
	v_and_b32_e32 v7, 0xffff, v0
	v_or_b32_e32 v8, 0x10000, v0
	s_delay_alu instid0(VALU_DEP_2) | instskip(NEXT) | instid1(VALU_DEP_2)
	v_cmp_eq_u32_e32 vcc_lo, 0, v7
	v_cndmask_b32_e32 v36, v8, v0, vcc_lo
; %bb.631:                              ;   in Loop: Header=BB396_611 Depth=1
	s_or_b32 exec_lo, exec_lo, s0
	v_and_b32_e32 v0, 0x7f800000, v1
	s_mov_b32 s0, exec_lo
                                        ; implicit-def: $vgpr37
	s_delay_alu instid0(VALU_DEP_1)
	v_cmpx_ne_u32_e32 0x7f800000, v0
	s_xor_b32 s0, exec_lo, s0
; %bb.632:                              ;   in Loop: Header=BB396_611 Depth=1
	v_bfe_u32 v0, v1, 16, 1
	s_delay_alu instid0(VALU_DEP_1)
	v_add3_u32 v37, v1, v0, 0x7fff
; %bb.633:                              ;   in Loop: Header=BB396_611 Depth=1
	s_and_not1_saveexec_b32 s0, s0
; %bb.634:                              ;   in Loop: Header=BB396_611 Depth=1
	v_and_b32_e32 v0, 0xffff, v1
	v_or_b32_e32 v7, 0x10000, v1
	s_delay_alu instid0(VALU_DEP_2) | instskip(NEXT) | instid1(VALU_DEP_2)
	v_cmp_eq_u32_e32 vcc_lo, 0, v0
	v_cndmask_b32_e32 v37, v7, v1, vcc_lo
; %bb.635:                              ;   in Loop: Header=BB396_611 Depth=1
	s_or_b32 exec_lo, exec_lo, s0
	v_and_b32_e32 v0, 0x7f800000, v2
	s_mov_b32 s0, exec_lo
                                        ; implicit-def: $vgpr38
	s_delay_alu instid0(VALU_DEP_1)
	v_cmpx_ne_u32_e32 0x7f800000, v0
	s_xor_b32 s0, exec_lo, s0
; %bb.636:                              ;   in Loop: Header=BB396_611 Depth=1
	v_bfe_u32 v0, v2, 16, 1
	s_delay_alu instid0(VALU_DEP_1)
	v_add3_u32 v38, v2, v0, 0x7fff
; %bb.637:                              ;   in Loop: Header=BB396_611 Depth=1
	s_and_not1_saveexec_b32 s0, s0
; %bb.638:                              ;   in Loop: Header=BB396_611 Depth=1
	v_and_b32_e32 v0, 0xffff, v2
	v_or_b32_e32 v1, 0x10000, v2
	s_delay_alu instid0(VALU_DEP_2) | instskip(NEXT) | instid1(VALU_DEP_2)
	v_cmp_eq_u32_e32 vcc_lo, 0, v0
	v_cndmask_b32_e32 v38, v1, v2, vcc_lo
; %bb.639:                              ;   in Loop: Header=BB396_611 Depth=1
	s_or_b32 exec_lo, exec_lo, s0
	v_and_b32_e32 v0, 0x7f800000, v3
	s_mov_b32 s0, exec_lo
                                        ; implicit-def: $vgpr39
	s_delay_alu instid0(VALU_DEP_1)
	v_cmpx_ne_u32_e32 0x7f800000, v0
	s_xor_b32 s0, exec_lo, s0
; %bb.640:                              ;   in Loop: Header=BB396_611 Depth=1
	v_bfe_u32 v0, v3, 16, 1
	s_delay_alu instid0(VALU_DEP_1)
	v_add3_u32 v39, v3, v0, 0x7fff
                                        ; implicit-def: $vgpr0_vgpr1_vgpr2_vgpr3
; %bb.641:                              ;   in Loop: Header=BB396_611 Depth=1
	s_and_not1_saveexec_b32 s0, s0
; %bb.642:                              ;   in Loop: Header=BB396_611 Depth=1
	v_and_b32_e32 v0, 0xffff, v3
	v_or_b32_e32 v1, 0x10000, v3
	s_delay_alu instid0(VALU_DEP_2) | instskip(NEXT) | instid1(VALU_DEP_2)
	v_cmp_eq_u32_e32 vcc_lo, 0, v0
	v_cndmask_b32_e32 v39, v1, v3, vcc_lo
; %bb.643:                              ;   in Loop: Header=BB396_611 Depth=1
	s_or_b32 exec_lo, exec_lo, s0
	s_waitcnt vmcnt(0)
	v_mad_i64_i32 v[0:1], null, v48, v22, v[12:13]
	s_mov_b32 s0, exec_lo
	v_mov_b32_e32 v7, 0
	flat_load_b64 v[2:3], v[0:1]
	s_waitcnt vmcnt(0) lgkmcnt(0)
	v_and_b32_e32 v8, 0xff, v2
	s_delay_alu instid0(VALU_DEP_1)
	v_cmpx_ne_u16_e32 0, v8
	s_cbranch_execz .LBB396_651
; %bb.644:                              ;   in Loop: Header=BB396_611 Depth=1
	v_bfrev_b32_e32 v7, 1
	s_mov_b32 s10, exec_lo
	v_cmpx_ne_u16_e32 0x80, v8
	s_cbranch_execz .LBB396_650
; %bb.645:                              ;   in Loop: Header=BB396_611 Depth=1
	v_and_b32_e32 v8, 0x7f, v2
	v_mov_b32_e32 v7, 0x7f800001
	s_mov_b32 s12, exec_lo
	s_delay_alu instid0(VALU_DEP_2)
	v_cmpx_ne_u32_e32 0x7f, v8
	s_cbranch_execz .LBB396_649
; %bb.646:                              ;   in Loop: Header=BB396_611 Depth=1
	v_lshrrev_b32_e32 v9, 3, v8
	v_cmp_gt_u32_e32 vcc_lo, 8, v8
	v_dual_mov_b32 v8, v3 :: v_dual_mov_b32 v7, v2
	s_and_saveexec_b32 s13, vcc_lo
; %bb.647:                              ;   in Loop: Header=BB396_611 Depth=1
	v_and_b32_e32 v7, 7, v2
	s_delay_alu instid0(VALU_DEP_1) | instskip(NEXT) | instid1(VALU_DEP_1)
	v_clz_i32_u32_e32 v7, v7
	v_min_u32_e32 v9, 32, v7
	s_delay_alu instid0(VALU_DEP_1) | instskip(SKIP_1) | instid1(VALU_DEP_2)
	v_subrev_nc_u32_e32 v7, 28, v9
	v_sub_nc_u32_e32 v9, 29, v9
	v_lshlrev_b64 v[7:8], v7, v[2:3]
; %bb.648:                              ;   in Loop: Header=BB396_611 Depth=1
	s_or_b32 exec_lo, exec_lo, s13
	s_delay_alu instid0(VALU_DEP_1) | instskip(SKIP_2) | instid1(VALU_DEP_3)
	v_lshlrev_b32_e32 v7, 20, v7
	v_lshlrev_b32_e32 v8, 24, v2
	v_lshl_add_u32 v9, v9, 23, 0x3c000000
	v_and_b32_e32 v7, 0x700000, v7
	s_delay_alu instid0(VALU_DEP_3) | instskip(NEXT) | instid1(VALU_DEP_1)
	v_and_b32_e32 v8, 0x80000000, v8
	v_or3_b32 v7, v7, v8, v9
.LBB396_649:                            ;   in Loop: Header=BB396_611 Depth=1
	s_or_b32 exec_lo, exec_lo, s12
.LBB396_650:                            ;   in Loop: Header=BB396_611 Depth=1
	s_delay_alu instid0(SALU_CYCLE_1)
	s_or_b32 exec_lo, exec_lo, s10
.LBB396_651:                            ;   in Loop: Header=BB396_611 Depth=1
	s_delay_alu instid0(SALU_CYCLE_1) | instskip(NEXT) | instid1(VALU_DEP_1)
	s_or_b32 exec_lo, exec_lo, s0
	v_mul_f32_e32 v7, v26, v7
	s_mov_b32 s0, exec_lo
                                        ; implicit-def: $vgpr9
	s_delay_alu instid0(VALU_DEP_1) | instskip(NEXT) | instid1(VALU_DEP_1)
	v_and_b32_e32 v8, 0x7f800000, v7
	v_cmpx_ne_u32_e32 0x7f800000, v8
	s_xor_b32 s0, exec_lo, s0
; %bb.652:                              ;   in Loop: Header=BB396_611 Depth=1
	v_bfe_u32 v8, v7, 16, 1
	s_delay_alu instid0(VALU_DEP_1)
	v_add3_u32 v9, v7, v8, 0x7fff
                                        ; implicit-def: $vgpr7
; %bb.653:                              ;   in Loop: Header=BB396_611 Depth=1
	s_and_not1_saveexec_b32 s0, s0
; %bb.654:                              ;   in Loop: Header=BB396_611 Depth=1
	v_and_b32_e32 v8, 0xffff, v7
	v_or_b32_e32 v9, 0x10000, v7
	s_delay_alu instid0(VALU_DEP_2) | instskip(NEXT) | instid1(VALU_DEP_2)
	v_cmp_eq_u32_e32 vcc_lo, 0, v8
	v_cndmask_b32_e32 v9, v9, v7, vcc_lo
; %bb.655:                              ;   in Loop: Header=BB396_611 Depth=1
	s_or_b32 exec_lo, exec_lo, s0
	v_lshrrev_b16 v8, 8, v2
	v_mov_b32_e32 v7, 0
	s_mov_b32 s0, exec_lo
	s_delay_alu instid0(VALU_DEP_2)
	v_cmpx_ne_u16_e32 0, v8
	s_cbranch_execz .LBB396_663
; %bb.656:                              ;   in Loop: Header=BB396_611 Depth=1
	v_bfrev_b32_e32 v7, 1
	s_mov_b32 s10, exec_lo
	v_cmpx_ne_u16_e32 0x80, v8
	s_cbranch_execz .LBB396_662
; %bb.657:                              ;   in Loop: Header=BB396_611 Depth=1
	v_and_b32_e32 v10, 0xffff, v8
	v_mov_b32_e32 v7, 0x7f800001
	s_mov_b32 s12, exec_lo
	s_delay_alu instid0(VALU_DEP_2) | instskip(NEXT) | instid1(VALU_DEP_1)
	v_and_b32_e32 v8, 0x7f, v10
	v_cmpx_ne_u32_e32 0x7f, v8
	s_cbranch_execz .LBB396_661
; %bb.658:                              ;   in Loop: Header=BB396_611 Depth=1
	v_and_b32_e32 v10, 7, v10
	v_lshrrev_b32_e32 v7, 3, v8
	s_mov_b32 s13, exec_lo
	v_cmpx_gt_u32_e32 8, v8
; %bb.659:                              ;   in Loop: Header=BB396_611 Depth=1
	s_delay_alu instid0(VALU_DEP_3) | instskip(NEXT) | instid1(VALU_DEP_1)
	v_clz_i32_u32_e32 v7, v10
	v_min_u32_e32 v7, 32, v7
	s_delay_alu instid0(VALU_DEP_1) | instskip(SKIP_1) | instid1(VALU_DEP_2)
	v_subrev_nc_u32_e32 v8, 28, v7
	v_sub_nc_u32_e32 v7, 29, v7
	v_lshlrev_b64 v[48:49], v8, v[10:11]
	s_delay_alu instid0(VALU_DEP_1)
	v_and_b32_e32 v10, 7, v48
; %bb.660:                              ;   in Loop: Header=BB396_611 Depth=1
	s_or_b32 exec_lo, exec_lo, s13
	v_lshlrev_b32_e32 v8, 16, v2
	s_delay_alu instid0(VALU_DEP_2) | instskip(SKIP_1) | instid1(VALU_DEP_3)
	v_lshlrev_b32_e32 v10, 20, v10
	v_lshl_add_u32 v7, v7, 23, 0x3c000000
	v_and_b32_e32 v8, 0x80000000, v8
	s_delay_alu instid0(VALU_DEP_1)
	v_or3_b32 v7, v10, v8, v7
.LBB396_661:                            ;   in Loop: Header=BB396_611 Depth=1
	s_or_b32 exec_lo, exec_lo, s12
.LBB396_662:                            ;   in Loop: Header=BB396_611 Depth=1
	s_delay_alu instid0(SALU_CYCLE_1)
	s_or_b32 exec_lo, exec_lo, s10
.LBB396_663:                            ;   in Loop: Header=BB396_611 Depth=1
	s_delay_alu instid0(SALU_CYCLE_1) | instskip(NEXT) | instid1(VALU_DEP_1)
	s_or_b32 exec_lo, exec_lo, s0
	v_mul_f32_e32 v7, v26, v7
	s_mov_b32 s0, exec_lo
                                        ; implicit-def: $vgpr49
	s_delay_alu instid0(VALU_DEP_1) | instskip(NEXT) | instid1(VALU_DEP_1)
	v_and_b32_e32 v8, 0x7f800000, v7
	v_cmpx_ne_u32_e32 0x7f800000, v8
	s_xor_b32 s0, exec_lo, s0
; %bb.664:                              ;   in Loop: Header=BB396_611 Depth=1
	v_bfe_u32 v8, v7, 16, 1
	s_delay_alu instid0(VALU_DEP_1)
	v_add3_u32 v49, v7, v8, 0x7fff
                                        ; implicit-def: $vgpr7
; %bb.665:                              ;   in Loop: Header=BB396_611 Depth=1
	s_and_not1_saveexec_b32 s0, s0
; %bb.666:                              ;   in Loop: Header=BB396_611 Depth=1
	v_and_b32_e32 v8, 0xffff, v7
	v_or_b32_e32 v10, 0x10000, v7
	s_delay_alu instid0(VALU_DEP_2) | instskip(NEXT) | instid1(VALU_DEP_2)
	v_cmp_eq_u32_e32 vcc_lo, 0, v8
	v_cndmask_b32_e32 v49, v10, v7, vcc_lo
; %bb.667:                              ;   in Loop: Header=BB396_611 Depth=1
	s_or_b32 exec_lo, exec_lo, s0
	v_lshrrev_b32_e32 v7, 16, v2
	v_mov_b32_e32 v8, 0
	s_mov_b32 s0, exec_lo
	s_delay_alu instid0(VALU_DEP_2) | instskip(NEXT) | instid1(VALU_DEP_1)
	v_and_b32_e32 v10, 0xff, v7
	v_cmpx_ne_u16_e32 0, v10
	s_cbranch_execz .LBB396_675
; %bb.668:                              ;   in Loop: Header=BB396_611 Depth=1
	v_bfrev_b32_e32 v8, 1
	s_mov_b32 s10, exec_lo
	v_cmpx_ne_u16_e32 0x80, v10
	s_cbranch_execz .LBB396_674
; %bb.669:                              ;   in Loop: Header=BB396_611 Depth=1
	v_bfe_u32 v48, v2, 16, 7
	v_mov_b32_e32 v8, 0x7f800001
	s_mov_b32 s12, exec_lo
	s_delay_alu instid0(VALU_DEP_2)
	v_cmpx_ne_u32_e32 0x7f, v48
	s_cbranch_execz .LBB396_673
; %bb.670:                              ;   in Loop: Header=BB396_611 Depth=1
	v_and_b32_e32 v10, 7, v7
	v_lshrrev_b32_e32 v8, 3, v48
	s_mov_b32 s13, exec_lo
	v_cmpx_gt_u32_e32 8, v48
; %bb.671:                              ;   in Loop: Header=BB396_611 Depth=1
	s_delay_alu instid0(VALU_DEP_3) | instskip(NEXT) | instid1(VALU_DEP_1)
	v_clz_i32_u32_e32 v8, v10
	v_min_u32_e32 v8, 32, v8
	s_delay_alu instid0(VALU_DEP_1) | instskip(SKIP_1) | instid1(VALU_DEP_2)
	v_subrev_nc_u32_e32 v48, 28, v8
	v_sub_nc_u32_e32 v8, 29, v8
	v_lshlrev_b64 v[50:51], v48, v[10:11]
	s_delay_alu instid0(VALU_DEP_1)
	v_and_b32_e32 v10, 7, v50
; %bb.672:                              ;   in Loop: Header=BB396_611 Depth=1
	s_or_b32 exec_lo, exec_lo, s13
	v_lshlrev_b32_e32 v7, 24, v7
	s_delay_alu instid0(VALU_DEP_2) | instskip(SKIP_1) | instid1(VALU_DEP_3)
	v_lshlrev_b32_e32 v10, 20, v10
	v_lshl_add_u32 v8, v8, 23, 0x3c000000
	v_and_b32_e32 v7, 0x80000000, v7
	s_delay_alu instid0(VALU_DEP_1)
	v_or3_b32 v8, v10, v7, v8
.LBB396_673:                            ;   in Loop: Header=BB396_611 Depth=1
	s_or_b32 exec_lo, exec_lo, s12
.LBB396_674:                            ;   in Loop: Header=BB396_611 Depth=1
	s_delay_alu instid0(SALU_CYCLE_1)
	s_or_b32 exec_lo, exec_lo, s10
.LBB396_675:                            ;   in Loop: Header=BB396_611 Depth=1
	s_delay_alu instid0(SALU_CYCLE_1) | instskip(NEXT) | instid1(VALU_DEP_1)
	s_or_b32 exec_lo, exec_lo, s0
	v_mul_f32_e32 v7, v26, v8
	s_mov_b32 s0, exec_lo
                                        ; implicit-def: $vgpr50
	s_delay_alu instid0(VALU_DEP_1) | instskip(NEXT) | instid1(VALU_DEP_1)
	v_and_b32_e32 v8, 0x7f800000, v7
	v_cmpx_ne_u32_e32 0x7f800000, v8
	s_xor_b32 s0, exec_lo, s0
; %bb.676:                              ;   in Loop: Header=BB396_611 Depth=1
	v_bfe_u32 v8, v7, 16, 1
	s_delay_alu instid0(VALU_DEP_1)
	v_add3_u32 v50, v7, v8, 0x7fff
                                        ; implicit-def: $vgpr7
; %bb.677:                              ;   in Loop: Header=BB396_611 Depth=1
	s_and_not1_saveexec_b32 s0, s0
; %bb.678:                              ;   in Loop: Header=BB396_611 Depth=1
	v_and_b32_e32 v8, 0xffff, v7
	v_or_b32_e32 v10, 0x10000, v7
	s_delay_alu instid0(VALU_DEP_2) | instskip(NEXT) | instid1(VALU_DEP_2)
	v_cmp_eq_u32_e32 vcc_lo, 0, v8
	v_cndmask_b32_e32 v50, v10, v7, vcc_lo
; %bb.679:                              ;   in Loop: Header=BB396_611 Depth=1
	s_or_b32 exec_lo, exec_lo, s0
	v_mov_b32_e32 v8, 0
	s_mov_b32 s0, exec_lo
	v_cmpx_lt_u32_e32 0xffffff, v2
	s_cbranch_execz .LBB396_687
; %bb.680:                              ;   in Loop: Header=BB396_611 Depth=1
	v_lshrrev_b32_e32 v7, 24, v2
	v_bfrev_b32_e32 v8, 1
	s_mov_b32 s10, exec_lo
	s_delay_alu instid0(VALU_DEP_2)
	v_cmpx_ne_u32_e32 0x80, v7
	s_cbranch_execz .LBB396_686
; %bb.681:                              ;   in Loop: Header=BB396_611 Depth=1
	v_bfe_u32 v48, v2, 24, 7
	v_mov_b32_e32 v8, 0x7f800001
	s_mov_b32 s12, exec_lo
	s_delay_alu instid0(VALU_DEP_2)
	v_cmpx_ne_u32_e32 0x7f, v48
	s_cbranch_execz .LBB396_685
; %bb.682:                              ;   in Loop: Header=BB396_611 Depth=1
	v_and_b32_e32 v10, 7, v7
	v_lshrrev_b32_e32 v8, 3, v48
	s_mov_b32 s13, exec_lo
	v_cmpx_gt_u32_e32 8, v48
; %bb.683:                              ;   in Loop: Header=BB396_611 Depth=1
	s_delay_alu instid0(VALU_DEP_3) | instskip(NEXT) | instid1(VALU_DEP_1)
	v_clz_i32_u32_e32 v8, v10
	v_min_u32_e32 v8, 32, v8
	s_delay_alu instid0(VALU_DEP_1) | instskip(SKIP_1) | instid1(VALU_DEP_2)
	v_subrev_nc_u32_e32 v48, 28, v8
	v_sub_nc_u32_e32 v8, 29, v8
	v_lshlrev_b64 v[51:52], v48, v[10:11]
	s_delay_alu instid0(VALU_DEP_1)
	v_and_b32_e32 v10, 7, v51
; %bb.684:                              ;   in Loop: Header=BB396_611 Depth=1
	s_or_b32 exec_lo, exec_lo, s13
	v_lshlrev_b32_e32 v7, 24, v7
	s_delay_alu instid0(VALU_DEP_2) | instskip(SKIP_1) | instid1(VALU_DEP_3)
	v_lshlrev_b32_e32 v10, 20, v10
	v_lshl_add_u32 v8, v8, 23, 0x3c000000
	v_and_b32_e32 v7, 0x80000000, v7
	s_delay_alu instid0(VALU_DEP_1)
	v_or3_b32 v8, v10, v7, v8
.LBB396_685:                            ;   in Loop: Header=BB396_611 Depth=1
	s_or_b32 exec_lo, exec_lo, s12
.LBB396_686:                            ;   in Loop: Header=BB396_611 Depth=1
	s_delay_alu instid0(SALU_CYCLE_1)
	s_or_b32 exec_lo, exec_lo, s10
.LBB396_687:                            ;   in Loop: Header=BB396_611 Depth=1
	s_delay_alu instid0(SALU_CYCLE_1) | instskip(NEXT) | instid1(VALU_DEP_1)
	s_or_b32 exec_lo, exec_lo, s0
	v_mul_f32_e32 v7, v26, v8
	s_mov_b32 s0, exec_lo
                                        ; implicit-def: $vgpr51
	s_delay_alu instid0(VALU_DEP_1) | instskip(NEXT) | instid1(VALU_DEP_1)
	v_and_b32_e32 v8, 0x7f800000, v7
	v_cmpx_ne_u32_e32 0x7f800000, v8
	s_xor_b32 s0, exec_lo, s0
; %bb.688:                              ;   in Loop: Header=BB396_611 Depth=1
	v_bfe_u32 v8, v7, 16, 1
	s_delay_alu instid0(VALU_DEP_1)
	v_add3_u32 v51, v7, v8, 0x7fff
                                        ; implicit-def: $vgpr7
; %bb.689:                              ;   in Loop: Header=BB396_611 Depth=1
	s_and_not1_saveexec_b32 s0, s0
; %bb.690:                              ;   in Loop: Header=BB396_611 Depth=1
	v_and_b32_e32 v8, 0xffff, v7
	v_or_b32_e32 v10, 0x10000, v7
	s_delay_alu instid0(VALU_DEP_2) | instskip(NEXT) | instid1(VALU_DEP_2)
	v_cmp_eq_u32_e32 vcc_lo, 0, v8
	v_cndmask_b32_e32 v51, v10, v7, vcc_lo
; %bb.691:                              ;   in Loop: Header=BB396_611 Depth=1
	s_or_b32 exec_lo, exec_lo, s0
	v_dual_mov_b32 v7, 0 :: v_dual_and_b32 v8, 0xff, v3
	v_mov_b32_e32 v10, v3
	s_mov_b32 s0, exec_lo
	s_delay_alu instid0(VALU_DEP_2)
	v_cmpx_ne_u16_e32 0, v8
	s_cbranch_execz .LBB396_699
; %bb.692:                              ;   in Loop: Header=BB396_611 Depth=1
	v_bfrev_b32_e32 v7, 1
	s_mov_b32 s10, exec_lo
	v_cmpx_ne_u16_e32 0x80, v8
	s_cbranch_execz .LBB396_698
; %bb.693:                              ;   in Loop: Header=BB396_611 Depth=1
	v_and_b32_e32 v8, 0x7f, v3
	v_mov_b32_e32 v7, 0x7f800001
	s_mov_b32 s12, exec_lo
	s_delay_alu instid0(VALU_DEP_2)
	v_cmpx_ne_u32_e32 0x7f, v8
	s_cbranch_execz .LBB396_697
; %bb.694:                              ;   in Loop: Header=BB396_611 Depth=1
	v_lshrrev_b32_e32 v48, 3, v8
	v_cmp_gt_u32_e32 vcc_lo, 8, v8
	v_dual_mov_b32 v7, v10 :: v_dual_mov_b32 v8, v11
	s_and_saveexec_b32 s13, vcc_lo
; %bb.695:                              ;   in Loop: Header=BB396_611 Depth=1
	v_and_b32_e32 v7, 7, v3
	s_delay_alu instid0(VALU_DEP_1) | instskip(NEXT) | instid1(VALU_DEP_1)
	v_clz_i32_u32_e32 v7, v7
	v_min_u32_e32 v48, 32, v7
	s_delay_alu instid0(VALU_DEP_1) | instskip(SKIP_1) | instid1(VALU_DEP_2)
	v_subrev_nc_u32_e32 v7, 28, v48
	v_sub_nc_u32_e32 v48, 29, v48
	v_lshlrev_b64 v[7:8], v7, v[10:11]
; %bb.696:                              ;   in Loop: Header=BB396_611 Depth=1
	s_or_b32 exec_lo, exec_lo, s13
	s_delay_alu instid0(VALU_DEP_1) | instskip(SKIP_2) | instid1(VALU_DEP_3)
	v_lshlrev_b32_e32 v7, 20, v7
	v_lshlrev_b32_e32 v8, 24, v10
	v_lshl_add_u32 v48, v48, 23, 0x3c000000
	v_and_b32_e32 v7, 0x700000, v7
	s_delay_alu instid0(VALU_DEP_3) | instskip(NEXT) | instid1(VALU_DEP_1)
	v_and_b32_e32 v8, 0x80000000, v8
	v_or3_b32 v7, v7, v8, v48
.LBB396_697:                            ;   in Loop: Header=BB396_611 Depth=1
	s_or_b32 exec_lo, exec_lo, s12
.LBB396_698:                            ;   in Loop: Header=BB396_611 Depth=1
	s_delay_alu instid0(SALU_CYCLE_1)
	s_or_b32 exec_lo, exec_lo, s10
.LBB396_699:                            ;   in Loop: Header=BB396_611 Depth=1
	s_delay_alu instid0(SALU_CYCLE_1) | instskip(NEXT) | instid1(VALU_DEP_1)
	s_or_b32 exec_lo, exec_lo, s0
	v_mul_f32_e32 v7, v26, v7
	s_mov_b32 s0, exec_lo
                                        ; implicit-def: $vgpr52
	s_delay_alu instid0(VALU_DEP_1) | instskip(NEXT) | instid1(VALU_DEP_1)
	v_and_b32_e32 v8, 0x7f800000, v7
	v_cmpx_ne_u32_e32 0x7f800000, v8
	s_xor_b32 s0, exec_lo, s0
; %bb.700:                              ;   in Loop: Header=BB396_611 Depth=1
	v_bfe_u32 v8, v7, 16, 1
	s_delay_alu instid0(VALU_DEP_1)
	v_add3_u32 v52, v7, v8, 0x7fff
                                        ; implicit-def: $vgpr7
; %bb.701:                              ;   in Loop: Header=BB396_611 Depth=1
	s_and_not1_saveexec_b32 s0, s0
; %bb.702:                              ;   in Loop: Header=BB396_611 Depth=1
	v_and_b32_e32 v8, 0xffff, v7
	v_or_b32_e32 v48, 0x10000, v7
	s_delay_alu instid0(VALU_DEP_2) | instskip(NEXT) | instid1(VALU_DEP_2)
	v_cmp_eq_u32_e32 vcc_lo, 0, v8
	v_cndmask_b32_e32 v52, v48, v7, vcc_lo
; %bb.703:                              ;   in Loop: Header=BB396_611 Depth=1
	s_or_b32 exec_lo, exec_lo, s0
	v_lshrrev_b16 v8, 8, v10
	v_mov_b32_e32 v7, 0
	s_mov_b32 s0, exec_lo
	s_delay_alu instid0(VALU_DEP_2)
	v_cmpx_ne_u16_e32 0, v8
	s_cbranch_execz .LBB396_711
; %bb.704:                              ;   in Loop: Header=BB396_611 Depth=1
	v_bfrev_b32_e32 v7, 1
	s_mov_b32 s10, exec_lo
	v_cmpx_ne_u16_e32 0x80, v8
	s_cbranch_execz .LBB396_710
; %bb.705:                              ;   in Loop: Header=BB396_611 Depth=1
	v_and_b32_e32 v8, 0xffff, v8
	v_mov_b32_e32 v7, 0x7f800001
	s_mov_b32 s12, exec_lo
	s_delay_alu instid0(VALU_DEP_2) | instskip(NEXT) | instid1(VALU_DEP_1)
	v_and_b32_e32 v53, 0x7f, v8
	v_cmpx_ne_u32_e32 0x7f, v53
	s_cbranch_execz .LBB396_709
; %bb.706:                              ;   in Loop: Header=BB396_611 Depth=1
	v_dual_mov_b32 v8, v11 :: v_dual_and_b32 v7, 7, v8
	v_lshrrev_b32_e32 v48, 3, v53
	s_mov_b32 s13, exec_lo
	v_cmpx_gt_u32_e32 8, v53
; %bb.707:                              ;   in Loop: Header=BB396_611 Depth=1
	s_delay_alu instid0(VALU_DEP_3) | instskip(NEXT) | instid1(VALU_DEP_1)
	v_clz_i32_u32_e32 v48, v7
	v_min_u32_e32 v48, 32, v48
	s_delay_alu instid0(VALU_DEP_1) | instskip(SKIP_1) | instid1(VALU_DEP_2)
	v_subrev_nc_u32_e32 v53, 28, v48
	v_sub_nc_u32_e32 v48, 29, v48
	v_lshlrev_b64 v[7:8], v53, v[7:8]
	s_delay_alu instid0(VALU_DEP_1)
	v_and_b32_e32 v7, 7, v7
; %bb.708:                              ;   in Loop: Header=BB396_611 Depth=1
	s_or_b32 exec_lo, exec_lo, s13
	v_lshlrev_b32_e32 v8, 16, v10
	s_delay_alu instid0(VALU_DEP_2) | instskip(SKIP_1) | instid1(VALU_DEP_3)
	v_lshlrev_b32_e32 v7, 20, v7
	v_lshl_add_u32 v10, v48, 23, 0x3c000000
	v_and_b32_e32 v8, 0x80000000, v8
	s_delay_alu instid0(VALU_DEP_1)
	v_or3_b32 v7, v7, v8, v10
.LBB396_709:                            ;   in Loop: Header=BB396_611 Depth=1
	s_or_b32 exec_lo, exec_lo, s12
.LBB396_710:                            ;   in Loop: Header=BB396_611 Depth=1
	s_delay_alu instid0(SALU_CYCLE_1)
	s_or_b32 exec_lo, exec_lo, s10
.LBB396_711:                            ;   in Loop: Header=BB396_611 Depth=1
	s_delay_alu instid0(SALU_CYCLE_1) | instskip(NEXT) | instid1(VALU_DEP_1)
	s_or_b32 exec_lo, exec_lo, s0
	v_mul_f32_e32 v8, v26, v7
	s_delay_alu instid0(VALU_DEP_1) | instskip(NEXT) | instid1(VALU_DEP_1)
	v_and_b32_e32 v7, 0x7f800000, v8
	v_cmp_ne_u32_e32 vcc_lo, 0x7f800000, v7
                                        ; implicit-def: $vgpr7
	s_and_saveexec_b32 s0, vcc_lo
	s_delay_alu instid0(SALU_CYCLE_1)
	s_xor_b32 s0, exec_lo, s0
; %bb.712:                              ;   in Loop: Header=BB396_611 Depth=1
	v_bfe_u32 v7, v8, 16, 1
	s_delay_alu instid0(VALU_DEP_1)
	v_add3_u32 v7, v8, v7, 0x7fff
                                        ; implicit-def: $vgpr8
; %bb.713:                              ;   in Loop: Header=BB396_611 Depth=1
	s_and_not1_saveexec_b32 s0, s0
; %bb.714:                              ;   in Loop: Header=BB396_611 Depth=1
	v_and_b32_e32 v7, 0xffff, v8
	v_or_b32_e32 v10, 0x10000, v8
	s_delay_alu instid0(VALU_DEP_2) | instskip(NEXT) | instid1(VALU_DEP_2)
	v_cmp_eq_u32_e32 vcc_lo, 0, v7
	v_cndmask_b32_e32 v7, v10, v8, vcc_lo
; %bb.715:                              ;   in Loop: Header=BB396_611 Depth=1
	s_or_b32 exec_lo, exec_lo, s0
	v_lshrrev_b32_e32 v8, 16, v3
	v_mov_b32_e32 v10, 0
	s_mov_b32 s0, exec_lo
	s_delay_alu instid0(VALU_DEP_2) | instskip(NEXT) | instid1(VALU_DEP_1)
	v_and_b32_e32 v48, 0xff, v8
	v_cmpx_ne_u16_e32 0, v48
	s_cbranch_execz .LBB396_723
; %bb.716:                              ;   in Loop: Header=BB396_611 Depth=1
	v_bfrev_b32_e32 v10, 1
	s_mov_b32 s10, exec_lo
	v_cmpx_ne_u16_e32 0x80, v48
	s_cbranch_execz .LBB396_722
; %bb.717:                              ;   in Loop: Header=BB396_611 Depth=1
	v_bfe_u32 v53, v3, 16, 7
	v_mov_b32_e32 v10, 0x7f800001
	s_mov_b32 s12, exec_lo
	s_delay_alu instid0(VALU_DEP_2)
	v_cmpx_ne_u32_e32 0x7f, v53
	s_cbranch_execz .LBB396_721
; %bb.718:                              ;   in Loop: Header=BB396_611 Depth=1
	v_and_b32_e32 v10, 7, v8
	v_lshrrev_b32_e32 v48, 3, v53
	s_mov_b32 s13, exec_lo
	v_cmpx_gt_u32_e32 8, v53
; %bb.719:                              ;   in Loop: Header=BB396_611 Depth=1
	s_delay_alu instid0(VALU_DEP_3) | instskip(NEXT) | instid1(VALU_DEP_1)
	v_clz_i32_u32_e32 v48, v10
	v_min_u32_e32 v48, 32, v48
	s_delay_alu instid0(VALU_DEP_1) | instskip(SKIP_1) | instid1(VALU_DEP_2)
	v_subrev_nc_u32_e32 v53, 28, v48
	v_sub_nc_u32_e32 v48, 29, v48
	v_lshlrev_b64 v[53:54], v53, v[10:11]
	s_delay_alu instid0(VALU_DEP_1)
	v_and_b32_e32 v10, 7, v53
; %bb.720:                              ;   in Loop: Header=BB396_611 Depth=1
	s_or_b32 exec_lo, exec_lo, s13
	v_lshlrev_b32_e32 v8, 24, v8
	s_delay_alu instid0(VALU_DEP_2) | instskip(SKIP_1) | instid1(VALU_DEP_3)
	v_lshlrev_b32_e32 v10, 20, v10
	v_lshl_add_u32 v48, v48, 23, 0x3c000000
	v_and_b32_e32 v8, 0x80000000, v8
	s_delay_alu instid0(VALU_DEP_1)
	v_or3_b32 v10, v10, v8, v48
.LBB396_721:                            ;   in Loop: Header=BB396_611 Depth=1
	s_or_b32 exec_lo, exec_lo, s12
.LBB396_722:                            ;   in Loop: Header=BB396_611 Depth=1
	s_delay_alu instid0(SALU_CYCLE_1)
	s_or_b32 exec_lo, exec_lo, s10
.LBB396_723:                            ;   in Loop: Header=BB396_611 Depth=1
	s_delay_alu instid0(SALU_CYCLE_1) | instskip(NEXT) | instid1(VALU_DEP_1)
	s_or_b32 exec_lo, exec_lo, s0
	v_mul_f32_e32 v8, v26, v10
	s_mov_b32 s0, exec_lo
                                        ; implicit-def: $vgpr53
	s_delay_alu instid0(VALU_DEP_1) | instskip(NEXT) | instid1(VALU_DEP_1)
	v_and_b32_e32 v10, 0x7f800000, v8
	v_cmpx_ne_u32_e32 0x7f800000, v10
	s_xor_b32 s0, exec_lo, s0
; %bb.724:                              ;   in Loop: Header=BB396_611 Depth=1
	v_bfe_u32 v10, v8, 16, 1
	s_delay_alu instid0(VALU_DEP_1)
	v_add3_u32 v53, v8, v10, 0x7fff
                                        ; implicit-def: $vgpr8
; %bb.725:                              ;   in Loop: Header=BB396_611 Depth=1
	s_and_not1_saveexec_b32 s0, s0
; %bb.726:                              ;   in Loop: Header=BB396_611 Depth=1
	v_and_b32_e32 v10, 0xffff, v8
	v_or_b32_e32 v48, 0x10000, v8
	s_delay_alu instid0(VALU_DEP_2) | instskip(NEXT) | instid1(VALU_DEP_2)
	v_cmp_eq_u32_e32 vcc_lo, 0, v10
	v_cndmask_b32_e32 v53, v48, v8, vcc_lo
; %bb.727:                              ;   in Loop: Header=BB396_611 Depth=1
	s_or_b32 exec_lo, exec_lo, s0
	v_mov_b32_e32 v8, 0
	s_mov_b32 s0, exec_lo
	v_cmpx_lt_u64_e64 s[8:9], v[2:3]
	s_cbranch_execz .LBB396_735
; %bb.728:                              ;   in Loop: Header=BB396_611 Depth=1
	v_lshrrev_b32_e32 v2, 24, v3
	v_bfrev_b32_e32 v8, 1
	s_mov_b32 s10, exec_lo
	s_delay_alu instid0(VALU_DEP_2)
	v_cmpx_ne_u32_e32 0x80, v2
	s_cbranch_execz .LBB396_734
; %bb.729:                              ;   in Loop: Header=BB396_611 Depth=1
	v_bfe_u32 v48, v3, 24, 7
	v_mov_b32_e32 v8, 0x7f800001
	s_mov_b32 s12, exec_lo
	s_delay_alu instid0(VALU_DEP_2)
	v_cmpx_ne_u32_e32 0x7f, v48
	s_cbranch_execz .LBB396_733
; %bb.730:                              ;   in Loop: Header=BB396_611 Depth=1
	v_and_b32_e32 v10, 7, v2
	v_lshrrev_b32_e32 v3, 3, v48
	s_mov_b32 s13, exec_lo
	v_cmpx_gt_u32_e32 8, v48
; %bb.731:                              ;   in Loop: Header=BB396_611 Depth=1
	s_delay_alu instid0(VALU_DEP_3) | instskip(NEXT) | instid1(VALU_DEP_1)
	v_clz_i32_u32_e32 v3, v10
	v_min_u32_e32 v3, 32, v3
	s_delay_alu instid0(VALU_DEP_1) | instskip(SKIP_1) | instid1(VALU_DEP_2)
	v_subrev_nc_u32_e32 v8, 28, v3
	v_sub_nc_u32_e32 v3, 29, v3
	v_lshlrev_b64 v[64:65], v8, v[10:11]
	s_delay_alu instid0(VALU_DEP_1)
	v_and_b32_e32 v10, 7, v64
; %bb.732:                              ;   in Loop: Header=BB396_611 Depth=1
	s_or_b32 exec_lo, exec_lo, s13
	v_lshlrev_b32_e32 v2, 24, v2
	s_delay_alu instid0(VALU_DEP_2) | instskip(SKIP_1) | instid1(VALU_DEP_3)
	v_lshlrev_b32_e32 v8, 20, v10
	v_lshl_add_u32 v3, v3, 23, 0x3c000000
	v_and_b32_e32 v2, 0x80000000, v2
	s_delay_alu instid0(VALU_DEP_1)
	v_or3_b32 v8, v8, v2, v3
.LBB396_733:                            ;   in Loop: Header=BB396_611 Depth=1
	s_or_b32 exec_lo, exec_lo, s12
.LBB396_734:                            ;   in Loop: Header=BB396_611 Depth=1
	s_delay_alu instid0(SALU_CYCLE_1)
	s_or_b32 exec_lo, exec_lo, s10
.LBB396_735:                            ;   in Loop: Header=BB396_611 Depth=1
	s_delay_alu instid0(SALU_CYCLE_1) | instskip(NEXT) | instid1(VALU_DEP_1)
	s_or_b32 exec_lo, exec_lo, s0
	v_mul_f32_e32 v3, v26, v8
	s_delay_alu instid0(VALU_DEP_1) | instskip(NEXT) | instid1(VALU_DEP_1)
	v_and_b32_e32 v2, 0x7f800000, v3
	v_cmp_ne_u32_e32 vcc_lo, 0x7f800000, v2
                                        ; implicit-def: $vgpr2
	s_and_saveexec_b32 s0, vcc_lo
	s_delay_alu instid0(SALU_CYCLE_1)
	s_xor_b32 s0, exec_lo, s0
; %bb.736:                              ;   in Loop: Header=BB396_611 Depth=1
	v_bfe_u32 v2, v3, 16, 1
	s_delay_alu instid0(VALU_DEP_1)
	v_add3_u32 v2, v3, v2, 0x7fff
                                        ; implicit-def: $vgpr3
; %bb.737:                              ;   in Loop: Header=BB396_611 Depth=1
	s_and_not1_saveexec_b32 s0, s0
; %bb.738:                              ;   in Loop: Header=BB396_611 Depth=1
	v_and_b32_e32 v2, 0xffff, v3
	v_or_b32_e32 v8, 0x10000, v3
	s_delay_alu instid0(VALU_DEP_2) | instskip(NEXT) | instid1(VALU_DEP_2)
	v_cmp_eq_u32_e32 vcc_lo, 0, v2
	v_cndmask_b32_e32 v2, v8, v3, vcc_lo
; %bb.739:                              ;   in Loop: Header=BB396_611 Depth=1
	s_or_b32 exec_lo, exec_lo, s0
	v_cmp_eq_u32_e32 vcc_lo, v17, v16
	v_add_nc_u32_e32 v48, -7, v18
	v_lshrrev_b32_e32 v7, 16, v7
	v_lshrrev_b32_e32 v8, 16, v52
	;; [unrolled: 1-line block ×8, first 2 shown]
	v_add_nc_u32_e32 v54, -6, v18
	v_add_nc_u32_e32 v53, -5, v18
	;; [unrolled: 1-line block ×6, first 2 shown]
	s_and_saveexec_b32 s10, vcc_lo
	s_cbranch_execz .LBB396_741
; %bb.740:                              ;   in Loop: Header=BB396_611 Depth=1
	v_cmp_lt_i32_e64 s0, v48, v32
	s_delay_alu instid0(VALU_DEP_1) | instskip(SKIP_1) | instid1(VALU_DEP_1)
	v_cndmask_b32_e64 v9, 0, v9, s0
	v_cmp_lt_i32_e64 s0, v54, v32
	v_cndmask_b32_e64 v65, 0, v65, s0
	v_cmp_lt_i32_e64 s0, v53, v32
	s_delay_alu instid0(VALU_DEP_1) | instskip(SKIP_1) | instid1(VALU_DEP_1)
	v_cndmask_b32_e64 v66, 0, v66, s0
	v_cmp_lt_i32_e64 s0, v52, v32
	v_cndmask_b32_e64 v10, 0, v10, s0
	;; [unrolled: 5-line block ×4, first 2 shown]
.LBB396_741:                            ;   in Loop: Header=BB396_611 Depth=1
	s_or_b32 exec_lo, exec_lo, s10
	v_and_b32_e32 v55, 0xffff0000, v55
	v_lshlrev_b32_e32 v9, 16, v9
	s_delay_alu instid0(VALU_DEP_1) | instskip(NEXT) | instid1(VALU_DEP_1)
	v_mul_f32_e32 v64, v55, v9
	v_and_b32_e32 v9, 0x7f800000, v64
	s_delay_alu instid0(VALU_DEP_1) | instskip(NEXT) | instid1(VALU_DEP_1)
	v_cmp_ne_u32_e64 s0, 0x7f800000, v9
                                        ; implicit-def: $vgpr9
	s_and_saveexec_b32 s10, s0
	s_delay_alu instid0(SALU_CYCLE_1)
	s_xor_b32 s0, exec_lo, s10
; %bb.742:                              ;   in Loop: Header=BB396_611 Depth=1
	v_bfe_u32 v9, v64, 16, 1
	s_delay_alu instid0(VALU_DEP_1)
	v_add3_u32 v9, v64, v9, 0x7fff
                                        ; implicit-def: $vgpr64
; %bb.743:                              ;   in Loop: Header=BB396_611 Depth=1
	s_and_not1_saveexec_b32 s10, s0
; %bb.744:                              ;   in Loop: Header=BB396_611 Depth=1
	v_and_b32_e32 v9, 0xffff, v64
	v_or_b32_e32 v67, 0x10000, v64
	s_delay_alu instid0(VALU_DEP_2) | instskip(NEXT) | instid1(VALU_DEP_1)
	v_cmp_eq_u32_e64 s0, 0, v9
	v_cndmask_b32_e64 v9, v67, v64, s0
; %bb.745:                              ;   in Loop: Header=BB396_611 Depth=1
	s_or_b32 exec_lo, exec_lo, s10
	v_and_b32_e32 v64, 0xffff0000, v27
	v_lshlrev_b32_e32 v27, 16, v65
	s_delay_alu instid0(VALU_DEP_1) | instskip(NEXT) | instid1(VALU_DEP_1)
	v_mul_f32_e32 v65, v64, v27
	v_and_b32_e32 v27, 0x7f800000, v65
	s_delay_alu instid0(VALU_DEP_1) | instskip(NEXT) | instid1(VALU_DEP_1)
	v_cmp_ne_u32_e64 s0, 0x7f800000, v27
                                        ; implicit-def: $vgpr27
	s_and_saveexec_b32 s10, s0
	s_delay_alu instid0(SALU_CYCLE_1)
	s_xor_b32 s0, exec_lo, s10
; %bb.746:                              ;   in Loop: Header=BB396_611 Depth=1
	v_bfe_u32 v27, v65, 16, 1
	s_delay_alu instid0(VALU_DEP_1)
	v_add3_u32 v27, v65, v27, 0x7fff
                                        ; implicit-def: $vgpr65
; %bb.747:                              ;   in Loop: Header=BB396_611 Depth=1
	s_and_not1_saveexec_b32 s10, s0
; %bb.748:                              ;   in Loop: Header=BB396_611 Depth=1
	v_and_b32_e32 v27, 0xffff, v65
	v_or_b32_e32 v67, 0x10000, v65
	s_delay_alu instid0(VALU_DEP_2) | instskip(NEXT) | instid1(VALU_DEP_1)
	v_cmp_eq_u32_e64 s0, 0, v27
	v_cndmask_b32_e64 v27, v67, v65, s0
; %bb.749:                              ;   in Loop: Header=BB396_611 Depth=1
	s_or_b32 exec_lo, exec_lo, s10
	v_and_b32_e32 v65, 0xffff0000, v29
	v_lshlrev_b32_e32 v29, 16, v66
	s_delay_alu instid0(VALU_DEP_1) | instskip(NEXT) | instid1(VALU_DEP_1)
	v_mul_f32_e32 v66, v65, v29
	v_and_b32_e32 v29, 0x7f800000, v66
	s_delay_alu instid0(VALU_DEP_1) | instskip(NEXT) | instid1(VALU_DEP_1)
	v_cmp_ne_u32_e64 s0, 0x7f800000, v29
                                        ; implicit-def: $vgpr29
	s_and_saveexec_b32 s10, s0
	s_delay_alu instid0(SALU_CYCLE_1)
	s_xor_b32 s0, exec_lo, s10
; %bb.750:                              ;   in Loop: Header=BB396_611 Depth=1
	v_bfe_u32 v29, v66, 16, 1
	s_delay_alu instid0(VALU_DEP_1)
	v_add3_u32 v29, v66, v29, 0x7fff
                                        ; implicit-def: $vgpr66
; %bb.751:                              ;   in Loop: Header=BB396_611 Depth=1
	s_and_not1_saveexec_b32 s10, s0
; %bb.752:                              ;   in Loop: Header=BB396_611 Depth=1
	v_and_b32_e32 v29, 0xffff, v66
	v_or_b32_e32 v67, 0x10000, v66
	s_delay_alu instid0(VALU_DEP_2) | instskip(NEXT) | instid1(VALU_DEP_1)
	v_cmp_eq_u32_e64 s0, 0, v29
	v_cndmask_b32_e64 v29, v67, v66, s0
; %bb.753:                              ;   in Loop: Header=BB396_611 Depth=1
	s_or_b32 exec_lo, exec_lo, s10
	v_and_b32_e32 v66, 0xffff0000, v35
	v_lshlrev_b32_e32 v10, 16, v10
	s_delay_alu instid0(VALU_DEP_1) | instskip(NEXT) | instid1(VALU_DEP_1)
	v_mul_f32_e32 v10, v66, v10
	v_and_b32_e32 v35, 0x7f800000, v10
	s_delay_alu instid0(VALU_DEP_1) | instskip(NEXT) | instid1(VALU_DEP_1)
	v_cmp_ne_u32_e64 s0, 0x7f800000, v35
                                        ; implicit-def: $vgpr35
	s_and_saveexec_b32 s10, s0
	s_delay_alu instid0(SALU_CYCLE_1)
	s_xor_b32 s0, exec_lo, s10
; %bb.754:                              ;   in Loop: Header=BB396_611 Depth=1
	v_bfe_u32 v35, v10, 16, 1
	s_delay_alu instid0(VALU_DEP_1)
	v_add3_u32 v35, v10, v35, 0x7fff
                                        ; implicit-def: $vgpr10
; %bb.755:                              ;   in Loop: Header=BB396_611 Depth=1
	s_and_not1_saveexec_b32 s10, s0
; %bb.756:                              ;   in Loop: Header=BB396_611 Depth=1
	v_and_b32_e32 v35, 0xffff, v10
	v_or_b32_e32 v67, 0x10000, v10
	s_delay_alu instid0(VALU_DEP_2) | instskip(NEXT) | instid1(VALU_DEP_1)
	v_cmp_eq_u32_e64 s0, 0, v35
	v_cndmask_b32_e64 v35, v67, v10, s0
; %bb.757:                              ;   in Loop: Header=BB396_611 Depth=1
	s_or_b32 exec_lo, exec_lo, s10
	v_and_b32_e32 v67, 0xffff0000, v36
	v_lshlrev_b32_e32 v8, 16, v8
                                        ; implicit-def: $vgpr36
	s_delay_alu instid0(VALU_DEP_1) | instskip(NEXT) | instid1(VALU_DEP_1)
	v_mul_f32_e32 v8, v67, v8
	v_and_b32_e32 v10, 0x7f800000, v8
	s_delay_alu instid0(VALU_DEP_1) | instskip(NEXT) | instid1(VALU_DEP_1)
	v_cmp_ne_u32_e64 s0, 0x7f800000, v10
	s_and_saveexec_b32 s10, s0
	s_delay_alu instid0(SALU_CYCLE_1)
	s_xor_b32 s0, exec_lo, s10
; %bb.758:                              ;   in Loop: Header=BB396_611 Depth=1
	v_bfe_u32 v10, v8, 16, 1
	s_delay_alu instid0(VALU_DEP_1)
	v_add3_u32 v36, v8, v10, 0x7fff
                                        ; implicit-def: $vgpr8
; %bb.759:                              ;   in Loop: Header=BB396_611 Depth=1
	s_and_not1_saveexec_b32 s10, s0
; %bb.760:                              ;   in Loop: Header=BB396_611 Depth=1
	v_and_b32_e32 v10, 0xffff, v8
	v_or_b32_e32 v36, 0x10000, v8
	s_delay_alu instid0(VALU_DEP_2) | instskip(NEXT) | instid1(VALU_DEP_1)
	v_cmp_eq_u32_e64 s0, 0, v10
	v_cndmask_b32_e64 v36, v36, v8, s0
; %bb.761:                              ;   in Loop: Header=BB396_611 Depth=1
	s_or_b32 exec_lo, exec_lo, s10
	v_and_b32_e32 v68, 0xffff0000, v37
	v_lshlrev_b32_e32 v7, 16, v7
                                        ; implicit-def: $vgpr37
	s_delay_alu instid0(VALU_DEP_1) | instskip(NEXT) | instid1(VALU_DEP_1)
	v_mul_f32_e32 v7, v68, v7
	v_and_b32_e32 v8, 0x7f800000, v7
	s_delay_alu instid0(VALU_DEP_1) | instskip(NEXT) | instid1(VALU_DEP_1)
	v_cmp_ne_u32_e64 s0, 0x7f800000, v8
	s_and_saveexec_b32 s10, s0
	s_delay_alu instid0(SALU_CYCLE_1)
	s_xor_b32 s0, exec_lo, s10
; %bb.762:                              ;   in Loop: Header=BB396_611 Depth=1
	v_bfe_u32 v8, v7, 16, 1
	s_delay_alu instid0(VALU_DEP_1)
	v_add3_u32 v37, v7, v8, 0x7fff
                                        ; implicit-def: $vgpr7
; %bb.763:                              ;   in Loop: Header=BB396_611 Depth=1
	s_and_not1_saveexec_b32 s10, s0
; %bb.764:                              ;   in Loop: Header=BB396_611 Depth=1
	v_and_b32_e32 v8, 0xffff, v7
	v_or_b32_e32 v10, 0x10000, v7
	s_delay_alu instid0(VALU_DEP_2) | instskip(NEXT) | instid1(VALU_DEP_1)
	v_cmp_eq_u32_e64 s0, 0, v8
	v_cndmask_b32_e64 v37, v10, v7, s0
; %bb.765:                              ;   in Loop: Header=BB396_611 Depth=1
	s_or_b32 exec_lo, exec_lo, s10
	v_and_b32_e32 v69, 0xffff0000, v38
	v_lshlrev_b32_e32 v3, 16, v3
                                        ; implicit-def: $vgpr38
	s_delay_alu instid0(VALU_DEP_1) | instskip(NEXT) | instid1(VALU_DEP_1)
	v_mul_f32_e32 v3, v69, v3
	v_and_b32_e32 v7, 0x7f800000, v3
	s_delay_alu instid0(VALU_DEP_1) | instskip(NEXT) | instid1(VALU_DEP_1)
	v_cmp_ne_u32_e64 s0, 0x7f800000, v7
	s_and_saveexec_b32 s10, s0
	s_delay_alu instid0(SALU_CYCLE_1)
	s_xor_b32 s0, exec_lo, s10
; %bb.766:                              ;   in Loop: Header=BB396_611 Depth=1
	v_bfe_u32 v7, v3, 16, 1
	s_delay_alu instid0(VALU_DEP_1)
	v_add3_u32 v38, v3, v7, 0x7fff
                                        ; implicit-def: $vgpr3
; %bb.767:                              ;   in Loop: Header=BB396_611 Depth=1
	s_and_not1_saveexec_b32 s10, s0
; %bb.768:                              ;   in Loop: Header=BB396_611 Depth=1
	v_and_b32_e32 v7, 0xffff, v3
	v_or_b32_e32 v8, 0x10000, v3
	s_delay_alu instid0(VALU_DEP_2) | instskip(NEXT) | instid1(VALU_DEP_1)
	v_cmp_eq_u32_e64 s0, 0, v7
	v_cndmask_b32_e64 v38, v8, v3, s0
; %bb.769:                              ;   in Loop: Header=BB396_611 Depth=1
	s_or_b32 exec_lo, exec_lo, s10
	v_and_b32_e32 v70, 0xffff0000, v39
	v_lshlrev_b32_e32 v2, 16, v2
                                        ; implicit-def: $vgpr39
	s_delay_alu instid0(VALU_DEP_1) | instskip(NEXT) | instid1(VALU_DEP_1)
	v_mul_f32_e32 v2, v70, v2
	v_and_b32_e32 v3, 0x7f800000, v2
	s_delay_alu instid0(VALU_DEP_1) | instskip(NEXT) | instid1(VALU_DEP_1)
	v_cmp_ne_u32_e64 s0, 0x7f800000, v3
	s_and_saveexec_b32 s10, s0
	s_delay_alu instid0(SALU_CYCLE_1)
	s_xor_b32 s0, exec_lo, s10
; %bb.770:                              ;   in Loop: Header=BB396_611 Depth=1
	v_bfe_u32 v3, v2, 16, 1
	s_delay_alu instid0(VALU_DEP_1)
	v_add3_u32 v39, v2, v3, 0x7fff
                                        ; implicit-def: $vgpr2
; %bb.771:                              ;   in Loop: Header=BB396_611 Depth=1
	s_and_not1_saveexec_b32 s10, s0
; %bb.772:                              ;   in Loop: Header=BB396_611 Depth=1
	v_and_b32_e32 v3, 0xffff, v2
	v_or_b32_e32 v7, 0x10000, v2
	s_delay_alu instid0(VALU_DEP_2) | instskip(NEXT) | instid1(VALU_DEP_1)
	v_cmp_eq_u32_e64 s0, 0, v3
	v_cndmask_b32_e64 v39, v7, v2, s0
; %bb.773:                              ;   in Loop: Header=BB396_611 Depth=1
	s_or_b32 exec_lo, exec_lo, s10
	flat_load_b64 v[2:3], v[0:1] offset:256
	s_mov_b32 s10, exec_lo
	s_waitcnt vmcnt(0) lgkmcnt(0)
	v_dual_mov_b32 v7, 0 :: v_dual_and_b32 v8, 0xff, v2
	s_delay_alu instid0(VALU_DEP_1)
	v_cmpx_ne_u16_e32 0, v8
	s_cbranch_execz .LBB396_781
; %bb.774:                              ;   in Loop: Header=BB396_611 Depth=1
	v_bfrev_b32_e32 v7, 1
	s_mov_b32 s12, exec_lo
	v_cmpx_ne_u16_e32 0x80, v8
	s_cbranch_execz .LBB396_780
; %bb.775:                              ;   in Loop: Header=BB396_611 Depth=1
	v_and_b32_e32 v8, 0x7f, v2
	v_mov_b32_e32 v7, 0x7f800001
	s_mov_b32 s13, exec_lo
	s_delay_alu instid0(VALU_DEP_2)
	v_cmpx_ne_u32_e32 0x7f, v8
	s_cbranch_execz .LBB396_779
; %bb.776:                              ;   in Loop: Header=BB396_611 Depth=1
	v_lshrrev_b32_e32 v10, 3, v8
	v_cmp_gt_u32_e64 s0, 8, v8
	v_dual_mov_b32 v8, v3 :: v_dual_mov_b32 v7, v2
	s_delay_alu instid0(VALU_DEP_2)
	s_and_saveexec_b32 s15, s0
; %bb.777:                              ;   in Loop: Header=BB396_611 Depth=1
	v_and_b32_e32 v7, 7, v2
	s_delay_alu instid0(VALU_DEP_1) | instskip(NEXT) | instid1(VALU_DEP_1)
	v_clz_i32_u32_e32 v7, v7
	v_min_u32_e32 v10, 32, v7
	s_delay_alu instid0(VALU_DEP_1) | instskip(SKIP_1) | instid1(VALU_DEP_2)
	v_subrev_nc_u32_e32 v7, 28, v10
	v_sub_nc_u32_e32 v10, 29, v10
	v_lshlrev_b64 v[7:8], v7, v[2:3]
; %bb.778:                              ;   in Loop: Header=BB396_611 Depth=1
	s_or_b32 exec_lo, exec_lo, s15
	s_delay_alu instid0(VALU_DEP_1) | instskip(SKIP_2) | instid1(VALU_DEP_3)
	v_lshlrev_b32_e32 v7, 20, v7
	v_lshlrev_b32_e32 v8, 24, v2
	v_lshl_add_u32 v10, v10, 23, 0x3c000000
	v_and_b32_e32 v7, 0x700000, v7
	s_delay_alu instid0(VALU_DEP_3) | instskip(NEXT) | instid1(VALU_DEP_1)
	v_and_b32_e32 v8, 0x80000000, v8
	v_or3_b32 v7, v7, v8, v10
.LBB396_779:                            ;   in Loop: Header=BB396_611 Depth=1
	s_or_b32 exec_lo, exec_lo, s13
.LBB396_780:                            ;   in Loop: Header=BB396_611 Depth=1
	s_delay_alu instid0(SALU_CYCLE_1)
	s_or_b32 exec_lo, exec_lo, s12
.LBB396_781:                            ;   in Loop: Header=BB396_611 Depth=1
	s_delay_alu instid0(SALU_CYCLE_1) | instskip(NEXT) | instid1(VALU_DEP_1)
	s_or_b32 exec_lo, exec_lo, s10
	v_mul_f32_e32 v7, v26, v7
                                        ; implicit-def: $vgpr71
	s_delay_alu instid0(VALU_DEP_1) | instskip(NEXT) | instid1(VALU_DEP_1)
	v_and_b32_e32 v8, 0x7f800000, v7
	v_cmp_ne_u32_e64 s0, 0x7f800000, v8
	s_delay_alu instid0(VALU_DEP_1) | instskip(NEXT) | instid1(SALU_CYCLE_1)
	s_and_saveexec_b32 s10, s0
	s_xor_b32 s0, exec_lo, s10
; %bb.782:                              ;   in Loop: Header=BB396_611 Depth=1
	v_bfe_u32 v8, v7, 16, 1
	s_delay_alu instid0(VALU_DEP_1)
	v_add3_u32 v71, v7, v8, 0x7fff
                                        ; implicit-def: $vgpr7
; %bb.783:                              ;   in Loop: Header=BB396_611 Depth=1
	s_and_not1_saveexec_b32 s10, s0
; %bb.784:                              ;   in Loop: Header=BB396_611 Depth=1
	v_and_b32_e32 v8, 0xffff, v7
	v_or_b32_e32 v10, 0x10000, v7
	s_delay_alu instid0(VALU_DEP_2) | instskip(NEXT) | instid1(VALU_DEP_1)
	v_cmp_eq_u32_e64 s0, 0, v8
	v_cndmask_b32_e64 v71, v10, v7, s0
; %bb.785:                              ;   in Loop: Header=BB396_611 Depth=1
	s_or_b32 exec_lo, exec_lo, s10
	v_lshrrev_b16 v8, 8, v2
	v_mov_b32_e32 v7, 0
	s_mov_b32 s10, exec_lo
	s_delay_alu instid0(VALU_DEP_2)
	v_cmpx_ne_u16_e32 0, v8
	s_cbranch_execz .LBB396_793
; %bb.786:                              ;   in Loop: Header=BB396_611 Depth=1
	v_bfrev_b32_e32 v7, 1
	s_mov_b32 s12, exec_lo
	v_cmpx_ne_u16_e32 0x80, v8
	s_cbranch_execz .LBB396_792
; %bb.787:                              ;   in Loop: Header=BB396_611 Depth=1
	v_and_b32_e32 v10, 0xffff, v8
	v_mov_b32_e32 v7, 0x7f800001
	s_mov_b32 s13, exec_lo
	s_delay_alu instid0(VALU_DEP_2) | instskip(NEXT) | instid1(VALU_DEP_1)
	v_and_b32_e32 v8, 0x7f, v10
	v_cmpx_ne_u32_e32 0x7f, v8
	s_cbranch_execz .LBB396_791
; %bb.788:                              ;   in Loop: Header=BB396_611 Depth=1
	v_and_b32_e32 v10, 7, v10
	v_lshrrev_b32_e32 v7, 3, v8
	s_mov_b32 s15, exec_lo
	v_cmpx_gt_u32_e32 8, v8
; %bb.789:                              ;   in Loop: Header=BB396_611 Depth=1
	s_delay_alu instid0(VALU_DEP_3) | instskip(NEXT) | instid1(VALU_DEP_1)
	v_clz_i32_u32_e32 v7, v10
	v_min_u32_e32 v7, 32, v7
	s_delay_alu instid0(VALU_DEP_1) | instskip(SKIP_1) | instid1(VALU_DEP_2)
	v_subrev_nc_u32_e32 v8, 28, v7
	v_sub_nc_u32_e32 v7, 29, v7
	v_lshlrev_b64 v[80:81], v8, v[10:11]
	s_delay_alu instid0(VALU_DEP_1)
	v_and_b32_e32 v10, 7, v80
; %bb.790:                              ;   in Loop: Header=BB396_611 Depth=1
	s_or_b32 exec_lo, exec_lo, s15
	v_lshlrev_b32_e32 v8, 16, v2
	s_delay_alu instid0(VALU_DEP_2) | instskip(SKIP_1) | instid1(VALU_DEP_3)
	v_lshlrev_b32_e32 v10, 20, v10
	v_lshl_add_u32 v7, v7, 23, 0x3c000000
	v_and_b32_e32 v8, 0x80000000, v8
	s_delay_alu instid0(VALU_DEP_1)
	v_or3_b32 v7, v10, v8, v7
.LBB396_791:                            ;   in Loop: Header=BB396_611 Depth=1
	s_or_b32 exec_lo, exec_lo, s13
.LBB396_792:                            ;   in Loop: Header=BB396_611 Depth=1
	s_delay_alu instid0(SALU_CYCLE_1)
	s_or_b32 exec_lo, exec_lo, s12
.LBB396_793:                            ;   in Loop: Header=BB396_611 Depth=1
	s_delay_alu instid0(SALU_CYCLE_1) | instskip(NEXT) | instid1(VALU_DEP_1)
	s_or_b32 exec_lo, exec_lo, s10
	v_mul_f32_e32 v7, v26, v7
                                        ; implicit-def: $vgpr80
	s_delay_alu instid0(VALU_DEP_1) | instskip(NEXT) | instid1(VALU_DEP_1)
	v_and_b32_e32 v8, 0x7f800000, v7
	v_cmp_ne_u32_e64 s0, 0x7f800000, v8
	s_delay_alu instid0(VALU_DEP_1) | instskip(NEXT) | instid1(SALU_CYCLE_1)
	s_and_saveexec_b32 s10, s0
	s_xor_b32 s0, exec_lo, s10
; %bb.794:                              ;   in Loop: Header=BB396_611 Depth=1
	v_bfe_u32 v8, v7, 16, 1
	s_delay_alu instid0(VALU_DEP_1)
	v_add3_u32 v80, v7, v8, 0x7fff
                                        ; implicit-def: $vgpr7
; %bb.795:                              ;   in Loop: Header=BB396_611 Depth=1
	s_and_not1_saveexec_b32 s10, s0
; %bb.796:                              ;   in Loop: Header=BB396_611 Depth=1
	v_and_b32_e32 v8, 0xffff, v7
	v_or_b32_e32 v10, 0x10000, v7
	s_delay_alu instid0(VALU_DEP_2) | instskip(NEXT) | instid1(VALU_DEP_1)
	v_cmp_eq_u32_e64 s0, 0, v8
	v_cndmask_b32_e64 v80, v10, v7, s0
; %bb.797:                              ;   in Loop: Header=BB396_611 Depth=1
	s_or_b32 exec_lo, exec_lo, s10
	v_lshrrev_b32_e32 v7, 16, v2
	v_mov_b32_e32 v8, 0
	s_mov_b32 s10, exec_lo
	s_delay_alu instid0(VALU_DEP_2) | instskip(NEXT) | instid1(VALU_DEP_1)
	v_and_b32_e32 v10, 0xff, v7
	v_cmpx_ne_u16_e32 0, v10
	s_cbranch_execz .LBB396_805
; %bb.798:                              ;   in Loop: Header=BB396_611 Depth=1
	v_bfrev_b32_e32 v8, 1
	s_mov_b32 s12, exec_lo
	v_cmpx_ne_u16_e32 0x80, v10
	s_cbranch_execz .LBB396_804
; %bb.799:                              ;   in Loop: Header=BB396_611 Depth=1
	v_bfe_u32 v81, v2, 16, 7
	v_mov_b32_e32 v8, 0x7f800001
	s_mov_b32 s13, exec_lo
	s_delay_alu instid0(VALU_DEP_2)
	v_cmpx_ne_u32_e32 0x7f, v81
	s_cbranch_execz .LBB396_803
; %bb.800:                              ;   in Loop: Header=BB396_611 Depth=1
	v_and_b32_e32 v10, 7, v7
	v_lshrrev_b32_e32 v8, 3, v81
	s_mov_b32 s15, exec_lo
	v_cmpx_gt_u32_e32 8, v81
; %bb.801:                              ;   in Loop: Header=BB396_611 Depth=1
	s_delay_alu instid0(VALU_DEP_3) | instskip(NEXT) | instid1(VALU_DEP_1)
	v_clz_i32_u32_e32 v8, v10
	v_min_u32_e32 v8, 32, v8
	s_delay_alu instid0(VALU_DEP_1) | instskip(SKIP_1) | instid1(VALU_DEP_2)
	v_subrev_nc_u32_e32 v81, 28, v8
	v_sub_nc_u32_e32 v8, 29, v8
	v_lshlrev_b64 v[81:82], v81, v[10:11]
	s_delay_alu instid0(VALU_DEP_1)
	v_and_b32_e32 v10, 7, v81
; %bb.802:                              ;   in Loop: Header=BB396_611 Depth=1
	s_or_b32 exec_lo, exec_lo, s15
	v_lshlrev_b32_e32 v7, 24, v7
	s_delay_alu instid0(VALU_DEP_2) | instskip(SKIP_1) | instid1(VALU_DEP_3)
	v_lshlrev_b32_e32 v10, 20, v10
	v_lshl_add_u32 v8, v8, 23, 0x3c000000
	v_and_b32_e32 v7, 0x80000000, v7
	s_delay_alu instid0(VALU_DEP_1)
	v_or3_b32 v8, v10, v7, v8
.LBB396_803:                            ;   in Loop: Header=BB396_611 Depth=1
	s_or_b32 exec_lo, exec_lo, s13
.LBB396_804:                            ;   in Loop: Header=BB396_611 Depth=1
	s_delay_alu instid0(SALU_CYCLE_1)
	s_or_b32 exec_lo, exec_lo, s12
.LBB396_805:                            ;   in Loop: Header=BB396_611 Depth=1
	s_delay_alu instid0(SALU_CYCLE_1) | instskip(NEXT) | instid1(VALU_DEP_1)
	s_or_b32 exec_lo, exec_lo, s10
	v_mul_f32_e32 v7, v26, v8
                                        ; implicit-def: $vgpr81
	s_delay_alu instid0(VALU_DEP_1) | instskip(NEXT) | instid1(VALU_DEP_1)
	v_and_b32_e32 v8, 0x7f800000, v7
	v_cmp_ne_u32_e64 s0, 0x7f800000, v8
	s_delay_alu instid0(VALU_DEP_1) | instskip(NEXT) | instid1(SALU_CYCLE_1)
	s_and_saveexec_b32 s10, s0
	s_xor_b32 s0, exec_lo, s10
; %bb.806:                              ;   in Loop: Header=BB396_611 Depth=1
	v_bfe_u32 v8, v7, 16, 1
	s_delay_alu instid0(VALU_DEP_1)
	v_add3_u32 v81, v7, v8, 0x7fff
                                        ; implicit-def: $vgpr7
; %bb.807:                              ;   in Loop: Header=BB396_611 Depth=1
	s_and_not1_saveexec_b32 s10, s0
; %bb.808:                              ;   in Loop: Header=BB396_611 Depth=1
	v_and_b32_e32 v8, 0xffff, v7
	v_or_b32_e32 v10, 0x10000, v7
	s_delay_alu instid0(VALU_DEP_2) | instskip(NEXT) | instid1(VALU_DEP_1)
	v_cmp_eq_u32_e64 s0, 0, v8
	v_cndmask_b32_e64 v81, v10, v7, s0
; %bb.809:                              ;   in Loop: Header=BB396_611 Depth=1
	s_or_b32 exec_lo, exec_lo, s10
	v_mov_b32_e32 v8, 0
	s_mov_b32 s10, exec_lo
	v_cmpx_lt_u32_e32 0xffffff, v2
	s_cbranch_execz .LBB396_817
; %bb.810:                              ;   in Loop: Header=BB396_611 Depth=1
	v_lshrrev_b32_e32 v7, 24, v2
	v_bfrev_b32_e32 v8, 1
	s_mov_b32 s12, exec_lo
	s_delay_alu instid0(VALU_DEP_2)
	v_cmpx_ne_u32_e32 0x80, v7
	s_cbranch_execz .LBB396_816
; %bb.811:                              ;   in Loop: Header=BB396_611 Depth=1
	v_bfe_u32 v82, v2, 24, 7
	v_mov_b32_e32 v8, 0x7f800001
	s_mov_b32 s13, exec_lo
	s_delay_alu instid0(VALU_DEP_2)
	v_cmpx_ne_u32_e32 0x7f, v82
	s_cbranch_execz .LBB396_815
; %bb.812:                              ;   in Loop: Header=BB396_611 Depth=1
	v_and_b32_e32 v10, 7, v7
	v_lshrrev_b32_e32 v8, 3, v82
	s_mov_b32 s15, exec_lo
	v_cmpx_gt_u32_e32 8, v82
; %bb.813:                              ;   in Loop: Header=BB396_611 Depth=1
	s_delay_alu instid0(VALU_DEP_3) | instskip(NEXT) | instid1(VALU_DEP_1)
	v_clz_i32_u32_e32 v8, v10
	v_min_u32_e32 v8, 32, v8
	s_delay_alu instid0(VALU_DEP_1) | instskip(SKIP_1) | instid1(VALU_DEP_2)
	v_subrev_nc_u32_e32 v82, 28, v8
	v_sub_nc_u32_e32 v8, 29, v8
	v_lshlrev_b64 v[82:83], v82, v[10:11]
	s_delay_alu instid0(VALU_DEP_1)
	v_and_b32_e32 v10, 7, v82
; %bb.814:                              ;   in Loop: Header=BB396_611 Depth=1
	s_or_b32 exec_lo, exec_lo, s15
	v_lshlrev_b32_e32 v7, 24, v7
	s_delay_alu instid0(VALU_DEP_2) | instskip(SKIP_1) | instid1(VALU_DEP_3)
	v_lshlrev_b32_e32 v10, 20, v10
	v_lshl_add_u32 v8, v8, 23, 0x3c000000
	v_and_b32_e32 v7, 0x80000000, v7
	s_delay_alu instid0(VALU_DEP_1)
	v_or3_b32 v8, v10, v7, v8
.LBB396_815:                            ;   in Loop: Header=BB396_611 Depth=1
	s_or_b32 exec_lo, exec_lo, s13
.LBB396_816:                            ;   in Loop: Header=BB396_611 Depth=1
	s_delay_alu instid0(SALU_CYCLE_1)
	s_or_b32 exec_lo, exec_lo, s12
.LBB396_817:                            ;   in Loop: Header=BB396_611 Depth=1
	s_delay_alu instid0(SALU_CYCLE_1) | instskip(NEXT) | instid1(VALU_DEP_1)
	s_or_b32 exec_lo, exec_lo, s10
	v_mul_f32_e32 v7, v26, v8
                                        ; implicit-def: $vgpr82
	s_delay_alu instid0(VALU_DEP_1) | instskip(NEXT) | instid1(VALU_DEP_1)
	v_and_b32_e32 v8, 0x7f800000, v7
	v_cmp_ne_u32_e64 s0, 0x7f800000, v8
	s_delay_alu instid0(VALU_DEP_1) | instskip(NEXT) | instid1(SALU_CYCLE_1)
	s_and_saveexec_b32 s10, s0
	s_xor_b32 s0, exec_lo, s10
; %bb.818:                              ;   in Loop: Header=BB396_611 Depth=1
	v_bfe_u32 v8, v7, 16, 1
	s_delay_alu instid0(VALU_DEP_1)
	v_add3_u32 v82, v7, v8, 0x7fff
                                        ; implicit-def: $vgpr7
; %bb.819:                              ;   in Loop: Header=BB396_611 Depth=1
	s_and_not1_saveexec_b32 s10, s0
; %bb.820:                              ;   in Loop: Header=BB396_611 Depth=1
	v_and_b32_e32 v8, 0xffff, v7
	v_or_b32_e32 v10, 0x10000, v7
	s_delay_alu instid0(VALU_DEP_2) | instskip(NEXT) | instid1(VALU_DEP_1)
	v_cmp_eq_u32_e64 s0, 0, v8
	v_cndmask_b32_e64 v82, v10, v7, s0
; %bb.821:                              ;   in Loop: Header=BB396_611 Depth=1
	s_or_b32 exec_lo, exec_lo, s10
	v_dual_mov_b32 v7, 0 :: v_dual_and_b32 v8, 0xff, v3
	v_mov_b32_e32 v10, v3
	s_mov_b32 s10, exec_lo
	s_delay_alu instid0(VALU_DEP_2)
	v_cmpx_ne_u16_e32 0, v8
	s_cbranch_execz .LBB396_829
; %bb.822:                              ;   in Loop: Header=BB396_611 Depth=1
	v_bfrev_b32_e32 v7, 1
	s_mov_b32 s12, exec_lo
	v_cmpx_ne_u16_e32 0x80, v8
	s_cbranch_execz .LBB396_828
; %bb.823:                              ;   in Loop: Header=BB396_611 Depth=1
	v_and_b32_e32 v8, 0x7f, v3
	v_mov_b32_e32 v7, 0x7f800001
	s_mov_b32 s13, exec_lo
	s_delay_alu instid0(VALU_DEP_2)
	v_cmpx_ne_u32_e32 0x7f, v8
	s_cbranch_execz .LBB396_827
; %bb.824:                              ;   in Loop: Header=BB396_611 Depth=1
	v_lshrrev_b32_e32 v83, 3, v8
	v_cmp_gt_u32_e64 s0, 8, v8
	v_dual_mov_b32 v7, v10 :: v_dual_mov_b32 v8, v11
	s_delay_alu instid0(VALU_DEP_2)
	s_and_saveexec_b32 s15, s0
; %bb.825:                              ;   in Loop: Header=BB396_611 Depth=1
	v_and_b32_e32 v7, 7, v3
	s_delay_alu instid0(VALU_DEP_1) | instskip(NEXT) | instid1(VALU_DEP_1)
	v_clz_i32_u32_e32 v7, v7
	v_min_u32_e32 v83, 32, v7
	s_delay_alu instid0(VALU_DEP_1) | instskip(SKIP_1) | instid1(VALU_DEP_2)
	v_subrev_nc_u32_e32 v7, 28, v83
	v_sub_nc_u32_e32 v83, 29, v83
	v_lshlrev_b64 v[7:8], v7, v[10:11]
; %bb.826:                              ;   in Loop: Header=BB396_611 Depth=1
	s_or_b32 exec_lo, exec_lo, s15
	s_delay_alu instid0(VALU_DEP_1) | instskip(SKIP_2) | instid1(VALU_DEP_3)
	v_lshlrev_b32_e32 v7, 20, v7
	v_lshlrev_b32_e32 v8, 24, v10
	v_lshl_add_u32 v83, v83, 23, 0x3c000000
	v_and_b32_e32 v7, 0x700000, v7
	s_delay_alu instid0(VALU_DEP_3) | instskip(NEXT) | instid1(VALU_DEP_1)
	v_and_b32_e32 v8, 0x80000000, v8
	v_or3_b32 v7, v7, v8, v83
.LBB396_827:                            ;   in Loop: Header=BB396_611 Depth=1
	s_or_b32 exec_lo, exec_lo, s13
.LBB396_828:                            ;   in Loop: Header=BB396_611 Depth=1
	s_delay_alu instid0(SALU_CYCLE_1)
	s_or_b32 exec_lo, exec_lo, s12
.LBB396_829:                            ;   in Loop: Header=BB396_611 Depth=1
	s_delay_alu instid0(SALU_CYCLE_1) | instskip(NEXT) | instid1(VALU_DEP_1)
	s_or_b32 exec_lo, exec_lo, s10
	v_mul_f32_e32 v7, v26, v7
                                        ; implicit-def: $vgpr83
	s_delay_alu instid0(VALU_DEP_1) | instskip(NEXT) | instid1(VALU_DEP_1)
	v_and_b32_e32 v8, 0x7f800000, v7
	v_cmp_ne_u32_e64 s0, 0x7f800000, v8
	s_delay_alu instid0(VALU_DEP_1) | instskip(NEXT) | instid1(SALU_CYCLE_1)
	s_and_saveexec_b32 s10, s0
	s_xor_b32 s0, exec_lo, s10
; %bb.830:                              ;   in Loop: Header=BB396_611 Depth=1
	v_bfe_u32 v8, v7, 16, 1
	s_delay_alu instid0(VALU_DEP_1)
	v_add3_u32 v83, v7, v8, 0x7fff
                                        ; implicit-def: $vgpr7
; %bb.831:                              ;   in Loop: Header=BB396_611 Depth=1
	s_and_not1_saveexec_b32 s10, s0
; %bb.832:                              ;   in Loop: Header=BB396_611 Depth=1
	v_and_b32_e32 v8, 0xffff, v7
	v_or_b32_e32 v83, 0x10000, v7
	s_delay_alu instid0(VALU_DEP_2) | instskip(NEXT) | instid1(VALU_DEP_1)
	v_cmp_eq_u32_e64 s0, 0, v8
	v_cndmask_b32_e64 v83, v83, v7, s0
; %bb.833:                              ;   in Loop: Header=BB396_611 Depth=1
	s_or_b32 exec_lo, exec_lo, s10
	v_lshrrev_b16 v8, 8, v10
	v_mov_b32_e32 v7, 0
	s_mov_b32 s10, exec_lo
	s_delay_alu instid0(VALU_DEP_2)
	v_cmpx_ne_u16_e32 0, v8
	s_cbranch_execz .LBB396_841
; %bb.834:                              ;   in Loop: Header=BB396_611 Depth=1
	v_bfrev_b32_e32 v7, 1
	s_mov_b32 s12, exec_lo
	v_cmpx_ne_u16_e32 0x80, v8
	s_cbranch_execz .LBB396_840
; %bb.835:                              ;   in Loop: Header=BB396_611 Depth=1
	v_and_b32_e32 v8, 0xffff, v8
	v_mov_b32_e32 v7, 0x7f800001
	s_mov_b32 s13, exec_lo
	s_delay_alu instid0(VALU_DEP_2) | instskip(NEXT) | instid1(VALU_DEP_1)
	v_and_b32_e32 v85, 0x7f, v8
	v_cmpx_ne_u32_e32 0x7f, v85
	s_cbranch_execz .LBB396_839
; %bb.836:                              ;   in Loop: Header=BB396_611 Depth=1
	v_dual_mov_b32 v8, v11 :: v_dual_and_b32 v7, 7, v8
	v_lshrrev_b32_e32 v84, 3, v85
	s_mov_b32 s15, exec_lo
	v_cmpx_gt_u32_e32 8, v85
; %bb.837:                              ;   in Loop: Header=BB396_611 Depth=1
	s_delay_alu instid0(VALU_DEP_3) | instskip(NEXT) | instid1(VALU_DEP_1)
	v_clz_i32_u32_e32 v84, v7
	v_min_u32_e32 v84, 32, v84
	s_delay_alu instid0(VALU_DEP_1) | instskip(SKIP_1) | instid1(VALU_DEP_2)
	v_subrev_nc_u32_e32 v85, 28, v84
	v_sub_nc_u32_e32 v84, 29, v84
	v_lshlrev_b64 v[7:8], v85, v[7:8]
	s_delay_alu instid0(VALU_DEP_1)
	v_and_b32_e32 v7, 7, v7
; %bb.838:                              ;   in Loop: Header=BB396_611 Depth=1
	s_or_b32 exec_lo, exec_lo, s15
	v_lshlrev_b32_e32 v8, 16, v10
	s_delay_alu instid0(VALU_DEP_2) | instskip(SKIP_1) | instid1(VALU_DEP_3)
	v_lshlrev_b32_e32 v7, 20, v7
	v_lshl_add_u32 v10, v84, 23, 0x3c000000
	v_and_b32_e32 v8, 0x80000000, v8
	s_delay_alu instid0(VALU_DEP_1)
	v_or3_b32 v7, v7, v8, v10
.LBB396_839:                            ;   in Loop: Header=BB396_611 Depth=1
	s_or_b32 exec_lo, exec_lo, s13
.LBB396_840:                            ;   in Loop: Header=BB396_611 Depth=1
	s_delay_alu instid0(SALU_CYCLE_1)
	s_or_b32 exec_lo, exec_lo, s12
.LBB396_841:                            ;   in Loop: Header=BB396_611 Depth=1
	s_delay_alu instid0(SALU_CYCLE_1) | instskip(NEXT) | instid1(VALU_DEP_1)
	s_or_b32 exec_lo, exec_lo, s10
	v_mul_f32_e32 v8, v26, v7
	s_delay_alu instid0(VALU_DEP_1) | instskip(NEXT) | instid1(VALU_DEP_1)
	v_and_b32_e32 v7, 0x7f800000, v8
	v_cmp_ne_u32_e64 s0, 0x7f800000, v7
                                        ; implicit-def: $vgpr7
	s_delay_alu instid0(VALU_DEP_1) | instskip(NEXT) | instid1(SALU_CYCLE_1)
	s_and_saveexec_b32 s10, s0
	s_xor_b32 s0, exec_lo, s10
; %bb.842:                              ;   in Loop: Header=BB396_611 Depth=1
	v_bfe_u32 v7, v8, 16, 1
	s_delay_alu instid0(VALU_DEP_1)
	v_add3_u32 v7, v8, v7, 0x7fff
                                        ; implicit-def: $vgpr8
; %bb.843:                              ;   in Loop: Header=BB396_611 Depth=1
	s_and_not1_saveexec_b32 s10, s0
; %bb.844:                              ;   in Loop: Header=BB396_611 Depth=1
	v_and_b32_e32 v7, 0xffff, v8
	v_or_b32_e32 v10, 0x10000, v8
	s_delay_alu instid0(VALU_DEP_2) | instskip(NEXT) | instid1(VALU_DEP_1)
	v_cmp_eq_u32_e64 s0, 0, v7
	v_cndmask_b32_e64 v7, v10, v8, s0
; %bb.845:                              ;   in Loop: Header=BB396_611 Depth=1
	s_or_b32 exec_lo, exec_lo, s10
	v_lshrrev_b32_e32 v8, 16, v3
	v_mov_b32_e32 v10, 0
	s_mov_b32 s10, exec_lo
	s_delay_alu instid0(VALU_DEP_2) | instskip(NEXT) | instid1(VALU_DEP_1)
	v_and_b32_e32 v84, 0xff, v8
	v_cmpx_ne_u16_e32 0, v84
	s_cbranch_execz .LBB396_853
; %bb.846:                              ;   in Loop: Header=BB396_611 Depth=1
	v_bfrev_b32_e32 v10, 1
	s_mov_b32 s12, exec_lo
	v_cmpx_ne_u16_e32 0x80, v84
	s_cbranch_execz .LBB396_852
; %bb.847:                              ;   in Loop: Header=BB396_611 Depth=1
	v_bfe_u32 v85, v3, 16, 7
	v_mov_b32_e32 v10, 0x7f800001
	s_mov_b32 s13, exec_lo
	s_delay_alu instid0(VALU_DEP_2)
	v_cmpx_ne_u32_e32 0x7f, v85
	s_cbranch_execz .LBB396_851
; %bb.848:                              ;   in Loop: Header=BB396_611 Depth=1
	v_and_b32_e32 v10, 7, v8
	v_lshrrev_b32_e32 v84, 3, v85
	s_mov_b32 s15, exec_lo
	v_cmpx_gt_u32_e32 8, v85
; %bb.849:                              ;   in Loop: Header=BB396_611 Depth=1
	s_delay_alu instid0(VALU_DEP_3) | instskip(NEXT) | instid1(VALU_DEP_1)
	v_clz_i32_u32_e32 v84, v10
	v_min_u32_e32 v84, 32, v84
	s_delay_alu instid0(VALU_DEP_1) | instskip(SKIP_1) | instid1(VALU_DEP_2)
	v_subrev_nc_u32_e32 v85, 28, v84
	v_sub_nc_u32_e32 v84, 29, v84
	v_lshlrev_b64 v[85:86], v85, v[10:11]
	s_delay_alu instid0(VALU_DEP_1)
	v_and_b32_e32 v10, 7, v85
; %bb.850:                              ;   in Loop: Header=BB396_611 Depth=1
	s_or_b32 exec_lo, exec_lo, s15
	v_lshlrev_b32_e32 v8, 24, v8
	s_delay_alu instid0(VALU_DEP_2) | instskip(SKIP_1) | instid1(VALU_DEP_3)
	v_lshlrev_b32_e32 v10, 20, v10
	v_lshl_add_u32 v84, v84, 23, 0x3c000000
	v_and_b32_e32 v8, 0x80000000, v8
	s_delay_alu instid0(VALU_DEP_1)
	v_or3_b32 v10, v10, v8, v84
.LBB396_851:                            ;   in Loop: Header=BB396_611 Depth=1
	s_or_b32 exec_lo, exec_lo, s13
.LBB396_852:                            ;   in Loop: Header=BB396_611 Depth=1
	s_delay_alu instid0(SALU_CYCLE_1)
	s_or_b32 exec_lo, exec_lo, s12
.LBB396_853:                            ;   in Loop: Header=BB396_611 Depth=1
	s_delay_alu instid0(SALU_CYCLE_1) | instskip(NEXT) | instid1(VALU_DEP_1)
	s_or_b32 exec_lo, exec_lo, s10
	v_mul_f32_e32 v8, v26, v10
                                        ; implicit-def: $vgpr84
	s_delay_alu instid0(VALU_DEP_1) | instskip(NEXT) | instid1(VALU_DEP_1)
	v_and_b32_e32 v10, 0x7f800000, v8
	v_cmp_ne_u32_e64 s0, 0x7f800000, v10
	s_delay_alu instid0(VALU_DEP_1) | instskip(NEXT) | instid1(SALU_CYCLE_1)
	s_and_saveexec_b32 s10, s0
	s_xor_b32 s0, exec_lo, s10
; %bb.854:                              ;   in Loop: Header=BB396_611 Depth=1
	v_bfe_u32 v10, v8, 16, 1
	s_delay_alu instid0(VALU_DEP_1)
	v_add3_u32 v84, v8, v10, 0x7fff
                                        ; implicit-def: $vgpr8
; %bb.855:                              ;   in Loop: Header=BB396_611 Depth=1
	s_and_not1_saveexec_b32 s10, s0
; %bb.856:                              ;   in Loop: Header=BB396_611 Depth=1
	v_and_b32_e32 v10, 0xffff, v8
	v_or_b32_e32 v84, 0x10000, v8
	s_delay_alu instid0(VALU_DEP_2) | instskip(NEXT) | instid1(VALU_DEP_1)
	v_cmp_eq_u32_e64 s0, 0, v10
	v_cndmask_b32_e64 v84, v84, v8, s0
; %bb.857:                              ;   in Loop: Header=BB396_611 Depth=1
	s_or_b32 exec_lo, exec_lo, s10
	v_mov_b32_e32 v8, 0
	s_mov_b32 s10, exec_lo
	v_cmpx_lt_u64_e64 s[8:9], v[2:3]
	s_cbranch_execz .LBB396_865
; %bb.858:                              ;   in Loop: Header=BB396_611 Depth=1
	v_lshrrev_b32_e32 v2, 24, v3
	v_bfrev_b32_e32 v8, 1
	s_mov_b32 s12, exec_lo
	s_delay_alu instid0(VALU_DEP_2)
	v_cmpx_ne_u32_e32 0x80, v2
	s_cbranch_execz .LBB396_864
; %bb.859:                              ;   in Loop: Header=BB396_611 Depth=1
	v_bfe_u32 v85, v3, 24, 7
	v_mov_b32_e32 v8, 0x7f800001
	s_mov_b32 s13, exec_lo
	s_delay_alu instid0(VALU_DEP_2)
	v_cmpx_ne_u32_e32 0x7f, v85
	s_cbranch_execz .LBB396_863
; %bb.860:                              ;   in Loop: Header=BB396_611 Depth=1
	v_and_b32_e32 v10, 7, v2
	v_lshrrev_b32_e32 v3, 3, v85
	s_mov_b32 s15, exec_lo
	v_cmpx_gt_u32_e32 8, v85
; %bb.861:                              ;   in Loop: Header=BB396_611 Depth=1
	s_delay_alu instid0(VALU_DEP_3) | instskip(NEXT) | instid1(VALU_DEP_1)
	v_clz_i32_u32_e32 v3, v10
	v_min_u32_e32 v3, 32, v3
	s_delay_alu instid0(VALU_DEP_1) | instskip(SKIP_1) | instid1(VALU_DEP_2)
	v_subrev_nc_u32_e32 v8, 28, v3
	v_sub_nc_u32_e32 v3, 29, v3
	v_lshlrev_b64 v[85:86], v8, v[10:11]
	s_delay_alu instid0(VALU_DEP_1)
	v_and_b32_e32 v10, 7, v85
; %bb.862:                              ;   in Loop: Header=BB396_611 Depth=1
	s_or_b32 exec_lo, exec_lo, s15
	v_lshlrev_b32_e32 v2, 24, v2
	s_delay_alu instid0(VALU_DEP_2) | instskip(SKIP_1) | instid1(VALU_DEP_3)
	v_lshlrev_b32_e32 v8, 20, v10
	v_lshl_add_u32 v3, v3, 23, 0x3c000000
	v_and_b32_e32 v2, 0x80000000, v2
	s_delay_alu instid0(VALU_DEP_1)
	v_or3_b32 v8, v8, v2, v3
.LBB396_863:                            ;   in Loop: Header=BB396_611 Depth=1
	s_or_b32 exec_lo, exec_lo, s13
.LBB396_864:                            ;   in Loop: Header=BB396_611 Depth=1
	s_delay_alu instid0(SALU_CYCLE_1)
	s_or_b32 exec_lo, exec_lo, s12
.LBB396_865:                            ;   in Loop: Header=BB396_611 Depth=1
	s_delay_alu instid0(SALU_CYCLE_1) | instskip(NEXT) | instid1(VALU_DEP_1)
	s_or_b32 exec_lo, exec_lo, s10
	v_mul_f32_e32 v3, v26, v8
	s_delay_alu instid0(VALU_DEP_1) | instskip(NEXT) | instid1(VALU_DEP_1)
	v_and_b32_e32 v2, 0x7f800000, v3
	v_cmp_ne_u32_e64 s0, 0x7f800000, v2
                                        ; implicit-def: $vgpr2
	s_delay_alu instid0(VALU_DEP_1) | instskip(NEXT) | instid1(SALU_CYCLE_1)
	s_and_saveexec_b32 s10, s0
	s_xor_b32 s0, exec_lo, s10
; %bb.866:                              ;   in Loop: Header=BB396_611 Depth=1
	v_bfe_u32 v2, v3, 16, 1
	s_delay_alu instid0(VALU_DEP_1)
	v_add3_u32 v2, v3, v2, 0x7fff
                                        ; implicit-def: $vgpr3
; %bb.867:                              ;   in Loop: Header=BB396_611 Depth=1
	s_and_not1_saveexec_b32 s10, s0
; %bb.868:                              ;   in Loop: Header=BB396_611 Depth=1
	v_and_b32_e32 v2, 0xffff, v3
	v_or_b32_e32 v8, 0x10000, v3
	s_delay_alu instid0(VALU_DEP_2) | instskip(NEXT) | instid1(VALU_DEP_1)
	v_cmp_eq_u32_e64 s0, 0, v2
	v_cndmask_b32_e64 v2, v8, v3, s0
; %bb.869:                              ;   in Loop: Header=BB396_611 Depth=1
	s_or_b32 exec_lo, exec_lo, s10
	v_lshrrev_b32_e32 v7, 16, v7
	v_lshrrev_b32_e32 v8, 16, v83
	;; [unrolled: 1-line block ×8, first 2 shown]
	s_and_saveexec_b32 s10, vcc_lo
	s_cbranch_execz .LBB396_871
; %bb.870:                              ;   in Loop: Header=BB396_611 Depth=1
	v_cmp_lt_i32_e64 s0, v48, v32
	s_delay_alu instid0(VALU_DEP_1) | instskip(SKIP_1) | instid1(VALU_DEP_1)
	v_cndmask_b32_e64 v71, 0, v71, s0
	v_cmp_lt_i32_e64 s0, v54, v32
	v_cndmask_b32_e64 v80, 0, v80, s0
	v_cmp_lt_i32_e64 s0, v53, v32
	s_delay_alu instid0(VALU_DEP_1) | instskip(SKIP_1) | instid1(VALU_DEP_1)
	v_cndmask_b32_e64 v81, 0, v81, s0
	v_cmp_lt_i32_e64 s0, v52, v32
	v_cndmask_b32_e64 v10, 0, v10, s0
	;; [unrolled: 5-line block ×4, first 2 shown]
.LBB396_871:                            ;   in Loop: Header=BB396_611 Depth=1
	s_or_b32 exec_lo, exec_lo, s10
	v_lshlrev_b32_e32 v71, 16, v71
	s_delay_alu instid0(VALU_DEP_1) | instskip(NEXT) | instid1(VALU_DEP_1)
	v_mul_f32_e32 v82, v55, v71
	v_and_b32_e32 v71, 0x7f800000, v82
	s_delay_alu instid0(VALU_DEP_1) | instskip(NEXT) | instid1(VALU_DEP_1)
	v_cmp_ne_u32_e64 s0, 0x7f800000, v71
                                        ; implicit-def: $vgpr71
	s_and_saveexec_b32 s10, s0
	s_delay_alu instid0(SALU_CYCLE_1)
	s_xor_b32 s0, exec_lo, s10
; %bb.872:                              ;   in Loop: Header=BB396_611 Depth=1
	v_bfe_u32 v71, v82, 16, 1
	s_delay_alu instid0(VALU_DEP_1)
	v_add3_u32 v71, v82, v71, 0x7fff
                                        ; implicit-def: $vgpr82
; %bb.873:                              ;   in Loop: Header=BB396_611 Depth=1
	s_and_not1_saveexec_b32 s10, s0
; %bb.874:                              ;   in Loop: Header=BB396_611 Depth=1
	v_and_b32_e32 v71, 0xffff, v82
	v_or_b32_e32 v83, 0x10000, v82
	s_delay_alu instid0(VALU_DEP_2) | instskip(NEXT) | instid1(VALU_DEP_1)
	v_cmp_eq_u32_e64 s0, 0, v71
	v_cndmask_b32_e64 v71, v83, v82, s0
; %bb.875:                              ;   in Loop: Header=BB396_611 Depth=1
	s_or_b32 exec_lo, exec_lo, s10
	v_lshlrev_b32_e32 v80, 16, v80
	s_delay_alu instid0(VALU_DEP_1) | instskip(NEXT) | instid1(VALU_DEP_1)
	v_mul_f32_e32 v82, v64, v80
	v_and_b32_e32 v80, 0x7f800000, v82
	s_delay_alu instid0(VALU_DEP_1) | instskip(NEXT) | instid1(VALU_DEP_1)
	v_cmp_ne_u32_e64 s0, 0x7f800000, v80
                                        ; implicit-def: $vgpr80
	s_and_saveexec_b32 s10, s0
	s_delay_alu instid0(SALU_CYCLE_1)
	s_xor_b32 s0, exec_lo, s10
; %bb.876:                              ;   in Loop: Header=BB396_611 Depth=1
	v_bfe_u32 v80, v82, 16, 1
	s_delay_alu instid0(VALU_DEP_1)
	v_add3_u32 v80, v82, v80, 0x7fff
                                        ; implicit-def: $vgpr82
; %bb.877:                              ;   in Loop: Header=BB396_611 Depth=1
	s_and_not1_saveexec_b32 s10, s0
; %bb.878:                              ;   in Loop: Header=BB396_611 Depth=1
	v_and_b32_e32 v80, 0xffff, v82
	v_or_b32_e32 v83, 0x10000, v82
	s_delay_alu instid0(VALU_DEP_2) | instskip(NEXT) | instid1(VALU_DEP_1)
	v_cmp_eq_u32_e64 s0, 0, v80
	v_cndmask_b32_e64 v80, v83, v82, s0
; %bb.879:                              ;   in Loop: Header=BB396_611 Depth=1
	s_or_b32 exec_lo, exec_lo, s10
	v_lshlrev_b32_e32 v81, 16, v81
	s_delay_alu instid0(VALU_DEP_1) | instskip(NEXT) | instid1(VALU_DEP_1)
	v_mul_f32_e32 v82, v65, v81
	v_and_b32_e32 v81, 0x7f800000, v82
	s_delay_alu instid0(VALU_DEP_1) | instskip(NEXT) | instid1(VALU_DEP_1)
	v_cmp_ne_u32_e64 s0, 0x7f800000, v81
                                        ; implicit-def: $vgpr81
	s_and_saveexec_b32 s10, s0
	s_delay_alu instid0(SALU_CYCLE_1)
	s_xor_b32 s0, exec_lo, s10
; %bb.880:                              ;   in Loop: Header=BB396_611 Depth=1
	v_bfe_u32 v81, v82, 16, 1
	s_delay_alu instid0(VALU_DEP_1)
	v_add3_u32 v81, v82, v81, 0x7fff
                                        ; implicit-def: $vgpr82
; %bb.881:                              ;   in Loop: Header=BB396_611 Depth=1
	s_and_not1_saveexec_b32 s10, s0
; %bb.882:                              ;   in Loop: Header=BB396_611 Depth=1
	v_and_b32_e32 v81, 0xffff, v82
	v_or_b32_e32 v83, 0x10000, v82
	s_delay_alu instid0(VALU_DEP_2) | instskip(NEXT) | instid1(VALU_DEP_1)
	v_cmp_eq_u32_e64 s0, 0, v81
	v_cndmask_b32_e64 v81, v83, v82, s0
; %bb.883:                              ;   in Loop: Header=BB396_611 Depth=1
	s_or_b32 exec_lo, exec_lo, s10
	v_lshlrev_b32_e32 v10, 16, v10
	s_delay_alu instid0(VALU_DEP_1) | instskip(NEXT) | instid1(VALU_DEP_1)
	v_mul_f32_e32 v10, v66, v10
	v_and_b32_e32 v82, 0x7f800000, v10
	s_delay_alu instid0(VALU_DEP_1) | instskip(NEXT) | instid1(VALU_DEP_1)
	v_cmp_ne_u32_e64 s0, 0x7f800000, v82
                                        ; implicit-def: $vgpr82
	s_and_saveexec_b32 s10, s0
	s_delay_alu instid0(SALU_CYCLE_1)
	s_xor_b32 s0, exec_lo, s10
; %bb.884:                              ;   in Loop: Header=BB396_611 Depth=1
	v_bfe_u32 v82, v10, 16, 1
	s_delay_alu instid0(VALU_DEP_1)
	v_add3_u32 v82, v10, v82, 0x7fff
                                        ; implicit-def: $vgpr10
; %bb.885:                              ;   in Loop: Header=BB396_611 Depth=1
	s_and_not1_saveexec_b32 s10, s0
; %bb.886:                              ;   in Loop: Header=BB396_611 Depth=1
	v_and_b32_e32 v82, 0xffff, v10
	v_or_b32_e32 v83, 0x10000, v10
	s_delay_alu instid0(VALU_DEP_2) | instskip(NEXT) | instid1(VALU_DEP_1)
	v_cmp_eq_u32_e64 s0, 0, v82
	v_cndmask_b32_e64 v82, v83, v10, s0
; %bb.887:                              ;   in Loop: Header=BB396_611 Depth=1
	s_or_b32 exec_lo, exec_lo, s10
	v_lshlrev_b32_e32 v8, 16, v8
                                        ; implicit-def: $vgpr83
	s_delay_alu instid0(VALU_DEP_1) | instskip(NEXT) | instid1(VALU_DEP_1)
	v_mul_f32_e32 v8, v67, v8
	v_and_b32_e32 v10, 0x7f800000, v8
	s_delay_alu instid0(VALU_DEP_1) | instskip(NEXT) | instid1(VALU_DEP_1)
	v_cmp_ne_u32_e64 s0, 0x7f800000, v10
	s_and_saveexec_b32 s10, s0
	s_delay_alu instid0(SALU_CYCLE_1)
	s_xor_b32 s0, exec_lo, s10
; %bb.888:                              ;   in Loop: Header=BB396_611 Depth=1
	v_bfe_u32 v10, v8, 16, 1
	s_delay_alu instid0(VALU_DEP_1)
	v_add3_u32 v83, v8, v10, 0x7fff
                                        ; implicit-def: $vgpr8
; %bb.889:                              ;   in Loop: Header=BB396_611 Depth=1
	s_and_not1_saveexec_b32 s10, s0
; %bb.890:                              ;   in Loop: Header=BB396_611 Depth=1
	v_and_b32_e32 v10, 0xffff, v8
	v_or_b32_e32 v83, 0x10000, v8
	s_delay_alu instid0(VALU_DEP_2) | instskip(NEXT) | instid1(VALU_DEP_1)
	v_cmp_eq_u32_e64 s0, 0, v10
	v_cndmask_b32_e64 v83, v83, v8, s0
; %bb.891:                              ;   in Loop: Header=BB396_611 Depth=1
	s_or_b32 exec_lo, exec_lo, s10
	v_lshlrev_b32_e32 v7, 16, v7
                                        ; implicit-def: $vgpr84
	s_delay_alu instid0(VALU_DEP_1) | instskip(NEXT) | instid1(VALU_DEP_1)
	v_mul_f32_e32 v7, v68, v7
	v_and_b32_e32 v8, 0x7f800000, v7
	s_delay_alu instid0(VALU_DEP_1) | instskip(NEXT) | instid1(VALU_DEP_1)
	v_cmp_ne_u32_e64 s0, 0x7f800000, v8
	s_and_saveexec_b32 s10, s0
	s_delay_alu instid0(SALU_CYCLE_1)
	s_xor_b32 s0, exec_lo, s10
; %bb.892:                              ;   in Loop: Header=BB396_611 Depth=1
	v_bfe_u32 v8, v7, 16, 1
	s_delay_alu instid0(VALU_DEP_1)
	v_add3_u32 v84, v7, v8, 0x7fff
                                        ; implicit-def: $vgpr7
; %bb.893:                              ;   in Loop: Header=BB396_611 Depth=1
	s_and_not1_saveexec_b32 s10, s0
; %bb.894:                              ;   in Loop: Header=BB396_611 Depth=1
	v_and_b32_e32 v8, 0xffff, v7
	v_or_b32_e32 v10, 0x10000, v7
	s_delay_alu instid0(VALU_DEP_2) | instskip(NEXT) | instid1(VALU_DEP_1)
	v_cmp_eq_u32_e64 s0, 0, v8
	v_cndmask_b32_e64 v84, v10, v7, s0
; %bb.895:                              ;   in Loop: Header=BB396_611 Depth=1
	s_or_b32 exec_lo, exec_lo, s10
	v_lshlrev_b32_e32 v3, 16, v3
                                        ; implicit-def: $vgpr85
	s_delay_alu instid0(VALU_DEP_1) | instskip(NEXT) | instid1(VALU_DEP_1)
	v_mul_f32_e32 v3, v69, v3
	v_and_b32_e32 v7, 0x7f800000, v3
	s_delay_alu instid0(VALU_DEP_1) | instskip(NEXT) | instid1(VALU_DEP_1)
	v_cmp_ne_u32_e64 s0, 0x7f800000, v7
	s_and_saveexec_b32 s10, s0
	s_delay_alu instid0(SALU_CYCLE_1)
	s_xor_b32 s0, exec_lo, s10
; %bb.896:                              ;   in Loop: Header=BB396_611 Depth=1
	v_bfe_u32 v7, v3, 16, 1
	s_delay_alu instid0(VALU_DEP_1)
	v_add3_u32 v85, v3, v7, 0x7fff
                                        ; implicit-def: $vgpr3
; %bb.897:                              ;   in Loop: Header=BB396_611 Depth=1
	s_and_not1_saveexec_b32 s10, s0
; %bb.898:                              ;   in Loop: Header=BB396_611 Depth=1
	v_and_b32_e32 v7, 0xffff, v3
	v_or_b32_e32 v8, 0x10000, v3
	s_delay_alu instid0(VALU_DEP_2) | instskip(NEXT) | instid1(VALU_DEP_1)
	v_cmp_eq_u32_e64 s0, 0, v7
	v_cndmask_b32_e64 v85, v8, v3, s0
; %bb.899:                              ;   in Loop: Header=BB396_611 Depth=1
	s_or_b32 exec_lo, exec_lo, s10
	v_lshlrev_b32_e32 v2, 16, v2
                                        ; implicit-def: $vgpr86
	s_delay_alu instid0(VALU_DEP_1) | instskip(NEXT) | instid1(VALU_DEP_1)
	v_mul_f32_e32 v2, v70, v2
	v_and_b32_e32 v3, 0x7f800000, v2
	s_delay_alu instid0(VALU_DEP_1) | instskip(NEXT) | instid1(VALU_DEP_1)
	v_cmp_ne_u32_e64 s0, 0x7f800000, v3
	s_and_saveexec_b32 s10, s0
	s_delay_alu instid0(SALU_CYCLE_1)
	s_xor_b32 s0, exec_lo, s10
; %bb.900:                              ;   in Loop: Header=BB396_611 Depth=1
	v_bfe_u32 v3, v2, 16, 1
	s_delay_alu instid0(VALU_DEP_1)
	v_add3_u32 v86, v2, v3, 0x7fff
                                        ; implicit-def: $vgpr2
; %bb.901:                              ;   in Loop: Header=BB396_611 Depth=1
	s_and_not1_saveexec_b32 s10, s0
; %bb.902:                              ;   in Loop: Header=BB396_611 Depth=1
	v_and_b32_e32 v3, 0xffff, v2
	v_or_b32_e32 v7, 0x10000, v2
	s_delay_alu instid0(VALU_DEP_2) | instskip(NEXT) | instid1(VALU_DEP_1)
	v_cmp_eq_u32_e64 s0, 0, v3
	v_cndmask_b32_e64 v86, v7, v2, s0
; %bb.903:                              ;   in Loop: Header=BB396_611 Depth=1
	s_or_b32 exec_lo, exec_lo, s10
	flat_load_b64 v[2:3], v[0:1] offset:512
	s_mov_b32 s10, exec_lo
	s_waitcnt vmcnt(0) lgkmcnt(0)
	v_dual_mov_b32 v7, 0 :: v_dual_and_b32 v8, 0xff, v2
	s_delay_alu instid0(VALU_DEP_1)
	v_cmpx_ne_u16_e32 0, v8
	s_cbranch_execz .LBB396_911
; %bb.904:                              ;   in Loop: Header=BB396_611 Depth=1
	v_bfrev_b32_e32 v7, 1
	s_mov_b32 s12, exec_lo
	v_cmpx_ne_u16_e32 0x80, v8
	s_cbranch_execz .LBB396_910
; %bb.905:                              ;   in Loop: Header=BB396_611 Depth=1
	v_and_b32_e32 v8, 0x7f, v2
	v_mov_b32_e32 v7, 0x7f800001
	s_mov_b32 s13, exec_lo
	s_delay_alu instid0(VALU_DEP_2)
	v_cmpx_ne_u32_e32 0x7f, v8
	s_cbranch_execz .LBB396_909
; %bb.906:                              ;   in Loop: Header=BB396_611 Depth=1
	v_lshrrev_b32_e32 v10, 3, v8
	v_cmp_gt_u32_e64 s0, 8, v8
	v_dual_mov_b32 v8, v3 :: v_dual_mov_b32 v7, v2
	s_delay_alu instid0(VALU_DEP_2)
	s_and_saveexec_b32 s15, s0
; %bb.907:                              ;   in Loop: Header=BB396_611 Depth=1
	v_and_b32_e32 v7, 7, v2
	s_delay_alu instid0(VALU_DEP_1) | instskip(NEXT) | instid1(VALU_DEP_1)
	v_clz_i32_u32_e32 v7, v7
	v_min_u32_e32 v10, 32, v7
	s_delay_alu instid0(VALU_DEP_1) | instskip(SKIP_1) | instid1(VALU_DEP_2)
	v_subrev_nc_u32_e32 v7, 28, v10
	v_sub_nc_u32_e32 v10, 29, v10
	v_lshlrev_b64 v[7:8], v7, v[2:3]
; %bb.908:                              ;   in Loop: Header=BB396_611 Depth=1
	s_or_b32 exec_lo, exec_lo, s15
	s_delay_alu instid0(VALU_DEP_1) | instskip(SKIP_2) | instid1(VALU_DEP_3)
	v_lshlrev_b32_e32 v7, 20, v7
	v_lshlrev_b32_e32 v8, 24, v2
	v_lshl_add_u32 v10, v10, 23, 0x3c000000
	v_and_b32_e32 v7, 0x700000, v7
	s_delay_alu instid0(VALU_DEP_3) | instskip(NEXT) | instid1(VALU_DEP_1)
	v_and_b32_e32 v8, 0x80000000, v8
	v_or3_b32 v7, v7, v8, v10
.LBB396_909:                            ;   in Loop: Header=BB396_611 Depth=1
	s_or_b32 exec_lo, exec_lo, s13
.LBB396_910:                            ;   in Loop: Header=BB396_611 Depth=1
	s_delay_alu instid0(SALU_CYCLE_1)
	s_or_b32 exec_lo, exec_lo, s12
.LBB396_911:                            ;   in Loop: Header=BB396_611 Depth=1
	s_delay_alu instid0(SALU_CYCLE_1) | instskip(NEXT) | instid1(VALU_DEP_1)
	s_or_b32 exec_lo, exec_lo, s10
	v_mul_f32_e32 v7, v26, v7
                                        ; implicit-def: $vgpr87
	s_delay_alu instid0(VALU_DEP_1) | instskip(NEXT) | instid1(VALU_DEP_1)
	v_and_b32_e32 v8, 0x7f800000, v7
	v_cmp_ne_u32_e64 s0, 0x7f800000, v8
	s_delay_alu instid0(VALU_DEP_1) | instskip(NEXT) | instid1(SALU_CYCLE_1)
	s_and_saveexec_b32 s10, s0
	s_xor_b32 s0, exec_lo, s10
; %bb.912:                              ;   in Loop: Header=BB396_611 Depth=1
	v_bfe_u32 v8, v7, 16, 1
	s_delay_alu instid0(VALU_DEP_1)
	v_add3_u32 v87, v7, v8, 0x7fff
                                        ; implicit-def: $vgpr7
; %bb.913:                              ;   in Loop: Header=BB396_611 Depth=1
	s_and_not1_saveexec_b32 s10, s0
; %bb.914:                              ;   in Loop: Header=BB396_611 Depth=1
	v_and_b32_e32 v8, 0xffff, v7
	v_or_b32_e32 v10, 0x10000, v7
	s_delay_alu instid0(VALU_DEP_2) | instskip(NEXT) | instid1(VALU_DEP_1)
	v_cmp_eq_u32_e64 s0, 0, v8
	v_cndmask_b32_e64 v87, v10, v7, s0
; %bb.915:                              ;   in Loop: Header=BB396_611 Depth=1
	s_or_b32 exec_lo, exec_lo, s10
	v_lshrrev_b16 v8, 8, v2
	v_mov_b32_e32 v7, 0
	s_mov_b32 s10, exec_lo
	s_delay_alu instid0(VALU_DEP_2)
	v_cmpx_ne_u16_e32 0, v8
	s_cbranch_execz .LBB396_923
; %bb.916:                              ;   in Loop: Header=BB396_611 Depth=1
	v_bfrev_b32_e32 v7, 1
	s_mov_b32 s12, exec_lo
	v_cmpx_ne_u16_e32 0x80, v8
	s_cbranch_execz .LBB396_922
; %bb.917:                              ;   in Loop: Header=BB396_611 Depth=1
	v_and_b32_e32 v10, 0xffff, v8
	v_mov_b32_e32 v7, 0x7f800001
	s_mov_b32 s13, exec_lo
	s_delay_alu instid0(VALU_DEP_2) | instskip(NEXT) | instid1(VALU_DEP_1)
	v_and_b32_e32 v8, 0x7f, v10
	v_cmpx_ne_u32_e32 0x7f, v8
	s_cbranch_execz .LBB396_921
; %bb.918:                              ;   in Loop: Header=BB396_611 Depth=1
	v_and_b32_e32 v10, 7, v10
	v_lshrrev_b32_e32 v7, 3, v8
	s_mov_b32 s15, exec_lo
	v_cmpx_gt_u32_e32 8, v8
; %bb.919:                              ;   in Loop: Header=BB396_611 Depth=1
	s_delay_alu instid0(VALU_DEP_3) | instskip(NEXT) | instid1(VALU_DEP_1)
	v_clz_i32_u32_e32 v7, v10
	v_min_u32_e32 v7, 32, v7
	s_delay_alu instid0(VALU_DEP_1) | instskip(SKIP_1) | instid1(VALU_DEP_2)
	v_subrev_nc_u32_e32 v8, 28, v7
	v_sub_nc_u32_e32 v7, 29, v7
	v_lshlrev_b64 v[96:97], v8, v[10:11]
	s_delay_alu instid0(VALU_DEP_1)
	v_and_b32_e32 v10, 7, v96
; %bb.920:                              ;   in Loop: Header=BB396_611 Depth=1
	s_or_b32 exec_lo, exec_lo, s15
	v_lshlrev_b32_e32 v8, 16, v2
	s_delay_alu instid0(VALU_DEP_2) | instskip(SKIP_1) | instid1(VALU_DEP_3)
	v_lshlrev_b32_e32 v10, 20, v10
	v_lshl_add_u32 v7, v7, 23, 0x3c000000
	v_and_b32_e32 v8, 0x80000000, v8
	s_delay_alu instid0(VALU_DEP_1)
	v_or3_b32 v7, v10, v8, v7
.LBB396_921:                            ;   in Loop: Header=BB396_611 Depth=1
	s_or_b32 exec_lo, exec_lo, s13
.LBB396_922:                            ;   in Loop: Header=BB396_611 Depth=1
	s_delay_alu instid0(SALU_CYCLE_1)
	s_or_b32 exec_lo, exec_lo, s12
.LBB396_923:                            ;   in Loop: Header=BB396_611 Depth=1
	s_delay_alu instid0(SALU_CYCLE_1) | instskip(NEXT) | instid1(VALU_DEP_1)
	s_or_b32 exec_lo, exec_lo, s10
	v_mul_f32_e32 v7, v26, v7
                                        ; implicit-def: $vgpr96
	s_delay_alu instid0(VALU_DEP_1) | instskip(NEXT) | instid1(VALU_DEP_1)
	v_and_b32_e32 v8, 0x7f800000, v7
	v_cmp_ne_u32_e64 s0, 0x7f800000, v8
	s_delay_alu instid0(VALU_DEP_1) | instskip(NEXT) | instid1(SALU_CYCLE_1)
	s_and_saveexec_b32 s10, s0
	s_xor_b32 s0, exec_lo, s10
; %bb.924:                              ;   in Loop: Header=BB396_611 Depth=1
	v_bfe_u32 v8, v7, 16, 1
	s_delay_alu instid0(VALU_DEP_1)
	v_add3_u32 v96, v7, v8, 0x7fff
                                        ; implicit-def: $vgpr7
; %bb.925:                              ;   in Loop: Header=BB396_611 Depth=1
	s_and_not1_saveexec_b32 s10, s0
; %bb.926:                              ;   in Loop: Header=BB396_611 Depth=1
	v_and_b32_e32 v8, 0xffff, v7
	v_or_b32_e32 v10, 0x10000, v7
	s_delay_alu instid0(VALU_DEP_2) | instskip(NEXT) | instid1(VALU_DEP_1)
	v_cmp_eq_u32_e64 s0, 0, v8
	v_cndmask_b32_e64 v96, v10, v7, s0
; %bb.927:                              ;   in Loop: Header=BB396_611 Depth=1
	s_or_b32 exec_lo, exec_lo, s10
	v_lshrrev_b32_e32 v7, 16, v2
	v_mov_b32_e32 v8, 0
	s_mov_b32 s10, exec_lo
	s_delay_alu instid0(VALU_DEP_2) | instskip(NEXT) | instid1(VALU_DEP_1)
	v_and_b32_e32 v10, 0xff, v7
	v_cmpx_ne_u16_e32 0, v10
	s_cbranch_execz .LBB396_935
; %bb.928:                              ;   in Loop: Header=BB396_611 Depth=1
	v_bfrev_b32_e32 v8, 1
	s_mov_b32 s12, exec_lo
	v_cmpx_ne_u16_e32 0x80, v10
	s_cbranch_execz .LBB396_934
; %bb.929:                              ;   in Loop: Header=BB396_611 Depth=1
	v_bfe_u32 v97, v2, 16, 7
	v_mov_b32_e32 v8, 0x7f800001
	s_mov_b32 s13, exec_lo
	s_delay_alu instid0(VALU_DEP_2)
	v_cmpx_ne_u32_e32 0x7f, v97
	s_cbranch_execz .LBB396_933
; %bb.930:                              ;   in Loop: Header=BB396_611 Depth=1
	v_and_b32_e32 v10, 7, v7
	v_lshrrev_b32_e32 v8, 3, v97
	s_mov_b32 s15, exec_lo
	v_cmpx_gt_u32_e32 8, v97
; %bb.931:                              ;   in Loop: Header=BB396_611 Depth=1
	s_delay_alu instid0(VALU_DEP_3) | instskip(NEXT) | instid1(VALU_DEP_1)
	v_clz_i32_u32_e32 v8, v10
	v_min_u32_e32 v8, 32, v8
	s_delay_alu instid0(VALU_DEP_1) | instskip(SKIP_1) | instid1(VALU_DEP_2)
	v_subrev_nc_u32_e32 v97, 28, v8
	v_sub_nc_u32_e32 v8, 29, v8
	v_lshlrev_b64 v[97:98], v97, v[10:11]
	s_delay_alu instid0(VALU_DEP_1)
	v_and_b32_e32 v10, 7, v97
; %bb.932:                              ;   in Loop: Header=BB396_611 Depth=1
	s_or_b32 exec_lo, exec_lo, s15
	v_lshlrev_b32_e32 v7, 24, v7
	s_delay_alu instid0(VALU_DEP_2) | instskip(SKIP_1) | instid1(VALU_DEP_3)
	v_lshlrev_b32_e32 v10, 20, v10
	v_lshl_add_u32 v8, v8, 23, 0x3c000000
	v_and_b32_e32 v7, 0x80000000, v7
	s_delay_alu instid0(VALU_DEP_1)
	v_or3_b32 v8, v10, v7, v8
.LBB396_933:                            ;   in Loop: Header=BB396_611 Depth=1
	s_or_b32 exec_lo, exec_lo, s13
.LBB396_934:                            ;   in Loop: Header=BB396_611 Depth=1
	s_delay_alu instid0(SALU_CYCLE_1)
	s_or_b32 exec_lo, exec_lo, s12
.LBB396_935:                            ;   in Loop: Header=BB396_611 Depth=1
	s_delay_alu instid0(SALU_CYCLE_1) | instskip(NEXT) | instid1(VALU_DEP_1)
	s_or_b32 exec_lo, exec_lo, s10
	v_mul_f32_e32 v7, v26, v8
                                        ; implicit-def: $vgpr97
	s_delay_alu instid0(VALU_DEP_1) | instskip(NEXT) | instid1(VALU_DEP_1)
	v_and_b32_e32 v8, 0x7f800000, v7
	v_cmp_ne_u32_e64 s0, 0x7f800000, v8
	s_delay_alu instid0(VALU_DEP_1) | instskip(NEXT) | instid1(SALU_CYCLE_1)
	s_and_saveexec_b32 s10, s0
	s_xor_b32 s0, exec_lo, s10
; %bb.936:                              ;   in Loop: Header=BB396_611 Depth=1
	v_bfe_u32 v8, v7, 16, 1
	s_delay_alu instid0(VALU_DEP_1)
	v_add3_u32 v97, v7, v8, 0x7fff
                                        ; implicit-def: $vgpr7
; %bb.937:                              ;   in Loop: Header=BB396_611 Depth=1
	s_and_not1_saveexec_b32 s10, s0
; %bb.938:                              ;   in Loop: Header=BB396_611 Depth=1
	v_and_b32_e32 v8, 0xffff, v7
	v_or_b32_e32 v10, 0x10000, v7
	s_delay_alu instid0(VALU_DEP_2) | instskip(NEXT) | instid1(VALU_DEP_1)
	v_cmp_eq_u32_e64 s0, 0, v8
	v_cndmask_b32_e64 v97, v10, v7, s0
; %bb.939:                              ;   in Loop: Header=BB396_611 Depth=1
	s_or_b32 exec_lo, exec_lo, s10
	v_mov_b32_e32 v8, 0
	s_mov_b32 s10, exec_lo
	v_cmpx_lt_u32_e32 0xffffff, v2
	s_cbranch_execz .LBB396_947
; %bb.940:                              ;   in Loop: Header=BB396_611 Depth=1
	v_lshrrev_b32_e32 v7, 24, v2
	v_bfrev_b32_e32 v8, 1
	s_mov_b32 s12, exec_lo
	s_delay_alu instid0(VALU_DEP_2)
	v_cmpx_ne_u32_e32 0x80, v7
	s_cbranch_execz .LBB396_946
; %bb.941:                              ;   in Loop: Header=BB396_611 Depth=1
	v_bfe_u32 v98, v2, 24, 7
	v_mov_b32_e32 v8, 0x7f800001
	s_mov_b32 s13, exec_lo
	s_delay_alu instid0(VALU_DEP_2)
	v_cmpx_ne_u32_e32 0x7f, v98
	s_cbranch_execz .LBB396_945
; %bb.942:                              ;   in Loop: Header=BB396_611 Depth=1
	v_and_b32_e32 v10, 7, v7
	v_lshrrev_b32_e32 v8, 3, v98
	s_mov_b32 s15, exec_lo
	v_cmpx_gt_u32_e32 8, v98
; %bb.943:                              ;   in Loop: Header=BB396_611 Depth=1
	s_delay_alu instid0(VALU_DEP_3) | instskip(NEXT) | instid1(VALU_DEP_1)
	v_clz_i32_u32_e32 v8, v10
	v_min_u32_e32 v8, 32, v8
	s_delay_alu instid0(VALU_DEP_1) | instskip(SKIP_1) | instid1(VALU_DEP_2)
	v_subrev_nc_u32_e32 v98, 28, v8
	v_sub_nc_u32_e32 v8, 29, v8
	v_lshlrev_b64 v[98:99], v98, v[10:11]
	s_delay_alu instid0(VALU_DEP_1)
	v_and_b32_e32 v10, 7, v98
; %bb.944:                              ;   in Loop: Header=BB396_611 Depth=1
	s_or_b32 exec_lo, exec_lo, s15
	v_lshlrev_b32_e32 v7, 24, v7
	s_delay_alu instid0(VALU_DEP_2) | instskip(SKIP_1) | instid1(VALU_DEP_3)
	v_lshlrev_b32_e32 v10, 20, v10
	v_lshl_add_u32 v8, v8, 23, 0x3c000000
	v_and_b32_e32 v7, 0x80000000, v7
	s_delay_alu instid0(VALU_DEP_1)
	v_or3_b32 v8, v10, v7, v8
.LBB396_945:                            ;   in Loop: Header=BB396_611 Depth=1
	s_or_b32 exec_lo, exec_lo, s13
.LBB396_946:                            ;   in Loop: Header=BB396_611 Depth=1
	s_delay_alu instid0(SALU_CYCLE_1)
	s_or_b32 exec_lo, exec_lo, s12
.LBB396_947:                            ;   in Loop: Header=BB396_611 Depth=1
	s_delay_alu instid0(SALU_CYCLE_1) | instskip(NEXT) | instid1(VALU_DEP_1)
	s_or_b32 exec_lo, exec_lo, s10
	v_mul_f32_e32 v7, v26, v8
                                        ; implicit-def: $vgpr98
	s_delay_alu instid0(VALU_DEP_1) | instskip(NEXT) | instid1(VALU_DEP_1)
	v_and_b32_e32 v8, 0x7f800000, v7
	v_cmp_ne_u32_e64 s0, 0x7f800000, v8
	s_delay_alu instid0(VALU_DEP_1) | instskip(NEXT) | instid1(SALU_CYCLE_1)
	s_and_saveexec_b32 s10, s0
	s_xor_b32 s0, exec_lo, s10
; %bb.948:                              ;   in Loop: Header=BB396_611 Depth=1
	v_bfe_u32 v8, v7, 16, 1
	s_delay_alu instid0(VALU_DEP_1)
	v_add3_u32 v98, v7, v8, 0x7fff
                                        ; implicit-def: $vgpr7
; %bb.949:                              ;   in Loop: Header=BB396_611 Depth=1
	s_and_not1_saveexec_b32 s10, s0
; %bb.950:                              ;   in Loop: Header=BB396_611 Depth=1
	v_and_b32_e32 v8, 0xffff, v7
	v_or_b32_e32 v10, 0x10000, v7
	s_delay_alu instid0(VALU_DEP_2) | instskip(NEXT) | instid1(VALU_DEP_1)
	v_cmp_eq_u32_e64 s0, 0, v8
	v_cndmask_b32_e64 v98, v10, v7, s0
; %bb.951:                              ;   in Loop: Header=BB396_611 Depth=1
	s_or_b32 exec_lo, exec_lo, s10
	v_dual_mov_b32 v7, 0 :: v_dual_and_b32 v8, 0xff, v3
	v_mov_b32_e32 v10, v3
	s_mov_b32 s10, exec_lo
	s_delay_alu instid0(VALU_DEP_2)
	v_cmpx_ne_u16_e32 0, v8
	s_cbranch_execz .LBB396_959
; %bb.952:                              ;   in Loop: Header=BB396_611 Depth=1
	v_bfrev_b32_e32 v7, 1
	s_mov_b32 s12, exec_lo
	v_cmpx_ne_u16_e32 0x80, v8
	s_cbranch_execz .LBB396_958
; %bb.953:                              ;   in Loop: Header=BB396_611 Depth=1
	v_and_b32_e32 v8, 0x7f, v3
	v_mov_b32_e32 v7, 0x7f800001
	s_mov_b32 s13, exec_lo
	s_delay_alu instid0(VALU_DEP_2)
	v_cmpx_ne_u32_e32 0x7f, v8
	s_cbranch_execz .LBB396_957
; %bb.954:                              ;   in Loop: Header=BB396_611 Depth=1
	v_lshrrev_b32_e32 v99, 3, v8
	v_cmp_gt_u32_e64 s0, 8, v8
	v_dual_mov_b32 v7, v10 :: v_dual_mov_b32 v8, v11
	s_delay_alu instid0(VALU_DEP_2)
	s_and_saveexec_b32 s15, s0
; %bb.955:                              ;   in Loop: Header=BB396_611 Depth=1
	v_and_b32_e32 v7, 7, v3
	s_delay_alu instid0(VALU_DEP_1) | instskip(NEXT) | instid1(VALU_DEP_1)
	v_clz_i32_u32_e32 v7, v7
	v_min_u32_e32 v99, 32, v7
	s_delay_alu instid0(VALU_DEP_1) | instskip(SKIP_1) | instid1(VALU_DEP_2)
	v_subrev_nc_u32_e32 v7, 28, v99
	v_sub_nc_u32_e32 v99, 29, v99
	v_lshlrev_b64 v[7:8], v7, v[10:11]
; %bb.956:                              ;   in Loop: Header=BB396_611 Depth=1
	s_or_b32 exec_lo, exec_lo, s15
	s_delay_alu instid0(VALU_DEP_1) | instskip(SKIP_2) | instid1(VALU_DEP_3)
	v_lshlrev_b32_e32 v7, 20, v7
	v_lshlrev_b32_e32 v8, 24, v10
	v_lshl_add_u32 v99, v99, 23, 0x3c000000
	v_and_b32_e32 v7, 0x700000, v7
	s_delay_alu instid0(VALU_DEP_3) | instskip(NEXT) | instid1(VALU_DEP_1)
	v_and_b32_e32 v8, 0x80000000, v8
	v_or3_b32 v7, v7, v8, v99
.LBB396_957:                            ;   in Loop: Header=BB396_611 Depth=1
	s_or_b32 exec_lo, exec_lo, s13
.LBB396_958:                            ;   in Loop: Header=BB396_611 Depth=1
	s_delay_alu instid0(SALU_CYCLE_1)
	s_or_b32 exec_lo, exec_lo, s12
.LBB396_959:                            ;   in Loop: Header=BB396_611 Depth=1
	s_delay_alu instid0(SALU_CYCLE_1) | instskip(NEXT) | instid1(VALU_DEP_1)
	s_or_b32 exec_lo, exec_lo, s10
	v_mul_f32_e32 v7, v26, v7
                                        ; implicit-def: $vgpr99
	s_delay_alu instid0(VALU_DEP_1) | instskip(NEXT) | instid1(VALU_DEP_1)
	v_and_b32_e32 v8, 0x7f800000, v7
	v_cmp_ne_u32_e64 s0, 0x7f800000, v8
	s_delay_alu instid0(VALU_DEP_1) | instskip(NEXT) | instid1(SALU_CYCLE_1)
	s_and_saveexec_b32 s10, s0
	s_xor_b32 s0, exec_lo, s10
; %bb.960:                              ;   in Loop: Header=BB396_611 Depth=1
	v_bfe_u32 v8, v7, 16, 1
	s_delay_alu instid0(VALU_DEP_1)
	v_add3_u32 v99, v7, v8, 0x7fff
                                        ; implicit-def: $vgpr7
; %bb.961:                              ;   in Loop: Header=BB396_611 Depth=1
	s_and_not1_saveexec_b32 s10, s0
; %bb.962:                              ;   in Loop: Header=BB396_611 Depth=1
	v_and_b32_e32 v8, 0xffff, v7
	v_or_b32_e32 v99, 0x10000, v7
	s_delay_alu instid0(VALU_DEP_2) | instskip(NEXT) | instid1(VALU_DEP_1)
	v_cmp_eq_u32_e64 s0, 0, v8
	v_cndmask_b32_e64 v99, v99, v7, s0
; %bb.963:                              ;   in Loop: Header=BB396_611 Depth=1
	s_or_b32 exec_lo, exec_lo, s10
	v_lshrrev_b16 v8, 8, v10
	v_mov_b32_e32 v7, 0
	s_mov_b32 s10, exec_lo
	s_delay_alu instid0(VALU_DEP_2)
	v_cmpx_ne_u16_e32 0, v8
	s_cbranch_execz .LBB396_971
; %bb.964:                              ;   in Loop: Header=BB396_611 Depth=1
	v_bfrev_b32_e32 v7, 1
	s_mov_b32 s12, exec_lo
	v_cmpx_ne_u16_e32 0x80, v8
	s_cbranch_execz .LBB396_970
; %bb.965:                              ;   in Loop: Header=BB396_611 Depth=1
	v_and_b32_e32 v8, 0xffff, v8
	v_mov_b32_e32 v7, 0x7f800001
	s_mov_b32 s13, exec_lo
	s_delay_alu instid0(VALU_DEP_2) | instskip(NEXT) | instid1(VALU_DEP_1)
	v_and_b32_e32 v101, 0x7f, v8
	v_cmpx_ne_u32_e32 0x7f, v101
	s_cbranch_execz .LBB396_969
; %bb.966:                              ;   in Loop: Header=BB396_611 Depth=1
	v_dual_mov_b32 v8, v11 :: v_dual_and_b32 v7, 7, v8
	v_lshrrev_b32_e32 v100, 3, v101
	s_mov_b32 s15, exec_lo
	v_cmpx_gt_u32_e32 8, v101
; %bb.967:                              ;   in Loop: Header=BB396_611 Depth=1
	s_delay_alu instid0(VALU_DEP_3) | instskip(NEXT) | instid1(VALU_DEP_1)
	v_clz_i32_u32_e32 v100, v7
	v_min_u32_e32 v100, 32, v100
	s_delay_alu instid0(VALU_DEP_1) | instskip(SKIP_1) | instid1(VALU_DEP_2)
	v_subrev_nc_u32_e32 v101, 28, v100
	v_sub_nc_u32_e32 v100, 29, v100
	v_lshlrev_b64 v[7:8], v101, v[7:8]
	s_delay_alu instid0(VALU_DEP_1)
	v_and_b32_e32 v7, 7, v7
; %bb.968:                              ;   in Loop: Header=BB396_611 Depth=1
	s_or_b32 exec_lo, exec_lo, s15
	v_lshlrev_b32_e32 v8, 16, v10
	s_delay_alu instid0(VALU_DEP_2) | instskip(SKIP_1) | instid1(VALU_DEP_3)
	v_lshlrev_b32_e32 v7, 20, v7
	v_lshl_add_u32 v10, v100, 23, 0x3c000000
	v_and_b32_e32 v8, 0x80000000, v8
	s_delay_alu instid0(VALU_DEP_1)
	v_or3_b32 v7, v7, v8, v10
.LBB396_969:                            ;   in Loop: Header=BB396_611 Depth=1
	s_or_b32 exec_lo, exec_lo, s13
.LBB396_970:                            ;   in Loop: Header=BB396_611 Depth=1
	s_delay_alu instid0(SALU_CYCLE_1)
	s_or_b32 exec_lo, exec_lo, s12
.LBB396_971:                            ;   in Loop: Header=BB396_611 Depth=1
	s_delay_alu instid0(SALU_CYCLE_1) | instskip(NEXT) | instid1(VALU_DEP_1)
	s_or_b32 exec_lo, exec_lo, s10
	v_mul_f32_e32 v8, v26, v7
	s_delay_alu instid0(VALU_DEP_1) | instskip(NEXT) | instid1(VALU_DEP_1)
	v_and_b32_e32 v7, 0x7f800000, v8
	v_cmp_ne_u32_e64 s0, 0x7f800000, v7
                                        ; implicit-def: $vgpr7
	s_delay_alu instid0(VALU_DEP_1) | instskip(NEXT) | instid1(SALU_CYCLE_1)
	s_and_saveexec_b32 s10, s0
	s_xor_b32 s0, exec_lo, s10
; %bb.972:                              ;   in Loop: Header=BB396_611 Depth=1
	v_bfe_u32 v7, v8, 16, 1
	s_delay_alu instid0(VALU_DEP_1)
	v_add3_u32 v7, v8, v7, 0x7fff
                                        ; implicit-def: $vgpr8
; %bb.973:                              ;   in Loop: Header=BB396_611 Depth=1
	s_and_not1_saveexec_b32 s10, s0
; %bb.974:                              ;   in Loop: Header=BB396_611 Depth=1
	v_and_b32_e32 v7, 0xffff, v8
	v_or_b32_e32 v10, 0x10000, v8
	s_delay_alu instid0(VALU_DEP_2) | instskip(NEXT) | instid1(VALU_DEP_1)
	v_cmp_eq_u32_e64 s0, 0, v7
	v_cndmask_b32_e64 v7, v10, v8, s0
; %bb.975:                              ;   in Loop: Header=BB396_611 Depth=1
	s_or_b32 exec_lo, exec_lo, s10
	v_lshrrev_b32_e32 v8, 16, v3
	v_mov_b32_e32 v10, 0
	s_mov_b32 s10, exec_lo
	s_delay_alu instid0(VALU_DEP_2) | instskip(NEXT) | instid1(VALU_DEP_1)
	v_and_b32_e32 v100, 0xff, v8
	v_cmpx_ne_u16_e32 0, v100
	s_cbranch_execz .LBB396_983
; %bb.976:                              ;   in Loop: Header=BB396_611 Depth=1
	v_bfrev_b32_e32 v10, 1
	s_mov_b32 s12, exec_lo
	v_cmpx_ne_u16_e32 0x80, v100
	s_cbranch_execz .LBB396_982
; %bb.977:                              ;   in Loop: Header=BB396_611 Depth=1
	v_bfe_u32 v101, v3, 16, 7
	v_mov_b32_e32 v10, 0x7f800001
	s_mov_b32 s13, exec_lo
	s_delay_alu instid0(VALU_DEP_2)
	v_cmpx_ne_u32_e32 0x7f, v101
	s_cbranch_execz .LBB396_981
; %bb.978:                              ;   in Loop: Header=BB396_611 Depth=1
	v_and_b32_e32 v10, 7, v8
	v_lshrrev_b32_e32 v100, 3, v101
	s_mov_b32 s15, exec_lo
	v_cmpx_gt_u32_e32 8, v101
; %bb.979:                              ;   in Loop: Header=BB396_611 Depth=1
	s_delay_alu instid0(VALU_DEP_3) | instskip(NEXT) | instid1(VALU_DEP_1)
	v_clz_i32_u32_e32 v100, v10
	v_min_u32_e32 v100, 32, v100
	s_delay_alu instid0(VALU_DEP_1) | instskip(SKIP_1) | instid1(VALU_DEP_2)
	v_subrev_nc_u32_e32 v101, 28, v100
	v_sub_nc_u32_e32 v100, 29, v100
	v_lshlrev_b64 v[101:102], v101, v[10:11]
	s_delay_alu instid0(VALU_DEP_1)
	v_and_b32_e32 v10, 7, v101
; %bb.980:                              ;   in Loop: Header=BB396_611 Depth=1
	s_or_b32 exec_lo, exec_lo, s15
	v_lshlrev_b32_e32 v8, 24, v8
	s_delay_alu instid0(VALU_DEP_2) | instskip(SKIP_1) | instid1(VALU_DEP_3)
	v_lshlrev_b32_e32 v10, 20, v10
	v_lshl_add_u32 v100, v100, 23, 0x3c000000
	v_and_b32_e32 v8, 0x80000000, v8
	s_delay_alu instid0(VALU_DEP_1)
	v_or3_b32 v10, v10, v8, v100
.LBB396_981:                            ;   in Loop: Header=BB396_611 Depth=1
	s_or_b32 exec_lo, exec_lo, s13
.LBB396_982:                            ;   in Loop: Header=BB396_611 Depth=1
	s_delay_alu instid0(SALU_CYCLE_1)
	s_or_b32 exec_lo, exec_lo, s12
.LBB396_983:                            ;   in Loop: Header=BB396_611 Depth=1
	s_delay_alu instid0(SALU_CYCLE_1) | instskip(NEXT) | instid1(VALU_DEP_1)
	s_or_b32 exec_lo, exec_lo, s10
	v_mul_f32_e32 v8, v26, v10
                                        ; implicit-def: $vgpr100
	s_delay_alu instid0(VALU_DEP_1) | instskip(NEXT) | instid1(VALU_DEP_1)
	v_and_b32_e32 v10, 0x7f800000, v8
	v_cmp_ne_u32_e64 s0, 0x7f800000, v10
	s_delay_alu instid0(VALU_DEP_1) | instskip(NEXT) | instid1(SALU_CYCLE_1)
	s_and_saveexec_b32 s10, s0
	s_xor_b32 s0, exec_lo, s10
; %bb.984:                              ;   in Loop: Header=BB396_611 Depth=1
	v_bfe_u32 v10, v8, 16, 1
	s_delay_alu instid0(VALU_DEP_1)
	v_add3_u32 v100, v8, v10, 0x7fff
                                        ; implicit-def: $vgpr8
; %bb.985:                              ;   in Loop: Header=BB396_611 Depth=1
	s_and_not1_saveexec_b32 s10, s0
; %bb.986:                              ;   in Loop: Header=BB396_611 Depth=1
	v_and_b32_e32 v10, 0xffff, v8
	v_or_b32_e32 v100, 0x10000, v8
	s_delay_alu instid0(VALU_DEP_2) | instskip(NEXT) | instid1(VALU_DEP_1)
	v_cmp_eq_u32_e64 s0, 0, v10
	v_cndmask_b32_e64 v100, v100, v8, s0
; %bb.987:                              ;   in Loop: Header=BB396_611 Depth=1
	s_or_b32 exec_lo, exec_lo, s10
	v_mov_b32_e32 v8, 0
	s_mov_b32 s10, exec_lo
	v_cmpx_lt_u64_e64 s[8:9], v[2:3]
	s_cbranch_execz .LBB396_995
; %bb.988:                              ;   in Loop: Header=BB396_611 Depth=1
	v_lshrrev_b32_e32 v2, 24, v3
	v_bfrev_b32_e32 v8, 1
	s_mov_b32 s12, exec_lo
	s_delay_alu instid0(VALU_DEP_2)
	v_cmpx_ne_u32_e32 0x80, v2
	s_cbranch_execz .LBB396_994
; %bb.989:                              ;   in Loop: Header=BB396_611 Depth=1
	v_bfe_u32 v101, v3, 24, 7
	v_mov_b32_e32 v8, 0x7f800001
	s_mov_b32 s13, exec_lo
	s_delay_alu instid0(VALU_DEP_2)
	v_cmpx_ne_u32_e32 0x7f, v101
	s_cbranch_execz .LBB396_993
; %bb.990:                              ;   in Loop: Header=BB396_611 Depth=1
	v_and_b32_e32 v10, 7, v2
	v_lshrrev_b32_e32 v3, 3, v101
	s_mov_b32 s15, exec_lo
	v_cmpx_gt_u32_e32 8, v101
; %bb.991:                              ;   in Loop: Header=BB396_611 Depth=1
	s_delay_alu instid0(VALU_DEP_3) | instskip(NEXT) | instid1(VALU_DEP_1)
	v_clz_i32_u32_e32 v3, v10
	v_min_u32_e32 v3, 32, v3
	s_delay_alu instid0(VALU_DEP_1) | instskip(SKIP_1) | instid1(VALU_DEP_2)
	v_subrev_nc_u32_e32 v8, 28, v3
	v_sub_nc_u32_e32 v3, 29, v3
	v_lshlrev_b64 v[101:102], v8, v[10:11]
	s_delay_alu instid0(VALU_DEP_1)
	v_and_b32_e32 v10, 7, v101
; %bb.992:                              ;   in Loop: Header=BB396_611 Depth=1
	s_or_b32 exec_lo, exec_lo, s15
	v_lshlrev_b32_e32 v2, 24, v2
	s_delay_alu instid0(VALU_DEP_2) | instskip(SKIP_1) | instid1(VALU_DEP_3)
	v_lshlrev_b32_e32 v8, 20, v10
	v_lshl_add_u32 v3, v3, 23, 0x3c000000
	v_and_b32_e32 v2, 0x80000000, v2
	s_delay_alu instid0(VALU_DEP_1)
	v_or3_b32 v8, v8, v2, v3
.LBB396_993:                            ;   in Loop: Header=BB396_611 Depth=1
	s_or_b32 exec_lo, exec_lo, s13
.LBB396_994:                            ;   in Loop: Header=BB396_611 Depth=1
	s_delay_alu instid0(SALU_CYCLE_1)
	s_or_b32 exec_lo, exec_lo, s12
.LBB396_995:                            ;   in Loop: Header=BB396_611 Depth=1
	s_delay_alu instid0(SALU_CYCLE_1) | instskip(NEXT) | instid1(VALU_DEP_1)
	s_or_b32 exec_lo, exec_lo, s10
	v_mul_f32_e32 v3, v26, v8
	s_delay_alu instid0(VALU_DEP_1) | instskip(NEXT) | instid1(VALU_DEP_1)
	v_and_b32_e32 v2, 0x7f800000, v3
	v_cmp_ne_u32_e64 s0, 0x7f800000, v2
                                        ; implicit-def: $vgpr2
	s_delay_alu instid0(VALU_DEP_1) | instskip(NEXT) | instid1(SALU_CYCLE_1)
	s_and_saveexec_b32 s10, s0
	s_xor_b32 s0, exec_lo, s10
; %bb.996:                              ;   in Loop: Header=BB396_611 Depth=1
	v_bfe_u32 v2, v3, 16, 1
	s_delay_alu instid0(VALU_DEP_1)
	v_add3_u32 v2, v3, v2, 0x7fff
                                        ; implicit-def: $vgpr3
; %bb.997:                              ;   in Loop: Header=BB396_611 Depth=1
	s_and_not1_saveexec_b32 s10, s0
; %bb.998:                              ;   in Loop: Header=BB396_611 Depth=1
	v_and_b32_e32 v2, 0xffff, v3
	v_or_b32_e32 v8, 0x10000, v3
	s_delay_alu instid0(VALU_DEP_2) | instskip(NEXT) | instid1(VALU_DEP_1)
	v_cmp_eq_u32_e64 s0, 0, v2
	v_cndmask_b32_e64 v2, v8, v3, s0
; %bb.999:                              ;   in Loop: Header=BB396_611 Depth=1
	s_or_b32 exec_lo, exec_lo, s10
	v_lshrrev_b32_e32 v7, 16, v7
	v_lshrrev_b32_e32 v8, 16, v99
	;; [unrolled: 1-line block ×8, first 2 shown]
	s_and_saveexec_b32 s10, vcc_lo
	s_cbranch_execz .LBB396_1001
; %bb.1000:                             ;   in Loop: Header=BB396_611 Depth=1
	v_cmp_lt_i32_e64 s0, v48, v32
	s_delay_alu instid0(VALU_DEP_1) | instskip(SKIP_1) | instid1(VALU_DEP_1)
	v_cndmask_b32_e64 v87, 0, v87, s0
	v_cmp_lt_i32_e64 s0, v54, v32
	v_cndmask_b32_e64 v96, 0, v96, s0
	v_cmp_lt_i32_e64 s0, v53, v32
	s_delay_alu instid0(VALU_DEP_1) | instskip(SKIP_1) | instid1(VALU_DEP_1)
	v_cndmask_b32_e64 v97, 0, v97, s0
	v_cmp_lt_i32_e64 s0, v52, v32
	v_cndmask_b32_e64 v10, 0, v10, s0
	;; [unrolled: 5-line block ×4, first 2 shown]
.LBB396_1001:                           ;   in Loop: Header=BB396_611 Depth=1
	s_or_b32 exec_lo, exec_lo, s10
	v_lshlrev_b32_e32 v87, 16, v87
	s_delay_alu instid0(VALU_DEP_1) | instskip(NEXT) | instid1(VALU_DEP_1)
	v_mul_f32_e32 v98, v55, v87
	v_and_b32_e32 v87, 0x7f800000, v98
	s_delay_alu instid0(VALU_DEP_1) | instskip(NEXT) | instid1(VALU_DEP_1)
	v_cmp_ne_u32_e64 s0, 0x7f800000, v87
                                        ; implicit-def: $vgpr87
	s_and_saveexec_b32 s10, s0
	s_delay_alu instid0(SALU_CYCLE_1)
	s_xor_b32 s0, exec_lo, s10
; %bb.1002:                             ;   in Loop: Header=BB396_611 Depth=1
	v_bfe_u32 v87, v98, 16, 1
	s_delay_alu instid0(VALU_DEP_1)
	v_add3_u32 v87, v98, v87, 0x7fff
                                        ; implicit-def: $vgpr98
; %bb.1003:                             ;   in Loop: Header=BB396_611 Depth=1
	s_and_not1_saveexec_b32 s10, s0
; %bb.1004:                             ;   in Loop: Header=BB396_611 Depth=1
	v_and_b32_e32 v87, 0xffff, v98
	v_or_b32_e32 v99, 0x10000, v98
	s_delay_alu instid0(VALU_DEP_2) | instskip(NEXT) | instid1(VALU_DEP_1)
	v_cmp_eq_u32_e64 s0, 0, v87
	v_cndmask_b32_e64 v87, v99, v98, s0
; %bb.1005:                             ;   in Loop: Header=BB396_611 Depth=1
	s_or_b32 exec_lo, exec_lo, s10
	v_lshlrev_b32_e32 v96, 16, v96
	s_delay_alu instid0(VALU_DEP_1) | instskip(NEXT) | instid1(VALU_DEP_1)
	v_mul_f32_e32 v98, v64, v96
	v_and_b32_e32 v96, 0x7f800000, v98
	s_delay_alu instid0(VALU_DEP_1) | instskip(NEXT) | instid1(VALU_DEP_1)
	v_cmp_ne_u32_e64 s0, 0x7f800000, v96
                                        ; implicit-def: $vgpr96
	s_and_saveexec_b32 s10, s0
	s_delay_alu instid0(SALU_CYCLE_1)
	s_xor_b32 s0, exec_lo, s10
; %bb.1006:                             ;   in Loop: Header=BB396_611 Depth=1
	v_bfe_u32 v96, v98, 16, 1
	s_delay_alu instid0(VALU_DEP_1)
	v_add3_u32 v96, v98, v96, 0x7fff
                                        ; implicit-def: $vgpr98
; %bb.1007:                             ;   in Loop: Header=BB396_611 Depth=1
	s_and_not1_saveexec_b32 s10, s0
; %bb.1008:                             ;   in Loop: Header=BB396_611 Depth=1
	v_and_b32_e32 v96, 0xffff, v98
	v_or_b32_e32 v99, 0x10000, v98
	s_delay_alu instid0(VALU_DEP_2) | instskip(NEXT) | instid1(VALU_DEP_1)
	v_cmp_eq_u32_e64 s0, 0, v96
	v_cndmask_b32_e64 v96, v99, v98, s0
; %bb.1009:                             ;   in Loop: Header=BB396_611 Depth=1
	s_or_b32 exec_lo, exec_lo, s10
	v_lshlrev_b32_e32 v97, 16, v97
	s_delay_alu instid0(VALU_DEP_1) | instskip(NEXT) | instid1(VALU_DEP_1)
	v_mul_f32_e32 v98, v65, v97
	v_and_b32_e32 v97, 0x7f800000, v98
	s_delay_alu instid0(VALU_DEP_1) | instskip(NEXT) | instid1(VALU_DEP_1)
	v_cmp_ne_u32_e64 s0, 0x7f800000, v97
                                        ; implicit-def: $vgpr97
	s_and_saveexec_b32 s10, s0
	s_delay_alu instid0(SALU_CYCLE_1)
	s_xor_b32 s0, exec_lo, s10
; %bb.1010:                             ;   in Loop: Header=BB396_611 Depth=1
	v_bfe_u32 v97, v98, 16, 1
	s_delay_alu instid0(VALU_DEP_1)
	v_add3_u32 v97, v98, v97, 0x7fff
                                        ; implicit-def: $vgpr98
; %bb.1011:                             ;   in Loop: Header=BB396_611 Depth=1
	s_and_not1_saveexec_b32 s10, s0
; %bb.1012:                             ;   in Loop: Header=BB396_611 Depth=1
	v_and_b32_e32 v97, 0xffff, v98
	v_or_b32_e32 v99, 0x10000, v98
	s_delay_alu instid0(VALU_DEP_2) | instskip(NEXT) | instid1(VALU_DEP_1)
	v_cmp_eq_u32_e64 s0, 0, v97
	v_cndmask_b32_e64 v97, v99, v98, s0
; %bb.1013:                             ;   in Loop: Header=BB396_611 Depth=1
	s_or_b32 exec_lo, exec_lo, s10
	v_lshlrev_b32_e32 v10, 16, v10
	s_delay_alu instid0(VALU_DEP_1) | instskip(NEXT) | instid1(VALU_DEP_1)
	v_mul_f32_e32 v10, v66, v10
	v_and_b32_e32 v98, 0x7f800000, v10
	s_delay_alu instid0(VALU_DEP_1) | instskip(NEXT) | instid1(VALU_DEP_1)
	v_cmp_ne_u32_e64 s0, 0x7f800000, v98
                                        ; implicit-def: $vgpr98
	s_and_saveexec_b32 s10, s0
	s_delay_alu instid0(SALU_CYCLE_1)
	s_xor_b32 s0, exec_lo, s10
; %bb.1014:                             ;   in Loop: Header=BB396_611 Depth=1
	v_bfe_u32 v98, v10, 16, 1
	s_delay_alu instid0(VALU_DEP_1)
	v_add3_u32 v98, v10, v98, 0x7fff
                                        ; implicit-def: $vgpr10
; %bb.1015:                             ;   in Loop: Header=BB396_611 Depth=1
	s_and_not1_saveexec_b32 s10, s0
; %bb.1016:                             ;   in Loop: Header=BB396_611 Depth=1
	v_and_b32_e32 v98, 0xffff, v10
	v_or_b32_e32 v99, 0x10000, v10
	s_delay_alu instid0(VALU_DEP_2) | instskip(NEXT) | instid1(VALU_DEP_1)
	v_cmp_eq_u32_e64 s0, 0, v98
	v_cndmask_b32_e64 v98, v99, v10, s0
; %bb.1017:                             ;   in Loop: Header=BB396_611 Depth=1
	s_or_b32 exec_lo, exec_lo, s10
	v_lshlrev_b32_e32 v8, 16, v8
                                        ; implicit-def: $vgpr99
	s_delay_alu instid0(VALU_DEP_1) | instskip(NEXT) | instid1(VALU_DEP_1)
	v_mul_f32_e32 v8, v67, v8
	v_and_b32_e32 v10, 0x7f800000, v8
	s_delay_alu instid0(VALU_DEP_1) | instskip(NEXT) | instid1(VALU_DEP_1)
	v_cmp_ne_u32_e64 s0, 0x7f800000, v10
	s_and_saveexec_b32 s10, s0
	s_delay_alu instid0(SALU_CYCLE_1)
	s_xor_b32 s0, exec_lo, s10
; %bb.1018:                             ;   in Loop: Header=BB396_611 Depth=1
	v_bfe_u32 v10, v8, 16, 1
	s_delay_alu instid0(VALU_DEP_1)
	v_add3_u32 v99, v8, v10, 0x7fff
                                        ; implicit-def: $vgpr8
; %bb.1019:                             ;   in Loop: Header=BB396_611 Depth=1
	s_and_not1_saveexec_b32 s10, s0
; %bb.1020:                             ;   in Loop: Header=BB396_611 Depth=1
	v_and_b32_e32 v10, 0xffff, v8
	v_or_b32_e32 v99, 0x10000, v8
	s_delay_alu instid0(VALU_DEP_2) | instskip(NEXT) | instid1(VALU_DEP_1)
	v_cmp_eq_u32_e64 s0, 0, v10
	v_cndmask_b32_e64 v99, v99, v8, s0
; %bb.1021:                             ;   in Loop: Header=BB396_611 Depth=1
	s_or_b32 exec_lo, exec_lo, s10
	v_lshlrev_b32_e32 v7, 16, v7
                                        ; implicit-def: $vgpr100
	s_delay_alu instid0(VALU_DEP_1) | instskip(NEXT) | instid1(VALU_DEP_1)
	v_mul_f32_e32 v7, v68, v7
	v_and_b32_e32 v8, 0x7f800000, v7
	s_delay_alu instid0(VALU_DEP_1) | instskip(NEXT) | instid1(VALU_DEP_1)
	v_cmp_ne_u32_e64 s0, 0x7f800000, v8
	s_and_saveexec_b32 s10, s0
	s_delay_alu instid0(SALU_CYCLE_1)
	s_xor_b32 s0, exec_lo, s10
; %bb.1022:                             ;   in Loop: Header=BB396_611 Depth=1
	v_bfe_u32 v8, v7, 16, 1
	s_delay_alu instid0(VALU_DEP_1)
	v_add3_u32 v100, v7, v8, 0x7fff
                                        ; implicit-def: $vgpr7
; %bb.1023:                             ;   in Loop: Header=BB396_611 Depth=1
	s_and_not1_saveexec_b32 s10, s0
; %bb.1024:                             ;   in Loop: Header=BB396_611 Depth=1
	v_and_b32_e32 v8, 0xffff, v7
	v_or_b32_e32 v10, 0x10000, v7
	s_delay_alu instid0(VALU_DEP_2) | instskip(NEXT) | instid1(VALU_DEP_1)
	v_cmp_eq_u32_e64 s0, 0, v8
	v_cndmask_b32_e64 v100, v10, v7, s0
; %bb.1025:                             ;   in Loop: Header=BB396_611 Depth=1
	s_or_b32 exec_lo, exec_lo, s10
	v_lshlrev_b32_e32 v3, 16, v3
                                        ; implicit-def: $vgpr101
	s_delay_alu instid0(VALU_DEP_1) | instskip(NEXT) | instid1(VALU_DEP_1)
	v_mul_f32_e32 v3, v69, v3
	v_and_b32_e32 v7, 0x7f800000, v3
	s_delay_alu instid0(VALU_DEP_1) | instskip(NEXT) | instid1(VALU_DEP_1)
	v_cmp_ne_u32_e64 s0, 0x7f800000, v7
	s_and_saveexec_b32 s10, s0
	s_delay_alu instid0(SALU_CYCLE_1)
	s_xor_b32 s0, exec_lo, s10
; %bb.1026:                             ;   in Loop: Header=BB396_611 Depth=1
	v_bfe_u32 v7, v3, 16, 1
	s_delay_alu instid0(VALU_DEP_1)
	v_add3_u32 v101, v3, v7, 0x7fff
                                        ; implicit-def: $vgpr3
; %bb.1027:                             ;   in Loop: Header=BB396_611 Depth=1
	s_and_not1_saveexec_b32 s10, s0
; %bb.1028:                             ;   in Loop: Header=BB396_611 Depth=1
	v_and_b32_e32 v7, 0xffff, v3
	v_or_b32_e32 v8, 0x10000, v3
	s_delay_alu instid0(VALU_DEP_2) | instskip(NEXT) | instid1(VALU_DEP_1)
	v_cmp_eq_u32_e64 s0, 0, v7
	v_cndmask_b32_e64 v101, v8, v3, s0
; %bb.1029:                             ;   in Loop: Header=BB396_611 Depth=1
	s_or_b32 exec_lo, exec_lo, s10
	v_lshlrev_b32_e32 v2, 16, v2
                                        ; implicit-def: $vgpr102
	s_delay_alu instid0(VALU_DEP_1) | instskip(NEXT) | instid1(VALU_DEP_1)
	v_mul_f32_e32 v2, v70, v2
	v_and_b32_e32 v3, 0x7f800000, v2
	s_delay_alu instid0(VALU_DEP_1) | instskip(NEXT) | instid1(VALU_DEP_1)
	v_cmp_ne_u32_e64 s0, 0x7f800000, v3
	s_and_saveexec_b32 s10, s0
	s_delay_alu instid0(SALU_CYCLE_1)
	s_xor_b32 s0, exec_lo, s10
; %bb.1030:                             ;   in Loop: Header=BB396_611 Depth=1
	v_bfe_u32 v3, v2, 16, 1
	s_delay_alu instid0(VALU_DEP_1)
	v_add3_u32 v102, v2, v3, 0x7fff
                                        ; implicit-def: $vgpr2
; %bb.1031:                             ;   in Loop: Header=BB396_611 Depth=1
	s_and_not1_saveexec_b32 s10, s0
; %bb.1032:                             ;   in Loop: Header=BB396_611 Depth=1
	v_and_b32_e32 v3, 0xffff, v2
	v_or_b32_e32 v7, 0x10000, v2
	s_delay_alu instid0(VALU_DEP_2) | instskip(NEXT) | instid1(VALU_DEP_1)
	v_cmp_eq_u32_e64 s0, 0, v3
	v_cndmask_b32_e64 v102, v7, v2, s0
; %bb.1033:                             ;   in Loop: Header=BB396_611 Depth=1
	s_or_b32 exec_lo, exec_lo, s10
	flat_load_b64 v[2:3], v[0:1] offset:768
	s_mov_b32 s10, exec_lo
	s_waitcnt vmcnt(0) lgkmcnt(0)
	v_dual_mov_b32 v7, 0 :: v_dual_and_b32 v8, 0xff, v2
	s_delay_alu instid0(VALU_DEP_1)
	v_cmpx_ne_u16_e32 0, v8
	s_cbranch_execz .LBB396_1041
; %bb.1034:                             ;   in Loop: Header=BB396_611 Depth=1
	v_bfrev_b32_e32 v7, 1
	s_mov_b32 s12, exec_lo
	v_cmpx_ne_u16_e32 0x80, v8
	s_cbranch_execz .LBB396_1040
; %bb.1035:                             ;   in Loop: Header=BB396_611 Depth=1
	v_and_b32_e32 v8, 0x7f, v2
	v_mov_b32_e32 v7, 0x7f800001
	s_mov_b32 s13, exec_lo
	s_delay_alu instid0(VALU_DEP_2)
	v_cmpx_ne_u32_e32 0x7f, v8
	s_cbranch_execz .LBB396_1039
; %bb.1036:                             ;   in Loop: Header=BB396_611 Depth=1
	v_lshrrev_b32_e32 v10, 3, v8
	v_cmp_gt_u32_e64 s0, 8, v8
	v_dual_mov_b32 v8, v3 :: v_dual_mov_b32 v7, v2
	s_delay_alu instid0(VALU_DEP_2)
	s_and_saveexec_b32 s15, s0
; %bb.1037:                             ;   in Loop: Header=BB396_611 Depth=1
	v_and_b32_e32 v7, 7, v2
	s_delay_alu instid0(VALU_DEP_1) | instskip(NEXT) | instid1(VALU_DEP_1)
	v_clz_i32_u32_e32 v7, v7
	v_min_u32_e32 v10, 32, v7
	s_delay_alu instid0(VALU_DEP_1) | instskip(SKIP_1) | instid1(VALU_DEP_2)
	v_subrev_nc_u32_e32 v7, 28, v10
	v_sub_nc_u32_e32 v10, 29, v10
	v_lshlrev_b64 v[7:8], v7, v[2:3]
; %bb.1038:                             ;   in Loop: Header=BB396_611 Depth=1
	s_or_b32 exec_lo, exec_lo, s15
	s_delay_alu instid0(VALU_DEP_1) | instskip(SKIP_2) | instid1(VALU_DEP_3)
	v_lshlrev_b32_e32 v7, 20, v7
	v_lshlrev_b32_e32 v8, 24, v2
	v_lshl_add_u32 v10, v10, 23, 0x3c000000
	v_and_b32_e32 v7, 0x700000, v7
	s_delay_alu instid0(VALU_DEP_3) | instskip(NEXT) | instid1(VALU_DEP_1)
	v_and_b32_e32 v8, 0x80000000, v8
	v_or3_b32 v7, v7, v8, v10
.LBB396_1039:                           ;   in Loop: Header=BB396_611 Depth=1
	s_or_b32 exec_lo, exec_lo, s13
.LBB396_1040:                           ;   in Loop: Header=BB396_611 Depth=1
	s_delay_alu instid0(SALU_CYCLE_1)
	s_or_b32 exec_lo, exec_lo, s12
.LBB396_1041:                           ;   in Loop: Header=BB396_611 Depth=1
	s_delay_alu instid0(SALU_CYCLE_1) | instskip(NEXT) | instid1(VALU_DEP_1)
	s_or_b32 exec_lo, exec_lo, s10
	v_mul_f32_e32 v7, v26, v7
                                        ; implicit-def: $vgpr103
	s_delay_alu instid0(VALU_DEP_1) | instskip(NEXT) | instid1(VALU_DEP_1)
	v_and_b32_e32 v8, 0x7f800000, v7
	v_cmp_ne_u32_e64 s0, 0x7f800000, v8
	s_delay_alu instid0(VALU_DEP_1) | instskip(NEXT) | instid1(SALU_CYCLE_1)
	s_and_saveexec_b32 s10, s0
	s_xor_b32 s0, exec_lo, s10
; %bb.1042:                             ;   in Loop: Header=BB396_611 Depth=1
	v_bfe_u32 v8, v7, 16, 1
	s_delay_alu instid0(VALU_DEP_1)
	v_add3_u32 v103, v7, v8, 0x7fff
                                        ; implicit-def: $vgpr7
; %bb.1043:                             ;   in Loop: Header=BB396_611 Depth=1
	s_and_not1_saveexec_b32 s10, s0
; %bb.1044:                             ;   in Loop: Header=BB396_611 Depth=1
	v_and_b32_e32 v8, 0xffff, v7
	v_or_b32_e32 v10, 0x10000, v7
	s_delay_alu instid0(VALU_DEP_2) | instskip(NEXT) | instid1(VALU_DEP_1)
	v_cmp_eq_u32_e64 s0, 0, v8
	v_cndmask_b32_e64 v103, v10, v7, s0
; %bb.1045:                             ;   in Loop: Header=BB396_611 Depth=1
	s_or_b32 exec_lo, exec_lo, s10
	v_lshrrev_b16 v8, 8, v2
	v_mov_b32_e32 v7, 0
	s_mov_b32 s10, exec_lo
	s_delay_alu instid0(VALU_DEP_2)
	v_cmpx_ne_u16_e32 0, v8
	s_cbranch_execz .LBB396_1053
; %bb.1046:                             ;   in Loop: Header=BB396_611 Depth=1
	v_bfrev_b32_e32 v7, 1
	s_mov_b32 s12, exec_lo
	v_cmpx_ne_u16_e32 0x80, v8
	s_cbranch_execz .LBB396_1052
; %bb.1047:                             ;   in Loop: Header=BB396_611 Depth=1
	v_and_b32_e32 v10, 0xffff, v8
	v_mov_b32_e32 v7, 0x7f800001
	s_mov_b32 s13, exec_lo
	s_delay_alu instid0(VALU_DEP_2) | instskip(NEXT) | instid1(VALU_DEP_1)
	v_and_b32_e32 v8, 0x7f, v10
	v_cmpx_ne_u32_e32 0x7f, v8
	s_cbranch_execz .LBB396_1051
; %bb.1048:                             ;   in Loop: Header=BB396_611 Depth=1
	v_and_b32_e32 v10, 7, v10
	v_lshrrev_b32_e32 v7, 3, v8
	s_mov_b32 s15, exec_lo
	v_cmpx_gt_u32_e32 8, v8
; %bb.1049:                             ;   in Loop: Header=BB396_611 Depth=1
	s_delay_alu instid0(VALU_DEP_3) | instskip(NEXT) | instid1(VALU_DEP_1)
	v_clz_i32_u32_e32 v7, v10
	v_min_u32_e32 v7, 32, v7
	s_delay_alu instid0(VALU_DEP_1) | instskip(SKIP_1) | instid1(VALU_DEP_2)
	v_subrev_nc_u32_e32 v8, 28, v7
	v_sub_nc_u32_e32 v7, 29, v7
	v_lshlrev_b64 v[112:113], v8, v[10:11]
	s_delay_alu instid0(VALU_DEP_1)
	v_and_b32_e32 v10, 7, v112
; %bb.1050:                             ;   in Loop: Header=BB396_611 Depth=1
	s_or_b32 exec_lo, exec_lo, s15
	v_lshlrev_b32_e32 v8, 16, v2
	s_delay_alu instid0(VALU_DEP_2) | instskip(SKIP_1) | instid1(VALU_DEP_3)
	v_lshlrev_b32_e32 v10, 20, v10
	v_lshl_add_u32 v7, v7, 23, 0x3c000000
	v_and_b32_e32 v8, 0x80000000, v8
	s_delay_alu instid0(VALU_DEP_1)
	v_or3_b32 v7, v10, v8, v7
.LBB396_1051:                           ;   in Loop: Header=BB396_611 Depth=1
	s_or_b32 exec_lo, exec_lo, s13
.LBB396_1052:                           ;   in Loop: Header=BB396_611 Depth=1
	s_delay_alu instid0(SALU_CYCLE_1)
	s_or_b32 exec_lo, exec_lo, s12
.LBB396_1053:                           ;   in Loop: Header=BB396_611 Depth=1
	s_delay_alu instid0(SALU_CYCLE_1) | instskip(NEXT) | instid1(VALU_DEP_1)
	s_or_b32 exec_lo, exec_lo, s10
	v_mul_f32_e32 v7, v26, v7
                                        ; implicit-def: $vgpr112
	s_delay_alu instid0(VALU_DEP_1) | instskip(NEXT) | instid1(VALU_DEP_1)
	v_and_b32_e32 v8, 0x7f800000, v7
	v_cmp_ne_u32_e64 s0, 0x7f800000, v8
	s_delay_alu instid0(VALU_DEP_1) | instskip(NEXT) | instid1(SALU_CYCLE_1)
	s_and_saveexec_b32 s10, s0
	s_xor_b32 s0, exec_lo, s10
; %bb.1054:                             ;   in Loop: Header=BB396_611 Depth=1
	v_bfe_u32 v8, v7, 16, 1
	s_delay_alu instid0(VALU_DEP_1)
	v_add3_u32 v112, v7, v8, 0x7fff
                                        ; implicit-def: $vgpr7
; %bb.1055:                             ;   in Loop: Header=BB396_611 Depth=1
	s_and_not1_saveexec_b32 s10, s0
; %bb.1056:                             ;   in Loop: Header=BB396_611 Depth=1
	v_and_b32_e32 v8, 0xffff, v7
	v_or_b32_e32 v10, 0x10000, v7
	s_delay_alu instid0(VALU_DEP_2) | instskip(NEXT) | instid1(VALU_DEP_1)
	v_cmp_eq_u32_e64 s0, 0, v8
	v_cndmask_b32_e64 v112, v10, v7, s0
; %bb.1057:                             ;   in Loop: Header=BB396_611 Depth=1
	s_or_b32 exec_lo, exec_lo, s10
	v_lshrrev_b32_e32 v7, 16, v2
	v_mov_b32_e32 v8, 0
	s_mov_b32 s10, exec_lo
	s_delay_alu instid0(VALU_DEP_2) | instskip(NEXT) | instid1(VALU_DEP_1)
	v_and_b32_e32 v10, 0xff, v7
	v_cmpx_ne_u16_e32 0, v10
	s_cbranch_execz .LBB396_1065
; %bb.1058:                             ;   in Loop: Header=BB396_611 Depth=1
	v_bfrev_b32_e32 v8, 1
	s_mov_b32 s12, exec_lo
	v_cmpx_ne_u16_e32 0x80, v10
	s_cbranch_execz .LBB396_1064
; %bb.1059:                             ;   in Loop: Header=BB396_611 Depth=1
	v_bfe_u32 v113, v2, 16, 7
	v_mov_b32_e32 v8, 0x7f800001
	s_mov_b32 s13, exec_lo
	s_delay_alu instid0(VALU_DEP_2)
	v_cmpx_ne_u32_e32 0x7f, v113
	s_cbranch_execz .LBB396_1063
; %bb.1060:                             ;   in Loop: Header=BB396_611 Depth=1
	v_and_b32_e32 v10, 7, v7
	v_lshrrev_b32_e32 v8, 3, v113
	s_mov_b32 s15, exec_lo
	v_cmpx_gt_u32_e32 8, v113
; %bb.1061:                             ;   in Loop: Header=BB396_611 Depth=1
	s_delay_alu instid0(VALU_DEP_3) | instskip(NEXT) | instid1(VALU_DEP_1)
	v_clz_i32_u32_e32 v8, v10
	v_min_u32_e32 v8, 32, v8
	s_delay_alu instid0(VALU_DEP_1) | instskip(SKIP_1) | instid1(VALU_DEP_2)
	v_subrev_nc_u32_e32 v113, 28, v8
	v_sub_nc_u32_e32 v8, 29, v8
	v_lshlrev_b64 v[113:114], v113, v[10:11]
	s_delay_alu instid0(VALU_DEP_1)
	v_and_b32_e32 v10, 7, v113
; %bb.1062:                             ;   in Loop: Header=BB396_611 Depth=1
	s_or_b32 exec_lo, exec_lo, s15
	v_lshlrev_b32_e32 v7, 24, v7
	s_delay_alu instid0(VALU_DEP_2) | instskip(SKIP_1) | instid1(VALU_DEP_3)
	v_lshlrev_b32_e32 v10, 20, v10
	v_lshl_add_u32 v8, v8, 23, 0x3c000000
	v_and_b32_e32 v7, 0x80000000, v7
	s_delay_alu instid0(VALU_DEP_1)
	v_or3_b32 v8, v10, v7, v8
.LBB396_1063:                           ;   in Loop: Header=BB396_611 Depth=1
	s_or_b32 exec_lo, exec_lo, s13
.LBB396_1064:                           ;   in Loop: Header=BB396_611 Depth=1
	s_delay_alu instid0(SALU_CYCLE_1)
	s_or_b32 exec_lo, exec_lo, s12
.LBB396_1065:                           ;   in Loop: Header=BB396_611 Depth=1
	s_delay_alu instid0(SALU_CYCLE_1) | instskip(NEXT) | instid1(VALU_DEP_1)
	s_or_b32 exec_lo, exec_lo, s10
	v_mul_f32_e32 v7, v26, v8
                                        ; implicit-def: $vgpr113
	s_delay_alu instid0(VALU_DEP_1) | instskip(NEXT) | instid1(VALU_DEP_1)
	v_and_b32_e32 v8, 0x7f800000, v7
	v_cmp_ne_u32_e64 s0, 0x7f800000, v8
	s_delay_alu instid0(VALU_DEP_1) | instskip(NEXT) | instid1(SALU_CYCLE_1)
	s_and_saveexec_b32 s10, s0
	s_xor_b32 s0, exec_lo, s10
; %bb.1066:                             ;   in Loop: Header=BB396_611 Depth=1
	v_bfe_u32 v8, v7, 16, 1
	s_delay_alu instid0(VALU_DEP_1)
	v_add3_u32 v113, v7, v8, 0x7fff
                                        ; implicit-def: $vgpr7
; %bb.1067:                             ;   in Loop: Header=BB396_611 Depth=1
	s_and_not1_saveexec_b32 s10, s0
; %bb.1068:                             ;   in Loop: Header=BB396_611 Depth=1
	v_and_b32_e32 v8, 0xffff, v7
	v_or_b32_e32 v10, 0x10000, v7
	s_delay_alu instid0(VALU_DEP_2) | instskip(NEXT) | instid1(VALU_DEP_1)
	v_cmp_eq_u32_e64 s0, 0, v8
	v_cndmask_b32_e64 v113, v10, v7, s0
; %bb.1069:                             ;   in Loop: Header=BB396_611 Depth=1
	s_or_b32 exec_lo, exec_lo, s10
	v_mov_b32_e32 v8, 0
	s_mov_b32 s10, exec_lo
	v_cmpx_lt_u32_e32 0xffffff, v2
	s_cbranch_execz .LBB396_1077
; %bb.1070:                             ;   in Loop: Header=BB396_611 Depth=1
	v_lshrrev_b32_e32 v7, 24, v2
	v_bfrev_b32_e32 v8, 1
	s_mov_b32 s12, exec_lo
	s_delay_alu instid0(VALU_DEP_2)
	v_cmpx_ne_u32_e32 0x80, v7
	s_cbranch_execz .LBB396_1076
; %bb.1071:                             ;   in Loop: Header=BB396_611 Depth=1
	v_bfe_u32 v114, v2, 24, 7
	v_mov_b32_e32 v8, 0x7f800001
	s_mov_b32 s13, exec_lo
	s_delay_alu instid0(VALU_DEP_2)
	v_cmpx_ne_u32_e32 0x7f, v114
	s_cbranch_execz .LBB396_1075
; %bb.1072:                             ;   in Loop: Header=BB396_611 Depth=1
	v_and_b32_e32 v10, 7, v7
	v_lshrrev_b32_e32 v8, 3, v114
	s_mov_b32 s15, exec_lo
	v_cmpx_gt_u32_e32 8, v114
; %bb.1073:                             ;   in Loop: Header=BB396_611 Depth=1
	s_delay_alu instid0(VALU_DEP_3) | instskip(NEXT) | instid1(VALU_DEP_1)
	v_clz_i32_u32_e32 v8, v10
	v_min_u32_e32 v8, 32, v8
	s_delay_alu instid0(VALU_DEP_1) | instskip(SKIP_1) | instid1(VALU_DEP_2)
	v_subrev_nc_u32_e32 v114, 28, v8
	v_sub_nc_u32_e32 v8, 29, v8
	v_lshlrev_b64 v[114:115], v114, v[10:11]
	s_delay_alu instid0(VALU_DEP_1)
	v_and_b32_e32 v10, 7, v114
; %bb.1074:                             ;   in Loop: Header=BB396_611 Depth=1
	s_or_b32 exec_lo, exec_lo, s15
	v_lshlrev_b32_e32 v7, 24, v7
	s_delay_alu instid0(VALU_DEP_2) | instskip(SKIP_1) | instid1(VALU_DEP_3)
	v_lshlrev_b32_e32 v10, 20, v10
	v_lshl_add_u32 v8, v8, 23, 0x3c000000
	v_and_b32_e32 v7, 0x80000000, v7
	s_delay_alu instid0(VALU_DEP_1)
	v_or3_b32 v8, v10, v7, v8
.LBB396_1075:                           ;   in Loop: Header=BB396_611 Depth=1
	s_or_b32 exec_lo, exec_lo, s13
.LBB396_1076:                           ;   in Loop: Header=BB396_611 Depth=1
	s_delay_alu instid0(SALU_CYCLE_1)
	s_or_b32 exec_lo, exec_lo, s12
.LBB396_1077:                           ;   in Loop: Header=BB396_611 Depth=1
	s_delay_alu instid0(SALU_CYCLE_1) | instskip(NEXT) | instid1(VALU_DEP_1)
	s_or_b32 exec_lo, exec_lo, s10
	v_mul_f32_e32 v7, v26, v8
                                        ; implicit-def: $vgpr114
	s_delay_alu instid0(VALU_DEP_1) | instskip(NEXT) | instid1(VALU_DEP_1)
	v_and_b32_e32 v8, 0x7f800000, v7
	v_cmp_ne_u32_e64 s0, 0x7f800000, v8
	s_delay_alu instid0(VALU_DEP_1) | instskip(NEXT) | instid1(SALU_CYCLE_1)
	s_and_saveexec_b32 s10, s0
	s_xor_b32 s0, exec_lo, s10
; %bb.1078:                             ;   in Loop: Header=BB396_611 Depth=1
	v_bfe_u32 v8, v7, 16, 1
	s_delay_alu instid0(VALU_DEP_1)
	v_add3_u32 v114, v7, v8, 0x7fff
                                        ; implicit-def: $vgpr7
; %bb.1079:                             ;   in Loop: Header=BB396_611 Depth=1
	s_and_not1_saveexec_b32 s10, s0
; %bb.1080:                             ;   in Loop: Header=BB396_611 Depth=1
	v_and_b32_e32 v8, 0xffff, v7
	v_or_b32_e32 v10, 0x10000, v7
	s_delay_alu instid0(VALU_DEP_2) | instskip(NEXT) | instid1(VALU_DEP_1)
	v_cmp_eq_u32_e64 s0, 0, v8
	v_cndmask_b32_e64 v114, v10, v7, s0
; %bb.1081:                             ;   in Loop: Header=BB396_611 Depth=1
	s_or_b32 exec_lo, exec_lo, s10
	v_dual_mov_b32 v7, 0 :: v_dual_and_b32 v8, 0xff, v3
	v_mov_b32_e32 v10, v3
	s_mov_b32 s10, exec_lo
	s_delay_alu instid0(VALU_DEP_2)
	v_cmpx_ne_u16_e32 0, v8
	s_cbranch_execz .LBB396_1089
; %bb.1082:                             ;   in Loop: Header=BB396_611 Depth=1
	v_bfrev_b32_e32 v7, 1
	s_mov_b32 s12, exec_lo
	v_cmpx_ne_u16_e32 0x80, v8
	s_cbranch_execz .LBB396_1088
; %bb.1083:                             ;   in Loop: Header=BB396_611 Depth=1
	v_and_b32_e32 v8, 0x7f, v3
	v_mov_b32_e32 v7, 0x7f800001
	s_mov_b32 s13, exec_lo
	s_delay_alu instid0(VALU_DEP_2)
	v_cmpx_ne_u32_e32 0x7f, v8
	s_cbranch_execz .LBB396_1087
; %bb.1084:                             ;   in Loop: Header=BB396_611 Depth=1
	v_lshrrev_b32_e32 v115, 3, v8
	v_cmp_gt_u32_e64 s0, 8, v8
	v_dual_mov_b32 v7, v10 :: v_dual_mov_b32 v8, v11
	s_delay_alu instid0(VALU_DEP_2)
	s_and_saveexec_b32 s15, s0
; %bb.1085:                             ;   in Loop: Header=BB396_611 Depth=1
	v_and_b32_e32 v7, 7, v3
	s_delay_alu instid0(VALU_DEP_1) | instskip(NEXT) | instid1(VALU_DEP_1)
	v_clz_i32_u32_e32 v7, v7
	v_min_u32_e32 v115, 32, v7
	s_delay_alu instid0(VALU_DEP_1) | instskip(SKIP_1) | instid1(VALU_DEP_2)
	v_subrev_nc_u32_e32 v7, 28, v115
	v_sub_nc_u32_e32 v115, 29, v115
	v_lshlrev_b64 v[7:8], v7, v[10:11]
; %bb.1086:                             ;   in Loop: Header=BB396_611 Depth=1
	s_or_b32 exec_lo, exec_lo, s15
	s_delay_alu instid0(VALU_DEP_1) | instskip(SKIP_2) | instid1(VALU_DEP_3)
	v_lshlrev_b32_e32 v7, 20, v7
	v_lshlrev_b32_e32 v8, 24, v10
	v_lshl_add_u32 v115, v115, 23, 0x3c000000
	v_and_b32_e32 v7, 0x700000, v7
	s_delay_alu instid0(VALU_DEP_3) | instskip(NEXT) | instid1(VALU_DEP_1)
	v_and_b32_e32 v8, 0x80000000, v8
	v_or3_b32 v7, v7, v8, v115
.LBB396_1087:                           ;   in Loop: Header=BB396_611 Depth=1
	s_or_b32 exec_lo, exec_lo, s13
.LBB396_1088:                           ;   in Loop: Header=BB396_611 Depth=1
	s_delay_alu instid0(SALU_CYCLE_1)
	s_or_b32 exec_lo, exec_lo, s12
.LBB396_1089:                           ;   in Loop: Header=BB396_611 Depth=1
	s_delay_alu instid0(SALU_CYCLE_1) | instskip(NEXT) | instid1(VALU_DEP_1)
	s_or_b32 exec_lo, exec_lo, s10
	v_mul_f32_e32 v7, v26, v7
                                        ; implicit-def: $vgpr115
	s_delay_alu instid0(VALU_DEP_1) | instskip(NEXT) | instid1(VALU_DEP_1)
	v_and_b32_e32 v8, 0x7f800000, v7
	v_cmp_ne_u32_e64 s0, 0x7f800000, v8
	s_delay_alu instid0(VALU_DEP_1) | instskip(NEXT) | instid1(SALU_CYCLE_1)
	s_and_saveexec_b32 s10, s0
	s_xor_b32 s0, exec_lo, s10
; %bb.1090:                             ;   in Loop: Header=BB396_611 Depth=1
	v_bfe_u32 v8, v7, 16, 1
	s_delay_alu instid0(VALU_DEP_1)
	v_add3_u32 v115, v7, v8, 0x7fff
                                        ; implicit-def: $vgpr7
; %bb.1091:                             ;   in Loop: Header=BB396_611 Depth=1
	s_and_not1_saveexec_b32 s10, s0
; %bb.1092:                             ;   in Loop: Header=BB396_611 Depth=1
	v_and_b32_e32 v8, 0xffff, v7
	v_or_b32_e32 v115, 0x10000, v7
	s_delay_alu instid0(VALU_DEP_2) | instskip(NEXT) | instid1(VALU_DEP_1)
	v_cmp_eq_u32_e64 s0, 0, v8
	v_cndmask_b32_e64 v115, v115, v7, s0
; %bb.1093:                             ;   in Loop: Header=BB396_611 Depth=1
	s_or_b32 exec_lo, exec_lo, s10
	v_lshrrev_b16 v8, 8, v10
	v_mov_b32_e32 v7, 0
	s_mov_b32 s10, exec_lo
	s_delay_alu instid0(VALU_DEP_2)
	v_cmpx_ne_u16_e32 0, v8
	s_cbranch_execz .LBB396_1101
; %bb.1094:                             ;   in Loop: Header=BB396_611 Depth=1
	v_bfrev_b32_e32 v7, 1
	s_mov_b32 s12, exec_lo
	v_cmpx_ne_u16_e32 0x80, v8
	s_cbranch_execz .LBB396_1100
; %bb.1095:                             ;   in Loop: Header=BB396_611 Depth=1
	v_and_b32_e32 v8, 0xffff, v8
	v_mov_b32_e32 v7, 0x7f800001
	s_mov_b32 s13, exec_lo
	s_delay_alu instid0(VALU_DEP_2) | instskip(NEXT) | instid1(VALU_DEP_1)
	v_and_b32_e32 v117, 0x7f, v8
	v_cmpx_ne_u32_e32 0x7f, v117
	s_cbranch_execz .LBB396_1099
; %bb.1096:                             ;   in Loop: Header=BB396_611 Depth=1
	v_dual_mov_b32 v8, v11 :: v_dual_and_b32 v7, 7, v8
	v_lshrrev_b32_e32 v116, 3, v117
	s_mov_b32 s15, exec_lo
	v_cmpx_gt_u32_e32 8, v117
; %bb.1097:                             ;   in Loop: Header=BB396_611 Depth=1
	s_delay_alu instid0(VALU_DEP_3) | instskip(NEXT) | instid1(VALU_DEP_1)
	v_clz_i32_u32_e32 v116, v7
	v_min_u32_e32 v116, 32, v116
	s_delay_alu instid0(VALU_DEP_1) | instskip(SKIP_1) | instid1(VALU_DEP_2)
	v_subrev_nc_u32_e32 v117, 28, v116
	v_sub_nc_u32_e32 v116, 29, v116
	v_lshlrev_b64 v[7:8], v117, v[7:8]
	s_delay_alu instid0(VALU_DEP_1)
	v_and_b32_e32 v7, 7, v7
; %bb.1098:                             ;   in Loop: Header=BB396_611 Depth=1
	s_or_b32 exec_lo, exec_lo, s15
	v_lshlrev_b32_e32 v8, 16, v10
	s_delay_alu instid0(VALU_DEP_2) | instskip(SKIP_1) | instid1(VALU_DEP_3)
	v_lshlrev_b32_e32 v7, 20, v7
	v_lshl_add_u32 v10, v116, 23, 0x3c000000
	v_and_b32_e32 v8, 0x80000000, v8
	s_delay_alu instid0(VALU_DEP_1)
	v_or3_b32 v7, v7, v8, v10
.LBB396_1099:                           ;   in Loop: Header=BB396_611 Depth=1
	s_or_b32 exec_lo, exec_lo, s13
.LBB396_1100:                           ;   in Loop: Header=BB396_611 Depth=1
	s_delay_alu instid0(SALU_CYCLE_1)
	s_or_b32 exec_lo, exec_lo, s12
.LBB396_1101:                           ;   in Loop: Header=BB396_611 Depth=1
	s_delay_alu instid0(SALU_CYCLE_1) | instskip(NEXT) | instid1(VALU_DEP_1)
	s_or_b32 exec_lo, exec_lo, s10
	v_mul_f32_e32 v8, v26, v7
	s_delay_alu instid0(VALU_DEP_1) | instskip(NEXT) | instid1(VALU_DEP_1)
	v_and_b32_e32 v7, 0x7f800000, v8
	v_cmp_ne_u32_e64 s0, 0x7f800000, v7
                                        ; implicit-def: $vgpr7
	s_delay_alu instid0(VALU_DEP_1) | instskip(NEXT) | instid1(SALU_CYCLE_1)
	s_and_saveexec_b32 s10, s0
	s_xor_b32 s0, exec_lo, s10
; %bb.1102:                             ;   in Loop: Header=BB396_611 Depth=1
	v_bfe_u32 v7, v8, 16, 1
	s_delay_alu instid0(VALU_DEP_1)
	v_add3_u32 v7, v8, v7, 0x7fff
                                        ; implicit-def: $vgpr8
; %bb.1103:                             ;   in Loop: Header=BB396_611 Depth=1
	s_and_not1_saveexec_b32 s10, s0
; %bb.1104:                             ;   in Loop: Header=BB396_611 Depth=1
	v_and_b32_e32 v7, 0xffff, v8
	v_or_b32_e32 v10, 0x10000, v8
	s_delay_alu instid0(VALU_DEP_2) | instskip(NEXT) | instid1(VALU_DEP_1)
	v_cmp_eq_u32_e64 s0, 0, v7
	v_cndmask_b32_e64 v7, v10, v8, s0
; %bb.1105:                             ;   in Loop: Header=BB396_611 Depth=1
	s_or_b32 exec_lo, exec_lo, s10
	v_lshrrev_b32_e32 v8, 16, v3
	v_mov_b32_e32 v10, 0
	s_mov_b32 s10, exec_lo
	s_delay_alu instid0(VALU_DEP_2) | instskip(NEXT) | instid1(VALU_DEP_1)
	v_and_b32_e32 v116, 0xff, v8
	v_cmpx_ne_u16_e32 0, v116
	s_cbranch_execz .LBB396_1113
; %bb.1106:                             ;   in Loop: Header=BB396_611 Depth=1
	v_bfrev_b32_e32 v10, 1
	s_mov_b32 s12, exec_lo
	v_cmpx_ne_u16_e32 0x80, v116
	s_cbranch_execz .LBB396_1112
; %bb.1107:                             ;   in Loop: Header=BB396_611 Depth=1
	v_bfe_u32 v117, v3, 16, 7
	v_mov_b32_e32 v10, 0x7f800001
	s_mov_b32 s13, exec_lo
	s_delay_alu instid0(VALU_DEP_2)
	v_cmpx_ne_u32_e32 0x7f, v117
	s_cbranch_execz .LBB396_1111
; %bb.1108:                             ;   in Loop: Header=BB396_611 Depth=1
	v_and_b32_e32 v10, 7, v8
	v_lshrrev_b32_e32 v116, 3, v117
	s_mov_b32 s15, exec_lo
	v_cmpx_gt_u32_e32 8, v117
; %bb.1109:                             ;   in Loop: Header=BB396_611 Depth=1
	s_delay_alu instid0(VALU_DEP_3) | instskip(NEXT) | instid1(VALU_DEP_1)
	v_clz_i32_u32_e32 v116, v10
	v_min_u32_e32 v116, 32, v116
	s_delay_alu instid0(VALU_DEP_1) | instskip(SKIP_1) | instid1(VALU_DEP_2)
	v_subrev_nc_u32_e32 v117, 28, v116
	v_sub_nc_u32_e32 v116, 29, v116
	v_lshlrev_b64 v[117:118], v117, v[10:11]
	s_delay_alu instid0(VALU_DEP_1)
	v_and_b32_e32 v10, 7, v117
; %bb.1110:                             ;   in Loop: Header=BB396_611 Depth=1
	s_or_b32 exec_lo, exec_lo, s15
	v_lshlrev_b32_e32 v8, 24, v8
	s_delay_alu instid0(VALU_DEP_2) | instskip(SKIP_1) | instid1(VALU_DEP_3)
	v_lshlrev_b32_e32 v10, 20, v10
	v_lshl_add_u32 v116, v116, 23, 0x3c000000
	v_and_b32_e32 v8, 0x80000000, v8
	s_delay_alu instid0(VALU_DEP_1)
	v_or3_b32 v10, v10, v8, v116
.LBB396_1111:                           ;   in Loop: Header=BB396_611 Depth=1
	s_or_b32 exec_lo, exec_lo, s13
.LBB396_1112:                           ;   in Loop: Header=BB396_611 Depth=1
	s_delay_alu instid0(SALU_CYCLE_1)
	s_or_b32 exec_lo, exec_lo, s12
.LBB396_1113:                           ;   in Loop: Header=BB396_611 Depth=1
	s_delay_alu instid0(SALU_CYCLE_1) | instskip(NEXT) | instid1(VALU_DEP_1)
	s_or_b32 exec_lo, exec_lo, s10
	v_mul_f32_e32 v8, v26, v10
                                        ; implicit-def: $vgpr116
	s_delay_alu instid0(VALU_DEP_1) | instskip(NEXT) | instid1(VALU_DEP_1)
	v_and_b32_e32 v10, 0x7f800000, v8
	v_cmp_ne_u32_e64 s0, 0x7f800000, v10
	s_delay_alu instid0(VALU_DEP_1) | instskip(NEXT) | instid1(SALU_CYCLE_1)
	s_and_saveexec_b32 s10, s0
	s_xor_b32 s0, exec_lo, s10
; %bb.1114:                             ;   in Loop: Header=BB396_611 Depth=1
	v_bfe_u32 v10, v8, 16, 1
	s_delay_alu instid0(VALU_DEP_1)
	v_add3_u32 v116, v8, v10, 0x7fff
                                        ; implicit-def: $vgpr8
; %bb.1115:                             ;   in Loop: Header=BB396_611 Depth=1
	s_and_not1_saveexec_b32 s10, s0
; %bb.1116:                             ;   in Loop: Header=BB396_611 Depth=1
	v_and_b32_e32 v10, 0xffff, v8
	v_or_b32_e32 v116, 0x10000, v8
	s_delay_alu instid0(VALU_DEP_2) | instskip(NEXT) | instid1(VALU_DEP_1)
	v_cmp_eq_u32_e64 s0, 0, v10
	v_cndmask_b32_e64 v116, v116, v8, s0
; %bb.1117:                             ;   in Loop: Header=BB396_611 Depth=1
	s_or_b32 exec_lo, exec_lo, s10
	v_mov_b32_e32 v8, 0
	s_mov_b32 s10, exec_lo
	v_cmpx_lt_u64_e64 s[8:9], v[2:3]
	s_cbranch_execz .LBB396_1125
; %bb.1118:                             ;   in Loop: Header=BB396_611 Depth=1
	v_lshrrev_b32_e32 v2, 24, v3
	v_bfrev_b32_e32 v8, 1
	s_mov_b32 s12, exec_lo
	s_delay_alu instid0(VALU_DEP_2)
	v_cmpx_ne_u32_e32 0x80, v2
	s_cbranch_execz .LBB396_1124
; %bb.1119:                             ;   in Loop: Header=BB396_611 Depth=1
	v_bfe_u32 v117, v3, 24, 7
	v_mov_b32_e32 v8, 0x7f800001
	s_mov_b32 s13, exec_lo
	s_delay_alu instid0(VALU_DEP_2)
	v_cmpx_ne_u32_e32 0x7f, v117
	s_cbranch_execz .LBB396_1123
; %bb.1120:                             ;   in Loop: Header=BB396_611 Depth=1
	v_and_b32_e32 v10, 7, v2
	v_lshrrev_b32_e32 v3, 3, v117
	s_mov_b32 s15, exec_lo
	v_cmpx_gt_u32_e32 8, v117
; %bb.1121:                             ;   in Loop: Header=BB396_611 Depth=1
	s_delay_alu instid0(VALU_DEP_3) | instskip(NEXT) | instid1(VALU_DEP_1)
	v_clz_i32_u32_e32 v3, v10
	v_min_u32_e32 v3, 32, v3
	s_delay_alu instid0(VALU_DEP_1) | instskip(SKIP_1) | instid1(VALU_DEP_2)
	v_subrev_nc_u32_e32 v8, 28, v3
	v_sub_nc_u32_e32 v3, 29, v3
	v_lshlrev_b64 v[117:118], v8, v[10:11]
	s_delay_alu instid0(VALU_DEP_1)
	v_and_b32_e32 v10, 7, v117
; %bb.1122:                             ;   in Loop: Header=BB396_611 Depth=1
	s_or_b32 exec_lo, exec_lo, s15
	v_lshlrev_b32_e32 v2, 24, v2
	s_delay_alu instid0(VALU_DEP_2) | instskip(SKIP_1) | instid1(VALU_DEP_3)
	v_lshlrev_b32_e32 v8, 20, v10
	v_lshl_add_u32 v3, v3, 23, 0x3c000000
	v_and_b32_e32 v2, 0x80000000, v2
	s_delay_alu instid0(VALU_DEP_1)
	v_or3_b32 v8, v8, v2, v3
.LBB396_1123:                           ;   in Loop: Header=BB396_611 Depth=1
	s_or_b32 exec_lo, exec_lo, s13
.LBB396_1124:                           ;   in Loop: Header=BB396_611 Depth=1
	s_delay_alu instid0(SALU_CYCLE_1)
	s_or_b32 exec_lo, exec_lo, s12
.LBB396_1125:                           ;   in Loop: Header=BB396_611 Depth=1
	s_delay_alu instid0(SALU_CYCLE_1) | instskip(NEXT) | instid1(VALU_DEP_1)
	s_or_b32 exec_lo, exec_lo, s10
	v_mul_f32_e32 v3, v26, v8
	s_delay_alu instid0(VALU_DEP_1) | instskip(NEXT) | instid1(VALU_DEP_1)
	v_and_b32_e32 v2, 0x7f800000, v3
	v_cmp_ne_u32_e64 s0, 0x7f800000, v2
                                        ; implicit-def: $vgpr2
	s_delay_alu instid0(VALU_DEP_1) | instskip(NEXT) | instid1(SALU_CYCLE_1)
	s_and_saveexec_b32 s10, s0
	s_xor_b32 s0, exec_lo, s10
; %bb.1126:                             ;   in Loop: Header=BB396_611 Depth=1
	v_bfe_u32 v2, v3, 16, 1
	s_delay_alu instid0(VALU_DEP_1)
	v_add3_u32 v2, v3, v2, 0x7fff
                                        ; implicit-def: $vgpr3
; %bb.1127:                             ;   in Loop: Header=BB396_611 Depth=1
	s_and_not1_saveexec_b32 s10, s0
; %bb.1128:                             ;   in Loop: Header=BB396_611 Depth=1
	v_and_b32_e32 v2, 0xffff, v3
	v_or_b32_e32 v8, 0x10000, v3
	s_delay_alu instid0(VALU_DEP_2) | instskip(NEXT) | instid1(VALU_DEP_1)
	v_cmp_eq_u32_e64 s0, 0, v2
	v_cndmask_b32_e64 v2, v8, v3, s0
; %bb.1129:                             ;   in Loop: Header=BB396_611 Depth=1
	s_or_b32 exec_lo, exec_lo, s10
	v_lshrrev_b32_e32 v7, 16, v7
	v_lshrrev_b32_e32 v8, 16, v115
	;; [unrolled: 1-line block ×8, first 2 shown]
	s_and_saveexec_b32 s10, vcc_lo
	s_cbranch_execz .LBB396_1131
; %bb.1130:                             ;   in Loop: Header=BB396_611 Depth=1
	v_cmp_lt_i32_e64 s0, v48, v32
	s_delay_alu instid0(VALU_DEP_1) | instskip(SKIP_1) | instid1(VALU_DEP_1)
	v_cndmask_b32_e64 v103, 0, v103, s0
	v_cmp_lt_i32_e64 s0, v54, v32
	v_cndmask_b32_e64 v112, 0, v112, s0
	v_cmp_lt_i32_e64 s0, v53, v32
	s_delay_alu instid0(VALU_DEP_1) | instskip(SKIP_1) | instid1(VALU_DEP_1)
	v_cndmask_b32_e64 v113, 0, v113, s0
	v_cmp_lt_i32_e64 s0, v52, v32
	v_cndmask_b32_e64 v10, 0, v10, s0
	;; [unrolled: 5-line block ×4, first 2 shown]
.LBB396_1131:                           ;   in Loop: Header=BB396_611 Depth=1
	s_or_b32 exec_lo, exec_lo, s10
	v_lshlrev_b32_e32 v103, 16, v103
	s_delay_alu instid0(VALU_DEP_1) | instskip(NEXT) | instid1(VALU_DEP_1)
	v_mul_f32_e32 v114, v55, v103
	v_and_b32_e32 v103, 0x7f800000, v114
	s_delay_alu instid0(VALU_DEP_1) | instskip(NEXT) | instid1(VALU_DEP_1)
	v_cmp_ne_u32_e64 s0, 0x7f800000, v103
                                        ; implicit-def: $vgpr103
	s_and_saveexec_b32 s10, s0
	s_delay_alu instid0(SALU_CYCLE_1)
	s_xor_b32 s0, exec_lo, s10
; %bb.1132:                             ;   in Loop: Header=BB396_611 Depth=1
	v_bfe_u32 v103, v114, 16, 1
	s_delay_alu instid0(VALU_DEP_1)
	v_add3_u32 v103, v114, v103, 0x7fff
                                        ; implicit-def: $vgpr114
; %bb.1133:                             ;   in Loop: Header=BB396_611 Depth=1
	s_and_not1_saveexec_b32 s10, s0
; %bb.1134:                             ;   in Loop: Header=BB396_611 Depth=1
	v_and_b32_e32 v103, 0xffff, v114
	v_or_b32_e32 v115, 0x10000, v114
	s_delay_alu instid0(VALU_DEP_2) | instskip(NEXT) | instid1(VALU_DEP_1)
	v_cmp_eq_u32_e64 s0, 0, v103
	v_cndmask_b32_e64 v103, v115, v114, s0
; %bb.1135:                             ;   in Loop: Header=BB396_611 Depth=1
	s_or_b32 exec_lo, exec_lo, s10
	v_lshlrev_b32_e32 v112, 16, v112
	s_delay_alu instid0(VALU_DEP_1) | instskip(NEXT) | instid1(VALU_DEP_1)
	v_mul_f32_e32 v114, v64, v112
	v_and_b32_e32 v112, 0x7f800000, v114
	s_delay_alu instid0(VALU_DEP_1) | instskip(NEXT) | instid1(VALU_DEP_1)
	v_cmp_ne_u32_e64 s0, 0x7f800000, v112
                                        ; implicit-def: $vgpr112
	s_and_saveexec_b32 s10, s0
	s_delay_alu instid0(SALU_CYCLE_1)
	s_xor_b32 s0, exec_lo, s10
; %bb.1136:                             ;   in Loop: Header=BB396_611 Depth=1
	v_bfe_u32 v112, v114, 16, 1
	s_delay_alu instid0(VALU_DEP_1)
	v_add3_u32 v112, v114, v112, 0x7fff
                                        ; implicit-def: $vgpr114
; %bb.1137:                             ;   in Loop: Header=BB396_611 Depth=1
	s_and_not1_saveexec_b32 s10, s0
; %bb.1138:                             ;   in Loop: Header=BB396_611 Depth=1
	v_and_b32_e32 v112, 0xffff, v114
	v_or_b32_e32 v115, 0x10000, v114
	s_delay_alu instid0(VALU_DEP_2) | instskip(NEXT) | instid1(VALU_DEP_1)
	v_cmp_eq_u32_e64 s0, 0, v112
	v_cndmask_b32_e64 v112, v115, v114, s0
; %bb.1139:                             ;   in Loop: Header=BB396_611 Depth=1
	s_or_b32 exec_lo, exec_lo, s10
	v_lshlrev_b32_e32 v113, 16, v113
	s_delay_alu instid0(VALU_DEP_1) | instskip(NEXT) | instid1(VALU_DEP_1)
	v_mul_f32_e32 v114, v65, v113
	v_and_b32_e32 v113, 0x7f800000, v114
	s_delay_alu instid0(VALU_DEP_1) | instskip(NEXT) | instid1(VALU_DEP_1)
	v_cmp_ne_u32_e64 s0, 0x7f800000, v113
                                        ; implicit-def: $vgpr113
	s_and_saveexec_b32 s10, s0
	s_delay_alu instid0(SALU_CYCLE_1)
	s_xor_b32 s0, exec_lo, s10
; %bb.1140:                             ;   in Loop: Header=BB396_611 Depth=1
	v_bfe_u32 v113, v114, 16, 1
	s_delay_alu instid0(VALU_DEP_1)
	v_add3_u32 v113, v114, v113, 0x7fff
                                        ; implicit-def: $vgpr114
; %bb.1141:                             ;   in Loop: Header=BB396_611 Depth=1
	s_and_not1_saveexec_b32 s10, s0
; %bb.1142:                             ;   in Loop: Header=BB396_611 Depth=1
	v_and_b32_e32 v113, 0xffff, v114
	v_or_b32_e32 v115, 0x10000, v114
	s_delay_alu instid0(VALU_DEP_2) | instskip(NEXT) | instid1(VALU_DEP_1)
	v_cmp_eq_u32_e64 s0, 0, v113
	v_cndmask_b32_e64 v113, v115, v114, s0
; %bb.1143:                             ;   in Loop: Header=BB396_611 Depth=1
	s_or_b32 exec_lo, exec_lo, s10
	v_lshlrev_b32_e32 v10, 16, v10
	s_delay_alu instid0(VALU_DEP_1) | instskip(NEXT) | instid1(VALU_DEP_1)
	v_mul_f32_e32 v10, v66, v10
	v_and_b32_e32 v114, 0x7f800000, v10
	s_delay_alu instid0(VALU_DEP_1) | instskip(NEXT) | instid1(VALU_DEP_1)
	v_cmp_ne_u32_e64 s0, 0x7f800000, v114
                                        ; implicit-def: $vgpr114
	s_and_saveexec_b32 s10, s0
	s_delay_alu instid0(SALU_CYCLE_1)
	s_xor_b32 s0, exec_lo, s10
; %bb.1144:                             ;   in Loop: Header=BB396_611 Depth=1
	v_bfe_u32 v114, v10, 16, 1
	s_delay_alu instid0(VALU_DEP_1)
	v_add3_u32 v114, v10, v114, 0x7fff
                                        ; implicit-def: $vgpr10
; %bb.1145:                             ;   in Loop: Header=BB396_611 Depth=1
	s_and_not1_saveexec_b32 s10, s0
; %bb.1146:                             ;   in Loop: Header=BB396_611 Depth=1
	v_and_b32_e32 v114, 0xffff, v10
	v_or_b32_e32 v115, 0x10000, v10
	s_delay_alu instid0(VALU_DEP_2) | instskip(NEXT) | instid1(VALU_DEP_1)
	v_cmp_eq_u32_e64 s0, 0, v114
	v_cndmask_b32_e64 v114, v115, v10, s0
; %bb.1147:                             ;   in Loop: Header=BB396_611 Depth=1
	s_or_b32 exec_lo, exec_lo, s10
	v_lshlrev_b32_e32 v8, 16, v8
                                        ; implicit-def: $vgpr115
	s_delay_alu instid0(VALU_DEP_1) | instskip(NEXT) | instid1(VALU_DEP_1)
	v_mul_f32_e32 v8, v67, v8
	v_and_b32_e32 v10, 0x7f800000, v8
	s_delay_alu instid0(VALU_DEP_1) | instskip(NEXT) | instid1(VALU_DEP_1)
	v_cmp_ne_u32_e64 s0, 0x7f800000, v10
	s_and_saveexec_b32 s10, s0
	s_delay_alu instid0(SALU_CYCLE_1)
	s_xor_b32 s0, exec_lo, s10
; %bb.1148:                             ;   in Loop: Header=BB396_611 Depth=1
	v_bfe_u32 v10, v8, 16, 1
	s_delay_alu instid0(VALU_DEP_1)
	v_add3_u32 v115, v8, v10, 0x7fff
                                        ; implicit-def: $vgpr8
; %bb.1149:                             ;   in Loop: Header=BB396_611 Depth=1
	s_and_not1_saveexec_b32 s10, s0
; %bb.1150:                             ;   in Loop: Header=BB396_611 Depth=1
	v_and_b32_e32 v10, 0xffff, v8
	v_or_b32_e32 v115, 0x10000, v8
	s_delay_alu instid0(VALU_DEP_2) | instskip(NEXT) | instid1(VALU_DEP_1)
	v_cmp_eq_u32_e64 s0, 0, v10
	v_cndmask_b32_e64 v115, v115, v8, s0
; %bb.1151:                             ;   in Loop: Header=BB396_611 Depth=1
	s_or_b32 exec_lo, exec_lo, s10
	v_lshlrev_b32_e32 v7, 16, v7
                                        ; implicit-def: $vgpr116
	s_delay_alu instid0(VALU_DEP_1) | instskip(NEXT) | instid1(VALU_DEP_1)
	v_mul_f32_e32 v7, v68, v7
	v_and_b32_e32 v8, 0x7f800000, v7
	s_delay_alu instid0(VALU_DEP_1) | instskip(NEXT) | instid1(VALU_DEP_1)
	v_cmp_ne_u32_e64 s0, 0x7f800000, v8
	s_and_saveexec_b32 s10, s0
	s_delay_alu instid0(SALU_CYCLE_1)
	s_xor_b32 s0, exec_lo, s10
; %bb.1152:                             ;   in Loop: Header=BB396_611 Depth=1
	v_bfe_u32 v8, v7, 16, 1
	s_delay_alu instid0(VALU_DEP_1)
	v_add3_u32 v116, v7, v8, 0x7fff
                                        ; implicit-def: $vgpr7
; %bb.1153:                             ;   in Loop: Header=BB396_611 Depth=1
	s_and_not1_saveexec_b32 s10, s0
; %bb.1154:                             ;   in Loop: Header=BB396_611 Depth=1
	v_and_b32_e32 v8, 0xffff, v7
	v_or_b32_e32 v10, 0x10000, v7
	s_delay_alu instid0(VALU_DEP_2) | instskip(NEXT) | instid1(VALU_DEP_1)
	v_cmp_eq_u32_e64 s0, 0, v8
	v_cndmask_b32_e64 v116, v10, v7, s0
; %bb.1155:                             ;   in Loop: Header=BB396_611 Depth=1
	s_or_b32 exec_lo, exec_lo, s10
	v_lshlrev_b32_e32 v3, 16, v3
                                        ; implicit-def: $vgpr117
	s_delay_alu instid0(VALU_DEP_1) | instskip(NEXT) | instid1(VALU_DEP_1)
	v_mul_f32_e32 v3, v69, v3
	v_and_b32_e32 v7, 0x7f800000, v3
	s_delay_alu instid0(VALU_DEP_1) | instskip(NEXT) | instid1(VALU_DEP_1)
	v_cmp_ne_u32_e64 s0, 0x7f800000, v7
	s_and_saveexec_b32 s10, s0
	s_delay_alu instid0(SALU_CYCLE_1)
	s_xor_b32 s0, exec_lo, s10
; %bb.1156:                             ;   in Loop: Header=BB396_611 Depth=1
	v_bfe_u32 v7, v3, 16, 1
	s_delay_alu instid0(VALU_DEP_1)
	v_add3_u32 v117, v3, v7, 0x7fff
                                        ; implicit-def: $vgpr3
; %bb.1157:                             ;   in Loop: Header=BB396_611 Depth=1
	s_and_not1_saveexec_b32 s10, s0
; %bb.1158:                             ;   in Loop: Header=BB396_611 Depth=1
	v_and_b32_e32 v7, 0xffff, v3
	v_or_b32_e32 v8, 0x10000, v3
	s_delay_alu instid0(VALU_DEP_2) | instskip(NEXT) | instid1(VALU_DEP_1)
	v_cmp_eq_u32_e64 s0, 0, v7
	v_cndmask_b32_e64 v117, v8, v3, s0
; %bb.1159:                             ;   in Loop: Header=BB396_611 Depth=1
	s_or_b32 exec_lo, exec_lo, s10
	v_lshlrev_b32_e32 v2, 16, v2
                                        ; implicit-def: $vgpr118
	s_delay_alu instid0(VALU_DEP_1) | instskip(NEXT) | instid1(VALU_DEP_1)
	v_mul_f32_e32 v2, v70, v2
	v_and_b32_e32 v3, 0x7f800000, v2
	s_delay_alu instid0(VALU_DEP_1) | instskip(NEXT) | instid1(VALU_DEP_1)
	v_cmp_ne_u32_e64 s0, 0x7f800000, v3
	s_and_saveexec_b32 s10, s0
	s_delay_alu instid0(SALU_CYCLE_1)
	s_xor_b32 s0, exec_lo, s10
; %bb.1160:                             ;   in Loop: Header=BB396_611 Depth=1
	v_bfe_u32 v3, v2, 16, 1
	s_delay_alu instid0(VALU_DEP_1)
	v_add3_u32 v118, v2, v3, 0x7fff
                                        ; implicit-def: $vgpr2
; %bb.1161:                             ;   in Loop: Header=BB396_611 Depth=1
	s_and_not1_saveexec_b32 s10, s0
; %bb.1162:                             ;   in Loop: Header=BB396_611 Depth=1
	v_and_b32_e32 v3, 0xffff, v2
	v_or_b32_e32 v7, 0x10000, v2
	s_delay_alu instid0(VALU_DEP_2) | instskip(NEXT) | instid1(VALU_DEP_1)
	v_cmp_eq_u32_e64 s0, 0, v3
	v_cndmask_b32_e64 v118, v7, v2, s0
; %bb.1163:                             ;   in Loop: Header=BB396_611 Depth=1
	s_or_b32 exec_lo, exec_lo, s10
	flat_load_b64 v[2:3], v[0:1] offset:1024
	s_mov_b32 s10, exec_lo
	s_waitcnt vmcnt(0) lgkmcnt(0)
	v_dual_mov_b32 v7, 0 :: v_dual_and_b32 v8, 0xff, v2
	s_delay_alu instid0(VALU_DEP_1)
	v_cmpx_ne_u16_e32 0, v8
	s_cbranch_execz .LBB396_1171
; %bb.1164:                             ;   in Loop: Header=BB396_611 Depth=1
	v_bfrev_b32_e32 v7, 1
	s_mov_b32 s12, exec_lo
	v_cmpx_ne_u16_e32 0x80, v8
	s_cbranch_execz .LBB396_1170
; %bb.1165:                             ;   in Loop: Header=BB396_611 Depth=1
	v_and_b32_e32 v8, 0x7f, v2
	v_mov_b32_e32 v7, 0x7f800001
	s_mov_b32 s13, exec_lo
	s_delay_alu instid0(VALU_DEP_2)
	v_cmpx_ne_u32_e32 0x7f, v8
	s_cbranch_execz .LBB396_1169
; %bb.1166:                             ;   in Loop: Header=BB396_611 Depth=1
	v_lshrrev_b32_e32 v10, 3, v8
	v_cmp_gt_u32_e64 s0, 8, v8
	v_dual_mov_b32 v8, v3 :: v_dual_mov_b32 v7, v2
	s_delay_alu instid0(VALU_DEP_2)
	s_and_saveexec_b32 s15, s0
; %bb.1167:                             ;   in Loop: Header=BB396_611 Depth=1
	v_and_b32_e32 v7, 7, v2
	s_delay_alu instid0(VALU_DEP_1) | instskip(NEXT) | instid1(VALU_DEP_1)
	v_clz_i32_u32_e32 v7, v7
	v_min_u32_e32 v10, 32, v7
	s_delay_alu instid0(VALU_DEP_1) | instskip(SKIP_1) | instid1(VALU_DEP_2)
	v_subrev_nc_u32_e32 v7, 28, v10
	v_sub_nc_u32_e32 v10, 29, v10
	v_lshlrev_b64 v[7:8], v7, v[2:3]
; %bb.1168:                             ;   in Loop: Header=BB396_611 Depth=1
	s_or_b32 exec_lo, exec_lo, s15
	s_delay_alu instid0(VALU_DEP_1) | instskip(SKIP_2) | instid1(VALU_DEP_3)
	v_lshlrev_b32_e32 v7, 20, v7
	v_lshlrev_b32_e32 v8, 24, v2
	v_lshl_add_u32 v10, v10, 23, 0x3c000000
	v_and_b32_e32 v7, 0x700000, v7
	s_delay_alu instid0(VALU_DEP_3) | instskip(NEXT) | instid1(VALU_DEP_1)
	v_and_b32_e32 v8, 0x80000000, v8
	v_or3_b32 v7, v7, v8, v10
.LBB396_1169:                           ;   in Loop: Header=BB396_611 Depth=1
	s_or_b32 exec_lo, exec_lo, s13
.LBB396_1170:                           ;   in Loop: Header=BB396_611 Depth=1
	s_delay_alu instid0(SALU_CYCLE_1)
	s_or_b32 exec_lo, exec_lo, s12
.LBB396_1171:                           ;   in Loop: Header=BB396_611 Depth=1
	s_delay_alu instid0(SALU_CYCLE_1) | instskip(NEXT) | instid1(VALU_DEP_1)
	s_or_b32 exec_lo, exec_lo, s10
	v_mul_f32_e32 v7, v26, v7
                                        ; implicit-def: $vgpr119
	s_delay_alu instid0(VALU_DEP_1) | instskip(NEXT) | instid1(VALU_DEP_1)
	v_and_b32_e32 v8, 0x7f800000, v7
	v_cmp_ne_u32_e64 s0, 0x7f800000, v8
	s_delay_alu instid0(VALU_DEP_1) | instskip(NEXT) | instid1(SALU_CYCLE_1)
	s_and_saveexec_b32 s10, s0
	s_xor_b32 s0, exec_lo, s10
; %bb.1172:                             ;   in Loop: Header=BB396_611 Depth=1
	v_bfe_u32 v8, v7, 16, 1
	s_delay_alu instid0(VALU_DEP_1)
	v_add3_u32 v119, v7, v8, 0x7fff
                                        ; implicit-def: $vgpr7
; %bb.1173:                             ;   in Loop: Header=BB396_611 Depth=1
	s_and_not1_saveexec_b32 s10, s0
; %bb.1174:                             ;   in Loop: Header=BB396_611 Depth=1
	v_and_b32_e32 v8, 0xffff, v7
	v_or_b32_e32 v10, 0x10000, v7
	s_delay_alu instid0(VALU_DEP_2) | instskip(NEXT) | instid1(VALU_DEP_1)
	v_cmp_eq_u32_e64 s0, 0, v8
	v_cndmask_b32_e64 v119, v10, v7, s0
; %bb.1175:                             ;   in Loop: Header=BB396_611 Depth=1
	s_or_b32 exec_lo, exec_lo, s10
	v_lshrrev_b16 v8, 8, v2
	v_mov_b32_e32 v7, 0
	s_mov_b32 s10, exec_lo
	s_delay_alu instid0(VALU_DEP_2)
	v_cmpx_ne_u16_e32 0, v8
	s_cbranch_execz .LBB396_1183
; %bb.1176:                             ;   in Loop: Header=BB396_611 Depth=1
	v_bfrev_b32_e32 v7, 1
	s_mov_b32 s12, exec_lo
	v_cmpx_ne_u16_e32 0x80, v8
	s_cbranch_execz .LBB396_1182
; %bb.1177:                             ;   in Loop: Header=BB396_611 Depth=1
	v_and_b32_e32 v10, 0xffff, v8
	v_mov_b32_e32 v7, 0x7f800001
	s_mov_b32 s13, exec_lo
	s_delay_alu instid0(VALU_DEP_2) | instskip(NEXT) | instid1(VALU_DEP_1)
	v_and_b32_e32 v8, 0x7f, v10
	v_cmpx_ne_u32_e32 0x7f, v8
	s_cbranch_execz .LBB396_1181
; %bb.1178:                             ;   in Loop: Header=BB396_611 Depth=1
	v_and_b32_e32 v10, 7, v10
	v_lshrrev_b32_e32 v7, 3, v8
	s_mov_b32 s15, exec_lo
	v_cmpx_gt_u32_e32 8, v8
; %bb.1179:                             ;   in Loop: Header=BB396_611 Depth=1
	s_delay_alu instid0(VALU_DEP_3) | instskip(NEXT) | instid1(VALU_DEP_1)
	v_clz_i32_u32_e32 v7, v10
	v_min_u32_e32 v7, 32, v7
	s_delay_alu instid0(VALU_DEP_1) | instskip(SKIP_1) | instid1(VALU_DEP_2)
	v_subrev_nc_u32_e32 v8, 28, v7
	v_sub_nc_u32_e32 v7, 29, v7
	v_lshlrev_b64 v[128:129], v8, v[10:11]
	s_delay_alu instid0(VALU_DEP_1)
	v_and_b32_e32 v10, 7, v128
; %bb.1180:                             ;   in Loop: Header=BB396_611 Depth=1
	s_or_b32 exec_lo, exec_lo, s15
	v_lshlrev_b32_e32 v8, 16, v2
	s_delay_alu instid0(VALU_DEP_2) | instskip(SKIP_1) | instid1(VALU_DEP_3)
	v_lshlrev_b32_e32 v10, 20, v10
	v_lshl_add_u32 v7, v7, 23, 0x3c000000
	v_and_b32_e32 v8, 0x80000000, v8
	s_delay_alu instid0(VALU_DEP_1)
	v_or3_b32 v7, v10, v8, v7
.LBB396_1181:                           ;   in Loop: Header=BB396_611 Depth=1
	s_or_b32 exec_lo, exec_lo, s13
.LBB396_1182:                           ;   in Loop: Header=BB396_611 Depth=1
	s_delay_alu instid0(SALU_CYCLE_1)
	s_or_b32 exec_lo, exec_lo, s12
.LBB396_1183:                           ;   in Loop: Header=BB396_611 Depth=1
	s_delay_alu instid0(SALU_CYCLE_1) | instskip(NEXT) | instid1(VALU_DEP_1)
	s_or_b32 exec_lo, exec_lo, s10
	v_mul_f32_e32 v7, v26, v7
                                        ; implicit-def: $vgpr128
	s_delay_alu instid0(VALU_DEP_1) | instskip(NEXT) | instid1(VALU_DEP_1)
	v_and_b32_e32 v8, 0x7f800000, v7
	v_cmp_ne_u32_e64 s0, 0x7f800000, v8
	s_delay_alu instid0(VALU_DEP_1) | instskip(NEXT) | instid1(SALU_CYCLE_1)
	s_and_saveexec_b32 s10, s0
	s_xor_b32 s0, exec_lo, s10
; %bb.1184:                             ;   in Loop: Header=BB396_611 Depth=1
	v_bfe_u32 v8, v7, 16, 1
	s_delay_alu instid0(VALU_DEP_1)
	v_add3_u32 v128, v7, v8, 0x7fff
                                        ; implicit-def: $vgpr7
; %bb.1185:                             ;   in Loop: Header=BB396_611 Depth=1
	s_and_not1_saveexec_b32 s10, s0
; %bb.1186:                             ;   in Loop: Header=BB396_611 Depth=1
	v_and_b32_e32 v8, 0xffff, v7
	v_or_b32_e32 v10, 0x10000, v7
	s_delay_alu instid0(VALU_DEP_2) | instskip(NEXT) | instid1(VALU_DEP_1)
	v_cmp_eq_u32_e64 s0, 0, v8
	v_cndmask_b32_e64 v128, v10, v7, s0
; %bb.1187:                             ;   in Loop: Header=BB396_611 Depth=1
	s_or_b32 exec_lo, exec_lo, s10
	v_lshrrev_b32_e32 v7, 16, v2
	v_mov_b32_e32 v8, 0
	s_mov_b32 s10, exec_lo
	s_delay_alu instid0(VALU_DEP_2) | instskip(NEXT) | instid1(VALU_DEP_1)
	v_and_b32_e32 v10, 0xff, v7
	v_cmpx_ne_u16_e32 0, v10
	s_cbranch_execz .LBB396_1195
; %bb.1188:                             ;   in Loop: Header=BB396_611 Depth=1
	v_bfrev_b32_e32 v8, 1
	s_mov_b32 s12, exec_lo
	v_cmpx_ne_u16_e32 0x80, v10
	s_cbranch_execz .LBB396_1194
; %bb.1189:                             ;   in Loop: Header=BB396_611 Depth=1
	v_bfe_u32 v129, v2, 16, 7
	v_mov_b32_e32 v8, 0x7f800001
	s_mov_b32 s13, exec_lo
	s_delay_alu instid0(VALU_DEP_2)
	v_cmpx_ne_u32_e32 0x7f, v129
	s_cbranch_execz .LBB396_1193
; %bb.1190:                             ;   in Loop: Header=BB396_611 Depth=1
	v_and_b32_e32 v10, 7, v7
	v_lshrrev_b32_e32 v8, 3, v129
	s_mov_b32 s15, exec_lo
	v_cmpx_gt_u32_e32 8, v129
; %bb.1191:                             ;   in Loop: Header=BB396_611 Depth=1
	s_delay_alu instid0(VALU_DEP_3) | instskip(NEXT) | instid1(VALU_DEP_1)
	v_clz_i32_u32_e32 v8, v10
	v_min_u32_e32 v8, 32, v8
	s_delay_alu instid0(VALU_DEP_1) | instskip(SKIP_1) | instid1(VALU_DEP_2)
	v_subrev_nc_u32_e32 v129, 28, v8
	v_sub_nc_u32_e32 v8, 29, v8
	v_lshlrev_b64 v[129:130], v129, v[10:11]
	s_delay_alu instid0(VALU_DEP_1)
	v_and_b32_e32 v10, 7, v129
; %bb.1192:                             ;   in Loop: Header=BB396_611 Depth=1
	s_or_b32 exec_lo, exec_lo, s15
	v_lshlrev_b32_e32 v7, 24, v7
	s_delay_alu instid0(VALU_DEP_2) | instskip(SKIP_1) | instid1(VALU_DEP_3)
	v_lshlrev_b32_e32 v10, 20, v10
	v_lshl_add_u32 v8, v8, 23, 0x3c000000
	v_and_b32_e32 v7, 0x80000000, v7
	s_delay_alu instid0(VALU_DEP_1)
	v_or3_b32 v8, v10, v7, v8
.LBB396_1193:                           ;   in Loop: Header=BB396_611 Depth=1
	s_or_b32 exec_lo, exec_lo, s13
.LBB396_1194:                           ;   in Loop: Header=BB396_611 Depth=1
	s_delay_alu instid0(SALU_CYCLE_1)
	s_or_b32 exec_lo, exec_lo, s12
.LBB396_1195:                           ;   in Loop: Header=BB396_611 Depth=1
	s_delay_alu instid0(SALU_CYCLE_1) | instskip(NEXT) | instid1(VALU_DEP_1)
	s_or_b32 exec_lo, exec_lo, s10
	v_mul_f32_e32 v7, v26, v8
                                        ; implicit-def: $vgpr129
	s_delay_alu instid0(VALU_DEP_1) | instskip(NEXT) | instid1(VALU_DEP_1)
	v_and_b32_e32 v8, 0x7f800000, v7
	v_cmp_ne_u32_e64 s0, 0x7f800000, v8
	s_delay_alu instid0(VALU_DEP_1) | instskip(NEXT) | instid1(SALU_CYCLE_1)
	s_and_saveexec_b32 s10, s0
	s_xor_b32 s0, exec_lo, s10
; %bb.1196:                             ;   in Loop: Header=BB396_611 Depth=1
	v_bfe_u32 v8, v7, 16, 1
	s_delay_alu instid0(VALU_DEP_1)
	v_add3_u32 v129, v7, v8, 0x7fff
                                        ; implicit-def: $vgpr7
; %bb.1197:                             ;   in Loop: Header=BB396_611 Depth=1
	s_and_not1_saveexec_b32 s10, s0
; %bb.1198:                             ;   in Loop: Header=BB396_611 Depth=1
	v_and_b32_e32 v8, 0xffff, v7
	v_or_b32_e32 v10, 0x10000, v7
	s_delay_alu instid0(VALU_DEP_2) | instskip(NEXT) | instid1(VALU_DEP_1)
	v_cmp_eq_u32_e64 s0, 0, v8
	v_cndmask_b32_e64 v129, v10, v7, s0
; %bb.1199:                             ;   in Loop: Header=BB396_611 Depth=1
	s_or_b32 exec_lo, exec_lo, s10
	v_mov_b32_e32 v8, 0
	s_mov_b32 s10, exec_lo
	v_cmpx_lt_u32_e32 0xffffff, v2
	s_cbranch_execz .LBB396_1207
; %bb.1200:                             ;   in Loop: Header=BB396_611 Depth=1
	v_lshrrev_b32_e32 v7, 24, v2
	v_bfrev_b32_e32 v8, 1
	s_mov_b32 s12, exec_lo
	s_delay_alu instid0(VALU_DEP_2)
	v_cmpx_ne_u32_e32 0x80, v7
	s_cbranch_execz .LBB396_1206
; %bb.1201:                             ;   in Loop: Header=BB396_611 Depth=1
	v_bfe_u32 v130, v2, 24, 7
	v_mov_b32_e32 v8, 0x7f800001
	s_mov_b32 s13, exec_lo
	s_delay_alu instid0(VALU_DEP_2)
	v_cmpx_ne_u32_e32 0x7f, v130
	s_cbranch_execz .LBB396_1205
; %bb.1202:                             ;   in Loop: Header=BB396_611 Depth=1
	v_and_b32_e32 v10, 7, v7
	v_lshrrev_b32_e32 v8, 3, v130
	s_mov_b32 s15, exec_lo
	v_cmpx_gt_u32_e32 8, v130
; %bb.1203:                             ;   in Loop: Header=BB396_611 Depth=1
	s_delay_alu instid0(VALU_DEP_3) | instskip(NEXT) | instid1(VALU_DEP_1)
	v_clz_i32_u32_e32 v8, v10
	v_min_u32_e32 v8, 32, v8
	s_delay_alu instid0(VALU_DEP_1) | instskip(SKIP_1) | instid1(VALU_DEP_2)
	v_subrev_nc_u32_e32 v130, 28, v8
	v_sub_nc_u32_e32 v8, 29, v8
	v_lshlrev_b64 v[130:131], v130, v[10:11]
	s_delay_alu instid0(VALU_DEP_1)
	v_and_b32_e32 v10, 7, v130
; %bb.1204:                             ;   in Loop: Header=BB396_611 Depth=1
	s_or_b32 exec_lo, exec_lo, s15
	v_lshlrev_b32_e32 v7, 24, v7
	s_delay_alu instid0(VALU_DEP_2) | instskip(SKIP_1) | instid1(VALU_DEP_3)
	v_lshlrev_b32_e32 v10, 20, v10
	v_lshl_add_u32 v8, v8, 23, 0x3c000000
	v_and_b32_e32 v7, 0x80000000, v7
	s_delay_alu instid0(VALU_DEP_1)
	v_or3_b32 v8, v10, v7, v8
.LBB396_1205:                           ;   in Loop: Header=BB396_611 Depth=1
	s_or_b32 exec_lo, exec_lo, s13
.LBB396_1206:                           ;   in Loop: Header=BB396_611 Depth=1
	s_delay_alu instid0(SALU_CYCLE_1)
	s_or_b32 exec_lo, exec_lo, s12
.LBB396_1207:                           ;   in Loop: Header=BB396_611 Depth=1
	s_delay_alu instid0(SALU_CYCLE_1) | instskip(NEXT) | instid1(VALU_DEP_1)
	s_or_b32 exec_lo, exec_lo, s10
	v_mul_f32_e32 v7, v26, v8
                                        ; implicit-def: $vgpr130
	s_delay_alu instid0(VALU_DEP_1) | instskip(NEXT) | instid1(VALU_DEP_1)
	v_and_b32_e32 v8, 0x7f800000, v7
	v_cmp_ne_u32_e64 s0, 0x7f800000, v8
	s_delay_alu instid0(VALU_DEP_1) | instskip(NEXT) | instid1(SALU_CYCLE_1)
	s_and_saveexec_b32 s10, s0
	s_xor_b32 s0, exec_lo, s10
; %bb.1208:                             ;   in Loop: Header=BB396_611 Depth=1
	v_bfe_u32 v8, v7, 16, 1
	s_delay_alu instid0(VALU_DEP_1)
	v_add3_u32 v130, v7, v8, 0x7fff
                                        ; implicit-def: $vgpr7
; %bb.1209:                             ;   in Loop: Header=BB396_611 Depth=1
	s_and_not1_saveexec_b32 s10, s0
; %bb.1210:                             ;   in Loop: Header=BB396_611 Depth=1
	v_and_b32_e32 v8, 0xffff, v7
	v_or_b32_e32 v10, 0x10000, v7
	s_delay_alu instid0(VALU_DEP_2) | instskip(NEXT) | instid1(VALU_DEP_1)
	v_cmp_eq_u32_e64 s0, 0, v8
	v_cndmask_b32_e64 v130, v10, v7, s0
; %bb.1211:                             ;   in Loop: Header=BB396_611 Depth=1
	s_or_b32 exec_lo, exec_lo, s10
	v_dual_mov_b32 v7, 0 :: v_dual_and_b32 v8, 0xff, v3
	v_mov_b32_e32 v10, v3
	s_mov_b32 s10, exec_lo
	s_delay_alu instid0(VALU_DEP_2)
	v_cmpx_ne_u16_e32 0, v8
	s_cbranch_execz .LBB396_1219
; %bb.1212:                             ;   in Loop: Header=BB396_611 Depth=1
	v_bfrev_b32_e32 v7, 1
	s_mov_b32 s12, exec_lo
	v_cmpx_ne_u16_e32 0x80, v8
	s_cbranch_execz .LBB396_1218
; %bb.1213:                             ;   in Loop: Header=BB396_611 Depth=1
	v_and_b32_e32 v8, 0x7f, v3
	v_mov_b32_e32 v7, 0x7f800001
	s_mov_b32 s13, exec_lo
	s_delay_alu instid0(VALU_DEP_2)
	v_cmpx_ne_u32_e32 0x7f, v8
	s_cbranch_execz .LBB396_1217
; %bb.1214:                             ;   in Loop: Header=BB396_611 Depth=1
	v_lshrrev_b32_e32 v131, 3, v8
	v_cmp_gt_u32_e64 s0, 8, v8
	v_dual_mov_b32 v7, v10 :: v_dual_mov_b32 v8, v11
	s_delay_alu instid0(VALU_DEP_2)
	s_and_saveexec_b32 s15, s0
; %bb.1215:                             ;   in Loop: Header=BB396_611 Depth=1
	v_and_b32_e32 v7, 7, v3
	s_delay_alu instid0(VALU_DEP_1) | instskip(NEXT) | instid1(VALU_DEP_1)
	v_clz_i32_u32_e32 v7, v7
	v_min_u32_e32 v131, 32, v7
	s_delay_alu instid0(VALU_DEP_1) | instskip(SKIP_1) | instid1(VALU_DEP_2)
	v_subrev_nc_u32_e32 v7, 28, v131
	v_sub_nc_u32_e32 v131, 29, v131
	v_lshlrev_b64 v[7:8], v7, v[10:11]
; %bb.1216:                             ;   in Loop: Header=BB396_611 Depth=1
	s_or_b32 exec_lo, exec_lo, s15
	s_delay_alu instid0(VALU_DEP_1) | instskip(SKIP_2) | instid1(VALU_DEP_3)
	v_lshlrev_b32_e32 v7, 20, v7
	v_lshlrev_b32_e32 v8, 24, v10
	v_lshl_add_u32 v131, v131, 23, 0x3c000000
	v_and_b32_e32 v7, 0x700000, v7
	s_delay_alu instid0(VALU_DEP_3) | instskip(NEXT) | instid1(VALU_DEP_1)
	v_and_b32_e32 v8, 0x80000000, v8
	v_or3_b32 v7, v7, v8, v131
.LBB396_1217:                           ;   in Loop: Header=BB396_611 Depth=1
	s_or_b32 exec_lo, exec_lo, s13
.LBB396_1218:                           ;   in Loop: Header=BB396_611 Depth=1
	s_delay_alu instid0(SALU_CYCLE_1)
	s_or_b32 exec_lo, exec_lo, s12
.LBB396_1219:                           ;   in Loop: Header=BB396_611 Depth=1
	s_delay_alu instid0(SALU_CYCLE_1) | instskip(NEXT) | instid1(VALU_DEP_1)
	s_or_b32 exec_lo, exec_lo, s10
	v_mul_f32_e32 v7, v26, v7
                                        ; implicit-def: $vgpr131
	s_delay_alu instid0(VALU_DEP_1) | instskip(NEXT) | instid1(VALU_DEP_1)
	v_and_b32_e32 v8, 0x7f800000, v7
	v_cmp_ne_u32_e64 s0, 0x7f800000, v8
	s_delay_alu instid0(VALU_DEP_1) | instskip(NEXT) | instid1(SALU_CYCLE_1)
	s_and_saveexec_b32 s10, s0
	s_xor_b32 s0, exec_lo, s10
; %bb.1220:                             ;   in Loop: Header=BB396_611 Depth=1
	v_bfe_u32 v8, v7, 16, 1
	s_delay_alu instid0(VALU_DEP_1)
	v_add3_u32 v131, v7, v8, 0x7fff
                                        ; implicit-def: $vgpr7
; %bb.1221:                             ;   in Loop: Header=BB396_611 Depth=1
	s_and_not1_saveexec_b32 s10, s0
; %bb.1222:                             ;   in Loop: Header=BB396_611 Depth=1
	v_and_b32_e32 v8, 0xffff, v7
	v_or_b32_e32 v131, 0x10000, v7
	s_delay_alu instid0(VALU_DEP_2) | instskip(NEXT) | instid1(VALU_DEP_1)
	v_cmp_eq_u32_e64 s0, 0, v8
	v_cndmask_b32_e64 v131, v131, v7, s0
; %bb.1223:                             ;   in Loop: Header=BB396_611 Depth=1
	s_or_b32 exec_lo, exec_lo, s10
	v_lshrrev_b16 v8, 8, v10
	v_mov_b32_e32 v7, 0
	s_mov_b32 s10, exec_lo
	s_delay_alu instid0(VALU_DEP_2)
	v_cmpx_ne_u16_e32 0, v8
	s_cbranch_execz .LBB396_1231
; %bb.1224:                             ;   in Loop: Header=BB396_611 Depth=1
	v_bfrev_b32_e32 v7, 1
	s_mov_b32 s12, exec_lo
	v_cmpx_ne_u16_e32 0x80, v8
	s_cbranch_execz .LBB396_1230
; %bb.1225:                             ;   in Loop: Header=BB396_611 Depth=1
	v_and_b32_e32 v8, 0xffff, v8
	v_mov_b32_e32 v7, 0x7f800001
	s_mov_b32 s13, exec_lo
	s_delay_alu instid0(VALU_DEP_2) | instskip(NEXT) | instid1(VALU_DEP_1)
	v_and_b32_e32 v133, 0x7f, v8
	v_cmpx_ne_u32_e32 0x7f, v133
	s_cbranch_execz .LBB396_1229
; %bb.1226:                             ;   in Loop: Header=BB396_611 Depth=1
	v_dual_mov_b32 v8, v11 :: v_dual_and_b32 v7, 7, v8
	v_lshrrev_b32_e32 v132, 3, v133
	s_mov_b32 s15, exec_lo
	v_cmpx_gt_u32_e32 8, v133
; %bb.1227:                             ;   in Loop: Header=BB396_611 Depth=1
	s_delay_alu instid0(VALU_DEP_3) | instskip(NEXT) | instid1(VALU_DEP_1)
	v_clz_i32_u32_e32 v132, v7
	v_min_u32_e32 v132, 32, v132
	s_delay_alu instid0(VALU_DEP_1) | instskip(SKIP_1) | instid1(VALU_DEP_2)
	v_subrev_nc_u32_e32 v133, 28, v132
	v_sub_nc_u32_e32 v132, 29, v132
	v_lshlrev_b64 v[7:8], v133, v[7:8]
	s_delay_alu instid0(VALU_DEP_1)
	v_and_b32_e32 v7, 7, v7
; %bb.1228:                             ;   in Loop: Header=BB396_611 Depth=1
	s_or_b32 exec_lo, exec_lo, s15
	v_lshlrev_b32_e32 v8, 16, v10
	s_delay_alu instid0(VALU_DEP_2) | instskip(SKIP_1) | instid1(VALU_DEP_3)
	v_lshlrev_b32_e32 v7, 20, v7
	v_lshl_add_u32 v10, v132, 23, 0x3c000000
	v_and_b32_e32 v8, 0x80000000, v8
	s_delay_alu instid0(VALU_DEP_1)
	v_or3_b32 v7, v7, v8, v10
.LBB396_1229:                           ;   in Loop: Header=BB396_611 Depth=1
	s_or_b32 exec_lo, exec_lo, s13
.LBB396_1230:                           ;   in Loop: Header=BB396_611 Depth=1
	s_delay_alu instid0(SALU_CYCLE_1)
	s_or_b32 exec_lo, exec_lo, s12
.LBB396_1231:                           ;   in Loop: Header=BB396_611 Depth=1
	s_delay_alu instid0(SALU_CYCLE_1) | instskip(NEXT) | instid1(VALU_DEP_1)
	s_or_b32 exec_lo, exec_lo, s10
	v_mul_f32_e32 v8, v26, v7
	s_delay_alu instid0(VALU_DEP_1) | instskip(NEXT) | instid1(VALU_DEP_1)
	v_and_b32_e32 v7, 0x7f800000, v8
	v_cmp_ne_u32_e64 s0, 0x7f800000, v7
                                        ; implicit-def: $vgpr7
	s_delay_alu instid0(VALU_DEP_1) | instskip(NEXT) | instid1(SALU_CYCLE_1)
	s_and_saveexec_b32 s10, s0
	s_xor_b32 s0, exec_lo, s10
; %bb.1232:                             ;   in Loop: Header=BB396_611 Depth=1
	v_bfe_u32 v7, v8, 16, 1
	s_delay_alu instid0(VALU_DEP_1)
	v_add3_u32 v7, v8, v7, 0x7fff
                                        ; implicit-def: $vgpr8
; %bb.1233:                             ;   in Loop: Header=BB396_611 Depth=1
	s_and_not1_saveexec_b32 s10, s0
; %bb.1234:                             ;   in Loop: Header=BB396_611 Depth=1
	v_and_b32_e32 v7, 0xffff, v8
	v_or_b32_e32 v10, 0x10000, v8
	s_delay_alu instid0(VALU_DEP_2) | instskip(NEXT) | instid1(VALU_DEP_1)
	v_cmp_eq_u32_e64 s0, 0, v7
	v_cndmask_b32_e64 v7, v10, v8, s0
; %bb.1235:                             ;   in Loop: Header=BB396_611 Depth=1
	s_or_b32 exec_lo, exec_lo, s10
	v_lshrrev_b32_e32 v8, 16, v3
	v_mov_b32_e32 v10, 0
	s_mov_b32 s10, exec_lo
	s_delay_alu instid0(VALU_DEP_2) | instskip(NEXT) | instid1(VALU_DEP_1)
	v_and_b32_e32 v132, 0xff, v8
	v_cmpx_ne_u16_e64 0, v132
	s_cbranch_execz .LBB396_1243
; %bb.1236:                             ;   in Loop: Header=BB396_611 Depth=1
	v_bfrev_b32_e32 v10, 1
	s_mov_b32 s12, exec_lo
	v_cmpx_ne_u16_e64 0x80, v132
	s_cbranch_execz .LBB396_1242
; %bb.1237:                             ;   in Loop: Header=BB396_611 Depth=1
	v_bfe_u32 v133, v3, 16, 7
	v_mov_b32_e32 v10, 0x7f800001
	s_mov_b32 s13, exec_lo
	s_delay_alu instid0(VALU_DEP_2)
	v_cmpx_ne_u32_e32 0x7f, v133
	s_cbranch_execz .LBB396_1241
; %bb.1238:                             ;   in Loop: Header=BB396_611 Depth=1
	v_and_b32_e32 v10, 7, v8
	v_lshrrev_b32_e32 v132, 3, v133
	s_mov_b32 s15, exec_lo
	v_cmpx_gt_u32_e32 8, v133
; %bb.1239:                             ;   in Loop: Header=BB396_611 Depth=1
	s_delay_alu instid0(VALU_DEP_3) | instskip(NEXT) | instid1(VALU_DEP_1)
	v_clz_i32_u32_e32 v132, v10
	v_min_u32_e32 v132, 32, v132
	s_delay_alu instid0(VALU_DEP_1) | instskip(SKIP_1) | instid1(VALU_DEP_2)
	v_subrev_nc_u32_e32 v133, 28, v132
	v_sub_nc_u32_e32 v132, 29, v132
	v_lshlrev_b64 v[133:134], v133, v[10:11]
	s_delay_alu instid0(VALU_DEP_1)
	v_and_b32_e32 v10, 7, v133
; %bb.1240:                             ;   in Loop: Header=BB396_611 Depth=1
	s_or_b32 exec_lo, exec_lo, s15
	v_lshlrev_b32_e32 v8, 24, v8
	s_delay_alu instid0(VALU_DEP_2) | instskip(SKIP_1) | instid1(VALU_DEP_3)
	v_lshlrev_b32_e32 v10, 20, v10
	v_lshl_add_u32 v132, v132, 23, 0x3c000000
	v_and_b32_e32 v8, 0x80000000, v8
	s_delay_alu instid0(VALU_DEP_1)
	v_or3_b32 v10, v10, v8, v132
.LBB396_1241:                           ;   in Loop: Header=BB396_611 Depth=1
	s_or_b32 exec_lo, exec_lo, s13
.LBB396_1242:                           ;   in Loop: Header=BB396_611 Depth=1
	s_delay_alu instid0(SALU_CYCLE_1)
	s_or_b32 exec_lo, exec_lo, s12
.LBB396_1243:                           ;   in Loop: Header=BB396_611 Depth=1
	s_delay_alu instid0(SALU_CYCLE_1) | instskip(NEXT) | instid1(VALU_DEP_1)
	s_or_b32 exec_lo, exec_lo, s10
	v_mul_f32_e32 v10, v26, v10
	s_delay_alu instid0(VALU_DEP_1) | instskip(NEXT) | instid1(VALU_DEP_1)
	v_and_b32_e32 v8, 0x7f800000, v10
	v_cmp_ne_u32_e64 s0, 0x7f800000, v8
                                        ; implicit-def: $vgpr8
	s_delay_alu instid0(VALU_DEP_1) | instskip(NEXT) | instid1(SALU_CYCLE_1)
	s_and_saveexec_b32 s10, s0
	s_xor_b32 s0, exec_lo, s10
; %bb.1244:                             ;   in Loop: Header=BB396_611 Depth=1
	v_bfe_u32 v8, v10, 16, 1
	s_delay_alu instid0(VALU_DEP_1)
	v_add3_u32 v8, v10, v8, 0x7fff
                                        ; implicit-def: $vgpr10
; %bb.1245:                             ;   in Loop: Header=BB396_611 Depth=1
	s_and_not1_saveexec_b32 s10, s0
; %bb.1246:                             ;   in Loop: Header=BB396_611 Depth=1
	v_and_b32_e32 v8, 0xffff, v10
	v_or_b32_e32 v132, 0x10000, v10
	s_delay_alu instid0(VALU_DEP_2) | instskip(NEXT) | instid1(VALU_DEP_1)
	v_cmp_eq_u32_e64 s0, 0, v8
	v_cndmask_b32_e64 v8, v132, v10, s0
; %bb.1247:                             ;   in Loop: Header=BB396_611 Depth=1
	s_or_b32 exec_lo, exec_lo, s10
	v_mov_b32_e32 v10, 0
	s_mov_b32 s10, exec_lo
	v_cmpx_lt_u64_e64 s[8:9], v[2:3]
	s_cbranch_execz .LBB396_1255
; %bb.1248:                             ;   in Loop: Header=BB396_611 Depth=1
	v_lshrrev_b32_e32 v2, 24, v3
	v_bfrev_b32_e32 v10, 1
	s_mov_b32 s12, exec_lo
	s_delay_alu instid0(VALU_DEP_2)
	v_cmpx_ne_u32_e32 0x80, v2
	s_cbranch_execz .LBB396_1254
; %bb.1249:                             ;   in Loop: Header=BB396_611 Depth=1
	v_bfe_u32 v132, v3, 24, 7
	v_mov_b32_e32 v10, 0x7f800001
	s_mov_b32 s13, exec_lo
	s_delay_alu instid0(VALU_DEP_2)
	v_cmpx_ne_u32_e32 0x7f, v132
	s_cbranch_execz .LBB396_1253
; %bb.1250:                             ;   in Loop: Header=BB396_611 Depth=1
	v_and_b32_e32 v10, 7, v2
	v_lshrrev_b32_e32 v3, 3, v132
	s_mov_b32 s15, exec_lo
	v_cmpx_gt_u32_e32 8, v132
; %bb.1251:                             ;   in Loop: Header=BB396_611 Depth=1
	s_delay_alu instid0(VALU_DEP_3) | instskip(NEXT) | instid1(VALU_DEP_1)
	v_clz_i32_u32_e32 v3, v10
	v_min_u32_e32 v3, 32, v3
	s_delay_alu instid0(VALU_DEP_1) | instskip(SKIP_1) | instid1(VALU_DEP_2)
	v_subrev_nc_u32_e32 v132, 28, v3
	v_sub_nc_u32_e32 v3, 29, v3
	v_lshlrev_b64 v[132:133], v132, v[10:11]
	s_delay_alu instid0(VALU_DEP_1)
	v_and_b32_e32 v10, 7, v132
; %bb.1252:                             ;   in Loop: Header=BB396_611 Depth=1
	s_or_b32 exec_lo, exec_lo, s15
	v_lshlrev_b32_e32 v2, 24, v2
	s_delay_alu instid0(VALU_DEP_2) | instskip(SKIP_1) | instid1(VALU_DEP_3)
	v_lshlrev_b32_e32 v10, 20, v10
	v_lshl_add_u32 v3, v3, 23, 0x3c000000
	v_and_b32_e32 v2, 0x80000000, v2
	s_delay_alu instid0(VALU_DEP_1)
	v_or3_b32 v10, v10, v2, v3
.LBB396_1253:                           ;   in Loop: Header=BB396_611 Depth=1
	s_or_b32 exec_lo, exec_lo, s13
.LBB396_1254:                           ;   in Loop: Header=BB396_611 Depth=1
	s_delay_alu instid0(SALU_CYCLE_1)
	s_or_b32 exec_lo, exec_lo, s12
.LBB396_1255:                           ;   in Loop: Header=BB396_611 Depth=1
	s_delay_alu instid0(SALU_CYCLE_1) | instskip(NEXT) | instid1(VALU_DEP_1)
	s_or_b32 exec_lo, exec_lo, s10
	v_mul_f32_e32 v3, v26, v10
	s_delay_alu instid0(VALU_DEP_1) | instskip(NEXT) | instid1(VALU_DEP_1)
	v_and_b32_e32 v2, 0x7f800000, v3
	v_cmp_ne_u32_e64 s0, 0x7f800000, v2
                                        ; implicit-def: $vgpr2
	s_delay_alu instid0(VALU_DEP_1) | instskip(NEXT) | instid1(SALU_CYCLE_1)
	s_and_saveexec_b32 s10, s0
	s_xor_b32 s0, exec_lo, s10
; %bb.1256:                             ;   in Loop: Header=BB396_611 Depth=1
	v_bfe_u32 v2, v3, 16, 1
	s_delay_alu instid0(VALU_DEP_1)
	v_add3_u32 v2, v3, v2, 0x7fff
                                        ; implicit-def: $vgpr3
; %bb.1257:                             ;   in Loop: Header=BB396_611 Depth=1
	s_and_not1_saveexec_b32 s10, s0
; %bb.1258:                             ;   in Loop: Header=BB396_611 Depth=1
	v_and_b32_e32 v2, 0xffff, v3
	v_or_b32_e32 v10, 0x10000, v3
	s_delay_alu instid0(VALU_DEP_2) | instskip(NEXT) | instid1(VALU_DEP_1)
	v_cmp_eq_u32_e64 s0, 0, v2
	v_cndmask_b32_e64 v2, v10, v3, s0
; %bb.1259:                             ;   in Loop: Header=BB396_611 Depth=1
	s_or_b32 exec_lo, exec_lo, s10
	v_lshrrev_b32_e32 v10, 16, v7
	v_lshrrev_b32_e32 v131, 16, v131
	;; [unrolled: 1-line block ×8, first 2 shown]
	s_and_saveexec_b32 s10, vcc_lo
	s_cbranch_execz .LBB396_1261
; %bb.1260:                             ;   in Loop: Header=BB396_611 Depth=1
	v_cmp_lt_i32_e64 s0, v48, v32
	s_delay_alu instid0(VALU_DEP_1) | instskip(SKIP_1) | instid1(VALU_DEP_1)
	v_cndmask_b32_e64 v7, 0, v7, s0
	v_cmp_lt_i32_e64 s0, v54, v32
	v_cndmask_b32_e64 v128, 0, v128, s0
	v_cmp_lt_i32_e64 s0, v53, v32
	s_delay_alu instid0(VALU_DEP_1) | instskip(SKIP_1) | instid1(VALU_DEP_1)
	v_cndmask_b32_e64 v129, 0, v129, s0
	v_cmp_lt_i32_e64 s0, v52, v32
	v_cndmask_b32_e64 v130, 0, v130, s0
	;; [unrolled: 5-line block ×4, first 2 shown]
.LBB396_1261:                           ;   in Loop: Header=BB396_611 Depth=1
	s_or_b32 exec_lo, exec_lo, s10
	v_lshlrev_b32_e32 v7, 16, v7
	s_delay_alu instid0(VALU_DEP_1) | instskip(NEXT) | instid1(VALU_DEP_1)
	v_mul_f32_e32 v8, v55, v7
	v_and_b32_e32 v7, 0x7f800000, v8
	s_delay_alu instid0(VALU_DEP_1) | instskip(NEXT) | instid1(VALU_DEP_1)
	v_cmp_ne_u32_e64 s0, 0x7f800000, v7
                                        ; implicit-def: $vgpr7
	s_and_saveexec_b32 s10, s0
	s_delay_alu instid0(SALU_CYCLE_1)
	s_xor_b32 s0, exec_lo, s10
; %bb.1262:                             ;   in Loop: Header=BB396_611 Depth=1
	v_bfe_u32 v7, v8, 16, 1
	s_delay_alu instid0(VALU_DEP_1)
	v_add3_u32 v7, v8, v7, 0x7fff
                                        ; implicit-def: $vgpr8
; %bb.1263:                             ;   in Loop: Header=BB396_611 Depth=1
	s_and_not1_saveexec_b32 s10, s0
; %bb.1264:                             ;   in Loop: Header=BB396_611 Depth=1
	v_and_b32_e32 v7, 0xffff, v8
	v_or_b32_e32 v119, 0x10000, v8
	s_delay_alu instid0(VALU_DEP_2) | instskip(NEXT) | instid1(VALU_DEP_1)
	v_cmp_eq_u32_e64 s0, 0, v7
	v_cndmask_b32_e64 v7, v119, v8, s0
; %bb.1265:                             ;   in Loop: Header=BB396_611 Depth=1
	s_or_b32 exec_lo, exec_lo, s10
	v_lshlrev_b32_e32 v8, 16, v128
	s_delay_alu instid0(VALU_DEP_1) | instskip(NEXT) | instid1(VALU_DEP_1)
	v_mul_f32_e32 v119, v64, v8
	v_and_b32_e32 v8, 0x7f800000, v119
	s_delay_alu instid0(VALU_DEP_1) | instskip(NEXT) | instid1(VALU_DEP_1)
	v_cmp_ne_u32_e64 s0, 0x7f800000, v8
                                        ; implicit-def: $vgpr8
	s_and_saveexec_b32 s10, s0
	s_delay_alu instid0(SALU_CYCLE_1)
	s_xor_b32 s0, exec_lo, s10
; %bb.1266:                             ;   in Loop: Header=BB396_611 Depth=1
	v_bfe_u32 v8, v119, 16, 1
	s_delay_alu instid0(VALU_DEP_1)
	v_add3_u32 v8, v119, v8, 0x7fff
                                        ; implicit-def: $vgpr119
; %bb.1267:                             ;   in Loop: Header=BB396_611 Depth=1
	s_and_not1_saveexec_b32 s10, s0
; %bb.1268:                             ;   in Loop: Header=BB396_611 Depth=1
	v_and_b32_e32 v8, 0xffff, v119
	v_or_b32_e32 v128, 0x10000, v119
	s_delay_alu instid0(VALU_DEP_2) | instskip(NEXT) | instid1(VALU_DEP_1)
	v_cmp_eq_u32_e64 s0, 0, v8
	v_cndmask_b32_e64 v8, v128, v119, s0
; %bb.1269:                             ;   in Loop: Header=BB396_611 Depth=1
	s_or_b32 exec_lo, exec_lo, s10
	v_lshlrev_b32_e32 v119, 16, v129
	s_delay_alu instid0(VALU_DEP_1) | instskip(NEXT) | instid1(VALU_DEP_1)
	v_mul_f32_e32 v128, v65, v119
	v_and_b32_e32 v119, 0x7f800000, v128
	s_delay_alu instid0(VALU_DEP_1) | instskip(NEXT) | instid1(VALU_DEP_1)
	v_cmp_ne_u32_e64 s0, 0x7f800000, v119
                                        ; implicit-def: $vgpr119
	s_and_saveexec_b32 s10, s0
	s_delay_alu instid0(SALU_CYCLE_1)
	s_xor_b32 s0, exec_lo, s10
; %bb.1270:                             ;   in Loop: Header=BB396_611 Depth=1
	v_bfe_u32 v119, v128, 16, 1
	s_delay_alu instid0(VALU_DEP_1)
	v_add3_u32 v119, v128, v119, 0x7fff
                                        ; implicit-def: $vgpr128
; %bb.1271:                             ;   in Loop: Header=BB396_611 Depth=1
	s_and_not1_saveexec_b32 s10, s0
; %bb.1272:                             ;   in Loop: Header=BB396_611 Depth=1
	v_and_b32_e32 v119, 0xffff, v128
	v_or_b32_e32 v129, 0x10000, v128
	s_delay_alu instid0(VALU_DEP_2) | instskip(NEXT) | instid1(VALU_DEP_1)
	v_cmp_eq_u32_e64 s0, 0, v119
	v_cndmask_b32_e64 v119, v129, v128, s0
; %bb.1273:                             ;   in Loop: Header=BB396_611 Depth=1
	s_or_b32 exec_lo, exec_lo, s10
	v_lshlrev_b32_e32 v128, 16, v130
	s_delay_alu instid0(VALU_DEP_1) | instskip(NEXT) | instid1(VALU_DEP_1)
	v_mul_f32_e32 v129, v66, v128
	v_and_b32_e32 v128, 0x7f800000, v129
	s_delay_alu instid0(VALU_DEP_1) | instskip(NEXT) | instid1(VALU_DEP_1)
	v_cmp_ne_u32_e64 s0, 0x7f800000, v128
                                        ; implicit-def: $vgpr128
	s_and_saveexec_b32 s10, s0
	s_delay_alu instid0(SALU_CYCLE_1)
	s_xor_b32 s0, exec_lo, s10
; %bb.1274:                             ;   in Loop: Header=BB396_611 Depth=1
	v_bfe_u32 v128, v129, 16, 1
	s_delay_alu instid0(VALU_DEP_1)
	v_add3_u32 v128, v129, v128, 0x7fff
                                        ; implicit-def: $vgpr129
; %bb.1275:                             ;   in Loop: Header=BB396_611 Depth=1
	s_and_not1_saveexec_b32 s10, s0
; %bb.1276:                             ;   in Loop: Header=BB396_611 Depth=1
	v_and_b32_e32 v128, 0xffff, v129
	v_or_b32_e32 v130, 0x10000, v129
	s_delay_alu instid0(VALU_DEP_2) | instskip(NEXT) | instid1(VALU_DEP_1)
	v_cmp_eq_u32_e64 s0, 0, v128
	v_cndmask_b32_e64 v128, v130, v129, s0
; %bb.1277:                             ;   in Loop: Header=BB396_611 Depth=1
	s_or_b32 exec_lo, exec_lo, s10
	v_lshlrev_b32_e32 v129, 16, v131
	s_delay_alu instid0(VALU_DEP_1) | instskip(NEXT) | instid1(VALU_DEP_1)
	v_mul_f32_e32 v130, v67, v129
	v_and_b32_e32 v129, 0x7f800000, v130
	s_delay_alu instid0(VALU_DEP_1) | instskip(NEXT) | instid1(VALU_DEP_1)
	v_cmp_ne_u32_e64 s0, 0x7f800000, v129
                                        ; implicit-def: $vgpr129
	s_and_saveexec_b32 s10, s0
	s_delay_alu instid0(SALU_CYCLE_1)
	s_xor_b32 s0, exec_lo, s10
; %bb.1278:                             ;   in Loop: Header=BB396_611 Depth=1
	v_bfe_u32 v129, v130, 16, 1
	s_delay_alu instid0(VALU_DEP_1)
	v_add3_u32 v129, v130, v129, 0x7fff
                                        ; implicit-def: $vgpr130
; %bb.1279:                             ;   in Loop: Header=BB396_611 Depth=1
	s_and_not1_saveexec_b32 s10, s0
; %bb.1280:                             ;   in Loop: Header=BB396_611 Depth=1
	v_and_b32_e32 v129, 0xffff, v130
	v_or_b32_e32 v131, 0x10000, v130
	s_delay_alu instid0(VALU_DEP_2) | instskip(NEXT) | instid1(VALU_DEP_1)
	v_cmp_eq_u32_e64 s0, 0, v129
	v_cndmask_b32_e64 v129, v131, v130, s0
; %bb.1281:                             ;   in Loop: Header=BB396_611 Depth=1
	s_or_b32 exec_lo, exec_lo, s10
	v_lshlrev_b32_e32 v10, 16, v10
	s_delay_alu instid0(VALU_DEP_1) | instskip(NEXT) | instid1(VALU_DEP_1)
	v_mul_f32_e32 v10, v68, v10
	v_and_b32_e32 v130, 0x7f800000, v10
	s_delay_alu instid0(VALU_DEP_1) | instskip(NEXT) | instid1(VALU_DEP_1)
	v_cmp_ne_u32_e64 s0, 0x7f800000, v130
                                        ; implicit-def: $vgpr130
	s_and_saveexec_b32 s10, s0
	s_delay_alu instid0(SALU_CYCLE_1)
	s_xor_b32 s0, exec_lo, s10
; %bb.1282:                             ;   in Loop: Header=BB396_611 Depth=1
	v_bfe_u32 v130, v10, 16, 1
	s_delay_alu instid0(VALU_DEP_1)
	v_add3_u32 v130, v10, v130, 0x7fff
                                        ; implicit-def: $vgpr10
; %bb.1283:                             ;   in Loop: Header=BB396_611 Depth=1
	s_and_not1_saveexec_b32 s10, s0
; %bb.1284:                             ;   in Loop: Header=BB396_611 Depth=1
	v_and_b32_e32 v130, 0xffff, v10
	v_or_b32_e32 v131, 0x10000, v10
	s_delay_alu instid0(VALU_DEP_2) | instskip(NEXT) | instid1(VALU_DEP_1)
	v_cmp_eq_u32_e64 s0, 0, v130
	v_cndmask_b32_e64 v130, v131, v10, s0
; %bb.1285:                             ;   in Loop: Header=BB396_611 Depth=1
	s_or_b32 exec_lo, exec_lo, s10
	v_lshlrev_b32_e32 v3, 16, v3
                                        ; implicit-def: $vgpr131
	s_delay_alu instid0(VALU_DEP_1) | instskip(NEXT) | instid1(VALU_DEP_1)
	v_mul_f32_e32 v3, v69, v3
	v_and_b32_e32 v10, 0x7f800000, v3
	s_delay_alu instid0(VALU_DEP_1) | instskip(NEXT) | instid1(VALU_DEP_1)
	v_cmp_ne_u32_e64 s0, 0x7f800000, v10
	s_and_saveexec_b32 s10, s0
	s_delay_alu instid0(SALU_CYCLE_1)
	s_xor_b32 s0, exec_lo, s10
; %bb.1286:                             ;   in Loop: Header=BB396_611 Depth=1
	v_bfe_u32 v10, v3, 16, 1
	s_delay_alu instid0(VALU_DEP_1)
	v_add3_u32 v131, v3, v10, 0x7fff
                                        ; implicit-def: $vgpr3
; %bb.1287:                             ;   in Loop: Header=BB396_611 Depth=1
	s_and_not1_saveexec_b32 s10, s0
; %bb.1288:                             ;   in Loop: Header=BB396_611 Depth=1
	v_and_b32_e32 v10, 0xffff, v3
	v_or_b32_e32 v131, 0x10000, v3
	s_delay_alu instid0(VALU_DEP_2) | instskip(NEXT) | instid1(VALU_DEP_1)
	v_cmp_eq_u32_e64 s0, 0, v10
	v_cndmask_b32_e64 v131, v131, v3, s0
; %bb.1289:                             ;   in Loop: Header=BB396_611 Depth=1
	s_or_b32 exec_lo, exec_lo, s10
	v_lshlrev_b32_e32 v2, 16, v2
                                        ; implicit-def: $vgpr132
	s_delay_alu instid0(VALU_DEP_1) | instskip(NEXT) | instid1(VALU_DEP_1)
	v_mul_f32_e32 v2, v70, v2
	v_and_b32_e32 v3, 0x7f800000, v2
	s_delay_alu instid0(VALU_DEP_1) | instskip(NEXT) | instid1(VALU_DEP_1)
	v_cmp_ne_u32_e64 s0, 0x7f800000, v3
	s_and_saveexec_b32 s10, s0
	s_delay_alu instid0(SALU_CYCLE_1)
	s_xor_b32 s0, exec_lo, s10
; %bb.1290:                             ;   in Loop: Header=BB396_611 Depth=1
	v_bfe_u32 v3, v2, 16, 1
	s_delay_alu instid0(VALU_DEP_1)
	v_add3_u32 v132, v2, v3, 0x7fff
                                        ; implicit-def: $vgpr2
; %bb.1291:                             ;   in Loop: Header=BB396_611 Depth=1
	s_and_not1_saveexec_b32 s10, s0
; %bb.1292:                             ;   in Loop: Header=BB396_611 Depth=1
	v_and_b32_e32 v3, 0xffff, v2
	v_or_b32_e32 v10, 0x10000, v2
	s_delay_alu instid0(VALU_DEP_2) | instskip(NEXT) | instid1(VALU_DEP_1)
	v_cmp_eq_u32_e64 s0, 0, v3
	v_cndmask_b32_e64 v132, v10, v2, s0
; %bb.1293:                             ;   in Loop: Header=BB396_611 Depth=1
	s_or_b32 exec_lo, exec_lo, s10
	flat_load_b64 v[0:1], v[0:1] offset:1280
	s_mov_b32 s10, exec_lo
	s_waitcnt vmcnt(0) lgkmcnt(0)
	v_dual_mov_b32 v2, 0 :: v_dual_and_b32 v3, 0xff, v0
	s_delay_alu instid0(VALU_DEP_1)
	v_cmpx_ne_u16_e32 0, v3
	s_cbranch_execz .LBB396_1301
; %bb.1294:                             ;   in Loop: Header=BB396_611 Depth=1
	v_bfrev_b32_e32 v2, 1
	s_mov_b32 s12, exec_lo
	v_cmpx_ne_u16_e32 0x80, v3
	s_cbranch_execz .LBB396_1300
; %bb.1295:                             ;   in Loop: Header=BB396_611 Depth=1
	v_and_b32_e32 v3, 0x7f, v0
	v_mov_b32_e32 v2, 0x7f800001
	s_mov_b32 s13, exec_lo
	s_delay_alu instid0(VALU_DEP_2)
	v_cmpx_ne_u32_e32 0x7f, v3
	s_cbranch_execz .LBB396_1299
; %bb.1296:                             ;   in Loop: Header=BB396_611 Depth=1
	v_lshrrev_b32_e32 v10, 3, v3
	v_cmp_gt_u32_e64 s0, 8, v3
	v_dual_mov_b32 v3, v1 :: v_dual_mov_b32 v2, v0
	s_delay_alu instid0(VALU_DEP_2)
	s_and_saveexec_b32 s15, s0
; %bb.1297:                             ;   in Loop: Header=BB396_611 Depth=1
	v_and_b32_e32 v2, 7, v0
	s_delay_alu instid0(VALU_DEP_1) | instskip(NEXT) | instid1(VALU_DEP_1)
	v_clz_i32_u32_e32 v2, v2
	v_min_u32_e32 v10, 32, v2
	s_delay_alu instid0(VALU_DEP_1) | instskip(SKIP_1) | instid1(VALU_DEP_2)
	v_subrev_nc_u32_e32 v2, 28, v10
	v_sub_nc_u32_e32 v10, 29, v10
	v_lshlrev_b64 v[2:3], v2, v[0:1]
; %bb.1298:                             ;   in Loop: Header=BB396_611 Depth=1
	s_or_b32 exec_lo, exec_lo, s15
	s_delay_alu instid0(VALU_DEP_1) | instskip(SKIP_2) | instid1(VALU_DEP_3)
	v_lshlrev_b32_e32 v2, 20, v2
	v_lshlrev_b32_e32 v3, 24, v0
	v_lshl_add_u32 v10, v10, 23, 0x3c000000
	v_and_b32_e32 v2, 0x700000, v2
	s_delay_alu instid0(VALU_DEP_3) | instskip(NEXT) | instid1(VALU_DEP_1)
	v_and_b32_e32 v3, 0x80000000, v3
	v_or3_b32 v2, v2, v3, v10
.LBB396_1299:                           ;   in Loop: Header=BB396_611 Depth=1
	s_or_b32 exec_lo, exec_lo, s13
.LBB396_1300:                           ;   in Loop: Header=BB396_611 Depth=1
	s_delay_alu instid0(SALU_CYCLE_1)
	s_or_b32 exec_lo, exec_lo, s12
.LBB396_1301:                           ;   in Loop: Header=BB396_611 Depth=1
	s_delay_alu instid0(SALU_CYCLE_1) | instskip(NEXT) | instid1(VALU_DEP_1)
	s_or_b32 exec_lo, exec_lo, s10
	v_mul_f32_e32 v2, v26, v2
                                        ; implicit-def: $vgpr133
	s_delay_alu instid0(VALU_DEP_1) | instskip(NEXT) | instid1(VALU_DEP_1)
	v_and_b32_e32 v3, 0x7f800000, v2
	v_cmp_ne_u32_e64 s0, 0x7f800000, v3
	s_delay_alu instid0(VALU_DEP_1) | instskip(NEXT) | instid1(SALU_CYCLE_1)
	s_and_saveexec_b32 s10, s0
	s_xor_b32 s0, exec_lo, s10
; %bb.1302:                             ;   in Loop: Header=BB396_611 Depth=1
	v_bfe_u32 v3, v2, 16, 1
	s_delay_alu instid0(VALU_DEP_1)
	v_add3_u32 v133, v2, v3, 0x7fff
                                        ; implicit-def: $vgpr2
; %bb.1303:                             ;   in Loop: Header=BB396_611 Depth=1
	s_and_not1_saveexec_b32 s10, s0
; %bb.1304:                             ;   in Loop: Header=BB396_611 Depth=1
	v_and_b32_e32 v3, 0xffff, v2
	v_or_b32_e32 v10, 0x10000, v2
	s_delay_alu instid0(VALU_DEP_2) | instskip(NEXT) | instid1(VALU_DEP_1)
	v_cmp_eq_u32_e64 s0, 0, v3
	v_cndmask_b32_e64 v133, v10, v2, s0
; %bb.1305:                             ;   in Loop: Header=BB396_611 Depth=1
	s_or_b32 exec_lo, exec_lo, s10
	v_lshrrev_b16 v3, 8, v0
	v_mov_b32_e32 v2, 0
	s_mov_b32 s10, exec_lo
	s_delay_alu instid0(VALU_DEP_2)
	v_cmpx_ne_u16_e32 0, v3
	s_cbranch_execz .LBB396_1313
; %bb.1306:                             ;   in Loop: Header=BB396_611 Depth=1
	v_bfrev_b32_e32 v2, 1
	s_mov_b32 s12, exec_lo
	v_cmpx_ne_u16_e32 0x80, v3
	s_cbranch_execz .LBB396_1312
; %bb.1307:                             ;   in Loop: Header=BB396_611 Depth=1
	v_and_b32_e32 v10, 0xffff, v3
	v_mov_b32_e32 v2, 0x7f800001
	s_mov_b32 s13, exec_lo
	s_delay_alu instid0(VALU_DEP_2) | instskip(NEXT) | instid1(VALU_DEP_1)
	v_and_b32_e32 v3, 0x7f, v10
	v_cmpx_ne_u32_e32 0x7f, v3
	s_cbranch_execz .LBB396_1311
; %bb.1308:                             ;   in Loop: Header=BB396_611 Depth=1
	v_and_b32_e32 v10, 7, v10
	v_lshrrev_b32_e32 v2, 3, v3
	s_mov_b32 s15, exec_lo
	v_cmpx_gt_u32_e32 8, v3
; %bb.1309:                             ;   in Loop: Header=BB396_611 Depth=1
	s_delay_alu instid0(VALU_DEP_3) | instskip(NEXT) | instid1(VALU_DEP_1)
	v_clz_i32_u32_e32 v2, v10
	v_min_u32_e32 v2, 32, v2
	s_delay_alu instid0(VALU_DEP_1) | instskip(SKIP_1) | instid1(VALU_DEP_2)
	v_subrev_nc_u32_e32 v3, 28, v2
	v_sub_nc_u32_e32 v2, 29, v2
	v_lshlrev_b64 v[134:135], v3, v[10:11]
	s_delay_alu instid0(VALU_DEP_1)
	v_and_b32_e32 v10, 7, v134
; %bb.1310:                             ;   in Loop: Header=BB396_611 Depth=1
	s_or_b32 exec_lo, exec_lo, s15
	v_lshlrev_b32_e32 v3, 16, v0
	s_delay_alu instid0(VALU_DEP_2) | instskip(SKIP_1) | instid1(VALU_DEP_3)
	v_lshlrev_b32_e32 v10, 20, v10
	v_lshl_add_u32 v2, v2, 23, 0x3c000000
	v_and_b32_e32 v3, 0x80000000, v3
	s_delay_alu instid0(VALU_DEP_1)
	v_or3_b32 v2, v10, v3, v2
.LBB396_1311:                           ;   in Loop: Header=BB396_611 Depth=1
	s_or_b32 exec_lo, exec_lo, s13
.LBB396_1312:                           ;   in Loop: Header=BB396_611 Depth=1
	s_delay_alu instid0(SALU_CYCLE_1)
	s_or_b32 exec_lo, exec_lo, s12
.LBB396_1313:                           ;   in Loop: Header=BB396_611 Depth=1
	s_delay_alu instid0(SALU_CYCLE_1) | instskip(NEXT) | instid1(VALU_DEP_1)
	s_or_b32 exec_lo, exec_lo, s10
	v_mul_f32_e32 v2, v26, v2
                                        ; implicit-def: $vgpr134
	s_delay_alu instid0(VALU_DEP_1) | instskip(NEXT) | instid1(VALU_DEP_1)
	v_and_b32_e32 v3, 0x7f800000, v2
	v_cmp_ne_u32_e64 s0, 0x7f800000, v3
	s_delay_alu instid0(VALU_DEP_1) | instskip(NEXT) | instid1(SALU_CYCLE_1)
	s_and_saveexec_b32 s10, s0
	s_xor_b32 s0, exec_lo, s10
; %bb.1314:                             ;   in Loop: Header=BB396_611 Depth=1
	v_bfe_u32 v3, v2, 16, 1
	s_delay_alu instid0(VALU_DEP_1)
	v_add3_u32 v134, v2, v3, 0x7fff
                                        ; implicit-def: $vgpr2
; %bb.1315:                             ;   in Loop: Header=BB396_611 Depth=1
	s_and_not1_saveexec_b32 s10, s0
; %bb.1316:                             ;   in Loop: Header=BB396_611 Depth=1
	v_and_b32_e32 v3, 0xffff, v2
	v_or_b32_e32 v10, 0x10000, v2
	s_delay_alu instid0(VALU_DEP_2) | instskip(NEXT) | instid1(VALU_DEP_1)
	v_cmp_eq_u32_e64 s0, 0, v3
	v_cndmask_b32_e64 v134, v10, v2, s0
; %bb.1317:                             ;   in Loop: Header=BB396_611 Depth=1
	s_or_b32 exec_lo, exec_lo, s10
	v_lshrrev_b32_e32 v2, 16, v0
	s_mov_b32 s10, exec_lo
	s_delay_alu instid0(VALU_DEP_1) | instskip(NEXT) | instid1(VALU_DEP_1)
	v_dual_mov_b32 v3, 0 :: v_dual_and_b32 v10, 0xff, v2
	v_cmpx_ne_u16_e32 0, v10
	s_cbranch_execz .LBB396_1325
; %bb.1318:                             ;   in Loop: Header=BB396_611 Depth=1
	v_bfrev_b32_e32 v3, 1
	s_mov_b32 s12, exec_lo
	v_cmpx_ne_u16_e32 0x80, v10
	s_cbranch_execz .LBB396_1324
; %bb.1319:                             ;   in Loop: Header=BB396_611 Depth=1
	v_bfe_u32 v135, v0, 16, 7
	v_mov_b32_e32 v3, 0x7f800001
	s_mov_b32 s13, exec_lo
	s_delay_alu instid0(VALU_DEP_2)
	v_cmpx_ne_u32_e32 0x7f, v135
	s_cbranch_execz .LBB396_1323
; %bb.1320:                             ;   in Loop: Header=BB396_611 Depth=1
	v_and_b32_e32 v10, 7, v2
	v_lshrrev_b32_e32 v3, 3, v135
	s_mov_b32 s15, exec_lo
	v_cmpx_gt_u32_e32 8, v135
; %bb.1321:                             ;   in Loop: Header=BB396_611 Depth=1
	s_delay_alu instid0(VALU_DEP_3) | instskip(NEXT) | instid1(VALU_DEP_1)
	v_clz_i32_u32_e32 v3, v10
	v_min_u32_e32 v3, 32, v3
	s_delay_alu instid0(VALU_DEP_1) | instskip(SKIP_1) | instid1(VALU_DEP_2)
	v_subrev_nc_u32_e32 v135, 28, v3
	v_sub_nc_u32_e32 v3, 29, v3
	v_lshlrev_b64 v[144:145], v135, v[10:11]
	s_delay_alu instid0(VALU_DEP_1)
	v_and_b32_e32 v10, 7, v144
; %bb.1322:                             ;   in Loop: Header=BB396_611 Depth=1
	s_or_b32 exec_lo, exec_lo, s15
	v_lshlrev_b32_e32 v2, 24, v2
	s_delay_alu instid0(VALU_DEP_2) | instskip(SKIP_1) | instid1(VALU_DEP_3)
	v_lshlrev_b32_e32 v10, 20, v10
	v_lshl_add_u32 v3, v3, 23, 0x3c000000
	v_and_b32_e32 v2, 0x80000000, v2
	s_delay_alu instid0(VALU_DEP_1)
	v_or3_b32 v3, v10, v2, v3
.LBB396_1323:                           ;   in Loop: Header=BB396_611 Depth=1
	s_or_b32 exec_lo, exec_lo, s13
.LBB396_1324:                           ;   in Loop: Header=BB396_611 Depth=1
	s_delay_alu instid0(SALU_CYCLE_1)
	s_or_b32 exec_lo, exec_lo, s12
.LBB396_1325:                           ;   in Loop: Header=BB396_611 Depth=1
	s_delay_alu instid0(SALU_CYCLE_1) | instskip(NEXT) | instid1(VALU_DEP_1)
	s_or_b32 exec_lo, exec_lo, s10
	v_mul_f32_e32 v2, v26, v3
                                        ; implicit-def: $vgpr135
	s_delay_alu instid0(VALU_DEP_1) | instskip(NEXT) | instid1(VALU_DEP_1)
	v_and_b32_e32 v3, 0x7f800000, v2
	v_cmp_ne_u32_e64 s0, 0x7f800000, v3
	s_delay_alu instid0(VALU_DEP_1) | instskip(NEXT) | instid1(SALU_CYCLE_1)
	s_and_saveexec_b32 s10, s0
	s_xor_b32 s0, exec_lo, s10
; %bb.1326:                             ;   in Loop: Header=BB396_611 Depth=1
	v_bfe_u32 v3, v2, 16, 1
	s_delay_alu instid0(VALU_DEP_1)
	v_add3_u32 v135, v2, v3, 0x7fff
                                        ; implicit-def: $vgpr2
; %bb.1327:                             ;   in Loop: Header=BB396_611 Depth=1
	s_and_not1_saveexec_b32 s10, s0
; %bb.1328:                             ;   in Loop: Header=BB396_611 Depth=1
	v_and_b32_e32 v3, 0xffff, v2
	v_or_b32_e32 v10, 0x10000, v2
	s_delay_alu instid0(VALU_DEP_2) | instskip(NEXT) | instid1(VALU_DEP_1)
	v_cmp_eq_u32_e64 s0, 0, v3
	v_cndmask_b32_e64 v135, v10, v2, s0
; %bb.1329:                             ;   in Loop: Header=BB396_611 Depth=1
	s_or_b32 exec_lo, exec_lo, s10
	v_mov_b32_e32 v3, 0
	s_mov_b32 s10, exec_lo
	v_cmpx_lt_u32_e32 0xffffff, v0
	s_cbranch_execz .LBB396_1337
; %bb.1330:                             ;   in Loop: Header=BB396_611 Depth=1
	v_lshrrev_b32_e32 v2, 24, v0
	v_bfrev_b32_e32 v3, 1
	s_mov_b32 s12, exec_lo
	s_delay_alu instid0(VALU_DEP_2)
	v_cmpx_ne_u32_e32 0x80, v2
	s_cbranch_execz .LBB396_1336
; %bb.1331:                             ;   in Loop: Header=BB396_611 Depth=1
	v_bfe_u32 v144, v0, 24, 7
	v_mov_b32_e32 v3, 0x7f800001
	s_mov_b32 s13, exec_lo
	s_delay_alu instid0(VALU_DEP_2)
	v_cmpx_ne_u32_e32 0x7f, v144
	s_cbranch_execz .LBB396_1335
; %bb.1332:                             ;   in Loop: Header=BB396_611 Depth=1
	v_and_b32_e32 v10, 7, v2
	v_lshrrev_b32_e32 v3, 3, v144
	s_mov_b32 s15, exec_lo
	v_cmpx_gt_u32_e32 8, v144
; %bb.1333:                             ;   in Loop: Header=BB396_611 Depth=1
	s_delay_alu instid0(VALU_DEP_3) | instskip(NEXT) | instid1(VALU_DEP_1)
	v_clz_i32_u32_e32 v3, v10
	v_min_u32_e32 v3, 32, v3
	s_delay_alu instid0(VALU_DEP_1) | instskip(SKIP_1) | instid1(VALU_DEP_2)
	v_subrev_nc_u32_e32 v144, 28, v3
	v_sub_nc_u32_e32 v3, 29, v3
	v_lshlrev_b64 v[144:145], v144, v[10:11]
	s_delay_alu instid0(VALU_DEP_1)
	v_and_b32_e32 v10, 7, v144
; %bb.1334:                             ;   in Loop: Header=BB396_611 Depth=1
	s_or_b32 exec_lo, exec_lo, s15
	v_lshlrev_b32_e32 v2, 24, v2
	s_delay_alu instid0(VALU_DEP_2) | instskip(SKIP_1) | instid1(VALU_DEP_3)
	v_lshlrev_b32_e32 v10, 20, v10
	v_lshl_add_u32 v3, v3, 23, 0x3c000000
	v_and_b32_e32 v2, 0x80000000, v2
	s_delay_alu instid0(VALU_DEP_1)
	v_or3_b32 v3, v10, v2, v3
.LBB396_1335:                           ;   in Loop: Header=BB396_611 Depth=1
	s_or_b32 exec_lo, exec_lo, s13
.LBB396_1336:                           ;   in Loop: Header=BB396_611 Depth=1
	s_delay_alu instid0(SALU_CYCLE_1)
	s_or_b32 exec_lo, exec_lo, s12
.LBB396_1337:                           ;   in Loop: Header=BB396_611 Depth=1
	s_delay_alu instid0(SALU_CYCLE_1) | instskip(NEXT) | instid1(VALU_DEP_1)
	s_or_b32 exec_lo, exec_lo, s10
	v_mul_f32_e32 v2, v26, v3
                                        ; implicit-def: $vgpr144
	s_delay_alu instid0(VALU_DEP_1) | instskip(NEXT) | instid1(VALU_DEP_1)
	v_and_b32_e32 v3, 0x7f800000, v2
	v_cmp_ne_u32_e64 s0, 0x7f800000, v3
	s_delay_alu instid0(VALU_DEP_1) | instskip(NEXT) | instid1(SALU_CYCLE_1)
	s_and_saveexec_b32 s10, s0
	s_xor_b32 s0, exec_lo, s10
; %bb.1338:                             ;   in Loop: Header=BB396_611 Depth=1
	v_bfe_u32 v3, v2, 16, 1
	s_delay_alu instid0(VALU_DEP_1)
	v_add3_u32 v144, v2, v3, 0x7fff
                                        ; implicit-def: $vgpr2
; %bb.1339:                             ;   in Loop: Header=BB396_611 Depth=1
	s_and_not1_saveexec_b32 s10, s0
; %bb.1340:                             ;   in Loop: Header=BB396_611 Depth=1
	v_and_b32_e32 v3, 0xffff, v2
	v_or_b32_e32 v10, 0x10000, v2
	s_delay_alu instid0(VALU_DEP_2) | instskip(NEXT) | instid1(VALU_DEP_1)
	v_cmp_eq_u32_e64 s0, 0, v3
	v_cndmask_b32_e64 v144, v10, v2, s0
; %bb.1341:                             ;   in Loop: Header=BB396_611 Depth=1
	s_or_b32 exec_lo, exec_lo, s10
	v_dual_mov_b32 v10, v1 :: v_dual_and_b32 v3, 0xff, v1
	v_mov_b32_e32 v2, 0
	s_mov_b32 s10, exec_lo
	s_delay_alu instid0(VALU_DEP_2)
	v_cmpx_ne_u16_e32 0, v3
	s_cbranch_execz .LBB396_1349
; %bb.1342:                             ;   in Loop: Header=BB396_611 Depth=1
	v_bfrev_b32_e32 v2, 1
	s_mov_b32 s12, exec_lo
	v_cmpx_ne_u16_e32 0x80, v3
	s_cbranch_execz .LBB396_1348
; %bb.1343:                             ;   in Loop: Header=BB396_611 Depth=1
	v_and_b32_e32 v3, 0x7f, v1
	v_mov_b32_e32 v2, 0x7f800001
	s_mov_b32 s13, exec_lo
	s_delay_alu instid0(VALU_DEP_2)
	v_cmpx_ne_u32_e32 0x7f, v3
	s_cbranch_execz .LBB396_1347
; %bb.1344:                             ;   in Loop: Header=BB396_611 Depth=1
	v_lshrrev_b32_e32 v145, 3, v3
	v_cmp_gt_u32_e64 s0, 8, v3
	v_dual_mov_b32 v2, v10 :: v_dual_mov_b32 v3, v11
	s_delay_alu instid0(VALU_DEP_2)
	s_and_saveexec_b32 s15, s0
; %bb.1345:                             ;   in Loop: Header=BB396_611 Depth=1
	v_and_b32_e32 v2, 7, v1
	s_delay_alu instid0(VALU_DEP_1) | instskip(NEXT) | instid1(VALU_DEP_1)
	v_clz_i32_u32_e32 v2, v2
	v_min_u32_e32 v145, 32, v2
	s_delay_alu instid0(VALU_DEP_1) | instskip(SKIP_1) | instid1(VALU_DEP_2)
	v_subrev_nc_u32_e32 v2, 28, v145
	v_sub_nc_u32_e32 v145, 29, v145
	v_lshlrev_b64 v[2:3], v2, v[10:11]
; %bb.1346:                             ;   in Loop: Header=BB396_611 Depth=1
	s_or_b32 exec_lo, exec_lo, s15
	s_delay_alu instid0(VALU_DEP_1) | instskip(SKIP_2) | instid1(VALU_DEP_3)
	v_lshlrev_b32_e32 v2, 20, v2
	v_lshlrev_b32_e32 v3, 24, v10
	v_lshl_add_u32 v145, v145, 23, 0x3c000000
	v_and_b32_e32 v2, 0x700000, v2
	s_delay_alu instid0(VALU_DEP_3) | instskip(NEXT) | instid1(VALU_DEP_1)
	v_and_b32_e32 v3, 0x80000000, v3
	v_or3_b32 v2, v2, v3, v145
.LBB396_1347:                           ;   in Loop: Header=BB396_611 Depth=1
	s_or_b32 exec_lo, exec_lo, s13
.LBB396_1348:                           ;   in Loop: Header=BB396_611 Depth=1
	s_delay_alu instid0(SALU_CYCLE_1)
	s_or_b32 exec_lo, exec_lo, s12
.LBB396_1349:                           ;   in Loop: Header=BB396_611 Depth=1
	s_delay_alu instid0(SALU_CYCLE_1) | instskip(NEXT) | instid1(VALU_DEP_1)
	s_or_b32 exec_lo, exec_lo, s10
	v_mul_f32_e32 v2, v26, v2
                                        ; implicit-def: $vgpr145
	s_delay_alu instid0(VALU_DEP_1) | instskip(NEXT) | instid1(VALU_DEP_1)
	v_and_b32_e32 v3, 0x7f800000, v2
	v_cmp_ne_u32_e64 s0, 0x7f800000, v3
	s_delay_alu instid0(VALU_DEP_1) | instskip(NEXT) | instid1(SALU_CYCLE_1)
	s_and_saveexec_b32 s10, s0
	s_xor_b32 s0, exec_lo, s10
; %bb.1350:                             ;   in Loop: Header=BB396_611 Depth=1
	v_bfe_u32 v3, v2, 16, 1
	s_delay_alu instid0(VALU_DEP_1)
	v_add3_u32 v145, v2, v3, 0x7fff
                                        ; implicit-def: $vgpr2
; %bb.1351:                             ;   in Loop: Header=BB396_611 Depth=1
	s_and_not1_saveexec_b32 s10, s0
; %bb.1352:                             ;   in Loop: Header=BB396_611 Depth=1
	v_and_b32_e32 v3, 0xffff, v2
	v_or_b32_e32 v145, 0x10000, v2
	s_delay_alu instid0(VALU_DEP_2) | instskip(NEXT) | instid1(VALU_DEP_1)
	v_cmp_eq_u32_e64 s0, 0, v3
	v_cndmask_b32_e64 v145, v145, v2, s0
; %bb.1353:                             ;   in Loop: Header=BB396_611 Depth=1
	s_or_b32 exec_lo, exec_lo, s10
	v_lshrrev_b16 v3, 8, v10
	v_mov_b32_e32 v2, 0
	s_mov_b32 s10, exec_lo
	s_delay_alu instid0(VALU_DEP_2)
	v_cmpx_ne_u16_e32 0, v3
	s_cbranch_execz .LBB396_1361
; %bb.1354:                             ;   in Loop: Header=BB396_611 Depth=1
	v_bfrev_b32_e32 v2, 1
	s_mov_b32 s12, exec_lo
	v_cmpx_ne_u16_e32 0x80, v3
	s_cbranch_execz .LBB396_1360
; %bb.1355:                             ;   in Loop: Header=BB396_611 Depth=1
	v_and_b32_e32 v3, 0xffff, v3
	v_mov_b32_e32 v2, 0x7f800001
	s_mov_b32 s13, exec_lo
	s_delay_alu instid0(VALU_DEP_2) | instskip(NEXT) | instid1(VALU_DEP_1)
	v_and_b32_e32 v147, 0x7f, v3
	v_cmpx_ne_u32_e32 0x7f, v147
	s_cbranch_execz .LBB396_1359
; %bb.1356:                             ;   in Loop: Header=BB396_611 Depth=1
	v_dual_mov_b32 v3, v11 :: v_dual_and_b32 v2, 7, v3
	v_lshrrev_b32_e32 v146, 3, v147
	s_mov_b32 s15, exec_lo
	v_cmpx_gt_u32_e32 8, v147
; %bb.1357:                             ;   in Loop: Header=BB396_611 Depth=1
	s_delay_alu instid0(VALU_DEP_3) | instskip(NEXT) | instid1(VALU_DEP_1)
	v_clz_i32_u32_e32 v146, v2
	v_min_u32_e32 v146, 32, v146
	s_delay_alu instid0(VALU_DEP_1) | instskip(SKIP_1) | instid1(VALU_DEP_2)
	v_subrev_nc_u32_e32 v147, 28, v146
	v_sub_nc_u32_e32 v146, 29, v146
	v_lshlrev_b64 v[2:3], v147, v[2:3]
	s_delay_alu instid0(VALU_DEP_1)
	v_and_b32_e32 v2, 7, v2
; %bb.1358:                             ;   in Loop: Header=BB396_611 Depth=1
	s_or_b32 exec_lo, exec_lo, s15
	v_lshlrev_b32_e32 v3, 16, v10
	s_delay_alu instid0(VALU_DEP_2) | instskip(SKIP_1) | instid1(VALU_DEP_3)
	v_lshlrev_b32_e32 v2, 20, v2
	v_lshl_add_u32 v10, v146, 23, 0x3c000000
	v_and_b32_e32 v3, 0x80000000, v3
	s_delay_alu instid0(VALU_DEP_1)
	v_or3_b32 v2, v2, v3, v10
.LBB396_1359:                           ;   in Loop: Header=BB396_611 Depth=1
	s_or_b32 exec_lo, exec_lo, s13
.LBB396_1360:                           ;   in Loop: Header=BB396_611 Depth=1
	s_delay_alu instid0(SALU_CYCLE_1)
	s_or_b32 exec_lo, exec_lo, s12
.LBB396_1361:                           ;   in Loop: Header=BB396_611 Depth=1
	s_delay_alu instid0(SALU_CYCLE_1) | instskip(NEXT) | instid1(VALU_DEP_1)
	s_or_b32 exec_lo, exec_lo, s10
	v_mul_f32_e32 v3, v26, v2
	s_delay_alu instid0(VALU_DEP_1) | instskip(NEXT) | instid1(VALU_DEP_1)
	v_and_b32_e32 v2, 0x7f800000, v3
	v_cmp_ne_u32_e64 s0, 0x7f800000, v2
                                        ; implicit-def: $vgpr2
	s_delay_alu instid0(VALU_DEP_1) | instskip(NEXT) | instid1(SALU_CYCLE_1)
	s_and_saveexec_b32 s10, s0
	s_xor_b32 s0, exec_lo, s10
; %bb.1362:                             ;   in Loop: Header=BB396_611 Depth=1
	v_bfe_u32 v2, v3, 16, 1
	s_delay_alu instid0(VALU_DEP_1)
	v_add3_u32 v2, v3, v2, 0x7fff
                                        ; implicit-def: $vgpr3
; %bb.1363:                             ;   in Loop: Header=BB396_611 Depth=1
	s_and_not1_saveexec_b32 s10, s0
; %bb.1364:                             ;   in Loop: Header=BB396_611 Depth=1
	v_and_b32_e32 v2, 0xffff, v3
	v_or_b32_e32 v10, 0x10000, v3
	s_delay_alu instid0(VALU_DEP_2) | instskip(NEXT) | instid1(VALU_DEP_1)
	v_cmp_eq_u32_e64 s0, 0, v2
	v_cndmask_b32_e64 v2, v10, v3, s0
; %bb.1365:                             ;   in Loop: Header=BB396_611 Depth=1
	s_or_b32 exec_lo, exec_lo, s10
	v_lshrrev_b32_e32 v3, 16, v1
	v_mov_b32_e32 v10, 0
	s_mov_b32 s10, exec_lo
	s_delay_alu instid0(VALU_DEP_2) | instskip(NEXT) | instid1(VALU_DEP_1)
	v_and_b32_e32 v146, 0xff, v3
	v_cmpx_ne_u16_e64 0, v146
	s_cbranch_execz .LBB396_1373
; %bb.1366:                             ;   in Loop: Header=BB396_611 Depth=1
	v_bfrev_b32_e32 v10, 1
	s_mov_b32 s12, exec_lo
	v_cmpx_ne_u16_e64 0x80, v146
	s_cbranch_execz .LBB396_1372
; %bb.1367:                             ;   in Loop: Header=BB396_611 Depth=1
	v_bfe_u32 v147, v1, 16, 7
	v_mov_b32_e32 v10, 0x7f800001
	s_mov_b32 s13, exec_lo
	s_delay_alu instid0(VALU_DEP_2)
	v_cmpx_ne_u32_e32 0x7f, v147
	s_cbranch_execz .LBB396_1371
; %bb.1368:                             ;   in Loop: Header=BB396_611 Depth=1
	v_and_b32_e32 v10, 7, v3
	v_lshrrev_b32_e32 v146, 3, v147
	s_mov_b32 s15, exec_lo
	v_cmpx_gt_u32_e32 8, v147
; %bb.1369:                             ;   in Loop: Header=BB396_611 Depth=1
	s_delay_alu instid0(VALU_DEP_3) | instskip(NEXT) | instid1(VALU_DEP_1)
	v_clz_i32_u32_e32 v146, v10
	v_min_u32_e32 v146, 32, v146
	s_delay_alu instid0(VALU_DEP_1) | instskip(SKIP_1) | instid1(VALU_DEP_2)
	v_subrev_nc_u32_e32 v147, 28, v146
	v_sub_nc_u32_e32 v146, 29, v146
	v_lshlrev_b64 v[147:148], v147, v[10:11]
	s_delay_alu instid0(VALU_DEP_1)
	v_and_b32_e32 v10, 7, v147
; %bb.1370:                             ;   in Loop: Header=BB396_611 Depth=1
	s_or_b32 exec_lo, exec_lo, s15
	v_lshlrev_b32_e32 v3, 24, v3
	s_delay_alu instid0(VALU_DEP_2) | instskip(SKIP_1) | instid1(VALU_DEP_3)
	v_lshlrev_b32_e32 v10, 20, v10
	v_lshl_add_u32 v146, v146, 23, 0x3c000000
	v_and_b32_e32 v3, 0x80000000, v3
	s_delay_alu instid0(VALU_DEP_1)
	v_or3_b32 v10, v10, v3, v146
.LBB396_1371:                           ;   in Loop: Header=BB396_611 Depth=1
	s_or_b32 exec_lo, exec_lo, s13
.LBB396_1372:                           ;   in Loop: Header=BB396_611 Depth=1
	s_delay_alu instid0(SALU_CYCLE_1)
	s_or_b32 exec_lo, exec_lo, s12
.LBB396_1373:                           ;   in Loop: Header=BB396_611 Depth=1
	s_delay_alu instid0(SALU_CYCLE_1) | instskip(NEXT) | instid1(VALU_DEP_1)
	s_or_b32 exec_lo, exec_lo, s10
	v_mul_f32_e32 v10, v26, v10
	s_delay_alu instid0(VALU_DEP_1) | instskip(NEXT) | instid1(VALU_DEP_1)
	v_and_b32_e32 v3, 0x7f800000, v10
	v_cmp_ne_u32_e64 s0, 0x7f800000, v3
                                        ; implicit-def: $vgpr3
	s_delay_alu instid0(VALU_DEP_1) | instskip(NEXT) | instid1(SALU_CYCLE_1)
	s_and_saveexec_b32 s10, s0
	s_xor_b32 s0, exec_lo, s10
; %bb.1374:                             ;   in Loop: Header=BB396_611 Depth=1
	v_bfe_u32 v3, v10, 16, 1
	s_delay_alu instid0(VALU_DEP_1)
	v_add3_u32 v3, v10, v3, 0x7fff
                                        ; implicit-def: $vgpr10
; %bb.1375:                             ;   in Loop: Header=BB396_611 Depth=1
	s_and_not1_saveexec_b32 s10, s0
; %bb.1376:                             ;   in Loop: Header=BB396_611 Depth=1
	v_and_b32_e32 v3, 0xffff, v10
	v_or_b32_e32 v146, 0x10000, v10
	s_delay_alu instid0(VALU_DEP_2) | instskip(NEXT) | instid1(VALU_DEP_1)
	v_cmp_eq_u32_e64 s0, 0, v3
	v_cndmask_b32_e64 v3, v146, v10, s0
; %bb.1377:                             ;   in Loop: Header=BB396_611 Depth=1
	s_or_b32 exec_lo, exec_lo, s10
	v_mov_b32_e32 v10, 0
	s_mov_b32 s10, exec_lo
	v_cmpx_lt_u64_e64 s[8:9], v[0:1]
	s_cbranch_execz .LBB396_1385
; %bb.1378:                             ;   in Loop: Header=BB396_611 Depth=1
	v_lshrrev_b32_e32 v0, 24, v1
	v_bfrev_b32_e32 v10, 1
	s_mov_b32 s12, exec_lo
	s_delay_alu instid0(VALU_DEP_2)
	v_cmpx_ne_u32_e32 0x80, v0
	s_cbranch_execz .LBB396_1384
; %bb.1379:                             ;   in Loop: Header=BB396_611 Depth=1
	v_bfe_u32 v146, v1, 24, 7
	v_mov_b32_e32 v10, 0x7f800001
	s_mov_b32 s13, exec_lo
	s_delay_alu instid0(VALU_DEP_2)
	v_cmpx_ne_u32_e32 0x7f, v146
	s_cbranch_execz .LBB396_1383
; %bb.1380:                             ;   in Loop: Header=BB396_611 Depth=1
	v_and_b32_e32 v10, 7, v0
	v_lshrrev_b32_e32 v1, 3, v146
	s_mov_b32 s15, exec_lo
	v_cmpx_gt_u32_e32 8, v146
; %bb.1381:                             ;   in Loop: Header=BB396_611 Depth=1
	s_delay_alu instid0(VALU_DEP_3) | instskip(NEXT) | instid1(VALU_DEP_1)
	v_clz_i32_u32_e32 v1, v10
	v_min_u32_e32 v1, 32, v1
	s_delay_alu instid0(VALU_DEP_1) | instskip(SKIP_1) | instid1(VALU_DEP_2)
	v_subrev_nc_u32_e32 v146, 28, v1
	v_sub_nc_u32_e32 v1, 29, v1
	v_lshlrev_b64 v[146:147], v146, v[10:11]
	s_delay_alu instid0(VALU_DEP_1)
	v_and_b32_e32 v10, 7, v146
; %bb.1382:                             ;   in Loop: Header=BB396_611 Depth=1
	s_or_b32 exec_lo, exec_lo, s15
	v_lshlrev_b32_e32 v0, 24, v0
	s_delay_alu instid0(VALU_DEP_2) | instskip(SKIP_1) | instid1(VALU_DEP_3)
	v_lshlrev_b32_e32 v10, 20, v10
	v_lshl_add_u32 v1, v1, 23, 0x3c000000
	v_and_b32_e32 v0, 0x80000000, v0
	s_delay_alu instid0(VALU_DEP_1)
	v_or3_b32 v10, v10, v0, v1
.LBB396_1383:                           ;   in Loop: Header=BB396_611 Depth=1
	s_or_b32 exec_lo, exec_lo, s13
.LBB396_1384:                           ;   in Loop: Header=BB396_611 Depth=1
	s_delay_alu instid0(SALU_CYCLE_1)
	s_or_b32 exec_lo, exec_lo, s12
.LBB396_1385:                           ;   in Loop: Header=BB396_611 Depth=1
	s_delay_alu instid0(SALU_CYCLE_1) | instskip(NEXT) | instid1(VALU_DEP_1)
	s_or_b32 exec_lo, exec_lo, s10
	v_mul_f32_e32 v0, v26, v10
                                        ; implicit-def: $vgpr147
	s_delay_alu instid0(VALU_DEP_1) | instskip(NEXT) | instid1(VALU_DEP_1)
	v_and_b32_e32 v1, 0x7f800000, v0
	v_cmp_ne_u32_e64 s0, 0x7f800000, v1
	s_delay_alu instid0(VALU_DEP_1) | instskip(NEXT) | instid1(SALU_CYCLE_1)
	s_and_saveexec_b32 s10, s0
	s_xor_b32 s0, exec_lo, s10
; %bb.1386:                             ;   in Loop: Header=BB396_611 Depth=1
	v_bfe_u32 v1, v0, 16, 1
	s_delay_alu instid0(VALU_DEP_1)
	v_add3_u32 v147, v0, v1, 0x7fff
                                        ; implicit-def: $vgpr0
; %bb.1387:                             ;   in Loop: Header=BB396_611 Depth=1
	s_and_not1_saveexec_b32 s10, s0
; %bb.1388:                             ;   in Loop: Header=BB396_611 Depth=1
	v_and_b32_e32 v1, 0xffff, v0
	v_or_b32_e32 v10, 0x10000, v0
	s_delay_alu instid0(VALU_DEP_2) | instskip(NEXT) | instid1(VALU_DEP_1)
	v_cmp_eq_u32_e64 s0, 0, v1
	v_cndmask_b32_e64 v147, v10, v0, s0
; %bb.1389:                             ;   in Loop: Header=BB396_611 Depth=1
	s_or_b32 exec_lo, exec_lo, s10
	v_lshrrev_b32_e32 v146, 16, v2
	v_lshrrev_b32_e32 v145, 16, v145
	;; [unrolled: 1-line block ×8, first 2 shown]
	s_and_saveexec_b32 s0, vcc_lo
	s_cbranch_execz .LBB396_1391
; %bb.1390:                             ;   in Loop: Header=BB396_611 Depth=1
	v_cmp_lt_i32_e32 vcc_lo, v48, v32
	v_cndmask_b32_e32 v0, 0, v0, vcc_lo
	v_cmp_lt_i32_e32 vcc_lo, v54, v32
	v_cndmask_b32_e32 v1, 0, v1, vcc_lo
	;; [unrolled: 2-line block ×8, first 2 shown]
.LBB396_1391:                           ;   in Loop: Header=BB396_611 Depth=1
	s_or_b32 exec_lo, exec_lo, s0
	v_lshlrev_b32_e32 v0, 16, v0
	s_delay_alu instid0(VALU_DEP_1) | instskip(NEXT) | instid1(VALU_DEP_1)
	v_mul_f32_e32 v48, v55, v0
	v_and_b32_e32 v0, 0x7f800000, v48
	s_delay_alu instid0(VALU_DEP_1) | instskip(SKIP_1) | instid1(SALU_CYCLE_1)
	v_cmp_ne_u32_e32 vcc_lo, 0x7f800000, v0
                                        ; implicit-def: $vgpr0
	s_and_saveexec_b32 s0, vcc_lo
	s_xor_b32 s0, exec_lo, s0
; %bb.1392:                             ;   in Loop: Header=BB396_611 Depth=1
	v_bfe_u32 v0, v48, 16, 1
	s_delay_alu instid0(VALU_DEP_1)
	v_add3_u32 v0, v48, v0, 0x7fff
                                        ; implicit-def: $vgpr48
; %bb.1393:                             ;   in Loop: Header=BB396_611 Depth=1
	s_and_not1_saveexec_b32 s0, s0
; %bb.1394:                             ;   in Loop: Header=BB396_611 Depth=1
	v_and_b32_e32 v0, 0xffff, v48
	v_or_b32_e32 v49, 0x10000, v48
	s_delay_alu instid0(VALU_DEP_2) | instskip(NEXT) | instid1(VALU_DEP_2)
	v_cmp_eq_u32_e32 vcc_lo, 0, v0
	v_cndmask_b32_e32 v0, v49, v48, vcc_lo
; %bb.1395:                             ;   in Loop: Header=BB396_611 Depth=1
	s_or_b32 exec_lo, exec_lo, s0
	v_lshlrev_b32_e32 v1, 16, v1
	s_delay_alu instid0(VALU_DEP_1) | instskip(NEXT) | instid1(VALU_DEP_1)
	v_mul_f32_e32 v48, v64, v1
	v_and_b32_e32 v1, 0x7f800000, v48
	s_delay_alu instid0(VALU_DEP_1) | instskip(SKIP_1) | instid1(SALU_CYCLE_1)
	v_cmp_ne_u32_e32 vcc_lo, 0x7f800000, v1
                                        ; implicit-def: $vgpr1
	s_and_saveexec_b32 s0, vcc_lo
	s_xor_b32 s0, exec_lo, s0
; %bb.1396:                             ;   in Loop: Header=BB396_611 Depth=1
	v_bfe_u32 v1, v48, 16, 1
	s_delay_alu instid0(VALU_DEP_1)
	v_add3_u32 v1, v48, v1, 0x7fff
                                        ; implicit-def: $vgpr48
; %bb.1397:                             ;   in Loop: Header=BB396_611 Depth=1
	s_and_not1_saveexec_b32 s0, s0
; %bb.1398:                             ;   in Loop: Header=BB396_611 Depth=1
	v_and_b32_e32 v1, 0xffff, v48
	v_or_b32_e32 v49, 0x10000, v48
	s_delay_alu instid0(VALU_DEP_2) | instskip(NEXT) | instid1(VALU_DEP_2)
	v_cmp_eq_u32_e32 vcc_lo, 0, v1
	v_cndmask_b32_e32 v1, v49, v48, vcc_lo
; %bb.1399:                             ;   in Loop: Header=BB396_611 Depth=1
	s_or_b32 exec_lo, exec_lo, s0
	v_lshlrev_b32_e32 v2, 16, v2
	s_delay_alu instid0(VALU_DEP_1) | instskip(NEXT) | instid1(VALU_DEP_1)
	v_mul_f32_e32 v48, v65, v2
	v_and_b32_e32 v2, 0x7f800000, v48
	s_delay_alu instid0(VALU_DEP_1) | instskip(SKIP_1) | instid1(SALU_CYCLE_1)
	v_cmp_ne_u32_e32 vcc_lo, 0x7f800000, v2
                                        ; implicit-def: $vgpr2
	s_and_saveexec_b32 s0, vcc_lo
	s_xor_b32 s0, exec_lo, s0
; %bb.1400:                             ;   in Loop: Header=BB396_611 Depth=1
	v_bfe_u32 v2, v48, 16, 1
	s_delay_alu instid0(VALU_DEP_1)
	v_add3_u32 v2, v48, v2, 0x7fff
                                        ; implicit-def: $vgpr48
; %bb.1401:                             ;   in Loop: Header=BB396_611 Depth=1
	s_and_not1_saveexec_b32 s0, s0
; %bb.1402:                             ;   in Loop: Header=BB396_611 Depth=1
	v_and_b32_e32 v2, 0xffff, v48
	v_or_b32_e32 v49, 0x10000, v48
	s_delay_alu instid0(VALU_DEP_2) | instskip(NEXT) | instid1(VALU_DEP_2)
	v_cmp_eq_u32_e32 vcc_lo, 0, v2
	v_cndmask_b32_e32 v2, v49, v48, vcc_lo
; %bb.1403:                             ;   in Loop: Header=BB396_611 Depth=1
	s_or_b32 exec_lo, exec_lo, s0
	v_lshlrev_b32_e32 v10, 16, v10
	s_delay_alu instid0(VALU_DEP_1) | instskip(NEXT) | instid1(VALU_DEP_1)
	v_mul_f32_e32 v48, v66, v10
	v_and_b32_e32 v10, 0x7f800000, v48
	s_delay_alu instid0(VALU_DEP_1) | instskip(SKIP_1) | instid1(SALU_CYCLE_1)
	v_cmp_ne_u32_e32 vcc_lo, 0x7f800000, v10
                                        ; implicit-def: $vgpr10
	s_and_saveexec_b32 s0, vcc_lo
	s_xor_b32 s0, exec_lo, s0
; %bb.1404:                             ;   in Loop: Header=BB396_611 Depth=1
	v_bfe_u32 v10, v48, 16, 1
	s_delay_alu instid0(VALU_DEP_1)
	v_add3_u32 v10, v48, v10, 0x7fff
                                        ; implicit-def: $vgpr48
; %bb.1405:                             ;   in Loop: Header=BB396_611 Depth=1
	s_and_not1_saveexec_b32 s0, s0
; %bb.1406:                             ;   in Loop: Header=BB396_611 Depth=1
	v_and_b32_e32 v10, 0xffff, v48
	v_or_b32_e32 v49, 0x10000, v48
	s_delay_alu instid0(VALU_DEP_2) | instskip(NEXT) | instid1(VALU_DEP_2)
	v_cmp_eq_u32_e32 vcc_lo, 0, v10
	v_cndmask_b32_e32 v10, v49, v48, vcc_lo
; %bb.1407:                             ;   in Loop: Header=BB396_611 Depth=1
	s_or_b32 exec_lo, exec_lo, s0
	v_lshlrev_b32_e32 v48, 16, v145
	s_delay_alu instid0(VALU_DEP_1) | instskip(NEXT) | instid1(VALU_DEP_1)
	v_mul_f32_e32 v49, v67, v48
	v_and_b32_e32 v48, 0x7f800000, v49
	s_delay_alu instid0(VALU_DEP_1) | instskip(SKIP_1) | instid1(SALU_CYCLE_1)
	v_cmp_ne_u32_e32 vcc_lo, 0x7f800000, v48
                                        ; implicit-def: $vgpr48
	s_and_saveexec_b32 s0, vcc_lo
	s_xor_b32 s0, exec_lo, s0
; %bb.1408:                             ;   in Loop: Header=BB396_611 Depth=1
	v_bfe_u32 v48, v49, 16, 1
	s_delay_alu instid0(VALU_DEP_1)
	v_add3_u32 v48, v49, v48, 0x7fff
                                        ; implicit-def: $vgpr49
; %bb.1409:                             ;   in Loop: Header=BB396_611 Depth=1
	s_and_not1_saveexec_b32 s0, s0
; %bb.1410:                             ;   in Loop: Header=BB396_611 Depth=1
	v_and_b32_e32 v48, 0xffff, v49
	v_or_b32_e32 v50, 0x10000, v49
	s_delay_alu instid0(VALU_DEP_2) | instskip(NEXT) | instid1(VALU_DEP_2)
	v_cmp_eq_u32_e32 vcc_lo, 0, v48
	v_cndmask_b32_e32 v48, v50, v49, vcc_lo
; %bb.1411:                             ;   in Loop: Header=BB396_611 Depth=1
	s_or_b32 exec_lo, exec_lo, s0
	v_lshlrev_b32_e32 v49, 16, v146
	s_delay_alu instid0(VALU_DEP_1) | instskip(NEXT) | instid1(VALU_DEP_1)
	v_mul_f32_e32 v50, v68, v49
	v_and_b32_e32 v49, 0x7f800000, v50
	s_delay_alu instid0(VALU_DEP_1) | instskip(SKIP_1) | instid1(SALU_CYCLE_1)
	v_cmp_ne_u32_e32 vcc_lo, 0x7f800000, v49
                                        ; implicit-def: $vgpr49
	s_and_saveexec_b32 s0, vcc_lo
	s_xor_b32 s0, exec_lo, s0
; %bb.1412:                             ;   in Loop: Header=BB396_611 Depth=1
	v_bfe_u32 v49, v50, 16, 1
	s_delay_alu instid0(VALU_DEP_1)
	v_add3_u32 v49, v50, v49, 0x7fff
                                        ; implicit-def: $vgpr50
; %bb.1413:                             ;   in Loop: Header=BB396_611 Depth=1
	s_and_not1_saveexec_b32 s0, s0
; %bb.1414:                             ;   in Loop: Header=BB396_611 Depth=1
	v_and_b32_e32 v49, 0xffff, v50
	v_or_b32_e32 v51, 0x10000, v50
	s_delay_alu instid0(VALU_DEP_2) | instskip(NEXT) | instid1(VALU_DEP_2)
	v_cmp_eq_u32_e32 vcc_lo, 0, v49
	v_cndmask_b32_e32 v49, v51, v50, vcc_lo
; %bb.1415:                             ;   in Loop: Header=BB396_611 Depth=1
	s_or_b32 exec_lo, exec_lo, s0
	v_lshlrev_b32_e32 v50, 16, v133
	s_delay_alu instid0(VALU_DEP_1) | instskip(NEXT) | instid1(VALU_DEP_1)
	v_mul_f32_e32 v51, v69, v50
	v_and_b32_e32 v50, 0x7f800000, v51
	s_delay_alu instid0(VALU_DEP_1) | instskip(SKIP_1) | instid1(SALU_CYCLE_1)
	v_cmp_ne_u32_e32 vcc_lo, 0x7f800000, v50
                                        ; implicit-def: $vgpr50
	s_and_saveexec_b32 s0, vcc_lo
	s_xor_b32 s0, exec_lo, s0
; %bb.1416:                             ;   in Loop: Header=BB396_611 Depth=1
	v_bfe_u32 v50, v51, 16, 1
	s_delay_alu instid0(VALU_DEP_1)
	v_add3_u32 v50, v51, v50, 0x7fff
                                        ; implicit-def: $vgpr51
; %bb.1417:                             ;   in Loop: Header=BB396_611 Depth=1
	s_and_not1_saveexec_b32 s0, s0
; %bb.1418:                             ;   in Loop: Header=BB396_611 Depth=1
	v_and_b32_e32 v50, 0xffff, v51
	v_or_b32_e32 v52, 0x10000, v51
	s_delay_alu instid0(VALU_DEP_2) | instskip(NEXT) | instid1(VALU_DEP_2)
	v_cmp_eq_u32_e32 vcc_lo, 0, v50
	v_cndmask_b32_e32 v50, v52, v51, vcc_lo
; %bb.1419:                             ;   in Loop: Header=BB396_611 Depth=1
	s_or_b32 exec_lo, exec_lo, s0
	v_lshlrev_b32_e32 v3, 16, v3
	s_delay_alu instid0(VALU_DEP_1) | instskip(NEXT) | instid1(VALU_DEP_1)
	v_mul_f32_e32 v51, v70, v3
	v_and_b32_e32 v3, 0x7f800000, v51
	s_delay_alu instid0(VALU_DEP_1) | instskip(SKIP_1) | instid1(SALU_CYCLE_1)
	v_cmp_ne_u32_e32 vcc_lo, 0x7f800000, v3
                                        ; implicit-def: $vgpr3
	s_and_saveexec_b32 s0, vcc_lo
	s_xor_b32 s0, exec_lo, s0
; %bb.1420:                             ;   in Loop: Header=BB396_611 Depth=1
	v_bfe_u32 v3, v51, 16, 1
	s_delay_alu instid0(VALU_DEP_1)
	v_add3_u32 v3, v51, v3, 0x7fff
                                        ; implicit-def: $vgpr51
; %bb.1421:                             ;   in Loop: Header=BB396_611 Depth=1
	s_and_not1_saveexec_b32 s0, s0
	s_cbranch_execz .LBB396_610
; %bb.1422:                             ;   in Loop: Header=BB396_611 Depth=1
	v_and_b32_e32 v3, 0xffff, v51
	v_or_b32_e32 v52, 0x10000, v51
	s_delay_alu instid0(VALU_DEP_2) | instskip(NEXT) | instid1(VALU_DEP_2)
	v_cmp_eq_u32_e32 vcc_lo, 0, v3
	v_cndmask_b32_e32 v3, v52, v51, vcc_lo
	s_branch .LBB396_610
.LBB396_1423:
	s_or_b32 exec_lo, exec_lo, s5
	v_dual_mov_b32 v0, s6 :: v_dual_mov_b32 v1, s7
.LBB396_1424:
	s_or_b32 exec_lo, exec_lo, s3
	s_delay_alu instid0(VALU_DEP_1)
	v_lshlrev_b64 v[0:1], 2, v[0:1]
	s_getpc_b64 s[6:7]
	s_add_u32 s6, s6, llvm.amdgcn.dynlds.offset.table@rel32@lo+4
	s_addc_u32 s7, s7, llvm.amdgcn.dynlds.offset.table@rel32@hi+12
	s_waitcnt lgkmcnt(0)
	s_waitcnt_vscnt null, 0x0
	s_barrier
	buffer_gl0_inv
	s_mov_b32 s0, exec_lo
	v_add_co_u32 v0, vcc_lo, v0, s6
	v_add_co_ci_u32_e32 v1, vcc_lo, s7, v1, vcc_lo
	global_load_b32 v0, v[0:1], off
	v_and_b32_e32 v1, 0x3c0, v30
	s_waitcnt vmcnt(0)
	v_mad_u32_u24 v0, 0x300, v33, v0
	s_delay_alu instid0(VALU_DEP_2)
	v_cmpx_eq_u32_e32 64, v1
	s_cbranch_execz .LBB396_1426
; %bb.1425:
	s_delay_alu instid0(VALU_DEP_2) | instskip(SKIP_1) | instid1(VALU_DEP_2)
	v_add_nc_u32_e32 v1, 0xfffffa00, v0
	v_lshl_or_b32 v2, v30, 2, 0x180
	v_lshl_add_u32 v3, v20, 2, v1
	s_delay_alu instid0(VALU_DEP_2)
	v_add_nc_u32_e32 v1, v1, v2
	ds_store_2addr_b32 v3, v28, v25 offset1:32
	ds_store_b32 v1, v23
	ds_store_2addr_stride64_b32 v3, v24, v21 offset0:1 offset1:2
	ds_store_b32 v3, v6 offset:640
.LBB396_1426:
	s_or_b32 exec_lo, exec_lo, s0
	s_delay_alu instid0(VALU_DEP_2)
	v_lshl_add_u32 v1, v20, 2, v0
	s_mov_b32 s0, exec_lo
	s_waitcnt lgkmcnt(0)
	s_barrier
	buffer_gl0_inv
	v_cmpx_gt_u32_e32 64, v30
	s_cbranch_execz .LBB396_1428
; %bb.1427:
	v_or_b32_e32 v2, 0x80, v31
	v_or_b32_e32 v3, 0x180, v31
	;; [unrolled: 1-line block ×3, first 2 shown]
	s_delay_alu instid0(VALU_DEP_3) | instskip(NEXT) | instid1(VALU_DEP_3)
	v_add_nc_u32_e32 v8, v0, v2
	v_add_nc_u32_e32 v9, v0, v3
	s_delay_alu instid0(VALU_DEP_3)
	v_add_nc_u32_e32 v7, v0, v7
	ds_load_2addr_stride64_b32 v[2:3], v1 offset1:1
	ds_load_b32 v10, v1 offset:512
	ds_load_b32 v8, v8
	ds_load_b32 v9, v9
	;; [unrolled: 1-line block ×3, first 2 shown]
	s_waitcnt lgkmcnt(4)
	v_add_f32_e32 v28, v28, v2
	s_waitcnt lgkmcnt(3)
	v_dual_add_f32 v24, v24, v3 :: v_dual_add_f32 v21, v21, v10
	s_waitcnt lgkmcnt(2)
	v_add_f32_e32 v25, v25, v8
	s_waitcnt lgkmcnt(0)
	v_dual_add_f32 v23, v23, v9 :: v_dual_add_f32 v6, v6, v7
.LBB396_1428:
	s_or_b32 exec_lo, exec_lo, s0
	v_and_b32_e32 v2, 0x3e0, v30
	s_mov_b32 s0, exec_lo
	s_barrier
	buffer_gl0_inv
	v_cmpx_eq_u32_e32 32, v2
	s_cbranch_execz .LBB396_1430
; %bb.1429:
	v_add_nc_u32_e32 v2, 0xfffffd00, v0
	v_or_b32_e32 v3, 0x180, v31
	v_or_b32_e32 v7, 0x280, v31
	s_delay_alu instid0(VALU_DEP_3) | instskip(SKIP_1) | instid1(VALU_DEP_4)
	v_lshl_add_u32 v8, v20, 2, v2
	v_add_nc_u32_e32 v9, v2, v31
	v_add_nc_u32_e32 v3, v2, v3
	s_delay_alu instid0(VALU_DEP_4)
	v_add_nc_u32_e32 v2, v2, v7
	ds_store_b32 v8, v28
	ds_store_b32 v9, v25
	;; [unrolled: 1-line block ×3, first 2 shown]
	ds_store_2addr_stride64_b32 v8, v24, v21 offset0:1 offset1:2
	ds_store_b32 v2, v6
.LBB396_1430:
	s_or_b32 exec_lo, exec_lo, s0
	v_cmp_gt_u32_e32 vcc_lo, 32, v30
	s_waitcnt lgkmcnt(0)
	s_barrier
	buffer_gl0_inv
	s_and_saveexec_b32 s0, vcc_lo
	s_cbranch_execz .LBB396_1432
; %bb.1431:
	v_lshl_add_u32 v7, v30, 2, v0
	ds_load_b32 v8, v1
	ds_load_2addr_b32 v[0:1], v7 offset0:32 offset1:64
	ds_load_2addr_b32 v[2:3], v7 offset0:96 offset1:128
	ds_load_b32 v7, v7 offset:640
	s_waitcnt lgkmcnt(3)
	v_add_f32_e32 v28, v28, v8
	s_waitcnt lgkmcnt(2)
	v_dual_add_f32 v25, v25, v0 :: v_dual_add_f32 v24, v24, v1
	s_waitcnt lgkmcnt(1)
	v_add_f32_e32 v23, v23, v2
	v_add_f32_e32 v21, v21, v3
	s_waitcnt lgkmcnt(0)
	v_add_f32_e32 v6, v6, v7
.LBB396_1432:
	s_or_b32 exec_lo, exec_lo, s0
	s_barrier
	buffer_gl0_inv
	s_and_b32 exec_lo, exec_lo, vcc_lo
	s_cbranch_execz .LBB396_1458
; %bb.1433:
	v_and_b32_e32 v0, 0x7f800000, v28
	s_delay_alu instid0(VALU_DEP_1) | instskip(SKIP_1) | instid1(SALU_CYCLE_1)
	v_cmp_ne_u32_e32 vcc_lo, 0x7f800000, v0
                                        ; implicit-def: $vgpr0
	s_and_saveexec_b32 s0, vcc_lo
	s_xor_b32 s0, exec_lo, s0
; %bb.1434:
	v_bfe_u32 v0, v28, 16, 1
	s_delay_alu instid0(VALU_DEP_1)
	v_add3_u32 v0, v28, v0, 0x7fff
; %bb.1435:
	s_and_not1_saveexec_b32 s0, s0
; %bb.1436:
	v_and_b32_e32 v0, 0xffff, v28
	v_or_b32_e32 v1, 0x10000, v28
	s_delay_alu instid0(VALU_DEP_2) | instskip(NEXT) | instid1(VALU_DEP_2)
	v_cmp_eq_u32_e32 vcc_lo, 0, v0
	v_cndmask_b32_e32 v0, v1, v28, vcc_lo
; %bb.1437:
	s_or_b32 exec_lo, exec_lo, s0
	s_mul_i32 s0, s2, 0xc0
	s_mul_i32 s2, s4, s1
	s_mul_i32 s4, s14, 0xc0
	s_ashr_i32 s3, s2, 31
	s_ashr_i32 s5, s4, 31
	;; [unrolled: 1-line block ×3, first 2 shown]
	s_lshl_b64 s[2:3], s[2:3], 1
	s_lshl_b64 s[4:5], s[4:5], 1
	;; [unrolled: 1-line block ×3, first 2 shown]
	s_add_u32 s2, s4, s2
	s_addc_u32 s3, s5, s3
	s_add_u32 s0, s2, s0
	s_addc_u32 s1, s3, s1
	v_lshlrev_b32_e32 v1, 1, v30
	v_add_co_u32 v2, vcc_lo, s0, v4
	v_add_co_ci_u32_e32 v3, vcc_lo, s1, v5, vcc_lo
	v_and_b32_e32 v4, 0x7f800000, v25
	s_delay_alu instid0(VALU_DEP_3) | instskip(NEXT) | instid1(VALU_DEP_3)
	v_add_co_u32 v7, vcc_lo, v2, v1
	v_add_co_ci_u32_e32 v8, vcc_lo, 0, v3, vcc_lo
	s_mov_b32 s0, exec_lo
	flat_store_d16_hi_b16 v[7:8], v0
                                        ; implicit-def: $vgpr0
	v_cmpx_ne_u32_e32 0x7f800000, v4
	s_xor_b32 s0, exec_lo, s0
; %bb.1438:
	v_bfe_u32 v0, v25, 16, 1
	s_delay_alu instid0(VALU_DEP_1)
	v_add3_u32 v0, v25, v0, 0x7fff
; %bb.1439:
	s_and_not1_saveexec_b32 s0, s0
; %bb.1440:
	v_and_b32_e32 v0, 0xffff, v25
	v_or_b32_e32 v1, 0x10000, v25
	s_delay_alu instid0(VALU_DEP_2) | instskip(NEXT) | instid1(VALU_DEP_2)
	v_cmp_eq_u32_e32 vcc_lo, 0, v0
	v_cndmask_b32_e32 v0, v1, v25, vcc_lo
; %bb.1441:
	s_or_b32 exec_lo, exec_lo, s0
	v_and_b32_e32 v1, 0x7f800000, v24
	s_mov_b32 s0, exec_lo
	flat_store_d16_hi_b16 v[7:8], v0 offset:64
                                        ; implicit-def: $vgpr0
	v_cmpx_ne_u32_e32 0x7f800000, v1
	s_xor_b32 s0, exec_lo, s0
; %bb.1442:
	v_bfe_u32 v0, v24, 16, 1
	s_delay_alu instid0(VALU_DEP_1)
	v_add3_u32 v0, v24, v0, 0x7fff
; %bb.1443:
	s_and_not1_saveexec_b32 s0, s0
; %bb.1444:
	v_and_b32_e32 v0, 0xffff, v24
	v_or_b32_e32 v1, 0x10000, v24
	s_delay_alu instid0(VALU_DEP_2) | instskip(NEXT) | instid1(VALU_DEP_2)
	v_cmp_eq_u32_e32 vcc_lo, 0, v0
	v_cndmask_b32_e32 v0, v1, v24, vcc_lo
; %bb.1445:
	s_or_b32 exec_lo, exec_lo, s0
	v_and_b32_e32 v1, 0x7f800000, v23
	s_mov_b32 s0, exec_lo
	flat_store_d16_hi_b16 v[7:8], v0 offset:128
	;; [unrolled: 20-line block ×4, first 2 shown]
                                        ; implicit-def: $vgpr0
	v_cmpx_ne_u32_e32 0x7f800000, v1
	s_xor_b32 s0, exec_lo, s0
; %bb.1454:
	v_bfe_u32 v0, v6, 16, 1
	s_delay_alu instid0(VALU_DEP_1)
	v_add3_u32 v0, v6, v0, 0x7fff
                                        ; implicit-def: $vgpr1_vgpr2_vgpr3_vgpr4_vgpr5_vgpr6
; %bb.1455:
	s_and_not1_saveexec_b32 s0, s0
; %bb.1456:
	v_and_b32_e32 v0, 0xffff, v6
	v_or_b32_e32 v1, 0x10000, v6
	s_delay_alu instid0(VALU_DEP_2) | instskip(NEXT) | instid1(VALU_DEP_2)
	v_cmp_eq_u32_e32 vcc_lo, 0, v0
	v_cndmask_b32_e32 v0, v1, v6, vcc_lo
; %bb.1457:
	s_or_b32 exec_lo, exec_lo, s0
	flat_store_d16_hi_b16 v[7:8], v0 offset:320
.LBB396_1458:
	s_or_b32 exec_lo, exec_lo, s11
	s_clause 0x1f
	scratch_load_b32 v105, off, s32
	scratch_load_b32 v104, off, s32 offset:4
	scratch_load_b32 v95, off, s32 offset:8
	;; [unrolled: 1-line block ×31, first 2 shown]
	s_clause 0x1
	scratch_load_b32 v41, off, s32 offset:128
	scratch_load_b32 v40, off, s32 offset:132
	s_waitcnt vmcnt(0) lgkmcnt(0)
	s_setpc_b64 s[30:31]
.Lfunc_end396:
	.size	_ZN4vllm22paged_attention_kernelI14__hip_bfloat16hLi192ELi8ELi128ELNS_18Fp8KVCacheDataTypeE1ELb0ELi512EEEvPfS3_PT_PKS4_PKT0_SA_ifPKiSC_iPKfiiiSE_SE_iiiii, .Lfunc_end396-_ZN4vllm22paged_attention_kernelI14__hip_bfloat16hLi192ELi8ELi128ELNS_18Fp8KVCacheDataTypeE1ELb0ELi512EEEvPfS3_PT_PKS4_PKT0_SA_ifPKiSC_iPKfiiiSE_SE_iiiii
                                        ; -- End function
	.section	.AMDGPU.csdata,"",@progbits
; Function info:
; codeLenInByte = 45484
; NumSgprs: 35
; NumVgprs: 184
; ScratchSize: 140
; MemoryBound: 0
	.section	.text._ZN4vllm25paged_attention_v2_kernelI14__hip_bfloat16hLi192ELi8ELi128ELNS_18Fp8KVCacheDataTypeE1ELb0ELi512EEEvPfS3_PT_PKS4_PKT0_SA_ifPKiSC_iPKfiiiSE_SE_iiiii,"axG",@progbits,_ZN4vllm25paged_attention_v2_kernelI14__hip_bfloat16hLi192ELi8ELi128ELNS_18Fp8KVCacheDataTypeE1ELb0ELi512EEEvPfS3_PT_PKS4_PKT0_SA_ifPKiSC_iPKfiiiSE_SE_iiiii,comdat
	.protected	_ZN4vllm25paged_attention_v2_kernelI14__hip_bfloat16hLi192ELi8ELi128ELNS_18Fp8KVCacheDataTypeE1ELb0ELi512EEEvPfS3_PT_PKS4_PKT0_SA_ifPKiSC_iPKfiiiSE_SE_iiiii ; -- Begin function _ZN4vllm25paged_attention_v2_kernelI14__hip_bfloat16hLi192ELi8ELi128ELNS_18Fp8KVCacheDataTypeE1ELb0ELi512EEEvPfS3_PT_PKS4_PKT0_SA_ifPKiSC_iPKfiiiSE_SE_iiiii
	.globl	_ZN4vllm25paged_attention_v2_kernelI14__hip_bfloat16hLi192ELi8ELi128ELNS_18Fp8KVCacheDataTypeE1ELb0ELi512EEEvPfS3_PT_PKS4_PKT0_SA_ifPKiSC_iPKfiiiSE_SE_iiiii
	.p2align	8
	.type	_ZN4vllm25paged_attention_v2_kernelI14__hip_bfloat16hLi192ELi8ELi128ELNS_18Fp8KVCacheDataTypeE1ELb0ELi512EEEvPfS3_PT_PKS4_PKT0_SA_ifPKiSC_iPKfiiiSE_SE_iiiii,@function
_ZN4vllm25paged_attention_v2_kernelI14__hip_bfloat16hLi192ELi8ELi128ELNS_18Fp8KVCacheDataTypeE1ELb0ELi512EEEvPfS3_PT_PKS4_PKT0_SA_ifPKiSC_iPKfiiiSE_SE_iiiii: ; @_ZN4vllm25paged_attention_v2_kernelI14__hip_bfloat16hLi192ELi8ELi128ELNS_18Fp8KVCacheDataTypeE1ELb0ELi512EEEvPfS3_PT_PKS4_PKT0_SA_ifPKiSC_iPKfiiiSE_SE_iiiii
; %bb.0:
	s_clause 0x5
	s_load_b256 s[24:31], s[0:1], 0x0
	s_load_b256 s[16:23], s[0:1], 0x20
	s_load_b64 s[2:3], s[0:1], 0x40
	s_load_b64 s[4:5], s[0:1], 0x50
	s_load_b32 s6, s[0:1], 0x48
	s_load_b256 s[36:43], s[0:1], 0x58
	v_mov_b32_e32 v31, v0
	s_add_u32 s8, s0, 0x90
	s_mov_b32 s12, s13
	s_addc_u32 s9, s1, 0
	s_mov_b32 s13, s14
	s_mov_b32 s14, s15
	;; [unrolled: 1-line block ×4, first 2 shown]
	s_getpc_b64 s[0:1]
	s_add_u32 s0, s0, _ZN4vllm22paged_attention_kernelI14__hip_bfloat16hLi192ELi8ELi128ELNS_18Fp8KVCacheDataTypeE1ELb0ELi512EEEvPfS3_PT_PKS4_PKT0_SA_ifPKiSC_iPKfiiiSE_SE_iiiii@rel32@lo+4
	s_addc_u32 s1, s1, _ZN4vllm22paged_attention_kernelI14__hip_bfloat16hLi192ELi8ELi128ELNS_18Fp8KVCacheDataTypeE1ELb0ELi512EEEvPfS3_PT_PKS4_PKT0_SA_ifPKiSC_iPKfiiiSE_SE_iiiii@rel32@hi+12
	s_waitcnt lgkmcnt(0)
	v_dual_mov_b32 v0, s24 :: v_dual_mov_b32 v1, s25
	v_dual_mov_b32 v2, s26 :: v_dual_mov_b32 v3, s27
	;; [unrolled: 1-line block ×14, first 2 shown]
	s_swappc_b64 s[30:31], s[0:1]
	s_endpgm
	.section	.rodata,"a",@progbits
	.p2align	6, 0x0
	.amdhsa_kernel _ZN4vllm25paged_attention_v2_kernelI14__hip_bfloat16hLi192ELi8ELi128ELNS_18Fp8KVCacheDataTypeE1ELb0ELi512EEEvPfS3_PT_PKS4_PKT0_SA_ifPKiSC_iPKfiiiSE_SE_iiiii
		.amdhsa_group_segment_fixed_size 416
		.amdhsa_private_segment_fixed_size 140
		.amdhsa_kernarg_size 400
		.amdhsa_user_sgpr_count 13
		.amdhsa_user_sgpr_dispatch_ptr 0
		.amdhsa_user_sgpr_queue_ptr 0
		.amdhsa_user_sgpr_kernarg_segment_ptr 1
		.amdhsa_user_sgpr_dispatch_id 0
		.amdhsa_user_sgpr_private_segment_size 0
		.amdhsa_wavefront_size32 1
		.amdhsa_uses_dynamic_stack 0
		.amdhsa_enable_private_segment 1
		.amdhsa_system_sgpr_workgroup_id_x 1
		.amdhsa_system_sgpr_workgroup_id_y 1
		.amdhsa_system_sgpr_workgroup_id_z 1
		.amdhsa_system_sgpr_workgroup_info 0
		.amdhsa_system_vgpr_workitem_id 0
		.amdhsa_next_free_vgpr 184
		.amdhsa_next_free_sgpr 44
		.amdhsa_reserve_vcc 1
		.amdhsa_float_round_mode_32 0
		.amdhsa_float_round_mode_16_64 0
		.amdhsa_float_denorm_mode_32 3
		.amdhsa_float_denorm_mode_16_64 3
		.amdhsa_dx10_clamp 1
		.amdhsa_ieee_mode 1
		.amdhsa_fp16_overflow 0
		.amdhsa_workgroup_processor_mode 1
		.amdhsa_memory_ordered 1
		.amdhsa_forward_progress 0
		.amdhsa_shared_vgpr_count 0
		.amdhsa_exception_fp_ieee_invalid_op 0
		.amdhsa_exception_fp_denorm_src 0
		.amdhsa_exception_fp_ieee_div_zero 0
		.amdhsa_exception_fp_ieee_overflow 0
		.amdhsa_exception_fp_ieee_underflow 0
		.amdhsa_exception_fp_ieee_inexact 0
		.amdhsa_exception_int_div_zero 0
	.end_amdhsa_kernel
	.section	.text._ZN4vllm25paged_attention_v2_kernelI14__hip_bfloat16hLi192ELi8ELi128ELNS_18Fp8KVCacheDataTypeE1ELb0ELi512EEEvPfS3_PT_PKS4_PKT0_SA_ifPKiSC_iPKfiiiSE_SE_iiiii,"axG",@progbits,_ZN4vllm25paged_attention_v2_kernelI14__hip_bfloat16hLi192ELi8ELi128ELNS_18Fp8KVCacheDataTypeE1ELb0ELi512EEEvPfS3_PT_PKS4_PKT0_SA_ifPKiSC_iPKfiiiSE_SE_iiiii,comdat
.Lfunc_end397:
	.size	_ZN4vllm25paged_attention_v2_kernelI14__hip_bfloat16hLi192ELi8ELi128ELNS_18Fp8KVCacheDataTypeE1ELb0ELi512EEEvPfS3_PT_PKS4_PKT0_SA_ifPKiSC_iPKfiiiSE_SE_iiiii, .Lfunc_end397-_ZN4vllm25paged_attention_v2_kernelI14__hip_bfloat16hLi192ELi8ELi128ELNS_18Fp8KVCacheDataTypeE1ELb0ELi512EEEvPfS3_PT_PKS4_PKT0_SA_ifPKiSC_iPKfiiiSE_SE_iiiii
                                        ; -- End function
	.section	.AMDGPU.csdata,"",@progbits
; Kernel info:
; codeLenInByte = 232
; NumSgprs: 46
; NumVgprs: 184
; ScratchSize: 140
; MemoryBound: 0
; FloatMode: 240
; IeeeMode: 1
; LDSByteSize: 416 bytes/workgroup (compile time only)
; SGPRBlocks: 5
; VGPRBlocks: 22
; NumSGPRsForWavesPerEU: 46
; NumVGPRsForWavesPerEU: 184
; Occupancy: 8
; WaveLimiterHint : 1
; COMPUTE_PGM_RSRC2:SCRATCH_EN: 1
; COMPUTE_PGM_RSRC2:USER_SGPR: 13
; COMPUTE_PGM_RSRC2:TRAP_HANDLER: 0
; COMPUTE_PGM_RSRC2:TGID_X_EN: 1
; COMPUTE_PGM_RSRC2:TGID_Y_EN: 1
; COMPUTE_PGM_RSRC2:TGID_Z_EN: 1
; COMPUTE_PGM_RSRC2:TIDIG_COMP_CNT: 0
	.text
	.p2align	2                               ; -- Begin function _ZN4vllm22paged_attention_kernelI14__hip_bfloat16hLi256ELi8ELi128ELNS_18Fp8KVCacheDataTypeE1ELb0ELi512EEEvPfS3_PT_PKS4_PKT0_SA_ifPKiSC_iPKfiiiSE_SE_iiiii
	.type	_ZN4vllm22paged_attention_kernelI14__hip_bfloat16hLi256ELi8ELi128ELNS_18Fp8KVCacheDataTypeE1ELb0ELi512EEEvPfS3_PT_PKS4_PKT0_SA_ifPKiSC_iPKfiiiSE_SE_iiiii,@function
_ZN4vllm22paged_attention_kernelI14__hip_bfloat16hLi256ELi8ELi128ELNS_18Fp8KVCacheDataTypeE1ELb0ELi512EEEvPfS3_PT_PKS4_PKT0_SA_ifPKiSC_iPKfiiiSE_SE_iiiii: ; @_ZN4vllm22paged_attention_kernelI14__hip_bfloat16hLi256ELi8ELi128ELNS_18Fp8KVCacheDataTypeE1ELb0ELi512EEEvPfS3_PT_PKS4_PKT0_SA_ifPKiSC_iPKfiiiSE_SE_iiiii
; %bb.0:
	s_waitcnt vmcnt(0) expcnt(0) lgkmcnt(0)
	s_clause 0x1f
	scratch_store_b32 off, v40, s32 offset:260
	; meta instruction
	scratch_store_b32 off, v41, s32 offset:256
	; meta instruction
	;; [unrolled: 2-line block ×31, first 2 shown]
	scratch_store_b32 off, v95, s32 offset:136
	s_clause 0x1f
	scratch_store_b32 off, v104, s32 offset:132
	; meta instruction
	scratch_store_b32 off, v105, s32 offset:128
	; meta instruction
	;; [unrolled: 2-line block ×31, first 2 shown]
	scratch_store_b32 off, v159, s32 offset:8
	s_clause 0x1
	scratch_store_b32 off, v168, s32 offset:4
	; meta instruction
	scratch_store_b32 off, v169, s32
	s_mov_b32 s10, s13
	s_ashr_i32 s11, s13, 31
	s_lshl_b32 s16, s14, 9
	s_lshl_b64 s[0:1], s[10:11], 2
	s_mov_b32 s11, exec_lo
	v_add_co_u32 v16, vcc_lo, v16, s0
	v_add_co_ci_u32_e32 v17, vcc_lo, s1, v17, vcc_lo
	flat_load_b32 v32, v[16:17]
	s_waitcnt vmcnt(0) lgkmcnt(0)
	v_cmpx_lt_i32_e64 s16, v32
	s_cbranch_execz .LBB398_1918
; %bb.1:
	v_sub_nc_u32_e32 v16, 0, v12
	s_clause 0x1
	s_load_b32 s0, s[8:9], 0x10
	s_load_b32 s1, s[8:9], 0x0
	s_mov_b32 s6, s15
	v_mov_b32_e32 v39, 0
	v_max_i32_e32 v16, v12, v16
	s_delay_alu instid0(VALU_DEP_1) | instskip(SKIP_1) | instid1(VALU_DEP_2)
	v_cvt_f32_u32_e32 v17, v16
	v_sub_nc_u32_e32 v28, 0, v16
	v_rcp_iflag_f32_e32 v17, v17
	s_waitcnt lgkmcnt(0)
	s_lshr_b32 s0, s0, 16
	s_delay_alu instid0(SALU_CYCLE_1) | instskip(SKIP_3) | instid1(SALU_CYCLE_1)
	s_cmp_lg_u32 s0, 0
	s_waitcnt_depctr 0xfff
	v_mul_f32_e32 v17, 0x4f7ffffe, v17
	s_cselect_b32 s0, -1, 0
	s_cmp_lg_u32 s0, 0
	s_delay_alu instid0(VALU_DEP_1)
	v_cvt_u32_f32_e32 v17, v17
	s_addc_u32 s15, s1, 0
	s_mov_b32 s1, exec_lo
	s_abs_i32 s0, s15
	v_xor_b32_e32 v12, s15, v12
	v_mul_lo_u32 v28, v28, v17
	s_delay_alu instid0(VALU_DEP_2) | instskip(NEXT) | instid1(VALU_DEP_2)
	v_ashrrev_i32_e32 v12, 31, v12
	v_mul_hi_u32 v28, v17, v28
	s_delay_alu instid0(VALU_DEP_1) | instskip(NEXT) | instid1(VALU_DEP_1)
	v_add_nc_u32_e32 v17, v17, v28
	v_mul_hi_u32 v17, s0, v17
	s_delay_alu instid0(VALU_DEP_1) | instskip(SKIP_1) | instid1(VALU_DEP_2)
	v_mul_lo_u32 v28, v17, v16
	v_add_nc_u32_e32 v29, 1, v17
	v_sub_nc_u32_e32 v28, s0, v28
	s_abs_i32 s0, s12
	s_delay_alu instid0(VALU_DEP_1) | instskip(SKIP_1) | instid1(VALU_DEP_2)
	v_sub_nc_u32_e32 v30, v28, v16
	v_cmp_ge_u32_e32 vcc_lo, v28, v16
	v_dual_cndmask_b32 v17, v17, v29 :: v_dual_cndmask_b32 v28, v28, v30
	s_delay_alu instid0(VALU_DEP_1) | instskip(NEXT) | instid1(VALU_DEP_2)
	v_add_nc_u32_e32 v29, 1, v17
	v_cmp_ge_u32_e32 vcc_lo, v28, v16
	s_delay_alu instid0(VALU_DEP_2) | instskip(NEXT) | instid1(VALU_DEP_1)
	v_cndmask_b32_e32 v16, v17, v29, vcc_lo
	v_xor_b32_e32 v16, v16, v12
	s_delay_alu instid0(VALU_DEP_1) | instskip(NEXT) | instid1(VALU_DEP_1)
	v_sub_nc_u32_e32 v12, v16, v12
	v_sub_nc_u32_e32 v16, 0, v12
	s_delay_alu instid0(VALU_DEP_1) | instskip(NEXT) | instid1(VALU_DEP_1)
	v_max_i32_e32 v28, v12, v16
	v_cvt_f32_u32_e32 v16, v28
	v_sub_nc_u32_e32 v17, 0, v28
	s_delay_alu instid0(VALU_DEP_2) | instskip(SKIP_2) | instid1(VALU_DEP_1)
	v_rcp_iflag_f32_e32 v16, v16
	s_waitcnt_depctr 0xfff
	v_mul_f32_e32 v16, 0x4f7ffffe, v16
	v_cvt_u32_f32_e32 v16, v16
	s_delay_alu instid0(VALU_DEP_1) | instskip(NEXT) | instid1(VALU_DEP_1)
	v_mul_lo_u32 v17, v17, v16
	v_mul_hi_u32 v17, v16, v17
	s_delay_alu instid0(VALU_DEP_1) | instskip(NEXT) | instid1(VALU_DEP_1)
	v_add_nc_u32_e32 v29, v16, v17
	v_mad_u64_u32 v[16:17], null, s0, v29, 0
	v_cmpx_ne_u64_e32 0, v[19:20]
	s_cbranch_execz .LBB398_3
; %bb.2:
	s_ashr_i32 s13, s12, 31
	s_delay_alu instid0(SALU_CYCLE_1) | instskip(NEXT) | instid1(SALU_CYCLE_1)
	s_lshl_b64 s[2:3], s[12:13], 2
	v_add_co_u32 v19, vcc_lo, v19, s2
	v_add_co_ci_u32_e32 v20, vcc_lo, s3, v20, vcc_lo
	flat_load_b32 v39, v[19:20]
.LBB398_3:
	s_or_b32 exec_lo, exec_lo, s1
	v_and_b32_e32 v30, 0x3ff, v31
	v_ashrrev_i32_e32 v12, 31, v12
	s_ashr_i32 s1, s12, 31
	s_lshl_b32 s4, s12, 8
	s_mov_b32 s2, exec_lo
	v_and_b32_e32 v20, 3, v30
	v_lshlrev_b32_e32 v31, 2, v30
	v_cmpx_gt_u32_e32 0x80, v30
	s_cbranch_execz .LBB398_5
; %bb.4:
	v_mul_lo_u32 v33, s10, v21
	s_ashr_i32 s5, s4, 31
	s_delay_alu instid0(SALU_CYCLE_1) | instskip(NEXT) | instid1(VALU_DEP_1)
	s_lshl_b64 s[18:19], s[4:5], 1
	v_ashrrev_i32_e32 v34, 31, v33
	s_delay_alu instid0(VALU_DEP_1) | instskip(NEXT) | instid1(VALU_DEP_1)
	v_lshlrev_b64 v[33:34], 1, v[33:34]
	v_add_co_u32 v6, vcc_lo, v6, v33
	s_delay_alu instid0(VALU_DEP_2) | instskip(NEXT) | instid1(VALU_DEP_2)
	v_add_co_ci_u32_e32 v7, vcc_lo, v7, v34, vcc_lo
	v_add_co_u32 v6, vcc_lo, v6, s18
	s_delay_alu instid0(VALU_DEP_2) | instskip(NEXT) | instid1(VALU_DEP_2)
	v_add_co_ci_u32_e32 v7, vcc_lo, s19, v7, vcc_lo
	v_add_co_u32 v6, vcc_lo, v6, v31
	s_delay_alu instid0(VALU_DEP_2) | instskip(SKIP_2) | instid1(VALU_DEP_1)
	v_add_co_ci_u32_e32 v7, vcc_lo, 0, v7, vcc_lo
	flat_load_b32 v6, v[6:7]
	v_and_b32_e32 v7, 0x3fc, v30
	v_lshl_add_u32 v7, v20, 7, v7
	s_waitcnt vmcnt(0) lgkmcnt(0)
	ds_store_b32 v7, v6
.LBB398_5:
	s_or_b32 exec_lo, exec_lo, s2
	v_mul_lo_u32 v6, v17, v28
	v_add_nc_u32_e32 v19, 1, v17
	v_lshrrev_b32_e32 v33, 5, v30
	s_lshl_b32 s13, s14, 6
	v_mbcnt_lo_u32_b32 v38, -1, 0
	s_waitcnt vmcnt(0) lgkmcnt(0)
	s_waitcnt_vscnt null, 0x0
	s_barrier
	buffer_gl0_inv
	v_sub_nc_u32_e32 v6, s0, v6
	s_add_i32 s0, s13, 64
                                        ; implicit-def: $vgpr48
	s_delay_alu instid0(VALU_DEP_1) | instskip(SKIP_3) | instid1(VALU_DEP_2)
	v_sub_nc_u32_e32 v21, v6, v28
	v_cmp_ge_u32_e32 vcc_lo, v6, v28
	v_add_nc_u32_e32 v7, 7, v32
	v_cndmask_b32_e32 v17, v17, v19, vcc_lo
	v_ashrrev_i32_e32 v16, 31, v7
	s_delay_alu instid0(VALU_DEP_2) | instskip(NEXT) | instid1(VALU_DEP_2)
	v_add_nc_u32_e32 v19, 1, v17
	v_lshrrev_b32_e32 v16, 29, v16
	s_delay_alu instid0(VALU_DEP_1) | instskip(SKIP_2) | instid1(VALU_DEP_3)
	v_dual_cndmask_b32 v16, v6, v21 :: v_dual_add_nc_u32 v7, v7, v16
	v_xor_b32_e32 v21, s1, v12
	v_mul_lo_u32 v6, s10, v18
                                        ; implicit-def: $sgpr1
	v_ashrrev_i32_e32 v12, 3, v7
	s_delay_alu instid0(VALU_DEP_4) | instskip(SKIP_1) | instid1(VALU_DEP_3)
	v_cmp_ge_u32_e32 vcc_lo, v16, v28
	v_or_b32_e32 v16, s13, v33
	v_min_i32_e32 v34, s0, v12
	v_cndmask_b32_e32 v7, v17, v19, vcc_lo
	s_delay_alu instid0(VALU_DEP_2) | instskip(NEXT) | instid1(VALU_DEP_2)
	v_cmp_ge_i32_e64 s0, v16, v34
	v_xor_b32_e32 v17, v7, v21
	v_ashrrev_i32_e32 v7, 31, v6
	s_delay_alu instid0(VALU_DEP_2) | instskip(NEXT) | instid1(VALU_DEP_4)
	v_sub_nc_u32_e32 v17, v17, v21
	s_and_saveexec_b32 s2, s0
	s_delay_alu instid0(SALU_CYCLE_1)
	s_xor_b32 s2, exec_lo, s2
; %bb.6:
	v_mbcnt_lo_u32_b32 v38, -1, 0
	v_mov_b32_e32 v48, 32
	s_mov_b32 s1, 0xff7fffff
                                        ; implicit-def: $vgpr39
                                        ; implicit-def: $vgpr13
                                        ; implicit-def: $vgpr24
                                        ; implicit-def: $vgpr8
                                        ; implicit-def: $vgpr9
                                        ; implicit-def: $vgpr20
; %bb.7:
	s_or_saveexec_b32 s17, s2
	s_clause 0x1
	s_load_b32 s18, s[8:9], 0x14
	s_load_b32 s5, s[8:9], 0x8
	v_mul_lo_u32 v36, v17, v23
	v_lshlrev_b64 v[18:19], 2, v[6:7]
	v_mov_b32_e32 v167, s1
	v_ashrrev_i32_e32 v17, 31, v16
	v_lshlrev_b32_e32 v35, 3, v33
	v_ashrrev_i32_e32 v37, 31, v36
	s_xor_b32 exec_lo, exec_lo, s17
	s_cbranch_execz .LBB398_781
; %bb.8:
	v_dual_mov_b32 v7, 0 :: v_dual_lshlrev_b32 v6, 7, v20
	v_bfe_u32 v28, v30, 2, 3
	v_add_co_u32 v8, vcc_lo, v8, v36
	ds_load_b128 v[64:67], v6
	ds_load_b128 v[80:83], v6 offset:16
	v_dual_mov_b32 v48, 32 :: v_dual_lshlrev_b32 v21, 4, v28
	v_add_co_ci_u32_e32 v9, vcc_lo, v9, v37, vcc_lo
	v_xor_b32_e32 v29, 1, v38
	s_delay_alu instid0(VALU_DEP_3) | instskip(SKIP_1) | instid1(VALU_DEP_4)
	v_add_co_u32 v8, vcc_lo, v8, v21
	v_xor_b32_e32 v21, 2, v38
	v_add_co_ci_u32_e32 v9, vcc_lo, 0, v9, vcc_lo
	ds_load_b128 v[96:99], v6 offset:32
	ds_load_b128 v[112:115], v6 offset:48
	;; [unrolled: 1-line block ×4, first 2 shown]
	v_cmp_gt_i32_e32 vcc_lo, 32, v21
	v_lshlrev_b32_e32 v23, 1, v20
	ds_load_b128 v[160:163], v6 offset:96
	ds_load_b128 v[176:179], v6 offset:112
	s_ashr_i32 s7, s6, 31
	v_cndmask_b32_e32 v6, v38, v21, vcc_lo
	v_cmp_gt_i32_e32 vcc_lo, 32, v29
	s_waitcnt lgkmcnt(0)
	v_and_b32_e32 v50, 0xffff0000, v64
	v_lshlrev_b32_e32 v51, 16, v65
	v_dual_mov_b32 v183, v16 :: v_dual_and_b32 v52, 0xffff0000, v65
	v_cndmask_b32_e32 v21, v38, v29, vcc_lo
	v_cmp_eq_u32_e32 vcc_lo, 0, v20
	v_lshlrev_b32_e32 v53, 16, v66
	v_and_b32_e32 v54, 0xffff0000, v66
	v_lshlrev_b32_e32 v65, 16, v80
	v_dual_mov_b32 v167, 0xff7fffff :: v_dual_lshlrev_b32 v148, 2, v21
	v_lshlrev_b64 v[20:21], 2, v[16:17]
	v_and_b32_e32 v66, 0xffff0000, v80
	v_lshlrev_b32_e32 v71, 16, v83
	v_and_b32_e32 v80, 0xffff0000, v83
	v_lshlrev_b32_e32 v83, 16, v97
	;; [unrolled: 2-line block ×10, first 2 shown]
	v_add_co_u32 v6, s2, v18, v20
	s_delay_alu instid0(VALU_DEP_1) | instskip(SKIP_1) | instid1(VALU_DEP_3)
	v_add_co_ci_u32_e64 v21, s2, v19, v21, s2
	v_lshlrev_b32_e32 v29, 2, v28
	v_add_co_u32 v20, s2, v14, v6
	s_getpc_b64 s[8:9]
	s_add_u32 s8, s8, llvm.amdgcn.dynlds.offset.table@rel32@lo+4
	s_addc_u32 s9, s9, llvm.amdgcn.dynlds.offset.table@rel32@hi+12
	v_lshlrev_b32_e32 v49, 16, v64
	v_lshlrev_b32_e32 v55, 16, v67
	v_and_b32_e32 v64, 0xffff0000, v67
	v_lshlrev_b32_e32 v67, 16, v81
	v_and_b32_e32 v68, 0xffff0000, v81
	;; [unrolled: 2-line block ×12, first 2 shown]
	v_cmp_neq_f32_e64 s1, 0, v39
	v_lshlrev_b32_e32 v149, 16, v161
	v_and_b32_e32 v150, 0xffff0000, v161
	v_lshlrev_b32_e32 v151, 16, v162
	v_and_b32_e32 v160, 0xffff0000, v162
	;; [unrolled: 2-line block ×6, first 2 shown]
	v_lshlrev_b32_e32 v178, 16, v179
	s_lshl_b64 s[20:21], s[6:7], 2
	v_and_b32_e32 v179, 0xffff0000, v179
	v_add_co_ci_u32_e64 v21, s2, v15, v21, s2
	v_sub_nc_u32_e32 v180, 1, v32
	v_add3_u32 v181, s16, v35, v28
	v_lshl_or_b32 v182, v33, 5, v29
	s_add_u32 s8, s20, s8
	s_mov_b32 s7, 0
	s_addc_u32 s9, s21, s9
	s_branch .LBB398_10
.LBB398_9:                              ;   in Loop: Header=BB398_10 Depth=1
	s_or_b32 exec_lo, exec_lo, s3
	v_add_nc_u32_e32 v183, 4, v183
	v_add_co_u32 v20, s3, v20, 16
	s_delay_alu instid0(VALU_DEP_1) | instskip(NEXT) | instid1(VALU_DEP_3)
	v_add_co_ci_u32_e64 v21, s3, 0, v21, s3
	v_cmp_ge_i32_e64 s2, v183, v34
	v_add_nc_u32_e32 v181, 32, v181
	v_add_nc_u32_e32 v182, 0x80, v182
	s_delay_alu instid0(VALU_DEP_3) | instskip(NEXT) | instid1(SALU_CYCLE_1)
	s_or_b32 s7, s2, s7
	s_and_not1_b32 exec_lo, exec_lo, s7
	s_cbranch_execz .LBB398_780
.LBB398_10:                             ; =>This Inner Loop Header: Depth=1
	flat_load_b32 v6, v[20:21]
	s_mov_b32 s3, exec_lo
	s_waitcnt vmcnt(0) lgkmcnt(0)
	v_mad_i64_i32 v[28:29], null, v6, v22, v[8:9]
	s_delay_alu instid0(VALU_DEP_1) | instskip(NEXT) | instid1(VALU_DEP_1)
	v_add_co_u32 v28, s2, v28, v23
	v_add_co_ci_u32_e64 v29, s2, 0, v29, s2
	flat_load_u16 v6, v[28:29]
	flat_load_b32 v41, v[24:25]
	s_waitcnt vmcnt(1) lgkmcnt(1)
	v_and_b32_e32 v40, 0xff, v6
	v_and_b32_e32 v42, 0xffff, v6
	v_mov_b32_e32 v6, 0
	s_delay_alu instid0(VALU_DEP_3)
	v_cmpx_ne_u16_e32 0, v40
	s_cbranch_execz .LBB398_18
; %bb.11:                               ;   in Loop: Header=BB398_10 Depth=1
	s_delay_alu instid0(VALU_DEP_3) | instskip(NEXT) | instid1(VALU_DEP_1)
	v_and_b32_e32 v6, 0xff, v42
	v_cmp_ne_u16_e64 s2, 0x80, v6
	v_bfrev_b32_e32 v6, 1
	s_delay_alu instid0(VALU_DEP_2)
	s_and_saveexec_b32 s19, s2
	s_cbranch_execz .LBB398_17
; %bb.12:                               ;   in Loop: Header=BB398_10 Depth=1
	v_and_b32_e32 v43, 0x7f, v42
	v_mov_b32_e32 v6, 0x7f800001
	s_mov_b32 s20, exec_lo
	s_delay_alu instid0(VALU_DEP_2)
	v_cmpx_ne_u32_e32 0x7f, v43
	s_cbranch_execz .LBB398_16
; %bb.13:                               ;   in Loop: Header=BB398_10 Depth=1
	v_and_b32_e32 v6, 7, v42
	v_lshrrev_b32_e32 v40, 3, v43
	s_mov_b32 s21, exec_lo
	v_cmpx_gt_u32_e32 8, v43
; %bb.14:                               ;   in Loop: Header=BB398_10 Depth=1
	s_delay_alu instid0(VALU_DEP_3) | instskip(NEXT) | instid1(VALU_DEP_1)
	v_clz_i32_u32_e32 v40, v6
	v_min_u32_e32 v40, 32, v40
	s_delay_alu instid0(VALU_DEP_1) | instskip(SKIP_1) | instid1(VALU_DEP_2)
	v_subrev_nc_u32_e32 v43, 28, v40
	v_sub_nc_u32_e32 v40, 29, v40
	v_lshlrev_b64 v[43:44], v43, v[6:7]
	s_delay_alu instid0(VALU_DEP_1)
	v_and_b32_e32 v6, 7, v43
; %bb.15:                               ;   in Loop: Header=BB398_10 Depth=1
	s_or_b32 exec_lo, exec_lo, s21
	v_lshlrev_b32_e32 v43, 24, v42
	s_delay_alu instid0(VALU_DEP_2) | instskip(SKIP_1) | instid1(VALU_DEP_3)
	v_lshlrev_b32_e32 v6, 20, v6
	v_lshl_add_u32 v40, v40, 23, 0x3c000000
	v_and_b32_e32 v43, 0x80000000, v43
	s_delay_alu instid0(VALU_DEP_1)
	v_or3_b32 v6, v6, v43, v40
.LBB398_16:                             ;   in Loop: Header=BB398_10 Depth=1
	s_or_b32 exec_lo, exec_lo, s20
.LBB398_17:                             ;   in Loop: Header=BB398_10 Depth=1
	s_delay_alu instid0(SALU_CYCLE_1)
	s_or_b32 exec_lo, exec_lo, s19
.LBB398_18:                             ;   in Loop: Header=BB398_10 Depth=1
	s_delay_alu instid0(SALU_CYCLE_1) | instskip(SKIP_2) | instid1(VALU_DEP_1)
	s_or_b32 exec_lo, exec_lo, s3
	s_waitcnt vmcnt(0) lgkmcnt(0)
	v_mul_f32_e32 v6, v41, v6
	v_and_b32_e32 v40, 0x7f800000, v6
	s_delay_alu instid0(VALU_DEP_1) | instskip(NEXT) | instid1(VALU_DEP_1)
	v_cmp_ne_u32_e64 s2, 0x7f800000, v40
                                        ; implicit-def: $vgpr40
	s_and_saveexec_b32 s3, s2
	s_delay_alu instid0(SALU_CYCLE_1)
	s_xor_b32 s2, exec_lo, s3
; %bb.19:                               ;   in Loop: Header=BB398_10 Depth=1
	v_bfe_u32 v40, v6, 16, 1
	s_delay_alu instid0(VALU_DEP_1)
	v_add3_u32 v40, v6, v40, 0x7fff
                                        ; implicit-def: $vgpr6
; %bb.20:                               ;   in Loop: Header=BB398_10 Depth=1
	s_and_not1_saveexec_b32 s3, s2
; %bb.21:                               ;   in Loop: Header=BB398_10 Depth=1
	v_and_b32_e32 v40, 0xffff, v6
	v_or_b32_e32 v43, 0x10000, v6
	s_delay_alu instid0(VALU_DEP_2) | instskip(NEXT) | instid1(VALU_DEP_1)
	v_cmp_eq_u32_e64 s2, 0, v40
	v_cndmask_b32_e64 v40, v43, v6, s2
; %bb.22:                               ;   in Loop: Header=BB398_10 Depth=1
	s_or_b32 exec_lo, exec_lo, s3
	v_lshrrev_b16 v43, 8, v42
	v_mov_b32_e32 v6, 0
	s_mov_b32 s3, exec_lo
	s_delay_alu instid0(VALU_DEP_2)
	v_cmpx_ne_u16_e32 0, v43
	s_cbranch_execz .LBB398_30
; %bb.23:                               ;   in Loop: Header=BB398_10 Depth=1
	v_bfrev_b32_e32 v6, 1
	s_mov_b32 s19, exec_lo
	v_cmpx_ne_u16_e32 0x80, v43
	s_cbranch_execz .LBB398_29
; %bb.24:                               ;   in Loop: Header=BB398_10 Depth=1
	v_and_b32_e32 v43, 0xffff, v43
	v_mov_b32_e32 v6, 0x7f800001
	s_mov_b32 s20, exec_lo
	s_delay_alu instid0(VALU_DEP_2) | instskip(NEXT) | instid1(VALU_DEP_1)
	v_and_b32_e32 v44, 0x7f, v43
	v_cmpx_ne_u32_e32 0x7f, v44
	s_cbranch_execz .LBB398_28
; %bb.25:                               ;   in Loop: Header=BB398_10 Depth=1
	v_and_b32_e32 v6, 7, v43
	v_lshrrev_b32_e32 v43, 3, v44
	s_mov_b32 s21, exec_lo
	v_cmpx_gt_u32_e32 8, v44
; %bb.26:                               ;   in Loop: Header=BB398_10 Depth=1
	s_delay_alu instid0(VALU_DEP_3) | instskip(NEXT) | instid1(VALU_DEP_1)
	v_clz_i32_u32_e32 v43, v6
	v_min_u32_e32 v43, 32, v43
	s_delay_alu instid0(VALU_DEP_1) | instskip(SKIP_1) | instid1(VALU_DEP_2)
	v_subrev_nc_u32_e32 v44, 28, v43
	v_sub_nc_u32_e32 v43, 29, v43
	v_lshlrev_b64 v[44:45], v44, v[6:7]
	s_delay_alu instid0(VALU_DEP_1)
	v_and_b32_e32 v6, 7, v44
; %bb.27:                               ;   in Loop: Header=BB398_10 Depth=1
	s_or_b32 exec_lo, exec_lo, s21
	v_lshlrev_b32_e32 v42, 16, v42
	s_delay_alu instid0(VALU_DEP_2) | instskip(SKIP_1) | instid1(VALU_DEP_3)
	v_lshlrev_b32_e32 v6, 20, v6
	v_lshl_add_u32 v43, v43, 23, 0x3c000000
	v_and_b32_e32 v42, 0x80000000, v42
	s_delay_alu instid0(VALU_DEP_1)
	v_or3_b32 v6, v6, v42, v43
.LBB398_28:                             ;   in Loop: Header=BB398_10 Depth=1
	s_or_b32 exec_lo, exec_lo, s20
.LBB398_29:                             ;   in Loop: Header=BB398_10 Depth=1
	s_delay_alu instid0(SALU_CYCLE_1)
	s_or_b32 exec_lo, exec_lo, s19
.LBB398_30:                             ;   in Loop: Header=BB398_10 Depth=1
	s_delay_alu instid0(SALU_CYCLE_1) | instskip(NEXT) | instid1(VALU_DEP_1)
	s_or_b32 exec_lo, exec_lo, s3
	v_mul_f32_e32 v6, v41, v6
	s_delay_alu instid0(VALU_DEP_1) | instskip(NEXT) | instid1(VALU_DEP_1)
	v_and_b32_e32 v42, 0x7f800000, v6
	v_cmp_ne_u32_e64 s2, 0x7f800000, v42
                                        ; implicit-def: $vgpr42
	s_delay_alu instid0(VALU_DEP_1) | instskip(NEXT) | instid1(SALU_CYCLE_1)
	s_and_saveexec_b32 s3, s2
	s_xor_b32 s2, exec_lo, s3
; %bb.31:                               ;   in Loop: Header=BB398_10 Depth=1
	v_bfe_u32 v42, v6, 16, 1
	s_delay_alu instid0(VALU_DEP_1)
	v_add3_u32 v42, v6, v42, 0x7fff
                                        ; implicit-def: $vgpr6
; %bb.32:                               ;   in Loop: Header=BB398_10 Depth=1
	s_and_not1_saveexec_b32 s3, s2
; %bb.33:                               ;   in Loop: Header=BB398_10 Depth=1
	v_and_b32_e32 v42, 0xffff, v6
	v_or_b32_e32 v43, 0x10000, v6
	s_delay_alu instid0(VALU_DEP_2) | instskip(NEXT) | instid1(VALU_DEP_1)
	v_cmp_eq_u32_e64 s2, 0, v42
	v_cndmask_b32_e64 v42, v43, v6, s2
; %bb.34:                               ;   in Loop: Header=BB398_10 Depth=1
	s_or_b32 exec_lo, exec_lo, s3
	flat_load_u16 v6, v[28:29] offset:8
	s_mov_b32 s3, exec_lo
	s_waitcnt vmcnt(0) lgkmcnt(0)
	v_and_b32_e32 v43, 0xff, v6
	v_and_b32_e32 v44, 0xffff, v6
	v_mov_b32_e32 v6, 0
	s_delay_alu instid0(VALU_DEP_3)
	v_cmpx_ne_u16_e32 0, v43
	s_cbranch_execz .LBB398_42
; %bb.35:                               ;   in Loop: Header=BB398_10 Depth=1
	s_delay_alu instid0(VALU_DEP_3) | instskip(NEXT) | instid1(VALU_DEP_1)
	v_and_b32_e32 v6, 0xff, v44
	v_cmp_ne_u16_e64 s2, 0x80, v6
	v_bfrev_b32_e32 v6, 1
	s_delay_alu instid0(VALU_DEP_2)
	s_and_saveexec_b32 s19, s2
	s_cbranch_execz .LBB398_41
; %bb.36:                               ;   in Loop: Header=BB398_10 Depth=1
	v_and_b32_e32 v45, 0x7f, v44
	v_mov_b32_e32 v6, 0x7f800001
	s_mov_b32 s20, exec_lo
	s_delay_alu instid0(VALU_DEP_2)
	v_cmpx_ne_u32_e32 0x7f, v45
	s_cbranch_execz .LBB398_40
; %bb.37:                               ;   in Loop: Header=BB398_10 Depth=1
	v_and_b32_e32 v6, 7, v44
	v_lshrrev_b32_e32 v43, 3, v45
	s_mov_b32 s21, exec_lo
	v_cmpx_gt_u32_e32 8, v45
; %bb.38:                               ;   in Loop: Header=BB398_10 Depth=1
	s_delay_alu instid0(VALU_DEP_3) | instskip(NEXT) | instid1(VALU_DEP_1)
	v_clz_i32_u32_e32 v43, v6
	v_min_u32_e32 v43, 32, v43
	s_delay_alu instid0(VALU_DEP_1) | instskip(SKIP_1) | instid1(VALU_DEP_2)
	v_subrev_nc_u32_e32 v45, 28, v43
	v_sub_nc_u32_e32 v43, 29, v43
	v_lshlrev_b64 v[45:46], v45, v[6:7]
	s_delay_alu instid0(VALU_DEP_1)
	v_and_b32_e32 v6, 7, v45
; %bb.39:                               ;   in Loop: Header=BB398_10 Depth=1
	s_or_b32 exec_lo, exec_lo, s21
	v_lshlrev_b32_e32 v45, 24, v44
	s_delay_alu instid0(VALU_DEP_2) | instskip(SKIP_1) | instid1(VALU_DEP_3)
	v_lshlrev_b32_e32 v6, 20, v6
	v_lshl_add_u32 v43, v43, 23, 0x3c000000
	v_and_b32_e32 v45, 0x80000000, v45
	s_delay_alu instid0(VALU_DEP_1)
	v_or3_b32 v6, v6, v45, v43
.LBB398_40:                             ;   in Loop: Header=BB398_10 Depth=1
	s_or_b32 exec_lo, exec_lo, s20
.LBB398_41:                             ;   in Loop: Header=BB398_10 Depth=1
	s_delay_alu instid0(SALU_CYCLE_1)
	s_or_b32 exec_lo, exec_lo, s19
.LBB398_42:                             ;   in Loop: Header=BB398_10 Depth=1
	s_delay_alu instid0(SALU_CYCLE_1) | instskip(NEXT) | instid1(VALU_DEP_1)
	s_or_b32 exec_lo, exec_lo, s3
	v_mul_f32_e32 v6, v41, v6
	s_delay_alu instid0(VALU_DEP_1) | instskip(NEXT) | instid1(VALU_DEP_1)
	v_and_b32_e32 v43, 0x7f800000, v6
	v_cmp_ne_u32_e64 s2, 0x7f800000, v43
                                        ; implicit-def: $vgpr43
	s_delay_alu instid0(VALU_DEP_1) | instskip(NEXT) | instid1(SALU_CYCLE_1)
	s_and_saveexec_b32 s3, s2
	s_xor_b32 s2, exec_lo, s3
; %bb.43:                               ;   in Loop: Header=BB398_10 Depth=1
	v_bfe_u32 v43, v6, 16, 1
	s_delay_alu instid0(VALU_DEP_1)
	v_add3_u32 v43, v6, v43, 0x7fff
                                        ; implicit-def: $vgpr6
; %bb.44:                               ;   in Loop: Header=BB398_10 Depth=1
	s_and_not1_saveexec_b32 s3, s2
; %bb.45:                               ;   in Loop: Header=BB398_10 Depth=1
	v_and_b32_e32 v43, 0xffff, v6
	v_or_b32_e32 v45, 0x10000, v6
	s_delay_alu instid0(VALU_DEP_2) | instskip(NEXT) | instid1(VALU_DEP_1)
	v_cmp_eq_u32_e64 s2, 0, v43
	v_cndmask_b32_e64 v43, v45, v6, s2
; %bb.46:                               ;   in Loop: Header=BB398_10 Depth=1
	s_or_b32 exec_lo, exec_lo, s3
	v_lshrrev_b16 v45, 8, v44
	v_mov_b32_e32 v6, 0
	s_mov_b32 s3, exec_lo
	s_delay_alu instid0(VALU_DEP_2)
	v_cmpx_ne_u16_e32 0, v45
	s_cbranch_execz .LBB398_54
; %bb.47:                               ;   in Loop: Header=BB398_10 Depth=1
	v_bfrev_b32_e32 v6, 1
	s_mov_b32 s19, exec_lo
	v_cmpx_ne_u16_e32 0x80, v45
	s_cbranch_execz .LBB398_53
; %bb.48:                               ;   in Loop: Header=BB398_10 Depth=1
	v_and_b32_e32 v45, 0xffff, v45
	v_mov_b32_e32 v6, 0x7f800001
	s_mov_b32 s20, exec_lo
	s_delay_alu instid0(VALU_DEP_2) | instskip(NEXT) | instid1(VALU_DEP_1)
	v_and_b32_e32 v46, 0x7f, v45
	v_cmpx_ne_u32_e32 0x7f, v46
	s_cbranch_execz .LBB398_52
; %bb.49:                               ;   in Loop: Header=BB398_10 Depth=1
	v_and_b32_e32 v6, 7, v45
	v_lshrrev_b32_e32 v45, 3, v46
	s_mov_b32 s21, exec_lo
	v_cmpx_gt_u32_e32 8, v46
; %bb.50:                               ;   in Loop: Header=BB398_10 Depth=1
	s_delay_alu instid0(VALU_DEP_3) | instskip(NEXT) | instid1(VALU_DEP_1)
	v_clz_i32_u32_e32 v45, v6
	v_min_u32_e32 v45, 32, v45
	s_delay_alu instid0(VALU_DEP_1) | instskip(SKIP_1) | instid1(VALU_DEP_2)
	v_subrev_nc_u32_e32 v46, 28, v45
	v_sub_nc_u32_e32 v45, 29, v45
	v_lshlrev_b64 v[46:47], v46, v[6:7]
	s_delay_alu instid0(VALU_DEP_1)
	v_and_b32_e32 v6, 7, v46
; %bb.51:                               ;   in Loop: Header=BB398_10 Depth=1
	s_or_b32 exec_lo, exec_lo, s21
	v_lshlrev_b32_e32 v44, 16, v44
	s_delay_alu instid0(VALU_DEP_2) | instskip(SKIP_1) | instid1(VALU_DEP_3)
	v_lshlrev_b32_e32 v6, 20, v6
	v_lshl_add_u32 v45, v45, 23, 0x3c000000
	v_and_b32_e32 v44, 0x80000000, v44
	s_delay_alu instid0(VALU_DEP_1)
	v_or3_b32 v6, v6, v44, v45
.LBB398_52:                             ;   in Loop: Header=BB398_10 Depth=1
	s_or_b32 exec_lo, exec_lo, s20
.LBB398_53:                             ;   in Loop: Header=BB398_10 Depth=1
	s_delay_alu instid0(SALU_CYCLE_1)
	s_or_b32 exec_lo, exec_lo, s19
.LBB398_54:                             ;   in Loop: Header=BB398_10 Depth=1
	s_delay_alu instid0(SALU_CYCLE_1) | instskip(NEXT) | instid1(VALU_DEP_1)
	s_or_b32 exec_lo, exec_lo, s3
	v_mul_f32_e32 v6, v41, v6
	s_delay_alu instid0(VALU_DEP_1) | instskip(NEXT) | instid1(VALU_DEP_1)
	v_and_b32_e32 v44, 0x7f800000, v6
	v_cmp_ne_u32_e64 s2, 0x7f800000, v44
                                        ; implicit-def: $vgpr44
	s_delay_alu instid0(VALU_DEP_1) | instskip(NEXT) | instid1(SALU_CYCLE_1)
	s_and_saveexec_b32 s3, s2
	s_xor_b32 s2, exec_lo, s3
; %bb.55:                               ;   in Loop: Header=BB398_10 Depth=1
	v_bfe_u32 v44, v6, 16, 1
	s_delay_alu instid0(VALU_DEP_1)
	v_add3_u32 v44, v6, v44, 0x7fff
                                        ; implicit-def: $vgpr6
; %bb.56:                               ;   in Loop: Header=BB398_10 Depth=1
	s_and_not1_saveexec_b32 s3, s2
; %bb.57:                               ;   in Loop: Header=BB398_10 Depth=1
	v_and_b32_e32 v44, 0xffff, v6
	v_or_b32_e32 v45, 0x10000, v6
	s_delay_alu instid0(VALU_DEP_2) | instskip(NEXT) | instid1(VALU_DEP_1)
	v_cmp_eq_u32_e64 s2, 0, v44
	v_cndmask_b32_e64 v44, v45, v6, s2
; %bb.58:                               ;   in Loop: Header=BB398_10 Depth=1
	s_or_b32 exec_lo, exec_lo, s3
	flat_load_u16 v6, v[28:29] offset:128
	s_mov_b32 s3, exec_lo
	s_waitcnt vmcnt(0) lgkmcnt(0)
	v_and_b32_e32 v45, 0xff, v6
	v_and_b32_e32 v46, 0xffff, v6
	v_mov_b32_e32 v6, 0
	s_delay_alu instid0(VALU_DEP_3)
	v_cmpx_ne_u16_e32 0, v45
	s_cbranch_execz .LBB398_66
; %bb.59:                               ;   in Loop: Header=BB398_10 Depth=1
	s_delay_alu instid0(VALU_DEP_3) | instskip(NEXT) | instid1(VALU_DEP_1)
	v_and_b32_e32 v6, 0xff, v46
	v_cmp_ne_u16_e64 s2, 0x80, v6
	v_bfrev_b32_e32 v6, 1
	s_delay_alu instid0(VALU_DEP_2)
	s_and_saveexec_b32 s19, s2
	s_cbranch_execz .LBB398_65
; %bb.60:                               ;   in Loop: Header=BB398_10 Depth=1
	v_and_b32_e32 v47, 0x7f, v46
	v_mov_b32_e32 v6, 0x7f800001
	s_mov_b32 s20, exec_lo
	s_delay_alu instid0(VALU_DEP_2)
	v_cmpx_ne_u32_e32 0x7f, v47
	s_cbranch_execz .LBB398_64
; %bb.61:                               ;   in Loop: Header=BB398_10 Depth=1
	v_and_b32_e32 v6, 7, v46
	v_lshrrev_b32_e32 v45, 3, v47
	s_mov_b32 s21, exec_lo
	v_cmpx_gt_u32_e32 8, v47
; %bb.62:                               ;   in Loop: Header=BB398_10 Depth=1
	s_delay_alu instid0(VALU_DEP_3) | instskip(NEXT) | instid1(VALU_DEP_1)
	v_clz_i32_u32_e32 v45, v6
	v_min_u32_e32 v45, 32, v45
	s_delay_alu instid0(VALU_DEP_1) | instskip(SKIP_1) | instid1(VALU_DEP_2)
	v_subrev_nc_u32_e32 v47, 28, v45
	v_sub_nc_u32_e32 v45, 29, v45
	v_lshlrev_b64 v[56:57], v47, v[6:7]
	s_delay_alu instid0(VALU_DEP_1)
	v_and_b32_e32 v6, 7, v56
; %bb.63:                               ;   in Loop: Header=BB398_10 Depth=1
	s_or_b32 exec_lo, exec_lo, s21
	v_lshlrev_b32_e32 v47, 24, v46
	s_delay_alu instid0(VALU_DEP_2) | instskip(SKIP_1) | instid1(VALU_DEP_3)
	v_lshlrev_b32_e32 v6, 20, v6
	v_lshl_add_u32 v45, v45, 23, 0x3c000000
	v_and_b32_e32 v47, 0x80000000, v47
	s_delay_alu instid0(VALU_DEP_1)
	v_or3_b32 v6, v6, v47, v45
.LBB398_64:                             ;   in Loop: Header=BB398_10 Depth=1
	s_or_b32 exec_lo, exec_lo, s20
.LBB398_65:                             ;   in Loop: Header=BB398_10 Depth=1
	s_delay_alu instid0(SALU_CYCLE_1)
	s_or_b32 exec_lo, exec_lo, s19
.LBB398_66:                             ;   in Loop: Header=BB398_10 Depth=1
	s_delay_alu instid0(SALU_CYCLE_1) | instskip(NEXT) | instid1(VALU_DEP_1)
	s_or_b32 exec_lo, exec_lo, s3
	v_mul_f32_e32 v6, v41, v6
	s_delay_alu instid0(VALU_DEP_1) | instskip(NEXT) | instid1(VALU_DEP_1)
	v_and_b32_e32 v45, 0x7f800000, v6
	v_cmp_ne_u32_e64 s2, 0x7f800000, v45
                                        ; implicit-def: $vgpr45
	s_delay_alu instid0(VALU_DEP_1) | instskip(NEXT) | instid1(SALU_CYCLE_1)
	s_and_saveexec_b32 s3, s2
	s_xor_b32 s2, exec_lo, s3
; %bb.67:                               ;   in Loop: Header=BB398_10 Depth=1
	v_bfe_u32 v45, v6, 16, 1
	s_delay_alu instid0(VALU_DEP_1)
	v_add3_u32 v45, v6, v45, 0x7fff
                                        ; implicit-def: $vgpr6
; %bb.68:                               ;   in Loop: Header=BB398_10 Depth=1
	s_and_not1_saveexec_b32 s3, s2
; %bb.69:                               ;   in Loop: Header=BB398_10 Depth=1
	v_and_b32_e32 v45, 0xffff, v6
	v_or_b32_e32 v47, 0x10000, v6
	s_delay_alu instid0(VALU_DEP_2) | instskip(NEXT) | instid1(VALU_DEP_1)
	v_cmp_eq_u32_e64 s2, 0, v45
	v_cndmask_b32_e64 v45, v47, v6, s2
; %bb.70:                               ;   in Loop: Header=BB398_10 Depth=1
	s_or_b32 exec_lo, exec_lo, s3
	v_lshrrev_b16 v47, 8, v46
	v_mov_b32_e32 v6, 0
	s_mov_b32 s3, exec_lo
	s_delay_alu instid0(VALU_DEP_2)
	v_cmpx_ne_u16_e32 0, v47
	s_cbranch_execz .LBB398_78
; %bb.71:                               ;   in Loop: Header=BB398_10 Depth=1
	v_bfrev_b32_e32 v6, 1
	s_mov_b32 s19, exec_lo
	v_cmpx_ne_u16_e32 0x80, v47
	s_cbranch_execz .LBB398_77
; %bb.72:                               ;   in Loop: Header=BB398_10 Depth=1
	v_and_b32_e32 v47, 0xffff, v47
	v_mov_b32_e32 v6, 0x7f800001
	s_mov_b32 s20, exec_lo
	s_delay_alu instid0(VALU_DEP_2) | instskip(NEXT) | instid1(VALU_DEP_1)
	v_and_b32_e32 v56, 0x7f, v47
	v_cmpx_ne_u32_e32 0x7f, v56
	s_cbranch_execz .LBB398_76
; %bb.73:                               ;   in Loop: Header=BB398_10 Depth=1
	v_and_b32_e32 v6, 7, v47
	v_lshrrev_b32_e32 v47, 3, v56
	s_mov_b32 s21, exec_lo
	v_cmpx_gt_u32_e32 8, v56
; %bb.74:                               ;   in Loop: Header=BB398_10 Depth=1
	s_delay_alu instid0(VALU_DEP_3) | instskip(NEXT) | instid1(VALU_DEP_1)
	v_clz_i32_u32_e32 v47, v6
	v_min_u32_e32 v47, 32, v47
	s_delay_alu instid0(VALU_DEP_1) | instskip(SKIP_1) | instid1(VALU_DEP_2)
	v_subrev_nc_u32_e32 v56, 28, v47
	v_sub_nc_u32_e32 v47, 29, v47
	v_lshlrev_b64 v[56:57], v56, v[6:7]
	s_delay_alu instid0(VALU_DEP_1)
	v_and_b32_e32 v6, 7, v56
; %bb.75:                               ;   in Loop: Header=BB398_10 Depth=1
	s_or_b32 exec_lo, exec_lo, s21
	v_lshlrev_b32_e32 v46, 16, v46
	s_delay_alu instid0(VALU_DEP_2) | instskip(SKIP_1) | instid1(VALU_DEP_3)
	v_lshlrev_b32_e32 v6, 20, v6
	v_lshl_add_u32 v47, v47, 23, 0x3c000000
	v_and_b32_e32 v46, 0x80000000, v46
	s_delay_alu instid0(VALU_DEP_1)
	v_or3_b32 v6, v6, v46, v47
.LBB398_76:                             ;   in Loop: Header=BB398_10 Depth=1
	s_or_b32 exec_lo, exec_lo, s20
.LBB398_77:                             ;   in Loop: Header=BB398_10 Depth=1
	s_delay_alu instid0(SALU_CYCLE_1)
	s_or_b32 exec_lo, exec_lo, s19
.LBB398_78:                             ;   in Loop: Header=BB398_10 Depth=1
	s_delay_alu instid0(SALU_CYCLE_1) | instskip(NEXT) | instid1(VALU_DEP_1)
	s_or_b32 exec_lo, exec_lo, s3
	v_mul_f32_e32 v6, v41, v6
	s_delay_alu instid0(VALU_DEP_1) | instskip(NEXT) | instid1(VALU_DEP_1)
	v_and_b32_e32 v46, 0x7f800000, v6
	v_cmp_ne_u32_e64 s2, 0x7f800000, v46
                                        ; implicit-def: $vgpr46
	s_delay_alu instid0(VALU_DEP_1) | instskip(NEXT) | instid1(SALU_CYCLE_1)
	s_and_saveexec_b32 s3, s2
	s_xor_b32 s2, exec_lo, s3
; %bb.79:                               ;   in Loop: Header=BB398_10 Depth=1
	v_bfe_u32 v46, v6, 16, 1
	s_delay_alu instid0(VALU_DEP_1)
	v_add3_u32 v46, v6, v46, 0x7fff
                                        ; implicit-def: $vgpr6
; %bb.80:                               ;   in Loop: Header=BB398_10 Depth=1
	s_and_not1_saveexec_b32 s3, s2
; %bb.81:                               ;   in Loop: Header=BB398_10 Depth=1
	v_and_b32_e32 v46, 0xffff, v6
	v_or_b32_e32 v47, 0x10000, v6
	s_delay_alu instid0(VALU_DEP_2) | instskip(NEXT) | instid1(VALU_DEP_1)
	v_cmp_eq_u32_e64 s2, 0, v46
	v_cndmask_b32_e64 v46, v47, v6, s2
; %bb.82:                               ;   in Loop: Header=BB398_10 Depth=1
	s_or_b32 exec_lo, exec_lo, s3
	flat_load_u16 v6, v[28:29] offset:136
	s_mov_b32 s3, exec_lo
	s_waitcnt vmcnt(0) lgkmcnt(0)
	v_and_b32_e32 v47, 0xff, v6
	v_and_b32_e32 v56, 0xffff, v6
	v_mov_b32_e32 v6, 0
	s_delay_alu instid0(VALU_DEP_3)
	v_cmpx_ne_u16_e32 0, v47
	s_cbranch_execz .LBB398_90
; %bb.83:                               ;   in Loop: Header=BB398_10 Depth=1
	s_delay_alu instid0(VALU_DEP_3) | instskip(NEXT) | instid1(VALU_DEP_1)
	v_and_b32_e32 v6, 0xff, v56
	v_cmp_ne_u16_e64 s2, 0x80, v6
	v_bfrev_b32_e32 v6, 1
	s_delay_alu instid0(VALU_DEP_2)
	s_and_saveexec_b32 s19, s2
	s_cbranch_execz .LBB398_89
; %bb.84:                               ;   in Loop: Header=BB398_10 Depth=1
	v_and_b32_e32 v57, 0x7f, v56
	v_mov_b32_e32 v6, 0x7f800001
	s_mov_b32 s20, exec_lo
	s_delay_alu instid0(VALU_DEP_2)
	v_cmpx_ne_u32_e32 0x7f, v57
	s_cbranch_execz .LBB398_88
; %bb.85:                               ;   in Loop: Header=BB398_10 Depth=1
	v_and_b32_e32 v6, 7, v56
	v_lshrrev_b32_e32 v47, 3, v57
	s_mov_b32 s21, exec_lo
	v_cmpx_gt_u32_e32 8, v57
; %bb.86:                               ;   in Loop: Header=BB398_10 Depth=1
	s_delay_alu instid0(VALU_DEP_3) | instskip(NEXT) | instid1(VALU_DEP_1)
	v_clz_i32_u32_e32 v47, v6
	v_min_u32_e32 v47, 32, v47
	s_delay_alu instid0(VALU_DEP_1) | instskip(SKIP_1) | instid1(VALU_DEP_2)
	v_subrev_nc_u32_e32 v57, 28, v47
	v_sub_nc_u32_e32 v47, 29, v47
	v_lshlrev_b64 v[57:58], v57, v[6:7]
	s_delay_alu instid0(VALU_DEP_1)
	v_and_b32_e32 v6, 7, v57
; %bb.87:                               ;   in Loop: Header=BB398_10 Depth=1
	s_or_b32 exec_lo, exec_lo, s21
	v_lshlrev_b32_e32 v57, 24, v56
	s_delay_alu instid0(VALU_DEP_2) | instskip(SKIP_1) | instid1(VALU_DEP_3)
	v_lshlrev_b32_e32 v6, 20, v6
	v_lshl_add_u32 v47, v47, 23, 0x3c000000
	v_and_b32_e32 v57, 0x80000000, v57
	s_delay_alu instid0(VALU_DEP_1)
	v_or3_b32 v6, v6, v57, v47
.LBB398_88:                             ;   in Loop: Header=BB398_10 Depth=1
	s_or_b32 exec_lo, exec_lo, s20
.LBB398_89:                             ;   in Loop: Header=BB398_10 Depth=1
	s_delay_alu instid0(SALU_CYCLE_1)
	s_or_b32 exec_lo, exec_lo, s19
.LBB398_90:                             ;   in Loop: Header=BB398_10 Depth=1
	s_delay_alu instid0(SALU_CYCLE_1) | instskip(NEXT) | instid1(VALU_DEP_1)
	s_or_b32 exec_lo, exec_lo, s3
	v_mul_f32_e32 v6, v41, v6
	s_delay_alu instid0(VALU_DEP_1) | instskip(NEXT) | instid1(VALU_DEP_1)
	v_and_b32_e32 v47, 0x7f800000, v6
	v_cmp_ne_u32_e64 s2, 0x7f800000, v47
                                        ; implicit-def: $vgpr47
	s_delay_alu instid0(VALU_DEP_1) | instskip(NEXT) | instid1(SALU_CYCLE_1)
	s_and_saveexec_b32 s3, s2
	s_xor_b32 s2, exec_lo, s3
; %bb.91:                               ;   in Loop: Header=BB398_10 Depth=1
	v_bfe_u32 v47, v6, 16, 1
	s_delay_alu instid0(VALU_DEP_1)
	v_add3_u32 v47, v6, v47, 0x7fff
                                        ; implicit-def: $vgpr6
; %bb.92:                               ;   in Loop: Header=BB398_10 Depth=1
	s_and_not1_saveexec_b32 s3, s2
; %bb.93:                               ;   in Loop: Header=BB398_10 Depth=1
	v_and_b32_e32 v47, 0xffff, v6
	v_or_b32_e32 v57, 0x10000, v6
	s_delay_alu instid0(VALU_DEP_2) | instskip(NEXT) | instid1(VALU_DEP_1)
	v_cmp_eq_u32_e64 s2, 0, v47
	v_cndmask_b32_e64 v47, v57, v6, s2
; %bb.94:                               ;   in Loop: Header=BB398_10 Depth=1
	s_or_b32 exec_lo, exec_lo, s3
	v_lshrrev_b16 v57, 8, v56
	v_mov_b32_e32 v6, 0
	s_mov_b32 s3, exec_lo
	s_delay_alu instid0(VALU_DEP_2)
	v_cmpx_ne_u16_e32 0, v57
	s_cbranch_execz .LBB398_102
; %bb.95:                               ;   in Loop: Header=BB398_10 Depth=1
	v_bfrev_b32_e32 v6, 1
	s_mov_b32 s19, exec_lo
	v_cmpx_ne_u16_e32 0x80, v57
	s_cbranch_execz .LBB398_101
; %bb.96:                               ;   in Loop: Header=BB398_10 Depth=1
	v_and_b32_e32 v57, 0xffff, v57
	v_mov_b32_e32 v6, 0x7f800001
	s_mov_b32 s20, exec_lo
	s_delay_alu instid0(VALU_DEP_2) | instskip(NEXT) | instid1(VALU_DEP_1)
	v_and_b32_e32 v58, 0x7f, v57
	v_cmpx_ne_u32_e32 0x7f, v58
	s_cbranch_execz .LBB398_100
; %bb.97:                               ;   in Loop: Header=BB398_10 Depth=1
	v_and_b32_e32 v6, 7, v57
	v_lshrrev_b32_e32 v57, 3, v58
	s_mov_b32 s21, exec_lo
	v_cmpx_gt_u32_e32 8, v58
; %bb.98:                               ;   in Loop: Header=BB398_10 Depth=1
	s_delay_alu instid0(VALU_DEP_3) | instskip(NEXT) | instid1(VALU_DEP_1)
	v_clz_i32_u32_e32 v57, v6
	v_min_u32_e32 v57, 32, v57
	s_delay_alu instid0(VALU_DEP_1) | instskip(SKIP_1) | instid1(VALU_DEP_2)
	v_subrev_nc_u32_e32 v58, 28, v57
	v_sub_nc_u32_e32 v57, 29, v57
	v_lshlrev_b64 v[58:59], v58, v[6:7]
	s_delay_alu instid0(VALU_DEP_1)
	v_and_b32_e32 v6, 7, v58
; %bb.99:                               ;   in Loop: Header=BB398_10 Depth=1
	s_or_b32 exec_lo, exec_lo, s21
	v_lshlrev_b32_e32 v56, 16, v56
	s_delay_alu instid0(VALU_DEP_2) | instskip(SKIP_1) | instid1(VALU_DEP_3)
	v_lshlrev_b32_e32 v6, 20, v6
	v_lshl_add_u32 v57, v57, 23, 0x3c000000
	v_and_b32_e32 v56, 0x80000000, v56
	s_delay_alu instid0(VALU_DEP_1)
	v_or3_b32 v6, v6, v56, v57
.LBB398_100:                            ;   in Loop: Header=BB398_10 Depth=1
	s_or_b32 exec_lo, exec_lo, s20
.LBB398_101:                            ;   in Loop: Header=BB398_10 Depth=1
	s_delay_alu instid0(SALU_CYCLE_1)
	s_or_b32 exec_lo, exec_lo, s19
.LBB398_102:                            ;   in Loop: Header=BB398_10 Depth=1
	s_delay_alu instid0(SALU_CYCLE_1) | instskip(NEXT) | instid1(VALU_DEP_1)
	s_or_b32 exec_lo, exec_lo, s3
	v_mul_f32_e32 v6, v41, v6
	s_delay_alu instid0(VALU_DEP_1) | instskip(NEXT) | instid1(VALU_DEP_1)
	v_and_b32_e32 v56, 0x7f800000, v6
	v_cmp_ne_u32_e64 s2, 0x7f800000, v56
                                        ; implicit-def: $vgpr56
	s_delay_alu instid0(VALU_DEP_1) | instskip(NEXT) | instid1(SALU_CYCLE_1)
	s_and_saveexec_b32 s3, s2
	s_xor_b32 s2, exec_lo, s3
; %bb.103:                              ;   in Loop: Header=BB398_10 Depth=1
	v_bfe_u32 v56, v6, 16, 1
	s_delay_alu instid0(VALU_DEP_1)
	v_add3_u32 v56, v6, v56, 0x7fff
                                        ; implicit-def: $vgpr6
; %bb.104:                              ;   in Loop: Header=BB398_10 Depth=1
	s_and_not1_saveexec_b32 s3, s2
; %bb.105:                              ;   in Loop: Header=BB398_10 Depth=1
	v_and_b32_e32 v56, 0xffff, v6
	v_or_b32_e32 v57, 0x10000, v6
	s_delay_alu instid0(VALU_DEP_2) | instskip(NEXT) | instid1(VALU_DEP_1)
	v_cmp_eq_u32_e64 s2, 0, v56
	v_cndmask_b32_e64 v56, v57, v6, s2
; %bb.106:                              ;   in Loop: Header=BB398_10 Depth=1
	s_or_b32 exec_lo, exec_lo, s3
	flat_load_u16 v6, v[28:29] offset:256
	s_mov_b32 s3, exec_lo
	s_waitcnt vmcnt(0) lgkmcnt(0)
	v_and_b32_e32 v57, 0xff, v6
	v_and_b32_e32 v58, 0xffff, v6
	v_mov_b32_e32 v6, 0
	s_delay_alu instid0(VALU_DEP_3)
	v_cmpx_ne_u16_e32 0, v57
	s_cbranch_execz .LBB398_114
; %bb.107:                              ;   in Loop: Header=BB398_10 Depth=1
	s_delay_alu instid0(VALU_DEP_3) | instskip(NEXT) | instid1(VALU_DEP_1)
	v_and_b32_e32 v6, 0xff, v58
	v_cmp_ne_u16_e64 s2, 0x80, v6
	v_bfrev_b32_e32 v6, 1
	s_delay_alu instid0(VALU_DEP_2)
	s_and_saveexec_b32 s19, s2
	s_cbranch_execz .LBB398_113
; %bb.108:                              ;   in Loop: Header=BB398_10 Depth=1
	v_and_b32_e32 v59, 0x7f, v58
	v_mov_b32_e32 v6, 0x7f800001
	s_mov_b32 s20, exec_lo
	s_delay_alu instid0(VALU_DEP_2)
	v_cmpx_ne_u32_e32 0x7f, v59
	s_cbranch_execz .LBB398_112
; %bb.109:                              ;   in Loop: Header=BB398_10 Depth=1
	v_and_b32_e32 v6, 7, v58
	v_lshrrev_b32_e32 v57, 3, v59
	s_mov_b32 s21, exec_lo
	v_cmpx_gt_u32_e32 8, v59
; %bb.110:                              ;   in Loop: Header=BB398_10 Depth=1
	s_delay_alu instid0(VALU_DEP_3) | instskip(NEXT) | instid1(VALU_DEP_1)
	v_clz_i32_u32_e32 v57, v6
	v_min_u32_e32 v57, 32, v57
	s_delay_alu instid0(VALU_DEP_1) | instskip(SKIP_1) | instid1(VALU_DEP_2)
	v_subrev_nc_u32_e32 v59, 28, v57
	v_sub_nc_u32_e32 v57, 29, v57
	v_lshlrev_b64 v[59:60], v59, v[6:7]
	s_delay_alu instid0(VALU_DEP_1)
	v_and_b32_e32 v6, 7, v59
; %bb.111:                              ;   in Loop: Header=BB398_10 Depth=1
	s_or_b32 exec_lo, exec_lo, s21
	v_lshlrev_b32_e32 v59, 24, v58
	s_delay_alu instid0(VALU_DEP_2) | instskip(SKIP_1) | instid1(VALU_DEP_3)
	v_lshlrev_b32_e32 v6, 20, v6
	v_lshl_add_u32 v57, v57, 23, 0x3c000000
	v_and_b32_e32 v59, 0x80000000, v59
	s_delay_alu instid0(VALU_DEP_1)
	v_or3_b32 v6, v6, v59, v57
.LBB398_112:                            ;   in Loop: Header=BB398_10 Depth=1
	s_or_b32 exec_lo, exec_lo, s20
.LBB398_113:                            ;   in Loop: Header=BB398_10 Depth=1
	s_delay_alu instid0(SALU_CYCLE_1)
	s_or_b32 exec_lo, exec_lo, s19
.LBB398_114:                            ;   in Loop: Header=BB398_10 Depth=1
	s_delay_alu instid0(SALU_CYCLE_1) | instskip(NEXT) | instid1(VALU_DEP_1)
	s_or_b32 exec_lo, exec_lo, s3
	v_mul_f32_e32 v6, v41, v6
	s_delay_alu instid0(VALU_DEP_1) | instskip(NEXT) | instid1(VALU_DEP_1)
	v_and_b32_e32 v57, 0x7f800000, v6
	v_cmp_ne_u32_e64 s2, 0x7f800000, v57
                                        ; implicit-def: $vgpr57
	s_delay_alu instid0(VALU_DEP_1) | instskip(NEXT) | instid1(SALU_CYCLE_1)
	s_and_saveexec_b32 s3, s2
	s_xor_b32 s2, exec_lo, s3
; %bb.115:                              ;   in Loop: Header=BB398_10 Depth=1
	v_bfe_u32 v57, v6, 16, 1
	s_delay_alu instid0(VALU_DEP_1)
	v_add3_u32 v57, v6, v57, 0x7fff
                                        ; implicit-def: $vgpr6
; %bb.116:                              ;   in Loop: Header=BB398_10 Depth=1
	s_and_not1_saveexec_b32 s3, s2
; %bb.117:                              ;   in Loop: Header=BB398_10 Depth=1
	v_and_b32_e32 v57, 0xffff, v6
	v_or_b32_e32 v59, 0x10000, v6
	s_delay_alu instid0(VALU_DEP_2) | instskip(NEXT) | instid1(VALU_DEP_1)
	v_cmp_eq_u32_e64 s2, 0, v57
	v_cndmask_b32_e64 v57, v59, v6, s2
; %bb.118:                              ;   in Loop: Header=BB398_10 Depth=1
	s_or_b32 exec_lo, exec_lo, s3
	v_lshrrev_b16 v59, 8, v58
	v_mov_b32_e32 v6, 0
	s_mov_b32 s3, exec_lo
	s_delay_alu instid0(VALU_DEP_2)
	v_cmpx_ne_u16_e32 0, v59
	s_cbranch_execz .LBB398_126
; %bb.119:                              ;   in Loop: Header=BB398_10 Depth=1
	v_bfrev_b32_e32 v6, 1
	s_mov_b32 s19, exec_lo
	v_cmpx_ne_u16_e32 0x80, v59
	s_cbranch_execz .LBB398_125
; %bb.120:                              ;   in Loop: Header=BB398_10 Depth=1
	v_and_b32_e32 v59, 0xffff, v59
	v_mov_b32_e32 v6, 0x7f800001
	s_mov_b32 s20, exec_lo
	s_delay_alu instid0(VALU_DEP_2) | instskip(NEXT) | instid1(VALU_DEP_1)
	v_and_b32_e32 v60, 0x7f, v59
	v_cmpx_ne_u32_e32 0x7f, v60
	s_cbranch_execz .LBB398_124
; %bb.121:                              ;   in Loop: Header=BB398_10 Depth=1
	v_and_b32_e32 v6, 7, v59
	v_lshrrev_b32_e32 v59, 3, v60
	s_mov_b32 s21, exec_lo
	v_cmpx_gt_u32_e32 8, v60
; %bb.122:                              ;   in Loop: Header=BB398_10 Depth=1
	s_delay_alu instid0(VALU_DEP_3) | instskip(NEXT) | instid1(VALU_DEP_1)
	v_clz_i32_u32_e32 v59, v6
	v_min_u32_e32 v59, 32, v59
	s_delay_alu instid0(VALU_DEP_1) | instskip(SKIP_1) | instid1(VALU_DEP_2)
	v_subrev_nc_u32_e32 v60, 28, v59
	v_sub_nc_u32_e32 v59, 29, v59
	v_lshlrev_b64 v[60:61], v60, v[6:7]
	s_delay_alu instid0(VALU_DEP_1)
	v_and_b32_e32 v6, 7, v60
; %bb.123:                              ;   in Loop: Header=BB398_10 Depth=1
	s_or_b32 exec_lo, exec_lo, s21
	v_lshlrev_b32_e32 v58, 16, v58
	s_delay_alu instid0(VALU_DEP_2) | instskip(SKIP_1) | instid1(VALU_DEP_3)
	v_lshlrev_b32_e32 v6, 20, v6
	v_lshl_add_u32 v59, v59, 23, 0x3c000000
	v_and_b32_e32 v58, 0x80000000, v58
	s_delay_alu instid0(VALU_DEP_1)
	v_or3_b32 v6, v6, v58, v59
.LBB398_124:                            ;   in Loop: Header=BB398_10 Depth=1
	s_or_b32 exec_lo, exec_lo, s20
.LBB398_125:                            ;   in Loop: Header=BB398_10 Depth=1
	s_delay_alu instid0(SALU_CYCLE_1)
	s_or_b32 exec_lo, exec_lo, s19
.LBB398_126:                            ;   in Loop: Header=BB398_10 Depth=1
	s_delay_alu instid0(SALU_CYCLE_1) | instskip(NEXT) | instid1(VALU_DEP_1)
	s_or_b32 exec_lo, exec_lo, s3
	v_mul_f32_e32 v6, v41, v6
	s_delay_alu instid0(VALU_DEP_1) | instskip(NEXT) | instid1(VALU_DEP_1)
	v_and_b32_e32 v58, 0x7f800000, v6
	v_cmp_ne_u32_e64 s2, 0x7f800000, v58
                                        ; implicit-def: $vgpr58
	s_delay_alu instid0(VALU_DEP_1) | instskip(NEXT) | instid1(SALU_CYCLE_1)
	s_and_saveexec_b32 s3, s2
	s_xor_b32 s2, exec_lo, s3
; %bb.127:                              ;   in Loop: Header=BB398_10 Depth=1
	v_bfe_u32 v58, v6, 16, 1
	s_delay_alu instid0(VALU_DEP_1)
	v_add3_u32 v58, v6, v58, 0x7fff
                                        ; implicit-def: $vgpr6
; %bb.128:                              ;   in Loop: Header=BB398_10 Depth=1
	s_and_not1_saveexec_b32 s3, s2
; %bb.129:                              ;   in Loop: Header=BB398_10 Depth=1
	v_and_b32_e32 v58, 0xffff, v6
	v_or_b32_e32 v59, 0x10000, v6
	s_delay_alu instid0(VALU_DEP_2) | instskip(NEXT) | instid1(VALU_DEP_1)
	v_cmp_eq_u32_e64 s2, 0, v58
	v_cndmask_b32_e64 v58, v59, v6, s2
; %bb.130:                              ;   in Loop: Header=BB398_10 Depth=1
	s_or_b32 exec_lo, exec_lo, s3
	flat_load_u16 v6, v[28:29] offset:264
	s_mov_b32 s3, exec_lo
	s_waitcnt vmcnt(0) lgkmcnt(0)
	v_and_b32_e32 v59, 0xff, v6
	v_and_b32_e32 v60, 0xffff, v6
	v_mov_b32_e32 v6, 0
	s_delay_alu instid0(VALU_DEP_3)
	v_cmpx_ne_u16_e32 0, v59
	s_cbranch_execz .LBB398_138
; %bb.131:                              ;   in Loop: Header=BB398_10 Depth=1
	s_delay_alu instid0(VALU_DEP_3) | instskip(NEXT) | instid1(VALU_DEP_1)
	v_and_b32_e32 v6, 0xff, v60
	v_cmp_ne_u16_e64 s2, 0x80, v6
	v_bfrev_b32_e32 v6, 1
	s_delay_alu instid0(VALU_DEP_2)
	s_and_saveexec_b32 s19, s2
	s_cbranch_execz .LBB398_137
; %bb.132:                              ;   in Loop: Header=BB398_10 Depth=1
	v_and_b32_e32 v61, 0x7f, v60
	v_mov_b32_e32 v6, 0x7f800001
	s_mov_b32 s20, exec_lo
	s_delay_alu instid0(VALU_DEP_2)
	v_cmpx_ne_u32_e32 0x7f, v61
	s_cbranch_execz .LBB398_136
; %bb.133:                              ;   in Loop: Header=BB398_10 Depth=1
	v_and_b32_e32 v6, 7, v60
	v_lshrrev_b32_e32 v59, 3, v61
	s_mov_b32 s21, exec_lo
	v_cmpx_gt_u32_e32 8, v61
; %bb.134:                              ;   in Loop: Header=BB398_10 Depth=1
	s_delay_alu instid0(VALU_DEP_3) | instskip(NEXT) | instid1(VALU_DEP_1)
	v_clz_i32_u32_e32 v59, v6
	v_min_u32_e32 v59, 32, v59
	s_delay_alu instid0(VALU_DEP_1) | instskip(SKIP_1) | instid1(VALU_DEP_2)
	v_subrev_nc_u32_e32 v61, 28, v59
	v_sub_nc_u32_e32 v59, 29, v59
	v_lshlrev_b64 v[61:62], v61, v[6:7]
	s_delay_alu instid0(VALU_DEP_1)
	v_and_b32_e32 v6, 7, v61
; %bb.135:                              ;   in Loop: Header=BB398_10 Depth=1
	s_or_b32 exec_lo, exec_lo, s21
	v_lshlrev_b32_e32 v61, 24, v60
	s_delay_alu instid0(VALU_DEP_2) | instskip(SKIP_1) | instid1(VALU_DEP_3)
	v_lshlrev_b32_e32 v6, 20, v6
	v_lshl_add_u32 v59, v59, 23, 0x3c000000
	v_and_b32_e32 v61, 0x80000000, v61
	s_delay_alu instid0(VALU_DEP_1)
	v_or3_b32 v6, v6, v61, v59
.LBB398_136:                            ;   in Loop: Header=BB398_10 Depth=1
	s_or_b32 exec_lo, exec_lo, s20
.LBB398_137:                            ;   in Loop: Header=BB398_10 Depth=1
	s_delay_alu instid0(SALU_CYCLE_1)
	s_or_b32 exec_lo, exec_lo, s19
.LBB398_138:                            ;   in Loop: Header=BB398_10 Depth=1
	s_delay_alu instid0(SALU_CYCLE_1) | instskip(NEXT) | instid1(VALU_DEP_1)
	s_or_b32 exec_lo, exec_lo, s3
	v_mul_f32_e32 v6, v41, v6
	s_delay_alu instid0(VALU_DEP_1) | instskip(NEXT) | instid1(VALU_DEP_1)
	v_and_b32_e32 v59, 0x7f800000, v6
	v_cmp_ne_u32_e64 s2, 0x7f800000, v59
                                        ; implicit-def: $vgpr59
	s_delay_alu instid0(VALU_DEP_1) | instskip(NEXT) | instid1(SALU_CYCLE_1)
	s_and_saveexec_b32 s3, s2
	s_xor_b32 s2, exec_lo, s3
; %bb.139:                              ;   in Loop: Header=BB398_10 Depth=1
	v_bfe_u32 v59, v6, 16, 1
	s_delay_alu instid0(VALU_DEP_1)
	v_add3_u32 v59, v6, v59, 0x7fff
                                        ; implicit-def: $vgpr6
; %bb.140:                              ;   in Loop: Header=BB398_10 Depth=1
	s_and_not1_saveexec_b32 s3, s2
; %bb.141:                              ;   in Loop: Header=BB398_10 Depth=1
	v_and_b32_e32 v59, 0xffff, v6
	v_or_b32_e32 v61, 0x10000, v6
	s_delay_alu instid0(VALU_DEP_2) | instskip(NEXT) | instid1(VALU_DEP_1)
	v_cmp_eq_u32_e64 s2, 0, v59
	v_cndmask_b32_e64 v59, v61, v6, s2
; %bb.142:                              ;   in Loop: Header=BB398_10 Depth=1
	s_or_b32 exec_lo, exec_lo, s3
	v_lshrrev_b16 v61, 8, v60
	v_mov_b32_e32 v6, 0
	s_mov_b32 s3, exec_lo
	s_delay_alu instid0(VALU_DEP_2)
	v_cmpx_ne_u16_e32 0, v61
	s_cbranch_execz .LBB398_150
; %bb.143:                              ;   in Loop: Header=BB398_10 Depth=1
	v_bfrev_b32_e32 v6, 1
	s_mov_b32 s19, exec_lo
	v_cmpx_ne_u16_e32 0x80, v61
	s_cbranch_execz .LBB398_149
; %bb.144:                              ;   in Loop: Header=BB398_10 Depth=1
	v_and_b32_e32 v61, 0xffff, v61
	v_mov_b32_e32 v6, 0x7f800001
	s_mov_b32 s20, exec_lo
	s_delay_alu instid0(VALU_DEP_2) | instskip(NEXT) | instid1(VALU_DEP_1)
	v_and_b32_e32 v62, 0x7f, v61
	v_cmpx_ne_u32_e32 0x7f, v62
	s_cbranch_execz .LBB398_148
; %bb.145:                              ;   in Loop: Header=BB398_10 Depth=1
	v_and_b32_e32 v6, 7, v61
	v_lshrrev_b32_e32 v61, 3, v62
	s_mov_b32 s21, exec_lo
	v_cmpx_gt_u32_e32 8, v62
; %bb.146:                              ;   in Loop: Header=BB398_10 Depth=1
	s_delay_alu instid0(VALU_DEP_3) | instskip(NEXT) | instid1(VALU_DEP_1)
	v_clz_i32_u32_e32 v61, v6
	v_min_u32_e32 v61, 32, v61
	s_delay_alu instid0(VALU_DEP_1) | instskip(SKIP_1) | instid1(VALU_DEP_2)
	v_subrev_nc_u32_e32 v62, 28, v61
	v_sub_nc_u32_e32 v61, 29, v61
	v_lshlrev_b64 v[62:63], v62, v[6:7]
	s_delay_alu instid0(VALU_DEP_1)
	v_and_b32_e32 v6, 7, v62
; %bb.147:                              ;   in Loop: Header=BB398_10 Depth=1
	s_or_b32 exec_lo, exec_lo, s21
	v_lshlrev_b32_e32 v60, 16, v60
	s_delay_alu instid0(VALU_DEP_2) | instskip(SKIP_1) | instid1(VALU_DEP_3)
	v_lshlrev_b32_e32 v6, 20, v6
	v_lshl_add_u32 v61, v61, 23, 0x3c000000
	v_and_b32_e32 v60, 0x80000000, v60
	s_delay_alu instid0(VALU_DEP_1)
	v_or3_b32 v6, v6, v60, v61
.LBB398_148:                            ;   in Loop: Header=BB398_10 Depth=1
	s_or_b32 exec_lo, exec_lo, s20
.LBB398_149:                            ;   in Loop: Header=BB398_10 Depth=1
	s_delay_alu instid0(SALU_CYCLE_1)
	s_or_b32 exec_lo, exec_lo, s19
.LBB398_150:                            ;   in Loop: Header=BB398_10 Depth=1
	s_delay_alu instid0(SALU_CYCLE_1) | instskip(NEXT) | instid1(VALU_DEP_1)
	s_or_b32 exec_lo, exec_lo, s3
	v_mul_f32_e32 v6, v41, v6
	s_delay_alu instid0(VALU_DEP_1) | instskip(NEXT) | instid1(VALU_DEP_1)
	v_and_b32_e32 v60, 0x7f800000, v6
	v_cmp_ne_u32_e64 s2, 0x7f800000, v60
                                        ; implicit-def: $vgpr60
	s_delay_alu instid0(VALU_DEP_1) | instskip(NEXT) | instid1(SALU_CYCLE_1)
	s_and_saveexec_b32 s3, s2
	s_xor_b32 s2, exec_lo, s3
; %bb.151:                              ;   in Loop: Header=BB398_10 Depth=1
	v_bfe_u32 v60, v6, 16, 1
	s_delay_alu instid0(VALU_DEP_1)
	v_add3_u32 v60, v6, v60, 0x7fff
                                        ; implicit-def: $vgpr6
; %bb.152:                              ;   in Loop: Header=BB398_10 Depth=1
	s_and_not1_saveexec_b32 s3, s2
; %bb.153:                              ;   in Loop: Header=BB398_10 Depth=1
	v_and_b32_e32 v60, 0xffff, v6
	v_or_b32_e32 v61, 0x10000, v6
	s_delay_alu instid0(VALU_DEP_2) | instskip(NEXT) | instid1(VALU_DEP_1)
	v_cmp_eq_u32_e64 s2, 0, v60
	v_cndmask_b32_e64 v60, v61, v6, s2
; %bb.154:                              ;   in Loop: Header=BB398_10 Depth=1
	s_or_b32 exec_lo, exec_lo, s3
	flat_load_u16 v6, v[28:29] offset:384
	s_mov_b32 s3, exec_lo
	s_waitcnt vmcnt(0) lgkmcnt(0)
	v_and_b32_e32 v61, 0xff, v6
	v_and_b32_e32 v62, 0xffff, v6
	v_mov_b32_e32 v6, 0
	s_delay_alu instid0(VALU_DEP_3)
	v_cmpx_ne_u16_e32 0, v61
	s_cbranch_execz .LBB398_162
; %bb.155:                              ;   in Loop: Header=BB398_10 Depth=1
	s_delay_alu instid0(VALU_DEP_3) | instskip(NEXT) | instid1(VALU_DEP_1)
	v_and_b32_e32 v6, 0xff, v62
	v_cmp_ne_u16_e64 s2, 0x80, v6
	v_bfrev_b32_e32 v6, 1
	s_delay_alu instid0(VALU_DEP_2)
	s_and_saveexec_b32 s19, s2
	s_cbranch_execz .LBB398_161
; %bb.156:                              ;   in Loop: Header=BB398_10 Depth=1
	v_and_b32_e32 v63, 0x7f, v62
	v_mov_b32_e32 v6, 0x7f800001
	s_mov_b32 s20, exec_lo
	s_delay_alu instid0(VALU_DEP_2)
	v_cmpx_ne_u32_e32 0x7f, v63
	s_cbranch_execz .LBB398_160
; %bb.157:                              ;   in Loop: Header=BB398_10 Depth=1
	v_and_b32_e32 v6, 7, v62
	v_lshrrev_b32_e32 v61, 3, v63
	s_mov_b32 s21, exec_lo
	v_cmpx_gt_u32_e32 8, v63
; %bb.158:                              ;   in Loop: Header=BB398_10 Depth=1
	s_delay_alu instid0(VALU_DEP_3) | instskip(NEXT) | instid1(VALU_DEP_1)
	v_clz_i32_u32_e32 v61, v6
	v_min_u32_e32 v61, 32, v61
	s_delay_alu instid0(VALU_DEP_1) | instskip(SKIP_1) | instid1(VALU_DEP_2)
	v_subrev_nc_u32_e32 v63, 28, v61
	v_sub_nc_u32_e32 v61, 29, v61
	v_lshlrev_b64 v[72:73], v63, v[6:7]
	s_delay_alu instid0(VALU_DEP_1)
	v_and_b32_e32 v6, 7, v72
; %bb.159:                              ;   in Loop: Header=BB398_10 Depth=1
	s_or_b32 exec_lo, exec_lo, s21
	v_lshlrev_b32_e32 v63, 24, v62
	s_delay_alu instid0(VALU_DEP_2) | instskip(SKIP_1) | instid1(VALU_DEP_3)
	v_lshlrev_b32_e32 v6, 20, v6
	v_lshl_add_u32 v61, v61, 23, 0x3c000000
	v_and_b32_e32 v63, 0x80000000, v63
	s_delay_alu instid0(VALU_DEP_1)
	v_or3_b32 v6, v6, v63, v61
.LBB398_160:                            ;   in Loop: Header=BB398_10 Depth=1
	s_or_b32 exec_lo, exec_lo, s20
.LBB398_161:                            ;   in Loop: Header=BB398_10 Depth=1
	s_delay_alu instid0(SALU_CYCLE_1)
	s_or_b32 exec_lo, exec_lo, s19
.LBB398_162:                            ;   in Loop: Header=BB398_10 Depth=1
	s_delay_alu instid0(SALU_CYCLE_1) | instskip(NEXT) | instid1(VALU_DEP_1)
	s_or_b32 exec_lo, exec_lo, s3
	v_mul_f32_e32 v6, v41, v6
	s_delay_alu instid0(VALU_DEP_1) | instskip(NEXT) | instid1(VALU_DEP_1)
	v_and_b32_e32 v61, 0x7f800000, v6
	v_cmp_ne_u32_e64 s2, 0x7f800000, v61
                                        ; implicit-def: $vgpr61
	s_delay_alu instid0(VALU_DEP_1) | instskip(NEXT) | instid1(SALU_CYCLE_1)
	s_and_saveexec_b32 s3, s2
	s_xor_b32 s2, exec_lo, s3
; %bb.163:                              ;   in Loop: Header=BB398_10 Depth=1
	v_bfe_u32 v61, v6, 16, 1
	s_delay_alu instid0(VALU_DEP_1)
	v_add3_u32 v61, v6, v61, 0x7fff
                                        ; implicit-def: $vgpr6
; %bb.164:                              ;   in Loop: Header=BB398_10 Depth=1
	s_and_not1_saveexec_b32 s3, s2
; %bb.165:                              ;   in Loop: Header=BB398_10 Depth=1
	v_and_b32_e32 v61, 0xffff, v6
	v_or_b32_e32 v63, 0x10000, v6
	s_delay_alu instid0(VALU_DEP_2) | instskip(NEXT) | instid1(VALU_DEP_1)
	v_cmp_eq_u32_e64 s2, 0, v61
	v_cndmask_b32_e64 v61, v63, v6, s2
; %bb.166:                              ;   in Loop: Header=BB398_10 Depth=1
	s_or_b32 exec_lo, exec_lo, s3
	v_lshrrev_b16 v63, 8, v62
	v_mov_b32_e32 v6, 0
	s_mov_b32 s3, exec_lo
	s_delay_alu instid0(VALU_DEP_2)
	v_cmpx_ne_u16_e32 0, v63
	s_cbranch_execz .LBB398_174
; %bb.167:                              ;   in Loop: Header=BB398_10 Depth=1
	v_bfrev_b32_e32 v6, 1
	s_mov_b32 s19, exec_lo
	v_cmpx_ne_u16_e32 0x80, v63
	s_cbranch_execz .LBB398_173
; %bb.168:                              ;   in Loop: Header=BB398_10 Depth=1
	v_and_b32_e32 v63, 0xffff, v63
	v_mov_b32_e32 v6, 0x7f800001
	s_mov_b32 s20, exec_lo
	s_delay_alu instid0(VALU_DEP_2) | instskip(NEXT) | instid1(VALU_DEP_1)
	v_and_b32_e32 v72, 0x7f, v63
	v_cmpx_ne_u32_e32 0x7f, v72
	s_cbranch_execz .LBB398_172
; %bb.169:                              ;   in Loop: Header=BB398_10 Depth=1
	v_and_b32_e32 v6, 7, v63
	v_lshrrev_b32_e32 v63, 3, v72
	s_mov_b32 s21, exec_lo
	v_cmpx_gt_u32_e32 8, v72
; %bb.170:                              ;   in Loop: Header=BB398_10 Depth=1
	s_delay_alu instid0(VALU_DEP_3) | instskip(NEXT) | instid1(VALU_DEP_1)
	v_clz_i32_u32_e32 v63, v6
	v_min_u32_e32 v63, 32, v63
	s_delay_alu instid0(VALU_DEP_1) | instskip(SKIP_1) | instid1(VALU_DEP_2)
	v_subrev_nc_u32_e32 v72, 28, v63
	v_sub_nc_u32_e32 v63, 29, v63
	v_lshlrev_b64 v[72:73], v72, v[6:7]
	s_delay_alu instid0(VALU_DEP_1)
	v_and_b32_e32 v6, 7, v72
; %bb.171:                              ;   in Loop: Header=BB398_10 Depth=1
	s_or_b32 exec_lo, exec_lo, s21
	v_lshlrev_b32_e32 v62, 16, v62
	s_delay_alu instid0(VALU_DEP_2) | instskip(SKIP_1) | instid1(VALU_DEP_3)
	v_lshlrev_b32_e32 v6, 20, v6
	v_lshl_add_u32 v63, v63, 23, 0x3c000000
	v_and_b32_e32 v62, 0x80000000, v62
	s_delay_alu instid0(VALU_DEP_1)
	v_or3_b32 v6, v6, v62, v63
.LBB398_172:                            ;   in Loop: Header=BB398_10 Depth=1
	s_or_b32 exec_lo, exec_lo, s20
.LBB398_173:                            ;   in Loop: Header=BB398_10 Depth=1
	s_delay_alu instid0(SALU_CYCLE_1)
	s_or_b32 exec_lo, exec_lo, s19
.LBB398_174:                            ;   in Loop: Header=BB398_10 Depth=1
	s_delay_alu instid0(SALU_CYCLE_1) | instskip(NEXT) | instid1(VALU_DEP_1)
	s_or_b32 exec_lo, exec_lo, s3
	v_mul_f32_e32 v6, v41, v6
	s_delay_alu instid0(VALU_DEP_1) | instskip(NEXT) | instid1(VALU_DEP_1)
	v_and_b32_e32 v62, 0x7f800000, v6
	v_cmp_ne_u32_e64 s2, 0x7f800000, v62
                                        ; implicit-def: $vgpr62
	s_delay_alu instid0(VALU_DEP_1) | instskip(NEXT) | instid1(SALU_CYCLE_1)
	s_and_saveexec_b32 s3, s2
	s_xor_b32 s2, exec_lo, s3
; %bb.175:                              ;   in Loop: Header=BB398_10 Depth=1
	v_bfe_u32 v62, v6, 16, 1
	s_delay_alu instid0(VALU_DEP_1)
	v_add3_u32 v62, v6, v62, 0x7fff
                                        ; implicit-def: $vgpr6
; %bb.176:                              ;   in Loop: Header=BB398_10 Depth=1
	s_and_not1_saveexec_b32 s3, s2
; %bb.177:                              ;   in Loop: Header=BB398_10 Depth=1
	v_and_b32_e32 v62, 0xffff, v6
	v_or_b32_e32 v63, 0x10000, v6
	s_delay_alu instid0(VALU_DEP_2) | instskip(NEXT) | instid1(VALU_DEP_1)
	v_cmp_eq_u32_e64 s2, 0, v62
	v_cndmask_b32_e64 v62, v63, v6, s2
; %bb.178:                              ;   in Loop: Header=BB398_10 Depth=1
	s_or_b32 exec_lo, exec_lo, s3
	flat_load_u16 v6, v[28:29] offset:392
	s_mov_b32 s3, exec_lo
	s_waitcnt vmcnt(0) lgkmcnt(0)
	v_and_b32_e32 v63, 0xff, v6
	v_and_b32_e32 v72, 0xffff, v6
	v_mov_b32_e32 v6, 0
	s_delay_alu instid0(VALU_DEP_3)
	v_cmpx_ne_u16_e32 0, v63
	s_cbranch_execz .LBB398_186
; %bb.179:                              ;   in Loop: Header=BB398_10 Depth=1
	s_delay_alu instid0(VALU_DEP_3) | instskip(NEXT) | instid1(VALU_DEP_1)
	v_and_b32_e32 v6, 0xff, v72
	v_cmp_ne_u16_e64 s2, 0x80, v6
	v_bfrev_b32_e32 v6, 1
	s_delay_alu instid0(VALU_DEP_2)
	s_and_saveexec_b32 s19, s2
	s_cbranch_execz .LBB398_185
; %bb.180:                              ;   in Loop: Header=BB398_10 Depth=1
	v_and_b32_e32 v73, 0x7f, v72
	v_mov_b32_e32 v6, 0x7f800001
	s_mov_b32 s20, exec_lo
	s_delay_alu instid0(VALU_DEP_2)
	v_cmpx_ne_u32_e32 0x7f, v73
	s_cbranch_execz .LBB398_184
; %bb.181:                              ;   in Loop: Header=BB398_10 Depth=1
	v_and_b32_e32 v6, 7, v72
	v_lshrrev_b32_e32 v63, 3, v73
	s_mov_b32 s21, exec_lo
	v_cmpx_gt_u32_e32 8, v73
; %bb.182:                              ;   in Loop: Header=BB398_10 Depth=1
	s_delay_alu instid0(VALU_DEP_3) | instskip(NEXT) | instid1(VALU_DEP_1)
	v_clz_i32_u32_e32 v63, v6
	v_min_u32_e32 v63, 32, v63
	s_delay_alu instid0(VALU_DEP_1) | instskip(SKIP_1) | instid1(VALU_DEP_2)
	v_subrev_nc_u32_e32 v73, 28, v63
	v_sub_nc_u32_e32 v63, 29, v63
	v_lshlrev_b64 v[73:74], v73, v[6:7]
	s_delay_alu instid0(VALU_DEP_1)
	v_and_b32_e32 v6, 7, v73
; %bb.183:                              ;   in Loop: Header=BB398_10 Depth=1
	s_or_b32 exec_lo, exec_lo, s21
	v_lshlrev_b32_e32 v73, 24, v72
	s_delay_alu instid0(VALU_DEP_2) | instskip(SKIP_1) | instid1(VALU_DEP_3)
	v_lshlrev_b32_e32 v6, 20, v6
	v_lshl_add_u32 v63, v63, 23, 0x3c000000
	v_and_b32_e32 v73, 0x80000000, v73
	s_delay_alu instid0(VALU_DEP_1)
	v_or3_b32 v6, v6, v73, v63
.LBB398_184:                            ;   in Loop: Header=BB398_10 Depth=1
	s_or_b32 exec_lo, exec_lo, s20
.LBB398_185:                            ;   in Loop: Header=BB398_10 Depth=1
	s_delay_alu instid0(SALU_CYCLE_1)
	s_or_b32 exec_lo, exec_lo, s19
.LBB398_186:                            ;   in Loop: Header=BB398_10 Depth=1
	s_delay_alu instid0(SALU_CYCLE_1) | instskip(NEXT) | instid1(VALU_DEP_1)
	s_or_b32 exec_lo, exec_lo, s3
	v_mul_f32_e32 v6, v41, v6
	s_delay_alu instid0(VALU_DEP_1) | instskip(NEXT) | instid1(VALU_DEP_1)
	v_and_b32_e32 v63, 0x7f800000, v6
	v_cmp_ne_u32_e64 s2, 0x7f800000, v63
                                        ; implicit-def: $vgpr63
	s_delay_alu instid0(VALU_DEP_1) | instskip(NEXT) | instid1(SALU_CYCLE_1)
	s_and_saveexec_b32 s3, s2
	s_xor_b32 s2, exec_lo, s3
; %bb.187:                              ;   in Loop: Header=BB398_10 Depth=1
	v_bfe_u32 v63, v6, 16, 1
	s_delay_alu instid0(VALU_DEP_1)
	v_add3_u32 v63, v6, v63, 0x7fff
                                        ; implicit-def: $vgpr6
; %bb.188:                              ;   in Loop: Header=BB398_10 Depth=1
	s_and_not1_saveexec_b32 s3, s2
; %bb.189:                              ;   in Loop: Header=BB398_10 Depth=1
	v_and_b32_e32 v63, 0xffff, v6
	v_or_b32_e32 v73, 0x10000, v6
	s_delay_alu instid0(VALU_DEP_2) | instskip(NEXT) | instid1(VALU_DEP_1)
	v_cmp_eq_u32_e64 s2, 0, v63
	v_cndmask_b32_e64 v63, v73, v6, s2
; %bb.190:                              ;   in Loop: Header=BB398_10 Depth=1
	s_or_b32 exec_lo, exec_lo, s3
	v_lshrrev_b16 v73, 8, v72
	v_mov_b32_e32 v6, 0
	s_mov_b32 s3, exec_lo
	s_delay_alu instid0(VALU_DEP_2)
	v_cmpx_ne_u16_e32 0, v73
	s_cbranch_execz .LBB398_198
; %bb.191:                              ;   in Loop: Header=BB398_10 Depth=1
	v_bfrev_b32_e32 v6, 1
	s_mov_b32 s19, exec_lo
	v_cmpx_ne_u16_e32 0x80, v73
	s_cbranch_execz .LBB398_197
; %bb.192:                              ;   in Loop: Header=BB398_10 Depth=1
	v_and_b32_e32 v73, 0xffff, v73
	v_mov_b32_e32 v6, 0x7f800001
	s_mov_b32 s20, exec_lo
	s_delay_alu instid0(VALU_DEP_2) | instskip(NEXT) | instid1(VALU_DEP_1)
	v_and_b32_e32 v74, 0x7f, v73
	v_cmpx_ne_u32_e32 0x7f, v74
	s_cbranch_execz .LBB398_196
; %bb.193:                              ;   in Loop: Header=BB398_10 Depth=1
	v_and_b32_e32 v6, 7, v73
	v_lshrrev_b32_e32 v73, 3, v74
	s_mov_b32 s21, exec_lo
	v_cmpx_gt_u32_e32 8, v74
; %bb.194:                              ;   in Loop: Header=BB398_10 Depth=1
	s_delay_alu instid0(VALU_DEP_3) | instskip(NEXT) | instid1(VALU_DEP_1)
	v_clz_i32_u32_e32 v73, v6
	v_min_u32_e32 v73, 32, v73
	s_delay_alu instid0(VALU_DEP_1) | instskip(SKIP_1) | instid1(VALU_DEP_2)
	v_subrev_nc_u32_e32 v74, 28, v73
	v_sub_nc_u32_e32 v73, 29, v73
	v_lshlrev_b64 v[74:75], v74, v[6:7]
	s_delay_alu instid0(VALU_DEP_1)
	v_and_b32_e32 v6, 7, v74
; %bb.195:                              ;   in Loop: Header=BB398_10 Depth=1
	s_or_b32 exec_lo, exec_lo, s21
	v_lshlrev_b32_e32 v72, 16, v72
	s_delay_alu instid0(VALU_DEP_2) | instskip(SKIP_1) | instid1(VALU_DEP_3)
	v_lshlrev_b32_e32 v6, 20, v6
	v_lshl_add_u32 v73, v73, 23, 0x3c000000
	v_and_b32_e32 v72, 0x80000000, v72
	s_delay_alu instid0(VALU_DEP_1)
	v_or3_b32 v6, v6, v72, v73
.LBB398_196:                            ;   in Loop: Header=BB398_10 Depth=1
	s_or_b32 exec_lo, exec_lo, s20
.LBB398_197:                            ;   in Loop: Header=BB398_10 Depth=1
	s_delay_alu instid0(SALU_CYCLE_1)
	s_or_b32 exec_lo, exec_lo, s19
.LBB398_198:                            ;   in Loop: Header=BB398_10 Depth=1
	s_delay_alu instid0(SALU_CYCLE_1) | instskip(NEXT) | instid1(VALU_DEP_1)
	s_or_b32 exec_lo, exec_lo, s3
	v_mul_f32_e32 v6, v41, v6
	s_delay_alu instid0(VALU_DEP_1) | instskip(NEXT) | instid1(VALU_DEP_1)
	v_and_b32_e32 v72, 0x7f800000, v6
	v_cmp_ne_u32_e64 s2, 0x7f800000, v72
                                        ; implicit-def: $vgpr72
	s_delay_alu instid0(VALU_DEP_1) | instskip(NEXT) | instid1(SALU_CYCLE_1)
	s_and_saveexec_b32 s3, s2
	s_xor_b32 s2, exec_lo, s3
; %bb.199:                              ;   in Loop: Header=BB398_10 Depth=1
	v_bfe_u32 v72, v6, 16, 1
	s_delay_alu instid0(VALU_DEP_1)
	v_add3_u32 v72, v6, v72, 0x7fff
                                        ; implicit-def: $vgpr6
; %bb.200:                              ;   in Loop: Header=BB398_10 Depth=1
	s_and_not1_saveexec_b32 s3, s2
; %bb.201:                              ;   in Loop: Header=BB398_10 Depth=1
	v_and_b32_e32 v72, 0xffff, v6
	v_or_b32_e32 v73, 0x10000, v6
	s_delay_alu instid0(VALU_DEP_2) | instskip(NEXT) | instid1(VALU_DEP_1)
	v_cmp_eq_u32_e64 s2, 0, v72
	v_cndmask_b32_e64 v72, v73, v6, s2
; %bb.202:                              ;   in Loop: Header=BB398_10 Depth=1
	s_or_b32 exec_lo, exec_lo, s3
	flat_load_u16 v6, v[28:29] offset:512
	s_mov_b32 s3, exec_lo
	s_waitcnt vmcnt(0) lgkmcnt(0)
	v_and_b32_e32 v73, 0xff, v6
	v_and_b32_e32 v74, 0xffff, v6
	v_mov_b32_e32 v6, 0
	s_delay_alu instid0(VALU_DEP_3)
	v_cmpx_ne_u16_e32 0, v73
	s_cbranch_execz .LBB398_210
; %bb.203:                              ;   in Loop: Header=BB398_10 Depth=1
	s_delay_alu instid0(VALU_DEP_3) | instskip(NEXT) | instid1(VALU_DEP_1)
	v_and_b32_e32 v6, 0xff, v74
	v_cmp_ne_u16_e64 s2, 0x80, v6
	v_bfrev_b32_e32 v6, 1
	s_delay_alu instid0(VALU_DEP_2)
	s_and_saveexec_b32 s19, s2
	s_cbranch_execz .LBB398_209
; %bb.204:                              ;   in Loop: Header=BB398_10 Depth=1
	v_and_b32_e32 v75, 0x7f, v74
	v_mov_b32_e32 v6, 0x7f800001
	s_mov_b32 s20, exec_lo
	s_delay_alu instid0(VALU_DEP_2)
	v_cmpx_ne_u32_e32 0x7f, v75
	s_cbranch_execz .LBB398_208
; %bb.205:                              ;   in Loop: Header=BB398_10 Depth=1
	v_and_b32_e32 v6, 7, v74
	v_lshrrev_b32_e32 v73, 3, v75
	s_mov_b32 s21, exec_lo
	v_cmpx_gt_u32_e32 8, v75
; %bb.206:                              ;   in Loop: Header=BB398_10 Depth=1
	s_delay_alu instid0(VALU_DEP_3) | instskip(NEXT) | instid1(VALU_DEP_1)
	v_clz_i32_u32_e32 v73, v6
	v_min_u32_e32 v73, 32, v73
	s_delay_alu instid0(VALU_DEP_1) | instskip(SKIP_1) | instid1(VALU_DEP_2)
	v_subrev_nc_u32_e32 v75, 28, v73
	v_sub_nc_u32_e32 v73, 29, v73
	v_lshlrev_b64 v[75:76], v75, v[6:7]
	s_delay_alu instid0(VALU_DEP_1)
	v_and_b32_e32 v6, 7, v75
; %bb.207:                              ;   in Loop: Header=BB398_10 Depth=1
	s_or_b32 exec_lo, exec_lo, s21
	v_lshlrev_b32_e32 v75, 24, v74
	s_delay_alu instid0(VALU_DEP_2) | instskip(SKIP_1) | instid1(VALU_DEP_3)
	v_lshlrev_b32_e32 v6, 20, v6
	v_lshl_add_u32 v73, v73, 23, 0x3c000000
	v_and_b32_e32 v75, 0x80000000, v75
	s_delay_alu instid0(VALU_DEP_1)
	v_or3_b32 v6, v6, v75, v73
.LBB398_208:                            ;   in Loop: Header=BB398_10 Depth=1
	s_or_b32 exec_lo, exec_lo, s20
.LBB398_209:                            ;   in Loop: Header=BB398_10 Depth=1
	s_delay_alu instid0(SALU_CYCLE_1)
	s_or_b32 exec_lo, exec_lo, s19
.LBB398_210:                            ;   in Loop: Header=BB398_10 Depth=1
	s_delay_alu instid0(SALU_CYCLE_1) | instskip(NEXT) | instid1(VALU_DEP_1)
	s_or_b32 exec_lo, exec_lo, s3
	v_mul_f32_e32 v6, v41, v6
	s_delay_alu instid0(VALU_DEP_1) | instskip(NEXT) | instid1(VALU_DEP_1)
	v_and_b32_e32 v73, 0x7f800000, v6
	v_cmp_ne_u32_e64 s2, 0x7f800000, v73
                                        ; implicit-def: $vgpr73
	s_delay_alu instid0(VALU_DEP_1) | instskip(NEXT) | instid1(SALU_CYCLE_1)
	s_and_saveexec_b32 s3, s2
	s_xor_b32 s2, exec_lo, s3
; %bb.211:                              ;   in Loop: Header=BB398_10 Depth=1
	v_bfe_u32 v73, v6, 16, 1
	s_delay_alu instid0(VALU_DEP_1)
	v_add3_u32 v73, v6, v73, 0x7fff
                                        ; implicit-def: $vgpr6
; %bb.212:                              ;   in Loop: Header=BB398_10 Depth=1
	s_and_not1_saveexec_b32 s3, s2
; %bb.213:                              ;   in Loop: Header=BB398_10 Depth=1
	v_and_b32_e32 v73, 0xffff, v6
	v_or_b32_e32 v75, 0x10000, v6
	s_delay_alu instid0(VALU_DEP_2) | instskip(NEXT) | instid1(VALU_DEP_1)
	v_cmp_eq_u32_e64 s2, 0, v73
	v_cndmask_b32_e64 v73, v75, v6, s2
; %bb.214:                              ;   in Loop: Header=BB398_10 Depth=1
	s_or_b32 exec_lo, exec_lo, s3
	v_lshrrev_b16 v75, 8, v74
	v_mov_b32_e32 v6, 0
	s_mov_b32 s3, exec_lo
	s_delay_alu instid0(VALU_DEP_2)
	v_cmpx_ne_u16_e32 0, v75
	s_cbranch_execz .LBB398_222
; %bb.215:                              ;   in Loop: Header=BB398_10 Depth=1
	v_bfrev_b32_e32 v6, 1
	s_mov_b32 s19, exec_lo
	v_cmpx_ne_u16_e32 0x80, v75
	s_cbranch_execz .LBB398_221
; %bb.216:                              ;   in Loop: Header=BB398_10 Depth=1
	v_and_b32_e32 v75, 0xffff, v75
	v_mov_b32_e32 v6, 0x7f800001
	s_mov_b32 s20, exec_lo
	s_delay_alu instid0(VALU_DEP_2) | instskip(NEXT) | instid1(VALU_DEP_1)
	v_and_b32_e32 v76, 0x7f, v75
	v_cmpx_ne_u32_e32 0x7f, v76
	s_cbranch_execz .LBB398_220
; %bb.217:                              ;   in Loop: Header=BB398_10 Depth=1
	v_and_b32_e32 v6, 7, v75
	v_lshrrev_b32_e32 v75, 3, v76
	s_mov_b32 s21, exec_lo
	v_cmpx_gt_u32_e32 8, v76
; %bb.218:                              ;   in Loop: Header=BB398_10 Depth=1
	s_delay_alu instid0(VALU_DEP_3) | instskip(NEXT) | instid1(VALU_DEP_1)
	v_clz_i32_u32_e32 v75, v6
	v_min_u32_e32 v75, 32, v75
	s_delay_alu instid0(VALU_DEP_1) | instskip(SKIP_1) | instid1(VALU_DEP_2)
	v_subrev_nc_u32_e32 v76, 28, v75
	v_sub_nc_u32_e32 v75, 29, v75
	v_lshlrev_b64 v[76:77], v76, v[6:7]
	s_delay_alu instid0(VALU_DEP_1)
	v_and_b32_e32 v6, 7, v76
; %bb.219:                              ;   in Loop: Header=BB398_10 Depth=1
	s_or_b32 exec_lo, exec_lo, s21
	v_lshlrev_b32_e32 v74, 16, v74
	s_delay_alu instid0(VALU_DEP_2) | instskip(SKIP_1) | instid1(VALU_DEP_3)
	v_lshlrev_b32_e32 v6, 20, v6
	v_lshl_add_u32 v75, v75, 23, 0x3c000000
	v_and_b32_e32 v74, 0x80000000, v74
	s_delay_alu instid0(VALU_DEP_1)
	v_or3_b32 v6, v6, v74, v75
.LBB398_220:                            ;   in Loop: Header=BB398_10 Depth=1
	s_or_b32 exec_lo, exec_lo, s20
.LBB398_221:                            ;   in Loop: Header=BB398_10 Depth=1
	s_delay_alu instid0(SALU_CYCLE_1)
	s_or_b32 exec_lo, exec_lo, s19
.LBB398_222:                            ;   in Loop: Header=BB398_10 Depth=1
	s_delay_alu instid0(SALU_CYCLE_1) | instskip(NEXT) | instid1(VALU_DEP_1)
	s_or_b32 exec_lo, exec_lo, s3
	v_mul_f32_e32 v6, v41, v6
	s_delay_alu instid0(VALU_DEP_1) | instskip(NEXT) | instid1(VALU_DEP_1)
	v_and_b32_e32 v74, 0x7f800000, v6
	v_cmp_ne_u32_e64 s2, 0x7f800000, v74
                                        ; implicit-def: $vgpr74
	s_delay_alu instid0(VALU_DEP_1) | instskip(NEXT) | instid1(SALU_CYCLE_1)
	s_and_saveexec_b32 s3, s2
	s_xor_b32 s2, exec_lo, s3
; %bb.223:                              ;   in Loop: Header=BB398_10 Depth=1
	v_bfe_u32 v74, v6, 16, 1
	s_delay_alu instid0(VALU_DEP_1)
	v_add3_u32 v74, v6, v74, 0x7fff
                                        ; implicit-def: $vgpr6
; %bb.224:                              ;   in Loop: Header=BB398_10 Depth=1
	s_and_not1_saveexec_b32 s3, s2
; %bb.225:                              ;   in Loop: Header=BB398_10 Depth=1
	v_and_b32_e32 v74, 0xffff, v6
	v_or_b32_e32 v75, 0x10000, v6
	s_delay_alu instid0(VALU_DEP_2) | instskip(NEXT) | instid1(VALU_DEP_1)
	v_cmp_eq_u32_e64 s2, 0, v74
	v_cndmask_b32_e64 v74, v75, v6, s2
; %bb.226:                              ;   in Loop: Header=BB398_10 Depth=1
	s_or_b32 exec_lo, exec_lo, s3
	flat_load_u16 v6, v[28:29] offset:520
	s_mov_b32 s3, exec_lo
	s_waitcnt vmcnt(0) lgkmcnt(0)
	v_and_b32_e32 v75, 0xff, v6
	v_and_b32_e32 v76, 0xffff, v6
	v_mov_b32_e32 v6, 0
	s_delay_alu instid0(VALU_DEP_3)
	v_cmpx_ne_u16_e32 0, v75
	s_cbranch_execz .LBB398_234
; %bb.227:                              ;   in Loop: Header=BB398_10 Depth=1
	s_delay_alu instid0(VALU_DEP_3) | instskip(NEXT) | instid1(VALU_DEP_1)
	v_and_b32_e32 v6, 0xff, v76
	v_cmp_ne_u16_e64 s2, 0x80, v6
	v_bfrev_b32_e32 v6, 1
	s_delay_alu instid0(VALU_DEP_2)
	s_and_saveexec_b32 s19, s2
	s_cbranch_execz .LBB398_233
; %bb.228:                              ;   in Loop: Header=BB398_10 Depth=1
	v_and_b32_e32 v77, 0x7f, v76
	v_mov_b32_e32 v6, 0x7f800001
	s_mov_b32 s20, exec_lo
	s_delay_alu instid0(VALU_DEP_2)
	v_cmpx_ne_u32_e32 0x7f, v77
	s_cbranch_execz .LBB398_232
; %bb.229:                              ;   in Loop: Header=BB398_10 Depth=1
	v_and_b32_e32 v6, 7, v76
	v_lshrrev_b32_e32 v75, 3, v77
	s_mov_b32 s21, exec_lo
	v_cmpx_gt_u32_e32 8, v77
; %bb.230:                              ;   in Loop: Header=BB398_10 Depth=1
	s_delay_alu instid0(VALU_DEP_3) | instskip(NEXT) | instid1(VALU_DEP_1)
	v_clz_i32_u32_e32 v75, v6
	v_min_u32_e32 v75, 32, v75
	s_delay_alu instid0(VALU_DEP_1) | instskip(SKIP_1) | instid1(VALU_DEP_2)
	v_subrev_nc_u32_e32 v77, 28, v75
	v_sub_nc_u32_e32 v75, 29, v75
	v_lshlrev_b64 v[77:78], v77, v[6:7]
	s_delay_alu instid0(VALU_DEP_1)
	v_and_b32_e32 v6, 7, v77
; %bb.231:                              ;   in Loop: Header=BB398_10 Depth=1
	s_or_b32 exec_lo, exec_lo, s21
	v_lshlrev_b32_e32 v77, 24, v76
	s_delay_alu instid0(VALU_DEP_2) | instskip(SKIP_1) | instid1(VALU_DEP_3)
	v_lshlrev_b32_e32 v6, 20, v6
	v_lshl_add_u32 v75, v75, 23, 0x3c000000
	v_and_b32_e32 v77, 0x80000000, v77
	s_delay_alu instid0(VALU_DEP_1)
	v_or3_b32 v6, v6, v77, v75
.LBB398_232:                            ;   in Loop: Header=BB398_10 Depth=1
	s_or_b32 exec_lo, exec_lo, s20
.LBB398_233:                            ;   in Loop: Header=BB398_10 Depth=1
	s_delay_alu instid0(SALU_CYCLE_1)
	s_or_b32 exec_lo, exec_lo, s19
.LBB398_234:                            ;   in Loop: Header=BB398_10 Depth=1
	s_delay_alu instid0(SALU_CYCLE_1) | instskip(NEXT) | instid1(VALU_DEP_1)
	s_or_b32 exec_lo, exec_lo, s3
	v_mul_f32_e32 v6, v41, v6
	s_delay_alu instid0(VALU_DEP_1) | instskip(NEXT) | instid1(VALU_DEP_1)
	v_and_b32_e32 v75, 0x7f800000, v6
	v_cmp_ne_u32_e64 s2, 0x7f800000, v75
                                        ; implicit-def: $vgpr75
	s_delay_alu instid0(VALU_DEP_1) | instskip(NEXT) | instid1(SALU_CYCLE_1)
	s_and_saveexec_b32 s3, s2
	s_xor_b32 s2, exec_lo, s3
; %bb.235:                              ;   in Loop: Header=BB398_10 Depth=1
	v_bfe_u32 v75, v6, 16, 1
	s_delay_alu instid0(VALU_DEP_1)
	v_add3_u32 v75, v6, v75, 0x7fff
                                        ; implicit-def: $vgpr6
; %bb.236:                              ;   in Loop: Header=BB398_10 Depth=1
	s_and_not1_saveexec_b32 s3, s2
; %bb.237:                              ;   in Loop: Header=BB398_10 Depth=1
	v_and_b32_e32 v75, 0xffff, v6
	v_or_b32_e32 v77, 0x10000, v6
	s_delay_alu instid0(VALU_DEP_2) | instskip(NEXT) | instid1(VALU_DEP_1)
	v_cmp_eq_u32_e64 s2, 0, v75
	v_cndmask_b32_e64 v75, v77, v6, s2
; %bb.238:                              ;   in Loop: Header=BB398_10 Depth=1
	s_or_b32 exec_lo, exec_lo, s3
	v_lshrrev_b16 v77, 8, v76
	v_mov_b32_e32 v6, 0
	s_mov_b32 s3, exec_lo
	s_delay_alu instid0(VALU_DEP_2)
	v_cmpx_ne_u16_e32 0, v77
	s_cbranch_execz .LBB398_246
; %bb.239:                              ;   in Loop: Header=BB398_10 Depth=1
	v_bfrev_b32_e32 v6, 1
	s_mov_b32 s19, exec_lo
	v_cmpx_ne_u16_e32 0x80, v77
	s_cbranch_execz .LBB398_245
; %bb.240:                              ;   in Loop: Header=BB398_10 Depth=1
	v_and_b32_e32 v77, 0xffff, v77
	v_mov_b32_e32 v6, 0x7f800001
	s_mov_b32 s20, exec_lo
	s_delay_alu instid0(VALU_DEP_2) | instskip(NEXT) | instid1(VALU_DEP_1)
	v_and_b32_e32 v78, 0x7f, v77
	v_cmpx_ne_u32_e32 0x7f, v78
	s_cbranch_execz .LBB398_244
; %bb.241:                              ;   in Loop: Header=BB398_10 Depth=1
	v_and_b32_e32 v6, 7, v77
	v_lshrrev_b32_e32 v77, 3, v78
	s_mov_b32 s21, exec_lo
	v_cmpx_gt_u32_e32 8, v78
; %bb.242:                              ;   in Loop: Header=BB398_10 Depth=1
	s_delay_alu instid0(VALU_DEP_3) | instskip(NEXT) | instid1(VALU_DEP_1)
	v_clz_i32_u32_e32 v77, v6
	v_min_u32_e32 v77, 32, v77
	s_delay_alu instid0(VALU_DEP_1) | instskip(SKIP_1) | instid1(VALU_DEP_2)
	v_subrev_nc_u32_e32 v78, 28, v77
	v_sub_nc_u32_e32 v77, 29, v77
	v_lshlrev_b64 v[78:79], v78, v[6:7]
	s_delay_alu instid0(VALU_DEP_1)
	v_and_b32_e32 v6, 7, v78
; %bb.243:                              ;   in Loop: Header=BB398_10 Depth=1
	s_or_b32 exec_lo, exec_lo, s21
	v_lshlrev_b32_e32 v76, 16, v76
	s_delay_alu instid0(VALU_DEP_2) | instskip(SKIP_1) | instid1(VALU_DEP_3)
	v_lshlrev_b32_e32 v6, 20, v6
	v_lshl_add_u32 v77, v77, 23, 0x3c000000
	v_and_b32_e32 v76, 0x80000000, v76
	s_delay_alu instid0(VALU_DEP_1)
	v_or3_b32 v6, v6, v76, v77
.LBB398_244:                            ;   in Loop: Header=BB398_10 Depth=1
	s_or_b32 exec_lo, exec_lo, s20
.LBB398_245:                            ;   in Loop: Header=BB398_10 Depth=1
	s_delay_alu instid0(SALU_CYCLE_1)
	s_or_b32 exec_lo, exec_lo, s19
.LBB398_246:                            ;   in Loop: Header=BB398_10 Depth=1
	s_delay_alu instid0(SALU_CYCLE_1) | instskip(NEXT) | instid1(VALU_DEP_1)
	s_or_b32 exec_lo, exec_lo, s3
	v_mul_f32_e32 v6, v41, v6
	s_delay_alu instid0(VALU_DEP_1) | instskip(NEXT) | instid1(VALU_DEP_1)
	v_and_b32_e32 v76, 0x7f800000, v6
	v_cmp_ne_u32_e64 s2, 0x7f800000, v76
                                        ; implicit-def: $vgpr76
	s_delay_alu instid0(VALU_DEP_1) | instskip(NEXT) | instid1(SALU_CYCLE_1)
	s_and_saveexec_b32 s3, s2
	s_xor_b32 s2, exec_lo, s3
; %bb.247:                              ;   in Loop: Header=BB398_10 Depth=1
	v_bfe_u32 v76, v6, 16, 1
	s_delay_alu instid0(VALU_DEP_1)
	v_add3_u32 v76, v6, v76, 0x7fff
                                        ; implicit-def: $vgpr6
; %bb.248:                              ;   in Loop: Header=BB398_10 Depth=1
	s_and_not1_saveexec_b32 s3, s2
; %bb.249:                              ;   in Loop: Header=BB398_10 Depth=1
	v_and_b32_e32 v76, 0xffff, v6
	v_or_b32_e32 v77, 0x10000, v6
	s_delay_alu instid0(VALU_DEP_2) | instskip(NEXT) | instid1(VALU_DEP_1)
	v_cmp_eq_u32_e64 s2, 0, v76
	v_cndmask_b32_e64 v76, v77, v6, s2
; %bb.250:                              ;   in Loop: Header=BB398_10 Depth=1
	s_or_b32 exec_lo, exec_lo, s3
	flat_load_u16 v6, v[28:29] offset:640
	s_mov_b32 s3, exec_lo
	s_waitcnt vmcnt(0) lgkmcnt(0)
	v_and_b32_e32 v77, 0xff, v6
	v_and_b32_e32 v78, 0xffff, v6
	v_mov_b32_e32 v6, 0
	s_delay_alu instid0(VALU_DEP_3)
	v_cmpx_ne_u16_e32 0, v77
	s_cbranch_execz .LBB398_258
; %bb.251:                              ;   in Loop: Header=BB398_10 Depth=1
	s_delay_alu instid0(VALU_DEP_3) | instskip(NEXT) | instid1(VALU_DEP_1)
	v_and_b32_e32 v6, 0xff, v78
	v_cmp_ne_u16_e64 s2, 0x80, v6
	v_bfrev_b32_e32 v6, 1
	s_delay_alu instid0(VALU_DEP_2)
	s_and_saveexec_b32 s19, s2
	s_cbranch_execz .LBB398_257
; %bb.252:                              ;   in Loop: Header=BB398_10 Depth=1
	v_and_b32_e32 v79, 0x7f, v78
	v_mov_b32_e32 v6, 0x7f800001
	s_mov_b32 s20, exec_lo
	s_delay_alu instid0(VALU_DEP_2)
	v_cmpx_ne_u32_e32 0x7f, v79
	s_cbranch_execz .LBB398_256
; %bb.253:                              ;   in Loop: Header=BB398_10 Depth=1
	v_and_b32_e32 v6, 7, v78
	v_lshrrev_b32_e32 v77, 3, v79
	s_mov_b32 s21, exec_lo
	v_cmpx_gt_u32_e32 8, v79
; %bb.254:                              ;   in Loop: Header=BB398_10 Depth=1
	s_delay_alu instid0(VALU_DEP_3) | instskip(NEXT) | instid1(VALU_DEP_1)
	v_clz_i32_u32_e32 v77, v6
	v_min_u32_e32 v77, 32, v77
	s_delay_alu instid0(VALU_DEP_1) | instskip(SKIP_1) | instid1(VALU_DEP_2)
	v_subrev_nc_u32_e32 v79, 28, v77
	v_sub_nc_u32_e32 v77, 29, v77
	v_lshlrev_b64 v[88:89], v79, v[6:7]
	s_delay_alu instid0(VALU_DEP_1)
	v_and_b32_e32 v6, 7, v88
; %bb.255:                              ;   in Loop: Header=BB398_10 Depth=1
	s_or_b32 exec_lo, exec_lo, s21
	v_lshlrev_b32_e32 v79, 24, v78
	s_delay_alu instid0(VALU_DEP_2) | instskip(SKIP_1) | instid1(VALU_DEP_3)
	v_lshlrev_b32_e32 v6, 20, v6
	v_lshl_add_u32 v77, v77, 23, 0x3c000000
	v_and_b32_e32 v79, 0x80000000, v79
	s_delay_alu instid0(VALU_DEP_1)
	v_or3_b32 v6, v6, v79, v77
.LBB398_256:                            ;   in Loop: Header=BB398_10 Depth=1
	s_or_b32 exec_lo, exec_lo, s20
.LBB398_257:                            ;   in Loop: Header=BB398_10 Depth=1
	s_delay_alu instid0(SALU_CYCLE_1)
	s_or_b32 exec_lo, exec_lo, s19
.LBB398_258:                            ;   in Loop: Header=BB398_10 Depth=1
	s_delay_alu instid0(SALU_CYCLE_1) | instskip(NEXT) | instid1(VALU_DEP_1)
	s_or_b32 exec_lo, exec_lo, s3
	v_mul_f32_e32 v6, v41, v6
	s_delay_alu instid0(VALU_DEP_1) | instskip(NEXT) | instid1(VALU_DEP_1)
	v_and_b32_e32 v77, 0x7f800000, v6
	v_cmp_ne_u32_e64 s2, 0x7f800000, v77
                                        ; implicit-def: $vgpr77
	s_delay_alu instid0(VALU_DEP_1) | instskip(NEXT) | instid1(SALU_CYCLE_1)
	s_and_saveexec_b32 s3, s2
	s_xor_b32 s2, exec_lo, s3
; %bb.259:                              ;   in Loop: Header=BB398_10 Depth=1
	v_bfe_u32 v77, v6, 16, 1
	s_delay_alu instid0(VALU_DEP_1)
	v_add3_u32 v77, v6, v77, 0x7fff
                                        ; implicit-def: $vgpr6
; %bb.260:                              ;   in Loop: Header=BB398_10 Depth=1
	s_and_not1_saveexec_b32 s3, s2
; %bb.261:                              ;   in Loop: Header=BB398_10 Depth=1
	v_and_b32_e32 v77, 0xffff, v6
	v_or_b32_e32 v79, 0x10000, v6
	s_delay_alu instid0(VALU_DEP_2) | instskip(NEXT) | instid1(VALU_DEP_1)
	v_cmp_eq_u32_e64 s2, 0, v77
	v_cndmask_b32_e64 v77, v79, v6, s2
; %bb.262:                              ;   in Loop: Header=BB398_10 Depth=1
	s_or_b32 exec_lo, exec_lo, s3
	v_lshrrev_b16 v79, 8, v78
	v_mov_b32_e32 v6, 0
	s_mov_b32 s3, exec_lo
	s_delay_alu instid0(VALU_DEP_2)
	v_cmpx_ne_u16_e32 0, v79
	s_cbranch_execz .LBB398_270
; %bb.263:                              ;   in Loop: Header=BB398_10 Depth=1
	v_bfrev_b32_e32 v6, 1
	s_mov_b32 s19, exec_lo
	v_cmpx_ne_u16_e32 0x80, v79
	s_cbranch_execz .LBB398_269
; %bb.264:                              ;   in Loop: Header=BB398_10 Depth=1
	v_and_b32_e32 v79, 0xffff, v79
	v_mov_b32_e32 v6, 0x7f800001
	s_mov_b32 s20, exec_lo
	s_delay_alu instid0(VALU_DEP_2) | instskip(NEXT) | instid1(VALU_DEP_1)
	v_and_b32_e32 v88, 0x7f, v79
	v_cmpx_ne_u32_e32 0x7f, v88
	s_cbranch_execz .LBB398_268
; %bb.265:                              ;   in Loop: Header=BB398_10 Depth=1
	v_and_b32_e32 v6, 7, v79
	v_lshrrev_b32_e32 v79, 3, v88
	s_mov_b32 s21, exec_lo
	v_cmpx_gt_u32_e32 8, v88
; %bb.266:                              ;   in Loop: Header=BB398_10 Depth=1
	s_delay_alu instid0(VALU_DEP_3) | instskip(NEXT) | instid1(VALU_DEP_1)
	v_clz_i32_u32_e32 v79, v6
	v_min_u32_e32 v79, 32, v79
	s_delay_alu instid0(VALU_DEP_1) | instskip(SKIP_1) | instid1(VALU_DEP_2)
	v_subrev_nc_u32_e32 v88, 28, v79
	v_sub_nc_u32_e32 v79, 29, v79
	v_lshlrev_b64 v[88:89], v88, v[6:7]
	s_delay_alu instid0(VALU_DEP_1)
	v_and_b32_e32 v6, 7, v88
; %bb.267:                              ;   in Loop: Header=BB398_10 Depth=1
	s_or_b32 exec_lo, exec_lo, s21
	v_lshlrev_b32_e32 v78, 16, v78
	s_delay_alu instid0(VALU_DEP_2) | instskip(SKIP_1) | instid1(VALU_DEP_3)
	v_lshlrev_b32_e32 v6, 20, v6
	v_lshl_add_u32 v79, v79, 23, 0x3c000000
	v_and_b32_e32 v78, 0x80000000, v78
	s_delay_alu instid0(VALU_DEP_1)
	v_or3_b32 v6, v6, v78, v79
.LBB398_268:                            ;   in Loop: Header=BB398_10 Depth=1
	s_or_b32 exec_lo, exec_lo, s20
.LBB398_269:                            ;   in Loop: Header=BB398_10 Depth=1
	s_delay_alu instid0(SALU_CYCLE_1)
	s_or_b32 exec_lo, exec_lo, s19
.LBB398_270:                            ;   in Loop: Header=BB398_10 Depth=1
	s_delay_alu instid0(SALU_CYCLE_1) | instskip(NEXT) | instid1(VALU_DEP_1)
	s_or_b32 exec_lo, exec_lo, s3
	v_mul_f32_e32 v6, v41, v6
	s_delay_alu instid0(VALU_DEP_1) | instskip(NEXT) | instid1(VALU_DEP_1)
	v_and_b32_e32 v78, 0x7f800000, v6
	v_cmp_ne_u32_e64 s2, 0x7f800000, v78
                                        ; implicit-def: $vgpr78
	s_delay_alu instid0(VALU_DEP_1) | instskip(NEXT) | instid1(SALU_CYCLE_1)
	s_and_saveexec_b32 s3, s2
	s_xor_b32 s2, exec_lo, s3
; %bb.271:                              ;   in Loop: Header=BB398_10 Depth=1
	v_bfe_u32 v78, v6, 16, 1
	s_delay_alu instid0(VALU_DEP_1)
	v_add3_u32 v78, v6, v78, 0x7fff
                                        ; implicit-def: $vgpr6
; %bb.272:                              ;   in Loop: Header=BB398_10 Depth=1
	s_and_not1_saveexec_b32 s3, s2
; %bb.273:                              ;   in Loop: Header=BB398_10 Depth=1
	v_and_b32_e32 v78, 0xffff, v6
	v_or_b32_e32 v79, 0x10000, v6
	s_delay_alu instid0(VALU_DEP_2) | instskip(NEXT) | instid1(VALU_DEP_1)
	v_cmp_eq_u32_e64 s2, 0, v78
	v_cndmask_b32_e64 v78, v79, v6, s2
; %bb.274:                              ;   in Loop: Header=BB398_10 Depth=1
	s_or_b32 exec_lo, exec_lo, s3
	flat_load_u16 v6, v[28:29] offset:648
	s_mov_b32 s3, exec_lo
	s_waitcnt vmcnt(0) lgkmcnt(0)
	v_and_b32_e32 v79, 0xff, v6
	v_and_b32_e32 v88, 0xffff, v6
	v_mov_b32_e32 v6, 0
	s_delay_alu instid0(VALU_DEP_3)
	v_cmpx_ne_u16_e32 0, v79
	s_cbranch_execz .LBB398_282
; %bb.275:                              ;   in Loop: Header=BB398_10 Depth=1
	s_delay_alu instid0(VALU_DEP_3) | instskip(NEXT) | instid1(VALU_DEP_1)
	v_and_b32_e32 v6, 0xff, v88
	v_cmp_ne_u16_e64 s2, 0x80, v6
	v_bfrev_b32_e32 v6, 1
	s_delay_alu instid0(VALU_DEP_2)
	s_and_saveexec_b32 s19, s2
	s_cbranch_execz .LBB398_281
; %bb.276:                              ;   in Loop: Header=BB398_10 Depth=1
	v_and_b32_e32 v89, 0x7f, v88
	v_mov_b32_e32 v6, 0x7f800001
	s_mov_b32 s20, exec_lo
	s_delay_alu instid0(VALU_DEP_2)
	v_cmpx_ne_u32_e32 0x7f, v89
	s_cbranch_execz .LBB398_280
; %bb.277:                              ;   in Loop: Header=BB398_10 Depth=1
	v_and_b32_e32 v6, 7, v88
	v_lshrrev_b32_e32 v79, 3, v89
	s_mov_b32 s21, exec_lo
	v_cmpx_gt_u32_e32 8, v89
; %bb.278:                              ;   in Loop: Header=BB398_10 Depth=1
	s_delay_alu instid0(VALU_DEP_3) | instskip(NEXT) | instid1(VALU_DEP_1)
	v_clz_i32_u32_e32 v79, v6
	v_min_u32_e32 v79, 32, v79
	s_delay_alu instid0(VALU_DEP_1) | instskip(SKIP_1) | instid1(VALU_DEP_2)
	v_subrev_nc_u32_e32 v89, 28, v79
	v_sub_nc_u32_e32 v79, 29, v79
	v_lshlrev_b64 v[89:90], v89, v[6:7]
	s_delay_alu instid0(VALU_DEP_1)
	v_and_b32_e32 v6, 7, v89
; %bb.279:                              ;   in Loop: Header=BB398_10 Depth=1
	s_or_b32 exec_lo, exec_lo, s21
	v_lshlrev_b32_e32 v89, 24, v88
	s_delay_alu instid0(VALU_DEP_2) | instskip(SKIP_1) | instid1(VALU_DEP_3)
	v_lshlrev_b32_e32 v6, 20, v6
	v_lshl_add_u32 v79, v79, 23, 0x3c000000
	v_and_b32_e32 v89, 0x80000000, v89
	s_delay_alu instid0(VALU_DEP_1)
	v_or3_b32 v6, v6, v89, v79
.LBB398_280:                            ;   in Loop: Header=BB398_10 Depth=1
	s_or_b32 exec_lo, exec_lo, s20
.LBB398_281:                            ;   in Loop: Header=BB398_10 Depth=1
	s_delay_alu instid0(SALU_CYCLE_1)
	s_or_b32 exec_lo, exec_lo, s19
.LBB398_282:                            ;   in Loop: Header=BB398_10 Depth=1
	s_delay_alu instid0(SALU_CYCLE_1) | instskip(NEXT) | instid1(VALU_DEP_1)
	s_or_b32 exec_lo, exec_lo, s3
	v_mul_f32_e32 v6, v41, v6
	s_delay_alu instid0(VALU_DEP_1) | instskip(NEXT) | instid1(VALU_DEP_1)
	v_and_b32_e32 v79, 0x7f800000, v6
	v_cmp_ne_u32_e64 s2, 0x7f800000, v79
                                        ; implicit-def: $vgpr79
	s_delay_alu instid0(VALU_DEP_1) | instskip(NEXT) | instid1(SALU_CYCLE_1)
	s_and_saveexec_b32 s3, s2
	s_xor_b32 s2, exec_lo, s3
; %bb.283:                              ;   in Loop: Header=BB398_10 Depth=1
	v_bfe_u32 v79, v6, 16, 1
	s_delay_alu instid0(VALU_DEP_1)
	v_add3_u32 v79, v6, v79, 0x7fff
                                        ; implicit-def: $vgpr6
; %bb.284:                              ;   in Loop: Header=BB398_10 Depth=1
	s_and_not1_saveexec_b32 s3, s2
; %bb.285:                              ;   in Loop: Header=BB398_10 Depth=1
	v_and_b32_e32 v79, 0xffff, v6
	v_or_b32_e32 v89, 0x10000, v6
	s_delay_alu instid0(VALU_DEP_2) | instskip(NEXT) | instid1(VALU_DEP_1)
	v_cmp_eq_u32_e64 s2, 0, v79
	v_cndmask_b32_e64 v79, v89, v6, s2
; %bb.286:                              ;   in Loop: Header=BB398_10 Depth=1
	s_or_b32 exec_lo, exec_lo, s3
	v_lshrrev_b16 v89, 8, v88
	v_mov_b32_e32 v6, 0
	s_mov_b32 s3, exec_lo
	s_delay_alu instid0(VALU_DEP_2)
	v_cmpx_ne_u16_e32 0, v89
	s_cbranch_execz .LBB398_294
; %bb.287:                              ;   in Loop: Header=BB398_10 Depth=1
	v_bfrev_b32_e32 v6, 1
	s_mov_b32 s19, exec_lo
	v_cmpx_ne_u16_e32 0x80, v89
	s_cbranch_execz .LBB398_293
; %bb.288:                              ;   in Loop: Header=BB398_10 Depth=1
	v_and_b32_e32 v89, 0xffff, v89
	v_mov_b32_e32 v6, 0x7f800001
	s_mov_b32 s20, exec_lo
	s_delay_alu instid0(VALU_DEP_2) | instskip(NEXT) | instid1(VALU_DEP_1)
	v_and_b32_e32 v90, 0x7f, v89
	v_cmpx_ne_u32_e32 0x7f, v90
	s_cbranch_execz .LBB398_292
; %bb.289:                              ;   in Loop: Header=BB398_10 Depth=1
	v_and_b32_e32 v6, 7, v89
	v_lshrrev_b32_e32 v89, 3, v90
	s_mov_b32 s21, exec_lo
	v_cmpx_gt_u32_e32 8, v90
; %bb.290:                              ;   in Loop: Header=BB398_10 Depth=1
	s_delay_alu instid0(VALU_DEP_3) | instskip(NEXT) | instid1(VALU_DEP_1)
	v_clz_i32_u32_e32 v89, v6
	v_min_u32_e32 v89, 32, v89
	s_delay_alu instid0(VALU_DEP_1) | instskip(SKIP_1) | instid1(VALU_DEP_2)
	v_subrev_nc_u32_e32 v90, 28, v89
	v_sub_nc_u32_e32 v89, 29, v89
	v_lshlrev_b64 v[90:91], v90, v[6:7]
	s_delay_alu instid0(VALU_DEP_1)
	v_and_b32_e32 v6, 7, v90
; %bb.291:                              ;   in Loop: Header=BB398_10 Depth=1
	s_or_b32 exec_lo, exec_lo, s21
	v_lshlrev_b32_e32 v88, 16, v88
	s_delay_alu instid0(VALU_DEP_2) | instskip(SKIP_1) | instid1(VALU_DEP_3)
	v_lshlrev_b32_e32 v6, 20, v6
	v_lshl_add_u32 v89, v89, 23, 0x3c000000
	v_and_b32_e32 v88, 0x80000000, v88
	s_delay_alu instid0(VALU_DEP_1)
	v_or3_b32 v6, v6, v88, v89
.LBB398_292:                            ;   in Loop: Header=BB398_10 Depth=1
	s_or_b32 exec_lo, exec_lo, s20
.LBB398_293:                            ;   in Loop: Header=BB398_10 Depth=1
	s_delay_alu instid0(SALU_CYCLE_1)
	s_or_b32 exec_lo, exec_lo, s19
.LBB398_294:                            ;   in Loop: Header=BB398_10 Depth=1
	s_delay_alu instid0(SALU_CYCLE_1) | instskip(NEXT) | instid1(VALU_DEP_1)
	s_or_b32 exec_lo, exec_lo, s3
	v_mul_f32_e32 v6, v41, v6
	s_delay_alu instid0(VALU_DEP_1) | instskip(NEXT) | instid1(VALU_DEP_1)
	v_and_b32_e32 v88, 0x7f800000, v6
	v_cmp_ne_u32_e64 s2, 0x7f800000, v88
                                        ; implicit-def: $vgpr88
	s_delay_alu instid0(VALU_DEP_1) | instskip(NEXT) | instid1(SALU_CYCLE_1)
	s_and_saveexec_b32 s3, s2
	s_xor_b32 s2, exec_lo, s3
; %bb.295:                              ;   in Loop: Header=BB398_10 Depth=1
	v_bfe_u32 v88, v6, 16, 1
	s_delay_alu instid0(VALU_DEP_1)
	v_add3_u32 v88, v6, v88, 0x7fff
                                        ; implicit-def: $vgpr6
; %bb.296:                              ;   in Loop: Header=BB398_10 Depth=1
	s_and_not1_saveexec_b32 s3, s2
; %bb.297:                              ;   in Loop: Header=BB398_10 Depth=1
	v_and_b32_e32 v88, 0xffff, v6
	v_or_b32_e32 v89, 0x10000, v6
	s_delay_alu instid0(VALU_DEP_2) | instskip(NEXT) | instid1(VALU_DEP_1)
	v_cmp_eq_u32_e64 s2, 0, v88
	v_cndmask_b32_e64 v88, v89, v6, s2
; %bb.298:                              ;   in Loop: Header=BB398_10 Depth=1
	s_or_b32 exec_lo, exec_lo, s3
	flat_load_u16 v6, v[28:29] offset:768
	s_mov_b32 s3, exec_lo
	s_waitcnt vmcnt(0) lgkmcnt(0)
	v_and_b32_e32 v89, 0xff, v6
	v_and_b32_e32 v90, 0xffff, v6
	v_mov_b32_e32 v6, 0
	s_delay_alu instid0(VALU_DEP_3)
	v_cmpx_ne_u16_e32 0, v89
	s_cbranch_execz .LBB398_306
; %bb.299:                              ;   in Loop: Header=BB398_10 Depth=1
	s_delay_alu instid0(VALU_DEP_3) | instskip(NEXT) | instid1(VALU_DEP_1)
	v_and_b32_e32 v6, 0xff, v90
	v_cmp_ne_u16_e64 s2, 0x80, v6
	v_bfrev_b32_e32 v6, 1
	s_delay_alu instid0(VALU_DEP_2)
	s_and_saveexec_b32 s19, s2
	s_cbranch_execz .LBB398_305
; %bb.300:                              ;   in Loop: Header=BB398_10 Depth=1
	v_and_b32_e32 v91, 0x7f, v90
	v_mov_b32_e32 v6, 0x7f800001
	s_mov_b32 s20, exec_lo
	s_delay_alu instid0(VALU_DEP_2)
	v_cmpx_ne_u32_e32 0x7f, v91
	s_cbranch_execz .LBB398_304
; %bb.301:                              ;   in Loop: Header=BB398_10 Depth=1
	v_and_b32_e32 v6, 7, v90
	v_lshrrev_b32_e32 v89, 3, v91
	s_mov_b32 s21, exec_lo
	v_cmpx_gt_u32_e32 8, v91
; %bb.302:                              ;   in Loop: Header=BB398_10 Depth=1
	s_delay_alu instid0(VALU_DEP_3) | instskip(NEXT) | instid1(VALU_DEP_1)
	v_clz_i32_u32_e32 v89, v6
	v_min_u32_e32 v89, 32, v89
	s_delay_alu instid0(VALU_DEP_1) | instskip(SKIP_1) | instid1(VALU_DEP_2)
	v_subrev_nc_u32_e32 v91, 28, v89
	v_sub_nc_u32_e32 v89, 29, v89
	v_lshlrev_b64 v[91:92], v91, v[6:7]
	s_delay_alu instid0(VALU_DEP_1)
	v_and_b32_e32 v6, 7, v91
; %bb.303:                              ;   in Loop: Header=BB398_10 Depth=1
	s_or_b32 exec_lo, exec_lo, s21
	v_lshlrev_b32_e32 v91, 24, v90
	s_delay_alu instid0(VALU_DEP_2) | instskip(SKIP_1) | instid1(VALU_DEP_3)
	v_lshlrev_b32_e32 v6, 20, v6
	v_lshl_add_u32 v89, v89, 23, 0x3c000000
	v_and_b32_e32 v91, 0x80000000, v91
	s_delay_alu instid0(VALU_DEP_1)
	v_or3_b32 v6, v6, v91, v89
.LBB398_304:                            ;   in Loop: Header=BB398_10 Depth=1
	s_or_b32 exec_lo, exec_lo, s20
.LBB398_305:                            ;   in Loop: Header=BB398_10 Depth=1
	s_delay_alu instid0(SALU_CYCLE_1)
	s_or_b32 exec_lo, exec_lo, s19
.LBB398_306:                            ;   in Loop: Header=BB398_10 Depth=1
	s_delay_alu instid0(SALU_CYCLE_1) | instskip(NEXT) | instid1(VALU_DEP_1)
	s_or_b32 exec_lo, exec_lo, s3
	v_mul_f32_e32 v6, v41, v6
	s_delay_alu instid0(VALU_DEP_1) | instskip(NEXT) | instid1(VALU_DEP_1)
	v_and_b32_e32 v89, 0x7f800000, v6
	v_cmp_ne_u32_e64 s2, 0x7f800000, v89
                                        ; implicit-def: $vgpr89
	s_delay_alu instid0(VALU_DEP_1) | instskip(NEXT) | instid1(SALU_CYCLE_1)
	s_and_saveexec_b32 s3, s2
	s_xor_b32 s2, exec_lo, s3
; %bb.307:                              ;   in Loop: Header=BB398_10 Depth=1
	v_bfe_u32 v89, v6, 16, 1
	s_delay_alu instid0(VALU_DEP_1)
	v_add3_u32 v89, v6, v89, 0x7fff
                                        ; implicit-def: $vgpr6
; %bb.308:                              ;   in Loop: Header=BB398_10 Depth=1
	s_and_not1_saveexec_b32 s3, s2
; %bb.309:                              ;   in Loop: Header=BB398_10 Depth=1
	v_and_b32_e32 v89, 0xffff, v6
	v_or_b32_e32 v91, 0x10000, v6
	s_delay_alu instid0(VALU_DEP_2) | instskip(NEXT) | instid1(VALU_DEP_1)
	v_cmp_eq_u32_e64 s2, 0, v89
	v_cndmask_b32_e64 v89, v91, v6, s2
; %bb.310:                              ;   in Loop: Header=BB398_10 Depth=1
	s_or_b32 exec_lo, exec_lo, s3
	v_lshrrev_b16 v91, 8, v90
	v_mov_b32_e32 v6, 0
	s_mov_b32 s3, exec_lo
	s_delay_alu instid0(VALU_DEP_2)
	v_cmpx_ne_u16_e32 0, v91
	s_cbranch_execz .LBB398_318
; %bb.311:                              ;   in Loop: Header=BB398_10 Depth=1
	v_bfrev_b32_e32 v6, 1
	s_mov_b32 s19, exec_lo
	v_cmpx_ne_u16_e32 0x80, v91
	s_cbranch_execz .LBB398_317
; %bb.312:                              ;   in Loop: Header=BB398_10 Depth=1
	v_and_b32_e32 v91, 0xffff, v91
	v_mov_b32_e32 v6, 0x7f800001
	s_mov_b32 s20, exec_lo
	s_delay_alu instid0(VALU_DEP_2) | instskip(NEXT) | instid1(VALU_DEP_1)
	v_and_b32_e32 v92, 0x7f, v91
	v_cmpx_ne_u32_e32 0x7f, v92
	s_cbranch_execz .LBB398_316
; %bb.313:                              ;   in Loop: Header=BB398_10 Depth=1
	v_and_b32_e32 v6, 7, v91
	v_lshrrev_b32_e32 v91, 3, v92
	s_mov_b32 s21, exec_lo
	v_cmpx_gt_u32_e32 8, v92
; %bb.314:                              ;   in Loop: Header=BB398_10 Depth=1
	s_delay_alu instid0(VALU_DEP_3) | instskip(NEXT) | instid1(VALU_DEP_1)
	v_clz_i32_u32_e32 v91, v6
	v_min_u32_e32 v91, 32, v91
	s_delay_alu instid0(VALU_DEP_1) | instskip(SKIP_1) | instid1(VALU_DEP_2)
	v_subrev_nc_u32_e32 v92, 28, v91
	v_sub_nc_u32_e32 v91, 29, v91
	v_lshlrev_b64 v[92:93], v92, v[6:7]
	s_delay_alu instid0(VALU_DEP_1)
	v_and_b32_e32 v6, 7, v92
; %bb.315:                              ;   in Loop: Header=BB398_10 Depth=1
	s_or_b32 exec_lo, exec_lo, s21
	v_lshlrev_b32_e32 v90, 16, v90
	s_delay_alu instid0(VALU_DEP_2) | instskip(SKIP_1) | instid1(VALU_DEP_3)
	v_lshlrev_b32_e32 v6, 20, v6
	v_lshl_add_u32 v91, v91, 23, 0x3c000000
	v_and_b32_e32 v90, 0x80000000, v90
	s_delay_alu instid0(VALU_DEP_1)
	v_or3_b32 v6, v6, v90, v91
.LBB398_316:                            ;   in Loop: Header=BB398_10 Depth=1
	s_or_b32 exec_lo, exec_lo, s20
.LBB398_317:                            ;   in Loop: Header=BB398_10 Depth=1
	s_delay_alu instid0(SALU_CYCLE_1)
	s_or_b32 exec_lo, exec_lo, s19
.LBB398_318:                            ;   in Loop: Header=BB398_10 Depth=1
	s_delay_alu instid0(SALU_CYCLE_1) | instskip(NEXT) | instid1(VALU_DEP_1)
	s_or_b32 exec_lo, exec_lo, s3
	v_mul_f32_e32 v6, v41, v6
	s_delay_alu instid0(VALU_DEP_1) | instskip(NEXT) | instid1(VALU_DEP_1)
	v_and_b32_e32 v90, 0x7f800000, v6
	v_cmp_ne_u32_e64 s2, 0x7f800000, v90
                                        ; implicit-def: $vgpr90
	s_delay_alu instid0(VALU_DEP_1) | instskip(NEXT) | instid1(SALU_CYCLE_1)
	s_and_saveexec_b32 s3, s2
	s_xor_b32 s2, exec_lo, s3
; %bb.319:                              ;   in Loop: Header=BB398_10 Depth=1
	v_bfe_u32 v90, v6, 16, 1
	s_delay_alu instid0(VALU_DEP_1)
	v_add3_u32 v90, v6, v90, 0x7fff
                                        ; implicit-def: $vgpr6
; %bb.320:                              ;   in Loop: Header=BB398_10 Depth=1
	s_and_not1_saveexec_b32 s3, s2
; %bb.321:                              ;   in Loop: Header=BB398_10 Depth=1
	v_and_b32_e32 v90, 0xffff, v6
	v_or_b32_e32 v91, 0x10000, v6
	s_delay_alu instid0(VALU_DEP_2) | instskip(NEXT) | instid1(VALU_DEP_1)
	v_cmp_eq_u32_e64 s2, 0, v90
	v_cndmask_b32_e64 v90, v91, v6, s2
; %bb.322:                              ;   in Loop: Header=BB398_10 Depth=1
	s_or_b32 exec_lo, exec_lo, s3
	flat_load_u16 v6, v[28:29] offset:776
	s_mov_b32 s3, exec_lo
	s_waitcnt vmcnt(0) lgkmcnt(0)
	v_and_b32_e32 v91, 0xff, v6
	v_and_b32_e32 v92, 0xffff, v6
	v_mov_b32_e32 v6, 0
	s_delay_alu instid0(VALU_DEP_3)
	v_cmpx_ne_u16_e32 0, v91
	s_cbranch_execz .LBB398_330
; %bb.323:                              ;   in Loop: Header=BB398_10 Depth=1
	s_delay_alu instid0(VALU_DEP_3) | instskip(NEXT) | instid1(VALU_DEP_1)
	v_and_b32_e32 v6, 0xff, v92
	v_cmp_ne_u16_e64 s2, 0x80, v6
	v_bfrev_b32_e32 v6, 1
	s_delay_alu instid0(VALU_DEP_2)
	s_and_saveexec_b32 s19, s2
	s_cbranch_execz .LBB398_329
; %bb.324:                              ;   in Loop: Header=BB398_10 Depth=1
	v_and_b32_e32 v93, 0x7f, v92
	v_mov_b32_e32 v6, 0x7f800001
	s_mov_b32 s20, exec_lo
	s_delay_alu instid0(VALU_DEP_2)
	v_cmpx_ne_u32_e32 0x7f, v93
	s_cbranch_execz .LBB398_328
; %bb.325:                              ;   in Loop: Header=BB398_10 Depth=1
	v_and_b32_e32 v6, 7, v92
	v_lshrrev_b32_e32 v91, 3, v93
	s_mov_b32 s21, exec_lo
	v_cmpx_gt_u32_e32 8, v93
; %bb.326:                              ;   in Loop: Header=BB398_10 Depth=1
	s_delay_alu instid0(VALU_DEP_3) | instskip(NEXT) | instid1(VALU_DEP_1)
	v_clz_i32_u32_e32 v91, v6
	v_min_u32_e32 v91, 32, v91
	s_delay_alu instid0(VALU_DEP_1) | instskip(SKIP_1) | instid1(VALU_DEP_2)
	v_subrev_nc_u32_e32 v93, 28, v91
	v_sub_nc_u32_e32 v91, 29, v91
	v_lshlrev_b64 v[93:94], v93, v[6:7]
	s_delay_alu instid0(VALU_DEP_1)
	v_and_b32_e32 v6, 7, v93
; %bb.327:                              ;   in Loop: Header=BB398_10 Depth=1
	s_or_b32 exec_lo, exec_lo, s21
	v_lshlrev_b32_e32 v93, 24, v92
	s_delay_alu instid0(VALU_DEP_2) | instskip(SKIP_1) | instid1(VALU_DEP_3)
	v_lshlrev_b32_e32 v6, 20, v6
	v_lshl_add_u32 v91, v91, 23, 0x3c000000
	v_and_b32_e32 v93, 0x80000000, v93
	s_delay_alu instid0(VALU_DEP_1)
	v_or3_b32 v6, v6, v93, v91
.LBB398_328:                            ;   in Loop: Header=BB398_10 Depth=1
	s_or_b32 exec_lo, exec_lo, s20
.LBB398_329:                            ;   in Loop: Header=BB398_10 Depth=1
	s_delay_alu instid0(SALU_CYCLE_1)
	s_or_b32 exec_lo, exec_lo, s19
.LBB398_330:                            ;   in Loop: Header=BB398_10 Depth=1
	s_delay_alu instid0(SALU_CYCLE_1) | instskip(NEXT) | instid1(VALU_DEP_1)
	s_or_b32 exec_lo, exec_lo, s3
	v_mul_f32_e32 v6, v41, v6
	s_delay_alu instid0(VALU_DEP_1) | instskip(NEXT) | instid1(VALU_DEP_1)
	v_and_b32_e32 v91, 0x7f800000, v6
	v_cmp_ne_u32_e64 s2, 0x7f800000, v91
                                        ; implicit-def: $vgpr91
	s_delay_alu instid0(VALU_DEP_1) | instskip(NEXT) | instid1(SALU_CYCLE_1)
	s_and_saveexec_b32 s3, s2
	s_xor_b32 s2, exec_lo, s3
; %bb.331:                              ;   in Loop: Header=BB398_10 Depth=1
	v_bfe_u32 v91, v6, 16, 1
	s_delay_alu instid0(VALU_DEP_1)
	v_add3_u32 v91, v6, v91, 0x7fff
                                        ; implicit-def: $vgpr6
; %bb.332:                              ;   in Loop: Header=BB398_10 Depth=1
	s_and_not1_saveexec_b32 s3, s2
; %bb.333:                              ;   in Loop: Header=BB398_10 Depth=1
	v_and_b32_e32 v91, 0xffff, v6
	v_or_b32_e32 v93, 0x10000, v6
	s_delay_alu instid0(VALU_DEP_2) | instskip(NEXT) | instid1(VALU_DEP_1)
	v_cmp_eq_u32_e64 s2, 0, v91
	v_cndmask_b32_e64 v91, v93, v6, s2
; %bb.334:                              ;   in Loop: Header=BB398_10 Depth=1
	s_or_b32 exec_lo, exec_lo, s3
	v_lshrrev_b16 v93, 8, v92
	v_mov_b32_e32 v6, 0
	s_mov_b32 s3, exec_lo
	s_delay_alu instid0(VALU_DEP_2)
	v_cmpx_ne_u16_e32 0, v93
	s_cbranch_execz .LBB398_342
; %bb.335:                              ;   in Loop: Header=BB398_10 Depth=1
	v_bfrev_b32_e32 v6, 1
	s_mov_b32 s19, exec_lo
	v_cmpx_ne_u16_e32 0x80, v93
	s_cbranch_execz .LBB398_341
; %bb.336:                              ;   in Loop: Header=BB398_10 Depth=1
	v_and_b32_e32 v93, 0xffff, v93
	v_mov_b32_e32 v6, 0x7f800001
	s_mov_b32 s20, exec_lo
	s_delay_alu instid0(VALU_DEP_2) | instskip(NEXT) | instid1(VALU_DEP_1)
	v_and_b32_e32 v94, 0x7f, v93
	v_cmpx_ne_u32_e32 0x7f, v94
	s_cbranch_execz .LBB398_340
; %bb.337:                              ;   in Loop: Header=BB398_10 Depth=1
	v_and_b32_e32 v6, 7, v93
	v_lshrrev_b32_e32 v93, 3, v94
	s_mov_b32 s21, exec_lo
	v_cmpx_gt_u32_e32 8, v94
; %bb.338:                              ;   in Loop: Header=BB398_10 Depth=1
	s_delay_alu instid0(VALU_DEP_3) | instskip(NEXT) | instid1(VALU_DEP_1)
	v_clz_i32_u32_e32 v93, v6
	v_min_u32_e32 v93, 32, v93
	s_delay_alu instid0(VALU_DEP_1) | instskip(SKIP_1) | instid1(VALU_DEP_2)
	v_subrev_nc_u32_e32 v94, 28, v93
	v_sub_nc_u32_e32 v93, 29, v93
	v_lshlrev_b64 v[94:95], v94, v[6:7]
	s_delay_alu instid0(VALU_DEP_1)
	v_and_b32_e32 v6, 7, v94
; %bb.339:                              ;   in Loop: Header=BB398_10 Depth=1
	s_or_b32 exec_lo, exec_lo, s21
	v_lshlrev_b32_e32 v92, 16, v92
	s_delay_alu instid0(VALU_DEP_2) | instskip(SKIP_1) | instid1(VALU_DEP_3)
	v_lshlrev_b32_e32 v6, 20, v6
	v_lshl_add_u32 v93, v93, 23, 0x3c000000
	v_and_b32_e32 v92, 0x80000000, v92
	s_delay_alu instid0(VALU_DEP_1)
	v_or3_b32 v6, v6, v92, v93
.LBB398_340:                            ;   in Loop: Header=BB398_10 Depth=1
	s_or_b32 exec_lo, exec_lo, s20
.LBB398_341:                            ;   in Loop: Header=BB398_10 Depth=1
	s_delay_alu instid0(SALU_CYCLE_1)
	s_or_b32 exec_lo, exec_lo, s19
.LBB398_342:                            ;   in Loop: Header=BB398_10 Depth=1
	s_delay_alu instid0(SALU_CYCLE_1) | instskip(NEXT) | instid1(VALU_DEP_1)
	s_or_b32 exec_lo, exec_lo, s3
	v_mul_f32_e32 v6, v41, v6
	s_delay_alu instid0(VALU_DEP_1) | instskip(NEXT) | instid1(VALU_DEP_1)
	v_and_b32_e32 v92, 0x7f800000, v6
	v_cmp_ne_u32_e64 s2, 0x7f800000, v92
                                        ; implicit-def: $vgpr92
	s_delay_alu instid0(VALU_DEP_1) | instskip(NEXT) | instid1(SALU_CYCLE_1)
	s_and_saveexec_b32 s3, s2
	s_xor_b32 s2, exec_lo, s3
; %bb.343:                              ;   in Loop: Header=BB398_10 Depth=1
	v_bfe_u32 v92, v6, 16, 1
	s_delay_alu instid0(VALU_DEP_1)
	v_add3_u32 v92, v6, v92, 0x7fff
                                        ; implicit-def: $vgpr6
; %bb.344:                              ;   in Loop: Header=BB398_10 Depth=1
	s_and_not1_saveexec_b32 s3, s2
; %bb.345:                              ;   in Loop: Header=BB398_10 Depth=1
	v_and_b32_e32 v92, 0xffff, v6
	v_or_b32_e32 v93, 0x10000, v6
	s_delay_alu instid0(VALU_DEP_2) | instskip(NEXT) | instid1(VALU_DEP_1)
	v_cmp_eq_u32_e64 s2, 0, v92
	v_cndmask_b32_e64 v92, v93, v6, s2
; %bb.346:                              ;   in Loop: Header=BB398_10 Depth=1
	s_or_b32 exec_lo, exec_lo, s3
	flat_load_u16 v6, v[28:29] offset:896
	s_mov_b32 s3, exec_lo
	s_waitcnt vmcnt(0) lgkmcnt(0)
	v_and_b32_e32 v93, 0xff, v6
	v_and_b32_e32 v94, 0xffff, v6
	v_mov_b32_e32 v6, 0
	s_delay_alu instid0(VALU_DEP_3)
	v_cmpx_ne_u16_e32 0, v93
	s_cbranch_execz .LBB398_354
; %bb.347:                              ;   in Loop: Header=BB398_10 Depth=1
	s_delay_alu instid0(VALU_DEP_3) | instskip(NEXT) | instid1(VALU_DEP_1)
	v_and_b32_e32 v6, 0xff, v94
	v_cmp_ne_u16_e64 s2, 0x80, v6
	v_bfrev_b32_e32 v6, 1
	s_delay_alu instid0(VALU_DEP_2)
	s_and_saveexec_b32 s19, s2
	s_cbranch_execz .LBB398_353
; %bb.348:                              ;   in Loop: Header=BB398_10 Depth=1
	v_and_b32_e32 v95, 0x7f, v94
	v_mov_b32_e32 v6, 0x7f800001
	s_mov_b32 s20, exec_lo
	s_delay_alu instid0(VALU_DEP_2)
	v_cmpx_ne_u32_e32 0x7f, v95
	s_cbranch_execz .LBB398_352
; %bb.349:                              ;   in Loop: Header=BB398_10 Depth=1
	v_and_b32_e32 v6, 7, v94
	v_lshrrev_b32_e32 v93, 3, v95
	s_mov_b32 s21, exec_lo
	v_cmpx_gt_u32_e32 8, v95
; %bb.350:                              ;   in Loop: Header=BB398_10 Depth=1
	s_delay_alu instid0(VALU_DEP_3) | instskip(NEXT) | instid1(VALU_DEP_1)
	v_clz_i32_u32_e32 v93, v6
	v_min_u32_e32 v93, 32, v93
	s_delay_alu instid0(VALU_DEP_1) | instskip(SKIP_1) | instid1(VALU_DEP_2)
	v_subrev_nc_u32_e32 v95, 28, v93
	v_sub_nc_u32_e32 v93, 29, v93
	v_lshlrev_b64 v[104:105], v95, v[6:7]
	s_delay_alu instid0(VALU_DEP_1)
	v_and_b32_e32 v6, 7, v104
; %bb.351:                              ;   in Loop: Header=BB398_10 Depth=1
	s_or_b32 exec_lo, exec_lo, s21
	v_lshlrev_b32_e32 v95, 24, v94
	s_delay_alu instid0(VALU_DEP_2) | instskip(SKIP_1) | instid1(VALU_DEP_3)
	v_lshlrev_b32_e32 v6, 20, v6
	v_lshl_add_u32 v93, v93, 23, 0x3c000000
	v_and_b32_e32 v95, 0x80000000, v95
	s_delay_alu instid0(VALU_DEP_1)
	v_or3_b32 v6, v6, v95, v93
.LBB398_352:                            ;   in Loop: Header=BB398_10 Depth=1
	s_or_b32 exec_lo, exec_lo, s20
.LBB398_353:                            ;   in Loop: Header=BB398_10 Depth=1
	s_delay_alu instid0(SALU_CYCLE_1)
	s_or_b32 exec_lo, exec_lo, s19
.LBB398_354:                            ;   in Loop: Header=BB398_10 Depth=1
	s_delay_alu instid0(SALU_CYCLE_1) | instskip(NEXT) | instid1(VALU_DEP_1)
	s_or_b32 exec_lo, exec_lo, s3
	v_mul_f32_e32 v6, v41, v6
	s_delay_alu instid0(VALU_DEP_1) | instskip(NEXT) | instid1(VALU_DEP_1)
	v_and_b32_e32 v93, 0x7f800000, v6
	v_cmp_ne_u32_e64 s2, 0x7f800000, v93
                                        ; implicit-def: $vgpr93
	s_delay_alu instid0(VALU_DEP_1) | instskip(NEXT) | instid1(SALU_CYCLE_1)
	s_and_saveexec_b32 s3, s2
	s_xor_b32 s2, exec_lo, s3
; %bb.355:                              ;   in Loop: Header=BB398_10 Depth=1
	v_bfe_u32 v93, v6, 16, 1
	s_delay_alu instid0(VALU_DEP_1)
	v_add3_u32 v93, v6, v93, 0x7fff
                                        ; implicit-def: $vgpr6
; %bb.356:                              ;   in Loop: Header=BB398_10 Depth=1
	s_and_not1_saveexec_b32 s3, s2
; %bb.357:                              ;   in Loop: Header=BB398_10 Depth=1
	v_and_b32_e32 v93, 0xffff, v6
	v_or_b32_e32 v95, 0x10000, v6
	s_delay_alu instid0(VALU_DEP_2) | instskip(NEXT) | instid1(VALU_DEP_1)
	v_cmp_eq_u32_e64 s2, 0, v93
	v_cndmask_b32_e64 v93, v95, v6, s2
; %bb.358:                              ;   in Loop: Header=BB398_10 Depth=1
	s_or_b32 exec_lo, exec_lo, s3
	v_lshrrev_b16 v95, 8, v94
	v_mov_b32_e32 v6, 0
	s_mov_b32 s3, exec_lo
	s_delay_alu instid0(VALU_DEP_2)
	v_cmpx_ne_u16_e32 0, v95
	s_cbranch_execz .LBB398_366
; %bb.359:                              ;   in Loop: Header=BB398_10 Depth=1
	v_bfrev_b32_e32 v6, 1
	s_mov_b32 s19, exec_lo
	v_cmpx_ne_u16_e32 0x80, v95
	s_cbranch_execz .LBB398_365
; %bb.360:                              ;   in Loop: Header=BB398_10 Depth=1
	v_and_b32_e32 v95, 0xffff, v95
	v_mov_b32_e32 v6, 0x7f800001
	s_mov_b32 s20, exec_lo
	s_delay_alu instid0(VALU_DEP_2) | instskip(NEXT) | instid1(VALU_DEP_1)
	v_and_b32_e32 v104, 0x7f, v95
	v_cmpx_ne_u32_e32 0x7f, v104
	s_cbranch_execz .LBB398_364
; %bb.361:                              ;   in Loop: Header=BB398_10 Depth=1
	v_and_b32_e32 v6, 7, v95
	v_lshrrev_b32_e32 v95, 3, v104
	s_mov_b32 s21, exec_lo
	v_cmpx_gt_u32_e32 8, v104
; %bb.362:                              ;   in Loop: Header=BB398_10 Depth=1
	s_delay_alu instid0(VALU_DEP_3) | instskip(NEXT) | instid1(VALU_DEP_1)
	v_clz_i32_u32_e32 v95, v6
	v_min_u32_e32 v95, 32, v95
	s_delay_alu instid0(VALU_DEP_1) | instskip(SKIP_1) | instid1(VALU_DEP_2)
	v_subrev_nc_u32_e32 v104, 28, v95
	v_sub_nc_u32_e32 v95, 29, v95
	v_lshlrev_b64 v[104:105], v104, v[6:7]
	s_delay_alu instid0(VALU_DEP_1)
	v_and_b32_e32 v6, 7, v104
; %bb.363:                              ;   in Loop: Header=BB398_10 Depth=1
	s_or_b32 exec_lo, exec_lo, s21
	v_lshlrev_b32_e32 v94, 16, v94
	s_delay_alu instid0(VALU_DEP_2) | instskip(SKIP_1) | instid1(VALU_DEP_3)
	v_lshlrev_b32_e32 v6, 20, v6
	v_lshl_add_u32 v95, v95, 23, 0x3c000000
	v_and_b32_e32 v94, 0x80000000, v94
	s_delay_alu instid0(VALU_DEP_1)
	v_or3_b32 v6, v6, v94, v95
.LBB398_364:                            ;   in Loop: Header=BB398_10 Depth=1
	s_or_b32 exec_lo, exec_lo, s20
.LBB398_365:                            ;   in Loop: Header=BB398_10 Depth=1
	s_delay_alu instid0(SALU_CYCLE_1)
	s_or_b32 exec_lo, exec_lo, s19
.LBB398_366:                            ;   in Loop: Header=BB398_10 Depth=1
	s_delay_alu instid0(SALU_CYCLE_1) | instskip(NEXT) | instid1(VALU_DEP_1)
	s_or_b32 exec_lo, exec_lo, s3
	v_mul_f32_e32 v6, v41, v6
	s_delay_alu instid0(VALU_DEP_1) | instskip(NEXT) | instid1(VALU_DEP_1)
	v_and_b32_e32 v94, 0x7f800000, v6
	v_cmp_ne_u32_e64 s2, 0x7f800000, v94
                                        ; implicit-def: $vgpr94
	s_delay_alu instid0(VALU_DEP_1) | instskip(NEXT) | instid1(SALU_CYCLE_1)
	s_and_saveexec_b32 s3, s2
	s_xor_b32 s2, exec_lo, s3
; %bb.367:                              ;   in Loop: Header=BB398_10 Depth=1
	v_bfe_u32 v94, v6, 16, 1
	s_delay_alu instid0(VALU_DEP_1)
	v_add3_u32 v94, v6, v94, 0x7fff
                                        ; implicit-def: $vgpr6
; %bb.368:                              ;   in Loop: Header=BB398_10 Depth=1
	s_and_not1_saveexec_b32 s3, s2
; %bb.369:                              ;   in Loop: Header=BB398_10 Depth=1
	v_and_b32_e32 v94, 0xffff, v6
	v_or_b32_e32 v95, 0x10000, v6
	s_delay_alu instid0(VALU_DEP_2) | instskip(NEXT) | instid1(VALU_DEP_1)
	v_cmp_eq_u32_e64 s2, 0, v94
	v_cndmask_b32_e64 v94, v95, v6, s2
; %bb.370:                              ;   in Loop: Header=BB398_10 Depth=1
	s_or_b32 exec_lo, exec_lo, s3
	flat_load_u16 v6, v[28:29] offset:904
	s_mov_b32 s3, exec_lo
	s_waitcnt vmcnt(0) lgkmcnt(0)
	v_and_b32_e32 v95, 0xff, v6
	v_and_b32_e32 v104, 0xffff, v6
	v_mov_b32_e32 v6, 0
	s_delay_alu instid0(VALU_DEP_3)
	v_cmpx_ne_u16_e32 0, v95
	s_cbranch_execz .LBB398_378
; %bb.371:                              ;   in Loop: Header=BB398_10 Depth=1
	s_delay_alu instid0(VALU_DEP_3) | instskip(NEXT) | instid1(VALU_DEP_1)
	v_and_b32_e32 v6, 0xff, v104
	v_cmp_ne_u16_e64 s2, 0x80, v6
	v_bfrev_b32_e32 v6, 1
	s_delay_alu instid0(VALU_DEP_2)
	s_and_saveexec_b32 s19, s2
	s_cbranch_execz .LBB398_377
; %bb.372:                              ;   in Loop: Header=BB398_10 Depth=1
	v_and_b32_e32 v105, 0x7f, v104
	v_mov_b32_e32 v6, 0x7f800001
	s_mov_b32 s20, exec_lo
	s_delay_alu instid0(VALU_DEP_2)
	v_cmpx_ne_u32_e32 0x7f, v105
	s_cbranch_execz .LBB398_376
; %bb.373:                              ;   in Loop: Header=BB398_10 Depth=1
	v_and_b32_e32 v6, 7, v104
	v_lshrrev_b32_e32 v95, 3, v105
	s_mov_b32 s21, exec_lo
	v_cmpx_gt_u32_e32 8, v105
; %bb.374:                              ;   in Loop: Header=BB398_10 Depth=1
	s_delay_alu instid0(VALU_DEP_3) | instskip(NEXT) | instid1(VALU_DEP_1)
	v_clz_i32_u32_e32 v95, v6
	v_min_u32_e32 v95, 32, v95
	s_delay_alu instid0(VALU_DEP_1) | instskip(SKIP_1) | instid1(VALU_DEP_2)
	v_subrev_nc_u32_e32 v105, 28, v95
	v_sub_nc_u32_e32 v95, 29, v95
	v_lshlrev_b64 v[105:106], v105, v[6:7]
	s_delay_alu instid0(VALU_DEP_1)
	v_and_b32_e32 v6, 7, v105
; %bb.375:                              ;   in Loop: Header=BB398_10 Depth=1
	s_or_b32 exec_lo, exec_lo, s21
	v_lshlrev_b32_e32 v105, 24, v104
	s_delay_alu instid0(VALU_DEP_2) | instskip(SKIP_1) | instid1(VALU_DEP_3)
	v_lshlrev_b32_e32 v6, 20, v6
	v_lshl_add_u32 v95, v95, 23, 0x3c000000
	v_and_b32_e32 v105, 0x80000000, v105
	s_delay_alu instid0(VALU_DEP_1)
	v_or3_b32 v6, v6, v105, v95
.LBB398_376:                            ;   in Loop: Header=BB398_10 Depth=1
	s_or_b32 exec_lo, exec_lo, s20
.LBB398_377:                            ;   in Loop: Header=BB398_10 Depth=1
	s_delay_alu instid0(SALU_CYCLE_1)
	s_or_b32 exec_lo, exec_lo, s19
.LBB398_378:                            ;   in Loop: Header=BB398_10 Depth=1
	s_delay_alu instid0(SALU_CYCLE_1) | instskip(NEXT) | instid1(VALU_DEP_1)
	s_or_b32 exec_lo, exec_lo, s3
	v_mul_f32_e32 v6, v41, v6
	s_delay_alu instid0(VALU_DEP_1) | instskip(NEXT) | instid1(VALU_DEP_1)
	v_and_b32_e32 v95, 0x7f800000, v6
	v_cmp_ne_u32_e64 s2, 0x7f800000, v95
                                        ; implicit-def: $vgpr95
	s_delay_alu instid0(VALU_DEP_1) | instskip(NEXT) | instid1(SALU_CYCLE_1)
	s_and_saveexec_b32 s3, s2
	s_xor_b32 s2, exec_lo, s3
; %bb.379:                              ;   in Loop: Header=BB398_10 Depth=1
	v_bfe_u32 v95, v6, 16, 1
	s_delay_alu instid0(VALU_DEP_1)
	v_add3_u32 v95, v6, v95, 0x7fff
                                        ; implicit-def: $vgpr6
; %bb.380:                              ;   in Loop: Header=BB398_10 Depth=1
	s_and_not1_saveexec_b32 s3, s2
; %bb.381:                              ;   in Loop: Header=BB398_10 Depth=1
	v_and_b32_e32 v95, 0xffff, v6
	v_or_b32_e32 v105, 0x10000, v6
	s_delay_alu instid0(VALU_DEP_2) | instskip(NEXT) | instid1(VALU_DEP_1)
	v_cmp_eq_u32_e64 s2, 0, v95
	v_cndmask_b32_e64 v95, v105, v6, s2
; %bb.382:                              ;   in Loop: Header=BB398_10 Depth=1
	s_or_b32 exec_lo, exec_lo, s3
	v_lshrrev_b16 v105, 8, v104
	v_mov_b32_e32 v6, 0
	s_mov_b32 s3, exec_lo
	s_delay_alu instid0(VALU_DEP_2)
	v_cmpx_ne_u16_e32 0, v105
	s_cbranch_execz .LBB398_390
; %bb.383:                              ;   in Loop: Header=BB398_10 Depth=1
	v_bfrev_b32_e32 v6, 1
	s_mov_b32 s19, exec_lo
	v_cmpx_ne_u16_e32 0x80, v105
	s_cbranch_execz .LBB398_389
; %bb.384:                              ;   in Loop: Header=BB398_10 Depth=1
	v_and_b32_e32 v105, 0xffff, v105
	v_mov_b32_e32 v6, 0x7f800001
	s_mov_b32 s20, exec_lo
	s_delay_alu instid0(VALU_DEP_2) | instskip(NEXT) | instid1(VALU_DEP_1)
	v_and_b32_e32 v106, 0x7f, v105
	v_cmpx_ne_u32_e32 0x7f, v106
	s_cbranch_execz .LBB398_388
; %bb.385:                              ;   in Loop: Header=BB398_10 Depth=1
	v_and_b32_e32 v6, 7, v105
	v_lshrrev_b32_e32 v105, 3, v106
	s_mov_b32 s21, exec_lo
	v_cmpx_gt_u32_e32 8, v106
; %bb.386:                              ;   in Loop: Header=BB398_10 Depth=1
	s_delay_alu instid0(VALU_DEP_3) | instskip(NEXT) | instid1(VALU_DEP_1)
	v_clz_i32_u32_e32 v105, v6
	v_min_u32_e32 v105, 32, v105
	s_delay_alu instid0(VALU_DEP_1) | instskip(SKIP_1) | instid1(VALU_DEP_2)
	v_subrev_nc_u32_e32 v106, 28, v105
	v_sub_nc_u32_e32 v105, 29, v105
	v_lshlrev_b64 v[106:107], v106, v[6:7]
	s_delay_alu instid0(VALU_DEP_1)
	v_and_b32_e32 v6, 7, v106
; %bb.387:                              ;   in Loop: Header=BB398_10 Depth=1
	s_or_b32 exec_lo, exec_lo, s21
	v_lshlrev_b32_e32 v104, 16, v104
	s_delay_alu instid0(VALU_DEP_2) | instskip(SKIP_1) | instid1(VALU_DEP_3)
	v_lshlrev_b32_e32 v6, 20, v6
	v_lshl_add_u32 v105, v105, 23, 0x3c000000
	v_and_b32_e32 v104, 0x80000000, v104
	s_delay_alu instid0(VALU_DEP_1)
	v_or3_b32 v6, v6, v104, v105
.LBB398_388:                            ;   in Loop: Header=BB398_10 Depth=1
	s_or_b32 exec_lo, exec_lo, s20
.LBB398_389:                            ;   in Loop: Header=BB398_10 Depth=1
	s_delay_alu instid0(SALU_CYCLE_1)
	s_or_b32 exec_lo, exec_lo, s19
.LBB398_390:                            ;   in Loop: Header=BB398_10 Depth=1
	s_delay_alu instid0(SALU_CYCLE_1) | instskip(NEXT) | instid1(VALU_DEP_1)
	s_or_b32 exec_lo, exec_lo, s3
	v_mul_f32_e32 v6, v41, v6
	s_delay_alu instid0(VALU_DEP_1) | instskip(NEXT) | instid1(VALU_DEP_1)
	v_and_b32_e32 v104, 0x7f800000, v6
	v_cmp_ne_u32_e64 s2, 0x7f800000, v104
                                        ; implicit-def: $vgpr104
	s_delay_alu instid0(VALU_DEP_1) | instskip(NEXT) | instid1(SALU_CYCLE_1)
	s_and_saveexec_b32 s3, s2
	s_xor_b32 s2, exec_lo, s3
; %bb.391:                              ;   in Loop: Header=BB398_10 Depth=1
	v_bfe_u32 v104, v6, 16, 1
	s_delay_alu instid0(VALU_DEP_1)
	v_add3_u32 v104, v6, v104, 0x7fff
                                        ; implicit-def: $vgpr6
; %bb.392:                              ;   in Loop: Header=BB398_10 Depth=1
	s_and_not1_saveexec_b32 s3, s2
; %bb.393:                              ;   in Loop: Header=BB398_10 Depth=1
	v_and_b32_e32 v104, 0xffff, v6
	v_or_b32_e32 v105, 0x10000, v6
	s_delay_alu instid0(VALU_DEP_2) | instskip(NEXT) | instid1(VALU_DEP_1)
	v_cmp_eq_u32_e64 s2, 0, v104
	v_cndmask_b32_e64 v104, v105, v6, s2
; %bb.394:                              ;   in Loop: Header=BB398_10 Depth=1
	s_or_b32 exec_lo, exec_lo, s3
	flat_load_u16 v6, v[28:29] offset:1024
	s_mov_b32 s3, exec_lo
	s_waitcnt vmcnt(0) lgkmcnt(0)
	v_and_b32_e32 v105, 0xff, v6
	v_and_b32_e32 v106, 0xffff, v6
	v_mov_b32_e32 v6, 0
	s_delay_alu instid0(VALU_DEP_3)
	v_cmpx_ne_u16_e32 0, v105
	s_cbranch_execz .LBB398_402
; %bb.395:                              ;   in Loop: Header=BB398_10 Depth=1
	s_delay_alu instid0(VALU_DEP_3) | instskip(NEXT) | instid1(VALU_DEP_1)
	v_and_b32_e32 v6, 0xff, v106
	v_cmp_ne_u16_e64 s2, 0x80, v6
	v_bfrev_b32_e32 v6, 1
	s_delay_alu instid0(VALU_DEP_2)
	s_and_saveexec_b32 s19, s2
	s_cbranch_execz .LBB398_401
; %bb.396:                              ;   in Loop: Header=BB398_10 Depth=1
	v_and_b32_e32 v107, 0x7f, v106
	v_mov_b32_e32 v6, 0x7f800001
	s_mov_b32 s20, exec_lo
	s_delay_alu instid0(VALU_DEP_2)
	v_cmpx_ne_u32_e32 0x7f, v107
	s_cbranch_execz .LBB398_400
; %bb.397:                              ;   in Loop: Header=BB398_10 Depth=1
	v_and_b32_e32 v6, 7, v106
	v_lshrrev_b32_e32 v105, 3, v107
	s_mov_b32 s21, exec_lo
	v_cmpx_gt_u32_e32 8, v107
; %bb.398:                              ;   in Loop: Header=BB398_10 Depth=1
	s_delay_alu instid0(VALU_DEP_3) | instskip(NEXT) | instid1(VALU_DEP_1)
	v_clz_i32_u32_e32 v105, v6
	v_min_u32_e32 v105, 32, v105
	s_delay_alu instid0(VALU_DEP_1) | instskip(SKIP_1) | instid1(VALU_DEP_2)
	v_subrev_nc_u32_e32 v107, 28, v105
	v_sub_nc_u32_e32 v105, 29, v105
	v_lshlrev_b64 v[107:108], v107, v[6:7]
	s_delay_alu instid0(VALU_DEP_1)
	v_and_b32_e32 v6, 7, v107
; %bb.399:                              ;   in Loop: Header=BB398_10 Depth=1
	s_or_b32 exec_lo, exec_lo, s21
	v_lshlrev_b32_e32 v107, 24, v106
	s_delay_alu instid0(VALU_DEP_2) | instskip(SKIP_1) | instid1(VALU_DEP_3)
	v_lshlrev_b32_e32 v6, 20, v6
	v_lshl_add_u32 v105, v105, 23, 0x3c000000
	v_and_b32_e32 v107, 0x80000000, v107
	s_delay_alu instid0(VALU_DEP_1)
	v_or3_b32 v6, v6, v107, v105
.LBB398_400:                            ;   in Loop: Header=BB398_10 Depth=1
	s_or_b32 exec_lo, exec_lo, s20
.LBB398_401:                            ;   in Loop: Header=BB398_10 Depth=1
	s_delay_alu instid0(SALU_CYCLE_1)
	s_or_b32 exec_lo, exec_lo, s19
.LBB398_402:                            ;   in Loop: Header=BB398_10 Depth=1
	s_delay_alu instid0(SALU_CYCLE_1) | instskip(NEXT) | instid1(VALU_DEP_1)
	s_or_b32 exec_lo, exec_lo, s3
	v_mul_f32_e32 v6, v41, v6
	s_delay_alu instid0(VALU_DEP_1) | instskip(NEXT) | instid1(VALU_DEP_1)
	v_and_b32_e32 v105, 0x7f800000, v6
	v_cmp_ne_u32_e64 s2, 0x7f800000, v105
                                        ; implicit-def: $vgpr105
	s_delay_alu instid0(VALU_DEP_1) | instskip(NEXT) | instid1(SALU_CYCLE_1)
	s_and_saveexec_b32 s3, s2
	s_xor_b32 s2, exec_lo, s3
; %bb.403:                              ;   in Loop: Header=BB398_10 Depth=1
	v_bfe_u32 v105, v6, 16, 1
	s_delay_alu instid0(VALU_DEP_1)
	v_add3_u32 v105, v6, v105, 0x7fff
                                        ; implicit-def: $vgpr6
; %bb.404:                              ;   in Loop: Header=BB398_10 Depth=1
	s_and_not1_saveexec_b32 s3, s2
; %bb.405:                              ;   in Loop: Header=BB398_10 Depth=1
	v_and_b32_e32 v105, 0xffff, v6
	v_or_b32_e32 v107, 0x10000, v6
	s_delay_alu instid0(VALU_DEP_2) | instskip(NEXT) | instid1(VALU_DEP_1)
	v_cmp_eq_u32_e64 s2, 0, v105
	v_cndmask_b32_e64 v105, v107, v6, s2
; %bb.406:                              ;   in Loop: Header=BB398_10 Depth=1
	s_or_b32 exec_lo, exec_lo, s3
	v_lshrrev_b16 v107, 8, v106
	v_mov_b32_e32 v6, 0
	s_mov_b32 s3, exec_lo
	s_delay_alu instid0(VALU_DEP_2)
	v_cmpx_ne_u16_e32 0, v107
	s_cbranch_execz .LBB398_414
; %bb.407:                              ;   in Loop: Header=BB398_10 Depth=1
	v_bfrev_b32_e32 v6, 1
	s_mov_b32 s19, exec_lo
	v_cmpx_ne_u16_e32 0x80, v107
	s_cbranch_execz .LBB398_413
; %bb.408:                              ;   in Loop: Header=BB398_10 Depth=1
	v_and_b32_e32 v107, 0xffff, v107
	v_mov_b32_e32 v6, 0x7f800001
	s_mov_b32 s20, exec_lo
	s_delay_alu instid0(VALU_DEP_2) | instskip(NEXT) | instid1(VALU_DEP_1)
	v_and_b32_e32 v108, 0x7f, v107
	v_cmpx_ne_u32_e32 0x7f, v108
	s_cbranch_execz .LBB398_412
; %bb.409:                              ;   in Loop: Header=BB398_10 Depth=1
	v_and_b32_e32 v6, 7, v107
	v_lshrrev_b32_e32 v107, 3, v108
	s_mov_b32 s21, exec_lo
	v_cmpx_gt_u32_e32 8, v108
; %bb.410:                              ;   in Loop: Header=BB398_10 Depth=1
	s_delay_alu instid0(VALU_DEP_3) | instskip(NEXT) | instid1(VALU_DEP_1)
	v_clz_i32_u32_e32 v107, v6
	v_min_u32_e32 v107, 32, v107
	s_delay_alu instid0(VALU_DEP_1) | instskip(SKIP_1) | instid1(VALU_DEP_2)
	v_subrev_nc_u32_e32 v108, 28, v107
	v_sub_nc_u32_e32 v107, 29, v107
	v_lshlrev_b64 v[108:109], v108, v[6:7]
	s_delay_alu instid0(VALU_DEP_1)
	v_and_b32_e32 v6, 7, v108
; %bb.411:                              ;   in Loop: Header=BB398_10 Depth=1
	s_or_b32 exec_lo, exec_lo, s21
	v_lshlrev_b32_e32 v106, 16, v106
	s_delay_alu instid0(VALU_DEP_2) | instskip(SKIP_1) | instid1(VALU_DEP_3)
	v_lshlrev_b32_e32 v6, 20, v6
	v_lshl_add_u32 v107, v107, 23, 0x3c000000
	v_and_b32_e32 v106, 0x80000000, v106
	s_delay_alu instid0(VALU_DEP_1)
	v_or3_b32 v6, v6, v106, v107
.LBB398_412:                            ;   in Loop: Header=BB398_10 Depth=1
	s_or_b32 exec_lo, exec_lo, s20
.LBB398_413:                            ;   in Loop: Header=BB398_10 Depth=1
	s_delay_alu instid0(SALU_CYCLE_1)
	s_or_b32 exec_lo, exec_lo, s19
.LBB398_414:                            ;   in Loop: Header=BB398_10 Depth=1
	s_delay_alu instid0(SALU_CYCLE_1) | instskip(NEXT) | instid1(VALU_DEP_1)
	s_or_b32 exec_lo, exec_lo, s3
	v_mul_f32_e32 v6, v41, v6
	s_delay_alu instid0(VALU_DEP_1) | instskip(NEXT) | instid1(VALU_DEP_1)
	v_and_b32_e32 v106, 0x7f800000, v6
	v_cmp_ne_u32_e64 s2, 0x7f800000, v106
                                        ; implicit-def: $vgpr106
	s_delay_alu instid0(VALU_DEP_1) | instskip(NEXT) | instid1(SALU_CYCLE_1)
	s_and_saveexec_b32 s3, s2
	s_xor_b32 s2, exec_lo, s3
; %bb.415:                              ;   in Loop: Header=BB398_10 Depth=1
	v_bfe_u32 v106, v6, 16, 1
	s_delay_alu instid0(VALU_DEP_1)
	v_add3_u32 v106, v6, v106, 0x7fff
                                        ; implicit-def: $vgpr6
; %bb.416:                              ;   in Loop: Header=BB398_10 Depth=1
	s_and_not1_saveexec_b32 s3, s2
; %bb.417:                              ;   in Loop: Header=BB398_10 Depth=1
	v_and_b32_e32 v106, 0xffff, v6
	v_or_b32_e32 v107, 0x10000, v6
	s_delay_alu instid0(VALU_DEP_2) | instskip(NEXT) | instid1(VALU_DEP_1)
	v_cmp_eq_u32_e64 s2, 0, v106
	v_cndmask_b32_e64 v106, v107, v6, s2
; %bb.418:                              ;   in Loop: Header=BB398_10 Depth=1
	s_or_b32 exec_lo, exec_lo, s3
	flat_load_u16 v6, v[28:29] offset:1032
	s_mov_b32 s3, exec_lo
	s_waitcnt vmcnt(0) lgkmcnt(0)
	v_and_b32_e32 v107, 0xff, v6
	v_and_b32_e32 v108, 0xffff, v6
	v_mov_b32_e32 v6, 0
	s_delay_alu instid0(VALU_DEP_3)
	v_cmpx_ne_u16_e32 0, v107
	s_cbranch_execz .LBB398_426
; %bb.419:                              ;   in Loop: Header=BB398_10 Depth=1
	s_delay_alu instid0(VALU_DEP_3) | instskip(NEXT) | instid1(VALU_DEP_1)
	v_and_b32_e32 v6, 0xff, v108
	v_cmp_ne_u16_e64 s2, 0x80, v6
	v_bfrev_b32_e32 v6, 1
	s_delay_alu instid0(VALU_DEP_2)
	s_and_saveexec_b32 s19, s2
	s_cbranch_execz .LBB398_425
; %bb.420:                              ;   in Loop: Header=BB398_10 Depth=1
	v_and_b32_e32 v109, 0x7f, v108
	v_mov_b32_e32 v6, 0x7f800001
	s_mov_b32 s20, exec_lo
	s_delay_alu instid0(VALU_DEP_2)
	v_cmpx_ne_u32_e32 0x7f, v109
	s_cbranch_execz .LBB398_424
; %bb.421:                              ;   in Loop: Header=BB398_10 Depth=1
	v_and_b32_e32 v6, 7, v108
	v_lshrrev_b32_e32 v107, 3, v109
	s_mov_b32 s21, exec_lo
	v_cmpx_gt_u32_e32 8, v109
; %bb.422:                              ;   in Loop: Header=BB398_10 Depth=1
	s_delay_alu instid0(VALU_DEP_3) | instskip(NEXT) | instid1(VALU_DEP_1)
	v_clz_i32_u32_e32 v107, v6
	v_min_u32_e32 v107, 32, v107
	s_delay_alu instid0(VALU_DEP_1) | instskip(SKIP_1) | instid1(VALU_DEP_2)
	v_subrev_nc_u32_e32 v109, 28, v107
	v_sub_nc_u32_e32 v107, 29, v107
	v_lshlrev_b64 v[109:110], v109, v[6:7]
	s_delay_alu instid0(VALU_DEP_1)
	v_and_b32_e32 v6, 7, v109
; %bb.423:                              ;   in Loop: Header=BB398_10 Depth=1
	s_or_b32 exec_lo, exec_lo, s21
	v_lshlrev_b32_e32 v109, 24, v108
	s_delay_alu instid0(VALU_DEP_2) | instskip(SKIP_1) | instid1(VALU_DEP_3)
	v_lshlrev_b32_e32 v6, 20, v6
	v_lshl_add_u32 v107, v107, 23, 0x3c000000
	v_and_b32_e32 v109, 0x80000000, v109
	s_delay_alu instid0(VALU_DEP_1)
	v_or3_b32 v6, v6, v109, v107
.LBB398_424:                            ;   in Loop: Header=BB398_10 Depth=1
	s_or_b32 exec_lo, exec_lo, s20
.LBB398_425:                            ;   in Loop: Header=BB398_10 Depth=1
	s_delay_alu instid0(SALU_CYCLE_1)
	s_or_b32 exec_lo, exec_lo, s19
.LBB398_426:                            ;   in Loop: Header=BB398_10 Depth=1
	s_delay_alu instid0(SALU_CYCLE_1) | instskip(NEXT) | instid1(VALU_DEP_1)
	s_or_b32 exec_lo, exec_lo, s3
	v_mul_f32_e32 v6, v41, v6
	s_delay_alu instid0(VALU_DEP_1) | instskip(NEXT) | instid1(VALU_DEP_1)
	v_and_b32_e32 v107, 0x7f800000, v6
	v_cmp_ne_u32_e64 s2, 0x7f800000, v107
                                        ; implicit-def: $vgpr107
	s_delay_alu instid0(VALU_DEP_1) | instskip(NEXT) | instid1(SALU_CYCLE_1)
	s_and_saveexec_b32 s3, s2
	s_xor_b32 s2, exec_lo, s3
; %bb.427:                              ;   in Loop: Header=BB398_10 Depth=1
	v_bfe_u32 v107, v6, 16, 1
	s_delay_alu instid0(VALU_DEP_1)
	v_add3_u32 v107, v6, v107, 0x7fff
                                        ; implicit-def: $vgpr6
; %bb.428:                              ;   in Loop: Header=BB398_10 Depth=1
	s_and_not1_saveexec_b32 s3, s2
; %bb.429:                              ;   in Loop: Header=BB398_10 Depth=1
	v_and_b32_e32 v107, 0xffff, v6
	v_or_b32_e32 v109, 0x10000, v6
	s_delay_alu instid0(VALU_DEP_2) | instskip(NEXT) | instid1(VALU_DEP_1)
	v_cmp_eq_u32_e64 s2, 0, v107
	v_cndmask_b32_e64 v107, v109, v6, s2
; %bb.430:                              ;   in Loop: Header=BB398_10 Depth=1
	s_or_b32 exec_lo, exec_lo, s3
	v_lshrrev_b16 v109, 8, v108
	v_mov_b32_e32 v6, 0
	s_mov_b32 s3, exec_lo
	s_delay_alu instid0(VALU_DEP_2)
	v_cmpx_ne_u16_e32 0, v109
	s_cbranch_execz .LBB398_438
; %bb.431:                              ;   in Loop: Header=BB398_10 Depth=1
	v_bfrev_b32_e32 v6, 1
	s_mov_b32 s19, exec_lo
	v_cmpx_ne_u16_e32 0x80, v109
	s_cbranch_execz .LBB398_437
; %bb.432:                              ;   in Loop: Header=BB398_10 Depth=1
	v_and_b32_e32 v109, 0xffff, v109
	v_mov_b32_e32 v6, 0x7f800001
	s_mov_b32 s20, exec_lo
	s_delay_alu instid0(VALU_DEP_2) | instskip(NEXT) | instid1(VALU_DEP_1)
	v_and_b32_e32 v110, 0x7f, v109
	v_cmpx_ne_u32_e32 0x7f, v110
	s_cbranch_execz .LBB398_436
; %bb.433:                              ;   in Loop: Header=BB398_10 Depth=1
	v_and_b32_e32 v6, 7, v109
	v_lshrrev_b32_e32 v109, 3, v110
	s_mov_b32 s21, exec_lo
	v_cmpx_gt_u32_e32 8, v110
; %bb.434:                              ;   in Loop: Header=BB398_10 Depth=1
	s_delay_alu instid0(VALU_DEP_3) | instskip(NEXT) | instid1(VALU_DEP_1)
	v_clz_i32_u32_e32 v109, v6
	v_min_u32_e32 v109, 32, v109
	s_delay_alu instid0(VALU_DEP_1) | instskip(SKIP_1) | instid1(VALU_DEP_2)
	v_subrev_nc_u32_e32 v110, 28, v109
	v_sub_nc_u32_e32 v109, 29, v109
	v_lshlrev_b64 v[110:111], v110, v[6:7]
	s_delay_alu instid0(VALU_DEP_1)
	v_and_b32_e32 v6, 7, v110
; %bb.435:                              ;   in Loop: Header=BB398_10 Depth=1
	s_or_b32 exec_lo, exec_lo, s21
	v_lshlrev_b32_e32 v108, 16, v108
	s_delay_alu instid0(VALU_DEP_2) | instskip(SKIP_1) | instid1(VALU_DEP_3)
	v_lshlrev_b32_e32 v6, 20, v6
	v_lshl_add_u32 v109, v109, 23, 0x3c000000
	v_and_b32_e32 v108, 0x80000000, v108
	s_delay_alu instid0(VALU_DEP_1)
	v_or3_b32 v6, v6, v108, v109
.LBB398_436:                            ;   in Loop: Header=BB398_10 Depth=1
	s_or_b32 exec_lo, exec_lo, s20
.LBB398_437:                            ;   in Loop: Header=BB398_10 Depth=1
	s_delay_alu instid0(SALU_CYCLE_1)
	s_or_b32 exec_lo, exec_lo, s19
.LBB398_438:                            ;   in Loop: Header=BB398_10 Depth=1
	s_delay_alu instid0(SALU_CYCLE_1) | instskip(NEXT) | instid1(VALU_DEP_1)
	s_or_b32 exec_lo, exec_lo, s3
	v_mul_f32_e32 v6, v41, v6
	s_delay_alu instid0(VALU_DEP_1) | instskip(NEXT) | instid1(VALU_DEP_1)
	v_and_b32_e32 v108, 0x7f800000, v6
	v_cmp_ne_u32_e64 s2, 0x7f800000, v108
                                        ; implicit-def: $vgpr108
	s_delay_alu instid0(VALU_DEP_1) | instskip(NEXT) | instid1(SALU_CYCLE_1)
	s_and_saveexec_b32 s3, s2
	s_xor_b32 s2, exec_lo, s3
; %bb.439:                              ;   in Loop: Header=BB398_10 Depth=1
	v_bfe_u32 v108, v6, 16, 1
	s_delay_alu instid0(VALU_DEP_1)
	v_add3_u32 v108, v6, v108, 0x7fff
                                        ; implicit-def: $vgpr6
; %bb.440:                              ;   in Loop: Header=BB398_10 Depth=1
	s_and_not1_saveexec_b32 s3, s2
; %bb.441:                              ;   in Loop: Header=BB398_10 Depth=1
	v_and_b32_e32 v108, 0xffff, v6
	v_or_b32_e32 v109, 0x10000, v6
	s_delay_alu instid0(VALU_DEP_2) | instskip(NEXT) | instid1(VALU_DEP_1)
	v_cmp_eq_u32_e64 s2, 0, v108
	v_cndmask_b32_e64 v108, v109, v6, s2
; %bb.442:                              ;   in Loop: Header=BB398_10 Depth=1
	s_or_b32 exec_lo, exec_lo, s3
	flat_load_u16 v6, v[28:29] offset:1152
	s_mov_b32 s3, exec_lo
	s_waitcnt vmcnt(0) lgkmcnt(0)
	v_and_b32_e32 v109, 0xff, v6
	v_and_b32_e32 v110, 0xffff, v6
	v_mov_b32_e32 v6, 0
	s_delay_alu instid0(VALU_DEP_3)
	v_cmpx_ne_u16_e32 0, v109
	s_cbranch_execz .LBB398_450
; %bb.443:                              ;   in Loop: Header=BB398_10 Depth=1
	s_delay_alu instid0(VALU_DEP_3) | instskip(NEXT) | instid1(VALU_DEP_1)
	v_and_b32_e32 v6, 0xff, v110
	v_cmp_ne_u16_e64 s2, 0x80, v6
	v_bfrev_b32_e32 v6, 1
	s_delay_alu instid0(VALU_DEP_2)
	s_and_saveexec_b32 s19, s2
	s_cbranch_execz .LBB398_449
; %bb.444:                              ;   in Loop: Header=BB398_10 Depth=1
	v_and_b32_e32 v111, 0x7f, v110
	v_mov_b32_e32 v6, 0x7f800001
	s_mov_b32 s20, exec_lo
	s_delay_alu instid0(VALU_DEP_2)
	v_cmpx_ne_u32_e32 0x7f, v111
	s_cbranch_execz .LBB398_448
; %bb.445:                              ;   in Loop: Header=BB398_10 Depth=1
	v_and_b32_e32 v6, 7, v110
	v_lshrrev_b32_e32 v109, 3, v111
	s_mov_b32 s21, exec_lo
	v_cmpx_gt_u32_e32 8, v111
; %bb.446:                              ;   in Loop: Header=BB398_10 Depth=1
	s_delay_alu instid0(VALU_DEP_3) | instskip(NEXT) | instid1(VALU_DEP_1)
	v_clz_i32_u32_e32 v109, v6
	v_min_u32_e32 v109, 32, v109
	s_delay_alu instid0(VALU_DEP_1) | instskip(SKIP_1) | instid1(VALU_DEP_2)
	v_subrev_nc_u32_e32 v111, 28, v109
	v_sub_nc_u32_e32 v109, 29, v109
	v_lshlrev_b64 v[120:121], v111, v[6:7]
	s_delay_alu instid0(VALU_DEP_1)
	v_and_b32_e32 v6, 7, v120
; %bb.447:                              ;   in Loop: Header=BB398_10 Depth=1
	s_or_b32 exec_lo, exec_lo, s21
	v_lshlrev_b32_e32 v111, 24, v110
	s_delay_alu instid0(VALU_DEP_2) | instskip(SKIP_1) | instid1(VALU_DEP_3)
	v_lshlrev_b32_e32 v6, 20, v6
	v_lshl_add_u32 v109, v109, 23, 0x3c000000
	v_and_b32_e32 v111, 0x80000000, v111
	s_delay_alu instid0(VALU_DEP_1)
	v_or3_b32 v6, v6, v111, v109
.LBB398_448:                            ;   in Loop: Header=BB398_10 Depth=1
	s_or_b32 exec_lo, exec_lo, s20
.LBB398_449:                            ;   in Loop: Header=BB398_10 Depth=1
	s_delay_alu instid0(SALU_CYCLE_1)
	s_or_b32 exec_lo, exec_lo, s19
.LBB398_450:                            ;   in Loop: Header=BB398_10 Depth=1
	s_delay_alu instid0(SALU_CYCLE_1) | instskip(NEXT) | instid1(VALU_DEP_1)
	s_or_b32 exec_lo, exec_lo, s3
	v_mul_f32_e32 v6, v41, v6
	s_delay_alu instid0(VALU_DEP_1) | instskip(NEXT) | instid1(VALU_DEP_1)
	v_and_b32_e32 v109, 0x7f800000, v6
	v_cmp_ne_u32_e64 s2, 0x7f800000, v109
                                        ; implicit-def: $vgpr109
	s_delay_alu instid0(VALU_DEP_1) | instskip(NEXT) | instid1(SALU_CYCLE_1)
	s_and_saveexec_b32 s3, s2
	s_xor_b32 s2, exec_lo, s3
; %bb.451:                              ;   in Loop: Header=BB398_10 Depth=1
	v_bfe_u32 v109, v6, 16, 1
	s_delay_alu instid0(VALU_DEP_1)
	v_add3_u32 v109, v6, v109, 0x7fff
                                        ; implicit-def: $vgpr6
; %bb.452:                              ;   in Loop: Header=BB398_10 Depth=1
	s_and_not1_saveexec_b32 s3, s2
; %bb.453:                              ;   in Loop: Header=BB398_10 Depth=1
	v_and_b32_e32 v109, 0xffff, v6
	v_or_b32_e32 v111, 0x10000, v6
	s_delay_alu instid0(VALU_DEP_2) | instskip(NEXT) | instid1(VALU_DEP_1)
	v_cmp_eq_u32_e64 s2, 0, v109
	v_cndmask_b32_e64 v109, v111, v6, s2
; %bb.454:                              ;   in Loop: Header=BB398_10 Depth=1
	s_or_b32 exec_lo, exec_lo, s3
	v_lshrrev_b16 v111, 8, v110
	v_mov_b32_e32 v6, 0
	s_mov_b32 s3, exec_lo
	s_delay_alu instid0(VALU_DEP_2)
	v_cmpx_ne_u16_e32 0, v111
	s_cbranch_execz .LBB398_462
; %bb.455:                              ;   in Loop: Header=BB398_10 Depth=1
	v_bfrev_b32_e32 v6, 1
	s_mov_b32 s19, exec_lo
	v_cmpx_ne_u16_e32 0x80, v111
	s_cbranch_execz .LBB398_461
; %bb.456:                              ;   in Loop: Header=BB398_10 Depth=1
	v_and_b32_e32 v111, 0xffff, v111
	v_mov_b32_e32 v6, 0x7f800001
	s_mov_b32 s20, exec_lo
	s_delay_alu instid0(VALU_DEP_2) | instskip(NEXT) | instid1(VALU_DEP_1)
	v_and_b32_e32 v120, 0x7f, v111
	v_cmpx_ne_u32_e32 0x7f, v120
	s_cbranch_execz .LBB398_460
; %bb.457:                              ;   in Loop: Header=BB398_10 Depth=1
	v_and_b32_e32 v6, 7, v111
	v_lshrrev_b32_e32 v111, 3, v120
	s_mov_b32 s21, exec_lo
	v_cmpx_gt_u32_e32 8, v120
; %bb.458:                              ;   in Loop: Header=BB398_10 Depth=1
	s_delay_alu instid0(VALU_DEP_3) | instskip(NEXT) | instid1(VALU_DEP_1)
	v_clz_i32_u32_e32 v111, v6
	v_min_u32_e32 v111, 32, v111
	s_delay_alu instid0(VALU_DEP_1) | instskip(SKIP_1) | instid1(VALU_DEP_2)
	v_subrev_nc_u32_e32 v120, 28, v111
	v_sub_nc_u32_e32 v111, 29, v111
	v_lshlrev_b64 v[120:121], v120, v[6:7]
	s_delay_alu instid0(VALU_DEP_1)
	v_and_b32_e32 v6, 7, v120
; %bb.459:                              ;   in Loop: Header=BB398_10 Depth=1
	s_or_b32 exec_lo, exec_lo, s21
	v_lshlrev_b32_e32 v110, 16, v110
	s_delay_alu instid0(VALU_DEP_2) | instskip(SKIP_1) | instid1(VALU_DEP_3)
	v_lshlrev_b32_e32 v6, 20, v6
	v_lshl_add_u32 v111, v111, 23, 0x3c000000
	v_and_b32_e32 v110, 0x80000000, v110
	s_delay_alu instid0(VALU_DEP_1)
	v_or3_b32 v6, v6, v110, v111
.LBB398_460:                            ;   in Loop: Header=BB398_10 Depth=1
	s_or_b32 exec_lo, exec_lo, s20
.LBB398_461:                            ;   in Loop: Header=BB398_10 Depth=1
	s_delay_alu instid0(SALU_CYCLE_1)
	s_or_b32 exec_lo, exec_lo, s19
.LBB398_462:                            ;   in Loop: Header=BB398_10 Depth=1
	s_delay_alu instid0(SALU_CYCLE_1) | instskip(NEXT) | instid1(VALU_DEP_1)
	s_or_b32 exec_lo, exec_lo, s3
	v_mul_f32_e32 v6, v41, v6
	s_delay_alu instid0(VALU_DEP_1) | instskip(NEXT) | instid1(VALU_DEP_1)
	v_and_b32_e32 v110, 0x7f800000, v6
	v_cmp_ne_u32_e64 s2, 0x7f800000, v110
                                        ; implicit-def: $vgpr110
	s_delay_alu instid0(VALU_DEP_1) | instskip(NEXT) | instid1(SALU_CYCLE_1)
	s_and_saveexec_b32 s3, s2
	s_xor_b32 s2, exec_lo, s3
; %bb.463:                              ;   in Loop: Header=BB398_10 Depth=1
	v_bfe_u32 v110, v6, 16, 1
	s_delay_alu instid0(VALU_DEP_1)
	v_add3_u32 v110, v6, v110, 0x7fff
                                        ; implicit-def: $vgpr6
; %bb.464:                              ;   in Loop: Header=BB398_10 Depth=1
	s_and_not1_saveexec_b32 s3, s2
; %bb.465:                              ;   in Loop: Header=BB398_10 Depth=1
	v_and_b32_e32 v110, 0xffff, v6
	v_or_b32_e32 v111, 0x10000, v6
	s_delay_alu instid0(VALU_DEP_2) | instskip(NEXT) | instid1(VALU_DEP_1)
	v_cmp_eq_u32_e64 s2, 0, v110
	v_cndmask_b32_e64 v110, v111, v6, s2
; %bb.466:                              ;   in Loop: Header=BB398_10 Depth=1
	s_or_b32 exec_lo, exec_lo, s3
	flat_load_u16 v6, v[28:29] offset:1160
	s_mov_b32 s3, exec_lo
	s_waitcnt vmcnt(0) lgkmcnt(0)
	v_and_b32_e32 v111, 0xff, v6
	v_and_b32_e32 v120, 0xffff, v6
	v_mov_b32_e32 v6, 0
	s_delay_alu instid0(VALU_DEP_3)
	v_cmpx_ne_u16_e32 0, v111
	s_cbranch_execz .LBB398_474
; %bb.467:                              ;   in Loop: Header=BB398_10 Depth=1
	s_delay_alu instid0(VALU_DEP_3) | instskip(NEXT) | instid1(VALU_DEP_1)
	v_and_b32_e32 v6, 0xff, v120
	v_cmp_ne_u16_e64 s2, 0x80, v6
	v_bfrev_b32_e32 v6, 1
	s_delay_alu instid0(VALU_DEP_2)
	s_and_saveexec_b32 s19, s2
	s_cbranch_execz .LBB398_473
; %bb.468:                              ;   in Loop: Header=BB398_10 Depth=1
	v_and_b32_e32 v121, 0x7f, v120
	v_mov_b32_e32 v6, 0x7f800001
	s_mov_b32 s20, exec_lo
	s_delay_alu instid0(VALU_DEP_2)
	v_cmpx_ne_u32_e32 0x7f, v121
	s_cbranch_execz .LBB398_472
; %bb.469:                              ;   in Loop: Header=BB398_10 Depth=1
	v_and_b32_e32 v6, 7, v120
	v_lshrrev_b32_e32 v111, 3, v121
	s_mov_b32 s21, exec_lo
	v_cmpx_gt_u32_e32 8, v121
; %bb.470:                              ;   in Loop: Header=BB398_10 Depth=1
	s_delay_alu instid0(VALU_DEP_3) | instskip(NEXT) | instid1(VALU_DEP_1)
	v_clz_i32_u32_e32 v111, v6
	v_min_u32_e32 v111, 32, v111
	s_delay_alu instid0(VALU_DEP_1) | instskip(SKIP_1) | instid1(VALU_DEP_2)
	v_subrev_nc_u32_e32 v121, 28, v111
	v_sub_nc_u32_e32 v111, 29, v111
	v_lshlrev_b64 v[121:122], v121, v[6:7]
	s_delay_alu instid0(VALU_DEP_1)
	v_and_b32_e32 v6, 7, v121
; %bb.471:                              ;   in Loop: Header=BB398_10 Depth=1
	s_or_b32 exec_lo, exec_lo, s21
	v_lshlrev_b32_e32 v121, 24, v120
	s_delay_alu instid0(VALU_DEP_2) | instskip(SKIP_1) | instid1(VALU_DEP_3)
	v_lshlrev_b32_e32 v6, 20, v6
	v_lshl_add_u32 v111, v111, 23, 0x3c000000
	v_and_b32_e32 v121, 0x80000000, v121
	s_delay_alu instid0(VALU_DEP_1)
	v_or3_b32 v6, v6, v121, v111
.LBB398_472:                            ;   in Loop: Header=BB398_10 Depth=1
	s_or_b32 exec_lo, exec_lo, s20
.LBB398_473:                            ;   in Loop: Header=BB398_10 Depth=1
	s_delay_alu instid0(SALU_CYCLE_1)
	s_or_b32 exec_lo, exec_lo, s19
.LBB398_474:                            ;   in Loop: Header=BB398_10 Depth=1
	s_delay_alu instid0(SALU_CYCLE_1) | instskip(NEXT) | instid1(VALU_DEP_1)
	s_or_b32 exec_lo, exec_lo, s3
	v_mul_f32_e32 v6, v41, v6
	s_delay_alu instid0(VALU_DEP_1) | instskip(NEXT) | instid1(VALU_DEP_1)
	v_and_b32_e32 v111, 0x7f800000, v6
	v_cmp_ne_u32_e64 s2, 0x7f800000, v111
                                        ; implicit-def: $vgpr111
	s_delay_alu instid0(VALU_DEP_1) | instskip(NEXT) | instid1(SALU_CYCLE_1)
	s_and_saveexec_b32 s3, s2
	s_xor_b32 s2, exec_lo, s3
; %bb.475:                              ;   in Loop: Header=BB398_10 Depth=1
	v_bfe_u32 v111, v6, 16, 1
	s_delay_alu instid0(VALU_DEP_1)
	v_add3_u32 v111, v6, v111, 0x7fff
                                        ; implicit-def: $vgpr6
; %bb.476:                              ;   in Loop: Header=BB398_10 Depth=1
	s_and_not1_saveexec_b32 s3, s2
; %bb.477:                              ;   in Loop: Header=BB398_10 Depth=1
	v_and_b32_e32 v111, 0xffff, v6
	v_or_b32_e32 v121, 0x10000, v6
	s_delay_alu instid0(VALU_DEP_2) | instskip(NEXT) | instid1(VALU_DEP_1)
	v_cmp_eq_u32_e64 s2, 0, v111
	v_cndmask_b32_e64 v111, v121, v6, s2
; %bb.478:                              ;   in Loop: Header=BB398_10 Depth=1
	s_or_b32 exec_lo, exec_lo, s3
	v_lshrrev_b16 v121, 8, v120
	v_mov_b32_e32 v6, 0
	s_mov_b32 s3, exec_lo
	s_delay_alu instid0(VALU_DEP_2)
	v_cmpx_ne_u16_e32 0, v121
	s_cbranch_execz .LBB398_486
; %bb.479:                              ;   in Loop: Header=BB398_10 Depth=1
	v_bfrev_b32_e32 v6, 1
	s_mov_b32 s19, exec_lo
	v_cmpx_ne_u16_e32 0x80, v121
	s_cbranch_execz .LBB398_485
; %bb.480:                              ;   in Loop: Header=BB398_10 Depth=1
	v_and_b32_e32 v121, 0xffff, v121
	v_mov_b32_e32 v6, 0x7f800001
	s_mov_b32 s20, exec_lo
	s_delay_alu instid0(VALU_DEP_2) | instskip(NEXT) | instid1(VALU_DEP_1)
	v_and_b32_e32 v122, 0x7f, v121
	v_cmpx_ne_u32_e32 0x7f, v122
	s_cbranch_execz .LBB398_484
; %bb.481:                              ;   in Loop: Header=BB398_10 Depth=1
	v_and_b32_e32 v6, 7, v121
	v_lshrrev_b32_e32 v121, 3, v122
	s_mov_b32 s21, exec_lo
	v_cmpx_gt_u32_e32 8, v122
; %bb.482:                              ;   in Loop: Header=BB398_10 Depth=1
	s_delay_alu instid0(VALU_DEP_3) | instskip(NEXT) | instid1(VALU_DEP_1)
	v_clz_i32_u32_e32 v121, v6
	v_min_u32_e32 v121, 32, v121
	s_delay_alu instid0(VALU_DEP_1) | instskip(SKIP_1) | instid1(VALU_DEP_2)
	v_subrev_nc_u32_e32 v122, 28, v121
	v_sub_nc_u32_e32 v121, 29, v121
	v_lshlrev_b64 v[122:123], v122, v[6:7]
	s_delay_alu instid0(VALU_DEP_1)
	v_and_b32_e32 v6, 7, v122
; %bb.483:                              ;   in Loop: Header=BB398_10 Depth=1
	s_or_b32 exec_lo, exec_lo, s21
	v_lshlrev_b32_e32 v120, 16, v120
	s_delay_alu instid0(VALU_DEP_2) | instskip(SKIP_1) | instid1(VALU_DEP_3)
	v_lshlrev_b32_e32 v6, 20, v6
	v_lshl_add_u32 v121, v121, 23, 0x3c000000
	v_and_b32_e32 v120, 0x80000000, v120
	s_delay_alu instid0(VALU_DEP_1)
	v_or3_b32 v6, v6, v120, v121
.LBB398_484:                            ;   in Loop: Header=BB398_10 Depth=1
	s_or_b32 exec_lo, exec_lo, s20
.LBB398_485:                            ;   in Loop: Header=BB398_10 Depth=1
	s_delay_alu instid0(SALU_CYCLE_1)
	s_or_b32 exec_lo, exec_lo, s19
.LBB398_486:                            ;   in Loop: Header=BB398_10 Depth=1
	s_delay_alu instid0(SALU_CYCLE_1) | instskip(NEXT) | instid1(VALU_DEP_1)
	s_or_b32 exec_lo, exec_lo, s3
	v_mul_f32_e32 v6, v41, v6
	s_delay_alu instid0(VALU_DEP_1) | instskip(NEXT) | instid1(VALU_DEP_1)
	v_and_b32_e32 v120, 0x7f800000, v6
	v_cmp_ne_u32_e64 s2, 0x7f800000, v120
                                        ; implicit-def: $vgpr120
	s_delay_alu instid0(VALU_DEP_1) | instskip(NEXT) | instid1(SALU_CYCLE_1)
	s_and_saveexec_b32 s3, s2
	s_xor_b32 s2, exec_lo, s3
; %bb.487:                              ;   in Loop: Header=BB398_10 Depth=1
	v_bfe_u32 v120, v6, 16, 1
	s_delay_alu instid0(VALU_DEP_1)
	v_add3_u32 v120, v6, v120, 0x7fff
                                        ; implicit-def: $vgpr6
; %bb.488:                              ;   in Loop: Header=BB398_10 Depth=1
	s_and_not1_saveexec_b32 s3, s2
; %bb.489:                              ;   in Loop: Header=BB398_10 Depth=1
	v_and_b32_e32 v120, 0xffff, v6
	v_or_b32_e32 v121, 0x10000, v6
	s_delay_alu instid0(VALU_DEP_2) | instskip(NEXT) | instid1(VALU_DEP_1)
	v_cmp_eq_u32_e64 s2, 0, v120
	v_cndmask_b32_e64 v120, v121, v6, s2
; %bb.490:                              ;   in Loop: Header=BB398_10 Depth=1
	s_or_b32 exec_lo, exec_lo, s3
	flat_load_u16 v6, v[28:29] offset:1280
	s_mov_b32 s3, exec_lo
	s_waitcnt vmcnt(0) lgkmcnt(0)
	v_and_b32_e32 v121, 0xff, v6
	v_and_b32_e32 v122, 0xffff, v6
	v_mov_b32_e32 v6, 0
	s_delay_alu instid0(VALU_DEP_3)
	v_cmpx_ne_u16_e32 0, v121
	s_cbranch_execz .LBB398_498
; %bb.491:                              ;   in Loop: Header=BB398_10 Depth=1
	s_delay_alu instid0(VALU_DEP_3) | instskip(NEXT) | instid1(VALU_DEP_1)
	v_and_b32_e32 v6, 0xff, v122
	v_cmp_ne_u16_e64 s2, 0x80, v6
	v_bfrev_b32_e32 v6, 1
	s_delay_alu instid0(VALU_DEP_2)
	s_and_saveexec_b32 s19, s2
	s_cbranch_execz .LBB398_497
; %bb.492:                              ;   in Loop: Header=BB398_10 Depth=1
	v_and_b32_e32 v123, 0x7f, v122
	v_mov_b32_e32 v6, 0x7f800001
	s_mov_b32 s20, exec_lo
	s_delay_alu instid0(VALU_DEP_2)
	v_cmpx_ne_u32_e32 0x7f, v123
	s_cbranch_execz .LBB398_496
; %bb.493:                              ;   in Loop: Header=BB398_10 Depth=1
	v_and_b32_e32 v6, 7, v122
	v_lshrrev_b32_e32 v121, 3, v123
	s_mov_b32 s21, exec_lo
	v_cmpx_gt_u32_e32 8, v123
; %bb.494:                              ;   in Loop: Header=BB398_10 Depth=1
	s_delay_alu instid0(VALU_DEP_3) | instskip(NEXT) | instid1(VALU_DEP_1)
	v_clz_i32_u32_e32 v121, v6
	v_min_u32_e32 v121, 32, v121
	s_delay_alu instid0(VALU_DEP_1) | instskip(SKIP_1) | instid1(VALU_DEP_2)
	v_subrev_nc_u32_e32 v123, 28, v121
	v_sub_nc_u32_e32 v121, 29, v121
	v_lshlrev_b64 v[123:124], v123, v[6:7]
	s_delay_alu instid0(VALU_DEP_1)
	v_and_b32_e32 v6, 7, v123
; %bb.495:                              ;   in Loop: Header=BB398_10 Depth=1
	s_or_b32 exec_lo, exec_lo, s21
	v_lshlrev_b32_e32 v123, 24, v122
	s_delay_alu instid0(VALU_DEP_2) | instskip(SKIP_1) | instid1(VALU_DEP_3)
	v_lshlrev_b32_e32 v6, 20, v6
	v_lshl_add_u32 v121, v121, 23, 0x3c000000
	v_and_b32_e32 v123, 0x80000000, v123
	s_delay_alu instid0(VALU_DEP_1)
	v_or3_b32 v6, v6, v123, v121
.LBB398_496:                            ;   in Loop: Header=BB398_10 Depth=1
	s_or_b32 exec_lo, exec_lo, s20
.LBB398_497:                            ;   in Loop: Header=BB398_10 Depth=1
	s_delay_alu instid0(SALU_CYCLE_1)
	s_or_b32 exec_lo, exec_lo, s19
.LBB398_498:                            ;   in Loop: Header=BB398_10 Depth=1
	s_delay_alu instid0(SALU_CYCLE_1) | instskip(NEXT) | instid1(VALU_DEP_1)
	s_or_b32 exec_lo, exec_lo, s3
	v_mul_f32_e32 v6, v41, v6
	s_delay_alu instid0(VALU_DEP_1) | instskip(NEXT) | instid1(VALU_DEP_1)
	v_and_b32_e32 v121, 0x7f800000, v6
	v_cmp_ne_u32_e64 s2, 0x7f800000, v121
                                        ; implicit-def: $vgpr121
	s_delay_alu instid0(VALU_DEP_1) | instskip(NEXT) | instid1(SALU_CYCLE_1)
	s_and_saveexec_b32 s3, s2
	s_xor_b32 s2, exec_lo, s3
; %bb.499:                              ;   in Loop: Header=BB398_10 Depth=1
	v_bfe_u32 v121, v6, 16, 1
	s_delay_alu instid0(VALU_DEP_1)
	v_add3_u32 v121, v6, v121, 0x7fff
                                        ; implicit-def: $vgpr6
; %bb.500:                              ;   in Loop: Header=BB398_10 Depth=1
	s_and_not1_saveexec_b32 s3, s2
; %bb.501:                              ;   in Loop: Header=BB398_10 Depth=1
	v_and_b32_e32 v121, 0xffff, v6
	v_or_b32_e32 v123, 0x10000, v6
	s_delay_alu instid0(VALU_DEP_2) | instskip(NEXT) | instid1(VALU_DEP_1)
	v_cmp_eq_u32_e64 s2, 0, v121
	v_cndmask_b32_e64 v121, v123, v6, s2
; %bb.502:                              ;   in Loop: Header=BB398_10 Depth=1
	s_or_b32 exec_lo, exec_lo, s3
	v_lshrrev_b16 v123, 8, v122
	v_mov_b32_e32 v6, 0
	s_mov_b32 s3, exec_lo
	s_delay_alu instid0(VALU_DEP_2)
	v_cmpx_ne_u16_e32 0, v123
	s_cbranch_execz .LBB398_510
; %bb.503:                              ;   in Loop: Header=BB398_10 Depth=1
	v_bfrev_b32_e32 v6, 1
	s_mov_b32 s19, exec_lo
	v_cmpx_ne_u16_e32 0x80, v123
	s_cbranch_execz .LBB398_509
; %bb.504:                              ;   in Loop: Header=BB398_10 Depth=1
	v_and_b32_e32 v123, 0xffff, v123
	v_mov_b32_e32 v6, 0x7f800001
	s_mov_b32 s20, exec_lo
	s_delay_alu instid0(VALU_DEP_2) | instskip(NEXT) | instid1(VALU_DEP_1)
	v_and_b32_e32 v124, 0x7f, v123
	v_cmpx_ne_u32_e32 0x7f, v124
	s_cbranch_execz .LBB398_508
; %bb.505:                              ;   in Loop: Header=BB398_10 Depth=1
	v_and_b32_e32 v6, 7, v123
	v_lshrrev_b32_e32 v123, 3, v124
	s_mov_b32 s21, exec_lo
	v_cmpx_gt_u32_e32 8, v124
; %bb.506:                              ;   in Loop: Header=BB398_10 Depth=1
	s_delay_alu instid0(VALU_DEP_3) | instskip(NEXT) | instid1(VALU_DEP_1)
	v_clz_i32_u32_e32 v123, v6
	v_min_u32_e32 v123, 32, v123
	s_delay_alu instid0(VALU_DEP_1) | instskip(SKIP_1) | instid1(VALU_DEP_2)
	v_subrev_nc_u32_e32 v124, 28, v123
	v_sub_nc_u32_e32 v123, 29, v123
	v_lshlrev_b64 v[124:125], v124, v[6:7]
	s_delay_alu instid0(VALU_DEP_1)
	v_and_b32_e32 v6, 7, v124
; %bb.507:                              ;   in Loop: Header=BB398_10 Depth=1
	s_or_b32 exec_lo, exec_lo, s21
	v_lshlrev_b32_e32 v122, 16, v122
	s_delay_alu instid0(VALU_DEP_2) | instskip(SKIP_1) | instid1(VALU_DEP_3)
	v_lshlrev_b32_e32 v6, 20, v6
	v_lshl_add_u32 v123, v123, 23, 0x3c000000
	v_and_b32_e32 v122, 0x80000000, v122
	s_delay_alu instid0(VALU_DEP_1)
	v_or3_b32 v6, v6, v122, v123
.LBB398_508:                            ;   in Loop: Header=BB398_10 Depth=1
	s_or_b32 exec_lo, exec_lo, s20
.LBB398_509:                            ;   in Loop: Header=BB398_10 Depth=1
	s_delay_alu instid0(SALU_CYCLE_1)
	s_or_b32 exec_lo, exec_lo, s19
.LBB398_510:                            ;   in Loop: Header=BB398_10 Depth=1
	s_delay_alu instid0(SALU_CYCLE_1) | instskip(NEXT) | instid1(VALU_DEP_1)
	s_or_b32 exec_lo, exec_lo, s3
	v_mul_f32_e32 v6, v41, v6
	s_delay_alu instid0(VALU_DEP_1) | instskip(NEXT) | instid1(VALU_DEP_1)
	v_and_b32_e32 v122, 0x7f800000, v6
	v_cmp_ne_u32_e64 s2, 0x7f800000, v122
                                        ; implicit-def: $vgpr122
	s_delay_alu instid0(VALU_DEP_1) | instskip(NEXT) | instid1(SALU_CYCLE_1)
	s_and_saveexec_b32 s3, s2
	s_xor_b32 s2, exec_lo, s3
; %bb.511:                              ;   in Loop: Header=BB398_10 Depth=1
	v_bfe_u32 v122, v6, 16, 1
	s_delay_alu instid0(VALU_DEP_1)
	v_add3_u32 v122, v6, v122, 0x7fff
                                        ; implicit-def: $vgpr6
; %bb.512:                              ;   in Loop: Header=BB398_10 Depth=1
	s_and_not1_saveexec_b32 s3, s2
; %bb.513:                              ;   in Loop: Header=BB398_10 Depth=1
	v_and_b32_e32 v122, 0xffff, v6
	v_or_b32_e32 v123, 0x10000, v6
	s_delay_alu instid0(VALU_DEP_2) | instskip(NEXT) | instid1(VALU_DEP_1)
	v_cmp_eq_u32_e64 s2, 0, v122
	v_cndmask_b32_e64 v122, v123, v6, s2
; %bb.514:                              ;   in Loop: Header=BB398_10 Depth=1
	s_or_b32 exec_lo, exec_lo, s3
	flat_load_u16 v6, v[28:29] offset:1288
	s_mov_b32 s3, exec_lo
	s_waitcnt vmcnt(0) lgkmcnt(0)
	v_and_b32_e32 v123, 0xff, v6
	v_and_b32_e32 v124, 0xffff, v6
	v_mov_b32_e32 v6, 0
	s_delay_alu instid0(VALU_DEP_3)
	v_cmpx_ne_u16_e32 0, v123
	s_cbranch_execz .LBB398_522
; %bb.515:                              ;   in Loop: Header=BB398_10 Depth=1
	s_delay_alu instid0(VALU_DEP_3) | instskip(NEXT) | instid1(VALU_DEP_1)
	v_and_b32_e32 v6, 0xff, v124
	v_cmp_ne_u16_e64 s2, 0x80, v6
	v_bfrev_b32_e32 v6, 1
	s_delay_alu instid0(VALU_DEP_2)
	s_and_saveexec_b32 s19, s2
	s_cbranch_execz .LBB398_521
; %bb.516:                              ;   in Loop: Header=BB398_10 Depth=1
	v_and_b32_e32 v125, 0x7f, v124
	v_mov_b32_e32 v6, 0x7f800001
	s_mov_b32 s20, exec_lo
	s_delay_alu instid0(VALU_DEP_2)
	v_cmpx_ne_u32_e32 0x7f, v125
	s_cbranch_execz .LBB398_520
; %bb.517:                              ;   in Loop: Header=BB398_10 Depth=1
	v_and_b32_e32 v6, 7, v124
	v_lshrrev_b32_e32 v123, 3, v125
	s_mov_b32 s21, exec_lo
	v_cmpx_gt_u32_e32 8, v125
; %bb.518:                              ;   in Loop: Header=BB398_10 Depth=1
	s_delay_alu instid0(VALU_DEP_3) | instskip(NEXT) | instid1(VALU_DEP_1)
	v_clz_i32_u32_e32 v123, v6
	v_min_u32_e32 v123, 32, v123
	s_delay_alu instid0(VALU_DEP_1) | instskip(SKIP_1) | instid1(VALU_DEP_2)
	v_subrev_nc_u32_e32 v125, 28, v123
	v_sub_nc_u32_e32 v123, 29, v123
	v_lshlrev_b64 v[125:126], v125, v[6:7]
	s_delay_alu instid0(VALU_DEP_1)
	v_and_b32_e32 v6, 7, v125
; %bb.519:                              ;   in Loop: Header=BB398_10 Depth=1
	s_or_b32 exec_lo, exec_lo, s21
	v_lshlrev_b32_e32 v125, 24, v124
	s_delay_alu instid0(VALU_DEP_2) | instskip(SKIP_1) | instid1(VALU_DEP_3)
	v_lshlrev_b32_e32 v6, 20, v6
	v_lshl_add_u32 v123, v123, 23, 0x3c000000
	v_and_b32_e32 v125, 0x80000000, v125
	s_delay_alu instid0(VALU_DEP_1)
	v_or3_b32 v6, v6, v125, v123
.LBB398_520:                            ;   in Loop: Header=BB398_10 Depth=1
	s_or_b32 exec_lo, exec_lo, s20
.LBB398_521:                            ;   in Loop: Header=BB398_10 Depth=1
	s_delay_alu instid0(SALU_CYCLE_1)
	s_or_b32 exec_lo, exec_lo, s19
.LBB398_522:                            ;   in Loop: Header=BB398_10 Depth=1
	s_delay_alu instid0(SALU_CYCLE_1) | instskip(NEXT) | instid1(VALU_DEP_1)
	s_or_b32 exec_lo, exec_lo, s3
	v_mul_f32_e32 v6, v41, v6
	s_delay_alu instid0(VALU_DEP_1) | instskip(NEXT) | instid1(VALU_DEP_1)
	v_and_b32_e32 v123, 0x7f800000, v6
	v_cmp_ne_u32_e64 s2, 0x7f800000, v123
                                        ; implicit-def: $vgpr123
	s_delay_alu instid0(VALU_DEP_1) | instskip(NEXT) | instid1(SALU_CYCLE_1)
	s_and_saveexec_b32 s3, s2
	s_xor_b32 s2, exec_lo, s3
; %bb.523:                              ;   in Loop: Header=BB398_10 Depth=1
	v_bfe_u32 v123, v6, 16, 1
	s_delay_alu instid0(VALU_DEP_1)
	v_add3_u32 v123, v6, v123, 0x7fff
                                        ; implicit-def: $vgpr6
; %bb.524:                              ;   in Loop: Header=BB398_10 Depth=1
	s_and_not1_saveexec_b32 s3, s2
; %bb.525:                              ;   in Loop: Header=BB398_10 Depth=1
	v_and_b32_e32 v123, 0xffff, v6
	v_or_b32_e32 v125, 0x10000, v6
	s_delay_alu instid0(VALU_DEP_2) | instskip(NEXT) | instid1(VALU_DEP_1)
	v_cmp_eq_u32_e64 s2, 0, v123
	v_cndmask_b32_e64 v123, v125, v6, s2
; %bb.526:                              ;   in Loop: Header=BB398_10 Depth=1
	s_or_b32 exec_lo, exec_lo, s3
	v_lshrrev_b16 v125, 8, v124
	v_mov_b32_e32 v6, 0
	s_mov_b32 s3, exec_lo
	s_delay_alu instid0(VALU_DEP_2)
	v_cmpx_ne_u16_e32 0, v125
	s_cbranch_execz .LBB398_534
; %bb.527:                              ;   in Loop: Header=BB398_10 Depth=1
	v_bfrev_b32_e32 v6, 1
	s_mov_b32 s19, exec_lo
	v_cmpx_ne_u16_e32 0x80, v125
	s_cbranch_execz .LBB398_533
; %bb.528:                              ;   in Loop: Header=BB398_10 Depth=1
	v_and_b32_e32 v125, 0xffff, v125
	v_mov_b32_e32 v6, 0x7f800001
	s_mov_b32 s20, exec_lo
	s_delay_alu instid0(VALU_DEP_2) | instskip(NEXT) | instid1(VALU_DEP_1)
	v_and_b32_e32 v126, 0x7f, v125
	v_cmpx_ne_u32_e32 0x7f, v126
	s_cbranch_execz .LBB398_532
; %bb.529:                              ;   in Loop: Header=BB398_10 Depth=1
	v_and_b32_e32 v6, 7, v125
	v_lshrrev_b32_e32 v125, 3, v126
	s_mov_b32 s21, exec_lo
	v_cmpx_gt_u32_e32 8, v126
; %bb.530:                              ;   in Loop: Header=BB398_10 Depth=1
	s_delay_alu instid0(VALU_DEP_3) | instskip(NEXT) | instid1(VALU_DEP_1)
	v_clz_i32_u32_e32 v125, v6
	v_min_u32_e32 v125, 32, v125
	s_delay_alu instid0(VALU_DEP_1) | instskip(SKIP_1) | instid1(VALU_DEP_2)
	v_subrev_nc_u32_e32 v126, 28, v125
	v_sub_nc_u32_e32 v125, 29, v125
	v_lshlrev_b64 v[126:127], v126, v[6:7]
	s_delay_alu instid0(VALU_DEP_1)
	v_and_b32_e32 v6, 7, v126
; %bb.531:                              ;   in Loop: Header=BB398_10 Depth=1
	s_or_b32 exec_lo, exec_lo, s21
	v_lshlrev_b32_e32 v124, 16, v124
	s_delay_alu instid0(VALU_DEP_2) | instskip(SKIP_1) | instid1(VALU_DEP_3)
	v_lshlrev_b32_e32 v6, 20, v6
	v_lshl_add_u32 v125, v125, 23, 0x3c000000
	v_and_b32_e32 v124, 0x80000000, v124
	s_delay_alu instid0(VALU_DEP_1)
	v_or3_b32 v6, v6, v124, v125
.LBB398_532:                            ;   in Loop: Header=BB398_10 Depth=1
	s_or_b32 exec_lo, exec_lo, s20
.LBB398_533:                            ;   in Loop: Header=BB398_10 Depth=1
	s_delay_alu instid0(SALU_CYCLE_1)
	s_or_b32 exec_lo, exec_lo, s19
.LBB398_534:                            ;   in Loop: Header=BB398_10 Depth=1
	s_delay_alu instid0(SALU_CYCLE_1) | instskip(NEXT) | instid1(VALU_DEP_1)
	s_or_b32 exec_lo, exec_lo, s3
	v_mul_f32_e32 v6, v41, v6
	s_delay_alu instid0(VALU_DEP_1) | instskip(NEXT) | instid1(VALU_DEP_1)
	v_and_b32_e32 v124, 0x7f800000, v6
	v_cmp_ne_u32_e64 s2, 0x7f800000, v124
                                        ; implicit-def: $vgpr124
	s_delay_alu instid0(VALU_DEP_1) | instskip(NEXT) | instid1(SALU_CYCLE_1)
	s_and_saveexec_b32 s3, s2
	s_xor_b32 s2, exec_lo, s3
; %bb.535:                              ;   in Loop: Header=BB398_10 Depth=1
	v_bfe_u32 v124, v6, 16, 1
	s_delay_alu instid0(VALU_DEP_1)
	v_add3_u32 v124, v6, v124, 0x7fff
                                        ; implicit-def: $vgpr6
; %bb.536:                              ;   in Loop: Header=BB398_10 Depth=1
	s_and_not1_saveexec_b32 s3, s2
; %bb.537:                              ;   in Loop: Header=BB398_10 Depth=1
	v_and_b32_e32 v124, 0xffff, v6
	v_or_b32_e32 v125, 0x10000, v6
	s_delay_alu instid0(VALU_DEP_2) | instskip(NEXT) | instid1(VALU_DEP_1)
	v_cmp_eq_u32_e64 s2, 0, v124
	v_cndmask_b32_e64 v124, v125, v6, s2
; %bb.538:                              ;   in Loop: Header=BB398_10 Depth=1
	s_or_b32 exec_lo, exec_lo, s3
	flat_load_u16 v6, v[28:29] offset:1408
	s_mov_b32 s3, exec_lo
	s_waitcnt vmcnt(0) lgkmcnt(0)
	v_and_b32_e32 v125, 0xff, v6
	v_and_b32_e32 v126, 0xffff, v6
	v_mov_b32_e32 v6, 0
	s_delay_alu instid0(VALU_DEP_3)
	v_cmpx_ne_u16_e32 0, v125
	s_cbranch_execz .LBB398_546
; %bb.539:                              ;   in Loop: Header=BB398_10 Depth=1
	s_delay_alu instid0(VALU_DEP_3) | instskip(NEXT) | instid1(VALU_DEP_1)
	v_and_b32_e32 v6, 0xff, v126
	v_cmp_ne_u16_e64 s2, 0x80, v6
	v_bfrev_b32_e32 v6, 1
	s_delay_alu instid0(VALU_DEP_2)
	s_and_saveexec_b32 s19, s2
	s_cbranch_execz .LBB398_545
; %bb.540:                              ;   in Loop: Header=BB398_10 Depth=1
	v_and_b32_e32 v127, 0x7f, v126
	v_mov_b32_e32 v6, 0x7f800001
	s_mov_b32 s20, exec_lo
	s_delay_alu instid0(VALU_DEP_2)
	v_cmpx_ne_u32_e32 0x7f, v127
	s_cbranch_execz .LBB398_544
; %bb.541:                              ;   in Loop: Header=BB398_10 Depth=1
	v_and_b32_e32 v6, 7, v126
	v_lshrrev_b32_e32 v125, 3, v127
	s_mov_b32 s21, exec_lo
	v_cmpx_gt_u32_e32 8, v127
; %bb.542:                              ;   in Loop: Header=BB398_10 Depth=1
	s_delay_alu instid0(VALU_DEP_3) | instskip(NEXT) | instid1(VALU_DEP_1)
	v_clz_i32_u32_e32 v125, v6
	v_min_u32_e32 v125, 32, v125
	s_delay_alu instid0(VALU_DEP_1) | instskip(SKIP_1) | instid1(VALU_DEP_2)
	v_subrev_nc_u32_e32 v127, 28, v125
	v_sub_nc_u32_e32 v125, 29, v125
	v_lshlrev_b64 v[136:137], v127, v[6:7]
	s_delay_alu instid0(VALU_DEP_1)
	v_and_b32_e32 v6, 7, v136
; %bb.543:                              ;   in Loop: Header=BB398_10 Depth=1
	s_or_b32 exec_lo, exec_lo, s21
	v_lshlrev_b32_e32 v127, 24, v126
	s_delay_alu instid0(VALU_DEP_2) | instskip(SKIP_1) | instid1(VALU_DEP_3)
	v_lshlrev_b32_e32 v6, 20, v6
	v_lshl_add_u32 v125, v125, 23, 0x3c000000
	v_and_b32_e32 v127, 0x80000000, v127
	s_delay_alu instid0(VALU_DEP_1)
	v_or3_b32 v6, v6, v127, v125
.LBB398_544:                            ;   in Loop: Header=BB398_10 Depth=1
	s_or_b32 exec_lo, exec_lo, s20
.LBB398_545:                            ;   in Loop: Header=BB398_10 Depth=1
	s_delay_alu instid0(SALU_CYCLE_1)
	s_or_b32 exec_lo, exec_lo, s19
.LBB398_546:                            ;   in Loop: Header=BB398_10 Depth=1
	s_delay_alu instid0(SALU_CYCLE_1) | instskip(NEXT) | instid1(VALU_DEP_1)
	s_or_b32 exec_lo, exec_lo, s3
	v_mul_f32_e32 v6, v41, v6
	s_delay_alu instid0(VALU_DEP_1) | instskip(NEXT) | instid1(VALU_DEP_1)
	v_and_b32_e32 v125, 0x7f800000, v6
	v_cmp_ne_u32_e64 s2, 0x7f800000, v125
                                        ; implicit-def: $vgpr125
	s_delay_alu instid0(VALU_DEP_1) | instskip(NEXT) | instid1(SALU_CYCLE_1)
	s_and_saveexec_b32 s3, s2
	s_xor_b32 s2, exec_lo, s3
; %bb.547:                              ;   in Loop: Header=BB398_10 Depth=1
	v_bfe_u32 v125, v6, 16, 1
	s_delay_alu instid0(VALU_DEP_1)
	v_add3_u32 v125, v6, v125, 0x7fff
                                        ; implicit-def: $vgpr6
; %bb.548:                              ;   in Loop: Header=BB398_10 Depth=1
	s_and_not1_saveexec_b32 s3, s2
; %bb.549:                              ;   in Loop: Header=BB398_10 Depth=1
	v_and_b32_e32 v125, 0xffff, v6
	v_or_b32_e32 v127, 0x10000, v6
	s_delay_alu instid0(VALU_DEP_2) | instskip(NEXT) | instid1(VALU_DEP_1)
	v_cmp_eq_u32_e64 s2, 0, v125
	v_cndmask_b32_e64 v125, v127, v6, s2
; %bb.550:                              ;   in Loop: Header=BB398_10 Depth=1
	s_or_b32 exec_lo, exec_lo, s3
	v_lshrrev_b16 v127, 8, v126
	v_mov_b32_e32 v6, 0
	s_mov_b32 s3, exec_lo
	s_delay_alu instid0(VALU_DEP_2)
	v_cmpx_ne_u16_e32 0, v127
	s_cbranch_execz .LBB398_558
; %bb.551:                              ;   in Loop: Header=BB398_10 Depth=1
	v_bfrev_b32_e32 v6, 1
	s_mov_b32 s19, exec_lo
	v_cmpx_ne_u16_e32 0x80, v127
	s_cbranch_execz .LBB398_557
; %bb.552:                              ;   in Loop: Header=BB398_10 Depth=1
	v_and_b32_e32 v127, 0xffff, v127
	v_mov_b32_e32 v6, 0x7f800001
	s_mov_b32 s20, exec_lo
	s_delay_alu instid0(VALU_DEP_2) | instskip(NEXT) | instid1(VALU_DEP_1)
	v_and_b32_e32 v136, 0x7f, v127
	v_cmpx_ne_u32_e32 0x7f, v136
	s_cbranch_execz .LBB398_556
; %bb.553:                              ;   in Loop: Header=BB398_10 Depth=1
	v_and_b32_e32 v6, 7, v127
	v_lshrrev_b32_e32 v127, 3, v136
	s_mov_b32 s21, exec_lo
	v_cmpx_gt_u32_e32 8, v136
; %bb.554:                              ;   in Loop: Header=BB398_10 Depth=1
	s_delay_alu instid0(VALU_DEP_3) | instskip(NEXT) | instid1(VALU_DEP_1)
	v_clz_i32_u32_e32 v127, v6
	v_min_u32_e32 v127, 32, v127
	s_delay_alu instid0(VALU_DEP_1) | instskip(SKIP_1) | instid1(VALU_DEP_2)
	v_subrev_nc_u32_e32 v136, 28, v127
	v_sub_nc_u32_e32 v127, 29, v127
	v_lshlrev_b64 v[136:137], v136, v[6:7]
	s_delay_alu instid0(VALU_DEP_1)
	v_and_b32_e32 v6, 7, v136
; %bb.555:                              ;   in Loop: Header=BB398_10 Depth=1
	s_or_b32 exec_lo, exec_lo, s21
	v_lshlrev_b32_e32 v126, 16, v126
	s_delay_alu instid0(VALU_DEP_2) | instskip(SKIP_1) | instid1(VALU_DEP_3)
	v_lshlrev_b32_e32 v6, 20, v6
	v_lshl_add_u32 v127, v127, 23, 0x3c000000
	v_and_b32_e32 v126, 0x80000000, v126
	s_delay_alu instid0(VALU_DEP_1)
	v_or3_b32 v6, v6, v126, v127
.LBB398_556:                            ;   in Loop: Header=BB398_10 Depth=1
	s_or_b32 exec_lo, exec_lo, s20
.LBB398_557:                            ;   in Loop: Header=BB398_10 Depth=1
	s_delay_alu instid0(SALU_CYCLE_1)
	s_or_b32 exec_lo, exec_lo, s19
.LBB398_558:                            ;   in Loop: Header=BB398_10 Depth=1
	s_delay_alu instid0(SALU_CYCLE_1) | instskip(NEXT) | instid1(VALU_DEP_1)
	s_or_b32 exec_lo, exec_lo, s3
	v_mul_f32_e32 v6, v41, v6
	s_delay_alu instid0(VALU_DEP_1) | instskip(NEXT) | instid1(VALU_DEP_1)
	v_and_b32_e32 v126, 0x7f800000, v6
	v_cmp_ne_u32_e64 s2, 0x7f800000, v126
                                        ; implicit-def: $vgpr126
	s_delay_alu instid0(VALU_DEP_1) | instskip(NEXT) | instid1(SALU_CYCLE_1)
	s_and_saveexec_b32 s3, s2
	s_xor_b32 s2, exec_lo, s3
; %bb.559:                              ;   in Loop: Header=BB398_10 Depth=1
	v_bfe_u32 v126, v6, 16, 1
	s_delay_alu instid0(VALU_DEP_1)
	v_add3_u32 v126, v6, v126, 0x7fff
                                        ; implicit-def: $vgpr6
; %bb.560:                              ;   in Loop: Header=BB398_10 Depth=1
	s_and_not1_saveexec_b32 s3, s2
; %bb.561:                              ;   in Loop: Header=BB398_10 Depth=1
	v_and_b32_e32 v126, 0xffff, v6
	v_or_b32_e32 v127, 0x10000, v6
	s_delay_alu instid0(VALU_DEP_2) | instskip(NEXT) | instid1(VALU_DEP_1)
	v_cmp_eq_u32_e64 s2, 0, v126
	v_cndmask_b32_e64 v126, v127, v6, s2
; %bb.562:                              ;   in Loop: Header=BB398_10 Depth=1
	s_or_b32 exec_lo, exec_lo, s3
	flat_load_u16 v6, v[28:29] offset:1416
	s_mov_b32 s3, exec_lo
	s_waitcnt vmcnt(0) lgkmcnt(0)
	v_and_b32_e32 v127, 0xff, v6
	v_and_b32_e32 v136, 0xffff, v6
	v_mov_b32_e32 v6, 0
	s_delay_alu instid0(VALU_DEP_3)
	v_cmpx_ne_u16_e32 0, v127
	s_cbranch_execz .LBB398_570
; %bb.563:                              ;   in Loop: Header=BB398_10 Depth=1
	s_delay_alu instid0(VALU_DEP_3) | instskip(NEXT) | instid1(VALU_DEP_1)
	v_and_b32_e32 v6, 0xff, v136
	v_cmp_ne_u16_e64 s2, 0x80, v6
	v_bfrev_b32_e32 v6, 1
	s_delay_alu instid0(VALU_DEP_2)
	s_and_saveexec_b32 s19, s2
	s_cbranch_execz .LBB398_569
; %bb.564:                              ;   in Loop: Header=BB398_10 Depth=1
	v_and_b32_e32 v137, 0x7f, v136
	v_mov_b32_e32 v6, 0x7f800001
	s_mov_b32 s20, exec_lo
	s_delay_alu instid0(VALU_DEP_2)
	v_cmpx_ne_u32_e32 0x7f, v137
	s_cbranch_execz .LBB398_568
; %bb.565:                              ;   in Loop: Header=BB398_10 Depth=1
	v_and_b32_e32 v6, 7, v136
	v_lshrrev_b32_e32 v127, 3, v137
	s_mov_b32 s21, exec_lo
	v_cmpx_gt_u32_e32 8, v137
; %bb.566:                              ;   in Loop: Header=BB398_10 Depth=1
	s_delay_alu instid0(VALU_DEP_3) | instskip(NEXT) | instid1(VALU_DEP_1)
	v_clz_i32_u32_e32 v127, v6
	v_min_u32_e32 v127, 32, v127
	s_delay_alu instid0(VALU_DEP_1) | instskip(SKIP_1) | instid1(VALU_DEP_2)
	v_subrev_nc_u32_e32 v137, 28, v127
	v_sub_nc_u32_e32 v127, 29, v127
	v_lshlrev_b64 v[137:138], v137, v[6:7]
	s_delay_alu instid0(VALU_DEP_1)
	v_and_b32_e32 v6, 7, v137
; %bb.567:                              ;   in Loop: Header=BB398_10 Depth=1
	s_or_b32 exec_lo, exec_lo, s21
	v_lshlrev_b32_e32 v137, 24, v136
	s_delay_alu instid0(VALU_DEP_2) | instskip(SKIP_1) | instid1(VALU_DEP_3)
	v_lshlrev_b32_e32 v6, 20, v6
	v_lshl_add_u32 v127, v127, 23, 0x3c000000
	v_and_b32_e32 v137, 0x80000000, v137
	s_delay_alu instid0(VALU_DEP_1)
	v_or3_b32 v6, v6, v137, v127
.LBB398_568:                            ;   in Loop: Header=BB398_10 Depth=1
	s_or_b32 exec_lo, exec_lo, s20
.LBB398_569:                            ;   in Loop: Header=BB398_10 Depth=1
	s_delay_alu instid0(SALU_CYCLE_1)
	s_or_b32 exec_lo, exec_lo, s19
.LBB398_570:                            ;   in Loop: Header=BB398_10 Depth=1
	s_delay_alu instid0(SALU_CYCLE_1) | instskip(NEXT) | instid1(VALU_DEP_1)
	s_or_b32 exec_lo, exec_lo, s3
	v_mul_f32_e32 v6, v41, v6
	s_delay_alu instid0(VALU_DEP_1) | instskip(NEXT) | instid1(VALU_DEP_1)
	v_and_b32_e32 v127, 0x7f800000, v6
	v_cmp_ne_u32_e64 s2, 0x7f800000, v127
                                        ; implicit-def: $vgpr127
	s_delay_alu instid0(VALU_DEP_1) | instskip(NEXT) | instid1(SALU_CYCLE_1)
	s_and_saveexec_b32 s3, s2
	s_xor_b32 s2, exec_lo, s3
; %bb.571:                              ;   in Loop: Header=BB398_10 Depth=1
	v_bfe_u32 v127, v6, 16, 1
	s_delay_alu instid0(VALU_DEP_1)
	v_add3_u32 v127, v6, v127, 0x7fff
                                        ; implicit-def: $vgpr6
; %bb.572:                              ;   in Loop: Header=BB398_10 Depth=1
	s_and_not1_saveexec_b32 s3, s2
; %bb.573:                              ;   in Loop: Header=BB398_10 Depth=1
	v_and_b32_e32 v127, 0xffff, v6
	v_or_b32_e32 v137, 0x10000, v6
	s_delay_alu instid0(VALU_DEP_2) | instskip(NEXT) | instid1(VALU_DEP_1)
	v_cmp_eq_u32_e64 s2, 0, v127
	v_cndmask_b32_e64 v127, v137, v6, s2
; %bb.574:                              ;   in Loop: Header=BB398_10 Depth=1
	s_or_b32 exec_lo, exec_lo, s3
	v_lshrrev_b16 v137, 8, v136
	v_mov_b32_e32 v6, 0
	s_mov_b32 s3, exec_lo
	s_delay_alu instid0(VALU_DEP_2)
	v_cmpx_ne_u16_e64 0, v137
	s_cbranch_execz .LBB398_582
; %bb.575:                              ;   in Loop: Header=BB398_10 Depth=1
	v_bfrev_b32_e32 v6, 1
	s_mov_b32 s19, exec_lo
	v_cmpx_ne_u16_e64 0x80, v137
	s_cbranch_execz .LBB398_581
; %bb.576:                              ;   in Loop: Header=BB398_10 Depth=1
	v_and_b32_e32 v137, 0xffff, v137
	v_mov_b32_e32 v6, 0x7f800001
	s_mov_b32 s20, exec_lo
	s_delay_alu instid0(VALU_DEP_2) | instskip(NEXT) | instid1(VALU_DEP_1)
	v_and_b32_e32 v138, 0x7f, v137
	v_cmpx_ne_u32_e32 0x7f, v138
	s_cbranch_execz .LBB398_580
; %bb.577:                              ;   in Loop: Header=BB398_10 Depth=1
	v_and_b32_e32 v6, 7, v137
	v_lshrrev_b32_e32 v137, 3, v138
	s_mov_b32 s21, exec_lo
	v_cmpx_gt_u32_e32 8, v138
; %bb.578:                              ;   in Loop: Header=BB398_10 Depth=1
	s_delay_alu instid0(VALU_DEP_3) | instskip(NEXT) | instid1(VALU_DEP_1)
	v_clz_i32_u32_e32 v137, v6
	v_min_u32_e32 v137, 32, v137
	s_delay_alu instid0(VALU_DEP_1) | instskip(SKIP_1) | instid1(VALU_DEP_2)
	v_subrev_nc_u32_e32 v138, 28, v137
	v_sub_nc_u32_e32 v137, 29, v137
	v_lshlrev_b64 v[138:139], v138, v[6:7]
	s_delay_alu instid0(VALU_DEP_1)
	v_and_b32_e32 v6, 7, v138
; %bb.579:                              ;   in Loop: Header=BB398_10 Depth=1
	s_or_b32 exec_lo, exec_lo, s21
	v_lshlrev_b32_e32 v136, 16, v136
	s_delay_alu instid0(VALU_DEP_2) | instskip(SKIP_1) | instid1(VALU_DEP_3)
	v_lshlrev_b32_e32 v6, 20, v6
	v_lshl_add_u32 v137, v137, 23, 0x3c000000
	v_and_b32_e32 v136, 0x80000000, v136
	s_delay_alu instid0(VALU_DEP_1)
	v_or3_b32 v6, v6, v136, v137
.LBB398_580:                            ;   in Loop: Header=BB398_10 Depth=1
	s_or_b32 exec_lo, exec_lo, s20
.LBB398_581:                            ;   in Loop: Header=BB398_10 Depth=1
	s_delay_alu instid0(SALU_CYCLE_1)
	s_or_b32 exec_lo, exec_lo, s19
.LBB398_582:                            ;   in Loop: Header=BB398_10 Depth=1
	s_delay_alu instid0(SALU_CYCLE_1) | instskip(NEXT) | instid1(VALU_DEP_1)
	s_or_b32 exec_lo, exec_lo, s3
	v_mul_f32_e32 v6, v41, v6
	s_delay_alu instid0(VALU_DEP_1) | instskip(NEXT) | instid1(VALU_DEP_1)
	v_and_b32_e32 v136, 0x7f800000, v6
	v_cmp_ne_u32_e64 s2, 0x7f800000, v136
                                        ; implicit-def: $vgpr136
	s_delay_alu instid0(VALU_DEP_1) | instskip(NEXT) | instid1(SALU_CYCLE_1)
	s_and_saveexec_b32 s3, s2
	s_xor_b32 s2, exec_lo, s3
; %bb.583:                              ;   in Loop: Header=BB398_10 Depth=1
	v_bfe_u32 v136, v6, 16, 1
	s_delay_alu instid0(VALU_DEP_1)
	v_add3_u32 v136, v6, v136, 0x7fff
                                        ; implicit-def: $vgpr6
; %bb.584:                              ;   in Loop: Header=BB398_10 Depth=1
	s_and_not1_saveexec_b32 s3, s2
; %bb.585:                              ;   in Loop: Header=BB398_10 Depth=1
	v_and_b32_e32 v136, 0xffff, v6
	v_or_b32_e32 v137, 0x10000, v6
	s_delay_alu instid0(VALU_DEP_2) | instskip(NEXT) | instid1(VALU_DEP_1)
	v_cmp_eq_u32_e64 s2, 0, v136
	v_cndmask_b32_e64 v136, v137, v6, s2
; %bb.586:                              ;   in Loop: Header=BB398_10 Depth=1
	s_or_b32 exec_lo, exec_lo, s3
	flat_load_u16 v6, v[28:29] offset:1536
	s_mov_b32 s3, exec_lo
	s_waitcnt vmcnt(0) lgkmcnt(0)
	v_and_b32_e32 v137, 0xff, v6
	v_and_b32_e32 v138, 0xffff, v6
	v_mov_b32_e32 v6, 0
	s_delay_alu instid0(VALU_DEP_3)
	v_cmpx_ne_u16_e64 0, v137
	s_cbranch_execz .LBB398_594
; %bb.587:                              ;   in Loop: Header=BB398_10 Depth=1
	s_delay_alu instid0(VALU_DEP_3) | instskip(NEXT) | instid1(VALU_DEP_1)
	v_and_b32_e32 v6, 0xff, v138
	v_cmp_ne_u16_e64 s2, 0x80, v6
	v_bfrev_b32_e32 v6, 1
	s_delay_alu instid0(VALU_DEP_2)
	s_and_saveexec_b32 s19, s2
	s_cbranch_execz .LBB398_593
; %bb.588:                              ;   in Loop: Header=BB398_10 Depth=1
	v_and_b32_e32 v139, 0x7f, v138
	v_mov_b32_e32 v6, 0x7f800001
	s_mov_b32 s20, exec_lo
	s_delay_alu instid0(VALU_DEP_2)
	v_cmpx_ne_u32_e32 0x7f, v139
	s_cbranch_execz .LBB398_592
; %bb.589:                              ;   in Loop: Header=BB398_10 Depth=1
	v_and_b32_e32 v6, 7, v138
	v_lshrrev_b32_e32 v137, 3, v139
	s_mov_b32 s21, exec_lo
	v_cmpx_gt_u32_e32 8, v139
; %bb.590:                              ;   in Loop: Header=BB398_10 Depth=1
	s_delay_alu instid0(VALU_DEP_3) | instskip(NEXT) | instid1(VALU_DEP_1)
	v_clz_i32_u32_e32 v137, v6
	v_min_u32_e32 v137, 32, v137
	s_delay_alu instid0(VALU_DEP_1) | instskip(SKIP_1) | instid1(VALU_DEP_2)
	v_subrev_nc_u32_e32 v139, 28, v137
	v_sub_nc_u32_e32 v137, 29, v137
	v_lshlrev_b64 v[139:140], v139, v[6:7]
	s_delay_alu instid0(VALU_DEP_1)
	v_and_b32_e32 v6, 7, v139
; %bb.591:                              ;   in Loop: Header=BB398_10 Depth=1
	s_or_b32 exec_lo, exec_lo, s21
	v_lshlrev_b32_e32 v139, 24, v138
	s_delay_alu instid0(VALU_DEP_2) | instskip(SKIP_1) | instid1(VALU_DEP_3)
	v_lshlrev_b32_e32 v6, 20, v6
	v_lshl_add_u32 v137, v137, 23, 0x3c000000
	v_and_b32_e32 v139, 0x80000000, v139
	s_delay_alu instid0(VALU_DEP_1)
	v_or3_b32 v6, v6, v139, v137
.LBB398_592:                            ;   in Loop: Header=BB398_10 Depth=1
	s_or_b32 exec_lo, exec_lo, s20
.LBB398_593:                            ;   in Loop: Header=BB398_10 Depth=1
	s_delay_alu instid0(SALU_CYCLE_1)
	s_or_b32 exec_lo, exec_lo, s19
.LBB398_594:                            ;   in Loop: Header=BB398_10 Depth=1
	s_delay_alu instid0(SALU_CYCLE_1) | instskip(NEXT) | instid1(VALU_DEP_1)
	s_or_b32 exec_lo, exec_lo, s3
	v_mul_f32_e32 v6, v41, v6
	s_delay_alu instid0(VALU_DEP_1) | instskip(NEXT) | instid1(VALU_DEP_1)
	v_and_b32_e32 v137, 0x7f800000, v6
	v_cmp_ne_u32_e64 s2, 0x7f800000, v137
                                        ; implicit-def: $vgpr137
	s_delay_alu instid0(VALU_DEP_1) | instskip(NEXT) | instid1(SALU_CYCLE_1)
	s_and_saveexec_b32 s3, s2
	s_xor_b32 s2, exec_lo, s3
; %bb.595:                              ;   in Loop: Header=BB398_10 Depth=1
	v_bfe_u32 v137, v6, 16, 1
	s_delay_alu instid0(VALU_DEP_1)
	v_add3_u32 v137, v6, v137, 0x7fff
                                        ; implicit-def: $vgpr6
; %bb.596:                              ;   in Loop: Header=BB398_10 Depth=1
	s_and_not1_saveexec_b32 s3, s2
; %bb.597:                              ;   in Loop: Header=BB398_10 Depth=1
	v_and_b32_e32 v137, 0xffff, v6
	v_or_b32_e32 v139, 0x10000, v6
	s_delay_alu instid0(VALU_DEP_2) | instskip(NEXT) | instid1(VALU_DEP_1)
	v_cmp_eq_u32_e64 s2, 0, v137
	v_cndmask_b32_e64 v137, v139, v6, s2
; %bb.598:                              ;   in Loop: Header=BB398_10 Depth=1
	s_or_b32 exec_lo, exec_lo, s3
	v_lshrrev_b16 v139, 8, v138
	v_mov_b32_e32 v6, 0
	s_mov_b32 s3, exec_lo
	s_delay_alu instid0(VALU_DEP_2)
	v_cmpx_ne_u16_e64 0, v139
	s_cbranch_execz .LBB398_606
; %bb.599:                              ;   in Loop: Header=BB398_10 Depth=1
	v_bfrev_b32_e32 v6, 1
	s_mov_b32 s19, exec_lo
	v_cmpx_ne_u16_e64 0x80, v139
	s_cbranch_execz .LBB398_605
; %bb.600:                              ;   in Loop: Header=BB398_10 Depth=1
	v_and_b32_e32 v139, 0xffff, v139
	v_mov_b32_e32 v6, 0x7f800001
	s_mov_b32 s20, exec_lo
	s_delay_alu instid0(VALU_DEP_2) | instskip(NEXT) | instid1(VALU_DEP_1)
	v_and_b32_e32 v140, 0x7f, v139
	v_cmpx_ne_u32_e32 0x7f, v140
	s_cbranch_execz .LBB398_604
; %bb.601:                              ;   in Loop: Header=BB398_10 Depth=1
	v_and_b32_e32 v6, 7, v139
	v_lshrrev_b32_e32 v139, 3, v140
	s_mov_b32 s21, exec_lo
	v_cmpx_gt_u32_e32 8, v140
; %bb.602:                              ;   in Loop: Header=BB398_10 Depth=1
	s_delay_alu instid0(VALU_DEP_3) | instskip(NEXT) | instid1(VALU_DEP_1)
	v_clz_i32_u32_e32 v139, v6
	v_min_u32_e32 v139, 32, v139
	s_delay_alu instid0(VALU_DEP_1) | instskip(SKIP_1) | instid1(VALU_DEP_2)
	v_subrev_nc_u32_e32 v140, 28, v139
	v_sub_nc_u32_e32 v139, 29, v139
	v_lshlrev_b64 v[140:141], v140, v[6:7]
	s_delay_alu instid0(VALU_DEP_1)
	v_and_b32_e32 v6, 7, v140
; %bb.603:                              ;   in Loop: Header=BB398_10 Depth=1
	s_or_b32 exec_lo, exec_lo, s21
	v_lshlrev_b32_e32 v138, 16, v138
	s_delay_alu instid0(VALU_DEP_2) | instskip(SKIP_1) | instid1(VALU_DEP_3)
	v_lshlrev_b32_e32 v6, 20, v6
	v_lshl_add_u32 v139, v139, 23, 0x3c000000
	v_and_b32_e32 v138, 0x80000000, v138
	s_delay_alu instid0(VALU_DEP_1)
	v_or3_b32 v6, v6, v138, v139
.LBB398_604:                            ;   in Loop: Header=BB398_10 Depth=1
	s_or_b32 exec_lo, exec_lo, s20
.LBB398_605:                            ;   in Loop: Header=BB398_10 Depth=1
	s_delay_alu instid0(SALU_CYCLE_1)
	s_or_b32 exec_lo, exec_lo, s19
.LBB398_606:                            ;   in Loop: Header=BB398_10 Depth=1
	s_delay_alu instid0(SALU_CYCLE_1) | instskip(NEXT) | instid1(VALU_DEP_1)
	s_or_b32 exec_lo, exec_lo, s3
	v_mul_f32_e32 v6, v41, v6
	s_delay_alu instid0(VALU_DEP_1) | instskip(NEXT) | instid1(VALU_DEP_1)
	v_and_b32_e32 v138, 0x7f800000, v6
	v_cmp_ne_u32_e64 s2, 0x7f800000, v138
                                        ; implicit-def: $vgpr138
	s_delay_alu instid0(VALU_DEP_1) | instskip(NEXT) | instid1(SALU_CYCLE_1)
	s_and_saveexec_b32 s3, s2
	s_xor_b32 s2, exec_lo, s3
; %bb.607:                              ;   in Loop: Header=BB398_10 Depth=1
	v_bfe_u32 v138, v6, 16, 1
	s_delay_alu instid0(VALU_DEP_1)
	v_add3_u32 v138, v6, v138, 0x7fff
                                        ; implicit-def: $vgpr6
; %bb.608:                              ;   in Loop: Header=BB398_10 Depth=1
	s_and_not1_saveexec_b32 s3, s2
; %bb.609:                              ;   in Loop: Header=BB398_10 Depth=1
	v_and_b32_e32 v138, 0xffff, v6
	v_or_b32_e32 v139, 0x10000, v6
	s_delay_alu instid0(VALU_DEP_2) | instskip(NEXT) | instid1(VALU_DEP_1)
	v_cmp_eq_u32_e64 s2, 0, v138
	v_cndmask_b32_e64 v138, v139, v6, s2
; %bb.610:                              ;   in Loop: Header=BB398_10 Depth=1
	s_or_b32 exec_lo, exec_lo, s3
	flat_load_u16 v6, v[28:29] offset:1544
	s_mov_b32 s3, exec_lo
	s_waitcnt vmcnt(0) lgkmcnt(0)
	v_and_b32_e32 v139, 0xff, v6
	v_and_b32_e32 v140, 0xffff, v6
	v_mov_b32_e32 v6, 0
	s_delay_alu instid0(VALU_DEP_3)
	v_cmpx_ne_u16_e64 0, v139
	s_cbranch_execz .LBB398_618
; %bb.611:                              ;   in Loop: Header=BB398_10 Depth=1
	s_delay_alu instid0(VALU_DEP_3) | instskip(NEXT) | instid1(VALU_DEP_1)
	v_and_b32_e32 v6, 0xff, v140
	v_cmp_ne_u16_e64 s2, 0x80, v6
	v_bfrev_b32_e32 v6, 1
	s_delay_alu instid0(VALU_DEP_2)
	s_and_saveexec_b32 s19, s2
	s_cbranch_execz .LBB398_617
; %bb.612:                              ;   in Loop: Header=BB398_10 Depth=1
	v_and_b32_e32 v141, 0x7f, v140
	v_mov_b32_e32 v6, 0x7f800001
	s_mov_b32 s20, exec_lo
	s_delay_alu instid0(VALU_DEP_2)
	v_cmpx_ne_u32_e32 0x7f, v141
	s_cbranch_execz .LBB398_616
; %bb.613:                              ;   in Loop: Header=BB398_10 Depth=1
	v_and_b32_e32 v6, 7, v140
	v_lshrrev_b32_e32 v139, 3, v141
	s_mov_b32 s21, exec_lo
	v_cmpx_gt_u32_e32 8, v141
; %bb.614:                              ;   in Loop: Header=BB398_10 Depth=1
	s_delay_alu instid0(VALU_DEP_3) | instskip(NEXT) | instid1(VALU_DEP_1)
	v_clz_i32_u32_e32 v139, v6
	v_min_u32_e32 v139, 32, v139
	s_delay_alu instid0(VALU_DEP_1) | instskip(SKIP_1) | instid1(VALU_DEP_2)
	v_subrev_nc_u32_e32 v141, 28, v139
	v_sub_nc_u32_e32 v139, 29, v139
	v_lshlrev_b64 v[141:142], v141, v[6:7]
	s_delay_alu instid0(VALU_DEP_1)
	v_and_b32_e32 v6, 7, v141
; %bb.615:                              ;   in Loop: Header=BB398_10 Depth=1
	s_or_b32 exec_lo, exec_lo, s21
	v_lshlrev_b32_e32 v141, 24, v140
	s_delay_alu instid0(VALU_DEP_2) | instskip(SKIP_1) | instid1(VALU_DEP_3)
	v_lshlrev_b32_e32 v6, 20, v6
	v_lshl_add_u32 v139, v139, 23, 0x3c000000
	v_and_b32_e32 v141, 0x80000000, v141
	s_delay_alu instid0(VALU_DEP_1)
	v_or3_b32 v6, v6, v141, v139
.LBB398_616:                            ;   in Loop: Header=BB398_10 Depth=1
	s_or_b32 exec_lo, exec_lo, s20
.LBB398_617:                            ;   in Loop: Header=BB398_10 Depth=1
	s_delay_alu instid0(SALU_CYCLE_1)
	s_or_b32 exec_lo, exec_lo, s19
.LBB398_618:                            ;   in Loop: Header=BB398_10 Depth=1
	s_delay_alu instid0(SALU_CYCLE_1) | instskip(NEXT) | instid1(VALU_DEP_1)
	s_or_b32 exec_lo, exec_lo, s3
	v_mul_f32_e32 v6, v41, v6
	s_delay_alu instid0(VALU_DEP_1) | instskip(NEXT) | instid1(VALU_DEP_1)
	v_and_b32_e32 v139, 0x7f800000, v6
	v_cmp_ne_u32_e64 s2, 0x7f800000, v139
                                        ; implicit-def: $vgpr139
	s_delay_alu instid0(VALU_DEP_1) | instskip(NEXT) | instid1(SALU_CYCLE_1)
	s_and_saveexec_b32 s3, s2
	s_xor_b32 s2, exec_lo, s3
; %bb.619:                              ;   in Loop: Header=BB398_10 Depth=1
	v_bfe_u32 v139, v6, 16, 1
	s_delay_alu instid0(VALU_DEP_1)
	v_add3_u32 v139, v6, v139, 0x7fff
                                        ; implicit-def: $vgpr6
; %bb.620:                              ;   in Loop: Header=BB398_10 Depth=1
	s_and_not1_saveexec_b32 s3, s2
; %bb.621:                              ;   in Loop: Header=BB398_10 Depth=1
	v_and_b32_e32 v139, 0xffff, v6
	v_or_b32_e32 v141, 0x10000, v6
	s_delay_alu instid0(VALU_DEP_2) | instskip(NEXT) | instid1(VALU_DEP_1)
	v_cmp_eq_u32_e64 s2, 0, v139
	v_cndmask_b32_e64 v139, v141, v6, s2
; %bb.622:                              ;   in Loop: Header=BB398_10 Depth=1
	s_or_b32 exec_lo, exec_lo, s3
	v_lshrrev_b16 v141, 8, v140
	v_mov_b32_e32 v6, 0
	s_mov_b32 s3, exec_lo
	s_delay_alu instid0(VALU_DEP_2)
	v_cmpx_ne_u16_e64 0, v141
	s_cbranch_execz .LBB398_630
; %bb.623:                              ;   in Loop: Header=BB398_10 Depth=1
	v_bfrev_b32_e32 v6, 1
	s_mov_b32 s19, exec_lo
	v_cmpx_ne_u16_e64 0x80, v141
	s_cbranch_execz .LBB398_629
; %bb.624:                              ;   in Loop: Header=BB398_10 Depth=1
	v_and_b32_e32 v141, 0xffff, v141
	v_mov_b32_e32 v6, 0x7f800001
	s_mov_b32 s20, exec_lo
	s_delay_alu instid0(VALU_DEP_2) | instskip(NEXT) | instid1(VALU_DEP_1)
	v_and_b32_e32 v142, 0x7f, v141
	v_cmpx_ne_u32_e32 0x7f, v142
	s_cbranch_execz .LBB398_628
; %bb.625:                              ;   in Loop: Header=BB398_10 Depth=1
	v_and_b32_e32 v6, 7, v141
	v_lshrrev_b32_e32 v141, 3, v142
	s_mov_b32 s21, exec_lo
	v_cmpx_gt_u32_e32 8, v142
; %bb.626:                              ;   in Loop: Header=BB398_10 Depth=1
	s_delay_alu instid0(VALU_DEP_3) | instskip(NEXT) | instid1(VALU_DEP_1)
	v_clz_i32_u32_e32 v141, v6
	v_min_u32_e32 v141, 32, v141
	s_delay_alu instid0(VALU_DEP_1) | instskip(SKIP_1) | instid1(VALU_DEP_2)
	v_subrev_nc_u32_e32 v142, 28, v141
	v_sub_nc_u32_e32 v141, 29, v141
	v_lshlrev_b64 v[142:143], v142, v[6:7]
	s_delay_alu instid0(VALU_DEP_1)
	v_and_b32_e32 v6, 7, v142
; %bb.627:                              ;   in Loop: Header=BB398_10 Depth=1
	s_or_b32 exec_lo, exec_lo, s21
	v_lshlrev_b32_e32 v140, 16, v140
	s_delay_alu instid0(VALU_DEP_2) | instskip(SKIP_1) | instid1(VALU_DEP_3)
	v_lshlrev_b32_e32 v6, 20, v6
	v_lshl_add_u32 v141, v141, 23, 0x3c000000
	v_and_b32_e32 v140, 0x80000000, v140
	s_delay_alu instid0(VALU_DEP_1)
	v_or3_b32 v6, v6, v140, v141
.LBB398_628:                            ;   in Loop: Header=BB398_10 Depth=1
	s_or_b32 exec_lo, exec_lo, s20
.LBB398_629:                            ;   in Loop: Header=BB398_10 Depth=1
	s_delay_alu instid0(SALU_CYCLE_1)
	s_or_b32 exec_lo, exec_lo, s19
.LBB398_630:                            ;   in Loop: Header=BB398_10 Depth=1
	s_delay_alu instid0(SALU_CYCLE_1) | instskip(NEXT) | instid1(VALU_DEP_1)
	s_or_b32 exec_lo, exec_lo, s3
	v_mul_f32_e32 v6, v41, v6
	s_delay_alu instid0(VALU_DEP_1) | instskip(NEXT) | instid1(VALU_DEP_1)
	v_and_b32_e32 v140, 0x7f800000, v6
	v_cmp_ne_u32_e64 s2, 0x7f800000, v140
                                        ; implicit-def: $vgpr140
	s_delay_alu instid0(VALU_DEP_1) | instskip(NEXT) | instid1(SALU_CYCLE_1)
	s_and_saveexec_b32 s3, s2
	s_xor_b32 s2, exec_lo, s3
; %bb.631:                              ;   in Loop: Header=BB398_10 Depth=1
	v_bfe_u32 v140, v6, 16, 1
	s_delay_alu instid0(VALU_DEP_1)
	v_add3_u32 v140, v6, v140, 0x7fff
                                        ; implicit-def: $vgpr6
; %bb.632:                              ;   in Loop: Header=BB398_10 Depth=1
	s_and_not1_saveexec_b32 s3, s2
; %bb.633:                              ;   in Loop: Header=BB398_10 Depth=1
	v_and_b32_e32 v140, 0xffff, v6
	v_or_b32_e32 v141, 0x10000, v6
	s_delay_alu instid0(VALU_DEP_2) | instskip(NEXT) | instid1(VALU_DEP_1)
	v_cmp_eq_u32_e64 s2, 0, v140
	v_cndmask_b32_e64 v140, v141, v6, s2
; %bb.634:                              ;   in Loop: Header=BB398_10 Depth=1
	s_or_b32 exec_lo, exec_lo, s3
	flat_load_u16 v6, v[28:29] offset:1664
	s_mov_b32 s3, exec_lo
	s_waitcnt vmcnt(0) lgkmcnt(0)
	v_and_b32_e32 v141, 0xff, v6
	v_and_b32_e32 v142, 0xffff, v6
	v_mov_b32_e32 v6, 0
	s_delay_alu instid0(VALU_DEP_3)
	v_cmpx_ne_u16_e64 0, v141
	s_cbranch_execz .LBB398_642
; %bb.635:                              ;   in Loop: Header=BB398_10 Depth=1
	s_delay_alu instid0(VALU_DEP_3) | instskip(NEXT) | instid1(VALU_DEP_1)
	v_and_b32_e32 v6, 0xff, v142
	v_cmp_ne_u16_e64 s2, 0x80, v6
	v_bfrev_b32_e32 v6, 1
	s_delay_alu instid0(VALU_DEP_2)
	s_and_saveexec_b32 s19, s2
	s_cbranch_execz .LBB398_641
; %bb.636:                              ;   in Loop: Header=BB398_10 Depth=1
	v_and_b32_e32 v143, 0x7f, v142
	v_mov_b32_e32 v6, 0x7f800001
	s_mov_b32 s20, exec_lo
	s_delay_alu instid0(VALU_DEP_2)
	v_cmpx_ne_u32_e32 0x7f, v143
	s_cbranch_execz .LBB398_640
; %bb.637:                              ;   in Loop: Header=BB398_10 Depth=1
	v_and_b32_e32 v6, 7, v142
	v_lshrrev_b32_e32 v141, 3, v143
	s_mov_b32 s21, exec_lo
	v_cmpx_gt_u32_e32 8, v143
; %bb.638:                              ;   in Loop: Header=BB398_10 Depth=1
	s_delay_alu instid0(VALU_DEP_3) | instskip(NEXT) | instid1(VALU_DEP_1)
	v_clz_i32_u32_e32 v141, v6
	v_min_u32_e32 v141, 32, v141
	s_delay_alu instid0(VALU_DEP_1) | instskip(SKIP_1) | instid1(VALU_DEP_2)
	v_subrev_nc_u32_e32 v143, 28, v141
	v_sub_nc_u32_e32 v141, 29, v141
	v_lshlrev_b64 v[152:153], v143, v[6:7]
	s_delay_alu instid0(VALU_DEP_1)
	v_and_b32_e32 v6, 7, v152
; %bb.639:                              ;   in Loop: Header=BB398_10 Depth=1
	s_or_b32 exec_lo, exec_lo, s21
	v_lshlrev_b32_e32 v143, 24, v142
	s_delay_alu instid0(VALU_DEP_2) | instskip(SKIP_1) | instid1(VALU_DEP_3)
	v_lshlrev_b32_e32 v6, 20, v6
	v_lshl_add_u32 v141, v141, 23, 0x3c000000
	v_and_b32_e32 v143, 0x80000000, v143
	s_delay_alu instid0(VALU_DEP_1)
	v_or3_b32 v6, v6, v143, v141
.LBB398_640:                            ;   in Loop: Header=BB398_10 Depth=1
	s_or_b32 exec_lo, exec_lo, s20
.LBB398_641:                            ;   in Loop: Header=BB398_10 Depth=1
	s_delay_alu instid0(SALU_CYCLE_1)
	s_or_b32 exec_lo, exec_lo, s19
.LBB398_642:                            ;   in Loop: Header=BB398_10 Depth=1
	s_delay_alu instid0(SALU_CYCLE_1) | instskip(NEXT) | instid1(VALU_DEP_1)
	s_or_b32 exec_lo, exec_lo, s3
	v_mul_f32_e32 v6, v41, v6
	s_delay_alu instid0(VALU_DEP_1) | instskip(NEXT) | instid1(VALU_DEP_1)
	v_and_b32_e32 v141, 0x7f800000, v6
	v_cmp_ne_u32_e64 s2, 0x7f800000, v141
                                        ; implicit-def: $vgpr141
	s_delay_alu instid0(VALU_DEP_1) | instskip(NEXT) | instid1(SALU_CYCLE_1)
	s_and_saveexec_b32 s3, s2
	s_xor_b32 s2, exec_lo, s3
; %bb.643:                              ;   in Loop: Header=BB398_10 Depth=1
	v_bfe_u32 v141, v6, 16, 1
	s_delay_alu instid0(VALU_DEP_1)
	v_add3_u32 v141, v6, v141, 0x7fff
                                        ; implicit-def: $vgpr6
; %bb.644:                              ;   in Loop: Header=BB398_10 Depth=1
	s_and_not1_saveexec_b32 s3, s2
; %bb.645:                              ;   in Loop: Header=BB398_10 Depth=1
	v_and_b32_e32 v141, 0xffff, v6
	v_or_b32_e32 v143, 0x10000, v6
	s_delay_alu instid0(VALU_DEP_2) | instskip(NEXT) | instid1(VALU_DEP_1)
	v_cmp_eq_u32_e64 s2, 0, v141
	v_cndmask_b32_e64 v141, v143, v6, s2
; %bb.646:                              ;   in Loop: Header=BB398_10 Depth=1
	s_or_b32 exec_lo, exec_lo, s3
	v_lshrrev_b16 v143, 8, v142
	v_mov_b32_e32 v6, 0
	s_mov_b32 s3, exec_lo
	s_delay_alu instid0(VALU_DEP_2)
	v_cmpx_ne_u16_e64 0, v143
	s_cbranch_execz .LBB398_654
; %bb.647:                              ;   in Loop: Header=BB398_10 Depth=1
	v_bfrev_b32_e32 v6, 1
	s_mov_b32 s19, exec_lo
	v_cmpx_ne_u16_e64 0x80, v143
	s_cbranch_execz .LBB398_653
; %bb.648:                              ;   in Loop: Header=BB398_10 Depth=1
	v_and_b32_e32 v143, 0xffff, v143
	v_mov_b32_e32 v6, 0x7f800001
	s_mov_b32 s20, exec_lo
	s_delay_alu instid0(VALU_DEP_2) | instskip(NEXT) | instid1(VALU_DEP_1)
	v_and_b32_e32 v152, 0x7f, v143
	v_cmpx_ne_u32_e32 0x7f, v152
	s_cbranch_execz .LBB398_652
; %bb.649:                              ;   in Loop: Header=BB398_10 Depth=1
	v_and_b32_e32 v6, 7, v143
	v_lshrrev_b32_e32 v143, 3, v152
	s_mov_b32 s21, exec_lo
	v_cmpx_gt_u32_e32 8, v152
; %bb.650:                              ;   in Loop: Header=BB398_10 Depth=1
	s_delay_alu instid0(VALU_DEP_3) | instskip(NEXT) | instid1(VALU_DEP_1)
	v_clz_i32_u32_e32 v143, v6
	v_min_u32_e32 v143, 32, v143
	s_delay_alu instid0(VALU_DEP_1) | instskip(SKIP_1) | instid1(VALU_DEP_2)
	v_subrev_nc_u32_e32 v152, 28, v143
	v_sub_nc_u32_e32 v143, 29, v143
	v_lshlrev_b64 v[152:153], v152, v[6:7]
	s_delay_alu instid0(VALU_DEP_1)
	v_and_b32_e32 v6, 7, v152
; %bb.651:                              ;   in Loop: Header=BB398_10 Depth=1
	s_or_b32 exec_lo, exec_lo, s21
	v_lshlrev_b32_e32 v142, 16, v142
	s_delay_alu instid0(VALU_DEP_2) | instskip(SKIP_1) | instid1(VALU_DEP_3)
	v_lshlrev_b32_e32 v6, 20, v6
	v_lshl_add_u32 v143, v143, 23, 0x3c000000
	v_and_b32_e32 v142, 0x80000000, v142
	s_delay_alu instid0(VALU_DEP_1)
	v_or3_b32 v6, v6, v142, v143
.LBB398_652:                            ;   in Loop: Header=BB398_10 Depth=1
	s_or_b32 exec_lo, exec_lo, s20
.LBB398_653:                            ;   in Loop: Header=BB398_10 Depth=1
	s_delay_alu instid0(SALU_CYCLE_1)
	s_or_b32 exec_lo, exec_lo, s19
.LBB398_654:                            ;   in Loop: Header=BB398_10 Depth=1
	s_delay_alu instid0(SALU_CYCLE_1) | instskip(NEXT) | instid1(VALU_DEP_1)
	s_or_b32 exec_lo, exec_lo, s3
	v_mul_f32_e32 v6, v41, v6
	s_delay_alu instid0(VALU_DEP_1) | instskip(NEXT) | instid1(VALU_DEP_1)
	v_and_b32_e32 v142, 0x7f800000, v6
	v_cmp_ne_u32_e64 s2, 0x7f800000, v142
                                        ; implicit-def: $vgpr142
	s_delay_alu instid0(VALU_DEP_1) | instskip(NEXT) | instid1(SALU_CYCLE_1)
	s_and_saveexec_b32 s3, s2
	s_xor_b32 s2, exec_lo, s3
; %bb.655:                              ;   in Loop: Header=BB398_10 Depth=1
	v_bfe_u32 v142, v6, 16, 1
	s_delay_alu instid0(VALU_DEP_1)
	v_add3_u32 v142, v6, v142, 0x7fff
                                        ; implicit-def: $vgpr6
; %bb.656:                              ;   in Loop: Header=BB398_10 Depth=1
	s_and_not1_saveexec_b32 s3, s2
; %bb.657:                              ;   in Loop: Header=BB398_10 Depth=1
	v_and_b32_e32 v142, 0xffff, v6
	v_or_b32_e32 v143, 0x10000, v6
	s_delay_alu instid0(VALU_DEP_2) | instskip(NEXT) | instid1(VALU_DEP_1)
	v_cmp_eq_u32_e64 s2, 0, v142
	v_cndmask_b32_e64 v142, v143, v6, s2
; %bb.658:                              ;   in Loop: Header=BB398_10 Depth=1
	s_or_b32 exec_lo, exec_lo, s3
	flat_load_u16 v6, v[28:29] offset:1672
	s_mov_b32 s3, exec_lo
	s_waitcnt vmcnt(0) lgkmcnt(0)
	v_and_b32_e32 v143, 0xff, v6
	v_and_b32_e32 v152, 0xffff, v6
	v_mov_b32_e32 v6, 0
	s_delay_alu instid0(VALU_DEP_3)
	v_cmpx_ne_u16_e64 0, v143
	s_cbranch_execz .LBB398_666
; %bb.659:                              ;   in Loop: Header=BB398_10 Depth=1
	s_delay_alu instid0(VALU_DEP_3) | instskip(NEXT) | instid1(VALU_DEP_1)
	v_and_b32_e32 v6, 0xff, v152
	v_cmp_ne_u16_e64 s2, 0x80, v6
	v_bfrev_b32_e32 v6, 1
	s_delay_alu instid0(VALU_DEP_2)
	s_and_saveexec_b32 s19, s2
	s_cbranch_execz .LBB398_665
; %bb.660:                              ;   in Loop: Header=BB398_10 Depth=1
	v_and_b32_e32 v153, 0x7f, v152
	v_mov_b32_e32 v6, 0x7f800001
	s_mov_b32 s20, exec_lo
	s_delay_alu instid0(VALU_DEP_2)
	v_cmpx_ne_u32_e32 0x7f, v153
	s_cbranch_execz .LBB398_664
; %bb.661:                              ;   in Loop: Header=BB398_10 Depth=1
	v_and_b32_e32 v6, 7, v152
	v_lshrrev_b32_e32 v143, 3, v153
	s_mov_b32 s21, exec_lo
	v_cmpx_gt_u32_e32 8, v153
; %bb.662:                              ;   in Loop: Header=BB398_10 Depth=1
	s_delay_alu instid0(VALU_DEP_3) | instskip(NEXT) | instid1(VALU_DEP_1)
	v_clz_i32_u32_e32 v143, v6
	v_min_u32_e32 v143, 32, v143
	s_delay_alu instid0(VALU_DEP_1) | instskip(SKIP_1) | instid1(VALU_DEP_2)
	v_subrev_nc_u32_e32 v153, 28, v143
	v_sub_nc_u32_e32 v143, 29, v143
	v_lshlrev_b64 v[153:154], v153, v[6:7]
	s_delay_alu instid0(VALU_DEP_1)
	v_and_b32_e32 v6, 7, v153
; %bb.663:                              ;   in Loop: Header=BB398_10 Depth=1
	s_or_b32 exec_lo, exec_lo, s21
	v_lshlrev_b32_e32 v153, 24, v152
	s_delay_alu instid0(VALU_DEP_2) | instskip(SKIP_1) | instid1(VALU_DEP_3)
	v_lshlrev_b32_e32 v6, 20, v6
	v_lshl_add_u32 v143, v143, 23, 0x3c000000
	v_and_b32_e32 v153, 0x80000000, v153
	s_delay_alu instid0(VALU_DEP_1)
	v_or3_b32 v6, v6, v153, v143
.LBB398_664:                            ;   in Loop: Header=BB398_10 Depth=1
	s_or_b32 exec_lo, exec_lo, s20
.LBB398_665:                            ;   in Loop: Header=BB398_10 Depth=1
	s_delay_alu instid0(SALU_CYCLE_1)
	s_or_b32 exec_lo, exec_lo, s19
.LBB398_666:                            ;   in Loop: Header=BB398_10 Depth=1
	s_delay_alu instid0(SALU_CYCLE_1) | instskip(NEXT) | instid1(VALU_DEP_1)
	s_or_b32 exec_lo, exec_lo, s3
	v_mul_f32_e32 v6, v41, v6
	s_delay_alu instid0(VALU_DEP_1) | instskip(NEXT) | instid1(VALU_DEP_1)
	v_and_b32_e32 v143, 0x7f800000, v6
	v_cmp_ne_u32_e64 s2, 0x7f800000, v143
                                        ; implicit-def: $vgpr143
	s_delay_alu instid0(VALU_DEP_1) | instskip(NEXT) | instid1(SALU_CYCLE_1)
	s_and_saveexec_b32 s3, s2
	s_xor_b32 s2, exec_lo, s3
; %bb.667:                              ;   in Loop: Header=BB398_10 Depth=1
	v_bfe_u32 v143, v6, 16, 1
	s_delay_alu instid0(VALU_DEP_1)
	v_add3_u32 v143, v6, v143, 0x7fff
                                        ; implicit-def: $vgpr6
; %bb.668:                              ;   in Loop: Header=BB398_10 Depth=1
	s_and_not1_saveexec_b32 s3, s2
; %bb.669:                              ;   in Loop: Header=BB398_10 Depth=1
	v_and_b32_e32 v143, 0xffff, v6
	v_or_b32_e32 v153, 0x10000, v6
	s_delay_alu instid0(VALU_DEP_2) | instskip(NEXT) | instid1(VALU_DEP_1)
	v_cmp_eq_u32_e64 s2, 0, v143
	v_cndmask_b32_e64 v143, v153, v6, s2
; %bb.670:                              ;   in Loop: Header=BB398_10 Depth=1
	s_or_b32 exec_lo, exec_lo, s3
	v_lshrrev_b16 v153, 8, v152
	v_mov_b32_e32 v6, 0
	s_mov_b32 s3, exec_lo
	s_delay_alu instid0(VALU_DEP_2)
	v_cmpx_ne_u16_e64 0, v153
	s_cbranch_execz .LBB398_678
; %bb.671:                              ;   in Loop: Header=BB398_10 Depth=1
	v_bfrev_b32_e32 v6, 1
	s_mov_b32 s19, exec_lo
	v_cmpx_ne_u16_e64 0x80, v153
	s_cbranch_execz .LBB398_677
; %bb.672:                              ;   in Loop: Header=BB398_10 Depth=1
	v_and_b32_e32 v153, 0xffff, v153
	v_mov_b32_e32 v6, 0x7f800001
	s_mov_b32 s20, exec_lo
	s_delay_alu instid0(VALU_DEP_2) | instskip(NEXT) | instid1(VALU_DEP_1)
	v_and_b32_e32 v154, 0x7f, v153
	v_cmpx_ne_u32_e32 0x7f, v154
	s_cbranch_execz .LBB398_676
; %bb.673:                              ;   in Loop: Header=BB398_10 Depth=1
	v_and_b32_e32 v6, 7, v153
	v_lshrrev_b32_e32 v153, 3, v154
	s_mov_b32 s21, exec_lo
	v_cmpx_gt_u32_e32 8, v154
; %bb.674:                              ;   in Loop: Header=BB398_10 Depth=1
	s_delay_alu instid0(VALU_DEP_3) | instskip(NEXT) | instid1(VALU_DEP_1)
	v_clz_i32_u32_e32 v153, v6
	v_min_u32_e32 v153, 32, v153
	s_delay_alu instid0(VALU_DEP_1) | instskip(SKIP_1) | instid1(VALU_DEP_2)
	v_subrev_nc_u32_e32 v154, 28, v153
	v_sub_nc_u32_e32 v153, 29, v153
	v_lshlrev_b64 v[154:155], v154, v[6:7]
	s_delay_alu instid0(VALU_DEP_1)
	v_and_b32_e32 v6, 7, v154
; %bb.675:                              ;   in Loop: Header=BB398_10 Depth=1
	s_or_b32 exec_lo, exec_lo, s21
	v_lshlrev_b32_e32 v152, 16, v152
	s_delay_alu instid0(VALU_DEP_2) | instskip(SKIP_1) | instid1(VALU_DEP_3)
	v_lshlrev_b32_e32 v6, 20, v6
	v_lshl_add_u32 v153, v153, 23, 0x3c000000
	v_and_b32_e32 v152, 0x80000000, v152
	s_delay_alu instid0(VALU_DEP_1)
	v_or3_b32 v6, v6, v152, v153
.LBB398_676:                            ;   in Loop: Header=BB398_10 Depth=1
	s_or_b32 exec_lo, exec_lo, s20
.LBB398_677:                            ;   in Loop: Header=BB398_10 Depth=1
	s_delay_alu instid0(SALU_CYCLE_1)
	s_or_b32 exec_lo, exec_lo, s19
.LBB398_678:                            ;   in Loop: Header=BB398_10 Depth=1
	s_delay_alu instid0(SALU_CYCLE_1) | instskip(NEXT) | instid1(VALU_DEP_1)
	s_or_b32 exec_lo, exec_lo, s3
	v_mul_f32_e32 v6, v41, v6
	s_delay_alu instid0(VALU_DEP_1) | instskip(NEXT) | instid1(VALU_DEP_1)
	v_and_b32_e32 v152, 0x7f800000, v6
	v_cmp_ne_u32_e64 s2, 0x7f800000, v152
                                        ; implicit-def: $vgpr152
	s_delay_alu instid0(VALU_DEP_1) | instskip(NEXT) | instid1(SALU_CYCLE_1)
	s_and_saveexec_b32 s3, s2
	s_xor_b32 s2, exec_lo, s3
; %bb.679:                              ;   in Loop: Header=BB398_10 Depth=1
	v_bfe_u32 v152, v6, 16, 1
	s_delay_alu instid0(VALU_DEP_1)
	v_add3_u32 v152, v6, v152, 0x7fff
                                        ; implicit-def: $vgpr6
; %bb.680:                              ;   in Loop: Header=BB398_10 Depth=1
	s_and_not1_saveexec_b32 s3, s2
; %bb.681:                              ;   in Loop: Header=BB398_10 Depth=1
	v_and_b32_e32 v152, 0xffff, v6
	v_or_b32_e32 v153, 0x10000, v6
	s_delay_alu instid0(VALU_DEP_2) | instskip(NEXT) | instid1(VALU_DEP_1)
	v_cmp_eq_u32_e64 s2, 0, v152
	v_cndmask_b32_e64 v152, v153, v6, s2
; %bb.682:                              ;   in Loop: Header=BB398_10 Depth=1
	s_or_b32 exec_lo, exec_lo, s3
	flat_load_u16 v6, v[28:29] offset:1792
	s_mov_b32 s3, exec_lo
	s_waitcnt vmcnt(0) lgkmcnt(0)
	v_and_b32_e32 v153, 0xff, v6
	v_and_b32_e32 v154, 0xffff, v6
	v_mov_b32_e32 v6, 0
	s_delay_alu instid0(VALU_DEP_3)
	v_cmpx_ne_u16_e64 0, v153
	s_cbranch_execz .LBB398_690
; %bb.683:                              ;   in Loop: Header=BB398_10 Depth=1
	s_delay_alu instid0(VALU_DEP_3) | instskip(NEXT) | instid1(VALU_DEP_1)
	v_and_b32_e32 v6, 0xff, v154
	v_cmp_ne_u16_e64 s2, 0x80, v6
	v_bfrev_b32_e32 v6, 1
	s_delay_alu instid0(VALU_DEP_2)
	s_and_saveexec_b32 s19, s2
	s_cbranch_execz .LBB398_689
; %bb.684:                              ;   in Loop: Header=BB398_10 Depth=1
	v_and_b32_e32 v155, 0x7f, v154
	v_mov_b32_e32 v6, 0x7f800001
	s_mov_b32 s20, exec_lo
	s_delay_alu instid0(VALU_DEP_2)
	v_cmpx_ne_u32_e32 0x7f, v155
	s_cbranch_execz .LBB398_688
; %bb.685:                              ;   in Loop: Header=BB398_10 Depth=1
	v_and_b32_e32 v6, 7, v154
	v_lshrrev_b32_e32 v153, 3, v155
	s_mov_b32 s21, exec_lo
	v_cmpx_gt_u32_e32 8, v155
; %bb.686:                              ;   in Loop: Header=BB398_10 Depth=1
	s_delay_alu instid0(VALU_DEP_3) | instskip(NEXT) | instid1(VALU_DEP_1)
	v_clz_i32_u32_e32 v153, v6
	v_min_u32_e32 v153, 32, v153
	s_delay_alu instid0(VALU_DEP_1) | instskip(SKIP_1) | instid1(VALU_DEP_2)
	v_subrev_nc_u32_e32 v155, 28, v153
	v_sub_nc_u32_e32 v153, 29, v153
	v_lshlrev_b64 v[155:156], v155, v[6:7]
	s_delay_alu instid0(VALU_DEP_1)
	v_and_b32_e32 v6, 7, v155
; %bb.687:                              ;   in Loop: Header=BB398_10 Depth=1
	s_or_b32 exec_lo, exec_lo, s21
	v_lshlrev_b32_e32 v155, 24, v154
	s_delay_alu instid0(VALU_DEP_2) | instskip(SKIP_1) | instid1(VALU_DEP_3)
	v_lshlrev_b32_e32 v6, 20, v6
	v_lshl_add_u32 v153, v153, 23, 0x3c000000
	v_and_b32_e32 v155, 0x80000000, v155
	s_delay_alu instid0(VALU_DEP_1)
	v_or3_b32 v6, v6, v155, v153
.LBB398_688:                            ;   in Loop: Header=BB398_10 Depth=1
	s_or_b32 exec_lo, exec_lo, s20
.LBB398_689:                            ;   in Loop: Header=BB398_10 Depth=1
	s_delay_alu instid0(SALU_CYCLE_1)
	s_or_b32 exec_lo, exec_lo, s19
.LBB398_690:                            ;   in Loop: Header=BB398_10 Depth=1
	s_delay_alu instid0(SALU_CYCLE_1) | instskip(NEXT) | instid1(VALU_DEP_1)
	s_or_b32 exec_lo, exec_lo, s3
	v_mul_f32_e32 v6, v41, v6
	s_delay_alu instid0(VALU_DEP_1) | instskip(NEXT) | instid1(VALU_DEP_1)
	v_and_b32_e32 v153, 0x7f800000, v6
	v_cmp_ne_u32_e64 s2, 0x7f800000, v153
                                        ; implicit-def: $vgpr153
	s_delay_alu instid0(VALU_DEP_1) | instskip(NEXT) | instid1(SALU_CYCLE_1)
	s_and_saveexec_b32 s3, s2
	s_xor_b32 s2, exec_lo, s3
; %bb.691:                              ;   in Loop: Header=BB398_10 Depth=1
	v_bfe_u32 v153, v6, 16, 1
	s_delay_alu instid0(VALU_DEP_1)
	v_add3_u32 v153, v6, v153, 0x7fff
                                        ; implicit-def: $vgpr6
; %bb.692:                              ;   in Loop: Header=BB398_10 Depth=1
	s_and_not1_saveexec_b32 s3, s2
; %bb.693:                              ;   in Loop: Header=BB398_10 Depth=1
	v_and_b32_e32 v153, 0xffff, v6
	v_or_b32_e32 v155, 0x10000, v6
	s_delay_alu instid0(VALU_DEP_2) | instskip(NEXT) | instid1(VALU_DEP_1)
	v_cmp_eq_u32_e64 s2, 0, v153
	v_cndmask_b32_e64 v153, v155, v6, s2
; %bb.694:                              ;   in Loop: Header=BB398_10 Depth=1
	s_or_b32 exec_lo, exec_lo, s3
	v_lshrrev_b16 v155, 8, v154
	v_mov_b32_e32 v6, 0
	s_mov_b32 s3, exec_lo
	s_delay_alu instid0(VALU_DEP_2)
	v_cmpx_ne_u16_e64 0, v155
	s_cbranch_execz .LBB398_702
; %bb.695:                              ;   in Loop: Header=BB398_10 Depth=1
	v_bfrev_b32_e32 v6, 1
	s_mov_b32 s19, exec_lo
	v_cmpx_ne_u16_e64 0x80, v155
	s_cbranch_execz .LBB398_701
; %bb.696:                              ;   in Loop: Header=BB398_10 Depth=1
	v_and_b32_e32 v155, 0xffff, v155
	v_mov_b32_e32 v6, 0x7f800001
	s_mov_b32 s20, exec_lo
	s_delay_alu instid0(VALU_DEP_2) | instskip(NEXT) | instid1(VALU_DEP_1)
	v_and_b32_e32 v156, 0x7f, v155
	v_cmpx_ne_u32_e32 0x7f, v156
	s_cbranch_execz .LBB398_700
; %bb.697:                              ;   in Loop: Header=BB398_10 Depth=1
	v_and_b32_e32 v6, 7, v155
	v_lshrrev_b32_e32 v155, 3, v156
	s_mov_b32 s21, exec_lo
	v_cmpx_gt_u32_e32 8, v156
; %bb.698:                              ;   in Loop: Header=BB398_10 Depth=1
	s_delay_alu instid0(VALU_DEP_3) | instskip(NEXT) | instid1(VALU_DEP_1)
	v_clz_i32_u32_e32 v155, v6
	v_min_u32_e32 v155, 32, v155
	s_delay_alu instid0(VALU_DEP_1) | instskip(SKIP_1) | instid1(VALU_DEP_2)
	v_subrev_nc_u32_e32 v156, 28, v155
	v_sub_nc_u32_e32 v155, 29, v155
	v_lshlrev_b64 v[156:157], v156, v[6:7]
	s_delay_alu instid0(VALU_DEP_1)
	v_and_b32_e32 v6, 7, v156
; %bb.699:                              ;   in Loop: Header=BB398_10 Depth=1
	s_or_b32 exec_lo, exec_lo, s21
	v_lshlrev_b32_e32 v154, 16, v154
	s_delay_alu instid0(VALU_DEP_2) | instskip(SKIP_1) | instid1(VALU_DEP_3)
	v_lshlrev_b32_e32 v6, 20, v6
	v_lshl_add_u32 v155, v155, 23, 0x3c000000
	v_and_b32_e32 v154, 0x80000000, v154
	s_delay_alu instid0(VALU_DEP_1)
	v_or3_b32 v6, v6, v154, v155
.LBB398_700:                            ;   in Loop: Header=BB398_10 Depth=1
	s_or_b32 exec_lo, exec_lo, s20
.LBB398_701:                            ;   in Loop: Header=BB398_10 Depth=1
	s_delay_alu instid0(SALU_CYCLE_1)
	s_or_b32 exec_lo, exec_lo, s19
.LBB398_702:                            ;   in Loop: Header=BB398_10 Depth=1
	s_delay_alu instid0(SALU_CYCLE_1) | instskip(NEXT) | instid1(VALU_DEP_1)
	s_or_b32 exec_lo, exec_lo, s3
	v_mul_f32_e32 v6, v41, v6
	s_delay_alu instid0(VALU_DEP_1) | instskip(NEXT) | instid1(VALU_DEP_1)
	v_and_b32_e32 v154, 0x7f800000, v6
	v_cmp_ne_u32_e64 s2, 0x7f800000, v154
                                        ; implicit-def: $vgpr154
	s_delay_alu instid0(VALU_DEP_1) | instskip(NEXT) | instid1(SALU_CYCLE_1)
	s_and_saveexec_b32 s3, s2
	s_xor_b32 s2, exec_lo, s3
; %bb.703:                              ;   in Loop: Header=BB398_10 Depth=1
	v_bfe_u32 v154, v6, 16, 1
	s_delay_alu instid0(VALU_DEP_1)
	v_add3_u32 v154, v6, v154, 0x7fff
                                        ; implicit-def: $vgpr6
; %bb.704:                              ;   in Loop: Header=BB398_10 Depth=1
	s_and_not1_saveexec_b32 s3, s2
; %bb.705:                              ;   in Loop: Header=BB398_10 Depth=1
	v_and_b32_e32 v154, 0xffff, v6
	v_or_b32_e32 v155, 0x10000, v6
	s_delay_alu instid0(VALU_DEP_2) | instskip(NEXT) | instid1(VALU_DEP_1)
	v_cmp_eq_u32_e64 s2, 0, v154
	v_cndmask_b32_e64 v154, v155, v6, s2
; %bb.706:                              ;   in Loop: Header=BB398_10 Depth=1
	s_or_b32 exec_lo, exec_lo, s3
	flat_load_u16 v6, v[28:29] offset:1800
	s_mov_b32 s3, exec_lo
	s_waitcnt vmcnt(0) lgkmcnt(0)
	v_and_b32_e32 v155, 0xff, v6
	v_and_b32_e32 v156, 0xffff, v6
	v_mov_b32_e32 v6, 0
	s_delay_alu instid0(VALU_DEP_3)
	v_cmpx_ne_u16_e64 0, v155
	s_cbranch_execz .LBB398_714
; %bb.707:                              ;   in Loop: Header=BB398_10 Depth=1
	s_delay_alu instid0(VALU_DEP_3) | instskip(NEXT) | instid1(VALU_DEP_1)
	v_and_b32_e32 v6, 0xff, v156
	v_cmp_ne_u16_e64 s2, 0x80, v6
	v_bfrev_b32_e32 v6, 1
	s_delay_alu instid0(VALU_DEP_2)
	s_and_saveexec_b32 s19, s2
	s_cbranch_execz .LBB398_713
; %bb.708:                              ;   in Loop: Header=BB398_10 Depth=1
	v_and_b32_e32 v157, 0x7f, v156
	v_mov_b32_e32 v6, 0x7f800001
	s_mov_b32 s20, exec_lo
	s_delay_alu instid0(VALU_DEP_2)
	v_cmpx_ne_u32_e32 0x7f, v157
	s_cbranch_execz .LBB398_712
; %bb.709:                              ;   in Loop: Header=BB398_10 Depth=1
	v_and_b32_e32 v6, 7, v156
	v_lshrrev_b32_e32 v155, 3, v157
	s_mov_b32 s21, exec_lo
	v_cmpx_gt_u32_e32 8, v157
; %bb.710:                              ;   in Loop: Header=BB398_10 Depth=1
	s_delay_alu instid0(VALU_DEP_3) | instskip(NEXT) | instid1(VALU_DEP_1)
	v_clz_i32_u32_e32 v155, v6
	v_min_u32_e32 v155, 32, v155
	s_delay_alu instid0(VALU_DEP_1) | instskip(SKIP_1) | instid1(VALU_DEP_2)
	v_subrev_nc_u32_e32 v157, 28, v155
	v_sub_nc_u32_e32 v155, 29, v155
	v_lshlrev_b64 v[157:158], v157, v[6:7]
	s_delay_alu instid0(VALU_DEP_1)
	v_and_b32_e32 v6, 7, v157
; %bb.711:                              ;   in Loop: Header=BB398_10 Depth=1
	s_or_b32 exec_lo, exec_lo, s21
	v_lshlrev_b32_e32 v157, 24, v156
	s_delay_alu instid0(VALU_DEP_2) | instskip(SKIP_1) | instid1(VALU_DEP_3)
	v_lshlrev_b32_e32 v6, 20, v6
	v_lshl_add_u32 v155, v155, 23, 0x3c000000
	v_and_b32_e32 v157, 0x80000000, v157
	s_delay_alu instid0(VALU_DEP_1)
	v_or3_b32 v6, v6, v157, v155
.LBB398_712:                            ;   in Loop: Header=BB398_10 Depth=1
	s_or_b32 exec_lo, exec_lo, s20
.LBB398_713:                            ;   in Loop: Header=BB398_10 Depth=1
	s_delay_alu instid0(SALU_CYCLE_1)
	s_or_b32 exec_lo, exec_lo, s19
.LBB398_714:                            ;   in Loop: Header=BB398_10 Depth=1
	s_delay_alu instid0(SALU_CYCLE_1) | instskip(NEXT) | instid1(VALU_DEP_1)
	s_or_b32 exec_lo, exec_lo, s3
	v_mul_f32_e32 v6, v41, v6
	s_delay_alu instid0(VALU_DEP_1) | instskip(NEXT) | instid1(VALU_DEP_1)
	v_and_b32_e32 v155, 0x7f800000, v6
	v_cmp_ne_u32_e64 s2, 0x7f800000, v155
                                        ; implicit-def: $vgpr155
	s_delay_alu instid0(VALU_DEP_1) | instskip(NEXT) | instid1(SALU_CYCLE_1)
	s_and_saveexec_b32 s3, s2
	s_xor_b32 s2, exec_lo, s3
; %bb.715:                              ;   in Loop: Header=BB398_10 Depth=1
	v_bfe_u32 v155, v6, 16, 1
	s_delay_alu instid0(VALU_DEP_1)
	v_add3_u32 v155, v6, v155, 0x7fff
                                        ; implicit-def: $vgpr6
; %bb.716:                              ;   in Loop: Header=BB398_10 Depth=1
	s_and_not1_saveexec_b32 s3, s2
; %bb.717:                              ;   in Loop: Header=BB398_10 Depth=1
	v_and_b32_e32 v155, 0xffff, v6
	v_or_b32_e32 v157, 0x10000, v6
	s_delay_alu instid0(VALU_DEP_2) | instskip(NEXT) | instid1(VALU_DEP_1)
	v_cmp_eq_u32_e64 s2, 0, v155
	v_cndmask_b32_e64 v155, v157, v6, s2
; %bb.718:                              ;   in Loop: Header=BB398_10 Depth=1
	s_or_b32 exec_lo, exec_lo, s3
	v_lshrrev_b16 v157, 8, v156
	v_mov_b32_e32 v6, 0
	s_mov_b32 s3, exec_lo
	s_delay_alu instid0(VALU_DEP_2)
	v_cmpx_ne_u16_e64 0, v157
	s_cbranch_execz .LBB398_726
; %bb.719:                              ;   in Loop: Header=BB398_10 Depth=1
	v_bfrev_b32_e32 v6, 1
	s_mov_b32 s19, exec_lo
	v_cmpx_ne_u16_e64 0x80, v157
	s_cbranch_execz .LBB398_725
; %bb.720:                              ;   in Loop: Header=BB398_10 Depth=1
	v_and_b32_e32 v157, 0xffff, v157
	v_mov_b32_e32 v6, 0x7f800001
	s_mov_b32 s20, exec_lo
	s_delay_alu instid0(VALU_DEP_2) | instskip(NEXT) | instid1(VALU_DEP_1)
	v_and_b32_e32 v158, 0x7f, v157
	v_cmpx_ne_u32_e32 0x7f, v158
	s_cbranch_execz .LBB398_724
; %bb.721:                              ;   in Loop: Header=BB398_10 Depth=1
	v_and_b32_e32 v6, 7, v157
	v_lshrrev_b32_e32 v157, 3, v158
	s_mov_b32 s21, exec_lo
	v_cmpx_gt_u32_e32 8, v158
; %bb.722:                              ;   in Loop: Header=BB398_10 Depth=1
	s_delay_alu instid0(VALU_DEP_3) | instskip(NEXT) | instid1(VALU_DEP_1)
	v_clz_i32_u32_e32 v157, v6
	v_min_u32_e32 v157, 32, v157
	s_delay_alu instid0(VALU_DEP_1) | instskip(SKIP_1) | instid1(VALU_DEP_2)
	v_subrev_nc_u32_e32 v158, 28, v157
	v_sub_nc_u32_e32 v157, 29, v157
	v_lshlrev_b64 v[158:159], v158, v[6:7]
	s_delay_alu instid0(VALU_DEP_1)
	v_and_b32_e32 v6, 7, v158
; %bb.723:                              ;   in Loop: Header=BB398_10 Depth=1
	s_or_b32 exec_lo, exec_lo, s21
	v_lshlrev_b32_e32 v156, 16, v156
	s_delay_alu instid0(VALU_DEP_2) | instskip(SKIP_1) | instid1(VALU_DEP_3)
	v_lshlrev_b32_e32 v6, 20, v6
	v_lshl_add_u32 v157, v157, 23, 0x3c000000
	v_and_b32_e32 v156, 0x80000000, v156
	s_delay_alu instid0(VALU_DEP_1)
	v_or3_b32 v6, v6, v156, v157
.LBB398_724:                            ;   in Loop: Header=BB398_10 Depth=1
	s_or_b32 exec_lo, exec_lo, s20
.LBB398_725:                            ;   in Loop: Header=BB398_10 Depth=1
	s_delay_alu instid0(SALU_CYCLE_1)
	s_or_b32 exec_lo, exec_lo, s19
.LBB398_726:                            ;   in Loop: Header=BB398_10 Depth=1
	s_delay_alu instid0(SALU_CYCLE_1) | instskip(NEXT) | instid1(VALU_DEP_1)
	s_or_b32 exec_lo, exec_lo, s3
	v_mul_f32_e32 v6, v41, v6
	s_delay_alu instid0(VALU_DEP_1) | instskip(NEXT) | instid1(VALU_DEP_1)
	v_and_b32_e32 v156, 0x7f800000, v6
	v_cmp_ne_u32_e64 s2, 0x7f800000, v156
                                        ; implicit-def: $vgpr156
	s_delay_alu instid0(VALU_DEP_1) | instskip(NEXT) | instid1(SALU_CYCLE_1)
	s_and_saveexec_b32 s3, s2
	s_xor_b32 s2, exec_lo, s3
; %bb.727:                              ;   in Loop: Header=BB398_10 Depth=1
	v_bfe_u32 v156, v6, 16, 1
	s_delay_alu instid0(VALU_DEP_1)
	v_add3_u32 v156, v6, v156, 0x7fff
                                        ; implicit-def: $vgpr6
; %bb.728:                              ;   in Loop: Header=BB398_10 Depth=1
	s_and_not1_saveexec_b32 s3, s2
; %bb.729:                              ;   in Loop: Header=BB398_10 Depth=1
	v_and_b32_e32 v156, 0xffff, v6
	v_or_b32_e32 v157, 0x10000, v6
	s_delay_alu instid0(VALU_DEP_2) | instskip(NEXT) | instid1(VALU_DEP_1)
	v_cmp_eq_u32_e64 s2, 0, v156
	v_cndmask_b32_e64 v156, v157, v6, s2
; %bb.730:                              ;   in Loop: Header=BB398_10 Depth=1
	s_or_b32 exec_lo, exec_lo, s3
	flat_load_u16 v6, v[28:29] offset:1920
	s_mov_b32 s3, exec_lo
	s_waitcnt vmcnt(0) lgkmcnt(0)
	v_and_b32_e32 v157, 0xff, v6
	v_and_b32_e32 v158, 0xffff, v6
	v_mov_b32_e32 v6, 0
	s_delay_alu instid0(VALU_DEP_3)
	v_cmpx_ne_u16_e64 0, v157
	s_cbranch_execz .LBB398_738
; %bb.731:                              ;   in Loop: Header=BB398_10 Depth=1
	s_delay_alu instid0(VALU_DEP_3) | instskip(NEXT) | instid1(VALU_DEP_1)
	v_and_b32_e32 v6, 0xff, v158
	v_cmp_ne_u16_e64 s2, 0x80, v6
	v_bfrev_b32_e32 v6, 1
	s_delay_alu instid0(VALU_DEP_2)
	s_and_saveexec_b32 s19, s2
	s_cbranch_execz .LBB398_737
; %bb.732:                              ;   in Loop: Header=BB398_10 Depth=1
	v_and_b32_e32 v159, 0x7f, v158
	v_mov_b32_e32 v6, 0x7f800001
	s_mov_b32 s20, exec_lo
	s_delay_alu instid0(VALU_DEP_2)
	v_cmpx_ne_u32_e32 0x7f, v159
	s_cbranch_execz .LBB398_736
; %bb.733:                              ;   in Loop: Header=BB398_10 Depth=1
	v_and_b32_e32 v6, 7, v158
	v_lshrrev_b32_e32 v157, 3, v159
	s_mov_b32 s21, exec_lo
	v_cmpx_gt_u32_e32 8, v159
; %bb.734:                              ;   in Loop: Header=BB398_10 Depth=1
	s_delay_alu instid0(VALU_DEP_3) | instskip(NEXT) | instid1(VALU_DEP_1)
	v_clz_i32_u32_e32 v157, v6
	v_min_u32_e32 v157, 32, v157
	s_delay_alu instid0(VALU_DEP_1) | instskip(SKIP_1) | instid1(VALU_DEP_2)
	v_subrev_nc_u32_e32 v159, 28, v157
	v_sub_nc_u32_e32 v157, 29, v157
	v_lshlrev_b64 v[168:169], v159, v[6:7]
	s_delay_alu instid0(VALU_DEP_1)
	v_and_b32_e32 v6, 7, v168
; %bb.735:                              ;   in Loop: Header=BB398_10 Depth=1
	s_or_b32 exec_lo, exec_lo, s21
	v_lshlrev_b32_e32 v159, 24, v158
	s_delay_alu instid0(VALU_DEP_2) | instskip(SKIP_1) | instid1(VALU_DEP_3)
	v_lshlrev_b32_e32 v6, 20, v6
	v_lshl_add_u32 v157, v157, 23, 0x3c000000
	v_and_b32_e32 v159, 0x80000000, v159
	s_delay_alu instid0(VALU_DEP_1)
	v_or3_b32 v6, v6, v159, v157
.LBB398_736:                            ;   in Loop: Header=BB398_10 Depth=1
	s_or_b32 exec_lo, exec_lo, s20
.LBB398_737:                            ;   in Loop: Header=BB398_10 Depth=1
	s_delay_alu instid0(SALU_CYCLE_1)
	s_or_b32 exec_lo, exec_lo, s19
.LBB398_738:                            ;   in Loop: Header=BB398_10 Depth=1
	s_delay_alu instid0(SALU_CYCLE_1) | instskip(NEXT) | instid1(VALU_DEP_1)
	s_or_b32 exec_lo, exec_lo, s3
	v_mul_f32_e32 v6, v41, v6
	s_delay_alu instid0(VALU_DEP_1) | instskip(NEXT) | instid1(VALU_DEP_1)
	v_and_b32_e32 v157, 0x7f800000, v6
	v_cmp_ne_u32_e64 s2, 0x7f800000, v157
                                        ; implicit-def: $vgpr157
	s_delay_alu instid0(VALU_DEP_1) | instskip(NEXT) | instid1(SALU_CYCLE_1)
	s_and_saveexec_b32 s3, s2
	s_xor_b32 s2, exec_lo, s3
; %bb.739:                              ;   in Loop: Header=BB398_10 Depth=1
	v_bfe_u32 v157, v6, 16, 1
	s_delay_alu instid0(VALU_DEP_1)
	v_add3_u32 v157, v6, v157, 0x7fff
                                        ; implicit-def: $vgpr6
; %bb.740:                              ;   in Loop: Header=BB398_10 Depth=1
	s_and_not1_saveexec_b32 s3, s2
; %bb.741:                              ;   in Loop: Header=BB398_10 Depth=1
	v_and_b32_e32 v157, 0xffff, v6
	v_or_b32_e32 v159, 0x10000, v6
	s_delay_alu instid0(VALU_DEP_2) | instskip(NEXT) | instid1(VALU_DEP_1)
	v_cmp_eq_u32_e64 s2, 0, v157
	v_cndmask_b32_e64 v157, v159, v6, s2
; %bb.742:                              ;   in Loop: Header=BB398_10 Depth=1
	s_or_b32 exec_lo, exec_lo, s3
	v_lshrrev_b16 v159, 8, v158
	v_mov_b32_e32 v6, 0
	s_mov_b32 s3, exec_lo
	s_delay_alu instid0(VALU_DEP_2)
	v_cmpx_ne_u16_e64 0, v159
	s_cbranch_execz .LBB398_750
; %bb.743:                              ;   in Loop: Header=BB398_10 Depth=1
	v_bfrev_b32_e32 v6, 1
	s_mov_b32 s19, exec_lo
	v_cmpx_ne_u16_e64 0x80, v159
	s_cbranch_execz .LBB398_749
; %bb.744:                              ;   in Loop: Header=BB398_10 Depth=1
	v_and_b32_e32 v159, 0xffff, v159
	v_mov_b32_e32 v6, 0x7f800001
	s_mov_b32 s20, exec_lo
	s_delay_alu instid0(VALU_DEP_2) | instskip(NEXT) | instid1(VALU_DEP_1)
	v_and_b32_e32 v168, 0x7f, v159
	v_cmpx_ne_u32_e32 0x7f, v168
	s_cbranch_execz .LBB398_748
; %bb.745:                              ;   in Loop: Header=BB398_10 Depth=1
	v_and_b32_e32 v6, 7, v159
	v_lshrrev_b32_e32 v159, 3, v168
	s_mov_b32 s21, exec_lo
	v_cmpx_gt_u32_e32 8, v168
; %bb.746:                              ;   in Loop: Header=BB398_10 Depth=1
	s_delay_alu instid0(VALU_DEP_3) | instskip(NEXT) | instid1(VALU_DEP_1)
	v_clz_i32_u32_e32 v159, v6
	v_min_u32_e32 v159, 32, v159
	s_delay_alu instid0(VALU_DEP_1) | instskip(SKIP_1) | instid1(VALU_DEP_2)
	v_subrev_nc_u32_e32 v168, 28, v159
	v_sub_nc_u32_e32 v159, 29, v159
	v_lshlrev_b64 v[168:169], v168, v[6:7]
	s_delay_alu instid0(VALU_DEP_1)
	v_and_b32_e32 v6, 7, v168
; %bb.747:                              ;   in Loop: Header=BB398_10 Depth=1
	s_or_b32 exec_lo, exec_lo, s21
	v_lshlrev_b32_e32 v158, 16, v158
	s_delay_alu instid0(VALU_DEP_2) | instskip(SKIP_1) | instid1(VALU_DEP_3)
	v_lshlrev_b32_e32 v6, 20, v6
	v_lshl_add_u32 v159, v159, 23, 0x3c000000
	v_and_b32_e32 v158, 0x80000000, v158
	s_delay_alu instid0(VALU_DEP_1)
	v_or3_b32 v6, v6, v158, v159
.LBB398_748:                            ;   in Loop: Header=BB398_10 Depth=1
	s_or_b32 exec_lo, exec_lo, s20
.LBB398_749:                            ;   in Loop: Header=BB398_10 Depth=1
	s_delay_alu instid0(SALU_CYCLE_1)
	s_or_b32 exec_lo, exec_lo, s19
.LBB398_750:                            ;   in Loop: Header=BB398_10 Depth=1
	s_delay_alu instid0(SALU_CYCLE_1) | instskip(NEXT) | instid1(VALU_DEP_1)
	s_or_b32 exec_lo, exec_lo, s3
	v_mul_f32_e32 v6, v41, v6
	s_delay_alu instid0(VALU_DEP_1) | instskip(NEXT) | instid1(VALU_DEP_1)
	v_and_b32_e32 v158, 0x7f800000, v6
	v_cmp_ne_u32_e64 s2, 0x7f800000, v158
                                        ; implicit-def: $vgpr158
	s_delay_alu instid0(VALU_DEP_1) | instskip(NEXT) | instid1(SALU_CYCLE_1)
	s_and_saveexec_b32 s3, s2
	s_xor_b32 s2, exec_lo, s3
; %bb.751:                              ;   in Loop: Header=BB398_10 Depth=1
	v_bfe_u32 v158, v6, 16, 1
	s_delay_alu instid0(VALU_DEP_1)
	v_add3_u32 v158, v6, v158, 0x7fff
                                        ; implicit-def: $vgpr6
; %bb.752:                              ;   in Loop: Header=BB398_10 Depth=1
	s_and_not1_saveexec_b32 s3, s2
; %bb.753:                              ;   in Loop: Header=BB398_10 Depth=1
	v_and_b32_e32 v158, 0xffff, v6
	v_or_b32_e32 v159, 0x10000, v6
	s_delay_alu instid0(VALU_DEP_2) | instskip(NEXT) | instid1(VALU_DEP_1)
	v_cmp_eq_u32_e64 s2, 0, v158
	v_cndmask_b32_e64 v158, v159, v6, s2
; %bb.754:                              ;   in Loop: Header=BB398_10 Depth=1
	s_or_b32 exec_lo, exec_lo, s3
	flat_load_u16 v6, v[28:29] offset:1928
	s_mov_b32 s3, exec_lo
	s_waitcnt vmcnt(0) lgkmcnt(0)
	v_and_b32_e32 v28, 0xff, v6
	v_dual_mov_b32 v6, 0 :: v_dual_and_b32 v29, 0xffff, v6
	s_delay_alu instid0(VALU_DEP_2)
	v_cmpx_ne_u16_e32 0, v28
	s_cbranch_execz .LBB398_762
; %bb.755:                              ;   in Loop: Header=BB398_10 Depth=1
	s_delay_alu instid0(VALU_DEP_2) | instskip(NEXT) | instid1(VALU_DEP_1)
	v_and_b32_e32 v6, 0xff, v29
	v_cmp_ne_u16_e64 s2, 0x80, v6
	v_bfrev_b32_e32 v6, 1
	s_delay_alu instid0(VALU_DEP_2)
	s_and_saveexec_b32 s19, s2
	s_cbranch_execz .LBB398_761
; %bb.756:                              ;   in Loop: Header=BB398_10 Depth=1
	v_and_b32_e32 v159, 0x7f, v29
	v_mov_b32_e32 v6, 0x7f800001
	s_mov_b32 s20, exec_lo
	s_delay_alu instid0(VALU_DEP_2)
	v_cmpx_ne_u32_e32 0x7f, v159
	s_cbranch_execz .LBB398_760
; %bb.757:                              ;   in Loop: Header=BB398_10 Depth=1
	v_and_b32_e32 v6, 7, v29
	v_lshrrev_b32_e32 v28, 3, v159
	s_mov_b32 s21, exec_lo
	v_cmpx_gt_u32_e32 8, v159
; %bb.758:                              ;   in Loop: Header=BB398_10 Depth=1
	s_delay_alu instid0(VALU_DEP_3) | instskip(NEXT) | instid1(VALU_DEP_1)
	v_clz_i32_u32_e32 v28, v6
	v_min_u32_e32 v28, 32, v28
	s_delay_alu instid0(VALU_DEP_1) | instskip(SKIP_1) | instid1(VALU_DEP_2)
	v_subrev_nc_u32_e32 v159, 28, v28
	v_sub_nc_u32_e32 v28, 29, v28
	v_lshlrev_b64 v[168:169], v159, v[6:7]
	s_delay_alu instid0(VALU_DEP_1)
	v_and_b32_e32 v6, 7, v168
; %bb.759:                              ;   in Loop: Header=BB398_10 Depth=1
	s_or_b32 exec_lo, exec_lo, s21
	v_lshlrev_b32_e32 v159, 24, v29
	s_delay_alu instid0(VALU_DEP_2) | instskip(SKIP_1) | instid1(VALU_DEP_3)
	v_lshlrev_b32_e32 v6, 20, v6
	v_lshl_add_u32 v28, v28, 23, 0x3c000000
	v_and_b32_e32 v159, 0x80000000, v159
	s_delay_alu instid0(VALU_DEP_1)
	v_or3_b32 v6, v6, v159, v28
.LBB398_760:                            ;   in Loop: Header=BB398_10 Depth=1
	s_or_b32 exec_lo, exec_lo, s20
.LBB398_761:                            ;   in Loop: Header=BB398_10 Depth=1
	s_delay_alu instid0(SALU_CYCLE_1)
	s_or_b32 exec_lo, exec_lo, s19
.LBB398_762:                            ;   in Loop: Header=BB398_10 Depth=1
	s_delay_alu instid0(SALU_CYCLE_1) | instskip(NEXT) | instid1(VALU_DEP_1)
	s_or_b32 exec_lo, exec_lo, s3
	v_mul_f32_e32 v6, v41, v6
	s_delay_alu instid0(VALU_DEP_1) | instskip(NEXT) | instid1(VALU_DEP_1)
	v_and_b32_e32 v28, 0x7f800000, v6
	v_cmp_ne_u32_e64 s2, 0x7f800000, v28
                                        ; implicit-def: $vgpr28
	s_delay_alu instid0(VALU_DEP_1) | instskip(NEXT) | instid1(SALU_CYCLE_1)
	s_and_saveexec_b32 s3, s2
	s_xor_b32 s2, exec_lo, s3
; %bb.763:                              ;   in Loop: Header=BB398_10 Depth=1
	v_bfe_u32 v28, v6, 16, 1
	s_delay_alu instid0(VALU_DEP_1)
	v_add3_u32 v28, v6, v28, 0x7fff
                                        ; implicit-def: $vgpr6
; %bb.764:                              ;   in Loop: Header=BB398_10 Depth=1
	s_and_not1_saveexec_b32 s3, s2
; %bb.765:                              ;   in Loop: Header=BB398_10 Depth=1
	v_and_b32_e32 v28, 0xffff, v6
	v_or_b32_e32 v159, 0x10000, v6
	s_delay_alu instid0(VALU_DEP_2) | instskip(NEXT) | instid1(VALU_DEP_1)
	v_cmp_eq_u32_e64 s2, 0, v28
	v_cndmask_b32_e64 v28, v159, v6, s2
; %bb.766:                              ;   in Loop: Header=BB398_10 Depth=1
	s_or_b32 exec_lo, exec_lo, s3
	v_lshrrev_b16 v159, 8, v29
	v_mov_b32_e32 v6, 0
	s_mov_b32 s3, exec_lo
	s_delay_alu instid0(VALU_DEP_2)
	v_cmpx_ne_u16_e64 0, v159
	s_cbranch_execz .LBB398_774
; %bb.767:                              ;   in Loop: Header=BB398_10 Depth=1
	v_bfrev_b32_e32 v6, 1
	s_mov_b32 s19, exec_lo
	v_cmpx_ne_u16_e64 0x80, v159
	s_cbranch_execz .LBB398_773
; %bb.768:                              ;   in Loop: Header=BB398_10 Depth=1
	v_and_b32_e32 v159, 0xffff, v159
	v_mov_b32_e32 v6, 0x7f800001
	s_mov_b32 s20, exec_lo
	s_delay_alu instid0(VALU_DEP_2) | instskip(NEXT) | instid1(VALU_DEP_1)
	v_and_b32_e32 v168, 0x7f, v159
	v_cmpx_ne_u32_e32 0x7f, v168
	s_cbranch_execz .LBB398_772
; %bb.769:                              ;   in Loop: Header=BB398_10 Depth=1
	v_and_b32_e32 v6, 7, v159
	v_lshrrev_b32_e32 v159, 3, v168
	s_mov_b32 s21, exec_lo
	v_cmpx_gt_u32_e32 8, v168
; %bb.770:                              ;   in Loop: Header=BB398_10 Depth=1
	s_delay_alu instid0(VALU_DEP_3) | instskip(NEXT) | instid1(VALU_DEP_1)
	v_clz_i32_u32_e32 v159, v6
	v_min_u32_e32 v159, 32, v159
	s_delay_alu instid0(VALU_DEP_1) | instskip(SKIP_1) | instid1(VALU_DEP_2)
	v_subrev_nc_u32_e32 v168, 28, v159
	v_sub_nc_u32_e32 v159, 29, v159
	v_lshlrev_b64 v[168:169], v168, v[6:7]
	s_delay_alu instid0(VALU_DEP_1)
	v_and_b32_e32 v6, 7, v168
; %bb.771:                              ;   in Loop: Header=BB398_10 Depth=1
	s_or_b32 exec_lo, exec_lo, s21
	v_lshlrev_b32_e32 v29, 16, v29
	s_delay_alu instid0(VALU_DEP_2) | instskip(SKIP_1) | instid1(VALU_DEP_3)
	v_lshlrev_b32_e32 v6, 20, v6
	v_lshl_add_u32 v159, v159, 23, 0x3c000000
	v_and_b32_e32 v29, 0x80000000, v29
	s_delay_alu instid0(VALU_DEP_1)
	v_or3_b32 v6, v6, v29, v159
.LBB398_772:                            ;   in Loop: Header=BB398_10 Depth=1
	s_or_b32 exec_lo, exec_lo, s20
.LBB398_773:                            ;   in Loop: Header=BB398_10 Depth=1
	s_delay_alu instid0(SALU_CYCLE_1)
	s_or_b32 exec_lo, exec_lo, s19
.LBB398_774:                            ;   in Loop: Header=BB398_10 Depth=1
	s_delay_alu instid0(SALU_CYCLE_1) | instskip(NEXT) | instid1(VALU_DEP_1)
	s_or_b32 exec_lo, exec_lo, s3
	v_mul_f32_e32 v29, v41, v6
	s_delay_alu instid0(VALU_DEP_1) | instskip(NEXT) | instid1(VALU_DEP_1)
	v_and_b32_e32 v6, 0x7f800000, v29
	v_cmp_ne_u32_e64 s2, 0x7f800000, v6
                                        ; implicit-def: $vgpr6
	s_delay_alu instid0(VALU_DEP_1) | instskip(NEXT) | instid1(SALU_CYCLE_1)
	s_and_saveexec_b32 s3, s2
	s_xor_b32 s2, exec_lo, s3
; %bb.775:                              ;   in Loop: Header=BB398_10 Depth=1
	v_bfe_u32 v6, v29, 16, 1
	s_delay_alu instid0(VALU_DEP_1)
	v_add3_u32 v6, v29, v6, 0x7fff
                                        ; implicit-def: $vgpr29
; %bb.776:                              ;   in Loop: Header=BB398_10 Depth=1
	s_and_not1_saveexec_b32 s3, s2
; %bb.777:                              ;   in Loop: Header=BB398_10 Depth=1
	v_and_b32_e32 v6, 0xffff, v29
	v_or_b32_e32 v41, 0x10000, v29
	s_delay_alu instid0(VALU_DEP_2) | instskip(NEXT) | instid1(VALU_DEP_1)
	v_cmp_eq_u32_e64 s2, 0, v6
	v_cndmask_b32_e64 v6, v41, v29, s2
; %bb.778:                              ;   in Loop: Header=BB398_10 Depth=1
	s_or_b32 exec_lo, exec_lo, s3
	v_and_b32_e32 v29, 0xffff0000, v43
	v_and_b32_e32 v41, 0xffff0000, v44
	v_and_b32_e32 v42, 0xffff0000, v42
	v_and_b32_e32 v40, 0xffff0000, v40
	s_delay_alu instid0(VALU_DEP_4) | instskip(NEXT) | instid1(VALU_DEP_4)
	v_dual_mul_f32 v29, v51, v29 :: v_dual_and_b32 v28, 0xffff0000, v28
	v_mul_f32_e32 v41, v52, v41
	v_and_b32_e32 v44, 0xffff0000, v45
	s_delay_alu instid0(VALU_DEP_3) | instskip(NEXT) | instid1(VALU_DEP_3)
	v_dual_fmac_f32 v29, v49, v40 :: v_dual_and_b32 v6, 0xffff0000, v6
	v_dual_fmac_f32 v41, v50, v42 :: v_dual_and_b32 v40, 0xffff0000, v56
	s_delay_alu instid0(VALU_DEP_2) | instskip(NEXT) | instid1(VALU_DEP_1)
	v_dual_fmac_f32 v29, v53, v44 :: v_dual_and_b32 v42, 0xffff0000, v47
	v_dual_fmac_f32 v29, v55, v42 :: v_dual_and_b32 v44, 0xffff0000, v57
	s_delay_alu instid0(VALU_DEP_1) | instskip(NEXT) | instid1(VALU_DEP_1)
	v_dual_fmac_f32 v29, v65, v44 :: v_dual_and_b32 v42, 0xffff0000, v59
	v_dual_fmac_f32 v29, v67, v42 :: v_dual_and_b32 v44, 0xffff0000, v61
	s_delay_alu instid0(VALU_DEP_1) | instskip(NEXT) | instid1(VALU_DEP_1)
	;; [unrolled: 3-line block ×14, first 2 shown]
	v_fmac_f32_e32 v29, v176, v44
	v_fmac_f32_e32 v29, v178, v28
	v_and_b32_e32 v43, 0xffff0000, v46
	s_delay_alu instid0(VALU_DEP_1) | instskip(SKIP_1) | instid1(VALU_DEP_2)
	v_fmac_f32_e32 v41, v54, v43
	v_and_b32_e32 v43, 0xffff0000, v58
	v_fmac_f32_e32 v41, v64, v40
	s_delay_alu instid0(VALU_DEP_1) | instskip(SKIP_1) | instid1(VALU_DEP_2)
	v_dual_fmac_f32 v41, v66, v43 :: v_dual_and_b32 v40, 0xffff0000, v60
	v_and_b32_e32 v43, 0xffff0000, v62
	v_fmac_f32_e32 v41, v68, v40
	s_delay_alu instid0(VALU_DEP_1) | instskip(SKIP_1) | instid1(VALU_DEP_2)
	v_dual_fmac_f32 v41, v70, v43 :: v_dual_and_b32 v40, 0xffff0000, v72
	;; [unrolled: 4-line block ×13, first 2 shown]
	v_and_b32_e32 v43, 0xffff0000, v158
	v_fmac_f32_e32 v41, v166, v40
	s_delay_alu instid0(VALU_DEP_1) | instskip(NEXT) | instid1(VALU_DEP_1)
	v_fmac_f32_e32 v41, v177, v43
	v_fmac_f32_e32 v41, v179, v6
	s_delay_alu instid0(VALU_DEP_1)
	v_add_f32_e32 v6, v29, v41
	ds_bpermute_b32 v28, v147, v6
	s_waitcnt lgkmcnt(0)
	v_add_f32_e32 v6, v6, v28
	ds_bpermute_b32 v28, v148, v6
	s_and_saveexec_b32 s3, vcc_lo
	s_cbranch_execz .LBB398_9
; %bb.779:                              ;   in Loop: Header=BB398_10 Depth=1
	s_waitcnt lgkmcnt(0)
	v_dual_add_f32 v6, v6, v28 :: v_dual_add_nc_u32 v29, v180, v181
	s_load_b32 s19, s[8:9], 0x0
	v_cmp_lt_i32_e64 s2, v181, v32
	s_delay_alu instid0(VALU_DEP_2) | instskip(NEXT) | instid1(VALU_DEP_1)
	v_cvt_f32_i32_e32 v29, v29
	v_mul_f32_e32 v29, v39, v29
	s_delay_alu instid0(VALU_DEP_1) | instskip(NEXT) | instid1(VALU_DEP_1)
	v_cndmask_b32_e64 v28, 0, v29, s1
	v_dual_max_f32 v29, v167, v167 :: v_dual_fmac_f32 v28, v6, v13
	s_waitcnt lgkmcnt(0)
	s_delay_alu instid0(VALU_DEP_1) | instskip(SKIP_1) | instid1(VALU_DEP_2)
	v_dual_max_f32 v6, v29, v28 :: v_dual_add_nc_u32 v29, s19, v182
	v_cndmask_b32_e64 v28, 0, v28, s2
	v_cndmask_b32_e64 v167, v167, v6, s2
	ds_store_b32 v29, v28
	s_branch .LBB398_9
.LBB398_780:
	s_or_b32 exec_lo, exec_lo, s7
.LBB398_781:
	s_delay_alu instid0(SALU_CYCLE_1)
	s_or_b32 exec_lo, exec_lo, s17
	v_xor_b32_e32 v6, 16, v38
	v_xor_b32_e32 v7, 8, v38
	v_lshlrev_b32_e32 v20, 2, v33
	s_waitcnt lgkmcnt(0)
	s_lshr_b32 s8, s18, 16
	v_max_f32_e32 v8, v167, v167
	v_cmp_lt_i32_e32 vcc_lo, v6, v48
	v_cndmask_b32_e32 v6, v38, v6, vcc_lo
	v_cmp_lt_i32_e32 vcc_lo, v7, v48
	v_cndmask_b32_e32 v7, v38, v7, vcc_lo
	s_delay_alu instid0(VALU_DEP_1) | instskip(NEXT) | instid1(VALU_DEP_4)
	v_lshlrev_b32_e32 v13, 2, v7
	v_lshlrev_b32_e32 v9, 2, v6
	ds_bpermute_b32 v6, v9, v167
	s_waitcnt lgkmcnt(0)
	v_max_f32_e32 v6, v6, v6
	s_delay_alu instid0(VALU_DEP_1) | instskip(SKIP_4) | instid1(VALU_DEP_1)
	v_max_f32_e32 v6, v8, v6
	v_xor_b32_e32 v8, 4, v38
	ds_bpermute_b32 v7, v13, v6
	v_cmp_lt_i32_e32 vcc_lo, v8, v48
	v_cndmask_b32_e32 v8, v38, v8, vcc_lo
	v_lshlrev_b32_e32 v23, 2, v8
	s_waitcnt lgkmcnt(0)
	v_max_f32_e32 v7, v7, v7
	s_delay_alu instid0(VALU_DEP_1)
	v_dual_max_f32 v7, v6, v7 :: v_dual_and_b32 v6, 31, v30
	ds_bpermute_b32 v8, v23, v7
	v_cmp_eq_u32_e32 vcc_lo, 0, v6
	s_and_saveexec_b32 s1, vcc_lo
	s_cbranch_execz .LBB398_783
; %bb.782:
	s_waitcnt lgkmcnt(0)
	v_dual_max_f32 v8, v8, v8 :: v_dual_max_f32 v7, v7, v7
	s_delay_alu instid0(VALU_DEP_1)
	v_max_f32_e32 v7, v7, v8
	ds_store_b32 v20, v7 offset:512
.LBB398_783:
	s_or_b32 exec_lo, exec_lo, s1
	v_cmp_gt_u32_e64 s1, 4, v6
	v_mov_b32_e32 v7, 0xff7fffff
	v_lshlrev_b32_e32 v21, 2, v6
	s_waitcnt lgkmcnt(0)
	s_barrier
	buffer_gl0_inv
	s_and_saveexec_b32 s2, s1
	s_cbranch_execz .LBB398_785
; %bb.784:
	ds_load_b32 v7, v21 offset:512
.LBB398_785:
	s_or_b32 exec_lo, exec_lo, s2
	v_xor_b32_e32 v8, 2, v38
	v_xor_b32_e32 v25, 1, v38
	v_subrev_nc_u32_e32 v29, s13, v34
	v_lshlrev_b32_e32 v28, 2, v38
	s_delay_alu instid0(VALU_DEP_4) | instskip(NEXT) | instid1(VALU_DEP_2)
	v_cmp_lt_i32_e64 s2, v8, v48
	v_and_b32_e32 v28, 0xffffff80, v28
	s_delay_alu instid0(VALU_DEP_2) | instskip(SKIP_1) | instid1(VALU_DEP_2)
	v_cndmask_b32_e64 v8, v38, v8, s2
	v_cmp_lt_i32_e64 s2, v25, v48
	v_lshlrev_b32_e32 v24, 2, v8
	s_delay_alu instid0(VALU_DEP_2)
	v_cndmask_b32_e64 v25, v38, v25, s2
	s_waitcnt lgkmcnt(0)
	ds_bpermute_b32 v8, v24, v7
	v_max_f32_e32 v7, v7, v7
	s_waitcnt lgkmcnt(0)
	v_dual_max_f32 v8, v8, v8 :: v_dual_lshlrev_b32 v25, 2, v25
	s_delay_alu instid0(VALU_DEP_1) | instskip(SKIP_3) | instid1(VALU_DEP_1)
	v_max_f32_e32 v7, v7, v8
	ds_bpermute_b32 v8, v25, v7
	s_waitcnt lgkmcnt(0)
	v_max_f32_e32 v8, v8, v8
	v_max_f32_e32 v7, v7, v8
	v_lshl_add_u32 v8, v29, 3, s16
	v_mov_b32_e32 v29, 0
	ds_bpermute_b32 v7, v28, v7
	v_min_i32_e32 v8, v8, v32
	s_delay_alu instid0(VALU_DEP_1) | instskip(NEXT) | instid1(VALU_DEP_1)
	v_subrev_nc_u32_e32 v8, s16, v8
	v_cmp_lt_i32_e64 s2, v30, v8
	s_delay_alu instid0(VALU_DEP_1)
	s_and_saveexec_b32 s9, s2
	s_cbranch_execz .LBB398_789
; %bb.786:
	s_getpc_b64 s[18:19]
	s_add_u32 s18, s18, llvm.amdgcn.dynlds.offset.table@rel32@lo+4
	s_addc_u32 s19, s19, llvm.amdgcn.dynlds.offset.table@rel32@hi+12
	s_ashr_i32 s7, s6, 31
	v_mov_b32_e32 v29, 0
	s_lshl_b64 s[20:21], s[6:7], 2
	v_mov_b32_e32 v39, v30
	s_add_u32 s18, s20, s18
	s_addc_u32 s19, s21, s19
	s_mov_b32 s7, 0
	s_load_b32 s3, s[18:19], 0x0
	s_waitcnt lgkmcnt(0)
	v_lshl_add_u32 v38, v30, 2, s3
	.p2align	6
.LBB398_787:                            ; =>This Inner Loop Header: Depth=1
	ds_load_b32 v48, v38
	v_add_nc_u32_e32 v39, 0x80, v39
	s_delay_alu instid0(VALU_DEP_1) | instskip(NEXT) | instid1(VALU_DEP_1)
	v_cmp_ge_i32_e64 s3, v39, v8
	s_or_b32 s7, s3, s7
	s_waitcnt lgkmcnt(0)
	v_sub_f32_e32 v48, v48, v7
	s_delay_alu instid0(VALU_DEP_1) | instskip(NEXT) | instid1(VALU_DEP_1)
	v_mul_f32_e32 v48, 0x3fb8aa3b, v48
	v_exp_f32_e32 v48, v48
	ds_store_b32 v38, v48
	v_dual_add_f32 v29, v29, v48 :: v_dual_add_nc_u32 v38, 0x200, v38
	s_and_not1_b32 exec_lo, exec_lo, s7
	s_cbranch_execnz .LBB398_787
; %bb.788:
	s_or_b32 exec_lo, exec_lo, s7
.LBB398_789:
	s_delay_alu instid0(SALU_CYCLE_1)
	s_or_b32 exec_lo, exec_lo, s9
	ds_bpermute_b32 v9, v9, v29
	s_waitcnt lgkmcnt(0)
	v_add_f32_e32 v9, v29, v9
	ds_bpermute_b32 v13, v13, v9
	s_waitcnt lgkmcnt(0)
	v_add_f32_e32 v9, v9, v13
	;; [unrolled: 3-line block ×5, first 2 shown]
	s_and_saveexec_b32 s3, vcc_lo
	s_cbranch_execz .LBB398_791
; %bb.790:
	ds_store_b32 v20, v9 offset:528
.LBB398_791:
	s_or_b32 exec_lo, exec_lo, s3
	s_waitcnt lgkmcnt(0)
	s_barrier
	buffer_gl0_inv
	s_and_saveexec_b32 s3, s1
	s_cbranch_execz .LBB398_793
; %bb.792:
	ds_load_b32 v9, v21 offset:528
.LBB398_793:
	s_or_b32 exec_lo, exec_lo, s3
	s_waitcnt lgkmcnt(0)
	ds_bpermute_b32 v13, v24, v9
	s_waitcnt lgkmcnt(0)
	v_add_f32_e32 v9, v9, v13
	ds_bpermute_b32 v13, v25, v9
	s_waitcnt lgkmcnt(0)
	v_add_f32_e32 v9, v9, v13
	ds_bpermute_b32 v9, v28, v9
	s_and_saveexec_b32 s1, s2
	s_cbranch_execz .LBB398_796
; %bb.794:
	s_waitcnt lgkmcnt(0)
	v_add_f32_e32 v20, 0x358637bd, v9
	s_getpc_b64 s[2:3]
	s_add_u32 s2, s2, llvm.amdgcn.dynlds.offset.table@rel32@lo+4
	s_addc_u32 s3, s3, llvm.amdgcn.dynlds.offset.table@rel32@hi+12
	s_ashr_i32 s7, s6, 31
	s_delay_alu instid0(SALU_CYCLE_1) | instskip(SKIP_3) | instid1(VALU_DEP_2)
	s_lshl_b64 s[18:19], s[6:7], 2
	v_div_scale_f32 v13, null, v20, v20, 1.0
	v_div_scale_f32 v24, vcc_lo, 1.0, v20, 1.0
	s_add_u32 s2, s18, s2
	v_rcp_f32_e32 v21, v13
	s_addc_u32 s3, s19, s3
	s_load_b32 s2, s[2:3], 0x0
	s_waitcnt_depctr 0xfff
	v_fma_f32 v23, -v13, v21, 1.0
	s_delay_alu instid0(VALU_DEP_1) | instskip(NEXT) | instid1(VALU_DEP_1)
	v_fmac_f32_e32 v21, v23, v21
	v_mul_f32_e32 v23, v24, v21
	s_delay_alu instid0(VALU_DEP_1) | instskip(NEXT) | instid1(VALU_DEP_1)
	v_fma_f32 v25, -v13, v23, v24
	v_fmac_f32_e32 v23, v25, v21
	s_delay_alu instid0(VALU_DEP_1) | instskip(NEXT) | instid1(VALU_DEP_1)
	v_fma_f32 v13, -v13, v23, v24
	v_div_fmas_f32 v21, v13, v21, v23
	s_waitcnt lgkmcnt(0)
	v_lshl_add_u32 v13, v30, 2, s2
	s_mov_b32 s2, 0
	s_delay_alu instid0(VALU_DEP_2)
	v_div_fixup_f32 v20, v21, v20, 1.0
	v_mov_b32_e32 v21, v30
.LBB398_795:                            ; =>This Inner Loop Header: Depth=1
	ds_load_b32 v23, v13
	v_add_nc_u32_e32 v21, 0x80, v21
	s_delay_alu instid0(VALU_DEP_1)
	v_cmp_ge_i32_e32 vcc_lo, v21, v8
	s_or_b32 s2, vcc_lo, s2
	s_waitcnt lgkmcnt(0)
	v_mul_f32_e32 v23, v20, v23
	ds_store_b32 v13, v23
	v_add_nc_u32_e32 v13, 0x200, v13
	s_and_not1_b32 exec_lo, exec_lo, s2
	s_cbranch_execnz .LBB398_795
.LBB398_796:
	s_or_b32 exec_lo, exec_lo, s1
	v_cmp_ne_u16_e64 s1, s8, 0
	s_waitcnt lgkmcnt(0)
	s_barrier
	buffer_gl0_inv
	s_cmp_lg_u32 s1, 0
	s_addc_u32 s1, s5, 0
	s_mov_b32 s5, exec_lo
	s_mul_i32 s2, s1, s10
	s_delay_alu instid0(SALU_CYCLE_1)
	s_mul_i32 s2, s2, s15
	v_cmpx_eq_u32_e32 0, v30
	s_cbranch_execz .LBB398_798
; %bb.797:
	s_mul_i32 s8, s1, s12
	s_ashr_i32 s15, s14, 31
	s_ashr_i32 s9, s8, 31
	s_ashr_i32 s3, s2, 31
	s_lshl_b64 s[8:9], s[8:9], 2
	s_lshl_b64 s[12:13], s[14:15], 2
	;; [unrolled: 1-line block ×3, first 2 shown]
	s_add_u32 s3, s12, s8
	s_addc_u32 s7, s13, s9
	s_add_u32 s3, s3, s18
	s_addc_u32 s7, s7, s19
	v_add_co_u32 v2, vcc_lo, s3, v2
	v_add_co_ci_u32_e32 v3, vcc_lo, s7, v3, vcc_lo
	v_add_co_u32 v0, vcc_lo, s3, v0
	v_add_co_ci_u32_e32 v1, vcc_lo, s7, v1, vcc_lo
	flat_store_b32 v[2:3], v7
	flat_store_b32 v[0:1], v9
.LBB398_798:
	s_or_b32 exec_lo, exec_lo, s5
                                        ; implicit-def: $sgpr5
	s_and_saveexec_b32 s3, s0
	s_delay_alu instid0(SALU_CYCLE_1)
	s_xor_b32 s0, exec_lo, s3
; %bb.799:
	s_ashr_i32 s7, s6, 31
	s_mov_b32 s5, 0
                                        ; implicit-def: $vgpr32
                                        ; implicit-def: $vgpr12
                                        ; implicit-def: $vgpr34
                                        ; implicit-def: $vgpr16
                                        ; implicit-def: $vgpr10
                                        ; implicit-def: $vgpr11
                                        ; implicit-def: $vgpr14
                                        ; implicit-def: $vgpr15
                                        ; implicit-def: $vgpr22
                                        ; implicit-def: $vgpr26_vgpr27
                                        ; implicit-def: $vgpr36
                                        ; implicit-def: $vgpr37
                                        ; implicit-def: $vgpr18_vgpr19
                                        ; implicit-def: $vgpr35
; %bb.800:
	s_or_saveexec_b32 s3, s0
	v_dual_mov_b32 v7, s5 :: v_dual_mov_b32 v0, s6
	v_dual_mov_b32 v1, s7 :: v_dual_mov_b32 v20, s5
	;; [unrolled: 1-line block ×4, first 2 shown]
	v_mov_b32_e32 v25, s5
	v_mov_b32_e32 v29, s5
	s_xor_b32 exec_lo, exec_lo, s3
	s_cbranch_execz .LBB398_1876
; %bb.801:
	flat_load_b32 v26, v[26:27]
	s_getpc_b64 s[8:9]
	s_add_u32 s8, s8, llvm.amdgcn.dynlds.offset.table@rel32@lo+4
	s_addc_u32 s9, s9, llvm.amdgcn.dynlds.offset.table@rel32@hi+12
	s_ashr_i32 s7, s6, 31
	v_lshlrev_b64 v[0:1], 2, v[16:17]
	s_lshl_b64 s[12:13], s[6:7], 2
	v_add_co_u32 v2, vcc_lo, v10, v36
	s_add_u32 s8, s12, s8
	s_addc_u32 s9, s13, s9
	v_lshlrev_b32_e32 v7, 3, v6
	s_load_b32 s0, s[8:9], 0x0
	v_add_co_ci_u32_e32 v3, vcc_lo, v11, v37, vcc_lo
	v_add_co_u32 v0, vcc_lo, v18, v0
	v_add_co_ci_u32_e32 v1, vcc_lo, v19, v1, vcc_lo
	v_dual_mov_b32 v28, 0 :: v_dual_add_nc_u32 v27, -1, v12
	v_mov_b32_e32 v12, 0
	v_add_co_u32 v17, vcc_lo, v2, v7
	v_add_co_ci_u32_e32 v18, vcc_lo, 0, v3, vcc_lo
	v_add_co_u32 v13, vcc_lo, v14, v0
	v_add_co_ci_u32_e32 v14, vcc_lo, v15, v1, vcc_lo
	v_add3_u32 v15, s16, v35, 7
	v_dual_mov_b32 v29, 0 :: v_dual_mov_b32 v24, 0
	s_waitcnt lgkmcnt(0)
	v_lshl_add_u32 v19, v33, 5, s0
	v_dual_mov_b32 v25, 0 :: v_dual_mov_b32 v20, 0
	v_mov_b32_e32 v23, 0
	v_mov_b32_e32 v21, 0
	;; [unrolled: 1-line block ×3, first 2 shown]
	s_mov_b32 s8, -1
	s_mov_b32 s9, 0xffffff
	s_mov_b32 s5, 0
	s_branch .LBB398_803
.LBB398_802:                            ;   in Loop: Header=BB398_803 Depth=1
	s_or_b32 exec_lo, exec_lo, s0
	v_and_b32_e32 v35, 0xffff0000, v35
	v_and_b32_e32 v36, 0xffff0000, v36
	;; [unrolled: 1-line block ×6, first 2 shown]
	s_delay_alu instid0(VALU_DEP_4) | instskip(NEXT) | instid1(VALU_DEP_4)
	v_dual_add_f32 v10, v10, v35 :: v_dual_and_b32 v53, 0xffff0000, v96
	v_dual_add_f32 v35, v36, v37 :: v_dual_and_b32 v36, 0xffff0000, v38
	v_and_b32_e32 v37, 0xffff0000, v48
	v_and_b32_e32 v38, 0xffff0000, v49
	;; [unrolled: 1-line block ×3, first 2 shown]
	s_delay_alu instid0(VALU_DEP_4) | instskip(SKIP_4) | instid1(VALU_DEP_4)
	v_add_f32_e32 v10, v10, v35
	v_add_f32_e32 v35, v36, v39
	v_and_b32_e32 v39, 0xffff0000, v82
	v_and_b32_e32 v54, 0xffff0000, v113
	;; [unrolled: 1-line block ×3, first 2 shown]
	v_dual_add_f32 v10, v10, v35 :: v_dual_and_b32 v1, 0xffff0000, v1
	v_add_f32_e32 v35, v37, v38
	v_dual_add_f32 v38, v48, v39 :: v_dual_and_b32 v37, 0xffff0000, v86
	v_and_b32_e32 v39, 0xffff0000, v85
	v_and_b32_e32 v48, 0xffff0000, v97
	s_delay_alu instid0(VALU_DEP_4) | instskip(SKIP_1) | instid1(VALU_DEP_4)
	v_add_f32_e32 v10, v10, v35
	v_and_b32_e32 v0, 0xffff0000, v0
	v_dual_add_f32 v37, v39, v37 :: v_dual_and_b32 v2, 0xffff0000, v2
	v_and_b32_e32 v49, 0xffff0000, v83
	v_and_b32_e32 v39, 0xffff0000, v98
	v_dual_add_f32 v29, v29, v10 :: v_dual_and_b32 v36, 0xffff0000, v84
	v_and_b32_e32 v64, 0xffff0000, v166
	v_and_b32_e32 v9, 0xffff0000, v9
	s_delay_alu instid0(VALU_DEP_3)
	v_dual_add_f32 v39, v48, v39 :: v_dual_add_f32 v36, v49, v36
	v_and_b32_e32 v49, 0xffff0000, v99
	v_and_b32_e32 v48, 0xffff0000, v101
	;; [unrolled: 1-line block ×4, first 2 shown]
	v_add_f32_e32 v36, v38, v36
	v_and_b32_e32 v38, 0xffff0000, v100
	v_and_b32_e32 v35, 0xffff0000, v87
	v_add_co_u32 v13, s0, v13, 16
	s_delay_alu instid0(VALU_DEP_4) | instskip(NEXT) | instid1(VALU_DEP_4)
	v_add_f32_e32 v36, v36, v37
	v_add_f32_e32 v38, v49, v38
	v_and_b32_e32 v37, 0xffff0000, v102
	v_add_f32_e32 v35, v35, v53
	v_dual_add_f32 v0, v0, v1 :: v_dual_add_f32 v1, v2, v3
	s_delay_alu instid0(VALU_DEP_3) | instskip(NEXT) | instid1(VALU_DEP_3)
	v_dual_add_f32 v38, v39, v38 :: v_dual_add_f32 v37, v48, v37
	v_dual_add_f32 v35, v36, v35 :: v_dual_and_b32 v48, 0xffff0000, v114
	v_and_b32_e32 v39, 0xffff0000, v116
	s_delay_alu instid0(VALU_DEP_3) | instskip(NEXT) | instid1(VALU_DEP_3)
	v_dual_add_f32 v37, v38, v37 :: v_dual_and_b32 v2, 0xffff0000, v11
	v_add_f32_e32 v48, v54, v48
	s_delay_alu instid0(VALU_DEP_4) | instskip(NEXT) | instid1(VALU_DEP_4)
	v_add_f32_e32 v28, v28, v35
	v_add_f32_e32 v39, v55, v39
	v_and_b32_e32 v53, 0xffff0000, v112
	v_and_b32_e32 v35, 0xffff0000, v119
	;; [unrolled: 1-line block ×3, first 2 shown]
	v_add_co_ci_u32_e64 v14, s0, 0, v14, s0
	v_add_f32_e32 v10, v48, v39
	v_and_b32_e32 v49, 0xffff0000, v103
	v_add_nc_u32_e32 v15, 32, v15
	v_dual_add_f32 v0, v0, v1 :: v_dual_add_nc_u32 v19, 0x80, v19
	v_add_f32_e32 v8, v8, v9
	s_delay_alu instid0(VALU_DEP_4) | instskip(SKIP_1) | instid1(VALU_DEP_2)
	v_dual_add_f32 v38, v49, v53 :: v_dual_and_b32 v49, 0xffff0000, v118
	v_dual_add_f32 v1, v2, v50 :: v_dual_add_nc_u32 v16, 4, v16
	v_add_f32_e32 v36, v37, v38
	v_and_b32_e32 v38, 0xffff0000, v130
	s_delay_alu instid0(VALU_DEP_3) | instskip(NEXT) | instid1(VALU_DEP_4)
	v_add_f32_e32 v0, v0, v1
	v_cmp_ge_i32_e32 vcc_lo, v16, v34
	s_delay_alu instid0(VALU_DEP_4) | instskip(SKIP_3) | instid1(VALU_DEP_2)
	v_add_f32_e32 v25, v25, v36
	v_and_b32_e32 v36, 0xffff0000, v128
	v_and_b32_e32 v48, 0xffff0000, v131
	s_or_b32 s5, vcc_lo, s5
	v_dual_add_f32 v35, v35, v36 :: v_dual_and_b32 v36, 0xffff0000, v134
	v_and_b32_e32 v53, 0xffff0000, v117
	s_delay_alu instid0(VALU_DEP_1) | instskip(SKIP_1) | instid1(VALU_DEP_2)
	v_add_f32_e32 v37, v53, v49
	v_and_b32_e32 v49, 0xffff0000, v133
	v_dual_add_f32 v10, v10, v37 :: v_dual_and_b32 v37, 0xffff0000, v132
	s_delay_alu instid0(VALU_DEP_1) | instskip(NEXT) | instid1(VALU_DEP_3)
	v_dual_add_f32 v10, v10, v35 :: v_dual_add_f32 v37, v48, v37
	v_dual_add_f32 v36, v49, v36 :: v_dual_and_b32 v39, 0xffff0000, v129
	v_and_b32_e32 v49, 0xffff0000, v144
	v_and_b32_e32 v54, 0xffff0000, v147
	s_delay_alu instid0(VALU_DEP_4) | instskip(NEXT) | instid1(VALU_DEP_4)
	v_add_f32_e32 v24, v24, v10
	v_add_f32_e32 v38, v39, v38
	v_and_b32_e32 v48, 0xffff0000, v146
	v_and_b32_e32 v39, 0xffff0000, v148
	s_delay_alu instid0(VALU_DEP_3) | instskip(NEXT) | instid1(VALU_DEP_1)
	v_add_f32_e32 v37, v38, v37
	v_dual_add_f32 v36, v37, v36 :: v_dual_add_f32 v37, v55, v49
	v_and_b32_e32 v49, 0xffff0000, v163
	v_and_b32_e32 v53, 0xffff0000, v145
	v_dual_add_f32 v39, v54, v39 :: v_dual_and_b32 v38, 0xffff0000, v150
	v_and_b32_e32 v54, 0xffff0000, v161
	s_delay_alu instid0(VALU_DEP_3) | instskip(SKIP_1) | instid1(VALU_DEP_2)
	v_dual_add_f32 v48, v53, v48 :: v_dual_and_b32 v55, 0xffff0000, v165
	v_and_b32_e32 v53, 0xffff0000, v149
	v_dual_add_f32 v35, v48, v39 :: v_dual_and_b32 v48, 0xffff0000, v160
	s_delay_alu instid0(VALU_DEP_2) | instskip(SKIP_1) | instid1(VALU_DEP_2)
	v_dual_add_f32 v38, v53, v38 :: v_dual_and_b32 v39, 0xffff0000, v151
	v_and_b32_e32 v53, 0xffff0000, v162
	v_dual_add_f32 v35, v35, v38 :: v_dual_and_b32 v38, 0xffff0000, v164
	s_delay_alu instid0(VALU_DEP_2) | instskip(NEXT) | instid1(VALU_DEP_4)
	v_add_f32_e32 v9, v54, v53
	v_add_f32_e32 v11, v39, v48
	s_delay_alu instid0(VALU_DEP_2) | instskip(SKIP_1) | instid1(VALU_DEP_1)
	v_dual_add_f32 v3, v8, v9 :: v_dual_and_b32 v2, 0xffff0000, v52
	v_and_b32_e32 v9, 0xffff0000, v51
	v_dual_add_f32 v1, v9, v2 :: v_dual_add_f32 v2, v36, v37
	s_delay_alu instid0(VALU_DEP_4) | instskip(NEXT) | instid1(VALU_DEP_2)
	v_dual_add_f32 v8, v49, v38 :: v_dual_add_f32 v9, v35, v11
	v_dual_add_f32 v0, v0, v1 :: v_dual_add_f32 v23, v23, v2
	s_delay_alu instid0(VALU_DEP_2) | instskip(NEXT) | instid1(VALU_DEP_3)
	v_add_f32_e32 v3, v3, v8
	v_dual_add_f32 v8, v55, v64 :: v_dual_add_f32 v21, v21, v9
	s_delay_alu instid0(VALU_DEP_3) | instskip(NEXT) | instid1(VALU_DEP_2)
	v_add_f32_e32 v7, v7, v0
	v_add_f32_e32 v3, v3, v8
	s_delay_alu instid0(VALU_DEP_1)
	v_add_f32_e32 v20, v20, v3
	s_and_not1_b32 exec_lo, exec_lo, s5
	s_cbranch_execz .LBB398_1875
.LBB398_803:                            ; =>This Inner Loop Header: Depth=1
	flat_load_b32 v50, v[13:14]
	ds_load_2addr_b64 v[8:11], v19 offset1:1
	ds_load_2addr_b64 v[0:3], v19 offset0:2 offset1:3
	s_mov_b32 s0, exec_lo
                                        ; implicit-def: $vgpr65
	s_waitcnt lgkmcnt(1)
	v_and_b32_e32 v35, 0x7f800000, v8
	s_delay_alu instid0(VALU_DEP_1)
	v_cmpx_ne_u32_e32 0x7f800000, v35
	s_xor_b32 s0, exec_lo, s0
; %bb.804:                              ;   in Loop: Header=BB398_803 Depth=1
	v_bfe_u32 v35, v8, 16, 1
	s_delay_alu instid0(VALU_DEP_1)
	v_add3_u32 v65, v8, v35, 0x7fff
; %bb.805:                              ;   in Loop: Header=BB398_803 Depth=1
	s_and_not1_saveexec_b32 s0, s0
; %bb.806:                              ;   in Loop: Header=BB398_803 Depth=1
	v_and_b32_e32 v35, 0xffff, v8
	v_or_b32_e32 v36, 0x10000, v8
	s_delay_alu instid0(VALU_DEP_2) | instskip(NEXT) | instid1(VALU_DEP_2)
	v_cmp_eq_u32_e32 vcc_lo, 0, v35
	v_cndmask_b32_e32 v65, v36, v8, vcc_lo
; %bb.807:                              ;   in Loop: Header=BB398_803 Depth=1
	s_or_b32 exec_lo, exec_lo, s0
	v_and_b32_e32 v8, 0x7f800000, v9
	s_mov_b32 s0, exec_lo
                                        ; implicit-def: $vgpr35
	s_delay_alu instid0(VALU_DEP_1)
	v_cmpx_ne_u32_e32 0x7f800000, v8
	s_xor_b32 s0, exec_lo, s0
; %bb.808:                              ;   in Loop: Header=BB398_803 Depth=1
	v_bfe_u32 v8, v9, 16, 1
	s_delay_alu instid0(VALU_DEP_1)
	v_add3_u32 v35, v9, v8, 0x7fff
; %bb.809:                              ;   in Loop: Header=BB398_803 Depth=1
	s_and_not1_saveexec_b32 s0, s0
; %bb.810:                              ;   in Loop: Header=BB398_803 Depth=1
	v_and_b32_e32 v8, 0xffff, v9
	v_or_b32_e32 v35, 0x10000, v9
	s_delay_alu instid0(VALU_DEP_2) | instskip(NEXT) | instid1(VALU_DEP_2)
	v_cmp_eq_u32_e32 vcc_lo, 0, v8
	v_cndmask_b32_e32 v35, v35, v9, vcc_lo
; %bb.811:                              ;   in Loop: Header=BB398_803 Depth=1
	s_or_b32 exec_lo, exec_lo, s0
	v_and_b32_e32 v8, 0x7f800000, v10
	s_mov_b32 s0, exec_lo
                                        ; implicit-def: $vgpr36
	s_delay_alu instid0(VALU_DEP_1)
	v_cmpx_ne_u32_e32 0x7f800000, v8
	s_xor_b32 s0, exec_lo, s0
; %bb.812:                              ;   in Loop: Header=BB398_803 Depth=1
	v_bfe_u32 v8, v10, 16, 1
	s_delay_alu instid0(VALU_DEP_1)
	v_add3_u32 v36, v10, v8, 0x7fff
; %bb.813:                              ;   in Loop: Header=BB398_803 Depth=1
	s_and_not1_saveexec_b32 s0, s0
; %bb.814:                              ;   in Loop: Header=BB398_803 Depth=1
	v_and_b32_e32 v8, 0xffff, v10
	v_or_b32_e32 v9, 0x10000, v10
	s_delay_alu instid0(VALU_DEP_2) | instskip(NEXT) | instid1(VALU_DEP_2)
	v_cmp_eq_u32_e32 vcc_lo, 0, v8
	v_cndmask_b32_e32 v36, v9, v10, vcc_lo
; %bb.815:                              ;   in Loop: Header=BB398_803 Depth=1
	s_or_b32 exec_lo, exec_lo, s0
	v_and_b32_e32 v8, 0x7f800000, v11
	s_mov_b32 s0, exec_lo
                                        ; implicit-def: $vgpr37
	s_delay_alu instid0(VALU_DEP_1)
	v_cmpx_ne_u32_e32 0x7f800000, v8
	s_xor_b32 s0, exec_lo, s0
; %bb.816:                              ;   in Loop: Header=BB398_803 Depth=1
	v_bfe_u32 v8, v11, 16, 1
	s_delay_alu instid0(VALU_DEP_1)
	v_add3_u32 v37, v11, v8, 0x7fff
                                        ; implicit-def: $vgpr8_vgpr9_vgpr10_vgpr11
; %bb.817:                              ;   in Loop: Header=BB398_803 Depth=1
	s_and_not1_saveexec_b32 s0, s0
; %bb.818:                              ;   in Loop: Header=BB398_803 Depth=1
	v_and_b32_e32 v8, 0xffff, v11
	v_or_b32_e32 v9, 0x10000, v11
	s_delay_alu instid0(VALU_DEP_2) | instskip(NEXT) | instid1(VALU_DEP_2)
	v_cmp_eq_u32_e32 vcc_lo, 0, v8
	v_cndmask_b32_e32 v37, v9, v11, vcc_lo
; %bb.819:                              ;   in Loop: Header=BB398_803 Depth=1
	s_or_b32 exec_lo, exec_lo, s0
	s_waitcnt lgkmcnt(0)
	v_and_b32_e32 v8, 0x7f800000, v0
	s_mov_b32 s0, exec_lo
                                        ; implicit-def: $vgpr38
	s_delay_alu instid0(VALU_DEP_1)
	v_cmpx_ne_u32_e32 0x7f800000, v8
	s_xor_b32 s0, exec_lo, s0
; %bb.820:                              ;   in Loop: Header=BB398_803 Depth=1
	v_bfe_u32 v8, v0, 16, 1
	s_delay_alu instid0(VALU_DEP_1)
	v_add3_u32 v38, v0, v8, 0x7fff
; %bb.821:                              ;   in Loop: Header=BB398_803 Depth=1
	s_and_not1_saveexec_b32 s0, s0
; %bb.822:                              ;   in Loop: Header=BB398_803 Depth=1
	v_and_b32_e32 v8, 0xffff, v0
	v_or_b32_e32 v9, 0x10000, v0
	s_delay_alu instid0(VALU_DEP_2) | instskip(NEXT) | instid1(VALU_DEP_2)
	v_cmp_eq_u32_e32 vcc_lo, 0, v8
	v_cndmask_b32_e32 v38, v9, v0, vcc_lo
; %bb.823:                              ;   in Loop: Header=BB398_803 Depth=1
	s_or_b32 exec_lo, exec_lo, s0
	v_and_b32_e32 v0, 0x7f800000, v1
	s_mov_b32 s0, exec_lo
                                        ; implicit-def: $vgpr39
	s_delay_alu instid0(VALU_DEP_1)
	v_cmpx_ne_u32_e32 0x7f800000, v0
	s_xor_b32 s0, exec_lo, s0
; %bb.824:                              ;   in Loop: Header=BB398_803 Depth=1
	v_bfe_u32 v0, v1, 16, 1
	s_delay_alu instid0(VALU_DEP_1)
	v_add3_u32 v39, v1, v0, 0x7fff
; %bb.825:                              ;   in Loop: Header=BB398_803 Depth=1
	s_and_not1_saveexec_b32 s0, s0
; %bb.826:                              ;   in Loop: Header=BB398_803 Depth=1
	v_and_b32_e32 v0, 0xffff, v1
	v_or_b32_e32 v8, 0x10000, v1
	s_delay_alu instid0(VALU_DEP_2) | instskip(NEXT) | instid1(VALU_DEP_2)
	v_cmp_eq_u32_e32 vcc_lo, 0, v0
	v_cndmask_b32_e32 v39, v8, v1, vcc_lo
; %bb.827:                              ;   in Loop: Header=BB398_803 Depth=1
	s_or_b32 exec_lo, exec_lo, s0
	v_and_b32_e32 v0, 0x7f800000, v2
	s_mov_b32 s0, exec_lo
                                        ; implicit-def: $vgpr48
	s_delay_alu instid0(VALU_DEP_1)
	v_cmpx_ne_u32_e32 0x7f800000, v0
	s_xor_b32 s0, exec_lo, s0
; %bb.828:                              ;   in Loop: Header=BB398_803 Depth=1
	v_bfe_u32 v0, v2, 16, 1
	s_delay_alu instid0(VALU_DEP_1)
	v_add3_u32 v48, v2, v0, 0x7fff
; %bb.829:                              ;   in Loop: Header=BB398_803 Depth=1
	s_and_not1_saveexec_b32 s0, s0
; %bb.830:                              ;   in Loop: Header=BB398_803 Depth=1
	v_and_b32_e32 v0, 0xffff, v2
	v_or_b32_e32 v1, 0x10000, v2
	s_delay_alu instid0(VALU_DEP_2) | instskip(NEXT) | instid1(VALU_DEP_2)
	v_cmp_eq_u32_e32 vcc_lo, 0, v0
	v_cndmask_b32_e32 v48, v1, v2, vcc_lo
; %bb.831:                              ;   in Loop: Header=BB398_803 Depth=1
	s_or_b32 exec_lo, exec_lo, s0
	v_and_b32_e32 v0, 0x7f800000, v3
	s_mov_b32 s0, exec_lo
                                        ; implicit-def: $vgpr49
	s_delay_alu instid0(VALU_DEP_1)
	v_cmpx_ne_u32_e32 0x7f800000, v0
	s_xor_b32 s0, exec_lo, s0
; %bb.832:                              ;   in Loop: Header=BB398_803 Depth=1
	v_bfe_u32 v0, v3, 16, 1
	s_delay_alu instid0(VALU_DEP_1)
	v_add3_u32 v49, v3, v0, 0x7fff
                                        ; implicit-def: $vgpr0_vgpr1_vgpr2_vgpr3
; %bb.833:                              ;   in Loop: Header=BB398_803 Depth=1
	s_and_not1_saveexec_b32 s0, s0
; %bb.834:                              ;   in Loop: Header=BB398_803 Depth=1
	v_and_b32_e32 v0, 0xffff, v3
	v_or_b32_e32 v1, 0x10000, v3
	s_delay_alu instid0(VALU_DEP_2) | instskip(NEXT) | instid1(VALU_DEP_2)
	v_cmp_eq_u32_e32 vcc_lo, 0, v0
	v_cndmask_b32_e32 v49, v1, v3, vcc_lo
; %bb.835:                              ;   in Loop: Header=BB398_803 Depth=1
	s_or_b32 exec_lo, exec_lo, s0
	s_waitcnt vmcnt(0)
	v_mad_i64_i32 v[0:1], null, v50, v22, v[17:18]
	s_mov_b32 s0, exec_lo
	v_mov_b32_e32 v8, 0
	flat_load_b64 v[2:3], v[0:1]
	s_waitcnt vmcnt(0) lgkmcnt(0)
	v_and_b32_e32 v9, 0xff, v2
	s_delay_alu instid0(VALU_DEP_1)
	v_cmpx_ne_u16_e32 0, v9
	s_cbranch_execz .LBB398_843
; %bb.836:                              ;   in Loop: Header=BB398_803 Depth=1
	v_bfrev_b32_e32 v8, 1
	s_mov_b32 s10, exec_lo
	v_cmpx_ne_u16_e32 0x80, v9
	s_cbranch_execz .LBB398_842
; %bb.837:                              ;   in Loop: Header=BB398_803 Depth=1
	v_and_b32_e32 v9, 0x7f, v2
	v_mov_b32_e32 v8, 0x7f800001
	s_mov_b32 s12, exec_lo
	s_delay_alu instid0(VALU_DEP_2)
	v_cmpx_ne_u32_e32 0x7f, v9
	s_cbranch_execz .LBB398_841
; %bb.838:                              ;   in Loop: Header=BB398_803 Depth=1
	v_lshrrev_b32_e32 v10, 3, v9
	v_cmp_gt_u32_e32 vcc_lo, 8, v9
	v_dual_mov_b32 v9, v3 :: v_dual_mov_b32 v8, v2
	s_and_saveexec_b32 s13, vcc_lo
; %bb.839:                              ;   in Loop: Header=BB398_803 Depth=1
	v_and_b32_e32 v8, 7, v2
	s_delay_alu instid0(VALU_DEP_1) | instskip(NEXT) | instid1(VALU_DEP_1)
	v_clz_i32_u32_e32 v8, v8
	v_min_u32_e32 v10, 32, v8
	s_delay_alu instid0(VALU_DEP_1) | instskip(SKIP_1) | instid1(VALU_DEP_2)
	v_subrev_nc_u32_e32 v8, 28, v10
	v_sub_nc_u32_e32 v10, 29, v10
	v_lshlrev_b64 v[8:9], v8, v[2:3]
; %bb.840:                              ;   in Loop: Header=BB398_803 Depth=1
	s_or_b32 exec_lo, exec_lo, s13
	s_delay_alu instid0(VALU_DEP_1) | instskip(SKIP_2) | instid1(VALU_DEP_3)
	v_lshlrev_b32_e32 v8, 20, v8
	v_lshlrev_b32_e32 v9, 24, v2
	v_lshl_add_u32 v10, v10, 23, 0x3c000000
	v_and_b32_e32 v8, 0x700000, v8
	s_delay_alu instid0(VALU_DEP_3) | instskip(NEXT) | instid1(VALU_DEP_1)
	v_and_b32_e32 v9, 0x80000000, v9
	v_or3_b32 v8, v8, v9, v10
.LBB398_841:                            ;   in Loop: Header=BB398_803 Depth=1
	s_or_b32 exec_lo, exec_lo, s12
.LBB398_842:                            ;   in Loop: Header=BB398_803 Depth=1
	s_delay_alu instid0(SALU_CYCLE_1)
	s_or_b32 exec_lo, exec_lo, s10
.LBB398_843:                            ;   in Loop: Header=BB398_803 Depth=1
	s_delay_alu instid0(SALU_CYCLE_1) | instskip(NEXT) | instid1(VALU_DEP_1)
	s_or_b32 exec_lo, exec_lo, s0
	v_mul_f32_e32 v8, v26, v8
	s_mov_b32 s0, exec_lo
                                        ; implicit-def: $vgpr10
	s_delay_alu instid0(VALU_DEP_1) | instskip(NEXT) | instid1(VALU_DEP_1)
	v_and_b32_e32 v9, 0x7f800000, v8
	v_cmpx_ne_u32_e32 0x7f800000, v9
	s_xor_b32 s0, exec_lo, s0
; %bb.844:                              ;   in Loop: Header=BB398_803 Depth=1
	v_bfe_u32 v9, v8, 16, 1
	s_delay_alu instid0(VALU_DEP_1)
	v_add3_u32 v10, v8, v9, 0x7fff
                                        ; implicit-def: $vgpr8
; %bb.845:                              ;   in Loop: Header=BB398_803 Depth=1
	s_and_not1_saveexec_b32 s0, s0
; %bb.846:                              ;   in Loop: Header=BB398_803 Depth=1
	v_and_b32_e32 v9, 0xffff, v8
	v_or_b32_e32 v10, 0x10000, v8
	s_delay_alu instid0(VALU_DEP_2) | instskip(NEXT) | instid1(VALU_DEP_2)
	v_cmp_eq_u32_e32 vcc_lo, 0, v9
	v_cndmask_b32_e32 v10, v10, v8, vcc_lo
; %bb.847:                              ;   in Loop: Header=BB398_803 Depth=1
	s_or_b32 exec_lo, exec_lo, s0
	v_lshrrev_b16 v9, 8, v2
	v_mov_b32_e32 v8, 0
	s_mov_b32 s0, exec_lo
	s_delay_alu instid0(VALU_DEP_2)
	v_cmpx_ne_u16_e32 0, v9
	s_cbranch_execz .LBB398_855
; %bb.848:                              ;   in Loop: Header=BB398_803 Depth=1
	v_bfrev_b32_e32 v8, 1
	s_mov_b32 s10, exec_lo
	v_cmpx_ne_u16_e32 0x80, v9
	s_cbranch_execz .LBB398_854
; %bb.849:                              ;   in Loop: Header=BB398_803 Depth=1
	v_and_b32_e32 v11, 0xffff, v9
	v_mov_b32_e32 v8, 0x7f800001
	s_mov_b32 s12, exec_lo
	s_delay_alu instid0(VALU_DEP_2) | instskip(NEXT) | instid1(VALU_DEP_1)
	v_and_b32_e32 v9, 0x7f, v11
	v_cmpx_ne_u32_e32 0x7f, v9
	s_cbranch_execz .LBB398_853
; %bb.850:                              ;   in Loop: Header=BB398_803 Depth=1
	v_and_b32_e32 v11, 7, v11
	v_lshrrev_b32_e32 v8, 3, v9
	s_mov_b32 s13, exec_lo
	v_cmpx_gt_u32_e32 8, v9
; %bb.851:                              ;   in Loop: Header=BB398_803 Depth=1
	s_delay_alu instid0(VALU_DEP_3) | instskip(NEXT) | instid1(VALU_DEP_1)
	v_clz_i32_u32_e32 v8, v11
	v_min_u32_e32 v8, 32, v8
	s_delay_alu instid0(VALU_DEP_1) | instskip(SKIP_1) | instid1(VALU_DEP_2)
	v_subrev_nc_u32_e32 v9, 28, v8
	v_sub_nc_u32_e32 v8, 29, v8
	v_lshlrev_b64 v[50:51], v9, v[11:12]
	s_delay_alu instid0(VALU_DEP_1)
	v_and_b32_e32 v11, 7, v50
; %bb.852:                              ;   in Loop: Header=BB398_803 Depth=1
	s_or_b32 exec_lo, exec_lo, s13
	v_lshlrev_b32_e32 v9, 16, v2
	s_delay_alu instid0(VALU_DEP_2) | instskip(SKIP_1) | instid1(VALU_DEP_3)
	v_lshlrev_b32_e32 v11, 20, v11
	v_lshl_add_u32 v8, v8, 23, 0x3c000000
	v_and_b32_e32 v9, 0x80000000, v9
	s_delay_alu instid0(VALU_DEP_1)
	v_or3_b32 v8, v11, v9, v8
.LBB398_853:                            ;   in Loop: Header=BB398_803 Depth=1
	s_or_b32 exec_lo, exec_lo, s12
.LBB398_854:                            ;   in Loop: Header=BB398_803 Depth=1
	s_delay_alu instid0(SALU_CYCLE_1)
	s_or_b32 exec_lo, exec_lo, s10
.LBB398_855:                            ;   in Loop: Header=BB398_803 Depth=1
	s_delay_alu instid0(SALU_CYCLE_1) | instskip(NEXT) | instid1(VALU_DEP_1)
	s_or_b32 exec_lo, exec_lo, s0
	v_mul_f32_e32 v8, v26, v8
	s_mov_b32 s0, exec_lo
                                        ; implicit-def: $vgpr51
	s_delay_alu instid0(VALU_DEP_1) | instskip(NEXT) | instid1(VALU_DEP_1)
	v_and_b32_e32 v9, 0x7f800000, v8
	v_cmpx_ne_u32_e32 0x7f800000, v9
	s_xor_b32 s0, exec_lo, s0
; %bb.856:                              ;   in Loop: Header=BB398_803 Depth=1
	v_bfe_u32 v9, v8, 16, 1
	s_delay_alu instid0(VALU_DEP_1)
	v_add3_u32 v51, v8, v9, 0x7fff
                                        ; implicit-def: $vgpr8
; %bb.857:                              ;   in Loop: Header=BB398_803 Depth=1
	s_and_not1_saveexec_b32 s0, s0
; %bb.858:                              ;   in Loop: Header=BB398_803 Depth=1
	v_and_b32_e32 v9, 0xffff, v8
	v_or_b32_e32 v11, 0x10000, v8
	s_delay_alu instid0(VALU_DEP_2) | instskip(NEXT) | instid1(VALU_DEP_2)
	v_cmp_eq_u32_e32 vcc_lo, 0, v9
	v_cndmask_b32_e32 v51, v11, v8, vcc_lo
; %bb.859:                              ;   in Loop: Header=BB398_803 Depth=1
	s_or_b32 exec_lo, exec_lo, s0
	v_lshrrev_b32_e32 v8, 16, v2
	v_mov_b32_e32 v9, 0
	s_mov_b32 s0, exec_lo
	s_delay_alu instid0(VALU_DEP_2) | instskip(NEXT) | instid1(VALU_DEP_1)
	v_and_b32_e32 v11, 0xff, v8
	v_cmpx_ne_u16_e32 0, v11
	s_cbranch_execz .LBB398_867
; %bb.860:                              ;   in Loop: Header=BB398_803 Depth=1
	v_bfrev_b32_e32 v9, 1
	s_mov_b32 s10, exec_lo
	v_cmpx_ne_u16_e32 0x80, v11
	s_cbranch_execz .LBB398_866
; %bb.861:                              ;   in Loop: Header=BB398_803 Depth=1
	v_bfe_u32 v50, v2, 16, 7
	v_mov_b32_e32 v9, 0x7f800001
	s_mov_b32 s12, exec_lo
	s_delay_alu instid0(VALU_DEP_2)
	v_cmpx_ne_u32_e32 0x7f, v50
	s_cbranch_execz .LBB398_865
; %bb.862:                              ;   in Loop: Header=BB398_803 Depth=1
	v_and_b32_e32 v11, 7, v8
	v_lshrrev_b32_e32 v9, 3, v50
	s_mov_b32 s13, exec_lo
	v_cmpx_gt_u32_e32 8, v50
; %bb.863:                              ;   in Loop: Header=BB398_803 Depth=1
	s_delay_alu instid0(VALU_DEP_3) | instskip(NEXT) | instid1(VALU_DEP_1)
	v_clz_i32_u32_e32 v9, v11
	v_min_u32_e32 v9, 32, v9
	s_delay_alu instid0(VALU_DEP_1) | instskip(SKIP_1) | instid1(VALU_DEP_2)
	v_subrev_nc_u32_e32 v50, 28, v9
	v_sub_nc_u32_e32 v9, 29, v9
	v_lshlrev_b64 v[52:53], v50, v[11:12]
	s_delay_alu instid0(VALU_DEP_1)
	v_and_b32_e32 v11, 7, v52
; %bb.864:                              ;   in Loop: Header=BB398_803 Depth=1
	s_or_b32 exec_lo, exec_lo, s13
	v_lshlrev_b32_e32 v8, 24, v8
	s_delay_alu instid0(VALU_DEP_2) | instskip(SKIP_1) | instid1(VALU_DEP_3)
	v_lshlrev_b32_e32 v11, 20, v11
	v_lshl_add_u32 v9, v9, 23, 0x3c000000
	v_and_b32_e32 v8, 0x80000000, v8
	s_delay_alu instid0(VALU_DEP_1)
	v_or3_b32 v9, v11, v8, v9
.LBB398_865:                            ;   in Loop: Header=BB398_803 Depth=1
	s_or_b32 exec_lo, exec_lo, s12
.LBB398_866:                            ;   in Loop: Header=BB398_803 Depth=1
	s_delay_alu instid0(SALU_CYCLE_1)
	s_or_b32 exec_lo, exec_lo, s10
.LBB398_867:                            ;   in Loop: Header=BB398_803 Depth=1
	s_delay_alu instid0(SALU_CYCLE_1) | instskip(NEXT) | instid1(VALU_DEP_1)
	s_or_b32 exec_lo, exec_lo, s0
	v_mul_f32_e32 v8, v26, v9
	s_mov_b32 s0, exec_lo
                                        ; implicit-def: $vgpr52
	s_delay_alu instid0(VALU_DEP_1) | instskip(NEXT) | instid1(VALU_DEP_1)
	v_and_b32_e32 v9, 0x7f800000, v8
	v_cmpx_ne_u32_e32 0x7f800000, v9
	s_xor_b32 s0, exec_lo, s0
; %bb.868:                              ;   in Loop: Header=BB398_803 Depth=1
	v_bfe_u32 v9, v8, 16, 1
	s_delay_alu instid0(VALU_DEP_1)
	v_add3_u32 v52, v8, v9, 0x7fff
                                        ; implicit-def: $vgpr8
; %bb.869:                              ;   in Loop: Header=BB398_803 Depth=1
	s_and_not1_saveexec_b32 s0, s0
; %bb.870:                              ;   in Loop: Header=BB398_803 Depth=1
	v_and_b32_e32 v9, 0xffff, v8
	v_or_b32_e32 v11, 0x10000, v8
	s_delay_alu instid0(VALU_DEP_2) | instskip(NEXT) | instid1(VALU_DEP_2)
	v_cmp_eq_u32_e32 vcc_lo, 0, v9
	v_cndmask_b32_e32 v52, v11, v8, vcc_lo
; %bb.871:                              ;   in Loop: Header=BB398_803 Depth=1
	s_or_b32 exec_lo, exec_lo, s0
	v_mov_b32_e32 v9, 0
	s_mov_b32 s0, exec_lo
	v_cmpx_lt_u32_e32 0xffffff, v2
	s_cbranch_execz .LBB398_879
; %bb.872:                              ;   in Loop: Header=BB398_803 Depth=1
	v_lshrrev_b32_e32 v8, 24, v2
	v_bfrev_b32_e32 v9, 1
	s_mov_b32 s10, exec_lo
	s_delay_alu instid0(VALU_DEP_2)
	v_cmpx_ne_u32_e32 0x80, v8
	s_cbranch_execz .LBB398_878
; %bb.873:                              ;   in Loop: Header=BB398_803 Depth=1
	v_bfe_u32 v50, v2, 24, 7
	v_mov_b32_e32 v9, 0x7f800001
	s_mov_b32 s12, exec_lo
	s_delay_alu instid0(VALU_DEP_2)
	v_cmpx_ne_u32_e32 0x7f, v50
	s_cbranch_execz .LBB398_877
; %bb.874:                              ;   in Loop: Header=BB398_803 Depth=1
	v_and_b32_e32 v11, 7, v8
	v_lshrrev_b32_e32 v9, 3, v50
	s_mov_b32 s13, exec_lo
	v_cmpx_gt_u32_e32 8, v50
; %bb.875:                              ;   in Loop: Header=BB398_803 Depth=1
	s_delay_alu instid0(VALU_DEP_3) | instskip(NEXT) | instid1(VALU_DEP_1)
	v_clz_i32_u32_e32 v9, v11
	v_min_u32_e32 v9, 32, v9
	s_delay_alu instid0(VALU_DEP_1) | instskip(SKIP_1) | instid1(VALU_DEP_2)
	v_subrev_nc_u32_e32 v50, 28, v9
	v_sub_nc_u32_e32 v9, 29, v9
	v_lshlrev_b64 v[53:54], v50, v[11:12]
	s_delay_alu instid0(VALU_DEP_1)
	v_and_b32_e32 v11, 7, v53
; %bb.876:                              ;   in Loop: Header=BB398_803 Depth=1
	s_or_b32 exec_lo, exec_lo, s13
	v_lshlrev_b32_e32 v8, 24, v8
	s_delay_alu instid0(VALU_DEP_2) | instskip(SKIP_1) | instid1(VALU_DEP_3)
	v_lshlrev_b32_e32 v11, 20, v11
	v_lshl_add_u32 v9, v9, 23, 0x3c000000
	v_and_b32_e32 v8, 0x80000000, v8
	s_delay_alu instid0(VALU_DEP_1)
	v_or3_b32 v9, v11, v8, v9
.LBB398_877:                            ;   in Loop: Header=BB398_803 Depth=1
	s_or_b32 exec_lo, exec_lo, s12
.LBB398_878:                            ;   in Loop: Header=BB398_803 Depth=1
	s_delay_alu instid0(SALU_CYCLE_1)
	s_or_b32 exec_lo, exec_lo, s10
.LBB398_879:                            ;   in Loop: Header=BB398_803 Depth=1
	s_delay_alu instid0(SALU_CYCLE_1) | instskip(NEXT) | instid1(VALU_DEP_1)
	s_or_b32 exec_lo, exec_lo, s0
	v_mul_f32_e32 v8, v26, v9
	s_mov_b32 s0, exec_lo
                                        ; implicit-def: $vgpr53
	s_delay_alu instid0(VALU_DEP_1) | instskip(NEXT) | instid1(VALU_DEP_1)
	v_and_b32_e32 v9, 0x7f800000, v8
	v_cmpx_ne_u32_e32 0x7f800000, v9
	s_xor_b32 s0, exec_lo, s0
; %bb.880:                              ;   in Loop: Header=BB398_803 Depth=1
	v_bfe_u32 v9, v8, 16, 1
	s_delay_alu instid0(VALU_DEP_1)
	v_add3_u32 v53, v8, v9, 0x7fff
                                        ; implicit-def: $vgpr8
; %bb.881:                              ;   in Loop: Header=BB398_803 Depth=1
	s_and_not1_saveexec_b32 s0, s0
; %bb.882:                              ;   in Loop: Header=BB398_803 Depth=1
	v_and_b32_e32 v9, 0xffff, v8
	v_or_b32_e32 v11, 0x10000, v8
	s_delay_alu instid0(VALU_DEP_2) | instskip(NEXT) | instid1(VALU_DEP_2)
	v_cmp_eq_u32_e32 vcc_lo, 0, v9
	v_cndmask_b32_e32 v53, v11, v8, vcc_lo
; %bb.883:                              ;   in Loop: Header=BB398_803 Depth=1
	s_or_b32 exec_lo, exec_lo, s0
	v_dual_mov_b32 v8, 0 :: v_dual_and_b32 v9, 0xff, v3
	v_mov_b32_e32 v11, v3
	s_mov_b32 s0, exec_lo
	s_delay_alu instid0(VALU_DEP_2)
	v_cmpx_ne_u16_e32 0, v9
	s_cbranch_execz .LBB398_891
; %bb.884:                              ;   in Loop: Header=BB398_803 Depth=1
	v_bfrev_b32_e32 v8, 1
	s_mov_b32 s10, exec_lo
	v_cmpx_ne_u16_e32 0x80, v9
	s_cbranch_execz .LBB398_890
; %bb.885:                              ;   in Loop: Header=BB398_803 Depth=1
	v_and_b32_e32 v9, 0x7f, v3
	v_mov_b32_e32 v8, 0x7f800001
	s_mov_b32 s12, exec_lo
	s_delay_alu instid0(VALU_DEP_2)
	v_cmpx_ne_u32_e32 0x7f, v9
	s_cbranch_execz .LBB398_889
; %bb.886:                              ;   in Loop: Header=BB398_803 Depth=1
	v_lshrrev_b32_e32 v50, 3, v9
	v_cmp_gt_u32_e32 vcc_lo, 8, v9
	v_dual_mov_b32 v8, v11 :: v_dual_mov_b32 v9, v12
	s_and_saveexec_b32 s13, vcc_lo
; %bb.887:                              ;   in Loop: Header=BB398_803 Depth=1
	v_and_b32_e32 v8, 7, v3
	s_delay_alu instid0(VALU_DEP_1) | instskip(NEXT) | instid1(VALU_DEP_1)
	v_clz_i32_u32_e32 v8, v8
	v_min_u32_e32 v50, 32, v8
	s_delay_alu instid0(VALU_DEP_1) | instskip(SKIP_1) | instid1(VALU_DEP_2)
	v_subrev_nc_u32_e32 v8, 28, v50
	v_sub_nc_u32_e32 v50, 29, v50
	v_lshlrev_b64 v[8:9], v8, v[11:12]
; %bb.888:                              ;   in Loop: Header=BB398_803 Depth=1
	s_or_b32 exec_lo, exec_lo, s13
	s_delay_alu instid0(VALU_DEP_1) | instskip(SKIP_2) | instid1(VALU_DEP_3)
	v_lshlrev_b32_e32 v8, 20, v8
	v_lshlrev_b32_e32 v9, 24, v11
	v_lshl_add_u32 v50, v50, 23, 0x3c000000
	v_and_b32_e32 v8, 0x700000, v8
	s_delay_alu instid0(VALU_DEP_3) | instskip(NEXT) | instid1(VALU_DEP_1)
	v_and_b32_e32 v9, 0x80000000, v9
	v_or3_b32 v8, v8, v9, v50
.LBB398_889:                            ;   in Loop: Header=BB398_803 Depth=1
	s_or_b32 exec_lo, exec_lo, s12
.LBB398_890:                            ;   in Loop: Header=BB398_803 Depth=1
	s_delay_alu instid0(SALU_CYCLE_1)
	s_or_b32 exec_lo, exec_lo, s10
.LBB398_891:                            ;   in Loop: Header=BB398_803 Depth=1
	s_delay_alu instid0(SALU_CYCLE_1) | instskip(NEXT) | instid1(VALU_DEP_1)
	s_or_b32 exec_lo, exec_lo, s0
	v_mul_f32_e32 v8, v26, v8
	s_mov_b32 s0, exec_lo
                                        ; implicit-def: $vgpr54
	s_delay_alu instid0(VALU_DEP_1) | instskip(NEXT) | instid1(VALU_DEP_1)
	v_and_b32_e32 v9, 0x7f800000, v8
	v_cmpx_ne_u32_e32 0x7f800000, v9
	s_xor_b32 s0, exec_lo, s0
; %bb.892:                              ;   in Loop: Header=BB398_803 Depth=1
	v_bfe_u32 v9, v8, 16, 1
	s_delay_alu instid0(VALU_DEP_1)
	v_add3_u32 v54, v8, v9, 0x7fff
                                        ; implicit-def: $vgpr8
; %bb.893:                              ;   in Loop: Header=BB398_803 Depth=1
	s_and_not1_saveexec_b32 s0, s0
; %bb.894:                              ;   in Loop: Header=BB398_803 Depth=1
	v_and_b32_e32 v9, 0xffff, v8
	v_or_b32_e32 v50, 0x10000, v8
	s_delay_alu instid0(VALU_DEP_2) | instskip(NEXT) | instid1(VALU_DEP_2)
	v_cmp_eq_u32_e32 vcc_lo, 0, v9
	v_cndmask_b32_e32 v54, v50, v8, vcc_lo
; %bb.895:                              ;   in Loop: Header=BB398_803 Depth=1
	s_or_b32 exec_lo, exec_lo, s0
	v_lshrrev_b16 v9, 8, v11
	v_mov_b32_e32 v8, 0
	s_mov_b32 s0, exec_lo
	s_delay_alu instid0(VALU_DEP_2)
	v_cmpx_ne_u16_e32 0, v9
	s_cbranch_execz .LBB398_903
; %bb.896:                              ;   in Loop: Header=BB398_803 Depth=1
	v_bfrev_b32_e32 v8, 1
	s_mov_b32 s10, exec_lo
	v_cmpx_ne_u16_e32 0x80, v9
	s_cbranch_execz .LBB398_902
; %bb.897:                              ;   in Loop: Header=BB398_803 Depth=1
	v_and_b32_e32 v9, 0xffff, v9
	v_mov_b32_e32 v8, 0x7f800001
	s_mov_b32 s12, exec_lo
	s_delay_alu instid0(VALU_DEP_2) | instskip(NEXT) | instid1(VALU_DEP_1)
	v_and_b32_e32 v55, 0x7f, v9
	v_cmpx_ne_u32_e32 0x7f, v55
	s_cbranch_execz .LBB398_901
; %bb.898:                              ;   in Loop: Header=BB398_803 Depth=1
	v_dual_mov_b32 v9, v12 :: v_dual_and_b32 v8, 7, v9
	v_lshrrev_b32_e32 v50, 3, v55
	s_mov_b32 s13, exec_lo
	v_cmpx_gt_u32_e32 8, v55
; %bb.899:                              ;   in Loop: Header=BB398_803 Depth=1
	s_delay_alu instid0(VALU_DEP_3) | instskip(NEXT) | instid1(VALU_DEP_1)
	v_clz_i32_u32_e32 v50, v8
	v_min_u32_e32 v50, 32, v50
	s_delay_alu instid0(VALU_DEP_1) | instskip(SKIP_1) | instid1(VALU_DEP_2)
	v_subrev_nc_u32_e32 v55, 28, v50
	v_sub_nc_u32_e32 v50, 29, v50
	v_lshlrev_b64 v[8:9], v55, v[8:9]
	s_delay_alu instid0(VALU_DEP_1)
	v_and_b32_e32 v8, 7, v8
; %bb.900:                              ;   in Loop: Header=BB398_803 Depth=1
	s_or_b32 exec_lo, exec_lo, s13
	v_lshlrev_b32_e32 v9, 16, v11
	s_delay_alu instid0(VALU_DEP_2) | instskip(SKIP_1) | instid1(VALU_DEP_3)
	v_lshlrev_b32_e32 v8, 20, v8
	v_lshl_add_u32 v11, v50, 23, 0x3c000000
	v_and_b32_e32 v9, 0x80000000, v9
	s_delay_alu instid0(VALU_DEP_1)
	v_or3_b32 v8, v8, v9, v11
.LBB398_901:                            ;   in Loop: Header=BB398_803 Depth=1
	s_or_b32 exec_lo, exec_lo, s12
.LBB398_902:                            ;   in Loop: Header=BB398_803 Depth=1
	s_delay_alu instid0(SALU_CYCLE_1)
	s_or_b32 exec_lo, exec_lo, s10
.LBB398_903:                            ;   in Loop: Header=BB398_803 Depth=1
	s_delay_alu instid0(SALU_CYCLE_1) | instskip(NEXT) | instid1(VALU_DEP_1)
	s_or_b32 exec_lo, exec_lo, s0
	v_mul_f32_e32 v9, v26, v8
	s_delay_alu instid0(VALU_DEP_1) | instskip(NEXT) | instid1(VALU_DEP_1)
	v_and_b32_e32 v8, 0x7f800000, v9
	v_cmp_ne_u32_e32 vcc_lo, 0x7f800000, v8
                                        ; implicit-def: $vgpr8
	s_and_saveexec_b32 s0, vcc_lo
	s_delay_alu instid0(SALU_CYCLE_1)
	s_xor_b32 s0, exec_lo, s0
; %bb.904:                              ;   in Loop: Header=BB398_803 Depth=1
	v_bfe_u32 v8, v9, 16, 1
	s_delay_alu instid0(VALU_DEP_1)
	v_add3_u32 v8, v9, v8, 0x7fff
                                        ; implicit-def: $vgpr9
; %bb.905:                              ;   in Loop: Header=BB398_803 Depth=1
	s_and_not1_saveexec_b32 s0, s0
; %bb.906:                              ;   in Loop: Header=BB398_803 Depth=1
	v_and_b32_e32 v8, 0xffff, v9
	v_or_b32_e32 v11, 0x10000, v9
	s_delay_alu instid0(VALU_DEP_2) | instskip(NEXT) | instid1(VALU_DEP_2)
	v_cmp_eq_u32_e32 vcc_lo, 0, v8
	v_cndmask_b32_e32 v8, v11, v9, vcc_lo
; %bb.907:                              ;   in Loop: Header=BB398_803 Depth=1
	s_or_b32 exec_lo, exec_lo, s0
	v_lshrrev_b32_e32 v9, 16, v3
	s_mov_b32 s0, exec_lo
	s_delay_alu instid0(VALU_DEP_1) | instskip(NEXT) | instid1(VALU_DEP_1)
	v_dual_mov_b32 v11, 0 :: v_dual_and_b32 v50, 0xff, v9
	v_cmpx_ne_u16_e32 0, v50
	s_cbranch_execz .LBB398_915
; %bb.908:                              ;   in Loop: Header=BB398_803 Depth=1
	v_bfrev_b32_e32 v11, 1
	s_mov_b32 s10, exec_lo
	v_cmpx_ne_u16_e32 0x80, v50
	s_cbranch_execz .LBB398_914
; %bb.909:                              ;   in Loop: Header=BB398_803 Depth=1
	v_bfe_u32 v55, v3, 16, 7
	v_mov_b32_e32 v11, 0x7f800001
	s_mov_b32 s12, exec_lo
	s_delay_alu instid0(VALU_DEP_2)
	v_cmpx_ne_u32_e32 0x7f, v55
	s_cbranch_execz .LBB398_913
; %bb.910:                              ;   in Loop: Header=BB398_803 Depth=1
	v_and_b32_e32 v11, 7, v9
	v_lshrrev_b32_e32 v50, 3, v55
	s_mov_b32 s13, exec_lo
	v_cmpx_gt_u32_e32 8, v55
; %bb.911:                              ;   in Loop: Header=BB398_803 Depth=1
	s_delay_alu instid0(VALU_DEP_3) | instskip(NEXT) | instid1(VALU_DEP_1)
	v_clz_i32_u32_e32 v50, v11
	v_min_u32_e32 v50, 32, v50
	s_delay_alu instid0(VALU_DEP_1) | instskip(SKIP_1) | instid1(VALU_DEP_2)
	v_subrev_nc_u32_e32 v55, 28, v50
	v_sub_nc_u32_e32 v50, 29, v50
	v_lshlrev_b64 v[66:67], v55, v[11:12]
	s_delay_alu instid0(VALU_DEP_1)
	v_and_b32_e32 v11, 7, v66
; %bb.912:                              ;   in Loop: Header=BB398_803 Depth=1
	s_or_b32 exec_lo, exec_lo, s13
	v_lshlrev_b32_e32 v9, 24, v9
	s_delay_alu instid0(VALU_DEP_2) | instskip(SKIP_1) | instid1(VALU_DEP_3)
	v_lshlrev_b32_e32 v11, 20, v11
	v_lshl_add_u32 v50, v50, 23, 0x3c000000
	v_and_b32_e32 v9, 0x80000000, v9
	s_delay_alu instid0(VALU_DEP_1)
	v_or3_b32 v11, v11, v9, v50
.LBB398_913:                            ;   in Loop: Header=BB398_803 Depth=1
	s_or_b32 exec_lo, exec_lo, s12
.LBB398_914:                            ;   in Loop: Header=BB398_803 Depth=1
	s_delay_alu instid0(SALU_CYCLE_1)
	s_or_b32 exec_lo, exec_lo, s10
.LBB398_915:                            ;   in Loop: Header=BB398_803 Depth=1
	s_delay_alu instid0(SALU_CYCLE_1) | instskip(NEXT) | instid1(VALU_DEP_1)
	s_or_b32 exec_lo, exec_lo, s0
	v_mul_f32_e32 v9, v26, v11
	s_mov_b32 s0, exec_lo
                                        ; implicit-def: $vgpr55
	s_delay_alu instid0(VALU_DEP_1) | instskip(NEXT) | instid1(VALU_DEP_1)
	v_and_b32_e32 v11, 0x7f800000, v9
	v_cmpx_ne_u32_e32 0x7f800000, v11
	s_xor_b32 s0, exec_lo, s0
; %bb.916:                              ;   in Loop: Header=BB398_803 Depth=1
	v_bfe_u32 v11, v9, 16, 1
	s_delay_alu instid0(VALU_DEP_1)
	v_add3_u32 v55, v9, v11, 0x7fff
                                        ; implicit-def: $vgpr9
; %bb.917:                              ;   in Loop: Header=BB398_803 Depth=1
	s_and_not1_saveexec_b32 s0, s0
; %bb.918:                              ;   in Loop: Header=BB398_803 Depth=1
	v_and_b32_e32 v11, 0xffff, v9
	v_or_b32_e32 v50, 0x10000, v9
	s_delay_alu instid0(VALU_DEP_2) | instskip(NEXT) | instid1(VALU_DEP_2)
	v_cmp_eq_u32_e32 vcc_lo, 0, v11
	v_cndmask_b32_e32 v55, v50, v9, vcc_lo
; %bb.919:                              ;   in Loop: Header=BB398_803 Depth=1
	s_or_b32 exec_lo, exec_lo, s0
	v_mov_b32_e32 v9, 0
	s_mov_b32 s0, exec_lo
	v_cmpx_lt_u64_e64 s[8:9], v[2:3]
	s_cbranch_execz .LBB398_927
; %bb.920:                              ;   in Loop: Header=BB398_803 Depth=1
	v_lshrrev_b32_e32 v2, 24, v3
	v_bfrev_b32_e32 v9, 1
	s_mov_b32 s10, exec_lo
	s_delay_alu instid0(VALU_DEP_2)
	v_cmpx_ne_u32_e32 0x80, v2
	s_cbranch_execz .LBB398_926
; %bb.921:                              ;   in Loop: Header=BB398_803 Depth=1
	v_bfe_u32 v50, v3, 24, 7
	v_mov_b32_e32 v9, 0x7f800001
	s_mov_b32 s12, exec_lo
	s_delay_alu instid0(VALU_DEP_2)
	v_cmpx_ne_u32_e32 0x7f, v50
	s_cbranch_execz .LBB398_925
; %bb.922:                              ;   in Loop: Header=BB398_803 Depth=1
	v_and_b32_e32 v11, 7, v2
	v_lshrrev_b32_e32 v3, 3, v50
	s_mov_b32 s13, exec_lo
	v_cmpx_gt_u32_e32 8, v50
; %bb.923:                              ;   in Loop: Header=BB398_803 Depth=1
	s_delay_alu instid0(VALU_DEP_3) | instskip(NEXT) | instid1(VALU_DEP_1)
	v_clz_i32_u32_e32 v3, v11
	v_min_u32_e32 v3, 32, v3
	s_delay_alu instid0(VALU_DEP_1) | instskip(SKIP_1) | instid1(VALU_DEP_2)
	v_subrev_nc_u32_e32 v9, 28, v3
	v_sub_nc_u32_e32 v3, 29, v3
	v_lshlrev_b64 v[66:67], v9, v[11:12]
	s_delay_alu instid0(VALU_DEP_1)
	v_and_b32_e32 v11, 7, v66
; %bb.924:                              ;   in Loop: Header=BB398_803 Depth=1
	s_or_b32 exec_lo, exec_lo, s13
	v_lshlrev_b32_e32 v2, 24, v2
	s_delay_alu instid0(VALU_DEP_2) | instskip(SKIP_1) | instid1(VALU_DEP_3)
	v_lshlrev_b32_e32 v9, 20, v11
	v_lshl_add_u32 v3, v3, 23, 0x3c000000
	v_and_b32_e32 v2, 0x80000000, v2
	s_delay_alu instid0(VALU_DEP_1)
	v_or3_b32 v9, v9, v2, v3
.LBB398_925:                            ;   in Loop: Header=BB398_803 Depth=1
	s_or_b32 exec_lo, exec_lo, s12
.LBB398_926:                            ;   in Loop: Header=BB398_803 Depth=1
	s_delay_alu instid0(SALU_CYCLE_1)
	s_or_b32 exec_lo, exec_lo, s10
.LBB398_927:                            ;   in Loop: Header=BB398_803 Depth=1
	s_delay_alu instid0(SALU_CYCLE_1) | instskip(NEXT) | instid1(VALU_DEP_1)
	s_or_b32 exec_lo, exec_lo, s0
	v_mul_f32_e32 v3, v26, v9
	s_delay_alu instid0(VALU_DEP_1) | instskip(NEXT) | instid1(VALU_DEP_1)
	v_and_b32_e32 v2, 0x7f800000, v3
	v_cmp_ne_u32_e32 vcc_lo, 0x7f800000, v2
                                        ; implicit-def: $vgpr2
	s_and_saveexec_b32 s0, vcc_lo
	s_delay_alu instid0(SALU_CYCLE_1)
	s_xor_b32 s0, exec_lo, s0
; %bb.928:                              ;   in Loop: Header=BB398_803 Depth=1
	v_bfe_u32 v2, v3, 16, 1
	s_delay_alu instid0(VALU_DEP_1)
	v_add3_u32 v2, v3, v2, 0x7fff
                                        ; implicit-def: $vgpr3
; %bb.929:                              ;   in Loop: Header=BB398_803 Depth=1
	s_and_not1_saveexec_b32 s0, s0
; %bb.930:                              ;   in Loop: Header=BB398_803 Depth=1
	v_and_b32_e32 v2, 0xffff, v3
	v_or_b32_e32 v9, 0x10000, v3
	s_delay_alu instid0(VALU_DEP_2) | instskip(NEXT) | instid1(VALU_DEP_2)
	v_cmp_eq_u32_e32 vcc_lo, 0, v2
	v_cndmask_b32_e32 v2, v9, v3, vcc_lo
; %bb.931:                              ;   in Loop: Header=BB398_803 Depth=1
	s_or_b32 exec_lo, exec_lo, s0
	v_cmp_eq_u32_e32 vcc_lo, v27, v16
	v_add_nc_u32_e32 v50, -7, v15
	v_lshrrev_b32_e32 v8, 16, v8
	v_lshrrev_b32_e32 v9, 16, v54
	;; [unrolled: 1-line block ×8, first 2 shown]
	v_add_nc_u32_e32 v64, -6, v15
	v_add_nc_u32_e32 v55, -5, v15
	;; [unrolled: 1-line block ×6, first 2 shown]
	s_and_saveexec_b32 s10, vcc_lo
	s_cbranch_execz .LBB398_933
; %bb.932:                              ;   in Loop: Header=BB398_803 Depth=1
	v_cmp_lt_i32_e64 s0, v50, v32
	s_delay_alu instid0(VALU_DEP_1) | instskip(SKIP_1) | instid1(VALU_DEP_1)
	v_cndmask_b32_e64 v10, 0, v10, s0
	v_cmp_lt_i32_e64 s0, v64, v32
	v_cndmask_b32_e64 v67, 0, v67, s0
	v_cmp_lt_i32_e64 s0, v55, v32
	s_delay_alu instid0(VALU_DEP_1) | instskip(SKIP_1) | instid1(VALU_DEP_1)
	v_cndmask_b32_e64 v68, 0, v68, s0
	v_cmp_lt_i32_e64 s0, v54, v32
	v_cndmask_b32_e64 v11, 0, v11, s0
	;; [unrolled: 5-line block ×4, first 2 shown]
.LBB398_933:                            ;   in Loop: Header=BB398_803 Depth=1
	s_or_b32 exec_lo, exec_lo, s10
	v_and_b32_e32 v65, 0xffff0000, v65
	v_lshlrev_b32_e32 v10, 16, v10
	s_delay_alu instid0(VALU_DEP_1) | instskip(NEXT) | instid1(VALU_DEP_1)
	v_mul_f32_e32 v66, v65, v10
	v_and_b32_e32 v10, 0x7f800000, v66
	s_delay_alu instid0(VALU_DEP_1) | instskip(NEXT) | instid1(VALU_DEP_1)
	v_cmp_ne_u32_e64 s0, 0x7f800000, v10
                                        ; implicit-def: $vgpr10
	s_and_saveexec_b32 s10, s0
	s_delay_alu instid0(SALU_CYCLE_1)
	s_xor_b32 s0, exec_lo, s10
; %bb.934:                              ;   in Loop: Header=BB398_803 Depth=1
	v_bfe_u32 v10, v66, 16, 1
	s_delay_alu instid0(VALU_DEP_1)
	v_add3_u32 v10, v66, v10, 0x7fff
                                        ; implicit-def: $vgpr66
; %bb.935:                              ;   in Loop: Header=BB398_803 Depth=1
	s_and_not1_saveexec_b32 s10, s0
; %bb.936:                              ;   in Loop: Header=BB398_803 Depth=1
	v_and_b32_e32 v10, 0xffff, v66
	v_or_b32_e32 v69, 0x10000, v66
	s_delay_alu instid0(VALU_DEP_2) | instskip(NEXT) | instid1(VALU_DEP_1)
	v_cmp_eq_u32_e64 s0, 0, v10
	v_cndmask_b32_e64 v10, v69, v66, s0
; %bb.937:                              ;   in Loop: Header=BB398_803 Depth=1
	s_or_b32 exec_lo, exec_lo, s10
	v_and_b32_e32 v66, 0xffff0000, v35
	v_lshlrev_b32_e32 v35, 16, v67
	s_delay_alu instid0(VALU_DEP_1) | instskip(NEXT) | instid1(VALU_DEP_1)
	v_mul_f32_e32 v67, v66, v35
	v_and_b32_e32 v35, 0x7f800000, v67
	s_delay_alu instid0(VALU_DEP_1) | instskip(NEXT) | instid1(VALU_DEP_1)
	v_cmp_ne_u32_e64 s0, 0x7f800000, v35
                                        ; implicit-def: $vgpr35
	s_and_saveexec_b32 s10, s0
	s_delay_alu instid0(SALU_CYCLE_1)
	s_xor_b32 s0, exec_lo, s10
; %bb.938:                              ;   in Loop: Header=BB398_803 Depth=1
	v_bfe_u32 v35, v67, 16, 1
	s_delay_alu instid0(VALU_DEP_1)
	v_add3_u32 v35, v67, v35, 0x7fff
                                        ; implicit-def: $vgpr67
; %bb.939:                              ;   in Loop: Header=BB398_803 Depth=1
	s_and_not1_saveexec_b32 s10, s0
; %bb.940:                              ;   in Loop: Header=BB398_803 Depth=1
	v_and_b32_e32 v35, 0xffff, v67
	v_or_b32_e32 v69, 0x10000, v67
	s_delay_alu instid0(VALU_DEP_2) | instskip(NEXT) | instid1(VALU_DEP_1)
	v_cmp_eq_u32_e64 s0, 0, v35
	v_cndmask_b32_e64 v35, v69, v67, s0
; %bb.941:                              ;   in Loop: Header=BB398_803 Depth=1
	s_or_b32 exec_lo, exec_lo, s10
	v_and_b32_e32 v67, 0xffff0000, v36
	v_lshlrev_b32_e32 v36, 16, v68
	s_delay_alu instid0(VALU_DEP_1) | instskip(NEXT) | instid1(VALU_DEP_1)
	v_mul_f32_e32 v68, v67, v36
	v_and_b32_e32 v36, 0x7f800000, v68
	s_delay_alu instid0(VALU_DEP_1) | instskip(NEXT) | instid1(VALU_DEP_1)
	v_cmp_ne_u32_e64 s0, 0x7f800000, v36
                                        ; implicit-def: $vgpr36
	s_and_saveexec_b32 s10, s0
	s_delay_alu instid0(SALU_CYCLE_1)
	s_xor_b32 s0, exec_lo, s10
; %bb.942:                              ;   in Loop: Header=BB398_803 Depth=1
	v_bfe_u32 v36, v68, 16, 1
	s_delay_alu instid0(VALU_DEP_1)
	v_add3_u32 v36, v68, v36, 0x7fff
                                        ; implicit-def: $vgpr68
; %bb.943:                              ;   in Loop: Header=BB398_803 Depth=1
	s_and_not1_saveexec_b32 s10, s0
; %bb.944:                              ;   in Loop: Header=BB398_803 Depth=1
	v_and_b32_e32 v36, 0xffff, v68
	v_or_b32_e32 v69, 0x10000, v68
	s_delay_alu instid0(VALU_DEP_2) | instskip(NEXT) | instid1(VALU_DEP_1)
	v_cmp_eq_u32_e64 s0, 0, v36
	v_cndmask_b32_e64 v36, v69, v68, s0
; %bb.945:                              ;   in Loop: Header=BB398_803 Depth=1
	s_or_b32 exec_lo, exec_lo, s10
	v_and_b32_e32 v68, 0xffff0000, v37
	v_lshlrev_b32_e32 v11, 16, v11
	s_delay_alu instid0(VALU_DEP_1) | instskip(NEXT) | instid1(VALU_DEP_1)
	v_mul_f32_e32 v11, v68, v11
	v_and_b32_e32 v37, 0x7f800000, v11
	s_delay_alu instid0(VALU_DEP_1) | instskip(NEXT) | instid1(VALU_DEP_1)
	v_cmp_ne_u32_e64 s0, 0x7f800000, v37
                                        ; implicit-def: $vgpr37
	s_and_saveexec_b32 s10, s0
	s_delay_alu instid0(SALU_CYCLE_1)
	s_xor_b32 s0, exec_lo, s10
; %bb.946:                              ;   in Loop: Header=BB398_803 Depth=1
	v_bfe_u32 v37, v11, 16, 1
	s_delay_alu instid0(VALU_DEP_1)
	v_add3_u32 v37, v11, v37, 0x7fff
                                        ; implicit-def: $vgpr11
; %bb.947:                              ;   in Loop: Header=BB398_803 Depth=1
	s_and_not1_saveexec_b32 s10, s0
; %bb.948:                              ;   in Loop: Header=BB398_803 Depth=1
	v_and_b32_e32 v37, 0xffff, v11
	v_or_b32_e32 v69, 0x10000, v11
	s_delay_alu instid0(VALU_DEP_2) | instskip(NEXT) | instid1(VALU_DEP_1)
	v_cmp_eq_u32_e64 s0, 0, v37
	v_cndmask_b32_e64 v37, v69, v11, s0
; %bb.949:                              ;   in Loop: Header=BB398_803 Depth=1
	s_or_b32 exec_lo, exec_lo, s10
	v_and_b32_e32 v69, 0xffff0000, v38
	v_lshlrev_b32_e32 v9, 16, v9
                                        ; implicit-def: $vgpr38
	s_delay_alu instid0(VALU_DEP_1) | instskip(NEXT) | instid1(VALU_DEP_1)
	v_mul_f32_e32 v9, v69, v9
	v_and_b32_e32 v11, 0x7f800000, v9
	s_delay_alu instid0(VALU_DEP_1) | instskip(NEXT) | instid1(VALU_DEP_1)
	v_cmp_ne_u32_e64 s0, 0x7f800000, v11
	s_and_saveexec_b32 s10, s0
	s_delay_alu instid0(SALU_CYCLE_1)
	s_xor_b32 s0, exec_lo, s10
; %bb.950:                              ;   in Loop: Header=BB398_803 Depth=1
	v_bfe_u32 v11, v9, 16, 1
	s_delay_alu instid0(VALU_DEP_1)
	v_add3_u32 v38, v9, v11, 0x7fff
                                        ; implicit-def: $vgpr9
; %bb.951:                              ;   in Loop: Header=BB398_803 Depth=1
	s_and_not1_saveexec_b32 s10, s0
; %bb.952:                              ;   in Loop: Header=BB398_803 Depth=1
	v_and_b32_e32 v11, 0xffff, v9
	v_or_b32_e32 v38, 0x10000, v9
	s_delay_alu instid0(VALU_DEP_2) | instskip(NEXT) | instid1(VALU_DEP_1)
	v_cmp_eq_u32_e64 s0, 0, v11
	v_cndmask_b32_e64 v38, v38, v9, s0
; %bb.953:                              ;   in Loop: Header=BB398_803 Depth=1
	s_or_b32 exec_lo, exec_lo, s10
	v_and_b32_e32 v70, 0xffff0000, v39
	v_lshlrev_b32_e32 v8, 16, v8
                                        ; implicit-def: $vgpr39
	s_delay_alu instid0(VALU_DEP_1) | instskip(NEXT) | instid1(VALU_DEP_1)
	v_mul_f32_e32 v8, v70, v8
	v_and_b32_e32 v9, 0x7f800000, v8
	s_delay_alu instid0(VALU_DEP_1) | instskip(NEXT) | instid1(VALU_DEP_1)
	v_cmp_ne_u32_e64 s0, 0x7f800000, v9
	s_and_saveexec_b32 s10, s0
	s_delay_alu instid0(SALU_CYCLE_1)
	s_xor_b32 s0, exec_lo, s10
; %bb.954:                              ;   in Loop: Header=BB398_803 Depth=1
	v_bfe_u32 v9, v8, 16, 1
	s_delay_alu instid0(VALU_DEP_1)
	v_add3_u32 v39, v8, v9, 0x7fff
                                        ; implicit-def: $vgpr8
; %bb.955:                              ;   in Loop: Header=BB398_803 Depth=1
	s_and_not1_saveexec_b32 s10, s0
; %bb.956:                              ;   in Loop: Header=BB398_803 Depth=1
	v_and_b32_e32 v9, 0xffff, v8
	v_or_b32_e32 v11, 0x10000, v8
	s_delay_alu instid0(VALU_DEP_2) | instskip(NEXT) | instid1(VALU_DEP_1)
	v_cmp_eq_u32_e64 s0, 0, v9
	v_cndmask_b32_e64 v39, v11, v8, s0
; %bb.957:                              ;   in Loop: Header=BB398_803 Depth=1
	s_or_b32 exec_lo, exec_lo, s10
	v_and_b32_e32 v71, 0xffff0000, v48
	v_lshlrev_b32_e32 v3, 16, v3
                                        ; implicit-def: $vgpr48
	s_delay_alu instid0(VALU_DEP_1) | instskip(NEXT) | instid1(VALU_DEP_1)
	v_mul_f32_e32 v3, v71, v3
	v_and_b32_e32 v8, 0x7f800000, v3
	s_delay_alu instid0(VALU_DEP_1) | instskip(NEXT) | instid1(VALU_DEP_1)
	v_cmp_ne_u32_e64 s0, 0x7f800000, v8
	s_and_saveexec_b32 s10, s0
	s_delay_alu instid0(SALU_CYCLE_1)
	s_xor_b32 s0, exec_lo, s10
; %bb.958:                              ;   in Loop: Header=BB398_803 Depth=1
	v_bfe_u32 v8, v3, 16, 1
	s_delay_alu instid0(VALU_DEP_1)
	v_add3_u32 v48, v3, v8, 0x7fff
                                        ; implicit-def: $vgpr3
; %bb.959:                              ;   in Loop: Header=BB398_803 Depth=1
	s_and_not1_saveexec_b32 s10, s0
; %bb.960:                              ;   in Loop: Header=BB398_803 Depth=1
	v_and_b32_e32 v8, 0xffff, v3
	v_or_b32_e32 v9, 0x10000, v3
	s_delay_alu instid0(VALU_DEP_2) | instskip(NEXT) | instid1(VALU_DEP_1)
	v_cmp_eq_u32_e64 s0, 0, v8
	v_cndmask_b32_e64 v48, v9, v3, s0
; %bb.961:                              ;   in Loop: Header=BB398_803 Depth=1
	s_or_b32 exec_lo, exec_lo, s10
	v_and_b32_e32 v80, 0xffff0000, v49
	v_lshlrev_b32_e32 v2, 16, v2
                                        ; implicit-def: $vgpr49
	s_delay_alu instid0(VALU_DEP_1) | instskip(NEXT) | instid1(VALU_DEP_1)
	v_mul_f32_e32 v2, v80, v2
	v_and_b32_e32 v3, 0x7f800000, v2
	s_delay_alu instid0(VALU_DEP_1) | instskip(NEXT) | instid1(VALU_DEP_1)
	v_cmp_ne_u32_e64 s0, 0x7f800000, v3
	s_and_saveexec_b32 s10, s0
	s_delay_alu instid0(SALU_CYCLE_1)
	s_xor_b32 s0, exec_lo, s10
; %bb.962:                              ;   in Loop: Header=BB398_803 Depth=1
	v_bfe_u32 v3, v2, 16, 1
	s_delay_alu instid0(VALU_DEP_1)
	v_add3_u32 v49, v2, v3, 0x7fff
                                        ; implicit-def: $vgpr2
; %bb.963:                              ;   in Loop: Header=BB398_803 Depth=1
	s_and_not1_saveexec_b32 s10, s0
; %bb.964:                              ;   in Loop: Header=BB398_803 Depth=1
	v_and_b32_e32 v3, 0xffff, v2
	v_or_b32_e32 v8, 0x10000, v2
	s_delay_alu instid0(VALU_DEP_2) | instskip(NEXT) | instid1(VALU_DEP_1)
	v_cmp_eq_u32_e64 s0, 0, v3
	v_cndmask_b32_e64 v49, v8, v2, s0
; %bb.965:                              ;   in Loop: Header=BB398_803 Depth=1
	s_or_b32 exec_lo, exec_lo, s10
	flat_load_b64 v[2:3], v[0:1] offset:256
	s_mov_b32 s10, exec_lo
	s_waitcnt vmcnt(0) lgkmcnt(0)
	v_dual_mov_b32 v8, 0 :: v_dual_and_b32 v9, 0xff, v2
	s_delay_alu instid0(VALU_DEP_1)
	v_cmpx_ne_u16_e32 0, v9
	s_cbranch_execz .LBB398_973
; %bb.966:                              ;   in Loop: Header=BB398_803 Depth=1
	v_bfrev_b32_e32 v8, 1
	s_mov_b32 s12, exec_lo
	v_cmpx_ne_u16_e32 0x80, v9
	s_cbranch_execz .LBB398_972
; %bb.967:                              ;   in Loop: Header=BB398_803 Depth=1
	v_and_b32_e32 v9, 0x7f, v2
	v_mov_b32_e32 v8, 0x7f800001
	s_mov_b32 s13, exec_lo
	s_delay_alu instid0(VALU_DEP_2)
	v_cmpx_ne_u32_e32 0x7f, v9
	s_cbranch_execz .LBB398_971
; %bb.968:                              ;   in Loop: Header=BB398_803 Depth=1
	v_lshrrev_b32_e32 v11, 3, v9
	v_cmp_gt_u32_e64 s0, 8, v9
	v_dual_mov_b32 v9, v3 :: v_dual_mov_b32 v8, v2
	s_delay_alu instid0(VALU_DEP_2)
	s_and_saveexec_b32 s15, s0
; %bb.969:                              ;   in Loop: Header=BB398_803 Depth=1
	v_and_b32_e32 v8, 7, v2
	s_delay_alu instid0(VALU_DEP_1) | instskip(NEXT) | instid1(VALU_DEP_1)
	v_clz_i32_u32_e32 v8, v8
	v_min_u32_e32 v11, 32, v8
	s_delay_alu instid0(VALU_DEP_1) | instskip(SKIP_1) | instid1(VALU_DEP_2)
	v_subrev_nc_u32_e32 v8, 28, v11
	v_sub_nc_u32_e32 v11, 29, v11
	v_lshlrev_b64 v[8:9], v8, v[2:3]
; %bb.970:                              ;   in Loop: Header=BB398_803 Depth=1
	s_or_b32 exec_lo, exec_lo, s15
	s_delay_alu instid0(VALU_DEP_1) | instskip(SKIP_2) | instid1(VALU_DEP_3)
	v_lshlrev_b32_e32 v8, 20, v8
	v_lshlrev_b32_e32 v9, 24, v2
	v_lshl_add_u32 v11, v11, 23, 0x3c000000
	v_and_b32_e32 v8, 0x700000, v8
	s_delay_alu instid0(VALU_DEP_3) | instskip(NEXT) | instid1(VALU_DEP_1)
	v_and_b32_e32 v9, 0x80000000, v9
	v_or3_b32 v8, v8, v9, v11
.LBB398_971:                            ;   in Loop: Header=BB398_803 Depth=1
	s_or_b32 exec_lo, exec_lo, s13
.LBB398_972:                            ;   in Loop: Header=BB398_803 Depth=1
	s_delay_alu instid0(SALU_CYCLE_1)
	s_or_b32 exec_lo, exec_lo, s12
.LBB398_973:                            ;   in Loop: Header=BB398_803 Depth=1
	s_delay_alu instid0(SALU_CYCLE_1) | instskip(NEXT) | instid1(VALU_DEP_1)
	s_or_b32 exec_lo, exec_lo, s10
	v_mul_f32_e32 v8, v26, v8
                                        ; implicit-def: $vgpr81
	s_delay_alu instid0(VALU_DEP_1) | instskip(NEXT) | instid1(VALU_DEP_1)
	v_and_b32_e32 v9, 0x7f800000, v8
	v_cmp_ne_u32_e64 s0, 0x7f800000, v9
	s_delay_alu instid0(VALU_DEP_1) | instskip(NEXT) | instid1(SALU_CYCLE_1)
	s_and_saveexec_b32 s10, s0
	s_xor_b32 s0, exec_lo, s10
; %bb.974:                              ;   in Loop: Header=BB398_803 Depth=1
	v_bfe_u32 v9, v8, 16, 1
	s_delay_alu instid0(VALU_DEP_1)
	v_add3_u32 v81, v8, v9, 0x7fff
                                        ; implicit-def: $vgpr8
; %bb.975:                              ;   in Loop: Header=BB398_803 Depth=1
	s_and_not1_saveexec_b32 s10, s0
; %bb.976:                              ;   in Loop: Header=BB398_803 Depth=1
	v_and_b32_e32 v9, 0xffff, v8
	v_or_b32_e32 v11, 0x10000, v8
	s_delay_alu instid0(VALU_DEP_2) | instskip(NEXT) | instid1(VALU_DEP_1)
	v_cmp_eq_u32_e64 s0, 0, v9
	v_cndmask_b32_e64 v81, v11, v8, s0
; %bb.977:                              ;   in Loop: Header=BB398_803 Depth=1
	s_or_b32 exec_lo, exec_lo, s10
	v_lshrrev_b16 v9, 8, v2
	v_mov_b32_e32 v8, 0
	s_mov_b32 s10, exec_lo
	s_delay_alu instid0(VALU_DEP_2)
	v_cmpx_ne_u16_e32 0, v9
	s_cbranch_execz .LBB398_985
; %bb.978:                              ;   in Loop: Header=BB398_803 Depth=1
	v_bfrev_b32_e32 v8, 1
	s_mov_b32 s12, exec_lo
	v_cmpx_ne_u16_e32 0x80, v9
	s_cbranch_execz .LBB398_984
; %bb.979:                              ;   in Loop: Header=BB398_803 Depth=1
	v_and_b32_e32 v11, 0xffff, v9
	v_mov_b32_e32 v8, 0x7f800001
	s_mov_b32 s13, exec_lo
	s_delay_alu instid0(VALU_DEP_2) | instskip(NEXT) | instid1(VALU_DEP_1)
	v_and_b32_e32 v9, 0x7f, v11
	v_cmpx_ne_u32_e32 0x7f, v9
	s_cbranch_execz .LBB398_983
; %bb.980:                              ;   in Loop: Header=BB398_803 Depth=1
	v_and_b32_e32 v11, 7, v11
	v_lshrrev_b32_e32 v8, 3, v9
	s_mov_b32 s15, exec_lo
	v_cmpx_gt_u32_e32 8, v9
; %bb.981:                              ;   in Loop: Header=BB398_803 Depth=1
	s_delay_alu instid0(VALU_DEP_3) | instskip(NEXT) | instid1(VALU_DEP_1)
	v_clz_i32_u32_e32 v8, v11
	v_min_u32_e32 v8, 32, v8
	s_delay_alu instid0(VALU_DEP_1) | instskip(SKIP_1) | instid1(VALU_DEP_2)
	v_subrev_nc_u32_e32 v9, 28, v8
	v_sub_nc_u32_e32 v8, 29, v8
	v_lshlrev_b64 v[82:83], v9, v[11:12]
	s_delay_alu instid0(VALU_DEP_1)
	v_and_b32_e32 v11, 7, v82
; %bb.982:                              ;   in Loop: Header=BB398_803 Depth=1
	s_or_b32 exec_lo, exec_lo, s15
	v_lshlrev_b32_e32 v9, 16, v2
	s_delay_alu instid0(VALU_DEP_2) | instskip(SKIP_1) | instid1(VALU_DEP_3)
	v_lshlrev_b32_e32 v11, 20, v11
	v_lshl_add_u32 v8, v8, 23, 0x3c000000
	v_and_b32_e32 v9, 0x80000000, v9
	s_delay_alu instid0(VALU_DEP_1)
	v_or3_b32 v8, v11, v9, v8
.LBB398_983:                            ;   in Loop: Header=BB398_803 Depth=1
	s_or_b32 exec_lo, exec_lo, s13
.LBB398_984:                            ;   in Loop: Header=BB398_803 Depth=1
	s_delay_alu instid0(SALU_CYCLE_1)
	s_or_b32 exec_lo, exec_lo, s12
.LBB398_985:                            ;   in Loop: Header=BB398_803 Depth=1
	s_delay_alu instid0(SALU_CYCLE_1) | instskip(NEXT) | instid1(VALU_DEP_1)
	s_or_b32 exec_lo, exec_lo, s10
	v_mul_f32_e32 v8, v26, v8
                                        ; implicit-def: $vgpr82
	s_delay_alu instid0(VALU_DEP_1) | instskip(NEXT) | instid1(VALU_DEP_1)
	v_and_b32_e32 v9, 0x7f800000, v8
	v_cmp_ne_u32_e64 s0, 0x7f800000, v9
	s_delay_alu instid0(VALU_DEP_1) | instskip(NEXT) | instid1(SALU_CYCLE_1)
	s_and_saveexec_b32 s10, s0
	s_xor_b32 s0, exec_lo, s10
; %bb.986:                              ;   in Loop: Header=BB398_803 Depth=1
	v_bfe_u32 v9, v8, 16, 1
	s_delay_alu instid0(VALU_DEP_1)
	v_add3_u32 v82, v8, v9, 0x7fff
                                        ; implicit-def: $vgpr8
; %bb.987:                              ;   in Loop: Header=BB398_803 Depth=1
	s_and_not1_saveexec_b32 s10, s0
; %bb.988:                              ;   in Loop: Header=BB398_803 Depth=1
	v_and_b32_e32 v9, 0xffff, v8
	v_or_b32_e32 v11, 0x10000, v8
	s_delay_alu instid0(VALU_DEP_2) | instskip(NEXT) | instid1(VALU_DEP_1)
	v_cmp_eq_u32_e64 s0, 0, v9
	v_cndmask_b32_e64 v82, v11, v8, s0
; %bb.989:                              ;   in Loop: Header=BB398_803 Depth=1
	s_or_b32 exec_lo, exec_lo, s10
	v_lshrrev_b32_e32 v8, 16, v2
	v_mov_b32_e32 v9, 0
	s_mov_b32 s10, exec_lo
	s_delay_alu instid0(VALU_DEP_2) | instskip(NEXT) | instid1(VALU_DEP_1)
	v_and_b32_e32 v11, 0xff, v8
	v_cmpx_ne_u16_e32 0, v11
	s_cbranch_execz .LBB398_997
; %bb.990:                              ;   in Loop: Header=BB398_803 Depth=1
	v_bfrev_b32_e32 v9, 1
	s_mov_b32 s12, exec_lo
	v_cmpx_ne_u16_e32 0x80, v11
	s_cbranch_execz .LBB398_996
; %bb.991:                              ;   in Loop: Header=BB398_803 Depth=1
	v_bfe_u32 v83, v2, 16, 7
	v_mov_b32_e32 v9, 0x7f800001
	s_mov_b32 s13, exec_lo
	s_delay_alu instid0(VALU_DEP_2)
	v_cmpx_ne_u32_e32 0x7f, v83
	s_cbranch_execz .LBB398_995
; %bb.992:                              ;   in Loop: Header=BB398_803 Depth=1
	v_and_b32_e32 v11, 7, v8
	v_lshrrev_b32_e32 v9, 3, v83
	s_mov_b32 s15, exec_lo
	v_cmpx_gt_u32_e32 8, v83
; %bb.993:                              ;   in Loop: Header=BB398_803 Depth=1
	s_delay_alu instid0(VALU_DEP_3) | instskip(NEXT) | instid1(VALU_DEP_1)
	v_clz_i32_u32_e32 v9, v11
	v_min_u32_e32 v9, 32, v9
	s_delay_alu instid0(VALU_DEP_1) | instskip(SKIP_1) | instid1(VALU_DEP_2)
	v_subrev_nc_u32_e32 v83, 28, v9
	v_sub_nc_u32_e32 v9, 29, v9
	v_lshlrev_b64 v[83:84], v83, v[11:12]
	s_delay_alu instid0(VALU_DEP_1)
	v_and_b32_e32 v11, 7, v83
; %bb.994:                              ;   in Loop: Header=BB398_803 Depth=1
	s_or_b32 exec_lo, exec_lo, s15
	v_lshlrev_b32_e32 v8, 24, v8
	s_delay_alu instid0(VALU_DEP_2) | instskip(SKIP_1) | instid1(VALU_DEP_3)
	v_lshlrev_b32_e32 v11, 20, v11
	v_lshl_add_u32 v9, v9, 23, 0x3c000000
	v_and_b32_e32 v8, 0x80000000, v8
	s_delay_alu instid0(VALU_DEP_1)
	v_or3_b32 v9, v11, v8, v9
.LBB398_995:                            ;   in Loop: Header=BB398_803 Depth=1
	s_or_b32 exec_lo, exec_lo, s13
.LBB398_996:                            ;   in Loop: Header=BB398_803 Depth=1
	s_delay_alu instid0(SALU_CYCLE_1)
	s_or_b32 exec_lo, exec_lo, s12
.LBB398_997:                            ;   in Loop: Header=BB398_803 Depth=1
	s_delay_alu instid0(SALU_CYCLE_1) | instskip(NEXT) | instid1(VALU_DEP_1)
	s_or_b32 exec_lo, exec_lo, s10
	v_mul_f32_e32 v8, v26, v9
                                        ; implicit-def: $vgpr83
	s_delay_alu instid0(VALU_DEP_1) | instskip(NEXT) | instid1(VALU_DEP_1)
	v_and_b32_e32 v9, 0x7f800000, v8
	v_cmp_ne_u32_e64 s0, 0x7f800000, v9
	s_delay_alu instid0(VALU_DEP_1) | instskip(NEXT) | instid1(SALU_CYCLE_1)
	s_and_saveexec_b32 s10, s0
	s_xor_b32 s0, exec_lo, s10
; %bb.998:                              ;   in Loop: Header=BB398_803 Depth=1
	v_bfe_u32 v9, v8, 16, 1
	s_delay_alu instid0(VALU_DEP_1)
	v_add3_u32 v83, v8, v9, 0x7fff
                                        ; implicit-def: $vgpr8
; %bb.999:                              ;   in Loop: Header=BB398_803 Depth=1
	s_and_not1_saveexec_b32 s10, s0
; %bb.1000:                             ;   in Loop: Header=BB398_803 Depth=1
	v_and_b32_e32 v9, 0xffff, v8
	v_or_b32_e32 v11, 0x10000, v8
	s_delay_alu instid0(VALU_DEP_2) | instskip(NEXT) | instid1(VALU_DEP_1)
	v_cmp_eq_u32_e64 s0, 0, v9
	v_cndmask_b32_e64 v83, v11, v8, s0
; %bb.1001:                             ;   in Loop: Header=BB398_803 Depth=1
	s_or_b32 exec_lo, exec_lo, s10
	v_mov_b32_e32 v9, 0
	s_mov_b32 s10, exec_lo
	v_cmpx_lt_u32_e32 0xffffff, v2
	s_cbranch_execz .LBB398_1009
; %bb.1002:                             ;   in Loop: Header=BB398_803 Depth=1
	v_lshrrev_b32_e32 v8, 24, v2
	v_bfrev_b32_e32 v9, 1
	s_mov_b32 s12, exec_lo
	s_delay_alu instid0(VALU_DEP_2)
	v_cmpx_ne_u32_e32 0x80, v8
	s_cbranch_execz .LBB398_1008
; %bb.1003:                             ;   in Loop: Header=BB398_803 Depth=1
	v_bfe_u32 v84, v2, 24, 7
	v_mov_b32_e32 v9, 0x7f800001
	s_mov_b32 s13, exec_lo
	s_delay_alu instid0(VALU_DEP_2)
	v_cmpx_ne_u32_e32 0x7f, v84
	s_cbranch_execz .LBB398_1007
; %bb.1004:                             ;   in Loop: Header=BB398_803 Depth=1
	v_and_b32_e32 v11, 7, v8
	v_lshrrev_b32_e32 v9, 3, v84
	s_mov_b32 s15, exec_lo
	v_cmpx_gt_u32_e32 8, v84
; %bb.1005:                             ;   in Loop: Header=BB398_803 Depth=1
	s_delay_alu instid0(VALU_DEP_3) | instskip(NEXT) | instid1(VALU_DEP_1)
	v_clz_i32_u32_e32 v9, v11
	v_min_u32_e32 v9, 32, v9
	s_delay_alu instid0(VALU_DEP_1) | instskip(SKIP_1) | instid1(VALU_DEP_2)
	v_subrev_nc_u32_e32 v84, 28, v9
	v_sub_nc_u32_e32 v9, 29, v9
	v_lshlrev_b64 v[84:85], v84, v[11:12]
	s_delay_alu instid0(VALU_DEP_1)
	v_and_b32_e32 v11, 7, v84
; %bb.1006:                             ;   in Loop: Header=BB398_803 Depth=1
	s_or_b32 exec_lo, exec_lo, s15
	v_lshlrev_b32_e32 v8, 24, v8
	s_delay_alu instid0(VALU_DEP_2) | instskip(SKIP_1) | instid1(VALU_DEP_3)
	v_lshlrev_b32_e32 v11, 20, v11
	v_lshl_add_u32 v9, v9, 23, 0x3c000000
	v_and_b32_e32 v8, 0x80000000, v8
	s_delay_alu instid0(VALU_DEP_1)
	v_or3_b32 v9, v11, v8, v9
.LBB398_1007:                           ;   in Loop: Header=BB398_803 Depth=1
	s_or_b32 exec_lo, exec_lo, s13
.LBB398_1008:                           ;   in Loop: Header=BB398_803 Depth=1
	s_delay_alu instid0(SALU_CYCLE_1)
	s_or_b32 exec_lo, exec_lo, s12
.LBB398_1009:                           ;   in Loop: Header=BB398_803 Depth=1
	s_delay_alu instid0(SALU_CYCLE_1) | instskip(NEXT) | instid1(VALU_DEP_1)
	s_or_b32 exec_lo, exec_lo, s10
	v_mul_f32_e32 v8, v26, v9
                                        ; implicit-def: $vgpr84
	s_delay_alu instid0(VALU_DEP_1) | instskip(NEXT) | instid1(VALU_DEP_1)
	v_and_b32_e32 v9, 0x7f800000, v8
	v_cmp_ne_u32_e64 s0, 0x7f800000, v9
	s_delay_alu instid0(VALU_DEP_1) | instskip(NEXT) | instid1(SALU_CYCLE_1)
	s_and_saveexec_b32 s10, s0
	s_xor_b32 s0, exec_lo, s10
; %bb.1010:                             ;   in Loop: Header=BB398_803 Depth=1
	v_bfe_u32 v9, v8, 16, 1
	s_delay_alu instid0(VALU_DEP_1)
	v_add3_u32 v84, v8, v9, 0x7fff
                                        ; implicit-def: $vgpr8
; %bb.1011:                             ;   in Loop: Header=BB398_803 Depth=1
	s_and_not1_saveexec_b32 s10, s0
; %bb.1012:                             ;   in Loop: Header=BB398_803 Depth=1
	v_and_b32_e32 v9, 0xffff, v8
	v_or_b32_e32 v11, 0x10000, v8
	s_delay_alu instid0(VALU_DEP_2) | instskip(NEXT) | instid1(VALU_DEP_1)
	v_cmp_eq_u32_e64 s0, 0, v9
	v_cndmask_b32_e64 v84, v11, v8, s0
; %bb.1013:                             ;   in Loop: Header=BB398_803 Depth=1
	s_or_b32 exec_lo, exec_lo, s10
	v_dual_mov_b32 v8, 0 :: v_dual_and_b32 v9, 0xff, v3
	v_mov_b32_e32 v11, v3
	s_mov_b32 s10, exec_lo
	s_delay_alu instid0(VALU_DEP_2)
	v_cmpx_ne_u16_e32 0, v9
	s_cbranch_execz .LBB398_1021
; %bb.1014:                             ;   in Loop: Header=BB398_803 Depth=1
	v_bfrev_b32_e32 v8, 1
	s_mov_b32 s12, exec_lo
	v_cmpx_ne_u16_e32 0x80, v9
	s_cbranch_execz .LBB398_1020
; %bb.1015:                             ;   in Loop: Header=BB398_803 Depth=1
	v_and_b32_e32 v9, 0x7f, v3
	v_mov_b32_e32 v8, 0x7f800001
	s_mov_b32 s13, exec_lo
	s_delay_alu instid0(VALU_DEP_2)
	v_cmpx_ne_u32_e32 0x7f, v9
	s_cbranch_execz .LBB398_1019
; %bb.1016:                             ;   in Loop: Header=BB398_803 Depth=1
	v_lshrrev_b32_e32 v85, 3, v9
	v_cmp_gt_u32_e64 s0, 8, v9
	v_dual_mov_b32 v8, v11 :: v_dual_mov_b32 v9, v12
	s_delay_alu instid0(VALU_DEP_2)
	s_and_saveexec_b32 s15, s0
; %bb.1017:                             ;   in Loop: Header=BB398_803 Depth=1
	v_and_b32_e32 v8, 7, v3
	s_delay_alu instid0(VALU_DEP_1) | instskip(NEXT) | instid1(VALU_DEP_1)
	v_clz_i32_u32_e32 v8, v8
	v_min_u32_e32 v85, 32, v8
	s_delay_alu instid0(VALU_DEP_1) | instskip(SKIP_1) | instid1(VALU_DEP_2)
	v_subrev_nc_u32_e32 v8, 28, v85
	v_sub_nc_u32_e32 v85, 29, v85
	v_lshlrev_b64 v[8:9], v8, v[11:12]
; %bb.1018:                             ;   in Loop: Header=BB398_803 Depth=1
	s_or_b32 exec_lo, exec_lo, s15
	s_delay_alu instid0(VALU_DEP_1) | instskip(SKIP_2) | instid1(VALU_DEP_3)
	v_lshlrev_b32_e32 v8, 20, v8
	v_lshlrev_b32_e32 v9, 24, v11
	v_lshl_add_u32 v85, v85, 23, 0x3c000000
	v_and_b32_e32 v8, 0x700000, v8
	s_delay_alu instid0(VALU_DEP_3) | instskip(NEXT) | instid1(VALU_DEP_1)
	v_and_b32_e32 v9, 0x80000000, v9
	v_or3_b32 v8, v8, v9, v85
.LBB398_1019:                           ;   in Loop: Header=BB398_803 Depth=1
	s_or_b32 exec_lo, exec_lo, s13
.LBB398_1020:                           ;   in Loop: Header=BB398_803 Depth=1
	s_delay_alu instid0(SALU_CYCLE_1)
	s_or_b32 exec_lo, exec_lo, s12
.LBB398_1021:                           ;   in Loop: Header=BB398_803 Depth=1
	s_delay_alu instid0(SALU_CYCLE_1) | instskip(NEXT) | instid1(VALU_DEP_1)
	s_or_b32 exec_lo, exec_lo, s10
	v_mul_f32_e32 v8, v26, v8
                                        ; implicit-def: $vgpr85
	s_delay_alu instid0(VALU_DEP_1) | instskip(NEXT) | instid1(VALU_DEP_1)
	v_and_b32_e32 v9, 0x7f800000, v8
	v_cmp_ne_u32_e64 s0, 0x7f800000, v9
	s_delay_alu instid0(VALU_DEP_1) | instskip(NEXT) | instid1(SALU_CYCLE_1)
	s_and_saveexec_b32 s10, s0
	s_xor_b32 s0, exec_lo, s10
; %bb.1022:                             ;   in Loop: Header=BB398_803 Depth=1
	v_bfe_u32 v9, v8, 16, 1
	s_delay_alu instid0(VALU_DEP_1)
	v_add3_u32 v85, v8, v9, 0x7fff
                                        ; implicit-def: $vgpr8
; %bb.1023:                             ;   in Loop: Header=BB398_803 Depth=1
	s_and_not1_saveexec_b32 s10, s0
; %bb.1024:                             ;   in Loop: Header=BB398_803 Depth=1
	v_and_b32_e32 v9, 0xffff, v8
	v_or_b32_e32 v85, 0x10000, v8
	s_delay_alu instid0(VALU_DEP_2) | instskip(NEXT) | instid1(VALU_DEP_1)
	v_cmp_eq_u32_e64 s0, 0, v9
	v_cndmask_b32_e64 v85, v85, v8, s0
; %bb.1025:                             ;   in Loop: Header=BB398_803 Depth=1
	s_or_b32 exec_lo, exec_lo, s10
	v_lshrrev_b16 v9, 8, v11
	v_mov_b32_e32 v8, 0
	s_mov_b32 s10, exec_lo
	s_delay_alu instid0(VALU_DEP_2)
	v_cmpx_ne_u16_e32 0, v9
	s_cbranch_execz .LBB398_1033
; %bb.1026:                             ;   in Loop: Header=BB398_803 Depth=1
	v_bfrev_b32_e32 v8, 1
	s_mov_b32 s12, exec_lo
	v_cmpx_ne_u16_e32 0x80, v9
	s_cbranch_execz .LBB398_1032
; %bb.1027:                             ;   in Loop: Header=BB398_803 Depth=1
	v_and_b32_e32 v9, 0xffff, v9
	v_mov_b32_e32 v8, 0x7f800001
	s_mov_b32 s13, exec_lo
	s_delay_alu instid0(VALU_DEP_2) | instskip(NEXT) | instid1(VALU_DEP_1)
	v_and_b32_e32 v87, 0x7f, v9
	v_cmpx_ne_u32_e32 0x7f, v87
	s_cbranch_execz .LBB398_1031
; %bb.1028:                             ;   in Loop: Header=BB398_803 Depth=1
	v_dual_mov_b32 v9, v12 :: v_dual_and_b32 v8, 7, v9
	v_lshrrev_b32_e32 v86, 3, v87
	s_mov_b32 s15, exec_lo
	v_cmpx_gt_u32_e32 8, v87
; %bb.1029:                             ;   in Loop: Header=BB398_803 Depth=1
	s_delay_alu instid0(VALU_DEP_3) | instskip(NEXT) | instid1(VALU_DEP_1)
	v_clz_i32_u32_e32 v86, v8
	v_min_u32_e32 v86, 32, v86
	s_delay_alu instid0(VALU_DEP_1) | instskip(SKIP_1) | instid1(VALU_DEP_2)
	v_subrev_nc_u32_e32 v87, 28, v86
	v_sub_nc_u32_e32 v86, 29, v86
	v_lshlrev_b64 v[8:9], v87, v[8:9]
	s_delay_alu instid0(VALU_DEP_1)
	v_and_b32_e32 v8, 7, v8
; %bb.1030:                             ;   in Loop: Header=BB398_803 Depth=1
	s_or_b32 exec_lo, exec_lo, s15
	v_lshlrev_b32_e32 v9, 16, v11
	s_delay_alu instid0(VALU_DEP_2) | instskip(SKIP_1) | instid1(VALU_DEP_3)
	v_lshlrev_b32_e32 v8, 20, v8
	v_lshl_add_u32 v11, v86, 23, 0x3c000000
	v_and_b32_e32 v9, 0x80000000, v9
	s_delay_alu instid0(VALU_DEP_1)
	v_or3_b32 v8, v8, v9, v11
.LBB398_1031:                           ;   in Loop: Header=BB398_803 Depth=1
	s_or_b32 exec_lo, exec_lo, s13
.LBB398_1032:                           ;   in Loop: Header=BB398_803 Depth=1
	s_delay_alu instid0(SALU_CYCLE_1)
	s_or_b32 exec_lo, exec_lo, s12
.LBB398_1033:                           ;   in Loop: Header=BB398_803 Depth=1
	s_delay_alu instid0(SALU_CYCLE_1) | instskip(NEXT) | instid1(VALU_DEP_1)
	s_or_b32 exec_lo, exec_lo, s10
	v_mul_f32_e32 v9, v26, v8
	s_delay_alu instid0(VALU_DEP_1) | instskip(NEXT) | instid1(VALU_DEP_1)
	v_and_b32_e32 v8, 0x7f800000, v9
	v_cmp_ne_u32_e64 s0, 0x7f800000, v8
                                        ; implicit-def: $vgpr8
	s_delay_alu instid0(VALU_DEP_1) | instskip(NEXT) | instid1(SALU_CYCLE_1)
	s_and_saveexec_b32 s10, s0
	s_xor_b32 s0, exec_lo, s10
; %bb.1034:                             ;   in Loop: Header=BB398_803 Depth=1
	v_bfe_u32 v8, v9, 16, 1
	s_delay_alu instid0(VALU_DEP_1)
	v_add3_u32 v8, v9, v8, 0x7fff
                                        ; implicit-def: $vgpr9
; %bb.1035:                             ;   in Loop: Header=BB398_803 Depth=1
	s_and_not1_saveexec_b32 s10, s0
; %bb.1036:                             ;   in Loop: Header=BB398_803 Depth=1
	v_and_b32_e32 v8, 0xffff, v9
	v_or_b32_e32 v11, 0x10000, v9
	s_delay_alu instid0(VALU_DEP_2) | instskip(NEXT) | instid1(VALU_DEP_1)
	v_cmp_eq_u32_e64 s0, 0, v8
	v_cndmask_b32_e64 v8, v11, v9, s0
; %bb.1037:                             ;   in Loop: Header=BB398_803 Depth=1
	s_or_b32 exec_lo, exec_lo, s10
	v_lshrrev_b32_e32 v9, 16, v3
	s_mov_b32 s10, exec_lo
	s_delay_alu instid0(VALU_DEP_1) | instskip(NEXT) | instid1(VALU_DEP_1)
	v_dual_mov_b32 v11, 0 :: v_dual_and_b32 v86, 0xff, v9
	v_cmpx_ne_u16_e32 0, v86
	s_cbranch_execz .LBB398_1045
; %bb.1038:                             ;   in Loop: Header=BB398_803 Depth=1
	v_bfrev_b32_e32 v11, 1
	s_mov_b32 s12, exec_lo
	v_cmpx_ne_u16_e32 0x80, v86
	s_cbranch_execz .LBB398_1044
; %bb.1039:                             ;   in Loop: Header=BB398_803 Depth=1
	v_bfe_u32 v87, v3, 16, 7
	v_mov_b32_e32 v11, 0x7f800001
	s_mov_b32 s13, exec_lo
	s_delay_alu instid0(VALU_DEP_2)
	v_cmpx_ne_u32_e32 0x7f, v87
	s_cbranch_execz .LBB398_1043
; %bb.1040:                             ;   in Loop: Header=BB398_803 Depth=1
	v_and_b32_e32 v11, 7, v9
	v_lshrrev_b32_e32 v86, 3, v87
	s_mov_b32 s15, exec_lo
	v_cmpx_gt_u32_e32 8, v87
; %bb.1041:                             ;   in Loop: Header=BB398_803 Depth=1
	s_delay_alu instid0(VALU_DEP_3) | instskip(NEXT) | instid1(VALU_DEP_1)
	v_clz_i32_u32_e32 v86, v11
	v_min_u32_e32 v86, 32, v86
	s_delay_alu instid0(VALU_DEP_1) | instskip(SKIP_1) | instid1(VALU_DEP_2)
	v_subrev_nc_u32_e32 v87, 28, v86
	v_sub_nc_u32_e32 v86, 29, v86
	v_lshlrev_b64 v[96:97], v87, v[11:12]
	s_delay_alu instid0(VALU_DEP_1)
	v_and_b32_e32 v11, 7, v96
; %bb.1042:                             ;   in Loop: Header=BB398_803 Depth=1
	s_or_b32 exec_lo, exec_lo, s15
	v_lshlrev_b32_e32 v9, 24, v9
	s_delay_alu instid0(VALU_DEP_2) | instskip(SKIP_1) | instid1(VALU_DEP_3)
	v_lshlrev_b32_e32 v11, 20, v11
	v_lshl_add_u32 v86, v86, 23, 0x3c000000
	v_and_b32_e32 v9, 0x80000000, v9
	s_delay_alu instid0(VALU_DEP_1)
	v_or3_b32 v11, v11, v9, v86
.LBB398_1043:                           ;   in Loop: Header=BB398_803 Depth=1
	s_or_b32 exec_lo, exec_lo, s13
.LBB398_1044:                           ;   in Loop: Header=BB398_803 Depth=1
	s_delay_alu instid0(SALU_CYCLE_1)
	s_or_b32 exec_lo, exec_lo, s12
.LBB398_1045:                           ;   in Loop: Header=BB398_803 Depth=1
	s_delay_alu instid0(SALU_CYCLE_1) | instskip(NEXT) | instid1(VALU_DEP_1)
	s_or_b32 exec_lo, exec_lo, s10
	v_mul_f32_e32 v9, v26, v11
                                        ; implicit-def: $vgpr86
	s_delay_alu instid0(VALU_DEP_1) | instskip(NEXT) | instid1(VALU_DEP_1)
	v_and_b32_e32 v11, 0x7f800000, v9
	v_cmp_ne_u32_e64 s0, 0x7f800000, v11
	s_delay_alu instid0(VALU_DEP_1) | instskip(NEXT) | instid1(SALU_CYCLE_1)
	s_and_saveexec_b32 s10, s0
	s_xor_b32 s0, exec_lo, s10
; %bb.1046:                             ;   in Loop: Header=BB398_803 Depth=1
	v_bfe_u32 v11, v9, 16, 1
	s_delay_alu instid0(VALU_DEP_1)
	v_add3_u32 v86, v9, v11, 0x7fff
                                        ; implicit-def: $vgpr9
; %bb.1047:                             ;   in Loop: Header=BB398_803 Depth=1
	s_and_not1_saveexec_b32 s10, s0
; %bb.1048:                             ;   in Loop: Header=BB398_803 Depth=1
	v_and_b32_e32 v11, 0xffff, v9
	v_or_b32_e32 v86, 0x10000, v9
	s_delay_alu instid0(VALU_DEP_2) | instskip(NEXT) | instid1(VALU_DEP_1)
	v_cmp_eq_u32_e64 s0, 0, v11
	v_cndmask_b32_e64 v86, v86, v9, s0
; %bb.1049:                             ;   in Loop: Header=BB398_803 Depth=1
	s_or_b32 exec_lo, exec_lo, s10
	v_mov_b32_e32 v9, 0
	s_mov_b32 s10, exec_lo
	v_cmpx_lt_u64_e64 s[8:9], v[2:3]
	s_cbranch_execz .LBB398_1057
; %bb.1050:                             ;   in Loop: Header=BB398_803 Depth=1
	v_lshrrev_b32_e32 v2, 24, v3
	v_bfrev_b32_e32 v9, 1
	s_mov_b32 s12, exec_lo
	s_delay_alu instid0(VALU_DEP_2)
	v_cmpx_ne_u32_e32 0x80, v2
	s_cbranch_execz .LBB398_1056
; %bb.1051:                             ;   in Loop: Header=BB398_803 Depth=1
	v_bfe_u32 v87, v3, 24, 7
	v_mov_b32_e32 v9, 0x7f800001
	s_mov_b32 s13, exec_lo
	s_delay_alu instid0(VALU_DEP_2)
	v_cmpx_ne_u32_e32 0x7f, v87
	s_cbranch_execz .LBB398_1055
; %bb.1052:                             ;   in Loop: Header=BB398_803 Depth=1
	v_and_b32_e32 v11, 7, v2
	v_lshrrev_b32_e32 v3, 3, v87
	s_mov_b32 s15, exec_lo
	v_cmpx_gt_u32_e32 8, v87
; %bb.1053:                             ;   in Loop: Header=BB398_803 Depth=1
	s_delay_alu instid0(VALU_DEP_3) | instskip(NEXT) | instid1(VALU_DEP_1)
	v_clz_i32_u32_e32 v3, v11
	v_min_u32_e32 v3, 32, v3
	s_delay_alu instid0(VALU_DEP_1) | instskip(SKIP_1) | instid1(VALU_DEP_2)
	v_subrev_nc_u32_e32 v9, 28, v3
	v_sub_nc_u32_e32 v3, 29, v3
	v_lshlrev_b64 v[96:97], v9, v[11:12]
	s_delay_alu instid0(VALU_DEP_1)
	v_and_b32_e32 v11, 7, v96
; %bb.1054:                             ;   in Loop: Header=BB398_803 Depth=1
	s_or_b32 exec_lo, exec_lo, s15
	v_lshlrev_b32_e32 v2, 24, v2
	s_delay_alu instid0(VALU_DEP_2) | instskip(SKIP_1) | instid1(VALU_DEP_3)
	v_lshlrev_b32_e32 v9, 20, v11
	v_lshl_add_u32 v3, v3, 23, 0x3c000000
	v_and_b32_e32 v2, 0x80000000, v2
	s_delay_alu instid0(VALU_DEP_1)
	v_or3_b32 v9, v9, v2, v3
.LBB398_1055:                           ;   in Loop: Header=BB398_803 Depth=1
	s_or_b32 exec_lo, exec_lo, s13
.LBB398_1056:                           ;   in Loop: Header=BB398_803 Depth=1
	s_delay_alu instid0(SALU_CYCLE_1)
	s_or_b32 exec_lo, exec_lo, s12
.LBB398_1057:                           ;   in Loop: Header=BB398_803 Depth=1
	s_delay_alu instid0(SALU_CYCLE_1) | instskip(NEXT) | instid1(VALU_DEP_1)
	s_or_b32 exec_lo, exec_lo, s10
	v_mul_f32_e32 v3, v26, v9
	s_delay_alu instid0(VALU_DEP_1) | instskip(NEXT) | instid1(VALU_DEP_1)
	v_and_b32_e32 v2, 0x7f800000, v3
	v_cmp_ne_u32_e64 s0, 0x7f800000, v2
                                        ; implicit-def: $vgpr2
	s_delay_alu instid0(VALU_DEP_1) | instskip(NEXT) | instid1(SALU_CYCLE_1)
	s_and_saveexec_b32 s10, s0
	s_xor_b32 s0, exec_lo, s10
; %bb.1058:                             ;   in Loop: Header=BB398_803 Depth=1
	v_bfe_u32 v2, v3, 16, 1
	s_delay_alu instid0(VALU_DEP_1)
	v_add3_u32 v2, v3, v2, 0x7fff
                                        ; implicit-def: $vgpr3
; %bb.1059:                             ;   in Loop: Header=BB398_803 Depth=1
	s_and_not1_saveexec_b32 s10, s0
; %bb.1060:                             ;   in Loop: Header=BB398_803 Depth=1
	v_and_b32_e32 v2, 0xffff, v3
	v_or_b32_e32 v9, 0x10000, v3
	s_delay_alu instid0(VALU_DEP_2) | instskip(NEXT) | instid1(VALU_DEP_1)
	v_cmp_eq_u32_e64 s0, 0, v2
	v_cndmask_b32_e64 v2, v9, v3, s0
; %bb.1061:                             ;   in Loop: Header=BB398_803 Depth=1
	s_or_b32 exec_lo, exec_lo, s10
	v_lshrrev_b32_e32 v8, 16, v8
	v_lshrrev_b32_e32 v9, 16, v85
	;; [unrolled: 1-line block ×8, first 2 shown]
	s_and_saveexec_b32 s10, vcc_lo
	s_cbranch_execz .LBB398_1063
; %bb.1062:                             ;   in Loop: Header=BB398_803 Depth=1
	v_cmp_lt_i32_e64 s0, v50, v32
	s_delay_alu instid0(VALU_DEP_1) | instskip(SKIP_1) | instid1(VALU_DEP_1)
	v_cndmask_b32_e64 v81, 0, v81, s0
	v_cmp_lt_i32_e64 s0, v64, v32
	v_cndmask_b32_e64 v82, 0, v82, s0
	v_cmp_lt_i32_e64 s0, v55, v32
	s_delay_alu instid0(VALU_DEP_1) | instskip(SKIP_1) | instid1(VALU_DEP_1)
	v_cndmask_b32_e64 v83, 0, v83, s0
	v_cmp_lt_i32_e64 s0, v54, v32
	v_cndmask_b32_e64 v11, 0, v11, s0
	;; [unrolled: 5-line block ×4, first 2 shown]
.LBB398_1063:                           ;   in Loop: Header=BB398_803 Depth=1
	s_or_b32 exec_lo, exec_lo, s10
	v_lshlrev_b32_e32 v81, 16, v81
	s_delay_alu instid0(VALU_DEP_1) | instskip(NEXT) | instid1(VALU_DEP_1)
	v_mul_f32_e32 v84, v65, v81
	v_and_b32_e32 v81, 0x7f800000, v84
	s_delay_alu instid0(VALU_DEP_1) | instskip(NEXT) | instid1(VALU_DEP_1)
	v_cmp_ne_u32_e64 s0, 0x7f800000, v81
                                        ; implicit-def: $vgpr81
	s_and_saveexec_b32 s10, s0
	s_delay_alu instid0(SALU_CYCLE_1)
	s_xor_b32 s0, exec_lo, s10
; %bb.1064:                             ;   in Loop: Header=BB398_803 Depth=1
	v_bfe_u32 v81, v84, 16, 1
	s_delay_alu instid0(VALU_DEP_1)
	v_add3_u32 v81, v84, v81, 0x7fff
                                        ; implicit-def: $vgpr84
; %bb.1065:                             ;   in Loop: Header=BB398_803 Depth=1
	s_and_not1_saveexec_b32 s10, s0
; %bb.1066:                             ;   in Loop: Header=BB398_803 Depth=1
	v_and_b32_e32 v81, 0xffff, v84
	v_or_b32_e32 v85, 0x10000, v84
	s_delay_alu instid0(VALU_DEP_2) | instskip(NEXT) | instid1(VALU_DEP_1)
	v_cmp_eq_u32_e64 s0, 0, v81
	v_cndmask_b32_e64 v81, v85, v84, s0
; %bb.1067:                             ;   in Loop: Header=BB398_803 Depth=1
	s_or_b32 exec_lo, exec_lo, s10
	v_lshlrev_b32_e32 v82, 16, v82
	s_delay_alu instid0(VALU_DEP_1) | instskip(NEXT) | instid1(VALU_DEP_1)
	v_mul_f32_e32 v84, v66, v82
	v_and_b32_e32 v82, 0x7f800000, v84
	s_delay_alu instid0(VALU_DEP_1) | instskip(NEXT) | instid1(VALU_DEP_1)
	v_cmp_ne_u32_e64 s0, 0x7f800000, v82
                                        ; implicit-def: $vgpr82
	s_and_saveexec_b32 s10, s0
	s_delay_alu instid0(SALU_CYCLE_1)
	s_xor_b32 s0, exec_lo, s10
; %bb.1068:                             ;   in Loop: Header=BB398_803 Depth=1
	v_bfe_u32 v82, v84, 16, 1
	s_delay_alu instid0(VALU_DEP_1)
	v_add3_u32 v82, v84, v82, 0x7fff
                                        ; implicit-def: $vgpr84
; %bb.1069:                             ;   in Loop: Header=BB398_803 Depth=1
	s_and_not1_saveexec_b32 s10, s0
; %bb.1070:                             ;   in Loop: Header=BB398_803 Depth=1
	v_and_b32_e32 v82, 0xffff, v84
	v_or_b32_e32 v85, 0x10000, v84
	s_delay_alu instid0(VALU_DEP_2) | instskip(NEXT) | instid1(VALU_DEP_1)
	v_cmp_eq_u32_e64 s0, 0, v82
	v_cndmask_b32_e64 v82, v85, v84, s0
; %bb.1071:                             ;   in Loop: Header=BB398_803 Depth=1
	s_or_b32 exec_lo, exec_lo, s10
	v_lshlrev_b32_e32 v83, 16, v83
	s_delay_alu instid0(VALU_DEP_1) | instskip(NEXT) | instid1(VALU_DEP_1)
	v_mul_f32_e32 v84, v67, v83
	v_and_b32_e32 v83, 0x7f800000, v84
	s_delay_alu instid0(VALU_DEP_1) | instskip(NEXT) | instid1(VALU_DEP_1)
	v_cmp_ne_u32_e64 s0, 0x7f800000, v83
                                        ; implicit-def: $vgpr83
	s_and_saveexec_b32 s10, s0
	s_delay_alu instid0(SALU_CYCLE_1)
	s_xor_b32 s0, exec_lo, s10
; %bb.1072:                             ;   in Loop: Header=BB398_803 Depth=1
	v_bfe_u32 v83, v84, 16, 1
	s_delay_alu instid0(VALU_DEP_1)
	v_add3_u32 v83, v84, v83, 0x7fff
                                        ; implicit-def: $vgpr84
; %bb.1073:                             ;   in Loop: Header=BB398_803 Depth=1
	s_and_not1_saveexec_b32 s10, s0
; %bb.1074:                             ;   in Loop: Header=BB398_803 Depth=1
	v_and_b32_e32 v83, 0xffff, v84
	v_or_b32_e32 v85, 0x10000, v84
	s_delay_alu instid0(VALU_DEP_2) | instskip(NEXT) | instid1(VALU_DEP_1)
	v_cmp_eq_u32_e64 s0, 0, v83
	v_cndmask_b32_e64 v83, v85, v84, s0
; %bb.1075:                             ;   in Loop: Header=BB398_803 Depth=1
	s_or_b32 exec_lo, exec_lo, s10
	v_lshlrev_b32_e32 v11, 16, v11
	s_delay_alu instid0(VALU_DEP_1) | instskip(NEXT) | instid1(VALU_DEP_1)
	v_mul_f32_e32 v11, v68, v11
	v_and_b32_e32 v84, 0x7f800000, v11
	s_delay_alu instid0(VALU_DEP_1) | instskip(NEXT) | instid1(VALU_DEP_1)
	v_cmp_ne_u32_e64 s0, 0x7f800000, v84
                                        ; implicit-def: $vgpr84
	s_and_saveexec_b32 s10, s0
	s_delay_alu instid0(SALU_CYCLE_1)
	s_xor_b32 s0, exec_lo, s10
; %bb.1076:                             ;   in Loop: Header=BB398_803 Depth=1
	v_bfe_u32 v84, v11, 16, 1
	s_delay_alu instid0(VALU_DEP_1)
	v_add3_u32 v84, v11, v84, 0x7fff
                                        ; implicit-def: $vgpr11
; %bb.1077:                             ;   in Loop: Header=BB398_803 Depth=1
	s_and_not1_saveexec_b32 s10, s0
; %bb.1078:                             ;   in Loop: Header=BB398_803 Depth=1
	v_and_b32_e32 v84, 0xffff, v11
	v_or_b32_e32 v85, 0x10000, v11
	s_delay_alu instid0(VALU_DEP_2) | instskip(NEXT) | instid1(VALU_DEP_1)
	v_cmp_eq_u32_e64 s0, 0, v84
	v_cndmask_b32_e64 v84, v85, v11, s0
; %bb.1079:                             ;   in Loop: Header=BB398_803 Depth=1
	s_or_b32 exec_lo, exec_lo, s10
	v_lshlrev_b32_e32 v9, 16, v9
                                        ; implicit-def: $vgpr85
	s_delay_alu instid0(VALU_DEP_1) | instskip(NEXT) | instid1(VALU_DEP_1)
	v_mul_f32_e32 v9, v69, v9
	v_and_b32_e32 v11, 0x7f800000, v9
	s_delay_alu instid0(VALU_DEP_1) | instskip(NEXT) | instid1(VALU_DEP_1)
	v_cmp_ne_u32_e64 s0, 0x7f800000, v11
	s_and_saveexec_b32 s10, s0
	s_delay_alu instid0(SALU_CYCLE_1)
	s_xor_b32 s0, exec_lo, s10
; %bb.1080:                             ;   in Loop: Header=BB398_803 Depth=1
	v_bfe_u32 v11, v9, 16, 1
	s_delay_alu instid0(VALU_DEP_1)
	v_add3_u32 v85, v9, v11, 0x7fff
                                        ; implicit-def: $vgpr9
; %bb.1081:                             ;   in Loop: Header=BB398_803 Depth=1
	s_and_not1_saveexec_b32 s10, s0
; %bb.1082:                             ;   in Loop: Header=BB398_803 Depth=1
	v_and_b32_e32 v11, 0xffff, v9
	v_or_b32_e32 v85, 0x10000, v9
	s_delay_alu instid0(VALU_DEP_2) | instskip(NEXT) | instid1(VALU_DEP_1)
	v_cmp_eq_u32_e64 s0, 0, v11
	v_cndmask_b32_e64 v85, v85, v9, s0
; %bb.1083:                             ;   in Loop: Header=BB398_803 Depth=1
	s_or_b32 exec_lo, exec_lo, s10
	v_lshlrev_b32_e32 v8, 16, v8
                                        ; implicit-def: $vgpr86
	s_delay_alu instid0(VALU_DEP_1) | instskip(NEXT) | instid1(VALU_DEP_1)
	v_mul_f32_e32 v8, v70, v8
	v_and_b32_e32 v9, 0x7f800000, v8
	s_delay_alu instid0(VALU_DEP_1) | instskip(NEXT) | instid1(VALU_DEP_1)
	v_cmp_ne_u32_e64 s0, 0x7f800000, v9
	s_and_saveexec_b32 s10, s0
	s_delay_alu instid0(SALU_CYCLE_1)
	s_xor_b32 s0, exec_lo, s10
; %bb.1084:                             ;   in Loop: Header=BB398_803 Depth=1
	v_bfe_u32 v9, v8, 16, 1
	s_delay_alu instid0(VALU_DEP_1)
	v_add3_u32 v86, v8, v9, 0x7fff
                                        ; implicit-def: $vgpr8
; %bb.1085:                             ;   in Loop: Header=BB398_803 Depth=1
	s_and_not1_saveexec_b32 s10, s0
; %bb.1086:                             ;   in Loop: Header=BB398_803 Depth=1
	v_and_b32_e32 v9, 0xffff, v8
	v_or_b32_e32 v11, 0x10000, v8
	s_delay_alu instid0(VALU_DEP_2) | instskip(NEXT) | instid1(VALU_DEP_1)
	v_cmp_eq_u32_e64 s0, 0, v9
	v_cndmask_b32_e64 v86, v11, v8, s0
; %bb.1087:                             ;   in Loop: Header=BB398_803 Depth=1
	s_or_b32 exec_lo, exec_lo, s10
	v_lshlrev_b32_e32 v3, 16, v3
                                        ; implicit-def: $vgpr87
	s_delay_alu instid0(VALU_DEP_1) | instskip(NEXT) | instid1(VALU_DEP_1)
	v_mul_f32_e32 v3, v71, v3
	v_and_b32_e32 v8, 0x7f800000, v3
	s_delay_alu instid0(VALU_DEP_1) | instskip(NEXT) | instid1(VALU_DEP_1)
	v_cmp_ne_u32_e64 s0, 0x7f800000, v8
	s_and_saveexec_b32 s10, s0
	s_delay_alu instid0(SALU_CYCLE_1)
	s_xor_b32 s0, exec_lo, s10
; %bb.1088:                             ;   in Loop: Header=BB398_803 Depth=1
	v_bfe_u32 v8, v3, 16, 1
	s_delay_alu instid0(VALU_DEP_1)
	v_add3_u32 v87, v3, v8, 0x7fff
                                        ; implicit-def: $vgpr3
; %bb.1089:                             ;   in Loop: Header=BB398_803 Depth=1
	s_and_not1_saveexec_b32 s10, s0
; %bb.1090:                             ;   in Loop: Header=BB398_803 Depth=1
	v_and_b32_e32 v8, 0xffff, v3
	v_or_b32_e32 v9, 0x10000, v3
	s_delay_alu instid0(VALU_DEP_2) | instskip(NEXT) | instid1(VALU_DEP_1)
	v_cmp_eq_u32_e64 s0, 0, v8
	v_cndmask_b32_e64 v87, v9, v3, s0
; %bb.1091:                             ;   in Loop: Header=BB398_803 Depth=1
	s_or_b32 exec_lo, exec_lo, s10
	v_lshlrev_b32_e32 v2, 16, v2
                                        ; implicit-def: $vgpr96
	s_delay_alu instid0(VALU_DEP_1) | instskip(NEXT) | instid1(VALU_DEP_1)
	v_mul_f32_e32 v2, v80, v2
	v_and_b32_e32 v3, 0x7f800000, v2
	s_delay_alu instid0(VALU_DEP_1) | instskip(NEXT) | instid1(VALU_DEP_1)
	v_cmp_ne_u32_e64 s0, 0x7f800000, v3
	s_and_saveexec_b32 s10, s0
	s_delay_alu instid0(SALU_CYCLE_1)
	s_xor_b32 s0, exec_lo, s10
; %bb.1092:                             ;   in Loop: Header=BB398_803 Depth=1
	v_bfe_u32 v3, v2, 16, 1
	s_delay_alu instid0(VALU_DEP_1)
	v_add3_u32 v96, v2, v3, 0x7fff
                                        ; implicit-def: $vgpr2
; %bb.1093:                             ;   in Loop: Header=BB398_803 Depth=1
	s_and_not1_saveexec_b32 s10, s0
; %bb.1094:                             ;   in Loop: Header=BB398_803 Depth=1
	v_and_b32_e32 v3, 0xffff, v2
	v_or_b32_e32 v8, 0x10000, v2
	s_delay_alu instid0(VALU_DEP_2) | instskip(NEXT) | instid1(VALU_DEP_1)
	v_cmp_eq_u32_e64 s0, 0, v3
	v_cndmask_b32_e64 v96, v8, v2, s0
; %bb.1095:                             ;   in Loop: Header=BB398_803 Depth=1
	s_or_b32 exec_lo, exec_lo, s10
	flat_load_b64 v[2:3], v[0:1] offset:512
	s_mov_b32 s10, exec_lo
	s_waitcnt vmcnt(0) lgkmcnt(0)
	v_dual_mov_b32 v8, 0 :: v_dual_and_b32 v9, 0xff, v2
	s_delay_alu instid0(VALU_DEP_1)
	v_cmpx_ne_u16_e32 0, v9
	s_cbranch_execz .LBB398_1103
; %bb.1096:                             ;   in Loop: Header=BB398_803 Depth=1
	v_bfrev_b32_e32 v8, 1
	s_mov_b32 s12, exec_lo
	v_cmpx_ne_u16_e32 0x80, v9
	s_cbranch_execz .LBB398_1102
; %bb.1097:                             ;   in Loop: Header=BB398_803 Depth=1
	v_and_b32_e32 v9, 0x7f, v2
	v_mov_b32_e32 v8, 0x7f800001
	s_mov_b32 s13, exec_lo
	s_delay_alu instid0(VALU_DEP_2)
	v_cmpx_ne_u32_e32 0x7f, v9
	s_cbranch_execz .LBB398_1101
; %bb.1098:                             ;   in Loop: Header=BB398_803 Depth=1
	v_lshrrev_b32_e32 v11, 3, v9
	v_cmp_gt_u32_e64 s0, 8, v9
	v_dual_mov_b32 v9, v3 :: v_dual_mov_b32 v8, v2
	s_delay_alu instid0(VALU_DEP_2)
	s_and_saveexec_b32 s15, s0
; %bb.1099:                             ;   in Loop: Header=BB398_803 Depth=1
	v_and_b32_e32 v8, 7, v2
	s_delay_alu instid0(VALU_DEP_1) | instskip(NEXT) | instid1(VALU_DEP_1)
	v_clz_i32_u32_e32 v8, v8
	v_min_u32_e32 v11, 32, v8
	s_delay_alu instid0(VALU_DEP_1) | instskip(SKIP_1) | instid1(VALU_DEP_2)
	v_subrev_nc_u32_e32 v8, 28, v11
	v_sub_nc_u32_e32 v11, 29, v11
	v_lshlrev_b64 v[8:9], v8, v[2:3]
; %bb.1100:                             ;   in Loop: Header=BB398_803 Depth=1
	s_or_b32 exec_lo, exec_lo, s15
	s_delay_alu instid0(VALU_DEP_1) | instskip(SKIP_2) | instid1(VALU_DEP_3)
	v_lshlrev_b32_e32 v8, 20, v8
	v_lshlrev_b32_e32 v9, 24, v2
	v_lshl_add_u32 v11, v11, 23, 0x3c000000
	v_and_b32_e32 v8, 0x700000, v8
	s_delay_alu instid0(VALU_DEP_3) | instskip(NEXT) | instid1(VALU_DEP_1)
	v_and_b32_e32 v9, 0x80000000, v9
	v_or3_b32 v8, v8, v9, v11
.LBB398_1101:                           ;   in Loop: Header=BB398_803 Depth=1
	s_or_b32 exec_lo, exec_lo, s13
.LBB398_1102:                           ;   in Loop: Header=BB398_803 Depth=1
	s_delay_alu instid0(SALU_CYCLE_1)
	s_or_b32 exec_lo, exec_lo, s12
.LBB398_1103:                           ;   in Loop: Header=BB398_803 Depth=1
	s_delay_alu instid0(SALU_CYCLE_1) | instskip(NEXT) | instid1(VALU_DEP_1)
	s_or_b32 exec_lo, exec_lo, s10
	v_mul_f32_e32 v8, v26, v8
                                        ; implicit-def: $vgpr97
	s_delay_alu instid0(VALU_DEP_1) | instskip(NEXT) | instid1(VALU_DEP_1)
	v_and_b32_e32 v9, 0x7f800000, v8
	v_cmp_ne_u32_e64 s0, 0x7f800000, v9
	s_delay_alu instid0(VALU_DEP_1) | instskip(NEXT) | instid1(SALU_CYCLE_1)
	s_and_saveexec_b32 s10, s0
	s_xor_b32 s0, exec_lo, s10
; %bb.1104:                             ;   in Loop: Header=BB398_803 Depth=1
	v_bfe_u32 v9, v8, 16, 1
	s_delay_alu instid0(VALU_DEP_1)
	v_add3_u32 v97, v8, v9, 0x7fff
                                        ; implicit-def: $vgpr8
; %bb.1105:                             ;   in Loop: Header=BB398_803 Depth=1
	s_and_not1_saveexec_b32 s10, s0
; %bb.1106:                             ;   in Loop: Header=BB398_803 Depth=1
	v_and_b32_e32 v9, 0xffff, v8
	v_or_b32_e32 v11, 0x10000, v8
	s_delay_alu instid0(VALU_DEP_2) | instskip(NEXT) | instid1(VALU_DEP_1)
	v_cmp_eq_u32_e64 s0, 0, v9
	v_cndmask_b32_e64 v97, v11, v8, s0
; %bb.1107:                             ;   in Loop: Header=BB398_803 Depth=1
	s_or_b32 exec_lo, exec_lo, s10
	v_lshrrev_b16 v9, 8, v2
	v_mov_b32_e32 v8, 0
	s_mov_b32 s10, exec_lo
	s_delay_alu instid0(VALU_DEP_2)
	v_cmpx_ne_u16_e32 0, v9
	s_cbranch_execz .LBB398_1115
; %bb.1108:                             ;   in Loop: Header=BB398_803 Depth=1
	v_bfrev_b32_e32 v8, 1
	s_mov_b32 s12, exec_lo
	v_cmpx_ne_u16_e32 0x80, v9
	s_cbranch_execz .LBB398_1114
; %bb.1109:                             ;   in Loop: Header=BB398_803 Depth=1
	v_and_b32_e32 v11, 0xffff, v9
	v_mov_b32_e32 v8, 0x7f800001
	s_mov_b32 s13, exec_lo
	s_delay_alu instid0(VALU_DEP_2) | instskip(NEXT) | instid1(VALU_DEP_1)
	v_and_b32_e32 v9, 0x7f, v11
	v_cmpx_ne_u32_e32 0x7f, v9
	s_cbranch_execz .LBB398_1113
; %bb.1110:                             ;   in Loop: Header=BB398_803 Depth=1
	v_and_b32_e32 v11, 7, v11
	v_lshrrev_b32_e32 v8, 3, v9
	s_mov_b32 s15, exec_lo
	v_cmpx_gt_u32_e32 8, v9
; %bb.1111:                             ;   in Loop: Header=BB398_803 Depth=1
	s_delay_alu instid0(VALU_DEP_3) | instskip(NEXT) | instid1(VALU_DEP_1)
	v_clz_i32_u32_e32 v8, v11
	v_min_u32_e32 v8, 32, v8
	s_delay_alu instid0(VALU_DEP_1) | instskip(SKIP_1) | instid1(VALU_DEP_2)
	v_subrev_nc_u32_e32 v9, 28, v8
	v_sub_nc_u32_e32 v8, 29, v8
	v_lshlrev_b64 v[98:99], v9, v[11:12]
	s_delay_alu instid0(VALU_DEP_1)
	v_and_b32_e32 v11, 7, v98
; %bb.1112:                             ;   in Loop: Header=BB398_803 Depth=1
	s_or_b32 exec_lo, exec_lo, s15
	v_lshlrev_b32_e32 v9, 16, v2
	s_delay_alu instid0(VALU_DEP_2) | instskip(SKIP_1) | instid1(VALU_DEP_3)
	v_lshlrev_b32_e32 v11, 20, v11
	v_lshl_add_u32 v8, v8, 23, 0x3c000000
	v_and_b32_e32 v9, 0x80000000, v9
	s_delay_alu instid0(VALU_DEP_1)
	v_or3_b32 v8, v11, v9, v8
.LBB398_1113:                           ;   in Loop: Header=BB398_803 Depth=1
	s_or_b32 exec_lo, exec_lo, s13
.LBB398_1114:                           ;   in Loop: Header=BB398_803 Depth=1
	s_delay_alu instid0(SALU_CYCLE_1)
	s_or_b32 exec_lo, exec_lo, s12
.LBB398_1115:                           ;   in Loop: Header=BB398_803 Depth=1
	s_delay_alu instid0(SALU_CYCLE_1) | instskip(NEXT) | instid1(VALU_DEP_1)
	s_or_b32 exec_lo, exec_lo, s10
	v_mul_f32_e32 v8, v26, v8
                                        ; implicit-def: $vgpr98
	s_delay_alu instid0(VALU_DEP_1) | instskip(NEXT) | instid1(VALU_DEP_1)
	v_and_b32_e32 v9, 0x7f800000, v8
	v_cmp_ne_u32_e64 s0, 0x7f800000, v9
	s_delay_alu instid0(VALU_DEP_1) | instskip(NEXT) | instid1(SALU_CYCLE_1)
	s_and_saveexec_b32 s10, s0
	s_xor_b32 s0, exec_lo, s10
; %bb.1116:                             ;   in Loop: Header=BB398_803 Depth=1
	v_bfe_u32 v9, v8, 16, 1
	s_delay_alu instid0(VALU_DEP_1)
	v_add3_u32 v98, v8, v9, 0x7fff
                                        ; implicit-def: $vgpr8
; %bb.1117:                             ;   in Loop: Header=BB398_803 Depth=1
	s_and_not1_saveexec_b32 s10, s0
; %bb.1118:                             ;   in Loop: Header=BB398_803 Depth=1
	v_and_b32_e32 v9, 0xffff, v8
	v_or_b32_e32 v11, 0x10000, v8
	s_delay_alu instid0(VALU_DEP_2) | instskip(NEXT) | instid1(VALU_DEP_1)
	v_cmp_eq_u32_e64 s0, 0, v9
	v_cndmask_b32_e64 v98, v11, v8, s0
; %bb.1119:                             ;   in Loop: Header=BB398_803 Depth=1
	s_or_b32 exec_lo, exec_lo, s10
	v_lshrrev_b32_e32 v8, 16, v2
	v_mov_b32_e32 v9, 0
	s_mov_b32 s10, exec_lo
	s_delay_alu instid0(VALU_DEP_2) | instskip(NEXT) | instid1(VALU_DEP_1)
	v_and_b32_e32 v11, 0xff, v8
	v_cmpx_ne_u16_e32 0, v11
	s_cbranch_execz .LBB398_1127
; %bb.1120:                             ;   in Loop: Header=BB398_803 Depth=1
	v_bfrev_b32_e32 v9, 1
	s_mov_b32 s12, exec_lo
	v_cmpx_ne_u16_e32 0x80, v11
	s_cbranch_execz .LBB398_1126
; %bb.1121:                             ;   in Loop: Header=BB398_803 Depth=1
	v_bfe_u32 v99, v2, 16, 7
	v_mov_b32_e32 v9, 0x7f800001
	s_mov_b32 s13, exec_lo
	s_delay_alu instid0(VALU_DEP_2)
	v_cmpx_ne_u32_e32 0x7f, v99
	s_cbranch_execz .LBB398_1125
; %bb.1122:                             ;   in Loop: Header=BB398_803 Depth=1
	v_and_b32_e32 v11, 7, v8
	v_lshrrev_b32_e32 v9, 3, v99
	s_mov_b32 s15, exec_lo
	v_cmpx_gt_u32_e32 8, v99
; %bb.1123:                             ;   in Loop: Header=BB398_803 Depth=1
	s_delay_alu instid0(VALU_DEP_3) | instskip(NEXT) | instid1(VALU_DEP_1)
	v_clz_i32_u32_e32 v9, v11
	v_min_u32_e32 v9, 32, v9
	s_delay_alu instid0(VALU_DEP_1) | instskip(SKIP_1) | instid1(VALU_DEP_2)
	v_subrev_nc_u32_e32 v99, 28, v9
	v_sub_nc_u32_e32 v9, 29, v9
	v_lshlrev_b64 v[99:100], v99, v[11:12]
	s_delay_alu instid0(VALU_DEP_1)
	v_and_b32_e32 v11, 7, v99
; %bb.1124:                             ;   in Loop: Header=BB398_803 Depth=1
	s_or_b32 exec_lo, exec_lo, s15
	v_lshlrev_b32_e32 v8, 24, v8
	s_delay_alu instid0(VALU_DEP_2) | instskip(SKIP_1) | instid1(VALU_DEP_3)
	v_lshlrev_b32_e32 v11, 20, v11
	v_lshl_add_u32 v9, v9, 23, 0x3c000000
	v_and_b32_e32 v8, 0x80000000, v8
	s_delay_alu instid0(VALU_DEP_1)
	v_or3_b32 v9, v11, v8, v9
.LBB398_1125:                           ;   in Loop: Header=BB398_803 Depth=1
	s_or_b32 exec_lo, exec_lo, s13
.LBB398_1126:                           ;   in Loop: Header=BB398_803 Depth=1
	s_delay_alu instid0(SALU_CYCLE_1)
	s_or_b32 exec_lo, exec_lo, s12
.LBB398_1127:                           ;   in Loop: Header=BB398_803 Depth=1
	s_delay_alu instid0(SALU_CYCLE_1) | instskip(NEXT) | instid1(VALU_DEP_1)
	s_or_b32 exec_lo, exec_lo, s10
	v_mul_f32_e32 v8, v26, v9
                                        ; implicit-def: $vgpr99
	s_delay_alu instid0(VALU_DEP_1) | instskip(NEXT) | instid1(VALU_DEP_1)
	v_and_b32_e32 v9, 0x7f800000, v8
	v_cmp_ne_u32_e64 s0, 0x7f800000, v9
	s_delay_alu instid0(VALU_DEP_1) | instskip(NEXT) | instid1(SALU_CYCLE_1)
	s_and_saveexec_b32 s10, s0
	s_xor_b32 s0, exec_lo, s10
; %bb.1128:                             ;   in Loop: Header=BB398_803 Depth=1
	v_bfe_u32 v9, v8, 16, 1
	s_delay_alu instid0(VALU_DEP_1)
	v_add3_u32 v99, v8, v9, 0x7fff
                                        ; implicit-def: $vgpr8
; %bb.1129:                             ;   in Loop: Header=BB398_803 Depth=1
	s_and_not1_saveexec_b32 s10, s0
; %bb.1130:                             ;   in Loop: Header=BB398_803 Depth=1
	v_and_b32_e32 v9, 0xffff, v8
	v_or_b32_e32 v11, 0x10000, v8
	s_delay_alu instid0(VALU_DEP_2) | instskip(NEXT) | instid1(VALU_DEP_1)
	v_cmp_eq_u32_e64 s0, 0, v9
	v_cndmask_b32_e64 v99, v11, v8, s0
; %bb.1131:                             ;   in Loop: Header=BB398_803 Depth=1
	s_or_b32 exec_lo, exec_lo, s10
	v_mov_b32_e32 v9, 0
	s_mov_b32 s10, exec_lo
	v_cmpx_lt_u32_e32 0xffffff, v2
	s_cbranch_execz .LBB398_1139
; %bb.1132:                             ;   in Loop: Header=BB398_803 Depth=1
	v_lshrrev_b32_e32 v8, 24, v2
	v_bfrev_b32_e32 v9, 1
	s_mov_b32 s12, exec_lo
	s_delay_alu instid0(VALU_DEP_2)
	v_cmpx_ne_u32_e32 0x80, v8
	s_cbranch_execz .LBB398_1138
; %bb.1133:                             ;   in Loop: Header=BB398_803 Depth=1
	v_bfe_u32 v100, v2, 24, 7
	v_mov_b32_e32 v9, 0x7f800001
	s_mov_b32 s13, exec_lo
	s_delay_alu instid0(VALU_DEP_2)
	v_cmpx_ne_u32_e32 0x7f, v100
	s_cbranch_execz .LBB398_1137
; %bb.1134:                             ;   in Loop: Header=BB398_803 Depth=1
	v_and_b32_e32 v11, 7, v8
	v_lshrrev_b32_e32 v9, 3, v100
	s_mov_b32 s15, exec_lo
	v_cmpx_gt_u32_e32 8, v100
; %bb.1135:                             ;   in Loop: Header=BB398_803 Depth=1
	s_delay_alu instid0(VALU_DEP_3) | instskip(NEXT) | instid1(VALU_DEP_1)
	v_clz_i32_u32_e32 v9, v11
	v_min_u32_e32 v9, 32, v9
	s_delay_alu instid0(VALU_DEP_1) | instskip(SKIP_1) | instid1(VALU_DEP_2)
	v_subrev_nc_u32_e32 v100, 28, v9
	v_sub_nc_u32_e32 v9, 29, v9
	v_lshlrev_b64 v[100:101], v100, v[11:12]
	s_delay_alu instid0(VALU_DEP_1)
	v_and_b32_e32 v11, 7, v100
; %bb.1136:                             ;   in Loop: Header=BB398_803 Depth=1
	s_or_b32 exec_lo, exec_lo, s15
	v_lshlrev_b32_e32 v8, 24, v8
	s_delay_alu instid0(VALU_DEP_2) | instskip(SKIP_1) | instid1(VALU_DEP_3)
	v_lshlrev_b32_e32 v11, 20, v11
	v_lshl_add_u32 v9, v9, 23, 0x3c000000
	v_and_b32_e32 v8, 0x80000000, v8
	s_delay_alu instid0(VALU_DEP_1)
	v_or3_b32 v9, v11, v8, v9
.LBB398_1137:                           ;   in Loop: Header=BB398_803 Depth=1
	s_or_b32 exec_lo, exec_lo, s13
.LBB398_1138:                           ;   in Loop: Header=BB398_803 Depth=1
	s_delay_alu instid0(SALU_CYCLE_1)
	s_or_b32 exec_lo, exec_lo, s12
.LBB398_1139:                           ;   in Loop: Header=BB398_803 Depth=1
	s_delay_alu instid0(SALU_CYCLE_1) | instskip(NEXT) | instid1(VALU_DEP_1)
	s_or_b32 exec_lo, exec_lo, s10
	v_mul_f32_e32 v8, v26, v9
                                        ; implicit-def: $vgpr100
	s_delay_alu instid0(VALU_DEP_1) | instskip(NEXT) | instid1(VALU_DEP_1)
	v_and_b32_e32 v9, 0x7f800000, v8
	v_cmp_ne_u32_e64 s0, 0x7f800000, v9
	s_delay_alu instid0(VALU_DEP_1) | instskip(NEXT) | instid1(SALU_CYCLE_1)
	s_and_saveexec_b32 s10, s0
	s_xor_b32 s0, exec_lo, s10
; %bb.1140:                             ;   in Loop: Header=BB398_803 Depth=1
	v_bfe_u32 v9, v8, 16, 1
	s_delay_alu instid0(VALU_DEP_1)
	v_add3_u32 v100, v8, v9, 0x7fff
                                        ; implicit-def: $vgpr8
; %bb.1141:                             ;   in Loop: Header=BB398_803 Depth=1
	s_and_not1_saveexec_b32 s10, s0
; %bb.1142:                             ;   in Loop: Header=BB398_803 Depth=1
	v_and_b32_e32 v9, 0xffff, v8
	v_or_b32_e32 v11, 0x10000, v8
	s_delay_alu instid0(VALU_DEP_2) | instskip(NEXT) | instid1(VALU_DEP_1)
	v_cmp_eq_u32_e64 s0, 0, v9
	v_cndmask_b32_e64 v100, v11, v8, s0
; %bb.1143:                             ;   in Loop: Header=BB398_803 Depth=1
	s_or_b32 exec_lo, exec_lo, s10
	v_dual_mov_b32 v8, 0 :: v_dual_and_b32 v9, 0xff, v3
	v_mov_b32_e32 v11, v3
	s_mov_b32 s10, exec_lo
	s_delay_alu instid0(VALU_DEP_2)
	v_cmpx_ne_u16_e32 0, v9
	s_cbranch_execz .LBB398_1151
; %bb.1144:                             ;   in Loop: Header=BB398_803 Depth=1
	v_bfrev_b32_e32 v8, 1
	s_mov_b32 s12, exec_lo
	v_cmpx_ne_u16_e32 0x80, v9
	s_cbranch_execz .LBB398_1150
; %bb.1145:                             ;   in Loop: Header=BB398_803 Depth=1
	v_and_b32_e32 v9, 0x7f, v3
	v_mov_b32_e32 v8, 0x7f800001
	s_mov_b32 s13, exec_lo
	s_delay_alu instid0(VALU_DEP_2)
	v_cmpx_ne_u32_e32 0x7f, v9
	s_cbranch_execz .LBB398_1149
; %bb.1146:                             ;   in Loop: Header=BB398_803 Depth=1
	v_lshrrev_b32_e32 v101, 3, v9
	v_cmp_gt_u32_e64 s0, 8, v9
	v_dual_mov_b32 v8, v11 :: v_dual_mov_b32 v9, v12
	s_delay_alu instid0(VALU_DEP_2)
	s_and_saveexec_b32 s15, s0
; %bb.1147:                             ;   in Loop: Header=BB398_803 Depth=1
	v_and_b32_e32 v8, 7, v3
	s_delay_alu instid0(VALU_DEP_1) | instskip(NEXT) | instid1(VALU_DEP_1)
	v_clz_i32_u32_e32 v8, v8
	v_min_u32_e32 v101, 32, v8
	s_delay_alu instid0(VALU_DEP_1) | instskip(SKIP_1) | instid1(VALU_DEP_2)
	v_subrev_nc_u32_e32 v8, 28, v101
	v_sub_nc_u32_e32 v101, 29, v101
	v_lshlrev_b64 v[8:9], v8, v[11:12]
; %bb.1148:                             ;   in Loop: Header=BB398_803 Depth=1
	s_or_b32 exec_lo, exec_lo, s15
	s_delay_alu instid0(VALU_DEP_1) | instskip(SKIP_2) | instid1(VALU_DEP_3)
	v_lshlrev_b32_e32 v8, 20, v8
	v_lshlrev_b32_e32 v9, 24, v11
	v_lshl_add_u32 v101, v101, 23, 0x3c000000
	v_and_b32_e32 v8, 0x700000, v8
	s_delay_alu instid0(VALU_DEP_3) | instskip(NEXT) | instid1(VALU_DEP_1)
	v_and_b32_e32 v9, 0x80000000, v9
	v_or3_b32 v8, v8, v9, v101
.LBB398_1149:                           ;   in Loop: Header=BB398_803 Depth=1
	s_or_b32 exec_lo, exec_lo, s13
.LBB398_1150:                           ;   in Loop: Header=BB398_803 Depth=1
	s_delay_alu instid0(SALU_CYCLE_1)
	s_or_b32 exec_lo, exec_lo, s12
.LBB398_1151:                           ;   in Loop: Header=BB398_803 Depth=1
	s_delay_alu instid0(SALU_CYCLE_1) | instskip(NEXT) | instid1(VALU_DEP_1)
	s_or_b32 exec_lo, exec_lo, s10
	v_mul_f32_e32 v8, v26, v8
                                        ; implicit-def: $vgpr101
	s_delay_alu instid0(VALU_DEP_1) | instskip(NEXT) | instid1(VALU_DEP_1)
	v_and_b32_e32 v9, 0x7f800000, v8
	v_cmp_ne_u32_e64 s0, 0x7f800000, v9
	s_delay_alu instid0(VALU_DEP_1) | instskip(NEXT) | instid1(SALU_CYCLE_1)
	s_and_saveexec_b32 s10, s0
	s_xor_b32 s0, exec_lo, s10
; %bb.1152:                             ;   in Loop: Header=BB398_803 Depth=1
	v_bfe_u32 v9, v8, 16, 1
	s_delay_alu instid0(VALU_DEP_1)
	v_add3_u32 v101, v8, v9, 0x7fff
                                        ; implicit-def: $vgpr8
; %bb.1153:                             ;   in Loop: Header=BB398_803 Depth=1
	s_and_not1_saveexec_b32 s10, s0
; %bb.1154:                             ;   in Loop: Header=BB398_803 Depth=1
	v_and_b32_e32 v9, 0xffff, v8
	v_or_b32_e32 v101, 0x10000, v8
	s_delay_alu instid0(VALU_DEP_2) | instskip(NEXT) | instid1(VALU_DEP_1)
	v_cmp_eq_u32_e64 s0, 0, v9
	v_cndmask_b32_e64 v101, v101, v8, s0
; %bb.1155:                             ;   in Loop: Header=BB398_803 Depth=1
	s_or_b32 exec_lo, exec_lo, s10
	v_lshrrev_b16 v9, 8, v11
	v_mov_b32_e32 v8, 0
	s_mov_b32 s10, exec_lo
	s_delay_alu instid0(VALU_DEP_2)
	v_cmpx_ne_u16_e32 0, v9
	s_cbranch_execz .LBB398_1163
; %bb.1156:                             ;   in Loop: Header=BB398_803 Depth=1
	v_bfrev_b32_e32 v8, 1
	s_mov_b32 s12, exec_lo
	v_cmpx_ne_u16_e32 0x80, v9
	s_cbranch_execz .LBB398_1162
; %bb.1157:                             ;   in Loop: Header=BB398_803 Depth=1
	v_and_b32_e32 v9, 0xffff, v9
	v_mov_b32_e32 v8, 0x7f800001
	s_mov_b32 s13, exec_lo
	s_delay_alu instid0(VALU_DEP_2) | instskip(NEXT) | instid1(VALU_DEP_1)
	v_and_b32_e32 v103, 0x7f, v9
	v_cmpx_ne_u32_e32 0x7f, v103
	s_cbranch_execz .LBB398_1161
; %bb.1158:                             ;   in Loop: Header=BB398_803 Depth=1
	v_dual_mov_b32 v9, v12 :: v_dual_and_b32 v8, 7, v9
	v_lshrrev_b32_e32 v102, 3, v103
	s_mov_b32 s15, exec_lo
	v_cmpx_gt_u32_e32 8, v103
; %bb.1159:                             ;   in Loop: Header=BB398_803 Depth=1
	s_delay_alu instid0(VALU_DEP_3) | instskip(NEXT) | instid1(VALU_DEP_1)
	v_clz_i32_u32_e32 v102, v8
	v_min_u32_e32 v102, 32, v102
	s_delay_alu instid0(VALU_DEP_1) | instskip(SKIP_1) | instid1(VALU_DEP_2)
	v_subrev_nc_u32_e32 v103, 28, v102
	v_sub_nc_u32_e32 v102, 29, v102
	v_lshlrev_b64 v[8:9], v103, v[8:9]
	s_delay_alu instid0(VALU_DEP_1)
	v_and_b32_e32 v8, 7, v8
; %bb.1160:                             ;   in Loop: Header=BB398_803 Depth=1
	s_or_b32 exec_lo, exec_lo, s15
	v_lshlrev_b32_e32 v9, 16, v11
	s_delay_alu instid0(VALU_DEP_2) | instskip(SKIP_1) | instid1(VALU_DEP_3)
	v_lshlrev_b32_e32 v8, 20, v8
	v_lshl_add_u32 v11, v102, 23, 0x3c000000
	v_and_b32_e32 v9, 0x80000000, v9
	s_delay_alu instid0(VALU_DEP_1)
	v_or3_b32 v8, v8, v9, v11
.LBB398_1161:                           ;   in Loop: Header=BB398_803 Depth=1
	s_or_b32 exec_lo, exec_lo, s13
.LBB398_1162:                           ;   in Loop: Header=BB398_803 Depth=1
	s_delay_alu instid0(SALU_CYCLE_1)
	s_or_b32 exec_lo, exec_lo, s12
.LBB398_1163:                           ;   in Loop: Header=BB398_803 Depth=1
	s_delay_alu instid0(SALU_CYCLE_1) | instskip(NEXT) | instid1(VALU_DEP_1)
	s_or_b32 exec_lo, exec_lo, s10
	v_mul_f32_e32 v9, v26, v8
	s_delay_alu instid0(VALU_DEP_1) | instskip(NEXT) | instid1(VALU_DEP_1)
	v_and_b32_e32 v8, 0x7f800000, v9
	v_cmp_ne_u32_e64 s0, 0x7f800000, v8
                                        ; implicit-def: $vgpr8
	s_delay_alu instid0(VALU_DEP_1) | instskip(NEXT) | instid1(SALU_CYCLE_1)
	s_and_saveexec_b32 s10, s0
	s_xor_b32 s0, exec_lo, s10
; %bb.1164:                             ;   in Loop: Header=BB398_803 Depth=1
	v_bfe_u32 v8, v9, 16, 1
	s_delay_alu instid0(VALU_DEP_1)
	v_add3_u32 v8, v9, v8, 0x7fff
                                        ; implicit-def: $vgpr9
; %bb.1165:                             ;   in Loop: Header=BB398_803 Depth=1
	s_and_not1_saveexec_b32 s10, s0
; %bb.1166:                             ;   in Loop: Header=BB398_803 Depth=1
	v_and_b32_e32 v8, 0xffff, v9
	v_or_b32_e32 v11, 0x10000, v9
	s_delay_alu instid0(VALU_DEP_2) | instskip(NEXT) | instid1(VALU_DEP_1)
	v_cmp_eq_u32_e64 s0, 0, v8
	v_cndmask_b32_e64 v8, v11, v9, s0
; %bb.1167:                             ;   in Loop: Header=BB398_803 Depth=1
	s_or_b32 exec_lo, exec_lo, s10
	v_lshrrev_b32_e32 v9, 16, v3
	s_mov_b32 s10, exec_lo
	s_delay_alu instid0(VALU_DEP_1) | instskip(NEXT) | instid1(VALU_DEP_1)
	v_dual_mov_b32 v11, 0 :: v_dual_and_b32 v102, 0xff, v9
	v_cmpx_ne_u16_e32 0, v102
	s_cbranch_execz .LBB398_1175
; %bb.1168:                             ;   in Loop: Header=BB398_803 Depth=1
	v_bfrev_b32_e32 v11, 1
	s_mov_b32 s12, exec_lo
	v_cmpx_ne_u16_e32 0x80, v102
	s_cbranch_execz .LBB398_1174
; %bb.1169:                             ;   in Loop: Header=BB398_803 Depth=1
	v_bfe_u32 v103, v3, 16, 7
	v_mov_b32_e32 v11, 0x7f800001
	s_mov_b32 s13, exec_lo
	s_delay_alu instid0(VALU_DEP_2)
	v_cmpx_ne_u32_e32 0x7f, v103
	s_cbranch_execz .LBB398_1173
; %bb.1170:                             ;   in Loop: Header=BB398_803 Depth=1
	v_and_b32_e32 v11, 7, v9
	v_lshrrev_b32_e32 v102, 3, v103
	s_mov_b32 s15, exec_lo
	v_cmpx_gt_u32_e32 8, v103
; %bb.1171:                             ;   in Loop: Header=BB398_803 Depth=1
	s_delay_alu instid0(VALU_DEP_3) | instskip(NEXT) | instid1(VALU_DEP_1)
	v_clz_i32_u32_e32 v102, v11
	v_min_u32_e32 v102, 32, v102
	s_delay_alu instid0(VALU_DEP_1) | instskip(SKIP_1) | instid1(VALU_DEP_2)
	v_subrev_nc_u32_e32 v103, 28, v102
	v_sub_nc_u32_e32 v102, 29, v102
	v_lshlrev_b64 v[112:113], v103, v[11:12]
	s_delay_alu instid0(VALU_DEP_1)
	v_and_b32_e32 v11, 7, v112
; %bb.1172:                             ;   in Loop: Header=BB398_803 Depth=1
	s_or_b32 exec_lo, exec_lo, s15
	v_lshlrev_b32_e32 v9, 24, v9
	s_delay_alu instid0(VALU_DEP_2) | instskip(SKIP_1) | instid1(VALU_DEP_3)
	v_lshlrev_b32_e32 v11, 20, v11
	v_lshl_add_u32 v102, v102, 23, 0x3c000000
	v_and_b32_e32 v9, 0x80000000, v9
	s_delay_alu instid0(VALU_DEP_1)
	v_or3_b32 v11, v11, v9, v102
.LBB398_1173:                           ;   in Loop: Header=BB398_803 Depth=1
	s_or_b32 exec_lo, exec_lo, s13
.LBB398_1174:                           ;   in Loop: Header=BB398_803 Depth=1
	s_delay_alu instid0(SALU_CYCLE_1)
	s_or_b32 exec_lo, exec_lo, s12
.LBB398_1175:                           ;   in Loop: Header=BB398_803 Depth=1
	s_delay_alu instid0(SALU_CYCLE_1) | instskip(NEXT) | instid1(VALU_DEP_1)
	s_or_b32 exec_lo, exec_lo, s10
	v_mul_f32_e32 v9, v26, v11
                                        ; implicit-def: $vgpr102
	s_delay_alu instid0(VALU_DEP_1) | instskip(NEXT) | instid1(VALU_DEP_1)
	v_and_b32_e32 v11, 0x7f800000, v9
	v_cmp_ne_u32_e64 s0, 0x7f800000, v11
	s_delay_alu instid0(VALU_DEP_1) | instskip(NEXT) | instid1(SALU_CYCLE_1)
	s_and_saveexec_b32 s10, s0
	s_xor_b32 s0, exec_lo, s10
; %bb.1176:                             ;   in Loop: Header=BB398_803 Depth=1
	v_bfe_u32 v11, v9, 16, 1
	s_delay_alu instid0(VALU_DEP_1)
	v_add3_u32 v102, v9, v11, 0x7fff
                                        ; implicit-def: $vgpr9
; %bb.1177:                             ;   in Loop: Header=BB398_803 Depth=1
	s_and_not1_saveexec_b32 s10, s0
; %bb.1178:                             ;   in Loop: Header=BB398_803 Depth=1
	v_and_b32_e32 v11, 0xffff, v9
	v_or_b32_e32 v102, 0x10000, v9
	s_delay_alu instid0(VALU_DEP_2) | instskip(NEXT) | instid1(VALU_DEP_1)
	v_cmp_eq_u32_e64 s0, 0, v11
	v_cndmask_b32_e64 v102, v102, v9, s0
; %bb.1179:                             ;   in Loop: Header=BB398_803 Depth=1
	s_or_b32 exec_lo, exec_lo, s10
	v_mov_b32_e32 v9, 0
	s_mov_b32 s10, exec_lo
	v_cmpx_lt_u64_e64 s[8:9], v[2:3]
	s_cbranch_execz .LBB398_1187
; %bb.1180:                             ;   in Loop: Header=BB398_803 Depth=1
	v_lshrrev_b32_e32 v2, 24, v3
	v_bfrev_b32_e32 v9, 1
	s_mov_b32 s12, exec_lo
	s_delay_alu instid0(VALU_DEP_2)
	v_cmpx_ne_u32_e32 0x80, v2
	s_cbranch_execz .LBB398_1186
; %bb.1181:                             ;   in Loop: Header=BB398_803 Depth=1
	v_bfe_u32 v103, v3, 24, 7
	v_mov_b32_e32 v9, 0x7f800001
	s_mov_b32 s13, exec_lo
	s_delay_alu instid0(VALU_DEP_2)
	v_cmpx_ne_u32_e32 0x7f, v103
	s_cbranch_execz .LBB398_1185
; %bb.1182:                             ;   in Loop: Header=BB398_803 Depth=1
	v_and_b32_e32 v11, 7, v2
	v_lshrrev_b32_e32 v3, 3, v103
	s_mov_b32 s15, exec_lo
	v_cmpx_gt_u32_e32 8, v103
; %bb.1183:                             ;   in Loop: Header=BB398_803 Depth=1
	s_delay_alu instid0(VALU_DEP_3) | instskip(NEXT) | instid1(VALU_DEP_1)
	v_clz_i32_u32_e32 v3, v11
	v_min_u32_e32 v3, 32, v3
	s_delay_alu instid0(VALU_DEP_1) | instskip(SKIP_1) | instid1(VALU_DEP_2)
	v_subrev_nc_u32_e32 v9, 28, v3
	v_sub_nc_u32_e32 v3, 29, v3
	v_lshlrev_b64 v[112:113], v9, v[11:12]
	s_delay_alu instid0(VALU_DEP_1)
	v_and_b32_e32 v11, 7, v112
; %bb.1184:                             ;   in Loop: Header=BB398_803 Depth=1
	s_or_b32 exec_lo, exec_lo, s15
	v_lshlrev_b32_e32 v2, 24, v2
	s_delay_alu instid0(VALU_DEP_2) | instskip(SKIP_1) | instid1(VALU_DEP_3)
	v_lshlrev_b32_e32 v9, 20, v11
	v_lshl_add_u32 v3, v3, 23, 0x3c000000
	v_and_b32_e32 v2, 0x80000000, v2
	s_delay_alu instid0(VALU_DEP_1)
	v_or3_b32 v9, v9, v2, v3
.LBB398_1185:                           ;   in Loop: Header=BB398_803 Depth=1
	s_or_b32 exec_lo, exec_lo, s13
.LBB398_1186:                           ;   in Loop: Header=BB398_803 Depth=1
	s_delay_alu instid0(SALU_CYCLE_1)
	s_or_b32 exec_lo, exec_lo, s12
.LBB398_1187:                           ;   in Loop: Header=BB398_803 Depth=1
	s_delay_alu instid0(SALU_CYCLE_1) | instskip(NEXT) | instid1(VALU_DEP_1)
	s_or_b32 exec_lo, exec_lo, s10
	v_mul_f32_e32 v3, v26, v9
	s_delay_alu instid0(VALU_DEP_1) | instskip(NEXT) | instid1(VALU_DEP_1)
	v_and_b32_e32 v2, 0x7f800000, v3
	v_cmp_ne_u32_e64 s0, 0x7f800000, v2
                                        ; implicit-def: $vgpr2
	s_delay_alu instid0(VALU_DEP_1) | instskip(NEXT) | instid1(SALU_CYCLE_1)
	s_and_saveexec_b32 s10, s0
	s_xor_b32 s0, exec_lo, s10
; %bb.1188:                             ;   in Loop: Header=BB398_803 Depth=1
	v_bfe_u32 v2, v3, 16, 1
	s_delay_alu instid0(VALU_DEP_1)
	v_add3_u32 v2, v3, v2, 0x7fff
                                        ; implicit-def: $vgpr3
; %bb.1189:                             ;   in Loop: Header=BB398_803 Depth=1
	s_and_not1_saveexec_b32 s10, s0
; %bb.1190:                             ;   in Loop: Header=BB398_803 Depth=1
	v_and_b32_e32 v2, 0xffff, v3
	v_or_b32_e32 v9, 0x10000, v3
	s_delay_alu instid0(VALU_DEP_2) | instskip(NEXT) | instid1(VALU_DEP_1)
	v_cmp_eq_u32_e64 s0, 0, v2
	v_cndmask_b32_e64 v2, v9, v3, s0
; %bb.1191:                             ;   in Loop: Header=BB398_803 Depth=1
	s_or_b32 exec_lo, exec_lo, s10
	v_lshrrev_b32_e32 v8, 16, v8
	v_lshrrev_b32_e32 v9, 16, v101
	v_lshrrev_b32_e32 v11, 16, v100
	v_lshrrev_b32_e32 v99, 16, v99
	v_lshrrev_b32_e32 v98, 16, v98
	v_lshrrev_b32_e32 v97, 16, v97
	v_lshrrev_b32_e32 v3, 16, v102
	v_lshrrev_b32_e32 v2, 16, v2
	s_and_saveexec_b32 s10, vcc_lo
	s_cbranch_execz .LBB398_1193
; %bb.1192:                             ;   in Loop: Header=BB398_803 Depth=1
	v_cmp_lt_i32_e64 s0, v50, v32
	s_delay_alu instid0(VALU_DEP_1) | instskip(SKIP_1) | instid1(VALU_DEP_1)
	v_cndmask_b32_e64 v97, 0, v97, s0
	v_cmp_lt_i32_e64 s0, v64, v32
	v_cndmask_b32_e64 v98, 0, v98, s0
	v_cmp_lt_i32_e64 s0, v55, v32
	s_delay_alu instid0(VALU_DEP_1) | instskip(SKIP_1) | instid1(VALU_DEP_1)
	v_cndmask_b32_e64 v99, 0, v99, s0
	v_cmp_lt_i32_e64 s0, v54, v32
	v_cndmask_b32_e64 v11, 0, v11, s0
	;; [unrolled: 5-line block ×4, first 2 shown]
.LBB398_1193:                           ;   in Loop: Header=BB398_803 Depth=1
	s_or_b32 exec_lo, exec_lo, s10
	v_lshlrev_b32_e32 v97, 16, v97
	s_delay_alu instid0(VALU_DEP_1) | instskip(NEXT) | instid1(VALU_DEP_1)
	v_mul_f32_e32 v100, v65, v97
	v_and_b32_e32 v97, 0x7f800000, v100
	s_delay_alu instid0(VALU_DEP_1) | instskip(NEXT) | instid1(VALU_DEP_1)
	v_cmp_ne_u32_e64 s0, 0x7f800000, v97
                                        ; implicit-def: $vgpr97
	s_and_saveexec_b32 s10, s0
	s_delay_alu instid0(SALU_CYCLE_1)
	s_xor_b32 s0, exec_lo, s10
; %bb.1194:                             ;   in Loop: Header=BB398_803 Depth=1
	v_bfe_u32 v97, v100, 16, 1
	s_delay_alu instid0(VALU_DEP_1)
	v_add3_u32 v97, v100, v97, 0x7fff
                                        ; implicit-def: $vgpr100
; %bb.1195:                             ;   in Loop: Header=BB398_803 Depth=1
	s_and_not1_saveexec_b32 s10, s0
; %bb.1196:                             ;   in Loop: Header=BB398_803 Depth=1
	v_and_b32_e32 v97, 0xffff, v100
	v_or_b32_e32 v101, 0x10000, v100
	s_delay_alu instid0(VALU_DEP_2) | instskip(NEXT) | instid1(VALU_DEP_1)
	v_cmp_eq_u32_e64 s0, 0, v97
	v_cndmask_b32_e64 v97, v101, v100, s0
; %bb.1197:                             ;   in Loop: Header=BB398_803 Depth=1
	s_or_b32 exec_lo, exec_lo, s10
	v_lshlrev_b32_e32 v98, 16, v98
	s_delay_alu instid0(VALU_DEP_1) | instskip(NEXT) | instid1(VALU_DEP_1)
	v_mul_f32_e32 v100, v66, v98
	v_and_b32_e32 v98, 0x7f800000, v100
	s_delay_alu instid0(VALU_DEP_1) | instskip(NEXT) | instid1(VALU_DEP_1)
	v_cmp_ne_u32_e64 s0, 0x7f800000, v98
                                        ; implicit-def: $vgpr98
	s_and_saveexec_b32 s10, s0
	s_delay_alu instid0(SALU_CYCLE_1)
	s_xor_b32 s0, exec_lo, s10
; %bb.1198:                             ;   in Loop: Header=BB398_803 Depth=1
	v_bfe_u32 v98, v100, 16, 1
	s_delay_alu instid0(VALU_DEP_1)
	v_add3_u32 v98, v100, v98, 0x7fff
                                        ; implicit-def: $vgpr100
; %bb.1199:                             ;   in Loop: Header=BB398_803 Depth=1
	s_and_not1_saveexec_b32 s10, s0
; %bb.1200:                             ;   in Loop: Header=BB398_803 Depth=1
	v_and_b32_e32 v98, 0xffff, v100
	v_or_b32_e32 v101, 0x10000, v100
	s_delay_alu instid0(VALU_DEP_2) | instskip(NEXT) | instid1(VALU_DEP_1)
	v_cmp_eq_u32_e64 s0, 0, v98
	v_cndmask_b32_e64 v98, v101, v100, s0
; %bb.1201:                             ;   in Loop: Header=BB398_803 Depth=1
	s_or_b32 exec_lo, exec_lo, s10
	v_lshlrev_b32_e32 v99, 16, v99
	s_delay_alu instid0(VALU_DEP_1) | instskip(NEXT) | instid1(VALU_DEP_1)
	v_mul_f32_e32 v100, v67, v99
	v_and_b32_e32 v99, 0x7f800000, v100
	s_delay_alu instid0(VALU_DEP_1) | instskip(NEXT) | instid1(VALU_DEP_1)
	v_cmp_ne_u32_e64 s0, 0x7f800000, v99
                                        ; implicit-def: $vgpr99
	s_and_saveexec_b32 s10, s0
	s_delay_alu instid0(SALU_CYCLE_1)
	s_xor_b32 s0, exec_lo, s10
; %bb.1202:                             ;   in Loop: Header=BB398_803 Depth=1
	v_bfe_u32 v99, v100, 16, 1
	s_delay_alu instid0(VALU_DEP_1)
	v_add3_u32 v99, v100, v99, 0x7fff
                                        ; implicit-def: $vgpr100
; %bb.1203:                             ;   in Loop: Header=BB398_803 Depth=1
	s_and_not1_saveexec_b32 s10, s0
; %bb.1204:                             ;   in Loop: Header=BB398_803 Depth=1
	v_and_b32_e32 v99, 0xffff, v100
	v_or_b32_e32 v101, 0x10000, v100
	s_delay_alu instid0(VALU_DEP_2) | instskip(NEXT) | instid1(VALU_DEP_1)
	v_cmp_eq_u32_e64 s0, 0, v99
	v_cndmask_b32_e64 v99, v101, v100, s0
; %bb.1205:                             ;   in Loop: Header=BB398_803 Depth=1
	s_or_b32 exec_lo, exec_lo, s10
	v_lshlrev_b32_e32 v11, 16, v11
	s_delay_alu instid0(VALU_DEP_1) | instskip(NEXT) | instid1(VALU_DEP_1)
	v_mul_f32_e32 v11, v68, v11
	v_and_b32_e32 v100, 0x7f800000, v11
	s_delay_alu instid0(VALU_DEP_1) | instskip(NEXT) | instid1(VALU_DEP_1)
	v_cmp_ne_u32_e64 s0, 0x7f800000, v100
                                        ; implicit-def: $vgpr100
	s_and_saveexec_b32 s10, s0
	s_delay_alu instid0(SALU_CYCLE_1)
	s_xor_b32 s0, exec_lo, s10
; %bb.1206:                             ;   in Loop: Header=BB398_803 Depth=1
	v_bfe_u32 v100, v11, 16, 1
	s_delay_alu instid0(VALU_DEP_1)
	v_add3_u32 v100, v11, v100, 0x7fff
                                        ; implicit-def: $vgpr11
; %bb.1207:                             ;   in Loop: Header=BB398_803 Depth=1
	s_and_not1_saveexec_b32 s10, s0
; %bb.1208:                             ;   in Loop: Header=BB398_803 Depth=1
	v_and_b32_e32 v100, 0xffff, v11
	v_or_b32_e32 v101, 0x10000, v11
	s_delay_alu instid0(VALU_DEP_2) | instskip(NEXT) | instid1(VALU_DEP_1)
	v_cmp_eq_u32_e64 s0, 0, v100
	v_cndmask_b32_e64 v100, v101, v11, s0
; %bb.1209:                             ;   in Loop: Header=BB398_803 Depth=1
	s_or_b32 exec_lo, exec_lo, s10
	v_lshlrev_b32_e32 v9, 16, v9
                                        ; implicit-def: $vgpr101
	s_delay_alu instid0(VALU_DEP_1) | instskip(NEXT) | instid1(VALU_DEP_1)
	v_mul_f32_e32 v9, v69, v9
	v_and_b32_e32 v11, 0x7f800000, v9
	s_delay_alu instid0(VALU_DEP_1) | instskip(NEXT) | instid1(VALU_DEP_1)
	v_cmp_ne_u32_e64 s0, 0x7f800000, v11
	s_and_saveexec_b32 s10, s0
	s_delay_alu instid0(SALU_CYCLE_1)
	s_xor_b32 s0, exec_lo, s10
; %bb.1210:                             ;   in Loop: Header=BB398_803 Depth=1
	v_bfe_u32 v11, v9, 16, 1
	s_delay_alu instid0(VALU_DEP_1)
	v_add3_u32 v101, v9, v11, 0x7fff
                                        ; implicit-def: $vgpr9
; %bb.1211:                             ;   in Loop: Header=BB398_803 Depth=1
	s_and_not1_saveexec_b32 s10, s0
; %bb.1212:                             ;   in Loop: Header=BB398_803 Depth=1
	v_and_b32_e32 v11, 0xffff, v9
	v_or_b32_e32 v101, 0x10000, v9
	s_delay_alu instid0(VALU_DEP_2) | instskip(NEXT) | instid1(VALU_DEP_1)
	v_cmp_eq_u32_e64 s0, 0, v11
	v_cndmask_b32_e64 v101, v101, v9, s0
; %bb.1213:                             ;   in Loop: Header=BB398_803 Depth=1
	s_or_b32 exec_lo, exec_lo, s10
	v_lshlrev_b32_e32 v8, 16, v8
                                        ; implicit-def: $vgpr102
	s_delay_alu instid0(VALU_DEP_1) | instskip(NEXT) | instid1(VALU_DEP_1)
	v_mul_f32_e32 v8, v70, v8
	v_and_b32_e32 v9, 0x7f800000, v8
	s_delay_alu instid0(VALU_DEP_1) | instskip(NEXT) | instid1(VALU_DEP_1)
	v_cmp_ne_u32_e64 s0, 0x7f800000, v9
	s_and_saveexec_b32 s10, s0
	s_delay_alu instid0(SALU_CYCLE_1)
	s_xor_b32 s0, exec_lo, s10
; %bb.1214:                             ;   in Loop: Header=BB398_803 Depth=1
	v_bfe_u32 v9, v8, 16, 1
	s_delay_alu instid0(VALU_DEP_1)
	v_add3_u32 v102, v8, v9, 0x7fff
                                        ; implicit-def: $vgpr8
; %bb.1215:                             ;   in Loop: Header=BB398_803 Depth=1
	s_and_not1_saveexec_b32 s10, s0
; %bb.1216:                             ;   in Loop: Header=BB398_803 Depth=1
	v_and_b32_e32 v9, 0xffff, v8
	v_or_b32_e32 v11, 0x10000, v8
	s_delay_alu instid0(VALU_DEP_2) | instskip(NEXT) | instid1(VALU_DEP_1)
	v_cmp_eq_u32_e64 s0, 0, v9
	v_cndmask_b32_e64 v102, v11, v8, s0
; %bb.1217:                             ;   in Loop: Header=BB398_803 Depth=1
	s_or_b32 exec_lo, exec_lo, s10
	v_lshlrev_b32_e32 v3, 16, v3
                                        ; implicit-def: $vgpr103
	s_delay_alu instid0(VALU_DEP_1) | instskip(NEXT) | instid1(VALU_DEP_1)
	v_mul_f32_e32 v3, v71, v3
	v_and_b32_e32 v8, 0x7f800000, v3
	s_delay_alu instid0(VALU_DEP_1) | instskip(NEXT) | instid1(VALU_DEP_1)
	v_cmp_ne_u32_e64 s0, 0x7f800000, v8
	s_and_saveexec_b32 s10, s0
	s_delay_alu instid0(SALU_CYCLE_1)
	s_xor_b32 s0, exec_lo, s10
; %bb.1218:                             ;   in Loop: Header=BB398_803 Depth=1
	v_bfe_u32 v8, v3, 16, 1
	s_delay_alu instid0(VALU_DEP_1)
	v_add3_u32 v103, v3, v8, 0x7fff
                                        ; implicit-def: $vgpr3
; %bb.1219:                             ;   in Loop: Header=BB398_803 Depth=1
	s_and_not1_saveexec_b32 s10, s0
; %bb.1220:                             ;   in Loop: Header=BB398_803 Depth=1
	v_and_b32_e32 v8, 0xffff, v3
	v_or_b32_e32 v9, 0x10000, v3
	s_delay_alu instid0(VALU_DEP_2) | instskip(NEXT) | instid1(VALU_DEP_1)
	v_cmp_eq_u32_e64 s0, 0, v8
	v_cndmask_b32_e64 v103, v9, v3, s0
; %bb.1221:                             ;   in Loop: Header=BB398_803 Depth=1
	s_or_b32 exec_lo, exec_lo, s10
	v_lshlrev_b32_e32 v2, 16, v2
                                        ; implicit-def: $vgpr112
	s_delay_alu instid0(VALU_DEP_1) | instskip(NEXT) | instid1(VALU_DEP_1)
	v_mul_f32_e32 v2, v80, v2
	v_and_b32_e32 v3, 0x7f800000, v2
	s_delay_alu instid0(VALU_DEP_1) | instskip(NEXT) | instid1(VALU_DEP_1)
	v_cmp_ne_u32_e64 s0, 0x7f800000, v3
	s_and_saveexec_b32 s10, s0
	s_delay_alu instid0(SALU_CYCLE_1)
	s_xor_b32 s0, exec_lo, s10
; %bb.1222:                             ;   in Loop: Header=BB398_803 Depth=1
	v_bfe_u32 v3, v2, 16, 1
	s_delay_alu instid0(VALU_DEP_1)
	v_add3_u32 v112, v2, v3, 0x7fff
                                        ; implicit-def: $vgpr2
; %bb.1223:                             ;   in Loop: Header=BB398_803 Depth=1
	s_and_not1_saveexec_b32 s10, s0
; %bb.1224:                             ;   in Loop: Header=BB398_803 Depth=1
	v_and_b32_e32 v3, 0xffff, v2
	v_or_b32_e32 v8, 0x10000, v2
	s_delay_alu instid0(VALU_DEP_2) | instskip(NEXT) | instid1(VALU_DEP_1)
	v_cmp_eq_u32_e64 s0, 0, v3
	v_cndmask_b32_e64 v112, v8, v2, s0
; %bb.1225:                             ;   in Loop: Header=BB398_803 Depth=1
	s_or_b32 exec_lo, exec_lo, s10
	flat_load_b64 v[2:3], v[0:1] offset:768
	s_mov_b32 s10, exec_lo
	s_waitcnt vmcnt(0) lgkmcnt(0)
	v_dual_mov_b32 v8, 0 :: v_dual_and_b32 v9, 0xff, v2
	s_delay_alu instid0(VALU_DEP_1)
	v_cmpx_ne_u16_e32 0, v9
	s_cbranch_execz .LBB398_1233
; %bb.1226:                             ;   in Loop: Header=BB398_803 Depth=1
	v_bfrev_b32_e32 v8, 1
	s_mov_b32 s12, exec_lo
	v_cmpx_ne_u16_e32 0x80, v9
	s_cbranch_execz .LBB398_1232
; %bb.1227:                             ;   in Loop: Header=BB398_803 Depth=1
	v_and_b32_e32 v9, 0x7f, v2
	v_mov_b32_e32 v8, 0x7f800001
	s_mov_b32 s13, exec_lo
	s_delay_alu instid0(VALU_DEP_2)
	v_cmpx_ne_u32_e32 0x7f, v9
	s_cbranch_execz .LBB398_1231
; %bb.1228:                             ;   in Loop: Header=BB398_803 Depth=1
	v_lshrrev_b32_e32 v11, 3, v9
	v_cmp_gt_u32_e64 s0, 8, v9
	v_dual_mov_b32 v9, v3 :: v_dual_mov_b32 v8, v2
	s_delay_alu instid0(VALU_DEP_2)
	s_and_saveexec_b32 s15, s0
; %bb.1229:                             ;   in Loop: Header=BB398_803 Depth=1
	v_and_b32_e32 v8, 7, v2
	s_delay_alu instid0(VALU_DEP_1) | instskip(NEXT) | instid1(VALU_DEP_1)
	v_clz_i32_u32_e32 v8, v8
	v_min_u32_e32 v11, 32, v8
	s_delay_alu instid0(VALU_DEP_1) | instskip(SKIP_1) | instid1(VALU_DEP_2)
	v_subrev_nc_u32_e32 v8, 28, v11
	v_sub_nc_u32_e32 v11, 29, v11
	v_lshlrev_b64 v[8:9], v8, v[2:3]
; %bb.1230:                             ;   in Loop: Header=BB398_803 Depth=1
	s_or_b32 exec_lo, exec_lo, s15
	s_delay_alu instid0(VALU_DEP_1) | instskip(SKIP_2) | instid1(VALU_DEP_3)
	v_lshlrev_b32_e32 v8, 20, v8
	v_lshlrev_b32_e32 v9, 24, v2
	v_lshl_add_u32 v11, v11, 23, 0x3c000000
	v_and_b32_e32 v8, 0x700000, v8
	s_delay_alu instid0(VALU_DEP_3) | instskip(NEXT) | instid1(VALU_DEP_1)
	v_and_b32_e32 v9, 0x80000000, v9
	v_or3_b32 v8, v8, v9, v11
.LBB398_1231:                           ;   in Loop: Header=BB398_803 Depth=1
	s_or_b32 exec_lo, exec_lo, s13
.LBB398_1232:                           ;   in Loop: Header=BB398_803 Depth=1
	s_delay_alu instid0(SALU_CYCLE_1)
	s_or_b32 exec_lo, exec_lo, s12
.LBB398_1233:                           ;   in Loop: Header=BB398_803 Depth=1
	s_delay_alu instid0(SALU_CYCLE_1) | instskip(NEXT) | instid1(VALU_DEP_1)
	s_or_b32 exec_lo, exec_lo, s10
	v_mul_f32_e32 v8, v26, v8
                                        ; implicit-def: $vgpr113
	s_delay_alu instid0(VALU_DEP_1) | instskip(NEXT) | instid1(VALU_DEP_1)
	v_and_b32_e32 v9, 0x7f800000, v8
	v_cmp_ne_u32_e64 s0, 0x7f800000, v9
	s_delay_alu instid0(VALU_DEP_1) | instskip(NEXT) | instid1(SALU_CYCLE_1)
	s_and_saveexec_b32 s10, s0
	s_xor_b32 s0, exec_lo, s10
; %bb.1234:                             ;   in Loop: Header=BB398_803 Depth=1
	v_bfe_u32 v9, v8, 16, 1
	s_delay_alu instid0(VALU_DEP_1)
	v_add3_u32 v113, v8, v9, 0x7fff
                                        ; implicit-def: $vgpr8
; %bb.1235:                             ;   in Loop: Header=BB398_803 Depth=1
	s_and_not1_saveexec_b32 s10, s0
; %bb.1236:                             ;   in Loop: Header=BB398_803 Depth=1
	v_and_b32_e32 v9, 0xffff, v8
	v_or_b32_e32 v11, 0x10000, v8
	s_delay_alu instid0(VALU_DEP_2) | instskip(NEXT) | instid1(VALU_DEP_1)
	v_cmp_eq_u32_e64 s0, 0, v9
	v_cndmask_b32_e64 v113, v11, v8, s0
; %bb.1237:                             ;   in Loop: Header=BB398_803 Depth=1
	s_or_b32 exec_lo, exec_lo, s10
	v_lshrrev_b16 v9, 8, v2
	v_mov_b32_e32 v8, 0
	s_mov_b32 s10, exec_lo
	s_delay_alu instid0(VALU_DEP_2)
	v_cmpx_ne_u16_e32 0, v9
	s_cbranch_execz .LBB398_1245
; %bb.1238:                             ;   in Loop: Header=BB398_803 Depth=1
	v_bfrev_b32_e32 v8, 1
	s_mov_b32 s12, exec_lo
	v_cmpx_ne_u16_e32 0x80, v9
	s_cbranch_execz .LBB398_1244
; %bb.1239:                             ;   in Loop: Header=BB398_803 Depth=1
	v_and_b32_e32 v11, 0xffff, v9
	v_mov_b32_e32 v8, 0x7f800001
	s_mov_b32 s13, exec_lo
	s_delay_alu instid0(VALU_DEP_2) | instskip(NEXT) | instid1(VALU_DEP_1)
	v_and_b32_e32 v9, 0x7f, v11
	v_cmpx_ne_u32_e32 0x7f, v9
	s_cbranch_execz .LBB398_1243
; %bb.1240:                             ;   in Loop: Header=BB398_803 Depth=1
	v_and_b32_e32 v11, 7, v11
	v_lshrrev_b32_e32 v8, 3, v9
	s_mov_b32 s15, exec_lo
	v_cmpx_gt_u32_e32 8, v9
; %bb.1241:                             ;   in Loop: Header=BB398_803 Depth=1
	s_delay_alu instid0(VALU_DEP_3) | instskip(NEXT) | instid1(VALU_DEP_1)
	v_clz_i32_u32_e32 v8, v11
	v_min_u32_e32 v8, 32, v8
	s_delay_alu instid0(VALU_DEP_1) | instskip(SKIP_1) | instid1(VALU_DEP_2)
	v_subrev_nc_u32_e32 v9, 28, v8
	v_sub_nc_u32_e32 v8, 29, v8
	v_lshlrev_b64 v[114:115], v9, v[11:12]
	s_delay_alu instid0(VALU_DEP_1)
	v_and_b32_e32 v11, 7, v114
; %bb.1242:                             ;   in Loop: Header=BB398_803 Depth=1
	s_or_b32 exec_lo, exec_lo, s15
	v_lshlrev_b32_e32 v9, 16, v2
	s_delay_alu instid0(VALU_DEP_2) | instskip(SKIP_1) | instid1(VALU_DEP_3)
	v_lshlrev_b32_e32 v11, 20, v11
	v_lshl_add_u32 v8, v8, 23, 0x3c000000
	v_and_b32_e32 v9, 0x80000000, v9
	s_delay_alu instid0(VALU_DEP_1)
	v_or3_b32 v8, v11, v9, v8
.LBB398_1243:                           ;   in Loop: Header=BB398_803 Depth=1
	s_or_b32 exec_lo, exec_lo, s13
.LBB398_1244:                           ;   in Loop: Header=BB398_803 Depth=1
	s_delay_alu instid0(SALU_CYCLE_1)
	s_or_b32 exec_lo, exec_lo, s12
.LBB398_1245:                           ;   in Loop: Header=BB398_803 Depth=1
	s_delay_alu instid0(SALU_CYCLE_1) | instskip(NEXT) | instid1(VALU_DEP_1)
	s_or_b32 exec_lo, exec_lo, s10
	v_mul_f32_e32 v8, v26, v8
                                        ; implicit-def: $vgpr114
	s_delay_alu instid0(VALU_DEP_1) | instskip(NEXT) | instid1(VALU_DEP_1)
	v_and_b32_e32 v9, 0x7f800000, v8
	v_cmp_ne_u32_e64 s0, 0x7f800000, v9
	s_delay_alu instid0(VALU_DEP_1) | instskip(NEXT) | instid1(SALU_CYCLE_1)
	s_and_saveexec_b32 s10, s0
	s_xor_b32 s0, exec_lo, s10
; %bb.1246:                             ;   in Loop: Header=BB398_803 Depth=1
	v_bfe_u32 v9, v8, 16, 1
	s_delay_alu instid0(VALU_DEP_1)
	v_add3_u32 v114, v8, v9, 0x7fff
                                        ; implicit-def: $vgpr8
; %bb.1247:                             ;   in Loop: Header=BB398_803 Depth=1
	s_and_not1_saveexec_b32 s10, s0
; %bb.1248:                             ;   in Loop: Header=BB398_803 Depth=1
	v_and_b32_e32 v9, 0xffff, v8
	v_or_b32_e32 v11, 0x10000, v8
	s_delay_alu instid0(VALU_DEP_2) | instskip(NEXT) | instid1(VALU_DEP_1)
	v_cmp_eq_u32_e64 s0, 0, v9
	v_cndmask_b32_e64 v114, v11, v8, s0
; %bb.1249:                             ;   in Loop: Header=BB398_803 Depth=1
	s_or_b32 exec_lo, exec_lo, s10
	v_lshrrev_b32_e32 v8, 16, v2
	v_mov_b32_e32 v9, 0
	s_mov_b32 s10, exec_lo
	s_delay_alu instid0(VALU_DEP_2) | instskip(NEXT) | instid1(VALU_DEP_1)
	v_and_b32_e32 v11, 0xff, v8
	v_cmpx_ne_u16_e32 0, v11
	s_cbranch_execz .LBB398_1257
; %bb.1250:                             ;   in Loop: Header=BB398_803 Depth=1
	v_bfrev_b32_e32 v9, 1
	s_mov_b32 s12, exec_lo
	v_cmpx_ne_u16_e32 0x80, v11
	s_cbranch_execz .LBB398_1256
; %bb.1251:                             ;   in Loop: Header=BB398_803 Depth=1
	v_bfe_u32 v115, v2, 16, 7
	v_mov_b32_e32 v9, 0x7f800001
	s_mov_b32 s13, exec_lo
	s_delay_alu instid0(VALU_DEP_2)
	v_cmpx_ne_u32_e32 0x7f, v115
	s_cbranch_execz .LBB398_1255
; %bb.1252:                             ;   in Loop: Header=BB398_803 Depth=1
	v_and_b32_e32 v11, 7, v8
	v_lshrrev_b32_e32 v9, 3, v115
	s_mov_b32 s15, exec_lo
	v_cmpx_gt_u32_e32 8, v115
; %bb.1253:                             ;   in Loop: Header=BB398_803 Depth=1
	s_delay_alu instid0(VALU_DEP_3) | instskip(NEXT) | instid1(VALU_DEP_1)
	v_clz_i32_u32_e32 v9, v11
	v_min_u32_e32 v9, 32, v9
	s_delay_alu instid0(VALU_DEP_1) | instskip(SKIP_1) | instid1(VALU_DEP_2)
	v_subrev_nc_u32_e32 v115, 28, v9
	v_sub_nc_u32_e32 v9, 29, v9
	v_lshlrev_b64 v[115:116], v115, v[11:12]
	s_delay_alu instid0(VALU_DEP_1)
	v_and_b32_e32 v11, 7, v115
; %bb.1254:                             ;   in Loop: Header=BB398_803 Depth=1
	s_or_b32 exec_lo, exec_lo, s15
	v_lshlrev_b32_e32 v8, 24, v8
	s_delay_alu instid0(VALU_DEP_2) | instskip(SKIP_1) | instid1(VALU_DEP_3)
	v_lshlrev_b32_e32 v11, 20, v11
	v_lshl_add_u32 v9, v9, 23, 0x3c000000
	v_and_b32_e32 v8, 0x80000000, v8
	s_delay_alu instid0(VALU_DEP_1)
	v_or3_b32 v9, v11, v8, v9
.LBB398_1255:                           ;   in Loop: Header=BB398_803 Depth=1
	s_or_b32 exec_lo, exec_lo, s13
.LBB398_1256:                           ;   in Loop: Header=BB398_803 Depth=1
	s_delay_alu instid0(SALU_CYCLE_1)
	s_or_b32 exec_lo, exec_lo, s12
.LBB398_1257:                           ;   in Loop: Header=BB398_803 Depth=1
	s_delay_alu instid0(SALU_CYCLE_1) | instskip(NEXT) | instid1(VALU_DEP_1)
	s_or_b32 exec_lo, exec_lo, s10
	v_mul_f32_e32 v8, v26, v9
                                        ; implicit-def: $vgpr115
	s_delay_alu instid0(VALU_DEP_1) | instskip(NEXT) | instid1(VALU_DEP_1)
	v_and_b32_e32 v9, 0x7f800000, v8
	v_cmp_ne_u32_e64 s0, 0x7f800000, v9
	s_delay_alu instid0(VALU_DEP_1) | instskip(NEXT) | instid1(SALU_CYCLE_1)
	s_and_saveexec_b32 s10, s0
	s_xor_b32 s0, exec_lo, s10
; %bb.1258:                             ;   in Loop: Header=BB398_803 Depth=1
	v_bfe_u32 v9, v8, 16, 1
	s_delay_alu instid0(VALU_DEP_1)
	v_add3_u32 v115, v8, v9, 0x7fff
                                        ; implicit-def: $vgpr8
; %bb.1259:                             ;   in Loop: Header=BB398_803 Depth=1
	s_and_not1_saveexec_b32 s10, s0
; %bb.1260:                             ;   in Loop: Header=BB398_803 Depth=1
	v_and_b32_e32 v9, 0xffff, v8
	v_or_b32_e32 v11, 0x10000, v8
	s_delay_alu instid0(VALU_DEP_2) | instskip(NEXT) | instid1(VALU_DEP_1)
	v_cmp_eq_u32_e64 s0, 0, v9
	v_cndmask_b32_e64 v115, v11, v8, s0
; %bb.1261:                             ;   in Loop: Header=BB398_803 Depth=1
	s_or_b32 exec_lo, exec_lo, s10
	v_mov_b32_e32 v9, 0
	s_mov_b32 s10, exec_lo
	v_cmpx_lt_u32_e32 0xffffff, v2
	s_cbranch_execz .LBB398_1269
; %bb.1262:                             ;   in Loop: Header=BB398_803 Depth=1
	v_lshrrev_b32_e32 v8, 24, v2
	v_bfrev_b32_e32 v9, 1
	s_mov_b32 s12, exec_lo
	s_delay_alu instid0(VALU_DEP_2)
	v_cmpx_ne_u32_e32 0x80, v8
	s_cbranch_execz .LBB398_1268
; %bb.1263:                             ;   in Loop: Header=BB398_803 Depth=1
	v_bfe_u32 v116, v2, 24, 7
	v_mov_b32_e32 v9, 0x7f800001
	s_mov_b32 s13, exec_lo
	s_delay_alu instid0(VALU_DEP_2)
	v_cmpx_ne_u32_e32 0x7f, v116
	s_cbranch_execz .LBB398_1267
; %bb.1264:                             ;   in Loop: Header=BB398_803 Depth=1
	v_and_b32_e32 v11, 7, v8
	v_lshrrev_b32_e32 v9, 3, v116
	s_mov_b32 s15, exec_lo
	v_cmpx_gt_u32_e32 8, v116
; %bb.1265:                             ;   in Loop: Header=BB398_803 Depth=1
	s_delay_alu instid0(VALU_DEP_3) | instskip(NEXT) | instid1(VALU_DEP_1)
	v_clz_i32_u32_e32 v9, v11
	v_min_u32_e32 v9, 32, v9
	s_delay_alu instid0(VALU_DEP_1) | instskip(SKIP_1) | instid1(VALU_DEP_2)
	v_subrev_nc_u32_e32 v116, 28, v9
	v_sub_nc_u32_e32 v9, 29, v9
	v_lshlrev_b64 v[116:117], v116, v[11:12]
	s_delay_alu instid0(VALU_DEP_1)
	v_and_b32_e32 v11, 7, v116
; %bb.1266:                             ;   in Loop: Header=BB398_803 Depth=1
	s_or_b32 exec_lo, exec_lo, s15
	v_lshlrev_b32_e32 v8, 24, v8
	s_delay_alu instid0(VALU_DEP_2) | instskip(SKIP_1) | instid1(VALU_DEP_3)
	v_lshlrev_b32_e32 v11, 20, v11
	v_lshl_add_u32 v9, v9, 23, 0x3c000000
	v_and_b32_e32 v8, 0x80000000, v8
	s_delay_alu instid0(VALU_DEP_1)
	v_or3_b32 v9, v11, v8, v9
.LBB398_1267:                           ;   in Loop: Header=BB398_803 Depth=1
	s_or_b32 exec_lo, exec_lo, s13
.LBB398_1268:                           ;   in Loop: Header=BB398_803 Depth=1
	s_delay_alu instid0(SALU_CYCLE_1)
	s_or_b32 exec_lo, exec_lo, s12
.LBB398_1269:                           ;   in Loop: Header=BB398_803 Depth=1
	s_delay_alu instid0(SALU_CYCLE_1) | instskip(NEXT) | instid1(VALU_DEP_1)
	s_or_b32 exec_lo, exec_lo, s10
	v_mul_f32_e32 v8, v26, v9
                                        ; implicit-def: $vgpr116
	s_delay_alu instid0(VALU_DEP_1) | instskip(NEXT) | instid1(VALU_DEP_1)
	v_and_b32_e32 v9, 0x7f800000, v8
	v_cmp_ne_u32_e64 s0, 0x7f800000, v9
	s_delay_alu instid0(VALU_DEP_1) | instskip(NEXT) | instid1(SALU_CYCLE_1)
	s_and_saveexec_b32 s10, s0
	s_xor_b32 s0, exec_lo, s10
; %bb.1270:                             ;   in Loop: Header=BB398_803 Depth=1
	v_bfe_u32 v9, v8, 16, 1
	s_delay_alu instid0(VALU_DEP_1)
	v_add3_u32 v116, v8, v9, 0x7fff
                                        ; implicit-def: $vgpr8
; %bb.1271:                             ;   in Loop: Header=BB398_803 Depth=1
	s_and_not1_saveexec_b32 s10, s0
; %bb.1272:                             ;   in Loop: Header=BB398_803 Depth=1
	v_and_b32_e32 v9, 0xffff, v8
	v_or_b32_e32 v11, 0x10000, v8
	s_delay_alu instid0(VALU_DEP_2) | instskip(NEXT) | instid1(VALU_DEP_1)
	v_cmp_eq_u32_e64 s0, 0, v9
	v_cndmask_b32_e64 v116, v11, v8, s0
; %bb.1273:                             ;   in Loop: Header=BB398_803 Depth=1
	s_or_b32 exec_lo, exec_lo, s10
	v_dual_mov_b32 v8, 0 :: v_dual_and_b32 v9, 0xff, v3
	v_mov_b32_e32 v11, v3
	s_mov_b32 s10, exec_lo
	s_delay_alu instid0(VALU_DEP_2)
	v_cmpx_ne_u16_e32 0, v9
	s_cbranch_execz .LBB398_1281
; %bb.1274:                             ;   in Loop: Header=BB398_803 Depth=1
	v_bfrev_b32_e32 v8, 1
	s_mov_b32 s12, exec_lo
	v_cmpx_ne_u16_e32 0x80, v9
	s_cbranch_execz .LBB398_1280
; %bb.1275:                             ;   in Loop: Header=BB398_803 Depth=1
	v_and_b32_e32 v9, 0x7f, v3
	v_mov_b32_e32 v8, 0x7f800001
	s_mov_b32 s13, exec_lo
	s_delay_alu instid0(VALU_DEP_2)
	v_cmpx_ne_u32_e32 0x7f, v9
	s_cbranch_execz .LBB398_1279
; %bb.1276:                             ;   in Loop: Header=BB398_803 Depth=1
	v_lshrrev_b32_e32 v117, 3, v9
	v_cmp_gt_u32_e64 s0, 8, v9
	v_dual_mov_b32 v8, v11 :: v_dual_mov_b32 v9, v12
	s_delay_alu instid0(VALU_DEP_2)
	s_and_saveexec_b32 s15, s0
; %bb.1277:                             ;   in Loop: Header=BB398_803 Depth=1
	v_and_b32_e32 v8, 7, v3
	s_delay_alu instid0(VALU_DEP_1) | instskip(NEXT) | instid1(VALU_DEP_1)
	v_clz_i32_u32_e32 v8, v8
	v_min_u32_e32 v117, 32, v8
	s_delay_alu instid0(VALU_DEP_1) | instskip(SKIP_1) | instid1(VALU_DEP_2)
	v_subrev_nc_u32_e32 v8, 28, v117
	v_sub_nc_u32_e32 v117, 29, v117
	v_lshlrev_b64 v[8:9], v8, v[11:12]
; %bb.1278:                             ;   in Loop: Header=BB398_803 Depth=1
	s_or_b32 exec_lo, exec_lo, s15
	s_delay_alu instid0(VALU_DEP_1) | instskip(SKIP_2) | instid1(VALU_DEP_3)
	v_lshlrev_b32_e32 v8, 20, v8
	v_lshlrev_b32_e32 v9, 24, v11
	v_lshl_add_u32 v117, v117, 23, 0x3c000000
	v_and_b32_e32 v8, 0x700000, v8
	s_delay_alu instid0(VALU_DEP_3) | instskip(NEXT) | instid1(VALU_DEP_1)
	v_and_b32_e32 v9, 0x80000000, v9
	v_or3_b32 v8, v8, v9, v117
.LBB398_1279:                           ;   in Loop: Header=BB398_803 Depth=1
	s_or_b32 exec_lo, exec_lo, s13
.LBB398_1280:                           ;   in Loop: Header=BB398_803 Depth=1
	s_delay_alu instid0(SALU_CYCLE_1)
	s_or_b32 exec_lo, exec_lo, s12
.LBB398_1281:                           ;   in Loop: Header=BB398_803 Depth=1
	s_delay_alu instid0(SALU_CYCLE_1) | instskip(NEXT) | instid1(VALU_DEP_1)
	s_or_b32 exec_lo, exec_lo, s10
	v_mul_f32_e32 v8, v26, v8
                                        ; implicit-def: $vgpr117
	s_delay_alu instid0(VALU_DEP_1) | instskip(NEXT) | instid1(VALU_DEP_1)
	v_and_b32_e32 v9, 0x7f800000, v8
	v_cmp_ne_u32_e64 s0, 0x7f800000, v9
	s_delay_alu instid0(VALU_DEP_1) | instskip(NEXT) | instid1(SALU_CYCLE_1)
	s_and_saveexec_b32 s10, s0
	s_xor_b32 s0, exec_lo, s10
; %bb.1282:                             ;   in Loop: Header=BB398_803 Depth=1
	v_bfe_u32 v9, v8, 16, 1
	s_delay_alu instid0(VALU_DEP_1)
	v_add3_u32 v117, v8, v9, 0x7fff
                                        ; implicit-def: $vgpr8
; %bb.1283:                             ;   in Loop: Header=BB398_803 Depth=1
	s_and_not1_saveexec_b32 s10, s0
; %bb.1284:                             ;   in Loop: Header=BB398_803 Depth=1
	v_and_b32_e32 v9, 0xffff, v8
	v_or_b32_e32 v117, 0x10000, v8
	s_delay_alu instid0(VALU_DEP_2) | instskip(NEXT) | instid1(VALU_DEP_1)
	v_cmp_eq_u32_e64 s0, 0, v9
	v_cndmask_b32_e64 v117, v117, v8, s0
; %bb.1285:                             ;   in Loop: Header=BB398_803 Depth=1
	s_or_b32 exec_lo, exec_lo, s10
	v_lshrrev_b16 v9, 8, v11
	v_mov_b32_e32 v8, 0
	s_mov_b32 s10, exec_lo
	s_delay_alu instid0(VALU_DEP_2)
	v_cmpx_ne_u16_e32 0, v9
	s_cbranch_execz .LBB398_1293
; %bb.1286:                             ;   in Loop: Header=BB398_803 Depth=1
	v_bfrev_b32_e32 v8, 1
	s_mov_b32 s12, exec_lo
	v_cmpx_ne_u16_e32 0x80, v9
	s_cbranch_execz .LBB398_1292
; %bb.1287:                             ;   in Loop: Header=BB398_803 Depth=1
	v_and_b32_e32 v9, 0xffff, v9
	v_mov_b32_e32 v8, 0x7f800001
	s_mov_b32 s13, exec_lo
	s_delay_alu instid0(VALU_DEP_2) | instskip(NEXT) | instid1(VALU_DEP_1)
	v_and_b32_e32 v119, 0x7f, v9
	v_cmpx_ne_u32_e32 0x7f, v119
	s_cbranch_execz .LBB398_1291
; %bb.1288:                             ;   in Loop: Header=BB398_803 Depth=1
	v_dual_mov_b32 v9, v12 :: v_dual_and_b32 v8, 7, v9
	v_lshrrev_b32_e32 v118, 3, v119
	s_mov_b32 s15, exec_lo
	v_cmpx_gt_u32_e32 8, v119
; %bb.1289:                             ;   in Loop: Header=BB398_803 Depth=1
	s_delay_alu instid0(VALU_DEP_3) | instskip(NEXT) | instid1(VALU_DEP_1)
	v_clz_i32_u32_e32 v118, v8
	v_min_u32_e32 v118, 32, v118
	s_delay_alu instid0(VALU_DEP_1) | instskip(SKIP_1) | instid1(VALU_DEP_2)
	v_subrev_nc_u32_e32 v119, 28, v118
	v_sub_nc_u32_e32 v118, 29, v118
	v_lshlrev_b64 v[8:9], v119, v[8:9]
	s_delay_alu instid0(VALU_DEP_1)
	v_and_b32_e32 v8, 7, v8
; %bb.1290:                             ;   in Loop: Header=BB398_803 Depth=1
	s_or_b32 exec_lo, exec_lo, s15
	v_lshlrev_b32_e32 v9, 16, v11
	s_delay_alu instid0(VALU_DEP_2) | instskip(SKIP_1) | instid1(VALU_DEP_3)
	v_lshlrev_b32_e32 v8, 20, v8
	v_lshl_add_u32 v11, v118, 23, 0x3c000000
	v_and_b32_e32 v9, 0x80000000, v9
	s_delay_alu instid0(VALU_DEP_1)
	v_or3_b32 v8, v8, v9, v11
.LBB398_1291:                           ;   in Loop: Header=BB398_803 Depth=1
	s_or_b32 exec_lo, exec_lo, s13
.LBB398_1292:                           ;   in Loop: Header=BB398_803 Depth=1
	s_delay_alu instid0(SALU_CYCLE_1)
	s_or_b32 exec_lo, exec_lo, s12
.LBB398_1293:                           ;   in Loop: Header=BB398_803 Depth=1
	s_delay_alu instid0(SALU_CYCLE_1) | instskip(NEXT) | instid1(VALU_DEP_1)
	s_or_b32 exec_lo, exec_lo, s10
	v_mul_f32_e32 v9, v26, v8
	s_delay_alu instid0(VALU_DEP_1) | instskip(NEXT) | instid1(VALU_DEP_1)
	v_and_b32_e32 v8, 0x7f800000, v9
	v_cmp_ne_u32_e64 s0, 0x7f800000, v8
                                        ; implicit-def: $vgpr8
	s_delay_alu instid0(VALU_DEP_1) | instskip(NEXT) | instid1(SALU_CYCLE_1)
	s_and_saveexec_b32 s10, s0
	s_xor_b32 s0, exec_lo, s10
; %bb.1294:                             ;   in Loop: Header=BB398_803 Depth=1
	v_bfe_u32 v8, v9, 16, 1
	s_delay_alu instid0(VALU_DEP_1)
	v_add3_u32 v8, v9, v8, 0x7fff
                                        ; implicit-def: $vgpr9
; %bb.1295:                             ;   in Loop: Header=BB398_803 Depth=1
	s_and_not1_saveexec_b32 s10, s0
; %bb.1296:                             ;   in Loop: Header=BB398_803 Depth=1
	v_and_b32_e32 v8, 0xffff, v9
	v_or_b32_e32 v11, 0x10000, v9
	s_delay_alu instid0(VALU_DEP_2) | instskip(NEXT) | instid1(VALU_DEP_1)
	v_cmp_eq_u32_e64 s0, 0, v8
	v_cndmask_b32_e64 v8, v11, v9, s0
; %bb.1297:                             ;   in Loop: Header=BB398_803 Depth=1
	s_or_b32 exec_lo, exec_lo, s10
	v_lshrrev_b32_e32 v9, 16, v3
	s_mov_b32 s10, exec_lo
	s_delay_alu instid0(VALU_DEP_1) | instskip(NEXT) | instid1(VALU_DEP_1)
	v_dual_mov_b32 v11, 0 :: v_dual_and_b32 v118, 0xff, v9
	v_cmpx_ne_u16_e32 0, v118
	s_cbranch_execz .LBB398_1305
; %bb.1298:                             ;   in Loop: Header=BB398_803 Depth=1
	v_bfrev_b32_e32 v11, 1
	s_mov_b32 s12, exec_lo
	v_cmpx_ne_u16_e32 0x80, v118
	s_cbranch_execz .LBB398_1304
; %bb.1299:                             ;   in Loop: Header=BB398_803 Depth=1
	v_bfe_u32 v119, v3, 16, 7
	v_mov_b32_e32 v11, 0x7f800001
	s_mov_b32 s13, exec_lo
	s_delay_alu instid0(VALU_DEP_2)
	v_cmpx_ne_u32_e32 0x7f, v119
	s_cbranch_execz .LBB398_1303
; %bb.1300:                             ;   in Loop: Header=BB398_803 Depth=1
	v_and_b32_e32 v11, 7, v9
	v_lshrrev_b32_e32 v118, 3, v119
	s_mov_b32 s15, exec_lo
	v_cmpx_gt_u32_e32 8, v119
; %bb.1301:                             ;   in Loop: Header=BB398_803 Depth=1
	s_delay_alu instid0(VALU_DEP_3) | instskip(NEXT) | instid1(VALU_DEP_1)
	v_clz_i32_u32_e32 v118, v11
	v_min_u32_e32 v118, 32, v118
	s_delay_alu instid0(VALU_DEP_1) | instskip(SKIP_1) | instid1(VALU_DEP_2)
	v_subrev_nc_u32_e32 v119, 28, v118
	v_sub_nc_u32_e32 v118, 29, v118
	v_lshlrev_b64 v[128:129], v119, v[11:12]
	s_delay_alu instid0(VALU_DEP_1)
	v_and_b32_e32 v11, 7, v128
; %bb.1302:                             ;   in Loop: Header=BB398_803 Depth=1
	s_or_b32 exec_lo, exec_lo, s15
	v_lshlrev_b32_e32 v9, 24, v9
	s_delay_alu instid0(VALU_DEP_2) | instskip(SKIP_1) | instid1(VALU_DEP_3)
	v_lshlrev_b32_e32 v11, 20, v11
	v_lshl_add_u32 v118, v118, 23, 0x3c000000
	v_and_b32_e32 v9, 0x80000000, v9
	s_delay_alu instid0(VALU_DEP_1)
	v_or3_b32 v11, v11, v9, v118
.LBB398_1303:                           ;   in Loop: Header=BB398_803 Depth=1
	s_or_b32 exec_lo, exec_lo, s13
.LBB398_1304:                           ;   in Loop: Header=BB398_803 Depth=1
	s_delay_alu instid0(SALU_CYCLE_1)
	s_or_b32 exec_lo, exec_lo, s12
.LBB398_1305:                           ;   in Loop: Header=BB398_803 Depth=1
	s_delay_alu instid0(SALU_CYCLE_1) | instskip(NEXT) | instid1(VALU_DEP_1)
	s_or_b32 exec_lo, exec_lo, s10
	v_mul_f32_e32 v9, v26, v11
                                        ; implicit-def: $vgpr118
	s_delay_alu instid0(VALU_DEP_1) | instskip(NEXT) | instid1(VALU_DEP_1)
	v_and_b32_e32 v11, 0x7f800000, v9
	v_cmp_ne_u32_e64 s0, 0x7f800000, v11
	s_delay_alu instid0(VALU_DEP_1) | instskip(NEXT) | instid1(SALU_CYCLE_1)
	s_and_saveexec_b32 s10, s0
	s_xor_b32 s0, exec_lo, s10
; %bb.1306:                             ;   in Loop: Header=BB398_803 Depth=1
	v_bfe_u32 v11, v9, 16, 1
	s_delay_alu instid0(VALU_DEP_1)
	v_add3_u32 v118, v9, v11, 0x7fff
                                        ; implicit-def: $vgpr9
; %bb.1307:                             ;   in Loop: Header=BB398_803 Depth=1
	s_and_not1_saveexec_b32 s10, s0
; %bb.1308:                             ;   in Loop: Header=BB398_803 Depth=1
	v_and_b32_e32 v11, 0xffff, v9
	v_or_b32_e32 v118, 0x10000, v9
	s_delay_alu instid0(VALU_DEP_2) | instskip(NEXT) | instid1(VALU_DEP_1)
	v_cmp_eq_u32_e64 s0, 0, v11
	v_cndmask_b32_e64 v118, v118, v9, s0
; %bb.1309:                             ;   in Loop: Header=BB398_803 Depth=1
	s_or_b32 exec_lo, exec_lo, s10
	v_mov_b32_e32 v9, 0
	s_mov_b32 s10, exec_lo
	v_cmpx_lt_u64_e64 s[8:9], v[2:3]
	s_cbranch_execz .LBB398_1317
; %bb.1310:                             ;   in Loop: Header=BB398_803 Depth=1
	v_lshrrev_b32_e32 v2, 24, v3
	v_bfrev_b32_e32 v9, 1
	s_mov_b32 s12, exec_lo
	s_delay_alu instid0(VALU_DEP_2)
	v_cmpx_ne_u32_e32 0x80, v2
	s_cbranch_execz .LBB398_1316
; %bb.1311:                             ;   in Loop: Header=BB398_803 Depth=1
	v_bfe_u32 v119, v3, 24, 7
	v_mov_b32_e32 v9, 0x7f800001
	s_mov_b32 s13, exec_lo
	s_delay_alu instid0(VALU_DEP_2)
	v_cmpx_ne_u32_e32 0x7f, v119
	s_cbranch_execz .LBB398_1315
; %bb.1312:                             ;   in Loop: Header=BB398_803 Depth=1
	v_and_b32_e32 v11, 7, v2
	v_lshrrev_b32_e32 v3, 3, v119
	s_mov_b32 s15, exec_lo
	v_cmpx_gt_u32_e32 8, v119
; %bb.1313:                             ;   in Loop: Header=BB398_803 Depth=1
	s_delay_alu instid0(VALU_DEP_3) | instskip(NEXT) | instid1(VALU_DEP_1)
	v_clz_i32_u32_e32 v3, v11
	v_min_u32_e32 v3, 32, v3
	s_delay_alu instid0(VALU_DEP_1) | instskip(SKIP_1) | instid1(VALU_DEP_2)
	v_subrev_nc_u32_e32 v9, 28, v3
	v_sub_nc_u32_e32 v3, 29, v3
	v_lshlrev_b64 v[128:129], v9, v[11:12]
	s_delay_alu instid0(VALU_DEP_1)
	v_and_b32_e32 v11, 7, v128
; %bb.1314:                             ;   in Loop: Header=BB398_803 Depth=1
	s_or_b32 exec_lo, exec_lo, s15
	v_lshlrev_b32_e32 v2, 24, v2
	s_delay_alu instid0(VALU_DEP_2) | instskip(SKIP_1) | instid1(VALU_DEP_3)
	v_lshlrev_b32_e32 v9, 20, v11
	v_lshl_add_u32 v3, v3, 23, 0x3c000000
	v_and_b32_e32 v2, 0x80000000, v2
	s_delay_alu instid0(VALU_DEP_1)
	v_or3_b32 v9, v9, v2, v3
.LBB398_1315:                           ;   in Loop: Header=BB398_803 Depth=1
	s_or_b32 exec_lo, exec_lo, s13
.LBB398_1316:                           ;   in Loop: Header=BB398_803 Depth=1
	s_delay_alu instid0(SALU_CYCLE_1)
	s_or_b32 exec_lo, exec_lo, s12
.LBB398_1317:                           ;   in Loop: Header=BB398_803 Depth=1
	s_delay_alu instid0(SALU_CYCLE_1) | instskip(NEXT) | instid1(VALU_DEP_1)
	s_or_b32 exec_lo, exec_lo, s10
	v_mul_f32_e32 v3, v26, v9
	s_delay_alu instid0(VALU_DEP_1) | instskip(NEXT) | instid1(VALU_DEP_1)
	v_and_b32_e32 v2, 0x7f800000, v3
	v_cmp_ne_u32_e64 s0, 0x7f800000, v2
                                        ; implicit-def: $vgpr2
	s_delay_alu instid0(VALU_DEP_1) | instskip(NEXT) | instid1(SALU_CYCLE_1)
	s_and_saveexec_b32 s10, s0
	s_xor_b32 s0, exec_lo, s10
; %bb.1318:                             ;   in Loop: Header=BB398_803 Depth=1
	v_bfe_u32 v2, v3, 16, 1
	s_delay_alu instid0(VALU_DEP_1)
	v_add3_u32 v2, v3, v2, 0x7fff
                                        ; implicit-def: $vgpr3
; %bb.1319:                             ;   in Loop: Header=BB398_803 Depth=1
	s_and_not1_saveexec_b32 s10, s0
; %bb.1320:                             ;   in Loop: Header=BB398_803 Depth=1
	v_and_b32_e32 v2, 0xffff, v3
	v_or_b32_e32 v9, 0x10000, v3
	s_delay_alu instid0(VALU_DEP_2) | instskip(NEXT) | instid1(VALU_DEP_1)
	v_cmp_eq_u32_e64 s0, 0, v2
	v_cndmask_b32_e64 v2, v9, v3, s0
; %bb.1321:                             ;   in Loop: Header=BB398_803 Depth=1
	s_or_b32 exec_lo, exec_lo, s10
	v_lshrrev_b32_e32 v8, 16, v8
	v_lshrrev_b32_e32 v9, 16, v117
	;; [unrolled: 1-line block ×8, first 2 shown]
	s_and_saveexec_b32 s10, vcc_lo
	s_cbranch_execz .LBB398_1323
; %bb.1322:                             ;   in Loop: Header=BB398_803 Depth=1
	v_cmp_lt_i32_e64 s0, v50, v32
	s_delay_alu instid0(VALU_DEP_1) | instskip(SKIP_1) | instid1(VALU_DEP_1)
	v_cndmask_b32_e64 v113, 0, v113, s0
	v_cmp_lt_i32_e64 s0, v64, v32
	v_cndmask_b32_e64 v114, 0, v114, s0
	v_cmp_lt_i32_e64 s0, v55, v32
	s_delay_alu instid0(VALU_DEP_1) | instskip(SKIP_1) | instid1(VALU_DEP_1)
	v_cndmask_b32_e64 v115, 0, v115, s0
	v_cmp_lt_i32_e64 s0, v54, v32
	v_cndmask_b32_e64 v11, 0, v11, s0
	;; [unrolled: 5-line block ×4, first 2 shown]
.LBB398_1323:                           ;   in Loop: Header=BB398_803 Depth=1
	s_or_b32 exec_lo, exec_lo, s10
	v_lshlrev_b32_e32 v113, 16, v113
	s_delay_alu instid0(VALU_DEP_1) | instskip(NEXT) | instid1(VALU_DEP_1)
	v_mul_f32_e32 v116, v65, v113
	v_and_b32_e32 v113, 0x7f800000, v116
	s_delay_alu instid0(VALU_DEP_1) | instskip(NEXT) | instid1(VALU_DEP_1)
	v_cmp_ne_u32_e64 s0, 0x7f800000, v113
                                        ; implicit-def: $vgpr113
	s_and_saveexec_b32 s10, s0
	s_delay_alu instid0(SALU_CYCLE_1)
	s_xor_b32 s0, exec_lo, s10
; %bb.1324:                             ;   in Loop: Header=BB398_803 Depth=1
	v_bfe_u32 v113, v116, 16, 1
	s_delay_alu instid0(VALU_DEP_1)
	v_add3_u32 v113, v116, v113, 0x7fff
                                        ; implicit-def: $vgpr116
; %bb.1325:                             ;   in Loop: Header=BB398_803 Depth=1
	s_and_not1_saveexec_b32 s10, s0
; %bb.1326:                             ;   in Loop: Header=BB398_803 Depth=1
	v_and_b32_e32 v113, 0xffff, v116
	v_or_b32_e32 v117, 0x10000, v116
	s_delay_alu instid0(VALU_DEP_2) | instskip(NEXT) | instid1(VALU_DEP_1)
	v_cmp_eq_u32_e64 s0, 0, v113
	v_cndmask_b32_e64 v113, v117, v116, s0
; %bb.1327:                             ;   in Loop: Header=BB398_803 Depth=1
	s_or_b32 exec_lo, exec_lo, s10
	v_lshlrev_b32_e32 v114, 16, v114
	s_delay_alu instid0(VALU_DEP_1) | instskip(NEXT) | instid1(VALU_DEP_1)
	v_mul_f32_e32 v116, v66, v114
	v_and_b32_e32 v114, 0x7f800000, v116
	s_delay_alu instid0(VALU_DEP_1) | instskip(NEXT) | instid1(VALU_DEP_1)
	v_cmp_ne_u32_e64 s0, 0x7f800000, v114
                                        ; implicit-def: $vgpr114
	s_and_saveexec_b32 s10, s0
	s_delay_alu instid0(SALU_CYCLE_1)
	s_xor_b32 s0, exec_lo, s10
; %bb.1328:                             ;   in Loop: Header=BB398_803 Depth=1
	v_bfe_u32 v114, v116, 16, 1
	s_delay_alu instid0(VALU_DEP_1)
	v_add3_u32 v114, v116, v114, 0x7fff
                                        ; implicit-def: $vgpr116
; %bb.1329:                             ;   in Loop: Header=BB398_803 Depth=1
	s_and_not1_saveexec_b32 s10, s0
; %bb.1330:                             ;   in Loop: Header=BB398_803 Depth=1
	v_and_b32_e32 v114, 0xffff, v116
	v_or_b32_e32 v117, 0x10000, v116
	s_delay_alu instid0(VALU_DEP_2) | instskip(NEXT) | instid1(VALU_DEP_1)
	v_cmp_eq_u32_e64 s0, 0, v114
	v_cndmask_b32_e64 v114, v117, v116, s0
; %bb.1331:                             ;   in Loop: Header=BB398_803 Depth=1
	s_or_b32 exec_lo, exec_lo, s10
	v_lshlrev_b32_e32 v115, 16, v115
	s_delay_alu instid0(VALU_DEP_1) | instskip(NEXT) | instid1(VALU_DEP_1)
	v_mul_f32_e32 v116, v67, v115
	v_and_b32_e32 v115, 0x7f800000, v116
	s_delay_alu instid0(VALU_DEP_1) | instskip(NEXT) | instid1(VALU_DEP_1)
	v_cmp_ne_u32_e64 s0, 0x7f800000, v115
                                        ; implicit-def: $vgpr115
	s_and_saveexec_b32 s10, s0
	s_delay_alu instid0(SALU_CYCLE_1)
	s_xor_b32 s0, exec_lo, s10
; %bb.1332:                             ;   in Loop: Header=BB398_803 Depth=1
	v_bfe_u32 v115, v116, 16, 1
	s_delay_alu instid0(VALU_DEP_1)
	v_add3_u32 v115, v116, v115, 0x7fff
                                        ; implicit-def: $vgpr116
; %bb.1333:                             ;   in Loop: Header=BB398_803 Depth=1
	s_and_not1_saveexec_b32 s10, s0
; %bb.1334:                             ;   in Loop: Header=BB398_803 Depth=1
	v_and_b32_e32 v115, 0xffff, v116
	v_or_b32_e32 v117, 0x10000, v116
	s_delay_alu instid0(VALU_DEP_2) | instskip(NEXT) | instid1(VALU_DEP_1)
	v_cmp_eq_u32_e64 s0, 0, v115
	v_cndmask_b32_e64 v115, v117, v116, s0
; %bb.1335:                             ;   in Loop: Header=BB398_803 Depth=1
	s_or_b32 exec_lo, exec_lo, s10
	v_lshlrev_b32_e32 v11, 16, v11
	s_delay_alu instid0(VALU_DEP_1) | instskip(NEXT) | instid1(VALU_DEP_1)
	v_mul_f32_e32 v11, v68, v11
	v_and_b32_e32 v116, 0x7f800000, v11
	s_delay_alu instid0(VALU_DEP_1) | instskip(NEXT) | instid1(VALU_DEP_1)
	v_cmp_ne_u32_e64 s0, 0x7f800000, v116
                                        ; implicit-def: $vgpr116
	s_and_saveexec_b32 s10, s0
	s_delay_alu instid0(SALU_CYCLE_1)
	s_xor_b32 s0, exec_lo, s10
; %bb.1336:                             ;   in Loop: Header=BB398_803 Depth=1
	v_bfe_u32 v116, v11, 16, 1
	s_delay_alu instid0(VALU_DEP_1)
	v_add3_u32 v116, v11, v116, 0x7fff
                                        ; implicit-def: $vgpr11
; %bb.1337:                             ;   in Loop: Header=BB398_803 Depth=1
	s_and_not1_saveexec_b32 s10, s0
; %bb.1338:                             ;   in Loop: Header=BB398_803 Depth=1
	v_and_b32_e32 v116, 0xffff, v11
	v_or_b32_e32 v117, 0x10000, v11
	s_delay_alu instid0(VALU_DEP_2) | instskip(NEXT) | instid1(VALU_DEP_1)
	v_cmp_eq_u32_e64 s0, 0, v116
	v_cndmask_b32_e64 v116, v117, v11, s0
; %bb.1339:                             ;   in Loop: Header=BB398_803 Depth=1
	s_or_b32 exec_lo, exec_lo, s10
	v_lshlrev_b32_e32 v9, 16, v9
                                        ; implicit-def: $vgpr117
	s_delay_alu instid0(VALU_DEP_1) | instskip(NEXT) | instid1(VALU_DEP_1)
	v_mul_f32_e32 v9, v69, v9
	v_and_b32_e32 v11, 0x7f800000, v9
	s_delay_alu instid0(VALU_DEP_1) | instskip(NEXT) | instid1(VALU_DEP_1)
	v_cmp_ne_u32_e64 s0, 0x7f800000, v11
	s_and_saveexec_b32 s10, s0
	s_delay_alu instid0(SALU_CYCLE_1)
	s_xor_b32 s0, exec_lo, s10
; %bb.1340:                             ;   in Loop: Header=BB398_803 Depth=1
	v_bfe_u32 v11, v9, 16, 1
	s_delay_alu instid0(VALU_DEP_1)
	v_add3_u32 v117, v9, v11, 0x7fff
                                        ; implicit-def: $vgpr9
; %bb.1341:                             ;   in Loop: Header=BB398_803 Depth=1
	s_and_not1_saveexec_b32 s10, s0
; %bb.1342:                             ;   in Loop: Header=BB398_803 Depth=1
	v_and_b32_e32 v11, 0xffff, v9
	v_or_b32_e32 v117, 0x10000, v9
	s_delay_alu instid0(VALU_DEP_2) | instskip(NEXT) | instid1(VALU_DEP_1)
	v_cmp_eq_u32_e64 s0, 0, v11
	v_cndmask_b32_e64 v117, v117, v9, s0
; %bb.1343:                             ;   in Loop: Header=BB398_803 Depth=1
	s_or_b32 exec_lo, exec_lo, s10
	v_lshlrev_b32_e32 v8, 16, v8
                                        ; implicit-def: $vgpr118
	s_delay_alu instid0(VALU_DEP_1) | instskip(NEXT) | instid1(VALU_DEP_1)
	v_mul_f32_e32 v8, v70, v8
	v_and_b32_e32 v9, 0x7f800000, v8
	s_delay_alu instid0(VALU_DEP_1) | instskip(NEXT) | instid1(VALU_DEP_1)
	v_cmp_ne_u32_e64 s0, 0x7f800000, v9
	s_and_saveexec_b32 s10, s0
	s_delay_alu instid0(SALU_CYCLE_1)
	s_xor_b32 s0, exec_lo, s10
; %bb.1344:                             ;   in Loop: Header=BB398_803 Depth=1
	v_bfe_u32 v9, v8, 16, 1
	s_delay_alu instid0(VALU_DEP_1)
	v_add3_u32 v118, v8, v9, 0x7fff
                                        ; implicit-def: $vgpr8
; %bb.1345:                             ;   in Loop: Header=BB398_803 Depth=1
	s_and_not1_saveexec_b32 s10, s0
; %bb.1346:                             ;   in Loop: Header=BB398_803 Depth=1
	v_and_b32_e32 v9, 0xffff, v8
	v_or_b32_e32 v11, 0x10000, v8
	s_delay_alu instid0(VALU_DEP_2) | instskip(NEXT) | instid1(VALU_DEP_1)
	v_cmp_eq_u32_e64 s0, 0, v9
	v_cndmask_b32_e64 v118, v11, v8, s0
; %bb.1347:                             ;   in Loop: Header=BB398_803 Depth=1
	s_or_b32 exec_lo, exec_lo, s10
	v_lshlrev_b32_e32 v3, 16, v3
                                        ; implicit-def: $vgpr119
	s_delay_alu instid0(VALU_DEP_1) | instskip(NEXT) | instid1(VALU_DEP_1)
	v_mul_f32_e32 v3, v71, v3
	v_and_b32_e32 v8, 0x7f800000, v3
	s_delay_alu instid0(VALU_DEP_1) | instskip(NEXT) | instid1(VALU_DEP_1)
	v_cmp_ne_u32_e64 s0, 0x7f800000, v8
	s_and_saveexec_b32 s10, s0
	s_delay_alu instid0(SALU_CYCLE_1)
	s_xor_b32 s0, exec_lo, s10
; %bb.1348:                             ;   in Loop: Header=BB398_803 Depth=1
	v_bfe_u32 v8, v3, 16, 1
	s_delay_alu instid0(VALU_DEP_1)
	v_add3_u32 v119, v3, v8, 0x7fff
                                        ; implicit-def: $vgpr3
; %bb.1349:                             ;   in Loop: Header=BB398_803 Depth=1
	s_and_not1_saveexec_b32 s10, s0
; %bb.1350:                             ;   in Loop: Header=BB398_803 Depth=1
	v_and_b32_e32 v8, 0xffff, v3
	v_or_b32_e32 v9, 0x10000, v3
	s_delay_alu instid0(VALU_DEP_2) | instskip(NEXT) | instid1(VALU_DEP_1)
	v_cmp_eq_u32_e64 s0, 0, v8
	v_cndmask_b32_e64 v119, v9, v3, s0
; %bb.1351:                             ;   in Loop: Header=BB398_803 Depth=1
	s_or_b32 exec_lo, exec_lo, s10
	v_lshlrev_b32_e32 v2, 16, v2
                                        ; implicit-def: $vgpr128
	s_delay_alu instid0(VALU_DEP_1) | instskip(NEXT) | instid1(VALU_DEP_1)
	v_mul_f32_e32 v2, v80, v2
	v_and_b32_e32 v3, 0x7f800000, v2
	s_delay_alu instid0(VALU_DEP_1) | instskip(NEXT) | instid1(VALU_DEP_1)
	v_cmp_ne_u32_e64 s0, 0x7f800000, v3
	s_and_saveexec_b32 s10, s0
	s_delay_alu instid0(SALU_CYCLE_1)
	s_xor_b32 s0, exec_lo, s10
; %bb.1352:                             ;   in Loop: Header=BB398_803 Depth=1
	v_bfe_u32 v3, v2, 16, 1
	s_delay_alu instid0(VALU_DEP_1)
	v_add3_u32 v128, v2, v3, 0x7fff
                                        ; implicit-def: $vgpr2
; %bb.1353:                             ;   in Loop: Header=BB398_803 Depth=1
	s_and_not1_saveexec_b32 s10, s0
; %bb.1354:                             ;   in Loop: Header=BB398_803 Depth=1
	v_and_b32_e32 v3, 0xffff, v2
	v_or_b32_e32 v8, 0x10000, v2
	s_delay_alu instid0(VALU_DEP_2) | instskip(NEXT) | instid1(VALU_DEP_1)
	v_cmp_eq_u32_e64 s0, 0, v3
	v_cndmask_b32_e64 v128, v8, v2, s0
; %bb.1355:                             ;   in Loop: Header=BB398_803 Depth=1
	s_or_b32 exec_lo, exec_lo, s10
	flat_load_b64 v[2:3], v[0:1] offset:1024
	s_mov_b32 s10, exec_lo
	s_waitcnt vmcnt(0) lgkmcnt(0)
	v_dual_mov_b32 v8, 0 :: v_dual_and_b32 v9, 0xff, v2
	s_delay_alu instid0(VALU_DEP_1)
	v_cmpx_ne_u16_e32 0, v9
	s_cbranch_execz .LBB398_1363
; %bb.1356:                             ;   in Loop: Header=BB398_803 Depth=1
	v_bfrev_b32_e32 v8, 1
	s_mov_b32 s12, exec_lo
	v_cmpx_ne_u16_e32 0x80, v9
	s_cbranch_execz .LBB398_1362
; %bb.1357:                             ;   in Loop: Header=BB398_803 Depth=1
	v_and_b32_e32 v9, 0x7f, v2
	v_mov_b32_e32 v8, 0x7f800001
	s_mov_b32 s13, exec_lo
	s_delay_alu instid0(VALU_DEP_2)
	v_cmpx_ne_u32_e32 0x7f, v9
	s_cbranch_execz .LBB398_1361
; %bb.1358:                             ;   in Loop: Header=BB398_803 Depth=1
	v_lshrrev_b32_e32 v11, 3, v9
	v_cmp_gt_u32_e64 s0, 8, v9
	v_dual_mov_b32 v9, v3 :: v_dual_mov_b32 v8, v2
	s_delay_alu instid0(VALU_DEP_2)
	s_and_saveexec_b32 s15, s0
; %bb.1359:                             ;   in Loop: Header=BB398_803 Depth=1
	v_and_b32_e32 v8, 7, v2
	s_delay_alu instid0(VALU_DEP_1) | instskip(NEXT) | instid1(VALU_DEP_1)
	v_clz_i32_u32_e32 v8, v8
	v_min_u32_e32 v11, 32, v8
	s_delay_alu instid0(VALU_DEP_1) | instskip(SKIP_1) | instid1(VALU_DEP_2)
	v_subrev_nc_u32_e32 v8, 28, v11
	v_sub_nc_u32_e32 v11, 29, v11
	v_lshlrev_b64 v[8:9], v8, v[2:3]
; %bb.1360:                             ;   in Loop: Header=BB398_803 Depth=1
	s_or_b32 exec_lo, exec_lo, s15
	s_delay_alu instid0(VALU_DEP_1) | instskip(SKIP_2) | instid1(VALU_DEP_3)
	v_lshlrev_b32_e32 v8, 20, v8
	v_lshlrev_b32_e32 v9, 24, v2
	v_lshl_add_u32 v11, v11, 23, 0x3c000000
	v_and_b32_e32 v8, 0x700000, v8
	s_delay_alu instid0(VALU_DEP_3) | instskip(NEXT) | instid1(VALU_DEP_1)
	v_and_b32_e32 v9, 0x80000000, v9
	v_or3_b32 v8, v8, v9, v11
.LBB398_1361:                           ;   in Loop: Header=BB398_803 Depth=1
	s_or_b32 exec_lo, exec_lo, s13
.LBB398_1362:                           ;   in Loop: Header=BB398_803 Depth=1
	s_delay_alu instid0(SALU_CYCLE_1)
	s_or_b32 exec_lo, exec_lo, s12
.LBB398_1363:                           ;   in Loop: Header=BB398_803 Depth=1
	s_delay_alu instid0(SALU_CYCLE_1) | instskip(NEXT) | instid1(VALU_DEP_1)
	s_or_b32 exec_lo, exec_lo, s10
	v_mul_f32_e32 v8, v26, v8
                                        ; implicit-def: $vgpr129
	s_delay_alu instid0(VALU_DEP_1) | instskip(NEXT) | instid1(VALU_DEP_1)
	v_and_b32_e32 v9, 0x7f800000, v8
	v_cmp_ne_u32_e64 s0, 0x7f800000, v9
	s_delay_alu instid0(VALU_DEP_1) | instskip(NEXT) | instid1(SALU_CYCLE_1)
	s_and_saveexec_b32 s10, s0
	s_xor_b32 s0, exec_lo, s10
; %bb.1364:                             ;   in Loop: Header=BB398_803 Depth=1
	v_bfe_u32 v9, v8, 16, 1
	s_delay_alu instid0(VALU_DEP_1)
	v_add3_u32 v129, v8, v9, 0x7fff
                                        ; implicit-def: $vgpr8
; %bb.1365:                             ;   in Loop: Header=BB398_803 Depth=1
	s_and_not1_saveexec_b32 s10, s0
; %bb.1366:                             ;   in Loop: Header=BB398_803 Depth=1
	v_and_b32_e32 v9, 0xffff, v8
	v_or_b32_e32 v11, 0x10000, v8
	s_delay_alu instid0(VALU_DEP_2) | instskip(NEXT) | instid1(VALU_DEP_1)
	v_cmp_eq_u32_e64 s0, 0, v9
	v_cndmask_b32_e64 v129, v11, v8, s0
; %bb.1367:                             ;   in Loop: Header=BB398_803 Depth=1
	s_or_b32 exec_lo, exec_lo, s10
	v_lshrrev_b16 v9, 8, v2
	v_mov_b32_e32 v8, 0
	s_mov_b32 s10, exec_lo
	s_delay_alu instid0(VALU_DEP_2)
	v_cmpx_ne_u16_e32 0, v9
	s_cbranch_execz .LBB398_1375
; %bb.1368:                             ;   in Loop: Header=BB398_803 Depth=1
	v_bfrev_b32_e32 v8, 1
	s_mov_b32 s12, exec_lo
	v_cmpx_ne_u16_e32 0x80, v9
	s_cbranch_execz .LBB398_1374
; %bb.1369:                             ;   in Loop: Header=BB398_803 Depth=1
	v_and_b32_e32 v11, 0xffff, v9
	v_mov_b32_e32 v8, 0x7f800001
	s_mov_b32 s13, exec_lo
	s_delay_alu instid0(VALU_DEP_2) | instskip(NEXT) | instid1(VALU_DEP_1)
	v_and_b32_e32 v9, 0x7f, v11
	v_cmpx_ne_u32_e32 0x7f, v9
	s_cbranch_execz .LBB398_1373
; %bb.1370:                             ;   in Loop: Header=BB398_803 Depth=1
	v_and_b32_e32 v11, 7, v11
	v_lshrrev_b32_e32 v8, 3, v9
	s_mov_b32 s15, exec_lo
	v_cmpx_gt_u32_e32 8, v9
; %bb.1371:                             ;   in Loop: Header=BB398_803 Depth=1
	s_delay_alu instid0(VALU_DEP_3) | instskip(NEXT) | instid1(VALU_DEP_1)
	v_clz_i32_u32_e32 v8, v11
	v_min_u32_e32 v8, 32, v8
	s_delay_alu instid0(VALU_DEP_1) | instskip(SKIP_1) | instid1(VALU_DEP_2)
	v_subrev_nc_u32_e32 v9, 28, v8
	v_sub_nc_u32_e32 v8, 29, v8
	v_lshlrev_b64 v[130:131], v9, v[11:12]
	s_delay_alu instid0(VALU_DEP_1)
	v_and_b32_e32 v11, 7, v130
; %bb.1372:                             ;   in Loop: Header=BB398_803 Depth=1
	s_or_b32 exec_lo, exec_lo, s15
	v_lshlrev_b32_e32 v9, 16, v2
	s_delay_alu instid0(VALU_DEP_2) | instskip(SKIP_1) | instid1(VALU_DEP_3)
	v_lshlrev_b32_e32 v11, 20, v11
	v_lshl_add_u32 v8, v8, 23, 0x3c000000
	v_and_b32_e32 v9, 0x80000000, v9
	s_delay_alu instid0(VALU_DEP_1)
	v_or3_b32 v8, v11, v9, v8
.LBB398_1373:                           ;   in Loop: Header=BB398_803 Depth=1
	s_or_b32 exec_lo, exec_lo, s13
.LBB398_1374:                           ;   in Loop: Header=BB398_803 Depth=1
	s_delay_alu instid0(SALU_CYCLE_1)
	s_or_b32 exec_lo, exec_lo, s12
.LBB398_1375:                           ;   in Loop: Header=BB398_803 Depth=1
	s_delay_alu instid0(SALU_CYCLE_1) | instskip(NEXT) | instid1(VALU_DEP_1)
	s_or_b32 exec_lo, exec_lo, s10
	v_mul_f32_e32 v8, v26, v8
                                        ; implicit-def: $vgpr130
	s_delay_alu instid0(VALU_DEP_1) | instskip(NEXT) | instid1(VALU_DEP_1)
	v_and_b32_e32 v9, 0x7f800000, v8
	v_cmp_ne_u32_e64 s0, 0x7f800000, v9
	s_delay_alu instid0(VALU_DEP_1) | instskip(NEXT) | instid1(SALU_CYCLE_1)
	s_and_saveexec_b32 s10, s0
	s_xor_b32 s0, exec_lo, s10
; %bb.1376:                             ;   in Loop: Header=BB398_803 Depth=1
	v_bfe_u32 v9, v8, 16, 1
	s_delay_alu instid0(VALU_DEP_1)
	v_add3_u32 v130, v8, v9, 0x7fff
                                        ; implicit-def: $vgpr8
; %bb.1377:                             ;   in Loop: Header=BB398_803 Depth=1
	s_and_not1_saveexec_b32 s10, s0
; %bb.1378:                             ;   in Loop: Header=BB398_803 Depth=1
	v_and_b32_e32 v9, 0xffff, v8
	v_or_b32_e32 v11, 0x10000, v8
	s_delay_alu instid0(VALU_DEP_2) | instskip(NEXT) | instid1(VALU_DEP_1)
	v_cmp_eq_u32_e64 s0, 0, v9
	v_cndmask_b32_e64 v130, v11, v8, s0
; %bb.1379:                             ;   in Loop: Header=BB398_803 Depth=1
	s_or_b32 exec_lo, exec_lo, s10
	v_lshrrev_b32_e32 v8, 16, v2
	v_mov_b32_e32 v9, 0
	s_mov_b32 s10, exec_lo
	s_delay_alu instid0(VALU_DEP_2) | instskip(NEXT) | instid1(VALU_DEP_1)
	v_and_b32_e32 v11, 0xff, v8
	v_cmpx_ne_u16_e32 0, v11
	s_cbranch_execz .LBB398_1387
; %bb.1380:                             ;   in Loop: Header=BB398_803 Depth=1
	v_bfrev_b32_e32 v9, 1
	s_mov_b32 s12, exec_lo
	v_cmpx_ne_u16_e32 0x80, v11
	s_cbranch_execz .LBB398_1386
; %bb.1381:                             ;   in Loop: Header=BB398_803 Depth=1
	v_bfe_u32 v131, v2, 16, 7
	v_mov_b32_e32 v9, 0x7f800001
	s_mov_b32 s13, exec_lo
	s_delay_alu instid0(VALU_DEP_2)
	v_cmpx_ne_u32_e32 0x7f, v131
	s_cbranch_execz .LBB398_1385
; %bb.1382:                             ;   in Loop: Header=BB398_803 Depth=1
	v_and_b32_e32 v11, 7, v8
	v_lshrrev_b32_e32 v9, 3, v131
	s_mov_b32 s15, exec_lo
	v_cmpx_gt_u32_e32 8, v131
; %bb.1383:                             ;   in Loop: Header=BB398_803 Depth=1
	s_delay_alu instid0(VALU_DEP_3) | instskip(NEXT) | instid1(VALU_DEP_1)
	v_clz_i32_u32_e32 v9, v11
	v_min_u32_e32 v9, 32, v9
	s_delay_alu instid0(VALU_DEP_1) | instskip(SKIP_1) | instid1(VALU_DEP_2)
	v_subrev_nc_u32_e32 v131, 28, v9
	v_sub_nc_u32_e32 v9, 29, v9
	v_lshlrev_b64 v[131:132], v131, v[11:12]
	s_delay_alu instid0(VALU_DEP_1)
	v_and_b32_e32 v11, 7, v131
; %bb.1384:                             ;   in Loop: Header=BB398_803 Depth=1
	s_or_b32 exec_lo, exec_lo, s15
	v_lshlrev_b32_e32 v8, 24, v8
	s_delay_alu instid0(VALU_DEP_2) | instskip(SKIP_1) | instid1(VALU_DEP_3)
	v_lshlrev_b32_e32 v11, 20, v11
	v_lshl_add_u32 v9, v9, 23, 0x3c000000
	v_and_b32_e32 v8, 0x80000000, v8
	s_delay_alu instid0(VALU_DEP_1)
	v_or3_b32 v9, v11, v8, v9
.LBB398_1385:                           ;   in Loop: Header=BB398_803 Depth=1
	s_or_b32 exec_lo, exec_lo, s13
.LBB398_1386:                           ;   in Loop: Header=BB398_803 Depth=1
	s_delay_alu instid0(SALU_CYCLE_1)
	s_or_b32 exec_lo, exec_lo, s12
.LBB398_1387:                           ;   in Loop: Header=BB398_803 Depth=1
	s_delay_alu instid0(SALU_CYCLE_1) | instskip(NEXT) | instid1(VALU_DEP_1)
	s_or_b32 exec_lo, exec_lo, s10
	v_mul_f32_e32 v8, v26, v9
                                        ; implicit-def: $vgpr131
	s_delay_alu instid0(VALU_DEP_1) | instskip(NEXT) | instid1(VALU_DEP_1)
	v_and_b32_e32 v9, 0x7f800000, v8
	v_cmp_ne_u32_e64 s0, 0x7f800000, v9
	s_delay_alu instid0(VALU_DEP_1) | instskip(NEXT) | instid1(SALU_CYCLE_1)
	s_and_saveexec_b32 s10, s0
	s_xor_b32 s0, exec_lo, s10
; %bb.1388:                             ;   in Loop: Header=BB398_803 Depth=1
	v_bfe_u32 v9, v8, 16, 1
	s_delay_alu instid0(VALU_DEP_1)
	v_add3_u32 v131, v8, v9, 0x7fff
                                        ; implicit-def: $vgpr8
; %bb.1389:                             ;   in Loop: Header=BB398_803 Depth=1
	s_and_not1_saveexec_b32 s10, s0
; %bb.1390:                             ;   in Loop: Header=BB398_803 Depth=1
	v_and_b32_e32 v9, 0xffff, v8
	v_or_b32_e32 v11, 0x10000, v8
	s_delay_alu instid0(VALU_DEP_2) | instskip(NEXT) | instid1(VALU_DEP_1)
	v_cmp_eq_u32_e64 s0, 0, v9
	v_cndmask_b32_e64 v131, v11, v8, s0
; %bb.1391:                             ;   in Loop: Header=BB398_803 Depth=1
	s_or_b32 exec_lo, exec_lo, s10
	v_mov_b32_e32 v9, 0
	s_mov_b32 s10, exec_lo
	v_cmpx_lt_u32_e32 0xffffff, v2
	s_cbranch_execz .LBB398_1399
; %bb.1392:                             ;   in Loop: Header=BB398_803 Depth=1
	v_lshrrev_b32_e32 v8, 24, v2
	v_bfrev_b32_e32 v9, 1
	s_mov_b32 s12, exec_lo
	s_delay_alu instid0(VALU_DEP_2)
	v_cmpx_ne_u32_e32 0x80, v8
	s_cbranch_execz .LBB398_1398
; %bb.1393:                             ;   in Loop: Header=BB398_803 Depth=1
	v_bfe_u32 v132, v2, 24, 7
	v_mov_b32_e32 v9, 0x7f800001
	s_mov_b32 s13, exec_lo
	s_delay_alu instid0(VALU_DEP_2)
	v_cmpx_ne_u32_e32 0x7f, v132
	s_cbranch_execz .LBB398_1397
; %bb.1394:                             ;   in Loop: Header=BB398_803 Depth=1
	v_and_b32_e32 v11, 7, v8
	v_lshrrev_b32_e32 v9, 3, v132
	s_mov_b32 s15, exec_lo
	v_cmpx_gt_u32_e32 8, v132
; %bb.1395:                             ;   in Loop: Header=BB398_803 Depth=1
	s_delay_alu instid0(VALU_DEP_3) | instskip(NEXT) | instid1(VALU_DEP_1)
	v_clz_i32_u32_e32 v9, v11
	v_min_u32_e32 v9, 32, v9
	s_delay_alu instid0(VALU_DEP_1) | instskip(SKIP_1) | instid1(VALU_DEP_2)
	v_subrev_nc_u32_e32 v132, 28, v9
	v_sub_nc_u32_e32 v9, 29, v9
	v_lshlrev_b64 v[132:133], v132, v[11:12]
	s_delay_alu instid0(VALU_DEP_1)
	v_and_b32_e32 v11, 7, v132
; %bb.1396:                             ;   in Loop: Header=BB398_803 Depth=1
	s_or_b32 exec_lo, exec_lo, s15
	v_lshlrev_b32_e32 v8, 24, v8
	s_delay_alu instid0(VALU_DEP_2) | instskip(SKIP_1) | instid1(VALU_DEP_3)
	v_lshlrev_b32_e32 v11, 20, v11
	v_lshl_add_u32 v9, v9, 23, 0x3c000000
	v_and_b32_e32 v8, 0x80000000, v8
	s_delay_alu instid0(VALU_DEP_1)
	v_or3_b32 v9, v11, v8, v9
.LBB398_1397:                           ;   in Loop: Header=BB398_803 Depth=1
	s_or_b32 exec_lo, exec_lo, s13
.LBB398_1398:                           ;   in Loop: Header=BB398_803 Depth=1
	s_delay_alu instid0(SALU_CYCLE_1)
	s_or_b32 exec_lo, exec_lo, s12
.LBB398_1399:                           ;   in Loop: Header=BB398_803 Depth=1
	s_delay_alu instid0(SALU_CYCLE_1) | instskip(NEXT) | instid1(VALU_DEP_1)
	s_or_b32 exec_lo, exec_lo, s10
	v_mul_f32_e32 v8, v26, v9
                                        ; implicit-def: $vgpr132
	s_delay_alu instid0(VALU_DEP_1) | instskip(NEXT) | instid1(VALU_DEP_1)
	v_and_b32_e32 v9, 0x7f800000, v8
	v_cmp_ne_u32_e64 s0, 0x7f800000, v9
	s_delay_alu instid0(VALU_DEP_1) | instskip(NEXT) | instid1(SALU_CYCLE_1)
	s_and_saveexec_b32 s10, s0
	s_xor_b32 s0, exec_lo, s10
; %bb.1400:                             ;   in Loop: Header=BB398_803 Depth=1
	v_bfe_u32 v9, v8, 16, 1
	s_delay_alu instid0(VALU_DEP_1)
	v_add3_u32 v132, v8, v9, 0x7fff
                                        ; implicit-def: $vgpr8
; %bb.1401:                             ;   in Loop: Header=BB398_803 Depth=1
	s_and_not1_saveexec_b32 s10, s0
; %bb.1402:                             ;   in Loop: Header=BB398_803 Depth=1
	v_and_b32_e32 v9, 0xffff, v8
	v_or_b32_e32 v11, 0x10000, v8
	s_delay_alu instid0(VALU_DEP_2) | instskip(NEXT) | instid1(VALU_DEP_1)
	v_cmp_eq_u32_e64 s0, 0, v9
	v_cndmask_b32_e64 v132, v11, v8, s0
; %bb.1403:                             ;   in Loop: Header=BB398_803 Depth=1
	s_or_b32 exec_lo, exec_lo, s10
	v_dual_mov_b32 v8, 0 :: v_dual_and_b32 v9, 0xff, v3
	v_mov_b32_e32 v11, v3
	s_mov_b32 s10, exec_lo
	s_delay_alu instid0(VALU_DEP_2)
	v_cmpx_ne_u16_e32 0, v9
	s_cbranch_execz .LBB398_1411
; %bb.1404:                             ;   in Loop: Header=BB398_803 Depth=1
	v_bfrev_b32_e32 v8, 1
	s_mov_b32 s12, exec_lo
	v_cmpx_ne_u16_e32 0x80, v9
	s_cbranch_execz .LBB398_1410
; %bb.1405:                             ;   in Loop: Header=BB398_803 Depth=1
	v_and_b32_e32 v9, 0x7f, v3
	v_mov_b32_e32 v8, 0x7f800001
	s_mov_b32 s13, exec_lo
	s_delay_alu instid0(VALU_DEP_2)
	v_cmpx_ne_u32_e32 0x7f, v9
	s_cbranch_execz .LBB398_1409
; %bb.1406:                             ;   in Loop: Header=BB398_803 Depth=1
	v_lshrrev_b32_e32 v133, 3, v9
	v_cmp_gt_u32_e64 s0, 8, v9
	v_dual_mov_b32 v8, v11 :: v_dual_mov_b32 v9, v12
	s_delay_alu instid0(VALU_DEP_2)
	s_and_saveexec_b32 s15, s0
; %bb.1407:                             ;   in Loop: Header=BB398_803 Depth=1
	v_and_b32_e32 v8, 7, v3
	s_delay_alu instid0(VALU_DEP_1) | instskip(NEXT) | instid1(VALU_DEP_1)
	v_clz_i32_u32_e32 v8, v8
	v_min_u32_e32 v133, 32, v8
	s_delay_alu instid0(VALU_DEP_1) | instskip(SKIP_1) | instid1(VALU_DEP_2)
	v_subrev_nc_u32_e32 v8, 28, v133
	v_sub_nc_u32_e32 v133, 29, v133
	v_lshlrev_b64 v[8:9], v8, v[11:12]
; %bb.1408:                             ;   in Loop: Header=BB398_803 Depth=1
	s_or_b32 exec_lo, exec_lo, s15
	s_delay_alu instid0(VALU_DEP_1) | instskip(SKIP_2) | instid1(VALU_DEP_3)
	v_lshlrev_b32_e32 v8, 20, v8
	v_lshlrev_b32_e32 v9, 24, v11
	v_lshl_add_u32 v133, v133, 23, 0x3c000000
	v_and_b32_e32 v8, 0x700000, v8
	s_delay_alu instid0(VALU_DEP_3) | instskip(NEXT) | instid1(VALU_DEP_1)
	v_and_b32_e32 v9, 0x80000000, v9
	v_or3_b32 v8, v8, v9, v133
.LBB398_1409:                           ;   in Loop: Header=BB398_803 Depth=1
	s_or_b32 exec_lo, exec_lo, s13
.LBB398_1410:                           ;   in Loop: Header=BB398_803 Depth=1
	s_delay_alu instid0(SALU_CYCLE_1)
	s_or_b32 exec_lo, exec_lo, s12
.LBB398_1411:                           ;   in Loop: Header=BB398_803 Depth=1
	s_delay_alu instid0(SALU_CYCLE_1) | instskip(NEXT) | instid1(VALU_DEP_1)
	s_or_b32 exec_lo, exec_lo, s10
	v_mul_f32_e32 v8, v26, v8
                                        ; implicit-def: $vgpr133
	s_delay_alu instid0(VALU_DEP_1) | instskip(NEXT) | instid1(VALU_DEP_1)
	v_and_b32_e32 v9, 0x7f800000, v8
	v_cmp_ne_u32_e64 s0, 0x7f800000, v9
	s_delay_alu instid0(VALU_DEP_1) | instskip(NEXT) | instid1(SALU_CYCLE_1)
	s_and_saveexec_b32 s10, s0
	s_xor_b32 s0, exec_lo, s10
; %bb.1412:                             ;   in Loop: Header=BB398_803 Depth=1
	v_bfe_u32 v9, v8, 16, 1
	s_delay_alu instid0(VALU_DEP_1)
	v_add3_u32 v133, v8, v9, 0x7fff
                                        ; implicit-def: $vgpr8
; %bb.1413:                             ;   in Loop: Header=BB398_803 Depth=1
	s_and_not1_saveexec_b32 s10, s0
; %bb.1414:                             ;   in Loop: Header=BB398_803 Depth=1
	v_and_b32_e32 v9, 0xffff, v8
	v_or_b32_e32 v133, 0x10000, v8
	s_delay_alu instid0(VALU_DEP_2) | instskip(NEXT) | instid1(VALU_DEP_1)
	v_cmp_eq_u32_e64 s0, 0, v9
	v_cndmask_b32_e64 v133, v133, v8, s0
; %bb.1415:                             ;   in Loop: Header=BB398_803 Depth=1
	s_or_b32 exec_lo, exec_lo, s10
	v_lshrrev_b16 v9, 8, v11
	v_mov_b32_e32 v8, 0
	s_mov_b32 s10, exec_lo
	s_delay_alu instid0(VALU_DEP_2)
	v_cmpx_ne_u16_e32 0, v9
	s_cbranch_execz .LBB398_1423
; %bb.1416:                             ;   in Loop: Header=BB398_803 Depth=1
	v_bfrev_b32_e32 v8, 1
	s_mov_b32 s12, exec_lo
	v_cmpx_ne_u16_e32 0x80, v9
	s_cbranch_execz .LBB398_1422
; %bb.1417:                             ;   in Loop: Header=BB398_803 Depth=1
	v_and_b32_e32 v9, 0xffff, v9
	v_mov_b32_e32 v8, 0x7f800001
	s_mov_b32 s13, exec_lo
	s_delay_alu instid0(VALU_DEP_2) | instskip(NEXT) | instid1(VALU_DEP_1)
	v_and_b32_e32 v135, 0x7f, v9
	v_cmpx_ne_u32_e32 0x7f, v135
	s_cbranch_execz .LBB398_1421
; %bb.1418:                             ;   in Loop: Header=BB398_803 Depth=1
	v_dual_mov_b32 v9, v12 :: v_dual_and_b32 v8, 7, v9
	v_lshrrev_b32_e32 v134, 3, v135
	s_mov_b32 s15, exec_lo
	v_cmpx_gt_u32_e32 8, v135
; %bb.1419:                             ;   in Loop: Header=BB398_803 Depth=1
	s_delay_alu instid0(VALU_DEP_3) | instskip(NEXT) | instid1(VALU_DEP_1)
	v_clz_i32_u32_e32 v134, v8
	v_min_u32_e32 v134, 32, v134
	s_delay_alu instid0(VALU_DEP_1) | instskip(SKIP_1) | instid1(VALU_DEP_2)
	v_subrev_nc_u32_e32 v135, 28, v134
	v_sub_nc_u32_e32 v134, 29, v134
	v_lshlrev_b64 v[8:9], v135, v[8:9]
	s_delay_alu instid0(VALU_DEP_1)
	v_and_b32_e32 v8, 7, v8
; %bb.1420:                             ;   in Loop: Header=BB398_803 Depth=1
	s_or_b32 exec_lo, exec_lo, s15
	v_lshlrev_b32_e32 v9, 16, v11
	s_delay_alu instid0(VALU_DEP_2) | instskip(SKIP_1) | instid1(VALU_DEP_3)
	v_lshlrev_b32_e32 v8, 20, v8
	v_lshl_add_u32 v11, v134, 23, 0x3c000000
	v_and_b32_e32 v9, 0x80000000, v9
	s_delay_alu instid0(VALU_DEP_1)
	v_or3_b32 v8, v8, v9, v11
.LBB398_1421:                           ;   in Loop: Header=BB398_803 Depth=1
	s_or_b32 exec_lo, exec_lo, s13
.LBB398_1422:                           ;   in Loop: Header=BB398_803 Depth=1
	s_delay_alu instid0(SALU_CYCLE_1)
	s_or_b32 exec_lo, exec_lo, s12
.LBB398_1423:                           ;   in Loop: Header=BB398_803 Depth=1
	s_delay_alu instid0(SALU_CYCLE_1) | instskip(NEXT) | instid1(VALU_DEP_1)
	s_or_b32 exec_lo, exec_lo, s10
	v_mul_f32_e32 v9, v26, v8
	s_delay_alu instid0(VALU_DEP_1) | instskip(NEXT) | instid1(VALU_DEP_1)
	v_and_b32_e32 v8, 0x7f800000, v9
	v_cmp_ne_u32_e64 s0, 0x7f800000, v8
                                        ; implicit-def: $vgpr8
	s_delay_alu instid0(VALU_DEP_1) | instskip(NEXT) | instid1(SALU_CYCLE_1)
	s_and_saveexec_b32 s10, s0
	s_xor_b32 s0, exec_lo, s10
; %bb.1424:                             ;   in Loop: Header=BB398_803 Depth=1
	v_bfe_u32 v8, v9, 16, 1
	s_delay_alu instid0(VALU_DEP_1)
	v_add3_u32 v8, v9, v8, 0x7fff
                                        ; implicit-def: $vgpr9
; %bb.1425:                             ;   in Loop: Header=BB398_803 Depth=1
	s_and_not1_saveexec_b32 s10, s0
; %bb.1426:                             ;   in Loop: Header=BB398_803 Depth=1
	v_and_b32_e32 v8, 0xffff, v9
	v_or_b32_e32 v11, 0x10000, v9
	s_delay_alu instid0(VALU_DEP_2) | instskip(NEXT) | instid1(VALU_DEP_1)
	v_cmp_eq_u32_e64 s0, 0, v8
	v_cndmask_b32_e64 v8, v11, v9, s0
; %bb.1427:                             ;   in Loop: Header=BB398_803 Depth=1
	s_or_b32 exec_lo, exec_lo, s10
	v_lshrrev_b32_e32 v9, 16, v3
	s_mov_b32 s10, exec_lo
	s_delay_alu instid0(VALU_DEP_1) | instskip(NEXT) | instid1(VALU_DEP_1)
	v_dual_mov_b32 v11, 0 :: v_dual_and_b32 v134, 0xff, v9
	v_cmpx_ne_u16_e64 0, v134
	s_cbranch_execz .LBB398_1435
; %bb.1428:                             ;   in Loop: Header=BB398_803 Depth=1
	v_bfrev_b32_e32 v11, 1
	s_mov_b32 s12, exec_lo
	v_cmpx_ne_u16_e64 0x80, v134
	s_cbranch_execz .LBB398_1434
; %bb.1429:                             ;   in Loop: Header=BB398_803 Depth=1
	v_bfe_u32 v135, v3, 16, 7
	v_mov_b32_e32 v11, 0x7f800001
	s_mov_b32 s13, exec_lo
	s_delay_alu instid0(VALU_DEP_2)
	v_cmpx_ne_u32_e32 0x7f, v135
	s_cbranch_execz .LBB398_1433
; %bb.1430:                             ;   in Loop: Header=BB398_803 Depth=1
	v_and_b32_e32 v11, 7, v9
	v_lshrrev_b32_e32 v134, 3, v135
	s_mov_b32 s15, exec_lo
	v_cmpx_gt_u32_e32 8, v135
; %bb.1431:                             ;   in Loop: Header=BB398_803 Depth=1
	s_delay_alu instid0(VALU_DEP_3) | instskip(NEXT) | instid1(VALU_DEP_1)
	v_clz_i32_u32_e32 v134, v11
	v_min_u32_e32 v134, 32, v134
	s_delay_alu instid0(VALU_DEP_1) | instskip(SKIP_1) | instid1(VALU_DEP_2)
	v_subrev_nc_u32_e32 v135, 28, v134
	v_sub_nc_u32_e32 v134, 29, v134
	v_lshlrev_b64 v[144:145], v135, v[11:12]
	s_delay_alu instid0(VALU_DEP_1)
	v_and_b32_e32 v11, 7, v144
; %bb.1432:                             ;   in Loop: Header=BB398_803 Depth=1
	s_or_b32 exec_lo, exec_lo, s15
	v_lshlrev_b32_e32 v9, 24, v9
	s_delay_alu instid0(VALU_DEP_2) | instskip(SKIP_1) | instid1(VALU_DEP_3)
	v_lshlrev_b32_e32 v11, 20, v11
	v_lshl_add_u32 v134, v134, 23, 0x3c000000
	v_and_b32_e32 v9, 0x80000000, v9
	s_delay_alu instid0(VALU_DEP_1)
	v_or3_b32 v11, v11, v9, v134
.LBB398_1433:                           ;   in Loop: Header=BB398_803 Depth=1
	s_or_b32 exec_lo, exec_lo, s13
.LBB398_1434:                           ;   in Loop: Header=BB398_803 Depth=1
	s_delay_alu instid0(SALU_CYCLE_1)
	s_or_b32 exec_lo, exec_lo, s12
.LBB398_1435:                           ;   in Loop: Header=BB398_803 Depth=1
	s_delay_alu instid0(SALU_CYCLE_1) | instskip(NEXT) | instid1(VALU_DEP_1)
	s_or_b32 exec_lo, exec_lo, s10
	v_mul_f32_e32 v9, v26, v11
                                        ; implicit-def: $vgpr134
	s_delay_alu instid0(VALU_DEP_1) | instskip(NEXT) | instid1(VALU_DEP_1)
	v_and_b32_e32 v11, 0x7f800000, v9
	v_cmp_ne_u32_e64 s0, 0x7f800000, v11
	s_delay_alu instid0(VALU_DEP_1) | instskip(NEXT) | instid1(SALU_CYCLE_1)
	s_and_saveexec_b32 s10, s0
	s_xor_b32 s0, exec_lo, s10
; %bb.1436:                             ;   in Loop: Header=BB398_803 Depth=1
	v_bfe_u32 v11, v9, 16, 1
	s_delay_alu instid0(VALU_DEP_1)
	v_add3_u32 v134, v9, v11, 0x7fff
                                        ; implicit-def: $vgpr9
; %bb.1437:                             ;   in Loop: Header=BB398_803 Depth=1
	s_and_not1_saveexec_b32 s10, s0
; %bb.1438:                             ;   in Loop: Header=BB398_803 Depth=1
	v_and_b32_e32 v11, 0xffff, v9
	v_or_b32_e32 v134, 0x10000, v9
	s_delay_alu instid0(VALU_DEP_2) | instskip(NEXT) | instid1(VALU_DEP_1)
	v_cmp_eq_u32_e64 s0, 0, v11
	v_cndmask_b32_e64 v134, v134, v9, s0
; %bb.1439:                             ;   in Loop: Header=BB398_803 Depth=1
	s_or_b32 exec_lo, exec_lo, s10
	v_mov_b32_e32 v9, 0
	s_mov_b32 s10, exec_lo
	v_cmpx_lt_u64_e64 s[8:9], v[2:3]
	s_cbranch_execz .LBB398_1447
; %bb.1440:                             ;   in Loop: Header=BB398_803 Depth=1
	v_lshrrev_b32_e32 v2, 24, v3
	v_bfrev_b32_e32 v9, 1
	s_mov_b32 s12, exec_lo
	s_delay_alu instid0(VALU_DEP_2)
	v_cmpx_ne_u32_e32 0x80, v2
	s_cbranch_execz .LBB398_1446
; %bb.1441:                             ;   in Loop: Header=BB398_803 Depth=1
	v_bfe_u32 v135, v3, 24, 7
	v_mov_b32_e32 v9, 0x7f800001
	s_mov_b32 s13, exec_lo
	s_delay_alu instid0(VALU_DEP_2)
	v_cmpx_ne_u32_e32 0x7f, v135
	s_cbranch_execz .LBB398_1445
; %bb.1442:                             ;   in Loop: Header=BB398_803 Depth=1
	v_and_b32_e32 v11, 7, v2
	v_lshrrev_b32_e32 v3, 3, v135
	s_mov_b32 s15, exec_lo
	v_cmpx_gt_u32_e32 8, v135
; %bb.1443:                             ;   in Loop: Header=BB398_803 Depth=1
	s_delay_alu instid0(VALU_DEP_3) | instskip(NEXT) | instid1(VALU_DEP_1)
	v_clz_i32_u32_e32 v3, v11
	v_min_u32_e32 v3, 32, v3
	s_delay_alu instid0(VALU_DEP_1) | instskip(SKIP_1) | instid1(VALU_DEP_2)
	v_subrev_nc_u32_e32 v9, 28, v3
	v_sub_nc_u32_e32 v3, 29, v3
	v_lshlrev_b64 v[144:145], v9, v[11:12]
	s_delay_alu instid0(VALU_DEP_1)
	v_and_b32_e32 v11, 7, v144
; %bb.1444:                             ;   in Loop: Header=BB398_803 Depth=1
	s_or_b32 exec_lo, exec_lo, s15
	v_lshlrev_b32_e32 v2, 24, v2
	s_delay_alu instid0(VALU_DEP_2) | instskip(SKIP_1) | instid1(VALU_DEP_3)
	v_lshlrev_b32_e32 v9, 20, v11
	v_lshl_add_u32 v3, v3, 23, 0x3c000000
	v_and_b32_e32 v2, 0x80000000, v2
	s_delay_alu instid0(VALU_DEP_1)
	v_or3_b32 v9, v9, v2, v3
.LBB398_1445:                           ;   in Loop: Header=BB398_803 Depth=1
	s_or_b32 exec_lo, exec_lo, s13
.LBB398_1446:                           ;   in Loop: Header=BB398_803 Depth=1
	s_delay_alu instid0(SALU_CYCLE_1)
	s_or_b32 exec_lo, exec_lo, s12
.LBB398_1447:                           ;   in Loop: Header=BB398_803 Depth=1
	s_delay_alu instid0(SALU_CYCLE_1) | instskip(NEXT) | instid1(VALU_DEP_1)
	s_or_b32 exec_lo, exec_lo, s10
	v_mul_f32_e32 v3, v26, v9
	s_delay_alu instid0(VALU_DEP_1) | instskip(NEXT) | instid1(VALU_DEP_1)
	v_and_b32_e32 v2, 0x7f800000, v3
	v_cmp_ne_u32_e64 s0, 0x7f800000, v2
                                        ; implicit-def: $vgpr2
	s_delay_alu instid0(VALU_DEP_1) | instskip(NEXT) | instid1(SALU_CYCLE_1)
	s_and_saveexec_b32 s10, s0
	s_xor_b32 s0, exec_lo, s10
; %bb.1448:                             ;   in Loop: Header=BB398_803 Depth=1
	v_bfe_u32 v2, v3, 16, 1
	s_delay_alu instid0(VALU_DEP_1)
	v_add3_u32 v2, v3, v2, 0x7fff
                                        ; implicit-def: $vgpr3
; %bb.1449:                             ;   in Loop: Header=BB398_803 Depth=1
	s_and_not1_saveexec_b32 s10, s0
; %bb.1450:                             ;   in Loop: Header=BB398_803 Depth=1
	v_and_b32_e32 v2, 0xffff, v3
	v_or_b32_e32 v9, 0x10000, v3
	s_delay_alu instid0(VALU_DEP_2) | instskip(NEXT) | instid1(VALU_DEP_1)
	v_cmp_eq_u32_e64 s0, 0, v2
	v_cndmask_b32_e64 v2, v9, v3, s0
; %bb.1451:                             ;   in Loop: Header=BB398_803 Depth=1
	s_or_b32 exec_lo, exec_lo, s10
	v_lshrrev_b32_e32 v8, 16, v8
	v_lshrrev_b32_e32 v9, 16, v133
	;; [unrolled: 1-line block ×8, first 2 shown]
	s_and_saveexec_b32 s10, vcc_lo
	s_cbranch_execz .LBB398_1453
; %bb.1452:                             ;   in Loop: Header=BB398_803 Depth=1
	v_cmp_lt_i32_e64 s0, v50, v32
	s_delay_alu instid0(VALU_DEP_1) | instskip(SKIP_1) | instid1(VALU_DEP_1)
	v_cndmask_b32_e64 v129, 0, v129, s0
	v_cmp_lt_i32_e64 s0, v64, v32
	v_cndmask_b32_e64 v130, 0, v130, s0
	v_cmp_lt_i32_e64 s0, v55, v32
	s_delay_alu instid0(VALU_DEP_1) | instskip(SKIP_1) | instid1(VALU_DEP_1)
	v_cndmask_b32_e64 v131, 0, v131, s0
	v_cmp_lt_i32_e64 s0, v54, v32
	v_cndmask_b32_e64 v11, 0, v11, s0
	;; [unrolled: 5-line block ×4, first 2 shown]
.LBB398_1453:                           ;   in Loop: Header=BB398_803 Depth=1
	s_or_b32 exec_lo, exec_lo, s10
	v_lshlrev_b32_e32 v129, 16, v129
	s_delay_alu instid0(VALU_DEP_1) | instskip(NEXT) | instid1(VALU_DEP_1)
	v_mul_f32_e32 v132, v65, v129
	v_and_b32_e32 v129, 0x7f800000, v132
	s_delay_alu instid0(VALU_DEP_1) | instskip(NEXT) | instid1(VALU_DEP_1)
	v_cmp_ne_u32_e64 s0, 0x7f800000, v129
                                        ; implicit-def: $vgpr129
	s_and_saveexec_b32 s10, s0
	s_delay_alu instid0(SALU_CYCLE_1)
	s_xor_b32 s0, exec_lo, s10
; %bb.1454:                             ;   in Loop: Header=BB398_803 Depth=1
	v_bfe_u32 v129, v132, 16, 1
	s_delay_alu instid0(VALU_DEP_1)
	v_add3_u32 v129, v132, v129, 0x7fff
                                        ; implicit-def: $vgpr132
; %bb.1455:                             ;   in Loop: Header=BB398_803 Depth=1
	s_and_not1_saveexec_b32 s10, s0
; %bb.1456:                             ;   in Loop: Header=BB398_803 Depth=1
	v_and_b32_e32 v129, 0xffff, v132
	v_or_b32_e32 v133, 0x10000, v132
	s_delay_alu instid0(VALU_DEP_2) | instskip(NEXT) | instid1(VALU_DEP_1)
	v_cmp_eq_u32_e64 s0, 0, v129
	v_cndmask_b32_e64 v129, v133, v132, s0
; %bb.1457:                             ;   in Loop: Header=BB398_803 Depth=1
	s_or_b32 exec_lo, exec_lo, s10
	v_lshlrev_b32_e32 v130, 16, v130
	s_delay_alu instid0(VALU_DEP_1) | instskip(NEXT) | instid1(VALU_DEP_1)
	v_mul_f32_e32 v132, v66, v130
	v_and_b32_e32 v130, 0x7f800000, v132
	s_delay_alu instid0(VALU_DEP_1) | instskip(NEXT) | instid1(VALU_DEP_1)
	v_cmp_ne_u32_e64 s0, 0x7f800000, v130
                                        ; implicit-def: $vgpr130
	s_and_saveexec_b32 s10, s0
	s_delay_alu instid0(SALU_CYCLE_1)
	s_xor_b32 s0, exec_lo, s10
; %bb.1458:                             ;   in Loop: Header=BB398_803 Depth=1
	v_bfe_u32 v130, v132, 16, 1
	s_delay_alu instid0(VALU_DEP_1)
	v_add3_u32 v130, v132, v130, 0x7fff
                                        ; implicit-def: $vgpr132
; %bb.1459:                             ;   in Loop: Header=BB398_803 Depth=1
	s_and_not1_saveexec_b32 s10, s0
; %bb.1460:                             ;   in Loop: Header=BB398_803 Depth=1
	v_and_b32_e32 v130, 0xffff, v132
	v_or_b32_e32 v133, 0x10000, v132
	s_delay_alu instid0(VALU_DEP_2) | instskip(NEXT) | instid1(VALU_DEP_1)
	v_cmp_eq_u32_e64 s0, 0, v130
	v_cndmask_b32_e64 v130, v133, v132, s0
; %bb.1461:                             ;   in Loop: Header=BB398_803 Depth=1
	s_or_b32 exec_lo, exec_lo, s10
	v_lshlrev_b32_e32 v131, 16, v131
	s_delay_alu instid0(VALU_DEP_1) | instskip(NEXT) | instid1(VALU_DEP_1)
	v_mul_f32_e32 v132, v67, v131
	v_and_b32_e32 v131, 0x7f800000, v132
	s_delay_alu instid0(VALU_DEP_1) | instskip(NEXT) | instid1(VALU_DEP_1)
	v_cmp_ne_u32_e64 s0, 0x7f800000, v131
                                        ; implicit-def: $vgpr131
	s_and_saveexec_b32 s10, s0
	s_delay_alu instid0(SALU_CYCLE_1)
	s_xor_b32 s0, exec_lo, s10
; %bb.1462:                             ;   in Loop: Header=BB398_803 Depth=1
	v_bfe_u32 v131, v132, 16, 1
	s_delay_alu instid0(VALU_DEP_1)
	v_add3_u32 v131, v132, v131, 0x7fff
                                        ; implicit-def: $vgpr132
; %bb.1463:                             ;   in Loop: Header=BB398_803 Depth=1
	s_and_not1_saveexec_b32 s10, s0
; %bb.1464:                             ;   in Loop: Header=BB398_803 Depth=1
	v_and_b32_e32 v131, 0xffff, v132
	v_or_b32_e32 v133, 0x10000, v132
	s_delay_alu instid0(VALU_DEP_2) | instskip(NEXT) | instid1(VALU_DEP_1)
	v_cmp_eq_u32_e64 s0, 0, v131
	v_cndmask_b32_e64 v131, v133, v132, s0
; %bb.1465:                             ;   in Loop: Header=BB398_803 Depth=1
	s_or_b32 exec_lo, exec_lo, s10
	v_lshlrev_b32_e32 v11, 16, v11
	s_delay_alu instid0(VALU_DEP_1) | instskip(NEXT) | instid1(VALU_DEP_1)
	v_mul_f32_e32 v11, v68, v11
	v_and_b32_e32 v132, 0x7f800000, v11
	s_delay_alu instid0(VALU_DEP_1) | instskip(NEXT) | instid1(VALU_DEP_1)
	v_cmp_ne_u32_e64 s0, 0x7f800000, v132
                                        ; implicit-def: $vgpr132
	s_and_saveexec_b32 s10, s0
	s_delay_alu instid0(SALU_CYCLE_1)
	s_xor_b32 s0, exec_lo, s10
; %bb.1466:                             ;   in Loop: Header=BB398_803 Depth=1
	v_bfe_u32 v132, v11, 16, 1
	s_delay_alu instid0(VALU_DEP_1)
	v_add3_u32 v132, v11, v132, 0x7fff
                                        ; implicit-def: $vgpr11
; %bb.1467:                             ;   in Loop: Header=BB398_803 Depth=1
	s_and_not1_saveexec_b32 s10, s0
; %bb.1468:                             ;   in Loop: Header=BB398_803 Depth=1
	v_and_b32_e32 v132, 0xffff, v11
	v_or_b32_e32 v133, 0x10000, v11
	s_delay_alu instid0(VALU_DEP_2) | instskip(NEXT) | instid1(VALU_DEP_1)
	v_cmp_eq_u32_e64 s0, 0, v132
	v_cndmask_b32_e64 v132, v133, v11, s0
; %bb.1469:                             ;   in Loop: Header=BB398_803 Depth=1
	s_or_b32 exec_lo, exec_lo, s10
	v_lshlrev_b32_e32 v9, 16, v9
                                        ; implicit-def: $vgpr133
	s_delay_alu instid0(VALU_DEP_1) | instskip(NEXT) | instid1(VALU_DEP_1)
	v_mul_f32_e32 v9, v69, v9
	v_and_b32_e32 v11, 0x7f800000, v9
	s_delay_alu instid0(VALU_DEP_1) | instskip(NEXT) | instid1(VALU_DEP_1)
	v_cmp_ne_u32_e64 s0, 0x7f800000, v11
	s_and_saveexec_b32 s10, s0
	s_delay_alu instid0(SALU_CYCLE_1)
	s_xor_b32 s0, exec_lo, s10
; %bb.1470:                             ;   in Loop: Header=BB398_803 Depth=1
	v_bfe_u32 v11, v9, 16, 1
	s_delay_alu instid0(VALU_DEP_1)
	v_add3_u32 v133, v9, v11, 0x7fff
                                        ; implicit-def: $vgpr9
; %bb.1471:                             ;   in Loop: Header=BB398_803 Depth=1
	s_and_not1_saveexec_b32 s10, s0
; %bb.1472:                             ;   in Loop: Header=BB398_803 Depth=1
	v_and_b32_e32 v11, 0xffff, v9
	v_or_b32_e32 v133, 0x10000, v9
	s_delay_alu instid0(VALU_DEP_2) | instskip(NEXT) | instid1(VALU_DEP_1)
	v_cmp_eq_u32_e64 s0, 0, v11
	v_cndmask_b32_e64 v133, v133, v9, s0
; %bb.1473:                             ;   in Loop: Header=BB398_803 Depth=1
	s_or_b32 exec_lo, exec_lo, s10
	v_lshlrev_b32_e32 v8, 16, v8
                                        ; implicit-def: $vgpr134
	s_delay_alu instid0(VALU_DEP_1) | instskip(NEXT) | instid1(VALU_DEP_1)
	v_mul_f32_e32 v8, v70, v8
	v_and_b32_e32 v9, 0x7f800000, v8
	s_delay_alu instid0(VALU_DEP_1) | instskip(NEXT) | instid1(VALU_DEP_1)
	v_cmp_ne_u32_e64 s0, 0x7f800000, v9
	s_and_saveexec_b32 s10, s0
	s_delay_alu instid0(SALU_CYCLE_1)
	s_xor_b32 s0, exec_lo, s10
; %bb.1474:                             ;   in Loop: Header=BB398_803 Depth=1
	v_bfe_u32 v9, v8, 16, 1
	s_delay_alu instid0(VALU_DEP_1)
	v_add3_u32 v134, v8, v9, 0x7fff
                                        ; implicit-def: $vgpr8
; %bb.1475:                             ;   in Loop: Header=BB398_803 Depth=1
	s_and_not1_saveexec_b32 s10, s0
; %bb.1476:                             ;   in Loop: Header=BB398_803 Depth=1
	v_and_b32_e32 v9, 0xffff, v8
	v_or_b32_e32 v11, 0x10000, v8
	s_delay_alu instid0(VALU_DEP_2) | instskip(NEXT) | instid1(VALU_DEP_1)
	v_cmp_eq_u32_e64 s0, 0, v9
	v_cndmask_b32_e64 v134, v11, v8, s0
; %bb.1477:                             ;   in Loop: Header=BB398_803 Depth=1
	s_or_b32 exec_lo, exec_lo, s10
	v_lshlrev_b32_e32 v3, 16, v3
                                        ; implicit-def: $vgpr135
	s_delay_alu instid0(VALU_DEP_1) | instskip(NEXT) | instid1(VALU_DEP_1)
	v_mul_f32_e32 v3, v71, v3
	v_and_b32_e32 v8, 0x7f800000, v3
	s_delay_alu instid0(VALU_DEP_1) | instskip(NEXT) | instid1(VALU_DEP_1)
	v_cmp_ne_u32_e64 s0, 0x7f800000, v8
	s_and_saveexec_b32 s10, s0
	s_delay_alu instid0(SALU_CYCLE_1)
	s_xor_b32 s0, exec_lo, s10
; %bb.1478:                             ;   in Loop: Header=BB398_803 Depth=1
	v_bfe_u32 v8, v3, 16, 1
	s_delay_alu instid0(VALU_DEP_1)
	v_add3_u32 v135, v3, v8, 0x7fff
                                        ; implicit-def: $vgpr3
; %bb.1479:                             ;   in Loop: Header=BB398_803 Depth=1
	s_and_not1_saveexec_b32 s10, s0
; %bb.1480:                             ;   in Loop: Header=BB398_803 Depth=1
	v_and_b32_e32 v8, 0xffff, v3
	v_or_b32_e32 v9, 0x10000, v3
	s_delay_alu instid0(VALU_DEP_2) | instskip(NEXT) | instid1(VALU_DEP_1)
	v_cmp_eq_u32_e64 s0, 0, v8
	v_cndmask_b32_e64 v135, v9, v3, s0
; %bb.1481:                             ;   in Loop: Header=BB398_803 Depth=1
	s_or_b32 exec_lo, exec_lo, s10
	v_lshlrev_b32_e32 v2, 16, v2
                                        ; implicit-def: $vgpr144
	s_delay_alu instid0(VALU_DEP_1) | instskip(NEXT) | instid1(VALU_DEP_1)
	v_mul_f32_e32 v2, v80, v2
	v_and_b32_e32 v3, 0x7f800000, v2
	s_delay_alu instid0(VALU_DEP_1) | instskip(NEXT) | instid1(VALU_DEP_1)
	v_cmp_ne_u32_e64 s0, 0x7f800000, v3
	s_and_saveexec_b32 s10, s0
	s_delay_alu instid0(SALU_CYCLE_1)
	s_xor_b32 s0, exec_lo, s10
; %bb.1482:                             ;   in Loop: Header=BB398_803 Depth=1
	v_bfe_u32 v3, v2, 16, 1
	s_delay_alu instid0(VALU_DEP_1)
	v_add3_u32 v144, v2, v3, 0x7fff
                                        ; implicit-def: $vgpr2
; %bb.1483:                             ;   in Loop: Header=BB398_803 Depth=1
	s_and_not1_saveexec_b32 s10, s0
; %bb.1484:                             ;   in Loop: Header=BB398_803 Depth=1
	v_and_b32_e32 v3, 0xffff, v2
	v_or_b32_e32 v8, 0x10000, v2
	s_delay_alu instid0(VALU_DEP_2) | instskip(NEXT) | instid1(VALU_DEP_1)
	v_cmp_eq_u32_e64 s0, 0, v3
	v_cndmask_b32_e64 v144, v8, v2, s0
; %bb.1485:                             ;   in Loop: Header=BB398_803 Depth=1
	s_or_b32 exec_lo, exec_lo, s10
	flat_load_b64 v[2:3], v[0:1] offset:1280
	s_mov_b32 s10, exec_lo
	s_waitcnt vmcnt(0) lgkmcnt(0)
	v_dual_mov_b32 v8, 0 :: v_dual_and_b32 v9, 0xff, v2
	s_delay_alu instid0(VALU_DEP_1)
	v_cmpx_ne_u16_e32 0, v9
	s_cbranch_execz .LBB398_1493
; %bb.1486:                             ;   in Loop: Header=BB398_803 Depth=1
	v_bfrev_b32_e32 v8, 1
	s_mov_b32 s12, exec_lo
	v_cmpx_ne_u16_e32 0x80, v9
	s_cbranch_execz .LBB398_1492
; %bb.1487:                             ;   in Loop: Header=BB398_803 Depth=1
	v_and_b32_e32 v9, 0x7f, v2
	v_mov_b32_e32 v8, 0x7f800001
	s_mov_b32 s13, exec_lo
	s_delay_alu instid0(VALU_DEP_2)
	v_cmpx_ne_u32_e32 0x7f, v9
	s_cbranch_execz .LBB398_1491
; %bb.1488:                             ;   in Loop: Header=BB398_803 Depth=1
	v_lshrrev_b32_e32 v11, 3, v9
	v_cmp_gt_u32_e64 s0, 8, v9
	v_dual_mov_b32 v9, v3 :: v_dual_mov_b32 v8, v2
	s_delay_alu instid0(VALU_DEP_2)
	s_and_saveexec_b32 s15, s0
; %bb.1489:                             ;   in Loop: Header=BB398_803 Depth=1
	v_and_b32_e32 v8, 7, v2
	s_delay_alu instid0(VALU_DEP_1) | instskip(NEXT) | instid1(VALU_DEP_1)
	v_clz_i32_u32_e32 v8, v8
	v_min_u32_e32 v11, 32, v8
	s_delay_alu instid0(VALU_DEP_1) | instskip(SKIP_1) | instid1(VALU_DEP_2)
	v_subrev_nc_u32_e32 v8, 28, v11
	v_sub_nc_u32_e32 v11, 29, v11
	v_lshlrev_b64 v[8:9], v8, v[2:3]
; %bb.1490:                             ;   in Loop: Header=BB398_803 Depth=1
	s_or_b32 exec_lo, exec_lo, s15
	s_delay_alu instid0(VALU_DEP_1) | instskip(SKIP_2) | instid1(VALU_DEP_3)
	v_lshlrev_b32_e32 v8, 20, v8
	v_lshlrev_b32_e32 v9, 24, v2
	v_lshl_add_u32 v11, v11, 23, 0x3c000000
	v_and_b32_e32 v8, 0x700000, v8
	s_delay_alu instid0(VALU_DEP_3) | instskip(NEXT) | instid1(VALU_DEP_1)
	v_and_b32_e32 v9, 0x80000000, v9
	v_or3_b32 v8, v8, v9, v11
.LBB398_1491:                           ;   in Loop: Header=BB398_803 Depth=1
	s_or_b32 exec_lo, exec_lo, s13
.LBB398_1492:                           ;   in Loop: Header=BB398_803 Depth=1
	s_delay_alu instid0(SALU_CYCLE_1)
	s_or_b32 exec_lo, exec_lo, s12
.LBB398_1493:                           ;   in Loop: Header=BB398_803 Depth=1
	s_delay_alu instid0(SALU_CYCLE_1) | instskip(NEXT) | instid1(VALU_DEP_1)
	s_or_b32 exec_lo, exec_lo, s10
	v_mul_f32_e32 v8, v26, v8
                                        ; implicit-def: $vgpr145
	s_delay_alu instid0(VALU_DEP_1) | instskip(NEXT) | instid1(VALU_DEP_1)
	v_and_b32_e32 v9, 0x7f800000, v8
	v_cmp_ne_u32_e64 s0, 0x7f800000, v9
	s_delay_alu instid0(VALU_DEP_1) | instskip(NEXT) | instid1(SALU_CYCLE_1)
	s_and_saveexec_b32 s10, s0
	s_xor_b32 s0, exec_lo, s10
; %bb.1494:                             ;   in Loop: Header=BB398_803 Depth=1
	v_bfe_u32 v9, v8, 16, 1
	s_delay_alu instid0(VALU_DEP_1)
	v_add3_u32 v145, v8, v9, 0x7fff
                                        ; implicit-def: $vgpr8
; %bb.1495:                             ;   in Loop: Header=BB398_803 Depth=1
	s_and_not1_saveexec_b32 s10, s0
; %bb.1496:                             ;   in Loop: Header=BB398_803 Depth=1
	v_and_b32_e32 v9, 0xffff, v8
	v_or_b32_e32 v11, 0x10000, v8
	s_delay_alu instid0(VALU_DEP_2) | instskip(NEXT) | instid1(VALU_DEP_1)
	v_cmp_eq_u32_e64 s0, 0, v9
	v_cndmask_b32_e64 v145, v11, v8, s0
; %bb.1497:                             ;   in Loop: Header=BB398_803 Depth=1
	s_or_b32 exec_lo, exec_lo, s10
	v_lshrrev_b16 v9, 8, v2
	v_mov_b32_e32 v8, 0
	s_mov_b32 s10, exec_lo
	s_delay_alu instid0(VALU_DEP_2)
	v_cmpx_ne_u16_e32 0, v9
	s_cbranch_execz .LBB398_1505
; %bb.1498:                             ;   in Loop: Header=BB398_803 Depth=1
	v_bfrev_b32_e32 v8, 1
	s_mov_b32 s12, exec_lo
	v_cmpx_ne_u16_e32 0x80, v9
	s_cbranch_execz .LBB398_1504
; %bb.1499:                             ;   in Loop: Header=BB398_803 Depth=1
	v_and_b32_e32 v11, 0xffff, v9
	v_mov_b32_e32 v8, 0x7f800001
	s_mov_b32 s13, exec_lo
	s_delay_alu instid0(VALU_DEP_2) | instskip(NEXT) | instid1(VALU_DEP_1)
	v_and_b32_e32 v9, 0x7f, v11
	v_cmpx_ne_u32_e32 0x7f, v9
	s_cbranch_execz .LBB398_1503
; %bb.1500:                             ;   in Loop: Header=BB398_803 Depth=1
	v_and_b32_e32 v11, 7, v11
	v_lshrrev_b32_e32 v8, 3, v9
	s_mov_b32 s15, exec_lo
	v_cmpx_gt_u32_e32 8, v9
; %bb.1501:                             ;   in Loop: Header=BB398_803 Depth=1
	s_delay_alu instid0(VALU_DEP_3) | instskip(NEXT) | instid1(VALU_DEP_1)
	v_clz_i32_u32_e32 v8, v11
	v_min_u32_e32 v8, 32, v8
	s_delay_alu instid0(VALU_DEP_1) | instskip(SKIP_1) | instid1(VALU_DEP_2)
	v_subrev_nc_u32_e32 v9, 28, v8
	v_sub_nc_u32_e32 v8, 29, v8
	v_lshlrev_b64 v[146:147], v9, v[11:12]
	s_delay_alu instid0(VALU_DEP_1)
	v_and_b32_e32 v11, 7, v146
; %bb.1502:                             ;   in Loop: Header=BB398_803 Depth=1
	s_or_b32 exec_lo, exec_lo, s15
	v_lshlrev_b32_e32 v9, 16, v2
	s_delay_alu instid0(VALU_DEP_2) | instskip(SKIP_1) | instid1(VALU_DEP_3)
	v_lshlrev_b32_e32 v11, 20, v11
	v_lshl_add_u32 v8, v8, 23, 0x3c000000
	v_and_b32_e32 v9, 0x80000000, v9
	s_delay_alu instid0(VALU_DEP_1)
	v_or3_b32 v8, v11, v9, v8
.LBB398_1503:                           ;   in Loop: Header=BB398_803 Depth=1
	s_or_b32 exec_lo, exec_lo, s13
.LBB398_1504:                           ;   in Loop: Header=BB398_803 Depth=1
	s_delay_alu instid0(SALU_CYCLE_1)
	s_or_b32 exec_lo, exec_lo, s12
.LBB398_1505:                           ;   in Loop: Header=BB398_803 Depth=1
	s_delay_alu instid0(SALU_CYCLE_1) | instskip(NEXT) | instid1(VALU_DEP_1)
	s_or_b32 exec_lo, exec_lo, s10
	v_mul_f32_e32 v8, v26, v8
                                        ; implicit-def: $vgpr146
	s_delay_alu instid0(VALU_DEP_1) | instskip(NEXT) | instid1(VALU_DEP_1)
	v_and_b32_e32 v9, 0x7f800000, v8
	v_cmp_ne_u32_e64 s0, 0x7f800000, v9
	s_delay_alu instid0(VALU_DEP_1) | instskip(NEXT) | instid1(SALU_CYCLE_1)
	s_and_saveexec_b32 s10, s0
	s_xor_b32 s0, exec_lo, s10
; %bb.1506:                             ;   in Loop: Header=BB398_803 Depth=1
	v_bfe_u32 v9, v8, 16, 1
	s_delay_alu instid0(VALU_DEP_1)
	v_add3_u32 v146, v8, v9, 0x7fff
                                        ; implicit-def: $vgpr8
; %bb.1507:                             ;   in Loop: Header=BB398_803 Depth=1
	s_and_not1_saveexec_b32 s10, s0
; %bb.1508:                             ;   in Loop: Header=BB398_803 Depth=1
	v_and_b32_e32 v9, 0xffff, v8
	v_or_b32_e32 v11, 0x10000, v8
	s_delay_alu instid0(VALU_DEP_2) | instskip(NEXT) | instid1(VALU_DEP_1)
	v_cmp_eq_u32_e64 s0, 0, v9
	v_cndmask_b32_e64 v146, v11, v8, s0
; %bb.1509:                             ;   in Loop: Header=BB398_803 Depth=1
	s_or_b32 exec_lo, exec_lo, s10
	v_lshrrev_b32_e32 v8, 16, v2
	v_mov_b32_e32 v9, 0
	s_mov_b32 s10, exec_lo
	s_delay_alu instid0(VALU_DEP_2) | instskip(NEXT) | instid1(VALU_DEP_1)
	v_and_b32_e32 v11, 0xff, v8
	v_cmpx_ne_u16_e32 0, v11
	s_cbranch_execz .LBB398_1517
; %bb.1510:                             ;   in Loop: Header=BB398_803 Depth=1
	v_bfrev_b32_e32 v9, 1
	s_mov_b32 s12, exec_lo
	v_cmpx_ne_u16_e32 0x80, v11
	s_cbranch_execz .LBB398_1516
; %bb.1511:                             ;   in Loop: Header=BB398_803 Depth=1
	v_bfe_u32 v147, v2, 16, 7
	v_mov_b32_e32 v9, 0x7f800001
	s_mov_b32 s13, exec_lo
	s_delay_alu instid0(VALU_DEP_2)
	v_cmpx_ne_u32_e32 0x7f, v147
	s_cbranch_execz .LBB398_1515
; %bb.1512:                             ;   in Loop: Header=BB398_803 Depth=1
	v_and_b32_e32 v11, 7, v8
	v_lshrrev_b32_e32 v9, 3, v147
	s_mov_b32 s15, exec_lo
	v_cmpx_gt_u32_e32 8, v147
; %bb.1513:                             ;   in Loop: Header=BB398_803 Depth=1
	s_delay_alu instid0(VALU_DEP_3) | instskip(NEXT) | instid1(VALU_DEP_1)
	v_clz_i32_u32_e32 v9, v11
	v_min_u32_e32 v9, 32, v9
	s_delay_alu instid0(VALU_DEP_1) | instskip(SKIP_1) | instid1(VALU_DEP_2)
	v_subrev_nc_u32_e32 v147, 28, v9
	v_sub_nc_u32_e32 v9, 29, v9
	v_lshlrev_b64 v[147:148], v147, v[11:12]
	s_delay_alu instid0(VALU_DEP_1)
	v_and_b32_e32 v11, 7, v147
; %bb.1514:                             ;   in Loop: Header=BB398_803 Depth=1
	s_or_b32 exec_lo, exec_lo, s15
	v_lshlrev_b32_e32 v8, 24, v8
	s_delay_alu instid0(VALU_DEP_2) | instskip(SKIP_1) | instid1(VALU_DEP_3)
	v_lshlrev_b32_e32 v11, 20, v11
	v_lshl_add_u32 v9, v9, 23, 0x3c000000
	v_and_b32_e32 v8, 0x80000000, v8
	s_delay_alu instid0(VALU_DEP_1)
	v_or3_b32 v9, v11, v8, v9
.LBB398_1515:                           ;   in Loop: Header=BB398_803 Depth=1
	s_or_b32 exec_lo, exec_lo, s13
.LBB398_1516:                           ;   in Loop: Header=BB398_803 Depth=1
	s_delay_alu instid0(SALU_CYCLE_1)
	s_or_b32 exec_lo, exec_lo, s12
.LBB398_1517:                           ;   in Loop: Header=BB398_803 Depth=1
	s_delay_alu instid0(SALU_CYCLE_1) | instskip(NEXT) | instid1(VALU_DEP_1)
	s_or_b32 exec_lo, exec_lo, s10
	v_mul_f32_e32 v8, v26, v9
                                        ; implicit-def: $vgpr147
	s_delay_alu instid0(VALU_DEP_1) | instskip(NEXT) | instid1(VALU_DEP_1)
	v_and_b32_e32 v9, 0x7f800000, v8
	v_cmp_ne_u32_e64 s0, 0x7f800000, v9
	s_delay_alu instid0(VALU_DEP_1) | instskip(NEXT) | instid1(SALU_CYCLE_1)
	s_and_saveexec_b32 s10, s0
	s_xor_b32 s0, exec_lo, s10
; %bb.1518:                             ;   in Loop: Header=BB398_803 Depth=1
	v_bfe_u32 v9, v8, 16, 1
	s_delay_alu instid0(VALU_DEP_1)
	v_add3_u32 v147, v8, v9, 0x7fff
                                        ; implicit-def: $vgpr8
; %bb.1519:                             ;   in Loop: Header=BB398_803 Depth=1
	s_and_not1_saveexec_b32 s10, s0
; %bb.1520:                             ;   in Loop: Header=BB398_803 Depth=1
	v_and_b32_e32 v9, 0xffff, v8
	v_or_b32_e32 v11, 0x10000, v8
	s_delay_alu instid0(VALU_DEP_2) | instskip(NEXT) | instid1(VALU_DEP_1)
	v_cmp_eq_u32_e64 s0, 0, v9
	v_cndmask_b32_e64 v147, v11, v8, s0
; %bb.1521:                             ;   in Loop: Header=BB398_803 Depth=1
	s_or_b32 exec_lo, exec_lo, s10
	v_mov_b32_e32 v9, 0
	s_mov_b32 s10, exec_lo
	v_cmpx_lt_u32_e32 0xffffff, v2
	s_cbranch_execz .LBB398_1529
; %bb.1522:                             ;   in Loop: Header=BB398_803 Depth=1
	v_lshrrev_b32_e32 v8, 24, v2
	v_bfrev_b32_e32 v9, 1
	s_mov_b32 s12, exec_lo
	s_delay_alu instid0(VALU_DEP_2)
	v_cmpx_ne_u32_e32 0x80, v8
	s_cbranch_execz .LBB398_1528
; %bb.1523:                             ;   in Loop: Header=BB398_803 Depth=1
	v_bfe_u32 v148, v2, 24, 7
	v_mov_b32_e32 v9, 0x7f800001
	s_mov_b32 s13, exec_lo
	s_delay_alu instid0(VALU_DEP_2)
	v_cmpx_ne_u32_e32 0x7f, v148
	s_cbranch_execz .LBB398_1527
; %bb.1524:                             ;   in Loop: Header=BB398_803 Depth=1
	v_and_b32_e32 v11, 7, v8
	v_lshrrev_b32_e32 v9, 3, v148
	s_mov_b32 s15, exec_lo
	v_cmpx_gt_u32_e32 8, v148
; %bb.1525:                             ;   in Loop: Header=BB398_803 Depth=1
	s_delay_alu instid0(VALU_DEP_3) | instskip(NEXT) | instid1(VALU_DEP_1)
	v_clz_i32_u32_e32 v9, v11
	v_min_u32_e32 v9, 32, v9
	s_delay_alu instid0(VALU_DEP_1) | instskip(SKIP_1) | instid1(VALU_DEP_2)
	v_subrev_nc_u32_e32 v148, 28, v9
	v_sub_nc_u32_e32 v9, 29, v9
	v_lshlrev_b64 v[148:149], v148, v[11:12]
	s_delay_alu instid0(VALU_DEP_1)
	v_and_b32_e32 v11, 7, v148
; %bb.1526:                             ;   in Loop: Header=BB398_803 Depth=1
	s_or_b32 exec_lo, exec_lo, s15
	v_lshlrev_b32_e32 v8, 24, v8
	s_delay_alu instid0(VALU_DEP_2) | instskip(SKIP_1) | instid1(VALU_DEP_3)
	v_lshlrev_b32_e32 v11, 20, v11
	v_lshl_add_u32 v9, v9, 23, 0x3c000000
	v_and_b32_e32 v8, 0x80000000, v8
	s_delay_alu instid0(VALU_DEP_1)
	v_or3_b32 v9, v11, v8, v9
.LBB398_1527:                           ;   in Loop: Header=BB398_803 Depth=1
	s_or_b32 exec_lo, exec_lo, s13
.LBB398_1528:                           ;   in Loop: Header=BB398_803 Depth=1
	s_delay_alu instid0(SALU_CYCLE_1)
	s_or_b32 exec_lo, exec_lo, s12
.LBB398_1529:                           ;   in Loop: Header=BB398_803 Depth=1
	s_delay_alu instid0(SALU_CYCLE_1) | instskip(NEXT) | instid1(VALU_DEP_1)
	s_or_b32 exec_lo, exec_lo, s10
	v_mul_f32_e32 v8, v26, v9
                                        ; implicit-def: $vgpr148
	s_delay_alu instid0(VALU_DEP_1) | instskip(NEXT) | instid1(VALU_DEP_1)
	v_and_b32_e32 v9, 0x7f800000, v8
	v_cmp_ne_u32_e64 s0, 0x7f800000, v9
	s_delay_alu instid0(VALU_DEP_1) | instskip(NEXT) | instid1(SALU_CYCLE_1)
	s_and_saveexec_b32 s10, s0
	s_xor_b32 s0, exec_lo, s10
; %bb.1530:                             ;   in Loop: Header=BB398_803 Depth=1
	v_bfe_u32 v9, v8, 16, 1
	s_delay_alu instid0(VALU_DEP_1)
	v_add3_u32 v148, v8, v9, 0x7fff
                                        ; implicit-def: $vgpr8
; %bb.1531:                             ;   in Loop: Header=BB398_803 Depth=1
	s_and_not1_saveexec_b32 s10, s0
; %bb.1532:                             ;   in Loop: Header=BB398_803 Depth=1
	v_and_b32_e32 v9, 0xffff, v8
	v_or_b32_e32 v11, 0x10000, v8
	s_delay_alu instid0(VALU_DEP_2) | instskip(NEXT) | instid1(VALU_DEP_1)
	v_cmp_eq_u32_e64 s0, 0, v9
	v_cndmask_b32_e64 v148, v11, v8, s0
; %bb.1533:                             ;   in Loop: Header=BB398_803 Depth=1
	s_or_b32 exec_lo, exec_lo, s10
	v_dual_mov_b32 v8, 0 :: v_dual_and_b32 v9, 0xff, v3
	v_mov_b32_e32 v11, v3
	s_mov_b32 s10, exec_lo
	s_delay_alu instid0(VALU_DEP_2)
	v_cmpx_ne_u16_e32 0, v9
	s_cbranch_execz .LBB398_1541
; %bb.1534:                             ;   in Loop: Header=BB398_803 Depth=1
	v_bfrev_b32_e32 v8, 1
	s_mov_b32 s12, exec_lo
	v_cmpx_ne_u16_e32 0x80, v9
	s_cbranch_execz .LBB398_1540
; %bb.1535:                             ;   in Loop: Header=BB398_803 Depth=1
	v_and_b32_e32 v9, 0x7f, v3
	v_mov_b32_e32 v8, 0x7f800001
	s_mov_b32 s13, exec_lo
	s_delay_alu instid0(VALU_DEP_2)
	v_cmpx_ne_u32_e32 0x7f, v9
	s_cbranch_execz .LBB398_1539
; %bb.1536:                             ;   in Loop: Header=BB398_803 Depth=1
	v_lshrrev_b32_e32 v149, 3, v9
	v_cmp_gt_u32_e64 s0, 8, v9
	v_dual_mov_b32 v8, v11 :: v_dual_mov_b32 v9, v12
	s_delay_alu instid0(VALU_DEP_2)
	s_and_saveexec_b32 s15, s0
; %bb.1537:                             ;   in Loop: Header=BB398_803 Depth=1
	v_and_b32_e32 v8, 7, v3
	s_delay_alu instid0(VALU_DEP_1) | instskip(NEXT) | instid1(VALU_DEP_1)
	v_clz_i32_u32_e32 v8, v8
	v_min_u32_e32 v149, 32, v8
	s_delay_alu instid0(VALU_DEP_1) | instskip(SKIP_1) | instid1(VALU_DEP_2)
	v_subrev_nc_u32_e32 v8, 28, v149
	v_sub_nc_u32_e32 v149, 29, v149
	v_lshlrev_b64 v[8:9], v8, v[11:12]
; %bb.1538:                             ;   in Loop: Header=BB398_803 Depth=1
	s_or_b32 exec_lo, exec_lo, s15
	s_delay_alu instid0(VALU_DEP_1) | instskip(SKIP_2) | instid1(VALU_DEP_3)
	v_lshlrev_b32_e32 v8, 20, v8
	v_lshlrev_b32_e32 v9, 24, v11
	v_lshl_add_u32 v149, v149, 23, 0x3c000000
	v_and_b32_e32 v8, 0x700000, v8
	s_delay_alu instid0(VALU_DEP_3) | instskip(NEXT) | instid1(VALU_DEP_1)
	v_and_b32_e32 v9, 0x80000000, v9
	v_or3_b32 v8, v8, v9, v149
.LBB398_1539:                           ;   in Loop: Header=BB398_803 Depth=1
	s_or_b32 exec_lo, exec_lo, s13
.LBB398_1540:                           ;   in Loop: Header=BB398_803 Depth=1
	s_delay_alu instid0(SALU_CYCLE_1)
	s_or_b32 exec_lo, exec_lo, s12
.LBB398_1541:                           ;   in Loop: Header=BB398_803 Depth=1
	s_delay_alu instid0(SALU_CYCLE_1) | instskip(NEXT) | instid1(VALU_DEP_1)
	s_or_b32 exec_lo, exec_lo, s10
	v_mul_f32_e32 v8, v26, v8
                                        ; implicit-def: $vgpr149
	s_delay_alu instid0(VALU_DEP_1) | instskip(NEXT) | instid1(VALU_DEP_1)
	v_and_b32_e32 v9, 0x7f800000, v8
	v_cmp_ne_u32_e64 s0, 0x7f800000, v9
	s_delay_alu instid0(VALU_DEP_1) | instskip(NEXT) | instid1(SALU_CYCLE_1)
	s_and_saveexec_b32 s10, s0
	s_xor_b32 s0, exec_lo, s10
; %bb.1542:                             ;   in Loop: Header=BB398_803 Depth=1
	v_bfe_u32 v9, v8, 16, 1
	s_delay_alu instid0(VALU_DEP_1)
	v_add3_u32 v149, v8, v9, 0x7fff
                                        ; implicit-def: $vgpr8
; %bb.1543:                             ;   in Loop: Header=BB398_803 Depth=1
	s_and_not1_saveexec_b32 s10, s0
; %bb.1544:                             ;   in Loop: Header=BB398_803 Depth=1
	v_and_b32_e32 v9, 0xffff, v8
	v_or_b32_e32 v149, 0x10000, v8
	s_delay_alu instid0(VALU_DEP_2) | instskip(NEXT) | instid1(VALU_DEP_1)
	v_cmp_eq_u32_e64 s0, 0, v9
	v_cndmask_b32_e64 v149, v149, v8, s0
; %bb.1545:                             ;   in Loop: Header=BB398_803 Depth=1
	s_or_b32 exec_lo, exec_lo, s10
	v_lshrrev_b16 v9, 8, v11
	v_mov_b32_e32 v8, 0
	s_mov_b32 s10, exec_lo
	s_delay_alu instid0(VALU_DEP_2)
	v_cmpx_ne_u16_e32 0, v9
	s_cbranch_execz .LBB398_1553
; %bb.1546:                             ;   in Loop: Header=BB398_803 Depth=1
	v_bfrev_b32_e32 v8, 1
	s_mov_b32 s12, exec_lo
	v_cmpx_ne_u16_e32 0x80, v9
	s_cbranch_execz .LBB398_1552
; %bb.1547:                             ;   in Loop: Header=BB398_803 Depth=1
	v_and_b32_e32 v9, 0xffff, v9
	v_mov_b32_e32 v8, 0x7f800001
	s_mov_b32 s13, exec_lo
	s_delay_alu instid0(VALU_DEP_2) | instskip(NEXT) | instid1(VALU_DEP_1)
	v_and_b32_e32 v151, 0x7f, v9
	v_cmpx_ne_u32_e32 0x7f, v151
	s_cbranch_execz .LBB398_1551
; %bb.1548:                             ;   in Loop: Header=BB398_803 Depth=1
	v_dual_mov_b32 v9, v12 :: v_dual_and_b32 v8, 7, v9
	v_lshrrev_b32_e32 v150, 3, v151
	s_mov_b32 s15, exec_lo
	v_cmpx_gt_u32_e32 8, v151
; %bb.1549:                             ;   in Loop: Header=BB398_803 Depth=1
	s_delay_alu instid0(VALU_DEP_3) | instskip(NEXT) | instid1(VALU_DEP_1)
	v_clz_i32_u32_e32 v150, v8
	v_min_u32_e32 v150, 32, v150
	s_delay_alu instid0(VALU_DEP_1) | instskip(SKIP_1) | instid1(VALU_DEP_2)
	v_subrev_nc_u32_e32 v151, 28, v150
	v_sub_nc_u32_e32 v150, 29, v150
	v_lshlrev_b64 v[8:9], v151, v[8:9]
	s_delay_alu instid0(VALU_DEP_1)
	v_and_b32_e32 v8, 7, v8
; %bb.1550:                             ;   in Loop: Header=BB398_803 Depth=1
	s_or_b32 exec_lo, exec_lo, s15
	v_lshlrev_b32_e32 v9, 16, v11
	s_delay_alu instid0(VALU_DEP_2) | instskip(SKIP_1) | instid1(VALU_DEP_3)
	v_lshlrev_b32_e32 v8, 20, v8
	v_lshl_add_u32 v11, v150, 23, 0x3c000000
	v_and_b32_e32 v9, 0x80000000, v9
	s_delay_alu instid0(VALU_DEP_1)
	v_or3_b32 v8, v8, v9, v11
.LBB398_1551:                           ;   in Loop: Header=BB398_803 Depth=1
	s_or_b32 exec_lo, exec_lo, s13
.LBB398_1552:                           ;   in Loop: Header=BB398_803 Depth=1
	s_delay_alu instid0(SALU_CYCLE_1)
	s_or_b32 exec_lo, exec_lo, s12
.LBB398_1553:                           ;   in Loop: Header=BB398_803 Depth=1
	s_delay_alu instid0(SALU_CYCLE_1) | instskip(NEXT) | instid1(VALU_DEP_1)
	s_or_b32 exec_lo, exec_lo, s10
	v_mul_f32_e32 v9, v26, v8
	s_delay_alu instid0(VALU_DEP_1) | instskip(NEXT) | instid1(VALU_DEP_1)
	v_and_b32_e32 v8, 0x7f800000, v9
	v_cmp_ne_u32_e64 s0, 0x7f800000, v8
                                        ; implicit-def: $vgpr8
	s_delay_alu instid0(VALU_DEP_1) | instskip(NEXT) | instid1(SALU_CYCLE_1)
	s_and_saveexec_b32 s10, s0
	s_xor_b32 s0, exec_lo, s10
; %bb.1554:                             ;   in Loop: Header=BB398_803 Depth=1
	v_bfe_u32 v8, v9, 16, 1
	s_delay_alu instid0(VALU_DEP_1)
	v_add3_u32 v8, v9, v8, 0x7fff
                                        ; implicit-def: $vgpr9
; %bb.1555:                             ;   in Loop: Header=BB398_803 Depth=1
	s_and_not1_saveexec_b32 s10, s0
; %bb.1556:                             ;   in Loop: Header=BB398_803 Depth=1
	v_and_b32_e32 v8, 0xffff, v9
	v_or_b32_e32 v11, 0x10000, v9
	s_delay_alu instid0(VALU_DEP_2) | instskip(NEXT) | instid1(VALU_DEP_1)
	v_cmp_eq_u32_e64 s0, 0, v8
	v_cndmask_b32_e64 v8, v11, v9, s0
; %bb.1557:                             ;   in Loop: Header=BB398_803 Depth=1
	s_or_b32 exec_lo, exec_lo, s10
	v_lshrrev_b32_e32 v9, 16, v3
	s_mov_b32 s10, exec_lo
	s_delay_alu instid0(VALU_DEP_1) | instskip(NEXT) | instid1(VALU_DEP_1)
	v_dual_mov_b32 v11, 0 :: v_dual_and_b32 v150, 0xff, v9
	v_cmpx_ne_u16_e64 0, v150
	s_cbranch_execz .LBB398_1565
; %bb.1558:                             ;   in Loop: Header=BB398_803 Depth=1
	v_bfrev_b32_e32 v11, 1
	s_mov_b32 s12, exec_lo
	v_cmpx_ne_u16_e64 0x80, v150
	s_cbranch_execz .LBB398_1564
; %bb.1559:                             ;   in Loop: Header=BB398_803 Depth=1
	v_bfe_u32 v151, v3, 16, 7
	v_mov_b32_e32 v11, 0x7f800001
	s_mov_b32 s13, exec_lo
	s_delay_alu instid0(VALU_DEP_2)
	v_cmpx_ne_u32_e32 0x7f, v151
	s_cbranch_execz .LBB398_1563
; %bb.1560:                             ;   in Loop: Header=BB398_803 Depth=1
	v_and_b32_e32 v11, 7, v9
	v_lshrrev_b32_e32 v150, 3, v151
	s_mov_b32 s15, exec_lo
	v_cmpx_gt_u32_e32 8, v151
; %bb.1561:                             ;   in Loop: Header=BB398_803 Depth=1
	s_delay_alu instid0(VALU_DEP_3) | instskip(NEXT) | instid1(VALU_DEP_1)
	v_clz_i32_u32_e32 v150, v11
	v_min_u32_e32 v150, 32, v150
	s_delay_alu instid0(VALU_DEP_1) | instskip(SKIP_1) | instid1(VALU_DEP_2)
	v_subrev_nc_u32_e32 v151, 28, v150
	v_sub_nc_u32_e32 v150, 29, v150
	v_lshlrev_b64 v[160:161], v151, v[11:12]
	s_delay_alu instid0(VALU_DEP_1)
	v_and_b32_e32 v11, 7, v160
; %bb.1562:                             ;   in Loop: Header=BB398_803 Depth=1
	s_or_b32 exec_lo, exec_lo, s15
	v_lshlrev_b32_e32 v9, 24, v9
	s_delay_alu instid0(VALU_DEP_2) | instskip(SKIP_1) | instid1(VALU_DEP_3)
	v_lshlrev_b32_e32 v11, 20, v11
	v_lshl_add_u32 v150, v150, 23, 0x3c000000
	v_and_b32_e32 v9, 0x80000000, v9
	s_delay_alu instid0(VALU_DEP_1)
	v_or3_b32 v11, v11, v9, v150
.LBB398_1563:                           ;   in Loop: Header=BB398_803 Depth=1
	s_or_b32 exec_lo, exec_lo, s13
.LBB398_1564:                           ;   in Loop: Header=BB398_803 Depth=1
	s_delay_alu instid0(SALU_CYCLE_1)
	s_or_b32 exec_lo, exec_lo, s12
.LBB398_1565:                           ;   in Loop: Header=BB398_803 Depth=1
	s_delay_alu instid0(SALU_CYCLE_1) | instskip(NEXT) | instid1(VALU_DEP_1)
	s_or_b32 exec_lo, exec_lo, s10
	v_mul_f32_e32 v9, v26, v11
                                        ; implicit-def: $vgpr150
	s_delay_alu instid0(VALU_DEP_1) | instskip(NEXT) | instid1(VALU_DEP_1)
	v_and_b32_e32 v11, 0x7f800000, v9
	v_cmp_ne_u32_e64 s0, 0x7f800000, v11
	s_delay_alu instid0(VALU_DEP_1) | instskip(NEXT) | instid1(SALU_CYCLE_1)
	s_and_saveexec_b32 s10, s0
	s_xor_b32 s0, exec_lo, s10
; %bb.1566:                             ;   in Loop: Header=BB398_803 Depth=1
	v_bfe_u32 v11, v9, 16, 1
	s_delay_alu instid0(VALU_DEP_1)
	v_add3_u32 v150, v9, v11, 0x7fff
                                        ; implicit-def: $vgpr9
; %bb.1567:                             ;   in Loop: Header=BB398_803 Depth=1
	s_and_not1_saveexec_b32 s10, s0
; %bb.1568:                             ;   in Loop: Header=BB398_803 Depth=1
	v_and_b32_e32 v11, 0xffff, v9
	v_or_b32_e32 v150, 0x10000, v9
	s_delay_alu instid0(VALU_DEP_2) | instskip(NEXT) | instid1(VALU_DEP_1)
	v_cmp_eq_u32_e64 s0, 0, v11
	v_cndmask_b32_e64 v150, v150, v9, s0
; %bb.1569:                             ;   in Loop: Header=BB398_803 Depth=1
	s_or_b32 exec_lo, exec_lo, s10
	v_mov_b32_e32 v9, 0
	s_mov_b32 s10, exec_lo
	v_cmpx_lt_u64_e64 s[8:9], v[2:3]
	s_cbranch_execz .LBB398_1577
; %bb.1570:                             ;   in Loop: Header=BB398_803 Depth=1
	v_lshrrev_b32_e32 v2, 24, v3
	v_bfrev_b32_e32 v9, 1
	s_mov_b32 s12, exec_lo
	s_delay_alu instid0(VALU_DEP_2)
	v_cmpx_ne_u32_e32 0x80, v2
	s_cbranch_execz .LBB398_1576
; %bb.1571:                             ;   in Loop: Header=BB398_803 Depth=1
	v_bfe_u32 v151, v3, 24, 7
	v_mov_b32_e32 v9, 0x7f800001
	s_mov_b32 s13, exec_lo
	s_delay_alu instid0(VALU_DEP_2)
	v_cmpx_ne_u32_e32 0x7f, v151
	s_cbranch_execz .LBB398_1575
; %bb.1572:                             ;   in Loop: Header=BB398_803 Depth=1
	v_and_b32_e32 v11, 7, v2
	v_lshrrev_b32_e32 v3, 3, v151
	s_mov_b32 s15, exec_lo
	v_cmpx_gt_u32_e32 8, v151
; %bb.1573:                             ;   in Loop: Header=BB398_803 Depth=1
	s_delay_alu instid0(VALU_DEP_3) | instskip(NEXT) | instid1(VALU_DEP_1)
	v_clz_i32_u32_e32 v3, v11
	v_min_u32_e32 v3, 32, v3
	s_delay_alu instid0(VALU_DEP_1) | instskip(SKIP_1) | instid1(VALU_DEP_2)
	v_subrev_nc_u32_e32 v9, 28, v3
	v_sub_nc_u32_e32 v3, 29, v3
	v_lshlrev_b64 v[160:161], v9, v[11:12]
	s_delay_alu instid0(VALU_DEP_1)
	v_and_b32_e32 v11, 7, v160
; %bb.1574:                             ;   in Loop: Header=BB398_803 Depth=1
	s_or_b32 exec_lo, exec_lo, s15
	v_lshlrev_b32_e32 v2, 24, v2
	s_delay_alu instid0(VALU_DEP_2) | instskip(SKIP_1) | instid1(VALU_DEP_3)
	v_lshlrev_b32_e32 v9, 20, v11
	v_lshl_add_u32 v3, v3, 23, 0x3c000000
	v_and_b32_e32 v2, 0x80000000, v2
	s_delay_alu instid0(VALU_DEP_1)
	v_or3_b32 v9, v9, v2, v3
.LBB398_1575:                           ;   in Loop: Header=BB398_803 Depth=1
	s_or_b32 exec_lo, exec_lo, s13
.LBB398_1576:                           ;   in Loop: Header=BB398_803 Depth=1
	s_delay_alu instid0(SALU_CYCLE_1)
	s_or_b32 exec_lo, exec_lo, s12
.LBB398_1577:                           ;   in Loop: Header=BB398_803 Depth=1
	s_delay_alu instid0(SALU_CYCLE_1) | instskip(NEXT) | instid1(VALU_DEP_1)
	s_or_b32 exec_lo, exec_lo, s10
	v_mul_f32_e32 v3, v26, v9
	s_delay_alu instid0(VALU_DEP_1) | instskip(NEXT) | instid1(VALU_DEP_1)
	v_and_b32_e32 v2, 0x7f800000, v3
	v_cmp_ne_u32_e64 s0, 0x7f800000, v2
                                        ; implicit-def: $vgpr2
	s_delay_alu instid0(VALU_DEP_1) | instskip(NEXT) | instid1(SALU_CYCLE_1)
	s_and_saveexec_b32 s10, s0
	s_xor_b32 s0, exec_lo, s10
; %bb.1578:                             ;   in Loop: Header=BB398_803 Depth=1
	v_bfe_u32 v2, v3, 16, 1
	s_delay_alu instid0(VALU_DEP_1)
	v_add3_u32 v2, v3, v2, 0x7fff
                                        ; implicit-def: $vgpr3
; %bb.1579:                             ;   in Loop: Header=BB398_803 Depth=1
	s_and_not1_saveexec_b32 s10, s0
; %bb.1580:                             ;   in Loop: Header=BB398_803 Depth=1
	v_and_b32_e32 v2, 0xffff, v3
	v_or_b32_e32 v9, 0x10000, v3
	s_delay_alu instid0(VALU_DEP_2) | instskip(NEXT) | instid1(VALU_DEP_1)
	v_cmp_eq_u32_e64 s0, 0, v2
	v_cndmask_b32_e64 v2, v9, v3, s0
; %bb.1581:                             ;   in Loop: Header=BB398_803 Depth=1
	s_or_b32 exec_lo, exec_lo, s10
	v_lshrrev_b32_e32 v8, 16, v8
	v_lshrrev_b32_e32 v9, 16, v149
	;; [unrolled: 1-line block ×8, first 2 shown]
	s_and_saveexec_b32 s10, vcc_lo
	s_cbranch_execz .LBB398_1583
; %bb.1582:                             ;   in Loop: Header=BB398_803 Depth=1
	v_cmp_lt_i32_e64 s0, v50, v32
	s_delay_alu instid0(VALU_DEP_1) | instskip(SKIP_1) | instid1(VALU_DEP_1)
	v_cndmask_b32_e64 v145, 0, v145, s0
	v_cmp_lt_i32_e64 s0, v64, v32
	v_cndmask_b32_e64 v146, 0, v146, s0
	v_cmp_lt_i32_e64 s0, v55, v32
	s_delay_alu instid0(VALU_DEP_1) | instskip(SKIP_1) | instid1(VALU_DEP_1)
	v_cndmask_b32_e64 v147, 0, v147, s0
	v_cmp_lt_i32_e64 s0, v54, v32
	v_cndmask_b32_e64 v11, 0, v11, s0
	;; [unrolled: 5-line block ×4, first 2 shown]
.LBB398_1583:                           ;   in Loop: Header=BB398_803 Depth=1
	s_or_b32 exec_lo, exec_lo, s10
	v_lshlrev_b32_e32 v145, 16, v145
	s_delay_alu instid0(VALU_DEP_1) | instskip(NEXT) | instid1(VALU_DEP_1)
	v_mul_f32_e32 v148, v65, v145
	v_and_b32_e32 v145, 0x7f800000, v148
	s_delay_alu instid0(VALU_DEP_1) | instskip(NEXT) | instid1(VALU_DEP_1)
	v_cmp_ne_u32_e64 s0, 0x7f800000, v145
                                        ; implicit-def: $vgpr145
	s_and_saveexec_b32 s10, s0
	s_delay_alu instid0(SALU_CYCLE_1)
	s_xor_b32 s0, exec_lo, s10
; %bb.1584:                             ;   in Loop: Header=BB398_803 Depth=1
	v_bfe_u32 v145, v148, 16, 1
	s_delay_alu instid0(VALU_DEP_1)
	v_add3_u32 v145, v148, v145, 0x7fff
                                        ; implicit-def: $vgpr148
; %bb.1585:                             ;   in Loop: Header=BB398_803 Depth=1
	s_and_not1_saveexec_b32 s10, s0
; %bb.1586:                             ;   in Loop: Header=BB398_803 Depth=1
	v_and_b32_e32 v145, 0xffff, v148
	v_or_b32_e32 v149, 0x10000, v148
	s_delay_alu instid0(VALU_DEP_2) | instskip(NEXT) | instid1(VALU_DEP_1)
	v_cmp_eq_u32_e64 s0, 0, v145
	v_cndmask_b32_e64 v145, v149, v148, s0
; %bb.1587:                             ;   in Loop: Header=BB398_803 Depth=1
	s_or_b32 exec_lo, exec_lo, s10
	v_lshlrev_b32_e32 v146, 16, v146
	s_delay_alu instid0(VALU_DEP_1) | instskip(NEXT) | instid1(VALU_DEP_1)
	v_mul_f32_e32 v148, v66, v146
	v_and_b32_e32 v146, 0x7f800000, v148
	s_delay_alu instid0(VALU_DEP_1) | instskip(NEXT) | instid1(VALU_DEP_1)
	v_cmp_ne_u32_e64 s0, 0x7f800000, v146
                                        ; implicit-def: $vgpr146
	s_and_saveexec_b32 s10, s0
	s_delay_alu instid0(SALU_CYCLE_1)
	s_xor_b32 s0, exec_lo, s10
; %bb.1588:                             ;   in Loop: Header=BB398_803 Depth=1
	v_bfe_u32 v146, v148, 16, 1
	s_delay_alu instid0(VALU_DEP_1)
	v_add3_u32 v146, v148, v146, 0x7fff
                                        ; implicit-def: $vgpr148
; %bb.1589:                             ;   in Loop: Header=BB398_803 Depth=1
	s_and_not1_saveexec_b32 s10, s0
; %bb.1590:                             ;   in Loop: Header=BB398_803 Depth=1
	v_and_b32_e32 v146, 0xffff, v148
	v_or_b32_e32 v149, 0x10000, v148
	s_delay_alu instid0(VALU_DEP_2) | instskip(NEXT) | instid1(VALU_DEP_1)
	v_cmp_eq_u32_e64 s0, 0, v146
	v_cndmask_b32_e64 v146, v149, v148, s0
; %bb.1591:                             ;   in Loop: Header=BB398_803 Depth=1
	s_or_b32 exec_lo, exec_lo, s10
	v_lshlrev_b32_e32 v147, 16, v147
	s_delay_alu instid0(VALU_DEP_1) | instskip(NEXT) | instid1(VALU_DEP_1)
	v_mul_f32_e32 v148, v67, v147
	v_and_b32_e32 v147, 0x7f800000, v148
	s_delay_alu instid0(VALU_DEP_1) | instskip(NEXT) | instid1(VALU_DEP_1)
	v_cmp_ne_u32_e64 s0, 0x7f800000, v147
                                        ; implicit-def: $vgpr147
	s_and_saveexec_b32 s10, s0
	s_delay_alu instid0(SALU_CYCLE_1)
	s_xor_b32 s0, exec_lo, s10
; %bb.1592:                             ;   in Loop: Header=BB398_803 Depth=1
	v_bfe_u32 v147, v148, 16, 1
	s_delay_alu instid0(VALU_DEP_1)
	v_add3_u32 v147, v148, v147, 0x7fff
                                        ; implicit-def: $vgpr148
; %bb.1593:                             ;   in Loop: Header=BB398_803 Depth=1
	s_and_not1_saveexec_b32 s10, s0
; %bb.1594:                             ;   in Loop: Header=BB398_803 Depth=1
	v_and_b32_e32 v147, 0xffff, v148
	v_or_b32_e32 v149, 0x10000, v148
	s_delay_alu instid0(VALU_DEP_2) | instskip(NEXT) | instid1(VALU_DEP_1)
	v_cmp_eq_u32_e64 s0, 0, v147
	v_cndmask_b32_e64 v147, v149, v148, s0
; %bb.1595:                             ;   in Loop: Header=BB398_803 Depth=1
	s_or_b32 exec_lo, exec_lo, s10
	v_lshlrev_b32_e32 v11, 16, v11
	s_delay_alu instid0(VALU_DEP_1) | instskip(NEXT) | instid1(VALU_DEP_1)
	v_mul_f32_e32 v11, v68, v11
	v_and_b32_e32 v148, 0x7f800000, v11
	s_delay_alu instid0(VALU_DEP_1) | instskip(NEXT) | instid1(VALU_DEP_1)
	v_cmp_ne_u32_e64 s0, 0x7f800000, v148
                                        ; implicit-def: $vgpr148
	s_and_saveexec_b32 s10, s0
	s_delay_alu instid0(SALU_CYCLE_1)
	s_xor_b32 s0, exec_lo, s10
; %bb.1596:                             ;   in Loop: Header=BB398_803 Depth=1
	v_bfe_u32 v148, v11, 16, 1
	s_delay_alu instid0(VALU_DEP_1)
	v_add3_u32 v148, v11, v148, 0x7fff
                                        ; implicit-def: $vgpr11
; %bb.1597:                             ;   in Loop: Header=BB398_803 Depth=1
	s_and_not1_saveexec_b32 s10, s0
; %bb.1598:                             ;   in Loop: Header=BB398_803 Depth=1
	v_and_b32_e32 v148, 0xffff, v11
	v_or_b32_e32 v149, 0x10000, v11
	s_delay_alu instid0(VALU_DEP_2) | instskip(NEXT) | instid1(VALU_DEP_1)
	v_cmp_eq_u32_e64 s0, 0, v148
	v_cndmask_b32_e64 v148, v149, v11, s0
; %bb.1599:                             ;   in Loop: Header=BB398_803 Depth=1
	s_or_b32 exec_lo, exec_lo, s10
	v_lshlrev_b32_e32 v9, 16, v9
                                        ; implicit-def: $vgpr149
	s_delay_alu instid0(VALU_DEP_1) | instskip(NEXT) | instid1(VALU_DEP_1)
	v_mul_f32_e32 v9, v69, v9
	v_and_b32_e32 v11, 0x7f800000, v9
	s_delay_alu instid0(VALU_DEP_1) | instskip(NEXT) | instid1(VALU_DEP_1)
	v_cmp_ne_u32_e64 s0, 0x7f800000, v11
	s_and_saveexec_b32 s10, s0
	s_delay_alu instid0(SALU_CYCLE_1)
	s_xor_b32 s0, exec_lo, s10
; %bb.1600:                             ;   in Loop: Header=BB398_803 Depth=1
	v_bfe_u32 v11, v9, 16, 1
	s_delay_alu instid0(VALU_DEP_1)
	v_add3_u32 v149, v9, v11, 0x7fff
                                        ; implicit-def: $vgpr9
; %bb.1601:                             ;   in Loop: Header=BB398_803 Depth=1
	s_and_not1_saveexec_b32 s10, s0
; %bb.1602:                             ;   in Loop: Header=BB398_803 Depth=1
	v_and_b32_e32 v11, 0xffff, v9
	v_or_b32_e32 v149, 0x10000, v9
	s_delay_alu instid0(VALU_DEP_2) | instskip(NEXT) | instid1(VALU_DEP_1)
	v_cmp_eq_u32_e64 s0, 0, v11
	v_cndmask_b32_e64 v149, v149, v9, s0
; %bb.1603:                             ;   in Loop: Header=BB398_803 Depth=1
	s_or_b32 exec_lo, exec_lo, s10
	v_lshlrev_b32_e32 v8, 16, v8
                                        ; implicit-def: $vgpr150
	s_delay_alu instid0(VALU_DEP_1) | instskip(NEXT) | instid1(VALU_DEP_1)
	v_mul_f32_e32 v8, v70, v8
	v_and_b32_e32 v9, 0x7f800000, v8
	s_delay_alu instid0(VALU_DEP_1) | instskip(NEXT) | instid1(VALU_DEP_1)
	v_cmp_ne_u32_e64 s0, 0x7f800000, v9
	s_and_saveexec_b32 s10, s0
	s_delay_alu instid0(SALU_CYCLE_1)
	s_xor_b32 s0, exec_lo, s10
; %bb.1604:                             ;   in Loop: Header=BB398_803 Depth=1
	v_bfe_u32 v9, v8, 16, 1
	s_delay_alu instid0(VALU_DEP_1)
	v_add3_u32 v150, v8, v9, 0x7fff
                                        ; implicit-def: $vgpr8
; %bb.1605:                             ;   in Loop: Header=BB398_803 Depth=1
	s_and_not1_saveexec_b32 s10, s0
; %bb.1606:                             ;   in Loop: Header=BB398_803 Depth=1
	v_and_b32_e32 v9, 0xffff, v8
	v_or_b32_e32 v11, 0x10000, v8
	s_delay_alu instid0(VALU_DEP_2) | instskip(NEXT) | instid1(VALU_DEP_1)
	v_cmp_eq_u32_e64 s0, 0, v9
	v_cndmask_b32_e64 v150, v11, v8, s0
; %bb.1607:                             ;   in Loop: Header=BB398_803 Depth=1
	s_or_b32 exec_lo, exec_lo, s10
	v_lshlrev_b32_e32 v3, 16, v3
                                        ; implicit-def: $vgpr151
	s_delay_alu instid0(VALU_DEP_1) | instskip(NEXT) | instid1(VALU_DEP_1)
	v_mul_f32_e32 v3, v71, v3
	v_and_b32_e32 v8, 0x7f800000, v3
	s_delay_alu instid0(VALU_DEP_1) | instskip(NEXT) | instid1(VALU_DEP_1)
	v_cmp_ne_u32_e64 s0, 0x7f800000, v8
	s_and_saveexec_b32 s10, s0
	s_delay_alu instid0(SALU_CYCLE_1)
	s_xor_b32 s0, exec_lo, s10
; %bb.1608:                             ;   in Loop: Header=BB398_803 Depth=1
	v_bfe_u32 v8, v3, 16, 1
	s_delay_alu instid0(VALU_DEP_1)
	v_add3_u32 v151, v3, v8, 0x7fff
                                        ; implicit-def: $vgpr3
; %bb.1609:                             ;   in Loop: Header=BB398_803 Depth=1
	s_and_not1_saveexec_b32 s10, s0
; %bb.1610:                             ;   in Loop: Header=BB398_803 Depth=1
	v_and_b32_e32 v8, 0xffff, v3
	v_or_b32_e32 v9, 0x10000, v3
	s_delay_alu instid0(VALU_DEP_2) | instskip(NEXT) | instid1(VALU_DEP_1)
	v_cmp_eq_u32_e64 s0, 0, v8
	v_cndmask_b32_e64 v151, v9, v3, s0
; %bb.1611:                             ;   in Loop: Header=BB398_803 Depth=1
	s_or_b32 exec_lo, exec_lo, s10
	v_lshlrev_b32_e32 v2, 16, v2
                                        ; implicit-def: $vgpr160
	s_delay_alu instid0(VALU_DEP_1) | instskip(NEXT) | instid1(VALU_DEP_1)
	v_mul_f32_e32 v2, v80, v2
	v_and_b32_e32 v3, 0x7f800000, v2
	s_delay_alu instid0(VALU_DEP_1) | instskip(NEXT) | instid1(VALU_DEP_1)
	v_cmp_ne_u32_e64 s0, 0x7f800000, v3
	s_and_saveexec_b32 s10, s0
	s_delay_alu instid0(SALU_CYCLE_1)
	s_xor_b32 s0, exec_lo, s10
; %bb.1612:                             ;   in Loop: Header=BB398_803 Depth=1
	v_bfe_u32 v3, v2, 16, 1
	s_delay_alu instid0(VALU_DEP_1)
	v_add3_u32 v160, v2, v3, 0x7fff
                                        ; implicit-def: $vgpr2
; %bb.1613:                             ;   in Loop: Header=BB398_803 Depth=1
	s_and_not1_saveexec_b32 s10, s0
; %bb.1614:                             ;   in Loop: Header=BB398_803 Depth=1
	v_and_b32_e32 v3, 0xffff, v2
	v_or_b32_e32 v8, 0x10000, v2
	s_delay_alu instid0(VALU_DEP_2) | instskip(NEXT) | instid1(VALU_DEP_1)
	v_cmp_eq_u32_e64 s0, 0, v3
	v_cndmask_b32_e64 v160, v8, v2, s0
; %bb.1615:                             ;   in Loop: Header=BB398_803 Depth=1
	s_or_b32 exec_lo, exec_lo, s10
	flat_load_b64 v[2:3], v[0:1] offset:1536
	s_mov_b32 s10, exec_lo
	s_waitcnt vmcnt(0) lgkmcnt(0)
	v_dual_mov_b32 v8, 0 :: v_dual_and_b32 v9, 0xff, v2
	s_delay_alu instid0(VALU_DEP_1)
	v_cmpx_ne_u16_e32 0, v9
	s_cbranch_execz .LBB398_1623
; %bb.1616:                             ;   in Loop: Header=BB398_803 Depth=1
	v_bfrev_b32_e32 v8, 1
	s_mov_b32 s12, exec_lo
	v_cmpx_ne_u16_e32 0x80, v9
	s_cbranch_execz .LBB398_1622
; %bb.1617:                             ;   in Loop: Header=BB398_803 Depth=1
	v_and_b32_e32 v9, 0x7f, v2
	v_mov_b32_e32 v8, 0x7f800001
	s_mov_b32 s13, exec_lo
	s_delay_alu instid0(VALU_DEP_2)
	v_cmpx_ne_u32_e32 0x7f, v9
	s_cbranch_execz .LBB398_1621
; %bb.1618:                             ;   in Loop: Header=BB398_803 Depth=1
	v_lshrrev_b32_e32 v11, 3, v9
	v_cmp_gt_u32_e64 s0, 8, v9
	v_dual_mov_b32 v9, v3 :: v_dual_mov_b32 v8, v2
	s_delay_alu instid0(VALU_DEP_2)
	s_and_saveexec_b32 s15, s0
; %bb.1619:                             ;   in Loop: Header=BB398_803 Depth=1
	v_and_b32_e32 v8, 7, v2
	s_delay_alu instid0(VALU_DEP_1) | instskip(NEXT) | instid1(VALU_DEP_1)
	v_clz_i32_u32_e32 v8, v8
	v_min_u32_e32 v11, 32, v8
	s_delay_alu instid0(VALU_DEP_1) | instskip(SKIP_1) | instid1(VALU_DEP_2)
	v_subrev_nc_u32_e32 v8, 28, v11
	v_sub_nc_u32_e32 v11, 29, v11
	v_lshlrev_b64 v[8:9], v8, v[2:3]
; %bb.1620:                             ;   in Loop: Header=BB398_803 Depth=1
	s_or_b32 exec_lo, exec_lo, s15
	s_delay_alu instid0(VALU_DEP_1) | instskip(SKIP_2) | instid1(VALU_DEP_3)
	v_lshlrev_b32_e32 v8, 20, v8
	v_lshlrev_b32_e32 v9, 24, v2
	v_lshl_add_u32 v11, v11, 23, 0x3c000000
	v_and_b32_e32 v8, 0x700000, v8
	s_delay_alu instid0(VALU_DEP_3) | instskip(NEXT) | instid1(VALU_DEP_1)
	v_and_b32_e32 v9, 0x80000000, v9
	v_or3_b32 v8, v8, v9, v11
.LBB398_1621:                           ;   in Loop: Header=BB398_803 Depth=1
	s_or_b32 exec_lo, exec_lo, s13
.LBB398_1622:                           ;   in Loop: Header=BB398_803 Depth=1
	s_delay_alu instid0(SALU_CYCLE_1)
	s_or_b32 exec_lo, exec_lo, s12
.LBB398_1623:                           ;   in Loop: Header=BB398_803 Depth=1
	s_delay_alu instid0(SALU_CYCLE_1) | instskip(NEXT) | instid1(VALU_DEP_1)
	s_or_b32 exec_lo, exec_lo, s10
	v_mul_f32_e32 v8, v26, v8
                                        ; implicit-def: $vgpr161
	s_delay_alu instid0(VALU_DEP_1) | instskip(NEXT) | instid1(VALU_DEP_1)
	v_and_b32_e32 v9, 0x7f800000, v8
	v_cmp_ne_u32_e64 s0, 0x7f800000, v9
	s_delay_alu instid0(VALU_DEP_1) | instskip(NEXT) | instid1(SALU_CYCLE_1)
	s_and_saveexec_b32 s10, s0
	s_xor_b32 s0, exec_lo, s10
; %bb.1624:                             ;   in Loop: Header=BB398_803 Depth=1
	v_bfe_u32 v9, v8, 16, 1
	s_delay_alu instid0(VALU_DEP_1)
	v_add3_u32 v161, v8, v9, 0x7fff
                                        ; implicit-def: $vgpr8
; %bb.1625:                             ;   in Loop: Header=BB398_803 Depth=1
	s_and_not1_saveexec_b32 s10, s0
; %bb.1626:                             ;   in Loop: Header=BB398_803 Depth=1
	v_and_b32_e32 v9, 0xffff, v8
	v_or_b32_e32 v11, 0x10000, v8
	s_delay_alu instid0(VALU_DEP_2) | instskip(NEXT) | instid1(VALU_DEP_1)
	v_cmp_eq_u32_e64 s0, 0, v9
	v_cndmask_b32_e64 v161, v11, v8, s0
; %bb.1627:                             ;   in Loop: Header=BB398_803 Depth=1
	s_or_b32 exec_lo, exec_lo, s10
	v_lshrrev_b16 v9, 8, v2
	v_mov_b32_e32 v8, 0
	s_mov_b32 s10, exec_lo
	s_delay_alu instid0(VALU_DEP_2)
	v_cmpx_ne_u16_e32 0, v9
	s_cbranch_execz .LBB398_1635
; %bb.1628:                             ;   in Loop: Header=BB398_803 Depth=1
	v_bfrev_b32_e32 v8, 1
	s_mov_b32 s12, exec_lo
	v_cmpx_ne_u16_e32 0x80, v9
	s_cbranch_execz .LBB398_1634
; %bb.1629:                             ;   in Loop: Header=BB398_803 Depth=1
	v_and_b32_e32 v11, 0xffff, v9
	v_mov_b32_e32 v8, 0x7f800001
	s_mov_b32 s13, exec_lo
	s_delay_alu instid0(VALU_DEP_2) | instskip(NEXT) | instid1(VALU_DEP_1)
	v_and_b32_e32 v9, 0x7f, v11
	v_cmpx_ne_u32_e32 0x7f, v9
	s_cbranch_execz .LBB398_1633
; %bb.1630:                             ;   in Loop: Header=BB398_803 Depth=1
	v_and_b32_e32 v11, 7, v11
	v_lshrrev_b32_e32 v8, 3, v9
	s_mov_b32 s15, exec_lo
	v_cmpx_gt_u32_e32 8, v9
; %bb.1631:                             ;   in Loop: Header=BB398_803 Depth=1
	s_delay_alu instid0(VALU_DEP_3) | instskip(NEXT) | instid1(VALU_DEP_1)
	v_clz_i32_u32_e32 v8, v11
	v_min_u32_e32 v8, 32, v8
	s_delay_alu instid0(VALU_DEP_1) | instskip(SKIP_1) | instid1(VALU_DEP_2)
	v_subrev_nc_u32_e32 v9, 28, v8
	v_sub_nc_u32_e32 v8, 29, v8
	v_lshlrev_b64 v[162:163], v9, v[11:12]
	s_delay_alu instid0(VALU_DEP_1)
	v_and_b32_e32 v11, 7, v162
; %bb.1632:                             ;   in Loop: Header=BB398_803 Depth=1
	s_or_b32 exec_lo, exec_lo, s15
	v_lshlrev_b32_e32 v9, 16, v2
	s_delay_alu instid0(VALU_DEP_2) | instskip(SKIP_1) | instid1(VALU_DEP_3)
	v_lshlrev_b32_e32 v11, 20, v11
	v_lshl_add_u32 v8, v8, 23, 0x3c000000
	v_and_b32_e32 v9, 0x80000000, v9
	s_delay_alu instid0(VALU_DEP_1)
	v_or3_b32 v8, v11, v9, v8
.LBB398_1633:                           ;   in Loop: Header=BB398_803 Depth=1
	s_or_b32 exec_lo, exec_lo, s13
.LBB398_1634:                           ;   in Loop: Header=BB398_803 Depth=1
	s_delay_alu instid0(SALU_CYCLE_1)
	s_or_b32 exec_lo, exec_lo, s12
.LBB398_1635:                           ;   in Loop: Header=BB398_803 Depth=1
	s_delay_alu instid0(SALU_CYCLE_1) | instskip(NEXT) | instid1(VALU_DEP_1)
	s_or_b32 exec_lo, exec_lo, s10
	v_mul_f32_e32 v8, v26, v8
                                        ; implicit-def: $vgpr162
	s_delay_alu instid0(VALU_DEP_1) | instskip(NEXT) | instid1(VALU_DEP_1)
	v_and_b32_e32 v9, 0x7f800000, v8
	v_cmp_ne_u32_e64 s0, 0x7f800000, v9
	s_delay_alu instid0(VALU_DEP_1) | instskip(NEXT) | instid1(SALU_CYCLE_1)
	s_and_saveexec_b32 s10, s0
	s_xor_b32 s0, exec_lo, s10
; %bb.1636:                             ;   in Loop: Header=BB398_803 Depth=1
	v_bfe_u32 v9, v8, 16, 1
	s_delay_alu instid0(VALU_DEP_1)
	v_add3_u32 v162, v8, v9, 0x7fff
                                        ; implicit-def: $vgpr8
; %bb.1637:                             ;   in Loop: Header=BB398_803 Depth=1
	s_and_not1_saveexec_b32 s10, s0
; %bb.1638:                             ;   in Loop: Header=BB398_803 Depth=1
	v_and_b32_e32 v9, 0xffff, v8
	v_or_b32_e32 v11, 0x10000, v8
	s_delay_alu instid0(VALU_DEP_2) | instskip(NEXT) | instid1(VALU_DEP_1)
	v_cmp_eq_u32_e64 s0, 0, v9
	v_cndmask_b32_e64 v162, v11, v8, s0
; %bb.1639:                             ;   in Loop: Header=BB398_803 Depth=1
	s_or_b32 exec_lo, exec_lo, s10
	v_lshrrev_b32_e32 v8, 16, v2
	v_mov_b32_e32 v9, 0
	s_mov_b32 s10, exec_lo
	s_delay_alu instid0(VALU_DEP_2) | instskip(NEXT) | instid1(VALU_DEP_1)
	v_and_b32_e32 v11, 0xff, v8
	v_cmpx_ne_u16_e32 0, v11
	s_cbranch_execz .LBB398_1647
; %bb.1640:                             ;   in Loop: Header=BB398_803 Depth=1
	v_bfrev_b32_e32 v9, 1
	s_mov_b32 s12, exec_lo
	v_cmpx_ne_u16_e32 0x80, v11
	s_cbranch_execz .LBB398_1646
; %bb.1641:                             ;   in Loop: Header=BB398_803 Depth=1
	v_bfe_u32 v163, v2, 16, 7
	v_mov_b32_e32 v9, 0x7f800001
	s_mov_b32 s13, exec_lo
	s_delay_alu instid0(VALU_DEP_2)
	v_cmpx_ne_u32_e32 0x7f, v163
	s_cbranch_execz .LBB398_1645
; %bb.1642:                             ;   in Loop: Header=BB398_803 Depth=1
	v_and_b32_e32 v11, 7, v8
	v_lshrrev_b32_e32 v9, 3, v163
	s_mov_b32 s15, exec_lo
	v_cmpx_gt_u32_e32 8, v163
; %bb.1643:                             ;   in Loop: Header=BB398_803 Depth=1
	s_delay_alu instid0(VALU_DEP_3) | instskip(NEXT) | instid1(VALU_DEP_1)
	v_clz_i32_u32_e32 v9, v11
	v_min_u32_e32 v9, 32, v9
	s_delay_alu instid0(VALU_DEP_1) | instskip(SKIP_1) | instid1(VALU_DEP_2)
	v_subrev_nc_u32_e32 v163, 28, v9
	v_sub_nc_u32_e32 v9, 29, v9
	v_lshlrev_b64 v[163:164], v163, v[11:12]
	s_delay_alu instid0(VALU_DEP_1)
	v_and_b32_e32 v11, 7, v163
; %bb.1644:                             ;   in Loop: Header=BB398_803 Depth=1
	s_or_b32 exec_lo, exec_lo, s15
	v_lshlrev_b32_e32 v8, 24, v8
	s_delay_alu instid0(VALU_DEP_2) | instskip(SKIP_1) | instid1(VALU_DEP_3)
	v_lshlrev_b32_e32 v11, 20, v11
	v_lshl_add_u32 v9, v9, 23, 0x3c000000
	v_and_b32_e32 v8, 0x80000000, v8
	s_delay_alu instid0(VALU_DEP_1)
	v_or3_b32 v9, v11, v8, v9
.LBB398_1645:                           ;   in Loop: Header=BB398_803 Depth=1
	s_or_b32 exec_lo, exec_lo, s13
.LBB398_1646:                           ;   in Loop: Header=BB398_803 Depth=1
	s_delay_alu instid0(SALU_CYCLE_1)
	s_or_b32 exec_lo, exec_lo, s12
.LBB398_1647:                           ;   in Loop: Header=BB398_803 Depth=1
	s_delay_alu instid0(SALU_CYCLE_1) | instskip(NEXT) | instid1(VALU_DEP_1)
	s_or_b32 exec_lo, exec_lo, s10
	v_mul_f32_e32 v8, v26, v9
                                        ; implicit-def: $vgpr163
	s_delay_alu instid0(VALU_DEP_1) | instskip(NEXT) | instid1(VALU_DEP_1)
	v_and_b32_e32 v9, 0x7f800000, v8
	v_cmp_ne_u32_e64 s0, 0x7f800000, v9
	s_delay_alu instid0(VALU_DEP_1) | instskip(NEXT) | instid1(SALU_CYCLE_1)
	s_and_saveexec_b32 s10, s0
	s_xor_b32 s0, exec_lo, s10
; %bb.1648:                             ;   in Loop: Header=BB398_803 Depth=1
	v_bfe_u32 v9, v8, 16, 1
	s_delay_alu instid0(VALU_DEP_1)
	v_add3_u32 v163, v8, v9, 0x7fff
                                        ; implicit-def: $vgpr8
; %bb.1649:                             ;   in Loop: Header=BB398_803 Depth=1
	s_and_not1_saveexec_b32 s10, s0
; %bb.1650:                             ;   in Loop: Header=BB398_803 Depth=1
	v_and_b32_e32 v9, 0xffff, v8
	v_or_b32_e32 v11, 0x10000, v8
	s_delay_alu instid0(VALU_DEP_2) | instskip(NEXT) | instid1(VALU_DEP_1)
	v_cmp_eq_u32_e64 s0, 0, v9
	v_cndmask_b32_e64 v163, v11, v8, s0
; %bb.1651:                             ;   in Loop: Header=BB398_803 Depth=1
	s_or_b32 exec_lo, exec_lo, s10
	v_mov_b32_e32 v9, 0
	s_mov_b32 s10, exec_lo
	v_cmpx_lt_u32_e32 0xffffff, v2
	s_cbranch_execz .LBB398_1659
; %bb.1652:                             ;   in Loop: Header=BB398_803 Depth=1
	v_lshrrev_b32_e32 v8, 24, v2
	v_bfrev_b32_e32 v9, 1
	s_mov_b32 s12, exec_lo
	s_delay_alu instid0(VALU_DEP_2)
	v_cmpx_ne_u32_e32 0x80, v8
	s_cbranch_execz .LBB398_1658
; %bb.1653:                             ;   in Loop: Header=BB398_803 Depth=1
	v_bfe_u32 v164, v2, 24, 7
	v_mov_b32_e32 v9, 0x7f800001
	s_mov_b32 s13, exec_lo
	s_delay_alu instid0(VALU_DEP_2)
	v_cmpx_ne_u32_e32 0x7f, v164
	s_cbranch_execz .LBB398_1657
; %bb.1654:                             ;   in Loop: Header=BB398_803 Depth=1
	v_and_b32_e32 v11, 7, v8
	v_lshrrev_b32_e32 v9, 3, v164
	s_mov_b32 s15, exec_lo
	v_cmpx_gt_u32_e32 8, v164
; %bb.1655:                             ;   in Loop: Header=BB398_803 Depth=1
	s_delay_alu instid0(VALU_DEP_3) | instskip(NEXT) | instid1(VALU_DEP_1)
	v_clz_i32_u32_e32 v9, v11
	v_min_u32_e32 v9, 32, v9
	s_delay_alu instid0(VALU_DEP_1) | instskip(SKIP_1) | instid1(VALU_DEP_2)
	v_subrev_nc_u32_e32 v164, 28, v9
	v_sub_nc_u32_e32 v9, 29, v9
	v_lshlrev_b64 v[164:165], v164, v[11:12]
	s_delay_alu instid0(VALU_DEP_1)
	v_and_b32_e32 v11, 7, v164
; %bb.1656:                             ;   in Loop: Header=BB398_803 Depth=1
	s_or_b32 exec_lo, exec_lo, s15
	v_lshlrev_b32_e32 v8, 24, v8
	s_delay_alu instid0(VALU_DEP_2) | instskip(SKIP_1) | instid1(VALU_DEP_3)
	v_lshlrev_b32_e32 v11, 20, v11
	v_lshl_add_u32 v9, v9, 23, 0x3c000000
	v_and_b32_e32 v8, 0x80000000, v8
	s_delay_alu instid0(VALU_DEP_1)
	v_or3_b32 v9, v11, v8, v9
.LBB398_1657:                           ;   in Loop: Header=BB398_803 Depth=1
	s_or_b32 exec_lo, exec_lo, s13
.LBB398_1658:                           ;   in Loop: Header=BB398_803 Depth=1
	s_delay_alu instid0(SALU_CYCLE_1)
	s_or_b32 exec_lo, exec_lo, s12
.LBB398_1659:                           ;   in Loop: Header=BB398_803 Depth=1
	s_delay_alu instid0(SALU_CYCLE_1) | instskip(NEXT) | instid1(VALU_DEP_1)
	s_or_b32 exec_lo, exec_lo, s10
	v_mul_f32_e32 v8, v26, v9
                                        ; implicit-def: $vgpr164
	s_delay_alu instid0(VALU_DEP_1) | instskip(NEXT) | instid1(VALU_DEP_1)
	v_and_b32_e32 v9, 0x7f800000, v8
	v_cmp_ne_u32_e64 s0, 0x7f800000, v9
	s_delay_alu instid0(VALU_DEP_1) | instskip(NEXT) | instid1(SALU_CYCLE_1)
	s_and_saveexec_b32 s10, s0
	s_xor_b32 s0, exec_lo, s10
; %bb.1660:                             ;   in Loop: Header=BB398_803 Depth=1
	v_bfe_u32 v9, v8, 16, 1
	s_delay_alu instid0(VALU_DEP_1)
	v_add3_u32 v164, v8, v9, 0x7fff
                                        ; implicit-def: $vgpr8
; %bb.1661:                             ;   in Loop: Header=BB398_803 Depth=1
	s_and_not1_saveexec_b32 s10, s0
; %bb.1662:                             ;   in Loop: Header=BB398_803 Depth=1
	v_and_b32_e32 v9, 0xffff, v8
	v_or_b32_e32 v11, 0x10000, v8
	s_delay_alu instid0(VALU_DEP_2) | instskip(NEXT) | instid1(VALU_DEP_1)
	v_cmp_eq_u32_e64 s0, 0, v9
	v_cndmask_b32_e64 v164, v11, v8, s0
; %bb.1663:                             ;   in Loop: Header=BB398_803 Depth=1
	s_or_b32 exec_lo, exec_lo, s10
	v_dual_mov_b32 v8, 0 :: v_dual_and_b32 v9, 0xff, v3
	v_mov_b32_e32 v11, v3
	s_mov_b32 s10, exec_lo
	s_delay_alu instid0(VALU_DEP_2)
	v_cmpx_ne_u16_e32 0, v9
	s_cbranch_execz .LBB398_1671
; %bb.1664:                             ;   in Loop: Header=BB398_803 Depth=1
	v_bfrev_b32_e32 v8, 1
	s_mov_b32 s12, exec_lo
	v_cmpx_ne_u16_e32 0x80, v9
	s_cbranch_execz .LBB398_1670
; %bb.1665:                             ;   in Loop: Header=BB398_803 Depth=1
	v_and_b32_e32 v9, 0x7f, v3
	v_mov_b32_e32 v8, 0x7f800001
	s_mov_b32 s13, exec_lo
	s_delay_alu instid0(VALU_DEP_2)
	v_cmpx_ne_u32_e32 0x7f, v9
	s_cbranch_execz .LBB398_1669
; %bb.1666:                             ;   in Loop: Header=BB398_803 Depth=1
	v_lshrrev_b32_e32 v165, 3, v9
	v_cmp_gt_u32_e64 s0, 8, v9
	v_dual_mov_b32 v8, v11 :: v_dual_mov_b32 v9, v12
	s_delay_alu instid0(VALU_DEP_2)
	s_and_saveexec_b32 s15, s0
; %bb.1667:                             ;   in Loop: Header=BB398_803 Depth=1
	v_and_b32_e32 v8, 7, v3
	s_delay_alu instid0(VALU_DEP_1) | instskip(NEXT) | instid1(VALU_DEP_1)
	v_clz_i32_u32_e32 v8, v8
	v_min_u32_e32 v165, 32, v8
	s_delay_alu instid0(VALU_DEP_1) | instskip(SKIP_1) | instid1(VALU_DEP_2)
	v_subrev_nc_u32_e32 v8, 28, v165
	v_sub_nc_u32_e32 v165, 29, v165
	v_lshlrev_b64 v[8:9], v8, v[11:12]
; %bb.1668:                             ;   in Loop: Header=BB398_803 Depth=1
	s_or_b32 exec_lo, exec_lo, s15
	s_delay_alu instid0(VALU_DEP_1) | instskip(SKIP_2) | instid1(VALU_DEP_3)
	v_lshlrev_b32_e32 v8, 20, v8
	v_lshlrev_b32_e32 v9, 24, v11
	v_lshl_add_u32 v165, v165, 23, 0x3c000000
	v_and_b32_e32 v8, 0x700000, v8
	s_delay_alu instid0(VALU_DEP_3) | instskip(NEXT) | instid1(VALU_DEP_1)
	v_and_b32_e32 v9, 0x80000000, v9
	v_or3_b32 v8, v8, v9, v165
.LBB398_1669:                           ;   in Loop: Header=BB398_803 Depth=1
	s_or_b32 exec_lo, exec_lo, s13
.LBB398_1670:                           ;   in Loop: Header=BB398_803 Depth=1
	s_delay_alu instid0(SALU_CYCLE_1)
	s_or_b32 exec_lo, exec_lo, s12
.LBB398_1671:                           ;   in Loop: Header=BB398_803 Depth=1
	s_delay_alu instid0(SALU_CYCLE_1) | instskip(NEXT) | instid1(VALU_DEP_1)
	s_or_b32 exec_lo, exec_lo, s10
	v_mul_f32_e32 v8, v26, v8
                                        ; implicit-def: $vgpr165
	s_delay_alu instid0(VALU_DEP_1) | instskip(NEXT) | instid1(VALU_DEP_1)
	v_and_b32_e32 v9, 0x7f800000, v8
	v_cmp_ne_u32_e64 s0, 0x7f800000, v9
	s_delay_alu instid0(VALU_DEP_1) | instskip(NEXT) | instid1(SALU_CYCLE_1)
	s_and_saveexec_b32 s10, s0
	s_xor_b32 s0, exec_lo, s10
; %bb.1672:                             ;   in Loop: Header=BB398_803 Depth=1
	v_bfe_u32 v9, v8, 16, 1
	s_delay_alu instid0(VALU_DEP_1)
	v_add3_u32 v165, v8, v9, 0x7fff
                                        ; implicit-def: $vgpr8
; %bb.1673:                             ;   in Loop: Header=BB398_803 Depth=1
	s_and_not1_saveexec_b32 s10, s0
; %bb.1674:                             ;   in Loop: Header=BB398_803 Depth=1
	v_and_b32_e32 v9, 0xffff, v8
	v_or_b32_e32 v165, 0x10000, v8
	s_delay_alu instid0(VALU_DEP_2) | instskip(NEXT) | instid1(VALU_DEP_1)
	v_cmp_eq_u32_e64 s0, 0, v9
	v_cndmask_b32_e64 v165, v165, v8, s0
; %bb.1675:                             ;   in Loop: Header=BB398_803 Depth=1
	s_or_b32 exec_lo, exec_lo, s10
	v_lshrrev_b16 v9, 8, v11
	v_mov_b32_e32 v8, 0
	s_mov_b32 s10, exec_lo
	s_delay_alu instid0(VALU_DEP_2)
	v_cmpx_ne_u16_e32 0, v9
	s_cbranch_execz .LBB398_1683
; %bb.1676:                             ;   in Loop: Header=BB398_803 Depth=1
	v_bfrev_b32_e32 v8, 1
	s_mov_b32 s12, exec_lo
	v_cmpx_ne_u16_e32 0x80, v9
	s_cbranch_execz .LBB398_1682
; %bb.1677:                             ;   in Loop: Header=BB398_803 Depth=1
	v_and_b32_e32 v9, 0xffff, v9
	v_mov_b32_e32 v8, 0x7f800001
	s_mov_b32 s13, exec_lo
	s_delay_alu instid0(VALU_DEP_2) | instskip(NEXT) | instid1(VALU_DEP_1)
	v_and_b32_e32 v167, 0x7f, v9
	v_cmpx_ne_u32_e32 0x7f, v167
	s_cbranch_execz .LBB398_1681
; %bb.1678:                             ;   in Loop: Header=BB398_803 Depth=1
	v_dual_mov_b32 v9, v12 :: v_dual_and_b32 v8, 7, v9
	v_lshrrev_b32_e32 v166, 3, v167
	s_mov_b32 s15, exec_lo
	v_cmpx_gt_u32_e32 8, v167
; %bb.1679:                             ;   in Loop: Header=BB398_803 Depth=1
	s_delay_alu instid0(VALU_DEP_3) | instskip(NEXT) | instid1(VALU_DEP_1)
	v_clz_i32_u32_e32 v166, v8
	v_min_u32_e32 v166, 32, v166
	s_delay_alu instid0(VALU_DEP_1) | instskip(SKIP_1) | instid1(VALU_DEP_2)
	v_subrev_nc_u32_e32 v167, 28, v166
	v_sub_nc_u32_e32 v166, 29, v166
	v_lshlrev_b64 v[8:9], v167, v[8:9]
	s_delay_alu instid0(VALU_DEP_1)
	v_and_b32_e32 v8, 7, v8
; %bb.1680:                             ;   in Loop: Header=BB398_803 Depth=1
	s_or_b32 exec_lo, exec_lo, s15
	v_lshlrev_b32_e32 v9, 16, v11
	s_delay_alu instid0(VALU_DEP_2) | instskip(SKIP_1) | instid1(VALU_DEP_3)
	v_lshlrev_b32_e32 v8, 20, v8
	v_lshl_add_u32 v11, v166, 23, 0x3c000000
	v_and_b32_e32 v9, 0x80000000, v9
	s_delay_alu instid0(VALU_DEP_1)
	v_or3_b32 v8, v8, v9, v11
.LBB398_1681:                           ;   in Loop: Header=BB398_803 Depth=1
	s_or_b32 exec_lo, exec_lo, s13
.LBB398_1682:                           ;   in Loop: Header=BB398_803 Depth=1
	s_delay_alu instid0(SALU_CYCLE_1)
	s_or_b32 exec_lo, exec_lo, s12
.LBB398_1683:                           ;   in Loop: Header=BB398_803 Depth=1
	s_delay_alu instid0(SALU_CYCLE_1) | instskip(NEXT) | instid1(VALU_DEP_1)
	s_or_b32 exec_lo, exec_lo, s10
	v_mul_f32_e32 v9, v26, v8
	s_delay_alu instid0(VALU_DEP_1) | instskip(NEXT) | instid1(VALU_DEP_1)
	v_and_b32_e32 v8, 0x7f800000, v9
	v_cmp_ne_u32_e64 s0, 0x7f800000, v8
                                        ; implicit-def: $vgpr8
	s_delay_alu instid0(VALU_DEP_1) | instskip(NEXT) | instid1(SALU_CYCLE_1)
	s_and_saveexec_b32 s10, s0
	s_xor_b32 s0, exec_lo, s10
; %bb.1684:                             ;   in Loop: Header=BB398_803 Depth=1
	v_bfe_u32 v8, v9, 16, 1
	s_delay_alu instid0(VALU_DEP_1)
	v_add3_u32 v8, v9, v8, 0x7fff
                                        ; implicit-def: $vgpr9
; %bb.1685:                             ;   in Loop: Header=BB398_803 Depth=1
	s_and_not1_saveexec_b32 s10, s0
; %bb.1686:                             ;   in Loop: Header=BB398_803 Depth=1
	v_and_b32_e32 v8, 0xffff, v9
	v_or_b32_e32 v11, 0x10000, v9
	s_delay_alu instid0(VALU_DEP_2) | instskip(NEXT) | instid1(VALU_DEP_1)
	v_cmp_eq_u32_e64 s0, 0, v8
	v_cndmask_b32_e64 v8, v11, v9, s0
; %bb.1687:                             ;   in Loop: Header=BB398_803 Depth=1
	s_or_b32 exec_lo, exec_lo, s10
	v_lshrrev_b32_e32 v9, 16, v3
	s_mov_b32 s10, exec_lo
	s_delay_alu instid0(VALU_DEP_1) | instskip(NEXT) | instid1(VALU_DEP_1)
	v_dual_mov_b32 v11, 0 :: v_dual_and_b32 v166, 0xff, v9
	v_cmpx_ne_u16_e64 0, v166
	s_cbranch_execz .LBB398_1695
; %bb.1688:                             ;   in Loop: Header=BB398_803 Depth=1
	v_bfrev_b32_e32 v11, 1
	s_mov_b32 s12, exec_lo
	v_cmpx_ne_u16_e64 0x80, v166
	s_cbranch_execz .LBB398_1694
; %bb.1689:                             ;   in Loop: Header=BB398_803 Depth=1
	v_bfe_u32 v167, v3, 16, 7
	v_mov_b32_e32 v11, 0x7f800001
	s_mov_b32 s13, exec_lo
	s_delay_alu instid0(VALU_DEP_2)
	v_cmpx_ne_u32_e32 0x7f, v167
	s_cbranch_execz .LBB398_1693
; %bb.1690:                             ;   in Loop: Header=BB398_803 Depth=1
	v_and_b32_e32 v11, 7, v9
	v_lshrrev_b32_e32 v166, 3, v167
	s_mov_b32 s15, exec_lo
	v_cmpx_gt_u32_e32 8, v167
; %bb.1691:                             ;   in Loop: Header=BB398_803 Depth=1
	s_delay_alu instid0(VALU_DEP_3) | instskip(NEXT) | instid1(VALU_DEP_1)
	v_clz_i32_u32_e32 v166, v11
	v_min_u32_e32 v166, 32, v166
	s_delay_alu instid0(VALU_DEP_1) | instskip(SKIP_1) | instid1(VALU_DEP_2)
	v_subrev_nc_u32_e32 v167, 28, v166
	v_sub_nc_u32_e32 v166, 29, v166
	v_lshlrev_b64 v[176:177], v167, v[11:12]
	s_delay_alu instid0(VALU_DEP_1)
	v_and_b32_e32 v11, 7, v176
; %bb.1692:                             ;   in Loop: Header=BB398_803 Depth=1
	s_or_b32 exec_lo, exec_lo, s15
	v_lshlrev_b32_e32 v9, 24, v9
	s_delay_alu instid0(VALU_DEP_2) | instskip(SKIP_1) | instid1(VALU_DEP_3)
	v_lshlrev_b32_e32 v11, 20, v11
	v_lshl_add_u32 v166, v166, 23, 0x3c000000
	v_and_b32_e32 v9, 0x80000000, v9
	s_delay_alu instid0(VALU_DEP_1)
	v_or3_b32 v11, v11, v9, v166
.LBB398_1693:                           ;   in Loop: Header=BB398_803 Depth=1
	s_or_b32 exec_lo, exec_lo, s13
.LBB398_1694:                           ;   in Loop: Header=BB398_803 Depth=1
	s_delay_alu instid0(SALU_CYCLE_1)
	s_or_b32 exec_lo, exec_lo, s12
.LBB398_1695:                           ;   in Loop: Header=BB398_803 Depth=1
	s_delay_alu instid0(SALU_CYCLE_1) | instskip(NEXT) | instid1(VALU_DEP_1)
	s_or_b32 exec_lo, exec_lo, s10
	v_mul_f32_e32 v11, v26, v11
	s_delay_alu instid0(VALU_DEP_1) | instskip(NEXT) | instid1(VALU_DEP_1)
	v_and_b32_e32 v9, 0x7f800000, v11
	v_cmp_ne_u32_e64 s0, 0x7f800000, v9
                                        ; implicit-def: $vgpr9
	s_delay_alu instid0(VALU_DEP_1) | instskip(NEXT) | instid1(SALU_CYCLE_1)
	s_and_saveexec_b32 s10, s0
	s_xor_b32 s0, exec_lo, s10
; %bb.1696:                             ;   in Loop: Header=BB398_803 Depth=1
	v_bfe_u32 v9, v11, 16, 1
	s_delay_alu instid0(VALU_DEP_1)
	v_add3_u32 v9, v11, v9, 0x7fff
                                        ; implicit-def: $vgpr11
; %bb.1697:                             ;   in Loop: Header=BB398_803 Depth=1
	s_and_not1_saveexec_b32 s10, s0
; %bb.1698:                             ;   in Loop: Header=BB398_803 Depth=1
	v_and_b32_e32 v9, 0xffff, v11
	v_or_b32_e32 v166, 0x10000, v11
	s_delay_alu instid0(VALU_DEP_2) | instskip(NEXT) | instid1(VALU_DEP_1)
	v_cmp_eq_u32_e64 s0, 0, v9
	v_cndmask_b32_e64 v9, v166, v11, s0
; %bb.1699:                             ;   in Loop: Header=BB398_803 Depth=1
	s_or_b32 exec_lo, exec_lo, s10
	v_mov_b32_e32 v11, 0
	s_mov_b32 s10, exec_lo
	v_cmpx_lt_u64_e64 s[8:9], v[2:3]
	s_cbranch_execz .LBB398_1707
; %bb.1700:                             ;   in Loop: Header=BB398_803 Depth=1
	v_lshrrev_b32_e32 v2, 24, v3
	v_bfrev_b32_e32 v11, 1
	s_mov_b32 s12, exec_lo
	s_delay_alu instid0(VALU_DEP_2)
	v_cmpx_ne_u32_e32 0x80, v2
	s_cbranch_execz .LBB398_1706
; %bb.1701:                             ;   in Loop: Header=BB398_803 Depth=1
	v_bfe_u32 v166, v3, 24, 7
	v_mov_b32_e32 v11, 0x7f800001
	s_mov_b32 s13, exec_lo
	s_delay_alu instid0(VALU_DEP_2)
	v_cmpx_ne_u32_e32 0x7f, v166
	s_cbranch_execz .LBB398_1705
; %bb.1702:                             ;   in Loop: Header=BB398_803 Depth=1
	v_and_b32_e32 v11, 7, v2
	v_lshrrev_b32_e32 v3, 3, v166
	s_mov_b32 s15, exec_lo
	v_cmpx_gt_u32_e32 8, v166
; %bb.1703:                             ;   in Loop: Header=BB398_803 Depth=1
	s_delay_alu instid0(VALU_DEP_3) | instskip(NEXT) | instid1(VALU_DEP_1)
	v_clz_i32_u32_e32 v3, v11
	v_min_u32_e32 v3, 32, v3
	s_delay_alu instid0(VALU_DEP_1) | instskip(SKIP_1) | instid1(VALU_DEP_2)
	v_subrev_nc_u32_e32 v166, 28, v3
	v_sub_nc_u32_e32 v3, 29, v3
	v_lshlrev_b64 v[166:167], v166, v[11:12]
	s_delay_alu instid0(VALU_DEP_1)
	v_and_b32_e32 v11, 7, v166
; %bb.1704:                             ;   in Loop: Header=BB398_803 Depth=1
	s_or_b32 exec_lo, exec_lo, s15
	v_lshlrev_b32_e32 v2, 24, v2
	s_delay_alu instid0(VALU_DEP_2) | instskip(SKIP_1) | instid1(VALU_DEP_3)
	v_lshlrev_b32_e32 v11, 20, v11
	v_lshl_add_u32 v3, v3, 23, 0x3c000000
	v_and_b32_e32 v2, 0x80000000, v2
	s_delay_alu instid0(VALU_DEP_1)
	v_or3_b32 v11, v11, v2, v3
.LBB398_1705:                           ;   in Loop: Header=BB398_803 Depth=1
	s_or_b32 exec_lo, exec_lo, s13
.LBB398_1706:                           ;   in Loop: Header=BB398_803 Depth=1
	s_delay_alu instid0(SALU_CYCLE_1)
	s_or_b32 exec_lo, exec_lo, s12
.LBB398_1707:                           ;   in Loop: Header=BB398_803 Depth=1
	s_delay_alu instid0(SALU_CYCLE_1) | instskip(NEXT) | instid1(VALU_DEP_1)
	s_or_b32 exec_lo, exec_lo, s10
	v_mul_f32_e32 v3, v26, v11
	s_delay_alu instid0(VALU_DEP_1) | instskip(NEXT) | instid1(VALU_DEP_1)
	v_and_b32_e32 v2, 0x7f800000, v3
	v_cmp_ne_u32_e64 s0, 0x7f800000, v2
                                        ; implicit-def: $vgpr2
	s_delay_alu instid0(VALU_DEP_1) | instskip(NEXT) | instid1(SALU_CYCLE_1)
	s_and_saveexec_b32 s10, s0
	s_xor_b32 s0, exec_lo, s10
; %bb.1708:                             ;   in Loop: Header=BB398_803 Depth=1
	v_bfe_u32 v2, v3, 16, 1
	s_delay_alu instid0(VALU_DEP_1)
	v_add3_u32 v2, v3, v2, 0x7fff
                                        ; implicit-def: $vgpr3
; %bb.1709:                             ;   in Loop: Header=BB398_803 Depth=1
	s_and_not1_saveexec_b32 s10, s0
; %bb.1710:                             ;   in Loop: Header=BB398_803 Depth=1
	v_and_b32_e32 v2, 0xffff, v3
	v_or_b32_e32 v11, 0x10000, v3
	s_delay_alu instid0(VALU_DEP_2) | instskip(NEXT) | instid1(VALU_DEP_1)
	v_cmp_eq_u32_e64 s0, 0, v2
	v_cndmask_b32_e64 v2, v11, v3, s0
; %bb.1711:                             ;   in Loop: Header=BB398_803 Depth=1
	s_or_b32 exec_lo, exec_lo, s10
	v_lshrrev_b32_e32 v11, 16, v8
	v_lshrrev_b32_e32 v165, 16, v165
	;; [unrolled: 1-line block ×8, first 2 shown]
	s_and_saveexec_b32 s10, vcc_lo
	s_cbranch_execz .LBB398_1713
; %bb.1712:                             ;   in Loop: Header=BB398_803 Depth=1
	v_cmp_lt_i32_e64 s0, v50, v32
	s_delay_alu instid0(VALU_DEP_1) | instskip(SKIP_1) | instid1(VALU_DEP_1)
	v_cndmask_b32_e64 v8, 0, v8, s0
	v_cmp_lt_i32_e64 s0, v64, v32
	v_cndmask_b32_e64 v162, 0, v162, s0
	v_cmp_lt_i32_e64 s0, v55, v32
	s_delay_alu instid0(VALU_DEP_1) | instskip(SKIP_1) | instid1(VALU_DEP_1)
	v_cndmask_b32_e64 v163, 0, v163, s0
	v_cmp_lt_i32_e64 s0, v54, v32
	v_cndmask_b32_e64 v164, 0, v164, s0
	;; [unrolled: 5-line block ×4, first 2 shown]
.LBB398_1713:                           ;   in Loop: Header=BB398_803 Depth=1
	s_or_b32 exec_lo, exec_lo, s10
	v_lshlrev_b32_e32 v8, 16, v8
	s_delay_alu instid0(VALU_DEP_1) | instskip(NEXT) | instid1(VALU_DEP_1)
	v_mul_f32_e32 v9, v65, v8
	v_and_b32_e32 v8, 0x7f800000, v9
	s_delay_alu instid0(VALU_DEP_1) | instskip(NEXT) | instid1(VALU_DEP_1)
	v_cmp_ne_u32_e64 s0, 0x7f800000, v8
                                        ; implicit-def: $vgpr8
	s_and_saveexec_b32 s10, s0
	s_delay_alu instid0(SALU_CYCLE_1)
	s_xor_b32 s0, exec_lo, s10
; %bb.1714:                             ;   in Loop: Header=BB398_803 Depth=1
	v_bfe_u32 v8, v9, 16, 1
	s_delay_alu instid0(VALU_DEP_1)
	v_add3_u32 v8, v9, v8, 0x7fff
                                        ; implicit-def: $vgpr9
; %bb.1715:                             ;   in Loop: Header=BB398_803 Depth=1
	s_and_not1_saveexec_b32 s10, s0
; %bb.1716:                             ;   in Loop: Header=BB398_803 Depth=1
	v_and_b32_e32 v8, 0xffff, v9
	v_or_b32_e32 v161, 0x10000, v9
	s_delay_alu instid0(VALU_DEP_2) | instskip(NEXT) | instid1(VALU_DEP_1)
	v_cmp_eq_u32_e64 s0, 0, v8
	v_cndmask_b32_e64 v8, v161, v9, s0
; %bb.1717:                             ;   in Loop: Header=BB398_803 Depth=1
	s_or_b32 exec_lo, exec_lo, s10
	v_lshlrev_b32_e32 v9, 16, v162
	s_delay_alu instid0(VALU_DEP_1) | instskip(NEXT) | instid1(VALU_DEP_1)
	v_mul_f32_e32 v161, v66, v9
	v_and_b32_e32 v9, 0x7f800000, v161
	s_delay_alu instid0(VALU_DEP_1) | instskip(NEXT) | instid1(VALU_DEP_1)
	v_cmp_ne_u32_e64 s0, 0x7f800000, v9
                                        ; implicit-def: $vgpr9
	s_and_saveexec_b32 s10, s0
	s_delay_alu instid0(SALU_CYCLE_1)
	s_xor_b32 s0, exec_lo, s10
; %bb.1718:                             ;   in Loop: Header=BB398_803 Depth=1
	v_bfe_u32 v9, v161, 16, 1
	s_delay_alu instid0(VALU_DEP_1)
	v_add3_u32 v9, v161, v9, 0x7fff
                                        ; implicit-def: $vgpr161
; %bb.1719:                             ;   in Loop: Header=BB398_803 Depth=1
	s_and_not1_saveexec_b32 s10, s0
; %bb.1720:                             ;   in Loop: Header=BB398_803 Depth=1
	v_and_b32_e32 v9, 0xffff, v161
	v_or_b32_e32 v162, 0x10000, v161
	s_delay_alu instid0(VALU_DEP_2) | instskip(NEXT) | instid1(VALU_DEP_1)
	v_cmp_eq_u32_e64 s0, 0, v9
	v_cndmask_b32_e64 v9, v162, v161, s0
; %bb.1721:                             ;   in Loop: Header=BB398_803 Depth=1
	s_or_b32 exec_lo, exec_lo, s10
	v_lshlrev_b32_e32 v161, 16, v163
	s_delay_alu instid0(VALU_DEP_1) | instskip(NEXT) | instid1(VALU_DEP_1)
	v_mul_f32_e32 v162, v67, v161
	v_and_b32_e32 v161, 0x7f800000, v162
	s_delay_alu instid0(VALU_DEP_1) | instskip(NEXT) | instid1(VALU_DEP_1)
	v_cmp_ne_u32_e64 s0, 0x7f800000, v161
                                        ; implicit-def: $vgpr161
	s_and_saveexec_b32 s10, s0
	s_delay_alu instid0(SALU_CYCLE_1)
	s_xor_b32 s0, exec_lo, s10
; %bb.1722:                             ;   in Loop: Header=BB398_803 Depth=1
	v_bfe_u32 v161, v162, 16, 1
	s_delay_alu instid0(VALU_DEP_1)
	v_add3_u32 v161, v162, v161, 0x7fff
                                        ; implicit-def: $vgpr162
; %bb.1723:                             ;   in Loop: Header=BB398_803 Depth=1
	s_and_not1_saveexec_b32 s10, s0
; %bb.1724:                             ;   in Loop: Header=BB398_803 Depth=1
	v_and_b32_e32 v161, 0xffff, v162
	v_or_b32_e32 v163, 0x10000, v162
	s_delay_alu instid0(VALU_DEP_2) | instskip(NEXT) | instid1(VALU_DEP_1)
	v_cmp_eq_u32_e64 s0, 0, v161
	v_cndmask_b32_e64 v161, v163, v162, s0
; %bb.1725:                             ;   in Loop: Header=BB398_803 Depth=1
	s_or_b32 exec_lo, exec_lo, s10
	v_lshlrev_b32_e32 v162, 16, v164
	s_delay_alu instid0(VALU_DEP_1) | instskip(NEXT) | instid1(VALU_DEP_1)
	v_mul_f32_e32 v163, v68, v162
	v_and_b32_e32 v162, 0x7f800000, v163
	s_delay_alu instid0(VALU_DEP_1) | instskip(NEXT) | instid1(VALU_DEP_1)
	v_cmp_ne_u32_e64 s0, 0x7f800000, v162
                                        ; implicit-def: $vgpr162
	s_and_saveexec_b32 s10, s0
	s_delay_alu instid0(SALU_CYCLE_1)
	s_xor_b32 s0, exec_lo, s10
; %bb.1726:                             ;   in Loop: Header=BB398_803 Depth=1
	v_bfe_u32 v162, v163, 16, 1
	s_delay_alu instid0(VALU_DEP_1)
	v_add3_u32 v162, v163, v162, 0x7fff
                                        ; implicit-def: $vgpr163
; %bb.1727:                             ;   in Loop: Header=BB398_803 Depth=1
	s_and_not1_saveexec_b32 s10, s0
; %bb.1728:                             ;   in Loop: Header=BB398_803 Depth=1
	v_and_b32_e32 v162, 0xffff, v163
	v_or_b32_e32 v164, 0x10000, v163
	s_delay_alu instid0(VALU_DEP_2) | instskip(NEXT) | instid1(VALU_DEP_1)
	v_cmp_eq_u32_e64 s0, 0, v162
	v_cndmask_b32_e64 v162, v164, v163, s0
; %bb.1729:                             ;   in Loop: Header=BB398_803 Depth=1
	s_or_b32 exec_lo, exec_lo, s10
	v_lshlrev_b32_e32 v163, 16, v165
	s_delay_alu instid0(VALU_DEP_1) | instskip(NEXT) | instid1(VALU_DEP_1)
	v_mul_f32_e32 v164, v69, v163
	v_and_b32_e32 v163, 0x7f800000, v164
	s_delay_alu instid0(VALU_DEP_1) | instskip(NEXT) | instid1(VALU_DEP_1)
	v_cmp_ne_u32_e64 s0, 0x7f800000, v163
                                        ; implicit-def: $vgpr163
	s_and_saveexec_b32 s10, s0
	s_delay_alu instid0(SALU_CYCLE_1)
	s_xor_b32 s0, exec_lo, s10
; %bb.1730:                             ;   in Loop: Header=BB398_803 Depth=1
	v_bfe_u32 v163, v164, 16, 1
	s_delay_alu instid0(VALU_DEP_1)
	v_add3_u32 v163, v164, v163, 0x7fff
                                        ; implicit-def: $vgpr164
; %bb.1731:                             ;   in Loop: Header=BB398_803 Depth=1
	s_and_not1_saveexec_b32 s10, s0
; %bb.1732:                             ;   in Loop: Header=BB398_803 Depth=1
	v_and_b32_e32 v163, 0xffff, v164
	v_or_b32_e32 v165, 0x10000, v164
	s_delay_alu instid0(VALU_DEP_2) | instskip(NEXT) | instid1(VALU_DEP_1)
	v_cmp_eq_u32_e64 s0, 0, v163
	v_cndmask_b32_e64 v163, v165, v164, s0
; %bb.1733:                             ;   in Loop: Header=BB398_803 Depth=1
	s_or_b32 exec_lo, exec_lo, s10
	v_lshlrev_b32_e32 v11, 16, v11
	s_delay_alu instid0(VALU_DEP_1) | instskip(NEXT) | instid1(VALU_DEP_1)
	v_mul_f32_e32 v11, v70, v11
	v_and_b32_e32 v164, 0x7f800000, v11
	s_delay_alu instid0(VALU_DEP_1) | instskip(NEXT) | instid1(VALU_DEP_1)
	v_cmp_ne_u32_e64 s0, 0x7f800000, v164
                                        ; implicit-def: $vgpr164
	s_and_saveexec_b32 s10, s0
	s_delay_alu instid0(SALU_CYCLE_1)
	s_xor_b32 s0, exec_lo, s10
; %bb.1734:                             ;   in Loop: Header=BB398_803 Depth=1
	v_bfe_u32 v164, v11, 16, 1
	s_delay_alu instid0(VALU_DEP_1)
	v_add3_u32 v164, v11, v164, 0x7fff
                                        ; implicit-def: $vgpr11
; %bb.1735:                             ;   in Loop: Header=BB398_803 Depth=1
	s_and_not1_saveexec_b32 s10, s0
; %bb.1736:                             ;   in Loop: Header=BB398_803 Depth=1
	v_and_b32_e32 v164, 0xffff, v11
	v_or_b32_e32 v165, 0x10000, v11
	s_delay_alu instid0(VALU_DEP_2) | instskip(NEXT) | instid1(VALU_DEP_1)
	v_cmp_eq_u32_e64 s0, 0, v164
	v_cndmask_b32_e64 v164, v165, v11, s0
; %bb.1737:                             ;   in Loop: Header=BB398_803 Depth=1
	s_or_b32 exec_lo, exec_lo, s10
	v_lshlrev_b32_e32 v3, 16, v3
                                        ; implicit-def: $vgpr165
	s_delay_alu instid0(VALU_DEP_1) | instskip(NEXT) | instid1(VALU_DEP_1)
	v_mul_f32_e32 v3, v71, v3
	v_and_b32_e32 v11, 0x7f800000, v3
	s_delay_alu instid0(VALU_DEP_1) | instskip(NEXT) | instid1(VALU_DEP_1)
	v_cmp_ne_u32_e64 s0, 0x7f800000, v11
	s_and_saveexec_b32 s10, s0
	s_delay_alu instid0(SALU_CYCLE_1)
	s_xor_b32 s0, exec_lo, s10
; %bb.1738:                             ;   in Loop: Header=BB398_803 Depth=1
	v_bfe_u32 v11, v3, 16, 1
	s_delay_alu instid0(VALU_DEP_1)
	v_add3_u32 v165, v3, v11, 0x7fff
                                        ; implicit-def: $vgpr3
; %bb.1739:                             ;   in Loop: Header=BB398_803 Depth=1
	s_and_not1_saveexec_b32 s10, s0
; %bb.1740:                             ;   in Loop: Header=BB398_803 Depth=1
	v_and_b32_e32 v11, 0xffff, v3
	v_or_b32_e32 v165, 0x10000, v3
	s_delay_alu instid0(VALU_DEP_2) | instskip(NEXT) | instid1(VALU_DEP_1)
	v_cmp_eq_u32_e64 s0, 0, v11
	v_cndmask_b32_e64 v165, v165, v3, s0
; %bb.1741:                             ;   in Loop: Header=BB398_803 Depth=1
	s_or_b32 exec_lo, exec_lo, s10
	v_lshlrev_b32_e32 v2, 16, v2
                                        ; implicit-def: $vgpr166
	s_delay_alu instid0(VALU_DEP_1) | instskip(NEXT) | instid1(VALU_DEP_1)
	v_mul_f32_e32 v2, v80, v2
	v_and_b32_e32 v3, 0x7f800000, v2
	s_delay_alu instid0(VALU_DEP_1) | instskip(NEXT) | instid1(VALU_DEP_1)
	v_cmp_ne_u32_e64 s0, 0x7f800000, v3
	s_and_saveexec_b32 s10, s0
	s_delay_alu instid0(SALU_CYCLE_1)
	s_xor_b32 s0, exec_lo, s10
; %bb.1742:                             ;   in Loop: Header=BB398_803 Depth=1
	v_bfe_u32 v3, v2, 16, 1
	s_delay_alu instid0(VALU_DEP_1)
	v_add3_u32 v166, v2, v3, 0x7fff
                                        ; implicit-def: $vgpr2
; %bb.1743:                             ;   in Loop: Header=BB398_803 Depth=1
	s_and_not1_saveexec_b32 s10, s0
; %bb.1744:                             ;   in Loop: Header=BB398_803 Depth=1
	v_and_b32_e32 v3, 0xffff, v2
	v_or_b32_e32 v11, 0x10000, v2
	s_delay_alu instid0(VALU_DEP_2) | instskip(NEXT) | instid1(VALU_DEP_1)
	v_cmp_eq_u32_e64 s0, 0, v3
	v_cndmask_b32_e64 v166, v11, v2, s0
; %bb.1745:                             ;   in Loop: Header=BB398_803 Depth=1
	s_or_b32 exec_lo, exec_lo, s10
	flat_load_b64 v[0:1], v[0:1] offset:1792
	s_mov_b32 s10, exec_lo
	s_waitcnt vmcnt(0) lgkmcnt(0)
	v_dual_mov_b32 v2, 0 :: v_dual_and_b32 v3, 0xff, v0
	s_delay_alu instid0(VALU_DEP_1)
	v_cmpx_ne_u16_e32 0, v3
	s_cbranch_execz .LBB398_1753
; %bb.1746:                             ;   in Loop: Header=BB398_803 Depth=1
	v_bfrev_b32_e32 v2, 1
	s_mov_b32 s12, exec_lo
	v_cmpx_ne_u16_e32 0x80, v3
	s_cbranch_execz .LBB398_1752
; %bb.1747:                             ;   in Loop: Header=BB398_803 Depth=1
	v_and_b32_e32 v3, 0x7f, v0
	v_mov_b32_e32 v2, 0x7f800001
	s_mov_b32 s13, exec_lo
	s_delay_alu instid0(VALU_DEP_2)
	v_cmpx_ne_u32_e32 0x7f, v3
	s_cbranch_execz .LBB398_1751
; %bb.1748:                             ;   in Loop: Header=BB398_803 Depth=1
	v_lshrrev_b32_e32 v11, 3, v3
	v_cmp_gt_u32_e64 s0, 8, v3
	v_dual_mov_b32 v3, v1 :: v_dual_mov_b32 v2, v0
	s_delay_alu instid0(VALU_DEP_2)
	s_and_saveexec_b32 s15, s0
; %bb.1749:                             ;   in Loop: Header=BB398_803 Depth=1
	v_and_b32_e32 v2, 7, v0
	s_delay_alu instid0(VALU_DEP_1) | instskip(NEXT) | instid1(VALU_DEP_1)
	v_clz_i32_u32_e32 v2, v2
	v_min_u32_e32 v11, 32, v2
	s_delay_alu instid0(VALU_DEP_1) | instskip(SKIP_1) | instid1(VALU_DEP_2)
	v_subrev_nc_u32_e32 v2, 28, v11
	v_sub_nc_u32_e32 v11, 29, v11
	v_lshlrev_b64 v[2:3], v2, v[0:1]
; %bb.1750:                             ;   in Loop: Header=BB398_803 Depth=1
	s_or_b32 exec_lo, exec_lo, s15
	s_delay_alu instid0(VALU_DEP_1) | instskip(SKIP_2) | instid1(VALU_DEP_3)
	v_lshlrev_b32_e32 v2, 20, v2
	v_lshlrev_b32_e32 v3, 24, v0
	v_lshl_add_u32 v11, v11, 23, 0x3c000000
	v_and_b32_e32 v2, 0x700000, v2
	s_delay_alu instid0(VALU_DEP_3) | instskip(NEXT) | instid1(VALU_DEP_1)
	v_and_b32_e32 v3, 0x80000000, v3
	v_or3_b32 v2, v2, v3, v11
.LBB398_1751:                           ;   in Loop: Header=BB398_803 Depth=1
	s_or_b32 exec_lo, exec_lo, s13
.LBB398_1752:                           ;   in Loop: Header=BB398_803 Depth=1
	s_delay_alu instid0(SALU_CYCLE_1)
	s_or_b32 exec_lo, exec_lo, s12
.LBB398_1753:                           ;   in Loop: Header=BB398_803 Depth=1
	s_delay_alu instid0(SALU_CYCLE_1) | instskip(NEXT) | instid1(VALU_DEP_1)
	s_or_b32 exec_lo, exec_lo, s10
	v_mul_f32_e32 v2, v26, v2
                                        ; implicit-def: $vgpr167
	s_delay_alu instid0(VALU_DEP_1) | instskip(NEXT) | instid1(VALU_DEP_1)
	v_and_b32_e32 v3, 0x7f800000, v2
	v_cmp_ne_u32_e64 s0, 0x7f800000, v3
	s_delay_alu instid0(VALU_DEP_1) | instskip(NEXT) | instid1(SALU_CYCLE_1)
	s_and_saveexec_b32 s10, s0
	s_xor_b32 s0, exec_lo, s10
; %bb.1754:                             ;   in Loop: Header=BB398_803 Depth=1
	v_bfe_u32 v3, v2, 16, 1
	s_delay_alu instid0(VALU_DEP_1)
	v_add3_u32 v167, v2, v3, 0x7fff
                                        ; implicit-def: $vgpr2
; %bb.1755:                             ;   in Loop: Header=BB398_803 Depth=1
	s_and_not1_saveexec_b32 s10, s0
; %bb.1756:                             ;   in Loop: Header=BB398_803 Depth=1
	v_and_b32_e32 v3, 0xffff, v2
	v_or_b32_e32 v11, 0x10000, v2
	s_delay_alu instid0(VALU_DEP_2) | instskip(NEXT) | instid1(VALU_DEP_1)
	v_cmp_eq_u32_e64 s0, 0, v3
	v_cndmask_b32_e64 v167, v11, v2, s0
; %bb.1757:                             ;   in Loop: Header=BB398_803 Depth=1
	s_or_b32 exec_lo, exec_lo, s10
	v_lshrrev_b16 v3, 8, v0
	v_mov_b32_e32 v2, 0
	s_mov_b32 s10, exec_lo
	s_delay_alu instid0(VALU_DEP_2)
	v_cmpx_ne_u16_e32 0, v3
	s_cbranch_execz .LBB398_1765
; %bb.1758:                             ;   in Loop: Header=BB398_803 Depth=1
	v_bfrev_b32_e32 v2, 1
	s_mov_b32 s12, exec_lo
	v_cmpx_ne_u16_e32 0x80, v3
	s_cbranch_execz .LBB398_1764
; %bb.1759:                             ;   in Loop: Header=BB398_803 Depth=1
	v_and_b32_e32 v11, 0xffff, v3
	v_mov_b32_e32 v2, 0x7f800001
	s_mov_b32 s13, exec_lo
	s_delay_alu instid0(VALU_DEP_2) | instskip(NEXT) | instid1(VALU_DEP_1)
	v_and_b32_e32 v3, 0x7f, v11
	v_cmpx_ne_u32_e32 0x7f, v3
	s_cbranch_execz .LBB398_1763
; %bb.1760:                             ;   in Loop: Header=BB398_803 Depth=1
	v_and_b32_e32 v11, 7, v11
	v_lshrrev_b32_e32 v2, 3, v3
	s_mov_b32 s15, exec_lo
	v_cmpx_gt_u32_e32 8, v3
; %bb.1761:                             ;   in Loop: Header=BB398_803 Depth=1
	s_delay_alu instid0(VALU_DEP_3) | instskip(NEXT) | instid1(VALU_DEP_1)
	v_clz_i32_u32_e32 v2, v11
	v_min_u32_e32 v2, 32, v2
	s_delay_alu instid0(VALU_DEP_1) | instskip(SKIP_1) | instid1(VALU_DEP_2)
	v_subrev_nc_u32_e32 v3, 28, v2
	v_sub_nc_u32_e32 v2, 29, v2
	v_lshlrev_b64 v[176:177], v3, v[11:12]
	s_delay_alu instid0(VALU_DEP_1)
	v_and_b32_e32 v11, 7, v176
; %bb.1762:                             ;   in Loop: Header=BB398_803 Depth=1
	s_or_b32 exec_lo, exec_lo, s15
	v_lshlrev_b32_e32 v3, 16, v0
	s_delay_alu instid0(VALU_DEP_2) | instskip(SKIP_1) | instid1(VALU_DEP_3)
	v_lshlrev_b32_e32 v11, 20, v11
	v_lshl_add_u32 v2, v2, 23, 0x3c000000
	v_and_b32_e32 v3, 0x80000000, v3
	s_delay_alu instid0(VALU_DEP_1)
	v_or3_b32 v2, v11, v3, v2
.LBB398_1763:                           ;   in Loop: Header=BB398_803 Depth=1
	s_or_b32 exec_lo, exec_lo, s13
.LBB398_1764:                           ;   in Loop: Header=BB398_803 Depth=1
	s_delay_alu instid0(SALU_CYCLE_1)
	s_or_b32 exec_lo, exec_lo, s12
.LBB398_1765:                           ;   in Loop: Header=BB398_803 Depth=1
	s_delay_alu instid0(SALU_CYCLE_1) | instskip(NEXT) | instid1(VALU_DEP_1)
	s_or_b32 exec_lo, exec_lo, s10
	v_mul_f32_e32 v2, v26, v2
                                        ; implicit-def: $vgpr176
	s_delay_alu instid0(VALU_DEP_1) | instskip(NEXT) | instid1(VALU_DEP_1)
	v_and_b32_e32 v3, 0x7f800000, v2
	v_cmp_ne_u32_e64 s0, 0x7f800000, v3
	s_delay_alu instid0(VALU_DEP_1) | instskip(NEXT) | instid1(SALU_CYCLE_1)
	s_and_saveexec_b32 s10, s0
	s_xor_b32 s0, exec_lo, s10
; %bb.1766:                             ;   in Loop: Header=BB398_803 Depth=1
	v_bfe_u32 v3, v2, 16, 1
	s_delay_alu instid0(VALU_DEP_1)
	v_add3_u32 v176, v2, v3, 0x7fff
                                        ; implicit-def: $vgpr2
; %bb.1767:                             ;   in Loop: Header=BB398_803 Depth=1
	s_and_not1_saveexec_b32 s10, s0
; %bb.1768:                             ;   in Loop: Header=BB398_803 Depth=1
	v_and_b32_e32 v3, 0xffff, v2
	v_or_b32_e32 v11, 0x10000, v2
	s_delay_alu instid0(VALU_DEP_2) | instskip(NEXT) | instid1(VALU_DEP_1)
	v_cmp_eq_u32_e64 s0, 0, v3
	v_cndmask_b32_e64 v176, v11, v2, s0
; %bb.1769:                             ;   in Loop: Header=BB398_803 Depth=1
	s_or_b32 exec_lo, exec_lo, s10
	v_lshrrev_b32_e32 v2, 16, v0
	v_mov_b32_e32 v3, 0
	s_mov_b32 s10, exec_lo
	s_delay_alu instid0(VALU_DEP_2) | instskip(NEXT) | instid1(VALU_DEP_1)
	v_and_b32_e32 v11, 0xff, v2
	v_cmpx_ne_u16_e32 0, v11
	s_cbranch_execz .LBB398_1777
; %bb.1770:                             ;   in Loop: Header=BB398_803 Depth=1
	v_bfrev_b32_e32 v3, 1
	s_mov_b32 s12, exec_lo
	v_cmpx_ne_u16_e32 0x80, v11
	s_cbranch_execz .LBB398_1776
; %bb.1771:                             ;   in Loop: Header=BB398_803 Depth=1
	v_bfe_u32 v177, v0, 16, 7
	v_mov_b32_e32 v3, 0x7f800001
	s_mov_b32 s13, exec_lo
	s_delay_alu instid0(VALU_DEP_2)
	v_cmpx_ne_u32_e32 0x7f, v177
	s_cbranch_execz .LBB398_1775
; %bb.1772:                             ;   in Loop: Header=BB398_803 Depth=1
	v_and_b32_e32 v11, 7, v2
	v_lshrrev_b32_e32 v3, 3, v177
	s_mov_b32 s15, exec_lo
	v_cmpx_gt_u32_e32 8, v177
; %bb.1773:                             ;   in Loop: Header=BB398_803 Depth=1
	s_delay_alu instid0(VALU_DEP_3) | instskip(NEXT) | instid1(VALU_DEP_1)
	v_clz_i32_u32_e32 v3, v11
	v_min_u32_e32 v3, 32, v3
	s_delay_alu instid0(VALU_DEP_1) | instskip(SKIP_1) | instid1(VALU_DEP_2)
	v_subrev_nc_u32_e32 v177, 28, v3
	v_sub_nc_u32_e32 v3, 29, v3
	v_lshlrev_b64 v[177:178], v177, v[11:12]
	s_delay_alu instid0(VALU_DEP_1)
	v_and_b32_e32 v11, 7, v177
; %bb.1774:                             ;   in Loop: Header=BB398_803 Depth=1
	s_or_b32 exec_lo, exec_lo, s15
	v_lshlrev_b32_e32 v2, 24, v2
	s_delay_alu instid0(VALU_DEP_2) | instskip(SKIP_1) | instid1(VALU_DEP_3)
	v_lshlrev_b32_e32 v11, 20, v11
	v_lshl_add_u32 v3, v3, 23, 0x3c000000
	v_and_b32_e32 v2, 0x80000000, v2
	s_delay_alu instid0(VALU_DEP_1)
	v_or3_b32 v3, v11, v2, v3
.LBB398_1775:                           ;   in Loop: Header=BB398_803 Depth=1
	s_or_b32 exec_lo, exec_lo, s13
.LBB398_1776:                           ;   in Loop: Header=BB398_803 Depth=1
	s_delay_alu instid0(SALU_CYCLE_1)
	s_or_b32 exec_lo, exec_lo, s12
.LBB398_1777:                           ;   in Loop: Header=BB398_803 Depth=1
	s_delay_alu instid0(SALU_CYCLE_1) | instskip(NEXT) | instid1(VALU_DEP_1)
	s_or_b32 exec_lo, exec_lo, s10
	v_mul_f32_e32 v2, v26, v3
                                        ; implicit-def: $vgpr177
	s_delay_alu instid0(VALU_DEP_1) | instskip(NEXT) | instid1(VALU_DEP_1)
	v_and_b32_e32 v3, 0x7f800000, v2
	v_cmp_ne_u32_e64 s0, 0x7f800000, v3
	s_delay_alu instid0(VALU_DEP_1) | instskip(NEXT) | instid1(SALU_CYCLE_1)
	s_and_saveexec_b32 s10, s0
	s_xor_b32 s0, exec_lo, s10
; %bb.1778:                             ;   in Loop: Header=BB398_803 Depth=1
	v_bfe_u32 v3, v2, 16, 1
	s_delay_alu instid0(VALU_DEP_1)
	v_add3_u32 v177, v2, v3, 0x7fff
                                        ; implicit-def: $vgpr2
; %bb.1779:                             ;   in Loop: Header=BB398_803 Depth=1
	s_and_not1_saveexec_b32 s10, s0
; %bb.1780:                             ;   in Loop: Header=BB398_803 Depth=1
	v_and_b32_e32 v3, 0xffff, v2
	v_or_b32_e32 v11, 0x10000, v2
	s_delay_alu instid0(VALU_DEP_2) | instskip(NEXT) | instid1(VALU_DEP_1)
	v_cmp_eq_u32_e64 s0, 0, v3
	v_cndmask_b32_e64 v177, v11, v2, s0
; %bb.1781:                             ;   in Loop: Header=BB398_803 Depth=1
	s_or_b32 exec_lo, exec_lo, s10
	v_mov_b32_e32 v3, 0
	s_mov_b32 s10, exec_lo
	v_cmpx_lt_u32_e32 0xffffff, v0
	s_cbranch_execz .LBB398_1789
; %bb.1782:                             ;   in Loop: Header=BB398_803 Depth=1
	v_lshrrev_b32_e32 v2, 24, v0
	v_bfrev_b32_e32 v3, 1
	s_mov_b32 s12, exec_lo
	s_delay_alu instid0(VALU_DEP_2)
	v_cmpx_ne_u32_e32 0x80, v2
	s_cbranch_execz .LBB398_1788
; %bb.1783:                             ;   in Loop: Header=BB398_803 Depth=1
	v_bfe_u32 v178, v0, 24, 7
	v_mov_b32_e32 v3, 0x7f800001
	s_mov_b32 s13, exec_lo
	s_delay_alu instid0(VALU_DEP_2)
	v_cmpx_ne_u32_e32 0x7f, v178
	s_cbranch_execz .LBB398_1787
; %bb.1784:                             ;   in Loop: Header=BB398_803 Depth=1
	v_and_b32_e32 v11, 7, v2
	v_lshrrev_b32_e32 v3, 3, v178
	s_mov_b32 s15, exec_lo
	v_cmpx_gt_u32_e32 8, v178
; %bb.1785:                             ;   in Loop: Header=BB398_803 Depth=1
	s_delay_alu instid0(VALU_DEP_3) | instskip(NEXT) | instid1(VALU_DEP_1)
	v_clz_i32_u32_e32 v3, v11
	v_min_u32_e32 v3, 32, v3
	s_delay_alu instid0(VALU_DEP_1) | instskip(SKIP_1) | instid1(VALU_DEP_2)
	v_subrev_nc_u32_e32 v178, 28, v3
	v_sub_nc_u32_e32 v3, 29, v3
	v_lshlrev_b64 v[178:179], v178, v[11:12]
	s_delay_alu instid0(VALU_DEP_1)
	v_and_b32_e32 v11, 7, v178
; %bb.1786:                             ;   in Loop: Header=BB398_803 Depth=1
	s_or_b32 exec_lo, exec_lo, s15
	v_lshlrev_b32_e32 v2, 24, v2
	s_delay_alu instid0(VALU_DEP_2) | instskip(SKIP_1) | instid1(VALU_DEP_3)
	v_lshlrev_b32_e32 v11, 20, v11
	v_lshl_add_u32 v3, v3, 23, 0x3c000000
	v_and_b32_e32 v2, 0x80000000, v2
	s_delay_alu instid0(VALU_DEP_1)
	v_or3_b32 v3, v11, v2, v3
.LBB398_1787:                           ;   in Loop: Header=BB398_803 Depth=1
	s_or_b32 exec_lo, exec_lo, s13
.LBB398_1788:                           ;   in Loop: Header=BB398_803 Depth=1
	s_delay_alu instid0(SALU_CYCLE_1)
	s_or_b32 exec_lo, exec_lo, s12
.LBB398_1789:                           ;   in Loop: Header=BB398_803 Depth=1
	s_delay_alu instid0(SALU_CYCLE_1) | instskip(NEXT) | instid1(VALU_DEP_1)
	s_or_b32 exec_lo, exec_lo, s10
	v_mul_f32_e32 v2, v26, v3
                                        ; implicit-def: $vgpr178
	s_delay_alu instid0(VALU_DEP_1) | instskip(NEXT) | instid1(VALU_DEP_1)
	v_and_b32_e32 v3, 0x7f800000, v2
	v_cmp_ne_u32_e64 s0, 0x7f800000, v3
	s_delay_alu instid0(VALU_DEP_1) | instskip(NEXT) | instid1(SALU_CYCLE_1)
	s_and_saveexec_b32 s10, s0
	s_xor_b32 s0, exec_lo, s10
; %bb.1790:                             ;   in Loop: Header=BB398_803 Depth=1
	v_bfe_u32 v3, v2, 16, 1
	s_delay_alu instid0(VALU_DEP_1)
	v_add3_u32 v178, v2, v3, 0x7fff
                                        ; implicit-def: $vgpr2
; %bb.1791:                             ;   in Loop: Header=BB398_803 Depth=1
	s_and_not1_saveexec_b32 s10, s0
; %bb.1792:                             ;   in Loop: Header=BB398_803 Depth=1
	v_and_b32_e32 v3, 0xffff, v2
	v_or_b32_e32 v11, 0x10000, v2
	s_delay_alu instid0(VALU_DEP_2) | instskip(NEXT) | instid1(VALU_DEP_1)
	v_cmp_eq_u32_e64 s0, 0, v3
	v_cndmask_b32_e64 v178, v11, v2, s0
; %bb.1793:                             ;   in Loop: Header=BB398_803 Depth=1
	s_or_b32 exec_lo, exec_lo, s10
	v_dual_mov_b32 v2, 0 :: v_dual_and_b32 v3, 0xff, v1
	v_mov_b32_e32 v11, v1
	s_mov_b32 s10, exec_lo
	s_delay_alu instid0(VALU_DEP_2)
	v_cmpx_ne_u16_e32 0, v3
	s_cbranch_execz .LBB398_1801
; %bb.1794:                             ;   in Loop: Header=BB398_803 Depth=1
	v_bfrev_b32_e32 v2, 1
	s_mov_b32 s12, exec_lo
	v_cmpx_ne_u16_e32 0x80, v3
	s_cbranch_execz .LBB398_1800
; %bb.1795:                             ;   in Loop: Header=BB398_803 Depth=1
	v_and_b32_e32 v3, 0x7f, v1
	v_mov_b32_e32 v2, 0x7f800001
	s_mov_b32 s13, exec_lo
	s_delay_alu instid0(VALU_DEP_2)
	v_cmpx_ne_u32_e32 0x7f, v3
	s_cbranch_execz .LBB398_1799
; %bb.1796:                             ;   in Loop: Header=BB398_803 Depth=1
	v_lshrrev_b32_e32 v179, 3, v3
	v_cmp_gt_u32_e64 s0, 8, v3
	v_dual_mov_b32 v2, v11 :: v_dual_mov_b32 v3, v12
	s_delay_alu instid0(VALU_DEP_2)
	s_and_saveexec_b32 s15, s0
; %bb.1797:                             ;   in Loop: Header=BB398_803 Depth=1
	v_and_b32_e32 v2, 7, v1
	s_delay_alu instid0(VALU_DEP_1) | instskip(NEXT) | instid1(VALU_DEP_1)
	v_clz_i32_u32_e32 v2, v2
	v_min_u32_e32 v179, 32, v2
	s_delay_alu instid0(VALU_DEP_1) | instskip(SKIP_1) | instid1(VALU_DEP_2)
	v_subrev_nc_u32_e32 v2, 28, v179
	v_sub_nc_u32_e32 v179, 29, v179
	v_lshlrev_b64 v[2:3], v2, v[11:12]
; %bb.1798:                             ;   in Loop: Header=BB398_803 Depth=1
	s_or_b32 exec_lo, exec_lo, s15
	s_delay_alu instid0(VALU_DEP_1) | instskip(SKIP_2) | instid1(VALU_DEP_3)
	v_lshlrev_b32_e32 v2, 20, v2
	v_lshlrev_b32_e32 v3, 24, v11
	v_lshl_add_u32 v179, v179, 23, 0x3c000000
	v_and_b32_e32 v2, 0x700000, v2
	s_delay_alu instid0(VALU_DEP_3) | instskip(NEXT) | instid1(VALU_DEP_1)
	v_and_b32_e32 v3, 0x80000000, v3
	v_or3_b32 v2, v2, v3, v179
.LBB398_1799:                           ;   in Loop: Header=BB398_803 Depth=1
	s_or_b32 exec_lo, exec_lo, s13
.LBB398_1800:                           ;   in Loop: Header=BB398_803 Depth=1
	s_delay_alu instid0(SALU_CYCLE_1)
	s_or_b32 exec_lo, exec_lo, s12
.LBB398_1801:                           ;   in Loop: Header=BB398_803 Depth=1
	s_delay_alu instid0(SALU_CYCLE_1) | instskip(NEXT) | instid1(VALU_DEP_1)
	s_or_b32 exec_lo, exec_lo, s10
	v_mul_f32_e32 v2, v26, v2
                                        ; implicit-def: $vgpr179
	s_delay_alu instid0(VALU_DEP_1) | instskip(NEXT) | instid1(VALU_DEP_1)
	v_and_b32_e32 v3, 0x7f800000, v2
	v_cmp_ne_u32_e64 s0, 0x7f800000, v3
	s_delay_alu instid0(VALU_DEP_1) | instskip(NEXT) | instid1(SALU_CYCLE_1)
	s_and_saveexec_b32 s10, s0
	s_xor_b32 s0, exec_lo, s10
; %bb.1802:                             ;   in Loop: Header=BB398_803 Depth=1
	v_bfe_u32 v3, v2, 16, 1
	s_delay_alu instid0(VALU_DEP_1)
	v_add3_u32 v179, v2, v3, 0x7fff
                                        ; implicit-def: $vgpr2
; %bb.1803:                             ;   in Loop: Header=BB398_803 Depth=1
	s_and_not1_saveexec_b32 s10, s0
; %bb.1804:                             ;   in Loop: Header=BB398_803 Depth=1
	v_and_b32_e32 v3, 0xffff, v2
	v_or_b32_e32 v179, 0x10000, v2
	s_delay_alu instid0(VALU_DEP_2) | instskip(NEXT) | instid1(VALU_DEP_1)
	v_cmp_eq_u32_e64 s0, 0, v3
	v_cndmask_b32_e64 v179, v179, v2, s0
; %bb.1805:                             ;   in Loop: Header=BB398_803 Depth=1
	s_or_b32 exec_lo, exec_lo, s10
	v_lshrrev_b16 v3, 8, v11
	v_mov_b32_e32 v2, 0
	s_mov_b32 s10, exec_lo
	s_delay_alu instid0(VALU_DEP_2)
	v_cmpx_ne_u16_e32 0, v3
	s_cbranch_execz .LBB398_1813
; %bb.1806:                             ;   in Loop: Header=BB398_803 Depth=1
	v_bfrev_b32_e32 v2, 1
	s_mov_b32 s12, exec_lo
	v_cmpx_ne_u16_e32 0x80, v3
	s_cbranch_execz .LBB398_1812
; %bb.1807:                             ;   in Loop: Header=BB398_803 Depth=1
	v_and_b32_e32 v3, 0xffff, v3
	v_mov_b32_e32 v2, 0x7f800001
	s_mov_b32 s13, exec_lo
	s_delay_alu instid0(VALU_DEP_2) | instskip(NEXT) | instid1(VALU_DEP_1)
	v_and_b32_e32 v181, 0x7f, v3
	v_cmpx_ne_u32_e32 0x7f, v181
	s_cbranch_execz .LBB398_1811
; %bb.1808:                             ;   in Loop: Header=BB398_803 Depth=1
	v_dual_mov_b32 v3, v12 :: v_dual_and_b32 v2, 7, v3
	v_lshrrev_b32_e32 v180, 3, v181
	s_mov_b32 s15, exec_lo
	v_cmpx_gt_u32_e32 8, v181
; %bb.1809:                             ;   in Loop: Header=BB398_803 Depth=1
	s_delay_alu instid0(VALU_DEP_3) | instskip(NEXT) | instid1(VALU_DEP_1)
	v_clz_i32_u32_e32 v180, v2
	v_min_u32_e32 v180, 32, v180
	s_delay_alu instid0(VALU_DEP_1) | instskip(SKIP_1) | instid1(VALU_DEP_2)
	v_subrev_nc_u32_e32 v181, 28, v180
	v_sub_nc_u32_e32 v180, 29, v180
	v_lshlrev_b64 v[2:3], v181, v[2:3]
	s_delay_alu instid0(VALU_DEP_1)
	v_and_b32_e32 v2, 7, v2
; %bb.1810:                             ;   in Loop: Header=BB398_803 Depth=1
	s_or_b32 exec_lo, exec_lo, s15
	v_lshlrev_b32_e32 v3, 16, v11
	s_delay_alu instid0(VALU_DEP_2) | instskip(SKIP_1) | instid1(VALU_DEP_3)
	v_lshlrev_b32_e32 v2, 20, v2
	v_lshl_add_u32 v11, v180, 23, 0x3c000000
	v_and_b32_e32 v3, 0x80000000, v3
	s_delay_alu instid0(VALU_DEP_1)
	v_or3_b32 v2, v2, v3, v11
.LBB398_1811:                           ;   in Loop: Header=BB398_803 Depth=1
	s_or_b32 exec_lo, exec_lo, s13
.LBB398_1812:                           ;   in Loop: Header=BB398_803 Depth=1
	s_delay_alu instid0(SALU_CYCLE_1)
	s_or_b32 exec_lo, exec_lo, s12
.LBB398_1813:                           ;   in Loop: Header=BB398_803 Depth=1
	s_delay_alu instid0(SALU_CYCLE_1) | instskip(NEXT) | instid1(VALU_DEP_1)
	s_or_b32 exec_lo, exec_lo, s10
	v_mul_f32_e32 v3, v26, v2
	s_delay_alu instid0(VALU_DEP_1) | instskip(NEXT) | instid1(VALU_DEP_1)
	v_and_b32_e32 v2, 0x7f800000, v3
	v_cmp_ne_u32_e64 s0, 0x7f800000, v2
                                        ; implicit-def: $vgpr2
	s_delay_alu instid0(VALU_DEP_1) | instskip(NEXT) | instid1(SALU_CYCLE_1)
	s_and_saveexec_b32 s10, s0
	s_xor_b32 s0, exec_lo, s10
; %bb.1814:                             ;   in Loop: Header=BB398_803 Depth=1
	v_bfe_u32 v2, v3, 16, 1
	s_delay_alu instid0(VALU_DEP_1)
	v_add3_u32 v2, v3, v2, 0x7fff
                                        ; implicit-def: $vgpr3
; %bb.1815:                             ;   in Loop: Header=BB398_803 Depth=1
	s_and_not1_saveexec_b32 s10, s0
; %bb.1816:                             ;   in Loop: Header=BB398_803 Depth=1
	v_and_b32_e32 v2, 0xffff, v3
	v_or_b32_e32 v11, 0x10000, v3
	s_delay_alu instid0(VALU_DEP_2) | instskip(NEXT) | instid1(VALU_DEP_1)
	v_cmp_eq_u32_e64 s0, 0, v2
	v_cndmask_b32_e64 v2, v11, v3, s0
; %bb.1817:                             ;   in Loop: Header=BB398_803 Depth=1
	s_or_b32 exec_lo, exec_lo, s10
	v_lshrrev_b32_e32 v3, 16, v1
	s_mov_b32 s10, exec_lo
	s_delay_alu instid0(VALU_DEP_1) | instskip(NEXT) | instid1(VALU_DEP_1)
	v_dual_mov_b32 v11, 0 :: v_dual_and_b32 v180, 0xff, v3
	v_cmpx_ne_u16_e64 0, v180
	s_cbranch_execz .LBB398_1825
; %bb.1818:                             ;   in Loop: Header=BB398_803 Depth=1
	v_bfrev_b32_e32 v11, 1
	s_mov_b32 s12, exec_lo
	v_cmpx_ne_u16_e64 0x80, v180
	s_cbranch_execz .LBB398_1824
; %bb.1819:                             ;   in Loop: Header=BB398_803 Depth=1
	v_bfe_u32 v181, v1, 16, 7
	v_mov_b32_e32 v11, 0x7f800001
	s_mov_b32 s13, exec_lo
	s_delay_alu instid0(VALU_DEP_2)
	v_cmpx_ne_u32_e32 0x7f, v181
	s_cbranch_execz .LBB398_1823
; %bb.1820:                             ;   in Loop: Header=BB398_803 Depth=1
	v_and_b32_e32 v11, 7, v3
	v_lshrrev_b32_e32 v180, 3, v181
	s_mov_b32 s15, exec_lo
	v_cmpx_gt_u32_e32 8, v181
; %bb.1821:                             ;   in Loop: Header=BB398_803 Depth=1
	s_delay_alu instid0(VALU_DEP_3) | instskip(NEXT) | instid1(VALU_DEP_1)
	v_clz_i32_u32_e32 v180, v11
	v_min_u32_e32 v180, 32, v180
	s_delay_alu instid0(VALU_DEP_1) | instskip(SKIP_1) | instid1(VALU_DEP_2)
	v_subrev_nc_u32_e32 v181, 28, v180
	v_sub_nc_u32_e32 v180, 29, v180
	v_lshlrev_b64 v[181:182], v181, v[11:12]
	s_delay_alu instid0(VALU_DEP_1)
	v_and_b32_e32 v11, 7, v181
; %bb.1822:                             ;   in Loop: Header=BB398_803 Depth=1
	s_or_b32 exec_lo, exec_lo, s15
	v_lshlrev_b32_e32 v3, 24, v3
	s_delay_alu instid0(VALU_DEP_2) | instskip(SKIP_1) | instid1(VALU_DEP_3)
	v_lshlrev_b32_e32 v11, 20, v11
	v_lshl_add_u32 v180, v180, 23, 0x3c000000
	v_and_b32_e32 v3, 0x80000000, v3
	s_delay_alu instid0(VALU_DEP_1)
	v_or3_b32 v11, v11, v3, v180
.LBB398_1823:                           ;   in Loop: Header=BB398_803 Depth=1
	s_or_b32 exec_lo, exec_lo, s13
.LBB398_1824:                           ;   in Loop: Header=BB398_803 Depth=1
	s_delay_alu instid0(SALU_CYCLE_1)
	s_or_b32 exec_lo, exec_lo, s12
.LBB398_1825:                           ;   in Loop: Header=BB398_803 Depth=1
	s_delay_alu instid0(SALU_CYCLE_1) | instskip(NEXT) | instid1(VALU_DEP_1)
	s_or_b32 exec_lo, exec_lo, s10
	v_mul_f32_e32 v3, v26, v11
                                        ; implicit-def: $vgpr181
	s_delay_alu instid0(VALU_DEP_1) | instskip(NEXT) | instid1(VALU_DEP_1)
	v_and_b32_e32 v11, 0x7f800000, v3
	v_cmp_ne_u32_e64 s0, 0x7f800000, v11
	s_delay_alu instid0(VALU_DEP_1) | instskip(NEXT) | instid1(SALU_CYCLE_1)
	s_and_saveexec_b32 s10, s0
	s_xor_b32 s0, exec_lo, s10
; %bb.1826:                             ;   in Loop: Header=BB398_803 Depth=1
	v_bfe_u32 v11, v3, 16, 1
	s_delay_alu instid0(VALU_DEP_1)
	v_add3_u32 v181, v3, v11, 0x7fff
                                        ; implicit-def: $vgpr3
; %bb.1827:                             ;   in Loop: Header=BB398_803 Depth=1
	s_and_not1_saveexec_b32 s10, s0
; %bb.1828:                             ;   in Loop: Header=BB398_803 Depth=1
	v_and_b32_e32 v11, 0xffff, v3
	v_or_b32_e32 v180, 0x10000, v3
	s_delay_alu instid0(VALU_DEP_2) | instskip(NEXT) | instid1(VALU_DEP_1)
	v_cmp_eq_u32_e64 s0, 0, v11
	v_cndmask_b32_e64 v181, v180, v3, s0
; %bb.1829:                             ;   in Loop: Header=BB398_803 Depth=1
	s_or_b32 exec_lo, exec_lo, s10
	v_mov_b32_e32 v3, 0
	s_mov_b32 s10, exec_lo
	v_cmpx_lt_u64_e64 s[8:9], v[0:1]
	s_cbranch_execz .LBB398_1837
; %bb.1830:                             ;   in Loop: Header=BB398_803 Depth=1
	v_lshrrev_b32_e32 v0, 24, v1
	v_bfrev_b32_e32 v3, 1
	s_mov_b32 s12, exec_lo
	s_delay_alu instid0(VALU_DEP_2)
	v_cmpx_ne_u32_e32 0x80, v0
	s_cbranch_execz .LBB398_1836
; %bb.1831:                             ;   in Loop: Header=BB398_803 Depth=1
	v_bfe_u32 v180, v1, 24, 7
	v_mov_b32_e32 v3, 0x7f800001
	s_mov_b32 s13, exec_lo
	s_delay_alu instid0(VALU_DEP_2)
	v_cmpx_ne_u32_e32 0x7f, v180
	s_cbranch_execz .LBB398_1835
; %bb.1832:                             ;   in Loop: Header=BB398_803 Depth=1
	v_and_b32_e32 v11, 7, v0
	v_lshrrev_b32_e32 v1, 3, v180
	s_mov_b32 s15, exec_lo
	v_cmpx_gt_u32_e32 8, v180
; %bb.1833:                             ;   in Loop: Header=BB398_803 Depth=1
	s_delay_alu instid0(VALU_DEP_3) | instskip(NEXT) | instid1(VALU_DEP_1)
	v_clz_i32_u32_e32 v1, v11
	v_min_u32_e32 v1, 32, v1
	s_delay_alu instid0(VALU_DEP_1) | instskip(SKIP_1) | instid1(VALU_DEP_2)
	v_subrev_nc_u32_e32 v3, 28, v1
	v_sub_nc_u32_e32 v1, 29, v1
	v_lshlrev_b64 v[182:183], v3, v[11:12]
	s_delay_alu instid0(VALU_DEP_1)
	v_and_b32_e32 v11, 7, v182
; %bb.1834:                             ;   in Loop: Header=BB398_803 Depth=1
	s_or_b32 exec_lo, exec_lo, s15
	v_lshlrev_b32_e32 v0, 24, v0
	s_delay_alu instid0(VALU_DEP_2) | instskip(SKIP_1) | instid1(VALU_DEP_3)
	v_lshlrev_b32_e32 v3, 20, v11
	v_lshl_add_u32 v1, v1, 23, 0x3c000000
	v_and_b32_e32 v0, 0x80000000, v0
	s_delay_alu instid0(VALU_DEP_1)
	v_or3_b32 v3, v3, v0, v1
.LBB398_1835:                           ;   in Loop: Header=BB398_803 Depth=1
	s_or_b32 exec_lo, exec_lo, s13
.LBB398_1836:                           ;   in Loop: Header=BB398_803 Depth=1
	s_delay_alu instid0(SALU_CYCLE_1)
	s_or_b32 exec_lo, exec_lo, s12
.LBB398_1837:                           ;   in Loop: Header=BB398_803 Depth=1
	s_delay_alu instid0(SALU_CYCLE_1) | instskip(NEXT) | instid1(VALU_DEP_1)
	s_or_b32 exec_lo, exec_lo, s10
	v_mul_f32_e32 v0, v26, v3
                                        ; implicit-def: $vgpr182
	s_delay_alu instid0(VALU_DEP_1) | instskip(NEXT) | instid1(VALU_DEP_1)
	v_and_b32_e32 v1, 0x7f800000, v0
	v_cmp_ne_u32_e64 s0, 0x7f800000, v1
	s_delay_alu instid0(VALU_DEP_1) | instskip(NEXT) | instid1(SALU_CYCLE_1)
	s_and_saveexec_b32 s10, s0
	s_xor_b32 s0, exec_lo, s10
; %bb.1838:                             ;   in Loop: Header=BB398_803 Depth=1
	v_bfe_u32 v1, v0, 16, 1
	s_delay_alu instid0(VALU_DEP_1)
	v_add3_u32 v182, v0, v1, 0x7fff
                                        ; implicit-def: $vgpr0
; %bb.1839:                             ;   in Loop: Header=BB398_803 Depth=1
	s_and_not1_saveexec_b32 s10, s0
; %bb.1840:                             ;   in Loop: Header=BB398_803 Depth=1
	v_and_b32_e32 v1, 0xffff, v0
	v_or_b32_e32 v3, 0x10000, v0
	s_delay_alu instid0(VALU_DEP_2) | instskip(NEXT) | instid1(VALU_DEP_1)
	v_cmp_eq_u32_e64 s0, 0, v1
	v_cndmask_b32_e64 v182, v3, v0, s0
; %bb.1841:                             ;   in Loop: Header=BB398_803 Depth=1
	s_or_b32 exec_lo, exec_lo, s10
	v_lshrrev_b32_e32 v180, 16, v2
	v_lshrrev_b32_e32 v11, 16, v179
	;; [unrolled: 1-line block ×8, first 2 shown]
	s_and_saveexec_b32 s0, vcc_lo
	s_cbranch_execz .LBB398_1843
; %bb.1842:                             ;   in Loop: Header=BB398_803 Depth=1
	v_cmp_lt_i32_e32 vcc_lo, v50, v32
	v_cndmask_b32_e32 v0, 0, v0, vcc_lo
	v_cmp_lt_i32_e32 vcc_lo, v64, v32
	v_cndmask_b32_e32 v1, 0, v1, vcc_lo
	;; [unrolled: 2-line block ×8, first 2 shown]
.LBB398_1843:                           ;   in Loop: Header=BB398_803 Depth=1
	s_or_b32 exec_lo, exec_lo, s0
	v_lshlrev_b32_e32 v0, 16, v0
	s_delay_alu instid0(VALU_DEP_1) | instskip(NEXT) | instid1(VALU_DEP_1)
	v_mul_f32_e32 v50, v65, v0
	v_and_b32_e32 v0, 0x7f800000, v50
	s_delay_alu instid0(VALU_DEP_1) | instskip(SKIP_1) | instid1(SALU_CYCLE_1)
	v_cmp_ne_u32_e32 vcc_lo, 0x7f800000, v0
                                        ; implicit-def: $vgpr0
	s_and_saveexec_b32 s0, vcc_lo
	s_xor_b32 s0, exec_lo, s0
; %bb.1844:                             ;   in Loop: Header=BB398_803 Depth=1
	v_bfe_u32 v0, v50, 16, 1
	s_delay_alu instid0(VALU_DEP_1)
	v_add3_u32 v0, v50, v0, 0x7fff
                                        ; implicit-def: $vgpr50
; %bb.1845:                             ;   in Loop: Header=BB398_803 Depth=1
	s_and_not1_saveexec_b32 s0, s0
; %bb.1846:                             ;   in Loop: Header=BB398_803 Depth=1
	v_and_b32_e32 v0, 0xffff, v50
	v_or_b32_e32 v51, 0x10000, v50
	s_delay_alu instid0(VALU_DEP_2) | instskip(NEXT) | instid1(VALU_DEP_2)
	v_cmp_eq_u32_e32 vcc_lo, 0, v0
	v_cndmask_b32_e32 v0, v51, v50, vcc_lo
; %bb.1847:                             ;   in Loop: Header=BB398_803 Depth=1
	s_or_b32 exec_lo, exec_lo, s0
	v_lshlrev_b32_e32 v1, 16, v1
	s_delay_alu instid0(VALU_DEP_1) | instskip(NEXT) | instid1(VALU_DEP_1)
	v_mul_f32_e32 v50, v66, v1
	v_and_b32_e32 v1, 0x7f800000, v50
	s_delay_alu instid0(VALU_DEP_1) | instskip(SKIP_1) | instid1(SALU_CYCLE_1)
	v_cmp_ne_u32_e32 vcc_lo, 0x7f800000, v1
                                        ; implicit-def: $vgpr1
	s_and_saveexec_b32 s0, vcc_lo
	s_xor_b32 s0, exec_lo, s0
; %bb.1848:                             ;   in Loop: Header=BB398_803 Depth=1
	v_bfe_u32 v1, v50, 16, 1
	s_delay_alu instid0(VALU_DEP_1)
	v_add3_u32 v1, v50, v1, 0x7fff
                                        ; implicit-def: $vgpr50
; %bb.1849:                             ;   in Loop: Header=BB398_803 Depth=1
	s_and_not1_saveexec_b32 s0, s0
; %bb.1850:                             ;   in Loop: Header=BB398_803 Depth=1
	v_and_b32_e32 v1, 0xffff, v50
	v_or_b32_e32 v51, 0x10000, v50
	s_delay_alu instid0(VALU_DEP_2) | instskip(NEXT) | instid1(VALU_DEP_2)
	v_cmp_eq_u32_e32 vcc_lo, 0, v1
	v_cndmask_b32_e32 v1, v51, v50, vcc_lo
; %bb.1851:                             ;   in Loop: Header=BB398_803 Depth=1
	s_or_b32 exec_lo, exec_lo, s0
	v_lshlrev_b32_e32 v2, 16, v2
	s_delay_alu instid0(VALU_DEP_1) | instskip(NEXT) | instid1(VALU_DEP_1)
	v_mul_f32_e32 v50, v67, v2
	v_and_b32_e32 v2, 0x7f800000, v50
	s_delay_alu instid0(VALU_DEP_1) | instskip(SKIP_1) | instid1(SALU_CYCLE_1)
	v_cmp_ne_u32_e32 vcc_lo, 0x7f800000, v2
                                        ; implicit-def: $vgpr2
	s_and_saveexec_b32 s0, vcc_lo
	s_xor_b32 s0, exec_lo, s0
; %bb.1852:                             ;   in Loop: Header=BB398_803 Depth=1
	v_bfe_u32 v2, v50, 16, 1
	s_delay_alu instid0(VALU_DEP_1)
	v_add3_u32 v2, v50, v2, 0x7fff
                                        ; implicit-def: $vgpr50
; %bb.1853:                             ;   in Loop: Header=BB398_803 Depth=1
	s_and_not1_saveexec_b32 s0, s0
; %bb.1854:                             ;   in Loop: Header=BB398_803 Depth=1
	v_and_b32_e32 v2, 0xffff, v50
	v_or_b32_e32 v51, 0x10000, v50
	s_delay_alu instid0(VALU_DEP_2) | instskip(NEXT) | instid1(VALU_DEP_2)
	v_cmp_eq_u32_e32 vcc_lo, 0, v2
	v_cndmask_b32_e32 v2, v51, v50, vcc_lo
; %bb.1855:                             ;   in Loop: Header=BB398_803 Depth=1
	s_or_b32 exec_lo, exec_lo, s0
	v_lshlrev_b32_e32 v3, 16, v3
	s_delay_alu instid0(VALU_DEP_1) | instskip(NEXT) | instid1(VALU_DEP_1)
	v_mul_f32_e32 v50, v68, v3
	v_and_b32_e32 v3, 0x7f800000, v50
	s_delay_alu instid0(VALU_DEP_1) | instskip(SKIP_1) | instid1(SALU_CYCLE_1)
	v_cmp_ne_u32_e32 vcc_lo, 0x7f800000, v3
                                        ; implicit-def: $vgpr3
	s_and_saveexec_b32 s0, vcc_lo
	s_xor_b32 s0, exec_lo, s0
; %bb.1856:                             ;   in Loop: Header=BB398_803 Depth=1
	v_bfe_u32 v3, v50, 16, 1
	s_delay_alu instid0(VALU_DEP_1)
	v_add3_u32 v3, v50, v3, 0x7fff
                                        ; implicit-def: $vgpr50
; %bb.1857:                             ;   in Loop: Header=BB398_803 Depth=1
	s_and_not1_saveexec_b32 s0, s0
; %bb.1858:                             ;   in Loop: Header=BB398_803 Depth=1
	v_and_b32_e32 v3, 0xffff, v50
	v_or_b32_e32 v51, 0x10000, v50
	s_delay_alu instid0(VALU_DEP_2) | instskip(NEXT) | instid1(VALU_DEP_2)
	v_cmp_eq_u32_e32 vcc_lo, 0, v3
	v_cndmask_b32_e32 v3, v51, v50, vcc_lo
; %bb.1859:                             ;   in Loop: Header=BB398_803 Depth=1
	s_or_b32 exec_lo, exec_lo, s0
	v_lshlrev_b32_e32 v11, 16, v11
	s_delay_alu instid0(VALU_DEP_1) | instskip(NEXT) | instid1(VALU_DEP_1)
	v_mul_f32_e32 v50, v69, v11
	v_and_b32_e32 v11, 0x7f800000, v50
	s_delay_alu instid0(VALU_DEP_1) | instskip(SKIP_1) | instid1(SALU_CYCLE_1)
	v_cmp_ne_u32_e32 vcc_lo, 0x7f800000, v11
                                        ; implicit-def: $vgpr11
	s_and_saveexec_b32 s0, vcc_lo
	s_xor_b32 s0, exec_lo, s0
; %bb.1860:                             ;   in Loop: Header=BB398_803 Depth=1
	v_bfe_u32 v11, v50, 16, 1
	s_delay_alu instid0(VALU_DEP_1)
	v_add3_u32 v11, v50, v11, 0x7fff
                                        ; implicit-def: $vgpr50
; %bb.1861:                             ;   in Loop: Header=BB398_803 Depth=1
	s_and_not1_saveexec_b32 s0, s0
; %bb.1862:                             ;   in Loop: Header=BB398_803 Depth=1
	v_and_b32_e32 v11, 0xffff, v50
	v_or_b32_e32 v51, 0x10000, v50
	s_delay_alu instid0(VALU_DEP_2) | instskip(NEXT) | instid1(VALU_DEP_2)
	v_cmp_eq_u32_e32 vcc_lo, 0, v11
	v_cndmask_b32_e32 v11, v51, v50, vcc_lo
; %bb.1863:                             ;   in Loop: Header=BB398_803 Depth=1
	s_or_b32 exec_lo, exec_lo, s0
	v_lshlrev_b32_e32 v50, 16, v180
	s_delay_alu instid0(VALU_DEP_1) | instskip(NEXT) | instid1(VALU_DEP_1)
	v_mul_f32_e32 v51, v70, v50
	v_and_b32_e32 v50, 0x7f800000, v51
	s_delay_alu instid0(VALU_DEP_1) | instskip(SKIP_1) | instid1(SALU_CYCLE_1)
	v_cmp_ne_u32_e32 vcc_lo, 0x7f800000, v50
                                        ; implicit-def: $vgpr50
	s_and_saveexec_b32 s0, vcc_lo
	s_xor_b32 s0, exec_lo, s0
; %bb.1864:                             ;   in Loop: Header=BB398_803 Depth=1
	v_bfe_u32 v50, v51, 16, 1
	s_delay_alu instid0(VALU_DEP_1)
	v_add3_u32 v50, v51, v50, 0x7fff
                                        ; implicit-def: $vgpr51
; %bb.1865:                             ;   in Loop: Header=BB398_803 Depth=1
	s_and_not1_saveexec_b32 s0, s0
; %bb.1866:                             ;   in Loop: Header=BB398_803 Depth=1
	v_and_b32_e32 v50, 0xffff, v51
	v_or_b32_e32 v52, 0x10000, v51
	s_delay_alu instid0(VALU_DEP_2) | instskip(NEXT) | instid1(VALU_DEP_2)
	v_cmp_eq_u32_e32 vcc_lo, 0, v50
	v_cndmask_b32_e32 v50, v52, v51, vcc_lo
; %bb.1867:                             ;   in Loop: Header=BB398_803 Depth=1
	s_or_b32 exec_lo, exec_lo, s0
	v_lshlrev_b32_e32 v51, 16, v176
	s_delay_alu instid0(VALU_DEP_1) | instskip(NEXT) | instid1(VALU_DEP_1)
	v_mul_f32_e32 v52, v71, v51
	v_and_b32_e32 v51, 0x7f800000, v52
	s_delay_alu instid0(VALU_DEP_1) | instskip(SKIP_1) | instid1(SALU_CYCLE_1)
	v_cmp_ne_u32_e32 vcc_lo, 0x7f800000, v51
                                        ; implicit-def: $vgpr51
	s_and_saveexec_b32 s0, vcc_lo
	s_xor_b32 s0, exec_lo, s0
; %bb.1868:                             ;   in Loop: Header=BB398_803 Depth=1
	v_bfe_u32 v51, v52, 16, 1
	s_delay_alu instid0(VALU_DEP_1)
	v_add3_u32 v51, v52, v51, 0x7fff
                                        ; implicit-def: $vgpr52
; %bb.1869:                             ;   in Loop: Header=BB398_803 Depth=1
	s_and_not1_saveexec_b32 s0, s0
; %bb.1870:                             ;   in Loop: Header=BB398_803 Depth=1
	v_and_b32_e32 v51, 0xffff, v52
	v_or_b32_e32 v53, 0x10000, v52
	s_delay_alu instid0(VALU_DEP_2) | instskip(NEXT) | instid1(VALU_DEP_2)
	v_cmp_eq_u32_e32 vcc_lo, 0, v51
	v_cndmask_b32_e32 v51, v53, v52, vcc_lo
; %bb.1871:                             ;   in Loop: Header=BB398_803 Depth=1
	s_or_b32 exec_lo, exec_lo, s0
	v_lshlrev_b32_e32 v52, 16, v167
	s_delay_alu instid0(VALU_DEP_1) | instskip(NEXT) | instid1(VALU_DEP_1)
	v_mul_f32_e32 v53, v80, v52
	v_and_b32_e32 v52, 0x7f800000, v53
	s_delay_alu instid0(VALU_DEP_1) | instskip(SKIP_1) | instid1(SALU_CYCLE_1)
	v_cmp_ne_u32_e32 vcc_lo, 0x7f800000, v52
                                        ; implicit-def: $vgpr52
	s_and_saveexec_b32 s0, vcc_lo
	s_xor_b32 s0, exec_lo, s0
; %bb.1872:                             ;   in Loop: Header=BB398_803 Depth=1
	v_bfe_u32 v52, v53, 16, 1
	s_delay_alu instid0(VALU_DEP_1)
	v_add3_u32 v52, v53, v52, 0x7fff
                                        ; implicit-def: $vgpr53
; %bb.1873:                             ;   in Loop: Header=BB398_803 Depth=1
	s_and_not1_saveexec_b32 s0, s0
	s_cbranch_execz .LBB398_802
; %bb.1874:                             ;   in Loop: Header=BB398_803 Depth=1
	v_and_b32_e32 v52, 0xffff, v53
	v_or_b32_e32 v54, 0x10000, v53
	s_delay_alu instid0(VALU_DEP_2) | instskip(NEXT) | instid1(VALU_DEP_2)
	v_cmp_eq_u32_e32 vcc_lo, 0, v52
	v_cndmask_b32_e32 v52, v54, v53, vcc_lo
	s_branch .LBB398_802
.LBB398_1875:
	s_or_b32 exec_lo, exec_lo, s5
	v_dual_mov_b32 v0, s6 :: v_dual_mov_b32 v1, s7
.LBB398_1876:
	s_or_b32 exec_lo, exec_lo, s3
	s_delay_alu instid0(VALU_DEP_1)
	v_lshlrev_b64 v[0:1], 2, v[0:1]
	s_getpc_b64 s[6:7]
	s_add_u32 s6, s6, llvm.amdgcn.dynlds.offset.table@rel32@lo+4
	s_addc_u32 s7, s7, llvm.amdgcn.dynlds.offset.table@rel32@hi+12
	s_waitcnt lgkmcnt(0)
	s_waitcnt_vscnt null, 0x0
	s_barrier
	buffer_gl0_inv
	v_and_b32_e32 v2, 0x3c0, v30
	v_add_co_u32 v0, vcc_lo, v0, s6
	v_add_co_ci_u32_e32 v1, vcc_lo, s7, v1, vcc_lo
	s_mov_b32 s0, exec_lo
	global_load_b32 v1, v[0:1], off
	s_waitcnt vmcnt(0)
	v_lshl_add_u32 v0, v33, 10, v1
	v_cmpx_eq_u32_e32 64, v2
	s_cbranch_execz .LBB398_1878
; %bb.1877:
	s_delay_alu instid0(VALU_DEP_2) | instskip(SKIP_2) | instid1(VALU_DEP_3)
	v_add_nc_u32_e32 v2, 0xfffff800, v0
	v_or_b32_e32 v3, 0x180, v31
	v_or_b32_e32 v8, 0x380, v31
	v_lshl_add_u32 v9, v6, 2, v2
	s_delay_alu instid0(VALU_DEP_3) | instskip(NEXT) | instid1(VALU_DEP_3)
	v_add_nc_u32_e32 v3, v2, v3
	v_add_nc_u32_e32 v2, v2, v8
	ds_store_2addr_b32 v9, v29, v28 offset1:32
	ds_store_b32 v3, v24
	ds_store_2addr_stride64_b32 v9, v25, v23 offset0:1 offset1:2
	ds_store_2addr_b32 v9, v21, v20 offset0:160 offset1:192
	ds_store_b32 v2, v7
.LBB398_1878:
	s_or_b32 exec_lo, exec_lo, s0
	s_delay_alu instid0(VALU_DEP_2)
	v_lshl_add_u32 v2, v6, 2, v0
	s_mov_b32 s0, exec_lo
	s_waitcnt lgkmcnt(0)
	s_barrier
	buffer_gl0_inv
	v_cmpx_gt_u32_e32 64, v30
	s_cbranch_execz .LBB398_1880
; %bb.1879:
	v_or_b32_e32 v8, 0x180, v31
	v_or_b32_e32 v9, 0x280, v31
	;; [unrolled: 1-line block ×4, first 2 shown]
	s_delay_alu instid0(VALU_DEP_4) | instskip(NEXT) | instid1(VALU_DEP_4)
	v_add_nc_u32_e32 v12, v0, v8
	v_add_nc_u32_e32 v13, v0, v9
	ds_load_2addr_stride64_b32 v[8:9], v2 offset1:1
	v_add_nc_u32_e32 v3, v0, v3
	s_waitcnt lgkmcnt(0)
	v_dual_add_f32 v29, v29, v8 :: v_dual_add_nc_u32 v14, v0, v10
	v_add_f32_e32 v25, v25, v9
	ds_load_2addr_stride64_b32 v[10:11], v2 offset0:2 offset1:3
	ds_load_b32 v3, v3
	ds_load_b32 v12, v12
	;; [unrolled: 1-line block ×4, first 2 shown]
	s_waitcnt lgkmcnt(4)
	v_dual_add_f32 v23, v23, v10 :: v_dual_add_f32 v20, v20, v11
	s_waitcnt lgkmcnt(1)
	v_dual_add_f32 v28, v28, v3 :: v_dual_add_f32 v21, v21, v13
	;; [unrolled: 2-line block ×3, first 2 shown]
.LBB398_1880:
	s_or_b32 exec_lo, exec_lo, s0
	v_and_b32_e32 v3, 0x3e0, v30
	s_mov_b32 s0, exec_lo
	s_barrier
	buffer_gl0_inv
	v_cmpx_eq_u32_e32 32, v3
	s_cbranch_execz .LBB398_1882
; %bb.1881:
	v_or_b32_e32 v3, 0x180, v31
	v_or_b32_e32 v8, 0x280, v31
	;; [unrolled: 1-line block ×3, first 2 shown]
	v_lshl_add_u32 v6, v6, 2, v1
	v_add_nc_u32_e32 v9, v1, v31
	v_add_nc_u32_e32 v3, v1, v3
	;; [unrolled: 1-line block ×4, first 2 shown]
	ds_store_b32 v6, v29
	ds_store_b32 v9, v28
	;; [unrolled: 1-line block ×4, first 2 shown]
	ds_store_2addr_stride64_b32 v6, v25, v23 offset0:1 offset1:2
	ds_store_b32 v6, v20 offset:768
	ds_store_b32 v1, v7
.LBB398_1882:
	s_or_b32 exec_lo, exec_lo, s0
	v_cmp_gt_u32_e32 vcc_lo, 32, v30
	s_waitcnt lgkmcnt(0)
	s_barrier
	buffer_gl0_inv
	s_and_saveexec_b32 s0, vcc_lo
	s_cbranch_execz .LBB398_1884
; %bb.1883:
	v_lshl_add_u32 v6, v30, 2, v0
	ds_load_b32 v10, v2
	ds_load_2addr_b32 v[0:1], v6 offset0:32 offset1:64
	ds_load_2addr_b32 v[2:3], v6 offset0:96 offset1:128
	;; [unrolled: 1-line block ×3, first 2 shown]
	ds_load_b32 v6, v6 offset:896
	s_waitcnt lgkmcnt(3)
	v_dual_add_f32 v29, v29, v10 :: v_dual_add_f32 v28, v28, v0
	s_waitcnt lgkmcnt(2)
	v_dual_add_f32 v25, v25, v1 :: v_dual_add_f32 v24, v24, v2
	;; [unrolled: 2-line block ×3, first 2 shown]
	v_add_f32_e32 v21, v21, v8
	s_waitcnt lgkmcnt(0)
	v_add_f32_e32 v7, v7, v6
.LBB398_1884:
	s_or_b32 exec_lo, exec_lo, s0
	s_barrier
	buffer_gl0_inv
	s_and_b32 exec_lo, exec_lo, vcc_lo
	s_cbranch_execz .LBB398_1918
; %bb.1885:
	v_and_b32_e32 v0, 0x7f800000, v29
	s_delay_alu instid0(VALU_DEP_1) | instskip(SKIP_1) | instid1(SALU_CYCLE_1)
	v_cmp_ne_u32_e32 vcc_lo, 0x7f800000, v0
                                        ; implicit-def: $vgpr0
	s_and_saveexec_b32 s0, vcc_lo
	s_xor_b32 s0, exec_lo, s0
; %bb.1886:
	v_bfe_u32 v0, v29, 16, 1
	s_delay_alu instid0(VALU_DEP_1)
	v_add3_u32 v0, v29, v0, 0x7fff
; %bb.1887:
	s_and_not1_saveexec_b32 s0, s0
; %bb.1888:
	v_and_b32_e32 v0, 0xffff, v29
	v_or_b32_e32 v1, 0x10000, v29
	s_delay_alu instid0(VALU_DEP_2) | instskip(NEXT) | instid1(VALU_DEP_2)
	v_cmp_eq_u32_e32 vcc_lo, 0, v0
	v_cndmask_b32_e32 v0, v1, v29, vcc_lo
; %bb.1889:
	s_or_b32 exec_lo, exec_lo, s0
	s_lshl_b32 s0, s2, 8
	s_mul_i32 s2, s4, s1
	s_lshl_b32 s4, s14, 8
	s_ashr_i32 s3, s2, 31
	s_ashr_i32 s5, s4, 31
	;; [unrolled: 1-line block ×3, first 2 shown]
	s_lshl_b64 s[2:3], s[2:3], 1
	s_lshl_b64 s[4:5], s[4:5], 1
	;; [unrolled: 1-line block ×3, first 2 shown]
	s_add_u32 s2, s4, s2
	s_addc_u32 s3, s5, s3
	s_add_u32 s0, s2, s0
	s_addc_u32 s1, s3, s1
	v_lshlrev_b32_e32 v1, 1, v30
	v_add_co_u32 v2, vcc_lo, s0, v4
	v_add_co_ci_u32_e32 v3, vcc_lo, s1, v5, vcc_lo
	v_and_b32_e32 v4, 0x7f800000, v28
	s_delay_alu instid0(VALU_DEP_3) | instskip(NEXT) | instid1(VALU_DEP_3)
	v_add_co_u32 v8, vcc_lo, v2, v1
	v_add_co_ci_u32_e32 v9, vcc_lo, 0, v3, vcc_lo
	s_mov_b32 s0, exec_lo
	flat_store_d16_hi_b16 v[8:9], v0
                                        ; implicit-def: $vgpr0
	v_cmpx_ne_u32_e32 0x7f800000, v4
	s_xor_b32 s0, exec_lo, s0
; %bb.1890:
	v_bfe_u32 v0, v28, 16, 1
	s_delay_alu instid0(VALU_DEP_1)
	v_add3_u32 v0, v28, v0, 0x7fff
; %bb.1891:
	s_and_not1_saveexec_b32 s0, s0
; %bb.1892:
	v_and_b32_e32 v0, 0xffff, v28
	v_or_b32_e32 v1, 0x10000, v28
	s_delay_alu instid0(VALU_DEP_2) | instskip(NEXT) | instid1(VALU_DEP_2)
	v_cmp_eq_u32_e32 vcc_lo, 0, v0
	v_cndmask_b32_e32 v0, v1, v28, vcc_lo
; %bb.1893:
	s_or_b32 exec_lo, exec_lo, s0
	v_and_b32_e32 v1, 0x7f800000, v25
	s_mov_b32 s0, exec_lo
	flat_store_d16_hi_b16 v[8:9], v0 offset:64
                                        ; implicit-def: $vgpr0
	v_cmpx_ne_u32_e32 0x7f800000, v1
	s_xor_b32 s0, exec_lo, s0
; %bb.1894:
	v_bfe_u32 v0, v25, 16, 1
	s_delay_alu instid0(VALU_DEP_1)
	v_add3_u32 v0, v25, v0, 0x7fff
; %bb.1895:
	s_and_not1_saveexec_b32 s0, s0
; %bb.1896:
	v_and_b32_e32 v0, 0xffff, v25
	v_or_b32_e32 v1, 0x10000, v25
	s_delay_alu instid0(VALU_DEP_2) | instskip(NEXT) | instid1(VALU_DEP_2)
	v_cmp_eq_u32_e32 vcc_lo, 0, v0
	v_cndmask_b32_e32 v0, v1, v25, vcc_lo
; %bb.1897:
	s_or_b32 exec_lo, exec_lo, s0
	v_and_b32_e32 v1, 0x7f800000, v24
	s_mov_b32 s0, exec_lo
	flat_store_d16_hi_b16 v[8:9], v0 offset:128
	;; [unrolled: 20-line block ×6, first 2 shown]
                                        ; implicit-def: $vgpr10
	v_cmpx_ne_u32_e32 0x7f800000, v1
	s_xor_b32 s0, exec_lo, s0
; %bb.1914:
	v_bfe_u32 v0, v7, 16, 1
	s_delay_alu instid0(VALU_DEP_1)
	v_add3_u32 v10, v7, v0, 0x7fff
                                        ; implicit-def: $vgpr0_vgpr1_vgpr2_vgpr3_vgpr4_vgpr5_vgpr6_vgpr7
; %bb.1915:
	s_and_not1_saveexec_b32 s0, s0
; %bb.1916:
	v_and_b32_e32 v0, 0xffff, v7
	v_or_b32_e32 v1, 0x10000, v7
	s_delay_alu instid0(VALU_DEP_2) | instskip(NEXT) | instid1(VALU_DEP_2)
	v_cmp_eq_u32_e32 vcc_lo, 0, v0
	v_cndmask_b32_e32 v10, v1, v7, vcc_lo
; %bb.1917:
	s_or_b32 exec_lo, exec_lo, s0
	flat_store_d16_hi_b16 v[8:9], v10 offset:448
.LBB398_1918:
	s_or_b32 exec_lo, exec_lo, s11
	s_clause 0x1f
	scratch_load_b32 v169, off, s32
	scratch_load_b32 v168, off, s32 offset:4
	scratch_load_b32 v159, off, s32 offset:8
	scratch_load_b32 v158, off, s32 offset:12
	scratch_load_b32 v157, off, s32 offset:16
	scratch_load_b32 v156, off, s32 offset:20
	scratch_load_b32 v155, off, s32 offset:24
	scratch_load_b32 v154, off, s32 offset:28
	scratch_load_b32 v153, off, s32 offset:32
	scratch_load_b32 v152, off, s32 offset:36
	scratch_load_b32 v143, off, s32 offset:40
	scratch_load_b32 v142, off, s32 offset:44
	scratch_load_b32 v141, off, s32 offset:48
	scratch_load_b32 v140, off, s32 offset:52
	scratch_load_b32 v139, off, s32 offset:56
	scratch_load_b32 v138, off, s32 offset:60
	scratch_load_b32 v137, off, s32 offset:64
	scratch_load_b32 v136, off, s32 offset:68
	scratch_load_b32 v127, off, s32 offset:72
	scratch_load_b32 v126, off, s32 offset:76
	scratch_load_b32 v125, off, s32 offset:80
	scratch_load_b32 v124, off, s32 offset:84
	scratch_load_b32 v123, off, s32 offset:88
	scratch_load_b32 v122, off, s32 offset:92
	scratch_load_b32 v121, off, s32 offset:96
	scratch_load_b32 v120, off, s32 offset:100
	scratch_load_b32 v111, off, s32 offset:104
	scratch_load_b32 v110, off, s32 offset:108
	scratch_load_b32 v109, off, s32 offset:112
	scratch_load_b32 v108, off, s32 offset:116
	scratch_load_b32 v107, off, s32 offset:120
	scratch_load_b32 v106, off, s32 offset:124
	s_clause 0x1f
	scratch_load_b32 v105, off, s32 offset:128
	scratch_load_b32 v104, off, s32 offset:132
	;; [unrolled: 1-line block ×32, first 2 shown]
	s_clause 0x1
	scratch_load_b32 v41, off, s32 offset:256
	scratch_load_b32 v40, off, s32 offset:260
	s_waitcnt vmcnt(0) lgkmcnt(0)
	s_setpc_b64 s[30:31]
.Lfunc_end398:
	.size	_ZN4vllm22paged_attention_kernelI14__hip_bfloat16hLi256ELi8ELi128ELNS_18Fp8KVCacheDataTypeE1ELb0ELi512EEEvPfS3_PT_PKS4_PKT0_SA_ifPKiSC_iPKfiiiSE_SE_iiiii, .Lfunc_end398-_ZN4vllm22paged_attention_kernelI14__hip_bfloat16hLi256ELi8ELi128ELNS_18Fp8KVCacheDataTypeE1ELb0ELi512EEEvPfS3_PT_PKS4_PKT0_SA_ifPKiSC_iPKfiiiSE_SE_iiiii
                                        ; -- End function
	.section	.AMDGPU.csdata,"",@progbits
; Function info:
; codeLenInByte = 59768
; NumSgprs: 35
; NumVgprs: 184
; ScratchSize: 268
; MemoryBound: 0
	.section	.text._ZN4vllm25paged_attention_v2_kernelI14__hip_bfloat16hLi256ELi8ELi128ELNS_18Fp8KVCacheDataTypeE1ELb0ELi512EEEvPfS3_PT_PKS4_PKT0_SA_ifPKiSC_iPKfiiiSE_SE_iiiii,"axG",@progbits,_ZN4vllm25paged_attention_v2_kernelI14__hip_bfloat16hLi256ELi8ELi128ELNS_18Fp8KVCacheDataTypeE1ELb0ELi512EEEvPfS3_PT_PKS4_PKT0_SA_ifPKiSC_iPKfiiiSE_SE_iiiii,comdat
	.protected	_ZN4vllm25paged_attention_v2_kernelI14__hip_bfloat16hLi256ELi8ELi128ELNS_18Fp8KVCacheDataTypeE1ELb0ELi512EEEvPfS3_PT_PKS4_PKT0_SA_ifPKiSC_iPKfiiiSE_SE_iiiii ; -- Begin function _ZN4vllm25paged_attention_v2_kernelI14__hip_bfloat16hLi256ELi8ELi128ELNS_18Fp8KVCacheDataTypeE1ELb0ELi512EEEvPfS3_PT_PKS4_PKT0_SA_ifPKiSC_iPKfiiiSE_SE_iiiii
	.globl	_ZN4vllm25paged_attention_v2_kernelI14__hip_bfloat16hLi256ELi8ELi128ELNS_18Fp8KVCacheDataTypeE1ELb0ELi512EEEvPfS3_PT_PKS4_PKT0_SA_ifPKiSC_iPKfiiiSE_SE_iiiii
	.p2align	8
	.type	_ZN4vllm25paged_attention_v2_kernelI14__hip_bfloat16hLi256ELi8ELi128ELNS_18Fp8KVCacheDataTypeE1ELb0ELi512EEEvPfS3_PT_PKS4_PKT0_SA_ifPKiSC_iPKfiiiSE_SE_iiiii,@function
_ZN4vllm25paged_attention_v2_kernelI14__hip_bfloat16hLi256ELi8ELi128ELNS_18Fp8KVCacheDataTypeE1ELb0ELi512EEEvPfS3_PT_PKS4_PKT0_SA_ifPKiSC_iPKfiiiSE_SE_iiiii: ; @_ZN4vllm25paged_attention_v2_kernelI14__hip_bfloat16hLi256ELi8ELi128ELNS_18Fp8KVCacheDataTypeE1ELb0ELi512EEEvPfS3_PT_PKS4_PKT0_SA_ifPKiSC_iPKfiiiSE_SE_iiiii
; %bb.0:
	s_clause 0x5
	s_load_b256 s[24:31], s[0:1], 0x0
	s_load_b256 s[16:23], s[0:1], 0x20
	s_load_b64 s[2:3], s[0:1], 0x40
	s_load_b64 s[4:5], s[0:1], 0x50
	s_load_b32 s6, s[0:1], 0x48
	s_load_b256 s[36:43], s[0:1], 0x58
	v_mov_b32_e32 v31, v0
	s_add_u32 s8, s0, 0x90
	s_mov_b32 s12, s13
	s_addc_u32 s9, s1, 0
	s_mov_b32 s13, s14
	s_mov_b32 s14, s15
	;; [unrolled: 1-line block ×4, first 2 shown]
	s_getpc_b64 s[0:1]
	s_add_u32 s0, s0, _ZN4vllm22paged_attention_kernelI14__hip_bfloat16hLi256ELi8ELi128ELNS_18Fp8KVCacheDataTypeE1ELb0ELi512EEEvPfS3_PT_PKS4_PKT0_SA_ifPKiSC_iPKfiiiSE_SE_iiiii@rel32@lo+4
	s_addc_u32 s1, s1, _ZN4vllm22paged_attention_kernelI14__hip_bfloat16hLi256ELi8ELi128ELNS_18Fp8KVCacheDataTypeE1ELb0ELi512EEEvPfS3_PT_PKS4_PKT0_SA_ifPKiSC_iPKfiiiSE_SE_iiiii@rel32@hi+12
	s_waitcnt lgkmcnt(0)
	v_dual_mov_b32 v0, s24 :: v_dual_mov_b32 v1, s25
	v_dual_mov_b32 v2, s26 :: v_dual_mov_b32 v3, s27
	;; [unrolled: 1-line block ×14, first 2 shown]
	s_swappc_b64 s[30:31], s[0:1]
	s_endpgm
	.section	.rodata,"a",@progbits
	.p2align	6, 0x0
	.amdhsa_kernel _ZN4vllm25paged_attention_v2_kernelI14__hip_bfloat16hLi256ELi8ELi128ELNS_18Fp8KVCacheDataTypeE1ELb0ELi512EEEvPfS3_PT_PKS4_PKT0_SA_ifPKiSC_iPKfiiiSE_SE_iiiii
		.amdhsa_group_segment_fixed_size 544
		.amdhsa_private_segment_fixed_size 268
		.amdhsa_kernarg_size 400
		.amdhsa_user_sgpr_count 13
		.amdhsa_user_sgpr_dispatch_ptr 0
		.amdhsa_user_sgpr_queue_ptr 0
		.amdhsa_user_sgpr_kernarg_segment_ptr 1
		.amdhsa_user_sgpr_dispatch_id 0
		.amdhsa_user_sgpr_private_segment_size 0
		.amdhsa_wavefront_size32 1
		.amdhsa_uses_dynamic_stack 0
		.amdhsa_enable_private_segment 1
		.amdhsa_system_sgpr_workgroup_id_x 1
		.amdhsa_system_sgpr_workgroup_id_y 1
		.amdhsa_system_sgpr_workgroup_id_z 1
		.amdhsa_system_sgpr_workgroup_info 0
		.amdhsa_system_vgpr_workitem_id 0
		.amdhsa_next_free_vgpr 184
		.amdhsa_next_free_sgpr 44
		.amdhsa_reserve_vcc 1
		.amdhsa_float_round_mode_32 0
		.amdhsa_float_round_mode_16_64 0
		.amdhsa_float_denorm_mode_32 3
		.amdhsa_float_denorm_mode_16_64 3
		.amdhsa_dx10_clamp 1
		.amdhsa_ieee_mode 1
		.amdhsa_fp16_overflow 0
		.amdhsa_workgroup_processor_mode 1
		.amdhsa_memory_ordered 1
		.amdhsa_forward_progress 0
		.amdhsa_shared_vgpr_count 0
		.amdhsa_exception_fp_ieee_invalid_op 0
		.amdhsa_exception_fp_denorm_src 0
		.amdhsa_exception_fp_ieee_div_zero 0
		.amdhsa_exception_fp_ieee_overflow 0
		.amdhsa_exception_fp_ieee_underflow 0
		.amdhsa_exception_fp_ieee_inexact 0
		.amdhsa_exception_int_div_zero 0
	.end_amdhsa_kernel
	.section	.text._ZN4vllm25paged_attention_v2_kernelI14__hip_bfloat16hLi256ELi8ELi128ELNS_18Fp8KVCacheDataTypeE1ELb0ELi512EEEvPfS3_PT_PKS4_PKT0_SA_ifPKiSC_iPKfiiiSE_SE_iiiii,"axG",@progbits,_ZN4vllm25paged_attention_v2_kernelI14__hip_bfloat16hLi256ELi8ELi128ELNS_18Fp8KVCacheDataTypeE1ELb0ELi512EEEvPfS3_PT_PKS4_PKT0_SA_ifPKiSC_iPKfiiiSE_SE_iiiii,comdat
.Lfunc_end399:
	.size	_ZN4vllm25paged_attention_v2_kernelI14__hip_bfloat16hLi256ELi8ELi128ELNS_18Fp8KVCacheDataTypeE1ELb0ELi512EEEvPfS3_PT_PKS4_PKT0_SA_ifPKiSC_iPKfiiiSE_SE_iiiii, .Lfunc_end399-_ZN4vllm25paged_attention_v2_kernelI14__hip_bfloat16hLi256ELi8ELi128ELNS_18Fp8KVCacheDataTypeE1ELb0ELi512EEEvPfS3_PT_PKS4_PKT0_SA_ifPKiSC_iPKfiiiSE_SE_iiiii
                                        ; -- End function
	.section	.AMDGPU.csdata,"",@progbits
; Kernel info:
; codeLenInByte = 232
; NumSgprs: 46
; NumVgprs: 184
; ScratchSize: 268
; MemoryBound: 0
; FloatMode: 240
; IeeeMode: 1
; LDSByteSize: 544 bytes/workgroup (compile time only)
; SGPRBlocks: 5
; VGPRBlocks: 22
; NumSGPRsForWavesPerEU: 46
; NumVGPRsForWavesPerEU: 184
; Occupancy: 8
; WaveLimiterHint : 1
; COMPUTE_PGM_RSRC2:SCRATCH_EN: 1
; COMPUTE_PGM_RSRC2:USER_SGPR: 13
; COMPUTE_PGM_RSRC2:TRAP_HANDLER: 0
; COMPUTE_PGM_RSRC2:TGID_X_EN: 1
; COMPUTE_PGM_RSRC2:TGID_Y_EN: 1
; COMPUTE_PGM_RSRC2:TGID_Z_EN: 1
; COMPUTE_PGM_RSRC2:TIDIG_COMP_CNT: 0
	.section	.text._ZN4vllm25paged_attention_v2_kernelI14__hip_bfloat16hLi32ELi16ELi128ELNS_18Fp8KVCacheDataTypeE1ELb1ELi512EEEvPfS3_PT_PKS4_PKT0_SA_ifPKiSC_iPKfiiiSE_SE_iiiii,"axG",@progbits,_ZN4vllm25paged_attention_v2_kernelI14__hip_bfloat16hLi32ELi16ELi128ELNS_18Fp8KVCacheDataTypeE1ELb1ELi512EEEvPfS3_PT_PKS4_PKT0_SA_ifPKiSC_iPKfiiiSE_SE_iiiii,comdat
	.protected	_ZN4vllm25paged_attention_v2_kernelI14__hip_bfloat16hLi32ELi16ELi128ELNS_18Fp8KVCacheDataTypeE1ELb1ELi512EEEvPfS3_PT_PKS4_PKT0_SA_ifPKiSC_iPKfiiiSE_SE_iiiii ; -- Begin function _ZN4vllm25paged_attention_v2_kernelI14__hip_bfloat16hLi32ELi16ELi128ELNS_18Fp8KVCacheDataTypeE1ELb1ELi512EEEvPfS3_PT_PKS4_PKT0_SA_ifPKiSC_iPKfiiiSE_SE_iiiii
	.globl	_ZN4vllm25paged_attention_v2_kernelI14__hip_bfloat16hLi32ELi16ELi128ELNS_18Fp8KVCacheDataTypeE1ELb1ELi512EEEvPfS3_PT_PKS4_PKT0_SA_ifPKiSC_iPKfiiiSE_SE_iiiii
	.p2align	8
	.type	_ZN4vllm25paged_attention_v2_kernelI14__hip_bfloat16hLi32ELi16ELi128ELNS_18Fp8KVCacheDataTypeE1ELb1ELi512EEEvPfS3_PT_PKS4_PKT0_SA_ifPKiSC_iPKfiiiSE_SE_iiiii,@function
_ZN4vllm25paged_attention_v2_kernelI14__hip_bfloat16hLi32ELi16ELi128ELNS_18Fp8KVCacheDataTypeE1ELb1ELi512EEEvPfS3_PT_PKS4_PKT0_SA_ifPKiSC_iPKfiiiSE_SE_iiiii: ; @_ZN4vllm25paged_attention_v2_kernelI14__hip_bfloat16hLi32ELi16ELi128ELNS_18Fp8KVCacheDataTypeE1ELb1ELi512EEEvPfS3_PT_PKS4_PKT0_SA_ifPKiSC_iPKfiiiSE_SE_iiiii
; %bb.0:
	s_load_b64 s[2:3], s[0:1], 0x40
	s_mov_b32 s26, s15
	s_ashr_i32 s15, s14, 31
	s_delay_alu instid0(SALU_CYCLE_1)
	s_lshl_b64 s[4:5], s[14:15], 2
	s_waitcnt lgkmcnt(0)
	s_add_u32 s2, s2, s4
	s_addc_u32 s3, s3, s5
	s_lshl_b32 s27, s26, 9
	s_load_b32 s33, s[2:3], 0x0
	s_waitcnt lgkmcnt(0)
	s_cmp_ge_i32 s27, s33
	s_cbranch_scc1 .LBB400_545
; %bb.1:
	s_clause 0x1
	s_load_b32 s15, s[0:1], 0x90
	s_load_b64 s[38:39], s[0:1], 0x30
	s_mov_b32 s28, s13
	s_mov_b32 s43, 0
	s_waitcnt lgkmcnt(0)
	s_abs_i32 s5, s15
	s_abs_i32 s2, s38
	s_delay_alu instid0(SALU_CYCLE_1) | instskip(SKIP_1) | instid1(VALU_DEP_1)
	v_cvt_f32_u32_e32 v1, s2
	s_sub_i32 s4, 0, s2
	v_rcp_iflag_f32_e32 v1, v1
	s_waitcnt_depctr 0xfff
	v_mul_f32_e32 v1, 0x4f7ffffe, v1
	s_delay_alu instid0(VALU_DEP_1) | instskip(NEXT) | instid1(VALU_DEP_1)
	v_cvt_u32_f32_e32 v1, v1
	v_readfirstlane_b32 s3, v1
	s_delay_alu instid0(VALU_DEP_1) | instskip(NEXT) | instid1(SALU_CYCLE_1)
	s_mul_i32 s4, s4, s3
	s_mul_hi_u32 s4, s3, s4
	s_delay_alu instid0(SALU_CYCLE_1) | instskip(SKIP_4) | instid1(SALU_CYCLE_1)
	s_add_i32 s3, s3, s4
	s_xor_b32 s4, s15, s38
	s_mul_hi_u32 s3, s5, s3
	s_ashr_i32 s4, s4, 31
	s_mul_i32 s6, s3, s2
	s_sub_i32 s5, s5, s6
	s_add_i32 s6, s3, 1
	s_sub_i32 s7, s5, s2
	s_cmp_ge_u32 s5, s2
	s_cselect_b32 s3, s6, s3
	s_cselect_b32 s5, s7, s5
	s_add_i32 s6, s3, 1
	s_cmp_ge_u32 s5, s2
	s_cselect_b32 s2, s6, s3
	s_delay_alu instid0(SALU_CYCLE_1) | instskip(NEXT) | instid1(SALU_CYCLE_1)
	s_xor_b32 s2, s2, s4
	s_sub_i32 s7, s2, s4
	s_load_b64 s[2:3], s[0:1], 0x50
	s_abs_i32 s4, s7
	s_delay_alu instid0(SALU_CYCLE_1) | instskip(SKIP_1) | instid1(VALU_DEP_1)
	v_cvt_f32_u32_e32 v1, s4
	s_sub_i32 s5, 0, s4
	v_rcp_iflag_f32_e32 v1, v1
	s_waitcnt_depctr 0xfff
	v_mul_f32_e32 v1, 0x4f7ffffe, v1
	s_delay_alu instid0(VALU_DEP_1) | instskip(NEXT) | instid1(VALU_DEP_1)
	v_cvt_u32_f32_e32 v1, v1
	v_readfirstlane_b32 s6, v1
	s_delay_alu instid0(VALU_DEP_1) | instskip(NEXT) | instid1(SALU_CYCLE_1)
	s_mul_i32 s5, s5, s6
	s_mul_hi_u32 s8, s6, s5
	s_abs_i32 s5, s13
	s_add_i32 s6, s6, s8
	s_waitcnt lgkmcnt(0)
	s_cmp_eq_u64 s[2:3], 0
	s_mul_hi_u32 s6, s5, s6
	s_cbranch_scc1 .LBB400_3
; %bb.2:
	s_ashr_i32 s29, s28, 31
	s_delay_alu instid0(SALU_CYCLE_1) | instskip(NEXT) | instid1(SALU_CYCLE_1)
	s_lshl_b64 s[8:9], s[28:29], 2
	s_add_u32 s2, s2, s8
	s_addc_u32 s3, s3, s9
	s_load_b32 s43, s[2:3], 0x0
.LBB400_3:
	s_load_b128 s[8:11], s[0:1], 0x58
	v_lshrrev_b32_e32 v19, 1, v0
	v_and_b32_e32 v20, 1, v0
	v_lshlrev_b32_e32 v26, 3, v0
	s_ashr_i32 s2, s28, 31
	s_ashr_i32 s3, s7, 31
	s_lshl_b32 s12, s28, 5
	s_mov_b32 s7, exec_lo
	v_cmpx_gt_u32_e32 8, v0
	s_cbranch_execz .LBB400_5
; %bb.4:
	s_load_b64 s[16:17], s[0:1], 0x18
	s_waitcnt lgkmcnt(0)
	s_mul_i32 s18, s14, s8
	v_lshlrev_b32_e32 v3, 3, v19
	s_ashr_i32 s19, s18, 31
	s_delay_alu instid0(SALU_CYCLE_1) | instskip(NEXT) | instid1(VALU_DEP_1)
	s_lshl_b64 s[18:19], s[18:19], 1
	v_lshl_add_u32 v3, v20, 5, v3
	s_add_u32 s8, s16, s18
	s_addc_u32 s11, s17, s19
	s_ashr_i32 s13, s12, 31
	s_delay_alu instid0(SALU_CYCLE_1) | instskip(NEXT) | instid1(SALU_CYCLE_1)
	s_lshl_b64 s[16:17], s[12:13], 1
	s_add_u32 s16, s8, s16
	s_addc_u32 s17, s11, s17
	global_load_b64 v[1:2], v26, s[16:17]
	s_waitcnt vmcnt(0)
	ds_store_b64 v3, v[1:2]
.LBB400_5:
	s_or_b32 exec_lo, exec_lo, s7
	s_load_b128 s[16:19], s[0:1], 0x78
	s_mul_i32 s7, s6, s4
	s_xor_b32 s2, s2, s3
	s_sub_i32 s3, s5, s7
	s_add_i32 s5, s6, 1
	s_sub_i32 s7, s3, s4
	s_cmp_ge_u32 s3, s4
	s_waitcnt lgkmcnt(0)
	s_cselect_b32 s5, s5, s6
	s_cselect_b32 s3, s7, s3
	s_add_i32 s6, s5, 1
	s_cmp_ge_u32 s3, s4
	s_load_b32 s4, s[0:1], 0x88
	s_cselect_b32 s3, s6, s5
	s_add_i32 s5, s33, -1
	s_xor_b32 s3, s3, s2
	s_mov_b32 s6, -1
	s_sub_i32 s41, s3, s2
	s_abs_i32 s3, s5
	s_waitcnt lgkmcnt(0)
	s_barrier
	s_abs_i32 s13, s19
	buffer_gl0_inv
	v_cvt_f32_u32_e32 v1, s13
	s_sub_i32 s2, 0, s13
                                        ; implicit-def: $sgpr40
	s_delay_alu instid0(VALU_DEP_1) | instskip(SKIP_2) | instid1(VALU_DEP_1)
	v_rcp_iflag_f32_e32 v1, v1
	s_waitcnt_depctr 0xfff
	v_mul_f32_e32 v1, 0x4f7ffffe, v1
	v_cvt_u32_f32_e32 v1, v1
	s_delay_alu instid0(VALU_DEP_1) | instskip(NEXT) | instid1(VALU_DEP_1)
	v_readfirstlane_b32 s29, v1
	s_mul_i32 s2, s2, s29
	s_delay_alu instid0(SALU_CYCLE_1) | instskip(NEXT) | instid1(SALU_CYCLE_1)
	s_mul_hi_u32 s2, s29, s2
	s_add_i32 s29, s29, s2
	s_cmp_lt_i32 s4, 0
	s_mul_hi_u32 s2, s3, s29
	s_cbranch_scc0 .LBB400_7
; %bb.6:
	s_mul_i32 s6, s16, s38
	s_delay_alu instid0(SALU_CYCLE_1) | instskip(NEXT) | instid1(SALU_CYCLE_1)
	s_add_i32 s6, s41, s6
	s_mul_i32 s6, s6, s4
	s_delay_alu instid0(SALU_CYCLE_1)
	s_sub_i32 s40, 1, s6
	s_mov_b32 s6, 0
.LBB400_7:
	s_load_b64 s[30:31], s[0:1], 0x38
	s_ashr_i32 s8, s5, 31
	s_and_not1_b32 vcc_lo, exec_lo, s6
	s_ashr_i32 s19, s19, 31
	s_cbranch_vccnz .LBB400_9
; %bb.8:
	s_mul_i32 s5, s15, s16
	s_delay_alu instid0(SALU_CYCLE_1) | instskip(NEXT) | instid1(SALU_CYCLE_1)
	s_add_i32 s5, s5, s28
	s_mul_i32 s4, s5, s4
	s_delay_alu instid0(SALU_CYCLE_1)
	s_add_i32 s40, s4, 1
.LBB400_9:
	s_clause 0x5
	s_load_b32 s16, s[0:1], 0x48
	s_load_b64 s[36:37], s[0:1], 0x28
	s_load_b128 s[20:23], s[0:1], 0x0
	s_load_b64 s[24:25], s[0:1], 0x10
	s_load_b32 s11, s[0:1], 0x98
	s_load_b128 s[4:7], s[0:1], 0x68
	s_xor_b32 s42, s8, s19
	s_mul_i32 s8, s2, s13
	s_add_i32 s38, s2, 1
	s_sub_i32 s3, s3, s8
	v_lshrrev_b32_e32 v21, 5, v0
	s_sub_i32 s8, s3, s13
	v_mov_b32_e32 v23, 0xff7fffff
	v_mbcnt_lo_u32_b32 v24, -1, 0
	s_mul_i32 s41, s41, s10
	v_lshl_add_u32 v22, v21, 4, s27
	s_waitcnt lgkmcnt(0)
	s_mul_i32 s34, s14, s16
	s_delay_alu instid0(SALU_CYCLE_1)
	s_ashr_i32 s35, s34, 31
	s_cmp_ge_u32 s3, s13
	s_cselect_b32 s2, s38, s2
	s_cselect_b32 s3, s8, s3
	s_add_i32 s8, s2, 1
	s_cmp_ge_u32 s3, s13
	s_cselect_b32 s2, s8, s2
	s_add_i32 s3, s33, 15
	s_lshl_b32 s8, s26, 5
	s_ashr_i32 s16, s3, 31
	v_or_b32_e32 v9, s8, v21
	s_lshr_b32 s16, s16, 28
	s_delay_alu instid0(SALU_CYCLE_1)
	s_add_i32 s3, s3, s16
	s_add_i32 s16, s8, 32
	s_ashr_i32 s38, s3, 4
	s_xor_b32 s3, s2, s42
	s_min_i32 s16, s16, s38
	v_ashrrev_i32_e32 v10, 31, v9
	v_cmp_gt_i32_e64 s2, s16, v9
	s_sub_i32 s42, s3, s42
	s_delay_alu instid0(VALU_DEP_1)
	s_and_saveexec_b32 s10, s2
	s_cbranch_execz .LBB400_211
; %bb.10:
	s_load_b64 s[0:1], s[0:1], 0x20
	s_sub_i32 s44, s42, s17
	s_ashr_i32 s3, s41, 31
	v_bfe_u32 v25, v0, 1, 4
	v_cmp_eq_u32_e32 vcc_lo, 0, v20
	v_dual_mov_b32 v34, v9 :: v_dual_lshlrev_b32 v27, 2, v20
	v_mov_b32_e32 v30, 0xff7fffff
	s_delay_alu instid0(VALU_DEP_4) | instskip(SKIP_3) | instid1(VALU_DEP_4)
	v_lshlrev_b32_e32 v4, 2, v25
	v_lshlrev_b32_e32 v7, 4, v25
	v_subrev_nc_u32_e32 v5, s33, v25
	v_dual_mov_b32 v23, 0xff7fffff :: v_dual_lshlrev_b32 v28, 5, v20
	v_lshl_or_b32 v4, v21, 6, v4
	v_lshl_add_u32 v29, v21, 4, s27
	s_delay_alu instid0(VALU_DEP_4) | instskip(NEXT) | instid1(VALU_DEP_3)
	v_add_nc_u32_e32 v31, 1, v5
	v_add_nc_u32_e32 v32, 0x60, v4
	s_waitcnt lgkmcnt(0)
	s_add_u32 s48, s0, s41
	s_addc_u32 s1, s1, s3
	s_abs_i32 s45, s18
	s_lshl_b64 s[46:47], s[34:35], 2
	v_cvt_f32_u32_e32 v1, s45
	s_sub_i32 s3, 0, s45
	v_cmp_neq_f32_e64 s0, s43, 0
	s_delay_alu instid0(VALU_DEP_2) | instskip(SKIP_3) | instid1(VALU_DEP_2)
	v_rcp_iflag_f32_e32 v1, v1
	s_waitcnt_depctr 0xfff
	v_dual_mov_b32 v12, 0 :: v_dual_mul_f32 v3, 0x4f7ffffe, v1
	v_lshlrev_b64 v[1:2], 2, v[9:10]
	v_cvt_u32_f32_e32 v3, v3
	s_delay_alu instid0(VALU_DEP_1) | instskip(SKIP_1) | instid1(VALU_DEP_1)
	v_mul_lo_u32 v6, s3, v3
	v_add_co_u32 v13, s3, s48, v7
	v_add_co_ci_u32_e64 v14, null, s1, 0, s3
	s_add_u32 s1, s30, s46
	s_addc_u32 s3, s31, s47
	v_add_co_u32 v15, s1, s1, v1
	s_delay_alu instid0(VALU_DEP_4) | instskip(SKIP_3) | instid1(VALU_DEP_2)
	v_mul_hi_u32 v4, v3, v6
	v_add_co_ci_u32_e64 v16, s1, s3, v2, s1
	s_mov_b32 s46, 0
	s_mov_b32 s47, s9
	v_add_nc_u32_e32 v33, v3, v4
	s_branch .LBB400_13
.LBB400_11:                             ;   in Loop: Header=BB400_13 Depth=1
	s_or_b32 exec_lo, exec_lo, s48
.LBB400_12:                             ;   in Loop: Header=BB400_13 Depth=1
	s_delay_alu instid0(SALU_CYCLE_1) | instskip(SKIP_2) | instid1(VALU_DEP_1)
	s_or_b32 exec_lo, exec_lo, s3
	v_add_nc_u32_e32 v34, 4, v34
	v_add_co_u32 v15, s3, v15, 16
	v_add_co_ci_u32_e64 v16, s3, 0, v16, s3
	s_delay_alu instid0(VALU_DEP_3) | instskip(SKIP_2) | instid1(VALU_DEP_3)
	v_cmp_le_i32_e64 s1, s16, v34
	v_add_nc_u32_e32 v29, 64, v29
	v_add_nc_u32_e32 v32, 0x100, v32
	s_or_b32 s46, s1, s46
	s_delay_alu instid0(SALU_CYCLE_1)
	s_and_not1_b32 exec_lo, exec_lo, s46
	s_cbranch_execz .LBB400_210
.LBB400_13:                             ; =>This Inner Loop Header: Depth=1
	v_sub_nc_u32_e32 v1, 0, v29
	s_delay_alu instid0(VALU_DEP_1) | instskip(SKIP_1) | instid1(VALU_DEP_1)
	v_max_i32_e32 v1, v29, v1
	s_waitcnt lgkmcnt(0)
	v_mul_hi_u32 v2, v1, s29
	s_delay_alu instid0(VALU_DEP_1) | instskip(NEXT) | instid1(VALU_DEP_1)
	v_mul_lo_u32 v3, v2, s13
	v_sub_nc_u32_e32 v1, v1, v3
	v_add_nc_u32_e32 v3, 1, v2
	s_delay_alu instid0(VALU_DEP_2) | instskip(SKIP_1) | instid1(VALU_DEP_1)
	v_subrev_nc_u32_e32 v4, s13, v1
	v_cmp_le_u32_e64 s1, s13, v1
	v_cndmask_b32_e64 v2, v2, v3, s1
	s_delay_alu instid0(VALU_DEP_3) | instskip(SKIP_1) | instid1(VALU_DEP_3)
	v_cndmask_b32_e64 v1, v1, v4, s1
	v_ashrrev_i32_e32 v3, 31, v29
	v_add_nc_u32_e32 v4, 1, v2
	s_delay_alu instid0(VALU_DEP_3) | instskip(NEXT) | instid1(VALU_DEP_3)
	v_cmp_le_u32_e64 s1, s13, v1
	v_xor_b32_e32 v3, s19, v3
	s_delay_alu instid0(VALU_DEP_2) | instskip(NEXT) | instid1(VALU_DEP_1)
	v_cndmask_b32_e64 v1, v2, v4, s1
	v_xor_b32_e32 v1, v1, v3
	s_delay_alu instid0(VALU_DEP_1) | instskip(NEXT) | instid1(VALU_DEP_1)
	v_sub_nc_u32_e32 v1, v1, v3
	v_add_nc_u32_e32 v2, s40, v1
	v_cmp_ge_i32_e64 s3, s44, v1
	s_delay_alu instid0(VALU_DEP_2) | instskip(NEXT) | instid1(VALU_DEP_1)
	v_sub_nc_u32_e32 v3, 0, v2
	v_max_i32_e32 v3, v2, v3
	v_ashrrev_i32_e32 v2, 31, v2
	s_delay_alu instid0(VALU_DEP_2) | instskip(NEXT) | instid1(VALU_DEP_1)
	v_mul_hi_u32 v4, v3, v33
	v_mul_lo_u32 v4, v4, s45
	s_delay_alu instid0(VALU_DEP_1) | instskip(NEXT) | instid1(VALU_DEP_1)
	v_sub_nc_u32_e32 v3, v3, v4
	v_subrev_nc_u32_e32 v4, s45, v3
	v_cmp_le_u32_e64 s1, s45, v3
	s_delay_alu instid0(VALU_DEP_1) | instskip(NEXT) | instid1(VALU_DEP_1)
	v_cndmask_b32_e64 v3, v3, v4, s1
	v_subrev_nc_u32_e32 v4, s45, v3
	v_cmp_le_u32_e64 s1, s45, v3
	s_delay_alu instid0(VALU_DEP_1) | instskip(NEXT) | instid1(VALU_DEP_1)
	v_cndmask_b32_e64 v3, v3, v4, s1
	v_xor_b32_e32 v3, v3, v2
	s_delay_alu instid0(VALU_DEP_1) | instskip(NEXT) | instid1(VALU_DEP_1)
	v_sub_nc_u32_e32 v2, v3, v2
	v_cmp_ne_u32_e64 s1, 0, v2
	s_delay_alu instid0(VALU_DEP_1) | instskip(NEXT) | instid1(SALU_CYCLE_1)
	s_and_b32 s1, s1, s3
	s_and_b32 s48, vcc_lo, s1
	s_delay_alu instid0(SALU_CYCLE_1)
	s_and_saveexec_b32 s3, s48
	s_cbranch_execz .LBB400_15
; %bb.14:                               ;   in Loop: Header=BB400_13 Depth=1
	ds_store_b32 v32, v30
.LBB400_15:                             ;   in Loop: Header=BB400_13 Depth=1
	s_or_b32 exec_lo, exec_lo, s3
	s_xor_b32 s1, s1, -1
	s_delay_alu instid0(SALU_CYCLE_1)
	s_and_saveexec_b32 s3, s1
	s_cbranch_execz .LBB400_12
; %bb.16:                               ;   in Loop: Header=BB400_13 Depth=1
	global_load_b32 v3, v[15:16], off
	v_mov_b32_e32 v11, 0
	s_mov_b32 s49, exec_lo
	s_waitcnt vmcnt(0)
	v_mad_i64_i32 v[1:2], null, v3, s47, v[13:14]
	s_delay_alu instid0(VALU_DEP_1) | instskip(NEXT) | instid1(VALU_DEP_1)
	v_add_co_u32 v17, s1, v1, v27
	v_add_co_ci_u32_e64 v18, s1, 0, v2, s1
	global_load_b32 v38, v[17:18], off
	ds_load_b128 v[5:8], v28
	ds_load_b128 v[1:4], v28 offset:16
	s_load_b32 s48, s[4:5], 0x0
	s_waitcnt vmcnt(0)
	v_and_b32_e32 v35, 0xff, v38
	s_delay_alu instid0(VALU_DEP_1)
	v_cmpx_ne_u16_e32 0, v35
	s_cbranch_execz .LBB400_24
; %bb.17:                               ;   in Loop: Header=BB400_13 Depth=1
	v_bfrev_b32_e32 v11, 1
	s_mov_b32 s50, exec_lo
	v_cmpx_ne_u16_e32 0x80, v35
	s_cbranch_execz .LBB400_23
; %bb.18:                               ;   in Loop: Header=BB400_13 Depth=1
	v_and_b32_e32 v36, 0x7f, v38
	v_mov_b32_e32 v11, 0x7f800001
	s_mov_b32 s51, exec_lo
	s_delay_alu instid0(VALU_DEP_2)
	v_cmpx_ne_u32_e32 0x7f, v36
	s_cbranch_execz .LBB400_22
; %bb.19:                               ;   in Loop: Header=BB400_13 Depth=1
	v_and_b32_e32 v11, 7, v38
	v_lshrrev_b32_e32 v35, 3, v36
	s_mov_b32 s52, exec_lo
	v_cmpx_gt_u32_e32 8, v36
; %bb.20:                               ;   in Loop: Header=BB400_13 Depth=1
	s_delay_alu instid0(VALU_DEP_3) | instskip(NEXT) | instid1(VALU_DEP_1)
	v_clz_i32_u32_e32 v35, v11
	v_min_u32_e32 v35, 32, v35
	s_delay_alu instid0(VALU_DEP_1) | instskip(SKIP_1) | instid1(VALU_DEP_2)
	v_subrev_nc_u32_e32 v36, 28, v35
	v_sub_nc_u32_e32 v35, 29, v35
	v_lshlrev_b64 v[36:37], v36, v[11:12]
	s_delay_alu instid0(VALU_DEP_1)
	v_and_b32_e32 v11, 7, v36
; %bb.21:                               ;   in Loop: Header=BB400_13 Depth=1
	s_or_b32 exec_lo, exec_lo, s52
	v_lshlrev_b32_e32 v36, 24, v38
	s_delay_alu instid0(VALU_DEP_2) | instskip(SKIP_1) | instid1(VALU_DEP_3)
	v_lshlrev_b32_e32 v11, 20, v11
	v_lshl_add_u32 v35, v35, 23, 0x3c000000
	v_and_b32_e32 v36, 0x80000000, v36
	s_delay_alu instid0(VALU_DEP_1)
	v_or3_b32 v11, v11, v36, v35
.LBB400_22:                             ;   in Loop: Header=BB400_13 Depth=1
	s_or_b32 exec_lo, exec_lo, s51
.LBB400_23:                             ;   in Loop: Header=BB400_13 Depth=1
	s_delay_alu instid0(SALU_CYCLE_1)
	s_or_b32 exec_lo, exec_lo, s50
.LBB400_24:                             ;   in Loop: Header=BB400_13 Depth=1
	s_delay_alu instid0(SALU_CYCLE_1) | instskip(SKIP_2) | instid1(VALU_DEP_1)
	s_or_b32 exec_lo, exec_lo, s49
	s_waitcnt lgkmcnt(0)
	v_mul_f32_e32 v11, s48, v11
	v_and_b32_e32 v35, 0x7f800000, v11
	s_delay_alu instid0(VALU_DEP_1) | instskip(NEXT) | instid1(VALU_DEP_1)
	v_cmp_ne_u32_e64 s1, 0x7f800000, v35
                                        ; implicit-def: $vgpr35
	s_and_saveexec_b32 s49, s1
	s_delay_alu instid0(SALU_CYCLE_1)
	s_xor_b32 s1, exec_lo, s49
; %bb.25:                               ;   in Loop: Header=BB400_13 Depth=1
	v_bfe_u32 v35, v11, 16, 1
	s_delay_alu instid0(VALU_DEP_1)
	v_add3_u32 v35, v11, v35, 0x7fff
                                        ; implicit-def: $vgpr11
; %bb.26:                               ;   in Loop: Header=BB400_13 Depth=1
	s_and_not1_saveexec_b32 s49, s1
; %bb.27:                               ;   in Loop: Header=BB400_13 Depth=1
	v_and_b32_e32 v35, 0xffff, v11
	v_or_b32_e32 v36, 0x10000, v11
	s_delay_alu instid0(VALU_DEP_2) | instskip(NEXT) | instid1(VALU_DEP_1)
	v_cmp_eq_u32_e64 s1, 0, v35
	v_cndmask_b32_e64 v35, v36, v11, s1
; %bb.28:                               ;   in Loop: Header=BB400_13 Depth=1
	s_or_b32 exec_lo, exec_lo, s49
	v_lshrrev_b16 v36, 8, v38
	v_mov_b32_e32 v11, 0
	s_mov_b32 s49, exec_lo
	s_delay_alu instid0(VALU_DEP_2)
	v_cmpx_ne_u16_e32 0, v36
	s_cbranch_execz .LBB400_36
; %bb.29:                               ;   in Loop: Header=BB400_13 Depth=1
	v_bfrev_b32_e32 v11, 1
	s_mov_b32 s50, exec_lo
	v_cmpx_ne_u16_e32 0x80, v36
	s_cbranch_execz .LBB400_35
; %bb.30:                               ;   in Loop: Header=BB400_13 Depth=1
	v_and_b32_e32 v36, 0xffff, v36
	v_mov_b32_e32 v11, 0x7f800001
	s_mov_b32 s51, exec_lo
	s_delay_alu instid0(VALU_DEP_2) | instskip(NEXT) | instid1(VALU_DEP_1)
	v_and_b32_e32 v37, 0x7f, v36
	v_cmpx_ne_u32_e32 0x7f, v37
	s_cbranch_execz .LBB400_34
; %bb.31:                               ;   in Loop: Header=BB400_13 Depth=1
	v_and_b32_e32 v11, 7, v36
	v_lshrrev_b32_e32 v36, 3, v37
	s_mov_b32 s52, exec_lo
	v_cmpx_gt_u32_e32 8, v37
; %bb.32:                               ;   in Loop: Header=BB400_13 Depth=1
	s_delay_alu instid0(VALU_DEP_3) | instskip(NEXT) | instid1(VALU_DEP_1)
	v_clz_i32_u32_e32 v36, v11
	v_min_u32_e32 v36, 32, v36
	s_delay_alu instid0(VALU_DEP_1) | instskip(SKIP_1) | instid1(VALU_DEP_2)
	v_subrev_nc_u32_e32 v37, 28, v36
	v_sub_nc_u32_e32 v36, 29, v36
	v_lshlrev_b64 v[39:40], v37, v[11:12]
	s_delay_alu instid0(VALU_DEP_1)
	v_and_b32_e32 v11, 7, v39
; %bb.33:                               ;   in Loop: Header=BB400_13 Depth=1
	s_or_b32 exec_lo, exec_lo, s52
	v_lshlrev_b32_e32 v37, 16, v38
	s_delay_alu instid0(VALU_DEP_2) | instskip(SKIP_1) | instid1(VALU_DEP_3)
	v_lshlrev_b32_e32 v11, 20, v11
	v_lshl_add_u32 v36, v36, 23, 0x3c000000
	v_and_b32_e32 v37, 0x80000000, v37
	s_delay_alu instid0(VALU_DEP_1)
	v_or3_b32 v11, v11, v37, v36
.LBB400_34:                             ;   in Loop: Header=BB400_13 Depth=1
	s_or_b32 exec_lo, exec_lo, s51
.LBB400_35:                             ;   in Loop: Header=BB400_13 Depth=1
	s_delay_alu instid0(SALU_CYCLE_1)
	s_or_b32 exec_lo, exec_lo, s50
.LBB400_36:                             ;   in Loop: Header=BB400_13 Depth=1
	s_delay_alu instid0(SALU_CYCLE_1) | instskip(NEXT) | instid1(VALU_DEP_1)
	s_or_b32 exec_lo, exec_lo, s49
	v_mul_f32_e32 v11, s48, v11
	s_delay_alu instid0(VALU_DEP_1) | instskip(NEXT) | instid1(VALU_DEP_1)
	v_and_b32_e32 v36, 0x7f800000, v11
	v_cmp_ne_u32_e64 s1, 0x7f800000, v36
                                        ; implicit-def: $vgpr36
	s_delay_alu instid0(VALU_DEP_1) | instskip(NEXT) | instid1(SALU_CYCLE_1)
	s_and_saveexec_b32 s49, s1
	s_xor_b32 s1, exec_lo, s49
; %bb.37:                               ;   in Loop: Header=BB400_13 Depth=1
	v_bfe_u32 v36, v11, 16, 1
	s_delay_alu instid0(VALU_DEP_1)
	v_add3_u32 v36, v11, v36, 0x7fff
                                        ; implicit-def: $vgpr11
; %bb.38:                               ;   in Loop: Header=BB400_13 Depth=1
	s_and_not1_saveexec_b32 s49, s1
; %bb.39:                               ;   in Loop: Header=BB400_13 Depth=1
	v_and_b32_e32 v36, 0xffff, v11
	v_or_b32_e32 v37, 0x10000, v11
	s_delay_alu instid0(VALU_DEP_2) | instskip(NEXT) | instid1(VALU_DEP_1)
	v_cmp_eq_u32_e64 s1, 0, v36
	v_cndmask_b32_e64 v36, v37, v11, s1
; %bb.40:                               ;   in Loop: Header=BB400_13 Depth=1
	s_or_b32 exec_lo, exec_lo, s49
	v_lshrrev_b32_e32 v37, 16, v38
	v_mov_b32_e32 v11, 0
	s_mov_b32 s49, exec_lo
	s_delay_alu instid0(VALU_DEP_2) | instskip(NEXT) | instid1(VALU_DEP_1)
	v_and_b32_e32 v39, 0xff, v37
	v_cmpx_ne_u16_e32 0, v39
	s_cbranch_execz .LBB400_48
; %bb.41:                               ;   in Loop: Header=BB400_13 Depth=1
	v_bfrev_b32_e32 v11, 1
	s_mov_b32 s50, exec_lo
	v_cmpx_ne_u16_e32 0x80, v39
	s_cbranch_execz .LBB400_47
; %bb.42:                               ;   in Loop: Header=BB400_13 Depth=1
	v_bfe_u32 v40, v38, 16, 7
	v_mov_b32_e32 v11, 0x7f800001
	s_mov_b32 s51, exec_lo
	s_delay_alu instid0(VALU_DEP_2)
	v_cmpx_ne_u32_e32 0x7f, v40
	s_cbranch_execz .LBB400_46
; %bb.43:                               ;   in Loop: Header=BB400_13 Depth=1
	v_and_b32_e32 v11, 7, v37
	v_lshrrev_b32_e32 v39, 3, v40
	s_mov_b32 s52, exec_lo
	v_cmpx_gt_u32_e32 8, v40
; %bb.44:                               ;   in Loop: Header=BB400_13 Depth=1
	s_delay_alu instid0(VALU_DEP_3) | instskip(NEXT) | instid1(VALU_DEP_1)
	v_clz_i32_u32_e32 v39, v11
	v_min_u32_e32 v39, 32, v39
	s_delay_alu instid0(VALU_DEP_1) | instskip(SKIP_1) | instid1(VALU_DEP_2)
	v_subrev_nc_u32_e32 v40, 28, v39
	v_sub_nc_u32_e32 v39, 29, v39
	v_lshlrev_b64 v[40:41], v40, v[11:12]
	s_delay_alu instid0(VALU_DEP_1)
	v_and_b32_e32 v11, 7, v40
; %bb.45:                               ;   in Loop: Header=BB400_13 Depth=1
	s_or_b32 exec_lo, exec_lo, s52
	v_lshlrev_b32_e32 v37, 24, v37
	s_delay_alu instid0(VALU_DEP_2) | instskip(SKIP_1) | instid1(VALU_DEP_3)
	v_lshlrev_b32_e32 v11, 20, v11
	v_lshl_add_u32 v39, v39, 23, 0x3c000000
	v_and_b32_e32 v37, 0x80000000, v37
	s_delay_alu instid0(VALU_DEP_1)
	v_or3_b32 v11, v11, v37, v39
.LBB400_46:                             ;   in Loop: Header=BB400_13 Depth=1
	s_or_b32 exec_lo, exec_lo, s51
.LBB400_47:                             ;   in Loop: Header=BB400_13 Depth=1
	s_delay_alu instid0(SALU_CYCLE_1)
	s_or_b32 exec_lo, exec_lo, s50
.LBB400_48:                             ;   in Loop: Header=BB400_13 Depth=1
	s_delay_alu instid0(SALU_CYCLE_1) | instskip(NEXT) | instid1(VALU_DEP_1)
	s_or_b32 exec_lo, exec_lo, s49
	v_mul_f32_e32 v11, s48, v11
	s_delay_alu instid0(VALU_DEP_1) | instskip(NEXT) | instid1(VALU_DEP_1)
	v_and_b32_e32 v37, 0x7f800000, v11
	v_cmp_ne_u32_e64 s1, 0x7f800000, v37
                                        ; implicit-def: $vgpr37
	s_delay_alu instid0(VALU_DEP_1) | instskip(NEXT) | instid1(SALU_CYCLE_1)
	s_and_saveexec_b32 s49, s1
	s_xor_b32 s1, exec_lo, s49
; %bb.49:                               ;   in Loop: Header=BB400_13 Depth=1
	v_bfe_u32 v37, v11, 16, 1
	s_delay_alu instid0(VALU_DEP_1)
	v_add3_u32 v37, v11, v37, 0x7fff
                                        ; implicit-def: $vgpr11
; %bb.50:                               ;   in Loop: Header=BB400_13 Depth=1
	s_and_not1_saveexec_b32 s49, s1
; %bb.51:                               ;   in Loop: Header=BB400_13 Depth=1
	v_and_b32_e32 v37, 0xffff, v11
	v_or_b32_e32 v39, 0x10000, v11
	s_delay_alu instid0(VALU_DEP_2) | instskip(NEXT) | instid1(VALU_DEP_1)
	v_cmp_eq_u32_e64 s1, 0, v37
	v_cndmask_b32_e64 v37, v39, v11, s1
; %bb.52:                               ;   in Loop: Header=BB400_13 Depth=1
	s_or_b32 exec_lo, exec_lo, s49
	v_mov_b32_e32 v11, 0
	s_mov_b32 s49, exec_lo
	v_cmpx_lt_u32_e32 0xffffff, v38
	s_cbranch_execz .LBB400_60
; %bb.53:                               ;   in Loop: Header=BB400_13 Depth=1
	v_lshrrev_b32_e32 v39, 24, v38
	v_bfrev_b32_e32 v11, 1
	s_mov_b32 s50, exec_lo
	s_delay_alu instid0(VALU_DEP_2)
	v_cmpx_ne_u32_e32 0x80, v39
	s_cbranch_execz .LBB400_59
; %bb.54:                               ;   in Loop: Header=BB400_13 Depth=1
	v_bfe_u32 v40, v38, 24, 7
	v_mov_b32_e32 v11, 0x7f800001
	s_mov_b32 s51, exec_lo
	s_delay_alu instid0(VALU_DEP_2)
	v_cmpx_ne_u32_e32 0x7f, v40
	s_cbranch_execz .LBB400_58
; %bb.55:                               ;   in Loop: Header=BB400_13 Depth=1
	v_and_b32_e32 v11, 7, v39
	v_lshrrev_b32_e32 v38, 3, v40
	s_mov_b32 s52, exec_lo
	v_cmpx_gt_u32_e32 8, v40
; %bb.56:                               ;   in Loop: Header=BB400_13 Depth=1
	s_delay_alu instid0(VALU_DEP_3) | instskip(NEXT) | instid1(VALU_DEP_1)
	v_clz_i32_u32_e32 v38, v11
	v_min_u32_e32 v38, 32, v38
	s_delay_alu instid0(VALU_DEP_1) | instskip(SKIP_1) | instid1(VALU_DEP_2)
	v_subrev_nc_u32_e32 v40, 28, v38
	v_sub_nc_u32_e32 v38, 29, v38
	v_lshlrev_b64 v[40:41], v40, v[11:12]
	s_delay_alu instid0(VALU_DEP_1)
	v_and_b32_e32 v11, 7, v40
; %bb.57:                               ;   in Loop: Header=BB400_13 Depth=1
	s_or_b32 exec_lo, exec_lo, s52
	v_lshlrev_b32_e32 v39, 24, v39
	s_delay_alu instid0(VALU_DEP_2) | instskip(SKIP_1) | instid1(VALU_DEP_3)
	v_lshlrev_b32_e32 v11, 20, v11
	v_lshl_add_u32 v38, v38, 23, 0x3c000000
	v_and_b32_e32 v39, 0x80000000, v39
	s_delay_alu instid0(VALU_DEP_1)
	v_or3_b32 v11, v11, v39, v38
.LBB400_58:                             ;   in Loop: Header=BB400_13 Depth=1
	s_or_b32 exec_lo, exec_lo, s51
.LBB400_59:                             ;   in Loop: Header=BB400_13 Depth=1
	s_delay_alu instid0(SALU_CYCLE_1)
	s_or_b32 exec_lo, exec_lo, s50
.LBB400_60:                             ;   in Loop: Header=BB400_13 Depth=1
	s_delay_alu instid0(SALU_CYCLE_1) | instskip(NEXT) | instid1(VALU_DEP_1)
	s_or_b32 exec_lo, exec_lo, s49
	v_mul_f32_e32 v11, s48, v11
	s_delay_alu instid0(VALU_DEP_1) | instskip(NEXT) | instid1(VALU_DEP_1)
	v_and_b32_e32 v38, 0x7f800000, v11
	v_cmp_ne_u32_e64 s1, 0x7f800000, v38
                                        ; implicit-def: $vgpr38
	s_delay_alu instid0(VALU_DEP_1) | instskip(NEXT) | instid1(SALU_CYCLE_1)
	s_and_saveexec_b32 s49, s1
	s_xor_b32 s1, exec_lo, s49
; %bb.61:                               ;   in Loop: Header=BB400_13 Depth=1
	v_bfe_u32 v38, v11, 16, 1
	s_delay_alu instid0(VALU_DEP_1)
	v_add3_u32 v38, v11, v38, 0x7fff
                                        ; implicit-def: $vgpr11
; %bb.62:                               ;   in Loop: Header=BB400_13 Depth=1
	s_and_not1_saveexec_b32 s49, s1
; %bb.63:                               ;   in Loop: Header=BB400_13 Depth=1
	v_and_b32_e32 v38, 0xffff, v11
	v_or_b32_e32 v39, 0x10000, v11
	s_delay_alu instid0(VALU_DEP_2) | instskip(NEXT) | instid1(VALU_DEP_1)
	v_cmp_eq_u32_e64 s1, 0, v38
	v_cndmask_b32_e64 v38, v39, v11, s1
; %bb.64:                               ;   in Loop: Header=BB400_13 Depth=1
	s_or_b32 exec_lo, exec_lo, s49
	global_load_b32 v42, v[17:18], off offset:8
	v_mov_b32_e32 v11, 0
	s_mov_b32 s49, exec_lo
	s_waitcnt vmcnt(0)
	v_and_b32_e32 v39, 0xff, v42
	s_delay_alu instid0(VALU_DEP_1)
	v_cmpx_ne_u16_e32 0, v39
	s_cbranch_execz .LBB400_72
; %bb.65:                               ;   in Loop: Header=BB400_13 Depth=1
	v_bfrev_b32_e32 v11, 1
	s_mov_b32 s50, exec_lo
	v_cmpx_ne_u16_e32 0x80, v39
	s_cbranch_execz .LBB400_71
; %bb.66:                               ;   in Loop: Header=BB400_13 Depth=1
	v_and_b32_e32 v40, 0x7f, v42
	v_mov_b32_e32 v11, 0x7f800001
	s_mov_b32 s51, exec_lo
	s_delay_alu instid0(VALU_DEP_2)
	v_cmpx_ne_u32_e32 0x7f, v40
	s_cbranch_execz .LBB400_70
; %bb.67:                               ;   in Loop: Header=BB400_13 Depth=1
	v_and_b32_e32 v11, 7, v42
	v_lshrrev_b32_e32 v39, 3, v40
	s_mov_b32 s52, exec_lo
	v_cmpx_gt_u32_e32 8, v40
; %bb.68:                               ;   in Loop: Header=BB400_13 Depth=1
	s_delay_alu instid0(VALU_DEP_3) | instskip(NEXT) | instid1(VALU_DEP_1)
	v_clz_i32_u32_e32 v39, v11
	v_min_u32_e32 v39, 32, v39
	s_delay_alu instid0(VALU_DEP_1) | instskip(SKIP_1) | instid1(VALU_DEP_2)
	v_subrev_nc_u32_e32 v40, 28, v39
	v_sub_nc_u32_e32 v39, 29, v39
	v_lshlrev_b64 v[40:41], v40, v[11:12]
	s_delay_alu instid0(VALU_DEP_1)
	v_and_b32_e32 v11, 7, v40
; %bb.69:                               ;   in Loop: Header=BB400_13 Depth=1
	s_or_b32 exec_lo, exec_lo, s52
	v_lshlrev_b32_e32 v40, 24, v42
	s_delay_alu instid0(VALU_DEP_2) | instskip(SKIP_1) | instid1(VALU_DEP_3)
	v_lshlrev_b32_e32 v11, 20, v11
	v_lshl_add_u32 v39, v39, 23, 0x3c000000
	v_and_b32_e32 v40, 0x80000000, v40
	s_delay_alu instid0(VALU_DEP_1)
	v_or3_b32 v11, v11, v40, v39
.LBB400_70:                             ;   in Loop: Header=BB400_13 Depth=1
	s_or_b32 exec_lo, exec_lo, s51
.LBB400_71:                             ;   in Loop: Header=BB400_13 Depth=1
	s_delay_alu instid0(SALU_CYCLE_1)
	s_or_b32 exec_lo, exec_lo, s50
.LBB400_72:                             ;   in Loop: Header=BB400_13 Depth=1
	s_delay_alu instid0(SALU_CYCLE_1) | instskip(NEXT) | instid1(VALU_DEP_1)
	s_or_b32 exec_lo, exec_lo, s49
	v_mul_f32_e32 v11, s48, v11
	s_delay_alu instid0(VALU_DEP_1) | instskip(NEXT) | instid1(VALU_DEP_1)
	v_and_b32_e32 v39, 0x7f800000, v11
	v_cmp_ne_u32_e64 s1, 0x7f800000, v39
                                        ; implicit-def: $vgpr39
	s_delay_alu instid0(VALU_DEP_1) | instskip(NEXT) | instid1(SALU_CYCLE_1)
	s_and_saveexec_b32 s49, s1
	s_xor_b32 s1, exec_lo, s49
; %bb.73:                               ;   in Loop: Header=BB400_13 Depth=1
	v_bfe_u32 v39, v11, 16, 1
	s_delay_alu instid0(VALU_DEP_1)
	v_add3_u32 v39, v11, v39, 0x7fff
                                        ; implicit-def: $vgpr11
; %bb.74:                               ;   in Loop: Header=BB400_13 Depth=1
	s_and_not1_saveexec_b32 s49, s1
; %bb.75:                               ;   in Loop: Header=BB400_13 Depth=1
	v_and_b32_e32 v39, 0xffff, v11
	v_or_b32_e32 v40, 0x10000, v11
	s_delay_alu instid0(VALU_DEP_2) | instskip(NEXT) | instid1(VALU_DEP_1)
	v_cmp_eq_u32_e64 s1, 0, v39
	v_cndmask_b32_e64 v39, v40, v11, s1
; %bb.76:                               ;   in Loop: Header=BB400_13 Depth=1
	s_or_b32 exec_lo, exec_lo, s49
	v_lshrrev_b16 v40, 8, v42
	v_mov_b32_e32 v11, 0
	s_mov_b32 s49, exec_lo
	s_delay_alu instid0(VALU_DEP_2)
	v_cmpx_ne_u16_e32 0, v40
	s_cbranch_execz .LBB400_84
; %bb.77:                               ;   in Loop: Header=BB400_13 Depth=1
	v_bfrev_b32_e32 v11, 1
	s_mov_b32 s50, exec_lo
	v_cmpx_ne_u16_e32 0x80, v40
	s_cbranch_execz .LBB400_83
; %bb.78:                               ;   in Loop: Header=BB400_13 Depth=1
	v_and_b32_e32 v40, 0xffff, v40
	v_mov_b32_e32 v11, 0x7f800001
	s_mov_b32 s51, exec_lo
	s_delay_alu instid0(VALU_DEP_2) | instskip(NEXT) | instid1(VALU_DEP_1)
	v_and_b32_e32 v41, 0x7f, v40
	v_cmpx_ne_u32_e32 0x7f, v41
	s_cbranch_execz .LBB400_82
; %bb.79:                               ;   in Loop: Header=BB400_13 Depth=1
	v_and_b32_e32 v11, 7, v40
	v_lshrrev_b32_e32 v40, 3, v41
	s_mov_b32 s52, exec_lo
	v_cmpx_gt_u32_e32 8, v41
; %bb.80:                               ;   in Loop: Header=BB400_13 Depth=1
	s_delay_alu instid0(VALU_DEP_3) | instskip(NEXT) | instid1(VALU_DEP_1)
	v_clz_i32_u32_e32 v40, v11
	v_min_u32_e32 v40, 32, v40
	s_delay_alu instid0(VALU_DEP_1) | instskip(SKIP_1) | instid1(VALU_DEP_2)
	v_subrev_nc_u32_e32 v41, 28, v40
	v_sub_nc_u32_e32 v40, 29, v40
	v_lshlrev_b64 v[43:44], v41, v[11:12]
	s_delay_alu instid0(VALU_DEP_1)
	v_and_b32_e32 v11, 7, v43
; %bb.81:                               ;   in Loop: Header=BB400_13 Depth=1
	s_or_b32 exec_lo, exec_lo, s52
	v_lshlrev_b32_e32 v41, 16, v42
	s_delay_alu instid0(VALU_DEP_2) | instskip(SKIP_1) | instid1(VALU_DEP_3)
	v_lshlrev_b32_e32 v11, 20, v11
	v_lshl_add_u32 v40, v40, 23, 0x3c000000
	v_and_b32_e32 v41, 0x80000000, v41
	s_delay_alu instid0(VALU_DEP_1)
	v_or3_b32 v11, v11, v41, v40
.LBB400_82:                             ;   in Loop: Header=BB400_13 Depth=1
	s_or_b32 exec_lo, exec_lo, s51
.LBB400_83:                             ;   in Loop: Header=BB400_13 Depth=1
	s_delay_alu instid0(SALU_CYCLE_1)
	s_or_b32 exec_lo, exec_lo, s50
.LBB400_84:                             ;   in Loop: Header=BB400_13 Depth=1
	s_delay_alu instid0(SALU_CYCLE_1) | instskip(NEXT) | instid1(VALU_DEP_1)
	s_or_b32 exec_lo, exec_lo, s49
	v_mul_f32_e32 v11, s48, v11
	s_delay_alu instid0(VALU_DEP_1) | instskip(NEXT) | instid1(VALU_DEP_1)
	v_and_b32_e32 v40, 0x7f800000, v11
	v_cmp_ne_u32_e64 s1, 0x7f800000, v40
                                        ; implicit-def: $vgpr40
	s_delay_alu instid0(VALU_DEP_1) | instskip(NEXT) | instid1(SALU_CYCLE_1)
	s_and_saveexec_b32 s49, s1
	s_xor_b32 s1, exec_lo, s49
; %bb.85:                               ;   in Loop: Header=BB400_13 Depth=1
	v_bfe_u32 v40, v11, 16, 1
	s_delay_alu instid0(VALU_DEP_1)
	v_add3_u32 v40, v11, v40, 0x7fff
                                        ; implicit-def: $vgpr11
; %bb.86:                               ;   in Loop: Header=BB400_13 Depth=1
	s_and_not1_saveexec_b32 s49, s1
; %bb.87:                               ;   in Loop: Header=BB400_13 Depth=1
	v_and_b32_e32 v40, 0xffff, v11
	v_or_b32_e32 v41, 0x10000, v11
	s_delay_alu instid0(VALU_DEP_2) | instskip(NEXT) | instid1(VALU_DEP_1)
	v_cmp_eq_u32_e64 s1, 0, v40
	v_cndmask_b32_e64 v40, v41, v11, s1
; %bb.88:                               ;   in Loop: Header=BB400_13 Depth=1
	s_or_b32 exec_lo, exec_lo, s49
	v_lshrrev_b32_e32 v41, 16, v42
	v_mov_b32_e32 v11, 0
	s_mov_b32 s49, exec_lo
	s_delay_alu instid0(VALU_DEP_2) | instskip(NEXT) | instid1(VALU_DEP_1)
	v_and_b32_e32 v43, 0xff, v41
	v_cmpx_ne_u16_e32 0, v43
	s_cbranch_execz .LBB400_96
; %bb.89:                               ;   in Loop: Header=BB400_13 Depth=1
	v_bfrev_b32_e32 v11, 1
	s_mov_b32 s50, exec_lo
	v_cmpx_ne_u16_e32 0x80, v43
	s_cbranch_execz .LBB400_95
; %bb.90:                               ;   in Loop: Header=BB400_13 Depth=1
	v_bfe_u32 v44, v42, 16, 7
	v_mov_b32_e32 v11, 0x7f800001
	s_mov_b32 s51, exec_lo
	s_delay_alu instid0(VALU_DEP_2)
	v_cmpx_ne_u32_e32 0x7f, v44
	s_cbranch_execz .LBB400_94
; %bb.91:                               ;   in Loop: Header=BB400_13 Depth=1
	v_and_b32_e32 v11, 7, v41
	v_lshrrev_b32_e32 v43, 3, v44
	s_mov_b32 s52, exec_lo
	v_cmpx_gt_u32_e32 8, v44
; %bb.92:                               ;   in Loop: Header=BB400_13 Depth=1
	s_delay_alu instid0(VALU_DEP_3) | instskip(NEXT) | instid1(VALU_DEP_1)
	v_clz_i32_u32_e32 v43, v11
	v_min_u32_e32 v43, 32, v43
	s_delay_alu instid0(VALU_DEP_1) | instskip(SKIP_1) | instid1(VALU_DEP_2)
	v_subrev_nc_u32_e32 v44, 28, v43
	v_sub_nc_u32_e32 v43, 29, v43
	v_lshlrev_b64 v[44:45], v44, v[11:12]
	s_delay_alu instid0(VALU_DEP_1)
	v_and_b32_e32 v11, 7, v44
; %bb.93:                               ;   in Loop: Header=BB400_13 Depth=1
	s_or_b32 exec_lo, exec_lo, s52
	v_lshlrev_b32_e32 v41, 24, v41
	s_delay_alu instid0(VALU_DEP_2) | instskip(SKIP_1) | instid1(VALU_DEP_3)
	v_lshlrev_b32_e32 v11, 20, v11
	v_lshl_add_u32 v43, v43, 23, 0x3c000000
	v_and_b32_e32 v41, 0x80000000, v41
	s_delay_alu instid0(VALU_DEP_1)
	v_or3_b32 v11, v11, v41, v43
.LBB400_94:                             ;   in Loop: Header=BB400_13 Depth=1
	s_or_b32 exec_lo, exec_lo, s51
.LBB400_95:                             ;   in Loop: Header=BB400_13 Depth=1
	s_delay_alu instid0(SALU_CYCLE_1)
	s_or_b32 exec_lo, exec_lo, s50
.LBB400_96:                             ;   in Loop: Header=BB400_13 Depth=1
	s_delay_alu instid0(SALU_CYCLE_1) | instskip(NEXT) | instid1(VALU_DEP_1)
	s_or_b32 exec_lo, exec_lo, s49
	v_mul_f32_e32 v11, s48, v11
	s_delay_alu instid0(VALU_DEP_1) | instskip(NEXT) | instid1(VALU_DEP_1)
	v_and_b32_e32 v41, 0x7f800000, v11
	v_cmp_ne_u32_e64 s1, 0x7f800000, v41
                                        ; implicit-def: $vgpr41
	s_delay_alu instid0(VALU_DEP_1) | instskip(NEXT) | instid1(SALU_CYCLE_1)
	s_and_saveexec_b32 s49, s1
	s_xor_b32 s1, exec_lo, s49
; %bb.97:                               ;   in Loop: Header=BB400_13 Depth=1
	v_bfe_u32 v41, v11, 16, 1
	s_delay_alu instid0(VALU_DEP_1)
	v_add3_u32 v41, v11, v41, 0x7fff
                                        ; implicit-def: $vgpr11
; %bb.98:                               ;   in Loop: Header=BB400_13 Depth=1
	s_and_not1_saveexec_b32 s49, s1
; %bb.99:                               ;   in Loop: Header=BB400_13 Depth=1
	v_and_b32_e32 v41, 0xffff, v11
	v_or_b32_e32 v43, 0x10000, v11
	s_delay_alu instid0(VALU_DEP_2) | instskip(NEXT) | instid1(VALU_DEP_1)
	v_cmp_eq_u32_e64 s1, 0, v41
	v_cndmask_b32_e64 v41, v43, v11, s1
; %bb.100:                              ;   in Loop: Header=BB400_13 Depth=1
	s_or_b32 exec_lo, exec_lo, s49
	v_mov_b32_e32 v11, 0
	s_mov_b32 s49, exec_lo
	v_cmpx_lt_u32_e32 0xffffff, v42
	s_cbranch_execz .LBB400_108
; %bb.101:                              ;   in Loop: Header=BB400_13 Depth=1
	v_lshrrev_b32_e32 v43, 24, v42
	v_bfrev_b32_e32 v11, 1
	s_mov_b32 s50, exec_lo
	s_delay_alu instid0(VALU_DEP_2)
	v_cmpx_ne_u32_e32 0x80, v43
	s_cbranch_execz .LBB400_107
; %bb.102:                              ;   in Loop: Header=BB400_13 Depth=1
	v_bfe_u32 v44, v42, 24, 7
	v_mov_b32_e32 v11, 0x7f800001
	s_mov_b32 s51, exec_lo
	s_delay_alu instid0(VALU_DEP_2)
	v_cmpx_ne_u32_e32 0x7f, v44
	s_cbranch_execz .LBB400_106
; %bb.103:                              ;   in Loop: Header=BB400_13 Depth=1
	v_and_b32_e32 v11, 7, v43
	v_lshrrev_b32_e32 v42, 3, v44
	s_mov_b32 s52, exec_lo
	v_cmpx_gt_u32_e32 8, v44
; %bb.104:                              ;   in Loop: Header=BB400_13 Depth=1
	s_delay_alu instid0(VALU_DEP_3) | instskip(NEXT) | instid1(VALU_DEP_1)
	v_clz_i32_u32_e32 v42, v11
	v_min_u32_e32 v42, 32, v42
	s_delay_alu instid0(VALU_DEP_1) | instskip(SKIP_1) | instid1(VALU_DEP_2)
	v_subrev_nc_u32_e32 v44, 28, v42
	v_sub_nc_u32_e32 v42, 29, v42
	v_lshlrev_b64 v[44:45], v44, v[11:12]
	s_delay_alu instid0(VALU_DEP_1)
	v_and_b32_e32 v11, 7, v44
; %bb.105:                              ;   in Loop: Header=BB400_13 Depth=1
	s_or_b32 exec_lo, exec_lo, s52
	v_lshlrev_b32_e32 v43, 24, v43
	s_delay_alu instid0(VALU_DEP_2) | instskip(SKIP_1) | instid1(VALU_DEP_3)
	v_lshlrev_b32_e32 v11, 20, v11
	v_lshl_add_u32 v42, v42, 23, 0x3c000000
	v_and_b32_e32 v43, 0x80000000, v43
	s_delay_alu instid0(VALU_DEP_1)
	v_or3_b32 v11, v11, v43, v42
.LBB400_106:                            ;   in Loop: Header=BB400_13 Depth=1
	s_or_b32 exec_lo, exec_lo, s51
.LBB400_107:                            ;   in Loop: Header=BB400_13 Depth=1
	s_delay_alu instid0(SALU_CYCLE_1)
	s_or_b32 exec_lo, exec_lo, s50
.LBB400_108:                            ;   in Loop: Header=BB400_13 Depth=1
	s_delay_alu instid0(SALU_CYCLE_1) | instskip(NEXT) | instid1(VALU_DEP_1)
	s_or_b32 exec_lo, exec_lo, s49
	v_mul_f32_e32 v11, s48, v11
	s_delay_alu instid0(VALU_DEP_1) | instskip(NEXT) | instid1(VALU_DEP_1)
	v_and_b32_e32 v42, 0x7f800000, v11
	v_cmp_ne_u32_e64 s1, 0x7f800000, v42
                                        ; implicit-def: $vgpr42
	s_delay_alu instid0(VALU_DEP_1) | instskip(NEXT) | instid1(SALU_CYCLE_1)
	s_and_saveexec_b32 s49, s1
	s_xor_b32 s1, exec_lo, s49
; %bb.109:                              ;   in Loop: Header=BB400_13 Depth=1
	v_bfe_u32 v42, v11, 16, 1
	s_delay_alu instid0(VALU_DEP_1)
	v_add3_u32 v42, v11, v42, 0x7fff
                                        ; implicit-def: $vgpr11
; %bb.110:                              ;   in Loop: Header=BB400_13 Depth=1
	s_and_not1_saveexec_b32 s49, s1
; %bb.111:                              ;   in Loop: Header=BB400_13 Depth=1
	v_and_b32_e32 v42, 0xffff, v11
	v_or_b32_e32 v43, 0x10000, v11
	s_delay_alu instid0(VALU_DEP_2) | instskip(NEXT) | instid1(VALU_DEP_1)
	v_cmp_eq_u32_e64 s1, 0, v42
	v_cndmask_b32_e64 v42, v43, v11, s1
; %bb.112:                              ;   in Loop: Header=BB400_13 Depth=1
	s_or_b32 exec_lo, exec_lo, s49
	global_load_b32 v46, v[17:18], off offset:256
	v_mov_b32_e32 v11, 0
	s_mov_b32 s49, exec_lo
	s_waitcnt vmcnt(0)
	v_and_b32_e32 v43, 0xff, v46
	s_delay_alu instid0(VALU_DEP_1)
	v_cmpx_ne_u16_e32 0, v43
	s_cbranch_execz .LBB400_120
; %bb.113:                              ;   in Loop: Header=BB400_13 Depth=1
	v_bfrev_b32_e32 v11, 1
	s_mov_b32 s50, exec_lo
	v_cmpx_ne_u16_e32 0x80, v43
	s_cbranch_execz .LBB400_119
; %bb.114:                              ;   in Loop: Header=BB400_13 Depth=1
	v_and_b32_e32 v44, 0x7f, v46
	v_mov_b32_e32 v11, 0x7f800001
	s_mov_b32 s51, exec_lo
	s_delay_alu instid0(VALU_DEP_2)
	v_cmpx_ne_u32_e32 0x7f, v44
	s_cbranch_execz .LBB400_118
; %bb.115:                              ;   in Loop: Header=BB400_13 Depth=1
	v_and_b32_e32 v11, 7, v46
	v_lshrrev_b32_e32 v43, 3, v44
	s_mov_b32 s52, exec_lo
	v_cmpx_gt_u32_e32 8, v44
; %bb.116:                              ;   in Loop: Header=BB400_13 Depth=1
	s_delay_alu instid0(VALU_DEP_3) | instskip(NEXT) | instid1(VALU_DEP_1)
	v_clz_i32_u32_e32 v43, v11
	v_min_u32_e32 v43, 32, v43
	s_delay_alu instid0(VALU_DEP_1) | instskip(SKIP_1) | instid1(VALU_DEP_2)
	v_subrev_nc_u32_e32 v44, 28, v43
	v_sub_nc_u32_e32 v43, 29, v43
	v_lshlrev_b64 v[44:45], v44, v[11:12]
	s_delay_alu instid0(VALU_DEP_1)
	v_and_b32_e32 v11, 7, v44
; %bb.117:                              ;   in Loop: Header=BB400_13 Depth=1
	s_or_b32 exec_lo, exec_lo, s52
	v_lshlrev_b32_e32 v44, 24, v46
	s_delay_alu instid0(VALU_DEP_2) | instskip(SKIP_1) | instid1(VALU_DEP_3)
	v_lshlrev_b32_e32 v11, 20, v11
	v_lshl_add_u32 v43, v43, 23, 0x3c000000
	v_and_b32_e32 v44, 0x80000000, v44
	s_delay_alu instid0(VALU_DEP_1)
	v_or3_b32 v11, v11, v44, v43
.LBB400_118:                            ;   in Loop: Header=BB400_13 Depth=1
	s_or_b32 exec_lo, exec_lo, s51
.LBB400_119:                            ;   in Loop: Header=BB400_13 Depth=1
	s_delay_alu instid0(SALU_CYCLE_1)
	s_or_b32 exec_lo, exec_lo, s50
.LBB400_120:                            ;   in Loop: Header=BB400_13 Depth=1
	s_delay_alu instid0(SALU_CYCLE_1) | instskip(NEXT) | instid1(VALU_DEP_1)
	s_or_b32 exec_lo, exec_lo, s49
	v_mul_f32_e32 v11, s48, v11
	s_delay_alu instid0(VALU_DEP_1) | instskip(NEXT) | instid1(VALU_DEP_1)
	v_and_b32_e32 v43, 0x7f800000, v11
	v_cmp_ne_u32_e64 s1, 0x7f800000, v43
                                        ; implicit-def: $vgpr43
	s_delay_alu instid0(VALU_DEP_1) | instskip(NEXT) | instid1(SALU_CYCLE_1)
	s_and_saveexec_b32 s49, s1
	s_xor_b32 s1, exec_lo, s49
; %bb.121:                              ;   in Loop: Header=BB400_13 Depth=1
	v_bfe_u32 v43, v11, 16, 1
	s_delay_alu instid0(VALU_DEP_1)
	v_add3_u32 v43, v11, v43, 0x7fff
                                        ; implicit-def: $vgpr11
; %bb.122:                              ;   in Loop: Header=BB400_13 Depth=1
	s_and_not1_saveexec_b32 s49, s1
; %bb.123:                              ;   in Loop: Header=BB400_13 Depth=1
	v_and_b32_e32 v43, 0xffff, v11
	v_or_b32_e32 v44, 0x10000, v11
	s_delay_alu instid0(VALU_DEP_2) | instskip(NEXT) | instid1(VALU_DEP_1)
	v_cmp_eq_u32_e64 s1, 0, v43
	v_cndmask_b32_e64 v43, v44, v11, s1
; %bb.124:                              ;   in Loop: Header=BB400_13 Depth=1
	s_or_b32 exec_lo, exec_lo, s49
	v_lshrrev_b16 v44, 8, v46
	v_mov_b32_e32 v11, 0
	s_mov_b32 s49, exec_lo
	s_delay_alu instid0(VALU_DEP_2)
	v_cmpx_ne_u16_e32 0, v44
	s_cbranch_execz .LBB400_132
; %bb.125:                              ;   in Loop: Header=BB400_13 Depth=1
	v_bfrev_b32_e32 v11, 1
	s_mov_b32 s50, exec_lo
	v_cmpx_ne_u16_e32 0x80, v44
	s_cbranch_execz .LBB400_131
; %bb.126:                              ;   in Loop: Header=BB400_13 Depth=1
	v_and_b32_e32 v44, 0xffff, v44
	v_mov_b32_e32 v11, 0x7f800001
	s_mov_b32 s51, exec_lo
	s_delay_alu instid0(VALU_DEP_2) | instskip(NEXT) | instid1(VALU_DEP_1)
	v_and_b32_e32 v45, 0x7f, v44
	v_cmpx_ne_u32_e32 0x7f, v45
	s_cbranch_execz .LBB400_130
; %bb.127:                              ;   in Loop: Header=BB400_13 Depth=1
	v_and_b32_e32 v11, 7, v44
	v_lshrrev_b32_e32 v44, 3, v45
	s_mov_b32 s52, exec_lo
	v_cmpx_gt_u32_e32 8, v45
; %bb.128:                              ;   in Loop: Header=BB400_13 Depth=1
	s_delay_alu instid0(VALU_DEP_3) | instskip(NEXT) | instid1(VALU_DEP_1)
	v_clz_i32_u32_e32 v44, v11
	v_min_u32_e32 v44, 32, v44
	s_delay_alu instid0(VALU_DEP_1) | instskip(SKIP_1) | instid1(VALU_DEP_2)
	v_subrev_nc_u32_e32 v45, 28, v44
	v_sub_nc_u32_e32 v44, 29, v44
	v_lshlrev_b64 v[47:48], v45, v[11:12]
	s_delay_alu instid0(VALU_DEP_1)
	v_and_b32_e32 v11, 7, v47
; %bb.129:                              ;   in Loop: Header=BB400_13 Depth=1
	s_or_b32 exec_lo, exec_lo, s52
	v_lshlrev_b32_e32 v45, 16, v46
	s_delay_alu instid0(VALU_DEP_2) | instskip(SKIP_1) | instid1(VALU_DEP_3)
	v_lshlrev_b32_e32 v11, 20, v11
	v_lshl_add_u32 v44, v44, 23, 0x3c000000
	v_and_b32_e32 v45, 0x80000000, v45
	s_delay_alu instid0(VALU_DEP_1)
	v_or3_b32 v11, v11, v45, v44
.LBB400_130:                            ;   in Loop: Header=BB400_13 Depth=1
	s_or_b32 exec_lo, exec_lo, s51
.LBB400_131:                            ;   in Loop: Header=BB400_13 Depth=1
	s_delay_alu instid0(SALU_CYCLE_1)
	s_or_b32 exec_lo, exec_lo, s50
.LBB400_132:                            ;   in Loop: Header=BB400_13 Depth=1
	s_delay_alu instid0(SALU_CYCLE_1) | instskip(NEXT) | instid1(VALU_DEP_1)
	s_or_b32 exec_lo, exec_lo, s49
	v_mul_f32_e32 v11, s48, v11
	s_delay_alu instid0(VALU_DEP_1) | instskip(NEXT) | instid1(VALU_DEP_1)
	v_and_b32_e32 v44, 0x7f800000, v11
	v_cmp_ne_u32_e64 s1, 0x7f800000, v44
                                        ; implicit-def: $vgpr44
	s_delay_alu instid0(VALU_DEP_1) | instskip(NEXT) | instid1(SALU_CYCLE_1)
	s_and_saveexec_b32 s49, s1
	s_xor_b32 s1, exec_lo, s49
; %bb.133:                              ;   in Loop: Header=BB400_13 Depth=1
	v_bfe_u32 v44, v11, 16, 1
	s_delay_alu instid0(VALU_DEP_1)
	v_add3_u32 v44, v11, v44, 0x7fff
                                        ; implicit-def: $vgpr11
; %bb.134:                              ;   in Loop: Header=BB400_13 Depth=1
	s_and_not1_saveexec_b32 s49, s1
; %bb.135:                              ;   in Loop: Header=BB400_13 Depth=1
	v_and_b32_e32 v44, 0xffff, v11
	v_or_b32_e32 v45, 0x10000, v11
	s_delay_alu instid0(VALU_DEP_2) | instskip(NEXT) | instid1(VALU_DEP_1)
	v_cmp_eq_u32_e64 s1, 0, v44
	v_cndmask_b32_e64 v44, v45, v11, s1
; %bb.136:                              ;   in Loop: Header=BB400_13 Depth=1
	s_or_b32 exec_lo, exec_lo, s49
	v_lshrrev_b32_e32 v45, 16, v46
	v_mov_b32_e32 v11, 0
	s_mov_b32 s49, exec_lo
	s_delay_alu instid0(VALU_DEP_2) | instskip(NEXT) | instid1(VALU_DEP_1)
	v_and_b32_e32 v47, 0xff, v45
	v_cmpx_ne_u16_e32 0, v47
	s_cbranch_execz .LBB400_144
; %bb.137:                              ;   in Loop: Header=BB400_13 Depth=1
	v_bfrev_b32_e32 v11, 1
	s_mov_b32 s50, exec_lo
	v_cmpx_ne_u16_e32 0x80, v47
	s_cbranch_execz .LBB400_143
; %bb.138:                              ;   in Loop: Header=BB400_13 Depth=1
	v_bfe_u32 v48, v46, 16, 7
	v_mov_b32_e32 v11, 0x7f800001
	s_mov_b32 s51, exec_lo
	s_delay_alu instid0(VALU_DEP_2)
	v_cmpx_ne_u32_e32 0x7f, v48
	s_cbranch_execz .LBB400_142
; %bb.139:                              ;   in Loop: Header=BB400_13 Depth=1
	v_and_b32_e32 v11, 7, v45
	v_lshrrev_b32_e32 v47, 3, v48
	s_mov_b32 s52, exec_lo
	v_cmpx_gt_u32_e32 8, v48
; %bb.140:                              ;   in Loop: Header=BB400_13 Depth=1
	s_delay_alu instid0(VALU_DEP_3) | instskip(NEXT) | instid1(VALU_DEP_1)
	v_clz_i32_u32_e32 v47, v11
	v_min_u32_e32 v47, 32, v47
	s_delay_alu instid0(VALU_DEP_1) | instskip(SKIP_1) | instid1(VALU_DEP_2)
	v_subrev_nc_u32_e32 v48, 28, v47
	v_sub_nc_u32_e32 v47, 29, v47
	v_lshlrev_b64 v[48:49], v48, v[11:12]
	s_delay_alu instid0(VALU_DEP_1)
	v_and_b32_e32 v11, 7, v48
; %bb.141:                              ;   in Loop: Header=BB400_13 Depth=1
	s_or_b32 exec_lo, exec_lo, s52
	v_lshlrev_b32_e32 v45, 24, v45
	s_delay_alu instid0(VALU_DEP_2) | instskip(SKIP_1) | instid1(VALU_DEP_3)
	v_lshlrev_b32_e32 v11, 20, v11
	v_lshl_add_u32 v47, v47, 23, 0x3c000000
	v_and_b32_e32 v45, 0x80000000, v45
	s_delay_alu instid0(VALU_DEP_1)
	v_or3_b32 v11, v11, v45, v47
.LBB400_142:                            ;   in Loop: Header=BB400_13 Depth=1
	s_or_b32 exec_lo, exec_lo, s51
.LBB400_143:                            ;   in Loop: Header=BB400_13 Depth=1
	s_delay_alu instid0(SALU_CYCLE_1)
	s_or_b32 exec_lo, exec_lo, s50
.LBB400_144:                            ;   in Loop: Header=BB400_13 Depth=1
	s_delay_alu instid0(SALU_CYCLE_1) | instskip(NEXT) | instid1(VALU_DEP_1)
	s_or_b32 exec_lo, exec_lo, s49
	v_mul_f32_e32 v11, s48, v11
	s_delay_alu instid0(VALU_DEP_1) | instskip(NEXT) | instid1(VALU_DEP_1)
	v_and_b32_e32 v45, 0x7f800000, v11
	v_cmp_ne_u32_e64 s1, 0x7f800000, v45
                                        ; implicit-def: $vgpr45
	s_delay_alu instid0(VALU_DEP_1) | instskip(NEXT) | instid1(SALU_CYCLE_1)
	s_and_saveexec_b32 s49, s1
	s_xor_b32 s1, exec_lo, s49
; %bb.145:                              ;   in Loop: Header=BB400_13 Depth=1
	v_bfe_u32 v45, v11, 16, 1
	s_delay_alu instid0(VALU_DEP_1)
	v_add3_u32 v45, v11, v45, 0x7fff
                                        ; implicit-def: $vgpr11
; %bb.146:                              ;   in Loop: Header=BB400_13 Depth=1
	s_and_not1_saveexec_b32 s49, s1
; %bb.147:                              ;   in Loop: Header=BB400_13 Depth=1
	v_and_b32_e32 v45, 0xffff, v11
	v_or_b32_e32 v47, 0x10000, v11
	s_delay_alu instid0(VALU_DEP_2) | instskip(NEXT) | instid1(VALU_DEP_1)
	v_cmp_eq_u32_e64 s1, 0, v45
	v_cndmask_b32_e64 v45, v47, v11, s1
; %bb.148:                              ;   in Loop: Header=BB400_13 Depth=1
	s_or_b32 exec_lo, exec_lo, s49
	v_mov_b32_e32 v11, 0
	s_mov_b32 s49, exec_lo
	v_cmpx_lt_u32_e32 0xffffff, v46
	s_cbranch_execz .LBB400_156
; %bb.149:                              ;   in Loop: Header=BB400_13 Depth=1
	v_lshrrev_b32_e32 v47, 24, v46
	v_bfrev_b32_e32 v11, 1
	s_mov_b32 s50, exec_lo
	s_delay_alu instid0(VALU_DEP_2)
	v_cmpx_ne_u32_e32 0x80, v47
	s_cbranch_execz .LBB400_155
; %bb.150:                              ;   in Loop: Header=BB400_13 Depth=1
	v_bfe_u32 v48, v46, 24, 7
	v_mov_b32_e32 v11, 0x7f800001
	s_mov_b32 s51, exec_lo
	s_delay_alu instid0(VALU_DEP_2)
	v_cmpx_ne_u32_e32 0x7f, v48
	s_cbranch_execz .LBB400_154
; %bb.151:                              ;   in Loop: Header=BB400_13 Depth=1
	v_and_b32_e32 v11, 7, v47
	v_lshrrev_b32_e32 v46, 3, v48
	s_mov_b32 s52, exec_lo
	v_cmpx_gt_u32_e32 8, v48
; %bb.152:                              ;   in Loop: Header=BB400_13 Depth=1
	s_delay_alu instid0(VALU_DEP_3) | instskip(NEXT) | instid1(VALU_DEP_1)
	v_clz_i32_u32_e32 v46, v11
	v_min_u32_e32 v46, 32, v46
	s_delay_alu instid0(VALU_DEP_1) | instskip(SKIP_1) | instid1(VALU_DEP_2)
	v_subrev_nc_u32_e32 v48, 28, v46
	v_sub_nc_u32_e32 v46, 29, v46
	v_lshlrev_b64 v[48:49], v48, v[11:12]
	s_delay_alu instid0(VALU_DEP_1)
	v_and_b32_e32 v11, 7, v48
; %bb.153:                              ;   in Loop: Header=BB400_13 Depth=1
	s_or_b32 exec_lo, exec_lo, s52
	v_lshlrev_b32_e32 v47, 24, v47
	s_delay_alu instid0(VALU_DEP_2) | instskip(SKIP_1) | instid1(VALU_DEP_3)
	v_lshlrev_b32_e32 v11, 20, v11
	v_lshl_add_u32 v46, v46, 23, 0x3c000000
	v_and_b32_e32 v47, 0x80000000, v47
	s_delay_alu instid0(VALU_DEP_1)
	v_or3_b32 v11, v11, v47, v46
.LBB400_154:                            ;   in Loop: Header=BB400_13 Depth=1
	s_or_b32 exec_lo, exec_lo, s51
.LBB400_155:                            ;   in Loop: Header=BB400_13 Depth=1
	s_delay_alu instid0(SALU_CYCLE_1)
	s_or_b32 exec_lo, exec_lo, s50
.LBB400_156:                            ;   in Loop: Header=BB400_13 Depth=1
	s_delay_alu instid0(SALU_CYCLE_1) | instskip(NEXT) | instid1(VALU_DEP_1)
	s_or_b32 exec_lo, exec_lo, s49
	v_mul_f32_e32 v11, s48, v11
	s_delay_alu instid0(VALU_DEP_1) | instskip(NEXT) | instid1(VALU_DEP_1)
	v_and_b32_e32 v46, 0x7f800000, v11
	v_cmp_ne_u32_e64 s1, 0x7f800000, v46
                                        ; implicit-def: $vgpr46
	s_delay_alu instid0(VALU_DEP_1) | instskip(NEXT) | instid1(SALU_CYCLE_1)
	s_and_saveexec_b32 s49, s1
	s_xor_b32 s1, exec_lo, s49
; %bb.157:                              ;   in Loop: Header=BB400_13 Depth=1
	v_bfe_u32 v46, v11, 16, 1
	s_delay_alu instid0(VALU_DEP_1)
	v_add3_u32 v46, v11, v46, 0x7fff
                                        ; implicit-def: $vgpr11
; %bb.158:                              ;   in Loop: Header=BB400_13 Depth=1
	s_and_not1_saveexec_b32 s49, s1
; %bb.159:                              ;   in Loop: Header=BB400_13 Depth=1
	v_and_b32_e32 v46, 0xffff, v11
	v_or_b32_e32 v47, 0x10000, v11
	s_delay_alu instid0(VALU_DEP_2) | instskip(NEXT) | instid1(VALU_DEP_1)
	v_cmp_eq_u32_e64 s1, 0, v46
	v_cndmask_b32_e64 v46, v47, v11, s1
; %bb.160:                              ;   in Loop: Header=BB400_13 Depth=1
	s_or_b32 exec_lo, exec_lo, s49
	global_load_b32 v18, v[17:18], off offset:264
	v_mov_b32_e32 v11, 0
	s_mov_b32 s49, exec_lo
	s_waitcnt vmcnt(0)
	v_and_b32_e32 v17, 0xff, v18
	s_delay_alu instid0(VALU_DEP_1)
	v_cmpx_ne_u16_e32 0, v17
	s_cbranch_execz .LBB400_168
; %bb.161:                              ;   in Loop: Header=BB400_13 Depth=1
	v_bfrev_b32_e32 v11, 1
	s_mov_b32 s50, exec_lo
	v_cmpx_ne_u16_e32 0x80, v17
	s_cbranch_execz .LBB400_167
; %bb.162:                              ;   in Loop: Header=BB400_13 Depth=1
	v_and_b32_e32 v47, 0x7f, v18
	v_mov_b32_e32 v11, 0x7f800001
	s_mov_b32 s51, exec_lo
	s_delay_alu instid0(VALU_DEP_2)
	v_cmpx_ne_u32_e32 0x7f, v47
	s_cbranch_execz .LBB400_166
; %bb.163:                              ;   in Loop: Header=BB400_13 Depth=1
	v_and_b32_e32 v11, 7, v18
	v_lshrrev_b32_e32 v17, 3, v47
	s_mov_b32 s52, exec_lo
	v_cmpx_gt_u32_e32 8, v47
; %bb.164:                              ;   in Loop: Header=BB400_13 Depth=1
	s_delay_alu instid0(VALU_DEP_3) | instskip(NEXT) | instid1(VALU_DEP_1)
	v_clz_i32_u32_e32 v17, v11
	v_min_u32_e32 v17, 32, v17
	s_delay_alu instid0(VALU_DEP_1) | instskip(SKIP_1) | instid1(VALU_DEP_2)
	v_subrev_nc_u32_e32 v47, 28, v17
	v_sub_nc_u32_e32 v17, 29, v17
	v_lshlrev_b64 v[47:48], v47, v[11:12]
	s_delay_alu instid0(VALU_DEP_1)
	v_and_b32_e32 v11, 7, v47
; %bb.165:                              ;   in Loop: Header=BB400_13 Depth=1
	s_or_b32 exec_lo, exec_lo, s52
	v_lshlrev_b32_e32 v47, 24, v18
	s_delay_alu instid0(VALU_DEP_2) | instskip(SKIP_1) | instid1(VALU_DEP_3)
	v_lshlrev_b32_e32 v11, 20, v11
	v_lshl_add_u32 v17, v17, 23, 0x3c000000
	v_and_b32_e32 v47, 0x80000000, v47
	s_delay_alu instid0(VALU_DEP_1)
	v_or3_b32 v11, v11, v47, v17
.LBB400_166:                            ;   in Loop: Header=BB400_13 Depth=1
	s_or_b32 exec_lo, exec_lo, s51
.LBB400_167:                            ;   in Loop: Header=BB400_13 Depth=1
	s_delay_alu instid0(SALU_CYCLE_1)
	s_or_b32 exec_lo, exec_lo, s50
.LBB400_168:                            ;   in Loop: Header=BB400_13 Depth=1
	s_delay_alu instid0(SALU_CYCLE_1) | instskip(NEXT) | instid1(VALU_DEP_1)
	s_or_b32 exec_lo, exec_lo, s49
	v_mul_f32_e32 v11, s48, v11
	s_delay_alu instid0(VALU_DEP_1) | instskip(NEXT) | instid1(VALU_DEP_1)
	v_and_b32_e32 v17, 0x7f800000, v11
	v_cmp_ne_u32_e64 s1, 0x7f800000, v17
                                        ; implicit-def: $vgpr17
	s_delay_alu instid0(VALU_DEP_1) | instskip(NEXT) | instid1(SALU_CYCLE_1)
	s_and_saveexec_b32 s49, s1
	s_xor_b32 s1, exec_lo, s49
; %bb.169:                              ;   in Loop: Header=BB400_13 Depth=1
	v_bfe_u32 v17, v11, 16, 1
	s_delay_alu instid0(VALU_DEP_1)
	v_add3_u32 v17, v11, v17, 0x7fff
                                        ; implicit-def: $vgpr11
; %bb.170:                              ;   in Loop: Header=BB400_13 Depth=1
	s_and_not1_saveexec_b32 s49, s1
; %bb.171:                              ;   in Loop: Header=BB400_13 Depth=1
	v_and_b32_e32 v17, 0xffff, v11
	v_or_b32_e32 v47, 0x10000, v11
	s_delay_alu instid0(VALU_DEP_2) | instskip(NEXT) | instid1(VALU_DEP_1)
	v_cmp_eq_u32_e64 s1, 0, v17
	v_cndmask_b32_e64 v17, v47, v11, s1
; %bb.172:                              ;   in Loop: Header=BB400_13 Depth=1
	s_or_b32 exec_lo, exec_lo, s49
	v_lshrrev_b16 v47, 8, v18
	v_mov_b32_e32 v11, 0
	s_mov_b32 s49, exec_lo
	s_delay_alu instid0(VALU_DEP_2)
	v_cmpx_ne_u16_e32 0, v47
	s_cbranch_execz .LBB400_180
; %bb.173:                              ;   in Loop: Header=BB400_13 Depth=1
	v_bfrev_b32_e32 v11, 1
	s_mov_b32 s50, exec_lo
	v_cmpx_ne_u16_e32 0x80, v47
	s_cbranch_execz .LBB400_179
; %bb.174:                              ;   in Loop: Header=BB400_13 Depth=1
	v_and_b32_e32 v47, 0xffff, v47
	v_mov_b32_e32 v11, 0x7f800001
	s_mov_b32 s51, exec_lo
	s_delay_alu instid0(VALU_DEP_2) | instskip(NEXT) | instid1(VALU_DEP_1)
	v_and_b32_e32 v48, 0x7f, v47
	v_cmpx_ne_u32_e32 0x7f, v48
	s_cbranch_execz .LBB400_178
; %bb.175:                              ;   in Loop: Header=BB400_13 Depth=1
	v_and_b32_e32 v11, 7, v47
	v_lshrrev_b32_e32 v47, 3, v48
	s_mov_b32 s52, exec_lo
	v_cmpx_gt_u32_e32 8, v48
; %bb.176:                              ;   in Loop: Header=BB400_13 Depth=1
	s_delay_alu instid0(VALU_DEP_3) | instskip(NEXT) | instid1(VALU_DEP_1)
	v_clz_i32_u32_e32 v47, v11
	v_min_u32_e32 v47, 32, v47
	s_delay_alu instid0(VALU_DEP_1) | instskip(SKIP_1) | instid1(VALU_DEP_2)
	v_subrev_nc_u32_e32 v48, 28, v47
	v_sub_nc_u32_e32 v47, 29, v47
	v_lshlrev_b64 v[48:49], v48, v[11:12]
	s_delay_alu instid0(VALU_DEP_1)
	v_and_b32_e32 v11, 7, v48
; %bb.177:                              ;   in Loop: Header=BB400_13 Depth=1
	s_or_b32 exec_lo, exec_lo, s52
	v_lshlrev_b32_e32 v48, 16, v18
	s_delay_alu instid0(VALU_DEP_2) | instskip(SKIP_1) | instid1(VALU_DEP_3)
	v_lshlrev_b32_e32 v11, 20, v11
	v_lshl_add_u32 v47, v47, 23, 0x3c000000
	v_and_b32_e32 v48, 0x80000000, v48
	s_delay_alu instid0(VALU_DEP_1)
	v_or3_b32 v11, v11, v48, v47
.LBB400_178:                            ;   in Loop: Header=BB400_13 Depth=1
	s_or_b32 exec_lo, exec_lo, s51
.LBB400_179:                            ;   in Loop: Header=BB400_13 Depth=1
	s_delay_alu instid0(SALU_CYCLE_1)
	s_or_b32 exec_lo, exec_lo, s50
.LBB400_180:                            ;   in Loop: Header=BB400_13 Depth=1
	s_delay_alu instid0(SALU_CYCLE_1) | instskip(NEXT) | instid1(VALU_DEP_1)
	s_or_b32 exec_lo, exec_lo, s49
	v_mul_f32_e32 v11, s48, v11
	s_delay_alu instid0(VALU_DEP_1) | instskip(NEXT) | instid1(VALU_DEP_1)
	v_and_b32_e32 v47, 0x7f800000, v11
	v_cmp_ne_u32_e64 s1, 0x7f800000, v47
                                        ; implicit-def: $vgpr47
	s_delay_alu instid0(VALU_DEP_1) | instskip(NEXT) | instid1(SALU_CYCLE_1)
	s_and_saveexec_b32 s49, s1
	s_xor_b32 s1, exec_lo, s49
; %bb.181:                              ;   in Loop: Header=BB400_13 Depth=1
	v_bfe_u32 v47, v11, 16, 1
	s_delay_alu instid0(VALU_DEP_1)
	v_add3_u32 v47, v11, v47, 0x7fff
                                        ; implicit-def: $vgpr11
; %bb.182:                              ;   in Loop: Header=BB400_13 Depth=1
	s_and_not1_saveexec_b32 s49, s1
; %bb.183:                              ;   in Loop: Header=BB400_13 Depth=1
	v_and_b32_e32 v47, 0xffff, v11
	v_or_b32_e32 v48, 0x10000, v11
	s_delay_alu instid0(VALU_DEP_2) | instskip(NEXT) | instid1(VALU_DEP_1)
	v_cmp_eq_u32_e64 s1, 0, v47
	v_cndmask_b32_e64 v47, v48, v11, s1
; %bb.184:                              ;   in Loop: Header=BB400_13 Depth=1
	s_or_b32 exec_lo, exec_lo, s49
	v_lshrrev_b32_e32 v48, 16, v18
	v_mov_b32_e32 v11, 0
	s_mov_b32 s49, exec_lo
	s_delay_alu instid0(VALU_DEP_2) | instskip(NEXT) | instid1(VALU_DEP_1)
	v_and_b32_e32 v49, 0xff, v48
	v_cmpx_ne_u16_e32 0, v49
	s_cbranch_execz .LBB400_192
; %bb.185:                              ;   in Loop: Header=BB400_13 Depth=1
	v_bfrev_b32_e32 v11, 1
	s_mov_b32 s50, exec_lo
	v_cmpx_ne_u16_e32 0x80, v49
	s_cbranch_execz .LBB400_191
; %bb.186:                              ;   in Loop: Header=BB400_13 Depth=1
	v_bfe_u32 v50, v18, 16, 7
	v_mov_b32_e32 v11, 0x7f800001
	s_mov_b32 s51, exec_lo
	s_delay_alu instid0(VALU_DEP_2)
	v_cmpx_ne_u32_e32 0x7f, v50
	s_cbranch_execz .LBB400_190
; %bb.187:                              ;   in Loop: Header=BB400_13 Depth=1
	v_and_b32_e32 v11, 7, v48
	v_lshrrev_b32_e32 v49, 3, v50
	s_mov_b32 s52, exec_lo
	v_cmpx_gt_u32_e32 8, v50
; %bb.188:                              ;   in Loop: Header=BB400_13 Depth=1
	s_delay_alu instid0(VALU_DEP_3) | instskip(NEXT) | instid1(VALU_DEP_1)
	v_clz_i32_u32_e32 v49, v11
	v_min_u32_e32 v49, 32, v49
	s_delay_alu instid0(VALU_DEP_1) | instskip(SKIP_1) | instid1(VALU_DEP_2)
	v_subrev_nc_u32_e32 v50, 28, v49
	v_sub_nc_u32_e32 v49, 29, v49
	v_lshlrev_b64 v[50:51], v50, v[11:12]
	s_delay_alu instid0(VALU_DEP_1)
	v_and_b32_e32 v11, 7, v50
; %bb.189:                              ;   in Loop: Header=BB400_13 Depth=1
	s_or_b32 exec_lo, exec_lo, s52
	v_lshlrev_b32_e32 v48, 24, v48
	s_delay_alu instid0(VALU_DEP_2) | instskip(SKIP_1) | instid1(VALU_DEP_3)
	v_lshlrev_b32_e32 v11, 20, v11
	v_lshl_add_u32 v49, v49, 23, 0x3c000000
	v_and_b32_e32 v48, 0x80000000, v48
	s_delay_alu instid0(VALU_DEP_1)
	v_or3_b32 v11, v11, v48, v49
.LBB400_190:                            ;   in Loop: Header=BB400_13 Depth=1
	s_or_b32 exec_lo, exec_lo, s51
.LBB400_191:                            ;   in Loop: Header=BB400_13 Depth=1
	s_delay_alu instid0(SALU_CYCLE_1)
	s_or_b32 exec_lo, exec_lo, s50
.LBB400_192:                            ;   in Loop: Header=BB400_13 Depth=1
	s_delay_alu instid0(SALU_CYCLE_1) | instskip(NEXT) | instid1(VALU_DEP_1)
	s_or_b32 exec_lo, exec_lo, s49
	v_mul_f32_e32 v11, s48, v11
	s_delay_alu instid0(VALU_DEP_1) | instskip(NEXT) | instid1(VALU_DEP_1)
	v_and_b32_e32 v48, 0x7f800000, v11
	v_cmp_ne_u32_e64 s1, 0x7f800000, v48
                                        ; implicit-def: $vgpr48
	s_delay_alu instid0(VALU_DEP_1) | instskip(NEXT) | instid1(SALU_CYCLE_1)
	s_and_saveexec_b32 s49, s1
	s_xor_b32 s1, exec_lo, s49
; %bb.193:                              ;   in Loop: Header=BB400_13 Depth=1
	v_bfe_u32 v48, v11, 16, 1
	s_delay_alu instid0(VALU_DEP_1)
	v_add3_u32 v48, v11, v48, 0x7fff
                                        ; implicit-def: $vgpr11
; %bb.194:                              ;   in Loop: Header=BB400_13 Depth=1
	s_and_not1_saveexec_b32 s49, s1
; %bb.195:                              ;   in Loop: Header=BB400_13 Depth=1
	v_and_b32_e32 v48, 0xffff, v11
	v_or_b32_e32 v49, 0x10000, v11
	s_delay_alu instid0(VALU_DEP_2) | instskip(NEXT) | instid1(VALU_DEP_1)
	v_cmp_eq_u32_e64 s1, 0, v48
	v_cndmask_b32_e64 v48, v49, v11, s1
; %bb.196:                              ;   in Loop: Header=BB400_13 Depth=1
	s_or_b32 exec_lo, exec_lo, s49
	v_mov_b32_e32 v11, 0
	s_mov_b32 s49, exec_lo
	v_cmpx_lt_u32_e32 0xffffff, v18
	s_cbranch_execz .LBB400_204
; %bb.197:                              ;   in Loop: Header=BB400_13 Depth=1
	v_lshrrev_b32_e32 v49, 24, v18
	v_bfrev_b32_e32 v11, 1
	s_mov_b32 s50, exec_lo
	s_delay_alu instid0(VALU_DEP_2)
	v_cmpx_ne_u32_e32 0x80, v49
	s_cbranch_execz .LBB400_203
; %bb.198:                              ;   in Loop: Header=BB400_13 Depth=1
	v_bfe_u32 v50, v18, 24, 7
	v_mov_b32_e32 v11, 0x7f800001
	s_mov_b32 s51, exec_lo
	s_delay_alu instid0(VALU_DEP_2)
	v_cmpx_ne_u32_e32 0x7f, v50
	s_cbranch_execz .LBB400_202
; %bb.199:                              ;   in Loop: Header=BB400_13 Depth=1
	v_and_b32_e32 v11, 7, v49
	v_lshrrev_b32_e32 v18, 3, v50
	s_mov_b32 s52, exec_lo
	v_cmpx_gt_u32_e32 8, v50
; %bb.200:                              ;   in Loop: Header=BB400_13 Depth=1
	s_delay_alu instid0(VALU_DEP_3) | instskip(NEXT) | instid1(VALU_DEP_1)
	v_clz_i32_u32_e32 v18, v11
	v_min_u32_e32 v18, 32, v18
	s_delay_alu instid0(VALU_DEP_1) | instskip(SKIP_1) | instid1(VALU_DEP_2)
	v_subrev_nc_u32_e32 v50, 28, v18
	v_sub_nc_u32_e32 v18, 29, v18
	v_lshlrev_b64 v[50:51], v50, v[11:12]
	s_delay_alu instid0(VALU_DEP_1)
	v_and_b32_e32 v11, 7, v50
; %bb.201:                              ;   in Loop: Header=BB400_13 Depth=1
	s_or_b32 exec_lo, exec_lo, s52
	v_lshlrev_b32_e32 v49, 24, v49
	s_delay_alu instid0(VALU_DEP_2) | instskip(SKIP_1) | instid1(VALU_DEP_3)
	v_lshlrev_b32_e32 v11, 20, v11
	v_lshl_add_u32 v18, v18, 23, 0x3c000000
	v_and_b32_e32 v49, 0x80000000, v49
	s_delay_alu instid0(VALU_DEP_1)
	v_or3_b32 v11, v11, v49, v18
.LBB400_202:                            ;   in Loop: Header=BB400_13 Depth=1
	s_or_b32 exec_lo, exec_lo, s51
.LBB400_203:                            ;   in Loop: Header=BB400_13 Depth=1
	s_delay_alu instid0(SALU_CYCLE_1)
	s_or_b32 exec_lo, exec_lo, s50
.LBB400_204:                            ;   in Loop: Header=BB400_13 Depth=1
	s_delay_alu instid0(SALU_CYCLE_1) | instskip(NEXT) | instid1(VALU_DEP_1)
	s_or_b32 exec_lo, exec_lo, s49
	v_mul_f32_e32 v18, s48, v11
	s_delay_alu instid0(VALU_DEP_1) | instskip(NEXT) | instid1(VALU_DEP_1)
	v_and_b32_e32 v11, 0x7f800000, v18
	v_cmp_ne_u32_e64 s1, 0x7f800000, v11
                                        ; implicit-def: $vgpr11
	s_delay_alu instid0(VALU_DEP_1) | instskip(NEXT) | instid1(SALU_CYCLE_1)
	s_and_saveexec_b32 s48, s1
	s_xor_b32 s1, exec_lo, s48
; %bb.205:                              ;   in Loop: Header=BB400_13 Depth=1
	v_bfe_u32 v11, v18, 16, 1
	s_delay_alu instid0(VALU_DEP_1)
	v_add3_u32 v11, v18, v11, 0x7fff
                                        ; implicit-def: $vgpr18
; %bb.206:                              ;   in Loop: Header=BB400_13 Depth=1
	s_and_not1_saveexec_b32 s48, s1
; %bb.207:                              ;   in Loop: Header=BB400_13 Depth=1
	v_and_b32_e32 v11, 0xffff, v18
	v_or_b32_e32 v49, 0x10000, v18
	s_delay_alu instid0(VALU_DEP_2) | instskip(NEXT) | instid1(VALU_DEP_1)
	v_cmp_eq_u32_e64 s1, 0, v11
	v_cndmask_b32_e64 v11, v49, v18, s1
; %bb.208:                              ;   in Loop: Header=BB400_13 Depth=1
	s_or_b32 exec_lo, exec_lo, s48
	v_and_b32_e32 v41, 0xffff0000, v41
	v_lshlrev_b32_e32 v51, 16, v8
	v_lshlrev_b32_e32 v54, 16, v3
	v_and_b32_e32 v8, 0xffff0000, v8
	v_and_b32_e32 v40, 0xffff0000, v40
	;; [unrolled: 1-line block ×3, first 2 shown]
	v_lshlrev_b32_e32 v52, 16, v1
	v_and_b32_e32 v1, 0xffff0000, v1
	v_lshlrev_b32_e32 v50, 16, v7
	v_and_b32_e32 v7, 0xffff0000, v7
	v_and_b32_e32 v18, 0xffff0000, v47
	;; [unrolled: 1-line block ×4, first 2 shown]
	v_lshlrev_b32_e32 v49, 16, v6
	v_mul_f32_e32 v7, v7, v40
	v_dual_mul_f32 v40, v51, v41 :: v_dual_and_b32 v39, 0xffff0000, v39
	v_and_b32_e32 v45, 0xffff0000, v45
	v_lshlrev_b32_e32 v47, 16, v5
	s_delay_alu instid0(VALU_DEP_3) | instskip(NEXT) | instid1(VALU_DEP_4)
	v_dual_fmac_f32 v40, v49, v37 :: v_dual_lshlrev_b32 v53, 16, v2
	v_dual_mul_f32 v39, v50, v39 :: v_dual_and_b32 v46, 0xffff0000, v46
	v_and_b32_e32 v35, 0xffff0000, v35
	v_and_b32_e32 v5, 0xffff0000, v5
	s_delay_alu instid0(VALU_DEP_4) | instskip(SKIP_1) | instid1(VALU_DEP_4)
	v_fmac_f32_e32 v40, v53, v45
	v_and_b32_e32 v44, 0xffff0000, v44
	v_dual_fmac_f32 v39, v47, v35 :: v_dual_and_b32 v6, 0xffff0000, v6
	v_and_b32_e32 v38, 0xffff0000, v38
	v_lshlrev_b32_e32 v55, 16, v4
	v_xor_b32_e32 v56, 1, v24
	s_delay_alu instid0(VALU_DEP_4) | instskip(SKIP_1) | instid1(VALU_DEP_3)
	v_dual_fmac_f32 v39, v52, v43 :: v_dual_and_b32 v36, 0xffff0000, v36
	v_and_b32_e32 v42, 0xffff0000, v42
	v_cmp_gt_i32_e64 s1, 32, v56
	s_delay_alu instid0(VALU_DEP_3) | instskip(NEXT) | instid1(VALU_DEP_3)
	v_fmac_f32_e32 v7, v5, v36
	v_mul_f32_e32 v5, v8, v42
	s_delay_alu instid0(VALU_DEP_2) | instskip(SKIP_1) | instid1(VALU_DEP_3)
	v_fmac_f32_e32 v7, v1, v44
	v_and_b32_e32 v1, 0xffff0000, v2
	v_fmac_f32_e32 v5, v6, v38
	s_delay_alu instid0(VALU_DEP_3) | instskip(SKIP_1) | instid1(VALU_DEP_3)
	v_fmac_f32_e32 v7, v3, v18
	v_and_b32_e32 v3, 0xffff0000, v4
	v_dual_fmac_f32 v5, v1, v46 :: v_dual_and_b32 v48, 0xffff0000, v48
	v_and_b32_e32 v17, 0xffff0000, v17
	v_cndmask_b32_e64 v4, v24, v56, s1
	s_delay_alu instid0(VALU_DEP_2) | instskip(NEXT) | instid1(VALU_DEP_1)
	v_dual_fmac_f32 v40, v55, v48 :: v_dual_fmac_f32 v39, v54, v17
	v_add_f32_e32 v1, v39, v7
	s_delay_alu instid0(VALU_DEP_1) | instskip(NEXT) | instid1(VALU_DEP_1)
	v_dual_add_f32 v1, v1, v40 :: v_dual_and_b32 v2, 0xffff0000, v11
	v_dual_fmac_f32 v5, v3, v2 :: v_dual_lshlrev_b32 v2, 2, v4
	s_delay_alu instid0(VALU_DEP_1)
	v_add_f32_e32 v1, v1, v5
	ds_bpermute_b32 v2, v2, v1
	s_and_saveexec_b32 s48, vcc_lo
	s_cbranch_execz .LBB400_11
; %bb.209:                              ;   in Loop: Header=BB400_13 Depth=1
	v_add_nc_u32_e32 v3, v31, v29
	s_waitcnt lgkmcnt(0)
	v_add_f32_e32 v1, v1, v2
	s_delay_alu instid0(VALU_DEP_2) | instskip(NEXT) | instid1(VALU_DEP_1)
	v_cvt_f32_i32_e32 v3, v3
	v_mul_f32_e32 v3, s43, v3
	s_delay_alu instid0(VALU_DEP_1) | instskip(NEXT) | instid1(VALU_DEP_1)
	v_cndmask_b32_e64 v2, 0, v3, s0
	v_dual_max_f32 v3, v23, v23 :: v_dual_fmac_f32 v2, s39, v1
	v_add_nc_u32_e32 v1, v25, v29
	s_delay_alu instid0(VALU_DEP_2) | instskip(NEXT) | instid1(VALU_DEP_2)
	v_max_f32_e32 v3, v3, v2
	v_cmp_gt_i32_e64 s1, s33, v1
	s_delay_alu instid0(VALU_DEP_1) | instskip(NEXT) | instid1(VALU_DEP_3)
	v_cndmask_b32_e64 v1, 0, v2, s1
	v_cndmask_b32_e64 v23, v23, v3, s1
	ds_store_b32 v32, v1
	s_branch .LBB400_11
.LBB400_210:
	s_or_b32 exec_lo, exec_lo, s46
.LBB400_211:
	s_delay_alu instid0(SALU_CYCLE_1) | instskip(SKIP_4) | instid1(VALU_DEP_3)
	s_or_b32 exec_lo, exec_lo, s10
	v_xor_b32_e32 v1, 16, v24
	s_waitcnt lgkmcnt(0)
	v_xor_b32_e32 v2, 8, v24
	v_dual_max_f32 v4, v23, v23 :: v_dual_lshlrev_b32 v7, 2, v21
	v_cmp_gt_i32_e32 vcc_lo, 32, v1
	v_cndmask_b32_e32 v1, v24, v1, vcc_lo
	s_delay_alu instid0(VALU_DEP_4) | instskip(NEXT) | instid1(VALU_DEP_2)
	v_cmp_gt_i32_e32 vcc_lo, 32, v2
	v_dual_cndmask_b32 v2, v24, v2 :: v_dual_lshlrev_b32 v3, 2, v1
	ds_bpermute_b32 v1, v3, v23
	v_and_b32_e32 v23, 31, v0
	s_waitcnt lgkmcnt(0)
	v_max_f32_e32 v1, v1, v1
	s_delay_alu instid0(VALU_DEP_1) | instskip(SKIP_1) | instid1(VALU_DEP_1)
	v_max_f32_e32 v1, v4, v1
	v_xor_b32_e32 v4, 4, v24
	v_cmp_gt_i32_e32 vcc_lo, 32, v4
	v_cndmask_b32_e32 v4, v24, v4, vcc_lo
	s_delay_alu instid0(VALU_DEP_1) | instskip(SKIP_1) | instid1(VALU_DEP_1)
	v_lshlrev_b32_e32 v6, 2, v4
	v_xor_b32_e32 v4, 2, v24
	v_cmp_gt_i32_e32 vcc_lo, 32, v4
	v_dual_cndmask_b32 v4, v24, v4 :: v_dual_lshlrev_b32 v5, 2, v2
	ds_bpermute_b32 v2, v5, v1
	v_cmp_eq_u32_e32 vcc_lo, 0, v23
	s_waitcnt lgkmcnt(0)
	v_max_f32_e32 v2, v2, v2
	s_delay_alu instid0(VALU_DEP_1) | instskip(SKIP_3) | instid1(VALU_DEP_1)
	v_max_f32_e32 v1, v1, v2
	ds_bpermute_b32 v2, v6, v1
	s_waitcnt lgkmcnt(0)
	v_max_f32_e32 v2, v2, v2
	v_dual_max_f32 v1, v1, v2 :: v_dual_lshlrev_b32 v2, 2, v4
	ds_bpermute_b32 v4, v2, v1
	s_and_saveexec_b32 s0, vcc_lo
	s_cbranch_execz .LBB400_213
; %bb.212:
	s_waitcnt lgkmcnt(0)
	v_dual_max_f32 v4, v4, v4 :: v_dual_max_f32 v1, v1, v1
	s_delay_alu instid0(VALU_DEP_1)
	v_max_f32_e32 v1, v1, v4
	ds_store_b32 v7, v1 offset:64
.LBB400_213:
	s_or_b32 exec_lo, exec_lo, s0
	v_cmp_gt_u32_e64 s0, 4, v23
	v_dual_mov_b32 v1, 0xff7fffff :: v_dual_lshlrev_b32 v8, 2, v23
	s_waitcnt lgkmcnt(0)
	s_barrier
	buffer_gl0_inv
	s_and_saveexec_b32 s1, s0
	s_cbranch_execz .LBB400_215
; %bb.214:
	ds_load_b32 v1, v8 offset:64
.LBB400_215:
	s_or_b32 exec_lo, exec_lo, s1
	s_waitcnt lgkmcnt(0)
	ds_bpermute_b32 v4, v2, v1
	v_xor_b32_e32 v11, 1, v24
	v_max_f32_e32 v1, v1, v1
	s_delay_alu instid0(VALU_DEP_2) | instskip(NEXT) | instid1(VALU_DEP_1)
	v_cmp_gt_i32_e64 s1, 32, v11
	v_cndmask_b32_e64 v11, v24, v11, s1
	s_sub_i32 s1, s16, s8
	s_delay_alu instid0(SALU_CYCLE_1) | instskip(NEXT) | instid1(SALU_CYCLE_1)
	s_lshl_b32 s1, s1, 4
	s_add_i32 s1, s1, s27
	s_delay_alu instid0(SALU_CYCLE_1)
	s_min_i32 s1, s1, s33
	s_waitcnt lgkmcnt(0)
	v_max_f32_e32 v4, v4, v4
	v_lshlrev_b32_e32 v24, 2, v11
	s_sub_i32 s4, s1, s27
	v_mov_b32_e32 v11, 0
	v_cmp_gt_i32_e64 s1, s4, v0
	v_max_f32_e32 v1, v1, v4
	ds_bpermute_b32 v4, v24, v1
	s_waitcnt lgkmcnt(0)
	v_max_f32_e32 v4, v4, v4
	s_delay_alu instid0(VALU_DEP_1)
	v_max_f32_e32 v1, v1, v4
	v_lshl_add_u32 v4, v0, 2, 0x60
	ds_bpermute_b32 v1, v11, v1
	s_and_saveexec_b32 s5, s1
	s_cbranch_execz .LBB400_219
; %bb.216:
	v_lshl_add_u32 v12, v0, 2, 0x60
	v_mov_b32_e32 v11, 0
	v_mov_b32_e32 v13, v0
	s_mov_b32 s10, 0
	.p2align	6
.LBB400_217:                            ; =>This Inner Loop Header: Depth=1
	ds_load_b32 v14, v12
	v_add_nc_u32_e32 v13, 0x80, v13
	s_delay_alu instid0(VALU_DEP_1) | instskip(NEXT) | instid1(VALU_DEP_1)
	v_cmp_le_i32_e64 s3, s4, v13
	s_or_b32 s10, s3, s10
	s_waitcnt lgkmcnt(0)
	v_sub_f32_e32 v14, v14, v1
	s_delay_alu instid0(VALU_DEP_1) | instskip(NEXT) | instid1(VALU_DEP_1)
	v_mul_f32_e32 v14, 0x3fb8aa3b, v14
	v_exp_f32_e32 v14, v14
	ds_store_b32 v12, v14
	v_dual_add_f32 v11, v11, v14 :: v_dual_add_nc_u32 v12, 0x200, v12
	s_and_not1_b32 exec_lo, exec_lo, s10
	s_cbranch_execnz .LBB400_217
; %bb.218:
	s_or_b32 exec_lo, exec_lo, s10
.LBB400_219:
	s_delay_alu instid0(SALU_CYCLE_1)
	s_or_b32 exec_lo, exec_lo, s5
	ds_bpermute_b32 v3, v3, v11
	s_waitcnt lgkmcnt(0)
	v_add_f32_e32 v3, v11, v3
	ds_bpermute_b32 v5, v5, v3
	s_waitcnt lgkmcnt(0)
	v_add_f32_e32 v3, v3, v5
	;; [unrolled: 3-line block ×5, first 2 shown]
	s_and_saveexec_b32 s3, vcc_lo
	s_cbranch_execz .LBB400_221
; %bb.220:
	ds_store_b32 v7, v3 offset:80
.LBB400_221:
	s_or_b32 exec_lo, exec_lo, s3
	s_waitcnt lgkmcnt(0)
	s_barrier
	buffer_gl0_inv
	s_and_saveexec_b32 s3, s0
	s_cbranch_execz .LBB400_223
; %bb.222:
	ds_load_b32 v3, v8 offset:80
.LBB400_223:
	s_or_b32 exec_lo, exec_lo, s3
	s_waitcnt lgkmcnt(0)
	ds_bpermute_b32 v2, v2, v3
	s_waitcnt lgkmcnt(0)
	v_add_f32_e32 v2, v3, v2
	ds_bpermute_b32 v3, v24, v2
	s_waitcnt lgkmcnt(0)
	v_dual_add_f32 v2, v2, v3 :: v_dual_mov_b32 v3, 0
	ds_bpermute_b32 v2, v3, v2
	s_and_saveexec_b32 s0, s1
	s_cbranch_execz .LBB400_226
; %bb.224:
	s_waitcnt lgkmcnt(0)
	v_add_f32_e32 v3, 0x358637bd, v2
	s_mov_b32 s1, 0
	s_delay_alu instid0(VALU_DEP_1) | instskip(SKIP_1) | instid1(VALU_DEP_2)
	v_div_scale_f32 v5, null, v3, v3, 1.0
	v_div_scale_f32 v8, vcc_lo, 1.0, v3, 1.0
	v_rcp_f32_e32 v6, v5
	s_waitcnt_depctr 0xfff
	v_fma_f32 v7, -v5, v6, 1.0
	s_delay_alu instid0(VALU_DEP_1) | instskip(NEXT) | instid1(VALU_DEP_1)
	v_fmac_f32_e32 v6, v7, v6
	v_mul_f32_e32 v7, v8, v6
	s_delay_alu instid0(VALU_DEP_1) | instskip(NEXT) | instid1(VALU_DEP_1)
	v_fma_f32 v11, -v5, v7, v8
	v_fmac_f32_e32 v7, v11, v6
	s_delay_alu instid0(VALU_DEP_1) | instskip(NEXT) | instid1(VALU_DEP_1)
	v_fma_f32 v5, -v5, v7, v8
	v_div_fmas_f32 v5, v5, v6, v7
	s_delay_alu instid0(VALU_DEP_1)
	v_div_fixup_f32 v3, v5, v3, 1.0
	v_mov_b32_e32 v5, v0
.LBB400_225:                            ; =>This Inner Loop Header: Depth=1
	ds_load_b32 v6, v4
	s_waitcnt lgkmcnt(0)
	v_dual_mul_f32 v6, v3, v6 :: v_dual_add_nc_u32 v5, 0x80, v5
	s_delay_alu instid0(VALU_DEP_1) | instskip(SKIP_3) | instid1(SALU_CYCLE_1)
	v_cmp_le_i32_e32 vcc_lo, s4, v5
	ds_store_b32 v4, v6
	v_add_nc_u32_e32 v4, 0x200, v4
	s_or_b32 s1, vcc_lo, s1
	s_and_not1_b32 exec_lo, exec_lo, s1
	s_cbranch_execnz .LBB400_225
.LBB400_226:
	s_or_b32 exec_lo, exec_lo, s0
	s_delay_alu instid0(SALU_CYCLE_1)
	s_mov_b32 s0, exec_lo
	s_waitcnt lgkmcnt(0)
	s_barrier
	buffer_gl0_inv
	v_cmpx_eq_u32_e32 0, v0
	s_cbranch_execz .LBB400_228
; %bb.227:
	s_mul_i32 s1, s11, s14
	s_mul_i32 s44, s11, s28
	;; [unrolled: 1-line block ×3, first 2 shown]
	v_mov_b32_e32 v3, 0
	s_ashr_i32 s5, s4, 31
	s_delay_alu instid0(SALU_CYCLE_1) | instskip(NEXT) | instid1(SALU_CYCLE_1)
	s_lshl_b64 s[4:5], s[4:5], 2
	s_add_u32 s1, s22, s4
	s_addc_u32 s3, s23, s5
	s_ashr_i32 s45, s44, 31
	s_delay_alu instid0(SALU_CYCLE_1) | instskip(NEXT) | instid1(SALU_CYCLE_1)
	s_lshl_b64 s[22:23], s[44:45], 2
	s_add_u32 s1, s1, s22
	s_addc_u32 s3, s3, s23
	;; [unrolled: 5-line block ×3, first 2 shown]
	s_add_u32 s1, s20, s4
	s_addc_u32 s3, s21, s5
	s_add_u32 s1, s1, s22
	s_addc_u32 s3, s3, s23
	;; [unrolled: 2-line block ×3, first 2 shown]
	s_clause 0x1
	global_store_b32 v3, v1, s[44:45]
	global_store_b32 v3, v2, s[4:5]
.LBB400_228:
	s_or_b32 exec_lo, exec_lo, s0
	v_dual_mov_b32 v12, 0 :: v_dual_mov_b32 v11, 0
	s_mov_b32 s4, 0
	s_and_saveexec_b32 s1, s2
	s_cbranch_execz .LBB400_518
; %bb.229:
	s_sub_i32 s10, s42, s17
	s_ashr_i32 s0, s41, 31
	s_add_u32 s22, s36, s41
	s_addc_u32 s0, s37, s0
	s_abs_i32 s17, s18
	s_mov_b32 s5, s4
	v_cvt_f32_u32_e32 v1, s17
	s_sub_i32 s20, 0, s17
	v_and_b32_e32 v4, 0xf8, v26
	v_lshlrev_b32_e32 v5, 5, v20
	v_dual_mov_b32 v12, s5 :: v_dual_and_b32 v25, 8, v26
	v_rcp_iflag_f32_e32 v1, v1
	v_mov_b32_e32 v11, s4
	v_add_co_u32 v13, s5, s22, v4
	s_add_i32 s18, s38, -1
	v_lshl_or_b32 v5, v21, 6, v5
	v_add_co_ci_u32_e64 v14, null, s0, 0, s5
	v_mov_b32_e32 v18, 0
	s_mov_b32 s2, -1
	s_waitcnt_depctr 0xfff
	v_mul_f32_e32 v3, 0x4f7ffffe, v1
	v_lshlrev_b64 v[1:2], 2, v[9:10]
	v_add_nc_u32_e32 v10, 0x60, v5
	s_mov_b32 s3, 0xffffff
	s_delay_alu instid0(VALU_DEP_3) | instskip(NEXT) | instid1(VALU_DEP_1)
	v_cvt_u32_f32_e32 v3, v3
	v_mul_lo_u32 v6, s20, v3
	s_lshl_b64 s[20:21], s[34:35], 2
	s_delay_alu instid0(SALU_CYCLE_1) | instskip(SKIP_3) | instid1(VALU_DEP_3)
	s_add_u32 s0, s30, s20
	s_addc_u32 s5, s31, s21
	v_add_co_u32 v15, vcc_lo, s0, v1
	v_add_co_ci_u32_e32 v16, vcc_lo, s5, v2, vcc_lo
	v_mul_hi_u32 v4, v3, v6
	s_mov_b32 s5, s9
	s_delay_alu instid0(VALU_DEP_1)
	v_add_nc_u32_e32 v26, v3, v4
	s_branch .LBB400_232
.LBB400_230:                            ;   in Loop: Header=BB400_232 Depth=1
	s_or_b32 exec_lo, exec_lo, s0
	v_and_b32_e32 v3, 0xffff0000, v3
	s_delay_alu instid0(VALU_DEP_2) | instskip(SKIP_3) | instid1(VALU_DEP_4)
	v_and_b32_e32 v1, 0xffff0000, v1
	v_and_b32_e32 v6, 0xffff0000, v6
	;; [unrolled: 1-line block ×4, first 2 shown]
	v_dual_add_f32 v1, v3, v1 :: v_dual_and_b32 v2, 0xffff0000, v2
	v_and_b32_e32 v30, 0xffff0000, v30
	v_and_b32_e32 v5, 0xffff0000, v5
	s_delay_alu instid0(VALU_DEP_3) | instskip(NEXT) | instid1(VALU_DEP_3)
	v_dual_add_f32 v2, v2, v4 :: v_dual_and_b32 v7, 0xffff0000, v7
	v_add_f32_e32 v4, v30, v31
	s_delay_alu instid0(VALU_DEP_3) | instskip(SKIP_4) | instid1(VALU_DEP_4)
	v_dual_add_f32 v5, v5, v6 :: v_dual_and_b32 v28, 0xffff0000, v28
	v_and_b32_e32 v8, 0xffff0000, v8
	v_and_b32_e32 v27, 0xffff0000, v27
	v_and_b32_e32 v29, 0xffff0000, v29
	v_dual_add_f32 v2, v2, v4 :: v_dual_and_b32 v33, 0xffff0000, v37
	v_dual_add_f32 v6, v7, v8 :: v_dual_and_b32 v7, 0xffff0000, v17
	s_delay_alu instid0(VALU_DEP_1) | instskip(NEXT) | instid1(VALU_DEP_1)
	v_dual_add_f32 v5, v5, v6 :: v_dual_add_f32 v6, v27, v28
	v_add_f32_e32 v5, v5, v6
	s_delay_alu instid0(VALU_DEP_4) | instskip(NEXT) | instid1(VALU_DEP_1)
	v_add_f32_e32 v6, v29, v33
	v_dual_add_f32 v3, v5, v6 :: v_dual_and_b32 v8, 0xffff0000, v32
	s_delay_alu instid0(VALU_DEP_1) | instskip(NEXT) | instid1(VALU_DEP_1)
	v_add_f32_e32 v4, v8, v7
	v_dual_add_f32 v11, v11, v3 :: v_dual_add_f32 v2, v2, v4
	s_delay_alu instid0(VALU_DEP_1) | instskip(NEXT) | instid1(VALU_DEP_1)
	v_add_f32_e32 v1, v2, v1
	v_add_f32_e32 v12, v12, v1
.LBB400_231:                            ;   in Loop: Header=BB400_232 Depth=1
	s_or_b32 exec_lo, exec_lo, s9
	v_add_nc_u32_e32 v9, 4, v9
	v_add_co_u32 v15, s0, v15, 16
	s_delay_alu instid0(VALU_DEP_1) | instskip(NEXT) | instid1(VALU_DEP_3)
	v_add_co_ci_u32_e64 v16, s0, 0, v16, s0
	v_cmp_le_i32_e32 vcc_lo, s16, v9
	v_add_nc_u32_e32 v22, 64, v22
	v_add_nc_u32_e32 v10, 0x100, v10
	s_or_b32 s4, vcc_lo, s4
	s_delay_alu instid0(SALU_CYCLE_1)
	s_and_not1_b32 exec_lo, exec_lo, s4
	s_cbranch_execz .LBB400_517
.LBB400_232:                            ; =>This Inner Loop Header: Depth=1
	v_sub_nc_u32_e32 v1, 0, v22
	s_delay_alu instid0(VALU_DEP_1) | instskip(NEXT) | instid1(VALU_DEP_1)
	v_max_i32_e32 v1, v22, v1
	v_mul_hi_u32 v2, v1, s29
	s_delay_alu instid0(VALU_DEP_1) | instskip(NEXT) | instid1(VALU_DEP_1)
	v_mul_lo_u32 v3, v2, s13
	v_sub_nc_u32_e32 v1, v1, v3
	v_add_nc_u32_e32 v3, 1, v2
	s_delay_alu instid0(VALU_DEP_2) | instskip(SKIP_1) | instid1(VALU_DEP_2)
	v_subrev_nc_u32_e32 v4, s13, v1
	v_cmp_le_u32_e32 vcc_lo, s13, v1
	v_dual_cndmask_b32 v2, v2, v3 :: v_dual_cndmask_b32 v1, v1, v4
	v_ashrrev_i32_e32 v3, 31, v22
	s_delay_alu instid0(VALU_DEP_2) | instskip(NEXT) | instid1(VALU_DEP_3)
	v_add_nc_u32_e32 v4, 1, v2
	v_cmp_le_u32_e32 vcc_lo, s13, v1
	s_delay_alu instid0(VALU_DEP_3) | instskip(NEXT) | instid1(VALU_DEP_3)
	v_xor_b32_e32 v3, s19, v3
	v_cndmask_b32_e32 v1, v2, v4, vcc_lo
	s_delay_alu instid0(VALU_DEP_1) | instskip(NEXT) | instid1(VALU_DEP_1)
	v_xor_b32_e32 v1, v1, v3
	v_sub_nc_u32_e32 v1, v1, v3
	s_delay_alu instid0(VALU_DEP_1) | instskip(SKIP_1) | instid1(VALU_DEP_2)
	v_add_nc_u32_e32 v2, s40, v1
	v_cmp_lt_i32_e64 s0, s10, v1
	v_sub_nc_u32_e32 v3, 0, v2
	s_delay_alu instid0(VALU_DEP_1) | instskip(NEXT) | instid1(VALU_DEP_1)
	v_max_i32_e32 v3, v2, v3
	v_mul_hi_u32 v4, v3, v26
	s_delay_alu instid0(VALU_DEP_1) | instskip(NEXT) | instid1(VALU_DEP_1)
	v_mul_lo_u32 v4, v4, s17
	v_sub_nc_u32_e32 v3, v3, v4
	s_delay_alu instid0(VALU_DEP_1) | instskip(SKIP_1) | instid1(VALU_DEP_2)
	v_subrev_nc_u32_e32 v4, s17, v3
	v_cmp_le_u32_e32 vcc_lo, s17, v3
	v_cndmask_b32_e32 v3, v3, v4, vcc_lo
	v_ashrrev_i32_e32 v2, 31, v2
	s_delay_alu instid0(VALU_DEP_2) | instskip(SKIP_1) | instid1(VALU_DEP_2)
	v_subrev_nc_u32_e32 v4, s17, v3
	v_cmp_le_u32_e32 vcc_lo, s17, v3
	v_cndmask_b32_e32 v3, v3, v4, vcc_lo
	s_delay_alu instid0(VALU_DEP_1) | instskip(NEXT) | instid1(VALU_DEP_1)
	v_xor_b32_e32 v3, v3, v2
	v_sub_nc_u32_e32 v2, v3, v2
	s_delay_alu instid0(VALU_DEP_1) | instskip(SKIP_1) | instid1(SALU_CYCLE_1)
	v_cmp_eq_u32_e32 vcc_lo, 0, v2
	s_or_b32 s0, vcc_lo, s0
	s_and_saveexec_b32 s9, s0
	s_cbranch_execz .LBB400_231
; %bb.233:                              ;   in Loop: Header=BB400_232 Depth=1
	global_load_b32 v17, v[15:16], off
	ds_load_2addr_b64 v[5:8], v10 offset1:1
	ds_load_2addr_b64 v[1:4], v10 offset0:2 offset1:3
	s_mov_b32 s0, exec_lo
                                        ; implicit-def: $vgpr39
	s_waitcnt lgkmcnt(1)
	v_and_b32_e32 v27, 0x7f800000, v5
	s_delay_alu instid0(VALU_DEP_1)
	v_cmpx_ne_u32_e32 0x7f800000, v27
	s_xor_b32 s0, exec_lo, s0
; %bb.234:                              ;   in Loop: Header=BB400_232 Depth=1
	v_bfe_u32 v27, v5, 16, 1
	s_delay_alu instid0(VALU_DEP_1)
	v_add3_u32 v39, v5, v27, 0x7fff
; %bb.235:                              ;   in Loop: Header=BB400_232 Depth=1
	s_and_not1_saveexec_b32 s0, s0
; %bb.236:                              ;   in Loop: Header=BB400_232 Depth=1
	v_and_b32_e32 v27, 0xffff, v5
	v_or_b32_e32 v28, 0x10000, v5
	s_delay_alu instid0(VALU_DEP_2) | instskip(NEXT) | instid1(VALU_DEP_2)
	v_cmp_eq_u32_e32 vcc_lo, 0, v27
	v_cndmask_b32_e32 v39, v28, v5, vcc_lo
; %bb.237:                              ;   in Loop: Header=BB400_232 Depth=1
	s_or_b32 exec_lo, exec_lo, s0
	v_and_b32_e32 v5, 0x7f800000, v6
	s_mov_b32 s0, exec_lo
                                        ; implicit-def: $vgpr40
	s_delay_alu instid0(VALU_DEP_1)
	v_cmpx_ne_u32_e32 0x7f800000, v5
	s_xor_b32 s0, exec_lo, s0
; %bb.238:                              ;   in Loop: Header=BB400_232 Depth=1
	v_bfe_u32 v5, v6, 16, 1
	s_delay_alu instid0(VALU_DEP_1)
	v_add3_u32 v40, v6, v5, 0x7fff
; %bb.239:                              ;   in Loop: Header=BB400_232 Depth=1
	s_and_not1_saveexec_b32 s0, s0
; %bb.240:                              ;   in Loop: Header=BB400_232 Depth=1
	v_and_b32_e32 v5, 0xffff, v6
	v_or_b32_e32 v27, 0x10000, v6
	s_delay_alu instid0(VALU_DEP_2) | instskip(NEXT) | instid1(VALU_DEP_2)
	v_cmp_eq_u32_e32 vcc_lo, 0, v5
	v_cndmask_b32_e32 v40, v27, v6, vcc_lo
; %bb.241:                              ;   in Loop: Header=BB400_232 Depth=1
	s_or_b32 exec_lo, exec_lo, s0
	v_and_b32_e32 v5, 0x7f800000, v7
	s_mov_b32 s0, exec_lo
                                        ; implicit-def: $vgpr41
	s_delay_alu instid0(VALU_DEP_1)
	v_cmpx_ne_u32_e32 0x7f800000, v5
	s_xor_b32 s0, exec_lo, s0
; %bb.242:                              ;   in Loop: Header=BB400_232 Depth=1
	v_bfe_u32 v5, v7, 16, 1
	s_delay_alu instid0(VALU_DEP_1)
	v_add3_u32 v41, v7, v5, 0x7fff
; %bb.243:                              ;   in Loop: Header=BB400_232 Depth=1
	s_and_not1_saveexec_b32 s0, s0
; %bb.244:                              ;   in Loop: Header=BB400_232 Depth=1
	v_and_b32_e32 v5, 0xffff, v7
	v_or_b32_e32 v6, 0x10000, v7
	s_delay_alu instid0(VALU_DEP_2) | instskip(NEXT) | instid1(VALU_DEP_2)
	v_cmp_eq_u32_e32 vcc_lo, 0, v5
	v_cndmask_b32_e32 v41, v6, v7, vcc_lo
; %bb.245:                              ;   in Loop: Header=BB400_232 Depth=1
	s_or_b32 exec_lo, exec_lo, s0
	v_and_b32_e32 v5, 0x7f800000, v8
	s_mov_b32 s0, exec_lo
                                        ; implicit-def: $vgpr42
	s_delay_alu instid0(VALU_DEP_1)
	v_cmpx_ne_u32_e32 0x7f800000, v5
	s_xor_b32 s0, exec_lo, s0
; %bb.246:                              ;   in Loop: Header=BB400_232 Depth=1
	v_bfe_u32 v5, v8, 16, 1
	s_delay_alu instid0(VALU_DEP_1)
	v_add3_u32 v42, v8, v5, 0x7fff
                                        ; implicit-def: $vgpr5_vgpr6_vgpr7_vgpr8
; %bb.247:                              ;   in Loop: Header=BB400_232 Depth=1
	s_and_not1_saveexec_b32 s0, s0
; %bb.248:                              ;   in Loop: Header=BB400_232 Depth=1
	v_and_b32_e32 v5, 0xffff, v8
	v_or_b32_e32 v6, 0x10000, v8
	s_delay_alu instid0(VALU_DEP_2) | instskip(NEXT) | instid1(VALU_DEP_2)
	v_cmp_eq_u32_e32 vcc_lo, 0, v5
	v_cndmask_b32_e32 v42, v6, v8, vcc_lo
; %bb.249:                              ;   in Loop: Header=BB400_232 Depth=1
	s_or_b32 exec_lo, exec_lo, s0
	s_waitcnt lgkmcnt(0)
	v_and_b32_e32 v5, 0x7f800000, v1
	s_mov_b32 s0, exec_lo
                                        ; implicit-def: $vgpr27
	s_delay_alu instid0(VALU_DEP_1)
	v_cmpx_ne_u32_e32 0x7f800000, v5
	s_xor_b32 s0, exec_lo, s0
; %bb.250:                              ;   in Loop: Header=BB400_232 Depth=1
	v_bfe_u32 v5, v1, 16, 1
	s_delay_alu instid0(VALU_DEP_1)
	v_add3_u32 v27, v1, v5, 0x7fff
; %bb.251:                              ;   in Loop: Header=BB400_232 Depth=1
	s_and_not1_saveexec_b32 s0, s0
; %bb.252:                              ;   in Loop: Header=BB400_232 Depth=1
	v_and_b32_e32 v5, 0xffff, v1
	v_or_b32_e32 v6, 0x10000, v1
	s_delay_alu instid0(VALU_DEP_2) | instskip(NEXT) | instid1(VALU_DEP_2)
	v_cmp_eq_u32_e32 vcc_lo, 0, v5
	v_cndmask_b32_e32 v27, v6, v1, vcc_lo
; %bb.253:                              ;   in Loop: Header=BB400_232 Depth=1
	s_or_b32 exec_lo, exec_lo, s0
	v_and_b32_e32 v1, 0x7f800000, v2
	s_mov_b32 s0, exec_lo
                                        ; implicit-def: $vgpr28
	s_delay_alu instid0(VALU_DEP_1)
	v_cmpx_ne_u32_e32 0x7f800000, v1
	s_xor_b32 s0, exec_lo, s0
; %bb.254:                              ;   in Loop: Header=BB400_232 Depth=1
	v_bfe_u32 v1, v2, 16, 1
	s_delay_alu instid0(VALU_DEP_1)
	v_add3_u32 v28, v2, v1, 0x7fff
; %bb.255:                              ;   in Loop: Header=BB400_232 Depth=1
	s_and_not1_saveexec_b32 s0, s0
; %bb.256:                              ;   in Loop: Header=BB400_232 Depth=1
	v_and_b32_e32 v1, 0xffff, v2
	v_or_b32_e32 v5, 0x10000, v2
	s_delay_alu instid0(VALU_DEP_2) | instskip(NEXT) | instid1(VALU_DEP_2)
	v_cmp_eq_u32_e32 vcc_lo, 0, v1
	v_cndmask_b32_e32 v28, v5, v2, vcc_lo
; %bb.257:                              ;   in Loop: Header=BB400_232 Depth=1
	s_or_b32 exec_lo, exec_lo, s0
	v_and_b32_e32 v1, 0x7f800000, v3
	s_mov_b32 s0, exec_lo
                                        ; implicit-def: $vgpr29
	s_delay_alu instid0(VALU_DEP_1)
	v_cmpx_ne_u32_e32 0x7f800000, v1
	s_xor_b32 s0, exec_lo, s0
; %bb.258:                              ;   in Loop: Header=BB400_232 Depth=1
	v_bfe_u32 v1, v3, 16, 1
	s_delay_alu instid0(VALU_DEP_1)
	v_add3_u32 v29, v3, v1, 0x7fff
; %bb.259:                              ;   in Loop: Header=BB400_232 Depth=1
	s_and_not1_saveexec_b32 s0, s0
; %bb.260:                              ;   in Loop: Header=BB400_232 Depth=1
	v_and_b32_e32 v1, 0xffff, v3
	v_or_b32_e32 v2, 0x10000, v3
	s_delay_alu instid0(VALU_DEP_2) | instskip(NEXT) | instid1(VALU_DEP_2)
	v_cmp_eq_u32_e32 vcc_lo, 0, v1
	v_cndmask_b32_e32 v29, v2, v3, vcc_lo
; %bb.261:                              ;   in Loop: Header=BB400_232 Depth=1
	s_or_b32 exec_lo, exec_lo, s0
	v_and_b32_e32 v1, 0x7f800000, v4
	s_mov_b32 s0, exec_lo
                                        ; implicit-def: $vgpr37
	s_delay_alu instid0(VALU_DEP_1)
	v_cmpx_ne_u32_e32 0x7f800000, v1
	s_xor_b32 s0, exec_lo, s0
; %bb.262:                              ;   in Loop: Header=BB400_232 Depth=1
	v_bfe_u32 v1, v4, 16, 1
	s_delay_alu instid0(VALU_DEP_1)
	v_add3_u32 v37, v4, v1, 0x7fff
                                        ; implicit-def: $vgpr1_vgpr2_vgpr3_vgpr4
; %bb.263:                              ;   in Loop: Header=BB400_232 Depth=1
	s_and_not1_saveexec_b32 s0, s0
; %bb.264:                              ;   in Loop: Header=BB400_232 Depth=1
	v_and_b32_e32 v1, 0xffff, v4
	v_or_b32_e32 v2, 0x10000, v4
	s_delay_alu instid0(VALU_DEP_2) | instskip(NEXT) | instid1(VALU_DEP_2)
	v_cmp_eq_u32_e32 vcc_lo, 0, v1
	v_cndmask_b32_e32 v37, v2, v4, vcc_lo
; %bb.265:                              ;   in Loop: Header=BB400_232 Depth=1
	s_or_b32 exec_lo, exec_lo, s0
	s_waitcnt vmcnt(0)
	v_mad_i64_i32 v[1:2], null, v17, s5, v[13:14]
	s_load_b32 s20, s[6:7], 0x0
	s_mov_b32 s0, exec_lo
	v_mov_b32_e32 v5, 0
	global_load_b64 v[3:4], v[1:2], off
	s_waitcnt vmcnt(0)
	v_and_b32_e32 v6, 0xff, v3
	s_delay_alu instid0(VALU_DEP_1)
	v_cmpx_ne_u16_e32 0, v6
	s_cbranch_execz .LBB400_271
; %bb.266:                              ;   in Loop: Header=BB400_232 Depth=1
	v_bfrev_b32_e32 v5, 1
	s_mov_b32 s21, exec_lo
	v_cmpx_ne_u16_e32 0x80, v6
	s_cbranch_execz .LBB400_270
; %bb.267:                              ;   in Loop: Header=BB400_232 Depth=1
	v_and_b32_e32 v6, 0x7f, v3
	v_mov_b32_e32 v5, 0x7f800001
	s_mov_b32 s22, exec_lo
	s_delay_alu instid0(VALU_DEP_2)
	v_cmpx_ne_u32_e32 0x7f, v6
	s_cbranch_execz .LBB400_269
; %bb.268:                              ;   in Loop: Header=BB400_232 Depth=1
	v_and_b32_e32 v5, 7, v3
	v_lshrrev_b32_e32 v7, 3, v6
	v_cmp_gt_u32_e32 vcc_lo, 8, v6
	s_delay_alu instid0(VALU_DEP_3) | instskip(NEXT) | instid1(VALU_DEP_1)
	v_clz_i32_u32_e32 v5, v5
	v_min_u32_e32 v5, 32, v5
	s_delay_alu instid0(VALU_DEP_1) | instskip(SKIP_1) | instid1(VALU_DEP_1)
	v_subrev_nc_u32_e32 v8, 28, v5
	v_sub_nc_u32_e32 v5, 29, v5
	v_cndmask_b32_e32 v7, v7, v5, vcc_lo
	s_delay_alu instid0(VALU_DEP_3) | instskip(NEXT) | instid1(VALU_DEP_1)
	v_cndmask_b32_e32 v5, 0, v8, vcc_lo
	v_lshlrev_b64 v[5:6], v5, v[3:4]
	v_lshlrev_b32_e32 v6, 24, v3
	s_delay_alu instid0(VALU_DEP_4) | instskip(NEXT) | instid1(VALU_DEP_2)
	v_lshl_add_u32 v7, v7, 23, 0x3c000000
	v_and_b32_e32 v6, 0x80000000, v6
	s_delay_alu instid0(VALU_DEP_4) | instskip(NEXT) | instid1(VALU_DEP_1)
	v_lshlrev_b32_e32 v5, 20, v5
	v_and_b32_e32 v5, 0x700000, v5
	s_delay_alu instid0(VALU_DEP_1)
	v_or3_b32 v5, v5, v6, v7
.LBB400_269:                            ;   in Loop: Header=BB400_232 Depth=1
	s_or_b32 exec_lo, exec_lo, s22
.LBB400_270:                            ;   in Loop: Header=BB400_232 Depth=1
	s_delay_alu instid0(SALU_CYCLE_1)
	s_or_b32 exec_lo, exec_lo, s21
.LBB400_271:                            ;   in Loop: Header=BB400_232 Depth=1
	s_delay_alu instid0(SALU_CYCLE_1) | instskip(SKIP_3) | instid1(VALU_DEP_1)
	s_or_b32 exec_lo, exec_lo, s0
	s_waitcnt lgkmcnt(0)
	v_mul_f32_e32 v5, s20, v5
	s_mov_b32 s0, exec_lo
                                        ; implicit-def: $vgpr7
	v_and_b32_e32 v6, 0x7f800000, v5
	s_delay_alu instid0(VALU_DEP_1)
	v_cmpx_ne_u32_e32 0x7f800000, v6
	s_xor_b32 s0, exec_lo, s0
; %bb.272:                              ;   in Loop: Header=BB400_232 Depth=1
	v_bfe_u32 v6, v5, 16, 1
	s_delay_alu instid0(VALU_DEP_1)
	v_add3_u32 v7, v5, v6, 0x7fff
                                        ; implicit-def: $vgpr5
; %bb.273:                              ;   in Loop: Header=BB400_232 Depth=1
	s_and_not1_saveexec_b32 s0, s0
; %bb.274:                              ;   in Loop: Header=BB400_232 Depth=1
	v_and_b32_e32 v6, 0xffff, v5
	v_or_b32_e32 v7, 0x10000, v5
	s_delay_alu instid0(VALU_DEP_2) | instskip(NEXT) | instid1(VALU_DEP_2)
	v_cmp_eq_u32_e32 vcc_lo, 0, v6
	v_cndmask_b32_e32 v7, v7, v5, vcc_lo
; %bb.275:                              ;   in Loop: Header=BB400_232 Depth=1
	s_or_b32 exec_lo, exec_lo, s0
	v_lshrrev_b16 v6, 8, v3
	v_mov_b32_e32 v5, 0
	s_mov_b32 s0, exec_lo
	s_delay_alu instid0(VALU_DEP_2)
	v_cmpx_ne_u16_e32 0, v6
	s_cbranch_execz .LBB400_283
; %bb.276:                              ;   in Loop: Header=BB400_232 Depth=1
	v_bfrev_b32_e32 v5, 1
	s_mov_b32 s21, exec_lo
	v_cmpx_ne_u16_e32 0x80, v6
	s_cbranch_execz .LBB400_282
; %bb.277:                              ;   in Loop: Header=BB400_232 Depth=1
	v_and_b32_e32 v8, 0xffff, v6
	v_mov_b32_e32 v5, 0x7f800001
	s_mov_b32 s22, exec_lo
	s_delay_alu instid0(VALU_DEP_2) | instskip(NEXT) | instid1(VALU_DEP_1)
	v_and_b32_e32 v6, 0x7f, v8
	v_cmpx_ne_u32_e32 0x7f, v6
	s_cbranch_execz .LBB400_281
; %bb.278:                              ;   in Loop: Header=BB400_232 Depth=1
	v_and_b32_e32 v17, 7, v8
	v_lshrrev_b32_e32 v5, 3, v6
	s_mov_b32 s23, exec_lo
	v_cmpx_gt_u32_e32 8, v6
; %bb.279:                              ;   in Loop: Header=BB400_232 Depth=1
	s_delay_alu instid0(VALU_DEP_3) | instskip(NEXT) | instid1(VALU_DEP_1)
	v_clz_i32_u32_e32 v5, v17
	v_min_u32_e32 v5, 32, v5
	s_delay_alu instid0(VALU_DEP_1) | instskip(SKIP_1) | instid1(VALU_DEP_2)
	v_subrev_nc_u32_e32 v6, 28, v5
	v_sub_nc_u32_e32 v5, 29, v5
	v_lshlrev_b64 v[30:31], v6, v[17:18]
	s_delay_alu instid0(VALU_DEP_1)
	v_and_b32_e32 v17, 7, v30
; %bb.280:                              ;   in Loop: Header=BB400_232 Depth=1
	s_or_b32 exec_lo, exec_lo, s23
	v_lshlrev_b32_e32 v6, 16, v3
	s_delay_alu instid0(VALU_DEP_2) | instskip(SKIP_1) | instid1(VALU_DEP_3)
	v_lshlrev_b32_e32 v8, 20, v17
	v_lshl_add_u32 v5, v5, 23, 0x3c000000
	v_and_b32_e32 v6, 0x80000000, v6
	s_delay_alu instid0(VALU_DEP_1)
	v_or3_b32 v5, v8, v6, v5
.LBB400_281:                            ;   in Loop: Header=BB400_232 Depth=1
	s_or_b32 exec_lo, exec_lo, s22
.LBB400_282:                            ;   in Loop: Header=BB400_232 Depth=1
	s_delay_alu instid0(SALU_CYCLE_1)
	s_or_b32 exec_lo, exec_lo, s21
.LBB400_283:                            ;   in Loop: Header=BB400_232 Depth=1
	s_delay_alu instid0(SALU_CYCLE_1) | instskip(NEXT) | instid1(VALU_DEP_1)
	s_or_b32 exec_lo, exec_lo, s0
	v_mul_f32_e32 v5, s20, v5
	s_mov_b32 s0, exec_lo
                                        ; implicit-def: $vgpr8
	s_delay_alu instid0(VALU_DEP_1) | instskip(NEXT) | instid1(VALU_DEP_1)
	v_and_b32_e32 v6, 0x7f800000, v5
	v_cmpx_ne_u32_e32 0x7f800000, v6
	s_xor_b32 s0, exec_lo, s0
; %bb.284:                              ;   in Loop: Header=BB400_232 Depth=1
	v_bfe_u32 v6, v5, 16, 1
	s_delay_alu instid0(VALU_DEP_1)
	v_add3_u32 v8, v5, v6, 0x7fff
                                        ; implicit-def: $vgpr5
; %bb.285:                              ;   in Loop: Header=BB400_232 Depth=1
	s_and_not1_saveexec_b32 s0, s0
; %bb.286:                              ;   in Loop: Header=BB400_232 Depth=1
	v_and_b32_e32 v6, 0xffff, v5
	v_or_b32_e32 v8, 0x10000, v5
	s_delay_alu instid0(VALU_DEP_2) | instskip(NEXT) | instid1(VALU_DEP_2)
	v_cmp_eq_u32_e32 vcc_lo, 0, v6
	v_cndmask_b32_e32 v8, v8, v5, vcc_lo
; %bb.287:                              ;   in Loop: Header=BB400_232 Depth=1
	s_or_b32 exec_lo, exec_lo, s0
	v_lshrrev_b32_e32 v5, 16, v3
	s_mov_b32 s0, exec_lo
	s_delay_alu instid0(VALU_DEP_1) | instskip(NEXT) | instid1(VALU_DEP_1)
	v_dual_mov_b32 v6, 0 :: v_dual_and_b32 v17, 0xff, v5
	v_cmpx_ne_u16_e32 0, v17
	s_cbranch_execz .LBB400_295
; %bb.288:                              ;   in Loop: Header=BB400_232 Depth=1
	v_bfrev_b32_e32 v6, 1
	s_mov_b32 s21, exec_lo
	v_cmpx_ne_u16_e32 0x80, v17
	s_cbranch_execz .LBB400_294
; %bb.289:                              ;   in Loop: Header=BB400_232 Depth=1
	v_bfe_u32 v30, v3, 16, 7
	v_mov_b32_e32 v6, 0x7f800001
	s_mov_b32 s22, exec_lo
	s_delay_alu instid0(VALU_DEP_2)
	v_cmpx_ne_u32_e32 0x7f, v30
	s_cbranch_execz .LBB400_293
; %bb.290:                              ;   in Loop: Header=BB400_232 Depth=1
	v_and_b32_e32 v17, 7, v5
	v_lshrrev_b32_e32 v6, 3, v30
	s_mov_b32 s23, exec_lo
	v_cmpx_gt_u32_e32 8, v30
; %bb.291:                              ;   in Loop: Header=BB400_232 Depth=1
	s_delay_alu instid0(VALU_DEP_3) | instskip(NEXT) | instid1(VALU_DEP_1)
	v_clz_i32_u32_e32 v6, v17
	v_min_u32_e32 v6, 32, v6
	s_delay_alu instid0(VALU_DEP_1) | instskip(SKIP_1) | instid1(VALU_DEP_2)
	v_subrev_nc_u32_e32 v30, 28, v6
	v_sub_nc_u32_e32 v6, 29, v6
	v_lshlrev_b64 v[30:31], v30, v[17:18]
	s_delay_alu instid0(VALU_DEP_1)
	v_and_b32_e32 v17, 7, v30
; %bb.292:                              ;   in Loop: Header=BB400_232 Depth=1
	s_or_b32 exec_lo, exec_lo, s23
	v_lshlrev_b32_e32 v5, 24, v5
	s_delay_alu instid0(VALU_DEP_2) | instskip(SKIP_1) | instid1(VALU_DEP_3)
	v_lshlrev_b32_e32 v17, 20, v17
	v_lshl_add_u32 v6, v6, 23, 0x3c000000
	v_and_b32_e32 v5, 0x80000000, v5
	s_delay_alu instid0(VALU_DEP_1)
	v_or3_b32 v6, v17, v5, v6
.LBB400_293:                            ;   in Loop: Header=BB400_232 Depth=1
	s_or_b32 exec_lo, exec_lo, s22
.LBB400_294:                            ;   in Loop: Header=BB400_232 Depth=1
	s_delay_alu instid0(SALU_CYCLE_1)
	s_or_b32 exec_lo, exec_lo, s21
.LBB400_295:                            ;   in Loop: Header=BB400_232 Depth=1
	s_delay_alu instid0(SALU_CYCLE_1) | instskip(NEXT) | instid1(VALU_DEP_1)
	s_or_b32 exec_lo, exec_lo, s0
	v_mul_f32_e32 v5, s20, v6
	s_mov_b32 s0, exec_lo
                                        ; implicit-def: $vgpr31
	s_delay_alu instid0(VALU_DEP_1) | instskip(NEXT) | instid1(VALU_DEP_1)
	v_and_b32_e32 v6, 0x7f800000, v5
	v_cmpx_ne_u32_e32 0x7f800000, v6
	s_xor_b32 s0, exec_lo, s0
; %bb.296:                              ;   in Loop: Header=BB400_232 Depth=1
	v_bfe_u32 v6, v5, 16, 1
	s_delay_alu instid0(VALU_DEP_1)
	v_add3_u32 v31, v5, v6, 0x7fff
                                        ; implicit-def: $vgpr5
; %bb.297:                              ;   in Loop: Header=BB400_232 Depth=1
	s_and_not1_saveexec_b32 s0, s0
; %bb.298:                              ;   in Loop: Header=BB400_232 Depth=1
	v_and_b32_e32 v6, 0xffff, v5
	v_or_b32_e32 v17, 0x10000, v5
	s_delay_alu instid0(VALU_DEP_2) | instskip(NEXT) | instid1(VALU_DEP_2)
	v_cmp_eq_u32_e32 vcc_lo, 0, v6
	v_cndmask_b32_e32 v31, v17, v5, vcc_lo
; %bb.299:                              ;   in Loop: Header=BB400_232 Depth=1
	s_or_b32 exec_lo, exec_lo, s0
	v_mov_b32_e32 v6, 0
	s_mov_b32 s0, exec_lo
	v_cmpx_lt_u32_e32 0xffffff, v3
	s_cbranch_execz .LBB400_307
; %bb.300:                              ;   in Loop: Header=BB400_232 Depth=1
	v_lshrrev_b32_e32 v5, 24, v3
	v_bfrev_b32_e32 v6, 1
	s_mov_b32 s21, exec_lo
	s_delay_alu instid0(VALU_DEP_2)
	v_cmpx_ne_u32_e32 0x80, v5
	s_cbranch_execz .LBB400_306
; %bb.301:                              ;   in Loop: Header=BB400_232 Depth=1
	v_bfe_u32 v30, v3, 24, 7
	v_mov_b32_e32 v6, 0x7f800001
	s_mov_b32 s22, exec_lo
	s_delay_alu instid0(VALU_DEP_2)
	v_cmpx_ne_u32_e32 0x7f, v30
	s_cbranch_execz .LBB400_305
; %bb.302:                              ;   in Loop: Header=BB400_232 Depth=1
	v_and_b32_e32 v17, 7, v5
	v_lshrrev_b32_e32 v6, 3, v30
	s_mov_b32 s23, exec_lo
	v_cmpx_gt_u32_e32 8, v30
; %bb.303:                              ;   in Loop: Header=BB400_232 Depth=1
	s_delay_alu instid0(VALU_DEP_3) | instskip(NEXT) | instid1(VALU_DEP_1)
	v_clz_i32_u32_e32 v6, v17
	v_min_u32_e32 v6, 32, v6
	s_delay_alu instid0(VALU_DEP_1) | instskip(SKIP_1) | instid1(VALU_DEP_2)
	v_subrev_nc_u32_e32 v30, 28, v6
	v_sub_nc_u32_e32 v6, 29, v6
	v_lshlrev_b64 v[32:33], v30, v[17:18]
	s_delay_alu instid0(VALU_DEP_1)
	v_and_b32_e32 v17, 7, v32
; %bb.304:                              ;   in Loop: Header=BB400_232 Depth=1
	s_or_b32 exec_lo, exec_lo, s23
	v_lshlrev_b32_e32 v5, 24, v5
	s_delay_alu instid0(VALU_DEP_2) | instskip(SKIP_1) | instid1(VALU_DEP_3)
	v_lshlrev_b32_e32 v17, 20, v17
	v_lshl_add_u32 v6, v6, 23, 0x3c000000
	v_and_b32_e32 v5, 0x80000000, v5
	s_delay_alu instid0(VALU_DEP_1)
	v_or3_b32 v6, v17, v5, v6
.LBB400_305:                            ;   in Loop: Header=BB400_232 Depth=1
	s_or_b32 exec_lo, exec_lo, s22
.LBB400_306:                            ;   in Loop: Header=BB400_232 Depth=1
	s_delay_alu instid0(SALU_CYCLE_1)
	s_or_b32 exec_lo, exec_lo, s21
.LBB400_307:                            ;   in Loop: Header=BB400_232 Depth=1
	s_delay_alu instid0(SALU_CYCLE_1) | instskip(NEXT) | instid1(VALU_DEP_1)
	s_or_b32 exec_lo, exec_lo, s0
	v_mul_f32_e32 v5, s20, v6
	s_mov_b32 s0, exec_lo
                                        ; implicit-def: $vgpr32
	s_delay_alu instid0(VALU_DEP_1) | instskip(NEXT) | instid1(VALU_DEP_1)
	v_and_b32_e32 v6, 0x7f800000, v5
	v_cmpx_ne_u32_e32 0x7f800000, v6
	s_xor_b32 s0, exec_lo, s0
; %bb.308:                              ;   in Loop: Header=BB400_232 Depth=1
	v_bfe_u32 v6, v5, 16, 1
	s_delay_alu instid0(VALU_DEP_1)
	v_add3_u32 v32, v5, v6, 0x7fff
                                        ; implicit-def: $vgpr5
; %bb.309:                              ;   in Loop: Header=BB400_232 Depth=1
	s_and_not1_saveexec_b32 s0, s0
; %bb.310:                              ;   in Loop: Header=BB400_232 Depth=1
	v_and_b32_e32 v6, 0xffff, v5
	v_or_b32_e32 v17, 0x10000, v5
	s_delay_alu instid0(VALU_DEP_2) | instskip(NEXT) | instid1(VALU_DEP_2)
	v_cmp_eq_u32_e32 vcc_lo, 0, v6
	v_cndmask_b32_e32 v32, v17, v5, vcc_lo
; %bb.311:                              ;   in Loop: Header=BB400_232 Depth=1
	s_or_b32 exec_lo, exec_lo, s0
	v_dual_mov_b32 v17, v4 :: v_dual_and_b32 v6, 0xff, v4
	v_mov_b32_e32 v5, 0
	s_mov_b32 s0, exec_lo
	s_delay_alu instid0(VALU_DEP_2)
	v_cmpx_ne_u16_e32 0, v6
	s_cbranch_execz .LBB400_317
; %bb.312:                              ;   in Loop: Header=BB400_232 Depth=1
	v_bfrev_b32_e32 v5, 1
	s_mov_b32 s21, exec_lo
	v_cmpx_ne_u16_e32 0x80, v6
	s_cbranch_execz .LBB400_316
; %bb.313:                              ;   in Loop: Header=BB400_232 Depth=1
	v_and_b32_e32 v6, 0x7f, v4
	v_mov_b32_e32 v5, 0x7f800001
	s_mov_b32 s22, exec_lo
	s_delay_alu instid0(VALU_DEP_2)
	v_cmpx_ne_u32_e32 0x7f, v6
	s_cbranch_execz .LBB400_315
; %bb.314:                              ;   in Loop: Header=BB400_232 Depth=1
	v_and_b32_e32 v5, 7, v4
	v_lshrrev_b32_e32 v30, 3, v6
	v_cmp_gt_u32_e32 vcc_lo, 8, v6
	s_delay_alu instid0(VALU_DEP_3) | instskip(NEXT) | instid1(VALU_DEP_1)
	v_clz_i32_u32_e32 v5, v5
	v_min_u32_e32 v5, 32, v5
	s_delay_alu instid0(VALU_DEP_1) | instskip(SKIP_1) | instid1(VALU_DEP_1)
	v_subrev_nc_u32_e32 v33, 28, v5
	v_sub_nc_u32_e32 v5, 29, v5
	v_cndmask_b32_e32 v30, v30, v5, vcc_lo
	s_delay_alu instid0(VALU_DEP_3) | instskip(NEXT) | instid1(VALU_DEP_2)
	v_cndmask_b32_e32 v5, 0, v33, vcc_lo
	v_lshl_add_u32 v30, v30, 23, 0x3c000000
	s_delay_alu instid0(VALU_DEP_2) | instskip(SKIP_1) | instid1(VALU_DEP_1)
	v_lshlrev_b64 v[5:6], v5, v[17:18]
	v_lshlrev_b32_e32 v6, 24, v17
	v_and_b32_e32 v6, 0x80000000, v6
	s_delay_alu instid0(VALU_DEP_3) | instskip(NEXT) | instid1(VALU_DEP_1)
	v_lshlrev_b32_e32 v5, 20, v5
	v_and_b32_e32 v5, 0x700000, v5
	s_delay_alu instid0(VALU_DEP_1)
	v_or3_b32 v5, v5, v6, v30
.LBB400_315:                            ;   in Loop: Header=BB400_232 Depth=1
	s_or_b32 exec_lo, exec_lo, s22
.LBB400_316:                            ;   in Loop: Header=BB400_232 Depth=1
	s_delay_alu instid0(SALU_CYCLE_1)
	s_or_b32 exec_lo, exec_lo, s21
.LBB400_317:                            ;   in Loop: Header=BB400_232 Depth=1
	s_delay_alu instid0(SALU_CYCLE_1) | instskip(NEXT) | instid1(VALU_DEP_1)
	s_or_b32 exec_lo, exec_lo, s0
	v_mul_f32_e32 v5, s20, v5
	s_mov_b32 s0, exec_lo
                                        ; implicit-def: $vgpr33
	s_delay_alu instid0(VALU_DEP_1) | instskip(NEXT) | instid1(VALU_DEP_1)
	v_and_b32_e32 v6, 0x7f800000, v5
	v_cmpx_ne_u32_e32 0x7f800000, v6
	s_xor_b32 s0, exec_lo, s0
; %bb.318:                              ;   in Loop: Header=BB400_232 Depth=1
	v_bfe_u32 v6, v5, 16, 1
	s_delay_alu instid0(VALU_DEP_1)
	v_add3_u32 v33, v5, v6, 0x7fff
                                        ; implicit-def: $vgpr5
; %bb.319:                              ;   in Loop: Header=BB400_232 Depth=1
	s_and_not1_saveexec_b32 s0, s0
; %bb.320:                              ;   in Loop: Header=BB400_232 Depth=1
	v_and_b32_e32 v6, 0xffff, v5
	v_or_b32_e32 v30, 0x10000, v5
	s_delay_alu instid0(VALU_DEP_2) | instskip(NEXT) | instid1(VALU_DEP_2)
	v_cmp_eq_u32_e32 vcc_lo, 0, v6
	v_cndmask_b32_e32 v33, v30, v5, vcc_lo
; %bb.321:                              ;   in Loop: Header=BB400_232 Depth=1
	s_or_b32 exec_lo, exec_lo, s0
	v_lshrrev_b16 v6, 8, v17
	v_mov_b32_e32 v5, 0
	s_mov_b32 s0, exec_lo
	s_delay_alu instid0(VALU_DEP_2)
	v_cmpx_ne_u16_e32 0, v6
	s_cbranch_execz .LBB400_329
; %bb.322:                              ;   in Loop: Header=BB400_232 Depth=1
	v_bfrev_b32_e32 v5, 1
	s_mov_b32 s21, exec_lo
	v_cmpx_ne_u16_e32 0x80, v6
	s_cbranch_execz .LBB400_328
; %bb.323:                              ;   in Loop: Header=BB400_232 Depth=1
	v_and_b32_e32 v6, 0xffff, v6
	v_mov_b32_e32 v5, 0x7f800001
	s_mov_b32 s22, exec_lo
	s_delay_alu instid0(VALU_DEP_2) | instskip(NEXT) | instid1(VALU_DEP_1)
	v_and_b32_e32 v34, 0x7f, v6
	v_cmpx_ne_u32_e32 0x7f, v34
	s_cbranch_execz .LBB400_327
; %bb.324:                              ;   in Loop: Header=BB400_232 Depth=1
	v_dual_mov_b32 v6, v18 :: v_dual_and_b32 v5, 7, v6
	v_lshrrev_b32_e32 v30, 3, v34
	s_mov_b32 s23, exec_lo
	v_cmpx_gt_u32_e32 8, v34
; %bb.325:                              ;   in Loop: Header=BB400_232 Depth=1
	s_delay_alu instid0(VALU_DEP_3) | instskip(NEXT) | instid1(VALU_DEP_1)
	v_clz_i32_u32_e32 v30, v5
	v_min_u32_e32 v30, 32, v30
	s_delay_alu instid0(VALU_DEP_1) | instskip(SKIP_1) | instid1(VALU_DEP_2)
	v_subrev_nc_u32_e32 v34, 28, v30
	v_sub_nc_u32_e32 v30, 29, v30
	v_lshlrev_b64 v[5:6], v34, v[5:6]
	s_delay_alu instid0(VALU_DEP_1)
	v_and_b32_e32 v5, 7, v5
; %bb.326:                              ;   in Loop: Header=BB400_232 Depth=1
	s_or_b32 exec_lo, exec_lo, s23
	v_lshlrev_b32_e32 v6, 16, v17
	s_delay_alu instid0(VALU_DEP_2) | instskip(SKIP_1) | instid1(VALU_DEP_3)
	v_lshlrev_b32_e32 v5, 20, v5
	v_lshl_add_u32 v17, v30, 23, 0x3c000000
	v_and_b32_e32 v6, 0x80000000, v6
	s_delay_alu instid0(VALU_DEP_1)
	v_or3_b32 v5, v5, v6, v17
.LBB400_327:                            ;   in Loop: Header=BB400_232 Depth=1
	s_or_b32 exec_lo, exec_lo, s22
.LBB400_328:                            ;   in Loop: Header=BB400_232 Depth=1
	s_delay_alu instid0(SALU_CYCLE_1)
	s_or_b32 exec_lo, exec_lo, s21
.LBB400_329:                            ;   in Loop: Header=BB400_232 Depth=1
	s_delay_alu instid0(SALU_CYCLE_1) | instskip(NEXT) | instid1(VALU_DEP_1)
	s_or_b32 exec_lo, exec_lo, s0
	v_mul_f32_e32 v6, s20, v5
	s_delay_alu instid0(VALU_DEP_1) | instskip(NEXT) | instid1(VALU_DEP_1)
	v_and_b32_e32 v5, 0x7f800000, v6
	v_cmp_ne_u32_e32 vcc_lo, 0x7f800000, v5
                                        ; implicit-def: $vgpr5
	s_and_saveexec_b32 s0, vcc_lo
	s_delay_alu instid0(SALU_CYCLE_1)
	s_xor_b32 s0, exec_lo, s0
; %bb.330:                              ;   in Loop: Header=BB400_232 Depth=1
	v_bfe_u32 v5, v6, 16, 1
	s_delay_alu instid0(VALU_DEP_1)
	v_add3_u32 v5, v6, v5, 0x7fff
                                        ; implicit-def: $vgpr6
; %bb.331:                              ;   in Loop: Header=BB400_232 Depth=1
	s_and_not1_saveexec_b32 s0, s0
; %bb.332:                              ;   in Loop: Header=BB400_232 Depth=1
	v_and_b32_e32 v5, 0xffff, v6
	v_or_b32_e32 v17, 0x10000, v6
	s_delay_alu instid0(VALU_DEP_2) | instskip(NEXT) | instid1(VALU_DEP_2)
	v_cmp_eq_u32_e32 vcc_lo, 0, v5
	v_cndmask_b32_e32 v5, v17, v6, vcc_lo
; %bb.333:                              ;   in Loop: Header=BB400_232 Depth=1
	s_or_b32 exec_lo, exec_lo, s0
	v_lshrrev_b32_e32 v6, 16, v4
	s_mov_b32 s0, exec_lo
	s_delay_alu instid0(VALU_DEP_1) | instskip(NEXT) | instid1(VALU_DEP_1)
	v_dual_mov_b32 v17, 0 :: v_dual_and_b32 v30, 0xff, v6
	v_cmpx_ne_u16_e32 0, v30
	s_cbranch_execz .LBB400_341
; %bb.334:                              ;   in Loop: Header=BB400_232 Depth=1
	v_bfrev_b32_e32 v17, 1
	s_mov_b32 s21, exec_lo
	v_cmpx_ne_u16_e32 0x80, v30
	s_cbranch_execz .LBB400_340
; %bb.335:                              ;   in Loop: Header=BB400_232 Depth=1
	v_bfe_u32 v34, v4, 16, 7
	v_mov_b32_e32 v17, 0x7f800001
	s_mov_b32 s22, exec_lo
	s_delay_alu instid0(VALU_DEP_2)
	v_cmpx_ne_u32_e32 0x7f, v34
	s_cbranch_execz .LBB400_339
; %bb.336:                              ;   in Loop: Header=BB400_232 Depth=1
	v_and_b32_e32 v17, 7, v6
	v_lshrrev_b32_e32 v30, 3, v34
	s_mov_b32 s23, exec_lo
	v_cmpx_gt_u32_e32 8, v34
; %bb.337:                              ;   in Loop: Header=BB400_232 Depth=1
	s_delay_alu instid0(VALU_DEP_3) | instskip(NEXT) | instid1(VALU_DEP_1)
	v_clz_i32_u32_e32 v30, v17
	v_min_u32_e32 v30, 32, v30
	s_delay_alu instid0(VALU_DEP_1) | instskip(SKIP_1) | instid1(VALU_DEP_2)
	v_subrev_nc_u32_e32 v34, 28, v30
	v_sub_nc_u32_e32 v30, 29, v30
	v_lshlrev_b64 v[34:35], v34, v[17:18]
	s_delay_alu instid0(VALU_DEP_1)
	v_and_b32_e32 v17, 7, v34
; %bb.338:                              ;   in Loop: Header=BB400_232 Depth=1
	s_or_b32 exec_lo, exec_lo, s23
	v_lshlrev_b32_e32 v6, 24, v6
	s_delay_alu instid0(VALU_DEP_2) | instskip(SKIP_1) | instid1(VALU_DEP_3)
	v_lshlrev_b32_e32 v17, 20, v17
	v_lshl_add_u32 v30, v30, 23, 0x3c000000
	v_and_b32_e32 v6, 0x80000000, v6
	s_delay_alu instid0(VALU_DEP_1)
	v_or3_b32 v17, v17, v6, v30
.LBB400_339:                            ;   in Loop: Header=BB400_232 Depth=1
	s_or_b32 exec_lo, exec_lo, s22
.LBB400_340:                            ;   in Loop: Header=BB400_232 Depth=1
	s_delay_alu instid0(SALU_CYCLE_1)
	s_or_b32 exec_lo, exec_lo, s21
.LBB400_341:                            ;   in Loop: Header=BB400_232 Depth=1
	s_delay_alu instid0(SALU_CYCLE_1) | instskip(NEXT) | instid1(VALU_DEP_1)
	s_or_b32 exec_lo, exec_lo, s0
	v_mul_f32_e32 v17, s20, v17
	s_delay_alu instid0(VALU_DEP_1) | instskip(NEXT) | instid1(VALU_DEP_1)
	v_and_b32_e32 v6, 0x7f800000, v17
	v_cmp_ne_u32_e32 vcc_lo, 0x7f800000, v6
                                        ; implicit-def: $vgpr6
	s_and_saveexec_b32 s0, vcc_lo
	s_delay_alu instid0(SALU_CYCLE_1)
	s_xor_b32 s0, exec_lo, s0
; %bb.342:                              ;   in Loop: Header=BB400_232 Depth=1
	v_bfe_u32 v6, v17, 16, 1
	s_delay_alu instid0(VALU_DEP_1)
	v_add3_u32 v6, v17, v6, 0x7fff
                                        ; implicit-def: $vgpr17
; %bb.343:                              ;   in Loop: Header=BB400_232 Depth=1
	s_and_not1_saveexec_b32 s0, s0
; %bb.344:                              ;   in Loop: Header=BB400_232 Depth=1
	v_and_b32_e32 v6, 0xffff, v17
	v_or_b32_e32 v30, 0x10000, v17
	s_delay_alu instid0(VALU_DEP_2) | instskip(NEXT) | instid1(VALU_DEP_2)
	v_cmp_eq_u32_e32 vcc_lo, 0, v6
	v_cndmask_b32_e32 v6, v30, v17, vcc_lo
; %bb.345:                              ;   in Loop: Header=BB400_232 Depth=1
	s_or_b32 exec_lo, exec_lo, s0
	v_mov_b32_e32 v17, 0
	s_mov_b32 s0, exec_lo
	v_cmpx_lt_u64_e64 s[2:3], v[3:4]
	s_cbranch_execz .LBB400_353
; %bb.346:                              ;   in Loop: Header=BB400_232 Depth=1
	v_lshrrev_b32_e32 v3, 24, v4
	v_bfrev_b32_e32 v17, 1
	s_mov_b32 s21, exec_lo
	s_delay_alu instid0(VALU_DEP_2)
	v_cmpx_ne_u32_e32 0x80, v3
	s_cbranch_execz .LBB400_352
; %bb.347:                              ;   in Loop: Header=BB400_232 Depth=1
	v_bfe_u32 v30, v4, 24, 7
	v_mov_b32_e32 v17, 0x7f800001
	s_mov_b32 s22, exec_lo
	s_delay_alu instid0(VALU_DEP_2)
	v_cmpx_ne_u32_e32 0x7f, v30
	s_cbranch_execz .LBB400_351
; %bb.348:                              ;   in Loop: Header=BB400_232 Depth=1
	v_and_b32_e32 v17, 7, v3
	v_lshrrev_b32_e32 v4, 3, v30
	s_mov_b32 s23, exec_lo
	v_cmpx_gt_u32_e32 8, v30
; %bb.349:                              ;   in Loop: Header=BB400_232 Depth=1
	s_delay_alu instid0(VALU_DEP_3) | instskip(NEXT) | instid1(VALU_DEP_1)
	v_clz_i32_u32_e32 v4, v17
	v_min_u32_e32 v4, 32, v4
	s_delay_alu instid0(VALU_DEP_1) | instskip(SKIP_1) | instid1(VALU_DEP_2)
	v_subrev_nc_u32_e32 v30, 28, v4
	v_sub_nc_u32_e32 v4, 29, v4
	v_lshlrev_b64 v[34:35], v30, v[17:18]
	s_delay_alu instid0(VALU_DEP_1)
	v_and_b32_e32 v17, 7, v34
; %bb.350:                              ;   in Loop: Header=BB400_232 Depth=1
	s_or_b32 exec_lo, exec_lo, s23
	v_lshlrev_b32_e32 v3, 24, v3
	s_delay_alu instid0(VALU_DEP_2) | instskip(SKIP_1) | instid1(VALU_DEP_3)
	v_lshlrev_b32_e32 v17, 20, v17
	v_lshl_add_u32 v4, v4, 23, 0x3c000000
	v_and_b32_e32 v3, 0x80000000, v3
	s_delay_alu instid0(VALU_DEP_1)
	v_or3_b32 v17, v17, v3, v4
.LBB400_351:                            ;   in Loop: Header=BB400_232 Depth=1
	s_or_b32 exec_lo, exec_lo, s22
.LBB400_352:                            ;   in Loop: Header=BB400_232 Depth=1
	s_delay_alu instid0(SALU_CYCLE_1)
	s_or_b32 exec_lo, exec_lo, s21
.LBB400_353:                            ;   in Loop: Header=BB400_232 Depth=1
	s_delay_alu instid0(SALU_CYCLE_1) | instskip(NEXT) | instid1(VALU_DEP_1)
	s_or_b32 exec_lo, exec_lo, s0
	v_mul_f32_e32 v4, s20, v17
	s_delay_alu instid0(VALU_DEP_1) | instskip(NEXT) | instid1(VALU_DEP_1)
	v_and_b32_e32 v3, 0x7f800000, v4
	v_cmp_ne_u32_e32 vcc_lo, 0x7f800000, v3
                                        ; implicit-def: $vgpr3
	s_and_saveexec_b32 s0, vcc_lo
	s_delay_alu instid0(SALU_CYCLE_1)
	s_xor_b32 s0, exec_lo, s0
; %bb.354:                              ;   in Loop: Header=BB400_232 Depth=1
	v_bfe_u32 v3, v4, 16, 1
	s_delay_alu instid0(VALU_DEP_1)
	v_add3_u32 v3, v4, v3, 0x7fff
                                        ; implicit-def: $vgpr4
; %bb.355:                              ;   in Loop: Header=BB400_232 Depth=1
	s_and_not1_saveexec_b32 s0, s0
; %bb.356:                              ;   in Loop: Header=BB400_232 Depth=1
	v_and_b32_e32 v3, 0xffff, v4
	v_or_b32_e32 v17, 0x10000, v4
	s_delay_alu instid0(VALU_DEP_2) | instskip(NEXT) | instid1(VALU_DEP_2)
	v_cmp_eq_u32_e32 vcc_lo, 0, v3
	v_cndmask_b32_e32 v3, v17, v4, vcc_lo
; %bb.357:                              ;   in Loop: Header=BB400_232 Depth=1
	s_or_b32 exec_lo, exec_lo, s0
	v_add_nc_u32_e32 v30, v25, v22
	v_cmp_eq_u32_e32 vcc_lo, s18, v9
	v_lshrrev_b32_e32 v17, 16, v5
	v_lshrrev_b32_e32 v44, 16, v33
	;; [unrolled: 1-line block ×8, first 2 shown]
	v_add_nc_u32_e32 v38, 1, v30
	v_add_nc_u32_e32 v36, 2, v30
	;; [unrolled: 1-line block ×7, first 2 shown]
	s_and_saveexec_b32 s21, vcc_lo
	s_cbranch_execz .LBB400_359
; %bb.358:                              ;   in Loop: Header=BB400_232 Depth=1
	v_cmp_gt_i32_e64 s0, s33, v30
	s_delay_alu instid0(VALU_DEP_1) | instskip(SKIP_1) | instid1(VALU_DEP_1)
	v_cndmask_b32_e64 v5, 0, v5, s0
	v_cmp_gt_i32_e64 s0, s33, v38
	v_cndmask_b32_e64 v8, 0, v8, s0
	v_cmp_gt_i32_e64 s0, s33, v36
	s_delay_alu instid0(VALU_DEP_1) | instskip(SKIP_1) | instid1(VALU_DEP_1)
	v_cndmask_b32_e64 v45, 0, v45, s0
	v_cmp_gt_i32_e64 s0, s33, v35
	v_cndmask_b32_e64 v43, 0, v43, s0
	;; [unrolled: 5-line block ×4, first 2 shown]
.LBB400_359:                            ;   in Loop: Header=BB400_232 Depth=1
	s_or_b32 exec_lo, exec_lo, s21
	v_and_b32_e32 v39, 0xffff0000, v39
	v_lshlrev_b32_e32 v5, 16, v5
	s_delay_alu instid0(VALU_DEP_1) | instskip(NEXT) | instid1(VALU_DEP_1)
	v_mul_f32_e32 v6, v39, v5
	v_and_b32_e32 v5, 0x7f800000, v6
	s_delay_alu instid0(VALU_DEP_1) | instskip(NEXT) | instid1(VALU_DEP_1)
	v_cmp_ne_u32_e64 s0, 0x7f800000, v5
                                        ; implicit-def: $vgpr5
	s_and_saveexec_b32 s21, s0
	s_delay_alu instid0(SALU_CYCLE_1)
	s_xor_b32 s0, exec_lo, s21
; %bb.360:                              ;   in Loop: Header=BB400_232 Depth=1
	v_bfe_u32 v5, v6, 16, 1
	s_delay_alu instid0(VALU_DEP_1)
	v_add3_u32 v5, v6, v5, 0x7fff
                                        ; implicit-def: $vgpr6
; %bb.361:                              ;   in Loop: Header=BB400_232 Depth=1
	s_and_not1_saveexec_b32 s21, s0
; %bb.362:                              ;   in Loop: Header=BB400_232 Depth=1
	v_and_b32_e32 v5, 0xffff, v6
	v_or_b32_e32 v7, 0x10000, v6
	s_delay_alu instid0(VALU_DEP_2) | instskip(NEXT) | instid1(VALU_DEP_1)
	v_cmp_eq_u32_e64 s0, 0, v5
	v_cndmask_b32_e64 v5, v7, v6, s0
; %bb.363:                              ;   in Loop: Header=BB400_232 Depth=1
	s_or_b32 exec_lo, exec_lo, s21
	v_and_b32_e32 v40, 0xffff0000, v40
	v_lshlrev_b32_e32 v6, 16, v8
	s_delay_alu instid0(VALU_DEP_1) | instskip(NEXT) | instid1(VALU_DEP_1)
	v_mul_f32_e32 v7, v40, v6
	v_and_b32_e32 v6, 0x7f800000, v7
	s_delay_alu instid0(VALU_DEP_1) | instskip(NEXT) | instid1(VALU_DEP_1)
	v_cmp_ne_u32_e64 s0, 0x7f800000, v6
                                        ; implicit-def: $vgpr6
	s_and_saveexec_b32 s21, s0
	s_delay_alu instid0(SALU_CYCLE_1)
	s_xor_b32 s0, exec_lo, s21
; %bb.364:                              ;   in Loop: Header=BB400_232 Depth=1
	v_bfe_u32 v6, v7, 16, 1
	s_delay_alu instid0(VALU_DEP_1)
	v_add3_u32 v6, v7, v6, 0x7fff
                                        ; implicit-def: $vgpr7
; %bb.365:                              ;   in Loop: Header=BB400_232 Depth=1
	s_and_not1_saveexec_b32 s21, s0
; %bb.366:                              ;   in Loop: Header=BB400_232 Depth=1
	v_and_b32_e32 v6, 0xffff, v7
	v_or_b32_e32 v8, 0x10000, v7
	s_delay_alu instid0(VALU_DEP_2) | instskip(NEXT) | instid1(VALU_DEP_1)
	v_cmp_eq_u32_e64 s0, 0, v6
	v_cndmask_b32_e64 v6, v8, v7, s0
; %bb.367:                              ;   in Loop: Header=BB400_232 Depth=1
	s_or_b32 exec_lo, exec_lo, s21
	v_and_b32_e32 v41, 0xffff0000, v41
	v_lshlrev_b32_e32 v7, 16, v45
	s_delay_alu instid0(VALU_DEP_1) | instskip(NEXT) | instid1(VALU_DEP_1)
	v_mul_f32_e32 v8, v41, v7
	v_and_b32_e32 v7, 0x7f800000, v8
	s_delay_alu instid0(VALU_DEP_1) | instskip(NEXT) | instid1(VALU_DEP_1)
	v_cmp_ne_u32_e64 s0, 0x7f800000, v7
                                        ; implicit-def: $vgpr7
	s_and_saveexec_b32 s21, s0
	s_delay_alu instid0(SALU_CYCLE_1)
	s_xor_b32 s0, exec_lo, s21
; %bb.368:                              ;   in Loop: Header=BB400_232 Depth=1
	v_bfe_u32 v7, v8, 16, 1
	s_delay_alu instid0(VALU_DEP_1)
	v_add3_u32 v7, v8, v7, 0x7fff
                                        ; implicit-def: $vgpr8
; %bb.369:                              ;   in Loop: Header=BB400_232 Depth=1
	s_and_not1_saveexec_b32 s21, s0
; %bb.370:                              ;   in Loop: Header=BB400_232 Depth=1
	v_and_b32_e32 v7, 0xffff, v8
	v_or_b32_e32 v45, 0x10000, v8
	s_delay_alu instid0(VALU_DEP_2) | instskip(NEXT) | instid1(VALU_DEP_1)
	v_cmp_eq_u32_e64 s0, 0, v7
	v_cndmask_b32_e64 v7, v45, v8, s0
; %bb.371:                              ;   in Loop: Header=BB400_232 Depth=1
	s_or_b32 exec_lo, exec_lo, s21
	v_and_b32_e32 v42, 0xffff0000, v42
	v_lshlrev_b32_e32 v8, 16, v43
	s_delay_alu instid0(VALU_DEP_1) | instskip(NEXT) | instid1(VALU_DEP_1)
	v_mul_f32_e32 v43, v42, v8
	v_and_b32_e32 v8, 0x7f800000, v43
	s_delay_alu instid0(VALU_DEP_1) | instskip(NEXT) | instid1(VALU_DEP_1)
	v_cmp_ne_u32_e64 s0, 0x7f800000, v8
                                        ; implicit-def: $vgpr8
	s_and_saveexec_b32 s21, s0
	s_delay_alu instid0(SALU_CYCLE_1)
	s_xor_b32 s0, exec_lo, s21
; %bb.372:                              ;   in Loop: Header=BB400_232 Depth=1
	v_bfe_u32 v8, v43, 16, 1
	s_delay_alu instid0(VALU_DEP_1)
	v_add3_u32 v8, v43, v8, 0x7fff
                                        ; implicit-def: $vgpr43
; %bb.373:                              ;   in Loop: Header=BB400_232 Depth=1
	s_and_not1_saveexec_b32 s21, s0
; %bb.374:                              ;   in Loop: Header=BB400_232 Depth=1
	v_and_b32_e32 v8, 0xffff, v43
	v_or_b32_e32 v45, 0x10000, v43
	s_delay_alu instid0(VALU_DEP_2) | instskip(NEXT) | instid1(VALU_DEP_1)
	v_cmp_eq_u32_e64 s0, 0, v8
	v_cndmask_b32_e64 v8, v45, v43, s0
; %bb.375:                              ;   in Loop: Header=BB400_232 Depth=1
	s_or_b32 exec_lo, exec_lo, s21
	v_and_b32_e32 v43, 0xffff0000, v27
	v_lshlrev_b32_e32 v27, 16, v44
	s_delay_alu instid0(VALU_DEP_1) | instskip(NEXT) | instid1(VALU_DEP_1)
	v_mul_f32_e32 v44, v43, v27
	v_and_b32_e32 v27, 0x7f800000, v44
	s_delay_alu instid0(VALU_DEP_1) | instskip(NEXT) | instid1(VALU_DEP_1)
	v_cmp_ne_u32_e64 s0, 0x7f800000, v27
                                        ; implicit-def: $vgpr27
	s_and_saveexec_b32 s21, s0
	s_delay_alu instid0(SALU_CYCLE_1)
	s_xor_b32 s0, exec_lo, s21
; %bb.376:                              ;   in Loop: Header=BB400_232 Depth=1
	v_bfe_u32 v27, v44, 16, 1
	s_delay_alu instid0(VALU_DEP_1)
	v_add3_u32 v27, v44, v27, 0x7fff
                                        ; implicit-def: $vgpr44
; %bb.377:                              ;   in Loop: Header=BB400_232 Depth=1
	s_and_not1_saveexec_b32 s21, s0
; %bb.378:                              ;   in Loop: Header=BB400_232 Depth=1
	v_and_b32_e32 v27, 0xffff, v44
	v_or_b32_e32 v45, 0x10000, v44
	s_delay_alu instid0(VALU_DEP_2) | instskip(NEXT) | instid1(VALU_DEP_1)
	v_cmp_eq_u32_e64 s0, 0, v27
	v_cndmask_b32_e64 v27, v45, v44, s0
; %bb.379:                              ;   in Loop: Header=BB400_232 Depth=1
	s_or_b32 exec_lo, exec_lo, s21
	v_and_b32_e32 v44, 0xffff0000, v28
	v_lshlrev_b32_e32 v17, 16, v17
	s_delay_alu instid0(VALU_DEP_1) | instskip(NEXT) | instid1(VALU_DEP_1)
	v_mul_f32_e32 v17, v44, v17
	v_and_b32_e32 v28, 0x7f800000, v17
	s_delay_alu instid0(VALU_DEP_1) | instskip(NEXT) | instid1(VALU_DEP_1)
	v_cmp_ne_u32_e64 s0, 0x7f800000, v28
                                        ; implicit-def: $vgpr28
	s_and_saveexec_b32 s21, s0
	s_delay_alu instid0(SALU_CYCLE_1)
	s_xor_b32 s0, exec_lo, s21
; %bb.380:                              ;   in Loop: Header=BB400_232 Depth=1
	v_bfe_u32 v28, v17, 16, 1
	s_delay_alu instid0(VALU_DEP_1)
	v_add3_u32 v28, v17, v28, 0x7fff
                                        ; implicit-def: $vgpr17
; %bb.381:                              ;   in Loop: Header=BB400_232 Depth=1
	s_and_not1_saveexec_b32 s21, s0
; %bb.382:                              ;   in Loop: Header=BB400_232 Depth=1
	v_and_b32_e32 v28, 0xffff, v17
	v_or_b32_e32 v45, 0x10000, v17
	s_delay_alu instid0(VALU_DEP_2) | instskip(NEXT) | instid1(VALU_DEP_1)
	v_cmp_eq_u32_e64 s0, 0, v28
	v_cndmask_b32_e64 v28, v45, v17, s0
; %bb.383:                              ;   in Loop: Header=BB400_232 Depth=1
	s_or_b32 exec_lo, exec_lo, s21
	v_and_b32_e32 v45, 0xffff0000, v29
	v_lshlrev_b32_e32 v4, 16, v4
                                        ; implicit-def: $vgpr29
	s_delay_alu instid0(VALU_DEP_1) | instskip(NEXT) | instid1(VALU_DEP_1)
	v_mul_f32_e32 v4, v45, v4
	v_and_b32_e32 v17, 0x7f800000, v4
	s_delay_alu instid0(VALU_DEP_1) | instskip(NEXT) | instid1(VALU_DEP_1)
	v_cmp_ne_u32_e64 s0, 0x7f800000, v17
	s_and_saveexec_b32 s21, s0
	s_delay_alu instid0(SALU_CYCLE_1)
	s_xor_b32 s0, exec_lo, s21
; %bb.384:                              ;   in Loop: Header=BB400_232 Depth=1
	v_bfe_u32 v17, v4, 16, 1
	s_delay_alu instid0(VALU_DEP_1)
	v_add3_u32 v29, v4, v17, 0x7fff
                                        ; implicit-def: $vgpr4
; %bb.385:                              ;   in Loop: Header=BB400_232 Depth=1
	s_and_not1_saveexec_b32 s21, s0
; %bb.386:                              ;   in Loop: Header=BB400_232 Depth=1
	v_and_b32_e32 v17, 0xffff, v4
	v_or_b32_e32 v29, 0x10000, v4
	s_delay_alu instid0(VALU_DEP_2) | instskip(NEXT) | instid1(VALU_DEP_1)
	v_cmp_eq_u32_e64 s0, 0, v17
	v_cndmask_b32_e64 v29, v29, v4, s0
; %bb.387:                              ;   in Loop: Header=BB400_232 Depth=1
	s_or_b32 exec_lo, exec_lo, s21
	v_and_b32_e32 v46, 0xffff0000, v37
	v_lshlrev_b32_e32 v3, 16, v3
                                        ; implicit-def: $vgpr37
	s_delay_alu instid0(VALU_DEP_1) | instskip(NEXT) | instid1(VALU_DEP_1)
	v_mul_f32_e32 v3, v46, v3
	v_and_b32_e32 v4, 0x7f800000, v3
	s_delay_alu instid0(VALU_DEP_1) | instskip(NEXT) | instid1(VALU_DEP_1)
	v_cmp_ne_u32_e64 s0, 0x7f800000, v4
	s_and_saveexec_b32 s21, s0
	s_delay_alu instid0(SALU_CYCLE_1)
	s_xor_b32 s0, exec_lo, s21
; %bb.388:                              ;   in Loop: Header=BB400_232 Depth=1
	v_bfe_u32 v4, v3, 16, 1
	s_delay_alu instid0(VALU_DEP_1)
	v_add3_u32 v37, v3, v4, 0x7fff
                                        ; implicit-def: $vgpr3
; %bb.389:                              ;   in Loop: Header=BB400_232 Depth=1
	s_and_not1_saveexec_b32 s21, s0
; %bb.390:                              ;   in Loop: Header=BB400_232 Depth=1
	v_and_b32_e32 v4, 0xffff, v3
	v_or_b32_e32 v17, 0x10000, v3
	s_delay_alu instid0(VALU_DEP_2) | instskip(NEXT) | instid1(VALU_DEP_1)
	v_cmp_eq_u32_e64 s0, 0, v4
	v_cndmask_b32_e64 v37, v17, v3, s0
; %bb.391:                              ;   in Loop: Header=BB400_232 Depth=1
	s_or_b32 exec_lo, exec_lo, s21
	global_load_b64 v[1:2], v[1:2], off offset:256
	s_mov_b32 s21, exec_lo
	s_waitcnt vmcnt(0)
	v_dual_mov_b32 v3, 0 :: v_dual_and_b32 v4, 0xff, v1
	s_delay_alu instid0(VALU_DEP_1)
	v_cmpx_ne_u16_e32 0, v4
	s_cbranch_execz .LBB400_397
; %bb.392:                              ;   in Loop: Header=BB400_232 Depth=1
	v_bfrev_b32_e32 v3, 1
	s_mov_b32 s22, exec_lo
	v_cmpx_ne_u16_e32 0x80, v4
	s_cbranch_execz .LBB400_396
; %bb.393:                              ;   in Loop: Header=BB400_232 Depth=1
	v_and_b32_e32 v4, 0x7f, v1
	v_mov_b32_e32 v3, 0x7f800001
	s_mov_b32 s23, exec_lo
	s_delay_alu instid0(VALU_DEP_2)
	v_cmpx_ne_u32_e32 0x7f, v4
	s_cbranch_execz .LBB400_395
; %bb.394:                              ;   in Loop: Header=BB400_232 Depth=1
	v_and_b32_e32 v3, 7, v1
	v_lshrrev_b32_e32 v17, 3, v4
	v_cmp_gt_u32_e64 s0, 8, v4
	s_delay_alu instid0(VALU_DEP_3) | instskip(NEXT) | instid1(VALU_DEP_1)
	v_clz_i32_u32_e32 v3, v3
	v_min_u32_e32 v3, 32, v3
	s_delay_alu instid0(VALU_DEP_1) | instskip(SKIP_1) | instid1(VALU_DEP_1)
	v_subrev_nc_u32_e32 v47, 28, v3
	v_sub_nc_u32_e32 v3, 29, v3
	v_cndmask_b32_e64 v17, v17, v3, s0
	s_delay_alu instid0(VALU_DEP_3) | instskip(NEXT) | instid1(VALU_DEP_2)
	v_cndmask_b32_e64 v3, 0, v47, s0
	v_lshl_add_u32 v17, v17, 23, 0x3c000000
	s_delay_alu instid0(VALU_DEP_2) | instskip(SKIP_1) | instid1(VALU_DEP_2)
	v_lshlrev_b64 v[3:4], v3, v[1:2]
	v_lshlrev_b32_e32 v4, 24, v1
	v_lshlrev_b32_e32 v3, 20, v3
	s_delay_alu instid0(VALU_DEP_2) | instskip(NEXT) | instid1(VALU_DEP_2)
	v_and_b32_e32 v4, 0x80000000, v4
	v_and_b32_e32 v3, 0x700000, v3
	s_delay_alu instid0(VALU_DEP_1)
	v_or3_b32 v3, v3, v4, v17
.LBB400_395:                            ;   in Loop: Header=BB400_232 Depth=1
	s_or_b32 exec_lo, exec_lo, s23
.LBB400_396:                            ;   in Loop: Header=BB400_232 Depth=1
	s_delay_alu instid0(SALU_CYCLE_1)
	s_or_b32 exec_lo, exec_lo, s22
.LBB400_397:                            ;   in Loop: Header=BB400_232 Depth=1
	s_delay_alu instid0(SALU_CYCLE_1) | instskip(NEXT) | instid1(VALU_DEP_1)
	s_or_b32 exec_lo, exec_lo, s21
	v_mul_f32_e32 v3, s20, v3
                                        ; implicit-def: $vgpr47
	s_delay_alu instid0(VALU_DEP_1) | instskip(NEXT) | instid1(VALU_DEP_1)
	v_and_b32_e32 v4, 0x7f800000, v3
	v_cmp_ne_u32_e64 s0, 0x7f800000, v4
	s_delay_alu instid0(VALU_DEP_1) | instskip(NEXT) | instid1(SALU_CYCLE_1)
	s_and_saveexec_b32 s21, s0
	s_xor_b32 s0, exec_lo, s21
; %bb.398:                              ;   in Loop: Header=BB400_232 Depth=1
	v_bfe_u32 v4, v3, 16, 1
	s_delay_alu instid0(VALU_DEP_1)
	v_add3_u32 v47, v3, v4, 0x7fff
                                        ; implicit-def: $vgpr3
; %bb.399:                              ;   in Loop: Header=BB400_232 Depth=1
	s_and_not1_saveexec_b32 s21, s0
; %bb.400:                              ;   in Loop: Header=BB400_232 Depth=1
	v_and_b32_e32 v4, 0xffff, v3
	v_or_b32_e32 v17, 0x10000, v3
	s_delay_alu instid0(VALU_DEP_2) | instskip(NEXT) | instid1(VALU_DEP_1)
	v_cmp_eq_u32_e64 s0, 0, v4
	v_cndmask_b32_e64 v47, v17, v3, s0
; %bb.401:                              ;   in Loop: Header=BB400_232 Depth=1
	s_or_b32 exec_lo, exec_lo, s21
	v_lshrrev_b16 v4, 8, v1
	v_mov_b32_e32 v3, 0
	s_mov_b32 s21, exec_lo
	s_delay_alu instid0(VALU_DEP_2)
	v_cmpx_ne_u16_e32 0, v4
	s_cbranch_execz .LBB400_409
; %bb.402:                              ;   in Loop: Header=BB400_232 Depth=1
	v_bfrev_b32_e32 v3, 1
	s_mov_b32 s22, exec_lo
	v_cmpx_ne_u16_e32 0x80, v4
	s_cbranch_execz .LBB400_408
; %bb.403:                              ;   in Loop: Header=BB400_232 Depth=1
	v_and_b32_e32 v17, 0xffff, v4
	v_mov_b32_e32 v3, 0x7f800001
	s_mov_b32 s23, exec_lo
	s_delay_alu instid0(VALU_DEP_2) | instskip(NEXT) | instid1(VALU_DEP_1)
	v_and_b32_e32 v4, 0x7f, v17
	v_cmpx_ne_u32_e32 0x7f, v4
	s_cbranch_execz .LBB400_407
; %bb.404:                              ;   in Loop: Header=BB400_232 Depth=1
	v_and_b32_e32 v17, 7, v17
	v_lshrrev_b32_e32 v3, 3, v4
	s_mov_b32 s26, exec_lo
	v_cmpx_gt_u32_e32 8, v4
; %bb.405:                              ;   in Loop: Header=BB400_232 Depth=1
	s_delay_alu instid0(VALU_DEP_3) | instskip(NEXT) | instid1(VALU_DEP_1)
	v_clz_i32_u32_e32 v3, v17
	v_min_u32_e32 v3, 32, v3
	s_delay_alu instid0(VALU_DEP_1) | instskip(SKIP_1) | instid1(VALU_DEP_2)
	v_subrev_nc_u32_e32 v4, 28, v3
	v_sub_nc_u32_e32 v3, 29, v3
	v_lshlrev_b64 v[48:49], v4, v[17:18]
	s_delay_alu instid0(VALU_DEP_1)
	v_and_b32_e32 v17, 7, v48
; %bb.406:                              ;   in Loop: Header=BB400_232 Depth=1
	s_or_b32 exec_lo, exec_lo, s26
	v_lshlrev_b32_e32 v4, 16, v1
	s_delay_alu instid0(VALU_DEP_2) | instskip(SKIP_1) | instid1(VALU_DEP_3)
	v_lshlrev_b32_e32 v17, 20, v17
	v_lshl_add_u32 v3, v3, 23, 0x3c000000
	v_and_b32_e32 v4, 0x80000000, v4
	s_delay_alu instid0(VALU_DEP_1)
	v_or3_b32 v3, v17, v4, v3
.LBB400_407:                            ;   in Loop: Header=BB400_232 Depth=1
	s_or_b32 exec_lo, exec_lo, s23
.LBB400_408:                            ;   in Loop: Header=BB400_232 Depth=1
	s_delay_alu instid0(SALU_CYCLE_1)
	s_or_b32 exec_lo, exec_lo, s22
.LBB400_409:                            ;   in Loop: Header=BB400_232 Depth=1
	s_delay_alu instid0(SALU_CYCLE_1) | instskip(NEXT) | instid1(VALU_DEP_1)
	s_or_b32 exec_lo, exec_lo, s21
	v_mul_f32_e32 v3, s20, v3
                                        ; implicit-def: $vgpr48
	s_delay_alu instid0(VALU_DEP_1) | instskip(NEXT) | instid1(VALU_DEP_1)
	v_and_b32_e32 v4, 0x7f800000, v3
	v_cmp_ne_u32_e64 s0, 0x7f800000, v4
	s_delay_alu instid0(VALU_DEP_1) | instskip(NEXT) | instid1(SALU_CYCLE_1)
	s_and_saveexec_b32 s21, s0
	s_xor_b32 s0, exec_lo, s21
; %bb.410:                              ;   in Loop: Header=BB400_232 Depth=1
	v_bfe_u32 v4, v3, 16, 1
	s_delay_alu instid0(VALU_DEP_1)
	v_add3_u32 v48, v3, v4, 0x7fff
                                        ; implicit-def: $vgpr3
; %bb.411:                              ;   in Loop: Header=BB400_232 Depth=1
	s_and_not1_saveexec_b32 s21, s0
; %bb.412:                              ;   in Loop: Header=BB400_232 Depth=1
	v_and_b32_e32 v4, 0xffff, v3
	v_or_b32_e32 v17, 0x10000, v3
	s_delay_alu instid0(VALU_DEP_2) | instskip(NEXT) | instid1(VALU_DEP_1)
	v_cmp_eq_u32_e64 s0, 0, v4
	v_cndmask_b32_e64 v48, v17, v3, s0
; %bb.413:                              ;   in Loop: Header=BB400_232 Depth=1
	s_or_b32 exec_lo, exec_lo, s21
	v_lshrrev_b32_e32 v3, 16, v1
	s_mov_b32 s21, exec_lo
	s_delay_alu instid0(VALU_DEP_1) | instskip(NEXT) | instid1(VALU_DEP_1)
	v_dual_mov_b32 v4, 0 :: v_dual_and_b32 v17, 0xff, v3
	v_cmpx_ne_u16_e32 0, v17
	s_cbranch_execz .LBB400_421
; %bb.414:                              ;   in Loop: Header=BB400_232 Depth=1
	v_bfrev_b32_e32 v4, 1
	s_mov_b32 s22, exec_lo
	v_cmpx_ne_u16_e32 0x80, v17
	s_cbranch_execz .LBB400_420
; %bb.415:                              ;   in Loop: Header=BB400_232 Depth=1
	v_bfe_u32 v49, v1, 16, 7
	v_mov_b32_e32 v4, 0x7f800001
	s_mov_b32 s23, exec_lo
	s_delay_alu instid0(VALU_DEP_2)
	v_cmpx_ne_u32_e32 0x7f, v49
	s_cbranch_execz .LBB400_419
; %bb.416:                              ;   in Loop: Header=BB400_232 Depth=1
	v_and_b32_e32 v17, 7, v3
	v_lshrrev_b32_e32 v4, 3, v49
	s_mov_b32 s26, exec_lo
	v_cmpx_gt_u32_e32 8, v49
; %bb.417:                              ;   in Loop: Header=BB400_232 Depth=1
	s_delay_alu instid0(VALU_DEP_3) | instskip(NEXT) | instid1(VALU_DEP_1)
	v_clz_i32_u32_e32 v4, v17
	v_min_u32_e32 v4, 32, v4
	s_delay_alu instid0(VALU_DEP_1) | instskip(SKIP_1) | instid1(VALU_DEP_2)
	v_subrev_nc_u32_e32 v49, 28, v4
	v_sub_nc_u32_e32 v4, 29, v4
	v_lshlrev_b64 v[49:50], v49, v[17:18]
	s_delay_alu instid0(VALU_DEP_1)
	v_and_b32_e32 v17, 7, v49
; %bb.418:                              ;   in Loop: Header=BB400_232 Depth=1
	s_or_b32 exec_lo, exec_lo, s26
	v_lshlrev_b32_e32 v3, 24, v3
	s_delay_alu instid0(VALU_DEP_2) | instskip(SKIP_1) | instid1(VALU_DEP_3)
	v_lshlrev_b32_e32 v17, 20, v17
	v_lshl_add_u32 v4, v4, 23, 0x3c000000
	v_and_b32_e32 v3, 0x80000000, v3
	s_delay_alu instid0(VALU_DEP_1)
	v_or3_b32 v4, v17, v3, v4
.LBB400_419:                            ;   in Loop: Header=BB400_232 Depth=1
	s_or_b32 exec_lo, exec_lo, s23
.LBB400_420:                            ;   in Loop: Header=BB400_232 Depth=1
	s_delay_alu instid0(SALU_CYCLE_1)
	s_or_b32 exec_lo, exec_lo, s22
.LBB400_421:                            ;   in Loop: Header=BB400_232 Depth=1
	s_delay_alu instid0(SALU_CYCLE_1) | instskip(NEXT) | instid1(VALU_DEP_1)
	s_or_b32 exec_lo, exec_lo, s21
	v_mul_f32_e32 v3, s20, v4
                                        ; implicit-def: $vgpr49
	s_delay_alu instid0(VALU_DEP_1) | instskip(NEXT) | instid1(VALU_DEP_1)
	v_and_b32_e32 v4, 0x7f800000, v3
	v_cmp_ne_u32_e64 s0, 0x7f800000, v4
	s_delay_alu instid0(VALU_DEP_1) | instskip(NEXT) | instid1(SALU_CYCLE_1)
	s_and_saveexec_b32 s21, s0
	s_xor_b32 s0, exec_lo, s21
; %bb.422:                              ;   in Loop: Header=BB400_232 Depth=1
	v_bfe_u32 v4, v3, 16, 1
	s_delay_alu instid0(VALU_DEP_1)
	v_add3_u32 v49, v3, v4, 0x7fff
                                        ; implicit-def: $vgpr3
; %bb.423:                              ;   in Loop: Header=BB400_232 Depth=1
	s_and_not1_saveexec_b32 s21, s0
; %bb.424:                              ;   in Loop: Header=BB400_232 Depth=1
	v_and_b32_e32 v4, 0xffff, v3
	v_or_b32_e32 v17, 0x10000, v3
	s_delay_alu instid0(VALU_DEP_2) | instskip(NEXT) | instid1(VALU_DEP_1)
	v_cmp_eq_u32_e64 s0, 0, v4
	v_cndmask_b32_e64 v49, v17, v3, s0
; %bb.425:                              ;   in Loop: Header=BB400_232 Depth=1
	s_or_b32 exec_lo, exec_lo, s21
	v_mov_b32_e32 v4, 0
	s_mov_b32 s21, exec_lo
	v_cmpx_lt_u32_e32 0xffffff, v1
	s_cbranch_execz .LBB400_433
; %bb.426:                              ;   in Loop: Header=BB400_232 Depth=1
	v_lshrrev_b32_e32 v3, 24, v1
	v_bfrev_b32_e32 v4, 1
	s_mov_b32 s22, exec_lo
	s_delay_alu instid0(VALU_DEP_2)
	v_cmpx_ne_u32_e32 0x80, v3
	s_cbranch_execz .LBB400_432
; %bb.427:                              ;   in Loop: Header=BB400_232 Depth=1
	v_bfe_u32 v50, v1, 24, 7
	v_mov_b32_e32 v4, 0x7f800001
	s_mov_b32 s23, exec_lo
	s_delay_alu instid0(VALU_DEP_2)
	v_cmpx_ne_u32_e32 0x7f, v50
	s_cbranch_execz .LBB400_431
; %bb.428:                              ;   in Loop: Header=BB400_232 Depth=1
	v_and_b32_e32 v17, 7, v3
	v_lshrrev_b32_e32 v4, 3, v50
	s_mov_b32 s26, exec_lo
	v_cmpx_gt_u32_e32 8, v50
; %bb.429:                              ;   in Loop: Header=BB400_232 Depth=1
	s_delay_alu instid0(VALU_DEP_3) | instskip(NEXT) | instid1(VALU_DEP_1)
	v_clz_i32_u32_e32 v4, v17
	v_min_u32_e32 v4, 32, v4
	s_delay_alu instid0(VALU_DEP_1) | instskip(SKIP_1) | instid1(VALU_DEP_2)
	v_subrev_nc_u32_e32 v50, 28, v4
	v_sub_nc_u32_e32 v4, 29, v4
	v_lshlrev_b64 v[50:51], v50, v[17:18]
	s_delay_alu instid0(VALU_DEP_1)
	v_and_b32_e32 v17, 7, v50
; %bb.430:                              ;   in Loop: Header=BB400_232 Depth=1
	s_or_b32 exec_lo, exec_lo, s26
	v_lshlrev_b32_e32 v3, 24, v3
	s_delay_alu instid0(VALU_DEP_2) | instskip(SKIP_1) | instid1(VALU_DEP_3)
	v_lshlrev_b32_e32 v17, 20, v17
	v_lshl_add_u32 v4, v4, 23, 0x3c000000
	v_and_b32_e32 v3, 0x80000000, v3
	s_delay_alu instid0(VALU_DEP_1)
	v_or3_b32 v4, v17, v3, v4
.LBB400_431:                            ;   in Loop: Header=BB400_232 Depth=1
	s_or_b32 exec_lo, exec_lo, s23
.LBB400_432:                            ;   in Loop: Header=BB400_232 Depth=1
	s_delay_alu instid0(SALU_CYCLE_1)
	s_or_b32 exec_lo, exec_lo, s22
.LBB400_433:                            ;   in Loop: Header=BB400_232 Depth=1
	s_delay_alu instid0(SALU_CYCLE_1) | instskip(NEXT) | instid1(VALU_DEP_1)
	s_or_b32 exec_lo, exec_lo, s21
	v_mul_f32_e32 v3, s20, v4
                                        ; implicit-def: $vgpr50
	s_delay_alu instid0(VALU_DEP_1) | instskip(NEXT) | instid1(VALU_DEP_1)
	v_and_b32_e32 v4, 0x7f800000, v3
	v_cmp_ne_u32_e64 s0, 0x7f800000, v4
	s_delay_alu instid0(VALU_DEP_1) | instskip(NEXT) | instid1(SALU_CYCLE_1)
	s_and_saveexec_b32 s21, s0
	s_xor_b32 s0, exec_lo, s21
; %bb.434:                              ;   in Loop: Header=BB400_232 Depth=1
	v_bfe_u32 v4, v3, 16, 1
	s_delay_alu instid0(VALU_DEP_1)
	v_add3_u32 v50, v3, v4, 0x7fff
                                        ; implicit-def: $vgpr3
; %bb.435:                              ;   in Loop: Header=BB400_232 Depth=1
	s_and_not1_saveexec_b32 s21, s0
; %bb.436:                              ;   in Loop: Header=BB400_232 Depth=1
	v_and_b32_e32 v4, 0xffff, v3
	v_or_b32_e32 v17, 0x10000, v3
	s_delay_alu instid0(VALU_DEP_2) | instskip(NEXT) | instid1(VALU_DEP_1)
	v_cmp_eq_u32_e64 s0, 0, v4
	v_cndmask_b32_e64 v50, v17, v3, s0
; %bb.437:                              ;   in Loop: Header=BB400_232 Depth=1
	s_or_b32 exec_lo, exec_lo, s21
	v_dual_mov_b32 v17, v2 :: v_dual_and_b32 v4, 0xff, v2
	v_mov_b32_e32 v3, 0
	s_mov_b32 s21, exec_lo
	s_delay_alu instid0(VALU_DEP_2)
	v_cmpx_ne_u16_e32 0, v4
	s_cbranch_execz .LBB400_443
; %bb.438:                              ;   in Loop: Header=BB400_232 Depth=1
	v_bfrev_b32_e32 v3, 1
	s_mov_b32 s22, exec_lo
	v_cmpx_ne_u16_e32 0x80, v4
	s_cbranch_execz .LBB400_442
; %bb.439:                              ;   in Loop: Header=BB400_232 Depth=1
	v_and_b32_e32 v4, 0x7f, v2
	v_mov_b32_e32 v3, 0x7f800001
	s_mov_b32 s23, exec_lo
	s_delay_alu instid0(VALU_DEP_2)
	v_cmpx_ne_u32_e32 0x7f, v4
	s_cbranch_execz .LBB400_441
; %bb.440:                              ;   in Loop: Header=BB400_232 Depth=1
	v_and_b32_e32 v3, 7, v2
	v_lshrrev_b32_e32 v51, 3, v4
	v_cmp_gt_u32_e64 s0, 8, v4
	s_delay_alu instid0(VALU_DEP_3) | instskip(NEXT) | instid1(VALU_DEP_1)
	v_clz_i32_u32_e32 v3, v3
	v_min_u32_e32 v3, 32, v3
	s_delay_alu instid0(VALU_DEP_1) | instskip(SKIP_1) | instid1(VALU_DEP_1)
	v_subrev_nc_u32_e32 v52, 28, v3
	v_sub_nc_u32_e32 v3, 29, v3
	v_cndmask_b32_e64 v51, v51, v3, s0
	s_delay_alu instid0(VALU_DEP_3) | instskip(NEXT) | instid1(VALU_DEP_2)
	v_cndmask_b32_e64 v3, 0, v52, s0
	v_lshl_add_u32 v51, v51, 23, 0x3c000000
	s_delay_alu instid0(VALU_DEP_2) | instskip(SKIP_1) | instid1(VALU_DEP_2)
	v_lshlrev_b64 v[3:4], v3, v[17:18]
	v_lshlrev_b32_e32 v4, 24, v17
	v_lshlrev_b32_e32 v3, 20, v3
	s_delay_alu instid0(VALU_DEP_2) | instskip(NEXT) | instid1(VALU_DEP_2)
	v_and_b32_e32 v4, 0x80000000, v4
	v_and_b32_e32 v3, 0x700000, v3
	s_delay_alu instid0(VALU_DEP_1)
	v_or3_b32 v3, v3, v4, v51
.LBB400_441:                            ;   in Loop: Header=BB400_232 Depth=1
	s_or_b32 exec_lo, exec_lo, s23
.LBB400_442:                            ;   in Loop: Header=BB400_232 Depth=1
	s_delay_alu instid0(SALU_CYCLE_1)
	s_or_b32 exec_lo, exec_lo, s22
.LBB400_443:                            ;   in Loop: Header=BB400_232 Depth=1
	s_delay_alu instid0(SALU_CYCLE_1) | instskip(NEXT) | instid1(VALU_DEP_1)
	s_or_b32 exec_lo, exec_lo, s21
	v_mul_f32_e32 v3, s20, v3
                                        ; implicit-def: $vgpr51
	s_delay_alu instid0(VALU_DEP_1) | instskip(NEXT) | instid1(VALU_DEP_1)
	v_and_b32_e32 v4, 0x7f800000, v3
	v_cmp_ne_u32_e64 s0, 0x7f800000, v4
	s_delay_alu instid0(VALU_DEP_1) | instskip(NEXT) | instid1(SALU_CYCLE_1)
	s_and_saveexec_b32 s21, s0
	s_xor_b32 s0, exec_lo, s21
; %bb.444:                              ;   in Loop: Header=BB400_232 Depth=1
	v_bfe_u32 v4, v3, 16, 1
	s_delay_alu instid0(VALU_DEP_1)
	v_add3_u32 v51, v3, v4, 0x7fff
                                        ; implicit-def: $vgpr3
; %bb.445:                              ;   in Loop: Header=BB400_232 Depth=1
	s_and_not1_saveexec_b32 s21, s0
; %bb.446:                              ;   in Loop: Header=BB400_232 Depth=1
	v_and_b32_e32 v4, 0xffff, v3
	v_or_b32_e32 v51, 0x10000, v3
	s_delay_alu instid0(VALU_DEP_2) | instskip(NEXT) | instid1(VALU_DEP_1)
	v_cmp_eq_u32_e64 s0, 0, v4
	v_cndmask_b32_e64 v51, v51, v3, s0
; %bb.447:                              ;   in Loop: Header=BB400_232 Depth=1
	s_or_b32 exec_lo, exec_lo, s21
	v_lshrrev_b16 v4, 8, v17
	v_mov_b32_e32 v3, 0
	s_mov_b32 s21, exec_lo
	s_delay_alu instid0(VALU_DEP_2)
	v_cmpx_ne_u16_e32 0, v4
	s_cbranch_execz .LBB400_455
; %bb.448:                              ;   in Loop: Header=BB400_232 Depth=1
	v_bfrev_b32_e32 v3, 1
	s_mov_b32 s22, exec_lo
	v_cmpx_ne_u16_e32 0x80, v4
	s_cbranch_execz .LBB400_454
; %bb.449:                              ;   in Loop: Header=BB400_232 Depth=1
	v_and_b32_e32 v4, 0xffff, v4
	v_mov_b32_e32 v3, 0x7f800001
	s_mov_b32 s23, exec_lo
	s_delay_alu instid0(VALU_DEP_2) | instskip(NEXT) | instid1(VALU_DEP_1)
	v_and_b32_e32 v53, 0x7f, v4
	v_cmpx_ne_u32_e32 0x7f, v53
	s_cbranch_execz .LBB400_453
; %bb.450:                              ;   in Loop: Header=BB400_232 Depth=1
	v_dual_mov_b32 v4, v18 :: v_dual_and_b32 v3, 7, v4
	v_lshrrev_b32_e32 v52, 3, v53
	s_mov_b32 s26, exec_lo
	v_cmpx_gt_u32_e32 8, v53
; %bb.451:                              ;   in Loop: Header=BB400_232 Depth=1
	s_delay_alu instid0(VALU_DEP_3) | instskip(NEXT) | instid1(VALU_DEP_1)
	v_clz_i32_u32_e32 v52, v3
	v_min_u32_e32 v52, 32, v52
	s_delay_alu instid0(VALU_DEP_1) | instskip(SKIP_1) | instid1(VALU_DEP_2)
	v_subrev_nc_u32_e32 v53, 28, v52
	v_sub_nc_u32_e32 v52, 29, v52
	v_lshlrev_b64 v[3:4], v53, v[3:4]
	s_delay_alu instid0(VALU_DEP_1)
	v_and_b32_e32 v3, 7, v3
; %bb.452:                              ;   in Loop: Header=BB400_232 Depth=1
	s_or_b32 exec_lo, exec_lo, s26
	v_lshlrev_b32_e32 v4, 16, v17
	s_delay_alu instid0(VALU_DEP_2) | instskip(SKIP_1) | instid1(VALU_DEP_3)
	v_lshlrev_b32_e32 v3, 20, v3
	v_lshl_add_u32 v17, v52, 23, 0x3c000000
	v_and_b32_e32 v4, 0x80000000, v4
	s_delay_alu instid0(VALU_DEP_1)
	v_or3_b32 v3, v3, v4, v17
.LBB400_453:                            ;   in Loop: Header=BB400_232 Depth=1
	s_or_b32 exec_lo, exec_lo, s23
.LBB400_454:                            ;   in Loop: Header=BB400_232 Depth=1
	s_delay_alu instid0(SALU_CYCLE_1)
	s_or_b32 exec_lo, exec_lo, s22
.LBB400_455:                            ;   in Loop: Header=BB400_232 Depth=1
	s_delay_alu instid0(SALU_CYCLE_1) | instskip(NEXT) | instid1(VALU_DEP_1)
	s_or_b32 exec_lo, exec_lo, s21
	v_mul_f32_e32 v4, s20, v3
	s_delay_alu instid0(VALU_DEP_1) | instskip(NEXT) | instid1(VALU_DEP_1)
	v_and_b32_e32 v3, 0x7f800000, v4
	v_cmp_ne_u32_e64 s0, 0x7f800000, v3
                                        ; implicit-def: $vgpr3
	s_delay_alu instid0(VALU_DEP_1) | instskip(NEXT) | instid1(SALU_CYCLE_1)
	s_and_saveexec_b32 s21, s0
	s_xor_b32 s0, exec_lo, s21
; %bb.456:                              ;   in Loop: Header=BB400_232 Depth=1
	v_bfe_u32 v3, v4, 16, 1
	s_delay_alu instid0(VALU_DEP_1)
	v_add3_u32 v3, v4, v3, 0x7fff
                                        ; implicit-def: $vgpr4
; %bb.457:                              ;   in Loop: Header=BB400_232 Depth=1
	s_and_not1_saveexec_b32 s21, s0
; %bb.458:                              ;   in Loop: Header=BB400_232 Depth=1
	v_and_b32_e32 v3, 0xffff, v4
	v_or_b32_e32 v17, 0x10000, v4
	s_delay_alu instid0(VALU_DEP_2) | instskip(NEXT) | instid1(VALU_DEP_1)
	v_cmp_eq_u32_e64 s0, 0, v3
	v_cndmask_b32_e64 v3, v17, v4, s0
; %bb.459:                              ;   in Loop: Header=BB400_232 Depth=1
	s_or_b32 exec_lo, exec_lo, s21
	v_lshrrev_b32_e32 v4, 16, v2
	s_mov_b32 s21, exec_lo
	s_delay_alu instid0(VALU_DEP_1) | instskip(NEXT) | instid1(VALU_DEP_1)
	v_dual_mov_b32 v17, 0 :: v_dual_and_b32 v52, 0xff, v4
	v_cmpx_ne_u16_e32 0, v52
	s_cbranch_execz .LBB400_467
; %bb.460:                              ;   in Loop: Header=BB400_232 Depth=1
	v_bfrev_b32_e32 v17, 1
	s_mov_b32 s22, exec_lo
	v_cmpx_ne_u16_e32 0x80, v52
	s_cbranch_execz .LBB400_466
; %bb.461:                              ;   in Loop: Header=BB400_232 Depth=1
	v_bfe_u32 v53, v2, 16, 7
	v_mov_b32_e32 v17, 0x7f800001
	s_mov_b32 s23, exec_lo
	s_delay_alu instid0(VALU_DEP_2)
	v_cmpx_ne_u32_e32 0x7f, v53
	s_cbranch_execz .LBB400_465
; %bb.462:                              ;   in Loop: Header=BB400_232 Depth=1
	v_and_b32_e32 v17, 7, v4
	v_lshrrev_b32_e32 v52, 3, v53
	s_mov_b32 s26, exec_lo
	v_cmpx_gt_u32_e32 8, v53
; %bb.463:                              ;   in Loop: Header=BB400_232 Depth=1
	s_delay_alu instid0(VALU_DEP_3) | instskip(NEXT) | instid1(VALU_DEP_1)
	v_clz_i32_u32_e32 v52, v17
	v_min_u32_e32 v52, 32, v52
	s_delay_alu instid0(VALU_DEP_1) | instskip(SKIP_1) | instid1(VALU_DEP_2)
	v_subrev_nc_u32_e32 v53, 28, v52
	v_sub_nc_u32_e32 v52, 29, v52
	v_lshlrev_b64 v[53:54], v53, v[17:18]
	s_delay_alu instid0(VALU_DEP_1)
	v_and_b32_e32 v17, 7, v53
; %bb.464:                              ;   in Loop: Header=BB400_232 Depth=1
	s_or_b32 exec_lo, exec_lo, s26
	v_lshlrev_b32_e32 v4, 24, v4
	s_delay_alu instid0(VALU_DEP_2) | instskip(SKIP_1) | instid1(VALU_DEP_3)
	v_lshlrev_b32_e32 v17, 20, v17
	v_lshl_add_u32 v52, v52, 23, 0x3c000000
	v_and_b32_e32 v4, 0x80000000, v4
	s_delay_alu instid0(VALU_DEP_1)
	v_or3_b32 v17, v17, v4, v52
.LBB400_465:                            ;   in Loop: Header=BB400_232 Depth=1
	s_or_b32 exec_lo, exec_lo, s23
.LBB400_466:                            ;   in Loop: Header=BB400_232 Depth=1
	s_delay_alu instid0(SALU_CYCLE_1)
	s_or_b32 exec_lo, exec_lo, s22
.LBB400_467:                            ;   in Loop: Header=BB400_232 Depth=1
	s_delay_alu instid0(SALU_CYCLE_1) | instskip(NEXT) | instid1(VALU_DEP_1)
	s_or_b32 exec_lo, exec_lo, s21
	v_mul_f32_e32 v17, s20, v17
	s_delay_alu instid0(VALU_DEP_1) | instskip(NEXT) | instid1(VALU_DEP_1)
	v_and_b32_e32 v4, 0x7f800000, v17
	v_cmp_ne_u32_e64 s0, 0x7f800000, v4
                                        ; implicit-def: $vgpr4
	s_delay_alu instid0(VALU_DEP_1) | instskip(NEXT) | instid1(SALU_CYCLE_1)
	s_and_saveexec_b32 s21, s0
	s_xor_b32 s0, exec_lo, s21
; %bb.468:                              ;   in Loop: Header=BB400_232 Depth=1
	v_bfe_u32 v4, v17, 16, 1
	s_delay_alu instid0(VALU_DEP_1)
	v_add3_u32 v4, v17, v4, 0x7fff
                                        ; implicit-def: $vgpr17
; %bb.469:                              ;   in Loop: Header=BB400_232 Depth=1
	s_and_not1_saveexec_b32 s21, s0
; %bb.470:                              ;   in Loop: Header=BB400_232 Depth=1
	v_and_b32_e32 v4, 0xffff, v17
	v_or_b32_e32 v52, 0x10000, v17
	s_delay_alu instid0(VALU_DEP_2) | instskip(NEXT) | instid1(VALU_DEP_1)
	v_cmp_eq_u32_e64 s0, 0, v4
	v_cndmask_b32_e64 v4, v52, v17, s0
; %bb.471:                              ;   in Loop: Header=BB400_232 Depth=1
	s_or_b32 exec_lo, exec_lo, s21
	v_mov_b32_e32 v17, 0
	s_mov_b32 s21, exec_lo
	v_cmpx_lt_u64_e64 s[2:3], v[1:2]
	s_cbranch_execz .LBB400_479
; %bb.472:                              ;   in Loop: Header=BB400_232 Depth=1
	v_lshrrev_b32_e32 v1, 24, v2
	v_bfrev_b32_e32 v17, 1
	s_mov_b32 s22, exec_lo
	s_delay_alu instid0(VALU_DEP_2)
	v_cmpx_ne_u32_e32 0x80, v1
	s_cbranch_execz .LBB400_478
; %bb.473:                              ;   in Loop: Header=BB400_232 Depth=1
	v_bfe_u32 v52, v2, 24, 7
	v_mov_b32_e32 v17, 0x7f800001
	s_mov_b32 s23, exec_lo
	s_delay_alu instid0(VALU_DEP_2)
	v_cmpx_ne_u32_e32 0x7f, v52
	s_cbranch_execz .LBB400_477
; %bb.474:                              ;   in Loop: Header=BB400_232 Depth=1
	v_and_b32_e32 v17, 7, v1
	v_lshrrev_b32_e32 v2, 3, v52
	s_mov_b32 s26, exec_lo
	v_cmpx_gt_u32_e32 8, v52
; %bb.475:                              ;   in Loop: Header=BB400_232 Depth=1
	s_delay_alu instid0(VALU_DEP_3) | instskip(NEXT) | instid1(VALU_DEP_1)
	v_clz_i32_u32_e32 v2, v17
	v_min_u32_e32 v2, 32, v2
	s_delay_alu instid0(VALU_DEP_1) | instskip(SKIP_1) | instid1(VALU_DEP_2)
	v_subrev_nc_u32_e32 v52, 28, v2
	v_sub_nc_u32_e32 v2, 29, v2
	v_lshlrev_b64 v[52:53], v52, v[17:18]
	s_delay_alu instid0(VALU_DEP_1)
	v_and_b32_e32 v17, 7, v52
; %bb.476:                              ;   in Loop: Header=BB400_232 Depth=1
	s_or_b32 exec_lo, exec_lo, s26
	v_lshlrev_b32_e32 v1, 24, v1
	s_delay_alu instid0(VALU_DEP_2) | instskip(SKIP_1) | instid1(VALU_DEP_3)
	v_lshlrev_b32_e32 v17, 20, v17
	v_lshl_add_u32 v2, v2, 23, 0x3c000000
	v_and_b32_e32 v1, 0x80000000, v1
	s_delay_alu instid0(VALU_DEP_1)
	v_or3_b32 v17, v17, v1, v2
.LBB400_477:                            ;   in Loop: Header=BB400_232 Depth=1
	s_or_b32 exec_lo, exec_lo, s23
.LBB400_478:                            ;   in Loop: Header=BB400_232 Depth=1
	s_delay_alu instid0(SALU_CYCLE_1)
	s_or_b32 exec_lo, exec_lo, s22
.LBB400_479:                            ;   in Loop: Header=BB400_232 Depth=1
	s_delay_alu instid0(SALU_CYCLE_1) | instskip(NEXT) | instid1(VALU_DEP_1)
	s_or_b32 exec_lo, exec_lo, s21
	v_mul_f32_e32 v2, s20, v17
	s_delay_alu instid0(VALU_DEP_1) | instskip(NEXT) | instid1(VALU_DEP_1)
	v_and_b32_e32 v1, 0x7f800000, v2
	v_cmp_ne_u32_e64 s0, 0x7f800000, v1
                                        ; implicit-def: $vgpr1
	s_delay_alu instid0(VALU_DEP_1) | instskip(NEXT) | instid1(SALU_CYCLE_1)
	s_and_saveexec_b32 s20, s0
	s_xor_b32 s0, exec_lo, s20
; %bb.480:                              ;   in Loop: Header=BB400_232 Depth=1
	v_bfe_u32 v1, v2, 16, 1
	s_delay_alu instid0(VALU_DEP_1)
	v_add3_u32 v1, v2, v1, 0x7fff
                                        ; implicit-def: $vgpr2
; %bb.481:                              ;   in Loop: Header=BB400_232 Depth=1
	s_and_not1_saveexec_b32 s20, s0
; %bb.482:                              ;   in Loop: Header=BB400_232 Depth=1
	v_and_b32_e32 v1, 0xffff, v2
	v_or_b32_e32 v17, 0x10000, v2
	s_delay_alu instid0(VALU_DEP_2) | instskip(NEXT) | instid1(VALU_DEP_1)
	v_cmp_eq_u32_e64 s0, 0, v1
	v_cndmask_b32_e64 v1, v17, v2, s0
; %bb.483:                              ;   in Loop: Header=BB400_232 Depth=1
	s_or_b32 exec_lo, exec_lo, s20
	v_lshrrev_b32_e32 v17, 16, v3
	v_lshrrev_b32_e32 v51, 16, v51
	;; [unrolled: 1-line block ×8, first 2 shown]
	s_and_saveexec_b32 s0, vcc_lo
	s_cbranch_execz .LBB400_485
; %bb.484:                              ;   in Loop: Header=BB400_232 Depth=1
	v_cmp_gt_i32_e32 vcc_lo, s33, v30
	v_cndmask_b32_e32 v2, 0, v2, vcc_lo
	v_cmp_gt_i32_e32 vcc_lo, s33, v38
	v_cndmask_b32_e32 v48, 0, v48, vcc_lo
	v_cmp_gt_i32_e32 vcc_lo, s33, v36
	v_cndmask_b32_e32 v49, 0, v49, vcc_lo
	v_cmp_gt_i32_e32 vcc_lo, s33, v35
	v_cndmask_b32_e32 v50, 0, v50, vcc_lo
	v_cmp_gt_i32_e32 vcc_lo, s33, v34
	v_cndmask_b32_e32 v51, 0, v51, vcc_lo
	v_cmp_gt_i32_e32 vcc_lo, s33, v33
	v_cndmask_b32_e32 v17, 0, v17, vcc_lo
	v_cmp_gt_i32_e32 vcc_lo, s33, v32
	v_cndmask_b32_e32 v3, 0, v3, vcc_lo
	v_cmp_gt_i32_e32 vcc_lo, s33, v31
	v_cndmask_b32_e32 v1, 0, v1, vcc_lo
.LBB400_485:                            ;   in Loop: Header=BB400_232 Depth=1
	s_or_b32 exec_lo, exec_lo, s0
	v_lshlrev_b32_e32 v2, 16, v2
	s_delay_alu instid0(VALU_DEP_1) | instskip(NEXT) | instid1(VALU_DEP_1)
	v_mul_f32_e32 v4, v39, v2
	v_and_b32_e32 v2, 0x7f800000, v4
	s_delay_alu instid0(VALU_DEP_1) | instskip(SKIP_1) | instid1(SALU_CYCLE_1)
	v_cmp_ne_u32_e32 vcc_lo, 0x7f800000, v2
                                        ; implicit-def: $vgpr2
	s_and_saveexec_b32 s0, vcc_lo
	s_xor_b32 s0, exec_lo, s0
; %bb.486:                              ;   in Loop: Header=BB400_232 Depth=1
	v_bfe_u32 v2, v4, 16, 1
	s_delay_alu instid0(VALU_DEP_1)
	v_add3_u32 v2, v4, v2, 0x7fff
                                        ; implicit-def: $vgpr4
; %bb.487:                              ;   in Loop: Header=BB400_232 Depth=1
	s_and_not1_saveexec_b32 s0, s0
; %bb.488:                              ;   in Loop: Header=BB400_232 Depth=1
	v_and_b32_e32 v2, 0xffff, v4
	v_or_b32_e32 v30, 0x10000, v4
	s_delay_alu instid0(VALU_DEP_2) | instskip(NEXT) | instid1(VALU_DEP_2)
	v_cmp_eq_u32_e32 vcc_lo, 0, v2
	v_cndmask_b32_e32 v2, v30, v4, vcc_lo
; %bb.489:                              ;   in Loop: Header=BB400_232 Depth=1
	s_or_b32 exec_lo, exec_lo, s0
	v_lshlrev_b32_e32 v4, 16, v48
	s_delay_alu instid0(VALU_DEP_1) | instskip(NEXT) | instid1(VALU_DEP_1)
	v_mul_f32_e32 v30, v40, v4
	v_and_b32_e32 v4, 0x7f800000, v30
	s_delay_alu instid0(VALU_DEP_1) | instskip(SKIP_1) | instid1(SALU_CYCLE_1)
	v_cmp_ne_u32_e32 vcc_lo, 0x7f800000, v4
                                        ; implicit-def: $vgpr4
	s_and_saveexec_b32 s0, vcc_lo
	s_xor_b32 s0, exec_lo, s0
; %bb.490:                              ;   in Loop: Header=BB400_232 Depth=1
	v_bfe_u32 v4, v30, 16, 1
	s_delay_alu instid0(VALU_DEP_1)
	v_add3_u32 v4, v30, v4, 0x7fff
                                        ; implicit-def: $vgpr30
; %bb.491:                              ;   in Loop: Header=BB400_232 Depth=1
	s_and_not1_saveexec_b32 s0, s0
; %bb.492:                              ;   in Loop: Header=BB400_232 Depth=1
	v_and_b32_e32 v4, 0xffff, v30
	v_or_b32_e32 v31, 0x10000, v30
	s_delay_alu instid0(VALU_DEP_2) | instskip(NEXT) | instid1(VALU_DEP_2)
	v_cmp_eq_u32_e32 vcc_lo, 0, v4
	v_cndmask_b32_e32 v4, v31, v30, vcc_lo
; %bb.493:                              ;   in Loop: Header=BB400_232 Depth=1
	s_or_b32 exec_lo, exec_lo, s0
	v_lshlrev_b32_e32 v30, 16, v49
	s_delay_alu instid0(VALU_DEP_1) | instskip(NEXT) | instid1(VALU_DEP_1)
	v_mul_f32_e32 v31, v41, v30
	v_and_b32_e32 v30, 0x7f800000, v31
	s_delay_alu instid0(VALU_DEP_1) | instskip(SKIP_1) | instid1(SALU_CYCLE_1)
	v_cmp_ne_u32_e32 vcc_lo, 0x7f800000, v30
                                        ; implicit-def: $vgpr30
	s_and_saveexec_b32 s0, vcc_lo
	s_xor_b32 s0, exec_lo, s0
; %bb.494:                              ;   in Loop: Header=BB400_232 Depth=1
	v_bfe_u32 v30, v31, 16, 1
	s_delay_alu instid0(VALU_DEP_1)
	v_add3_u32 v30, v31, v30, 0x7fff
                                        ; implicit-def: $vgpr31
; %bb.495:                              ;   in Loop: Header=BB400_232 Depth=1
	s_and_not1_saveexec_b32 s0, s0
; %bb.496:                              ;   in Loop: Header=BB400_232 Depth=1
	v_and_b32_e32 v30, 0xffff, v31
	v_or_b32_e32 v32, 0x10000, v31
	s_delay_alu instid0(VALU_DEP_2) | instskip(NEXT) | instid1(VALU_DEP_2)
	v_cmp_eq_u32_e32 vcc_lo, 0, v30
	v_cndmask_b32_e32 v30, v32, v31, vcc_lo
; %bb.497:                              ;   in Loop: Header=BB400_232 Depth=1
	s_or_b32 exec_lo, exec_lo, s0
	v_lshlrev_b32_e32 v31, 16, v50
	s_delay_alu instid0(VALU_DEP_1) | instskip(NEXT) | instid1(VALU_DEP_1)
	v_mul_f32_e32 v32, v42, v31
	v_and_b32_e32 v31, 0x7f800000, v32
	s_delay_alu instid0(VALU_DEP_1) | instskip(SKIP_1) | instid1(SALU_CYCLE_1)
	v_cmp_ne_u32_e32 vcc_lo, 0x7f800000, v31
                                        ; implicit-def: $vgpr31
	s_and_saveexec_b32 s0, vcc_lo
	s_xor_b32 s0, exec_lo, s0
; %bb.498:                              ;   in Loop: Header=BB400_232 Depth=1
	v_bfe_u32 v31, v32, 16, 1
	s_delay_alu instid0(VALU_DEP_1)
	v_add3_u32 v31, v32, v31, 0x7fff
                                        ; implicit-def: $vgpr32
; %bb.499:                              ;   in Loop: Header=BB400_232 Depth=1
	s_and_not1_saveexec_b32 s0, s0
; %bb.500:                              ;   in Loop: Header=BB400_232 Depth=1
	v_and_b32_e32 v31, 0xffff, v32
	v_or_b32_e32 v33, 0x10000, v32
	s_delay_alu instid0(VALU_DEP_2) | instskip(NEXT) | instid1(VALU_DEP_2)
	v_cmp_eq_u32_e32 vcc_lo, 0, v31
	v_cndmask_b32_e32 v31, v33, v32, vcc_lo
; %bb.501:                              ;   in Loop: Header=BB400_232 Depth=1
	s_or_b32 exec_lo, exec_lo, s0
	v_lshlrev_b32_e32 v32, 16, v51
	s_delay_alu instid0(VALU_DEP_1) | instskip(NEXT) | instid1(VALU_DEP_1)
	v_mul_f32_e32 v33, v43, v32
	v_and_b32_e32 v32, 0x7f800000, v33
	s_delay_alu instid0(VALU_DEP_1) | instskip(SKIP_1) | instid1(SALU_CYCLE_1)
	v_cmp_ne_u32_e32 vcc_lo, 0x7f800000, v32
                                        ; implicit-def: $vgpr32
	s_and_saveexec_b32 s0, vcc_lo
	s_xor_b32 s0, exec_lo, s0
; %bb.502:                              ;   in Loop: Header=BB400_232 Depth=1
	v_bfe_u32 v32, v33, 16, 1
	s_delay_alu instid0(VALU_DEP_1)
	v_add3_u32 v32, v33, v32, 0x7fff
                                        ; implicit-def: $vgpr33
; %bb.503:                              ;   in Loop: Header=BB400_232 Depth=1
	s_and_not1_saveexec_b32 s0, s0
; %bb.504:                              ;   in Loop: Header=BB400_232 Depth=1
	v_and_b32_e32 v32, 0xffff, v33
	v_or_b32_e32 v34, 0x10000, v33
	s_delay_alu instid0(VALU_DEP_2) | instskip(NEXT) | instid1(VALU_DEP_2)
	v_cmp_eq_u32_e32 vcc_lo, 0, v32
	v_cndmask_b32_e32 v32, v34, v33, vcc_lo
; %bb.505:                              ;   in Loop: Header=BB400_232 Depth=1
	s_or_b32 exec_lo, exec_lo, s0
	v_lshlrev_b32_e32 v17, 16, v17
	s_delay_alu instid0(VALU_DEP_1) | instskip(NEXT) | instid1(VALU_DEP_1)
	v_mul_f32_e32 v33, v44, v17
	v_and_b32_e32 v17, 0x7f800000, v33
	s_delay_alu instid0(VALU_DEP_1) | instskip(SKIP_1) | instid1(SALU_CYCLE_1)
	v_cmp_ne_u32_e32 vcc_lo, 0x7f800000, v17
                                        ; implicit-def: $vgpr17
	s_and_saveexec_b32 s0, vcc_lo
	s_xor_b32 s0, exec_lo, s0
; %bb.506:                              ;   in Loop: Header=BB400_232 Depth=1
	v_bfe_u32 v17, v33, 16, 1
	s_delay_alu instid0(VALU_DEP_1)
	v_add3_u32 v17, v33, v17, 0x7fff
                                        ; implicit-def: $vgpr33
; %bb.507:                              ;   in Loop: Header=BB400_232 Depth=1
	s_and_not1_saveexec_b32 s0, s0
; %bb.508:                              ;   in Loop: Header=BB400_232 Depth=1
	v_and_b32_e32 v17, 0xffff, v33
	v_or_b32_e32 v34, 0x10000, v33
	s_delay_alu instid0(VALU_DEP_2) | instskip(NEXT) | instid1(VALU_DEP_2)
	v_cmp_eq_u32_e32 vcc_lo, 0, v17
	v_cndmask_b32_e32 v17, v34, v33, vcc_lo
; %bb.509:                              ;   in Loop: Header=BB400_232 Depth=1
	s_or_b32 exec_lo, exec_lo, s0
	v_lshlrev_b32_e32 v3, 16, v3
	s_delay_alu instid0(VALU_DEP_1) | instskip(NEXT) | instid1(VALU_DEP_1)
	v_mul_f32_e32 v33, v45, v3
	v_and_b32_e32 v3, 0x7f800000, v33
	s_delay_alu instid0(VALU_DEP_1) | instskip(SKIP_1) | instid1(SALU_CYCLE_1)
	v_cmp_ne_u32_e32 vcc_lo, 0x7f800000, v3
                                        ; implicit-def: $vgpr3
	s_and_saveexec_b32 s0, vcc_lo
	s_xor_b32 s0, exec_lo, s0
; %bb.510:                              ;   in Loop: Header=BB400_232 Depth=1
	v_bfe_u32 v3, v33, 16, 1
	s_delay_alu instid0(VALU_DEP_1)
	v_add3_u32 v3, v33, v3, 0x7fff
                                        ; implicit-def: $vgpr33
; %bb.511:                              ;   in Loop: Header=BB400_232 Depth=1
	s_and_not1_saveexec_b32 s0, s0
; %bb.512:                              ;   in Loop: Header=BB400_232 Depth=1
	v_and_b32_e32 v3, 0xffff, v33
	v_or_b32_e32 v34, 0x10000, v33
	s_delay_alu instid0(VALU_DEP_2) | instskip(NEXT) | instid1(VALU_DEP_2)
	v_cmp_eq_u32_e32 vcc_lo, 0, v3
	v_cndmask_b32_e32 v3, v34, v33, vcc_lo
; %bb.513:                              ;   in Loop: Header=BB400_232 Depth=1
	s_or_b32 exec_lo, exec_lo, s0
	v_lshlrev_b32_e32 v1, 16, v1
	s_delay_alu instid0(VALU_DEP_1) | instskip(NEXT) | instid1(VALU_DEP_1)
	v_mul_f32_e32 v33, v46, v1
	v_and_b32_e32 v1, 0x7f800000, v33
	s_delay_alu instid0(VALU_DEP_1) | instskip(SKIP_1) | instid1(SALU_CYCLE_1)
	v_cmp_ne_u32_e32 vcc_lo, 0x7f800000, v1
                                        ; implicit-def: $vgpr1
	s_and_saveexec_b32 s0, vcc_lo
	s_xor_b32 s0, exec_lo, s0
; %bb.514:                              ;   in Loop: Header=BB400_232 Depth=1
	v_bfe_u32 v1, v33, 16, 1
	s_delay_alu instid0(VALU_DEP_1)
	v_add3_u32 v1, v33, v1, 0x7fff
                                        ; implicit-def: $vgpr33
; %bb.515:                              ;   in Loop: Header=BB400_232 Depth=1
	s_and_not1_saveexec_b32 s0, s0
	s_cbranch_execz .LBB400_230
; %bb.516:                              ;   in Loop: Header=BB400_232 Depth=1
	v_and_b32_e32 v1, 0xffff, v33
	v_or_b32_e32 v34, 0x10000, v33
	s_delay_alu instid0(VALU_DEP_2) | instskip(NEXT) | instid1(VALU_DEP_2)
	v_cmp_eq_u32_e32 vcc_lo, 0, v1
	v_cndmask_b32_e32 v1, v34, v33, vcc_lo
	s_branch .LBB400_230
.LBB400_517:
	s_or_b32 exec_lo, exec_lo, s4
.LBB400_518:
	s_delay_alu instid0(SALU_CYCLE_1)
	s_or_b32 exec_lo, exec_lo, s1
	ds_bpermute_b32 v1, v24, v11
	ds_bpermute_b32 v4, v24, v12
	v_and_b32_e32 v5, 0x3c1, v0
	v_lshrrev_b32_e32 v3, 1, v23
	s_mov_b32 s0, exec_lo
	s_waitcnt lgkmcnt(0)
	s_waitcnt_vscnt null, 0x0
	s_barrier
	buffer_gl0_inv
	v_dual_add_f32 v2, v11, v1 :: v_dual_add_f32 v1, v12, v4
	v_cmpx_eq_u32_e32 64, v5
	s_cbranch_execz .LBB400_520
; %bb.519:
	v_lshl_add_u32 v4, v21, 7, 0x60
	v_lshlrev_b32_e32 v5, 2, v3
	s_delay_alu instid0(VALU_DEP_1)
	v_add3_u32 v4, v4, v5, 0xffffff00
	ds_store_2addr_b32 v4, v2, v1 offset1:16
.LBB400_520:
	s_or_b32 exec_lo, exec_lo, s0
	v_and_b32_e32 v4, 0x3e0, v0
	v_cmp_eq_u32_e32 vcc_lo, 0, v20
	s_mov_b32 s1, exec_lo
	s_waitcnt lgkmcnt(0)
	s_barrier
	v_lshl_add_u32 v4, v4, 2, 0x60
	buffer_gl0_inv
	v_cmpx_gt_u32_e32 64, v0
	s_cbranch_execz .LBB400_526
; %bb.521:
	s_and_saveexec_b32 s0, vcc_lo
	s_cbranch_execz .LBB400_523
; %bb.522:
	v_lshl_add_u32 v5, v3, 2, v4
	ds_load_b32 v5, v5
	s_waitcnt lgkmcnt(0)
	v_add_f32_e32 v2, v2, v5
.LBB400_523:
	s_or_b32 exec_lo, exec_lo, s0
	s_and_saveexec_b32 s0, vcc_lo
	s_cbranch_execz .LBB400_525
; %bb.524:
	v_lshl_add_u32 v5, v3, 2, v4
	ds_load_b32 v5, v5 offset:64
	s_waitcnt lgkmcnt(0)
	v_add_f32_e32 v1, v1, v5
.LBB400_525:
	s_or_b32 exec_lo, exec_lo, s0
.LBB400_526:
	s_delay_alu instid0(SALU_CYCLE_1)
	s_or_b32 exec_lo, exec_lo, s1
	v_and_b32_e32 v5, 0x3e1, v0
	s_mov_b32 s1, exec_lo
	s_barrier
	buffer_gl0_inv
	v_cmpx_eq_u32_e32 32, v5
	s_cbranch_execz .LBB400_528
; %bb.527:
	v_lshl_add_u32 v5, v3, 2, 0x60
	ds_store_2addr_b32 v5, v2, v1 offset1:16
.LBB400_528:
	s_or_b32 exec_lo, exec_lo, s1
	v_cmp_gt_u32_e64 s0, 32, v0
	s_waitcnt lgkmcnt(0)
	s_barrier
	buffer_gl0_inv
	s_and_saveexec_b32 s1, s0
	s_cbranch_execz .LBB400_534
; %bb.529:
	v_lshl_add_u32 v0, v3, 2, v4
	s_and_saveexec_b32 s2, vcc_lo
	s_cbranch_execz .LBB400_531
; %bb.530:
	ds_load_b32 v3, v0
	s_waitcnt lgkmcnt(0)
	v_add_f32_e32 v2, v2, v3
.LBB400_531:
	s_or_b32 exec_lo, exec_lo, s2
	s_and_saveexec_b32 s2, vcc_lo
	s_cbranch_execz .LBB400_533
; %bb.532:
	ds_load_b32 v0, v0 offset:64
	s_waitcnt lgkmcnt(0)
	v_add_f32_e32 v1, v1, v0
.LBB400_533:
	s_or_b32 exec_lo, exec_lo, s2
.LBB400_534:
	s_delay_alu instid0(SALU_CYCLE_1)
	s_or_b32 exec_lo, exec_lo, s1
	s_barrier
	buffer_gl0_inv
	s_and_saveexec_b32 s1, s0
	s_cbranch_execz .LBB400_545
; %bb.535:
	s_and_b32 exec_lo, exec_lo, vcc_lo
	s_cbranch_execz .LBB400_545
; %bb.536:
	v_and_b32_e32 v0, 0x7f800000, v2
	s_delay_alu instid0(VALU_DEP_1) | instskip(SKIP_1) | instid1(SALU_CYCLE_1)
	v_cmp_ne_u32_e32 vcc_lo, 0x7f800000, v0
                                        ; implicit-def: $vgpr0
	s_and_saveexec_b32 s0, vcc_lo
	s_xor_b32 s0, exec_lo, s0
; %bb.537:
	v_bfe_u32 v0, v2, 16, 1
	s_delay_alu instid0(VALU_DEP_1)
	v_add3_u32 v0, v2, v0, 0x7fff
; %bb.538:
	s_and_not1_saveexec_b32 s0, s0
; %bb.539:
	v_and_b32_e32 v0, 0xffff, v2
	v_or_b32_e32 v3, 0x10000, v2
	s_delay_alu instid0(VALU_DEP_2) | instskip(NEXT) | instid1(VALU_DEP_2)
	v_cmp_eq_u32_e32 vcc_lo, 0, v0
	v_cndmask_b32_e32 v0, v3, v2, vcc_lo
; %bb.540:
	s_or_b32 exec_lo, exec_lo, s0
	s_mul_i32 s0, s11, s14
	s_mul_i32 s2, s11, s12
	;; [unrolled: 1-line block ×3, first 2 shown]
	v_lshlrev_b32_e32 v4, 1, v19
	s_lshl_b32 s0, s0, 5
	v_and_b32_e32 v5, 0x7f800000, v1
	s_ashr_i32 s1, s0, 31
	s_delay_alu instid0(SALU_CYCLE_1) | instskip(NEXT) | instid1(SALU_CYCLE_1)
	s_lshl_b64 s[0:1], s[0:1], 1
	s_add_u32 s4, s24, s0
	s_addc_u32 s5, s25, s1
	s_ashr_i32 s3, s2, 31
	s_delay_alu instid0(SALU_CYCLE_1) | instskip(NEXT) | instid1(SALU_CYCLE_1)
	s_lshl_b64 s[0:1], s[2:3], 1
	s_add_u32 s2, s4, s0
	s_addc_u32 s3, s5, s1
	;; [unrolled: 5-line block ×3, first 2 shown]
	v_add_co_u32 v2, s2, s0, v4
	s_delay_alu instid0(VALU_DEP_1)
	v_add_co_ci_u32_e64 v3, null, s1, 0, s2
	global_store_d16_hi_b16 v4, v0, s[0:1]
	s_mov_b32 s0, exec_lo
                                        ; implicit-def: $vgpr4
	v_cmpx_ne_u32_e32 0x7f800000, v5
	s_xor_b32 s0, exec_lo, s0
; %bb.541:
	v_bfe_u32 v0, v1, 16, 1
	s_delay_alu instid0(VALU_DEP_1)
	v_add3_u32 v4, v1, v0, 0x7fff
                                        ; implicit-def: $vgpr0_vgpr1
; %bb.542:
	s_and_not1_saveexec_b32 s0, s0
; %bb.543:
	v_and_b32_e32 v0, 0xffff, v1
	v_or_b32_e32 v4, 0x10000, v1
	s_delay_alu instid0(VALU_DEP_2) | instskip(NEXT) | instid1(VALU_DEP_2)
	v_cmp_eq_u32_e32 vcc_lo, 0, v0
	v_cndmask_b32_e32 v4, v4, v1, vcc_lo
; %bb.544:
	s_or_b32 exec_lo, exec_lo, s0
	global_store_d16_hi_b16 v[2:3], v4, off offset:32
.LBB400_545:
	s_nop 0
	s_sendmsg sendmsg(MSG_DEALLOC_VGPRS)
	s_endpgm
	.section	.rodata,"a",@progbits
	.p2align	6, 0x0
	.amdhsa_kernel _ZN4vllm25paged_attention_v2_kernelI14__hip_bfloat16hLi32ELi16ELi128ELNS_18Fp8KVCacheDataTypeE1ELb1ELi512EEEvPfS3_PT_PKS4_PKT0_SA_ifPKiSC_iPKfiiiSE_SE_iiiii
		.amdhsa_group_segment_fixed_size 96
		.amdhsa_private_segment_fixed_size 0
		.amdhsa_kernarg_size 400
		.amdhsa_user_sgpr_count 13
		.amdhsa_user_sgpr_dispatch_ptr 0
		.amdhsa_user_sgpr_queue_ptr 0
		.amdhsa_user_sgpr_kernarg_segment_ptr 1
		.amdhsa_user_sgpr_dispatch_id 0
		.amdhsa_user_sgpr_private_segment_size 0
		.amdhsa_wavefront_size32 1
		.amdhsa_uses_dynamic_stack 0
		.amdhsa_enable_private_segment 0
		.amdhsa_system_sgpr_workgroup_id_x 1
		.amdhsa_system_sgpr_workgroup_id_y 1
		.amdhsa_system_sgpr_workgroup_id_z 1
		.amdhsa_system_sgpr_workgroup_info 0
		.amdhsa_system_vgpr_workitem_id 0
		.amdhsa_next_free_vgpr 57
		.amdhsa_next_free_sgpr 53
		.amdhsa_reserve_vcc 1
		.amdhsa_float_round_mode_32 0
		.amdhsa_float_round_mode_16_64 0
		.amdhsa_float_denorm_mode_32 3
		.amdhsa_float_denorm_mode_16_64 3
		.amdhsa_dx10_clamp 1
		.amdhsa_ieee_mode 1
		.amdhsa_fp16_overflow 0
		.amdhsa_workgroup_processor_mode 1
		.amdhsa_memory_ordered 1
		.amdhsa_forward_progress 0
		.amdhsa_shared_vgpr_count 0
		.amdhsa_exception_fp_ieee_invalid_op 0
		.amdhsa_exception_fp_denorm_src 0
		.amdhsa_exception_fp_ieee_div_zero 0
		.amdhsa_exception_fp_ieee_overflow 0
		.amdhsa_exception_fp_ieee_underflow 0
		.amdhsa_exception_fp_ieee_inexact 0
		.amdhsa_exception_int_div_zero 0
	.end_amdhsa_kernel
	.section	.text._ZN4vllm25paged_attention_v2_kernelI14__hip_bfloat16hLi32ELi16ELi128ELNS_18Fp8KVCacheDataTypeE1ELb1ELi512EEEvPfS3_PT_PKS4_PKT0_SA_ifPKiSC_iPKfiiiSE_SE_iiiii,"axG",@progbits,_ZN4vllm25paged_attention_v2_kernelI14__hip_bfloat16hLi32ELi16ELi128ELNS_18Fp8KVCacheDataTypeE1ELb1ELi512EEEvPfS3_PT_PKS4_PKT0_SA_ifPKiSC_iPKfiiiSE_SE_iiiii,comdat
.Lfunc_end400:
	.size	_ZN4vllm25paged_attention_v2_kernelI14__hip_bfloat16hLi32ELi16ELi128ELNS_18Fp8KVCacheDataTypeE1ELb1ELi512EEEvPfS3_PT_PKS4_PKT0_SA_ifPKiSC_iPKfiiiSE_SE_iiiii, .Lfunc_end400-_ZN4vllm25paged_attention_v2_kernelI14__hip_bfloat16hLi32ELi16ELi128ELNS_18Fp8KVCacheDataTypeE1ELb1ELi512EEEvPfS3_PT_PKS4_PKT0_SA_ifPKiSC_iPKfiiiSE_SE_iiiii
                                        ; -- End function
	.section	.AMDGPU.csdata,"",@progbits
; Kernel info:
; codeLenInByte = 17776
; NumSgprs: 55
; NumVgprs: 57
; ScratchSize: 0
; MemoryBound: 0
; FloatMode: 240
; IeeeMode: 1
; LDSByteSize: 96 bytes/workgroup (compile time only)
; SGPRBlocks: 6
; VGPRBlocks: 7
; NumSGPRsForWavesPerEU: 55
; NumVGPRsForWavesPerEU: 57
; Occupancy: 16
; WaveLimiterHint : 1
; COMPUTE_PGM_RSRC2:SCRATCH_EN: 0
; COMPUTE_PGM_RSRC2:USER_SGPR: 13
; COMPUTE_PGM_RSRC2:TRAP_HANDLER: 0
; COMPUTE_PGM_RSRC2:TGID_X_EN: 1
; COMPUTE_PGM_RSRC2:TGID_Y_EN: 1
; COMPUTE_PGM_RSRC2:TGID_Z_EN: 1
; COMPUTE_PGM_RSRC2:TIDIG_COMP_CNT: 0
	.text
	.p2align	2                               ; -- Begin function _ZN4vllm22paged_attention_kernelI14__hip_bfloat16hLi64ELi16ELi128ELNS_18Fp8KVCacheDataTypeE1ELb1ELi512EEEvPfS3_PT_PKS4_PKT0_SA_ifPKiSC_iPKfiiiSE_SE_iiiii
	.type	_ZN4vllm22paged_attention_kernelI14__hip_bfloat16hLi64ELi16ELi128ELNS_18Fp8KVCacheDataTypeE1ELb1ELi512EEEvPfS3_PT_PKS4_PKT0_SA_ifPKiSC_iPKfiiiSE_SE_iiiii,@function
_ZN4vllm22paged_attention_kernelI14__hip_bfloat16hLi64ELi16ELi128ELNS_18Fp8KVCacheDataTypeE1ELb1ELi512EEEvPfS3_PT_PKS4_PKT0_SA_ifPKiSC_iPKfiiiSE_SE_iiiii: ; @_ZN4vllm22paged_attention_kernelI14__hip_bfloat16hLi64ELi16ELi128ELNS_18Fp8KVCacheDataTypeE1ELb1ELi512EEEvPfS3_PT_PKS4_PKT0_SA_ifPKiSC_iPKfiiiSE_SE_iiiii
; %bb.0:
	s_waitcnt vmcnt(0) expcnt(0) lgkmcnt(0)
	s_clause 0x8
	scratch_store_b32 off, v40, s32 offset:40
	; meta instruction
	scratch_store_b32 off, v41, s32 offset:36
	; meta instruction
	;; [unrolled: 2-line block ×8, first 2 shown]
	scratch_store_b32 off, v56, s32 offset:8
	s_mov_b32 s4, s13
	s_ashr_i32 s5, s13, 31
	s_mov_b32 s10, s15
	s_lshl_b64 s[0:1], s[4:5], 2
	s_lshl_b32 s15, s14, 9
	v_add_co_u32 v16, vcc_lo, v16, s0
	v_add_co_ci_u32_e32 v17, vcc_lo, s1, v17, vcc_lo
	s_mov_b32 s5, exec_lo
	flat_load_b32 v67, v[16:17]
	s_clause 0x1
	scratch_load_b32 v32, off, s32 offset:4
	scratch_load_b32 v33, off, s32
	s_waitcnt vmcnt(2) lgkmcnt(0)
	v_cmpx_lt_i32_e64 s15, v67
	s_cbranch_execz .LBB401_1015
; %bb.1:
	v_sub_nc_u32_e32 v16, 0, v12
	s_clause 0x1
	s_load_b32 s0, s[8:9], 0x10
	s_load_b32 s1, s[8:9], 0x0
	v_mov_b32_e32 v86, 0
	v_max_i32_e32 v16, v12, v16
	s_delay_alu instid0(VALU_DEP_1) | instskip(SKIP_1) | instid1(VALU_DEP_2)
	v_cvt_f32_u32_e32 v17, v16
	v_sub_nc_u32_e32 v34, 0, v16
	v_rcp_iflag_f32_e32 v17, v17
	s_waitcnt lgkmcnt(0)
	s_lshr_b32 s0, s0, 16
	s_delay_alu instid0(SALU_CYCLE_1) | instskip(SKIP_3) | instid1(SALU_CYCLE_1)
	s_cmp_lg_u32 s0, 0
	s_waitcnt_depctr 0xfff
	v_mul_f32_e32 v17, 0x4f7ffffe, v17
	s_cselect_b32 s0, -1, 0
	s_cmp_lg_u32 s0, 0
	s_delay_alu instid0(VALU_DEP_1) | instskip(SKIP_3) | instid1(VALU_DEP_1)
	v_cvt_u32_f32_e32 v17, v17
	s_addc_u32 s16, s1, 0
	s_mov_b32 s1, exec_lo
	s_abs_i32 s0, s16
	v_mul_lo_u32 v34, v34, v17
	s_delay_alu instid0(VALU_DEP_1) | instskip(NEXT) | instid1(VALU_DEP_1)
	v_mul_hi_u32 v34, v17, v34
	v_add_nc_u32_e32 v17, v17, v34
	s_delay_alu instid0(VALU_DEP_1) | instskip(NEXT) | instid1(VALU_DEP_1)
	v_mul_hi_u32 v17, s0, v17
	v_mul_lo_u32 v34, v17, v16
	v_add_nc_u32_e32 v35, 1, v17
	s_delay_alu instid0(VALU_DEP_2) | instskip(SKIP_1) | instid1(VALU_DEP_1)
	v_sub_nc_u32_e32 v34, s0, v34
	s_abs_i32 s0, s12
	v_sub_nc_u32_e32 v36, v34, v16
	v_cmp_ge_u32_e32 vcc_lo, v34, v16
	s_delay_alu instid0(VALU_DEP_2) | instskip(SKIP_1) | instid1(VALU_DEP_2)
	v_dual_cndmask_b32 v17, v17, v35 :: v_dual_cndmask_b32 v34, v34, v36
	v_xor_b32_e32 v35, s16, v12
	v_add_nc_u32_e32 v36, 1, v17
	s_delay_alu instid0(VALU_DEP_3) | instskip(NEXT) | instid1(VALU_DEP_3)
	v_cmp_ge_u32_e32 vcc_lo, v34, v16
	v_ashrrev_i32_e32 v35, 31, v35
	s_delay_alu instid0(VALU_DEP_3) | instskip(NEXT) | instid1(VALU_DEP_1)
	v_cndmask_b32_e32 v16, v17, v36, vcc_lo
	v_xor_b32_e32 v16, v16, v35
	s_delay_alu instid0(VALU_DEP_1) | instskip(NEXT) | instid1(VALU_DEP_1)
	v_sub_nc_u32_e32 v35, v16, v35
	v_sub_nc_u32_e32 v16, 0, v35
	s_delay_alu instid0(VALU_DEP_1) | instskip(NEXT) | instid1(VALU_DEP_1)
	v_max_i32_e32 v34, v35, v16
	v_cvt_f32_u32_e32 v16, v34
	v_sub_nc_u32_e32 v17, 0, v34
	s_delay_alu instid0(VALU_DEP_2) | instskip(SKIP_2) | instid1(VALU_DEP_1)
	v_rcp_iflag_f32_e32 v16, v16
	s_waitcnt_depctr 0xfff
	v_mul_f32_e32 v16, 0x4f7ffffe, v16
	v_cvt_u32_f32_e32 v16, v16
	s_delay_alu instid0(VALU_DEP_1) | instskip(NEXT) | instid1(VALU_DEP_1)
	v_mul_lo_u32 v17, v17, v16
	v_mul_hi_u32 v17, v16, v17
	s_delay_alu instid0(VALU_DEP_1) | instskip(NEXT) | instid1(VALU_DEP_1)
	v_add_nc_u32_e32 v36, v16, v17
	v_mad_u64_u32 v[16:17], null, s0, v36, 0
	v_cmpx_ne_u64_e32 0, v[19:20]
	s_cbranch_execz .LBB401_3
; %bb.2:
	s_ashr_i32 s13, s12, 31
	s_delay_alu instid0(SALU_CYCLE_1) | instskip(NEXT) | instid1(SALU_CYCLE_1)
	s_lshl_b64 s[2:3], s[12:13], 2
	v_add_co_u32 v19, vcc_lo, v19, s2
	v_add_co_ci_u32_e32 v20, vcc_lo, s3, v20, vcc_lo
	flat_load_b32 v86, v[19:20]
.LBB401_3:
	s_or_b32 exec_lo, exec_lo, s1
	v_and_b32_e32 v66, 0x3ff, v31
	v_ashrrev_i32_e32 v16, 31, v35
	s_ashr_i32 s1, s12, 31
	s_lshl_b32 s6, s12, 6
	s_mov_b32 s2, exec_lo
	v_lshrrev_b32_e32 v39, 1, v66
	v_and_b32_e32 v68, 1, v66
	v_lshlrev_b32_e32 v82, 3, v66
	v_cmpx_gt_u32_e32 16, v66
	s_cbranch_execz .LBB401_5
; %bb.4:
	v_mul_lo_u32 v19, s4, v21
	s_ashr_i32 s7, s6, 31
	s_delay_alu instid0(SALU_CYCLE_1) | instskip(NEXT) | instid1(VALU_DEP_1)
	s_lshl_b64 s[18:19], s[6:7], 1
	v_ashrrev_i32_e32 v20, 31, v19
	s_delay_alu instid0(VALU_DEP_1) | instskip(NEXT) | instid1(VALU_DEP_1)
	v_lshlrev_b64 v[19:20], 1, v[19:20]
	v_add_co_u32 v6, vcc_lo, v6, v19
	s_delay_alu instid0(VALU_DEP_2) | instskip(SKIP_1) | instid1(VALU_DEP_3)
	v_add_co_ci_u32_e32 v7, vcc_lo, v7, v20, vcc_lo
	v_lshlrev_b32_e32 v19, 3, v39
	v_add_co_u32 v6, vcc_lo, v6, s18
	s_delay_alu instid0(VALU_DEP_3) | instskip(NEXT) | instid1(VALU_DEP_3)
	v_add_co_ci_u32_e32 v7, vcc_lo, s19, v7, vcc_lo
	v_lshl_add_u32 v19, v68, 6, v19
	s_delay_alu instid0(VALU_DEP_3) | instskip(NEXT) | instid1(VALU_DEP_3)
	v_add_co_u32 v6, vcc_lo, v6, v82
	v_add_co_ci_u32_e32 v7, vcc_lo, 0, v7, vcc_lo
	flat_load_b64 v[6:7], v[6:7]
	s_waitcnt vmcnt(0) lgkmcnt(0)
	ds_store_b64 v19, v[6:7]
.LBB401_5:
	s_or_b32 exec_lo, exec_lo, s2
	s_waitcnt vmcnt(0)
	v_sub_nc_u32_e32 v6, 0, v33
	v_mul_lo_u32 v7, v17, v34
	v_add_nc_u32_e32 v20, 1, v17
	v_xor_b32_e32 v35, s1, v16
	s_waitcnt lgkmcnt(0)
	s_waitcnt_vscnt null, 0x0
	v_max_i32_e32 v69, v33, v6
	s_barrier
	buffer_gl0_inv
	v_sub_nc_u32_e32 v7, s0, v7
	v_cvt_f32_u32_e32 v6, v69
	v_sub_nc_u32_e32 v19, 0, v69
	s_mov_b32 s0, exec_lo
	s_delay_alu instid0(VALU_DEP_3) | instskip(NEXT) | instid1(VALU_DEP_3)
	v_cmp_ge_u32_e32 vcc_lo, v7, v34
	v_rcp_iflag_f32_e32 v6, v6
	v_sub_nc_u32_e32 v21, v7, v34
	v_dual_cndmask_b32 v20, v17, v20 :: v_dual_add_nc_u32 v17, -1, v67
	s_delay_alu instid0(VALU_DEP_2) | instskip(SKIP_4) | instid1(VALU_DEP_3)
	v_cndmask_b32_e32 v7, v7, v21, vcc_lo
	s_waitcnt_depctr 0xfff
	v_dual_mul_f32 v6, 0x4f7ffffe, v6 :: v_dual_add_nc_u32 v21, 1, v20
	v_cmp_ge_u32_e32 vcc_lo, v7, v34
	v_sub_nc_u32_e32 v31, 0, v17
	v_cvt_u32_f32_e32 v6, v6
	s_delay_alu instid0(VALU_DEP_2) | instskip(NEXT) | instid1(VALU_DEP_2)
	v_max_i32_e32 v16, v17, v31
	v_mul_lo_u32 v19, v19, v6
	s_delay_alu instid0(VALU_DEP_1) | instskip(SKIP_1) | instid1(VALU_DEP_2)
	v_mul_hi_u32 v19, v6, v19
	v_cndmask_b32_e32 v7, v20, v21, vcc_lo
                                        ; implicit-def: $vgpr20
	v_add_nc_u32_e32 v70, v6, v19
	s_delay_alu instid0(VALU_DEP_2) | instskip(NEXT) | instid1(VALU_DEP_2)
	v_xor_b32_e32 v19, v7, v35
	v_mad_u64_u32 v[6:7], null, v16, v70, 0
	s_delay_alu instid0(VALU_DEP_2)
	v_sub_nc_u32_e32 v6, v19, v35
	v_cmpx_gt_i32_e32 0, v32
	s_xor_b32 s0, exec_lo, s0
; %bb.6:
	s_delay_alu instid0(VALU_DEP_2) | instskip(NEXT) | instid1(VALU_DEP_1)
	v_mad_u64_u32 v[19:20], null, v28, v12, v[6:7]
                                        ; implicit-def: $vgpr28
	v_mul_lo_u32 v12, v19, v32
                                        ; implicit-def: $vgpr32
	s_delay_alu instid0(VALU_DEP_1)
	v_sub_nc_u32_e32 v20, 1, v12
; %bb.7:
	s_or_saveexec_b32 s0, s0
	v_ashrrev_i32_e32 v12, 31, v17
	v_ashrrev_i32_e32 v71, 31, v33
	s_xor_b32 exec_lo, exec_lo, s0
; %bb.8:
	v_mad_u64_u32 v[19:20], null, s16, v28, s[12:13]
	s_delay_alu instid0(VALU_DEP_1)
	v_mad_u64_u32 v[20:21], null, v19, v32, 1
; %bb.9:
	s_or_b32 exec_lo, exec_lo, s0
	v_mul_lo_u32 v17, v7, v69
	v_dual_mov_b32 v96, 0xff7fffff :: v_dual_add_nc_u32 v19, 15, v67
	v_add_nc_u32_e32 v21, 1, v7
	v_xor_b32_e32 v31, v12, v71
	s_clause 0x1
	s_load_b32 s17, s[8:9], 0x14
	s_load_b32 s7, s[8:9], 0x8
	s_lshl_b32 s13, s14, 5
	v_sub_nc_u32_e32 v84, 0, v30
	v_sub_nc_u32_e32 v17, v16, v17
	v_mul_lo_u32 v16, s4, v18
	v_ashrrev_i32_e32 v18, 31, v19
	s_add_i32 s0, s13, 32
	v_mbcnt_lo_u32_b32 v87, -1, 0
	v_sub_nc_u32_e32 v28, v17, v69
	v_cmp_ge_u32_e32 vcc_lo, v17, v69
	v_lshrrev_b32_e32 v12, 28, v18
	v_cndmask_b32_e32 v7, v7, v21, vcc_lo
	s_delay_alu instid0(VALU_DEP_4) | instskip(NEXT) | instid1(VALU_DEP_3)
	v_cndmask_b32_e32 v17, v17, v28, vcc_lo
	v_add_nc_u32_e32 v19, v19, v12
	v_lshrrev_b32_e32 v21, 5, v66
	v_mul_lo_u32 v12, v6, v23
	v_add_nc_u32_e32 v18, 1, v7
	v_cmp_ge_u32_e32 vcc_lo, v17, v69
	v_ashrrev_i32_e32 v83, 4, v19
	v_ashrrev_i32_e32 v17, 31, v16
	v_or_b32_e32 v48, s13, v21
	v_lshl_add_u32 v23, v21, 4, s15
	v_cndmask_b32_e32 v7, v7, v18, vcc_lo
	v_min_i32_e32 v80, s0, v83
	v_lshlrev_b64 v[50:51], 2, v[16:17]
	v_ashrrev_i32_e32 v85, 31, v12
	v_ashrrev_i32_e32 v49, 31, v48
	v_xor_b32_e32 v6, v7, v31
	v_cmp_lt_i32_e64 s0, v48, v80
	s_delay_alu instid0(VALU_DEP_2) | instskip(NEXT) | instid1(VALU_DEP_1)
	v_sub_nc_u32_e32 v6, v6, v31
	v_sub_nc_u32_e32 v81, v6, v29
	s_delay_alu instid0(VALU_DEP_3)
	s_and_saveexec_b32 s18, s0
	s_cbranch_execz .LBB401_403
; %bb.10:
	v_max_i32_e32 v97, v30, v84
	v_bfe_u32 v98, v66, 1, 4
	s_ashr_i32 s11, s10, 31
	s_getpc_b64 s[2:3]
	s_add_u32 s2, s2, llvm.amdgcn.dynlds.offset.table@rel32@lo+4
	s_addc_u32 s3, s3, llvm.amdgcn.dynlds.offset.table@rel32@hi+12
	s_lshl_b64 s[8:9], s[10:11], 2
	v_cvt_f32_u32_e32 v6, v97
	v_sub_nc_u32_e32 v17, 0, v97
	s_add_u32 s8, s8, s2
	s_addc_u32 s9, s9, s3
	v_add_co_u32 v8, s1, v8, v12
	v_rcp_iflag_f32_e32 v16, v6
	s_load_b32 s11, s[8:9], 0x0
	v_lshlrev_b64 v[6:7], 2, v[48:49]
	v_lshlrev_b32_e32 v18, 4, v98
	v_add_co_ci_u32_e64 v9, s1, v9, v85, s1
	v_sub_nc_u32_e32 v28, v98, v67
	v_cmp_eq_u32_e32 vcc_lo, 0, v68
	v_add_co_u32 v6, s2, v50, v6
	s_delay_alu instid0(TRANS32_DEP_1) | instskip(SKIP_2) | instid1(VALU_DEP_3)
	v_dual_mul_f32 v16, 0x4f7ffffe, v16 :: v_dual_lshlrev_b32 v19, 2, v98
	v_add_co_ci_u32_e64 v7, s2, v51, v7, s2
	v_add_co_u32 v52, s2, v8, v18
	v_cvt_u32_f32_e32 v16, v16
	v_add_co_ci_u32_e64 v53, s2, 0, v9, s2
	v_add_co_u32 v54, s2, v14, v6
	s_delay_alu instid0(VALU_DEP_3)
	v_mul_lo_u32 v17, v17, v16
	v_dual_mov_b32 v29, 0 :: v_dual_lshlrev_b32 v100, 6, v68
	v_dual_mov_b32 v102, 0xff7fffff :: v_dual_lshlrev_b32 v99, 2, v68
	v_cmp_neq_f32_e64 s1, 0, v86
	v_lshl_add_u32 v101, v21, 4, s15
	v_lshl_or_b32 v103, v21, 6, v19
	v_mul_hi_u32 v17, v16, v17
	v_mov_b32_e32 v96, 0xff7fffff
	v_add_nc_u32_e32 v112, 1, v28
	v_add_co_ci_u32_e64 v55, s2, v15, v7, s2
	v_mov_b32_e32 v114, v48
	s_mov_b32 s19, 0
	v_add_nc_u32_e32 v113, v16, v17
	s_branch .LBB401_13
.LBB401_11:                             ;   in Loop: Header=BB401_13 Depth=1
	s_or_b32 exec_lo, exec_lo, s20
.LBB401_12:                             ;   in Loop: Header=BB401_13 Depth=1
	s_delay_alu instid0(SALU_CYCLE_1) | instskip(SKIP_2) | instid1(VALU_DEP_1)
	s_or_b32 exec_lo, exec_lo, s3
	v_add_nc_u32_e32 v114, 4, v114
	v_add_co_u32 v54, s3, v54, 16
	v_add_co_ci_u32_e64 v55, s3, 0, v55, s3
	s_delay_alu instid0(VALU_DEP_3) | instskip(SKIP_2) | instid1(VALU_DEP_3)
	v_cmp_ge_i32_e64 s2, v114, v80
	v_add_nc_u32_e32 v101, 64, v101
	v_add_nc_u32_e32 v103, 0x100, v103
	s_or_b32 s19, s2, s19
	s_delay_alu instid0(SALU_CYCLE_1)
	s_and_not1_b32 exec_lo, exec_lo, s19
	s_cbranch_execz .LBB401_402
.LBB401_13:                             ; =>This Inner Loop Header: Depth=1
	v_sub_nc_u32_e32 v6, 0, v101
	s_delay_alu instid0(VALU_DEP_1) | instskip(SKIP_1) | instid1(VALU_DEP_1)
	v_max_i32_e32 v6, v101, v6
	s_waitcnt lgkmcnt(0)
	v_mul_hi_u32 v7, v6, v70
	s_delay_alu instid0(VALU_DEP_1) | instskip(NEXT) | instid1(VALU_DEP_1)
	v_mul_lo_u32 v8, v7, v69
	v_sub_nc_u32_e32 v6, v6, v8
	v_add_nc_u32_e32 v8, 1, v7
	s_delay_alu instid0(VALU_DEP_2) | instskip(SKIP_1) | instid1(VALU_DEP_1)
	v_sub_nc_u32_e32 v9, v6, v69
	v_cmp_ge_u32_e64 s2, v6, v69
	v_cndmask_b32_e64 v7, v7, v8, s2
	s_delay_alu instid0(VALU_DEP_3) | instskip(SKIP_1) | instid1(VALU_DEP_3)
	v_cndmask_b32_e64 v6, v6, v9, s2
	v_ashrrev_i32_e32 v8, 31, v101
	v_add_nc_u32_e32 v9, 1, v7
	s_delay_alu instid0(VALU_DEP_3) | instskip(NEXT) | instid1(VALU_DEP_3)
	v_cmp_ge_u32_e64 s2, v6, v69
	v_xor_b32_e32 v8, v8, v71
	s_delay_alu instid0(VALU_DEP_2) | instskip(NEXT) | instid1(VALU_DEP_1)
	v_cndmask_b32_e64 v6, v7, v9, s2
	v_xor_b32_e32 v6, v6, v8
	s_delay_alu instid0(VALU_DEP_1) | instskip(NEXT) | instid1(VALU_DEP_1)
	v_sub_nc_u32_e32 v6, v6, v8
	v_add_nc_u32_e32 v7, v6, v20
	v_cmp_le_i32_e64 s3, v6, v81
	s_delay_alu instid0(VALU_DEP_2) | instskip(NEXT) | instid1(VALU_DEP_1)
	v_sub_nc_u32_e32 v8, 0, v7
	v_max_i32_e32 v8, v7, v8
	v_ashrrev_i32_e32 v7, 31, v7
	s_delay_alu instid0(VALU_DEP_2) | instskip(NEXT) | instid1(VALU_DEP_1)
	v_mul_hi_u32 v9, v8, v113
	v_mul_lo_u32 v9, v9, v97
	s_delay_alu instid0(VALU_DEP_1) | instskip(NEXT) | instid1(VALU_DEP_1)
	v_sub_nc_u32_e32 v8, v8, v9
	v_sub_nc_u32_e32 v9, v8, v97
	v_cmp_ge_u32_e64 s2, v8, v97
	s_delay_alu instid0(VALU_DEP_1) | instskip(NEXT) | instid1(VALU_DEP_1)
	v_cndmask_b32_e64 v8, v8, v9, s2
	v_sub_nc_u32_e32 v9, v8, v97
	v_cmp_ge_u32_e64 s2, v8, v97
	s_delay_alu instid0(VALU_DEP_1) | instskip(NEXT) | instid1(VALU_DEP_1)
	v_cndmask_b32_e64 v8, v8, v9, s2
	v_xor_b32_e32 v8, v8, v7
	s_delay_alu instid0(VALU_DEP_1) | instskip(NEXT) | instid1(VALU_DEP_1)
	v_sub_nc_u32_e32 v7, v8, v7
	v_cmp_ne_u32_e64 s2, 0, v7
	s_delay_alu instid0(VALU_DEP_1) | instskip(NEXT) | instid1(SALU_CYCLE_1)
	s_and_b32 s2, s2, s3
	s_and_b32 s20, vcc_lo, s2
	s_delay_alu instid0(SALU_CYCLE_1)
	s_and_saveexec_b32 s3, s20
	s_cbranch_execz .LBB401_15
; %bb.14:                               ;   in Loop: Header=BB401_13 Depth=1
	s_waitcnt lgkmcnt(0)
	v_add_nc_u32_e32 v6, s11, v103
	ds_store_b32 v6, v102
.LBB401_15:                             ;   in Loop: Header=BB401_13 Depth=1
	s_or_b32 exec_lo, exec_lo, s3
	s_xor_b32 s2, s2, -1
	s_delay_alu instid0(SALU_CYCLE_1)
	s_and_saveexec_b32 s3, s2
	s_cbranch_execz .LBB401_12
; %bb.16:                               ;   in Loop: Header=BB401_13 Depth=1
	flat_load_b32 v8, v[54:55]
	v_mov_b32_e32 v28, 0
	s_mov_b32 s20, exec_lo
	s_waitcnt vmcnt(0) lgkmcnt(0)
	v_mad_i64_i32 v[6:7], null, v8, v22, v[52:53]
	s_delay_alu instid0(VALU_DEP_1) | instskip(NEXT) | instid1(VALU_DEP_1)
	v_add_co_u32 v64, s2, v6, v99
	v_add_co_ci_u32_e64 v65, s2, 0, v7, s2
	flat_load_b32 v119, v[64:65]
	flat_load_b32 v115, v[24:25]
	ds_load_b128 v[35:38], v100
	ds_load_b128 v[31:34], v100 offset:16
	ds_load_b128 v[16:19], v100 offset:32
	;; [unrolled: 1-line block ×3, first 2 shown]
	s_waitcnt vmcnt(1) lgkmcnt(5)
	v_and_b32_e32 v116, 0xff, v119
	s_delay_alu instid0(VALU_DEP_1)
	v_cmpx_ne_u16_e32 0, v116
	s_cbranch_execz .LBB401_24
; %bb.17:                               ;   in Loop: Header=BB401_13 Depth=1
	v_bfrev_b32_e32 v28, 1
	s_mov_b32 s21, exec_lo
	v_cmpx_ne_u16_e32 0x80, v116
	s_cbranch_execz .LBB401_23
; %bb.18:                               ;   in Loop: Header=BB401_13 Depth=1
	v_and_b32_e32 v117, 0x7f, v119
	v_mov_b32_e32 v28, 0x7f800001
	s_mov_b32 s22, exec_lo
	s_delay_alu instid0(VALU_DEP_2)
	v_cmpx_ne_u32_e32 0x7f, v117
	s_cbranch_execz .LBB401_22
; %bb.19:                               ;   in Loop: Header=BB401_13 Depth=1
	v_and_b32_e32 v28, 7, v119
	v_lshrrev_b32_e32 v116, 3, v117
	s_mov_b32 s23, exec_lo
	v_cmpx_gt_u32_e32 8, v117
; %bb.20:                               ;   in Loop: Header=BB401_13 Depth=1
	s_delay_alu instid0(VALU_DEP_3) | instskip(NEXT) | instid1(VALU_DEP_1)
	v_clz_i32_u32_e32 v116, v28
	v_min_u32_e32 v116, 32, v116
	s_delay_alu instid0(VALU_DEP_1) | instskip(SKIP_1) | instid1(VALU_DEP_2)
	v_subrev_nc_u32_e32 v117, 28, v116
	v_sub_nc_u32_e32 v116, 29, v116
	v_lshlrev_b64 v[117:118], v117, v[28:29]
	s_delay_alu instid0(VALU_DEP_1)
	v_and_b32_e32 v28, 7, v117
; %bb.21:                               ;   in Loop: Header=BB401_13 Depth=1
	s_or_b32 exec_lo, exec_lo, s23
	v_lshlrev_b32_e32 v117, 24, v119
	s_delay_alu instid0(VALU_DEP_2) | instskip(SKIP_1) | instid1(VALU_DEP_3)
	v_lshlrev_b32_e32 v28, 20, v28
	v_lshl_add_u32 v116, v116, 23, 0x3c000000
	v_and_b32_e32 v117, 0x80000000, v117
	s_delay_alu instid0(VALU_DEP_1)
	v_or3_b32 v28, v28, v117, v116
.LBB401_22:                             ;   in Loop: Header=BB401_13 Depth=1
	s_or_b32 exec_lo, exec_lo, s22
.LBB401_23:                             ;   in Loop: Header=BB401_13 Depth=1
	s_delay_alu instid0(SALU_CYCLE_1)
	s_or_b32 exec_lo, exec_lo, s21
.LBB401_24:                             ;   in Loop: Header=BB401_13 Depth=1
	s_delay_alu instid0(SALU_CYCLE_1) | instskip(SKIP_2) | instid1(VALU_DEP_1)
	s_or_b32 exec_lo, exec_lo, s20
	s_waitcnt vmcnt(0) lgkmcnt(4)
	v_mul_f32_e32 v28, v115, v28
	v_and_b32_e32 v116, 0x7f800000, v28
	s_delay_alu instid0(VALU_DEP_1) | instskip(NEXT) | instid1(VALU_DEP_1)
	v_cmp_ne_u32_e64 s2, 0x7f800000, v116
                                        ; implicit-def: $vgpr116
	s_and_saveexec_b32 s20, s2
	s_delay_alu instid0(SALU_CYCLE_1)
	s_xor_b32 s2, exec_lo, s20
; %bb.25:                               ;   in Loop: Header=BB401_13 Depth=1
	v_bfe_u32 v116, v28, 16, 1
	s_delay_alu instid0(VALU_DEP_1)
	v_add3_u32 v116, v28, v116, 0x7fff
                                        ; implicit-def: $vgpr28
; %bb.26:                               ;   in Loop: Header=BB401_13 Depth=1
	s_and_not1_saveexec_b32 s20, s2
; %bb.27:                               ;   in Loop: Header=BB401_13 Depth=1
	v_and_b32_e32 v116, 0xffff, v28
	v_or_b32_e32 v117, 0x10000, v28
	s_delay_alu instid0(VALU_DEP_2) | instskip(NEXT) | instid1(VALU_DEP_1)
	v_cmp_eq_u32_e64 s2, 0, v116
	v_cndmask_b32_e64 v116, v117, v28, s2
; %bb.28:                               ;   in Loop: Header=BB401_13 Depth=1
	s_or_b32 exec_lo, exec_lo, s20
	v_lshrrev_b16 v117, 8, v119
	v_mov_b32_e32 v28, 0
	s_mov_b32 s20, exec_lo
	s_delay_alu instid0(VALU_DEP_2)
	v_cmpx_ne_u16_e32 0, v117
	s_cbranch_execz .LBB401_36
; %bb.29:                               ;   in Loop: Header=BB401_13 Depth=1
	v_bfrev_b32_e32 v28, 1
	s_mov_b32 s21, exec_lo
	v_cmpx_ne_u16_e32 0x80, v117
	s_cbranch_execz .LBB401_35
; %bb.30:                               ;   in Loop: Header=BB401_13 Depth=1
	v_and_b32_e32 v117, 0xffff, v117
	v_mov_b32_e32 v28, 0x7f800001
	s_mov_b32 s22, exec_lo
	s_delay_alu instid0(VALU_DEP_2) | instskip(NEXT) | instid1(VALU_DEP_1)
	v_and_b32_e32 v118, 0x7f, v117
	v_cmpx_ne_u32_e32 0x7f, v118
	s_cbranch_execz .LBB401_34
; %bb.31:                               ;   in Loop: Header=BB401_13 Depth=1
	v_and_b32_e32 v28, 7, v117
	v_lshrrev_b32_e32 v117, 3, v118
	s_mov_b32 s23, exec_lo
	v_cmpx_gt_u32_e32 8, v118
; %bb.32:                               ;   in Loop: Header=BB401_13 Depth=1
	s_delay_alu instid0(VALU_DEP_3) | instskip(NEXT) | instid1(VALU_DEP_1)
	v_clz_i32_u32_e32 v117, v28
	v_min_u32_e32 v117, 32, v117
	s_delay_alu instid0(VALU_DEP_1) | instskip(SKIP_1) | instid1(VALU_DEP_2)
	v_subrev_nc_u32_e32 v118, 28, v117
	v_sub_nc_u32_e32 v117, 29, v117
	v_lshlrev_b64 v[128:129], v118, v[28:29]
	s_delay_alu instid0(VALU_DEP_1)
	v_and_b32_e32 v28, 7, v128
; %bb.33:                               ;   in Loop: Header=BB401_13 Depth=1
	s_or_b32 exec_lo, exec_lo, s23
	v_lshlrev_b32_e32 v118, 16, v119
	s_delay_alu instid0(VALU_DEP_2) | instskip(SKIP_1) | instid1(VALU_DEP_3)
	v_lshlrev_b32_e32 v28, 20, v28
	v_lshl_add_u32 v117, v117, 23, 0x3c000000
	v_and_b32_e32 v118, 0x80000000, v118
	s_delay_alu instid0(VALU_DEP_1)
	v_or3_b32 v28, v28, v118, v117
.LBB401_34:                             ;   in Loop: Header=BB401_13 Depth=1
	s_or_b32 exec_lo, exec_lo, s22
.LBB401_35:                             ;   in Loop: Header=BB401_13 Depth=1
	s_delay_alu instid0(SALU_CYCLE_1)
	s_or_b32 exec_lo, exec_lo, s21
.LBB401_36:                             ;   in Loop: Header=BB401_13 Depth=1
	s_delay_alu instid0(SALU_CYCLE_1) | instskip(NEXT) | instid1(VALU_DEP_1)
	s_or_b32 exec_lo, exec_lo, s20
	v_mul_f32_e32 v28, v115, v28
	s_delay_alu instid0(VALU_DEP_1) | instskip(NEXT) | instid1(VALU_DEP_1)
	v_and_b32_e32 v117, 0x7f800000, v28
	v_cmp_ne_u32_e64 s2, 0x7f800000, v117
                                        ; implicit-def: $vgpr117
	s_delay_alu instid0(VALU_DEP_1) | instskip(NEXT) | instid1(SALU_CYCLE_1)
	s_and_saveexec_b32 s20, s2
	s_xor_b32 s2, exec_lo, s20
; %bb.37:                               ;   in Loop: Header=BB401_13 Depth=1
	v_bfe_u32 v117, v28, 16, 1
	s_delay_alu instid0(VALU_DEP_1)
	v_add3_u32 v117, v28, v117, 0x7fff
                                        ; implicit-def: $vgpr28
; %bb.38:                               ;   in Loop: Header=BB401_13 Depth=1
	s_and_not1_saveexec_b32 s20, s2
; %bb.39:                               ;   in Loop: Header=BB401_13 Depth=1
	v_and_b32_e32 v117, 0xffff, v28
	v_or_b32_e32 v118, 0x10000, v28
	s_delay_alu instid0(VALU_DEP_2) | instskip(NEXT) | instid1(VALU_DEP_1)
	v_cmp_eq_u32_e64 s2, 0, v117
	v_cndmask_b32_e64 v117, v118, v28, s2
; %bb.40:                               ;   in Loop: Header=BB401_13 Depth=1
	s_or_b32 exec_lo, exec_lo, s20
	v_lshrrev_b32_e32 v118, 16, v119
	v_mov_b32_e32 v28, 0
	s_mov_b32 s20, exec_lo
	s_delay_alu instid0(VALU_DEP_2) | instskip(NEXT) | instid1(VALU_DEP_1)
	v_and_b32_e32 v128, 0xff, v118
	v_cmpx_ne_u16_e64 0, v128
	s_cbranch_execz .LBB401_48
; %bb.41:                               ;   in Loop: Header=BB401_13 Depth=1
	v_bfrev_b32_e32 v28, 1
	s_mov_b32 s21, exec_lo
	v_cmpx_ne_u16_e64 0x80, v128
	s_cbranch_execz .LBB401_47
; %bb.42:                               ;   in Loop: Header=BB401_13 Depth=1
	v_bfe_u32 v129, v119, 16, 7
	v_mov_b32_e32 v28, 0x7f800001
	s_mov_b32 s22, exec_lo
	s_delay_alu instid0(VALU_DEP_2)
	v_cmpx_ne_u32_e32 0x7f, v129
	s_cbranch_execz .LBB401_46
; %bb.43:                               ;   in Loop: Header=BB401_13 Depth=1
	v_and_b32_e32 v28, 7, v118
	v_lshrrev_b32_e32 v128, 3, v129
	s_mov_b32 s23, exec_lo
	v_cmpx_gt_u32_e32 8, v129
; %bb.44:                               ;   in Loop: Header=BB401_13 Depth=1
	s_delay_alu instid0(VALU_DEP_3) | instskip(NEXT) | instid1(VALU_DEP_1)
	v_clz_i32_u32_e32 v128, v28
	v_min_u32_e32 v128, 32, v128
	s_delay_alu instid0(VALU_DEP_1) | instskip(SKIP_1) | instid1(VALU_DEP_2)
	v_subrev_nc_u32_e32 v129, 28, v128
	v_sub_nc_u32_e32 v128, 29, v128
	v_lshlrev_b64 v[129:130], v129, v[28:29]
	s_delay_alu instid0(VALU_DEP_1)
	v_and_b32_e32 v28, 7, v129
; %bb.45:                               ;   in Loop: Header=BB401_13 Depth=1
	s_or_b32 exec_lo, exec_lo, s23
	v_lshlrev_b32_e32 v118, 24, v118
	s_delay_alu instid0(VALU_DEP_2) | instskip(SKIP_1) | instid1(VALU_DEP_3)
	v_lshlrev_b32_e32 v28, 20, v28
	v_lshl_add_u32 v128, v128, 23, 0x3c000000
	v_and_b32_e32 v118, 0x80000000, v118
	s_delay_alu instid0(VALU_DEP_1)
	v_or3_b32 v28, v28, v118, v128
.LBB401_46:                             ;   in Loop: Header=BB401_13 Depth=1
	s_or_b32 exec_lo, exec_lo, s22
.LBB401_47:                             ;   in Loop: Header=BB401_13 Depth=1
	s_delay_alu instid0(SALU_CYCLE_1)
	s_or_b32 exec_lo, exec_lo, s21
.LBB401_48:                             ;   in Loop: Header=BB401_13 Depth=1
	s_delay_alu instid0(SALU_CYCLE_1) | instskip(NEXT) | instid1(VALU_DEP_1)
	s_or_b32 exec_lo, exec_lo, s20
	v_mul_f32_e32 v28, v115, v28
	s_delay_alu instid0(VALU_DEP_1) | instskip(NEXT) | instid1(VALU_DEP_1)
	v_and_b32_e32 v118, 0x7f800000, v28
	v_cmp_ne_u32_e64 s2, 0x7f800000, v118
                                        ; implicit-def: $vgpr118
	s_delay_alu instid0(VALU_DEP_1) | instskip(NEXT) | instid1(SALU_CYCLE_1)
	s_and_saveexec_b32 s20, s2
	s_xor_b32 s2, exec_lo, s20
; %bb.49:                               ;   in Loop: Header=BB401_13 Depth=1
	v_bfe_u32 v118, v28, 16, 1
	s_delay_alu instid0(VALU_DEP_1)
	v_add3_u32 v118, v28, v118, 0x7fff
                                        ; implicit-def: $vgpr28
; %bb.50:                               ;   in Loop: Header=BB401_13 Depth=1
	s_and_not1_saveexec_b32 s20, s2
; %bb.51:                               ;   in Loop: Header=BB401_13 Depth=1
	v_and_b32_e32 v118, 0xffff, v28
	v_or_b32_e32 v128, 0x10000, v28
	s_delay_alu instid0(VALU_DEP_2) | instskip(NEXT) | instid1(VALU_DEP_1)
	v_cmp_eq_u32_e64 s2, 0, v118
	v_cndmask_b32_e64 v118, v128, v28, s2
; %bb.52:                               ;   in Loop: Header=BB401_13 Depth=1
	s_or_b32 exec_lo, exec_lo, s20
	v_mov_b32_e32 v28, 0
	s_mov_b32 s20, exec_lo
	v_cmpx_lt_u32_e32 0xffffff, v119
	s_cbranch_execz .LBB401_60
; %bb.53:                               ;   in Loop: Header=BB401_13 Depth=1
	v_lshrrev_b32_e32 v128, 24, v119
	v_bfrev_b32_e32 v28, 1
	s_mov_b32 s21, exec_lo
	s_delay_alu instid0(VALU_DEP_2)
	v_cmpx_ne_u32_e32 0x80, v128
	s_cbranch_execz .LBB401_59
; %bb.54:                               ;   in Loop: Header=BB401_13 Depth=1
	v_bfe_u32 v129, v119, 24, 7
	v_mov_b32_e32 v28, 0x7f800001
	s_mov_b32 s22, exec_lo
	s_delay_alu instid0(VALU_DEP_2)
	v_cmpx_ne_u32_e32 0x7f, v129
	s_cbranch_execz .LBB401_58
; %bb.55:                               ;   in Loop: Header=BB401_13 Depth=1
	v_and_b32_e32 v28, 7, v128
	v_lshrrev_b32_e32 v119, 3, v129
	s_mov_b32 s23, exec_lo
	v_cmpx_gt_u32_e32 8, v129
; %bb.56:                               ;   in Loop: Header=BB401_13 Depth=1
	s_delay_alu instid0(VALU_DEP_3) | instskip(NEXT) | instid1(VALU_DEP_1)
	v_clz_i32_u32_e32 v119, v28
	v_min_u32_e32 v119, 32, v119
	s_delay_alu instid0(VALU_DEP_1) | instskip(SKIP_1) | instid1(VALU_DEP_2)
	v_subrev_nc_u32_e32 v129, 28, v119
	v_sub_nc_u32_e32 v119, 29, v119
	v_lshlrev_b64 v[129:130], v129, v[28:29]
	s_delay_alu instid0(VALU_DEP_1)
	v_and_b32_e32 v28, 7, v129
; %bb.57:                               ;   in Loop: Header=BB401_13 Depth=1
	s_or_b32 exec_lo, exec_lo, s23
	v_lshlrev_b32_e32 v128, 24, v128
	s_delay_alu instid0(VALU_DEP_2) | instskip(SKIP_1) | instid1(VALU_DEP_3)
	v_lshlrev_b32_e32 v28, 20, v28
	v_lshl_add_u32 v119, v119, 23, 0x3c000000
	v_and_b32_e32 v128, 0x80000000, v128
	s_delay_alu instid0(VALU_DEP_1)
	v_or3_b32 v28, v28, v128, v119
.LBB401_58:                             ;   in Loop: Header=BB401_13 Depth=1
	s_or_b32 exec_lo, exec_lo, s22
.LBB401_59:                             ;   in Loop: Header=BB401_13 Depth=1
	s_delay_alu instid0(SALU_CYCLE_1)
	s_or_b32 exec_lo, exec_lo, s21
.LBB401_60:                             ;   in Loop: Header=BB401_13 Depth=1
	s_delay_alu instid0(SALU_CYCLE_1) | instskip(NEXT) | instid1(VALU_DEP_1)
	s_or_b32 exec_lo, exec_lo, s20
	v_mul_f32_e32 v28, v115, v28
	s_delay_alu instid0(VALU_DEP_1) | instskip(NEXT) | instid1(VALU_DEP_1)
	v_and_b32_e32 v119, 0x7f800000, v28
	v_cmp_ne_u32_e64 s2, 0x7f800000, v119
                                        ; implicit-def: $vgpr119
	s_delay_alu instid0(VALU_DEP_1) | instskip(NEXT) | instid1(SALU_CYCLE_1)
	s_and_saveexec_b32 s20, s2
	s_xor_b32 s2, exec_lo, s20
; %bb.61:                               ;   in Loop: Header=BB401_13 Depth=1
	v_bfe_u32 v119, v28, 16, 1
	s_delay_alu instid0(VALU_DEP_1)
	v_add3_u32 v119, v28, v119, 0x7fff
                                        ; implicit-def: $vgpr28
; %bb.62:                               ;   in Loop: Header=BB401_13 Depth=1
	s_and_not1_saveexec_b32 s20, s2
; %bb.63:                               ;   in Loop: Header=BB401_13 Depth=1
	v_and_b32_e32 v119, 0xffff, v28
	v_or_b32_e32 v128, 0x10000, v28
	s_delay_alu instid0(VALU_DEP_2) | instskip(NEXT) | instid1(VALU_DEP_1)
	v_cmp_eq_u32_e64 s2, 0, v119
	v_cndmask_b32_e64 v119, v128, v28, s2
; %bb.64:                               ;   in Loop: Header=BB401_13 Depth=1
	s_or_b32 exec_lo, exec_lo, s20
	flat_load_b32 v131, v[64:65] offset:8
	v_mov_b32_e32 v28, 0
	s_mov_b32 s20, exec_lo
	s_waitcnt vmcnt(0) lgkmcnt(0)
	v_and_b32_e32 v128, 0xff, v131
	s_delay_alu instid0(VALU_DEP_1)
	v_cmpx_ne_u16_e64 0, v128
	s_cbranch_execz .LBB401_72
; %bb.65:                               ;   in Loop: Header=BB401_13 Depth=1
	v_bfrev_b32_e32 v28, 1
	s_mov_b32 s21, exec_lo
	v_cmpx_ne_u16_e64 0x80, v128
	s_cbranch_execz .LBB401_71
; %bb.66:                               ;   in Loop: Header=BB401_13 Depth=1
	v_and_b32_e32 v129, 0x7f, v131
	v_mov_b32_e32 v28, 0x7f800001
	s_mov_b32 s22, exec_lo
	s_delay_alu instid0(VALU_DEP_2)
	v_cmpx_ne_u32_e32 0x7f, v129
	s_cbranch_execz .LBB401_70
; %bb.67:                               ;   in Loop: Header=BB401_13 Depth=1
	v_and_b32_e32 v28, 7, v131
	v_lshrrev_b32_e32 v128, 3, v129
	s_mov_b32 s23, exec_lo
	v_cmpx_gt_u32_e32 8, v129
; %bb.68:                               ;   in Loop: Header=BB401_13 Depth=1
	s_delay_alu instid0(VALU_DEP_3) | instskip(NEXT) | instid1(VALU_DEP_1)
	v_clz_i32_u32_e32 v128, v28
	v_min_u32_e32 v128, 32, v128
	s_delay_alu instid0(VALU_DEP_1) | instskip(SKIP_1) | instid1(VALU_DEP_2)
	v_subrev_nc_u32_e32 v129, 28, v128
	v_sub_nc_u32_e32 v128, 29, v128
	v_lshlrev_b64 v[129:130], v129, v[28:29]
	s_delay_alu instid0(VALU_DEP_1)
	v_and_b32_e32 v28, 7, v129
; %bb.69:                               ;   in Loop: Header=BB401_13 Depth=1
	s_or_b32 exec_lo, exec_lo, s23
	v_lshlrev_b32_e32 v129, 24, v131
	s_delay_alu instid0(VALU_DEP_2) | instskip(SKIP_1) | instid1(VALU_DEP_3)
	v_lshlrev_b32_e32 v28, 20, v28
	v_lshl_add_u32 v128, v128, 23, 0x3c000000
	v_and_b32_e32 v129, 0x80000000, v129
	s_delay_alu instid0(VALU_DEP_1)
	v_or3_b32 v28, v28, v129, v128
.LBB401_70:                             ;   in Loop: Header=BB401_13 Depth=1
	s_or_b32 exec_lo, exec_lo, s22
.LBB401_71:                             ;   in Loop: Header=BB401_13 Depth=1
	s_delay_alu instid0(SALU_CYCLE_1)
	s_or_b32 exec_lo, exec_lo, s21
.LBB401_72:                             ;   in Loop: Header=BB401_13 Depth=1
	s_delay_alu instid0(SALU_CYCLE_1) | instskip(NEXT) | instid1(VALU_DEP_1)
	s_or_b32 exec_lo, exec_lo, s20
	v_mul_f32_e32 v28, v115, v28
	s_delay_alu instid0(VALU_DEP_1) | instskip(NEXT) | instid1(VALU_DEP_1)
	v_and_b32_e32 v128, 0x7f800000, v28
	v_cmp_ne_u32_e64 s2, 0x7f800000, v128
                                        ; implicit-def: $vgpr128
	s_delay_alu instid0(VALU_DEP_1) | instskip(NEXT) | instid1(SALU_CYCLE_1)
	s_and_saveexec_b32 s20, s2
	s_xor_b32 s2, exec_lo, s20
; %bb.73:                               ;   in Loop: Header=BB401_13 Depth=1
	v_bfe_u32 v128, v28, 16, 1
	s_delay_alu instid0(VALU_DEP_1)
	v_add3_u32 v128, v28, v128, 0x7fff
                                        ; implicit-def: $vgpr28
; %bb.74:                               ;   in Loop: Header=BB401_13 Depth=1
	s_and_not1_saveexec_b32 s20, s2
; %bb.75:                               ;   in Loop: Header=BB401_13 Depth=1
	v_and_b32_e32 v128, 0xffff, v28
	v_or_b32_e32 v129, 0x10000, v28
	s_delay_alu instid0(VALU_DEP_2) | instskip(NEXT) | instid1(VALU_DEP_1)
	v_cmp_eq_u32_e64 s2, 0, v128
	v_cndmask_b32_e64 v128, v129, v28, s2
; %bb.76:                               ;   in Loop: Header=BB401_13 Depth=1
	s_or_b32 exec_lo, exec_lo, s20
	v_lshrrev_b16 v129, 8, v131
	v_mov_b32_e32 v28, 0
	s_mov_b32 s20, exec_lo
	s_delay_alu instid0(VALU_DEP_2)
	v_cmpx_ne_u16_e64 0, v129
	s_cbranch_execz .LBB401_84
; %bb.77:                               ;   in Loop: Header=BB401_13 Depth=1
	v_bfrev_b32_e32 v28, 1
	s_mov_b32 s21, exec_lo
	v_cmpx_ne_u16_e64 0x80, v129
	s_cbranch_execz .LBB401_83
; %bb.78:                               ;   in Loop: Header=BB401_13 Depth=1
	v_and_b32_e32 v129, 0xffff, v129
	v_mov_b32_e32 v28, 0x7f800001
	s_mov_b32 s22, exec_lo
	s_delay_alu instid0(VALU_DEP_2) | instskip(NEXT) | instid1(VALU_DEP_1)
	v_and_b32_e32 v130, 0x7f, v129
	v_cmpx_ne_u32_e32 0x7f, v130
	s_cbranch_execz .LBB401_82
; %bb.79:                               ;   in Loop: Header=BB401_13 Depth=1
	v_and_b32_e32 v28, 7, v129
	v_lshrrev_b32_e32 v129, 3, v130
	s_mov_b32 s23, exec_lo
	v_cmpx_gt_u32_e32 8, v130
; %bb.80:                               ;   in Loop: Header=BB401_13 Depth=1
	s_delay_alu instid0(VALU_DEP_3) | instskip(NEXT) | instid1(VALU_DEP_1)
	v_clz_i32_u32_e32 v129, v28
	v_min_u32_e32 v129, 32, v129
	s_delay_alu instid0(VALU_DEP_1) | instskip(SKIP_1) | instid1(VALU_DEP_2)
	v_subrev_nc_u32_e32 v130, 28, v129
	v_sub_nc_u32_e32 v129, 29, v129
	v_lshlrev_b64 v[132:133], v130, v[28:29]
	s_delay_alu instid0(VALU_DEP_1)
	v_and_b32_e32 v28, 7, v132
; %bb.81:                               ;   in Loop: Header=BB401_13 Depth=1
	s_or_b32 exec_lo, exec_lo, s23
	v_lshlrev_b32_e32 v130, 16, v131
	s_delay_alu instid0(VALU_DEP_2) | instskip(SKIP_1) | instid1(VALU_DEP_3)
	v_lshlrev_b32_e32 v28, 20, v28
	v_lshl_add_u32 v129, v129, 23, 0x3c000000
	v_and_b32_e32 v130, 0x80000000, v130
	s_delay_alu instid0(VALU_DEP_1)
	v_or3_b32 v28, v28, v130, v129
.LBB401_82:                             ;   in Loop: Header=BB401_13 Depth=1
	s_or_b32 exec_lo, exec_lo, s22
.LBB401_83:                             ;   in Loop: Header=BB401_13 Depth=1
	s_delay_alu instid0(SALU_CYCLE_1)
	s_or_b32 exec_lo, exec_lo, s21
.LBB401_84:                             ;   in Loop: Header=BB401_13 Depth=1
	s_delay_alu instid0(SALU_CYCLE_1) | instskip(NEXT) | instid1(VALU_DEP_1)
	s_or_b32 exec_lo, exec_lo, s20
	v_mul_f32_e32 v28, v115, v28
	s_delay_alu instid0(VALU_DEP_1) | instskip(NEXT) | instid1(VALU_DEP_1)
	v_and_b32_e32 v129, 0x7f800000, v28
	v_cmp_ne_u32_e64 s2, 0x7f800000, v129
                                        ; implicit-def: $vgpr129
	s_delay_alu instid0(VALU_DEP_1) | instskip(NEXT) | instid1(SALU_CYCLE_1)
	s_and_saveexec_b32 s20, s2
	s_xor_b32 s2, exec_lo, s20
; %bb.85:                               ;   in Loop: Header=BB401_13 Depth=1
	v_bfe_u32 v129, v28, 16, 1
	s_delay_alu instid0(VALU_DEP_1)
	v_add3_u32 v129, v28, v129, 0x7fff
                                        ; implicit-def: $vgpr28
; %bb.86:                               ;   in Loop: Header=BB401_13 Depth=1
	s_and_not1_saveexec_b32 s20, s2
; %bb.87:                               ;   in Loop: Header=BB401_13 Depth=1
	v_and_b32_e32 v129, 0xffff, v28
	v_or_b32_e32 v130, 0x10000, v28
	s_delay_alu instid0(VALU_DEP_2) | instskip(NEXT) | instid1(VALU_DEP_1)
	v_cmp_eq_u32_e64 s2, 0, v129
	v_cndmask_b32_e64 v129, v130, v28, s2
; %bb.88:                               ;   in Loop: Header=BB401_13 Depth=1
	s_or_b32 exec_lo, exec_lo, s20
	v_lshrrev_b32_e32 v130, 16, v131
	v_mov_b32_e32 v28, 0
	s_mov_b32 s20, exec_lo
	s_delay_alu instid0(VALU_DEP_2) | instskip(NEXT) | instid1(VALU_DEP_1)
	v_and_b32_e32 v132, 0xff, v130
	v_cmpx_ne_u16_e64 0, v132
	s_cbranch_execz .LBB401_96
; %bb.89:                               ;   in Loop: Header=BB401_13 Depth=1
	v_bfrev_b32_e32 v28, 1
	s_mov_b32 s21, exec_lo
	v_cmpx_ne_u16_e64 0x80, v132
	s_cbranch_execz .LBB401_95
; %bb.90:                               ;   in Loop: Header=BB401_13 Depth=1
	v_bfe_u32 v133, v131, 16, 7
	v_mov_b32_e32 v28, 0x7f800001
	s_mov_b32 s22, exec_lo
	s_delay_alu instid0(VALU_DEP_2)
	v_cmpx_ne_u32_e32 0x7f, v133
	s_cbranch_execz .LBB401_94
; %bb.91:                               ;   in Loop: Header=BB401_13 Depth=1
	v_and_b32_e32 v28, 7, v130
	v_lshrrev_b32_e32 v132, 3, v133
	s_mov_b32 s23, exec_lo
	v_cmpx_gt_u32_e32 8, v133
; %bb.92:                               ;   in Loop: Header=BB401_13 Depth=1
	s_delay_alu instid0(VALU_DEP_3) | instskip(NEXT) | instid1(VALU_DEP_1)
	v_clz_i32_u32_e32 v132, v28
	v_min_u32_e32 v132, 32, v132
	s_delay_alu instid0(VALU_DEP_1) | instskip(SKIP_1) | instid1(VALU_DEP_2)
	v_subrev_nc_u32_e32 v133, 28, v132
	v_sub_nc_u32_e32 v132, 29, v132
	v_lshlrev_b64 v[133:134], v133, v[28:29]
	s_delay_alu instid0(VALU_DEP_1)
	v_and_b32_e32 v28, 7, v133
; %bb.93:                               ;   in Loop: Header=BB401_13 Depth=1
	s_or_b32 exec_lo, exec_lo, s23
	v_lshlrev_b32_e32 v130, 24, v130
	s_delay_alu instid0(VALU_DEP_2) | instskip(SKIP_1) | instid1(VALU_DEP_3)
	v_lshlrev_b32_e32 v28, 20, v28
	v_lshl_add_u32 v132, v132, 23, 0x3c000000
	v_and_b32_e32 v130, 0x80000000, v130
	s_delay_alu instid0(VALU_DEP_1)
	v_or3_b32 v28, v28, v130, v132
.LBB401_94:                             ;   in Loop: Header=BB401_13 Depth=1
	s_or_b32 exec_lo, exec_lo, s22
.LBB401_95:                             ;   in Loop: Header=BB401_13 Depth=1
	s_delay_alu instid0(SALU_CYCLE_1)
	s_or_b32 exec_lo, exec_lo, s21
.LBB401_96:                             ;   in Loop: Header=BB401_13 Depth=1
	s_delay_alu instid0(SALU_CYCLE_1) | instskip(NEXT) | instid1(VALU_DEP_1)
	s_or_b32 exec_lo, exec_lo, s20
	v_mul_f32_e32 v28, v115, v28
	s_delay_alu instid0(VALU_DEP_1) | instskip(NEXT) | instid1(VALU_DEP_1)
	v_and_b32_e32 v130, 0x7f800000, v28
	v_cmp_ne_u32_e64 s2, 0x7f800000, v130
                                        ; implicit-def: $vgpr130
	s_delay_alu instid0(VALU_DEP_1) | instskip(NEXT) | instid1(SALU_CYCLE_1)
	s_and_saveexec_b32 s20, s2
	s_xor_b32 s2, exec_lo, s20
; %bb.97:                               ;   in Loop: Header=BB401_13 Depth=1
	v_bfe_u32 v130, v28, 16, 1
	s_delay_alu instid0(VALU_DEP_1)
	v_add3_u32 v130, v28, v130, 0x7fff
                                        ; implicit-def: $vgpr28
; %bb.98:                               ;   in Loop: Header=BB401_13 Depth=1
	s_and_not1_saveexec_b32 s20, s2
; %bb.99:                               ;   in Loop: Header=BB401_13 Depth=1
	v_and_b32_e32 v130, 0xffff, v28
	v_or_b32_e32 v132, 0x10000, v28
	s_delay_alu instid0(VALU_DEP_2) | instskip(NEXT) | instid1(VALU_DEP_1)
	v_cmp_eq_u32_e64 s2, 0, v130
	v_cndmask_b32_e64 v130, v132, v28, s2
; %bb.100:                              ;   in Loop: Header=BB401_13 Depth=1
	s_or_b32 exec_lo, exec_lo, s20
	v_mov_b32_e32 v28, 0
	s_mov_b32 s20, exec_lo
	v_cmpx_lt_u32_e32 0xffffff, v131
	s_cbranch_execz .LBB401_108
; %bb.101:                              ;   in Loop: Header=BB401_13 Depth=1
	v_lshrrev_b32_e32 v132, 24, v131
	v_bfrev_b32_e32 v28, 1
	s_mov_b32 s21, exec_lo
	s_delay_alu instid0(VALU_DEP_2)
	v_cmpx_ne_u32_e32 0x80, v132
	s_cbranch_execz .LBB401_107
; %bb.102:                              ;   in Loop: Header=BB401_13 Depth=1
	v_bfe_u32 v133, v131, 24, 7
	v_mov_b32_e32 v28, 0x7f800001
	s_mov_b32 s22, exec_lo
	s_delay_alu instid0(VALU_DEP_2)
	v_cmpx_ne_u32_e32 0x7f, v133
	s_cbranch_execz .LBB401_106
; %bb.103:                              ;   in Loop: Header=BB401_13 Depth=1
	v_and_b32_e32 v28, 7, v132
	v_lshrrev_b32_e32 v131, 3, v133
	s_mov_b32 s23, exec_lo
	v_cmpx_gt_u32_e32 8, v133
; %bb.104:                              ;   in Loop: Header=BB401_13 Depth=1
	s_delay_alu instid0(VALU_DEP_3) | instskip(NEXT) | instid1(VALU_DEP_1)
	v_clz_i32_u32_e32 v131, v28
	v_min_u32_e32 v131, 32, v131
	s_delay_alu instid0(VALU_DEP_1) | instskip(SKIP_1) | instid1(VALU_DEP_2)
	v_subrev_nc_u32_e32 v133, 28, v131
	v_sub_nc_u32_e32 v131, 29, v131
	v_lshlrev_b64 v[133:134], v133, v[28:29]
	s_delay_alu instid0(VALU_DEP_1)
	v_and_b32_e32 v28, 7, v133
; %bb.105:                              ;   in Loop: Header=BB401_13 Depth=1
	s_or_b32 exec_lo, exec_lo, s23
	v_lshlrev_b32_e32 v132, 24, v132
	s_delay_alu instid0(VALU_DEP_2) | instskip(SKIP_1) | instid1(VALU_DEP_3)
	v_lshlrev_b32_e32 v28, 20, v28
	v_lshl_add_u32 v131, v131, 23, 0x3c000000
	v_and_b32_e32 v132, 0x80000000, v132
	s_delay_alu instid0(VALU_DEP_1)
	v_or3_b32 v28, v28, v132, v131
.LBB401_106:                            ;   in Loop: Header=BB401_13 Depth=1
	s_or_b32 exec_lo, exec_lo, s22
.LBB401_107:                            ;   in Loop: Header=BB401_13 Depth=1
	s_delay_alu instid0(SALU_CYCLE_1)
	s_or_b32 exec_lo, exec_lo, s21
.LBB401_108:                            ;   in Loop: Header=BB401_13 Depth=1
	s_delay_alu instid0(SALU_CYCLE_1) | instskip(NEXT) | instid1(VALU_DEP_1)
	s_or_b32 exec_lo, exec_lo, s20
	v_mul_f32_e32 v28, v115, v28
	s_delay_alu instid0(VALU_DEP_1) | instskip(NEXT) | instid1(VALU_DEP_1)
	v_and_b32_e32 v131, 0x7f800000, v28
	v_cmp_ne_u32_e64 s2, 0x7f800000, v131
                                        ; implicit-def: $vgpr131
	s_delay_alu instid0(VALU_DEP_1) | instskip(NEXT) | instid1(SALU_CYCLE_1)
	s_and_saveexec_b32 s20, s2
	s_xor_b32 s2, exec_lo, s20
; %bb.109:                              ;   in Loop: Header=BB401_13 Depth=1
	v_bfe_u32 v131, v28, 16, 1
	s_delay_alu instid0(VALU_DEP_1)
	v_add3_u32 v131, v28, v131, 0x7fff
                                        ; implicit-def: $vgpr28
; %bb.110:                              ;   in Loop: Header=BB401_13 Depth=1
	s_and_not1_saveexec_b32 s20, s2
; %bb.111:                              ;   in Loop: Header=BB401_13 Depth=1
	v_and_b32_e32 v131, 0xffff, v28
	v_or_b32_e32 v132, 0x10000, v28
	s_delay_alu instid0(VALU_DEP_2) | instskip(NEXT) | instid1(VALU_DEP_1)
	v_cmp_eq_u32_e64 s2, 0, v131
	v_cndmask_b32_e64 v131, v132, v28, s2
; %bb.112:                              ;   in Loop: Header=BB401_13 Depth=1
	s_or_b32 exec_lo, exec_lo, s20
	flat_load_b32 v135, v[64:65] offset:256
	v_mov_b32_e32 v28, 0
	s_mov_b32 s20, exec_lo
	s_waitcnt vmcnt(0) lgkmcnt(0)
	v_and_b32_e32 v132, 0xff, v135
	s_delay_alu instid0(VALU_DEP_1)
	v_cmpx_ne_u16_e64 0, v132
	s_cbranch_execz .LBB401_120
; %bb.113:                              ;   in Loop: Header=BB401_13 Depth=1
	v_bfrev_b32_e32 v28, 1
	s_mov_b32 s21, exec_lo
	v_cmpx_ne_u16_e64 0x80, v132
	s_cbranch_execz .LBB401_119
; %bb.114:                              ;   in Loop: Header=BB401_13 Depth=1
	v_and_b32_e32 v133, 0x7f, v135
	v_mov_b32_e32 v28, 0x7f800001
	s_mov_b32 s22, exec_lo
	s_delay_alu instid0(VALU_DEP_2)
	v_cmpx_ne_u32_e32 0x7f, v133
	s_cbranch_execz .LBB401_118
; %bb.115:                              ;   in Loop: Header=BB401_13 Depth=1
	v_and_b32_e32 v28, 7, v135
	v_lshrrev_b32_e32 v132, 3, v133
	s_mov_b32 s23, exec_lo
	v_cmpx_gt_u32_e32 8, v133
; %bb.116:                              ;   in Loop: Header=BB401_13 Depth=1
	s_delay_alu instid0(VALU_DEP_3) | instskip(NEXT) | instid1(VALU_DEP_1)
	v_clz_i32_u32_e32 v132, v28
	v_min_u32_e32 v132, 32, v132
	s_delay_alu instid0(VALU_DEP_1) | instskip(SKIP_1) | instid1(VALU_DEP_2)
	v_subrev_nc_u32_e32 v133, 28, v132
	v_sub_nc_u32_e32 v132, 29, v132
	v_lshlrev_b64 v[133:134], v133, v[28:29]
	s_delay_alu instid0(VALU_DEP_1)
	v_and_b32_e32 v28, 7, v133
; %bb.117:                              ;   in Loop: Header=BB401_13 Depth=1
	s_or_b32 exec_lo, exec_lo, s23
	v_lshlrev_b32_e32 v133, 24, v135
	s_delay_alu instid0(VALU_DEP_2) | instskip(SKIP_1) | instid1(VALU_DEP_3)
	v_lshlrev_b32_e32 v28, 20, v28
	v_lshl_add_u32 v132, v132, 23, 0x3c000000
	v_and_b32_e32 v133, 0x80000000, v133
	s_delay_alu instid0(VALU_DEP_1)
	v_or3_b32 v28, v28, v133, v132
.LBB401_118:                            ;   in Loop: Header=BB401_13 Depth=1
	s_or_b32 exec_lo, exec_lo, s22
.LBB401_119:                            ;   in Loop: Header=BB401_13 Depth=1
	s_delay_alu instid0(SALU_CYCLE_1)
	s_or_b32 exec_lo, exec_lo, s21
.LBB401_120:                            ;   in Loop: Header=BB401_13 Depth=1
	s_delay_alu instid0(SALU_CYCLE_1) | instskip(NEXT) | instid1(VALU_DEP_1)
	s_or_b32 exec_lo, exec_lo, s20
	v_mul_f32_e32 v28, v115, v28
	s_delay_alu instid0(VALU_DEP_1) | instskip(NEXT) | instid1(VALU_DEP_1)
	v_and_b32_e32 v132, 0x7f800000, v28
	v_cmp_ne_u32_e64 s2, 0x7f800000, v132
                                        ; implicit-def: $vgpr132
	s_delay_alu instid0(VALU_DEP_1) | instskip(NEXT) | instid1(SALU_CYCLE_1)
	s_and_saveexec_b32 s20, s2
	s_xor_b32 s2, exec_lo, s20
; %bb.121:                              ;   in Loop: Header=BB401_13 Depth=1
	v_bfe_u32 v132, v28, 16, 1
	s_delay_alu instid0(VALU_DEP_1)
	v_add3_u32 v132, v28, v132, 0x7fff
                                        ; implicit-def: $vgpr28
; %bb.122:                              ;   in Loop: Header=BB401_13 Depth=1
	s_and_not1_saveexec_b32 s20, s2
; %bb.123:                              ;   in Loop: Header=BB401_13 Depth=1
	v_and_b32_e32 v132, 0xffff, v28
	v_or_b32_e32 v133, 0x10000, v28
	s_delay_alu instid0(VALU_DEP_2) | instskip(NEXT) | instid1(VALU_DEP_1)
	v_cmp_eq_u32_e64 s2, 0, v132
	v_cndmask_b32_e64 v132, v133, v28, s2
; %bb.124:                              ;   in Loop: Header=BB401_13 Depth=1
	s_or_b32 exec_lo, exec_lo, s20
	v_lshrrev_b16 v133, 8, v135
	v_mov_b32_e32 v28, 0
	s_mov_b32 s20, exec_lo
	s_delay_alu instid0(VALU_DEP_2)
	v_cmpx_ne_u16_e64 0, v133
	s_cbranch_execz .LBB401_132
; %bb.125:                              ;   in Loop: Header=BB401_13 Depth=1
	v_bfrev_b32_e32 v28, 1
	s_mov_b32 s21, exec_lo
	v_cmpx_ne_u16_e64 0x80, v133
	s_cbranch_execz .LBB401_131
; %bb.126:                              ;   in Loop: Header=BB401_13 Depth=1
	v_and_b32_e32 v133, 0xffff, v133
	v_mov_b32_e32 v28, 0x7f800001
	s_mov_b32 s22, exec_lo
	s_delay_alu instid0(VALU_DEP_2) | instskip(NEXT) | instid1(VALU_DEP_1)
	v_and_b32_e32 v134, 0x7f, v133
	v_cmpx_ne_u32_e32 0x7f, v134
	s_cbranch_execz .LBB401_130
; %bb.127:                              ;   in Loop: Header=BB401_13 Depth=1
	v_and_b32_e32 v28, 7, v133
	v_lshrrev_b32_e32 v133, 3, v134
	s_mov_b32 s23, exec_lo
	v_cmpx_gt_u32_e32 8, v134
; %bb.128:                              ;   in Loop: Header=BB401_13 Depth=1
	s_delay_alu instid0(VALU_DEP_3) | instskip(NEXT) | instid1(VALU_DEP_1)
	v_clz_i32_u32_e32 v133, v28
	v_min_u32_e32 v133, 32, v133
	s_delay_alu instid0(VALU_DEP_1) | instskip(SKIP_1) | instid1(VALU_DEP_2)
	v_subrev_nc_u32_e32 v134, 28, v133
	v_sub_nc_u32_e32 v133, 29, v133
	v_lshlrev_b64 v[144:145], v134, v[28:29]
	s_delay_alu instid0(VALU_DEP_1)
	v_and_b32_e32 v28, 7, v144
; %bb.129:                              ;   in Loop: Header=BB401_13 Depth=1
	s_or_b32 exec_lo, exec_lo, s23
	v_lshlrev_b32_e32 v134, 16, v135
	s_delay_alu instid0(VALU_DEP_2) | instskip(SKIP_1) | instid1(VALU_DEP_3)
	v_lshlrev_b32_e32 v28, 20, v28
	v_lshl_add_u32 v133, v133, 23, 0x3c000000
	v_and_b32_e32 v134, 0x80000000, v134
	s_delay_alu instid0(VALU_DEP_1)
	v_or3_b32 v28, v28, v134, v133
.LBB401_130:                            ;   in Loop: Header=BB401_13 Depth=1
	s_or_b32 exec_lo, exec_lo, s22
.LBB401_131:                            ;   in Loop: Header=BB401_13 Depth=1
	s_delay_alu instid0(SALU_CYCLE_1)
	s_or_b32 exec_lo, exec_lo, s21
.LBB401_132:                            ;   in Loop: Header=BB401_13 Depth=1
	s_delay_alu instid0(SALU_CYCLE_1) | instskip(NEXT) | instid1(VALU_DEP_1)
	s_or_b32 exec_lo, exec_lo, s20
	v_mul_f32_e32 v28, v115, v28
	s_delay_alu instid0(VALU_DEP_1) | instskip(NEXT) | instid1(VALU_DEP_1)
	v_and_b32_e32 v133, 0x7f800000, v28
	v_cmp_ne_u32_e64 s2, 0x7f800000, v133
                                        ; implicit-def: $vgpr133
	s_delay_alu instid0(VALU_DEP_1) | instskip(NEXT) | instid1(SALU_CYCLE_1)
	s_and_saveexec_b32 s20, s2
	s_xor_b32 s2, exec_lo, s20
; %bb.133:                              ;   in Loop: Header=BB401_13 Depth=1
	v_bfe_u32 v133, v28, 16, 1
	s_delay_alu instid0(VALU_DEP_1)
	v_add3_u32 v133, v28, v133, 0x7fff
                                        ; implicit-def: $vgpr28
; %bb.134:                              ;   in Loop: Header=BB401_13 Depth=1
	s_and_not1_saveexec_b32 s20, s2
; %bb.135:                              ;   in Loop: Header=BB401_13 Depth=1
	v_and_b32_e32 v133, 0xffff, v28
	v_or_b32_e32 v134, 0x10000, v28
	s_delay_alu instid0(VALU_DEP_2) | instskip(NEXT) | instid1(VALU_DEP_1)
	v_cmp_eq_u32_e64 s2, 0, v133
	v_cndmask_b32_e64 v133, v134, v28, s2
; %bb.136:                              ;   in Loop: Header=BB401_13 Depth=1
	s_or_b32 exec_lo, exec_lo, s20
	v_lshrrev_b32_e32 v134, 16, v135
	v_mov_b32_e32 v28, 0
	s_mov_b32 s20, exec_lo
	s_delay_alu instid0(VALU_DEP_2) | instskip(NEXT) | instid1(VALU_DEP_1)
	v_and_b32_e32 v144, 0xff, v134
	v_cmpx_ne_u16_e64 0, v144
	s_cbranch_execz .LBB401_144
; %bb.137:                              ;   in Loop: Header=BB401_13 Depth=1
	v_bfrev_b32_e32 v28, 1
	s_mov_b32 s21, exec_lo
	v_cmpx_ne_u16_e64 0x80, v144
	s_cbranch_execz .LBB401_143
; %bb.138:                              ;   in Loop: Header=BB401_13 Depth=1
	v_bfe_u32 v145, v135, 16, 7
	v_mov_b32_e32 v28, 0x7f800001
	s_mov_b32 s22, exec_lo
	s_delay_alu instid0(VALU_DEP_2)
	v_cmpx_ne_u32_e32 0x7f, v145
	s_cbranch_execz .LBB401_142
; %bb.139:                              ;   in Loop: Header=BB401_13 Depth=1
	v_and_b32_e32 v28, 7, v134
	v_lshrrev_b32_e32 v144, 3, v145
	s_mov_b32 s23, exec_lo
	v_cmpx_gt_u32_e32 8, v145
; %bb.140:                              ;   in Loop: Header=BB401_13 Depth=1
	s_delay_alu instid0(VALU_DEP_3) | instskip(NEXT) | instid1(VALU_DEP_1)
	v_clz_i32_u32_e32 v144, v28
	v_min_u32_e32 v144, 32, v144
	s_delay_alu instid0(VALU_DEP_1) | instskip(SKIP_1) | instid1(VALU_DEP_2)
	v_subrev_nc_u32_e32 v145, 28, v144
	v_sub_nc_u32_e32 v144, 29, v144
	v_lshlrev_b64 v[145:146], v145, v[28:29]
	s_delay_alu instid0(VALU_DEP_1)
	v_and_b32_e32 v28, 7, v145
; %bb.141:                              ;   in Loop: Header=BB401_13 Depth=1
	s_or_b32 exec_lo, exec_lo, s23
	v_lshlrev_b32_e32 v134, 24, v134
	s_delay_alu instid0(VALU_DEP_2) | instskip(SKIP_1) | instid1(VALU_DEP_3)
	v_lshlrev_b32_e32 v28, 20, v28
	v_lshl_add_u32 v144, v144, 23, 0x3c000000
	v_and_b32_e32 v134, 0x80000000, v134
	s_delay_alu instid0(VALU_DEP_1)
	v_or3_b32 v28, v28, v134, v144
.LBB401_142:                            ;   in Loop: Header=BB401_13 Depth=1
	s_or_b32 exec_lo, exec_lo, s22
.LBB401_143:                            ;   in Loop: Header=BB401_13 Depth=1
	s_delay_alu instid0(SALU_CYCLE_1)
	s_or_b32 exec_lo, exec_lo, s21
.LBB401_144:                            ;   in Loop: Header=BB401_13 Depth=1
	s_delay_alu instid0(SALU_CYCLE_1) | instskip(NEXT) | instid1(VALU_DEP_1)
	s_or_b32 exec_lo, exec_lo, s20
	v_mul_f32_e32 v28, v115, v28
	s_delay_alu instid0(VALU_DEP_1) | instskip(NEXT) | instid1(VALU_DEP_1)
	v_and_b32_e32 v134, 0x7f800000, v28
	v_cmp_ne_u32_e64 s2, 0x7f800000, v134
                                        ; implicit-def: $vgpr134
	s_delay_alu instid0(VALU_DEP_1) | instskip(NEXT) | instid1(SALU_CYCLE_1)
	s_and_saveexec_b32 s20, s2
	s_xor_b32 s2, exec_lo, s20
; %bb.145:                              ;   in Loop: Header=BB401_13 Depth=1
	v_bfe_u32 v134, v28, 16, 1
	s_delay_alu instid0(VALU_DEP_1)
	v_add3_u32 v134, v28, v134, 0x7fff
                                        ; implicit-def: $vgpr28
; %bb.146:                              ;   in Loop: Header=BB401_13 Depth=1
	s_and_not1_saveexec_b32 s20, s2
; %bb.147:                              ;   in Loop: Header=BB401_13 Depth=1
	v_and_b32_e32 v134, 0xffff, v28
	v_or_b32_e32 v144, 0x10000, v28
	s_delay_alu instid0(VALU_DEP_2) | instskip(NEXT) | instid1(VALU_DEP_1)
	v_cmp_eq_u32_e64 s2, 0, v134
	v_cndmask_b32_e64 v134, v144, v28, s2
; %bb.148:                              ;   in Loop: Header=BB401_13 Depth=1
	s_or_b32 exec_lo, exec_lo, s20
	v_mov_b32_e32 v28, 0
	s_mov_b32 s20, exec_lo
	v_cmpx_lt_u32_e32 0xffffff, v135
	s_cbranch_execz .LBB401_156
; %bb.149:                              ;   in Loop: Header=BB401_13 Depth=1
	v_lshrrev_b32_e32 v144, 24, v135
	v_bfrev_b32_e32 v28, 1
	s_mov_b32 s21, exec_lo
	s_delay_alu instid0(VALU_DEP_2)
	v_cmpx_ne_u32_e32 0x80, v144
	s_cbranch_execz .LBB401_155
; %bb.150:                              ;   in Loop: Header=BB401_13 Depth=1
	v_bfe_u32 v145, v135, 24, 7
	v_mov_b32_e32 v28, 0x7f800001
	s_mov_b32 s22, exec_lo
	s_delay_alu instid0(VALU_DEP_2)
	v_cmpx_ne_u32_e32 0x7f, v145
	s_cbranch_execz .LBB401_154
; %bb.151:                              ;   in Loop: Header=BB401_13 Depth=1
	v_and_b32_e32 v28, 7, v144
	v_lshrrev_b32_e32 v135, 3, v145
	s_mov_b32 s23, exec_lo
	v_cmpx_gt_u32_e32 8, v145
; %bb.152:                              ;   in Loop: Header=BB401_13 Depth=1
	s_delay_alu instid0(VALU_DEP_3) | instskip(NEXT) | instid1(VALU_DEP_1)
	v_clz_i32_u32_e32 v135, v28
	v_min_u32_e32 v135, 32, v135
	s_delay_alu instid0(VALU_DEP_1) | instskip(SKIP_1) | instid1(VALU_DEP_2)
	v_subrev_nc_u32_e32 v145, 28, v135
	v_sub_nc_u32_e32 v135, 29, v135
	v_lshlrev_b64 v[145:146], v145, v[28:29]
	s_delay_alu instid0(VALU_DEP_1)
	v_and_b32_e32 v28, 7, v145
; %bb.153:                              ;   in Loop: Header=BB401_13 Depth=1
	s_or_b32 exec_lo, exec_lo, s23
	v_lshlrev_b32_e32 v144, 24, v144
	s_delay_alu instid0(VALU_DEP_2) | instskip(SKIP_1) | instid1(VALU_DEP_3)
	v_lshlrev_b32_e32 v28, 20, v28
	v_lshl_add_u32 v135, v135, 23, 0x3c000000
	v_and_b32_e32 v144, 0x80000000, v144
	s_delay_alu instid0(VALU_DEP_1)
	v_or3_b32 v28, v28, v144, v135
.LBB401_154:                            ;   in Loop: Header=BB401_13 Depth=1
	s_or_b32 exec_lo, exec_lo, s22
.LBB401_155:                            ;   in Loop: Header=BB401_13 Depth=1
	s_delay_alu instid0(SALU_CYCLE_1)
	s_or_b32 exec_lo, exec_lo, s21
.LBB401_156:                            ;   in Loop: Header=BB401_13 Depth=1
	s_delay_alu instid0(SALU_CYCLE_1) | instskip(NEXT) | instid1(VALU_DEP_1)
	s_or_b32 exec_lo, exec_lo, s20
	v_mul_f32_e32 v28, v115, v28
	s_delay_alu instid0(VALU_DEP_1) | instskip(NEXT) | instid1(VALU_DEP_1)
	v_and_b32_e32 v135, 0x7f800000, v28
	v_cmp_ne_u32_e64 s2, 0x7f800000, v135
                                        ; implicit-def: $vgpr135
	s_delay_alu instid0(VALU_DEP_1) | instskip(NEXT) | instid1(SALU_CYCLE_1)
	s_and_saveexec_b32 s20, s2
	s_xor_b32 s2, exec_lo, s20
; %bb.157:                              ;   in Loop: Header=BB401_13 Depth=1
	v_bfe_u32 v135, v28, 16, 1
	s_delay_alu instid0(VALU_DEP_1)
	v_add3_u32 v135, v28, v135, 0x7fff
                                        ; implicit-def: $vgpr28
; %bb.158:                              ;   in Loop: Header=BB401_13 Depth=1
	s_and_not1_saveexec_b32 s20, s2
; %bb.159:                              ;   in Loop: Header=BB401_13 Depth=1
	v_and_b32_e32 v135, 0xffff, v28
	v_or_b32_e32 v144, 0x10000, v28
	s_delay_alu instid0(VALU_DEP_2) | instskip(NEXT) | instid1(VALU_DEP_1)
	v_cmp_eq_u32_e64 s2, 0, v135
	v_cndmask_b32_e64 v135, v144, v28, s2
; %bb.160:                              ;   in Loop: Header=BB401_13 Depth=1
	s_or_b32 exec_lo, exec_lo, s20
	flat_load_b32 v147, v[64:65] offset:264
	v_mov_b32_e32 v28, 0
	s_mov_b32 s20, exec_lo
	s_waitcnt vmcnt(0) lgkmcnt(0)
	v_and_b32_e32 v144, 0xff, v147
	s_delay_alu instid0(VALU_DEP_1)
	v_cmpx_ne_u16_e64 0, v144
	s_cbranch_execz .LBB401_168
; %bb.161:                              ;   in Loop: Header=BB401_13 Depth=1
	v_bfrev_b32_e32 v28, 1
	s_mov_b32 s21, exec_lo
	v_cmpx_ne_u16_e64 0x80, v144
	s_cbranch_execz .LBB401_167
; %bb.162:                              ;   in Loop: Header=BB401_13 Depth=1
	v_and_b32_e32 v145, 0x7f, v147
	v_mov_b32_e32 v28, 0x7f800001
	s_mov_b32 s22, exec_lo
	s_delay_alu instid0(VALU_DEP_2)
	v_cmpx_ne_u32_e32 0x7f, v145
	s_cbranch_execz .LBB401_166
; %bb.163:                              ;   in Loop: Header=BB401_13 Depth=1
	v_and_b32_e32 v28, 7, v147
	v_lshrrev_b32_e32 v144, 3, v145
	s_mov_b32 s23, exec_lo
	v_cmpx_gt_u32_e32 8, v145
; %bb.164:                              ;   in Loop: Header=BB401_13 Depth=1
	s_delay_alu instid0(VALU_DEP_3) | instskip(NEXT) | instid1(VALU_DEP_1)
	v_clz_i32_u32_e32 v144, v28
	v_min_u32_e32 v144, 32, v144
	s_delay_alu instid0(VALU_DEP_1) | instskip(SKIP_1) | instid1(VALU_DEP_2)
	v_subrev_nc_u32_e32 v145, 28, v144
	v_sub_nc_u32_e32 v144, 29, v144
	v_lshlrev_b64 v[145:146], v145, v[28:29]
	s_delay_alu instid0(VALU_DEP_1)
	v_and_b32_e32 v28, 7, v145
; %bb.165:                              ;   in Loop: Header=BB401_13 Depth=1
	s_or_b32 exec_lo, exec_lo, s23
	v_lshlrev_b32_e32 v145, 24, v147
	s_delay_alu instid0(VALU_DEP_2) | instskip(SKIP_1) | instid1(VALU_DEP_3)
	v_lshlrev_b32_e32 v28, 20, v28
	v_lshl_add_u32 v144, v144, 23, 0x3c000000
	v_and_b32_e32 v145, 0x80000000, v145
	s_delay_alu instid0(VALU_DEP_1)
	v_or3_b32 v28, v28, v145, v144
.LBB401_166:                            ;   in Loop: Header=BB401_13 Depth=1
	s_or_b32 exec_lo, exec_lo, s22
.LBB401_167:                            ;   in Loop: Header=BB401_13 Depth=1
	s_delay_alu instid0(SALU_CYCLE_1)
	s_or_b32 exec_lo, exec_lo, s21
.LBB401_168:                            ;   in Loop: Header=BB401_13 Depth=1
	s_delay_alu instid0(SALU_CYCLE_1) | instskip(NEXT) | instid1(VALU_DEP_1)
	s_or_b32 exec_lo, exec_lo, s20
	v_mul_f32_e32 v28, v115, v28
	s_delay_alu instid0(VALU_DEP_1) | instskip(NEXT) | instid1(VALU_DEP_1)
	v_and_b32_e32 v144, 0x7f800000, v28
	v_cmp_ne_u32_e64 s2, 0x7f800000, v144
                                        ; implicit-def: $vgpr144
	s_delay_alu instid0(VALU_DEP_1) | instskip(NEXT) | instid1(SALU_CYCLE_1)
	s_and_saveexec_b32 s20, s2
	s_xor_b32 s2, exec_lo, s20
; %bb.169:                              ;   in Loop: Header=BB401_13 Depth=1
	v_bfe_u32 v144, v28, 16, 1
	s_delay_alu instid0(VALU_DEP_1)
	v_add3_u32 v144, v28, v144, 0x7fff
                                        ; implicit-def: $vgpr28
; %bb.170:                              ;   in Loop: Header=BB401_13 Depth=1
	s_and_not1_saveexec_b32 s20, s2
; %bb.171:                              ;   in Loop: Header=BB401_13 Depth=1
	v_and_b32_e32 v144, 0xffff, v28
	v_or_b32_e32 v145, 0x10000, v28
	s_delay_alu instid0(VALU_DEP_2) | instskip(NEXT) | instid1(VALU_DEP_1)
	v_cmp_eq_u32_e64 s2, 0, v144
	v_cndmask_b32_e64 v144, v145, v28, s2
; %bb.172:                              ;   in Loop: Header=BB401_13 Depth=1
	s_or_b32 exec_lo, exec_lo, s20
	v_lshrrev_b16 v145, 8, v147
	v_mov_b32_e32 v28, 0
	s_mov_b32 s20, exec_lo
	s_delay_alu instid0(VALU_DEP_2)
	v_cmpx_ne_u16_e64 0, v145
	s_cbranch_execz .LBB401_180
; %bb.173:                              ;   in Loop: Header=BB401_13 Depth=1
	v_bfrev_b32_e32 v28, 1
	s_mov_b32 s21, exec_lo
	v_cmpx_ne_u16_e64 0x80, v145
	s_cbranch_execz .LBB401_179
; %bb.174:                              ;   in Loop: Header=BB401_13 Depth=1
	v_and_b32_e32 v145, 0xffff, v145
	v_mov_b32_e32 v28, 0x7f800001
	s_mov_b32 s22, exec_lo
	s_delay_alu instid0(VALU_DEP_2) | instskip(NEXT) | instid1(VALU_DEP_1)
	v_and_b32_e32 v146, 0x7f, v145
	v_cmpx_ne_u32_e32 0x7f, v146
	s_cbranch_execz .LBB401_178
; %bb.175:                              ;   in Loop: Header=BB401_13 Depth=1
	v_and_b32_e32 v28, 7, v145
	v_lshrrev_b32_e32 v145, 3, v146
	s_mov_b32 s23, exec_lo
	v_cmpx_gt_u32_e32 8, v146
; %bb.176:                              ;   in Loop: Header=BB401_13 Depth=1
	s_delay_alu instid0(VALU_DEP_3) | instskip(NEXT) | instid1(VALU_DEP_1)
	v_clz_i32_u32_e32 v145, v28
	v_min_u32_e32 v145, 32, v145
	s_delay_alu instid0(VALU_DEP_1) | instskip(SKIP_1) | instid1(VALU_DEP_2)
	v_subrev_nc_u32_e32 v146, 28, v145
	v_sub_nc_u32_e32 v145, 29, v145
	v_lshlrev_b64 v[148:149], v146, v[28:29]
	s_delay_alu instid0(VALU_DEP_1)
	v_and_b32_e32 v28, 7, v148
; %bb.177:                              ;   in Loop: Header=BB401_13 Depth=1
	s_or_b32 exec_lo, exec_lo, s23
	v_lshlrev_b32_e32 v146, 16, v147
	s_delay_alu instid0(VALU_DEP_2) | instskip(SKIP_1) | instid1(VALU_DEP_3)
	v_lshlrev_b32_e32 v28, 20, v28
	v_lshl_add_u32 v145, v145, 23, 0x3c000000
	v_and_b32_e32 v146, 0x80000000, v146
	s_delay_alu instid0(VALU_DEP_1)
	v_or3_b32 v28, v28, v146, v145
.LBB401_178:                            ;   in Loop: Header=BB401_13 Depth=1
	s_or_b32 exec_lo, exec_lo, s22
.LBB401_179:                            ;   in Loop: Header=BB401_13 Depth=1
	s_delay_alu instid0(SALU_CYCLE_1)
	s_or_b32 exec_lo, exec_lo, s21
.LBB401_180:                            ;   in Loop: Header=BB401_13 Depth=1
	s_delay_alu instid0(SALU_CYCLE_1) | instskip(NEXT) | instid1(VALU_DEP_1)
	s_or_b32 exec_lo, exec_lo, s20
	v_mul_f32_e32 v28, v115, v28
	s_delay_alu instid0(VALU_DEP_1) | instskip(NEXT) | instid1(VALU_DEP_1)
	v_and_b32_e32 v145, 0x7f800000, v28
	v_cmp_ne_u32_e64 s2, 0x7f800000, v145
                                        ; implicit-def: $vgpr145
	s_delay_alu instid0(VALU_DEP_1) | instskip(NEXT) | instid1(SALU_CYCLE_1)
	s_and_saveexec_b32 s20, s2
	s_xor_b32 s2, exec_lo, s20
; %bb.181:                              ;   in Loop: Header=BB401_13 Depth=1
	v_bfe_u32 v145, v28, 16, 1
	s_delay_alu instid0(VALU_DEP_1)
	v_add3_u32 v145, v28, v145, 0x7fff
                                        ; implicit-def: $vgpr28
; %bb.182:                              ;   in Loop: Header=BB401_13 Depth=1
	s_and_not1_saveexec_b32 s20, s2
; %bb.183:                              ;   in Loop: Header=BB401_13 Depth=1
	v_and_b32_e32 v145, 0xffff, v28
	v_or_b32_e32 v146, 0x10000, v28
	s_delay_alu instid0(VALU_DEP_2) | instskip(NEXT) | instid1(VALU_DEP_1)
	v_cmp_eq_u32_e64 s2, 0, v145
	v_cndmask_b32_e64 v145, v146, v28, s2
; %bb.184:                              ;   in Loop: Header=BB401_13 Depth=1
	s_or_b32 exec_lo, exec_lo, s20
	v_lshrrev_b32_e32 v146, 16, v147
	v_mov_b32_e32 v28, 0
	s_mov_b32 s20, exec_lo
	s_delay_alu instid0(VALU_DEP_2) | instskip(NEXT) | instid1(VALU_DEP_1)
	v_and_b32_e32 v148, 0xff, v146
	v_cmpx_ne_u16_e64 0, v148
	s_cbranch_execz .LBB401_192
; %bb.185:                              ;   in Loop: Header=BB401_13 Depth=1
	v_bfrev_b32_e32 v28, 1
	s_mov_b32 s21, exec_lo
	v_cmpx_ne_u16_e64 0x80, v148
	s_cbranch_execz .LBB401_191
; %bb.186:                              ;   in Loop: Header=BB401_13 Depth=1
	v_bfe_u32 v149, v147, 16, 7
	v_mov_b32_e32 v28, 0x7f800001
	s_mov_b32 s22, exec_lo
	s_delay_alu instid0(VALU_DEP_2)
	v_cmpx_ne_u32_e32 0x7f, v149
	s_cbranch_execz .LBB401_190
; %bb.187:                              ;   in Loop: Header=BB401_13 Depth=1
	v_and_b32_e32 v28, 7, v146
	v_lshrrev_b32_e32 v148, 3, v149
	s_mov_b32 s23, exec_lo
	v_cmpx_gt_u32_e32 8, v149
; %bb.188:                              ;   in Loop: Header=BB401_13 Depth=1
	s_delay_alu instid0(VALU_DEP_3) | instskip(NEXT) | instid1(VALU_DEP_1)
	v_clz_i32_u32_e32 v148, v28
	v_min_u32_e32 v148, 32, v148
	s_delay_alu instid0(VALU_DEP_1) | instskip(SKIP_1) | instid1(VALU_DEP_2)
	v_subrev_nc_u32_e32 v149, 28, v148
	v_sub_nc_u32_e32 v148, 29, v148
	v_lshlrev_b64 v[149:150], v149, v[28:29]
	s_delay_alu instid0(VALU_DEP_1)
	v_and_b32_e32 v28, 7, v149
; %bb.189:                              ;   in Loop: Header=BB401_13 Depth=1
	s_or_b32 exec_lo, exec_lo, s23
	v_lshlrev_b32_e32 v146, 24, v146
	s_delay_alu instid0(VALU_DEP_2) | instskip(SKIP_1) | instid1(VALU_DEP_3)
	v_lshlrev_b32_e32 v28, 20, v28
	v_lshl_add_u32 v148, v148, 23, 0x3c000000
	v_and_b32_e32 v146, 0x80000000, v146
	s_delay_alu instid0(VALU_DEP_1)
	v_or3_b32 v28, v28, v146, v148
.LBB401_190:                            ;   in Loop: Header=BB401_13 Depth=1
	s_or_b32 exec_lo, exec_lo, s22
.LBB401_191:                            ;   in Loop: Header=BB401_13 Depth=1
	s_delay_alu instid0(SALU_CYCLE_1)
	s_or_b32 exec_lo, exec_lo, s21
.LBB401_192:                            ;   in Loop: Header=BB401_13 Depth=1
	s_delay_alu instid0(SALU_CYCLE_1) | instskip(NEXT) | instid1(VALU_DEP_1)
	s_or_b32 exec_lo, exec_lo, s20
	v_mul_f32_e32 v28, v115, v28
	s_delay_alu instid0(VALU_DEP_1) | instskip(NEXT) | instid1(VALU_DEP_1)
	v_and_b32_e32 v146, 0x7f800000, v28
	v_cmp_ne_u32_e64 s2, 0x7f800000, v146
                                        ; implicit-def: $vgpr146
	s_delay_alu instid0(VALU_DEP_1) | instskip(NEXT) | instid1(SALU_CYCLE_1)
	s_and_saveexec_b32 s20, s2
	s_xor_b32 s2, exec_lo, s20
; %bb.193:                              ;   in Loop: Header=BB401_13 Depth=1
	v_bfe_u32 v146, v28, 16, 1
	s_delay_alu instid0(VALU_DEP_1)
	v_add3_u32 v146, v28, v146, 0x7fff
                                        ; implicit-def: $vgpr28
; %bb.194:                              ;   in Loop: Header=BB401_13 Depth=1
	s_and_not1_saveexec_b32 s20, s2
; %bb.195:                              ;   in Loop: Header=BB401_13 Depth=1
	v_and_b32_e32 v146, 0xffff, v28
	v_or_b32_e32 v148, 0x10000, v28
	s_delay_alu instid0(VALU_DEP_2) | instskip(NEXT) | instid1(VALU_DEP_1)
	v_cmp_eq_u32_e64 s2, 0, v146
	v_cndmask_b32_e64 v146, v148, v28, s2
; %bb.196:                              ;   in Loop: Header=BB401_13 Depth=1
	s_or_b32 exec_lo, exec_lo, s20
	v_mov_b32_e32 v28, 0
	s_mov_b32 s20, exec_lo
	v_cmpx_lt_u32_e32 0xffffff, v147
	s_cbranch_execz .LBB401_204
; %bb.197:                              ;   in Loop: Header=BB401_13 Depth=1
	v_lshrrev_b32_e32 v148, 24, v147
	v_bfrev_b32_e32 v28, 1
	s_mov_b32 s21, exec_lo
	s_delay_alu instid0(VALU_DEP_2)
	v_cmpx_ne_u32_e32 0x80, v148
	s_cbranch_execz .LBB401_203
; %bb.198:                              ;   in Loop: Header=BB401_13 Depth=1
	v_bfe_u32 v149, v147, 24, 7
	v_mov_b32_e32 v28, 0x7f800001
	s_mov_b32 s22, exec_lo
	s_delay_alu instid0(VALU_DEP_2)
	v_cmpx_ne_u32_e32 0x7f, v149
	s_cbranch_execz .LBB401_202
; %bb.199:                              ;   in Loop: Header=BB401_13 Depth=1
	v_and_b32_e32 v28, 7, v148
	v_lshrrev_b32_e32 v147, 3, v149
	s_mov_b32 s23, exec_lo
	v_cmpx_gt_u32_e32 8, v149
; %bb.200:                              ;   in Loop: Header=BB401_13 Depth=1
	s_delay_alu instid0(VALU_DEP_3) | instskip(NEXT) | instid1(VALU_DEP_1)
	v_clz_i32_u32_e32 v147, v28
	v_min_u32_e32 v147, 32, v147
	s_delay_alu instid0(VALU_DEP_1) | instskip(SKIP_1) | instid1(VALU_DEP_2)
	v_subrev_nc_u32_e32 v149, 28, v147
	v_sub_nc_u32_e32 v147, 29, v147
	v_lshlrev_b64 v[149:150], v149, v[28:29]
	s_delay_alu instid0(VALU_DEP_1)
	v_and_b32_e32 v28, 7, v149
; %bb.201:                              ;   in Loop: Header=BB401_13 Depth=1
	s_or_b32 exec_lo, exec_lo, s23
	v_lshlrev_b32_e32 v148, 24, v148
	s_delay_alu instid0(VALU_DEP_2) | instskip(SKIP_1) | instid1(VALU_DEP_3)
	v_lshlrev_b32_e32 v28, 20, v28
	v_lshl_add_u32 v147, v147, 23, 0x3c000000
	v_and_b32_e32 v148, 0x80000000, v148
	s_delay_alu instid0(VALU_DEP_1)
	v_or3_b32 v28, v28, v148, v147
.LBB401_202:                            ;   in Loop: Header=BB401_13 Depth=1
	s_or_b32 exec_lo, exec_lo, s22
.LBB401_203:                            ;   in Loop: Header=BB401_13 Depth=1
	s_delay_alu instid0(SALU_CYCLE_1)
	s_or_b32 exec_lo, exec_lo, s21
.LBB401_204:                            ;   in Loop: Header=BB401_13 Depth=1
	s_delay_alu instid0(SALU_CYCLE_1) | instskip(NEXT) | instid1(VALU_DEP_1)
	s_or_b32 exec_lo, exec_lo, s20
	v_mul_f32_e32 v28, v115, v28
	s_delay_alu instid0(VALU_DEP_1) | instskip(NEXT) | instid1(VALU_DEP_1)
	v_and_b32_e32 v147, 0x7f800000, v28
	v_cmp_ne_u32_e64 s2, 0x7f800000, v147
                                        ; implicit-def: $vgpr147
	s_delay_alu instid0(VALU_DEP_1) | instskip(NEXT) | instid1(SALU_CYCLE_1)
	s_and_saveexec_b32 s20, s2
	s_xor_b32 s2, exec_lo, s20
; %bb.205:                              ;   in Loop: Header=BB401_13 Depth=1
	v_bfe_u32 v147, v28, 16, 1
	s_delay_alu instid0(VALU_DEP_1)
	v_add3_u32 v147, v28, v147, 0x7fff
                                        ; implicit-def: $vgpr28
; %bb.206:                              ;   in Loop: Header=BB401_13 Depth=1
	s_and_not1_saveexec_b32 s20, s2
; %bb.207:                              ;   in Loop: Header=BB401_13 Depth=1
	v_and_b32_e32 v147, 0xffff, v28
	v_or_b32_e32 v148, 0x10000, v28
	s_delay_alu instid0(VALU_DEP_2) | instskip(NEXT) | instid1(VALU_DEP_1)
	v_cmp_eq_u32_e64 s2, 0, v147
	v_cndmask_b32_e64 v147, v148, v28, s2
; %bb.208:                              ;   in Loop: Header=BB401_13 Depth=1
	s_or_b32 exec_lo, exec_lo, s20
	flat_load_b32 v151, v[64:65] offset:512
	v_mov_b32_e32 v28, 0
	s_mov_b32 s20, exec_lo
	s_waitcnt vmcnt(0) lgkmcnt(0)
	v_and_b32_e32 v148, 0xff, v151
	s_delay_alu instid0(VALU_DEP_1)
	v_cmpx_ne_u16_e64 0, v148
	s_cbranch_execz .LBB401_216
; %bb.209:                              ;   in Loop: Header=BB401_13 Depth=1
	v_bfrev_b32_e32 v28, 1
	s_mov_b32 s21, exec_lo
	v_cmpx_ne_u16_e64 0x80, v148
	s_cbranch_execz .LBB401_215
; %bb.210:                              ;   in Loop: Header=BB401_13 Depth=1
	v_and_b32_e32 v149, 0x7f, v151
	v_mov_b32_e32 v28, 0x7f800001
	s_mov_b32 s22, exec_lo
	s_delay_alu instid0(VALU_DEP_2)
	v_cmpx_ne_u32_e32 0x7f, v149
	s_cbranch_execz .LBB401_214
; %bb.211:                              ;   in Loop: Header=BB401_13 Depth=1
	v_and_b32_e32 v28, 7, v151
	v_lshrrev_b32_e32 v148, 3, v149
	s_mov_b32 s23, exec_lo
	v_cmpx_gt_u32_e32 8, v149
; %bb.212:                              ;   in Loop: Header=BB401_13 Depth=1
	s_delay_alu instid0(VALU_DEP_3) | instskip(NEXT) | instid1(VALU_DEP_1)
	v_clz_i32_u32_e32 v148, v28
	v_min_u32_e32 v148, 32, v148
	s_delay_alu instid0(VALU_DEP_1) | instskip(SKIP_1) | instid1(VALU_DEP_2)
	v_subrev_nc_u32_e32 v149, 28, v148
	v_sub_nc_u32_e32 v148, 29, v148
	v_lshlrev_b64 v[149:150], v149, v[28:29]
	s_delay_alu instid0(VALU_DEP_1)
	v_and_b32_e32 v28, 7, v149
; %bb.213:                              ;   in Loop: Header=BB401_13 Depth=1
	s_or_b32 exec_lo, exec_lo, s23
	v_lshlrev_b32_e32 v149, 24, v151
	s_delay_alu instid0(VALU_DEP_2) | instskip(SKIP_1) | instid1(VALU_DEP_3)
	v_lshlrev_b32_e32 v28, 20, v28
	v_lshl_add_u32 v148, v148, 23, 0x3c000000
	v_and_b32_e32 v149, 0x80000000, v149
	s_delay_alu instid0(VALU_DEP_1)
	v_or3_b32 v28, v28, v149, v148
.LBB401_214:                            ;   in Loop: Header=BB401_13 Depth=1
	s_or_b32 exec_lo, exec_lo, s22
.LBB401_215:                            ;   in Loop: Header=BB401_13 Depth=1
	s_delay_alu instid0(SALU_CYCLE_1)
	s_or_b32 exec_lo, exec_lo, s21
.LBB401_216:                            ;   in Loop: Header=BB401_13 Depth=1
	s_delay_alu instid0(SALU_CYCLE_1) | instskip(NEXT) | instid1(VALU_DEP_1)
	s_or_b32 exec_lo, exec_lo, s20
	v_mul_f32_e32 v28, v115, v28
	s_delay_alu instid0(VALU_DEP_1) | instskip(NEXT) | instid1(VALU_DEP_1)
	v_and_b32_e32 v148, 0x7f800000, v28
	v_cmp_ne_u32_e64 s2, 0x7f800000, v148
                                        ; implicit-def: $vgpr148
	s_delay_alu instid0(VALU_DEP_1) | instskip(NEXT) | instid1(SALU_CYCLE_1)
	s_and_saveexec_b32 s20, s2
	s_xor_b32 s2, exec_lo, s20
; %bb.217:                              ;   in Loop: Header=BB401_13 Depth=1
	v_bfe_u32 v148, v28, 16, 1
	s_delay_alu instid0(VALU_DEP_1)
	v_add3_u32 v148, v28, v148, 0x7fff
                                        ; implicit-def: $vgpr28
; %bb.218:                              ;   in Loop: Header=BB401_13 Depth=1
	s_and_not1_saveexec_b32 s20, s2
; %bb.219:                              ;   in Loop: Header=BB401_13 Depth=1
	v_and_b32_e32 v148, 0xffff, v28
	v_or_b32_e32 v149, 0x10000, v28
	s_delay_alu instid0(VALU_DEP_2) | instskip(NEXT) | instid1(VALU_DEP_1)
	v_cmp_eq_u32_e64 s2, 0, v148
	v_cndmask_b32_e64 v148, v149, v28, s2
; %bb.220:                              ;   in Loop: Header=BB401_13 Depth=1
	s_or_b32 exec_lo, exec_lo, s20
	v_lshrrev_b16 v149, 8, v151
	v_mov_b32_e32 v28, 0
	s_mov_b32 s20, exec_lo
	s_delay_alu instid0(VALU_DEP_2)
	v_cmpx_ne_u16_e64 0, v149
	s_cbranch_execz .LBB401_228
; %bb.221:                              ;   in Loop: Header=BB401_13 Depth=1
	v_bfrev_b32_e32 v28, 1
	s_mov_b32 s21, exec_lo
	v_cmpx_ne_u16_e64 0x80, v149
	s_cbranch_execz .LBB401_227
; %bb.222:                              ;   in Loop: Header=BB401_13 Depth=1
	v_and_b32_e32 v149, 0xffff, v149
	v_mov_b32_e32 v28, 0x7f800001
	s_mov_b32 s22, exec_lo
	s_delay_alu instid0(VALU_DEP_2) | instskip(NEXT) | instid1(VALU_DEP_1)
	v_and_b32_e32 v150, 0x7f, v149
	v_cmpx_ne_u32_e32 0x7f, v150
	s_cbranch_execz .LBB401_226
; %bb.223:                              ;   in Loop: Header=BB401_13 Depth=1
	v_and_b32_e32 v28, 7, v149
	v_lshrrev_b32_e32 v149, 3, v150
	s_mov_b32 s23, exec_lo
	v_cmpx_gt_u32_e32 8, v150
; %bb.224:                              ;   in Loop: Header=BB401_13 Depth=1
	s_delay_alu instid0(VALU_DEP_3) | instskip(NEXT) | instid1(VALU_DEP_1)
	v_clz_i32_u32_e32 v149, v28
	v_min_u32_e32 v149, 32, v149
	s_delay_alu instid0(VALU_DEP_1) | instskip(SKIP_1) | instid1(VALU_DEP_2)
	v_subrev_nc_u32_e32 v150, 28, v149
	v_sub_nc_u32_e32 v149, 29, v149
	v_lshlrev_b64 v[160:161], v150, v[28:29]
	s_delay_alu instid0(VALU_DEP_1)
	v_and_b32_e32 v28, 7, v160
; %bb.225:                              ;   in Loop: Header=BB401_13 Depth=1
	s_or_b32 exec_lo, exec_lo, s23
	v_lshlrev_b32_e32 v150, 16, v151
	s_delay_alu instid0(VALU_DEP_2) | instskip(SKIP_1) | instid1(VALU_DEP_3)
	v_lshlrev_b32_e32 v28, 20, v28
	v_lshl_add_u32 v149, v149, 23, 0x3c000000
	v_and_b32_e32 v150, 0x80000000, v150
	s_delay_alu instid0(VALU_DEP_1)
	v_or3_b32 v28, v28, v150, v149
.LBB401_226:                            ;   in Loop: Header=BB401_13 Depth=1
	s_or_b32 exec_lo, exec_lo, s22
.LBB401_227:                            ;   in Loop: Header=BB401_13 Depth=1
	s_delay_alu instid0(SALU_CYCLE_1)
	s_or_b32 exec_lo, exec_lo, s21
.LBB401_228:                            ;   in Loop: Header=BB401_13 Depth=1
	s_delay_alu instid0(SALU_CYCLE_1) | instskip(NEXT) | instid1(VALU_DEP_1)
	s_or_b32 exec_lo, exec_lo, s20
	v_mul_f32_e32 v28, v115, v28
	s_delay_alu instid0(VALU_DEP_1) | instskip(NEXT) | instid1(VALU_DEP_1)
	v_and_b32_e32 v149, 0x7f800000, v28
	v_cmp_ne_u32_e64 s2, 0x7f800000, v149
                                        ; implicit-def: $vgpr149
	s_delay_alu instid0(VALU_DEP_1) | instskip(NEXT) | instid1(SALU_CYCLE_1)
	s_and_saveexec_b32 s20, s2
	s_xor_b32 s2, exec_lo, s20
; %bb.229:                              ;   in Loop: Header=BB401_13 Depth=1
	v_bfe_u32 v149, v28, 16, 1
	s_delay_alu instid0(VALU_DEP_1)
	v_add3_u32 v149, v28, v149, 0x7fff
                                        ; implicit-def: $vgpr28
; %bb.230:                              ;   in Loop: Header=BB401_13 Depth=1
	s_and_not1_saveexec_b32 s20, s2
; %bb.231:                              ;   in Loop: Header=BB401_13 Depth=1
	v_and_b32_e32 v149, 0xffff, v28
	v_or_b32_e32 v150, 0x10000, v28
	s_delay_alu instid0(VALU_DEP_2) | instskip(NEXT) | instid1(VALU_DEP_1)
	v_cmp_eq_u32_e64 s2, 0, v149
	v_cndmask_b32_e64 v149, v150, v28, s2
; %bb.232:                              ;   in Loop: Header=BB401_13 Depth=1
	s_or_b32 exec_lo, exec_lo, s20
	v_lshrrev_b32_e32 v150, 16, v151
	v_mov_b32_e32 v28, 0
	s_mov_b32 s20, exec_lo
	s_delay_alu instid0(VALU_DEP_2) | instskip(NEXT) | instid1(VALU_DEP_1)
	v_and_b32_e32 v160, 0xff, v150
	v_cmpx_ne_u16_e64 0, v160
	s_cbranch_execz .LBB401_240
; %bb.233:                              ;   in Loop: Header=BB401_13 Depth=1
	v_bfrev_b32_e32 v28, 1
	s_mov_b32 s21, exec_lo
	v_cmpx_ne_u16_e64 0x80, v160
	s_cbranch_execz .LBB401_239
; %bb.234:                              ;   in Loop: Header=BB401_13 Depth=1
	v_bfe_u32 v161, v151, 16, 7
	v_mov_b32_e32 v28, 0x7f800001
	s_mov_b32 s22, exec_lo
	s_delay_alu instid0(VALU_DEP_2)
	v_cmpx_ne_u32_e32 0x7f, v161
	s_cbranch_execz .LBB401_238
; %bb.235:                              ;   in Loop: Header=BB401_13 Depth=1
	v_and_b32_e32 v28, 7, v150
	v_lshrrev_b32_e32 v160, 3, v161
	s_mov_b32 s23, exec_lo
	v_cmpx_gt_u32_e32 8, v161
; %bb.236:                              ;   in Loop: Header=BB401_13 Depth=1
	s_delay_alu instid0(VALU_DEP_3) | instskip(NEXT) | instid1(VALU_DEP_1)
	v_clz_i32_u32_e32 v160, v28
	v_min_u32_e32 v160, 32, v160
	s_delay_alu instid0(VALU_DEP_1) | instskip(SKIP_1) | instid1(VALU_DEP_2)
	v_subrev_nc_u32_e32 v161, 28, v160
	v_sub_nc_u32_e32 v160, 29, v160
	v_lshlrev_b64 v[161:162], v161, v[28:29]
	s_delay_alu instid0(VALU_DEP_1)
	v_and_b32_e32 v28, 7, v161
; %bb.237:                              ;   in Loop: Header=BB401_13 Depth=1
	s_or_b32 exec_lo, exec_lo, s23
	v_lshlrev_b32_e32 v150, 24, v150
	s_delay_alu instid0(VALU_DEP_2) | instskip(SKIP_1) | instid1(VALU_DEP_3)
	v_lshlrev_b32_e32 v28, 20, v28
	v_lshl_add_u32 v160, v160, 23, 0x3c000000
	v_and_b32_e32 v150, 0x80000000, v150
	s_delay_alu instid0(VALU_DEP_1)
	v_or3_b32 v28, v28, v150, v160
.LBB401_238:                            ;   in Loop: Header=BB401_13 Depth=1
	s_or_b32 exec_lo, exec_lo, s22
.LBB401_239:                            ;   in Loop: Header=BB401_13 Depth=1
	s_delay_alu instid0(SALU_CYCLE_1)
	s_or_b32 exec_lo, exec_lo, s21
.LBB401_240:                            ;   in Loop: Header=BB401_13 Depth=1
	s_delay_alu instid0(SALU_CYCLE_1) | instskip(NEXT) | instid1(VALU_DEP_1)
	s_or_b32 exec_lo, exec_lo, s20
	v_mul_f32_e32 v28, v115, v28
	s_delay_alu instid0(VALU_DEP_1) | instskip(NEXT) | instid1(VALU_DEP_1)
	v_and_b32_e32 v150, 0x7f800000, v28
	v_cmp_ne_u32_e64 s2, 0x7f800000, v150
                                        ; implicit-def: $vgpr150
	s_delay_alu instid0(VALU_DEP_1) | instskip(NEXT) | instid1(SALU_CYCLE_1)
	s_and_saveexec_b32 s20, s2
	s_xor_b32 s2, exec_lo, s20
; %bb.241:                              ;   in Loop: Header=BB401_13 Depth=1
	v_bfe_u32 v150, v28, 16, 1
	s_delay_alu instid0(VALU_DEP_1)
	v_add3_u32 v150, v28, v150, 0x7fff
                                        ; implicit-def: $vgpr28
; %bb.242:                              ;   in Loop: Header=BB401_13 Depth=1
	s_and_not1_saveexec_b32 s20, s2
; %bb.243:                              ;   in Loop: Header=BB401_13 Depth=1
	v_and_b32_e32 v150, 0xffff, v28
	v_or_b32_e32 v160, 0x10000, v28
	s_delay_alu instid0(VALU_DEP_2) | instskip(NEXT) | instid1(VALU_DEP_1)
	v_cmp_eq_u32_e64 s2, 0, v150
	v_cndmask_b32_e64 v150, v160, v28, s2
; %bb.244:                              ;   in Loop: Header=BB401_13 Depth=1
	s_or_b32 exec_lo, exec_lo, s20
	v_mov_b32_e32 v28, 0
	s_mov_b32 s20, exec_lo
	v_cmpx_lt_u32_e32 0xffffff, v151
	s_cbranch_execz .LBB401_252
; %bb.245:                              ;   in Loop: Header=BB401_13 Depth=1
	v_lshrrev_b32_e32 v160, 24, v151
	v_bfrev_b32_e32 v28, 1
	s_mov_b32 s21, exec_lo
	s_delay_alu instid0(VALU_DEP_2)
	v_cmpx_ne_u32_e32 0x80, v160
	s_cbranch_execz .LBB401_251
; %bb.246:                              ;   in Loop: Header=BB401_13 Depth=1
	v_bfe_u32 v161, v151, 24, 7
	v_mov_b32_e32 v28, 0x7f800001
	s_mov_b32 s22, exec_lo
	s_delay_alu instid0(VALU_DEP_2)
	v_cmpx_ne_u32_e32 0x7f, v161
	s_cbranch_execz .LBB401_250
; %bb.247:                              ;   in Loop: Header=BB401_13 Depth=1
	v_and_b32_e32 v28, 7, v160
	v_lshrrev_b32_e32 v151, 3, v161
	s_mov_b32 s23, exec_lo
	v_cmpx_gt_u32_e32 8, v161
; %bb.248:                              ;   in Loop: Header=BB401_13 Depth=1
	s_delay_alu instid0(VALU_DEP_3) | instskip(NEXT) | instid1(VALU_DEP_1)
	v_clz_i32_u32_e32 v151, v28
	v_min_u32_e32 v151, 32, v151
	s_delay_alu instid0(VALU_DEP_1) | instskip(SKIP_1) | instid1(VALU_DEP_2)
	v_subrev_nc_u32_e32 v161, 28, v151
	v_sub_nc_u32_e32 v151, 29, v151
	v_lshlrev_b64 v[161:162], v161, v[28:29]
	s_delay_alu instid0(VALU_DEP_1)
	v_and_b32_e32 v28, 7, v161
; %bb.249:                              ;   in Loop: Header=BB401_13 Depth=1
	s_or_b32 exec_lo, exec_lo, s23
	v_lshlrev_b32_e32 v160, 24, v160
	s_delay_alu instid0(VALU_DEP_2) | instskip(SKIP_1) | instid1(VALU_DEP_3)
	v_lshlrev_b32_e32 v28, 20, v28
	v_lshl_add_u32 v151, v151, 23, 0x3c000000
	v_and_b32_e32 v160, 0x80000000, v160
	s_delay_alu instid0(VALU_DEP_1)
	v_or3_b32 v28, v28, v160, v151
.LBB401_250:                            ;   in Loop: Header=BB401_13 Depth=1
	s_or_b32 exec_lo, exec_lo, s22
.LBB401_251:                            ;   in Loop: Header=BB401_13 Depth=1
	s_delay_alu instid0(SALU_CYCLE_1)
	s_or_b32 exec_lo, exec_lo, s21
.LBB401_252:                            ;   in Loop: Header=BB401_13 Depth=1
	s_delay_alu instid0(SALU_CYCLE_1) | instskip(NEXT) | instid1(VALU_DEP_1)
	s_or_b32 exec_lo, exec_lo, s20
	v_mul_f32_e32 v28, v115, v28
	s_delay_alu instid0(VALU_DEP_1) | instskip(NEXT) | instid1(VALU_DEP_1)
	v_and_b32_e32 v151, 0x7f800000, v28
	v_cmp_ne_u32_e64 s2, 0x7f800000, v151
                                        ; implicit-def: $vgpr151
	s_delay_alu instid0(VALU_DEP_1) | instskip(NEXT) | instid1(SALU_CYCLE_1)
	s_and_saveexec_b32 s20, s2
	s_xor_b32 s2, exec_lo, s20
; %bb.253:                              ;   in Loop: Header=BB401_13 Depth=1
	v_bfe_u32 v151, v28, 16, 1
	s_delay_alu instid0(VALU_DEP_1)
	v_add3_u32 v151, v28, v151, 0x7fff
                                        ; implicit-def: $vgpr28
; %bb.254:                              ;   in Loop: Header=BB401_13 Depth=1
	s_and_not1_saveexec_b32 s20, s2
; %bb.255:                              ;   in Loop: Header=BB401_13 Depth=1
	v_and_b32_e32 v151, 0xffff, v28
	v_or_b32_e32 v160, 0x10000, v28
	s_delay_alu instid0(VALU_DEP_2) | instskip(NEXT) | instid1(VALU_DEP_1)
	v_cmp_eq_u32_e64 s2, 0, v151
	v_cndmask_b32_e64 v151, v160, v28, s2
; %bb.256:                              ;   in Loop: Header=BB401_13 Depth=1
	s_or_b32 exec_lo, exec_lo, s20
	flat_load_b32 v163, v[64:65] offset:520
	v_mov_b32_e32 v28, 0
	s_mov_b32 s20, exec_lo
	s_waitcnt vmcnt(0) lgkmcnt(0)
	v_and_b32_e32 v160, 0xff, v163
	s_delay_alu instid0(VALU_DEP_1)
	v_cmpx_ne_u16_e64 0, v160
	s_cbranch_execz .LBB401_264
; %bb.257:                              ;   in Loop: Header=BB401_13 Depth=1
	v_bfrev_b32_e32 v28, 1
	s_mov_b32 s21, exec_lo
	v_cmpx_ne_u16_e64 0x80, v160
	s_cbranch_execz .LBB401_263
; %bb.258:                              ;   in Loop: Header=BB401_13 Depth=1
	v_and_b32_e32 v161, 0x7f, v163
	v_mov_b32_e32 v28, 0x7f800001
	s_mov_b32 s22, exec_lo
	s_delay_alu instid0(VALU_DEP_2)
	v_cmpx_ne_u32_e32 0x7f, v161
	s_cbranch_execz .LBB401_262
; %bb.259:                              ;   in Loop: Header=BB401_13 Depth=1
	v_and_b32_e32 v28, 7, v163
	v_lshrrev_b32_e32 v160, 3, v161
	s_mov_b32 s23, exec_lo
	v_cmpx_gt_u32_e32 8, v161
; %bb.260:                              ;   in Loop: Header=BB401_13 Depth=1
	s_delay_alu instid0(VALU_DEP_3) | instskip(NEXT) | instid1(VALU_DEP_1)
	v_clz_i32_u32_e32 v160, v28
	v_min_u32_e32 v160, 32, v160
	s_delay_alu instid0(VALU_DEP_1) | instskip(SKIP_1) | instid1(VALU_DEP_2)
	v_subrev_nc_u32_e32 v161, 28, v160
	v_sub_nc_u32_e32 v160, 29, v160
	v_lshlrev_b64 v[161:162], v161, v[28:29]
	s_delay_alu instid0(VALU_DEP_1)
	v_and_b32_e32 v28, 7, v161
; %bb.261:                              ;   in Loop: Header=BB401_13 Depth=1
	s_or_b32 exec_lo, exec_lo, s23
	v_lshlrev_b32_e32 v161, 24, v163
	s_delay_alu instid0(VALU_DEP_2) | instskip(SKIP_1) | instid1(VALU_DEP_3)
	v_lshlrev_b32_e32 v28, 20, v28
	v_lshl_add_u32 v160, v160, 23, 0x3c000000
	v_and_b32_e32 v161, 0x80000000, v161
	s_delay_alu instid0(VALU_DEP_1)
	v_or3_b32 v28, v28, v161, v160
.LBB401_262:                            ;   in Loop: Header=BB401_13 Depth=1
	s_or_b32 exec_lo, exec_lo, s22
.LBB401_263:                            ;   in Loop: Header=BB401_13 Depth=1
	s_delay_alu instid0(SALU_CYCLE_1)
	s_or_b32 exec_lo, exec_lo, s21
.LBB401_264:                            ;   in Loop: Header=BB401_13 Depth=1
	s_delay_alu instid0(SALU_CYCLE_1) | instskip(NEXT) | instid1(VALU_DEP_1)
	s_or_b32 exec_lo, exec_lo, s20
	v_mul_f32_e32 v28, v115, v28
	s_delay_alu instid0(VALU_DEP_1) | instskip(NEXT) | instid1(VALU_DEP_1)
	v_and_b32_e32 v160, 0x7f800000, v28
	v_cmp_ne_u32_e64 s2, 0x7f800000, v160
                                        ; implicit-def: $vgpr160
	s_delay_alu instid0(VALU_DEP_1) | instskip(NEXT) | instid1(SALU_CYCLE_1)
	s_and_saveexec_b32 s20, s2
	s_xor_b32 s2, exec_lo, s20
; %bb.265:                              ;   in Loop: Header=BB401_13 Depth=1
	v_bfe_u32 v160, v28, 16, 1
	s_delay_alu instid0(VALU_DEP_1)
	v_add3_u32 v160, v28, v160, 0x7fff
                                        ; implicit-def: $vgpr28
; %bb.266:                              ;   in Loop: Header=BB401_13 Depth=1
	s_and_not1_saveexec_b32 s20, s2
; %bb.267:                              ;   in Loop: Header=BB401_13 Depth=1
	v_and_b32_e32 v160, 0xffff, v28
	v_or_b32_e32 v161, 0x10000, v28
	s_delay_alu instid0(VALU_DEP_2) | instskip(NEXT) | instid1(VALU_DEP_1)
	v_cmp_eq_u32_e64 s2, 0, v160
	v_cndmask_b32_e64 v160, v161, v28, s2
; %bb.268:                              ;   in Loop: Header=BB401_13 Depth=1
	s_or_b32 exec_lo, exec_lo, s20
	v_lshrrev_b16 v161, 8, v163
	v_mov_b32_e32 v28, 0
	s_mov_b32 s20, exec_lo
	s_delay_alu instid0(VALU_DEP_2)
	v_cmpx_ne_u16_e64 0, v161
	s_cbranch_execz .LBB401_276
; %bb.269:                              ;   in Loop: Header=BB401_13 Depth=1
	v_bfrev_b32_e32 v28, 1
	s_mov_b32 s21, exec_lo
	v_cmpx_ne_u16_e64 0x80, v161
	s_cbranch_execz .LBB401_275
; %bb.270:                              ;   in Loop: Header=BB401_13 Depth=1
	v_and_b32_e32 v161, 0xffff, v161
	v_mov_b32_e32 v28, 0x7f800001
	s_mov_b32 s22, exec_lo
	s_delay_alu instid0(VALU_DEP_2) | instskip(NEXT) | instid1(VALU_DEP_1)
	v_and_b32_e32 v162, 0x7f, v161
	v_cmpx_ne_u32_e32 0x7f, v162
	s_cbranch_execz .LBB401_274
; %bb.271:                              ;   in Loop: Header=BB401_13 Depth=1
	v_and_b32_e32 v28, 7, v161
	v_lshrrev_b32_e32 v161, 3, v162
	s_mov_b32 s23, exec_lo
	v_cmpx_gt_u32_e32 8, v162
; %bb.272:                              ;   in Loop: Header=BB401_13 Depth=1
	s_delay_alu instid0(VALU_DEP_3) | instskip(NEXT) | instid1(VALU_DEP_1)
	v_clz_i32_u32_e32 v161, v28
	v_min_u32_e32 v161, 32, v161
	s_delay_alu instid0(VALU_DEP_1) | instskip(SKIP_1) | instid1(VALU_DEP_2)
	v_subrev_nc_u32_e32 v162, 28, v161
	v_sub_nc_u32_e32 v161, 29, v161
	v_lshlrev_b64 v[164:165], v162, v[28:29]
	s_delay_alu instid0(VALU_DEP_1)
	v_and_b32_e32 v28, 7, v164
; %bb.273:                              ;   in Loop: Header=BB401_13 Depth=1
	s_or_b32 exec_lo, exec_lo, s23
	v_lshlrev_b32_e32 v162, 16, v163
	s_delay_alu instid0(VALU_DEP_2) | instskip(SKIP_1) | instid1(VALU_DEP_3)
	v_lshlrev_b32_e32 v28, 20, v28
	v_lshl_add_u32 v161, v161, 23, 0x3c000000
	v_and_b32_e32 v162, 0x80000000, v162
	s_delay_alu instid0(VALU_DEP_1)
	v_or3_b32 v28, v28, v162, v161
.LBB401_274:                            ;   in Loop: Header=BB401_13 Depth=1
	s_or_b32 exec_lo, exec_lo, s22
.LBB401_275:                            ;   in Loop: Header=BB401_13 Depth=1
	s_delay_alu instid0(SALU_CYCLE_1)
	s_or_b32 exec_lo, exec_lo, s21
.LBB401_276:                            ;   in Loop: Header=BB401_13 Depth=1
	s_delay_alu instid0(SALU_CYCLE_1) | instskip(NEXT) | instid1(VALU_DEP_1)
	s_or_b32 exec_lo, exec_lo, s20
	v_mul_f32_e32 v28, v115, v28
	s_delay_alu instid0(VALU_DEP_1) | instskip(NEXT) | instid1(VALU_DEP_1)
	v_and_b32_e32 v161, 0x7f800000, v28
	v_cmp_ne_u32_e64 s2, 0x7f800000, v161
                                        ; implicit-def: $vgpr161
	s_delay_alu instid0(VALU_DEP_1) | instskip(NEXT) | instid1(SALU_CYCLE_1)
	s_and_saveexec_b32 s20, s2
	s_xor_b32 s2, exec_lo, s20
; %bb.277:                              ;   in Loop: Header=BB401_13 Depth=1
	v_bfe_u32 v161, v28, 16, 1
	s_delay_alu instid0(VALU_DEP_1)
	v_add3_u32 v161, v28, v161, 0x7fff
                                        ; implicit-def: $vgpr28
; %bb.278:                              ;   in Loop: Header=BB401_13 Depth=1
	s_and_not1_saveexec_b32 s20, s2
; %bb.279:                              ;   in Loop: Header=BB401_13 Depth=1
	v_and_b32_e32 v161, 0xffff, v28
	v_or_b32_e32 v162, 0x10000, v28
	s_delay_alu instid0(VALU_DEP_2) | instskip(NEXT) | instid1(VALU_DEP_1)
	v_cmp_eq_u32_e64 s2, 0, v161
	v_cndmask_b32_e64 v161, v162, v28, s2
; %bb.280:                              ;   in Loop: Header=BB401_13 Depth=1
	s_or_b32 exec_lo, exec_lo, s20
	v_lshrrev_b32_e32 v162, 16, v163
	v_mov_b32_e32 v28, 0
	s_mov_b32 s20, exec_lo
	s_delay_alu instid0(VALU_DEP_2) | instskip(NEXT) | instid1(VALU_DEP_1)
	v_and_b32_e32 v164, 0xff, v162
	v_cmpx_ne_u16_e64 0, v164
	s_cbranch_execz .LBB401_288
; %bb.281:                              ;   in Loop: Header=BB401_13 Depth=1
	v_bfrev_b32_e32 v28, 1
	s_mov_b32 s21, exec_lo
	v_cmpx_ne_u16_e64 0x80, v164
	s_cbranch_execz .LBB401_287
; %bb.282:                              ;   in Loop: Header=BB401_13 Depth=1
	v_bfe_u32 v165, v163, 16, 7
	v_mov_b32_e32 v28, 0x7f800001
	s_mov_b32 s22, exec_lo
	s_delay_alu instid0(VALU_DEP_2)
	v_cmpx_ne_u32_e32 0x7f, v165
	s_cbranch_execz .LBB401_286
; %bb.283:                              ;   in Loop: Header=BB401_13 Depth=1
	v_and_b32_e32 v28, 7, v162
	v_lshrrev_b32_e32 v164, 3, v165
	s_mov_b32 s23, exec_lo
	v_cmpx_gt_u32_e32 8, v165
; %bb.284:                              ;   in Loop: Header=BB401_13 Depth=1
	s_delay_alu instid0(VALU_DEP_3) | instskip(NEXT) | instid1(VALU_DEP_1)
	v_clz_i32_u32_e32 v164, v28
	v_min_u32_e32 v164, 32, v164
	s_delay_alu instid0(VALU_DEP_1) | instskip(SKIP_1) | instid1(VALU_DEP_2)
	v_subrev_nc_u32_e32 v165, 28, v164
	v_sub_nc_u32_e32 v164, 29, v164
	v_lshlrev_b64 v[165:166], v165, v[28:29]
	s_delay_alu instid0(VALU_DEP_1)
	v_and_b32_e32 v28, 7, v165
; %bb.285:                              ;   in Loop: Header=BB401_13 Depth=1
	s_or_b32 exec_lo, exec_lo, s23
	v_lshlrev_b32_e32 v162, 24, v162
	s_delay_alu instid0(VALU_DEP_2) | instskip(SKIP_1) | instid1(VALU_DEP_3)
	v_lshlrev_b32_e32 v28, 20, v28
	v_lshl_add_u32 v164, v164, 23, 0x3c000000
	v_and_b32_e32 v162, 0x80000000, v162
	s_delay_alu instid0(VALU_DEP_1)
	v_or3_b32 v28, v28, v162, v164
.LBB401_286:                            ;   in Loop: Header=BB401_13 Depth=1
	s_or_b32 exec_lo, exec_lo, s22
.LBB401_287:                            ;   in Loop: Header=BB401_13 Depth=1
	s_delay_alu instid0(SALU_CYCLE_1)
	s_or_b32 exec_lo, exec_lo, s21
.LBB401_288:                            ;   in Loop: Header=BB401_13 Depth=1
	s_delay_alu instid0(SALU_CYCLE_1) | instskip(NEXT) | instid1(VALU_DEP_1)
	s_or_b32 exec_lo, exec_lo, s20
	v_mul_f32_e32 v28, v115, v28
	s_delay_alu instid0(VALU_DEP_1) | instskip(NEXT) | instid1(VALU_DEP_1)
	v_and_b32_e32 v162, 0x7f800000, v28
	v_cmp_ne_u32_e64 s2, 0x7f800000, v162
                                        ; implicit-def: $vgpr162
	s_delay_alu instid0(VALU_DEP_1) | instskip(NEXT) | instid1(SALU_CYCLE_1)
	s_and_saveexec_b32 s20, s2
	s_xor_b32 s2, exec_lo, s20
; %bb.289:                              ;   in Loop: Header=BB401_13 Depth=1
	v_bfe_u32 v162, v28, 16, 1
	s_delay_alu instid0(VALU_DEP_1)
	v_add3_u32 v162, v28, v162, 0x7fff
                                        ; implicit-def: $vgpr28
; %bb.290:                              ;   in Loop: Header=BB401_13 Depth=1
	s_and_not1_saveexec_b32 s20, s2
; %bb.291:                              ;   in Loop: Header=BB401_13 Depth=1
	v_and_b32_e32 v162, 0xffff, v28
	v_or_b32_e32 v164, 0x10000, v28
	s_delay_alu instid0(VALU_DEP_2) | instskip(NEXT) | instid1(VALU_DEP_1)
	v_cmp_eq_u32_e64 s2, 0, v162
	v_cndmask_b32_e64 v162, v164, v28, s2
; %bb.292:                              ;   in Loop: Header=BB401_13 Depth=1
	s_or_b32 exec_lo, exec_lo, s20
	v_mov_b32_e32 v28, 0
	s_mov_b32 s20, exec_lo
	v_cmpx_lt_u32_e32 0xffffff, v163
	s_cbranch_execz .LBB401_300
; %bb.293:                              ;   in Loop: Header=BB401_13 Depth=1
	v_lshrrev_b32_e32 v164, 24, v163
	v_bfrev_b32_e32 v28, 1
	s_mov_b32 s21, exec_lo
	s_delay_alu instid0(VALU_DEP_2)
	v_cmpx_ne_u32_e32 0x80, v164
	s_cbranch_execz .LBB401_299
; %bb.294:                              ;   in Loop: Header=BB401_13 Depth=1
	v_bfe_u32 v165, v163, 24, 7
	v_mov_b32_e32 v28, 0x7f800001
	s_mov_b32 s22, exec_lo
	s_delay_alu instid0(VALU_DEP_2)
	v_cmpx_ne_u32_e32 0x7f, v165
	s_cbranch_execz .LBB401_298
; %bb.295:                              ;   in Loop: Header=BB401_13 Depth=1
	v_and_b32_e32 v28, 7, v164
	v_lshrrev_b32_e32 v163, 3, v165
	s_mov_b32 s23, exec_lo
	v_cmpx_gt_u32_e32 8, v165
; %bb.296:                              ;   in Loop: Header=BB401_13 Depth=1
	s_delay_alu instid0(VALU_DEP_3) | instskip(NEXT) | instid1(VALU_DEP_1)
	v_clz_i32_u32_e32 v163, v28
	v_min_u32_e32 v163, 32, v163
	s_delay_alu instid0(VALU_DEP_1) | instskip(SKIP_1) | instid1(VALU_DEP_2)
	v_subrev_nc_u32_e32 v165, 28, v163
	v_sub_nc_u32_e32 v163, 29, v163
	v_lshlrev_b64 v[165:166], v165, v[28:29]
	s_delay_alu instid0(VALU_DEP_1)
	v_and_b32_e32 v28, 7, v165
; %bb.297:                              ;   in Loop: Header=BB401_13 Depth=1
	s_or_b32 exec_lo, exec_lo, s23
	v_lshlrev_b32_e32 v164, 24, v164
	s_delay_alu instid0(VALU_DEP_2) | instskip(SKIP_1) | instid1(VALU_DEP_3)
	v_lshlrev_b32_e32 v28, 20, v28
	v_lshl_add_u32 v163, v163, 23, 0x3c000000
	v_and_b32_e32 v164, 0x80000000, v164
	s_delay_alu instid0(VALU_DEP_1)
	v_or3_b32 v28, v28, v164, v163
.LBB401_298:                            ;   in Loop: Header=BB401_13 Depth=1
	s_or_b32 exec_lo, exec_lo, s22
.LBB401_299:                            ;   in Loop: Header=BB401_13 Depth=1
	s_delay_alu instid0(SALU_CYCLE_1)
	s_or_b32 exec_lo, exec_lo, s21
.LBB401_300:                            ;   in Loop: Header=BB401_13 Depth=1
	s_delay_alu instid0(SALU_CYCLE_1) | instskip(NEXT) | instid1(VALU_DEP_1)
	s_or_b32 exec_lo, exec_lo, s20
	v_mul_f32_e32 v28, v115, v28
	s_delay_alu instid0(VALU_DEP_1) | instskip(NEXT) | instid1(VALU_DEP_1)
	v_and_b32_e32 v163, 0x7f800000, v28
	v_cmp_ne_u32_e64 s2, 0x7f800000, v163
                                        ; implicit-def: $vgpr163
	s_delay_alu instid0(VALU_DEP_1) | instskip(NEXT) | instid1(SALU_CYCLE_1)
	s_and_saveexec_b32 s20, s2
	s_xor_b32 s2, exec_lo, s20
; %bb.301:                              ;   in Loop: Header=BB401_13 Depth=1
	v_bfe_u32 v163, v28, 16, 1
	s_delay_alu instid0(VALU_DEP_1)
	v_add3_u32 v163, v28, v163, 0x7fff
                                        ; implicit-def: $vgpr28
; %bb.302:                              ;   in Loop: Header=BB401_13 Depth=1
	s_and_not1_saveexec_b32 s20, s2
; %bb.303:                              ;   in Loop: Header=BB401_13 Depth=1
	v_and_b32_e32 v163, 0xffff, v28
	v_or_b32_e32 v164, 0x10000, v28
	s_delay_alu instid0(VALU_DEP_2) | instskip(NEXT) | instid1(VALU_DEP_1)
	v_cmp_eq_u32_e64 s2, 0, v163
	v_cndmask_b32_e64 v163, v164, v28, s2
; %bb.304:                              ;   in Loop: Header=BB401_13 Depth=1
	s_or_b32 exec_lo, exec_lo, s20
	flat_load_b32 v167, v[64:65] offset:768
	v_mov_b32_e32 v28, 0
	s_mov_b32 s20, exec_lo
	s_waitcnt vmcnt(0) lgkmcnt(0)
	v_and_b32_e32 v164, 0xff, v167
	s_delay_alu instid0(VALU_DEP_1)
	v_cmpx_ne_u16_e64 0, v164
	s_cbranch_execz .LBB401_312
; %bb.305:                              ;   in Loop: Header=BB401_13 Depth=1
	v_bfrev_b32_e32 v28, 1
	s_mov_b32 s21, exec_lo
	v_cmpx_ne_u16_e64 0x80, v164
	s_cbranch_execz .LBB401_311
; %bb.306:                              ;   in Loop: Header=BB401_13 Depth=1
	v_and_b32_e32 v165, 0x7f, v167
	v_mov_b32_e32 v28, 0x7f800001
	s_mov_b32 s22, exec_lo
	s_delay_alu instid0(VALU_DEP_2)
	v_cmpx_ne_u32_e32 0x7f, v165
	s_cbranch_execz .LBB401_310
; %bb.307:                              ;   in Loop: Header=BB401_13 Depth=1
	v_and_b32_e32 v28, 7, v167
	v_lshrrev_b32_e32 v164, 3, v165
	s_mov_b32 s23, exec_lo
	v_cmpx_gt_u32_e32 8, v165
; %bb.308:                              ;   in Loop: Header=BB401_13 Depth=1
	s_delay_alu instid0(VALU_DEP_3) | instskip(NEXT) | instid1(VALU_DEP_1)
	v_clz_i32_u32_e32 v164, v28
	v_min_u32_e32 v164, 32, v164
	s_delay_alu instid0(VALU_DEP_1) | instskip(SKIP_1) | instid1(VALU_DEP_2)
	v_subrev_nc_u32_e32 v165, 28, v164
	v_sub_nc_u32_e32 v164, 29, v164
	v_lshlrev_b64 v[165:166], v165, v[28:29]
	s_delay_alu instid0(VALU_DEP_1)
	v_and_b32_e32 v28, 7, v165
; %bb.309:                              ;   in Loop: Header=BB401_13 Depth=1
	s_or_b32 exec_lo, exec_lo, s23
	v_lshlrev_b32_e32 v165, 24, v167
	s_delay_alu instid0(VALU_DEP_2) | instskip(SKIP_1) | instid1(VALU_DEP_3)
	v_lshlrev_b32_e32 v28, 20, v28
	v_lshl_add_u32 v164, v164, 23, 0x3c000000
	v_and_b32_e32 v165, 0x80000000, v165
	s_delay_alu instid0(VALU_DEP_1)
	v_or3_b32 v28, v28, v165, v164
.LBB401_310:                            ;   in Loop: Header=BB401_13 Depth=1
	s_or_b32 exec_lo, exec_lo, s22
.LBB401_311:                            ;   in Loop: Header=BB401_13 Depth=1
	s_delay_alu instid0(SALU_CYCLE_1)
	s_or_b32 exec_lo, exec_lo, s21
.LBB401_312:                            ;   in Loop: Header=BB401_13 Depth=1
	s_delay_alu instid0(SALU_CYCLE_1) | instskip(NEXT) | instid1(VALU_DEP_1)
	s_or_b32 exec_lo, exec_lo, s20
	v_mul_f32_e32 v28, v115, v28
	s_delay_alu instid0(VALU_DEP_1) | instskip(NEXT) | instid1(VALU_DEP_1)
	v_and_b32_e32 v164, 0x7f800000, v28
	v_cmp_ne_u32_e64 s2, 0x7f800000, v164
                                        ; implicit-def: $vgpr164
	s_delay_alu instid0(VALU_DEP_1) | instskip(NEXT) | instid1(SALU_CYCLE_1)
	s_and_saveexec_b32 s20, s2
	s_xor_b32 s2, exec_lo, s20
; %bb.313:                              ;   in Loop: Header=BB401_13 Depth=1
	v_bfe_u32 v164, v28, 16, 1
	s_delay_alu instid0(VALU_DEP_1)
	v_add3_u32 v164, v28, v164, 0x7fff
                                        ; implicit-def: $vgpr28
; %bb.314:                              ;   in Loop: Header=BB401_13 Depth=1
	s_and_not1_saveexec_b32 s20, s2
; %bb.315:                              ;   in Loop: Header=BB401_13 Depth=1
	v_and_b32_e32 v164, 0xffff, v28
	v_or_b32_e32 v165, 0x10000, v28
	s_delay_alu instid0(VALU_DEP_2) | instskip(NEXT) | instid1(VALU_DEP_1)
	v_cmp_eq_u32_e64 s2, 0, v164
	v_cndmask_b32_e64 v164, v165, v28, s2
; %bb.316:                              ;   in Loop: Header=BB401_13 Depth=1
	s_or_b32 exec_lo, exec_lo, s20
	v_lshrrev_b16 v165, 8, v167
	v_mov_b32_e32 v28, 0
	s_mov_b32 s20, exec_lo
	s_delay_alu instid0(VALU_DEP_2)
	v_cmpx_ne_u16_e64 0, v165
	s_cbranch_execz .LBB401_324
; %bb.317:                              ;   in Loop: Header=BB401_13 Depth=1
	v_bfrev_b32_e32 v28, 1
	s_mov_b32 s21, exec_lo
	v_cmpx_ne_u16_e64 0x80, v165
	s_cbranch_execz .LBB401_323
; %bb.318:                              ;   in Loop: Header=BB401_13 Depth=1
	v_and_b32_e32 v165, 0xffff, v165
	v_mov_b32_e32 v28, 0x7f800001
	s_mov_b32 s22, exec_lo
	s_delay_alu instid0(VALU_DEP_2) | instskip(NEXT) | instid1(VALU_DEP_1)
	v_and_b32_e32 v166, 0x7f, v165
	v_cmpx_ne_u32_e32 0x7f, v166
	s_cbranch_execz .LBB401_322
; %bb.319:                              ;   in Loop: Header=BB401_13 Depth=1
	v_and_b32_e32 v28, 7, v165
	v_lshrrev_b32_e32 v165, 3, v166
	s_mov_b32 s23, exec_lo
	v_cmpx_gt_u32_e32 8, v166
; %bb.320:                              ;   in Loop: Header=BB401_13 Depth=1
	s_delay_alu instid0(VALU_DEP_3) | instskip(NEXT) | instid1(VALU_DEP_1)
	v_clz_i32_u32_e32 v165, v28
	v_min_u32_e32 v165, 32, v165
	s_delay_alu instid0(VALU_DEP_1) | instskip(SKIP_1) | instid1(VALU_DEP_2)
	v_subrev_nc_u32_e32 v166, 28, v165
	v_sub_nc_u32_e32 v165, 29, v165
	v_lshlrev_b64 v[176:177], v166, v[28:29]
	s_delay_alu instid0(VALU_DEP_1)
	v_and_b32_e32 v28, 7, v176
; %bb.321:                              ;   in Loop: Header=BB401_13 Depth=1
	s_or_b32 exec_lo, exec_lo, s23
	v_lshlrev_b32_e32 v166, 16, v167
	s_delay_alu instid0(VALU_DEP_2) | instskip(SKIP_1) | instid1(VALU_DEP_3)
	v_lshlrev_b32_e32 v28, 20, v28
	v_lshl_add_u32 v165, v165, 23, 0x3c000000
	v_and_b32_e32 v166, 0x80000000, v166
	s_delay_alu instid0(VALU_DEP_1)
	v_or3_b32 v28, v28, v166, v165
.LBB401_322:                            ;   in Loop: Header=BB401_13 Depth=1
	s_or_b32 exec_lo, exec_lo, s22
.LBB401_323:                            ;   in Loop: Header=BB401_13 Depth=1
	s_delay_alu instid0(SALU_CYCLE_1)
	s_or_b32 exec_lo, exec_lo, s21
.LBB401_324:                            ;   in Loop: Header=BB401_13 Depth=1
	s_delay_alu instid0(SALU_CYCLE_1) | instskip(NEXT) | instid1(VALU_DEP_1)
	s_or_b32 exec_lo, exec_lo, s20
	v_mul_f32_e32 v28, v115, v28
	s_delay_alu instid0(VALU_DEP_1) | instskip(NEXT) | instid1(VALU_DEP_1)
	v_and_b32_e32 v165, 0x7f800000, v28
	v_cmp_ne_u32_e64 s2, 0x7f800000, v165
                                        ; implicit-def: $vgpr165
	s_delay_alu instid0(VALU_DEP_1) | instskip(NEXT) | instid1(SALU_CYCLE_1)
	s_and_saveexec_b32 s20, s2
	s_xor_b32 s2, exec_lo, s20
; %bb.325:                              ;   in Loop: Header=BB401_13 Depth=1
	v_bfe_u32 v165, v28, 16, 1
	s_delay_alu instid0(VALU_DEP_1)
	v_add3_u32 v165, v28, v165, 0x7fff
                                        ; implicit-def: $vgpr28
; %bb.326:                              ;   in Loop: Header=BB401_13 Depth=1
	s_and_not1_saveexec_b32 s20, s2
; %bb.327:                              ;   in Loop: Header=BB401_13 Depth=1
	v_and_b32_e32 v165, 0xffff, v28
	v_or_b32_e32 v166, 0x10000, v28
	s_delay_alu instid0(VALU_DEP_2) | instskip(NEXT) | instid1(VALU_DEP_1)
	v_cmp_eq_u32_e64 s2, 0, v165
	v_cndmask_b32_e64 v165, v166, v28, s2
; %bb.328:                              ;   in Loop: Header=BB401_13 Depth=1
	s_or_b32 exec_lo, exec_lo, s20
	v_lshrrev_b32_e32 v166, 16, v167
	v_mov_b32_e32 v28, 0
	s_mov_b32 s20, exec_lo
	s_delay_alu instid0(VALU_DEP_2) | instskip(NEXT) | instid1(VALU_DEP_1)
	v_and_b32_e32 v176, 0xff, v166
	v_cmpx_ne_u16_e64 0, v176
	s_cbranch_execz .LBB401_336
; %bb.329:                              ;   in Loop: Header=BB401_13 Depth=1
	v_bfrev_b32_e32 v28, 1
	s_mov_b32 s21, exec_lo
	v_cmpx_ne_u16_e64 0x80, v176
	s_cbranch_execz .LBB401_335
; %bb.330:                              ;   in Loop: Header=BB401_13 Depth=1
	v_bfe_u32 v177, v167, 16, 7
	v_mov_b32_e32 v28, 0x7f800001
	s_mov_b32 s22, exec_lo
	s_delay_alu instid0(VALU_DEP_2)
	v_cmpx_ne_u32_e32 0x7f, v177
	s_cbranch_execz .LBB401_334
; %bb.331:                              ;   in Loop: Header=BB401_13 Depth=1
	v_and_b32_e32 v28, 7, v166
	v_lshrrev_b32_e32 v176, 3, v177
	s_mov_b32 s23, exec_lo
	v_cmpx_gt_u32_e32 8, v177
; %bb.332:                              ;   in Loop: Header=BB401_13 Depth=1
	s_delay_alu instid0(VALU_DEP_3) | instskip(NEXT) | instid1(VALU_DEP_1)
	v_clz_i32_u32_e32 v176, v28
	v_min_u32_e32 v176, 32, v176
	s_delay_alu instid0(VALU_DEP_1) | instskip(SKIP_1) | instid1(VALU_DEP_2)
	v_subrev_nc_u32_e32 v177, 28, v176
	v_sub_nc_u32_e32 v176, 29, v176
	v_lshlrev_b64 v[177:178], v177, v[28:29]
	s_delay_alu instid0(VALU_DEP_1)
	v_and_b32_e32 v28, 7, v177
; %bb.333:                              ;   in Loop: Header=BB401_13 Depth=1
	s_or_b32 exec_lo, exec_lo, s23
	v_lshlrev_b32_e32 v166, 24, v166
	s_delay_alu instid0(VALU_DEP_2) | instskip(SKIP_1) | instid1(VALU_DEP_3)
	v_lshlrev_b32_e32 v28, 20, v28
	v_lshl_add_u32 v176, v176, 23, 0x3c000000
	v_and_b32_e32 v166, 0x80000000, v166
	s_delay_alu instid0(VALU_DEP_1)
	v_or3_b32 v28, v28, v166, v176
.LBB401_334:                            ;   in Loop: Header=BB401_13 Depth=1
	s_or_b32 exec_lo, exec_lo, s22
.LBB401_335:                            ;   in Loop: Header=BB401_13 Depth=1
	s_delay_alu instid0(SALU_CYCLE_1)
	s_or_b32 exec_lo, exec_lo, s21
.LBB401_336:                            ;   in Loop: Header=BB401_13 Depth=1
	s_delay_alu instid0(SALU_CYCLE_1) | instskip(NEXT) | instid1(VALU_DEP_1)
	s_or_b32 exec_lo, exec_lo, s20
	v_mul_f32_e32 v28, v115, v28
	s_delay_alu instid0(VALU_DEP_1) | instskip(NEXT) | instid1(VALU_DEP_1)
	v_and_b32_e32 v166, 0x7f800000, v28
	v_cmp_ne_u32_e64 s2, 0x7f800000, v166
                                        ; implicit-def: $vgpr166
	s_delay_alu instid0(VALU_DEP_1) | instskip(NEXT) | instid1(SALU_CYCLE_1)
	s_and_saveexec_b32 s20, s2
	s_xor_b32 s2, exec_lo, s20
; %bb.337:                              ;   in Loop: Header=BB401_13 Depth=1
	v_bfe_u32 v166, v28, 16, 1
	s_delay_alu instid0(VALU_DEP_1)
	v_add3_u32 v166, v28, v166, 0x7fff
                                        ; implicit-def: $vgpr28
; %bb.338:                              ;   in Loop: Header=BB401_13 Depth=1
	s_and_not1_saveexec_b32 s20, s2
; %bb.339:                              ;   in Loop: Header=BB401_13 Depth=1
	v_and_b32_e32 v166, 0xffff, v28
	v_or_b32_e32 v176, 0x10000, v28
	s_delay_alu instid0(VALU_DEP_2) | instskip(NEXT) | instid1(VALU_DEP_1)
	v_cmp_eq_u32_e64 s2, 0, v166
	v_cndmask_b32_e64 v166, v176, v28, s2
; %bb.340:                              ;   in Loop: Header=BB401_13 Depth=1
	s_or_b32 exec_lo, exec_lo, s20
	v_mov_b32_e32 v28, 0
	s_mov_b32 s20, exec_lo
	v_cmpx_lt_u32_e32 0xffffff, v167
	s_cbranch_execz .LBB401_348
; %bb.341:                              ;   in Loop: Header=BB401_13 Depth=1
	v_lshrrev_b32_e32 v176, 24, v167
	v_bfrev_b32_e32 v28, 1
	s_mov_b32 s21, exec_lo
	s_delay_alu instid0(VALU_DEP_2)
	v_cmpx_ne_u32_e32 0x80, v176
	s_cbranch_execz .LBB401_347
; %bb.342:                              ;   in Loop: Header=BB401_13 Depth=1
	v_bfe_u32 v177, v167, 24, 7
	v_mov_b32_e32 v28, 0x7f800001
	s_mov_b32 s22, exec_lo
	s_delay_alu instid0(VALU_DEP_2)
	v_cmpx_ne_u32_e32 0x7f, v177
	s_cbranch_execz .LBB401_346
; %bb.343:                              ;   in Loop: Header=BB401_13 Depth=1
	v_and_b32_e32 v28, 7, v176
	v_lshrrev_b32_e32 v167, 3, v177
	s_mov_b32 s23, exec_lo
	v_cmpx_gt_u32_e32 8, v177
; %bb.344:                              ;   in Loop: Header=BB401_13 Depth=1
	s_delay_alu instid0(VALU_DEP_3) | instskip(NEXT) | instid1(VALU_DEP_1)
	v_clz_i32_u32_e32 v167, v28
	v_min_u32_e32 v167, 32, v167
	s_delay_alu instid0(VALU_DEP_1) | instskip(SKIP_1) | instid1(VALU_DEP_2)
	v_subrev_nc_u32_e32 v177, 28, v167
	v_sub_nc_u32_e32 v167, 29, v167
	v_lshlrev_b64 v[177:178], v177, v[28:29]
	s_delay_alu instid0(VALU_DEP_1)
	v_and_b32_e32 v28, 7, v177
; %bb.345:                              ;   in Loop: Header=BB401_13 Depth=1
	s_or_b32 exec_lo, exec_lo, s23
	v_lshlrev_b32_e32 v176, 24, v176
	s_delay_alu instid0(VALU_DEP_2) | instskip(SKIP_1) | instid1(VALU_DEP_3)
	v_lshlrev_b32_e32 v28, 20, v28
	v_lshl_add_u32 v167, v167, 23, 0x3c000000
	v_and_b32_e32 v176, 0x80000000, v176
	s_delay_alu instid0(VALU_DEP_1)
	v_or3_b32 v28, v28, v176, v167
.LBB401_346:                            ;   in Loop: Header=BB401_13 Depth=1
	s_or_b32 exec_lo, exec_lo, s22
.LBB401_347:                            ;   in Loop: Header=BB401_13 Depth=1
	s_delay_alu instid0(SALU_CYCLE_1)
	s_or_b32 exec_lo, exec_lo, s21
.LBB401_348:                            ;   in Loop: Header=BB401_13 Depth=1
	s_delay_alu instid0(SALU_CYCLE_1) | instskip(NEXT) | instid1(VALU_DEP_1)
	s_or_b32 exec_lo, exec_lo, s20
	v_mul_f32_e32 v28, v115, v28
	s_delay_alu instid0(VALU_DEP_1) | instskip(NEXT) | instid1(VALU_DEP_1)
	v_and_b32_e32 v167, 0x7f800000, v28
	v_cmp_ne_u32_e64 s2, 0x7f800000, v167
                                        ; implicit-def: $vgpr167
	s_delay_alu instid0(VALU_DEP_1) | instskip(NEXT) | instid1(SALU_CYCLE_1)
	s_and_saveexec_b32 s20, s2
	s_xor_b32 s2, exec_lo, s20
; %bb.349:                              ;   in Loop: Header=BB401_13 Depth=1
	v_bfe_u32 v167, v28, 16, 1
	s_delay_alu instid0(VALU_DEP_1)
	v_add3_u32 v167, v28, v167, 0x7fff
                                        ; implicit-def: $vgpr28
; %bb.350:                              ;   in Loop: Header=BB401_13 Depth=1
	s_and_not1_saveexec_b32 s20, s2
; %bb.351:                              ;   in Loop: Header=BB401_13 Depth=1
	v_and_b32_e32 v167, 0xffff, v28
	v_or_b32_e32 v176, 0x10000, v28
	s_delay_alu instid0(VALU_DEP_2) | instskip(NEXT) | instid1(VALU_DEP_1)
	v_cmp_eq_u32_e64 s2, 0, v167
	v_cndmask_b32_e64 v167, v176, v28, s2
; %bb.352:                              ;   in Loop: Header=BB401_13 Depth=1
	s_or_b32 exec_lo, exec_lo, s20
	flat_load_b32 v65, v[64:65] offset:776
	v_mov_b32_e32 v28, 0
	s_mov_b32 s20, exec_lo
	s_waitcnt vmcnt(0) lgkmcnt(0)
	v_and_b32_e32 v64, 0xff, v65
	s_delay_alu instid0(VALU_DEP_1)
	v_cmpx_ne_u16_e32 0, v64
	s_cbranch_execz .LBB401_360
; %bb.353:                              ;   in Loop: Header=BB401_13 Depth=1
	v_bfrev_b32_e32 v28, 1
	s_mov_b32 s21, exec_lo
	v_cmpx_ne_u16_e32 0x80, v64
	s_cbranch_execz .LBB401_359
; %bb.354:                              ;   in Loop: Header=BB401_13 Depth=1
	v_and_b32_e32 v176, 0x7f, v65
	v_mov_b32_e32 v28, 0x7f800001
	s_mov_b32 s22, exec_lo
	s_delay_alu instid0(VALU_DEP_2)
	v_cmpx_ne_u32_e32 0x7f, v176
	s_cbranch_execz .LBB401_358
; %bb.355:                              ;   in Loop: Header=BB401_13 Depth=1
	v_and_b32_e32 v28, 7, v65
	v_lshrrev_b32_e32 v64, 3, v176
	s_mov_b32 s23, exec_lo
	v_cmpx_gt_u32_e32 8, v176
; %bb.356:                              ;   in Loop: Header=BB401_13 Depth=1
	s_delay_alu instid0(VALU_DEP_3) | instskip(NEXT) | instid1(VALU_DEP_1)
	v_clz_i32_u32_e32 v64, v28
	v_min_u32_e32 v64, 32, v64
	s_delay_alu instid0(VALU_DEP_1) | instskip(SKIP_1) | instid1(VALU_DEP_2)
	v_subrev_nc_u32_e32 v176, 28, v64
	v_sub_nc_u32_e32 v64, 29, v64
	v_lshlrev_b64 v[176:177], v176, v[28:29]
	s_delay_alu instid0(VALU_DEP_1)
	v_and_b32_e32 v28, 7, v176
; %bb.357:                              ;   in Loop: Header=BB401_13 Depth=1
	s_or_b32 exec_lo, exec_lo, s23
	v_lshlrev_b32_e32 v176, 24, v65
	s_delay_alu instid0(VALU_DEP_2) | instskip(SKIP_1) | instid1(VALU_DEP_3)
	v_lshlrev_b32_e32 v28, 20, v28
	v_lshl_add_u32 v64, v64, 23, 0x3c000000
	v_and_b32_e32 v176, 0x80000000, v176
	s_delay_alu instid0(VALU_DEP_1)
	v_or3_b32 v28, v28, v176, v64
.LBB401_358:                            ;   in Loop: Header=BB401_13 Depth=1
	s_or_b32 exec_lo, exec_lo, s22
.LBB401_359:                            ;   in Loop: Header=BB401_13 Depth=1
	s_delay_alu instid0(SALU_CYCLE_1)
	s_or_b32 exec_lo, exec_lo, s21
.LBB401_360:                            ;   in Loop: Header=BB401_13 Depth=1
	s_delay_alu instid0(SALU_CYCLE_1) | instskip(NEXT) | instid1(VALU_DEP_1)
	s_or_b32 exec_lo, exec_lo, s20
	v_mul_f32_e32 v28, v115, v28
	s_delay_alu instid0(VALU_DEP_1) | instskip(NEXT) | instid1(VALU_DEP_1)
	v_and_b32_e32 v64, 0x7f800000, v28
	v_cmp_ne_u32_e64 s2, 0x7f800000, v64
                                        ; implicit-def: $vgpr64
	s_delay_alu instid0(VALU_DEP_1) | instskip(NEXT) | instid1(SALU_CYCLE_1)
	s_and_saveexec_b32 s20, s2
	s_xor_b32 s2, exec_lo, s20
; %bb.361:                              ;   in Loop: Header=BB401_13 Depth=1
	v_bfe_u32 v64, v28, 16, 1
	s_delay_alu instid0(VALU_DEP_1)
	v_add3_u32 v64, v28, v64, 0x7fff
                                        ; implicit-def: $vgpr28
; %bb.362:                              ;   in Loop: Header=BB401_13 Depth=1
	s_and_not1_saveexec_b32 s20, s2
; %bb.363:                              ;   in Loop: Header=BB401_13 Depth=1
	v_and_b32_e32 v64, 0xffff, v28
	v_or_b32_e32 v176, 0x10000, v28
	s_delay_alu instid0(VALU_DEP_2) | instskip(NEXT) | instid1(VALU_DEP_1)
	v_cmp_eq_u32_e64 s2, 0, v64
	v_cndmask_b32_e64 v64, v176, v28, s2
; %bb.364:                              ;   in Loop: Header=BB401_13 Depth=1
	s_or_b32 exec_lo, exec_lo, s20
	v_lshrrev_b16 v176, 8, v65
	v_mov_b32_e32 v28, 0
	s_mov_b32 s20, exec_lo
	s_delay_alu instid0(VALU_DEP_2)
	v_cmpx_ne_u16_e64 0, v176
	s_cbranch_execz .LBB401_372
; %bb.365:                              ;   in Loop: Header=BB401_13 Depth=1
	v_bfrev_b32_e32 v28, 1
	s_mov_b32 s21, exec_lo
	v_cmpx_ne_u16_e64 0x80, v176
	s_cbranch_execz .LBB401_371
; %bb.366:                              ;   in Loop: Header=BB401_13 Depth=1
	v_and_b32_e32 v176, 0xffff, v176
	v_mov_b32_e32 v28, 0x7f800001
	s_mov_b32 s22, exec_lo
	s_delay_alu instid0(VALU_DEP_2) | instskip(NEXT) | instid1(VALU_DEP_1)
	v_and_b32_e32 v177, 0x7f, v176
	v_cmpx_ne_u32_e32 0x7f, v177
	s_cbranch_execz .LBB401_370
; %bb.367:                              ;   in Loop: Header=BB401_13 Depth=1
	v_and_b32_e32 v28, 7, v176
	v_lshrrev_b32_e32 v176, 3, v177
	s_mov_b32 s23, exec_lo
	v_cmpx_gt_u32_e32 8, v177
; %bb.368:                              ;   in Loop: Header=BB401_13 Depth=1
	s_delay_alu instid0(VALU_DEP_3) | instskip(NEXT) | instid1(VALU_DEP_1)
	v_clz_i32_u32_e32 v176, v28
	v_min_u32_e32 v176, 32, v176
	s_delay_alu instid0(VALU_DEP_1) | instskip(SKIP_1) | instid1(VALU_DEP_2)
	v_subrev_nc_u32_e32 v177, 28, v176
	v_sub_nc_u32_e32 v176, 29, v176
	v_lshlrev_b64 v[177:178], v177, v[28:29]
	s_delay_alu instid0(VALU_DEP_1)
	v_and_b32_e32 v28, 7, v177
; %bb.369:                              ;   in Loop: Header=BB401_13 Depth=1
	s_or_b32 exec_lo, exec_lo, s23
	v_lshlrev_b32_e32 v177, 16, v65
	s_delay_alu instid0(VALU_DEP_2) | instskip(SKIP_1) | instid1(VALU_DEP_3)
	v_lshlrev_b32_e32 v28, 20, v28
	v_lshl_add_u32 v176, v176, 23, 0x3c000000
	v_and_b32_e32 v177, 0x80000000, v177
	s_delay_alu instid0(VALU_DEP_1)
	v_or3_b32 v28, v28, v177, v176
.LBB401_370:                            ;   in Loop: Header=BB401_13 Depth=1
	s_or_b32 exec_lo, exec_lo, s22
.LBB401_371:                            ;   in Loop: Header=BB401_13 Depth=1
	s_delay_alu instid0(SALU_CYCLE_1)
	s_or_b32 exec_lo, exec_lo, s21
.LBB401_372:                            ;   in Loop: Header=BB401_13 Depth=1
	s_delay_alu instid0(SALU_CYCLE_1) | instskip(NEXT) | instid1(VALU_DEP_1)
	s_or_b32 exec_lo, exec_lo, s20
	v_mul_f32_e32 v28, v115, v28
	s_delay_alu instid0(VALU_DEP_1) | instskip(NEXT) | instid1(VALU_DEP_1)
	v_and_b32_e32 v176, 0x7f800000, v28
	v_cmp_ne_u32_e64 s2, 0x7f800000, v176
                                        ; implicit-def: $vgpr176
	s_delay_alu instid0(VALU_DEP_1) | instskip(NEXT) | instid1(SALU_CYCLE_1)
	s_and_saveexec_b32 s20, s2
	s_xor_b32 s2, exec_lo, s20
; %bb.373:                              ;   in Loop: Header=BB401_13 Depth=1
	v_bfe_u32 v176, v28, 16, 1
	s_delay_alu instid0(VALU_DEP_1)
	v_add3_u32 v176, v28, v176, 0x7fff
                                        ; implicit-def: $vgpr28
; %bb.374:                              ;   in Loop: Header=BB401_13 Depth=1
	s_and_not1_saveexec_b32 s20, s2
; %bb.375:                              ;   in Loop: Header=BB401_13 Depth=1
	v_and_b32_e32 v176, 0xffff, v28
	v_or_b32_e32 v177, 0x10000, v28
	s_delay_alu instid0(VALU_DEP_2) | instskip(NEXT) | instid1(VALU_DEP_1)
	v_cmp_eq_u32_e64 s2, 0, v176
	v_cndmask_b32_e64 v176, v177, v28, s2
; %bb.376:                              ;   in Loop: Header=BB401_13 Depth=1
	s_or_b32 exec_lo, exec_lo, s20
	v_lshrrev_b32_e32 v177, 16, v65
	v_mov_b32_e32 v28, 0
	s_mov_b32 s20, exec_lo
	s_delay_alu instid0(VALU_DEP_2) | instskip(NEXT) | instid1(VALU_DEP_1)
	v_and_b32_e32 v178, 0xff, v177
	v_cmpx_ne_u16_e64 0, v178
	s_cbranch_execz .LBB401_384
; %bb.377:                              ;   in Loop: Header=BB401_13 Depth=1
	v_bfrev_b32_e32 v28, 1
	s_mov_b32 s21, exec_lo
	v_cmpx_ne_u16_e64 0x80, v178
	s_cbranch_execz .LBB401_383
; %bb.378:                              ;   in Loop: Header=BB401_13 Depth=1
	v_bfe_u32 v179, v65, 16, 7
	v_mov_b32_e32 v28, 0x7f800001
	s_mov_b32 s22, exec_lo
	s_delay_alu instid0(VALU_DEP_2)
	v_cmpx_ne_u32_e32 0x7f, v179
	s_cbranch_execz .LBB401_382
; %bb.379:                              ;   in Loop: Header=BB401_13 Depth=1
	v_and_b32_e32 v28, 7, v177
	v_lshrrev_b32_e32 v178, 3, v179
	s_mov_b32 s23, exec_lo
	v_cmpx_gt_u32_e32 8, v179
; %bb.380:                              ;   in Loop: Header=BB401_13 Depth=1
	s_delay_alu instid0(VALU_DEP_3) | instskip(NEXT) | instid1(VALU_DEP_1)
	v_clz_i32_u32_e32 v178, v28
	v_min_u32_e32 v178, 32, v178
	s_delay_alu instid0(VALU_DEP_1) | instskip(SKIP_1) | instid1(VALU_DEP_2)
	v_subrev_nc_u32_e32 v179, 28, v178
	v_sub_nc_u32_e32 v178, 29, v178
	v_lshlrev_b64 v[179:180], v179, v[28:29]
	s_delay_alu instid0(VALU_DEP_1)
	v_and_b32_e32 v28, 7, v179
; %bb.381:                              ;   in Loop: Header=BB401_13 Depth=1
	s_or_b32 exec_lo, exec_lo, s23
	v_lshlrev_b32_e32 v177, 24, v177
	s_delay_alu instid0(VALU_DEP_2) | instskip(SKIP_1) | instid1(VALU_DEP_3)
	v_lshlrev_b32_e32 v28, 20, v28
	v_lshl_add_u32 v178, v178, 23, 0x3c000000
	v_and_b32_e32 v177, 0x80000000, v177
	s_delay_alu instid0(VALU_DEP_1)
	v_or3_b32 v28, v28, v177, v178
.LBB401_382:                            ;   in Loop: Header=BB401_13 Depth=1
	s_or_b32 exec_lo, exec_lo, s22
.LBB401_383:                            ;   in Loop: Header=BB401_13 Depth=1
	s_delay_alu instid0(SALU_CYCLE_1)
	s_or_b32 exec_lo, exec_lo, s21
.LBB401_384:                            ;   in Loop: Header=BB401_13 Depth=1
	s_delay_alu instid0(SALU_CYCLE_1) | instskip(NEXT) | instid1(VALU_DEP_1)
	s_or_b32 exec_lo, exec_lo, s20
	v_mul_f32_e32 v28, v115, v28
	s_delay_alu instid0(VALU_DEP_1) | instskip(NEXT) | instid1(VALU_DEP_1)
	v_and_b32_e32 v177, 0x7f800000, v28
	v_cmp_ne_u32_e64 s2, 0x7f800000, v177
                                        ; implicit-def: $vgpr177
	s_delay_alu instid0(VALU_DEP_1) | instskip(NEXT) | instid1(SALU_CYCLE_1)
	s_and_saveexec_b32 s20, s2
	s_xor_b32 s2, exec_lo, s20
; %bb.385:                              ;   in Loop: Header=BB401_13 Depth=1
	v_bfe_u32 v177, v28, 16, 1
	s_delay_alu instid0(VALU_DEP_1)
	v_add3_u32 v177, v28, v177, 0x7fff
                                        ; implicit-def: $vgpr28
; %bb.386:                              ;   in Loop: Header=BB401_13 Depth=1
	s_and_not1_saveexec_b32 s20, s2
; %bb.387:                              ;   in Loop: Header=BB401_13 Depth=1
	v_and_b32_e32 v177, 0xffff, v28
	v_or_b32_e32 v178, 0x10000, v28
	s_delay_alu instid0(VALU_DEP_2) | instskip(NEXT) | instid1(VALU_DEP_1)
	v_cmp_eq_u32_e64 s2, 0, v177
	v_cndmask_b32_e64 v177, v178, v28, s2
; %bb.388:                              ;   in Loop: Header=BB401_13 Depth=1
	s_or_b32 exec_lo, exec_lo, s20
	v_mov_b32_e32 v28, 0
	s_mov_b32 s20, exec_lo
	v_cmpx_lt_u32_e32 0xffffff, v65
	s_cbranch_execz .LBB401_396
; %bb.389:                              ;   in Loop: Header=BB401_13 Depth=1
	v_lshrrev_b32_e32 v178, 24, v65
	v_bfrev_b32_e32 v28, 1
	s_mov_b32 s21, exec_lo
	s_delay_alu instid0(VALU_DEP_2)
	v_cmpx_ne_u32_e32 0x80, v178
	s_cbranch_execz .LBB401_395
; %bb.390:                              ;   in Loop: Header=BB401_13 Depth=1
	v_bfe_u32 v179, v65, 24, 7
	v_mov_b32_e32 v28, 0x7f800001
	s_mov_b32 s22, exec_lo
	s_delay_alu instid0(VALU_DEP_2)
	v_cmpx_ne_u32_e32 0x7f, v179
	s_cbranch_execz .LBB401_394
; %bb.391:                              ;   in Loop: Header=BB401_13 Depth=1
	v_and_b32_e32 v28, 7, v178
	v_lshrrev_b32_e32 v65, 3, v179
	s_mov_b32 s23, exec_lo
	v_cmpx_gt_u32_e32 8, v179
; %bb.392:                              ;   in Loop: Header=BB401_13 Depth=1
	s_delay_alu instid0(VALU_DEP_3) | instskip(NEXT) | instid1(VALU_DEP_1)
	v_clz_i32_u32_e32 v65, v28
	v_min_u32_e32 v65, 32, v65
	s_delay_alu instid0(VALU_DEP_1) | instskip(SKIP_1) | instid1(VALU_DEP_2)
	v_subrev_nc_u32_e32 v179, 28, v65
	v_sub_nc_u32_e32 v65, 29, v65
	v_lshlrev_b64 v[179:180], v179, v[28:29]
	s_delay_alu instid0(VALU_DEP_1)
	v_and_b32_e32 v28, 7, v179
; %bb.393:                              ;   in Loop: Header=BB401_13 Depth=1
	s_or_b32 exec_lo, exec_lo, s23
	v_lshlrev_b32_e32 v178, 24, v178
	s_delay_alu instid0(VALU_DEP_2) | instskip(SKIP_1) | instid1(VALU_DEP_3)
	v_lshlrev_b32_e32 v28, 20, v28
	v_lshl_add_u32 v65, v65, 23, 0x3c000000
	v_and_b32_e32 v178, 0x80000000, v178
	s_delay_alu instid0(VALU_DEP_1)
	v_or3_b32 v28, v28, v178, v65
.LBB401_394:                            ;   in Loop: Header=BB401_13 Depth=1
	s_or_b32 exec_lo, exec_lo, s22
.LBB401_395:                            ;   in Loop: Header=BB401_13 Depth=1
	s_delay_alu instid0(SALU_CYCLE_1)
	s_or_b32 exec_lo, exec_lo, s21
.LBB401_396:                            ;   in Loop: Header=BB401_13 Depth=1
	s_delay_alu instid0(SALU_CYCLE_1) | instskip(NEXT) | instid1(VALU_DEP_1)
	s_or_b32 exec_lo, exec_lo, s20
	v_mul_f32_e32 v65, v115, v28
	s_delay_alu instid0(VALU_DEP_1) | instskip(NEXT) | instid1(VALU_DEP_1)
	v_and_b32_e32 v28, 0x7f800000, v65
	v_cmp_ne_u32_e64 s2, 0x7f800000, v28
                                        ; implicit-def: $vgpr28
	s_delay_alu instid0(VALU_DEP_1) | instskip(NEXT) | instid1(SALU_CYCLE_1)
	s_and_saveexec_b32 s20, s2
	s_xor_b32 s2, exec_lo, s20
; %bb.397:                              ;   in Loop: Header=BB401_13 Depth=1
	v_bfe_u32 v28, v65, 16, 1
	s_delay_alu instid0(VALU_DEP_1)
	v_add3_u32 v28, v65, v28, 0x7fff
                                        ; implicit-def: $vgpr65
; %bb.398:                              ;   in Loop: Header=BB401_13 Depth=1
	s_and_not1_saveexec_b32 s20, s2
; %bb.399:                              ;   in Loop: Header=BB401_13 Depth=1
	v_and_b32_e32 v28, 0xffff, v65
	v_or_b32_e32 v115, 0x10000, v65
	s_delay_alu instid0(VALU_DEP_2) | instskip(NEXT) | instid1(VALU_DEP_1)
	v_cmp_eq_u32_e64 s2, 0, v28
	v_cndmask_b32_e64 v28, v115, v65, s2
; %bb.400:                              ;   in Loop: Header=BB401_13 Depth=1
	s_or_b32 exec_lo, exec_lo, s20
	v_and_b32_e32 v131, 0xffff0000, v131
	v_and_b32_e32 v129, 0xffff0000, v129
	v_lshlrev_b32_e32 v179, 16, v38
	v_lshlrev_b32_e32 v183, 16, v34
	;; [unrolled: 1-line block ×3, first 2 shown]
	v_and_b32_e32 v38, 0xffff0000, v38
	v_and_b32_e32 v162, 0xffff0000, v162
	v_lshlrev_b32_e32 v178, 16, v37
	v_and_b32_e32 v37, 0xffff0000, v37
	v_and_b32_e32 v34, 0xffff0000, v34
	;; [unrolled: 1-line block ×6, first 2 shown]
	s_delay_alu instid0(VALU_DEP_4)
	v_dual_mul_f32 v128, v178, v128 :: v_dual_lshlrev_b32 v45, 16, v7
	v_dual_mul_f32 v37, v37, v129 :: v_dual_lshlrev_b32 v40, 16, v16
	v_and_b32_e32 v16, 0xffff0000, v16
	v_and_b32_e32 v130, 0xffff0000, v130
	;; [unrolled: 1-line block ×3, first 2 shown]
	v_lshlrev_b32_e32 v167, 16, v35
	v_and_b32_e32 v35, 0xffff0000, v35
	v_and_b32_e32 v164, 0xffff0000, v164
	;; [unrolled: 1-line block ×3, first 2 shown]
	v_lshlrev_b32_e32 v47, 16, v9
	v_and_b32_e32 v177, 0xffff0000, v177
	v_dual_fmac_f32 v37, v35, v117 :: v_dual_lshlrev_b32 v44, 16, v6
	v_and_b32_e32 v6, 0xffff0000, v6
	v_lshlrev_b32_e32 v180, 16, v31
	v_and_b32_e32 v31, 0xffff0000, v31
	v_and_b32_e32 v150, 0xffff0000, v150
	v_lshlrev_b32_e32 v41, 16, v17
	v_and_b32_e32 v132, 0xffff0000, v132
	v_and_b32_e32 v135, 0xffff0000, v135
	v_dual_fmac_f32 v37, v31, v133 :: v_dual_and_b32 v116, 0xffff0000, v116
	v_and_b32_e32 v165, 0xffff0000, v165
	v_lshlrev_b32_e32 v181, 16, v32
	v_and_b32_e32 v32, 0xffff0000, v32
	v_and_b32_e32 v134, 0xffff0000, v134
	v_dual_fmac_f32 v128, v167, v116 :: v_dual_and_b32 v163, 0xffff0000, v163
	v_and_b32_e32 v144, 0xffff0000, v144
	v_and_b32_e32 v19, 0xffff0000, v19
	s_delay_alu instid0(VALU_DEP_3) | instskip(SKIP_3) | instid1(VALU_DEP_3)
	v_dual_fmac_f32 v128, v180, v132 :: v_dual_and_b32 v119, 0xffff0000, v119
	v_lshlrev_b32_e32 v182, 16, v33
	v_and_b32_e32 v161, 0xffff0000, v161
	v_dual_mul_f32 v35, v38, v131 :: v_dual_and_b32 v148, 0xffff0000, v148
	v_dual_mul_f32 v129, v179, v130 :: v_dual_fmac_f32 v128, v182, v144
	v_and_b32_e32 v151, 0xffff0000, v151
	v_lshlrev_b32_e32 v46, 16, v8
	v_and_b32_e32 v8, 0xffff0000, v8
	v_lshlrev_b32_e32 v42, 16, v18
	v_and_b32_e32 v18, 0xffff0000, v18
	v_and_b32_e32 v118, 0xffff0000, v118
	;; [unrolled: 1-line block ×3, first 2 shown]
	v_dual_fmac_f32 v128, v40, v148 :: v_dual_and_b32 v149, 0xffff0000, v149
	v_and_b32_e32 v33, 0xffff0000, v33
	v_and_b32_e32 v17, 0xffff0000, v17
	v_xor_b32_e32 v56, 1, v87
	s_delay_alu instid0(VALU_DEP_4) | instskip(NEXT) | instid1(VALU_DEP_2)
	v_dual_fmac_f32 v128, v42, v160 :: v_dual_and_b32 v147, 0xffff0000, v147
	v_cmp_gt_i32_e64 s2, 32, v56
	s_delay_alu instid0(VALU_DEP_2) | instskip(NEXT) | instid1(VALU_DEP_1)
	v_dual_fmac_f32 v128, v44, v164 :: v_dual_and_b32 v145, 0xffff0000, v145
	v_fmac_f32_e32 v128, v46, v64
	s_delay_alu instid0(VALU_DEP_2) | instskip(SKIP_1) | instid1(VALU_DEP_2)
	v_dual_fmac_f32 v37, v33, v145 :: v_dual_and_b32 v146, 0xffff0000, v146
	v_and_b32_e32 v65, 0xffff0000, v176
	v_dual_fmac_f32 v37, v16, v149 :: v_dual_lshlrev_b32 v176, 16, v36
	s_delay_alu instid0(VALU_DEP_1) | instskip(NEXT) | instid1(VALU_DEP_1)
	v_fmac_f32_e32 v37, v18, v161
	v_dual_fmac_f32 v37, v6, v165 :: v_dual_and_b32 v6, 0xffff0000, v7
	v_and_b32_e32 v7, 0xffff0000, v28
	s_delay_alu instid0(VALU_DEP_2) | instskip(SKIP_3) | instid1(VALU_DEP_2)
	v_fmac_f32_e32 v37, v8, v65
	v_and_b32_e32 v8, 0xffff0000, v9
	v_and_b32_e32 v36, 0xffff0000, v36
	v_cndmask_b32_e64 v9, v87, v56, s2
	v_fmac_f32_e32 v35, v36, v119
	s_delay_alu instid0(VALU_DEP_1) | instskip(NEXT) | instid1(VALU_DEP_1)
	v_fmac_f32_e32 v35, v32, v135
	v_fmac_f32_e32 v35, v34, v147
	s_delay_alu instid0(VALU_DEP_1) | instskip(SKIP_1) | instid1(VALU_DEP_2)
	v_fmac_f32_e32 v35, v17, v151
	v_fmac_f32_e32 v129, v176, v118
	;; [unrolled: 1-line block ×3, first 2 shown]
	s_delay_alu instid0(VALU_DEP_2) | instskip(NEXT) | instid1(VALU_DEP_2)
	v_fmac_f32_e32 v129, v181, v134
	v_fmac_f32_e32 v35, v6, v166
	s_delay_alu instid0(VALU_DEP_2) | instskip(NEXT) | instid1(VALU_DEP_2)
	v_dual_fmac_f32 v129, v183, v146 :: v_dual_add_f32 v6, v128, v37
	v_fmac_f32_e32 v35, v8, v7
	s_delay_alu instid0(VALU_DEP_2) | instskip(SKIP_1) | instid1(VALU_DEP_2)
	v_fmac_f32_e32 v129, v41, v150
	v_lshlrev_b32_e32 v7, 2, v9
	v_fmac_f32_e32 v129, v43, v162
	s_delay_alu instid0(VALU_DEP_1) | instskip(NEXT) | instid1(VALU_DEP_1)
	v_fmac_f32_e32 v129, v45, v115
	v_fmac_f32_e32 v129, v47, v177
	s_delay_alu instid0(VALU_DEP_1) | instskip(NEXT) | instid1(VALU_DEP_1)
	v_add_f32_e32 v6, v6, v129
	v_add_f32_e32 v6, v35, v6
	ds_bpermute_b32 v7, v7, v6
	s_and_saveexec_b32 s20, vcc_lo
	s_cbranch_execz .LBB401_11
; %bb.401:                              ;   in Loop: Header=BB401_13 Depth=1
	v_add_nc_u32_e32 v8, v112, v101
	s_load_b32 s21, s[8:9], 0x0
	s_waitcnt lgkmcnt(0)
	v_add_f32_e32 v6, v6, v7
	s_delay_alu instid0(VALU_DEP_2) | instskip(NEXT) | instid1(VALU_DEP_1)
	v_cvt_f32_i32_e32 v8, v8
	v_mul_f32_e32 v8, v86, v8
	s_delay_alu instid0(VALU_DEP_1) | instskip(NEXT) | instid1(VALU_DEP_1)
	v_cndmask_b32_e64 v7, 0, v8, s1
	v_dual_max_f32 v8, v96, v96 :: v_dual_fmac_f32 v7, v6, v13
	v_add_nc_u32_e32 v6, v98, v101
	s_delay_alu instid0(VALU_DEP_2) | instskip(NEXT) | instid1(VALU_DEP_2)
	v_max_f32_e32 v8, v8, v7
	v_cmp_lt_i32_e64 s2, v6, v67
	v_add_nc_u32_e32 v6, s21, v103
	s_delay_alu instid0(VALU_DEP_2) | instskip(NEXT) | instid1(VALU_DEP_4)
	v_cndmask_b32_e64 v7, 0, v7, s2
	v_cndmask_b32_e64 v96, v96, v8, s2
	ds_store_b32 v6, v7
	s_branch .LBB401_11
.LBB401_402:
	s_or_b32 exec_lo, exec_lo, s19
.LBB401_403:
	s_delay_alu instid0(SALU_CYCLE_1)
	s_or_b32 exec_lo, exec_lo, s18
	v_xor_b32_e32 v6, 16, v87
	s_waitcnt lgkmcnt(0)
	v_xor_b32_e32 v7, 8, v87
	v_and_b32_e32 v16, 31, v66
	s_lshr_b32 s8, s17, 16
	v_max_f32_e32 v8, v96, v96
	v_cmp_gt_i32_e32 vcc_lo, 32, v6
	v_dual_cndmask_b32 v6, v87, v6 :: v_dual_lshlrev_b32 v19, 2, v21
	v_cmp_gt_i32_e32 vcc_lo, 32, v7
	v_cndmask_b32_e32 v7, v87, v7, vcc_lo
	s_delay_alu instid0(VALU_DEP_1) | instskip(NEXT) | instid1(VALU_DEP_4)
	v_lshlrev_b32_e32 v13, 2, v7
	v_lshlrev_b32_e32 v9, 2, v6
	ds_bpermute_b32 v6, v9, v96
	s_waitcnt lgkmcnt(0)
	v_max_f32_e32 v6, v6, v6
	s_delay_alu instid0(VALU_DEP_1) | instskip(SKIP_4) | instid1(VALU_DEP_1)
	v_max_f32_e32 v6, v8, v6
	v_xor_b32_e32 v8, 4, v87
	ds_bpermute_b32 v7, v13, v6
	v_cmp_gt_i32_e32 vcc_lo, 32, v8
	v_cndmask_b32_e32 v8, v87, v8, vcc_lo
	v_lshlrev_b32_e32 v18, 2, v8
	v_xor_b32_e32 v8, 2, v87
	s_delay_alu instid0(VALU_DEP_1) | instskip(SKIP_4) | instid1(VALU_DEP_3)
	v_cmp_gt_i32_e32 vcc_lo, 32, v8
	s_waitcnt lgkmcnt(0)
	v_max_f32_e32 v7, v7, v7
	v_cndmask_b32_e32 v8, v87, v8, vcc_lo
	v_cmp_eq_u32_e32 vcc_lo, 0, v16
	v_max_f32_e32 v6, v6, v7
	s_delay_alu instid0(VALU_DEP_3) | instskip(SKIP_3) | instid1(VALU_DEP_1)
	v_lshlrev_b32_e32 v8, 2, v8
	ds_bpermute_b32 v7, v18, v6
	s_waitcnt lgkmcnt(0)
	v_max_f32_e32 v7, v7, v7
	v_max_f32_e32 v6, v6, v7
	ds_bpermute_b32 v7, v8, v6
	s_and_saveexec_b32 s1, vcc_lo
	s_cbranch_execz .LBB401_405
; %bb.404:
	s_waitcnt lgkmcnt(0)
	v_dual_max_f32 v7, v7, v7 :: v_dual_max_f32 v6, v6, v6
	s_delay_alu instid0(VALU_DEP_1)
	v_max_f32_e32 v6, v6, v7
	ds_store_b32 v19, v6 offset:128
.LBB401_405:
	s_or_b32 exec_lo, exec_lo, s1
	v_cmp_gt_u32_e64 s1, 4, v16
	v_mov_b32_e32 v6, 0xff7fffff
	v_lshlrev_b32_e32 v24, 2, v16
	s_waitcnt lgkmcnt(0)
	s_barrier
	buffer_gl0_inv
	s_and_saveexec_b32 s2, s1
	s_cbranch_execz .LBB401_407
; %bb.406:
	ds_load_b32 v6, v24 offset:128
.LBB401_407:
	s_or_b32 exec_lo, exec_lo, s2
	s_waitcnt lgkmcnt(0)
	ds_bpermute_b32 v7, v8, v6
	v_xor_b32_e32 v17, 1, v87
	v_max_f32_e32 v6, v6, v6
	v_subrev_nc_u32_e32 v28, s13, v80
	v_mov_b32_e32 v25, 0
	s_delay_alu instid0(VALU_DEP_4) | instskip(NEXT) | instid1(VALU_DEP_1)
	v_cmp_gt_i32_e64 s2, 32, v17
	v_cndmask_b32_e64 v17, v87, v17, s2
	s_waitcnt lgkmcnt(0)
	v_max_f32_e32 v7, v7, v7
	s_delay_alu instid0(VALU_DEP_1) | instskip(SKIP_3) | instid1(VALU_DEP_1)
	v_dual_max_f32 v6, v6, v7 :: v_dual_lshlrev_b32 v17, 2, v17
	ds_bpermute_b32 v7, v17, v6
	s_waitcnt lgkmcnt(0)
	v_max_f32_e32 v7, v7, v7
	v_max_f32_e32 v6, v6, v7
	v_lshl_add_u32 v7, v28, 4, s15
	ds_bpermute_b32 v6, v25, v6
	v_min_i32_e32 v7, v7, v67
	s_delay_alu instid0(VALU_DEP_1) | instskip(NEXT) | instid1(VALU_DEP_1)
	v_subrev_nc_u32_e32 v7, s15, v7
	v_cmp_lt_i32_e64 s2, v66, v7
	s_delay_alu instid0(VALU_DEP_1)
	s_and_saveexec_b32 s9, s2
	s_cbranch_execz .LBB401_411
; %bb.408:
	s_getpc_b64 s[18:19]
	s_add_u32 s18, s18, llvm.amdgcn.dynlds.offset.table@rel32@lo+4
	s_addc_u32 s19, s19, llvm.amdgcn.dynlds.offset.table@rel32@hi+12
	s_ashr_i32 s11, s10, 31
	v_mov_b32_e32 v25, 0
	s_lshl_b64 s[20:21], s[10:11], 2
	v_mov_b32_e32 v29, v66
	s_add_u32 s18, s20, s18
	s_addc_u32 s19, s21, s19
	s_mov_b32 s11, 0
	s_load_b32 s3, s[18:19], 0x0
	s_waitcnt lgkmcnt(0)
	v_lshl_add_u32 v28, v66, 2, s3
	.p2align	6
.LBB401_409:                            ; =>This Inner Loop Header: Depth=1
	ds_load_b32 v31, v28
	v_add_nc_u32_e32 v29, 0x80, v29
	s_delay_alu instid0(VALU_DEP_1) | instskip(NEXT) | instid1(VALU_DEP_1)
	v_cmp_ge_i32_e64 s3, v29, v7
	s_or_b32 s11, s3, s11
	s_waitcnt lgkmcnt(0)
	v_sub_f32_e32 v31, v31, v6
	s_delay_alu instid0(VALU_DEP_1) | instskip(NEXT) | instid1(VALU_DEP_1)
	v_mul_f32_e32 v31, 0x3fb8aa3b, v31
	v_exp_f32_e32 v31, v31
	ds_store_b32 v28, v31
	v_dual_add_f32 v25, v25, v31 :: v_dual_add_nc_u32 v28, 0x200, v28
	s_and_not1_b32 exec_lo, exec_lo, s11
	s_cbranch_execnz .LBB401_409
; %bb.410:
	s_or_b32 exec_lo, exec_lo, s11
.LBB401_411:
	s_delay_alu instid0(SALU_CYCLE_1)
	s_or_b32 exec_lo, exec_lo, s9
	ds_bpermute_b32 v9, v9, v25
	s_waitcnt lgkmcnt(0)
	v_add_f32_e32 v9, v25, v9
	ds_bpermute_b32 v13, v13, v9
	s_waitcnt lgkmcnt(0)
	v_add_f32_e32 v9, v9, v13
	;; [unrolled: 3-line block ×5, first 2 shown]
	s_and_saveexec_b32 s3, vcc_lo
	s_cbranch_execz .LBB401_413
; %bb.412:
	ds_store_b32 v19, v9 offset:144
.LBB401_413:
	s_or_b32 exec_lo, exec_lo, s3
	s_waitcnt lgkmcnt(0)
	s_barrier
	buffer_gl0_inv
	s_and_saveexec_b32 s3, s1
	s_cbranch_execz .LBB401_415
; %bb.414:
	ds_load_b32 v9, v24 offset:144
.LBB401_415:
	s_or_b32 exec_lo, exec_lo, s3
	s_waitcnt lgkmcnt(0)
	ds_bpermute_b32 v8, v8, v9
	s_waitcnt lgkmcnt(0)
	v_add_f32_e32 v8, v9, v8
	ds_bpermute_b32 v9, v17, v8
	s_waitcnt lgkmcnt(0)
	v_dual_add_f32 v8, v8, v9 :: v_dual_mov_b32 v9, 0
	ds_bpermute_b32 v8, v9, v8
	s_and_saveexec_b32 s1, s2
	s_cbranch_execz .LBB401_418
; %bb.416:
	s_waitcnt lgkmcnt(0)
	v_add_f32_e32 v13, 0x358637bd, v8
	s_getpc_b64 s[2:3]
	s_add_u32 s2, s2, llvm.amdgcn.dynlds.offset.table@rel32@lo+4
	s_addc_u32 s3, s3, llvm.amdgcn.dynlds.offset.table@rel32@hi+12
	s_ashr_i32 s11, s10, 31
	s_delay_alu instid0(SALU_CYCLE_1) | instskip(SKIP_4) | instid1(VALU_DEP_1)
	s_lshl_b64 s[18:19], s[10:11], 2
	v_div_scale_f32 v9, null, v13, v13, 1.0
	s_add_u32 s2, s18, s2
	s_addc_u32 s3, s19, s3
	s_load_b32 s2, s[2:3], 0x0
	v_rcp_f32_e32 v18, v9
	s_waitcnt_depctr 0xfff
	v_fma_f32 v19, -v9, v18, 1.0
	s_delay_alu instid0(VALU_DEP_1) | instskip(SKIP_1) | instid1(VALU_DEP_1)
	v_fmac_f32_e32 v18, v19, v18
	v_div_scale_f32 v24, vcc_lo, 1.0, v13, 1.0
	v_mul_f32_e32 v19, v24, v18
	s_delay_alu instid0(VALU_DEP_1) | instskip(NEXT) | instid1(VALU_DEP_1)
	v_fma_f32 v25, -v9, v19, v24
	v_fmac_f32_e32 v19, v25, v18
	s_delay_alu instid0(VALU_DEP_1) | instskip(NEXT) | instid1(VALU_DEP_1)
	v_fma_f32 v9, -v9, v19, v24
	v_div_fmas_f32 v18, v9, v18, v19
	s_waitcnt lgkmcnt(0)
	v_lshl_add_u32 v9, v66, 2, s2
	s_mov_b32 s2, 0
	s_delay_alu instid0(VALU_DEP_2)
	v_div_fixup_f32 v13, v18, v13, 1.0
	v_mov_b32_e32 v18, v66
.LBB401_417:                            ; =>This Inner Loop Header: Depth=1
	ds_load_b32 v19, v9
	s_waitcnt lgkmcnt(0)
	v_dual_mul_f32 v19, v13, v19 :: v_dual_add_nc_u32 v18, 0x80, v18
	s_delay_alu instid0(VALU_DEP_1) | instskip(SKIP_3) | instid1(SALU_CYCLE_1)
	v_cmp_ge_i32_e32 vcc_lo, v18, v7
	ds_store_b32 v9, v19
	v_add_nc_u32_e32 v9, 0x200, v9
	s_or_b32 s2, vcc_lo, s2
	s_and_not1_b32 exec_lo, exec_lo, s2
	s_cbranch_execnz .LBB401_417
.LBB401_418:
	s_or_b32 exec_lo, exec_lo, s1
	v_cmp_ne_u16_e64 s1, s8, 0
	s_mov_b32 s2, exec_lo
	s_waitcnt lgkmcnt(0)
	s_barrier
	buffer_gl0_inv
	s_cmp_lg_u32 s1, 0
	s_addc_u32 s1, s7, 0
	v_cmpx_eq_u32_e32 0, v66
	s_cbranch_execz .LBB401_420
; %bb.419:
	s_mul_i32 s3, s1, s4
	s_mul_i32 s8, s1, s12
	s_mul_i32 s12, s3, s16
	s_ashr_i32 s9, s8, 31
	s_ashr_i32 s15, s14, 31
	;; [unrolled: 1-line block ×3, first 2 shown]
	s_lshl_b64 s[8:9], s[8:9], 2
	s_lshl_b64 s[18:19], s[14:15], 2
	;; [unrolled: 1-line block ×3, first 2 shown]
	s_add_u32 s3, s18, s8
	s_addc_u32 s7, s19, s9
	s_add_u32 s3, s3, s12
	s_addc_u32 s7, s7, s13
	v_add_co_u32 v2, vcc_lo, s3, v2
	v_add_co_ci_u32_e32 v3, vcc_lo, s7, v3, vcc_lo
	v_add_co_u32 v0, vcc_lo, s3, v0
	v_add_co_ci_u32_e32 v1, vcc_lo, s7, v1, vcc_lo
	flat_store_b32 v[2:3], v6
	flat_store_b32 v[0:1], v8
.LBB401_420:
	s_or_b32 exec_lo, exec_lo, s2
	s_getpc_b64 s[2:3]
	s_add_u32 s2, s2, llvm.amdgcn.dynlds.offset.table@rel32@lo+4
	s_addc_u32 s3, s3, llvm.amdgcn.dynlds.offset.table@rel32@hi+12
	s_ashr_i32 s11, s10, 31
	v_dual_mov_b32 v29, 0 :: v_dual_mov_b32 v18, 0
	s_lshl_b64 s[8:9], s[10:11], 2
	v_mov_b32_e32 v24, 0
	s_add_u32 s2, s8, s2
	s_addc_u32 s3, s9, s3
	s_mov_b32 s10, 0
	s_load_b32 s11, s[2:3], 0x0
	s_waitcnt lgkmcnt(0)
	v_dual_mov_b32 v19, 0 :: v_dual_mov_b32 v6, s11
	s_and_saveexec_b32 s7, s0
	s_cbranch_execz .LBB401_978
; %bb.421:
	v_max_i32_e32 v25, v30, v84
	v_add_co_u32 v2, vcc_lo, v10, v12
	v_and_b32_e32 v6, 0xf8, v82
	v_dual_mov_b32 v10, 0 :: v_dual_lshlrev_b32 v9, 5, v68
	s_delay_alu instid0(VALU_DEP_4) | instskip(SKIP_1) | instid1(VALU_DEP_4)
	v_cvt_f32_u32_e32 v0, v25
	v_add_co_ci_u32_e32 v3, vcc_lo, v11, v85, vcc_lo
	v_add_co_u32 v11, vcc_lo, v2, v6
	s_delay_alu instid0(VALU_DEP_3)
	v_rcp_iflag_f32_e32 v0, v0
	v_lshl_or_b32 v2, v21, 6, v9
	v_sub_nc_u32_e32 v7, 0, v25
	v_add_co_ci_u32_e32 v12, vcc_lo, 0, v3, vcc_lo
	v_dual_mov_b32 v19, 0 :: v_dual_and_b32 v28, 8, v82
	v_dual_mov_b32 v29, 0 :: v_dual_add_nc_u32 v30, -1, v83
	s_waitcnt_depctr 0xfff
	v_dual_mul_f32 v0, 0x4f7ffffe, v0 :: v_dual_add_nc_u32 v31, s11, v2
	v_mov_b32_e32 v18, 0
	s_mov_b32 s8, -1
	s_mov_b32 s9, 0xffffff
	s_delay_alu instid0(VALU_DEP_2) | instskip(SKIP_1) | instid1(VALU_DEP_2)
	v_cvt_u32_f32_e32 v8, v0
	v_lshlrev_b64 v[0:1], 2, v[48:49]
	v_mul_lo_u32 v7, v7, v8
	s_delay_alu instid0(VALU_DEP_2) | instskip(NEXT) | instid1(VALU_DEP_3)
	v_add_co_u32 v0, vcc_lo, v50, v0
	v_add_co_ci_u32_e32 v1, vcc_lo, v51, v1, vcc_lo
	s_delay_alu instid0(VALU_DEP_2) | instskip(NEXT) | instid1(VALU_DEP_4)
	v_add_co_u32 v13, vcc_lo, v14, v0
	v_mul_hi_u32 v3, v8, v7
	v_mov_b32_e32 v24, 0
	s_delay_alu instid0(VALU_DEP_4) | instskip(NEXT) | instid1(VALU_DEP_3)
	v_add_co_ci_u32_e32 v14, vcc_lo, v15, v1, vcc_lo
	v_add_nc_u32_e32 v15, v8, v3
	s_branch .LBB401_424
.LBB401_422:                            ;   in Loop: Header=BB401_424 Depth=1
	s_or_b32 exec_lo, exec_lo, s0
	v_and_b32_e32 v64, 0xffff0000, v98
	v_and_b32_e32 v52, 0xffff0000, v115
	;; [unrolled: 1-line block ×10, first 2 shown]
	v_dual_add_f32 v6, v6, v7 :: v_dual_add_f32 v7, v53, v52
	v_and_b32_e32 v32, 0xffff0000, v32
	v_and_b32_e32 v35, 0xffff0000, v35
	;; [unrolled: 1-line block ×3, first 2 shown]
	s_delay_alu instid0(VALU_DEP_4) | instskip(NEXT) | instid1(VALU_DEP_4)
	v_dual_add_f32 v6, v6, v7 :: v_dual_and_b32 v37, 0xffff0000, v37
	v_dual_add_f32 v32, v32, v33 :: v_dual_and_b32 v53, 0xffff0000, v99
	s_delay_alu instid0(VALU_DEP_4) | instskip(SKIP_1) | instid1(VALU_DEP_3)
	v_dual_add_f32 v33, v34, v35 :: v_dual_and_b32 v82, 0xffff0000, v118
	v_and_b32_e32 v9, 0xffff0000, v9
	v_dual_add_f32 v53, v64, v53 :: v_dual_and_b32 v36, 0xffff0000, v36
	v_and_b32_e32 v7, 0xffff0000, v103
	v_and_b32_e32 v64, 0xffff0000, v102
	;; [unrolled: 1-line block ×4, first 2 shown]
	v_dual_add_f32 v32, v32, v33 :: v_dual_and_b32 v3, 0xffff0000, v3
	v_add_f32_e32 v33, v36, v37
	v_dual_add_f32 v7, v64, v7 :: v_dual_and_b32 v54, 0xffff0000, v117
	s_delay_alu instid0(VALU_DEP_4) | instskip(SKIP_1) | instid1(VALU_DEP_3)
	v_add_f32_e32 v0, v0, v1
	v_and_b32_e32 v38, 0xffff0000, v38
	v_dual_add_f32 v54, v55, v54 :: v_dual_and_b32 v49, 0xffff0000, v49
	v_and_b32_e32 v55, 0xffff0000, v119
	v_and_b32_e32 v52, 0xffff0000, v101
	s_delay_alu instid0(VALU_DEP_3) | instskip(NEXT) | instid1(VALU_DEP_2)
	v_add_f32_e32 v6, v6, v54
	v_add_f32_e32 v52, v65, v52
	s_delay_alu instid0(VALU_DEP_1) | instskip(NEXT) | instid1(VALU_DEP_1)
	v_dual_add_f32 v52, v53, v52 :: v_dual_add_f32 v53, v82, v55
	v_dual_add_f32 v7, v52, v7 :: v_dual_and_b32 v50, 0xffff0000, v50
	s_delay_alu instid0(VALU_DEP_1) | instskip(NEXT) | instid1(VALU_DEP_1)
	v_dual_add_f32 v1, v3, v50 :: v_dual_and_b32 v54, 0xffff0000, v112
	v_dual_add_f32 v0, v0, v1 :: v_dual_and_b32 v3, 0xffff0000, v51
	s_delay_alu instid0(VALU_DEP_1) | instskip(SKIP_3) | instid1(VALU_DEP_4)
	v_add_f32_e32 v1, v3, v9
	v_add_f32_e32 v9, v32, v33
	;; [unrolled: 1-line block ×3, first 2 shown]
	v_and_b32_e32 v55, 0xffff0000, v113
	v_add_f32_e32 v0, v0, v1
	v_dual_add_f32 v1, v8, v2 :: v_dual_add_f32 v2, v6, v53
	s_delay_alu instid0(VALU_DEP_3) | instskip(NEXT) | instid1(VALU_DEP_2)
	v_dual_add_f32 v6, v9, v32 :: v_dual_add_f32 v3, v54, v55
	v_add_f32_e32 v0, v0, v1
	s_delay_alu instid0(VALU_DEP_3) | instskip(NEXT) | instid1(VALU_DEP_3)
	v_add_f32_e32 v18, v18, v2
	v_dual_add_f32 v24, v24, v6 :: v_dual_add_f32 v3, v7, v3
	s_delay_alu instid0(VALU_DEP_3) | instskip(NEXT) | instid1(VALU_DEP_2)
	v_add_f32_e32 v29, v29, v0
	v_add_f32_e32 v19, v19, v3
.LBB401_423:                            ;   in Loop: Header=BB401_424 Depth=1
	s_or_b32 exec_lo, exec_lo, s11
	v_add_nc_u32_e32 v48, 4, v48
	v_add_co_u32 v13, s0, v13, 16
	s_delay_alu instid0(VALU_DEP_1) | instskip(NEXT) | instid1(VALU_DEP_3)
	v_add_co_ci_u32_e64 v14, s0, 0, v14, s0
	v_cmp_ge_i32_e32 vcc_lo, v48, v80
	v_add_nc_u32_e32 v23, 64, v23
	v_add_nc_u32_e32 v31, 0x100, v31
	s_or_b32 s10, vcc_lo, s10
	s_delay_alu instid0(SALU_CYCLE_1)
	s_and_not1_b32 exec_lo, exec_lo, s10
	s_cbranch_execz .LBB401_977
.LBB401_424:                            ; =>This Inner Loop Header: Depth=1
	v_sub_nc_u32_e32 v0, 0, v23
	s_delay_alu instid0(VALU_DEP_1) | instskip(NEXT) | instid1(VALU_DEP_1)
	v_max_i32_e32 v0, v23, v0
	v_mul_hi_u32 v1, v0, v70
	s_delay_alu instid0(VALU_DEP_1) | instskip(NEXT) | instid1(VALU_DEP_1)
	v_mul_lo_u32 v2, v1, v69
	v_sub_nc_u32_e32 v0, v0, v2
	v_add_nc_u32_e32 v2, 1, v1
	s_delay_alu instid0(VALU_DEP_2) | instskip(SKIP_1) | instid1(VALU_DEP_2)
	v_sub_nc_u32_e32 v3, v0, v69
	v_cmp_ge_u32_e32 vcc_lo, v0, v69
	v_dual_cndmask_b32 v1, v1, v2 :: v_dual_cndmask_b32 v0, v0, v3
	v_ashrrev_i32_e32 v2, 31, v23
	s_delay_alu instid0(VALU_DEP_2) | instskip(NEXT) | instid1(VALU_DEP_3)
	v_add_nc_u32_e32 v3, 1, v1
	v_cmp_ge_u32_e32 vcc_lo, v0, v69
	s_delay_alu instid0(VALU_DEP_3) | instskip(NEXT) | instid1(VALU_DEP_3)
	v_xor_b32_e32 v2, v2, v71
	v_cndmask_b32_e32 v0, v1, v3, vcc_lo
	s_delay_alu instid0(VALU_DEP_1) | instskip(NEXT) | instid1(VALU_DEP_1)
	v_xor_b32_e32 v0, v0, v2
	v_sub_nc_u32_e32 v0, v0, v2
	s_delay_alu instid0(VALU_DEP_1) | instskip(SKIP_1) | instid1(VALU_DEP_2)
	v_add_nc_u32_e32 v1, v0, v20
	v_cmp_gt_i32_e64 s0, v0, v81
	v_sub_nc_u32_e32 v2, 0, v1
	s_delay_alu instid0(VALU_DEP_1) | instskip(NEXT) | instid1(VALU_DEP_1)
	v_max_i32_e32 v2, v1, v2
	v_mul_hi_u32 v3, v2, v15
	s_delay_alu instid0(VALU_DEP_1) | instskip(NEXT) | instid1(VALU_DEP_1)
	v_mul_lo_u32 v3, v3, v25
	v_sub_nc_u32_e32 v2, v2, v3
	s_delay_alu instid0(VALU_DEP_1) | instskip(SKIP_1) | instid1(VALU_DEP_2)
	v_sub_nc_u32_e32 v3, v2, v25
	v_cmp_ge_u32_e32 vcc_lo, v2, v25
	v_cndmask_b32_e32 v2, v2, v3, vcc_lo
	v_ashrrev_i32_e32 v1, 31, v1
	s_delay_alu instid0(VALU_DEP_2) | instskip(SKIP_1) | instid1(VALU_DEP_2)
	v_sub_nc_u32_e32 v3, v2, v25
	v_cmp_ge_u32_e32 vcc_lo, v2, v25
	v_cndmask_b32_e32 v2, v2, v3, vcc_lo
	s_delay_alu instid0(VALU_DEP_1) | instskip(NEXT) | instid1(VALU_DEP_1)
	v_xor_b32_e32 v2, v2, v1
	v_sub_nc_u32_e32 v1, v2, v1
	s_delay_alu instid0(VALU_DEP_1) | instskip(SKIP_1) | instid1(SALU_CYCLE_1)
	v_cmp_eq_u32_e32 vcc_lo, 0, v1
	s_or_b32 s0, vcc_lo, s0
	s_and_saveexec_b32 s11, s0
	s_cbranch_execz .LBB401_423
; %bb.425:                              ;   in Loop: Header=BB401_424 Depth=1
	flat_load_b32 v50, v[13:14]
	ds_load_2addr_b64 v[6:9], v31 offset1:1
	ds_load_2addr_b64 v[0:3], v31 offset0:2 offset1:3
	s_waitcnt lgkmcnt(1)
	v_and_b32_e32 v32, 0x7f800000, v6
	s_delay_alu instid0(VALU_DEP_1) | instskip(SKIP_1) | instid1(SALU_CYCLE_1)
	v_cmp_ne_u32_e32 vcc_lo, 0x7f800000, v32
                                        ; implicit-def: $vgpr32
	s_and_saveexec_b32 s0, vcc_lo
	s_xor_b32 s0, exec_lo, s0
; %bb.426:                              ;   in Loop: Header=BB401_424 Depth=1
	v_bfe_u32 v32, v6, 16, 1
	s_delay_alu instid0(VALU_DEP_1)
	v_add3_u32 v32, v6, v32, 0x7fff
; %bb.427:                              ;   in Loop: Header=BB401_424 Depth=1
	s_and_not1_saveexec_b32 s0, s0
; %bb.428:                              ;   in Loop: Header=BB401_424 Depth=1
	v_and_b32_e32 v32, 0xffff, v6
	v_or_b32_e32 v33, 0x10000, v6
	s_delay_alu instid0(VALU_DEP_2) | instskip(NEXT) | instid1(VALU_DEP_2)
	v_cmp_eq_u32_e32 vcc_lo, 0, v32
	v_cndmask_b32_e32 v32, v33, v6, vcc_lo
; %bb.429:                              ;   in Loop: Header=BB401_424 Depth=1
	s_or_b32 exec_lo, exec_lo, s0
	v_and_b32_e32 v6, 0x7f800000, v7
	s_mov_b32 s0, exec_lo
                                        ; implicit-def: $vgpr33
	s_delay_alu instid0(VALU_DEP_1)
	v_cmpx_ne_u32_e32 0x7f800000, v6
	s_xor_b32 s0, exec_lo, s0
; %bb.430:                              ;   in Loop: Header=BB401_424 Depth=1
	v_bfe_u32 v6, v7, 16, 1
	s_delay_alu instid0(VALU_DEP_1)
	v_add3_u32 v33, v7, v6, 0x7fff
; %bb.431:                              ;   in Loop: Header=BB401_424 Depth=1
	s_and_not1_saveexec_b32 s0, s0
; %bb.432:                              ;   in Loop: Header=BB401_424 Depth=1
	v_and_b32_e32 v6, 0xffff, v7
	v_or_b32_e32 v33, 0x10000, v7
	s_delay_alu instid0(VALU_DEP_2) | instskip(NEXT) | instid1(VALU_DEP_2)
	v_cmp_eq_u32_e32 vcc_lo, 0, v6
	v_cndmask_b32_e32 v33, v33, v7, vcc_lo
; %bb.433:                              ;   in Loop: Header=BB401_424 Depth=1
	s_or_b32 exec_lo, exec_lo, s0
	v_and_b32_e32 v6, 0x7f800000, v8
	s_mov_b32 s0, exec_lo
                                        ; implicit-def: $vgpr34
	s_delay_alu instid0(VALU_DEP_1)
	v_cmpx_ne_u32_e32 0x7f800000, v6
	s_xor_b32 s0, exec_lo, s0
; %bb.434:                              ;   in Loop: Header=BB401_424 Depth=1
	v_bfe_u32 v6, v8, 16, 1
	s_delay_alu instid0(VALU_DEP_1)
	v_add3_u32 v34, v8, v6, 0x7fff
; %bb.435:                              ;   in Loop: Header=BB401_424 Depth=1
	s_and_not1_saveexec_b32 s0, s0
; %bb.436:                              ;   in Loop: Header=BB401_424 Depth=1
	v_and_b32_e32 v6, 0xffff, v8
	v_or_b32_e32 v7, 0x10000, v8
	s_delay_alu instid0(VALU_DEP_2) | instskip(NEXT) | instid1(VALU_DEP_2)
	v_cmp_eq_u32_e32 vcc_lo, 0, v6
	v_cndmask_b32_e32 v34, v7, v8, vcc_lo
; %bb.437:                              ;   in Loop: Header=BB401_424 Depth=1
	s_or_b32 exec_lo, exec_lo, s0
	v_and_b32_e32 v6, 0x7f800000, v9
	s_mov_b32 s0, exec_lo
                                        ; implicit-def: $vgpr35
	s_delay_alu instid0(VALU_DEP_1)
	v_cmpx_ne_u32_e32 0x7f800000, v6
	s_xor_b32 s0, exec_lo, s0
; %bb.438:                              ;   in Loop: Header=BB401_424 Depth=1
	v_bfe_u32 v6, v9, 16, 1
	s_delay_alu instid0(VALU_DEP_1)
	v_add3_u32 v35, v9, v6, 0x7fff
                                        ; implicit-def: $vgpr6_vgpr7_vgpr8_vgpr9
; %bb.439:                              ;   in Loop: Header=BB401_424 Depth=1
	s_and_not1_saveexec_b32 s0, s0
; %bb.440:                              ;   in Loop: Header=BB401_424 Depth=1
	v_and_b32_e32 v6, 0xffff, v9
	v_or_b32_e32 v7, 0x10000, v9
	s_delay_alu instid0(VALU_DEP_2) | instskip(NEXT) | instid1(VALU_DEP_2)
	v_cmp_eq_u32_e32 vcc_lo, 0, v6
	v_cndmask_b32_e32 v35, v7, v9, vcc_lo
; %bb.441:                              ;   in Loop: Header=BB401_424 Depth=1
	s_or_b32 exec_lo, exec_lo, s0
	s_waitcnt lgkmcnt(0)
	v_and_b32_e32 v6, 0x7f800000, v0
	s_mov_b32 s0, exec_lo
                                        ; implicit-def: $vgpr36
	s_delay_alu instid0(VALU_DEP_1)
	v_cmpx_ne_u32_e32 0x7f800000, v6
	s_xor_b32 s0, exec_lo, s0
; %bb.442:                              ;   in Loop: Header=BB401_424 Depth=1
	v_bfe_u32 v6, v0, 16, 1
	s_delay_alu instid0(VALU_DEP_1)
	v_add3_u32 v36, v0, v6, 0x7fff
; %bb.443:                              ;   in Loop: Header=BB401_424 Depth=1
	s_and_not1_saveexec_b32 s0, s0
; %bb.444:                              ;   in Loop: Header=BB401_424 Depth=1
	v_and_b32_e32 v6, 0xffff, v0
	v_or_b32_e32 v7, 0x10000, v0
	s_delay_alu instid0(VALU_DEP_2) | instskip(NEXT) | instid1(VALU_DEP_2)
	v_cmp_eq_u32_e32 vcc_lo, 0, v6
	v_cndmask_b32_e32 v36, v7, v0, vcc_lo
; %bb.445:                              ;   in Loop: Header=BB401_424 Depth=1
	s_or_b32 exec_lo, exec_lo, s0
	v_and_b32_e32 v0, 0x7f800000, v1
	s_mov_b32 s0, exec_lo
                                        ; implicit-def: $vgpr37
	s_delay_alu instid0(VALU_DEP_1)
	v_cmpx_ne_u32_e32 0x7f800000, v0
	s_xor_b32 s0, exec_lo, s0
; %bb.446:                              ;   in Loop: Header=BB401_424 Depth=1
	v_bfe_u32 v0, v1, 16, 1
	s_delay_alu instid0(VALU_DEP_1)
	v_add3_u32 v37, v1, v0, 0x7fff
; %bb.447:                              ;   in Loop: Header=BB401_424 Depth=1
	s_and_not1_saveexec_b32 s0, s0
; %bb.448:                              ;   in Loop: Header=BB401_424 Depth=1
	v_and_b32_e32 v0, 0xffff, v1
	v_or_b32_e32 v6, 0x10000, v1
	s_delay_alu instid0(VALU_DEP_2) | instskip(NEXT) | instid1(VALU_DEP_2)
	v_cmp_eq_u32_e32 vcc_lo, 0, v0
	v_cndmask_b32_e32 v37, v6, v1, vcc_lo
; %bb.449:                              ;   in Loop: Header=BB401_424 Depth=1
	s_or_b32 exec_lo, exec_lo, s0
	v_and_b32_e32 v0, 0x7f800000, v2
	s_mov_b32 s0, exec_lo
                                        ; implicit-def: $vgpr38
	s_delay_alu instid0(VALU_DEP_1)
	v_cmpx_ne_u32_e32 0x7f800000, v0
	s_xor_b32 s0, exec_lo, s0
; %bb.450:                              ;   in Loop: Header=BB401_424 Depth=1
	v_bfe_u32 v0, v2, 16, 1
	s_delay_alu instid0(VALU_DEP_1)
	v_add3_u32 v38, v2, v0, 0x7fff
; %bb.451:                              ;   in Loop: Header=BB401_424 Depth=1
	s_and_not1_saveexec_b32 s0, s0
; %bb.452:                              ;   in Loop: Header=BB401_424 Depth=1
	v_and_b32_e32 v0, 0xffff, v2
	v_or_b32_e32 v1, 0x10000, v2
	s_delay_alu instid0(VALU_DEP_2) | instskip(NEXT) | instid1(VALU_DEP_2)
	v_cmp_eq_u32_e32 vcc_lo, 0, v0
	v_cndmask_b32_e32 v38, v1, v2, vcc_lo
; %bb.453:                              ;   in Loop: Header=BB401_424 Depth=1
	s_or_b32 exec_lo, exec_lo, s0
	v_and_b32_e32 v0, 0x7f800000, v3
	s_mov_b32 s0, exec_lo
                                        ; implicit-def: $vgpr49
	s_delay_alu instid0(VALU_DEP_1)
	v_cmpx_ne_u32_e32 0x7f800000, v0
	s_xor_b32 s0, exec_lo, s0
; %bb.454:                              ;   in Loop: Header=BB401_424 Depth=1
	v_bfe_u32 v0, v3, 16, 1
	s_delay_alu instid0(VALU_DEP_1)
	v_add3_u32 v49, v3, v0, 0x7fff
                                        ; implicit-def: $vgpr0_vgpr1_vgpr2_vgpr3
; %bb.455:                              ;   in Loop: Header=BB401_424 Depth=1
	s_and_not1_saveexec_b32 s0, s0
; %bb.456:                              ;   in Loop: Header=BB401_424 Depth=1
	v_and_b32_e32 v0, 0xffff, v3
	v_or_b32_e32 v1, 0x10000, v3
	s_delay_alu instid0(VALU_DEP_2) | instskip(NEXT) | instid1(VALU_DEP_2)
	v_cmp_eq_u32_e32 vcc_lo, 0, v0
	v_cndmask_b32_e32 v49, v1, v3, vcc_lo
; %bb.457:                              ;   in Loop: Header=BB401_424 Depth=1
	s_or_b32 exec_lo, exec_lo, s0
	s_waitcnt vmcnt(0)
	v_mad_i64_i32 v[0:1], null, v50, v22, v[11:12]
	s_mov_b32 s0, exec_lo
	flat_load_b64 v[2:3], v[0:1]
	flat_load_b32 v8, v[26:27]
	s_waitcnt vmcnt(1) lgkmcnt(1)
	v_dual_mov_b32 v6, 0 :: v_dual_and_b32 v7, 0xff, v2
	s_delay_alu instid0(VALU_DEP_1)
	v_cmpx_ne_u16_e32 0, v7
	s_cbranch_execz .LBB401_465
; %bb.458:                              ;   in Loop: Header=BB401_424 Depth=1
	v_bfrev_b32_e32 v6, 1
	s_mov_b32 s12, exec_lo
	v_cmpx_ne_u16_e32 0x80, v7
	s_cbranch_execz .LBB401_464
; %bb.459:                              ;   in Loop: Header=BB401_424 Depth=1
	v_and_b32_e32 v7, 0x7f, v2
	v_mov_b32_e32 v6, 0x7f800001
	s_mov_b32 s13, exec_lo
	s_delay_alu instid0(VALU_DEP_2)
	v_cmpx_ne_u32_e32 0x7f, v7
	s_cbranch_execz .LBB401_463
; %bb.460:                              ;   in Loop: Header=BB401_424 Depth=1
	v_lshrrev_b32_e32 v9, 3, v7
	v_cmp_gt_u32_e32 vcc_lo, 8, v7
	v_dual_mov_b32 v7, v3 :: v_dual_mov_b32 v6, v2
	s_and_saveexec_b32 s15, vcc_lo
; %bb.461:                              ;   in Loop: Header=BB401_424 Depth=1
	v_and_b32_e32 v6, 7, v2
	s_delay_alu instid0(VALU_DEP_1) | instskip(NEXT) | instid1(VALU_DEP_1)
	v_clz_i32_u32_e32 v6, v6
	v_min_u32_e32 v9, 32, v6
	s_delay_alu instid0(VALU_DEP_1) | instskip(SKIP_1) | instid1(VALU_DEP_2)
	v_subrev_nc_u32_e32 v6, 28, v9
	v_sub_nc_u32_e32 v9, 29, v9
	v_lshlrev_b64 v[6:7], v6, v[2:3]
; %bb.462:                              ;   in Loop: Header=BB401_424 Depth=1
	s_or_b32 exec_lo, exec_lo, s15
	s_delay_alu instid0(VALU_DEP_1) | instskip(SKIP_2) | instid1(VALU_DEP_3)
	v_lshlrev_b32_e32 v6, 20, v6
	v_lshlrev_b32_e32 v7, 24, v2
	v_lshl_add_u32 v9, v9, 23, 0x3c000000
	v_and_b32_e32 v6, 0x700000, v6
	s_delay_alu instid0(VALU_DEP_3) | instskip(NEXT) | instid1(VALU_DEP_1)
	v_and_b32_e32 v7, 0x80000000, v7
	v_or3_b32 v6, v6, v7, v9
.LBB401_463:                            ;   in Loop: Header=BB401_424 Depth=1
	s_or_b32 exec_lo, exec_lo, s13
.LBB401_464:                            ;   in Loop: Header=BB401_424 Depth=1
	s_delay_alu instid0(SALU_CYCLE_1)
	s_or_b32 exec_lo, exec_lo, s12
.LBB401_465:                            ;   in Loop: Header=BB401_424 Depth=1
	s_delay_alu instid0(SALU_CYCLE_1) | instskip(SKIP_3) | instid1(VALU_DEP_1)
	s_or_b32 exec_lo, exec_lo, s0
	s_waitcnt vmcnt(0) lgkmcnt(0)
	v_mul_f32_e32 v6, v8, v6
	s_mov_b32 s0, exec_lo
                                        ; implicit-def: $vgpr51
	v_and_b32_e32 v7, 0x7f800000, v6
	s_delay_alu instid0(VALU_DEP_1)
	v_cmpx_ne_u32_e32 0x7f800000, v7
	s_xor_b32 s0, exec_lo, s0
; %bb.466:                              ;   in Loop: Header=BB401_424 Depth=1
	v_bfe_u32 v7, v6, 16, 1
	s_delay_alu instid0(VALU_DEP_1)
	v_add3_u32 v51, v6, v7, 0x7fff
                                        ; implicit-def: $vgpr6
; %bb.467:                              ;   in Loop: Header=BB401_424 Depth=1
	s_and_not1_saveexec_b32 s0, s0
; %bb.468:                              ;   in Loop: Header=BB401_424 Depth=1
	v_and_b32_e32 v7, 0xffff, v6
	v_or_b32_e32 v9, 0x10000, v6
	s_delay_alu instid0(VALU_DEP_2) | instskip(NEXT) | instid1(VALU_DEP_2)
	v_cmp_eq_u32_e32 vcc_lo, 0, v7
	v_cndmask_b32_e32 v51, v9, v6, vcc_lo
; %bb.469:                              ;   in Loop: Header=BB401_424 Depth=1
	s_or_b32 exec_lo, exec_lo, s0
	v_lshrrev_b16 v7, 8, v2
	v_mov_b32_e32 v6, 0
	s_mov_b32 s0, exec_lo
	s_delay_alu instid0(VALU_DEP_2)
	v_cmpx_ne_u16_e32 0, v7
	s_cbranch_execz .LBB401_477
; %bb.470:                              ;   in Loop: Header=BB401_424 Depth=1
	v_bfrev_b32_e32 v6, 1
	s_mov_b32 s12, exec_lo
	v_cmpx_ne_u16_e32 0x80, v7
	s_cbranch_execz .LBB401_476
; %bb.471:                              ;   in Loop: Header=BB401_424 Depth=1
	v_and_b32_e32 v9, 0xffff, v7
	v_mov_b32_e32 v6, 0x7f800001
	s_mov_b32 s13, exec_lo
	s_delay_alu instid0(VALU_DEP_2) | instskip(NEXT) | instid1(VALU_DEP_1)
	v_and_b32_e32 v7, 0x7f, v9
	v_cmpx_ne_u32_e32 0x7f, v7
	s_cbranch_execz .LBB401_475
; %bb.472:                              ;   in Loop: Header=BB401_424 Depth=1
	v_and_b32_e32 v9, 7, v9
	v_lshrrev_b32_e32 v6, 3, v7
	s_mov_b32 s15, exec_lo
	v_cmpx_gt_u32_e32 8, v7
; %bb.473:                              ;   in Loop: Header=BB401_424 Depth=1
	s_delay_alu instid0(VALU_DEP_3) | instskip(NEXT) | instid1(VALU_DEP_1)
	v_clz_i32_u32_e32 v6, v9
	v_min_u32_e32 v6, 32, v6
	s_delay_alu instid0(VALU_DEP_1) | instskip(SKIP_1) | instid1(VALU_DEP_2)
	v_subrev_nc_u32_e32 v7, 28, v6
	v_sub_nc_u32_e32 v6, 29, v6
	v_lshlrev_b64 v[52:53], v7, v[9:10]
	s_delay_alu instid0(VALU_DEP_1)
	v_and_b32_e32 v9, 7, v52
; %bb.474:                              ;   in Loop: Header=BB401_424 Depth=1
	s_or_b32 exec_lo, exec_lo, s15
	v_lshlrev_b32_e32 v7, 16, v2
	s_delay_alu instid0(VALU_DEP_2) | instskip(SKIP_1) | instid1(VALU_DEP_3)
	v_lshlrev_b32_e32 v9, 20, v9
	v_lshl_add_u32 v6, v6, 23, 0x3c000000
	v_and_b32_e32 v7, 0x80000000, v7
	s_delay_alu instid0(VALU_DEP_1)
	v_or3_b32 v6, v9, v7, v6
.LBB401_475:                            ;   in Loop: Header=BB401_424 Depth=1
	s_or_b32 exec_lo, exec_lo, s13
.LBB401_476:                            ;   in Loop: Header=BB401_424 Depth=1
	s_delay_alu instid0(SALU_CYCLE_1)
	s_or_b32 exec_lo, exec_lo, s12
.LBB401_477:                            ;   in Loop: Header=BB401_424 Depth=1
	s_delay_alu instid0(SALU_CYCLE_1) | instskip(NEXT) | instid1(VALU_DEP_1)
	s_or_b32 exec_lo, exec_lo, s0
	v_mul_f32_e32 v6, v8, v6
	s_mov_b32 s0, exec_lo
                                        ; implicit-def: $vgpr52
	s_delay_alu instid0(VALU_DEP_1) | instskip(NEXT) | instid1(VALU_DEP_1)
	v_and_b32_e32 v7, 0x7f800000, v6
	v_cmpx_ne_u32_e32 0x7f800000, v7
	s_xor_b32 s0, exec_lo, s0
; %bb.478:                              ;   in Loop: Header=BB401_424 Depth=1
	v_bfe_u32 v7, v6, 16, 1
	s_delay_alu instid0(VALU_DEP_1)
	v_add3_u32 v52, v6, v7, 0x7fff
                                        ; implicit-def: $vgpr6
; %bb.479:                              ;   in Loop: Header=BB401_424 Depth=1
	s_and_not1_saveexec_b32 s0, s0
; %bb.480:                              ;   in Loop: Header=BB401_424 Depth=1
	v_and_b32_e32 v7, 0xffff, v6
	v_or_b32_e32 v9, 0x10000, v6
	s_delay_alu instid0(VALU_DEP_2) | instskip(NEXT) | instid1(VALU_DEP_2)
	v_cmp_eq_u32_e32 vcc_lo, 0, v7
	v_cndmask_b32_e32 v52, v9, v6, vcc_lo
; %bb.481:                              ;   in Loop: Header=BB401_424 Depth=1
	s_or_b32 exec_lo, exec_lo, s0
	v_lshrrev_b32_e32 v6, 16, v2
	v_mov_b32_e32 v7, 0
	s_mov_b32 s0, exec_lo
	s_delay_alu instid0(VALU_DEP_2) | instskip(NEXT) | instid1(VALU_DEP_1)
	v_and_b32_e32 v9, 0xff, v6
	v_cmpx_ne_u16_e32 0, v9
	s_cbranch_execz .LBB401_489
; %bb.482:                              ;   in Loop: Header=BB401_424 Depth=1
	v_bfrev_b32_e32 v7, 1
	s_mov_b32 s12, exec_lo
	v_cmpx_ne_u16_e32 0x80, v9
	s_cbranch_execz .LBB401_488
; %bb.483:                              ;   in Loop: Header=BB401_424 Depth=1
	v_bfe_u32 v50, v2, 16, 7
	v_mov_b32_e32 v7, 0x7f800001
	s_mov_b32 s13, exec_lo
	s_delay_alu instid0(VALU_DEP_2)
	v_cmpx_ne_u32_e32 0x7f, v50
	s_cbranch_execz .LBB401_487
; %bb.484:                              ;   in Loop: Header=BB401_424 Depth=1
	v_and_b32_e32 v9, 7, v6
	v_lshrrev_b32_e32 v7, 3, v50
	s_mov_b32 s15, exec_lo
	v_cmpx_gt_u32_e32 8, v50
; %bb.485:                              ;   in Loop: Header=BB401_424 Depth=1
	s_delay_alu instid0(VALU_DEP_3) | instskip(NEXT) | instid1(VALU_DEP_1)
	v_clz_i32_u32_e32 v7, v9
	v_min_u32_e32 v7, 32, v7
	s_delay_alu instid0(VALU_DEP_1) | instskip(SKIP_1) | instid1(VALU_DEP_2)
	v_subrev_nc_u32_e32 v50, 28, v7
	v_sub_nc_u32_e32 v7, 29, v7
	v_lshlrev_b64 v[53:54], v50, v[9:10]
	s_delay_alu instid0(VALU_DEP_1)
	v_and_b32_e32 v9, 7, v53
; %bb.486:                              ;   in Loop: Header=BB401_424 Depth=1
	s_or_b32 exec_lo, exec_lo, s15
	v_lshlrev_b32_e32 v6, 24, v6
	s_delay_alu instid0(VALU_DEP_2) | instskip(SKIP_1) | instid1(VALU_DEP_3)
	v_lshlrev_b32_e32 v9, 20, v9
	v_lshl_add_u32 v7, v7, 23, 0x3c000000
	v_and_b32_e32 v6, 0x80000000, v6
	s_delay_alu instid0(VALU_DEP_1)
	v_or3_b32 v7, v9, v6, v7
.LBB401_487:                            ;   in Loop: Header=BB401_424 Depth=1
	s_or_b32 exec_lo, exec_lo, s13
.LBB401_488:                            ;   in Loop: Header=BB401_424 Depth=1
	s_delay_alu instid0(SALU_CYCLE_1)
	s_or_b32 exec_lo, exec_lo, s12
.LBB401_489:                            ;   in Loop: Header=BB401_424 Depth=1
	s_delay_alu instid0(SALU_CYCLE_1) | instskip(NEXT) | instid1(VALU_DEP_1)
	s_or_b32 exec_lo, exec_lo, s0
	v_mul_f32_e32 v6, v8, v7
	s_mov_b32 s0, exec_lo
                                        ; implicit-def: $vgpr53
	s_delay_alu instid0(VALU_DEP_1) | instskip(NEXT) | instid1(VALU_DEP_1)
	v_and_b32_e32 v7, 0x7f800000, v6
	v_cmpx_ne_u32_e32 0x7f800000, v7
	s_xor_b32 s0, exec_lo, s0
; %bb.490:                              ;   in Loop: Header=BB401_424 Depth=1
	v_bfe_u32 v7, v6, 16, 1
	s_delay_alu instid0(VALU_DEP_1)
	v_add3_u32 v53, v6, v7, 0x7fff
                                        ; implicit-def: $vgpr6
; %bb.491:                              ;   in Loop: Header=BB401_424 Depth=1
	s_and_not1_saveexec_b32 s0, s0
; %bb.492:                              ;   in Loop: Header=BB401_424 Depth=1
	v_and_b32_e32 v7, 0xffff, v6
	v_or_b32_e32 v9, 0x10000, v6
	s_delay_alu instid0(VALU_DEP_2) | instskip(NEXT) | instid1(VALU_DEP_2)
	v_cmp_eq_u32_e32 vcc_lo, 0, v7
	v_cndmask_b32_e32 v53, v9, v6, vcc_lo
; %bb.493:                              ;   in Loop: Header=BB401_424 Depth=1
	s_or_b32 exec_lo, exec_lo, s0
	v_mov_b32_e32 v7, 0
	s_mov_b32 s0, exec_lo
	v_cmpx_lt_u32_e32 0xffffff, v2
	s_cbranch_execz .LBB401_501
; %bb.494:                              ;   in Loop: Header=BB401_424 Depth=1
	v_lshrrev_b32_e32 v6, 24, v2
	v_bfrev_b32_e32 v7, 1
	s_mov_b32 s12, exec_lo
	s_delay_alu instid0(VALU_DEP_2)
	v_cmpx_ne_u32_e32 0x80, v6
	s_cbranch_execz .LBB401_500
; %bb.495:                              ;   in Loop: Header=BB401_424 Depth=1
	v_bfe_u32 v50, v2, 24, 7
	v_mov_b32_e32 v7, 0x7f800001
	s_mov_b32 s13, exec_lo
	s_delay_alu instid0(VALU_DEP_2)
	v_cmpx_ne_u32_e32 0x7f, v50
	s_cbranch_execz .LBB401_499
; %bb.496:                              ;   in Loop: Header=BB401_424 Depth=1
	v_and_b32_e32 v9, 7, v6
	v_lshrrev_b32_e32 v7, 3, v50
	s_mov_b32 s15, exec_lo
	v_cmpx_gt_u32_e32 8, v50
; %bb.497:                              ;   in Loop: Header=BB401_424 Depth=1
	s_delay_alu instid0(VALU_DEP_3) | instskip(NEXT) | instid1(VALU_DEP_1)
	v_clz_i32_u32_e32 v7, v9
	v_min_u32_e32 v7, 32, v7
	s_delay_alu instid0(VALU_DEP_1) | instskip(SKIP_1) | instid1(VALU_DEP_2)
	v_subrev_nc_u32_e32 v50, 28, v7
	v_sub_nc_u32_e32 v7, 29, v7
	v_lshlrev_b64 v[54:55], v50, v[9:10]
	s_delay_alu instid0(VALU_DEP_1)
	v_and_b32_e32 v9, 7, v54
; %bb.498:                              ;   in Loop: Header=BB401_424 Depth=1
	s_or_b32 exec_lo, exec_lo, s15
	v_lshlrev_b32_e32 v6, 24, v6
	s_delay_alu instid0(VALU_DEP_2) | instskip(SKIP_1) | instid1(VALU_DEP_3)
	v_lshlrev_b32_e32 v9, 20, v9
	v_lshl_add_u32 v7, v7, 23, 0x3c000000
	v_and_b32_e32 v6, 0x80000000, v6
	s_delay_alu instid0(VALU_DEP_1)
	v_or3_b32 v7, v9, v6, v7
.LBB401_499:                            ;   in Loop: Header=BB401_424 Depth=1
	s_or_b32 exec_lo, exec_lo, s13
.LBB401_500:                            ;   in Loop: Header=BB401_424 Depth=1
	s_delay_alu instid0(SALU_CYCLE_1)
	s_or_b32 exec_lo, exec_lo, s12
.LBB401_501:                            ;   in Loop: Header=BB401_424 Depth=1
	s_delay_alu instid0(SALU_CYCLE_1) | instskip(NEXT) | instid1(VALU_DEP_1)
	s_or_b32 exec_lo, exec_lo, s0
	v_mul_f32_e32 v6, v8, v7
	s_mov_b32 s0, exec_lo
                                        ; implicit-def: $vgpr54
	s_delay_alu instid0(VALU_DEP_1) | instskip(NEXT) | instid1(VALU_DEP_1)
	v_and_b32_e32 v7, 0x7f800000, v6
	v_cmpx_ne_u32_e32 0x7f800000, v7
	s_xor_b32 s0, exec_lo, s0
; %bb.502:                              ;   in Loop: Header=BB401_424 Depth=1
	v_bfe_u32 v7, v6, 16, 1
	s_delay_alu instid0(VALU_DEP_1)
	v_add3_u32 v54, v6, v7, 0x7fff
                                        ; implicit-def: $vgpr6
; %bb.503:                              ;   in Loop: Header=BB401_424 Depth=1
	s_and_not1_saveexec_b32 s0, s0
; %bb.504:                              ;   in Loop: Header=BB401_424 Depth=1
	v_and_b32_e32 v7, 0xffff, v6
	v_or_b32_e32 v9, 0x10000, v6
	s_delay_alu instid0(VALU_DEP_2) | instskip(NEXT) | instid1(VALU_DEP_2)
	v_cmp_eq_u32_e32 vcc_lo, 0, v7
	v_cndmask_b32_e32 v54, v9, v6, vcc_lo
; %bb.505:                              ;   in Loop: Header=BB401_424 Depth=1
	s_or_b32 exec_lo, exec_lo, s0
	v_dual_mov_b32 v6, 0 :: v_dual_and_b32 v7, 0xff, v3
	v_mov_b32_e32 v9, v3
	s_mov_b32 s0, exec_lo
	s_delay_alu instid0(VALU_DEP_2)
	v_cmpx_ne_u16_e32 0, v7
	s_cbranch_execz .LBB401_513
; %bb.506:                              ;   in Loop: Header=BB401_424 Depth=1
	v_bfrev_b32_e32 v6, 1
	s_mov_b32 s12, exec_lo
	v_cmpx_ne_u16_e32 0x80, v7
	s_cbranch_execz .LBB401_512
; %bb.507:                              ;   in Loop: Header=BB401_424 Depth=1
	v_and_b32_e32 v7, 0x7f, v3
	v_mov_b32_e32 v6, 0x7f800001
	s_mov_b32 s13, exec_lo
	s_delay_alu instid0(VALU_DEP_2)
	v_cmpx_ne_u32_e32 0x7f, v7
	s_cbranch_execz .LBB401_511
; %bb.508:                              ;   in Loop: Header=BB401_424 Depth=1
	v_lshrrev_b32_e32 v50, 3, v7
	v_cmp_gt_u32_e32 vcc_lo, 8, v7
	v_dual_mov_b32 v6, v9 :: v_dual_mov_b32 v7, v10
	s_and_saveexec_b32 s15, vcc_lo
; %bb.509:                              ;   in Loop: Header=BB401_424 Depth=1
	v_and_b32_e32 v6, 7, v3
	s_delay_alu instid0(VALU_DEP_1) | instskip(NEXT) | instid1(VALU_DEP_1)
	v_clz_i32_u32_e32 v6, v6
	v_min_u32_e32 v50, 32, v6
	s_delay_alu instid0(VALU_DEP_1) | instskip(SKIP_1) | instid1(VALU_DEP_2)
	v_subrev_nc_u32_e32 v6, 28, v50
	v_sub_nc_u32_e32 v50, 29, v50
	v_lshlrev_b64 v[6:7], v6, v[9:10]
; %bb.510:                              ;   in Loop: Header=BB401_424 Depth=1
	s_or_b32 exec_lo, exec_lo, s15
	s_delay_alu instid0(VALU_DEP_1) | instskip(SKIP_2) | instid1(VALU_DEP_3)
	v_lshlrev_b32_e32 v6, 20, v6
	v_lshlrev_b32_e32 v7, 24, v9
	v_lshl_add_u32 v50, v50, 23, 0x3c000000
	v_and_b32_e32 v6, 0x700000, v6
	s_delay_alu instid0(VALU_DEP_3) | instskip(NEXT) | instid1(VALU_DEP_1)
	v_and_b32_e32 v7, 0x80000000, v7
	v_or3_b32 v6, v6, v7, v50
.LBB401_511:                            ;   in Loop: Header=BB401_424 Depth=1
	s_or_b32 exec_lo, exec_lo, s13
.LBB401_512:                            ;   in Loop: Header=BB401_424 Depth=1
	s_delay_alu instid0(SALU_CYCLE_1)
	s_or_b32 exec_lo, exec_lo, s12
.LBB401_513:                            ;   in Loop: Header=BB401_424 Depth=1
	s_delay_alu instid0(SALU_CYCLE_1) | instskip(NEXT) | instid1(VALU_DEP_1)
	s_or_b32 exec_lo, exec_lo, s0
	v_mul_f32_e32 v6, v8, v6
	s_mov_b32 s0, exec_lo
                                        ; implicit-def: $vgpr55
	s_delay_alu instid0(VALU_DEP_1) | instskip(NEXT) | instid1(VALU_DEP_1)
	v_and_b32_e32 v7, 0x7f800000, v6
	v_cmpx_ne_u32_e32 0x7f800000, v7
	s_xor_b32 s0, exec_lo, s0
; %bb.514:                              ;   in Loop: Header=BB401_424 Depth=1
	v_bfe_u32 v7, v6, 16, 1
	s_delay_alu instid0(VALU_DEP_1)
	v_add3_u32 v55, v6, v7, 0x7fff
                                        ; implicit-def: $vgpr6
; %bb.515:                              ;   in Loop: Header=BB401_424 Depth=1
	s_and_not1_saveexec_b32 s0, s0
; %bb.516:                              ;   in Loop: Header=BB401_424 Depth=1
	v_and_b32_e32 v7, 0xffff, v6
	v_or_b32_e32 v50, 0x10000, v6
	s_delay_alu instid0(VALU_DEP_2) | instskip(NEXT) | instid1(VALU_DEP_2)
	v_cmp_eq_u32_e32 vcc_lo, 0, v7
	v_cndmask_b32_e32 v55, v50, v6, vcc_lo
; %bb.517:                              ;   in Loop: Header=BB401_424 Depth=1
	s_or_b32 exec_lo, exec_lo, s0
	v_lshrrev_b16 v7, 8, v9
	v_mov_b32_e32 v6, 0
	s_mov_b32 s0, exec_lo
	s_delay_alu instid0(VALU_DEP_2)
	v_cmpx_ne_u16_e32 0, v7
	s_cbranch_execz .LBB401_525
; %bb.518:                              ;   in Loop: Header=BB401_424 Depth=1
	v_bfrev_b32_e32 v6, 1
	s_mov_b32 s12, exec_lo
	v_cmpx_ne_u16_e32 0x80, v7
	s_cbranch_execz .LBB401_524
; %bb.519:                              ;   in Loop: Header=BB401_424 Depth=1
	v_and_b32_e32 v7, 0xffff, v7
	v_mov_b32_e32 v6, 0x7f800001
	s_mov_b32 s13, exec_lo
	s_delay_alu instid0(VALU_DEP_2) | instskip(NEXT) | instid1(VALU_DEP_1)
	v_and_b32_e32 v64, 0x7f, v7
	v_cmpx_ne_u32_e32 0x7f, v64
	s_cbranch_execz .LBB401_523
; %bb.520:                              ;   in Loop: Header=BB401_424 Depth=1
	v_dual_mov_b32 v7, v10 :: v_dual_and_b32 v6, 7, v7
	v_lshrrev_b32_e32 v50, 3, v64
	s_mov_b32 s15, exec_lo
	v_cmpx_gt_u32_e32 8, v64
; %bb.521:                              ;   in Loop: Header=BB401_424 Depth=1
	s_delay_alu instid0(VALU_DEP_3) | instskip(NEXT) | instid1(VALU_DEP_1)
	v_clz_i32_u32_e32 v50, v6
	v_min_u32_e32 v50, 32, v50
	s_delay_alu instid0(VALU_DEP_1) | instskip(SKIP_1) | instid1(VALU_DEP_2)
	v_subrev_nc_u32_e32 v64, 28, v50
	v_sub_nc_u32_e32 v50, 29, v50
	v_lshlrev_b64 v[6:7], v64, v[6:7]
	s_delay_alu instid0(VALU_DEP_1)
	v_and_b32_e32 v6, 7, v6
; %bb.522:                              ;   in Loop: Header=BB401_424 Depth=1
	s_or_b32 exec_lo, exec_lo, s15
	v_lshlrev_b32_e32 v7, 16, v9
	s_delay_alu instid0(VALU_DEP_2) | instskip(SKIP_1) | instid1(VALU_DEP_3)
	v_lshlrev_b32_e32 v6, 20, v6
	v_lshl_add_u32 v9, v50, 23, 0x3c000000
	v_and_b32_e32 v7, 0x80000000, v7
	s_delay_alu instid0(VALU_DEP_1)
	v_or3_b32 v6, v6, v7, v9
.LBB401_523:                            ;   in Loop: Header=BB401_424 Depth=1
	s_or_b32 exec_lo, exec_lo, s13
.LBB401_524:                            ;   in Loop: Header=BB401_424 Depth=1
	s_delay_alu instid0(SALU_CYCLE_1)
	s_or_b32 exec_lo, exec_lo, s12
.LBB401_525:                            ;   in Loop: Header=BB401_424 Depth=1
	s_delay_alu instid0(SALU_CYCLE_1) | instskip(NEXT) | instid1(VALU_DEP_1)
	s_or_b32 exec_lo, exec_lo, s0
	v_mul_f32_e32 v7, v8, v6
	s_delay_alu instid0(VALU_DEP_1) | instskip(NEXT) | instid1(VALU_DEP_1)
	v_and_b32_e32 v6, 0x7f800000, v7
	v_cmp_ne_u32_e32 vcc_lo, 0x7f800000, v6
                                        ; implicit-def: $vgpr6
	s_and_saveexec_b32 s0, vcc_lo
	s_delay_alu instid0(SALU_CYCLE_1)
	s_xor_b32 s0, exec_lo, s0
; %bb.526:                              ;   in Loop: Header=BB401_424 Depth=1
	v_bfe_u32 v6, v7, 16, 1
	s_delay_alu instid0(VALU_DEP_1)
	v_add3_u32 v6, v7, v6, 0x7fff
                                        ; implicit-def: $vgpr7
; %bb.527:                              ;   in Loop: Header=BB401_424 Depth=1
	s_and_not1_saveexec_b32 s0, s0
; %bb.528:                              ;   in Loop: Header=BB401_424 Depth=1
	v_and_b32_e32 v6, 0xffff, v7
	v_or_b32_e32 v9, 0x10000, v7
	s_delay_alu instid0(VALU_DEP_2) | instskip(NEXT) | instid1(VALU_DEP_2)
	v_cmp_eq_u32_e32 vcc_lo, 0, v6
	v_cndmask_b32_e32 v6, v9, v7, vcc_lo
; %bb.529:                              ;   in Loop: Header=BB401_424 Depth=1
	s_or_b32 exec_lo, exec_lo, s0
	v_lshrrev_b32_e32 v7, 16, v3
	s_mov_b32 s0, exec_lo
	s_delay_alu instid0(VALU_DEP_1) | instskip(NEXT) | instid1(VALU_DEP_1)
	v_dual_mov_b32 v9, 0 :: v_dual_and_b32 v50, 0xff, v7
	v_cmpx_ne_u16_e32 0, v50
	s_cbranch_execz .LBB401_537
; %bb.530:                              ;   in Loop: Header=BB401_424 Depth=1
	v_bfrev_b32_e32 v9, 1
	s_mov_b32 s12, exec_lo
	v_cmpx_ne_u16_e32 0x80, v50
	s_cbranch_execz .LBB401_536
; %bb.531:                              ;   in Loop: Header=BB401_424 Depth=1
	v_bfe_u32 v64, v3, 16, 7
	v_mov_b32_e32 v9, 0x7f800001
	s_mov_b32 s13, exec_lo
	s_delay_alu instid0(VALU_DEP_2)
	v_cmpx_ne_u32_e32 0x7f, v64
	s_cbranch_execz .LBB401_535
; %bb.532:                              ;   in Loop: Header=BB401_424 Depth=1
	v_and_b32_e32 v9, 7, v7
	v_lshrrev_b32_e32 v50, 3, v64
	s_mov_b32 s15, exec_lo
	v_cmpx_gt_u32_e32 8, v64
; %bb.533:                              ;   in Loop: Header=BB401_424 Depth=1
	s_delay_alu instid0(VALU_DEP_3) | instskip(NEXT) | instid1(VALU_DEP_1)
	v_clz_i32_u32_e32 v50, v9
	v_min_u32_e32 v50, 32, v50
	s_delay_alu instid0(VALU_DEP_1) | instskip(SKIP_1) | instid1(VALU_DEP_2)
	v_subrev_nc_u32_e32 v64, 28, v50
	v_sub_nc_u32_e32 v50, 29, v50
	v_lshlrev_b64 v[64:65], v64, v[9:10]
	s_delay_alu instid0(VALU_DEP_1)
	v_and_b32_e32 v9, 7, v64
; %bb.534:                              ;   in Loop: Header=BB401_424 Depth=1
	s_or_b32 exec_lo, exec_lo, s15
	v_lshlrev_b32_e32 v7, 24, v7
	s_delay_alu instid0(VALU_DEP_2) | instskip(SKIP_1) | instid1(VALU_DEP_3)
	v_lshlrev_b32_e32 v9, 20, v9
	v_lshl_add_u32 v50, v50, 23, 0x3c000000
	v_and_b32_e32 v7, 0x80000000, v7
	s_delay_alu instid0(VALU_DEP_1)
	v_or3_b32 v9, v9, v7, v50
.LBB401_535:                            ;   in Loop: Header=BB401_424 Depth=1
	s_or_b32 exec_lo, exec_lo, s13
.LBB401_536:                            ;   in Loop: Header=BB401_424 Depth=1
	s_delay_alu instid0(SALU_CYCLE_1)
	s_or_b32 exec_lo, exec_lo, s12
.LBB401_537:                            ;   in Loop: Header=BB401_424 Depth=1
	s_delay_alu instid0(SALU_CYCLE_1) | instskip(NEXT) | instid1(VALU_DEP_1)
	s_or_b32 exec_lo, exec_lo, s0
	v_mul_f32_e32 v7, v8, v9
	s_mov_b32 s0, exec_lo
                                        ; implicit-def: $vgpr64
	s_delay_alu instid0(VALU_DEP_1) | instskip(NEXT) | instid1(VALU_DEP_1)
	v_and_b32_e32 v9, 0x7f800000, v7
	v_cmpx_ne_u32_e32 0x7f800000, v9
	s_xor_b32 s0, exec_lo, s0
; %bb.538:                              ;   in Loop: Header=BB401_424 Depth=1
	v_bfe_u32 v9, v7, 16, 1
	s_delay_alu instid0(VALU_DEP_1)
	v_add3_u32 v64, v7, v9, 0x7fff
                                        ; implicit-def: $vgpr7
; %bb.539:                              ;   in Loop: Header=BB401_424 Depth=1
	s_and_not1_saveexec_b32 s0, s0
; %bb.540:                              ;   in Loop: Header=BB401_424 Depth=1
	v_and_b32_e32 v9, 0xffff, v7
	v_or_b32_e32 v50, 0x10000, v7
	s_delay_alu instid0(VALU_DEP_2) | instskip(NEXT) | instid1(VALU_DEP_2)
	v_cmp_eq_u32_e32 vcc_lo, 0, v9
	v_cndmask_b32_e32 v64, v50, v7, vcc_lo
; %bb.541:                              ;   in Loop: Header=BB401_424 Depth=1
	s_or_b32 exec_lo, exec_lo, s0
	v_mov_b32_e32 v7, 0
	s_mov_b32 s0, exec_lo
	v_cmpx_lt_u64_e64 s[8:9], v[2:3]
	s_cbranch_execz .LBB401_549
; %bb.542:                              ;   in Loop: Header=BB401_424 Depth=1
	v_lshrrev_b32_e32 v2, 24, v3
	v_bfrev_b32_e32 v7, 1
	s_mov_b32 s12, exec_lo
	s_delay_alu instid0(VALU_DEP_2)
	v_cmpx_ne_u32_e32 0x80, v2
	s_cbranch_execz .LBB401_548
; %bb.543:                              ;   in Loop: Header=BB401_424 Depth=1
	v_bfe_u32 v50, v3, 24, 7
	v_mov_b32_e32 v7, 0x7f800001
	s_mov_b32 s13, exec_lo
	s_delay_alu instid0(VALU_DEP_2)
	v_cmpx_ne_u32_e32 0x7f, v50
	s_cbranch_execz .LBB401_547
; %bb.544:                              ;   in Loop: Header=BB401_424 Depth=1
	v_and_b32_e32 v9, 7, v2
	v_lshrrev_b32_e32 v3, 3, v50
	s_mov_b32 s15, exec_lo
	v_cmpx_gt_u32_e32 8, v50
; %bb.545:                              ;   in Loop: Header=BB401_424 Depth=1
	s_delay_alu instid0(VALU_DEP_3) | instskip(NEXT) | instid1(VALU_DEP_1)
	v_clz_i32_u32_e32 v3, v9
	v_min_u32_e32 v3, 32, v3
	s_delay_alu instid0(VALU_DEP_1) | instskip(SKIP_1) | instid1(VALU_DEP_2)
	v_subrev_nc_u32_e32 v7, 28, v3
	v_sub_nc_u32_e32 v3, 29, v3
	v_lshlrev_b64 v[82:83], v7, v[9:10]
	s_delay_alu instid0(VALU_DEP_1)
	v_and_b32_e32 v9, 7, v82
; %bb.546:                              ;   in Loop: Header=BB401_424 Depth=1
	s_or_b32 exec_lo, exec_lo, s15
	v_lshlrev_b32_e32 v2, 24, v2
	s_delay_alu instid0(VALU_DEP_2) | instskip(SKIP_1) | instid1(VALU_DEP_3)
	v_lshlrev_b32_e32 v7, 20, v9
	v_lshl_add_u32 v3, v3, 23, 0x3c000000
	v_and_b32_e32 v2, 0x80000000, v2
	s_delay_alu instid0(VALU_DEP_1)
	v_or3_b32 v7, v7, v2, v3
.LBB401_547:                            ;   in Loop: Header=BB401_424 Depth=1
	s_or_b32 exec_lo, exec_lo, s13
.LBB401_548:                            ;   in Loop: Header=BB401_424 Depth=1
	s_delay_alu instid0(SALU_CYCLE_1)
	s_or_b32 exec_lo, exec_lo, s12
.LBB401_549:                            ;   in Loop: Header=BB401_424 Depth=1
	s_delay_alu instid0(SALU_CYCLE_1) | instskip(NEXT) | instid1(VALU_DEP_1)
	s_or_b32 exec_lo, exec_lo, s0
	v_mul_f32_e32 v3, v8, v7
	s_delay_alu instid0(VALU_DEP_1) | instskip(NEXT) | instid1(VALU_DEP_1)
	v_and_b32_e32 v2, 0x7f800000, v3
	v_cmp_ne_u32_e32 vcc_lo, 0x7f800000, v2
                                        ; implicit-def: $vgpr2
	s_and_saveexec_b32 s0, vcc_lo
	s_delay_alu instid0(SALU_CYCLE_1)
	s_xor_b32 s0, exec_lo, s0
; %bb.550:                              ;   in Loop: Header=BB401_424 Depth=1
	v_bfe_u32 v2, v3, 16, 1
	s_delay_alu instid0(VALU_DEP_1)
	v_add3_u32 v2, v3, v2, 0x7fff
                                        ; implicit-def: $vgpr3
; %bb.551:                              ;   in Loop: Header=BB401_424 Depth=1
	s_and_not1_saveexec_b32 s0, s0
; %bb.552:                              ;   in Loop: Header=BB401_424 Depth=1
	v_and_b32_e32 v2, 0xffff, v3
	v_or_b32_e32 v7, 0x10000, v3
	s_delay_alu instid0(VALU_DEP_2) | instskip(NEXT) | instid1(VALU_DEP_2)
	v_cmp_eq_u32_e32 vcc_lo, 0, v2
	v_cndmask_b32_e32 v2, v7, v3, vcc_lo
; %bb.553:                              ;   in Loop: Header=BB401_424 Depth=1
	s_or_b32 exec_lo, exec_lo, s0
	v_add_nc_u32_e32 v50, v28, v23
	v_cmp_eq_u32_e32 vcc_lo, v30, v48
	v_lshrrev_b32_e32 v6, 16, v6
	v_lshrrev_b32_e32 v7, 16, v55
	v_lshrrev_b32_e32 v9, 16, v54
	v_lshrrev_b32_e32 v85, 16, v53
	v_lshrrev_b32_e32 v84, 16, v52
	v_lshrrev_b32_e32 v83, 16, v51
	v_lshrrev_b32_e32 v3, 16, v64
	v_lshrrev_b32_e32 v2, 16, v2
	v_add_nc_u32_e32 v65, 1, v50
	v_add_nc_u32_e32 v64, 2, v50
	;; [unrolled: 1-line block ×7, first 2 shown]
	s_and_saveexec_b32 s12, vcc_lo
	s_cbranch_execz .LBB401_555
; %bb.554:                              ;   in Loop: Header=BB401_424 Depth=1
	v_cmp_lt_i32_e64 s0, v50, v67
	s_delay_alu instid0(VALU_DEP_1) | instskip(SKIP_1) | instid1(VALU_DEP_1)
	v_cndmask_b32_e64 v83, 0, v83, s0
	v_cmp_lt_i32_e64 s0, v65, v67
	v_cndmask_b32_e64 v84, 0, v84, s0
	v_cmp_lt_i32_e64 s0, v64, v67
	s_delay_alu instid0(VALU_DEP_1) | instskip(SKIP_1) | instid1(VALU_DEP_1)
	v_cndmask_b32_e64 v85, 0, v85, s0
	v_cmp_lt_i32_e64 s0, v55, v67
	v_cndmask_b32_e64 v9, 0, v9, s0
	;; [unrolled: 5-line block ×4, first 2 shown]
.LBB401_555:                            ;   in Loop: Header=BB401_424 Depth=1
	s_or_b32 exec_lo, exec_lo, s12
	v_and_b32_e32 v82, 0xffff0000, v32
	v_lshlrev_b32_e32 v32, 16, v83
	s_delay_alu instid0(VALU_DEP_1) | instskip(NEXT) | instid1(VALU_DEP_1)
	v_mul_f32_e32 v83, v82, v32
	v_and_b32_e32 v32, 0x7f800000, v83
	s_delay_alu instid0(VALU_DEP_1) | instskip(NEXT) | instid1(VALU_DEP_1)
	v_cmp_ne_u32_e64 s0, 0x7f800000, v32
                                        ; implicit-def: $vgpr32
	s_and_saveexec_b32 s12, s0
	s_delay_alu instid0(SALU_CYCLE_1)
	s_xor_b32 s0, exec_lo, s12
; %bb.556:                              ;   in Loop: Header=BB401_424 Depth=1
	v_bfe_u32 v32, v83, 16, 1
	s_delay_alu instid0(VALU_DEP_1)
	v_add3_u32 v32, v83, v32, 0x7fff
                                        ; implicit-def: $vgpr83
; %bb.557:                              ;   in Loop: Header=BB401_424 Depth=1
	s_and_not1_saveexec_b32 s12, s0
; %bb.558:                              ;   in Loop: Header=BB401_424 Depth=1
	v_and_b32_e32 v32, 0xffff, v83
	v_or_b32_e32 v86, 0x10000, v83
	s_delay_alu instid0(VALU_DEP_2) | instskip(NEXT) | instid1(VALU_DEP_1)
	v_cmp_eq_u32_e64 s0, 0, v32
	v_cndmask_b32_e64 v32, v86, v83, s0
; %bb.559:                              ;   in Loop: Header=BB401_424 Depth=1
	s_or_b32 exec_lo, exec_lo, s12
	v_and_b32_e32 v83, 0xffff0000, v33
	v_lshlrev_b32_e32 v33, 16, v84
	s_delay_alu instid0(VALU_DEP_1) | instskip(NEXT) | instid1(VALU_DEP_1)
	v_mul_f32_e32 v84, v83, v33
	v_and_b32_e32 v33, 0x7f800000, v84
	s_delay_alu instid0(VALU_DEP_1) | instskip(NEXT) | instid1(VALU_DEP_1)
	v_cmp_ne_u32_e64 s0, 0x7f800000, v33
                                        ; implicit-def: $vgpr33
	s_and_saveexec_b32 s12, s0
	s_delay_alu instid0(SALU_CYCLE_1)
	s_xor_b32 s0, exec_lo, s12
; %bb.560:                              ;   in Loop: Header=BB401_424 Depth=1
	v_bfe_u32 v33, v84, 16, 1
	s_delay_alu instid0(VALU_DEP_1)
	v_add3_u32 v33, v84, v33, 0x7fff
                                        ; implicit-def: $vgpr84
; %bb.561:                              ;   in Loop: Header=BB401_424 Depth=1
	s_and_not1_saveexec_b32 s12, s0
; %bb.562:                              ;   in Loop: Header=BB401_424 Depth=1
	v_and_b32_e32 v33, 0xffff, v84
	v_or_b32_e32 v86, 0x10000, v84
	s_delay_alu instid0(VALU_DEP_2) | instskip(NEXT) | instid1(VALU_DEP_1)
	v_cmp_eq_u32_e64 s0, 0, v33
	v_cndmask_b32_e64 v33, v86, v84, s0
; %bb.563:                              ;   in Loop: Header=BB401_424 Depth=1
	s_or_b32 exec_lo, exec_lo, s12
	v_and_b32_e32 v84, 0xffff0000, v34
	v_lshlrev_b32_e32 v34, 16, v85
	s_delay_alu instid0(VALU_DEP_1) | instskip(NEXT) | instid1(VALU_DEP_1)
	v_mul_f32_e32 v85, v84, v34
	v_and_b32_e32 v34, 0x7f800000, v85
	s_delay_alu instid0(VALU_DEP_1) | instskip(NEXT) | instid1(VALU_DEP_1)
	v_cmp_ne_u32_e64 s0, 0x7f800000, v34
                                        ; implicit-def: $vgpr34
	s_and_saveexec_b32 s12, s0
	s_delay_alu instid0(SALU_CYCLE_1)
	s_xor_b32 s0, exec_lo, s12
; %bb.564:                              ;   in Loop: Header=BB401_424 Depth=1
	v_bfe_u32 v34, v85, 16, 1
	s_delay_alu instid0(VALU_DEP_1)
	v_add3_u32 v34, v85, v34, 0x7fff
                                        ; implicit-def: $vgpr85
; %bb.565:                              ;   in Loop: Header=BB401_424 Depth=1
	s_and_not1_saveexec_b32 s12, s0
; %bb.566:                              ;   in Loop: Header=BB401_424 Depth=1
	v_and_b32_e32 v34, 0xffff, v85
	v_or_b32_e32 v86, 0x10000, v85
	s_delay_alu instid0(VALU_DEP_2) | instskip(NEXT) | instid1(VALU_DEP_1)
	v_cmp_eq_u32_e64 s0, 0, v34
	v_cndmask_b32_e64 v34, v86, v85, s0
; %bb.567:                              ;   in Loop: Header=BB401_424 Depth=1
	s_or_b32 exec_lo, exec_lo, s12
	v_and_b32_e32 v85, 0xffff0000, v35
	v_lshlrev_b32_e32 v9, 16, v9
	s_delay_alu instid0(VALU_DEP_1) | instskip(NEXT) | instid1(VALU_DEP_1)
	v_mul_f32_e32 v9, v85, v9
	v_and_b32_e32 v35, 0x7f800000, v9
	s_delay_alu instid0(VALU_DEP_1) | instskip(NEXT) | instid1(VALU_DEP_1)
	v_cmp_ne_u32_e64 s0, 0x7f800000, v35
                                        ; implicit-def: $vgpr35
	s_and_saveexec_b32 s12, s0
	s_delay_alu instid0(SALU_CYCLE_1)
	s_xor_b32 s0, exec_lo, s12
; %bb.568:                              ;   in Loop: Header=BB401_424 Depth=1
	v_bfe_u32 v35, v9, 16, 1
	s_delay_alu instid0(VALU_DEP_1)
	v_add3_u32 v35, v9, v35, 0x7fff
                                        ; implicit-def: $vgpr9
; %bb.569:                              ;   in Loop: Header=BB401_424 Depth=1
	s_and_not1_saveexec_b32 s12, s0
; %bb.570:                              ;   in Loop: Header=BB401_424 Depth=1
	v_and_b32_e32 v35, 0xffff, v9
	v_or_b32_e32 v86, 0x10000, v9
	s_delay_alu instid0(VALU_DEP_2) | instskip(NEXT) | instid1(VALU_DEP_1)
	v_cmp_eq_u32_e64 s0, 0, v35
	v_cndmask_b32_e64 v35, v86, v9, s0
; %bb.571:                              ;   in Loop: Header=BB401_424 Depth=1
	s_or_b32 exec_lo, exec_lo, s12
	v_and_b32_e32 v86, 0xffff0000, v36
	v_lshlrev_b32_e32 v7, 16, v7
                                        ; implicit-def: $vgpr36
	s_delay_alu instid0(VALU_DEP_1) | instskip(NEXT) | instid1(VALU_DEP_1)
	v_mul_f32_e32 v7, v86, v7
	v_and_b32_e32 v9, 0x7f800000, v7
	s_delay_alu instid0(VALU_DEP_1) | instskip(NEXT) | instid1(VALU_DEP_1)
	v_cmp_ne_u32_e64 s0, 0x7f800000, v9
	s_and_saveexec_b32 s12, s0
	s_delay_alu instid0(SALU_CYCLE_1)
	s_xor_b32 s0, exec_lo, s12
; %bb.572:                              ;   in Loop: Header=BB401_424 Depth=1
	v_bfe_u32 v9, v7, 16, 1
	s_delay_alu instid0(VALU_DEP_1)
	v_add3_u32 v36, v7, v9, 0x7fff
                                        ; implicit-def: $vgpr7
; %bb.573:                              ;   in Loop: Header=BB401_424 Depth=1
	s_and_not1_saveexec_b32 s12, s0
; %bb.574:                              ;   in Loop: Header=BB401_424 Depth=1
	v_and_b32_e32 v9, 0xffff, v7
	v_or_b32_e32 v36, 0x10000, v7
	s_delay_alu instid0(VALU_DEP_2) | instskip(NEXT) | instid1(VALU_DEP_1)
	v_cmp_eq_u32_e64 s0, 0, v9
	v_cndmask_b32_e64 v36, v36, v7, s0
; %bb.575:                              ;   in Loop: Header=BB401_424 Depth=1
	s_or_b32 exec_lo, exec_lo, s12
	v_and_b32_e32 v87, 0xffff0000, v37
	v_lshlrev_b32_e32 v6, 16, v6
                                        ; implicit-def: $vgpr37
	s_delay_alu instid0(VALU_DEP_1) | instskip(NEXT) | instid1(VALU_DEP_1)
	v_mul_f32_e32 v6, v87, v6
	v_and_b32_e32 v7, 0x7f800000, v6
	s_delay_alu instid0(VALU_DEP_1) | instskip(NEXT) | instid1(VALU_DEP_1)
	v_cmp_ne_u32_e64 s0, 0x7f800000, v7
	s_and_saveexec_b32 s12, s0
	s_delay_alu instid0(SALU_CYCLE_1)
	s_xor_b32 s0, exec_lo, s12
; %bb.576:                              ;   in Loop: Header=BB401_424 Depth=1
	v_bfe_u32 v7, v6, 16, 1
	s_delay_alu instid0(VALU_DEP_1)
	v_add3_u32 v37, v6, v7, 0x7fff
                                        ; implicit-def: $vgpr6
; %bb.577:                              ;   in Loop: Header=BB401_424 Depth=1
	s_and_not1_saveexec_b32 s12, s0
; %bb.578:                              ;   in Loop: Header=BB401_424 Depth=1
	v_and_b32_e32 v7, 0xffff, v6
	v_or_b32_e32 v9, 0x10000, v6
	s_delay_alu instid0(VALU_DEP_2) | instskip(NEXT) | instid1(VALU_DEP_1)
	v_cmp_eq_u32_e64 s0, 0, v7
	v_cndmask_b32_e64 v37, v9, v6, s0
; %bb.579:                              ;   in Loop: Header=BB401_424 Depth=1
	s_or_b32 exec_lo, exec_lo, s12
	v_and_b32_e32 v96, 0xffff0000, v38
	v_lshlrev_b32_e32 v3, 16, v3
                                        ; implicit-def: $vgpr38
	s_delay_alu instid0(VALU_DEP_1) | instskip(NEXT) | instid1(VALU_DEP_1)
	v_mul_f32_e32 v3, v96, v3
	v_and_b32_e32 v6, 0x7f800000, v3
	s_delay_alu instid0(VALU_DEP_1) | instskip(NEXT) | instid1(VALU_DEP_1)
	v_cmp_ne_u32_e64 s0, 0x7f800000, v6
	s_and_saveexec_b32 s12, s0
	s_delay_alu instid0(SALU_CYCLE_1)
	s_xor_b32 s0, exec_lo, s12
; %bb.580:                              ;   in Loop: Header=BB401_424 Depth=1
	v_bfe_u32 v6, v3, 16, 1
	s_delay_alu instid0(VALU_DEP_1)
	v_add3_u32 v38, v3, v6, 0x7fff
                                        ; implicit-def: $vgpr3
; %bb.581:                              ;   in Loop: Header=BB401_424 Depth=1
	s_and_not1_saveexec_b32 s12, s0
; %bb.582:                              ;   in Loop: Header=BB401_424 Depth=1
	v_and_b32_e32 v6, 0xffff, v3
	v_or_b32_e32 v7, 0x10000, v3
	s_delay_alu instid0(VALU_DEP_2) | instskip(NEXT) | instid1(VALU_DEP_1)
	v_cmp_eq_u32_e64 s0, 0, v6
	v_cndmask_b32_e64 v38, v7, v3, s0
; %bb.583:                              ;   in Loop: Header=BB401_424 Depth=1
	s_or_b32 exec_lo, exec_lo, s12
	v_and_b32_e32 v97, 0xffff0000, v49
	v_lshlrev_b32_e32 v2, 16, v2
                                        ; implicit-def: $vgpr49
	s_delay_alu instid0(VALU_DEP_1) | instskip(NEXT) | instid1(VALU_DEP_1)
	v_mul_f32_e32 v2, v97, v2
	v_and_b32_e32 v3, 0x7f800000, v2
	s_delay_alu instid0(VALU_DEP_1) | instskip(NEXT) | instid1(VALU_DEP_1)
	v_cmp_ne_u32_e64 s0, 0x7f800000, v3
	s_and_saveexec_b32 s12, s0
	s_delay_alu instid0(SALU_CYCLE_1)
	s_xor_b32 s0, exec_lo, s12
; %bb.584:                              ;   in Loop: Header=BB401_424 Depth=1
	v_bfe_u32 v3, v2, 16, 1
	s_delay_alu instid0(VALU_DEP_1)
	v_add3_u32 v49, v2, v3, 0x7fff
                                        ; implicit-def: $vgpr2
; %bb.585:                              ;   in Loop: Header=BB401_424 Depth=1
	s_and_not1_saveexec_b32 s12, s0
; %bb.586:                              ;   in Loop: Header=BB401_424 Depth=1
	v_and_b32_e32 v3, 0xffff, v2
	v_or_b32_e32 v6, 0x10000, v2
	s_delay_alu instid0(VALU_DEP_2) | instskip(NEXT) | instid1(VALU_DEP_1)
	v_cmp_eq_u32_e64 s0, 0, v3
	v_cndmask_b32_e64 v49, v6, v2, s0
; %bb.587:                              ;   in Loop: Header=BB401_424 Depth=1
	s_or_b32 exec_lo, exec_lo, s12
	flat_load_b64 v[2:3], v[0:1] offset:256
	s_mov_b32 s12, exec_lo
	s_waitcnt vmcnt(0) lgkmcnt(0)
	v_dual_mov_b32 v6, 0 :: v_dual_and_b32 v7, 0xff, v2
	s_delay_alu instid0(VALU_DEP_1)
	v_cmpx_ne_u16_e32 0, v7
	s_cbranch_execz .LBB401_595
; %bb.588:                              ;   in Loop: Header=BB401_424 Depth=1
	v_bfrev_b32_e32 v6, 1
	s_mov_b32 s13, exec_lo
	v_cmpx_ne_u16_e32 0x80, v7
	s_cbranch_execz .LBB401_594
; %bb.589:                              ;   in Loop: Header=BB401_424 Depth=1
	v_and_b32_e32 v7, 0x7f, v2
	v_mov_b32_e32 v6, 0x7f800001
	s_mov_b32 s15, exec_lo
	s_delay_alu instid0(VALU_DEP_2)
	v_cmpx_ne_u32_e32 0x7f, v7
	s_cbranch_execz .LBB401_593
; %bb.590:                              ;   in Loop: Header=BB401_424 Depth=1
	v_lshrrev_b32_e32 v9, 3, v7
	v_cmp_gt_u32_e64 s0, 8, v7
	v_dual_mov_b32 v7, v3 :: v_dual_mov_b32 v6, v2
	s_delay_alu instid0(VALU_DEP_2)
	s_and_saveexec_b32 s17, s0
; %bb.591:                              ;   in Loop: Header=BB401_424 Depth=1
	v_and_b32_e32 v6, 7, v2
	s_delay_alu instid0(VALU_DEP_1) | instskip(NEXT) | instid1(VALU_DEP_1)
	v_clz_i32_u32_e32 v6, v6
	v_min_u32_e32 v9, 32, v6
	s_delay_alu instid0(VALU_DEP_1) | instskip(SKIP_1) | instid1(VALU_DEP_2)
	v_subrev_nc_u32_e32 v6, 28, v9
	v_sub_nc_u32_e32 v9, 29, v9
	v_lshlrev_b64 v[6:7], v6, v[2:3]
; %bb.592:                              ;   in Loop: Header=BB401_424 Depth=1
	s_or_b32 exec_lo, exec_lo, s17
	s_delay_alu instid0(VALU_DEP_1) | instskip(SKIP_2) | instid1(VALU_DEP_3)
	v_lshlrev_b32_e32 v6, 20, v6
	v_lshlrev_b32_e32 v7, 24, v2
	v_lshl_add_u32 v9, v9, 23, 0x3c000000
	v_and_b32_e32 v6, 0x700000, v6
	s_delay_alu instid0(VALU_DEP_3) | instskip(NEXT) | instid1(VALU_DEP_1)
	v_and_b32_e32 v7, 0x80000000, v7
	v_or3_b32 v6, v6, v7, v9
.LBB401_593:                            ;   in Loop: Header=BB401_424 Depth=1
	s_or_b32 exec_lo, exec_lo, s15
.LBB401_594:                            ;   in Loop: Header=BB401_424 Depth=1
	s_delay_alu instid0(SALU_CYCLE_1)
	s_or_b32 exec_lo, exec_lo, s13
.LBB401_595:                            ;   in Loop: Header=BB401_424 Depth=1
	s_delay_alu instid0(SALU_CYCLE_1) | instskip(NEXT) | instid1(VALU_DEP_1)
	s_or_b32 exec_lo, exec_lo, s12
	v_mul_f32_e32 v6, v8, v6
                                        ; implicit-def: $vgpr98
	s_delay_alu instid0(VALU_DEP_1) | instskip(NEXT) | instid1(VALU_DEP_1)
	v_and_b32_e32 v7, 0x7f800000, v6
	v_cmp_ne_u32_e64 s0, 0x7f800000, v7
	s_delay_alu instid0(VALU_DEP_1) | instskip(NEXT) | instid1(SALU_CYCLE_1)
	s_and_saveexec_b32 s12, s0
	s_xor_b32 s0, exec_lo, s12
; %bb.596:                              ;   in Loop: Header=BB401_424 Depth=1
	v_bfe_u32 v7, v6, 16, 1
	s_delay_alu instid0(VALU_DEP_1)
	v_add3_u32 v98, v6, v7, 0x7fff
                                        ; implicit-def: $vgpr6
; %bb.597:                              ;   in Loop: Header=BB401_424 Depth=1
	s_and_not1_saveexec_b32 s12, s0
; %bb.598:                              ;   in Loop: Header=BB401_424 Depth=1
	v_and_b32_e32 v7, 0xffff, v6
	v_or_b32_e32 v9, 0x10000, v6
	s_delay_alu instid0(VALU_DEP_2) | instskip(NEXT) | instid1(VALU_DEP_1)
	v_cmp_eq_u32_e64 s0, 0, v7
	v_cndmask_b32_e64 v98, v9, v6, s0
; %bb.599:                              ;   in Loop: Header=BB401_424 Depth=1
	s_or_b32 exec_lo, exec_lo, s12
	v_lshrrev_b16 v7, 8, v2
	v_mov_b32_e32 v6, 0
	s_mov_b32 s12, exec_lo
	s_delay_alu instid0(VALU_DEP_2)
	v_cmpx_ne_u16_e32 0, v7
	s_cbranch_execz .LBB401_607
; %bb.600:                              ;   in Loop: Header=BB401_424 Depth=1
	v_bfrev_b32_e32 v6, 1
	s_mov_b32 s13, exec_lo
	v_cmpx_ne_u16_e32 0x80, v7
	s_cbranch_execz .LBB401_606
; %bb.601:                              ;   in Loop: Header=BB401_424 Depth=1
	v_and_b32_e32 v9, 0xffff, v7
	v_mov_b32_e32 v6, 0x7f800001
	s_mov_b32 s15, exec_lo
	s_delay_alu instid0(VALU_DEP_2) | instskip(NEXT) | instid1(VALU_DEP_1)
	v_and_b32_e32 v7, 0x7f, v9
	v_cmpx_ne_u32_e32 0x7f, v7
	s_cbranch_execz .LBB401_605
; %bb.602:                              ;   in Loop: Header=BB401_424 Depth=1
	v_and_b32_e32 v9, 7, v9
	v_lshrrev_b32_e32 v6, 3, v7
	s_mov_b32 s17, exec_lo
	v_cmpx_gt_u32_e32 8, v7
; %bb.603:                              ;   in Loop: Header=BB401_424 Depth=1
	s_delay_alu instid0(VALU_DEP_3) | instskip(NEXT) | instid1(VALU_DEP_1)
	v_clz_i32_u32_e32 v6, v9
	v_min_u32_e32 v6, 32, v6
	s_delay_alu instid0(VALU_DEP_1) | instskip(SKIP_1) | instid1(VALU_DEP_2)
	v_subrev_nc_u32_e32 v7, 28, v6
	v_sub_nc_u32_e32 v6, 29, v6
	v_lshlrev_b64 v[99:100], v7, v[9:10]
	s_delay_alu instid0(VALU_DEP_1)
	v_and_b32_e32 v9, 7, v99
; %bb.604:                              ;   in Loop: Header=BB401_424 Depth=1
	s_or_b32 exec_lo, exec_lo, s17
	v_lshlrev_b32_e32 v7, 16, v2
	s_delay_alu instid0(VALU_DEP_2) | instskip(SKIP_1) | instid1(VALU_DEP_3)
	v_lshlrev_b32_e32 v9, 20, v9
	v_lshl_add_u32 v6, v6, 23, 0x3c000000
	v_and_b32_e32 v7, 0x80000000, v7
	s_delay_alu instid0(VALU_DEP_1)
	v_or3_b32 v6, v9, v7, v6
.LBB401_605:                            ;   in Loop: Header=BB401_424 Depth=1
	s_or_b32 exec_lo, exec_lo, s15
.LBB401_606:                            ;   in Loop: Header=BB401_424 Depth=1
	s_delay_alu instid0(SALU_CYCLE_1)
	s_or_b32 exec_lo, exec_lo, s13
.LBB401_607:                            ;   in Loop: Header=BB401_424 Depth=1
	s_delay_alu instid0(SALU_CYCLE_1) | instskip(NEXT) | instid1(VALU_DEP_1)
	s_or_b32 exec_lo, exec_lo, s12
	v_mul_f32_e32 v6, v8, v6
                                        ; implicit-def: $vgpr99
	s_delay_alu instid0(VALU_DEP_1) | instskip(NEXT) | instid1(VALU_DEP_1)
	v_and_b32_e32 v7, 0x7f800000, v6
	v_cmp_ne_u32_e64 s0, 0x7f800000, v7
	s_delay_alu instid0(VALU_DEP_1) | instskip(NEXT) | instid1(SALU_CYCLE_1)
	s_and_saveexec_b32 s12, s0
	s_xor_b32 s0, exec_lo, s12
; %bb.608:                              ;   in Loop: Header=BB401_424 Depth=1
	v_bfe_u32 v7, v6, 16, 1
	s_delay_alu instid0(VALU_DEP_1)
	v_add3_u32 v99, v6, v7, 0x7fff
                                        ; implicit-def: $vgpr6
; %bb.609:                              ;   in Loop: Header=BB401_424 Depth=1
	s_and_not1_saveexec_b32 s12, s0
; %bb.610:                              ;   in Loop: Header=BB401_424 Depth=1
	v_and_b32_e32 v7, 0xffff, v6
	v_or_b32_e32 v9, 0x10000, v6
	s_delay_alu instid0(VALU_DEP_2) | instskip(NEXT) | instid1(VALU_DEP_1)
	v_cmp_eq_u32_e64 s0, 0, v7
	v_cndmask_b32_e64 v99, v9, v6, s0
; %bb.611:                              ;   in Loop: Header=BB401_424 Depth=1
	s_or_b32 exec_lo, exec_lo, s12
	v_lshrrev_b32_e32 v6, 16, v2
	v_mov_b32_e32 v7, 0
	s_mov_b32 s12, exec_lo
	s_delay_alu instid0(VALU_DEP_2) | instskip(NEXT) | instid1(VALU_DEP_1)
	v_and_b32_e32 v9, 0xff, v6
	v_cmpx_ne_u16_e32 0, v9
	s_cbranch_execz .LBB401_619
; %bb.612:                              ;   in Loop: Header=BB401_424 Depth=1
	v_bfrev_b32_e32 v7, 1
	s_mov_b32 s13, exec_lo
	v_cmpx_ne_u16_e32 0x80, v9
	s_cbranch_execz .LBB401_618
; %bb.613:                              ;   in Loop: Header=BB401_424 Depth=1
	v_bfe_u32 v100, v2, 16, 7
	v_mov_b32_e32 v7, 0x7f800001
	s_mov_b32 s15, exec_lo
	s_delay_alu instid0(VALU_DEP_2)
	v_cmpx_ne_u32_e32 0x7f, v100
	s_cbranch_execz .LBB401_617
; %bb.614:                              ;   in Loop: Header=BB401_424 Depth=1
	v_and_b32_e32 v9, 7, v6
	v_lshrrev_b32_e32 v7, 3, v100
	s_mov_b32 s17, exec_lo
	v_cmpx_gt_u32_e32 8, v100
; %bb.615:                              ;   in Loop: Header=BB401_424 Depth=1
	s_delay_alu instid0(VALU_DEP_3) | instskip(NEXT) | instid1(VALU_DEP_1)
	v_clz_i32_u32_e32 v7, v9
	v_min_u32_e32 v7, 32, v7
	s_delay_alu instid0(VALU_DEP_1) | instskip(SKIP_1) | instid1(VALU_DEP_2)
	v_subrev_nc_u32_e32 v100, 28, v7
	v_sub_nc_u32_e32 v7, 29, v7
	v_lshlrev_b64 v[100:101], v100, v[9:10]
	s_delay_alu instid0(VALU_DEP_1)
	v_and_b32_e32 v9, 7, v100
; %bb.616:                              ;   in Loop: Header=BB401_424 Depth=1
	s_or_b32 exec_lo, exec_lo, s17
	v_lshlrev_b32_e32 v6, 24, v6
	s_delay_alu instid0(VALU_DEP_2) | instskip(SKIP_1) | instid1(VALU_DEP_3)
	v_lshlrev_b32_e32 v9, 20, v9
	v_lshl_add_u32 v7, v7, 23, 0x3c000000
	v_and_b32_e32 v6, 0x80000000, v6
	s_delay_alu instid0(VALU_DEP_1)
	v_or3_b32 v7, v9, v6, v7
.LBB401_617:                            ;   in Loop: Header=BB401_424 Depth=1
	s_or_b32 exec_lo, exec_lo, s15
.LBB401_618:                            ;   in Loop: Header=BB401_424 Depth=1
	s_delay_alu instid0(SALU_CYCLE_1)
	s_or_b32 exec_lo, exec_lo, s13
.LBB401_619:                            ;   in Loop: Header=BB401_424 Depth=1
	s_delay_alu instid0(SALU_CYCLE_1) | instskip(NEXT) | instid1(VALU_DEP_1)
	s_or_b32 exec_lo, exec_lo, s12
	v_mul_f32_e32 v6, v8, v7
                                        ; implicit-def: $vgpr100
	s_delay_alu instid0(VALU_DEP_1) | instskip(NEXT) | instid1(VALU_DEP_1)
	v_and_b32_e32 v7, 0x7f800000, v6
	v_cmp_ne_u32_e64 s0, 0x7f800000, v7
	s_delay_alu instid0(VALU_DEP_1) | instskip(NEXT) | instid1(SALU_CYCLE_1)
	s_and_saveexec_b32 s12, s0
	s_xor_b32 s0, exec_lo, s12
; %bb.620:                              ;   in Loop: Header=BB401_424 Depth=1
	v_bfe_u32 v7, v6, 16, 1
	s_delay_alu instid0(VALU_DEP_1)
	v_add3_u32 v100, v6, v7, 0x7fff
                                        ; implicit-def: $vgpr6
; %bb.621:                              ;   in Loop: Header=BB401_424 Depth=1
	s_and_not1_saveexec_b32 s12, s0
; %bb.622:                              ;   in Loop: Header=BB401_424 Depth=1
	v_and_b32_e32 v7, 0xffff, v6
	v_or_b32_e32 v9, 0x10000, v6
	s_delay_alu instid0(VALU_DEP_2) | instskip(NEXT) | instid1(VALU_DEP_1)
	v_cmp_eq_u32_e64 s0, 0, v7
	v_cndmask_b32_e64 v100, v9, v6, s0
; %bb.623:                              ;   in Loop: Header=BB401_424 Depth=1
	s_or_b32 exec_lo, exec_lo, s12
	v_mov_b32_e32 v7, 0
	s_mov_b32 s12, exec_lo
	v_cmpx_lt_u32_e32 0xffffff, v2
	s_cbranch_execz .LBB401_631
; %bb.624:                              ;   in Loop: Header=BB401_424 Depth=1
	v_lshrrev_b32_e32 v6, 24, v2
	v_bfrev_b32_e32 v7, 1
	s_mov_b32 s13, exec_lo
	s_delay_alu instid0(VALU_DEP_2)
	v_cmpx_ne_u32_e32 0x80, v6
	s_cbranch_execz .LBB401_630
; %bb.625:                              ;   in Loop: Header=BB401_424 Depth=1
	v_bfe_u32 v101, v2, 24, 7
	v_mov_b32_e32 v7, 0x7f800001
	s_mov_b32 s15, exec_lo
	s_delay_alu instid0(VALU_DEP_2)
	v_cmpx_ne_u32_e32 0x7f, v101
	s_cbranch_execz .LBB401_629
; %bb.626:                              ;   in Loop: Header=BB401_424 Depth=1
	v_and_b32_e32 v9, 7, v6
	v_lshrrev_b32_e32 v7, 3, v101
	s_mov_b32 s17, exec_lo
	v_cmpx_gt_u32_e32 8, v101
; %bb.627:                              ;   in Loop: Header=BB401_424 Depth=1
	s_delay_alu instid0(VALU_DEP_3) | instskip(NEXT) | instid1(VALU_DEP_1)
	v_clz_i32_u32_e32 v7, v9
	v_min_u32_e32 v7, 32, v7
	s_delay_alu instid0(VALU_DEP_1) | instskip(SKIP_1) | instid1(VALU_DEP_2)
	v_subrev_nc_u32_e32 v101, 28, v7
	v_sub_nc_u32_e32 v7, 29, v7
	v_lshlrev_b64 v[101:102], v101, v[9:10]
	s_delay_alu instid0(VALU_DEP_1)
	v_and_b32_e32 v9, 7, v101
; %bb.628:                              ;   in Loop: Header=BB401_424 Depth=1
	s_or_b32 exec_lo, exec_lo, s17
	v_lshlrev_b32_e32 v6, 24, v6
	s_delay_alu instid0(VALU_DEP_2) | instskip(SKIP_1) | instid1(VALU_DEP_3)
	v_lshlrev_b32_e32 v9, 20, v9
	v_lshl_add_u32 v7, v7, 23, 0x3c000000
	v_and_b32_e32 v6, 0x80000000, v6
	s_delay_alu instid0(VALU_DEP_1)
	v_or3_b32 v7, v9, v6, v7
.LBB401_629:                            ;   in Loop: Header=BB401_424 Depth=1
	s_or_b32 exec_lo, exec_lo, s15
.LBB401_630:                            ;   in Loop: Header=BB401_424 Depth=1
	s_delay_alu instid0(SALU_CYCLE_1)
	s_or_b32 exec_lo, exec_lo, s13
.LBB401_631:                            ;   in Loop: Header=BB401_424 Depth=1
	s_delay_alu instid0(SALU_CYCLE_1) | instskip(NEXT) | instid1(VALU_DEP_1)
	s_or_b32 exec_lo, exec_lo, s12
	v_mul_f32_e32 v6, v8, v7
                                        ; implicit-def: $vgpr101
	s_delay_alu instid0(VALU_DEP_1) | instskip(NEXT) | instid1(VALU_DEP_1)
	v_and_b32_e32 v7, 0x7f800000, v6
	v_cmp_ne_u32_e64 s0, 0x7f800000, v7
	s_delay_alu instid0(VALU_DEP_1) | instskip(NEXT) | instid1(SALU_CYCLE_1)
	s_and_saveexec_b32 s12, s0
	s_xor_b32 s0, exec_lo, s12
; %bb.632:                              ;   in Loop: Header=BB401_424 Depth=1
	v_bfe_u32 v7, v6, 16, 1
	s_delay_alu instid0(VALU_DEP_1)
	v_add3_u32 v101, v6, v7, 0x7fff
                                        ; implicit-def: $vgpr6
; %bb.633:                              ;   in Loop: Header=BB401_424 Depth=1
	s_and_not1_saveexec_b32 s12, s0
; %bb.634:                              ;   in Loop: Header=BB401_424 Depth=1
	v_and_b32_e32 v7, 0xffff, v6
	v_or_b32_e32 v9, 0x10000, v6
	s_delay_alu instid0(VALU_DEP_2) | instskip(NEXT) | instid1(VALU_DEP_1)
	v_cmp_eq_u32_e64 s0, 0, v7
	v_cndmask_b32_e64 v101, v9, v6, s0
; %bb.635:                              ;   in Loop: Header=BB401_424 Depth=1
	s_or_b32 exec_lo, exec_lo, s12
	v_dual_mov_b32 v6, 0 :: v_dual_and_b32 v7, 0xff, v3
	v_mov_b32_e32 v9, v3
	s_mov_b32 s12, exec_lo
	s_delay_alu instid0(VALU_DEP_2)
	v_cmpx_ne_u16_e32 0, v7
	s_cbranch_execz .LBB401_643
; %bb.636:                              ;   in Loop: Header=BB401_424 Depth=1
	v_bfrev_b32_e32 v6, 1
	s_mov_b32 s13, exec_lo
	v_cmpx_ne_u16_e32 0x80, v7
	s_cbranch_execz .LBB401_642
; %bb.637:                              ;   in Loop: Header=BB401_424 Depth=1
	v_and_b32_e32 v7, 0x7f, v3
	v_mov_b32_e32 v6, 0x7f800001
	s_mov_b32 s15, exec_lo
	s_delay_alu instid0(VALU_DEP_2)
	v_cmpx_ne_u32_e32 0x7f, v7
	s_cbranch_execz .LBB401_641
; %bb.638:                              ;   in Loop: Header=BB401_424 Depth=1
	v_lshrrev_b32_e32 v102, 3, v7
	v_cmp_gt_u32_e64 s0, 8, v7
	v_dual_mov_b32 v6, v9 :: v_dual_mov_b32 v7, v10
	s_delay_alu instid0(VALU_DEP_2)
	s_and_saveexec_b32 s17, s0
; %bb.639:                              ;   in Loop: Header=BB401_424 Depth=1
	v_and_b32_e32 v6, 7, v3
	s_delay_alu instid0(VALU_DEP_1) | instskip(NEXT) | instid1(VALU_DEP_1)
	v_clz_i32_u32_e32 v6, v6
	v_min_u32_e32 v102, 32, v6
	s_delay_alu instid0(VALU_DEP_1) | instskip(SKIP_1) | instid1(VALU_DEP_2)
	v_subrev_nc_u32_e32 v6, 28, v102
	v_sub_nc_u32_e32 v102, 29, v102
	v_lshlrev_b64 v[6:7], v6, v[9:10]
; %bb.640:                              ;   in Loop: Header=BB401_424 Depth=1
	s_or_b32 exec_lo, exec_lo, s17
	s_delay_alu instid0(VALU_DEP_1) | instskip(SKIP_2) | instid1(VALU_DEP_3)
	v_lshlrev_b32_e32 v6, 20, v6
	v_lshlrev_b32_e32 v7, 24, v9
	v_lshl_add_u32 v102, v102, 23, 0x3c000000
	v_and_b32_e32 v6, 0x700000, v6
	s_delay_alu instid0(VALU_DEP_3) | instskip(NEXT) | instid1(VALU_DEP_1)
	v_and_b32_e32 v7, 0x80000000, v7
	v_or3_b32 v6, v6, v7, v102
.LBB401_641:                            ;   in Loop: Header=BB401_424 Depth=1
	s_or_b32 exec_lo, exec_lo, s15
.LBB401_642:                            ;   in Loop: Header=BB401_424 Depth=1
	s_delay_alu instid0(SALU_CYCLE_1)
	s_or_b32 exec_lo, exec_lo, s13
.LBB401_643:                            ;   in Loop: Header=BB401_424 Depth=1
	s_delay_alu instid0(SALU_CYCLE_1) | instskip(NEXT) | instid1(VALU_DEP_1)
	s_or_b32 exec_lo, exec_lo, s12
	v_mul_f32_e32 v6, v8, v6
                                        ; implicit-def: $vgpr102
	s_delay_alu instid0(VALU_DEP_1) | instskip(NEXT) | instid1(VALU_DEP_1)
	v_and_b32_e32 v7, 0x7f800000, v6
	v_cmp_ne_u32_e64 s0, 0x7f800000, v7
	s_delay_alu instid0(VALU_DEP_1) | instskip(NEXT) | instid1(SALU_CYCLE_1)
	s_and_saveexec_b32 s12, s0
	s_xor_b32 s0, exec_lo, s12
; %bb.644:                              ;   in Loop: Header=BB401_424 Depth=1
	v_bfe_u32 v7, v6, 16, 1
	s_delay_alu instid0(VALU_DEP_1)
	v_add3_u32 v102, v6, v7, 0x7fff
                                        ; implicit-def: $vgpr6
; %bb.645:                              ;   in Loop: Header=BB401_424 Depth=1
	s_and_not1_saveexec_b32 s12, s0
; %bb.646:                              ;   in Loop: Header=BB401_424 Depth=1
	v_and_b32_e32 v7, 0xffff, v6
	v_or_b32_e32 v102, 0x10000, v6
	s_delay_alu instid0(VALU_DEP_2) | instskip(NEXT) | instid1(VALU_DEP_1)
	v_cmp_eq_u32_e64 s0, 0, v7
	v_cndmask_b32_e64 v102, v102, v6, s0
; %bb.647:                              ;   in Loop: Header=BB401_424 Depth=1
	s_or_b32 exec_lo, exec_lo, s12
	v_lshrrev_b16 v7, 8, v9
	v_mov_b32_e32 v6, 0
	s_mov_b32 s12, exec_lo
	s_delay_alu instid0(VALU_DEP_2)
	v_cmpx_ne_u16_e32 0, v7
	s_cbranch_execz .LBB401_655
; %bb.648:                              ;   in Loop: Header=BB401_424 Depth=1
	v_bfrev_b32_e32 v6, 1
	s_mov_b32 s13, exec_lo
	v_cmpx_ne_u16_e32 0x80, v7
	s_cbranch_execz .LBB401_654
; %bb.649:                              ;   in Loop: Header=BB401_424 Depth=1
	v_and_b32_e32 v7, 0xffff, v7
	v_mov_b32_e32 v6, 0x7f800001
	s_mov_b32 s15, exec_lo
	s_delay_alu instid0(VALU_DEP_2) | instskip(NEXT) | instid1(VALU_DEP_1)
	v_and_b32_e32 v112, 0x7f, v7
	v_cmpx_ne_u32_e32 0x7f, v112
	s_cbranch_execz .LBB401_653
; %bb.650:                              ;   in Loop: Header=BB401_424 Depth=1
	v_dual_mov_b32 v7, v10 :: v_dual_and_b32 v6, 7, v7
	v_lshrrev_b32_e32 v103, 3, v112
	s_mov_b32 s17, exec_lo
	v_cmpx_gt_u32_e32 8, v112
; %bb.651:                              ;   in Loop: Header=BB401_424 Depth=1
	s_delay_alu instid0(VALU_DEP_3) | instskip(NEXT) | instid1(VALU_DEP_1)
	v_clz_i32_u32_e32 v103, v6
	v_min_u32_e32 v103, 32, v103
	s_delay_alu instid0(VALU_DEP_1) | instskip(SKIP_1) | instid1(VALU_DEP_2)
	v_subrev_nc_u32_e32 v112, 28, v103
	v_sub_nc_u32_e32 v103, 29, v103
	v_lshlrev_b64 v[6:7], v112, v[6:7]
	s_delay_alu instid0(VALU_DEP_1)
	v_and_b32_e32 v6, 7, v6
; %bb.652:                              ;   in Loop: Header=BB401_424 Depth=1
	s_or_b32 exec_lo, exec_lo, s17
	v_lshlrev_b32_e32 v7, 16, v9
	s_delay_alu instid0(VALU_DEP_2) | instskip(SKIP_1) | instid1(VALU_DEP_3)
	v_lshlrev_b32_e32 v6, 20, v6
	v_lshl_add_u32 v9, v103, 23, 0x3c000000
	v_and_b32_e32 v7, 0x80000000, v7
	s_delay_alu instid0(VALU_DEP_1)
	v_or3_b32 v6, v6, v7, v9
.LBB401_653:                            ;   in Loop: Header=BB401_424 Depth=1
	s_or_b32 exec_lo, exec_lo, s15
.LBB401_654:                            ;   in Loop: Header=BB401_424 Depth=1
	s_delay_alu instid0(SALU_CYCLE_1)
	s_or_b32 exec_lo, exec_lo, s13
.LBB401_655:                            ;   in Loop: Header=BB401_424 Depth=1
	s_delay_alu instid0(SALU_CYCLE_1) | instskip(NEXT) | instid1(VALU_DEP_1)
	s_or_b32 exec_lo, exec_lo, s12
	v_mul_f32_e32 v7, v8, v6
	s_delay_alu instid0(VALU_DEP_1) | instskip(NEXT) | instid1(VALU_DEP_1)
	v_and_b32_e32 v6, 0x7f800000, v7
	v_cmp_ne_u32_e64 s0, 0x7f800000, v6
                                        ; implicit-def: $vgpr6
	s_delay_alu instid0(VALU_DEP_1) | instskip(NEXT) | instid1(SALU_CYCLE_1)
	s_and_saveexec_b32 s12, s0
	s_xor_b32 s0, exec_lo, s12
; %bb.656:                              ;   in Loop: Header=BB401_424 Depth=1
	v_bfe_u32 v6, v7, 16, 1
	s_delay_alu instid0(VALU_DEP_1)
	v_add3_u32 v6, v7, v6, 0x7fff
                                        ; implicit-def: $vgpr7
; %bb.657:                              ;   in Loop: Header=BB401_424 Depth=1
	s_and_not1_saveexec_b32 s12, s0
; %bb.658:                              ;   in Loop: Header=BB401_424 Depth=1
	v_and_b32_e32 v6, 0xffff, v7
	v_or_b32_e32 v9, 0x10000, v7
	s_delay_alu instid0(VALU_DEP_2) | instskip(NEXT) | instid1(VALU_DEP_1)
	v_cmp_eq_u32_e64 s0, 0, v6
	v_cndmask_b32_e64 v6, v9, v7, s0
; %bb.659:                              ;   in Loop: Header=BB401_424 Depth=1
	s_or_b32 exec_lo, exec_lo, s12
	v_lshrrev_b32_e32 v7, 16, v3
	v_mov_b32_e32 v9, 0
	s_mov_b32 s12, exec_lo
	s_delay_alu instid0(VALU_DEP_2) | instskip(NEXT) | instid1(VALU_DEP_1)
	v_and_b32_e32 v103, 0xff, v7
	v_cmpx_ne_u16_e32 0, v103
	s_cbranch_execz .LBB401_667
; %bb.660:                              ;   in Loop: Header=BB401_424 Depth=1
	v_bfrev_b32_e32 v9, 1
	s_mov_b32 s13, exec_lo
	v_cmpx_ne_u16_e32 0x80, v103
	s_cbranch_execz .LBB401_666
; %bb.661:                              ;   in Loop: Header=BB401_424 Depth=1
	v_bfe_u32 v112, v3, 16, 7
	v_mov_b32_e32 v9, 0x7f800001
	s_mov_b32 s15, exec_lo
	s_delay_alu instid0(VALU_DEP_2)
	v_cmpx_ne_u32_e32 0x7f, v112
	s_cbranch_execz .LBB401_665
; %bb.662:                              ;   in Loop: Header=BB401_424 Depth=1
	v_and_b32_e32 v9, 7, v7
	v_lshrrev_b32_e32 v103, 3, v112
	s_mov_b32 s17, exec_lo
	v_cmpx_gt_u32_e32 8, v112
; %bb.663:                              ;   in Loop: Header=BB401_424 Depth=1
	s_delay_alu instid0(VALU_DEP_3) | instskip(NEXT) | instid1(VALU_DEP_1)
	v_clz_i32_u32_e32 v103, v9
	v_min_u32_e32 v103, 32, v103
	s_delay_alu instid0(VALU_DEP_1) | instskip(SKIP_1) | instid1(VALU_DEP_2)
	v_subrev_nc_u32_e32 v112, 28, v103
	v_sub_nc_u32_e32 v103, 29, v103
	v_lshlrev_b64 v[112:113], v112, v[9:10]
	s_delay_alu instid0(VALU_DEP_1)
	v_and_b32_e32 v9, 7, v112
; %bb.664:                              ;   in Loop: Header=BB401_424 Depth=1
	s_or_b32 exec_lo, exec_lo, s17
	v_lshlrev_b32_e32 v7, 24, v7
	s_delay_alu instid0(VALU_DEP_2) | instskip(SKIP_1) | instid1(VALU_DEP_3)
	v_lshlrev_b32_e32 v9, 20, v9
	v_lshl_add_u32 v103, v103, 23, 0x3c000000
	v_and_b32_e32 v7, 0x80000000, v7
	s_delay_alu instid0(VALU_DEP_1)
	v_or3_b32 v9, v9, v7, v103
.LBB401_665:                            ;   in Loop: Header=BB401_424 Depth=1
	s_or_b32 exec_lo, exec_lo, s15
.LBB401_666:                            ;   in Loop: Header=BB401_424 Depth=1
	s_delay_alu instid0(SALU_CYCLE_1)
	s_or_b32 exec_lo, exec_lo, s13
.LBB401_667:                            ;   in Loop: Header=BB401_424 Depth=1
	s_delay_alu instid0(SALU_CYCLE_1) | instskip(NEXT) | instid1(VALU_DEP_1)
	s_or_b32 exec_lo, exec_lo, s12
	v_mul_f32_e32 v7, v8, v9
                                        ; implicit-def: $vgpr103
	s_delay_alu instid0(VALU_DEP_1) | instskip(NEXT) | instid1(VALU_DEP_1)
	v_and_b32_e32 v9, 0x7f800000, v7
	v_cmp_ne_u32_e64 s0, 0x7f800000, v9
	s_delay_alu instid0(VALU_DEP_1) | instskip(NEXT) | instid1(SALU_CYCLE_1)
	s_and_saveexec_b32 s12, s0
	s_xor_b32 s0, exec_lo, s12
; %bb.668:                              ;   in Loop: Header=BB401_424 Depth=1
	v_bfe_u32 v9, v7, 16, 1
	s_delay_alu instid0(VALU_DEP_1)
	v_add3_u32 v103, v7, v9, 0x7fff
                                        ; implicit-def: $vgpr7
; %bb.669:                              ;   in Loop: Header=BB401_424 Depth=1
	s_and_not1_saveexec_b32 s12, s0
; %bb.670:                              ;   in Loop: Header=BB401_424 Depth=1
	v_and_b32_e32 v9, 0xffff, v7
	v_or_b32_e32 v103, 0x10000, v7
	s_delay_alu instid0(VALU_DEP_2) | instskip(NEXT) | instid1(VALU_DEP_1)
	v_cmp_eq_u32_e64 s0, 0, v9
	v_cndmask_b32_e64 v103, v103, v7, s0
; %bb.671:                              ;   in Loop: Header=BB401_424 Depth=1
	s_or_b32 exec_lo, exec_lo, s12
	v_mov_b32_e32 v7, 0
	s_mov_b32 s12, exec_lo
	v_cmpx_lt_u64_e64 s[8:9], v[2:3]
	s_cbranch_execz .LBB401_679
; %bb.672:                              ;   in Loop: Header=BB401_424 Depth=1
	v_lshrrev_b32_e32 v2, 24, v3
	v_bfrev_b32_e32 v7, 1
	s_mov_b32 s13, exec_lo
	s_delay_alu instid0(VALU_DEP_2)
	v_cmpx_ne_u32_e32 0x80, v2
	s_cbranch_execz .LBB401_678
; %bb.673:                              ;   in Loop: Header=BB401_424 Depth=1
	v_bfe_u32 v112, v3, 24, 7
	v_mov_b32_e32 v7, 0x7f800001
	s_mov_b32 s15, exec_lo
	s_delay_alu instid0(VALU_DEP_2)
	v_cmpx_ne_u32_e32 0x7f, v112
	s_cbranch_execz .LBB401_677
; %bb.674:                              ;   in Loop: Header=BB401_424 Depth=1
	v_and_b32_e32 v9, 7, v2
	v_lshrrev_b32_e32 v3, 3, v112
	s_mov_b32 s17, exec_lo
	v_cmpx_gt_u32_e32 8, v112
; %bb.675:                              ;   in Loop: Header=BB401_424 Depth=1
	s_delay_alu instid0(VALU_DEP_3) | instskip(NEXT) | instid1(VALU_DEP_1)
	v_clz_i32_u32_e32 v3, v9
	v_min_u32_e32 v3, 32, v3
	s_delay_alu instid0(VALU_DEP_1) | instskip(SKIP_1) | instid1(VALU_DEP_2)
	v_subrev_nc_u32_e32 v7, 28, v3
	v_sub_nc_u32_e32 v3, 29, v3
	v_lshlrev_b64 v[112:113], v7, v[9:10]
	s_delay_alu instid0(VALU_DEP_1)
	v_and_b32_e32 v9, 7, v112
; %bb.676:                              ;   in Loop: Header=BB401_424 Depth=1
	s_or_b32 exec_lo, exec_lo, s17
	v_lshlrev_b32_e32 v2, 24, v2
	s_delay_alu instid0(VALU_DEP_2) | instskip(SKIP_1) | instid1(VALU_DEP_3)
	v_lshlrev_b32_e32 v7, 20, v9
	v_lshl_add_u32 v3, v3, 23, 0x3c000000
	v_and_b32_e32 v2, 0x80000000, v2
	s_delay_alu instid0(VALU_DEP_1)
	v_or3_b32 v7, v7, v2, v3
.LBB401_677:                            ;   in Loop: Header=BB401_424 Depth=1
	s_or_b32 exec_lo, exec_lo, s15
.LBB401_678:                            ;   in Loop: Header=BB401_424 Depth=1
	s_delay_alu instid0(SALU_CYCLE_1)
	s_or_b32 exec_lo, exec_lo, s13
.LBB401_679:                            ;   in Loop: Header=BB401_424 Depth=1
	s_delay_alu instid0(SALU_CYCLE_1) | instskip(NEXT) | instid1(VALU_DEP_1)
	s_or_b32 exec_lo, exec_lo, s12
	v_mul_f32_e32 v3, v8, v7
	s_delay_alu instid0(VALU_DEP_1) | instskip(NEXT) | instid1(VALU_DEP_1)
	v_and_b32_e32 v2, 0x7f800000, v3
	v_cmp_ne_u32_e64 s0, 0x7f800000, v2
                                        ; implicit-def: $vgpr2
	s_delay_alu instid0(VALU_DEP_1) | instskip(NEXT) | instid1(SALU_CYCLE_1)
	s_and_saveexec_b32 s12, s0
	s_xor_b32 s0, exec_lo, s12
; %bb.680:                              ;   in Loop: Header=BB401_424 Depth=1
	v_bfe_u32 v2, v3, 16, 1
	s_delay_alu instid0(VALU_DEP_1)
	v_add3_u32 v2, v3, v2, 0x7fff
                                        ; implicit-def: $vgpr3
; %bb.681:                              ;   in Loop: Header=BB401_424 Depth=1
	s_and_not1_saveexec_b32 s12, s0
; %bb.682:                              ;   in Loop: Header=BB401_424 Depth=1
	v_and_b32_e32 v2, 0xffff, v3
	v_or_b32_e32 v7, 0x10000, v3
	s_delay_alu instid0(VALU_DEP_2) | instskip(NEXT) | instid1(VALU_DEP_1)
	v_cmp_eq_u32_e64 s0, 0, v2
	v_cndmask_b32_e64 v2, v7, v3, s0
; %bb.683:                              ;   in Loop: Header=BB401_424 Depth=1
	s_or_b32 exec_lo, exec_lo, s12
	v_lshrrev_b32_e32 v6, 16, v6
	v_lshrrev_b32_e32 v7, 16, v102
	v_lshrrev_b32_e32 v9, 16, v101
	v_lshrrev_b32_e32 v100, 16, v100
	v_lshrrev_b32_e32 v99, 16, v99
	v_lshrrev_b32_e32 v98, 16, v98
	v_lshrrev_b32_e32 v3, 16, v103
	v_lshrrev_b32_e32 v2, 16, v2
	s_and_saveexec_b32 s12, vcc_lo
	s_cbranch_execz .LBB401_685
; %bb.684:                              ;   in Loop: Header=BB401_424 Depth=1
	v_cmp_lt_i32_e64 s0, v50, v67
	s_delay_alu instid0(VALU_DEP_1) | instskip(SKIP_1) | instid1(VALU_DEP_1)
	v_cndmask_b32_e64 v98, 0, v98, s0
	v_cmp_lt_i32_e64 s0, v65, v67
	v_cndmask_b32_e64 v99, 0, v99, s0
	v_cmp_lt_i32_e64 s0, v64, v67
	s_delay_alu instid0(VALU_DEP_1) | instskip(SKIP_1) | instid1(VALU_DEP_1)
	v_cndmask_b32_e64 v100, 0, v100, s0
	v_cmp_lt_i32_e64 s0, v55, v67
	v_cndmask_b32_e64 v9, 0, v9, s0
	v_cmp_lt_i32_e64 s0, v54, v67
	s_delay_alu instid0(VALU_DEP_1) | instskip(SKIP_1) | instid1(VALU_DEP_1)
	v_cndmask_b32_e64 v7, 0, v7, s0
	v_cmp_lt_i32_e64 s0, v53, v67
	v_cndmask_b32_e64 v6, 0, v6, s0
	v_cmp_lt_i32_e64 s0, v52, v67
	s_delay_alu instid0(VALU_DEP_1) | instskip(SKIP_1) | instid1(VALU_DEP_1)
	v_cndmask_b32_e64 v3, 0, v3, s0
	v_cmp_lt_i32_e64 s0, v51, v67
	v_cndmask_b32_e64 v2, 0, v2, s0
.LBB401_685:                            ;   in Loop: Header=BB401_424 Depth=1
	s_or_b32 exec_lo, exec_lo, s12
	v_lshlrev_b32_e32 v98, 16, v98
	s_delay_alu instid0(VALU_DEP_1) | instskip(NEXT) | instid1(VALU_DEP_1)
	v_mul_f32_e32 v101, v82, v98
	v_and_b32_e32 v98, 0x7f800000, v101
	s_delay_alu instid0(VALU_DEP_1) | instskip(NEXT) | instid1(VALU_DEP_1)
	v_cmp_ne_u32_e64 s0, 0x7f800000, v98
                                        ; implicit-def: $vgpr98
	s_and_saveexec_b32 s12, s0
	s_delay_alu instid0(SALU_CYCLE_1)
	s_xor_b32 s0, exec_lo, s12
; %bb.686:                              ;   in Loop: Header=BB401_424 Depth=1
	v_bfe_u32 v98, v101, 16, 1
	s_delay_alu instid0(VALU_DEP_1)
	v_add3_u32 v98, v101, v98, 0x7fff
                                        ; implicit-def: $vgpr101
; %bb.687:                              ;   in Loop: Header=BB401_424 Depth=1
	s_and_not1_saveexec_b32 s12, s0
; %bb.688:                              ;   in Loop: Header=BB401_424 Depth=1
	v_and_b32_e32 v98, 0xffff, v101
	v_or_b32_e32 v102, 0x10000, v101
	s_delay_alu instid0(VALU_DEP_2) | instskip(NEXT) | instid1(VALU_DEP_1)
	v_cmp_eq_u32_e64 s0, 0, v98
	v_cndmask_b32_e64 v98, v102, v101, s0
; %bb.689:                              ;   in Loop: Header=BB401_424 Depth=1
	s_or_b32 exec_lo, exec_lo, s12
	v_lshlrev_b32_e32 v99, 16, v99
	s_delay_alu instid0(VALU_DEP_1) | instskip(NEXT) | instid1(VALU_DEP_1)
	v_mul_f32_e32 v101, v83, v99
	v_and_b32_e32 v99, 0x7f800000, v101
	s_delay_alu instid0(VALU_DEP_1) | instskip(NEXT) | instid1(VALU_DEP_1)
	v_cmp_ne_u32_e64 s0, 0x7f800000, v99
                                        ; implicit-def: $vgpr99
	s_and_saveexec_b32 s12, s0
	s_delay_alu instid0(SALU_CYCLE_1)
	s_xor_b32 s0, exec_lo, s12
; %bb.690:                              ;   in Loop: Header=BB401_424 Depth=1
	v_bfe_u32 v99, v101, 16, 1
	s_delay_alu instid0(VALU_DEP_1)
	v_add3_u32 v99, v101, v99, 0x7fff
                                        ; implicit-def: $vgpr101
; %bb.691:                              ;   in Loop: Header=BB401_424 Depth=1
	s_and_not1_saveexec_b32 s12, s0
; %bb.692:                              ;   in Loop: Header=BB401_424 Depth=1
	v_and_b32_e32 v99, 0xffff, v101
	v_or_b32_e32 v102, 0x10000, v101
	s_delay_alu instid0(VALU_DEP_2) | instskip(NEXT) | instid1(VALU_DEP_1)
	v_cmp_eq_u32_e64 s0, 0, v99
	v_cndmask_b32_e64 v99, v102, v101, s0
; %bb.693:                              ;   in Loop: Header=BB401_424 Depth=1
	s_or_b32 exec_lo, exec_lo, s12
	v_lshlrev_b32_e32 v100, 16, v100
	s_delay_alu instid0(VALU_DEP_1) | instskip(NEXT) | instid1(VALU_DEP_1)
	v_mul_f32_e32 v101, v84, v100
	v_and_b32_e32 v100, 0x7f800000, v101
	s_delay_alu instid0(VALU_DEP_1) | instskip(NEXT) | instid1(VALU_DEP_1)
	v_cmp_ne_u32_e64 s0, 0x7f800000, v100
                                        ; implicit-def: $vgpr100
	s_and_saveexec_b32 s12, s0
	s_delay_alu instid0(SALU_CYCLE_1)
	s_xor_b32 s0, exec_lo, s12
; %bb.694:                              ;   in Loop: Header=BB401_424 Depth=1
	v_bfe_u32 v100, v101, 16, 1
	s_delay_alu instid0(VALU_DEP_1)
	v_add3_u32 v100, v101, v100, 0x7fff
                                        ; implicit-def: $vgpr101
; %bb.695:                              ;   in Loop: Header=BB401_424 Depth=1
	s_and_not1_saveexec_b32 s12, s0
; %bb.696:                              ;   in Loop: Header=BB401_424 Depth=1
	v_and_b32_e32 v100, 0xffff, v101
	v_or_b32_e32 v102, 0x10000, v101
	s_delay_alu instid0(VALU_DEP_2) | instskip(NEXT) | instid1(VALU_DEP_1)
	v_cmp_eq_u32_e64 s0, 0, v100
	v_cndmask_b32_e64 v100, v102, v101, s0
; %bb.697:                              ;   in Loop: Header=BB401_424 Depth=1
	s_or_b32 exec_lo, exec_lo, s12
	v_lshlrev_b32_e32 v9, 16, v9
	s_delay_alu instid0(VALU_DEP_1) | instskip(NEXT) | instid1(VALU_DEP_1)
	v_mul_f32_e32 v9, v85, v9
	v_and_b32_e32 v101, 0x7f800000, v9
	s_delay_alu instid0(VALU_DEP_1) | instskip(NEXT) | instid1(VALU_DEP_1)
	v_cmp_ne_u32_e64 s0, 0x7f800000, v101
                                        ; implicit-def: $vgpr101
	s_and_saveexec_b32 s12, s0
	s_delay_alu instid0(SALU_CYCLE_1)
	s_xor_b32 s0, exec_lo, s12
; %bb.698:                              ;   in Loop: Header=BB401_424 Depth=1
	v_bfe_u32 v101, v9, 16, 1
	s_delay_alu instid0(VALU_DEP_1)
	v_add3_u32 v101, v9, v101, 0x7fff
                                        ; implicit-def: $vgpr9
; %bb.699:                              ;   in Loop: Header=BB401_424 Depth=1
	s_and_not1_saveexec_b32 s12, s0
; %bb.700:                              ;   in Loop: Header=BB401_424 Depth=1
	v_and_b32_e32 v101, 0xffff, v9
	v_or_b32_e32 v102, 0x10000, v9
	s_delay_alu instid0(VALU_DEP_2) | instskip(NEXT) | instid1(VALU_DEP_1)
	v_cmp_eq_u32_e64 s0, 0, v101
	v_cndmask_b32_e64 v101, v102, v9, s0
; %bb.701:                              ;   in Loop: Header=BB401_424 Depth=1
	s_or_b32 exec_lo, exec_lo, s12
	v_lshlrev_b32_e32 v7, 16, v7
                                        ; implicit-def: $vgpr102
	s_delay_alu instid0(VALU_DEP_1) | instskip(NEXT) | instid1(VALU_DEP_1)
	v_mul_f32_e32 v7, v86, v7
	v_and_b32_e32 v9, 0x7f800000, v7
	s_delay_alu instid0(VALU_DEP_1) | instskip(NEXT) | instid1(VALU_DEP_1)
	v_cmp_ne_u32_e64 s0, 0x7f800000, v9
	s_and_saveexec_b32 s12, s0
	s_delay_alu instid0(SALU_CYCLE_1)
	s_xor_b32 s0, exec_lo, s12
; %bb.702:                              ;   in Loop: Header=BB401_424 Depth=1
	v_bfe_u32 v9, v7, 16, 1
	s_delay_alu instid0(VALU_DEP_1)
	v_add3_u32 v102, v7, v9, 0x7fff
                                        ; implicit-def: $vgpr7
; %bb.703:                              ;   in Loop: Header=BB401_424 Depth=1
	s_and_not1_saveexec_b32 s12, s0
; %bb.704:                              ;   in Loop: Header=BB401_424 Depth=1
	v_and_b32_e32 v9, 0xffff, v7
	v_or_b32_e32 v102, 0x10000, v7
	s_delay_alu instid0(VALU_DEP_2) | instskip(NEXT) | instid1(VALU_DEP_1)
	v_cmp_eq_u32_e64 s0, 0, v9
	v_cndmask_b32_e64 v102, v102, v7, s0
; %bb.705:                              ;   in Loop: Header=BB401_424 Depth=1
	s_or_b32 exec_lo, exec_lo, s12
	v_lshlrev_b32_e32 v6, 16, v6
                                        ; implicit-def: $vgpr103
	s_delay_alu instid0(VALU_DEP_1) | instskip(NEXT) | instid1(VALU_DEP_1)
	v_mul_f32_e32 v6, v87, v6
	v_and_b32_e32 v7, 0x7f800000, v6
	s_delay_alu instid0(VALU_DEP_1) | instskip(NEXT) | instid1(VALU_DEP_1)
	v_cmp_ne_u32_e64 s0, 0x7f800000, v7
	s_and_saveexec_b32 s12, s0
	s_delay_alu instid0(SALU_CYCLE_1)
	s_xor_b32 s0, exec_lo, s12
; %bb.706:                              ;   in Loop: Header=BB401_424 Depth=1
	v_bfe_u32 v7, v6, 16, 1
	s_delay_alu instid0(VALU_DEP_1)
	v_add3_u32 v103, v6, v7, 0x7fff
                                        ; implicit-def: $vgpr6
; %bb.707:                              ;   in Loop: Header=BB401_424 Depth=1
	s_and_not1_saveexec_b32 s12, s0
; %bb.708:                              ;   in Loop: Header=BB401_424 Depth=1
	v_and_b32_e32 v7, 0xffff, v6
	v_or_b32_e32 v9, 0x10000, v6
	s_delay_alu instid0(VALU_DEP_2) | instskip(NEXT) | instid1(VALU_DEP_1)
	v_cmp_eq_u32_e64 s0, 0, v7
	v_cndmask_b32_e64 v103, v9, v6, s0
; %bb.709:                              ;   in Loop: Header=BB401_424 Depth=1
	s_or_b32 exec_lo, exec_lo, s12
	v_lshlrev_b32_e32 v3, 16, v3
                                        ; implicit-def: $vgpr112
	s_delay_alu instid0(VALU_DEP_1) | instskip(NEXT) | instid1(VALU_DEP_1)
	v_mul_f32_e32 v3, v96, v3
	v_and_b32_e32 v6, 0x7f800000, v3
	s_delay_alu instid0(VALU_DEP_1) | instskip(NEXT) | instid1(VALU_DEP_1)
	v_cmp_ne_u32_e64 s0, 0x7f800000, v6
	s_and_saveexec_b32 s12, s0
	s_delay_alu instid0(SALU_CYCLE_1)
	s_xor_b32 s0, exec_lo, s12
; %bb.710:                              ;   in Loop: Header=BB401_424 Depth=1
	v_bfe_u32 v6, v3, 16, 1
	s_delay_alu instid0(VALU_DEP_1)
	v_add3_u32 v112, v3, v6, 0x7fff
                                        ; implicit-def: $vgpr3
; %bb.711:                              ;   in Loop: Header=BB401_424 Depth=1
	s_and_not1_saveexec_b32 s12, s0
; %bb.712:                              ;   in Loop: Header=BB401_424 Depth=1
	v_and_b32_e32 v6, 0xffff, v3
	v_or_b32_e32 v7, 0x10000, v3
	s_delay_alu instid0(VALU_DEP_2) | instskip(NEXT) | instid1(VALU_DEP_1)
	v_cmp_eq_u32_e64 s0, 0, v6
	v_cndmask_b32_e64 v112, v7, v3, s0
; %bb.713:                              ;   in Loop: Header=BB401_424 Depth=1
	s_or_b32 exec_lo, exec_lo, s12
	v_lshlrev_b32_e32 v2, 16, v2
                                        ; implicit-def: $vgpr113
	s_delay_alu instid0(VALU_DEP_1) | instskip(NEXT) | instid1(VALU_DEP_1)
	v_mul_f32_e32 v2, v97, v2
	v_and_b32_e32 v3, 0x7f800000, v2
	s_delay_alu instid0(VALU_DEP_1) | instskip(NEXT) | instid1(VALU_DEP_1)
	v_cmp_ne_u32_e64 s0, 0x7f800000, v3
	s_and_saveexec_b32 s12, s0
	s_delay_alu instid0(SALU_CYCLE_1)
	s_xor_b32 s0, exec_lo, s12
; %bb.714:                              ;   in Loop: Header=BB401_424 Depth=1
	v_bfe_u32 v3, v2, 16, 1
	s_delay_alu instid0(VALU_DEP_1)
	v_add3_u32 v113, v2, v3, 0x7fff
                                        ; implicit-def: $vgpr2
; %bb.715:                              ;   in Loop: Header=BB401_424 Depth=1
	s_and_not1_saveexec_b32 s12, s0
; %bb.716:                              ;   in Loop: Header=BB401_424 Depth=1
	v_and_b32_e32 v3, 0xffff, v2
	v_or_b32_e32 v6, 0x10000, v2
	s_delay_alu instid0(VALU_DEP_2) | instskip(NEXT) | instid1(VALU_DEP_1)
	v_cmp_eq_u32_e64 s0, 0, v3
	v_cndmask_b32_e64 v113, v6, v2, s0
; %bb.717:                              ;   in Loop: Header=BB401_424 Depth=1
	s_or_b32 exec_lo, exec_lo, s12
	flat_load_b64 v[2:3], v[0:1] offset:512
	s_mov_b32 s12, exec_lo
	s_waitcnt vmcnt(0) lgkmcnt(0)
	v_dual_mov_b32 v6, 0 :: v_dual_and_b32 v7, 0xff, v2
	s_delay_alu instid0(VALU_DEP_1)
	v_cmpx_ne_u16_e32 0, v7
	s_cbranch_execz .LBB401_725
; %bb.718:                              ;   in Loop: Header=BB401_424 Depth=1
	v_bfrev_b32_e32 v6, 1
	s_mov_b32 s13, exec_lo
	v_cmpx_ne_u16_e32 0x80, v7
	s_cbranch_execz .LBB401_724
; %bb.719:                              ;   in Loop: Header=BB401_424 Depth=1
	v_and_b32_e32 v7, 0x7f, v2
	v_mov_b32_e32 v6, 0x7f800001
	s_mov_b32 s15, exec_lo
	s_delay_alu instid0(VALU_DEP_2)
	v_cmpx_ne_u32_e32 0x7f, v7
	s_cbranch_execz .LBB401_723
; %bb.720:                              ;   in Loop: Header=BB401_424 Depth=1
	v_lshrrev_b32_e32 v9, 3, v7
	v_cmp_gt_u32_e64 s0, 8, v7
	v_dual_mov_b32 v7, v3 :: v_dual_mov_b32 v6, v2
	s_delay_alu instid0(VALU_DEP_2)
	s_and_saveexec_b32 s17, s0
; %bb.721:                              ;   in Loop: Header=BB401_424 Depth=1
	v_and_b32_e32 v6, 7, v2
	s_delay_alu instid0(VALU_DEP_1) | instskip(NEXT) | instid1(VALU_DEP_1)
	v_clz_i32_u32_e32 v6, v6
	v_min_u32_e32 v9, 32, v6
	s_delay_alu instid0(VALU_DEP_1) | instskip(SKIP_1) | instid1(VALU_DEP_2)
	v_subrev_nc_u32_e32 v6, 28, v9
	v_sub_nc_u32_e32 v9, 29, v9
	v_lshlrev_b64 v[6:7], v6, v[2:3]
; %bb.722:                              ;   in Loop: Header=BB401_424 Depth=1
	s_or_b32 exec_lo, exec_lo, s17
	s_delay_alu instid0(VALU_DEP_1) | instskip(SKIP_2) | instid1(VALU_DEP_3)
	v_lshlrev_b32_e32 v6, 20, v6
	v_lshlrev_b32_e32 v7, 24, v2
	v_lshl_add_u32 v9, v9, 23, 0x3c000000
	v_and_b32_e32 v6, 0x700000, v6
	s_delay_alu instid0(VALU_DEP_3) | instskip(NEXT) | instid1(VALU_DEP_1)
	v_and_b32_e32 v7, 0x80000000, v7
	v_or3_b32 v6, v6, v7, v9
.LBB401_723:                            ;   in Loop: Header=BB401_424 Depth=1
	s_or_b32 exec_lo, exec_lo, s15
.LBB401_724:                            ;   in Loop: Header=BB401_424 Depth=1
	s_delay_alu instid0(SALU_CYCLE_1)
	s_or_b32 exec_lo, exec_lo, s13
.LBB401_725:                            ;   in Loop: Header=BB401_424 Depth=1
	s_delay_alu instid0(SALU_CYCLE_1) | instskip(NEXT) | instid1(VALU_DEP_1)
	s_or_b32 exec_lo, exec_lo, s12
	v_mul_f32_e32 v6, v8, v6
                                        ; implicit-def: $vgpr114
	s_delay_alu instid0(VALU_DEP_1) | instskip(NEXT) | instid1(VALU_DEP_1)
	v_and_b32_e32 v7, 0x7f800000, v6
	v_cmp_ne_u32_e64 s0, 0x7f800000, v7
	s_delay_alu instid0(VALU_DEP_1) | instskip(NEXT) | instid1(SALU_CYCLE_1)
	s_and_saveexec_b32 s12, s0
	s_xor_b32 s0, exec_lo, s12
; %bb.726:                              ;   in Loop: Header=BB401_424 Depth=1
	v_bfe_u32 v7, v6, 16, 1
	s_delay_alu instid0(VALU_DEP_1)
	v_add3_u32 v114, v6, v7, 0x7fff
                                        ; implicit-def: $vgpr6
; %bb.727:                              ;   in Loop: Header=BB401_424 Depth=1
	s_and_not1_saveexec_b32 s12, s0
; %bb.728:                              ;   in Loop: Header=BB401_424 Depth=1
	v_and_b32_e32 v7, 0xffff, v6
	v_or_b32_e32 v9, 0x10000, v6
	s_delay_alu instid0(VALU_DEP_2) | instskip(NEXT) | instid1(VALU_DEP_1)
	v_cmp_eq_u32_e64 s0, 0, v7
	v_cndmask_b32_e64 v114, v9, v6, s0
; %bb.729:                              ;   in Loop: Header=BB401_424 Depth=1
	s_or_b32 exec_lo, exec_lo, s12
	v_lshrrev_b16 v7, 8, v2
	v_mov_b32_e32 v6, 0
	s_mov_b32 s12, exec_lo
	s_delay_alu instid0(VALU_DEP_2)
	v_cmpx_ne_u16_e32 0, v7
	s_cbranch_execz .LBB401_737
; %bb.730:                              ;   in Loop: Header=BB401_424 Depth=1
	v_bfrev_b32_e32 v6, 1
	s_mov_b32 s13, exec_lo
	v_cmpx_ne_u16_e32 0x80, v7
	s_cbranch_execz .LBB401_736
; %bb.731:                              ;   in Loop: Header=BB401_424 Depth=1
	v_and_b32_e32 v9, 0xffff, v7
	v_mov_b32_e32 v6, 0x7f800001
	s_mov_b32 s15, exec_lo
	s_delay_alu instid0(VALU_DEP_2) | instskip(NEXT) | instid1(VALU_DEP_1)
	v_and_b32_e32 v7, 0x7f, v9
	v_cmpx_ne_u32_e32 0x7f, v7
	s_cbranch_execz .LBB401_735
; %bb.732:                              ;   in Loop: Header=BB401_424 Depth=1
	v_and_b32_e32 v9, 7, v9
	v_lshrrev_b32_e32 v6, 3, v7
	s_mov_b32 s17, exec_lo
	v_cmpx_gt_u32_e32 8, v7
; %bb.733:                              ;   in Loop: Header=BB401_424 Depth=1
	s_delay_alu instid0(VALU_DEP_3) | instskip(NEXT) | instid1(VALU_DEP_1)
	v_clz_i32_u32_e32 v6, v9
	v_min_u32_e32 v6, 32, v6
	s_delay_alu instid0(VALU_DEP_1) | instskip(SKIP_1) | instid1(VALU_DEP_2)
	v_subrev_nc_u32_e32 v7, 28, v6
	v_sub_nc_u32_e32 v6, 29, v6
	v_lshlrev_b64 v[115:116], v7, v[9:10]
	s_delay_alu instid0(VALU_DEP_1)
	v_and_b32_e32 v9, 7, v115
; %bb.734:                              ;   in Loop: Header=BB401_424 Depth=1
	s_or_b32 exec_lo, exec_lo, s17
	v_lshlrev_b32_e32 v7, 16, v2
	s_delay_alu instid0(VALU_DEP_2) | instskip(SKIP_1) | instid1(VALU_DEP_3)
	v_lshlrev_b32_e32 v9, 20, v9
	v_lshl_add_u32 v6, v6, 23, 0x3c000000
	v_and_b32_e32 v7, 0x80000000, v7
	s_delay_alu instid0(VALU_DEP_1)
	v_or3_b32 v6, v9, v7, v6
.LBB401_735:                            ;   in Loop: Header=BB401_424 Depth=1
	s_or_b32 exec_lo, exec_lo, s15
.LBB401_736:                            ;   in Loop: Header=BB401_424 Depth=1
	s_delay_alu instid0(SALU_CYCLE_1)
	s_or_b32 exec_lo, exec_lo, s13
.LBB401_737:                            ;   in Loop: Header=BB401_424 Depth=1
	s_delay_alu instid0(SALU_CYCLE_1) | instskip(NEXT) | instid1(VALU_DEP_1)
	s_or_b32 exec_lo, exec_lo, s12
	v_mul_f32_e32 v6, v8, v6
                                        ; implicit-def: $vgpr115
	s_delay_alu instid0(VALU_DEP_1) | instskip(NEXT) | instid1(VALU_DEP_1)
	v_and_b32_e32 v7, 0x7f800000, v6
	v_cmp_ne_u32_e64 s0, 0x7f800000, v7
	s_delay_alu instid0(VALU_DEP_1) | instskip(NEXT) | instid1(SALU_CYCLE_1)
	s_and_saveexec_b32 s12, s0
	s_xor_b32 s0, exec_lo, s12
; %bb.738:                              ;   in Loop: Header=BB401_424 Depth=1
	v_bfe_u32 v7, v6, 16, 1
	s_delay_alu instid0(VALU_DEP_1)
	v_add3_u32 v115, v6, v7, 0x7fff
                                        ; implicit-def: $vgpr6
; %bb.739:                              ;   in Loop: Header=BB401_424 Depth=1
	s_and_not1_saveexec_b32 s12, s0
; %bb.740:                              ;   in Loop: Header=BB401_424 Depth=1
	v_and_b32_e32 v7, 0xffff, v6
	v_or_b32_e32 v9, 0x10000, v6
	s_delay_alu instid0(VALU_DEP_2) | instskip(NEXT) | instid1(VALU_DEP_1)
	v_cmp_eq_u32_e64 s0, 0, v7
	v_cndmask_b32_e64 v115, v9, v6, s0
; %bb.741:                              ;   in Loop: Header=BB401_424 Depth=1
	s_or_b32 exec_lo, exec_lo, s12
	v_lshrrev_b32_e32 v6, 16, v2
	v_mov_b32_e32 v7, 0
	s_mov_b32 s12, exec_lo
	s_delay_alu instid0(VALU_DEP_2) | instskip(NEXT) | instid1(VALU_DEP_1)
	v_and_b32_e32 v9, 0xff, v6
	v_cmpx_ne_u16_e32 0, v9
	s_cbranch_execz .LBB401_749
; %bb.742:                              ;   in Loop: Header=BB401_424 Depth=1
	v_bfrev_b32_e32 v7, 1
	s_mov_b32 s13, exec_lo
	v_cmpx_ne_u16_e32 0x80, v9
	s_cbranch_execz .LBB401_748
; %bb.743:                              ;   in Loop: Header=BB401_424 Depth=1
	v_bfe_u32 v116, v2, 16, 7
	v_mov_b32_e32 v7, 0x7f800001
	s_mov_b32 s15, exec_lo
	s_delay_alu instid0(VALU_DEP_2)
	v_cmpx_ne_u32_e32 0x7f, v116
	s_cbranch_execz .LBB401_747
; %bb.744:                              ;   in Loop: Header=BB401_424 Depth=1
	v_and_b32_e32 v9, 7, v6
	v_lshrrev_b32_e32 v7, 3, v116
	s_mov_b32 s17, exec_lo
	v_cmpx_gt_u32_e32 8, v116
; %bb.745:                              ;   in Loop: Header=BB401_424 Depth=1
	s_delay_alu instid0(VALU_DEP_3) | instskip(NEXT) | instid1(VALU_DEP_1)
	v_clz_i32_u32_e32 v7, v9
	v_min_u32_e32 v7, 32, v7
	s_delay_alu instid0(VALU_DEP_1) | instskip(SKIP_1) | instid1(VALU_DEP_2)
	v_subrev_nc_u32_e32 v116, 28, v7
	v_sub_nc_u32_e32 v7, 29, v7
	v_lshlrev_b64 v[116:117], v116, v[9:10]
	s_delay_alu instid0(VALU_DEP_1)
	v_and_b32_e32 v9, 7, v116
; %bb.746:                              ;   in Loop: Header=BB401_424 Depth=1
	s_or_b32 exec_lo, exec_lo, s17
	v_lshlrev_b32_e32 v6, 24, v6
	s_delay_alu instid0(VALU_DEP_2) | instskip(SKIP_1) | instid1(VALU_DEP_3)
	v_lshlrev_b32_e32 v9, 20, v9
	v_lshl_add_u32 v7, v7, 23, 0x3c000000
	v_and_b32_e32 v6, 0x80000000, v6
	s_delay_alu instid0(VALU_DEP_1)
	v_or3_b32 v7, v9, v6, v7
.LBB401_747:                            ;   in Loop: Header=BB401_424 Depth=1
	s_or_b32 exec_lo, exec_lo, s15
.LBB401_748:                            ;   in Loop: Header=BB401_424 Depth=1
	s_delay_alu instid0(SALU_CYCLE_1)
	s_or_b32 exec_lo, exec_lo, s13
.LBB401_749:                            ;   in Loop: Header=BB401_424 Depth=1
	s_delay_alu instid0(SALU_CYCLE_1) | instskip(NEXT) | instid1(VALU_DEP_1)
	s_or_b32 exec_lo, exec_lo, s12
	v_mul_f32_e32 v6, v8, v7
                                        ; implicit-def: $vgpr116
	s_delay_alu instid0(VALU_DEP_1) | instskip(NEXT) | instid1(VALU_DEP_1)
	v_and_b32_e32 v7, 0x7f800000, v6
	v_cmp_ne_u32_e64 s0, 0x7f800000, v7
	s_delay_alu instid0(VALU_DEP_1) | instskip(NEXT) | instid1(SALU_CYCLE_1)
	s_and_saveexec_b32 s12, s0
	s_xor_b32 s0, exec_lo, s12
; %bb.750:                              ;   in Loop: Header=BB401_424 Depth=1
	v_bfe_u32 v7, v6, 16, 1
	s_delay_alu instid0(VALU_DEP_1)
	v_add3_u32 v116, v6, v7, 0x7fff
                                        ; implicit-def: $vgpr6
; %bb.751:                              ;   in Loop: Header=BB401_424 Depth=1
	s_and_not1_saveexec_b32 s12, s0
; %bb.752:                              ;   in Loop: Header=BB401_424 Depth=1
	v_and_b32_e32 v7, 0xffff, v6
	v_or_b32_e32 v9, 0x10000, v6
	s_delay_alu instid0(VALU_DEP_2) | instskip(NEXT) | instid1(VALU_DEP_1)
	v_cmp_eq_u32_e64 s0, 0, v7
	v_cndmask_b32_e64 v116, v9, v6, s0
; %bb.753:                              ;   in Loop: Header=BB401_424 Depth=1
	s_or_b32 exec_lo, exec_lo, s12
	v_mov_b32_e32 v7, 0
	s_mov_b32 s12, exec_lo
	v_cmpx_lt_u32_e32 0xffffff, v2
	s_cbranch_execz .LBB401_761
; %bb.754:                              ;   in Loop: Header=BB401_424 Depth=1
	v_lshrrev_b32_e32 v6, 24, v2
	v_bfrev_b32_e32 v7, 1
	s_mov_b32 s13, exec_lo
	s_delay_alu instid0(VALU_DEP_2)
	v_cmpx_ne_u32_e32 0x80, v6
	s_cbranch_execz .LBB401_760
; %bb.755:                              ;   in Loop: Header=BB401_424 Depth=1
	v_bfe_u32 v117, v2, 24, 7
	v_mov_b32_e32 v7, 0x7f800001
	s_mov_b32 s15, exec_lo
	s_delay_alu instid0(VALU_DEP_2)
	v_cmpx_ne_u32_e32 0x7f, v117
	s_cbranch_execz .LBB401_759
; %bb.756:                              ;   in Loop: Header=BB401_424 Depth=1
	v_and_b32_e32 v9, 7, v6
	v_lshrrev_b32_e32 v7, 3, v117
	s_mov_b32 s17, exec_lo
	v_cmpx_gt_u32_e32 8, v117
; %bb.757:                              ;   in Loop: Header=BB401_424 Depth=1
	s_delay_alu instid0(VALU_DEP_3) | instskip(NEXT) | instid1(VALU_DEP_1)
	v_clz_i32_u32_e32 v7, v9
	v_min_u32_e32 v7, 32, v7
	s_delay_alu instid0(VALU_DEP_1) | instskip(SKIP_1) | instid1(VALU_DEP_2)
	v_subrev_nc_u32_e32 v117, 28, v7
	v_sub_nc_u32_e32 v7, 29, v7
	v_lshlrev_b64 v[117:118], v117, v[9:10]
	s_delay_alu instid0(VALU_DEP_1)
	v_and_b32_e32 v9, 7, v117
; %bb.758:                              ;   in Loop: Header=BB401_424 Depth=1
	s_or_b32 exec_lo, exec_lo, s17
	v_lshlrev_b32_e32 v6, 24, v6
	s_delay_alu instid0(VALU_DEP_2) | instskip(SKIP_1) | instid1(VALU_DEP_3)
	v_lshlrev_b32_e32 v9, 20, v9
	v_lshl_add_u32 v7, v7, 23, 0x3c000000
	v_and_b32_e32 v6, 0x80000000, v6
	s_delay_alu instid0(VALU_DEP_1)
	v_or3_b32 v7, v9, v6, v7
.LBB401_759:                            ;   in Loop: Header=BB401_424 Depth=1
	s_or_b32 exec_lo, exec_lo, s15
.LBB401_760:                            ;   in Loop: Header=BB401_424 Depth=1
	s_delay_alu instid0(SALU_CYCLE_1)
	s_or_b32 exec_lo, exec_lo, s13
.LBB401_761:                            ;   in Loop: Header=BB401_424 Depth=1
	s_delay_alu instid0(SALU_CYCLE_1) | instskip(NEXT) | instid1(VALU_DEP_1)
	s_or_b32 exec_lo, exec_lo, s12
	v_mul_f32_e32 v6, v8, v7
                                        ; implicit-def: $vgpr117
	s_delay_alu instid0(VALU_DEP_1) | instskip(NEXT) | instid1(VALU_DEP_1)
	v_and_b32_e32 v7, 0x7f800000, v6
	v_cmp_ne_u32_e64 s0, 0x7f800000, v7
	s_delay_alu instid0(VALU_DEP_1) | instskip(NEXT) | instid1(SALU_CYCLE_1)
	s_and_saveexec_b32 s12, s0
	s_xor_b32 s0, exec_lo, s12
; %bb.762:                              ;   in Loop: Header=BB401_424 Depth=1
	v_bfe_u32 v7, v6, 16, 1
	s_delay_alu instid0(VALU_DEP_1)
	v_add3_u32 v117, v6, v7, 0x7fff
                                        ; implicit-def: $vgpr6
; %bb.763:                              ;   in Loop: Header=BB401_424 Depth=1
	s_and_not1_saveexec_b32 s12, s0
; %bb.764:                              ;   in Loop: Header=BB401_424 Depth=1
	v_and_b32_e32 v7, 0xffff, v6
	v_or_b32_e32 v9, 0x10000, v6
	s_delay_alu instid0(VALU_DEP_2) | instskip(NEXT) | instid1(VALU_DEP_1)
	v_cmp_eq_u32_e64 s0, 0, v7
	v_cndmask_b32_e64 v117, v9, v6, s0
; %bb.765:                              ;   in Loop: Header=BB401_424 Depth=1
	s_or_b32 exec_lo, exec_lo, s12
	v_dual_mov_b32 v6, 0 :: v_dual_and_b32 v7, 0xff, v3
	v_mov_b32_e32 v9, v3
	s_mov_b32 s12, exec_lo
	s_delay_alu instid0(VALU_DEP_2)
	v_cmpx_ne_u16_e32 0, v7
	s_cbranch_execz .LBB401_773
; %bb.766:                              ;   in Loop: Header=BB401_424 Depth=1
	v_bfrev_b32_e32 v6, 1
	s_mov_b32 s13, exec_lo
	v_cmpx_ne_u16_e32 0x80, v7
	s_cbranch_execz .LBB401_772
; %bb.767:                              ;   in Loop: Header=BB401_424 Depth=1
	v_and_b32_e32 v7, 0x7f, v3
	v_mov_b32_e32 v6, 0x7f800001
	s_mov_b32 s15, exec_lo
	s_delay_alu instid0(VALU_DEP_2)
	v_cmpx_ne_u32_e32 0x7f, v7
	s_cbranch_execz .LBB401_771
; %bb.768:                              ;   in Loop: Header=BB401_424 Depth=1
	v_lshrrev_b32_e32 v118, 3, v7
	v_cmp_gt_u32_e64 s0, 8, v7
	v_dual_mov_b32 v6, v9 :: v_dual_mov_b32 v7, v10
	s_delay_alu instid0(VALU_DEP_2)
	s_and_saveexec_b32 s17, s0
; %bb.769:                              ;   in Loop: Header=BB401_424 Depth=1
	v_and_b32_e32 v6, 7, v3
	s_delay_alu instid0(VALU_DEP_1) | instskip(NEXT) | instid1(VALU_DEP_1)
	v_clz_i32_u32_e32 v6, v6
	v_min_u32_e32 v118, 32, v6
	s_delay_alu instid0(VALU_DEP_1) | instskip(SKIP_1) | instid1(VALU_DEP_2)
	v_subrev_nc_u32_e32 v6, 28, v118
	v_sub_nc_u32_e32 v118, 29, v118
	v_lshlrev_b64 v[6:7], v6, v[9:10]
; %bb.770:                              ;   in Loop: Header=BB401_424 Depth=1
	s_or_b32 exec_lo, exec_lo, s17
	s_delay_alu instid0(VALU_DEP_1) | instskip(SKIP_2) | instid1(VALU_DEP_3)
	v_lshlrev_b32_e32 v6, 20, v6
	v_lshlrev_b32_e32 v7, 24, v9
	v_lshl_add_u32 v118, v118, 23, 0x3c000000
	v_and_b32_e32 v6, 0x700000, v6
	s_delay_alu instid0(VALU_DEP_3) | instskip(NEXT) | instid1(VALU_DEP_1)
	v_and_b32_e32 v7, 0x80000000, v7
	v_or3_b32 v6, v6, v7, v118
.LBB401_771:                            ;   in Loop: Header=BB401_424 Depth=1
	s_or_b32 exec_lo, exec_lo, s15
.LBB401_772:                            ;   in Loop: Header=BB401_424 Depth=1
	s_delay_alu instid0(SALU_CYCLE_1)
	s_or_b32 exec_lo, exec_lo, s13
.LBB401_773:                            ;   in Loop: Header=BB401_424 Depth=1
	s_delay_alu instid0(SALU_CYCLE_1) | instskip(NEXT) | instid1(VALU_DEP_1)
	s_or_b32 exec_lo, exec_lo, s12
	v_mul_f32_e32 v6, v8, v6
                                        ; implicit-def: $vgpr118
	s_delay_alu instid0(VALU_DEP_1) | instskip(NEXT) | instid1(VALU_DEP_1)
	v_and_b32_e32 v7, 0x7f800000, v6
	v_cmp_ne_u32_e64 s0, 0x7f800000, v7
	s_delay_alu instid0(VALU_DEP_1) | instskip(NEXT) | instid1(SALU_CYCLE_1)
	s_and_saveexec_b32 s12, s0
	s_xor_b32 s0, exec_lo, s12
; %bb.774:                              ;   in Loop: Header=BB401_424 Depth=1
	v_bfe_u32 v7, v6, 16, 1
	s_delay_alu instid0(VALU_DEP_1)
	v_add3_u32 v118, v6, v7, 0x7fff
                                        ; implicit-def: $vgpr6
; %bb.775:                              ;   in Loop: Header=BB401_424 Depth=1
	s_and_not1_saveexec_b32 s12, s0
; %bb.776:                              ;   in Loop: Header=BB401_424 Depth=1
	v_and_b32_e32 v7, 0xffff, v6
	v_or_b32_e32 v118, 0x10000, v6
	s_delay_alu instid0(VALU_DEP_2) | instskip(NEXT) | instid1(VALU_DEP_1)
	v_cmp_eq_u32_e64 s0, 0, v7
	v_cndmask_b32_e64 v118, v118, v6, s0
; %bb.777:                              ;   in Loop: Header=BB401_424 Depth=1
	s_or_b32 exec_lo, exec_lo, s12
	v_lshrrev_b16 v7, 8, v9
	v_mov_b32_e32 v6, 0
	s_mov_b32 s12, exec_lo
	s_delay_alu instid0(VALU_DEP_2)
	v_cmpx_ne_u16_e32 0, v7
	s_cbranch_execz .LBB401_785
; %bb.778:                              ;   in Loop: Header=BB401_424 Depth=1
	v_bfrev_b32_e32 v6, 1
	s_mov_b32 s13, exec_lo
	v_cmpx_ne_u16_e32 0x80, v7
	s_cbranch_execz .LBB401_784
; %bb.779:                              ;   in Loop: Header=BB401_424 Depth=1
	v_and_b32_e32 v7, 0xffff, v7
	v_mov_b32_e32 v6, 0x7f800001
	s_mov_b32 s15, exec_lo
	s_delay_alu instid0(VALU_DEP_2) | instskip(NEXT) | instid1(VALU_DEP_1)
	v_and_b32_e32 v128, 0x7f, v7
	v_cmpx_ne_u32_e32 0x7f, v128
	s_cbranch_execz .LBB401_783
; %bb.780:                              ;   in Loop: Header=BB401_424 Depth=1
	v_dual_mov_b32 v7, v10 :: v_dual_and_b32 v6, 7, v7
	v_lshrrev_b32_e32 v119, 3, v128
	s_mov_b32 s17, exec_lo
	v_cmpx_gt_u32_e32 8, v128
; %bb.781:                              ;   in Loop: Header=BB401_424 Depth=1
	s_delay_alu instid0(VALU_DEP_3) | instskip(NEXT) | instid1(VALU_DEP_1)
	v_clz_i32_u32_e32 v119, v6
	v_min_u32_e32 v119, 32, v119
	s_delay_alu instid0(VALU_DEP_1) | instskip(SKIP_1) | instid1(VALU_DEP_2)
	v_subrev_nc_u32_e32 v128, 28, v119
	v_sub_nc_u32_e32 v119, 29, v119
	v_lshlrev_b64 v[6:7], v128, v[6:7]
	s_delay_alu instid0(VALU_DEP_1)
	v_and_b32_e32 v6, 7, v6
; %bb.782:                              ;   in Loop: Header=BB401_424 Depth=1
	s_or_b32 exec_lo, exec_lo, s17
	v_lshlrev_b32_e32 v7, 16, v9
	s_delay_alu instid0(VALU_DEP_2) | instskip(SKIP_1) | instid1(VALU_DEP_3)
	v_lshlrev_b32_e32 v6, 20, v6
	v_lshl_add_u32 v9, v119, 23, 0x3c000000
	v_and_b32_e32 v7, 0x80000000, v7
	s_delay_alu instid0(VALU_DEP_1)
	v_or3_b32 v6, v6, v7, v9
.LBB401_783:                            ;   in Loop: Header=BB401_424 Depth=1
	s_or_b32 exec_lo, exec_lo, s15
.LBB401_784:                            ;   in Loop: Header=BB401_424 Depth=1
	s_delay_alu instid0(SALU_CYCLE_1)
	s_or_b32 exec_lo, exec_lo, s13
.LBB401_785:                            ;   in Loop: Header=BB401_424 Depth=1
	s_delay_alu instid0(SALU_CYCLE_1) | instskip(NEXT) | instid1(VALU_DEP_1)
	s_or_b32 exec_lo, exec_lo, s12
	v_mul_f32_e32 v7, v8, v6
	s_delay_alu instid0(VALU_DEP_1) | instskip(NEXT) | instid1(VALU_DEP_1)
	v_and_b32_e32 v6, 0x7f800000, v7
	v_cmp_ne_u32_e64 s0, 0x7f800000, v6
                                        ; implicit-def: $vgpr6
	s_delay_alu instid0(VALU_DEP_1) | instskip(NEXT) | instid1(SALU_CYCLE_1)
	s_and_saveexec_b32 s12, s0
	s_xor_b32 s0, exec_lo, s12
; %bb.786:                              ;   in Loop: Header=BB401_424 Depth=1
	v_bfe_u32 v6, v7, 16, 1
	s_delay_alu instid0(VALU_DEP_1)
	v_add3_u32 v6, v7, v6, 0x7fff
                                        ; implicit-def: $vgpr7
; %bb.787:                              ;   in Loop: Header=BB401_424 Depth=1
	s_and_not1_saveexec_b32 s12, s0
; %bb.788:                              ;   in Loop: Header=BB401_424 Depth=1
	v_and_b32_e32 v6, 0xffff, v7
	v_or_b32_e32 v9, 0x10000, v7
	s_delay_alu instid0(VALU_DEP_2) | instskip(NEXT) | instid1(VALU_DEP_1)
	v_cmp_eq_u32_e64 s0, 0, v6
	v_cndmask_b32_e64 v6, v9, v7, s0
; %bb.789:                              ;   in Loop: Header=BB401_424 Depth=1
	s_or_b32 exec_lo, exec_lo, s12
	v_lshrrev_b32_e32 v7, 16, v3
	v_mov_b32_e32 v9, 0
	s_mov_b32 s12, exec_lo
	s_delay_alu instid0(VALU_DEP_2) | instskip(NEXT) | instid1(VALU_DEP_1)
	v_and_b32_e32 v119, 0xff, v7
	v_cmpx_ne_u16_e32 0, v119
	s_cbranch_execz .LBB401_797
; %bb.790:                              ;   in Loop: Header=BB401_424 Depth=1
	v_bfrev_b32_e32 v9, 1
	s_mov_b32 s13, exec_lo
	v_cmpx_ne_u16_e32 0x80, v119
	s_cbranch_execz .LBB401_796
; %bb.791:                              ;   in Loop: Header=BB401_424 Depth=1
	v_bfe_u32 v128, v3, 16, 7
	v_mov_b32_e32 v9, 0x7f800001
	s_mov_b32 s15, exec_lo
	s_delay_alu instid0(VALU_DEP_2)
	v_cmpx_ne_u32_e32 0x7f, v128
	s_cbranch_execz .LBB401_795
; %bb.792:                              ;   in Loop: Header=BB401_424 Depth=1
	v_and_b32_e32 v9, 7, v7
	v_lshrrev_b32_e32 v119, 3, v128
	s_mov_b32 s17, exec_lo
	v_cmpx_gt_u32_e32 8, v128
; %bb.793:                              ;   in Loop: Header=BB401_424 Depth=1
	s_delay_alu instid0(VALU_DEP_3) | instskip(NEXT) | instid1(VALU_DEP_1)
	v_clz_i32_u32_e32 v119, v9
	v_min_u32_e32 v119, 32, v119
	s_delay_alu instid0(VALU_DEP_1) | instskip(SKIP_1) | instid1(VALU_DEP_2)
	v_subrev_nc_u32_e32 v128, 28, v119
	v_sub_nc_u32_e32 v119, 29, v119
	v_lshlrev_b64 v[128:129], v128, v[9:10]
	s_delay_alu instid0(VALU_DEP_1)
	v_and_b32_e32 v9, 7, v128
; %bb.794:                              ;   in Loop: Header=BB401_424 Depth=1
	s_or_b32 exec_lo, exec_lo, s17
	v_lshlrev_b32_e32 v7, 24, v7
	s_delay_alu instid0(VALU_DEP_2) | instskip(SKIP_1) | instid1(VALU_DEP_3)
	v_lshlrev_b32_e32 v9, 20, v9
	v_lshl_add_u32 v119, v119, 23, 0x3c000000
	v_and_b32_e32 v7, 0x80000000, v7
	s_delay_alu instid0(VALU_DEP_1)
	v_or3_b32 v9, v9, v7, v119
.LBB401_795:                            ;   in Loop: Header=BB401_424 Depth=1
	s_or_b32 exec_lo, exec_lo, s15
.LBB401_796:                            ;   in Loop: Header=BB401_424 Depth=1
	s_delay_alu instid0(SALU_CYCLE_1)
	s_or_b32 exec_lo, exec_lo, s13
.LBB401_797:                            ;   in Loop: Header=BB401_424 Depth=1
	s_delay_alu instid0(SALU_CYCLE_1) | instskip(NEXT) | instid1(VALU_DEP_1)
	s_or_b32 exec_lo, exec_lo, s12
	v_mul_f32_e32 v9, v8, v9
	s_delay_alu instid0(VALU_DEP_1) | instskip(NEXT) | instid1(VALU_DEP_1)
	v_and_b32_e32 v7, 0x7f800000, v9
	v_cmp_ne_u32_e64 s0, 0x7f800000, v7
                                        ; implicit-def: $vgpr7
	s_delay_alu instid0(VALU_DEP_1) | instskip(NEXT) | instid1(SALU_CYCLE_1)
	s_and_saveexec_b32 s12, s0
	s_xor_b32 s0, exec_lo, s12
; %bb.798:                              ;   in Loop: Header=BB401_424 Depth=1
	v_bfe_u32 v7, v9, 16, 1
	s_delay_alu instid0(VALU_DEP_1)
	v_add3_u32 v7, v9, v7, 0x7fff
                                        ; implicit-def: $vgpr9
; %bb.799:                              ;   in Loop: Header=BB401_424 Depth=1
	s_and_not1_saveexec_b32 s12, s0
; %bb.800:                              ;   in Loop: Header=BB401_424 Depth=1
	v_and_b32_e32 v7, 0xffff, v9
	v_or_b32_e32 v119, 0x10000, v9
	s_delay_alu instid0(VALU_DEP_2) | instskip(NEXT) | instid1(VALU_DEP_1)
	v_cmp_eq_u32_e64 s0, 0, v7
	v_cndmask_b32_e64 v7, v119, v9, s0
; %bb.801:                              ;   in Loop: Header=BB401_424 Depth=1
	s_or_b32 exec_lo, exec_lo, s12
	v_mov_b32_e32 v9, 0
	s_mov_b32 s12, exec_lo
	v_cmpx_lt_u64_e64 s[8:9], v[2:3]
	s_cbranch_execz .LBB401_809
; %bb.802:                              ;   in Loop: Header=BB401_424 Depth=1
	v_lshrrev_b32_e32 v2, 24, v3
	v_bfrev_b32_e32 v9, 1
	s_mov_b32 s13, exec_lo
	s_delay_alu instid0(VALU_DEP_2)
	v_cmpx_ne_u32_e32 0x80, v2
	s_cbranch_execz .LBB401_808
; %bb.803:                              ;   in Loop: Header=BB401_424 Depth=1
	v_bfe_u32 v119, v3, 24, 7
	v_mov_b32_e32 v9, 0x7f800001
	s_mov_b32 s15, exec_lo
	s_delay_alu instid0(VALU_DEP_2)
	v_cmpx_ne_u32_e32 0x7f, v119
	s_cbranch_execz .LBB401_807
; %bb.804:                              ;   in Loop: Header=BB401_424 Depth=1
	v_and_b32_e32 v9, 7, v2
	v_lshrrev_b32_e32 v3, 3, v119
	s_mov_b32 s17, exec_lo
	v_cmpx_gt_u32_e32 8, v119
; %bb.805:                              ;   in Loop: Header=BB401_424 Depth=1
	s_delay_alu instid0(VALU_DEP_3) | instskip(NEXT) | instid1(VALU_DEP_1)
	v_clz_i32_u32_e32 v3, v9
	v_min_u32_e32 v3, 32, v3
	s_delay_alu instid0(VALU_DEP_1) | instskip(SKIP_1) | instid1(VALU_DEP_2)
	v_subrev_nc_u32_e32 v119, 28, v3
	v_sub_nc_u32_e32 v3, 29, v3
	v_lshlrev_b64 v[128:129], v119, v[9:10]
	s_delay_alu instid0(VALU_DEP_1)
	v_and_b32_e32 v9, 7, v128
; %bb.806:                              ;   in Loop: Header=BB401_424 Depth=1
	s_or_b32 exec_lo, exec_lo, s17
	v_lshlrev_b32_e32 v2, 24, v2
	s_delay_alu instid0(VALU_DEP_2) | instskip(SKIP_1) | instid1(VALU_DEP_3)
	v_lshlrev_b32_e32 v9, 20, v9
	v_lshl_add_u32 v3, v3, 23, 0x3c000000
	v_and_b32_e32 v2, 0x80000000, v2
	s_delay_alu instid0(VALU_DEP_1)
	v_or3_b32 v9, v9, v2, v3
.LBB401_807:                            ;   in Loop: Header=BB401_424 Depth=1
	s_or_b32 exec_lo, exec_lo, s15
.LBB401_808:                            ;   in Loop: Header=BB401_424 Depth=1
	s_delay_alu instid0(SALU_CYCLE_1)
	s_or_b32 exec_lo, exec_lo, s13
.LBB401_809:                            ;   in Loop: Header=BB401_424 Depth=1
	s_delay_alu instid0(SALU_CYCLE_1) | instskip(NEXT) | instid1(VALU_DEP_1)
	s_or_b32 exec_lo, exec_lo, s12
	v_mul_f32_e32 v3, v8, v9
	s_delay_alu instid0(VALU_DEP_1) | instskip(NEXT) | instid1(VALU_DEP_1)
	v_and_b32_e32 v2, 0x7f800000, v3
	v_cmp_ne_u32_e64 s0, 0x7f800000, v2
                                        ; implicit-def: $vgpr2
	s_delay_alu instid0(VALU_DEP_1) | instskip(NEXT) | instid1(SALU_CYCLE_1)
	s_and_saveexec_b32 s12, s0
	s_xor_b32 s0, exec_lo, s12
; %bb.810:                              ;   in Loop: Header=BB401_424 Depth=1
	v_bfe_u32 v2, v3, 16, 1
	s_delay_alu instid0(VALU_DEP_1)
	v_add3_u32 v2, v3, v2, 0x7fff
                                        ; implicit-def: $vgpr3
; %bb.811:                              ;   in Loop: Header=BB401_424 Depth=1
	s_and_not1_saveexec_b32 s12, s0
; %bb.812:                              ;   in Loop: Header=BB401_424 Depth=1
	v_and_b32_e32 v2, 0xffff, v3
	v_or_b32_e32 v9, 0x10000, v3
	s_delay_alu instid0(VALU_DEP_2) | instskip(NEXT) | instid1(VALU_DEP_1)
	v_cmp_eq_u32_e64 s0, 0, v2
	v_cndmask_b32_e64 v2, v9, v3, s0
; %bb.813:                              ;   in Loop: Header=BB401_424 Depth=1
	s_or_b32 exec_lo, exec_lo, s12
	v_lshrrev_b32_e32 v9, 16, v6
	v_lshrrev_b32_e32 v118, 16, v118
	;; [unrolled: 1-line block ×8, first 2 shown]
	s_and_saveexec_b32 s12, vcc_lo
	s_cbranch_execz .LBB401_815
; %bb.814:                              ;   in Loop: Header=BB401_424 Depth=1
	v_cmp_lt_i32_e64 s0, v50, v67
	s_delay_alu instid0(VALU_DEP_1) | instskip(SKIP_1) | instid1(VALU_DEP_1)
	v_cndmask_b32_e64 v6, 0, v6, s0
	v_cmp_lt_i32_e64 s0, v65, v67
	v_cndmask_b32_e64 v115, 0, v115, s0
	v_cmp_lt_i32_e64 s0, v64, v67
	s_delay_alu instid0(VALU_DEP_1) | instskip(SKIP_1) | instid1(VALU_DEP_1)
	v_cndmask_b32_e64 v116, 0, v116, s0
	v_cmp_lt_i32_e64 s0, v55, v67
	v_cndmask_b32_e64 v117, 0, v117, s0
	;; [unrolled: 5-line block ×4, first 2 shown]
.LBB401_815:                            ;   in Loop: Header=BB401_424 Depth=1
	s_or_b32 exec_lo, exec_lo, s12
	v_lshlrev_b32_e32 v6, 16, v6
	s_delay_alu instid0(VALU_DEP_1) | instskip(NEXT) | instid1(VALU_DEP_1)
	v_mul_f32_e32 v7, v82, v6
	v_and_b32_e32 v6, 0x7f800000, v7
	s_delay_alu instid0(VALU_DEP_1) | instskip(NEXT) | instid1(VALU_DEP_1)
	v_cmp_ne_u32_e64 s0, 0x7f800000, v6
                                        ; implicit-def: $vgpr6
	s_and_saveexec_b32 s12, s0
	s_delay_alu instid0(SALU_CYCLE_1)
	s_xor_b32 s0, exec_lo, s12
; %bb.816:                              ;   in Loop: Header=BB401_424 Depth=1
	v_bfe_u32 v6, v7, 16, 1
	s_delay_alu instid0(VALU_DEP_1)
	v_add3_u32 v6, v7, v6, 0x7fff
                                        ; implicit-def: $vgpr7
; %bb.817:                              ;   in Loop: Header=BB401_424 Depth=1
	s_and_not1_saveexec_b32 s12, s0
; %bb.818:                              ;   in Loop: Header=BB401_424 Depth=1
	v_and_b32_e32 v6, 0xffff, v7
	v_or_b32_e32 v114, 0x10000, v7
	s_delay_alu instid0(VALU_DEP_2) | instskip(NEXT) | instid1(VALU_DEP_1)
	v_cmp_eq_u32_e64 s0, 0, v6
	v_cndmask_b32_e64 v6, v114, v7, s0
; %bb.819:                              ;   in Loop: Header=BB401_424 Depth=1
	s_or_b32 exec_lo, exec_lo, s12
	v_lshlrev_b32_e32 v7, 16, v115
	s_delay_alu instid0(VALU_DEP_1) | instskip(NEXT) | instid1(VALU_DEP_1)
	v_mul_f32_e32 v114, v83, v7
	v_and_b32_e32 v7, 0x7f800000, v114
	s_delay_alu instid0(VALU_DEP_1) | instskip(NEXT) | instid1(VALU_DEP_1)
	v_cmp_ne_u32_e64 s0, 0x7f800000, v7
                                        ; implicit-def: $vgpr7
	s_and_saveexec_b32 s12, s0
	s_delay_alu instid0(SALU_CYCLE_1)
	s_xor_b32 s0, exec_lo, s12
; %bb.820:                              ;   in Loop: Header=BB401_424 Depth=1
	v_bfe_u32 v7, v114, 16, 1
	s_delay_alu instid0(VALU_DEP_1)
	v_add3_u32 v7, v114, v7, 0x7fff
                                        ; implicit-def: $vgpr114
; %bb.821:                              ;   in Loop: Header=BB401_424 Depth=1
	s_and_not1_saveexec_b32 s12, s0
; %bb.822:                              ;   in Loop: Header=BB401_424 Depth=1
	v_and_b32_e32 v7, 0xffff, v114
	v_or_b32_e32 v115, 0x10000, v114
	s_delay_alu instid0(VALU_DEP_2) | instskip(NEXT) | instid1(VALU_DEP_1)
	v_cmp_eq_u32_e64 s0, 0, v7
	v_cndmask_b32_e64 v7, v115, v114, s0
; %bb.823:                              ;   in Loop: Header=BB401_424 Depth=1
	s_or_b32 exec_lo, exec_lo, s12
	v_lshlrev_b32_e32 v114, 16, v116
	s_delay_alu instid0(VALU_DEP_1) | instskip(NEXT) | instid1(VALU_DEP_1)
	v_mul_f32_e32 v115, v84, v114
	v_and_b32_e32 v114, 0x7f800000, v115
	s_delay_alu instid0(VALU_DEP_1) | instskip(NEXT) | instid1(VALU_DEP_1)
	v_cmp_ne_u32_e64 s0, 0x7f800000, v114
                                        ; implicit-def: $vgpr114
	s_and_saveexec_b32 s12, s0
	s_delay_alu instid0(SALU_CYCLE_1)
	s_xor_b32 s0, exec_lo, s12
; %bb.824:                              ;   in Loop: Header=BB401_424 Depth=1
	v_bfe_u32 v114, v115, 16, 1
	s_delay_alu instid0(VALU_DEP_1)
	v_add3_u32 v114, v115, v114, 0x7fff
                                        ; implicit-def: $vgpr115
; %bb.825:                              ;   in Loop: Header=BB401_424 Depth=1
	s_and_not1_saveexec_b32 s12, s0
; %bb.826:                              ;   in Loop: Header=BB401_424 Depth=1
	v_and_b32_e32 v114, 0xffff, v115
	v_or_b32_e32 v116, 0x10000, v115
	s_delay_alu instid0(VALU_DEP_2) | instskip(NEXT) | instid1(VALU_DEP_1)
	v_cmp_eq_u32_e64 s0, 0, v114
	v_cndmask_b32_e64 v114, v116, v115, s0
; %bb.827:                              ;   in Loop: Header=BB401_424 Depth=1
	s_or_b32 exec_lo, exec_lo, s12
	v_lshlrev_b32_e32 v115, 16, v117
	s_delay_alu instid0(VALU_DEP_1) | instskip(NEXT) | instid1(VALU_DEP_1)
	v_mul_f32_e32 v116, v85, v115
	v_and_b32_e32 v115, 0x7f800000, v116
	s_delay_alu instid0(VALU_DEP_1) | instskip(NEXT) | instid1(VALU_DEP_1)
	v_cmp_ne_u32_e64 s0, 0x7f800000, v115
                                        ; implicit-def: $vgpr115
	s_and_saveexec_b32 s12, s0
	s_delay_alu instid0(SALU_CYCLE_1)
	s_xor_b32 s0, exec_lo, s12
; %bb.828:                              ;   in Loop: Header=BB401_424 Depth=1
	v_bfe_u32 v115, v116, 16, 1
	s_delay_alu instid0(VALU_DEP_1)
	v_add3_u32 v115, v116, v115, 0x7fff
                                        ; implicit-def: $vgpr116
; %bb.829:                              ;   in Loop: Header=BB401_424 Depth=1
	s_and_not1_saveexec_b32 s12, s0
; %bb.830:                              ;   in Loop: Header=BB401_424 Depth=1
	v_and_b32_e32 v115, 0xffff, v116
	v_or_b32_e32 v117, 0x10000, v116
	s_delay_alu instid0(VALU_DEP_2) | instskip(NEXT) | instid1(VALU_DEP_1)
	v_cmp_eq_u32_e64 s0, 0, v115
	v_cndmask_b32_e64 v115, v117, v116, s0
; %bb.831:                              ;   in Loop: Header=BB401_424 Depth=1
	s_or_b32 exec_lo, exec_lo, s12
	v_lshlrev_b32_e32 v116, 16, v118
	s_delay_alu instid0(VALU_DEP_1) | instskip(NEXT) | instid1(VALU_DEP_1)
	v_mul_f32_e32 v117, v86, v116
	v_and_b32_e32 v116, 0x7f800000, v117
	s_delay_alu instid0(VALU_DEP_1) | instskip(NEXT) | instid1(VALU_DEP_1)
	v_cmp_ne_u32_e64 s0, 0x7f800000, v116
                                        ; implicit-def: $vgpr116
	s_and_saveexec_b32 s12, s0
	s_delay_alu instid0(SALU_CYCLE_1)
	s_xor_b32 s0, exec_lo, s12
; %bb.832:                              ;   in Loop: Header=BB401_424 Depth=1
	v_bfe_u32 v116, v117, 16, 1
	s_delay_alu instid0(VALU_DEP_1)
	v_add3_u32 v116, v117, v116, 0x7fff
                                        ; implicit-def: $vgpr117
; %bb.833:                              ;   in Loop: Header=BB401_424 Depth=1
	s_and_not1_saveexec_b32 s12, s0
; %bb.834:                              ;   in Loop: Header=BB401_424 Depth=1
	v_and_b32_e32 v116, 0xffff, v117
	v_or_b32_e32 v118, 0x10000, v117
	s_delay_alu instid0(VALU_DEP_2) | instskip(NEXT) | instid1(VALU_DEP_1)
	v_cmp_eq_u32_e64 s0, 0, v116
	v_cndmask_b32_e64 v116, v118, v117, s0
; %bb.835:                              ;   in Loop: Header=BB401_424 Depth=1
	s_or_b32 exec_lo, exec_lo, s12
	v_lshlrev_b32_e32 v9, 16, v9
	s_delay_alu instid0(VALU_DEP_1) | instskip(NEXT) | instid1(VALU_DEP_1)
	v_mul_f32_e32 v9, v87, v9
	v_and_b32_e32 v117, 0x7f800000, v9
	s_delay_alu instid0(VALU_DEP_1) | instskip(NEXT) | instid1(VALU_DEP_1)
	v_cmp_ne_u32_e64 s0, 0x7f800000, v117
                                        ; implicit-def: $vgpr117
	s_and_saveexec_b32 s12, s0
	s_delay_alu instid0(SALU_CYCLE_1)
	s_xor_b32 s0, exec_lo, s12
; %bb.836:                              ;   in Loop: Header=BB401_424 Depth=1
	v_bfe_u32 v117, v9, 16, 1
	s_delay_alu instid0(VALU_DEP_1)
	v_add3_u32 v117, v9, v117, 0x7fff
                                        ; implicit-def: $vgpr9
; %bb.837:                              ;   in Loop: Header=BB401_424 Depth=1
	s_and_not1_saveexec_b32 s12, s0
; %bb.838:                              ;   in Loop: Header=BB401_424 Depth=1
	v_and_b32_e32 v117, 0xffff, v9
	v_or_b32_e32 v118, 0x10000, v9
	s_delay_alu instid0(VALU_DEP_2) | instskip(NEXT) | instid1(VALU_DEP_1)
	v_cmp_eq_u32_e64 s0, 0, v117
	v_cndmask_b32_e64 v117, v118, v9, s0
; %bb.839:                              ;   in Loop: Header=BB401_424 Depth=1
	s_or_b32 exec_lo, exec_lo, s12
	v_lshlrev_b32_e32 v3, 16, v3
                                        ; implicit-def: $vgpr118
	s_delay_alu instid0(VALU_DEP_1) | instskip(NEXT) | instid1(VALU_DEP_1)
	v_mul_f32_e32 v3, v96, v3
	v_and_b32_e32 v9, 0x7f800000, v3
	s_delay_alu instid0(VALU_DEP_1) | instskip(NEXT) | instid1(VALU_DEP_1)
	v_cmp_ne_u32_e64 s0, 0x7f800000, v9
	s_and_saveexec_b32 s12, s0
	s_delay_alu instid0(SALU_CYCLE_1)
	s_xor_b32 s0, exec_lo, s12
; %bb.840:                              ;   in Loop: Header=BB401_424 Depth=1
	v_bfe_u32 v9, v3, 16, 1
	s_delay_alu instid0(VALU_DEP_1)
	v_add3_u32 v118, v3, v9, 0x7fff
                                        ; implicit-def: $vgpr3
; %bb.841:                              ;   in Loop: Header=BB401_424 Depth=1
	s_and_not1_saveexec_b32 s12, s0
; %bb.842:                              ;   in Loop: Header=BB401_424 Depth=1
	v_and_b32_e32 v9, 0xffff, v3
	v_or_b32_e32 v118, 0x10000, v3
	s_delay_alu instid0(VALU_DEP_2) | instskip(NEXT) | instid1(VALU_DEP_1)
	v_cmp_eq_u32_e64 s0, 0, v9
	v_cndmask_b32_e64 v118, v118, v3, s0
; %bb.843:                              ;   in Loop: Header=BB401_424 Depth=1
	s_or_b32 exec_lo, exec_lo, s12
	v_lshlrev_b32_e32 v2, 16, v2
                                        ; implicit-def: $vgpr119
	s_delay_alu instid0(VALU_DEP_1) | instskip(NEXT) | instid1(VALU_DEP_1)
	v_mul_f32_e32 v2, v97, v2
	v_and_b32_e32 v3, 0x7f800000, v2
	s_delay_alu instid0(VALU_DEP_1) | instskip(NEXT) | instid1(VALU_DEP_1)
	v_cmp_ne_u32_e64 s0, 0x7f800000, v3
	s_and_saveexec_b32 s12, s0
	s_delay_alu instid0(SALU_CYCLE_1)
	s_xor_b32 s0, exec_lo, s12
; %bb.844:                              ;   in Loop: Header=BB401_424 Depth=1
	v_bfe_u32 v3, v2, 16, 1
	s_delay_alu instid0(VALU_DEP_1)
	v_add3_u32 v119, v2, v3, 0x7fff
                                        ; implicit-def: $vgpr2
; %bb.845:                              ;   in Loop: Header=BB401_424 Depth=1
	s_and_not1_saveexec_b32 s12, s0
; %bb.846:                              ;   in Loop: Header=BB401_424 Depth=1
	v_and_b32_e32 v3, 0xffff, v2
	v_or_b32_e32 v9, 0x10000, v2
	s_delay_alu instid0(VALU_DEP_2) | instskip(NEXT) | instid1(VALU_DEP_1)
	v_cmp_eq_u32_e64 s0, 0, v3
	v_cndmask_b32_e64 v119, v9, v2, s0
; %bb.847:                              ;   in Loop: Header=BB401_424 Depth=1
	s_or_b32 exec_lo, exec_lo, s12
	flat_load_b64 v[0:1], v[0:1] offset:768
	s_mov_b32 s12, exec_lo
	s_waitcnt vmcnt(0) lgkmcnt(0)
	v_dual_mov_b32 v2, 0 :: v_dual_and_b32 v3, 0xff, v0
	s_delay_alu instid0(VALU_DEP_1)
	v_cmpx_ne_u16_e32 0, v3
	s_cbranch_execz .LBB401_855
; %bb.848:                              ;   in Loop: Header=BB401_424 Depth=1
	v_bfrev_b32_e32 v2, 1
	s_mov_b32 s13, exec_lo
	v_cmpx_ne_u16_e32 0x80, v3
	s_cbranch_execz .LBB401_854
; %bb.849:                              ;   in Loop: Header=BB401_424 Depth=1
	v_and_b32_e32 v3, 0x7f, v0
	v_mov_b32_e32 v2, 0x7f800001
	s_mov_b32 s15, exec_lo
	s_delay_alu instid0(VALU_DEP_2)
	v_cmpx_ne_u32_e32 0x7f, v3
	s_cbranch_execz .LBB401_853
; %bb.850:                              ;   in Loop: Header=BB401_424 Depth=1
	v_lshrrev_b32_e32 v9, 3, v3
	v_cmp_gt_u32_e64 s0, 8, v3
	v_dual_mov_b32 v3, v1 :: v_dual_mov_b32 v2, v0
	s_delay_alu instid0(VALU_DEP_2)
	s_and_saveexec_b32 s17, s0
; %bb.851:                              ;   in Loop: Header=BB401_424 Depth=1
	v_and_b32_e32 v2, 7, v0
	s_delay_alu instid0(VALU_DEP_1) | instskip(NEXT) | instid1(VALU_DEP_1)
	v_clz_i32_u32_e32 v2, v2
	v_min_u32_e32 v9, 32, v2
	s_delay_alu instid0(VALU_DEP_1) | instskip(SKIP_1) | instid1(VALU_DEP_2)
	v_subrev_nc_u32_e32 v2, 28, v9
	v_sub_nc_u32_e32 v9, 29, v9
	v_lshlrev_b64 v[2:3], v2, v[0:1]
; %bb.852:                              ;   in Loop: Header=BB401_424 Depth=1
	s_or_b32 exec_lo, exec_lo, s17
	s_delay_alu instid0(VALU_DEP_1) | instskip(SKIP_2) | instid1(VALU_DEP_3)
	v_lshlrev_b32_e32 v2, 20, v2
	v_lshlrev_b32_e32 v3, 24, v0
	v_lshl_add_u32 v9, v9, 23, 0x3c000000
	v_and_b32_e32 v2, 0x700000, v2
	s_delay_alu instid0(VALU_DEP_3) | instskip(NEXT) | instid1(VALU_DEP_1)
	v_and_b32_e32 v3, 0x80000000, v3
	v_or3_b32 v2, v2, v3, v9
.LBB401_853:                            ;   in Loop: Header=BB401_424 Depth=1
	s_or_b32 exec_lo, exec_lo, s15
.LBB401_854:                            ;   in Loop: Header=BB401_424 Depth=1
	s_delay_alu instid0(SALU_CYCLE_1)
	s_or_b32 exec_lo, exec_lo, s13
.LBB401_855:                            ;   in Loop: Header=BB401_424 Depth=1
	s_delay_alu instid0(SALU_CYCLE_1) | instskip(NEXT) | instid1(VALU_DEP_1)
	s_or_b32 exec_lo, exec_lo, s12
	v_mul_f32_e32 v2, v8, v2
                                        ; implicit-def: $vgpr128
	s_delay_alu instid0(VALU_DEP_1) | instskip(NEXT) | instid1(VALU_DEP_1)
	v_and_b32_e32 v3, 0x7f800000, v2
	v_cmp_ne_u32_e64 s0, 0x7f800000, v3
	s_delay_alu instid0(VALU_DEP_1) | instskip(NEXT) | instid1(SALU_CYCLE_1)
	s_and_saveexec_b32 s12, s0
	s_xor_b32 s0, exec_lo, s12
; %bb.856:                              ;   in Loop: Header=BB401_424 Depth=1
	v_bfe_u32 v3, v2, 16, 1
	s_delay_alu instid0(VALU_DEP_1)
	v_add3_u32 v128, v2, v3, 0x7fff
                                        ; implicit-def: $vgpr2
; %bb.857:                              ;   in Loop: Header=BB401_424 Depth=1
	s_and_not1_saveexec_b32 s12, s0
; %bb.858:                              ;   in Loop: Header=BB401_424 Depth=1
	v_and_b32_e32 v3, 0xffff, v2
	v_or_b32_e32 v9, 0x10000, v2
	s_delay_alu instid0(VALU_DEP_2) | instskip(NEXT) | instid1(VALU_DEP_1)
	v_cmp_eq_u32_e64 s0, 0, v3
	v_cndmask_b32_e64 v128, v9, v2, s0
; %bb.859:                              ;   in Loop: Header=BB401_424 Depth=1
	s_or_b32 exec_lo, exec_lo, s12
	v_lshrrev_b16 v3, 8, v0
	v_mov_b32_e32 v2, 0
	s_mov_b32 s12, exec_lo
	s_delay_alu instid0(VALU_DEP_2)
	v_cmpx_ne_u16_e32 0, v3
	s_cbranch_execz .LBB401_867
; %bb.860:                              ;   in Loop: Header=BB401_424 Depth=1
	v_bfrev_b32_e32 v2, 1
	s_mov_b32 s13, exec_lo
	v_cmpx_ne_u16_e32 0x80, v3
	s_cbranch_execz .LBB401_866
; %bb.861:                              ;   in Loop: Header=BB401_424 Depth=1
	v_and_b32_e32 v9, 0xffff, v3
	v_mov_b32_e32 v2, 0x7f800001
	s_mov_b32 s15, exec_lo
	s_delay_alu instid0(VALU_DEP_2) | instskip(NEXT) | instid1(VALU_DEP_1)
	v_and_b32_e32 v3, 0x7f, v9
	v_cmpx_ne_u32_e32 0x7f, v3
	s_cbranch_execz .LBB401_865
; %bb.862:                              ;   in Loop: Header=BB401_424 Depth=1
	v_and_b32_e32 v9, 7, v9
	v_lshrrev_b32_e32 v2, 3, v3
	s_mov_b32 s17, exec_lo
	v_cmpx_gt_u32_e32 8, v3
; %bb.863:                              ;   in Loop: Header=BB401_424 Depth=1
	s_delay_alu instid0(VALU_DEP_3) | instskip(NEXT) | instid1(VALU_DEP_1)
	v_clz_i32_u32_e32 v2, v9
	v_min_u32_e32 v2, 32, v2
	s_delay_alu instid0(VALU_DEP_1) | instskip(SKIP_1) | instid1(VALU_DEP_2)
	v_subrev_nc_u32_e32 v3, 28, v2
	v_sub_nc_u32_e32 v2, 29, v2
	v_lshlrev_b64 v[129:130], v3, v[9:10]
	s_delay_alu instid0(VALU_DEP_1)
	v_and_b32_e32 v9, 7, v129
; %bb.864:                              ;   in Loop: Header=BB401_424 Depth=1
	s_or_b32 exec_lo, exec_lo, s17
	v_lshlrev_b32_e32 v3, 16, v0
	s_delay_alu instid0(VALU_DEP_2) | instskip(SKIP_1) | instid1(VALU_DEP_3)
	v_lshlrev_b32_e32 v9, 20, v9
	v_lshl_add_u32 v2, v2, 23, 0x3c000000
	v_and_b32_e32 v3, 0x80000000, v3
	s_delay_alu instid0(VALU_DEP_1)
	v_or3_b32 v2, v9, v3, v2
.LBB401_865:                            ;   in Loop: Header=BB401_424 Depth=1
	s_or_b32 exec_lo, exec_lo, s15
.LBB401_866:                            ;   in Loop: Header=BB401_424 Depth=1
	s_delay_alu instid0(SALU_CYCLE_1)
	s_or_b32 exec_lo, exec_lo, s13
.LBB401_867:                            ;   in Loop: Header=BB401_424 Depth=1
	s_delay_alu instid0(SALU_CYCLE_1) | instskip(NEXT) | instid1(VALU_DEP_1)
	s_or_b32 exec_lo, exec_lo, s12
	v_mul_f32_e32 v2, v8, v2
                                        ; implicit-def: $vgpr129
	s_delay_alu instid0(VALU_DEP_1) | instskip(NEXT) | instid1(VALU_DEP_1)
	v_and_b32_e32 v3, 0x7f800000, v2
	v_cmp_ne_u32_e64 s0, 0x7f800000, v3
	s_delay_alu instid0(VALU_DEP_1) | instskip(NEXT) | instid1(SALU_CYCLE_1)
	s_and_saveexec_b32 s12, s0
	s_xor_b32 s0, exec_lo, s12
; %bb.868:                              ;   in Loop: Header=BB401_424 Depth=1
	v_bfe_u32 v3, v2, 16, 1
	s_delay_alu instid0(VALU_DEP_1)
	v_add3_u32 v129, v2, v3, 0x7fff
                                        ; implicit-def: $vgpr2
; %bb.869:                              ;   in Loop: Header=BB401_424 Depth=1
	s_and_not1_saveexec_b32 s12, s0
; %bb.870:                              ;   in Loop: Header=BB401_424 Depth=1
	v_and_b32_e32 v3, 0xffff, v2
	v_or_b32_e32 v9, 0x10000, v2
	s_delay_alu instid0(VALU_DEP_2) | instskip(NEXT) | instid1(VALU_DEP_1)
	v_cmp_eq_u32_e64 s0, 0, v3
	v_cndmask_b32_e64 v129, v9, v2, s0
; %bb.871:                              ;   in Loop: Header=BB401_424 Depth=1
	s_or_b32 exec_lo, exec_lo, s12
	v_lshrrev_b32_e32 v2, 16, v0
	v_mov_b32_e32 v3, 0
	s_mov_b32 s12, exec_lo
	s_delay_alu instid0(VALU_DEP_2) | instskip(NEXT) | instid1(VALU_DEP_1)
	v_and_b32_e32 v9, 0xff, v2
	v_cmpx_ne_u16_e32 0, v9
	s_cbranch_execz .LBB401_879
; %bb.872:                              ;   in Loop: Header=BB401_424 Depth=1
	v_bfrev_b32_e32 v3, 1
	s_mov_b32 s13, exec_lo
	v_cmpx_ne_u16_e32 0x80, v9
	s_cbranch_execz .LBB401_878
; %bb.873:                              ;   in Loop: Header=BB401_424 Depth=1
	v_bfe_u32 v130, v0, 16, 7
	v_mov_b32_e32 v3, 0x7f800001
	s_mov_b32 s15, exec_lo
	s_delay_alu instid0(VALU_DEP_2)
	v_cmpx_ne_u32_e32 0x7f, v130
	s_cbranch_execz .LBB401_877
; %bb.874:                              ;   in Loop: Header=BB401_424 Depth=1
	v_and_b32_e32 v9, 7, v2
	v_lshrrev_b32_e32 v3, 3, v130
	s_mov_b32 s17, exec_lo
	v_cmpx_gt_u32_e32 8, v130
; %bb.875:                              ;   in Loop: Header=BB401_424 Depth=1
	s_delay_alu instid0(VALU_DEP_3) | instskip(NEXT) | instid1(VALU_DEP_1)
	v_clz_i32_u32_e32 v3, v9
	v_min_u32_e32 v3, 32, v3
	s_delay_alu instid0(VALU_DEP_1) | instskip(SKIP_1) | instid1(VALU_DEP_2)
	v_subrev_nc_u32_e32 v130, 28, v3
	v_sub_nc_u32_e32 v3, 29, v3
	v_lshlrev_b64 v[130:131], v130, v[9:10]
	s_delay_alu instid0(VALU_DEP_1)
	v_and_b32_e32 v9, 7, v130
; %bb.876:                              ;   in Loop: Header=BB401_424 Depth=1
	s_or_b32 exec_lo, exec_lo, s17
	v_lshlrev_b32_e32 v2, 24, v2
	s_delay_alu instid0(VALU_DEP_2) | instskip(SKIP_1) | instid1(VALU_DEP_3)
	v_lshlrev_b32_e32 v9, 20, v9
	v_lshl_add_u32 v3, v3, 23, 0x3c000000
	v_and_b32_e32 v2, 0x80000000, v2
	s_delay_alu instid0(VALU_DEP_1)
	v_or3_b32 v3, v9, v2, v3
.LBB401_877:                            ;   in Loop: Header=BB401_424 Depth=1
	s_or_b32 exec_lo, exec_lo, s15
.LBB401_878:                            ;   in Loop: Header=BB401_424 Depth=1
	s_delay_alu instid0(SALU_CYCLE_1)
	s_or_b32 exec_lo, exec_lo, s13
.LBB401_879:                            ;   in Loop: Header=BB401_424 Depth=1
	s_delay_alu instid0(SALU_CYCLE_1) | instskip(NEXT) | instid1(VALU_DEP_1)
	s_or_b32 exec_lo, exec_lo, s12
	v_mul_f32_e32 v2, v8, v3
                                        ; implicit-def: $vgpr130
	s_delay_alu instid0(VALU_DEP_1) | instskip(NEXT) | instid1(VALU_DEP_1)
	v_and_b32_e32 v3, 0x7f800000, v2
	v_cmp_ne_u32_e64 s0, 0x7f800000, v3
	s_delay_alu instid0(VALU_DEP_1) | instskip(NEXT) | instid1(SALU_CYCLE_1)
	s_and_saveexec_b32 s12, s0
	s_xor_b32 s0, exec_lo, s12
; %bb.880:                              ;   in Loop: Header=BB401_424 Depth=1
	v_bfe_u32 v3, v2, 16, 1
	s_delay_alu instid0(VALU_DEP_1)
	v_add3_u32 v130, v2, v3, 0x7fff
                                        ; implicit-def: $vgpr2
; %bb.881:                              ;   in Loop: Header=BB401_424 Depth=1
	s_and_not1_saveexec_b32 s12, s0
; %bb.882:                              ;   in Loop: Header=BB401_424 Depth=1
	v_and_b32_e32 v3, 0xffff, v2
	v_or_b32_e32 v9, 0x10000, v2
	s_delay_alu instid0(VALU_DEP_2) | instskip(NEXT) | instid1(VALU_DEP_1)
	v_cmp_eq_u32_e64 s0, 0, v3
	v_cndmask_b32_e64 v130, v9, v2, s0
; %bb.883:                              ;   in Loop: Header=BB401_424 Depth=1
	s_or_b32 exec_lo, exec_lo, s12
	v_mov_b32_e32 v3, 0
	s_mov_b32 s12, exec_lo
	v_cmpx_lt_u32_e32 0xffffff, v0
	s_cbranch_execz .LBB401_891
; %bb.884:                              ;   in Loop: Header=BB401_424 Depth=1
	v_lshrrev_b32_e32 v2, 24, v0
	v_bfrev_b32_e32 v3, 1
	s_mov_b32 s13, exec_lo
	s_delay_alu instid0(VALU_DEP_2)
	v_cmpx_ne_u32_e32 0x80, v2
	s_cbranch_execz .LBB401_890
; %bb.885:                              ;   in Loop: Header=BB401_424 Depth=1
	v_bfe_u32 v131, v0, 24, 7
	v_mov_b32_e32 v3, 0x7f800001
	s_mov_b32 s15, exec_lo
	s_delay_alu instid0(VALU_DEP_2)
	v_cmpx_ne_u32_e32 0x7f, v131
	s_cbranch_execz .LBB401_889
; %bb.886:                              ;   in Loop: Header=BB401_424 Depth=1
	v_and_b32_e32 v9, 7, v2
	v_lshrrev_b32_e32 v3, 3, v131
	s_mov_b32 s17, exec_lo
	v_cmpx_gt_u32_e32 8, v131
; %bb.887:                              ;   in Loop: Header=BB401_424 Depth=1
	s_delay_alu instid0(VALU_DEP_3) | instskip(NEXT) | instid1(VALU_DEP_1)
	v_clz_i32_u32_e32 v3, v9
	v_min_u32_e32 v3, 32, v3
	s_delay_alu instid0(VALU_DEP_1) | instskip(SKIP_1) | instid1(VALU_DEP_2)
	v_subrev_nc_u32_e32 v131, 28, v3
	v_sub_nc_u32_e32 v3, 29, v3
	v_lshlrev_b64 v[131:132], v131, v[9:10]
	s_delay_alu instid0(VALU_DEP_1)
	v_and_b32_e32 v9, 7, v131
; %bb.888:                              ;   in Loop: Header=BB401_424 Depth=1
	s_or_b32 exec_lo, exec_lo, s17
	v_lshlrev_b32_e32 v2, 24, v2
	s_delay_alu instid0(VALU_DEP_2) | instskip(SKIP_1) | instid1(VALU_DEP_3)
	v_lshlrev_b32_e32 v9, 20, v9
	v_lshl_add_u32 v3, v3, 23, 0x3c000000
	v_and_b32_e32 v2, 0x80000000, v2
	s_delay_alu instid0(VALU_DEP_1)
	v_or3_b32 v3, v9, v2, v3
.LBB401_889:                            ;   in Loop: Header=BB401_424 Depth=1
	s_or_b32 exec_lo, exec_lo, s15
.LBB401_890:                            ;   in Loop: Header=BB401_424 Depth=1
	s_delay_alu instid0(SALU_CYCLE_1)
	s_or_b32 exec_lo, exec_lo, s13
.LBB401_891:                            ;   in Loop: Header=BB401_424 Depth=1
	s_delay_alu instid0(SALU_CYCLE_1) | instskip(NEXT) | instid1(VALU_DEP_1)
	s_or_b32 exec_lo, exec_lo, s12
	v_mul_f32_e32 v2, v8, v3
                                        ; implicit-def: $vgpr131
	s_delay_alu instid0(VALU_DEP_1) | instskip(NEXT) | instid1(VALU_DEP_1)
	v_and_b32_e32 v3, 0x7f800000, v2
	v_cmp_ne_u32_e64 s0, 0x7f800000, v3
	s_delay_alu instid0(VALU_DEP_1) | instskip(NEXT) | instid1(SALU_CYCLE_1)
	s_and_saveexec_b32 s12, s0
	s_xor_b32 s0, exec_lo, s12
; %bb.892:                              ;   in Loop: Header=BB401_424 Depth=1
	v_bfe_u32 v3, v2, 16, 1
	s_delay_alu instid0(VALU_DEP_1)
	v_add3_u32 v131, v2, v3, 0x7fff
                                        ; implicit-def: $vgpr2
; %bb.893:                              ;   in Loop: Header=BB401_424 Depth=1
	s_and_not1_saveexec_b32 s12, s0
; %bb.894:                              ;   in Loop: Header=BB401_424 Depth=1
	v_and_b32_e32 v3, 0xffff, v2
	v_or_b32_e32 v9, 0x10000, v2
	s_delay_alu instid0(VALU_DEP_2) | instskip(NEXT) | instid1(VALU_DEP_1)
	v_cmp_eq_u32_e64 s0, 0, v3
	v_cndmask_b32_e64 v131, v9, v2, s0
; %bb.895:                              ;   in Loop: Header=BB401_424 Depth=1
	s_or_b32 exec_lo, exec_lo, s12
	v_dual_mov_b32 v2, 0 :: v_dual_and_b32 v3, 0xff, v1
	v_mov_b32_e32 v9, v1
	s_mov_b32 s12, exec_lo
	s_delay_alu instid0(VALU_DEP_2)
	v_cmpx_ne_u16_e32 0, v3
	s_cbranch_execz .LBB401_903
; %bb.896:                              ;   in Loop: Header=BB401_424 Depth=1
	v_bfrev_b32_e32 v2, 1
	s_mov_b32 s13, exec_lo
	v_cmpx_ne_u16_e32 0x80, v3
	s_cbranch_execz .LBB401_902
; %bb.897:                              ;   in Loop: Header=BB401_424 Depth=1
	v_and_b32_e32 v3, 0x7f, v1
	v_mov_b32_e32 v2, 0x7f800001
	s_mov_b32 s15, exec_lo
	s_delay_alu instid0(VALU_DEP_2)
	v_cmpx_ne_u32_e32 0x7f, v3
	s_cbranch_execz .LBB401_901
; %bb.898:                              ;   in Loop: Header=BB401_424 Depth=1
	v_lshrrev_b32_e32 v132, 3, v3
	v_cmp_gt_u32_e64 s0, 8, v3
	v_dual_mov_b32 v2, v9 :: v_dual_mov_b32 v3, v10
	s_delay_alu instid0(VALU_DEP_2)
	s_and_saveexec_b32 s17, s0
; %bb.899:                              ;   in Loop: Header=BB401_424 Depth=1
	v_and_b32_e32 v2, 7, v1
	s_delay_alu instid0(VALU_DEP_1) | instskip(NEXT) | instid1(VALU_DEP_1)
	v_clz_i32_u32_e32 v2, v2
	v_min_u32_e32 v132, 32, v2
	s_delay_alu instid0(VALU_DEP_1) | instskip(SKIP_1) | instid1(VALU_DEP_2)
	v_subrev_nc_u32_e32 v2, 28, v132
	v_sub_nc_u32_e32 v132, 29, v132
	v_lshlrev_b64 v[2:3], v2, v[9:10]
; %bb.900:                              ;   in Loop: Header=BB401_424 Depth=1
	s_or_b32 exec_lo, exec_lo, s17
	s_delay_alu instid0(VALU_DEP_1) | instskip(SKIP_2) | instid1(VALU_DEP_3)
	v_lshlrev_b32_e32 v2, 20, v2
	v_lshlrev_b32_e32 v3, 24, v9
	v_lshl_add_u32 v132, v132, 23, 0x3c000000
	v_and_b32_e32 v2, 0x700000, v2
	s_delay_alu instid0(VALU_DEP_3) | instskip(NEXT) | instid1(VALU_DEP_1)
	v_and_b32_e32 v3, 0x80000000, v3
	v_or3_b32 v2, v2, v3, v132
.LBB401_901:                            ;   in Loop: Header=BB401_424 Depth=1
	s_or_b32 exec_lo, exec_lo, s15
.LBB401_902:                            ;   in Loop: Header=BB401_424 Depth=1
	s_delay_alu instid0(SALU_CYCLE_1)
	s_or_b32 exec_lo, exec_lo, s13
.LBB401_903:                            ;   in Loop: Header=BB401_424 Depth=1
	s_delay_alu instid0(SALU_CYCLE_1) | instskip(NEXT) | instid1(VALU_DEP_1)
	s_or_b32 exec_lo, exec_lo, s12
	v_mul_f32_e32 v2, v8, v2
                                        ; implicit-def: $vgpr132
	s_delay_alu instid0(VALU_DEP_1) | instskip(NEXT) | instid1(VALU_DEP_1)
	v_and_b32_e32 v3, 0x7f800000, v2
	v_cmp_ne_u32_e64 s0, 0x7f800000, v3
	s_delay_alu instid0(VALU_DEP_1) | instskip(NEXT) | instid1(SALU_CYCLE_1)
	s_and_saveexec_b32 s12, s0
	s_xor_b32 s0, exec_lo, s12
; %bb.904:                              ;   in Loop: Header=BB401_424 Depth=1
	v_bfe_u32 v3, v2, 16, 1
	s_delay_alu instid0(VALU_DEP_1)
	v_add3_u32 v132, v2, v3, 0x7fff
                                        ; implicit-def: $vgpr2
; %bb.905:                              ;   in Loop: Header=BB401_424 Depth=1
	s_and_not1_saveexec_b32 s12, s0
; %bb.906:                              ;   in Loop: Header=BB401_424 Depth=1
	v_and_b32_e32 v3, 0xffff, v2
	v_or_b32_e32 v132, 0x10000, v2
	s_delay_alu instid0(VALU_DEP_2) | instskip(NEXT) | instid1(VALU_DEP_1)
	v_cmp_eq_u32_e64 s0, 0, v3
	v_cndmask_b32_e64 v132, v132, v2, s0
; %bb.907:                              ;   in Loop: Header=BB401_424 Depth=1
	s_or_b32 exec_lo, exec_lo, s12
	v_lshrrev_b16 v3, 8, v9
	v_mov_b32_e32 v2, 0
	s_mov_b32 s12, exec_lo
	s_delay_alu instid0(VALU_DEP_2)
	v_cmpx_ne_u16_e32 0, v3
	s_cbranch_execz .LBB401_915
; %bb.908:                              ;   in Loop: Header=BB401_424 Depth=1
	v_bfrev_b32_e32 v2, 1
	s_mov_b32 s13, exec_lo
	v_cmpx_ne_u16_e32 0x80, v3
	s_cbranch_execz .LBB401_914
; %bb.909:                              ;   in Loop: Header=BB401_424 Depth=1
	v_and_b32_e32 v3, 0xffff, v3
	v_mov_b32_e32 v2, 0x7f800001
	s_mov_b32 s15, exec_lo
	s_delay_alu instid0(VALU_DEP_2) | instskip(NEXT) | instid1(VALU_DEP_1)
	v_and_b32_e32 v134, 0x7f, v3
	v_cmpx_ne_u32_e32 0x7f, v134
	s_cbranch_execz .LBB401_913
; %bb.910:                              ;   in Loop: Header=BB401_424 Depth=1
	v_dual_mov_b32 v3, v10 :: v_dual_and_b32 v2, 7, v3
	v_lshrrev_b32_e32 v133, 3, v134
	s_mov_b32 s17, exec_lo
	v_cmpx_gt_u32_e32 8, v134
; %bb.911:                              ;   in Loop: Header=BB401_424 Depth=1
	s_delay_alu instid0(VALU_DEP_3) | instskip(NEXT) | instid1(VALU_DEP_1)
	v_clz_i32_u32_e32 v133, v2
	v_min_u32_e32 v133, 32, v133
	s_delay_alu instid0(VALU_DEP_1) | instskip(SKIP_1) | instid1(VALU_DEP_2)
	v_subrev_nc_u32_e32 v134, 28, v133
	v_sub_nc_u32_e32 v133, 29, v133
	v_lshlrev_b64 v[2:3], v134, v[2:3]
	s_delay_alu instid0(VALU_DEP_1)
	v_and_b32_e32 v2, 7, v2
; %bb.912:                              ;   in Loop: Header=BB401_424 Depth=1
	s_or_b32 exec_lo, exec_lo, s17
	v_lshlrev_b32_e32 v3, 16, v9
	s_delay_alu instid0(VALU_DEP_2) | instskip(SKIP_1) | instid1(VALU_DEP_3)
	v_lshlrev_b32_e32 v2, 20, v2
	v_lshl_add_u32 v9, v133, 23, 0x3c000000
	v_and_b32_e32 v3, 0x80000000, v3
	s_delay_alu instid0(VALU_DEP_1)
	v_or3_b32 v2, v2, v3, v9
.LBB401_913:                            ;   in Loop: Header=BB401_424 Depth=1
	s_or_b32 exec_lo, exec_lo, s15
.LBB401_914:                            ;   in Loop: Header=BB401_424 Depth=1
	s_delay_alu instid0(SALU_CYCLE_1)
	s_or_b32 exec_lo, exec_lo, s13
.LBB401_915:                            ;   in Loop: Header=BB401_424 Depth=1
	s_delay_alu instid0(SALU_CYCLE_1) | instskip(NEXT) | instid1(VALU_DEP_1)
	s_or_b32 exec_lo, exec_lo, s12
	v_mul_f32_e32 v3, v8, v2
	s_delay_alu instid0(VALU_DEP_1) | instskip(NEXT) | instid1(VALU_DEP_1)
	v_and_b32_e32 v2, 0x7f800000, v3
	v_cmp_ne_u32_e64 s0, 0x7f800000, v2
                                        ; implicit-def: $vgpr2
	s_delay_alu instid0(VALU_DEP_1) | instskip(NEXT) | instid1(SALU_CYCLE_1)
	s_and_saveexec_b32 s12, s0
	s_xor_b32 s0, exec_lo, s12
; %bb.916:                              ;   in Loop: Header=BB401_424 Depth=1
	v_bfe_u32 v2, v3, 16, 1
	s_delay_alu instid0(VALU_DEP_1)
	v_add3_u32 v2, v3, v2, 0x7fff
                                        ; implicit-def: $vgpr3
; %bb.917:                              ;   in Loop: Header=BB401_424 Depth=1
	s_and_not1_saveexec_b32 s12, s0
; %bb.918:                              ;   in Loop: Header=BB401_424 Depth=1
	v_and_b32_e32 v2, 0xffff, v3
	v_or_b32_e32 v9, 0x10000, v3
	s_delay_alu instid0(VALU_DEP_2) | instskip(NEXT) | instid1(VALU_DEP_1)
	v_cmp_eq_u32_e64 s0, 0, v2
	v_cndmask_b32_e64 v2, v9, v3, s0
; %bb.919:                              ;   in Loop: Header=BB401_424 Depth=1
	s_or_b32 exec_lo, exec_lo, s12
	v_lshrrev_b32_e32 v3, 16, v1
	v_mov_b32_e32 v9, 0
	s_mov_b32 s12, exec_lo
	s_delay_alu instid0(VALU_DEP_2) | instskip(NEXT) | instid1(VALU_DEP_1)
	v_and_b32_e32 v133, 0xff, v3
	v_cmpx_ne_u16_e64 0, v133
	s_cbranch_execz .LBB401_927
; %bb.920:                              ;   in Loop: Header=BB401_424 Depth=1
	v_bfrev_b32_e32 v9, 1
	s_mov_b32 s13, exec_lo
	v_cmpx_ne_u16_e64 0x80, v133
	s_cbranch_execz .LBB401_926
; %bb.921:                              ;   in Loop: Header=BB401_424 Depth=1
	v_bfe_u32 v134, v1, 16, 7
	v_mov_b32_e32 v9, 0x7f800001
	s_mov_b32 s15, exec_lo
	s_delay_alu instid0(VALU_DEP_2)
	v_cmpx_ne_u32_e32 0x7f, v134
	s_cbranch_execz .LBB401_925
; %bb.922:                              ;   in Loop: Header=BB401_424 Depth=1
	v_and_b32_e32 v9, 7, v3
	v_lshrrev_b32_e32 v133, 3, v134
	s_mov_b32 s17, exec_lo
	v_cmpx_gt_u32_e32 8, v134
; %bb.923:                              ;   in Loop: Header=BB401_424 Depth=1
	s_delay_alu instid0(VALU_DEP_3) | instskip(NEXT) | instid1(VALU_DEP_1)
	v_clz_i32_u32_e32 v133, v9
	v_min_u32_e32 v133, 32, v133
	s_delay_alu instid0(VALU_DEP_1) | instskip(SKIP_1) | instid1(VALU_DEP_2)
	v_subrev_nc_u32_e32 v134, 28, v133
	v_sub_nc_u32_e32 v133, 29, v133
	v_lshlrev_b64 v[134:135], v134, v[9:10]
	s_delay_alu instid0(VALU_DEP_1)
	v_and_b32_e32 v9, 7, v134
; %bb.924:                              ;   in Loop: Header=BB401_424 Depth=1
	s_or_b32 exec_lo, exec_lo, s17
	v_lshlrev_b32_e32 v3, 24, v3
	s_delay_alu instid0(VALU_DEP_2) | instskip(SKIP_1) | instid1(VALU_DEP_3)
	v_lshlrev_b32_e32 v9, 20, v9
	v_lshl_add_u32 v133, v133, 23, 0x3c000000
	v_and_b32_e32 v3, 0x80000000, v3
	s_delay_alu instid0(VALU_DEP_1)
	v_or3_b32 v9, v9, v3, v133
.LBB401_925:                            ;   in Loop: Header=BB401_424 Depth=1
	s_or_b32 exec_lo, exec_lo, s15
.LBB401_926:                            ;   in Loop: Header=BB401_424 Depth=1
	s_delay_alu instid0(SALU_CYCLE_1)
	s_or_b32 exec_lo, exec_lo, s13
.LBB401_927:                            ;   in Loop: Header=BB401_424 Depth=1
	s_delay_alu instid0(SALU_CYCLE_1) | instskip(NEXT) | instid1(VALU_DEP_1)
	s_or_b32 exec_lo, exec_lo, s12
	v_mul_f32_e32 v9, v8, v9
	s_delay_alu instid0(VALU_DEP_1) | instskip(NEXT) | instid1(VALU_DEP_1)
	v_and_b32_e32 v3, 0x7f800000, v9
	v_cmp_ne_u32_e64 s0, 0x7f800000, v3
                                        ; implicit-def: $vgpr3
	s_delay_alu instid0(VALU_DEP_1) | instskip(NEXT) | instid1(SALU_CYCLE_1)
	s_and_saveexec_b32 s12, s0
	s_xor_b32 s0, exec_lo, s12
; %bb.928:                              ;   in Loop: Header=BB401_424 Depth=1
	v_bfe_u32 v3, v9, 16, 1
	s_delay_alu instid0(VALU_DEP_1)
	v_add3_u32 v3, v9, v3, 0x7fff
                                        ; implicit-def: $vgpr9
; %bb.929:                              ;   in Loop: Header=BB401_424 Depth=1
	s_and_not1_saveexec_b32 s12, s0
; %bb.930:                              ;   in Loop: Header=BB401_424 Depth=1
	v_and_b32_e32 v3, 0xffff, v9
	v_or_b32_e32 v133, 0x10000, v9
	s_delay_alu instid0(VALU_DEP_2) | instskip(NEXT) | instid1(VALU_DEP_1)
	v_cmp_eq_u32_e64 s0, 0, v3
	v_cndmask_b32_e64 v3, v133, v9, s0
; %bb.931:                              ;   in Loop: Header=BB401_424 Depth=1
	s_or_b32 exec_lo, exec_lo, s12
	v_mov_b32_e32 v9, 0
	s_mov_b32 s12, exec_lo
	v_cmpx_lt_u64_e64 s[8:9], v[0:1]
	s_cbranch_execz .LBB401_939
; %bb.932:                              ;   in Loop: Header=BB401_424 Depth=1
	v_lshrrev_b32_e32 v0, 24, v1
	v_bfrev_b32_e32 v9, 1
	s_mov_b32 s13, exec_lo
	s_delay_alu instid0(VALU_DEP_2)
	v_cmpx_ne_u32_e32 0x80, v0
	s_cbranch_execz .LBB401_938
; %bb.933:                              ;   in Loop: Header=BB401_424 Depth=1
	v_bfe_u32 v133, v1, 24, 7
	v_mov_b32_e32 v9, 0x7f800001
	s_mov_b32 s15, exec_lo
	s_delay_alu instid0(VALU_DEP_2)
	v_cmpx_ne_u32_e32 0x7f, v133
	s_cbranch_execz .LBB401_937
; %bb.934:                              ;   in Loop: Header=BB401_424 Depth=1
	v_and_b32_e32 v9, 7, v0
	v_lshrrev_b32_e32 v1, 3, v133
	s_mov_b32 s17, exec_lo
	v_cmpx_gt_u32_e32 8, v133
; %bb.935:                              ;   in Loop: Header=BB401_424 Depth=1
	s_delay_alu instid0(VALU_DEP_3) | instskip(NEXT) | instid1(VALU_DEP_1)
	v_clz_i32_u32_e32 v1, v9
	v_min_u32_e32 v1, 32, v1
	s_delay_alu instid0(VALU_DEP_1) | instskip(SKIP_1) | instid1(VALU_DEP_2)
	v_subrev_nc_u32_e32 v133, 28, v1
	v_sub_nc_u32_e32 v1, 29, v1
	v_lshlrev_b64 v[133:134], v133, v[9:10]
	s_delay_alu instid0(VALU_DEP_1)
	v_and_b32_e32 v9, 7, v133
; %bb.936:                              ;   in Loop: Header=BB401_424 Depth=1
	s_or_b32 exec_lo, exec_lo, s17
	v_lshlrev_b32_e32 v0, 24, v0
	s_delay_alu instid0(VALU_DEP_2) | instskip(SKIP_1) | instid1(VALU_DEP_3)
	v_lshlrev_b32_e32 v9, 20, v9
	v_lshl_add_u32 v1, v1, 23, 0x3c000000
	v_and_b32_e32 v0, 0x80000000, v0
	s_delay_alu instid0(VALU_DEP_1)
	v_or3_b32 v9, v9, v0, v1
.LBB401_937:                            ;   in Loop: Header=BB401_424 Depth=1
	s_or_b32 exec_lo, exec_lo, s15
.LBB401_938:                            ;   in Loop: Header=BB401_424 Depth=1
	s_delay_alu instid0(SALU_CYCLE_1)
	s_or_b32 exec_lo, exec_lo, s13
.LBB401_939:                            ;   in Loop: Header=BB401_424 Depth=1
	s_delay_alu instid0(SALU_CYCLE_1) | instskip(NEXT) | instid1(VALU_DEP_1)
	s_or_b32 exec_lo, exec_lo, s12
	v_mul_f32_e32 v0, v8, v9
                                        ; implicit-def: $vgpr133
	s_delay_alu instid0(VALU_DEP_1) | instskip(NEXT) | instid1(VALU_DEP_1)
	v_and_b32_e32 v1, 0x7f800000, v0
	v_cmp_ne_u32_e64 s0, 0x7f800000, v1
	s_delay_alu instid0(VALU_DEP_1) | instskip(NEXT) | instid1(SALU_CYCLE_1)
	s_and_saveexec_b32 s12, s0
	s_xor_b32 s0, exec_lo, s12
; %bb.940:                              ;   in Loop: Header=BB401_424 Depth=1
	v_bfe_u32 v1, v0, 16, 1
	s_delay_alu instid0(VALU_DEP_1)
	v_add3_u32 v133, v0, v1, 0x7fff
                                        ; implicit-def: $vgpr0
; %bb.941:                              ;   in Loop: Header=BB401_424 Depth=1
	s_and_not1_saveexec_b32 s12, s0
; %bb.942:                              ;   in Loop: Header=BB401_424 Depth=1
	v_and_b32_e32 v1, 0xffff, v0
	v_or_b32_e32 v8, 0x10000, v0
	s_delay_alu instid0(VALU_DEP_2) | instskip(NEXT) | instid1(VALU_DEP_1)
	v_cmp_eq_u32_e64 s0, 0, v1
	v_cndmask_b32_e64 v133, v8, v0, s0
; %bb.943:                              ;   in Loop: Header=BB401_424 Depth=1
	s_or_b32 exec_lo, exec_lo, s12
	v_lshrrev_b32_e32 v9, 16, v2
	v_lshrrev_b32_e32 v132, 16, v132
	v_lshrrev_b32_e32 v131, 16, v131
	v_lshrrev_b32_e32 v130, 16, v130
	v_lshrrev_b32_e32 v1, 16, v129
	v_lshrrev_b32_e32 v0, 16, v128
	v_lshrrev_b32_e32 v8, 16, v3
	v_lshrrev_b32_e32 v2, 16, v133
	s_and_saveexec_b32 s0, vcc_lo
	s_cbranch_execz .LBB401_945
; %bb.944:                              ;   in Loop: Header=BB401_424 Depth=1
	v_cmp_lt_i32_e32 vcc_lo, v50, v67
	v_cndmask_b32_e32 v0, 0, v0, vcc_lo
	v_cmp_lt_i32_e32 vcc_lo, v65, v67
	v_cndmask_b32_e32 v1, 0, v1, vcc_lo
	;; [unrolled: 2-line block ×8, first 2 shown]
.LBB401_945:                            ;   in Loop: Header=BB401_424 Depth=1
	s_or_b32 exec_lo, exec_lo, s0
	v_lshlrev_b32_e32 v0, 16, v0
	s_delay_alu instid0(VALU_DEP_1) | instskip(NEXT) | instid1(VALU_DEP_1)
	v_mul_f32_e32 v3, v82, v0
	v_and_b32_e32 v0, 0x7f800000, v3
	s_delay_alu instid0(VALU_DEP_1) | instskip(SKIP_1) | instid1(SALU_CYCLE_1)
	v_cmp_ne_u32_e32 vcc_lo, 0x7f800000, v0
                                        ; implicit-def: $vgpr0
	s_and_saveexec_b32 s0, vcc_lo
	s_xor_b32 s0, exec_lo, s0
; %bb.946:                              ;   in Loop: Header=BB401_424 Depth=1
	v_bfe_u32 v0, v3, 16, 1
	s_delay_alu instid0(VALU_DEP_1)
	v_add3_u32 v0, v3, v0, 0x7fff
                                        ; implicit-def: $vgpr3
; %bb.947:                              ;   in Loop: Header=BB401_424 Depth=1
	s_and_not1_saveexec_b32 s0, s0
; %bb.948:                              ;   in Loop: Header=BB401_424 Depth=1
	v_and_b32_e32 v0, 0xffff, v3
	v_or_b32_e32 v50, 0x10000, v3
	s_delay_alu instid0(VALU_DEP_2) | instskip(NEXT) | instid1(VALU_DEP_2)
	v_cmp_eq_u32_e32 vcc_lo, 0, v0
	v_cndmask_b32_e32 v0, v50, v3, vcc_lo
; %bb.949:                              ;   in Loop: Header=BB401_424 Depth=1
	s_or_b32 exec_lo, exec_lo, s0
	v_lshlrev_b32_e32 v1, 16, v1
	s_delay_alu instid0(VALU_DEP_1) | instskip(NEXT) | instid1(VALU_DEP_1)
	v_mul_f32_e32 v3, v83, v1
	v_and_b32_e32 v1, 0x7f800000, v3
	s_delay_alu instid0(VALU_DEP_1) | instskip(SKIP_1) | instid1(SALU_CYCLE_1)
	v_cmp_ne_u32_e32 vcc_lo, 0x7f800000, v1
                                        ; implicit-def: $vgpr1
	s_and_saveexec_b32 s0, vcc_lo
	s_xor_b32 s0, exec_lo, s0
; %bb.950:                              ;   in Loop: Header=BB401_424 Depth=1
	v_bfe_u32 v1, v3, 16, 1
	s_delay_alu instid0(VALU_DEP_1)
	v_add3_u32 v1, v3, v1, 0x7fff
                                        ; implicit-def: $vgpr3
; %bb.951:                              ;   in Loop: Header=BB401_424 Depth=1
	s_and_not1_saveexec_b32 s0, s0
; %bb.952:                              ;   in Loop: Header=BB401_424 Depth=1
	v_and_b32_e32 v1, 0xffff, v3
	v_or_b32_e32 v50, 0x10000, v3
	s_delay_alu instid0(VALU_DEP_2) | instskip(NEXT) | instid1(VALU_DEP_2)
	v_cmp_eq_u32_e32 vcc_lo, 0, v1
	v_cndmask_b32_e32 v1, v50, v3, vcc_lo
; %bb.953:                              ;   in Loop: Header=BB401_424 Depth=1
	s_or_b32 exec_lo, exec_lo, s0
	v_lshlrev_b32_e32 v3, 16, v130
	s_delay_alu instid0(VALU_DEP_1) | instskip(NEXT) | instid1(VALU_DEP_1)
	v_mul_f32_e32 v50, v84, v3
	v_and_b32_e32 v3, 0x7f800000, v50
	s_delay_alu instid0(VALU_DEP_1) | instskip(SKIP_1) | instid1(SALU_CYCLE_1)
	v_cmp_ne_u32_e32 vcc_lo, 0x7f800000, v3
                                        ; implicit-def: $vgpr3
	s_and_saveexec_b32 s0, vcc_lo
	s_xor_b32 s0, exec_lo, s0
; %bb.954:                              ;   in Loop: Header=BB401_424 Depth=1
	v_bfe_u32 v3, v50, 16, 1
	s_delay_alu instid0(VALU_DEP_1)
	v_add3_u32 v3, v50, v3, 0x7fff
                                        ; implicit-def: $vgpr50
; %bb.955:                              ;   in Loop: Header=BB401_424 Depth=1
	s_and_not1_saveexec_b32 s0, s0
; %bb.956:                              ;   in Loop: Header=BB401_424 Depth=1
	v_and_b32_e32 v3, 0xffff, v50
	v_or_b32_e32 v51, 0x10000, v50
	s_delay_alu instid0(VALU_DEP_2) | instskip(NEXT) | instid1(VALU_DEP_2)
	v_cmp_eq_u32_e32 vcc_lo, 0, v3
	v_cndmask_b32_e32 v3, v51, v50, vcc_lo
; %bb.957:                              ;   in Loop: Header=BB401_424 Depth=1
	s_or_b32 exec_lo, exec_lo, s0
	v_lshlrev_b32_e32 v50, 16, v131
	s_delay_alu instid0(VALU_DEP_1) | instskip(NEXT) | instid1(VALU_DEP_1)
	v_mul_f32_e32 v51, v85, v50
	v_and_b32_e32 v50, 0x7f800000, v51
	s_delay_alu instid0(VALU_DEP_1) | instskip(SKIP_1) | instid1(SALU_CYCLE_1)
	v_cmp_ne_u32_e32 vcc_lo, 0x7f800000, v50
                                        ; implicit-def: $vgpr50
	s_and_saveexec_b32 s0, vcc_lo
	s_xor_b32 s0, exec_lo, s0
; %bb.958:                              ;   in Loop: Header=BB401_424 Depth=1
	v_bfe_u32 v50, v51, 16, 1
	s_delay_alu instid0(VALU_DEP_1)
	v_add3_u32 v50, v51, v50, 0x7fff
                                        ; implicit-def: $vgpr51
; %bb.959:                              ;   in Loop: Header=BB401_424 Depth=1
	s_and_not1_saveexec_b32 s0, s0
; %bb.960:                              ;   in Loop: Header=BB401_424 Depth=1
	v_and_b32_e32 v50, 0xffff, v51
	v_or_b32_e32 v52, 0x10000, v51
	s_delay_alu instid0(VALU_DEP_2) | instskip(NEXT) | instid1(VALU_DEP_2)
	v_cmp_eq_u32_e32 vcc_lo, 0, v50
	v_cndmask_b32_e32 v50, v52, v51, vcc_lo
; %bb.961:                              ;   in Loop: Header=BB401_424 Depth=1
	s_or_b32 exec_lo, exec_lo, s0
	v_lshlrev_b32_e32 v51, 16, v132
	s_delay_alu instid0(VALU_DEP_1) | instskip(NEXT) | instid1(VALU_DEP_1)
	v_mul_f32_e32 v52, v86, v51
	v_and_b32_e32 v51, 0x7f800000, v52
	s_delay_alu instid0(VALU_DEP_1) | instskip(SKIP_1) | instid1(SALU_CYCLE_1)
	v_cmp_ne_u32_e32 vcc_lo, 0x7f800000, v51
                                        ; implicit-def: $vgpr51
	s_and_saveexec_b32 s0, vcc_lo
	s_xor_b32 s0, exec_lo, s0
; %bb.962:                              ;   in Loop: Header=BB401_424 Depth=1
	v_bfe_u32 v51, v52, 16, 1
	s_delay_alu instid0(VALU_DEP_1)
	v_add3_u32 v51, v52, v51, 0x7fff
                                        ; implicit-def: $vgpr52
; %bb.963:                              ;   in Loop: Header=BB401_424 Depth=1
	s_and_not1_saveexec_b32 s0, s0
; %bb.964:                              ;   in Loop: Header=BB401_424 Depth=1
	v_and_b32_e32 v51, 0xffff, v52
	v_or_b32_e32 v53, 0x10000, v52
	s_delay_alu instid0(VALU_DEP_2) | instskip(NEXT) | instid1(VALU_DEP_2)
	v_cmp_eq_u32_e32 vcc_lo, 0, v51
	v_cndmask_b32_e32 v51, v53, v52, vcc_lo
; %bb.965:                              ;   in Loop: Header=BB401_424 Depth=1
	s_or_b32 exec_lo, exec_lo, s0
	v_lshlrev_b32_e32 v9, 16, v9
	s_delay_alu instid0(VALU_DEP_1) | instskip(NEXT) | instid1(VALU_DEP_1)
	v_mul_f32_e32 v52, v87, v9
	v_and_b32_e32 v9, 0x7f800000, v52
	s_delay_alu instid0(VALU_DEP_1) | instskip(SKIP_1) | instid1(SALU_CYCLE_1)
	v_cmp_ne_u32_e32 vcc_lo, 0x7f800000, v9
                                        ; implicit-def: $vgpr9
	s_and_saveexec_b32 s0, vcc_lo
	s_xor_b32 s0, exec_lo, s0
; %bb.966:                              ;   in Loop: Header=BB401_424 Depth=1
	v_bfe_u32 v9, v52, 16, 1
	s_delay_alu instid0(VALU_DEP_1)
	v_add3_u32 v9, v52, v9, 0x7fff
                                        ; implicit-def: $vgpr52
; %bb.967:                              ;   in Loop: Header=BB401_424 Depth=1
	s_and_not1_saveexec_b32 s0, s0
; %bb.968:                              ;   in Loop: Header=BB401_424 Depth=1
	v_and_b32_e32 v9, 0xffff, v52
	v_or_b32_e32 v53, 0x10000, v52
	s_delay_alu instid0(VALU_DEP_2) | instskip(NEXT) | instid1(VALU_DEP_2)
	v_cmp_eq_u32_e32 vcc_lo, 0, v9
	v_cndmask_b32_e32 v9, v53, v52, vcc_lo
; %bb.969:                              ;   in Loop: Header=BB401_424 Depth=1
	s_or_b32 exec_lo, exec_lo, s0
	v_lshlrev_b32_e32 v8, 16, v8
	s_delay_alu instid0(VALU_DEP_1) | instskip(NEXT) | instid1(VALU_DEP_1)
	v_mul_f32_e32 v52, v96, v8
	v_and_b32_e32 v8, 0x7f800000, v52
	s_delay_alu instid0(VALU_DEP_1) | instskip(SKIP_1) | instid1(SALU_CYCLE_1)
	v_cmp_ne_u32_e32 vcc_lo, 0x7f800000, v8
                                        ; implicit-def: $vgpr8
	s_and_saveexec_b32 s0, vcc_lo
	s_xor_b32 s0, exec_lo, s0
; %bb.970:                              ;   in Loop: Header=BB401_424 Depth=1
	v_bfe_u32 v8, v52, 16, 1
	s_delay_alu instid0(VALU_DEP_1)
	v_add3_u32 v8, v52, v8, 0x7fff
                                        ; implicit-def: $vgpr52
; %bb.971:                              ;   in Loop: Header=BB401_424 Depth=1
	s_and_not1_saveexec_b32 s0, s0
; %bb.972:                              ;   in Loop: Header=BB401_424 Depth=1
	v_and_b32_e32 v8, 0xffff, v52
	v_or_b32_e32 v53, 0x10000, v52
	s_delay_alu instid0(VALU_DEP_2) | instskip(NEXT) | instid1(VALU_DEP_2)
	v_cmp_eq_u32_e32 vcc_lo, 0, v8
	v_cndmask_b32_e32 v8, v53, v52, vcc_lo
; %bb.973:                              ;   in Loop: Header=BB401_424 Depth=1
	s_or_b32 exec_lo, exec_lo, s0
	v_lshlrev_b32_e32 v2, 16, v2
	s_delay_alu instid0(VALU_DEP_1) | instskip(NEXT) | instid1(VALU_DEP_1)
	v_mul_f32_e32 v52, v97, v2
	v_and_b32_e32 v2, 0x7f800000, v52
	s_delay_alu instid0(VALU_DEP_1) | instskip(SKIP_1) | instid1(SALU_CYCLE_1)
	v_cmp_ne_u32_e32 vcc_lo, 0x7f800000, v2
                                        ; implicit-def: $vgpr2
	s_and_saveexec_b32 s0, vcc_lo
	s_xor_b32 s0, exec_lo, s0
; %bb.974:                              ;   in Loop: Header=BB401_424 Depth=1
	v_bfe_u32 v2, v52, 16, 1
	s_delay_alu instid0(VALU_DEP_1)
	v_add3_u32 v2, v52, v2, 0x7fff
                                        ; implicit-def: $vgpr52
; %bb.975:                              ;   in Loop: Header=BB401_424 Depth=1
	s_and_not1_saveexec_b32 s0, s0
	s_cbranch_execz .LBB401_422
; %bb.976:                              ;   in Loop: Header=BB401_424 Depth=1
	v_and_b32_e32 v2, 0xffff, v52
	v_or_b32_e32 v53, 0x10000, v52
	s_delay_alu instid0(VALU_DEP_2) | instskip(NEXT) | instid1(VALU_DEP_2)
	v_cmp_eq_u32_e32 vcc_lo, 0, v2
	v_cndmask_b32_e32 v2, v53, v52, vcc_lo
	s_branch .LBB401_422
.LBB401_977:
	s_or_b32 exec_lo, exec_lo, s10
	s_load_b32 s0, s[2:3], 0x0
	s_waitcnt lgkmcnt(0)
	v_mov_b32_e32 v6, s0
.LBB401_978:
	s_or_b32 exec_lo, exec_lo, s7
	ds_bpermute_b32 v0, v17, v24
	ds_bpermute_b32 v1, v17, v19
	;; [unrolled: 1-line block ×4, first 2 shown]
	v_lshrrev_b32_e32 v7, 1, v16
	v_lshl_add_u32 v8, v21, 8, v6
	v_and_b32_e32 v10, 0x3c1, v66
	s_mov_b32 s0, exec_lo
	s_waitcnt lgkmcnt(0)
	s_waitcnt_vscnt null, 0x0
	s_barrier
	buffer_gl0_inv
	v_dual_add_f32 v2, v24, v0 :: v_dual_add_f32 v1, v19, v1
	v_dual_add_f32 v0, v18, v3 :: v_dual_add_f32 v3, v29, v9
	v_cmpx_eq_u32_e32 64, v10
	s_cbranch_execz .LBB401_980
; %bb.979:
	v_lshlrev_b32_e32 v9, 2, v7
	s_delay_alu instid0(VALU_DEP_1)
	v_add3_u32 v9, v8, v9, 0xfffffe00
	ds_store_2addr_b32 v9, v2, v1 offset1:16
	ds_store_2addr_b32 v9, v0, v3 offset0:32 offset1:48
.LBB401_980:
	s_or_b32 exec_lo, exec_lo, s0
	v_cmp_eq_u32_e32 vcc_lo, 0, v68
	s_mov_b32 s2, exec_lo
	s_waitcnt lgkmcnt(0)
	s_barrier
	buffer_gl0_inv
	v_cmpx_gt_u32_e32 64, v66
	s_cbranch_execz .LBB401_987
; %bb.981:
	s_and_saveexec_b32 s0, vcc_lo
	s_cbranch_execnz .LBB401_1016
; %bb.982:
	s_or_b32 exec_lo, exec_lo, s0
	s_and_saveexec_b32 s0, vcc_lo
	s_cbranch_execnz .LBB401_1017
.LBB401_983:
	s_or_b32 exec_lo, exec_lo, s0
	s_and_saveexec_b32 s0, vcc_lo
	s_cbranch_execnz .LBB401_1018
.LBB401_984:
	s_or_b32 exec_lo, exec_lo, s0
	s_and_saveexec_b32 s0, vcc_lo
	s_cbranch_execz .LBB401_986
.LBB401_985:
	v_lshl_add_u32 v9, v7, 2, v8
	ds_load_b32 v9, v9 offset:192
	s_waitcnt lgkmcnt(0)
	v_add_f32_e32 v3, v3, v9
.LBB401_986:
	s_or_b32 exec_lo, exec_lo, s0
.LBB401_987:
	s_delay_alu instid0(SALU_CYCLE_1)
	s_or_b32 exec_lo, exec_lo, s2
	v_and_b32_e32 v9, 0x3e1, v66
	s_mov_b32 s2, exec_lo
	s_barrier
	buffer_gl0_inv
	v_cmpx_eq_u32_e32 32, v9
	s_cbranch_execz .LBB401_989
; %bb.988:
	v_lshl_add_u32 v6, v7, 2, v6
	ds_store_2addr_b32 v6, v2, v1 offset1:16
	ds_store_2addr_b32 v6, v0, v3 offset0:32 offset1:48
.LBB401_989:
	s_or_b32 exec_lo, exec_lo, s2
	v_cmp_gt_u32_e64 s0, 32, v66
	s_waitcnt lgkmcnt(0)
	s_barrier
	buffer_gl0_inv
	s_and_saveexec_b32 s2, s0
	s_cbranch_execz .LBB401_996
; %bb.990:
	v_lshl_add_u32 v6, v7, 2, v8
	s_and_saveexec_b32 s3, vcc_lo
	s_cbranch_execnz .LBB401_1019
; %bb.991:
	s_or_b32 exec_lo, exec_lo, s3
	s_and_saveexec_b32 s3, vcc_lo
	s_cbranch_execnz .LBB401_1020
.LBB401_992:
	s_or_b32 exec_lo, exec_lo, s3
	s_and_saveexec_b32 s3, vcc_lo
	s_cbranch_execnz .LBB401_1021
.LBB401_993:
	s_or_b32 exec_lo, exec_lo, s3
	s_and_saveexec_b32 s3, vcc_lo
	s_cbranch_execz .LBB401_995
.LBB401_994:
	ds_load_b32 v6, v6 offset:192
	s_waitcnt lgkmcnt(0)
	v_add_f32_e32 v3, v3, v6
.LBB401_995:
	s_or_b32 exec_lo, exec_lo, s3
.LBB401_996:
	s_delay_alu instid0(SALU_CYCLE_1)
	s_or_b32 exec_lo, exec_lo, s2
	s_barrier
	buffer_gl0_inv
	s_and_b32 exec_lo, exec_lo, s0
	s_cbranch_execz .LBB401_1015
; %bb.997:
	s_and_b32 exec_lo, exec_lo, vcc_lo
	s_cbranch_execz .LBB401_1015
; %bb.998:
	v_and_b32_e32 v6, 0x7f800000, v2
	s_delay_alu instid0(VALU_DEP_1) | instskip(SKIP_1) | instid1(SALU_CYCLE_1)
	v_cmp_ne_u32_e32 vcc_lo, 0x7f800000, v6
                                        ; implicit-def: $vgpr6
	s_and_saveexec_b32 s0, vcc_lo
	s_xor_b32 s0, exec_lo, s0
; %bb.999:
	v_bfe_u32 v6, v2, 16, 1
	s_delay_alu instid0(VALU_DEP_1)
	v_add3_u32 v6, v2, v6, 0x7fff
; %bb.1000:
	s_and_not1_saveexec_b32 s0, s0
; %bb.1001:
	v_and_b32_e32 v6, 0xffff, v2
	v_or_b32_e32 v7, 0x10000, v2
	s_delay_alu instid0(VALU_DEP_2) | instskip(NEXT) | instid1(VALU_DEP_2)
	v_cmp_eq_u32_e32 vcc_lo, 0, v6
	v_cndmask_b32_e32 v6, v7, v2, vcc_lo
; %bb.1002:
	s_or_b32 exec_lo, exec_lo, s0
	s_mul_i32 s2, s1, s4
	s_mul_i32 s0, s6, s1
	s_mul_i32 s1, s2, s16
	s_lshl_b32 s2, s14, 6
	s_lshl_b32 s6, s1, 6
	s_ashr_i32 s1, s0, 31
	s_ashr_i32 s3, s2, 31
	;; [unrolled: 1-line block ×3, first 2 shown]
	s_lshl_b64 s[0:1], s[0:1], 1
	s_lshl_b64 s[2:3], s[2:3], 1
	;; [unrolled: 1-line block ×3, first 2 shown]
	s_add_u32 s0, s2, s0
	s_addc_u32 s1, s3, s1
	s_add_u32 s0, s0, s6
	s_addc_u32 s1, s1, s7
	v_lshlrev_b32_e32 v2, 1, v39
	v_add_co_u32 v4, vcc_lo, s0, v4
	v_add_co_ci_u32_e32 v5, vcc_lo, s1, v5, vcc_lo
	v_and_b32_e32 v7, 0x7f800000, v1
	s_delay_alu instid0(VALU_DEP_3) | instskip(NEXT) | instid1(VALU_DEP_3)
	v_add_co_u32 v4, vcc_lo, v4, v2
	v_add_co_ci_u32_e32 v5, vcc_lo, 0, v5, vcc_lo
	s_mov_b32 s0, exec_lo
                                        ; implicit-def: $vgpr2
	flat_store_d16_hi_b16 v[4:5], v6
	v_cmpx_ne_u32_e32 0x7f800000, v7
	s_xor_b32 s0, exec_lo, s0
; %bb.1003:
	v_bfe_u32 v2, v1, 16, 1
	s_delay_alu instid0(VALU_DEP_1)
	v_add3_u32 v2, v1, v2, 0x7fff
; %bb.1004:
	s_and_not1_saveexec_b32 s0, s0
; %bb.1005:
	v_and_b32_e32 v2, 0xffff, v1
	v_or_b32_e32 v6, 0x10000, v1
	s_delay_alu instid0(VALU_DEP_2) | instskip(NEXT) | instid1(VALU_DEP_2)
	v_cmp_eq_u32_e32 vcc_lo, 0, v2
	v_cndmask_b32_e32 v2, v6, v1, vcc_lo
; %bb.1006:
	s_or_b32 exec_lo, exec_lo, s0
	v_and_b32_e32 v1, 0x7f800000, v0
	flat_store_d16_hi_b16 v[4:5], v2 offset:32
	v_cmp_ne_u32_e32 vcc_lo, 0x7f800000, v1
                                        ; implicit-def: $vgpr1
	s_and_saveexec_b32 s0, vcc_lo
	s_delay_alu instid0(SALU_CYCLE_1)
	s_xor_b32 s0, exec_lo, s0
; %bb.1007:
	v_bfe_u32 v1, v0, 16, 1
	s_delay_alu instid0(VALU_DEP_1)
	v_add3_u32 v1, v0, v1, 0x7fff
; %bb.1008:
	s_and_not1_saveexec_b32 s0, s0
; %bb.1009:
	v_and_b32_e32 v1, 0xffff, v0
	v_or_b32_e32 v2, 0x10000, v0
	s_delay_alu instid0(VALU_DEP_2) | instskip(NEXT) | instid1(VALU_DEP_2)
	v_cmp_eq_u32_e32 vcc_lo, 0, v1
	v_cndmask_b32_e32 v1, v2, v0, vcc_lo
; %bb.1010:
	s_or_b32 exec_lo, exec_lo, s0
	v_and_b32_e32 v0, 0x7f800000, v3
	s_mov_b32 s0, exec_lo
	flat_store_d16_hi_b16 v[4:5], v1 offset:64
                                        ; implicit-def: $vgpr6
	v_cmpx_ne_u32_e32 0x7f800000, v0
	s_xor_b32 s0, exec_lo, s0
; %bb.1011:
	v_bfe_u32 v0, v3, 16, 1
	s_delay_alu instid0(VALU_DEP_1)
	v_add3_u32 v6, v3, v0, 0x7fff
                                        ; implicit-def: $vgpr0_vgpr1_vgpr2_vgpr3
; %bb.1012:
	s_and_not1_saveexec_b32 s0, s0
; %bb.1013:
	v_and_b32_e32 v0, 0xffff, v3
	v_or_b32_e32 v1, 0x10000, v3
	s_delay_alu instid0(VALU_DEP_2) | instskip(NEXT) | instid1(VALU_DEP_2)
	v_cmp_eq_u32_e32 vcc_lo, 0, v0
	v_cndmask_b32_e32 v6, v1, v3, vcc_lo
; %bb.1014:
	s_or_b32 exec_lo, exec_lo, s0
	flat_store_d16_hi_b16 v[4:5], v6 offset:96
.LBB401_1015:
	s_or_b32 exec_lo, exec_lo, s5
	s_clause 0x8
	scratch_load_b32 v56, off, s32 offset:8
	scratch_load_b32 v47, off, s32 offset:12
	;; [unrolled: 1-line block ×9, first 2 shown]
	s_waitcnt vmcnt(0) lgkmcnt(0)
	s_setpc_b64 s[30:31]
.LBB401_1016:
	v_lshl_add_u32 v9, v7, 2, v8
	ds_load_b32 v9, v9
	s_waitcnt lgkmcnt(0)
	v_add_f32_e32 v2, v2, v9
	s_or_b32 exec_lo, exec_lo, s0
	s_and_saveexec_b32 s0, vcc_lo
	s_cbranch_execz .LBB401_983
.LBB401_1017:
	v_lshl_add_u32 v9, v7, 2, v8
	ds_load_b32 v9, v9 offset:64
	s_waitcnt lgkmcnt(0)
	v_add_f32_e32 v1, v1, v9
	s_or_b32 exec_lo, exec_lo, s0
	s_and_saveexec_b32 s0, vcc_lo
	s_cbranch_execz .LBB401_984
.LBB401_1018:
	v_lshl_add_u32 v9, v7, 2, v8
	ds_load_b32 v9, v9 offset:128
	s_waitcnt lgkmcnt(0)
	v_add_f32_e32 v0, v0, v9
	s_or_b32 exec_lo, exec_lo, s0
	s_and_saveexec_b32 s0, vcc_lo
	s_cbranch_execnz .LBB401_985
	s_branch .LBB401_986
.LBB401_1019:
	ds_load_b32 v7, v6
	s_waitcnt lgkmcnt(0)
	v_add_f32_e32 v2, v2, v7
	s_or_b32 exec_lo, exec_lo, s3
	s_and_saveexec_b32 s3, vcc_lo
	s_cbranch_execz .LBB401_992
.LBB401_1020:
	ds_load_b32 v7, v6 offset:64
	s_waitcnt lgkmcnt(0)
	v_add_f32_e32 v1, v1, v7
	s_or_b32 exec_lo, exec_lo, s3
	s_and_saveexec_b32 s3, vcc_lo
	s_cbranch_execz .LBB401_993
.LBB401_1021:
	ds_load_b32 v7, v6 offset:128
	s_waitcnt lgkmcnt(0)
	v_add_f32_e32 v0, v0, v7
	s_or_b32 exec_lo, exec_lo, s3
	s_and_saveexec_b32 s3, vcc_lo
	s_cbranch_execnz .LBB401_994
	s_branch .LBB401_995
.Lfunc_end401:
	.size	_ZN4vllm22paged_attention_kernelI14__hip_bfloat16hLi64ELi16ELi128ELNS_18Fp8KVCacheDataTypeE1ELb1ELi512EEEvPfS3_PT_PKS4_PKT0_SA_ifPKiSC_iPKfiiiSE_SE_iiiii, .Lfunc_end401-_ZN4vllm22paged_attention_kernelI14__hip_bfloat16hLi64ELi16ELi128ELNS_18Fp8KVCacheDataTypeE1ELb1ELi512EEEvPfS3_PT_PKS4_PKT0_SA_ifPKiSC_iPKfiiiSE_SE_iiiii
                                        ; -- End function
	.section	.AMDGPU.csdata,"",@progbits
; Function info:
; codeLenInByte = 31916
; NumSgprs: 35
; NumVgprs: 184
; ScratchSize: 48
; MemoryBound: 0
	.section	.text._ZN4vllm25paged_attention_v2_kernelI14__hip_bfloat16hLi64ELi16ELi128ELNS_18Fp8KVCacheDataTypeE1ELb1ELi512EEEvPfS3_PT_PKS4_PKT0_SA_ifPKiSC_iPKfiiiSE_SE_iiiii,"axG",@progbits,_ZN4vllm25paged_attention_v2_kernelI14__hip_bfloat16hLi64ELi16ELi128ELNS_18Fp8KVCacheDataTypeE1ELb1ELi512EEEvPfS3_PT_PKS4_PKT0_SA_ifPKiSC_iPKfiiiSE_SE_iiiii,comdat
	.protected	_ZN4vllm25paged_attention_v2_kernelI14__hip_bfloat16hLi64ELi16ELi128ELNS_18Fp8KVCacheDataTypeE1ELb1ELi512EEEvPfS3_PT_PKS4_PKT0_SA_ifPKiSC_iPKfiiiSE_SE_iiiii ; -- Begin function _ZN4vllm25paged_attention_v2_kernelI14__hip_bfloat16hLi64ELi16ELi128ELNS_18Fp8KVCacheDataTypeE1ELb1ELi512EEEvPfS3_PT_PKS4_PKT0_SA_ifPKiSC_iPKfiiiSE_SE_iiiii
	.globl	_ZN4vllm25paged_attention_v2_kernelI14__hip_bfloat16hLi64ELi16ELi128ELNS_18Fp8KVCacheDataTypeE1ELb1ELi512EEEvPfS3_PT_PKS4_PKT0_SA_ifPKiSC_iPKfiiiSE_SE_iiiii
	.p2align	8
	.type	_ZN4vllm25paged_attention_v2_kernelI14__hip_bfloat16hLi64ELi16ELi128ELNS_18Fp8KVCacheDataTypeE1ELb1ELi512EEEvPfS3_PT_PKS4_PKT0_SA_ifPKiSC_iPKfiiiSE_SE_iiiii,@function
_ZN4vllm25paged_attention_v2_kernelI14__hip_bfloat16hLi64ELi16ELi128ELNS_18Fp8KVCacheDataTypeE1ELb1ELi512EEEvPfS3_PT_PKS4_PKT0_SA_ifPKiSC_iPKfiiiSE_SE_iiiii: ; @_ZN4vllm25paged_attention_v2_kernelI14__hip_bfloat16hLi64ELi16ELi128ELNS_18Fp8KVCacheDataTypeE1ELb1ELi512EEEvPfS3_PT_PKS4_PKT0_SA_ifPKiSC_iPKfiiiSE_SE_iiiii
; %bb.0:
	s_mov_b32 s12, s13
	s_clause 0x7
	s_load_b128 s[4:7], s[0:1], 0x78
	s_load_b32 s8, s[0:1], 0x88
	s_load_b256 s[24:31], s[0:1], 0x0
	s_load_b256 s[36:43], s[0:1], 0x20
	s_load_b64 s[2:3], s[0:1], 0x40
	s_load_b64 s[10:11], s[0:1], 0x50
	s_load_b32 s13, s[0:1], 0x48
	s_load_b256 s[16:23], s[0:1], 0x58
	s_mov_b32 s32, 0
	v_mov_b32_e32 v31, v0
	s_waitcnt lgkmcnt(0)
	v_dual_mov_b32 v1, s7 :: v_dual_mov_b32 v2, s8
	v_dual_mov_b32 v0, s24 :: v_dual_mov_b32 v3, s27
	;; [unrolled: 1-line block ×3, first 2 shown]
	v_mov_b32_e32 v6, s30
	scratch_store_b64 off, v[1:2], s32
	v_dual_mov_b32 v1, s25 :: v_dual_mov_b32 v2, s26
	v_dual_mov_b32 v7, s31 :: v_dual_mov_b32 v8, s36
	;; [unrolled: 1-line block ×13, first 2 shown]
	s_add_u32 s8, s0, 0x90
	s_addc_u32 s9, s1, 0
	s_mov_b32 s13, s14
	s_mov_b32 s14, s15
	;; [unrolled: 1-line block ×3, first 2 shown]
	s_getpc_b64 s[0:1]
	s_add_u32 s0, s0, _ZN4vllm22paged_attention_kernelI14__hip_bfloat16hLi64ELi16ELi128ELNS_18Fp8KVCacheDataTypeE1ELb1ELi512EEEvPfS3_PT_PKS4_PKT0_SA_ifPKiSC_iPKfiiiSE_SE_iiiii@rel32@lo+4
	s_addc_u32 s1, s1, _ZN4vllm22paged_attention_kernelI14__hip_bfloat16hLi64ELi16ELi128ELNS_18Fp8KVCacheDataTypeE1ELb1ELi512EEEvPfS3_PT_PKS4_PKT0_SA_ifPKiSC_iPKfiiiSE_SE_iiiii@rel32@hi+12
	s_delay_alu instid0(SALU_CYCLE_1)
	s_swappc_b64 s[30:31], s[0:1]
	s_endpgm
	.section	.rodata,"a",@progbits
	.p2align	6, 0x0
	.amdhsa_kernel _ZN4vllm25paged_attention_v2_kernelI14__hip_bfloat16hLi64ELi16ELi128ELNS_18Fp8KVCacheDataTypeE1ELb1ELi512EEEvPfS3_PT_PKS4_PKT0_SA_ifPKiSC_iPKfiiiSE_SE_iiiii
		.amdhsa_group_segment_fixed_size 160
		.amdhsa_private_segment_fixed_size 48
		.amdhsa_kernarg_size 400
		.amdhsa_user_sgpr_count 13
		.amdhsa_user_sgpr_dispatch_ptr 0
		.amdhsa_user_sgpr_queue_ptr 0
		.amdhsa_user_sgpr_kernarg_segment_ptr 1
		.amdhsa_user_sgpr_dispatch_id 0
		.amdhsa_user_sgpr_private_segment_size 0
		.amdhsa_wavefront_size32 1
		.amdhsa_uses_dynamic_stack 0
		.amdhsa_enable_private_segment 1
		.amdhsa_system_sgpr_workgroup_id_x 1
		.amdhsa_system_sgpr_workgroup_id_y 1
		.amdhsa_system_sgpr_workgroup_id_z 1
		.amdhsa_system_sgpr_workgroup_info 0
		.amdhsa_system_vgpr_workitem_id 0
		.amdhsa_next_free_vgpr 184
		.amdhsa_next_free_sgpr 44
		.amdhsa_reserve_vcc 1
		.amdhsa_float_round_mode_32 0
		.amdhsa_float_round_mode_16_64 0
		.amdhsa_float_denorm_mode_32 3
		.amdhsa_float_denorm_mode_16_64 3
		.amdhsa_dx10_clamp 1
		.amdhsa_ieee_mode 1
		.amdhsa_fp16_overflow 0
		.amdhsa_workgroup_processor_mode 1
		.amdhsa_memory_ordered 1
		.amdhsa_forward_progress 0
		.amdhsa_shared_vgpr_count 0
		.amdhsa_exception_fp_ieee_invalid_op 0
		.amdhsa_exception_fp_denorm_src 0
		.amdhsa_exception_fp_ieee_div_zero 0
		.amdhsa_exception_fp_ieee_overflow 0
		.amdhsa_exception_fp_ieee_underflow 0
		.amdhsa_exception_fp_ieee_inexact 0
		.amdhsa_exception_int_div_zero 0
	.end_amdhsa_kernel
	.section	.text._ZN4vllm25paged_attention_v2_kernelI14__hip_bfloat16hLi64ELi16ELi128ELNS_18Fp8KVCacheDataTypeE1ELb1ELi512EEEvPfS3_PT_PKS4_PKT0_SA_ifPKiSC_iPKfiiiSE_SE_iiiii,"axG",@progbits,_ZN4vllm25paged_attention_v2_kernelI14__hip_bfloat16hLi64ELi16ELi128ELNS_18Fp8KVCacheDataTypeE1ELb1ELi512EEEvPfS3_PT_PKS4_PKT0_SA_ifPKiSC_iPKfiiiSE_SE_iiiii,comdat
.Lfunc_end402:
	.size	_ZN4vllm25paged_attention_v2_kernelI14__hip_bfloat16hLi64ELi16ELi128ELNS_18Fp8KVCacheDataTypeE1ELb1ELi512EEEvPfS3_PT_PKS4_PKT0_SA_ifPKiSC_iPKfiiiSE_SE_iiiii, .Lfunc_end402-_ZN4vllm25paged_attention_v2_kernelI14__hip_bfloat16hLi64ELi16ELi128ELNS_18Fp8KVCacheDataTypeE1ELb1ELi512EEEvPfS3_PT_PKS4_PKT0_SA_ifPKiSC_iPKfiiiSE_SE_iiiii
                                        ; -- End function
	.section	.AMDGPU.csdata,"",@progbits
; Kernel info:
; codeLenInByte = 280
; NumSgprs: 46
; NumVgprs: 184
; ScratchSize: 48
; MemoryBound: 0
; FloatMode: 240
; IeeeMode: 1
; LDSByteSize: 160 bytes/workgroup (compile time only)
; SGPRBlocks: 5
; VGPRBlocks: 22
; NumSGPRsForWavesPerEU: 46
; NumVGPRsForWavesPerEU: 184
; Occupancy: 8
; WaveLimiterHint : 1
; COMPUTE_PGM_RSRC2:SCRATCH_EN: 1
; COMPUTE_PGM_RSRC2:USER_SGPR: 13
; COMPUTE_PGM_RSRC2:TRAP_HANDLER: 0
; COMPUTE_PGM_RSRC2:TGID_X_EN: 1
; COMPUTE_PGM_RSRC2:TGID_Y_EN: 1
; COMPUTE_PGM_RSRC2:TGID_Z_EN: 1
; COMPUTE_PGM_RSRC2:TIDIG_COMP_CNT: 0
	.text
	.p2align	2                               ; -- Begin function _ZN4vllm22paged_attention_kernelI14__hip_bfloat16hLi80ELi16ELi128ELNS_18Fp8KVCacheDataTypeE1ELb1ELi512EEEvPfS3_PT_PKS4_PKT0_SA_ifPKiSC_iPKfiiiSE_SE_iiiii
	.type	_ZN4vllm22paged_attention_kernelI14__hip_bfloat16hLi80ELi16ELi128ELNS_18Fp8KVCacheDataTypeE1ELb1ELi512EEEvPfS3_PT_PKS4_PKT0_SA_ifPKiSC_iPKfiiiSE_SE_iiiii,@function
_ZN4vllm22paged_attention_kernelI14__hip_bfloat16hLi80ELi16ELi128ELNS_18Fp8KVCacheDataTypeE1ELb1ELi512EEEvPfS3_PT_PKS4_PKT0_SA_ifPKiSC_iPKfiiiSE_SE_iiiii: ; @_ZN4vllm22paged_attention_kernelI14__hip_bfloat16hLi80ELi16ELi128ELNS_18Fp8KVCacheDataTypeE1ELb1ELi512EEEvPfS3_PT_PKS4_PKT0_SA_ifPKiSC_iPKfiiiSE_SE_iiiii
; %bb.0:
	s_waitcnt vmcnt(0) expcnt(0) lgkmcnt(0)
	s_clause 0x18
	scratch_store_b32 off, v40, s32 offset:104
	; meta instruction
	scratch_store_b32 off, v41, s32 offset:100
	; meta instruction
	scratch_store_b32 off, v42, s32 offset:96
	; meta instruction
	scratch_store_b32 off, v43, s32 offset:92
	; meta instruction
	scratch_store_b32 off, v44, s32 offset:88
	; meta instruction
	scratch_store_b32 off, v45, s32 offset:84
	; meta instruction
	scratch_store_b32 off, v46, s32 offset:80
	; meta instruction
	scratch_store_b32 off, v47, s32 offset:76
	; meta instruction
	scratch_store_b32 off, v56, s32 offset:72
	; meta instruction
	scratch_store_b32 off, v57, s32 offset:68
	; meta instruction
	scratch_store_b32 off, v58, s32 offset:64
	; meta instruction
	scratch_store_b32 off, v59, s32 offset:60
	; meta instruction
	scratch_store_b32 off, v60, s32 offset:56
	; meta instruction
	scratch_store_b32 off, v61, s32 offset:52
	; meta instruction
	scratch_store_b32 off, v62, s32 offset:48
	; meta instruction
	scratch_store_b32 off, v63, s32 offset:44
	; meta instruction
	scratch_store_b32 off, v72, s32 offset:40
	; meta instruction
	scratch_store_b32 off, v73, s32 offset:36
	; meta instruction
	scratch_store_b32 off, v74, s32 offset:32
	; meta instruction
	scratch_store_b32 off, v75, s32 offset:28
	; meta instruction
	scratch_store_b32 off, v76, s32 offset:24
	; meta instruction
	scratch_store_b32 off, v77, s32 offset:20
	; meta instruction
	scratch_store_b32 off, v78, s32 offset:16
	; meta instruction
	scratch_store_b32 off, v79, s32 offset:12
	; meta instruction
	scratch_store_b32 off, v88, s32 offset:8
	s_mov_b32 s4, s13
	s_ashr_i32 s5, s13, 31
	s_mov_b32 s10, s15
	s_lshl_b64 s[0:1], s[4:5], 2
	s_lshl_b32 s15, s14, 9
	v_add_co_u32 v16, vcc_lo, v16, s0
	v_add_co_ci_u32_e32 v17, vcc_lo, s1, v17, vcc_lo
	s_mov_b32 s5, exec_lo
	flat_load_b32 v71, v[16:17]
	s_clause 0x1
	scratch_load_b32 v32, off, s32 offset:4
	scratch_load_b32 v33, off, s32
	s_waitcnt vmcnt(2) lgkmcnt(0)
	v_cmpx_lt_i32_e64 s15, v71
	s_cbranch_execz .LBB403_1247
; %bb.1:
	v_sub_nc_u32_e32 v16, 0, v12
	s_clause 0x1
	s_load_b32 s0, s[8:9], 0x10
	s_load_b32 s1, s[8:9], 0x0
	v_mov_b32_e32 v98, 0
	v_max_i32_e32 v16, v12, v16
	s_delay_alu instid0(VALU_DEP_1) | instskip(SKIP_1) | instid1(VALU_DEP_2)
	v_cvt_f32_u32_e32 v17, v16
	v_sub_nc_u32_e32 v34, 0, v16
	v_rcp_iflag_f32_e32 v17, v17
	s_waitcnt lgkmcnt(0)
	s_lshr_b32 s0, s0, 16
	s_delay_alu instid0(SALU_CYCLE_1) | instskip(SKIP_3) | instid1(SALU_CYCLE_1)
	s_cmp_lg_u32 s0, 0
	s_waitcnt_depctr 0xfff
	v_mul_f32_e32 v17, 0x4f7ffffe, v17
	s_cselect_b32 s0, -1, 0
	s_cmp_lg_u32 s0, 0
	s_delay_alu instid0(VALU_DEP_1) | instskip(SKIP_3) | instid1(VALU_DEP_1)
	v_cvt_u32_f32_e32 v17, v17
	s_addc_u32 s16, s1, 0
	s_mov_b32 s1, exec_lo
	s_abs_i32 s0, s16
	v_mul_lo_u32 v34, v34, v17
	s_delay_alu instid0(VALU_DEP_1) | instskip(NEXT) | instid1(VALU_DEP_1)
	v_mul_hi_u32 v34, v17, v34
	v_add_nc_u32_e32 v17, v17, v34
	s_delay_alu instid0(VALU_DEP_1) | instskip(NEXT) | instid1(VALU_DEP_1)
	v_mul_hi_u32 v17, s0, v17
	v_mul_lo_u32 v34, v17, v16
	v_add_nc_u32_e32 v35, 1, v17
	s_delay_alu instid0(VALU_DEP_2) | instskip(SKIP_1) | instid1(VALU_DEP_1)
	v_sub_nc_u32_e32 v34, s0, v34
	s_abs_i32 s0, s12
	v_sub_nc_u32_e32 v36, v34, v16
	v_cmp_ge_u32_e32 vcc_lo, v34, v16
	s_delay_alu instid0(VALU_DEP_2) | instskip(SKIP_1) | instid1(VALU_DEP_2)
	v_dual_cndmask_b32 v17, v17, v35 :: v_dual_cndmask_b32 v34, v34, v36
	v_xor_b32_e32 v35, s16, v12
	v_add_nc_u32_e32 v36, 1, v17
	s_delay_alu instid0(VALU_DEP_3) | instskip(NEXT) | instid1(VALU_DEP_3)
	v_cmp_ge_u32_e32 vcc_lo, v34, v16
	v_ashrrev_i32_e32 v35, 31, v35
	s_delay_alu instid0(VALU_DEP_3) | instskip(NEXT) | instid1(VALU_DEP_1)
	v_cndmask_b32_e32 v16, v17, v36, vcc_lo
	v_xor_b32_e32 v16, v16, v35
	s_delay_alu instid0(VALU_DEP_1) | instskip(NEXT) | instid1(VALU_DEP_1)
	v_sub_nc_u32_e32 v35, v16, v35
	v_sub_nc_u32_e32 v16, 0, v35
	s_delay_alu instid0(VALU_DEP_1) | instskip(NEXT) | instid1(VALU_DEP_1)
	v_max_i32_e32 v34, v35, v16
	v_cvt_f32_u32_e32 v16, v34
	v_sub_nc_u32_e32 v17, 0, v34
	s_delay_alu instid0(VALU_DEP_2) | instskip(SKIP_2) | instid1(VALU_DEP_1)
	v_rcp_iflag_f32_e32 v16, v16
	s_waitcnt_depctr 0xfff
	v_mul_f32_e32 v16, 0x4f7ffffe, v16
	v_cvt_u32_f32_e32 v16, v16
	s_delay_alu instid0(VALU_DEP_1) | instskip(NEXT) | instid1(VALU_DEP_1)
	v_mul_lo_u32 v17, v17, v16
	v_mul_hi_u32 v17, v16, v17
	s_delay_alu instid0(VALU_DEP_1) | instskip(NEXT) | instid1(VALU_DEP_1)
	v_add_nc_u32_e32 v36, v16, v17
	v_mad_u64_u32 v[16:17], null, s0, v36, 0
	v_cmpx_ne_u64_e32 0, v[19:20]
	s_cbranch_execz .LBB403_3
; %bb.2:
	s_ashr_i32 s13, s12, 31
	s_delay_alu instid0(SALU_CYCLE_1) | instskip(NEXT) | instid1(SALU_CYCLE_1)
	s_lshl_b64 s[2:3], s[12:13], 2
	v_add_co_u32 v19, vcc_lo, v19, s2
	v_add_co_ci_u32_e32 v20, vcc_lo, s3, v20, vcc_lo
	flat_load_b32 v98, v[19:20]
.LBB403_3:
	s_or_b32 exec_lo, exec_lo, s1
	v_and_b32_e32 v70, 0x3ff, v31
	v_ashrrev_i32_e32 v16, 31, v35
	s_ashr_i32 s1, s12, 31
	s_mul_i32 s6, s12, 0x50
	s_mov_b32 s2, exec_lo
	v_lshrrev_b32_e32 v39, 1, v70
	v_and_b32_e32 v80, 1, v70
	v_lshlrev_b32_e32 v86, 3, v70
	v_cmpx_gt_u32_e32 20, v70
	s_cbranch_execz .LBB403_5
; %bb.4:
	v_mul_lo_u32 v19, s4, v21
	s_ashr_i32 s7, s6, 31
	s_delay_alu instid0(SALU_CYCLE_1) | instskip(NEXT) | instid1(VALU_DEP_1)
	s_lshl_b64 s[18:19], s[6:7], 1
	v_ashrrev_i32_e32 v20, 31, v19
	s_delay_alu instid0(VALU_DEP_1) | instskip(NEXT) | instid1(VALU_DEP_1)
	v_lshlrev_b64 v[19:20], 1, v[19:20]
	v_add_co_u32 v6, vcc_lo, v6, v19
	s_delay_alu instid0(VALU_DEP_2) | instskip(SKIP_1) | instid1(VALU_DEP_3)
	v_add_co_ci_u32_e32 v7, vcc_lo, v7, v20, vcc_lo
	v_lshlrev_b32_e32 v19, 3, v39
	v_add_co_u32 v6, vcc_lo, v6, s18
	s_delay_alu instid0(VALU_DEP_3) | instskip(NEXT) | instid1(VALU_DEP_3)
	v_add_co_ci_u32_e32 v7, vcc_lo, s19, v7, vcc_lo
	v_mad_u32_u24 v19, 0x50, v80, v19
	s_delay_alu instid0(VALU_DEP_3) | instskip(NEXT) | instid1(VALU_DEP_3)
	v_add_co_u32 v6, vcc_lo, v6, v86
	v_add_co_ci_u32_e32 v7, vcc_lo, 0, v7, vcc_lo
	flat_load_b64 v[6:7], v[6:7]
	s_waitcnt vmcnt(0) lgkmcnt(0)
	ds_store_b64 v19, v[6:7]
.LBB403_5:
	s_or_b32 exec_lo, exec_lo, s2
	s_waitcnt vmcnt(0)
	v_sub_nc_u32_e32 v6, 0, v33
	v_mul_lo_u32 v7, v17, v34
	v_add_nc_u32_e32 v20, 1, v17
	v_xor_b32_e32 v35, s1, v16
	s_waitcnt lgkmcnt(0)
	s_waitcnt_vscnt null, 0x0
	v_max_i32_e32 v81, v33, v6
	s_barrier
	buffer_gl0_inv
	v_sub_nc_u32_e32 v7, s0, v7
	v_cvt_f32_u32_e32 v6, v81
	v_sub_nc_u32_e32 v19, 0, v81
	s_mov_b32 s0, exec_lo
	s_delay_alu instid0(VALU_DEP_3) | instskip(NEXT) | instid1(VALU_DEP_3)
	v_cmp_ge_u32_e32 vcc_lo, v7, v34
	v_rcp_iflag_f32_e32 v6, v6
	v_sub_nc_u32_e32 v21, v7, v34
	v_dual_cndmask_b32 v20, v17, v20 :: v_dual_add_nc_u32 v17, -1, v71
	s_delay_alu instid0(VALU_DEP_2) | instskip(SKIP_4) | instid1(VALU_DEP_3)
	v_cndmask_b32_e32 v7, v7, v21, vcc_lo
	s_waitcnt_depctr 0xfff
	v_dual_mul_f32 v6, 0x4f7ffffe, v6 :: v_dual_add_nc_u32 v21, 1, v20
	v_cmp_ge_u32_e32 vcc_lo, v7, v34
	v_sub_nc_u32_e32 v31, 0, v17
	v_cvt_u32_f32_e32 v6, v6
	s_delay_alu instid0(VALU_DEP_2) | instskip(NEXT) | instid1(VALU_DEP_2)
	v_max_i32_e32 v16, v17, v31
	v_mul_lo_u32 v19, v19, v6
	s_delay_alu instid0(VALU_DEP_1) | instskip(SKIP_1) | instid1(VALU_DEP_2)
	v_mul_hi_u32 v19, v6, v19
	v_cndmask_b32_e32 v7, v20, v21, vcc_lo
                                        ; implicit-def: $vgpr20
	v_add_nc_u32_e32 v82, v6, v19
	s_delay_alu instid0(VALU_DEP_2) | instskip(NEXT) | instid1(VALU_DEP_2)
	v_xor_b32_e32 v19, v7, v35
	v_mad_u64_u32 v[6:7], null, v16, v82, 0
	s_delay_alu instid0(VALU_DEP_2)
	v_sub_nc_u32_e32 v6, v19, v35
	v_cmpx_gt_i32_e32 0, v32
	s_xor_b32 s0, exec_lo, s0
; %bb.6:
	s_delay_alu instid0(VALU_DEP_2) | instskip(NEXT) | instid1(VALU_DEP_1)
	v_mad_u64_u32 v[19:20], null, v28, v12, v[6:7]
                                        ; implicit-def: $vgpr28
	v_mul_lo_u32 v12, v19, v32
                                        ; implicit-def: $vgpr32
	s_delay_alu instid0(VALU_DEP_1)
	v_sub_nc_u32_e32 v20, 1, v12
; %bb.7:
	s_or_saveexec_b32 s0, s0
	v_ashrrev_i32_e32 v12, 31, v17
	v_ashrrev_i32_e32 v83, 31, v33
	s_xor_b32 exec_lo, exec_lo, s0
; %bb.8:
	v_mad_u64_u32 v[19:20], null, s16, v28, s[12:13]
	s_delay_alu instid0(VALU_DEP_1)
	v_mad_u64_u32 v[20:21], null, v19, v32, 1
; %bb.9:
	s_or_b32 exec_lo, exec_lo, s0
	v_mul_lo_u32 v17, v7, v81
	v_dual_mov_b32 v100, 0xff7fffff :: v_dual_add_nc_u32 v19, 15, v71
	v_add_nc_u32_e32 v21, 1, v7
	v_xor_b32_e32 v31, v12, v83
	s_clause 0x1
	s_load_b32 s17, s[8:9], 0x14
	s_load_b32 s7, s[8:9], 0x8
	s_lshl_b32 s13, s14, 5
	v_sub_nc_u32_e32 v96, 0, v30
	v_sub_nc_u32_e32 v17, v16, v17
	v_mul_lo_u32 v16, s4, v18
	v_ashrrev_i32_e32 v18, 31, v19
	s_add_i32 s0, s13, 32
	v_mbcnt_lo_u32_b32 v99, -1, 0
	v_sub_nc_u32_e32 v28, v17, v81
	v_cmp_ge_u32_e32 vcc_lo, v17, v81
	v_lshrrev_b32_e32 v12, 28, v18
	v_cndmask_b32_e32 v7, v7, v21, vcc_lo
	s_delay_alu instid0(VALU_DEP_4) | instskip(NEXT) | instid1(VALU_DEP_3)
	v_cndmask_b32_e32 v17, v17, v28, vcc_lo
	v_add_nc_u32_e32 v19, v19, v12
	v_lshrrev_b32_e32 v21, 5, v70
	v_mul_lo_u32 v12, v6, v23
	v_add_nc_u32_e32 v18, 1, v7
	v_cmp_ge_u32_e32 vcc_lo, v17, v81
	v_ashrrev_i32_e32 v87, 4, v19
	v_ashrrev_i32_e32 v17, 31, v16
	v_or_b32_e32 v52, s13, v21
	v_lshl_add_u32 v23, v21, 4, s15
	v_cndmask_b32_e32 v7, v7, v18, vcc_lo
	v_min_i32_e32 v84, s0, v87
	v_lshlrev_b64 v[54:55], 2, v[16:17]
	v_ashrrev_i32_e32 v97, 31, v12
	v_ashrrev_i32_e32 v53, 31, v52
	v_xor_b32_e32 v6, v7, v31
	v_cmp_lt_i32_e64 s0, v52, v84
	s_delay_alu instid0(VALU_DEP_2) | instskip(NEXT) | instid1(VALU_DEP_1)
	v_sub_nc_u32_e32 v6, v6, v31
	v_sub_nc_u32_e32 v85, v6, v29
	s_delay_alu instid0(VALU_DEP_3)
	s_and_saveexec_b32 s18, s0
	s_cbranch_execz .LBB403_499
; %bb.10:
	v_max_i32_e32 v101, v30, v96
	s_ashr_i32 s11, s10, 31
	s_getpc_b64 s[2:3]
	s_add_u32 s2, s2, llvm.amdgcn.dynlds.offset.table@rel32@lo+4
	s_addc_u32 s3, s3, llvm.amdgcn.dynlds.offset.table@rel32@hi+12
	s_lshl_b64 s[8:9], s[10:11], 2
	v_bfe_u32 v102, v70, 1, 4
	v_cvt_f32_u32_e32 v6, v101
	v_sub_nc_u32_e32 v17, 0, v101
	s_add_u32 s8, s8, s2
	s_addc_u32 s9, s9, s3
	v_add_co_u32 v8, s1, v8, v12
	v_rcp_iflag_f32_e32 v16, v6
	v_mov_b32_e32 v29, 0
	s_load_b32 s11, s[8:9], 0x0
	v_lshlrev_b64 v[6:7], 2, v[52:53]
	v_lshlrev_b32_e32 v18, 4, v102
	v_add_co_ci_u32_e64 v9, s1, v9, v97, s1
	v_dual_mov_b32 v100, 0xff7fffff :: v_dual_lshlrev_b32 v19, 2, v102
	s_delay_alu instid0(VALU_DEP_4) | instskip(NEXT) | instid1(TRANS32_DEP_1)
	v_add_co_u32 v6, s2, v54, v6
	v_mul_f32_e32 v16, 0x4f7ffffe, v16
	v_add_co_ci_u32_e64 v7, s2, v55, v7, s2
	v_sub_nc_u32_e32 v28, v102, v71
	v_add_co_u32 v64, s2, v8, v18
	s_delay_alu instid0(VALU_DEP_4) | instskip(SKIP_2) | instid1(VALU_DEP_3)
	v_cvt_u32_f32_e32 v16, v16
	v_add_co_ci_u32_e64 v65, s2, 0, v9, s2
	v_add_co_u32 v66, s2, v14, v6
	v_mul_lo_u32 v17, v17, v16
	v_cmp_eq_u32_e32 vcc_lo, 0, v80
	v_dual_mov_b32 v114, 0xff7fffff :: v_dual_lshlrev_b32 v103, 2, v80
	v_mul_u32_u24_e32 v112, 0x50, v80
	v_cmp_neq_f32_e64 s1, 0, v98
	v_lshl_add_u32 v113, v21, 4, s15
	v_lshl_or_b32 v115, v21, 6, v19
	v_mul_hi_u32 v17, v16, v17
	v_add_nc_u32_e32 v116, 1, v28
	v_add_co_ci_u32_e64 v67, s2, v15, v7, s2
	v_mov_b32_e32 v118, v52
	s_mov_b32 s19, 0
	s_delay_alu instid0(VALU_DEP_4)
	v_add_nc_u32_e32 v117, v16, v17
	s_branch .LBB403_13
.LBB403_11:                             ;   in Loop: Header=BB403_13 Depth=1
	s_or_b32 exec_lo, exec_lo, s20
.LBB403_12:                             ;   in Loop: Header=BB403_13 Depth=1
	s_delay_alu instid0(SALU_CYCLE_1) | instskip(SKIP_2) | instid1(VALU_DEP_1)
	s_or_b32 exec_lo, exec_lo, s3
	v_add_nc_u32_e32 v118, 4, v118
	v_add_co_u32 v66, s3, v66, 16
	v_add_co_ci_u32_e64 v67, s3, 0, v67, s3
	s_delay_alu instid0(VALU_DEP_3) | instskip(SKIP_2) | instid1(VALU_DEP_3)
	v_cmp_ge_i32_e64 s2, v118, v84
	v_add_nc_u32_e32 v113, 64, v113
	v_add_nc_u32_e32 v115, 0x100, v115
	s_or_b32 s19, s2, s19
	s_delay_alu instid0(SALU_CYCLE_1)
	s_and_not1_b32 exec_lo, exec_lo, s19
	s_cbranch_execz .LBB403_498
.LBB403_13:                             ; =>This Inner Loop Header: Depth=1
	v_sub_nc_u32_e32 v6, 0, v113
	s_delay_alu instid0(VALU_DEP_1) | instskip(SKIP_1) | instid1(VALU_DEP_1)
	v_max_i32_e32 v6, v113, v6
	s_waitcnt lgkmcnt(0)
	v_mul_hi_u32 v7, v6, v82
	s_delay_alu instid0(VALU_DEP_1) | instskip(NEXT) | instid1(VALU_DEP_1)
	v_mul_lo_u32 v8, v7, v81
	v_sub_nc_u32_e32 v6, v6, v8
	v_add_nc_u32_e32 v8, 1, v7
	s_delay_alu instid0(VALU_DEP_2) | instskip(SKIP_1) | instid1(VALU_DEP_1)
	v_sub_nc_u32_e32 v9, v6, v81
	v_cmp_ge_u32_e64 s2, v6, v81
	v_cndmask_b32_e64 v7, v7, v8, s2
	s_delay_alu instid0(VALU_DEP_3) | instskip(SKIP_1) | instid1(VALU_DEP_3)
	v_cndmask_b32_e64 v6, v6, v9, s2
	v_ashrrev_i32_e32 v8, 31, v113
	v_add_nc_u32_e32 v9, 1, v7
	s_delay_alu instid0(VALU_DEP_3) | instskip(NEXT) | instid1(VALU_DEP_3)
	v_cmp_ge_u32_e64 s2, v6, v81
	v_xor_b32_e32 v8, v8, v83
	s_delay_alu instid0(VALU_DEP_2) | instskip(NEXT) | instid1(VALU_DEP_1)
	v_cndmask_b32_e64 v6, v7, v9, s2
	v_xor_b32_e32 v6, v6, v8
	s_delay_alu instid0(VALU_DEP_1) | instskip(NEXT) | instid1(VALU_DEP_1)
	v_sub_nc_u32_e32 v6, v6, v8
	v_add_nc_u32_e32 v7, v6, v20
	v_cmp_le_i32_e64 s3, v6, v85
	s_delay_alu instid0(VALU_DEP_2) | instskip(NEXT) | instid1(VALU_DEP_1)
	v_sub_nc_u32_e32 v8, 0, v7
	v_max_i32_e32 v8, v7, v8
	v_ashrrev_i32_e32 v7, 31, v7
	s_delay_alu instid0(VALU_DEP_2) | instskip(NEXT) | instid1(VALU_DEP_1)
	v_mul_hi_u32 v9, v8, v117
	v_mul_lo_u32 v9, v9, v101
	s_delay_alu instid0(VALU_DEP_1) | instskip(NEXT) | instid1(VALU_DEP_1)
	v_sub_nc_u32_e32 v8, v8, v9
	v_sub_nc_u32_e32 v9, v8, v101
	v_cmp_ge_u32_e64 s2, v8, v101
	s_delay_alu instid0(VALU_DEP_1) | instskip(NEXT) | instid1(VALU_DEP_1)
	v_cndmask_b32_e64 v8, v8, v9, s2
	v_sub_nc_u32_e32 v9, v8, v101
	v_cmp_ge_u32_e64 s2, v8, v101
	s_delay_alu instid0(VALU_DEP_1) | instskip(NEXT) | instid1(VALU_DEP_1)
	v_cndmask_b32_e64 v8, v8, v9, s2
	v_xor_b32_e32 v8, v8, v7
	s_delay_alu instid0(VALU_DEP_1) | instskip(NEXT) | instid1(VALU_DEP_1)
	v_sub_nc_u32_e32 v7, v8, v7
	v_cmp_ne_u32_e64 s2, 0, v7
	s_delay_alu instid0(VALU_DEP_1) | instskip(NEXT) | instid1(SALU_CYCLE_1)
	s_and_b32 s2, s2, s3
	s_and_b32 s20, vcc_lo, s2
	s_delay_alu instid0(SALU_CYCLE_1)
	s_and_saveexec_b32 s3, s20
	s_cbranch_execz .LBB403_15
; %bb.14:                               ;   in Loop: Header=BB403_13 Depth=1
	s_waitcnt lgkmcnt(0)
	v_add_nc_u32_e32 v6, s11, v115
	ds_store_b32 v6, v114
.LBB403_15:                             ;   in Loop: Header=BB403_13 Depth=1
	s_or_b32 exec_lo, exec_lo, s3
	s_xor_b32 s2, s2, -1
	s_delay_alu instid0(SALU_CYCLE_1)
	s_and_saveexec_b32 s3, s2
	s_cbranch_execz .LBB403_12
; %bb.16:                               ;   in Loop: Header=BB403_13 Depth=1
	flat_load_b32 v8, v[66:67]
	v_mov_b32_e32 v28, 0
	s_mov_b32 s20, exec_lo
	s_waitcnt vmcnt(0) lgkmcnt(0)
	v_mad_i64_i32 v[6:7], null, v8, v22, v[64:65]
	s_delay_alu instid0(VALU_DEP_1) | instskip(NEXT) | instid1(VALU_DEP_1)
	v_add_co_u32 v68, s2, v6, v103
	v_add_co_ci_u32_e64 v69, s2, 0, v7, s2
	flat_load_b32 v131, v[68:69]
	flat_load_b32 v119, v[24:25]
	ds_load_b128 v[48:51], v112
	ds_load_b128 v[35:38], v112 offset:16
	ds_load_b128 v[31:34], v112 offset:32
	;; [unrolled: 1-line block ×4, first 2 shown]
	s_waitcnt vmcnt(1) lgkmcnt(6)
	v_and_b32_e32 v128, 0xff, v131
	s_delay_alu instid0(VALU_DEP_1)
	v_cmpx_ne_u16_e64 0, v128
	s_cbranch_execz .LBB403_24
; %bb.17:                               ;   in Loop: Header=BB403_13 Depth=1
	v_bfrev_b32_e32 v28, 1
	s_mov_b32 s21, exec_lo
	v_cmpx_ne_u16_e64 0x80, v128
	s_cbranch_execz .LBB403_23
; %bb.18:                               ;   in Loop: Header=BB403_13 Depth=1
	v_and_b32_e32 v129, 0x7f, v131
	v_mov_b32_e32 v28, 0x7f800001
	s_mov_b32 s22, exec_lo
	s_delay_alu instid0(VALU_DEP_2)
	v_cmpx_ne_u32_e32 0x7f, v129
	s_cbranch_execz .LBB403_22
; %bb.19:                               ;   in Loop: Header=BB403_13 Depth=1
	v_and_b32_e32 v28, 7, v131
	v_lshrrev_b32_e32 v128, 3, v129
	s_mov_b32 s23, exec_lo
	v_cmpx_gt_u32_e32 8, v129
; %bb.20:                               ;   in Loop: Header=BB403_13 Depth=1
	s_delay_alu instid0(VALU_DEP_3) | instskip(NEXT) | instid1(VALU_DEP_1)
	v_clz_i32_u32_e32 v128, v28
	v_min_u32_e32 v128, 32, v128
	s_delay_alu instid0(VALU_DEP_1) | instskip(SKIP_1) | instid1(VALU_DEP_2)
	v_subrev_nc_u32_e32 v129, 28, v128
	v_sub_nc_u32_e32 v128, 29, v128
	v_lshlrev_b64 v[129:130], v129, v[28:29]
	s_delay_alu instid0(VALU_DEP_1)
	v_and_b32_e32 v28, 7, v129
; %bb.21:                               ;   in Loop: Header=BB403_13 Depth=1
	s_or_b32 exec_lo, exec_lo, s23
	v_lshlrev_b32_e32 v129, 24, v131
	s_delay_alu instid0(VALU_DEP_2) | instskip(SKIP_1) | instid1(VALU_DEP_3)
	v_lshlrev_b32_e32 v28, 20, v28
	v_lshl_add_u32 v128, v128, 23, 0x3c000000
	v_and_b32_e32 v129, 0x80000000, v129
	s_delay_alu instid0(VALU_DEP_1)
	v_or3_b32 v28, v28, v129, v128
.LBB403_22:                             ;   in Loop: Header=BB403_13 Depth=1
	s_or_b32 exec_lo, exec_lo, s22
.LBB403_23:                             ;   in Loop: Header=BB403_13 Depth=1
	s_delay_alu instid0(SALU_CYCLE_1)
	s_or_b32 exec_lo, exec_lo, s21
.LBB403_24:                             ;   in Loop: Header=BB403_13 Depth=1
	s_delay_alu instid0(SALU_CYCLE_1) | instskip(SKIP_2) | instid1(VALU_DEP_1)
	s_or_b32 exec_lo, exec_lo, s20
	s_waitcnt vmcnt(0) lgkmcnt(5)
	v_mul_f32_e32 v28, v119, v28
	v_and_b32_e32 v128, 0x7f800000, v28
	s_delay_alu instid0(VALU_DEP_1) | instskip(NEXT) | instid1(VALU_DEP_1)
	v_cmp_ne_u32_e64 s2, 0x7f800000, v128
                                        ; implicit-def: $vgpr128
	s_and_saveexec_b32 s20, s2
	s_delay_alu instid0(SALU_CYCLE_1)
	s_xor_b32 s2, exec_lo, s20
; %bb.25:                               ;   in Loop: Header=BB403_13 Depth=1
	v_bfe_u32 v128, v28, 16, 1
	s_delay_alu instid0(VALU_DEP_1)
	v_add3_u32 v128, v28, v128, 0x7fff
                                        ; implicit-def: $vgpr28
; %bb.26:                               ;   in Loop: Header=BB403_13 Depth=1
	s_and_not1_saveexec_b32 s20, s2
; %bb.27:                               ;   in Loop: Header=BB403_13 Depth=1
	v_and_b32_e32 v128, 0xffff, v28
	v_or_b32_e32 v129, 0x10000, v28
	s_delay_alu instid0(VALU_DEP_2) | instskip(NEXT) | instid1(VALU_DEP_1)
	v_cmp_eq_u32_e64 s2, 0, v128
	v_cndmask_b32_e64 v128, v129, v28, s2
; %bb.28:                               ;   in Loop: Header=BB403_13 Depth=1
	s_or_b32 exec_lo, exec_lo, s20
	v_lshrrev_b16 v129, 8, v131
	v_mov_b32_e32 v28, 0
	s_mov_b32 s20, exec_lo
	s_delay_alu instid0(VALU_DEP_2)
	v_cmpx_ne_u16_e64 0, v129
	s_cbranch_execz .LBB403_36
; %bb.29:                               ;   in Loop: Header=BB403_13 Depth=1
	v_bfrev_b32_e32 v28, 1
	s_mov_b32 s21, exec_lo
	v_cmpx_ne_u16_e64 0x80, v129
	s_cbranch_execz .LBB403_35
; %bb.30:                               ;   in Loop: Header=BB403_13 Depth=1
	v_and_b32_e32 v129, 0xffff, v129
	v_mov_b32_e32 v28, 0x7f800001
	s_mov_b32 s22, exec_lo
	s_delay_alu instid0(VALU_DEP_2) | instskip(NEXT) | instid1(VALU_DEP_1)
	v_and_b32_e32 v130, 0x7f, v129
	v_cmpx_ne_u32_e32 0x7f, v130
	s_cbranch_execz .LBB403_34
; %bb.31:                               ;   in Loop: Header=BB403_13 Depth=1
	v_and_b32_e32 v28, 7, v129
	v_lshrrev_b32_e32 v129, 3, v130
	s_mov_b32 s23, exec_lo
	v_cmpx_gt_u32_e32 8, v130
; %bb.32:                               ;   in Loop: Header=BB403_13 Depth=1
	s_delay_alu instid0(VALU_DEP_3) | instskip(NEXT) | instid1(VALU_DEP_1)
	v_clz_i32_u32_e32 v129, v28
	v_min_u32_e32 v129, 32, v129
	s_delay_alu instid0(VALU_DEP_1) | instskip(SKIP_1) | instid1(VALU_DEP_2)
	v_subrev_nc_u32_e32 v130, 28, v129
	v_sub_nc_u32_e32 v129, 29, v129
	v_lshlrev_b64 v[132:133], v130, v[28:29]
	s_delay_alu instid0(VALU_DEP_1)
	v_and_b32_e32 v28, 7, v132
; %bb.33:                               ;   in Loop: Header=BB403_13 Depth=1
	s_or_b32 exec_lo, exec_lo, s23
	v_lshlrev_b32_e32 v130, 16, v131
	s_delay_alu instid0(VALU_DEP_2) | instskip(SKIP_1) | instid1(VALU_DEP_3)
	v_lshlrev_b32_e32 v28, 20, v28
	v_lshl_add_u32 v129, v129, 23, 0x3c000000
	v_and_b32_e32 v130, 0x80000000, v130
	s_delay_alu instid0(VALU_DEP_1)
	v_or3_b32 v28, v28, v130, v129
.LBB403_34:                             ;   in Loop: Header=BB403_13 Depth=1
	s_or_b32 exec_lo, exec_lo, s22
.LBB403_35:                             ;   in Loop: Header=BB403_13 Depth=1
	s_delay_alu instid0(SALU_CYCLE_1)
	s_or_b32 exec_lo, exec_lo, s21
.LBB403_36:                             ;   in Loop: Header=BB403_13 Depth=1
	s_delay_alu instid0(SALU_CYCLE_1) | instskip(NEXT) | instid1(VALU_DEP_1)
	s_or_b32 exec_lo, exec_lo, s20
	v_mul_f32_e32 v28, v119, v28
	s_delay_alu instid0(VALU_DEP_1) | instskip(NEXT) | instid1(VALU_DEP_1)
	v_and_b32_e32 v129, 0x7f800000, v28
	v_cmp_ne_u32_e64 s2, 0x7f800000, v129
                                        ; implicit-def: $vgpr129
	s_delay_alu instid0(VALU_DEP_1) | instskip(NEXT) | instid1(SALU_CYCLE_1)
	s_and_saveexec_b32 s20, s2
	s_xor_b32 s2, exec_lo, s20
; %bb.37:                               ;   in Loop: Header=BB403_13 Depth=1
	v_bfe_u32 v129, v28, 16, 1
	s_delay_alu instid0(VALU_DEP_1)
	v_add3_u32 v129, v28, v129, 0x7fff
                                        ; implicit-def: $vgpr28
; %bb.38:                               ;   in Loop: Header=BB403_13 Depth=1
	s_and_not1_saveexec_b32 s20, s2
; %bb.39:                               ;   in Loop: Header=BB403_13 Depth=1
	v_and_b32_e32 v129, 0xffff, v28
	v_or_b32_e32 v130, 0x10000, v28
	s_delay_alu instid0(VALU_DEP_2) | instskip(NEXT) | instid1(VALU_DEP_1)
	v_cmp_eq_u32_e64 s2, 0, v129
	v_cndmask_b32_e64 v129, v130, v28, s2
; %bb.40:                               ;   in Loop: Header=BB403_13 Depth=1
	s_or_b32 exec_lo, exec_lo, s20
	v_lshrrev_b32_e32 v130, 16, v131
	v_mov_b32_e32 v28, 0
	s_mov_b32 s20, exec_lo
	s_delay_alu instid0(VALU_DEP_2) | instskip(NEXT) | instid1(VALU_DEP_1)
	v_and_b32_e32 v132, 0xff, v130
	v_cmpx_ne_u16_e64 0, v132
	s_cbranch_execz .LBB403_48
; %bb.41:                               ;   in Loop: Header=BB403_13 Depth=1
	v_bfrev_b32_e32 v28, 1
	s_mov_b32 s21, exec_lo
	v_cmpx_ne_u16_e64 0x80, v132
	s_cbranch_execz .LBB403_47
; %bb.42:                               ;   in Loop: Header=BB403_13 Depth=1
	v_bfe_u32 v133, v131, 16, 7
	v_mov_b32_e32 v28, 0x7f800001
	s_mov_b32 s22, exec_lo
	s_delay_alu instid0(VALU_DEP_2)
	v_cmpx_ne_u32_e32 0x7f, v133
	s_cbranch_execz .LBB403_46
; %bb.43:                               ;   in Loop: Header=BB403_13 Depth=1
	v_and_b32_e32 v28, 7, v130
	v_lshrrev_b32_e32 v132, 3, v133
	s_mov_b32 s23, exec_lo
	v_cmpx_gt_u32_e32 8, v133
; %bb.44:                               ;   in Loop: Header=BB403_13 Depth=1
	s_delay_alu instid0(VALU_DEP_3) | instskip(NEXT) | instid1(VALU_DEP_1)
	v_clz_i32_u32_e32 v132, v28
	v_min_u32_e32 v132, 32, v132
	s_delay_alu instid0(VALU_DEP_1) | instskip(SKIP_1) | instid1(VALU_DEP_2)
	v_subrev_nc_u32_e32 v133, 28, v132
	v_sub_nc_u32_e32 v132, 29, v132
	v_lshlrev_b64 v[133:134], v133, v[28:29]
	s_delay_alu instid0(VALU_DEP_1)
	v_and_b32_e32 v28, 7, v133
; %bb.45:                               ;   in Loop: Header=BB403_13 Depth=1
	s_or_b32 exec_lo, exec_lo, s23
	v_lshlrev_b32_e32 v130, 24, v130
	s_delay_alu instid0(VALU_DEP_2) | instskip(SKIP_1) | instid1(VALU_DEP_3)
	v_lshlrev_b32_e32 v28, 20, v28
	v_lshl_add_u32 v132, v132, 23, 0x3c000000
	v_and_b32_e32 v130, 0x80000000, v130
	s_delay_alu instid0(VALU_DEP_1)
	v_or3_b32 v28, v28, v130, v132
.LBB403_46:                             ;   in Loop: Header=BB403_13 Depth=1
	s_or_b32 exec_lo, exec_lo, s22
.LBB403_47:                             ;   in Loop: Header=BB403_13 Depth=1
	s_delay_alu instid0(SALU_CYCLE_1)
	s_or_b32 exec_lo, exec_lo, s21
.LBB403_48:                             ;   in Loop: Header=BB403_13 Depth=1
	s_delay_alu instid0(SALU_CYCLE_1) | instskip(NEXT) | instid1(VALU_DEP_1)
	s_or_b32 exec_lo, exec_lo, s20
	v_mul_f32_e32 v28, v119, v28
	s_delay_alu instid0(VALU_DEP_1) | instskip(NEXT) | instid1(VALU_DEP_1)
	v_and_b32_e32 v130, 0x7f800000, v28
	v_cmp_ne_u32_e64 s2, 0x7f800000, v130
                                        ; implicit-def: $vgpr130
	s_delay_alu instid0(VALU_DEP_1) | instskip(NEXT) | instid1(SALU_CYCLE_1)
	s_and_saveexec_b32 s20, s2
	s_xor_b32 s2, exec_lo, s20
; %bb.49:                               ;   in Loop: Header=BB403_13 Depth=1
	v_bfe_u32 v130, v28, 16, 1
	s_delay_alu instid0(VALU_DEP_1)
	v_add3_u32 v130, v28, v130, 0x7fff
                                        ; implicit-def: $vgpr28
; %bb.50:                               ;   in Loop: Header=BB403_13 Depth=1
	s_and_not1_saveexec_b32 s20, s2
; %bb.51:                               ;   in Loop: Header=BB403_13 Depth=1
	v_and_b32_e32 v130, 0xffff, v28
	v_or_b32_e32 v132, 0x10000, v28
	s_delay_alu instid0(VALU_DEP_2) | instskip(NEXT) | instid1(VALU_DEP_1)
	v_cmp_eq_u32_e64 s2, 0, v130
	v_cndmask_b32_e64 v130, v132, v28, s2
; %bb.52:                               ;   in Loop: Header=BB403_13 Depth=1
	s_or_b32 exec_lo, exec_lo, s20
	v_mov_b32_e32 v28, 0
	s_mov_b32 s20, exec_lo
	v_cmpx_lt_u32_e32 0xffffff, v131
	s_cbranch_execz .LBB403_60
; %bb.53:                               ;   in Loop: Header=BB403_13 Depth=1
	v_lshrrev_b32_e32 v132, 24, v131
	v_bfrev_b32_e32 v28, 1
	s_mov_b32 s21, exec_lo
	s_delay_alu instid0(VALU_DEP_2)
	v_cmpx_ne_u32_e32 0x80, v132
	s_cbranch_execz .LBB403_59
; %bb.54:                               ;   in Loop: Header=BB403_13 Depth=1
	v_bfe_u32 v133, v131, 24, 7
	v_mov_b32_e32 v28, 0x7f800001
	s_mov_b32 s22, exec_lo
	s_delay_alu instid0(VALU_DEP_2)
	v_cmpx_ne_u32_e32 0x7f, v133
	s_cbranch_execz .LBB403_58
; %bb.55:                               ;   in Loop: Header=BB403_13 Depth=1
	v_and_b32_e32 v28, 7, v132
	v_lshrrev_b32_e32 v131, 3, v133
	s_mov_b32 s23, exec_lo
	v_cmpx_gt_u32_e32 8, v133
; %bb.56:                               ;   in Loop: Header=BB403_13 Depth=1
	s_delay_alu instid0(VALU_DEP_3) | instskip(NEXT) | instid1(VALU_DEP_1)
	v_clz_i32_u32_e32 v131, v28
	v_min_u32_e32 v131, 32, v131
	s_delay_alu instid0(VALU_DEP_1) | instskip(SKIP_1) | instid1(VALU_DEP_2)
	v_subrev_nc_u32_e32 v133, 28, v131
	v_sub_nc_u32_e32 v131, 29, v131
	v_lshlrev_b64 v[133:134], v133, v[28:29]
	s_delay_alu instid0(VALU_DEP_1)
	v_and_b32_e32 v28, 7, v133
; %bb.57:                               ;   in Loop: Header=BB403_13 Depth=1
	s_or_b32 exec_lo, exec_lo, s23
	v_lshlrev_b32_e32 v132, 24, v132
	s_delay_alu instid0(VALU_DEP_2) | instskip(SKIP_1) | instid1(VALU_DEP_3)
	v_lshlrev_b32_e32 v28, 20, v28
	v_lshl_add_u32 v131, v131, 23, 0x3c000000
	v_and_b32_e32 v132, 0x80000000, v132
	s_delay_alu instid0(VALU_DEP_1)
	v_or3_b32 v28, v28, v132, v131
.LBB403_58:                             ;   in Loop: Header=BB403_13 Depth=1
	s_or_b32 exec_lo, exec_lo, s22
.LBB403_59:                             ;   in Loop: Header=BB403_13 Depth=1
	s_delay_alu instid0(SALU_CYCLE_1)
	s_or_b32 exec_lo, exec_lo, s21
.LBB403_60:                             ;   in Loop: Header=BB403_13 Depth=1
	s_delay_alu instid0(SALU_CYCLE_1) | instskip(NEXT) | instid1(VALU_DEP_1)
	s_or_b32 exec_lo, exec_lo, s20
	v_mul_f32_e32 v28, v119, v28
	s_delay_alu instid0(VALU_DEP_1) | instskip(NEXT) | instid1(VALU_DEP_1)
	v_and_b32_e32 v131, 0x7f800000, v28
	v_cmp_ne_u32_e64 s2, 0x7f800000, v131
                                        ; implicit-def: $vgpr131
	s_delay_alu instid0(VALU_DEP_1) | instskip(NEXT) | instid1(SALU_CYCLE_1)
	s_and_saveexec_b32 s20, s2
	s_xor_b32 s2, exec_lo, s20
; %bb.61:                               ;   in Loop: Header=BB403_13 Depth=1
	v_bfe_u32 v131, v28, 16, 1
	s_delay_alu instid0(VALU_DEP_1)
	v_add3_u32 v131, v28, v131, 0x7fff
                                        ; implicit-def: $vgpr28
; %bb.62:                               ;   in Loop: Header=BB403_13 Depth=1
	s_and_not1_saveexec_b32 s20, s2
; %bb.63:                               ;   in Loop: Header=BB403_13 Depth=1
	v_and_b32_e32 v131, 0xffff, v28
	v_or_b32_e32 v132, 0x10000, v28
	s_delay_alu instid0(VALU_DEP_2) | instskip(NEXT) | instid1(VALU_DEP_1)
	v_cmp_eq_u32_e64 s2, 0, v131
	v_cndmask_b32_e64 v131, v132, v28, s2
; %bb.64:                               ;   in Loop: Header=BB403_13 Depth=1
	s_or_b32 exec_lo, exec_lo, s20
	flat_load_b32 v135, v[68:69] offset:8
	v_mov_b32_e32 v28, 0
	s_mov_b32 s20, exec_lo
	s_waitcnt vmcnt(0) lgkmcnt(0)
	v_and_b32_e32 v132, 0xff, v135
	s_delay_alu instid0(VALU_DEP_1)
	v_cmpx_ne_u16_e64 0, v132
	s_cbranch_execz .LBB403_72
; %bb.65:                               ;   in Loop: Header=BB403_13 Depth=1
	v_bfrev_b32_e32 v28, 1
	s_mov_b32 s21, exec_lo
	v_cmpx_ne_u16_e64 0x80, v132
	s_cbranch_execz .LBB403_71
; %bb.66:                               ;   in Loop: Header=BB403_13 Depth=1
	v_and_b32_e32 v133, 0x7f, v135
	v_mov_b32_e32 v28, 0x7f800001
	s_mov_b32 s22, exec_lo
	s_delay_alu instid0(VALU_DEP_2)
	v_cmpx_ne_u32_e32 0x7f, v133
	s_cbranch_execz .LBB403_70
; %bb.67:                               ;   in Loop: Header=BB403_13 Depth=1
	v_and_b32_e32 v28, 7, v135
	v_lshrrev_b32_e32 v132, 3, v133
	s_mov_b32 s23, exec_lo
	v_cmpx_gt_u32_e32 8, v133
; %bb.68:                               ;   in Loop: Header=BB403_13 Depth=1
	s_delay_alu instid0(VALU_DEP_3) | instskip(NEXT) | instid1(VALU_DEP_1)
	v_clz_i32_u32_e32 v132, v28
	v_min_u32_e32 v132, 32, v132
	s_delay_alu instid0(VALU_DEP_1) | instskip(SKIP_1) | instid1(VALU_DEP_2)
	v_subrev_nc_u32_e32 v133, 28, v132
	v_sub_nc_u32_e32 v132, 29, v132
	v_lshlrev_b64 v[133:134], v133, v[28:29]
	s_delay_alu instid0(VALU_DEP_1)
	v_and_b32_e32 v28, 7, v133
; %bb.69:                               ;   in Loop: Header=BB403_13 Depth=1
	s_or_b32 exec_lo, exec_lo, s23
	v_lshlrev_b32_e32 v133, 24, v135
	s_delay_alu instid0(VALU_DEP_2) | instskip(SKIP_1) | instid1(VALU_DEP_3)
	v_lshlrev_b32_e32 v28, 20, v28
	v_lshl_add_u32 v132, v132, 23, 0x3c000000
	v_and_b32_e32 v133, 0x80000000, v133
	s_delay_alu instid0(VALU_DEP_1)
	v_or3_b32 v28, v28, v133, v132
.LBB403_70:                             ;   in Loop: Header=BB403_13 Depth=1
	s_or_b32 exec_lo, exec_lo, s22
.LBB403_71:                             ;   in Loop: Header=BB403_13 Depth=1
	s_delay_alu instid0(SALU_CYCLE_1)
	s_or_b32 exec_lo, exec_lo, s21
.LBB403_72:                             ;   in Loop: Header=BB403_13 Depth=1
	s_delay_alu instid0(SALU_CYCLE_1) | instskip(NEXT) | instid1(VALU_DEP_1)
	s_or_b32 exec_lo, exec_lo, s20
	v_mul_f32_e32 v28, v119, v28
	s_delay_alu instid0(VALU_DEP_1) | instskip(NEXT) | instid1(VALU_DEP_1)
	v_and_b32_e32 v132, 0x7f800000, v28
	v_cmp_ne_u32_e64 s2, 0x7f800000, v132
                                        ; implicit-def: $vgpr132
	s_delay_alu instid0(VALU_DEP_1) | instskip(NEXT) | instid1(SALU_CYCLE_1)
	s_and_saveexec_b32 s20, s2
	s_xor_b32 s2, exec_lo, s20
; %bb.73:                               ;   in Loop: Header=BB403_13 Depth=1
	v_bfe_u32 v132, v28, 16, 1
	s_delay_alu instid0(VALU_DEP_1)
	v_add3_u32 v132, v28, v132, 0x7fff
                                        ; implicit-def: $vgpr28
; %bb.74:                               ;   in Loop: Header=BB403_13 Depth=1
	s_and_not1_saveexec_b32 s20, s2
; %bb.75:                               ;   in Loop: Header=BB403_13 Depth=1
	v_and_b32_e32 v132, 0xffff, v28
	v_or_b32_e32 v133, 0x10000, v28
	s_delay_alu instid0(VALU_DEP_2) | instskip(NEXT) | instid1(VALU_DEP_1)
	v_cmp_eq_u32_e64 s2, 0, v132
	v_cndmask_b32_e64 v132, v133, v28, s2
; %bb.76:                               ;   in Loop: Header=BB403_13 Depth=1
	s_or_b32 exec_lo, exec_lo, s20
	v_lshrrev_b16 v133, 8, v135
	v_mov_b32_e32 v28, 0
	s_mov_b32 s20, exec_lo
	s_delay_alu instid0(VALU_DEP_2)
	v_cmpx_ne_u16_e64 0, v133
	s_cbranch_execz .LBB403_84
; %bb.77:                               ;   in Loop: Header=BB403_13 Depth=1
	v_bfrev_b32_e32 v28, 1
	s_mov_b32 s21, exec_lo
	v_cmpx_ne_u16_e64 0x80, v133
	s_cbranch_execz .LBB403_83
; %bb.78:                               ;   in Loop: Header=BB403_13 Depth=1
	v_and_b32_e32 v133, 0xffff, v133
	v_mov_b32_e32 v28, 0x7f800001
	s_mov_b32 s22, exec_lo
	s_delay_alu instid0(VALU_DEP_2) | instskip(NEXT) | instid1(VALU_DEP_1)
	v_and_b32_e32 v134, 0x7f, v133
	v_cmpx_ne_u32_e32 0x7f, v134
	s_cbranch_execz .LBB403_82
; %bb.79:                               ;   in Loop: Header=BB403_13 Depth=1
	v_and_b32_e32 v28, 7, v133
	v_lshrrev_b32_e32 v133, 3, v134
	s_mov_b32 s23, exec_lo
	v_cmpx_gt_u32_e32 8, v134
; %bb.80:                               ;   in Loop: Header=BB403_13 Depth=1
	s_delay_alu instid0(VALU_DEP_3) | instskip(NEXT) | instid1(VALU_DEP_1)
	v_clz_i32_u32_e32 v133, v28
	v_min_u32_e32 v133, 32, v133
	s_delay_alu instid0(VALU_DEP_1) | instskip(SKIP_1) | instid1(VALU_DEP_2)
	v_subrev_nc_u32_e32 v134, 28, v133
	v_sub_nc_u32_e32 v133, 29, v133
	v_lshlrev_b64 v[144:145], v134, v[28:29]
	s_delay_alu instid0(VALU_DEP_1)
	v_and_b32_e32 v28, 7, v144
; %bb.81:                               ;   in Loop: Header=BB403_13 Depth=1
	s_or_b32 exec_lo, exec_lo, s23
	v_lshlrev_b32_e32 v134, 16, v135
	s_delay_alu instid0(VALU_DEP_2) | instskip(SKIP_1) | instid1(VALU_DEP_3)
	v_lshlrev_b32_e32 v28, 20, v28
	v_lshl_add_u32 v133, v133, 23, 0x3c000000
	v_and_b32_e32 v134, 0x80000000, v134
	s_delay_alu instid0(VALU_DEP_1)
	v_or3_b32 v28, v28, v134, v133
.LBB403_82:                             ;   in Loop: Header=BB403_13 Depth=1
	s_or_b32 exec_lo, exec_lo, s22
.LBB403_83:                             ;   in Loop: Header=BB403_13 Depth=1
	s_delay_alu instid0(SALU_CYCLE_1)
	s_or_b32 exec_lo, exec_lo, s21
.LBB403_84:                             ;   in Loop: Header=BB403_13 Depth=1
	s_delay_alu instid0(SALU_CYCLE_1) | instskip(NEXT) | instid1(VALU_DEP_1)
	s_or_b32 exec_lo, exec_lo, s20
	v_mul_f32_e32 v28, v119, v28
	s_delay_alu instid0(VALU_DEP_1) | instskip(NEXT) | instid1(VALU_DEP_1)
	v_and_b32_e32 v133, 0x7f800000, v28
	v_cmp_ne_u32_e64 s2, 0x7f800000, v133
                                        ; implicit-def: $vgpr133
	s_delay_alu instid0(VALU_DEP_1) | instskip(NEXT) | instid1(SALU_CYCLE_1)
	s_and_saveexec_b32 s20, s2
	s_xor_b32 s2, exec_lo, s20
; %bb.85:                               ;   in Loop: Header=BB403_13 Depth=1
	v_bfe_u32 v133, v28, 16, 1
	s_delay_alu instid0(VALU_DEP_1)
	v_add3_u32 v133, v28, v133, 0x7fff
                                        ; implicit-def: $vgpr28
; %bb.86:                               ;   in Loop: Header=BB403_13 Depth=1
	s_and_not1_saveexec_b32 s20, s2
; %bb.87:                               ;   in Loop: Header=BB403_13 Depth=1
	v_and_b32_e32 v133, 0xffff, v28
	v_or_b32_e32 v134, 0x10000, v28
	s_delay_alu instid0(VALU_DEP_2) | instskip(NEXT) | instid1(VALU_DEP_1)
	v_cmp_eq_u32_e64 s2, 0, v133
	v_cndmask_b32_e64 v133, v134, v28, s2
; %bb.88:                               ;   in Loop: Header=BB403_13 Depth=1
	s_or_b32 exec_lo, exec_lo, s20
	v_lshrrev_b32_e32 v134, 16, v135
	v_mov_b32_e32 v28, 0
	s_mov_b32 s20, exec_lo
	s_delay_alu instid0(VALU_DEP_2) | instskip(NEXT) | instid1(VALU_DEP_1)
	v_and_b32_e32 v144, 0xff, v134
	v_cmpx_ne_u16_e64 0, v144
	s_cbranch_execz .LBB403_96
; %bb.89:                               ;   in Loop: Header=BB403_13 Depth=1
	v_bfrev_b32_e32 v28, 1
	s_mov_b32 s21, exec_lo
	v_cmpx_ne_u16_e64 0x80, v144
	s_cbranch_execz .LBB403_95
; %bb.90:                               ;   in Loop: Header=BB403_13 Depth=1
	v_bfe_u32 v145, v135, 16, 7
	v_mov_b32_e32 v28, 0x7f800001
	s_mov_b32 s22, exec_lo
	s_delay_alu instid0(VALU_DEP_2)
	v_cmpx_ne_u32_e32 0x7f, v145
	s_cbranch_execz .LBB403_94
; %bb.91:                               ;   in Loop: Header=BB403_13 Depth=1
	v_and_b32_e32 v28, 7, v134
	v_lshrrev_b32_e32 v144, 3, v145
	s_mov_b32 s23, exec_lo
	v_cmpx_gt_u32_e32 8, v145
; %bb.92:                               ;   in Loop: Header=BB403_13 Depth=1
	s_delay_alu instid0(VALU_DEP_3) | instskip(NEXT) | instid1(VALU_DEP_1)
	v_clz_i32_u32_e32 v144, v28
	v_min_u32_e32 v144, 32, v144
	s_delay_alu instid0(VALU_DEP_1) | instskip(SKIP_1) | instid1(VALU_DEP_2)
	v_subrev_nc_u32_e32 v145, 28, v144
	v_sub_nc_u32_e32 v144, 29, v144
	v_lshlrev_b64 v[145:146], v145, v[28:29]
	s_delay_alu instid0(VALU_DEP_1)
	v_and_b32_e32 v28, 7, v145
; %bb.93:                               ;   in Loop: Header=BB403_13 Depth=1
	s_or_b32 exec_lo, exec_lo, s23
	v_lshlrev_b32_e32 v134, 24, v134
	s_delay_alu instid0(VALU_DEP_2) | instskip(SKIP_1) | instid1(VALU_DEP_3)
	v_lshlrev_b32_e32 v28, 20, v28
	v_lshl_add_u32 v144, v144, 23, 0x3c000000
	v_and_b32_e32 v134, 0x80000000, v134
	s_delay_alu instid0(VALU_DEP_1)
	v_or3_b32 v28, v28, v134, v144
.LBB403_94:                             ;   in Loop: Header=BB403_13 Depth=1
	s_or_b32 exec_lo, exec_lo, s22
.LBB403_95:                             ;   in Loop: Header=BB403_13 Depth=1
	s_delay_alu instid0(SALU_CYCLE_1)
	s_or_b32 exec_lo, exec_lo, s21
.LBB403_96:                             ;   in Loop: Header=BB403_13 Depth=1
	s_delay_alu instid0(SALU_CYCLE_1) | instskip(NEXT) | instid1(VALU_DEP_1)
	s_or_b32 exec_lo, exec_lo, s20
	v_mul_f32_e32 v28, v119, v28
	s_delay_alu instid0(VALU_DEP_1) | instskip(NEXT) | instid1(VALU_DEP_1)
	v_and_b32_e32 v134, 0x7f800000, v28
	v_cmp_ne_u32_e64 s2, 0x7f800000, v134
                                        ; implicit-def: $vgpr134
	s_delay_alu instid0(VALU_DEP_1) | instskip(NEXT) | instid1(SALU_CYCLE_1)
	s_and_saveexec_b32 s20, s2
	s_xor_b32 s2, exec_lo, s20
; %bb.97:                               ;   in Loop: Header=BB403_13 Depth=1
	v_bfe_u32 v134, v28, 16, 1
	s_delay_alu instid0(VALU_DEP_1)
	v_add3_u32 v134, v28, v134, 0x7fff
                                        ; implicit-def: $vgpr28
; %bb.98:                               ;   in Loop: Header=BB403_13 Depth=1
	s_and_not1_saveexec_b32 s20, s2
; %bb.99:                               ;   in Loop: Header=BB403_13 Depth=1
	v_and_b32_e32 v134, 0xffff, v28
	v_or_b32_e32 v144, 0x10000, v28
	s_delay_alu instid0(VALU_DEP_2) | instskip(NEXT) | instid1(VALU_DEP_1)
	v_cmp_eq_u32_e64 s2, 0, v134
	v_cndmask_b32_e64 v134, v144, v28, s2
; %bb.100:                              ;   in Loop: Header=BB403_13 Depth=1
	s_or_b32 exec_lo, exec_lo, s20
	v_mov_b32_e32 v28, 0
	s_mov_b32 s20, exec_lo
	v_cmpx_lt_u32_e32 0xffffff, v135
	s_cbranch_execz .LBB403_108
; %bb.101:                              ;   in Loop: Header=BB403_13 Depth=1
	v_lshrrev_b32_e32 v144, 24, v135
	v_bfrev_b32_e32 v28, 1
	s_mov_b32 s21, exec_lo
	s_delay_alu instid0(VALU_DEP_2)
	v_cmpx_ne_u32_e32 0x80, v144
	s_cbranch_execz .LBB403_107
; %bb.102:                              ;   in Loop: Header=BB403_13 Depth=1
	v_bfe_u32 v145, v135, 24, 7
	v_mov_b32_e32 v28, 0x7f800001
	s_mov_b32 s22, exec_lo
	s_delay_alu instid0(VALU_DEP_2)
	v_cmpx_ne_u32_e32 0x7f, v145
	s_cbranch_execz .LBB403_106
; %bb.103:                              ;   in Loop: Header=BB403_13 Depth=1
	v_and_b32_e32 v28, 7, v144
	v_lshrrev_b32_e32 v135, 3, v145
	s_mov_b32 s23, exec_lo
	v_cmpx_gt_u32_e32 8, v145
; %bb.104:                              ;   in Loop: Header=BB403_13 Depth=1
	s_delay_alu instid0(VALU_DEP_3) | instskip(NEXT) | instid1(VALU_DEP_1)
	v_clz_i32_u32_e32 v135, v28
	v_min_u32_e32 v135, 32, v135
	s_delay_alu instid0(VALU_DEP_1) | instskip(SKIP_1) | instid1(VALU_DEP_2)
	v_subrev_nc_u32_e32 v145, 28, v135
	v_sub_nc_u32_e32 v135, 29, v135
	v_lshlrev_b64 v[145:146], v145, v[28:29]
	s_delay_alu instid0(VALU_DEP_1)
	v_and_b32_e32 v28, 7, v145
; %bb.105:                              ;   in Loop: Header=BB403_13 Depth=1
	s_or_b32 exec_lo, exec_lo, s23
	v_lshlrev_b32_e32 v144, 24, v144
	s_delay_alu instid0(VALU_DEP_2) | instskip(SKIP_1) | instid1(VALU_DEP_3)
	v_lshlrev_b32_e32 v28, 20, v28
	v_lshl_add_u32 v135, v135, 23, 0x3c000000
	v_and_b32_e32 v144, 0x80000000, v144
	s_delay_alu instid0(VALU_DEP_1)
	v_or3_b32 v28, v28, v144, v135
.LBB403_106:                            ;   in Loop: Header=BB403_13 Depth=1
	s_or_b32 exec_lo, exec_lo, s22
.LBB403_107:                            ;   in Loop: Header=BB403_13 Depth=1
	s_delay_alu instid0(SALU_CYCLE_1)
	s_or_b32 exec_lo, exec_lo, s21
.LBB403_108:                            ;   in Loop: Header=BB403_13 Depth=1
	s_delay_alu instid0(SALU_CYCLE_1) | instskip(NEXT) | instid1(VALU_DEP_1)
	s_or_b32 exec_lo, exec_lo, s20
	v_mul_f32_e32 v28, v119, v28
	s_delay_alu instid0(VALU_DEP_1) | instskip(NEXT) | instid1(VALU_DEP_1)
	v_and_b32_e32 v135, 0x7f800000, v28
	v_cmp_ne_u32_e64 s2, 0x7f800000, v135
                                        ; implicit-def: $vgpr135
	s_delay_alu instid0(VALU_DEP_1) | instskip(NEXT) | instid1(SALU_CYCLE_1)
	s_and_saveexec_b32 s20, s2
	s_xor_b32 s2, exec_lo, s20
; %bb.109:                              ;   in Loop: Header=BB403_13 Depth=1
	v_bfe_u32 v135, v28, 16, 1
	s_delay_alu instid0(VALU_DEP_1)
	v_add3_u32 v135, v28, v135, 0x7fff
                                        ; implicit-def: $vgpr28
; %bb.110:                              ;   in Loop: Header=BB403_13 Depth=1
	s_and_not1_saveexec_b32 s20, s2
; %bb.111:                              ;   in Loop: Header=BB403_13 Depth=1
	v_and_b32_e32 v135, 0xffff, v28
	v_or_b32_e32 v144, 0x10000, v28
	s_delay_alu instid0(VALU_DEP_2) | instskip(NEXT) | instid1(VALU_DEP_1)
	v_cmp_eq_u32_e64 s2, 0, v135
	v_cndmask_b32_e64 v135, v144, v28, s2
; %bb.112:                              ;   in Loop: Header=BB403_13 Depth=1
	s_or_b32 exec_lo, exec_lo, s20
	flat_load_b32 v147, v[68:69] offset:256
	v_mov_b32_e32 v28, 0
	s_mov_b32 s20, exec_lo
	s_waitcnt vmcnt(0) lgkmcnt(0)
	v_and_b32_e32 v144, 0xff, v147
	s_delay_alu instid0(VALU_DEP_1)
	v_cmpx_ne_u16_e64 0, v144
	s_cbranch_execz .LBB403_120
; %bb.113:                              ;   in Loop: Header=BB403_13 Depth=1
	v_bfrev_b32_e32 v28, 1
	s_mov_b32 s21, exec_lo
	v_cmpx_ne_u16_e64 0x80, v144
	s_cbranch_execz .LBB403_119
; %bb.114:                              ;   in Loop: Header=BB403_13 Depth=1
	v_and_b32_e32 v145, 0x7f, v147
	v_mov_b32_e32 v28, 0x7f800001
	s_mov_b32 s22, exec_lo
	s_delay_alu instid0(VALU_DEP_2)
	v_cmpx_ne_u32_e32 0x7f, v145
	s_cbranch_execz .LBB403_118
; %bb.115:                              ;   in Loop: Header=BB403_13 Depth=1
	v_and_b32_e32 v28, 7, v147
	v_lshrrev_b32_e32 v144, 3, v145
	s_mov_b32 s23, exec_lo
	v_cmpx_gt_u32_e32 8, v145
; %bb.116:                              ;   in Loop: Header=BB403_13 Depth=1
	s_delay_alu instid0(VALU_DEP_3) | instskip(NEXT) | instid1(VALU_DEP_1)
	v_clz_i32_u32_e32 v144, v28
	v_min_u32_e32 v144, 32, v144
	s_delay_alu instid0(VALU_DEP_1) | instskip(SKIP_1) | instid1(VALU_DEP_2)
	v_subrev_nc_u32_e32 v145, 28, v144
	v_sub_nc_u32_e32 v144, 29, v144
	v_lshlrev_b64 v[145:146], v145, v[28:29]
	s_delay_alu instid0(VALU_DEP_1)
	v_and_b32_e32 v28, 7, v145
; %bb.117:                              ;   in Loop: Header=BB403_13 Depth=1
	s_or_b32 exec_lo, exec_lo, s23
	v_lshlrev_b32_e32 v145, 24, v147
	s_delay_alu instid0(VALU_DEP_2) | instskip(SKIP_1) | instid1(VALU_DEP_3)
	v_lshlrev_b32_e32 v28, 20, v28
	v_lshl_add_u32 v144, v144, 23, 0x3c000000
	v_and_b32_e32 v145, 0x80000000, v145
	s_delay_alu instid0(VALU_DEP_1)
	v_or3_b32 v28, v28, v145, v144
.LBB403_118:                            ;   in Loop: Header=BB403_13 Depth=1
	s_or_b32 exec_lo, exec_lo, s22
.LBB403_119:                            ;   in Loop: Header=BB403_13 Depth=1
	s_delay_alu instid0(SALU_CYCLE_1)
	s_or_b32 exec_lo, exec_lo, s21
.LBB403_120:                            ;   in Loop: Header=BB403_13 Depth=1
	s_delay_alu instid0(SALU_CYCLE_1) | instskip(NEXT) | instid1(VALU_DEP_1)
	s_or_b32 exec_lo, exec_lo, s20
	v_mul_f32_e32 v28, v119, v28
	s_delay_alu instid0(VALU_DEP_1) | instskip(NEXT) | instid1(VALU_DEP_1)
	v_and_b32_e32 v144, 0x7f800000, v28
	v_cmp_ne_u32_e64 s2, 0x7f800000, v144
                                        ; implicit-def: $vgpr144
	s_delay_alu instid0(VALU_DEP_1) | instskip(NEXT) | instid1(SALU_CYCLE_1)
	s_and_saveexec_b32 s20, s2
	s_xor_b32 s2, exec_lo, s20
; %bb.121:                              ;   in Loop: Header=BB403_13 Depth=1
	v_bfe_u32 v144, v28, 16, 1
	s_delay_alu instid0(VALU_DEP_1)
	v_add3_u32 v144, v28, v144, 0x7fff
                                        ; implicit-def: $vgpr28
; %bb.122:                              ;   in Loop: Header=BB403_13 Depth=1
	s_and_not1_saveexec_b32 s20, s2
; %bb.123:                              ;   in Loop: Header=BB403_13 Depth=1
	v_and_b32_e32 v144, 0xffff, v28
	v_or_b32_e32 v145, 0x10000, v28
	s_delay_alu instid0(VALU_DEP_2) | instskip(NEXT) | instid1(VALU_DEP_1)
	v_cmp_eq_u32_e64 s2, 0, v144
	v_cndmask_b32_e64 v144, v145, v28, s2
; %bb.124:                              ;   in Loop: Header=BB403_13 Depth=1
	s_or_b32 exec_lo, exec_lo, s20
	v_lshrrev_b16 v145, 8, v147
	v_mov_b32_e32 v28, 0
	s_mov_b32 s20, exec_lo
	s_delay_alu instid0(VALU_DEP_2)
	v_cmpx_ne_u16_e64 0, v145
	s_cbranch_execz .LBB403_132
; %bb.125:                              ;   in Loop: Header=BB403_13 Depth=1
	v_bfrev_b32_e32 v28, 1
	s_mov_b32 s21, exec_lo
	v_cmpx_ne_u16_e64 0x80, v145
	s_cbranch_execz .LBB403_131
; %bb.126:                              ;   in Loop: Header=BB403_13 Depth=1
	v_and_b32_e32 v145, 0xffff, v145
	v_mov_b32_e32 v28, 0x7f800001
	s_mov_b32 s22, exec_lo
	s_delay_alu instid0(VALU_DEP_2) | instskip(NEXT) | instid1(VALU_DEP_1)
	v_and_b32_e32 v146, 0x7f, v145
	v_cmpx_ne_u32_e32 0x7f, v146
	s_cbranch_execz .LBB403_130
; %bb.127:                              ;   in Loop: Header=BB403_13 Depth=1
	v_and_b32_e32 v28, 7, v145
	v_lshrrev_b32_e32 v145, 3, v146
	s_mov_b32 s23, exec_lo
	v_cmpx_gt_u32_e32 8, v146
; %bb.128:                              ;   in Loop: Header=BB403_13 Depth=1
	s_delay_alu instid0(VALU_DEP_3) | instskip(NEXT) | instid1(VALU_DEP_1)
	v_clz_i32_u32_e32 v145, v28
	v_min_u32_e32 v145, 32, v145
	s_delay_alu instid0(VALU_DEP_1) | instskip(SKIP_1) | instid1(VALU_DEP_2)
	v_subrev_nc_u32_e32 v146, 28, v145
	v_sub_nc_u32_e32 v145, 29, v145
	v_lshlrev_b64 v[148:149], v146, v[28:29]
	s_delay_alu instid0(VALU_DEP_1)
	v_and_b32_e32 v28, 7, v148
; %bb.129:                              ;   in Loop: Header=BB403_13 Depth=1
	s_or_b32 exec_lo, exec_lo, s23
	v_lshlrev_b32_e32 v146, 16, v147
	s_delay_alu instid0(VALU_DEP_2) | instskip(SKIP_1) | instid1(VALU_DEP_3)
	v_lshlrev_b32_e32 v28, 20, v28
	v_lshl_add_u32 v145, v145, 23, 0x3c000000
	v_and_b32_e32 v146, 0x80000000, v146
	s_delay_alu instid0(VALU_DEP_1)
	v_or3_b32 v28, v28, v146, v145
.LBB403_130:                            ;   in Loop: Header=BB403_13 Depth=1
	s_or_b32 exec_lo, exec_lo, s22
.LBB403_131:                            ;   in Loop: Header=BB403_13 Depth=1
	s_delay_alu instid0(SALU_CYCLE_1)
	s_or_b32 exec_lo, exec_lo, s21
.LBB403_132:                            ;   in Loop: Header=BB403_13 Depth=1
	s_delay_alu instid0(SALU_CYCLE_1) | instskip(NEXT) | instid1(VALU_DEP_1)
	s_or_b32 exec_lo, exec_lo, s20
	v_mul_f32_e32 v28, v119, v28
	s_delay_alu instid0(VALU_DEP_1) | instskip(NEXT) | instid1(VALU_DEP_1)
	v_and_b32_e32 v145, 0x7f800000, v28
	v_cmp_ne_u32_e64 s2, 0x7f800000, v145
                                        ; implicit-def: $vgpr145
	s_delay_alu instid0(VALU_DEP_1) | instskip(NEXT) | instid1(SALU_CYCLE_1)
	s_and_saveexec_b32 s20, s2
	s_xor_b32 s2, exec_lo, s20
; %bb.133:                              ;   in Loop: Header=BB403_13 Depth=1
	v_bfe_u32 v145, v28, 16, 1
	s_delay_alu instid0(VALU_DEP_1)
	v_add3_u32 v145, v28, v145, 0x7fff
                                        ; implicit-def: $vgpr28
; %bb.134:                              ;   in Loop: Header=BB403_13 Depth=1
	s_and_not1_saveexec_b32 s20, s2
; %bb.135:                              ;   in Loop: Header=BB403_13 Depth=1
	v_and_b32_e32 v145, 0xffff, v28
	v_or_b32_e32 v146, 0x10000, v28
	s_delay_alu instid0(VALU_DEP_2) | instskip(NEXT) | instid1(VALU_DEP_1)
	v_cmp_eq_u32_e64 s2, 0, v145
	v_cndmask_b32_e64 v145, v146, v28, s2
; %bb.136:                              ;   in Loop: Header=BB403_13 Depth=1
	s_or_b32 exec_lo, exec_lo, s20
	v_lshrrev_b32_e32 v146, 16, v147
	v_mov_b32_e32 v28, 0
	s_mov_b32 s20, exec_lo
	s_delay_alu instid0(VALU_DEP_2) | instskip(NEXT) | instid1(VALU_DEP_1)
	v_and_b32_e32 v148, 0xff, v146
	v_cmpx_ne_u16_e64 0, v148
	s_cbranch_execz .LBB403_144
; %bb.137:                              ;   in Loop: Header=BB403_13 Depth=1
	v_bfrev_b32_e32 v28, 1
	s_mov_b32 s21, exec_lo
	v_cmpx_ne_u16_e64 0x80, v148
	s_cbranch_execz .LBB403_143
; %bb.138:                              ;   in Loop: Header=BB403_13 Depth=1
	v_bfe_u32 v149, v147, 16, 7
	v_mov_b32_e32 v28, 0x7f800001
	s_mov_b32 s22, exec_lo
	s_delay_alu instid0(VALU_DEP_2)
	v_cmpx_ne_u32_e32 0x7f, v149
	s_cbranch_execz .LBB403_142
; %bb.139:                              ;   in Loop: Header=BB403_13 Depth=1
	v_and_b32_e32 v28, 7, v146
	v_lshrrev_b32_e32 v148, 3, v149
	s_mov_b32 s23, exec_lo
	v_cmpx_gt_u32_e32 8, v149
; %bb.140:                              ;   in Loop: Header=BB403_13 Depth=1
	s_delay_alu instid0(VALU_DEP_3) | instskip(NEXT) | instid1(VALU_DEP_1)
	v_clz_i32_u32_e32 v148, v28
	v_min_u32_e32 v148, 32, v148
	s_delay_alu instid0(VALU_DEP_1) | instskip(SKIP_1) | instid1(VALU_DEP_2)
	v_subrev_nc_u32_e32 v149, 28, v148
	v_sub_nc_u32_e32 v148, 29, v148
	v_lshlrev_b64 v[149:150], v149, v[28:29]
	s_delay_alu instid0(VALU_DEP_1)
	v_and_b32_e32 v28, 7, v149
; %bb.141:                              ;   in Loop: Header=BB403_13 Depth=1
	s_or_b32 exec_lo, exec_lo, s23
	v_lshlrev_b32_e32 v146, 24, v146
	s_delay_alu instid0(VALU_DEP_2) | instskip(SKIP_1) | instid1(VALU_DEP_3)
	v_lshlrev_b32_e32 v28, 20, v28
	v_lshl_add_u32 v148, v148, 23, 0x3c000000
	v_and_b32_e32 v146, 0x80000000, v146
	s_delay_alu instid0(VALU_DEP_1)
	v_or3_b32 v28, v28, v146, v148
.LBB403_142:                            ;   in Loop: Header=BB403_13 Depth=1
	s_or_b32 exec_lo, exec_lo, s22
.LBB403_143:                            ;   in Loop: Header=BB403_13 Depth=1
	s_delay_alu instid0(SALU_CYCLE_1)
	s_or_b32 exec_lo, exec_lo, s21
.LBB403_144:                            ;   in Loop: Header=BB403_13 Depth=1
	s_delay_alu instid0(SALU_CYCLE_1) | instskip(NEXT) | instid1(VALU_DEP_1)
	s_or_b32 exec_lo, exec_lo, s20
	v_mul_f32_e32 v28, v119, v28
	s_delay_alu instid0(VALU_DEP_1) | instskip(NEXT) | instid1(VALU_DEP_1)
	v_and_b32_e32 v146, 0x7f800000, v28
	v_cmp_ne_u32_e64 s2, 0x7f800000, v146
                                        ; implicit-def: $vgpr146
	s_delay_alu instid0(VALU_DEP_1) | instskip(NEXT) | instid1(SALU_CYCLE_1)
	s_and_saveexec_b32 s20, s2
	s_xor_b32 s2, exec_lo, s20
; %bb.145:                              ;   in Loop: Header=BB403_13 Depth=1
	v_bfe_u32 v146, v28, 16, 1
	s_delay_alu instid0(VALU_DEP_1)
	v_add3_u32 v146, v28, v146, 0x7fff
                                        ; implicit-def: $vgpr28
; %bb.146:                              ;   in Loop: Header=BB403_13 Depth=1
	s_and_not1_saveexec_b32 s20, s2
; %bb.147:                              ;   in Loop: Header=BB403_13 Depth=1
	v_and_b32_e32 v146, 0xffff, v28
	v_or_b32_e32 v148, 0x10000, v28
	s_delay_alu instid0(VALU_DEP_2) | instskip(NEXT) | instid1(VALU_DEP_1)
	v_cmp_eq_u32_e64 s2, 0, v146
	v_cndmask_b32_e64 v146, v148, v28, s2
; %bb.148:                              ;   in Loop: Header=BB403_13 Depth=1
	s_or_b32 exec_lo, exec_lo, s20
	v_mov_b32_e32 v28, 0
	s_mov_b32 s20, exec_lo
	v_cmpx_lt_u32_e32 0xffffff, v147
	s_cbranch_execz .LBB403_156
; %bb.149:                              ;   in Loop: Header=BB403_13 Depth=1
	v_lshrrev_b32_e32 v148, 24, v147
	v_bfrev_b32_e32 v28, 1
	s_mov_b32 s21, exec_lo
	s_delay_alu instid0(VALU_DEP_2)
	v_cmpx_ne_u32_e32 0x80, v148
	s_cbranch_execz .LBB403_155
; %bb.150:                              ;   in Loop: Header=BB403_13 Depth=1
	v_bfe_u32 v149, v147, 24, 7
	v_mov_b32_e32 v28, 0x7f800001
	s_mov_b32 s22, exec_lo
	s_delay_alu instid0(VALU_DEP_2)
	v_cmpx_ne_u32_e32 0x7f, v149
	s_cbranch_execz .LBB403_154
; %bb.151:                              ;   in Loop: Header=BB403_13 Depth=1
	v_and_b32_e32 v28, 7, v148
	v_lshrrev_b32_e32 v147, 3, v149
	s_mov_b32 s23, exec_lo
	v_cmpx_gt_u32_e32 8, v149
; %bb.152:                              ;   in Loop: Header=BB403_13 Depth=1
	s_delay_alu instid0(VALU_DEP_3) | instskip(NEXT) | instid1(VALU_DEP_1)
	v_clz_i32_u32_e32 v147, v28
	v_min_u32_e32 v147, 32, v147
	s_delay_alu instid0(VALU_DEP_1) | instskip(SKIP_1) | instid1(VALU_DEP_2)
	v_subrev_nc_u32_e32 v149, 28, v147
	v_sub_nc_u32_e32 v147, 29, v147
	v_lshlrev_b64 v[149:150], v149, v[28:29]
	s_delay_alu instid0(VALU_DEP_1)
	v_and_b32_e32 v28, 7, v149
; %bb.153:                              ;   in Loop: Header=BB403_13 Depth=1
	s_or_b32 exec_lo, exec_lo, s23
	v_lshlrev_b32_e32 v148, 24, v148
	s_delay_alu instid0(VALU_DEP_2) | instskip(SKIP_1) | instid1(VALU_DEP_3)
	v_lshlrev_b32_e32 v28, 20, v28
	v_lshl_add_u32 v147, v147, 23, 0x3c000000
	v_and_b32_e32 v148, 0x80000000, v148
	s_delay_alu instid0(VALU_DEP_1)
	v_or3_b32 v28, v28, v148, v147
.LBB403_154:                            ;   in Loop: Header=BB403_13 Depth=1
	s_or_b32 exec_lo, exec_lo, s22
.LBB403_155:                            ;   in Loop: Header=BB403_13 Depth=1
	s_delay_alu instid0(SALU_CYCLE_1)
	s_or_b32 exec_lo, exec_lo, s21
.LBB403_156:                            ;   in Loop: Header=BB403_13 Depth=1
	s_delay_alu instid0(SALU_CYCLE_1) | instskip(NEXT) | instid1(VALU_DEP_1)
	s_or_b32 exec_lo, exec_lo, s20
	v_mul_f32_e32 v28, v119, v28
	s_delay_alu instid0(VALU_DEP_1) | instskip(NEXT) | instid1(VALU_DEP_1)
	v_and_b32_e32 v147, 0x7f800000, v28
	v_cmp_ne_u32_e64 s2, 0x7f800000, v147
                                        ; implicit-def: $vgpr147
	s_delay_alu instid0(VALU_DEP_1) | instskip(NEXT) | instid1(SALU_CYCLE_1)
	s_and_saveexec_b32 s20, s2
	s_xor_b32 s2, exec_lo, s20
; %bb.157:                              ;   in Loop: Header=BB403_13 Depth=1
	v_bfe_u32 v147, v28, 16, 1
	s_delay_alu instid0(VALU_DEP_1)
	v_add3_u32 v147, v28, v147, 0x7fff
                                        ; implicit-def: $vgpr28
; %bb.158:                              ;   in Loop: Header=BB403_13 Depth=1
	s_and_not1_saveexec_b32 s20, s2
; %bb.159:                              ;   in Loop: Header=BB403_13 Depth=1
	v_and_b32_e32 v147, 0xffff, v28
	v_or_b32_e32 v148, 0x10000, v28
	s_delay_alu instid0(VALU_DEP_2) | instskip(NEXT) | instid1(VALU_DEP_1)
	v_cmp_eq_u32_e64 s2, 0, v147
	v_cndmask_b32_e64 v147, v148, v28, s2
; %bb.160:                              ;   in Loop: Header=BB403_13 Depth=1
	s_or_b32 exec_lo, exec_lo, s20
	flat_load_b32 v151, v[68:69] offset:264
	v_mov_b32_e32 v28, 0
	s_mov_b32 s20, exec_lo
	s_waitcnt vmcnt(0) lgkmcnt(0)
	v_and_b32_e32 v148, 0xff, v151
	s_delay_alu instid0(VALU_DEP_1)
	v_cmpx_ne_u16_e64 0, v148
	s_cbranch_execz .LBB403_168
; %bb.161:                              ;   in Loop: Header=BB403_13 Depth=1
	v_bfrev_b32_e32 v28, 1
	s_mov_b32 s21, exec_lo
	v_cmpx_ne_u16_e64 0x80, v148
	s_cbranch_execz .LBB403_167
; %bb.162:                              ;   in Loop: Header=BB403_13 Depth=1
	v_and_b32_e32 v149, 0x7f, v151
	v_mov_b32_e32 v28, 0x7f800001
	s_mov_b32 s22, exec_lo
	s_delay_alu instid0(VALU_DEP_2)
	v_cmpx_ne_u32_e32 0x7f, v149
	s_cbranch_execz .LBB403_166
; %bb.163:                              ;   in Loop: Header=BB403_13 Depth=1
	v_and_b32_e32 v28, 7, v151
	v_lshrrev_b32_e32 v148, 3, v149
	s_mov_b32 s23, exec_lo
	v_cmpx_gt_u32_e32 8, v149
; %bb.164:                              ;   in Loop: Header=BB403_13 Depth=1
	s_delay_alu instid0(VALU_DEP_3) | instskip(NEXT) | instid1(VALU_DEP_1)
	v_clz_i32_u32_e32 v148, v28
	v_min_u32_e32 v148, 32, v148
	s_delay_alu instid0(VALU_DEP_1) | instskip(SKIP_1) | instid1(VALU_DEP_2)
	v_subrev_nc_u32_e32 v149, 28, v148
	v_sub_nc_u32_e32 v148, 29, v148
	v_lshlrev_b64 v[149:150], v149, v[28:29]
	s_delay_alu instid0(VALU_DEP_1)
	v_and_b32_e32 v28, 7, v149
; %bb.165:                              ;   in Loop: Header=BB403_13 Depth=1
	s_or_b32 exec_lo, exec_lo, s23
	v_lshlrev_b32_e32 v149, 24, v151
	s_delay_alu instid0(VALU_DEP_2) | instskip(SKIP_1) | instid1(VALU_DEP_3)
	v_lshlrev_b32_e32 v28, 20, v28
	v_lshl_add_u32 v148, v148, 23, 0x3c000000
	v_and_b32_e32 v149, 0x80000000, v149
	s_delay_alu instid0(VALU_DEP_1)
	v_or3_b32 v28, v28, v149, v148
.LBB403_166:                            ;   in Loop: Header=BB403_13 Depth=1
	s_or_b32 exec_lo, exec_lo, s22
.LBB403_167:                            ;   in Loop: Header=BB403_13 Depth=1
	s_delay_alu instid0(SALU_CYCLE_1)
	s_or_b32 exec_lo, exec_lo, s21
.LBB403_168:                            ;   in Loop: Header=BB403_13 Depth=1
	s_delay_alu instid0(SALU_CYCLE_1) | instskip(NEXT) | instid1(VALU_DEP_1)
	s_or_b32 exec_lo, exec_lo, s20
	v_mul_f32_e32 v28, v119, v28
	s_delay_alu instid0(VALU_DEP_1) | instskip(NEXT) | instid1(VALU_DEP_1)
	v_and_b32_e32 v148, 0x7f800000, v28
	v_cmp_ne_u32_e64 s2, 0x7f800000, v148
                                        ; implicit-def: $vgpr148
	s_delay_alu instid0(VALU_DEP_1) | instskip(NEXT) | instid1(SALU_CYCLE_1)
	s_and_saveexec_b32 s20, s2
	s_xor_b32 s2, exec_lo, s20
; %bb.169:                              ;   in Loop: Header=BB403_13 Depth=1
	v_bfe_u32 v148, v28, 16, 1
	s_delay_alu instid0(VALU_DEP_1)
	v_add3_u32 v148, v28, v148, 0x7fff
                                        ; implicit-def: $vgpr28
; %bb.170:                              ;   in Loop: Header=BB403_13 Depth=1
	s_and_not1_saveexec_b32 s20, s2
; %bb.171:                              ;   in Loop: Header=BB403_13 Depth=1
	v_and_b32_e32 v148, 0xffff, v28
	v_or_b32_e32 v149, 0x10000, v28
	s_delay_alu instid0(VALU_DEP_2) | instskip(NEXT) | instid1(VALU_DEP_1)
	v_cmp_eq_u32_e64 s2, 0, v148
	v_cndmask_b32_e64 v148, v149, v28, s2
; %bb.172:                              ;   in Loop: Header=BB403_13 Depth=1
	s_or_b32 exec_lo, exec_lo, s20
	v_lshrrev_b16 v149, 8, v151
	v_mov_b32_e32 v28, 0
	s_mov_b32 s20, exec_lo
	s_delay_alu instid0(VALU_DEP_2)
	v_cmpx_ne_u16_e64 0, v149
	s_cbranch_execz .LBB403_180
; %bb.173:                              ;   in Loop: Header=BB403_13 Depth=1
	v_bfrev_b32_e32 v28, 1
	s_mov_b32 s21, exec_lo
	v_cmpx_ne_u16_e64 0x80, v149
	s_cbranch_execz .LBB403_179
; %bb.174:                              ;   in Loop: Header=BB403_13 Depth=1
	v_and_b32_e32 v149, 0xffff, v149
	v_mov_b32_e32 v28, 0x7f800001
	s_mov_b32 s22, exec_lo
	s_delay_alu instid0(VALU_DEP_2) | instskip(NEXT) | instid1(VALU_DEP_1)
	v_and_b32_e32 v150, 0x7f, v149
	v_cmpx_ne_u32_e32 0x7f, v150
	s_cbranch_execz .LBB403_178
; %bb.175:                              ;   in Loop: Header=BB403_13 Depth=1
	v_and_b32_e32 v28, 7, v149
	v_lshrrev_b32_e32 v149, 3, v150
	s_mov_b32 s23, exec_lo
	v_cmpx_gt_u32_e32 8, v150
; %bb.176:                              ;   in Loop: Header=BB403_13 Depth=1
	s_delay_alu instid0(VALU_DEP_3) | instskip(NEXT) | instid1(VALU_DEP_1)
	v_clz_i32_u32_e32 v149, v28
	v_min_u32_e32 v149, 32, v149
	s_delay_alu instid0(VALU_DEP_1) | instskip(SKIP_1) | instid1(VALU_DEP_2)
	v_subrev_nc_u32_e32 v150, 28, v149
	v_sub_nc_u32_e32 v149, 29, v149
	v_lshlrev_b64 v[160:161], v150, v[28:29]
	s_delay_alu instid0(VALU_DEP_1)
	v_and_b32_e32 v28, 7, v160
; %bb.177:                              ;   in Loop: Header=BB403_13 Depth=1
	s_or_b32 exec_lo, exec_lo, s23
	v_lshlrev_b32_e32 v150, 16, v151
	s_delay_alu instid0(VALU_DEP_2) | instskip(SKIP_1) | instid1(VALU_DEP_3)
	v_lshlrev_b32_e32 v28, 20, v28
	v_lshl_add_u32 v149, v149, 23, 0x3c000000
	v_and_b32_e32 v150, 0x80000000, v150
	s_delay_alu instid0(VALU_DEP_1)
	v_or3_b32 v28, v28, v150, v149
.LBB403_178:                            ;   in Loop: Header=BB403_13 Depth=1
	s_or_b32 exec_lo, exec_lo, s22
.LBB403_179:                            ;   in Loop: Header=BB403_13 Depth=1
	s_delay_alu instid0(SALU_CYCLE_1)
	s_or_b32 exec_lo, exec_lo, s21
.LBB403_180:                            ;   in Loop: Header=BB403_13 Depth=1
	s_delay_alu instid0(SALU_CYCLE_1) | instskip(NEXT) | instid1(VALU_DEP_1)
	s_or_b32 exec_lo, exec_lo, s20
	v_mul_f32_e32 v28, v119, v28
	s_delay_alu instid0(VALU_DEP_1) | instskip(NEXT) | instid1(VALU_DEP_1)
	v_and_b32_e32 v149, 0x7f800000, v28
	v_cmp_ne_u32_e64 s2, 0x7f800000, v149
                                        ; implicit-def: $vgpr149
	s_delay_alu instid0(VALU_DEP_1) | instskip(NEXT) | instid1(SALU_CYCLE_1)
	s_and_saveexec_b32 s20, s2
	s_xor_b32 s2, exec_lo, s20
; %bb.181:                              ;   in Loop: Header=BB403_13 Depth=1
	v_bfe_u32 v149, v28, 16, 1
	s_delay_alu instid0(VALU_DEP_1)
	v_add3_u32 v149, v28, v149, 0x7fff
                                        ; implicit-def: $vgpr28
; %bb.182:                              ;   in Loop: Header=BB403_13 Depth=1
	s_and_not1_saveexec_b32 s20, s2
; %bb.183:                              ;   in Loop: Header=BB403_13 Depth=1
	v_and_b32_e32 v149, 0xffff, v28
	v_or_b32_e32 v150, 0x10000, v28
	s_delay_alu instid0(VALU_DEP_2) | instskip(NEXT) | instid1(VALU_DEP_1)
	v_cmp_eq_u32_e64 s2, 0, v149
	v_cndmask_b32_e64 v149, v150, v28, s2
; %bb.184:                              ;   in Loop: Header=BB403_13 Depth=1
	s_or_b32 exec_lo, exec_lo, s20
	v_lshrrev_b32_e32 v150, 16, v151
	v_mov_b32_e32 v28, 0
	s_mov_b32 s20, exec_lo
	s_delay_alu instid0(VALU_DEP_2) | instskip(NEXT) | instid1(VALU_DEP_1)
	v_and_b32_e32 v160, 0xff, v150
	v_cmpx_ne_u16_e64 0, v160
	s_cbranch_execz .LBB403_192
; %bb.185:                              ;   in Loop: Header=BB403_13 Depth=1
	v_bfrev_b32_e32 v28, 1
	s_mov_b32 s21, exec_lo
	v_cmpx_ne_u16_e64 0x80, v160
	s_cbranch_execz .LBB403_191
; %bb.186:                              ;   in Loop: Header=BB403_13 Depth=1
	v_bfe_u32 v161, v151, 16, 7
	v_mov_b32_e32 v28, 0x7f800001
	s_mov_b32 s22, exec_lo
	s_delay_alu instid0(VALU_DEP_2)
	v_cmpx_ne_u32_e32 0x7f, v161
	s_cbranch_execz .LBB403_190
; %bb.187:                              ;   in Loop: Header=BB403_13 Depth=1
	v_and_b32_e32 v28, 7, v150
	v_lshrrev_b32_e32 v160, 3, v161
	s_mov_b32 s23, exec_lo
	v_cmpx_gt_u32_e32 8, v161
; %bb.188:                              ;   in Loop: Header=BB403_13 Depth=1
	s_delay_alu instid0(VALU_DEP_3) | instskip(NEXT) | instid1(VALU_DEP_1)
	v_clz_i32_u32_e32 v160, v28
	v_min_u32_e32 v160, 32, v160
	s_delay_alu instid0(VALU_DEP_1) | instskip(SKIP_1) | instid1(VALU_DEP_2)
	v_subrev_nc_u32_e32 v161, 28, v160
	v_sub_nc_u32_e32 v160, 29, v160
	v_lshlrev_b64 v[161:162], v161, v[28:29]
	s_delay_alu instid0(VALU_DEP_1)
	v_and_b32_e32 v28, 7, v161
; %bb.189:                              ;   in Loop: Header=BB403_13 Depth=1
	s_or_b32 exec_lo, exec_lo, s23
	v_lshlrev_b32_e32 v150, 24, v150
	s_delay_alu instid0(VALU_DEP_2) | instskip(SKIP_1) | instid1(VALU_DEP_3)
	v_lshlrev_b32_e32 v28, 20, v28
	v_lshl_add_u32 v160, v160, 23, 0x3c000000
	v_and_b32_e32 v150, 0x80000000, v150
	s_delay_alu instid0(VALU_DEP_1)
	v_or3_b32 v28, v28, v150, v160
.LBB403_190:                            ;   in Loop: Header=BB403_13 Depth=1
	s_or_b32 exec_lo, exec_lo, s22
.LBB403_191:                            ;   in Loop: Header=BB403_13 Depth=1
	s_delay_alu instid0(SALU_CYCLE_1)
	s_or_b32 exec_lo, exec_lo, s21
.LBB403_192:                            ;   in Loop: Header=BB403_13 Depth=1
	s_delay_alu instid0(SALU_CYCLE_1) | instskip(NEXT) | instid1(VALU_DEP_1)
	s_or_b32 exec_lo, exec_lo, s20
	v_mul_f32_e32 v28, v119, v28
	s_delay_alu instid0(VALU_DEP_1) | instskip(NEXT) | instid1(VALU_DEP_1)
	v_and_b32_e32 v150, 0x7f800000, v28
	v_cmp_ne_u32_e64 s2, 0x7f800000, v150
                                        ; implicit-def: $vgpr150
	s_delay_alu instid0(VALU_DEP_1) | instskip(NEXT) | instid1(SALU_CYCLE_1)
	s_and_saveexec_b32 s20, s2
	s_xor_b32 s2, exec_lo, s20
; %bb.193:                              ;   in Loop: Header=BB403_13 Depth=1
	v_bfe_u32 v150, v28, 16, 1
	s_delay_alu instid0(VALU_DEP_1)
	v_add3_u32 v150, v28, v150, 0x7fff
                                        ; implicit-def: $vgpr28
; %bb.194:                              ;   in Loop: Header=BB403_13 Depth=1
	s_and_not1_saveexec_b32 s20, s2
; %bb.195:                              ;   in Loop: Header=BB403_13 Depth=1
	v_and_b32_e32 v150, 0xffff, v28
	v_or_b32_e32 v160, 0x10000, v28
	s_delay_alu instid0(VALU_DEP_2) | instskip(NEXT) | instid1(VALU_DEP_1)
	v_cmp_eq_u32_e64 s2, 0, v150
	v_cndmask_b32_e64 v150, v160, v28, s2
; %bb.196:                              ;   in Loop: Header=BB403_13 Depth=1
	s_or_b32 exec_lo, exec_lo, s20
	v_mov_b32_e32 v28, 0
	s_mov_b32 s20, exec_lo
	v_cmpx_lt_u32_e32 0xffffff, v151
	s_cbranch_execz .LBB403_204
; %bb.197:                              ;   in Loop: Header=BB403_13 Depth=1
	v_lshrrev_b32_e32 v160, 24, v151
	v_bfrev_b32_e32 v28, 1
	s_mov_b32 s21, exec_lo
	s_delay_alu instid0(VALU_DEP_2)
	v_cmpx_ne_u32_e32 0x80, v160
	s_cbranch_execz .LBB403_203
; %bb.198:                              ;   in Loop: Header=BB403_13 Depth=1
	v_bfe_u32 v161, v151, 24, 7
	v_mov_b32_e32 v28, 0x7f800001
	s_mov_b32 s22, exec_lo
	s_delay_alu instid0(VALU_DEP_2)
	v_cmpx_ne_u32_e32 0x7f, v161
	s_cbranch_execz .LBB403_202
; %bb.199:                              ;   in Loop: Header=BB403_13 Depth=1
	v_and_b32_e32 v28, 7, v160
	v_lshrrev_b32_e32 v151, 3, v161
	s_mov_b32 s23, exec_lo
	v_cmpx_gt_u32_e32 8, v161
; %bb.200:                              ;   in Loop: Header=BB403_13 Depth=1
	s_delay_alu instid0(VALU_DEP_3) | instskip(NEXT) | instid1(VALU_DEP_1)
	v_clz_i32_u32_e32 v151, v28
	v_min_u32_e32 v151, 32, v151
	s_delay_alu instid0(VALU_DEP_1) | instskip(SKIP_1) | instid1(VALU_DEP_2)
	v_subrev_nc_u32_e32 v161, 28, v151
	v_sub_nc_u32_e32 v151, 29, v151
	v_lshlrev_b64 v[161:162], v161, v[28:29]
	s_delay_alu instid0(VALU_DEP_1)
	v_and_b32_e32 v28, 7, v161
; %bb.201:                              ;   in Loop: Header=BB403_13 Depth=1
	s_or_b32 exec_lo, exec_lo, s23
	v_lshlrev_b32_e32 v160, 24, v160
	s_delay_alu instid0(VALU_DEP_2) | instskip(SKIP_1) | instid1(VALU_DEP_3)
	v_lshlrev_b32_e32 v28, 20, v28
	v_lshl_add_u32 v151, v151, 23, 0x3c000000
	v_and_b32_e32 v160, 0x80000000, v160
	s_delay_alu instid0(VALU_DEP_1)
	v_or3_b32 v28, v28, v160, v151
.LBB403_202:                            ;   in Loop: Header=BB403_13 Depth=1
	s_or_b32 exec_lo, exec_lo, s22
.LBB403_203:                            ;   in Loop: Header=BB403_13 Depth=1
	s_delay_alu instid0(SALU_CYCLE_1)
	s_or_b32 exec_lo, exec_lo, s21
.LBB403_204:                            ;   in Loop: Header=BB403_13 Depth=1
	s_delay_alu instid0(SALU_CYCLE_1) | instskip(NEXT) | instid1(VALU_DEP_1)
	s_or_b32 exec_lo, exec_lo, s20
	v_mul_f32_e32 v28, v119, v28
	s_delay_alu instid0(VALU_DEP_1) | instskip(NEXT) | instid1(VALU_DEP_1)
	v_and_b32_e32 v151, 0x7f800000, v28
	v_cmp_ne_u32_e64 s2, 0x7f800000, v151
                                        ; implicit-def: $vgpr151
	s_delay_alu instid0(VALU_DEP_1) | instskip(NEXT) | instid1(SALU_CYCLE_1)
	s_and_saveexec_b32 s20, s2
	s_xor_b32 s2, exec_lo, s20
; %bb.205:                              ;   in Loop: Header=BB403_13 Depth=1
	v_bfe_u32 v151, v28, 16, 1
	s_delay_alu instid0(VALU_DEP_1)
	v_add3_u32 v151, v28, v151, 0x7fff
                                        ; implicit-def: $vgpr28
; %bb.206:                              ;   in Loop: Header=BB403_13 Depth=1
	s_and_not1_saveexec_b32 s20, s2
; %bb.207:                              ;   in Loop: Header=BB403_13 Depth=1
	v_and_b32_e32 v151, 0xffff, v28
	v_or_b32_e32 v160, 0x10000, v28
	s_delay_alu instid0(VALU_DEP_2) | instskip(NEXT) | instid1(VALU_DEP_1)
	v_cmp_eq_u32_e64 s2, 0, v151
	v_cndmask_b32_e64 v151, v160, v28, s2
; %bb.208:                              ;   in Loop: Header=BB403_13 Depth=1
	s_or_b32 exec_lo, exec_lo, s20
	flat_load_b32 v163, v[68:69] offset:512
	v_mov_b32_e32 v28, 0
	s_mov_b32 s20, exec_lo
	s_waitcnt vmcnt(0) lgkmcnt(0)
	v_and_b32_e32 v160, 0xff, v163
	s_delay_alu instid0(VALU_DEP_1)
	v_cmpx_ne_u16_e64 0, v160
	s_cbranch_execz .LBB403_216
; %bb.209:                              ;   in Loop: Header=BB403_13 Depth=1
	v_bfrev_b32_e32 v28, 1
	s_mov_b32 s21, exec_lo
	v_cmpx_ne_u16_e64 0x80, v160
	s_cbranch_execz .LBB403_215
; %bb.210:                              ;   in Loop: Header=BB403_13 Depth=1
	v_and_b32_e32 v161, 0x7f, v163
	v_mov_b32_e32 v28, 0x7f800001
	s_mov_b32 s22, exec_lo
	s_delay_alu instid0(VALU_DEP_2)
	v_cmpx_ne_u32_e32 0x7f, v161
	s_cbranch_execz .LBB403_214
; %bb.211:                              ;   in Loop: Header=BB403_13 Depth=1
	v_and_b32_e32 v28, 7, v163
	v_lshrrev_b32_e32 v160, 3, v161
	s_mov_b32 s23, exec_lo
	v_cmpx_gt_u32_e32 8, v161
; %bb.212:                              ;   in Loop: Header=BB403_13 Depth=1
	s_delay_alu instid0(VALU_DEP_3) | instskip(NEXT) | instid1(VALU_DEP_1)
	v_clz_i32_u32_e32 v160, v28
	v_min_u32_e32 v160, 32, v160
	s_delay_alu instid0(VALU_DEP_1) | instskip(SKIP_1) | instid1(VALU_DEP_2)
	v_subrev_nc_u32_e32 v161, 28, v160
	v_sub_nc_u32_e32 v160, 29, v160
	v_lshlrev_b64 v[161:162], v161, v[28:29]
	s_delay_alu instid0(VALU_DEP_1)
	v_and_b32_e32 v28, 7, v161
; %bb.213:                              ;   in Loop: Header=BB403_13 Depth=1
	s_or_b32 exec_lo, exec_lo, s23
	v_lshlrev_b32_e32 v161, 24, v163
	s_delay_alu instid0(VALU_DEP_2) | instskip(SKIP_1) | instid1(VALU_DEP_3)
	v_lshlrev_b32_e32 v28, 20, v28
	v_lshl_add_u32 v160, v160, 23, 0x3c000000
	v_and_b32_e32 v161, 0x80000000, v161
	s_delay_alu instid0(VALU_DEP_1)
	v_or3_b32 v28, v28, v161, v160
.LBB403_214:                            ;   in Loop: Header=BB403_13 Depth=1
	s_or_b32 exec_lo, exec_lo, s22
.LBB403_215:                            ;   in Loop: Header=BB403_13 Depth=1
	s_delay_alu instid0(SALU_CYCLE_1)
	s_or_b32 exec_lo, exec_lo, s21
.LBB403_216:                            ;   in Loop: Header=BB403_13 Depth=1
	s_delay_alu instid0(SALU_CYCLE_1) | instskip(NEXT) | instid1(VALU_DEP_1)
	s_or_b32 exec_lo, exec_lo, s20
	v_mul_f32_e32 v28, v119, v28
	s_delay_alu instid0(VALU_DEP_1) | instskip(NEXT) | instid1(VALU_DEP_1)
	v_and_b32_e32 v160, 0x7f800000, v28
	v_cmp_ne_u32_e64 s2, 0x7f800000, v160
                                        ; implicit-def: $vgpr160
	s_delay_alu instid0(VALU_DEP_1) | instskip(NEXT) | instid1(SALU_CYCLE_1)
	s_and_saveexec_b32 s20, s2
	s_xor_b32 s2, exec_lo, s20
; %bb.217:                              ;   in Loop: Header=BB403_13 Depth=1
	v_bfe_u32 v160, v28, 16, 1
	s_delay_alu instid0(VALU_DEP_1)
	v_add3_u32 v160, v28, v160, 0x7fff
                                        ; implicit-def: $vgpr28
; %bb.218:                              ;   in Loop: Header=BB403_13 Depth=1
	s_and_not1_saveexec_b32 s20, s2
; %bb.219:                              ;   in Loop: Header=BB403_13 Depth=1
	v_and_b32_e32 v160, 0xffff, v28
	v_or_b32_e32 v161, 0x10000, v28
	s_delay_alu instid0(VALU_DEP_2) | instskip(NEXT) | instid1(VALU_DEP_1)
	v_cmp_eq_u32_e64 s2, 0, v160
	v_cndmask_b32_e64 v160, v161, v28, s2
; %bb.220:                              ;   in Loop: Header=BB403_13 Depth=1
	s_or_b32 exec_lo, exec_lo, s20
	v_lshrrev_b16 v161, 8, v163
	v_mov_b32_e32 v28, 0
	s_mov_b32 s20, exec_lo
	s_delay_alu instid0(VALU_DEP_2)
	v_cmpx_ne_u16_e64 0, v161
	s_cbranch_execz .LBB403_228
; %bb.221:                              ;   in Loop: Header=BB403_13 Depth=1
	v_bfrev_b32_e32 v28, 1
	s_mov_b32 s21, exec_lo
	v_cmpx_ne_u16_e64 0x80, v161
	s_cbranch_execz .LBB403_227
; %bb.222:                              ;   in Loop: Header=BB403_13 Depth=1
	v_and_b32_e32 v161, 0xffff, v161
	v_mov_b32_e32 v28, 0x7f800001
	s_mov_b32 s22, exec_lo
	s_delay_alu instid0(VALU_DEP_2) | instskip(NEXT) | instid1(VALU_DEP_1)
	v_and_b32_e32 v162, 0x7f, v161
	v_cmpx_ne_u32_e32 0x7f, v162
	s_cbranch_execz .LBB403_226
; %bb.223:                              ;   in Loop: Header=BB403_13 Depth=1
	v_and_b32_e32 v28, 7, v161
	v_lshrrev_b32_e32 v161, 3, v162
	s_mov_b32 s23, exec_lo
	v_cmpx_gt_u32_e32 8, v162
; %bb.224:                              ;   in Loop: Header=BB403_13 Depth=1
	s_delay_alu instid0(VALU_DEP_3) | instskip(NEXT) | instid1(VALU_DEP_1)
	v_clz_i32_u32_e32 v161, v28
	v_min_u32_e32 v161, 32, v161
	s_delay_alu instid0(VALU_DEP_1) | instskip(SKIP_1) | instid1(VALU_DEP_2)
	v_subrev_nc_u32_e32 v162, 28, v161
	v_sub_nc_u32_e32 v161, 29, v161
	v_lshlrev_b64 v[164:165], v162, v[28:29]
	s_delay_alu instid0(VALU_DEP_1)
	v_and_b32_e32 v28, 7, v164
; %bb.225:                              ;   in Loop: Header=BB403_13 Depth=1
	s_or_b32 exec_lo, exec_lo, s23
	v_lshlrev_b32_e32 v162, 16, v163
	s_delay_alu instid0(VALU_DEP_2) | instskip(SKIP_1) | instid1(VALU_DEP_3)
	v_lshlrev_b32_e32 v28, 20, v28
	v_lshl_add_u32 v161, v161, 23, 0x3c000000
	v_and_b32_e32 v162, 0x80000000, v162
	s_delay_alu instid0(VALU_DEP_1)
	v_or3_b32 v28, v28, v162, v161
.LBB403_226:                            ;   in Loop: Header=BB403_13 Depth=1
	s_or_b32 exec_lo, exec_lo, s22
.LBB403_227:                            ;   in Loop: Header=BB403_13 Depth=1
	s_delay_alu instid0(SALU_CYCLE_1)
	s_or_b32 exec_lo, exec_lo, s21
.LBB403_228:                            ;   in Loop: Header=BB403_13 Depth=1
	s_delay_alu instid0(SALU_CYCLE_1) | instskip(NEXT) | instid1(VALU_DEP_1)
	s_or_b32 exec_lo, exec_lo, s20
	v_mul_f32_e32 v28, v119, v28
	s_delay_alu instid0(VALU_DEP_1) | instskip(NEXT) | instid1(VALU_DEP_1)
	v_and_b32_e32 v161, 0x7f800000, v28
	v_cmp_ne_u32_e64 s2, 0x7f800000, v161
                                        ; implicit-def: $vgpr161
	s_delay_alu instid0(VALU_DEP_1) | instskip(NEXT) | instid1(SALU_CYCLE_1)
	s_and_saveexec_b32 s20, s2
	s_xor_b32 s2, exec_lo, s20
; %bb.229:                              ;   in Loop: Header=BB403_13 Depth=1
	v_bfe_u32 v161, v28, 16, 1
	s_delay_alu instid0(VALU_DEP_1)
	v_add3_u32 v161, v28, v161, 0x7fff
                                        ; implicit-def: $vgpr28
; %bb.230:                              ;   in Loop: Header=BB403_13 Depth=1
	s_and_not1_saveexec_b32 s20, s2
; %bb.231:                              ;   in Loop: Header=BB403_13 Depth=1
	v_and_b32_e32 v161, 0xffff, v28
	v_or_b32_e32 v162, 0x10000, v28
	s_delay_alu instid0(VALU_DEP_2) | instskip(NEXT) | instid1(VALU_DEP_1)
	v_cmp_eq_u32_e64 s2, 0, v161
	v_cndmask_b32_e64 v161, v162, v28, s2
; %bb.232:                              ;   in Loop: Header=BB403_13 Depth=1
	s_or_b32 exec_lo, exec_lo, s20
	v_lshrrev_b32_e32 v162, 16, v163
	v_mov_b32_e32 v28, 0
	s_mov_b32 s20, exec_lo
	s_delay_alu instid0(VALU_DEP_2) | instskip(NEXT) | instid1(VALU_DEP_1)
	v_and_b32_e32 v164, 0xff, v162
	v_cmpx_ne_u16_e64 0, v164
	s_cbranch_execz .LBB403_240
; %bb.233:                              ;   in Loop: Header=BB403_13 Depth=1
	v_bfrev_b32_e32 v28, 1
	s_mov_b32 s21, exec_lo
	v_cmpx_ne_u16_e64 0x80, v164
	s_cbranch_execz .LBB403_239
; %bb.234:                              ;   in Loop: Header=BB403_13 Depth=1
	v_bfe_u32 v165, v163, 16, 7
	v_mov_b32_e32 v28, 0x7f800001
	s_mov_b32 s22, exec_lo
	s_delay_alu instid0(VALU_DEP_2)
	v_cmpx_ne_u32_e32 0x7f, v165
	s_cbranch_execz .LBB403_238
; %bb.235:                              ;   in Loop: Header=BB403_13 Depth=1
	v_and_b32_e32 v28, 7, v162
	v_lshrrev_b32_e32 v164, 3, v165
	s_mov_b32 s23, exec_lo
	v_cmpx_gt_u32_e32 8, v165
; %bb.236:                              ;   in Loop: Header=BB403_13 Depth=1
	s_delay_alu instid0(VALU_DEP_3) | instskip(NEXT) | instid1(VALU_DEP_1)
	v_clz_i32_u32_e32 v164, v28
	v_min_u32_e32 v164, 32, v164
	s_delay_alu instid0(VALU_DEP_1) | instskip(SKIP_1) | instid1(VALU_DEP_2)
	v_subrev_nc_u32_e32 v165, 28, v164
	v_sub_nc_u32_e32 v164, 29, v164
	v_lshlrev_b64 v[165:166], v165, v[28:29]
	s_delay_alu instid0(VALU_DEP_1)
	v_and_b32_e32 v28, 7, v165
; %bb.237:                              ;   in Loop: Header=BB403_13 Depth=1
	s_or_b32 exec_lo, exec_lo, s23
	v_lshlrev_b32_e32 v162, 24, v162
	s_delay_alu instid0(VALU_DEP_2) | instskip(SKIP_1) | instid1(VALU_DEP_3)
	v_lshlrev_b32_e32 v28, 20, v28
	v_lshl_add_u32 v164, v164, 23, 0x3c000000
	v_and_b32_e32 v162, 0x80000000, v162
	s_delay_alu instid0(VALU_DEP_1)
	v_or3_b32 v28, v28, v162, v164
.LBB403_238:                            ;   in Loop: Header=BB403_13 Depth=1
	s_or_b32 exec_lo, exec_lo, s22
.LBB403_239:                            ;   in Loop: Header=BB403_13 Depth=1
	s_delay_alu instid0(SALU_CYCLE_1)
	s_or_b32 exec_lo, exec_lo, s21
.LBB403_240:                            ;   in Loop: Header=BB403_13 Depth=1
	s_delay_alu instid0(SALU_CYCLE_1) | instskip(NEXT) | instid1(VALU_DEP_1)
	s_or_b32 exec_lo, exec_lo, s20
	v_mul_f32_e32 v28, v119, v28
	s_delay_alu instid0(VALU_DEP_1) | instskip(NEXT) | instid1(VALU_DEP_1)
	v_and_b32_e32 v162, 0x7f800000, v28
	v_cmp_ne_u32_e64 s2, 0x7f800000, v162
                                        ; implicit-def: $vgpr162
	s_delay_alu instid0(VALU_DEP_1) | instskip(NEXT) | instid1(SALU_CYCLE_1)
	s_and_saveexec_b32 s20, s2
	s_xor_b32 s2, exec_lo, s20
; %bb.241:                              ;   in Loop: Header=BB403_13 Depth=1
	v_bfe_u32 v162, v28, 16, 1
	s_delay_alu instid0(VALU_DEP_1)
	v_add3_u32 v162, v28, v162, 0x7fff
                                        ; implicit-def: $vgpr28
; %bb.242:                              ;   in Loop: Header=BB403_13 Depth=1
	s_and_not1_saveexec_b32 s20, s2
; %bb.243:                              ;   in Loop: Header=BB403_13 Depth=1
	v_and_b32_e32 v162, 0xffff, v28
	v_or_b32_e32 v164, 0x10000, v28
	s_delay_alu instid0(VALU_DEP_2) | instskip(NEXT) | instid1(VALU_DEP_1)
	v_cmp_eq_u32_e64 s2, 0, v162
	v_cndmask_b32_e64 v162, v164, v28, s2
; %bb.244:                              ;   in Loop: Header=BB403_13 Depth=1
	s_or_b32 exec_lo, exec_lo, s20
	v_mov_b32_e32 v28, 0
	s_mov_b32 s20, exec_lo
	v_cmpx_lt_u32_e32 0xffffff, v163
	s_cbranch_execz .LBB403_252
; %bb.245:                              ;   in Loop: Header=BB403_13 Depth=1
	v_lshrrev_b32_e32 v164, 24, v163
	v_bfrev_b32_e32 v28, 1
	s_mov_b32 s21, exec_lo
	s_delay_alu instid0(VALU_DEP_2)
	v_cmpx_ne_u32_e32 0x80, v164
	s_cbranch_execz .LBB403_251
; %bb.246:                              ;   in Loop: Header=BB403_13 Depth=1
	v_bfe_u32 v165, v163, 24, 7
	v_mov_b32_e32 v28, 0x7f800001
	s_mov_b32 s22, exec_lo
	s_delay_alu instid0(VALU_DEP_2)
	v_cmpx_ne_u32_e32 0x7f, v165
	s_cbranch_execz .LBB403_250
; %bb.247:                              ;   in Loop: Header=BB403_13 Depth=1
	v_and_b32_e32 v28, 7, v164
	v_lshrrev_b32_e32 v163, 3, v165
	s_mov_b32 s23, exec_lo
	v_cmpx_gt_u32_e32 8, v165
; %bb.248:                              ;   in Loop: Header=BB403_13 Depth=1
	s_delay_alu instid0(VALU_DEP_3) | instskip(NEXT) | instid1(VALU_DEP_1)
	v_clz_i32_u32_e32 v163, v28
	v_min_u32_e32 v163, 32, v163
	s_delay_alu instid0(VALU_DEP_1) | instskip(SKIP_1) | instid1(VALU_DEP_2)
	v_subrev_nc_u32_e32 v165, 28, v163
	v_sub_nc_u32_e32 v163, 29, v163
	v_lshlrev_b64 v[165:166], v165, v[28:29]
	s_delay_alu instid0(VALU_DEP_1)
	v_and_b32_e32 v28, 7, v165
; %bb.249:                              ;   in Loop: Header=BB403_13 Depth=1
	s_or_b32 exec_lo, exec_lo, s23
	v_lshlrev_b32_e32 v164, 24, v164
	s_delay_alu instid0(VALU_DEP_2) | instskip(SKIP_1) | instid1(VALU_DEP_3)
	v_lshlrev_b32_e32 v28, 20, v28
	v_lshl_add_u32 v163, v163, 23, 0x3c000000
	v_and_b32_e32 v164, 0x80000000, v164
	s_delay_alu instid0(VALU_DEP_1)
	v_or3_b32 v28, v28, v164, v163
.LBB403_250:                            ;   in Loop: Header=BB403_13 Depth=1
	s_or_b32 exec_lo, exec_lo, s22
.LBB403_251:                            ;   in Loop: Header=BB403_13 Depth=1
	s_delay_alu instid0(SALU_CYCLE_1)
	s_or_b32 exec_lo, exec_lo, s21
.LBB403_252:                            ;   in Loop: Header=BB403_13 Depth=1
	s_delay_alu instid0(SALU_CYCLE_1) | instskip(NEXT) | instid1(VALU_DEP_1)
	s_or_b32 exec_lo, exec_lo, s20
	v_mul_f32_e32 v28, v119, v28
	s_delay_alu instid0(VALU_DEP_1) | instskip(NEXT) | instid1(VALU_DEP_1)
	v_and_b32_e32 v163, 0x7f800000, v28
	v_cmp_ne_u32_e64 s2, 0x7f800000, v163
                                        ; implicit-def: $vgpr163
	s_delay_alu instid0(VALU_DEP_1) | instskip(NEXT) | instid1(SALU_CYCLE_1)
	s_and_saveexec_b32 s20, s2
	s_xor_b32 s2, exec_lo, s20
; %bb.253:                              ;   in Loop: Header=BB403_13 Depth=1
	v_bfe_u32 v163, v28, 16, 1
	s_delay_alu instid0(VALU_DEP_1)
	v_add3_u32 v163, v28, v163, 0x7fff
                                        ; implicit-def: $vgpr28
; %bb.254:                              ;   in Loop: Header=BB403_13 Depth=1
	s_and_not1_saveexec_b32 s20, s2
; %bb.255:                              ;   in Loop: Header=BB403_13 Depth=1
	v_and_b32_e32 v163, 0xffff, v28
	v_or_b32_e32 v164, 0x10000, v28
	s_delay_alu instid0(VALU_DEP_2) | instskip(NEXT) | instid1(VALU_DEP_1)
	v_cmp_eq_u32_e64 s2, 0, v163
	v_cndmask_b32_e64 v163, v164, v28, s2
; %bb.256:                              ;   in Loop: Header=BB403_13 Depth=1
	s_or_b32 exec_lo, exec_lo, s20
	flat_load_b32 v167, v[68:69] offset:520
	v_mov_b32_e32 v28, 0
	s_mov_b32 s20, exec_lo
	s_waitcnt vmcnt(0) lgkmcnt(0)
	v_and_b32_e32 v164, 0xff, v167
	s_delay_alu instid0(VALU_DEP_1)
	v_cmpx_ne_u16_e64 0, v164
	s_cbranch_execz .LBB403_264
; %bb.257:                              ;   in Loop: Header=BB403_13 Depth=1
	v_bfrev_b32_e32 v28, 1
	s_mov_b32 s21, exec_lo
	v_cmpx_ne_u16_e64 0x80, v164
	s_cbranch_execz .LBB403_263
; %bb.258:                              ;   in Loop: Header=BB403_13 Depth=1
	v_and_b32_e32 v165, 0x7f, v167
	v_mov_b32_e32 v28, 0x7f800001
	s_mov_b32 s22, exec_lo
	s_delay_alu instid0(VALU_DEP_2)
	v_cmpx_ne_u32_e32 0x7f, v165
	s_cbranch_execz .LBB403_262
; %bb.259:                              ;   in Loop: Header=BB403_13 Depth=1
	v_and_b32_e32 v28, 7, v167
	v_lshrrev_b32_e32 v164, 3, v165
	s_mov_b32 s23, exec_lo
	v_cmpx_gt_u32_e32 8, v165
; %bb.260:                              ;   in Loop: Header=BB403_13 Depth=1
	s_delay_alu instid0(VALU_DEP_3) | instskip(NEXT) | instid1(VALU_DEP_1)
	v_clz_i32_u32_e32 v164, v28
	v_min_u32_e32 v164, 32, v164
	s_delay_alu instid0(VALU_DEP_1) | instskip(SKIP_1) | instid1(VALU_DEP_2)
	v_subrev_nc_u32_e32 v165, 28, v164
	v_sub_nc_u32_e32 v164, 29, v164
	v_lshlrev_b64 v[165:166], v165, v[28:29]
	s_delay_alu instid0(VALU_DEP_1)
	v_and_b32_e32 v28, 7, v165
; %bb.261:                              ;   in Loop: Header=BB403_13 Depth=1
	s_or_b32 exec_lo, exec_lo, s23
	v_lshlrev_b32_e32 v165, 24, v167
	s_delay_alu instid0(VALU_DEP_2) | instskip(SKIP_1) | instid1(VALU_DEP_3)
	v_lshlrev_b32_e32 v28, 20, v28
	v_lshl_add_u32 v164, v164, 23, 0x3c000000
	v_and_b32_e32 v165, 0x80000000, v165
	s_delay_alu instid0(VALU_DEP_1)
	v_or3_b32 v28, v28, v165, v164
.LBB403_262:                            ;   in Loop: Header=BB403_13 Depth=1
	s_or_b32 exec_lo, exec_lo, s22
.LBB403_263:                            ;   in Loop: Header=BB403_13 Depth=1
	s_delay_alu instid0(SALU_CYCLE_1)
	s_or_b32 exec_lo, exec_lo, s21
.LBB403_264:                            ;   in Loop: Header=BB403_13 Depth=1
	s_delay_alu instid0(SALU_CYCLE_1) | instskip(NEXT) | instid1(VALU_DEP_1)
	s_or_b32 exec_lo, exec_lo, s20
	v_mul_f32_e32 v28, v119, v28
	s_delay_alu instid0(VALU_DEP_1) | instskip(NEXT) | instid1(VALU_DEP_1)
	v_and_b32_e32 v164, 0x7f800000, v28
	v_cmp_ne_u32_e64 s2, 0x7f800000, v164
                                        ; implicit-def: $vgpr164
	s_delay_alu instid0(VALU_DEP_1) | instskip(NEXT) | instid1(SALU_CYCLE_1)
	s_and_saveexec_b32 s20, s2
	s_xor_b32 s2, exec_lo, s20
; %bb.265:                              ;   in Loop: Header=BB403_13 Depth=1
	v_bfe_u32 v164, v28, 16, 1
	s_delay_alu instid0(VALU_DEP_1)
	v_add3_u32 v164, v28, v164, 0x7fff
                                        ; implicit-def: $vgpr28
; %bb.266:                              ;   in Loop: Header=BB403_13 Depth=1
	s_and_not1_saveexec_b32 s20, s2
; %bb.267:                              ;   in Loop: Header=BB403_13 Depth=1
	v_and_b32_e32 v164, 0xffff, v28
	v_or_b32_e32 v165, 0x10000, v28
	s_delay_alu instid0(VALU_DEP_2) | instskip(NEXT) | instid1(VALU_DEP_1)
	v_cmp_eq_u32_e64 s2, 0, v164
	v_cndmask_b32_e64 v164, v165, v28, s2
; %bb.268:                              ;   in Loop: Header=BB403_13 Depth=1
	s_or_b32 exec_lo, exec_lo, s20
	v_lshrrev_b16 v165, 8, v167
	v_mov_b32_e32 v28, 0
	s_mov_b32 s20, exec_lo
	s_delay_alu instid0(VALU_DEP_2)
	v_cmpx_ne_u16_e64 0, v165
	s_cbranch_execz .LBB403_276
; %bb.269:                              ;   in Loop: Header=BB403_13 Depth=1
	v_bfrev_b32_e32 v28, 1
	s_mov_b32 s21, exec_lo
	v_cmpx_ne_u16_e64 0x80, v165
	s_cbranch_execz .LBB403_275
; %bb.270:                              ;   in Loop: Header=BB403_13 Depth=1
	v_and_b32_e32 v165, 0xffff, v165
	v_mov_b32_e32 v28, 0x7f800001
	s_mov_b32 s22, exec_lo
	s_delay_alu instid0(VALU_DEP_2) | instskip(NEXT) | instid1(VALU_DEP_1)
	v_and_b32_e32 v166, 0x7f, v165
	v_cmpx_ne_u32_e32 0x7f, v166
	s_cbranch_execz .LBB403_274
; %bb.271:                              ;   in Loop: Header=BB403_13 Depth=1
	v_and_b32_e32 v28, 7, v165
	v_lshrrev_b32_e32 v165, 3, v166
	s_mov_b32 s23, exec_lo
	v_cmpx_gt_u32_e32 8, v166
; %bb.272:                              ;   in Loop: Header=BB403_13 Depth=1
	s_delay_alu instid0(VALU_DEP_3) | instskip(NEXT) | instid1(VALU_DEP_1)
	v_clz_i32_u32_e32 v165, v28
	v_min_u32_e32 v165, 32, v165
	s_delay_alu instid0(VALU_DEP_1) | instskip(SKIP_1) | instid1(VALU_DEP_2)
	v_subrev_nc_u32_e32 v166, 28, v165
	v_sub_nc_u32_e32 v165, 29, v165
	v_lshlrev_b64 v[176:177], v166, v[28:29]
	s_delay_alu instid0(VALU_DEP_1)
	v_and_b32_e32 v28, 7, v176
; %bb.273:                              ;   in Loop: Header=BB403_13 Depth=1
	s_or_b32 exec_lo, exec_lo, s23
	v_lshlrev_b32_e32 v166, 16, v167
	s_delay_alu instid0(VALU_DEP_2) | instskip(SKIP_1) | instid1(VALU_DEP_3)
	v_lshlrev_b32_e32 v28, 20, v28
	v_lshl_add_u32 v165, v165, 23, 0x3c000000
	v_and_b32_e32 v166, 0x80000000, v166
	s_delay_alu instid0(VALU_DEP_1)
	v_or3_b32 v28, v28, v166, v165
.LBB403_274:                            ;   in Loop: Header=BB403_13 Depth=1
	s_or_b32 exec_lo, exec_lo, s22
.LBB403_275:                            ;   in Loop: Header=BB403_13 Depth=1
	s_delay_alu instid0(SALU_CYCLE_1)
	s_or_b32 exec_lo, exec_lo, s21
.LBB403_276:                            ;   in Loop: Header=BB403_13 Depth=1
	s_delay_alu instid0(SALU_CYCLE_1) | instskip(NEXT) | instid1(VALU_DEP_1)
	s_or_b32 exec_lo, exec_lo, s20
	v_mul_f32_e32 v28, v119, v28
	s_delay_alu instid0(VALU_DEP_1) | instskip(NEXT) | instid1(VALU_DEP_1)
	v_and_b32_e32 v165, 0x7f800000, v28
	v_cmp_ne_u32_e64 s2, 0x7f800000, v165
                                        ; implicit-def: $vgpr165
	s_delay_alu instid0(VALU_DEP_1) | instskip(NEXT) | instid1(SALU_CYCLE_1)
	s_and_saveexec_b32 s20, s2
	s_xor_b32 s2, exec_lo, s20
; %bb.277:                              ;   in Loop: Header=BB403_13 Depth=1
	v_bfe_u32 v165, v28, 16, 1
	s_delay_alu instid0(VALU_DEP_1)
	v_add3_u32 v165, v28, v165, 0x7fff
                                        ; implicit-def: $vgpr28
; %bb.278:                              ;   in Loop: Header=BB403_13 Depth=1
	s_and_not1_saveexec_b32 s20, s2
; %bb.279:                              ;   in Loop: Header=BB403_13 Depth=1
	v_and_b32_e32 v165, 0xffff, v28
	v_or_b32_e32 v166, 0x10000, v28
	s_delay_alu instid0(VALU_DEP_2) | instskip(NEXT) | instid1(VALU_DEP_1)
	v_cmp_eq_u32_e64 s2, 0, v165
	v_cndmask_b32_e64 v165, v166, v28, s2
; %bb.280:                              ;   in Loop: Header=BB403_13 Depth=1
	s_or_b32 exec_lo, exec_lo, s20
	v_lshrrev_b32_e32 v166, 16, v167
	v_mov_b32_e32 v28, 0
	s_mov_b32 s20, exec_lo
	s_delay_alu instid0(VALU_DEP_2) | instskip(NEXT) | instid1(VALU_DEP_1)
	v_and_b32_e32 v176, 0xff, v166
	v_cmpx_ne_u16_e64 0, v176
	s_cbranch_execz .LBB403_288
; %bb.281:                              ;   in Loop: Header=BB403_13 Depth=1
	v_bfrev_b32_e32 v28, 1
	s_mov_b32 s21, exec_lo
	v_cmpx_ne_u16_e64 0x80, v176
	s_cbranch_execz .LBB403_287
; %bb.282:                              ;   in Loop: Header=BB403_13 Depth=1
	v_bfe_u32 v177, v167, 16, 7
	v_mov_b32_e32 v28, 0x7f800001
	s_mov_b32 s22, exec_lo
	s_delay_alu instid0(VALU_DEP_2)
	v_cmpx_ne_u32_e32 0x7f, v177
	s_cbranch_execz .LBB403_286
; %bb.283:                              ;   in Loop: Header=BB403_13 Depth=1
	v_and_b32_e32 v28, 7, v166
	v_lshrrev_b32_e32 v176, 3, v177
	s_mov_b32 s23, exec_lo
	v_cmpx_gt_u32_e32 8, v177
; %bb.284:                              ;   in Loop: Header=BB403_13 Depth=1
	s_delay_alu instid0(VALU_DEP_3) | instskip(NEXT) | instid1(VALU_DEP_1)
	v_clz_i32_u32_e32 v176, v28
	v_min_u32_e32 v176, 32, v176
	s_delay_alu instid0(VALU_DEP_1) | instskip(SKIP_1) | instid1(VALU_DEP_2)
	v_subrev_nc_u32_e32 v177, 28, v176
	v_sub_nc_u32_e32 v176, 29, v176
	v_lshlrev_b64 v[177:178], v177, v[28:29]
	s_delay_alu instid0(VALU_DEP_1)
	v_and_b32_e32 v28, 7, v177
; %bb.285:                              ;   in Loop: Header=BB403_13 Depth=1
	s_or_b32 exec_lo, exec_lo, s23
	v_lshlrev_b32_e32 v166, 24, v166
	s_delay_alu instid0(VALU_DEP_2) | instskip(SKIP_1) | instid1(VALU_DEP_3)
	v_lshlrev_b32_e32 v28, 20, v28
	v_lshl_add_u32 v176, v176, 23, 0x3c000000
	v_and_b32_e32 v166, 0x80000000, v166
	s_delay_alu instid0(VALU_DEP_1)
	v_or3_b32 v28, v28, v166, v176
.LBB403_286:                            ;   in Loop: Header=BB403_13 Depth=1
	s_or_b32 exec_lo, exec_lo, s22
.LBB403_287:                            ;   in Loop: Header=BB403_13 Depth=1
	s_delay_alu instid0(SALU_CYCLE_1)
	s_or_b32 exec_lo, exec_lo, s21
.LBB403_288:                            ;   in Loop: Header=BB403_13 Depth=1
	s_delay_alu instid0(SALU_CYCLE_1) | instskip(NEXT) | instid1(VALU_DEP_1)
	s_or_b32 exec_lo, exec_lo, s20
	v_mul_f32_e32 v28, v119, v28
	s_delay_alu instid0(VALU_DEP_1) | instskip(NEXT) | instid1(VALU_DEP_1)
	v_and_b32_e32 v166, 0x7f800000, v28
	v_cmp_ne_u32_e64 s2, 0x7f800000, v166
                                        ; implicit-def: $vgpr166
	s_delay_alu instid0(VALU_DEP_1) | instskip(NEXT) | instid1(SALU_CYCLE_1)
	s_and_saveexec_b32 s20, s2
	s_xor_b32 s2, exec_lo, s20
; %bb.289:                              ;   in Loop: Header=BB403_13 Depth=1
	v_bfe_u32 v166, v28, 16, 1
	s_delay_alu instid0(VALU_DEP_1)
	v_add3_u32 v166, v28, v166, 0x7fff
                                        ; implicit-def: $vgpr28
; %bb.290:                              ;   in Loop: Header=BB403_13 Depth=1
	s_and_not1_saveexec_b32 s20, s2
; %bb.291:                              ;   in Loop: Header=BB403_13 Depth=1
	v_and_b32_e32 v166, 0xffff, v28
	v_or_b32_e32 v176, 0x10000, v28
	s_delay_alu instid0(VALU_DEP_2) | instskip(NEXT) | instid1(VALU_DEP_1)
	v_cmp_eq_u32_e64 s2, 0, v166
	v_cndmask_b32_e64 v166, v176, v28, s2
; %bb.292:                              ;   in Loop: Header=BB403_13 Depth=1
	s_or_b32 exec_lo, exec_lo, s20
	v_mov_b32_e32 v28, 0
	s_mov_b32 s20, exec_lo
	v_cmpx_lt_u32_e32 0xffffff, v167
	s_cbranch_execz .LBB403_300
; %bb.293:                              ;   in Loop: Header=BB403_13 Depth=1
	v_lshrrev_b32_e32 v176, 24, v167
	v_bfrev_b32_e32 v28, 1
	s_mov_b32 s21, exec_lo
	s_delay_alu instid0(VALU_DEP_2)
	v_cmpx_ne_u32_e32 0x80, v176
	s_cbranch_execz .LBB403_299
; %bb.294:                              ;   in Loop: Header=BB403_13 Depth=1
	v_bfe_u32 v177, v167, 24, 7
	v_mov_b32_e32 v28, 0x7f800001
	s_mov_b32 s22, exec_lo
	s_delay_alu instid0(VALU_DEP_2)
	v_cmpx_ne_u32_e32 0x7f, v177
	s_cbranch_execz .LBB403_298
; %bb.295:                              ;   in Loop: Header=BB403_13 Depth=1
	v_and_b32_e32 v28, 7, v176
	v_lshrrev_b32_e32 v167, 3, v177
	s_mov_b32 s23, exec_lo
	v_cmpx_gt_u32_e32 8, v177
; %bb.296:                              ;   in Loop: Header=BB403_13 Depth=1
	s_delay_alu instid0(VALU_DEP_3) | instskip(NEXT) | instid1(VALU_DEP_1)
	v_clz_i32_u32_e32 v167, v28
	v_min_u32_e32 v167, 32, v167
	s_delay_alu instid0(VALU_DEP_1) | instskip(SKIP_1) | instid1(VALU_DEP_2)
	v_subrev_nc_u32_e32 v177, 28, v167
	v_sub_nc_u32_e32 v167, 29, v167
	v_lshlrev_b64 v[177:178], v177, v[28:29]
	s_delay_alu instid0(VALU_DEP_1)
	v_and_b32_e32 v28, 7, v177
; %bb.297:                              ;   in Loop: Header=BB403_13 Depth=1
	s_or_b32 exec_lo, exec_lo, s23
	v_lshlrev_b32_e32 v176, 24, v176
	s_delay_alu instid0(VALU_DEP_2) | instskip(SKIP_1) | instid1(VALU_DEP_3)
	v_lshlrev_b32_e32 v28, 20, v28
	v_lshl_add_u32 v167, v167, 23, 0x3c000000
	v_and_b32_e32 v176, 0x80000000, v176
	s_delay_alu instid0(VALU_DEP_1)
	v_or3_b32 v28, v28, v176, v167
.LBB403_298:                            ;   in Loop: Header=BB403_13 Depth=1
	s_or_b32 exec_lo, exec_lo, s22
.LBB403_299:                            ;   in Loop: Header=BB403_13 Depth=1
	s_delay_alu instid0(SALU_CYCLE_1)
	s_or_b32 exec_lo, exec_lo, s21
.LBB403_300:                            ;   in Loop: Header=BB403_13 Depth=1
	s_delay_alu instid0(SALU_CYCLE_1) | instskip(NEXT) | instid1(VALU_DEP_1)
	s_or_b32 exec_lo, exec_lo, s20
	v_mul_f32_e32 v28, v119, v28
	s_delay_alu instid0(VALU_DEP_1) | instskip(NEXT) | instid1(VALU_DEP_1)
	v_and_b32_e32 v167, 0x7f800000, v28
	v_cmp_ne_u32_e64 s2, 0x7f800000, v167
                                        ; implicit-def: $vgpr167
	s_delay_alu instid0(VALU_DEP_1) | instskip(NEXT) | instid1(SALU_CYCLE_1)
	s_and_saveexec_b32 s20, s2
	s_xor_b32 s2, exec_lo, s20
; %bb.301:                              ;   in Loop: Header=BB403_13 Depth=1
	v_bfe_u32 v167, v28, 16, 1
	s_delay_alu instid0(VALU_DEP_1)
	v_add3_u32 v167, v28, v167, 0x7fff
                                        ; implicit-def: $vgpr28
; %bb.302:                              ;   in Loop: Header=BB403_13 Depth=1
	s_and_not1_saveexec_b32 s20, s2
; %bb.303:                              ;   in Loop: Header=BB403_13 Depth=1
	v_and_b32_e32 v167, 0xffff, v28
	v_or_b32_e32 v176, 0x10000, v28
	s_delay_alu instid0(VALU_DEP_2) | instskip(NEXT) | instid1(VALU_DEP_1)
	v_cmp_eq_u32_e64 s2, 0, v167
	v_cndmask_b32_e64 v167, v176, v28, s2
; %bb.304:                              ;   in Loop: Header=BB403_13 Depth=1
	s_or_b32 exec_lo, exec_lo, s20
	flat_load_b32 v179, v[68:69] offset:768
	v_mov_b32_e32 v28, 0
	s_mov_b32 s20, exec_lo
	s_waitcnt vmcnt(0) lgkmcnt(0)
	v_and_b32_e32 v176, 0xff, v179
	s_delay_alu instid0(VALU_DEP_1)
	v_cmpx_ne_u16_e64 0, v176
	s_cbranch_execz .LBB403_312
; %bb.305:                              ;   in Loop: Header=BB403_13 Depth=1
	v_bfrev_b32_e32 v28, 1
	s_mov_b32 s21, exec_lo
	v_cmpx_ne_u16_e64 0x80, v176
	s_cbranch_execz .LBB403_311
; %bb.306:                              ;   in Loop: Header=BB403_13 Depth=1
	v_and_b32_e32 v177, 0x7f, v179
	v_mov_b32_e32 v28, 0x7f800001
	s_mov_b32 s22, exec_lo
	s_delay_alu instid0(VALU_DEP_2)
	v_cmpx_ne_u32_e32 0x7f, v177
	s_cbranch_execz .LBB403_310
; %bb.307:                              ;   in Loop: Header=BB403_13 Depth=1
	v_and_b32_e32 v28, 7, v179
	v_lshrrev_b32_e32 v176, 3, v177
	s_mov_b32 s23, exec_lo
	v_cmpx_gt_u32_e32 8, v177
; %bb.308:                              ;   in Loop: Header=BB403_13 Depth=1
	s_delay_alu instid0(VALU_DEP_3) | instskip(NEXT) | instid1(VALU_DEP_1)
	v_clz_i32_u32_e32 v176, v28
	v_min_u32_e32 v176, 32, v176
	s_delay_alu instid0(VALU_DEP_1) | instskip(SKIP_1) | instid1(VALU_DEP_2)
	v_subrev_nc_u32_e32 v177, 28, v176
	v_sub_nc_u32_e32 v176, 29, v176
	v_lshlrev_b64 v[177:178], v177, v[28:29]
	s_delay_alu instid0(VALU_DEP_1)
	v_and_b32_e32 v28, 7, v177
; %bb.309:                              ;   in Loop: Header=BB403_13 Depth=1
	s_or_b32 exec_lo, exec_lo, s23
	v_lshlrev_b32_e32 v177, 24, v179
	s_delay_alu instid0(VALU_DEP_2) | instskip(SKIP_1) | instid1(VALU_DEP_3)
	v_lshlrev_b32_e32 v28, 20, v28
	v_lshl_add_u32 v176, v176, 23, 0x3c000000
	v_and_b32_e32 v177, 0x80000000, v177
	s_delay_alu instid0(VALU_DEP_1)
	v_or3_b32 v28, v28, v177, v176
.LBB403_310:                            ;   in Loop: Header=BB403_13 Depth=1
	s_or_b32 exec_lo, exec_lo, s22
.LBB403_311:                            ;   in Loop: Header=BB403_13 Depth=1
	s_delay_alu instid0(SALU_CYCLE_1)
	s_or_b32 exec_lo, exec_lo, s21
.LBB403_312:                            ;   in Loop: Header=BB403_13 Depth=1
	s_delay_alu instid0(SALU_CYCLE_1) | instskip(NEXT) | instid1(VALU_DEP_1)
	s_or_b32 exec_lo, exec_lo, s20
	v_mul_f32_e32 v28, v119, v28
	s_delay_alu instid0(VALU_DEP_1) | instskip(NEXT) | instid1(VALU_DEP_1)
	v_and_b32_e32 v176, 0x7f800000, v28
	v_cmp_ne_u32_e64 s2, 0x7f800000, v176
                                        ; implicit-def: $vgpr176
	s_delay_alu instid0(VALU_DEP_1) | instskip(NEXT) | instid1(SALU_CYCLE_1)
	s_and_saveexec_b32 s20, s2
	s_xor_b32 s2, exec_lo, s20
; %bb.313:                              ;   in Loop: Header=BB403_13 Depth=1
	v_bfe_u32 v176, v28, 16, 1
	s_delay_alu instid0(VALU_DEP_1)
	v_add3_u32 v176, v28, v176, 0x7fff
                                        ; implicit-def: $vgpr28
; %bb.314:                              ;   in Loop: Header=BB403_13 Depth=1
	s_and_not1_saveexec_b32 s20, s2
; %bb.315:                              ;   in Loop: Header=BB403_13 Depth=1
	v_and_b32_e32 v176, 0xffff, v28
	v_or_b32_e32 v177, 0x10000, v28
	s_delay_alu instid0(VALU_DEP_2) | instskip(NEXT) | instid1(VALU_DEP_1)
	v_cmp_eq_u32_e64 s2, 0, v176
	v_cndmask_b32_e64 v176, v177, v28, s2
; %bb.316:                              ;   in Loop: Header=BB403_13 Depth=1
	s_or_b32 exec_lo, exec_lo, s20
	v_lshrrev_b16 v177, 8, v179
	v_mov_b32_e32 v28, 0
	s_mov_b32 s20, exec_lo
	s_delay_alu instid0(VALU_DEP_2)
	v_cmpx_ne_u16_e64 0, v177
	s_cbranch_execz .LBB403_324
; %bb.317:                              ;   in Loop: Header=BB403_13 Depth=1
	v_bfrev_b32_e32 v28, 1
	s_mov_b32 s21, exec_lo
	v_cmpx_ne_u16_e64 0x80, v177
	s_cbranch_execz .LBB403_323
; %bb.318:                              ;   in Loop: Header=BB403_13 Depth=1
	v_and_b32_e32 v177, 0xffff, v177
	v_mov_b32_e32 v28, 0x7f800001
	s_mov_b32 s22, exec_lo
	s_delay_alu instid0(VALU_DEP_2) | instskip(NEXT) | instid1(VALU_DEP_1)
	v_and_b32_e32 v178, 0x7f, v177
	v_cmpx_ne_u32_e32 0x7f, v178
	s_cbranch_execz .LBB403_322
; %bb.319:                              ;   in Loop: Header=BB403_13 Depth=1
	v_and_b32_e32 v28, 7, v177
	v_lshrrev_b32_e32 v177, 3, v178
	s_mov_b32 s23, exec_lo
	v_cmpx_gt_u32_e32 8, v178
; %bb.320:                              ;   in Loop: Header=BB403_13 Depth=1
	s_delay_alu instid0(VALU_DEP_3) | instskip(NEXT) | instid1(VALU_DEP_1)
	v_clz_i32_u32_e32 v177, v28
	v_min_u32_e32 v177, 32, v177
	s_delay_alu instid0(VALU_DEP_1) | instskip(SKIP_1) | instid1(VALU_DEP_2)
	v_subrev_nc_u32_e32 v178, 28, v177
	v_sub_nc_u32_e32 v177, 29, v177
	v_lshlrev_b64 v[180:181], v178, v[28:29]
	s_delay_alu instid0(VALU_DEP_1)
	v_and_b32_e32 v28, 7, v180
; %bb.321:                              ;   in Loop: Header=BB403_13 Depth=1
	s_or_b32 exec_lo, exec_lo, s23
	v_lshlrev_b32_e32 v178, 16, v179
	s_delay_alu instid0(VALU_DEP_2) | instskip(SKIP_1) | instid1(VALU_DEP_3)
	v_lshlrev_b32_e32 v28, 20, v28
	v_lshl_add_u32 v177, v177, 23, 0x3c000000
	v_and_b32_e32 v178, 0x80000000, v178
	s_delay_alu instid0(VALU_DEP_1)
	v_or3_b32 v28, v28, v178, v177
.LBB403_322:                            ;   in Loop: Header=BB403_13 Depth=1
	s_or_b32 exec_lo, exec_lo, s22
.LBB403_323:                            ;   in Loop: Header=BB403_13 Depth=1
	s_delay_alu instid0(SALU_CYCLE_1)
	s_or_b32 exec_lo, exec_lo, s21
.LBB403_324:                            ;   in Loop: Header=BB403_13 Depth=1
	s_delay_alu instid0(SALU_CYCLE_1) | instskip(NEXT) | instid1(VALU_DEP_1)
	s_or_b32 exec_lo, exec_lo, s20
	v_mul_f32_e32 v28, v119, v28
	s_delay_alu instid0(VALU_DEP_1) | instskip(NEXT) | instid1(VALU_DEP_1)
	v_and_b32_e32 v177, 0x7f800000, v28
	v_cmp_ne_u32_e64 s2, 0x7f800000, v177
                                        ; implicit-def: $vgpr177
	s_delay_alu instid0(VALU_DEP_1) | instskip(NEXT) | instid1(SALU_CYCLE_1)
	s_and_saveexec_b32 s20, s2
	s_xor_b32 s2, exec_lo, s20
; %bb.325:                              ;   in Loop: Header=BB403_13 Depth=1
	v_bfe_u32 v177, v28, 16, 1
	s_delay_alu instid0(VALU_DEP_1)
	v_add3_u32 v177, v28, v177, 0x7fff
                                        ; implicit-def: $vgpr28
; %bb.326:                              ;   in Loop: Header=BB403_13 Depth=1
	s_and_not1_saveexec_b32 s20, s2
; %bb.327:                              ;   in Loop: Header=BB403_13 Depth=1
	v_and_b32_e32 v177, 0xffff, v28
	v_or_b32_e32 v178, 0x10000, v28
	s_delay_alu instid0(VALU_DEP_2) | instskip(NEXT) | instid1(VALU_DEP_1)
	v_cmp_eq_u32_e64 s2, 0, v177
	v_cndmask_b32_e64 v177, v178, v28, s2
; %bb.328:                              ;   in Loop: Header=BB403_13 Depth=1
	s_or_b32 exec_lo, exec_lo, s20
	v_lshrrev_b32_e32 v178, 16, v179
	v_mov_b32_e32 v28, 0
	s_mov_b32 s20, exec_lo
	s_delay_alu instid0(VALU_DEP_2) | instskip(NEXT) | instid1(VALU_DEP_1)
	v_and_b32_e32 v180, 0xff, v178
	v_cmpx_ne_u16_e64 0, v180
	s_cbranch_execz .LBB403_336
; %bb.329:                              ;   in Loop: Header=BB403_13 Depth=1
	v_bfrev_b32_e32 v28, 1
	s_mov_b32 s21, exec_lo
	v_cmpx_ne_u16_e64 0x80, v180
	s_cbranch_execz .LBB403_335
; %bb.330:                              ;   in Loop: Header=BB403_13 Depth=1
	v_bfe_u32 v181, v179, 16, 7
	v_mov_b32_e32 v28, 0x7f800001
	s_mov_b32 s22, exec_lo
	s_delay_alu instid0(VALU_DEP_2)
	v_cmpx_ne_u32_e32 0x7f, v181
	s_cbranch_execz .LBB403_334
; %bb.331:                              ;   in Loop: Header=BB403_13 Depth=1
	v_and_b32_e32 v28, 7, v178
	v_lshrrev_b32_e32 v180, 3, v181
	s_mov_b32 s23, exec_lo
	v_cmpx_gt_u32_e32 8, v181
; %bb.332:                              ;   in Loop: Header=BB403_13 Depth=1
	s_delay_alu instid0(VALU_DEP_3) | instskip(NEXT) | instid1(VALU_DEP_1)
	v_clz_i32_u32_e32 v180, v28
	v_min_u32_e32 v180, 32, v180
	s_delay_alu instid0(VALU_DEP_1) | instskip(SKIP_1) | instid1(VALU_DEP_2)
	v_subrev_nc_u32_e32 v181, 28, v180
	v_sub_nc_u32_e32 v180, 29, v180
	v_lshlrev_b64 v[181:182], v181, v[28:29]
	s_delay_alu instid0(VALU_DEP_1)
	v_and_b32_e32 v28, 7, v181
; %bb.333:                              ;   in Loop: Header=BB403_13 Depth=1
	s_or_b32 exec_lo, exec_lo, s23
	v_lshlrev_b32_e32 v178, 24, v178
	s_delay_alu instid0(VALU_DEP_2) | instskip(SKIP_1) | instid1(VALU_DEP_3)
	v_lshlrev_b32_e32 v28, 20, v28
	v_lshl_add_u32 v180, v180, 23, 0x3c000000
	v_and_b32_e32 v178, 0x80000000, v178
	s_delay_alu instid0(VALU_DEP_1)
	v_or3_b32 v28, v28, v178, v180
.LBB403_334:                            ;   in Loop: Header=BB403_13 Depth=1
	s_or_b32 exec_lo, exec_lo, s22
.LBB403_335:                            ;   in Loop: Header=BB403_13 Depth=1
	s_delay_alu instid0(SALU_CYCLE_1)
	s_or_b32 exec_lo, exec_lo, s21
.LBB403_336:                            ;   in Loop: Header=BB403_13 Depth=1
	s_delay_alu instid0(SALU_CYCLE_1) | instskip(NEXT) | instid1(VALU_DEP_1)
	s_or_b32 exec_lo, exec_lo, s20
	v_mul_f32_e32 v28, v119, v28
	s_delay_alu instid0(VALU_DEP_1) | instskip(NEXT) | instid1(VALU_DEP_1)
	v_and_b32_e32 v178, 0x7f800000, v28
	v_cmp_ne_u32_e64 s2, 0x7f800000, v178
                                        ; implicit-def: $vgpr178
	s_delay_alu instid0(VALU_DEP_1) | instskip(NEXT) | instid1(SALU_CYCLE_1)
	s_and_saveexec_b32 s20, s2
	s_xor_b32 s2, exec_lo, s20
; %bb.337:                              ;   in Loop: Header=BB403_13 Depth=1
	v_bfe_u32 v178, v28, 16, 1
	s_delay_alu instid0(VALU_DEP_1)
	v_add3_u32 v178, v28, v178, 0x7fff
                                        ; implicit-def: $vgpr28
; %bb.338:                              ;   in Loop: Header=BB403_13 Depth=1
	s_and_not1_saveexec_b32 s20, s2
; %bb.339:                              ;   in Loop: Header=BB403_13 Depth=1
	v_and_b32_e32 v178, 0xffff, v28
	v_or_b32_e32 v180, 0x10000, v28
	s_delay_alu instid0(VALU_DEP_2) | instskip(NEXT) | instid1(VALU_DEP_1)
	v_cmp_eq_u32_e64 s2, 0, v178
	v_cndmask_b32_e64 v178, v180, v28, s2
; %bb.340:                              ;   in Loop: Header=BB403_13 Depth=1
	s_or_b32 exec_lo, exec_lo, s20
	v_mov_b32_e32 v28, 0
	s_mov_b32 s20, exec_lo
	v_cmpx_lt_u32_e32 0xffffff, v179
	s_cbranch_execz .LBB403_348
; %bb.341:                              ;   in Loop: Header=BB403_13 Depth=1
	v_lshrrev_b32_e32 v180, 24, v179
	v_bfrev_b32_e32 v28, 1
	s_mov_b32 s21, exec_lo
	s_delay_alu instid0(VALU_DEP_2)
	v_cmpx_ne_u32_e32 0x80, v180
	s_cbranch_execz .LBB403_347
; %bb.342:                              ;   in Loop: Header=BB403_13 Depth=1
	v_bfe_u32 v181, v179, 24, 7
	v_mov_b32_e32 v28, 0x7f800001
	s_mov_b32 s22, exec_lo
	s_delay_alu instid0(VALU_DEP_2)
	v_cmpx_ne_u32_e32 0x7f, v181
	s_cbranch_execz .LBB403_346
; %bb.343:                              ;   in Loop: Header=BB403_13 Depth=1
	v_and_b32_e32 v28, 7, v180
	v_lshrrev_b32_e32 v179, 3, v181
	s_mov_b32 s23, exec_lo
	v_cmpx_gt_u32_e32 8, v181
; %bb.344:                              ;   in Loop: Header=BB403_13 Depth=1
	s_delay_alu instid0(VALU_DEP_3) | instskip(NEXT) | instid1(VALU_DEP_1)
	v_clz_i32_u32_e32 v179, v28
	v_min_u32_e32 v179, 32, v179
	s_delay_alu instid0(VALU_DEP_1) | instskip(SKIP_1) | instid1(VALU_DEP_2)
	v_subrev_nc_u32_e32 v181, 28, v179
	v_sub_nc_u32_e32 v179, 29, v179
	v_lshlrev_b64 v[181:182], v181, v[28:29]
	s_delay_alu instid0(VALU_DEP_1)
	v_and_b32_e32 v28, 7, v181
; %bb.345:                              ;   in Loop: Header=BB403_13 Depth=1
	s_or_b32 exec_lo, exec_lo, s23
	v_lshlrev_b32_e32 v180, 24, v180
	s_delay_alu instid0(VALU_DEP_2) | instskip(SKIP_1) | instid1(VALU_DEP_3)
	v_lshlrev_b32_e32 v28, 20, v28
	v_lshl_add_u32 v179, v179, 23, 0x3c000000
	v_and_b32_e32 v180, 0x80000000, v180
	s_delay_alu instid0(VALU_DEP_1)
	v_or3_b32 v28, v28, v180, v179
.LBB403_346:                            ;   in Loop: Header=BB403_13 Depth=1
	s_or_b32 exec_lo, exec_lo, s22
.LBB403_347:                            ;   in Loop: Header=BB403_13 Depth=1
	s_delay_alu instid0(SALU_CYCLE_1)
	s_or_b32 exec_lo, exec_lo, s21
.LBB403_348:                            ;   in Loop: Header=BB403_13 Depth=1
	s_delay_alu instid0(SALU_CYCLE_1) | instskip(NEXT) | instid1(VALU_DEP_1)
	s_or_b32 exec_lo, exec_lo, s20
	v_mul_f32_e32 v28, v119, v28
	s_delay_alu instid0(VALU_DEP_1) | instskip(NEXT) | instid1(VALU_DEP_1)
	v_and_b32_e32 v179, 0x7f800000, v28
	v_cmp_ne_u32_e64 s2, 0x7f800000, v179
                                        ; implicit-def: $vgpr179
	s_delay_alu instid0(VALU_DEP_1) | instskip(NEXT) | instid1(SALU_CYCLE_1)
	s_and_saveexec_b32 s20, s2
	s_xor_b32 s2, exec_lo, s20
; %bb.349:                              ;   in Loop: Header=BB403_13 Depth=1
	v_bfe_u32 v179, v28, 16, 1
	s_delay_alu instid0(VALU_DEP_1)
	v_add3_u32 v179, v28, v179, 0x7fff
                                        ; implicit-def: $vgpr28
; %bb.350:                              ;   in Loop: Header=BB403_13 Depth=1
	s_and_not1_saveexec_b32 s20, s2
; %bb.351:                              ;   in Loop: Header=BB403_13 Depth=1
	v_and_b32_e32 v179, 0xffff, v28
	v_or_b32_e32 v180, 0x10000, v28
	s_delay_alu instid0(VALU_DEP_2) | instskip(NEXT) | instid1(VALU_DEP_1)
	v_cmp_eq_u32_e64 s2, 0, v179
	v_cndmask_b32_e64 v179, v180, v28, s2
; %bb.352:                              ;   in Loop: Header=BB403_13 Depth=1
	s_or_b32 exec_lo, exec_lo, s20
	flat_load_b32 v183, v[68:69] offset:776
	v_mov_b32_e32 v28, 0
	s_mov_b32 s20, exec_lo
	s_waitcnt vmcnt(0) lgkmcnt(0)
	v_and_b32_e32 v180, 0xff, v183
	s_delay_alu instid0(VALU_DEP_1)
	v_cmpx_ne_u16_e64 0, v180
	s_cbranch_execz .LBB403_360
; %bb.353:                              ;   in Loop: Header=BB403_13 Depth=1
	v_bfrev_b32_e32 v28, 1
	s_mov_b32 s21, exec_lo
	v_cmpx_ne_u16_e64 0x80, v180
	s_cbranch_execz .LBB403_359
; %bb.354:                              ;   in Loop: Header=BB403_13 Depth=1
	v_and_b32_e32 v181, 0x7f, v183
	v_mov_b32_e32 v28, 0x7f800001
	s_mov_b32 s22, exec_lo
	s_delay_alu instid0(VALU_DEP_2)
	v_cmpx_ne_u32_e32 0x7f, v181
	s_cbranch_execz .LBB403_358
; %bb.355:                              ;   in Loop: Header=BB403_13 Depth=1
	v_and_b32_e32 v28, 7, v183
	v_lshrrev_b32_e32 v180, 3, v181
	s_mov_b32 s23, exec_lo
	v_cmpx_gt_u32_e32 8, v181
; %bb.356:                              ;   in Loop: Header=BB403_13 Depth=1
	s_delay_alu instid0(VALU_DEP_3) | instskip(NEXT) | instid1(VALU_DEP_1)
	v_clz_i32_u32_e32 v180, v28
	v_min_u32_e32 v180, 32, v180
	s_delay_alu instid0(VALU_DEP_1) | instskip(SKIP_1) | instid1(VALU_DEP_2)
	v_subrev_nc_u32_e32 v181, 28, v180
	v_sub_nc_u32_e32 v180, 29, v180
	v_lshlrev_b64 v[181:182], v181, v[28:29]
	s_delay_alu instid0(VALU_DEP_1)
	v_and_b32_e32 v28, 7, v181
; %bb.357:                              ;   in Loop: Header=BB403_13 Depth=1
	s_or_b32 exec_lo, exec_lo, s23
	v_lshlrev_b32_e32 v181, 24, v183
	s_delay_alu instid0(VALU_DEP_2) | instskip(SKIP_1) | instid1(VALU_DEP_3)
	v_lshlrev_b32_e32 v28, 20, v28
	v_lshl_add_u32 v180, v180, 23, 0x3c000000
	v_and_b32_e32 v181, 0x80000000, v181
	s_delay_alu instid0(VALU_DEP_1)
	v_or3_b32 v28, v28, v181, v180
.LBB403_358:                            ;   in Loop: Header=BB403_13 Depth=1
	s_or_b32 exec_lo, exec_lo, s22
.LBB403_359:                            ;   in Loop: Header=BB403_13 Depth=1
	s_delay_alu instid0(SALU_CYCLE_1)
	s_or_b32 exec_lo, exec_lo, s21
.LBB403_360:                            ;   in Loop: Header=BB403_13 Depth=1
	s_delay_alu instid0(SALU_CYCLE_1) | instskip(NEXT) | instid1(VALU_DEP_1)
	s_or_b32 exec_lo, exec_lo, s20
	v_mul_f32_e32 v28, v119, v28
	s_delay_alu instid0(VALU_DEP_1) | instskip(NEXT) | instid1(VALU_DEP_1)
	v_and_b32_e32 v180, 0x7f800000, v28
	v_cmp_ne_u32_e64 s2, 0x7f800000, v180
                                        ; implicit-def: $vgpr180
	s_delay_alu instid0(VALU_DEP_1) | instskip(NEXT) | instid1(SALU_CYCLE_1)
	s_and_saveexec_b32 s20, s2
	s_xor_b32 s2, exec_lo, s20
; %bb.361:                              ;   in Loop: Header=BB403_13 Depth=1
	v_bfe_u32 v180, v28, 16, 1
	s_delay_alu instid0(VALU_DEP_1)
	v_add3_u32 v180, v28, v180, 0x7fff
                                        ; implicit-def: $vgpr28
; %bb.362:                              ;   in Loop: Header=BB403_13 Depth=1
	s_and_not1_saveexec_b32 s20, s2
; %bb.363:                              ;   in Loop: Header=BB403_13 Depth=1
	v_and_b32_e32 v180, 0xffff, v28
	v_or_b32_e32 v181, 0x10000, v28
	s_delay_alu instid0(VALU_DEP_2) | instskip(NEXT) | instid1(VALU_DEP_1)
	v_cmp_eq_u32_e64 s2, 0, v180
	v_cndmask_b32_e64 v180, v181, v28, s2
; %bb.364:                              ;   in Loop: Header=BB403_13 Depth=1
	s_or_b32 exec_lo, exec_lo, s20
	v_lshrrev_b16 v181, 8, v183
	v_mov_b32_e32 v28, 0
	s_mov_b32 s20, exec_lo
	s_delay_alu instid0(VALU_DEP_2)
	v_cmpx_ne_u16_e64 0, v181
	s_cbranch_execz .LBB403_372
; %bb.365:                              ;   in Loop: Header=BB403_13 Depth=1
	v_bfrev_b32_e32 v28, 1
	s_mov_b32 s21, exec_lo
	v_cmpx_ne_u16_e64 0x80, v181
	s_cbranch_execz .LBB403_371
; %bb.366:                              ;   in Loop: Header=BB403_13 Depth=1
	v_and_b32_e32 v181, 0xffff, v181
	v_mov_b32_e32 v28, 0x7f800001
	s_mov_b32 s22, exec_lo
	s_delay_alu instid0(VALU_DEP_2) | instskip(NEXT) | instid1(VALU_DEP_1)
	v_and_b32_e32 v182, 0x7f, v181
	v_cmpx_ne_u32_e32 0x7f, v182
	s_cbranch_execz .LBB403_370
; %bb.367:                              ;   in Loop: Header=BB403_13 Depth=1
	v_and_b32_e32 v28, 7, v181
	v_lshrrev_b32_e32 v181, 3, v182
	s_mov_b32 s23, exec_lo
	v_cmpx_gt_u32_e32 8, v182
; %bb.368:                              ;   in Loop: Header=BB403_13 Depth=1
	s_delay_alu instid0(VALU_DEP_3) | instskip(NEXT) | instid1(VALU_DEP_1)
	v_clz_i32_u32_e32 v181, v28
	v_min_u32_e32 v181, 32, v181
	s_delay_alu instid0(VALU_DEP_1) | instskip(SKIP_1) | instid1(VALU_DEP_2)
	v_subrev_nc_u32_e32 v182, 28, v181
	v_sub_nc_u32_e32 v181, 29, v181
	v_lshlrev_b64 v[40:41], v182, v[28:29]
	s_delay_alu instid0(VALU_DEP_1)
	v_and_b32_e32 v28, 7, v40
; %bb.369:                              ;   in Loop: Header=BB403_13 Depth=1
	s_or_b32 exec_lo, exec_lo, s23
	v_lshlrev_b32_e32 v182, 16, v183
	s_delay_alu instid0(VALU_DEP_2) | instskip(SKIP_1) | instid1(VALU_DEP_3)
	v_lshlrev_b32_e32 v28, 20, v28
	v_lshl_add_u32 v181, v181, 23, 0x3c000000
	v_and_b32_e32 v182, 0x80000000, v182
	s_delay_alu instid0(VALU_DEP_1)
	v_or3_b32 v28, v28, v182, v181
.LBB403_370:                            ;   in Loop: Header=BB403_13 Depth=1
	s_or_b32 exec_lo, exec_lo, s22
.LBB403_371:                            ;   in Loop: Header=BB403_13 Depth=1
	s_delay_alu instid0(SALU_CYCLE_1)
	s_or_b32 exec_lo, exec_lo, s21
.LBB403_372:                            ;   in Loop: Header=BB403_13 Depth=1
	s_delay_alu instid0(SALU_CYCLE_1) | instskip(NEXT) | instid1(VALU_DEP_1)
	s_or_b32 exec_lo, exec_lo, s20
	v_mul_f32_e32 v28, v119, v28
	s_delay_alu instid0(VALU_DEP_1) | instskip(NEXT) | instid1(VALU_DEP_1)
	v_and_b32_e32 v181, 0x7f800000, v28
	v_cmp_ne_u32_e64 s2, 0x7f800000, v181
                                        ; implicit-def: $vgpr181
	s_delay_alu instid0(VALU_DEP_1) | instskip(NEXT) | instid1(SALU_CYCLE_1)
	s_and_saveexec_b32 s20, s2
	s_xor_b32 s2, exec_lo, s20
; %bb.373:                              ;   in Loop: Header=BB403_13 Depth=1
	v_bfe_u32 v181, v28, 16, 1
	s_delay_alu instid0(VALU_DEP_1)
	v_add3_u32 v181, v28, v181, 0x7fff
                                        ; implicit-def: $vgpr28
; %bb.374:                              ;   in Loop: Header=BB403_13 Depth=1
	s_and_not1_saveexec_b32 s20, s2
; %bb.375:                              ;   in Loop: Header=BB403_13 Depth=1
	v_and_b32_e32 v181, 0xffff, v28
	v_or_b32_e32 v182, 0x10000, v28
	s_delay_alu instid0(VALU_DEP_2) | instskip(NEXT) | instid1(VALU_DEP_1)
	v_cmp_eq_u32_e64 s2, 0, v181
	v_cndmask_b32_e64 v181, v182, v28, s2
; %bb.376:                              ;   in Loop: Header=BB403_13 Depth=1
	s_or_b32 exec_lo, exec_lo, s20
	v_lshrrev_b32_e32 v182, 16, v183
	v_mov_b32_e32 v28, 0
	s_mov_b32 s20, exec_lo
	s_delay_alu instid0(VALU_DEP_2) | instskip(NEXT) | instid1(VALU_DEP_1)
	v_and_b32_e32 v40, 0xff, v182
	v_cmpx_ne_u16_e32 0, v40
	s_cbranch_execz .LBB403_384
; %bb.377:                              ;   in Loop: Header=BB403_13 Depth=1
	v_bfrev_b32_e32 v28, 1
	s_mov_b32 s21, exec_lo
	v_cmpx_ne_u16_e32 0x80, v40
	s_cbranch_execz .LBB403_383
; %bb.378:                              ;   in Loop: Header=BB403_13 Depth=1
	v_bfe_u32 v41, v183, 16, 7
	v_mov_b32_e32 v28, 0x7f800001
	s_mov_b32 s22, exec_lo
	s_delay_alu instid0(VALU_DEP_2)
	v_cmpx_ne_u32_e32 0x7f, v41
	s_cbranch_execz .LBB403_382
; %bb.379:                              ;   in Loop: Header=BB403_13 Depth=1
	v_and_b32_e32 v28, 7, v182
	v_lshrrev_b32_e32 v40, 3, v41
	s_mov_b32 s23, exec_lo
	v_cmpx_gt_u32_e32 8, v41
; %bb.380:                              ;   in Loop: Header=BB403_13 Depth=1
	s_delay_alu instid0(VALU_DEP_3) | instskip(NEXT) | instid1(VALU_DEP_1)
	v_clz_i32_u32_e32 v40, v28
	v_min_u32_e32 v40, 32, v40
	s_delay_alu instid0(VALU_DEP_1) | instskip(SKIP_1) | instid1(VALU_DEP_2)
	v_subrev_nc_u32_e32 v41, 28, v40
	v_sub_nc_u32_e32 v40, 29, v40
	v_lshlrev_b64 v[41:42], v41, v[28:29]
	s_delay_alu instid0(VALU_DEP_1)
	v_and_b32_e32 v28, 7, v41
; %bb.381:                              ;   in Loop: Header=BB403_13 Depth=1
	s_or_b32 exec_lo, exec_lo, s23
	v_lshlrev_b32_e32 v182, 24, v182
	s_delay_alu instid0(VALU_DEP_2) | instskip(SKIP_1) | instid1(VALU_DEP_3)
	v_lshlrev_b32_e32 v28, 20, v28
	v_lshl_add_u32 v40, v40, 23, 0x3c000000
	v_and_b32_e32 v182, 0x80000000, v182
	s_delay_alu instid0(VALU_DEP_1)
	v_or3_b32 v28, v28, v182, v40
.LBB403_382:                            ;   in Loop: Header=BB403_13 Depth=1
	s_or_b32 exec_lo, exec_lo, s22
.LBB403_383:                            ;   in Loop: Header=BB403_13 Depth=1
	s_delay_alu instid0(SALU_CYCLE_1)
	s_or_b32 exec_lo, exec_lo, s21
.LBB403_384:                            ;   in Loop: Header=BB403_13 Depth=1
	s_delay_alu instid0(SALU_CYCLE_1) | instskip(NEXT) | instid1(VALU_DEP_1)
	s_or_b32 exec_lo, exec_lo, s20
	v_mul_f32_e32 v28, v119, v28
	s_delay_alu instid0(VALU_DEP_1) | instskip(NEXT) | instid1(VALU_DEP_1)
	v_and_b32_e32 v182, 0x7f800000, v28
	v_cmp_ne_u32_e64 s2, 0x7f800000, v182
                                        ; implicit-def: $vgpr182
	s_delay_alu instid0(VALU_DEP_1) | instskip(NEXT) | instid1(SALU_CYCLE_1)
	s_and_saveexec_b32 s20, s2
	s_xor_b32 s2, exec_lo, s20
; %bb.385:                              ;   in Loop: Header=BB403_13 Depth=1
	v_bfe_u32 v182, v28, 16, 1
	s_delay_alu instid0(VALU_DEP_1)
	v_add3_u32 v182, v28, v182, 0x7fff
                                        ; implicit-def: $vgpr28
; %bb.386:                              ;   in Loop: Header=BB403_13 Depth=1
	s_and_not1_saveexec_b32 s20, s2
; %bb.387:                              ;   in Loop: Header=BB403_13 Depth=1
	v_and_b32_e32 v182, 0xffff, v28
	v_or_b32_e32 v40, 0x10000, v28
	s_delay_alu instid0(VALU_DEP_2) | instskip(NEXT) | instid1(VALU_DEP_1)
	v_cmp_eq_u32_e64 s2, 0, v182
	v_cndmask_b32_e64 v182, v40, v28, s2
; %bb.388:                              ;   in Loop: Header=BB403_13 Depth=1
	s_or_b32 exec_lo, exec_lo, s20
	v_mov_b32_e32 v28, 0
	s_mov_b32 s20, exec_lo
	v_cmpx_lt_u32_e32 0xffffff, v183
	s_cbranch_execz .LBB403_396
; %bb.389:                              ;   in Loop: Header=BB403_13 Depth=1
	v_lshrrev_b32_e32 v40, 24, v183
	v_bfrev_b32_e32 v28, 1
	s_mov_b32 s21, exec_lo
	s_delay_alu instid0(VALU_DEP_2)
	v_cmpx_ne_u32_e32 0x80, v40
	s_cbranch_execz .LBB403_395
; %bb.390:                              ;   in Loop: Header=BB403_13 Depth=1
	v_bfe_u32 v41, v183, 24, 7
	v_mov_b32_e32 v28, 0x7f800001
	s_mov_b32 s22, exec_lo
	s_delay_alu instid0(VALU_DEP_2)
	v_cmpx_ne_u32_e32 0x7f, v41
	s_cbranch_execz .LBB403_394
; %bb.391:                              ;   in Loop: Header=BB403_13 Depth=1
	v_and_b32_e32 v28, 7, v40
	v_lshrrev_b32_e32 v183, 3, v41
	s_mov_b32 s23, exec_lo
	v_cmpx_gt_u32_e32 8, v41
; %bb.392:                              ;   in Loop: Header=BB403_13 Depth=1
	s_delay_alu instid0(VALU_DEP_3) | instskip(NEXT) | instid1(VALU_DEP_1)
	v_clz_i32_u32_e32 v183, v28
	v_min_u32_e32 v183, 32, v183
	s_delay_alu instid0(VALU_DEP_1) | instskip(SKIP_1) | instid1(VALU_DEP_2)
	v_subrev_nc_u32_e32 v41, 28, v183
	v_sub_nc_u32_e32 v183, 29, v183
	v_lshlrev_b64 v[41:42], v41, v[28:29]
	s_delay_alu instid0(VALU_DEP_1)
	v_and_b32_e32 v28, 7, v41
; %bb.393:                              ;   in Loop: Header=BB403_13 Depth=1
	s_or_b32 exec_lo, exec_lo, s23
	v_lshlrev_b32_e32 v40, 24, v40
	s_delay_alu instid0(VALU_DEP_2) | instskip(SKIP_1) | instid1(VALU_DEP_3)
	v_lshlrev_b32_e32 v28, 20, v28
	v_lshl_add_u32 v183, v183, 23, 0x3c000000
	v_and_b32_e32 v40, 0x80000000, v40
	s_delay_alu instid0(VALU_DEP_1)
	v_or3_b32 v28, v28, v40, v183
.LBB403_394:                            ;   in Loop: Header=BB403_13 Depth=1
	s_or_b32 exec_lo, exec_lo, s22
.LBB403_395:                            ;   in Loop: Header=BB403_13 Depth=1
	s_delay_alu instid0(SALU_CYCLE_1)
	s_or_b32 exec_lo, exec_lo, s21
.LBB403_396:                            ;   in Loop: Header=BB403_13 Depth=1
	s_delay_alu instid0(SALU_CYCLE_1) | instskip(NEXT) | instid1(VALU_DEP_1)
	s_or_b32 exec_lo, exec_lo, s20
	v_mul_f32_e32 v28, v119, v28
	s_delay_alu instid0(VALU_DEP_1) | instskip(NEXT) | instid1(VALU_DEP_1)
	v_and_b32_e32 v183, 0x7f800000, v28
	v_cmp_ne_u32_e64 s2, 0x7f800000, v183
                                        ; implicit-def: $vgpr183
	s_delay_alu instid0(VALU_DEP_1) | instskip(NEXT) | instid1(SALU_CYCLE_1)
	s_and_saveexec_b32 s20, s2
	s_xor_b32 s2, exec_lo, s20
; %bb.397:                              ;   in Loop: Header=BB403_13 Depth=1
	v_bfe_u32 v183, v28, 16, 1
	s_delay_alu instid0(VALU_DEP_1)
	v_add3_u32 v183, v28, v183, 0x7fff
                                        ; implicit-def: $vgpr28
; %bb.398:                              ;   in Loop: Header=BB403_13 Depth=1
	s_and_not1_saveexec_b32 s20, s2
; %bb.399:                              ;   in Loop: Header=BB403_13 Depth=1
	v_and_b32_e32 v183, 0xffff, v28
	v_or_b32_e32 v40, 0x10000, v28
	s_delay_alu instid0(VALU_DEP_2) | instskip(NEXT) | instid1(VALU_DEP_1)
	v_cmp_eq_u32_e64 s2, 0, v183
	v_cndmask_b32_e64 v183, v40, v28, s2
; %bb.400:                              ;   in Loop: Header=BB403_13 Depth=1
	s_or_b32 exec_lo, exec_lo, s20
	flat_load_b32 v43, v[68:69] offset:1024
	v_mov_b32_e32 v28, 0
	s_mov_b32 s20, exec_lo
	s_waitcnt vmcnt(0) lgkmcnt(0)
	v_and_b32_e32 v40, 0xff, v43
	s_delay_alu instid0(VALU_DEP_1)
	v_cmpx_ne_u16_e32 0, v40
	s_cbranch_execz .LBB403_408
; %bb.401:                              ;   in Loop: Header=BB403_13 Depth=1
	v_bfrev_b32_e32 v28, 1
	s_mov_b32 s21, exec_lo
	v_cmpx_ne_u16_e32 0x80, v40
	s_cbranch_execz .LBB403_407
; %bb.402:                              ;   in Loop: Header=BB403_13 Depth=1
	v_and_b32_e32 v41, 0x7f, v43
	v_mov_b32_e32 v28, 0x7f800001
	s_mov_b32 s22, exec_lo
	s_delay_alu instid0(VALU_DEP_2)
	v_cmpx_ne_u32_e32 0x7f, v41
	s_cbranch_execz .LBB403_406
; %bb.403:                              ;   in Loop: Header=BB403_13 Depth=1
	v_and_b32_e32 v28, 7, v43
	v_lshrrev_b32_e32 v40, 3, v41
	s_mov_b32 s23, exec_lo
	v_cmpx_gt_u32_e32 8, v41
; %bb.404:                              ;   in Loop: Header=BB403_13 Depth=1
	s_delay_alu instid0(VALU_DEP_3) | instskip(NEXT) | instid1(VALU_DEP_1)
	v_clz_i32_u32_e32 v40, v28
	v_min_u32_e32 v40, 32, v40
	s_delay_alu instid0(VALU_DEP_1) | instskip(SKIP_1) | instid1(VALU_DEP_2)
	v_subrev_nc_u32_e32 v41, 28, v40
	v_sub_nc_u32_e32 v40, 29, v40
	v_lshlrev_b64 v[41:42], v41, v[28:29]
	s_delay_alu instid0(VALU_DEP_1)
	v_and_b32_e32 v28, 7, v41
; %bb.405:                              ;   in Loop: Header=BB403_13 Depth=1
	s_or_b32 exec_lo, exec_lo, s23
	v_lshlrev_b32_e32 v41, 24, v43
	s_delay_alu instid0(VALU_DEP_2) | instskip(SKIP_1) | instid1(VALU_DEP_3)
	v_lshlrev_b32_e32 v28, 20, v28
	v_lshl_add_u32 v40, v40, 23, 0x3c000000
	v_and_b32_e32 v41, 0x80000000, v41
	s_delay_alu instid0(VALU_DEP_1)
	v_or3_b32 v28, v28, v41, v40
.LBB403_406:                            ;   in Loop: Header=BB403_13 Depth=1
	s_or_b32 exec_lo, exec_lo, s22
.LBB403_407:                            ;   in Loop: Header=BB403_13 Depth=1
	s_delay_alu instid0(SALU_CYCLE_1)
	s_or_b32 exec_lo, exec_lo, s21
.LBB403_408:                            ;   in Loop: Header=BB403_13 Depth=1
	s_delay_alu instid0(SALU_CYCLE_1) | instskip(NEXT) | instid1(VALU_DEP_1)
	s_or_b32 exec_lo, exec_lo, s20
	v_mul_f32_e32 v28, v119, v28
	s_delay_alu instid0(VALU_DEP_1) | instskip(NEXT) | instid1(VALU_DEP_1)
	v_and_b32_e32 v40, 0x7f800000, v28
	v_cmp_ne_u32_e64 s2, 0x7f800000, v40
                                        ; implicit-def: $vgpr40
	s_delay_alu instid0(VALU_DEP_1) | instskip(NEXT) | instid1(SALU_CYCLE_1)
	s_and_saveexec_b32 s20, s2
	s_xor_b32 s2, exec_lo, s20
; %bb.409:                              ;   in Loop: Header=BB403_13 Depth=1
	v_bfe_u32 v40, v28, 16, 1
	s_delay_alu instid0(VALU_DEP_1)
	v_add3_u32 v40, v28, v40, 0x7fff
                                        ; implicit-def: $vgpr28
; %bb.410:                              ;   in Loop: Header=BB403_13 Depth=1
	s_and_not1_saveexec_b32 s20, s2
; %bb.411:                              ;   in Loop: Header=BB403_13 Depth=1
	v_and_b32_e32 v40, 0xffff, v28
	v_or_b32_e32 v41, 0x10000, v28
	s_delay_alu instid0(VALU_DEP_2) | instskip(NEXT) | instid1(VALU_DEP_1)
	v_cmp_eq_u32_e64 s2, 0, v40
	v_cndmask_b32_e64 v40, v41, v28, s2
; %bb.412:                              ;   in Loop: Header=BB403_13 Depth=1
	s_or_b32 exec_lo, exec_lo, s20
	v_lshrrev_b16 v41, 8, v43
	v_mov_b32_e32 v28, 0
	s_mov_b32 s20, exec_lo
	s_delay_alu instid0(VALU_DEP_2)
	v_cmpx_ne_u16_e32 0, v41
	s_cbranch_execz .LBB403_420
; %bb.413:                              ;   in Loop: Header=BB403_13 Depth=1
	v_bfrev_b32_e32 v28, 1
	s_mov_b32 s21, exec_lo
	v_cmpx_ne_u16_e32 0x80, v41
	s_cbranch_execz .LBB403_419
; %bb.414:                              ;   in Loop: Header=BB403_13 Depth=1
	v_and_b32_e32 v41, 0xffff, v41
	v_mov_b32_e32 v28, 0x7f800001
	s_mov_b32 s22, exec_lo
	s_delay_alu instid0(VALU_DEP_2) | instskip(NEXT) | instid1(VALU_DEP_1)
	v_and_b32_e32 v42, 0x7f, v41
	v_cmpx_ne_u32_e32 0x7f, v42
	s_cbranch_execz .LBB403_418
; %bb.415:                              ;   in Loop: Header=BB403_13 Depth=1
	v_and_b32_e32 v28, 7, v41
	v_lshrrev_b32_e32 v41, 3, v42
	s_mov_b32 s23, exec_lo
	v_cmpx_gt_u32_e32 8, v42
; %bb.416:                              ;   in Loop: Header=BB403_13 Depth=1
	s_delay_alu instid0(VALU_DEP_3) | instskip(NEXT) | instid1(VALU_DEP_1)
	v_clz_i32_u32_e32 v41, v28
	v_min_u32_e32 v41, 32, v41
	s_delay_alu instid0(VALU_DEP_1) | instskip(SKIP_1) | instid1(VALU_DEP_2)
	v_subrev_nc_u32_e32 v42, 28, v41
	v_sub_nc_u32_e32 v41, 29, v41
	v_lshlrev_b64 v[44:45], v42, v[28:29]
	s_delay_alu instid0(VALU_DEP_1)
	v_and_b32_e32 v28, 7, v44
; %bb.417:                              ;   in Loop: Header=BB403_13 Depth=1
	s_or_b32 exec_lo, exec_lo, s23
	v_lshlrev_b32_e32 v42, 16, v43
	s_delay_alu instid0(VALU_DEP_2) | instskip(SKIP_1) | instid1(VALU_DEP_3)
	v_lshlrev_b32_e32 v28, 20, v28
	v_lshl_add_u32 v41, v41, 23, 0x3c000000
	v_and_b32_e32 v42, 0x80000000, v42
	s_delay_alu instid0(VALU_DEP_1)
	v_or3_b32 v28, v28, v42, v41
.LBB403_418:                            ;   in Loop: Header=BB403_13 Depth=1
	s_or_b32 exec_lo, exec_lo, s22
.LBB403_419:                            ;   in Loop: Header=BB403_13 Depth=1
	s_delay_alu instid0(SALU_CYCLE_1)
	s_or_b32 exec_lo, exec_lo, s21
.LBB403_420:                            ;   in Loop: Header=BB403_13 Depth=1
	s_delay_alu instid0(SALU_CYCLE_1) | instskip(NEXT) | instid1(VALU_DEP_1)
	s_or_b32 exec_lo, exec_lo, s20
	v_mul_f32_e32 v28, v119, v28
	s_delay_alu instid0(VALU_DEP_1) | instskip(NEXT) | instid1(VALU_DEP_1)
	v_and_b32_e32 v41, 0x7f800000, v28
	v_cmp_ne_u32_e64 s2, 0x7f800000, v41
                                        ; implicit-def: $vgpr41
	s_delay_alu instid0(VALU_DEP_1) | instskip(NEXT) | instid1(SALU_CYCLE_1)
	s_and_saveexec_b32 s20, s2
	s_xor_b32 s2, exec_lo, s20
; %bb.421:                              ;   in Loop: Header=BB403_13 Depth=1
	v_bfe_u32 v41, v28, 16, 1
	s_delay_alu instid0(VALU_DEP_1)
	v_add3_u32 v41, v28, v41, 0x7fff
                                        ; implicit-def: $vgpr28
; %bb.422:                              ;   in Loop: Header=BB403_13 Depth=1
	s_and_not1_saveexec_b32 s20, s2
; %bb.423:                              ;   in Loop: Header=BB403_13 Depth=1
	v_and_b32_e32 v41, 0xffff, v28
	v_or_b32_e32 v42, 0x10000, v28
	s_delay_alu instid0(VALU_DEP_2) | instskip(NEXT) | instid1(VALU_DEP_1)
	v_cmp_eq_u32_e64 s2, 0, v41
	v_cndmask_b32_e64 v41, v42, v28, s2
; %bb.424:                              ;   in Loop: Header=BB403_13 Depth=1
	s_or_b32 exec_lo, exec_lo, s20
	v_lshrrev_b32_e32 v42, 16, v43
	v_mov_b32_e32 v28, 0
	s_mov_b32 s20, exec_lo
	s_delay_alu instid0(VALU_DEP_2) | instskip(NEXT) | instid1(VALU_DEP_1)
	v_and_b32_e32 v44, 0xff, v42
	v_cmpx_ne_u16_e32 0, v44
	s_cbranch_execz .LBB403_432
; %bb.425:                              ;   in Loop: Header=BB403_13 Depth=1
	v_bfrev_b32_e32 v28, 1
	s_mov_b32 s21, exec_lo
	v_cmpx_ne_u16_e32 0x80, v44
	s_cbranch_execz .LBB403_431
; %bb.426:                              ;   in Loop: Header=BB403_13 Depth=1
	v_bfe_u32 v45, v43, 16, 7
	v_mov_b32_e32 v28, 0x7f800001
	s_mov_b32 s22, exec_lo
	s_delay_alu instid0(VALU_DEP_2)
	v_cmpx_ne_u32_e32 0x7f, v45
	s_cbranch_execz .LBB403_430
; %bb.427:                              ;   in Loop: Header=BB403_13 Depth=1
	v_and_b32_e32 v28, 7, v42
	v_lshrrev_b32_e32 v44, 3, v45
	s_mov_b32 s23, exec_lo
	v_cmpx_gt_u32_e32 8, v45
; %bb.428:                              ;   in Loop: Header=BB403_13 Depth=1
	s_delay_alu instid0(VALU_DEP_3) | instskip(NEXT) | instid1(VALU_DEP_1)
	v_clz_i32_u32_e32 v44, v28
	v_min_u32_e32 v44, 32, v44
	s_delay_alu instid0(VALU_DEP_1) | instskip(SKIP_1) | instid1(VALU_DEP_2)
	v_subrev_nc_u32_e32 v45, 28, v44
	v_sub_nc_u32_e32 v44, 29, v44
	v_lshlrev_b64 v[45:46], v45, v[28:29]
	s_delay_alu instid0(VALU_DEP_1)
	v_and_b32_e32 v28, 7, v45
; %bb.429:                              ;   in Loop: Header=BB403_13 Depth=1
	s_or_b32 exec_lo, exec_lo, s23
	v_lshlrev_b32_e32 v42, 24, v42
	s_delay_alu instid0(VALU_DEP_2) | instskip(SKIP_1) | instid1(VALU_DEP_3)
	v_lshlrev_b32_e32 v28, 20, v28
	v_lshl_add_u32 v44, v44, 23, 0x3c000000
	v_and_b32_e32 v42, 0x80000000, v42
	s_delay_alu instid0(VALU_DEP_1)
	v_or3_b32 v28, v28, v42, v44
.LBB403_430:                            ;   in Loop: Header=BB403_13 Depth=1
	s_or_b32 exec_lo, exec_lo, s22
.LBB403_431:                            ;   in Loop: Header=BB403_13 Depth=1
	s_delay_alu instid0(SALU_CYCLE_1)
	s_or_b32 exec_lo, exec_lo, s21
.LBB403_432:                            ;   in Loop: Header=BB403_13 Depth=1
	s_delay_alu instid0(SALU_CYCLE_1) | instskip(NEXT) | instid1(VALU_DEP_1)
	s_or_b32 exec_lo, exec_lo, s20
	v_mul_f32_e32 v28, v119, v28
	s_delay_alu instid0(VALU_DEP_1) | instskip(NEXT) | instid1(VALU_DEP_1)
	v_and_b32_e32 v42, 0x7f800000, v28
	v_cmp_ne_u32_e64 s2, 0x7f800000, v42
                                        ; implicit-def: $vgpr42
	s_delay_alu instid0(VALU_DEP_1) | instskip(NEXT) | instid1(SALU_CYCLE_1)
	s_and_saveexec_b32 s20, s2
	s_xor_b32 s2, exec_lo, s20
; %bb.433:                              ;   in Loop: Header=BB403_13 Depth=1
	v_bfe_u32 v42, v28, 16, 1
	s_delay_alu instid0(VALU_DEP_1)
	v_add3_u32 v42, v28, v42, 0x7fff
                                        ; implicit-def: $vgpr28
; %bb.434:                              ;   in Loop: Header=BB403_13 Depth=1
	s_and_not1_saveexec_b32 s20, s2
; %bb.435:                              ;   in Loop: Header=BB403_13 Depth=1
	v_and_b32_e32 v42, 0xffff, v28
	v_or_b32_e32 v44, 0x10000, v28
	s_delay_alu instid0(VALU_DEP_2) | instskip(NEXT) | instid1(VALU_DEP_1)
	v_cmp_eq_u32_e64 s2, 0, v42
	v_cndmask_b32_e64 v42, v44, v28, s2
; %bb.436:                              ;   in Loop: Header=BB403_13 Depth=1
	s_or_b32 exec_lo, exec_lo, s20
	v_mov_b32_e32 v28, 0
	s_mov_b32 s20, exec_lo
	v_cmpx_lt_u32_e32 0xffffff, v43
	s_cbranch_execz .LBB403_444
; %bb.437:                              ;   in Loop: Header=BB403_13 Depth=1
	v_lshrrev_b32_e32 v44, 24, v43
	v_bfrev_b32_e32 v28, 1
	s_mov_b32 s21, exec_lo
	s_delay_alu instid0(VALU_DEP_2)
	v_cmpx_ne_u32_e32 0x80, v44
	s_cbranch_execz .LBB403_443
; %bb.438:                              ;   in Loop: Header=BB403_13 Depth=1
	v_bfe_u32 v45, v43, 24, 7
	v_mov_b32_e32 v28, 0x7f800001
	s_mov_b32 s22, exec_lo
	s_delay_alu instid0(VALU_DEP_2)
	v_cmpx_ne_u32_e32 0x7f, v45
	s_cbranch_execz .LBB403_442
; %bb.439:                              ;   in Loop: Header=BB403_13 Depth=1
	v_and_b32_e32 v28, 7, v44
	v_lshrrev_b32_e32 v43, 3, v45
	s_mov_b32 s23, exec_lo
	v_cmpx_gt_u32_e32 8, v45
; %bb.440:                              ;   in Loop: Header=BB403_13 Depth=1
	s_delay_alu instid0(VALU_DEP_3) | instskip(NEXT) | instid1(VALU_DEP_1)
	v_clz_i32_u32_e32 v43, v28
	v_min_u32_e32 v43, 32, v43
	s_delay_alu instid0(VALU_DEP_1) | instskip(SKIP_1) | instid1(VALU_DEP_2)
	v_subrev_nc_u32_e32 v45, 28, v43
	v_sub_nc_u32_e32 v43, 29, v43
	v_lshlrev_b64 v[45:46], v45, v[28:29]
	s_delay_alu instid0(VALU_DEP_1)
	v_and_b32_e32 v28, 7, v45
; %bb.441:                              ;   in Loop: Header=BB403_13 Depth=1
	s_or_b32 exec_lo, exec_lo, s23
	v_lshlrev_b32_e32 v44, 24, v44
	s_delay_alu instid0(VALU_DEP_2) | instskip(SKIP_1) | instid1(VALU_DEP_3)
	v_lshlrev_b32_e32 v28, 20, v28
	v_lshl_add_u32 v43, v43, 23, 0x3c000000
	v_and_b32_e32 v44, 0x80000000, v44
	s_delay_alu instid0(VALU_DEP_1)
	v_or3_b32 v28, v28, v44, v43
.LBB403_442:                            ;   in Loop: Header=BB403_13 Depth=1
	s_or_b32 exec_lo, exec_lo, s22
.LBB403_443:                            ;   in Loop: Header=BB403_13 Depth=1
	s_delay_alu instid0(SALU_CYCLE_1)
	s_or_b32 exec_lo, exec_lo, s21
.LBB403_444:                            ;   in Loop: Header=BB403_13 Depth=1
	s_delay_alu instid0(SALU_CYCLE_1) | instskip(NEXT) | instid1(VALU_DEP_1)
	s_or_b32 exec_lo, exec_lo, s20
	v_mul_f32_e32 v28, v119, v28
	s_delay_alu instid0(VALU_DEP_1) | instskip(NEXT) | instid1(VALU_DEP_1)
	v_and_b32_e32 v43, 0x7f800000, v28
	v_cmp_ne_u32_e64 s2, 0x7f800000, v43
                                        ; implicit-def: $vgpr43
	s_delay_alu instid0(VALU_DEP_1) | instskip(NEXT) | instid1(SALU_CYCLE_1)
	s_and_saveexec_b32 s20, s2
	s_xor_b32 s2, exec_lo, s20
; %bb.445:                              ;   in Loop: Header=BB403_13 Depth=1
	v_bfe_u32 v43, v28, 16, 1
	s_delay_alu instid0(VALU_DEP_1)
	v_add3_u32 v43, v28, v43, 0x7fff
                                        ; implicit-def: $vgpr28
; %bb.446:                              ;   in Loop: Header=BB403_13 Depth=1
	s_and_not1_saveexec_b32 s20, s2
; %bb.447:                              ;   in Loop: Header=BB403_13 Depth=1
	v_and_b32_e32 v43, 0xffff, v28
	v_or_b32_e32 v44, 0x10000, v28
	s_delay_alu instid0(VALU_DEP_2) | instskip(NEXT) | instid1(VALU_DEP_1)
	v_cmp_eq_u32_e64 s2, 0, v43
	v_cndmask_b32_e64 v43, v44, v28, s2
; %bb.448:                              ;   in Loop: Header=BB403_13 Depth=1
	s_or_b32 exec_lo, exec_lo, s20
	flat_load_b32 v69, v[68:69] offset:1032
	v_mov_b32_e32 v28, 0
	s_mov_b32 s20, exec_lo
	s_waitcnt vmcnt(0) lgkmcnt(0)
	v_and_b32_e32 v68, 0xff, v69
	s_delay_alu instid0(VALU_DEP_1)
	v_cmpx_ne_u16_e32 0, v68
	s_cbranch_execz .LBB403_456
; %bb.449:                              ;   in Loop: Header=BB403_13 Depth=1
	v_bfrev_b32_e32 v28, 1
	s_mov_b32 s21, exec_lo
	v_cmpx_ne_u16_e32 0x80, v68
	s_cbranch_execz .LBB403_455
; %bb.450:                              ;   in Loop: Header=BB403_13 Depth=1
	v_and_b32_e32 v44, 0x7f, v69
	v_mov_b32_e32 v28, 0x7f800001
	s_mov_b32 s22, exec_lo
	s_delay_alu instid0(VALU_DEP_2)
	v_cmpx_ne_u32_e32 0x7f, v44
	s_cbranch_execz .LBB403_454
; %bb.451:                              ;   in Loop: Header=BB403_13 Depth=1
	v_and_b32_e32 v28, 7, v69
	v_lshrrev_b32_e32 v68, 3, v44
	s_mov_b32 s23, exec_lo
	v_cmpx_gt_u32_e32 8, v44
; %bb.452:                              ;   in Loop: Header=BB403_13 Depth=1
	s_delay_alu instid0(VALU_DEP_3) | instskip(NEXT) | instid1(VALU_DEP_1)
	v_clz_i32_u32_e32 v68, v28
	v_min_u32_e32 v68, 32, v68
	s_delay_alu instid0(VALU_DEP_1) | instskip(SKIP_1) | instid1(VALU_DEP_2)
	v_subrev_nc_u32_e32 v44, 28, v68
	v_sub_nc_u32_e32 v68, 29, v68
	v_lshlrev_b64 v[44:45], v44, v[28:29]
	s_delay_alu instid0(VALU_DEP_1)
	v_and_b32_e32 v28, 7, v44
; %bb.453:                              ;   in Loop: Header=BB403_13 Depth=1
	s_or_b32 exec_lo, exec_lo, s23
	v_lshlrev_b32_e32 v44, 24, v69
	s_delay_alu instid0(VALU_DEP_2) | instskip(SKIP_1) | instid1(VALU_DEP_3)
	v_lshlrev_b32_e32 v28, 20, v28
	v_lshl_add_u32 v68, v68, 23, 0x3c000000
	v_and_b32_e32 v44, 0x80000000, v44
	s_delay_alu instid0(VALU_DEP_1)
	v_or3_b32 v28, v28, v44, v68
.LBB403_454:                            ;   in Loop: Header=BB403_13 Depth=1
	s_or_b32 exec_lo, exec_lo, s22
.LBB403_455:                            ;   in Loop: Header=BB403_13 Depth=1
	s_delay_alu instid0(SALU_CYCLE_1)
	s_or_b32 exec_lo, exec_lo, s21
.LBB403_456:                            ;   in Loop: Header=BB403_13 Depth=1
	s_delay_alu instid0(SALU_CYCLE_1) | instskip(NEXT) | instid1(VALU_DEP_1)
	s_or_b32 exec_lo, exec_lo, s20
	v_mul_f32_e32 v28, v119, v28
	s_delay_alu instid0(VALU_DEP_1) | instskip(NEXT) | instid1(VALU_DEP_1)
	v_and_b32_e32 v68, 0x7f800000, v28
	v_cmp_ne_u32_e64 s2, 0x7f800000, v68
                                        ; implicit-def: $vgpr68
	s_delay_alu instid0(VALU_DEP_1) | instskip(NEXT) | instid1(SALU_CYCLE_1)
	s_and_saveexec_b32 s20, s2
	s_xor_b32 s2, exec_lo, s20
; %bb.457:                              ;   in Loop: Header=BB403_13 Depth=1
	v_bfe_u32 v68, v28, 16, 1
	s_delay_alu instid0(VALU_DEP_1)
	v_add3_u32 v68, v28, v68, 0x7fff
                                        ; implicit-def: $vgpr28
; %bb.458:                              ;   in Loop: Header=BB403_13 Depth=1
	s_and_not1_saveexec_b32 s20, s2
; %bb.459:                              ;   in Loop: Header=BB403_13 Depth=1
	v_and_b32_e32 v68, 0xffff, v28
	v_or_b32_e32 v44, 0x10000, v28
	s_delay_alu instid0(VALU_DEP_2) | instskip(NEXT) | instid1(VALU_DEP_1)
	v_cmp_eq_u32_e64 s2, 0, v68
	v_cndmask_b32_e64 v68, v44, v28, s2
; %bb.460:                              ;   in Loop: Header=BB403_13 Depth=1
	s_or_b32 exec_lo, exec_lo, s20
	v_lshrrev_b16 v44, 8, v69
	v_mov_b32_e32 v28, 0
	s_mov_b32 s20, exec_lo
	s_delay_alu instid0(VALU_DEP_2)
	v_cmpx_ne_u16_e32 0, v44
	s_cbranch_execz .LBB403_468
; %bb.461:                              ;   in Loop: Header=BB403_13 Depth=1
	v_bfrev_b32_e32 v28, 1
	s_mov_b32 s21, exec_lo
	v_cmpx_ne_u16_e32 0x80, v44
	s_cbranch_execz .LBB403_467
; %bb.462:                              ;   in Loop: Header=BB403_13 Depth=1
	v_and_b32_e32 v44, 0xffff, v44
	v_mov_b32_e32 v28, 0x7f800001
	s_mov_b32 s22, exec_lo
	s_delay_alu instid0(VALU_DEP_2) | instskip(NEXT) | instid1(VALU_DEP_1)
	v_and_b32_e32 v45, 0x7f, v44
	v_cmpx_ne_u32_e32 0x7f, v45
	s_cbranch_execz .LBB403_466
; %bb.463:                              ;   in Loop: Header=BB403_13 Depth=1
	v_and_b32_e32 v28, 7, v44
	v_lshrrev_b32_e32 v44, 3, v45
	s_mov_b32 s23, exec_lo
	v_cmpx_gt_u32_e32 8, v45
; %bb.464:                              ;   in Loop: Header=BB403_13 Depth=1
	s_delay_alu instid0(VALU_DEP_3) | instskip(NEXT) | instid1(VALU_DEP_1)
	v_clz_i32_u32_e32 v44, v28
	v_min_u32_e32 v44, 32, v44
	s_delay_alu instid0(VALU_DEP_1) | instskip(SKIP_1) | instid1(VALU_DEP_2)
	v_subrev_nc_u32_e32 v45, 28, v44
	v_sub_nc_u32_e32 v44, 29, v44
	v_lshlrev_b64 v[45:46], v45, v[28:29]
	s_delay_alu instid0(VALU_DEP_1)
	v_and_b32_e32 v28, 7, v45
; %bb.465:                              ;   in Loop: Header=BB403_13 Depth=1
	s_or_b32 exec_lo, exec_lo, s23
	v_lshlrev_b32_e32 v45, 16, v69
	s_delay_alu instid0(VALU_DEP_2) | instskip(SKIP_1) | instid1(VALU_DEP_3)
	v_lshlrev_b32_e32 v28, 20, v28
	v_lshl_add_u32 v44, v44, 23, 0x3c000000
	v_and_b32_e32 v45, 0x80000000, v45
	s_delay_alu instid0(VALU_DEP_1)
	v_or3_b32 v28, v28, v45, v44
.LBB403_466:                            ;   in Loop: Header=BB403_13 Depth=1
	s_or_b32 exec_lo, exec_lo, s22
.LBB403_467:                            ;   in Loop: Header=BB403_13 Depth=1
	s_delay_alu instid0(SALU_CYCLE_1)
	s_or_b32 exec_lo, exec_lo, s21
.LBB403_468:                            ;   in Loop: Header=BB403_13 Depth=1
	s_delay_alu instid0(SALU_CYCLE_1) | instskip(NEXT) | instid1(VALU_DEP_1)
	s_or_b32 exec_lo, exec_lo, s20
	v_mul_f32_e32 v28, v119, v28
	s_delay_alu instid0(VALU_DEP_1) | instskip(NEXT) | instid1(VALU_DEP_1)
	v_and_b32_e32 v44, 0x7f800000, v28
	v_cmp_ne_u32_e64 s2, 0x7f800000, v44
                                        ; implicit-def: $vgpr44
	s_delay_alu instid0(VALU_DEP_1) | instskip(NEXT) | instid1(SALU_CYCLE_1)
	s_and_saveexec_b32 s20, s2
	s_xor_b32 s2, exec_lo, s20
; %bb.469:                              ;   in Loop: Header=BB403_13 Depth=1
	v_bfe_u32 v44, v28, 16, 1
	s_delay_alu instid0(VALU_DEP_1)
	v_add3_u32 v44, v28, v44, 0x7fff
                                        ; implicit-def: $vgpr28
; %bb.470:                              ;   in Loop: Header=BB403_13 Depth=1
	s_and_not1_saveexec_b32 s20, s2
; %bb.471:                              ;   in Loop: Header=BB403_13 Depth=1
	v_and_b32_e32 v44, 0xffff, v28
	v_or_b32_e32 v45, 0x10000, v28
	s_delay_alu instid0(VALU_DEP_2) | instskip(NEXT) | instid1(VALU_DEP_1)
	v_cmp_eq_u32_e64 s2, 0, v44
	v_cndmask_b32_e64 v44, v45, v28, s2
; %bb.472:                              ;   in Loop: Header=BB403_13 Depth=1
	s_or_b32 exec_lo, exec_lo, s20
	v_lshrrev_b32_e32 v45, 16, v69
	v_mov_b32_e32 v28, 0
	s_mov_b32 s20, exec_lo
	s_delay_alu instid0(VALU_DEP_2) | instskip(NEXT) | instid1(VALU_DEP_1)
	v_and_b32_e32 v46, 0xff, v45
	v_cmpx_ne_u16_e32 0, v46
	s_cbranch_execz .LBB403_480
; %bb.473:                              ;   in Loop: Header=BB403_13 Depth=1
	v_bfrev_b32_e32 v28, 1
	s_mov_b32 s21, exec_lo
	v_cmpx_ne_u16_e32 0x80, v46
	s_cbranch_execz .LBB403_479
; %bb.474:                              ;   in Loop: Header=BB403_13 Depth=1
	v_bfe_u32 v47, v69, 16, 7
	v_mov_b32_e32 v28, 0x7f800001
	s_mov_b32 s22, exec_lo
	s_delay_alu instid0(VALU_DEP_2)
	v_cmpx_ne_u32_e32 0x7f, v47
	s_cbranch_execz .LBB403_478
; %bb.475:                              ;   in Loop: Header=BB403_13 Depth=1
	v_and_b32_e32 v28, 7, v45
	v_lshrrev_b32_e32 v46, 3, v47
	s_mov_b32 s23, exec_lo
	v_cmpx_gt_u32_e32 8, v47
; %bb.476:                              ;   in Loop: Header=BB403_13 Depth=1
	s_delay_alu instid0(VALU_DEP_3) | instskip(NEXT) | instid1(VALU_DEP_1)
	v_clz_i32_u32_e32 v46, v28
	v_min_u32_e32 v46, 32, v46
	s_delay_alu instid0(VALU_DEP_1) | instskip(SKIP_1) | instid1(VALU_DEP_2)
	v_subrev_nc_u32_e32 v47, 28, v46
	v_sub_nc_u32_e32 v46, 29, v46
	v_lshlrev_b64 v[56:57], v47, v[28:29]
	s_delay_alu instid0(VALU_DEP_1)
	v_and_b32_e32 v28, 7, v56
; %bb.477:                              ;   in Loop: Header=BB403_13 Depth=1
	s_or_b32 exec_lo, exec_lo, s23
	v_lshlrev_b32_e32 v45, 24, v45
	s_delay_alu instid0(VALU_DEP_2) | instskip(SKIP_1) | instid1(VALU_DEP_3)
	v_lshlrev_b32_e32 v28, 20, v28
	v_lshl_add_u32 v46, v46, 23, 0x3c000000
	v_and_b32_e32 v45, 0x80000000, v45
	s_delay_alu instid0(VALU_DEP_1)
	v_or3_b32 v28, v28, v45, v46
.LBB403_478:                            ;   in Loop: Header=BB403_13 Depth=1
	s_or_b32 exec_lo, exec_lo, s22
.LBB403_479:                            ;   in Loop: Header=BB403_13 Depth=1
	s_delay_alu instid0(SALU_CYCLE_1)
	s_or_b32 exec_lo, exec_lo, s21
.LBB403_480:                            ;   in Loop: Header=BB403_13 Depth=1
	s_delay_alu instid0(SALU_CYCLE_1) | instskip(NEXT) | instid1(VALU_DEP_1)
	s_or_b32 exec_lo, exec_lo, s20
	v_mul_f32_e32 v28, v119, v28
	s_delay_alu instid0(VALU_DEP_1) | instskip(NEXT) | instid1(VALU_DEP_1)
	v_and_b32_e32 v45, 0x7f800000, v28
	v_cmp_ne_u32_e64 s2, 0x7f800000, v45
                                        ; implicit-def: $vgpr45
	s_delay_alu instid0(VALU_DEP_1) | instskip(NEXT) | instid1(SALU_CYCLE_1)
	s_and_saveexec_b32 s20, s2
	s_xor_b32 s2, exec_lo, s20
; %bb.481:                              ;   in Loop: Header=BB403_13 Depth=1
	v_bfe_u32 v45, v28, 16, 1
	s_delay_alu instid0(VALU_DEP_1)
	v_add3_u32 v45, v28, v45, 0x7fff
                                        ; implicit-def: $vgpr28
; %bb.482:                              ;   in Loop: Header=BB403_13 Depth=1
	s_and_not1_saveexec_b32 s20, s2
; %bb.483:                              ;   in Loop: Header=BB403_13 Depth=1
	v_and_b32_e32 v45, 0xffff, v28
	v_or_b32_e32 v46, 0x10000, v28
	s_delay_alu instid0(VALU_DEP_2) | instskip(NEXT) | instid1(VALU_DEP_1)
	v_cmp_eq_u32_e64 s2, 0, v45
	v_cndmask_b32_e64 v45, v46, v28, s2
; %bb.484:                              ;   in Loop: Header=BB403_13 Depth=1
	s_or_b32 exec_lo, exec_lo, s20
	v_mov_b32_e32 v28, 0
	s_mov_b32 s20, exec_lo
	v_cmpx_lt_u32_e32 0xffffff, v69
	s_cbranch_execz .LBB403_492
; %bb.485:                              ;   in Loop: Header=BB403_13 Depth=1
	v_lshrrev_b32_e32 v46, 24, v69
	v_bfrev_b32_e32 v28, 1
	s_mov_b32 s21, exec_lo
	s_delay_alu instid0(VALU_DEP_2)
	v_cmpx_ne_u32_e32 0x80, v46
	s_cbranch_execz .LBB403_491
; %bb.486:                              ;   in Loop: Header=BB403_13 Depth=1
	v_bfe_u32 v47, v69, 24, 7
	v_mov_b32_e32 v28, 0x7f800001
	s_mov_b32 s22, exec_lo
	s_delay_alu instid0(VALU_DEP_2)
	v_cmpx_ne_u32_e32 0x7f, v47
	s_cbranch_execz .LBB403_490
; %bb.487:                              ;   in Loop: Header=BB403_13 Depth=1
	v_and_b32_e32 v28, 7, v46
	v_lshrrev_b32_e32 v69, 3, v47
	s_mov_b32 s23, exec_lo
	v_cmpx_gt_u32_e32 8, v47
; %bb.488:                              ;   in Loop: Header=BB403_13 Depth=1
	s_delay_alu instid0(VALU_DEP_3) | instskip(NEXT) | instid1(VALU_DEP_1)
	v_clz_i32_u32_e32 v69, v28
	v_min_u32_e32 v69, 32, v69
	s_delay_alu instid0(VALU_DEP_1) | instskip(SKIP_1) | instid1(VALU_DEP_2)
	v_subrev_nc_u32_e32 v47, 28, v69
	v_sub_nc_u32_e32 v69, 29, v69
	v_lshlrev_b64 v[56:57], v47, v[28:29]
	s_delay_alu instid0(VALU_DEP_1)
	v_and_b32_e32 v28, 7, v56
; %bb.489:                              ;   in Loop: Header=BB403_13 Depth=1
	s_or_b32 exec_lo, exec_lo, s23
	v_lshlrev_b32_e32 v46, 24, v46
	s_delay_alu instid0(VALU_DEP_2) | instskip(SKIP_1) | instid1(VALU_DEP_3)
	v_lshlrev_b32_e32 v28, 20, v28
	v_lshl_add_u32 v69, v69, 23, 0x3c000000
	v_and_b32_e32 v46, 0x80000000, v46
	s_delay_alu instid0(VALU_DEP_1)
	v_or3_b32 v28, v28, v46, v69
.LBB403_490:                            ;   in Loop: Header=BB403_13 Depth=1
	s_or_b32 exec_lo, exec_lo, s22
.LBB403_491:                            ;   in Loop: Header=BB403_13 Depth=1
	s_delay_alu instid0(SALU_CYCLE_1)
	s_or_b32 exec_lo, exec_lo, s21
.LBB403_492:                            ;   in Loop: Header=BB403_13 Depth=1
	s_delay_alu instid0(SALU_CYCLE_1) | instskip(NEXT) | instid1(VALU_DEP_1)
	s_or_b32 exec_lo, exec_lo, s20
	v_mul_f32_e32 v69, v119, v28
	s_delay_alu instid0(VALU_DEP_1) | instskip(NEXT) | instid1(VALU_DEP_1)
	v_and_b32_e32 v28, 0x7f800000, v69
	v_cmp_ne_u32_e64 s2, 0x7f800000, v28
                                        ; implicit-def: $vgpr28
	s_delay_alu instid0(VALU_DEP_1) | instskip(NEXT) | instid1(SALU_CYCLE_1)
	s_and_saveexec_b32 s20, s2
	s_xor_b32 s2, exec_lo, s20
; %bb.493:                              ;   in Loop: Header=BB403_13 Depth=1
	v_bfe_u32 v28, v69, 16, 1
	s_delay_alu instid0(VALU_DEP_1)
	v_add3_u32 v28, v69, v28, 0x7fff
                                        ; implicit-def: $vgpr69
; %bb.494:                              ;   in Loop: Header=BB403_13 Depth=1
	s_and_not1_saveexec_b32 s20, s2
; %bb.495:                              ;   in Loop: Header=BB403_13 Depth=1
	v_and_b32_e32 v28, 0xffff, v69
	v_or_b32_e32 v119, 0x10000, v69
	s_delay_alu instid0(VALU_DEP_2) | instskip(NEXT) | instid1(VALU_DEP_1)
	v_cmp_eq_u32_e64 s2, 0, v28
	v_cndmask_b32_e64 v28, v119, v69, s2
; %bb.496:                              ;   in Loop: Header=BB403_13 Depth=1
	s_or_b32 exec_lo, exec_lo, s20
	v_and_b32_e32 v134, 0xffff0000, v134
	v_lshlrev_b32_e32 v46, 16, v50
	v_lshlrev_b32_e32 v74, 16, v18
	;; [unrolled: 1-line block ×4, first 2 shown]
	v_and_b32_e32 v50, 0xffff0000, v50
	v_and_b32_e32 v6, 0xffff0000, v6
	v_lshlrev_b32_e32 v61, 16, v32
	v_and_b32_e32 v32, 0xffff0000, v32
	v_and_b32_e32 v133, 0xffff0000, v133
	;; [unrolled: 1-line block ×6, first 2 shown]
	v_lshlrev_b32_e32 v44, 16, v49
	v_dual_mul_f32 v50, v50, v133 :: v_dual_mul_f32 v133, v47, v134
	s_delay_alu instid0(VALU_DEP_4) | instskip(SKIP_2) | instid1(VALU_DEP_4)
	v_dual_mul_f32 v132, v46, v132 :: v_dual_and_b32 v119, 0xffff0000, v42
	v_and_b32_e32 v42, 0xffff0000, v43
	v_and_b32_e32 v146, 0xffff0000, v146
	v_dual_fmac_f32 v133, v44, v130 :: v_dual_and_b32 v128, 0xffff0000, v128
	v_lshlrev_b32_e32 v72, 16, v16
	v_and_b32_e32 v16, 0xffff0000, v16
	v_lshlrev_b32_e32 v43, 16, v48
	v_and_b32_e32 v18, 0xffff0000, v18
	;; [unrolled: 2-line block ×3, first 2 shown]
	v_and_b32_e32 v40, 0xffff0000, v40
	v_and_b32_e32 v144, 0xffff0000, v144
	s_delay_alu instid0(VALU_DEP_4)
	v_dual_fmac_f32 v133, v57, v146 :: v_dual_lshlrev_b32 v56, 16, v35
	v_lshlrev_b32_e32 v63, 16, v34
	v_and_b32_e32 v48, 0xffff0000, v48
	v_fmac_f32_e32 v132, v43, v128
	v_and_b32_e32 v34, 0xffff0000, v34
	v_and_b32_e32 v129, 0xffff0000, v129
	;; [unrolled: 1-line block ×3, first 2 shown]
	s_delay_alu instid0(VALU_DEP_4)
	v_dual_fmac_f32 v132, v56, v144 :: v_dual_and_b32 v179, 0xffff0000, v179
	v_and_b32_e32 v150, 0xffff0000, v150
	v_lshlrev_b32_e32 v78, 16, v8
	v_dual_fmac_f32 v50, v48, v129 :: v_dual_lshlrev_b32 v75, 16, v19
	v_and_b32_e32 v19, 0xffff0000, v19
	v_lshlrev_b32_e32 v73, 16, v17
	v_and_b32_e32 v17, 0xffff0000, v17
	v_lshlrev_b32_e32 v59, 16, v38
	v_and_b32_e32 v180, 0xffff0000, v180
	v_and_b32_e32 v162, 0xffff0000, v162
	;; [unrolled: 1-line block ×3, first 2 shown]
	v_lshlrev_b32_e32 v79, 16, v9
	v_dual_fmac_f32 v133, v59, v150 :: v_dual_and_b32 v176, 0xffff0000, v176
	v_and_b32_e32 v45, 0xffff0000, v45
	v_and_b32_e32 v178, 0xffff0000, v178
	s_delay_alu instid0(VALU_DEP_3)
	v_dual_fmac_f32 v133, v61, v162 :: v_dual_lshlrev_b32 v58, 16, v37
	v_and_b32_e32 v164, 0xffff0000, v164
	v_and_b32_e32 v8, 0xffff0000, v8
	v_lshlrev_b32_e32 v77, 16, v7
	v_and_b32_e32 v182, 0xffff0000, v182
	v_dual_fmac_f32 v133, v63, v166 :: v_dual_and_b32 v160, 0xffff0000, v160
	v_lshlrev_b32_e32 v60, 16, v31
	v_lshlrev_b32_e32 v62, 16, v33
	v_and_b32_e32 v51, 0xffff0000, v51
	s_delay_alu instid0(VALU_DEP_4) | instskip(SKIP_3) | instid1(VALU_DEP_4)
	v_dual_fmac_f32 v133, v73, v178 :: v_dual_and_b32 v148, 0xffff0000, v148
	v_and_b32_e32 v33, 0xffff0000, v33
	v_and_b32_e32 v49, 0xffff0000, v49
	;; [unrolled: 1-line block ×3, first 2 shown]
	v_fmac_f32_e32 v133, v75, v182
	v_dual_fmac_f32 v132, v58, v148 :: v_dual_and_b32 v165, 0xffff0000, v165
	v_and_b32_e32 v151, 0xffff0000, v151
	v_and_b32_e32 v135, 0xffff0000, v135
	;; [unrolled: 1-line block ×4, first 2 shown]
	v_dual_fmac_f32 v132, v60, v160 :: v_dual_and_b32 v145, 0xffff0000, v145
	s_delay_alu instid0(VALU_DEP_4) | instskip(SKIP_1) | instid1(VALU_DEP_3)
	v_mul_f32_e32 v48, v51, v135
	v_and_b32_e32 v31, 0xffff0000, v31
	v_dual_fmac_f32 v132, v62, v164 :: v_dual_and_b32 v147, 0xffff0000, v147
	v_and_b32_e32 v131, 0xffff0000, v131
	v_dual_fmac_f32 v50, v35, v145 :: v_dual_and_b32 v167, 0xffff0000, v167
	s_delay_alu instid0(VALU_DEP_3) | instskip(NEXT) | instid1(VALU_DEP_3)
	v_dual_fmac_f32 v132, v72, v176 :: v_dual_and_b32 v37, 0xffff0000, v37
	v_dual_fmac_f32 v48, v49, v131 :: v_dual_and_b32 v177, 0xffff0000, v177
	v_and_b32_e32 v161, 0xffff0000, v161
	v_and_b32_e32 v38, 0xffff0000, v38
	s_delay_alu instid0(VALU_DEP_4) | instskip(SKIP_2) | instid1(VALU_DEP_3)
	v_fmac_f32_e32 v132, v74, v180
	v_xor_b32_e32 v88, 1, v99
	v_dual_fmac_f32 v48, v36, v147 :: v_dual_and_b32 v149, 0xffff0000, v149
	v_fmac_f32_e32 v132, v76, v40
	s_delay_alu instid0(VALU_DEP_3) | instskip(NEXT) | instid1(VALU_DEP_3)
	v_cmp_gt_i32_e64 s2, 32, v88
	v_fmac_f32_e32 v48, v38, v151
	s_delay_alu instid0(VALU_DEP_4) | instskip(NEXT) | instid1(VALU_DEP_4)
	v_dual_fmac_f32 v50, v37, v149 :: v_dual_and_b32 v163, 0xffff0000, v163
	v_fmac_f32_e32 v132, v78, v68
	s_delay_alu instid0(VALU_DEP_2) | instskip(NEXT) | instid1(VALU_DEP_3)
	v_fmac_f32_e32 v48, v32, v163
	v_fmac_f32_e32 v50, v31, v161
	s_delay_alu instid0(VALU_DEP_2) | instskip(NEXT) | instid1(VALU_DEP_2)
	v_fmac_f32_e32 v48, v34, v167
	v_fmac_f32_e32 v50, v33, v165
	s_delay_alu instid0(VALU_DEP_2) | instskip(NEXT) | instid1(VALU_DEP_2)
	v_fmac_f32_e32 v48, v17, v179
	v_fmac_f32_e32 v50, v16, v177
	s_delay_alu instid0(VALU_DEP_2) | instskip(NEXT) | instid1(VALU_DEP_2)
	v_fmac_f32_e32 v48, v19, v183
	v_fmac_f32_e32 v50, v18, v181
	s_delay_alu instid0(VALU_DEP_1) | instskip(SKIP_1) | instid1(VALU_DEP_2)
	v_fmac_f32_e32 v50, v6, v41
	v_and_b32_e32 v6, 0xffff0000, v7
	v_dual_fmac_f32 v50, v8, v69 :: v_dual_and_b32 v7, 0xffff0000, v28
	v_dual_fmac_f32 v133, v77, v119 :: v_dual_and_b32 v8, 0xffff0000, v9
	s_delay_alu instid0(VALU_DEP_3) | instskip(SKIP_1) | instid1(VALU_DEP_3)
	v_fmac_f32_e32 v48, v6, v42
	v_cndmask_b32_e64 v9, v99, v88, s2
	v_dual_add_f32 v6, v132, v50 :: v_dual_fmac_f32 v133, v79, v45
	s_delay_alu instid0(VALU_DEP_2) | instskip(NEXT) | instid1(VALU_DEP_2)
	v_dual_fmac_f32 v48, v8, v7 :: v_dual_lshlrev_b32 v7, 2, v9
	v_add_f32_e32 v6, v6, v133
	s_delay_alu instid0(VALU_DEP_1)
	v_add_f32_e32 v6, v48, v6
	ds_bpermute_b32 v7, v7, v6
	s_and_saveexec_b32 s20, vcc_lo
	s_cbranch_execz .LBB403_11
; %bb.497:                              ;   in Loop: Header=BB403_13 Depth=1
	v_add_nc_u32_e32 v8, v116, v113
	s_load_b32 s21, s[8:9], 0x0
	s_waitcnt lgkmcnt(0)
	v_add_f32_e32 v6, v6, v7
	s_delay_alu instid0(VALU_DEP_2) | instskip(NEXT) | instid1(VALU_DEP_1)
	v_cvt_f32_i32_e32 v8, v8
	v_mul_f32_e32 v8, v98, v8
	s_delay_alu instid0(VALU_DEP_1) | instskip(NEXT) | instid1(VALU_DEP_1)
	v_cndmask_b32_e64 v7, 0, v8, s1
	v_dual_max_f32 v8, v100, v100 :: v_dual_fmac_f32 v7, v6, v13
	v_add_nc_u32_e32 v6, v102, v113
	s_delay_alu instid0(VALU_DEP_2) | instskip(NEXT) | instid1(VALU_DEP_2)
	v_max_f32_e32 v8, v8, v7
	v_cmp_lt_i32_e64 s2, v6, v71
	v_add_nc_u32_e32 v6, s21, v115
	s_delay_alu instid0(VALU_DEP_2) | instskip(NEXT) | instid1(VALU_DEP_4)
	v_cndmask_b32_e64 v7, 0, v7, s2
	v_cndmask_b32_e64 v100, v100, v8, s2
	ds_store_b32 v6, v7
	s_branch .LBB403_11
.LBB403_498:
	s_or_b32 exec_lo, exec_lo, s19
.LBB403_499:
	s_delay_alu instid0(SALU_CYCLE_1)
	s_or_b32 exec_lo, exec_lo, s18
	v_xor_b32_e32 v6, 16, v99
	s_waitcnt lgkmcnt(0)
	v_xor_b32_e32 v7, 8, v99
	v_and_b32_e32 v16, 31, v70
	s_lshr_b32 s8, s17, 16
	v_max_f32_e32 v8, v100, v100
	v_cmp_gt_i32_e32 vcc_lo, 32, v6
	v_dual_cndmask_b32 v6, v99, v6 :: v_dual_lshlrev_b32 v19, 2, v21
	v_cmp_gt_i32_e32 vcc_lo, 32, v7
	v_cndmask_b32_e32 v7, v99, v7, vcc_lo
	s_delay_alu instid0(VALU_DEP_1) | instskip(NEXT) | instid1(VALU_DEP_4)
	v_lshlrev_b32_e32 v13, 2, v7
	v_lshlrev_b32_e32 v9, 2, v6
	ds_bpermute_b32 v6, v9, v100
	s_waitcnt lgkmcnt(0)
	v_max_f32_e32 v6, v6, v6
	s_delay_alu instid0(VALU_DEP_1) | instskip(SKIP_4) | instid1(VALU_DEP_1)
	v_max_f32_e32 v6, v8, v6
	v_xor_b32_e32 v8, 4, v99
	ds_bpermute_b32 v7, v13, v6
	v_cmp_gt_i32_e32 vcc_lo, 32, v8
	v_cndmask_b32_e32 v8, v99, v8, vcc_lo
	v_lshlrev_b32_e32 v18, 2, v8
	v_xor_b32_e32 v8, 2, v99
	s_delay_alu instid0(VALU_DEP_1) | instskip(SKIP_4) | instid1(VALU_DEP_3)
	v_cmp_gt_i32_e32 vcc_lo, 32, v8
	s_waitcnt lgkmcnt(0)
	v_max_f32_e32 v7, v7, v7
	v_cndmask_b32_e32 v8, v99, v8, vcc_lo
	v_cmp_eq_u32_e32 vcc_lo, 0, v16
	v_max_f32_e32 v6, v6, v7
	s_delay_alu instid0(VALU_DEP_3) | instskip(SKIP_3) | instid1(VALU_DEP_1)
	v_lshlrev_b32_e32 v8, 2, v8
	ds_bpermute_b32 v7, v18, v6
	s_waitcnt lgkmcnt(0)
	v_max_f32_e32 v7, v7, v7
	v_max_f32_e32 v6, v6, v7
	ds_bpermute_b32 v7, v8, v6
	s_and_saveexec_b32 s1, vcc_lo
	s_cbranch_execz .LBB403_501
; %bb.500:
	s_waitcnt lgkmcnt(0)
	v_dual_max_f32 v7, v7, v7 :: v_dual_max_f32 v6, v6, v6
	s_delay_alu instid0(VALU_DEP_1)
	v_max_f32_e32 v6, v6, v7
	ds_store_b32 v19, v6 offset:160
.LBB403_501:
	s_or_b32 exec_lo, exec_lo, s1
	v_cmp_gt_u32_e64 s1, 4, v16
	v_mov_b32_e32 v6, 0xff7fffff
	v_lshlrev_b32_e32 v24, 2, v16
	s_waitcnt lgkmcnt(0)
	s_barrier
	buffer_gl0_inv
	s_and_saveexec_b32 s2, s1
	s_cbranch_execz .LBB403_503
; %bb.502:
	ds_load_b32 v6, v24 offset:160
.LBB403_503:
	s_or_b32 exec_lo, exec_lo, s2
	s_waitcnt lgkmcnt(0)
	ds_bpermute_b32 v7, v8, v6
	v_xor_b32_e32 v17, 1, v99
	v_max_f32_e32 v6, v6, v6
	v_subrev_nc_u32_e32 v28, s13, v84
	v_mov_b32_e32 v25, 0
	s_delay_alu instid0(VALU_DEP_4) | instskip(NEXT) | instid1(VALU_DEP_1)
	v_cmp_gt_i32_e64 s2, 32, v17
	v_cndmask_b32_e64 v17, v99, v17, s2
	s_waitcnt lgkmcnt(0)
	v_max_f32_e32 v7, v7, v7
	s_delay_alu instid0(VALU_DEP_1) | instskip(SKIP_3) | instid1(VALU_DEP_1)
	v_dual_max_f32 v6, v6, v7 :: v_dual_lshlrev_b32 v17, 2, v17
	ds_bpermute_b32 v7, v17, v6
	s_waitcnt lgkmcnt(0)
	v_max_f32_e32 v7, v7, v7
	v_max_f32_e32 v6, v6, v7
	v_lshl_add_u32 v7, v28, 4, s15
	ds_bpermute_b32 v6, v25, v6
	v_min_i32_e32 v7, v7, v71
	s_delay_alu instid0(VALU_DEP_1) | instskip(NEXT) | instid1(VALU_DEP_1)
	v_subrev_nc_u32_e32 v7, s15, v7
	v_cmp_lt_i32_e64 s2, v70, v7
	s_delay_alu instid0(VALU_DEP_1)
	s_and_saveexec_b32 s9, s2
	s_cbranch_execz .LBB403_507
; %bb.504:
	s_getpc_b64 s[18:19]
	s_add_u32 s18, s18, llvm.amdgcn.dynlds.offset.table@rel32@lo+4
	s_addc_u32 s19, s19, llvm.amdgcn.dynlds.offset.table@rel32@hi+12
	s_ashr_i32 s11, s10, 31
	v_mov_b32_e32 v25, 0
	s_lshl_b64 s[20:21], s[10:11], 2
	v_mov_b32_e32 v29, v70
	s_add_u32 s18, s20, s18
	s_addc_u32 s19, s21, s19
	s_mov_b32 s11, 0
	s_load_b32 s3, s[18:19], 0x0
	s_waitcnt lgkmcnt(0)
	v_lshl_add_u32 v28, v70, 2, s3
	.p2align	6
.LBB403_505:                            ; =>This Inner Loop Header: Depth=1
	ds_load_b32 v31, v28
	v_add_nc_u32_e32 v29, 0x80, v29
	s_delay_alu instid0(VALU_DEP_1) | instskip(NEXT) | instid1(VALU_DEP_1)
	v_cmp_ge_i32_e64 s3, v29, v7
	s_or_b32 s11, s3, s11
	s_waitcnt lgkmcnt(0)
	v_sub_f32_e32 v31, v31, v6
	s_delay_alu instid0(VALU_DEP_1) | instskip(NEXT) | instid1(VALU_DEP_1)
	v_mul_f32_e32 v31, 0x3fb8aa3b, v31
	v_exp_f32_e32 v31, v31
	ds_store_b32 v28, v31
	v_dual_add_f32 v25, v25, v31 :: v_dual_add_nc_u32 v28, 0x200, v28
	s_and_not1_b32 exec_lo, exec_lo, s11
	s_cbranch_execnz .LBB403_505
; %bb.506:
	s_or_b32 exec_lo, exec_lo, s11
.LBB403_507:
	s_delay_alu instid0(SALU_CYCLE_1)
	s_or_b32 exec_lo, exec_lo, s9
	ds_bpermute_b32 v9, v9, v25
	s_waitcnt lgkmcnt(0)
	v_add_f32_e32 v9, v25, v9
	ds_bpermute_b32 v13, v13, v9
	s_waitcnt lgkmcnt(0)
	v_add_f32_e32 v9, v9, v13
	;; [unrolled: 3-line block ×5, first 2 shown]
	s_and_saveexec_b32 s3, vcc_lo
	s_cbranch_execz .LBB403_509
; %bb.508:
	ds_store_b32 v19, v9 offset:176
.LBB403_509:
	s_or_b32 exec_lo, exec_lo, s3
	s_waitcnt lgkmcnt(0)
	s_barrier
	buffer_gl0_inv
	s_and_saveexec_b32 s3, s1
	s_cbranch_execz .LBB403_511
; %bb.510:
	ds_load_b32 v9, v24 offset:176
.LBB403_511:
	s_or_b32 exec_lo, exec_lo, s3
	s_waitcnt lgkmcnt(0)
	ds_bpermute_b32 v8, v8, v9
	s_waitcnt lgkmcnt(0)
	v_add_f32_e32 v8, v9, v8
	ds_bpermute_b32 v9, v17, v8
	s_waitcnt lgkmcnt(0)
	v_dual_add_f32 v8, v8, v9 :: v_dual_mov_b32 v9, 0
	ds_bpermute_b32 v8, v9, v8
	s_and_saveexec_b32 s1, s2
	s_cbranch_execz .LBB403_514
; %bb.512:
	s_waitcnt lgkmcnt(0)
	v_add_f32_e32 v13, 0x358637bd, v8
	s_getpc_b64 s[2:3]
	s_add_u32 s2, s2, llvm.amdgcn.dynlds.offset.table@rel32@lo+4
	s_addc_u32 s3, s3, llvm.amdgcn.dynlds.offset.table@rel32@hi+12
	s_ashr_i32 s11, s10, 31
	s_delay_alu instid0(SALU_CYCLE_1) | instskip(SKIP_4) | instid1(VALU_DEP_1)
	s_lshl_b64 s[18:19], s[10:11], 2
	v_div_scale_f32 v9, null, v13, v13, 1.0
	s_add_u32 s2, s18, s2
	s_addc_u32 s3, s19, s3
	s_load_b32 s2, s[2:3], 0x0
	v_rcp_f32_e32 v18, v9
	s_waitcnt_depctr 0xfff
	v_fma_f32 v19, -v9, v18, 1.0
	s_delay_alu instid0(VALU_DEP_1) | instskip(SKIP_1) | instid1(VALU_DEP_1)
	v_fmac_f32_e32 v18, v19, v18
	v_div_scale_f32 v24, vcc_lo, 1.0, v13, 1.0
	v_mul_f32_e32 v19, v24, v18
	s_delay_alu instid0(VALU_DEP_1) | instskip(NEXT) | instid1(VALU_DEP_1)
	v_fma_f32 v25, -v9, v19, v24
	v_fmac_f32_e32 v19, v25, v18
	s_delay_alu instid0(VALU_DEP_1) | instskip(NEXT) | instid1(VALU_DEP_1)
	v_fma_f32 v9, -v9, v19, v24
	v_div_fmas_f32 v18, v9, v18, v19
	s_waitcnt lgkmcnt(0)
	v_lshl_add_u32 v9, v70, 2, s2
	s_mov_b32 s2, 0
	s_delay_alu instid0(VALU_DEP_2)
	v_div_fixup_f32 v13, v18, v13, 1.0
	v_mov_b32_e32 v18, v70
.LBB403_513:                            ; =>This Inner Loop Header: Depth=1
	ds_load_b32 v19, v9
	s_waitcnt lgkmcnt(0)
	v_dual_mul_f32 v19, v13, v19 :: v_dual_add_nc_u32 v18, 0x80, v18
	s_delay_alu instid0(VALU_DEP_1) | instskip(SKIP_3) | instid1(SALU_CYCLE_1)
	v_cmp_ge_i32_e32 vcc_lo, v18, v7
	ds_store_b32 v9, v19
	v_add_nc_u32_e32 v9, 0x200, v9
	s_or_b32 s2, vcc_lo, s2
	s_and_not1_b32 exec_lo, exec_lo, s2
	s_cbranch_execnz .LBB403_513
.LBB403_514:
	s_or_b32 exec_lo, exec_lo, s1
	v_cmp_ne_u16_e64 s1, s8, 0
	s_mov_b32 s2, exec_lo
	s_waitcnt lgkmcnt(0)
	s_barrier
	buffer_gl0_inv
	s_cmp_lg_u32 s1, 0
	s_addc_u32 s1, s7, 0
	v_cmpx_eq_u32_e32 0, v70
	s_cbranch_execz .LBB403_516
; %bb.515:
	s_mul_i32 s3, s1, s4
	s_mul_i32 s8, s1, s12
	;; [unrolled: 1-line block ×3, first 2 shown]
	s_ashr_i32 s9, s8, 31
	s_ashr_i32 s15, s14, 31
	;; [unrolled: 1-line block ×3, first 2 shown]
	s_lshl_b64 s[8:9], s[8:9], 2
	s_lshl_b64 s[18:19], s[14:15], 2
	;; [unrolled: 1-line block ×3, first 2 shown]
	s_add_u32 s3, s18, s8
	s_addc_u32 s7, s19, s9
	s_add_u32 s3, s3, s12
	s_addc_u32 s7, s7, s13
	v_add_co_u32 v2, vcc_lo, s3, v2
	v_add_co_ci_u32_e32 v3, vcc_lo, s7, v3, vcc_lo
	v_add_co_u32 v0, vcc_lo, s3, v0
	v_add_co_ci_u32_e32 v1, vcc_lo, s7, v1, vcc_lo
	flat_store_b32 v[2:3], v6
	flat_store_b32 v[0:1], v8
.LBB403_516:
	s_or_b32 exec_lo, exec_lo, s2
	s_getpc_b64 s[2:3]
	s_add_u32 s2, s2, llvm.amdgcn.dynlds.offset.table@rel32@lo+4
	s_addc_u32 s3, s3, llvm.amdgcn.dynlds.offset.table@rel32@hi+12
	s_ashr_i32 s11, s10, 31
	v_dual_mov_b32 v28, 0 :: v_dual_mov_b32 v19, 0
	s_lshl_b64 s[8:9], s[10:11], 2
	v_dual_mov_b32 v18, 0 :: v_dual_mov_b32 v25, 0
	s_add_u32 s2, s8, s2
	s_addc_u32 s3, s9, s3
	v_mov_b32_e32 v24, 0
	s_load_b32 s11, s[2:3], 0x0
	s_mov_b32 s10, 0
	s_waitcnt lgkmcnt(0)
	v_mov_b32_e32 v0, s11
	s_and_saveexec_b32 s7, s0
	s_cbranch_execz .LBB403_1204
; %bb.517:
	v_max_i32_e32 v29, v30, v96
	v_add_co_u32 v2, vcc_lo, v10, v12
	v_dual_mov_b32 v19, 0 :: v_dual_and_b32 v6, 0xf8, v86
	s_delay_alu instid0(VALU_DEP_3) | instskip(SKIP_3) | instid1(VALU_DEP_4)
	v_cvt_f32_u32_e32 v0, v29
	v_sub_nc_u32_e32 v7, 0, v29
	v_add_co_ci_u32_e32 v3, vcc_lo, v11, v97, vcc_lo
	v_dual_mov_b32 v10, 0 :: v_dual_lshlrev_b32 v9, 5, v80
	v_rcp_iflag_f32_e32 v0, v0
	v_add_co_u32 v11, vcc_lo, v2, v6
	s_delay_alu instid0(VALU_DEP_3) | instskip(NEXT) | instid1(VALU_DEP_3)
	v_add_co_ci_u32_e32 v12, vcc_lo, 0, v3, vcc_lo
	v_lshl_or_b32 v2, v21, 6, v9
	v_dual_mov_b32 v25, 0 :: v_dual_and_b32 v30, 8, v86
	v_dual_mov_b32 v18, 0 :: v_dual_add_nc_u32 v31, -1, v87
	s_waitcnt_depctr 0xfff
	v_mul_f32_e32 v0, 0x4f7ffffe, v0
	v_add_nc_u32_e32 v32, s11, v2
	v_mov_b32_e32 v28, 0
	s_mov_b32 s8, -1
	s_mov_b32 s9, 0xffffff
	v_cvt_u32_f32_e32 v8, v0
	v_lshlrev_b64 v[0:1], 2, v[52:53]
	s_delay_alu instid0(VALU_DEP_2) | instskip(NEXT) | instid1(VALU_DEP_2)
	v_mul_lo_u32 v7, v7, v8
	v_add_co_u32 v0, vcc_lo, v54, v0
	s_delay_alu instid0(VALU_DEP_3) | instskip(NEXT) | instid1(VALU_DEP_2)
	v_add_co_ci_u32_e32 v1, vcc_lo, v55, v1, vcc_lo
	v_add_co_u32 v13, vcc_lo, v14, v0
	s_delay_alu instid0(VALU_DEP_4) | instskip(SKIP_1) | instid1(VALU_DEP_4)
	v_mul_hi_u32 v3, v8, v7
	v_mov_b32_e32 v24, 0
	v_add_co_ci_u32_e32 v14, vcc_lo, v15, v1, vcc_lo
	s_delay_alu instid0(VALU_DEP_3)
	v_add_nc_u32_e32 v15, v8, v3
	s_branch .LBB403_520
.LBB403_518:                            ;   in Loop: Header=BB403_520 Depth=1
	s_or_b32 exec_lo, exec_lo, s0
	v_and_b32_e32 v34, 0xffff0000, v34
	v_and_b32_e32 v33, 0xffff0000, v33
	v_and_b32_e32 v68, 0xffff0000, v99
	v_and_b32_e32 v35, 0xffff0000, v35
	v_and_b32_e32 v9, 0xffff0000, v9
	v_and_b32_e32 v1, 0xffff0000, v1
	v_dual_add_f32 v33, v33, v34 :: v_dual_and_b32 v36, 0xffff0000, v36
	v_and_b32_e32 v7, 0xffff0000, v7
	v_and_b32_e32 v65, 0xffff0000, v115
	;; [unrolled: 1-line block ×3, first 2 shown]
	s_delay_alu instid0(VALU_DEP_4)
	v_dual_add_f32 v34, v35, v36 :: v_dual_and_b32 v3, 0xffff0000, v3
	v_and_b32_e32 v66, 0xffff0000, v117
	v_and_b32_e32 v54, 0xffff0000, v131
	;; [unrolled: 1-line block ×6, first 2 shown]
	s_delay_alu instid0(VALU_DEP_4) | instskip(NEXT) | instid1(VALU_DEP_4)
	v_dual_add_f32 v6, v6, v7 :: v_dual_and_b32 v49, 0xffff0000, v49
	v_add_f32_e32 v7, v54, v53
	v_dual_add_f32 v0, v0, v1 :: v_dual_and_b32 v55, 0xffff0000, v134
	v_add_f32_e32 v1, v3, v9
	s_delay_alu instid0(VALU_DEP_3) | instskip(SKIP_2) | instid1(VALU_DEP_4)
	v_dual_add_f32 v6, v6, v7 :: v_dual_and_b32 v3, 0xffff0000, v50
	v_and_b32_e32 v53, 0xffff0000, v133
	v_and_b32_e32 v64, 0xffff0000, v144
	v_dual_add_f32 v0, v0, v1 :: v_dual_and_b32 v67, 0xffff0000, v119
	v_add_f32_e32 v9, v33, v34
	s_delay_alu instid0(VALU_DEP_4) | instskip(SKIP_3) | instid1(VALU_DEP_4)
	v_add_f32_e32 v7, v53, v55
	v_and_b32_e32 v53, 0xffff0000, v118
	v_dual_add_f32 v1, v3, v35 :: v_dual_and_b32 v2, 0xffff0000, v2
	v_and_b32_e32 v38, 0xffff0000, v38
	v_add_f32_e32 v6, v6, v7
	s_delay_alu instid0(VALU_DEP_4)
	v_add_f32_e32 v53, v66, v53
	v_and_b32_e32 v69, 0xffff0000, v101
	v_and_b32_e32 v66, 0xffff0000, v100
	v_and_b32_e32 v7, 0xffff0000, v128
	v_and_b32_e32 v86, 0xffff0000, v129
	v_add_f32_e32 v0, v0, v1
	v_add_f32_e32 v1, v8, v2
	s_delay_alu instid0(VALU_DEP_4) | instskip(SKIP_2) | instid1(VALU_DEP_4)
	v_dual_add_f32 v66, v68, v66 :: v_dual_add_f32 v7, v67, v7
	v_and_b32_e32 v55, 0xffff0000, v116
	v_and_b32_e32 v68, 0xffff0000, v103
	v_dual_add_f32 v0, v0, v1 :: v_dual_and_b32 v67, 0xffff0000, v130
	s_delay_alu instid0(VALU_DEP_3) | instskip(SKIP_1) | instid1(VALU_DEP_3)
	v_dual_add_f32 v55, v65, v55 :: v_dual_and_b32 v48, 0xffff0000, v48
	v_and_b32_e32 v54, 0xffff0000, v135
	v_dual_add_f32 v28, v28, v0 :: v_dual_and_b32 v65, 0xffff0000, v102
	s_delay_alu instid0(VALU_DEP_2) | instskip(NEXT) | instid1(VALU_DEP_1)
	v_dual_add_f32 v53, v55, v53 :: v_dual_add_f32 v54, v54, v64
	v_add_f32_e32 v7, v53, v7
	v_add_f32_e32 v53, v86, v67
	s_delay_alu instid0(VALU_DEP_3) | instskip(SKIP_1) | instid1(VALU_DEP_3)
	v_dual_add_f32 v2, v6, v54 :: v_dual_and_b32 v55, 0xffff0000, v112
	v_add_f32_e32 v65, v69, v65
	v_add_f32_e32 v6, v7, v53
	v_and_b32_e32 v37, 0xffff0000, v37
	s_delay_alu instid0(VALU_DEP_3)
	v_dual_add_f32 v55, v68, v55 :: v_dual_add_f32 v64, v66, v65
	v_and_b32_e32 v66, 0xffff0000, v114
	v_dual_add_f32 v18, v18, v2 :: v_dual_and_b32 v65, 0xffff0000, v113
	v_add_f32_e32 v24, v24, v6
	v_add_f32_e32 v33, v37, v38
	v_add_f32_e32 v55, v64, v55
	s_delay_alu instid0(VALU_DEP_4) | instskip(NEXT) | instid1(VALU_DEP_3)
	v_add_f32_e32 v3, v65, v66
	v_add_f32_e32 v9, v9, v33
	;; [unrolled: 1-line block ×3, first 2 shown]
	s_delay_alu instid0(VALU_DEP_3) | instskip(NEXT) | instid1(VALU_DEP_2)
	v_add_f32_e32 v3, v55, v3
	v_add_f32_e32 v7, v9, v33
	s_delay_alu instid0(VALU_DEP_2) | instskip(NEXT) | instid1(VALU_DEP_2)
	v_add_f32_e32 v19, v19, v3
	v_add_f32_e32 v25, v25, v7
.LBB403_519:                            ;   in Loop: Header=BB403_520 Depth=1
	s_or_b32 exec_lo, exec_lo, s11
	v_add_nc_u32_e32 v52, 4, v52
	v_add_co_u32 v13, s0, v13, 16
	s_delay_alu instid0(VALU_DEP_1) | instskip(NEXT) | instid1(VALU_DEP_3)
	v_add_co_ci_u32_e64 v14, s0, 0, v14, s0
	v_cmp_ge_i32_e32 vcc_lo, v52, v84
	v_add_nc_u32_e32 v23, 64, v23
	v_add_nc_u32_e32 v32, 0x100, v32
	s_or_b32 s10, vcc_lo, s10
	s_delay_alu instid0(SALU_CYCLE_1)
	s_and_not1_b32 exec_lo, exec_lo, s10
	s_cbranch_execz .LBB403_1203
.LBB403_520:                            ; =>This Inner Loop Header: Depth=1
	v_sub_nc_u32_e32 v0, 0, v23
	s_delay_alu instid0(VALU_DEP_1) | instskip(NEXT) | instid1(VALU_DEP_1)
	v_max_i32_e32 v0, v23, v0
	v_mul_hi_u32 v1, v0, v82
	s_delay_alu instid0(VALU_DEP_1) | instskip(NEXT) | instid1(VALU_DEP_1)
	v_mul_lo_u32 v2, v1, v81
	v_sub_nc_u32_e32 v0, v0, v2
	v_add_nc_u32_e32 v2, 1, v1
	s_delay_alu instid0(VALU_DEP_2) | instskip(SKIP_1) | instid1(VALU_DEP_2)
	v_sub_nc_u32_e32 v3, v0, v81
	v_cmp_ge_u32_e32 vcc_lo, v0, v81
	v_dual_cndmask_b32 v1, v1, v2 :: v_dual_cndmask_b32 v0, v0, v3
	v_ashrrev_i32_e32 v2, 31, v23
	s_delay_alu instid0(VALU_DEP_2) | instskip(NEXT) | instid1(VALU_DEP_3)
	v_add_nc_u32_e32 v3, 1, v1
	v_cmp_ge_u32_e32 vcc_lo, v0, v81
	s_delay_alu instid0(VALU_DEP_3) | instskip(NEXT) | instid1(VALU_DEP_3)
	v_xor_b32_e32 v2, v2, v83
	v_cndmask_b32_e32 v0, v1, v3, vcc_lo
	s_delay_alu instid0(VALU_DEP_1) | instskip(NEXT) | instid1(VALU_DEP_1)
	v_xor_b32_e32 v0, v0, v2
	v_sub_nc_u32_e32 v0, v0, v2
	s_delay_alu instid0(VALU_DEP_1) | instskip(SKIP_1) | instid1(VALU_DEP_2)
	v_add_nc_u32_e32 v1, v0, v20
	v_cmp_gt_i32_e64 s0, v0, v85
	v_sub_nc_u32_e32 v2, 0, v1
	s_delay_alu instid0(VALU_DEP_1) | instskip(NEXT) | instid1(VALU_DEP_1)
	v_max_i32_e32 v2, v1, v2
	v_mul_hi_u32 v3, v2, v15
	s_delay_alu instid0(VALU_DEP_1) | instskip(NEXT) | instid1(VALU_DEP_1)
	v_mul_lo_u32 v3, v3, v29
	v_sub_nc_u32_e32 v2, v2, v3
	s_delay_alu instid0(VALU_DEP_1) | instskip(SKIP_1) | instid1(VALU_DEP_2)
	v_sub_nc_u32_e32 v3, v2, v29
	v_cmp_ge_u32_e32 vcc_lo, v2, v29
	v_cndmask_b32_e32 v2, v2, v3, vcc_lo
	v_ashrrev_i32_e32 v1, 31, v1
	s_delay_alu instid0(VALU_DEP_2) | instskip(SKIP_1) | instid1(VALU_DEP_2)
	v_sub_nc_u32_e32 v3, v2, v29
	v_cmp_ge_u32_e32 vcc_lo, v2, v29
	v_cndmask_b32_e32 v2, v2, v3, vcc_lo
	s_delay_alu instid0(VALU_DEP_1) | instskip(NEXT) | instid1(VALU_DEP_1)
	v_xor_b32_e32 v2, v2, v1
	v_sub_nc_u32_e32 v1, v2, v1
	s_delay_alu instid0(VALU_DEP_1) | instskip(SKIP_1) | instid1(SALU_CYCLE_1)
	v_cmp_eq_u32_e32 vcc_lo, 0, v1
	s_or_b32 s0, vcc_lo, s0
	s_and_saveexec_b32 s11, s0
	s_cbranch_execz .LBB403_519
; %bb.521:                              ;   in Loop: Header=BB403_520 Depth=1
	flat_load_b32 v50, v[13:14]
	ds_load_2addr_b64 v[6:9], v32 offset1:1
	ds_load_2addr_b64 v[0:3], v32 offset0:2 offset1:3
	s_waitcnt lgkmcnt(1)
	v_and_b32_e32 v33, 0x7f800000, v6
	s_delay_alu instid0(VALU_DEP_1) | instskip(SKIP_1) | instid1(SALU_CYCLE_1)
	v_cmp_ne_u32_e32 vcc_lo, 0x7f800000, v33
                                        ; implicit-def: $vgpr33
	s_and_saveexec_b32 s0, vcc_lo
	s_xor_b32 s0, exec_lo, s0
; %bb.522:                              ;   in Loop: Header=BB403_520 Depth=1
	v_bfe_u32 v33, v6, 16, 1
	s_delay_alu instid0(VALU_DEP_1)
	v_add3_u32 v33, v6, v33, 0x7fff
; %bb.523:                              ;   in Loop: Header=BB403_520 Depth=1
	s_and_not1_saveexec_b32 s0, s0
; %bb.524:                              ;   in Loop: Header=BB403_520 Depth=1
	v_and_b32_e32 v33, 0xffff, v6
	v_or_b32_e32 v34, 0x10000, v6
	s_delay_alu instid0(VALU_DEP_2) | instskip(NEXT) | instid1(VALU_DEP_2)
	v_cmp_eq_u32_e32 vcc_lo, 0, v33
	v_cndmask_b32_e32 v33, v34, v6, vcc_lo
; %bb.525:                              ;   in Loop: Header=BB403_520 Depth=1
	s_or_b32 exec_lo, exec_lo, s0
	v_and_b32_e32 v6, 0x7f800000, v7
	s_mov_b32 s0, exec_lo
                                        ; implicit-def: $vgpr34
	s_delay_alu instid0(VALU_DEP_1)
	v_cmpx_ne_u32_e32 0x7f800000, v6
	s_xor_b32 s0, exec_lo, s0
; %bb.526:                              ;   in Loop: Header=BB403_520 Depth=1
	v_bfe_u32 v6, v7, 16, 1
	s_delay_alu instid0(VALU_DEP_1)
	v_add3_u32 v34, v7, v6, 0x7fff
; %bb.527:                              ;   in Loop: Header=BB403_520 Depth=1
	s_and_not1_saveexec_b32 s0, s0
; %bb.528:                              ;   in Loop: Header=BB403_520 Depth=1
	v_and_b32_e32 v6, 0xffff, v7
	v_or_b32_e32 v34, 0x10000, v7
	s_delay_alu instid0(VALU_DEP_2) | instskip(NEXT) | instid1(VALU_DEP_2)
	v_cmp_eq_u32_e32 vcc_lo, 0, v6
	v_cndmask_b32_e32 v34, v34, v7, vcc_lo
; %bb.529:                              ;   in Loop: Header=BB403_520 Depth=1
	s_or_b32 exec_lo, exec_lo, s0
	v_and_b32_e32 v6, 0x7f800000, v8
	s_mov_b32 s0, exec_lo
                                        ; implicit-def: $vgpr35
	s_delay_alu instid0(VALU_DEP_1)
	v_cmpx_ne_u32_e32 0x7f800000, v6
	s_xor_b32 s0, exec_lo, s0
; %bb.530:                              ;   in Loop: Header=BB403_520 Depth=1
	v_bfe_u32 v6, v8, 16, 1
	s_delay_alu instid0(VALU_DEP_1)
	v_add3_u32 v35, v8, v6, 0x7fff
; %bb.531:                              ;   in Loop: Header=BB403_520 Depth=1
	s_and_not1_saveexec_b32 s0, s0
; %bb.532:                              ;   in Loop: Header=BB403_520 Depth=1
	v_and_b32_e32 v6, 0xffff, v8
	v_or_b32_e32 v7, 0x10000, v8
	s_delay_alu instid0(VALU_DEP_2) | instskip(NEXT) | instid1(VALU_DEP_2)
	v_cmp_eq_u32_e32 vcc_lo, 0, v6
	v_cndmask_b32_e32 v35, v7, v8, vcc_lo
; %bb.533:                              ;   in Loop: Header=BB403_520 Depth=1
	s_or_b32 exec_lo, exec_lo, s0
	v_and_b32_e32 v6, 0x7f800000, v9
	s_mov_b32 s0, exec_lo
                                        ; implicit-def: $vgpr36
	s_delay_alu instid0(VALU_DEP_1)
	v_cmpx_ne_u32_e32 0x7f800000, v6
	s_xor_b32 s0, exec_lo, s0
; %bb.534:                              ;   in Loop: Header=BB403_520 Depth=1
	v_bfe_u32 v6, v9, 16, 1
	s_delay_alu instid0(VALU_DEP_1)
	v_add3_u32 v36, v9, v6, 0x7fff
                                        ; implicit-def: $vgpr6_vgpr7_vgpr8_vgpr9
; %bb.535:                              ;   in Loop: Header=BB403_520 Depth=1
	s_and_not1_saveexec_b32 s0, s0
; %bb.536:                              ;   in Loop: Header=BB403_520 Depth=1
	v_and_b32_e32 v6, 0xffff, v9
	v_or_b32_e32 v7, 0x10000, v9
	s_delay_alu instid0(VALU_DEP_2) | instskip(NEXT) | instid1(VALU_DEP_2)
	v_cmp_eq_u32_e32 vcc_lo, 0, v6
	v_cndmask_b32_e32 v36, v7, v9, vcc_lo
; %bb.537:                              ;   in Loop: Header=BB403_520 Depth=1
	s_or_b32 exec_lo, exec_lo, s0
	s_waitcnt lgkmcnt(0)
	v_and_b32_e32 v6, 0x7f800000, v0
	s_mov_b32 s0, exec_lo
                                        ; implicit-def: $vgpr37
	s_delay_alu instid0(VALU_DEP_1)
	v_cmpx_ne_u32_e32 0x7f800000, v6
	s_xor_b32 s0, exec_lo, s0
; %bb.538:                              ;   in Loop: Header=BB403_520 Depth=1
	v_bfe_u32 v6, v0, 16, 1
	s_delay_alu instid0(VALU_DEP_1)
	v_add3_u32 v37, v0, v6, 0x7fff
; %bb.539:                              ;   in Loop: Header=BB403_520 Depth=1
	s_and_not1_saveexec_b32 s0, s0
; %bb.540:                              ;   in Loop: Header=BB403_520 Depth=1
	v_and_b32_e32 v6, 0xffff, v0
	v_or_b32_e32 v7, 0x10000, v0
	s_delay_alu instid0(VALU_DEP_2) | instskip(NEXT) | instid1(VALU_DEP_2)
	v_cmp_eq_u32_e32 vcc_lo, 0, v6
	v_cndmask_b32_e32 v37, v7, v0, vcc_lo
; %bb.541:                              ;   in Loop: Header=BB403_520 Depth=1
	s_or_b32 exec_lo, exec_lo, s0
	v_and_b32_e32 v0, 0x7f800000, v1
	s_mov_b32 s0, exec_lo
                                        ; implicit-def: $vgpr38
	s_delay_alu instid0(VALU_DEP_1)
	v_cmpx_ne_u32_e32 0x7f800000, v0
	s_xor_b32 s0, exec_lo, s0
; %bb.542:                              ;   in Loop: Header=BB403_520 Depth=1
	v_bfe_u32 v0, v1, 16, 1
	s_delay_alu instid0(VALU_DEP_1)
	v_add3_u32 v38, v1, v0, 0x7fff
; %bb.543:                              ;   in Loop: Header=BB403_520 Depth=1
	s_and_not1_saveexec_b32 s0, s0
; %bb.544:                              ;   in Loop: Header=BB403_520 Depth=1
	v_and_b32_e32 v0, 0xffff, v1
	v_or_b32_e32 v6, 0x10000, v1
	s_delay_alu instid0(VALU_DEP_2) | instskip(NEXT) | instid1(VALU_DEP_2)
	v_cmp_eq_u32_e32 vcc_lo, 0, v0
	v_cndmask_b32_e32 v38, v6, v1, vcc_lo
; %bb.545:                              ;   in Loop: Header=BB403_520 Depth=1
	s_or_b32 exec_lo, exec_lo, s0
	v_and_b32_e32 v0, 0x7f800000, v2
	s_mov_b32 s0, exec_lo
                                        ; implicit-def: $vgpr48
	s_delay_alu instid0(VALU_DEP_1)
	v_cmpx_ne_u32_e32 0x7f800000, v0
	s_xor_b32 s0, exec_lo, s0
; %bb.546:                              ;   in Loop: Header=BB403_520 Depth=1
	v_bfe_u32 v0, v2, 16, 1
	s_delay_alu instid0(VALU_DEP_1)
	v_add3_u32 v48, v2, v0, 0x7fff
; %bb.547:                              ;   in Loop: Header=BB403_520 Depth=1
	s_and_not1_saveexec_b32 s0, s0
; %bb.548:                              ;   in Loop: Header=BB403_520 Depth=1
	v_and_b32_e32 v0, 0xffff, v2
	v_or_b32_e32 v1, 0x10000, v2
	s_delay_alu instid0(VALU_DEP_2) | instskip(NEXT) | instid1(VALU_DEP_2)
	v_cmp_eq_u32_e32 vcc_lo, 0, v0
	v_cndmask_b32_e32 v48, v1, v2, vcc_lo
; %bb.549:                              ;   in Loop: Header=BB403_520 Depth=1
	s_or_b32 exec_lo, exec_lo, s0
	v_and_b32_e32 v0, 0x7f800000, v3
	s_mov_b32 s0, exec_lo
                                        ; implicit-def: $vgpr49
	s_delay_alu instid0(VALU_DEP_1)
	v_cmpx_ne_u32_e32 0x7f800000, v0
	s_xor_b32 s0, exec_lo, s0
; %bb.550:                              ;   in Loop: Header=BB403_520 Depth=1
	v_bfe_u32 v0, v3, 16, 1
	s_delay_alu instid0(VALU_DEP_1)
	v_add3_u32 v49, v3, v0, 0x7fff
                                        ; implicit-def: $vgpr0_vgpr1_vgpr2_vgpr3
; %bb.551:                              ;   in Loop: Header=BB403_520 Depth=1
	s_and_not1_saveexec_b32 s0, s0
; %bb.552:                              ;   in Loop: Header=BB403_520 Depth=1
	v_and_b32_e32 v0, 0xffff, v3
	v_or_b32_e32 v1, 0x10000, v3
	s_delay_alu instid0(VALU_DEP_2) | instskip(NEXT) | instid1(VALU_DEP_2)
	v_cmp_eq_u32_e32 vcc_lo, 0, v0
	v_cndmask_b32_e32 v49, v1, v3, vcc_lo
; %bb.553:                              ;   in Loop: Header=BB403_520 Depth=1
	s_or_b32 exec_lo, exec_lo, s0
	s_waitcnt vmcnt(0)
	v_mad_i64_i32 v[0:1], null, v50, v22, v[11:12]
	s_mov_b32 s0, exec_lo
	flat_load_b64 v[2:3], v[0:1]
	flat_load_b32 v8, v[26:27]
	s_waitcnt vmcnt(1) lgkmcnt(1)
	v_dual_mov_b32 v6, 0 :: v_dual_and_b32 v7, 0xff, v2
	s_delay_alu instid0(VALU_DEP_1)
	v_cmpx_ne_u16_e32 0, v7
	s_cbranch_execz .LBB403_561
; %bb.554:                              ;   in Loop: Header=BB403_520 Depth=1
	v_bfrev_b32_e32 v6, 1
	s_mov_b32 s12, exec_lo
	v_cmpx_ne_u16_e32 0x80, v7
	s_cbranch_execz .LBB403_560
; %bb.555:                              ;   in Loop: Header=BB403_520 Depth=1
	v_and_b32_e32 v7, 0x7f, v2
	v_mov_b32_e32 v6, 0x7f800001
	s_mov_b32 s13, exec_lo
	s_delay_alu instid0(VALU_DEP_2)
	v_cmpx_ne_u32_e32 0x7f, v7
	s_cbranch_execz .LBB403_559
; %bb.556:                              ;   in Loop: Header=BB403_520 Depth=1
	v_lshrrev_b32_e32 v9, 3, v7
	v_cmp_gt_u32_e32 vcc_lo, 8, v7
	v_dual_mov_b32 v7, v3 :: v_dual_mov_b32 v6, v2
	s_and_saveexec_b32 s15, vcc_lo
; %bb.557:                              ;   in Loop: Header=BB403_520 Depth=1
	v_and_b32_e32 v6, 7, v2
	s_delay_alu instid0(VALU_DEP_1) | instskip(NEXT) | instid1(VALU_DEP_1)
	v_clz_i32_u32_e32 v6, v6
	v_min_u32_e32 v9, 32, v6
	s_delay_alu instid0(VALU_DEP_1) | instskip(SKIP_1) | instid1(VALU_DEP_2)
	v_subrev_nc_u32_e32 v6, 28, v9
	v_sub_nc_u32_e32 v9, 29, v9
	v_lshlrev_b64 v[6:7], v6, v[2:3]
; %bb.558:                              ;   in Loop: Header=BB403_520 Depth=1
	s_or_b32 exec_lo, exec_lo, s15
	s_delay_alu instid0(VALU_DEP_1) | instskip(SKIP_2) | instid1(VALU_DEP_3)
	v_lshlrev_b32_e32 v6, 20, v6
	v_lshlrev_b32_e32 v7, 24, v2
	v_lshl_add_u32 v9, v9, 23, 0x3c000000
	v_and_b32_e32 v6, 0x700000, v6
	s_delay_alu instid0(VALU_DEP_3) | instskip(NEXT) | instid1(VALU_DEP_1)
	v_and_b32_e32 v7, 0x80000000, v7
	v_or3_b32 v6, v6, v7, v9
.LBB403_559:                            ;   in Loop: Header=BB403_520 Depth=1
	s_or_b32 exec_lo, exec_lo, s13
.LBB403_560:                            ;   in Loop: Header=BB403_520 Depth=1
	s_delay_alu instid0(SALU_CYCLE_1)
	s_or_b32 exec_lo, exec_lo, s12
.LBB403_561:                            ;   in Loop: Header=BB403_520 Depth=1
	s_delay_alu instid0(SALU_CYCLE_1) | instskip(SKIP_3) | instid1(VALU_DEP_1)
	s_or_b32 exec_lo, exec_lo, s0
	s_waitcnt vmcnt(0) lgkmcnt(0)
	v_mul_f32_e32 v6, v8, v6
	s_mov_b32 s0, exec_lo
                                        ; implicit-def: $vgpr51
	v_and_b32_e32 v7, 0x7f800000, v6
	s_delay_alu instid0(VALU_DEP_1)
	v_cmpx_ne_u32_e32 0x7f800000, v7
	s_xor_b32 s0, exec_lo, s0
; %bb.562:                              ;   in Loop: Header=BB403_520 Depth=1
	v_bfe_u32 v7, v6, 16, 1
	s_delay_alu instid0(VALU_DEP_1)
	v_add3_u32 v51, v6, v7, 0x7fff
                                        ; implicit-def: $vgpr6
; %bb.563:                              ;   in Loop: Header=BB403_520 Depth=1
	s_and_not1_saveexec_b32 s0, s0
; %bb.564:                              ;   in Loop: Header=BB403_520 Depth=1
	v_and_b32_e32 v7, 0xffff, v6
	v_or_b32_e32 v9, 0x10000, v6
	s_delay_alu instid0(VALU_DEP_2) | instskip(NEXT) | instid1(VALU_DEP_2)
	v_cmp_eq_u32_e32 vcc_lo, 0, v7
	v_cndmask_b32_e32 v51, v9, v6, vcc_lo
; %bb.565:                              ;   in Loop: Header=BB403_520 Depth=1
	s_or_b32 exec_lo, exec_lo, s0
	v_lshrrev_b16 v7, 8, v2
	v_mov_b32_e32 v6, 0
	s_mov_b32 s0, exec_lo
	s_delay_alu instid0(VALU_DEP_2)
	v_cmpx_ne_u16_e32 0, v7
	s_cbranch_execz .LBB403_573
; %bb.566:                              ;   in Loop: Header=BB403_520 Depth=1
	v_bfrev_b32_e32 v6, 1
	s_mov_b32 s12, exec_lo
	v_cmpx_ne_u16_e32 0x80, v7
	s_cbranch_execz .LBB403_572
; %bb.567:                              ;   in Loop: Header=BB403_520 Depth=1
	v_and_b32_e32 v9, 0xffff, v7
	v_mov_b32_e32 v6, 0x7f800001
	s_mov_b32 s13, exec_lo
	s_delay_alu instid0(VALU_DEP_2) | instskip(NEXT) | instid1(VALU_DEP_1)
	v_and_b32_e32 v7, 0x7f, v9
	v_cmpx_ne_u32_e32 0x7f, v7
	s_cbranch_execz .LBB403_571
; %bb.568:                              ;   in Loop: Header=BB403_520 Depth=1
	v_and_b32_e32 v9, 7, v9
	v_lshrrev_b32_e32 v6, 3, v7
	s_mov_b32 s15, exec_lo
	v_cmpx_gt_u32_e32 8, v7
; %bb.569:                              ;   in Loop: Header=BB403_520 Depth=1
	s_delay_alu instid0(VALU_DEP_3) | instskip(NEXT) | instid1(VALU_DEP_1)
	v_clz_i32_u32_e32 v6, v9
	v_min_u32_e32 v6, 32, v6
	s_delay_alu instid0(VALU_DEP_1) | instskip(SKIP_1) | instid1(VALU_DEP_2)
	v_subrev_nc_u32_e32 v7, 28, v6
	v_sub_nc_u32_e32 v6, 29, v6
	v_lshlrev_b64 v[53:54], v7, v[9:10]
	s_delay_alu instid0(VALU_DEP_1)
	v_and_b32_e32 v9, 7, v53
; %bb.570:                              ;   in Loop: Header=BB403_520 Depth=1
	s_or_b32 exec_lo, exec_lo, s15
	v_lshlrev_b32_e32 v7, 16, v2
	s_delay_alu instid0(VALU_DEP_2) | instskip(SKIP_1) | instid1(VALU_DEP_3)
	v_lshlrev_b32_e32 v9, 20, v9
	v_lshl_add_u32 v6, v6, 23, 0x3c000000
	v_and_b32_e32 v7, 0x80000000, v7
	s_delay_alu instid0(VALU_DEP_1)
	v_or3_b32 v6, v9, v7, v6
.LBB403_571:                            ;   in Loop: Header=BB403_520 Depth=1
	s_or_b32 exec_lo, exec_lo, s13
.LBB403_572:                            ;   in Loop: Header=BB403_520 Depth=1
	s_delay_alu instid0(SALU_CYCLE_1)
	s_or_b32 exec_lo, exec_lo, s12
.LBB403_573:                            ;   in Loop: Header=BB403_520 Depth=1
	s_delay_alu instid0(SALU_CYCLE_1) | instskip(NEXT) | instid1(VALU_DEP_1)
	s_or_b32 exec_lo, exec_lo, s0
	v_mul_f32_e32 v6, v8, v6
	s_mov_b32 s0, exec_lo
                                        ; implicit-def: $vgpr53
	s_delay_alu instid0(VALU_DEP_1) | instskip(NEXT) | instid1(VALU_DEP_1)
	v_and_b32_e32 v7, 0x7f800000, v6
	v_cmpx_ne_u32_e32 0x7f800000, v7
	s_xor_b32 s0, exec_lo, s0
; %bb.574:                              ;   in Loop: Header=BB403_520 Depth=1
	v_bfe_u32 v7, v6, 16, 1
	s_delay_alu instid0(VALU_DEP_1)
	v_add3_u32 v53, v6, v7, 0x7fff
                                        ; implicit-def: $vgpr6
; %bb.575:                              ;   in Loop: Header=BB403_520 Depth=1
	s_and_not1_saveexec_b32 s0, s0
; %bb.576:                              ;   in Loop: Header=BB403_520 Depth=1
	v_and_b32_e32 v7, 0xffff, v6
	v_or_b32_e32 v9, 0x10000, v6
	s_delay_alu instid0(VALU_DEP_2) | instskip(NEXT) | instid1(VALU_DEP_2)
	v_cmp_eq_u32_e32 vcc_lo, 0, v7
	v_cndmask_b32_e32 v53, v9, v6, vcc_lo
; %bb.577:                              ;   in Loop: Header=BB403_520 Depth=1
	s_or_b32 exec_lo, exec_lo, s0
	v_lshrrev_b32_e32 v6, 16, v2
	v_mov_b32_e32 v7, 0
	s_mov_b32 s0, exec_lo
	s_delay_alu instid0(VALU_DEP_2) | instskip(NEXT) | instid1(VALU_DEP_1)
	v_and_b32_e32 v9, 0xff, v6
	v_cmpx_ne_u16_e32 0, v9
	s_cbranch_execz .LBB403_585
; %bb.578:                              ;   in Loop: Header=BB403_520 Depth=1
	v_bfrev_b32_e32 v7, 1
	s_mov_b32 s12, exec_lo
	v_cmpx_ne_u16_e32 0x80, v9
	s_cbranch_execz .LBB403_584
; %bb.579:                              ;   in Loop: Header=BB403_520 Depth=1
	v_bfe_u32 v50, v2, 16, 7
	v_mov_b32_e32 v7, 0x7f800001
	s_mov_b32 s13, exec_lo
	s_delay_alu instid0(VALU_DEP_2)
	v_cmpx_ne_u32_e32 0x7f, v50
	s_cbranch_execz .LBB403_583
; %bb.580:                              ;   in Loop: Header=BB403_520 Depth=1
	v_and_b32_e32 v9, 7, v6
	v_lshrrev_b32_e32 v7, 3, v50
	s_mov_b32 s15, exec_lo
	v_cmpx_gt_u32_e32 8, v50
; %bb.581:                              ;   in Loop: Header=BB403_520 Depth=1
	s_delay_alu instid0(VALU_DEP_3) | instskip(NEXT) | instid1(VALU_DEP_1)
	v_clz_i32_u32_e32 v7, v9
	v_min_u32_e32 v7, 32, v7
	s_delay_alu instid0(VALU_DEP_1) | instskip(SKIP_1) | instid1(VALU_DEP_2)
	v_subrev_nc_u32_e32 v50, 28, v7
	v_sub_nc_u32_e32 v7, 29, v7
	v_lshlrev_b64 v[54:55], v50, v[9:10]
	s_delay_alu instid0(VALU_DEP_1)
	v_and_b32_e32 v9, 7, v54
; %bb.582:                              ;   in Loop: Header=BB403_520 Depth=1
	s_or_b32 exec_lo, exec_lo, s15
	v_lshlrev_b32_e32 v6, 24, v6
	s_delay_alu instid0(VALU_DEP_2) | instskip(SKIP_1) | instid1(VALU_DEP_3)
	v_lshlrev_b32_e32 v9, 20, v9
	v_lshl_add_u32 v7, v7, 23, 0x3c000000
	v_and_b32_e32 v6, 0x80000000, v6
	s_delay_alu instid0(VALU_DEP_1)
	v_or3_b32 v7, v9, v6, v7
.LBB403_583:                            ;   in Loop: Header=BB403_520 Depth=1
	s_or_b32 exec_lo, exec_lo, s13
.LBB403_584:                            ;   in Loop: Header=BB403_520 Depth=1
	s_delay_alu instid0(SALU_CYCLE_1)
	s_or_b32 exec_lo, exec_lo, s12
.LBB403_585:                            ;   in Loop: Header=BB403_520 Depth=1
	s_delay_alu instid0(SALU_CYCLE_1) | instskip(NEXT) | instid1(VALU_DEP_1)
	s_or_b32 exec_lo, exec_lo, s0
	v_mul_f32_e32 v6, v8, v7
	s_mov_b32 s0, exec_lo
                                        ; implicit-def: $vgpr54
	s_delay_alu instid0(VALU_DEP_1) | instskip(NEXT) | instid1(VALU_DEP_1)
	v_and_b32_e32 v7, 0x7f800000, v6
	v_cmpx_ne_u32_e32 0x7f800000, v7
	s_xor_b32 s0, exec_lo, s0
; %bb.586:                              ;   in Loop: Header=BB403_520 Depth=1
	v_bfe_u32 v7, v6, 16, 1
	s_delay_alu instid0(VALU_DEP_1)
	v_add3_u32 v54, v6, v7, 0x7fff
                                        ; implicit-def: $vgpr6
; %bb.587:                              ;   in Loop: Header=BB403_520 Depth=1
	s_and_not1_saveexec_b32 s0, s0
; %bb.588:                              ;   in Loop: Header=BB403_520 Depth=1
	v_and_b32_e32 v7, 0xffff, v6
	v_or_b32_e32 v9, 0x10000, v6
	s_delay_alu instid0(VALU_DEP_2) | instskip(NEXT) | instid1(VALU_DEP_2)
	v_cmp_eq_u32_e32 vcc_lo, 0, v7
	v_cndmask_b32_e32 v54, v9, v6, vcc_lo
; %bb.589:                              ;   in Loop: Header=BB403_520 Depth=1
	s_or_b32 exec_lo, exec_lo, s0
	v_mov_b32_e32 v7, 0
	s_mov_b32 s0, exec_lo
	v_cmpx_lt_u32_e32 0xffffff, v2
	s_cbranch_execz .LBB403_597
; %bb.590:                              ;   in Loop: Header=BB403_520 Depth=1
	v_lshrrev_b32_e32 v6, 24, v2
	v_bfrev_b32_e32 v7, 1
	s_mov_b32 s12, exec_lo
	s_delay_alu instid0(VALU_DEP_2)
	v_cmpx_ne_u32_e32 0x80, v6
	s_cbranch_execz .LBB403_596
; %bb.591:                              ;   in Loop: Header=BB403_520 Depth=1
	v_bfe_u32 v50, v2, 24, 7
	v_mov_b32_e32 v7, 0x7f800001
	s_mov_b32 s13, exec_lo
	s_delay_alu instid0(VALU_DEP_2)
	v_cmpx_ne_u32_e32 0x7f, v50
	s_cbranch_execz .LBB403_595
; %bb.592:                              ;   in Loop: Header=BB403_520 Depth=1
	v_and_b32_e32 v9, 7, v6
	v_lshrrev_b32_e32 v7, 3, v50
	s_mov_b32 s15, exec_lo
	v_cmpx_gt_u32_e32 8, v50
; %bb.593:                              ;   in Loop: Header=BB403_520 Depth=1
	s_delay_alu instid0(VALU_DEP_3) | instskip(NEXT) | instid1(VALU_DEP_1)
	v_clz_i32_u32_e32 v7, v9
	v_min_u32_e32 v7, 32, v7
	s_delay_alu instid0(VALU_DEP_1) | instskip(SKIP_1) | instid1(VALU_DEP_2)
	v_subrev_nc_u32_e32 v50, 28, v7
	v_sub_nc_u32_e32 v7, 29, v7
	v_lshlrev_b64 v[64:65], v50, v[9:10]
	s_delay_alu instid0(VALU_DEP_1)
	v_and_b32_e32 v9, 7, v64
; %bb.594:                              ;   in Loop: Header=BB403_520 Depth=1
	s_or_b32 exec_lo, exec_lo, s15
	v_lshlrev_b32_e32 v6, 24, v6
	s_delay_alu instid0(VALU_DEP_2) | instskip(SKIP_1) | instid1(VALU_DEP_3)
	v_lshlrev_b32_e32 v9, 20, v9
	v_lshl_add_u32 v7, v7, 23, 0x3c000000
	v_and_b32_e32 v6, 0x80000000, v6
	s_delay_alu instid0(VALU_DEP_1)
	v_or3_b32 v7, v9, v6, v7
.LBB403_595:                            ;   in Loop: Header=BB403_520 Depth=1
	s_or_b32 exec_lo, exec_lo, s13
.LBB403_596:                            ;   in Loop: Header=BB403_520 Depth=1
	s_delay_alu instid0(SALU_CYCLE_1)
	s_or_b32 exec_lo, exec_lo, s12
.LBB403_597:                            ;   in Loop: Header=BB403_520 Depth=1
	s_delay_alu instid0(SALU_CYCLE_1) | instskip(NEXT) | instid1(VALU_DEP_1)
	s_or_b32 exec_lo, exec_lo, s0
	v_mul_f32_e32 v6, v8, v7
	s_mov_b32 s0, exec_lo
                                        ; implicit-def: $vgpr55
	s_delay_alu instid0(VALU_DEP_1) | instskip(NEXT) | instid1(VALU_DEP_1)
	v_and_b32_e32 v7, 0x7f800000, v6
	v_cmpx_ne_u32_e32 0x7f800000, v7
	s_xor_b32 s0, exec_lo, s0
; %bb.598:                              ;   in Loop: Header=BB403_520 Depth=1
	v_bfe_u32 v7, v6, 16, 1
	s_delay_alu instid0(VALU_DEP_1)
	v_add3_u32 v55, v6, v7, 0x7fff
                                        ; implicit-def: $vgpr6
; %bb.599:                              ;   in Loop: Header=BB403_520 Depth=1
	s_and_not1_saveexec_b32 s0, s0
; %bb.600:                              ;   in Loop: Header=BB403_520 Depth=1
	v_and_b32_e32 v7, 0xffff, v6
	v_or_b32_e32 v9, 0x10000, v6
	s_delay_alu instid0(VALU_DEP_2) | instskip(NEXT) | instid1(VALU_DEP_2)
	v_cmp_eq_u32_e32 vcc_lo, 0, v7
	v_cndmask_b32_e32 v55, v9, v6, vcc_lo
; %bb.601:                              ;   in Loop: Header=BB403_520 Depth=1
	s_or_b32 exec_lo, exec_lo, s0
	v_dual_mov_b32 v6, 0 :: v_dual_and_b32 v7, 0xff, v3
	v_mov_b32_e32 v9, v3
	s_mov_b32 s0, exec_lo
	s_delay_alu instid0(VALU_DEP_2)
	v_cmpx_ne_u16_e32 0, v7
	s_cbranch_execz .LBB403_609
; %bb.602:                              ;   in Loop: Header=BB403_520 Depth=1
	v_bfrev_b32_e32 v6, 1
	s_mov_b32 s12, exec_lo
	v_cmpx_ne_u16_e32 0x80, v7
	s_cbranch_execz .LBB403_608
; %bb.603:                              ;   in Loop: Header=BB403_520 Depth=1
	v_and_b32_e32 v7, 0x7f, v3
	v_mov_b32_e32 v6, 0x7f800001
	s_mov_b32 s13, exec_lo
	s_delay_alu instid0(VALU_DEP_2)
	v_cmpx_ne_u32_e32 0x7f, v7
	s_cbranch_execz .LBB403_607
; %bb.604:                              ;   in Loop: Header=BB403_520 Depth=1
	v_lshrrev_b32_e32 v50, 3, v7
	v_cmp_gt_u32_e32 vcc_lo, 8, v7
	v_dual_mov_b32 v6, v9 :: v_dual_mov_b32 v7, v10
	s_and_saveexec_b32 s15, vcc_lo
; %bb.605:                              ;   in Loop: Header=BB403_520 Depth=1
	v_and_b32_e32 v6, 7, v3
	s_delay_alu instid0(VALU_DEP_1) | instskip(NEXT) | instid1(VALU_DEP_1)
	v_clz_i32_u32_e32 v6, v6
	v_min_u32_e32 v50, 32, v6
	s_delay_alu instid0(VALU_DEP_1) | instskip(SKIP_1) | instid1(VALU_DEP_2)
	v_subrev_nc_u32_e32 v6, 28, v50
	v_sub_nc_u32_e32 v50, 29, v50
	v_lshlrev_b64 v[6:7], v6, v[9:10]
; %bb.606:                              ;   in Loop: Header=BB403_520 Depth=1
	s_or_b32 exec_lo, exec_lo, s15
	s_delay_alu instid0(VALU_DEP_1) | instskip(SKIP_2) | instid1(VALU_DEP_3)
	v_lshlrev_b32_e32 v6, 20, v6
	v_lshlrev_b32_e32 v7, 24, v9
	v_lshl_add_u32 v50, v50, 23, 0x3c000000
	v_and_b32_e32 v6, 0x700000, v6
	s_delay_alu instid0(VALU_DEP_3) | instskip(NEXT) | instid1(VALU_DEP_1)
	v_and_b32_e32 v7, 0x80000000, v7
	v_or3_b32 v6, v6, v7, v50
.LBB403_607:                            ;   in Loop: Header=BB403_520 Depth=1
	s_or_b32 exec_lo, exec_lo, s13
.LBB403_608:                            ;   in Loop: Header=BB403_520 Depth=1
	s_delay_alu instid0(SALU_CYCLE_1)
	s_or_b32 exec_lo, exec_lo, s12
.LBB403_609:                            ;   in Loop: Header=BB403_520 Depth=1
	s_delay_alu instid0(SALU_CYCLE_1) | instskip(NEXT) | instid1(VALU_DEP_1)
	s_or_b32 exec_lo, exec_lo, s0
	v_mul_f32_e32 v6, v8, v6
	s_mov_b32 s0, exec_lo
                                        ; implicit-def: $vgpr64
	s_delay_alu instid0(VALU_DEP_1) | instskip(NEXT) | instid1(VALU_DEP_1)
	v_and_b32_e32 v7, 0x7f800000, v6
	v_cmpx_ne_u32_e32 0x7f800000, v7
	s_xor_b32 s0, exec_lo, s0
; %bb.610:                              ;   in Loop: Header=BB403_520 Depth=1
	v_bfe_u32 v7, v6, 16, 1
	s_delay_alu instid0(VALU_DEP_1)
	v_add3_u32 v64, v6, v7, 0x7fff
                                        ; implicit-def: $vgpr6
; %bb.611:                              ;   in Loop: Header=BB403_520 Depth=1
	s_and_not1_saveexec_b32 s0, s0
; %bb.612:                              ;   in Loop: Header=BB403_520 Depth=1
	v_and_b32_e32 v7, 0xffff, v6
	v_or_b32_e32 v50, 0x10000, v6
	s_delay_alu instid0(VALU_DEP_2) | instskip(NEXT) | instid1(VALU_DEP_2)
	v_cmp_eq_u32_e32 vcc_lo, 0, v7
	v_cndmask_b32_e32 v64, v50, v6, vcc_lo
; %bb.613:                              ;   in Loop: Header=BB403_520 Depth=1
	s_or_b32 exec_lo, exec_lo, s0
	v_lshrrev_b16 v7, 8, v9
	v_mov_b32_e32 v6, 0
	s_mov_b32 s0, exec_lo
	s_delay_alu instid0(VALU_DEP_2)
	v_cmpx_ne_u16_e32 0, v7
	s_cbranch_execz .LBB403_621
; %bb.614:                              ;   in Loop: Header=BB403_520 Depth=1
	v_bfrev_b32_e32 v6, 1
	s_mov_b32 s12, exec_lo
	v_cmpx_ne_u16_e32 0x80, v7
	s_cbranch_execz .LBB403_620
; %bb.615:                              ;   in Loop: Header=BB403_520 Depth=1
	v_and_b32_e32 v7, 0xffff, v7
	v_mov_b32_e32 v6, 0x7f800001
	s_mov_b32 s13, exec_lo
	s_delay_alu instid0(VALU_DEP_2) | instskip(NEXT) | instid1(VALU_DEP_1)
	v_and_b32_e32 v65, 0x7f, v7
	v_cmpx_ne_u32_e32 0x7f, v65
	s_cbranch_execz .LBB403_619
; %bb.616:                              ;   in Loop: Header=BB403_520 Depth=1
	v_dual_mov_b32 v7, v10 :: v_dual_and_b32 v6, 7, v7
	v_lshrrev_b32_e32 v50, 3, v65
	s_mov_b32 s15, exec_lo
	v_cmpx_gt_u32_e32 8, v65
; %bb.617:                              ;   in Loop: Header=BB403_520 Depth=1
	s_delay_alu instid0(VALU_DEP_3) | instskip(NEXT) | instid1(VALU_DEP_1)
	v_clz_i32_u32_e32 v50, v6
	v_min_u32_e32 v50, 32, v50
	s_delay_alu instid0(VALU_DEP_1) | instskip(SKIP_1) | instid1(VALU_DEP_2)
	v_subrev_nc_u32_e32 v65, 28, v50
	v_sub_nc_u32_e32 v50, 29, v50
	v_lshlrev_b64 v[6:7], v65, v[6:7]
	s_delay_alu instid0(VALU_DEP_1)
	v_and_b32_e32 v6, 7, v6
; %bb.618:                              ;   in Loop: Header=BB403_520 Depth=1
	s_or_b32 exec_lo, exec_lo, s15
	v_lshlrev_b32_e32 v7, 16, v9
	s_delay_alu instid0(VALU_DEP_2) | instskip(SKIP_1) | instid1(VALU_DEP_3)
	v_lshlrev_b32_e32 v6, 20, v6
	v_lshl_add_u32 v9, v50, 23, 0x3c000000
	v_and_b32_e32 v7, 0x80000000, v7
	s_delay_alu instid0(VALU_DEP_1)
	v_or3_b32 v6, v6, v7, v9
.LBB403_619:                            ;   in Loop: Header=BB403_520 Depth=1
	s_or_b32 exec_lo, exec_lo, s13
.LBB403_620:                            ;   in Loop: Header=BB403_520 Depth=1
	s_delay_alu instid0(SALU_CYCLE_1)
	s_or_b32 exec_lo, exec_lo, s12
.LBB403_621:                            ;   in Loop: Header=BB403_520 Depth=1
	s_delay_alu instid0(SALU_CYCLE_1) | instskip(NEXT) | instid1(VALU_DEP_1)
	s_or_b32 exec_lo, exec_lo, s0
	v_mul_f32_e32 v7, v8, v6
	s_delay_alu instid0(VALU_DEP_1) | instskip(NEXT) | instid1(VALU_DEP_1)
	v_and_b32_e32 v6, 0x7f800000, v7
	v_cmp_ne_u32_e32 vcc_lo, 0x7f800000, v6
                                        ; implicit-def: $vgpr6
	s_and_saveexec_b32 s0, vcc_lo
	s_delay_alu instid0(SALU_CYCLE_1)
	s_xor_b32 s0, exec_lo, s0
; %bb.622:                              ;   in Loop: Header=BB403_520 Depth=1
	v_bfe_u32 v6, v7, 16, 1
	s_delay_alu instid0(VALU_DEP_1)
	v_add3_u32 v6, v7, v6, 0x7fff
                                        ; implicit-def: $vgpr7
; %bb.623:                              ;   in Loop: Header=BB403_520 Depth=1
	s_and_not1_saveexec_b32 s0, s0
; %bb.624:                              ;   in Loop: Header=BB403_520 Depth=1
	v_and_b32_e32 v6, 0xffff, v7
	v_or_b32_e32 v9, 0x10000, v7
	s_delay_alu instid0(VALU_DEP_2) | instskip(NEXT) | instid1(VALU_DEP_2)
	v_cmp_eq_u32_e32 vcc_lo, 0, v6
	v_cndmask_b32_e32 v6, v9, v7, vcc_lo
; %bb.625:                              ;   in Loop: Header=BB403_520 Depth=1
	s_or_b32 exec_lo, exec_lo, s0
	v_lshrrev_b32_e32 v7, 16, v3
	s_mov_b32 s0, exec_lo
	s_delay_alu instid0(VALU_DEP_1) | instskip(NEXT) | instid1(VALU_DEP_1)
	v_dual_mov_b32 v9, 0 :: v_dual_and_b32 v50, 0xff, v7
	v_cmpx_ne_u16_e32 0, v50
	s_cbranch_execz .LBB403_633
; %bb.626:                              ;   in Loop: Header=BB403_520 Depth=1
	v_bfrev_b32_e32 v9, 1
	s_mov_b32 s12, exec_lo
	v_cmpx_ne_u16_e32 0x80, v50
	s_cbranch_execz .LBB403_632
; %bb.627:                              ;   in Loop: Header=BB403_520 Depth=1
	v_bfe_u32 v65, v3, 16, 7
	v_mov_b32_e32 v9, 0x7f800001
	s_mov_b32 s13, exec_lo
	s_delay_alu instid0(VALU_DEP_2)
	v_cmpx_ne_u32_e32 0x7f, v65
	s_cbranch_execz .LBB403_631
; %bb.628:                              ;   in Loop: Header=BB403_520 Depth=1
	v_and_b32_e32 v9, 7, v7
	v_lshrrev_b32_e32 v50, 3, v65
	s_mov_b32 s15, exec_lo
	v_cmpx_gt_u32_e32 8, v65
; %bb.629:                              ;   in Loop: Header=BB403_520 Depth=1
	s_delay_alu instid0(VALU_DEP_3) | instskip(NEXT) | instid1(VALU_DEP_1)
	v_clz_i32_u32_e32 v50, v9
	v_min_u32_e32 v50, 32, v50
	s_delay_alu instid0(VALU_DEP_1) | instskip(SKIP_1) | instid1(VALU_DEP_2)
	v_subrev_nc_u32_e32 v65, 28, v50
	v_sub_nc_u32_e32 v50, 29, v50
	v_lshlrev_b64 v[65:66], v65, v[9:10]
	s_delay_alu instid0(VALU_DEP_1)
	v_and_b32_e32 v9, 7, v65
; %bb.630:                              ;   in Loop: Header=BB403_520 Depth=1
	s_or_b32 exec_lo, exec_lo, s15
	v_lshlrev_b32_e32 v7, 24, v7
	s_delay_alu instid0(VALU_DEP_2) | instskip(SKIP_1) | instid1(VALU_DEP_3)
	v_lshlrev_b32_e32 v9, 20, v9
	v_lshl_add_u32 v50, v50, 23, 0x3c000000
	v_and_b32_e32 v7, 0x80000000, v7
	s_delay_alu instid0(VALU_DEP_1)
	v_or3_b32 v9, v9, v7, v50
.LBB403_631:                            ;   in Loop: Header=BB403_520 Depth=1
	s_or_b32 exec_lo, exec_lo, s13
.LBB403_632:                            ;   in Loop: Header=BB403_520 Depth=1
	s_delay_alu instid0(SALU_CYCLE_1)
	s_or_b32 exec_lo, exec_lo, s12
.LBB403_633:                            ;   in Loop: Header=BB403_520 Depth=1
	s_delay_alu instid0(SALU_CYCLE_1) | instskip(NEXT) | instid1(VALU_DEP_1)
	s_or_b32 exec_lo, exec_lo, s0
	v_mul_f32_e32 v7, v8, v9
	s_mov_b32 s0, exec_lo
                                        ; implicit-def: $vgpr65
	s_delay_alu instid0(VALU_DEP_1) | instskip(NEXT) | instid1(VALU_DEP_1)
	v_and_b32_e32 v9, 0x7f800000, v7
	v_cmpx_ne_u32_e32 0x7f800000, v9
	s_xor_b32 s0, exec_lo, s0
; %bb.634:                              ;   in Loop: Header=BB403_520 Depth=1
	v_bfe_u32 v9, v7, 16, 1
	s_delay_alu instid0(VALU_DEP_1)
	v_add3_u32 v65, v7, v9, 0x7fff
                                        ; implicit-def: $vgpr7
; %bb.635:                              ;   in Loop: Header=BB403_520 Depth=1
	s_and_not1_saveexec_b32 s0, s0
; %bb.636:                              ;   in Loop: Header=BB403_520 Depth=1
	v_and_b32_e32 v9, 0xffff, v7
	v_or_b32_e32 v50, 0x10000, v7
	s_delay_alu instid0(VALU_DEP_2) | instskip(NEXT) | instid1(VALU_DEP_2)
	v_cmp_eq_u32_e32 vcc_lo, 0, v9
	v_cndmask_b32_e32 v65, v50, v7, vcc_lo
; %bb.637:                              ;   in Loop: Header=BB403_520 Depth=1
	s_or_b32 exec_lo, exec_lo, s0
	v_mov_b32_e32 v7, 0
	s_mov_b32 s0, exec_lo
	v_cmpx_lt_u64_e64 s[8:9], v[2:3]
	s_cbranch_execz .LBB403_645
; %bb.638:                              ;   in Loop: Header=BB403_520 Depth=1
	v_lshrrev_b32_e32 v2, 24, v3
	v_bfrev_b32_e32 v7, 1
	s_mov_b32 s12, exec_lo
	s_delay_alu instid0(VALU_DEP_2)
	v_cmpx_ne_u32_e32 0x80, v2
	s_cbranch_execz .LBB403_644
; %bb.639:                              ;   in Loop: Header=BB403_520 Depth=1
	v_bfe_u32 v50, v3, 24, 7
	v_mov_b32_e32 v7, 0x7f800001
	s_mov_b32 s13, exec_lo
	s_delay_alu instid0(VALU_DEP_2)
	v_cmpx_ne_u32_e32 0x7f, v50
	s_cbranch_execz .LBB403_643
; %bb.640:                              ;   in Loop: Header=BB403_520 Depth=1
	v_and_b32_e32 v9, 7, v2
	v_lshrrev_b32_e32 v3, 3, v50
	s_mov_b32 s15, exec_lo
	v_cmpx_gt_u32_e32 8, v50
; %bb.641:                              ;   in Loop: Header=BB403_520 Depth=1
	s_delay_alu instid0(VALU_DEP_3) | instskip(NEXT) | instid1(VALU_DEP_1)
	v_clz_i32_u32_e32 v3, v9
	v_min_u32_e32 v3, 32, v3
	s_delay_alu instid0(VALU_DEP_1) | instskip(SKIP_1) | instid1(VALU_DEP_2)
	v_subrev_nc_u32_e32 v7, 28, v3
	v_sub_nc_u32_e32 v3, 29, v3
	v_lshlrev_b64 v[66:67], v7, v[9:10]
	s_delay_alu instid0(VALU_DEP_1)
	v_and_b32_e32 v9, 7, v66
; %bb.642:                              ;   in Loop: Header=BB403_520 Depth=1
	s_or_b32 exec_lo, exec_lo, s15
	v_lshlrev_b32_e32 v2, 24, v2
	s_delay_alu instid0(VALU_DEP_2) | instskip(SKIP_1) | instid1(VALU_DEP_3)
	v_lshlrev_b32_e32 v7, 20, v9
	v_lshl_add_u32 v3, v3, 23, 0x3c000000
	v_and_b32_e32 v2, 0x80000000, v2
	s_delay_alu instid0(VALU_DEP_1)
	v_or3_b32 v7, v7, v2, v3
.LBB403_643:                            ;   in Loop: Header=BB403_520 Depth=1
	s_or_b32 exec_lo, exec_lo, s13
.LBB403_644:                            ;   in Loop: Header=BB403_520 Depth=1
	s_delay_alu instid0(SALU_CYCLE_1)
	s_or_b32 exec_lo, exec_lo, s12
.LBB403_645:                            ;   in Loop: Header=BB403_520 Depth=1
	s_delay_alu instid0(SALU_CYCLE_1) | instskip(NEXT) | instid1(VALU_DEP_1)
	s_or_b32 exec_lo, exec_lo, s0
	v_mul_f32_e32 v3, v8, v7
	s_delay_alu instid0(VALU_DEP_1) | instskip(NEXT) | instid1(VALU_DEP_1)
	v_and_b32_e32 v2, 0x7f800000, v3
	v_cmp_ne_u32_e32 vcc_lo, 0x7f800000, v2
                                        ; implicit-def: $vgpr2
	s_and_saveexec_b32 s0, vcc_lo
	s_delay_alu instid0(SALU_CYCLE_1)
	s_xor_b32 s0, exec_lo, s0
; %bb.646:                              ;   in Loop: Header=BB403_520 Depth=1
	v_bfe_u32 v2, v3, 16, 1
	s_delay_alu instid0(VALU_DEP_1)
	v_add3_u32 v2, v3, v2, 0x7fff
                                        ; implicit-def: $vgpr3
; %bb.647:                              ;   in Loop: Header=BB403_520 Depth=1
	s_and_not1_saveexec_b32 s0, s0
; %bb.648:                              ;   in Loop: Header=BB403_520 Depth=1
	v_and_b32_e32 v2, 0xffff, v3
	v_or_b32_e32 v7, 0x10000, v3
	s_delay_alu instid0(VALU_DEP_2) | instskip(NEXT) | instid1(VALU_DEP_2)
	v_cmp_eq_u32_e32 vcc_lo, 0, v2
	v_cndmask_b32_e32 v2, v7, v3, vcc_lo
; %bb.649:                              ;   in Loop: Header=BB403_520 Depth=1
	s_or_b32 exec_lo, exec_lo, s0
	v_add_nc_u32_e32 v50, v30, v23
	v_cmp_eq_u32_e32 vcc_lo, v31, v52
	v_lshrrev_b32_e32 v6, 16, v6
	v_lshrrev_b32_e32 v7, 16, v64
	;; [unrolled: 1-line block ×8, first 2 shown]
	v_add_nc_u32_e32 v66, 1, v50
	v_add_nc_u32_e32 v65, 2, v50
	;; [unrolled: 1-line block ×7, first 2 shown]
	s_and_saveexec_b32 s12, vcc_lo
	s_cbranch_execz .LBB403_651
; %bb.650:                              ;   in Loop: Header=BB403_520 Depth=1
	v_cmp_lt_i32_e64 s0, v50, v71
	s_delay_alu instid0(VALU_DEP_1) | instskip(SKIP_1) | instid1(VALU_DEP_1)
	v_cndmask_b32_e64 v68, 0, v68, s0
	v_cmp_lt_i32_e64 s0, v66, v71
	v_cndmask_b32_e64 v69, 0, v69, s0
	v_cmp_lt_i32_e64 s0, v65, v71
	s_delay_alu instid0(VALU_DEP_1) | instskip(SKIP_1) | instid1(VALU_DEP_1)
	v_cndmask_b32_e64 v86, 0, v86, s0
	v_cmp_lt_i32_e64 s0, v64, v71
	v_cndmask_b32_e64 v9, 0, v9, s0
	;; [unrolled: 5-line block ×4, first 2 shown]
.LBB403_651:                            ;   in Loop: Header=BB403_520 Depth=1
	s_or_b32 exec_lo, exec_lo, s12
	v_and_b32_e32 v67, 0xffff0000, v33
	v_lshlrev_b32_e32 v33, 16, v68
	s_delay_alu instid0(VALU_DEP_1) | instskip(NEXT) | instid1(VALU_DEP_1)
	v_mul_f32_e32 v68, v67, v33
	v_and_b32_e32 v33, 0x7f800000, v68
	s_delay_alu instid0(VALU_DEP_1) | instskip(NEXT) | instid1(VALU_DEP_1)
	v_cmp_ne_u32_e64 s0, 0x7f800000, v33
                                        ; implicit-def: $vgpr33
	s_and_saveexec_b32 s12, s0
	s_delay_alu instid0(SALU_CYCLE_1)
	s_xor_b32 s0, exec_lo, s12
; %bb.652:                              ;   in Loop: Header=BB403_520 Depth=1
	v_bfe_u32 v33, v68, 16, 1
	s_delay_alu instid0(VALU_DEP_1)
	v_add3_u32 v33, v68, v33, 0x7fff
                                        ; implicit-def: $vgpr68
; %bb.653:                              ;   in Loop: Header=BB403_520 Depth=1
	s_and_not1_saveexec_b32 s12, s0
; %bb.654:                              ;   in Loop: Header=BB403_520 Depth=1
	v_and_b32_e32 v33, 0xffff, v68
	v_or_b32_e32 v87, 0x10000, v68
	s_delay_alu instid0(VALU_DEP_2) | instskip(NEXT) | instid1(VALU_DEP_1)
	v_cmp_eq_u32_e64 s0, 0, v33
	v_cndmask_b32_e64 v33, v87, v68, s0
; %bb.655:                              ;   in Loop: Header=BB403_520 Depth=1
	s_or_b32 exec_lo, exec_lo, s12
	v_and_b32_e32 v68, 0xffff0000, v34
	v_lshlrev_b32_e32 v34, 16, v69
	s_delay_alu instid0(VALU_DEP_1) | instskip(NEXT) | instid1(VALU_DEP_1)
	v_mul_f32_e32 v69, v68, v34
	v_and_b32_e32 v34, 0x7f800000, v69
	s_delay_alu instid0(VALU_DEP_1) | instskip(NEXT) | instid1(VALU_DEP_1)
	v_cmp_ne_u32_e64 s0, 0x7f800000, v34
                                        ; implicit-def: $vgpr34
	s_and_saveexec_b32 s12, s0
	s_delay_alu instid0(SALU_CYCLE_1)
	s_xor_b32 s0, exec_lo, s12
; %bb.656:                              ;   in Loop: Header=BB403_520 Depth=1
	v_bfe_u32 v34, v69, 16, 1
	s_delay_alu instid0(VALU_DEP_1)
	v_add3_u32 v34, v69, v34, 0x7fff
                                        ; implicit-def: $vgpr69
; %bb.657:                              ;   in Loop: Header=BB403_520 Depth=1
	s_and_not1_saveexec_b32 s12, s0
; %bb.658:                              ;   in Loop: Header=BB403_520 Depth=1
	v_and_b32_e32 v34, 0xffff, v69
	v_or_b32_e32 v87, 0x10000, v69
	s_delay_alu instid0(VALU_DEP_2) | instskip(NEXT) | instid1(VALU_DEP_1)
	v_cmp_eq_u32_e64 s0, 0, v34
	v_cndmask_b32_e64 v34, v87, v69, s0
; %bb.659:                              ;   in Loop: Header=BB403_520 Depth=1
	s_or_b32 exec_lo, exec_lo, s12
	v_and_b32_e32 v69, 0xffff0000, v35
	v_lshlrev_b32_e32 v35, 16, v86
	s_delay_alu instid0(VALU_DEP_1) | instskip(NEXT) | instid1(VALU_DEP_1)
	v_mul_f32_e32 v86, v69, v35
	v_and_b32_e32 v35, 0x7f800000, v86
	s_delay_alu instid0(VALU_DEP_1) | instskip(NEXT) | instid1(VALU_DEP_1)
	v_cmp_ne_u32_e64 s0, 0x7f800000, v35
                                        ; implicit-def: $vgpr35
	s_and_saveexec_b32 s12, s0
	s_delay_alu instid0(SALU_CYCLE_1)
	s_xor_b32 s0, exec_lo, s12
; %bb.660:                              ;   in Loop: Header=BB403_520 Depth=1
	v_bfe_u32 v35, v86, 16, 1
	s_delay_alu instid0(VALU_DEP_1)
	v_add3_u32 v35, v86, v35, 0x7fff
                                        ; implicit-def: $vgpr86
; %bb.661:                              ;   in Loop: Header=BB403_520 Depth=1
	s_and_not1_saveexec_b32 s12, s0
; %bb.662:                              ;   in Loop: Header=BB403_520 Depth=1
	v_and_b32_e32 v35, 0xffff, v86
	v_or_b32_e32 v87, 0x10000, v86
	s_delay_alu instid0(VALU_DEP_2) | instskip(NEXT) | instid1(VALU_DEP_1)
	v_cmp_eq_u32_e64 s0, 0, v35
	v_cndmask_b32_e64 v35, v87, v86, s0
; %bb.663:                              ;   in Loop: Header=BB403_520 Depth=1
	s_or_b32 exec_lo, exec_lo, s12
	v_and_b32_e32 v86, 0xffff0000, v36
	v_lshlrev_b32_e32 v9, 16, v9
	s_delay_alu instid0(VALU_DEP_1) | instskip(NEXT) | instid1(VALU_DEP_1)
	v_mul_f32_e32 v9, v86, v9
	v_and_b32_e32 v36, 0x7f800000, v9
	s_delay_alu instid0(VALU_DEP_1) | instskip(NEXT) | instid1(VALU_DEP_1)
	v_cmp_ne_u32_e64 s0, 0x7f800000, v36
                                        ; implicit-def: $vgpr36
	s_and_saveexec_b32 s12, s0
	s_delay_alu instid0(SALU_CYCLE_1)
	s_xor_b32 s0, exec_lo, s12
; %bb.664:                              ;   in Loop: Header=BB403_520 Depth=1
	v_bfe_u32 v36, v9, 16, 1
	s_delay_alu instid0(VALU_DEP_1)
	v_add3_u32 v36, v9, v36, 0x7fff
                                        ; implicit-def: $vgpr9
; %bb.665:                              ;   in Loop: Header=BB403_520 Depth=1
	s_and_not1_saveexec_b32 s12, s0
; %bb.666:                              ;   in Loop: Header=BB403_520 Depth=1
	v_and_b32_e32 v36, 0xffff, v9
	v_or_b32_e32 v87, 0x10000, v9
	s_delay_alu instid0(VALU_DEP_2) | instskip(NEXT) | instid1(VALU_DEP_1)
	v_cmp_eq_u32_e64 s0, 0, v36
	v_cndmask_b32_e64 v36, v87, v9, s0
; %bb.667:                              ;   in Loop: Header=BB403_520 Depth=1
	s_or_b32 exec_lo, exec_lo, s12
	v_and_b32_e32 v87, 0xffff0000, v37
	v_lshlrev_b32_e32 v7, 16, v7
                                        ; implicit-def: $vgpr37
	s_delay_alu instid0(VALU_DEP_1) | instskip(NEXT) | instid1(VALU_DEP_1)
	v_mul_f32_e32 v7, v87, v7
	v_and_b32_e32 v9, 0x7f800000, v7
	s_delay_alu instid0(VALU_DEP_1) | instskip(NEXT) | instid1(VALU_DEP_1)
	v_cmp_ne_u32_e64 s0, 0x7f800000, v9
	s_and_saveexec_b32 s12, s0
	s_delay_alu instid0(SALU_CYCLE_1)
	s_xor_b32 s0, exec_lo, s12
; %bb.668:                              ;   in Loop: Header=BB403_520 Depth=1
	v_bfe_u32 v9, v7, 16, 1
	s_delay_alu instid0(VALU_DEP_1)
	v_add3_u32 v37, v7, v9, 0x7fff
                                        ; implicit-def: $vgpr7
; %bb.669:                              ;   in Loop: Header=BB403_520 Depth=1
	s_and_not1_saveexec_b32 s12, s0
; %bb.670:                              ;   in Loop: Header=BB403_520 Depth=1
	v_and_b32_e32 v9, 0xffff, v7
	v_or_b32_e32 v37, 0x10000, v7
	s_delay_alu instid0(VALU_DEP_2) | instskip(NEXT) | instid1(VALU_DEP_1)
	v_cmp_eq_u32_e64 s0, 0, v9
	v_cndmask_b32_e64 v37, v37, v7, s0
; %bb.671:                              ;   in Loop: Header=BB403_520 Depth=1
	s_or_b32 exec_lo, exec_lo, s12
	v_and_b32_e32 v96, 0xffff0000, v38
	v_lshlrev_b32_e32 v6, 16, v6
                                        ; implicit-def: $vgpr38
	s_delay_alu instid0(VALU_DEP_1) | instskip(NEXT) | instid1(VALU_DEP_1)
	v_mul_f32_e32 v6, v96, v6
	v_and_b32_e32 v7, 0x7f800000, v6
	s_delay_alu instid0(VALU_DEP_1) | instskip(NEXT) | instid1(VALU_DEP_1)
	v_cmp_ne_u32_e64 s0, 0x7f800000, v7
	s_and_saveexec_b32 s12, s0
	s_delay_alu instid0(SALU_CYCLE_1)
	s_xor_b32 s0, exec_lo, s12
; %bb.672:                              ;   in Loop: Header=BB403_520 Depth=1
	v_bfe_u32 v7, v6, 16, 1
	s_delay_alu instid0(VALU_DEP_1)
	v_add3_u32 v38, v6, v7, 0x7fff
                                        ; implicit-def: $vgpr6
; %bb.673:                              ;   in Loop: Header=BB403_520 Depth=1
	s_and_not1_saveexec_b32 s12, s0
; %bb.674:                              ;   in Loop: Header=BB403_520 Depth=1
	v_and_b32_e32 v7, 0xffff, v6
	v_or_b32_e32 v9, 0x10000, v6
	s_delay_alu instid0(VALU_DEP_2) | instskip(NEXT) | instid1(VALU_DEP_1)
	v_cmp_eq_u32_e64 s0, 0, v7
	v_cndmask_b32_e64 v38, v9, v6, s0
; %bb.675:                              ;   in Loop: Header=BB403_520 Depth=1
	s_or_b32 exec_lo, exec_lo, s12
	v_and_b32_e32 v97, 0xffff0000, v48
	v_lshlrev_b32_e32 v3, 16, v3
                                        ; implicit-def: $vgpr48
	s_delay_alu instid0(VALU_DEP_1) | instskip(NEXT) | instid1(VALU_DEP_1)
	v_mul_f32_e32 v3, v97, v3
	v_and_b32_e32 v6, 0x7f800000, v3
	s_delay_alu instid0(VALU_DEP_1) | instskip(NEXT) | instid1(VALU_DEP_1)
	v_cmp_ne_u32_e64 s0, 0x7f800000, v6
	s_and_saveexec_b32 s12, s0
	s_delay_alu instid0(SALU_CYCLE_1)
	s_xor_b32 s0, exec_lo, s12
; %bb.676:                              ;   in Loop: Header=BB403_520 Depth=1
	v_bfe_u32 v6, v3, 16, 1
	s_delay_alu instid0(VALU_DEP_1)
	v_add3_u32 v48, v3, v6, 0x7fff
                                        ; implicit-def: $vgpr3
; %bb.677:                              ;   in Loop: Header=BB403_520 Depth=1
	s_and_not1_saveexec_b32 s12, s0
; %bb.678:                              ;   in Loop: Header=BB403_520 Depth=1
	v_and_b32_e32 v6, 0xffff, v3
	v_or_b32_e32 v7, 0x10000, v3
	s_delay_alu instid0(VALU_DEP_2) | instskip(NEXT) | instid1(VALU_DEP_1)
	v_cmp_eq_u32_e64 s0, 0, v6
	v_cndmask_b32_e64 v48, v7, v3, s0
; %bb.679:                              ;   in Loop: Header=BB403_520 Depth=1
	s_or_b32 exec_lo, exec_lo, s12
	v_and_b32_e32 v98, 0xffff0000, v49
	v_lshlrev_b32_e32 v2, 16, v2
                                        ; implicit-def: $vgpr49
	s_delay_alu instid0(VALU_DEP_1) | instskip(NEXT) | instid1(VALU_DEP_1)
	v_mul_f32_e32 v2, v98, v2
	v_and_b32_e32 v3, 0x7f800000, v2
	s_delay_alu instid0(VALU_DEP_1) | instskip(NEXT) | instid1(VALU_DEP_1)
	v_cmp_ne_u32_e64 s0, 0x7f800000, v3
	s_and_saveexec_b32 s12, s0
	s_delay_alu instid0(SALU_CYCLE_1)
	s_xor_b32 s0, exec_lo, s12
; %bb.680:                              ;   in Loop: Header=BB403_520 Depth=1
	v_bfe_u32 v3, v2, 16, 1
	s_delay_alu instid0(VALU_DEP_1)
	v_add3_u32 v49, v2, v3, 0x7fff
                                        ; implicit-def: $vgpr2
; %bb.681:                              ;   in Loop: Header=BB403_520 Depth=1
	s_and_not1_saveexec_b32 s12, s0
; %bb.682:                              ;   in Loop: Header=BB403_520 Depth=1
	v_and_b32_e32 v3, 0xffff, v2
	v_or_b32_e32 v6, 0x10000, v2
	s_delay_alu instid0(VALU_DEP_2) | instskip(NEXT) | instid1(VALU_DEP_1)
	v_cmp_eq_u32_e64 s0, 0, v3
	v_cndmask_b32_e64 v49, v6, v2, s0
; %bb.683:                              ;   in Loop: Header=BB403_520 Depth=1
	s_or_b32 exec_lo, exec_lo, s12
	flat_load_b64 v[2:3], v[0:1] offset:256
	s_mov_b32 s12, exec_lo
	s_waitcnt vmcnt(0) lgkmcnt(0)
	v_dual_mov_b32 v6, 0 :: v_dual_and_b32 v7, 0xff, v2
	s_delay_alu instid0(VALU_DEP_1)
	v_cmpx_ne_u16_e32 0, v7
	s_cbranch_execz .LBB403_691
; %bb.684:                              ;   in Loop: Header=BB403_520 Depth=1
	v_bfrev_b32_e32 v6, 1
	s_mov_b32 s13, exec_lo
	v_cmpx_ne_u16_e32 0x80, v7
	s_cbranch_execz .LBB403_690
; %bb.685:                              ;   in Loop: Header=BB403_520 Depth=1
	v_and_b32_e32 v7, 0x7f, v2
	v_mov_b32_e32 v6, 0x7f800001
	s_mov_b32 s15, exec_lo
	s_delay_alu instid0(VALU_DEP_2)
	v_cmpx_ne_u32_e32 0x7f, v7
	s_cbranch_execz .LBB403_689
; %bb.686:                              ;   in Loop: Header=BB403_520 Depth=1
	v_lshrrev_b32_e32 v9, 3, v7
	v_cmp_gt_u32_e64 s0, 8, v7
	v_dual_mov_b32 v7, v3 :: v_dual_mov_b32 v6, v2
	s_delay_alu instid0(VALU_DEP_2)
	s_and_saveexec_b32 s17, s0
; %bb.687:                              ;   in Loop: Header=BB403_520 Depth=1
	v_and_b32_e32 v6, 7, v2
	s_delay_alu instid0(VALU_DEP_1) | instskip(NEXT) | instid1(VALU_DEP_1)
	v_clz_i32_u32_e32 v6, v6
	v_min_u32_e32 v9, 32, v6
	s_delay_alu instid0(VALU_DEP_1) | instskip(SKIP_1) | instid1(VALU_DEP_2)
	v_subrev_nc_u32_e32 v6, 28, v9
	v_sub_nc_u32_e32 v9, 29, v9
	v_lshlrev_b64 v[6:7], v6, v[2:3]
; %bb.688:                              ;   in Loop: Header=BB403_520 Depth=1
	s_or_b32 exec_lo, exec_lo, s17
	s_delay_alu instid0(VALU_DEP_1) | instskip(SKIP_2) | instid1(VALU_DEP_3)
	v_lshlrev_b32_e32 v6, 20, v6
	v_lshlrev_b32_e32 v7, 24, v2
	v_lshl_add_u32 v9, v9, 23, 0x3c000000
	v_and_b32_e32 v6, 0x700000, v6
	s_delay_alu instid0(VALU_DEP_3) | instskip(NEXT) | instid1(VALU_DEP_1)
	v_and_b32_e32 v7, 0x80000000, v7
	v_or3_b32 v6, v6, v7, v9
.LBB403_689:                            ;   in Loop: Header=BB403_520 Depth=1
	s_or_b32 exec_lo, exec_lo, s15
.LBB403_690:                            ;   in Loop: Header=BB403_520 Depth=1
	s_delay_alu instid0(SALU_CYCLE_1)
	s_or_b32 exec_lo, exec_lo, s13
.LBB403_691:                            ;   in Loop: Header=BB403_520 Depth=1
	s_delay_alu instid0(SALU_CYCLE_1) | instskip(NEXT) | instid1(VALU_DEP_1)
	s_or_b32 exec_lo, exec_lo, s12
	v_mul_f32_e32 v6, v8, v6
                                        ; implicit-def: $vgpr99
	s_delay_alu instid0(VALU_DEP_1) | instskip(NEXT) | instid1(VALU_DEP_1)
	v_and_b32_e32 v7, 0x7f800000, v6
	v_cmp_ne_u32_e64 s0, 0x7f800000, v7
	s_delay_alu instid0(VALU_DEP_1) | instskip(NEXT) | instid1(SALU_CYCLE_1)
	s_and_saveexec_b32 s12, s0
	s_xor_b32 s0, exec_lo, s12
; %bb.692:                              ;   in Loop: Header=BB403_520 Depth=1
	v_bfe_u32 v7, v6, 16, 1
	s_delay_alu instid0(VALU_DEP_1)
	v_add3_u32 v99, v6, v7, 0x7fff
                                        ; implicit-def: $vgpr6
; %bb.693:                              ;   in Loop: Header=BB403_520 Depth=1
	s_and_not1_saveexec_b32 s12, s0
; %bb.694:                              ;   in Loop: Header=BB403_520 Depth=1
	v_and_b32_e32 v7, 0xffff, v6
	v_or_b32_e32 v9, 0x10000, v6
	s_delay_alu instid0(VALU_DEP_2) | instskip(NEXT) | instid1(VALU_DEP_1)
	v_cmp_eq_u32_e64 s0, 0, v7
	v_cndmask_b32_e64 v99, v9, v6, s0
; %bb.695:                              ;   in Loop: Header=BB403_520 Depth=1
	s_or_b32 exec_lo, exec_lo, s12
	v_lshrrev_b16 v7, 8, v2
	v_mov_b32_e32 v6, 0
	s_mov_b32 s12, exec_lo
	s_delay_alu instid0(VALU_DEP_2)
	v_cmpx_ne_u16_e32 0, v7
	s_cbranch_execz .LBB403_703
; %bb.696:                              ;   in Loop: Header=BB403_520 Depth=1
	v_bfrev_b32_e32 v6, 1
	s_mov_b32 s13, exec_lo
	v_cmpx_ne_u16_e32 0x80, v7
	s_cbranch_execz .LBB403_702
; %bb.697:                              ;   in Loop: Header=BB403_520 Depth=1
	v_and_b32_e32 v9, 0xffff, v7
	v_mov_b32_e32 v6, 0x7f800001
	s_mov_b32 s15, exec_lo
	s_delay_alu instid0(VALU_DEP_2) | instskip(NEXT) | instid1(VALU_DEP_1)
	v_and_b32_e32 v7, 0x7f, v9
	v_cmpx_ne_u32_e32 0x7f, v7
	s_cbranch_execz .LBB403_701
; %bb.698:                              ;   in Loop: Header=BB403_520 Depth=1
	v_and_b32_e32 v9, 7, v9
	v_lshrrev_b32_e32 v6, 3, v7
	s_mov_b32 s17, exec_lo
	v_cmpx_gt_u32_e32 8, v7
; %bb.699:                              ;   in Loop: Header=BB403_520 Depth=1
	s_delay_alu instid0(VALU_DEP_3) | instskip(NEXT) | instid1(VALU_DEP_1)
	v_clz_i32_u32_e32 v6, v9
	v_min_u32_e32 v6, 32, v6
	s_delay_alu instid0(VALU_DEP_1) | instskip(SKIP_1) | instid1(VALU_DEP_2)
	v_subrev_nc_u32_e32 v7, 28, v6
	v_sub_nc_u32_e32 v6, 29, v6
	v_lshlrev_b64 v[100:101], v7, v[9:10]
	s_delay_alu instid0(VALU_DEP_1)
	v_and_b32_e32 v9, 7, v100
; %bb.700:                              ;   in Loop: Header=BB403_520 Depth=1
	s_or_b32 exec_lo, exec_lo, s17
	v_lshlrev_b32_e32 v7, 16, v2
	s_delay_alu instid0(VALU_DEP_2) | instskip(SKIP_1) | instid1(VALU_DEP_3)
	v_lshlrev_b32_e32 v9, 20, v9
	v_lshl_add_u32 v6, v6, 23, 0x3c000000
	v_and_b32_e32 v7, 0x80000000, v7
	s_delay_alu instid0(VALU_DEP_1)
	v_or3_b32 v6, v9, v7, v6
.LBB403_701:                            ;   in Loop: Header=BB403_520 Depth=1
	s_or_b32 exec_lo, exec_lo, s15
.LBB403_702:                            ;   in Loop: Header=BB403_520 Depth=1
	s_delay_alu instid0(SALU_CYCLE_1)
	s_or_b32 exec_lo, exec_lo, s13
.LBB403_703:                            ;   in Loop: Header=BB403_520 Depth=1
	s_delay_alu instid0(SALU_CYCLE_1) | instskip(NEXT) | instid1(VALU_DEP_1)
	s_or_b32 exec_lo, exec_lo, s12
	v_mul_f32_e32 v6, v8, v6
                                        ; implicit-def: $vgpr100
	s_delay_alu instid0(VALU_DEP_1) | instskip(NEXT) | instid1(VALU_DEP_1)
	v_and_b32_e32 v7, 0x7f800000, v6
	v_cmp_ne_u32_e64 s0, 0x7f800000, v7
	s_delay_alu instid0(VALU_DEP_1) | instskip(NEXT) | instid1(SALU_CYCLE_1)
	s_and_saveexec_b32 s12, s0
	s_xor_b32 s0, exec_lo, s12
; %bb.704:                              ;   in Loop: Header=BB403_520 Depth=1
	v_bfe_u32 v7, v6, 16, 1
	s_delay_alu instid0(VALU_DEP_1)
	v_add3_u32 v100, v6, v7, 0x7fff
                                        ; implicit-def: $vgpr6
; %bb.705:                              ;   in Loop: Header=BB403_520 Depth=1
	s_and_not1_saveexec_b32 s12, s0
; %bb.706:                              ;   in Loop: Header=BB403_520 Depth=1
	v_and_b32_e32 v7, 0xffff, v6
	v_or_b32_e32 v9, 0x10000, v6
	s_delay_alu instid0(VALU_DEP_2) | instskip(NEXT) | instid1(VALU_DEP_1)
	v_cmp_eq_u32_e64 s0, 0, v7
	v_cndmask_b32_e64 v100, v9, v6, s0
; %bb.707:                              ;   in Loop: Header=BB403_520 Depth=1
	s_or_b32 exec_lo, exec_lo, s12
	v_lshrrev_b32_e32 v6, 16, v2
	v_mov_b32_e32 v7, 0
	s_mov_b32 s12, exec_lo
	s_delay_alu instid0(VALU_DEP_2) | instskip(NEXT) | instid1(VALU_DEP_1)
	v_and_b32_e32 v9, 0xff, v6
	v_cmpx_ne_u16_e32 0, v9
	s_cbranch_execz .LBB403_715
; %bb.708:                              ;   in Loop: Header=BB403_520 Depth=1
	v_bfrev_b32_e32 v7, 1
	s_mov_b32 s13, exec_lo
	v_cmpx_ne_u16_e32 0x80, v9
	s_cbranch_execz .LBB403_714
; %bb.709:                              ;   in Loop: Header=BB403_520 Depth=1
	v_bfe_u32 v101, v2, 16, 7
	v_mov_b32_e32 v7, 0x7f800001
	s_mov_b32 s15, exec_lo
	s_delay_alu instid0(VALU_DEP_2)
	v_cmpx_ne_u32_e32 0x7f, v101
	s_cbranch_execz .LBB403_713
; %bb.710:                              ;   in Loop: Header=BB403_520 Depth=1
	v_and_b32_e32 v9, 7, v6
	v_lshrrev_b32_e32 v7, 3, v101
	s_mov_b32 s17, exec_lo
	v_cmpx_gt_u32_e32 8, v101
; %bb.711:                              ;   in Loop: Header=BB403_520 Depth=1
	s_delay_alu instid0(VALU_DEP_3) | instskip(NEXT) | instid1(VALU_DEP_1)
	v_clz_i32_u32_e32 v7, v9
	v_min_u32_e32 v7, 32, v7
	s_delay_alu instid0(VALU_DEP_1) | instskip(SKIP_1) | instid1(VALU_DEP_2)
	v_subrev_nc_u32_e32 v101, 28, v7
	v_sub_nc_u32_e32 v7, 29, v7
	v_lshlrev_b64 v[101:102], v101, v[9:10]
	s_delay_alu instid0(VALU_DEP_1)
	v_and_b32_e32 v9, 7, v101
; %bb.712:                              ;   in Loop: Header=BB403_520 Depth=1
	s_or_b32 exec_lo, exec_lo, s17
	v_lshlrev_b32_e32 v6, 24, v6
	s_delay_alu instid0(VALU_DEP_2) | instskip(SKIP_1) | instid1(VALU_DEP_3)
	v_lshlrev_b32_e32 v9, 20, v9
	v_lshl_add_u32 v7, v7, 23, 0x3c000000
	v_and_b32_e32 v6, 0x80000000, v6
	s_delay_alu instid0(VALU_DEP_1)
	v_or3_b32 v7, v9, v6, v7
.LBB403_713:                            ;   in Loop: Header=BB403_520 Depth=1
	s_or_b32 exec_lo, exec_lo, s15
.LBB403_714:                            ;   in Loop: Header=BB403_520 Depth=1
	s_delay_alu instid0(SALU_CYCLE_1)
	s_or_b32 exec_lo, exec_lo, s13
.LBB403_715:                            ;   in Loop: Header=BB403_520 Depth=1
	s_delay_alu instid0(SALU_CYCLE_1) | instskip(NEXT) | instid1(VALU_DEP_1)
	s_or_b32 exec_lo, exec_lo, s12
	v_mul_f32_e32 v6, v8, v7
                                        ; implicit-def: $vgpr101
	s_delay_alu instid0(VALU_DEP_1) | instskip(NEXT) | instid1(VALU_DEP_1)
	v_and_b32_e32 v7, 0x7f800000, v6
	v_cmp_ne_u32_e64 s0, 0x7f800000, v7
	s_delay_alu instid0(VALU_DEP_1) | instskip(NEXT) | instid1(SALU_CYCLE_1)
	s_and_saveexec_b32 s12, s0
	s_xor_b32 s0, exec_lo, s12
; %bb.716:                              ;   in Loop: Header=BB403_520 Depth=1
	v_bfe_u32 v7, v6, 16, 1
	s_delay_alu instid0(VALU_DEP_1)
	v_add3_u32 v101, v6, v7, 0x7fff
                                        ; implicit-def: $vgpr6
; %bb.717:                              ;   in Loop: Header=BB403_520 Depth=1
	s_and_not1_saveexec_b32 s12, s0
; %bb.718:                              ;   in Loop: Header=BB403_520 Depth=1
	v_and_b32_e32 v7, 0xffff, v6
	v_or_b32_e32 v9, 0x10000, v6
	s_delay_alu instid0(VALU_DEP_2) | instskip(NEXT) | instid1(VALU_DEP_1)
	v_cmp_eq_u32_e64 s0, 0, v7
	v_cndmask_b32_e64 v101, v9, v6, s0
; %bb.719:                              ;   in Loop: Header=BB403_520 Depth=1
	s_or_b32 exec_lo, exec_lo, s12
	v_mov_b32_e32 v7, 0
	s_mov_b32 s12, exec_lo
	v_cmpx_lt_u32_e32 0xffffff, v2
	s_cbranch_execz .LBB403_727
; %bb.720:                              ;   in Loop: Header=BB403_520 Depth=1
	v_lshrrev_b32_e32 v6, 24, v2
	v_bfrev_b32_e32 v7, 1
	s_mov_b32 s13, exec_lo
	s_delay_alu instid0(VALU_DEP_2)
	v_cmpx_ne_u32_e32 0x80, v6
	s_cbranch_execz .LBB403_726
; %bb.721:                              ;   in Loop: Header=BB403_520 Depth=1
	v_bfe_u32 v102, v2, 24, 7
	v_mov_b32_e32 v7, 0x7f800001
	s_mov_b32 s15, exec_lo
	s_delay_alu instid0(VALU_DEP_2)
	v_cmpx_ne_u32_e32 0x7f, v102
	s_cbranch_execz .LBB403_725
; %bb.722:                              ;   in Loop: Header=BB403_520 Depth=1
	v_and_b32_e32 v9, 7, v6
	v_lshrrev_b32_e32 v7, 3, v102
	s_mov_b32 s17, exec_lo
	v_cmpx_gt_u32_e32 8, v102
; %bb.723:                              ;   in Loop: Header=BB403_520 Depth=1
	s_delay_alu instid0(VALU_DEP_3) | instskip(NEXT) | instid1(VALU_DEP_1)
	v_clz_i32_u32_e32 v7, v9
	v_min_u32_e32 v7, 32, v7
	s_delay_alu instid0(VALU_DEP_1) | instskip(SKIP_1) | instid1(VALU_DEP_2)
	v_subrev_nc_u32_e32 v102, 28, v7
	v_sub_nc_u32_e32 v7, 29, v7
	v_lshlrev_b64 v[102:103], v102, v[9:10]
	s_delay_alu instid0(VALU_DEP_1)
	v_and_b32_e32 v9, 7, v102
; %bb.724:                              ;   in Loop: Header=BB403_520 Depth=1
	s_or_b32 exec_lo, exec_lo, s17
	v_lshlrev_b32_e32 v6, 24, v6
	s_delay_alu instid0(VALU_DEP_2) | instskip(SKIP_1) | instid1(VALU_DEP_3)
	v_lshlrev_b32_e32 v9, 20, v9
	v_lshl_add_u32 v7, v7, 23, 0x3c000000
	v_and_b32_e32 v6, 0x80000000, v6
	s_delay_alu instid0(VALU_DEP_1)
	v_or3_b32 v7, v9, v6, v7
.LBB403_725:                            ;   in Loop: Header=BB403_520 Depth=1
	s_or_b32 exec_lo, exec_lo, s15
.LBB403_726:                            ;   in Loop: Header=BB403_520 Depth=1
	s_delay_alu instid0(SALU_CYCLE_1)
	s_or_b32 exec_lo, exec_lo, s13
.LBB403_727:                            ;   in Loop: Header=BB403_520 Depth=1
	s_delay_alu instid0(SALU_CYCLE_1) | instskip(NEXT) | instid1(VALU_DEP_1)
	s_or_b32 exec_lo, exec_lo, s12
	v_mul_f32_e32 v6, v8, v7
                                        ; implicit-def: $vgpr102
	s_delay_alu instid0(VALU_DEP_1) | instskip(NEXT) | instid1(VALU_DEP_1)
	v_and_b32_e32 v7, 0x7f800000, v6
	v_cmp_ne_u32_e64 s0, 0x7f800000, v7
	s_delay_alu instid0(VALU_DEP_1) | instskip(NEXT) | instid1(SALU_CYCLE_1)
	s_and_saveexec_b32 s12, s0
	s_xor_b32 s0, exec_lo, s12
; %bb.728:                              ;   in Loop: Header=BB403_520 Depth=1
	v_bfe_u32 v7, v6, 16, 1
	s_delay_alu instid0(VALU_DEP_1)
	v_add3_u32 v102, v6, v7, 0x7fff
                                        ; implicit-def: $vgpr6
; %bb.729:                              ;   in Loop: Header=BB403_520 Depth=1
	s_and_not1_saveexec_b32 s12, s0
; %bb.730:                              ;   in Loop: Header=BB403_520 Depth=1
	v_and_b32_e32 v7, 0xffff, v6
	v_or_b32_e32 v9, 0x10000, v6
	s_delay_alu instid0(VALU_DEP_2) | instskip(NEXT) | instid1(VALU_DEP_1)
	v_cmp_eq_u32_e64 s0, 0, v7
	v_cndmask_b32_e64 v102, v9, v6, s0
; %bb.731:                              ;   in Loop: Header=BB403_520 Depth=1
	s_or_b32 exec_lo, exec_lo, s12
	v_dual_mov_b32 v6, 0 :: v_dual_and_b32 v7, 0xff, v3
	v_mov_b32_e32 v9, v3
	s_mov_b32 s12, exec_lo
	s_delay_alu instid0(VALU_DEP_2)
	v_cmpx_ne_u16_e32 0, v7
	s_cbranch_execz .LBB403_739
; %bb.732:                              ;   in Loop: Header=BB403_520 Depth=1
	v_bfrev_b32_e32 v6, 1
	s_mov_b32 s13, exec_lo
	v_cmpx_ne_u16_e32 0x80, v7
	s_cbranch_execz .LBB403_738
; %bb.733:                              ;   in Loop: Header=BB403_520 Depth=1
	v_and_b32_e32 v7, 0x7f, v3
	v_mov_b32_e32 v6, 0x7f800001
	s_mov_b32 s15, exec_lo
	s_delay_alu instid0(VALU_DEP_2)
	v_cmpx_ne_u32_e32 0x7f, v7
	s_cbranch_execz .LBB403_737
; %bb.734:                              ;   in Loop: Header=BB403_520 Depth=1
	v_lshrrev_b32_e32 v103, 3, v7
	v_cmp_gt_u32_e64 s0, 8, v7
	v_dual_mov_b32 v6, v9 :: v_dual_mov_b32 v7, v10
	s_delay_alu instid0(VALU_DEP_2)
	s_and_saveexec_b32 s17, s0
; %bb.735:                              ;   in Loop: Header=BB403_520 Depth=1
	v_and_b32_e32 v6, 7, v3
	s_delay_alu instid0(VALU_DEP_1) | instskip(NEXT) | instid1(VALU_DEP_1)
	v_clz_i32_u32_e32 v6, v6
	v_min_u32_e32 v103, 32, v6
	s_delay_alu instid0(VALU_DEP_1) | instskip(SKIP_1) | instid1(VALU_DEP_2)
	v_subrev_nc_u32_e32 v6, 28, v103
	v_sub_nc_u32_e32 v103, 29, v103
	v_lshlrev_b64 v[6:7], v6, v[9:10]
; %bb.736:                              ;   in Loop: Header=BB403_520 Depth=1
	s_or_b32 exec_lo, exec_lo, s17
	s_delay_alu instid0(VALU_DEP_1) | instskip(SKIP_2) | instid1(VALU_DEP_3)
	v_lshlrev_b32_e32 v6, 20, v6
	v_lshlrev_b32_e32 v7, 24, v9
	v_lshl_add_u32 v103, v103, 23, 0x3c000000
	v_and_b32_e32 v6, 0x700000, v6
	s_delay_alu instid0(VALU_DEP_3) | instskip(NEXT) | instid1(VALU_DEP_1)
	v_and_b32_e32 v7, 0x80000000, v7
	v_or3_b32 v6, v6, v7, v103
.LBB403_737:                            ;   in Loop: Header=BB403_520 Depth=1
	s_or_b32 exec_lo, exec_lo, s15
.LBB403_738:                            ;   in Loop: Header=BB403_520 Depth=1
	s_delay_alu instid0(SALU_CYCLE_1)
	s_or_b32 exec_lo, exec_lo, s13
.LBB403_739:                            ;   in Loop: Header=BB403_520 Depth=1
	s_delay_alu instid0(SALU_CYCLE_1) | instskip(NEXT) | instid1(VALU_DEP_1)
	s_or_b32 exec_lo, exec_lo, s12
	v_mul_f32_e32 v6, v8, v6
                                        ; implicit-def: $vgpr103
	s_delay_alu instid0(VALU_DEP_1) | instskip(NEXT) | instid1(VALU_DEP_1)
	v_and_b32_e32 v7, 0x7f800000, v6
	v_cmp_ne_u32_e64 s0, 0x7f800000, v7
	s_delay_alu instid0(VALU_DEP_1) | instskip(NEXT) | instid1(SALU_CYCLE_1)
	s_and_saveexec_b32 s12, s0
	s_xor_b32 s0, exec_lo, s12
; %bb.740:                              ;   in Loop: Header=BB403_520 Depth=1
	v_bfe_u32 v7, v6, 16, 1
	s_delay_alu instid0(VALU_DEP_1)
	v_add3_u32 v103, v6, v7, 0x7fff
                                        ; implicit-def: $vgpr6
; %bb.741:                              ;   in Loop: Header=BB403_520 Depth=1
	s_and_not1_saveexec_b32 s12, s0
; %bb.742:                              ;   in Loop: Header=BB403_520 Depth=1
	v_and_b32_e32 v7, 0xffff, v6
	v_or_b32_e32 v103, 0x10000, v6
	s_delay_alu instid0(VALU_DEP_2) | instskip(NEXT) | instid1(VALU_DEP_1)
	v_cmp_eq_u32_e64 s0, 0, v7
	v_cndmask_b32_e64 v103, v103, v6, s0
; %bb.743:                              ;   in Loop: Header=BB403_520 Depth=1
	s_or_b32 exec_lo, exec_lo, s12
	v_lshrrev_b16 v7, 8, v9
	v_mov_b32_e32 v6, 0
	s_mov_b32 s12, exec_lo
	s_delay_alu instid0(VALU_DEP_2)
	v_cmpx_ne_u16_e32 0, v7
	s_cbranch_execz .LBB403_751
; %bb.744:                              ;   in Loop: Header=BB403_520 Depth=1
	v_bfrev_b32_e32 v6, 1
	s_mov_b32 s13, exec_lo
	v_cmpx_ne_u16_e32 0x80, v7
	s_cbranch_execz .LBB403_750
; %bb.745:                              ;   in Loop: Header=BB403_520 Depth=1
	v_and_b32_e32 v7, 0xffff, v7
	v_mov_b32_e32 v6, 0x7f800001
	s_mov_b32 s15, exec_lo
	s_delay_alu instid0(VALU_DEP_2) | instskip(NEXT) | instid1(VALU_DEP_1)
	v_and_b32_e32 v113, 0x7f, v7
	v_cmpx_ne_u32_e32 0x7f, v113
	s_cbranch_execz .LBB403_749
; %bb.746:                              ;   in Loop: Header=BB403_520 Depth=1
	v_dual_mov_b32 v7, v10 :: v_dual_and_b32 v6, 7, v7
	v_lshrrev_b32_e32 v112, 3, v113
	s_mov_b32 s17, exec_lo
	v_cmpx_gt_u32_e32 8, v113
; %bb.747:                              ;   in Loop: Header=BB403_520 Depth=1
	s_delay_alu instid0(VALU_DEP_3) | instskip(NEXT) | instid1(VALU_DEP_1)
	v_clz_i32_u32_e32 v112, v6
	v_min_u32_e32 v112, 32, v112
	s_delay_alu instid0(VALU_DEP_1) | instskip(SKIP_1) | instid1(VALU_DEP_2)
	v_subrev_nc_u32_e32 v113, 28, v112
	v_sub_nc_u32_e32 v112, 29, v112
	v_lshlrev_b64 v[6:7], v113, v[6:7]
	s_delay_alu instid0(VALU_DEP_1)
	v_and_b32_e32 v6, 7, v6
; %bb.748:                              ;   in Loop: Header=BB403_520 Depth=1
	s_or_b32 exec_lo, exec_lo, s17
	v_lshlrev_b32_e32 v7, 16, v9
	s_delay_alu instid0(VALU_DEP_2) | instskip(SKIP_1) | instid1(VALU_DEP_3)
	v_lshlrev_b32_e32 v6, 20, v6
	v_lshl_add_u32 v9, v112, 23, 0x3c000000
	v_and_b32_e32 v7, 0x80000000, v7
	s_delay_alu instid0(VALU_DEP_1)
	v_or3_b32 v6, v6, v7, v9
.LBB403_749:                            ;   in Loop: Header=BB403_520 Depth=1
	s_or_b32 exec_lo, exec_lo, s15
.LBB403_750:                            ;   in Loop: Header=BB403_520 Depth=1
	s_delay_alu instid0(SALU_CYCLE_1)
	s_or_b32 exec_lo, exec_lo, s13
.LBB403_751:                            ;   in Loop: Header=BB403_520 Depth=1
	s_delay_alu instid0(SALU_CYCLE_1) | instskip(NEXT) | instid1(VALU_DEP_1)
	s_or_b32 exec_lo, exec_lo, s12
	v_mul_f32_e32 v7, v8, v6
	s_delay_alu instid0(VALU_DEP_1) | instskip(NEXT) | instid1(VALU_DEP_1)
	v_and_b32_e32 v6, 0x7f800000, v7
	v_cmp_ne_u32_e64 s0, 0x7f800000, v6
                                        ; implicit-def: $vgpr6
	s_delay_alu instid0(VALU_DEP_1) | instskip(NEXT) | instid1(SALU_CYCLE_1)
	s_and_saveexec_b32 s12, s0
	s_xor_b32 s0, exec_lo, s12
; %bb.752:                              ;   in Loop: Header=BB403_520 Depth=1
	v_bfe_u32 v6, v7, 16, 1
	s_delay_alu instid0(VALU_DEP_1)
	v_add3_u32 v6, v7, v6, 0x7fff
                                        ; implicit-def: $vgpr7
; %bb.753:                              ;   in Loop: Header=BB403_520 Depth=1
	s_and_not1_saveexec_b32 s12, s0
; %bb.754:                              ;   in Loop: Header=BB403_520 Depth=1
	v_and_b32_e32 v6, 0xffff, v7
	v_or_b32_e32 v9, 0x10000, v7
	s_delay_alu instid0(VALU_DEP_2) | instskip(NEXT) | instid1(VALU_DEP_1)
	v_cmp_eq_u32_e64 s0, 0, v6
	v_cndmask_b32_e64 v6, v9, v7, s0
; %bb.755:                              ;   in Loop: Header=BB403_520 Depth=1
	s_or_b32 exec_lo, exec_lo, s12
	v_lshrrev_b32_e32 v7, 16, v3
	s_mov_b32 s12, exec_lo
	s_delay_alu instid0(VALU_DEP_1) | instskip(NEXT) | instid1(VALU_DEP_1)
	v_dual_mov_b32 v9, 0 :: v_dual_and_b32 v112, 0xff, v7
	v_cmpx_ne_u16_e32 0, v112
	s_cbranch_execz .LBB403_763
; %bb.756:                              ;   in Loop: Header=BB403_520 Depth=1
	v_bfrev_b32_e32 v9, 1
	s_mov_b32 s13, exec_lo
	v_cmpx_ne_u16_e32 0x80, v112
	s_cbranch_execz .LBB403_762
; %bb.757:                              ;   in Loop: Header=BB403_520 Depth=1
	v_bfe_u32 v113, v3, 16, 7
	v_mov_b32_e32 v9, 0x7f800001
	s_mov_b32 s15, exec_lo
	s_delay_alu instid0(VALU_DEP_2)
	v_cmpx_ne_u32_e32 0x7f, v113
	s_cbranch_execz .LBB403_761
; %bb.758:                              ;   in Loop: Header=BB403_520 Depth=1
	v_and_b32_e32 v9, 7, v7
	v_lshrrev_b32_e32 v112, 3, v113
	s_mov_b32 s17, exec_lo
	v_cmpx_gt_u32_e32 8, v113
; %bb.759:                              ;   in Loop: Header=BB403_520 Depth=1
	s_delay_alu instid0(VALU_DEP_3) | instskip(NEXT) | instid1(VALU_DEP_1)
	v_clz_i32_u32_e32 v112, v9
	v_min_u32_e32 v112, 32, v112
	s_delay_alu instid0(VALU_DEP_1) | instskip(SKIP_1) | instid1(VALU_DEP_2)
	v_subrev_nc_u32_e32 v113, 28, v112
	v_sub_nc_u32_e32 v112, 29, v112
	v_lshlrev_b64 v[113:114], v113, v[9:10]
	s_delay_alu instid0(VALU_DEP_1)
	v_and_b32_e32 v9, 7, v113
; %bb.760:                              ;   in Loop: Header=BB403_520 Depth=1
	s_or_b32 exec_lo, exec_lo, s17
	v_lshlrev_b32_e32 v7, 24, v7
	s_delay_alu instid0(VALU_DEP_2) | instskip(SKIP_1) | instid1(VALU_DEP_3)
	v_lshlrev_b32_e32 v9, 20, v9
	v_lshl_add_u32 v112, v112, 23, 0x3c000000
	v_and_b32_e32 v7, 0x80000000, v7
	s_delay_alu instid0(VALU_DEP_1)
	v_or3_b32 v9, v9, v7, v112
.LBB403_761:                            ;   in Loop: Header=BB403_520 Depth=1
	s_or_b32 exec_lo, exec_lo, s15
.LBB403_762:                            ;   in Loop: Header=BB403_520 Depth=1
	s_delay_alu instid0(SALU_CYCLE_1)
	s_or_b32 exec_lo, exec_lo, s13
.LBB403_763:                            ;   in Loop: Header=BB403_520 Depth=1
	s_delay_alu instid0(SALU_CYCLE_1) | instskip(NEXT) | instid1(VALU_DEP_1)
	s_or_b32 exec_lo, exec_lo, s12
	v_mul_f32_e32 v7, v8, v9
                                        ; implicit-def: $vgpr112
	s_delay_alu instid0(VALU_DEP_1) | instskip(NEXT) | instid1(VALU_DEP_1)
	v_and_b32_e32 v9, 0x7f800000, v7
	v_cmp_ne_u32_e64 s0, 0x7f800000, v9
	s_delay_alu instid0(VALU_DEP_1) | instskip(NEXT) | instid1(SALU_CYCLE_1)
	s_and_saveexec_b32 s12, s0
	s_xor_b32 s0, exec_lo, s12
; %bb.764:                              ;   in Loop: Header=BB403_520 Depth=1
	v_bfe_u32 v9, v7, 16, 1
	s_delay_alu instid0(VALU_DEP_1)
	v_add3_u32 v112, v7, v9, 0x7fff
                                        ; implicit-def: $vgpr7
; %bb.765:                              ;   in Loop: Header=BB403_520 Depth=1
	s_and_not1_saveexec_b32 s12, s0
; %bb.766:                              ;   in Loop: Header=BB403_520 Depth=1
	v_and_b32_e32 v9, 0xffff, v7
	v_or_b32_e32 v112, 0x10000, v7
	s_delay_alu instid0(VALU_DEP_2) | instskip(NEXT) | instid1(VALU_DEP_1)
	v_cmp_eq_u32_e64 s0, 0, v9
	v_cndmask_b32_e64 v112, v112, v7, s0
; %bb.767:                              ;   in Loop: Header=BB403_520 Depth=1
	s_or_b32 exec_lo, exec_lo, s12
	v_mov_b32_e32 v7, 0
	s_mov_b32 s12, exec_lo
	v_cmpx_lt_u64_e64 s[8:9], v[2:3]
	s_cbranch_execz .LBB403_775
; %bb.768:                              ;   in Loop: Header=BB403_520 Depth=1
	v_lshrrev_b32_e32 v2, 24, v3
	v_bfrev_b32_e32 v7, 1
	s_mov_b32 s13, exec_lo
	s_delay_alu instid0(VALU_DEP_2)
	v_cmpx_ne_u32_e32 0x80, v2
	s_cbranch_execz .LBB403_774
; %bb.769:                              ;   in Loop: Header=BB403_520 Depth=1
	v_bfe_u32 v113, v3, 24, 7
	v_mov_b32_e32 v7, 0x7f800001
	s_mov_b32 s15, exec_lo
	s_delay_alu instid0(VALU_DEP_2)
	v_cmpx_ne_u32_e32 0x7f, v113
	s_cbranch_execz .LBB403_773
; %bb.770:                              ;   in Loop: Header=BB403_520 Depth=1
	v_and_b32_e32 v9, 7, v2
	v_lshrrev_b32_e32 v3, 3, v113
	s_mov_b32 s17, exec_lo
	v_cmpx_gt_u32_e32 8, v113
; %bb.771:                              ;   in Loop: Header=BB403_520 Depth=1
	s_delay_alu instid0(VALU_DEP_3) | instskip(NEXT) | instid1(VALU_DEP_1)
	v_clz_i32_u32_e32 v3, v9
	v_min_u32_e32 v3, 32, v3
	s_delay_alu instid0(VALU_DEP_1) | instskip(SKIP_1) | instid1(VALU_DEP_2)
	v_subrev_nc_u32_e32 v7, 28, v3
	v_sub_nc_u32_e32 v3, 29, v3
	v_lshlrev_b64 v[113:114], v7, v[9:10]
	s_delay_alu instid0(VALU_DEP_1)
	v_and_b32_e32 v9, 7, v113
; %bb.772:                              ;   in Loop: Header=BB403_520 Depth=1
	s_or_b32 exec_lo, exec_lo, s17
	v_lshlrev_b32_e32 v2, 24, v2
	s_delay_alu instid0(VALU_DEP_2) | instskip(SKIP_1) | instid1(VALU_DEP_3)
	v_lshlrev_b32_e32 v7, 20, v9
	v_lshl_add_u32 v3, v3, 23, 0x3c000000
	v_and_b32_e32 v2, 0x80000000, v2
	s_delay_alu instid0(VALU_DEP_1)
	v_or3_b32 v7, v7, v2, v3
.LBB403_773:                            ;   in Loop: Header=BB403_520 Depth=1
	s_or_b32 exec_lo, exec_lo, s15
.LBB403_774:                            ;   in Loop: Header=BB403_520 Depth=1
	s_delay_alu instid0(SALU_CYCLE_1)
	s_or_b32 exec_lo, exec_lo, s13
.LBB403_775:                            ;   in Loop: Header=BB403_520 Depth=1
	s_delay_alu instid0(SALU_CYCLE_1) | instskip(NEXT) | instid1(VALU_DEP_1)
	s_or_b32 exec_lo, exec_lo, s12
	v_mul_f32_e32 v3, v8, v7
	s_delay_alu instid0(VALU_DEP_1) | instskip(NEXT) | instid1(VALU_DEP_1)
	v_and_b32_e32 v2, 0x7f800000, v3
	v_cmp_ne_u32_e64 s0, 0x7f800000, v2
                                        ; implicit-def: $vgpr2
	s_delay_alu instid0(VALU_DEP_1) | instskip(NEXT) | instid1(SALU_CYCLE_1)
	s_and_saveexec_b32 s12, s0
	s_xor_b32 s0, exec_lo, s12
; %bb.776:                              ;   in Loop: Header=BB403_520 Depth=1
	v_bfe_u32 v2, v3, 16, 1
	s_delay_alu instid0(VALU_DEP_1)
	v_add3_u32 v2, v3, v2, 0x7fff
                                        ; implicit-def: $vgpr3
; %bb.777:                              ;   in Loop: Header=BB403_520 Depth=1
	s_and_not1_saveexec_b32 s12, s0
; %bb.778:                              ;   in Loop: Header=BB403_520 Depth=1
	v_and_b32_e32 v2, 0xffff, v3
	v_or_b32_e32 v7, 0x10000, v3
	s_delay_alu instid0(VALU_DEP_2) | instskip(NEXT) | instid1(VALU_DEP_1)
	v_cmp_eq_u32_e64 s0, 0, v2
	v_cndmask_b32_e64 v2, v7, v3, s0
; %bb.779:                              ;   in Loop: Header=BB403_520 Depth=1
	s_or_b32 exec_lo, exec_lo, s12
	v_lshrrev_b32_e32 v6, 16, v6
	v_lshrrev_b32_e32 v7, 16, v103
	v_lshrrev_b32_e32 v9, 16, v102
	v_lshrrev_b32_e32 v101, 16, v101
	v_lshrrev_b32_e32 v100, 16, v100
	v_lshrrev_b32_e32 v99, 16, v99
	v_lshrrev_b32_e32 v3, 16, v112
	v_lshrrev_b32_e32 v2, 16, v2
	s_and_saveexec_b32 s12, vcc_lo
	s_cbranch_execz .LBB403_781
; %bb.780:                              ;   in Loop: Header=BB403_520 Depth=1
	v_cmp_lt_i32_e64 s0, v50, v71
	s_delay_alu instid0(VALU_DEP_1) | instskip(SKIP_1) | instid1(VALU_DEP_1)
	v_cndmask_b32_e64 v99, 0, v99, s0
	v_cmp_lt_i32_e64 s0, v66, v71
	v_cndmask_b32_e64 v100, 0, v100, s0
	v_cmp_lt_i32_e64 s0, v65, v71
	s_delay_alu instid0(VALU_DEP_1) | instskip(SKIP_1) | instid1(VALU_DEP_1)
	v_cndmask_b32_e64 v101, 0, v101, s0
	v_cmp_lt_i32_e64 s0, v64, v71
	v_cndmask_b32_e64 v9, 0, v9, s0
	;; [unrolled: 5-line block ×4, first 2 shown]
.LBB403_781:                            ;   in Loop: Header=BB403_520 Depth=1
	s_or_b32 exec_lo, exec_lo, s12
	v_lshlrev_b32_e32 v99, 16, v99
	s_delay_alu instid0(VALU_DEP_1) | instskip(NEXT) | instid1(VALU_DEP_1)
	v_mul_f32_e32 v102, v67, v99
	v_and_b32_e32 v99, 0x7f800000, v102
	s_delay_alu instid0(VALU_DEP_1) | instskip(NEXT) | instid1(VALU_DEP_1)
	v_cmp_ne_u32_e64 s0, 0x7f800000, v99
                                        ; implicit-def: $vgpr99
	s_and_saveexec_b32 s12, s0
	s_delay_alu instid0(SALU_CYCLE_1)
	s_xor_b32 s0, exec_lo, s12
; %bb.782:                              ;   in Loop: Header=BB403_520 Depth=1
	v_bfe_u32 v99, v102, 16, 1
	s_delay_alu instid0(VALU_DEP_1)
	v_add3_u32 v99, v102, v99, 0x7fff
                                        ; implicit-def: $vgpr102
; %bb.783:                              ;   in Loop: Header=BB403_520 Depth=1
	s_and_not1_saveexec_b32 s12, s0
; %bb.784:                              ;   in Loop: Header=BB403_520 Depth=1
	v_and_b32_e32 v99, 0xffff, v102
	v_or_b32_e32 v103, 0x10000, v102
	s_delay_alu instid0(VALU_DEP_2) | instskip(NEXT) | instid1(VALU_DEP_1)
	v_cmp_eq_u32_e64 s0, 0, v99
	v_cndmask_b32_e64 v99, v103, v102, s0
; %bb.785:                              ;   in Loop: Header=BB403_520 Depth=1
	s_or_b32 exec_lo, exec_lo, s12
	v_lshlrev_b32_e32 v100, 16, v100
	s_delay_alu instid0(VALU_DEP_1) | instskip(NEXT) | instid1(VALU_DEP_1)
	v_mul_f32_e32 v102, v68, v100
	v_and_b32_e32 v100, 0x7f800000, v102
	s_delay_alu instid0(VALU_DEP_1) | instskip(NEXT) | instid1(VALU_DEP_1)
	v_cmp_ne_u32_e64 s0, 0x7f800000, v100
                                        ; implicit-def: $vgpr100
	s_and_saveexec_b32 s12, s0
	s_delay_alu instid0(SALU_CYCLE_1)
	s_xor_b32 s0, exec_lo, s12
; %bb.786:                              ;   in Loop: Header=BB403_520 Depth=1
	v_bfe_u32 v100, v102, 16, 1
	s_delay_alu instid0(VALU_DEP_1)
	v_add3_u32 v100, v102, v100, 0x7fff
                                        ; implicit-def: $vgpr102
; %bb.787:                              ;   in Loop: Header=BB403_520 Depth=1
	s_and_not1_saveexec_b32 s12, s0
; %bb.788:                              ;   in Loop: Header=BB403_520 Depth=1
	v_and_b32_e32 v100, 0xffff, v102
	v_or_b32_e32 v103, 0x10000, v102
	s_delay_alu instid0(VALU_DEP_2) | instskip(NEXT) | instid1(VALU_DEP_1)
	v_cmp_eq_u32_e64 s0, 0, v100
	v_cndmask_b32_e64 v100, v103, v102, s0
; %bb.789:                              ;   in Loop: Header=BB403_520 Depth=1
	s_or_b32 exec_lo, exec_lo, s12
	v_lshlrev_b32_e32 v101, 16, v101
	s_delay_alu instid0(VALU_DEP_1) | instskip(NEXT) | instid1(VALU_DEP_1)
	v_mul_f32_e32 v102, v69, v101
	v_and_b32_e32 v101, 0x7f800000, v102
	s_delay_alu instid0(VALU_DEP_1) | instskip(NEXT) | instid1(VALU_DEP_1)
	v_cmp_ne_u32_e64 s0, 0x7f800000, v101
                                        ; implicit-def: $vgpr101
	s_and_saveexec_b32 s12, s0
	s_delay_alu instid0(SALU_CYCLE_1)
	s_xor_b32 s0, exec_lo, s12
; %bb.790:                              ;   in Loop: Header=BB403_520 Depth=1
	v_bfe_u32 v101, v102, 16, 1
	s_delay_alu instid0(VALU_DEP_1)
	v_add3_u32 v101, v102, v101, 0x7fff
                                        ; implicit-def: $vgpr102
; %bb.791:                              ;   in Loop: Header=BB403_520 Depth=1
	s_and_not1_saveexec_b32 s12, s0
; %bb.792:                              ;   in Loop: Header=BB403_520 Depth=1
	v_and_b32_e32 v101, 0xffff, v102
	v_or_b32_e32 v103, 0x10000, v102
	s_delay_alu instid0(VALU_DEP_2) | instskip(NEXT) | instid1(VALU_DEP_1)
	v_cmp_eq_u32_e64 s0, 0, v101
	v_cndmask_b32_e64 v101, v103, v102, s0
; %bb.793:                              ;   in Loop: Header=BB403_520 Depth=1
	s_or_b32 exec_lo, exec_lo, s12
	v_lshlrev_b32_e32 v9, 16, v9
	s_delay_alu instid0(VALU_DEP_1) | instskip(NEXT) | instid1(VALU_DEP_1)
	v_mul_f32_e32 v9, v86, v9
	v_and_b32_e32 v102, 0x7f800000, v9
	s_delay_alu instid0(VALU_DEP_1) | instskip(NEXT) | instid1(VALU_DEP_1)
	v_cmp_ne_u32_e64 s0, 0x7f800000, v102
                                        ; implicit-def: $vgpr102
	s_and_saveexec_b32 s12, s0
	s_delay_alu instid0(SALU_CYCLE_1)
	s_xor_b32 s0, exec_lo, s12
; %bb.794:                              ;   in Loop: Header=BB403_520 Depth=1
	v_bfe_u32 v102, v9, 16, 1
	s_delay_alu instid0(VALU_DEP_1)
	v_add3_u32 v102, v9, v102, 0x7fff
                                        ; implicit-def: $vgpr9
; %bb.795:                              ;   in Loop: Header=BB403_520 Depth=1
	s_and_not1_saveexec_b32 s12, s0
; %bb.796:                              ;   in Loop: Header=BB403_520 Depth=1
	v_and_b32_e32 v102, 0xffff, v9
	v_or_b32_e32 v103, 0x10000, v9
	s_delay_alu instid0(VALU_DEP_2) | instskip(NEXT) | instid1(VALU_DEP_1)
	v_cmp_eq_u32_e64 s0, 0, v102
	v_cndmask_b32_e64 v102, v103, v9, s0
; %bb.797:                              ;   in Loop: Header=BB403_520 Depth=1
	s_or_b32 exec_lo, exec_lo, s12
	v_lshlrev_b32_e32 v7, 16, v7
                                        ; implicit-def: $vgpr103
	s_delay_alu instid0(VALU_DEP_1) | instskip(NEXT) | instid1(VALU_DEP_1)
	v_mul_f32_e32 v7, v87, v7
	v_and_b32_e32 v9, 0x7f800000, v7
	s_delay_alu instid0(VALU_DEP_1) | instskip(NEXT) | instid1(VALU_DEP_1)
	v_cmp_ne_u32_e64 s0, 0x7f800000, v9
	s_and_saveexec_b32 s12, s0
	s_delay_alu instid0(SALU_CYCLE_1)
	s_xor_b32 s0, exec_lo, s12
; %bb.798:                              ;   in Loop: Header=BB403_520 Depth=1
	v_bfe_u32 v9, v7, 16, 1
	s_delay_alu instid0(VALU_DEP_1)
	v_add3_u32 v103, v7, v9, 0x7fff
                                        ; implicit-def: $vgpr7
; %bb.799:                              ;   in Loop: Header=BB403_520 Depth=1
	s_and_not1_saveexec_b32 s12, s0
; %bb.800:                              ;   in Loop: Header=BB403_520 Depth=1
	v_and_b32_e32 v9, 0xffff, v7
	v_or_b32_e32 v103, 0x10000, v7
	s_delay_alu instid0(VALU_DEP_2) | instskip(NEXT) | instid1(VALU_DEP_1)
	v_cmp_eq_u32_e64 s0, 0, v9
	v_cndmask_b32_e64 v103, v103, v7, s0
; %bb.801:                              ;   in Loop: Header=BB403_520 Depth=1
	s_or_b32 exec_lo, exec_lo, s12
	v_lshlrev_b32_e32 v6, 16, v6
                                        ; implicit-def: $vgpr112
	s_delay_alu instid0(VALU_DEP_1) | instskip(NEXT) | instid1(VALU_DEP_1)
	v_mul_f32_e32 v6, v96, v6
	v_and_b32_e32 v7, 0x7f800000, v6
	s_delay_alu instid0(VALU_DEP_1) | instskip(NEXT) | instid1(VALU_DEP_1)
	v_cmp_ne_u32_e64 s0, 0x7f800000, v7
	s_and_saveexec_b32 s12, s0
	s_delay_alu instid0(SALU_CYCLE_1)
	s_xor_b32 s0, exec_lo, s12
; %bb.802:                              ;   in Loop: Header=BB403_520 Depth=1
	v_bfe_u32 v7, v6, 16, 1
	s_delay_alu instid0(VALU_DEP_1)
	v_add3_u32 v112, v6, v7, 0x7fff
                                        ; implicit-def: $vgpr6
; %bb.803:                              ;   in Loop: Header=BB403_520 Depth=1
	s_and_not1_saveexec_b32 s12, s0
; %bb.804:                              ;   in Loop: Header=BB403_520 Depth=1
	v_and_b32_e32 v7, 0xffff, v6
	v_or_b32_e32 v9, 0x10000, v6
	s_delay_alu instid0(VALU_DEP_2) | instskip(NEXT) | instid1(VALU_DEP_1)
	v_cmp_eq_u32_e64 s0, 0, v7
	v_cndmask_b32_e64 v112, v9, v6, s0
; %bb.805:                              ;   in Loop: Header=BB403_520 Depth=1
	s_or_b32 exec_lo, exec_lo, s12
	v_lshlrev_b32_e32 v3, 16, v3
                                        ; implicit-def: $vgpr113
	s_delay_alu instid0(VALU_DEP_1) | instskip(NEXT) | instid1(VALU_DEP_1)
	v_mul_f32_e32 v3, v97, v3
	v_and_b32_e32 v6, 0x7f800000, v3
	s_delay_alu instid0(VALU_DEP_1) | instskip(NEXT) | instid1(VALU_DEP_1)
	v_cmp_ne_u32_e64 s0, 0x7f800000, v6
	s_and_saveexec_b32 s12, s0
	s_delay_alu instid0(SALU_CYCLE_1)
	s_xor_b32 s0, exec_lo, s12
; %bb.806:                              ;   in Loop: Header=BB403_520 Depth=1
	v_bfe_u32 v6, v3, 16, 1
	s_delay_alu instid0(VALU_DEP_1)
	v_add3_u32 v113, v3, v6, 0x7fff
                                        ; implicit-def: $vgpr3
; %bb.807:                              ;   in Loop: Header=BB403_520 Depth=1
	s_and_not1_saveexec_b32 s12, s0
; %bb.808:                              ;   in Loop: Header=BB403_520 Depth=1
	v_and_b32_e32 v6, 0xffff, v3
	v_or_b32_e32 v7, 0x10000, v3
	s_delay_alu instid0(VALU_DEP_2) | instskip(NEXT) | instid1(VALU_DEP_1)
	v_cmp_eq_u32_e64 s0, 0, v6
	v_cndmask_b32_e64 v113, v7, v3, s0
; %bb.809:                              ;   in Loop: Header=BB403_520 Depth=1
	s_or_b32 exec_lo, exec_lo, s12
	v_lshlrev_b32_e32 v2, 16, v2
                                        ; implicit-def: $vgpr114
	s_delay_alu instid0(VALU_DEP_1) | instskip(NEXT) | instid1(VALU_DEP_1)
	v_mul_f32_e32 v2, v98, v2
	v_and_b32_e32 v3, 0x7f800000, v2
	s_delay_alu instid0(VALU_DEP_1) | instskip(NEXT) | instid1(VALU_DEP_1)
	v_cmp_ne_u32_e64 s0, 0x7f800000, v3
	s_and_saveexec_b32 s12, s0
	s_delay_alu instid0(SALU_CYCLE_1)
	s_xor_b32 s0, exec_lo, s12
; %bb.810:                              ;   in Loop: Header=BB403_520 Depth=1
	v_bfe_u32 v3, v2, 16, 1
	s_delay_alu instid0(VALU_DEP_1)
	v_add3_u32 v114, v2, v3, 0x7fff
                                        ; implicit-def: $vgpr2
; %bb.811:                              ;   in Loop: Header=BB403_520 Depth=1
	s_and_not1_saveexec_b32 s12, s0
; %bb.812:                              ;   in Loop: Header=BB403_520 Depth=1
	v_and_b32_e32 v3, 0xffff, v2
	v_or_b32_e32 v6, 0x10000, v2
	s_delay_alu instid0(VALU_DEP_2) | instskip(NEXT) | instid1(VALU_DEP_1)
	v_cmp_eq_u32_e64 s0, 0, v3
	v_cndmask_b32_e64 v114, v6, v2, s0
; %bb.813:                              ;   in Loop: Header=BB403_520 Depth=1
	s_or_b32 exec_lo, exec_lo, s12
	flat_load_b64 v[2:3], v[0:1] offset:512
	s_mov_b32 s12, exec_lo
	s_waitcnt vmcnt(0) lgkmcnt(0)
	v_dual_mov_b32 v6, 0 :: v_dual_and_b32 v7, 0xff, v2
	s_delay_alu instid0(VALU_DEP_1)
	v_cmpx_ne_u16_e32 0, v7
	s_cbranch_execz .LBB403_821
; %bb.814:                              ;   in Loop: Header=BB403_520 Depth=1
	v_bfrev_b32_e32 v6, 1
	s_mov_b32 s13, exec_lo
	v_cmpx_ne_u16_e32 0x80, v7
	s_cbranch_execz .LBB403_820
; %bb.815:                              ;   in Loop: Header=BB403_520 Depth=1
	v_and_b32_e32 v7, 0x7f, v2
	v_mov_b32_e32 v6, 0x7f800001
	s_mov_b32 s15, exec_lo
	s_delay_alu instid0(VALU_DEP_2)
	v_cmpx_ne_u32_e32 0x7f, v7
	s_cbranch_execz .LBB403_819
; %bb.816:                              ;   in Loop: Header=BB403_520 Depth=1
	v_lshrrev_b32_e32 v9, 3, v7
	v_cmp_gt_u32_e64 s0, 8, v7
	v_dual_mov_b32 v7, v3 :: v_dual_mov_b32 v6, v2
	s_delay_alu instid0(VALU_DEP_2)
	s_and_saveexec_b32 s17, s0
; %bb.817:                              ;   in Loop: Header=BB403_520 Depth=1
	v_and_b32_e32 v6, 7, v2
	s_delay_alu instid0(VALU_DEP_1) | instskip(NEXT) | instid1(VALU_DEP_1)
	v_clz_i32_u32_e32 v6, v6
	v_min_u32_e32 v9, 32, v6
	s_delay_alu instid0(VALU_DEP_1) | instskip(SKIP_1) | instid1(VALU_DEP_2)
	v_subrev_nc_u32_e32 v6, 28, v9
	v_sub_nc_u32_e32 v9, 29, v9
	v_lshlrev_b64 v[6:7], v6, v[2:3]
; %bb.818:                              ;   in Loop: Header=BB403_520 Depth=1
	s_or_b32 exec_lo, exec_lo, s17
	s_delay_alu instid0(VALU_DEP_1) | instskip(SKIP_2) | instid1(VALU_DEP_3)
	v_lshlrev_b32_e32 v6, 20, v6
	v_lshlrev_b32_e32 v7, 24, v2
	v_lshl_add_u32 v9, v9, 23, 0x3c000000
	v_and_b32_e32 v6, 0x700000, v6
	s_delay_alu instid0(VALU_DEP_3) | instskip(NEXT) | instid1(VALU_DEP_1)
	v_and_b32_e32 v7, 0x80000000, v7
	v_or3_b32 v6, v6, v7, v9
.LBB403_819:                            ;   in Loop: Header=BB403_520 Depth=1
	s_or_b32 exec_lo, exec_lo, s15
.LBB403_820:                            ;   in Loop: Header=BB403_520 Depth=1
	s_delay_alu instid0(SALU_CYCLE_1)
	s_or_b32 exec_lo, exec_lo, s13
.LBB403_821:                            ;   in Loop: Header=BB403_520 Depth=1
	s_delay_alu instid0(SALU_CYCLE_1) | instskip(NEXT) | instid1(VALU_DEP_1)
	s_or_b32 exec_lo, exec_lo, s12
	v_mul_f32_e32 v6, v8, v6
                                        ; implicit-def: $vgpr115
	s_delay_alu instid0(VALU_DEP_1) | instskip(NEXT) | instid1(VALU_DEP_1)
	v_and_b32_e32 v7, 0x7f800000, v6
	v_cmp_ne_u32_e64 s0, 0x7f800000, v7
	s_delay_alu instid0(VALU_DEP_1) | instskip(NEXT) | instid1(SALU_CYCLE_1)
	s_and_saveexec_b32 s12, s0
	s_xor_b32 s0, exec_lo, s12
; %bb.822:                              ;   in Loop: Header=BB403_520 Depth=1
	v_bfe_u32 v7, v6, 16, 1
	s_delay_alu instid0(VALU_DEP_1)
	v_add3_u32 v115, v6, v7, 0x7fff
                                        ; implicit-def: $vgpr6
; %bb.823:                              ;   in Loop: Header=BB403_520 Depth=1
	s_and_not1_saveexec_b32 s12, s0
; %bb.824:                              ;   in Loop: Header=BB403_520 Depth=1
	v_and_b32_e32 v7, 0xffff, v6
	v_or_b32_e32 v9, 0x10000, v6
	s_delay_alu instid0(VALU_DEP_2) | instskip(NEXT) | instid1(VALU_DEP_1)
	v_cmp_eq_u32_e64 s0, 0, v7
	v_cndmask_b32_e64 v115, v9, v6, s0
; %bb.825:                              ;   in Loop: Header=BB403_520 Depth=1
	s_or_b32 exec_lo, exec_lo, s12
	v_lshrrev_b16 v7, 8, v2
	v_mov_b32_e32 v6, 0
	s_mov_b32 s12, exec_lo
	s_delay_alu instid0(VALU_DEP_2)
	v_cmpx_ne_u16_e32 0, v7
	s_cbranch_execz .LBB403_833
; %bb.826:                              ;   in Loop: Header=BB403_520 Depth=1
	v_bfrev_b32_e32 v6, 1
	s_mov_b32 s13, exec_lo
	v_cmpx_ne_u16_e32 0x80, v7
	s_cbranch_execz .LBB403_832
; %bb.827:                              ;   in Loop: Header=BB403_520 Depth=1
	v_and_b32_e32 v9, 0xffff, v7
	v_mov_b32_e32 v6, 0x7f800001
	s_mov_b32 s15, exec_lo
	s_delay_alu instid0(VALU_DEP_2) | instskip(NEXT) | instid1(VALU_DEP_1)
	v_and_b32_e32 v7, 0x7f, v9
	v_cmpx_ne_u32_e32 0x7f, v7
	s_cbranch_execz .LBB403_831
; %bb.828:                              ;   in Loop: Header=BB403_520 Depth=1
	v_and_b32_e32 v9, 7, v9
	v_lshrrev_b32_e32 v6, 3, v7
	s_mov_b32 s17, exec_lo
	v_cmpx_gt_u32_e32 8, v7
; %bb.829:                              ;   in Loop: Header=BB403_520 Depth=1
	s_delay_alu instid0(VALU_DEP_3) | instskip(NEXT) | instid1(VALU_DEP_1)
	v_clz_i32_u32_e32 v6, v9
	v_min_u32_e32 v6, 32, v6
	s_delay_alu instid0(VALU_DEP_1) | instskip(SKIP_1) | instid1(VALU_DEP_2)
	v_subrev_nc_u32_e32 v7, 28, v6
	v_sub_nc_u32_e32 v6, 29, v6
	v_lshlrev_b64 v[116:117], v7, v[9:10]
	s_delay_alu instid0(VALU_DEP_1)
	v_and_b32_e32 v9, 7, v116
; %bb.830:                              ;   in Loop: Header=BB403_520 Depth=1
	s_or_b32 exec_lo, exec_lo, s17
	v_lshlrev_b32_e32 v7, 16, v2
	s_delay_alu instid0(VALU_DEP_2) | instskip(SKIP_1) | instid1(VALU_DEP_3)
	v_lshlrev_b32_e32 v9, 20, v9
	v_lshl_add_u32 v6, v6, 23, 0x3c000000
	v_and_b32_e32 v7, 0x80000000, v7
	s_delay_alu instid0(VALU_DEP_1)
	v_or3_b32 v6, v9, v7, v6
.LBB403_831:                            ;   in Loop: Header=BB403_520 Depth=1
	s_or_b32 exec_lo, exec_lo, s15
.LBB403_832:                            ;   in Loop: Header=BB403_520 Depth=1
	s_delay_alu instid0(SALU_CYCLE_1)
	s_or_b32 exec_lo, exec_lo, s13
.LBB403_833:                            ;   in Loop: Header=BB403_520 Depth=1
	s_delay_alu instid0(SALU_CYCLE_1) | instskip(NEXT) | instid1(VALU_DEP_1)
	s_or_b32 exec_lo, exec_lo, s12
	v_mul_f32_e32 v6, v8, v6
                                        ; implicit-def: $vgpr116
	s_delay_alu instid0(VALU_DEP_1) | instskip(NEXT) | instid1(VALU_DEP_1)
	v_and_b32_e32 v7, 0x7f800000, v6
	v_cmp_ne_u32_e64 s0, 0x7f800000, v7
	s_delay_alu instid0(VALU_DEP_1) | instskip(NEXT) | instid1(SALU_CYCLE_1)
	s_and_saveexec_b32 s12, s0
	s_xor_b32 s0, exec_lo, s12
; %bb.834:                              ;   in Loop: Header=BB403_520 Depth=1
	v_bfe_u32 v7, v6, 16, 1
	s_delay_alu instid0(VALU_DEP_1)
	v_add3_u32 v116, v6, v7, 0x7fff
                                        ; implicit-def: $vgpr6
; %bb.835:                              ;   in Loop: Header=BB403_520 Depth=1
	s_and_not1_saveexec_b32 s12, s0
; %bb.836:                              ;   in Loop: Header=BB403_520 Depth=1
	v_and_b32_e32 v7, 0xffff, v6
	v_or_b32_e32 v9, 0x10000, v6
	s_delay_alu instid0(VALU_DEP_2) | instskip(NEXT) | instid1(VALU_DEP_1)
	v_cmp_eq_u32_e64 s0, 0, v7
	v_cndmask_b32_e64 v116, v9, v6, s0
; %bb.837:                              ;   in Loop: Header=BB403_520 Depth=1
	s_or_b32 exec_lo, exec_lo, s12
	v_lshrrev_b32_e32 v6, 16, v2
	v_mov_b32_e32 v7, 0
	s_mov_b32 s12, exec_lo
	s_delay_alu instid0(VALU_DEP_2) | instskip(NEXT) | instid1(VALU_DEP_1)
	v_and_b32_e32 v9, 0xff, v6
	v_cmpx_ne_u16_e32 0, v9
	s_cbranch_execz .LBB403_845
; %bb.838:                              ;   in Loop: Header=BB403_520 Depth=1
	v_bfrev_b32_e32 v7, 1
	s_mov_b32 s13, exec_lo
	v_cmpx_ne_u16_e32 0x80, v9
	s_cbranch_execz .LBB403_844
; %bb.839:                              ;   in Loop: Header=BB403_520 Depth=1
	v_bfe_u32 v117, v2, 16, 7
	v_mov_b32_e32 v7, 0x7f800001
	s_mov_b32 s15, exec_lo
	s_delay_alu instid0(VALU_DEP_2)
	v_cmpx_ne_u32_e32 0x7f, v117
	s_cbranch_execz .LBB403_843
; %bb.840:                              ;   in Loop: Header=BB403_520 Depth=1
	v_and_b32_e32 v9, 7, v6
	v_lshrrev_b32_e32 v7, 3, v117
	s_mov_b32 s17, exec_lo
	v_cmpx_gt_u32_e32 8, v117
; %bb.841:                              ;   in Loop: Header=BB403_520 Depth=1
	s_delay_alu instid0(VALU_DEP_3) | instskip(NEXT) | instid1(VALU_DEP_1)
	v_clz_i32_u32_e32 v7, v9
	v_min_u32_e32 v7, 32, v7
	s_delay_alu instid0(VALU_DEP_1) | instskip(SKIP_1) | instid1(VALU_DEP_2)
	v_subrev_nc_u32_e32 v117, 28, v7
	v_sub_nc_u32_e32 v7, 29, v7
	v_lshlrev_b64 v[117:118], v117, v[9:10]
	s_delay_alu instid0(VALU_DEP_1)
	v_and_b32_e32 v9, 7, v117
; %bb.842:                              ;   in Loop: Header=BB403_520 Depth=1
	s_or_b32 exec_lo, exec_lo, s17
	v_lshlrev_b32_e32 v6, 24, v6
	s_delay_alu instid0(VALU_DEP_2) | instskip(SKIP_1) | instid1(VALU_DEP_3)
	v_lshlrev_b32_e32 v9, 20, v9
	v_lshl_add_u32 v7, v7, 23, 0x3c000000
	v_and_b32_e32 v6, 0x80000000, v6
	s_delay_alu instid0(VALU_DEP_1)
	v_or3_b32 v7, v9, v6, v7
.LBB403_843:                            ;   in Loop: Header=BB403_520 Depth=1
	s_or_b32 exec_lo, exec_lo, s15
.LBB403_844:                            ;   in Loop: Header=BB403_520 Depth=1
	s_delay_alu instid0(SALU_CYCLE_1)
	s_or_b32 exec_lo, exec_lo, s13
.LBB403_845:                            ;   in Loop: Header=BB403_520 Depth=1
	s_delay_alu instid0(SALU_CYCLE_1) | instskip(NEXT) | instid1(VALU_DEP_1)
	s_or_b32 exec_lo, exec_lo, s12
	v_mul_f32_e32 v6, v8, v7
                                        ; implicit-def: $vgpr117
	s_delay_alu instid0(VALU_DEP_1) | instskip(NEXT) | instid1(VALU_DEP_1)
	v_and_b32_e32 v7, 0x7f800000, v6
	v_cmp_ne_u32_e64 s0, 0x7f800000, v7
	s_delay_alu instid0(VALU_DEP_1) | instskip(NEXT) | instid1(SALU_CYCLE_1)
	s_and_saveexec_b32 s12, s0
	s_xor_b32 s0, exec_lo, s12
; %bb.846:                              ;   in Loop: Header=BB403_520 Depth=1
	v_bfe_u32 v7, v6, 16, 1
	s_delay_alu instid0(VALU_DEP_1)
	v_add3_u32 v117, v6, v7, 0x7fff
                                        ; implicit-def: $vgpr6
; %bb.847:                              ;   in Loop: Header=BB403_520 Depth=1
	s_and_not1_saveexec_b32 s12, s0
; %bb.848:                              ;   in Loop: Header=BB403_520 Depth=1
	v_and_b32_e32 v7, 0xffff, v6
	v_or_b32_e32 v9, 0x10000, v6
	s_delay_alu instid0(VALU_DEP_2) | instskip(NEXT) | instid1(VALU_DEP_1)
	v_cmp_eq_u32_e64 s0, 0, v7
	v_cndmask_b32_e64 v117, v9, v6, s0
; %bb.849:                              ;   in Loop: Header=BB403_520 Depth=1
	s_or_b32 exec_lo, exec_lo, s12
	v_mov_b32_e32 v7, 0
	s_mov_b32 s12, exec_lo
	v_cmpx_lt_u32_e32 0xffffff, v2
	s_cbranch_execz .LBB403_857
; %bb.850:                              ;   in Loop: Header=BB403_520 Depth=1
	v_lshrrev_b32_e32 v6, 24, v2
	v_bfrev_b32_e32 v7, 1
	s_mov_b32 s13, exec_lo
	s_delay_alu instid0(VALU_DEP_2)
	v_cmpx_ne_u32_e32 0x80, v6
	s_cbranch_execz .LBB403_856
; %bb.851:                              ;   in Loop: Header=BB403_520 Depth=1
	v_bfe_u32 v118, v2, 24, 7
	v_mov_b32_e32 v7, 0x7f800001
	s_mov_b32 s15, exec_lo
	s_delay_alu instid0(VALU_DEP_2)
	v_cmpx_ne_u32_e32 0x7f, v118
	s_cbranch_execz .LBB403_855
; %bb.852:                              ;   in Loop: Header=BB403_520 Depth=1
	v_and_b32_e32 v9, 7, v6
	v_lshrrev_b32_e32 v7, 3, v118
	s_mov_b32 s17, exec_lo
	v_cmpx_gt_u32_e32 8, v118
; %bb.853:                              ;   in Loop: Header=BB403_520 Depth=1
	s_delay_alu instid0(VALU_DEP_3) | instskip(NEXT) | instid1(VALU_DEP_1)
	v_clz_i32_u32_e32 v7, v9
	v_min_u32_e32 v7, 32, v7
	s_delay_alu instid0(VALU_DEP_1) | instskip(SKIP_1) | instid1(VALU_DEP_2)
	v_subrev_nc_u32_e32 v118, 28, v7
	v_sub_nc_u32_e32 v7, 29, v7
	v_lshlrev_b64 v[118:119], v118, v[9:10]
	s_delay_alu instid0(VALU_DEP_1)
	v_and_b32_e32 v9, 7, v118
; %bb.854:                              ;   in Loop: Header=BB403_520 Depth=1
	s_or_b32 exec_lo, exec_lo, s17
	v_lshlrev_b32_e32 v6, 24, v6
	s_delay_alu instid0(VALU_DEP_2) | instskip(SKIP_1) | instid1(VALU_DEP_3)
	v_lshlrev_b32_e32 v9, 20, v9
	v_lshl_add_u32 v7, v7, 23, 0x3c000000
	v_and_b32_e32 v6, 0x80000000, v6
	s_delay_alu instid0(VALU_DEP_1)
	v_or3_b32 v7, v9, v6, v7
.LBB403_855:                            ;   in Loop: Header=BB403_520 Depth=1
	s_or_b32 exec_lo, exec_lo, s15
.LBB403_856:                            ;   in Loop: Header=BB403_520 Depth=1
	s_delay_alu instid0(SALU_CYCLE_1)
	s_or_b32 exec_lo, exec_lo, s13
.LBB403_857:                            ;   in Loop: Header=BB403_520 Depth=1
	s_delay_alu instid0(SALU_CYCLE_1) | instskip(NEXT) | instid1(VALU_DEP_1)
	s_or_b32 exec_lo, exec_lo, s12
	v_mul_f32_e32 v6, v8, v7
                                        ; implicit-def: $vgpr118
	s_delay_alu instid0(VALU_DEP_1) | instskip(NEXT) | instid1(VALU_DEP_1)
	v_and_b32_e32 v7, 0x7f800000, v6
	v_cmp_ne_u32_e64 s0, 0x7f800000, v7
	s_delay_alu instid0(VALU_DEP_1) | instskip(NEXT) | instid1(SALU_CYCLE_1)
	s_and_saveexec_b32 s12, s0
	s_xor_b32 s0, exec_lo, s12
; %bb.858:                              ;   in Loop: Header=BB403_520 Depth=1
	v_bfe_u32 v7, v6, 16, 1
	s_delay_alu instid0(VALU_DEP_1)
	v_add3_u32 v118, v6, v7, 0x7fff
                                        ; implicit-def: $vgpr6
; %bb.859:                              ;   in Loop: Header=BB403_520 Depth=1
	s_and_not1_saveexec_b32 s12, s0
; %bb.860:                              ;   in Loop: Header=BB403_520 Depth=1
	v_and_b32_e32 v7, 0xffff, v6
	v_or_b32_e32 v9, 0x10000, v6
	s_delay_alu instid0(VALU_DEP_2) | instskip(NEXT) | instid1(VALU_DEP_1)
	v_cmp_eq_u32_e64 s0, 0, v7
	v_cndmask_b32_e64 v118, v9, v6, s0
; %bb.861:                              ;   in Loop: Header=BB403_520 Depth=1
	s_or_b32 exec_lo, exec_lo, s12
	v_dual_mov_b32 v6, 0 :: v_dual_and_b32 v7, 0xff, v3
	v_mov_b32_e32 v9, v3
	s_mov_b32 s12, exec_lo
	s_delay_alu instid0(VALU_DEP_2)
	v_cmpx_ne_u16_e32 0, v7
	s_cbranch_execz .LBB403_869
; %bb.862:                              ;   in Loop: Header=BB403_520 Depth=1
	v_bfrev_b32_e32 v6, 1
	s_mov_b32 s13, exec_lo
	v_cmpx_ne_u16_e32 0x80, v7
	s_cbranch_execz .LBB403_868
; %bb.863:                              ;   in Loop: Header=BB403_520 Depth=1
	v_and_b32_e32 v7, 0x7f, v3
	v_mov_b32_e32 v6, 0x7f800001
	s_mov_b32 s15, exec_lo
	s_delay_alu instid0(VALU_DEP_2)
	v_cmpx_ne_u32_e32 0x7f, v7
	s_cbranch_execz .LBB403_867
; %bb.864:                              ;   in Loop: Header=BB403_520 Depth=1
	v_lshrrev_b32_e32 v119, 3, v7
	v_cmp_gt_u32_e64 s0, 8, v7
	v_dual_mov_b32 v6, v9 :: v_dual_mov_b32 v7, v10
	s_delay_alu instid0(VALU_DEP_2)
	s_and_saveexec_b32 s17, s0
; %bb.865:                              ;   in Loop: Header=BB403_520 Depth=1
	v_and_b32_e32 v6, 7, v3
	s_delay_alu instid0(VALU_DEP_1) | instskip(NEXT) | instid1(VALU_DEP_1)
	v_clz_i32_u32_e32 v6, v6
	v_min_u32_e32 v119, 32, v6
	s_delay_alu instid0(VALU_DEP_1) | instskip(SKIP_1) | instid1(VALU_DEP_2)
	v_subrev_nc_u32_e32 v6, 28, v119
	v_sub_nc_u32_e32 v119, 29, v119
	v_lshlrev_b64 v[6:7], v6, v[9:10]
; %bb.866:                              ;   in Loop: Header=BB403_520 Depth=1
	s_or_b32 exec_lo, exec_lo, s17
	s_delay_alu instid0(VALU_DEP_1) | instskip(SKIP_2) | instid1(VALU_DEP_3)
	v_lshlrev_b32_e32 v6, 20, v6
	v_lshlrev_b32_e32 v7, 24, v9
	v_lshl_add_u32 v119, v119, 23, 0x3c000000
	v_and_b32_e32 v6, 0x700000, v6
	s_delay_alu instid0(VALU_DEP_3) | instskip(NEXT) | instid1(VALU_DEP_1)
	v_and_b32_e32 v7, 0x80000000, v7
	v_or3_b32 v6, v6, v7, v119
.LBB403_867:                            ;   in Loop: Header=BB403_520 Depth=1
	s_or_b32 exec_lo, exec_lo, s15
.LBB403_868:                            ;   in Loop: Header=BB403_520 Depth=1
	s_delay_alu instid0(SALU_CYCLE_1)
	s_or_b32 exec_lo, exec_lo, s13
.LBB403_869:                            ;   in Loop: Header=BB403_520 Depth=1
	s_delay_alu instid0(SALU_CYCLE_1) | instskip(NEXT) | instid1(VALU_DEP_1)
	s_or_b32 exec_lo, exec_lo, s12
	v_mul_f32_e32 v6, v8, v6
                                        ; implicit-def: $vgpr119
	s_delay_alu instid0(VALU_DEP_1) | instskip(NEXT) | instid1(VALU_DEP_1)
	v_and_b32_e32 v7, 0x7f800000, v6
	v_cmp_ne_u32_e64 s0, 0x7f800000, v7
	s_delay_alu instid0(VALU_DEP_1) | instskip(NEXT) | instid1(SALU_CYCLE_1)
	s_and_saveexec_b32 s12, s0
	s_xor_b32 s0, exec_lo, s12
; %bb.870:                              ;   in Loop: Header=BB403_520 Depth=1
	v_bfe_u32 v7, v6, 16, 1
	s_delay_alu instid0(VALU_DEP_1)
	v_add3_u32 v119, v6, v7, 0x7fff
                                        ; implicit-def: $vgpr6
; %bb.871:                              ;   in Loop: Header=BB403_520 Depth=1
	s_and_not1_saveexec_b32 s12, s0
; %bb.872:                              ;   in Loop: Header=BB403_520 Depth=1
	v_and_b32_e32 v7, 0xffff, v6
	v_or_b32_e32 v119, 0x10000, v6
	s_delay_alu instid0(VALU_DEP_2) | instskip(NEXT) | instid1(VALU_DEP_1)
	v_cmp_eq_u32_e64 s0, 0, v7
	v_cndmask_b32_e64 v119, v119, v6, s0
; %bb.873:                              ;   in Loop: Header=BB403_520 Depth=1
	s_or_b32 exec_lo, exec_lo, s12
	v_lshrrev_b16 v7, 8, v9
	v_mov_b32_e32 v6, 0
	s_mov_b32 s12, exec_lo
	s_delay_alu instid0(VALU_DEP_2)
	v_cmpx_ne_u16_e32 0, v7
	s_cbranch_execz .LBB403_881
; %bb.874:                              ;   in Loop: Header=BB403_520 Depth=1
	v_bfrev_b32_e32 v6, 1
	s_mov_b32 s13, exec_lo
	v_cmpx_ne_u16_e32 0x80, v7
	s_cbranch_execz .LBB403_880
; %bb.875:                              ;   in Loop: Header=BB403_520 Depth=1
	v_and_b32_e32 v7, 0xffff, v7
	v_mov_b32_e32 v6, 0x7f800001
	s_mov_b32 s15, exec_lo
	s_delay_alu instid0(VALU_DEP_2) | instskip(NEXT) | instid1(VALU_DEP_1)
	v_and_b32_e32 v129, 0x7f, v7
	v_cmpx_ne_u32_e32 0x7f, v129
	s_cbranch_execz .LBB403_879
; %bb.876:                              ;   in Loop: Header=BB403_520 Depth=1
	v_dual_mov_b32 v7, v10 :: v_dual_and_b32 v6, 7, v7
	v_lshrrev_b32_e32 v128, 3, v129
	s_mov_b32 s17, exec_lo
	v_cmpx_gt_u32_e32 8, v129
; %bb.877:                              ;   in Loop: Header=BB403_520 Depth=1
	s_delay_alu instid0(VALU_DEP_3) | instskip(NEXT) | instid1(VALU_DEP_1)
	v_clz_i32_u32_e32 v128, v6
	v_min_u32_e32 v128, 32, v128
	s_delay_alu instid0(VALU_DEP_1) | instskip(SKIP_1) | instid1(VALU_DEP_2)
	v_subrev_nc_u32_e32 v129, 28, v128
	v_sub_nc_u32_e32 v128, 29, v128
	v_lshlrev_b64 v[6:7], v129, v[6:7]
	s_delay_alu instid0(VALU_DEP_1)
	v_and_b32_e32 v6, 7, v6
; %bb.878:                              ;   in Loop: Header=BB403_520 Depth=1
	s_or_b32 exec_lo, exec_lo, s17
	v_lshlrev_b32_e32 v7, 16, v9
	s_delay_alu instid0(VALU_DEP_2) | instskip(SKIP_1) | instid1(VALU_DEP_3)
	v_lshlrev_b32_e32 v6, 20, v6
	v_lshl_add_u32 v9, v128, 23, 0x3c000000
	v_and_b32_e32 v7, 0x80000000, v7
	s_delay_alu instid0(VALU_DEP_1)
	v_or3_b32 v6, v6, v7, v9
.LBB403_879:                            ;   in Loop: Header=BB403_520 Depth=1
	s_or_b32 exec_lo, exec_lo, s15
.LBB403_880:                            ;   in Loop: Header=BB403_520 Depth=1
	s_delay_alu instid0(SALU_CYCLE_1)
	s_or_b32 exec_lo, exec_lo, s13
.LBB403_881:                            ;   in Loop: Header=BB403_520 Depth=1
	s_delay_alu instid0(SALU_CYCLE_1) | instskip(NEXT) | instid1(VALU_DEP_1)
	s_or_b32 exec_lo, exec_lo, s12
	v_mul_f32_e32 v7, v8, v6
	s_delay_alu instid0(VALU_DEP_1) | instskip(NEXT) | instid1(VALU_DEP_1)
	v_and_b32_e32 v6, 0x7f800000, v7
	v_cmp_ne_u32_e64 s0, 0x7f800000, v6
                                        ; implicit-def: $vgpr6
	s_delay_alu instid0(VALU_DEP_1) | instskip(NEXT) | instid1(SALU_CYCLE_1)
	s_and_saveexec_b32 s12, s0
	s_xor_b32 s0, exec_lo, s12
; %bb.882:                              ;   in Loop: Header=BB403_520 Depth=1
	v_bfe_u32 v6, v7, 16, 1
	s_delay_alu instid0(VALU_DEP_1)
	v_add3_u32 v6, v7, v6, 0x7fff
                                        ; implicit-def: $vgpr7
; %bb.883:                              ;   in Loop: Header=BB403_520 Depth=1
	s_and_not1_saveexec_b32 s12, s0
; %bb.884:                              ;   in Loop: Header=BB403_520 Depth=1
	v_and_b32_e32 v6, 0xffff, v7
	v_or_b32_e32 v9, 0x10000, v7
	s_delay_alu instid0(VALU_DEP_2) | instskip(NEXT) | instid1(VALU_DEP_1)
	v_cmp_eq_u32_e64 s0, 0, v6
	v_cndmask_b32_e64 v6, v9, v7, s0
; %bb.885:                              ;   in Loop: Header=BB403_520 Depth=1
	s_or_b32 exec_lo, exec_lo, s12
	v_lshrrev_b32_e32 v7, 16, v3
	s_mov_b32 s12, exec_lo
	s_delay_alu instid0(VALU_DEP_1) | instskip(NEXT) | instid1(VALU_DEP_1)
	v_dual_mov_b32 v9, 0 :: v_dual_and_b32 v128, 0xff, v7
	v_cmpx_ne_u16_e64 0, v128
	s_cbranch_execz .LBB403_893
; %bb.886:                              ;   in Loop: Header=BB403_520 Depth=1
	v_bfrev_b32_e32 v9, 1
	s_mov_b32 s13, exec_lo
	v_cmpx_ne_u16_e64 0x80, v128
	s_cbranch_execz .LBB403_892
; %bb.887:                              ;   in Loop: Header=BB403_520 Depth=1
	v_bfe_u32 v129, v3, 16, 7
	v_mov_b32_e32 v9, 0x7f800001
	s_mov_b32 s15, exec_lo
	s_delay_alu instid0(VALU_DEP_2)
	v_cmpx_ne_u32_e32 0x7f, v129
	s_cbranch_execz .LBB403_891
; %bb.888:                              ;   in Loop: Header=BB403_520 Depth=1
	v_and_b32_e32 v9, 7, v7
	v_lshrrev_b32_e32 v128, 3, v129
	s_mov_b32 s17, exec_lo
	v_cmpx_gt_u32_e32 8, v129
; %bb.889:                              ;   in Loop: Header=BB403_520 Depth=1
	s_delay_alu instid0(VALU_DEP_3) | instskip(NEXT) | instid1(VALU_DEP_1)
	v_clz_i32_u32_e32 v128, v9
	v_min_u32_e32 v128, 32, v128
	s_delay_alu instid0(VALU_DEP_1) | instskip(SKIP_1) | instid1(VALU_DEP_2)
	v_subrev_nc_u32_e32 v129, 28, v128
	v_sub_nc_u32_e32 v128, 29, v128
	v_lshlrev_b64 v[129:130], v129, v[9:10]
	s_delay_alu instid0(VALU_DEP_1)
	v_and_b32_e32 v9, 7, v129
; %bb.890:                              ;   in Loop: Header=BB403_520 Depth=1
	s_or_b32 exec_lo, exec_lo, s17
	v_lshlrev_b32_e32 v7, 24, v7
	s_delay_alu instid0(VALU_DEP_2) | instskip(SKIP_1) | instid1(VALU_DEP_3)
	v_lshlrev_b32_e32 v9, 20, v9
	v_lshl_add_u32 v128, v128, 23, 0x3c000000
	v_and_b32_e32 v7, 0x80000000, v7
	s_delay_alu instid0(VALU_DEP_1)
	v_or3_b32 v9, v9, v7, v128
.LBB403_891:                            ;   in Loop: Header=BB403_520 Depth=1
	s_or_b32 exec_lo, exec_lo, s15
.LBB403_892:                            ;   in Loop: Header=BB403_520 Depth=1
	s_delay_alu instid0(SALU_CYCLE_1)
	s_or_b32 exec_lo, exec_lo, s13
.LBB403_893:                            ;   in Loop: Header=BB403_520 Depth=1
	s_delay_alu instid0(SALU_CYCLE_1) | instskip(NEXT) | instid1(VALU_DEP_1)
	s_or_b32 exec_lo, exec_lo, s12
	v_mul_f32_e32 v7, v8, v9
                                        ; implicit-def: $vgpr128
	s_delay_alu instid0(VALU_DEP_1) | instskip(NEXT) | instid1(VALU_DEP_1)
	v_and_b32_e32 v9, 0x7f800000, v7
	v_cmp_ne_u32_e64 s0, 0x7f800000, v9
	s_delay_alu instid0(VALU_DEP_1) | instskip(NEXT) | instid1(SALU_CYCLE_1)
	s_and_saveexec_b32 s12, s0
	s_xor_b32 s0, exec_lo, s12
; %bb.894:                              ;   in Loop: Header=BB403_520 Depth=1
	v_bfe_u32 v9, v7, 16, 1
	s_delay_alu instid0(VALU_DEP_1)
	v_add3_u32 v128, v7, v9, 0x7fff
                                        ; implicit-def: $vgpr7
; %bb.895:                              ;   in Loop: Header=BB403_520 Depth=1
	s_and_not1_saveexec_b32 s12, s0
; %bb.896:                              ;   in Loop: Header=BB403_520 Depth=1
	v_and_b32_e32 v9, 0xffff, v7
	v_or_b32_e32 v128, 0x10000, v7
	s_delay_alu instid0(VALU_DEP_2) | instskip(NEXT) | instid1(VALU_DEP_1)
	v_cmp_eq_u32_e64 s0, 0, v9
	v_cndmask_b32_e64 v128, v128, v7, s0
; %bb.897:                              ;   in Loop: Header=BB403_520 Depth=1
	s_or_b32 exec_lo, exec_lo, s12
	v_mov_b32_e32 v7, 0
	s_mov_b32 s12, exec_lo
	v_cmpx_lt_u64_e64 s[8:9], v[2:3]
	s_cbranch_execz .LBB403_905
; %bb.898:                              ;   in Loop: Header=BB403_520 Depth=1
	v_lshrrev_b32_e32 v2, 24, v3
	v_bfrev_b32_e32 v7, 1
	s_mov_b32 s13, exec_lo
	s_delay_alu instid0(VALU_DEP_2)
	v_cmpx_ne_u32_e32 0x80, v2
	s_cbranch_execz .LBB403_904
; %bb.899:                              ;   in Loop: Header=BB403_520 Depth=1
	v_bfe_u32 v129, v3, 24, 7
	v_mov_b32_e32 v7, 0x7f800001
	s_mov_b32 s15, exec_lo
	s_delay_alu instid0(VALU_DEP_2)
	v_cmpx_ne_u32_e32 0x7f, v129
	s_cbranch_execz .LBB403_903
; %bb.900:                              ;   in Loop: Header=BB403_520 Depth=1
	v_and_b32_e32 v9, 7, v2
	v_lshrrev_b32_e32 v3, 3, v129
	s_mov_b32 s17, exec_lo
	v_cmpx_gt_u32_e32 8, v129
; %bb.901:                              ;   in Loop: Header=BB403_520 Depth=1
	s_delay_alu instid0(VALU_DEP_3) | instskip(NEXT) | instid1(VALU_DEP_1)
	v_clz_i32_u32_e32 v3, v9
	v_min_u32_e32 v3, 32, v3
	s_delay_alu instid0(VALU_DEP_1) | instskip(SKIP_1) | instid1(VALU_DEP_2)
	v_subrev_nc_u32_e32 v7, 28, v3
	v_sub_nc_u32_e32 v3, 29, v3
	v_lshlrev_b64 v[129:130], v7, v[9:10]
	s_delay_alu instid0(VALU_DEP_1)
	v_and_b32_e32 v9, 7, v129
; %bb.902:                              ;   in Loop: Header=BB403_520 Depth=1
	s_or_b32 exec_lo, exec_lo, s17
	v_lshlrev_b32_e32 v2, 24, v2
	s_delay_alu instid0(VALU_DEP_2) | instskip(SKIP_1) | instid1(VALU_DEP_3)
	v_lshlrev_b32_e32 v7, 20, v9
	v_lshl_add_u32 v3, v3, 23, 0x3c000000
	v_and_b32_e32 v2, 0x80000000, v2
	s_delay_alu instid0(VALU_DEP_1)
	v_or3_b32 v7, v7, v2, v3
.LBB403_903:                            ;   in Loop: Header=BB403_520 Depth=1
	s_or_b32 exec_lo, exec_lo, s15
.LBB403_904:                            ;   in Loop: Header=BB403_520 Depth=1
	s_delay_alu instid0(SALU_CYCLE_1)
	s_or_b32 exec_lo, exec_lo, s13
.LBB403_905:                            ;   in Loop: Header=BB403_520 Depth=1
	s_delay_alu instid0(SALU_CYCLE_1) | instskip(NEXT) | instid1(VALU_DEP_1)
	s_or_b32 exec_lo, exec_lo, s12
	v_mul_f32_e32 v3, v8, v7
	s_delay_alu instid0(VALU_DEP_1) | instskip(NEXT) | instid1(VALU_DEP_1)
	v_and_b32_e32 v2, 0x7f800000, v3
	v_cmp_ne_u32_e64 s0, 0x7f800000, v2
                                        ; implicit-def: $vgpr2
	s_delay_alu instid0(VALU_DEP_1) | instskip(NEXT) | instid1(SALU_CYCLE_1)
	s_and_saveexec_b32 s12, s0
	s_xor_b32 s0, exec_lo, s12
; %bb.906:                              ;   in Loop: Header=BB403_520 Depth=1
	v_bfe_u32 v2, v3, 16, 1
	s_delay_alu instid0(VALU_DEP_1)
	v_add3_u32 v2, v3, v2, 0x7fff
                                        ; implicit-def: $vgpr3
; %bb.907:                              ;   in Loop: Header=BB403_520 Depth=1
	s_and_not1_saveexec_b32 s12, s0
; %bb.908:                              ;   in Loop: Header=BB403_520 Depth=1
	v_and_b32_e32 v2, 0xffff, v3
	v_or_b32_e32 v7, 0x10000, v3
	s_delay_alu instid0(VALU_DEP_2) | instskip(NEXT) | instid1(VALU_DEP_1)
	v_cmp_eq_u32_e64 s0, 0, v2
	v_cndmask_b32_e64 v2, v7, v3, s0
; %bb.909:                              ;   in Loop: Header=BB403_520 Depth=1
	s_or_b32 exec_lo, exec_lo, s12
	v_lshrrev_b32_e32 v6, 16, v6
	v_lshrrev_b32_e32 v7, 16, v119
	;; [unrolled: 1-line block ×8, first 2 shown]
	s_and_saveexec_b32 s12, vcc_lo
	s_cbranch_execz .LBB403_911
; %bb.910:                              ;   in Loop: Header=BB403_520 Depth=1
	v_cmp_lt_i32_e64 s0, v50, v71
	s_delay_alu instid0(VALU_DEP_1) | instskip(SKIP_1) | instid1(VALU_DEP_1)
	v_cndmask_b32_e64 v115, 0, v115, s0
	v_cmp_lt_i32_e64 s0, v66, v71
	v_cndmask_b32_e64 v116, 0, v116, s0
	v_cmp_lt_i32_e64 s0, v65, v71
	s_delay_alu instid0(VALU_DEP_1) | instskip(SKIP_1) | instid1(VALU_DEP_1)
	v_cndmask_b32_e64 v117, 0, v117, s0
	v_cmp_lt_i32_e64 s0, v64, v71
	v_cndmask_b32_e64 v9, 0, v9, s0
	;; [unrolled: 5-line block ×4, first 2 shown]
.LBB403_911:                            ;   in Loop: Header=BB403_520 Depth=1
	s_or_b32 exec_lo, exec_lo, s12
	v_lshlrev_b32_e32 v115, 16, v115
	s_delay_alu instid0(VALU_DEP_1) | instskip(NEXT) | instid1(VALU_DEP_1)
	v_mul_f32_e32 v118, v67, v115
	v_and_b32_e32 v115, 0x7f800000, v118
	s_delay_alu instid0(VALU_DEP_1) | instskip(NEXT) | instid1(VALU_DEP_1)
	v_cmp_ne_u32_e64 s0, 0x7f800000, v115
                                        ; implicit-def: $vgpr115
	s_and_saveexec_b32 s12, s0
	s_delay_alu instid0(SALU_CYCLE_1)
	s_xor_b32 s0, exec_lo, s12
; %bb.912:                              ;   in Loop: Header=BB403_520 Depth=1
	v_bfe_u32 v115, v118, 16, 1
	s_delay_alu instid0(VALU_DEP_1)
	v_add3_u32 v115, v118, v115, 0x7fff
                                        ; implicit-def: $vgpr118
; %bb.913:                              ;   in Loop: Header=BB403_520 Depth=1
	s_and_not1_saveexec_b32 s12, s0
; %bb.914:                              ;   in Loop: Header=BB403_520 Depth=1
	v_and_b32_e32 v115, 0xffff, v118
	v_or_b32_e32 v119, 0x10000, v118
	s_delay_alu instid0(VALU_DEP_2) | instskip(NEXT) | instid1(VALU_DEP_1)
	v_cmp_eq_u32_e64 s0, 0, v115
	v_cndmask_b32_e64 v115, v119, v118, s0
; %bb.915:                              ;   in Loop: Header=BB403_520 Depth=1
	s_or_b32 exec_lo, exec_lo, s12
	v_lshlrev_b32_e32 v116, 16, v116
	s_delay_alu instid0(VALU_DEP_1) | instskip(NEXT) | instid1(VALU_DEP_1)
	v_mul_f32_e32 v118, v68, v116
	v_and_b32_e32 v116, 0x7f800000, v118
	s_delay_alu instid0(VALU_DEP_1) | instskip(NEXT) | instid1(VALU_DEP_1)
	v_cmp_ne_u32_e64 s0, 0x7f800000, v116
                                        ; implicit-def: $vgpr116
	s_and_saveexec_b32 s12, s0
	s_delay_alu instid0(SALU_CYCLE_1)
	s_xor_b32 s0, exec_lo, s12
; %bb.916:                              ;   in Loop: Header=BB403_520 Depth=1
	v_bfe_u32 v116, v118, 16, 1
	s_delay_alu instid0(VALU_DEP_1)
	v_add3_u32 v116, v118, v116, 0x7fff
                                        ; implicit-def: $vgpr118
; %bb.917:                              ;   in Loop: Header=BB403_520 Depth=1
	s_and_not1_saveexec_b32 s12, s0
; %bb.918:                              ;   in Loop: Header=BB403_520 Depth=1
	v_and_b32_e32 v116, 0xffff, v118
	v_or_b32_e32 v119, 0x10000, v118
	s_delay_alu instid0(VALU_DEP_2) | instskip(NEXT) | instid1(VALU_DEP_1)
	v_cmp_eq_u32_e64 s0, 0, v116
	v_cndmask_b32_e64 v116, v119, v118, s0
; %bb.919:                              ;   in Loop: Header=BB403_520 Depth=1
	s_or_b32 exec_lo, exec_lo, s12
	v_lshlrev_b32_e32 v117, 16, v117
	s_delay_alu instid0(VALU_DEP_1) | instskip(NEXT) | instid1(VALU_DEP_1)
	v_mul_f32_e32 v118, v69, v117
	v_and_b32_e32 v117, 0x7f800000, v118
	s_delay_alu instid0(VALU_DEP_1) | instskip(NEXT) | instid1(VALU_DEP_1)
	v_cmp_ne_u32_e64 s0, 0x7f800000, v117
                                        ; implicit-def: $vgpr117
	s_and_saveexec_b32 s12, s0
	s_delay_alu instid0(SALU_CYCLE_1)
	s_xor_b32 s0, exec_lo, s12
; %bb.920:                              ;   in Loop: Header=BB403_520 Depth=1
	v_bfe_u32 v117, v118, 16, 1
	s_delay_alu instid0(VALU_DEP_1)
	v_add3_u32 v117, v118, v117, 0x7fff
                                        ; implicit-def: $vgpr118
; %bb.921:                              ;   in Loop: Header=BB403_520 Depth=1
	s_and_not1_saveexec_b32 s12, s0
; %bb.922:                              ;   in Loop: Header=BB403_520 Depth=1
	v_and_b32_e32 v117, 0xffff, v118
	v_or_b32_e32 v119, 0x10000, v118
	s_delay_alu instid0(VALU_DEP_2) | instskip(NEXT) | instid1(VALU_DEP_1)
	v_cmp_eq_u32_e64 s0, 0, v117
	v_cndmask_b32_e64 v117, v119, v118, s0
; %bb.923:                              ;   in Loop: Header=BB403_520 Depth=1
	s_or_b32 exec_lo, exec_lo, s12
	v_lshlrev_b32_e32 v9, 16, v9
	s_delay_alu instid0(VALU_DEP_1) | instskip(NEXT) | instid1(VALU_DEP_1)
	v_mul_f32_e32 v9, v86, v9
	v_and_b32_e32 v118, 0x7f800000, v9
	s_delay_alu instid0(VALU_DEP_1) | instskip(NEXT) | instid1(VALU_DEP_1)
	v_cmp_ne_u32_e64 s0, 0x7f800000, v118
                                        ; implicit-def: $vgpr118
	s_and_saveexec_b32 s12, s0
	s_delay_alu instid0(SALU_CYCLE_1)
	s_xor_b32 s0, exec_lo, s12
; %bb.924:                              ;   in Loop: Header=BB403_520 Depth=1
	v_bfe_u32 v118, v9, 16, 1
	s_delay_alu instid0(VALU_DEP_1)
	v_add3_u32 v118, v9, v118, 0x7fff
                                        ; implicit-def: $vgpr9
; %bb.925:                              ;   in Loop: Header=BB403_520 Depth=1
	s_and_not1_saveexec_b32 s12, s0
; %bb.926:                              ;   in Loop: Header=BB403_520 Depth=1
	v_and_b32_e32 v118, 0xffff, v9
	v_or_b32_e32 v119, 0x10000, v9
	s_delay_alu instid0(VALU_DEP_2) | instskip(NEXT) | instid1(VALU_DEP_1)
	v_cmp_eq_u32_e64 s0, 0, v118
	v_cndmask_b32_e64 v118, v119, v9, s0
; %bb.927:                              ;   in Loop: Header=BB403_520 Depth=1
	s_or_b32 exec_lo, exec_lo, s12
	v_lshlrev_b32_e32 v7, 16, v7
                                        ; implicit-def: $vgpr119
	s_delay_alu instid0(VALU_DEP_1) | instskip(NEXT) | instid1(VALU_DEP_1)
	v_mul_f32_e32 v7, v87, v7
	v_and_b32_e32 v9, 0x7f800000, v7
	s_delay_alu instid0(VALU_DEP_1) | instskip(NEXT) | instid1(VALU_DEP_1)
	v_cmp_ne_u32_e64 s0, 0x7f800000, v9
	s_and_saveexec_b32 s12, s0
	s_delay_alu instid0(SALU_CYCLE_1)
	s_xor_b32 s0, exec_lo, s12
; %bb.928:                              ;   in Loop: Header=BB403_520 Depth=1
	v_bfe_u32 v9, v7, 16, 1
	s_delay_alu instid0(VALU_DEP_1)
	v_add3_u32 v119, v7, v9, 0x7fff
                                        ; implicit-def: $vgpr7
; %bb.929:                              ;   in Loop: Header=BB403_520 Depth=1
	s_and_not1_saveexec_b32 s12, s0
; %bb.930:                              ;   in Loop: Header=BB403_520 Depth=1
	v_and_b32_e32 v9, 0xffff, v7
	v_or_b32_e32 v119, 0x10000, v7
	s_delay_alu instid0(VALU_DEP_2) | instskip(NEXT) | instid1(VALU_DEP_1)
	v_cmp_eq_u32_e64 s0, 0, v9
	v_cndmask_b32_e64 v119, v119, v7, s0
; %bb.931:                              ;   in Loop: Header=BB403_520 Depth=1
	s_or_b32 exec_lo, exec_lo, s12
	v_lshlrev_b32_e32 v6, 16, v6
                                        ; implicit-def: $vgpr128
	s_delay_alu instid0(VALU_DEP_1) | instskip(NEXT) | instid1(VALU_DEP_1)
	v_mul_f32_e32 v6, v96, v6
	v_and_b32_e32 v7, 0x7f800000, v6
	s_delay_alu instid0(VALU_DEP_1) | instskip(NEXT) | instid1(VALU_DEP_1)
	v_cmp_ne_u32_e64 s0, 0x7f800000, v7
	s_and_saveexec_b32 s12, s0
	s_delay_alu instid0(SALU_CYCLE_1)
	s_xor_b32 s0, exec_lo, s12
; %bb.932:                              ;   in Loop: Header=BB403_520 Depth=1
	v_bfe_u32 v7, v6, 16, 1
	s_delay_alu instid0(VALU_DEP_1)
	v_add3_u32 v128, v6, v7, 0x7fff
                                        ; implicit-def: $vgpr6
; %bb.933:                              ;   in Loop: Header=BB403_520 Depth=1
	s_and_not1_saveexec_b32 s12, s0
; %bb.934:                              ;   in Loop: Header=BB403_520 Depth=1
	v_and_b32_e32 v7, 0xffff, v6
	v_or_b32_e32 v9, 0x10000, v6
	s_delay_alu instid0(VALU_DEP_2) | instskip(NEXT) | instid1(VALU_DEP_1)
	v_cmp_eq_u32_e64 s0, 0, v7
	v_cndmask_b32_e64 v128, v9, v6, s0
; %bb.935:                              ;   in Loop: Header=BB403_520 Depth=1
	s_or_b32 exec_lo, exec_lo, s12
	v_lshlrev_b32_e32 v3, 16, v3
                                        ; implicit-def: $vgpr129
	s_delay_alu instid0(VALU_DEP_1) | instskip(NEXT) | instid1(VALU_DEP_1)
	v_mul_f32_e32 v3, v97, v3
	v_and_b32_e32 v6, 0x7f800000, v3
	s_delay_alu instid0(VALU_DEP_1) | instskip(NEXT) | instid1(VALU_DEP_1)
	v_cmp_ne_u32_e64 s0, 0x7f800000, v6
	s_and_saveexec_b32 s12, s0
	s_delay_alu instid0(SALU_CYCLE_1)
	s_xor_b32 s0, exec_lo, s12
; %bb.936:                              ;   in Loop: Header=BB403_520 Depth=1
	v_bfe_u32 v6, v3, 16, 1
	s_delay_alu instid0(VALU_DEP_1)
	v_add3_u32 v129, v3, v6, 0x7fff
                                        ; implicit-def: $vgpr3
; %bb.937:                              ;   in Loop: Header=BB403_520 Depth=1
	s_and_not1_saveexec_b32 s12, s0
; %bb.938:                              ;   in Loop: Header=BB403_520 Depth=1
	v_and_b32_e32 v6, 0xffff, v3
	v_or_b32_e32 v7, 0x10000, v3
	s_delay_alu instid0(VALU_DEP_2) | instskip(NEXT) | instid1(VALU_DEP_1)
	v_cmp_eq_u32_e64 s0, 0, v6
	v_cndmask_b32_e64 v129, v7, v3, s0
; %bb.939:                              ;   in Loop: Header=BB403_520 Depth=1
	s_or_b32 exec_lo, exec_lo, s12
	v_lshlrev_b32_e32 v2, 16, v2
                                        ; implicit-def: $vgpr130
	s_delay_alu instid0(VALU_DEP_1) | instskip(NEXT) | instid1(VALU_DEP_1)
	v_mul_f32_e32 v2, v98, v2
	v_and_b32_e32 v3, 0x7f800000, v2
	s_delay_alu instid0(VALU_DEP_1) | instskip(NEXT) | instid1(VALU_DEP_1)
	v_cmp_ne_u32_e64 s0, 0x7f800000, v3
	s_and_saveexec_b32 s12, s0
	s_delay_alu instid0(SALU_CYCLE_1)
	s_xor_b32 s0, exec_lo, s12
; %bb.940:                              ;   in Loop: Header=BB403_520 Depth=1
	v_bfe_u32 v3, v2, 16, 1
	s_delay_alu instid0(VALU_DEP_1)
	v_add3_u32 v130, v2, v3, 0x7fff
                                        ; implicit-def: $vgpr2
; %bb.941:                              ;   in Loop: Header=BB403_520 Depth=1
	s_and_not1_saveexec_b32 s12, s0
; %bb.942:                              ;   in Loop: Header=BB403_520 Depth=1
	v_and_b32_e32 v3, 0xffff, v2
	v_or_b32_e32 v6, 0x10000, v2
	s_delay_alu instid0(VALU_DEP_2) | instskip(NEXT) | instid1(VALU_DEP_1)
	v_cmp_eq_u32_e64 s0, 0, v3
	v_cndmask_b32_e64 v130, v6, v2, s0
; %bb.943:                              ;   in Loop: Header=BB403_520 Depth=1
	s_or_b32 exec_lo, exec_lo, s12
	flat_load_b64 v[2:3], v[0:1] offset:768
	s_mov_b32 s12, exec_lo
	s_waitcnt vmcnt(0) lgkmcnt(0)
	v_dual_mov_b32 v6, 0 :: v_dual_and_b32 v7, 0xff, v2
	s_delay_alu instid0(VALU_DEP_1)
	v_cmpx_ne_u16_e32 0, v7
	s_cbranch_execz .LBB403_951
; %bb.944:                              ;   in Loop: Header=BB403_520 Depth=1
	v_bfrev_b32_e32 v6, 1
	s_mov_b32 s13, exec_lo
	v_cmpx_ne_u16_e32 0x80, v7
	s_cbranch_execz .LBB403_950
; %bb.945:                              ;   in Loop: Header=BB403_520 Depth=1
	v_and_b32_e32 v7, 0x7f, v2
	v_mov_b32_e32 v6, 0x7f800001
	s_mov_b32 s15, exec_lo
	s_delay_alu instid0(VALU_DEP_2)
	v_cmpx_ne_u32_e32 0x7f, v7
	s_cbranch_execz .LBB403_949
; %bb.946:                              ;   in Loop: Header=BB403_520 Depth=1
	v_lshrrev_b32_e32 v9, 3, v7
	v_cmp_gt_u32_e64 s0, 8, v7
	v_dual_mov_b32 v7, v3 :: v_dual_mov_b32 v6, v2
	s_delay_alu instid0(VALU_DEP_2)
	s_and_saveexec_b32 s17, s0
; %bb.947:                              ;   in Loop: Header=BB403_520 Depth=1
	v_and_b32_e32 v6, 7, v2
	s_delay_alu instid0(VALU_DEP_1) | instskip(NEXT) | instid1(VALU_DEP_1)
	v_clz_i32_u32_e32 v6, v6
	v_min_u32_e32 v9, 32, v6
	s_delay_alu instid0(VALU_DEP_1) | instskip(SKIP_1) | instid1(VALU_DEP_2)
	v_subrev_nc_u32_e32 v6, 28, v9
	v_sub_nc_u32_e32 v9, 29, v9
	v_lshlrev_b64 v[6:7], v6, v[2:3]
; %bb.948:                              ;   in Loop: Header=BB403_520 Depth=1
	s_or_b32 exec_lo, exec_lo, s17
	s_delay_alu instid0(VALU_DEP_1) | instskip(SKIP_2) | instid1(VALU_DEP_3)
	v_lshlrev_b32_e32 v6, 20, v6
	v_lshlrev_b32_e32 v7, 24, v2
	v_lshl_add_u32 v9, v9, 23, 0x3c000000
	v_and_b32_e32 v6, 0x700000, v6
	s_delay_alu instid0(VALU_DEP_3) | instskip(NEXT) | instid1(VALU_DEP_1)
	v_and_b32_e32 v7, 0x80000000, v7
	v_or3_b32 v6, v6, v7, v9
.LBB403_949:                            ;   in Loop: Header=BB403_520 Depth=1
	s_or_b32 exec_lo, exec_lo, s15
.LBB403_950:                            ;   in Loop: Header=BB403_520 Depth=1
	s_delay_alu instid0(SALU_CYCLE_1)
	s_or_b32 exec_lo, exec_lo, s13
.LBB403_951:                            ;   in Loop: Header=BB403_520 Depth=1
	s_delay_alu instid0(SALU_CYCLE_1) | instskip(NEXT) | instid1(VALU_DEP_1)
	s_or_b32 exec_lo, exec_lo, s12
	v_mul_f32_e32 v6, v8, v6
                                        ; implicit-def: $vgpr131
	s_delay_alu instid0(VALU_DEP_1) | instskip(NEXT) | instid1(VALU_DEP_1)
	v_and_b32_e32 v7, 0x7f800000, v6
	v_cmp_ne_u32_e64 s0, 0x7f800000, v7
	s_delay_alu instid0(VALU_DEP_1) | instskip(NEXT) | instid1(SALU_CYCLE_1)
	s_and_saveexec_b32 s12, s0
	s_xor_b32 s0, exec_lo, s12
; %bb.952:                              ;   in Loop: Header=BB403_520 Depth=1
	v_bfe_u32 v7, v6, 16, 1
	s_delay_alu instid0(VALU_DEP_1)
	v_add3_u32 v131, v6, v7, 0x7fff
                                        ; implicit-def: $vgpr6
; %bb.953:                              ;   in Loop: Header=BB403_520 Depth=1
	s_and_not1_saveexec_b32 s12, s0
; %bb.954:                              ;   in Loop: Header=BB403_520 Depth=1
	v_and_b32_e32 v7, 0xffff, v6
	v_or_b32_e32 v9, 0x10000, v6
	s_delay_alu instid0(VALU_DEP_2) | instskip(NEXT) | instid1(VALU_DEP_1)
	v_cmp_eq_u32_e64 s0, 0, v7
	v_cndmask_b32_e64 v131, v9, v6, s0
; %bb.955:                              ;   in Loop: Header=BB403_520 Depth=1
	s_or_b32 exec_lo, exec_lo, s12
	v_lshrrev_b16 v7, 8, v2
	v_mov_b32_e32 v6, 0
	s_mov_b32 s12, exec_lo
	s_delay_alu instid0(VALU_DEP_2)
	v_cmpx_ne_u16_e32 0, v7
	s_cbranch_execz .LBB403_963
; %bb.956:                              ;   in Loop: Header=BB403_520 Depth=1
	v_bfrev_b32_e32 v6, 1
	s_mov_b32 s13, exec_lo
	v_cmpx_ne_u16_e32 0x80, v7
	s_cbranch_execz .LBB403_962
; %bb.957:                              ;   in Loop: Header=BB403_520 Depth=1
	v_and_b32_e32 v9, 0xffff, v7
	v_mov_b32_e32 v6, 0x7f800001
	s_mov_b32 s15, exec_lo
	s_delay_alu instid0(VALU_DEP_2) | instskip(NEXT) | instid1(VALU_DEP_1)
	v_and_b32_e32 v7, 0x7f, v9
	v_cmpx_ne_u32_e32 0x7f, v7
	s_cbranch_execz .LBB403_961
; %bb.958:                              ;   in Loop: Header=BB403_520 Depth=1
	v_and_b32_e32 v9, 7, v9
	v_lshrrev_b32_e32 v6, 3, v7
	s_mov_b32 s17, exec_lo
	v_cmpx_gt_u32_e32 8, v7
; %bb.959:                              ;   in Loop: Header=BB403_520 Depth=1
	s_delay_alu instid0(VALU_DEP_3) | instskip(NEXT) | instid1(VALU_DEP_1)
	v_clz_i32_u32_e32 v6, v9
	v_min_u32_e32 v6, 32, v6
	s_delay_alu instid0(VALU_DEP_1) | instskip(SKIP_1) | instid1(VALU_DEP_2)
	v_subrev_nc_u32_e32 v7, 28, v6
	v_sub_nc_u32_e32 v6, 29, v6
	v_lshlrev_b64 v[132:133], v7, v[9:10]
	s_delay_alu instid0(VALU_DEP_1)
	v_and_b32_e32 v9, 7, v132
; %bb.960:                              ;   in Loop: Header=BB403_520 Depth=1
	s_or_b32 exec_lo, exec_lo, s17
	v_lshlrev_b32_e32 v7, 16, v2
	s_delay_alu instid0(VALU_DEP_2) | instskip(SKIP_1) | instid1(VALU_DEP_3)
	v_lshlrev_b32_e32 v9, 20, v9
	v_lshl_add_u32 v6, v6, 23, 0x3c000000
	v_and_b32_e32 v7, 0x80000000, v7
	s_delay_alu instid0(VALU_DEP_1)
	v_or3_b32 v6, v9, v7, v6
.LBB403_961:                            ;   in Loop: Header=BB403_520 Depth=1
	s_or_b32 exec_lo, exec_lo, s15
.LBB403_962:                            ;   in Loop: Header=BB403_520 Depth=1
	s_delay_alu instid0(SALU_CYCLE_1)
	s_or_b32 exec_lo, exec_lo, s13
.LBB403_963:                            ;   in Loop: Header=BB403_520 Depth=1
	s_delay_alu instid0(SALU_CYCLE_1) | instskip(NEXT) | instid1(VALU_DEP_1)
	s_or_b32 exec_lo, exec_lo, s12
	v_mul_f32_e32 v6, v8, v6
                                        ; implicit-def: $vgpr132
	s_delay_alu instid0(VALU_DEP_1) | instskip(NEXT) | instid1(VALU_DEP_1)
	v_and_b32_e32 v7, 0x7f800000, v6
	v_cmp_ne_u32_e64 s0, 0x7f800000, v7
	s_delay_alu instid0(VALU_DEP_1) | instskip(NEXT) | instid1(SALU_CYCLE_1)
	s_and_saveexec_b32 s12, s0
	s_xor_b32 s0, exec_lo, s12
; %bb.964:                              ;   in Loop: Header=BB403_520 Depth=1
	v_bfe_u32 v7, v6, 16, 1
	s_delay_alu instid0(VALU_DEP_1)
	v_add3_u32 v132, v6, v7, 0x7fff
                                        ; implicit-def: $vgpr6
; %bb.965:                              ;   in Loop: Header=BB403_520 Depth=1
	s_and_not1_saveexec_b32 s12, s0
; %bb.966:                              ;   in Loop: Header=BB403_520 Depth=1
	v_and_b32_e32 v7, 0xffff, v6
	v_or_b32_e32 v9, 0x10000, v6
	s_delay_alu instid0(VALU_DEP_2) | instskip(NEXT) | instid1(VALU_DEP_1)
	v_cmp_eq_u32_e64 s0, 0, v7
	v_cndmask_b32_e64 v132, v9, v6, s0
; %bb.967:                              ;   in Loop: Header=BB403_520 Depth=1
	s_or_b32 exec_lo, exec_lo, s12
	v_lshrrev_b32_e32 v6, 16, v2
	v_mov_b32_e32 v7, 0
	s_mov_b32 s12, exec_lo
	s_delay_alu instid0(VALU_DEP_2) | instskip(NEXT) | instid1(VALU_DEP_1)
	v_and_b32_e32 v9, 0xff, v6
	v_cmpx_ne_u16_e32 0, v9
	s_cbranch_execz .LBB403_975
; %bb.968:                              ;   in Loop: Header=BB403_520 Depth=1
	v_bfrev_b32_e32 v7, 1
	s_mov_b32 s13, exec_lo
	v_cmpx_ne_u16_e32 0x80, v9
	s_cbranch_execz .LBB403_974
; %bb.969:                              ;   in Loop: Header=BB403_520 Depth=1
	v_bfe_u32 v133, v2, 16, 7
	v_mov_b32_e32 v7, 0x7f800001
	s_mov_b32 s15, exec_lo
	s_delay_alu instid0(VALU_DEP_2)
	v_cmpx_ne_u32_e32 0x7f, v133
	s_cbranch_execz .LBB403_973
; %bb.970:                              ;   in Loop: Header=BB403_520 Depth=1
	v_and_b32_e32 v9, 7, v6
	v_lshrrev_b32_e32 v7, 3, v133
	s_mov_b32 s17, exec_lo
	v_cmpx_gt_u32_e32 8, v133
; %bb.971:                              ;   in Loop: Header=BB403_520 Depth=1
	s_delay_alu instid0(VALU_DEP_3) | instskip(NEXT) | instid1(VALU_DEP_1)
	v_clz_i32_u32_e32 v7, v9
	v_min_u32_e32 v7, 32, v7
	s_delay_alu instid0(VALU_DEP_1) | instskip(SKIP_1) | instid1(VALU_DEP_2)
	v_subrev_nc_u32_e32 v133, 28, v7
	v_sub_nc_u32_e32 v7, 29, v7
	v_lshlrev_b64 v[133:134], v133, v[9:10]
	s_delay_alu instid0(VALU_DEP_1)
	v_and_b32_e32 v9, 7, v133
; %bb.972:                              ;   in Loop: Header=BB403_520 Depth=1
	s_or_b32 exec_lo, exec_lo, s17
	v_lshlrev_b32_e32 v6, 24, v6
	s_delay_alu instid0(VALU_DEP_2) | instskip(SKIP_1) | instid1(VALU_DEP_3)
	v_lshlrev_b32_e32 v9, 20, v9
	v_lshl_add_u32 v7, v7, 23, 0x3c000000
	v_and_b32_e32 v6, 0x80000000, v6
	s_delay_alu instid0(VALU_DEP_1)
	v_or3_b32 v7, v9, v6, v7
.LBB403_973:                            ;   in Loop: Header=BB403_520 Depth=1
	s_or_b32 exec_lo, exec_lo, s15
.LBB403_974:                            ;   in Loop: Header=BB403_520 Depth=1
	s_delay_alu instid0(SALU_CYCLE_1)
	s_or_b32 exec_lo, exec_lo, s13
.LBB403_975:                            ;   in Loop: Header=BB403_520 Depth=1
	s_delay_alu instid0(SALU_CYCLE_1) | instskip(NEXT) | instid1(VALU_DEP_1)
	s_or_b32 exec_lo, exec_lo, s12
	v_mul_f32_e32 v6, v8, v7
                                        ; implicit-def: $vgpr133
	s_delay_alu instid0(VALU_DEP_1) | instskip(NEXT) | instid1(VALU_DEP_1)
	v_and_b32_e32 v7, 0x7f800000, v6
	v_cmp_ne_u32_e64 s0, 0x7f800000, v7
	s_delay_alu instid0(VALU_DEP_1) | instskip(NEXT) | instid1(SALU_CYCLE_1)
	s_and_saveexec_b32 s12, s0
	s_xor_b32 s0, exec_lo, s12
; %bb.976:                              ;   in Loop: Header=BB403_520 Depth=1
	v_bfe_u32 v7, v6, 16, 1
	s_delay_alu instid0(VALU_DEP_1)
	v_add3_u32 v133, v6, v7, 0x7fff
                                        ; implicit-def: $vgpr6
; %bb.977:                              ;   in Loop: Header=BB403_520 Depth=1
	s_and_not1_saveexec_b32 s12, s0
; %bb.978:                              ;   in Loop: Header=BB403_520 Depth=1
	v_and_b32_e32 v7, 0xffff, v6
	v_or_b32_e32 v9, 0x10000, v6
	s_delay_alu instid0(VALU_DEP_2) | instskip(NEXT) | instid1(VALU_DEP_1)
	v_cmp_eq_u32_e64 s0, 0, v7
	v_cndmask_b32_e64 v133, v9, v6, s0
; %bb.979:                              ;   in Loop: Header=BB403_520 Depth=1
	s_or_b32 exec_lo, exec_lo, s12
	v_mov_b32_e32 v7, 0
	s_mov_b32 s12, exec_lo
	v_cmpx_lt_u32_e32 0xffffff, v2
	s_cbranch_execz .LBB403_987
; %bb.980:                              ;   in Loop: Header=BB403_520 Depth=1
	v_lshrrev_b32_e32 v6, 24, v2
	v_bfrev_b32_e32 v7, 1
	s_mov_b32 s13, exec_lo
	s_delay_alu instid0(VALU_DEP_2)
	v_cmpx_ne_u32_e32 0x80, v6
	s_cbranch_execz .LBB403_986
; %bb.981:                              ;   in Loop: Header=BB403_520 Depth=1
	v_bfe_u32 v134, v2, 24, 7
	v_mov_b32_e32 v7, 0x7f800001
	s_mov_b32 s15, exec_lo
	s_delay_alu instid0(VALU_DEP_2)
	v_cmpx_ne_u32_e32 0x7f, v134
	s_cbranch_execz .LBB403_985
; %bb.982:                              ;   in Loop: Header=BB403_520 Depth=1
	v_and_b32_e32 v9, 7, v6
	v_lshrrev_b32_e32 v7, 3, v134
	s_mov_b32 s17, exec_lo
	v_cmpx_gt_u32_e32 8, v134
; %bb.983:                              ;   in Loop: Header=BB403_520 Depth=1
	s_delay_alu instid0(VALU_DEP_3) | instskip(NEXT) | instid1(VALU_DEP_1)
	v_clz_i32_u32_e32 v7, v9
	v_min_u32_e32 v7, 32, v7
	s_delay_alu instid0(VALU_DEP_1) | instskip(SKIP_1) | instid1(VALU_DEP_2)
	v_subrev_nc_u32_e32 v134, 28, v7
	v_sub_nc_u32_e32 v7, 29, v7
	v_lshlrev_b64 v[134:135], v134, v[9:10]
	s_delay_alu instid0(VALU_DEP_1)
	v_and_b32_e32 v9, 7, v134
; %bb.984:                              ;   in Loop: Header=BB403_520 Depth=1
	s_or_b32 exec_lo, exec_lo, s17
	v_lshlrev_b32_e32 v6, 24, v6
	s_delay_alu instid0(VALU_DEP_2) | instskip(SKIP_1) | instid1(VALU_DEP_3)
	v_lshlrev_b32_e32 v9, 20, v9
	v_lshl_add_u32 v7, v7, 23, 0x3c000000
	v_and_b32_e32 v6, 0x80000000, v6
	s_delay_alu instid0(VALU_DEP_1)
	v_or3_b32 v7, v9, v6, v7
.LBB403_985:                            ;   in Loop: Header=BB403_520 Depth=1
	s_or_b32 exec_lo, exec_lo, s15
.LBB403_986:                            ;   in Loop: Header=BB403_520 Depth=1
	s_delay_alu instid0(SALU_CYCLE_1)
	s_or_b32 exec_lo, exec_lo, s13
.LBB403_987:                            ;   in Loop: Header=BB403_520 Depth=1
	s_delay_alu instid0(SALU_CYCLE_1) | instskip(NEXT) | instid1(VALU_DEP_1)
	s_or_b32 exec_lo, exec_lo, s12
	v_mul_f32_e32 v6, v8, v7
                                        ; implicit-def: $vgpr134
	s_delay_alu instid0(VALU_DEP_1) | instskip(NEXT) | instid1(VALU_DEP_1)
	v_and_b32_e32 v7, 0x7f800000, v6
	v_cmp_ne_u32_e64 s0, 0x7f800000, v7
	s_delay_alu instid0(VALU_DEP_1) | instskip(NEXT) | instid1(SALU_CYCLE_1)
	s_and_saveexec_b32 s12, s0
	s_xor_b32 s0, exec_lo, s12
; %bb.988:                              ;   in Loop: Header=BB403_520 Depth=1
	v_bfe_u32 v7, v6, 16, 1
	s_delay_alu instid0(VALU_DEP_1)
	v_add3_u32 v134, v6, v7, 0x7fff
                                        ; implicit-def: $vgpr6
; %bb.989:                              ;   in Loop: Header=BB403_520 Depth=1
	s_and_not1_saveexec_b32 s12, s0
; %bb.990:                              ;   in Loop: Header=BB403_520 Depth=1
	v_and_b32_e32 v7, 0xffff, v6
	v_or_b32_e32 v9, 0x10000, v6
	s_delay_alu instid0(VALU_DEP_2) | instskip(NEXT) | instid1(VALU_DEP_1)
	v_cmp_eq_u32_e64 s0, 0, v7
	v_cndmask_b32_e64 v134, v9, v6, s0
; %bb.991:                              ;   in Loop: Header=BB403_520 Depth=1
	s_or_b32 exec_lo, exec_lo, s12
	v_dual_mov_b32 v6, 0 :: v_dual_and_b32 v7, 0xff, v3
	v_mov_b32_e32 v9, v3
	s_mov_b32 s12, exec_lo
	s_delay_alu instid0(VALU_DEP_2)
	v_cmpx_ne_u16_e32 0, v7
	s_cbranch_execz .LBB403_999
; %bb.992:                              ;   in Loop: Header=BB403_520 Depth=1
	v_bfrev_b32_e32 v6, 1
	s_mov_b32 s13, exec_lo
	v_cmpx_ne_u16_e32 0x80, v7
	s_cbranch_execz .LBB403_998
; %bb.993:                              ;   in Loop: Header=BB403_520 Depth=1
	v_and_b32_e32 v7, 0x7f, v3
	v_mov_b32_e32 v6, 0x7f800001
	s_mov_b32 s15, exec_lo
	s_delay_alu instid0(VALU_DEP_2)
	v_cmpx_ne_u32_e32 0x7f, v7
	s_cbranch_execz .LBB403_997
; %bb.994:                              ;   in Loop: Header=BB403_520 Depth=1
	v_lshrrev_b32_e32 v135, 3, v7
	v_cmp_gt_u32_e64 s0, 8, v7
	v_dual_mov_b32 v6, v9 :: v_dual_mov_b32 v7, v10
	s_delay_alu instid0(VALU_DEP_2)
	s_and_saveexec_b32 s17, s0
; %bb.995:                              ;   in Loop: Header=BB403_520 Depth=1
	v_and_b32_e32 v6, 7, v3
	s_delay_alu instid0(VALU_DEP_1) | instskip(NEXT) | instid1(VALU_DEP_1)
	v_clz_i32_u32_e32 v6, v6
	v_min_u32_e32 v135, 32, v6
	s_delay_alu instid0(VALU_DEP_1) | instskip(SKIP_1) | instid1(VALU_DEP_2)
	v_subrev_nc_u32_e32 v6, 28, v135
	v_sub_nc_u32_e32 v135, 29, v135
	v_lshlrev_b64 v[6:7], v6, v[9:10]
; %bb.996:                              ;   in Loop: Header=BB403_520 Depth=1
	s_or_b32 exec_lo, exec_lo, s17
	s_delay_alu instid0(VALU_DEP_1) | instskip(SKIP_2) | instid1(VALU_DEP_3)
	v_lshlrev_b32_e32 v6, 20, v6
	v_lshlrev_b32_e32 v7, 24, v9
	v_lshl_add_u32 v135, v135, 23, 0x3c000000
	v_and_b32_e32 v6, 0x700000, v6
	s_delay_alu instid0(VALU_DEP_3) | instskip(NEXT) | instid1(VALU_DEP_1)
	v_and_b32_e32 v7, 0x80000000, v7
	v_or3_b32 v6, v6, v7, v135
.LBB403_997:                            ;   in Loop: Header=BB403_520 Depth=1
	s_or_b32 exec_lo, exec_lo, s15
.LBB403_998:                            ;   in Loop: Header=BB403_520 Depth=1
	s_delay_alu instid0(SALU_CYCLE_1)
	s_or_b32 exec_lo, exec_lo, s13
.LBB403_999:                            ;   in Loop: Header=BB403_520 Depth=1
	s_delay_alu instid0(SALU_CYCLE_1) | instskip(NEXT) | instid1(VALU_DEP_1)
	s_or_b32 exec_lo, exec_lo, s12
	v_mul_f32_e32 v6, v8, v6
                                        ; implicit-def: $vgpr135
	s_delay_alu instid0(VALU_DEP_1) | instskip(NEXT) | instid1(VALU_DEP_1)
	v_and_b32_e32 v7, 0x7f800000, v6
	v_cmp_ne_u32_e64 s0, 0x7f800000, v7
	s_delay_alu instid0(VALU_DEP_1) | instskip(NEXT) | instid1(SALU_CYCLE_1)
	s_and_saveexec_b32 s12, s0
	s_xor_b32 s0, exec_lo, s12
; %bb.1000:                             ;   in Loop: Header=BB403_520 Depth=1
	v_bfe_u32 v7, v6, 16, 1
	s_delay_alu instid0(VALU_DEP_1)
	v_add3_u32 v135, v6, v7, 0x7fff
                                        ; implicit-def: $vgpr6
; %bb.1001:                             ;   in Loop: Header=BB403_520 Depth=1
	s_and_not1_saveexec_b32 s12, s0
; %bb.1002:                             ;   in Loop: Header=BB403_520 Depth=1
	v_and_b32_e32 v7, 0xffff, v6
	v_or_b32_e32 v135, 0x10000, v6
	s_delay_alu instid0(VALU_DEP_2) | instskip(NEXT) | instid1(VALU_DEP_1)
	v_cmp_eq_u32_e64 s0, 0, v7
	v_cndmask_b32_e64 v135, v135, v6, s0
; %bb.1003:                             ;   in Loop: Header=BB403_520 Depth=1
	s_or_b32 exec_lo, exec_lo, s12
	v_lshrrev_b16 v7, 8, v9
	v_mov_b32_e32 v6, 0
	s_mov_b32 s12, exec_lo
	s_delay_alu instid0(VALU_DEP_2)
	v_cmpx_ne_u16_e32 0, v7
	s_cbranch_execz .LBB403_1011
; %bb.1004:                             ;   in Loop: Header=BB403_520 Depth=1
	v_bfrev_b32_e32 v6, 1
	s_mov_b32 s13, exec_lo
	v_cmpx_ne_u16_e32 0x80, v7
	s_cbranch_execz .LBB403_1010
; %bb.1005:                             ;   in Loop: Header=BB403_520 Depth=1
	v_and_b32_e32 v7, 0xffff, v7
	v_mov_b32_e32 v6, 0x7f800001
	s_mov_b32 s15, exec_lo
	s_delay_alu instid0(VALU_DEP_2) | instskip(NEXT) | instid1(VALU_DEP_1)
	v_and_b32_e32 v145, 0x7f, v7
	v_cmpx_ne_u32_e32 0x7f, v145
	s_cbranch_execz .LBB403_1009
; %bb.1006:                             ;   in Loop: Header=BB403_520 Depth=1
	v_dual_mov_b32 v7, v10 :: v_dual_and_b32 v6, 7, v7
	v_lshrrev_b32_e32 v144, 3, v145
	s_mov_b32 s17, exec_lo
	v_cmpx_gt_u32_e32 8, v145
; %bb.1007:                             ;   in Loop: Header=BB403_520 Depth=1
	s_delay_alu instid0(VALU_DEP_3) | instskip(NEXT) | instid1(VALU_DEP_1)
	v_clz_i32_u32_e32 v144, v6
	v_min_u32_e32 v144, 32, v144
	s_delay_alu instid0(VALU_DEP_1) | instskip(SKIP_1) | instid1(VALU_DEP_2)
	v_subrev_nc_u32_e32 v145, 28, v144
	v_sub_nc_u32_e32 v144, 29, v144
	v_lshlrev_b64 v[6:7], v145, v[6:7]
	s_delay_alu instid0(VALU_DEP_1)
	v_and_b32_e32 v6, 7, v6
; %bb.1008:                             ;   in Loop: Header=BB403_520 Depth=1
	s_or_b32 exec_lo, exec_lo, s17
	v_lshlrev_b32_e32 v7, 16, v9
	s_delay_alu instid0(VALU_DEP_2) | instskip(SKIP_1) | instid1(VALU_DEP_3)
	v_lshlrev_b32_e32 v6, 20, v6
	v_lshl_add_u32 v9, v144, 23, 0x3c000000
	v_and_b32_e32 v7, 0x80000000, v7
	s_delay_alu instid0(VALU_DEP_1)
	v_or3_b32 v6, v6, v7, v9
.LBB403_1009:                           ;   in Loop: Header=BB403_520 Depth=1
	s_or_b32 exec_lo, exec_lo, s15
.LBB403_1010:                           ;   in Loop: Header=BB403_520 Depth=1
	s_delay_alu instid0(SALU_CYCLE_1)
	s_or_b32 exec_lo, exec_lo, s13
.LBB403_1011:                           ;   in Loop: Header=BB403_520 Depth=1
	s_delay_alu instid0(SALU_CYCLE_1) | instskip(NEXT) | instid1(VALU_DEP_1)
	s_or_b32 exec_lo, exec_lo, s12
	v_mul_f32_e32 v7, v8, v6
	s_delay_alu instid0(VALU_DEP_1) | instskip(NEXT) | instid1(VALU_DEP_1)
	v_and_b32_e32 v6, 0x7f800000, v7
	v_cmp_ne_u32_e64 s0, 0x7f800000, v6
                                        ; implicit-def: $vgpr6
	s_delay_alu instid0(VALU_DEP_1) | instskip(NEXT) | instid1(SALU_CYCLE_1)
	s_and_saveexec_b32 s12, s0
	s_xor_b32 s0, exec_lo, s12
; %bb.1012:                             ;   in Loop: Header=BB403_520 Depth=1
	v_bfe_u32 v6, v7, 16, 1
	s_delay_alu instid0(VALU_DEP_1)
	v_add3_u32 v6, v7, v6, 0x7fff
                                        ; implicit-def: $vgpr7
; %bb.1013:                             ;   in Loop: Header=BB403_520 Depth=1
	s_and_not1_saveexec_b32 s12, s0
; %bb.1014:                             ;   in Loop: Header=BB403_520 Depth=1
	v_and_b32_e32 v6, 0xffff, v7
	v_or_b32_e32 v9, 0x10000, v7
	s_delay_alu instid0(VALU_DEP_2) | instskip(NEXT) | instid1(VALU_DEP_1)
	v_cmp_eq_u32_e64 s0, 0, v6
	v_cndmask_b32_e64 v6, v9, v7, s0
; %bb.1015:                             ;   in Loop: Header=BB403_520 Depth=1
	s_or_b32 exec_lo, exec_lo, s12
	v_lshrrev_b32_e32 v7, 16, v3
	s_mov_b32 s12, exec_lo
	s_delay_alu instid0(VALU_DEP_1) | instskip(NEXT) | instid1(VALU_DEP_1)
	v_dual_mov_b32 v9, 0 :: v_dual_and_b32 v144, 0xff, v7
	v_cmpx_ne_u16_e64 0, v144
	s_cbranch_execz .LBB403_1023
; %bb.1016:                             ;   in Loop: Header=BB403_520 Depth=1
	v_bfrev_b32_e32 v9, 1
	s_mov_b32 s13, exec_lo
	v_cmpx_ne_u16_e64 0x80, v144
	s_cbranch_execz .LBB403_1022
; %bb.1017:                             ;   in Loop: Header=BB403_520 Depth=1
	v_bfe_u32 v145, v3, 16, 7
	v_mov_b32_e32 v9, 0x7f800001
	s_mov_b32 s15, exec_lo
	s_delay_alu instid0(VALU_DEP_2)
	v_cmpx_ne_u32_e32 0x7f, v145
	s_cbranch_execz .LBB403_1021
; %bb.1018:                             ;   in Loop: Header=BB403_520 Depth=1
	v_and_b32_e32 v9, 7, v7
	v_lshrrev_b32_e32 v144, 3, v145
	s_mov_b32 s17, exec_lo
	v_cmpx_gt_u32_e32 8, v145
; %bb.1019:                             ;   in Loop: Header=BB403_520 Depth=1
	s_delay_alu instid0(VALU_DEP_3) | instskip(NEXT) | instid1(VALU_DEP_1)
	v_clz_i32_u32_e32 v144, v9
	v_min_u32_e32 v144, 32, v144
	s_delay_alu instid0(VALU_DEP_1) | instskip(SKIP_1) | instid1(VALU_DEP_2)
	v_subrev_nc_u32_e32 v145, 28, v144
	v_sub_nc_u32_e32 v144, 29, v144
	v_lshlrev_b64 v[145:146], v145, v[9:10]
	s_delay_alu instid0(VALU_DEP_1)
	v_and_b32_e32 v9, 7, v145
; %bb.1020:                             ;   in Loop: Header=BB403_520 Depth=1
	s_or_b32 exec_lo, exec_lo, s17
	v_lshlrev_b32_e32 v7, 24, v7
	s_delay_alu instid0(VALU_DEP_2) | instskip(SKIP_1) | instid1(VALU_DEP_3)
	v_lshlrev_b32_e32 v9, 20, v9
	v_lshl_add_u32 v144, v144, 23, 0x3c000000
	v_and_b32_e32 v7, 0x80000000, v7
	s_delay_alu instid0(VALU_DEP_1)
	v_or3_b32 v9, v9, v7, v144
.LBB403_1021:                           ;   in Loop: Header=BB403_520 Depth=1
	s_or_b32 exec_lo, exec_lo, s15
.LBB403_1022:                           ;   in Loop: Header=BB403_520 Depth=1
	s_delay_alu instid0(SALU_CYCLE_1)
	s_or_b32 exec_lo, exec_lo, s13
.LBB403_1023:                           ;   in Loop: Header=BB403_520 Depth=1
	s_delay_alu instid0(SALU_CYCLE_1) | instskip(NEXT) | instid1(VALU_DEP_1)
	s_or_b32 exec_lo, exec_lo, s12
	v_mul_f32_e32 v9, v8, v9
	s_delay_alu instid0(VALU_DEP_1) | instskip(NEXT) | instid1(VALU_DEP_1)
	v_and_b32_e32 v7, 0x7f800000, v9
	v_cmp_ne_u32_e64 s0, 0x7f800000, v7
                                        ; implicit-def: $vgpr7
	s_delay_alu instid0(VALU_DEP_1) | instskip(NEXT) | instid1(SALU_CYCLE_1)
	s_and_saveexec_b32 s12, s0
	s_xor_b32 s0, exec_lo, s12
; %bb.1024:                             ;   in Loop: Header=BB403_520 Depth=1
	v_bfe_u32 v7, v9, 16, 1
	s_delay_alu instid0(VALU_DEP_1)
	v_add3_u32 v7, v9, v7, 0x7fff
                                        ; implicit-def: $vgpr9
; %bb.1025:                             ;   in Loop: Header=BB403_520 Depth=1
	s_and_not1_saveexec_b32 s12, s0
; %bb.1026:                             ;   in Loop: Header=BB403_520 Depth=1
	v_and_b32_e32 v7, 0xffff, v9
	v_or_b32_e32 v144, 0x10000, v9
	s_delay_alu instid0(VALU_DEP_2) | instskip(NEXT) | instid1(VALU_DEP_1)
	v_cmp_eq_u32_e64 s0, 0, v7
	v_cndmask_b32_e64 v7, v144, v9, s0
; %bb.1027:                             ;   in Loop: Header=BB403_520 Depth=1
	s_or_b32 exec_lo, exec_lo, s12
	v_mov_b32_e32 v9, 0
	s_mov_b32 s12, exec_lo
	v_cmpx_lt_u64_e64 s[8:9], v[2:3]
	s_cbranch_execz .LBB403_1035
; %bb.1028:                             ;   in Loop: Header=BB403_520 Depth=1
	v_lshrrev_b32_e32 v2, 24, v3
	v_bfrev_b32_e32 v9, 1
	s_mov_b32 s13, exec_lo
	s_delay_alu instid0(VALU_DEP_2)
	v_cmpx_ne_u32_e32 0x80, v2
	s_cbranch_execz .LBB403_1034
; %bb.1029:                             ;   in Loop: Header=BB403_520 Depth=1
	v_bfe_u32 v144, v3, 24, 7
	v_mov_b32_e32 v9, 0x7f800001
	s_mov_b32 s15, exec_lo
	s_delay_alu instid0(VALU_DEP_2)
	v_cmpx_ne_u32_e32 0x7f, v144
	s_cbranch_execz .LBB403_1033
; %bb.1030:                             ;   in Loop: Header=BB403_520 Depth=1
	v_and_b32_e32 v9, 7, v2
	v_lshrrev_b32_e32 v3, 3, v144
	s_mov_b32 s17, exec_lo
	v_cmpx_gt_u32_e32 8, v144
; %bb.1031:                             ;   in Loop: Header=BB403_520 Depth=1
	s_delay_alu instid0(VALU_DEP_3) | instskip(NEXT) | instid1(VALU_DEP_1)
	v_clz_i32_u32_e32 v3, v9
	v_min_u32_e32 v3, 32, v3
	s_delay_alu instid0(VALU_DEP_1) | instskip(SKIP_1) | instid1(VALU_DEP_2)
	v_subrev_nc_u32_e32 v144, 28, v3
	v_sub_nc_u32_e32 v3, 29, v3
	v_lshlrev_b64 v[144:145], v144, v[9:10]
	s_delay_alu instid0(VALU_DEP_1)
	v_and_b32_e32 v9, 7, v144
; %bb.1032:                             ;   in Loop: Header=BB403_520 Depth=1
	s_or_b32 exec_lo, exec_lo, s17
	v_lshlrev_b32_e32 v2, 24, v2
	s_delay_alu instid0(VALU_DEP_2) | instskip(SKIP_1) | instid1(VALU_DEP_3)
	v_lshlrev_b32_e32 v9, 20, v9
	v_lshl_add_u32 v3, v3, 23, 0x3c000000
	v_and_b32_e32 v2, 0x80000000, v2
	s_delay_alu instid0(VALU_DEP_1)
	v_or3_b32 v9, v9, v2, v3
.LBB403_1033:                           ;   in Loop: Header=BB403_520 Depth=1
	s_or_b32 exec_lo, exec_lo, s15
.LBB403_1034:                           ;   in Loop: Header=BB403_520 Depth=1
	s_delay_alu instid0(SALU_CYCLE_1)
	s_or_b32 exec_lo, exec_lo, s13
.LBB403_1035:                           ;   in Loop: Header=BB403_520 Depth=1
	s_delay_alu instid0(SALU_CYCLE_1) | instskip(NEXT) | instid1(VALU_DEP_1)
	s_or_b32 exec_lo, exec_lo, s12
	v_mul_f32_e32 v3, v8, v9
	s_delay_alu instid0(VALU_DEP_1) | instskip(NEXT) | instid1(VALU_DEP_1)
	v_and_b32_e32 v2, 0x7f800000, v3
	v_cmp_ne_u32_e64 s0, 0x7f800000, v2
                                        ; implicit-def: $vgpr2
	s_delay_alu instid0(VALU_DEP_1) | instskip(NEXT) | instid1(SALU_CYCLE_1)
	s_and_saveexec_b32 s12, s0
	s_xor_b32 s0, exec_lo, s12
; %bb.1036:                             ;   in Loop: Header=BB403_520 Depth=1
	v_bfe_u32 v2, v3, 16, 1
	s_delay_alu instid0(VALU_DEP_1)
	v_add3_u32 v2, v3, v2, 0x7fff
                                        ; implicit-def: $vgpr3
; %bb.1037:                             ;   in Loop: Header=BB403_520 Depth=1
	s_and_not1_saveexec_b32 s12, s0
; %bb.1038:                             ;   in Loop: Header=BB403_520 Depth=1
	v_and_b32_e32 v2, 0xffff, v3
	v_or_b32_e32 v9, 0x10000, v3
	s_delay_alu instid0(VALU_DEP_2) | instskip(NEXT) | instid1(VALU_DEP_1)
	v_cmp_eq_u32_e64 s0, 0, v2
	v_cndmask_b32_e64 v2, v9, v3, s0
; %bb.1039:                             ;   in Loop: Header=BB403_520 Depth=1
	s_or_b32 exec_lo, exec_lo, s12
	v_lshrrev_b32_e32 v9, 16, v6
	v_lshrrev_b32_e32 v135, 16, v135
	;; [unrolled: 1-line block ×8, first 2 shown]
	s_and_saveexec_b32 s12, vcc_lo
	s_cbranch_execz .LBB403_1041
; %bb.1040:                             ;   in Loop: Header=BB403_520 Depth=1
	v_cmp_lt_i32_e64 s0, v50, v71
	s_delay_alu instid0(VALU_DEP_1) | instskip(SKIP_1) | instid1(VALU_DEP_1)
	v_cndmask_b32_e64 v6, 0, v6, s0
	v_cmp_lt_i32_e64 s0, v66, v71
	v_cndmask_b32_e64 v132, 0, v132, s0
	v_cmp_lt_i32_e64 s0, v65, v71
	s_delay_alu instid0(VALU_DEP_1) | instskip(SKIP_1) | instid1(VALU_DEP_1)
	v_cndmask_b32_e64 v133, 0, v133, s0
	v_cmp_lt_i32_e64 s0, v64, v71
	v_cndmask_b32_e64 v134, 0, v134, s0
	;; [unrolled: 5-line block ×4, first 2 shown]
.LBB403_1041:                           ;   in Loop: Header=BB403_520 Depth=1
	s_or_b32 exec_lo, exec_lo, s12
	v_lshlrev_b32_e32 v6, 16, v6
	s_delay_alu instid0(VALU_DEP_1) | instskip(NEXT) | instid1(VALU_DEP_1)
	v_mul_f32_e32 v7, v67, v6
	v_and_b32_e32 v6, 0x7f800000, v7
	s_delay_alu instid0(VALU_DEP_1) | instskip(NEXT) | instid1(VALU_DEP_1)
	v_cmp_ne_u32_e64 s0, 0x7f800000, v6
                                        ; implicit-def: $vgpr6
	s_and_saveexec_b32 s12, s0
	s_delay_alu instid0(SALU_CYCLE_1)
	s_xor_b32 s0, exec_lo, s12
; %bb.1042:                             ;   in Loop: Header=BB403_520 Depth=1
	v_bfe_u32 v6, v7, 16, 1
	s_delay_alu instid0(VALU_DEP_1)
	v_add3_u32 v6, v7, v6, 0x7fff
                                        ; implicit-def: $vgpr7
; %bb.1043:                             ;   in Loop: Header=BB403_520 Depth=1
	s_and_not1_saveexec_b32 s12, s0
; %bb.1044:                             ;   in Loop: Header=BB403_520 Depth=1
	v_and_b32_e32 v6, 0xffff, v7
	v_or_b32_e32 v131, 0x10000, v7
	s_delay_alu instid0(VALU_DEP_2) | instskip(NEXT) | instid1(VALU_DEP_1)
	v_cmp_eq_u32_e64 s0, 0, v6
	v_cndmask_b32_e64 v6, v131, v7, s0
; %bb.1045:                             ;   in Loop: Header=BB403_520 Depth=1
	s_or_b32 exec_lo, exec_lo, s12
	v_lshlrev_b32_e32 v7, 16, v132
	s_delay_alu instid0(VALU_DEP_1) | instskip(NEXT) | instid1(VALU_DEP_1)
	v_mul_f32_e32 v131, v68, v7
	v_and_b32_e32 v7, 0x7f800000, v131
	s_delay_alu instid0(VALU_DEP_1) | instskip(NEXT) | instid1(VALU_DEP_1)
	v_cmp_ne_u32_e64 s0, 0x7f800000, v7
                                        ; implicit-def: $vgpr7
	s_and_saveexec_b32 s12, s0
	s_delay_alu instid0(SALU_CYCLE_1)
	s_xor_b32 s0, exec_lo, s12
; %bb.1046:                             ;   in Loop: Header=BB403_520 Depth=1
	v_bfe_u32 v7, v131, 16, 1
	s_delay_alu instid0(VALU_DEP_1)
	v_add3_u32 v7, v131, v7, 0x7fff
                                        ; implicit-def: $vgpr131
; %bb.1047:                             ;   in Loop: Header=BB403_520 Depth=1
	s_and_not1_saveexec_b32 s12, s0
; %bb.1048:                             ;   in Loop: Header=BB403_520 Depth=1
	v_and_b32_e32 v7, 0xffff, v131
	v_or_b32_e32 v132, 0x10000, v131
	s_delay_alu instid0(VALU_DEP_2) | instskip(NEXT) | instid1(VALU_DEP_1)
	v_cmp_eq_u32_e64 s0, 0, v7
	v_cndmask_b32_e64 v7, v132, v131, s0
; %bb.1049:                             ;   in Loop: Header=BB403_520 Depth=1
	s_or_b32 exec_lo, exec_lo, s12
	v_lshlrev_b32_e32 v131, 16, v133
	s_delay_alu instid0(VALU_DEP_1) | instskip(NEXT) | instid1(VALU_DEP_1)
	v_mul_f32_e32 v132, v69, v131
	v_and_b32_e32 v131, 0x7f800000, v132
	s_delay_alu instid0(VALU_DEP_1) | instskip(NEXT) | instid1(VALU_DEP_1)
	v_cmp_ne_u32_e64 s0, 0x7f800000, v131
                                        ; implicit-def: $vgpr131
	s_and_saveexec_b32 s12, s0
	s_delay_alu instid0(SALU_CYCLE_1)
	s_xor_b32 s0, exec_lo, s12
; %bb.1050:                             ;   in Loop: Header=BB403_520 Depth=1
	v_bfe_u32 v131, v132, 16, 1
	s_delay_alu instid0(VALU_DEP_1)
	v_add3_u32 v131, v132, v131, 0x7fff
                                        ; implicit-def: $vgpr132
; %bb.1051:                             ;   in Loop: Header=BB403_520 Depth=1
	s_and_not1_saveexec_b32 s12, s0
; %bb.1052:                             ;   in Loop: Header=BB403_520 Depth=1
	v_and_b32_e32 v131, 0xffff, v132
	v_or_b32_e32 v133, 0x10000, v132
	s_delay_alu instid0(VALU_DEP_2) | instskip(NEXT) | instid1(VALU_DEP_1)
	v_cmp_eq_u32_e64 s0, 0, v131
	v_cndmask_b32_e64 v131, v133, v132, s0
; %bb.1053:                             ;   in Loop: Header=BB403_520 Depth=1
	s_or_b32 exec_lo, exec_lo, s12
	v_lshlrev_b32_e32 v132, 16, v134
	s_delay_alu instid0(VALU_DEP_1) | instskip(NEXT) | instid1(VALU_DEP_1)
	v_mul_f32_e32 v133, v86, v132
	v_and_b32_e32 v132, 0x7f800000, v133
	s_delay_alu instid0(VALU_DEP_1) | instskip(NEXT) | instid1(VALU_DEP_1)
	v_cmp_ne_u32_e64 s0, 0x7f800000, v132
                                        ; implicit-def: $vgpr132
	s_and_saveexec_b32 s12, s0
	s_delay_alu instid0(SALU_CYCLE_1)
	s_xor_b32 s0, exec_lo, s12
; %bb.1054:                             ;   in Loop: Header=BB403_520 Depth=1
	v_bfe_u32 v132, v133, 16, 1
	s_delay_alu instid0(VALU_DEP_1)
	v_add3_u32 v132, v133, v132, 0x7fff
                                        ; implicit-def: $vgpr133
; %bb.1055:                             ;   in Loop: Header=BB403_520 Depth=1
	s_and_not1_saveexec_b32 s12, s0
; %bb.1056:                             ;   in Loop: Header=BB403_520 Depth=1
	v_and_b32_e32 v132, 0xffff, v133
	v_or_b32_e32 v134, 0x10000, v133
	s_delay_alu instid0(VALU_DEP_2) | instskip(NEXT) | instid1(VALU_DEP_1)
	v_cmp_eq_u32_e64 s0, 0, v132
	v_cndmask_b32_e64 v132, v134, v133, s0
; %bb.1057:                             ;   in Loop: Header=BB403_520 Depth=1
	s_or_b32 exec_lo, exec_lo, s12
	v_lshlrev_b32_e32 v133, 16, v135
	s_delay_alu instid0(VALU_DEP_1) | instskip(NEXT) | instid1(VALU_DEP_1)
	v_mul_f32_e32 v134, v87, v133
	v_and_b32_e32 v133, 0x7f800000, v134
	s_delay_alu instid0(VALU_DEP_1) | instskip(NEXT) | instid1(VALU_DEP_1)
	v_cmp_ne_u32_e64 s0, 0x7f800000, v133
                                        ; implicit-def: $vgpr133
	s_and_saveexec_b32 s12, s0
	s_delay_alu instid0(SALU_CYCLE_1)
	s_xor_b32 s0, exec_lo, s12
; %bb.1058:                             ;   in Loop: Header=BB403_520 Depth=1
	v_bfe_u32 v133, v134, 16, 1
	s_delay_alu instid0(VALU_DEP_1)
	v_add3_u32 v133, v134, v133, 0x7fff
                                        ; implicit-def: $vgpr134
; %bb.1059:                             ;   in Loop: Header=BB403_520 Depth=1
	s_and_not1_saveexec_b32 s12, s0
; %bb.1060:                             ;   in Loop: Header=BB403_520 Depth=1
	v_and_b32_e32 v133, 0xffff, v134
	v_or_b32_e32 v135, 0x10000, v134
	s_delay_alu instid0(VALU_DEP_2) | instskip(NEXT) | instid1(VALU_DEP_1)
	v_cmp_eq_u32_e64 s0, 0, v133
	v_cndmask_b32_e64 v133, v135, v134, s0
; %bb.1061:                             ;   in Loop: Header=BB403_520 Depth=1
	s_or_b32 exec_lo, exec_lo, s12
	v_lshlrev_b32_e32 v9, 16, v9
	s_delay_alu instid0(VALU_DEP_1) | instskip(NEXT) | instid1(VALU_DEP_1)
	v_mul_f32_e32 v9, v96, v9
	v_and_b32_e32 v134, 0x7f800000, v9
	s_delay_alu instid0(VALU_DEP_1) | instskip(NEXT) | instid1(VALU_DEP_1)
	v_cmp_ne_u32_e64 s0, 0x7f800000, v134
                                        ; implicit-def: $vgpr134
	s_and_saveexec_b32 s12, s0
	s_delay_alu instid0(SALU_CYCLE_1)
	s_xor_b32 s0, exec_lo, s12
; %bb.1062:                             ;   in Loop: Header=BB403_520 Depth=1
	v_bfe_u32 v134, v9, 16, 1
	s_delay_alu instid0(VALU_DEP_1)
	v_add3_u32 v134, v9, v134, 0x7fff
                                        ; implicit-def: $vgpr9
; %bb.1063:                             ;   in Loop: Header=BB403_520 Depth=1
	s_and_not1_saveexec_b32 s12, s0
; %bb.1064:                             ;   in Loop: Header=BB403_520 Depth=1
	v_and_b32_e32 v134, 0xffff, v9
	v_or_b32_e32 v135, 0x10000, v9
	s_delay_alu instid0(VALU_DEP_2) | instskip(NEXT) | instid1(VALU_DEP_1)
	v_cmp_eq_u32_e64 s0, 0, v134
	v_cndmask_b32_e64 v134, v135, v9, s0
; %bb.1065:                             ;   in Loop: Header=BB403_520 Depth=1
	s_or_b32 exec_lo, exec_lo, s12
	v_lshlrev_b32_e32 v3, 16, v3
                                        ; implicit-def: $vgpr135
	s_delay_alu instid0(VALU_DEP_1) | instskip(NEXT) | instid1(VALU_DEP_1)
	v_mul_f32_e32 v3, v97, v3
	v_and_b32_e32 v9, 0x7f800000, v3
	s_delay_alu instid0(VALU_DEP_1) | instskip(NEXT) | instid1(VALU_DEP_1)
	v_cmp_ne_u32_e64 s0, 0x7f800000, v9
	s_and_saveexec_b32 s12, s0
	s_delay_alu instid0(SALU_CYCLE_1)
	s_xor_b32 s0, exec_lo, s12
; %bb.1066:                             ;   in Loop: Header=BB403_520 Depth=1
	v_bfe_u32 v9, v3, 16, 1
	s_delay_alu instid0(VALU_DEP_1)
	v_add3_u32 v135, v3, v9, 0x7fff
                                        ; implicit-def: $vgpr3
; %bb.1067:                             ;   in Loop: Header=BB403_520 Depth=1
	s_and_not1_saveexec_b32 s12, s0
; %bb.1068:                             ;   in Loop: Header=BB403_520 Depth=1
	v_and_b32_e32 v9, 0xffff, v3
	v_or_b32_e32 v135, 0x10000, v3
	s_delay_alu instid0(VALU_DEP_2) | instskip(NEXT) | instid1(VALU_DEP_1)
	v_cmp_eq_u32_e64 s0, 0, v9
	v_cndmask_b32_e64 v135, v135, v3, s0
; %bb.1069:                             ;   in Loop: Header=BB403_520 Depth=1
	s_or_b32 exec_lo, exec_lo, s12
	v_lshlrev_b32_e32 v2, 16, v2
                                        ; implicit-def: $vgpr144
	s_delay_alu instid0(VALU_DEP_1) | instskip(NEXT) | instid1(VALU_DEP_1)
	v_mul_f32_e32 v2, v98, v2
	v_and_b32_e32 v3, 0x7f800000, v2
	s_delay_alu instid0(VALU_DEP_1) | instskip(NEXT) | instid1(VALU_DEP_1)
	v_cmp_ne_u32_e64 s0, 0x7f800000, v3
	s_and_saveexec_b32 s12, s0
	s_delay_alu instid0(SALU_CYCLE_1)
	s_xor_b32 s0, exec_lo, s12
; %bb.1070:                             ;   in Loop: Header=BB403_520 Depth=1
	v_bfe_u32 v3, v2, 16, 1
	s_delay_alu instid0(VALU_DEP_1)
	v_add3_u32 v144, v2, v3, 0x7fff
                                        ; implicit-def: $vgpr2
; %bb.1071:                             ;   in Loop: Header=BB403_520 Depth=1
	s_and_not1_saveexec_b32 s12, s0
; %bb.1072:                             ;   in Loop: Header=BB403_520 Depth=1
	v_and_b32_e32 v3, 0xffff, v2
	v_or_b32_e32 v9, 0x10000, v2
	s_delay_alu instid0(VALU_DEP_2) | instskip(NEXT) | instid1(VALU_DEP_1)
	v_cmp_eq_u32_e64 s0, 0, v3
	v_cndmask_b32_e64 v144, v9, v2, s0
; %bb.1073:                             ;   in Loop: Header=BB403_520 Depth=1
	s_or_b32 exec_lo, exec_lo, s12
	flat_load_b64 v[0:1], v[0:1] offset:1024
	s_mov_b32 s12, exec_lo
	s_waitcnt vmcnt(0) lgkmcnt(0)
	v_dual_mov_b32 v2, 0 :: v_dual_and_b32 v3, 0xff, v0
	s_delay_alu instid0(VALU_DEP_1)
	v_cmpx_ne_u16_e32 0, v3
	s_cbranch_execz .LBB403_1081
; %bb.1074:                             ;   in Loop: Header=BB403_520 Depth=1
	v_bfrev_b32_e32 v2, 1
	s_mov_b32 s13, exec_lo
	v_cmpx_ne_u16_e32 0x80, v3
	s_cbranch_execz .LBB403_1080
; %bb.1075:                             ;   in Loop: Header=BB403_520 Depth=1
	v_and_b32_e32 v3, 0x7f, v0
	v_mov_b32_e32 v2, 0x7f800001
	s_mov_b32 s15, exec_lo
	s_delay_alu instid0(VALU_DEP_2)
	v_cmpx_ne_u32_e32 0x7f, v3
	s_cbranch_execz .LBB403_1079
; %bb.1076:                             ;   in Loop: Header=BB403_520 Depth=1
	v_lshrrev_b32_e32 v9, 3, v3
	v_cmp_gt_u32_e64 s0, 8, v3
	v_dual_mov_b32 v3, v1 :: v_dual_mov_b32 v2, v0
	s_delay_alu instid0(VALU_DEP_2)
	s_and_saveexec_b32 s17, s0
; %bb.1077:                             ;   in Loop: Header=BB403_520 Depth=1
	v_and_b32_e32 v2, 7, v0
	s_delay_alu instid0(VALU_DEP_1) | instskip(NEXT) | instid1(VALU_DEP_1)
	v_clz_i32_u32_e32 v2, v2
	v_min_u32_e32 v9, 32, v2
	s_delay_alu instid0(VALU_DEP_1) | instskip(SKIP_1) | instid1(VALU_DEP_2)
	v_subrev_nc_u32_e32 v2, 28, v9
	v_sub_nc_u32_e32 v9, 29, v9
	v_lshlrev_b64 v[2:3], v2, v[0:1]
; %bb.1078:                             ;   in Loop: Header=BB403_520 Depth=1
	s_or_b32 exec_lo, exec_lo, s17
	s_delay_alu instid0(VALU_DEP_1) | instskip(SKIP_2) | instid1(VALU_DEP_3)
	v_lshlrev_b32_e32 v2, 20, v2
	v_lshlrev_b32_e32 v3, 24, v0
	v_lshl_add_u32 v9, v9, 23, 0x3c000000
	v_and_b32_e32 v2, 0x700000, v2
	s_delay_alu instid0(VALU_DEP_3) | instskip(NEXT) | instid1(VALU_DEP_1)
	v_and_b32_e32 v3, 0x80000000, v3
	v_or3_b32 v2, v2, v3, v9
.LBB403_1079:                           ;   in Loop: Header=BB403_520 Depth=1
	s_or_b32 exec_lo, exec_lo, s15
.LBB403_1080:                           ;   in Loop: Header=BB403_520 Depth=1
	s_delay_alu instid0(SALU_CYCLE_1)
	s_or_b32 exec_lo, exec_lo, s13
.LBB403_1081:                           ;   in Loop: Header=BB403_520 Depth=1
	s_delay_alu instid0(SALU_CYCLE_1) | instskip(NEXT) | instid1(VALU_DEP_1)
	s_or_b32 exec_lo, exec_lo, s12
	v_mul_f32_e32 v2, v8, v2
                                        ; implicit-def: $vgpr145
	s_delay_alu instid0(VALU_DEP_1) | instskip(NEXT) | instid1(VALU_DEP_1)
	v_and_b32_e32 v3, 0x7f800000, v2
	v_cmp_ne_u32_e64 s0, 0x7f800000, v3
	s_delay_alu instid0(VALU_DEP_1) | instskip(NEXT) | instid1(SALU_CYCLE_1)
	s_and_saveexec_b32 s12, s0
	s_xor_b32 s0, exec_lo, s12
; %bb.1082:                             ;   in Loop: Header=BB403_520 Depth=1
	v_bfe_u32 v3, v2, 16, 1
	s_delay_alu instid0(VALU_DEP_1)
	v_add3_u32 v145, v2, v3, 0x7fff
                                        ; implicit-def: $vgpr2
; %bb.1083:                             ;   in Loop: Header=BB403_520 Depth=1
	s_and_not1_saveexec_b32 s12, s0
; %bb.1084:                             ;   in Loop: Header=BB403_520 Depth=1
	v_and_b32_e32 v3, 0xffff, v2
	v_or_b32_e32 v9, 0x10000, v2
	s_delay_alu instid0(VALU_DEP_2) | instskip(NEXT) | instid1(VALU_DEP_1)
	v_cmp_eq_u32_e64 s0, 0, v3
	v_cndmask_b32_e64 v145, v9, v2, s0
; %bb.1085:                             ;   in Loop: Header=BB403_520 Depth=1
	s_or_b32 exec_lo, exec_lo, s12
	v_lshrrev_b16 v3, 8, v0
	v_mov_b32_e32 v2, 0
	s_mov_b32 s12, exec_lo
	s_delay_alu instid0(VALU_DEP_2)
	v_cmpx_ne_u16_e32 0, v3
	s_cbranch_execz .LBB403_1093
; %bb.1086:                             ;   in Loop: Header=BB403_520 Depth=1
	v_bfrev_b32_e32 v2, 1
	s_mov_b32 s13, exec_lo
	v_cmpx_ne_u16_e32 0x80, v3
	s_cbranch_execz .LBB403_1092
; %bb.1087:                             ;   in Loop: Header=BB403_520 Depth=1
	v_and_b32_e32 v9, 0xffff, v3
	v_mov_b32_e32 v2, 0x7f800001
	s_mov_b32 s15, exec_lo
	s_delay_alu instid0(VALU_DEP_2) | instskip(NEXT) | instid1(VALU_DEP_1)
	v_and_b32_e32 v3, 0x7f, v9
	v_cmpx_ne_u32_e32 0x7f, v3
	s_cbranch_execz .LBB403_1091
; %bb.1088:                             ;   in Loop: Header=BB403_520 Depth=1
	v_and_b32_e32 v9, 7, v9
	v_lshrrev_b32_e32 v2, 3, v3
	s_mov_b32 s17, exec_lo
	v_cmpx_gt_u32_e32 8, v3
; %bb.1089:                             ;   in Loop: Header=BB403_520 Depth=1
	s_delay_alu instid0(VALU_DEP_3) | instskip(NEXT) | instid1(VALU_DEP_1)
	v_clz_i32_u32_e32 v2, v9
	v_min_u32_e32 v2, 32, v2
	s_delay_alu instid0(VALU_DEP_1) | instskip(SKIP_1) | instid1(VALU_DEP_2)
	v_subrev_nc_u32_e32 v3, 28, v2
	v_sub_nc_u32_e32 v2, 29, v2
	v_lshlrev_b64 v[146:147], v3, v[9:10]
	s_delay_alu instid0(VALU_DEP_1)
	v_and_b32_e32 v9, 7, v146
; %bb.1090:                             ;   in Loop: Header=BB403_520 Depth=1
	s_or_b32 exec_lo, exec_lo, s17
	v_lshlrev_b32_e32 v3, 16, v0
	s_delay_alu instid0(VALU_DEP_2) | instskip(SKIP_1) | instid1(VALU_DEP_3)
	v_lshlrev_b32_e32 v9, 20, v9
	v_lshl_add_u32 v2, v2, 23, 0x3c000000
	v_and_b32_e32 v3, 0x80000000, v3
	s_delay_alu instid0(VALU_DEP_1)
	v_or3_b32 v2, v9, v3, v2
.LBB403_1091:                           ;   in Loop: Header=BB403_520 Depth=1
	s_or_b32 exec_lo, exec_lo, s15
.LBB403_1092:                           ;   in Loop: Header=BB403_520 Depth=1
	s_delay_alu instid0(SALU_CYCLE_1)
	s_or_b32 exec_lo, exec_lo, s13
.LBB403_1093:                           ;   in Loop: Header=BB403_520 Depth=1
	s_delay_alu instid0(SALU_CYCLE_1) | instskip(NEXT) | instid1(VALU_DEP_1)
	s_or_b32 exec_lo, exec_lo, s12
	v_mul_f32_e32 v2, v8, v2
                                        ; implicit-def: $vgpr146
	s_delay_alu instid0(VALU_DEP_1) | instskip(NEXT) | instid1(VALU_DEP_1)
	v_and_b32_e32 v3, 0x7f800000, v2
	v_cmp_ne_u32_e64 s0, 0x7f800000, v3
	s_delay_alu instid0(VALU_DEP_1) | instskip(NEXT) | instid1(SALU_CYCLE_1)
	s_and_saveexec_b32 s12, s0
	s_xor_b32 s0, exec_lo, s12
; %bb.1094:                             ;   in Loop: Header=BB403_520 Depth=1
	v_bfe_u32 v3, v2, 16, 1
	s_delay_alu instid0(VALU_DEP_1)
	v_add3_u32 v146, v2, v3, 0x7fff
                                        ; implicit-def: $vgpr2
; %bb.1095:                             ;   in Loop: Header=BB403_520 Depth=1
	s_and_not1_saveexec_b32 s12, s0
; %bb.1096:                             ;   in Loop: Header=BB403_520 Depth=1
	v_and_b32_e32 v3, 0xffff, v2
	v_or_b32_e32 v9, 0x10000, v2
	s_delay_alu instid0(VALU_DEP_2) | instskip(NEXT) | instid1(VALU_DEP_1)
	v_cmp_eq_u32_e64 s0, 0, v3
	v_cndmask_b32_e64 v146, v9, v2, s0
; %bb.1097:                             ;   in Loop: Header=BB403_520 Depth=1
	s_or_b32 exec_lo, exec_lo, s12
	v_lshrrev_b32_e32 v2, 16, v0
	v_mov_b32_e32 v3, 0
	s_mov_b32 s12, exec_lo
	s_delay_alu instid0(VALU_DEP_2) | instskip(NEXT) | instid1(VALU_DEP_1)
	v_and_b32_e32 v9, 0xff, v2
	v_cmpx_ne_u16_e32 0, v9
	s_cbranch_execz .LBB403_1105
; %bb.1098:                             ;   in Loop: Header=BB403_520 Depth=1
	v_bfrev_b32_e32 v3, 1
	s_mov_b32 s13, exec_lo
	v_cmpx_ne_u16_e32 0x80, v9
	s_cbranch_execz .LBB403_1104
; %bb.1099:                             ;   in Loop: Header=BB403_520 Depth=1
	v_bfe_u32 v147, v0, 16, 7
	v_mov_b32_e32 v3, 0x7f800001
	s_mov_b32 s15, exec_lo
	s_delay_alu instid0(VALU_DEP_2)
	v_cmpx_ne_u32_e32 0x7f, v147
	s_cbranch_execz .LBB403_1103
; %bb.1100:                             ;   in Loop: Header=BB403_520 Depth=1
	v_and_b32_e32 v9, 7, v2
	v_lshrrev_b32_e32 v3, 3, v147
	s_mov_b32 s17, exec_lo
	v_cmpx_gt_u32_e32 8, v147
; %bb.1101:                             ;   in Loop: Header=BB403_520 Depth=1
	s_delay_alu instid0(VALU_DEP_3) | instskip(NEXT) | instid1(VALU_DEP_1)
	v_clz_i32_u32_e32 v3, v9
	v_min_u32_e32 v3, 32, v3
	s_delay_alu instid0(VALU_DEP_1) | instskip(SKIP_1) | instid1(VALU_DEP_2)
	v_subrev_nc_u32_e32 v147, 28, v3
	v_sub_nc_u32_e32 v3, 29, v3
	v_lshlrev_b64 v[147:148], v147, v[9:10]
	s_delay_alu instid0(VALU_DEP_1)
	v_and_b32_e32 v9, 7, v147
; %bb.1102:                             ;   in Loop: Header=BB403_520 Depth=1
	s_or_b32 exec_lo, exec_lo, s17
	v_lshlrev_b32_e32 v2, 24, v2
	s_delay_alu instid0(VALU_DEP_2) | instskip(SKIP_1) | instid1(VALU_DEP_3)
	v_lshlrev_b32_e32 v9, 20, v9
	v_lshl_add_u32 v3, v3, 23, 0x3c000000
	v_and_b32_e32 v2, 0x80000000, v2
	s_delay_alu instid0(VALU_DEP_1)
	v_or3_b32 v3, v9, v2, v3
.LBB403_1103:                           ;   in Loop: Header=BB403_520 Depth=1
	s_or_b32 exec_lo, exec_lo, s15
.LBB403_1104:                           ;   in Loop: Header=BB403_520 Depth=1
	s_delay_alu instid0(SALU_CYCLE_1)
	s_or_b32 exec_lo, exec_lo, s13
.LBB403_1105:                           ;   in Loop: Header=BB403_520 Depth=1
	s_delay_alu instid0(SALU_CYCLE_1) | instskip(NEXT) | instid1(VALU_DEP_1)
	s_or_b32 exec_lo, exec_lo, s12
	v_mul_f32_e32 v2, v8, v3
                                        ; implicit-def: $vgpr147
	s_delay_alu instid0(VALU_DEP_1) | instskip(NEXT) | instid1(VALU_DEP_1)
	v_and_b32_e32 v3, 0x7f800000, v2
	v_cmp_ne_u32_e64 s0, 0x7f800000, v3
	s_delay_alu instid0(VALU_DEP_1) | instskip(NEXT) | instid1(SALU_CYCLE_1)
	s_and_saveexec_b32 s12, s0
	s_xor_b32 s0, exec_lo, s12
; %bb.1106:                             ;   in Loop: Header=BB403_520 Depth=1
	v_bfe_u32 v3, v2, 16, 1
	s_delay_alu instid0(VALU_DEP_1)
	v_add3_u32 v147, v2, v3, 0x7fff
                                        ; implicit-def: $vgpr2
; %bb.1107:                             ;   in Loop: Header=BB403_520 Depth=1
	s_and_not1_saveexec_b32 s12, s0
; %bb.1108:                             ;   in Loop: Header=BB403_520 Depth=1
	v_and_b32_e32 v3, 0xffff, v2
	v_or_b32_e32 v9, 0x10000, v2
	s_delay_alu instid0(VALU_DEP_2) | instskip(NEXT) | instid1(VALU_DEP_1)
	v_cmp_eq_u32_e64 s0, 0, v3
	v_cndmask_b32_e64 v147, v9, v2, s0
; %bb.1109:                             ;   in Loop: Header=BB403_520 Depth=1
	s_or_b32 exec_lo, exec_lo, s12
	v_mov_b32_e32 v3, 0
	s_mov_b32 s12, exec_lo
	v_cmpx_lt_u32_e32 0xffffff, v0
	s_cbranch_execz .LBB403_1117
; %bb.1110:                             ;   in Loop: Header=BB403_520 Depth=1
	v_lshrrev_b32_e32 v2, 24, v0
	v_bfrev_b32_e32 v3, 1
	s_mov_b32 s13, exec_lo
	s_delay_alu instid0(VALU_DEP_2)
	v_cmpx_ne_u32_e32 0x80, v2
	s_cbranch_execz .LBB403_1116
; %bb.1111:                             ;   in Loop: Header=BB403_520 Depth=1
	v_bfe_u32 v148, v0, 24, 7
	v_mov_b32_e32 v3, 0x7f800001
	s_mov_b32 s15, exec_lo
	s_delay_alu instid0(VALU_DEP_2)
	v_cmpx_ne_u32_e32 0x7f, v148
	s_cbranch_execz .LBB403_1115
; %bb.1112:                             ;   in Loop: Header=BB403_520 Depth=1
	v_and_b32_e32 v9, 7, v2
	v_lshrrev_b32_e32 v3, 3, v148
	s_mov_b32 s17, exec_lo
	v_cmpx_gt_u32_e32 8, v148
; %bb.1113:                             ;   in Loop: Header=BB403_520 Depth=1
	s_delay_alu instid0(VALU_DEP_3) | instskip(NEXT) | instid1(VALU_DEP_1)
	v_clz_i32_u32_e32 v3, v9
	v_min_u32_e32 v3, 32, v3
	s_delay_alu instid0(VALU_DEP_1) | instskip(SKIP_1) | instid1(VALU_DEP_2)
	v_subrev_nc_u32_e32 v148, 28, v3
	v_sub_nc_u32_e32 v3, 29, v3
	v_lshlrev_b64 v[148:149], v148, v[9:10]
	s_delay_alu instid0(VALU_DEP_1)
	v_and_b32_e32 v9, 7, v148
; %bb.1114:                             ;   in Loop: Header=BB403_520 Depth=1
	s_or_b32 exec_lo, exec_lo, s17
	v_lshlrev_b32_e32 v2, 24, v2
	s_delay_alu instid0(VALU_DEP_2) | instskip(SKIP_1) | instid1(VALU_DEP_3)
	v_lshlrev_b32_e32 v9, 20, v9
	v_lshl_add_u32 v3, v3, 23, 0x3c000000
	v_and_b32_e32 v2, 0x80000000, v2
	s_delay_alu instid0(VALU_DEP_1)
	v_or3_b32 v3, v9, v2, v3
.LBB403_1115:                           ;   in Loop: Header=BB403_520 Depth=1
	s_or_b32 exec_lo, exec_lo, s15
.LBB403_1116:                           ;   in Loop: Header=BB403_520 Depth=1
	s_delay_alu instid0(SALU_CYCLE_1)
	s_or_b32 exec_lo, exec_lo, s13
.LBB403_1117:                           ;   in Loop: Header=BB403_520 Depth=1
	s_delay_alu instid0(SALU_CYCLE_1) | instskip(NEXT) | instid1(VALU_DEP_1)
	s_or_b32 exec_lo, exec_lo, s12
	v_mul_f32_e32 v2, v8, v3
                                        ; implicit-def: $vgpr148
	s_delay_alu instid0(VALU_DEP_1) | instskip(NEXT) | instid1(VALU_DEP_1)
	v_and_b32_e32 v3, 0x7f800000, v2
	v_cmp_ne_u32_e64 s0, 0x7f800000, v3
	s_delay_alu instid0(VALU_DEP_1) | instskip(NEXT) | instid1(SALU_CYCLE_1)
	s_and_saveexec_b32 s12, s0
	s_xor_b32 s0, exec_lo, s12
; %bb.1118:                             ;   in Loop: Header=BB403_520 Depth=1
	v_bfe_u32 v3, v2, 16, 1
	s_delay_alu instid0(VALU_DEP_1)
	v_add3_u32 v148, v2, v3, 0x7fff
                                        ; implicit-def: $vgpr2
; %bb.1119:                             ;   in Loop: Header=BB403_520 Depth=1
	s_and_not1_saveexec_b32 s12, s0
; %bb.1120:                             ;   in Loop: Header=BB403_520 Depth=1
	v_and_b32_e32 v3, 0xffff, v2
	v_or_b32_e32 v9, 0x10000, v2
	s_delay_alu instid0(VALU_DEP_2) | instskip(NEXT) | instid1(VALU_DEP_1)
	v_cmp_eq_u32_e64 s0, 0, v3
	v_cndmask_b32_e64 v148, v9, v2, s0
; %bb.1121:                             ;   in Loop: Header=BB403_520 Depth=1
	s_or_b32 exec_lo, exec_lo, s12
	v_dual_mov_b32 v2, 0 :: v_dual_and_b32 v3, 0xff, v1
	v_mov_b32_e32 v9, v1
	s_mov_b32 s12, exec_lo
	s_delay_alu instid0(VALU_DEP_2)
	v_cmpx_ne_u16_e32 0, v3
	s_cbranch_execz .LBB403_1129
; %bb.1122:                             ;   in Loop: Header=BB403_520 Depth=1
	v_bfrev_b32_e32 v2, 1
	s_mov_b32 s13, exec_lo
	v_cmpx_ne_u16_e32 0x80, v3
	s_cbranch_execz .LBB403_1128
; %bb.1123:                             ;   in Loop: Header=BB403_520 Depth=1
	v_and_b32_e32 v3, 0x7f, v1
	v_mov_b32_e32 v2, 0x7f800001
	s_mov_b32 s15, exec_lo
	s_delay_alu instid0(VALU_DEP_2)
	v_cmpx_ne_u32_e32 0x7f, v3
	s_cbranch_execz .LBB403_1127
; %bb.1124:                             ;   in Loop: Header=BB403_520 Depth=1
	v_lshrrev_b32_e32 v149, 3, v3
	v_cmp_gt_u32_e64 s0, 8, v3
	v_dual_mov_b32 v2, v9 :: v_dual_mov_b32 v3, v10
	s_delay_alu instid0(VALU_DEP_2)
	s_and_saveexec_b32 s17, s0
; %bb.1125:                             ;   in Loop: Header=BB403_520 Depth=1
	v_and_b32_e32 v2, 7, v1
	s_delay_alu instid0(VALU_DEP_1) | instskip(NEXT) | instid1(VALU_DEP_1)
	v_clz_i32_u32_e32 v2, v2
	v_min_u32_e32 v149, 32, v2
	s_delay_alu instid0(VALU_DEP_1) | instskip(SKIP_1) | instid1(VALU_DEP_2)
	v_subrev_nc_u32_e32 v2, 28, v149
	v_sub_nc_u32_e32 v149, 29, v149
	v_lshlrev_b64 v[2:3], v2, v[9:10]
; %bb.1126:                             ;   in Loop: Header=BB403_520 Depth=1
	s_or_b32 exec_lo, exec_lo, s17
	s_delay_alu instid0(VALU_DEP_1) | instskip(SKIP_2) | instid1(VALU_DEP_3)
	v_lshlrev_b32_e32 v2, 20, v2
	v_lshlrev_b32_e32 v3, 24, v9
	v_lshl_add_u32 v149, v149, 23, 0x3c000000
	v_and_b32_e32 v2, 0x700000, v2
	s_delay_alu instid0(VALU_DEP_3) | instskip(NEXT) | instid1(VALU_DEP_1)
	v_and_b32_e32 v3, 0x80000000, v3
	v_or3_b32 v2, v2, v3, v149
.LBB403_1127:                           ;   in Loop: Header=BB403_520 Depth=1
	s_or_b32 exec_lo, exec_lo, s15
.LBB403_1128:                           ;   in Loop: Header=BB403_520 Depth=1
	s_delay_alu instid0(SALU_CYCLE_1)
	s_or_b32 exec_lo, exec_lo, s13
.LBB403_1129:                           ;   in Loop: Header=BB403_520 Depth=1
	s_delay_alu instid0(SALU_CYCLE_1) | instskip(NEXT) | instid1(VALU_DEP_1)
	s_or_b32 exec_lo, exec_lo, s12
	v_mul_f32_e32 v2, v8, v2
                                        ; implicit-def: $vgpr149
	s_delay_alu instid0(VALU_DEP_1) | instskip(NEXT) | instid1(VALU_DEP_1)
	v_and_b32_e32 v3, 0x7f800000, v2
	v_cmp_ne_u32_e64 s0, 0x7f800000, v3
	s_delay_alu instid0(VALU_DEP_1) | instskip(NEXT) | instid1(SALU_CYCLE_1)
	s_and_saveexec_b32 s12, s0
	s_xor_b32 s0, exec_lo, s12
; %bb.1130:                             ;   in Loop: Header=BB403_520 Depth=1
	v_bfe_u32 v3, v2, 16, 1
	s_delay_alu instid0(VALU_DEP_1)
	v_add3_u32 v149, v2, v3, 0x7fff
                                        ; implicit-def: $vgpr2
; %bb.1131:                             ;   in Loop: Header=BB403_520 Depth=1
	s_and_not1_saveexec_b32 s12, s0
; %bb.1132:                             ;   in Loop: Header=BB403_520 Depth=1
	v_and_b32_e32 v3, 0xffff, v2
	v_or_b32_e32 v149, 0x10000, v2
	s_delay_alu instid0(VALU_DEP_2) | instskip(NEXT) | instid1(VALU_DEP_1)
	v_cmp_eq_u32_e64 s0, 0, v3
	v_cndmask_b32_e64 v149, v149, v2, s0
; %bb.1133:                             ;   in Loop: Header=BB403_520 Depth=1
	s_or_b32 exec_lo, exec_lo, s12
	v_lshrrev_b16 v3, 8, v9
	v_mov_b32_e32 v2, 0
	s_mov_b32 s12, exec_lo
	s_delay_alu instid0(VALU_DEP_2)
	v_cmpx_ne_u16_e32 0, v3
	s_cbranch_execz .LBB403_1141
; %bb.1134:                             ;   in Loop: Header=BB403_520 Depth=1
	v_bfrev_b32_e32 v2, 1
	s_mov_b32 s13, exec_lo
	v_cmpx_ne_u16_e32 0x80, v3
	s_cbranch_execz .LBB403_1140
; %bb.1135:                             ;   in Loop: Header=BB403_520 Depth=1
	v_and_b32_e32 v3, 0xffff, v3
	v_mov_b32_e32 v2, 0x7f800001
	s_mov_b32 s15, exec_lo
	s_delay_alu instid0(VALU_DEP_2) | instskip(NEXT) | instid1(VALU_DEP_1)
	v_and_b32_e32 v151, 0x7f, v3
	v_cmpx_ne_u32_e32 0x7f, v151
	s_cbranch_execz .LBB403_1139
; %bb.1136:                             ;   in Loop: Header=BB403_520 Depth=1
	v_dual_mov_b32 v3, v10 :: v_dual_and_b32 v2, 7, v3
	v_lshrrev_b32_e32 v150, 3, v151
	s_mov_b32 s17, exec_lo
	v_cmpx_gt_u32_e32 8, v151
; %bb.1137:                             ;   in Loop: Header=BB403_520 Depth=1
	s_delay_alu instid0(VALU_DEP_3) | instskip(NEXT) | instid1(VALU_DEP_1)
	v_clz_i32_u32_e32 v150, v2
	v_min_u32_e32 v150, 32, v150
	s_delay_alu instid0(VALU_DEP_1) | instskip(SKIP_1) | instid1(VALU_DEP_2)
	v_subrev_nc_u32_e32 v151, 28, v150
	v_sub_nc_u32_e32 v150, 29, v150
	v_lshlrev_b64 v[2:3], v151, v[2:3]
	s_delay_alu instid0(VALU_DEP_1)
	v_and_b32_e32 v2, 7, v2
; %bb.1138:                             ;   in Loop: Header=BB403_520 Depth=1
	s_or_b32 exec_lo, exec_lo, s17
	v_lshlrev_b32_e32 v3, 16, v9
	s_delay_alu instid0(VALU_DEP_2) | instskip(SKIP_1) | instid1(VALU_DEP_3)
	v_lshlrev_b32_e32 v2, 20, v2
	v_lshl_add_u32 v9, v150, 23, 0x3c000000
	v_and_b32_e32 v3, 0x80000000, v3
	s_delay_alu instid0(VALU_DEP_1)
	v_or3_b32 v2, v2, v3, v9
.LBB403_1139:                           ;   in Loop: Header=BB403_520 Depth=1
	s_or_b32 exec_lo, exec_lo, s15
.LBB403_1140:                           ;   in Loop: Header=BB403_520 Depth=1
	s_delay_alu instid0(SALU_CYCLE_1)
	s_or_b32 exec_lo, exec_lo, s13
.LBB403_1141:                           ;   in Loop: Header=BB403_520 Depth=1
	s_delay_alu instid0(SALU_CYCLE_1) | instskip(NEXT) | instid1(VALU_DEP_1)
	s_or_b32 exec_lo, exec_lo, s12
	v_mul_f32_e32 v3, v8, v2
	s_delay_alu instid0(VALU_DEP_1) | instskip(NEXT) | instid1(VALU_DEP_1)
	v_and_b32_e32 v2, 0x7f800000, v3
	v_cmp_ne_u32_e64 s0, 0x7f800000, v2
                                        ; implicit-def: $vgpr2
	s_delay_alu instid0(VALU_DEP_1) | instskip(NEXT) | instid1(SALU_CYCLE_1)
	s_and_saveexec_b32 s12, s0
	s_xor_b32 s0, exec_lo, s12
; %bb.1142:                             ;   in Loop: Header=BB403_520 Depth=1
	v_bfe_u32 v2, v3, 16, 1
	s_delay_alu instid0(VALU_DEP_1)
	v_add3_u32 v2, v3, v2, 0x7fff
                                        ; implicit-def: $vgpr3
; %bb.1143:                             ;   in Loop: Header=BB403_520 Depth=1
	s_and_not1_saveexec_b32 s12, s0
; %bb.1144:                             ;   in Loop: Header=BB403_520 Depth=1
	v_and_b32_e32 v2, 0xffff, v3
	v_or_b32_e32 v9, 0x10000, v3
	s_delay_alu instid0(VALU_DEP_2) | instskip(NEXT) | instid1(VALU_DEP_1)
	v_cmp_eq_u32_e64 s0, 0, v2
	v_cndmask_b32_e64 v2, v9, v3, s0
; %bb.1145:                             ;   in Loop: Header=BB403_520 Depth=1
	s_or_b32 exec_lo, exec_lo, s12
	v_lshrrev_b32_e32 v3, 16, v1
	s_mov_b32 s12, exec_lo
	s_delay_alu instid0(VALU_DEP_1) | instskip(NEXT) | instid1(VALU_DEP_1)
	v_dual_mov_b32 v9, 0 :: v_dual_and_b32 v150, 0xff, v3
	v_cmpx_ne_u16_e64 0, v150
	s_cbranch_execz .LBB403_1153
; %bb.1146:                             ;   in Loop: Header=BB403_520 Depth=1
	v_bfrev_b32_e32 v9, 1
	s_mov_b32 s13, exec_lo
	v_cmpx_ne_u16_e64 0x80, v150
	s_cbranch_execz .LBB403_1152
; %bb.1147:                             ;   in Loop: Header=BB403_520 Depth=1
	v_bfe_u32 v151, v1, 16, 7
	v_mov_b32_e32 v9, 0x7f800001
	s_mov_b32 s15, exec_lo
	s_delay_alu instid0(VALU_DEP_2)
	v_cmpx_ne_u32_e32 0x7f, v151
	s_cbranch_execz .LBB403_1151
; %bb.1148:                             ;   in Loop: Header=BB403_520 Depth=1
	v_and_b32_e32 v9, 7, v3
	v_lshrrev_b32_e32 v150, 3, v151
	s_mov_b32 s17, exec_lo
	v_cmpx_gt_u32_e32 8, v151
; %bb.1149:                             ;   in Loop: Header=BB403_520 Depth=1
	s_delay_alu instid0(VALU_DEP_3) | instskip(NEXT) | instid1(VALU_DEP_1)
	v_clz_i32_u32_e32 v150, v9
	v_min_u32_e32 v150, 32, v150
	s_delay_alu instid0(VALU_DEP_1) | instskip(SKIP_1) | instid1(VALU_DEP_2)
	v_subrev_nc_u32_e32 v151, 28, v150
	v_sub_nc_u32_e32 v150, 29, v150
	v_lshlrev_b64 v[160:161], v151, v[9:10]
	s_delay_alu instid0(VALU_DEP_1)
	v_and_b32_e32 v9, 7, v160
; %bb.1150:                             ;   in Loop: Header=BB403_520 Depth=1
	s_or_b32 exec_lo, exec_lo, s17
	v_lshlrev_b32_e32 v3, 24, v3
	s_delay_alu instid0(VALU_DEP_2) | instskip(SKIP_1) | instid1(VALU_DEP_3)
	v_lshlrev_b32_e32 v9, 20, v9
	v_lshl_add_u32 v150, v150, 23, 0x3c000000
	v_and_b32_e32 v3, 0x80000000, v3
	s_delay_alu instid0(VALU_DEP_1)
	v_or3_b32 v9, v9, v3, v150
.LBB403_1151:                           ;   in Loop: Header=BB403_520 Depth=1
	s_or_b32 exec_lo, exec_lo, s15
.LBB403_1152:                           ;   in Loop: Header=BB403_520 Depth=1
	s_delay_alu instid0(SALU_CYCLE_1)
	s_or_b32 exec_lo, exec_lo, s13
.LBB403_1153:                           ;   in Loop: Header=BB403_520 Depth=1
	s_delay_alu instid0(SALU_CYCLE_1) | instskip(NEXT) | instid1(VALU_DEP_1)
	s_or_b32 exec_lo, exec_lo, s12
	v_mul_f32_e32 v9, v8, v9
	s_delay_alu instid0(VALU_DEP_1) | instskip(NEXT) | instid1(VALU_DEP_1)
	v_and_b32_e32 v3, 0x7f800000, v9
	v_cmp_ne_u32_e64 s0, 0x7f800000, v3
                                        ; implicit-def: $vgpr3
	s_delay_alu instid0(VALU_DEP_1) | instskip(NEXT) | instid1(SALU_CYCLE_1)
	s_and_saveexec_b32 s12, s0
	s_xor_b32 s0, exec_lo, s12
; %bb.1154:                             ;   in Loop: Header=BB403_520 Depth=1
	v_bfe_u32 v3, v9, 16, 1
	s_delay_alu instid0(VALU_DEP_1)
	v_add3_u32 v3, v9, v3, 0x7fff
                                        ; implicit-def: $vgpr9
; %bb.1155:                             ;   in Loop: Header=BB403_520 Depth=1
	s_and_not1_saveexec_b32 s12, s0
; %bb.1156:                             ;   in Loop: Header=BB403_520 Depth=1
	v_and_b32_e32 v3, 0xffff, v9
	v_or_b32_e32 v150, 0x10000, v9
	s_delay_alu instid0(VALU_DEP_2) | instskip(NEXT) | instid1(VALU_DEP_1)
	v_cmp_eq_u32_e64 s0, 0, v3
	v_cndmask_b32_e64 v3, v150, v9, s0
; %bb.1157:                             ;   in Loop: Header=BB403_520 Depth=1
	s_or_b32 exec_lo, exec_lo, s12
	v_mov_b32_e32 v9, 0
	s_mov_b32 s12, exec_lo
	v_cmpx_lt_u64_e64 s[8:9], v[0:1]
	s_cbranch_execz .LBB403_1165
; %bb.1158:                             ;   in Loop: Header=BB403_520 Depth=1
	v_lshrrev_b32_e32 v0, 24, v1
	v_bfrev_b32_e32 v9, 1
	s_mov_b32 s13, exec_lo
	s_delay_alu instid0(VALU_DEP_2)
	v_cmpx_ne_u32_e32 0x80, v0
	s_cbranch_execz .LBB403_1164
; %bb.1159:                             ;   in Loop: Header=BB403_520 Depth=1
	v_bfe_u32 v150, v1, 24, 7
	v_mov_b32_e32 v9, 0x7f800001
	s_mov_b32 s15, exec_lo
	s_delay_alu instid0(VALU_DEP_2)
	v_cmpx_ne_u32_e32 0x7f, v150
	s_cbranch_execz .LBB403_1163
; %bb.1160:                             ;   in Loop: Header=BB403_520 Depth=1
	v_and_b32_e32 v9, 7, v0
	v_lshrrev_b32_e32 v1, 3, v150
	s_mov_b32 s17, exec_lo
	v_cmpx_gt_u32_e32 8, v150
; %bb.1161:                             ;   in Loop: Header=BB403_520 Depth=1
	s_delay_alu instid0(VALU_DEP_3) | instskip(NEXT) | instid1(VALU_DEP_1)
	v_clz_i32_u32_e32 v1, v9
	v_min_u32_e32 v1, 32, v1
	s_delay_alu instid0(VALU_DEP_1) | instskip(SKIP_1) | instid1(VALU_DEP_2)
	v_subrev_nc_u32_e32 v150, 28, v1
	v_sub_nc_u32_e32 v1, 29, v1
	v_lshlrev_b64 v[150:151], v150, v[9:10]
	s_delay_alu instid0(VALU_DEP_1)
	v_and_b32_e32 v9, 7, v150
; %bb.1162:                             ;   in Loop: Header=BB403_520 Depth=1
	s_or_b32 exec_lo, exec_lo, s17
	v_lshlrev_b32_e32 v0, 24, v0
	s_delay_alu instid0(VALU_DEP_2) | instskip(SKIP_1) | instid1(VALU_DEP_3)
	v_lshlrev_b32_e32 v9, 20, v9
	v_lshl_add_u32 v1, v1, 23, 0x3c000000
	v_and_b32_e32 v0, 0x80000000, v0
	s_delay_alu instid0(VALU_DEP_1)
	v_or3_b32 v9, v9, v0, v1
.LBB403_1163:                           ;   in Loop: Header=BB403_520 Depth=1
	s_or_b32 exec_lo, exec_lo, s15
.LBB403_1164:                           ;   in Loop: Header=BB403_520 Depth=1
	s_delay_alu instid0(SALU_CYCLE_1)
	s_or_b32 exec_lo, exec_lo, s13
.LBB403_1165:                           ;   in Loop: Header=BB403_520 Depth=1
	s_delay_alu instid0(SALU_CYCLE_1) | instskip(NEXT) | instid1(VALU_DEP_1)
	s_or_b32 exec_lo, exec_lo, s12
	v_mul_f32_e32 v0, v8, v9
                                        ; implicit-def: $vgpr151
	s_delay_alu instid0(VALU_DEP_1) | instskip(NEXT) | instid1(VALU_DEP_1)
	v_and_b32_e32 v1, 0x7f800000, v0
	v_cmp_ne_u32_e64 s0, 0x7f800000, v1
	s_delay_alu instid0(VALU_DEP_1) | instskip(NEXT) | instid1(SALU_CYCLE_1)
	s_and_saveexec_b32 s12, s0
	s_xor_b32 s0, exec_lo, s12
; %bb.1166:                             ;   in Loop: Header=BB403_520 Depth=1
	v_bfe_u32 v1, v0, 16, 1
	s_delay_alu instid0(VALU_DEP_1)
	v_add3_u32 v151, v0, v1, 0x7fff
                                        ; implicit-def: $vgpr0
; %bb.1167:                             ;   in Loop: Header=BB403_520 Depth=1
	s_and_not1_saveexec_b32 s12, s0
; %bb.1168:                             ;   in Loop: Header=BB403_520 Depth=1
	v_and_b32_e32 v1, 0xffff, v0
	v_or_b32_e32 v8, 0x10000, v0
	s_delay_alu instid0(VALU_DEP_2) | instskip(NEXT) | instid1(VALU_DEP_1)
	v_cmp_eq_u32_e64 s0, 0, v1
	v_cndmask_b32_e64 v151, v8, v0, s0
; %bb.1169:                             ;   in Loop: Header=BB403_520 Depth=1
	s_or_b32 exec_lo, exec_lo, s12
	v_lshrrev_b32_e32 v150, 16, v2
	v_lshrrev_b32_e32 v149, 16, v149
	;; [unrolled: 1-line block ×8, first 2 shown]
	s_and_saveexec_b32 s0, vcc_lo
	s_cbranch_execz .LBB403_1171
; %bb.1170:                             ;   in Loop: Header=BB403_520 Depth=1
	v_cmp_lt_i32_e32 vcc_lo, v50, v71
	v_cndmask_b32_e32 v0, 0, v0, vcc_lo
	v_cmp_lt_i32_e32 vcc_lo, v66, v71
	v_cndmask_b32_e32 v1, 0, v1, vcc_lo
	;; [unrolled: 2-line block ×8, first 2 shown]
.LBB403_1171:                           ;   in Loop: Header=BB403_520 Depth=1
	s_or_b32 exec_lo, exec_lo, s0
	v_lshlrev_b32_e32 v0, 16, v0
	s_delay_alu instid0(VALU_DEP_1) | instskip(NEXT) | instid1(VALU_DEP_1)
	v_mul_f32_e32 v3, v67, v0
	v_and_b32_e32 v0, 0x7f800000, v3
	s_delay_alu instid0(VALU_DEP_1) | instskip(SKIP_1) | instid1(SALU_CYCLE_1)
	v_cmp_ne_u32_e32 vcc_lo, 0x7f800000, v0
                                        ; implicit-def: $vgpr0
	s_and_saveexec_b32 s0, vcc_lo
	s_xor_b32 s0, exec_lo, s0
; %bb.1172:                             ;   in Loop: Header=BB403_520 Depth=1
	v_bfe_u32 v0, v3, 16, 1
	s_delay_alu instid0(VALU_DEP_1)
	v_add3_u32 v0, v3, v0, 0x7fff
                                        ; implicit-def: $vgpr3
; %bb.1173:                             ;   in Loop: Header=BB403_520 Depth=1
	s_and_not1_saveexec_b32 s0, s0
; %bb.1174:                             ;   in Loop: Header=BB403_520 Depth=1
	v_and_b32_e32 v0, 0xffff, v3
	v_or_b32_e32 v50, 0x10000, v3
	s_delay_alu instid0(VALU_DEP_2) | instskip(NEXT) | instid1(VALU_DEP_2)
	v_cmp_eq_u32_e32 vcc_lo, 0, v0
	v_cndmask_b32_e32 v0, v50, v3, vcc_lo
; %bb.1175:                             ;   in Loop: Header=BB403_520 Depth=1
	s_or_b32 exec_lo, exec_lo, s0
	v_lshlrev_b32_e32 v1, 16, v1
	s_delay_alu instid0(VALU_DEP_1) | instskip(NEXT) | instid1(VALU_DEP_1)
	v_mul_f32_e32 v3, v68, v1
	v_and_b32_e32 v1, 0x7f800000, v3
	s_delay_alu instid0(VALU_DEP_1) | instskip(SKIP_1) | instid1(SALU_CYCLE_1)
	v_cmp_ne_u32_e32 vcc_lo, 0x7f800000, v1
                                        ; implicit-def: $vgpr1
	s_and_saveexec_b32 s0, vcc_lo
	s_xor_b32 s0, exec_lo, s0
; %bb.1176:                             ;   in Loop: Header=BB403_520 Depth=1
	v_bfe_u32 v1, v3, 16, 1
	s_delay_alu instid0(VALU_DEP_1)
	v_add3_u32 v1, v3, v1, 0x7fff
                                        ; implicit-def: $vgpr3
; %bb.1177:                             ;   in Loop: Header=BB403_520 Depth=1
	s_and_not1_saveexec_b32 s0, s0
; %bb.1178:                             ;   in Loop: Header=BB403_520 Depth=1
	v_and_b32_e32 v1, 0xffff, v3
	v_or_b32_e32 v50, 0x10000, v3
	s_delay_alu instid0(VALU_DEP_2) | instskip(NEXT) | instid1(VALU_DEP_2)
	v_cmp_eq_u32_e32 vcc_lo, 0, v1
	v_cndmask_b32_e32 v1, v50, v3, vcc_lo
; %bb.1179:                             ;   in Loop: Header=BB403_520 Depth=1
	s_or_b32 exec_lo, exec_lo, s0
	v_lshlrev_b32_e32 v3, 16, v147
	s_delay_alu instid0(VALU_DEP_1) | instskip(NEXT) | instid1(VALU_DEP_1)
	v_mul_f32_e32 v50, v69, v3
	v_and_b32_e32 v3, 0x7f800000, v50
	s_delay_alu instid0(VALU_DEP_1) | instskip(SKIP_1) | instid1(SALU_CYCLE_1)
	v_cmp_ne_u32_e32 vcc_lo, 0x7f800000, v3
                                        ; implicit-def: $vgpr3
	s_and_saveexec_b32 s0, vcc_lo
	s_xor_b32 s0, exec_lo, s0
; %bb.1180:                             ;   in Loop: Header=BB403_520 Depth=1
	v_bfe_u32 v3, v50, 16, 1
	s_delay_alu instid0(VALU_DEP_1)
	v_add3_u32 v3, v50, v3, 0x7fff
                                        ; implicit-def: $vgpr50
; %bb.1181:                             ;   in Loop: Header=BB403_520 Depth=1
	s_and_not1_saveexec_b32 s0, s0
; %bb.1182:                             ;   in Loop: Header=BB403_520 Depth=1
	v_and_b32_e32 v3, 0xffff, v50
	v_or_b32_e32 v51, 0x10000, v50
	s_delay_alu instid0(VALU_DEP_2) | instskip(NEXT) | instid1(VALU_DEP_2)
	v_cmp_eq_u32_e32 vcc_lo, 0, v3
	v_cndmask_b32_e32 v3, v51, v50, vcc_lo
; %bb.1183:                             ;   in Loop: Header=BB403_520 Depth=1
	s_or_b32 exec_lo, exec_lo, s0
	v_lshlrev_b32_e32 v9, 16, v9
	s_delay_alu instid0(VALU_DEP_1) | instskip(NEXT) | instid1(VALU_DEP_1)
	v_mul_f32_e32 v50, v86, v9
	v_and_b32_e32 v9, 0x7f800000, v50
	s_delay_alu instid0(VALU_DEP_1) | instskip(SKIP_1) | instid1(SALU_CYCLE_1)
	v_cmp_ne_u32_e32 vcc_lo, 0x7f800000, v9
                                        ; implicit-def: $vgpr9
	s_and_saveexec_b32 s0, vcc_lo
	s_xor_b32 s0, exec_lo, s0
; %bb.1184:                             ;   in Loop: Header=BB403_520 Depth=1
	v_bfe_u32 v9, v50, 16, 1
	s_delay_alu instid0(VALU_DEP_1)
	v_add3_u32 v9, v50, v9, 0x7fff
                                        ; implicit-def: $vgpr50
; %bb.1185:                             ;   in Loop: Header=BB403_520 Depth=1
	s_and_not1_saveexec_b32 s0, s0
; %bb.1186:                             ;   in Loop: Header=BB403_520 Depth=1
	v_and_b32_e32 v9, 0xffff, v50
	v_or_b32_e32 v51, 0x10000, v50
	s_delay_alu instid0(VALU_DEP_2) | instskip(NEXT) | instid1(VALU_DEP_2)
	v_cmp_eq_u32_e32 vcc_lo, 0, v9
	v_cndmask_b32_e32 v9, v51, v50, vcc_lo
; %bb.1187:                             ;   in Loop: Header=BB403_520 Depth=1
	s_or_b32 exec_lo, exec_lo, s0
	v_lshlrev_b32_e32 v50, 16, v149
	s_delay_alu instid0(VALU_DEP_1) | instskip(NEXT) | instid1(VALU_DEP_1)
	v_mul_f32_e32 v51, v87, v50
	v_and_b32_e32 v50, 0x7f800000, v51
	s_delay_alu instid0(VALU_DEP_1) | instskip(SKIP_1) | instid1(SALU_CYCLE_1)
	v_cmp_ne_u32_e32 vcc_lo, 0x7f800000, v50
                                        ; implicit-def: $vgpr50
	s_and_saveexec_b32 s0, vcc_lo
	s_xor_b32 s0, exec_lo, s0
; %bb.1188:                             ;   in Loop: Header=BB403_520 Depth=1
	v_bfe_u32 v50, v51, 16, 1
	s_delay_alu instid0(VALU_DEP_1)
	v_add3_u32 v50, v51, v50, 0x7fff
                                        ; implicit-def: $vgpr51
; %bb.1189:                             ;   in Loop: Header=BB403_520 Depth=1
	s_and_not1_saveexec_b32 s0, s0
; %bb.1190:                             ;   in Loop: Header=BB403_520 Depth=1
	v_and_b32_e32 v50, 0xffff, v51
	v_or_b32_e32 v53, 0x10000, v51
	s_delay_alu instid0(VALU_DEP_2) | instskip(NEXT) | instid1(VALU_DEP_2)
	v_cmp_eq_u32_e32 vcc_lo, 0, v50
	v_cndmask_b32_e32 v50, v53, v51, vcc_lo
; %bb.1191:                             ;   in Loop: Header=BB403_520 Depth=1
	s_or_b32 exec_lo, exec_lo, s0
	v_lshlrev_b32_e32 v51, 16, v150
	s_delay_alu instid0(VALU_DEP_1) | instskip(NEXT) | instid1(VALU_DEP_1)
	v_mul_f32_e32 v53, v96, v51
	v_and_b32_e32 v51, 0x7f800000, v53
	s_delay_alu instid0(VALU_DEP_1) | instskip(SKIP_1) | instid1(SALU_CYCLE_1)
	v_cmp_ne_u32_e32 vcc_lo, 0x7f800000, v51
                                        ; implicit-def: $vgpr51
	s_and_saveexec_b32 s0, vcc_lo
	s_xor_b32 s0, exec_lo, s0
; %bb.1192:                             ;   in Loop: Header=BB403_520 Depth=1
	v_bfe_u32 v51, v53, 16, 1
	s_delay_alu instid0(VALU_DEP_1)
	v_add3_u32 v51, v53, v51, 0x7fff
                                        ; implicit-def: $vgpr53
; %bb.1193:                             ;   in Loop: Header=BB403_520 Depth=1
	s_and_not1_saveexec_b32 s0, s0
; %bb.1194:                             ;   in Loop: Header=BB403_520 Depth=1
	v_and_b32_e32 v51, 0xffff, v53
	v_or_b32_e32 v54, 0x10000, v53
	s_delay_alu instid0(VALU_DEP_2) | instskip(NEXT) | instid1(VALU_DEP_2)
	v_cmp_eq_u32_e32 vcc_lo, 0, v51
	v_cndmask_b32_e32 v51, v54, v53, vcc_lo
; %bb.1195:                             ;   in Loop: Header=BB403_520 Depth=1
	s_or_b32 exec_lo, exec_lo, s0
	v_lshlrev_b32_e32 v8, 16, v8
	s_delay_alu instid0(VALU_DEP_1) | instskip(NEXT) | instid1(VALU_DEP_1)
	v_mul_f32_e32 v53, v97, v8
	v_and_b32_e32 v8, 0x7f800000, v53
	s_delay_alu instid0(VALU_DEP_1) | instskip(SKIP_1) | instid1(SALU_CYCLE_1)
	v_cmp_ne_u32_e32 vcc_lo, 0x7f800000, v8
                                        ; implicit-def: $vgpr8
	s_and_saveexec_b32 s0, vcc_lo
	s_xor_b32 s0, exec_lo, s0
; %bb.1196:                             ;   in Loop: Header=BB403_520 Depth=1
	v_bfe_u32 v8, v53, 16, 1
	s_delay_alu instid0(VALU_DEP_1)
	v_add3_u32 v8, v53, v8, 0x7fff
                                        ; implicit-def: $vgpr53
; %bb.1197:                             ;   in Loop: Header=BB403_520 Depth=1
	s_and_not1_saveexec_b32 s0, s0
; %bb.1198:                             ;   in Loop: Header=BB403_520 Depth=1
	v_and_b32_e32 v8, 0xffff, v53
	v_or_b32_e32 v54, 0x10000, v53
	s_delay_alu instid0(VALU_DEP_2) | instskip(NEXT) | instid1(VALU_DEP_2)
	v_cmp_eq_u32_e32 vcc_lo, 0, v8
	v_cndmask_b32_e32 v8, v54, v53, vcc_lo
; %bb.1199:                             ;   in Loop: Header=BB403_520 Depth=1
	s_or_b32 exec_lo, exec_lo, s0
	v_lshlrev_b32_e32 v2, 16, v2
	s_delay_alu instid0(VALU_DEP_1) | instskip(NEXT) | instid1(VALU_DEP_1)
	v_mul_f32_e32 v53, v98, v2
	v_and_b32_e32 v2, 0x7f800000, v53
	s_delay_alu instid0(VALU_DEP_1) | instskip(SKIP_1) | instid1(SALU_CYCLE_1)
	v_cmp_ne_u32_e32 vcc_lo, 0x7f800000, v2
                                        ; implicit-def: $vgpr2
	s_and_saveexec_b32 s0, vcc_lo
	s_xor_b32 s0, exec_lo, s0
; %bb.1200:                             ;   in Loop: Header=BB403_520 Depth=1
	v_bfe_u32 v2, v53, 16, 1
	s_delay_alu instid0(VALU_DEP_1)
	v_add3_u32 v2, v53, v2, 0x7fff
                                        ; implicit-def: $vgpr53
; %bb.1201:                             ;   in Loop: Header=BB403_520 Depth=1
	s_and_not1_saveexec_b32 s0, s0
	s_cbranch_execz .LBB403_518
; %bb.1202:                             ;   in Loop: Header=BB403_520 Depth=1
	v_and_b32_e32 v2, 0xffff, v53
	v_or_b32_e32 v54, 0x10000, v53
	s_delay_alu instid0(VALU_DEP_2) | instskip(NEXT) | instid1(VALU_DEP_2)
	v_cmp_eq_u32_e32 vcc_lo, 0, v2
	v_cndmask_b32_e32 v2, v54, v53, vcc_lo
	s_branch .LBB403_518
.LBB403_1203:
	s_or_b32 exec_lo, exec_lo, s10
	s_load_b32 s0, s[2:3], 0x0
	s_waitcnt lgkmcnt(0)
	v_mov_b32_e32 v0, s0
.LBB403_1204:
	s_or_b32 exec_lo, exec_lo, s7
	ds_bpermute_b32 v2, v17, v25
	ds_bpermute_b32 v3, v17, v19
	;; [unrolled: 1-line block ×5, first 2 shown]
	v_and_b32_e32 v7, 0x3c1, v70
	v_lshrrev_b32_e32 v1, 1, v16
	v_mad_u32_u24 v8, 0x140, v21, v0
	s_waitcnt lgkmcnt(0)
	s_waitcnt_vscnt null, 0x0
	s_barrier
	buffer_gl0_inv
	v_add_f32_e32 v0, v25, v2
	v_add_f32_e32 v2, v18, v9
	v_cmp_eq_u32_e32 vcc_lo, 64, v7
	v_add_f32_e32 v7, v19, v3
	v_add_f32_e32 v3, v24, v6
	v_dual_add_f32 v6, v28, v10 :: v_dual_lshlrev_b32 v9, 2, v1
	s_and_saveexec_b32 s0, vcc_lo
	s_cbranch_execz .LBB403_1206
; %bb.1205:
	s_delay_alu instid0(VALU_DEP_1)
	v_add3_u32 v10, v8, v9, 0xfffffd80
	ds_store_2addr_b32 v10, v0, v7 offset1:16
	ds_store_2addr_b32 v10, v3, v2 offset0:32 offset1:48
	ds_store_b32 v10, v6 offset:256
.LBB403_1206:
	s_or_b32 exec_lo, exec_lo, s0
	v_cmp_eq_u32_e32 vcc_lo, 0, v80
	s_mov_b32 s2, exec_lo
	s_waitcnt lgkmcnt(0)
	s_barrier
	buffer_gl0_inv
	v_cmpx_gt_u32_e32 64, v70
	s_cbranch_execz .LBB403_1214
; %bb.1207:
	s_and_saveexec_b32 s0, vcc_lo
	s_cbranch_execnz .LBB403_1248
; %bb.1208:
	s_or_b32 exec_lo, exec_lo, s0
	s_and_saveexec_b32 s0, vcc_lo
	s_cbranch_execnz .LBB403_1249
.LBB403_1209:
	s_or_b32 exec_lo, exec_lo, s0
	s_and_saveexec_b32 s0, vcc_lo
	s_cbranch_execnz .LBB403_1250
.LBB403_1210:
	s_or_b32 exec_lo, exec_lo, s0
	s_and_saveexec_b32 s0, vcc_lo
	s_cbranch_execnz .LBB403_1251
.LBB403_1211:
	s_or_b32 exec_lo, exec_lo, s0
	s_and_saveexec_b32 s0, vcc_lo
	s_cbranch_execz .LBB403_1213
.LBB403_1212:
	v_lshl_add_u32 v10, v1, 2, v8
	ds_load_b32 v10, v10 offset:256
	s_waitcnt lgkmcnt(0)
	v_add_f32_e32 v6, v6, v10
.LBB403_1213:
	s_or_b32 exec_lo, exec_lo, s0
.LBB403_1214:
	s_delay_alu instid0(SALU_CYCLE_1)
	s_or_b32 exec_lo, exec_lo, s2
	v_and_b32_e32 v10, 0x3e1, v70
	s_mov_b32 s2, exec_lo
	s_barrier
	buffer_gl0_inv
	v_cmpx_eq_u32_e32 32, v10
	s_cbranch_execz .LBB403_1216
; %bb.1215:
	v_add3_u32 v9, v8, v9, 0xfffffec0
	ds_store_2addr_b32 v9, v0, v7 offset1:16
	ds_store_2addr_b32 v9, v3, v2 offset0:32 offset1:48
	ds_store_b32 v9, v6 offset:256
.LBB403_1216:
	s_or_b32 exec_lo, exec_lo, s2
	v_cmp_gt_u32_e64 s0, 32, v70
	s_waitcnt lgkmcnt(0)
	s_barrier
	buffer_gl0_inv
	s_and_saveexec_b32 s2, s0
	s_cbranch_execz .LBB403_1224
; %bb.1217:
	v_lshl_add_u32 v1, v1, 2, v8
	s_and_saveexec_b32 s3, vcc_lo
	s_cbranch_execnz .LBB403_1252
; %bb.1218:
	s_or_b32 exec_lo, exec_lo, s3
	s_and_saveexec_b32 s3, vcc_lo
	s_cbranch_execnz .LBB403_1253
.LBB403_1219:
	s_or_b32 exec_lo, exec_lo, s3
	s_and_saveexec_b32 s3, vcc_lo
	s_cbranch_execnz .LBB403_1254
.LBB403_1220:
	s_or_b32 exec_lo, exec_lo, s3
	s_and_saveexec_b32 s3, vcc_lo
	s_cbranch_execnz .LBB403_1255
.LBB403_1221:
	s_or_b32 exec_lo, exec_lo, s3
	s_and_saveexec_b32 s3, vcc_lo
	s_cbranch_execz .LBB403_1223
.LBB403_1222:
	ds_load_b32 v1, v1 offset:256
	s_waitcnt lgkmcnt(0)
	v_add_f32_e32 v6, v6, v1
.LBB403_1223:
	s_or_b32 exec_lo, exec_lo, s3
.LBB403_1224:
	s_delay_alu instid0(SALU_CYCLE_1)
	s_or_b32 exec_lo, exec_lo, s2
	s_barrier
	buffer_gl0_inv
	s_and_b32 exec_lo, exec_lo, s0
	s_cbranch_execz .LBB403_1247
; %bb.1225:
	s_and_b32 exec_lo, exec_lo, vcc_lo
	s_cbranch_execz .LBB403_1247
; %bb.1226:
	v_and_b32_e32 v1, 0x7f800000, v0
	s_mov_b32 s0, exec_lo
                                        ; implicit-def: $vgpr8
	s_delay_alu instid0(VALU_DEP_1)
	v_cmpx_ne_u32_e32 0x7f800000, v1
	s_xor_b32 s0, exec_lo, s0
; %bb.1227:
	v_bfe_u32 v1, v0, 16, 1
	s_delay_alu instid0(VALU_DEP_1)
	v_add3_u32 v8, v0, v1, 0x7fff
; %bb.1228:
	s_and_not1_saveexec_b32 s0, s0
; %bb.1229:
	v_and_b32_e32 v1, 0xffff, v0
	v_or_b32_e32 v8, 0x10000, v0
	s_delay_alu instid0(VALU_DEP_2) | instskip(NEXT) | instid1(VALU_DEP_2)
	v_cmp_eq_u32_e32 vcc_lo, 0, v1
	v_cndmask_b32_e32 v8, v8, v0, vcc_lo
; %bb.1230:
	s_or_b32 exec_lo, exec_lo, s0
	s_mul_i32 s2, s1, s4
	s_mul_i32 s0, s6, s1
	;; [unrolled: 1-line block ×5, first 2 shown]
	s_ashr_i32 s1, s0, 31
	s_ashr_i32 s3, s2, 31
	;; [unrolled: 1-line block ×3, first 2 shown]
	s_lshl_b64 s[0:1], s[0:1], 1
	s_lshl_b64 s[2:3], s[2:3], 1
	;; [unrolled: 1-line block ×3, first 2 shown]
	s_add_u32 s0, s2, s0
	s_addc_u32 s1, s3, s1
	s_add_u32 s0, s0, s6
	s_addc_u32 s1, s1, s7
	v_lshlrev_b32_e32 v0, 1, v39
	v_add_co_u32 v1, vcc_lo, s0, v4
	v_add_co_ci_u32_e32 v4, vcc_lo, s1, v5, vcc_lo
	v_and_b32_e32 v5, 0x7f800000, v7
	s_delay_alu instid0(VALU_DEP_3) | instskip(NEXT) | instid1(VALU_DEP_3)
	v_add_co_u32 v0, vcc_lo, v1, v0
	v_add_co_ci_u32_e32 v1, vcc_lo, 0, v4, vcc_lo
	s_mov_b32 s0, exec_lo
                                        ; implicit-def: $vgpr4
	flat_store_d16_hi_b16 v[0:1], v8
	v_cmpx_ne_u32_e32 0x7f800000, v5
	s_xor_b32 s0, exec_lo, s0
; %bb.1231:
	v_bfe_u32 v4, v7, 16, 1
	s_delay_alu instid0(VALU_DEP_1)
	v_add3_u32 v4, v7, v4, 0x7fff
; %bb.1232:
	s_and_not1_saveexec_b32 s0, s0
; %bb.1233:
	v_and_b32_e32 v4, 0xffff, v7
	v_or_b32_e32 v5, 0x10000, v7
	s_delay_alu instid0(VALU_DEP_2) | instskip(NEXT) | instid1(VALU_DEP_2)
	v_cmp_eq_u32_e32 vcc_lo, 0, v4
	v_cndmask_b32_e32 v4, v5, v7, vcc_lo
; %bb.1234:
	s_or_b32 exec_lo, exec_lo, s0
	v_and_b32_e32 v5, 0x7f800000, v3
	s_mov_b32 s0, exec_lo
	flat_store_d16_hi_b16 v[0:1], v4 offset:32
                                        ; implicit-def: $vgpr4
	v_cmpx_ne_u32_e32 0x7f800000, v5
	s_xor_b32 s0, exec_lo, s0
; %bb.1235:
	v_bfe_u32 v4, v3, 16, 1
	s_delay_alu instid0(VALU_DEP_1)
	v_add3_u32 v4, v3, v4, 0x7fff
; %bb.1236:
	s_and_not1_saveexec_b32 s0, s0
; %bb.1237:
	v_and_b32_e32 v4, 0xffff, v3
	v_or_b32_e32 v5, 0x10000, v3
	s_delay_alu instid0(VALU_DEP_2) | instskip(NEXT) | instid1(VALU_DEP_2)
	v_cmp_eq_u32_e32 vcc_lo, 0, v4
	v_cndmask_b32_e32 v4, v5, v3, vcc_lo
; %bb.1238:
	s_or_b32 exec_lo, exec_lo, s0
	v_and_b32_e32 v3, 0x7f800000, v2
	flat_store_d16_hi_b16 v[0:1], v4 offset:64
	v_cmp_ne_u32_e32 vcc_lo, 0x7f800000, v3
                                        ; implicit-def: $vgpr3
	s_and_saveexec_b32 s0, vcc_lo
	s_delay_alu instid0(SALU_CYCLE_1)
	s_xor_b32 s0, exec_lo, s0
; %bb.1239:
	v_bfe_u32 v3, v2, 16, 1
	s_delay_alu instid0(VALU_DEP_1)
	v_add3_u32 v3, v2, v3, 0x7fff
; %bb.1240:
	s_and_not1_saveexec_b32 s0, s0
; %bb.1241:
	v_and_b32_e32 v3, 0xffff, v2
	v_or_b32_e32 v4, 0x10000, v2
	s_delay_alu instid0(VALU_DEP_2) | instskip(NEXT) | instid1(VALU_DEP_2)
	v_cmp_eq_u32_e32 vcc_lo, 0, v3
	v_cndmask_b32_e32 v3, v4, v2, vcc_lo
; %bb.1242:
	s_or_b32 exec_lo, exec_lo, s0
	v_and_b32_e32 v2, 0x7f800000, v6
	s_mov_b32 s0, exec_lo
	flat_store_d16_hi_b16 v[0:1], v3 offset:96
                                        ; implicit-def: $vgpr7
	v_cmpx_ne_u32_e32 0x7f800000, v2
	s_xor_b32 s0, exec_lo, s0
; %bb.1243:
	v_bfe_u32 v2, v6, 16, 1
	s_delay_alu instid0(VALU_DEP_1)
	v_add3_u32 v7, v6, v2, 0x7fff
                                        ; implicit-def: $vgpr2_vgpr3_vgpr4_vgpr5_vgpr6
; %bb.1244:
	s_and_not1_saveexec_b32 s0, s0
; %bb.1245:
	v_and_b32_e32 v2, 0xffff, v6
	v_or_b32_e32 v3, 0x10000, v6
	s_delay_alu instid0(VALU_DEP_2) | instskip(NEXT) | instid1(VALU_DEP_2)
	v_cmp_eq_u32_e32 vcc_lo, 0, v2
	v_cndmask_b32_e32 v7, v3, v6, vcc_lo
; %bb.1246:
	s_or_b32 exec_lo, exec_lo, s0
	flat_store_d16_hi_b16 v[0:1], v7 offset:128
.LBB403_1247:
	s_or_b32 exec_lo, exec_lo, s5
	s_clause 0x18
	scratch_load_b32 v88, off, s32 offset:8
	scratch_load_b32 v79, off, s32 offset:12
	;; [unrolled: 1-line block ×25, first 2 shown]
	s_waitcnt vmcnt(0) lgkmcnt(0)
	s_setpc_b64 s[30:31]
.LBB403_1248:
	v_lshl_add_u32 v10, v1, 2, v8
	ds_load_b32 v10, v10
	s_waitcnt lgkmcnt(0)
	v_add_f32_e32 v0, v0, v10
	s_or_b32 exec_lo, exec_lo, s0
	s_and_saveexec_b32 s0, vcc_lo
	s_cbranch_execz .LBB403_1209
.LBB403_1249:
	v_lshl_add_u32 v10, v1, 2, v8
	ds_load_b32 v10, v10 offset:64
	s_waitcnt lgkmcnt(0)
	v_add_f32_e32 v7, v7, v10
	s_or_b32 exec_lo, exec_lo, s0
	s_and_saveexec_b32 s0, vcc_lo
	s_cbranch_execz .LBB403_1210
.LBB403_1250:
	v_lshl_add_u32 v10, v1, 2, v8
	ds_load_b32 v10, v10 offset:128
	s_waitcnt lgkmcnt(0)
	v_add_f32_e32 v3, v3, v10
	s_or_b32 exec_lo, exec_lo, s0
	s_and_saveexec_b32 s0, vcc_lo
	s_cbranch_execz .LBB403_1211
.LBB403_1251:
	v_lshl_add_u32 v10, v1, 2, v8
	ds_load_b32 v10, v10 offset:192
	s_waitcnt lgkmcnt(0)
	v_add_f32_e32 v2, v2, v10
	s_or_b32 exec_lo, exec_lo, s0
	s_and_saveexec_b32 s0, vcc_lo
	s_cbranch_execnz .LBB403_1212
	s_branch .LBB403_1213
.LBB403_1252:
	ds_load_b32 v8, v1
	s_waitcnt lgkmcnt(0)
	v_add_f32_e32 v0, v0, v8
	s_or_b32 exec_lo, exec_lo, s3
	s_and_saveexec_b32 s3, vcc_lo
	s_cbranch_execz .LBB403_1219
.LBB403_1253:
	ds_load_b32 v8, v1 offset:64
	s_waitcnt lgkmcnt(0)
	v_add_f32_e32 v7, v7, v8
	s_or_b32 exec_lo, exec_lo, s3
	s_and_saveexec_b32 s3, vcc_lo
	s_cbranch_execz .LBB403_1220
.LBB403_1254:
	ds_load_b32 v8, v1 offset:128
	s_waitcnt lgkmcnt(0)
	v_add_f32_e32 v3, v3, v8
	s_or_b32 exec_lo, exec_lo, s3
	s_and_saveexec_b32 s3, vcc_lo
	s_cbranch_execz .LBB403_1221
.LBB403_1255:
	ds_load_b32 v8, v1 offset:192
	s_waitcnt lgkmcnt(0)
	v_add_f32_e32 v2, v2, v8
	s_or_b32 exec_lo, exec_lo, s3
	s_and_saveexec_b32 s3, vcc_lo
	s_cbranch_execnz .LBB403_1222
	s_branch .LBB403_1223
.Lfunc_end403:
	.size	_ZN4vllm22paged_attention_kernelI14__hip_bfloat16hLi80ELi16ELi128ELNS_18Fp8KVCacheDataTypeE1ELb1ELi512EEEvPfS3_PT_PKS4_PKT0_SA_ifPKiSC_iPKfiiiSE_SE_iiiii, .Lfunc_end403-_ZN4vllm22paged_attention_kernelI14__hip_bfloat16hLi80ELi16ELi128ELNS_18Fp8KVCacheDataTypeE1ELb1ELi512EEEvPfS3_PT_PKS4_PKT0_SA_ifPKiSC_iPKfiiiSE_SE_iiiii
                                        ; -- End function
	.section	.AMDGPU.csdata,"",@progbits
; Function info:
; codeLenInByte = 39024
; NumSgprs: 35
; NumVgprs: 184
; ScratchSize: 112
; MemoryBound: 0
	.section	.text._ZN4vllm25paged_attention_v2_kernelI14__hip_bfloat16hLi80ELi16ELi128ELNS_18Fp8KVCacheDataTypeE1ELb1ELi512EEEvPfS3_PT_PKS4_PKT0_SA_ifPKiSC_iPKfiiiSE_SE_iiiii,"axG",@progbits,_ZN4vllm25paged_attention_v2_kernelI14__hip_bfloat16hLi80ELi16ELi128ELNS_18Fp8KVCacheDataTypeE1ELb1ELi512EEEvPfS3_PT_PKS4_PKT0_SA_ifPKiSC_iPKfiiiSE_SE_iiiii,comdat
	.protected	_ZN4vllm25paged_attention_v2_kernelI14__hip_bfloat16hLi80ELi16ELi128ELNS_18Fp8KVCacheDataTypeE1ELb1ELi512EEEvPfS3_PT_PKS4_PKT0_SA_ifPKiSC_iPKfiiiSE_SE_iiiii ; -- Begin function _ZN4vllm25paged_attention_v2_kernelI14__hip_bfloat16hLi80ELi16ELi128ELNS_18Fp8KVCacheDataTypeE1ELb1ELi512EEEvPfS3_PT_PKS4_PKT0_SA_ifPKiSC_iPKfiiiSE_SE_iiiii
	.globl	_ZN4vllm25paged_attention_v2_kernelI14__hip_bfloat16hLi80ELi16ELi128ELNS_18Fp8KVCacheDataTypeE1ELb1ELi512EEEvPfS3_PT_PKS4_PKT0_SA_ifPKiSC_iPKfiiiSE_SE_iiiii
	.p2align	8
	.type	_ZN4vllm25paged_attention_v2_kernelI14__hip_bfloat16hLi80ELi16ELi128ELNS_18Fp8KVCacheDataTypeE1ELb1ELi512EEEvPfS3_PT_PKS4_PKT0_SA_ifPKiSC_iPKfiiiSE_SE_iiiii,@function
_ZN4vllm25paged_attention_v2_kernelI14__hip_bfloat16hLi80ELi16ELi128ELNS_18Fp8KVCacheDataTypeE1ELb1ELi512EEEvPfS3_PT_PKS4_PKT0_SA_ifPKiSC_iPKfiiiSE_SE_iiiii: ; @_ZN4vllm25paged_attention_v2_kernelI14__hip_bfloat16hLi80ELi16ELi128ELNS_18Fp8KVCacheDataTypeE1ELb1ELi512EEEvPfS3_PT_PKS4_PKT0_SA_ifPKiSC_iPKfiiiSE_SE_iiiii
; %bb.0:
	s_mov_b32 s12, s13
	s_clause 0x7
	s_load_b128 s[4:7], s[0:1], 0x78
	s_load_b32 s8, s[0:1], 0x88
	s_load_b256 s[24:31], s[0:1], 0x0
	s_load_b256 s[36:43], s[0:1], 0x20
	s_load_b64 s[2:3], s[0:1], 0x40
	s_load_b64 s[10:11], s[0:1], 0x50
	s_load_b32 s13, s[0:1], 0x48
	s_load_b256 s[16:23], s[0:1], 0x58
	s_mov_b32 s32, 0
	v_mov_b32_e32 v31, v0
	s_waitcnt lgkmcnt(0)
	v_dual_mov_b32 v1, s7 :: v_dual_mov_b32 v2, s8
	v_dual_mov_b32 v0, s24 :: v_dual_mov_b32 v3, s27
	;; [unrolled: 1-line block ×3, first 2 shown]
	v_mov_b32_e32 v6, s30
	scratch_store_b64 off, v[1:2], s32
	v_dual_mov_b32 v1, s25 :: v_dual_mov_b32 v2, s26
	v_dual_mov_b32 v7, s31 :: v_dual_mov_b32 v8, s36
	;; [unrolled: 1-line block ×13, first 2 shown]
	s_add_u32 s8, s0, 0x90
	s_addc_u32 s9, s1, 0
	s_mov_b32 s13, s14
	s_mov_b32 s14, s15
	;; [unrolled: 1-line block ×3, first 2 shown]
	s_getpc_b64 s[0:1]
	s_add_u32 s0, s0, _ZN4vllm22paged_attention_kernelI14__hip_bfloat16hLi80ELi16ELi128ELNS_18Fp8KVCacheDataTypeE1ELb1ELi512EEEvPfS3_PT_PKS4_PKT0_SA_ifPKiSC_iPKfiiiSE_SE_iiiii@rel32@lo+4
	s_addc_u32 s1, s1, _ZN4vllm22paged_attention_kernelI14__hip_bfloat16hLi80ELi16ELi128ELNS_18Fp8KVCacheDataTypeE1ELb1ELi512EEEvPfS3_PT_PKS4_PKT0_SA_ifPKiSC_iPKfiiiSE_SE_iiiii@rel32@hi+12
	s_delay_alu instid0(SALU_CYCLE_1)
	s_swappc_b64 s[30:31], s[0:1]
	s_endpgm
	.section	.rodata,"a",@progbits
	.p2align	6, 0x0
	.amdhsa_kernel _ZN4vllm25paged_attention_v2_kernelI14__hip_bfloat16hLi80ELi16ELi128ELNS_18Fp8KVCacheDataTypeE1ELb1ELi512EEEvPfS3_PT_PKS4_PKT0_SA_ifPKiSC_iPKfiiiSE_SE_iiiii
		.amdhsa_group_segment_fixed_size 192
		.amdhsa_private_segment_fixed_size 112
		.amdhsa_kernarg_size 400
		.amdhsa_user_sgpr_count 13
		.amdhsa_user_sgpr_dispatch_ptr 0
		.amdhsa_user_sgpr_queue_ptr 0
		.amdhsa_user_sgpr_kernarg_segment_ptr 1
		.amdhsa_user_sgpr_dispatch_id 0
		.amdhsa_user_sgpr_private_segment_size 0
		.amdhsa_wavefront_size32 1
		.amdhsa_uses_dynamic_stack 0
		.amdhsa_enable_private_segment 1
		.amdhsa_system_sgpr_workgroup_id_x 1
		.amdhsa_system_sgpr_workgroup_id_y 1
		.amdhsa_system_sgpr_workgroup_id_z 1
		.amdhsa_system_sgpr_workgroup_info 0
		.amdhsa_system_vgpr_workitem_id 0
		.amdhsa_next_free_vgpr 184
		.amdhsa_next_free_sgpr 44
		.amdhsa_reserve_vcc 1
		.amdhsa_float_round_mode_32 0
		.amdhsa_float_round_mode_16_64 0
		.amdhsa_float_denorm_mode_32 3
		.amdhsa_float_denorm_mode_16_64 3
		.amdhsa_dx10_clamp 1
		.amdhsa_ieee_mode 1
		.amdhsa_fp16_overflow 0
		.amdhsa_workgroup_processor_mode 1
		.amdhsa_memory_ordered 1
		.amdhsa_forward_progress 0
		.amdhsa_shared_vgpr_count 0
		.amdhsa_exception_fp_ieee_invalid_op 0
		.amdhsa_exception_fp_denorm_src 0
		.amdhsa_exception_fp_ieee_div_zero 0
		.amdhsa_exception_fp_ieee_overflow 0
		.amdhsa_exception_fp_ieee_underflow 0
		.amdhsa_exception_fp_ieee_inexact 0
		.amdhsa_exception_int_div_zero 0
	.end_amdhsa_kernel
	.section	.text._ZN4vllm25paged_attention_v2_kernelI14__hip_bfloat16hLi80ELi16ELi128ELNS_18Fp8KVCacheDataTypeE1ELb1ELi512EEEvPfS3_PT_PKS4_PKT0_SA_ifPKiSC_iPKfiiiSE_SE_iiiii,"axG",@progbits,_ZN4vllm25paged_attention_v2_kernelI14__hip_bfloat16hLi80ELi16ELi128ELNS_18Fp8KVCacheDataTypeE1ELb1ELi512EEEvPfS3_PT_PKS4_PKT0_SA_ifPKiSC_iPKfiiiSE_SE_iiiii,comdat
.Lfunc_end404:
	.size	_ZN4vllm25paged_attention_v2_kernelI14__hip_bfloat16hLi80ELi16ELi128ELNS_18Fp8KVCacheDataTypeE1ELb1ELi512EEEvPfS3_PT_PKS4_PKT0_SA_ifPKiSC_iPKfiiiSE_SE_iiiii, .Lfunc_end404-_ZN4vllm25paged_attention_v2_kernelI14__hip_bfloat16hLi80ELi16ELi128ELNS_18Fp8KVCacheDataTypeE1ELb1ELi512EEEvPfS3_PT_PKS4_PKT0_SA_ifPKiSC_iPKfiiiSE_SE_iiiii
                                        ; -- End function
	.section	.AMDGPU.csdata,"",@progbits
; Kernel info:
; codeLenInByte = 280
; NumSgprs: 46
; NumVgprs: 184
; ScratchSize: 112
; MemoryBound: 0
; FloatMode: 240
; IeeeMode: 1
; LDSByteSize: 192 bytes/workgroup (compile time only)
; SGPRBlocks: 5
; VGPRBlocks: 22
; NumSGPRsForWavesPerEU: 46
; NumVGPRsForWavesPerEU: 184
; Occupancy: 8
; WaveLimiterHint : 1
; COMPUTE_PGM_RSRC2:SCRATCH_EN: 1
; COMPUTE_PGM_RSRC2:USER_SGPR: 13
; COMPUTE_PGM_RSRC2:TRAP_HANDLER: 0
; COMPUTE_PGM_RSRC2:TGID_X_EN: 1
; COMPUTE_PGM_RSRC2:TGID_Y_EN: 1
; COMPUTE_PGM_RSRC2:TGID_Z_EN: 1
; COMPUTE_PGM_RSRC2:TIDIG_COMP_CNT: 0
	.text
	.p2align	2                               ; -- Begin function _ZN4vllm22paged_attention_kernelI14__hip_bfloat16hLi96ELi16ELi128ELNS_18Fp8KVCacheDataTypeE1ELb1ELi512EEEvPfS3_PT_PKS4_PKT0_SA_ifPKiSC_iPKfiiiSE_SE_iiiii
	.type	_ZN4vllm22paged_attention_kernelI14__hip_bfloat16hLi96ELi16ELi128ELNS_18Fp8KVCacheDataTypeE1ELb1ELi512EEEvPfS3_PT_PKS4_PKT0_SA_ifPKiSC_iPKfiiiSE_SE_iiiii,@function
_ZN4vllm22paged_attention_kernelI14__hip_bfloat16hLi96ELi16ELi128ELNS_18Fp8KVCacheDataTypeE1ELb1ELi512EEEvPfS3_PT_PKS4_PKT0_SA_ifPKiSC_iPKfiiiSE_SE_iiiii: ; @_ZN4vllm22paged_attention_kernelI14__hip_bfloat16hLi96ELi16ELi128ELNS_18Fp8KVCacheDataTypeE1ELb1ELi512EEEvPfS3_PT_PKS4_PKT0_SA_ifPKiSC_iPKfiiiSE_SE_iiiii
; %bb.0:
	s_waitcnt vmcnt(0) expcnt(0) lgkmcnt(0)
	s_clause 0x1f
	scratch_store_b32 off, v40, s32 offset:168
	; meta instruction
	scratch_store_b32 off, v41, s32 offset:164
	; meta instruction
	;; [unrolled: 2-line block ×31, first 2 shown]
	scratch_store_b32 off, v95, s32 offset:44
	s_clause 0x8
	scratch_store_b32 off, v104, s32 offset:40
	; meta instruction
	scratch_store_b32 off, v105, s32 offset:36
	; meta instruction
	;; [unrolled: 2-line block ×8, first 2 shown]
	scratch_store_b32 off, v120, s32 offset:8
	s_mov_b32 s4, s13
	s_ashr_i32 s5, s13, 31
	s_mov_b32 s10, s15
	s_lshl_b64 s[0:1], s[4:5], 2
	s_lshl_b32 s15, s14, 9
	v_add_co_u32 v16, vcc_lo, v16, s0
	v_add_co_ci_u32_e32 v17, vcc_lo, s1, v17, vcc_lo
	s_mov_b32 s5, exec_lo
	flat_load_b32 v83, v[16:17]
	s_clause 0x1
	scratch_load_b32 v32, off, s32 offset:4
	scratch_load_b32 v33, off, s32
	s_waitcnt vmcnt(2) lgkmcnt(0)
	v_cmpx_lt_i32_e64 s15, v83
	s_cbranch_execz .LBB405_1479
; %bb.1:
	v_sub_nc_u32_e32 v16, 0, v12
	s_clause 0x1
	s_load_b32 s0, s[8:9], 0x10
	s_load_b32 s1, s[8:9], 0x0
	v_mov_b32_e32 v102, 0
	v_max_i32_e32 v16, v12, v16
	s_delay_alu instid0(VALU_DEP_1) | instskip(SKIP_1) | instid1(VALU_DEP_2)
	v_cvt_f32_u32_e32 v17, v16
	v_sub_nc_u32_e32 v34, 0, v16
	v_rcp_iflag_f32_e32 v17, v17
	s_waitcnt lgkmcnt(0)
	s_lshr_b32 s0, s0, 16
	s_delay_alu instid0(SALU_CYCLE_1) | instskip(SKIP_3) | instid1(SALU_CYCLE_1)
	s_cmp_lg_u32 s0, 0
	s_waitcnt_depctr 0xfff
	v_mul_f32_e32 v17, 0x4f7ffffe, v17
	s_cselect_b32 s0, -1, 0
	s_cmp_lg_u32 s0, 0
	s_delay_alu instid0(VALU_DEP_1) | instskip(SKIP_3) | instid1(VALU_DEP_1)
	v_cvt_u32_f32_e32 v17, v17
	s_addc_u32 s16, s1, 0
	s_mov_b32 s1, exec_lo
	s_abs_i32 s0, s16
	v_mul_lo_u32 v34, v34, v17
	s_delay_alu instid0(VALU_DEP_1) | instskip(NEXT) | instid1(VALU_DEP_1)
	v_mul_hi_u32 v34, v17, v34
	v_add_nc_u32_e32 v17, v17, v34
	s_delay_alu instid0(VALU_DEP_1) | instskip(NEXT) | instid1(VALU_DEP_1)
	v_mul_hi_u32 v17, s0, v17
	v_mul_lo_u32 v34, v17, v16
	v_add_nc_u32_e32 v35, 1, v17
	s_delay_alu instid0(VALU_DEP_2) | instskip(SKIP_1) | instid1(VALU_DEP_1)
	v_sub_nc_u32_e32 v34, s0, v34
	s_abs_i32 s0, s12
	v_sub_nc_u32_e32 v36, v34, v16
	v_cmp_ge_u32_e32 vcc_lo, v34, v16
	s_delay_alu instid0(VALU_DEP_2) | instskip(SKIP_1) | instid1(VALU_DEP_2)
	v_dual_cndmask_b32 v17, v17, v35 :: v_dual_cndmask_b32 v34, v34, v36
	v_xor_b32_e32 v35, s16, v12
	v_add_nc_u32_e32 v36, 1, v17
	s_delay_alu instid0(VALU_DEP_3) | instskip(NEXT) | instid1(VALU_DEP_3)
	v_cmp_ge_u32_e32 vcc_lo, v34, v16
	v_ashrrev_i32_e32 v35, 31, v35
	s_delay_alu instid0(VALU_DEP_3) | instskip(NEXT) | instid1(VALU_DEP_1)
	v_cndmask_b32_e32 v16, v17, v36, vcc_lo
	v_xor_b32_e32 v16, v16, v35
	s_delay_alu instid0(VALU_DEP_1) | instskip(NEXT) | instid1(VALU_DEP_1)
	v_sub_nc_u32_e32 v35, v16, v35
	v_sub_nc_u32_e32 v16, 0, v35
	s_delay_alu instid0(VALU_DEP_1) | instskip(NEXT) | instid1(VALU_DEP_1)
	v_max_i32_e32 v34, v35, v16
	v_cvt_f32_u32_e32 v16, v34
	v_sub_nc_u32_e32 v17, 0, v34
	s_delay_alu instid0(VALU_DEP_2) | instskip(SKIP_2) | instid1(VALU_DEP_1)
	v_rcp_iflag_f32_e32 v16, v16
	s_waitcnt_depctr 0xfff
	v_mul_f32_e32 v16, 0x4f7ffffe, v16
	v_cvt_u32_f32_e32 v16, v16
	s_delay_alu instid0(VALU_DEP_1) | instskip(NEXT) | instid1(VALU_DEP_1)
	v_mul_lo_u32 v17, v17, v16
	v_mul_hi_u32 v17, v16, v17
	s_delay_alu instid0(VALU_DEP_1) | instskip(NEXT) | instid1(VALU_DEP_1)
	v_add_nc_u32_e32 v36, v16, v17
	v_mad_u64_u32 v[16:17], null, s0, v36, 0
	v_cmpx_ne_u64_e32 0, v[19:20]
	s_cbranch_execz .LBB405_3
; %bb.2:
	s_ashr_i32 s13, s12, 31
	s_delay_alu instid0(SALU_CYCLE_1) | instskip(NEXT) | instid1(SALU_CYCLE_1)
	s_lshl_b64 s[2:3], s[12:13], 2
	v_add_co_u32 v19, vcc_lo, v19, s2
	v_add_co_ci_u32_e32 v20, vcc_lo, s3, v20, vcc_lo
	flat_load_b32 v102, v[19:20]
.LBB405_3:
	s_or_b32 exec_lo, exec_lo, s1
	v_and_b32_e32 v82, 0x3ff, v31
	v_ashrrev_i32_e32 v16, 31, v35
	s_ashr_i32 s1, s12, 31
	s_mul_i32 s6, s12, 0x60
	s_mov_b32 s2, exec_lo
	v_lshrrev_b32_e32 v39, 1, v82
	v_and_b32_e32 v84, 1, v82
	v_lshlrev_b32_e32 v98, 3, v82
	v_cmpx_gt_u32_e32 24, v82
	s_cbranch_execz .LBB405_5
; %bb.4:
	v_mul_lo_u32 v19, s4, v21
	s_ashr_i32 s7, s6, 31
	s_delay_alu instid0(SALU_CYCLE_1) | instskip(NEXT) | instid1(VALU_DEP_1)
	s_lshl_b64 s[18:19], s[6:7], 1
	v_ashrrev_i32_e32 v20, 31, v19
	s_delay_alu instid0(VALU_DEP_1) | instskip(NEXT) | instid1(VALU_DEP_1)
	v_lshlrev_b64 v[19:20], 1, v[19:20]
	v_add_co_u32 v6, vcc_lo, v6, v19
	s_delay_alu instid0(VALU_DEP_2) | instskip(SKIP_1) | instid1(VALU_DEP_3)
	v_add_co_ci_u32_e32 v7, vcc_lo, v7, v20, vcc_lo
	v_lshlrev_b32_e32 v19, 3, v39
	v_add_co_u32 v6, vcc_lo, v6, s18
	s_delay_alu instid0(VALU_DEP_3) | instskip(NEXT) | instid1(VALU_DEP_3)
	v_add_co_ci_u32_e32 v7, vcc_lo, s19, v7, vcc_lo
	v_mad_u32_u24 v19, 0x60, v84, v19
	s_delay_alu instid0(VALU_DEP_3) | instskip(NEXT) | instid1(VALU_DEP_3)
	v_add_co_u32 v6, vcc_lo, v6, v98
	v_add_co_ci_u32_e32 v7, vcc_lo, 0, v7, vcc_lo
	flat_load_b64 v[6:7], v[6:7]
	s_waitcnt vmcnt(0) lgkmcnt(0)
	ds_store_b64 v19, v[6:7]
.LBB405_5:
	s_or_b32 exec_lo, exec_lo, s2
	s_waitcnt vmcnt(0)
	v_sub_nc_u32_e32 v6, 0, v33
	v_mul_lo_u32 v7, v17, v34
	v_add_nc_u32_e32 v20, 1, v17
	v_xor_b32_e32 v35, s1, v16
	s_waitcnt lgkmcnt(0)
	s_waitcnt_vscnt null, 0x0
	v_max_i32_e32 v85, v33, v6
	s_barrier
	buffer_gl0_inv
	v_sub_nc_u32_e32 v7, s0, v7
	v_cvt_f32_u32_e32 v6, v85
	v_sub_nc_u32_e32 v19, 0, v85
	s_mov_b32 s0, exec_lo
	s_delay_alu instid0(VALU_DEP_3) | instskip(NEXT) | instid1(VALU_DEP_3)
	v_cmp_ge_u32_e32 vcc_lo, v7, v34
	v_rcp_iflag_f32_e32 v6, v6
	v_sub_nc_u32_e32 v21, v7, v34
	v_dual_cndmask_b32 v20, v17, v20 :: v_dual_add_nc_u32 v17, -1, v83
	s_delay_alu instid0(VALU_DEP_2) | instskip(SKIP_4) | instid1(VALU_DEP_3)
	v_cndmask_b32_e32 v7, v7, v21, vcc_lo
	s_waitcnt_depctr 0xfff
	v_dual_mul_f32 v6, 0x4f7ffffe, v6 :: v_dual_add_nc_u32 v21, 1, v20
	v_cmp_ge_u32_e32 vcc_lo, v7, v34
	v_sub_nc_u32_e32 v31, 0, v17
	v_cvt_u32_f32_e32 v6, v6
	s_delay_alu instid0(VALU_DEP_2) | instskip(NEXT) | instid1(VALU_DEP_2)
	v_max_i32_e32 v16, v17, v31
	v_mul_lo_u32 v19, v19, v6
	s_delay_alu instid0(VALU_DEP_1) | instskip(SKIP_1) | instid1(VALU_DEP_2)
	v_mul_hi_u32 v19, v6, v19
	v_cndmask_b32_e32 v7, v20, v21, vcc_lo
                                        ; implicit-def: $vgpr20
	v_add_nc_u32_e32 v86, v6, v19
	s_delay_alu instid0(VALU_DEP_2) | instskip(NEXT) | instid1(VALU_DEP_2)
	v_xor_b32_e32 v19, v7, v35
	v_mad_u64_u32 v[6:7], null, v16, v86, 0
	s_delay_alu instid0(VALU_DEP_2)
	v_sub_nc_u32_e32 v6, v19, v35
	v_cmpx_gt_i32_e32 0, v32
	s_xor_b32 s0, exec_lo, s0
; %bb.6:
	s_delay_alu instid0(VALU_DEP_2) | instskip(NEXT) | instid1(VALU_DEP_1)
	v_mad_u64_u32 v[19:20], null, v28, v12, v[6:7]
                                        ; implicit-def: $vgpr28
	v_mul_lo_u32 v12, v19, v32
                                        ; implicit-def: $vgpr32
	s_delay_alu instid0(VALU_DEP_1)
	v_sub_nc_u32_e32 v20, 1, v12
; %bb.7:
	s_or_saveexec_b32 s0, s0
	v_ashrrev_i32_e32 v12, 31, v17
	v_ashrrev_i32_e32 v87, 31, v33
	s_xor_b32 exec_lo, exec_lo, s0
; %bb.8:
	v_mad_u64_u32 v[19:20], null, s16, v28, s[12:13]
	s_delay_alu instid0(VALU_DEP_1)
	v_mad_u64_u32 v[20:21], null, v19, v32, 1
; %bb.9:
	s_or_b32 exec_lo, exec_lo, s0
	v_mul_lo_u32 v17, v7, v85
	v_dual_mov_b32 v112, 0xff7fffff :: v_dual_add_nc_u32 v19, 15, v83
	v_add_nc_u32_e32 v21, 1, v7
	v_xor_b32_e32 v31, v12, v87
	s_clause 0x1
	s_load_b32 s17, s[8:9], 0x14
	s_load_b32 s7, s[8:9], 0x8
	s_lshl_b32 s13, s14, 5
	v_sub_nc_u32_e32 v100, 0, v30
	v_sub_nc_u32_e32 v17, v16, v17
	v_mul_lo_u32 v16, s4, v18
	v_ashrrev_i32_e32 v18, 31, v19
	s_add_i32 s0, s13, 32
	v_mbcnt_lo_u32_b32 v103, -1, 0
	v_sub_nc_u32_e32 v28, v17, v85
	v_cmp_ge_u32_e32 vcc_lo, v17, v85
	v_lshrrev_b32_e32 v12, 28, v18
	v_cndmask_b32_e32 v7, v7, v21, vcc_lo
	s_delay_alu instid0(VALU_DEP_4) | instskip(NEXT) | instid1(VALU_DEP_3)
	v_cndmask_b32_e32 v17, v17, v28, vcc_lo
	v_add_nc_u32_e32 v19, v19, v12
	v_lshrrev_b32_e32 v21, 5, v82
	v_mul_lo_u32 v12, v6, v23
	v_add_nc_u32_e32 v18, 1, v7
	v_cmp_ge_u32_e32 vcc_lo, v17, v85
	v_ashrrev_i32_e32 v99, 4, v19
	v_ashrrev_i32_e32 v17, 31, v16
	v_or_b32_e32 v64, s13, v21
	v_lshl_add_u32 v23, v21, 4, s15
	v_cndmask_b32_e32 v7, v7, v18, vcc_lo
	v_min_i32_e32 v96, s0, v99
	v_lshlrev_b64 v[66:67], 2, v[16:17]
	v_ashrrev_i32_e32 v101, 31, v12
	v_ashrrev_i32_e32 v65, 31, v64
	v_xor_b32_e32 v6, v7, v31
	v_cmp_lt_i32_e64 s0, v64, v96
	s_delay_alu instid0(VALU_DEP_2) | instskip(NEXT) | instid1(VALU_DEP_1)
	v_sub_nc_u32_e32 v6, v6, v31
	v_sub_nc_u32_e32 v97, v6, v29
	s_delay_alu instid0(VALU_DEP_3)
	s_and_saveexec_b32 s18, s0
	s_cbranch_execz .LBB405_595
; %bb.10:
	v_max_i32_e32 v113, v30, v100
	s_ashr_i32 s11, s10, 31
	s_getpc_b64 s[2:3]
	s_add_u32 s2, s2, llvm.amdgcn.dynlds.offset.table@rel32@lo+4
	s_addc_u32 s3, s3, llvm.amdgcn.dynlds.offset.table@rel32@hi+12
	s_lshl_b64 s[8:9], s[10:11], 2
	v_bfe_u32 v114, v82, 1, 4
	v_cvt_f32_u32_e32 v6, v113
	v_sub_nc_u32_e32 v17, 0, v113
	s_add_u32 s8, s8, s2
	s_addc_u32 s9, s9, s3
	v_add_co_u32 v8, s1, v8, v12
	v_rcp_iflag_f32_e32 v16, v6
	v_mov_b32_e32 v29, 0
	s_load_b32 s11, s[8:9], 0x0
	v_lshlrev_b64 v[6:7], 2, v[64:65]
	v_lshlrev_b32_e32 v18, 4, v114
	v_add_co_ci_u32_e64 v9, s1, v9, v101, s1
	v_dual_mov_b32 v112, 0xff7fffff :: v_dual_lshlrev_b32 v19, 2, v114
	s_delay_alu instid0(VALU_DEP_4) | instskip(NEXT) | instid1(TRANS32_DEP_1)
	v_add_co_u32 v6, s2, v66, v6
	v_mul_f32_e32 v16, 0x4f7ffffe, v16
	v_add_co_ci_u32_e64 v7, s2, v67, v7, s2
	v_sub_nc_u32_e32 v28, v114, v83
	v_add_co_u32 v68, s2, v8, v18
	s_delay_alu instid0(VALU_DEP_4) | instskip(SKIP_2) | instid1(VALU_DEP_3)
	v_cvt_u32_f32_e32 v16, v16
	v_add_co_ci_u32_e64 v69, s2, 0, v9, s2
	v_add_co_u32 v70, s2, v14, v6
	v_mul_lo_u32 v17, v17, v16
	v_cmp_eq_u32_e32 vcc_lo, 0, v84
	v_dual_mov_b32 v118, 0xff7fffff :: v_dual_lshlrev_b32 v115, 2, v84
	v_mul_u32_u24_e32 v116, 0x60, v84
	v_cmp_neq_f32_e64 s1, 0, v102
	v_lshl_add_u32 v117, v21, 4, s15
	v_lshl_or_b32 v119, v21, 6, v19
	v_mul_hi_u32 v17, v16, v17
	v_add_nc_u32_e32 v128, 1, v28
	v_add_co_ci_u32_e64 v71, s2, v15, v7, s2
	v_mov_b32_e32 v130, v64
	s_mov_b32 s19, 0
	s_delay_alu instid0(VALU_DEP_4)
	v_add_nc_u32_e32 v129, v16, v17
	s_branch .LBB405_13
.LBB405_11:                             ;   in Loop: Header=BB405_13 Depth=1
	s_or_b32 exec_lo, exec_lo, s20
.LBB405_12:                             ;   in Loop: Header=BB405_13 Depth=1
	s_delay_alu instid0(SALU_CYCLE_1) | instskip(SKIP_2) | instid1(VALU_DEP_1)
	s_or_b32 exec_lo, exec_lo, s3
	v_add_nc_u32_e32 v130, 4, v130
	v_add_co_u32 v70, s3, v70, 16
	v_add_co_ci_u32_e64 v71, s3, 0, v71, s3
	s_delay_alu instid0(VALU_DEP_3) | instskip(SKIP_2) | instid1(VALU_DEP_3)
	v_cmp_ge_i32_e64 s2, v130, v96
	v_add_nc_u32_e32 v117, 64, v117
	v_add_nc_u32_e32 v119, 0x100, v119
	s_or_b32 s19, s2, s19
	s_delay_alu instid0(SALU_CYCLE_1)
	s_and_not1_b32 exec_lo, exec_lo, s19
	s_cbranch_execz .LBB405_594
.LBB405_13:                             ; =>This Inner Loop Header: Depth=1
	v_sub_nc_u32_e32 v6, 0, v117
	s_delay_alu instid0(VALU_DEP_1) | instskip(SKIP_1) | instid1(VALU_DEP_1)
	v_max_i32_e32 v6, v117, v6
	s_waitcnt lgkmcnt(0)
	v_mul_hi_u32 v7, v6, v86
	s_delay_alu instid0(VALU_DEP_1) | instskip(NEXT) | instid1(VALU_DEP_1)
	v_mul_lo_u32 v8, v7, v85
	v_sub_nc_u32_e32 v6, v6, v8
	v_add_nc_u32_e32 v8, 1, v7
	s_delay_alu instid0(VALU_DEP_2) | instskip(SKIP_1) | instid1(VALU_DEP_1)
	v_sub_nc_u32_e32 v9, v6, v85
	v_cmp_ge_u32_e64 s2, v6, v85
	v_cndmask_b32_e64 v7, v7, v8, s2
	s_delay_alu instid0(VALU_DEP_3) | instskip(SKIP_1) | instid1(VALU_DEP_3)
	v_cndmask_b32_e64 v6, v6, v9, s2
	v_ashrrev_i32_e32 v8, 31, v117
	v_add_nc_u32_e32 v9, 1, v7
	s_delay_alu instid0(VALU_DEP_3) | instskip(NEXT) | instid1(VALU_DEP_3)
	v_cmp_ge_u32_e64 s2, v6, v85
	v_xor_b32_e32 v8, v8, v87
	s_delay_alu instid0(VALU_DEP_2) | instskip(NEXT) | instid1(VALU_DEP_1)
	v_cndmask_b32_e64 v6, v7, v9, s2
	v_xor_b32_e32 v6, v6, v8
	s_delay_alu instid0(VALU_DEP_1) | instskip(NEXT) | instid1(VALU_DEP_1)
	v_sub_nc_u32_e32 v6, v6, v8
	v_add_nc_u32_e32 v7, v6, v20
	v_cmp_le_i32_e64 s3, v6, v97
	s_delay_alu instid0(VALU_DEP_2) | instskip(NEXT) | instid1(VALU_DEP_1)
	v_sub_nc_u32_e32 v8, 0, v7
	v_max_i32_e32 v8, v7, v8
	v_ashrrev_i32_e32 v7, 31, v7
	s_delay_alu instid0(VALU_DEP_2) | instskip(NEXT) | instid1(VALU_DEP_1)
	v_mul_hi_u32 v9, v8, v129
	v_mul_lo_u32 v9, v9, v113
	s_delay_alu instid0(VALU_DEP_1) | instskip(NEXT) | instid1(VALU_DEP_1)
	v_sub_nc_u32_e32 v8, v8, v9
	v_sub_nc_u32_e32 v9, v8, v113
	v_cmp_ge_u32_e64 s2, v8, v113
	s_delay_alu instid0(VALU_DEP_1) | instskip(NEXT) | instid1(VALU_DEP_1)
	v_cndmask_b32_e64 v8, v8, v9, s2
	v_sub_nc_u32_e32 v9, v8, v113
	v_cmp_ge_u32_e64 s2, v8, v113
	s_delay_alu instid0(VALU_DEP_1) | instskip(NEXT) | instid1(VALU_DEP_1)
	v_cndmask_b32_e64 v8, v8, v9, s2
	v_xor_b32_e32 v8, v8, v7
	s_delay_alu instid0(VALU_DEP_1) | instskip(NEXT) | instid1(VALU_DEP_1)
	v_sub_nc_u32_e32 v7, v8, v7
	v_cmp_ne_u32_e64 s2, 0, v7
	s_delay_alu instid0(VALU_DEP_1) | instskip(NEXT) | instid1(SALU_CYCLE_1)
	s_and_b32 s2, s2, s3
	s_and_b32 s20, vcc_lo, s2
	s_delay_alu instid0(SALU_CYCLE_1)
	s_and_saveexec_b32 s3, s20
	s_cbranch_execz .LBB405_15
; %bb.14:                               ;   in Loop: Header=BB405_13 Depth=1
	s_waitcnt lgkmcnt(0)
	v_add_nc_u32_e32 v6, s11, v119
	ds_store_b32 v6, v118
.LBB405_15:                             ;   in Loop: Header=BB405_13 Depth=1
	s_or_b32 exec_lo, exec_lo, s3
	s_xor_b32 s2, s2, -1
	s_delay_alu instid0(SALU_CYCLE_1)
	s_and_saveexec_b32 s3, s2
	s_cbranch_execz .LBB405_12
; %bb.16:                               ;   in Loop: Header=BB405_13 Depth=1
	flat_load_b32 v8, v[70:71]
	v_mov_b32_e32 v28, 0
	s_mov_b32 s20, exec_lo
	s_waitcnt vmcnt(0) lgkmcnt(0)
	v_mad_i64_i32 v[6:7], null, v8, v22, v[68:69]
	s_delay_alu instid0(VALU_DEP_1) | instskip(NEXT) | instid1(VALU_DEP_1)
	v_add_co_u32 v80, s2, v6, v115
	v_add_co_ci_u32_e64 v81, s2, 0, v7, s2
	flat_load_b32 v135, v[80:81]
	flat_load_b32 v131, v[24:25]
	ds_load_b128 v[52:55], v116
	ds_load_b128 v[48:51], v116 offset:16
	ds_load_b128 v[35:38], v116 offset:32
	;; [unrolled: 1-line block ×5, first 2 shown]
	s_waitcnt vmcnt(1) lgkmcnt(7)
	v_and_b32_e32 v132, 0xff, v135
	s_delay_alu instid0(VALU_DEP_1)
	v_cmpx_ne_u16_e64 0, v132
	s_cbranch_execz .LBB405_24
; %bb.17:                               ;   in Loop: Header=BB405_13 Depth=1
	v_bfrev_b32_e32 v28, 1
	s_mov_b32 s21, exec_lo
	v_cmpx_ne_u16_e64 0x80, v132
	s_cbranch_execz .LBB405_23
; %bb.18:                               ;   in Loop: Header=BB405_13 Depth=1
	v_and_b32_e32 v133, 0x7f, v135
	v_mov_b32_e32 v28, 0x7f800001
	s_mov_b32 s22, exec_lo
	s_delay_alu instid0(VALU_DEP_2)
	v_cmpx_ne_u32_e32 0x7f, v133
	s_cbranch_execz .LBB405_22
; %bb.19:                               ;   in Loop: Header=BB405_13 Depth=1
	v_and_b32_e32 v28, 7, v135
	v_lshrrev_b32_e32 v132, 3, v133
	s_mov_b32 s23, exec_lo
	v_cmpx_gt_u32_e32 8, v133
; %bb.20:                               ;   in Loop: Header=BB405_13 Depth=1
	s_delay_alu instid0(VALU_DEP_3) | instskip(NEXT) | instid1(VALU_DEP_1)
	v_clz_i32_u32_e32 v132, v28
	v_min_u32_e32 v132, 32, v132
	s_delay_alu instid0(VALU_DEP_1) | instskip(SKIP_1) | instid1(VALU_DEP_2)
	v_subrev_nc_u32_e32 v133, 28, v132
	v_sub_nc_u32_e32 v132, 29, v132
	v_lshlrev_b64 v[133:134], v133, v[28:29]
	s_delay_alu instid0(VALU_DEP_1)
	v_and_b32_e32 v28, 7, v133
; %bb.21:                               ;   in Loop: Header=BB405_13 Depth=1
	s_or_b32 exec_lo, exec_lo, s23
	v_lshlrev_b32_e32 v133, 24, v135
	s_delay_alu instid0(VALU_DEP_2) | instskip(SKIP_1) | instid1(VALU_DEP_3)
	v_lshlrev_b32_e32 v28, 20, v28
	v_lshl_add_u32 v132, v132, 23, 0x3c000000
	v_and_b32_e32 v133, 0x80000000, v133
	s_delay_alu instid0(VALU_DEP_1)
	v_or3_b32 v28, v28, v133, v132
.LBB405_22:                             ;   in Loop: Header=BB405_13 Depth=1
	s_or_b32 exec_lo, exec_lo, s22
.LBB405_23:                             ;   in Loop: Header=BB405_13 Depth=1
	s_delay_alu instid0(SALU_CYCLE_1)
	s_or_b32 exec_lo, exec_lo, s21
.LBB405_24:                             ;   in Loop: Header=BB405_13 Depth=1
	s_delay_alu instid0(SALU_CYCLE_1) | instskip(SKIP_2) | instid1(VALU_DEP_1)
	s_or_b32 exec_lo, exec_lo, s20
	s_waitcnt vmcnt(0) lgkmcnt(6)
	v_mul_f32_e32 v28, v131, v28
	v_and_b32_e32 v132, 0x7f800000, v28
	s_delay_alu instid0(VALU_DEP_1) | instskip(NEXT) | instid1(VALU_DEP_1)
	v_cmp_ne_u32_e64 s2, 0x7f800000, v132
                                        ; implicit-def: $vgpr132
	s_and_saveexec_b32 s20, s2
	s_delay_alu instid0(SALU_CYCLE_1)
	s_xor_b32 s2, exec_lo, s20
; %bb.25:                               ;   in Loop: Header=BB405_13 Depth=1
	v_bfe_u32 v132, v28, 16, 1
	s_delay_alu instid0(VALU_DEP_1)
	v_add3_u32 v132, v28, v132, 0x7fff
                                        ; implicit-def: $vgpr28
; %bb.26:                               ;   in Loop: Header=BB405_13 Depth=1
	s_and_not1_saveexec_b32 s20, s2
; %bb.27:                               ;   in Loop: Header=BB405_13 Depth=1
	v_and_b32_e32 v132, 0xffff, v28
	v_or_b32_e32 v133, 0x10000, v28
	s_delay_alu instid0(VALU_DEP_2) | instskip(NEXT) | instid1(VALU_DEP_1)
	v_cmp_eq_u32_e64 s2, 0, v132
	v_cndmask_b32_e64 v132, v133, v28, s2
; %bb.28:                               ;   in Loop: Header=BB405_13 Depth=1
	s_or_b32 exec_lo, exec_lo, s20
	v_lshrrev_b16 v133, 8, v135
	v_mov_b32_e32 v28, 0
	s_mov_b32 s20, exec_lo
	s_delay_alu instid0(VALU_DEP_2)
	v_cmpx_ne_u16_e64 0, v133
	s_cbranch_execz .LBB405_36
; %bb.29:                               ;   in Loop: Header=BB405_13 Depth=1
	v_bfrev_b32_e32 v28, 1
	s_mov_b32 s21, exec_lo
	v_cmpx_ne_u16_e64 0x80, v133
	s_cbranch_execz .LBB405_35
; %bb.30:                               ;   in Loop: Header=BB405_13 Depth=1
	v_and_b32_e32 v133, 0xffff, v133
	v_mov_b32_e32 v28, 0x7f800001
	s_mov_b32 s22, exec_lo
	s_delay_alu instid0(VALU_DEP_2) | instskip(NEXT) | instid1(VALU_DEP_1)
	v_and_b32_e32 v134, 0x7f, v133
	v_cmpx_ne_u32_e32 0x7f, v134
	s_cbranch_execz .LBB405_34
; %bb.31:                               ;   in Loop: Header=BB405_13 Depth=1
	v_and_b32_e32 v28, 7, v133
	v_lshrrev_b32_e32 v133, 3, v134
	s_mov_b32 s23, exec_lo
	v_cmpx_gt_u32_e32 8, v134
; %bb.32:                               ;   in Loop: Header=BB405_13 Depth=1
	s_delay_alu instid0(VALU_DEP_3) | instskip(NEXT) | instid1(VALU_DEP_1)
	v_clz_i32_u32_e32 v133, v28
	v_min_u32_e32 v133, 32, v133
	s_delay_alu instid0(VALU_DEP_1) | instskip(SKIP_1) | instid1(VALU_DEP_2)
	v_subrev_nc_u32_e32 v134, 28, v133
	v_sub_nc_u32_e32 v133, 29, v133
	v_lshlrev_b64 v[144:145], v134, v[28:29]
	s_delay_alu instid0(VALU_DEP_1)
	v_and_b32_e32 v28, 7, v144
; %bb.33:                               ;   in Loop: Header=BB405_13 Depth=1
	s_or_b32 exec_lo, exec_lo, s23
	v_lshlrev_b32_e32 v134, 16, v135
	s_delay_alu instid0(VALU_DEP_2) | instskip(SKIP_1) | instid1(VALU_DEP_3)
	v_lshlrev_b32_e32 v28, 20, v28
	v_lshl_add_u32 v133, v133, 23, 0x3c000000
	v_and_b32_e32 v134, 0x80000000, v134
	s_delay_alu instid0(VALU_DEP_1)
	v_or3_b32 v28, v28, v134, v133
.LBB405_34:                             ;   in Loop: Header=BB405_13 Depth=1
	s_or_b32 exec_lo, exec_lo, s22
.LBB405_35:                             ;   in Loop: Header=BB405_13 Depth=1
	s_delay_alu instid0(SALU_CYCLE_1)
	s_or_b32 exec_lo, exec_lo, s21
.LBB405_36:                             ;   in Loop: Header=BB405_13 Depth=1
	s_delay_alu instid0(SALU_CYCLE_1) | instskip(NEXT) | instid1(VALU_DEP_1)
	s_or_b32 exec_lo, exec_lo, s20
	v_mul_f32_e32 v28, v131, v28
	s_delay_alu instid0(VALU_DEP_1) | instskip(NEXT) | instid1(VALU_DEP_1)
	v_and_b32_e32 v133, 0x7f800000, v28
	v_cmp_ne_u32_e64 s2, 0x7f800000, v133
                                        ; implicit-def: $vgpr133
	s_delay_alu instid0(VALU_DEP_1) | instskip(NEXT) | instid1(SALU_CYCLE_1)
	s_and_saveexec_b32 s20, s2
	s_xor_b32 s2, exec_lo, s20
; %bb.37:                               ;   in Loop: Header=BB405_13 Depth=1
	v_bfe_u32 v133, v28, 16, 1
	s_delay_alu instid0(VALU_DEP_1)
	v_add3_u32 v133, v28, v133, 0x7fff
                                        ; implicit-def: $vgpr28
; %bb.38:                               ;   in Loop: Header=BB405_13 Depth=1
	s_and_not1_saveexec_b32 s20, s2
; %bb.39:                               ;   in Loop: Header=BB405_13 Depth=1
	v_and_b32_e32 v133, 0xffff, v28
	v_or_b32_e32 v134, 0x10000, v28
	s_delay_alu instid0(VALU_DEP_2) | instskip(NEXT) | instid1(VALU_DEP_1)
	v_cmp_eq_u32_e64 s2, 0, v133
	v_cndmask_b32_e64 v133, v134, v28, s2
; %bb.40:                               ;   in Loop: Header=BB405_13 Depth=1
	s_or_b32 exec_lo, exec_lo, s20
	v_lshrrev_b32_e32 v134, 16, v135
	v_mov_b32_e32 v28, 0
	s_mov_b32 s20, exec_lo
	s_delay_alu instid0(VALU_DEP_2) | instskip(NEXT) | instid1(VALU_DEP_1)
	v_and_b32_e32 v144, 0xff, v134
	v_cmpx_ne_u16_e64 0, v144
	s_cbranch_execz .LBB405_48
; %bb.41:                               ;   in Loop: Header=BB405_13 Depth=1
	v_bfrev_b32_e32 v28, 1
	s_mov_b32 s21, exec_lo
	v_cmpx_ne_u16_e64 0x80, v144
	s_cbranch_execz .LBB405_47
; %bb.42:                               ;   in Loop: Header=BB405_13 Depth=1
	v_bfe_u32 v145, v135, 16, 7
	v_mov_b32_e32 v28, 0x7f800001
	s_mov_b32 s22, exec_lo
	s_delay_alu instid0(VALU_DEP_2)
	v_cmpx_ne_u32_e32 0x7f, v145
	s_cbranch_execz .LBB405_46
; %bb.43:                               ;   in Loop: Header=BB405_13 Depth=1
	v_and_b32_e32 v28, 7, v134
	v_lshrrev_b32_e32 v144, 3, v145
	s_mov_b32 s23, exec_lo
	v_cmpx_gt_u32_e32 8, v145
; %bb.44:                               ;   in Loop: Header=BB405_13 Depth=1
	s_delay_alu instid0(VALU_DEP_3) | instskip(NEXT) | instid1(VALU_DEP_1)
	v_clz_i32_u32_e32 v144, v28
	v_min_u32_e32 v144, 32, v144
	s_delay_alu instid0(VALU_DEP_1) | instskip(SKIP_1) | instid1(VALU_DEP_2)
	v_subrev_nc_u32_e32 v145, 28, v144
	v_sub_nc_u32_e32 v144, 29, v144
	v_lshlrev_b64 v[145:146], v145, v[28:29]
	s_delay_alu instid0(VALU_DEP_1)
	v_and_b32_e32 v28, 7, v145
; %bb.45:                               ;   in Loop: Header=BB405_13 Depth=1
	s_or_b32 exec_lo, exec_lo, s23
	v_lshlrev_b32_e32 v134, 24, v134
	s_delay_alu instid0(VALU_DEP_2) | instskip(SKIP_1) | instid1(VALU_DEP_3)
	v_lshlrev_b32_e32 v28, 20, v28
	v_lshl_add_u32 v144, v144, 23, 0x3c000000
	v_and_b32_e32 v134, 0x80000000, v134
	s_delay_alu instid0(VALU_DEP_1)
	v_or3_b32 v28, v28, v134, v144
.LBB405_46:                             ;   in Loop: Header=BB405_13 Depth=1
	s_or_b32 exec_lo, exec_lo, s22
.LBB405_47:                             ;   in Loop: Header=BB405_13 Depth=1
	s_delay_alu instid0(SALU_CYCLE_1)
	s_or_b32 exec_lo, exec_lo, s21
.LBB405_48:                             ;   in Loop: Header=BB405_13 Depth=1
	s_delay_alu instid0(SALU_CYCLE_1) | instskip(NEXT) | instid1(VALU_DEP_1)
	s_or_b32 exec_lo, exec_lo, s20
	v_mul_f32_e32 v28, v131, v28
	s_delay_alu instid0(VALU_DEP_1) | instskip(NEXT) | instid1(VALU_DEP_1)
	v_and_b32_e32 v134, 0x7f800000, v28
	v_cmp_ne_u32_e64 s2, 0x7f800000, v134
                                        ; implicit-def: $vgpr134
	s_delay_alu instid0(VALU_DEP_1) | instskip(NEXT) | instid1(SALU_CYCLE_1)
	s_and_saveexec_b32 s20, s2
	s_xor_b32 s2, exec_lo, s20
; %bb.49:                               ;   in Loop: Header=BB405_13 Depth=1
	v_bfe_u32 v134, v28, 16, 1
	s_delay_alu instid0(VALU_DEP_1)
	v_add3_u32 v134, v28, v134, 0x7fff
                                        ; implicit-def: $vgpr28
; %bb.50:                               ;   in Loop: Header=BB405_13 Depth=1
	s_and_not1_saveexec_b32 s20, s2
; %bb.51:                               ;   in Loop: Header=BB405_13 Depth=1
	v_and_b32_e32 v134, 0xffff, v28
	v_or_b32_e32 v144, 0x10000, v28
	s_delay_alu instid0(VALU_DEP_2) | instskip(NEXT) | instid1(VALU_DEP_1)
	v_cmp_eq_u32_e64 s2, 0, v134
	v_cndmask_b32_e64 v134, v144, v28, s2
; %bb.52:                               ;   in Loop: Header=BB405_13 Depth=1
	s_or_b32 exec_lo, exec_lo, s20
	v_mov_b32_e32 v28, 0
	s_mov_b32 s20, exec_lo
	v_cmpx_lt_u32_e32 0xffffff, v135
	s_cbranch_execz .LBB405_60
; %bb.53:                               ;   in Loop: Header=BB405_13 Depth=1
	v_lshrrev_b32_e32 v144, 24, v135
	v_bfrev_b32_e32 v28, 1
	s_mov_b32 s21, exec_lo
	s_delay_alu instid0(VALU_DEP_2)
	v_cmpx_ne_u32_e32 0x80, v144
	s_cbranch_execz .LBB405_59
; %bb.54:                               ;   in Loop: Header=BB405_13 Depth=1
	v_bfe_u32 v145, v135, 24, 7
	v_mov_b32_e32 v28, 0x7f800001
	s_mov_b32 s22, exec_lo
	s_delay_alu instid0(VALU_DEP_2)
	v_cmpx_ne_u32_e32 0x7f, v145
	s_cbranch_execz .LBB405_58
; %bb.55:                               ;   in Loop: Header=BB405_13 Depth=1
	v_and_b32_e32 v28, 7, v144
	v_lshrrev_b32_e32 v135, 3, v145
	s_mov_b32 s23, exec_lo
	v_cmpx_gt_u32_e32 8, v145
; %bb.56:                               ;   in Loop: Header=BB405_13 Depth=1
	s_delay_alu instid0(VALU_DEP_3) | instskip(NEXT) | instid1(VALU_DEP_1)
	v_clz_i32_u32_e32 v135, v28
	v_min_u32_e32 v135, 32, v135
	s_delay_alu instid0(VALU_DEP_1) | instskip(SKIP_1) | instid1(VALU_DEP_2)
	v_subrev_nc_u32_e32 v145, 28, v135
	v_sub_nc_u32_e32 v135, 29, v135
	v_lshlrev_b64 v[145:146], v145, v[28:29]
	s_delay_alu instid0(VALU_DEP_1)
	v_and_b32_e32 v28, 7, v145
; %bb.57:                               ;   in Loop: Header=BB405_13 Depth=1
	s_or_b32 exec_lo, exec_lo, s23
	v_lshlrev_b32_e32 v144, 24, v144
	s_delay_alu instid0(VALU_DEP_2) | instskip(SKIP_1) | instid1(VALU_DEP_3)
	v_lshlrev_b32_e32 v28, 20, v28
	v_lshl_add_u32 v135, v135, 23, 0x3c000000
	v_and_b32_e32 v144, 0x80000000, v144
	s_delay_alu instid0(VALU_DEP_1)
	v_or3_b32 v28, v28, v144, v135
.LBB405_58:                             ;   in Loop: Header=BB405_13 Depth=1
	s_or_b32 exec_lo, exec_lo, s22
.LBB405_59:                             ;   in Loop: Header=BB405_13 Depth=1
	s_delay_alu instid0(SALU_CYCLE_1)
	s_or_b32 exec_lo, exec_lo, s21
.LBB405_60:                             ;   in Loop: Header=BB405_13 Depth=1
	s_delay_alu instid0(SALU_CYCLE_1) | instskip(NEXT) | instid1(VALU_DEP_1)
	s_or_b32 exec_lo, exec_lo, s20
	v_mul_f32_e32 v28, v131, v28
	s_delay_alu instid0(VALU_DEP_1) | instskip(NEXT) | instid1(VALU_DEP_1)
	v_and_b32_e32 v135, 0x7f800000, v28
	v_cmp_ne_u32_e64 s2, 0x7f800000, v135
                                        ; implicit-def: $vgpr135
	s_delay_alu instid0(VALU_DEP_1) | instskip(NEXT) | instid1(SALU_CYCLE_1)
	s_and_saveexec_b32 s20, s2
	s_xor_b32 s2, exec_lo, s20
; %bb.61:                               ;   in Loop: Header=BB405_13 Depth=1
	v_bfe_u32 v135, v28, 16, 1
	s_delay_alu instid0(VALU_DEP_1)
	v_add3_u32 v135, v28, v135, 0x7fff
                                        ; implicit-def: $vgpr28
; %bb.62:                               ;   in Loop: Header=BB405_13 Depth=1
	s_and_not1_saveexec_b32 s20, s2
; %bb.63:                               ;   in Loop: Header=BB405_13 Depth=1
	v_and_b32_e32 v135, 0xffff, v28
	v_or_b32_e32 v144, 0x10000, v28
	s_delay_alu instid0(VALU_DEP_2) | instskip(NEXT) | instid1(VALU_DEP_1)
	v_cmp_eq_u32_e64 s2, 0, v135
	v_cndmask_b32_e64 v135, v144, v28, s2
; %bb.64:                               ;   in Loop: Header=BB405_13 Depth=1
	s_or_b32 exec_lo, exec_lo, s20
	flat_load_b32 v147, v[80:81] offset:8
	v_mov_b32_e32 v28, 0
	s_mov_b32 s20, exec_lo
	s_waitcnt vmcnt(0) lgkmcnt(0)
	v_and_b32_e32 v144, 0xff, v147
	s_delay_alu instid0(VALU_DEP_1)
	v_cmpx_ne_u16_e64 0, v144
	s_cbranch_execz .LBB405_72
; %bb.65:                               ;   in Loop: Header=BB405_13 Depth=1
	v_bfrev_b32_e32 v28, 1
	s_mov_b32 s21, exec_lo
	v_cmpx_ne_u16_e64 0x80, v144
	s_cbranch_execz .LBB405_71
; %bb.66:                               ;   in Loop: Header=BB405_13 Depth=1
	v_and_b32_e32 v145, 0x7f, v147
	v_mov_b32_e32 v28, 0x7f800001
	s_mov_b32 s22, exec_lo
	s_delay_alu instid0(VALU_DEP_2)
	v_cmpx_ne_u32_e32 0x7f, v145
	s_cbranch_execz .LBB405_70
; %bb.67:                               ;   in Loop: Header=BB405_13 Depth=1
	v_and_b32_e32 v28, 7, v147
	v_lshrrev_b32_e32 v144, 3, v145
	s_mov_b32 s23, exec_lo
	v_cmpx_gt_u32_e32 8, v145
; %bb.68:                               ;   in Loop: Header=BB405_13 Depth=1
	s_delay_alu instid0(VALU_DEP_3) | instskip(NEXT) | instid1(VALU_DEP_1)
	v_clz_i32_u32_e32 v144, v28
	v_min_u32_e32 v144, 32, v144
	s_delay_alu instid0(VALU_DEP_1) | instskip(SKIP_1) | instid1(VALU_DEP_2)
	v_subrev_nc_u32_e32 v145, 28, v144
	v_sub_nc_u32_e32 v144, 29, v144
	v_lshlrev_b64 v[145:146], v145, v[28:29]
	s_delay_alu instid0(VALU_DEP_1)
	v_and_b32_e32 v28, 7, v145
; %bb.69:                               ;   in Loop: Header=BB405_13 Depth=1
	s_or_b32 exec_lo, exec_lo, s23
	v_lshlrev_b32_e32 v145, 24, v147
	s_delay_alu instid0(VALU_DEP_2) | instskip(SKIP_1) | instid1(VALU_DEP_3)
	v_lshlrev_b32_e32 v28, 20, v28
	v_lshl_add_u32 v144, v144, 23, 0x3c000000
	v_and_b32_e32 v145, 0x80000000, v145
	s_delay_alu instid0(VALU_DEP_1)
	v_or3_b32 v28, v28, v145, v144
.LBB405_70:                             ;   in Loop: Header=BB405_13 Depth=1
	s_or_b32 exec_lo, exec_lo, s22
.LBB405_71:                             ;   in Loop: Header=BB405_13 Depth=1
	s_delay_alu instid0(SALU_CYCLE_1)
	s_or_b32 exec_lo, exec_lo, s21
.LBB405_72:                             ;   in Loop: Header=BB405_13 Depth=1
	s_delay_alu instid0(SALU_CYCLE_1) | instskip(NEXT) | instid1(VALU_DEP_1)
	s_or_b32 exec_lo, exec_lo, s20
	v_mul_f32_e32 v28, v131, v28
	s_delay_alu instid0(VALU_DEP_1) | instskip(NEXT) | instid1(VALU_DEP_1)
	v_and_b32_e32 v144, 0x7f800000, v28
	v_cmp_ne_u32_e64 s2, 0x7f800000, v144
                                        ; implicit-def: $vgpr144
	s_delay_alu instid0(VALU_DEP_1) | instskip(NEXT) | instid1(SALU_CYCLE_1)
	s_and_saveexec_b32 s20, s2
	s_xor_b32 s2, exec_lo, s20
; %bb.73:                               ;   in Loop: Header=BB405_13 Depth=1
	v_bfe_u32 v144, v28, 16, 1
	s_delay_alu instid0(VALU_DEP_1)
	v_add3_u32 v144, v28, v144, 0x7fff
                                        ; implicit-def: $vgpr28
; %bb.74:                               ;   in Loop: Header=BB405_13 Depth=1
	s_and_not1_saveexec_b32 s20, s2
; %bb.75:                               ;   in Loop: Header=BB405_13 Depth=1
	v_and_b32_e32 v144, 0xffff, v28
	v_or_b32_e32 v145, 0x10000, v28
	s_delay_alu instid0(VALU_DEP_2) | instskip(NEXT) | instid1(VALU_DEP_1)
	v_cmp_eq_u32_e64 s2, 0, v144
	v_cndmask_b32_e64 v144, v145, v28, s2
; %bb.76:                               ;   in Loop: Header=BB405_13 Depth=1
	s_or_b32 exec_lo, exec_lo, s20
	v_lshrrev_b16 v145, 8, v147
	v_mov_b32_e32 v28, 0
	s_mov_b32 s20, exec_lo
	s_delay_alu instid0(VALU_DEP_2)
	v_cmpx_ne_u16_e64 0, v145
	s_cbranch_execz .LBB405_84
; %bb.77:                               ;   in Loop: Header=BB405_13 Depth=1
	v_bfrev_b32_e32 v28, 1
	s_mov_b32 s21, exec_lo
	v_cmpx_ne_u16_e64 0x80, v145
	s_cbranch_execz .LBB405_83
; %bb.78:                               ;   in Loop: Header=BB405_13 Depth=1
	v_and_b32_e32 v145, 0xffff, v145
	v_mov_b32_e32 v28, 0x7f800001
	s_mov_b32 s22, exec_lo
	s_delay_alu instid0(VALU_DEP_2) | instskip(NEXT) | instid1(VALU_DEP_1)
	v_and_b32_e32 v146, 0x7f, v145
	v_cmpx_ne_u32_e32 0x7f, v146
	s_cbranch_execz .LBB405_82
; %bb.79:                               ;   in Loop: Header=BB405_13 Depth=1
	v_and_b32_e32 v28, 7, v145
	v_lshrrev_b32_e32 v145, 3, v146
	s_mov_b32 s23, exec_lo
	v_cmpx_gt_u32_e32 8, v146
; %bb.80:                               ;   in Loop: Header=BB405_13 Depth=1
	s_delay_alu instid0(VALU_DEP_3) | instskip(NEXT) | instid1(VALU_DEP_1)
	v_clz_i32_u32_e32 v145, v28
	v_min_u32_e32 v145, 32, v145
	s_delay_alu instid0(VALU_DEP_1) | instskip(SKIP_1) | instid1(VALU_DEP_2)
	v_subrev_nc_u32_e32 v146, 28, v145
	v_sub_nc_u32_e32 v145, 29, v145
	v_lshlrev_b64 v[148:149], v146, v[28:29]
	s_delay_alu instid0(VALU_DEP_1)
	v_and_b32_e32 v28, 7, v148
; %bb.81:                               ;   in Loop: Header=BB405_13 Depth=1
	s_or_b32 exec_lo, exec_lo, s23
	v_lshlrev_b32_e32 v146, 16, v147
	s_delay_alu instid0(VALU_DEP_2) | instskip(SKIP_1) | instid1(VALU_DEP_3)
	v_lshlrev_b32_e32 v28, 20, v28
	v_lshl_add_u32 v145, v145, 23, 0x3c000000
	v_and_b32_e32 v146, 0x80000000, v146
	s_delay_alu instid0(VALU_DEP_1)
	v_or3_b32 v28, v28, v146, v145
.LBB405_82:                             ;   in Loop: Header=BB405_13 Depth=1
	s_or_b32 exec_lo, exec_lo, s22
.LBB405_83:                             ;   in Loop: Header=BB405_13 Depth=1
	s_delay_alu instid0(SALU_CYCLE_1)
	s_or_b32 exec_lo, exec_lo, s21
.LBB405_84:                             ;   in Loop: Header=BB405_13 Depth=1
	s_delay_alu instid0(SALU_CYCLE_1) | instskip(NEXT) | instid1(VALU_DEP_1)
	s_or_b32 exec_lo, exec_lo, s20
	v_mul_f32_e32 v28, v131, v28
	s_delay_alu instid0(VALU_DEP_1) | instskip(NEXT) | instid1(VALU_DEP_1)
	v_and_b32_e32 v145, 0x7f800000, v28
	v_cmp_ne_u32_e64 s2, 0x7f800000, v145
                                        ; implicit-def: $vgpr145
	s_delay_alu instid0(VALU_DEP_1) | instskip(NEXT) | instid1(SALU_CYCLE_1)
	s_and_saveexec_b32 s20, s2
	s_xor_b32 s2, exec_lo, s20
; %bb.85:                               ;   in Loop: Header=BB405_13 Depth=1
	v_bfe_u32 v145, v28, 16, 1
	s_delay_alu instid0(VALU_DEP_1)
	v_add3_u32 v145, v28, v145, 0x7fff
                                        ; implicit-def: $vgpr28
; %bb.86:                               ;   in Loop: Header=BB405_13 Depth=1
	s_and_not1_saveexec_b32 s20, s2
; %bb.87:                               ;   in Loop: Header=BB405_13 Depth=1
	v_and_b32_e32 v145, 0xffff, v28
	v_or_b32_e32 v146, 0x10000, v28
	s_delay_alu instid0(VALU_DEP_2) | instskip(NEXT) | instid1(VALU_DEP_1)
	v_cmp_eq_u32_e64 s2, 0, v145
	v_cndmask_b32_e64 v145, v146, v28, s2
; %bb.88:                               ;   in Loop: Header=BB405_13 Depth=1
	s_or_b32 exec_lo, exec_lo, s20
	v_lshrrev_b32_e32 v146, 16, v147
	v_mov_b32_e32 v28, 0
	s_mov_b32 s20, exec_lo
	s_delay_alu instid0(VALU_DEP_2) | instskip(NEXT) | instid1(VALU_DEP_1)
	v_and_b32_e32 v148, 0xff, v146
	v_cmpx_ne_u16_e64 0, v148
	s_cbranch_execz .LBB405_96
; %bb.89:                               ;   in Loop: Header=BB405_13 Depth=1
	v_bfrev_b32_e32 v28, 1
	s_mov_b32 s21, exec_lo
	v_cmpx_ne_u16_e64 0x80, v148
	s_cbranch_execz .LBB405_95
; %bb.90:                               ;   in Loop: Header=BB405_13 Depth=1
	v_bfe_u32 v149, v147, 16, 7
	v_mov_b32_e32 v28, 0x7f800001
	s_mov_b32 s22, exec_lo
	s_delay_alu instid0(VALU_DEP_2)
	v_cmpx_ne_u32_e32 0x7f, v149
	s_cbranch_execz .LBB405_94
; %bb.91:                               ;   in Loop: Header=BB405_13 Depth=1
	v_and_b32_e32 v28, 7, v146
	v_lshrrev_b32_e32 v148, 3, v149
	s_mov_b32 s23, exec_lo
	v_cmpx_gt_u32_e32 8, v149
; %bb.92:                               ;   in Loop: Header=BB405_13 Depth=1
	s_delay_alu instid0(VALU_DEP_3) | instskip(NEXT) | instid1(VALU_DEP_1)
	v_clz_i32_u32_e32 v148, v28
	v_min_u32_e32 v148, 32, v148
	s_delay_alu instid0(VALU_DEP_1) | instskip(SKIP_1) | instid1(VALU_DEP_2)
	v_subrev_nc_u32_e32 v149, 28, v148
	v_sub_nc_u32_e32 v148, 29, v148
	v_lshlrev_b64 v[149:150], v149, v[28:29]
	s_delay_alu instid0(VALU_DEP_1)
	v_and_b32_e32 v28, 7, v149
; %bb.93:                               ;   in Loop: Header=BB405_13 Depth=1
	s_or_b32 exec_lo, exec_lo, s23
	v_lshlrev_b32_e32 v146, 24, v146
	s_delay_alu instid0(VALU_DEP_2) | instskip(SKIP_1) | instid1(VALU_DEP_3)
	v_lshlrev_b32_e32 v28, 20, v28
	v_lshl_add_u32 v148, v148, 23, 0x3c000000
	v_and_b32_e32 v146, 0x80000000, v146
	s_delay_alu instid0(VALU_DEP_1)
	v_or3_b32 v28, v28, v146, v148
.LBB405_94:                             ;   in Loop: Header=BB405_13 Depth=1
	s_or_b32 exec_lo, exec_lo, s22
.LBB405_95:                             ;   in Loop: Header=BB405_13 Depth=1
	s_delay_alu instid0(SALU_CYCLE_1)
	s_or_b32 exec_lo, exec_lo, s21
.LBB405_96:                             ;   in Loop: Header=BB405_13 Depth=1
	s_delay_alu instid0(SALU_CYCLE_1) | instskip(NEXT) | instid1(VALU_DEP_1)
	s_or_b32 exec_lo, exec_lo, s20
	v_mul_f32_e32 v28, v131, v28
	s_delay_alu instid0(VALU_DEP_1) | instskip(NEXT) | instid1(VALU_DEP_1)
	v_and_b32_e32 v146, 0x7f800000, v28
	v_cmp_ne_u32_e64 s2, 0x7f800000, v146
                                        ; implicit-def: $vgpr146
	s_delay_alu instid0(VALU_DEP_1) | instskip(NEXT) | instid1(SALU_CYCLE_1)
	s_and_saveexec_b32 s20, s2
	s_xor_b32 s2, exec_lo, s20
; %bb.97:                               ;   in Loop: Header=BB405_13 Depth=1
	v_bfe_u32 v146, v28, 16, 1
	s_delay_alu instid0(VALU_DEP_1)
	v_add3_u32 v146, v28, v146, 0x7fff
                                        ; implicit-def: $vgpr28
; %bb.98:                               ;   in Loop: Header=BB405_13 Depth=1
	s_and_not1_saveexec_b32 s20, s2
; %bb.99:                               ;   in Loop: Header=BB405_13 Depth=1
	v_and_b32_e32 v146, 0xffff, v28
	v_or_b32_e32 v148, 0x10000, v28
	s_delay_alu instid0(VALU_DEP_2) | instskip(NEXT) | instid1(VALU_DEP_1)
	v_cmp_eq_u32_e64 s2, 0, v146
	v_cndmask_b32_e64 v146, v148, v28, s2
; %bb.100:                              ;   in Loop: Header=BB405_13 Depth=1
	s_or_b32 exec_lo, exec_lo, s20
	v_mov_b32_e32 v28, 0
	s_mov_b32 s20, exec_lo
	v_cmpx_lt_u32_e32 0xffffff, v147
	s_cbranch_execz .LBB405_108
; %bb.101:                              ;   in Loop: Header=BB405_13 Depth=1
	v_lshrrev_b32_e32 v148, 24, v147
	v_bfrev_b32_e32 v28, 1
	s_mov_b32 s21, exec_lo
	s_delay_alu instid0(VALU_DEP_2)
	v_cmpx_ne_u32_e32 0x80, v148
	s_cbranch_execz .LBB405_107
; %bb.102:                              ;   in Loop: Header=BB405_13 Depth=1
	v_bfe_u32 v149, v147, 24, 7
	v_mov_b32_e32 v28, 0x7f800001
	s_mov_b32 s22, exec_lo
	s_delay_alu instid0(VALU_DEP_2)
	v_cmpx_ne_u32_e32 0x7f, v149
	s_cbranch_execz .LBB405_106
; %bb.103:                              ;   in Loop: Header=BB405_13 Depth=1
	v_and_b32_e32 v28, 7, v148
	v_lshrrev_b32_e32 v147, 3, v149
	s_mov_b32 s23, exec_lo
	v_cmpx_gt_u32_e32 8, v149
; %bb.104:                              ;   in Loop: Header=BB405_13 Depth=1
	s_delay_alu instid0(VALU_DEP_3) | instskip(NEXT) | instid1(VALU_DEP_1)
	v_clz_i32_u32_e32 v147, v28
	v_min_u32_e32 v147, 32, v147
	s_delay_alu instid0(VALU_DEP_1) | instskip(SKIP_1) | instid1(VALU_DEP_2)
	v_subrev_nc_u32_e32 v149, 28, v147
	v_sub_nc_u32_e32 v147, 29, v147
	v_lshlrev_b64 v[149:150], v149, v[28:29]
	s_delay_alu instid0(VALU_DEP_1)
	v_and_b32_e32 v28, 7, v149
; %bb.105:                              ;   in Loop: Header=BB405_13 Depth=1
	s_or_b32 exec_lo, exec_lo, s23
	v_lshlrev_b32_e32 v148, 24, v148
	s_delay_alu instid0(VALU_DEP_2) | instskip(SKIP_1) | instid1(VALU_DEP_3)
	v_lshlrev_b32_e32 v28, 20, v28
	v_lshl_add_u32 v147, v147, 23, 0x3c000000
	v_and_b32_e32 v148, 0x80000000, v148
	s_delay_alu instid0(VALU_DEP_1)
	v_or3_b32 v28, v28, v148, v147
.LBB405_106:                            ;   in Loop: Header=BB405_13 Depth=1
	s_or_b32 exec_lo, exec_lo, s22
.LBB405_107:                            ;   in Loop: Header=BB405_13 Depth=1
	s_delay_alu instid0(SALU_CYCLE_1)
	s_or_b32 exec_lo, exec_lo, s21
.LBB405_108:                            ;   in Loop: Header=BB405_13 Depth=1
	s_delay_alu instid0(SALU_CYCLE_1) | instskip(NEXT) | instid1(VALU_DEP_1)
	s_or_b32 exec_lo, exec_lo, s20
	v_mul_f32_e32 v28, v131, v28
	s_delay_alu instid0(VALU_DEP_1) | instskip(NEXT) | instid1(VALU_DEP_1)
	v_and_b32_e32 v147, 0x7f800000, v28
	v_cmp_ne_u32_e64 s2, 0x7f800000, v147
                                        ; implicit-def: $vgpr147
	s_delay_alu instid0(VALU_DEP_1) | instskip(NEXT) | instid1(SALU_CYCLE_1)
	s_and_saveexec_b32 s20, s2
	s_xor_b32 s2, exec_lo, s20
; %bb.109:                              ;   in Loop: Header=BB405_13 Depth=1
	v_bfe_u32 v147, v28, 16, 1
	s_delay_alu instid0(VALU_DEP_1)
	v_add3_u32 v147, v28, v147, 0x7fff
                                        ; implicit-def: $vgpr28
; %bb.110:                              ;   in Loop: Header=BB405_13 Depth=1
	s_and_not1_saveexec_b32 s20, s2
; %bb.111:                              ;   in Loop: Header=BB405_13 Depth=1
	v_and_b32_e32 v147, 0xffff, v28
	v_or_b32_e32 v148, 0x10000, v28
	s_delay_alu instid0(VALU_DEP_2) | instskip(NEXT) | instid1(VALU_DEP_1)
	v_cmp_eq_u32_e64 s2, 0, v147
	v_cndmask_b32_e64 v147, v148, v28, s2
; %bb.112:                              ;   in Loop: Header=BB405_13 Depth=1
	s_or_b32 exec_lo, exec_lo, s20
	flat_load_b32 v151, v[80:81] offset:256
	v_mov_b32_e32 v28, 0
	s_mov_b32 s20, exec_lo
	s_waitcnt vmcnt(0) lgkmcnt(0)
	v_and_b32_e32 v148, 0xff, v151
	s_delay_alu instid0(VALU_DEP_1)
	v_cmpx_ne_u16_e64 0, v148
	s_cbranch_execz .LBB405_120
; %bb.113:                              ;   in Loop: Header=BB405_13 Depth=1
	v_bfrev_b32_e32 v28, 1
	s_mov_b32 s21, exec_lo
	v_cmpx_ne_u16_e64 0x80, v148
	s_cbranch_execz .LBB405_119
; %bb.114:                              ;   in Loop: Header=BB405_13 Depth=1
	v_and_b32_e32 v149, 0x7f, v151
	v_mov_b32_e32 v28, 0x7f800001
	s_mov_b32 s22, exec_lo
	s_delay_alu instid0(VALU_DEP_2)
	v_cmpx_ne_u32_e32 0x7f, v149
	s_cbranch_execz .LBB405_118
; %bb.115:                              ;   in Loop: Header=BB405_13 Depth=1
	v_and_b32_e32 v28, 7, v151
	v_lshrrev_b32_e32 v148, 3, v149
	s_mov_b32 s23, exec_lo
	v_cmpx_gt_u32_e32 8, v149
; %bb.116:                              ;   in Loop: Header=BB405_13 Depth=1
	s_delay_alu instid0(VALU_DEP_3) | instskip(NEXT) | instid1(VALU_DEP_1)
	v_clz_i32_u32_e32 v148, v28
	v_min_u32_e32 v148, 32, v148
	s_delay_alu instid0(VALU_DEP_1) | instskip(SKIP_1) | instid1(VALU_DEP_2)
	v_subrev_nc_u32_e32 v149, 28, v148
	v_sub_nc_u32_e32 v148, 29, v148
	v_lshlrev_b64 v[149:150], v149, v[28:29]
	s_delay_alu instid0(VALU_DEP_1)
	v_and_b32_e32 v28, 7, v149
; %bb.117:                              ;   in Loop: Header=BB405_13 Depth=1
	s_or_b32 exec_lo, exec_lo, s23
	v_lshlrev_b32_e32 v149, 24, v151
	s_delay_alu instid0(VALU_DEP_2) | instskip(SKIP_1) | instid1(VALU_DEP_3)
	v_lshlrev_b32_e32 v28, 20, v28
	v_lshl_add_u32 v148, v148, 23, 0x3c000000
	v_and_b32_e32 v149, 0x80000000, v149
	s_delay_alu instid0(VALU_DEP_1)
	v_or3_b32 v28, v28, v149, v148
.LBB405_118:                            ;   in Loop: Header=BB405_13 Depth=1
	s_or_b32 exec_lo, exec_lo, s22
.LBB405_119:                            ;   in Loop: Header=BB405_13 Depth=1
	s_delay_alu instid0(SALU_CYCLE_1)
	s_or_b32 exec_lo, exec_lo, s21
.LBB405_120:                            ;   in Loop: Header=BB405_13 Depth=1
	s_delay_alu instid0(SALU_CYCLE_1) | instskip(NEXT) | instid1(VALU_DEP_1)
	s_or_b32 exec_lo, exec_lo, s20
	v_mul_f32_e32 v28, v131, v28
	s_delay_alu instid0(VALU_DEP_1) | instskip(NEXT) | instid1(VALU_DEP_1)
	v_and_b32_e32 v148, 0x7f800000, v28
	v_cmp_ne_u32_e64 s2, 0x7f800000, v148
                                        ; implicit-def: $vgpr148
	s_delay_alu instid0(VALU_DEP_1) | instskip(NEXT) | instid1(SALU_CYCLE_1)
	s_and_saveexec_b32 s20, s2
	s_xor_b32 s2, exec_lo, s20
; %bb.121:                              ;   in Loop: Header=BB405_13 Depth=1
	v_bfe_u32 v148, v28, 16, 1
	s_delay_alu instid0(VALU_DEP_1)
	v_add3_u32 v148, v28, v148, 0x7fff
                                        ; implicit-def: $vgpr28
; %bb.122:                              ;   in Loop: Header=BB405_13 Depth=1
	s_and_not1_saveexec_b32 s20, s2
; %bb.123:                              ;   in Loop: Header=BB405_13 Depth=1
	v_and_b32_e32 v148, 0xffff, v28
	v_or_b32_e32 v149, 0x10000, v28
	s_delay_alu instid0(VALU_DEP_2) | instskip(NEXT) | instid1(VALU_DEP_1)
	v_cmp_eq_u32_e64 s2, 0, v148
	v_cndmask_b32_e64 v148, v149, v28, s2
; %bb.124:                              ;   in Loop: Header=BB405_13 Depth=1
	s_or_b32 exec_lo, exec_lo, s20
	v_lshrrev_b16 v149, 8, v151
	v_mov_b32_e32 v28, 0
	s_mov_b32 s20, exec_lo
	s_delay_alu instid0(VALU_DEP_2)
	v_cmpx_ne_u16_e64 0, v149
	s_cbranch_execz .LBB405_132
; %bb.125:                              ;   in Loop: Header=BB405_13 Depth=1
	v_bfrev_b32_e32 v28, 1
	s_mov_b32 s21, exec_lo
	v_cmpx_ne_u16_e64 0x80, v149
	s_cbranch_execz .LBB405_131
; %bb.126:                              ;   in Loop: Header=BB405_13 Depth=1
	v_and_b32_e32 v149, 0xffff, v149
	v_mov_b32_e32 v28, 0x7f800001
	s_mov_b32 s22, exec_lo
	s_delay_alu instid0(VALU_DEP_2) | instskip(NEXT) | instid1(VALU_DEP_1)
	v_and_b32_e32 v150, 0x7f, v149
	v_cmpx_ne_u32_e32 0x7f, v150
	s_cbranch_execz .LBB405_130
; %bb.127:                              ;   in Loop: Header=BB405_13 Depth=1
	v_and_b32_e32 v28, 7, v149
	v_lshrrev_b32_e32 v149, 3, v150
	s_mov_b32 s23, exec_lo
	v_cmpx_gt_u32_e32 8, v150
; %bb.128:                              ;   in Loop: Header=BB405_13 Depth=1
	s_delay_alu instid0(VALU_DEP_3) | instskip(NEXT) | instid1(VALU_DEP_1)
	v_clz_i32_u32_e32 v149, v28
	v_min_u32_e32 v149, 32, v149
	s_delay_alu instid0(VALU_DEP_1) | instskip(SKIP_1) | instid1(VALU_DEP_2)
	v_subrev_nc_u32_e32 v150, 28, v149
	v_sub_nc_u32_e32 v149, 29, v149
	v_lshlrev_b64 v[160:161], v150, v[28:29]
	s_delay_alu instid0(VALU_DEP_1)
	v_and_b32_e32 v28, 7, v160
; %bb.129:                              ;   in Loop: Header=BB405_13 Depth=1
	s_or_b32 exec_lo, exec_lo, s23
	v_lshlrev_b32_e32 v150, 16, v151
	s_delay_alu instid0(VALU_DEP_2) | instskip(SKIP_1) | instid1(VALU_DEP_3)
	v_lshlrev_b32_e32 v28, 20, v28
	v_lshl_add_u32 v149, v149, 23, 0x3c000000
	v_and_b32_e32 v150, 0x80000000, v150
	s_delay_alu instid0(VALU_DEP_1)
	v_or3_b32 v28, v28, v150, v149
.LBB405_130:                            ;   in Loop: Header=BB405_13 Depth=1
	s_or_b32 exec_lo, exec_lo, s22
.LBB405_131:                            ;   in Loop: Header=BB405_13 Depth=1
	s_delay_alu instid0(SALU_CYCLE_1)
	s_or_b32 exec_lo, exec_lo, s21
.LBB405_132:                            ;   in Loop: Header=BB405_13 Depth=1
	s_delay_alu instid0(SALU_CYCLE_1) | instskip(NEXT) | instid1(VALU_DEP_1)
	s_or_b32 exec_lo, exec_lo, s20
	v_mul_f32_e32 v28, v131, v28
	s_delay_alu instid0(VALU_DEP_1) | instskip(NEXT) | instid1(VALU_DEP_1)
	v_and_b32_e32 v149, 0x7f800000, v28
	v_cmp_ne_u32_e64 s2, 0x7f800000, v149
                                        ; implicit-def: $vgpr149
	s_delay_alu instid0(VALU_DEP_1) | instskip(NEXT) | instid1(SALU_CYCLE_1)
	s_and_saveexec_b32 s20, s2
	s_xor_b32 s2, exec_lo, s20
; %bb.133:                              ;   in Loop: Header=BB405_13 Depth=1
	v_bfe_u32 v149, v28, 16, 1
	s_delay_alu instid0(VALU_DEP_1)
	v_add3_u32 v149, v28, v149, 0x7fff
                                        ; implicit-def: $vgpr28
; %bb.134:                              ;   in Loop: Header=BB405_13 Depth=1
	s_and_not1_saveexec_b32 s20, s2
; %bb.135:                              ;   in Loop: Header=BB405_13 Depth=1
	v_and_b32_e32 v149, 0xffff, v28
	v_or_b32_e32 v150, 0x10000, v28
	s_delay_alu instid0(VALU_DEP_2) | instskip(NEXT) | instid1(VALU_DEP_1)
	v_cmp_eq_u32_e64 s2, 0, v149
	v_cndmask_b32_e64 v149, v150, v28, s2
; %bb.136:                              ;   in Loop: Header=BB405_13 Depth=1
	s_or_b32 exec_lo, exec_lo, s20
	v_lshrrev_b32_e32 v150, 16, v151
	v_mov_b32_e32 v28, 0
	s_mov_b32 s20, exec_lo
	s_delay_alu instid0(VALU_DEP_2) | instskip(NEXT) | instid1(VALU_DEP_1)
	v_and_b32_e32 v160, 0xff, v150
	v_cmpx_ne_u16_e64 0, v160
	s_cbranch_execz .LBB405_144
; %bb.137:                              ;   in Loop: Header=BB405_13 Depth=1
	v_bfrev_b32_e32 v28, 1
	s_mov_b32 s21, exec_lo
	v_cmpx_ne_u16_e64 0x80, v160
	s_cbranch_execz .LBB405_143
; %bb.138:                              ;   in Loop: Header=BB405_13 Depth=1
	v_bfe_u32 v161, v151, 16, 7
	v_mov_b32_e32 v28, 0x7f800001
	s_mov_b32 s22, exec_lo
	s_delay_alu instid0(VALU_DEP_2)
	v_cmpx_ne_u32_e32 0x7f, v161
	s_cbranch_execz .LBB405_142
; %bb.139:                              ;   in Loop: Header=BB405_13 Depth=1
	v_and_b32_e32 v28, 7, v150
	v_lshrrev_b32_e32 v160, 3, v161
	s_mov_b32 s23, exec_lo
	v_cmpx_gt_u32_e32 8, v161
; %bb.140:                              ;   in Loop: Header=BB405_13 Depth=1
	s_delay_alu instid0(VALU_DEP_3) | instskip(NEXT) | instid1(VALU_DEP_1)
	v_clz_i32_u32_e32 v160, v28
	v_min_u32_e32 v160, 32, v160
	s_delay_alu instid0(VALU_DEP_1) | instskip(SKIP_1) | instid1(VALU_DEP_2)
	v_subrev_nc_u32_e32 v161, 28, v160
	v_sub_nc_u32_e32 v160, 29, v160
	v_lshlrev_b64 v[161:162], v161, v[28:29]
	s_delay_alu instid0(VALU_DEP_1)
	v_and_b32_e32 v28, 7, v161
; %bb.141:                              ;   in Loop: Header=BB405_13 Depth=1
	s_or_b32 exec_lo, exec_lo, s23
	v_lshlrev_b32_e32 v150, 24, v150
	s_delay_alu instid0(VALU_DEP_2) | instskip(SKIP_1) | instid1(VALU_DEP_3)
	v_lshlrev_b32_e32 v28, 20, v28
	v_lshl_add_u32 v160, v160, 23, 0x3c000000
	v_and_b32_e32 v150, 0x80000000, v150
	s_delay_alu instid0(VALU_DEP_1)
	v_or3_b32 v28, v28, v150, v160
.LBB405_142:                            ;   in Loop: Header=BB405_13 Depth=1
	s_or_b32 exec_lo, exec_lo, s22
.LBB405_143:                            ;   in Loop: Header=BB405_13 Depth=1
	s_delay_alu instid0(SALU_CYCLE_1)
	s_or_b32 exec_lo, exec_lo, s21
.LBB405_144:                            ;   in Loop: Header=BB405_13 Depth=1
	s_delay_alu instid0(SALU_CYCLE_1) | instskip(NEXT) | instid1(VALU_DEP_1)
	s_or_b32 exec_lo, exec_lo, s20
	v_mul_f32_e32 v28, v131, v28
	s_delay_alu instid0(VALU_DEP_1) | instskip(NEXT) | instid1(VALU_DEP_1)
	v_and_b32_e32 v150, 0x7f800000, v28
	v_cmp_ne_u32_e64 s2, 0x7f800000, v150
                                        ; implicit-def: $vgpr150
	s_delay_alu instid0(VALU_DEP_1) | instskip(NEXT) | instid1(SALU_CYCLE_1)
	s_and_saveexec_b32 s20, s2
	s_xor_b32 s2, exec_lo, s20
; %bb.145:                              ;   in Loop: Header=BB405_13 Depth=1
	v_bfe_u32 v150, v28, 16, 1
	s_delay_alu instid0(VALU_DEP_1)
	v_add3_u32 v150, v28, v150, 0x7fff
                                        ; implicit-def: $vgpr28
; %bb.146:                              ;   in Loop: Header=BB405_13 Depth=1
	s_and_not1_saveexec_b32 s20, s2
; %bb.147:                              ;   in Loop: Header=BB405_13 Depth=1
	v_and_b32_e32 v150, 0xffff, v28
	v_or_b32_e32 v160, 0x10000, v28
	s_delay_alu instid0(VALU_DEP_2) | instskip(NEXT) | instid1(VALU_DEP_1)
	v_cmp_eq_u32_e64 s2, 0, v150
	v_cndmask_b32_e64 v150, v160, v28, s2
; %bb.148:                              ;   in Loop: Header=BB405_13 Depth=1
	s_or_b32 exec_lo, exec_lo, s20
	v_mov_b32_e32 v28, 0
	s_mov_b32 s20, exec_lo
	v_cmpx_lt_u32_e32 0xffffff, v151
	s_cbranch_execz .LBB405_156
; %bb.149:                              ;   in Loop: Header=BB405_13 Depth=1
	v_lshrrev_b32_e32 v160, 24, v151
	v_bfrev_b32_e32 v28, 1
	s_mov_b32 s21, exec_lo
	s_delay_alu instid0(VALU_DEP_2)
	v_cmpx_ne_u32_e32 0x80, v160
	s_cbranch_execz .LBB405_155
; %bb.150:                              ;   in Loop: Header=BB405_13 Depth=1
	v_bfe_u32 v161, v151, 24, 7
	v_mov_b32_e32 v28, 0x7f800001
	s_mov_b32 s22, exec_lo
	s_delay_alu instid0(VALU_DEP_2)
	v_cmpx_ne_u32_e32 0x7f, v161
	s_cbranch_execz .LBB405_154
; %bb.151:                              ;   in Loop: Header=BB405_13 Depth=1
	v_and_b32_e32 v28, 7, v160
	v_lshrrev_b32_e32 v151, 3, v161
	s_mov_b32 s23, exec_lo
	v_cmpx_gt_u32_e32 8, v161
; %bb.152:                              ;   in Loop: Header=BB405_13 Depth=1
	s_delay_alu instid0(VALU_DEP_3) | instskip(NEXT) | instid1(VALU_DEP_1)
	v_clz_i32_u32_e32 v151, v28
	v_min_u32_e32 v151, 32, v151
	s_delay_alu instid0(VALU_DEP_1) | instskip(SKIP_1) | instid1(VALU_DEP_2)
	v_subrev_nc_u32_e32 v161, 28, v151
	v_sub_nc_u32_e32 v151, 29, v151
	v_lshlrev_b64 v[161:162], v161, v[28:29]
	s_delay_alu instid0(VALU_DEP_1)
	v_and_b32_e32 v28, 7, v161
; %bb.153:                              ;   in Loop: Header=BB405_13 Depth=1
	s_or_b32 exec_lo, exec_lo, s23
	v_lshlrev_b32_e32 v160, 24, v160
	s_delay_alu instid0(VALU_DEP_2) | instskip(SKIP_1) | instid1(VALU_DEP_3)
	v_lshlrev_b32_e32 v28, 20, v28
	v_lshl_add_u32 v151, v151, 23, 0x3c000000
	v_and_b32_e32 v160, 0x80000000, v160
	s_delay_alu instid0(VALU_DEP_1)
	v_or3_b32 v28, v28, v160, v151
.LBB405_154:                            ;   in Loop: Header=BB405_13 Depth=1
	s_or_b32 exec_lo, exec_lo, s22
.LBB405_155:                            ;   in Loop: Header=BB405_13 Depth=1
	s_delay_alu instid0(SALU_CYCLE_1)
	s_or_b32 exec_lo, exec_lo, s21
.LBB405_156:                            ;   in Loop: Header=BB405_13 Depth=1
	s_delay_alu instid0(SALU_CYCLE_1) | instskip(NEXT) | instid1(VALU_DEP_1)
	s_or_b32 exec_lo, exec_lo, s20
	v_mul_f32_e32 v28, v131, v28
	s_delay_alu instid0(VALU_DEP_1) | instskip(NEXT) | instid1(VALU_DEP_1)
	v_and_b32_e32 v151, 0x7f800000, v28
	v_cmp_ne_u32_e64 s2, 0x7f800000, v151
                                        ; implicit-def: $vgpr151
	s_delay_alu instid0(VALU_DEP_1) | instskip(NEXT) | instid1(SALU_CYCLE_1)
	s_and_saveexec_b32 s20, s2
	s_xor_b32 s2, exec_lo, s20
; %bb.157:                              ;   in Loop: Header=BB405_13 Depth=1
	v_bfe_u32 v151, v28, 16, 1
	s_delay_alu instid0(VALU_DEP_1)
	v_add3_u32 v151, v28, v151, 0x7fff
                                        ; implicit-def: $vgpr28
; %bb.158:                              ;   in Loop: Header=BB405_13 Depth=1
	s_and_not1_saveexec_b32 s20, s2
; %bb.159:                              ;   in Loop: Header=BB405_13 Depth=1
	v_and_b32_e32 v151, 0xffff, v28
	v_or_b32_e32 v160, 0x10000, v28
	s_delay_alu instid0(VALU_DEP_2) | instskip(NEXT) | instid1(VALU_DEP_1)
	v_cmp_eq_u32_e64 s2, 0, v151
	v_cndmask_b32_e64 v151, v160, v28, s2
; %bb.160:                              ;   in Loop: Header=BB405_13 Depth=1
	s_or_b32 exec_lo, exec_lo, s20
	flat_load_b32 v163, v[80:81] offset:264
	v_mov_b32_e32 v28, 0
	s_mov_b32 s20, exec_lo
	s_waitcnt vmcnt(0) lgkmcnt(0)
	v_and_b32_e32 v160, 0xff, v163
	s_delay_alu instid0(VALU_DEP_1)
	v_cmpx_ne_u16_e64 0, v160
	s_cbranch_execz .LBB405_168
; %bb.161:                              ;   in Loop: Header=BB405_13 Depth=1
	v_bfrev_b32_e32 v28, 1
	s_mov_b32 s21, exec_lo
	v_cmpx_ne_u16_e64 0x80, v160
	s_cbranch_execz .LBB405_167
; %bb.162:                              ;   in Loop: Header=BB405_13 Depth=1
	v_and_b32_e32 v161, 0x7f, v163
	v_mov_b32_e32 v28, 0x7f800001
	s_mov_b32 s22, exec_lo
	s_delay_alu instid0(VALU_DEP_2)
	v_cmpx_ne_u32_e32 0x7f, v161
	s_cbranch_execz .LBB405_166
; %bb.163:                              ;   in Loop: Header=BB405_13 Depth=1
	v_and_b32_e32 v28, 7, v163
	v_lshrrev_b32_e32 v160, 3, v161
	s_mov_b32 s23, exec_lo
	v_cmpx_gt_u32_e32 8, v161
; %bb.164:                              ;   in Loop: Header=BB405_13 Depth=1
	s_delay_alu instid0(VALU_DEP_3) | instskip(NEXT) | instid1(VALU_DEP_1)
	v_clz_i32_u32_e32 v160, v28
	v_min_u32_e32 v160, 32, v160
	s_delay_alu instid0(VALU_DEP_1) | instskip(SKIP_1) | instid1(VALU_DEP_2)
	v_subrev_nc_u32_e32 v161, 28, v160
	v_sub_nc_u32_e32 v160, 29, v160
	v_lshlrev_b64 v[161:162], v161, v[28:29]
	s_delay_alu instid0(VALU_DEP_1)
	v_and_b32_e32 v28, 7, v161
; %bb.165:                              ;   in Loop: Header=BB405_13 Depth=1
	s_or_b32 exec_lo, exec_lo, s23
	v_lshlrev_b32_e32 v161, 24, v163
	s_delay_alu instid0(VALU_DEP_2) | instskip(SKIP_1) | instid1(VALU_DEP_3)
	v_lshlrev_b32_e32 v28, 20, v28
	v_lshl_add_u32 v160, v160, 23, 0x3c000000
	v_and_b32_e32 v161, 0x80000000, v161
	s_delay_alu instid0(VALU_DEP_1)
	v_or3_b32 v28, v28, v161, v160
.LBB405_166:                            ;   in Loop: Header=BB405_13 Depth=1
	s_or_b32 exec_lo, exec_lo, s22
.LBB405_167:                            ;   in Loop: Header=BB405_13 Depth=1
	s_delay_alu instid0(SALU_CYCLE_1)
	s_or_b32 exec_lo, exec_lo, s21
.LBB405_168:                            ;   in Loop: Header=BB405_13 Depth=1
	s_delay_alu instid0(SALU_CYCLE_1) | instskip(NEXT) | instid1(VALU_DEP_1)
	s_or_b32 exec_lo, exec_lo, s20
	v_mul_f32_e32 v28, v131, v28
	s_delay_alu instid0(VALU_DEP_1) | instskip(NEXT) | instid1(VALU_DEP_1)
	v_and_b32_e32 v160, 0x7f800000, v28
	v_cmp_ne_u32_e64 s2, 0x7f800000, v160
                                        ; implicit-def: $vgpr160
	s_delay_alu instid0(VALU_DEP_1) | instskip(NEXT) | instid1(SALU_CYCLE_1)
	s_and_saveexec_b32 s20, s2
	s_xor_b32 s2, exec_lo, s20
; %bb.169:                              ;   in Loop: Header=BB405_13 Depth=1
	v_bfe_u32 v160, v28, 16, 1
	s_delay_alu instid0(VALU_DEP_1)
	v_add3_u32 v160, v28, v160, 0x7fff
                                        ; implicit-def: $vgpr28
; %bb.170:                              ;   in Loop: Header=BB405_13 Depth=1
	s_and_not1_saveexec_b32 s20, s2
; %bb.171:                              ;   in Loop: Header=BB405_13 Depth=1
	v_and_b32_e32 v160, 0xffff, v28
	v_or_b32_e32 v161, 0x10000, v28
	s_delay_alu instid0(VALU_DEP_2) | instskip(NEXT) | instid1(VALU_DEP_1)
	v_cmp_eq_u32_e64 s2, 0, v160
	v_cndmask_b32_e64 v160, v161, v28, s2
; %bb.172:                              ;   in Loop: Header=BB405_13 Depth=1
	s_or_b32 exec_lo, exec_lo, s20
	v_lshrrev_b16 v161, 8, v163
	v_mov_b32_e32 v28, 0
	s_mov_b32 s20, exec_lo
	s_delay_alu instid0(VALU_DEP_2)
	v_cmpx_ne_u16_e64 0, v161
	s_cbranch_execz .LBB405_180
; %bb.173:                              ;   in Loop: Header=BB405_13 Depth=1
	v_bfrev_b32_e32 v28, 1
	s_mov_b32 s21, exec_lo
	v_cmpx_ne_u16_e64 0x80, v161
	s_cbranch_execz .LBB405_179
; %bb.174:                              ;   in Loop: Header=BB405_13 Depth=1
	v_and_b32_e32 v161, 0xffff, v161
	v_mov_b32_e32 v28, 0x7f800001
	s_mov_b32 s22, exec_lo
	s_delay_alu instid0(VALU_DEP_2) | instskip(NEXT) | instid1(VALU_DEP_1)
	v_and_b32_e32 v162, 0x7f, v161
	v_cmpx_ne_u32_e32 0x7f, v162
	s_cbranch_execz .LBB405_178
; %bb.175:                              ;   in Loop: Header=BB405_13 Depth=1
	v_and_b32_e32 v28, 7, v161
	v_lshrrev_b32_e32 v161, 3, v162
	s_mov_b32 s23, exec_lo
	v_cmpx_gt_u32_e32 8, v162
; %bb.176:                              ;   in Loop: Header=BB405_13 Depth=1
	s_delay_alu instid0(VALU_DEP_3) | instskip(NEXT) | instid1(VALU_DEP_1)
	v_clz_i32_u32_e32 v161, v28
	v_min_u32_e32 v161, 32, v161
	s_delay_alu instid0(VALU_DEP_1) | instskip(SKIP_1) | instid1(VALU_DEP_2)
	v_subrev_nc_u32_e32 v162, 28, v161
	v_sub_nc_u32_e32 v161, 29, v161
	v_lshlrev_b64 v[164:165], v162, v[28:29]
	s_delay_alu instid0(VALU_DEP_1)
	v_and_b32_e32 v28, 7, v164
; %bb.177:                              ;   in Loop: Header=BB405_13 Depth=1
	s_or_b32 exec_lo, exec_lo, s23
	v_lshlrev_b32_e32 v162, 16, v163
	s_delay_alu instid0(VALU_DEP_2) | instskip(SKIP_1) | instid1(VALU_DEP_3)
	v_lshlrev_b32_e32 v28, 20, v28
	v_lshl_add_u32 v161, v161, 23, 0x3c000000
	v_and_b32_e32 v162, 0x80000000, v162
	s_delay_alu instid0(VALU_DEP_1)
	v_or3_b32 v28, v28, v162, v161
.LBB405_178:                            ;   in Loop: Header=BB405_13 Depth=1
	s_or_b32 exec_lo, exec_lo, s22
.LBB405_179:                            ;   in Loop: Header=BB405_13 Depth=1
	s_delay_alu instid0(SALU_CYCLE_1)
	s_or_b32 exec_lo, exec_lo, s21
.LBB405_180:                            ;   in Loop: Header=BB405_13 Depth=1
	s_delay_alu instid0(SALU_CYCLE_1) | instskip(NEXT) | instid1(VALU_DEP_1)
	s_or_b32 exec_lo, exec_lo, s20
	v_mul_f32_e32 v28, v131, v28
	s_delay_alu instid0(VALU_DEP_1) | instskip(NEXT) | instid1(VALU_DEP_1)
	v_and_b32_e32 v161, 0x7f800000, v28
	v_cmp_ne_u32_e64 s2, 0x7f800000, v161
                                        ; implicit-def: $vgpr161
	s_delay_alu instid0(VALU_DEP_1) | instskip(NEXT) | instid1(SALU_CYCLE_1)
	s_and_saveexec_b32 s20, s2
	s_xor_b32 s2, exec_lo, s20
; %bb.181:                              ;   in Loop: Header=BB405_13 Depth=1
	v_bfe_u32 v161, v28, 16, 1
	s_delay_alu instid0(VALU_DEP_1)
	v_add3_u32 v161, v28, v161, 0x7fff
                                        ; implicit-def: $vgpr28
; %bb.182:                              ;   in Loop: Header=BB405_13 Depth=1
	s_and_not1_saveexec_b32 s20, s2
; %bb.183:                              ;   in Loop: Header=BB405_13 Depth=1
	v_and_b32_e32 v161, 0xffff, v28
	v_or_b32_e32 v162, 0x10000, v28
	s_delay_alu instid0(VALU_DEP_2) | instskip(NEXT) | instid1(VALU_DEP_1)
	v_cmp_eq_u32_e64 s2, 0, v161
	v_cndmask_b32_e64 v161, v162, v28, s2
; %bb.184:                              ;   in Loop: Header=BB405_13 Depth=1
	s_or_b32 exec_lo, exec_lo, s20
	v_lshrrev_b32_e32 v162, 16, v163
	v_mov_b32_e32 v28, 0
	s_mov_b32 s20, exec_lo
	s_delay_alu instid0(VALU_DEP_2) | instskip(NEXT) | instid1(VALU_DEP_1)
	v_and_b32_e32 v164, 0xff, v162
	v_cmpx_ne_u16_e64 0, v164
	s_cbranch_execz .LBB405_192
; %bb.185:                              ;   in Loop: Header=BB405_13 Depth=1
	v_bfrev_b32_e32 v28, 1
	s_mov_b32 s21, exec_lo
	v_cmpx_ne_u16_e64 0x80, v164
	s_cbranch_execz .LBB405_191
; %bb.186:                              ;   in Loop: Header=BB405_13 Depth=1
	v_bfe_u32 v165, v163, 16, 7
	v_mov_b32_e32 v28, 0x7f800001
	s_mov_b32 s22, exec_lo
	s_delay_alu instid0(VALU_DEP_2)
	v_cmpx_ne_u32_e32 0x7f, v165
	s_cbranch_execz .LBB405_190
; %bb.187:                              ;   in Loop: Header=BB405_13 Depth=1
	v_and_b32_e32 v28, 7, v162
	v_lshrrev_b32_e32 v164, 3, v165
	s_mov_b32 s23, exec_lo
	v_cmpx_gt_u32_e32 8, v165
; %bb.188:                              ;   in Loop: Header=BB405_13 Depth=1
	s_delay_alu instid0(VALU_DEP_3) | instskip(NEXT) | instid1(VALU_DEP_1)
	v_clz_i32_u32_e32 v164, v28
	v_min_u32_e32 v164, 32, v164
	s_delay_alu instid0(VALU_DEP_1) | instskip(SKIP_1) | instid1(VALU_DEP_2)
	v_subrev_nc_u32_e32 v165, 28, v164
	v_sub_nc_u32_e32 v164, 29, v164
	v_lshlrev_b64 v[165:166], v165, v[28:29]
	s_delay_alu instid0(VALU_DEP_1)
	v_and_b32_e32 v28, 7, v165
; %bb.189:                              ;   in Loop: Header=BB405_13 Depth=1
	s_or_b32 exec_lo, exec_lo, s23
	v_lshlrev_b32_e32 v162, 24, v162
	s_delay_alu instid0(VALU_DEP_2) | instskip(SKIP_1) | instid1(VALU_DEP_3)
	v_lshlrev_b32_e32 v28, 20, v28
	v_lshl_add_u32 v164, v164, 23, 0x3c000000
	v_and_b32_e32 v162, 0x80000000, v162
	s_delay_alu instid0(VALU_DEP_1)
	v_or3_b32 v28, v28, v162, v164
.LBB405_190:                            ;   in Loop: Header=BB405_13 Depth=1
	s_or_b32 exec_lo, exec_lo, s22
.LBB405_191:                            ;   in Loop: Header=BB405_13 Depth=1
	s_delay_alu instid0(SALU_CYCLE_1)
	s_or_b32 exec_lo, exec_lo, s21
.LBB405_192:                            ;   in Loop: Header=BB405_13 Depth=1
	s_delay_alu instid0(SALU_CYCLE_1) | instskip(NEXT) | instid1(VALU_DEP_1)
	s_or_b32 exec_lo, exec_lo, s20
	v_mul_f32_e32 v28, v131, v28
	s_delay_alu instid0(VALU_DEP_1) | instskip(NEXT) | instid1(VALU_DEP_1)
	v_and_b32_e32 v162, 0x7f800000, v28
	v_cmp_ne_u32_e64 s2, 0x7f800000, v162
                                        ; implicit-def: $vgpr162
	s_delay_alu instid0(VALU_DEP_1) | instskip(NEXT) | instid1(SALU_CYCLE_1)
	s_and_saveexec_b32 s20, s2
	s_xor_b32 s2, exec_lo, s20
; %bb.193:                              ;   in Loop: Header=BB405_13 Depth=1
	v_bfe_u32 v162, v28, 16, 1
	s_delay_alu instid0(VALU_DEP_1)
	v_add3_u32 v162, v28, v162, 0x7fff
                                        ; implicit-def: $vgpr28
; %bb.194:                              ;   in Loop: Header=BB405_13 Depth=1
	s_and_not1_saveexec_b32 s20, s2
; %bb.195:                              ;   in Loop: Header=BB405_13 Depth=1
	v_and_b32_e32 v162, 0xffff, v28
	v_or_b32_e32 v164, 0x10000, v28
	s_delay_alu instid0(VALU_DEP_2) | instskip(NEXT) | instid1(VALU_DEP_1)
	v_cmp_eq_u32_e64 s2, 0, v162
	v_cndmask_b32_e64 v162, v164, v28, s2
; %bb.196:                              ;   in Loop: Header=BB405_13 Depth=1
	s_or_b32 exec_lo, exec_lo, s20
	v_mov_b32_e32 v28, 0
	s_mov_b32 s20, exec_lo
	v_cmpx_lt_u32_e32 0xffffff, v163
	s_cbranch_execz .LBB405_204
; %bb.197:                              ;   in Loop: Header=BB405_13 Depth=1
	v_lshrrev_b32_e32 v164, 24, v163
	v_bfrev_b32_e32 v28, 1
	s_mov_b32 s21, exec_lo
	s_delay_alu instid0(VALU_DEP_2)
	v_cmpx_ne_u32_e32 0x80, v164
	s_cbranch_execz .LBB405_203
; %bb.198:                              ;   in Loop: Header=BB405_13 Depth=1
	v_bfe_u32 v165, v163, 24, 7
	v_mov_b32_e32 v28, 0x7f800001
	s_mov_b32 s22, exec_lo
	s_delay_alu instid0(VALU_DEP_2)
	v_cmpx_ne_u32_e32 0x7f, v165
	s_cbranch_execz .LBB405_202
; %bb.199:                              ;   in Loop: Header=BB405_13 Depth=1
	v_and_b32_e32 v28, 7, v164
	v_lshrrev_b32_e32 v163, 3, v165
	s_mov_b32 s23, exec_lo
	v_cmpx_gt_u32_e32 8, v165
; %bb.200:                              ;   in Loop: Header=BB405_13 Depth=1
	s_delay_alu instid0(VALU_DEP_3) | instskip(NEXT) | instid1(VALU_DEP_1)
	v_clz_i32_u32_e32 v163, v28
	v_min_u32_e32 v163, 32, v163
	s_delay_alu instid0(VALU_DEP_1) | instskip(SKIP_1) | instid1(VALU_DEP_2)
	v_subrev_nc_u32_e32 v165, 28, v163
	v_sub_nc_u32_e32 v163, 29, v163
	v_lshlrev_b64 v[165:166], v165, v[28:29]
	s_delay_alu instid0(VALU_DEP_1)
	v_and_b32_e32 v28, 7, v165
; %bb.201:                              ;   in Loop: Header=BB405_13 Depth=1
	s_or_b32 exec_lo, exec_lo, s23
	v_lshlrev_b32_e32 v164, 24, v164
	s_delay_alu instid0(VALU_DEP_2) | instskip(SKIP_1) | instid1(VALU_DEP_3)
	v_lshlrev_b32_e32 v28, 20, v28
	v_lshl_add_u32 v163, v163, 23, 0x3c000000
	v_and_b32_e32 v164, 0x80000000, v164
	s_delay_alu instid0(VALU_DEP_1)
	v_or3_b32 v28, v28, v164, v163
.LBB405_202:                            ;   in Loop: Header=BB405_13 Depth=1
	s_or_b32 exec_lo, exec_lo, s22
.LBB405_203:                            ;   in Loop: Header=BB405_13 Depth=1
	s_delay_alu instid0(SALU_CYCLE_1)
	s_or_b32 exec_lo, exec_lo, s21
.LBB405_204:                            ;   in Loop: Header=BB405_13 Depth=1
	s_delay_alu instid0(SALU_CYCLE_1) | instskip(NEXT) | instid1(VALU_DEP_1)
	s_or_b32 exec_lo, exec_lo, s20
	v_mul_f32_e32 v28, v131, v28
	s_delay_alu instid0(VALU_DEP_1) | instskip(NEXT) | instid1(VALU_DEP_1)
	v_and_b32_e32 v163, 0x7f800000, v28
	v_cmp_ne_u32_e64 s2, 0x7f800000, v163
                                        ; implicit-def: $vgpr163
	s_delay_alu instid0(VALU_DEP_1) | instskip(NEXT) | instid1(SALU_CYCLE_1)
	s_and_saveexec_b32 s20, s2
	s_xor_b32 s2, exec_lo, s20
; %bb.205:                              ;   in Loop: Header=BB405_13 Depth=1
	v_bfe_u32 v163, v28, 16, 1
	s_delay_alu instid0(VALU_DEP_1)
	v_add3_u32 v163, v28, v163, 0x7fff
                                        ; implicit-def: $vgpr28
; %bb.206:                              ;   in Loop: Header=BB405_13 Depth=1
	s_and_not1_saveexec_b32 s20, s2
; %bb.207:                              ;   in Loop: Header=BB405_13 Depth=1
	v_and_b32_e32 v163, 0xffff, v28
	v_or_b32_e32 v164, 0x10000, v28
	s_delay_alu instid0(VALU_DEP_2) | instskip(NEXT) | instid1(VALU_DEP_1)
	v_cmp_eq_u32_e64 s2, 0, v163
	v_cndmask_b32_e64 v163, v164, v28, s2
; %bb.208:                              ;   in Loop: Header=BB405_13 Depth=1
	s_or_b32 exec_lo, exec_lo, s20
	flat_load_b32 v167, v[80:81] offset:512
	v_mov_b32_e32 v28, 0
	s_mov_b32 s20, exec_lo
	s_waitcnt vmcnt(0) lgkmcnt(0)
	v_and_b32_e32 v164, 0xff, v167
	s_delay_alu instid0(VALU_DEP_1)
	v_cmpx_ne_u16_e64 0, v164
	s_cbranch_execz .LBB405_216
; %bb.209:                              ;   in Loop: Header=BB405_13 Depth=1
	v_bfrev_b32_e32 v28, 1
	s_mov_b32 s21, exec_lo
	v_cmpx_ne_u16_e64 0x80, v164
	s_cbranch_execz .LBB405_215
; %bb.210:                              ;   in Loop: Header=BB405_13 Depth=1
	v_and_b32_e32 v165, 0x7f, v167
	v_mov_b32_e32 v28, 0x7f800001
	s_mov_b32 s22, exec_lo
	s_delay_alu instid0(VALU_DEP_2)
	v_cmpx_ne_u32_e32 0x7f, v165
	s_cbranch_execz .LBB405_214
; %bb.211:                              ;   in Loop: Header=BB405_13 Depth=1
	v_and_b32_e32 v28, 7, v167
	v_lshrrev_b32_e32 v164, 3, v165
	s_mov_b32 s23, exec_lo
	v_cmpx_gt_u32_e32 8, v165
; %bb.212:                              ;   in Loop: Header=BB405_13 Depth=1
	s_delay_alu instid0(VALU_DEP_3) | instskip(NEXT) | instid1(VALU_DEP_1)
	v_clz_i32_u32_e32 v164, v28
	v_min_u32_e32 v164, 32, v164
	s_delay_alu instid0(VALU_DEP_1) | instskip(SKIP_1) | instid1(VALU_DEP_2)
	v_subrev_nc_u32_e32 v165, 28, v164
	v_sub_nc_u32_e32 v164, 29, v164
	v_lshlrev_b64 v[165:166], v165, v[28:29]
	s_delay_alu instid0(VALU_DEP_1)
	v_and_b32_e32 v28, 7, v165
; %bb.213:                              ;   in Loop: Header=BB405_13 Depth=1
	s_or_b32 exec_lo, exec_lo, s23
	v_lshlrev_b32_e32 v165, 24, v167
	s_delay_alu instid0(VALU_DEP_2) | instskip(SKIP_1) | instid1(VALU_DEP_3)
	v_lshlrev_b32_e32 v28, 20, v28
	v_lshl_add_u32 v164, v164, 23, 0x3c000000
	v_and_b32_e32 v165, 0x80000000, v165
	s_delay_alu instid0(VALU_DEP_1)
	v_or3_b32 v28, v28, v165, v164
.LBB405_214:                            ;   in Loop: Header=BB405_13 Depth=1
	s_or_b32 exec_lo, exec_lo, s22
.LBB405_215:                            ;   in Loop: Header=BB405_13 Depth=1
	s_delay_alu instid0(SALU_CYCLE_1)
	s_or_b32 exec_lo, exec_lo, s21
.LBB405_216:                            ;   in Loop: Header=BB405_13 Depth=1
	s_delay_alu instid0(SALU_CYCLE_1) | instskip(NEXT) | instid1(VALU_DEP_1)
	s_or_b32 exec_lo, exec_lo, s20
	v_mul_f32_e32 v28, v131, v28
	s_delay_alu instid0(VALU_DEP_1) | instskip(NEXT) | instid1(VALU_DEP_1)
	v_and_b32_e32 v164, 0x7f800000, v28
	v_cmp_ne_u32_e64 s2, 0x7f800000, v164
                                        ; implicit-def: $vgpr164
	s_delay_alu instid0(VALU_DEP_1) | instskip(NEXT) | instid1(SALU_CYCLE_1)
	s_and_saveexec_b32 s20, s2
	s_xor_b32 s2, exec_lo, s20
; %bb.217:                              ;   in Loop: Header=BB405_13 Depth=1
	v_bfe_u32 v164, v28, 16, 1
	s_delay_alu instid0(VALU_DEP_1)
	v_add3_u32 v164, v28, v164, 0x7fff
                                        ; implicit-def: $vgpr28
; %bb.218:                              ;   in Loop: Header=BB405_13 Depth=1
	s_and_not1_saveexec_b32 s20, s2
; %bb.219:                              ;   in Loop: Header=BB405_13 Depth=1
	v_and_b32_e32 v164, 0xffff, v28
	v_or_b32_e32 v165, 0x10000, v28
	s_delay_alu instid0(VALU_DEP_2) | instskip(NEXT) | instid1(VALU_DEP_1)
	v_cmp_eq_u32_e64 s2, 0, v164
	v_cndmask_b32_e64 v164, v165, v28, s2
; %bb.220:                              ;   in Loop: Header=BB405_13 Depth=1
	s_or_b32 exec_lo, exec_lo, s20
	v_lshrrev_b16 v165, 8, v167
	v_mov_b32_e32 v28, 0
	s_mov_b32 s20, exec_lo
	s_delay_alu instid0(VALU_DEP_2)
	v_cmpx_ne_u16_e64 0, v165
	s_cbranch_execz .LBB405_228
; %bb.221:                              ;   in Loop: Header=BB405_13 Depth=1
	v_bfrev_b32_e32 v28, 1
	s_mov_b32 s21, exec_lo
	v_cmpx_ne_u16_e64 0x80, v165
	s_cbranch_execz .LBB405_227
; %bb.222:                              ;   in Loop: Header=BB405_13 Depth=1
	v_and_b32_e32 v165, 0xffff, v165
	v_mov_b32_e32 v28, 0x7f800001
	s_mov_b32 s22, exec_lo
	s_delay_alu instid0(VALU_DEP_2) | instskip(NEXT) | instid1(VALU_DEP_1)
	v_and_b32_e32 v166, 0x7f, v165
	v_cmpx_ne_u32_e32 0x7f, v166
	s_cbranch_execz .LBB405_226
; %bb.223:                              ;   in Loop: Header=BB405_13 Depth=1
	v_and_b32_e32 v28, 7, v165
	v_lshrrev_b32_e32 v165, 3, v166
	s_mov_b32 s23, exec_lo
	v_cmpx_gt_u32_e32 8, v166
; %bb.224:                              ;   in Loop: Header=BB405_13 Depth=1
	s_delay_alu instid0(VALU_DEP_3) | instskip(NEXT) | instid1(VALU_DEP_1)
	v_clz_i32_u32_e32 v165, v28
	v_min_u32_e32 v165, 32, v165
	s_delay_alu instid0(VALU_DEP_1) | instskip(SKIP_1) | instid1(VALU_DEP_2)
	v_subrev_nc_u32_e32 v166, 28, v165
	v_sub_nc_u32_e32 v165, 29, v165
	v_lshlrev_b64 v[176:177], v166, v[28:29]
	s_delay_alu instid0(VALU_DEP_1)
	v_and_b32_e32 v28, 7, v176
; %bb.225:                              ;   in Loop: Header=BB405_13 Depth=1
	s_or_b32 exec_lo, exec_lo, s23
	v_lshlrev_b32_e32 v166, 16, v167
	s_delay_alu instid0(VALU_DEP_2) | instskip(SKIP_1) | instid1(VALU_DEP_3)
	v_lshlrev_b32_e32 v28, 20, v28
	v_lshl_add_u32 v165, v165, 23, 0x3c000000
	v_and_b32_e32 v166, 0x80000000, v166
	s_delay_alu instid0(VALU_DEP_1)
	v_or3_b32 v28, v28, v166, v165
.LBB405_226:                            ;   in Loop: Header=BB405_13 Depth=1
	s_or_b32 exec_lo, exec_lo, s22
.LBB405_227:                            ;   in Loop: Header=BB405_13 Depth=1
	s_delay_alu instid0(SALU_CYCLE_1)
	s_or_b32 exec_lo, exec_lo, s21
.LBB405_228:                            ;   in Loop: Header=BB405_13 Depth=1
	s_delay_alu instid0(SALU_CYCLE_1) | instskip(NEXT) | instid1(VALU_DEP_1)
	s_or_b32 exec_lo, exec_lo, s20
	v_mul_f32_e32 v28, v131, v28
	s_delay_alu instid0(VALU_DEP_1) | instskip(NEXT) | instid1(VALU_DEP_1)
	v_and_b32_e32 v165, 0x7f800000, v28
	v_cmp_ne_u32_e64 s2, 0x7f800000, v165
                                        ; implicit-def: $vgpr165
	s_delay_alu instid0(VALU_DEP_1) | instskip(NEXT) | instid1(SALU_CYCLE_1)
	s_and_saveexec_b32 s20, s2
	s_xor_b32 s2, exec_lo, s20
; %bb.229:                              ;   in Loop: Header=BB405_13 Depth=1
	v_bfe_u32 v165, v28, 16, 1
	s_delay_alu instid0(VALU_DEP_1)
	v_add3_u32 v165, v28, v165, 0x7fff
                                        ; implicit-def: $vgpr28
; %bb.230:                              ;   in Loop: Header=BB405_13 Depth=1
	s_and_not1_saveexec_b32 s20, s2
; %bb.231:                              ;   in Loop: Header=BB405_13 Depth=1
	v_and_b32_e32 v165, 0xffff, v28
	v_or_b32_e32 v166, 0x10000, v28
	s_delay_alu instid0(VALU_DEP_2) | instskip(NEXT) | instid1(VALU_DEP_1)
	v_cmp_eq_u32_e64 s2, 0, v165
	v_cndmask_b32_e64 v165, v166, v28, s2
; %bb.232:                              ;   in Loop: Header=BB405_13 Depth=1
	s_or_b32 exec_lo, exec_lo, s20
	v_lshrrev_b32_e32 v166, 16, v167
	v_mov_b32_e32 v28, 0
	s_mov_b32 s20, exec_lo
	s_delay_alu instid0(VALU_DEP_2) | instskip(NEXT) | instid1(VALU_DEP_1)
	v_and_b32_e32 v176, 0xff, v166
	v_cmpx_ne_u16_e64 0, v176
	s_cbranch_execz .LBB405_240
; %bb.233:                              ;   in Loop: Header=BB405_13 Depth=1
	v_bfrev_b32_e32 v28, 1
	s_mov_b32 s21, exec_lo
	v_cmpx_ne_u16_e64 0x80, v176
	s_cbranch_execz .LBB405_239
; %bb.234:                              ;   in Loop: Header=BB405_13 Depth=1
	v_bfe_u32 v177, v167, 16, 7
	v_mov_b32_e32 v28, 0x7f800001
	s_mov_b32 s22, exec_lo
	s_delay_alu instid0(VALU_DEP_2)
	v_cmpx_ne_u32_e32 0x7f, v177
	s_cbranch_execz .LBB405_238
; %bb.235:                              ;   in Loop: Header=BB405_13 Depth=1
	v_and_b32_e32 v28, 7, v166
	v_lshrrev_b32_e32 v176, 3, v177
	s_mov_b32 s23, exec_lo
	v_cmpx_gt_u32_e32 8, v177
; %bb.236:                              ;   in Loop: Header=BB405_13 Depth=1
	s_delay_alu instid0(VALU_DEP_3) | instskip(NEXT) | instid1(VALU_DEP_1)
	v_clz_i32_u32_e32 v176, v28
	v_min_u32_e32 v176, 32, v176
	s_delay_alu instid0(VALU_DEP_1) | instskip(SKIP_1) | instid1(VALU_DEP_2)
	v_subrev_nc_u32_e32 v177, 28, v176
	v_sub_nc_u32_e32 v176, 29, v176
	v_lshlrev_b64 v[177:178], v177, v[28:29]
	s_delay_alu instid0(VALU_DEP_1)
	v_and_b32_e32 v28, 7, v177
; %bb.237:                              ;   in Loop: Header=BB405_13 Depth=1
	s_or_b32 exec_lo, exec_lo, s23
	v_lshlrev_b32_e32 v166, 24, v166
	s_delay_alu instid0(VALU_DEP_2) | instskip(SKIP_1) | instid1(VALU_DEP_3)
	v_lshlrev_b32_e32 v28, 20, v28
	v_lshl_add_u32 v176, v176, 23, 0x3c000000
	v_and_b32_e32 v166, 0x80000000, v166
	s_delay_alu instid0(VALU_DEP_1)
	v_or3_b32 v28, v28, v166, v176
.LBB405_238:                            ;   in Loop: Header=BB405_13 Depth=1
	s_or_b32 exec_lo, exec_lo, s22
.LBB405_239:                            ;   in Loop: Header=BB405_13 Depth=1
	s_delay_alu instid0(SALU_CYCLE_1)
	s_or_b32 exec_lo, exec_lo, s21
.LBB405_240:                            ;   in Loop: Header=BB405_13 Depth=1
	s_delay_alu instid0(SALU_CYCLE_1) | instskip(NEXT) | instid1(VALU_DEP_1)
	s_or_b32 exec_lo, exec_lo, s20
	v_mul_f32_e32 v28, v131, v28
	s_delay_alu instid0(VALU_DEP_1) | instskip(NEXT) | instid1(VALU_DEP_1)
	v_and_b32_e32 v166, 0x7f800000, v28
	v_cmp_ne_u32_e64 s2, 0x7f800000, v166
                                        ; implicit-def: $vgpr166
	s_delay_alu instid0(VALU_DEP_1) | instskip(NEXT) | instid1(SALU_CYCLE_1)
	s_and_saveexec_b32 s20, s2
	s_xor_b32 s2, exec_lo, s20
; %bb.241:                              ;   in Loop: Header=BB405_13 Depth=1
	v_bfe_u32 v166, v28, 16, 1
	s_delay_alu instid0(VALU_DEP_1)
	v_add3_u32 v166, v28, v166, 0x7fff
                                        ; implicit-def: $vgpr28
; %bb.242:                              ;   in Loop: Header=BB405_13 Depth=1
	s_and_not1_saveexec_b32 s20, s2
; %bb.243:                              ;   in Loop: Header=BB405_13 Depth=1
	v_and_b32_e32 v166, 0xffff, v28
	v_or_b32_e32 v176, 0x10000, v28
	s_delay_alu instid0(VALU_DEP_2) | instskip(NEXT) | instid1(VALU_DEP_1)
	v_cmp_eq_u32_e64 s2, 0, v166
	v_cndmask_b32_e64 v166, v176, v28, s2
; %bb.244:                              ;   in Loop: Header=BB405_13 Depth=1
	s_or_b32 exec_lo, exec_lo, s20
	v_mov_b32_e32 v28, 0
	s_mov_b32 s20, exec_lo
	v_cmpx_lt_u32_e32 0xffffff, v167
	s_cbranch_execz .LBB405_252
; %bb.245:                              ;   in Loop: Header=BB405_13 Depth=1
	v_lshrrev_b32_e32 v176, 24, v167
	v_bfrev_b32_e32 v28, 1
	s_mov_b32 s21, exec_lo
	s_delay_alu instid0(VALU_DEP_2)
	v_cmpx_ne_u32_e32 0x80, v176
	s_cbranch_execz .LBB405_251
; %bb.246:                              ;   in Loop: Header=BB405_13 Depth=1
	v_bfe_u32 v177, v167, 24, 7
	v_mov_b32_e32 v28, 0x7f800001
	s_mov_b32 s22, exec_lo
	s_delay_alu instid0(VALU_DEP_2)
	v_cmpx_ne_u32_e32 0x7f, v177
	s_cbranch_execz .LBB405_250
; %bb.247:                              ;   in Loop: Header=BB405_13 Depth=1
	v_and_b32_e32 v28, 7, v176
	v_lshrrev_b32_e32 v167, 3, v177
	s_mov_b32 s23, exec_lo
	v_cmpx_gt_u32_e32 8, v177
; %bb.248:                              ;   in Loop: Header=BB405_13 Depth=1
	s_delay_alu instid0(VALU_DEP_3) | instskip(NEXT) | instid1(VALU_DEP_1)
	v_clz_i32_u32_e32 v167, v28
	v_min_u32_e32 v167, 32, v167
	s_delay_alu instid0(VALU_DEP_1) | instskip(SKIP_1) | instid1(VALU_DEP_2)
	v_subrev_nc_u32_e32 v177, 28, v167
	v_sub_nc_u32_e32 v167, 29, v167
	v_lshlrev_b64 v[177:178], v177, v[28:29]
	s_delay_alu instid0(VALU_DEP_1)
	v_and_b32_e32 v28, 7, v177
; %bb.249:                              ;   in Loop: Header=BB405_13 Depth=1
	s_or_b32 exec_lo, exec_lo, s23
	v_lshlrev_b32_e32 v176, 24, v176
	s_delay_alu instid0(VALU_DEP_2) | instskip(SKIP_1) | instid1(VALU_DEP_3)
	v_lshlrev_b32_e32 v28, 20, v28
	v_lshl_add_u32 v167, v167, 23, 0x3c000000
	v_and_b32_e32 v176, 0x80000000, v176
	s_delay_alu instid0(VALU_DEP_1)
	v_or3_b32 v28, v28, v176, v167
.LBB405_250:                            ;   in Loop: Header=BB405_13 Depth=1
	s_or_b32 exec_lo, exec_lo, s22
.LBB405_251:                            ;   in Loop: Header=BB405_13 Depth=1
	s_delay_alu instid0(SALU_CYCLE_1)
	s_or_b32 exec_lo, exec_lo, s21
.LBB405_252:                            ;   in Loop: Header=BB405_13 Depth=1
	s_delay_alu instid0(SALU_CYCLE_1) | instskip(NEXT) | instid1(VALU_DEP_1)
	s_or_b32 exec_lo, exec_lo, s20
	v_mul_f32_e32 v28, v131, v28
	s_delay_alu instid0(VALU_DEP_1) | instskip(NEXT) | instid1(VALU_DEP_1)
	v_and_b32_e32 v167, 0x7f800000, v28
	v_cmp_ne_u32_e64 s2, 0x7f800000, v167
                                        ; implicit-def: $vgpr167
	s_delay_alu instid0(VALU_DEP_1) | instskip(NEXT) | instid1(SALU_CYCLE_1)
	s_and_saveexec_b32 s20, s2
	s_xor_b32 s2, exec_lo, s20
; %bb.253:                              ;   in Loop: Header=BB405_13 Depth=1
	v_bfe_u32 v167, v28, 16, 1
	s_delay_alu instid0(VALU_DEP_1)
	v_add3_u32 v167, v28, v167, 0x7fff
                                        ; implicit-def: $vgpr28
; %bb.254:                              ;   in Loop: Header=BB405_13 Depth=1
	s_and_not1_saveexec_b32 s20, s2
; %bb.255:                              ;   in Loop: Header=BB405_13 Depth=1
	v_and_b32_e32 v167, 0xffff, v28
	v_or_b32_e32 v176, 0x10000, v28
	s_delay_alu instid0(VALU_DEP_2) | instskip(NEXT) | instid1(VALU_DEP_1)
	v_cmp_eq_u32_e64 s2, 0, v167
	v_cndmask_b32_e64 v167, v176, v28, s2
; %bb.256:                              ;   in Loop: Header=BB405_13 Depth=1
	s_or_b32 exec_lo, exec_lo, s20
	flat_load_b32 v179, v[80:81] offset:520
	v_mov_b32_e32 v28, 0
	s_mov_b32 s20, exec_lo
	s_waitcnt vmcnt(0) lgkmcnt(0)
	v_and_b32_e32 v176, 0xff, v179
	s_delay_alu instid0(VALU_DEP_1)
	v_cmpx_ne_u16_e64 0, v176
	s_cbranch_execz .LBB405_264
; %bb.257:                              ;   in Loop: Header=BB405_13 Depth=1
	v_bfrev_b32_e32 v28, 1
	s_mov_b32 s21, exec_lo
	v_cmpx_ne_u16_e64 0x80, v176
	s_cbranch_execz .LBB405_263
; %bb.258:                              ;   in Loop: Header=BB405_13 Depth=1
	v_and_b32_e32 v177, 0x7f, v179
	v_mov_b32_e32 v28, 0x7f800001
	s_mov_b32 s22, exec_lo
	s_delay_alu instid0(VALU_DEP_2)
	v_cmpx_ne_u32_e32 0x7f, v177
	s_cbranch_execz .LBB405_262
; %bb.259:                              ;   in Loop: Header=BB405_13 Depth=1
	v_and_b32_e32 v28, 7, v179
	v_lshrrev_b32_e32 v176, 3, v177
	s_mov_b32 s23, exec_lo
	v_cmpx_gt_u32_e32 8, v177
; %bb.260:                              ;   in Loop: Header=BB405_13 Depth=1
	s_delay_alu instid0(VALU_DEP_3) | instskip(NEXT) | instid1(VALU_DEP_1)
	v_clz_i32_u32_e32 v176, v28
	v_min_u32_e32 v176, 32, v176
	s_delay_alu instid0(VALU_DEP_1) | instskip(SKIP_1) | instid1(VALU_DEP_2)
	v_subrev_nc_u32_e32 v177, 28, v176
	v_sub_nc_u32_e32 v176, 29, v176
	v_lshlrev_b64 v[177:178], v177, v[28:29]
	s_delay_alu instid0(VALU_DEP_1)
	v_and_b32_e32 v28, 7, v177
; %bb.261:                              ;   in Loop: Header=BB405_13 Depth=1
	s_or_b32 exec_lo, exec_lo, s23
	v_lshlrev_b32_e32 v177, 24, v179
	s_delay_alu instid0(VALU_DEP_2) | instskip(SKIP_1) | instid1(VALU_DEP_3)
	v_lshlrev_b32_e32 v28, 20, v28
	v_lshl_add_u32 v176, v176, 23, 0x3c000000
	v_and_b32_e32 v177, 0x80000000, v177
	s_delay_alu instid0(VALU_DEP_1)
	v_or3_b32 v28, v28, v177, v176
.LBB405_262:                            ;   in Loop: Header=BB405_13 Depth=1
	s_or_b32 exec_lo, exec_lo, s22
.LBB405_263:                            ;   in Loop: Header=BB405_13 Depth=1
	s_delay_alu instid0(SALU_CYCLE_1)
	s_or_b32 exec_lo, exec_lo, s21
.LBB405_264:                            ;   in Loop: Header=BB405_13 Depth=1
	s_delay_alu instid0(SALU_CYCLE_1) | instskip(NEXT) | instid1(VALU_DEP_1)
	s_or_b32 exec_lo, exec_lo, s20
	v_mul_f32_e32 v28, v131, v28
	s_delay_alu instid0(VALU_DEP_1) | instskip(NEXT) | instid1(VALU_DEP_1)
	v_and_b32_e32 v176, 0x7f800000, v28
	v_cmp_ne_u32_e64 s2, 0x7f800000, v176
                                        ; implicit-def: $vgpr176
	s_delay_alu instid0(VALU_DEP_1) | instskip(NEXT) | instid1(SALU_CYCLE_1)
	s_and_saveexec_b32 s20, s2
	s_xor_b32 s2, exec_lo, s20
; %bb.265:                              ;   in Loop: Header=BB405_13 Depth=1
	v_bfe_u32 v176, v28, 16, 1
	s_delay_alu instid0(VALU_DEP_1)
	v_add3_u32 v176, v28, v176, 0x7fff
                                        ; implicit-def: $vgpr28
; %bb.266:                              ;   in Loop: Header=BB405_13 Depth=1
	s_and_not1_saveexec_b32 s20, s2
; %bb.267:                              ;   in Loop: Header=BB405_13 Depth=1
	v_and_b32_e32 v176, 0xffff, v28
	v_or_b32_e32 v177, 0x10000, v28
	s_delay_alu instid0(VALU_DEP_2) | instskip(NEXT) | instid1(VALU_DEP_1)
	v_cmp_eq_u32_e64 s2, 0, v176
	v_cndmask_b32_e64 v176, v177, v28, s2
; %bb.268:                              ;   in Loop: Header=BB405_13 Depth=1
	s_or_b32 exec_lo, exec_lo, s20
	v_lshrrev_b16 v177, 8, v179
	v_mov_b32_e32 v28, 0
	s_mov_b32 s20, exec_lo
	s_delay_alu instid0(VALU_DEP_2)
	v_cmpx_ne_u16_e64 0, v177
	s_cbranch_execz .LBB405_276
; %bb.269:                              ;   in Loop: Header=BB405_13 Depth=1
	v_bfrev_b32_e32 v28, 1
	s_mov_b32 s21, exec_lo
	v_cmpx_ne_u16_e64 0x80, v177
	s_cbranch_execz .LBB405_275
; %bb.270:                              ;   in Loop: Header=BB405_13 Depth=1
	v_and_b32_e32 v177, 0xffff, v177
	v_mov_b32_e32 v28, 0x7f800001
	s_mov_b32 s22, exec_lo
	s_delay_alu instid0(VALU_DEP_2) | instskip(NEXT) | instid1(VALU_DEP_1)
	v_and_b32_e32 v178, 0x7f, v177
	v_cmpx_ne_u32_e32 0x7f, v178
	s_cbranch_execz .LBB405_274
; %bb.271:                              ;   in Loop: Header=BB405_13 Depth=1
	v_and_b32_e32 v28, 7, v177
	v_lshrrev_b32_e32 v177, 3, v178
	s_mov_b32 s23, exec_lo
	v_cmpx_gt_u32_e32 8, v178
; %bb.272:                              ;   in Loop: Header=BB405_13 Depth=1
	s_delay_alu instid0(VALU_DEP_3) | instskip(NEXT) | instid1(VALU_DEP_1)
	v_clz_i32_u32_e32 v177, v28
	v_min_u32_e32 v177, 32, v177
	s_delay_alu instid0(VALU_DEP_1) | instskip(SKIP_1) | instid1(VALU_DEP_2)
	v_subrev_nc_u32_e32 v178, 28, v177
	v_sub_nc_u32_e32 v177, 29, v177
	v_lshlrev_b64 v[180:181], v178, v[28:29]
	s_delay_alu instid0(VALU_DEP_1)
	v_and_b32_e32 v28, 7, v180
; %bb.273:                              ;   in Loop: Header=BB405_13 Depth=1
	s_or_b32 exec_lo, exec_lo, s23
	v_lshlrev_b32_e32 v178, 16, v179
	s_delay_alu instid0(VALU_DEP_2) | instskip(SKIP_1) | instid1(VALU_DEP_3)
	v_lshlrev_b32_e32 v28, 20, v28
	v_lshl_add_u32 v177, v177, 23, 0x3c000000
	v_and_b32_e32 v178, 0x80000000, v178
	s_delay_alu instid0(VALU_DEP_1)
	v_or3_b32 v28, v28, v178, v177
.LBB405_274:                            ;   in Loop: Header=BB405_13 Depth=1
	s_or_b32 exec_lo, exec_lo, s22
.LBB405_275:                            ;   in Loop: Header=BB405_13 Depth=1
	s_delay_alu instid0(SALU_CYCLE_1)
	s_or_b32 exec_lo, exec_lo, s21
.LBB405_276:                            ;   in Loop: Header=BB405_13 Depth=1
	s_delay_alu instid0(SALU_CYCLE_1) | instskip(NEXT) | instid1(VALU_DEP_1)
	s_or_b32 exec_lo, exec_lo, s20
	v_mul_f32_e32 v28, v131, v28
	s_delay_alu instid0(VALU_DEP_1) | instskip(NEXT) | instid1(VALU_DEP_1)
	v_and_b32_e32 v177, 0x7f800000, v28
	v_cmp_ne_u32_e64 s2, 0x7f800000, v177
                                        ; implicit-def: $vgpr177
	s_delay_alu instid0(VALU_DEP_1) | instskip(NEXT) | instid1(SALU_CYCLE_1)
	s_and_saveexec_b32 s20, s2
	s_xor_b32 s2, exec_lo, s20
; %bb.277:                              ;   in Loop: Header=BB405_13 Depth=1
	v_bfe_u32 v177, v28, 16, 1
	s_delay_alu instid0(VALU_DEP_1)
	v_add3_u32 v177, v28, v177, 0x7fff
                                        ; implicit-def: $vgpr28
; %bb.278:                              ;   in Loop: Header=BB405_13 Depth=1
	s_and_not1_saveexec_b32 s20, s2
; %bb.279:                              ;   in Loop: Header=BB405_13 Depth=1
	v_and_b32_e32 v177, 0xffff, v28
	v_or_b32_e32 v178, 0x10000, v28
	s_delay_alu instid0(VALU_DEP_2) | instskip(NEXT) | instid1(VALU_DEP_1)
	v_cmp_eq_u32_e64 s2, 0, v177
	v_cndmask_b32_e64 v177, v178, v28, s2
; %bb.280:                              ;   in Loop: Header=BB405_13 Depth=1
	s_or_b32 exec_lo, exec_lo, s20
	v_lshrrev_b32_e32 v178, 16, v179
	v_mov_b32_e32 v28, 0
	s_mov_b32 s20, exec_lo
	s_delay_alu instid0(VALU_DEP_2) | instskip(NEXT) | instid1(VALU_DEP_1)
	v_and_b32_e32 v180, 0xff, v178
	v_cmpx_ne_u16_e64 0, v180
	s_cbranch_execz .LBB405_288
; %bb.281:                              ;   in Loop: Header=BB405_13 Depth=1
	v_bfrev_b32_e32 v28, 1
	s_mov_b32 s21, exec_lo
	v_cmpx_ne_u16_e64 0x80, v180
	s_cbranch_execz .LBB405_287
; %bb.282:                              ;   in Loop: Header=BB405_13 Depth=1
	v_bfe_u32 v181, v179, 16, 7
	v_mov_b32_e32 v28, 0x7f800001
	s_mov_b32 s22, exec_lo
	s_delay_alu instid0(VALU_DEP_2)
	v_cmpx_ne_u32_e32 0x7f, v181
	s_cbranch_execz .LBB405_286
; %bb.283:                              ;   in Loop: Header=BB405_13 Depth=1
	v_and_b32_e32 v28, 7, v178
	v_lshrrev_b32_e32 v180, 3, v181
	s_mov_b32 s23, exec_lo
	v_cmpx_gt_u32_e32 8, v181
; %bb.284:                              ;   in Loop: Header=BB405_13 Depth=1
	s_delay_alu instid0(VALU_DEP_3) | instskip(NEXT) | instid1(VALU_DEP_1)
	v_clz_i32_u32_e32 v180, v28
	v_min_u32_e32 v180, 32, v180
	s_delay_alu instid0(VALU_DEP_1) | instskip(SKIP_1) | instid1(VALU_DEP_2)
	v_subrev_nc_u32_e32 v181, 28, v180
	v_sub_nc_u32_e32 v180, 29, v180
	v_lshlrev_b64 v[181:182], v181, v[28:29]
	s_delay_alu instid0(VALU_DEP_1)
	v_and_b32_e32 v28, 7, v181
; %bb.285:                              ;   in Loop: Header=BB405_13 Depth=1
	s_or_b32 exec_lo, exec_lo, s23
	v_lshlrev_b32_e32 v178, 24, v178
	s_delay_alu instid0(VALU_DEP_2) | instskip(SKIP_1) | instid1(VALU_DEP_3)
	v_lshlrev_b32_e32 v28, 20, v28
	v_lshl_add_u32 v180, v180, 23, 0x3c000000
	v_and_b32_e32 v178, 0x80000000, v178
	s_delay_alu instid0(VALU_DEP_1)
	v_or3_b32 v28, v28, v178, v180
.LBB405_286:                            ;   in Loop: Header=BB405_13 Depth=1
	s_or_b32 exec_lo, exec_lo, s22
.LBB405_287:                            ;   in Loop: Header=BB405_13 Depth=1
	s_delay_alu instid0(SALU_CYCLE_1)
	s_or_b32 exec_lo, exec_lo, s21
.LBB405_288:                            ;   in Loop: Header=BB405_13 Depth=1
	s_delay_alu instid0(SALU_CYCLE_1) | instskip(NEXT) | instid1(VALU_DEP_1)
	s_or_b32 exec_lo, exec_lo, s20
	v_mul_f32_e32 v28, v131, v28
	s_delay_alu instid0(VALU_DEP_1) | instskip(NEXT) | instid1(VALU_DEP_1)
	v_and_b32_e32 v178, 0x7f800000, v28
	v_cmp_ne_u32_e64 s2, 0x7f800000, v178
                                        ; implicit-def: $vgpr178
	s_delay_alu instid0(VALU_DEP_1) | instskip(NEXT) | instid1(SALU_CYCLE_1)
	s_and_saveexec_b32 s20, s2
	s_xor_b32 s2, exec_lo, s20
; %bb.289:                              ;   in Loop: Header=BB405_13 Depth=1
	v_bfe_u32 v178, v28, 16, 1
	s_delay_alu instid0(VALU_DEP_1)
	v_add3_u32 v178, v28, v178, 0x7fff
                                        ; implicit-def: $vgpr28
; %bb.290:                              ;   in Loop: Header=BB405_13 Depth=1
	s_and_not1_saveexec_b32 s20, s2
; %bb.291:                              ;   in Loop: Header=BB405_13 Depth=1
	v_and_b32_e32 v178, 0xffff, v28
	v_or_b32_e32 v180, 0x10000, v28
	s_delay_alu instid0(VALU_DEP_2) | instskip(NEXT) | instid1(VALU_DEP_1)
	v_cmp_eq_u32_e64 s2, 0, v178
	v_cndmask_b32_e64 v178, v180, v28, s2
; %bb.292:                              ;   in Loop: Header=BB405_13 Depth=1
	s_or_b32 exec_lo, exec_lo, s20
	v_mov_b32_e32 v28, 0
	s_mov_b32 s20, exec_lo
	v_cmpx_lt_u32_e32 0xffffff, v179
	s_cbranch_execz .LBB405_300
; %bb.293:                              ;   in Loop: Header=BB405_13 Depth=1
	v_lshrrev_b32_e32 v180, 24, v179
	v_bfrev_b32_e32 v28, 1
	s_mov_b32 s21, exec_lo
	s_delay_alu instid0(VALU_DEP_2)
	v_cmpx_ne_u32_e32 0x80, v180
	s_cbranch_execz .LBB405_299
; %bb.294:                              ;   in Loop: Header=BB405_13 Depth=1
	v_bfe_u32 v181, v179, 24, 7
	v_mov_b32_e32 v28, 0x7f800001
	s_mov_b32 s22, exec_lo
	s_delay_alu instid0(VALU_DEP_2)
	v_cmpx_ne_u32_e32 0x7f, v181
	s_cbranch_execz .LBB405_298
; %bb.295:                              ;   in Loop: Header=BB405_13 Depth=1
	v_and_b32_e32 v28, 7, v180
	v_lshrrev_b32_e32 v179, 3, v181
	s_mov_b32 s23, exec_lo
	v_cmpx_gt_u32_e32 8, v181
; %bb.296:                              ;   in Loop: Header=BB405_13 Depth=1
	s_delay_alu instid0(VALU_DEP_3) | instskip(NEXT) | instid1(VALU_DEP_1)
	v_clz_i32_u32_e32 v179, v28
	v_min_u32_e32 v179, 32, v179
	s_delay_alu instid0(VALU_DEP_1) | instskip(SKIP_1) | instid1(VALU_DEP_2)
	v_subrev_nc_u32_e32 v181, 28, v179
	v_sub_nc_u32_e32 v179, 29, v179
	v_lshlrev_b64 v[181:182], v181, v[28:29]
	s_delay_alu instid0(VALU_DEP_1)
	v_and_b32_e32 v28, 7, v181
; %bb.297:                              ;   in Loop: Header=BB405_13 Depth=1
	s_or_b32 exec_lo, exec_lo, s23
	v_lshlrev_b32_e32 v180, 24, v180
	s_delay_alu instid0(VALU_DEP_2) | instskip(SKIP_1) | instid1(VALU_DEP_3)
	v_lshlrev_b32_e32 v28, 20, v28
	v_lshl_add_u32 v179, v179, 23, 0x3c000000
	v_and_b32_e32 v180, 0x80000000, v180
	s_delay_alu instid0(VALU_DEP_1)
	v_or3_b32 v28, v28, v180, v179
.LBB405_298:                            ;   in Loop: Header=BB405_13 Depth=1
	s_or_b32 exec_lo, exec_lo, s22
.LBB405_299:                            ;   in Loop: Header=BB405_13 Depth=1
	s_delay_alu instid0(SALU_CYCLE_1)
	s_or_b32 exec_lo, exec_lo, s21
.LBB405_300:                            ;   in Loop: Header=BB405_13 Depth=1
	s_delay_alu instid0(SALU_CYCLE_1) | instskip(NEXT) | instid1(VALU_DEP_1)
	s_or_b32 exec_lo, exec_lo, s20
	v_mul_f32_e32 v28, v131, v28
	s_delay_alu instid0(VALU_DEP_1) | instskip(NEXT) | instid1(VALU_DEP_1)
	v_and_b32_e32 v179, 0x7f800000, v28
	v_cmp_ne_u32_e64 s2, 0x7f800000, v179
                                        ; implicit-def: $vgpr179
	s_delay_alu instid0(VALU_DEP_1) | instskip(NEXT) | instid1(SALU_CYCLE_1)
	s_and_saveexec_b32 s20, s2
	s_xor_b32 s2, exec_lo, s20
; %bb.301:                              ;   in Loop: Header=BB405_13 Depth=1
	v_bfe_u32 v179, v28, 16, 1
	s_delay_alu instid0(VALU_DEP_1)
	v_add3_u32 v179, v28, v179, 0x7fff
                                        ; implicit-def: $vgpr28
; %bb.302:                              ;   in Loop: Header=BB405_13 Depth=1
	s_and_not1_saveexec_b32 s20, s2
; %bb.303:                              ;   in Loop: Header=BB405_13 Depth=1
	v_and_b32_e32 v179, 0xffff, v28
	v_or_b32_e32 v180, 0x10000, v28
	s_delay_alu instid0(VALU_DEP_2) | instskip(NEXT) | instid1(VALU_DEP_1)
	v_cmp_eq_u32_e64 s2, 0, v179
	v_cndmask_b32_e64 v179, v180, v28, s2
; %bb.304:                              ;   in Loop: Header=BB405_13 Depth=1
	s_or_b32 exec_lo, exec_lo, s20
	flat_load_b32 v183, v[80:81] offset:768
	v_mov_b32_e32 v28, 0
	s_mov_b32 s20, exec_lo
	s_waitcnt vmcnt(0) lgkmcnt(0)
	v_and_b32_e32 v180, 0xff, v183
	s_delay_alu instid0(VALU_DEP_1)
	v_cmpx_ne_u16_e64 0, v180
	s_cbranch_execz .LBB405_312
; %bb.305:                              ;   in Loop: Header=BB405_13 Depth=1
	v_bfrev_b32_e32 v28, 1
	s_mov_b32 s21, exec_lo
	v_cmpx_ne_u16_e64 0x80, v180
	s_cbranch_execz .LBB405_311
; %bb.306:                              ;   in Loop: Header=BB405_13 Depth=1
	v_and_b32_e32 v181, 0x7f, v183
	v_mov_b32_e32 v28, 0x7f800001
	s_mov_b32 s22, exec_lo
	s_delay_alu instid0(VALU_DEP_2)
	v_cmpx_ne_u32_e32 0x7f, v181
	s_cbranch_execz .LBB405_310
; %bb.307:                              ;   in Loop: Header=BB405_13 Depth=1
	v_and_b32_e32 v28, 7, v183
	v_lshrrev_b32_e32 v180, 3, v181
	s_mov_b32 s23, exec_lo
	v_cmpx_gt_u32_e32 8, v181
; %bb.308:                              ;   in Loop: Header=BB405_13 Depth=1
	s_delay_alu instid0(VALU_DEP_3) | instskip(NEXT) | instid1(VALU_DEP_1)
	v_clz_i32_u32_e32 v180, v28
	v_min_u32_e32 v180, 32, v180
	s_delay_alu instid0(VALU_DEP_1) | instskip(SKIP_1) | instid1(VALU_DEP_2)
	v_subrev_nc_u32_e32 v181, 28, v180
	v_sub_nc_u32_e32 v180, 29, v180
	v_lshlrev_b64 v[181:182], v181, v[28:29]
	s_delay_alu instid0(VALU_DEP_1)
	v_and_b32_e32 v28, 7, v181
; %bb.309:                              ;   in Loop: Header=BB405_13 Depth=1
	s_or_b32 exec_lo, exec_lo, s23
	v_lshlrev_b32_e32 v181, 24, v183
	s_delay_alu instid0(VALU_DEP_2) | instskip(SKIP_1) | instid1(VALU_DEP_3)
	v_lshlrev_b32_e32 v28, 20, v28
	v_lshl_add_u32 v180, v180, 23, 0x3c000000
	v_and_b32_e32 v181, 0x80000000, v181
	s_delay_alu instid0(VALU_DEP_1)
	v_or3_b32 v28, v28, v181, v180
.LBB405_310:                            ;   in Loop: Header=BB405_13 Depth=1
	s_or_b32 exec_lo, exec_lo, s22
.LBB405_311:                            ;   in Loop: Header=BB405_13 Depth=1
	s_delay_alu instid0(SALU_CYCLE_1)
	s_or_b32 exec_lo, exec_lo, s21
.LBB405_312:                            ;   in Loop: Header=BB405_13 Depth=1
	s_delay_alu instid0(SALU_CYCLE_1) | instskip(NEXT) | instid1(VALU_DEP_1)
	s_or_b32 exec_lo, exec_lo, s20
	v_mul_f32_e32 v28, v131, v28
	s_delay_alu instid0(VALU_DEP_1) | instskip(NEXT) | instid1(VALU_DEP_1)
	v_and_b32_e32 v180, 0x7f800000, v28
	v_cmp_ne_u32_e64 s2, 0x7f800000, v180
                                        ; implicit-def: $vgpr180
	s_delay_alu instid0(VALU_DEP_1) | instskip(NEXT) | instid1(SALU_CYCLE_1)
	s_and_saveexec_b32 s20, s2
	s_xor_b32 s2, exec_lo, s20
; %bb.313:                              ;   in Loop: Header=BB405_13 Depth=1
	v_bfe_u32 v180, v28, 16, 1
	s_delay_alu instid0(VALU_DEP_1)
	v_add3_u32 v180, v28, v180, 0x7fff
                                        ; implicit-def: $vgpr28
; %bb.314:                              ;   in Loop: Header=BB405_13 Depth=1
	s_and_not1_saveexec_b32 s20, s2
; %bb.315:                              ;   in Loop: Header=BB405_13 Depth=1
	v_and_b32_e32 v180, 0xffff, v28
	v_or_b32_e32 v181, 0x10000, v28
	s_delay_alu instid0(VALU_DEP_2) | instskip(NEXT) | instid1(VALU_DEP_1)
	v_cmp_eq_u32_e64 s2, 0, v180
	v_cndmask_b32_e64 v180, v181, v28, s2
; %bb.316:                              ;   in Loop: Header=BB405_13 Depth=1
	s_or_b32 exec_lo, exec_lo, s20
	v_lshrrev_b16 v181, 8, v183
	v_mov_b32_e32 v28, 0
	s_mov_b32 s20, exec_lo
	s_delay_alu instid0(VALU_DEP_2)
	v_cmpx_ne_u16_e64 0, v181
	s_cbranch_execz .LBB405_324
; %bb.317:                              ;   in Loop: Header=BB405_13 Depth=1
	v_bfrev_b32_e32 v28, 1
	s_mov_b32 s21, exec_lo
	v_cmpx_ne_u16_e64 0x80, v181
	s_cbranch_execz .LBB405_323
; %bb.318:                              ;   in Loop: Header=BB405_13 Depth=1
	v_and_b32_e32 v181, 0xffff, v181
	v_mov_b32_e32 v28, 0x7f800001
	s_mov_b32 s22, exec_lo
	s_delay_alu instid0(VALU_DEP_2) | instskip(NEXT) | instid1(VALU_DEP_1)
	v_and_b32_e32 v182, 0x7f, v181
	v_cmpx_ne_u32_e32 0x7f, v182
	s_cbranch_execz .LBB405_322
; %bb.319:                              ;   in Loop: Header=BB405_13 Depth=1
	v_and_b32_e32 v28, 7, v181
	v_lshrrev_b32_e32 v181, 3, v182
	s_mov_b32 s23, exec_lo
	v_cmpx_gt_u32_e32 8, v182
; %bb.320:                              ;   in Loop: Header=BB405_13 Depth=1
	s_delay_alu instid0(VALU_DEP_3) | instskip(NEXT) | instid1(VALU_DEP_1)
	v_clz_i32_u32_e32 v181, v28
	v_min_u32_e32 v181, 32, v181
	s_delay_alu instid0(VALU_DEP_1) | instskip(SKIP_1) | instid1(VALU_DEP_2)
	v_subrev_nc_u32_e32 v182, 28, v181
	v_sub_nc_u32_e32 v181, 29, v181
	v_lshlrev_b64 v[40:41], v182, v[28:29]
	s_delay_alu instid0(VALU_DEP_1)
	v_and_b32_e32 v28, 7, v40
; %bb.321:                              ;   in Loop: Header=BB405_13 Depth=1
	s_or_b32 exec_lo, exec_lo, s23
	v_lshlrev_b32_e32 v182, 16, v183
	s_delay_alu instid0(VALU_DEP_2) | instskip(SKIP_1) | instid1(VALU_DEP_3)
	v_lshlrev_b32_e32 v28, 20, v28
	v_lshl_add_u32 v181, v181, 23, 0x3c000000
	v_and_b32_e32 v182, 0x80000000, v182
	s_delay_alu instid0(VALU_DEP_1)
	v_or3_b32 v28, v28, v182, v181
.LBB405_322:                            ;   in Loop: Header=BB405_13 Depth=1
	s_or_b32 exec_lo, exec_lo, s22
.LBB405_323:                            ;   in Loop: Header=BB405_13 Depth=1
	s_delay_alu instid0(SALU_CYCLE_1)
	s_or_b32 exec_lo, exec_lo, s21
.LBB405_324:                            ;   in Loop: Header=BB405_13 Depth=1
	s_delay_alu instid0(SALU_CYCLE_1) | instskip(NEXT) | instid1(VALU_DEP_1)
	s_or_b32 exec_lo, exec_lo, s20
	v_mul_f32_e32 v28, v131, v28
	s_delay_alu instid0(VALU_DEP_1) | instskip(NEXT) | instid1(VALU_DEP_1)
	v_and_b32_e32 v181, 0x7f800000, v28
	v_cmp_ne_u32_e64 s2, 0x7f800000, v181
                                        ; implicit-def: $vgpr181
	s_delay_alu instid0(VALU_DEP_1) | instskip(NEXT) | instid1(SALU_CYCLE_1)
	s_and_saveexec_b32 s20, s2
	s_xor_b32 s2, exec_lo, s20
; %bb.325:                              ;   in Loop: Header=BB405_13 Depth=1
	v_bfe_u32 v181, v28, 16, 1
	s_delay_alu instid0(VALU_DEP_1)
	v_add3_u32 v181, v28, v181, 0x7fff
                                        ; implicit-def: $vgpr28
; %bb.326:                              ;   in Loop: Header=BB405_13 Depth=1
	s_and_not1_saveexec_b32 s20, s2
; %bb.327:                              ;   in Loop: Header=BB405_13 Depth=1
	v_and_b32_e32 v181, 0xffff, v28
	v_or_b32_e32 v182, 0x10000, v28
	s_delay_alu instid0(VALU_DEP_2) | instskip(NEXT) | instid1(VALU_DEP_1)
	v_cmp_eq_u32_e64 s2, 0, v181
	v_cndmask_b32_e64 v181, v182, v28, s2
; %bb.328:                              ;   in Loop: Header=BB405_13 Depth=1
	s_or_b32 exec_lo, exec_lo, s20
	v_lshrrev_b32_e32 v182, 16, v183
	v_mov_b32_e32 v28, 0
	s_mov_b32 s20, exec_lo
	s_delay_alu instid0(VALU_DEP_2) | instskip(NEXT) | instid1(VALU_DEP_1)
	v_and_b32_e32 v40, 0xff, v182
	v_cmpx_ne_u16_e32 0, v40
	s_cbranch_execz .LBB405_336
; %bb.329:                              ;   in Loop: Header=BB405_13 Depth=1
	v_bfrev_b32_e32 v28, 1
	s_mov_b32 s21, exec_lo
	v_cmpx_ne_u16_e32 0x80, v40
	s_cbranch_execz .LBB405_335
; %bb.330:                              ;   in Loop: Header=BB405_13 Depth=1
	v_bfe_u32 v41, v183, 16, 7
	v_mov_b32_e32 v28, 0x7f800001
	s_mov_b32 s22, exec_lo
	s_delay_alu instid0(VALU_DEP_2)
	v_cmpx_ne_u32_e32 0x7f, v41
	s_cbranch_execz .LBB405_334
; %bb.331:                              ;   in Loop: Header=BB405_13 Depth=1
	v_and_b32_e32 v28, 7, v182
	v_lshrrev_b32_e32 v40, 3, v41
	s_mov_b32 s23, exec_lo
	v_cmpx_gt_u32_e32 8, v41
; %bb.332:                              ;   in Loop: Header=BB405_13 Depth=1
	s_delay_alu instid0(VALU_DEP_3) | instskip(NEXT) | instid1(VALU_DEP_1)
	v_clz_i32_u32_e32 v40, v28
	v_min_u32_e32 v40, 32, v40
	s_delay_alu instid0(VALU_DEP_1) | instskip(SKIP_1) | instid1(VALU_DEP_2)
	v_subrev_nc_u32_e32 v41, 28, v40
	v_sub_nc_u32_e32 v40, 29, v40
	v_lshlrev_b64 v[41:42], v41, v[28:29]
	s_delay_alu instid0(VALU_DEP_1)
	v_and_b32_e32 v28, 7, v41
; %bb.333:                              ;   in Loop: Header=BB405_13 Depth=1
	s_or_b32 exec_lo, exec_lo, s23
	v_lshlrev_b32_e32 v182, 24, v182
	s_delay_alu instid0(VALU_DEP_2) | instskip(SKIP_1) | instid1(VALU_DEP_3)
	v_lshlrev_b32_e32 v28, 20, v28
	v_lshl_add_u32 v40, v40, 23, 0x3c000000
	v_and_b32_e32 v182, 0x80000000, v182
	s_delay_alu instid0(VALU_DEP_1)
	v_or3_b32 v28, v28, v182, v40
.LBB405_334:                            ;   in Loop: Header=BB405_13 Depth=1
	s_or_b32 exec_lo, exec_lo, s22
.LBB405_335:                            ;   in Loop: Header=BB405_13 Depth=1
	s_delay_alu instid0(SALU_CYCLE_1)
	s_or_b32 exec_lo, exec_lo, s21
.LBB405_336:                            ;   in Loop: Header=BB405_13 Depth=1
	s_delay_alu instid0(SALU_CYCLE_1) | instskip(NEXT) | instid1(VALU_DEP_1)
	s_or_b32 exec_lo, exec_lo, s20
	v_mul_f32_e32 v28, v131, v28
	s_delay_alu instid0(VALU_DEP_1) | instskip(NEXT) | instid1(VALU_DEP_1)
	v_and_b32_e32 v182, 0x7f800000, v28
	v_cmp_ne_u32_e64 s2, 0x7f800000, v182
                                        ; implicit-def: $vgpr182
	s_delay_alu instid0(VALU_DEP_1) | instskip(NEXT) | instid1(SALU_CYCLE_1)
	s_and_saveexec_b32 s20, s2
	s_xor_b32 s2, exec_lo, s20
; %bb.337:                              ;   in Loop: Header=BB405_13 Depth=1
	v_bfe_u32 v182, v28, 16, 1
	s_delay_alu instid0(VALU_DEP_1)
	v_add3_u32 v182, v28, v182, 0x7fff
                                        ; implicit-def: $vgpr28
; %bb.338:                              ;   in Loop: Header=BB405_13 Depth=1
	s_and_not1_saveexec_b32 s20, s2
; %bb.339:                              ;   in Loop: Header=BB405_13 Depth=1
	v_and_b32_e32 v182, 0xffff, v28
	v_or_b32_e32 v40, 0x10000, v28
	s_delay_alu instid0(VALU_DEP_2) | instskip(NEXT) | instid1(VALU_DEP_1)
	v_cmp_eq_u32_e64 s2, 0, v182
	v_cndmask_b32_e64 v182, v40, v28, s2
; %bb.340:                              ;   in Loop: Header=BB405_13 Depth=1
	s_or_b32 exec_lo, exec_lo, s20
	v_mov_b32_e32 v28, 0
	s_mov_b32 s20, exec_lo
	v_cmpx_lt_u32_e32 0xffffff, v183
	s_cbranch_execz .LBB405_348
; %bb.341:                              ;   in Loop: Header=BB405_13 Depth=1
	v_lshrrev_b32_e32 v40, 24, v183
	v_bfrev_b32_e32 v28, 1
	s_mov_b32 s21, exec_lo
	s_delay_alu instid0(VALU_DEP_2)
	v_cmpx_ne_u32_e32 0x80, v40
	s_cbranch_execz .LBB405_347
; %bb.342:                              ;   in Loop: Header=BB405_13 Depth=1
	v_bfe_u32 v41, v183, 24, 7
	v_mov_b32_e32 v28, 0x7f800001
	s_mov_b32 s22, exec_lo
	s_delay_alu instid0(VALU_DEP_2)
	v_cmpx_ne_u32_e32 0x7f, v41
	s_cbranch_execz .LBB405_346
; %bb.343:                              ;   in Loop: Header=BB405_13 Depth=1
	v_and_b32_e32 v28, 7, v40
	v_lshrrev_b32_e32 v183, 3, v41
	s_mov_b32 s23, exec_lo
	v_cmpx_gt_u32_e32 8, v41
; %bb.344:                              ;   in Loop: Header=BB405_13 Depth=1
	s_delay_alu instid0(VALU_DEP_3) | instskip(NEXT) | instid1(VALU_DEP_1)
	v_clz_i32_u32_e32 v183, v28
	v_min_u32_e32 v183, 32, v183
	s_delay_alu instid0(VALU_DEP_1) | instskip(SKIP_1) | instid1(VALU_DEP_2)
	v_subrev_nc_u32_e32 v41, 28, v183
	v_sub_nc_u32_e32 v183, 29, v183
	v_lshlrev_b64 v[41:42], v41, v[28:29]
	s_delay_alu instid0(VALU_DEP_1)
	v_and_b32_e32 v28, 7, v41
; %bb.345:                              ;   in Loop: Header=BB405_13 Depth=1
	s_or_b32 exec_lo, exec_lo, s23
	v_lshlrev_b32_e32 v40, 24, v40
	s_delay_alu instid0(VALU_DEP_2) | instskip(SKIP_1) | instid1(VALU_DEP_3)
	v_lshlrev_b32_e32 v28, 20, v28
	v_lshl_add_u32 v183, v183, 23, 0x3c000000
	v_and_b32_e32 v40, 0x80000000, v40
	s_delay_alu instid0(VALU_DEP_1)
	v_or3_b32 v28, v28, v40, v183
.LBB405_346:                            ;   in Loop: Header=BB405_13 Depth=1
	s_or_b32 exec_lo, exec_lo, s22
.LBB405_347:                            ;   in Loop: Header=BB405_13 Depth=1
	s_delay_alu instid0(SALU_CYCLE_1)
	s_or_b32 exec_lo, exec_lo, s21
.LBB405_348:                            ;   in Loop: Header=BB405_13 Depth=1
	s_delay_alu instid0(SALU_CYCLE_1) | instskip(NEXT) | instid1(VALU_DEP_1)
	s_or_b32 exec_lo, exec_lo, s20
	v_mul_f32_e32 v28, v131, v28
	s_delay_alu instid0(VALU_DEP_1) | instskip(NEXT) | instid1(VALU_DEP_1)
	v_and_b32_e32 v183, 0x7f800000, v28
	v_cmp_ne_u32_e64 s2, 0x7f800000, v183
                                        ; implicit-def: $vgpr183
	s_delay_alu instid0(VALU_DEP_1) | instskip(NEXT) | instid1(SALU_CYCLE_1)
	s_and_saveexec_b32 s20, s2
	s_xor_b32 s2, exec_lo, s20
; %bb.349:                              ;   in Loop: Header=BB405_13 Depth=1
	v_bfe_u32 v183, v28, 16, 1
	s_delay_alu instid0(VALU_DEP_1)
	v_add3_u32 v183, v28, v183, 0x7fff
                                        ; implicit-def: $vgpr28
; %bb.350:                              ;   in Loop: Header=BB405_13 Depth=1
	s_and_not1_saveexec_b32 s20, s2
; %bb.351:                              ;   in Loop: Header=BB405_13 Depth=1
	v_and_b32_e32 v183, 0xffff, v28
	v_or_b32_e32 v40, 0x10000, v28
	s_delay_alu instid0(VALU_DEP_2) | instskip(NEXT) | instid1(VALU_DEP_1)
	v_cmp_eq_u32_e64 s2, 0, v183
	v_cndmask_b32_e64 v183, v40, v28, s2
; %bb.352:                              ;   in Loop: Header=BB405_13 Depth=1
	s_or_b32 exec_lo, exec_lo, s20
	flat_load_b32 v43, v[80:81] offset:776
	v_mov_b32_e32 v28, 0
	s_mov_b32 s20, exec_lo
	s_waitcnt vmcnt(0) lgkmcnt(0)
	v_and_b32_e32 v40, 0xff, v43
	s_delay_alu instid0(VALU_DEP_1)
	v_cmpx_ne_u16_e32 0, v40
	s_cbranch_execz .LBB405_360
; %bb.353:                              ;   in Loop: Header=BB405_13 Depth=1
	v_bfrev_b32_e32 v28, 1
	s_mov_b32 s21, exec_lo
	v_cmpx_ne_u16_e32 0x80, v40
	s_cbranch_execz .LBB405_359
; %bb.354:                              ;   in Loop: Header=BB405_13 Depth=1
	v_and_b32_e32 v41, 0x7f, v43
	v_mov_b32_e32 v28, 0x7f800001
	s_mov_b32 s22, exec_lo
	s_delay_alu instid0(VALU_DEP_2)
	v_cmpx_ne_u32_e32 0x7f, v41
	s_cbranch_execz .LBB405_358
; %bb.355:                              ;   in Loop: Header=BB405_13 Depth=1
	v_and_b32_e32 v28, 7, v43
	v_lshrrev_b32_e32 v40, 3, v41
	s_mov_b32 s23, exec_lo
	v_cmpx_gt_u32_e32 8, v41
; %bb.356:                              ;   in Loop: Header=BB405_13 Depth=1
	s_delay_alu instid0(VALU_DEP_3) | instskip(NEXT) | instid1(VALU_DEP_1)
	v_clz_i32_u32_e32 v40, v28
	v_min_u32_e32 v40, 32, v40
	s_delay_alu instid0(VALU_DEP_1) | instskip(SKIP_1) | instid1(VALU_DEP_2)
	v_subrev_nc_u32_e32 v41, 28, v40
	v_sub_nc_u32_e32 v40, 29, v40
	v_lshlrev_b64 v[41:42], v41, v[28:29]
	s_delay_alu instid0(VALU_DEP_1)
	v_and_b32_e32 v28, 7, v41
; %bb.357:                              ;   in Loop: Header=BB405_13 Depth=1
	s_or_b32 exec_lo, exec_lo, s23
	v_lshlrev_b32_e32 v41, 24, v43
	s_delay_alu instid0(VALU_DEP_2) | instskip(SKIP_1) | instid1(VALU_DEP_3)
	v_lshlrev_b32_e32 v28, 20, v28
	v_lshl_add_u32 v40, v40, 23, 0x3c000000
	v_and_b32_e32 v41, 0x80000000, v41
	s_delay_alu instid0(VALU_DEP_1)
	v_or3_b32 v28, v28, v41, v40
.LBB405_358:                            ;   in Loop: Header=BB405_13 Depth=1
	s_or_b32 exec_lo, exec_lo, s22
.LBB405_359:                            ;   in Loop: Header=BB405_13 Depth=1
	s_delay_alu instid0(SALU_CYCLE_1)
	s_or_b32 exec_lo, exec_lo, s21
.LBB405_360:                            ;   in Loop: Header=BB405_13 Depth=1
	s_delay_alu instid0(SALU_CYCLE_1) | instskip(NEXT) | instid1(VALU_DEP_1)
	s_or_b32 exec_lo, exec_lo, s20
	v_mul_f32_e32 v28, v131, v28
	s_delay_alu instid0(VALU_DEP_1) | instskip(NEXT) | instid1(VALU_DEP_1)
	v_and_b32_e32 v40, 0x7f800000, v28
	v_cmp_ne_u32_e64 s2, 0x7f800000, v40
                                        ; implicit-def: $vgpr40
	s_delay_alu instid0(VALU_DEP_1) | instskip(NEXT) | instid1(SALU_CYCLE_1)
	s_and_saveexec_b32 s20, s2
	s_xor_b32 s2, exec_lo, s20
; %bb.361:                              ;   in Loop: Header=BB405_13 Depth=1
	v_bfe_u32 v40, v28, 16, 1
	s_delay_alu instid0(VALU_DEP_1)
	v_add3_u32 v40, v28, v40, 0x7fff
                                        ; implicit-def: $vgpr28
; %bb.362:                              ;   in Loop: Header=BB405_13 Depth=1
	s_and_not1_saveexec_b32 s20, s2
; %bb.363:                              ;   in Loop: Header=BB405_13 Depth=1
	v_and_b32_e32 v40, 0xffff, v28
	v_or_b32_e32 v41, 0x10000, v28
	s_delay_alu instid0(VALU_DEP_2) | instskip(NEXT) | instid1(VALU_DEP_1)
	v_cmp_eq_u32_e64 s2, 0, v40
	v_cndmask_b32_e64 v40, v41, v28, s2
; %bb.364:                              ;   in Loop: Header=BB405_13 Depth=1
	s_or_b32 exec_lo, exec_lo, s20
	v_lshrrev_b16 v41, 8, v43
	v_mov_b32_e32 v28, 0
	s_mov_b32 s20, exec_lo
	s_delay_alu instid0(VALU_DEP_2)
	v_cmpx_ne_u16_e32 0, v41
	s_cbranch_execz .LBB405_372
; %bb.365:                              ;   in Loop: Header=BB405_13 Depth=1
	v_bfrev_b32_e32 v28, 1
	s_mov_b32 s21, exec_lo
	v_cmpx_ne_u16_e32 0x80, v41
	s_cbranch_execz .LBB405_371
; %bb.366:                              ;   in Loop: Header=BB405_13 Depth=1
	v_and_b32_e32 v41, 0xffff, v41
	v_mov_b32_e32 v28, 0x7f800001
	s_mov_b32 s22, exec_lo
	s_delay_alu instid0(VALU_DEP_2) | instskip(NEXT) | instid1(VALU_DEP_1)
	v_and_b32_e32 v42, 0x7f, v41
	v_cmpx_ne_u32_e32 0x7f, v42
	s_cbranch_execz .LBB405_370
; %bb.367:                              ;   in Loop: Header=BB405_13 Depth=1
	v_and_b32_e32 v28, 7, v41
	v_lshrrev_b32_e32 v41, 3, v42
	s_mov_b32 s23, exec_lo
	v_cmpx_gt_u32_e32 8, v42
; %bb.368:                              ;   in Loop: Header=BB405_13 Depth=1
	s_delay_alu instid0(VALU_DEP_3) | instskip(NEXT) | instid1(VALU_DEP_1)
	v_clz_i32_u32_e32 v41, v28
	v_min_u32_e32 v41, 32, v41
	s_delay_alu instid0(VALU_DEP_1) | instskip(SKIP_1) | instid1(VALU_DEP_2)
	v_subrev_nc_u32_e32 v42, 28, v41
	v_sub_nc_u32_e32 v41, 29, v41
	v_lshlrev_b64 v[44:45], v42, v[28:29]
	s_delay_alu instid0(VALU_DEP_1)
	v_and_b32_e32 v28, 7, v44
; %bb.369:                              ;   in Loop: Header=BB405_13 Depth=1
	s_or_b32 exec_lo, exec_lo, s23
	v_lshlrev_b32_e32 v42, 16, v43
	s_delay_alu instid0(VALU_DEP_2) | instskip(SKIP_1) | instid1(VALU_DEP_3)
	v_lshlrev_b32_e32 v28, 20, v28
	v_lshl_add_u32 v41, v41, 23, 0x3c000000
	v_and_b32_e32 v42, 0x80000000, v42
	s_delay_alu instid0(VALU_DEP_1)
	v_or3_b32 v28, v28, v42, v41
.LBB405_370:                            ;   in Loop: Header=BB405_13 Depth=1
	s_or_b32 exec_lo, exec_lo, s22
.LBB405_371:                            ;   in Loop: Header=BB405_13 Depth=1
	s_delay_alu instid0(SALU_CYCLE_1)
	s_or_b32 exec_lo, exec_lo, s21
.LBB405_372:                            ;   in Loop: Header=BB405_13 Depth=1
	s_delay_alu instid0(SALU_CYCLE_1) | instskip(NEXT) | instid1(VALU_DEP_1)
	s_or_b32 exec_lo, exec_lo, s20
	v_mul_f32_e32 v28, v131, v28
	s_delay_alu instid0(VALU_DEP_1) | instskip(NEXT) | instid1(VALU_DEP_1)
	v_and_b32_e32 v41, 0x7f800000, v28
	v_cmp_ne_u32_e64 s2, 0x7f800000, v41
                                        ; implicit-def: $vgpr41
	s_delay_alu instid0(VALU_DEP_1) | instskip(NEXT) | instid1(SALU_CYCLE_1)
	s_and_saveexec_b32 s20, s2
	s_xor_b32 s2, exec_lo, s20
; %bb.373:                              ;   in Loop: Header=BB405_13 Depth=1
	v_bfe_u32 v41, v28, 16, 1
	s_delay_alu instid0(VALU_DEP_1)
	v_add3_u32 v41, v28, v41, 0x7fff
                                        ; implicit-def: $vgpr28
; %bb.374:                              ;   in Loop: Header=BB405_13 Depth=1
	s_and_not1_saveexec_b32 s20, s2
; %bb.375:                              ;   in Loop: Header=BB405_13 Depth=1
	v_and_b32_e32 v41, 0xffff, v28
	v_or_b32_e32 v42, 0x10000, v28
	s_delay_alu instid0(VALU_DEP_2) | instskip(NEXT) | instid1(VALU_DEP_1)
	v_cmp_eq_u32_e64 s2, 0, v41
	v_cndmask_b32_e64 v41, v42, v28, s2
; %bb.376:                              ;   in Loop: Header=BB405_13 Depth=1
	s_or_b32 exec_lo, exec_lo, s20
	v_lshrrev_b32_e32 v42, 16, v43
	v_mov_b32_e32 v28, 0
	s_mov_b32 s20, exec_lo
	s_delay_alu instid0(VALU_DEP_2) | instskip(NEXT) | instid1(VALU_DEP_1)
	v_and_b32_e32 v44, 0xff, v42
	v_cmpx_ne_u16_e32 0, v44
	s_cbranch_execz .LBB405_384
; %bb.377:                              ;   in Loop: Header=BB405_13 Depth=1
	v_bfrev_b32_e32 v28, 1
	s_mov_b32 s21, exec_lo
	v_cmpx_ne_u16_e32 0x80, v44
	s_cbranch_execz .LBB405_383
; %bb.378:                              ;   in Loop: Header=BB405_13 Depth=1
	v_bfe_u32 v45, v43, 16, 7
	v_mov_b32_e32 v28, 0x7f800001
	s_mov_b32 s22, exec_lo
	s_delay_alu instid0(VALU_DEP_2)
	v_cmpx_ne_u32_e32 0x7f, v45
	s_cbranch_execz .LBB405_382
; %bb.379:                              ;   in Loop: Header=BB405_13 Depth=1
	v_and_b32_e32 v28, 7, v42
	v_lshrrev_b32_e32 v44, 3, v45
	s_mov_b32 s23, exec_lo
	v_cmpx_gt_u32_e32 8, v45
; %bb.380:                              ;   in Loop: Header=BB405_13 Depth=1
	s_delay_alu instid0(VALU_DEP_3) | instskip(NEXT) | instid1(VALU_DEP_1)
	v_clz_i32_u32_e32 v44, v28
	v_min_u32_e32 v44, 32, v44
	s_delay_alu instid0(VALU_DEP_1) | instskip(SKIP_1) | instid1(VALU_DEP_2)
	v_subrev_nc_u32_e32 v45, 28, v44
	v_sub_nc_u32_e32 v44, 29, v44
	v_lshlrev_b64 v[45:46], v45, v[28:29]
	s_delay_alu instid0(VALU_DEP_1)
	v_and_b32_e32 v28, 7, v45
; %bb.381:                              ;   in Loop: Header=BB405_13 Depth=1
	s_or_b32 exec_lo, exec_lo, s23
	v_lshlrev_b32_e32 v42, 24, v42
	s_delay_alu instid0(VALU_DEP_2) | instskip(SKIP_1) | instid1(VALU_DEP_3)
	v_lshlrev_b32_e32 v28, 20, v28
	v_lshl_add_u32 v44, v44, 23, 0x3c000000
	v_and_b32_e32 v42, 0x80000000, v42
	s_delay_alu instid0(VALU_DEP_1)
	v_or3_b32 v28, v28, v42, v44
.LBB405_382:                            ;   in Loop: Header=BB405_13 Depth=1
	s_or_b32 exec_lo, exec_lo, s22
.LBB405_383:                            ;   in Loop: Header=BB405_13 Depth=1
	s_delay_alu instid0(SALU_CYCLE_1)
	s_or_b32 exec_lo, exec_lo, s21
.LBB405_384:                            ;   in Loop: Header=BB405_13 Depth=1
	s_delay_alu instid0(SALU_CYCLE_1) | instskip(NEXT) | instid1(VALU_DEP_1)
	s_or_b32 exec_lo, exec_lo, s20
	v_mul_f32_e32 v28, v131, v28
	s_delay_alu instid0(VALU_DEP_1) | instskip(NEXT) | instid1(VALU_DEP_1)
	v_and_b32_e32 v42, 0x7f800000, v28
	v_cmp_ne_u32_e64 s2, 0x7f800000, v42
                                        ; implicit-def: $vgpr42
	s_delay_alu instid0(VALU_DEP_1) | instskip(NEXT) | instid1(SALU_CYCLE_1)
	s_and_saveexec_b32 s20, s2
	s_xor_b32 s2, exec_lo, s20
; %bb.385:                              ;   in Loop: Header=BB405_13 Depth=1
	v_bfe_u32 v42, v28, 16, 1
	s_delay_alu instid0(VALU_DEP_1)
	v_add3_u32 v42, v28, v42, 0x7fff
                                        ; implicit-def: $vgpr28
; %bb.386:                              ;   in Loop: Header=BB405_13 Depth=1
	s_and_not1_saveexec_b32 s20, s2
; %bb.387:                              ;   in Loop: Header=BB405_13 Depth=1
	v_and_b32_e32 v42, 0xffff, v28
	v_or_b32_e32 v44, 0x10000, v28
	s_delay_alu instid0(VALU_DEP_2) | instskip(NEXT) | instid1(VALU_DEP_1)
	v_cmp_eq_u32_e64 s2, 0, v42
	v_cndmask_b32_e64 v42, v44, v28, s2
; %bb.388:                              ;   in Loop: Header=BB405_13 Depth=1
	s_or_b32 exec_lo, exec_lo, s20
	v_mov_b32_e32 v28, 0
	s_mov_b32 s20, exec_lo
	v_cmpx_lt_u32_e32 0xffffff, v43
	s_cbranch_execz .LBB405_396
; %bb.389:                              ;   in Loop: Header=BB405_13 Depth=1
	v_lshrrev_b32_e32 v44, 24, v43
	v_bfrev_b32_e32 v28, 1
	s_mov_b32 s21, exec_lo
	s_delay_alu instid0(VALU_DEP_2)
	v_cmpx_ne_u32_e32 0x80, v44
	s_cbranch_execz .LBB405_395
; %bb.390:                              ;   in Loop: Header=BB405_13 Depth=1
	v_bfe_u32 v45, v43, 24, 7
	v_mov_b32_e32 v28, 0x7f800001
	s_mov_b32 s22, exec_lo
	s_delay_alu instid0(VALU_DEP_2)
	v_cmpx_ne_u32_e32 0x7f, v45
	s_cbranch_execz .LBB405_394
; %bb.391:                              ;   in Loop: Header=BB405_13 Depth=1
	v_and_b32_e32 v28, 7, v44
	v_lshrrev_b32_e32 v43, 3, v45
	s_mov_b32 s23, exec_lo
	v_cmpx_gt_u32_e32 8, v45
; %bb.392:                              ;   in Loop: Header=BB405_13 Depth=1
	s_delay_alu instid0(VALU_DEP_3) | instskip(NEXT) | instid1(VALU_DEP_1)
	v_clz_i32_u32_e32 v43, v28
	v_min_u32_e32 v43, 32, v43
	s_delay_alu instid0(VALU_DEP_1) | instskip(SKIP_1) | instid1(VALU_DEP_2)
	v_subrev_nc_u32_e32 v45, 28, v43
	v_sub_nc_u32_e32 v43, 29, v43
	v_lshlrev_b64 v[45:46], v45, v[28:29]
	s_delay_alu instid0(VALU_DEP_1)
	v_and_b32_e32 v28, 7, v45
; %bb.393:                              ;   in Loop: Header=BB405_13 Depth=1
	s_or_b32 exec_lo, exec_lo, s23
	v_lshlrev_b32_e32 v44, 24, v44
	s_delay_alu instid0(VALU_DEP_2) | instskip(SKIP_1) | instid1(VALU_DEP_3)
	v_lshlrev_b32_e32 v28, 20, v28
	v_lshl_add_u32 v43, v43, 23, 0x3c000000
	v_and_b32_e32 v44, 0x80000000, v44
	s_delay_alu instid0(VALU_DEP_1)
	v_or3_b32 v28, v28, v44, v43
.LBB405_394:                            ;   in Loop: Header=BB405_13 Depth=1
	s_or_b32 exec_lo, exec_lo, s22
.LBB405_395:                            ;   in Loop: Header=BB405_13 Depth=1
	s_delay_alu instid0(SALU_CYCLE_1)
	s_or_b32 exec_lo, exec_lo, s21
.LBB405_396:                            ;   in Loop: Header=BB405_13 Depth=1
	s_delay_alu instid0(SALU_CYCLE_1) | instskip(NEXT) | instid1(VALU_DEP_1)
	s_or_b32 exec_lo, exec_lo, s20
	v_mul_f32_e32 v28, v131, v28
	s_delay_alu instid0(VALU_DEP_1) | instskip(NEXT) | instid1(VALU_DEP_1)
	v_and_b32_e32 v43, 0x7f800000, v28
	v_cmp_ne_u32_e64 s2, 0x7f800000, v43
                                        ; implicit-def: $vgpr43
	s_delay_alu instid0(VALU_DEP_1) | instskip(NEXT) | instid1(SALU_CYCLE_1)
	s_and_saveexec_b32 s20, s2
	s_xor_b32 s2, exec_lo, s20
; %bb.397:                              ;   in Loop: Header=BB405_13 Depth=1
	v_bfe_u32 v43, v28, 16, 1
	s_delay_alu instid0(VALU_DEP_1)
	v_add3_u32 v43, v28, v43, 0x7fff
                                        ; implicit-def: $vgpr28
; %bb.398:                              ;   in Loop: Header=BB405_13 Depth=1
	s_and_not1_saveexec_b32 s20, s2
; %bb.399:                              ;   in Loop: Header=BB405_13 Depth=1
	v_and_b32_e32 v43, 0xffff, v28
	v_or_b32_e32 v44, 0x10000, v28
	s_delay_alu instid0(VALU_DEP_2) | instskip(NEXT) | instid1(VALU_DEP_1)
	v_cmp_eq_u32_e64 s2, 0, v43
	v_cndmask_b32_e64 v43, v44, v28, s2
; %bb.400:                              ;   in Loop: Header=BB405_13 Depth=1
	s_or_b32 exec_lo, exec_lo, s20
	flat_load_b32 v47, v[80:81] offset:1024
	v_mov_b32_e32 v28, 0
	s_mov_b32 s20, exec_lo
	s_waitcnt vmcnt(0) lgkmcnt(0)
	v_and_b32_e32 v44, 0xff, v47
	s_delay_alu instid0(VALU_DEP_1)
	v_cmpx_ne_u16_e32 0, v44
	s_cbranch_execz .LBB405_408
; %bb.401:                              ;   in Loop: Header=BB405_13 Depth=1
	v_bfrev_b32_e32 v28, 1
	s_mov_b32 s21, exec_lo
	v_cmpx_ne_u16_e32 0x80, v44
	s_cbranch_execz .LBB405_407
; %bb.402:                              ;   in Loop: Header=BB405_13 Depth=1
	v_and_b32_e32 v45, 0x7f, v47
	v_mov_b32_e32 v28, 0x7f800001
	s_mov_b32 s22, exec_lo
	s_delay_alu instid0(VALU_DEP_2)
	v_cmpx_ne_u32_e32 0x7f, v45
	s_cbranch_execz .LBB405_406
; %bb.403:                              ;   in Loop: Header=BB405_13 Depth=1
	v_and_b32_e32 v28, 7, v47
	v_lshrrev_b32_e32 v44, 3, v45
	s_mov_b32 s23, exec_lo
	v_cmpx_gt_u32_e32 8, v45
; %bb.404:                              ;   in Loop: Header=BB405_13 Depth=1
	s_delay_alu instid0(VALU_DEP_3) | instskip(NEXT) | instid1(VALU_DEP_1)
	v_clz_i32_u32_e32 v44, v28
	v_min_u32_e32 v44, 32, v44
	s_delay_alu instid0(VALU_DEP_1) | instskip(SKIP_1) | instid1(VALU_DEP_2)
	v_subrev_nc_u32_e32 v45, 28, v44
	v_sub_nc_u32_e32 v44, 29, v44
	v_lshlrev_b64 v[45:46], v45, v[28:29]
	s_delay_alu instid0(VALU_DEP_1)
	v_and_b32_e32 v28, 7, v45
; %bb.405:                              ;   in Loop: Header=BB405_13 Depth=1
	s_or_b32 exec_lo, exec_lo, s23
	v_lshlrev_b32_e32 v45, 24, v47
	s_delay_alu instid0(VALU_DEP_2) | instskip(SKIP_1) | instid1(VALU_DEP_3)
	v_lshlrev_b32_e32 v28, 20, v28
	v_lshl_add_u32 v44, v44, 23, 0x3c000000
	v_and_b32_e32 v45, 0x80000000, v45
	s_delay_alu instid0(VALU_DEP_1)
	v_or3_b32 v28, v28, v45, v44
.LBB405_406:                            ;   in Loop: Header=BB405_13 Depth=1
	s_or_b32 exec_lo, exec_lo, s22
.LBB405_407:                            ;   in Loop: Header=BB405_13 Depth=1
	s_delay_alu instid0(SALU_CYCLE_1)
	s_or_b32 exec_lo, exec_lo, s21
.LBB405_408:                            ;   in Loop: Header=BB405_13 Depth=1
	s_delay_alu instid0(SALU_CYCLE_1) | instskip(NEXT) | instid1(VALU_DEP_1)
	s_or_b32 exec_lo, exec_lo, s20
	v_mul_f32_e32 v28, v131, v28
	s_delay_alu instid0(VALU_DEP_1) | instskip(NEXT) | instid1(VALU_DEP_1)
	v_and_b32_e32 v44, 0x7f800000, v28
	v_cmp_ne_u32_e64 s2, 0x7f800000, v44
                                        ; implicit-def: $vgpr44
	s_delay_alu instid0(VALU_DEP_1) | instskip(NEXT) | instid1(SALU_CYCLE_1)
	s_and_saveexec_b32 s20, s2
	s_xor_b32 s2, exec_lo, s20
; %bb.409:                              ;   in Loop: Header=BB405_13 Depth=1
	v_bfe_u32 v44, v28, 16, 1
	s_delay_alu instid0(VALU_DEP_1)
	v_add3_u32 v44, v28, v44, 0x7fff
                                        ; implicit-def: $vgpr28
; %bb.410:                              ;   in Loop: Header=BB405_13 Depth=1
	s_and_not1_saveexec_b32 s20, s2
; %bb.411:                              ;   in Loop: Header=BB405_13 Depth=1
	v_and_b32_e32 v44, 0xffff, v28
	v_or_b32_e32 v45, 0x10000, v28
	s_delay_alu instid0(VALU_DEP_2) | instskip(NEXT) | instid1(VALU_DEP_1)
	v_cmp_eq_u32_e64 s2, 0, v44
	v_cndmask_b32_e64 v44, v45, v28, s2
; %bb.412:                              ;   in Loop: Header=BB405_13 Depth=1
	s_or_b32 exec_lo, exec_lo, s20
	v_lshrrev_b16 v45, 8, v47
	v_mov_b32_e32 v28, 0
	s_mov_b32 s20, exec_lo
	s_delay_alu instid0(VALU_DEP_2)
	v_cmpx_ne_u16_e32 0, v45
	s_cbranch_execz .LBB405_420
; %bb.413:                              ;   in Loop: Header=BB405_13 Depth=1
	v_bfrev_b32_e32 v28, 1
	s_mov_b32 s21, exec_lo
	v_cmpx_ne_u16_e32 0x80, v45
	s_cbranch_execz .LBB405_419
; %bb.414:                              ;   in Loop: Header=BB405_13 Depth=1
	v_and_b32_e32 v45, 0xffff, v45
	v_mov_b32_e32 v28, 0x7f800001
	s_mov_b32 s22, exec_lo
	s_delay_alu instid0(VALU_DEP_2) | instskip(NEXT) | instid1(VALU_DEP_1)
	v_and_b32_e32 v46, 0x7f, v45
	v_cmpx_ne_u32_e32 0x7f, v46
	s_cbranch_execz .LBB405_418
; %bb.415:                              ;   in Loop: Header=BB405_13 Depth=1
	v_and_b32_e32 v28, 7, v45
	v_lshrrev_b32_e32 v45, 3, v46
	s_mov_b32 s23, exec_lo
	v_cmpx_gt_u32_e32 8, v46
; %bb.416:                              ;   in Loop: Header=BB405_13 Depth=1
	s_delay_alu instid0(VALU_DEP_3) | instskip(NEXT) | instid1(VALU_DEP_1)
	v_clz_i32_u32_e32 v45, v28
	v_min_u32_e32 v45, 32, v45
	s_delay_alu instid0(VALU_DEP_1) | instskip(SKIP_1) | instid1(VALU_DEP_2)
	v_subrev_nc_u32_e32 v46, 28, v45
	v_sub_nc_u32_e32 v45, 29, v45
	v_lshlrev_b64 v[56:57], v46, v[28:29]
	s_delay_alu instid0(VALU_DEP_1)
	v_and_b32_e32 v28, 7, v56
; %bb.417:                              ;   in Loop: Header=BB405_13 Depth=1
	s_or_b32 exec_lo, exec_lo, s23
	v_lshlrev_b32_e32 v46, 16, v47
	s_delay_alu instid0(VALU_DEP_2) | instskip(SKIP_1) | instid1(VALU_DEP_3)
	v_lshlrev_b32_e32 v28, 20, v28
	v_lshl_add_u32 v45, v45, 23, 0x3c000000
	v_and_b32_e32 v46, 0x80000000, v46
	s_delay_alu instid0(VALU_DEP_1)
	v_or3_b32 v28, v28, v46, v45
.LBB405_418:                            ;   in Loop: Header=BB405_13 Depth=1
	s_or_b32 exec_lo, exec_lo, s22
.LBB405_419:                            ;   in Loop: Header=BB405_13 Depth=1
	s_delay_alu instid0(SALU_CYCLE_1)
	s_or_b32 exec_lo, exec_lo, s21
.LBB405_420:                            ;   in Loop: Header=BB405_13 Depth=1
	s_delay_alu instid0(SALU_CYCLE_1) | instskip(NEXT) | instid1(VALU_DEP_1)
	s_or_b32 exec_lo, exec_lo, s20
	v_mul_f32_e32 v28, v131, v28
	s_delay_alu instid0(VALU_DEP_1) | instskip(NEXT) | instid1(VALU_DEP_1)
	v_and_b32_e32 v45, 0x7f800000, v28
	v_cmp_ne_u32_e64 s2, 0x7f800000, v45
                                        ; implicit-def: $vgpr45
	s_delay_alu instid0(VALU_DEP_1) | instskip(NEXT) | instid1(SALU_CYCLE_1)
	s_and_saveexec_b32 s20, s2
	s_xor_b32 s2, exec_lo, s20
; %bb.421:                              ;   in Loop: Header=BB405_13 Depth=1
	v_bfe_u32 v45, v28, 16, 1
	s_delay_alu instid0(VALU_DEP_1)
	v_add3_u32 v45, v28, v45, 0x7fff
                                        ; implicit-def: $vgpr28
; %bb.422:                              ;   in Loop: Header=BB405_13 Depth=1
	s_and_not1_saveexec_b32 s20, s2
; %bb.423:                              ;   in Loop: Header=BB405_13 Depth=1
	v_and_b32_e32 v45, 0xffff, v28
	v_or_b32_e32 v46, 0x10000, v28
	s_delay_alu instid0(VALU_DEP_2) | instskip(NEXT) | instid1(VALU_DEP_1)
	v_cmp_eq_u32_e64 s2, 0, v45
	v_cndmask_b32_e64 v45, v46, v28, s2
; %bb.424:                              ;   in Loop: Header=BB405_13 Depth=1
	s_or_b32 exec_lo, exec_lo, s20
	v_lshrrev_b32_e32 v46, 16, v47
	v_mov_b32_e32 v28, 0
	s_mov_b32 s20, exec_lo
	s_delay_alu instid0(VALU_DEP_2) | instskip(NEXT) | instid1(VALU_DEP_1)
	v_and_b32_e32 v56, 0xff, v46
	v_cmpx_ne_u16_e32 0, v56
	s_cbranch_execz .LBB405_432
; %bb.425:                              ;   in Loop: Header=BB405_13 Depth=1
	v_bfrev_b32_e32 v28, 1
	s_mov_b32 s21, exec_lo
	v_cmpx_ne_u16_e32 0x80, v56
	s_cbranch_execz .LBB405_431
; %bb.426:                              ;   in Loop: Header=BB405_13 Depth=1
	v_bfe_u32 v57, v47, 16, 7
	v_mov_b32_e32 v28, 0x7f800001
	s_mov_b32 s22, exec_lo
	s_delay_alu instid0(VALU_DEP_2)
	v_cmpx_ne_u32_e32 0x7f, v57
	s_cbranch_execz .LBB405_430
; %bb.427:                              ;   in Loop: Header=BB405_13 Depth=1
	v_and_b32_e32 v28, 7, v46
	v_lshrrev_b32_e32 v56, 3, v57
	s_mov_b32 s23, exec_lo
	v_cmpx_gt_u32_e32 8, v57
; %bb.428:                              ;   in Loop: Header=BB405_13 Depth=1
	s_delay_alu instid0(VALU_DEP_3) | instskip(NEXT) | instid1(VALU_DEP_1)
	v_clz_i32_u32_e32 v56, v28
	v_min_u32_e32 v56, 32, v56
	s_delay_alu instid0(VALU_DEP_1) | instskip(SKIP_1) | instid1(VALU_DEP_2)
	v_subrev_nc_u32_e32 v57, 28, v56
	v_sub_nc_u32_e32 v56, 29, v56
	v_lshlrev_b64 v[57:58], v57, v[28:29]
	s_delay_alu instid0(VALU_DEP_1)
	v_and_b32_e32 v28, 7, v57
; %bb.429:                              ;   in Loop: Header=BB405_13 Depth=1
	s_or_b32 exec_lo, exec_lo, s23
	v_lshlrev_b32_e32 v46, 24, v46
	s_delay_alu instid0(VALU_DEP_2) | instskip(SKIP_1) | instid1(VALU_DEP_3)
	v_lshlrev_b32_e32 v28, 20, v28
	v_lshl_add_u32 v56, v56, 23, 0x3c000000
	v_and_b32_e32 v46, 0x80000000, v46
	s_delay_alu instid0(VALU_DEP_1)
	v_or3_b32 v28, v28, v46, v56
.LBB405_430:                            ;   in Loop: Header=BB405_13 Depth=1
	s_or_b32 exec_lo, exec_lo, s22
.LBB405_431:                            ;   in Loop: Header=BB405_13 Depth=1
	s_delay_alu instid0(SALU_CYCLE_1)
	s_or_b32 exec_lo, exec_lo, s21
.LBB405_432:                            ;   in Loop: Header=BB405_13 Depth=1
	s_delay_alu instid0(SALU_CYCLE_1) | instskip(NEXT) | instid1(VALU_DEP_1)
	s_or_b32 exec_lo, exec_lo, s20
	v_mul_f32_e32 v28, v131, v28
	s_delay_alu instid0(VALU_DEP_1) | instskip(NEXT) | instid1(VALU_DEP_1)
	v_and_b32_e32 v46, 0x7f800000, v28
	v_cmp_ne_u32_e64 s2, 0x7f800000, v46
                                        ; implicit-def: $vgpr46
	s_delay_alu instid0(VALU_DEP_1) | instskip(NEXT) | instid1(SALU_CYCLE_1)
	s_and_saveexec_b32 s20, s2
	s_xor_b32 s2, exec_lo, s20
; %bb.433:                              ;   in Loop: Header=BB405_13 Depth=1
	v_bfe_u32 v46, v28, 16, 1
	s_delay_alu instid0(VALU_DEP_1)
	v_add3_u32 v46, v28, v46, 0x7fff
                                        ; implicit-def: $vgpr28
; %bb.434:                              ;   in Loop: Header=BB405_13 Depth=1
	s_and_not1_saveexec_b32 s20, s2
; %bb.435:                              ;   in Loop: Header=BB405_13 Depth=1
	v_and_b32_e32 v46, 0xffff, v28
	v_or_b32_e32 v56, 0x10000, v28
	s_delay_alu instid0(VALU_DEP_2) | instskip(NEXT) | instid1(VALU_DEP_1)
	v_cmp_eq_u32_e64 s2, 0, v46
	v_cndmask_b32_e64 v46, v56, v28, s2
; %bb.436:                              ;   in Loop: Header=BB405_13 Depth=1
	s_or_b32 exec_lo, exec_lo, s20
	v_mov_b32_e32 v28, 0
	s_mov_b32 s20, exec_lo
	v_cmpx_lt_u32_e32 0xffffff, v47
	s_cbranch_execz .LBB405_444
; %bb.437:                              ;   in Loop: Header=BB405_13 Depth=1
	v_lshrrev_b32_e32 v56, 24, v47
	v_bfrev_b32_e32 v28, 1
	s_mov_b32 s21, exec_lo
	s_delay_alu instid0(VALU_DEP_2)
	v_cmpx_ne_u32_e32 0x80, v56
	s_cbranch_execz .LBB405_443
; %bb.438:                              ;   in Loop: Header=BB405_13 Depth=1
	v_bfe_u32 v57, v47, 24, 7
	v_mov_b32_e32 v28, 0x7f800001
	s_mov_b32 s22, exec_lo
	s_delay_alu instid0(VALU_DEP_2)
	v_cmpx_ne_u32_e32 0x7f, v57
	s_cbranch_execz .LBB405_442
; %bb.439:                              ;   in Loop: Header=BB405_13 Depth=1
	v_and_b32_e32 v28, 7, v56
	v_lshrrev_b32_e32 v47, 3, v57
	s_mov_b32 s23, exec_lo
	v_cmpx_gt_u32_e32 8, v57
; %bb.440:                              ;   in Loop: Header=BB405_13 Depth=1
	s_delay_alu instid0(VALU_DEP_3) | instskip(NEXT) | instid1(VALU_DEP_1)
	v_clz_i32_u32_e32 v47, v28
	v_min_u32_e32 v47, 32, v47
	s_delay_alu instid0(VALU_DEP_1) | instskip(SKIP_1) | instid1(VALU_DEP_2)
	v_subrev_nc_u32_e32 v57, 28, v47
	v_sub_nc_u32_e32 v47, 29, v47
	v_lshlrev_b64 v[57:58], v57, v[28:29]
	s_delay_alu instid0(VALU_DEP_1)
	v_and_b32_e32 v28, 7, v57
; %bb.441:                              ;   in Loop: Header=BB405_13 Depth=1
	s_or_b32 exec_lo, exec_lo, s23
	v_lshlrev_b32_e32 v56, 24, v56
	s_delay_alu instid0(VALU_DEP_2) | instskip(SKIP_1) | instid1(VALU_DEP_3)
	v_lshlrev_b32_e32 v28, 20, v28
	v_lshl_add_u32 v47, v47, 23, 0x3c000000
	v_and_b32_e32 v56, 0x80000000, v56
	s_delay_alu instid0(VALU_DEP_1)
	v_or3_b32 v28, v28, v56, v47
.LBB405_442:                            ;   in Loop: Header=BB405_13 Depth=1
	s_or_b32 exec_lo, exec_lo, s22
.LBB405_443:                            ;   in Loop: Header=BB405_13 Depth=1
	s_delay_alu instid0(SALU_CYCLE_1)
	s_or_b32 exec_lo, exec_lo, s21
.LBB405_444:                            ;   in Loop: Header=BB405_13 Depth=1
	s_delay_alu instid0(SALU_CYCLE_1) | instskip(NEXT) | instid1(VALU_DEP_1)
	s_or_b32 exec_lo, exec_lo, s20
	v_mul_f32_e32 v28, v131, v28
	s_delay_alu instid0(VALU_DEP_1) | instskip(NEXT) | instid1(VALU_DEP_1)
	v_and_b32_e32 v47, 0x7f800000, v28
	v_cmp_ne_u32_e64 s2, 0x7f800000, v47
                                        ; implicit-def: $vgpr47
	s_delay_alu instid0(VALU_DEP_1) | instskip(NEXT) | instid1(SALU_CYCLE_1)
	s_and_saveexec_b32 s20, s2
	s_xor_b32 s2, exec_lo, s20
; %bb.445:                              ;   in Loop: Header=BB405_13 Depth=1
	v_bfe_u32 v47, v28, 16, 1
	s_delay_alu instid0(VALU_DEP_1)
	v_add3_u32 v47, v28, v47, 0x7fff
                                        ; implicit-def: $vgpr28
; %bb.446:                              ;   in Loop: Header=BB405_13 Depth=1
	s_and_not1_saveexec_b32 s20, s2
; %bb.447:                              ;   in Loop: Header=BB405_13 Depth=1
	v_and_b32_e32 v47, 0xffff, v28
	v_or_b32_e32 v56, 0x10000, v28
	s_delay_alu instid0(VALU_DEP_2) | instskip(NEXT) | instid1(VALU_DEP_1)
	v_cmp_eq_u32_e64 s2, 0, v47
	v_cndmask_b32_e64 v47, v56, v28, s2
; %bb.448:                              ;   in Loop: Header=BB405_13 Depth=1
	s_or_b32 exec_lo, exec_lo, s20
	flat_load_b32 v59, v[80:81] offset:1032
	v_mov_b32_e32 v28, 0
	s_mov_b32 s20, exec_lo
	s_waitcnt vmcnt(0) lgkmcnt(0)
	v_and_b32_e32 v56, 0xff, v59
	s_delay_alu instid0(VALU_DEP_1)
	v_cmpx_ne_u16_e32 0, v56
	s_cbranch_execz .LBB405_456
; %bb.449:                              ;   in Loop: Header=BB405_13 Depth=1
	v_bfrev_b32_e32 v28, 1
	s_mov_b32 s21, exec_lo
	v_cmpx_ne_u16_e32 0x80, v56
	s_cbranch_execz .LBB405_455
; %bb.450:                              ;   in Loop: Header=BB405_13 Depth=1
	v_and_b32_e32 v57, 0x7f, v59
	v_mov_b32_e32 v28, 0x7f800001
	s_mov_b32 s22, exec_lo
	s_delay_alu instid0(VALU_DEP_2)
	v_cmpx_ne_u32_e32 0x7f, v57
	s_cbranch_execz .LBB405_454
; %bb.451:                              ;   in Loop: Header=BB405_13 Depth=1
	v_and_b32_e32 v28, 7, v59
	v_lshrrev_b32_e32 v56, 3, v57
	s_mov_b32 s23, exec_lo
	v_cmpx_gt_u32_e32 8, v57
; %bb.452:                              ;   in Loop: Header=BB405_13 Depth=1
	s_delay_alu instid0(VALU_DEP_3) | instskip(NEXT) | instid1(VALU_DEP_1)
	v_clz_i32_u32_e32 v56, v28
	v_min_u32_e32 v56, 32, v56
	s_delay_alu instid0(VALU_DEP_1) | instskip(SKIP_1) | instid1(VALU_DEP_2)
	v_subrev_nc_u32_e32 v57, 28, v56
	v_sub_nc_u32_e32 v56, 29, v56
	v_lshlrev_b64 v[57:58], v57, v[28:29]
	s_delay_alu instid0(VALU_DEP_1)
	v_and_b32_e32 v28, 7, v57
; %bb.453:                              ;   in Loop: Header=BB405_13 Depth=1
	s_or_b32 exec_lo, exec_lo, s23
	v_lshlrev_b32_e32 v57, 24, v59
	s_delay_alu instid0(VALU_DEP_2) | instskip(SKIP_1) | instid1(VALU_DEP_3)
	v_lshlrev_b32_e32 v28, 20, v28
	v_lshl_add_u32 v56, v56, 23, 0x3c000000
	v_and_b32_e32 v57, 0x80000000, v57
	s_delay_alu instid0(VALU_DEP_1)
	v_or3_b32 v28, v28, v57, v56
.LBB405_454:                            ;   in Loop: Header=BB405_13 Depth=1
	s_or_b32 exec_lo, exec_lo, s22
.LBB405_455:                            ;   in Loop: Header=BB405_13 Depth=1
	s_delay_alu instid0(SALU_CYCLE_1)
	s_or_b32 exec_lo, exec_lo, s21
.LBB405_456:                            ;   in Loop: Header=BB405_13 Depth=1
	s_delay_alu instid0(SALU_CYCLE_1) | instskip(NEXT) | instid1(VALU_DEP_1)
	s_or_b32 exec_lo, exec_lo, s20
	v_mul_f32_e32 v28, v131, v28
	s_delay_alu instid0(VALU_DEP_1) | instskip(NEXT) | instid1(VALU_DEP_1)
	v_and_b32_e32 v56, 0x7f800000, v28
	v_cmp_ne_u32_e64 s2, 0x7f800000, v56
                                        ; implicit-def: $vgpr56
	s_delay_alu instid0(VALU_DEP_1) | instskip(NEXT) | instid1(SALU_CYCLE_1)
	s_and_saveexec_b32 s20, s2
	s_xor_b32 s2, exec_lo, s20
; %bb.457:                              ;   in Loop: Header=BB405_13 Depth=1
	v_bfe_u32 v56, v28, 16, 1
	s_delay_alu instid0(VALU_DEP_1)
	v_add3_u32 v56, v28, v56, 0x7fff
                                        ; implicit-def: $vgpr28
; %bb.458:                              ;   in Loop: Header=BB405_13 Depth=1
	s_and_not1_saveexec_b32 s20, s2
; %bb.459:                              ;   in Loop: Header=BB405_13 Depth=1
	v_and_b32_e32 v56, 0xffff, v28
	v_or_b32_e32 v57, 0x10000, v28
	s_delay_alu instid0(VALU_DEP_2) | instskip(NEXT) | instid1(VALU_DEP_1)
	v_cmp_eq_u32_e64 s2, 0, v56
	v_cndmask_b32_e64 v56, v57, v28, s2
; %bb.460:                              ;   in Loop: Header=BB405_13 Depth=1
	s_or_b32 exec_lo, exec_lo, s20
	v_lshrrev_b16 v57, 8, v59
	v_mov_b32_e32 v28, 0
	s_mov_b32 s20, exec_lo
	s_delay_alu instid0(VALU_DEP_2)
	v_cmpx_ne_u16_e32 0, v57
	s_cbranch_execz .LBB405_468
; %bb.461:                              ;   in Loop: Header=BB405_13 Depth=1
	v_bfrev_b32_e32 v28, 1
	s_mov_b32 s21, exec_lo
	v_cmpx_ne_u16_e32 0x80, v57
	s_cbranch_execz .LBB405_467
; %bb.462:                              ;   in Loop: Header=BB405_13 Depth=1
	v_and_b32_e32 v57, 0xffff, v57
	v_mov_b32_e32 v28, 0x7f800001
	s_mov_b32 s22, exec_lo
	s_delay_alu instid0(VALU_DEP_2) | instskip(NEXT) | instid1(VALU_DEP_1)
	v_and_b32_e32 v58, 0x7f, v57
	v_cmpx_ne_u32_e32 0x7f, v58
	s_cbranch_execz .LBB405_466
; %bb.463:                              ;   in Loop: Header=BB405_13 Depth=1
	v_and_b32_e32 v28, 7, v57
	v_lshrrev_b32_e32 v57, 3, v58
	s_mov_b32 s23, exec_lo
	v_cmpx_gt_u32_e32 8, v58
; %bb.464:                              ;   in Loop: Header=BB405_13 Depth=1
	s_delay_alu instid0(VALU_DEP_3) | instskip(NEXT) | instid1(VALU_DEP_1)
	v_clz_i32_u32_e32 v57, v28
	v_min_u32_e32 v57, 32, v57
	s_delay_alu instid0(VALU_DEP_1) | instskip(SKIP_1) | instid1(VALU_DEP_2)
	v_subrev_nc_u32_e32 v58, 28, v57
	v_sub_nc_u32_e32 v57, 29, v57
	v_lshlrev_b64 v[60:61], v58, v[28:29]
	s_delay_alu instid0(VALU_DEP_1)
	v_and_b32_e32 v28, 7, v60
; %bb.465:                              ;   in Loop: Header=BB405_13 Depth=1
	s_or_b32 exec_lo, exec_lo, s23
	v_lshlrev_b32_e32 v58, 16, v59
	s_delay_alu instid0(VALU_DEP_2) | instskip(SKIP_1) | instid1(VALU_DEP_3)
	v_lshlrev_b32_e32 v28, 20, v28
	v_lshl_add_u32 v57, v57, 23, 0x3c000000
	v_and_b32_e32 v58, 0x80000000, v58
	s_delay_alu instid0(VALU_DEP_1)
	v_or3_b32 v28, v28, v58, v57
.LBB405_466:                            ;   in Loop: Header=BB405_13 Depth=1
	s_or_b32 exec_lo, exec_lo, s22
.LBB405_467:                            ;   in Loop: Header=BB405_13 Depth=1
	s_delay_alu instid0(SALU_CYCLE_1)
	s_or_b32 exec_lo, exec_lo, s21
.LBB405_468:                            ;   in Loop: Header=BB405_13 Depth=1
	s_delay_alu instid0(SALU_CYCLE_1) | instskip(NEXT) | instid1(VALU_DEP_1)
	s_or_b32 exec_lo, exec_lo, s20
	v_mul_f32_e32 v28, v131, v28
	s_delay_alu instid0(VALU_DEP_1) | instskip(NEXT) | instid1(VALU_DEP_1)
	v_and_b32_e32 v57, 0x7f800000, v28
	v_cmp_ne_u32_e64 s2, 0x7f800000, v57
                                        ; implicit-def: $vgpr57
	s_delay_alu instid0(VALU_DEP_1) | instskip(NEXT) | instid1(SALU_CYCLE_1)
	s_and_saveexec_b32 s20, s2
	s_xor_b32 s2, exec_lo, s20
; %bb.469:                              ;   in Loop: Header=BB405_13 Depth=1
	v_bfe_u32 v57, v28, 16, 1
	s_delay_alu instid0(VALU_DEP_1)
	v_add3_u32 v57, v28, v57, 0x7fff
                                        ; implicit-def: $vgpr28
; %bb.470:                              ;   in Loop: Header=BB405_13 Depth=1
	s_and_not1_saveexec_b32 s20, s2
; %bb.471:                              ;   in Loop: Header=BB405_13 Depth=1
	v_and_b32_e32 v57, 0xffff, v28
	v_or_b32_e32 v58, 0x10000, v28
	s_delay_alu instid0(VALU_DEP_2) | instskip(NEXT) | instid1(VALU_DEP_1)
	v_cmp_eq_u32_e64 s2, 0, v57
	v_cndmask_b32_e64 v57, v58, v28, s2
; %bb.472:                              ;   in Loop: Header=BB405_13 Depth=1
	s_or_b32 exec_lo, exec_lo, s20
	v_lshrrev_b32_e32 v58, 16, v59
	v_mov_b32_e32 v28, 0
	s_mov_b32 s20, exec_lo
	s_delay_alu instid0(VALU_DEP_2) | instskip(NEXT) | instid1(VALU_DEP_1)
	v_and_b32_e32 v60, 0xff, v58
	v_cmpx_ne_u16_e32 0, v60
	s_cbranch_execz .LBB405_480
; %bb.473:                              ;   in Loop: Header=BB405_13 Depth=1
	v_bfrev_b32_e32 v28, 1
	s_mov_b32 s21, exec_lo
	v_cmpx_ne_u16_e32 0x80, v60
	s_cbranch_execz .LBB405_479
; %bb.474:                              ;   in Loop: Header=BB405_13 Depth=1
	v_bfe_u32 v61, v59, 16, 7
	v_mov_b32_e32 v28, 0x7f800001
	s_mov_b32 s22, exec_lo
	s_delay_alu instid0(VALU_DEP_2)
	v_cmpx_ne_u32_e32 0x7f, v61
	s_cbranch_execz .LBB405_478
; %bb.475:                              ;   in Loop: Header=BB405_13 Depth=1
	v_and_b32_e32 v28, 7, v58
	v_lshrrev_b32_e32 v60, 3, v61
	s_mov_b32 s23, exec_lo
	v_cmpx_gt_u32_e32 8, v61
; %bb.476:                              ;   in Loop: Header=BB405_13 Depth=1
	s_delay_alu instid0(VALU_DEP_3) | instskip(NEXT) | instid1(VALU_DEP_1)
	v_clz_i32_u32_e32 v60, v28
	v_min_u32_e32 v60, 32, v60
	s_delay_alu instid0(VALU_DEP_1) | instskip(SKIP_1) | instid1(VALU_DEP_2)
	v_subrev_nc_u32_e32 v61, 28, v60
	v_sub_nc_u32_e32 v60, 29, v60
	v_lshlrev_b64 v[61:62], v61, v[28:29]
	s_delay_alu instid0(VALU_DEP_1)
	v_and_b32_e32 v28, 7, v61
; %bb.477:                              ;   in Loop: Header=BB405_13 Depth=1
	s_or_b32 exec_lo, exec_lo, s23
	v_lshlrev_b32_e32 v58, 24, v58
	s_delay_alu instid0(VALU_DEP_2) | instskip(SKIP_1) | instid1(VALU_DEP_3)
	v_lshlrev_b32_e32 v28, 20, v28
	v_lshl_add_u32 v60, v60, 23, 0x3c000000
	v_and_b32_e32 v58, 0x80000000, v58
	s_delay_alu instid0(VALU_DEP_1)
	v_or3_b32 v28, v28, v58, v60
.LBB405_478:                            ;   in Loop: Header=BB405_13 Depth=1
	s_or_b32 exec_lo, exec_lo, s22
.LBB405_479:                            ;   in Loop: Header=BB405_13 Depth=1
	s_delay_alu instid0(SALU_CYCLE_1)
	s_or_b32 exec_lo, exec_lo, s21
.LBB405_480:                            ;   in Loop: Header=BB405_13 Depth=1
	s_delay_alu instid0(SALU_CYCLE_1) | instskip(NEXT) | instid1(VALU_DEP_1)
	s_or_b32 exec_lo, exec_lo, s20
	v_mul_f32_e32 v28, v131, v28
	s_delay_alu instid0(VALU_DEP_1) | instskip(NEXT) | instid1(VALU_DEP_1)
	v_and_b32_e32 v58, 0x7f800000, v28
	v_cmp_ne_u32_e64 s2, 0x7f800000, v58
                                        ; implicit-def: $vgpr58
	s_delay_alu instid0(VALU_DEP_1) | instskip(NEXT) | instid1(SALU_CYCLE_1)
	s_and_saveexec_b32 s20, s2
	s_xor_b32 s2, exec_lo, s20
; %bb.481:                              ;   in Loop: Header=BB405_13 Depth=1
	v_bfe_u32 v58, v28, 16, 1
	s_delay_alu instid0(VALU_DEP_1)
	v_add3_u32 v58, v28, v58, 0x7fff
                                        ; implicit-def: $vgpr28
; %bb.482:                              ;   in Loop: Header=BB405_13 Depth=1
	s_and_not1_saveexec_b32 s20, s2
; %bb.483:                              ;   in Loop: Header=BB405_13 Depth=1
	v_and_b32_e32 v58, 0xffff, v28
	v_or_b32_e32 v60, 0x10000, v28
	s_delay_alu instid0(VALU_DEP_2) | instskip(NEXT) | instid1(VALU_DEP_1)
	v_cmp_eq_u32_e64 s2, 0, v58
	v_cndmask_b32_e64 v58, v60, v28, s2
; %bb.484:                              ;   in Loop: Header=BB405_13 Depth=1
	s_or_b32 exec_lo, exec_lo, s20
	v_mov_b32_e32 v28, 0
	s_mov_b32 s20, exec_lo
	v_cmpx_lt_u32_e32 0xffffff, v59
	s_cbranch_execz .LBB405_492
; %bb.485:                              ;   in Loop: Header=BB405_13 Depth=1
	v_lshrrev_b32_e32 v60, 24, v59
	v_bfrev_b32_e32 v28, 1
	s_mov_b32 s21, exec_lo
	s_delay_alu instid0(VALU_DEP_2)
	v_cmpx_ne_u32_e32 0x80, v60
	s_cbranch_execz .LBB405_491
; %bb.486:                              ;   in Loop: Header=BB405_13 Depth=1
	v_bfe_u32 v61, v59, 24, 7
	v_mov_b32_e32 v28, 0x7f800001
	s_mov_b32 s22, exec_lo
	s_delay_alu instid0(VALU_DEP_2)
	v_cmpx_ne_u32_e32 0x7f, v61
	s_cbranch_execz .LBB405_490
; %bb.487:                              ;   in Loop: Header=BB405_13 Depth=1
	v_and_b32_e32 v28, 7, v60
	v_lshrrev_b32_e32 v59, 3, v61
	s_mov_b32 s23, exec_lo
	v_cmpx_gt_u32_e32 8, v61
; %bb.488:                              ;   in Loop: Header=BB405_13 Depth=1
	s_delay_alu instid0(VALU_DEP_3) | instskip(NEXT) | instid1(VALU_DEP_1)
	v_clz_i32_u32_e32 v59, v28
	v_min_u32_e32 v59, 32, v59
	s_delay_alu instid0(VALU_DEP_1) | instskip(SKIP_1) | instid1(VALU_DEP_2)
	v_subrev_nc_u32_e32 v61, 28, v59
	v_sub_nc_u32_e32 v59, 29, v59
	v_lshlrev_b64 v[61:62], v61, v[28:29]
	s_delay_alu instid0(VALU_DEP_1)
	v_and_b32_e32 v28, 7, v61
; %bb.489:                              ;   in Loop: Header=BB405_13 Depth=1
	s_or_b32 exec_lo, exec_lo, s23
	v_lshlrev_b32_e32 v60, 24, v60
	s_delay_alu instid0(VALU_DEP_2) | instskip(SKIP_1) | instid1(VALU_DEP_3)
	v_lshlrev_b32_e32 v28, 20, v28
	v_lshl_add_u32 v59, v59, 23, 0x3c000000
	v_and_b32_e32 v60, 0x80000000, v60
	s_delay_alu instid0(VALU_DEP_1)
	v_or3_b32 v28, v28, v60, v59
.LBB405_490:                            ;   in Loop: Header=BB405_13 Depth=1
	s_or_b32 exec_lo, exec_lo, s22
.LBB405_491:                            ;   in Loop: Header=BB405_13 Depth=1
	s_delay_alu instid0(SALU_CYCLE_1)
	s_or_b32 exec_lo, exec_lo, s21
.LBB405_492:                            ;   in Loop: Header=BB405_13 Depth=1
	s_delay_alu instid0(SALU_CYCLE_1) | instskip(NEXT) | instid1(VALU_DEP_1)
	s_or_b32 exec_lo, exec_lo, s20
	v_mul_f32_e32 v28, v131, v28
	s_delay_alu instid0(VALU_DEP_1) | instskip(NEXT) | instid1(VALU_DEP_1)
	v_and_b32_e32 v59, 0x7f800000, v28
	v_cmp_ne_u32_e64 s2, 0x7f800000, v59
                                        ; implicit-def: $vgpr59
	s_delay_alu instid0(VALU_DEP_1) | instskip(NEXT) | instid1(SALU_CYCLE_1)
	s_and_saveexec_b32 s20, s2
	s_xor_b32 s2, exec_lo, s20
; %bb.493:                              ;   in Loop: Header=BB405_13 Depth=1
	v_bfe_u32 v59, v28, 16, 1
	s_delay_alu instid0(VALU_DEP_1)
	v_add3_u32 v59, v28, v59, 0x7fff
                                        ; implicit-def: $vgpr28
; %bb.494:                              ;   in Loop: Header=BB405_13 Depth=1
	s_and_not1_saveexec_b32 s20, s2
; %bb.495:                              ;   in Loop: Header=BB405_13 Depth=1
	v_and_b32_e32 v59, 0xffff, v28
	v_or_b32_e32 v60, 0x10000, v28
	s_delay_alu instid0(VALU_DEP_2) | instskip(NEXT) | instid1(VALU_DEP_1)
	v_cmp_eq_u32_e64 s2, 0, v59
	v_cndmask_b32_e64 v59, v60, v28, s2
; %bb.496:                              ;   in Loop: Header=BB405_13 Depth=1
	s_or_b32 exec_lo, exec_lo, s20
	flat_load_b32 v63, v[80:81] offset:1280
	v_mov_b32_e32 v28, 0
	s_mov_b32 s20, exec_lo
	s_waitcnt vmcnt(0) lgkmcnt(0)
	v_and_b32_e32 v60, 0xff, v63
	s_delay_alu instid0(VALU_DEP_1)
	v_cmpx_ne_u16_e32 0, v60
	s_cbranch_execz .LBB405_504
; %bb.497:                              ;   in Loop: Header=BB405_13 Depth=1
	v_bfrev_b32_e32 v28, 1
	s_mov_b32 s21, exec_lo
	v_cmpx_ne_u16_e32 0x80, v60
	s_cbranch_execz .LBB405_503
; %bb.498:                              ;   in Loop: Header=BB405_13 Depth=1
	v_and_b32_e32 v61, 0x7f, v63
	v_mov_b32_e32 v28, 0x7f800001
	s_mov_b32 s22, exec_lo
	s_delay_alu instid0(VALU_DEP_2)
	v_cmpx_ne_u32_e32 0x7f, v61
	s_cbranch_execz .LBB405_502
; %bb.499:                              ;   in Loop: Header=BB405_13 Depth=1
	v_and_b32_e32 v28, 7, v63
	v_lshrrev_b32_e32 v60, 3, v61
	s_mov_b32 s23, exec_lo
	v_cmpx_gt_u32_e32 8, v61
; %bb.500:                              ;   in Loop: Header=BB405_13 Depth=1
	s_delay_alu instid0(VALU_DEP_3) | instskip(NEXT) | instid1(VALU_DEP_1)
	v_clz_i32_u32_e32 v60, v28
	v_min_u32_e32 v60, 32, v60
	s_delay_alu instid0(VALU_DEP_1) | instskip(SKIP_1) | instid1(VALU_DEP_2)
	v_subrev_nc_u32_e32 v61, 28, v60
	v_sub_nc_u32_e32 v60, 29, v60
	v_lshlrev_b64 v[61:62], v61, v[28:29]
	s_delay_alu instid0(VALU_DEP_1)
	v_and_b32_e32 v28, 7, v61
; %bb.501:                              ;   in Loop: Header=BB405_13 Depth=1
	s_or_b32 exec_lo, exec_lo, s23
	v_lshlrev_b32_e32 v61, 24, v63
	s_delay_alu instid0(VALU_DEP_2) | instskip(SKIP_1) | instid1(VALU_DEP_3)
	v_lshlrev_b32_e32 v28, 20, v28
	v_lshl_add_u32 v60, v60, 23, 0x3c000000
	v_and_b32_e32 v61, 0x80000000, v61
	s_delay_alu instid0(VALU_DEP_1)
	v_or3_b32 v28, v28, v61, v60
.LBB405_502:                            ;   in Loop: Header=BB405_13 Depth=1
	s_or_b32 exec_lo, exec_lo, s22
.LBB405_503:                            ;   in Loop: Header=BB405_13 Depth=1
	s_delay_alu instid0(SALU_CYCLE_1)
	s_or_b32 exec_lo, exec_lo, s21
.LBB405_504:                            ;   in Loop: Header=BB405_13 Depth=1
	s_delay_alu instid0(SALU_CYCLE_1) | instskip(NEXT) | instid1(VALU_DEP_1)
	s_or_b32 exec_lo, exec_lo, s20
	v_mul_f32_e32 v28, v131, v28
	s_delay_alu instid0(VALU_DEP_1) | instskip(NEXT) | instid1(VALU_DEP_1)
	v_and_b32_e32 v60, 0x7f800000, v28
	v_cmp_ne_u32_e64 s2, 0x7f800000, v60
                                        ; implicit-def: $vgpr60
	s_delay_alu instid0(VALU_DEP_1) | instskip(NEXT) | instid1(SALU_CYCLE_1)
	s_and_saveexec_b32 s20, s2
	s_xor_b32 s2, exec_lo, s20
; %bb.505:                              ;   in Loop: Header=BB405_13 Depth=1
	v_bfe_u32 v60, v28, 16, 1
	s_delay_alu instid0(VALU_DEP_1)
	v_add3_u32 v60, v28, v60, 0x7fff
                                        ; implicit-def: $vgpr28
; %bb.506:                              ;   in Loop: Header=BB405_13 Depth=1
	s_and_not1_saveexec_b32 s20, s2
; %bb.507:                              ;   in Loop: Header=BB405_13 Depth=1
	v_and_b32_e32 v60, 0xffff, v28
	v_or_b32_e32 v61, 0x10000, v28
	s_delay_alu instid0(VALU_DEP_2) | instskip(NEXT) | instid1(VALU_DEP_1)
	v_cmp_eq_u32_e64 s2, 0, v60
	v_cndmask_b32_e64 v60, v61, v28, s2
; %bb.508:                              ;   in Loop: Header=BB405_13 Depth=1
	s_or_b32 exec_lo, exec_lo, s20
	v_lshrrev_b16 v61, 8, v63
	v_mov_b32_e32 v28, 0
	s_mov_b32 s20, exec_lo
	s_delay_alu instid0(VALU_DEP_2)
	v_cmpx_ne_u16_e32 0, v61
	s_cbranch_execz .LBB405_516
; %bb.509:                              ;   in Loop: Header=BB405_13 Depth=1
	v_bfrev_b32_e32 v28, 1
	s_mov_b32 s21, exec_lo
	v_cmpx_ne_u16_e32 0x80, v61
	s_cbranch_execz .LBB405_515
; %bb.510:                              ;   in Loop: Header=BB405_13 Depth=1
	v_and_b32_e32 v61, 0xffff, v61
	v_mov_b32_e32 v28, 0x7f800001
	s_mov_b32 s22, exec_lo
	s_delay_alu instid0(VALU_DEP_2) | instskip(NEXT) | instid1(VALU_DEP_1)
	v_and_b32_e32 v62, 0x7f, v61
	v_cmpx_ne_u32_e32 0x7f, v62
	s_cbranch_execz .LBB405_514
; %bb.511:                              ;   in Loop: Header=BB405_13 Depth=1
	v_and_b32_e32 v28, 7, v61
	v_lshrrev_b32_e32 v61, 3, v62
	s_mov_b32 s23, exec_lo
	v_cmpx_gt_u32_e32 8, v62
; %bb.512:                              ;   in Loop: Header=BB405_13 Depth=1
	s_delay_alu instid0(VALU_DEP_3) | instskip(NEXT) | instid1(VALU_DEP_1)
	v_clz_i32_u32_e32 v61, v28
	v_min_u32_e32 v61, 32, v61
	s_delay_alu instid0(VALU_DEP_1) | instskip(SKIP_1) | instid1(VALU_DEP_2)
	v_subrev_nc_u32_e32 v62, 28, v61
	v_sub_nc_u32_e32 v61, 29, v61
	v_lshlrev_b64 v[72:73], v62, v[28:29]
	s_delay_alu instid0(VALU_DEP_1)
	v_and_b32_e32 v28, 7, v72
; %bb.513:                              ;   in Loop: Header=BB405_13 Depth=1
	s_or_b32 exec_lo, exec_lo, s23
	v_lshlrev_b32_e32 v62, 16, v63
	s_delay_alu instid0(VALU_DEP_2) | instskip(SKIP_1) | instid1(VALU_DEP_3)
	v_lshlrev_b32_e32 v28, 20, v28
	v_lshl_add_u32 v61, v61, 23, 0x3c000000
	v_and_b32_e32 v62, 0x80000000, v62
	s_delay_alu instid0(VALU_DEP_1)
	v_or3_b32 v28, v28, v62, v61
.LBB405_514:                            ;   in Loop: Header=BB405_13 Depth=1
	s_or_b32 exec_lo, exec_lo, s22
.LBB405_515:                            ;   in Loop: Header=BB405_13 Depth=1
	s_delay_alu instid0(SALU_CYCLE_1)
	s_or_b32 exec_lo, exec_lo, s21
.LBB405_516:                            ;   in Loop: Header=BB405_13 Depth=1
	s_delay_alu instid0(SALU_CYCLE_1) | instskip(NEXT) | instid1(VALU_DEP_1)
	s_or_b32 exec_lo, exec_lo, s20
	v_mul_f32_e32 v28, v131, v28
	s_delay_alu instid0(VALU_DEP_1) | instskip(NEXT) | instid1(VALU_DEP_1)
	v_and_b32_e32 v61, 0x7f800000, v28
	v_cmp_ne_u32_e64 s2, 0x7f800000, v61
                                        ; implicit-def: $vgpr61
	s_delay_alu instid0(VALU_DEP_1) | instskip(NEXT) | instid1(SALU_CYCLE_1)
	s_and_saveexec_b32 s20, s2
	s_xor_b32 s2, exec_lo, s20
; %bb.517:                              ;   in Loop: Header=BB405_13 Depth=1
	v_bfe_u32 v61, v28, 16, 1
	s_delay_alu instid0(VALU_DEP_1)
	v_add3_u32 v61, v28, v61, 0x7fff
                                        ; implicit-def: $vgpr28
; %bb.518:                              ;   in Loop: Header=BB405_13 Depth=1
	s_and_not1_saveexec_b32 s20, s2
; %bb.519:                              ;   in Loop: Header=BB405_13 Depth=1
	v_and_b32_e32 v61, 0xffff, v28
	v_or_b32_e32 v62, 0x10000, v28
	s_delay_alu instid0(VALU_DEP_2) | instskip(NEXT) | instid1(VALU_DEP_1)
	v_cmp_eq_u32_e64 s2, 0, v61
	v_cndmask_b32_e64 v61, v62, v28, s2
; %bb.520:                              ;   in Loop: Header=BB405_13 Depth=1
	s_or_b32 exec_lo, exec_lo, s20
	v_lshrrev_b32_e32 v62, 16, v63
	v_mov_b32_e32 v28, 0
	s_mov_b32 s20, exec_lo
	s_delay_alu instid0(VALU_DEP_2) | instskip(NEXT) | instid1(VALU_DEP_1)
	v_and_b32_e32 v72, 0xff, v62
	v_cmpx_ne_u16_e32 0, v72
	s_cbranch_execz .LBB405_528
; %bb.521:                              ;   in Loop: Header=BB405_13 Depth=1
	v_bfrev_b32_e32 v28, 1
	s_mov_b32 s21, exec_lo
	v_cmpx_ne_u16_e32 0x80, v72
	s_cbranch_execz .LBB405_527
; %bb.522:                              ;   in Loop: Header=BB405_13 Depth=1
	v_bfe_u32 v73, v63, 16, 7
	v_mov_b32_e32 v28, 0x7f800001
	s_mov_b32 s22, exec_lo
	s_delay_alu instid0(VALU_DEP_2)
	v_cmpx_ne_u32_e32 0x7f, v73
	s_cbranch_execz .LBB405_526
; %bb.523:                              ;   in Loop: Header=BB405_13 Depth=1
	v_and_b32_e32 v28, 7, v62
	v_lshrrev_b32_e32 v72, 3, v73
	s_mov_b32 s23, exec_lo
	v_cmpx_gt_u32_e32 8, v73
; %bb.524:                              ;   in Loop: Header=BB405_13 Depth=1
	s_delay_alu instid0(VALU_DEP_3) | instskip(NEXT) | instid1(VALU_DEP_1)
	v_clz_i32_u32_e32 v72, v28
	v_min_u32_e32 v72, 32, v72
	s_delay_alu instid0(VALU_DEP_1) | instskip(SKIP_1) | instid1(VALU_DEP_2)
	v_subrev_nc_u32_e32 v73, 28, v72
	v_sub_nc_u32_e32 v72, 29, v72
	v_lshlrev_b64 v[73:74], v73, v[28:29]
	s_delay_alu instid0(VALU_DEP_1)
	v_and_b32_e32 v28, 7, v73
; %bb.525:                              ;   in Loop: Header=BB405_13 Depth=1
	s_or_b32 exec_lo, exec_lo, s23
	v_lshlrev_b32_e32 v62, 24, v62
	s_delay_alu instid0(VALU_DEP_2) | instskip(SKIP_1) | instid1(VALU_DEP_3)
	v_lshlrev_b32_e32 v28, 20, v28
	v_lshl_add_u32 v72, v72, 23, 0x3c000000
	v_and_b32_e32 v62, 0x80000000, v62
	s_delay_alu instid0(VALU_DEP_1)
	v_or3_b32 v28, v28, v62, v72
.LBB405_526:                            ;   in Loop: Header=BB405_13 Depth=1
	s_or_b32 exec_lo, exec_lo, s22
.LBB405_527:                            ;   in Loop: Header=BB405_13 Depth=1
	s_delay_alu instid0(SALU_CYCLE_1)
	s_or_b32 exec_lo, exec_lo, s21
.LBB405_528:                            ;   in Loop: Header=BB405_13 Depth=1
	s_delay_alu instid0(SALU_CYCLE_1) | instskip(NEXT) | instid1(VALU_DEP_1)
	s_or_b32 exec_lo, exec_lo, s20
	v_mul_f32_e32 v28, v131, v28
	s_delay_alu instid0(VALU_DEP_1) | instskip(NEXT) | instid1(VALU_DEP_1)
	v_and_b32_e32 v62, 0x7f800000, v28
	v_cmp_ne_u32_e64 s2, 0x7f800000, v62
                                        ; implicit-def: $vgpr62
	s_delay_alu instid0(VALU_DEP_1) | instskip(NEXT) | instid1(SALU_CYCLE_1)
	s_and_saveexec_b32 s20, s2
	s_xor_b32 s2, exec_lo, s20
; %bb.529:                              ;   in Loop: Header=BB405_13 Depth=1
	v_bfe_u32 v62, v28, 16, 1
	s_delay_alu instid0(VALU_DEP_1)
	v_add3_u32 v62, v28, v62, 0x7fff
                                        ; implicit-def: $vgpr28
; %bb.530:                              ;   in Loop: Header=BB405_13 Depth=1
	s_and_not1_saveexec_b32 s20, s2
; %bb.531:                              ;   in Loop: Header=BB405_13 Depth=1
	v_and_b32_e32 v62, 0xffff, v28
	v_or_b32_e32 v72, 0x10000, v28
	s_delay_alu instid0(VALU_DEP_2) | instskip(NEXT) | instid1(VALU_DEP_1)
	v_cmp_eq_u32_e64 s2, 0, v62
	v_cndmask_b32_e64 v62, v72, v28, s2
; %bb.532:                              ;   in Loop: Header=BB405_13 Depth=1
	s_or_b32 exec_lo, exec_lo, s20
	v_mov_b32_e32 v28, 0
	s_mov_b32 s20, exec_lo
	v_cmpx_lt_u32_e32 0xffffff, v63
	s_cbranch_execz .LBB405_540
; %bb.533:                              ;   in Loop: Header=BB405_13 Depth=1
	v_lshrrev_b32_e32 v72, 24, v63
	v_bfrev_b32_e32 v28, 1
	s_mov_b32 s21, exec_lo
	s_delay_alu instid0(VALU_DEP_2)
	v_cmpx_ne_u32_e32 0x80, v72
	s_cbranch_execz .LBB405_539
; %bb.534:                              ;   in Loop: Header=BB405_13 Depth=1
	v_bfe_u32 v73, v63, 24, 7
	v_mov_b32_e32 v28, 0x7f800001
	s_mov_b32 s22, exec_lo
	s_delay_alu instid0(VALU_DEP_2)
	v_cmpx_ne_u32_e32 0x7f, v73
	s_cbranch_execz .LBB405_538
; %bb.535:                              ;   in Loop: Header=BB405_13 Depth=1
	v_and_b32_e32 v28, 7, v72
	v_lshrrev_b32_e32 v63, 3, v73
	s_mov_b32 s23, exec_lo
	v_cmpx_gt_u32_e32 8, v73
; %bb.536:                              ;   in Loop: Header=BB405_13 Depth=1
	s_delay_alu instid0(VALU_DEP_3) | instskip(NEXT) | instid1(VALU_DEP_1)
	v_clz_i32_u32_e32 v63, v28
	v_min_u32_e32 v63, 32, v63
	s_delay_alu instid0(VALU_DEP_1) | instskip(SKIP_1) | instid1(VALU_DEP_2)
	v_subrev_nc_u32_e32 v73, 28, v63
	v_sub_nc_u32_e32 v63, 29, v63
	v_lshlrev_b64 v[73:74], v73, v[28:29]
	s_delay_alu instid0(VALU_DEP_1)
	v_and_b32_e32 v28, 7, v73
; %bb.537:                              ;   in Loop: Header=BB405_13 Depth=1
	s_or_b32 exec_lo, exec_lo, s23
	v_lshlrev_b32_e32 v72, 24, v72
	s_delay_alu instid0(VALU_DEP_2) | instskip(SKIP_1) | instid1(VALU_DEP_3)
	v_lshlrev_b32_e32 v28, 20, v28
	v_lshl_add_u32 v63, v63, 23, 0x3c000000
	v_and_b32_e32 v72, 0x80000000, v72
	s_delay_alu instid0(VALU_DEP_1)
	v_or3_b32 v28, v28, v72, v63
.LBB405_538:                            ;   in Loop: Header=BB405_13 Depth=1
	s_or_b32 exec_lo, exec_lo, s22
.LBB405_539:                            ;   in Loop: Header=BB405_13 Depth=1
	s_delay_alu instid0(SALU_CYCLE_1)
	s_or_b32 exec_lo, exec_lo, s21
.LBB405_540:                            ;   in Loop: Header=BB405_13 Depth=1
	s_delay_alu instid0(SALU_CYCLE_1) | instskip(NEXT) | instid1(VALU_DEP_1)
	s_or_b32 exec_lo, exec_lo, s20
	v_mul_f32_e32 v28, v131, v28
	s_delay_alu instid0(VALU_DEP_1) | instskip(NEXT) | instid1(VALU_DEP_1)
	v_and_b32_e32 v63, 0x7f800000, v28
	v_cmp_ne_u32_e64 s2, 0x7f800000, v63
                                        ; implicit-def: $vgpr63
	s_delay_alu instid0(VALU_DEP_1) | instskip(NEXT) | instid1(SALU_CYCLE_1)
	s_and_saveexec_b32 s20, s2
	s_xor_b32 s2, exec_lo, s20
; %bb.541:                              ;   in Loop: Header=BB405_13 Depth=1
	v_bfe_u32 v63, v28, 16, 1
	s_delay_alu instid0(VALU_DEP_1)
	v_add3_u32 v63, v28, v63, 0x7fff
                                        ; implicit-def: $vgpr28
; %bb.542:                              ;   in Loop: Header=BB405_13 Depth=1
	s_and_not1_saveexec_b32 s20, s2
; %bb.543:                              ;   in Loop: Header=BB405_13 Depth=1
	v_and_b32_e32 v63, 0xffff, v28
	v_or_b32_e32 v72, 0x10000, v28
	s_delay_alu instid0(VALU_DEP_2) | instskip(NEXT) | instid1(VALU_DEP_1)
	v_cmp_eq_u32_e64 s2, 0, v63
	v_cndmask_b32_e64 v63, v72, v28, s2
; %bb.544:                              ;   in Loop: Header=BB405_13 Depth=1
	s_or_b32 exec_lo, exec_lo, s20
	flat_load_b32 v81, v[80:81] offset:1288
	v_mov_b32_e32 v28, 0
	s_mov_b32 s20, exec_lo
	s_waitcnt vmcnt(0) lgkmcnt(0)
	v_and_b32_e32 v80, 0xff, v81
	s_delay_alu instid0(VALU_DEP_1)
	v_cmpx_ne_u16_e32 0, v80
	s_cbranch_execz .LBB405_552
; %bb.545:                              ;   in Loop: Header=BB405_13 Depth=1
	v_bfrev_b32_e32 v28, 1
	s_mov_b32 s21, exec_lo
	v_cmpx_ne_u16_e32 0x80, v80
	s_cbranch_execz .LBB405_551
; %bb.546:                              ;   in Loop: Header=BB405_13 Depth=1
	v_and_b32_e32 v72, 0x7f, v81
	v_mov_b32_e32 v28, 0x7f800001
	s_mov_b32 s22, exec_lo
	s_delay_alu instid0(VALU_DEP_2)
	v_cmpx_ne_u32_e32 0x7f, v72
	s_cbranch_execz .LBB405_550
; %bb.547:                              ;   in Loop: Header=BB405_13 Depth=1
	v_and_b32_e32 v28, 7, v81
	v_lshrrev_b32_e32 v80, 3, v72
	s_mov_b32 s23, exec_lo
	v_cmpx_gt_u32_e32 8, v72
; %bb.548:                              ;   in Loop: Header=BB405_13 Depth=1
	s_delay_alu instid0(VALU_DEP_3) | instskip(NEXT) | instid1(VALU_DEP_1)
	v_clz_i32_u32_e32 v80, v28
	v_min_u32_e32 v80, 32, v80
	s_delay_alu instid0(VALU_DEP_1) | instskip(SKIP_1) | instid1(VALU_DEP_2)
	v_subrev_nc_u32_e32 v72, 28, v80
	v_sub_nc_u32_e32 v80, 29, v80
	v_lshlrev_b64 v[72:73], v72, v[28:29]
	s_delay_alu instid0(VALU_DEP_1)
	v_and_b32_e32 v28, 7, v72
; %bb.549:                              ;   in Loop: Header=BB405_13 Depth=1
	s_or_b32 exec_lo, exec_lo, s23
	v_lshlrev_b32_e32 v72, 24, v81
	s_delay_alu instid0(VALU_DEP_2) | instskip(SKIP_1) | instid1(VALU_DEP_3)
	v_lshlrev_b32_e32 v28, 20, v28
	v_lshl_add_u32 v80, v80, 23, 0x3c000000
	v_and_b32_e32 v72, 0x80000000, v72
	s_delay_alu instid0(VALU_DEP_1)
	v_or3_b32 v28, v28, v72, v80
.LBB405_550:                            ;   in Loop: Header=BB405_13 Depth=1
	s_or_b32 exec_lo, exec_lo, s22
.LBB405_551:                            ;   in Loop: Header=BB405_13 Depth=1
	s_delay_alu instid0(SALU_CYCLE_1)
	s_or_b32 exec_lo, exec_lo, s21
.LBB405_552:                            ;   in Loop: Header=BB405_13 Depth=1
	s_delay_alu instid0(SALU_CYCLE_1) | instskip(NEXT) | instid1(VALU_DEP_1)
	s_or_b32 exec_lo, exec_lo, s20
	v_mul_f32_e32 v28, v131, v28
	s_delay_alu instid0(VALU_DEP_1) | instskip(NEXT) | instid1(VALU_DEP_1)
	v_and_b32_e32 v80, 0x7f800000, v28
	v_cmp_ne_u32_e64 s2, 0x7f800000, v80
                                        ; implicit-def: $vgpr80
	s_delay_alu instid0(VALU_DEP_1) | instskip(NEXT) | instid1(SALU_CYCLE_1)
	s_and_saveexec_b32 s20, s2
	s_xor_b32 s2, exec_lo, s20
; %bb.553:                              ;   in Loop: Header=BB405_13 Depth=1
	v_bfe_u32 v80, v28, 16, 1
	s_delay_alu instid0(VALU_DEP_1)
	v_add3_u32 v80, v28, v80, 0x7fff
                                        ; implicit-def: $vgpr28
; %bb.554:                              ;   in Loop: Header=BB405_13 Depth=1
	s_and_not1_saveexec_b32 s20, s2
; %bb.555:                              ;   in Loop: Header=BB405_13 Depth=1
	v_and_b32_e32 v80, 0xffff, v28
	v_or_b32_e32 v72, 0x10000, v28
	s_delay_alu instid0(VALU_DEP_2) | instskip(NEXT) | instid1(VALU_DEP_1)
	v_cmp_eq_u32_e64 s2, 0, v80
	v_cndmask_b32_e64 v80, v72, v28, s2
; %bb.556:                              ;   in Loop: Header=BB405_13 Depth=1
	s_or_b32 exec_lo, exec_lo, s20
	v_lshrrev_b16 v72, 8, v81
	v_mov_b32_e32 v28, 0
	s_mov_b32 s20, exec_lo
	s_delay_alu instid0(VALU_DEP_2)
	v_cmpx_ne_u16_e32 0, v72
	s_cbranch_execz .LBB405_564
; %bb.557:                              ;   in Loop: Header=BB405_13 Depth=1
	v_bfrev_b32_e32 v28, 1
	s_mov_b32 s21, exec_lo
	v_cmpx_ne_u16_e32 0x80, v72
	s_cbranch_execz .LBB405_563
; %bb.558:                              ;   in Loop: Header=BB405_13 Depth=1
	v_and_b32_e32 v72, 0xffff, v72
	v_mov_b32_e32 v28, 0x7f800001
	s_mov_b32 s22, exec_lo
	s_delay_alu instid0(VALU_DEP_2) | instskip(NEXT) | instid1(VALU_DEP_1)
	v_and_b32_e32 v73, 0x7f, v72
	v_cmpx_ne_u32_e32 0x7f, v73
	s_cbranch_execz .LBB405_562
; %bb.559:                              ;   in Loop: Header=BB405_13 Depth=1
	v_and_b32_e32 v28, 7, v72
	v_lshrrev_b32_e32 v72, 3, v73
	s_mov_b32 s23, exec_lo
	v_cmpx_gt_u32_e32 8, v73
; %bb.560:                              ;   in Loop: Header=BB405_13 Depth=1
	s_delay_alu instid0(VALU_DEP_3) | instskip(NEXT) | instid1(VALU_DEP_1)
	v_clz_i32_u32_e32 v72, v28
	v_min_u32_e32 v72, 32, v72
	s_delay_alu instid0(VALU_DEP_1) | instskip(SKIP_1) | instid1(VALU_DEP_2)
	v_subrev_nc_u32_e32 v73, 28, v72
	v_sub_nc_u32_e32 v72, 29, v72
	v_lshlrev_b64 v[73:74], v73, v[28:29]
	s_delay_alu instid0(VALU_DEP_1)
	v_and_b32_e32 v28, 7, v73
; %bb.561:                              ;   in Loop: Header=BB405_13 Depth=1
	s_or_b32 exec_lo, exec_lo, s23
	v_lshlrev_b32_e32 v73, 16, v81
	s_delay_alu instid0(VALU_DEP_2) | instskip(SKIP_1) | instid1(VALU_DEP_3)
	v_lshlrev_b32_e32 v28, 20, v28
	v_lshl_add_u32 v72, v72, 23, 0x3c000000
	v_and_b32_e32 v73, 0x80000000, v73
	s_delay_alu instid0(VALU_DEP_1)
	v_or3_b32 v28, v28, v73, v72
.LBB405_562:                            ;   in Loop: Header=BB405_13 Depth=1
	s_or_b32 exec_lo, exec_lo, s22
.LBB405_563:                            ;   in Loop: Header=BB405_13 Depth=1
	s_delay_alu instid0(SALU_CYCLE_1)
	s_or_b32 exec_lo, exec_lo, s21
.LBB405_564:                            ;   in Loop: Header=BB405_13 Depth=1
	s_delay_alu instid0(SALU_CYCLE_1) | instskip(NEXT) | instid1(VALU_DEP_1)
	s_or_b32 exec_lo, exec_lo, s20
	v_mul_f32_e32 v28, v131, v28
	s_delay_alu instid0(VALU_DEP_1) | instskip(NEXT) | instid1(VALU_DEP_1)
	v_and_b32_e32 v72, 0x7f800000, v28
	v_cmp_ne_u32_e64 s2, 0x7f800000, v72
                                        ; implicit-def: $vgpr72
	s_delay_alu instid0(VALU_DEP_1) | instskip(NEXT) | instid1(SALU_CYCLE_1)
	s_and_saveexec_b32 s20, s2
	s_xor_b32 s2, exec_lo, s20
; %bb.565:                              ;   in Loop: Header=BB405_13 Depth=1
	v_bfe_u32 v72, v28, 16, 1
	s_delay_alu instid0(VALU_DEP_1)
	v_add3_u32 v72, v28, v72, 0x7fff
                                        ; implicit-def: $vgpr28
; %bb.566:                              ;   in Loop: Header=BB405_13 Depth=1
	s_and_not1_saveexec_b32 s20, s2
; %bb.567:                              ;   in Loop: Header=BB405_13 Depth=1
	v_and_b32_e32 v72, 0xffff, v28
	v_or_b32_e32 v73, 0x10000, v28
	s_delay_alu instid0(VALU_DEP_2) | instskip(NEXT) | instid1(VALU_DEP_1)
	v_cmp_eq_u32_e64 s2, 0, v72
	v_cndmask_b32_e64 v72, v73, v28, s2
; %bb.568:                              ;   in Loop: Header=BB405_13 Depth=1
	s_or_b32 exec_lo, exec_lo, s20
	v_lshrrev_b32_e32 v73, 16, v81
	v_mov_b32_e32 v28, 0
	s_mov_b32 s20, exec_lo
	s_delay_alu instid0(VALU_DEP_2) | instskip(NEXT) | instid1(VALU_DEP_1)
	v_and_b32_e32 v74, 0xff, v73
	v_cmpx_ne_u16_e32 0, v74
	s_cbranch_execz .LBB405_576
; %bb.569:                              ;   in Loop: Header=BB405_13 Depth=1
	v_bfrev_b32_e32 v28, 1
	s_mov_b32 s21, exec_lo
	v_cmpx_ne_u16_e32 0x80, v74
	s_cbranch_execz .LBB405_575
; %bb.570:                              ;   in Loop: Header=BB405_13 Depth=1
	v_bfe_u32 v75, v81, 16, 7
	v_mov_b32_e32 v28, 0x7f800001
	s_mov_b32 s22, exec_lo
	s_delay_alu instid0(VALU_DEP_2)
	v_cmpx_ne_u32_e32 0x7f, v75
	s_cbranch_execz .LBB405_574
; %bb.571:                              ;   in Loop: Header=BB405_13 Depth=1
	v_and_b32_e32 v28, 7, v73
	v_lshrrev_b32_e32 v74, 3, v75
	s_mov_b32 s23, exec_lo
	v_cmpx_gt_u32_e32 8, v75
; %bb.572:                              ;   in Loop: Header=BB405_13 Depth=1
	s_delay_alu instid0(VALU_DEP_3) | instskip(NEXT) | instid1(VALU_DEP_1)
	v_clz_i32_u32_e32 v74, v28
	v_min_u32_e32 v74, 32, v74
	s_delay_alu instid0(VALU_DEP_1) | instskip(SKIP_1) | instid1(VALU_DEP_2)
	v_subrev_nc_u32_e32 v75, 28, v74
	v_sub_nc_u32_e32 v74, 29, v74
	v_lshlrev_b64 v[75:76], v75, v[28:29]
	s_delay_alu instid0(VALU_DEP_1)
	v_and_b32_e32 v28, 7, v75
; %bb.573:                              ;   in Loop: Header=BB405_13 Depth=1
	s_or_b32 exec_lo, exec_lo, s23
	v_lshlrev_b32_e32 v73, 24, v73
	s_delay_alu instid0(VALU_DEP_2) | instskip(SKIP_1) | instid1(VALU_DEP_3)
	v_lshlrev_b32_e32 v28, 20, v28
	v_lshl_add_u32 v74, v74, 23, 0x3c000000
	v_and_b32_e32 v73, 0x80000000, v73
	s_delay_alu instid0(VALU_DEP_1)
	v_or3_b32 v28, v28, v73, v74
.LBB405_574:                            ;   in Loop: Header=BB405_13 Depth=1
	s_or_b32 exec_lo, exec_lo, s22
.LBB405_575:                            ;   in Loop: Header=BB405_13 Depth=1
	s_delay_alu instid0(SALU_CYCLE_1)
	s_or_b32 exec_lo, exec_lo, s21
.LBB405_576:                            ;   in Loop: Header=BB405_13 Depth=1
	s_delay_alu instid0(SALU_CYCLE_1) | instskip(NEXT) | instid1(VALU_DEP_1)
	s_or_b32 exec_lo, exec_lo, s20
	v_mul_f32_e32 v28, v131, v28
	s_delay_alu instid0(VALU_DEP_1) | instskip(NEXT) | instid1(VALU_DEP_1)
	v_and_b32_e32 v73, 0x7f800000, v28
	v_cmp_ne_u32_e64 s2, 0x7f800000, v73
                                        ; implicit-def: $vgpr73
	s_delay_alu instid0(VALU_DEP_1) | instskip(NEXT) | instid1(SALU_CYCLE_1)
	s_and_saveexec_b32 s20, s2
	s_xor_b32 s2, exec_lo, s20
; %bb.577:                              ;   in Loop: Header=BB405_13 Depth=1
	v_bfe_u32 v73, v28, 16, 1
	s_delay_alu instid0(VALU_DEP_1)
	v_add3_u32 v73, v28, v73, 0x7fff
                                        ; implicit-def: $vgpr28
; %bb.578:                              ;   in Loop: Header=BB405_13 Depth=1
	s_and_not1_saveexec_b32 s20, s2
; %bb.579:                              ;   in Loop: Header=BB405_13 Depth=1
	v_and_b32_e32 v73, 0xffff, v28
	v_or_b32_e32 v74, 0x10000, v28
	s_delay_alu instid0(VALU_DEP_2) | instskip(NEXT) | instid1(VALU_DEP_1)
	v_cmp_eq_u32_e64 s2, 0, v73
	v_cndmask_b32_e64 v73, v74, v28, s2
; %bb.580:                              ;   in Loop: Header=BB405_13 Depth=1
	s_or_b32 exec_lo, exec_lo, s20
	v_mov_b32_e32 v28, 0
	s_mov_b32 s20, exec_lo
	v_cmpx_lt_u32_e32 0xffffff, v81
	s_cbranch_execz .LBB405_588
; %bb.581:                              ;   in Loop: Header=BB405_13 Depth=1
	v_lshrrev_b32_e32 v74, 24, v81
	v_bfrev_b32_e32 v28, 1
	s_mov_b32 s21, exec_lo
	s_delay_alu instid0(VALU_DEP_2)
	v_cmpx_ne_u32_e32 0x80, v74
	s_cbranch_execz .LBB405_587
; %bb.582:                              ;   in Loop: Header=BB405_13 Depth=1
	v_bfe_u32 v75, v81, 24, 7
	v_mov_b32_e32 v28, 0x7f800001
	s_mov_b32 s22, exec_lo
	s_delay_alu instid0(VALU_DEP_2)
	v_cmpx_ne_u32_e32 0x7f, v75
	s_cbranch_execz .LBB405_586
; %bb.583:                              ;   in Loop: Header=BB405_13 Depth=1
	v_and_b32_e32 v28, 7, v74
	v_lshrrev_b32_e32 v81, 3, v75
	s_mov_b32 s23, exec_lo
	v_cmpx_gt_u32_e32 8, v75
; %bb.584:                              ;   in Loop: Header=BB405_13 Depth=1
	s_delay_alu instid0(VALU_DEP_3) | instskip(NEXT) | instid1(VALU_DEP_1)
	v_clz_i32_u32_e32 v81, v28
	v_min_u32_e32 v81, 32, v81
	s_delay_alu instid0(VALU_DEP_1) | instskip(SKIP_1) | instid1(VALU_DEP_2)
	v_subrev_nc_u32_e32 v75, 28, v81
	v_sub_nc_u32_e32 v81, 29, v81
	v_lshlrev_b64 v[75:76], v75, v[28:29]
	s_delay_alu instid0(VALU_DEP_1)
	v_and_b32_e32 v28, 7, v75
; %bb.585:                              ;   in Loop: Header=BB405_13 Depth=1
	s_or_b32 exec_lo, exec_lo, s23
	v_lshlrev_b32_e32 v74, 24, v74
	s_delay_alu instid0(VALU_DEP_2) | instskip(SKIP_1) | instid1(VALU_DEP_3)
	v_lshlrev_b32_e32 v28, 20, v28
	v_lshl_add_u32 v81, v81, 23, 0x3c000000
	v_and_b32_e32 v74, 0x80000000, v74
	s_delay_alu instid0(VALU_DEP_1)
	v_or3_b32 v28, v28, v74, v81
.LBB405_586:                            ;   in Loop: Header=BB405_13 Depth=1
	s_or_b32 exec_lo, exec_lo, s22
.LBB405_587:                            ;   in Loop: Header=BB405_13 Depth=1
	s_delay_alu instid0(SALU_CYCLE_1)
	s_or_b32 exec_lo, exec_lo, s21
.LBB405_588:                            ;   in Loop: Header=BB405_13 Depth=1
	s_delay_alu instid0(SALU_CYCLE_1) | instskip(NEXT) | instid1(VALU_DEP_1)
	s_or_b32 exec_lo, exec_lo, s20
	v_mul_f32_e32 v81, v131, v28
	s_delay_alu instid0(VALU_DEP_1) | instskip(NEXT) | instid1(VALU_DEP_1)
	v_and_b32_e32 v28, 0x7f800000, v81
	v_cmp_ne_u32_e64 s2, 0x7f800000, v28
                                        ; implicit-def: $vgpr28
	s_delay_alu instid0(VALU_DEP_1) | instskip(NEXT) | instid1(SALU_CYCLE_1)
	s_and_saveexec_b32 s20, s2
	s_xor_b32 s2, exec_lo, s20
; %bb.589:                              ;   in Loop: Header=BB405_13 Depth=1
	v_bfe_u32 v28, v81, 16, 1
	s_delay_alu instid0(VALU_DEP_1)
	v_add3_u32 v28, v81, v28, 0x7fff
                                        ; implicit-def: $vgpr81
; %bb.590:                              ;   in Loop: Header=BB405_13 Depth=1
	s_and_not1_saveexec_b32 s20, s2
; %bb.591:                              ;   in Loop: Header=BB405_13 Depth=1
	v_and_b32_e32 v28, 0xffff, v81
	v_or_b32_e32 v131, 0x10000, v81
	s_delay_alu instid0(VALU_DEP_2) | instskip(NEXT) | instid1(VALU_DEP_1)
	v_cmp_eq_u32_e64 s2, 0, v28
	v_cndmask_b32_e64 v28, v131, v81, s2
; %bb.592:                              ;   in Loop: Header=BB405_13 Depth=1
	s_or_b32 exec_lo, exec_lo, s20
	v_and_b32_e32 v146, 0xffff0000, v146
	v_lshlrev_b32_e32 v74, 16, v54
	v_lshlrev_b32_e32 v94, 16, v33
	v_and_b32_e32 v145, 0xffff0000, v145
	v_lshlrev_b32_e32 v104, 16, v16
	v_lshlrev_b32_e32 v75, 16, v55
	v_and_b32_e32 v54, 0xffff0000, v54
	v_and_b32_e32 v81, 0xffff0000, v72
	;; [unrolled: 1-line block ×5, first 2 shown]
	v_lshlrev_b32_e32 v72, 16, v53
	v_dual_mul_f32 v54, v54, v145 :: v_dual_mul_f32 v145, v75, v146
	s_delay_alu instid0(VALU_DEP_4) | instskip(SKIP_2) | instid1(VALU_DEP_4)
	v_dual_mul_f32 v144, v74, v144 :: v_dual_and_b32 v131, 0xffff0000, v62
	v_and_b32_e32 v62, 0xffff0000, v63
	v_and_b32_e32 v150, 0xffff0000, v150
	v_dual_fmac_f32 v145, v72, v134 :: v_dual_and_b32 v132, 0xffff0000, v132
	v_lshlrev_b32_e32 v108, 16, v6
	v_lshlrev_b32_e32 v95, 16, v34
	v_and_b32_e32 v34, 0xffff0000, v34
	v_lshlrev_b32_e32 v77, 16, v49
	v_and_b32_e32 v16, 0xffff0000, v16
	;; [unrolled: 2-line block ×3, first 2 shown]
	s_delay_alu instid0(VALU_DEP_4)
	v_dual_fmac_f32 v145, v77, v150 :: v_dual_and_b32 v60, 0xffff0000, v60
	v_and_b32_e32 v162, 0xffff0000, v162
	v_lshlrev_b32_e32 v92, 16, v31
	v_lshlrev_b32_e32 v106, 16, v18
	;; [unrolled: 1-line block ×3, first 2 shown]
	v_and_b32_e32 v52, 0xffff0000, v52
	v_and_b32_e32 v55, 0xffff0000, v55
	;; [unrolled: 1-line block ×3, first 2 shown]
	v_dual_fmac_f32 v144, v63, v132 :: v_dual_and_b32 v147, 0xffff0000, v147
	v_and_b32_e32 v6, 0xffff0000, v6
	v_lshlrev_b32_e32 v93, 16, v32
	v_and_b32_e32 v32, 0xffff0000, v32
	v_and_b32_e32 v133, 0xffff0000, v133
	;; [unrolled: 1-line block ×4, first 2 shown]
	v_dual_fmac_f32 v145, v79, v162 :: v_dual_and_b32 v56, 0xffff0000, v56
	v_and_b32_e32 v166, 0xffff0000, v166
	v_and_b32_e32 v148, 0xffff0000, v148
	v_lshlrev_b32_e32 v76, 16, v48
	v_fmac_f32_e32 v54, v52, v133
	v_mul_f32_e32 v52, v55, v147
	v_and_b32_e32 v18, 0xffff0000, v18
	v_lshlrev_b32_e32 v89, 16, v36
	v_dual_fmac_f32 v144, v76, v148 :: v_dual_and_b32 v47, 0xffff0000, v47
	v_and_b32_e32 v44, 0xffff0000, v44
	v_and_b32_e32 v178, 0xffff0000, v178
	s_delay_alu instid0(VALU_DEP_4)
	v_dual_fmac_f32 v145, v89, v166 :: v_dual_lshlrev_b32 v110, 16, v8
	v_lshlrev_b32_e32 v107, 16, v19
	v_and_b32_e32 v19, 0xffff0000, v19
	v_lshlrev_b32_e32 v105, 16, v17
	v_and_b32_e32 v17, 0xffff0000, v17
	;; [unrolled: 2-line block ×3, first 2 shown]
	v_and_b32_e32 v182, 0xffff0000, v182
	v_and_b32_e32 v42, 0xffff0000, v42
	v_lshlrev_b32_e32 v111, 16, v9
	v_dual_fmac_f32 v145, v91, v178 :: v_dual_and_b32 v180, 0xffff0000, v180
	v_and_b32_e32 v73, 0xffff0000, v73
	v_and_b32_e32 v46, 0xffff0000, v46
	v_lshlrev_b32_e32 v78, 16, v50
	s_delay_alu instid0(VALU_DEP_4) | instskip(SKIP_3) | instid1(VALU_DEP_4)
	v_dual_fmac_f32 v145, v93, v182 :: v_dual_and_b32 v176, 0xffff0000, v176
	v_and_b32_e32 v8, 0xffff0000, v8
	v_lshlrev_b32_e32 v109, 16, v7
	v_and_b32_e32 v58, 0xffff0000, v58
	v_dual_fmac_f32 v145, v95, v42 :: v_dual_and_b32 v164, 0xffff0000, v164
	v_lshlrev_b32_e32 v88, 16, v35
	v_and_b32_e32 v48, 0xffff0000, v48
	v_and_b32_e32 v38, 0xffff0000, v38
	s_delay_alu instid0(VALU_DEP_4) | instskip(SKIP_3) | instid1(VALU_DEP_4)
	v_dual_fmac_f32 v145, v105, v46 :: v_dual_and_b32 v160, 0xffff0000, v160
	v_lshlrev_b32_e32 v90, 16, v37
	v_and_b32_e32 v53, 0xffff0000, v53
	v_and_b32_e32 v50, 0xffff0000, v50
	v_fmac_f32_e32 v145, v107, v58
	v_dual_fmac_f32 v144, v78, v160 :: v_dual_and_b32 v41, 0xffff0000, v41
	v_and_b32_e32 v179, 0xffff0000, v179
	v_and_b32_e32 v36, 0xffff0000, v36
	;; [unrolled: 1-line block ×3, first 2 shown]
	s_delay_alu instid0(VALU_DEP_4)
	v_dual_fmac_f32 v144, v88, v164 :: v_dual_and_b32 v33, 0xffff0000, v33
	v_and_b32_e32 v149, 0xffff0000, v149
	v_and_b32_e32 v43, 0xffff0000, v43
	;; [unrolled: 1-line block ×4, first 2 shown]
	v_dual_fmac_f32 v144, v90, v176 :: v_dual_and_b32 v165, 0xffff0000, v165
	v_dual_fmac_f32 v54, v48, v149 :: v_dual_and_b32 v183, 0xffff0000, v183
	v_and_b32_e32 v151, 0xffff0000, v151
	v_and_b32_e32 v49, 0xffff0000, v49
	;; [unrolled: 1-line block ×3, first 2 shown]
	v_fmac_f32_e32 v52, v53, v135
	v_dual_fmac_f32 v54, v50, v161 :: v_dual_and_b32 v167, 0xffff0000, v167
	v_and_b32_e32 v51, 0xffff0000, v51
	v_dual_fmac_f32 v144, v92, v180 :: v_dual_and_b32 v37, 0xffff0000, v37
	s_delay_alu instid0(VALU_DEP_3) | instskip(SKIP_2) | instid1(VALU_DEP_4)
	v_fmac_f32_e32 v54, v35, v165
	v_dual_fmac_f32 v52, v49, v151 :: v_dual_and_b32 v181, 0xffff0000, v181
	v_and_b32_e32 v163, 0xffff0000, v163
	v_dual_fmac_f32 v144, v94, v40 :: v_dual_and_b32 v177, 0xffff0000, v177
	v_xor_b32_e32 v120, 1, v103
	s_delay_alu instid0(VALU_DEP_3) | instskip(NEXT) | instid1(VALU_DEP_3)
	v_fmac_f32_e32 v52, v51, v163
	v_fmac_f32_e32 v54, v37, v177
	s_delay_alu instid0(VALU_DEP_4) | instskip(NEXT) | instid1(VALU_DEP_4)
	v_fmac_f32_e32 v144, v104, v44
	v_cmp_gt_i32_e64 s2, 32, v120
	s_delay_alu instid0(VALU_DEP_4) | instskip(NEXT) | instid1(VALU_DEP_4)
	v_fmac_f32_e32 v52, v36, v167
	v_fmac_f32_e32 v54, v31, v181
	s_delay_alu instid0(VALU_DEP_4) | instskip(NEXT) | instid1(VALU_DEP_3)
	v_fmac_f32_e32 v144, v106, v56
	v_fmac_f32_e32 v52, v38, v179
	s_delay_alu instid0(VALU_DEP_3) | instskip(NEXT) | instid1(VALU_DEP_3)
	v_fmac_f32_e32 v54, v33, v41
	v_fmac_f32_e32 v144, v108, v60
	s_delay_alu instid0(VALU_DEP_3) | instskip(NEXT) | instid1(VALU_DEP_3)
	;; [unrolled: 3-line block ×3, first 2 shown]
	v_fmac_f32_e32 v144, v110, v80
	v_fmac_f32_e32 v52, v34, v43
	s_delay_alu instid0(VALU_DEP_3) | instskip(NEXT) | instid1(VALU_DEP_2)
	v_fmac_f32_e32 v54, v18, v57
	v_fmac_f32_e32 v52, v17, v47
	s_delay_alu instid0(VALU_DEP_2) | instskip(SKIP_1) | instid1(VALU_DEP_3)
	v_fmac_f32_e32 v54, v6, v61
	v_and_b32_e32 v6, 0xffff0000, v7
	v_dual_fmac_f32 v52, v19, v59 :: v_dual_and_b32 v7, 0xffff0000, v28
	s_delay_alu instid0(VALU_DEP_3) | instskip(SKIP_2) | instid1(VALU_DEP_4)
	v_dual_fmac_f32 v54, v8, v81 :: v_dual_fmac_f32 v145, v109, v131
	v_and_b32_e32 v8, 0xffff0000, v9
	v_cndmask_b32_e64 v9, v103, v120, s2
	v_fmac_f32_e32 v52, v6, v62
	s_delay_alu instid0(VALU_DEP_4) | instskip(NEXT) | instid1(VALU_DEP_2)
	v_dual_add_f32 v6, v144, v54 :: v_dual_fmac_f32 v145, v111, v73
	v_dual_fmac_f32 v52, v8, v7 :: v_dual_lshlrev_b32 v7, 2, v9
	s_delay_alu instid0(VALU_DEP_2) | instskip(NEXT) | instid1(VALU_DEP_1)
	v_add_f32_e32 v6, v6, v145
	v_add_f32_e32 v6, v52, v6
	ds_bpermute_b32 v7, v7, v6
	s_and_saveexec_b32 s20, vcc_lo
	s_cbranch_execz .LBB405_11
; %bb.593:                              ;   in Loop: Header=BB405_13 Depth=1
	v_add_nc_u32_e32 v8, v128, v117
	s_load_b32 s21, s[8:9], 0x0
	s_waitcnt lgkmcnt(0)
	v_add_f32_e32 v6, v6, v7
	s_delay_alu instid0(VALU_DEP_2) | instskip(NEXT) | instid1(VALU_DEP_1)
	v_cvt_f32_i32_e32 v8, v8
	v_mul_f32_e32 v8, v102, v8
	s_delay_alu instid0(VALU_DEP_1) | instskip(NEXT) | instid1(VALU_DEP_1)
	v_cndmask_b32_e64 v7, 0, v8, s1
	v_dual_max_f32 v8, v112, v112 :: v_dual_fmac_f32 v7, v6, v13
	v_add_nc_u32_e32 v6, v114, v117
	s_delay_alu instid0(VALU_DEP_2) | instskip(NEXT) | instid1(VALU_DEP_2)
	v_max_f32_e32 v8, v8, v7
	v_cmp_lt_i32_e64 s2, v6, v83
	v_add_nc_u32_e32 v6, s21, v119
	s_delay_alu instid0(VALU_DEP_2) | instskip(NEXT) | instid1(VALU_DEP_4)
	v_cndmask_b32_e64 v7, 0, v7, s2
	v_cndmask_b32_e64 v112, v112, v8, s2
	ds_store_b32 v6, v7
	s_branch .LBB405_11
.LBB405_594:
	s_or_b32 exec_lo, exec_lo, s19
.LBB405_595:
	s_delay_alu instid0(SALU_CYCLE_1)
	s_or_b32 exec_lo, exec_lo, s18
	v_xor_b32_e32 v6, 16, v103
	s_waitcnt lgkmcnt(0)
	v_xor_b32_e32 v7, 8, v103
	v_and_b32_e32 v16, 31, v82
	s_lshr_b32 s8, s17, 16
	v_max_f32_e32 v8, v112, v112
	v_cmp_gt_i32_e32 vcc_lo, 32, v6
	v_dual_cndmask_b32 v6, v103, v6 :: v_dual_lshlrev_b32 v19, 2, v21
	v_cmp_gt_i32_e32 vcc_lo, 32, v7
	v_cndmask_b32_e32 v7, v103, v7, vcc_lo
	s_delay_alu instid0(VALU_DEP_1) | instskip(NEXT) | instid1(VALU_DEP_4)
	v_lshlrev_b32_e32 v13, 2, v7
	v_lshlrev_b32_e32 v9, 2, v6
	ds_bpermute_b32 v6, v9, v112
	s_waitcnt lgkmcnt(0)
	v_max_f32_e32 v6, v6, v6
	s_delay_alu instid0(VALU_DEP_1) | instskip(SKIP_4) | instid1(VALU_DEP_1)
	v_max_f32_e32 v6, v8, v6
	v_xor_b32_e32 v8, 4, v103
	ds_bpermute_b32 v7, v13, v6
	v_cmp_gt_i32_e32 vcc_lo, 32, v8
	v_cndmask_b32_e32 v8, v103, v8, vcc_lo
	v_lshlrev_b32_e32 v18, 2, v8
	v_xor_b32_e32 v8, 2, v103
	s_delay_alu instid0(VALU_DEP_1) | instskip(SKIP_4) | instid1(VALU_DEP_3)
	v_cmp_gt_i32_e32 vcc_lo, 32, v8
	s_waitcnt lgkmcnt(0)
	v_max_f32_e32 v7, v7, v7
	v_cndmask_b32_e32 v8, v103, v8, vcc_lo
	v_cmp_eq_u32_e32 vcc_lo, 0, v16
	v_max_f32_e32 v6, v6, v7
	s_delay_alu instid0(VALU_DEP_3) | instskip(SKIP_3) | instid1(VALU_DEP_1)
	v_lshlrev_b32_e32 v8, 2, v8
	ds_bpermute_b32 v7, v18, v6
	s_waitcnt lgkmcnt(0)
	v_max_f32_e32 v7, v7, v7
	v_max_f32_e32 v6, v6, v7
	ds_bpermute_b32 v7, v8, v6
	s_and_saveexec_b32 s1, vcc_lo
	s_cbranch_execz .LBB405_597
; %bb.596:
	s_waitcnt lgkmcnt(0)
	v_dual_max_f32 v7, v7, v7 :: v_dual_max_f32 v6, v6, v6
	s_delay_alu instid0(VALU_DEP_1)
	v_max_f32_e32 v6, v6, v7
	ds_store_b32 v19, v6 offset:192
.LBB405_597:
	s_or_b32 exec_lo, exec_lo, s1
	v_cmp_gt_u32_e64 s1, 4, v16
	v_mov_b32_e32 v6, 0xff7fffff
	v_lshlrev_b32_e32 v24, 2, v16
	s_waitcnt lgkmcnt(0)
	s_barrier
	buffer_gl0_inv
	s_and_saveexec_b32 s2, s1
	s_cbranch_execz .LBB405_599
; %bb.598:
	ds_load_b32 v6, v24 offset:192
.LBB405_599:
	s_or_b32 exec_lo, exec_lo, s2
	s_waitcnt lgkmcnt(0)
	ds_bpermute_b32 v7, v8, v6
	v_xor_b32_e32 v17, 1, v103
	v_max_f32_e32 v6, v6, v6
	v_subrev_nc_u32_e32 v28, s13, v96
	v_mov_b32_e32 v25, 0
	s_delay_alu instid0(VALU_DEP_4) | instskip(NEXT) | instid1(VALU_DEP_1)
	v_cmp_gt_i32_e64 s2, 32, v17
	v_cndmask_b32_e64 v17, v103, v17, s2
	s_waitcnt lgkmcnt(0)
	v_max_f32_e32 v7, v7, v7
	s_delay_alu instid0(VALU_DEP_1) | instskip(SKIP_3) | instid1(VALU_DEP_1)
	v_dual_max_f32 v6, v6, v7 :: v_dual_lshlrev_b32 v17, 2, v17
	ds_bpermute_b32 v7, v17, v6
	s_waitcnt lgkmcnt(0)
	v_max_f32_e32 v7, v7, v7
	v_max_f32_e32 v6, v6, v7
	v_lshl_add_u32 v7, v28, 4, s15
	ds_bpermute_b32 v6, v25, v6
	v_min_i32_e32 v7, v7, v83
	s_delay_alu instid0(VALU_DEP_1) | instskip(NEXT) | instid1(VALU_DEP_1)
	v_subrev_nc_u32_e32 v7, s15, v7
	v_cmp_lt_i32_e64 s2, v82, v7
	s_delay_alu instid0(VALU_DEP_1)
	s_and_saveexec_b32 s9, s2
	s_cbranch_execz .LBB405_603
; %bb.600:
	s_getpc_b64 s[18:19]
	s_add_u32 s18, s18, llvm.amdgcn.dynlds.offset.table@rel32@lo+4
	s_addc_u32 s19, s19, llvm.amdgcn.dynlds.offset.table@rel32@hi+12
	s_ashr_i32 s11, s10, 31
	v_mov_b32_e32 v25, 0
	s_lshl_b64 s[20:21], s[10:11], 2
	v_mov_b32_e32 v29, v82
	s_add_u32 s18, s20, s18
	s_addc_u32 s19, s21, s19
	s_mov_b32 s11, 0
	s_load_b32 s3, s[18:19], 0x0
	s_waitcnt lgkmcnt(0)
	v_lshl_add_u32 v28, v82, 2, s3
	.p2align	6
.LBB405_601:                            ; =>This Inner Loop Header: Depth=1
	ds_load_b32 v31, v28
	v_add_nc_u32_e32 v29, 0x80, v29
	s_delay_alu instid0(VALU_DEP_1) | instskip(NEXT) | instid1(VALU_DEP_1)
	v_cmp_ge_i32_e64 s3, v29, v7
	s_or_b32 s11, s3, s11
	s_waitcnt lgkmcnt(0)
	v_sub_f32_e32 v31, v31, v6
	s_delay_alu instid0(VALU_DEP_1) | instskip(NEXT) | instid1(VALU_DEP_1)
	v_mul_f32_e32 v31, 0x3fb8aa3b, v31
	v_exp_f32_e32 v31, v31
	ds_store_b32 v28, v31
	v_dual_add_f32 v25, v25, v31 :: v_dual_add_nc_u32 v28, 0x200, v28
	s_and_not1_b32 exec_lo, exec_lo, s11
	s_cbranch_execnz .LBB405_601
; %bb.602:
	s_or_b32 exec_lo, exec_lo, s11
.LBB405_603:
	s_delay_alu instid0(SALU_CYCLE_1)
	s_or_b32 exec_lo, exec_lo, s9
	ds_bpermute_b32 v9, v9, v25
	s_waitcnt lgkmcnt(0)
	v_add_f32_e32 v9, v25, v9
	ds_bpermute_b32 v13, v13, v9
	s_waitcnt lgkmcnt(0)
	v_add_f32_e32 v9, v9, v13
	;; [unrolled: 3-line block ×5, first 2 shown]
	s_and_saveexec_b32 s3, vcc_lo
	s_cbranch_execz .LBB405_605
; %bb.604:
	ds_store_b32 v19, v9 offset:208
.LBB405_605:
	s_or_b32 exec_lo, exec_lo, s3
	s_waitcnt lgkmcnt(0)
	s_barrier
	buffer_gl0_inv
	s_and_saveexec_b32 s3, s1
	s_cbranch_execz .LBB405_607
; %bb.606:
	ds_load_b32 v9, v24 offset:208
.LBB405_607:
	s_or_b32 exec_lo, exec_lo, s3
	s_waitcnt lgkmcnt(0)
	ds_bpermute_b32 v8, v8, v9
	s_waitcnt lgkmcnt(0)
	v_add_f32_e32 v8, v9, v8
	ds_bpermute_b32 v9, v17, v8
	s_waitcnt lgkmcnt(0)
	v_dual_add_f32 v8, v8, v9 :: v_dual_mov_b32 v9, 0
	ds_bpermute_b32 v8, v9, v8
	s_and_saveexec_b32 s1, s2
	s_cbranch_execz .LBB405_610
; %bb.608:
	s_waitcnt lgkmcnt(0)
	v_add_f32_e32 v13, 0x358637bd, v8
	s_getpc_b64 s[2:3]
	s_add_u32 s2, s2, llvm.amdgcn.dynlds.offset.table@rel32@lo+4
	s_addc_u32 s3, s3, llvm.amdgcn.dynlds.offset.table@rel32@hi+12
	s_ashr_i32 s11, s10, 31
	s_delay_alu instid0(SALU_CYCLE_1) | instskip(SKIP_4) | instid1(VALU_DEP_1)
	s_lshl_b64 s[18:19], s[10:11], 2
	v_div_scale_f32 v9, null, v13, v13, 1.0
	s_add_u32 s2, s18, s2
	s_addc_u32 s3, s19, s3
	s_load_b32 s2, s[2:3], 0x0
	v_rcp_f32_e32 v18, v9
	s_waitcnt_depctr 0xfff
	v_fma_f32 v19, -v9, v18, 1.0
	s_delay_alu instid0(VALU_DEP_1) | instskip(SKIP_1) | instid1(VALU_DEP_1)
	v_fmac_f32_e32 v18, v19, v18
	v_div_scale_f32 v24, vcc_lo, 1.0, v13, 1.0
	v_mul_f32_e32 v19, v24, v18
	s_delay_alu instid0(VALU_DEP_1) | instskip(NEXT) | instid1(VALU_DEP_1)
	v_fma_f32 v25, -v9, v19, v24
	v_fmac_f32_e32 v19, v25, v18
	s_delay_alu instid0(VALU_DEP_1) | instskip(NEXT) | instid1(VALU_DEP_1)
	v_fma_f32 v9, -v9, v19, v24
	v_div_fmas_f32 v18, v9, v18, v19
	s_waitcnt lgkmcnt(0)
	v_lshl_add_u32 v9, v82, 2, s2
	s_mov_b32 s2, 0
	s_delay_alu instid0(VALU_DEP_2)
	v_div_fixup_f32 v13, v18, v13, 1.0
	v_mov_b32_e32 v18, v82
.LBB405_609:                            ; =>This Inner Loop Header: Depth=1
	ds_load_b32 v19, v9
	s_waitcnt lgkmcnt(0)
	v_dual_mul_f32 v19, v13, v19 :: v_dual_add_nc_u32 v18, 0x80, v18
	s_delay_alu instid0(VALU_DEP_1) | instskip(SKIP_3) | instid1(SALU_CYCLE_1)
	v_cmp_ge_i32_e32 vcc_lo, v18, v7
	ds_store_b32 v9, v19
	v_add_nc_u32_e32 v9, 0x200, v9
	s_or_b32 s2, vcc_lo, s2
	s_and_not1_b32 exec_lo, exec_lo, s2
	s_cbranch_execnz .LBB405_609
.LBB405_610:
	s_or_b32 exec_lo, exec_lo, s1
	v_cmp_ne_u16_e64 s1, s8, 0
	s_mov_b32 s2, exec_lo
	s_waitcnt lgkmcnt(0)
	s_barrier
	buffer_gl0_inv
	s_cmp_lg_u32 s1, 0
	s_addc_u32 s1, s7, 0
	v_cmpx_eq_u32_e32 0, v82
	s_cbranch_execz .LBB405_612
; %bb.611:
	s_mul_i32 s3, s1, s4
	s_mul_i32 s8, s1, s12
	s_mul_i32 s12, s3, s16
	s_ashr_i32 s9, s8, 31
	s_ashr_i32 s15, s14, 31
	;; [unrolled: 1-line block ×3, first 2 shown]
	s_lshl_b64 s[8:9], s[8:9], 2
	s_lshl_b64 s[18:19], s[14:15], 2
	;; [unrolled: 1-line block ×3, first 2 shown]
	s_add_u32 s3, s18, s8
	s_addc_u32 s7, s19, s9
	s_add_u32 s3, s3, s12
	s_addc_u32 s7, s7, s13
	v_add_co_u32 v2, vcc_lo, s3, v2
	v_add_co_ci_u32_e32 v3, vcc_lo, s7, v3, vcc_lo
	v_add_co_u32 v0, vcc_lo, s3, v0
	v_add_co_ci_u32_e32 v1, vcc_lo, s7, v1, vcc_lo
	flat_store_b32 v[2:3], v6
	flat_store_b32 v[0:1], v8
.LBB405_612:
	s_or_b32 exec_lo, exec_lo, s2
	s_getpc_b64 s[2:3]
	s_add_u32 s2, s2, llvm.amdgcn.dynlds.offset.table@rel32@lo+4
	s_addc_u32 s3, s3, llvm.amdgcn.dynlds.offset.table@rel32@hi+12
	s_ashr_i32 s11, s10, 31
	v_dual_mov_b32 v29, 0 :: v_dual_mov_b32 v18, 0
	s_lshl_b64 s[8:9], s[10:11], 2
	v_dual_mov_b32 v24, 0 :: v_dual_mov_b32 v19, 0
	s_add_u32 s2, s8, s2
	s_addc_u32 s3, s9, s3
	v_mov_b32_e32 v28, 0
	s_load_b32 s11, s[2:3], 0x0
	v_mov_b32_e32 v25, 0
	s_mov_b32 s10, 0
	s_waitcnt lgkmcnt(0)
	v_mov_b32_e32 v0, s11
	s_and_saveexec_b32 s7, s0
	s_cbranch_execz .LBB405_1430
; %bb.613:
	v_max_i32_e32 v30, v30, v100
	v_add_co_u32 v2, vcc_lo, v10, v12
	v_dual_mov_b32 v10, 0 :: v_dual_and_b32 v7, 0xf8, v98
	s_delay_alu instid0(VALU_DEP_3) | instskip(SKIP_3) | instid1(VALU_DEP_4)
	v_cvt_f32_u32_e32 v0, v30
	v_sub_nc_u32_e32 v8, 0, v30
	v_add_co_ci_u32_e32 v3, vcc_lo, v11, v101, vcc_lo
	v_dual_mov_b32 v28, 0 :: v_dual_lshlrev_b32 v9, 5, v84
	v_rcp_iflag_f32_e32 v0, v0
	v_and_b32_e32 v31, 8, v98
	v_add_co_u32 v11, vcc_lo, v2, v7
	v_add_co_ci_u32_e32 v12, vcc_lo, 0, v3, vcc_lo
	v_lshl_or_b32 v2, v21, 6, v9
	v_dual_mov_b32 v25, 0 :: v_dual_add_nc_u32 v32, -1, v99
	v_dual_mov_b32 v19, 0 :: v_dual_mov_b32 v24, 0
	s_delay_alu instid0(TRANS32_DEP_1) | instskip(SKIP_3) | instid1(VALU_DEP_4)
	v_mul_f32_e32 v6, 0x4f7ffffe, v0
	v_lshlrev_b64 v[0:1], 2, v[64:65]
	v_dual_mov_b32 v18, 0 :: v_dual_add_nc_u32 v33, s11, v2
	v_mov_b32_e32 v29, 0
	v_cvt_u32_f32_e32 v6, v6
	s_mov_b32 s8, -1
	s_delay_alu instid0(VALU_DEP_4) | instskip(SKIP_1) | instid1(VALU_DEP_3)
	v_add_co_u32 v0, vcc_lo, v66, v0
	v_add_co_ci_u32_e32 v1, vcc_lo, v67, v1, vcc_lo
	v_mul_lo_u32 v8, v8, v6
	s_delay_alu instid0(VALU_DEP_3) | instskip(NEXT) | instid1(VALU_DEP_3)
	v_add_co_u32 v13, vcc_lo, v14, v0
	v_add_co_ci_u32_e32 v14, vcc_lo, v15, v1, vcc_lo
	s_mov_b32 s9, 0xffffff
	s_delay_alu instid0(VALU_DEP_3) | instskip(NEXT) | instid1(VALU_DEP_1)
	v_mul_hi_u32 v3, v6, v8
	v_add_nc_u32_e32 v15, v6, v3
	s_branch .LBB405_616
.LBB405_614:                            ;   in Loop: Header=BB405_616 Depth=1
	s_or_b32 exec_lo, exec_lo, s0
	v_and_b32_e32 v55, 0xffff0000, v151
	v_and_b32_e32 v65, 0xffff0000, v150
	;; [unrolled: 1-line block ×5, first 2 shown]
	s_delay_alu instid0(VALU_DEP_4) | instskip(SKIP_3) | instid1(VALU_DEP_4)
	v_dual_add_f32 v55, v65, v55 :: v_dual_and_b32 v0, 0xffff0000, v0
	v_and_b32_e32 v6, 0xffff0000, v6
	v_and_b32_e32 v53, 0xffff0000, v149
	;; [unrolled: 1-line block ×3, first 2 shown]
	v_dual_add_f32 v0, v0, v1 :: v_dual_and_b32 v67, 0xffff0000, v118
	s_delay_alu instid0(VALU_DEP_4) | instskip(NEXT) | instid1(VALU_DEP_4)
	v_add_f32_e32 v6, v6, v7
	v_dual_add_f32 v7, v54, v53 :: v_dual_and_b32 v2, 0xffff0000, v2
	v_and_b32_e32 v9, 0xffff0000, v9
	v_and_b32_e32 v8, 0xffff0000, v8
	;; [unrolled: 1-line block ×3, first 2 shown]
	s_delay_alu instid0(VALU_DEP_4) | instskip(SKIP_1) | instid1(VALU_DEP_4)
	v_dual_add_f32 v6, v6, v7 :: v_dual_and_b32 v53, 0xffff0000, v160
	v_and_b32_e32 v7, 0xffff0000, v133
	v_dual_add_f32 v1, v2, v8 :: v_dual_and_b32 v54, 0xffff0000, v161
	s_delay_alu instid0(VALU_DEP_3) | instskip(NEXT) | instid1(VALU_DEP_3)
	v_dual_add_f32 v6, v6, v55 :: v_dual_and_b32 v55, 0xffff0000, v134
	v_add_f32_e32 v7, v65, v7
	s_delay_alu instid0(VALU_DEP_3) | instskip(SKIP_2) | instid1(VALU_DEP_3)
	v_dual_add_f32 v53, v53, v54 :: v_dual_and_b32 v54, 0xffff0000, v135
	v_and_b32_e32 v66, 0xffff0000, v145
	v_dual_add_f32 v0, v0, v1 :: v_dual_and_b32 v69, 0xffff0000, v100
	v_dual_add_f32 v6, v6, v53 :: v_dual_add_f32 v53, v55, v54
	v_and_b32_e32 v36, 0xffff0000, v36
	v_and_b32_e32 v35, 0xffff0000, v35
	;; [unrolled: 1-line block ×3, first 2 shown]
	s_delay_alu instid0(VALU_DEP_4) | instskip(SKIP_2) | instid1(VALU_DEP_4)
	v_add_f32_e32 v18, v18, v6
	v_dual_add_f32 v6, v7, v53 :: v_dual_and_b32 v53, 0xffff0000, v119
	v_and_b32_e32 v54, 0xffff0000, v144
	v_dual_add_f32 v34, v34, v35 :: v_dual_and_b32 v55, 0xffff0000, v146
	s_delay_alu instid0(VALU_DEP_3) | instskip(NEXT) | instid1(VALU_DEP_3)
	v_dual_add_f32 v53, v67, v53 :: v_dual_and_b32 v2, 0xffff0000, v51
	v_dual_add_f32 v7, v54, v66 :: v_dual_and_b32 v54, 0xffff0000, v117
	v_and_b32_e32 v66, 0xffff0000, v116
	v_and_b32_e32 v50, 0xffff0000, v50
	s_delay_alu instid0(VALU_DEP_3) | instskip(SKIP_1) | instid1(VALU_DEP_4)
	v_dual_add_f32 v6, v6, v7 :: v_dual_and_b32 v37, 0xffff0000, v37
	v_and_b32_e32 v48, 0xffff0000, v48
	v_add_f32_e32 v54, v66, v54
	s_delay_alu instid0(VALU_DEP_3) | instskip(SKIP_2) | instid1(VALU_DEP_4)
	v_dual_add_f32 v35, v36, v37 :: v_dual_and_b32 v66, 0xffff0000, v103
	v_and_b32_e32 v67, 0xffff0000, v101
	v_and_b32_e32 v71, 0xffff0000, v130
	v_dual_add_f32 v53, v54, v53 :: v_dual_and_b32 v36, 0xffff0000, v52
	s_delay_alu instid0(VALU_DEP_4) | instskip(NEXT) | instid1(VALU_DEP_4)
	v_add_f32_e32 v8, v34, v35
	v_dual_add_f32 v67, v69, v67 :: v_dual_and_b32 v68, 0xffff0000, v128
	v_and_b32_e32 v70, 0xffff0000, v102
	v_dual_add_f32 v34, v38, v48 :: v_dual_and_b32 v65, 0xffff0000, v147
	v_and_b32_e32 v69, 0xffff0000, v112
	v_add_f32_e32 v1, v2, v36
	s_delay_alu instid0(VALU_DEP_4) | instskip(SKIP_2) | instid1(VALU_DEP_3)
	v_add_f32_e32 v66, v70, v66
	v_and_b32_e32 v54, 0xffff0000, v113
	v_dual_add_f32 v55, v55, v65 :: v_dual_add_f32 v8, v8, v34
	v_dual_add_f32 v65, v67, v66 :: v_dual_and_b32 v2, 0xffff0000, v3
	s_delay_alu instid0(VALU_DEP_3) | instskip(NEXT) | instid1(VALU_DEP_2)
	v_dual_add_f32 v54, v69, v54 :: v_dual_and_b32 v7, 0xffff0000, v129
	v_dual_add_f32 v0, v0, v1 :: v_dual_add_f32 v1, v9, v2
	s_delay_alu instid0(VALU_DEP_4) | instskip(NEXT) | instid1(VALU_DEP_3)
	v_add_f32_e32 v2, v6, v55
	v_dual_add_f32 v54, v65, v54 :: v_dual_add_f32 v7, v68, v7
	v_and_b32_e32 v68, 0xffff0000, v131
	v_and_b32_e32 v66, 0xffff0000, v114
	s_delay_alu instid0(VALU_DEP_4) | instskip(NEXT) | instid1(VALU_DEP_4)
	v_dual_add_f32 v24, v24, v2 :: v_dual_and_b32 v49, 0xffff0000, v49
	v_add_f32_e32 v7, v53, v7
	s_delay_alu instid0(VALU_DEP_4) | instskip(NEXT) | instid1(VALU_DEP_3)
	v_add_f32_e32 v53, v71, v68
	v_dual_add_f32 v34, v49, v50 :: v_dual_and_b32 v67, 0xffff0000, v115
	v_add_f32_e32 v0, v0, v1
	s_delay_alu instid0(VALU_DEP_2) | instskip(NEXT) | instid1(VALU_DEP_3)
	v_dual_add_f32 v6, v7, v53 :: v_dual_add_f32 v3, v66, v67
	v_add_f32_e32 v7, v8, v34
	s_delay_alu instid0(VALU_DEP_3) | instskip(NEXT) | instid1(VALU_DEP_3)
	v_add_f32_e32 v29, v29, v0
	v_add_f32_e32 v19, v19, v6
	s_delay_alu instid0(VALU_DEP_4) | instskip(NEXT) | instid1(VALU_DEP_4)
	v_add_f32_e32 v3, v54, v3
	v_add_f32_e32 v28, v28, v7
	s_delay_alu instid0(VALU_DEP_2)
	v_add_f32_e32 v25, v25, v3
.LBB405_615:                            ;   in Loop: Header=BB405_616 Depth=1
	s_or_b32 exec_lo, exec_lo, s11
	v_add_nc_u32_e32 v64, 4, v64
	v_add_co_u32 v13, s0, v13, 16
	s_delay_alu instid0(VALU_DEP_1) | instskip(NEXT) | instid1(VALU_DEP_3)
	v_add_co_ci_u32_e64 v14, s0, 0, v14, s0
	v_cmp_ge_i32_e32 vcc_lo, v64, v96
	v_add_nc_u32_e32 v23, 64, v23
	v_add_nc_u32_e32 v33, 0x100, v33
	s_or_b32 s10, vcc_lo, s10
	s_delay_alu instid0(SALU_CYCLE_1)
	s_and_not1_b32 exec_lo, exec_lo, s10
	s_cbranch_execz .LBB405_1429
.LBB405_616:                            ; =>This Inner Loop Header: Depth=1
	v_sub_nc_u32_e32 v0, 0, v23
	s_delay_alu instid0(VALU_DEP_1) | instskip(NEXT) | instid1(VALU_DEP_1)
	v_max_i32_e32 v0, v23, v0
	v_mul_hi_u32 v1, v0, v86
	s_delay_alu instid0(VALU_DEP_1) | instskip(NEXT) | instid1(VALU_DEP_1)
	v_mul_lo_u32 v2, v1, v85
	v_sub_nc_u32_e32 v0, v0, v2
	v_add_nc_u32_e32 v2, 1, v1
	s_delay_alu instid0(VALU_DEP_2) | instskip(SKIP_1) | instid1(VALU_DEP_2)
	v_sub_nc_u32_e32 v3, v0, v85
	v_cmp_ge_u32_e32 vcc_lo, v0, v85
	v_dual_cndmask_b32 v1, v1, v2 :: v_dual_cndmask_b32 v0, v0, v3
	v_ashrrev_i32_e32 v2, 31, v23
	s_delay_alu instid0(VALU_DEP_2) | instskip(NEXT) | instid1(VALU_DEP_3)
	v_add_nc_u32_e32 v3, 1, v1
	v_cmp_ge_u32_e32 vcc_lo, v0, v85
	s_delay_alu instid0(VALU_DEP_3) | instskip(NEXT) | instid1(VALU_DEP_3)
	v_xor_b32_e32 v2, v2, v87
	v_cndmask_b32_e32 v0, v1, v3, vcc_lo
	s_delay_alu instid0(VALU_DEP_1) | instskip(NEXT) | instid1(VALU_DEP_1)
	v_xor_b32_e32 v0, v0, v2
	v_sub_nc_u32_e32 v0, v0, v2
	s_delay_alu instid0(VALU_DEP_1) | instskip(SKIP_1) | instid1(VALU_DEP_2)
	v_add_nc_u32_e32 v1, v0, v20
	v_cmp_gt_i32_e64 s0, v0, v97
	v_sub_nc_u32_e32 v2, 0, v1
	s_delay_alu instid0(VALU_DEP_1) | instskip(NEXT) | instid1(VALU_DEP_1)
	v_max_i32_e32 v2, v1, v2
	v_mul_hi_u32 v3, v2, v15
	s_delay_alu instid0(VALU_DEP_1) | instskip(NEXT) | instid1(VALU_DEP_1)
	v_mul_lo_u32 v3, v3, v30
	v_sub_nc_u32_e32 v2, v2, v3
	s_delay_alu instid0(VALU_DEP_1) | instskip(SKIP_1) | instid1(VALU_DEP_2)
	v_sub_nc_u32_e32 v3, v2, v30
	v_cmp_ge_u32_e32 vcc_lo, v2, v30
	v_cndmask_b32_e32 v2, v2, v3, vcc_lo
	v_ashrrev_i32_e32 v1, 31, v1
	s_delay_alu instid0(VALU_DEP_2) | instskip(SKIP_1) | instid1(VALU_DEP_2)
	v_sub_nc_u32_e32 v3, v2, v30
	v_cmp_ge_u32_e32 vcc_lo, v2, v30
	v_cndmask_b32_e32 v2, v2, v3, vcc_lo
	s_delay_alu instid0(VALU_DEP_1) | instskip(NEXT) | instid1(VALU_DEP_1)
	v_xor_b32_e32 v2, v2, v1
	v_sub_nc_u32_e32 v1, v2, v1
	s_delay_alu instid0(VALU_DEP_1) | instskip(SKIP_1) | instid1(SALU_CYCLE_1)
	v_cmp_eq_u32_e32 vcc_lo, 0, v1
	s_or_b32 s0, vcc_lo, s0
	s_and_saveexec_b32 s11, s0
	s_cbranch_execz .LBB405_615
; %bb.617:                              ;   in Loop: Header=BB405_616 Depth=1
	flat_load_b32 v51, v[13:14]
	ds_load_2addr_b64 v[6:9], v33 offset1:1
	ds_load_2addr_b64 v[0:3], v33 offset0:2 offset1:3
	s_waitcnt lgkmcnt(1)
	v_and_b32_e32 v34, 0x7f800000, v6
	s_delay_alu instid0(VALU_DEP_1) | instskip(SKIP_1) | instid1(SALU_CYCLE_1)
	v_cmp_ne_u32_e32 vcc_lo, 0x7f800000, v34
                                        ; implicit-def: $vgpr34
	s_and_saveexec_b32 s0, vcc_lo
	s_xor_b32 s0, exec_lo, s0
; %bb.618:                              ;   in Loop: Header=BB405_616 Depth=1
	v_bfe_u32 v34, v6, 16, 1
	s_delay_alu instid0(VALU_DEP_1)
	v_add3_u32 v34, v6, v34, 0x7fff
; %bb.619:                              ;   in Loop: Header=BB405_616 Depth=1
	s_and_not1_saveexec_b32 s0, s0
; %bb.620:                              ;   in Loop: Header=BB405_616 Depth=1
	v_and_b32_e32 v34, 0xffff, v6
	v_or_b32_e32 v35, 0x10000, v6
	s_delay_alu instid0(VALU_DEP_2) | instskip(NEXT) | instid1(VALU_DEP_2)
	v_cmp_eq_u32_e32 vcc_lo, 0, v34
	v_cndmask_b32_e32 v34, v35, v6, vcc_lo
; %bb.621:                              ;   in Loop: Header=BB405_616 Depth=1
	s_or_b32 exec_lo, exec_lo, s0
	v_and_b32_e32 v6, 0x7f800000, v7
	s_mov_b32 s0, exec_lo
                                        ; implicit-def: $vgpr35
	s_delay_alu instid0(VALU_DEP_1)
	v_cmpx_ne_u32_e32 0x7f800000, v6
	s_xor_b32 s0, exec_lo, s0
; %bb.622:                              ;   in Loop: Header=BB405_616 Depth=1
	v_bfe_u32 v6, v7, 16, 1
	s_delay_alu instid0(VALU_DEP_1)
	v_add3_u32 v35, v7, v6, 0x7fff
; %bb.623:                              ;   in Loop: Header=BB405_616 Depth=1
	s_and_not1_saveexec_b32 s0, s0
; %bb.624:                              ;   in Loop: Header=BB405_616 Depth=1
	v_and_b32_e32 v6, 0xffff, v7
	v_or_b32_e32 v35, 0x10000, v7
	s_delay_alu instid0(VALU_DEP_2) | instskip(NEXT) | instid1(VALU_DEP_2)
	v_cmp_eq_u32_e32 vcc_lo, 0, v6
	v_cndmask_b32_e32 v35, v35, v7, vcc_lo
; %bb.625:                              ;   in Loop: Header=BB405_616 Depth=1
	s_or_b32 exec_lo, exec_lo, s0
	v_and_b32_e32 v6, 0x7f800000, v8
	s_mov_b32 s0, exec_lo
                                        ; implicit-def: $vgpr36
	s_delay_alu instid0(VALU_DEP_1)
	v_cmpx_ne_u32_e32 0x7f800000, v6
	s_xor_b32 s0, exec_lo, s0
; %bb.626:                              ;   in Loop: Header=BB405_616 Depth=1
	v_bfe_u32 v6, v8, 16, 1
	s_delay_alu instid0(VALU_DEP_1)
	v_add3_u32 v36, v8, v6, 0x7fff
; %bb.627:                              ;   in Loop: Header=BB405_616 Depth=1
	s_and_not1_saveexec_b32 s0, s0
; %bb.628:                              ;   in Loop: Header=BB405_616 Depth=1
	v_and_b32_e32 v6, 0xffff, v8
	v_or_b32_e32 v7, 0x10000, v8
	s_delay_alu instid0(VALU_DEP_2) | instskip(NEXT) | instid1(VALU_DEP_2)
	v_cmp_eq_u32_e32 vcc_lo, 0, v6
	v_cndmask_b32_e32 v36, v7, v8, vcc_lo
; %bb.629:                              ;   in Loop: Header=BB405_616 Depth=1
	s_or_b32 exec_lo, exec_lo, s0
	v_and_b32_e32 v6, 0x7f800000, v9
	s_mov_b32 s0, exec_lo
                                        ; implicit-def: $vgpr37
	s_delay_alu instid0(VALU_DEP_1)
	v_cmpx_ne_u32_e32 0x7f800000, v6
	s_xor_b32 s0, exec_lo, s0
; %bb.630:                              ;   in Loop: Header=BB405_616 Depth=1
	v_bfe_u32 v6, v9, 16, 1
	s_delay_alu instid0(VALU_DEP_1)
	v_add3_u32 v37, v9, v6, 0x7fff
                                        ; implicit-def: $vgpr6_vgpr7_vgpr8_vgpr9
; %bb.631:                              ;   in Loop: Header=BB405_616 Depth=1
	s_and_not1_saveexec_b32 s0, s0
; %bb.632:                              ;   in Loop: Header=BB405_616 Depth=1
	v_and_b32_e32 v6, 0xffff, v9
	v_or_b32_e32 v7, 0x10000, v9
	s_delay_alu instid0(VALU_DEP_2) | instskip(NEXT) | instid1(VALU_DEP_2)
	v_cmp_eq_u32_e32 vcc_lo, 0, v6
	v_cndmask_b32_e32 v37, v7, v9, vcc_lo
; %bb.633:                              ;   in Loop: Header=BB405_616 Depth=1
	s_or_b32 exec_lo, exec_lo, s0
	s_waitcnt lgkmcnt(0)
	v_and_b32_e32 v6, 0x7f800000, v0
	s_mov_b32 s0, exec_lo
                                        ; implicit-def: $vgpr38
	s_delay_alu instid0(VALU_DEP_1)
	v_cmpx_ne_u32_e32 0x7f800000, v6
	s_xor_b32 s0, exec_lo, s0
; %bb.634:                              ;   in Loop: Header=BB405_616 Depth=1
	v_bfe_u32 v6, v0, 16, 1
	s_delay_alu instid0(VALU_DEP_1)
	v_add3_u32 v38, v0, v6, 0x7fff
; %bb.635:                              ;   in Loop: Header=BB405_616 Depth=1
	s_and_not1_saveexec_b32 s0, s0
; %bb.636:                              ;   in Loop: Header=BB405_616 Depth=1
	v_and_b32_e32 v6, 0xffff, v0
	v_or_b32_e32 v7, 0x10000, v0
	s_delay_alu instid0(VALU_DEP_2) | instskip(NEXT) | instid1(VALU_DEP_2)
	v_cmp_eq_u32_e32 vcc_lo, 0, v6
	v_cndmask_b32_e32 v38, v7, v0, vcc_lo
; %bb.637:                              ;   in Loop: Header=BB405_616 Depth=1
	s_or_b32 exec_lo, exec_lo, s0
	v_and_b32_e32 v0, 0x7f800000, v1
	s_mov_b32 s0, exec_lo
                                        ; implicit-def: $vgpr48
	s_delay_alu instid0(VALU_DEP_1)
	v_cmpx_ne_u32_e32 0x7f800000, v0
	s_xor_b32 s0, exec_lo, s0
; %bb.638:                              ;   in Loop: Header=BB405_616 Depth=1
	v_bfe_u32 v0, v1, 16, 1
	s_delay_alu instid0(VALU_DEP_1)
	v_add3_u32 v48, v1, v0, 0x7fff
; %bb.639:                              ;   in Loop: Header=BB405_616 Depth=1
	s_and_not1_saveexec_b32 s0, s0
; %bb.640:                              ;   in Loop: Header=BB405_616 Depth=1
	v_and_b32_e32 v0, 0xffff, v1
	v_or_b32_e32 v6, 0x10000, v1
	s_delay_alu instid0(VALU_DEP_2) | instskip(NEXT) | instid1(VALU_DEP_2)
	v_cmp_eq_u32_e32 vcc_lo, 0, v0
	v_cndmask_b32_e32 v48, v6, v1, vcc_lo
; %bb.641:                              ;   in Loop: Header=BB405_616 Depth=1
	s_or_b32 exec_lo, exec_lo, s0
	v_and_b32_e32 v0, 0x7f800000, v2
	s_mov_b32 s0, exec_lo
                                        ; implicit-def: $vgpr49
	s_delay_alu instid0(VALU_DEP_1)
	v_cmpx_ne_u32_e32 0x7f800000, v0
	s_xor_b32 s0, exec_lo, s0
; %bb.642:                              ;   in Loop: Header=BB405_616 Depth=1
	v_bfe_u32 v0, v2, 16, 1
	s_delay_alu instid0(VALU_DEP_1)
	v_add3_u32 v49, v2, v0, 0x7fff
; %bb.643:                              ;   in Loop: Header=BB405_616 Depth=1
	s_and_not1_saveexec_b32 s0, s0
; %bb.644:                              ;   in Loop: Header=BB405_616 Depth=1
	v_and_b32_e32 v0, 0xffff, v2
	v_or_b32_e32 v1, 0x10000, v2
	s_delay_alu instid0(VALU_DEP_2) | instskip(NEXT) | instid1(VALU_DEP_2)
	v_cmp_eq_u32_e32 vcc_lo, 0, v0
	v_cndmask_b32_e32 v49, v1, v2, vcc_lo
; %bb.645:                              ;   in Loop: Header=BB405_616 Depth=1
	s_or_b32 exec_lo, exec_lo, s0
	v_and_b32_e32 v0, 0x7f800000, v3
	s_mov_b32 s0, exec_lo
                                        ; implicit-def: $vgpr50
	s_delay_alu instid0(VALU_DEP_1)
	v_cmpx_ne_u32_e32 0x7f800000, v0
	s_xor_b32 s0, exec_lo, s0
; %bb.646:                              ;   in Loop: Header=BB405_616 Depth=1
	v_bfe_u32 v0, v3, 16, 1
	s_delay_alu instid0(VALU_DEP_1)
	v_add3_u32 v50, v3, v0, 0x7fff
                                        ; implicit-def: $vgpr0_vgpr1_vgpr2_vgpr3
; %bb.647:                              ;   in Loop: Header=BB405_616 Depth=1
	s_and_not1_saveexec_b32 s0, s0
; %bb.648:                              ;   in Loop: Header=BB405_616 Depth=1
	v_and_b32_e32 v0, 0xffff, v3
	v_or_b32_e32 v1, 0x10000, v3
	s_delay_alu instid0(VALU_DEP_2) | instskip(NEXT) | instid1(VALU_DEP_2)
	v_cmp_eq_u32_e32 vcc_lo, 0, v0
	v_cndmask_b32_e32 v50, v1, v3, vcc_lo
; %bb.649:                              ;   in Loop: Header=BB405_616 Depth=1
	s_or_b32 exec_lo, exec_lo, s0
	s_waitcnt vmcnt(0)
	v_mad_i64_i32 v[0:1], null, v51, v22, v[11:12]
	s_mov_b32 s0, exec_lo
	flat_load_b64 v[2:3], v[0:1]
	flat_load_b32 v8, v[26:27]
	s_waitcnt vmcnt(1) lgkmcnt(1)
	v_dual_mov_b32 v6, 0 :: v_dual_and_b32 v7, 0xff, v2
	s_delay_alu instid0(VALU_DEP_1)
	v_cmpx_ne_u16_e32 0, v7
	s_cbranch_execz .LBB405_657
; %bb.650:                              ;   in Loop: Header=BB405_616 Depth=1
	v_bfrev_b32_e32 v6, 1
	s_mov_b32 s12, exec_lo
	v_cmpx_ne_u16_e32 0x80, v7
	s_cbranch_execz .LBB405_656
; %bb.651:                              ;   in Loop: Header=BB405_616 Depth=1
	v_and_b32_e32 v7, 0x7f, v2
	v_mov_b32_e32 v6, 0x7f800001
	s_mov_b32 s13, exec_lo
	s_delay_alu instid0(VALU_DEP_2)
	v_cmpx_ne_u32_e32 0x7f, v7
	s_cbranch_execz .LBB405_655
; %bb.652:                              ;   in Loop: Header=BB405_616 Depth=1
	v_lshrrev_b32_e32 v9, 3, v7
	v_cmp_gt_u32_e32 vcc_lo, 8, v7
	v_dual_mov_b32 v7, v3 :: v_dual_mov_b32 v6, v2
	s_and_saveexec_b32 s15, vcc_lo
; %bb.653:                              ;   in Loop: Header=BB405_616 Depth=1
	v_and_b32_e32 v6, 7, v2
	s_delay_alu instid0(VALU_DEP_1) | instskip(NEXT) | instid1(VALU_DEP_1)
	v_clz_i32_u32_e32 v6, v6
	v_min_u32_e32 v9, 32, v6
	s_delay_alu instid0(VALU_DEP_1) | instskip(SKIP_1) | instid1(VALU_DEP_2)
	v_subrev_nc_u32_e32 v6, 28, v9
	v_sub_nc_u32_e32 v9, 29, v9
	v_lshlrev_b64 v[6:7], v6, v[2:3]
; %bb.654:                              ;   in Loop: Header=BB405_616 Depth=1
	s_or_b32 exec_lo, exec_lo, s15
	s_delay_alu instid0(VALU_DEP_1) | instskip(SKIP_2) | instid1(VALU_DEP_3)
	v_lshlrev_b32_e32 v6, 20, v6
	v_lshlrev_b32_e32 v7, 24, v2
	v_lshl_add_u32 v9, v9, 23, 0x3c000000
	v_and_b32_e32 v6, 0x700000, v6
	s_delay_alu instid0(VALU_DEP_3) | instskip(NEXT) | instid1(VALU_DEP_1)
	v_and_b32_e32 v7, 0x80000000, v7
	v_or3_b32 v6, v6, v7, v9
.LBB405_655:                            ;   in Loop: Header=BB405_616 Depth=1
	s_or_b32 exec_lo, exec_lo, s13
.LBB405_656:                            ;   in Loop: Header=BB405_616 Depth=1
	s_delay_alu instid0(SALU_CYCLE_1)
	s_or_b32 exec_lo, exec_lo, s12
.LBB405_657:                            ;   in Loop: Header=BB405_616 Depth=1
	s_delay_alu instid0(SALU_CYCLE_1) | instskip(SKIP_3) | instid1(VALU_DEP_1)
	s_or_b32 exec_lo, exec_lo, s0
	s_waitcnt vmcnt(0) lgkmcnt(0)
	v_mul_f32_e32 v6, v8, v6
	s_mov_b32 s0, exec_lo
                                        ; implicit-def: $vgpr52
	v_and_b32_e32 v7, 0x7f800000, v6
	s_delay_alu instid0(VALU_DEP_1)
	v_cmpx_ne_u32_e32 0x7f800000, v7
	s_xor_b32 s0, exec_lo, s0
; %bb.658:                              ;   in Loop: Header=BB405_616 Depth=1
	v_bfe_u32 v7, v6, 16, 1
	s_delay_alu instid0(VALU_DEP_1)
	v_add3_u32 v52, v6, v7, 0x7fff
                                        ; implicit-def: $vgpr6
; %bb.659:                              ;   in Loop: Header=BB405_616 Depth=1
	s_and_not1_saveexec_b32 s0, s0
; %bb.660:                              ;   in Loop: Header=BB405_616 Depth=1
	v_and_b32_e32 v7, 0xffff, v6
	v_or_b32_e32 v9, 0x10000, v6
	s_delay_alu instid0(VALU_DEP_2) | instskip(NEXT) | instid1(VALU_DEP_2)
	v_cmp_eq_u32_e32 vcc_lo, 0, v7
	v_cndmask_b32_e32 v52, v9, v6, vcc_lo
; %bb.661:                              ;   in Loop: Header=BB405_616 Depth=1
	s_or_b32 exec_lo, exec_lo, s0
	v_lshrrev_b16 v7, 8, v2
	v_mov_b32_e32 v6, 0
	s_mov_b32 s0, exec_lo
	s_delay_alu instid0(VALU_DEP_2)
	v_cmpx_ne_u16_e32 0, v7
	s_cbranch_execz .LBB405_669
; %bb.662:                              ;   in Loop: Header=BB405_616 Depth=1
	v_bfrev_b32_e32 v6, 1
	s_mov_b32 s12, exec_lo
	v_cmpx_ne_u16_e32 0x80, v7
	s_cbranch_execz .LBB405_668
; %bb.663:                              ;   in Loop: Header=BB405_616 Depth=1
	v_and_b32_e32 v9, 0xffff, v7
	v_mov_b32_e32 v6, 0x7f800001
	s_mov_b32 s13, exec_lo
	s_delay_alu instid0(VALU_DEP_2) | instskip(NEXT) | instid1(VALU_DEP_1)
	v_and_b32_e32 v7, 0x7f, v9
	v_cmpx_ne_u32_e32 0x7f, v7
	s_cbranch_execz .LBB405_667
; %bb.664:                              ;   in Loop: Header=BB405_616 Depth=1
	v_and_b32_e32 v9, 7, v9
	v_lshrrev_b32_e32 v6, 3, v7
	s_mov_b32 s15, exec_lo
	v_cmpx_gt_u32_e32 8, v7
; %bb.665:                              ;   in Loop: Header=BB405_616 Depth=1
	s_delay_alu instid0(VALU_DEP_3) | instskip(NEXT) | instid1(VALU_DEP_1)
	v_clz_i32_u32_e32 v6, v9
	v_min_u32_e32 v6, 32, v6
	s_delay_alu instid0(VALU_DEP_1) | instskip(SKIP_1) | instid1(VALU_DEP_2)
	v_subrev_nc_u32_e32 v7, 28, v6
	v_sub_nc_u32_e32 v6, 29, v6
	v_lshlrev_b64 v[53:54], v7, v[9:10]
	s_delay_alu instid0(VALU_DEP_1)
	v_and_b32_e32 v9, 7, v53
; %bb.666:                              ;   in Loop: Header=BB405_616 Depth=1
	s_or_b32 exec_lo, exec_lo, s15
	v_lshlrev_b32_e32 v7, 16, v2
	s_delay_alu instid0(VALU_DEP_2) | instskip(SKIP_1) | instid1(VALU_DEP_3)
	v_lshlrev_b32_e32 v9, 20, v9
	v_lshl_add_u32 v6, v6, 23, 0x3c000000
	v_and_b32_e32 v7, 0x80000000, v7
	s_delay_alu instid0(VALU_DEP_1)
	v_or3_b32 v6, v9, v7, v6
.LBB405_667:                            ;   in Loop: Header=BB405_616 Depth=1
	s_or_b32 exec_lo, exec_lo, s13
.LBB405_668:                            ;   in Loop: Header=BB405_616 Depth=1
	s_delay_alu instid0(SALU_CYCLE_1)
	s_or_b32 exec_lo, exec_lo, s12
.LBB405_669:                            ;   in Loop: Header=BB405_616 Depth=1
	s_delay_alu instid0(SALU_CYCLE_1) | instskip(NEXT) | instid1(VALU_DEP_1)
	s_or_b32 exec_lo, exec_lo, s0
	v_mul_f32_e32 v6, v8, v6
	s_mov_b32 s0, exec_lo
                                        ; implicit-def: $vgpr53
	s_delay_alu instid0(VALU_DEP_1) | instskip(NEXT) | instid1(VALU_DEP_1)
	v_and_b32_e32 v7, 0x7f800000, v6
	v_cmpx_ne_u32_e32 0x7f800000, v7
	s_xor_b32 s0, exec_lo, s0
; %bb.670:                              ;   in Loop: Header=BB405_616 Depth=1
	v_bfe_u32 v7, v6, 16, 1
	s_delay_alu instid0(VALU_DEP_1)
	v_add3_u32 v53, v6, v7, 0x7fff
                                        ; implicit-def: $vgpr6
; %bb.671:                              ;   in Loop: Header=BB405_616 Depth=1
	s_and_not1_saveexec_b32 s0, s0
; %bb.672:                              ;   in Loop: Header=BB405_616 Depth=1
	v_and_b32_e32 v7, 0xffff, v6
	v_or_b32_e32 v9, 0x10000, v6
	s_delay_alu instid0(VALU_DEP_2) | instskip(NEXT) | instid1(VALU_DEP_2)
	v_cmp_eq_u32_e32 vcc_lo, 0, v7
	v_cndmask_b32_e32 v53, v9, v6, vcc_lo
; %bb.673:                              ;   in Loop: Header=BB405_616 Depth=1
	s_or_b32 exec_lo, exec_lo, s0
	v_lshrrev_b32_e32 v6, 16, v2
	v_mov_b32_e32 v7, 0
	s_mov_b32 s0, exec_lo
	s_delay_alu instid0(VALU_DEP_2) | instskip(NEXT) | instid1(VALU_DEP_1)
	v_and_b32_e32 v9, 0xff, v6
	v_cmpx_ne_u16_e32 0, v9
	s_cbranch_execz .LBB405_681
; %bb.674:                              ;   in Loop: Header=BB405_616 Depth=1
	v_bfrev_b32_e32 v7, 1
	s_mov_b32 s12, exec_lo
	v_cmpx_ne_u16_e32 0x80, v9
	s_cbranch_execz .LBB405_680
; %bb.675:                              ;   in Loop: Header=BB405_616 Depth=1
	v_bfe_u32 v51, v2, 16, 7
	v_mov_b32_e32 v7, 0x7f800001
	s_mov_b32 s13, exec_lo
	s_delay_alu instid0(VALU_DEP_2)
	v_cmpx_ne_u32_e32 0x7f, v51
	s_cbranch_execz .LBB405_679
; %bb.676:                              ;   in Loop: Header=BB405_616 Depth=1
	v_and_b32_e32 v9, 7, v6
	v_lshrrev_b32_e32 v7, 3, v51
	s_mov_b32 s15, exec_lo
	v_cmpx_gt_u32_e32 8, v51
; %bb.677:                              ;   in Loop: Header=BB405_616 Depth=1
	s_delay_alu instid0(VALU_DEP_3) | instskip(NEXT) | instid1(VALU_DEP_1)
	v_clz_i32_u32_e32 v7, v9
	v_min_u32_e32 v7, 32, v7
	s_delay_alu instid0(VALU_DEP_1) | instskip(SKIP_1) | instid1(VALU_DEP_2)
	v_subrev_nc_u32_e32 v51, 28, v7
	v_sub_nc_u32_e32 v7, 29, v7
	v_lshlrev_b64 v[54:55], v51, v[9:10]
	s_delay_alu instid0(VALU_DEP_1)
	v_and_b32_e32 v9, 7, v54
; %bb.678:                              ;   in Loop: Header=BB405_616 Depth=1
	s_or_b32 exec_lo, exec_lo, s15
	v_lshlrev_b32_e32 v6, 24, v6
	s_delay_alu instid0(VALU_DEP_2) | instskip(SKIP_1) | instid1(VALU_DEP_3)
	v_lshlrev_b32_e32 v9, 20, v9
	v_lshl_add_u32 v7, v7, 23, 0x3c000000
	v_and_b32_e32 v6, 0x80000000, v6
	s_delay_alu instid0(VALU_DEP_1)
	v_or3_b32 v7, v9, v6, v7
.LBB405_679:                            ;   in Loop: Header=BB405_616 Depth=1
	s_or_b32 exec_lo, exec_lo, s13
.LBB405_680:                            ;   in Loop: Header=BB405_616 Depth=1
	s_delay_alu instid0(SALU_CYCLE_1)
	s_or_b32 exec_lo, exec_lo, s12
.LBB405_681:                            ;   in Loop: Header=BB405_616 Depth=1
	s_delay_alu instid0(SALU_CYCLE_1) | instskip(NEXT) | instid1(VALU_DEP_1)
	s_or_b32 exec_lo, exec_lo, s0
	v_mul_f32_e32 v6, v8, v7
	s_mov_b32 s0, exec_lo
                                        ; implicit-def: $vgpr54
	s_delay_alu instid0(VALU_DEP_1) | instskip(NEXT) | instid1(VALU_DEP_1)
	v_and_b32_e32 v7, 0x7f800000, v6
	v_cmpx_ne_u32_e32 0x7f800000, v7
	s_xor_b32 s0, exec_lo, s0
; %bb.682:                              ;   in Loop: Header=BB405_616 Depth=1
	v_bfe_u32 v7, v6, 16, 1
	s_delay_alu instid0(VALU_DEP_1)
	v_add3_u32 v54, v6, v7, 0x7fff
                                        ; implicit-def: $vgpr6
; %bb.683:                              ;   in Loop: Header=BB405_616 Depth=1
	s_and_not1_saveexec_b32 s0, s0
; %bb.684:                              ;   in Loop: Header=BB405_616 Depth=1
	v_and_b32_e32 v7, 0xffff, v6
	v_or_b32_e32 v9, 0x10000, v6
	s_delay_alu instid0(VALU_DEP_2) | instskip(NEXT) | instid1(VALU_DEP_2)
	v_cmp_eq_u32_e32 vcc_lo, 0, v7
	v_cndmask_b32_e32 v54, v9, v6, vcc_lo
; %bb.685:                              ;   in Loop: Header=BB405_616 Depth=1
	s_or_b32 exec_lo, exec_lo, s0
	v_mov_b32_e32 v7, 0
	s_mov_b32 s0, exec_lo
	v_cmpx_lt_u32_e32 0xffffff, v2
	s_cbranch_execz .LBB405_693
; %bb.686:                              ;   in Loop: Header=BB405_616 Depth=1
	v_lshrrev_b32_e32 v6, 24, v2
	v_bfrev_b32_e32 v7, 1
	s_mov_b32 s12, exec_lo
	s_delay_alu instid0(VALU_DEP_2)
	v_cmpx_ne_u32_e32 0x80, v6
	s_cbranch_execz .LBB405_692
; %bb.687:                              ;   in Loop: Header=BB405_616 Depth=1
	v_bfe_u32 v51, v2, 24, 7
	v_mov_b32_e32 v7, 0x7f800001
	s_mov_b32 s13, exec_lo
	s_delay_alu instid0(VALU_DEP_2)
	v_cmpx_ne_u32_e32 0x7f, v51
	s_cbranch_execz .LBB405_691
; %bb.688:                              ;   in Loop: Header=BB405_616 Depth=1
	v_and_b32_e32 v9, 7, v6
	v_lshrrev_b32_e32 v7, 3, v51
	s_mov_b32 s15, exec_lo
	v_cmpx_gt_u32_e32 8, v51
; %bb.689:                              ;   in Loop: Header=BB405_616 Depth=1
	s_delay_alu instid0(VALU_DEP_3) | instskip(NEXT) | instid1(VALU_DEP_1)
	v_clz_i32_u32_e32 v7, v9
	v_min_u32_e32 v7, 32, v7
	s_delay_alu instid0(VALU_DEP_1) | instskip(SKIP_1) | instid1(VALU_DEP_2)
	v_subrev_nc_u32_e32 v51, 28, v7
	v_sub_nc_u32_e32 v7, 29, v7
	v_lshlrev_b64 v[65:66], v51, v[9:10]
	s_delay_alu instid0(VALU_DEP_1)
	v_and_b32_e32 v9, 7, v65
; %bb.690:                              ;   in Loop: Header=BB405_616 Depth=1
	s_or_b32 exec_lo, exec_lo, s15
	v_lshlrev_b32_e32 v6, 24, v6
	s_delay_alu instid0(VALU_DEP_2) | instskip(SKIP_1) | instid1(VALU_DEP_3)
	v_lshlrev_b32_e32 v9, 20, v9
	v_lshl_add_u32 v7, v7, 23, 0x3c000000
	v_and_b32_e32 v6, 0x80000000, v6
	s_delay_alu instid0(VALU_DEP_1)
	v_or3_b32 v7, v9, v6, v7
.LBB405_691:                            ;   in Loop: Header=BB405_616 Depth=1
	s_or_b32 exec_lo, exec_lo, s13
.LBB405_692:                            ;   in Loop: Header=BB405_616 Depth=1
	s_delay_alu instid0(SALU_CYCLE_1)
	s_or_b32 exec_lo, exec_lo, s12
.LBB405_693:                            ;   in Loop: Header=BB405_616 Depth=1
	s_delay_alu instid0(SALU_CYCLE_1) | instskip(NEXT) | instid1(VALU_DEP_1)
	s_or_b32 exec_lo, exec_lo, s0
	v_mul_f32_e32 v6, v8, v7
	s_mov_b32 s0, exec_lo
                                        ; implicit-def: $vgpr55
	s_delay_alu instid0(VALU_DEP_1) | instskip(NEXT) | instid1(VALU_DEP_1)
	v_and_b32_e32 v7, 0x7f800000, v6
	v_cmpx_ne_u32_e32 0x7f800000, v7
	s_xor_b32 s0, exec_lo, s0
; %bb.694:                              ;   in Loop: Header=BB405_616 Depth=1
	v_bfe_u32 v7, v6, 16, 1
	s_delay_alu instid0(VALU_DEP_1)
	v_add3_u32 v55, v6, v7, 0x7fff
                                        ; implicit-def: $vgpr6
; %bb.695:                              ;   in Loop: Header=BB405_616 Depth=1
	s_and_not1_saveexec_b32 s0, s0
; %bb.696:                              ;   in Loop: Header=BB405_616 Depth=1
	v_and_b32_e32 v7, 0xffff, v6
	v_or_b32_e32 v9, 0x10000, v6
	s_delay_alu instid0(VALU_DEP_2) | instskip(NEXT) | instid1(VALU_DEP_2)
	v_cmp_eq_u32_e32 vcc_lo, 0, v7
	v_cndmask_b32_e32 v55, v9, v6, vcc_lo
; %bb.697:                              ;   in Loop: Header=BB405_616 Depth=1
	s_or_b32 exec_lo, exec_lo, s0
	v_dual_mov_b32 v6, 0 :: v_dual_and_b32 v7, 0xff, v3
	v_mov_b32_e32 v9, v3
	s_mov_b32 s0, exec_lo
	s_delay_alu instid0(VALU_DEP_2)
	v_cmpx_ne_u16_e32 0, v7
	s_cbranch_execz .LBB405_705
; %bb.698:                              ;   in Loop: Header=BB405_616 Depth=1
	v_bfrev_b32_e32 v6, 1
	s_mov_b32 s12, exec_lo
	v_cmpx_ne_u16_e32 0x80, v7
	s_cbranch_execz .LBB405_704
; %bb.699:                              ;   in Loop: Header=BB405_616 Depth=1
	v_and_b32_e32 v7, 0x7f, v3
	v_mov_b32_e32 v6, 0x7f800001
	s_mov_b32 s13, exec_lo
	s_delay_alu instid0(VALU_DEP_2)
	v_cmpx_ne_u32_e32 0x7f, v7
	s_cbranch_execz .LBB405_703
; %bb.700:                              ;   in Loop: Header=BB405_616 Depth=1
	v_lshrrev_b32_e32 v51, 3, v7
	v_cmp_gt_u32_e32 vcc_lo, 8, v7
	v_dual_mov_b32 v6, v9 :: v_dual_mov_b32 v7, v10
	s_and_saveexec_b32 s15, vcc_lo
; %bb.701:                              ;   in Loop: Header=BB405_616 Depth=1
	v_and_b32_e32 v6, 7, v3
	s_delay_alu instid0(VALU_DEP_1) | instskip(NEXT) | instid1(VALU_DEP_1)
	v_clz_i32_u32_e32 v6, v6
	v_min_u32_e32 v51, 32, v6
	s_delay_alu instid0(VALU_DEP_1) | instskip(SKIP_1) | instid1(VALU_DEP_2)
	v_subrev_nc_u32_e32 v6, 28, v51
	v_sub_nc_u32_e32 v51, 29, v51
	v_lshlrev_b64 v[6:7], v6, v[9:10]
; %bb.702:                              ;   in Loop: Header=BB405_616 Depth=1
	s_or_b32 exec_lo, exec_lo, s15
	s_delay_alu instid0(VALU_DEP_1) | instskip(SKIP_2) | instid1(VALU_DEP_3)
	v_lshlrev_b32_e32 v6, 20, v6
	v_lshlrev_b32_e32 v7, 24, v9
	v_lshl_add_u32 v51, v51, 23, 0x3c000000
	v_and_b32_e32 v6, 0x700000, v6
	s_delay_alu instid0(VALU_DEP_3) | instskip(NEXT) | instid1(VALU_DEP_1)
	v_and_b32_e32 v7, 0x80000000, v7
	v_or3_b32 v6, v6, v7, v51
.LBB405_703:                            ;   in Loop: Header=BB405_616 Depth=1
	s_or_b32 exec_lo, exec_lo, s13
.LBB405_704:                            ;   in Loop: Header=BB405_616 Depth=1
	s_delay_alu instid0(SALU_CYCLE_1)
	s_or_b32 exec_lo, exec_lo, s12
.LBB405_705:                            ;   in Loop: Header=BB405_616 Depth=1
	s_delay_alu instid0(SALU_CYCLE_1) | instskip(NEXT) | instid1(VALU_DEP_1)
	s_or_b32 exec_lo, exec_lo, s0
	v_mul_f32_e32 v6, v8, v6
	s_mov_b32 s0, exec_lo
                                        ; implicit-def: $vgpr65
	s_delay_alu instid0(VALU_DEP_1) | instskip(NEXT) | instid1(VALU_DEP_1)
	v_and_b32_e32 v7, 0x7f800000, v6
	v_cmpx_ne_u32_e32 0x7f800000, v7
	s_xor_b32 s0, exec_lo, s0
; %bb.706:                              ;   in Loop: Header=BB405_616 Depth=1
	v_bfe_u32 v7, v6, 16, 1
	s_delay_alu instid0(VALU_DEP_1)
	v_add3_u32 v65, v6, v7, 0x7fff
                                        ; implicit-def: $vgpr6
; %bb.707:                              ;   in Loop: Header=BB405_616 Depth=1
	s_and_not1_saveexec_b32 s0, s0
; %bb.708:                              ;   in Loop: Header=BB405_616 Depth=1
	v_and_b32_e32 v7, 0xffff, v6
	v_or_b32_e32 v51, 0x10000, v6
	s_delay_alu instid0(VALU_DEP_2) | instskip(NEXT) | instid1(VALU_DEP_2)
	v_cmp_eq_u32_e32 vcc_lo, 0, v7
	v_cndmask_b32_e32 v65, v51, v6, vcc_lo
; %bb.709:                              ;   in Loop: Header=BB405_616 Depth=1
	s_or_b32 exec_lo, exec_lo, s0
	v_lshrrev_b16 v7, 8, v9
	v_mov_b32_e32 v6, 0
	s_mov_b32 s0, exec_lo
	s_delay_alu instid0(VALU_DEP_2)
	v_cmpx_ne_u16_e32 0, v7
	s_cbranch_execz .LBB405_717
; %bb.710:                              ;   in Loop: Header=BB405_616 Depth=1
	v_bfrev_b32_e32 v6, 1
	s_mov_b32 s12, exec_lo
	v_cmpx_ne_u16_e32 0x80, v7
	s_cbranch_execz .LBB405_716
; %bb.711:                              ;   in Loop: Header=BB405_616 Depth=1
	v_and_b32_e32 v7, 0xffff, v7
	v_mov_b32_e32 v6, 0x7f800001
	s_mov_b32 s13, exec_lo
	s_delay_alu instid0(VALU_DEP_2) | instskip(NEXT) | instid1(VALU_DEP_1)
	v_and_b32_e32 v66, 0x7f, v7
	v_cmpx_ne_u32_e32 0x7f, v66
	s_cbranch_execz .LBB405_715
; %bb.712:                              ;   in Loop: Header=BB405_616 Depth=1
	v_dual_mov_b32 v7, v10 :: v_dual_and_b32 v6, 7, v7
	v_lshrrev_b32_e32 v51, 3, v66
	s_mov_b32 s15, exec_lo
	v_cmpx_gt_u32_e32 8, v66
; %bb.713:                              ;   in Loop: Header=BB405_616 Depth=1
	s_delay_alu instid0(VALU_DEP_3) | instskip(NEXT) | instid1(VALU_DEP_1)
	v_clz_i32_u32_e32 v51, v6
	v_min_u32_e32 v51, 32, v51
	s_delay_alu instid0(VALU_DEP_1) | instskip(SKIP_1) | instid1(VALU_DEP_2)
	v_subrev_nc_u32_e32 v66, 28, v51
	v_sub_nc_u32_e32 v51, 29, v51
	v_lshlrev_b64 v[6:7], v66, v[6:7]
	s_delay_alu instid0(VALU_DEP_1)
	v_and_b32_e32 v6, 7, v6
; %bb.714:                              ;   in Loop: Header=BB405_616 Depth=1
	s_or_b32 exec_lo, exec_lo, s15
	v_lshlrev_b32_e32 v7, 16, v9
	s_delay_alu instid0(VALU_DEP_2) | instskip(SKIP_1) | instid1(VALU_DEP_3)
	v_lshlrev_b32_e32 v6, 20, v6
	v_lshl_add_u32 v9, v51, 23, 0x3c000000
	v_and_b32_e32 v7, 0x80000000, v7
	s_delay_alu instid0(VALU_DEP_1)
	v_or3_b32 v6, v6, v7, v9
.LBB405_715:                            ;   in Loop: Header=BB405_616 Depth=1
	s_or_b32 exec_lo, exec_lo, s13
.LBB405_716:                            ;   in Loop: Header=BB405_616 Depth=1
	s_delay_alu instid0(SALU_CYCLE_1)
	s_or_b32 exec_lo, exec_lo, s12
.LBB405_717:                            ;   in Loop: Header=BB405_616 Depth=1
	s_delay_alu instid0(SALU_CYCLE_1) | instskip(NEXT) | instid1(VALU_DEP_1)
	s_or_b32 exec_lo, exec_lo, s0
	v_mul_f32_e32 v7, v8, v6
	s_delay_alu instid0(VALU_DEP_1) | instskip(NEXT) | instid1(VALU_DEP_1)
	v_and_b32_e32 v6, 0x7f800000, v7
	v_cmp_ne_u32_e32 vcc_lo, 0x7f800000, v6
                                        ; implicit-def: $vgpr6
	s_and_saveexec_b32 s0, vcc_lo
	s_delay_alu instid0(SALU_CYCLE_1)
	s_xor_b32 s0, exec_lo, s0
; %bb.718:                              ;   in Loop: Header=BB405_616 Depth=1
	v_bfe_u32 v6, v7, 16, 1
	s_delay_alu instid0(VALU_DEP_1)
	v_add3_u32 v6, v7, v6, 0x7fff
                                        ; implicit-def: $vgpr7
; %bb.719:                              ;   in Loop: Header=BB405_616 Depth=1
	s_and_not1_saveexec_b32 s0, s0
; %bb.720:                              ;   in Loop: Header=BB405_616 Depth=1
	v_and_b32_e32 v6, 0xffff, v7
	v_or_b32_e32 v9, 0x10000, v7
	s_delay_alu instid0(VALU_DEP_2) | instskip(NEXT) | instid1(VALU_DEP_2)
	v_cmp_eq_u32_e32 vcc_lo, 0, v6
	v_cndmask_b32_e32 v6, v9, v7, vcc_lo
; %bb.721:                              ;   in Loop: Header=BB405_616 Depth=1
	s_or_b32 exec_lo, exec_lo, s0
	v_lshrrev_b32_e32 v7, 16, v3
	v_mov_b32_e32 v9, 0
	s_mov_b32 s0, exec_lo
	s_delay_alu instid0(VALU_DEP_2) | instskip(NEXT) | instid1(VALU_DEP_1)
	v_and_b32_e32 v51, 0xff, v7
	v_cmpx_ne_u16_e32 0, v51
	s_cbranch_execz .LBB405_729
; %bb.722:                              ;   in Loop: Header=BB405_616 Depth=1
	v_bfrev_b32_e32 v9, 1
	s_mov_b32 s12, exec_lo
	v_cmpx_ne_u16_e32 0x80, v51
	s_cbranch_execz .LBB405_728
; %bb.723:                              ;   in Loop: Header=BB405_616 Depth=1
	v_bfe_u32 v66, v3, 16, 7
	v_mov_b32_e32 v9, 0x7f800001
	s_mov_b32 s13, exec_lo
	s_delay_alu instid0(VALU_DEP_2)
	v_cmpx_ne_u32_e32 0x7f, v66
	s_cbranch_execz .LBB405_727
; %bb.724:                              ;   in Loop: Header=BB405_616 Depth=1
	v_and_b32_e32 v9, 7, v7
	v_lshrrev_b32_e32 v51, 3, v66
	s_mov_b32 s15, exec_lo
	v_cmpx_gt_u32_e32 8, v66
; %bb.725:                              ;   in Loop: Header=BB405_616 Depth=1
	s_delay_alu instid0(VALU_DEP_3) | instskip(NEXT) | instid1(VALU_DEP_1)
	v_clz_i32_u32_e32 v51, v9
	v_min_u32_e32 v51, 32, v51
	s_delay_alu instid0(VALU_DEP_1) | instskip(SKIP_1) | instid1(VALU_DEP_2)
	v_subrev_nc_u32_e32 v66, 28, v51
	v_sub_nc_u32_e32 v51, 29, v51
	v_lshlrev_b64 v[66:67], v66, v[9:10]
	s_delay_alu instid0(VALU_DEP_1)
	v_and_b32_e32 v9, 7, v66
; %bb.726:                              ;   in Loop: Header=BB405_616 Depth=1
	s_or_b32 exec_lo, exec_lo, s15
	v_lshlrev_b32_e32 v7, 24, v7
	s_delay_alu instid0(VALU_DEP_2) | instskip(SKIP_1) | instid1(VALU_DEP_3)
	v_lshlrev_b32_e32 v9, 20, v9
	v_lshl_add_u32 v51, v51, 23, 0x3c000000
	v_and_b32_e32 v7, 0x80000000, v7
	s_delay_alu instid0(VALU_DEP_1)
	v_or3_b32 v9, v9, v7, v51
.LBB405_727:                            ;   in Loop: Header=BB405_616 Depth=1
	s_or_b32 exec_lo, exec_lo, s13
.LBB405_728:                            ;   in Loop: Header=BB405_616 Depth=1
	s_delay_alu instid0(SALU_CYCLE_1)
	s_or_b32 exec_lo, exec_lo, s12
.LBB405_729:                            ;   in Loop: Header=BB405_616 Depth=1
	s_delay_alu instid0(SALU_CYCLE_1) | instskip(NEXT) | instid1(VALU_DEP_1)
	s_or_b32 exec_lo, exec_lo, s0
	v_mul_f32_e32 v7, v8, v9
	s_mov_b32 s0, exec_lo
                                        ; implicit-def: $vgpr66
	s_delay_alu instid0(VALU_DEP_1) | instskip(NEXT) | instid1(VALU_DEP_1)
	v_and_b32_e32 v9, 0x7f800000, v7
	v_cmpx_ne_u32_e32 0x7f800000, v9
	s_xor_b32 s0, exec_lo, s0
; %bb.730:                              ;   in Loop: Header=BB405_616 Depth=1
	v_bfe_u32 v9, v7, 16, 1
	s_delay_alu instid0(VALU_DEP_1)
	v_add3_u32 v66, v7, v9, 0x7fff
                                        ; implicit-def: $vgpr7
; %bb.731:                              ;   in Loop: Header=BB405_616 Depth=1
	s_and_not1_saveexec_b32 s0, s0
; %bb.732:                              ;   in Loop: Header=BB405_616 Depth=1
	v_and_b32_e32 v9, 0xffff, v7
	v_or_b32_e32 v51, 0x10000, v7
	s_delay_alu instid0(VALU_DEP_2) | instskip(NEXT) | instid1(VALU_DEP_2)
	v_cmp_eq_u32_e32 vcc_lo, 0, v9
	v_cndmask_b32_e32 v66, v51, v7, vcc_lo
; %bb.733:                              ;   in Loop: Header=BB405_616 Depth=1
	s_or_b32 exec_lo, exec_lo, s0
	v_mov_b32_e32 v7, 0
	s_mov_b32 s0, exec_lo
	v_cmpx_lt_u64_e64 s[8:9], v[2:3]
	s_cbranch_execz .LBB405_741
; %bb.734:                              ;   in Loop: Header=BB405_616 Depth=1
	v_lshrrev_b32_e32 v2, 24, v3
	v_bfrev_b32_e32 v7, 1
	s_mov_b32 s12, exec_lo
	s_delay_alu instid0(VALU_DEP_2)
	v_cmpx_ne_u32_e32 0x80, v2
	s_cbranch_execz .LBB405_740
; %bb.735:                              ;   in Loop: Header=BB405_616 Depth=1
	v_bfe_u32 v51, v3, 24, 7
	v_mov_b32_e32 v7, 0x7f800001
	s_mov_b32 s13, exec_lo
	s_delay_alu instid0(VALU_DEP_2)
	v_cmpx_ne_u32_e32 0x7f, v51
	s_cbranch_execz .LBB405_739
; %bb.736:                              ;   in Loop: Header=BB405_616 Depth=1
	v_and_b32_e32 v9, 7, v2
	v_lshrrev_b32_e32 v3, 3, v51
	s_mov_b32 s15, exec_lo
	v_cmpx_gt_u32_e32 8, v51
; %bb.737:                              ;   in Loop: Header=BB405_616 Depth=1
	s_delay_alu instid0(VALU_DEP_3) | instskip(NEXT) | instid1(VALU_DEP_1)
	v_clz_i32_u32_e32 v3, v9
	v_min_u32_e32 v3, 32, v3
	s_delay_alu instid0(VALU_DEP_1) | instskip(SKIP_1) | instid1(VALU_DEP_2)
	v_subrev_nc_u32_e32 v7, 28, v3
	v_sub_nc_u32_e32 v3, 29, v3
	v_lshlrev_b64 v[67:68], v7, v[9:10]
	s_delay_alu instid0(VALU_DEP_1)
	v_and_b32_e32 v9, 7, v67
; %bb.738:                              ;   in Loop: Header=BB405_616 Depth=1
	s_or_b32 exec_lo, exec_lo, s15
	v_lshlrev_b32_e32 v2, 24, v2
	s_delay_alu instid0(VALU_DEP_2) | instskip(SKIP_1) | instid1(VALU_DEP_3)
	v_lshlrev_b32_e32 v7, 20, v9
	v_lshl_add_u32 v3, v3, 23, 0x3c000000
	v_and_b32_e32 v2, 0x80000000, v2
	s_delay_alu instid0(VALU_DEP_1)
	v_or3_b32 v7, v7, v2, v3
.LBB405_739:                            ;   in Loop: Header=BB405_616 Depth=1
	s_or_b32 exec_lo, exec_lo, s13
.LBB405_740:                            ;   in Loop: Header=BB405_616 Depth=1
	s_delay_alu instid0(SALU_CYCLE_1)
	s_or_b32 exec_lo, exec_lo, s12
.LBB405_741:                            ;   in Loop: Header=BB405_616 Depth=1
	s_delay_alu instid0(SALU_CYCLE_1) | instskip(NEXT) | instid1(VALU_DEP_1)
	s_or_b32 exec_lo, exec_lo, s0
	v_mul_f32_e32 v3, v8, v7
	s_delay_alu instid0(VALU_DEP_1) | instskip(NEXT) | instid1(VALU_DEP_1)
	v_and_b32_e32 v2, 0x7f800000, v3
	v_cmp_ne_u32_e32 vcc_lo, 0x7f800000, v2
                                        ; implicit-def: $vgpr2
	s_and_saveexec_b32 s0, vcc_lo
	s_delay_alu instid0(SALU_CYCLE_1)
	s_xor_b32 s0, exec_lo, s0
; %bb.742:                              ;   in Loop: Header=BB405_616 Depth=1
	v_bfe_u32 v2, v3, 16, 1
	s_delay_alu instid0(VALU_DEP_1)
	v_add3_u32 v2, v3, v2, 0x7fff
                                        ; implicit-def: $vgpr3
; %bb.743:                              ;   in Loop: Header=BB405_616 Depth=1
	s_and_not1_saveexec_b32 s0, s0
; %bb.744:                              ;   in Loop: Header=BB405_616 Depth=1
	v_and_b32_e32 v2, 0xffff, v3
	v_or_b32_e32 v7, 0x10000, v3
	s_delay_alu instid0(VALU_DEP_2) | instskip(NEXT) | instid1(VALU_DEP_2)
	v_cmp_eq_u32_e32 vcc_lo, 0, v2
	v_cndmask_b32_e32 v2, v7, v3, vcc_lo
; %bb.745:                              ;   in Loop: Header=BB405_616 Depth=1
	s_or_b32 exec_lo, exec_lo, s0
	v_add_nc_u32_e32 v51, v31, v23
	v_cmp_eq_u32_e32 vcc_lo, v32, v64
	v_lshrrev_b32_e32 v6, 16, v6
	v_lshrrev_b32_e32 v7, 16, v65
	;; [unrolled: 1-line block ×8, first 2 shown]
	v_add_nc_u32_e32 v67, 1, v51
	v_add_nc_u32_e32 v66, 2, v51
	;; [unrolled: 1-line block ×7, first 2 shown]
	s_and_saveexec_b32 s12, vcc_lo
	s_cbranch_execz .LBB405_747
; %bb.746:                              ;   in Loop: Header=BB405_616 Depth=1
	v_cmp_lt_i32_e64 s0, v51, v83
	s_delay_alu instid0(VALU_DEP_1) | instskip(SKIP_1) | instid1(VALU_DEP_1)
	v_cndmask_b32_e64 v69, 0, v69, s0
	v_cmp_lt_i32_e64 s0, v67, v83
	v_cndmask_b32_e64 v70, 0, v70, s0
	v_cmp_lt_i32_e64 s0, v66, v83
	s_delay_alu instid0(VALU_DEP_1) | instskip(SKIP_1) | instid1(VALU_DEP_1)
	v_cndmask_b32_e64 v71, 0, v71, s0
	v_cmp_lt_i32_e64 s0, v65, v83
	v_cndmask_b32_e64 v9, 0, v9, s0
	;; [unrolled: 5-line block ×4, first 2 shown]
.LBB405_747:                            ;   in Loop: Header=BB405_616 Depth=1
	s_or_b32 exec_lo, exec_lo, s12
	v_and_b32_e32 v68, 0xffff0000, v34
	v_lshlrev_b32_e32 v34, 16, v69
	s_delay_alu instid0(VALU_DEP_1) | instskip(NEXT) | instid1(VALU_DEP_1)
	v_mul_f32_e32 v69, v68, v34
	v_and_b32_e32 v34, 0x7f800000, v69
	s_delay_alu instid0(VALU_DEP_1) | instskip(NEXT) | instid1(VALU_DEP_1)
	v_cmp_ne_u32_e64 s0, 0x7f800000, v34
                                        ; implicit-def: $vgpr34
	s_and_saveexec_b32 s12, s0
	s_delay_alu instid0(SALU_CYCLE_1)
	s_xor_b32 s0, exec_lo, s12
; %bb.748:                              ;   in Loop: Header=BB405_616 Depth=1
	v_bfe_u32 v34, v69, 16, 1
	s_delay_alu instid0(VALU_DEP_1)
	v_add3_u32 v34, v69, v34, 0x7fff
                                        ; implicit-def: $vgpr69
; %bb.749:                              ;   in Loop: Header=BB405_616 Depth=1
	s_and_not1_saveexec_b32 s12, s0
; %bb.750:                              ;   in Loop: Header=BB405_616 Depth=1
	v_and_b32_e32 v34, 0xffff, v69
	v_or_b32_e32 v80, 0x10000, v69
	s_delay_alu instid0(VALU_DEP_2) | instskip(NEXT) | instid1(VALU_DEP_1)
	v_cmp_eq_u32_e64 s0, 0, v34
	v_cndmask_b32_e64 v34, v80, v69, s0
; %bb.751:                              ;   in Loop: Header=BB405_616 Depth=1
	s_or_b32 exec_lo, exec_lo, s12
	v_and_b32_e32 v69, 0xffff0000, v35
	v_lshlrev_b32_e32 v35, 16, v70
	s_delay_alu instid0(VALU_DEP_1) | instskip(NEXT) | instid1(VALU_DEP_1)
	v_mul_f32_e32 v70, v69, v35
	v_and_b32_e32 v35, 0x7f800000, v70
	s_delay_alu instid0(VALU_DEP_1) | instskip(NEXT) | instid1(VALU_DEP_1)
	v_cmp_ne_u32_e64 s0, 0x7f800000, v35
                                        ; implicit-def: $vgpr35
	s_and_saveexec_b32 s12, s0
	s_delay_alu instid0(SALU_CYCLE_1)
	s_xor_b32 s0, exec_lo, s12
; %bb.752:                              ;   in Loop: Header=BB405_616 Depth=1
	v_bfe_u32 v35, v70, 16, 1
	s_delay_alu instid0(VALU_DEP_1)
	v_add3_u32 v35, v70, v35, 0x7fff
                                        ; implicit-def: $vgpr70
; %bb.753:                              ;   in Loop: Header=BB405_616 Depth=1
	s_and_not1_saveexec_b32 s12, s0
; %bb.754:                              ;   in Loop: Header=BB405_616 Depth=1
	v_and_b32_e32 v35, 0xffff, v70
	v_or_b32_e32 v80, 0x10000, v70
	s_delay_alu instid0(VALU_DEP_2) | instskip(NEXT) | instid1(VALU_DEP_1)
	v_cmp_eq_u32_e64 s0, 0, v35
	v_cndmask_b32_e64 v35, v80, v70, s0
; %bb.755:                              ;   in Loop: Header=BB405_616 Depth=1
	s_or_b32 exec_lo, exec_lo, s12
	v_and_b32_e32 v70, 0xffff0000, v36
	v_lshlrev_b32_e32 v36, 16, v71
	s_delay_alu instid0(VALU_DEP_1) | instskip(NEXT) | instid1(VALU_DEP_1)
	v_mul_f32_e32 v71, v70, v36
	v_and_b32_e32 v36, 0x7f800000, v71
	s_delay_alu instid0(VALU_DEP_1) | instskip(NEXT) | instid1(VALU_DEP_1)
	v_cmp_ne_u32_e64 s0, 0x7f800000, v36
                                        ; implicit-def: $vgpr36
	s_and_saveexec_b32 s12, s0
	s_delay_alu instid0(SALU_CYCLE_1)
	s_xor_b32 s0, exec_lo, s12
; %bb.756:                              ;   in Loop: Header=BB405_616 Depth=1
	v_bfe_u32 v36, v71, 16, 1
	s_delay_alu instid0(VALU_DEP_1)
	v_add3_u32 v36, v71, v36, 0x7fff
                                        ; implicit-def: $vgpr71
; %bb.757:                              ;   in Loop: Header=BB405_616 Depth=1
	s_and_not1_saveexec_b32 s12, s0
; %bb.758:                              ;   in Loop: Header=BB405_616 Depth=1
	v_and_b32_e32 v36, 0xffff, v71
	v_or_b32_e32 v80, 0x10000, v71
	s_delay_alu instid0(VALU_DEP_2) | instskip(NEXT) | instid1(VALU_DEP_1)
	v_cmp_eq_u32_e64 s0, 0, v36
	v_cndmask_b32_e64 v36, v80, v71, s0
; %bb.759:                              ;   in Loop: Header=BB405_616 Depth=1
	s_or_b32 exec_lo, exec_lo, s12
	v_and_b32_e32 v71, 0xffff0000, v37
	v_lshlrev_b32_e32 v9, 16, v9
	s_delay_alu instid0(VALU_DEP_1) | instskip(NEXT) | instid1(VALU_DEP_1)
	v_mul_f32_e32 v9, v71, v9
	v_and_b32_e32 v37, 0x7f800000, v9
	s_delay_alu instid0(VALU_DEP_1) | instskip(NEXT) | instid1(VALU_DEP_1)
	v_cmp_ne_u32_e64 s0, 0x7f800000, v37
                                        ; implicit-def: $vgpr37
	s_and_saveexec_b32 s12, s0
	s_delay_alu instid0(SALU_CYCLE_1)
	s_xor_b32 s0, exec_lo, s12
; %bb.760:                              ;   in Loop: Header=BB405_616 Depth=1
	v_bfe_u32 v37, v9, 16, 1
	s_delay_alu instid0(VALU_DEP_1)
	v_add3_u32 v37, v9, v37, 0x7fff
                                        ; implicit-def: $vgpr9
; %bb.761:                              ;   in Loop: Header=BB405_616 Depth=1
	s_and_not1_saveexec_b32 s12, s0
; %bb.762:                              ;   in Loop: Header=BB405_616 Depth=1
	v_and_b32_e32 v37, 0xffff, v9
	v_or_b32_e32 v80, 0x10000, v9
	s_delay_alu instid0(VALU_DEP_2) | instskip(NEXT) | instid1(VALU_DEP_1)
	v_cmp_eq_u32_e64 s0, 0, v37
	v_cndmask_b32_e64 v37, v80, v9, s0
; %bb.763:                              ;   in Loop: Header=BB405_616 Depth=1
	s_or_b32 exec_lo, exec_lo, s12
	v_and_b32_e32 v80, 0xffff0000, v38
	v_lshlrev_b32_e32 v7, 16, v7
                                        ; implicit-def: $vgpr38
	s_delay_alu instid0(VALU_DEP_1) | instskip(NEXT) | instid1(VALU_DEP_1)
	v_mul_f32_e32 v7, v80, v7
	v_and_b32_e32 v9, 0x7f800000, v7
	s_delay_alu instid0(VALU_DEP_1) | instskip(NEXT) | instid1(VALU_DEP_1)
	v_cmp_ne_u32_e64 s0, 0x7f800000, v9
	s_and_saveexec_b32 s12, s0
	s_delay_alu instid0(SALU_CYCLE_1)
	s_xor_b32 s0, exec_lo, s12
; %bb.764:                              ;   in Loop: Header=BB405_616 Depth=1
	v_bfe_u32 v9, v7, 16, 1
	s_delay_alu instid0(VALU_DEP_1)
	v_add3_u32 v38, v7, v9, 0x7fff
                                        ; implicit-def: $vgpr7
; %bb.765:                              ;   in Loop: Header=BB405_616 Depth=1
	s_and_not1_saveexec_b32 s12, s0
; %bb.766:                              ;   in Loop: Header=BB405_616 Depth=1
	v_and_b32_e32 v9, 0xffff, v7
	v_or_b32_e32 v38, 0x10000, v7
	s_delay_alu instid0(VALU_DEP_2) | instskip(NEXT) | instid1(VALU_DEP_1)
	v_cmp_eq_u32_e64 s0, 0, v9
	v_cndmask_b32_e64 v38, v38, v7, s0
; %bb.767:                              ;   in Loop: Header=BB405_616 Depth=1
	s_or_b32 exec_lo, exec_lo, s12
	v_and_b32_e32 v81, 0xffff0000, v48
	v_lshlrev_b32_e32 v6, 16, v6
                                        ; implicit-def: $vgpr48
	s_delay_alu instid0(VALU_DEP_1) | instskip(NEXT) | instid1(VALU_DEP_1)
	v_mul_f32_e32 v6, v81, v6
	v_and_b32_e32 v7, 0x7f800000, v6
	s_delay_alu instid0(VALU_DEP_1) | instskip(NEXT) | instid1(VALU_DEP_1)
	v_cmp_ne_u32_e64 s0, 0x7f800000, v7
	s_and_saveexec_b32 s12, s0
	s_delay_alu instid0(SALU_CYCLE_1)
	s_xor_b32 s0, exec_lo, s12
; %bb.768:                              ;   in Loop: Header=BB405_616 Depth=1
	v_bfe_u32 v7, v6, 16, 1
	s_delay_alu instid0(VALU_DEP_1)
	v_add3_u32 v48, v6, v7, 0x7fff
                                        ; implicit-def: $vgpr6
; %bb.769:                              ;   in Loop: Header=BB405_616 Depth=1
	s_and_not1_saveexec_b32 s12, s0
; %bb.770:                              ;   in Loop: Header=BB405_616 Depth=1
	v_and_b32_e32 v7, 0xffff, v6
	v_or_b32_e32 v9, 0x10000, v6
	s_delay_alu instid0(VALU_DEP_2) | instskip(NEXT) | instid1(VALU_DEP_1)
	v_cmp_eq_u32_e64 s0, 0, v7
	v_cndmask_b32_e64 v48, v9, v6, s0
; %bb.771:                              ;   in Loop: Header=BB405_616 Depth=1
	s_or_b32 exec_lo, exec_lo, s12
	v_and_b32_e32 v98, 0xffff0000, v49
	v_lshlrev_b32_e32 v3, 16, v3
                                        ; implicit-def: $vgpr49
	s_delay_alu instid0(VALU_DEP_1) | instskip(NEXT) | instid1(VALU_DEP_1)
	v_mul_f32_e32 v3, v98, v3
	v_and_b32_e32 v6, 0x7f800000, v3
	s_delay_alu instid0(VALU_DEP_1) | instskip(NEXT) | instid1(VALU_DEP_1)
	v_cmp_ne_u32_e64 s0, 0x7f800000, v6
	s_and_saveexec_b32 s12, s0
	s_delay_alu instid0(SALU_CYCLE_1)
	s_xor_b32 s0, exec_lo, s12
; %bb.772:                              ;   in Loop: Header=BB405_616 Depth=1
	v_bfe_u32 v6, v3, 16, 1
	s_delay_alu instid0(VALU_DEP_1)
	v_add3_u32 v49, v3, v6, 0x7fff
                                        ; implicit-def: $vgpr3
; %bb.773:                              ;   in Loop: Header=BB405_616 Depth=1
	s_and_not1_saveexec_b32 s12, s0
; %bb.774:                              ;   in Loop: Header=BB405_616 Depth=1
	v_and_b32_e32 v6, 0xffff, v3
	v_or_b32_e32 v7, 0x10000, v3
	s_delay_alu instid0(VALU_DEP_2) | instskip(NEXT) | instid1(VALU_DEP_1)
	v_cmp_eq_u32_e64 s0, 0, v6
	v_cndmask_b32_e64 v49, v7, v3, s0
; %bb.775:                              ;   in Loop: Header=BB405_616 Depth=1
	s_or_b32 exec_lo, exec_lo, s12
	v_and_b32_e32 v99, 0xffff0000, v50
	v_lshlrev_b32_e32 v2, 16, v2
                                        ; implicit-def: $vgpr50
	s_delay_alu instid0(VALU_DEP_1) | instskip(NEXT) | instid1(VALU_DEP_1)
	v_mul_f32_e32 v2, v99, v2
	v_and_b32_e32 v3, 0x7f800000, v2
	s_delay_alu instid0(VALU_DEP_1) | instskip(NEXT) | instid1(VALU_DEP_1)
	v_cmp_ne_u32_e64 s0, 0x7f800000, v3
	s_and_saveexec_b32 s12, s0
	s_delay_alu instid0(SALU_CYCLE_1)
	s_xor_b32 s0, exec_lo, s12
; %bb.776:                              ;   in Loop: Header=BB405_616 Depth=1
	v_bfe_u32 v3, v2, 16, 1
	s_delay_alu instid0(VALU_DEP_1)
	v_add3_u32 v50, v2, v3, 0x7fff
                                        ; implicit-def: $vgpr2
; %bb.777:                              ;   in Loop: Header=BB405_616 Depth=1
	s_and_not1_saveexec_b32 s12, s0
; %bb.778:                              ;   in Loop: Header=BB405_616 Depth=1
	v_and_b32_e32 v3, 0xffff, v2
	v_or_b32_e32 v6, 0x10000, v2
	s_delay_alu instid0(VALU_DEP_2) | instskip(NEXT) | instid1(VALU_DEP_1)
	v_cmp_eq_u32_e64 s0, 0, v3
	v_cndmask_b32_e64 v50, v6, v2, s0
; %bb.779:                              ;   in Loop: Header=BB405_616 Depth=1
	s_or_b32 exec_lo, exec_lo, s12
	flat_load_b64 v[2:3], v[0:1] offset:256
	s_mov_b32 s12, exec_lo
	s_waitcnt vmcnt(0) lgkmcnt(0)
	v_dual_mov_b32 v6, 0 :: v_dual_and_b32 v7, 0xff, v2
	s_delay_alu instid0(VALU_DEP_1)
	v_cmpx_ne_u16_e32 0, v7
	s_cbranch_execz .LBB405_787
; %bb.780:                              ;   in Loop: Header=BB405_616 Depth=1
	v_bfrev_b32_e32 v6, 1
	s_mov_b32 s13, exec_lo
	v_cmpx_ne_u16_e32 0x80, v7
	s_cbranch_execz .LBB405_786
; %bb.781:                              ;   in Loop: Header=BB405_616 Depth=1
	v_and_b32_e32 v7, 0x7f, v2
	v_mov_b32_e32 v6, 0x7f800001
	s_mov_b32 s15, exec_lo
	s_delay_alu instid0(VALU_DEP_2)
	v_cmpx_ne_u32_e32 0x7f, v7
	s_cbranch_execz .LBB405_785
; %bb.782:                              ;   in Loop: Header=BB405_616 Depth=1
	v_lshrrev_b32_e32 v9, 3, v7
	v_cmp_gt_u32_e64 s0, 8, v7
	v_dual_mov_b32 v7, v3 :: v_dual_mov_b32 v6, v2
	s_delay_alu instid0(VALU_DEP_2)
	s_and_saveexec_b32 s17, s0
; %bb.783:                              ;   in Loop: Header=BB405_616 Depth=1
	v_and_b32_e32 v6, 7, v2
	s_delay_alu instid0(VALU_DEP_1) | instskip(NEXT) | instid1(VALU_DEP_1)
	v_clz_i32_u32_e32 v6, v6
	v_min_u32_e32 v9, 32, v6
	s_delay_alu instid0(VALU_DEP_1) | instskip(SKIP_1) | instid1(VALU_DEP_2)
	v_subrev_nc_u32_e32 v6, 28, v9
	v_sub_nc_u32_e32 v9, 29, v9
	v_lshlrev_b64 v[6:7], v6, v[2:3]
; %bb.784:                              ;   in Loop: Header=BB405_616 Depth=1
	s_or_b32 exec_lo, exec_lo, s17
	s_delay_alu instid0(VALU_DEP_1) | instskip(SKIP_2) | instid1(VALU_DEP_3)
	v_lshlrev_b32_e32 v6, 20, v6
	v_lshlrev_b32_e32 v7, 24, v2
	v_lshl_add_u32 v9, v9, 23, 0x3c000000
	v_and_b32_e32 v6, 0x700000, v6
	s_delay_alu instid0(VALU_DEP_3) | instskip(NEXT) | instid1(VALU_DEP_1)
	v_and_b32_e32 v7, 0x80000000, v7
	v_or3_b32 v6, v6, v7, v9
.LBB405_785:                            ;   in Loop: Header=BB405_616 Depth=1
	s_or_b32 exec_lo, exec_lo, s15
.LBB405_786:                            ;   in Loop: Header=BB405_616 Depth=1
	s_delay_alu instid0(SALU_CYCLE_1)
	s_or_b32 exec_lo, exec_lo, s13
.LBB405_787:                            ;   in Loop: Header=BB405_616 Depth=1
	s_delay_alu instid0(SALU_CYCLE_1) | instskip(NEXT) | instid1(VALU_DEP_1)
	s_or_b32 exec_lo, exec_lo, s12
	v_mul_f32_e32 v6, v8, v6
                                        ; implicit-def: $vgpr100
	s_delay_alu instid0(VALU_DEP_1) | instskip(NEXT) | instid1(VALU_DEP_1)
	v_and_b32_e32 v7, 0x7f800000, v6
	v_cmp_ne_u32_e64 s0, 0x7f800000, v7
	s_delay_alu instid0(VALU_DEP_1) | instskip(NEXT) | instid1(SALU_CYCLE_1)
	s_and_saveexec_b32 s12, s0
	s_xor_b32 s0, exec_lo, s12
; %bb.788:                              ;   in Loop: Header=BB405_616 Depth=1
	v_bfe_u32 v7, v6, 16, 1
	s_delay_alu instid0(VALU_DEP_1)
	v_add3_u32 v100, v6, v7, 0x7fff
                                        ; implicit-def: $vgpr6
; %bb.789:                              ;   in Loop: Header=BB405_616 Depth=1
	s_and_not1_saveexec_b32 s12, s0
; %bb.790:                              ;   in Loop: Header=BB405_616 Depth=1
	v_and_b32_e32 v7, 0xffff, v6
	v_or_b32_e32 v9, 0x10000, v6
	s_delay_alu instid0(VALU_DEP_2) | instskip(NEXT) | instid1(VALU_DEP_1)
	v_cmp_eq_u32_e64 s0, 0, v7
	v_cndmask_b32_e64 v100, v9, v6, s0
; %bb.791:                              ;   in Loop: Header=BB405_616 Depth=1
	s_or_b32 exec_lo, exec_lo, s12
	v_lshrrev_b16 v7, 8, v2
	v_mov_b32_e32 v6, 0
	s_mov_b32 s12, exec_lo
	s_delay_alu instid0(VALU_DEP_2)
	v_cmpx_ne_u16_e32 0, v7
	s_cbranch_execz .LBB405_799
; %bb.792:                              ;   in Loop: Header=BB405_616 Depth=1
	v_bfrev_b32_e32 v6, 1
	s_mov_b32 s13, exec_lo
	v_cmpx_ne_u16_e32 0x80, v7
	s_cbranch_execz .LBB405_798
; %bb.793:                              ;   in Loop: Header=BB405_616 Depth=1
	v_and_b32_e32 v9, 0xffff, v7
	v_mov_b32_e32 v6, 0x7f800001
	s_mov_b32 s15, exec_lo
	s_delay_alu instid0(VALU_DEP_2) | instskip(NEXT) | instid1(VALU_DEP_1)
	v_and_b32_e32 v7, 0x7f, v9
	v_cmpx_ne_u32_e32 0x7f, v7
	s_cbranch_execz .LBB405_797
; %bb.794:                              ;   in Loop: Header=BB405_616 Depth=1
	v_and_b32_e32 v9, 7, v9
	v_lshrrev_b32_e32 v6, 3, v7
	s_mov_b32 s17, exec_lo
	v_cmpx_gt_u32_e32 8, v7
; %bb.795:                              ;   in Loop: Header=BB405_616 Depth=1
	s_delay_alu instid0(VALU_DEP_3) | instskip(NEXT) | instid1(VALU_DEP_1)
	v_clz_i32_u32_e32 v6, v9
	v_min_u32_e32 v6, 32, v6
	s_delay_alu instid0(VALU_DEP_1) | instskip(SKIP_1) | instid1(VALU_DEP_2)
	v_subrev_nc_u32_e32 v7, 28, v6
	v_sub_nc_u32_e32 v6, 29, v6
	v_lshlrev_b64 v[101:102], v7, v[9:10]
	s_delay_alu instid0(VALU_DEP_1)
	v_and_b32_e32 v9, 7, v101
; %bb.796:                              ;   in Loop: Header=BB405_616 Depth=1
	s_or_b32 exec_lo, exec_lo, s17
	v_lshlrev_b32_e32 v7, 16, v2
	s_delay_alu instid0(VALU_DEP_2) | instskip(SKIP_1) | instid1(VALU_DEP_3)
	v_lshlrev_b32_e32 v9, 20, v9
	v_lshl_add_u32 v6, v6, 23, 0x3c000000
	v_and_b32_e32 v7, 0x80000000, v7
	s_delay_alu instid0(VALU_DEP_1)
	v_or3_b32 v6, v9, v7, v6
.LBB405_797:                            ;   in Loop: Header=BB405_616 Depth=1
	s_or_b32 exec_lo, exec_lo, s15
.LBB405_798:                            ;   in Loop: Header=BB405_616 Depth=1
	s_delay_alu instid0(SALU_CYCLE_1)
	s_or_b32 exec_lo, exec_lo, s13
.LBB405_799:                            ;   in Loop: Header=BB405_616 Depth=1
	s_delay_alu instid0(SALU_CYCLE_1) | instskip(NEXT) | instid1(VALU_DEP_1)
	s_or_b32 exec_lo, exec_lo, s12
	v_mul_f32_e32 v6, v8, v6
                                        ; implicit-def: $vgpr101
	s_delay_alu instid0(VALU_DEP_1) | instskip(NEXT) | instid1(VALU_DEP_1)
	v_and_b32_e32 v7, 0x7f800000, v6
	v_cmp_ne_u32_e64 s0, 0x7f800000, v7
	s_delay_alu instid0(VALU_DEP_1) | instskip(NEXT) | instid1(SALU_CYCLE_1)
	s_and_saveexec_b32 s12, s0
	s_xor_b32 s0, exec_lo, s12
; %bb.800:                              ;   in Loop: Header=BB405_616 Depth=1
	v_bfe_u32 v7, v6, 16, 1
	s_delay_alu instid0(VALU_DEP_1)
	v_add3_u32 v101, v6, v7, 0x7fff
                                        ; implicit-def: $vgpr6
; %bb.801:                              ;   in Loop: Header=BB405_616 Depth=1
	s_and_not1_saveexec_b32 s12, s0
; %bb.802:                              ;   in Loop: Header=BB405_616 Depth=1
	v_and_b32_e32 v7, 0xffff, v6
	v_or_b32_e32 v9, 0x10000, v6
	s_delay_alu instid0(VALU_DEP_2) | instskip(NEXT) | instid1(VALU_DEP_1)
	v_cmp_eq_u32_e64 s0, 0, v7
	v_cndmask_b32_e64 v101, v9, v6, s0
; %bb.803:                              ;   in Loop: Header=BB405_616 Depth=1
	s_or_b32 exec_lo, exec_lo, s12
	v_lshrrev_b32_e32 v6, 16, v2
	v_mov_b32_e32 v7, 0
	s_mov_b32 s12, exec_lo
	s_delay_alu instid0(VALU_DEP_2) | instskip(NEXT) | instid1(VALU_DEP_1)
	v_and_b32_e32 v9, 0xff, v6
	v_cmpx_ne_u16_e32 0, v9
	s_cbranch_execz .LBB405_811
; %bb.804:                              ;   in Loop: Header=BB405_616 Depth=1
	v_bfrev_b32_e32 v7, 1
	s_mov_b32 s13, exec_lo
	v_cmpx_ne_u16_e32 0x80, v9
	s_cbranch_execz .LBB405_810
; %bb.805:                              ;   in Loop: Header=BB405_616 Depth=1
	v_bfe_u32 v102, v2, 16, 7
	v_mov_b32_e32 v7, 0x7f800001
	s_mov_b32 s15, exec_lo
	s_delay_alu instid0(VALU_DEP_2)
	v_cmpx_ne_u32_e32 0x7f, v102
	s_cbranch_execz .LBB405_809
; %bb.806:                              ;   in Loop: Header=BB405_616 Depth=1
	v_and_b32_e32 v9, 7, v6
	v_lshrrev_b32_e32 v7, 3, v102
	s_mov_b32 s17, exec_lo
	v_cmpx_gt_u32_e32 8, v102
; %bb.807:                              ;   in Loop: Header=BB405_616 Depth=1
	s_delay_alu instid0(VALU_DEP_3) | instskip(NEXT) | instid1(VALU_DEP_1)
	v_clz_i32_u32_e32 v7, v9
	v_min_u32_e32 v7, 32, v7
	s_delay_alu instid0(VALU_DEP_1) | instskip(SKIP_1) | instid1(VALU_DEP_2)
	v_subrev_nc_u32_e32 v102, 28, v7
	v_sub_nc_u32_e32 v7, 29, v7
	v_lshlrev_b64 v[102:103], v102, v[9:10]
	s_delay_alu instid0(VALU_DEP_1)
	v_and_b32_e32 v9, 7, v102
; %bb.808:                              ;   in Loop: Header=BB405_616 Depth=1
	s_or_b32 exec_lo, exec_lo, s17
	v_lshlrev_b32_e32 v6, 24, v6
	s_delay_alu instid0(VALU_DEP_2) | instskip(SKIP_1) | instid1(VALU_DEP_3)
	v_lshlrev_b32_e32 v9, 20, v9
	v_lshl_add_u32 v7, v7, 23, 0x3c000000
	v_and_b32_e32 v6, 0x80000000, v6
	s_delay_alu instid0(VALU_DEP_1)
	v_or3_b32 v7, v9, v6, v7
.LBB405_809:                            ;   in Loop: Header=BB405_616 Depth=1
	s_or_b32 exec_lo, exec_lo, s15
.LBB405_810:                            ;   in Loop: Header=BB405_616 Depth=1
	s_delay_alu instid0(SALU_CYCLE_1)
	s_or_b32 exec_lo, exec_lo, s13
.LBB405_811:                            ;   in Loop: Header=BB405_616 Depth=1
	s_delay_alu instid0(SALU_CYCLE_1) | instskip(NEXT) | instid1(VALU_DEP_1)
	s_or_b32 exec_lo, exec_lo, s12
	v_mul_f32_e32 v6, v8, v7
                                        ; implicit-def: $vgpr102
	s_delay_alu instid0(VALU_DEP_1) | instskip(NEXT) | instid1(VALU_DEP_1)
	v_and_b32_e32 v7, 0x7f800000, v6
	v_cmp_ne_u32_e64 s0, 0x7f800000, v7
	s_delay_alu instid0(VALU_DEP_1) | instskip(NEXT) | instid1(SALU_CYCLE_1)
	s_and_saveexec_b32 s12, s0
	s_xor_b32 s0, exec_lo, s12
; %bb.812:                              ;   in Loop: Header=BB405_616 Depth=1
	v_bfe_u32 v7, v6, 16, 1
	s_delay_alu instid0(VALU_DEP_1)
	v_add3_u32 v102, v6, v7, 0x7fff
                                        ; implicit-def: $vgpr6
; %bb.813:                              ;   in Loop: Header=BB405_616 Depth=1
	s_and_not1_saveexec_b32 s12, s0
; %bb.814:                              ;   in Loop: Header=BB405_616 Depth=1
	v_and_b32_e32 v7, 0xffff, v6
	v_or_b32_e32 v9, 0x10000, v6
	s_delay_alu instid0(VALU_DEP_2) | instskip(NEXT) | instid1(VALU_DEP_1)
	v_cmp_eq_u32_e64 s0, 0, v7
	v_cndmask_b32_e64 v102, v9, v6, s0
; %bb.815:                              ;   in Loop: Header=BB405_616 Depth=1
	s_or_b32 exec_lo, exec_lo, s12
	v_mov_b32_e32 v7, 0
	s_mov_b32 s12, exec_lo
	v_cmpx_lt_u32_e32 0xffffff, v2
	s_cbranch_execz .LBB405_823
; %bb.816:                              ;   in Loop: Header=BB405_616 Depth=1
	v_lshrrev_b32_e32 v6, 24, v2
	v_bfrev_b32_e32 v7, 1
	s_mov_b32 s13, exec_lo
	s_delay_alu instid0(VALU_DEP_2)
	v_cmpx_ne_u32_e32 0x80, v6
	s_cbranch_execz .LBB405_822
; %bb.817:                              ;   in Loop: Header=BB405_616 Depth=1
	v_bfe_u32 v103, v2, 24, 7
	v_mov_b32_e32 v7, 0x7f800001
	s_mov_b32 s15, exec_lo
	s_delay_alu instid0(VALU_DEP_2)
	v_cmpx_ne_u32_e32 0x7f, v103
	s_cbranch_execz .LBB405_821
; %bb.818:                              ;   in Loop: Header=BB405_616 Depth=1
	v_and_b32_e32 v9, 7, v6
	v_lshrrev_b32_e32 v7, 3, v103
	s_mov_b32 s17, exec_lo
	v_cmpx_gt_u32_e32 8, v103
; %bb.819:                              ;   in Loop: Header=BB405_616 Depth=1
	s_delay_alu instid0(VALU_DEP_3) | instskip(NEXT) | instid1(VALU_DEP_1)
	v_clz_i32_u32_e32 v7, v9
	v_min_u32_e32 v7, 32, v7
	s_delay_alu instid0(VALU_DEP_1) | instskip(SKIP_1) | instid1(VALU_DEP_2)
	v_subrev_nc_u32_e32 v103, 28, v7
	v_sub_nc_u32_e32 v7, 29, v7
	v_lshlrev_b64 v[112:113], v103, v[9:10]
	s_delay_alu instid0(VALU_DEP_1)
	v_and_b32_e32 v9, 7, v112
; %bb.820:                              ;   in Loop: Header=BB405_616 Depth=1
	s_or_b32 exec_lo, exec_lo, s17
	v_lshlrev_b32_e32 v6, 24, v6
	s_delay_alu instid0(VALU_DEP_2) | instskip(SKIP_1) | instid1(VALU_DEP_3)
	v_lshlrev_b32_e32 v9, 20, v9
	v_lshl_add_u32 v7, v7, 23, 0x3c000000
	v_and_b32_e32 v6, 0x80000000, v6
	s_delay_alu instid0(VALU_DEP_1)
	v_or3_b32 v7, v9, v6, v7
.LBB405_821:                            ;   in Loop: Header=BB405_616 Depth=1
	s_or_b32 exec_lo, exec_lo, s15
.LBB405_822:                            ;   in Loop: Header=BB405_616 Depth=1
	s_delay_alu instid0(SALU_CYCLE_1)
	s_or_b32 exec_lo, exec_lo, s13
.LBB405_823:                            ;   in Loop: Header=BB405_616 Depth=1
	s_delay_alu instid0(SALU_CYCLE_1) | instskip(NEXT) | instid1(VALU_DEP_1)
	s_or_b32 exec_lo, exec_lo, s12
	v_mul_f32_e32 v6, v8, v7
                                        ; implicit-def: $vgpr103
	s_delay_alu instid0(VALU_DEP_1) | instskip(NEXT) | instid1(VALU_DEP_1)
	v_and_b32_e32 v7, 0x7f800000, v6
	v_cmp_ne_u32_e64 s0, 0x7f800000, v7
	s_delay_alu instid0(VALU_DEP_1) | instskip(NEXT) | instid1(SALU_CYCLE_1)
	s_and_saveexec_b32 s12, s0
	s_xor_b32 s0, exec_lo, s12
; %bb.824:                              ;   in Loop: Header=BB405_616 Depth=1
	v_bfe_u32 v7, v6, 16, 1
	s_delay_alu instid0(VALU_DEP_1)
	v_add3_u32 v103, v6, v7, 0x7fff
                                        ; implicit-def: $vgpr6
; %bb.825:                              ;   in Loop: Header=BB405_616 Depth=1
	s_and_not1_saveexec_b32 s12, s0
; %bb.826:                              ;   in Loop: Header=BB405_616 Depth=1
	v_and_b32_e32 v7, 0xffff, v6
	v_or_b32_e32 v9, 0x10000, v6
	s_delay_alu instid0(VALU_DEP_2) | instskip(NEXT) | instid1(VALU_DEP_1)
	v_cmp_eq_u32_e64 s0, 0, v7
	v_cndmask_b32_e64 v103, v9, v6, s0
; %bb.827:                              ;   in Loop: Header=BB405_616 Depth=1
	s_or_b32 exec_lo, exec_lo, s12
	v_dual_mov_b32 v6, 0 :: v_dual_and_b32 v7, 0xff, v3
	v_mov_b32_e32 v9, v3
	s_mov_b32 s12, exec_lo
	s_delay_alu instid0(VALU_DEP_2)
	v_cmpx_ne_u16_e32 0, v7
	s_cbranch_execz .LBB405_835
; %bb.828:                              ;   in Loop: Header=BB405_616 Depth=1
	v_bfrev_b32_e32 v6, 1
	s_mov_b32 s13, exec_lo
	v_cmpx_ne_u16_e32 0x80, v7
	s_cbranch_execz .LBB405_834
; %bb.829:                              ;   in Loop: Header=BB405_616 Depth=1
	v_and_b32_e32 v7, 0x7f, v3
	v_mov_b32_e32 v6, 0x7f800001
	s_mov_b32 s15, exec_lo
	s_delay_alu instid0(VALU_DEP_2)
	v_cmpx_ne_u32_e32 0x7f, v7
	s_cbranch_execz .LBB405_833
; %bb.830:                              ;   in Loop: Header=BB405_616 Depth=1
	v_lshrrev_b32_e32 v112, 3, v7
	v_cmp_gt_u32_e64 s0, 8, v7
	v_dual_mov_b32 v6, v9 :: v_dual_mov_b32 v7, v10
	s_delay_alu instid0(VALU_DEP_2)
	s_and_saveexec_b32 s17, s0
; %bb.831:                              ;   in Loop: Header=BB405_616 Depth=1
	v_and_b32_e32 v6, 7, v3
	s_delay_alu instid0(VALU_DEP_1) | instskip(NEXT) | instid1(VALU_DEP_1)
	v_clz_i32_u32_e32 v6, v6
	v_min_u32_e32 v112, 32, v6
	s_delay_alu instid0(VALU_DEP_1) | instskip(SKIP_1) | instid1(VALU_DEP_2)
	v_subrev_nc_u32_e32 v6, 28, v112
	v_sub_nc_u32_e32 v112, 29, v112
	v_lshlrev_b64 v[6:7], v6, v[9:10]
; %bb.832:                              ;   in Loop: Header=BB405_616 Depth=1
	s_or_b32 exec_lo, exec_lo, s17
	s_delay_alu instid0(VALU_DEP_1) | instskip(SKIP_2) | instid1(VALU_DEP_3)
	v_lshlrev_b32_e32 v6, 20, v6
	v_lshlrev_b32_e32 v7, 24, v9
	v_lshl_add_u32 v112, v112, 23, 0x3c000000
	v_and_b32_e32 v6, 0x700000, v6
	s_delay_alu instid0(VALU_DEP_3) | instskip(NEXT) | instid1(VALU_DEP_1)
	v_and_b32_e32 v7, 0x80000000, v7
	v_or3_b32 v6, v6, v7, v112
.LBB405_833:                            ;   in Loop: Header=BB405_616 Depth=1
	s_or_b32 exec_lo, exec_lo, s15
.LBB405_834:                            ;   in Loop: Header=BB405_616 Depth=1
	s_delay_alu instid0(SALU_CYCLE_1)
	s_or_b32 exec_lo, exec_lo, s13
.LBB405_835:                            ;   in Loop: Header=BB405_616 Depth=1
	s_delay_alu instid0(SALU_CYCLE_1) | instskip(NEXT) | instid1(VALU_DEP_1)
	s_or_b32 exec_lo, exec_lo, s12
	v_mul_f32_e32 v6, v8, v6
                                        ; implicit-def: $vgpr112
	s_delay_alu instid0(VALU_DEP_1) | instskip(NEXT) | instid1(VALU_DEP_1)
	v_and_b32_e32 v7, 0x7f800000, v6
	v_cmp_ne_u32_e64 s0, 0x7f800000, v7
	s_delay_alu instid0(VALU_DEP_1) | instskip(NEXT) | instid1(SALU_CYCLE_1)
	s_and_saveexec_b32 s12, s0
	s_xor_b32 s0, exec_lo, s12
; %bb.836:                              ;   in Loop: Header=BB405_616 Depth=1
	v_bfe_u32 v7, v6, 16, 1
	s_delay_alu instid0(VALU_DEP_1)
	v_add3_u32 v112, v6, v7, 0x7fff
                                        ; implicit-def: $vgpr6
; %bb.837:                              ;   in Loop: Header=BB405_616 Depth=1
	s_and_not1_saveexec_b32 s12, s0
; %bb.838:                              ;   in Loop: Header=BB405_616 Depth=1
	v_and_b32_e32 v7, 0xffff, v6
	v_or_b32_e32 v112, 0x10000, v6
	s_delay_alu instid0(VALU_DEP_2) | instskip(NEXT) | instid1(VALU_DEP_1)
	v_cmp_eq_u32_e64 s0, 0, v7
	v_cndmask_b32_e64 v112, v112, v6, s0
; %bb.839:                              ;   in Loop: Header=BB405_616 Depth=1
	s_or_b32 exec_lo, exec_lo, s12
	v_lshrrev_b16 v7, 8, v9
	v_mov_b32_e32 v6, 0
	s_mov_b32 s12, exec_lo
	s_delay_alu instid0(VALU_DEP_2)
	v_cmpx_ne_u16_e32 0, v7
	s_cbranch_execz .LBB405_847
; %bb.840:                              ;   in Loop: Header=BB405_616 Depth=1
	v_bfrev_b32_e32 v6, 1
	s_mov_b32 s13, exec_lo
	v_cmpx_ne_u16_e32 0x80, v7
	s_cbranch_execz .LBB405_846
; %bb.841:                              ;   in Loop: Header=BB405_616 Depth=1
	v_and_b32_e32 v7, 0xffff, v7
	v_mov_b32_e32 v6, 0x7f800001
	s_mov_b32 s15, exec_lo
	s_delay_alu instid0(VALU_DEP_2) | instskip(NEXT) | instid1(VALU_DEP_1)
	v_and_b32_e32 v114, 0x7f, v7
	v_cmpx_ne_u32_e32 0x7f, v114
	s_cbranch_execz .LBB405_845
; %bb.842:                              ;   in Loop: Header=BB405_616 Depth=1
	v_dual_mov_b32 v7, v10 :: v_dual_and_b32 v6, 7, v7
	v_lshrrev_b32_e32 v113, 3, v114
	s_mov_b32 s17, exec_lo
	v_cmpx_gt_u32_e32 8, v114
; %bb.843:                              ;   in Loop: Header=BB405_616 Depth=1
	s_delay_alu instid0(VALU_DEP_3) | instskip(NEXT) | instid1(VALU_DEP_1)
	v_clz_i32_u32_e32 v113, v6
	v_min_u32_e32 v113, 32, v113
	s_delay_alu instid0(VALU_DEP_1) | instskip(SKIP_1) | instid1(VALU_DEP_2)
	v_subrev_nc_u32_e32 v114, 28, v113
	v_sub_nc_u32_e32 v113, 29, v113
	v_lshlrev_b64 v[6:7], v114, v[6:7]
	s_delay_alu instid0(VALU_DEP_1)
	v_and_b32_e32 v6, 7, v6
; %bb.844:                              ;   in Loop: Header=BB405_616 Depth=1
	s_or_b32 exec_lo, exec_lo, s17
	v_lshlrev_b32_e32 v7, 16, v9
	s_delay_alu instid0(VALU_DEP_2) | instskip(SKIP_1) | instid1(VALU_DEP_3)
	v_lshlrev_b32_e32 v6, 20, v6
	v_lshl_add_u32 v9, v113, 23, 0x3c000000
	v_and_b32_e32 v7, 0x80000000, v7
	s_delay_alu instid0(VALU_DEP_1)
	v_or3_b32 v6, v6, v7, v9
.LBB405_845:                            ;   in Loop: Header=BB405_616 Depth=1
	s_or_b32 exec_lo, exec_lo, s15
.LBB405_846:                            ;   in Loop: Header=BB405_616 Depth=1
	s_delay_alu instid0(SALU_CYCLE_1)
	s_or_b32 exec_lo, exec_lo, s13
.LBB405_847:                            ;   in Loop: Header=BB405_616 Depth=1
	s_delay_alu instid0(SALU_CYCLE_1) | instskip(NEXT) | instid1(VALU_DEP_1)
	s_or_b32 exec_lo, exec_lo, s12
	v_mul_f32_e32 v7, v8, v6
	s_delay_alu instid0(VALU_DEP_1) | instskip(NEXT) | instid1(VALU_DEP_1)
	v_and_b32_e32 v6, 0x7f800000, v7
	v_cmp_ne_u32_e64 s0, 0x7f800000, v6
                                        ; implicit-def: $vgpr6
	s_delay_alu instid0(VALU_DEP_1) | instskip(NEXT) | instid1(SALU_CYCLE_1)
	s_and_saveexec_b32 s12, s0
	s_xor_b32 s0, exec_lo, s12
; %bb.848:                              ;   in Loop: Header=BB405_616 Depth=1
	v_bfe_u32 v6, v7, 16, 1
	s_delay_alu instid0(VALU_DEP_1)
	v_add3_u32 v6, v7, v6, 0x7fff
                                        ; implicit-def: $vgpr7
; %bb.849:                              ;   in Loop: Header=BB405_616 Depth=1
	s_and_not1_saveexec_b32 s12, s0
; %bb.850:                              ;   in Loop: Header=BB405_616 Depth=1
	v_and_b32_e32 v6, 0xffff, v7
	v_or_b32_e32 v9, 0x10000, v7
	s_delay_alu instid0(VALU_DEP_2) | instskip(NEXT) | instid1(VALU_DEP_1)
	v_cmp_eq_u32_e64 s0, 0, v6
	v_cndmask_b32_e64 v6, v9, v7, s0
; %bb.851:                              ;   in Loop: Header=BB405_616 Depth=1
	s_or_b32 exec_lo, exec_lo, s12
	v_lshrrev_b32_e32 v7, 16, v3
	v_mov_b32_e32 v9, 0
	s_mov_b32 s12, exec_lo
	s_delay_alu instid0(VALU_DEP_2) | instskip(NEXT) | instid1(VALU_DEP_1)
	v_and_b32_e32 v113, 0xff, v7
	v_cmpx_ne_u16_e32 0, v113
	s_cbranch_execz .LBB405_859
; %bb.852:                              ;   in Loop: Header=BB405_616 Depth=1
	v_bfrev_b32_e32 v9, 1
	s_mov_b32 s13, exec_lo
	v_cmpx_ne_u16_e32 0x80, v113
	s_cbranch_execz .LBB405_858
; %bb.853:                              ;   in Loop: Header=BB405_616 Depth=1
	v_bfe_u32 v114, v3, 16, 7
	v_mov_b32_e32 v9, 0x7f800001
	s_mov_b32 s15, exec_lo
	s_delay_alu instid0(VALU_DEP_2)
	v_cmpx_ne_u32_e32 0x7f, v114
	s_cbranch_execz .LBB405_857
; %bb.854:                              ;   in Loop: Header=BB405_616 Depth=1
	v_and_b32_e32 v9, 7, v7
	v_lshrrev_b32_e32 v113, 3, v114
	s_mov_b32 s17, exec_lo
	v_cmpx_gt_u32_e32 8, v114
; %bb.855:                              ;   in Loop: Header=BB405_616 Depth=1
	s_delay_alu instid0(VALU_DEP_3) | instskip(NEXT) | instid1(VALU_DEP_1)
	v_clz_i32_u32_e32 v113, v9
	v_min_u32_e32 v113, 32, v113
	s_delay_alu instid0(VALU_DEP_1) | instskip(SKIP_1) | instid1(VALU_DEP_2)
	v_subrev_nc_u32_e32 v114, 28, v113
	v_sub_nc_u32_e32 v113, 29, v113
	v_lshlrev_b64 v[114:115], v114, v[9:10]
	s_delay_alu instid0(VALU_DEP_1)
	v_and_b32_e32 v9, 7, v114
; %bb.856:                              ;   in Loop: Header=BB405_616 Depth=1
	s_or_b32 exec_lo, exec_lo, s17
	v_lshlrev_b32_e32 v7, 24, v7
	s_delay_alu instid0(VALU_DEP_2) | instskip(SKIP_1) | instid1(VALU_DEP_3)
	v_lshlrev_b32_e32 v9, 20, v9
	v_lshl_add_u32 v113, v113, 23, 0x3c000000
	v_and_b32_e32 v7, 0x80000000, v7
	s_delay_alu instid0(VALU_DEP_1)
	v_or3_b32 v9, v9, v7, v113
.LBB405_857:                            ;   in Loop: Header=BB405_616 Depth=1
	s_or_b32 exec_lo, exec_lo, s15
.LBB405_858:                            ;   in Loop: Header=BB405_616 Depth=1
	s_delay_alu instid0(SALU_CYCLE_1)
	s_or_b32 exec_lo, exec_lo, s13
.LBB405_859:                            ;   in Loop: Header=BB405_616 Depth=1
	s_delay_alu instid0(SALU_CYCLE_1) | instskip(NEXT) | instid1(VALU_DEP_1)
	s_or_b32 exec_lo, exec_lo, s12
	v_mul_f32_e32 v7, v8, v9
                                        ; implicit-def: $vgpr113
	s_delay_alu instid0(VALU_DEP_1) | instskip(NEXT) | instid1(VALU_DEP_1)
	v_and_b32_e32 v9, 0x7f800000, v7
	v_cmp_ne_u32_e64 s0, 0x7f800000, v9
	s_delay_alu instid0(VALU_DEP_1) | instskip(NEXT) | instid1(SALU_CYCLE_1)
	s_and_saveexec_b32 s12, s0
	s_xor_b32 s0, exec_lo, s12
; %bb.860:                              ;   in Loop: Header=BB405_616 Depth=1
	v_bfe_u32 v9, v7, 16, 1
	s_delay_alu instid0(VALU_DEP_1)
	v_add3_u32 v113, v7, v9, 0x7fff
                                        ; implicit-def: $vgpr7
; %bb.861:                              ;   in Loop: Header=BB405_616 Depth=1
	s_and_not1_saveexec_b32 s12, s0
; %bb.862:                              ;   in Loop: Header=BB405_616 Depth=1
	v_and_b32_e32 v9, 0xffff, v7
	v_or_b32_e32 v113, 0x10000, v7
	s_delay_alu instid0(VALU_DEP_2) | instskip(NEXT) | instid1(VALU_DEP_1)
	v_cmp_eq_u32_e64 s0, 0, v9
	v_cndmask_b32_e64 v113, v113, v7, s0
; %bb.863:                              ;   in Loop: Header=BB405_616 Depth=1
	s_or_b32 exec_lo, exec_lo, s12
	v_mov_b32_e32 v7, 0
	s_mov_b32 s12, exec_lo
	v_cmpx_lt_u64_e64 s[8:9], v[2:3]
	s_cbranch_execz .LBB405_871
; %bb.864:                              ;   in Loop: Header=BB405_616 Depth=1
	v_lshrrev_b32_e32 v2, 24, v3
	v_bfrev_b32_e32 v7, 1
	s_mov_b32 s13, exec_lo
	s_delay_alu instid0(VALU_DEP_2)
	v_cmpx_ne_u32_e32 0x80, v2
	s_cbranch_execz .LBB405_870
; %bb.865:                              ;   in Loop: Header=BB405_616 Depth=1
	v_bfe_u32 v114, v3, 24, 7
	v_mov_b32_e32 v7, 0x7f800001
	s_mov_b32 s15, exec_lo
	s_delay_alu instid0(VALU_DEP_2)
	v_cmpx_ne_u32_e32 0x7f, v114
	s_cbranch_execz .LBB405_869
; %bb.866:                              ;   in Loop: Header=BB405_616 Depth=1
	v_and_b32_e32 v9, 7, v2
	v_lshrrev_b32_e32 v3, 3, v114
	s_mov_b32 s17, exec_lo
	v_cmpx_gt_u32_e32 8, v114
; %bb.867:                              ;   in Loop: Header=BB405_616 Depth=1
	s_delay_alu instid0(VALU_DEP_3) | instskip(NEXT) | instid1(VALU_DEP_1)
	v_clz_i32_u32_e32 v3, v9
	v_min_u32_e32 v3, 32, v3
	s_delay_alu instid0(VALU_DEP_1) | instskip(SKIP_1) | instid1(VALU_DEP_2)
	v_subrev_nc_u32_e32 v7, 28, v3
	v_sub_nc_u32_e32 v3, 29, v3
	v_lshlrev_b64 v[114:115], v7, v[9:10]
	s_delay_alu instid0(VALU_DEP_1)
	v_and_b32_e32 v9, 7, v114
; %bb.868:                              ;   in Loop: Header=BB405_616 Depth=1
	s_or_b32 exec_lo, exec_lo, s17
	v_lshlrev_b32_e32 v2, 24, v2
	s_delay_alu instid0(VALU_DEP_2) | instskip(SKIP_1) | instid1(VALU_DEP_3)
	v_lshlrev_b32_e32 v7, 20, v9
	v_lshl_add_u32 v3, v3, 23, 0x3c000000
	v_and_b32_e32 v2, 0x80000000, v2
	s_delay_alu instid0(VALU_DEP_1)
	v_or3_b32 v7, v7, v2, v3
.LBB405_869:                            ;   in Loop: Header=BB405_616 Depth=1
	s_or_b32 exec_lo, exec_lo, s15
.LBB405_870:                            ;   in Loop: Header=BB405_616 Depth=1
	s_delay_alu instid0(SALU_CYCLE_1)
	s_or_b32 exec_lo, exec_lo, s13
.LBB405_871:                            ;   in Loop: Header=BB405_616 Depth=1
	s_delay_alu instid0(SALU_CYCLE_1) | instskip(NEXT) | instid1(VALU_DEP_1)
	s_or_b32 exec_lo, exec_lo, s12
	v_mul_f32_e32 v3, v8, v7
	s_delay_alu instid0(VALU_DEP_1) | instskip(NEXT) | instid1(VALU_DEP_1)
	v_and_b32_e32 v2, 0x7f800000, v3
	v_cmp_ne_u32_e64 s0, 0x7f800000, v2
                                        ; implicit-def: $vgpr2
	s_delay_alu instid0(VALU_DEP_1) | instskip(NEXT) | instid1(SALU_CYCLE_1)
	s_and_saveexec_b32 s12, s0
	s_xor_b32 s0, exec_lo, s12
; %bb.872:                              ;   in Loop: Header=BB405_616 Depth=1
	v_bfe_u32 v2, v3, 16, 1
	s_delay_alu instid0(VALU_DEP_1)
	v_add3_u32 v2, v3, v2, 0x7fff
                                        ; implicit-def: $vgpr3
; %bb.873:                              ;   in Loop: Header=BB405_616 Depth=1
	s_and_not1_saveexec_b32 s12, s0
; %bb.874:                              ;   in Loop: Header=BB405_616 Depth=1
	v_and_b32_e32 v2, 0xffff, v3
	v_or_b32_e32 v7, 0x10000, v3
	s_delay_alu instid0(VALU_DEP_2) | instskip(NEXT) | instid1(VALU_DEP_1)
	v_cmp_eq_u32_e64 s0, 0, v2
	v_cndmask_b32_e64 v2, v7, v3, s0
; %bb.875:                              ;   in Loop: Header=BB405_616 Depth=1
	s_or_b32 exec_lo, exec_lo, s12
	v_lshrrev_b32_e32 v6, 16, v6
	v_lshrrev_b32_e32 v7, 16, v112
	v_lshrrev_b32_e32 v9, 16, v103
	v_lshrrev_b32_e32 v102, 16, v102
	v_lshrrev_b32_e32 v101, 16, v101
	v_lshrrev_b32_e32 v100, 16, v100
	v_lshrrev_b32_e32 v3, 16, v113
	v_lshrrev_b32_e32 v2, 16, v2
	s_and_saveexec_b32 s12, vcc_lo
	s_cbranch_execz .LBB405_877
; %bb.876:                              ;   in Loop: Header=BB405_616 Depth=1
	v_cmp_lt_i32_e64 s0, v51, v83
	s_delay_alu instid0(VALU_DEP_1) | instskip(SKIP_1) | instid1(VALU_DEP_1)
	v_cndmask_b32_e64 v100, 0, v100, s0
	v_cmp_lt_i32_e64 s0, v67, v83
	v_cndmask_b32_e64 v101, 0, v101, s0
	v_cmp_lt_i32_e64 s0, v66, v83
	s_delay_alu instid0(VALU_DEP_1) | instskip(SKIP_1) | instid1(VALU_DEP_1)
	v_cndmask_b32_e64 v102, 0, v102, s0
	v_cmp_lt_i32_e64 s0, v65, v83
	v_cndmask_b32_e64 v9, 0, v9, s0
	;; [unrolled: 5-line block ×4, first 2 shown]
.LBB405_877:                            ;   in Loop: Header=BB405_616 Depth=1
	s_or_b32 exec_lo, exec_lo, s12
	v_lshlrev_b32_e32 v100, 16, v100
	s_delay_alu instid0(VALU_DEP_1) | instskip(NEXT) | instid1(VALU_DEP_1)
	v_mul_f32_e32 v103, v68, v100
	v_and_b32_e32 v100, 0x7f800000, v103
	s_delay_alu instid0(VALU_DEP_1) | instskip(NEXT) | instid1(VALU_DEP_1)
	v_cmp_ne_u32_e64 s0, 0x7f800000, v100
                                        ; implicit-def: $vgpr100
	s_and_saveexec_b32 s12, s0
	s_delay_alu instid0(SALU_CYCLE_1)
	s_xor_b32 s0, exec_lo, s12
; %bb.878:                              ;   in Loop: Header=BB405_616 Depth=1
	v_bfe_u32 v100, v103, 16, 1
	s_delay_alu instid0(VALU_DEP_1)
	v_add3_u32 v100, v103, v100, 0x7fff
                                        ; implicit-def: $vgpr103
; %bb.879:                              ;   in Loop: Header=BB405_616 Depth=1
	s_and_not1_saveexec_b32 s12, s0
; %bb.880:                              ;   in Loop: Header=BB405_616 Depth=1
	v_and_b32_e32 v100, 0xffff, v103
	v_or_b32_e32 v112, 0x10000, v103
	s_delay_alu instid0(VALU_DEP_2) | instskip(NEXT) | instid1(VALU_DEP_1)
	v_cmp_eq_u32_e64 s0, 0, v100
	v_cndmask_b32_e64 v100, v112, v103, s0
; %bb.881:                              ;   in Loop: Header=BB405_616 Depth=1
	s_or_b32 exec_lo, exec_lo, s12
	v_lshlrev_b32_e32 v101, 16, v101
	s_delay_alu instid0(VALU_DEP_1) | instskip(NEXT) | instid1(VALU_DEP_1)
	v_mul_f32_e32 v103, v69, v101
	v_and_b32_e32 v101, 0x7f800000, v103
	s_delay_alu instid0(VALU_DEP_1) | instskip(NEXT) | instid1(VALU_DEP_1)
	v_cmp_ne_u32_e64 s0, 0x7f800000, v101
                                        ; implicit-def: $vgpr101
	s_and_saveexec_b32 s12, s0
	s_delay_alu instid0(SALU_CYCLE_1)
	s_xor_b32 s0, exec_lo, s12
; %bb.882:                              ;   in Loop: Header=BB405_616 Depth=1
	v_bfe_u32 v101, v103, 16, 1
	s_delay_alu instid0(VALU_DEP_1)
	v_add3_u32 v101, v103, v101, 0x7fff
                                        ; implicit-def: $vgpr103
; %bb.883:                              ;   in Loop: Header=BB405_616 Depth=1
	s_and_not1_saveexec_b32 s12, s0
; %bb.884:                              ;   in Loop: Header=BB405_616 Depth=1
	v_and_b32_e32 v101, 0xffff, v103
	v_or_b32_e32 v112, 0x10000, v103
	s_delay_alu instid0(VALU_DEP_2) | instskip(NEXT) | instid1(VALU_DEP_1)
	v_cmp_eq_u32_e64 s0, 0, v101
	v_cndmask_b32_e64 v101, v112, v103, s0
; %bb.885:                              ;   in Loop: Header=BB405_616 Depth=1
	s_or_b32 exec_lo, exec_lo, s12
	v_lshlrev_b32_e32 v102, 16, v102
	s_delay_alu instid0(VALU_DEP_1) | instskip(NEXT) | instid1(VALU_DEP_1)
	v_mul_f32_e32 v103, v70, v102
	v_and_b32_e32 v102, 0x7f800000, v103
	s_delay_alu instid0(VALU_DEP_1) | instskip(NEXT) | instid1(VALU_DEP_1)
	v_cmp_ne_u32_e64 s0, 0x7f800000, v102
                                        ; implicit-def: $vgpr102
	s_and_saveexec_b32 s12, s0
	s_delay_alu instid0(SALU_CYCLE_1)
	s_xor_b32 s0, exec_lo, s12
; %bb.886:                              ;   in Loop: Header=BB405_616 Depth=1
	v_bfe_u32 v102, v103, 16, 1
	s_delay_alu instid0(VALU_DEP_1)
	v_add3_u32 v102, v103, v102, 0x7fff
                                        ; implicit-def: $vgpr103
; %bb.887:                              ;   in Loop: Header=BB405_616 Depth=1
	s_and_not1_saveexec_b32 s12, s0
; %bb.888:                              ;   in Loop: Header=BB405_616 Depth=1
	v_and_b32_e32 v102, 0xffff, v103
	v_or_b32_e32 v112, 0x10000, v103
	s_delay_alu instid0(VALU_DEP_2) | instskip(NEXT) | instid1(VALU_DEP_1)
	v_cmp_eq_u32_e64 s0, 0, v102
	v_cndmask_b32_e64 v102, v112, v103, s0
; %bb.889:                              ;   in Loop: Header=BB405_616 Depth=1
	s_or_b32 exec_lo, exec_lo, s12
	v_lshlrev_b32_e32 v9, 16, v9
	s_delay_alu instid0(VALU_DEP_1) | instskip(NEXT) | instid1(VALU_DEP_1)
	v_mul_f32_e32 v9, v71, v9
	v_and_b32_e32 v103, 0x7f800000, v9
	s_delay_alu instid0(VALU_DEP_1) | instskip(NEXT) | instid1(VALU_DEP_1)
	v_cmp_ne_u32_e64 s0, 0x7f800000, v103
                                        ; implicit-def: $vgpr103
	s_and_saveexec_b32 s12, s0
	s_delay_alu instid0(SALU_CYCLE_1)
	s_xor_b32 s0, exec_lo, s12
; %bb.890:                              ;   in Loop: Header=BB405_616 Depth=1
	v_bfe_u32 v103, v9, 16, 1
	s_delay_alu instid0(VALU_DEP_1)
	v_add3_u32 v103, v9, v103, 0x7fff
                                        ; implicit-def: $vgpr9
; %bb.891:                              ;   in Loop: Header=BB405_616 Depth=1
	s_and_not1_saveexec_b32 s12, s0
; %bb.892:                              ;   in Loop: Header=BB405_616 Depth=1
	v_and_b32_e32 v103, 0xffff, v9
	v_or_b32_e32 v112, 0x10000, v9
	s_delay_alu instid0(VALU_DEP_2) | instskip(NEXT) | instid1(VALU_DEP_1)
	v_cmp_eq_u32_e64 s0, 0, v103
	v_cndmask_b32_e64 v103, v112, v9, s0
; %bb.893:                              ;   in Loop: Header=BB405_616 Depth=1
	s_or_b32 exec_lo, exec_lo, s12
	v_lshlrev_b32_e32 v7, 16, v7
                                        ; implicit-def: $vgpr112
	s_delay_alu instid0(VALU_DEP_1) | instskip(NEXT) | instid1(VALU_DEP_1)
	v_mul_f32_e32 v7, v80, v7
	v_and_b32_e32 v9, 0x7f800000, v7
	s_delay_alu instid0(VALU_DEP_1) | instskip(NEXT) | instid1(VALU_DEP_1)
	v_cmp_ne_u32_e64 s0, 0x7f800000, v9
	s_and_saveexec_b32 s12, s0
	s_delay_alu instid0(SALU_CYCLE_1)
	s_xor_b32 s0, exec_lo, s12
; %bb.894:                              ;   in Loop: Header=BB405_616 Depth=1
	v_bfe_u32 v9, v7, 16, 1
	s_delay_alu instid0(VALU_DEP_1)
	v_add3_u32 v112, v7, v9, 0x7fff
                                        ; implicit-def: $vgpr7
; %bb.895:                              ;   in Loop: Header=BB405_616 Depth=1
	s_and_not1_saveexec_b32 s12, s0
; %bb.896:                              ;   in Loop: Header=BB405_616 Depth=1
	v_and_b32_e32 v9, 0xffff, v7
	v_or_b32_e32 v112, 0x10000, v7
	s_delay_alu instid0(VALU_DEP_2) | instskip(NEXT) | instid1(VALU_DEP_1)
	v_cmp_eq_u32_e64 s0, 0, v9
	v_cndmask_b32_e64 v112, v112, v7, s0
; %bb.897:                              ;   in Loop: Header=BB405_616 Depth=1
	s_or_b32 exec_lo, exec_lo, s12
	v_lshlrev_b32_e32 v6, 16, v6
                                        ; implicit-def: $vgpr113
	s_delay_alu instid0(VALU_DEP_1) | instskip(NEXT) | instid1(VALU_DEP_1)
	v_mul_f32_e32 v6, v81, v6
	v_and_b32_e32 v7, 0x7f800000, v6
	s_delay_alu instid0(VALU_DEP_1) | instskip(NEXT) | instid1(VALU_DEP_1)
	v_cmp_ne_u32_e64 s0, 0x7f800000, v7
	s_and_saveexec_b32 s12, s0
	s_delay_alu instid0(SALU_CYCLE_1)
	s_xor_b32 s0, exec_lo, s12
; %bb.898:                              ;   in Loop: Header=BB405_616 Depth=1
	v_bfe_u32 v7, v6, 16, 1
	s_delay_alu instid0(VALU_DEP_1)
	v_add3_u32 v113, v6, v7, 0x7fff
                                        ; implicit-def: $vgpr6
; %bb.899:                              ;   in Loop: Header=BB405_616 Depth=1
	s_and_not1_saveexec_b32 s12, s0
; %bb.900:                              ;   in Loop: Header=BB405_616 Depth=1
	v_and_b32_e32 v7, 0xffff, v6
	v_or_b32_e32 v9, 0x10000, v6
	s_delay_alu instid0(VALU_DEP_2) | instskip(NEXT) | instid1(VALU_DEP_1)
	v_cmp_eq_u32_e64 s0, 0, v7
	v_cndmask_b32_e64 v113, v9, v6, s0
; %bb.901:                              ;   in Loop: Header=BB405_616 Depth=1
	s_or_b32 exec_lo, exec_lo, s12
	v_lshlrev_b32_e32 v3, 16, v3
                                        ; implicit-def: $vgpr114
	s_delay_alu instid0(VALU_DEP_1) | instskip(NEXT) | instid1(VALU_DEP_1)
	v_mul_f32_e32 v3, v98, v3
	v_and_b32_e32 v6, 0x7f800000, v3
	s_delay_alu instid0(VALU_DEP_1) | instskip(NEXT) | instid1(VALU_DEP_1)
	v_cmp_ne_u32_e64 s0, 0x7f800000, v6
	s_and_saveexec_b32 s12, s0
	s_delay_alu instid0(SALU_CYCLE_1)
	s_xor_b32 s0, exec_lo, s12
; %bb.902:                              ;   in Loop: Header=BB405_616 Depth=1
	v_bfe_u32 v6, v3, 16, 1
	s_delay_alu instid0(VALU_DEP_1)
	v_add3_u32 v114, v3, v6, 0x7fff
                                        ; implicit-def: $vgpr3
; %bb.903:                              ;   in Loop: Header=BB405_616 Depth=1
	s_and_not1_saveexec_b32 s12, s0
; %bb.904:                              ;   in Loop: Header=BB405_616 Depth=1
	v_and_b32_e32 v6, 0xffff, v3
	v_or_b32_e32 v7, 0x10000, v3
	s_delay_alu instid0(VALU_DEP_2) | instskip(NEXT) | instid1(VALU_DEP_1)
	v_cmp_eq_u32_e64 s0, 0, v6
	v_cndmask_b32_e64 v114, v7, v3, s0
; %bb.905:                              ;   in Loop: Header=BB405_616 Depth=1
	s_or_b32 exec_lo, exec_lo, s12
	v_lshlrev_b32_e32 v2, 16, v2
                                        ; implicit-def: $vgpr115
	s_delay_alu instid0(VALU_DEP_1) | instskip(NEXT) | instid1(VALU_DEP_1)
	v_mul_f32_e32 v2, v99, v2
	v_and_b32_e32 v3, 0x7f800000, v2
	s_delay_alu instid0(VALU_DEP_1) | instskip(NEXT) | instid1(VALU_DEP_1)
	v_cmp_ne_u32_e64 s0, 0x7f800000, v3
	s_and_saveexec_b32 s12, s0
	s_delay_alu instid0(SALU_CYCLE_1)
	s_xor_b32 s0, exec_lo, s12
; %bb.906:                              ;   in Loop: Header=BB405_616 Depth=1
	v_bfe_u32 v3, v2, 16, 1
	s_delay_alu instid0(VALU_DEP_1)
	v_add3_u32 v115, v2, v3, 0x7fff
                                        ; implicit-def: $vgpr2
; %bb.907:                              ;   in Loop: Header=BB405_616 Depth=1
	s_and_not1_saveexec_b32 s12, s0
; %bb.908:                              ;   in Loop: Header=BB405_616 Depth=1
	v_and_b32_e32 v3, 0xffff, v2
	v_or_b32_e32 v6, 0x10000, v2
	s_delay_alu instid0(VALU_DEP_2) | instskip(NEXT) | instid1(VALU_DEP_1)
	v_cmp_eq_u32_e64 s0, 0, v3
	v_cndmask_b32_e64 v115, v6, v2, s0
; %bb.909:                              ;   in Loop: Header=BB405_616 Depth=1
	s_or_b32 exec_lo, exec_lo, s12
	flat_load_b64 v[2:3], v[0:1] offset:512
	s_mov_b32 s12, exec_lo
	s_waitcnt vmcnt(0) lgkmcnt(0)
	v_dual_mov_b32 v6, 0 :: v_dual_and_b32 v7, 0xff, v2
	s_delay_alu instid0(VALU_DEP_1)
	v_cmpx_ne_u16_e32 0, v7
	s_cbranch_execz .LBB405_917
; %bb.910:                              ;   in Loop: Header=BB405_616 Depth=1
	v_bfrev_b32_e32 v6, 1
	s_mov_b32 s13, exec_lo
	v_cmpx_ne_u16_e32 0x80, v7
	s_cbranch_execz .LBB405_916
; %bb.911:                              ;   in Loop: Header=BB405_616 Depth=1
	v_and_b32_e32 v7, 0x7f, v2
	v_mov_b32_e32 v6, 0x7f800001
	s_mov_b32 s15, exec_lo
	s_delay_alu instid0(VALU_DEP_2)
	v_cmpx_ne_u32_e32 0x7f, v7
	s_cbranch_execz .LBB405_915
; %bb.912:                              ;   in Loop: Header=BB405_616 Depth=1
	v_lshrrev_b32_e32 v9, 3, v7
	v_cmp_gt_u32_e64 s0, 8, v7
	v_dual_mov_b32 v7, v3 :: v_dual_mov_b32 v6, v2
	s_delay_alu instid0(VALU_DEP_2)
	s_and_saveexec_b32 s17, s0
; %bb.913:                              ;   in Loop: Header=BB405_616 Depth=1
	v_and_b32_e32 v6, 7, v2
	s_delay_alu instid0(VALU_DEP_1) | instskip(NEXT) | instid1(VALU_DEP_1)
	v_clz_i32_u32_e32 v6, v6
	v_min_u32_e32 v9, 32, v6
	s_delay_alu instid0(VALU_DEP_1) | instskip(SKIP_1) | instid1(VALU_DEP_2)
	v_subrev_nc_u32_e32 v6, 28, v9
	v_sub_nc_u32_e32 v9, 29, v9
	v_lshlrev_b64 v[6:7], v6, v[2:3]
; %bb.914:                              ;   in Loop: Header=BB405_616 Depth=1
	s_or_b32 exec_lo, exec_lo, s17
	s_delay_alu instid0(VALU_DEP_1) | instskip(SKIP_2) | instid1(VALU_DEP_3)
	v_lshlrev_b32_e32 v6, 20, v6
	v_lshlrev_b32_e32 v7, 24, v2
	v_lshl_add_u32 v9, v9, 23, 0x3c000000
	v_and_b32_e32 v6, 0x700000, v6
	s_delay_alu instid0(VALU_DEP_3) | instskip(NEXT) | instid1(VALU_DEP_1)
	v_and_b32_e32 v7, 0x80000000, v7
	v_or3_b32 v6, v6, v7, v9
.LBB405_915:                            ;   in Loop: Header=BB405_616 Depth=1
	s_or_b32 exec_lo, exec_lo, s15
.LBB405_916:                            ;   in Loop: Header=BB405_616 Depth=1
	s_delay_alu instid0(SALU_CYCLE_1)
	s_or_b32 exec_lo, exec_lo, s13
.LBB405_917:                            ;   in Loop: Header=BB405_616 Depth=1
	s_delay_alu instid0(SALU_CYCLE_1) | instskip(NEXT) | instid1(VALU_DEP_1)
	s_or_b32 exec_lo, exec_lo, s12
	v_mul_f32_e32 v6, v8, v6
                                        ; implicit-def: $vgpr116
	s_delay_alu instid0(VALU_DEP_1) | instskip(NEXT) | instid1(VALU_DEP_1)
	v_and_b32_e32 v7, 0x7f800000, v6
	v_cmp_ne_u32_e64 s0, 0x7f800000, v7
	s_delay_alu instid0(VALU_DEP_1) | instskip(NEXT) | instid1(SALU_CYCLE_1)
	s_and_saveexec_b32 s12, s0
	s_xor_b32 s0, exec_lo, s12
; %bb.918:                              ;   in Loop: Header=BB405_616 Depth=1
	v_bfe_u32 v7, v6, 16, 1
	s_delay_alu instid0(VALU_DEP_1)
	v_add3_u32 v116, v6, v7, 0x7fff
                                        ; implicit-def: $vgpr6
; %bb.919:                              ;   in Loop: Header=BB405_616 Depth=1
	s_and_not1_saveexec_b32 s12, s0
; %bb.920:                              ;   in Loop: Header=BB405_616 Depth=1
	v_and_b32_e32 v7, 0xffff, v6
	v_or_b32_e32 v9, 0x10000, v6
	s_delay_alu instid0(VALU_DEP_2) | instskip(NEXT) | instid1(VALU_DEP_1)
	v_cmp_eq_u32_e64 s0, 0, v7
	v_cndmask_b32_e64 v116, v9, v6, s0
; %bb.921:                              ;   in Loop: Header=BB405_616 Depth=1
	s_or_b32 exec_lo, exec_lo, s12
	v_lshrrev_b16 v7, 8, v2
	v_mov_b32_e32 v6, 0
	s_mov_b32 s12, exec_lo
	s_delay_alu instid0(VALU_DEP_2)
	v_cmpx_ne_u16_e32 0, v7
	s_cbranch_execz .LBB405_929
; %bb.922:                              ;   in Loop: Header=BB405_616 Depth=1
	v_bfrev_b32_e32 v6, 1
	s_mov_b32 s13, exec_lo
	v_cmpx_ne_u16_e32 0x80, v7
	s_cbranch_execz .LBB405_928
; %bb.923:                              ;   in Loop: Header=BB405_616 Depth=1
	v_and_b32_e32 v9, 0xffff, v7
	v_mov_b32_e32 v6, 0x7f800001
	s_mov_b32 s15, exec_lo
	s_delay_alu instid0(VALU_DEP_2) | instskip(NEXT) | instid1(VALU_DEP_1)
	v_and_b32_e32 v7, 0x7f, v9
	v_cmpx_ne_u32_e32 0x7f, v7
	s_cbranch_execz .LBB405_927
; %bb.924:                              ;   in Loop: Header=BB405_616 Depth=1
	v_and_b32_e32 v9, 7, v9
	v_lshrrev_b32_e32 v6, 3, v7
	s_mov_b32 s17, exec_lo
	v_cmpx_gt_u32_e32 8, v7
; %bb.925:                              ;   in Loop: Header=BB405_616 Depth=1
	s_delay_alu instid0(VALU_DEP_3) | instskip(NEXT) | instid1(VALU_DEP_1)
	v_clz_i32_u32_e32 v6, v9
	v_min_u32_e32 v6, 32, v6
	s_delay_alu instid0(VALU_DEP_1) | instskip(SKIP_1) | instid1(VALU_DEP_2)
	v_subrev_nc_u32_e32 v7, 28, v6
	v_sub_nc_u32_e32 v6, 29, v6
	v_lshlrev_b64 v[117:118], v7, v[9:10]
	s_delay_alu instid0(VALU_DEP_1)
	v_and_b32_e32 v9, 7, v117
; %bb.926:                              ;   in Loop: Header=BB405_616 Depth=1
	s_or_b32 exec_lo, exec_lo, s17
	v_lshlrev_b32_e32 v7, 16, v2
	s_delay_alu instid0(VALU_DEP_2) | instskip(SKIP_1) | instid1(VALU_DEP_3)
	v_lshlrev_b32_e32 v9, 20, v9
	v_lshl_add_u32 v6, v6, 23, 0x3c000000
	v_and_b32_e32 v7, 0x80000000, v7
	s_delay_alu instid0(VALU_DEP_1)
	v_or3_b32 v6, v9, v7, v6
.LBB405_927:                            ;   in Loop: Header=BB405_616 Depth=1
	s_or_b32 exec_lo, exec_lo, s15
.LBB405_928:                            ;   in Loop: Header=BB405_616 Depth=1
	s_delay_alu instid0(SALU_CYCLE_1)
	s_or_b32 exec_lo, exec_lo, s13
.LBB405_929:                            ;   in Loop: Header=BB405_616 Depth=1
	s_delay_alu instid0(SALU_CYCLE_1) | instskip(NEXT) | instid1(VALU_DEP_1)
	s_or_b32 exec_lo, exec_lo, s12
	v_mul_f32_e32 v6, v8, v6
                                        ; implicit-def: $vgpr117
	s_delay_alu instid0(VALU_DEP_1) | instskip(NEXT) | instid1(VALU_DEP_1)
	v_and_b32_e32 v7, 0x7f800000, v6
	v_cmp_ne_u32_e64 s0, 0x7f800000, v7
	s_delay_alu instid0(VALU_DEP_1) | instskip(NEXT) | instid1(SALU_CYCLE_1)
	s_and_saveexec_b32 s12, s0
	s_xor_b32 s0, exec_lo, s12
; %bb.930:                              ;   in Loop: Header=BB405_616 Depth=1
	v_bfe_u32 v7, v6, 16, 1
	s_delay_alu instid0(VALU_DEP_1)
	v_add3_u32 v117, v6, v7, 0x7fff
                                        ; implicit-def: $vgpr6
; %bb.931:                              ;   in Loop: Header=BB405_616 Depth=1
	s_and_not1_saveexec_b32 s12, s0
; %bb.932:                              ;   in Loop: Header=BB405_616 Depth=1
	v_and_b32_e32 v7, 0xffff, v6
	v_or_b32_e32 v9, 0x10000, v6
	s_delay_alu instid0(VALU_DEP_2) | instskip(NEXT) | instid1(VALU_DEP_1)
	v_cmp_eq_u32_e64 s0, 0, v7
	v_cndmask_b32_e64 v117, v9, v6, s0
; %bb.933:                              ;   in Loop: Header=BB405_616 Depth=1
	s_or_b32 exec_lo, exec_lo, s12
	v_lshrrev_b32_e32 v6, 16, v2
	v_mov_b32_e32 v7, 0
	s_mov_b32 s12, exec_lo
	s_delay_alu instid0(VALU_DEP_2) | instskip(NEXT) | instid1(VALU_DEP_1)
	v_and_b32_e32 v9, 0xff, v6
	v_cmpx_ne_u16_e32 0, v9
	s_cbranch_execz .LBB405_941
; %bb.934:                              ;   in Loop: Header=BB405_616 Depth=1
	v_bfrev_b32_e32 v7, 1
	s_mov_b32 s13, exec_lo
	v_cmpx_ne_u16_e32 0x80, v9
	s_cbranch_execz .LBB405_940
; %bb.935:                              ;   in Loop: Header=BB405_616 Depth=1
	v_bfe_u32 v118, v2, 16, 7
	v_mov_b32_e32 v7, 0x7f800001
	s_mov_b32 s15, exec_lo
	s_delay_alu instid0(VALU_DEP_2)
	v_cmpx_ne_u32_e32 0x7f, v118
	s_cbranch_execz .LBB405_939
; %bb.936:                              ;   in Loop: Header=BB405_616 Depth=1
	v_and_b32_e32 v9, 7, v6
	v_lshrrev_b32_e32 v7, 3, v118
	s_mov_b32 s17, exec_lo
	v_cmpx_gt_u32_e32 8, v118
; %bb.937:                              ;   in Loop: Header=BB405_616 Depth=1
	s_delay_alu instid0(VALU_DEP_3) | instskip(NEXT) | instid1(VALU_DEP_1)
	v_clz_i32_u32_e32 v7, v9
	v_min_u32_e32 v7, 32, v7
	s_delay_alu instid0(VALU_DEP_1) | instskip(SKIP_1) | instid1(VALU_DEP_2)
	v_subrev_nc_u32_e32 v118, 28, v7
	v_sub_nc_u32_e32 v7, 29, v7
	v_lshlrev_b64 v[118:119], v118, v[9:10]
	s_delay_alu instid0(VALU_DEP_1)
	v_and_b32_e32 v9, 7, v118
; %bb.938:                              ;   in Loop: Header=BB405_616 Depth=1
	s_or_b32 exec_lo, exec_lo, s17
	v_lshlrev_b32_e32 v6, 24, v6
	s_delay_alu instid0(VALU_DEP_2) | instskip(SKIP_1) | instid1(VALU_DEP_3)
	v_lshlrev_b32_e32 v9, 20, v9
	v_lshl_add_u32 v7, v7, 23, 0x3c000000
	v_and_b32_e32 v6, 0x80000000, v6
	s_delay_alu instid0(VALU_DEP_1)
	v_or3_b32 v7, v9, v6, v7
.LBB405_939:                            ;   in Loop: Header=BB405_616 Depth=1
	s_or_b32 exec_lo, exec_lo, s15
.LBB405_940:                            ;   in Loop: Header=BB405_616 Depth=1
	s_delay_alu instid0(SALU_CYCLE_1)
	s_or_b32 exec_lo, exec_lo, s13
.LBB405_941:                            ;   in Loop: Header=BB405_616 Depth=1
	s_delay_alu instid0(SALU_CYCLE_1) | instskip(NEXT) | instid1(VALU_DEP_1)
	s_or_b32 exec_lo, exec_lo, s12
	v_mul_f32_e32 v6, v8, v7
                                        ; implicit-def: $vgpr118
	s_delay_alu instid0(VALU_DEP_1) | instskip(NEXT) | instid1(VALU_DEP_1)
	v_and_b32_e32 v7, 0x7f800000, v6
	v_cmp_ne_u32_e64 s0, 0x7f800000, v7
	s_delay_alu instid0(VALU_DEP_1) | instskip(NEXT) | instid1(SALU_CYCLE_1)
	s_and_saveexec_b32 s12, s0
	s_xor_b32 s0, exec_lo, s12
; %bb.942:                              ;   in Loop: Header=BB405_616 Depth=1
	v_bfe_u32 v7, v6, 16, 1
	s_delay_alu instid0(VALU_DEP_1)
	v_add3_u32 v118, v6, v7, 0x7fff
                                        ; implicit-def: $vgpr6
; %bb.943:                              ;   in Loop: Header=BB405_616 Depth=1
	s_and_not1_saveexec_b32 s12, s0
; %bb.944:                              ;   in Loop: Header=BB405_616 Depth=1
	v_and_b32_e32 v7, 0xffff, v6
	v_or_b32_e32 v9, 0x10000, v6
	s_delay_alu instid0(VALU_DEP_2) | instskip(NEXT) | instid1(VALU_DEP_1)
	v_cmp_eq_u32_e64 s0, 0, v7
	v_cndmask_b32_e64 v118, v9, v6, s0
; %bb.945:                              ;   in Loop: Header=BB405_616 Depth=1
	s_or_b32 exec_lo, exec_lo, s12
	v_mov_b32_e32 v7, 0
	s_mov_b32 s12, exec_lo
	v_cmpx_lt_u32_e32 0xffffff, v2
	s_cbranch_execz .LBB405_953
; %bb.946:                              ;   in Loop: Header=BB405_616 Depth=1
	v_lshrrev_b32_e32 v6, 24, v2
	v_bfrev_b32_e32 v7, 1
	s_mov_b32 s13, exec_lo
	s_delay_alu instid0(VALU_DEP_2)
	v_cmpx_ne_u32_e32 0x80, v6
	s_cbranch_execz .LBB405_952
; %bb.947:                              ;   in Loop: Header=BB405_616 Depth=1
	v_bfe_u32 v119, v2, 24, 7
	v_mov_b32_e32 v7, 0x7f800001
	s_mov_b32 s15, exec_lo
	s_delay_alu instid0(VALU_DEP_2)
	v_cmpx_ne_u32_e32 0x7f, v119
	s_cbranch_execz .LBB405_951
; %bb.948:                              ;   in Loop: Header=BB405_616 Depth=1
	v_and_b32_e32 v9, 7, v6
	v_lshrrev_b32_e32 v7, 3, v119
	s_mov_b32 s17, exec_lo
	v_cmpx_gt_u32_e32 8, v119
; %bb.949:                              ;   in Loop: Header=BB405_616 Depth=1
	s_delay_alu instid0(VALU_DEP_3) | instskip(NEXT) | instid1(VALU_DEP_1)
	v_clz_i32_u32_e32 v7, v9
	v_min_u32_e32 v7, 32, v7
	s_delay_alu instid0(VALU_DEP_1) | instskip(SKIP_1) | instid1(VALU_DEP_2)
	v_subrev_nc_u32_e32 v119, 28, v7
	v_sub_nc_u32_e32 v7, 29, v7
	v_lshlrev_b64 v[128:129], v119, v[9:10]
	s_delay_alu instid0(VALU_DEP_1)
	v_and_b32_e32 v9, 7, v128
; %bb.950:                              ;   in Loop: Header=BB405_616 Depth=1
	s_or_b32 exec_lo, exec_lo, s17
	v_lshlrev_b32_e32 v6, 24, v6
	s_delay_alu instid0(VALU_DEP_2) | instskip(SKIP_1) | instid1(VALU_DEP_3)
	v_lshlrev_b32_e32 v9, 20, v9
	v_lshl_add_u32 v7, v7, 23, 0x3c000000
	v_and_b32_e32 v6, 0x80000000, v6
	s_delay_alu instid0(VALU_DEP_1)
	v_or3_b32 v7, v9, v6, v7
.LBB405_951:                            ;   in Loop: Header=BB405_616 Depth=1
	s_or_b32 exec_lo, exec_lo, s15
.LBB405_952:                            ;   in Loop: Header=BB405_616 Depth=1
	s_delay_alu instid0(SALU_CYCLE_1)
	s_or_b32 exec_lo, exec_lo, s13
.LBB405_953:                            ;   in Loop: Header=BB405_616 Depth=1
	s_delay_alu instid0(SALU_CYCLE_1) | instskip(NEXT) | instid1(VALU_DEP_1)
	s_or_b32 exec_lo, exec_lo, s12
	v_mul_f32_e32 v6, v8, v7
                                        ; implicit-def: $vgpr119
	s_delay_alu instid0(VALU_DEP_1) | instskip(NEXT) | instid1(VALU_DEP_1)
	v_and_b32_e32 v7, 0x7f800000, v6
	v_cmp_ne_u32_e64 s0, 0x7f800000, v7
	s_delay_alu instid0(VALU_DEP_1) | instskip(NEXT) | instid1(SALU_CYCLE_1)
	s_and_saveexec_b32 s12, s0
	s_xor_b32 s0, exec_lo, s12
; %bb.954:                              ;   in Loop: Header=BB405_616 Depth=1
	v_bfe_u32 v7, v6, 16, 1
	s_delay_alu instid0(VALU_DEP_1)
	v_add3_u32 v119, v6, v7, 0x7fff
                                        ; implicit-def: $vgpr6
; %bb.955:                              ;   in Loop: Header=BB405_616 Depth=1
	s_and_not1_saveexec_b32 s12, s0
; %bb.956:                              ;   in Loop: Header=BB405_616 Depth=1
	v_and_b32_e32 v7, 0xffff, v6
	v_or_b32_e32 v9, 0x10000, v6
	s_delay_alu instid0(VALU_DEP_2) | instskip(NEXT) | instid1(VALU_DEP_1)
	v_cmp_eq_u32_e64 s0, 0, v7
	v_cndmask_b32_e64 v119, v9, v6, s0
; %bb.957:                              ;   in Loop: Header=BB405_616 Depth=1
	s_or_b32 exec_lo, exec_lo, s12
	v_dual_mov_b32 v6, 0 :: v_dual_and_b32 v7, 0xff, v3
	v_mov_b32_e32 v9, v3
	s_mov_b32 s12, exec_lo
	s_delay_alu instid0(VALU_DEP_2)
	v_cmpx_ne_u16_e32 0, v7
	s_cbranch_execz .LBB405_965
; %bb.958:                              ;   in Loop: Header=BB405_616 Depth=1
	v_bfrev_b32_e32 v6, 1
	s_mov_b32 s13, exec_lo
	v_cmpx_ne_u16_e32 0x80, v7
	s_cbranch_execz .LBB405_964
; %bb.959:                              ;   in Loop: Header=BB405_616 Depth=1
	v_and_b32_e32 v7, 0x7f, v3
	v_mov_b32_e32 v6, 0x7f800001
	s_mov_b32 s15, exec_lo
	s_delay_alu instid0(VALU_DEP_2)
	v_cmpx_ne_u32_e32 0x7f, v7
	s_cbranch_execz .LBB405_963
; %bb.960:                              ;   in Loop: Header=BB405_616 Depth=1
	v_lshrrev_b32_e32 v128, 3, v7
	v_cmp_gt_u32_e64 s0, 8, v7
	v_dual_mov_b32 v6, v9 :: v_dual_mov_b32 v7, v10
	s_delay_alu instid0(VALU_DEP_2)
	s_and_saveexec_b32 s17, s0
; %bb.961:                              ;   in Loop: Header=BB405_616 Depth=1
	v_and_b32_e32 v6, 7, v3
	s_delay_alu instid0(VALU_DEP_1) | instskip(NEXT) | instid1(VALU_DEP_1)
	v_clz_i32_u32_e32 v6, v6
	v_min_u32_e32 v128, 32, v6
	s_delay_alu instid0(VALU_DEP_1) | instskip(SKIP_1) | instid1(VALU_DEP_2)
	v_subrev_nc_u32_e32 v6, 28, v128
	v_sub_nc_u32_e32 v128, 29, v128
	v_lshlrev_b64 v[6:7], v6, v[9:10]
; %bb.962:                              ;   in Loop: Header=BB405_616 Depth=1
	s_or_b32 exec_lo, exec_lo, s17
	s_delay_alu instid0(VALU_DEP_1) | instskip(SKIP_2) | instid1(VALU_DEP_3)
	v_lshlrev_b32_e32 v6, 20, v6
	v_lshlrev_b32_e32 v7, 24, v9
	v_lshl_add_u32 v128, v128, 23, 0x3c000000
	v_and_b32_e32 v6, 0x700000, v6
	s_delay_alu instid0(VALU_DEP_3) | instskip(NEXT) | instid1(VALU_DEP_1)
	v_and_b32_e32 v7, 0x80000000, v7
	v_or3_b32 v6, v6, v7, v128
.LBB405_963:                            ;   in Loop: Header=BB405_616 Depth=1
	s_or_b32 exec_lo, exec_lo, s15
.LBB405_964:                            ;   in Loop: Header=BB405_616 Depth=1
	s_delay_alu instid0(SALU_CYCLE_1)
	s_or_b32 exec_lo, exec_lo, s13
.LBB405_965:                            ;   in Loop: Header=BB405_616 Depth=1
	s_delay_alu instid0(SALU_CYCLE_1) | instskip(NEXT) | instid1(VALU_DEP_1)
	s_or_b32 exec_lo, exec_lo, s12
	v_mul_f32_e32 v6, v8, v6
                                        ; implicit-def: $vgpr128
	s_delay_alu instid0(VALU_DEP_1) | instskip(NEXT) | instid1(VALU_DEP_1)
	v_and_b32_e32 v7, 0x7f800000, v6
	v_cmp_ne_u32_e64 s0, 0x7f800000, v7
	s_delay_alu instid0(VALU_DEP_1) | instskip(NEXT) | instid1(SALU_CYCLE_1)
	s_and_saveexec_b32 s12, s0
	s_xor_b32 s0, exec_lo, s12
; %bb.966:                              ;   in Loop: Header=BB405_616 Depth=1
	v_bfe_u32 v7, v6, 16, 1
	s_delay_alu instid0(VALU_DEP_1)
	v_add3_u32 v128, v6, v7, 0x7fff
                                        ; implicit-def: $vgpr6
; %bb.967:                              ;   in Loop: Header=BB405_616 Depth=1
	s_and_not1_saveexec_b32 s12, s0
; %bb.968:                              ;   in Loop: Header=BB405_616 Depth=1
	v_and_b32_e32 v7, 0xffff, v6
	v_or_b32_e32 v128, 0x10000, v6
	s_delay_alu instid0(VALU_DEP_2) | instskip(NEXT) | instid1(VALU_DEP_1)
	v_cmp_eq_u32_e64 s0, 0, v7
	v_cndmask_b32_e64 v128, v128, v6, s0
; %bb.969:                              ;   in Loop: Header=BB405_616 Depth=1
	s_or_b32 exec_lo, exec_lo, s12
	v_lshrrev_b16 v7, 8, v9
	v_mov_b32_e32 v6, 0
	s_mov_b32 s12, exec_lo
	s_delay_alu instid0(VALU_DEP_2)
	v_cmpx_ne_u16_e32 0, v7
	s_cbranch_execz .LBB405_977
; %bb.970:                              ;   in Loop: Header=BB405_616 Depth=1
	v_bfrev_b32_e32 v6, 1
	s_mov_b32 s13, exec_lo
	v_cmpx_ne_u16_e32 0x80, v7
	s_cbranch_execz .LBB405_976
; %bb.971:                              ;   in Loop: Header=BB405_616 Depth=1
	v_and_b32_e32 v7, 0xffff, v7
	v_mov_b32_e32 v6, 0x7f800001
	s_mov_b32 s15, exec_lo
	s_delay_alu instid0(VALU_DEP_2) | instskip(NEXT) | instid1(VALU_DEP_1)
	v_and_b32_e32 v130, 0x7f, v7
	v_cmpx_ne_u32_e32 0x7f, v130
	s_cbranch_execz .LBB405_975
; %bb.972:                              ;   in Loop: Header=BB405_616 Depth=1
	v_dual_mov_b32 v7, v10 :: v_dual_and_b32 v6, 7, v7
	v_lshrrev_b32_e32 v129, 3, v130
	s_mov_b32 s17, exec_lo
	v_cmpx_gt_u32_e32 8, v130
; %bb.973:                              ;   in Loop: Header=BB405_616 Depth=1
	s_delay_alu instid0(VALU_DEP_3) | instskip(NEXT) | instid1(VALU_DEP_1)
	v_clz_i32_u32_e32 v129, v6
	v_min_u32_e32 v129, 32, v129
	s_delay_alu instid0(VALU_DEP_1) | instskip(SKIP_1) | instid1(VALU_DEP_2)
	v_subrev_nc_u32_e32 v130, 28, v129
	v_sub_nc_u32_e32 v129, 29, v129
	v_lshlrev_b64 v[6:7], v130, v[6:7]
	s_delay_alu instid0(VALU_DEP_1)
	v_and_b32_e32 v6, 7, v6
; %bb.974:                              ;   in Loop: Header=BB405_616 Depth=1
	s_or_b32 exec_lo, exec_lo, s17
	v_lshlrev_b32_e32 v7, 16, v9
	s_delay_alu instid0(VALU_DEP_2) | instskip(SKIP_1) | instid1(VALU_DEP_3)
	v_lshlrev_b32_e32 v6, 20, v6
	v_lshl_add_u32 v9, v129, 23, 0x3c000000
	v_and_b32_e32 v7, 0x80000000, v7
	s_delay_alu instid0(VALU_DEP_1)
	v_or3_b32 v6, v6, v7, v9
.LBB405_975:                            ;   in Loop: Header=BB405_616 Depth=1
	s_or_b32 exec_lo, exec_lo, s15
.LBB405_976:                            ;   in Loop: Header=BB405_616 Depth=1
	s_delay_alu instid0(SALU_CYCLE_1)
	s_or_b32 exec_lo, exec_lo, s13
.LBB405_977:                            ;   in Loop: Header=BB405_616 Depth=1
	s_delay_alu instid0(SALU_CYCLE_1) | instskip(NEXT) | instid1(VALU_DEP_1)
	s_or_b32 exec_lo, exec_lo, s12
	v_mul_f32_e32 v7, v8, v6
	s_delay_alu instid0(VALU_DEP_1) | instskip(NEXT) | instid1(VALU_DEP_1)
	v_and_b32_e32 v6, 0x7f800000, v7
	v_cmp_ne_u32_e64 s0, 0x7f800000, v6
                                        ; implicit-def: $vgpr6
	s_delay_alu instid0(VALU_DEP_1) | instskip(NEXT) | instid1(SALU_CYCLE_1)
	s_and_saveexec_b32 s12, s0
	s_xor_b32 s0, exec_lo, s12
; %bb.978:                              ;   in Loop: Header=BB405_616 Depth=1
	v_bfe_u32 v6, v7, 16, 1
	s_delay_alu instid0(VALU_DEP_1)
	v_add3_u32 v6, v7, v6, 0x7fff
                                        ; implicit-def: $vgpr7
; %bb.979:                              ;   in Loop: Header=BB405_616 Depth=1
	s_and_not1_saveexec_b32 s12, s0
; %bb.980:                              ;   in Loop: Header=BB405_616 Depth=1
	v_and_b32_e32 v6, 0xffff, v7
	v_or_b32_e32 v9, 0x10000, v7
	s_delay_alu instid0(VALU_DEP_2) | instskip(NEXT) | instid1(VALU_DEP_1)
	v_cmp_eq_u32_e64 s0, 0, v6
	v_cndmask_b32_e64 v6, v9, v7, s0
; %bb.981:                              ;   in Loop: Header=BB405_616 Depth=1
	s_or_b32 exec_lo, exec_lo, s12
	v_lshrrev_b32_e32 v7, 16, v3
	v_mov_b32_e32 v9, 0
	s_mov_b32 s12, exec_lo
	s_delay_alu instid0(VALU_DEP_2) | instskip(NEXT) | instid1(VALU_DEP_1)
	v_and_b32_e32 v129, 0xff, v7
	v_cmpx_ne_u16_e64 0, v129
	s_cbranch_execz .LBB405_989
; %bb.982:                              ;   in Loop: Header=BB405_616 Depth=1
	v_bfrev_b32_e32 v9, 1
	s_mov_b32 s13, exec_lo
	v_cmpx_ne_u16_e64 0x80, v129
	s_cbranch_execz .LBB405_988
; %bb.983:                              ;   in Loop: Header=BB405_616 Depth=1
	v_bfe_u32 v130, v3, 16, 7
	v_mov_b32_e32 v9, 0x7f800001
	s_mov_b32 s15, exec_lo
	s_delay_alu instid0(VALU_DEP_2)
	v_cmpx_ne_u32_e32 0x7f, v130
	s_cbranch_execz .LBB405_987
; %bb.984:                              ;   in Loop: Header=BB405_616 Depth=1
	v_and_b32_e32 v9, 7, v7
	v_lshrrev_b32_e32 v129, 3, v130
	s_mov_b32 s17, exec_lo
	v_cmpx_gt_u32_e32 8, v130
; %bb.985:                              ;   in Loop: Header=BB405_616 Depth=1
	s_delay_alu instid0(VALU_DEP_3) | instskip(NEXT) | instid1(VALU_DEP_1)
	v_clz_i32_u32_e32 v129, v9
	v_min_u32_e32 v129, 32, v129
	s_delay_alu instid0(VALU_DEP_1) | instskip(SKIP_1) | instid1(VALU_DEP_2)
	v_subrev_nc_u32_e32 v130, 28, v129
	v_sub_nc_u32_e32 v129, 29, v129
	v_lshlrev_b64 v[130:131], v130, v[9:10]
	s_delay_alu instid0(VALU_DEP_1)
	v_and_b32_e32 v9, 7, v130
; %bb.986:                              ;   in Loop: Header=BB405_616 Depth=1
	s_or_b32 exec_lo, exec_lo, s17
	v_lshlrev_b32_e32 v7, 24, v7
	s_delay_alu instid0(VALU_DEP_2) | instskip(SKIP_1) | instid1(VALU_DEP_3)
	v_lshlrev_b32_e32 v9, 20, v9
	v_lshl_add_u32 v129, v129, 23, 0x3c000000
	v_and_b32_e32 v7, 0x80000000, v7
	s_delay_alu instid0(VALU_DEP_1)
	v_or3_b32 v9, v9, v7, v129
.LBB405_987:                            ;   in Loop: Header=BB405_616 Depth=1
	s_or_b32 exec_lo, exec_lo, s15
.LBB405_988:                            ;   in Loop: Header=BB405_616 Depth=1
	s_delay_alu instid0(SALU_CYCLE_1)
	s_or_b32 exec_lo, exec_lo, s13
.LBB405_989:                            ;   in Loop: Header=BB405_616 Depth=1
	s_delay_alu instid0(SALU_CYCLE_1) | instskip(NEXT) | instid1(VALU_DEP_1)
	s_or_b32 exec_lo, exec_lo, s12
	v_mul_f32_e32 v7, v8, v9
                                        ; implicit-def: $vgpr129
	s_delay_alu instid0(VALU_DEP_1) | instskip(NEXT) | instid1(VALU_DEP_1)
	v_and_b32_e32 v9, 0x7f800000, v7
	v_cmp_ne_u32_e64 s0, 0x7f800000, v9
	s_delay_alu instid0(VALU_DEP_1) | instskip(NEXT) | instid1(SALU_CYCLE_1)
	s_and_saveexec_b32 s12, s0
	s_xor_b32 s0, exec_lo, s12
; %bb.990:                              ;   in Loop: Header=BB405_616 Depth=1
	v_bfe_u32 v9, v7, 16, 1
	s_delay_alu instid0(VALU_DEP_1)
	v_add3_u32 v129, v7, v9, 0x7fff
                                        ; implicit-def: $vgpr7
; %bb.991:                              ;   in Loop: Header=BB405_616 Depth=1
	s_and_not1_saveexec_b32 s12, s0
; %bb.992:                              ;   in Loop: Header=BB405_616 Depth=1
	v_and_b32_e32 v9, 0xffff, v7
	v_or_b32_e32 v129, 0x10000, v7
	s_delay_alu instid0(VALU_DEP_2) | instskip(NEXT) | instid1(VALU_DEP_1)
	v_cmp_eq_u32_e64 s0, 0, v9
	v_cndmask_b32_e64 v129, v129, v7, s0
; %bb.993:                              ;   in Loop: Header=BB405_616 Depth=1
	s_or_b32 exec_lo, exec_lo, s12
	v_mov_b32_e32 v7, 0
	s_mov_b32 s12, exec_lo
	v_cmpx_lt_u64_e64 s[8:9], v[2:3]
	s_cbranch_execz .LBB405_1001
; %bb.994:                              ;   in Loop: Header=BB405_616 Depth=1
	v_lshrrev_b32_e32 v2, 24, v3
	v_bfrev_b32_e32 v7, 1
	s_mov_b32 s13, exec_lo
	s_delay_alu instid0(VALU_DEP_2)
	v_cmpx_ne_u32_e32 0x80, v2
	s_cbranch_execz .LBB405_1000
; %bb.995:                              ;   in Loop: Header=BB405_616 Depth=1
	v_bfe_u32 v130, v3, 24, 7
	v_mov_b32_e32 v7, 0x7f800001
	s_mov_b32 s15, exec_lo
	s_delay_alu instid0(VALU_DEP_2)
	v_cmpx_ne_u32_e32 0x7f, v130
	s_cbranch_execz .LBB405_999
; %bb.996:                              ;   in Loop: Header=BB405_616 Depth=1
	v_and_b32_e32 v9, 7, v2
	v_lshrrev_b32_e32 v3, 3, v130
	s_mov_b32 s17, exec_lo
	v_cmpx_gt_u32_e32 8, v130
; %bb.997:                              ;   in Loop: Header=BB405_616 Depth=1
	s_delay_alu instid0(VALU_DEP_3) | instskip(NEXT) | instid1(VALU_DEP_1)
	v_clz_i32_u32_e32 v3, v9
	v_min_u32_e32 v3, 32, v3
	s_delay_alu instid0(VALU_DEP_1) | instskip(SKIP_1) | instid1(VALU_DEP_2)
	v_subrev_nc_u32_e32 v7, 28, v3
	v_sub_nc_u32_e32 v3, 29, v3
	v_lshlrev_b64 v[130:131], v7, v[9:10]
	s_delay_alu instid0(VALU_DEP_1)
	v_and_b32_e32 v9, 7, v130
; %bb.998:                              ;   in Loop: Header=BB405_616 Depth=1
	s_or_b32 exec_lo, exec_lo, s17
	v_lshlrev_b32_e32 v2, 24, v2
	s_delay_alu instid0(VALU_DEP_2) | instskip(SKIP_1) | instid1(VALU_DEP_3)
	v_lshlrev_b32_e32 v7, 20, v9
	v_lshl_add_u32 v3, v3, 23, 0x3c000000
	v_and_b32_e32 v2, 0x80000000, v2
	s_delay_alu instid0(VALU_DEP_1)
	v_or3_b32 v7, v7, v2, v3
.LBB405_999:                            ;   in Loop: Header=BB405_616 Depth=1
	s_or_b32 exec_lo, exec_lo, s15
.LBB405_1000:                           ;   in Loop: Header=BB405_616 Depth=1
	s_delay_alu instid0(SALU_CYCLE_1)
	s_or_b32 exec_lo, exec_lo, s13
.LBB405_1001:                           ;   in Loop: Header=BB405_616 Depth=1
	s_delay_alu instid0(SALU_CYCLE_1) | instskip(NEXT) | instid1(VALU_DEP_1)
	s_or_b32 exec_lo, exec_lo, s12
	v_mul_f32_e32 v3, v8, v7
	s_delay_alu instid0(VALU_DEP_1) | instskip(NEXT) | instid1(VALU_DEP_1)
	v_and_b32_e32 v2, 0x7f800000, v3
	v_cmp_ne_u32_e64 s0, 0x7f800000, v2
                                        ; implicit-def: $vgpr2
	s_delay_alu instid0(VALU_DEP_1) | instskip(NEXT) | instid1(SALU_CYCLE_1)
	s_and_saveexec_b32 s12, s0
	s_xor_b32 s0, exec_lo, s12
; %bb.1002:                             ;   in Loop: Header=BB405_616 Depth=1
	v_bfe_u32 v2, v3, 16, 1
	s_delay_alu instid0(VALU_DEP_1)
	v_add3_u32 v2, v3, v2, 0x7fff
                                        ; implicit-def: $vgpr3
; %bb.1003:                             ;   in Loop: Header=BB405_616 Depth=1
	s_and_not1_saveexec_b32 s12, s0
; %bb.1004:                             ;   in Loop: Header=BB405_616 Depth=1
	v_and_b32_e32 v2, 0xffff, v3
	v_or_b32_e32 v7, 0x10000, v3
	s_delay_alu instid0(VALU_DEP_2) | instskip(NEXT) | instid1(VALU_DEP_1)
	v_cmp_eq_u32_e64 s0, 0, v2
	v_cndmask_b32_e64 v2, v7, v3, s0
; %bb.1005:                             ;   in Loop: Header=BB405_616 Depth=1
	s_or_b32 exec_lo, exec_lo, s12
	v_lshrrev_b32_e32 v6, 16, v6
	v_lshrrev_b32_e32 v7, 16, v128
	;; [unrolled: 1-line block ×8, first 2 shown]
	s_and_saveexec_b32 s12, vcc_lo
	s_cbranch_execz .LBB405_1007
; %bb.1006:                             ;   in Loop: Header=BB405_616 Depth=1
	v_cmp_lt_i32_e64 s0, v51, v83
	s_delay_alu instid0(VALU_DEP_1) | instskip(SKIP_1) | instid1(VALU_DEP_1)
	v_cndmask_b32_e64 v116, 0, v116, s0
	v_cmp_lt_i32_e64 s0, v67, v83
	v_cndmask_b32_e64 v117, 0, v117, s0
	v_cmp_lt_i32_e64 s0, v66, v83
	s_delay_alu instid0(VALU_DEP_1) | instskip(SKIP_1) | instid1(VALU_DEP_1)
	v_cndmask_b32_e64 v118, 0, v118, s0
	v_cmp_lt_i32_e64 s0, v65, v83
	v_cndmask_b32_e64 v9, 0, v9, s0
	;; [unrolled: 5-line block ×4, first 2 shown]
.LBB405_1007:                           ;   in Loop: Header=BB405_616 Depth=1
	s_or_b32 exec_lo, exec_lo, s12
	v_lshlrev_b32_e32 v116, 16, v116
	s_delay_alu instid0(VALU_DEP_1) | instskip(NEXT) | instid1(VALU_DEP_1)
	v_mul_f32_e32 v119, v68, v116
	v_and_b32_e32 v116, 0x7f800000, v119
	s_delay_alu instid0(VALU_DEP_1) | instskip(NEXT) | instid1(VALU_DEP_1)
	v_cmp_ne_u32_e64 s0, 0x7f800000, v116
                                        ; implicit-def: $vgpr116
	s_and_saveexec_b32 s12, s0
	s_delay_alu instid0(SALU_CYCLE_1)
	s_xor_b32 s0, exec_lo, s12
; %bb.1008:                             ;   in Loop: Header=BB405_616 Depth=1
	v_bfe_u32 v116, v119, 16, 1
	s_delay_alu instid0(VALU_DEP_1)
	v_add3_u32 v116, v119, v116, 0x7fff
                                        ; implicit-def: $vgpr119
; %bb.1009:                             ;   in Loop: Header=BB405_616 Depth=1
	s_and_not1_saveexec_b32 s12, s0
; %bb.1010:                             ;   in Loop: Header=BB405_616 Depth=1
	v_and_b32_e32 v116, 0xffff, v119
	v_or_b32_e32 v128, 0x10000, v119
	s_delay_alu instid0(VALU_DEP_2) | instskip(NEXT) | instid1(VALU_DEP_1)
	v_cmp_eq_u32_e64 s0, 0, v116
	v_cndmask_b32_e64 v116, v128, v119, s0
; %bb.1011:                             ;   in Loop: Header=BB405_616 Depth=1
	s_or_b32 exec_lo, exec_lo, s12
	v_lshlrev_b32_e32 v117, 16, v117
	s_delay_alu instid0(VALU_DEP_1) | instskip(NEXT) | instid1(VALU_DEP_1)
	v_mul_f32_e32 v119, v69, v117
	v_and_b32_e32 v117, 0x7f800000, v119
	s_delay_alu instid0(VALU_DEP_1) | instskip(NEXT) | instid1(VALU_DEP_1)
	v_cmp_ne_u32_e64 s0, 0x7f800000, v117
                                        ; implicit-def: $vgpr117
	s_and_saveexec_b32 s12, s0
	s_delay_alu instid0(SALU_CYCLE_1)
	s_xor_b32 s0, exec_lo, s12
; %bb.1012:                             ;   in Loop: Header=BB405_616 Depth=1
	v_bfe_u32 v117, v119, 16, 1
	s_delay_alu instid0(VALU_DEP_1)
	v_add3_u32 v117, v119, v117, 0x7fff
                                        ; implicit-def: $vgpr119
; %bb.1013:                             ;   in Loop: Header=BB405_616 Depth=1
	s_and_not1_saveexec_b32 s12, s0
; %bb.1014:                             ;   in Loop: Header=BB405_616 Depth=1
	v_and_b32_e32 v117, 0xffff, v119
	v_or_b32_e32 v128, 0x10000, v119
	s_delay_alu instid0(VALU_DEP_2) | instskip(NEXT) | instid1(VALU_DEP_1)
	v_cmp_eq_u32_e64 s0, 0, v117
	v_cndmask_b32_e64 v117, v128, v119, s0
; %bb.1015:                             ;   in Loop: Header=BB405_616 Depth=1
	s_or_b32 exec_lo, exec_lo, s12
	v_lshlrev_b32_e32 v118, 16, v118
	s_delay_alu instid0(VALU_DEP_1) | instskip(NEXT) | instid1(VALU_DEP_1)
	v_mul_f32_e32 v119, v70, v118
	v_and_b32_e32 v118, 0x7f800000, v119
	s_delay_alu instid0(VALU_DEP_1) | instskip(NEXT) | instid1(VALU_DEP_1)
	v_cmp_ne_u32_e64 s0, 0x7f800000, v118
                                        ; implicit-def: $vgpr118
	s_and_saveexec_b32 s12, s0
	s_delay_alu instid0(SALU_CYCLE_1)
	s_xor_b32 s0, exec_lo, s12
; %bb.1016:                             ;   in Loop: Header=BB405_616 Depth=1
	v_bfe_u32 v118, v119, 16, 1
	s_delay_alu instid0(VALU_DEP_1)
	v_add3_u32 v118, v119, v118, 0x7fff
                                        ; implicit-def: $vgpr119
; %bb.1017:                             ;   in Loop: Header=BB405_616 Depth=1
	s_and_not1_saveexec_b32 s12, s0
; %bb.1018:                             ;   in Loop: Header=BB405_616 Depth=1
	v_and_b32_e32 v118, 0xffff, v119
	v_or_b32_e32 v128, 0x10000, v119
	s_delay_alu instid0(VALU_DEP_2) | instskip(NEXT) | instid1(VALU_DEP_1)
	v_cmp_eq_u32_e64 s0, 0, v118
	v_cndmask_b32_e64 v118, v128, v119, s0
; %bb.1019:                             ;   in Loop: Header=BB405_616 Depth=1
	s_or_b32 exec_lo, exec_lo, s12
	v_lshlrev_b32_e32 v9, 16, v9
	s_delay_alu instid0(VALU_DEP_1) | instskip(NEXT) | instid1(VALU_DEP_1)
	v_mul_f32_e32 v9, v71, v9
	v_and_b32_e32 v119, 0x7f800000, v9
	s_delay_alu instid0(VALU_DEP_1) | instskip(NEXT) | instid1(VALU_DEP_1)
	v_cmp_ne_u32_e64 s0, 0x7f800000, v119
                                        ; implicit-def: $vgpr119
	s_and_saveexec_b32 s12, s0
	s_delay_alu instid0(SALU_CYCLE_1)
	s_xor_b32 s0, exec_lo, s12
; %bb.1020:                             ;   in Loop: Header=BB405_616 Depth=1
	v_bfe_u32 v119, v9, 16, 1
	s_delay_alu instid0(VALU_DEP_1)
	v_add3_u32 v119, v9, v119, 0x7fff
                                        ; implicit-def: $vgpr9
; %bb.1021:                             ;   in Loop: Header=BB405_616 Depth=1
	s_and_not1_saveexec_b32 s12, s0
; %bb.1022:                             ;   in Loop: Header=BB405_616 Depth=1
	v_and_b32_e32 v119, 0xffff, v9
	v_or_b32_e32 v128, 0x10000, v9
	s_delay_alu instid0(VALU_DEP_2) | instskip(NEXT) | instid1(VALU_DEP_1)
	v_cmp_eq_u32_e64 s0, 0, v119
	v_cndmask_b32_e64 v119, v128, v9, s0
; %bb.1023:                             ;   in Loop: Header=BB405_616 Depth=1
	s_or_b32 exec_lo, exec_lo, s12
	v_lshlrev_b32_e32 v7, 16, v7
                                        ; implicit-def: $vgpr128
	s_delay_alu instid0(VALU_DEP_1) | instskip(NEXT) | instid1(VALU_DEP_1)
	v_mul_f32_e32 v7, v80, v7
	v_and_b32_e32 v9, 0x7f800000, v7
	s_delay_alu instid0(VALU_DEP_1) | instskip(NEXT) | instid1(VALU_DEP_1)
	v_cmp_ne_u32_e64 s0, 0x7f800000, v9
	s_and_saveexec_b32 s12, s0
	s_delay_alu instid0(SALU_CYCLE_1)
	s_xor_b32 s0, exec_lo, s12
; %bb.1024:                             ;   in Loop: Header=BB405_616 Depth=1
	v_bfe_u32 v9, v7, 16, 1
	s_delay_alu instid0(VALU_DEP_1)
	v_add3_u32 v128, v7, v9, 0x7fff
                                        ; implicit-def: $vgpr7
; %bb.1025:                             ;   in Loop: Header=BB405_616 Depth=1
	s_and_not1_saveexec_b32 s12, s0
; %bb.1026:                             ;   in Loop: Header=BB405_616 Depth=1
	v_and_b32_e32 v9, 0xffff, v7
	v_or_b32_e32 v128, 0x10000, v7
	s_delay_alu instid0(VALU_DEP_2) | instskip(NEXT) | instid1(VALU_DEP_1)
	v_cmp_eq_u32_e64 s0, 0, v9
	v_cndmask_b32_e64 v128, v128, v7, s0
; %bb.1027:                             ;   in Loop: Header=BB405_616 Depth=1
	s_or_b32 exec_lo, exec_lo, s12
	v_lshlrev_b32_e32 v6, 16, v6
                                        ; implicit-def: $vgpr129
	s_delay_alu instid0(VALU_DEP_1) | instskip(NEXT) | instid1(VALU_DEP_1)
	v_mul_f32_e32 v6, v81, v6
	v_and_b32_e32 v7, 0x7f800000, v6
	s_delay_alu instid0(VALU_DEP_1) | instskip(NEXT) | instid1(VALU_DEP_1)
	v_cmp_ne_u32_e64 s0, 0x7f800000, v7
	s_and_saveexec_b32 s12, s0
	s_delay_alu instid0(SALU_CYCLE_1)
	s_xor_b32 s0, exec_lo, s12
; %bb.1028:                             ;   in Loop: Header=BB405_616 Depth=1
	v_bfe_u32 v7, v6, 16, 1
	s_delay_alu instid0(VALU_DEP_1)
	v_add3_u32 v129, v6, v7, 0x7fff
                                        ; implicit-def: $vgpr6
; %bb.1029:                             ;   in Loop: Header=BB405_616 Depth=1
	s_and_not1_saveexec_b32 s12, s0
; %bb.1030:                             ;   in Loop: Header=BB405_616 Depth=1
	v_and_b32_e32 v7, 0xffff, v6
	v_or_b32_e32 v9, 0x10000, v6
	s_delay_alu instid0(VALU_DEP_2) | instskip(NEXT) | instid1(VALU_DEP_1)
	v_cmp_eq_u32_e64 s0, 0, v7
	v_cndmask_b32_e64 v129, v9, v6, s0
; %bb.1031:                             ;   in Loop: Header=BB405_616 Depth=1
	s_or_b32 exec_lo, exec_lo, s12
	v_lshlrev_b32_e32 v3, 16, v3
                                        ; implicit-def: $vgpr130
	s_delay_alu instid0(VALU_DEP_1) | instskip(NEXT) | instid1(VALU_DEP_1)
	v_mul_f32_e32 v3, v98, v3
	v_and_b32_e32 v6, 0x7f800000, v3
	s_delay_alu instid0(VALU_DEP_1) | instskip(NEXT) | instid1(VALU_DEP_1)
	v_cmp_ne_u32_e64 s0, 0x7f800000, v6
	s_and_saveexec_b32 s12, s0
	s_delay_alu instid0(SALU_CYCLE_1)
	s_xor_b32 s0, exec_lo, s12
; %bb.1032:                             ;   in Loop: Header=BB405_616 Depth=1
	v_bfe_u32 v6, v3, 16, 1
	s_delay_alu instid0(VALU_DEP_1)
	v_add3_u32 v130, v3, v6, 0x7fff
                                        ; implicit-def: $vgpr3
; %bb.1033:                             ;   in Loop: Header=BB405_616 Depth=1
	s_and_not1_saveexec_b32 s12, s0
; %bb.1034:                             ;   in Loop: Header=BB405_616 Depth=1
	v_and_b32_e32 v6, 0xffff, v3
	v_or_b32_e32 v7, 0x10000, v3
	s_delay_alu instid0(VALU_DEP_2) | instskip(NEXT) | instid1(VALU_DEP_1)
	v_cmp_eq_u32_e64 s0, 0, v6
	v_cndmask_b32_e64 v130, v7, v3, s0
; %bb.1035:                             ;   in Loop: Header=BB405_616 Depth=1
	s_or_b32 exec_lo, exec_lo, s12
	v_lshlrev_b32_e32 v2, 16, v2
                                        ; implicit-def: $vgpr131
	s_delay_alu instid0(VALU_DEP_1) | instskip(NEXT) | instid1(VALU_DEP_1)
	v_mul_f32_e32 v2, v99, v2
	v_and_b32_e32 v3, 0x7f800000, v2
	s_delay_alu instid0(VALU_DEP_1) | instskip(NEXT) | instid1(VALU_DEP_1)
	v_cmp_ne_u32_e64 s0, 0x7f800000, v3
	s_and_saveexec_b32 s12, s0
	s_delay_alu instid0(SALU_CYCLE_1)
	s_xor_b32 s0, exec_lo, s12
; %bb.1036:                             ;   in Loop: Header=BB405_616 Depth=1
	v_bfe_u32 v3, v2, 16, 1
	s_delay_alu instid0(VALU_DEP_1)
	v_add3_u32 v131, v2, v3, 0x7fff
                                        ; implicit-def: $vgpr2
; %bb.1037:                             ;   in Loop: Header=BB405_616 Depth=1
	s_and_not1_saveexec_b32 s12, s0
; %bb.1038:                             ;   in Loop: Header=BB405_616 Depth=1
	v_and_b32_e32 v3, 0xffff, v2
	v_or_b32_e32 v6, 0x10000, v2
	s_delay_alu instid0(VALU_DEP_2) | instskip(NEXT) | instid1(VALU_DEP_1)
	v_cmp_eq_u32_e64 s0, 0, v3
	v_cndmask_b32_e64 v131, v6, v2, s0
; %bb.1039:                             ;   in Loop: Header=BB405_616 Depth=1
	s_or_b32 exec_lo, exec_lo, s12
	flat_load_b64 v[2:3], v[0:1] offset:768
	s_mov_b32 s12, exec_lo
	s_waitcnt vmcnt(0) lgkmcnt(0)
	v_dual_mov_b32 v6, 0 :: v_dual_and_b32 v7, 0xff, v2
	s_delay_alu instid0(VALU_DEP_1)
	v_cmpx_ne_u16_e32 0, v7
	s_cbranch_execz .LBB405_1047
; %bb.1040:                             ;   in Loop: Header=BB405_616 Depth=1
	v_bfrev_b32_e32 v6, 1
	s_mov_b32 s13, exec_lo
	v_cmpx_ne_u16_e32 0x80, v7
	s_cbranch_execz .LBB405_1046
; %bb.1041:                             ;   in Loop: Header=BB405_616 Depth=1
	v_and_b32_e32 v7, 0x7f, v2
	v_mov_b32_e32 v6, 0x7f800001
	s_mov_b32 s15, exec_lo
	s_delay_alu instid0(VALU_DEP_2)
	v_cmpx_ne_u32_e32 0x7f, v7
	s_cbranch_execz .LBB405_1045
; %bb.1042:                             ;   in Loop: Header=BB405_616 Depth=1
	v_lshrrev_b32_e32 v9, 3, v7
	v_cmp_gt_u32_e64 s0, 8, v7
	v_dual_mov_b32 v7, v3 :: v_dual_mov_b32 v6, v2
	s_delay_alu instid0(VALU_DEP_2)
	s_and_saveexec_b32 s17, s0
; %bb.1043:                             ;   in Loop: Header=BB405_616 Depth=1
	v_and_b32_e32 v6, 7, v2
	s_delay_alu instid0(VALU_DEP_1) | instskip(NEXT) | instid1(VALU_DEP_1)
	v_clz_i32_u32_e32 v6, v6
	v_min_u32_e32 v9, 32, v6
	s_delay_alu instid0(VALU_DEP_1) | instskip(SKIP_1) | instid1(VALU_DEP_2)
	v_subrev_nc_u32_e32 v6, 28, v9
	v_sub_nc_u32_e32 v9, 29, v9
	v_lshlrev_b64 v[6:7], v6, v[2:3]
; %bb.1044:                             ;   in Loop: Header=BB405_616 Depth=1
	s_or_b32 exec_lo, exec_lo, s17
	s_delay_alu instid0(VALU_DEP_1) | instskip(SKIP_2) | instid1(VALU_DEP_3)
	v_lshlrev_b32_e32 v6, 20, v6
	v_lshlrev_b32_e32 v7, 24, v2
	v_lshl_add_u32 v9, v9, 23, 0x3c000000
	v_and_b32_e32 v6, 0x700000, v6
	s_delay_alu instid0(VALU_DEP_3) | instskip(NEXT) | instid1(VALU_DEP_1)
	v_and_b32_e32 v7, 0x80000000, v7
	v_or3_b32 v6, v6, v7, v9
.LBB405_1045:                           ;   in Loop: Header=BB405_616 Depth=1
	s_or_b32 exec_lo, exec_lo, s15
.LBB405_1046:                           ;   in Loop: Header=BB405_616 Depth=1
	s_delay_alu instid0(SALU_CYCLE_1)
	s_or_b32 exec_lo, exec_lo, s13
.LBB405_1047:                           ;   in Loop: Header=BB405_616 Depth=1
	s_delay_alu instid0(SALU_CYCLE_1) | instskip(NEXT) | instid1(VALU_DEP_1)
	s_or_b32 exec_lo, exec_lo, s12
	v_mul_f32_e32 v6, v8, v6
                                        ; implicit-def: $vgpr132
	s_delay_alu instid0(VALU_DEP_1) | instskip(NEXT) | instid1(VALU_DEP_1)
	v_and_b32_e32 v7, 0x7f800000, v6
	v_cmp_ne_u32_e64 s0, 0x7f800000, v7
	s_delay_alu instid0(VALU_DEP_1) | instskip(NEXT) | instid1(SALU_CYCLE_1)
	s_and_saveexec_b32 s12, s0
	s_xor_b32 s0, exec_lo, s12
; %bb.1048:                             ;   in Loop: Header=BB405_616 Depth=1
	v_bfe_u32 v7, v6, 16, 1
	s_delay_alu instid0(VALU_DEP_1)
	v_add3_u32 v132, v6, v7, 0x7fff
                                        ; implicit-def: $vgpr6
; %bb.1049:                             ;   in Loop: Header=BB405_616 Depth=1
	s_and_not1_saveexec_b32 s12, s0
; %bb.1050:                             ;   in Loop: Header=BB405_616 Depth=1
	v_and_b32_e32 v7, 0xffff, v6
	v_or_b32_e32 v9, 0x10000, v6
	s_delay_alu instid0(VALU_DEP_2) | instskip(NEXT) | instid1(VALU_DEP_1)
	v_cmp_eq_u32_e64 s0, 0, v7
	v_cndmask_b32_e64 v132, v9, v6, s0
; %bb.1051:                             ;   in Loop: Header=BB405_616 Depth=1
	s_or_b32 exec_lo, exec_lo, s12
	v_lshrrev_b16 v7, 8, v2
	v_mov_b32_e32 v6, 0
	s_mov_b32 s12, exec_lo
	s_delay_alu instid0(VALU_DEP_2)
	v_cmpx_ne_u16_e32 0, v7
	s_cbranch_execz .LBB405_1059
; %bb.1052:                             ;   in Loop: Header=BB405_616 Depth=1
	v_bfrev_b32_e32 v6, 1
	s_mov_b32 s13, exec_lo
	v_cmpx_ne_u16_e32 0x80, v7
	s_cbranch_execz .LBB405_1058
; %bb.1053:                             ;   in Loop: Header=BB405_616 Depth=1
	v_and_b32_e32 v9, 0xffff, v7
	v_mov_b32_e32 v6, 0x7f800001
	s_mov_b32 s15, exec_lo
	s_delay_alu instid0(VALU_DEP_2) | instskip(NEXT) | instid1(VALU_DEP_1)
	v_and_b32_e32 v7, 0x7f, v9
	v_cmpx_ne_u32_e32 0x7f, v7
	s_cbranch_execz .LBB405_1057
; %bb.1054:                             ;   in Loop: Header=BB405_616 Depth=1
	v_and_b32_e32 v9, 7, v9
	v_lshrrev_b32_e32 v6, 3, v7
	s_mov_b32 s17, exec_lo
	v_cmpx_gt_u32_e32 8, v7
; %bb.1055:                             ;   in Loop: Header=BB405_616 Depth=1
	s_delay_alu instid0(VALU_DEP_3) | instskip(NEXT) | instid1(VALU_DEP_1)
	v_clz_i32_u32_e32 v6, v9
	v_min_u32_e32 v6, 32, v6
	s_delay_alu instid0(VALU_DEP_1) | instskip(SKIP_1) | instid1(VALU_DEP_2)
	v_subrev_nc_u32_e32 v7, 28, v6
	v_sub_nc_u32_e32 v6, 29, v6
	v_lshlrev_b64 v[133:134], v7, v[9:10]
	s_delay_alu instid0(VALU_DEP_1)
	v_and_b32_e32 v9, 7, v133
; %bb.1056:                             ;   in Loop: Header=BB405_616 Depth=1
	s_or_b32 exec_lo, exec_lo, s17
	v_lshlrev_b32_e32 v7, 16, v2
	s_delay_alu instid0(VALU_DEP_2) | instskip(SKIP_1) | instid1(VALU_DEP_3)
	v_lshlrev_b32_e32 v9, 20, v9
	v_lshl_add_u32 v6, v6, 23, 0x3c000000
	v_and_b32_e32 v7, 0x80000000, v7
	s_delay_alu instid0(VALU_DEP_1)
	v_or3_b32 v6, v9, v7, v6
.LBB405_1057:                           ;   in Loop: Header=BB405_616 Depth=1
	s_or_b32 exec_lo, exec_lo, s15
.LBB405_1058:                           ;   in Loop: Header=BB405_616 Depth=1
	s_delay_alu instid0(SALU_CYCLE_1)
	s_or_b32 exec_lo, exec_lo, s13
.LBB405_1059:                           ;   in Loop: Header=BB405_616 Depth=1
	s_delay_alu instid0(SALU_CYCLE_1) | instskip(NEXT) | instid1(VALU_DEP_1)
	s_or_b32 exec_lo, exec_lo, s12
	v_mul_f32_e32 v6, v8, v6
                                        ; implicit-def: $vgpr133
	s_delay_alu instid0(VALU_DEP_1) | instskip(NEXT) | instid1(VALU_DEP_1)
	v_and_b32_e32 v7, 0x7f800000, v6
	v_cmp_ne_u32_e64 s0, 0x7f800000, v7
	s_delay_alu instid0(VALU_DEP_1) | instskip(NEXT) | instid1(SALU_CYCLE_1)
	s_and_saveexec_b32 s12, s0
	s_xor_b32 s0, exec_lo, s12
; %bb.1060:                             ;   in Loop: Header=BB405_616 Depth=1
	v_bfe_u32 v7, v6, 16, 1
	s_delay_alu instid0(VALU_DEP_1)
	v_add3_u32 v133, v6, v7, 0x7fff
                                        ; implicit-def: $vgpr6
; %bb.1061:                             ;   in Loop: Header=BB405_616 Depth=1
	s_and_not1_saveexec_b32 s12, s0
; %bb.1062:                             ;   in Loop: Header=BB405_616 Depth=1
	v_and_b32_e32 v7, 0xffff, v6
	v_or_b32_e32 v9, 0x10000, v6
	s_delay_alu instid0(VALU_DEP_2) | instskip(NEXT) | instid1(VALU_DEP_1)
	v_cmp_eq_u32_e64 s0, 0, v7
	v_cndmask_b32_e64 v133, v9, v6, s0
; %bb.1063:                             ;   in Loop: Header=BB405_616 Depth=1
	s_or_b32 exec_lo, exec_lo, s12
	v_lshrrev_b32_e32 v6, 16, v2
	v_mov_b32_e32 v7, 0
	s_mov_b32 s12, exec_lo
	s_delay_alu instid0(VALU_DEP_2) | instskip(NEXT) | instid1(VALU_DEP_1)
	v_and_b32_e32 v9, 0xff, v6
	v_cmpx_ne_u16_e32 0, v9
	s_cbranch_execz .LBB405_1071
; %bb.1064:                             ;   in Loop: Header=BB405_616 Depth=1
	v_bfrev_b32_e32 v7, 1
	s_mov_b32 s13, exec_lo
	v_cmpx_ne_u16_e32 0x80, v9
	s_cbranch_execz .LBB405_1070
; %bb.1065:                             ;   in Loop: Header=BB405_616 Depth=1
	v_bfe_u32 v134, v2, 16, 7
	v_mov_b32_e32 v7, 0x7f800001
	s_mov_b32 s15, exec_lo
	s_delay_alu instid0(VALU_DEP_2)
	v_cmpx_ne_u32_e32 0x7f, v134
	s_cbranch_execz .LBB405_1069
; %bb.1066:                             ;   in Loop: Header=BB405_616 Depth=1
	v_and_b32_e32 v9, 7, v6
	v_lshrrev_b32_e32 v7, 3, v134
	s_mov_b32 s17, exec_lo
	v_cmpx_gt_u32_e32 8, v134
; %bb.1067:                             ;   in Loop: Header=BB405_616 Depth=1
	s_delay_alu instid0(VALU_DEP_3) | instskip(NEXT) | instid1(VALU_DEP_1)
	v_clz_i32_u32_e32 v7, v9
	v_min_u32_e32 v7, 32, v7
	s_delay_alu instid0(VALU_DEP_1) | instskip(SKIP_1) | instid1(VALU_DEP_2)
	v_subrev_nc_u32_e32 v134, 28, v7
	v_sub_nc_u32_e32 v7, 29, v7
	v_lshlrev_b64 v[134:135], v134, v[9:10]
	s_delay_alu instid0(VALU_DEP_1)
	v_and_b32_e32 v9, 7, v134
; %bb.1068:                             ;   in Loop: Header=BB405_616 Depth=1
	s_or_b32 exec_lo, exec_lo, s17
	v_lshlrev_b32_e32 v6, 24, v6
	s_delay_alu instid0(VALU_DEP_2) | instskip(SKIP_1) | instid1(VALU_DEP_3)
	v_lshlrev_b32_e32 v9, 20, v9
	v_lshl_add_u32 v7, v7, 23, 0x3c000000
	v_and_b32_e32 v6, 0x80000000, v6
	s_delay_alu instid0(VALU_DEP_1)
	v_or3_b32 v7, v9, v6, v7
.LBB405_1069:                           ;   in Loop: Header=BB405_616 Depth=1
	s_or_b32 exec_lo, exec_lo, s15
.LBB405_1070:                           ;   in Loop: Header=BB405_616 Depth=1
	s_delay_alu instid0(SALU_CYCLE_1)
	s_or_b32 exec_lo, exec_lo, s13
.LBB405_1071:                           ;   in Loop: Header=BB405_616 Depth=1
	s_delay_alu instid0(SALU_CYCLE_1) | instskip(NEXT) | instid1(VALU_DEP_1)
	s_or_b32 exec_lo, exec_lo, s12
	v_mul_f32_e32 v6, v8, v7
                                        ; implicit-def: $vgpr134
	s_delay_alu instid0(VALU_DEP_1) | instskip(NEXT) | instid1(VALU_DEP_1)
	v_and_b32_e32 v7, 0x7f800000, v6
	v_cmp_ne_u32_e64 s0, 0x7f800000, v7
	s_delay_alu instid0(VALU_DEP_1) | instskip(NEXT) | instid1(SALU_CYCLE_1)
	s_and_saveexec_b32 s12, s0
	s_xor_b32 s0, exec_lo, s12
; %bb.1072:                             ;   in Loop: Header=BB405_616 Depth=1
	v_bfe_u32 v7, v6, 16, 1
	s_delay_alu instid0(VALU_DEP_1)
	v_add3_u32 v134, v6, v7, 0x7fff
                                        ; implicit-def: $vgpr6
; %bb.1073:                             ;   in Loop: Header=BB405_616 Depth=1
	s_and_not1_saveexec_b32 s12, s0
; %bb.1074:                             ;   in Loop: Header=BB405_616 Depth=1
	v_and_b32_e32 v7, 0xffff, v6
	v_or_b32_e32 v9, 0x10000, v6
	s_delay_alu instid0(VALU_DEP_2) | instskip(NEXT) | instid1(VALU_DEP_1)
	v_cmp_eq_u32_e64 s0, 0, v7
	v_cndmask_b32_e64 v134, v9, v6, s0
; %bb.1075:                             ;   in Loop: Header=BB405_616 Depth=1
	s_or_b32 exec_lo, exec_lo, s12
	v_mov_b32_e32 v7, 0
	s_mov_b32 s12, exec_lo
	v_cmpx_lt_u32_e32 0xffffff, v2
	s_cbranch_execz .LBB405_1083
; %bb.1076:                             ;   in Loop: Header=BB405_616 Depth=1
	v_lshrrev_b32_e32 v6, 24, v2
	v_bfrev_b32_e32 v7, 1
	s_mov_b32 s13, exec_lo
	s_delay_alu instid0(VALU_DEP_2)
	v_cmpx_ne_u32_e32 0x80, v6
	s_cbranch_execz .LBB405_1082
; %bb.1077:                             ;   in Loop: Header=BB405_616 Depth=1
	v_bfe_u32 v135, v2, 24, 7
	v_mov_b32_e32 v7, 0x7f800001
	s_mov_b32 s15, exec_lo
	s_delay_alu instid0(VALU_DEP_2)
	v_cmpx_ne_u32_e32 0x7f, v135
	s_cbranch_execz .LBB405_1081
; %bb.1078:                             ;   in Loop: Header=BB405_616 Depth=1
	v_and_b32_e32 v9, 7, v6
	v_lshrrev_b32_e32 v7, 3, v135
	s_mov_b32 s17, exec_lo
	v_cmpx_gt_u32_e32 8, v135
; %bb.1079:                             ;   in Loop: Header=BB405_616 Depth=1
	s_delay_alu instid0(VALU_DEP_3) | instskip(NEXT) | instid1(VALU_DEP_1)
	v_clz_i32_u32_e32 v7, v9
	v_min_u32_e32 v7, 32, v7
	s_delay_alu instid0(VALU_DEP_1) | instskip(SKIP_1) | instid1(VALU_DEP_2)
	v_subrev_nc_u32_e32 v135, 28, v7
	v_sub_nc_u32_e32 v7, 29, v7
	v_lshlrev_b64 v[144:145], v135, v[9:10]
	s_delay_alu instid0(VALU_DEP_1)
	v_and_b32_e32 v9, 7, v144
; %bb.1080:                             ;   in Loop: Header=BB405_616 Depth=1
	s_or_b32 exec_lo, exec_lo, s17
	v_lshlrev_b32_e32 v6, 24, v6
	s_delay_alu instid0(VALU_DEP_2) | instskip(SKIP_1) | instid1(VALU_DEP_3)
	v_lshlrev_b32_e32 v9, 20, v9
	v_lshl_add_u32 v7, v7, 23, 0x3c000000
	v_and_b32_e32 v6, 0x80000000, v6
	s_delay_alu instid0(VALU_DEP_1)
	v_or3_b32 v7, v9, v6, v7
.LBB405_1081:                           ;   in Loop: Header=BB405_616 Depth=1
	s_or_b32 exec_lo, exec_lo, s15
.LBB405_1082:                           ;   in Loop: Header=BB405_616 Depth=1
	s_delay_alu instid0(SALU_CYCLE_1)
	s_or_b32 exec_lo, exec_lo, s13
.LBB405_1083:                           ;   in Loop: Header=BB405_616 Depth=1
	s_delay_alu instid0(SALU_CYCLE_1) | instskip(NEXT) | instid1(VALU_DEP_1)
	s_or_b32 exec_lo, exec_lo, s12
	v_mul_f32_e32 v6, v8, v7
                                        ; implicit-def: $vgpr135
	s_delay_alu instid0(VALU_DEP_1) | instskip(NEXT) | instid1(VALU_DEP_1)
	v_and_b32_e32 v7, 0x7f800000, v6
	v_cmp_ne_u32_e64 s0, 0x7f800000, v7
	s_delay_alu instid0(VALU_DEP_1) | instskip(NEXT) | instid1(SALU_CYCLE_1)
	s_and_saveexec_b32 s12, s0
	s_xor_b32 s0, exec_lo, s12
; %bb.1084:                             ;   in Loop: Header=BB405_616 Depth=1
	v_bfe_u32 v7, v6, 16, 1
	s_delay_alu instid0(VALU_DEP_1)
	v_add3_u32 v135, v6, v7, 0x7fff
                                        ; implicit-def: $vgpr6
; %bb.1085:                             ;   in Loop: Header=BB405_616 Depth=1
	s_and_not1_saveexec_b32 s12, s0
; %bb.1086:                             ;   in Loop: Header=BB405_616 Depth=1
	v_and_b32_e32 v7, 0xffff, v6
	v_or_b32_e32 v9, 0x10000, v6
	s_delay_alu instid0(VALU_DEP_2) | instskip(NEXT) | instid1(VALU_DEP_1)
	v_cmp_eq_u32_e64 s0, 0, v7
	v_cndmask_b32_e64 v135, v9, v6, s0
; %bb.1087:                             ;   in Loop: Header=BB405_616 Depth=1
	s_or_b32 exec_lo, exec_lo, s12
	v_dual_mov_b32 v6, 0 :: v_dual_and_b32 v7, 0xff, v3
	v_mov_b32_e32 v9, v3
	s_mov_b32 s12, exec_lo
	s_delay_alu instid0(VALU_DEP_2)
	v_cmpx_ne_u16_e32 0, v7
	s_cbranch_execz .LBB405_1095
; %bb.1088:                             ;   in Loop: Header=BB405_616 Depth=1
	v_bfrev_b32_e32 v6, 1
	s_mov_b32 s13, exec_lo
	v_cmpx_ne_u16_e32 0x80, v7
	s_cbranch_execz .LBB405_1094
; %bb.1089:                             ;   in Loop: Header=BB405_616 Depth=1
	v_and_b32_e32 v7, 0x7f, v3
	v_mov_b32_e32 v6, 0x7f800001
	s_mov_b32 s15, exec_lo
	s_delay_alu instid0(VALU_DEP_2)
	v_cmpx_ne_u32_e32 0x7f, v7
	s_cbranch_execz .LBB405_1093
; %bb.1090:                             ;   in Loop: Header=BB405_616 Depth=1
	v_lshrrev_b32_e32 v144, 3, v7
	v_cmp_gt_u32_e64 s0, 8, v7
	v_dual_mov_b32 v6, v9 :: v_dual_mov_b32 v7, v10
	s_delay_alu instid0(VALU_DEP_2)
	s_and_saveexec_b32 s17, s0
; %bb.1091:                             ;   in Loop: Header=BB405_616 Depth=1
	v_and_b32_e32 v6, 7, v3
	s_delay_alu instid0(VALU_DEP_1) | instskip(NEXT) | instid1(VALU_DEP_1)
	v_clz_i32_u32_e32 v6, v6
	v_min_u32_e32 v144, 32, v6
	s_delay_alu instid0(VALU_DEP_1) | instskip(SKIP_1) | instid1(VALU_DEP_2)
	v_subrev_nc_u32_e32 v6, 28, v144
	v_sub_nc_u32_e32 v144, 29, v144
	v_lshlrev_b64 v[6:7], v6, v[9:10]
; %bb.1092:                             ;   in Loop: Header=BB405_616 Depth=1
	s_or_b32 exec_lo, exec_lo, s17
	s_delay_alu instid0(VALU_DEP_1) | instskip(SKIP_2) | instid1(VALU_DEP_3)
	v_lshlrev_b32_e32 v6, 20, v6
	v_lshlrev_b32_e32 v7, 24, v9
	v_lshl_add_u32 v144, v144, 23, 0x3c000000
	v_and_b32_e32 v6, 0x700000, v6
	s_delay_alu instid0(VALU_DEP_3) | instskip(NEXT) | instid1(VALU_DEP_1)
	v_and_b32_e32 v7, 0x80000000, v7
	v_or3_b32 v6, v6, v7, v144
.LBB405_1093:                           ;   in Loop: Header=BB405_616 Depth=1
	s_or_b32 exec_lo, exec_lo, s15
.LBB405_1094:                           ;   in Loop: Header=BB405_616 Depth=1
	s_delay_alu instid0(SALU_CYCLE_1)
	s_or_b32 exec_lo, exec_lo, s13
.LBB405_1095:                           ;   in Loop: Header=BB405_616 Depth=1
	s_delay_alu instid0(SALU_CYCLE_1) | instskip(NEXT) | instid1(VALU_DEP_1)
	s_or_b32 exec_lo, exec_lo, s12
	v_mul_f32_e32 v6, v8, v6
                                        ; implicit-def: $vgpr144
	s_delay_alu instid0(VALU_DEP_1) | instskip(NEXT) | instid1(VALU_DEP_1)
	v_and_b32_e32 v7, 0x7f800000, v6
	v_cmp_ne_u32_e64 s0, 0x7f800000, v7
	s_delay_alu instid0(VALU_DEP_1) | instskip(NEXT) | instid1(SALU_CYCLE_1)
	s_and_saveexec_b32 s12, s0
	s_xor_b32 s0, exec_lo, s12
; %bb.1096:                             ;   in Loop: Header=BB405_616 Depth=1
	v_bfe_u32 v7, v6, 16, 1
	s_delay_alu instid0(VALU_DEP_1)
	v_add3_u32 v144, v6, v7, 0x7fff
                                        ; implicit-def: $vgpr6
; %bb.1097:                             ;   in Loop: Header=BB405_616 Depth=1
	s_and_not1_saveexec_b32 s12, s0
; %bb.1098:                             ;   in Loop: Header=BB405_616 Depth=1
	v_and_b32_e32 v7, 0xffff, v6
	v_or_b32_e32 v144, 0x10000, v6
	s_delay_alu instid0(VALU_DEP_2) | instskip(NEXT) | instid1(VALU_DEP_1)
	v_cmp_eq_u32_e64 s0, 0, v7
	v_cndmask_b32_e64 v144, v144, v6, s0
; %bb.1099:                             ;   in Loop: Header=BB405_616 Depth=1
	s_or_b32 exec_lo, exec_lo, s12
	v_lshrrev_b16 v7, 8, v9
	v_mov_b32_e32 v6, 0
	s_mov_b32 s12, exec_lo
	s_delay_alu instid0(VALU_DEP_2)
	v_cmpx_ne_u16_e32 0, v7
	s_cbranch_execz .LBB405_1107
; %bb.1100:                             ;   in Loop: Header=BB405_616 Depth=1
	v_bfrev_b32_e32 v6, 1
	s_mov_b32 s13, exec_lo
	v_cmpx_ne_u16_e32 0x80, v7
	s_cbranch_execz .LBB405_1106
; %bb.1101:                             ;   in Loop: Header=BB405_616 Depth=1
	v_and_b32_e32 v7, 0xffff, v7
	v_mov_b32_e32 v6, 0x7f800001
	s_mov_b32 s15, exec_lo
	s_delay_alu instid0(VALU_DEP_2) | instskip(NEXT) | instid1(VALU_DEP_1)
	v_and_b32_e32 v146, 0x7f, v7
	v_cmpx_ne_u32_e32 0x7f, v146
	s_cbranch_execz .LBB405_1105
; %bb.1102:                             ;   in Loop: Header=BB405_616 Depth=1
	v_dual_mov_b32 v7, v10 :: v_dual_and_b32 v6, 7, v7
	v_lshrrev_b32_e32 v145, 3, v146
	s_mov_b32 s17, exec_lo
	v_cmpx_gt_u32_e32 8, v146
; %bb.1103:                             ;   in Loop: Header=BB405_616 Depth=1
	s_delay_alu instid0(VALU_DEP_3) | instskip(NEXT) | instid1(VALU_DEP_1)
	v_clz_i32_u32_e32 v145, v6
	v_min_u32_e32 v145, 32, v145
	s_delay_alu instid0(VALU_DEP_1) | instskip(SKIP_1) | instid1(VALU_DEP_2)
	v_subrev_nc_u32_e32 v146, 28, v145
	v_sub_nc_u32_e32 v145, 29, v145
	v_lshlrev_b64 v[6:7], v146, v[6:7]
	s_delay_alu instid0(VALU_DEP_1)
	v_and_b32_e32 v6, 7, v6
; %bb.1104:                             ;   in Loop: Header=BB405_616 Depth=1
	s_or_b32 exec_lo, exec_lo, s17
	v_lshlrev_b32_e32 v7, 16, v9
	s_delay_alu instid0(VALU_DEP_2) | instskip(SKIP_1) | instid1(VALU_DEP_3)
	v_lshlrev_b32_e32 v6, 20, v6
	v_lshl_add_u32 v9, v145, 23, 0x3c000000
	v_and_b32_e32 v7, 0x80000000, v7
	s_delay_alu instid0(VALU_DEP_1)
	v_or3_b32 v6, v6, v7, v9
.LBB405_1105:                           ;   in Loop: Header=BB405_616 Depth=1
	s_or_b32 exec_lo, exec_lo, s15
.LBB405_1106:                           ;   in Loop: Header=BB405_616 Depth=1
	s_delay_alu instid0(SALU_CYCLE_1)
	s_or_b32 exec_lo, exec_lo, s13
.LBB405_1107:                           ;   in Loop: Header=BB405_616 Depth=1
	s_delay_alu instid0(SALU_CYCLE_1) | instskip(NEXT) | instid1(VALU_DEP_1)
	s_or_b32 exec_lo, exec_lo, s12
	v_mul_f32_e32 v7, v8, v6
	s_delay_alu instid0(VALU_DEP_1) | instskip(NEXT) | instid1(VALU_DEP_1)
	v_and_b32_e32 v6, 0x7f800000, v7
	v_cmp_ne_u32_e64 s0, 0x7f800000, v6
                                        ; implicit-def: $vgpr6
	s_delay_alu instid0(VALU_DEP_1) | instskip(NEXT) | instid1(SALU_CYCLE_1)
	s_and_saveexec_b32 s12, s0
	s_xor_b32 s0, exec_lo, s12
; %bb.1108:                             ;   in Loop: Header=BB405_616 Depth=1
	v_bfe_u32 v6, v7, 16, 1
	s_delay_alu instid0(VALU_DEP_1)
	v_add3_u32 v6, v7, v6, 0x7fff
                                        ; implicit-def: $vgpr7
; %bb.1109:                             ;   in Loop: Header=BB405_616 Depth=1
	s_and_not1_saveexec_b32 s12, s0
; %bb.1110:                             ;   in Loop: Header=BB405_616 Depth=1
	v_and_b32_e32 v6, 0xffff, v7
	v_or_b32_e32 v9, 0x10000, v7
	s_delay_alu instid0(VALU_DEP_2) | instskip(NEXT) | instid1(VALU_DEP_1)
	v_cmp_eq_u32_e64 s0, 0, v6
	v_cndmask_b32_e64 v6, v9, v7, s0
; %bb.1111:                             ;   in Loop: Header=BB405_616 Depth=1
	s_or_b32 exec_lo, exec_lo, s12
	v_lshrrev_b32_e32 v7, 16, v3
	v_mov_b32_e32 v9, 0
	s_mov_b32 s12, exec_lo
	s_delay_alu instid0(VALU_DEP_2) | instskip(NEXT) | instid1(VALU_DEP_1)
	v_and_b32_e32 v145, 0xff, v7
	v_cmpx_ne_u16_e64 0, v145
	s_cbranch_execz .LBB405_1119
; %bb.1112:                             ;   in Loop: Header=BB405_616 Depth=1
	v_bfrev_b32_e32 v9, 1
	s_mov_b32 s13, exec_lo
	v_cmpx_ne_u16_e64 0x80, v145
	s_cbranch_execz .LBB405_1118
; %bb.1113:                             ;   in Loop: Header=BB405_616 Depth=1
	v_bfe_u32 v146, v3, 16, 7
	v_mov_b32_e32 v9, 0x7f800001
	s_mov_b32 s15, exec_lo
	s_delay_alu instid0(VALU_DEP_2)
	v_cmpx_ne_u32_e32 0x7f, v146
	s_cbranch_execz .LBB405_1117
; %bb.1114:                             ;   in Loop: Header=BB405_616 Depth=1
	v_and_b32_e32 v9, 7, v7
	v_lshrrev_b32_e32 v145, 3, v146
	s_mov_b32 s17, exec_lo
	v_cmpx_gt_u32_e32 8, v146
; %bb.1115:                             ;   in Loop: Header=BB405_616 Depth=1
	s_delay_alu instid0(VALU_DEP_3) | instskip(NEXT) | instid1(VALU_DEP_1)
	v_clz_i32_u32_e32 v145, v9
	v_min_u32_e32 v145, 32, v145
	s_delay_alu instid0(VALU_DEP_1) | instskip(SKIP_1) | instid1(VALU_DEP_2)
	v_subrev_nc_u32_e32 v146, 28, v145
	v_sub_nc_u32_e32 v145, 29, v145
	v_lshlrev_b64 v[146:147], v146, v[9:10]
	s_delay_alu instid0(VALU_DEP_1)
	v_and_b32_e32 v9, 7, v146
; %bb.1116:                             ;   in Loop: Header=BB405_616 Depth=1
	s_or_b32 exec_lo, exec_lo, s17
	v_lshlrev_b32_e32 v7, 24, v7
	s_delay_alu instid0(VALU_DEP_2) | instskip(SKIP_1) | instid1(VALU_DEP_3)
	v_lshlrev_b32_e32 v9, 20, v9
	v_lshl_add_u32 v145, v145, 23, 0x3c000000
	v_and_b32_e32 v7, 0x80000000, v7
	s_delay_alu instid0(VALU_DEP_1)
	v_or3_b32 v9, v9, v7, v145
.LBB405_1117:                           ;   in Loop: Header=BB405_616 Depth=1
	s_or_b32 exec_lo, exec_lo, s15
.LBB405_1118:                           ;   in Loop: Header=BB405_616 Depth=1
	s_delay_alu instid0(SALU_CYCLE_1)
	s_or_b32 exec_lo, exec_lo, s13
.LBB405_1119:                           ;   in Loop: Header=BB405_616 Depth=1
	s_delay_alu instid0(SALU_CYCLE_1) | instskip(NEXT) | instid1(VALU_DEP_1)
	s_or_b32 exec_lo, exec_lo, s12
	v_mul_f32_e32 v7, v8, v9
                                        ; implicit-def: $vgpr145
	s_delay_alu instid0(VALU_DEP_1) | instskip(NEXT) | instid1(VALU_DEP_1)
	v_and_b32_e32 v9, 0x7f800000, v7
	v_cmp_ne_u32_e64 s0, 0x7f800000, v9
	s_delay_alu instid0(VALU_DEP_1) | instskip(NEXT) | instid1(SALU_CYCLE_1)
	s_and_saveexec_b32 s12, s0
	s_xor_b32 s0, exec_lo, s12
; %bb.1120:                             ;   in Loop: Header=BB405_616 Depth=1
	v_bfe_u32 v9, v7, 16, 1
	s_delay_alu instid0(VALU_DEP_1)
	v_add3_u32 v145, v7, v9, 0x7fff
                                        ; implicit-def: $vgpr7
; %bb.1121:                             ;   in Loop: Header=BB405_616 Depth=1
	s_and_not1_saveexec_b32 s12, s0
; %bb.1122:                             ;   in Loop: Header=BB405_616 Depth=1
	v_and_b32_e32 v9, 0xffff, v7
	v_or_b32_e32 v145, 0x10000, v7
	s_delay_alu instid0(VALU_DEP_2) | instskip(NEXT) | instid1(VALU_DEP_1)
	v_cmp_eq_u32_e64 s0, 0, v9
	v_cndmask_b32_e64 v145, v145, v7, s0
; %bb.1123:                             ;   in Loop: Header=BB405_616 Depth=1
	s_or_b32 exec_lo, exec_lo, s12
	v_mov_b32_e32 v7, 0
	s_mov_b32 s12, exec_lo
	v_cmpx_lt_u64_e64 s[8:9], v[2:3]
	s_cbranch_execz .LBB405_1131
; %bb.1124:                             ;   in Loop: Header=BB405_616 Depth=1
	v_lshrrev_b32_e32 v2, 24, v3
	v_bfrev_b32_e32 v7, 1
	s_mov_b32 s13, exec_lo
	s_delay_alu instid0(VALU_DEP_2)
	v_cmpx_ne_u32_e32 0x80, v2
	s_cbranch_execz .LBB405_1130
; %bb.1125:                             ;   in Loop: Header=BB405_616 Depth=1
	v_bfe_u32 v146, v3, 24, 7
	v_mov_b32_e32 v7, 0x7f800001
	s_mov_b32 s15, exec_lo
	s_delay_alu instid0(VALU_DEP_2)
	v_cmpx_ne_u32_e32 0x7f, v146
	s_cbranch_execz .LBB405_1129
; %bb.1126:                             ;   in Loop: Header=BB405_616 Depth=1
	v_and_b32_e32 v9, 7, v2
	v_lshrrev_b32_e32 v3, 3, v146
	s_mov_b32 s17, exec_lo
	v_cmpx_gt_u32_e32 8, v146
; %bb.1127:                             ;   in Loop: Header=BB405_616 Depth=1
	s_delay_alu instid0(VALU_DEP_3) | instskip(NEXT) | instid1(VALU_DEP_1)
	v_clz_i32_u32_e32 v3, v9
	v_min_u32_e32 v3, 32, v3
	s_delay_alu instid0(VALU_DEP_1) | instskip(SKIP_1) | instid1(VALU_DEP_2)
	v_subrev_nc_u32_e32 v7, 28, v3
	v_sub_nc_u32_e32 v3, 29, v3
	v_lshlrev_b64 v[146:147], v7, v[9:10]
	s_delay_alu instid0(VALU_DEP_1)
	v_and_b32_e32 v9, 7, v146
; %bb.1128:                             ;   in Loop: Header=BB405_616 Depth=1
	s_or_b32 exec_lo, exec_lo, s17
	v_lshlrev_b32_e32 v2, 24, v2
	s_delay_alu instid0(VALU_DEP_2) | instskip(SKIP_1) | instid1(VALU_DEP_3)
	v_lshlrev_b32_e32 v7, 20, v9
	v_lshl_add_u32 v3, v3, 23, 0x3c000000
	v_and_b32_e32 v2, 0x80000000, v2
	s_delay_alu instid0(VALU_DEP_1)
	v_or3_b32 v7, v7, v2, v3
.LBB405_1129:                           ;   in Loop: Header=BB405_616 Depth=1
	s_or_b32 exec_lo, exec_lo, s15
.LBB405_1130:                           ;   in Loop: Header=BB405_616 Depth=1
	s_delay_alu instid0(SALU_CYCLE_1)
	s_or_b32 exec_lo, exec_lo, s13
.LBB405_1131:                           ;   in Loop: Header=BB405_616 Depth=1
	s_delay_alu instid0(SALU_CYCLE_1) | instskip(NEXT) | instid1(VALU_DEP_1)
	s_or_b32 exec_lo, exec_lo, s12
	v_mul_f32_e32 v3, v8, v7
	s_delay_alu instid0(VALU_DEP_1) | instskip(NEXT) | instid1(VALU_DEP_1)
	v_and_b32_e32 v2, 0x7f800000, v3
	v_cmp_ne_u32_e64 s0, 0x7f800000, v2
                                        ; implicit-def: $vgpr2
	s_delay_alu instid0(VALU_DEP_1) | instskip(NEXT) | instid1(SALU_CYCLE_1)
	s_and_saveexec_b32 s12, s0
	s_xor_b32 s0, exec_lo, s12
; %bb.1132:                             ;   in Loop: Header=BB405_616 Depth=1
	v_bfe_u32 v2, v3, 16, 1
	s_delay_alu instid0(VALU_DEP_1)
	v_add3_u32 v2, v3, v2, 0x7fff
                                        ; implicit-def: $vgpr3
; %bb.1133:                             ;   in Loop: Header=BB405_616 Depth=1
	s_and_not1_saveexec_b32 s12, s0
; %bb.1134:                             ;   in Loop: Header=BB405_616 Depth=1
	v_and_b32_e32 v2, 0xffff, v3
	v_or_b32_e32 v7, 0x10000, v3
	s_delay_alu instid0(VALU_DEP_2) | instskip(NEXT) | instid1(VALU_DEP_1)
	v_cmp_eq_u32_e64 s0, 0, v2
	v_cndmask_b32_e64 v2, v7, v3, s0
; %bb.1135:                             ;   in Loop: Header=BB405_616 Depth=1
	s_or_b32 exec_lo, exec_lo, s12
	v_lshrrev_b32_e32 v6, 16, v6
	v_lshrrev_b32_e32 v7, 16, v144
	;; [unrolled: 1-line block ×8, first 2 shown]
	s_and_saveexec_b32 s12, vcc_lo
	s_cbranch_execz .LBB405_1137
; %bb.1136:                             ;   in Loop: Header=BB405_616 Depth=1
	v_cmp_lt_i32_e64 s0, v51, v83
	s_delay_alu instid0(VALU_DEP_1) | instskip(SKIP_1) | instid1(VALU_DEP_1)
	v_cndmask_b32_e64 v132, 0, v132, s0
	v_cmp_lt_i32_e64 s0, v67, v83
	v_cndmask_b32_e64 v133, 0, v133, s0
	v_cmp_lt_i32_e64 s0, v66, v83
	s_delay_alu instid0(VALU_DEP_1) | instskip(SKIP_1) | instid1(VALU_DEP_1)
	v_cndmask_b32_e64 v134, 0, v134, s0
	v_cmp_lt_i32_e64 s0, v65, v83
	v_cndmask_b32_e64 v9, 0, v9, s0
	;; [unrolled: 5-line block ×4, first 2 shown]
.LBB405_1137:                           ;   in Loop: Header=BB405_616 Depth=1
	s_or_b32 exec_lo, exec_lo, s12
	v_lshlrev_b32_e32 v132, 16, v132
	s_delay_alu instid0(VALU_DEP_1) | instskip(NEXT) | instid1(VALU_DEP_1)
	v_mul_f32_e32 v135, v68, v132
	v_and_b32_e32 v132, 0x7f800000, v135
	s_delay_alu instid0(VALU_DEP_1) | instskip(NEXT) | instid1(VALU_DEP_1)
	v_cmp_ne_u32_e64 s0, 0x7f800000, v132
                                        ; implicit-def: $vgpr132
	s_and_saveexec_b32 s12, s0
	s_delay_alu instid0(SALU_CYCLE_1)
	s_xor_b32 s0, exec_lo, s12
; %bb.1138:                             ;   in Loop: Header=BB405_616 Depth=1
	v_bfe_u32 v132, v135, 16, 1
	s_delay_alu instid0(VALU_DEP_1)
	v_add3_u32 v132, v135, v132, 0x7fff
                                        ; implicit-def: $vgpr135
; %bb.1139:                             ;   in Loop: Header=BB405_616 Depth=1
	s_and_not1_saveexec_b32 s12, s0
; %bb.1140:                             ;   in Loop: Header=BB405_616 Depth=1
	v_and_b32_e32 v132, 0xffff, v135
	v_or_b32_e32 v144, 0x10000, v135
	s_delay_alu instid0(VALU_DEP_2) | instskip(NEXT) | instid1(VALU_DEP_1)
	v_cmp_eq_u32_e64 s0, 0, v132
	v_cndmask_b32_e64 v132, v144, v135, s0
; %bb.1141:                             ;   in Loop: Header=BB405_616 Depth=1
	s_or_b32 exec_lo, exec_lo, s12
	v_lshlrev_b32_e32 v133, 16, v133
	s_delay_alu instid0(VALU_DEP_1) | instskip(NEXT) | instid1(VALU_DEP_1)
	v_mul_f32_e32 v135, v69, v133
	v_and_b32_e32 v133, 0x7f800000, v135
	s_delay_alu instid0(VALU_DEP_1) | instskip(NEXT) | instid1(VALU_DEP_1)
	v_cmp_ne_u32_e64 s0, 0x7f800000, v133
                                        ; implicit-def: $vgpr133
	s_and_saveexec_b32 s12, s0
	s_delay_alu instid0(SALU_CYCLE_1)
	s_xor_b32 s0, exec_lo, s12
; %bb.1142:                             ;   in Loop: Header=BB405_616 Depth=1
	v_bfe_u32 v133, v135, 16, 1
	s_delay_alu instid0(VALU_DEP_1)
	v_add3_u32 v133, v135, v133, 0x7fff
                                        ; implicit-def: $vgpr135
; %bb.1143:                             ;   in Loop: Header=BB405_616 Depth=1
	s_and_not1_saveexec_b32 s12, s0
; %bb.1144:                             ;   in Loop: Header=BB405_616 Depth=1
	v_and_b32_e32 v133, 0xffff, v135
	v_or_b32_e32 v144, 0x10000, v135
	s_delay_alu instid0(VALU_DEP_2) | instskip(NEXT) | instid1(VALU_DEP_1)
	v_cmp_eq_u32_e64 s0, 0, v133
	v_cndmask_b32_e64 v133, v144, v135, s0
; %bb.1145:                             ;   in Loop: Header=BB405_616 Depth=1
	s_or_b32 exec_lo, exec_lo, s12
	v_lshlrev_b32_e32 v134, 16, v134
	s_delay_alu instid0(VALU_DEP_1) | instskip(NEXT) | instid1(VALU_DEP_1)
	v_mul_f32_e32 v135, v70, v134
	v_and_b32_e32 v134, 0x7f800000, v135
	s_delay_alu instid0(VALU_DEP_1) | instskip(NEXT) | instid1(VALU_DEP_1)
	v_cmp_ne_u32_e64 s0, 0x7f800000, v134
                                        ; implicit-def: $vgpr134
	s_and_saveexec_b32 s12, s0
	s_delay_alu instid0(SALU_CYCLE_1)
	s_xor_b32 s0, exec_lo, s12
; %bb.1146:                             ;   in Loop: Header=BB405_616 Depth=1
	v_bfe_u32 v134, v135, 16, 1
	s_delay_alu instid0(VALU_DEP_1)
	v_add3_u32 v134, v135, v134, 0x7fff
                                        ; implicit-def: $vgpr135
; %bb.1147:                             ;   in Loop: Header=BB405_616 Depth=1
	s_and_not1_saveexec_b32 s12, s0
; %bb.1148:                             ;   in Loop: Header=BB405_616 Depth=1
	v_and_b32_e32 v134, 0xffff, v135
	v_or_b32_e32 v144, 0x10000, v135
	s_delay_alu instid0(VALU_DEP_2) | instskip(NEXT) | instid1(VALU_DEP_1)
	v_cmp_eq_u32_e64 s0, 0, v134
	v_cndmask_b32_e64 v134, v144, v135, s0
; %bb.1149:                             ;   in Loop: Header=BB405_616 Depth=1
	s_or_b32 exec_lo, exec_lo, s12
	v_lshlrev_b32_e32 v9, 16, v9
	s_delay_alu instid0(VALU_DEP_1) | instskip(NEXT) | instid1(VALU_DEP_1)
	v_mul_f32_e32 v9, v71, v9
	v_and_b32_e32 v135, 0x7f800000, v9
	s_delay_alu instid0(VALU_DEP_1) | instskip(NEXT) | instid1(VALU_DEP_1)
	v_cmp_ne_u32_e64 s0, 0x7f800000, v135
                                        ; implicit-def: $vgpr135
	s_and_saveexec_b32 s12, s0
	s_delay_alu instid0(SALU_CYCLE_1)
	s_xor_b32 s0, exec_lo, s12
; %bb.1150:                             ;   in Loop: Header=BB405_616 Depth=1
	v_bfe_u32 v135, v9, 16, 1
	s_delay_alu instid0(VALU_DEP_1)
	v_add3_u32 v135, v9, v135, 0x7fff
                                        ; implicit-def: $vgpr9
; %bb.1151:                             ;   in Loop: Header=BB405_616 Depth=1
	s_and_not1_saveexec_b32 s12, s0
; %bb.1152:                             ;   in Loop: Header=BB405_616 Depth=1
	v_and_b32_e32 v135, 0xffff, v9
	v_or_b32_e32 v144, 0x10000, v9
	s_delay_alu instid0(VALU_DEP_2) | instskip(NEXT) | instid1(VALU_DEP_1)
	v_cmp_eq_u32_e64 s0, 0, v135
	v_cndmask_b32_e64 v135, v144, v9, s0
; %bb.1153:                             ;   in Loop: Header=BB405_616 Depth=1
	s_or_b32 exec_lo, exec_lo, s12
	v_lshlrev_b32_e32 v7, 16, v7
                                        ; implicit-def: $vgpr144
	s_delay_alu instid0(VALU_DEP_1) | instskip(NEXT) | instid1(VALU_DEP_1)
	v_mul_f32_e32 v7, v80, v7
	v_and_b32_e32 v9, 0x7f800000, v7
	s_delay_alu instid0(VALU_DEP_1) | instskip(NEXT) | instid1(VALU_DEP_1)
	v_cmp_ne_u32_e64 s0, 0x7f800000, v9
	s_and_saveexec_b32 s12, s0
	s_delay_alu instid0(SALU_CYCLE_1)
	s_xor_b32 s0, exec_lo, s12
; %bb.1154:                             ;   in Loop: Header=BB405_616 Depth=1
	v_bfe_u32 v9, v7, 16, 1
	s_delay_alu instid0(VALU_DEP_1)
	v_add3_u32 v144, v7, v9, 0x7fff
                                        ; implicit-def: $vgpr7
; %bb.1155:                             ;   in Loop: Header=BB405_616 Depth=1
	s_and_not1_saveexec_b32 s12, s0
; %bb.1156:                             ;   in Loop: Header=BB405_616 Depth=1
	v_and_b32_e32 v9, 0xffff, v7
	v_or_b32_e32 v144, 0x10000, v7
	s_delay_alu instid0(VALU_DEP_2) | instskip(NEXT) | instid1(VALU_DEP_1)
	v_cmp_eq_u32_e64 s0, 0, v9
	v_cndmask_b32_e64 v144, v144, v7, s0
; %bb.1157:                             ;   in Loop: Header=BB405_616 Depth=1
	s_or_b32 exec_lo, exec_lo, s12
	v_lshlrev_b32_e32 v6, 16, v6
                                        ; implicit-def: $vgpr145
	s_delay_alu instid0(VALU_DEP_1) | instskip(NEXT) | instid1(VALU_DEP_1)
	v_mul_f32_e32 v6, v81, v6
	v_and_b32_e32 v7, 0x7f800000, v6
	s_delay_alu instid0(VALU_DEP_1) | instskip(NEXT) | instid1(VALU_DEP_1)
	v_cmp_ne_u32_e64 s0, 0x7f800000, v7
	s_and_saveexec_b32 s12, s0
	s_delay_alu instid0(SALU_CYCLE_1)
	s_xor_b32 s0, exec_lo, s12
; %bb.1158:                             ;   in Loop: Header=BB405_616 Depth=1
	v_bfe_u32 v7, v6, 16, 1
	s_delay_alu instid0(VALU_DEP_1)
	v_add3_u32 v145, v6, v7, 0x7fff
                                        ; implicit-def: $vgpr6
; %bb.1159:                             ;   in Loop: Header=BB405_616 Depth=1
	s_and_not1_saveexec_b32 s12, s0
; %bb.1160:                             ;   in Loop: Header=BB405_616 Depth=1
	v_and_b32_e32 v7, 0xffff, v6
	v_or_b32_e32 v9, 0x10000, v6
	s_delay_alu instid0(VALU_DEP_2) | instskip(NEXT) | instid1(VALU_DEP_1)
	v_cmp_eq_u32_e64 s0, 0, v7
	v_cndmask_b32_e64 v145, v9, v6, s0
; %bb.1161:                             ;   in Loop: Header=BB405_616 Depth=1
	s_or_b32 exec_lo, exec_lo, s12
	v_lshlrev_b32_e32 v3, 16, v3
                                        ; implicit-def: $vgpr146
	s_delay_alu instid0(VALU_DEP_1) | instskip(NEXT) | instid1(VALU_DEP_1)
	v_mul_f32_e32 v3, v98, v3
	v_and_b32_e32 v6, 0x7f800000, v3
	s_delay_alu instid0(VALU_DEP_1) | instskip(NEXT) | instid1(VALU_DEP_1)
	v_cmp_ne_u32_e64 s0, 0x7f800000, v6
	s_and_saveexec_b32 s12, s0
	s_delay_alu instid0(SALU_CYCLE_1)
	s_xor_b32 s0, exec_lo, s12
; %bb.1162:                             ;   in Loop: Header=BB405_616 Depth=1
	v_bfe_u32 v6, v3, 16, 1
	s_delay_alu instid0(VALU_DEP_1)
	v_add3_u32 v146, v3, v6, 0x7fff
                                        ; implicit-def: $vgpr3
; %bb.1163:                             ;   in Loop: Header=BB405_616 Depth=1
	s_and_not1_saveexec_b32 s12, s0
; %bb.1164:                             ;   in Loop: Header=BB405_616 Depth=1
	v_and_b32_e32 v6, 0xffff, v3
	v_or_b32_e32 v7, 0x10000, v3
	s_delay_alu instid0(VALU_DEP_2) | instskip(NEXT) | instid1(VALU_DEP_1)
	v_cmp_eq_u32_e64 s0, 0, v6
	v_cndmask_b32_e64 v146, v7, v3, s0
; %bb.1165:                             ;   in Loop: Header=BB405_616 Depth=1
	s_or_b32 exec_lo, exec_lo, s12
	v_lshlrev_b32_e32 v2, 16, v2
                                        ; implicit-def: $vgpr147
	s_delay_alu instid0(VALU_DEP_1) | instskip(NEXT) | instid1(VALU_DEP_1)
	v_mul_f32_e32 v2, v99, v2
	v_and_b32_e32 v3, 0x7f800000, v2
	s_delay_alu instid0(VALU_DEP_1) | instskip(NEXT) | instid1(VALU_DEP_1)
	v_cmp_ne_u32_e64 s0, 0x7f800000, v3
	s_and_saveexec_b32 s12, s0
	s_delay_alu instid0(SALU_CYCLE_1)
	s_xor_b32 s0, exec_lo, s12
; %bb.1166:                             ;   in Loop: Header=BB405_616 Depth=1
	v_bfe_u32 v3, v2, 16, 1
	s_delay_alu instid0(VALU_DEP_1)
	v_add3_u32 v147, v2, v3, 0x7fff
                                        ; implicit-def: $vgpr2
; %bb.1167:                             ;   in Loop: Header=BB405_616 Depth=1
	s_and_not1_saveexec_b32 s12, s0
; %bb.1168:                             ;   in Loop: Header=BB405_616 Depth=1
	v_and_b32_e32 v3, 0xffff, v2
	v_or_b32_e32 v6, 0x10000, v2
	s_delay_alu instid0(VALU_DEP_2) | instskip(NEXT) | instid1(VALU_DEP_1)
	v_cmp_eq_u32_e64 s0, 0, v3
	v_cndmask_b32_e64 v147, v6, v2, s0
; %bb.1169:                             ;   in Loop: Header=BB405_616 Depth=1
	s_or_b32 exec_lo, exec_lo, s12
	flat_load_b64 v[2:3], v[0:1] offset:1024
	s_mov_b32 s12, exec_lo
	s_waitcnt vmcnt(0) lgkmcnt(0)
	v_dual_mov_b32 v6, 0 :: v_dual_and_b32 v7, 0xff, v2
	s_delay_alu instid0(VALU_DEP_1)
	v_cmpx_ne_u16_e32 0, v7
	s_cbranch_execz .LBB405_1177
; %bb.1170:                             ;   in Loop: Header=BB405_616 Depth=1
	v_bfrev_b32_e32 v6, 1
	s_mov_b32 s13, exec_lo
	v_cmpx_ne_u16_e32 0x80, v7
	s_cbranch_execz .LBB405_1176
; %bb.1171:                             ;   in Loop: Header=BB405_616 Depth=1
	v_and_b32_e32 v7, 0x7f, v2
	v_mov_b32_e32 v6, 0x7f800001
	s_mov_b32 s15, exec_lo
	s_delay_alu instid0(VALU_DEP_2)
	v_cmpx_ne_u32_e32 0x7f, v7
	s_cbranch_execz .LBB405_1175
; %bb.1172:                             ;   in Loop: Header=BB405_616 Depth=1
	v_lshrrev_b32_e32 v9, 3, v7
	v_cmp_gt_u32_e64 s0, 8, v7
	v_dual_mov_b32 v7, v3 :: v_dual_mov_b32 v6, v2
	s_delay_alu instid0(VALU_DEP_2)
	s_and_saveexec_b32 s17, s0
; %bb.1173:                             ;   in Loop: Header=BB405_616 Depth=1
	v_and_b32_e32 v6, 7, v2
	s_delay_alu instid0(VALU_DEP_1) | instskip(NEXT) | instid1(VALU_DEP_1)
	v_clz_i32_u32_e32 v6, v6
	v_min_u32_e32 v9, 32, v6
	s_delay_alu instid0(VALU_DEP_1) | instskip(SKIP_1) | instid1(VALU_DEP_2)
	v_subrev_nc_u32_e32 v6, 28, v9
	v_sub_nc_u32_e32 v9, 29, v9
	v_lshlrev_b64 v[6:7], v6, v[2:3]
; %bb.1174:                             ;   in Loop: Header=BB405_616 Depth=1
	s_or_b32 exec_lo, exec_lo, s17
	s_delay_alu instid0(VALU_DEP_1) | instskip(SKIP_2) | instid1(VALU_DEP_3)
	v_lshlrev_b32_e32 v6, 20, v6
	v_lshlrev_b32_e32 v7, 24, v2
	v_lshl_add_u32 v9, v9, 23, 0x3c000000
	v_and_b32_e32 v6, 0x700000, v6
	s_delay_alu instid0(VALU_DEP_3) | instskip(NEXT) | instid1(VALU_DEP_1)
	v_and_b32_e32 v7, 0x80000000, v7
	v_or3_b32 v6, v6, v7, v9
.LBB405_1175:                           ;   in Loop: Header=BB405_616 Depth=1
	s_or_b32 exec_lo, exec_lo, s15
.LBB405_1176:                           ;   in Loop: Header=BB405_616 Depth=1
	s_delay_alu instid0(SALU_CYCLE_1)
	s_or_b32 exec_lo, exec_lo, s13
.LBB405_1177:                           ;   in Loop: Header=BB405_616 Depth=1
	s_delay_alu instid0(SALU_CYCLE_1) | instskip(NEXT) | instid1(VALU_DEP_1)
	s_or_b32 exec_lo, exec_lo, s12
	v_mul_f32_e32 v6, v8, v6
                                        ; implicit-def: $vgpr148
	s_delay_alu instid0(VALU_DEP_1) | instskip(NEXT) | instid1(VALU_DEP_1)
	v_and_b32_e32 v7, 0x7f800000, v6
	v_cmp_ne_u32_e64 s0, 0x7f800000, v7
	s_delay_alu instid0(VALU_DEP_1) | instskip(NEXT) | instid1(SALU_CYCLE_1)
	s_and_saveexec_b32 s12, s0
	s_xor_b32 s0, exec_lo, s12
; %bb.1178:                             ;   in Loop: Header=BB405_616 Depth=1
	v_bfe_u32 v7, v6, 16, 1
	s_delay_alu instid0(VALU_DEP_1)
	v_add3_u32 v148, v6, v7, 0x7fff
                                        ; implicit-def: $vgpr6
; %bb.1179:                             ;   in Loop: Header=BB405_616 Depth=1
	s_and_not1_saveexec_b32 s12, s0
; %bb.1180:                             ;   in Loop: Header=BB405_616 Depth=1
	v_and_b32_e32 v7, 0xffff, v6
	v_or_b32_e32 v9, 0x10000, v6
	s_delay_alu instid0(VALU_DEP_2) | instskip(NEXT) | instid1(VALU_DEP_1)
	v_cmp_eq_u32_e64 s0, 0, v7
	v_cndmask_b32_e64 v148, v9, v6, s0
; %bb.1181:                             ;   in Loop: Header=BB405_616 Depth=1
	s_or_b32 exec_lo, exec_lo, s12
	v_lshrrev_b16 v7, 8, v2
	v_mov_b32_e32 v6, 0
	s_mov_b32 s12, exec_lo
	s_delay_alu instid0(VALU_DEP_2)
	v_cmpx_ne_u16_e32 0, v7
	s_cbranch_execz .LBB405_1189
; %bb.1182:                             ;   in Loop: Header=BB405_616 Depth=1
	v_bfrev_b32_e32 v6, 1
	s_mov_b32 s13, exec_lo
	v_cmpx_ne_u16_e32 0x80, v7
	s_cbranch_execz .LBB405_1188
; %bb.1183:                             ;   in Loop: Header=BB405_616 Depth=1
	v_and_b32_e32 v9, 0xffff, v7
	v_mov_b32_e32 v6, 0x7f800001
	s_mov_b32 s15, exec_lo
	s_delay_alu instid0(VALU_DEP_2) | instskip(NEXT) | instid1(VALU_DEP_1)
	v_and_b32_e32 v7, 0x7f, v9
	v_cmpx_ne_u32_e32 0x7f, v7
	s_cbranch_execz .LBB405_1187
; %bb.1184:                             ;   in Loop: Header=BB405_616 Depth=1
	v_and_b32_e32 v9, 7, v9
	v_lshrrev_b32_e32 v6, 3, v7
	s_mov_b32 s17, exec_lo
	v_cmpx_gt_u32_e32 8, v7
; %bb.1185:                             ;   in Loop: Header=BB405_616 Depth=1
	s_delay_alu instid0(VALU_DEP_3) | instskip(NEXT) | instid1(VALU_DEP_1)
	v_clz_i32_u32_e32 v6, v9
	v_min_u32_e32 v6, 32, v6
	s_delay_alu instid0(VALU_DEP_1) | instskip(SKIP_1) | instid1(VALU_DEP_2)
	v_subrev_nc_u32_e32 v7, 28, v6
	v_sub_nc_u32_e32 v6, 29, v6
	v_lshlrev_b64 v[149:150], v7, v[9:10]
	s_delay_alu instid0(VALU_DEP_1)
	v_and_b32_e32 v9, 7, v149
; %bb.1186:                             ;   in Loop: Header=BB405_616 Depth=1
	s_or_b32 exec_lo, exec_lo, s17
	v_lshlrev_b32_e32 v7, 16, v2
	s_delay_alu instid0(VALU_DEP_2) | instskip(SKIP_1) | instid1(VALU_DEP_3)
	v_lshlrev_b32_e32 v9, 20, v9
	v_lshl_add_u32 v6, v6, 23, 0x3c000000
	v_and_b32_e32 v7, 0x80000000, v7
	s_delay_alu instid0(VALU_DEP_1)
	v_or3_b32 v6, v9, v7, v6
.LBB405_1187:                           ;   in Loop: Header=BB405_616 Depth=1
	s_or_b32 exec_lo, exec_lo, s15
.LBB405_1188:                           ;   in Loop: Header=BB405_616 Depth=1
	s_delay_alu instid0(SALU_CYCLE_1)
	s_or_b32 exec_lo, exec_lo, s13
.LBB405_1189:                           ;   in Loop: Header=BB405_616 Depth=1
	s_delay_alu instid0(SALU_CYCLE_1) | instskip(NEXT) | instid1(VALU_DEP_1)
	s_or_b32 exec_lo, exec_lo, s12
	v_mul_f32_e32 v6, v8, v6
                                        ; implicit-def: $vgpr149
	s_delay_alu instid0(VALU_DEP_1) | instskip(NEXT) | instid1(VALU_DEP_1)
	v_and_b32_e32 v7, 0x7f800000, v6
	v_cmp_ne_u32_e64 s0, 0x7f800000, v7
	s_delay_alu instid0(VALU_DEP_1) | instskip(NEXT) | instid1(SALU_CYCLE_1)
	s_and_saveexec_b32 s12, s0
	s_xor_b32 s0, exec_lo, s12
; %bb.1190:                             ;   in Loop: Header=BB405_616 Depth=1
	v_bfe_u32 v7, v6, 16, 1
	s_delay_alu instid0(VALU_DEP_1)
	v_add3_u32 v149, v6, v7, 0x7fff
                                        ; implicit-def: $vgpr6
; %bb.1191:                             ;   in Loop: Header=BB405_616 Depth=1
	s_and_not1_saveexec_b32 s12, s0
; %bb.1192:                             ;   in Loop: Header=BB405_616 Depth=1
	v_and_b32_e32 v7, 0xffff, v6
	v_or_b32_e32 v9, 0x10000, v6
	s_delay_alu instid0(VALU_DEP_2) | instskip(NEXT) | instid1(VALU_DEP_1)
	v_cmp_eq_u32_e64 s0, 0, v7
	v_cndmask_b32_e64 v149, v9, v6, s0
; %bb.1193:                             ;   in Loop: Header=BB405_616 Depth=1
	s_or_b32 exec_lo, exec_lo, s12
	v_lshrrev_b32_e32 v6, 16, v2
	v_mov_b32_e32 v7, 0
	s_mov_b32 s12, exec_lo
	s_delay_alu instid0(VALU_DEP_2) | instskip(NEXT) | instid1(VALU_DEP_1)
	v_and_b32_e32 v9, 0xff, v6
	v_cmpx_ne_u16_e32 0, v9
	s_cbranch_execz .LBB405_1201
; %bb.1194:                             ;   in Loop: Header=BB405_616 Depth=1
	v_bfrev_b32_e32 v7, 1
	s_mov_b32 s13, exec_lo
	v_cmpx_ne_u16_e32 0x80, v9
	s_cbranch_execz .LBB405_1200
; %bb.1195:                             ;   in Loop: Header=BB405_616 Depth=1
	v_bfe_u32 v150, v2, 16, 7
	v_mov_b32_e32 v7, 0x7f800001
	s_mov_b32 s15, exec_lo
	s_delay_alu instid0(VALU_DEP_2)
	v_cmpx_ne_u32_e32 0x7f, v150
	s_cbranch_execz .LBB405_1199
; %bb.1196:                             ;   in Loop: Header=BB405_616 Depth=1
	v_and_b32_e32 v9, 7, v6
	v_lshrrev_b32_e32 v7, 3, v150
	s_mov_b32 s17, exec_lo
	v_cmpx_gt_u32_e32 8, v150
; %bb.1197:                             ;   in Loop: Header=BB405_616 Depth=1
	s_delay_alu instid0(VALU_DEP_3) | instskip(NEXT) | instid1(VALU_DEP_1)
	v_clz_i32_u32_e32 v7, v9
	v_min_u32_e32 v7, 32, v7
	s_delay_alu instid0(VALU_DEP_1) | instskip(SKIP_1) | instid1(VALU_DEP_2)
	v_subrev_nc_u32_e32 v150, 28, v7
	v_sub_nc_u32_e32 v7, 29, v7
	v_lshlrev_b64 v[150:151], v150, v[9:10]
	s_delay_alu instid0(VALU_DEP_1)
	v_and_b32_e32 v9, 7, v150
; %bb.1198:                             ;   in Loop: Header=BB405_616 Depth=1
	s_or_b32 exec_lo, exec_lo, s17
	v_lshlrev_b32_e32 v6, 24, v6
	s_delay_alu instid0(VALU_DEP_2) | instskip(SKIP_1) | instid1(VALU_DEP_3)
	v_lshlrev_b32_e32 v9, 20, v9
	v_lshl_add_u32 v7, v7, 23, 0x3c000000
	v_and_b32_e32 v6, 0x80000000, v6
	s_delay_alu instid0(VALU_DEP_1)
	v_or3_b32 v7, v9, v6, v7
.LBB405_1199:                           ;   in Loop: Header=BB405_616 Depth=1
	s_or_b32 exec_lo, exec_lo, s15
.LBB405_1200:                           ;   in Loop: Header=BB405_616 Depth=1
	s_delay_alu instid0(SALU_CYCLE_1)
	s_or_b32 exec_lo, exec_lo, s13
.LBB405_1201:                           ;   in Loop: Header=BB405_616 Depth=1
	s_delay_alu instid0(SALU_CYCLE_1) | instskip(NEXT) | instid1(VALU_DEP_1)
	s_or_b32 exec_lo, exec_lo, s12
	v_mul_f32_e32 v6, v8, v7
                                        ; implicit-def: $vgpr150
	s_delay_alu instid0(VALU_DEP_1) | instskip(NEXT) | instid1(VALU_DEP_1)
	v_and_b32_e32 v7, 0x7f800000, v6
	v_cmp_ne_u32_e64 s0, 0x7f800000, v7
	s_delay_alu instid0(VALU_DEP_1) | instskip(NEXT) | instid1(SALU_CYCLE_1)
	s_and_saveexec_b32 s12, s0
	s_xor_b32 s0, exec_lo, s12
; %bb.1202:                             ;   in Loop: Header=BB405_616 Depth=1
	v_bfe_u32 v7, v6, 16, 1
	s_delay_alu instid0(VALU_DEP_1)
	v_add3_u32 v150, v6, v7, 0x7fff
                                        ; implicit-def: $vgpr6
; %bb.1203:                             ;   in Loop: Header=BB405_616 Depth=1
	s_and_not1_saveexec_b32 s12, s0
; %bb.1204:                             ;   in Loop: Header=BB405_616 Depth=1
	v_and_b32_e32 v7, 0xffff, v6
	v_or_b32_e32 v9, 0x10000, v6
	s_delay_alu instid0(VALU_DEP_2) | instskip(NEXT) | instid1(VALU_DEP_1)
	v_cmp_eq_u32_e64 s0, 0, v7
	v_cndmask_b32_e64 v150, v9, v6, s0
; %bb.1205:                             ;   in Loop: Header=BB405_616 Depth=1
	s_or_b32 exec_lo, exec_lo, s12
	v_mov_b32_e32 v7, 0
	s_mov_b32 s12, exec_lo
	v_cmpx_lt_u32_e32 0xffffff, v2
	s_cbranch_execz .LBB405_1213
; %bb.1206:                             ;   in Loop: Header=BB405_616 Depth=1
	v_lshrrev_b32_e32 v6, 24, v2
	v_bfrev_b32_e32 v7, 1
	s_mov_b32 s13, exec_lo
	s_delay_alu instid0(VALU_DEP_2)
	v_cmpx_ne_u32_e32 0x80, v6
	s_cbranch_execz .LBB405_1212
; %bb.1207:                             ;   in Loop: Header=BB405_616 Depth=1
	v_bfe_u32 v151, v2, 24, 7
	v_mov_b32_e32 v7, 0x7f800001
	s_mov_b32 s15, exec_lo
	s_delay_alu instid0(VALU_DEP_2)
	v_cmpx_ne_u32_e32 0x7f, v151
	s_cbranch_execz .LBB405_1211
; %bb.1208:                             ;   in Loop: Header=BB405_616 Depth=1
	v_and_b32_e32 v9, 7, v6
	v_lshrrev_b32_e32 v7, 3, v151
	s_mov_b32 s17, exec_lo
	v_cmpx_gt_u32_e32 8, v151
; %bb.1209:                             ;   in Loop: Header=BB405_616 Depth=1
	s_delay_alu instid0(VALU_DEP_3) | instskip(NEXT) | instid1(VALU_DEP_1)
	v_clz_i32_u32_e32 v7, v9
	v_min_u32_e32 v7, 32, v7
	s_delay_alu instid0(VALU_DEP_1) | instskip(SKIP_1) | instid1(VALU_DEP_2)
	v_subrev_nc_u32_e32 v151, 28, v7
	v_sub_nc_u32_e32 v7, 29, v7
	v_lshlrev_b64 v[160:161], v151, v[9:10]
	s_delay_alu instid0(VALU_DEP_1)
	v_and_b32_e32 v9, 7, v160
; %bb.1210:                             ;   in Loop: Header=BB405_616 Depth=1
	s_or_b32 exec_lo, exec_lo, s17
	v_lshlrev_b32_e32 v6, 24, v6
	s_delay_alu instid0(VALU_DEP_2) | instskip(SKIP_1) | instid1(VALU_DEP_3)
	v_lshlrev_b32_e32 v9, 20, v9
	v_lshl_add_u32 v7, v7, 23, 0x3c000000
	v_and_b32_e32 v6, 0x80000000, v6
	s_delay_alu instid0(VALU_DEP_1)
	v_or3_b32 v7, v9, v6, v7
.LBB405_1211:                           ;   in Loop: Header=BB405_616 Depth=1
	s_or_b32 exec_lo, exec_lo, s15
.LBB405_1212:                           ;   in Loop: Header=BB405_616 Depth=1
	s_delay_alu instid0(SALU_CYCLE_1)
	s_or_b32 exec_lo, exec_lo, s13
.LBB405_1213:                           ;   in Loop: Header=BB405_616 Depth=1
	s_delay_alu instid0(SALU_CYCLE_1) | instskip(NEXT) | instid1(VALU_DEP_1)
	s_or_b32 exec_lo, exec_lo, s12
	v_mul_f32_e32 v6, v8, v7
                                        ; implicit-def: $vgpr151
	s_delay_alu instid0(VALU_DEP_1) | instskip(NEXT) | instid1(VALU_DEP_1)
	v_and_b32_e32 v7, 0x7f800000, v6
	v_cmp_ne_u32_e64 s0, 0x7f800000, v7
	s_delay_alu instid0(VALU_DEP_1) | instskip(NEXT) | instid1(SALU_CYCLE_1)
	s_and_saveexec_b32 s12, s0
	s_xor_b32 s0, exec_lo, s12
; %bb.1214:                             ;   in Loop: Header=BB405_616 Depth=1
	v_bfe_u32 v7, v6, 16, 1
	s_delay_alu instid0(VALU_DEP_1)
	v_add3_u32 v151, v6, v7, 0x7fff
                                        ; implicit-def: $vgpr6
; %bb.1215:                             ;   in Loop: Header=BB405_616 Depth=1
	s_and_not1_saveexec_b32 s12, s0
; %bb.1216:                             ;   in Loop: Header=BB405_616 Depth=1
	v_and_b32_e32 v7, 0xffff, v6
	v_or_b32_e32 v9, 0x10000, v6
	s_delay_alu instid0(VALU_DEP_2) | instskip(NEXT) | instid1(VALU_DEP_1)
	v_cmp_eq_u32_e64 s0, 0, v7
	v_cndmask_b32_e64 v151, v9, v6, s0
; %bb.1217:                             ;   in Loop: Header=BB405_616 Depth=1
	s_or_b32 exec_lo, exec_lo, s12
	v_dual_mov_b32 v6, 0 :: v_dual_and_b32 v7, 0xff, v3
	v_mov_b32_e32 v9, v3
	s_mov_b32 s12, exec_lo
	s_delay_alu instid0(VALU_DEP_2)
	v_cmpx_ne_u16_e32 0, v7
	s_cbranch_execz .LBB405_1225
; %bb.1218:                             ;   in Loop: Header=BB405_616 Depth=1
	v_bfrev_b32_e32 v6, 1
	s_mov_b32 s13, exec_lo
	v_cmpx_ne_u16_e32 0x80, v7
	s_cbranch_execz .LBB405_1224
; %bb.1219:                             ;   in Loop: Header=BB405_616 Depth=1
	v_and_b32_e32 v7, 0x7f, v3
	v_mov_b32_e32 v6, 0x7f800001
	s_mov_b32 s15, exec_lo
	s_delay_alu instid0(VALU_DEP_2)
	v_cmpx_ne_u32_e32 0x7f, v7
	s_cbranch_execz .LBB405_1223
; %bb.1220:                             ;   in Loop: Header=BB405_616 Depth=1
	v_lshrrev_b32_e32 v160, 3, v7
	v_cmp_gt_u32_e64 s0, 8, v7
	v_dual_mov_b32 v6, v9 :: v_dual_mov_b32 v7, v10
	s_delay_alu instid0(VALU_DEP_2)
	s_and_saveexec_b32 s17, s0
; %bb.1221:                             ;   in Loop: Header=BB405_616 Depth=1
	v_and_b32_e32 v6, 7, v3
	s_delay_alu instid0(VALU_DEP_1) | instskip(NEXT) | instid1(VALU_DEP_1)
	v_clz_i32_u32_e32 v6, v6
	v_min_u32_e32 v160, 32, v6
	s_delay_alu instid0(VALU_DEP_1) | instskip(SKIP_1) | instid1(VALU_DEP_2)
	v_subrev_nc_u32_e32 v6, 28, v160
	v_sub_nc_u32_e32 v160, 29, v160
	v_lshlrev_b64 v[6:7], v6, v[9:10]
; %bb.1222:                             ;   in Loop: Header=BB405_616 Depth=1
	s_or_b32 exec_lo, exec_lo, s17
	s_delay_alu instid0(VALU_DEP_1) | instskip(SKIP_2) | instid1(VALU_DEP_3)
	v_lshlrev_b32_e32 v6, 20, v6
	v_lshlrev_b32_e32 v7, 24, v9
	v_lshl_add_u32 v160, v160, 23, 0x3c000000
	v_and_b32_e32 v6, 0x700000, v6
	s_delay_alu instid0(VALU_DEP_3) | instskip(NEXT) | instid1(VALU_DEP_1)
	v_and_b32_e32 v7, 0x80000000, v7
	v_or3_b32 v6, v6, v7, v160
.LBB405_1223:                           ;   in Loop: Header=BB405_616 Depth=1
	s_or_b32 exec_lo, exec_lo, s15
.LBB405_1224:                           ;   in Loop: Header=BB405_616 Depth=1
	s_delay_alu instid0(SALU_CYCLE_1)
	s_or_b32 exec_lo, exec_lo, s13
.LBB405_1225:                           ;   in Loop: Header=BB405_616 Depth=1
	s_delay_alu instid0(SALU_CYCLE_1) | instskip(NEXT) | instid1(VALU_DEP_1)
	s_or_b32 exec_lo, exec_lo, s12
	v_mul_f32_e32 v6, v8, v6
                                        ; implicit-def: $vgpr160
	s_delay_alu instid0(VALU_DEP_1) | instskip(NEXT) | instid1(VALU_DEP_1)
	v_and_b32_e32 v7, 0x7f800000, v6
	v_cmp_ne_u32_e64 s0, 0x7f800000, v7
	s_delay_alu instid0(VALU_DEP_1) | instskip(NEXT) | instid1(SALU_CYCLE_1)
	s_and_saveexec_b32 s12, s0
	s_xor_b32 s0, exec_lo, s12
; %bb.1226:                             ;   in Loop: Header=BB405_616 Depth=1
	v_bfe_u32 v7, v6, 16, 1
	s_delay_alu instid0(VALU_DEP_1)
	v_add3_u32 v160, v6, v7, 0x7fff
                                        ; implicit-def: $vgpr6
; %bb.1227:                             ;   in Loop: Header=BB405_616 Depth=1
	s_and_not1_saveexec_b32 s12, s0
; %bb.1228:                             ;   in Loop: Header=BB405_616 Depth=1
	v_and_b32_e32 v7, 0xffff, v6
	v_or_b32_e32 v160, 0x10000, v6
	s_delay_alu instid0(VALU_DEP_2) | instskip(NEXT) | instid1(VALU_DEP_1)
	v_cmp_eq_u32_e64 s0, 0, v7
	v_cndmask_b32_e64 v160, v160, v6, s0
; %bb.1229:                             ;   in Loop: Header=BB405_616 Depth=1
	s_or_b32 exec_lo, exec_lo, s12
	v_lshrrev_b16 v7, 8, v9
	v_mov_b32_e32 v6, 0
	s_mov_b32 s12, exec_lo
	s_delay_alu instid0(VALU_DEP_2)
	v_cmpx_ne_u16_e32 0, v7
	s_cbranch_execz .LBB405_1237
; %bb.1230:                             ;   in Loop: Header=BB405_616 Depth=1
	v_bfrev_b32_e32 v6, 1
	s_mov_b32 s13, exec_lo
	v_cmpx_ne_u16_e32 0x80, v7
	s_cbranch_execz .LBB405_1236
; %bb.1231:                             ;   in Loop: Header=BB405_616 Depth=1
	v_and_b32_e32 v7, 0xffff, v7
	v_mov_b32_e32 v6, 0x7f800001
	s_mov_b32 s15, exec_lo
	s_delay_alu instid0(VALU_DEP_2) | instskip(NEXT) | instid1(VALU_DEP_1)
	v_and_b32_e32 v162, 0x7f, v7
	v_cmpx_ne_u32_e32 0x7f, v162
	s_cbranch_execz .LBB405_1235
; %bb.1232:                             ;   in Loop: Header=BB405_616 Depth=1
	v_dual_mov_b32 v7, v10 :: v_dual_and_b32 v6, 7, v7
	v_lshrrev_b32_e32 v161, 3, v162
	s_mov_b32 s17, exec_lo
	v_cmpx_gt_u32_e32 8, v162
; %bb.1233:                             ;   in Loop: Header=BB405_616 Depth=1
	s_delay_alu instid0(VALU_DEP_3) | instskip(NEXT) | instid1(VALU_DEP_1)
	v_clz_i32_u32_e32 v161, v6
	v_min_u32_e32 v161, 32, v161
	s_delay_alu instid0(VALU_DEP_1) | instskip(SKIP_1) | instid1(VALU_DEP_2)
	v_subrev_nc_u32_e32 v162, 28, v161
	v_sub_nc_u32_e32 v161, 29, v161
	v_lshlrev_b64 v[6:7], v162, v[6:7]
	s_delay_alu instid0(VALU_DEP_1)
	v_and_b32_e32 v6, 7, v6
; %bb.1234:                             ;   in Loop: Header=BB405_616 Depth=1
	s_or_b32 exec_lo, exec_lo, s17
	v_lshlrev_b32_e32 v7, 16, v9
	s_delay_alu instid0(VALU_DEP_2) | instskip(SKIP_1) | instid1(VALU_DEP_3)
	v_lshlrev_b32_e32 v6, 20, v6
	v_lshl_add_u32 v9, v161, 23, 0x3c000000
	v_and_b32_e32 v7, 0x80000000, v7
	s_delay_alu instid0(VALU_DEP_1)
	v_or3_b32 v6, v6, v7, v9
.LBB405_1235:                           ;   in Loop: Header=BB405_616 Depth=1
	s_or_b32 exec_lo, exec_lo, s15
.LBB405_1236:                           ;   in Loop: Header=BB405_616 Depth=1
	s_delay_alu instid0(SALU_CYCLE_1)
	s_or_b32 exec_lo, exec_lo, s13
.LBB405_1237:                           ;   in Loop: Header=BB405_616 Depth=1
	s_delay_alu instid0(SALU_CYCLE_1) | instskip(NEXT) | instid1(VALU_DEP_1)
	s_or_b32 exec_lo, exec_lo, s12
	v_mul_f32_e32 v7, v8, v6
	s_delay_alu instid0(VALU_DEP_1) | instskip(NEXT) | instid1(VALU_DEP_1)
	v_and_b32_e32 v6, 0x7f800000, v7
	v_cmp_ne_u32_e64 s0, 0x7f800000, v6
                                        ; implicit-def: $vgpr6
	s_delay_alu instid0(VALU_DEP_1) | instskip(NEXT) | instid1(SALU_CYCLE_1)
	s_and_saveexec_b32 s12, s0
	s_xor_b32 s0, exec_lo, s12
; %bb.1238:                             ;   in Loop: Header=BB405_616 Depth=1
	v_bfe_u32 v6, v7, 16, 1
	s_delay_alu instid0(VALU_DEP_1)
	v_add3_u32 v6, v7, v6, 0x7fff
                                        ; implicit-def: $vgpr7
; %bb.1239:                             ;   in Loop: Header=BB405_616 Depth=1
	s_and_not1_saveexec_b32 s12, s0
; %bb.1240:                             ;   in Loop: Header=BB405_616 Depth=1
	v_and_b32_e32 v6, 0xffff, v7
	v_or_b32_e32 v9, 0x10000, v7
	s_delay_alu instid0(VALU_DEP_2) | instskip(NEXT) | instid1(VALU_DEP_1)
	v_cmp_eq_u32_e64 s0, 0, v6
	v_cndmask_b32_e64 v6, v9, v7, s0
; %bb.1241:                             ;   in Loop: Header=BB405_616 Depth=1
	s_or_b32 exec_lo, exec_lo, s12
	v_lshrrev_b32_e32 v7, 16, v3
	v_mov_b32_e32 v9, 0
	s_mov_b32 s12, exec_lo
	s_delay_alu instid0(VALU_DEP_2) | instskip(NEXT) | instid1(VALU_DEP_1)
	v_and_b32_e32 v161, 0xff, v7
	v_cmpx_ne_u16_e64 0, v161
	s_cbranch_execz .LBB405_1249
; %bb.1242:                             ;   in Loop: Header=BB405_616 Depth=1
	v_bfrev_b32_e32 v9, 1
	s_mov_b32 s13, exec_lo
	v_cmpx_ne_u16_e64 0x80, v161
	s_cbranch_execz .LBB405_1248
; %bb.1243:                             ;   in Loop: Header=BB405_616 Depth=1
	v_bfe_u32 v162, v3, 16, 7
	v_mov_b32_e32 v9, 0x7f800001
	s_mov_b32 s15, exec_lo
	s_delay_alu instid0(VALU_DEP_2)
	v_cmpx_ne_u32_e32 0x7f, v162
	s_cbranch_execz .LBB405_1247
; %bb.1244:                             ;   in Loop: Header=BB405_616 Depth=1
	v_and_b32_e32 v9, 7, v7
	v_lshrrev_b32_e32 v161, 3, v162
	s_mov_b32 s17, exec_lo
	v_cmpx_gt_u32_e32 8, v162
; %bb.1245:                             ;   in Loop: Header=BB405_616 Depth=1
	s_delay_alu instid0(VALU_DEP_3) | instskip(NEXT) | instid1(VALU_DEP_1)
	v_clz_i32_u32_e32 v161, v9
	v_min_u32_e32 v161, 32, v161
	s_delay_alu instid0(VALU_DEP_1) | instskip(SKIP_1) | instid1(VALU_DEP_2)
	v_subrev_nc_u32_e32 v162, 28, v161
	v_sub_nc_u32_e32 v161, 29, v161
	v_lshlrev_b64 v[162:163], v162, v[9:10]
	s_delay_alu instid0(VALU_DEP_1)
	v_and_b32_e32 v9, 7, v162
; %bb.1246:                             ;   in Loop: Header=BB405_616 Depth=1
	s_or_b32 exec_lo, exec_lo, s17
	v_lshlrev_b32_e32 v7, 24, v7
	s_delay_alu instid0(VALU_DEP_2) | instskip(SKIP_1) | instid1(VALU_DEP_3)
	v_lshlrev_b32_e32 v9, 20, v9
	v_lshl_add_u32 v161, v161, 23, 0x3c000000
	v_and_b32_e32 v7, 0x80000000, v7
	s_delay_alu instid0(VALU_DEP_1)
	v_or3_b32 v9, v9, v7, v161
.LBB405_1247:                           ;   in Loop: Header=BB405_616 Depth=1
	s_or_b32 exec_lo, exec_lo, s15
.LBB405_1248:                           ;   in Loop: Header=BB405_616 Depth=1
	s_delay_alu instid0(SALU_CYCLE_1)
	s_or_b32 exec_lo, exec_lo, s13
.LBB405_1249:                           ;   in Loop: Header=BB405_616 Depth=1
	s_delay_alu instid0(SALU_CYCLE_1) | instskip(NEXT) | instid1(VALU_DEP_1)
	s_or_b32 exec_lo, exec_lo, s12
	v_mul_f32_e32 v9, v8, v9
	s_delay_alu instid0(VALU_DEP_1) | instskip(NEXT) | instid1(VALU_DEP_1)
	v_and_b32_e32 v7, 0x7f800000, v9
	v_cmp_ne_u32_e64 s0, 0x7f800000, v7
                                        ; implicit-def: $vgpr7
	s_delay_alu instid0(VALU_DEP_1) | instskip(NEXT) | instid1(SALU_CYCLE_1)
	s_and_saveexec_b32 s12, s0
	s_xor_b32 s0, exec_lo, s12
; %bb.1250:                             ;   in Loop: Header=BB405_616 Depth=1
	v_bfe_u32 v7, v9, 16, 1
	s_delay_alu instid0(VALU_DEP_1)
	v_add3_u32 v7, v9, v7, 0x7fff
                                        ; implicit-def: $vgpr9
; %bb.1251:                             ;   in Loop: Header=BB405_616 Depth=1
	s_and_not1_saveexec_b32 s12, s0
; %bb.1252:                             ;   in Loop: Header=BB405_616 Depth=1
	v_and_b32_e32 v7, 0xffff, v9
	v_or_b32_e32 v161, 0x10000, v9
	s_delay_alu instid0(VALU_DEP_2) | instskip(NEXT) | instid1(VALU_DEP_1)
	v_cmp_eq_u32_e64 s0, 0, v7
	v_cndmask_b32_e64 v7, v161, v9, s0
; %bb.1253:                             ;   in Loop: Header=BB405_616 Depth=1
	s_or_b32 exec_lo, exec_lo, s12
	v_mov_b32_e32 v9, 0
	s_mov_b32 s12, exec_lo
	v_cmpx_lt_u64_e64 s[8:9], v[2:3]
	s_cbranch_execz .LBB405_1261
; %bb.1254:                             ;   in Loop: Header=BB405_616 Depth=1
	v_lshrrev_b32_e32 v2, 24, v3
	v_bfrev_b32_e32 v9, 1
	s_mov_b32 s13, exec_lo
	s_delay_alu instid0(VALU_DEP_2)
	v_cmpx_ne_u32_e32 0x80, v2
	s_cbranch_execz .LBB405_1260
; %bb.1255:                             ;   in Loop: Header=BB405_616 Depth=1
	v_bfe_u32 v161, v3, 24, 7
	v_mov_b32_e32 v9, 0x7f800001
	s_mov_b32 s15, exec_lo
	s_delay_alu instid0(VALU_DEP_2)
	v_cmpx_ne_u32_e32 0x7f, v161
	s_cbranch_execz .LBB405_1259
; %bb.1256:                             ;   in Loop: Header=BB405_616 Depth=1
	v_and_b32_e32 v9, 7, v2
	v_lshrrev_b32_e32 v3, 3, v161
	s_mov_b32 s17, exec_lo
	v_cmpx_gt_u32_e32 8, v161
; %bb.1257:                             ;   in Loop: Header=BB405_616 Depth=1
	s_delay_alu instid0(VALU_DEP_3) | instskip(NEXT) | instid1(VALU_DEP_1)
	v_clz_i32_u32_e32 v3, v9
	v_min_u32_e32 v3, 32, v3
	s_delay_alu instid0(VALU_DEP_1) | instskip(SKIP_1) | instid1(VALU_DEP_2)
	v_subrev_nc_u32_e32 v161, 28, v3
	v_sub_nc_u32_e32 v3, 29, v3
	v_lshlrev_b64 v[161:162], v161, v[9:10]
	s_delay_alu instid0(VALU_DEP_1)
	v_and_b32_e32 v9, 7, v161
; %bb.1258:                             ;   in Loop: Header=BB405_616 Depth=1
	s_or_b32 exec_lo, exec_lo, s17
	v_lshlrev_b32_e32 v2, 24, v2
	s_delay_alu instid0(VALU_DEP_2) | instskip(SKIP_1) | instid1(VALU_DEP_3)
	v_lshlrev_b32_e32 v9, 20, v9
	v_lshl_add_u32 v3, v3, 23, 0x3c000000
	v_and_b32_e32 v2, 0x80000000, v2
	s_delay_alu instid0(VALU_DEP_1)
	v_or3_b32 v9, v9, v2, v3
.LBB405_1259:                           ;   in Loop: Header=BB405_616 Depth=1
	s_or_b32 exec_lo, exec_lo, s15
.LBB405_1260:                           ;   in Loop: Header=BB405_616 Depth=1
	s_delay_alu instid0(SALU_CYCLE_1)
	s_or_b32 exec_lo, exec_lo, s13
.LBB405_1261:                           ;   in Loop: Header=BB405_616 Depth=1
	s_delay_alu instid0(SALU_CYCLE_1) | instskip(NEXT) | instid1(VALU_DEP_1)
	s_or_b32 exec_lo, exec_lo, s12
	v_mul_f32_e32 v3, v8, v9
	s_delay_alu instid0(VALU_DEP_1) | instskip(NEXT) | instid1(VALU_DEP_1)
	v_and_b32_e32 v2, 0x7f800000, v3
	v_cmp_ne_u32_e64 s0, 0x7f800000, v2
                                        ; implicit-def: $vgpr2
	s_delay_alu instid0(VALU_DEP_1) | instskip(NEXT) | instid1(SALU_CYCLE_1)
	s_and_saveexec_b32 s12, s0
	s_xor_b32 s0, exec_lo, s12
; %bb.1262:                             ;   in Loop: Header=BB405_616 Depth=1
	v_bfe_u32 v2, v3, 16, 1
	s_delay_alu instid0(VALU_DEP_1)
	v_add3_u32 v2, v3, v2, 0x7fff
                                        ; implicit-def: $vgpr3
; %bb.1263:                             ;   in Loop: Header=BB405_616 Depth=1
	s_and_not1_saveexec_b32 s12, s0
; %bb.1264:                             ;   in Loop: Header=BB405_616 Depth=1
	v_and_b32_e32 v2, 0xffff, v3
	v_or_b32_e32 v9, 0x10000, v3
	s_delay_alu instid0(VALU_DEP_2) | instskip(NEXT) | instid1(VALU_DEP_1)
	v_cmp_eq_u32_e64 s0, 0, v2
	v_cndmask_b32_e64 v2, v9, v3, s0
; %bb.1265:                             ;   in Loop: Header=BB405_616 Depth=1
	s_or_b32 exec_lo, exec_lo, s12
	v_lshrrev_b32_e32 v9, 16, v6
	v_lshrrev_b32_e32 v160, 16, v160
	;; [unrolled: 1-line block ×8, first 2 shown]
	s_and_saveexec_b32 s12, vcc_lo
	s_cbranch_execz .LBB405_1267
; %bb.1266:                             ;   in Loop: Header=BB405_616 Depth=1
	v_cmp_lt_i32_e64 s0, v51, v83
	s_delay_alu instid0(VALU_DEP_1) | instskip(SKIP_1) | instid1(VALU_DEP_1)
	v_cndmask_b32_e64 v6, 0, v6, s0
	v_cmp_lt_i32_e64 s0, v67, v83
	v_cndmask_b32_e64 v149, 0, v149, s0
	v_cmp_lt_i32_e64 s0, v66, v83
	s_delay_alu instid0(VALU_DEP_1) | instskip(SKIP_1) | instid1(VALU_DEP_1)
	v_cndmask_b32_e64 v150, 0, v150, s0
	v_cmp_lt_i32_e64 s0, v65, v83
	v_cndmask_b32_e64 v151, 0, v151, s0
	;; [unrolled: 5-line block ×4, first 2 shown]
.LBB405_1267:                           ;   in Loop: Header=BB405_616 Depth=1
	s_or_b32 exec_lo, exec_lo, s12
	v_lshlrev_b32_e32 v6, 16, v6
	s_delay_alu instid0(VALU_DEP_1) | instskip(NEXT) | instid1(VALU_DEP_1)
	v_mul_f32_e32 v7, v68, v6
	v_and_b32_e32 v6, 0x7f800000, v7
	s_delay_alu instid0(VALU_DEP_1) | instskip(NEXT) | instid1(VALU_DEP_1)
	v_cmp_ne_u32_e64 s0, 0x7f800000, v6
                                        ; implicit-def: $vgpr6
	s_and_saveexec_b32 s12, s0
	s_delay_alu instid0(SALU_CYCLE_1)
	s_xor_b32 s0, exec_lo, s12
; %bb.1268:                             ;   in Loop: Header=BB405_616 Depth=1
	v_bfe_u32 v6, v7, 16, 1
	s_delay_alu instid0(VALU_DEP_1)
	v_add3_u32 v6, v7, v6, 0x7fff
                                        ; implicit-def: $vgpr7
; %bb.1269:                             ;   in Loop: Header=BB405_616 Depth=1
	s_and_not1_saveexec_b32 s12, s0
; %bb.1270:                             ;   in Loop: Header=BB405_616 Depth=1
	v_and_b32_e32 v6, 0xffff, v7
	v_or_b32_e32 v148, 0x10000, v7
	s_delay_alu instid0(VALU_DEP_2) | instskip(NEXT) | instid1(VALU_DEP_1)
	v_cmp_eq_u32_e64 s0, 0, v6
	v_cndmask_b32_e64 v6, v148, v7, s0
; %bb.1271:                             ;   in Loop: Header=BB405_616 Depth=1
	s_or_b32 exec_lo, exec_lo, s12
	v_lshlrev_b32_e32 v7, 16, v149
	s_delay_alu instid0(VALU_DEP_1) | instskip(NEXT) | instid1(VALU_DEP_1)
	v_mul_f32_e32 v148, v69, v7
	v_and_b32_e32 v7, 0x7f800000, v148
	s_delay_alu instid0(VALU_DEP_1) | instskip(NEXT) | instid1(VALU_DEP_1)
	v_cmp_ne_u32_e64 s0, 0x7f800000, v7
                                        ; implicit-def: $vgpr7
	s_and_saveexec_b32 s12, s0
	s_delay_alu instid0(SALU_CYCLE_1)
	s_xor_b32 s0, exec_lo, s12
; %bb.1272:                             ;   in Loop: Header=BB405_616 Depth=1
	v_bfe_u32 v7, v148, 16, 1
	s_delay_alu instid0(VALU_DEP_1)
	v_add3_u32 v7, v148, v7, 0x7fff
                                        ; implicit-def: $vgpr148
; %bb.1273:                             ;   in Loop: Header=BB405_616 Depth=1
	s_and_not1_saveexec_b32 s12, s0
; %bb.1274:                             ;   in Loop: Header=BB405_616 Depth=1
	v_and_b32_e32 v7, 0xffff, v148
	v_or_b32_e32 v149, 0x10000, v148
	s_delay_alu instid0(VALU_DEP_2) | instskip(NEXT) | instid1(VALU_DEP_1)
	v_cmp_eq_u32_e64 s0, 0, v7
	v_cndmask_b32_e64 v7, v149, v148, s0
; %bb.1275:                             ;   in Loop: Header=BB405_616 Depth=1
	s_or_b32 exec_lo, exec_lo, s12
	v_lshlrev_b32_e32 v148, 16, v150
	s_delay_alu instid0(VALU_DEP_1) | instskip(NEXT) | instid1(VALU_DEP_1)
	v_mul_f32_e32 v149, v70, v148
	v_and_b32_e32 v148, 0x7f800000, v149
	s_delay_alu instid0(VALU_DEP_1) | instskip(NEXT) | instid1(VALU_DEP_1)
	v_cmp_ne_u32_e64 s0, 0x7f800000, v148
                                        ; implicit-def: $vgpr148
	s_and_saveexec_b32 s12, s0
	s_delay_alu instid0(SALU_CYCLE_1)
	s_xor_b32 s0, exec_lo, s12
; %bb.1276:                             ;   in Loop: Header=BB405_616 Depth=1
	v_bfe_u32 v148, v149, 16, 1
	s_delay_alu instid0(VALU_DEP_1)
	v_add3_u32 v148, v149, v148, 0x7fff
                                        ; implicit-def: $vgpr149
; %bb.1277:                             ;   in Loop: Header=BB405_616 Depth=1
	s_and_not1_saveexec_b32 s12, s0
; %bb.1278:                             ;   in Loop: Header=BB405_616 Depth=1
	v_and_b32_e32 v148, 0xffff, v149
	v_or_b32_e32 v150, 0x10000, v149
	s_delay_alu instid0(VALU_DEP_2) | instskip(NEXT) | instid1(VALU_DEP_1)
	v_cmp_eq_u32_e64 s0, 0, v148
	v_cndmask_b32_e64 v148, v150, v149, s0
; %bb.1279:                             ;   in Loop: Header=BB405_616 Depth=1
	s_or_b32 exec_lo, exec_lo, s12
	v_lshlrev_b32_e32 v149, 16, v151
	s_delay_alu instid0(VALU_DEP_1) | instskip(NEXT) | instid1(VALU_DEP_1)
	v_mul_f32_e32 v150, v71, v149
	v_and_b32_e32 v149, 0x7f800000, v150
	s_delay_alu instid0(VALU_DEP_1) | instskip(NEXT) | instid1(VALU_DEP_1)
	v_cmp_ne_u32_e64 s0, 0x7f800000, v149
                                        ; implicit-def: $vgpr149
	s_and_saveexec_b32 s12, s0
	s_delay_alu instid0(SALU_CYCLE_1)
	s_xor_b32 s0, exec_lo, s12
; %bb.1280:                             ;   in Loop: Header=BB405_616 Depth=1
	v_bfe_u32 v149, v150, 16, 1
	s_delay_alu instid0(VALU_DEP_1)
	v_add3_u32 v149, v150, v149, 0x7fff
                                        ; implicit-def: $vgpr150
; %bb.1281:                             ;   in Loop: Header=BB405_616 Depth=1
	s_and_not1_saveexec_b32 s12, s0
; %bb.1282:                             ;   in Loop: Header=BB405_616 Depth=1
	v_and_b32_e32 v149, 0xffff, v150
	v_or_b32_e32 v151, 0x10000, v150
	s_delay_alu instid0(VALU_DEP_2) | instskip(NEXT) | instid1(VALU_DEP_1)
	v_cmp_eq_u32_e64 s0, 0, v149
	v_cndmask_b32_e64 v149, v151, v150, s0
; %bb.1283:                             ;   in Loop: Header=BB405_616 Depth=1
	s_or_b32 exec_lo, exec_lo, s12
	v_lshlrev_b32_e32 v150, 16, v160
	s_delay_alu instid0(VALU_DEP_1) | instskip(NEXT) | instid1(VALU_DEP_1)
	v_mul_f32_e32 v151, v80, v150
	v_and_b32_e32 v150, 0x7f800000, v151
	s_delay_alu instid0(VALU_DEP_1) | instskip(NEXT) | instid1(VALU_DEP_1)
	v_cmp_ne_u32_e64 s0, 0x7f800000, v150
                                        ; implicit-def: $vgpr150
	s_and_saveexec_b32 s12, s0
	s_delay_alu instid0(SALU_CYCLE_1)
	s_xor_b32 s0, exec_lo, s12
; %bb.1284:                             ;   in Loop: Header=BB405_616 Depth=1
	v_bfe_u32 v150, v151, 16, 1
	s_delay_alu instid0(VALU_DEP_1)
	v_add3_u32 v150, v151, v150, 0x7fff
                                        ; implicit-def: $vgpr151
; %bb.1285:                             ;   in Loop: Header=BB405_616 Depth=1
	s_and_not1_saveexec_b32 s12, s0
; %bb.1286:                             ;   in Loop: Header=BB405_616 Depth=1
	v_and_b32_e32 v150, 0xffff, v151
	v_or_b32_e32 v160, 0x10000, v151
	s_delay_alu instid0(VALU_DEP_2) | instskip(NEXT) | instid1(VALU_DEP_1)
	v_cmp_eq_u32_e64 s0, 0, v150
	v_cndmask_b32_e64 v150, v160, v151, s0
; %bb.1287:                             ;   in Loop: Header=BB405_616 Depth=1
	s_or_b32 exec_lo, exec_lo, s12
	v_lshlrev_b32_e32 v9, 16, v9
	s_delay_alu instid0(VALU_DEP_1) | instskip(NEXT) | instid1(VALU_DEP_1)
	v_mul_f32_e32 v9, v81, v9
	v_and_b32_e32 v151, 0x7f800000, v9
	s_delay_alu instid0(VALU_DEP_1) | instskip(NEXT) | instid1(VALU_DEP_1)
	v_cmp_ne_u32_e64 s0, 0x7f800000, v151
                                        ; implicit-def: $vgpr151
	s_and_saveexec_b32 s12, s0
	s_delay_alu instid0(SALU_CYCLE_1)
	s_xor_b32 s0, exec_lo, s12
; %bb.1288:                             ;   in Loop: Header=BB405_616 Depth=1
	v_bfe_u32 v151, v9, 16, 1
	s_delay_alu instid0(VALU_DEP_1)
	v_add3_u32 v151, v9, v151, 0x7fff
                                        ; implicit-def: $vgpr9
; %bb.1289:                             ;   in Loop: Header=BB405_616 Depth=1
	s_and_not1_saveexec_b32 s12, s0
; %bb.1290:                             ;   in Loop: Header=BB405_616 Depth=1
	v_and_b32_e32 v151, 0xffff, v9
	v_or_b32_e32 v160, 0x10000, v9
	s_delay_alu instid0(VALU_DEP_2) | instskip(NEXT) | instid1(VALU_DEP_1)
	v_cmp_eq_u32_e64 s0, 0, v151
	v_cndmask_b32_e64 v151, v160, v9, s0
; %bb.1291:                             ;   in Loop: Header=BB405_616 Depth=1
	s_or_b32 exec_lo, exec_lo, s12
	v_lshlrev_b32_e32 v3, 16, v3
                                        ; implicit-def: $vgpr160
	s_delay_alu instid0(VALU_DEP_1) | instskip(NEXT) | instid1(VALU_DEP_1)
	v_mul_f32_e32 v3, v98, v3
	v_and_b32_e32 v9, 0x7f800000, v3
	s_delay_alu instid0(VALU_DEP_1) | instskip(NEXT) | instid1(VALU_DEP_1)
	v_cmp_ne_u32_e64 s0, 0x7f800000, v9
	s_and_saveexec_b32 s12, s0
	s_delay_alu instid0(SALU_CYCLE_1)
	s_xor_b32 s0, exec_lo, s12
; %bb.1292:                             ;   in Loop: Header=BB405_616 Depth=1
	v_bfe_u32 v9, v3, 16, 1
	s_delay_alu instid0(VALU_DEP_1)
	v_add3_u32 v160, v3, v9, 0x7fff
                                        ; implicit-def: $vgpr3
; %bb.1293:                             ;   in Loop: Header=BB405_616 Depth=1
	s_and_not1_saveexec_b32 s12, s0
; %bb.1294:                             ;   in Loop: Header=BB405_616 Depth=1
	v_and_b32_e32 v9, 0xffff, v3
	v_or_b32_e32 v160, 0x10000, v3
	s_delay_alu instid0(VALU_DEP_2) | instskip(NEXT) | instid1(VALU_DEP_1)
	v_cmp_eq_u32_e64 s0, 0, v9
	v_cndmask_b32_e64 v160, v160, v3, s0
; %bb.1295:                             ;   in Loop: Header=BB405_616 Depth=1
	s_or_b32 exec_lo, exec_lo, s12
	v_lshlrev_b32_e32 v2, 16, v2
                                        ; implicit-def: $vgpr161
	s_delay_alu instid0(VALU_DEP_1) | instskip(NEXT) | instid1(VALU_DEP_1)
	v_mul_f32_e32 v2, v99, v2
	v_and_b32_e32 v3, 0x7f800000, v2
	s_delay_alu instid0(VALU_DEP_1) | instskip(NEXT) | instid1(VALU_DEP_1)
	v_cmp_ne_u32_e64 s0, 0x7f800000, v3
	s_and_saveexec_b32 s12, s0
	s_delay_alu instid0(SALU_CYCLE_1)
	s_xor_b32 s0, exec_lo, s12
; %bb.1296:                             ;   in Loop: Header=BB405_616 Depth=1
	v_bfe_u32 v3, v2, 16, 1
	s_delay_alu instid0(VALU_DEP_1)
	v_add3_u32 v161, v2, v3, 0x7fff
                                        ; implicit-def: $vgpr2
; %bb.1297:                             ;   in Loop: Header=BB405_616 Depth=1
	s_and_not1_saveexec_b32 s12, s0
; %bb.1298:                             ;   in Loop: Header=BB405_616 Depth=1
	v_and_b32_e32 v3, 0xffff, v2
	v_or_b32_e32 v9, 0x10000, v2
	s_delay_alu instid0(VALU_DEP_2) | instskip(NEXT) | instid1(VALU_DEP_1)
	v_cmp_eq_u32_e64 s0, 0, v3
	v_cndmask_b32_e64 v161, v9, v2, s0
; %bb.1299:                             ;   in Loop: Header=BB405_616 Depth=1
	s_or_b32 exec_lo, exec_lo, s12
	flat_load_b64 v[0:1], v[0:1] offset:1280
	s_mov_b32 s12, exec_lo
	s_waitcnt vmcnt(0) lgkmcnt(0)
	v_dual_mov_b32 v2, 0 :: v_dual_and_b32 v3, 0xff, v0
	s_delay_alu instid0(VALU_DEP_1)
	v_cmpx_ne_u16_e32 0, v3
	s_cbranch_execz .LBB405_1307
; %bb.1300:                             ;   in Loop: Header=BB405_616 Depth=1
	v_bfrev_b32_e32 v2, 1
	s_mov_b32 s13, exec_lo
	v_cmpx_ne_u16_e32 0x80, v3
	s_cbranch_execz .LBB405_1306
; %bb.1301:                             ;   in Loop: Header=BB405_616 Depth=1
	v_and_b32_e32 v3, 0x7f, v0
	v_mov_b32_e32 v2, 0x7f800001
	s_mov_b32 s15, exec_lo
	s_delay_alu instid0(VALU_DEP_2)
	v_cmpx_ne_u32_e32 0x7f, v3
	s_cbranch_execz .LBB405_1305
; %bb.1302:                             ;   in Loop: Header=BB405_616 Depth=1
	v_lshrrev_b32_e32 v9, 3, v3
	v_cmp_gt_u32_e64 s0, 8, v3
	v_dual_mov_b32 v3, v1 :: v_dual_mov_b32 v2, v0
	s_delay_alu instid0(VALU_DEP_2)
	s_and_saveexec_b32 s17, s0
; %bb.1303:                             ;   in Loop: Header=BB405_616 Depth=1
	v_and_b32_e32 v2, 7, v0
	s_delay_alu instid0(VALU_DEP_1) | instskip(NEXT) | instid1(VALU_DEP_1)
	v_clz_i32_u32_e32 v2, v2
	v_min_u32_e32 v9, 32, v2
	s_delay_alu instid0(VALU_DEP_1) | instskip(SKIP_1) | instid1(VALU_DEP_2)
	v_subrev_nc_u32_e32 v2, 28, v9
	v_sub_nc_u32_e32 v9, 29, v9
	v_lshlrev_b64 v[2:3], v2, v[0:1]
; %bb.1304:                             ;   in Loop: Header=BB405_616 Depth=1
	s_or_b32 exec_lo, exec_lo, s17
	s_delay_alu instid0(VALU_DEP_1) | instskip(SKIP_2) | instid1(VALU_DEP_3)
	v_lshlrev_b32_e32 v2, 20, v2
	v_lshlrev_b32_e32 v3, 24, v0
	v_lshl_add_u32 v9, v9, 23, 0x3c000000
	v_and_b32_e32 v2, 0x700000, v2
	s_delay_alu instid0(VALU_DEP_3) | instskip(NEXT) | instid1(VALU_DEP_1)
	v_and_b32_e32 v3, 0x80000000, v3
	v_or3_b32 v2, v2, v3, v9
.LBB405_1305:                           ;   in Loop: Header=BB405_616 Depth=1
	s_or_b32 exec_lo, exec_lo, s15
.LBB405_1306:                           ;   in Loop: Header=BB405_616 Depth=1
	s_delay_alu instid0(SALU_CYCLE_1)
	s_or_b32 exec_lo, exec_lo, s13
.LBB405_1307:                           ;   in Loop: Header=BB405_616 Depth=1
	s_delay_alu instid0(SALU_CYCLE_1) | instskip(NEXT) | instid1(VALU_DEP_1)
	s_or_b32 exec_lo, exec_lo, s12
	v_mul_f32_e32 v2, v8, v2
                                        ; implicit-def: $vgpr162
	s_delay_alu instid0(VALU_DEP_1) | instskip(NEXT) | instid1(VALU_DEP_1)
	v_and_b32_e32 v3, 0x7f800000, v2
	v_cmp_ne_u32_e64 s0, 0x7f800000, v3
	s_delay_alu instid0(VALU_DEP_1) | instskip(NEXT) | instid1(SALU_CYCLE_1)
	s_and_saveexec_b32 s12, s0
	s_xor_b32 s0, exec_lo, s12
; %bb.1308:                             ;   in Loop: Header=BB405_616 Depth=1
	v_bfe_u32 v3, v2, 16, 1
	s_delay_alu instid0(VALU_DEP_1)
	v_add3_u32 v162, v2, v3, 0x7fff
                                        ; implicit-def: $vgpr2
; %bb.1309:                             ;   in Loop: Header=BB405_616 Depth=1
	s_and_not1_saveexec_b32 s12, s0
; %bb.1310:                             ;   in Loop: Header=BB405_616 Depth=1
	v_and_b32_e32 v3, 0xffff, v2
	v_or_b32_e32 v9, 0x10000, v2
	s_delay_alu instid0(VALU_DEP_2) | instskip(NEXT) | instid1(VALU_DEP_1)
	v_cmp_eq_u32_e64 s0, 0, v3
	v_cndmask_b32_e64 v162, v9, v2, s0
; %bb.1311:                             ;   in Loop: Header=BB405_616 Depth=1
	s_or_b32 exec_lo, exec_lo, s12
	v_lshrrev_b16 v3, 8, v0
	v_mov_b32_e32 v2, 0
	s_mov_b32 s12, exec_lo
	s_delay_alu instid0(VALU_DEP_2)
	v_cmpx_ne_u16_e32 0, v3
	s_cbranch_execz .LBB405_1319
; %bb.1312:                             ;   in Loop: Header=BB405_616 Depth=1
	v_bfrev_b32_e32 v2, 1
	s_mov_b32 s13, exec_lo
	v_cmpx_ne_u16_e32 0x80, v3
	s_cbranch_execz .LBB405_1318
; %bb.1313:                             ;   in Loop: Header=BB405_616 Depth=1
	v_and_b32_e32 v9, 0xffff, v3
	v_mov_b32_e32 v2, 0x7f800001
	s_mov_b32 s15, exec_lo
	s_delay_alu instid0(VALU_DEP_2) | instskip(NEXT) | instid1(VALU_DEP_1)
	v_and_b32_e32 v3, 0x7f, v9
	v_cmpx_ne_u32_e32 0x7f, v3
	s_cbranch_execz .LBB405_1317
; %bb.1314:                             ;   in Loop: Header=BB405_616 Depth=1
	v_and_b32_e32 v9, 7, v9
	v_lshrrev_b32_e32 v2, 3, v3
	s_mov_b32 s17, exec_lo
	v_cmpx_gt_u32_e32 8, v3
; %bb.1315:                             ;   in Loop: Header=BB405_616 Depth=1
	s_delay_alu instid0(VALU_DEP_3) | instskip(NEXT) | instid1(VALU_DEP_1)
	v_clz_i32_u32_e32 v2, v9
	v_min_u32_e32 v2, 32, v2
	s_delay_alu instid0(VALU_DEP_1) | instskip(SKIP_1) | instid1(VALU_DEP_2)
	v_subrev_nc_u32_e32 v3, 28, v2
	v_sub_nc_u32_e32 v2, 29, v2
	v_lshlrev_b64 v[163:164], v3, v[9:10]
	s_delay_alu instid0(VALU_DEP_1)
	v_and_b32_e32 v9, 7, v163
; %bb.1316:                             ;   in Loop: Header=BB405_616 Depth=1
	s_or_b32 exec_lo, exec_lo, s17
	v_lshlrev_b32_e32 v3, 16, v0
	s_delay_alu instid0(VALU_DEP_2) | instskip(SKIP_1) | instid1(VALU_DEP_3)
	v_lshlrev_b32_e32 v9, 20, v9
	v_lshl_add_u32 v2, v2, 23, 0x3c000000
	v_and_b32_e32 v3, 0x80000000, v3
	s_delay_alu instid0(VALU_DEP_1)
	v_or3_b32 v2, v9, v3, v2
.LBB405_1317:                           ;   in Loop: Header=BB405_616 Depth=1
	s_or_b32 exec_lo, exec_lo, s15
.LBB405_1318:                           ;   in Loop: Header=BB405_616 Depth=1
	s_delay_alu instid0(SALU_CYCLE_1)
	s_or_b32 exec_lo, exec_lo, s13
.LBB405_1319:                           ;   in Loop: Header=BB405_616 Depth=1
	s_delay_alu instid0(SALU_CYCLE_1) | instskip(NEXT) | instid1(VALU_DEP_1)
	s_or_b32 exec_lo, exec_lo, s12
	v_mul_f32_e32 v2, v8, v2
                                        ; implicit-def: $vgpr163
	s_delay_alu instid0(VALU_DEP_1) | instskip(NEXT) | instid1(VALU_DEP_1)
	v_and_b32_e32 v3, 0x7f800000, v2
	v_cmp_ne_u32_e64 s0, 0x7f800000, v3
	s_delay_alu instid0(VALU_DEP_1) | instskip(NEXT) | instid1(SALU_CYCLE_1)
	s_and_saveexec_b32 s12, s0
	s_xor_b32 s0, exec_lo, s12
; %bb.1320:                             ;   in Loop: Header=BB405_616 Depth=1
	v_bfe_u32 v3, v2, 16, 1
	s_delay_alu instid0(VALU_DEP_1)
	v_add3_u32 v163, v2, v3, 0x7fff
                                        ; implicit-def: $vgpr2
; %bb.1321:                             ;   in Loop: Header=BB405_616 Depth=1
	s_and_not1_saveexec_b32 s12, s0
; %bb.1322:                             ;   in Loop: Header=BB405_616 Depth=1
	v_and_b32_e32 v3, 0xffff, v2
	v_or_b32_e32 v9, 0x10000, v2
	s_delay_alu instid0(VALU_DEP_2) | instskip(NEXT) | instid1(VALU_DEP_1)
	v_cmp_eq_u32_e64 s0, 0, v3
	v_cndmask_b32_e64 v163, v9, v2, s0
; %bb.1323:                             ;   in Loop: Header=BB405_616 Depth=1
	s_or_b32 exec_lo, exec_lo, s12
	v_lshrrev_b32_e32 v2, 16, v0
	v_mov_b32_e32 v3, 0
	s_mov_b32 s12, exec_lo
	s_delay_alu instid0(VALU_DEP_2) | instskip(NEXT) | instid1(VALU_DEP_1)
	v_and_b32_e32 v9, 0xff, v2
	v_cmpx_ne_u16_e32 0, v9
	s_cbranch_execz .LBB405_1331
; %bb.1324:                             ;   in Loop: Header=BB405_616 Depth=1
	v_bfrev_b32_e32 v3, 1
	s_mov_b32 s13, exec_lo
	v_cmpx_ne_u16_e32 0x80, v9
	s_cbranch_execz .LBB405_1330
; %bb.1325:                             ;   in Loop: Header=BB405_616 Depth=1
	v_bfe_u32 v164, v0, 16, 7
	v_mov_b32_e32 v3, 0x7f800001
	s_mov_b32 s15, exec_lo
	s_delay_alu instid0(VALU_DEP_2)
	v_cmpx_ne_u32_e32 0x7f, v164
	s_cbranch_execz .LBB405_1329
; %bb.1326:                             ;   in Loop: Header=BB405_616 Depth=1
	v_and_b32_e32 v9, 7, v2
	v_lshrrev_b32_e32 v3, 3, v164
	s_mov_b32 s17, exec_lo
	v_cmpx_gt_u32_e32 8, v164
; %bb.1327:                             ;   in Loop: Header=BB405_616 Depth=1
	s_delay_alu instid0(VALU_DEP_3) | instskip(NEXT) | instid1(VALU_DEP_1)
	v_clz_i32_u32_e32 v3, v9
	v_min_u32_e32 v3, 32, v3
	s_delay_alu instid0(VALU_DEP_1) | instskip(SKIP_1) | instid1(VALU_DEP_2)
	v_subrev_nc_u32_e32 v164, 28, v3
	v_sub_nc_u32_e32 v3, 29, v3
	v_lshlrev_b64 v[164:165], v164, v[9:10]
	s_delay_alu instid0(VALU_DEP_1)
	v_and_b32_e32 v9, 7, v164
; %bb.1328:                             ;   in Loop: Header=BB405_616 Depth=1
	s_or_b32 exec_lo, exec_lo, s17
	v_lshlrev_b32_e32 v2, 24, v2
	s_delay_alu instid0(VALU_DEP_2) | instskip(SKIP_1) | instid1(VALU_DEP_3)
	v_lshlrev_b32_e32 v9, 20, v9
	v_lshl_add_u32 v3, v3, 23, 0x3c000000
	v_and_b32_e32 v2, 0x80000000, v2
	s_delay_alu instid0(VALU_DEP_1)
	v_or3_b32 v3, v9, v2, v3
.LBB405_1329:                           ;   in Loop: Header=BB405_616 Depth=1
	s_or_b32 exec_lo, exec_lo, s15
.LBB405_1330:                           ;   in Loop: Header=BB405_616 Depth=1
	s_delay_alu instid0(SALU_CYCLE_1)
	s_or_b32 exec_lo, exec_lo, s13
.LBB405_1331:                           ;   in Loop: Header=BB405_616 Depth=1
	s_delay_alu instid0(SALU_CYCLE_1) | instskip(NEXT) | instid1(VALU_DEP_1)
	s_or_b32 exec_lo, exec_lo, s12
	v_mul_f32_e32 v2, v8, v3
                                        ; implicit-def: $vgpr164
	s_delay_alu instid0(VALU_DEP_1) | instskip(NEXT) | instid1(VALU_DEP_1)
	v_and_b32_e32 v3, 0x7f800000, v2
	v_cmp_ne_u32_e64 s0, 0x7f800000, v3
	s_delay_alu instid0(VALU_DEP_1) | instskip(NEXT) | instid1(SALU_CYCLE_1)
	s_and_saveexec_b32 s12, s0
	s_xor_b32 s0, exec_lo, s12
; %bb.1332:                             ;   in Loop: Header=BB405_616 Depth=1
	v_bfe_u32 v3, v2, 16, 1
	s_delay_alu instid0(VALU_DEP_1)
	v_add3_u32 v164, v2, v3, 0x7fff
                                        ; implicit-def: $vgpr2
; %bb.1333:                             ;   in Loop: Header=BB405_616 Depth=1
	s_and_not1_saveexec_b32 s12, s0
; %bb.1334:                             ;   in Loop: Header=BB405_616 Depth=1
	v_and_b32_e32 v3, 0xffff, v2
	v_or_b32_e32 v9, 0x10000, v2
	s_delay_alu instid0(VALU_DEP_2) | instskip(NEXT) | instid1(VALU_DEP_1)
	v_cmp_eq_u32_e64 s0, 0, v3
	v_cndmask_b32_e64 v164, v9, v2, s0
; %bb.1335:                             ;   in Loop: Header=BB405_616 Depth=1
	s_or_b32 exec_lo, exec_lo, s12
	v_mov_b32_e32 v3, 0
	s_mov_b32 s12, exec_lo
	v_cmpx_lt_u32_e32 0xffffff, v0
	s_cbranch_execz .LBB405_1343
; %bb.1336:                             ;   in Loop: Header=BB405_616 Depth=1
	v_lshrrev_b32_e32 v2, 24, v0
	v_bfrev_b32_e32 v3, 1
	s_mov_b32 s13, exec_lo
	s_delay_alu instid0(VALU_DEP_2)
	v_cmpx_ne_u32_e32 0x80, v2
	s_cbranch_execz .LBB405_1342
; %bb.1337:                             ;   in Loop: Header=BB405_616 Depth=1
	v_bfe_u32 v165, v0, 24, 7
	v_mov_b32_e32 v3, 0x7f800001
	s_mov_b32 s15, exec_lo
	s_delay_alu instid0(VALU_DEP_2)
	v_cmpx_ne_u32_e32 0x7f, v165
	s_cbranch_execz .LBB405_1341
; %bb.1338:                             ;   in Loop: Header=BB405_616 Depth=1
	v_and_b32_e32 v9, 7, v2
	v_lshrrev_b32_e32 v3, 3, v165
	s_mov_b32 s17, exec_lo
	v_cmpx_gt_u32_e32 8, v165
; %bb.1339:                             ;   in Loop: Header=BB405_616 Depth=1
	s_delay_alu instid0(VALU_DEP_3) | instskip(NEXT) | instid1(VALU_DEP_1)
	v_clz_i32_u32_e32 v3, v9
	v_min_u32_e32 v3, 32, v3
	s_delay_alu instid0(VALU_DEP_1) | instskip(SKIP_1) | instid1(VALU_DEP_2)
	v_subrev_nc_u32_e32 v165, 28, v3
	v_sub_nc_u32_e32 v3, 29, v3
	v_lshlrev_b64 v[165:166], v165, v[9:10]
	s_delay_alu instid0(VALU_DEP_1)
	v_and_b32_e32 v9, 7, v165
; %bb.1340:                             ;   in Loop: Header=BB405_616 Depth=1
	s_or_b32 exec_lo, exec_lo, s17
	v_lshlrev_b32_e32 v2, 24, v2
	s_delay_alu instid0(VALU_DEP_2) | instskip(SKIP_1) | instid1(VALU_DEP_3)
	v_lshlrev_b32_e32 v9, 20, v9
	v_lshl_add_u32 v3, v3, 23, 0x3c000000
	v_and_b32_e32 v2, 0x80000000, v2
	s_delay_alu instid0(VALU_DEP_1)
	v_or3_b32 v3, v9, v2, v3
.LBB405_1341:                           ;   in Loop: Header=BB405_616 Depth=1
	s_or_b32 exec_lo, exec_lo, s15
.LBB405_1342:                           ;   in Loop: Header=BB405_616 Depth=1
	s_delay_alu instid0(SALU_CYCLE_1)
	s_or_b32 exec_lo, exec_lo, s13
.LBB405_1343:                           ;   in Loop: Header=BB405_616 Depth=1
	s_delay_alu instid0(SALU_CYCLE_1) | instskip(NEXT) | instid1(VALU_DEP_1)
	s_or_b32 exec_lo, exec_lo, s12
	v_mul_f32_e32 v2, v8, v3
                                        ; implicit-def: $vgpr165
	s_delay_alu instid0(VALU_DEP_1) | instskip(NEXT) | instid1(VALU_DEP_1)
	v_and_b32_e32 v3, 0x7f800000, v2
	v_cmp_ne_u32_e64 s0, 0x7f800000, v3
	s_delay_alu instid0(VALU_DEP_1) | instskip(NEXT) | instid1(SALU_CYCLE_1)
	s_and_saveexec_b32 s12, s0
	s_xor_b32 s0, exec_lo, s12
; %bb.1344:                             ;   in Loop: Header=BB405_616 Depth=1
	v_bfe_u32 v3, v2, 16, 1
	s_delay_alu instid0(VALU_DEP_1)
	v_add3_u32 v165, v2, v3, 0x7fff
                                        ; implicit-def: $vgpr2
; %bb.1345:                             ;   in Loop: Header=BB405_616 Depth=1
	s_and_not1_saveexec_b32 s12, s0
; %bb.1346:                             ;   in Loop: Header=BB405_616 Depth=1
	v_and_b32_e32 v3, 0xffff, v2
	v_or_b32_e32 v9, 0x10000, v2
	s_delay_alu instid0(VALU_DEP_2) | instskip(NEXT) | instid1(VALU_DEP_1)
	v_cmp_eq_u32_e64 s0, 0, v3
	v_cndmask_b32_e64 v165, v9, v2, s0
; %bb.1347:                             ;   in Loop: Header=BB405_616 Depth=1
	s_or_b32 exec_lo, exec_lo, s12
	v_dual_mov_b32 v2, 0 :: v_dual_and_b32 v3, 0xff, v1
	v_mov_b32_e32 v9, v1
	s_mov_b32 s12, exec_lo
	s_delay_alu instid0(VALU_DEP_2)
	v_cmpx_ne_u16_e32 0, v3
	s_cbranch_execz .LBB405_1355
; %bb.1348:                             ;   in Loop: Header=BB405_616 Depth=1
	v_bfrev_b32_e32 v2, 1
	s_mov_b32 s13, exec_lo
	v_cmpx_ne_u16_e32 0x80, v3
	s_cbranch_execz .LBB405_1354
; %bb.1349:                             ;   in Loop: Header=BB405_616 Depth=1
	v_and_b32_e32 v3, 0x7f, v1
	v_mov_b32_e32 v2, 0x7f800001
	s_mov_b32 s15, exec_lo
	s_delay_alu instid0(VALU_DEP_2)
	v_cmpx_ne_u32_e32 0x7f, v3
	s_cbranch_execz .LBB405_1353
; %bb.1350:                             ;   in Loop: Header=BB405_616 Depth=1
	v_lshrrev_b32_e32 v166, 3, v3
	v_cmp_gt_u32_e64 s0, 8, v3
	v_dual_mov_b32 v2, v9 :: v_dual_mov_b32 v3, v10
	s_delay_alu instid0(VALU_DEP_2)
	s_and_saveexec_b32 s17, s0
; %bb.1351:                             ;   in Loop: Header=BB405_616 Depth=1
	v_and_b32_e32 v2, 7, v1
	s_delay_alu instid0(VALU_DEP_1) | instskip(NEXT) | instid1(VALU_DEP_1)
	v_clz_i32_u32_e32 v2, v2
	v_min_u32_e32 v166, 32, v2
	s_delay_alu instid0(VALU_DEP_1) | instskip(SKIP_1) | instid1(VALU_DEP_2)
	v_subrev_nc_u32_e32 v2, 28, v166
	v_sub_nc_u32_e32 v166, 29, v166
	v_lshlrev_b64 v[2:3], v2, v[9:10]
; %bb.1352:                             ;   in Loop: Header=BB405_616 Depth=1
	s_or_b32 exec_lo, exec_lo, s17
	s_delay_alu instid0(VALU_DEP_1) | instskip(SKIP_2) | instid1(VALU_DEP_3)
	v_lshlrev_b32_e32 v2, 20, v2
	v_lshlrev_b32_e32 v3, 24, v9
	v_lshl_add_u32 v166, v166, 23, 0x3c000000
	v_and_b32_e32 v2, 0x700000, v2
	s_delay_alu instid0(VALU_DEP_3) | instskip(NEXT) | instid1(VALU_DEP_1)
	v_and_b32_e32 v3, 0x80000000, v3
	v_or3_b32 v2, v2, v3, v166
.LBB405_1353:                           ;   in Loop: Header=BB405_616 Depth=1
	s_or_b32 exec_lo, exec_lo, s15
.LBB405_1354:                           ;   in Loop: Header=BB405_616 Depth=1
	s_delay_alu instid0(SALU_CYCLE_1)
	s_or_b32 exec_lo, exec_lo, s13
.LBB405_1355:                           ;   in Loop: Header=BB405_616 Depth=1
	s_delay_alu instid0(SALU_CYCLE_1) | instskip(NEXT) | instid1(VALU_DEP_1)
	s_or_b32 exec_lo, exec_lo, s12
	v_mul_f32_e32 v2, v8, v2
                                        ; implicit-def: $vgpr166
	s_delay_alu instid0(VALU_DEP_1) | instskip(NEXT) | instid1(VALU_DEP_1)
	v_and_b32_e32 v3, 0x7f800000, v2
	v_cmp_ne_u32_e64 s0, 0x7f800000, v3
	s_delay_alu instid0(VALU_DEP_1) | instskip(NEXT) | instid1(SALU_CYCLE_1)
	s_and_saveexec_b32 s12, s0
	s_xor_b32 s0, exec_lo, s12
; %bb.1356:                             ;   in Loop: Header=BB405_616 Depth=1
	v_bfe_u32 v3, v2, 16, 1
	s_delay_alu instid0(VALU_DEP_1)
	v_add3_u32 v166, v2, v3, 0x7fff
                                        ; implicit-def: $vgpr2
; %bb.1357:                             ;   in Loop: Header=BB405_616 Depth=1
	s_and_not1_saveexec_b32 s12, s0
; %bb.1358:                             ;   in Loop: Header=BB405_616 Depth=1
	v_and_b32_e32 v3, 0xffff, v2
	v_or_b32_e32 v166, 0x10000, v2
	s_delay_alu instid0(VALU_DEP_2) | instskip(NEXT) | instid1(VALU_DEP_1)
	v_cmp_eq_u32_e64 s0, 0, v3
	v_cndmask_b32_e64 v166, v166, v2, s0
; %bb.1359:                             ;   in Loop: Header=BB405_616 Depth=1
	s_or_b32 exec_lo, exec_lo, s12
	v_lshrrev_b16 v3, 8, v9
	v_mov_b32_e32 v2, 0
	s_mov_b32 s12, exec_lo
	s_delay_alu instid0(VALU_DEP_2)
	v_cmpx_ne_u16_e32 0, v3
	s_cbranch_execz .LBB405_1367
; %bb.1360:                             ;   in Loop: Header=BB405_616 Depth=1
	v_bfrev_b32_e32 v2, 1
	s_mov_b32 s13, exec_lo
	v_cmpx_ne_u16_e32 0x80, v3
	s_cbranch_execz .LBB405_1366
; %bb.1361:                             ;   in Loop: Header=BB405_616 Depth=1
	v_and_b32_e32 v3, 0xffff, v3
	v_mov_b32_e32 v2, 0x7f800001
	s_mov_b32 s15, exec_lo
	s_delay_alu instid0(VALU_DEP_2) | instskip(NEXT) | instid1(VALU_DEP_1)
	v_and_b32_e32 v176, 0x7f, v3
	v_cmpx_ne_u32_e32 0x7f, v176
	s_cbranch_execz .LBB405_1365
; %bb.1362:                             ;   in Loop: Header=BB405_616 Depth=1
	v_dual_mov_b32 v3, v10 :: v_dual_and_b32 v2, 7, v3
	v_lshrrev_b32_e32 v167, 3, v176
	s_mov_b32 s17, exec_lo
	v_cmpx_gt_u32_e32 8, v176
; %bb.1363:                             ;   in Loop: Header=BB405_616 Depth=1
	s_delay_alu instid0(VALU_DEP_3) | instskip(NEXT) | instid1(VALU_DEP_1)
	v_clz_i32_u32_e32 v167, v2
	v_min_u32_e32 v167, 32, v167
	s_delay_alu instid0(VALU_DEP_1) | instskip(SKIP_1) | instid1(VALU_DEP_2)
	v_subrev_nc_u32_e32 v176, 28, v167
	v_sub_nc_u32_e32 v167, 29, v167
	v_lshlrev_b64 v[2:3], v176, v[2:3]
	s_delay_alu instid0(VALU_DEP_1)
	v_and_b32_e32 v2, 7, v2
; %bb.1364:                             ;   in Loop: Header=BB405_616 Depth=1
	s_or_b32 exec_lo, exec_lo, s17
	v_lshlrev_b32_e32 v3, 16, v9
	s_delay_alu instid0(VALU_DEP_2) | instskip(SKIP_1) | instid1(VALU_DEP_3)
	v_lshlrev_b32_e32 v2, 20, v2
	v_lshl_add_u32 v9, v167, 23, 0x3c000000
	v_and_b32_e32 v3, 0x80000000, v3
	s_delay_alu instid0(VALU_DEP_1)
	v_or3_b32 v2, v2, v3, v9
.LBB405_1365:                           ;   in Loop: Header=BB405_616 Depth=1
	s_or_b32 exec_lo, exec_lo, s15
.LBB405_1366:                           ;   in Loop: Header=BB405_616 Depth=1
	s_delay_alu instid0(SALU_CYCLE_1)
	s_or_b32 exec_lo, exec_lo, s13
.LBB405_1367:                           ;   in Loop: Header=BB405_616 Depth=1
	s_delay_alu instid0(SALU_CYCLE_1) | instskip(NEXT) | instid1(VALU_DEP_1)
	s_or_b32 exec_lo, exec_lo, s12
	v_mul_f32_e32 v3, v8, v2
	s_delay_alu instid0(VALU_DEP_1) | instskip(NEXT) | instid1(VALU_DEP_1)
	v_and_b32_e32 v2, 0x7f800000, v3
	v_cmp_ne_u32_e64 s0, 0x7f800000, v2
                                        ; implicit-def: $vgpr2
	s_delay_alu instid0(VALU_DEP_1) | instskip(NEXT) | instid1(SALU_CYCLE_1)
	s_and_saveexec_b32 s12, s0
	s_xor_b32 s0, exec_lo, s12
; %bb.1368:                             ;   in Loop: Header=BB405_616 Depth=1
	v_bfe_u32 v2, v3, 16, 1
	s_delay_alu instid0(VALU_DEP_1)
	v_add3_u32 v2, v3, v2, 0x7fff
                                        ; implicit-def: $vgpr3
; %bb.1369:                             ;   in Loop: Header=BB405_616 Depth=1
	s_and_not1_saveexec_b32 s12, s0
; %bb.1370:                             ;   in Loop: Header=BB405_616 Depth=1
	v_and_b32_e32 v2, 0xffff, v3
	v_or_b32_e32 v9, 0x10000, v3
	s_delay_alu instid0(VALU_DEP_2) | instskip(NEXT) | instid1(VALU_DEP_1)
	v_cmp_eq_u32_e64 s0, 0, v2
	v_cndmask_b32_e64 v2, v9, v3, s0
; %bb.1371:                             ;   in Loop: Header=BB405_616 Depth=1
	s_or_b32 exec_lo, exec_lo, s12
	v_lshrrev_b32_e32 v3, 16, v1
	v_mov_b32_e32 v9, 0
	s_mov_b32 s12, exec_lo
	s_delay_alu instid0(VALU_DEP_2) | instskip(NEXT) | instid1(VALU_DEP_1)
	v_and_b32_e32 v167, 0xff, v3
	v_cmpx_ne_u16_e64 0, v167
	s_cbranch_execz .LBB405_1379
; %bb.1372:                             ;   in Loop: Header=BB405_616 Depth=1
	v_bfrev_b32_e32 v9, 1
	s_mov_b32 s13, exec_lo
	v_cmpx_ne_u16_e64 0x80, v167
	s_cbranch_execz .LBB405_1378
; %bb.1373:                             ;   in Loop: Header=BB405_616 Depth=1
	v_bfe_u32 v176, v1, 16, 7
	v_mov_b32_e32 v9, 0x7f800001
	s_mov_b32 s15, exec_lo
	s_delay_alu instid0(VALU_DEP_2)
	v_cmpx_ne_u32_e32 0x7f, v176
	s_cbranch_execz .LBB405_1377
; %bb.1374:                             ;   in Loop: Header=BB405_616 Depth=1
	v_and_b32_e32 v9, 7, v3
	v_lshrrev_b32_e32 v167, 3, v176
	s_mov_b32 s17, exec_lo
	v_cmpx_gt_u32_e32 8, v176
; %bb.1375:                             ;   in Loop: Header=BB405_616 Depth=1
	s_delay_alu instid0(VALU_DEP_3) | instskip(NEXT) | instid1(VALU_DEP_1)
	v_clz_i32_u32_e32 v167, v9
	v_min_u32_e32 v167, 32, v167
	s_delay_alu instid0(VALU_DEP_1) | instskip(SKIP_1) | instid1(VALU_DEP_2)
	v_subrev_nc_u32_e32 v176, 28, v167
	v_sub_nc_u32_e32 v167, 29, v167
	v_lshlrev_b64 v[176:177], v176, v[9:10]
	s_delay_alu instid0(VALU_DEP_1)
	v_and_b32_e32 v9, 7, v176
; %bb.1376:                             ;   in Loop: Header=BB405_616 Depth=1
	s_or_b32 exec_lo, exec_lo, s17
	v_lshlrev_b32_e32 v3, 24, v3
	s_delay_alu instid0(VALU_DEP_2) | instskip(SKIP_1) | instid1(VALU_DEP_3)
	v_lshlrev_b32_e32 v9, 20, v9
	v_lshl_add_u32 v167, v167, 23, 0x3c000000
	v_and_b32_e32 v3, 0x80000000, v3
	s_delay_alu instid0(VALU_DEP_1)
	v_or3_b32 v9, v9, v3, v167
.LBB405_1377:                           ;   in Loop: Header=BB405_616 Depth=1
	s_or_b32 exec_lo, exec_lo, s15
.LBB405_1378:                           ;   in Loop: Header=BB405_616 Depth=1
	s_delay_alu instid0(SALU_CYCLE_1)
	s_or_b32 exec_lo, exec_lo, s13
.LBB405_1379:                           ;   in Loop: Header=BB405_616 Depth=1
	s_delay_alu instid0(SALU_CYCLE_1) | instskip(NEXT) | instid1(VALU_DEP_1)
	s_or_b32 exec_lo, exec_lo, s12
	v_mul_f32_e32 v9, v8, v9
	s_delay_alu instid0(VALU_DEP_1) | instskip(NEXT) | instid1(VALU_DEP_1)
	v_and_b32_e32 v3, 0x7f800000, v9
	v_cmp_ne_u32_e64 s0, 0x7f800000, v3
                                        ; implicit-def: $vgpr3
	s_delay_alu instid0(VALU_DEP_1) | instskip(NEXT) | instid1(SALU_CYCLE_1)
	s_and_saveexec_b32 s12, s0
	s_xor_b32 s0, exec_lo, s12
; %bb.1380:                             ;   in Loop: Header=BB405_616 Depth=1
	v_bfe_u32 v3, v9, 16, 1
	s_delay_alu instid0(VALU_DEP_1)
	v_add3_u32 v3, v9, v3, 0x7fff
                                        ; implicit-def: $vgpr9
; %bb.1381:                             ;   in Loop: Header=BB405_616 Depth=1
	s_and_not1_saveexec_b32 s12, s0
; %bb.1382:                             ;   in Loop: Header=BB405_616 Depth=1
	v_and_b32_e32 v3, 0xffff, v9
	v_or_b32_e32 v167, 0x10000, v9
	s_delay_alu instid0(VALU_DEP_2) | instskip(NEXT) | instid1(VALU_DEP_1)
	v_cmp_eq_u32_e64 s0, 0, v3
	v_cndmask_b32_e64 v3, v167, v9, s0
; %bb.1383:                             ;   in Loop: Header=BB405_616 Depth=1
	s_or_b32 exec_lo, exec_lo, s12
	v_mov_b32_e32 v9, 0
	s_mov_b32 s12, exec_lo
	v_cmpx_lt_u64_e64 s[8:9], v[0:1]
	s_cbranch_execz .LBB405_1391
; %bb.1384:                             ;   in Loop: Header=BB405_616 Depth=1
	v_lshrrev_b32_e32 v0, 24, v1
	v_bfrev_b32_e32 v9, 1
	s_mov_b32 s13, exec_lo
	s_delay_alu instid0(VALU_DEP_2)
	v_cmpx_ne_u32_e32 0x80, v0
	s_cbranch_execz .LBB405_1390
; %bb.1385:                             ;   in Loop: Header=BB405_616 Depth=1
	v_bfe_u32 v167, v1, 24, 7
	v_mov_b32_e32 v9, 0x7f800001
	s_mov_b32 s15, exec_lo
	s_delay_alu instid0(VALU_DEP_2)
	v_cmpx_ne_u32_e32 0x7f, v167
	s_cbranch_execz .LBB405_1389
; %bb.1386:                             ;   in Loop: Header=BB405_616 Depth=1
	v_and_b32_e32 v9, 7, v0
	v_lshrrev_b32_e32 v1, 3, v167
	s_mov_b32 s17, exec_lo
	v_cmpx_gt_u32_e32 8, v167
; %bb.1387:                             ;   in Loop: Header=BB405_616 Depth=1
	s_delay_alu instid0(VALU_DEP_3) | instskip(NEXT) | instid1(VALU_DEP_1)
	v_clz_i32_u32_e32 v1, v9
	v_min_u32_e32 v1, 32, v1
	s_delay_alu instid0(VALU_DEP_1) | instskip(SKIP_1) | instid1(VALU_DEP_2)
	v_subrev_nc_u32_e32 v167, 28, v1
	v_sub_nc_u32_e32 v1, 29, v1
	v_lshlrev_b64 v[176:177], v167, v[9:10]
	s_delay_alu instid0(VALU_DEP_1)
	v_and_b32_e32 v9, 7, v176
; %bb.1388:                             ;   in Loop: Header=BB405_616 Depth=1
	s_or_b32 exec_lo, exec_lo, s17
	v_lshlrev_b32_e32 v0, 24, v0
	s_delay_alu instid0(VALU_DEP_2) | instskip(SKIP_1) | instid1(VALU_DEP_3)
	v_lshlrev_b32_e32 v9, 20, v9
	v_lshl_add_u32 v1, v1, 23, 0x3c000000
	v_and_b32_e32 v0, 0x80000000, v0
	s_delay_alu instid0(VALU_DEP_1)
	v_or3_b32 v9, v9, v0, v1
.LBB405_1389:                           ;   in Loop: Header=BB405_616 Depth=1
	s_or_b32 exec_lo, exec_lo, s15
.LBB405_1390:                           ;   in Loop: Header=BB405_616 Depth=1
	s_delay_alu instid0(SALU_CYCLE_1)
	s_or_b32 exec_lo, exec_lo, s13
.LBB405_1391:                           ;   in Loop: Header=BB405_616 Depth=1
	s_delay_alu instid0(SALU_CYCLE_1) | instskip(NEXT) | instid1(VALU_DEP_1)
	s_or_b32 exec_lo, exec_lo, s12
	v_mul_f32_e32 v0, v8, v9
                                        ; implicit-def: $vgpr176
	s_delay_alu instid0(VALU_DEP_1) | instskip(NEXT) | instid1(VALU_DEP_1)
	v_and_b32_e32 v1, 0x7f800000, v0
	v_cmp_ne_u32_e64 s0, 0x7f800000, v1
	s_delay_alu instid0(VALU_DEP_1) | instskip(NEXT) | instid1(SALU_CYCLE_1)
	s_and_saveexec_b32 s12, s0
	s_xor_b32 s0, exec_lo, s12
; %bb.1392:                             ;   in Loop: Header=BB405_616 Depth=1
	v_bfe_u32 v1, v0, 16, 1
	s_delay_alu instid0(VALU_DEP_1)
	v_add3_u32 v176, v0, v1, 0x7fff
                                        ; implicit-def: $vgpr0
; %bb.1393:                             ;   in Loop: Header=BB405_616 Depth=1
	s_and_not1_saveexec_b32 s12, s0
; %bb.1394:                             ;   in Loop: Header=BB405_616 Depth=1
	v_and_b32_e32 v1, 0xffff, v0
	v_or_b32_e32 v8, 0x10000, v0
	s_delay_alu instid0(VALU_DEP_2) | instskip(NEXT) | instid1(VALU_DEP_1)
	v_cmp_eq_u32_e64 s0, 0, v1
	v_cndmask_b32_e64 v176, v8, v0, s0
; %bb.1395:                             ;   in Loop: Header=BB405_616 Depth=1
	s_or_b32 exec_lo, exec_lo, s12
	v_lshrrev_b32_e32 v167, 16, v2
	v_lshrrev_b32_e32 v166, 16, v166
	;; [unrolled: 1-line block ×8, first 2 shown]
	s_and_saveexec_b32 s0, vcc_lo
	s_cbranch_execz .LBB405_1397
; %bb.1396:                             ;   in Loop: Header=BB405_616 Depth=1
	v_cmp_lt_i32_e32 vcc_lo, v51, v83
	v_cndmask_b32_e32 v0, 0, v0, vcc_lo
	v_cmp_lt_i32_e32 vcc_lo, v67, v83
	v_cndmask_b32_e32 v1, 0, v1, vcc_lo
	v_cmp_lt_i32_e32 vcc_lo, v66, v83
	v_cndmask_b32_e32 v2, 0, v2, vcc_lo
	v_cmp_lt_i32_e32 vcc_lo, v65, v83
	v_cndmask_b32_e32 v8, 0, v8, vcc_lo
	v_cmp_lt_i32_e32 vcc_lo, v55, v83
	v_cndmask_b32_e32 v166, 0, v166, vcc_lo
	v_cmp_lt_i32_e32 vcc_lo, v54, v83
	v_cndmask_b32_e32 v167, 0, v167, vcc_lo
	v_cmp_lt_i32_e32 vcc_lo, v53, v83
	v_cndmask_b32_e32 v9, 0, v9, vcc_lo
	v_cmp_lt_i32_e32 vcc_lo, v52, v83
	v_cndmask_b32_e32 v3, 0, v3, vcc_lo
.LBB405_1397:                           ;   in Loop: Header=BB405_616 Depth=1
	s_or_b32 exec_lo, exec_lo, s0
	v_lshlrev_b32_e32 v0, 16, v0
	s_delay_alu instid0(VALU_DEP_1) | instskip(NEXT) | instid1(VALU_DEP_1)
	v_mul_f32_e32 v51, v68, v0
	v_and_b32_e32 v0, 0x7f800000, v51
	s_delay_alu instid0(VALU_DEP_1) | instskip(SKIP_1) | instid1(SALU_CYCLE_1)
	v_cmp_ne_u32_e32 vcc_lo, 0x7f800000, v0
                                        ; implicit-def: $vgpr0
	s_and_saveexec_b32 s0, vcc_lo
	s_xor_b32 s0, exec_lo, s0
; %bb.1398:                             ;   in Loop: Header=BB405_616 Depth=1
	v_bfe_u32 v0, v51, 16, 1
	s_delay_alu instid0(VALU_DEP_1)
	v_add3_u32 v0, v51, v0, 0x7fff
                                        ; implicit-def: $vgpr51
; %bb.1399:                             ;   in Loop: Header=BB405_616 Depth=1
	s_and_not1_saveexec_b32 s0, s0
; %bb.1400:                             ;   in Loop: Header=BB405_616 Depth=1
	v_and_b32_e32 v0, 0xffff, v51
	v_or_b32_e32 v52, 0x10000, v51
	s_delay_alu instid0(VALU_DEP_2) | instskip(NEXT) | instid1(VALU_DEP_2)
	v_cmp_eq_u32_e32 vcc_lo, 0, v0
	v_cndmask_b32_e32 v0, v52, v51, vcc_lo
; %bb.1401:                             ;   in Loop: Header=BB405_616 Depth=1
	s_or_b32 exec_lo, exec_lo, s0
	v_lshlrev_b32_e32 v1, 16, v1
	s_delay_alu instid0(VALU_DEP_1) | instskip(NEXT) | instid1(VALU_DEP_1)
	v_mul_f32_e32 v51, v69, v1
	v_and_b32_e32 v1, 0x7f800000, v51
	s_delay_alu instid0(VALU_DEP_1) | instskip(SKIP_1) | instid1(SALU_CYCLE_1)
	v_cmp_ne_u32_e32 vcc_lo, 0x7f800000, v1
                                        ; implicit-def: $vgpr1
	s_and_saveexec_b32 s0, vcc_lo
	s_xor_b32 s0, exec_lo, s0
; %bb.1402:                             ;   in Loop: Header=BB405_616 Depth=1
	v_bfe_u32 v1, v51, 16, 1
	s_delay_alu instid0(VALU_DEP_1)
	v_add3_u32 v1, v51, v1, 0x7fff
                                        ; implicit-def: $vgpr51
; %bb.1403:                             ;   in Loop: Header=BB405_616 Depth=1
	s_and_not1_saveexec_b32 s0, s0
; %bb.1404:                             ;   in Loop: Header=BB405_616 Depth=1
	v_and_b32_e32 v1, 0xffff, v51
	v_or_b32_e32 v52, 0x10000, v51
	s_delay_alu instid0(VALU_DEP_2) | instskip(NEXT) | instid1(VALU_DEP_2)
	v_cmp_eq_u32_e32 vcc_lo, 0, v1
	v_cndmask_b32_e32 v1, v52, v51, vcc_lo
; %bb.1405:                             ;   in Loop: Header=BB405_616 Depth=1
	s_or_b32 exec_lo, exec_lo, s0
	v_lshlrev_b32_e32 v2, 16, v2
	s_delay_alu instid0(VALU_DEP_1) | instskip(NEXT) | instid1(VALU_DEP_1)
	v_mul_f32_e32 v51, v70, v2
	v_and_b32_e32 v2, 0x7f800000, v51
	s_delay_alu instid0(VALU_DEP_1) | instskip(SKIP_1) | instid1(SALU_CYCLE_1)
	v_cmp_ne_u32_e32 vcc_lo, 0x7f800000, v2
                                        ; implicit-def: $vgpr2
	s_and_saveexec_b32 s0, vcc_lo
	s_xor_b32 s0, exec_lo, s0
; %bb.1406:                             ;   in Loop: Header=BB405_616 Depth=1
	v_bfe_u32 v2, v51, 16, 1
	s_delay_alu instid0(VALU_DEP_1)
	v_add3_u32 v2, v51, v2, 0x7fff
                                        ; implicit-def: $vgpr51
; %bb.1407:                             ;   in Loop: Header=BB405_616 Depth=1
	s_and_not1_saveexec_b32 s0, s0
; %bb.1408:                             ;   in Loop: Header=BB405_616 Depth=1
	v_and_b32_e32 v2, 0xffff, v51
	v_or_b32_e32 v52, 0x10000, v51
	s_delay_alu instid0(VALU_DEP_2) | instskip(NEXT) | instid1(VALU_DEP_2)
	v_cmp_eq_u32_e32 vcc_lo, 0, v2
	v_cndmask_b32_e32 v2, v52, v51, vcc_lo
; %bb.1409:                             ;   in Loop: Header=BB405_616 Depth=1
	s_or_b32 exec_lo, exec_lo, s0
	v_lshlrev_b32_e32 v8, 16, v8
	s_delay_alu instid0(VALU_DEP_1) | instskip(NEXT) | instid1(VALU_DEP_1)
	v_mul_f32_e32 v51, v71, v8
	v_and_b32_e32 v8, 0x7f800000, v51
	s_delay_alu instid0(VALU_DEP_1) | instskip(SKIP_1) | instid1(SALU_CYCLE_1)
	v_cmp_ne_u32_e32 vcc_lo, 0x7f800000, v8
                                        ; implicit-def: $vgpr8
	s_and_saveexec_b32 s0, vcc_lo
	s_xor_b32 s0, exec_lo, s0
; %bb.1410:                             ;   in Loop: Header=BB405_616 Depth=1
	v_bfe_u32 v8, v51, 16, 1
	s_delay_alu instid0(VALU_DEP_1)
	v_add3_u32 v8, v51, v8, 0x7fff
                                        ; implicit-def: $vgpr51
; %bb.1411:                             ;   in Loop: Header=BB405_616 Depth=1
	s_and_not1_saveexec_b32 s0, s0
; %bb.1412:                             ;   in Loop: Header=BB405_616 Depth=1
	v_and_b32_e32 v8, 0xffff, v51
	v_or_b32_e32 v52, 0x10000, v51
	s_delay_alu instid0(VALU_DEP_2) | instskip(NEXT) | instid1(VALU_DEP_2)
	v_cmp_eq_u32_e32 vcc_lo, 0, v8
	v_cndmask_b32_e32 v8, v52, v51, vcc_lo
; %bb.1413:                             ;   in Loop: Header=BB405_616 Depth=1
	s_or_b32 exec_lo, exec_lo, s0
	v_lshlrev_b32_e32 v51, 16, v166
	s_delay_alu instid0(VALU_DEP_1) | instskip(NEXT) | instid1(VALU_DEP_1)
	v_mul_f32_e32 v52, v80, v51
	v_and_b32_e32 v51, 0x7f800000, v52
	s_delay_alu instid0(VALU_DEP_1) | instskip(SKIP_1) | instid1(SALU_CYCLE_1)
	v_cmp_ne_u32_e32 vcc_lo, 0x7f800000, v51
                                        ; implicit-def: $vgpr51
	s_and_saveexec_b32 s0, vcc_lo
	s_xor_b32 s0, exec_lo, s0
; %bb.1414:                             ;   in Loop: Header=BB405_616 Depth=1
	v_bfe_u32 v51, v52, 16, 1
	s_delay_alu instid0(VALU_DEP_1)
	v_add3_u32 v51, v52, v51, 0x7fff
                                        ; implicit-def: $vgpr52
; %bb.1415:                             ;   in Loop: Header=BB405_616 Depth=1
	s_and_not1_saveexec_b32 s0, s0
; %bb.1416:                             ;   in Loop: Header=BB405_616 Depth=1
	v_and_b32_e32 v51, 0xffff, v52
	v_or_b32_e32 v53, 0x10000, v52
	s_delay_alu instid0(VALU_DEP_2) | instskip(NEXT) | instid1(VALU_DEP_2)
	v_cmp_eq_u32_e32 vcc_lo, 0, v51
	v_cndmask_b32_e32 v51, v53, v52, vcc_lo
; %bb.1417:                             ;   in Loop: Header=BB405_616 Depth=1
	s_or_b32 exec_lo, exec_lo, s0
	v_lshlrev_b32_e32 v52, 16, v167
	s_delay_alu instid0(VALU_DEP_1) | instskip(NEXT) | instid1(VALU_DEP_1)
	v_mul_f32_e32 v53, v81, v52
	v_and_b32_e32 v52, 0x7f800000, v53
	s_delay_alu instid0(VALU_DEP_1) | instskip(SKIP_1) | instid1(SALU_CYCLE_1)
	v_cmp_ne_u32_e32 vcc_lo, 0x7f800000, v52
                                        ; implicit-def: $vgpr52
	s_and_saveexec_b32 s0, vcc_lo
	s_xor_b32 s0, exec_lo, s0
; %bb.1418:                             ;   in Loop: Header=BB405_616 Depth=1
	v_bfe_u32 v52, v53, 16, 1
	s_delay_alu instid0(VALU_DEP_1)
	v_add3_u32 v52, v53, v52, 0x7fff
                                        ; implicit-def: $vgpr53
; %bb.1419:                             ;   in Loop: Header=BB405_616 Depth=1
	s_and_not1_saveexec_b32 s0, s0
; %bb.1420:                             ;   in Loop: Header=BB405_616 Depth=1
	v_and_b32_e32 v52, 0xffff, v53
	v_or_b32_e32 v54, 0x10000, v53
	s_delay_alu instid0(VALU_DEP_2) | instskip(NEXT) | instid1(VALU_DEP_2)
	v_cmp_eq_u32_e32 vcc_lo, 0, v52
	v_cndmask_b32_e32 v52, v54, v53, vcc_lo
; %bb.1421:                             ;   in Loop: Header=BB405_616 Depth=1
	s_or_b32 exec_lo, exec_lo, s0
	v_lshlrev_b32_e32 v9, 16, v9
	s_delay_alu instid0(VALU_DEP_1) | instskip(NEXT) | instid1(VALU_DEP_1)
	v_mul_f32_e32 v53, v98, v9
	v_and_b32_e32 v9, 0x7f800000, v53
	s_delay_alu instid0(VALU_DEP_1) | instskip(SKIP_1) | instid1(SALU_CYCLE_1)
	v_cmp_ne_u32_e32 vcc_lo, 0x7f800000, v9
                                        ; implicit-def: $vgpr9
	s_and_saveexec_b32 s0, vcc_lo
	s_xor_b32 s0, exec_lo, s0
; %bb.1422:                             ;   in Loop: Header=BB405_616 Depth=1
	v_bfe_u32 v9, v53, 16, 1
	s_delay_alu instid0(VALU_DEP_1)
	v_add3_u32 v9, v53, v9, 0x7fff
                                        ; implicit-def: $vgpr53
; %bb.1423:                             ;   in Loop: Header=BB405_616 Depth=1
	s_and_not1_saveexec_b32 s0, s0
; %bb.1424:                             ;   in Loop: Header=BB405_616 Depth=1
	v_and_b32_e32 v9, 0xffff, v53
	v_or_b32_e32 v54, 0x10000, v53
	s_delay_alu instid0(VALU_DEP_2) | instskip(NEXT) | instid1(VALU_DEP_2)
	v_cmp_eq_u32_e32 vcc_lo, 0, v9
	v_cndmask_b32_e32 v9, v54, v53, vcc_lo
; %bb.1425:                             ;   in Loop: Header=BB405_616 Depth=1
	s_or_b32 exec_lo, exec_lo, s0
	v_lshlrev_b32_e32 v3, 16, v3
	s_delay_alu instid0(VALU_DEP_1) | instskip(NEXT) | instid1(VALU_DEP_1)
	v_mul_f32_e32 v53, v99, v3
	v_and_b32_e32 v3, 0x7f800000, v53
	s_delay_alu instid0(VALU_DEP_1) | instskip(SKIP_1) | instid1(SALU_CYCLE_1)
	v_cmp_ne_u32_e32 vcc_lo, 0x7f800000, v3
                                        ; implicit-def: $vgpr3
	s_and_saveexec_b32 s0, vcc_lo
	s_xor_b32 s0, exec_lo, s0
; %bb.1426:                             ;   in Loop: Header=BB405_616 Depth=1
	v_bfe_u32 v3, v53, 16, 1
	s_delay_alu instid0(VALU_DEP_1)
	v_add3_u32 v3, v53, v3, 0x7fff
                                        ; implicit-def: $vgpr53
; %bb.1427:                             ;   in Loop: Header=BB405_616 Depth=1
	s_and_not1_saveexec_b32 s0, s0
	s_cbranch_execz .LBB405_614
; %bb.1428:                             ;   in Loop: Header=BB405_616 Depth=1
	v_and_b32_e32 v3, 0xffff, v53
	v_or_b32_e32 v54, 0x10000, v53
	s_delay_alu instid0(VALU_DEP_2) | instskip(NEXT) | instid1(VALU_DEP_2)
	v_cmp_eq_u32_e32 vcc_lo, 0, v3
	v_cndmask_b32_e32 v3, v54, v53, vcc_lo
	s_branch .LBB405_614
.LBB405_1429:
	s_or_b32 exec_lo, exec_lo, s10
	s_load_b32 s0, s[2:3], 0x0
	s_waitcnt lgkmcnt(0)
	v_mov_b32_e32 v0, s0
.LBB405_1430:
	s_or_b32 exec_lo, exec_lo, s7
	ds_bpermute_b32 v1, v17, v28
	ds_bpermute_b32 v2, v17, v25
	ds_bpermute_b32 v6, v17, v19
	ds_bpermute_b32 v10, v17, v24
	ds_bpermute_b32 v11, v17, v18
	ds_bpermute_b32 v12, v17, v29
	v_and_b32_e32 v3, 0x3c1, v82
	v_lshrrev_b32_e32 v8, 1, v16
	v_mad_u32_u24 v9, 0x180, v21, v0
	s_waitcnt lgkmcnt(0)
	s_waitcnt_vscnt null, 0x0
	s_barrier
	buffer_gl0_inv
	v_add_f32_e32 v7, v28, v1
	v_dual_add_f32 v1, v24, v10 :: v_dual_add_f32 v0, v18, v11
	v_cmp_eq_u32_e32 vcc_lo, 64, v3
	v_dual_add_f32 v3, v25, v2 :: v_dual_lshlrev_b32 v10, 2, v8
	v_add_f32_e32 v2, v19, v6
	v_add_f32_e32 v6, v29, v12
	s_and_saveexec_b32 s0, vcc_lo
	s_cbranch_execz .LBB405_1432
; %bb.1431:
	v_add3_u32 v11, v9, v10, 0xfffffd00
	ds_store_2addr_b32 v11, v7, v3 offset1:16
	ds_store_2addr_b32 v11, v2, v1 offset0:32 offset1:48
	ds_store_2addr_b32 v11, v0, v6 offset0:64 offset1:80
.LBB405_1432:
	s_or_b32 exec_lo, exec_lo, s0
	v_cmp_eq_u32_e32 vcc_lo, 0, v84
	s_mov_b32 s2, exec_lo
	s_waitcnt lgkmcnt(0)
	s_barrier
	buffer_gl0_inv
	v_cmpx_gt_u32_e32 64, v82
	s_cbranch_execz .LBB405_1441
; %bb.1433:
	s_and_saveexec_b32 s0, vcc_lo
	s_cbranch_execnz .LBB405_1480
; %bb.1434:
	s_or_b32 exec_lo, exec_lo, s0
	s_and_saveexec_b32 s0, vcc_lo
	s_cbranch_execnz .LBB405_1481
.LBB405_1435:
	s_or_b32 exec_lo, exec_lo, s0
	s_and_saveexec_b32 s0, vcc_lo
	s_cbranch_execnz .LBB405_1482
.LBB405_1436:
	s_or_b32 exec_lo, exec_lo, s0
	s_and_saveexec_b32 s0, vcc_lo
	s_cbranch_execnz .LBB405_1483
.LBB405_1437:
	s_or_b32 exec_lo, exec_lo, s0
	s_and_saveexec_b32 s0, vcc_lo
	s_cbranch_execnz .LBB405_1484
.LBB405_1438:
	s_or_b32 exec_lo, exec_lo, s0
	s_and_saveexec_b32 s0, vcc_lo
	s_cbranch_execz .LBB405_1440
.LBB405_1439:
	v_lshl_add_u32 v11, v8, 2, v9
	ds_load_b32 v11, v11 offset:320
	s_waitcnt lgkmcnt(0)
	v_add_f32_e32 v6, v6, v11
.LBB405_1440:
	s_or_b32 exec_lo, exec_lo, s0
.LBB405_1441:
	s_delay_alu instid0(SALU_CYCLE_1)
	s_or_b32 exec_lo, exec_lo, s2
	v_and_b32_e32 v11, 0x3e1, v82
	s_mov_b32 s2, exec_lo
	s_barrier
	buffer_gl0_inv
	v_cmpx_eq_u32_e32 32, v11
	s_cbranch_execz .LBB405_1443
; %bb.1442:
	v_add3_u32 v10, v9, v10, 0xfffffe80
	ds_store_2addr_b32 v10, v7, v3 offset1:16
	ds_store_2addr_b32 v10, v2, v1 offset0:32 offset1:48
	ds_store_2addr_b32 v10, v0, v6 offset0:64 offset1:80
.LBB405_1443:
	s_or_b32 exec_lo, exec_lo, s2
	v_cmp_gt_u32_e64 s0, 32, v82
	s_waitcnt lgkmcnt(0)
	s_barrier
	buffer_gl0_inv
	s_and_saveexec_b32 s2, s0
	s_cbranch_execz .LBB405_1452
; %bb.1444:
	v_lshl_add_u32 v8, v8, 2, v9
	s_and_saveexec_b32 s3, vcc_lo
	s_cbranch_execnz .LBB405_1485
; %bb.1445:
	s_or_b32 exec_lo, exec_lo, s3
	s_and_saveexec_b32 s3, vcc_lo
	s_cbranch_execnz .LBB405_1486
.LBB405_1446:
	s_or_b32 exec_lo, exec_lo, s3
	s_and_saveexec_b32 s3, vcc_lo
	s_cbranch_execnz .LBB405_1487
.LBB405_1447:
	s_or_b32 exec_lo, exec_lo, s3
	s_and_saveexec_b32 s3, vcc_lo
	s_cbranch_execnz .LBB405_1488
.LBB405_1448:
	s_or_b32 exec_lo, exec_lo, s3
	s_and_saveexec_b32 s3, vcc_lo
	s_cbranch_execnz .LBB405_1489
.LBB405_1449:
	s_or_b32 exec_lo, exec_lo, s3
	s_and_saveexec_b32 s3, vcc_lo
	s_cbranch_execz .LBB405_1451
.LBB405_1450:
	ds_load_b32 v8, v8 offset:320
	s_waitcnt lgkmcnt(0)
	v_add_f32_e32 v6, v6, v8
.LBB405_1451:
	s_or_b32 exec_lo, exec_lo, s3
.LBB405_1452:
	s_delay_alu instid0(SALU_CYCLE_1)
	s_or_b32 exec_lo, exec_lo, s2
	s_barrier
	buffer_gl0_inv
	s_and_b32 exec_lo, exec_lo, s0
	s_cbranch_execz .LBB405_1479
; %bb.1453:
	s_and_b32 exec_lo, exec_lo, vcc_lo
	s_cbranch_execz .LBB405_1479
; %bb.1454:
	v_and_b32_e32 v8, 0x7f800000, v7
	s_mov_b32 s0, exec_lo
                                        ; implicit-def: $vgpr9
	s_delay_alu instid0(VALU_DEP_1)
	v_cmpx_ne_u32_e32 0x7f800000, v8
	s_xor_b32 s0, exec_lo, s0
; %bb.1455:
	v_bfe_u32 v8, v7, 16, 1
	s_delay_alu instid0(VALU_DEP_1)
	v_add3_u32 v9, v7, v8, 0x7fff
; %bb.1456:
	s_and_not1_saveexec_b32 s0, s0
; %bb.1457:
	v_and_b32_e32 v8, 0xffff, v7
	v_or_b32_e32 v9, 0x10000, v7
	s_delay_alu instid0(VALU_DEP_2) | instskip(NEXT) | instid1(VALU_DEP_2)
	v_cmp_eq_u32_e32 vcc_lo, 0, v8
	v_cndmask_b32_e32 v9, v9, v7, vcc_lo
; %bb.1458:
	s_or_b32 exec_lo, exec_lo, s0
	s_mul_i32 s2, s1, s4
	s_mul_i32 s0, s6, s1
	;; [unrolled: 1-line block ×5, first 2 shown]
	s_ashr_i32 s1, s0, 31
	s_ashr_i32 s3, s2, 31
	;; [unrolled: 1-line block ×3, first 2 shown]
	s_lshl_b64 s[0:1], s[0:1], 1
	s_lshl_b64 s[2:3], s[2:3], 1
	;; [unrolled: 1-line block ×3, first 2 shown]
	s_add_u32 s0, s2, s0
	s_addc_u32 s1, s3, s1
	s_add_u32 s0, s0, s6
	s_addc_u32 s1, s1, s7
	v_lshlrev_b32_e32 v7, 1, v39
	v_add_co_u32 v4, vcc_lo, s0, v4
	v_add_co_ci_u32_e32 v5, vcc_lo, s1, v5, vcc_lo
	v_and_b32_e32 v10, 0x7f800000, v3
	s_delay_alu instid0(VALU_DEP_3) | instskip(NEXT) | instid1(VALU_DEP_3)
	v_add_co_u32 v7, vcc_lo, v4, v7
	v_add_co_ci_u32_e32 v8, vcc_lo, 0, v5, vcc_lo
	s_mov_b32 s0, exec_lo
                                        ; implicit-def: $vgpr4
	flat_store_d16_hi_b16 v[7:8], v9
	v_cmpx_ne_u32_e32 0x7f800000, v10
	s_xor_b32 s0, exec_lo, s0
; %bb.1459:
	v_bfe_u32 v4, v3, 16, 1
	s_delay_alu instid0(VALU_DEP_1)
	v_add3_u32 v4, v3, v4, 0x7fff
; %bb.1460:
	s_and_not1_saveexec_b32 s0, s0
; %bb.1461:
	v_and_b32_e32 v4, 0xffff, v3
	v_or_b32_e32 v5, 0x10000, v3
	s_delay_alu instid0(VALU_DEP_2) | instskip(NEXT) | instid1(VALU_DEP_2)
	v_cmp_eq_u32_e32 vcc_lo, 0, v4
	v_cndmask_b32_e32 v4, v5, v3, vcc_lo
; %bb.1462:
	s_or_b32 exec_lo, exec_lo, s0
	v_and_b32_e32 v3, 0x7f800000, v2
	flat_store_d16_hi_b16 v[7:8], v4 offset:32
	v_cmp_ne_u32_e32 vcc_lo, 0x7f800000, v3
                                        ; implicit-def: $vgpr3
	s_and_saveexec_b32 s0, vcc_lo
	s_delay_alu instid0(SALU_CYCLE_1)
	s_xor_b32 s0, exec_lo, s0
; %bb.1463:
	v_bfe_u32 v3, v2, 16, 1
	s_delay_alu instid0(VALU_DEP_1)
	v_add3_u32 v3, v2, v3, 0x7fff
; %bb.1464:
	s_and_not1_saveexec_b32 s0, s0
; %bb.1465:
	v_and_b32_e32 v3, 0xffff, v2
	v_or_b32_e32 v4, 0x10000, v2
	s_delay_alu instid0(VALU_DEP_2) | instskip(NEXT) | instid1(VALU_DEP_2)
	v_cmp_eq_u32_e32 vcc_lo, 0, v3
	v_cndmask_b32_e32 v3, v4, v2, vcc_lo
; %bb.1466:
	s_or_b32 exec_lo, exec_lo, s0
	v_and_b32_e32 v2, 0x7f800000, v1
	flat_store_d16_hi_b16 v[7:8], v3 offset:64
	v_cmp_ne_u32_e32 vcc_lo, 0x7f800000, v2
                                        ; implicit-def: $vgpr2
	s_and_saveexec_b32 s0, vcc_lo
	s_delay_alu instid0(SALU_CYCLE_1)
	s_xor_b32 s0, exec_lo, s0
; %bb.1467:
	v_bfe_u32 v2, v1, 16, 1
	s_delay_alu instid0(VALU_DEP_1)
	v_add3_u32 v2, v1, v2, 0x7fff
; %bb.1468:
	s_and_not1_saveexec_b32 s0, s0
; %bb.1469:
	v_and_b32_e32 v2, 0xffff, v1
	v_or_b32_e32 v3, 0x10000, v1
	s_delay_alu instid0(VALU_DEP_2) | instskip(NEXT) | instid1(VALU_DEP_2)
	v_cmp_eq_u32_e32 vcc_lo, 0, v2
	v_cndmask_b32_e32 v2, v3, v1, vcc_lo
; %bb.1470:
	s_or_b32 exec_lo, exec_lo, s0
	v_and_b32_e32 v1, 0x7f800000, v0
	flat_store_d16_hi_b16 v[7:8], v2 offset:96
	v_cmp_ne_u32_e32 vcc_lo, 0x7f800000, v1
                                        ; implicit-def: $vgpr1
	s_and_saveexec_b32 s0, vcc_lo
	s_delay_alu instid0(SALU_CYCLE_1)
	s_xor_b32 s0, exec_lo, s0
; %bb.1471:
	v_bfe_u32 v1, v0, 16, 1
	s_delay_alu instid0(VALU_DEP_1)
	v_add3_u32 v1, v0, v1, 0x7fff
; %bb.1472:
	s_and_not1_saveexec_b32 s0, s0
; %bb.1473:
	v_and_b32_e32 v1, 0xffff, v0
	v_or_b32_e32 v2, 0x10000, v0
	s_delay_alu instid0(VALU_DEP_2) | instskip(NEXT) | instid1(VALU_DEP_2)
	v_cmp_eq_u32_e32 vcc_lo, 0, v1
	v_cndmask_b32_e32 v1, v2, v0, vcc_lo
; %bb.1474:
	s_or_b32 exec_lo, exec_lo, s0
	v_and_b32_e32 v0, 0x7f800000, v6
	flat_store_d16_hi_b16 v[7:8], v1 offset:128
	v_cmp_ne_u32_e32 vcc_lo, 0x7f800000, v0
                                        ; implicit-def: $vgpr0
	s_and_saveexec_b32 s0, vcc_lo
	s_delay_alu instid0(SALU_CYCLE_1)
	s_xor_b32 s0, exec_lo, s0
; %bb.1475:
	v_bfe_u32 v0, v6, 16, 1
	s_delay_alu instid0(VALU_DEP_1)
	v_add3_u32 v0, v6, v0, 0x7fff
                                        ; implicit-def: $vgpr1_vgpr2_vgpr3_vgpr4_vgpr5_vgpr6
; %bb.1476:
	s_and_not1_saveexec_b32 s0, s0
; %bb.1477:
	v_and_b32_e32 v0, 0xffff, v6
	v_or_b32_e32 v1, 0x10000, v6
	s_delay_alu instid0(VALU_DEP_2) | instskip(NEXT) | instid1(VALU_DEP_2)
	v_cmp_eq_u32_e32 vcc_lo, 0, v0
	v_cndmask_b32_e32 v0, v1, v6, vcc_lo
; %bb.1478:
	s_or_b32 exec_lo, exec_lo, s0
	flat_store_d16_hi_b16 v[7:8], v0 offset:160
.LBB405_1479:
	s_or_b32 exec_lo, exec_lo, s5
	s_clause 0x1f
	scratch_load_b32 v120, off, s32 offset:8
	scratch_load_b32 v111, off, s32 offset:12
	;; [unrolled: 1-line block ×32, first 2 shown]
	s_clause 0x8
	scratch_load_b32 v56, off, s32 offset:136
	scratch_load_b32 v47, off, s32 offset:140
	;; [unrolled: 1-line block ×9, first 2 shown]
	s_waitcnt vmcnt(0) lgkmcnt(0)
	s_setpc_b64 s[30:31]
.LBB405_1480:
	v_lshl_add_u32 v11, v8, 2, v9
	ds_load_b32 v11, v11
	s_waitcnt lgkmcnt(0)
	v_add_f32_e32 v7, v7, v11
	s_or_b32 exec_lo, exec_lo, s0
	s_and_saveexec_b32 s0, vcc_lo
	s_cbranch_execz .LBB405_1435
.LBB405_1481:
	v_lshl_add_u32 v11, v8, 2, v9
	ds_load_b32 v11, v11 offset:64
	s_waitcnt lgkmcnt(0)
	v_add_f32_e32 v3, v3, v11
	s_or_b32 exec_lo, exec_lo, s0
	s_and_saveexec_b32 s0, vcc_lo
	s_cbranch_execz .LBB405_1436
.LBB405_1482:
	v_lshl_add_u32 v11, v8, 2, v9
	ds_load_b32 v11, v11 offset:128
	s_waitcnt lgkmcnt(0)
	v_add_f32_e32 v2, v2, v11
	s_or_b32 exec_lo, exec_lo, s0
	s_and_saveexec_b32 s0, vcc_lo
	s_cbranch_execz .LBB405_1437
.LBB405_1483:
	v_lshl_add_u32 v11, v8, 2, v9
	ds_load_b32 v11, v11 offset:192
	s_waitcnt lgkmcnt(0)
	v_add_f32_e32 v1, v1, v11
	s_or_b32 exec_lo, exec_lo, s0
	s_and_saveexec_b32 s0, vcc_lo
	s_cbranch_execz .LBB405_1438
.LBB405_1484:
	v_lshl_add_u32 v11, v8, 2, v9
	ds_load_b32 v11, v11 offset:256
	s_waitcnt lgkmcnt(0)
	v_add_f32_e32 v0, v0, v11
	s_or_b32 exec_lo, exec_lo, s0
	s_and_saveexec_b32 s0, vcc_lo
	s_cbranch_execnz .LBB405_1439
	s_branch .LBB405_1440
.LBB405_1485:
	ds_load_b32 v9, v8
	s_waitcnt lgkmcnt(0)
	v_add_f32_e32 v7, v7, v9
	s_or_b32 exec_lo, exec_lo, s3
	s_and_saveexec_b32 s3, vcc_lo
	s_cbranch_execz .LBB405_1446
.LBB405_1486:
	ds_load_b32 v9, v8 offset:64
	s_waitcnt lgkmcnt(0)
	v_add_f32_e32 v3, v3, v9
	s_or_b32 exec_lo, exec_lo, s3
	s_and_saveexec_b32 s3, vcc_lo
	s_cbranch_execz .LBB405_1447
.LBB405_1487:
	ds_load_b32 v9, v8 offset:128
	s_waitcnt lgkmcnt(0)
	v_add_f32_e32 v2, v2, v9
	s_or_b32 exec_lo, exec_lo, s3
	s_and_saveexec_b32 s3, vcc_lo
	s_cbranch_execz .LBB405_1448
.LBB405_1488:
	ds_load_b32 v9, v8 offset:192
	s_waitcnt lgkmcnt(0)
	v_add_f32_e32 v1, v1, v9
	s_or_b32 exec_lo, exec_lo, s3
	s_and_saveexec_b32 s3, vcc_lo
	s_cbranch_execz .LBB405_1449
.LBB405_1489:
	ds_load_b32 v9, v8 offset:256
	s_waitcnt lgkmcnt(0)
	v_add_f32_e32 v0, v0, v9
	s_or_b32 exec_lo, exec_lo, s3
	s_and_saveexec_b32 s3, vcc_lo
	s_cbranch_execnz .LBB405_1450
	s_branch .LBB405_1451
.Lfunc_end405:
	.size	_ZN4vllm22paged_attention_kernelI14__hip_bfloat16hLi96ELi16ELi128ELNS_18Fp8KVCacheDataTypeE1ELb1ELi512EEEvPfS3_PT_PKS4_PKT0_SA_ifPKiSC_iPKfiiiSE_SE_iiiii, .Lfunc_end405-_ZN4vllm22paged_attention_kernelI14__hip_bfloat16hLi96ELi16ELi128ELNS_18Fp8KVCacheDataTypeE1ELb1ELi512EEEvPfS3_PT_PKS4_PKT0_SA_ifPKiSC_iPKfiiiSE_SE_iiiii
                                        ; -- End function
	.section	.AMDGPU.csdata,"",@progbits
; Function info:
; codeLenInByte = 46044
; NumSgprs: 35
; NumVgprs: 184
; ScratchSize: 176
; MemoryBound: 0
	.section	.text._ZN4vllm25paged_attention_v2_kernelI14__hip_bfloat16hLi96ELi16ELi128ELNS_18Fp8KVCacheDataTypeE1ELb1ELi512EEEvPfS3_PT_PKS4_PKT0_SA_ifPKiSC_iPKfiiiSE_SE_iiiii,"axG",@progbits,_ZN4vllm25paged_attention_v2_kernelI14__hip_bfloat16hLi96ELi16ELi128ELNS_18Fp8KVCacheDataTypeE1ELb1ELi512EEEvPfS3_PT_PKS4_PKT0_SA_ifPKiSC_iPKfiiiSE_SE_iiiii,comdat
	.protected	_ZN4vllm25paged_attention_v2_kernelI14__hip_bfloat16hLi96ELi16ELi128ELNS_18Fp8KVCacheDataTypeE1ELb1ELi512EEEvPfS3_PT_PKS4_PKT0_SA_ifPKiSC_iPKfiiiSE_SE_iiiii ; -- Begin function _ZN4vllm25paged_attention_v2_kernelI14__hip_bfloat16hLi96ELi16ELi128ELNS_18Fp8KVCacheDataTypeE1ELb1ELi512EEEvPfS3_PT_PKS4_PKT0_SA_ifPKiSC_iPKfiiiSE_SE_iiiii
	.globl	_ZN4vllm25paged_attention_v2_kernelI14__hip_bfloat16hLi96ELi16ELi128ELNS_18Fp8KVCacheDataTypeE1ELb1ELi512EEEvPfS3_PT_PKS4_PKT0_SA_ifPKiSC_iPKfiiiSE_SE_iiiii
	.p2align	8
	.type	_ZN4vllm25paged_attention_v2_kernelI14__hip_bfloat16hLi96ELi16ELi128ELNS_18Fp8KVCacheDataTypeE1ELb1ELi512EEEvPfS3_PT_PKS4_PKT0_SA_ifPKiSC_iPKfiiiSE_SE_iiiii,@function
_ZN4vllm25paged_attention_v2_kernelI14__hip_bfloat16hLi96ELi16ELi128ELNS_18Fp8KVCacheDataTypeE1ELb1ELi512EEEvPfS3_PT_PKS4_PKT0_SA_ifPKiSC_iPKfiiiSE_SE_iiiii: ; @_ZN4vllm25paged_attention_v2_kernelI14__hip_bfloat16hLi96ELi16ELi128ELNS_18Fp8KVCacheDataTypeE1ELb1ELi512EEEvPfS3_PT_PKS4_PKT0_SA_ifPKiSC_iPKfiiiSE_SE_iiiii
; %bb.0:
	s_mov_b32 s12, s13
	s_clause 0x7
	s_load_b128 s[4:7], s[0:1], 0x78
	s_load_b32 s8, s[0:1], 0x88
	s_load_b256 s[24:31], s[0:1], 0x0
	s_load_b256 s[36:43], s[0:1], 0x20
	s_load_b64 s[2:3], s[0:1], 0x40
	s_load_b64 s[10:11], s[0:1], 0x50
	s_load_b32 s13, s[0:1], 0x48
	s_load_b256 s[16:23], s[0:1], 0x58
	s_mov_b32 s32, 0
	v_mov_b32_e32 v31, v0
	s_waitcnt lgkmcnt(0)
	v_dual_mov_b32 v1, s7 :: v_dual_mov_b32 v2, s8
	v_dual_mov_b32 v0, s24 :: v_dual_mov_b32 v3, s27
	;; [unrolled: 1-line block ×3, first 2 shown]
	v_mov_b32_e32 v6, s30
	scratch_store_b64 off, v[1:2], s32
	v_dual_mov_b32 v1, s25 :: v_dual_mov_b32 v2, s26
	v_dual_mov_b32 v7, s31 :: v_dual_mov_b32 v8, s36
	;; [unrolled: 1-line block ×13, first 2 shown]
	s_add_u32 s8, s0, 0x90
	s_addc_u32 s9, s1, 0
	s_mov_b32 s13, s14
	s_mov_b32 s14, s15
	;; [unrolled: 1-line block ×3, first 2 shown]
	s_getpc_b64 s[0:1]
	s_add_u32 s0, s0, _ZN4vllm22paged_attention_kernelI14__hip_bfloat16hLi96ELi16ELi128ELNS_18Fp8KVCacheDataTypeE1ELb1ELi512EEEvPfS3_PT_PKS4_PKT0_SA_ifPKiSC_iPKfiiiSE_SE_iiiii@rel32@lo+4
	s_addc_u32 s1, s1, _ZN4vllm22paged_attention_kernelI14__hip_bfloat16hLi96ELi16ELi128ELNS_18Fp8KVCacheDataTypeE1ELb1ELi512EEEvPfS3_PT_PKS4_PKT0_SA_ifPKiSC_iPKfiiiSE_SE_iiiii@rel32@hi+12
	s_delay_alu instid0(SALU_CYCLE_1)
	s_swappc_b64 s[30:31], s[0:1]
	s_endpgm
	.section	.rodata,"a",@progbits
	.p2align	6, 0x0
	.amdhsa_kernel _ZN4vllm25paged_attention_v2_kernelI14__hip_bfloat16hLi96ELi16ELi128ELNS_18Fp8KVCacheDataTypeE1ELb1ELi512EEEvPfS3_PT_PKS4_PKT0_SA_ifPKiSC_iPKfiiiSE_SE_iiiii
		.amdhsa_group_segment_fixed_size 224
		.amdhsa_private_segment_fixed_size 176
		.amdhsa_kernarg_size 400
		.amdhsa_user_sgpr_count 13
		.amdhsa_user_sgpr_dispatch_ptr 0
		.amdhsa_user_sgpr_queue_ptr 0
		.amdhsa_user_sgpr_kernarg_segment_ptr 1
		.amdhsa_user_sgpr_dispatch_id 0
		.amdhsa_user_sgpr_private_segment_size 0
		.amdhsa_wavefront_size32 1
		.amdhsa_uses_dynamic_stack 0
		.amdhsa_enable_private_segment 1
		.amdhsa_system_sgpr_workgroup_id_x 1
		.amdhsa_system_sgpr_workgroup_id_y 1
		.amdhsa_system_sgpr_workgroup_id_z 1
		.amdhsa_system_sgpr_workgroup_info 0
		.amdhsa_system_vgpr_workitem_id 0
		.amdhsa_next_free_vgpr 184
		.amdhsa_next_free_sgpr 44
		.amdhsa_reserve_vcc 1
		.amdhsa_float_round_mode_32 0
		.amdhsa_float_round_mode_16_64 0
		.amdhsa_float_denorm_mode_32 3
		.amdhsa_float_denorm_mode_16_64 3
		.amdhsa_dx10_clamp 1
		.amdhsa_ieee_mode 1
		.amdhsa_fp16_overflow 0
		.amdhsa_workgroup_processor_mode 1
		.amdhsa_memory_ordered 1
		.amdhsa_forward_progress 0
		.amdhsa_shared_vgpr_count 0
		.amdhsa_exception_fp_ieee_invalid_op 0
		.amdhsa_exception_fp_denorm_src 0
		.amdhsa_exception_fp_ieee_div_zero 0
		.amdhsa_exception_fp_ieee_overflow 0
		.amdhsa_exception_fp_ieee_underflow 0
		.amdhsa_exception_fp_ieee_inexact 0
		.amdhsa_exception_int_div_zero 0
	.end_amdhsa_kernel
	.section	.text._ZN4vllm25paged_attention_v2_kernelI14__hip_bfloat16hLi96ELi16ELi128ELNS_18Fp8KVCacheDataTypeE1ELb1ELi512EEEvPfS3_PT_PKS4_PKT0_SA_ifPKiSC_iPKfiiiSE_SE_iiiii,"axG",@progbits,_ZN4vllm25paged_attention_v2_kernelI14__hip_bfloat16hLi96ELi16ELi128ELNS_18Fp8KVCacheDataTypeE1ELb1ELi512EEEvPfS3_PT_PKS4_PKT0_SA_ifPKiSC_iPKfiiiSE_SE_iiiii,comdat
.Lfunc_end406:
	.size	_ZN4vllm25paged_attention_v2_kernelI14__hip_bfloat16hLi96ELi16ELi128ELNS_18Fp8KVCacheDataTypeE1ELb1ELi512EEEvPfS3_PT_PKS4_PKT0_SA_ifPKiSC_iPKfiiiSE_SE_iiiii, .Lfunc_end406-_ZN4vllm25paged_attention_v2_kernelI14__hip_bfloat16hLi96ELi16ELi128ELNS_18Fp8KVCacheDataTypeE1ELb1ELi512EEEvPfS3_PT_PKS4_PKT0_SA_ifPKiSC_iPKfiiiSE_SE_iiiii
                                        ; -- End function
	.section	.AMDGPU.csdata,"",@progbits
; Kernel info:
; codeLenInByte = 280
; NumSgprs: 46
; NumVgprs: 184
; ScratchSize: 176
; MemoryBound: 0
; FloatMode: 240
; IeeeMode: 1
; LDSByteSize: 224 bytes/workgroup (compile time only)
; SGPRBlocks: 5
; VGPRBlocks: 22
; NumSGPRsForWavesPerEU: 46
; NumVGPRsForWavesPerEU: 184
; Occupancy: 8
; WaveLimiterHint : 1
; COMPUTE_PGM_RSRC2:SCRATCH_EN: 1
; COMPUTE_PGM_RSRC2:USER_SGPR: 13
; COMPUTE_PGM_RSRC2:TRAP_HANDLER: 0
; COMPUTE_PGM_RSRC2:TGID_X_EN: 1
; COMPUTE_PGM_RSRC2:TGID_Y_EN: 1
; COMPUTE_PGM_RSRC2:TGID_Z_EN: 1
; COMPUTE_PGM_RSRC2:TIDIG_COMP_CNT: 0
	.text
	.p2align	2                               ; -- Begin function _ZN4vllm22paged_attention_kernelI14__hip_bfloat16hLi112ELi16ELi128ELNS_18Fp8KVCacheDataTypeE1ELb1ELi512EEEvPfS3_PT_PKS4_PKT0_SA_ifPKiSC_iPKfiiiSE_SE_iiiii
	.type	_ZN4vllm22paged_attention_kernelI14__hip_bfloat16hLi112ELi16ELi128ELNS_18Fp8KVCacheDataTypeE1ELb1ELi512EEEvPfS3_PT_PKS4_PKT0_SA_ifPKiSC_iPKfiiiSE_SE_iiiii,@function
_ZN4vllm22paged_attention_kernelI14__hip_bfloat16hLi112ELi16ELi128ELNS_18Fp8KVCacheDataTypeE1ELb1ELi512EEEvPfS3_PT_PKS4_PKT0_SA_ifPKiSC_iPKfiiiSE_SE_iiiii: ; @_ZN4vllm22paged_attention_kernelI14__hip_bfloat16hLi112ELi16ELi128ELNS_18Fp8KVCacheDataTypeE1ELb1ELi512EEEvPfS3_PT_PKS4_PKT0_SA_ifPKiSC_iPKfiiiSE_SE_iiiii
; %bb.0:
	s_waitcnt vmcnt(0) expcnt(0) lgkmcnt(0)
	s_clause 0x1f
	scratch_store_b32 off, v40, s32 offset:212
	; meta instruction
	scratch_store_b32 off, v41, s32 offset:208
	; meta instruction
	;; [unrolled: 2-line block ×31, first 2 shown]
	scratch_store_b32 off, v95, s32 offset:88
	s_clause 0x13
	scratch_store_b32 off, v104, s32 offset:84
	; meta instruction
	scratch_store_b32 off, v105, s32 offset:80
	; meta instruction
	;; [unrolled: 2-line block ×19, first 2 shown]
	scratch_store_b32 off, v139, s32 offset:8
	s_mov_b32 s4, s13
	s_ashr_i32 s5, s13, 31
	s_mov_b32 s10, s15
	s_lshl_b64 s[0:1], s[4:5], 2
	s_lshl_b32 s15, s14, 9
	v_add_co_u32 v16, vcc_lo, v16, s0
	v_add_co_ci_u32_e32 v17, vcc_lo, s1, v17, vcc_lo
	s_mov_b32 s5, exec_lo
	flat_load_b32 v83, v[16:17]
	s_clause 0x1
	scratch_load_b32 v32, off, s32 offset:4
	scratch_load_b32 v33, off, s32
	s_waitcnt vmcnt(2) lgkmcnt(0)
	v_cmpx_lt_i32_e64 s15, v83
	s_cbranch_execz .LBB407_1711
; %bb.1:
	v_sub_nc_u32_e32 v16, 0, v12
	s_clause 0x1
	s_load_b32 s0, s[8:9], 0x10
	s_load_b32 s1, s[8:9], 0x0
	v_mov_b32_e32 v102, 0
	v_max_i32_e32 v16, v12, v16
	s_delay_alu instid0(VALU_DEP_1) | instskip(SKIP_1) | instid1(VALU_DEP_2)
	v_cvt_f32_u32_e32 v17, v16
	v_sub_nc_u32_e32 v34, 0, v16
	v_rcp_iflag_f32_e32 v17, v17
	s_waitcnt lgkmcnt(0)
	s_lshr_b32 s0, s0, 16
	s_delay_alu instid0(SALU_CYCLE_1) | instskip(SKIP_3) | instid1(SALU_CYCLE_1)
	s_cmp_lg_u32 s0, 0
	s_waitcnt_depctr 0xfff
	v_mul_f32_e32 v17, 0x4f7ffffe, v17
	s_cselect_b32 s0, -1, 0
	s_cmp_lg_u32 s0, 0
	s_delay_alu instid0(VALU_DEP_1) | instskip(SKIP_3) | instid1(VALU_DEP_1)
	v_cvt_u32_f32_e32 v17, v17
	s_addc_u32 s16, s1, 0
	s_mov_b32 s1, exec_lo
	s_abs_i32 s0, s16
	v_mul_lo_u32 v34, v34, v17
	s_delay_alu instid0(VALU_DEP_1) | instskip(NEXT) | instid1(VALU_DEP_1)
	v_mul_hi_u32 v34, v17, v34
	v_add_nc_u32_e32 v17, v17, v34
	s_delay_alu instid0(VALU_DEP_1) | instskip(NEXT) | instid1(VALU_DEP_1)
	v_mul_hi_u32 v17, s0, v17
	v_mul_lo_u32 v34, v17, v16
	v_add_nc_u32_e32 v35, 1, v17
	s_delay_alu instid0(VALU_DEP_2) | instskip(SKIP_1) | instid1(VALU_DEP_1)
	v_sub_nc_u32_e32 v34, s0, v34
	s_abs_i32 s0, s12
	v_sub_nc_u32_e32 v36, v34, v16
	v_cmp_ge_u32_e32 vcc_lo, v34, v16
	s_delay_alu instid0(VALU_DEP_2) | instskip(SKIP_1) | instid1(VALU_DEP_2)
	v_dual_cndmask_b32 v17, v17, v35 :: v_dual_cndmask_b32 v34, v34, v36
	v_xor_b32_e32 v35, s16, v12
	v_add_nc_u32_e32 v36, 1, v17
	s_delay_alu instid0(VALU_DEP_3) | instskip(NEXT) | instid1(VALU_DEP_3)
	v_cmp_ge_u32_e32 vcc_lo, v34, v16
	v_ashrrev_i32_e32 v35, 31, v35
	s_delay_alu instid0(VALU_DEP_3) | instskip(NEXT) | instid1(VALU_DEP_1)
	v_cndmask_b32_e32 v16, v17, v36, vcc_lo
	v_xor_b32_e32 v16, v16, v35
	s_delay_alu instid0(VALU_DEP_1) | instskip(NEXT) | instid1(VALU_DEP_1)
	v_sub_nc_u32_e32 v35, v16, v35
	v_sub_nc_u32_e32 v16, 0, v35
	s_delay_alu instid0(VALU_DEP_1) | instskip(NEXT) | instid1(VALU_DEP_1)
	v_max_i32_e32 v34, v35, v16
	v_cvt_f32_u32_e32 v16, v34
	v_sub_nc_u32_e32 v17, 0, v34
	s_delay_alu instid0(VALU_DEP_2) | instskip(SKIP_2) | instid1(VALU_DEP_1)
	v_rcp_iflag_f32_e32 v16, v16
	s_waitcnt_depctr 0xfff
	v_mul_f32_e32 v16, 0x4f7ffffe, v16
	v_cvt_u32_f32_e32 v16, v16
	s_delay_alu instid0(VALU_DEP_1) | instskip(NEXT) | instid1(VALU_DEP_1)
	v_mul_lo_u32 v17, v17, v16
	v_mul_hi_u32 v17, v16, v17
	s_delay_alu instid0(VALU_DEP_1) | instskip(NEXT) | instid1(VALU_DEP_1)
	v_add_nc_u32_e32 v36, v16, v17
	v_mad_u64_u32 v[16:17], null, s0, v36, 0
	v_cmpx_ne_u64_e32 0, v[19:20]
	s_cbranch_execz .LBB407_3
; %bb.2:
	s_ashr_i32 s13, s12, 31
	s_delay_alu instid0(SALU_CYCLE_1) | instskip(NEXT) | instid1(SALU_CYCLE_1)
	s_lshl_b64 s[2:3], s[12:13], 2
	v_add_co_u32 v19, vcc_lo, v19, s2
	v_add_co_ci_u32_e32 v20, vcc_lo, s3, v20, vcc_lo
	flat_load_b32 v102, v[19:20]
.LBB407_3:
	s_or_b32 exec_lo, exec_lo, s1
	v_and_b32_e32 v82, 0x3ff, v31
	v_ashrrev_i32_e32 v16, 31, v35
	s_ashr_i32 s1, s12, 31
	s_mul_i32 s6, s12, 0x70
	s_mov_b32 s2, exec_lo
	v_lshrrev_b32_e32 v39, 1, v82
	v_and_b32_e32 v84, 1, v82
	v_lshlrev_b32_e32 v98, 3, v82
	v_cmpx_gt_u32_e32 28, v82
	s_cbranch_execz .LBB407_5
; %bb.4:
	v_mul_lo_u32 v19, s4, v21
	s_ashr_i32 s7, s6, 31
	s_delay_alu instid0(SALU_CYCLE_1) | instskip(NEXT) | instid1(VALU_DEP_1)
	s_lshl_b64 s[18:19], s[6:7], 1
	v_ashrrev_i32_e32 v20, 31, v19
	s_delay_alu instid0(VALU_DEP_1) | instskip(NEXT) | instid1(VALU_DEP_1)
	v_lshlrev_b64 v[19:20], 1, v[19:20]
	v_add_co_u32 v6, vcc_lo, v6, v19
	s_delay_alu instid0(VALU_DEP_2) | instskip(SKIP_1) | instid1(VALU_DEP_3)
	v_add_co_ci_u32_e32 v7, vcc_lo, v7, v20, vcc_lo
	v_lshlrev_b32_e32 v19, 3, v39
	v_add_co_u32 v6, vcc_lo, v6, s18
	s_delay_alu instid0(VALU_DEP_3) | instskip(NEXT) | instid1(VALU_DEP_3)
	v_add_co_ci_u32_e32 v7, vcc_lo, s19, v7, vcc_lo
	v_mad_u32_u24 v19, 0x70, v84, v19
	s_delay_alu instid0(VALU_DEP_3) | instskip(NEXT) | instid1(VALU_DEP_3)
	v_add_co_u32 v6, vcc_lo, v6, v98
	v_add_co_ci_u32_e32 v7, vcc_lo, 0, v7, vcc_lo
	flat_load_b64 v[6:7], v[6:7]
	s_waitcnt vmcnt(0) lgkmcnt(0)
	ds_store_b64 v19, v[6:7]
.LBB407_5:
	s_or_b32 exec_lo, exec_lo, s2
	s_waitcnt vmcnt(0)
	v_sub_nc_u32_e32 v6, 0, v33
	v_mul_lo_u32 v7, v17, v34
	v_add_nc_u32_e32 v20, 1, v17
	v_xor_b32_e32 v35, s1, v16
	s_waitcnt lgkmcnt(0)
	s_waitcnt_vscnt null, 0x0
	v_max_i32_e32 v85, v33, v6
	s_barrier
	buffer_gl0_inv
	v_sub_nc_u32_e32 v7, s0, v7
	v_cvt_f32_u32_e32 v6, v85
	v_sub_nc_u32_e32 v19, 0, v85
	s_mov_b32 s0, exec_lo
	s_delay_alu instid0(VALU_DEP_3) | instskip(NEXT) | instid1(VALU_DEP_3)
	v_cmp_ge_u32_e32 vcc_lo, v7, v34
	v_rcp_iflag_f32_e32 v6, v6
	v_sub_nc_u32_e32 v21, v7, v34
	v_dual_cndmask_b32 v20, v17, v20 :: v_dual_add_nc_u32 v17, -1, v83
	s_delay_alu instid0(VALU_DEP_2) | instskip(SKIP_4) | instid1(VALU_DEP_3)
	v_cndmask_b32_e32 v7, v7, v21, vcc_lo
	s_waitcnt_depctr 0xfff
	v_dual_mul_f32 v6, 0x4f7ffffe, v6 :: v_dual_add_nc_u32 v21, 1, v20
	v_cmp_ge_u32_e32 vcc_lo, v7, v34
	v_sub_nc_u32_e32 v31, 0, v17
	v_cvt_u32_f32_e32 v6, v6
	s_delay_alu instid0(VALU_DEP_2) | instskip(NEXT) | instid1(VALU_DEP_2)
	v_max_i32_e32 v16, v17, v31
	v_mul_lo_u32 v19, v19, v6
	s_delay_alu instid0(VALU_DEP_1) | instskip(SKIP_1) | instid1(VALU_DEP_2)
	v_mul_hi_u32 v19, v6, v19
	v_cndmask_b32_e32 v7, v20, v21, vcc_lo
                                        ; implicit-def: $vgpr20
	v_add_nc_u32_e32 v86, v6, v19
	s_delay_alu instid0(VALU_DEP_2) | instskip(NEXT) | instid1(VALU_DEP_2)
	v_xor_b32_e32 v19, v7, v35
	v_mad_u64_u32 v[6:7], null, v16, v86, 0
	s_delay_alu instid0(VALU_DEP_2)
	v_sub_nc_u32_e32 v6, v19, v35
	v_cmpx_gt_i32_e32 0, v32
	s_xor_b32 s0, exec_lo, s0
; %bb.6:
	s_delay_alu instid0(VALU_DEP_2) | instskip(NEXT) | instid1(VALU_DEP_1)
	v_mad_u64_u32 v[19:20], null, v28, v12, v[6:7]
                                        ; implicit-def: $vgpr28
	v_mul_lo_u32 v12, v19, v32
                                        ; implicit-def: $vgpr32
	s_delay_alu instid0(VALU_DEP_1)
	v_sub_nc_u32_e32 v20, 1, v12
; %bb.7:
	s_or_saveexec_b32 s0, s0
	v_ashrrev_i32_e32 v12, 31, v17
	v_ashrrev_i32_e32 v87, 31, v33
	s_xor_b32 exec_lo, exec_lo, s0
; %bb.8:
	v_mad_u64_u32 v[19:20], null, s16, v28, s[12:13]
	s_delay_alu instid0(VALU_DEP_1)
	v_mad_u64_u32 v[20:21], null, v19, v32, 1
; %bb.9:
	s_or_b32 exec_lo, exec_lo, s0
	v_mul_lo_u32 v17, v7, v85
	v_dual_mov_b32 v112, 0xff7fffff :: v_dual_add_nc_u32 v19, 15, v83
	v_add_nc_u32_e32 v21, 1, v7
	v_xor_b32_e32 v31, v12, v87
	s_clause 0x1
	s_load_b32 s17, s[8:9], 0x14
	s_load_b32 s7, s[8:9], 0x8
	s_lshl_b32 s13, s14, 5
	v_sub_nc_u32_e32 v100, 0, v30
	v_sub_nc_u32_e32 v17, v16, v17
	v_mul_lo_u32 v16, s4, v18
	v_ashrrev_i32_e32 v18, 31, v19
	s_add_i32 s0, s13, 32
	v_mbcnt_lo_u32_b32 v103, -1, 0
	v_sub_nc_u32_e32 v28, v17, v85
	v_cmp_ge_u32_e32 vcc_lo, v17, v85
	v_lshrrev_b32_e32 v12, 28, v18
	v_cndmask_b32_e32 v7, v7, v21, vcc_lo
	s_delay_alu instid0(VALU_DEP_4) | instskip(NEXT) | instid1(VALU_DEP_3)
	v_cndmask_b32_e32 v17, v17, v28, vcc_lo
	v_add_nc_u32_e32 v19, v19, v12
	v_lshrrev_b32_e32 v21, 5, v82
	v_mul_lo_u32 v12, v6, v23
	v_add_nc_u32_e32 v18, 1, v7
	v_cmp_ge_u32_e32 vcc_lo, v17, v85
	v_ashrrev_i32_e32 v99, 4, v19
	v_ashrrev_i32_e32 v17, 31, v16
	v_or_b32_e32 v64, s13, v21
	v_lshl_add_u32 v23, v21, 4, s15
	v_cndmask_b32_e32 v7, v7, v18, vcc_lo
	v_min_i32_e32 v96, s0, v99
	v_lshlrev_b64 v[66:67], 2, v[16:17]
	v_ashrrev_i32_e32 v101, 31, v12
	v_ashrrev_i32_e32 v65, 31, v64
	v_xor_b32_e32 v6, v7, v31
	v_cmp_lt_i32_e64 s0, v64, v96
	s_delay_alu instid0(VALU_DEP_2) | instskip(NEXT) | instid1(VALU_DEP_1)
	v_sub_nc_u32_e32 v6, v6, v31
	v_sub_nc_u32_e32 v97, v6, v29
	s_delay_alu instid0(VALU_DEP_3)
	s_and_saveexec_b32 s18, s0
	s_cbranch_execz .LBB407_691
; %bb.10:
	v_max_i32_e32 v113, v30, v100
	s_ashr_i32 s11, s10, 31
	s_getpc_b64 s[2:3]
	s_add_u32 s2, s2, llvm.amdgcn.dynlds.offset.table@rel32@lo+4
	s_addc_u32 s3, s3, llvm.amdgcn.dynlds.offset.table@rel32@hi+12
	s_lshl_b64 s[8:9], s[10:11], 2
	v_bfe_u32 v114, v82, 1, 4
	v_cvt_f32_u32_e32 v6, v113
	v_sub_nc_u32_e32 v17, 0, v113
	s_add_u32 s8, s8, s2
	s_addc_u32 s9, s9, s3
	v_add_co_u32 v8, s1, v8, v12
	v_rcp_iflag_f32_e32 v16, v6
	v_mov_b32_e32 v29, 0
	s_load_b32 s11, s[8:9], 0x0
	v_lshlrev_b64 v[6:7], 2, v[64:65]
	v_lshlrev_b32_e32 v18, 4, v114
	v_add_co_ci_u32_e64 v9, s1, v9, v101, s1
	v_dual_mov_b32 v112, 0xff7fffff :: v_dual_lshlrev_b32 v19, 2, v114
	s_delay_alu instid0(VALU_DEP_4) | instskip(NEXT) | instid1(TRANS32_DEP_1)
	v_add_co_u32 v6, s2, v66, v6
	v_mul_f32_e32 v16, 0x4f7ffffe, v16
	v_add_co_ci_u32_e64 v7, s2, v67, v7, s2
	v_sub_nc_u32_e32 v28, v114, v83
	v_add_co_u32 v68, s2, v8, v18
	s_delay_alu instid0(VALU_DEP_4) | instskip(SKIP_2) | instid1(VALU_DEP_3)
	v_cvt_u32_f32_e32 v16, v16
	v_add_co_ci_u32_e64 v69, s2, 0, v9, s2
	v_add_co_u32 v70, s2, v14, v6
	v_mul_lo_u32 v17, v17, v16
	v_cmp_eq_u32_e32 vcc_lo, 0, v84
	v_dual_mov_b32 v118, 0xff7fffff :: v_dual_lshlrev_b32 v115, 2, v84
	v_mul_u32_u24_e32 v116, 0x70, v84
	v_cmp_neq_f32_e64 s1, 0, v102
	v_lshl_add_u32 v117, v21, 4, s15
	v_lshl_or_b32 v119, v21, 6, v19
	v_mul_hi_u32 v17, v16, v17
	v_add_nc_u32_e32 v128, 1, v28
	v_add_co_ci_u32_e64 v71, s2, v15, v7, s2
	v_mov_b32_e32 v130, v64
	s_mov_b32 s19, 0
	s_delay_alu instid0(VALU_DEP_4)
	v_add_nc_u32_e32 v129, v16, v17
	s_branch .LBB407_13
.LBB407_11:                             ;   in Loop: Header=BB407_13 Depth=1
	s_or_b32 exec_lo, exec_lo, s20
.LBB407_12:                             ;   in Loop: Header=BB407_13 Depth=1
	s_delay_alu instid0(SALU_CYCLE_1) | instskip(SKIP_2) | instid1(VALU_DEP_1)
	s_or_b32 exec_lo, exec_lo, s3
	v_add_nc_u32_e32 v130, 4, v130
	v_add_co_u32 v70, s3, v70, 16
	v_add_co_ci_u32_e64 v71, s3, 0, v71, s3
	s_delay_alu instid0(VALU_DEP_3) | instskip(SKIP_2) | instid1(VALU_DEP_3)
	v_cmp_ge_i32_e64 s2, v130, v96
	v_add_nc_u32_e32 v117, 64, v117
	v_add_nc_u32_e32 v119, 0x100, v119
	s_or_b32 s19, s2, s19
	s_delay_alu instid0(SALU_CYCLE_1)
	s_and_not1_b32 exec_lo, exec_lo, s19
	s_cbranch_execz .LBB407_690
.LBB407_13:                             ; =>This Inner Loop Header: Depth=1
	v_sub_nc_u32_e32 v6, 0, v117
	s_delay_alu instid0(VALU_DEP_1) | instskip(SKIP_1) | instid1(VALU_DEP_1)
	v_max_i32_e32 v6, v117, v6
	s_waitcnt lgkmcnt(0)
	v_mul_hi_u32 v7, v6, v86
	s_delay_alu instid0(VALU_DEP_1) | instskip(NEXT) | instid1(VALU_DEP_1)
	v_mul_lo_u32 v8, v7, v85
	v_sub_nc_u32_e32 v6, v6, v8
	v_add_nc_u32_e32 v8, 1, v7
	s_delay_alu instid0(VALU_DEP_2) | instskip(SKIP_1) | instid1(VALU_DEP_1)
	v_sub_nc_u32_e32 v9, v6, v85
	v_cmp_ge_u32_e64 s2, v6, v85
	v_cndmask_b32_e64 v7, v7, v8, s2
	s_delay_alu instid0(VALU_DEP_3) | instskip(SKIP_1) | instid1(VALU_DEP_3)
	v_cndmask_b32_e64 v6, v6, v9, s2
	v_ashrrev_i32_e32 v8, 31, v117
	v_add_nc_u32_e32 v9, 1, v7
	s_delay_alu instid0(VALU_DEP_3) | instskip(NEXT) | instid1(VALU_DEP_3)
	v_cmp_ge_u32_e64 s2, v6, v85
	v_xor_b32_e32 v8, v8, v87
	s_delay_alu instid0(VALU_DEP_2) | instskip(NEXT) | instid1(VALU_DEP_1)
	v_cndmask_b32_e64 v6, v7, v9, s2
	v_xor_b32_e32 v6, v6, v8
	s_delay_alu instid0(VALU_DEP_1) | instskip(NEXT) | instid1(VALU_DEP_1)
	v_sub_nc_u32_e32 v6, v6, v8
	v_add_nc_u32_e32 v7, v6, v20
	v_cmp_le_i32_e64 s3, v6, v97
	s_delay_alu instid0(VALU_DEP_2) | instskip(NEXT) | instid1(VALU_DEP_1)
	v_sub_nc_u32_e32 v8, 0, v7
	v_max_i32_e32 v8, v7, v8
	v_ashrrev_i32_e32 v7, 31, v7
	s_delay_alu instid0(VALU_DEP_2) | instskip(NEXT) | instid1(VALU_DEP_1)
	v_mul_hi_u32 v9, v8, v129
	v_mul_lo_u32 v9, v9, v113
	s_delay_alu instid0(VALU_DEP_1) | instskip(NEXT) | instid1(VALU_DEP_1)
	v_sub_nc_u32_e32 v8, v8, v9
	v_sub_nc_u32_e32 v9, v8, v113
	v_cmp_ge_u32_e64 s2, v8, v113
	s_delay_alu instid0(VALU_DEP_1) | instskip(NEXT) | instid1(VALU_DEP_1)
	v_cndmask_b32_e64 v8, v8, v9, s2
	v_sub_nc_u32_e32 v9, v8, v113
	v_cmp_ge_u32_e64 s2, v8, v113
	s_delay_alu instid0(VALU_DEP_1) | instskip(NEXT) | instid1(VALU_DEP_1)
	v_cndmask_b32_e64 v8, v8, v9, s2
	v_xor_b32_e32 v8, v8, v7
	s_delay_alu instid0(VALU_DEP_1) | instskip(NEXT) | instid1(VALU_DEP_1)
	v_sub_nc_u32_e32 v7, v8, v7
	v_cmp_ne_u32_e64 s2, 0, v7
	s_delay_alu instid0(VALU_DEP_1) | instskip(NEXT) | instid1(SALU_CYCLE_1)
	s_and_b32 s2, s2, s3
	s_and_b32 s20, vcc_lo, s2
	s_delay_alu instid0(SALU_CYCLE_1)
	s_and_saveexec_b32 s3, s20
	s_cbranch_execz .LBB407_15
; %bb.14:                               ;   in Loop: Header=BB407_13 Depth=1
	s_waitcnt lgkmcnt(0)
	v_add_nc_u32_e32 v6, s11, v119
	ds_store_b32 v6, v118
.LBB407_15:                             ;   in Loop: Header=BB407_13 Depth=1
	s_or_b32 exec_lo, exec_lo, s3
	s_xor_b32 s2, s2, -1
	s_delay_alu instid0(SALU_CYCLE_1)
	s_and_saveexec_b32 s3, s2
	s_cbranch_execz .LBB407_12
; %bb.16:                               ;   in Loop: Header=BB407_13 Depth=1
	flat_load_b32 v8, v[70:71]
	v_mov_b32_e32 v28, 0
	s_mov_b32 s20, exec_lo
	s_waitcnt vmcnt(0) lgkmcnt(0)
	v_mad_i64_i32 v[6:7], null, v8, v22, v[68:69]
	s_delay_alu instid0(VALU_DEP_1) | instskip(NEXT) | instid1(VALU_DEP_1)
	v_add_co_u32 v80, s2, v6, v115
	v_add_co_ci_u32_e64 v81, s2, 0, v7, s2
	flat_load_b32 v145, v[80:81]
	flat_load_b32 v133, v[24:25]
	ds_load_b128 v[52:55], v116
	ds_load_b128 v[48:51], v116 offset:16
	ds_load_b128 v[35:38], v116 offset:32
	;; [unrolled: 1-line block ×5, first 2 shown]
	ds_load_b32 v131, v116 offset:96
	ds_load_u16 v132, v116 offset:100
	s_waitcnt vmcnt(1) lgkmcnt(9)
	v_and_b32_e32 v134, 0xff, v145
	s_delay_alu instid0(VALU_DEP_1)
	v_cmpx_ne_u16_e64 0, v134
	s_cbranch_execz .LBB407_24
; %bb.17:                               ;   in Loop: Header=BB407_13 Depth=1
	v_bfrev_b32_e32 v28, 1
	s_mov_b32 s21, exec_lo
	v_cmpx_ne_u16_e64 0x80, v134
	s_cbranch_execz .LBB407_23
; %bb.18:                               ;   in Loop: Header=BB407_13 Depth=1
	v_and_b32_e32 v135, 0x7f, v145
	v_mov_b32_e32 v28, 0x7f800001
	s_mov_b32 s22, exec_lo
	s_delay_alu instid0(VALU_DEP_2)
	v_cmpx_ne_u32_e32 0x7f, v135
	s_cbranch_execz .LBB407_22
; %bb.19:                               ;   in Loop: Header=BB407_13 Depth=1
	v_and_b32_e32 v28, 7, v145
	v_lshrrev_b32_e32 v134, 3, v135
	s_mov_b32 s23, exec_lo
	v_cmpx_gt_u32_e32 8, v135
; %bb.20:                               ;   in Loop: Header=BB407_13 Depth=1
	s_delay_alu instid0(VALU_DEP_3) | instskip(NEXT) | instid1(VALU_DEP_1)
	v_clz_i32_u32_e32 v134, v28
	v_min_u32_e32 v134, 32, v134
	s_delay_alu instid0(VALU_DEP_1) | instskip(SKIP_1) | instid1(VALU_DEP_2)
	v_subrev_nc_u32_e32 v135, 28, v134
	v_sub_nc_u32_e32 v134, 29, v134
	v_lshlrev_b64 v[146:147], v135, v[28:29]
	s_delay_alu instid0(VALU_DEP_1)
	v_and_b32_e32 v28, 7, v146
; %bb.21:                               ;   in Loop: Header=BB407_13 Depth=1
	s_or_b32 exec_lo, exec_lo, s23
	v_lshlrev_b32_e32 v135, 24, v145
	s_delay_alu instid0(VALU_DEP_2) | instskip(SKIP_1) | instid1(VALU_DEP_3)
	v_lshlrev_b32_e32 v28, 20, v28
	v_lshl_add_u32 v134, v134, 23, 0x3c000000
	v_and_b32_e32 v135, 0x80000000, v135
	s_delay_alu instid0(VALU_DEP_1)
	v_or3_b32 v28, v28, v135, v134
.LBB407_22:                             ;   in Loop: Header=BB407_13 Depth=1
	s_or_b32 exec_lo, exec_lo, s22
.LBB407_23:                             ;   in Loop: Header=BB407_13 Depth=1
	s_delay_alu instid0(SALU_CYCLE_1)
	s_or_b32 exec_lo, exec_lo, s21
.LBB407_24:                             ;   in Loop: Header=BB407_13 Depth=1
	s_delay_alu instid0(SALU_CYCLE_1) | instskip(SKIP_2) | instid1(VALU_DEP_1)
	s_or_b32 exec_lo, exec_lo, s20
	s_waitcnt vmcnt(0) lgkmcnt(8)
	v_mul_f32_e32 v28, v133, v28
	v_and_b32_e32 v134, 0x7f800000, v28
	s_delay_alu instid0(VALU_DEP_1) | instskip(NEXT) | instid1(VALU_DEP_1)
	v_cmp_ne_u32_e64 s2, 0x7f800000, v134
                                        ; implicit-def: $vgpr134
	s_and_saveexec_b32 s20, s2
	s_delay_alu instid0(SALU_CYCLE_1)
	s_xor_b32 s2, exec_lo, s20
; %bb.25:                               ;   in Loop: Header=BB407_13 Depth=1
	v_bfe_u32 v134, v28, 16, 1
	s_delay_alu instid0(VALU_DEP_1)
	v_add3_u32 v134, v28, v134, 0x7fff
                                        ; implicit-def: $vgpr28
; %bb.26:                               ;   in Loop: Header=BB407_13 Depth=1
	s_and_not1_saveexec_b32 s20, s2
; %bb.27:                               ;   in Loop: Header=BB407_13 Depth=1
	v_and_b32_e32 v134, 0xffff, v28
	v_or_b32_e32 v135, 0x10000, v28
	s_delay_alu instid0(VALU_DEP_2) | instskip(NEXT) | instid1(VALU_DEP_1)
	v_cmp_eq_u32_e64 s2, 0, v134
	v_cndmask_b32_e64 v134, v135, v28, s2
; %bb.28:                               ;   in Loop: Header=BB407_13 Depth=1
	s_or_b32 exec_lo, exec_lo, s20
	v_lshrrev_b16 v135, 8, v145
	v_mov_b32_e32 v28, 0
	s_mov_b32 s20, exec_lo
	s_delay_alu instid0(VALU_DEP_2)
	v_cmpx_ne_u16_e64 0, v135
	s_cbranch_execz .LBB407_36
; %bb.29:                               ;   in Loop: Header=BB407_13 Depth=1
	v_bfrev_b32_e32 v28, 1
	s_mov_b32 s21, exec_lo
	v_cmpx_ne_u16_e64 0x80, v135
	s_cbranch_execz .LBB407_35
; %bb.30:                               ;   in Loop: Header=BB407_13 Depth=1
	v_and_b32_e32 v135, 0xffff, v135
	v_mov_b32_e32 v28, 0x7f800001
	s_mov_b32 s22, exec_lo
	s_delay_alu instid0(VALU_DEP_2) | instskip(NEXT) | instid1(VALU_DEP_1)
	v_and_b32_e32 v144, 0x7f, v135
	v_cmpx_ne_u32_e32 0x7f, v144
	s_cbranch_execz .LBB407_34
; %bb.31:                               ;   in Loop: Header=BB407_13 Depth=1
	v_and_b32_e32 v28, 7, v135
	v_lshrrev_b32_e32 v135, 3, v144
	s_mov_b32 s23, exec_lo
	v_cmpx_gt_u32_e32 8, v144
; %bb.32:                               ;   in Loop: Header=BB407_13 Depth=1
	s_delay_alu instid0(VALU_DEP_3) | instskip(NEXT) | instid1(VALU_DEP_1)
	v_clz_i32_u32_e32 v135, v28
	v_min_u32_e32 v135, 32, v135
	s_delay_alu instid0(VALU_DEP_1) | instskip(SKIP_1) | instid1(VALU_DEP_2)
	v_subrev_nc_u32_e32 v144, 28, v135
	v_sub_nc_u32_e32 v135, 29, v135
	v_lshlrev_b64 v[146:147], v144, v[28:29]
	s_delay_alu instid0(VALU_DEP_1)
	v_and_b32_e32 v28, 7, v146
; %bb.33:                               ;   in Loop: Header=BB407_13 Depth=1
	s_or_b32 exec_lo, exec_lo, s23
	v_lshlrev_b32_e32 v144, 16, v145
	s_delay_alu instid0(VALU_DEP_2) | instskip(SKIP_1) | instid1(VALU_DEP_3)
	v_lshlrev_b32_e32 v28, 20, v28
	v_lshl_add_u32 v135, v135, 23, 0x3c000000
	v_and_b32_e32 v144, 0x80000000, v144
	s_delay_alu instid0(VALU_DEP_1)
	v_or3_b32 v28, v28, v144, v135
.LBB407_34:                             ;   in Loop: Header=BB407_13 Depth=1
	s_or_b32 exec_lo, exec_lo, s22
.LBB407_35:                             ;   in Loop: Header=BB407_13 Depth=1
	s_delay_alu instid0(SALU_CYCLE_1)
	s_or_b32 exec_lo, exec_lo, s21
.LBB407_36:                             ;   in Loop: Header=BB407_13 Depth=1
	s_delay_alu instid0(SALU_CYCLE_1) | instskip(NEXT) | instid1(VALU_DEP_1)
	s_or_b32 exec_lo, exec_lo, s20
	v_mul_f32_e32 v28, v133, v28
	s_delay_alu instid0(VALU_DEP_1) | instskip(NEXT) | instid1(VALU_DEP_1)
	v_and_b32_e32 v135, 0x7f800000, v28
	v_cmp_ne_u32_e64 s2, 0x7f800000, v135
                                        ; implicit-def: $vgpr135
	s_delay_alu instid0(VALU_DEP_1) | instskip(NEXT) | instid1(SALU_CYCLE_1)
	s_and_saveexec_b32 s20, s2
	s_xor_b32 s2, exec_lo, s20
; %bb.37:                               ;   in Loop: Header=BB407_13 Depth=1
	v_bfe_u32 v135, v28, 16, 1
	s_delay_alu instid0(VALU_DEP_1)
	v_add3_u32 v135, v28, v135, 0x7fff
                                        ; implicit-def: $vgpr28
; %bb.38:                               ;   in Loop: Header=BB407_13 Depth=1
	s_and_not1_saveexec_b32 s20, s2
; %bb.39:                               ;   in Loop: Header=BB407_13 Depth=1
	v_and_b32_e32 v135, 0xffff, v28
	v_or_b32_e32 v144, 0x10000, v28
	s_delay_alu instid0(VALU_DEP_2) | instskip(NEXT) | instid1(VALU_DEP_1)
	v_cmp_eq_u32_e64 s2, 0, v135
	v_cndmask_b32_e64 v135, v144, v28, s2
; %bb.40:                               ;   in Loop: Header=BB407_13 Depth=1
	s_or_b32 exec_lo, exec_lo, s20
	v_lshrrev_b32_e32 v144, 16, v145
	v_mov_b32_e32 v28, 0
	s_mov_b32 s20, exec_lo
	s_delay_alu instid0(VALU_DEP_2) | instskip(NEXT) | instid1(VALU_DEP_1)
	v_and_b32_e32 v146, 0xff, v144
	v_cmpx_ne_u16_e64 0, v146
	s_cbranch_execz .LBB407_48
; %bb.41:                               ;   in Loop: Header=BB407_13 Depth=1
	v_bfrev_b32_e32 v28, 1
	s_mov_b32 s21, exec_lo
	v_cmpx_ne_u16_e64 0x80, v146
	s_cbranch_execz .LBB407_47
; %bb.42:                               ;   in Loop: Header=BB407_13 Depth=1
	v_bfe_u32 v147, v145, 16, 7
	v_mov_b32_e32 v28, 0x7f800001
	s_mov_b32 s22, exec_lo
	s_delay_alu instid0(VALU_DEP_2)
	v_cmpx_ne_u32_e32 0x7f, v147
	s_cbranch_execz .LBB407_46
; %bb.43:                               ;   in Loop: Header=BB407_13 Depth=1
	v_and_b32_e32 v28, 7, v144
	v_lshrrev_b32_e32 v146, 3, v147
	s_mov_b32 s23, exec_lo
	v_cmpx_gt_u32_e32 8, v147
; %bb.44:                               ;   in Loop: Header=BB407_13 Depth=1
	s_delay_alu instid0(VALU_DEP_3) | instskip(NEXT) | instid1(VALU_DEP_1)
	v_clz_i32_u32_e32 v146, v28
	v_min_u32_e32 v146, 32, v146
	s_delay_alu instid0(VALU_DEP_1) | instskip(SKIP_1) | instid1(VALU_DEP_2)
	v_subrev_nc_u32_e32 v147, 28, v146
	v_sub_nc_u32_e32 v146, 29, v146
	v_lshlrev_b64 v[147:148], v147, v[28:29]
	s_delay_alu instid0(VALU_DEP_1)
	v_and_b32_e32 v28, 7, v147
; %bb.45:                               ;   in Loop: Header=BB407_13 Depth=1
	s_or_b32 exec_lo, exec_lo, s23
	v_lshlrev_b32_e32 v144, 24, v144
	s_delay_alu instid0(VALU_DEP_2) | instskip(SKIP_1) | instid1(VALU_DEP_3)
	v_lshlrev_b32_e32 v28, 20, v28
	v_lshl_add_u32 v146, v146, 23, 0x3c000000
	v_and_b32_e32 v144, 0x80000000, v144
	s_delay_alu instid0(VALU_DEP_1)
	v_or3_b32 v28, v28, v144, v146
.LBB407_46:                             ;   in Loop: Header=BB407_13 Depth=1
	s_or_b32 exec_lo, exec_lo, s22
.LBB407_47:                             ;   in Loop: Header=BB407_13 Depth=1
	s_delay_alu instid0(SALU_CYCLE_1)
	s_or_b32 exec_lo, exec_lo, s21
.LBB407_48:                             ;   in Loop: Header=BB407_13 Depth=1
	s_delay_alu instid0(SALU_CYCLE_1) | instskip(NEXT) | instid1(VALU_DEP_1)
	s_or_b32 exec_lo, exec_lo, s20
	v_mul_f32_e32 v28, v133, v28
	s_delay_alu instid0(VALU_DEP_1) | instskip(NEXT) | instid1(VALU_DEP_1)
	v_and_b32_e32 v144, 0x7f800000, v28
	v_cmp_ne_u32_e64 s2, 0x7f800000, v144
                                        ; implicit-def: $vgpr144
	s_delay_alu instid0(VALU_DEP_1) | instskip(NEXT) | instid1(SALU_CYCLE_1)
	s_and_saveexec_b32 s20, s2
	s_xor_b32 s2, exec_lo, s20
; %bb.49:                               ;   in Loop: Header=BB407_13 Depth=1
	v_bfe_u32 v144, v28, 16, 1
	s_delay_alu instid0(VALU_DEP_1)
	v_add3_u32 v144, v28, v144, 0x7fff
                                        ; implicit-def: $vgpr28
; %bb.50:                               ;   in Loop: Header=BB407_13 Depth=1
	s_and_not1_saveexec_b32 s20, s2
; %bb.51:                               ;   in Loop: Header=BB407_13 Depth=1
	v_and_b32_e32 v144, 0xffff, v28
	v_or_b32_e32 v146, 0x10000, v28
	s_delay_alu instid0(VALU_DEP_2) | instskip(NEXT) | instid1(VALU_DEP_1)
	v_cmp_eq_u32_e64 s2, 0, v144
	v_cndmask_b32_e64 v144, v146, v28, s2
; %bb.52:                               ;   in Loop: Header=BB407_13 Depth=1
	s_or_b32 exec_lo, exec_lo, s20
	v_mov_b32_e32 v28, 0
	s_mov_b32 s20, exec_lo
	v_cmpx_lt_u32_e32 0xffffff, v145
	s_cbranch_execz .LBB407_60
; %bb.53:                               ;   in Loop: Header=BB407_13 Depth=1
	v_lshrrev_b32_e32 v146, 24, v145
	v_bfrev_b32_e32 v28, 1
	s_mov_b32 s21, exec_lo
	s_delay_alu instid0(VALU_DEP_2)
	v_cmpx_ne_u32_e32 0x80, v146
	s_cbranch_execz .LBB407_59
; %bb.54:                               ;   in Loop: Header=BB407_13 Depth=1
	v_bfe_u32 v147, v145, 24, 7
	v_mov_b32_e32 v28, 0x7f800001
	s_mov_b32 s22, exec_lo
	s_delay_alu instid0(VALU_DEP_2)
	v_cmpx_ne_u32_e32 0x7f, v147
	s_cbranch_execz .LBB407_58
; %bb.55:                               ;   in Loop: Header=BB407_13 Depth=1
	v_and_b32_e32 v28, 7, v146
	v_lshrrev_b32_e32 v145, 3, v147
	s_mov_b32 s23, exec_lo
	v_cmpx_gt_u32_e32 8, v147
; %bb.56:                               ;   in Loop: Header=BB407_13 Depth=1
	s_delay_alu instid0(VALU_DEP_3) | instskip(NEXT) | instid1(VALU_DEP_1)
	v_clz_i32_u32_e32 v145, v28
	v_min_u32_e32 v145, 32, v145
	s_delay_alu instid0(VALU_DEP_1) | instskip(SKIP_1) | instid1(VALU_DEP_2)
	v_subrev_nc_u32_e32 v147, 28, v145
	v_sub_nc_u32_e32 v145, 29, v145
	v_lshlrev_b64 v[147:148], v147, v[28:29]
	s_delay_alu instid0(VALU_DEP_1)
	v_and_b32_e32 v28, 7, v147
; %bb.57:                               ;   in Loop: Header=BB407_13 Depth=1
	s_or_b32 exec_lo, exec_lo, s23
	v_lshlrev_b32_e32 v146, 24, v146
	s_delay_alu instid0(VALU_DEP_2) | instskip(SKIP_1) | instid1(VALU_DEP_3)
	v_lshlrev_b32_e32 v28, 20, v28
	v_lshl_add_u32 v145, v145, 23, 0x3c000000
	v_and_b32_e32 v146, 0x80000000, v146
	s_delay_alu instid0(VALU_DEP_1)
	v_or3_b32 v28, v28, v146, v145
.LBB407_58:                             ;   in Loop: Header=BB407_13 Depth=1
	s_or_b32 exec_lo, exec_lo, s22
.LBB407_59:                             ;   in Loop: Header=BB407_13 Depth=1
	s_delay_alu instid0(SALU_CYCLE_1)
	s_or_b32 exec_lo, exec_lo, s21
.LBB407_60:                             ;   in Loop: Header=BB407_13 Depth=1
	s_delay_alu instid0(SALU_CYCLE_1) | instskip(NEXT) | instid1(VALU_DEP_1)
	s_or_b32 exec_lo, exec_lo, s20
	v_mul_f32_e32 v28, v133, v28
	s_delay_alu instid0(VALU_DEP_1) | instskip(NEXT) | instid1(VALU_DEP_1)
	v_and_b32_e32 v145, 0x7f800000, v28
	v_cmp_ne_u32_e64 s2, 0x7f800000, v145
                                        ; implicit-def: $vgpr145
	s_delay_alu instid0(VALU_DEP_1) | instskip(NEXT) | instid1(SALU_CYCLE_1)
	s_and_saveexec_b32 s20, s2
	s_xor_b32 s2, exec_lo, s20
; %bb.61:                               ;   in Loop: Header=BB407_13 Depth=1
	v_bfe_u32 v145, v28, 16, 1
	s_delay_alu instid0(VALU_DEP_1)
	v_add3_u32 v145, v28, v145, 0x7fff
                                        ; implicit-def: $vgpr28
; %bb.62:                               ;   in Loop: Header=BB407_13 Depth=1
	s_and_not1_saveexec_b32 s20, s2
; %bb.63:                               ;   in Loop: Header=BB407_13 Depth=1
	v_and_b32_e32 v145, 0xffff, v28
	v_or_b32_e32 v146, 0x10000, v28
	s_delay_alu instid0(VALU_DEP_2) | instskip(NEXT) | instid1(VALU_DEP_1)
	v_cmp_eq_u32_e64 s2, 0, v145
	v_cndmask_b32_e64 v145, v146, v28, s2
; %bb.64:                               ;   in Loop: Header=BB407_13 Depth=1
	s_or_b32 exec_lo, exec_lo, s20
	flat_load_b32 v149, v[80:81] offset:8
	v_mov_b32_e32 v28, 0
	s_mov_b32 s20, exec_lo
	s_waitcnt vmcnt(0) lgkmcnt(0)
	v_and_b32_e32 v146, 0xff, v149
	s_delay_alu instid0(VALU_DEP_1)
	v_cmpx_ne_u16_e64 0, v146
	s_cbranch_execz .LBB407_72
; %bb.65:                               ;   in Loop: Header=BB407_13 Depth=1
	v_bfrev_b32_e32 v28, 1
	s_mov_b32 s21, exec_lo
	v_cmpx_ne_u16_e64 0x80, v146
	s_cbranch_execz .LBB407_71
; %bb.66:                               ;   in Loop: Header=BB407_13 Depth=1
	v_and_b32_e32 v147, 0x7f, v149
	v_mov_b32_e32 v28, 0x7f800001
	s_mov_b32 s22, exec_lo
	s_delay_alu instid0(VALU_DEP_2)
	v_cmpx_ne_u32_e32 0x7f, v147
	s_cbranch_execz .LBB407_70
; %bb.67:                               ;   in Loop: Header=BB407_13 Depth=1
	v_and_b32_e32 v28, 7, v149
	v_lshrrev_b32_e32 v146, 3, v147
	s_mov_b32 s23, exec_lo
	v_cmpx_gt_u32_e32 8, v147
; %bb.68:                               ;   in Loop: Header=BB407_13 Depth=1
	s_delay_alu instid0(VALU_DEP_3) | instskip(NEXT) | instid1(VALU_DEP_1)
	v_clz_i32_u32_e32 v146, v28
	v_min_u32_e32 v146, 32, v146
	s_delay_alu instid0(VALU_DEP_1) | instskip(SKIP_1) | instid1(VALU_DEP_2)
	v_subrev_nc_u32_e32 v147, 28, v146
	v_sub_nc_u32_e32 v146, 29, v146
	v_lshlrev_b64 v[147:148], v147, v[28:29]
	s_delay_alu instid0(VALU_DEP_1)
	v_and_b32_e32 v28, 7, v147
; %bb.69:                               ;   in Loop: Header=BB407_13 Depth=1
	s_or_b32 exec_lo, exec_lo, s23
	v_lshlrev_b32_e32 v147, 24, v149
	s_delay_alu instid0(VALU_DEP_2) | instskip(SKIP_1) | instid1(VALU_DEP_3)
	v_lshlrev_b32_e32 v28, 20, v28
	v_lshl_add_u32 v146, v146, 23, 0x3c000000
	v_and_b32_e32 v147, 0x80000000, v147
	s_delay_alu instid0(VALU_DEP_1)
	v_or3_b32 v28, v28, v147, v146
.LBB407_70:                             ;   in Loop: Header=BB407_13 Depth=1
	s_or_b32 exec_lo, exec_lo, s22
.LBB407_71:                             ;   in Loop: Header=BB407_13 Depth=1
	s_delay_alu instid0(SALU_CYCLE_1)
	s_or_b32 exec_lo, exec_lo, s21
.LBB407_72:                             ;   in Loop: Header=BB407_13 Depth=1
	s_delay_alu instid0(SALU_CYCLE_1) | instskip(NEXT) | instid1(VALU_DEP_1)
	s_or_b32 exec_lo, exec_lo, s20
	v_mul_f32_e32 v28, v133, v28
	s_delay_alu instid0(VALU_DEP_1) | instskip(NEXT) | instid1(VALU_DEP_1)
	v_and_b32_e32 v146, 0x7f800000, v28
	v_cmp_ne_u32_e64 s2, 0x7f800000, v146
                                        ; implicit-def: $vgpr146
	s_delay_alu instid0(VALU_DEP_1) | instskip(NEXT) | instid1(SALU_CYCLE_1)
	s_and_saveexec_b32 s20, s2
	s_xor_b32 s2, exec_lo, s20
; %bb.73:                               ;   in Loop: Header=BB407_13 Depth=1
	v_bfe_u32 v146, v28, 16, 1
	s_delay_alu instid0(VALU_DEP_1)
	v_add3_u32 v146, v28, v146, 0x7fff
                                        ; implicit-def: $vgpr28
; %bb.74:                               ;   in Loop: Header=BB407_13 Depth=1
	s_and_not1_saveexec_b32 s20, s2
; %bb.75:                               ;   in Loop: Header=BB407_13 Depth=1
	v_and_b32_e32 v146, 0xffff, v28
	v_or_b32_e32 v147, 0x10000, v28
	s_delay_alu instid0(VALU_DEP_2) | instskip(NEXT) | instid1(VALU_DEP_1)
	v_cmp_eq_u32_e64 s2, 0, v146
	v_cndmask_b32_e64 v146, v147, v28, s2
; %bb.76:                               ;   in Loop: Header=BB407_13 Depth=1
	s_or_b32 exec_lo, exec_lo, s20
	v_lshrrev_b16 v147, 8, v149
	v_mov_b32_e32 v28, 0
	s_mov_b32 s20, exec_lo
	s_delay_alu instid0(VALU_DEP_2)
	v_cmpx_ne_u16_e64 0, v147
	s_cbranch_execz .LBB407_84
; %bb.77:                               ;   in Loop: Header=BB407_13 Depth=1
	v_bfrev_b32_e32 v28, 1
	s_mov_b32 s21, exec_lo
	v_cmpx_ne_u16_e64 0x80, v147
	s_cbranch_execz .LBB407_83
; %bb.78:                               ;   in Loop: Header=BB407_13 Depth=1
	v_and_b32_e32 v147, 0xffff, v147
	v_mov_b32_e32 v28, 0x7f800001
	s_mov_b32 s22, exec_lo
	s_delay_alu instid0(VALU_DEP_2) | instskip(NEXT) | instid1(VALU_DEP_1)
	v_and_b32_e32 v148, 0x7f, v147
	v_cmpx_ne_u32_e32 0x7f, v148
	s_cbranch_execz .LBB407_82
; %bb.79:                               ;   in Loop: Header=BB407_13 Depth=1
	v_and_b32_e32 v28, 7, v147
	v_lshrrev_b32_e32 v147, 3, v148
	s_mov_b32 s23, exec_lo
	v_cmpx_gt_u32_e32 8, v148
; %bb.80:                               ;   in Loop: Header=BB407_13 Depth=1
	s_delay_alu instid0(VALU_DEP_3) | instskip(NEXT) | instid1(VALU_DEP_1)
	v_clz_i32_u32_e32 v147, v28
	v_min_u32_e32 v147, 32, v147
	s_delay_alu instid0(VALU_DEP_1) | instskip(SKIP_1) | instid1(VALU_DEP_2)
	v_subrev_nc_u32_e32 v148, 28, v147
	v_sub_nc_u32_e32 v147, 29, v147
	v_lshlrev_b64 v[150:151], v148, v[28:29]
	s_delay_alu instid0(VALU_DEP_1)
	v_and_b32_e32 v28, 7, v150
; %bb.81:                               ;   in Loop: Header=BB407_13 Depth=1
	s_or_b32 exec_lo, exec_lo, s23
	v_lshlrev_b32_e32 v148, 16, v149
	s_delay_alu instid0(VALU_DEP_2) | instskip(SKIP_1) | instid1(VALU_DEP_3)
	v_lshlrev_b32_e32 v28, 20, v28
	v_lshl_add_u32 v147, v147, 23, 0x3c000000
	v_and_b32_e32 v148, 0x80000000, v148
	s_delay_alu instid0(VALU_DEP_1)
	v_or3_b32 v28, v28, v148, v147
.LBB407_82:                             ;   in Loop: Header=BB407_13 Depth=1
	s_or_b32 exec_lo, exec_lo, s22
.LBB407_83:                             ;   in Loop: Header=BB407_13 Depth=1
	s_delay_alu instid0(SALU_CYCLE_1)
	s_or_b32 exec_lo, exec_lo, s21
.LBB407_84:                             ;   in Loop: Header=BB407_13 Depth=1
	s_delay_alu instid0(SALU_CYCLE_1) | instskip(NEXT) | instid1(VALU_DEP_1)
	s_or_b32 exec_lo, exec_lo, s20
	v_mul_f32_e32 v28, v133, v28
	s_delay_alu instid0(VALU_DEP_1) | instskip(NEXT) | instid1(VALU_DEP_1)
	v_and_b32_e32 v147, 0x7f800000, v28
	v_cmp_ne_u32_e64 s2, 0x7f800000, v147
                                        ; implicit-def: $vgpr147
	s_delay_alu instid0(VALU_DEP_1) | instskip(NEXT) | instid1(SALU_CYCLE_1)
	s_and_saveexec_b32 s20, s2
	s_xor_b32 s2, exec_lo, s20
; %bb.85:                               ;   in Loop: Header=BB407_13 Depth=1
	v_bfe_u32 v147, v28, 16, 1
	s_delay_alu instid0(VALU_DEP_1)
	v_add3_u32 v147, v28, v147, 0x7fff
                                        ; implicit-def: $vgpr28
; %bb.86:                               ;   in Loop: Header=BB407_13 Depth=1
	s_and_not1_saveexec_b32 s20, s2
; %bb.87:                               ;   in Loop: Header=BB407_13 Depth=1
	v_and_b32_e32 v147, 0xffff, v28
	v_or_b32_e32 v148, 0x10000, v28
	s_delay_alu instid0(VALU_DEP_2) | instskip(NEXT) | instid1(VALU_DEP_1)
	v_cmp_eq_u32_e64 s2, 0, v147
	v_cndmask_b32_e64 v147, v148, v28, s2
; %bb.88:                               ;   in Loop: Header=BB407_13 Depth=1
	s_or_b32 exec_lo, exec_lo, s20
	v_lshrrev_b32_e32 v148, 16, v149
	v_mov_b32_e32 v28, 0
	s_mov_b32 s20, exec_lo
	s_delay_alu instid0(VALU_DEP_2) | instskip(NEXT) | instid1(VALU_DEP_1)
	v_and_b32_e32 v150, 0xff, v148
	v_cmpx_ne_u16_e64 0, v150
	s_cbranch_execz .LBB407_96
; %bb.89:                               ;   in Loop: Header=BB407_13 Depth=1
	v_bfrev_b32_e32 v28, 1
	s_mov_b32 s21, exec_lo
	v_cmpx_ne_u16_e64 0x80, v150
	s_cbranch_execz .LBB407_95
; %bb.90:                               ;   in Loop: Header=BB407_13 Depth=1
	v_bfe_u32 v151, v149, 16, 7
	v_mov_b32_e32 v28, 0x7f800001
	s_mov_b32 s22, exec_lo
	s_delay_alu instid0(VALU_DEP_2)
	v_cmpx_ne_u32_e32 0x7f, v151
	s_cbranch_execz .LBB407_94
; %bb.91:                               ;   in Loop: Header=BB407_13 Depth=1
	v_and_b32_e32 v28, 7, v148
	v_lshrrev_b32_e32 v150, 3, v151
	s_mov_b32 s23, exec_lo
	v_cmpx_gt_u32_e32 8, v151
; %bb.92:                               ;   in Loop: Header=BB407_13 Depth=1
	s_delay_alu instid0(VALU_DEP_3) | instskip(NEXT) | instid1(VALU_DEP_1)
	v_clz_i32_u32_e32 v150, v28
	v_min_u32_e32 v150, 32, v150
	s_delay_alu instid0(VALU_DEP_1) | instskip(SKIP_1) | instid1(VALU_DEP_2)
	v_subrev_nc_u32_e32 v151, 28, v150
	v_sub_nc_u32_e32 v150, 29, v150
	v_lshlrev_b64 v[160:161], v151, v[28:29]
	s_delay_alu instid0(VALU_DEP_1)
	v_and_b32_e32 v28, 7, v160
; %bb.93:                               ;   in Loop: Header=BB407_13 Depth=1
	s_or_b32 exec_lo, exec_lo, s23
	v_lshlrev_b32_e32 v148, 24, v148
	s_delay_alu instid0(VALU_DEP_2) | instskip(SKIP_1) | instid1(VALU_DEP_3)
	v_lshlrev_b32_e32 v28, 20, v28
	v_lshl_add_u32 v150, v150, 23, 0x3c000000
	v_and_b32_e32 v148, 0x80000000, v148
	s_delay_alu instid0(VALU_DEP_1)
	v_or3_b32 v28, v28, v148, v150
.LBB407_94:                             ;   in Loop: Header=BB407_13 Depth=1
	s_or_b32 exec_lo, exec_lo, s22
.LBB407_95:                             ;   in Loop: Header=BB407_13 Depth=1
	s_delay_alu instid0(SALU_CYCLE_1)
	s_or_b32 exec_lo, exec_lo, s21
.LBB407_96:                             ;   in Loop: Header=BB407_13 Depth=1
	s_delay_alu instid0(SALU_CYCLE_1) | instskip(NEXT) | instid1(VALU_DEP_1)
	s_or_b32 exec_lo, exec_lo, s20
	v_mul_f32_e32 v28, v133, v28
	s_delay_alu instid0(VALU_DEP_1) | instskip(NEXT) | instid1(VALU_DEP_1)
	v_and_b32_e32 v148, 0x7f800000, v28
	v_cmp_ne_u32_e64 s2, 0x7f800000, v148
                                        ; implicit-def: $vgpr148
	s_delay_alu instid0(VALU_DEP_1) | instskip(NEXT) | instid1(SALU_CYCLE_1)
	s_and_saveexec_b32 s20, s2
	s_xor_b32 s2, exec_lo, s20
; %bb.97:                               ;   in Loop: Header=BB407_13 Depth=1
	v_bfe_u32 v148, v28, 16, 1
	s_delay_alu instid0(VALU_DEP_1)
	v_add3_u32 v148, v28, v148, 0x7fff
                                        ; implicit-def: $vgpr28
; %bb.98:                               ;   in Loop: Header=BB407_13 Depth=1
	s_and_not1_saveexec_b32 s20, s2
; %bb.99:                               ;   in Loop: Header=BB407_13 Depth=1
	v_and_b32_e32 v148, 0xffff, v28
	v_or_b32_e32 v150, 0x10000, v28
	s_delay_alu instid0(VALU_DEP_2) | instskip(NEXT) | instid1(VALU_DEP_1)
	v_cmp_eq_u32_e64 s2, 0, v148
	v_cndmask_b32_e64 v148, v150, v28, s2
; %bb.100:                              ;   in Loop: Header=BB407_13 Depth=1
	s_or_b32 exec_lo, exec_lo, s20
	v_mov_b32_e32 v28, 0
	s_mov_b32 s20, exec_lo
	v_cmpx_lt_u32_e32 0xffffff, v149
	s_cbranch_execz .LBB407_108
; %bb.101:                              ;   in Loop: Header=BB407_13 Depth=1
	v_lshrrev_b32_e32 v150, 24, v149
	v_bfrev_b32_e32 v28, 1
	s_mov_b32 s21, exec_lo
	s_delay_alu instid0(VALU_DEP_2)
	v_cmpx_ne_u32_e32 0x80, v150
	s_cbranch_execz .LBB407_107
; %bb.102:                              ;   in Loop: Header=BB407_13 Depth=1
	v_bfe_u32 v151, v149, 24, 7
	v_mov_b32_e32 v28, 0x7f800001
	s_mov_b32 s22, exec_lo
	s_delay_alu instid0(VALU_DEP_2)
	v_cmpx_ne_u32_e32 0x7f, v151
	s_cbranch_execz .LBB407_106
; %bb.103:                              ;   in Loop: Header=BB407_13 Depth=1
	v_and_b32_e32 v28, 7, v150
	v_lshrrev_b32_e32 v149, 3, v151
	s_mov_b32 s23, exec_lo
	v_cmpx_gt_u32_e32 8, v151
; %bb.104:                              ;   in Loop: Header=BB407_13 Depth=1
	s_delay_alu instid0(VALU_DEP_3) | instskip(NEXT) | instid1(VALU_DEP_1)
	v_clz_i32_u32_e32 v149, v28
	v_min_u32_e32 v149, 32, v149
	s_delay_alu instid0(VALU_DEP_1) | instskip(SKIP_1) | instid1(VALU_DEP_2)
	v_subrev_nc_u32_e32 v151, 28, v149
	v_sub_nc_u32_e32 v149, 29, v149
	v_lshlrev_b64 v[160:161], v151, v[28:29]
	s_delay_alu instid0(VALU_DEP_1)
	v_and_b32_e32 v28, 7, v160
; %bb.105:                              ;   in Loop: Header=BB407_13 Depth=1
	s_or_b32 exec_lo, exec_lo, s23
	v_lshlrev_b32_e32 v150, 24, v150
	s_delay_alu instid0(VALU_DEP_2) | instskip(SKIP_1) | instid1(VALU_DEP_3)
	v_lshlrev_b32_e32 v28, 20, v28
	v_lshl_add_u32 v149, v149, 23, 0x3c000000
	v_and_b32_e32 v150, 0x80000000, v150
	s_delay_alu instid0(VALU_DEP_1)
	v_or3_b32 v28, v28, v150, v149
.LBB407_106:                            ;   in Loop: Header=BB407_13 Depth=1
	s_or_b32 exec_lo, exec_lo, s22
.LBB407_107:                            ;   in Loop: Header=BB407_13 Depth=1
	s_delay_alu instid0(SALU_CYCLE_1)
	s_or_b32 exec_lo, exec_lo, s21
.LBB407_108:                            ;   in Loop: Header=BB407_13 Depth=1
	s_delay_alu instid0(SALU_CYCLE_1) | instskip(NEXT) | instid1(VALU_DEP_1)
	s_or_b32 exec_lo, exec_lo, s20
	v_mul_f32_e32 v28, v133, v28
	s_delay_alu instid0(VALU_DEP_1) | instskip(NEXT) | instid1(VALU_DEP_1)
	v_and_b32_e32 v149, 0x7f800000, v28
	v_cmp_ne_u32_e64 s2, 0x7f800000, v149
                                        ; implicit-def: $vgpr149
	s_delay_alu instid0(VALU_DEP_1) | instskip(NEXT) | instid1(SALU_CYCLE_1)
	s_and_saveexec_b32 s20, s2
	s_xor_b32 s2, exec_lo, s20
; %bb.109:                              ;   in Loop: Header=BB407_13 Depth=1
	v_bfe_u32 v149, v28, 16, 1
	s_delay_alu instid0(VALU_DEP_1)
	v_add3_u32 v149, v28, v149, 0x7fff
                                        ; implicit-def: $vgpr28
; %bb.110:                              ;   in Loop: Header=BB407_13 Depth=1
	s_and_not1_saveexec_b32 s20, s2
; %bb.111:                              ;   in Loop: Header=BB407_13 Depth=1
	v_and_b32_e32 v149, 0xffff, v28
	v_or_b32_e32 v150, 0x10000, v28
	s_delay_alu instid0(VALU_DEP_2) | instskip(NEXT) | instid1(VALU_DEP_1)
	v_cmp_eq_u32_e64 s2, 0, v149
	v_cndmask_b32_e64 v149, v150, v28, s2
; %bb.112:                              ;   in Loop: Header=BB407_13 Depth=1
	s_or_b32 exec_lo, exec_lo, s20
	flat_load_b32 v161, v[80:81] offset:256
	v_mov_b32_e32 v28, 0
	s_mov_b32 s20, exec_lo
	s_waitcnt vmcnt(0) lgkmcnt(0)
	v_and_b32_e32 v150, 0xff, v161
	s_delay_alu instid0(VALU_DEP_1)
	v_cmpx_ne_u16_e64 0, v150
	s_cbranch_execz .LBB407_120
; %bb.113:                              ;   in Loop: Header=BB407_13 Depth=1
	v_bfrev_b32_e32 v28, 1
	s_mov_b32 s21, exec_lo
	v_cmpx_ne_u16_e64 0x80, v150
	s_cbranch_execz .LBB407_119
; %bb.114:                              ;   in Loop: Header=BB407_13 Depth=1
	v_and_b32_e32 v151, 0x7f, v161
	v_mov_b32_e32 v28, 0x7f800001
	s_mov_b32 s22, exec_lo
	s_delay_alu instid0(VALU_DEP_2)
	v_cmpx_ne_u32_e32 0x7f, v151
	s_cbranch_execz .LBB407_118
; %bb.115:                              ;   in Loop: Header=BB407_13 Depth=1
	v_and_b32_e32 v28, 7, v161
	v_lshrrev_b32_e32 v150, 3, v151
	s_mov_b32 s23, exec_lo
	v_cmpx_gt_u32_e32 8, v151
; %bb.116:                              ;   in Loop: Header=BB407_13 Depth=1
	s_delay_alu instid0(VALU_DEP_3) | instskip(NEXT) | instid1(VALU_DEP_1)
	v_clz_i32_u32_e32 v150, v28
	v_min_u32_e32 v150, 32, v150
	s_delay_alu instid0(VALU_DEP_1) | instskip(SKIP_1) | instid1(VALU_DEP_2)
	v_subrev_nc_u32_e32 v151, 28, v150
	v_sub_nc_u32_e32 v150, 29, v150
	v_lshlrev_b64 v[162:163], v151, v[28:29]
	s_delay_alu instid0(VALU_DEP_1)
	v_and_b32_e32 v28, 7, v162
; %bb.117:                              ;   in Loop: Header=BB407_13 Depth=1
	s_or_b32 exec_lo, exec_lo, s23
	v_lshlrev_b32_e32 v151, 24, v161
	s_delay_alu instid0(VALU_DEP_2) | instskip(SKIP_1) | instid1(VALU_DEP_3)
	v_lshlrev_b32_e32 v28, 20, v28
	v_lshl_add_u32 v150, v150, 23, 0x3c000000
	v_and_b32_e32 v151, 0x80000000, v151
	s_delay_alu instid0(VALU_DEP_1)
	v_or3_b32 v28, v28, v151, v150
.LBB407_118:                            ;   in Loop: Header=BB407_13 Depth=1
	s_or_b32 exec_lo, exec_lo, s22
.LBB407_119:                            ;   in Loop: Header=BB407_13 Depth=1
	s_delay_alu instid0(SALU_CYCLE_1)
	s_or_b32 exec_lo, exec_lo, s21
.LBB407_120:                            ;   in Loop: Header=BB407_13 Depth=1
	s_delay_alu instid0(SALU_CYCLE_1) | instskip(NEXT) | instid1(VALU_DEP_1)
	s_or_b32 exec_lo, exec_lo, s20
	v_mul_f32_e32 v28, v133, v28
	s_delay_alu instid0(VALU_DEP_1) | instskip(NEXT) | instid1(VALU_DEP_1)
	v_and_b32_e32 v150, 0x7f800000, v28
	v_cmp_ne_u32_e64 s2, 0x7f800000, v150
                                        ; implicit-def: $vgpr150
	s_delay_alu instid0(VALU_DEP_1) | instskip(NEXT) | instid1(SALU_CYCLE_1)
	s_and_saveexec_b32 s20, s2
	s_xor_b32 s2, exec_lo, s20
; %bb.121:                              ;   in Loop: Header=BB407_13 Depth=1
	v_bfe_u32 v150, v28, 16, 1
	s_delay_alu instid0(VALU_DEP_1)
	v_add3_u32 v150, v28, v150, 0x7fff
                                        ; implicit-def: $vgpr28
; %bb.122:                              ;   in Loop: Header=BB407_13 Depth=1
	s_and_not1_saveexec_b32 s20, s2
; %bb.123:                              ;   in Loop: Header=BB407_13 Depth=1
	v_and_b32_e32 v150, 0xffff, v28
	v_or_b32_e32 v151, 0x10000, v28
	s_delay_alu instid0(VALU_DEP_2) | instskip(NEXT) | instid1(VALU_DEP_1)
	v_cmp_eq_u32_e64 s2, 0, v150
	v_cndmask_b32_e64 v150, v151, v28, s2
; %bb.124:                              ;   in Loop: Header=BB407_13 Depth=1
	s_or_b32 exec_lo, exec_lo, s20
	v_lshrrev_b16 v151, 8, v161
	v_mov_b32_e32 v28, 0
	s_mov_b32 s20, exec_lo
	s_delay_alu instid0(VALU_DEP_2)
	v_cmpx_ne_u16_e64 0, v151
	s_cbranch_execz .LBB407_132
; %bb.125:                              ;   in Loop: Header=BB407_13 Depth=1
	v_bfrev_b32_e32 v28, 1
	s_mov_b32 s21, exec_lo
	v_cmpx_ne_u16_e64 0x80, v151
	s_cbranch_execz .LBB407_131
; %bb.126:                              ;   in Loop: Header=BB407_13 Depth=1
	v_and_b32_e32 v151, 0xffff, v151
	v_mov_b32_e32 v28, 0x7f800001
	s_mov_b32 s22, exec_lo
	s_delay_alu instid0(VALU_DEP_2) | instskip(NEXT) | instid1(VALU_DEP_1)
	v_and_b32_e32 v160, 0x7f, v151
	v_cmpx_ne_u32_e32 0x7f, v160
	s_cbranch_execz .LBB407_130
; %bb.127:                              ;   in Loop: Header=BB407_13 Depth=1
	v_and_b32_e32 v28, 7, v151
	v_lshrrev_b32_e32 v151, 3, v160
	s_mov_b32 s23, exec_lo
	v_cmpx_gt_u32_e32 8, v160
; %bb.128:                              ;   in Loop: Header=BB407_13 Depth=1
	s_delay_alu instid0(VALU_DEP_3) | instskip(NEXT) | instid1(VALU_DEP_1)
	v_clz_i32_u32_e32 v151, v28
	v_min_u32_e32 v151, 32, v151
	s_delay_alu instid0(VALU_DEP_1) | instskip(SKIP_1) | instid1(VALU_DEP_2)
	v_subrev_nc_u32_e32 v160, 28, v151
	v_sub_nc_u32_e32 v151, 29, v151
	v_lshlrev_b64 v[162:163], v160, v[28:29]
	s_delay_alu instid0(VALU_DEP_1)
	v_and_b32_e32 v28, 7, v162
; %bb.129:                              ;   in Loop: Header=BB407_13 Depth=1
	s_or_b32 exec_lo, exec_lo, s23
	v_lshlrev_b32_e32 v160, 16, v161
	s_delay_alu instid0(VALU_DEP_2) | instskip(SKIP_1) | instid1(VALU_DEP_3)
	v_lshlrev_b32_e32 v28, 20, v28
	v_lshl_add_u32 v151, v151, 23, 0x3c000000
	v_and_b32_e32 v160, 0x80000000, v160
	s_delay_alu instid0(VALU_DEP_1)
	v_or3_b32 v28, v28, v160, v151
.LBB407_130:                            ;   in Loop: Header=BB407_13 Depth=1
	s_or_b32 exec_lo, exec_lo, s22
.LBB407_131:                            ;   in Loop: Header=BB407_13 Depth=1
	s_delay_alu instid0(SALU_CYCLE_1)
	s_or_b32 exec_lo, exec_lo, s21
.LBB407_132:                            ;   in Loop: Header=BB407_13 Depth=1
	s_delay_alu instid0(SALU_CYCLE_1) | instskip(NEXT) | instid1(VALU_DEP_1)
	s_or_b32 exec_lo, exec_lo, s20
	v_mul_f32_e32 v28, v133, v28
	s_delay_alu instid0(VALU_DEP_1) | instskip(NEXT) | instid1(VALU_DEP_1)
	v_and_b32_e32 v151, 0x7f800000, v28
	v_cmp_ne_u32_e64 s2, 0x7f800000, v151
                                        ; implicit-def: $vgpr151
	s_delay_alu instid0(VALU_DEP_1) | instskip(NEXT) | instid1(SALU_CYCLE_1)
	s_and_saveexec_b32 s20, s2
	s_xor_b32 s2, exec_lo, s20
; %bb.133:                              ;   in Loop: Header=BB407_13 Depth=1
	v_bfe_u32 v151, v28, 16, 1
	s_delay_alu instid0(VALU_DEP_1)
	v_add3_u32 v151, v28, v151, 0x7fff
                                        ; implicit-def: $vgpr28
; %bb.134:                              ;   in Loop: Header=BB407_13 Depth=1
	s_and_not1_saveexec_b32 s20, s2
; %bb.135:                              ;   in Loop: Header=BB407_13 Depth=1
	v_and_b32_e32 v151, 0xffff, v28
	v_or_b32_e32 v160, 0x10000, v28
	s_delay_alu instid0(VALU_DEP_2) | instskip(NEXT) | instid1(VALU_DEP_1)
	v_cmp_eq_u32_e64 s2, 0, v151
	v_cndmask_b32_e64 v151, v160, v28, s2
; %bb.136:                              ;   in Loop: Header=BB407_13 Depth=1
	s_or_b32 exec_lo, exec_lo, s20
	v_lshrrev_b32_e32 v160, 16, v161
	v_mov_b32_e32 v28, 0
	s_mov_b32 s20, exec_lo
	s_delay_alu instid0(VALU_DEP_2) | instskip(NEXT) | instid1(VALU_DEP_1)
	v_and_b32_e32 v162, 0xff, v160
	v_cmpx_ne_u16_e64 0, v162
	s_cbranch_execz .LBB407_144
; %bb.137:                              ;   in Loop: Header=BB407_13 Depth=1
	v_bfrev_b32_e32 v28, 1
	s_mov_b32 s21, exec_lo
	v_cmpx_ne_u16_e64 0x80, v162
	s_cbranch_execz .LBB407_143
; %bb.138:                              ;   in Loop: Header=BB407_13 Depth=1
	v_bfe_u32 v163, v161, 16, 7
	v_mov_b32_e32 v28, 0x7f800001
	s_mov_b32 s22, exec_lo
	s_delay_alu instid0(VALU_DEP_2)
	v_cmpx_ne_u32_e32 0x7f, v163
	s_cbranch_execz .LBB407_142
; %bb.139:                              ;   in Loop: Header=BB407_13 Depth=1
	v_and_b32_e32 v28, 7, v160
	v_lshrrev_b32_e32 v162, 3, v163
	s_mov_b32 s23, exec_lo
	v_cmpx_gt_u32_e32 8, v163
; %bb.140:                              ;   in Loop: Header=BB407_13 Depth=1
	s_delay_alu instid0(VALU_DEP_3) | instskip(NEXT) | instid1(VALU_DEP_1)
	v_clz_i32_u32_e32 v162, v28
	v_min_u32_e32 v162, 32, v162
	s_delay_alu instid0(VALU_DEP_1) | instskip(SKIP_1) | instid1(VALU_DEP_2)
	v_subrev_nc_u32_e32 v163, 28, v162
	v_sub_nc_u32_e32 v162, 29, v162
	v_lshlrev_b64 v[163:164], v163, v[28:29]
	s_delay_alu instid0(VALU_DEP_1)
	v_and_b32_e32 v28, 7, v163
; %bb.141:                              ;   in Loop: Header=BB407_13 Depth=1
	s_or_b32 exec_lo, exec_lo, s23
	v_lshlrev_b32_e32 v160, 24, v160
	s_delay_alu instid0(VALU_DEP_2) | instskip(SKIP_1) | instid1(VALU_DEP_3)
	v_lshlrev_b32_e32 v28, 20, v28
	v_lshl_add_u32 v162, v162, 23, 0x3c000000
	v_and_b32_e32 v160, 0x80000000, v160
	s_delay_alu instid0(VALU_DEP_1)
	v_or3_b32 v28, v28, v160, v162
.LBB407_142:                            ;   in Loop: Header=BB407_13 Depth=1
	s_or_b32 exec_lo, exec_lo, s22
.LBB407_143:                            ;   in Loop: Header=BB407_13 Depth=1
	s_delay_alu instid0(SALU_CYCLE_1)
	s_or_b32 exec_lo, exec_lo, s21
.LBB407_144:                            ;   in Loop: Header=BB407_13 Depth=1
	s_delay_alu instid0(SALU_CYCLE_1) | instskip(NEXT) | instid1(VALU_DEP_1)
	s_or_b32 exec_lo, exec_lo, s20
	v_mul_f32_e32 v28, v133, v28
	s_delay_alu instid0(VALU_DEP_1) | instskip(NEXT) | instid1(VALU_DEP_1)
	v_and_b32_e32 v160, 0x7f800000, v28
	v_cmp_ne_u32_e64 s2, 0x7f800000, v160
                                        ; implicit-def: $vgpr160
	s_delay_alu instid0(VALU_DEP_1) | instskip(NEXT) | instid1(SALU_CYCLE_1)
	s_and_saveexec_b32 s20, s2
	s_xor_b32 s2, exec_lo, s20
; %bb.145:                              ;   in Loop: Header=BB407_13 Depth=1
	v_bfe_u32 v160, v28, 16, 1
	s_delay_alu instid0(VALU_DEP_1)
	v_add3_u32 v160, v28, v160, 0x7fff
                                        ; implicit-def: $vgpr28
; %bb.146:                              ;   in Loop: Header=BB407_13 Depth=1
	s_and_not1_saveexec_b32 s20, s2
; %bb.147:                              ;   in Loop: Header=BB407_13 Depth=1
	v_and_b32_e32 v160, 0xffff, v28
	v_or_b32_e32 v162, 0x10000, v28
	s_delay_alu instid0(VALU_DEP_2) | instskip(NEXT) | instid1(VALU_DEP_1)
	v_cmp_eq_u32_e64 s2, 0, v160
	v_cndmask_b32_e64 v160, v162, v28, s2
; %bb.148:                              ;   in Loop: Header=BB407_13 Depth=1
	s_or_b32 exec_lo, exec_lo, s20
	v_mov_b32_e32 v28, 0
	s_mov_b32 s20, exec_lo
	v_cmpx_lt_u32_e32 0xffffff, v161
	s_cbranch_execz .LBB407_156
; %bb.149:                              ;   in Loop: Header=BB407_13 Depth=1
	v_lshrrev_b32_e32 v162, 24, v161
	v_bfrev_b32_e32 v28, 1
	s_mov_b32 s21, exec_lo
	s_delay_alu instid0(VALU_DEP_2)
	v_cmpx_ne_u32_e32 0x80, v162
	s_cbranch_execz .LBB407_155
; %bb.150:                              ;   in Loop: Header=BB407_13 Depth=1
	v_bfe_u32 v163, v161, 24, 7
	v_mov_b32_e32 v28, 0x7f800001
	s_mov_b32 s22, exec_lo
	s_delay_alu instid0(VALU_DEP_2)
	v_cmpx_ne_u32_e32 0x7f, v163
	s_cbranch_execz .LBB407_154
; %bb.151:                              ;   in Loop: Header=BB407_13 Depth=1
	v_and_b32_e32 v28, 7, v162
	v_lshrrev_b32_e32 v161, 3, v163
	s_mov_b32 s23, exec_lo
	v_cmpx_gt_u32_e32 8, v163
; %bb.152:                              ;   in Loop: Header=BB407_13 Depth=1
	s_delay_alu instid0(VALU_DEP_3) | instskip(NEXT) | instid1(VALU_DEP_1)
	v_clz_i32_u32_e32 v161, v28
	v_min_u32_e32 v161, 32, v161
	s_delay_alu instid0(VALU_DEP_1) | instskip(SKIP_1) | instid1(VALU_DEP_2)
	v_subrev_nc_u32_e32 v163, 28, v161
	v_sub_nc_u32_e32 v161, 29, v161
	v_lshlrev_b64 v[163:164], v163, v[28:29]
	s_delay_alu instid0(VALU_DEP_1)
	v_and_b32_e32 v28, 7, v163
; %bb.153:                              ;   in Loop: Header=BB407_13 Depth=1
	s_or_b32 exec_lo, exec_lo, s23
	v_lshlrev_b32_e32 v162, 24, v162
	s_delay_alu instid0(VALU_DEP_2) | instskip(SKIP_1) | instid1(VALU_DEP_3)
	v_lshlrev_b32_e32 v28, 20, v28
	v_lshl_add_u32 v161, v161, 23, 0x3c000000
	v_and_b32_e32 v162, 0x80000000, v162
	s_delay_alu instid0(VALU_DEP_1)
	v_or3_b32 v28, v28, v162, v161
.LBB407_154:                            ;   in Loop: Header=BB407_13 Depth=1
	s_or_b32 exec_lo, exec_lo, s22
.LBB407_155:                            ;   in Loop: Header=BB407_13 Depth=1
	s_delay_alu instid0(SALU_CYCLE_1)
	s_or_b32 exec_lo, exec_lo, s21
.LBB407_156:                            ;   in Loop: Header=BB407_13 Depth=1
	s_delay_alu instid0(SALU_CYCLE_1) | instskip(NEXT) | instid1(VALU_DEP_1)
	s_or_b32 exec_lo, exec_lo, s20
	v_mul_f32_e32 v28, v133, v28
	s_delay_alu instid0(VALU_DEP_1) | instskip(NEXT) | instid1(VALU_DEP_1)
	v_and_b32_e32 v161, 0x7f800000, v28
	v_cmp_ne_u32_e64 s2, 0x7f800000, v161
                                        ; implicit-def: $vgpr161
	s_delay_alu instid0(VALU_DEP_1) | instskip(NEXT) | instid1(SALU_CYCLE_1)
	s_and_saveexec_b32 s20, s2
	s_xor_b32 s2, exec_lo, s20
; %bb.157:                              ;   in Loop: Header=BB407_13 Depth=1
	v_bfe_u32 v161, v28, 16, 1
	s_delay_alu instid0(VALU_DEP_1)
	v_add3_u32 v161, v28, v161, 0x7fff
                                        ; implicit-def: $vgpr28
; %bb.158:                              ;   in Loop: Header=BB407_13 Depth=1
	s_and_not1_saveexec_b32 s20, s2
; %bb.159:                              ;   in Loop: Header=BB407_13 Depth=1
	v_and_b32_e32 v161, 0xffff, v28
	v_or_b32_e32 v162, 0x10000, v28
	s_delay_alu instid0(VALU_DEP_2) | instskip(NEXT) | instid1(VALU_DEP_1)
	v_cmp_eq_u32_e64 s2, 0, v161
	v_cndmask_b32_e64 v161, v162, v28, s2
; %bb.160:                              ;   in Loop: Header=BB407_13 Depth=1
	s_or_b32 exec_lo, exec_lo, s20
	flat_load_b32 v165, v[80:81] offset:264
	v_mov_b32_e32 v28, 0
	s_mov_b32 s20, exec_lo
	s_waitcnt vmcnt(0) lgkmcnt(0)
	v_and_b32_e32 v162, 0xff, v165
	s_delay_alu instid0(VALU_DEP_1)
	v_cmpx_ne_u16_e64 0, v162
	s_cbranch_execz .LBB407_168
; %bb.161:                              ;   in Loop: Header=BB407_13 Depth=1
	v_bfrev_b32_e32 v28, 1
	s_mov_b32 s21, exec_lo
	v_cmpx_ne_u16_e64 0x80, v162
	s_cbranch_execz .LBB407_167
; %bb.162:                              ;   in Loop: Header=BB407_13 Depth=1
	v_and_b32_e32 v163, 0x7f, v165
	v_mov_b32_e32 v28, 0x7f800001
	s_mov_b32 s22, exec_lo
	s_delay_alu instid0(VALU_DEP_2)
	v_cmpx_ne_u32_e32 0x7f, v163
	s_cbranch_execz .LBB407_166
; %bb.163:                              ;   in Loop: Header=BB407_13 Depth=1
	v_and_b32_e32 v28, 7, v165
	v_lshrrev_b32_e32 v162, 3, v163
	s_mov_b32 s23, exec_lo
	v_cmpx_gt_u32_e32 8, v163
; %bb.164:                              ;   in Loop: Header=BB407_13 Depth=1
	s_delay_alu instid0(VALU_DEP_3) | instskip(NEXT) | instid1(VALU_DEP_1)
	v_clz_i32_u32_e32 v162, v28
	v_min_u32_e32 v162, 32, v162
	s_delay_alu instid0(VALU_DEP_1) | instskip(SKIP_1) | instid1(VALU_DEP_2)
	v_subrev_nc_u32_e32 v163, 28, v162
	v_sub_nc_u32_e32 v162, 29, v162
	v_lshlrev_b64 v[163:164], v163, v[28:29]
	s_delay_alu instid0(VALU_DEP_1)
	v_and_b32_e32 v28, 7, v163
; %bb.165:                              ;   in Loop: Header=BB407_13 Depth=1
	s_or_b32 exec_lo, exec_lo, s23
	v_lshlrev_b32_e32 v163, 24, v165
	s_delay_alu instid0(VALU_DEP_2) | instskip(SKIP_1) | instid1(VALU_DEP_3)
	v_lshlrev_b32_e32 v28, 20, v28
	v_lshl_add_u32 v162, v162, 23, 0x3c000000
	v_and_b32_e32 v163, 0x80000000, v163
	s_delay_alu instid0(VALU_DEP_1)
	v_or3_b32 v28, v28, v163, v162
.LBB407_166:                            ;   in Loop: Header=BB407_13 Depth=1
	s_or_b32 exec_lo, exec_lo, s22
.LBB407_167:                            ;   in Loop: Header=BB407_13 Depth=1
	s_delay_alu instid0(SALU_CYCLE_1)
	s_or_b32 exec_lo, exec_lo, s21
.LBB407_168:                            ;   in Loop: Header=BB407_13 Depth=1
	s_delay_alu instid0(SALU_CYCLE_1) | instskip(NEXT) | instid1(VALU_DEP_1)
	s_or_b32 exec_lo, exec_lo, s20
	v_mul_f32_e32 v28, v133, v28
	s_delay_alu instid0(VALU_DEP_1) | instskip(NEXT) | instid1(VALU_DEP_1)
	v_and_b32_e32 v162, 0x7f800000, v28
	v_cmp_ne_u32_e64 s2, 0x7f800000, v162
                                        ; implicit-def: $vgpr162
	s_delay_alu instid0(VALU_DEP_1) | instskip(NEXT) | instid1(SALU_CYCLE_1)
	s_and_saveexec_b32 s20, s2
	s_xor_b32 s2, exec_lo, s20
; %bb.169:                              ;   in Loop: Header=BB407_13 Depth=1
	v_bfe_u32 v162, v28, 16, 1
	s_delay_alu instid0(VALU_DEP_1)
	v_add3_u32 v162, v28, v162, 0x7fff
                                        ; implicit-def: $vgpr28
; %bb.170:                              ;   in Loop: Header=BB407_13 Depth=1
	s_and_not1_saveexec_b32 s20, s2
; %bb.171:                              ;   in Loop: Header=BB407_13 Depth=1
	v_and_b32_e32 v162, 0xffff, v28
	v_or_b32_e32 v163, 0x10000, v28
	s_delay_alu instid0(VALU_DEP_2) | instskip(NEXT) | instid1(VALU_DEP_1)
	v_cmp_eq_u32_e64 s2, 0, v162
	v_cndmask_b32_e64 v162, v163, v28, s2
; %bb.172:                              ;   in Loop: Header=BB407_13 Depth=1
	s_or_b32 exec_lo, exec_lo, s20
	v_lshrrev_b16 v163, 8, v165
	v_mov_b32_e32 v28, 0
	s_mov_b32 s20, exec_lo
	s_delay_alu instid0(VALU_DEP_2)
	v_cmpx_ne_u16_e64 0, v163
	s_cbranch_execz .LBB407_180
; %bb.173:                              ;   in Loop: Header=BB407_13 Depth=1
	v_bfrev_b32_e32 v28, 1
	s_mov_b32 s21, exec_lo
	v_cmpx_ne_u16_e64 0x80, v163
	s_cbranch_execz .LBB407_179
; %bb.174:                              ;   in Loop: Header=BB407_13 Depth=1
	v_and_b32_e32 v163, 0xffff, v163
	v_mov_b32_e32 v28, 0x7f800001
	s_mov_b32 s22, exec_lo
	s_delay_alu instid0(VALU_DEP_2) | instskip(NEXT) | instid1(VALU_DEP_1)
	v_and_b32_e32 v164, 0x7f, v163
	v_cmpx_ne_u32_e32 0x7f, v164
	s_cbranch_execz .LBB407_178
; %bb.175:                              ;   in Loop: Header=BB407_13 Depth=1
	v_and_b32_e32 v28, 7, v163
	v_lshrrev_b32_e32 v163, 3, v164
	s_mov_b32 s23, exec_lo
	v_cmpx_gt_u32_e32 8, v164
; %bb.176:                              ;   in Loop: Header=BB407_13 Depth=1
	s_delay_alu instid0(VALU_DEP_3) | instskip(NEXT) | instid1(VALU_DEP_1)
	v_clz_i32_u32_e32 v163, v28
	v_min_u32_e32 v163, 32, v163
	s_delay_alu instid0(VALU_DEP_1) | instskip(SKIP_1) | instid1(VALU_DEP_2)
	v_subrev_nc_u32_e32 v164, 28, v163
	v_sub_nc_u32_e32 v163, 29, v163
	v_lshlrev_b64 v[166:167], v164, v[28:29]
	s_delay_alu instid0(VALU_DEP_1)
	v_and_b32_e32 v28, 7, v166
; %bb.177:                              ;   in Loop: Header=BB407_13 Depth=1
	s_or_b32 exec_lo, exec_lo, s23
	v_lshlrev_b32_e32 v164, 16, v165
	s_delay_alu instid0(VALU_DEP_2) | instskip(SKIP_1) | instid1(VALU_DEP_3)
	v_lshlrev_b32_e32 v28, 20, v28
	v_lshl_add_u32 v163, v163, 23, 0x3c000000
	v_and_b32_e32 v164, 0x80000000, v164
	s_delay_alu instid0(VALU_DEP_1)
	v_or3_b32 v28, v28, v164, v163
.LBB407_178:                            ;   in Loop: Header=BB407_13 Depth=1
	s_or_b32 exec_lo, exec_lo, s22
.LBB407_179:                            ;   in Loop: Header=BB407_13 Depth=1
	s_delay_alu instid0(SALU_CYCLE_1)
	s_or_b32 exec_lo, exec_lo, s21
.LBB407_180:                            ;   in Loop: Header=BB407_13 Depth=1
	s_delay_alu instid0(SALU_CYCLE_1) | instskip(NEXT) | instid1(VALU_DEP_1)
	s_or_b32 exec_lo, exec_lo, s20
	v_mul_f32_e32 v28, v133, v28
	s_delay_alu instid0(VALU_DEP_1) | instskip(NEXT) | instid1(VALU_DEP_1)
	v_and_b32_e32 v163, 0x7f800000, v28
	v_cmp_ne_u32_e64 s2, 0x7f800000, v163
                                        ; implicit-def: $vgpr163
	s_delay_alu instid0(VALU_DEP_1) | instskip(NEXT) | instid1(SALU_CYCLE_1)
	s_and_saveexec_b32 s20, s2
	s_xor_b32 s2, exec_lo, s20
; %bb.181:                              ;   in Loop: Header=BB407_13 Depth=1
	v_bfe_u32 v163, v28, 16, 1
	s_delay_alu instid0(VALU_DEP_1)
	v_add3_u32 v163, v28, v163, 0x7fff
                                        ; implicit-def: $vgpr28
; %bb.182:                              ;   in Loop: Header=BB407_13 Depth=1
	s_and_not1_saveexec_b32 s20, s2
; %bb.183:                              ;   in Loop: Header=BB407_13 Depth=1
	v_and_b32_e32 v163, 0xffff, v28
	v_or_b32_e32 v164, 0x10000, v28
	s_delay_alu instid0(VALU_DEP_2) | instskip(NEXT) | instid1(VALU_DEP_1)
	v_cmp_eq_u32_e64 s2, 0, v163
	v_cndmask_b32_e64 v163, v164, v28, s2
; %bb.184:                              ;   in Loop: Header=BB407_13 Depth=1
	s_or_b32 exec_lo, exec_lo, s20
	v_lshrrev_b32_e32 v164, 16, v165
	v_mov_b32_e32 v28, 0
	s_mov_b32 s20, exec_lo
	s_delay_alu instid0(VALU_DEP_2) | instskip(NEXT) | instid1(VALU_DEP_1)
	v_and_b32_e32 v166, 0xff, v164
	v_cmpx_ne_u16_e64 0, v166
	s_cbranch_execz .LBB407_192
; %bb.185:                              ;   in Loop: Header=BB407_13 Depth=1
	v_bfrev_b32_e32 v28, 1
	s_mov_b32 s21, exec_lo
	v_cmpx_ne_u16_e64 0x80, v166
	s_cbranch_execz .LBB407_191
; %bb.186:                              ;   in Loop: Header=BB407_13 Depth=1
	v_bfe_u32 v167, v165, 16, 7
	v_mov_b32_e32 v28, 0x7f800001
	s_mov_b32 s22, exec_lo
	s_delay_alu instid0(VALU_DEP_2)
	v_cmpx_ne_u32_e32 0x7f, v167
	s_cbranch_execz .LBB407_190
; %bb.187:                              ;   in Loop: Header=BB407_13 Depth=1
	v_and_b32_e32 v28, 7, v164
	v_lshrrev_b32_e32 v166, 3, v167
	s_mov_b32 s23, exec_lo
	v_cmpx_gt_u32_e32 8, v167
; %bb.188:                              ;   in Loop: Header=BB407_13 Depth=1
	s_delay_alu instid0(VALU_DEP_3) | instskip(NEXT) | instid1(VALU_DEP_1)
	v_clz_i32_u32_e32 v166, v28
	v_min_u32_e32 v166, 32, v166
	s_delay_alu instid0(VALU_DEP_1) | instskip(SKIP_1) | instid1(VALU_DEP_2)
	v_subrev_nc_u32_e32 v167, 28, v166
	v_sub_nc_u32_e32 v166, 29, v166
	v_lshlrev_b64 v[176:177], v167, v[28:29]
	s_delay_alu instid0(VALU_DEP_1)
	v_and_b32_e32 v28, 7, v176
; %bb.189:                              ;   in Loop: Header=BB407_13 Depth=1
	s_or_b32 exec_lo, exec_lo, s23
	v_lshlrev_b32_e32 v164, 24, v164
	s_delay_alu instid0(VALU_DEP_2) | instskip(SKIP_1) | instid1(VALU_DEP_3)
	v_lshlrev_b32_e32 v28, 20, v28
	v_lshl_add_u32 v166, v166, 23, 0x3c000000
	v_and_b32_e32 v164, 0x80000000, v164
	s_delay_alu instid0(VALU_DEP_1)
	v_or3_b32 v28, v28, v164, v166
.LBB407_190:                            ;   in Loop: Header=BB407_13 Depth=1
	s_or_b32 exec_lo, exec_lo, s22
.LBB407_191:                            ;   in Loop: Header=BB407_13 Depth=1
	s_delay_alu instid0(SALU_CYCLE_1)
	s_or_b32 exec_lo, exec_lo, s21
.LBB407_192:                            ;   in Loop: Header=BB407_13 Depth=1
	s_delay_alu instid0(SALU_CYCLE_1) | instskip(NEXT) | instid1(VALU_DEP_1)
	s_or_b32 exec_lo, exec_lo, s20
	v_mul_f32_e32 v28, v133, v28
	s_delay_alu instid0(VALU_DEP_1) | instskip(NEXT) | instid1(VALU_DEP_1)
	v_and_b32_e32 v164, 0x7f800000, v28
	v_cmp_ne_u32_e64 s2, 0x7f800000, v164
                                        ; implicit-def: $vgpr164
	s_delay_alu instid0(VALU_DEP_1) | instskip(NEXT) | instid1(SALU_CYCLE_1)
	s_and_saveexec_b32 s20, s2
	s_xor_b32 s2, exec_lo, s20
; %bb.193:                              ;   in Loop: Header=BB407_13 Depth=1
	v_bfe_u32 v164, v28, 16, 1
	s_delay_alu instid0(VALU_DEP_1)
	v_add3_u32 v164, v28, v164, 0x7fff
                                        ; implicit-def: $vgpr28
; %bb.194:                              ;   in Loop: Header=BB407_13 Depth=1
	s_and_not1_saveexec_b32 s20, s2
; %bb.195:                              ;   in Loop: Header=BB407_13 Depth=1
	v_and_b32_e32 v164, 0xffff, v28
	v_or_b32_e32 v166, 0x10000, v28
	s_delay_alu instid0(VALU_DEP_2) | instskip(NEXT) | instid1(VALU_DEP_1)
	v_cmp_eq_u32_e64 s2, 0, v164
	v_cndmask_b32_e64 v164, v166, v28, s2
; %bb.196:                              ;   in Loop: Header=BB407_13 Depth=1
	s_or_b32 exec_lo, exec_lo, s20
	v_mov_b32_e32 v28, 0
	s_mov_b32 s20, exec_lo
	v_cmpx_lt_u32_e32 0xffffff, v165
	s_cbranch_execz .LBB407_204
; %bb.197:                              ;   in Loop: Header=BB407_13 Depth=1
	v_lshrrev_b32_e32 v166, 24, v165
	v_bfrev_b32_e32 v28, 1
	s_mov_b32 s21, exec_lo
	s_delay_alu instid0(VALU_DEP_2)
	v_cmpx_ne_u32_e32 0x80, v166
	s_cbranch_execz .LBB407_203
; %bb.198:                              ;   in Loop: Header=BB407_13 Depth=1
	v_bfe_u32 v167, v165, 24, 7
	v_mov_b32_e32 v28, 0x7f800001
	s_mov_b32 s22, exec_lo
	s_delay_alu instid0(VALU_DEP_2)
	v_cmpx_ne_u32_e32 0x7f, v167
	s_cbranch_execz .LBB407_202
; %bb.199:                              ;   in Loop: Header=BB407_13 Depth=1
	v_and_b32_e32 v28, 7, v166
	v_lshrrev_b32_e32 v165, 3, v167
	s_mov_b32 s23, exec_lo
	v_cmpx_gt_u32_e32 8, v167
; %bb.200:                              ;   in Loop: Header=BB407_13 Depth=1
	s_delay_alu instid0(VALU_DEP_3) | instskip(NEXT) | instid1(VALU_DEP_1)
	v_clz_i32_u32_e32 v165, v28
	v_min_u32_e32 v165, 32, v165
	s_delay_alu instid0(VALU_DEP_1) | instskip(SKIP_1) | instid1(VALU_DEP_2)
	v_subrev_nc_u32_e32 v167, 28, v165
	v_sub_nc_u32_e32 v165, 29, v165
	v_lshlrev_b64 v[176:177], v167, v[28:29]
	s_delay_alu instid0(VALU_DEP_1)
	v_and_b32_e32 v28, 7, v176
; %bb.201:                              ;   in Loop: Header=BB407_13 Depth=1
	s_or_b32 exec_lo, exec_lo, s23
	v_lshlrev_b32_e32 v166, 24, v166
	s_delay_alu instid0(VALU_DEP_2) | instskip(SKIP_1) | instid1(VALU_DEP_3)
	v_lshlrev_b32_e32 v28, 20, v28
	v_lshl_add_u32 v165, v165, 23, 0x3c000000
	v_and_b32_e32 v166, 0x80000000, v166
	s_delay_alu instid0(VALU_DEP_1)
	v_or3_b32 v28, v28, v166, v165
.LBB407_202:                            ;   in Loop: Header=BB407_13 Depth=1
	s_or_b32 exec_lo, exec_lo, s22
.LBB407_203:                            ;   in Loop: Header=BB407_13 Depth=1
	s_delay_alu instid0(SALU_CYCLE_1)
	s_or_b32 exec_lo, exec_lo, s21
.LBB407_204:                            ;   in Loop: Header=BB407_13 Depth=1
	s_delay_alu instid0(SALU_CYCLE_1) | instskip(NEXT) | instid1(VALU_DEP_1)
	s_or_b32 exec_lo, exec_lo, s20
	v_mul_f32_e32 v28, v133, v28
	s_delay_alu instid0(VALU_DEP_1) | instskip(NEXT) | instid1(VALU_DEP_1)
	v_and_b32_e32 v165, 0x7f800000, v28
	v_cmp_ne_u32_e64 s2, 0x7f800000, v165
                                        ; implicit-def: $vgpr165
	s_delay_alu instid0(VALU_DEP_1) | instskip(NEXT) | instid1(SALU_CYCLE_1)
	s_and_saveexec_b32 s20, s2
	s_xor_b32 s2, exec_lo, s20
; %bb.205:                              ;   in Loop: Header=BB407_13 Depth=1
	v_bfe_u32 v165, v28, 16, 1
	s_delay_alu instid0(VALU_DEP_1)
	v_add3_u32 v165, v28, v165, 0x7fff
                                        ; implicit-def: $vgpr28
; %bb.206:                              ;   in Loop: Header=BB407_13 Depth=1
	s_and_not1_saveexec_b32 s20, s2
; %bb.207:                              ;   in Loop: Header=BB407_13 Depth=1
	v_and_b32_e32 v165, 0xffff, v28
	v_or_b32_e32 v166, 0x10000, v28
	s_delay_alu instid0(VALU_DEP_2) | instskip(NEXT) | instid1(VALU_DEP_1)
	v_cmp_eq_u32_e64 s2, 0, v165
	v_cndmask_b32_e64 v165, v166, v28, s2
; %bb.208:                              ;   in Loop: Header=BB407_13 Depth=1
	s_or_b32 exec_lo, exec_lo, s20
	flat_load_b32 v177, v[80:81] offset:512
	v_mov_b32_e32 v28, 0
	s_mov_b32 s20, exec_lo
	s_waitcnt vmcnt(0) lgkmcnt(0)
	v_and_b32_e32 v166, 0xff, v177
	s_delay_alu instid0(VALU_DEP_1)
	v_cmpx_ne_u16_e64 0, v166
	s_cbranch_execz .LBB407_216
; %bb.209:                              ;   in Loop: Header=BB407_13 Depth=1
	v_bfrev_b32_e32 v28, 1
	s_mov_b32 s21, exec_lo
	v_cmpx_ne_u16_e64 0x80, v166
	s_cbranch_execz .LBB407_215
; %bb.210:                              ;   in Loop: Header=BB407_13 Depth=1
	v_and_b32_e32 v167, 0x7f, v177
	v_mov_b32_e32 v28, 0x7f800001
	s_mov_b32 s22, exec_lo
	s_delay_alu instid0(VALU_DEP_2)
	v_cmpx_ne_u32_e32 0x7f, v167
	s_cbranch_execz .LBB407_214
; %bb.211:                              ;   in Loop: Header=BB407_13 Depth=1
	v_and_b32_e32 v28, 7, v177
	v_lshrrev_b32_e32 v166, 3, v167
	s_mov_b32 s23, exec_lo
	v_cmpx_gt_u32_e32 8, v167
; %bb.212:                              ;   in Loop: Header=BB407_13 Depth=1
	s_delay_alu instid0(VALU_DEP_3) | instskip(NEXT) | instid1(VALU_DEP_1)
	v_clz_i32_u32_e32 v166, v28
	v_min_u32_e32 v166, 32, v166
	s_delay_alu instid0(VALU_DEP_1) | instskip(SKIP_1) | instid1(VALU_DEP_2)
	v_subrev_nc_u32_e32 v167, 28, v166
	v_sub_nc_u32_e32 v166, 29, v166
	v_lshlrev_b64 v[178:179], v167, v[28:29]
	s_delay_alu instid0(VALU_DEP_1)
	v_and_b32_e32 v28, 7, v178
; %bb.213:                              ;   in Loop: Header=BB407_13 Depth=1
	s_or_b32 exec_lo, exec_lo, s23
	v_lshlrev_b32_e32 v167, 24, v177
	s_delay_alu instid0(VALU_DEP_2) | instskip(SKIP_1) | instid1(VALU_DEP_3)
	v_lshlrev_b32_e32 v28, 20, v28
	v_lshl_add_u32 v166, v166, 23, 0x3c000000
	v_and_b32_e32 v167, 0x80000000, v167
	s_delay_alu instid0(VALU_DEP_1)
	v_or3_b32 v28, v28, v167, v166
.LBB407_214:                            ;   in Loop: Header=BB407_13 Depth=1
	s_or_b32 exec_lo, exec_lo, s22
.LBB407_215:                            ;   in Loop: Header=BB407_13 Depth=1
	s_delay_alu instid0(SALU_CYCLE_1)
	s_or_b32 exec_lo, exec_lo, s21
.LBB407_216:                            ;   in Loop: Header=BB407_13 Depth=1
	s_delay_alu instid0(SALU_CYCLE_1) | instskip(NEXT) | instid1(VALU_DEP_1)
	s_or_b32 exec_lo, exec_lo, s20
	v_mul_f32_e32 v28, v133, v28
	s_delay_alu instid0(VALU_DEP_1) | instskip(NEXT) | instid1(VALU_DEP_1)
	v_and_b32_e32 v166, 0x7f800000, v28
	v_cmp_ne_u32_e64 s2, 0x7f800000, v166
                                        ; implicit-def: $vgpr166
	s_delay_alu instid0(VALU_DEP_1) | instskip(NEXT) | instid1(SALU_CYCLE_1)
	s_and_saveexec_b32 s20, s2
	s_xor_b32 s2, exec_lo, s20
; %bb.217:                              ;   in Loop: Header=BB407_13 Depth=1
	v_bfe_u32 v166, v28, 16, 1
	s_delay_alu instid0(VALU_DEP_1)
	v_add3_u32 v166, v28, v166, 0x7fff
                                        ; implicit-def: $vgpr28
; %bb.218:                              ;   in Loop: Header=BB407_13 Depth=1
	s_and_not1_saveexec_b32 s20, s2
; %bb.219:                              ;   in Loop: Header=BB407_13 Depth=1
	v_and_b32_e32 v166, 0xffff, v28
	v_or_b32_e32 v167, 0x10000, v28
	s_delay_alu instid0(VALU_DEP_2) | instskip(NEXT) | instid1(VALU_DEP_1)
	v_cmp_eq_u32_e64 s2, 0, v166
	v_cndmask_b32_e64 v166, v167, v28, s2
; %bb.220:                              ;   in Loop: Header=BB407_13 Depth=1
	s_or_b32 exec_lo, exec_lo, s20
	v_lshrrev_b16 v167, 8, v177
	v_mov_b32_e32 v28, 0
	s_mov_b32 s20, exec_lo
	s_delay_alu instid0(VALU_DEP_2)
	v_cmpx_ne_u16_e64 0, v167
	s_cbranch_execz .LBB407_228
; %bb.221:                              ;   in Loop: Header=BB407_13 Depth=1
	v_bfrev_b32_e32 v28, 1
	s_mov_b32 s21, exec_lo
	v_cmpx_ne_u16_e64 0x80, v167
	s_cbranch_execz .LBB407_227
; %bb.222:                              ;   in Loop: Header=BB407_13 Depth=1
	v_and_b32_e32 v167, 0xffff, v167
	v_mov_b32_e32 v28, 0x7f800001
	s_mov_b32 s22, exec_lo
	s_delay_alu instid0(VALU_DEP_2) | instskip(NEXT) | instid1(VALU_DEP_1)
	v_and_b32_e32 v176, 0x7f, v167
	v_cmpx_ne_u32_e32 0x7f, v176
	s_cbranch_execz .LBB407_226
; %bb.223:                              ;   in Loop: Header=BB407_13 Depth=1
	v_and_b32_e32 v28, 7, v167
	v_lshrrev_b32_e32 v167, 3, v176
	s_mov_b32 s23, exec_lo
	v_cmpx_gt_u32_e32 8, v176
; %bb.224:                              ;   in Loop: Header=BB407_13 Depth=1
	s_delay_alu instid0(VALU_DEP_3) | instskip(NEXT) | instid1(VALU_DEP_1)
	v_clz_i32_u32_e32 v167, v28
	v_min_u32_e32 v167, 32, v167
	s_delay_alu instid0(VALU_DEP_1) | instskip(SKIP_1) | instid1(VALU_DEP_2)
	v_subrev_nc_u32_e32 v176, 28, v167
	v_sub_nc_u32_e32 v167, 29, v167
	v_lshlrev_b64 v[178:179], v176, v[28:29]
	s_delay_alu instid0(VALU_DEP_1)
	v_and_b32_e32 v28, 7, v178
; %bb.225:                              ;   in Loop: Header=BB407_13 Depth=1
	s_or_b32 exec_lo, exec_lo, s23
	v_lshlrev_b32_e32 v176, 16, v177
	s_delay_alu instid0(VALU_DEP_2) | instskip(SKIP_1) | instid1(VALU_DEP_3)
	v_lshlrev_b32_e32 v28, 20, v28
	v_lshl_add_u32 v167, v167, 23, 0x3c000000
	v_and_b32_e32 v176, 0x80000000, v176
	s_delay_alu instid0(VALU_DEP_1)
	v_or3_b32 v28, v28, v176, v167
.LBB407_226:                            ;   in Loop: Header=BB407_13 Depth=1
	s_or_b32 exec_lo, exec_lo, s22
.LBB407_227:                            ;   in Loop: Header=BB407_13 Depth=1
	s_delay_alu instid0(SALU_CYCLE_1)
	s_or_b32 exec_lo, exec_lo, s21
.LBB407_228:                            ;   in Loop: Header=BB407_13 Depth=1
	s_delay_alu instid0(SALU_CYCLE_1) | instskip(NEXT) | instid1(VALU_DEP_1)
	s_or_b32 exec_lo, exec_lo, s20
	v_mul_f32_e32 v28, v133, v28
	s_delay_alu instid0(VALU_DEP_1) | instskip(NEXT) | instid1(VALU_DEP_1)
	v_and_b32_e32 v167, 0x7f800000, v28
	v_cmp_ne_u32_e64 s2, 0x7f800000, v167
                                        ; implicit-def: $vgpr167
	s_delay_alu instid0(VALU_DEP_1) | instskip(NEXT) | instid1(SALU_CYCLE_1)
	s_and_saveexec_b32 s20, s2
	s_xor_b32 s2, exec_lo, s20
; %bb.229:                              ;   in Loop: Header=BB407_13 Depth=1
	v_bfe_u32 v167, v28, 16, 1
	s_delay_alu instid0(VALU_DEP_1)
	v_add3_u32 v167, v28, v167, 0x7fff
                                        ; implicit-def: $vgpr28
; %bb.230:                              ;   in Loop: Header=BB407_13 Depth=1
	s_and_not1_saveexec_b32 s20, s2
; %bb.231:                              ;   in Loop: Header=BB407_13 Depth=1
	v_and_b32_e32 v167, 0xffff, v28
	v_or_b32_e32 v176, 0x10000, v28
	s_delay_alu instid0(VALU_DEP_2) | instskip(NEXT) | instid1(VALU_DEP_1)
	v_cmp_eq_u32_e64 s2, 0, v167
	v_cndmask_b32_e64 v167, v176, v28, s2
; %bb.232:                              ;   in Loop: Header=BB407_13 Depth=1
	s_or_b32 exec_lo, exec_lo, s20
	v_lshrrev_b32_e32 v176, 16, v177
	v_mov_b32_e32 v28, 0
	s_mov_b32 s20, exec_lo
	s_delay_alu instid0(VALU_DEP_2) | instskip(NEXT) | instid1(VALU_DEP_1)
	v_and_b32_e32 v178, 0xff, v176
	v_cmpx_ne_u16_e64 0, v178
	s_cbranch_execz .LBB407_240
; %bb.233:                              ;   in Loop: Header=BB407_13 Depth=1
	v_bfrev_b32_e32 v28, 1
	s_mov_b32 s21, exec_lo
	v_cmpx_ne_u16_e64 0x80, v178
	s_cbranch_execz .LBB407_239
; %bb.234:                              ;   in Loop: Header=BB407_13 Depth=1
	v_bfe_u32 v179, v177, 16, 7
	v_mov_b32_e32 v28, 0x7f800001
	s_mov_b32 s22, exec_lo
	s_delay_alu instid0(VALU_DEP_2)
	v_cmpx_ne_u32_e32 0x7f, v179
	s_cbranch_execz .LBB407_238
; %bb.235:                              ;   in Loop: Header=BB407_13 Depth=1
	v_and_b32_e32 v28, 7, v176
	v_lshrrev_b32_e32 v178, 3, v179
	s_mov_b32 s23, exec_lo
	v_cmpx_gt_u32_e32 8, v179
; %bb.236:                              ;   in Loop: Header=BB407_13 Depth=1
	s_delay_alu instid0(VALU_DEP_3) | instskip(NEXT) | instid1(VALU_DEP_1)
	v_clz_i32_u32_e32 v178, v28
	v_min_u32_e32 v178, 32, v178
	s_delay_alu instid0(VALU_DEP_1) | instskip(SKIP_1) | instid1(VALU_DEP_2)
	v_subrev_nc_u32_e32 v179, 28, v178
	v_sub_nc_u32_e32 v178, 29, v178
	v_lshlrev_b64 v[179:180], v179, v[28:29]
	s_delay_alu instid0(VALU_DEP_1)
	v_and_b32_e32 v28, 7, v179
; %bb.237:                              ;   in Loop: Header=BB407_13 Depth=1
	s_or_b32 exec_lo, exec_lo, s23
	v_lshlrev_b32_e32 v176, 24, v176
	s_delay_alu instid0(VALU_DEP_2) | instskip(SKIP_1) | instid1(VALU_DEP_3)
	v_lshlrev_b32_e32 v28, 20, v28
	v_lshl_add_u32 v178, v178, 23, 0x3c000000
	v_and_b32_e32 v176, 0x80000000, v176
	s_delay_alu instid0(VALU_DEP_1)
	v_or3_b32 v28, v28, v176, v178
.LBB407_238:                            ;   in Loop: Header=BB407_13 Depth=1
	s_or_b32 exec_lo, exec_lo, s22
.LBB407_239:                            ;   in Loop: Header=BB407_13 Depth=1
	s_delay_alu instid0(SALU_CYCLE_1)
	s_or_b32 exec_lo, exec_lo, s21
.LBB407_240:                            ;   in Loop: Header=BB407_13 Depth=1
	s_delay_alu instid0(SALU_CYCLE_1) | instskip(NEXT) | instid1(VALU_DEP_1)
	s_or_b32 exec_lo, exec_lo, s20
	v_mul_f32_e32 v28, v133, v28
	s_delay_alu instid0(VALU_DEP_1) | instskip(NEXT) | instid1(VALU_DEP_1)
	v_and_b32_e32 v176, 0x7f800000, v28
	v_cmp_ne_u32_e64 s2, 0x7f800000, v176
                                        ; implicit-def: $vgpr176
	s_delay_alu instid0(VALU_DEP_1) | instskip(NEXT) | instid1(SALU_CYCLE_1)
	s_and_saveexec_b32 s20, s2
	s_xor_b32 s2, exec_lo, s20
; %bb.241:                              ;   in Loop: Header=BB407_13 Depth=1
	v_bfe_u32 v176, v28, 16, 1
	s_delay_alu instid0(VALU_DEP_1)
	v_add3_u32 v176, v28, v176, 0x7fff
                                        ; implicit-def: $vgpr28
; %bb.242:                              ;   in Loop: Header=BB407_13 Depth=1
	s_and_not1_saveexec_b32 s20, s2
; %bb.243:                              ;   in Loop: Header=BB407_13 Depth=1
	v_and_b32_e32 v176, 0xffff, v28
	v_or_b32_e32 v178, 0x10000, v28
	s_delay_alu instid0(VALU_DEP_2) | instskip(NEXT) | instid1(VALU_DEP_1)
	v_cmp_eq_u32_e64 s2, 0, v176
	v_cndmask_b32_e64 v176, v178, v28, s2
; %bb.244:                              ;   in Loop: Header=BB407_13 Depth=1
	s_or_b32 exec_lo, exec_lo, s20
	v_mov_b32_e32 v28, 0
	s_mov_b32 s20, exec_lo
	v_cmpx_lt_u32_e32 0xffffff, v177
	s_cbranch_execz .LBB407_252
; %bb.245:                              ;   in Loop: Header=BB407_13 Depth=1
	v_lshrrev_b32_e32 v178, 24, v177
	v_bfrev_b32_e32 v28, 1
	s_mov_b32 s21, exec_lo
	s_delay_alu instid0(VALU_DEP_2)
	v_cmpx_ne_u32_e32 0x80, v178
	s_cbranch_execz .LBB407_251
; %bb.246:                              ;   in Loop: Header=BB407_13 Depth=1
	v_bfe_u32 v179, v177, 24, 7
	v_mov_b32_e32 v28, 0x7f800001
	s_mov_b32 s22, exec_lo
	s_delay_alu instid0(VALU_DEP_2)
	v_cmpx_ne_u32_e32 0x7f, v179
	s_cbranch_execz .LBB407_250
; %bb.247:                              ;   in Loop: Header=BB407_13 Depth=1
	v_and_b32_e32 v28, 7, v178
	v_lshrrev_b32_e32 v177, 3, v179
	s_mov_b32 s23, exec_lo
	v_cmpx_gt_u32_e32 8, v179
; %bb.248:                              ;   in Loop: Header=BB407_13 Depth=1
	s_delay_alu instid0(VALU_DEP_3) | instskip(NEXT) | instid1(VALU_DEP_1)
	v_clz_i32_u32_e32 v177, v28
	v_min_u32_e32 v177, 32, v177
	s_delay_alu instid0(VALU_DEP_1) | instskip(SKIP_1) | instid1(VALU_DEP_2)
	v_subrev_nc_u32_e32 v179, 28, v177
	v_sub_nc_u32_e32 v177, 29, v177
	v_lshlrev_b64 v[179:180], v179, v[28:29]
	s_delay_alu instid0(VALU_DEP_1)
	v_and_b32_e32 v28, 7, v179
; %bb.249:                              ;   in Loop: Header=BB407_13 Depth=1
	s_or_b32 exec_lo, exec_lo, s23
	v_lshlrev_b32_e32 v178, 24, v178
	s_delay_alu instid0(VALU_DEP_2) | instskip(SKIP_1) | instid1(VALU_DEP_3)
	v_lshlrev_b32_e32 v28, 20, v28
	v_lshl_add_u32 v177, v177, 23, 0x3c000000
	v_and_b32_e32 v178, 0x80000000, v178
	s_delay_alu instid0(VALU_DEP_1)
	v_or3_b32 v28, v28, v178, v177
.LBB407_250:                            ;   in Loop: Header=BB407_13 Depth=1
	s_or_b32 exec_lo, exec_lo, s22
.LBB407_251:                            ;   in Loop: Header=BB407_13 Depth=1
	s_delay_alu instid0(SALU_CYCLE_1)
	s_or_b32 exec_lo, exec_lo, s21
.LBB407_252:                            ;   in Loop: Header=BB407_13 Depth=1
	s_delay_alu instid0(SALU_CYCLE_1) | instskip(NEXT) | instid1(VALU_DEP_1)
	s_or_b32 exec_lo, exec_lo, s20
	v_mul_f32_e32 v28, v133, v28
	s_delay_alu instid0(VALU_DEP_1) | instskip(NEXT) | instid1(VALU_DEP_1)
	v_and_b32_e32 v177, 0x7f800000, v28
	v_cmp_ne_u32_e64 s2, 0x7f800000, v177
                                        ; implicit-def: $vgpr177
	s_delay_alu instid0(VALU_DEP_1) | instskip(NEXT) | instid1(SALU_CYCLE_1)
	s_and_saveexec_b32 s20, s2
	s_xor_b32 s2, exec_lo, s20
; %bb.253:                              ;   in Loop: Header=BB407_13 Depth=1
	v_bfe_u32 v177, v28, 16, 1
	s_delay_alu instid0(VALU_DEP_1)
	v_add3_u32 v177, v28, v177, 0x7fff
                                        ; implicit-def: $vgpr28
; %bb.254:                              ;   in Loop: Header=BB407_13 Depth=1
	s_and_not1_saveexec_b32 s20, s2
; %bb.255:                              ;   in Loop: Header=BB407_13 Depth=1
	v_and_b32_e32 v177, 0xffff, v28
	v_or_b32_e32 v178, 0x10000, v28
	s_delay_alu instid0(VALU_DEP_2) | instskip(NEXT) | instid1(VALU_DEP_1)
	v_cmp_eq_u32_e64 s2, 0, v177
	v_cndmask_b32_e64 v177, v178, v28, s2
; %bb.256:                              ;   in Loop: Header=BB407_13 Depth=1
	s_or_b32 exec_lo, exec_lo, s20
	flat_load_b32 v181, v[80:81] offset:520
	v_mov_b32_e32 v28, 0
	s_mov_b32 s20, exec_lo
	s_waitcnt vmcnt(0) lgkmcnt(0)
	v_and_b32_e32 v178, 0xff, v181
	s_delay_alu instid0(VALU_DEP_1)
	v_cmpx_ne_u16_e64 0, v178
	s_cbranch_execz .LBB407_264
; %bb.257:                              ;   in Loop: Header=BB407_13 Depth=1
	v_bfrev_b32_e32 v28, 1
	s_mov_b32 s21, exec_lo
	v_cmpx_ne_u16_e64 0x80, v178
	s_cbranch_execz .LBB407_263
; %bb.258:                              ;   in Loop: Header=BB407_13 Depth=1
	v_and_b32_e32 v179, 0x7f, v181
	v_mov_b32_e32 v28, 0x7f800001
	s_mov_b32 s22, exec_lo
	s_delay_alu instid0(VALU_DEP_2)
	v_cmpx_ne_u32_e32 0x7f, v179
	s_cbranch_execz .LBB407_262
; %bb.259:                              ;   in Loop: Header=BB407_13 Depth=1
	v_and_b32_e32 v28, 7, v181
	v_lshrrev_b32_e32 v178, 3, v179
	s_mov_b32 s23, exec_lo
	v_cmpx_gt_u32_e32 8, v179
; %bb.260:                              ;   in Loop: Header=BB407_13 Depth=1
	s_delay_alu instid0(VALU_DEP_3) | instskip(NEXT) | instid1(VALU_DEP_1)
	v_clz_i32_u32_e32 v178, v28
	v_min_u32_e32 v178, 32, v178
	s_delay_alu instid0(VALU_DEP_1) | instskip(SKIP_1) | instid1(VALU_DEP_2)
	v_subrev_nc_u32_e32 v179, 28, v178
	v_sub_nc_u32_e32 v178, 29, v178
	v_lshlrev_b64 v[179:180], v179, v[28:29]
	s_delay_alu instid0(VALU_DEP_1)
	v_and_b32_e32 v28, 7, v179
; %bb.261:                              ;   in Loop: Header=BB407_13 Depth=1
	s_or_b32 exec_lo, exec_lo, s23
	v_lshlrev_b32_e32 v179, 24, v181
	s_delay_alu instid0(VALU_DEP_2) | instskip(SKIP_1) | instid1(VALU_DEP_3)
	v_lshlrev_b32_e32 v28, 20, v28
	v_lshl_add_u32 v178, v178, 23, 0x3c000000
	v_and_b32_e32 v179, 0x80000000, v179
	s_delay_alu instid0(VALU_DEP_1)
	v_or3_b32 v28, v28, v179, v178
.LBB407_262:                            ;   in Loop: Header=BB407_13 Depth=1
	s_or_b32 exec_lo, exec_lo, s22
.LBB407_263:                            ;   in Loop: Header=BB407_13 Depth=1
	s_delay_alu instid0(SALU_CYCLE_1)
	s_or_b32 exec_lo, exec_lo, s21
.LBB407_264:                            ;   in Loop: Header=BB407_13 Depth=1
	s_delay_alu instid0(SALU_CYCLE_1) | instskip(NEXT) | instid1(VALU_DEP_1)
	s_or_b32 exec_lo, exec_lo, s20
	v_mul_f32_e32 v28, v133, v28
	s_delay_alu instid0(VALU_DEP_1) | instskip(NEXT) | instid1(VALU_DEP_1)
	v_and_b32_e32 v178, 0x7f800000, v28
	v_cmp_ne_u32_e64 s2, 0x7f800000, v178
                                        ; implicit-def: $vgpr178
	s_delay_alu instid0(VALU_DEP_1) | instskip(NEXT) | instid1(SALU_CYCLE_1)
	s_and_saveexec_b32 s20, s2
	s_xor_b32 s2, exec_lo, s20
; %bb.265:                              ;   in Loop: Header=BB407_13 Depth=1
	v_bfe_u32 v178, v28, 16, 1
	s_delay_alu instid0(VALU_DEP_1)
	v_add3_u32 v178, v28, v178, 0x7fff
                                        ; implicit-def: $vgpr28
; %bb.266:                              ;   in Loop: Header=BB407_13 Depth=1
	s_and_not1_saveexec_b32 s20, s2
; %bb.267:                              ;   in Loop: Header=BB407_13 Depth=1
	v_and_b32_e32 v178, 0xffff, v28
	v_or_b32_e32 v179, 0x10000, v28
	s_delay_alu instid0(VALU_DEP_2) | instskip(NEXT) | instid1(VALU_DEP_1)
	v_cmp_eq_u32_e64 s2, 0, v178
	v_cndmask_b32_e64 v178, v179, v28, s2
; %bb.268:                              ;   in Loop: Header=BB407_13 Depth=1
	s_or_b32 exec_lo, exec_lo, s20
	v_lshrrev_b16 v179, 8, v181
	v_mov_b32_e32 v28, 0
	s_mov_b32 s20, exec_lo
	s_delay_alu instid0(VALU_DEP_2)
	v_cmpx_ne_u16_e64 0, v179
	s_cbranch_execz .LBB407_276
; %bb.269:                              ;   in Loop: Header=BB407_13 Depth=1
	v_bfrev_b32_e32 v28, 1
	s_mov_b32 s21, exec_lo
	v_cmpx_ne_u16_e64 0x80, v179
	s_cbranch_execz .LBB407_275
; %bb.270:                              ;   in Loop: Header=BB407_13 Depth=1
	v_and_b32_e32 v179, 0xffff, v179
	v_mov_b32_e32 v28, 0x7f800001
	s_mov_b32 s22, exec_lo
	s_delay_alu instid0(VALU_DEP_2) | instskip(NEXT) | instid1(VALU_DEP_1)
	v_and_b32_e32 v180, 0x7f, v179
	v_cmpx_ne_u32_e32 0x7f, v180
	s_cbranch_execz .LBB407_274
; %bb.271:                              ;   in Loop: Header=BB407_13 Depth=1
	v_and_b32_e32 v28, 7, v179
	v_lshrrev_b32_e32 v179, 3, v180
	s_mov_b32 s23, exec_lo
	v_cmpx_gt_u32_e32 8, v180
; %bb.272:                              ;   in Loop: Header=BB407_13 Depth=1
	s_delay_alu instid0(VALU_DEP_3) | instskip(NEXT) | instid1(VALU_DEP_1)
	v_clz_i32_u32_e32 v179, v28
	v_min_u32_e32 v179, 32, v179
	s_delay_alu instid0(VALU_DEP_1) | instskip(SKIP_1) | instid1(VALU_DEP_2)
	v_subrev_nc_u32_e32 v180, 28, v179
	v_sub_nc_u32_e32 v179, 29, v179
	v_lshlrev_b64 v[182:183], v180, v[28:29]
	s_delay_alu instid0(VALU_DEP_1)
	v_and_b32_e32 v28, 7, v182
; %bb.273:                              ;   in Loop: Header=BB407_13 Depth=1
	s_or_b32 exec_lo, exec_lo, s23
	v_lshlrev_b32_e32 v180, 16, v181
	s_delay_alu instid0(VALU_DEP_2) | instskip(SKIP_1) | instid1(VALU_DEP_3)
	v_lshlrev_b32_e32 v28, 20, v28
	v_lshl_add_u32 v179, v179, 23, 0x3c000000
	v_and_b32_e32 v180, 0x80000000, v180
	s_delay_alu instid0(VALU_DEP_1)
	v_or3_b32 v28, v28, v180, v179
.LBB407_274:                            ;   in Loop: Header=BB407_13 Depth=1
	s_or_b32 exec_lo, exec_lo, s22
.LBB407_275:                            ;   in Loop: Header=BB407_13 Depth=1
	s_delay_alu instid0(SALU_CYCLE_1)
	s_or_b32 exec_lo, exec_lo, s21
.LBB407_276:                            ;   in Loop: Header=BB407_13 Depth=1
	s_delay_alu instid0(SALU_CYCLE_1) | instskip(NEXT) | instid1(VALU_DEP_1)
	s_or_b32 exec_lo, exec_lo, s20
	v_mul_f32_e32 v28, v133, v28
	s_delay_alu instid0(VALU_DEP_1) | instskip(NEXT) | instid1(VALU_DEP_1)
	v_and_b32_e32 v179, 0x7f800000, v28
	v_cmp_ne_u32_e64 s2, 0x7f800000, v179
                                        ; implicit-def: $vgpr179
	s_delay_alu instid0(VALU_DEP_1) | instskip(NEXT) | instid1(SALU_CYCLE_1)
	s_and_saveexec_b32 s20, s2
	s_xor_b32 s2, exec_lo, s20
; %bb.277:                              ;   in Loop: Header=BB407_13 Depth=1
	v_bfe_u32 v179, v28, 16, 1
	s_delay_alu instid0(VALU_DEP_1)
	v_add3_u32 v179, v28, v179, 0x7fff
                                        ; implicit-def: $vgpr28
; %bb.278:                              ;   in Loop: Header=BB407_13 Depth=1
	s_and_not1_saveexec_b32 s20, s2
; %bb.279:                              ;   in Loop: Header=BB407_13 Depth=1
	v_and_b32_e32 v179, 0xffff, v28
	v_or_b32_e32 v180, 0x10000, v28
	s_delay_alu instid0(VALU_DEP_2) | instskip(NEXT) | instid1(VALU_DEP_1)
	v_cmp_eq_u32_e64 s2, 0, v179
	v_cndmask_b32_e64 v179, v180, v28, s2
; %bb.280:                              ;   in Loop: Header=BB407_13 Depth=1
	s_or_b32 exec_lo, exec_lo, s20
	v_lshrrev_b32_e32 v180, 16, v181
	v_mov_b32_e32 v28, 0
	s_mov_b32 s20, exec_lo
	s_delay_alu instid0(VALU_DEP_2) | instskip(NEXT) | instid1(VALU_DEP_1)
	v_and_b32_e32 v182, 0xff, v180
	v_cmpx_ne_u16_e64 0, v182
	s_cbranch_execz .LBB407_288
; %bb.281:                              ;   in Loop: Header=BB407_13 Depth=1
	v_bfrev_b32_e32 v28, 1
	s_mov_b32 s21, exec_lo
	v_cmpx_ne_u16_e64 0x80, v182
	s_cbranch_execz .LBB407_287
; %bb.282:                              ;   in Loop: Header=BB407_13 Depth=1
	v_bfe_u32 v183, v181, 16, 7
	v_mov_b32_e32 v28, 0x7f800001
	s_mov_b32 s22, exec_lo
	s_delay_alu instid0(VALU_DEP_2)
	v_cmpx_ne_u32_e32 0x7f, v183
	s_cbranch_execz .LBB407_286
; %bb.283:                              ;   in Loop: Header=BB407_13 Depth=1
	v_and_b32_e32 v28, 7, v180
	v_lshrrev_b32_e32 v182, 3, v183
	s_mov_b32 s23, exec_lo
	v_cmpx_gt_u32_e32 8, v183
; %bb.284:                              ;   in Loop: Header=BB407_13 Depth=1
	s_delay_alu instid0(VALU_DEP_3) | instskip(NEXT) | instid1(VALU_DEP_1)
	v_clz_i32_u32_e32 v182, v28
	v_min_u32_e32 v182, 32, v182
	s_delay_alu instid0(VALU_DEP_1) | instskip(SKIP_1) | instid1(VALU_DEP_2)
	v_subrev_nc_u32_e32 v183, 28, v182
	v_sub_nc_u32_e32 v182, 29, v182
	v_lshlrev_b64 v[40:41], v183, v[28:29]
	s_delay_alu instid0(VALU_DEP_1)
	v_and_b32_e32 v28, 7, v40
; %bb.285:                              ;   in Loop: Header=BB407_13 Depth=1
	s_or_b32 exec_lo, exec_lo, s23
	v_lshlrev_b32_e32 v180, 24, v180
	s_delay_alu instid0(VALU_DEP_2) | instskip(SKIP_1) | instid1(VALU_DEP_3)
	v_lshlrev_b32_e32 v28, 20, v28
	v_lshl_add_u32 v182, v182, 23, 0x3c000000
	v_and_b32_e32 v180, 0x80000000, v180
	s_delay_alu instid0(VALU_DEP_1)
	v_or3_b32 v28, v28, v180, v182
.LBB407_286:                            ;   in Loop: Header=BB407_13 Depth=1
	s_or_b32 exec_lo, exec_lo, s22
.LBB407_287:                            ;   in Loop: Header=BB407_13 Depth=1
	s_delay_alu instid0(SALU_CYCLE_1)
	s_or_b32 exec_lo, exec_lo, s21
.LBB407_288:                            ;   in Loop: Header=BB407_13 Depth=1
	s_delay_alu instid0(SALU_CYCLE_1) | instskip(NEXT) | instid1(VALU_DEP_1)
	s_or_b32 exec_lo, exec_lo, s20
	v_mul_f32_e32 v28, v133, v28
	s_delay_alu instid0(VALU_DEP_1) | instskip(NEXT) | instid1(VALU_DEP_1)
	v_and_b32_e32 v180, 0x7f800000, v28
	v_cmp_ne_u32_e64 s2, 0x7f800000, v180
                                        ; implicit-def: $vgpr180
	s_delay_alu instid0(VALU_DEP_1) | instskip(NEXT) | instid1(SALU_CYCLE_1)
	s_and_saveexec_b32 s20, s2
	s_xor_b32 s2, exec_lo, s20
; %bb.289:                              ;   in Loop: Header=BB407_13 Depth=1
	v_bfe_u32 v180, v28, 16, 1
	s_delay_alu instid0(VALU_DEP_1)
	v_add3_u32 v180, v28, v180, 0x7fff
                                        ; implicit-def: $vgpr28
; %bb.290:                              ;   in Loop: Header=BB407_13 Depth=1
	s_and_not1_saveexec_b32 s20, s2
; %bb.291:                              ;   in Loop: Header=BB407_13 Depth=1
	v_and_b32_e32 v180, 0xffff, v28
	v_or_b32_e32 v182, 0x10000, v28
	s_delay_alu instid0(VALU_DEP_2) | instskip(NEXT) | instid1(VALU_DEP_1)
	v_cmp_eq_u32_e64 s2, 0, v180
	v_cndmask_b32_e64 v180, v182, v28, s2
; %bb.292:                              ;   in Loop: Header=BB407_13 Depth=1
	s_or_b32 exec_lo, exec_lo, s20
	v_mov_b32_e32 v28, 0
	s_mov_b32 s20, exec_lo
	v_cmpx_lt_u32_e32 0xffffff, v181
	s_cbranch_execz .LBB407_300
; %bb.293:                              ;   in Loop: Header=BB407_13 Depth=1
	v_lshrrev_b32_e32 v182, 24, v181
	v_bfrev_b32_e32 v28, 1
	s_mov_b32 s21, exec_lo
	s_delay_alu instid0(VALU_DEP_2)
	v_cmpx_ne_u32_e32 0x80, v182
	s_cbranch_execz .LBB407_299
; %bb.294:                              ;   in Loop: Header=BB407_13 Depth=1
	v_bfe_u32 v183, v181, 24, 7
	v_mov_b32_e32 v28, 0x7f800001
	s_mov_b32 s22, exec_lo
	s_delay_alu instid0(VALU_DEP_2)
	v_cmpx_ne_u32_e32 0x7f, v183
	s_cbranch_execz .LBB407_298
; %bb.295:                              ;   in Loop: Header=BB407_13 Depth=1
	v_and_b32_e32 v28, 7, v182
	v_lshrrev_b32_e32 v181, 3, v183
	s_mov_b32 s23, exec_lo
	v_cmpx_gt_u32_e32 8, v183
; %bb.296:                              ;   in Loop: Header=BB407_13 Depth=1
	s_delay_alu instid0(VALU_DEP_3) | instskip(NEXT) | instid1(VALU_DEP_1)
	v_clz_i32_u32_e32 v181, v28
	v_min_u32_e32 v181, 32, v181
	s_delay_alu instid0(VALU_DEP_1) | instskip(SKIP_1) | instid1(VALU_DEP_2)
	v_subrev_nc_u32_e32 v183, 28, v181
	v_sub_nc_u32_e32 v181, 29, v181
	v_lshlrev_b64 v[40:41], v183, v[28:29]
	s_delay_alu instid0(VALU_DEP_1)
	v_and_b32_e32 v28, 7, v40
; %bb.297:                              ;   in Loop: Header=BB407_13 Depth=1
	s_or_b32 exec_lo, exec_lo, s23
	v_lshlrev_b32_e32 v182, 24, v182
	s_delay_alu instid0(VALU_DEP_2) | instskip(SKIP_1) | instid1(VALU_DEP_3)
	v_lshlrev_b32_e32 v28, 20, v28
	v_lshl_add_u32 v181, v181, 23, 0x3c000000
	v_and_b32_e32 v182, 0x80000000, v182
	s_delay_alu instid0(VALU_DEP_1)
	v_or3_b32 v28, v28, v182, v181
.LBB407_298:                            ;   in Loop: Header=BB407_13 Depth=1
	s_or_b32 exec_lo, exec_lo, s22
.LBB407_299:                            ;   in Loop: Header=BB407_13 Depth=1
	s_delay_alu instid0(SALU_CYCLE_1)
	s_or_b32 exec_lo, exec_lo, s21
.LBB407_300:                            ;   in Loop: Header=BB407_13 Depth=1
	s_delay_alu instid0(SALU_CYCLE_1) | instskip(NEXT) | instid1(VALU_DEP_1)
	s_or_b32 exec_lo, exec_lo, s20
	v_mul_f32_e32 v28, v133, v28
	s_delay_alu instid0(VALU_DEP_1) | instskip(NEXT) | instid1(VALU_DEP_1)
	v_and_b32_e32 v181, 0x7f800000, v28
	v_cmp_ne_u32_e64 s2, 0x7f800000, v181
                                        ; implicit-def: $vgpr181
	s_delay_alu instid0(VALU_DEP_1) | instskip(NEXT) | instid1(SALU_CYCLE_1)
	s_and_saveexec_b32 s20, s2
	s_xor_b32 s2, exec_lo, s20
; %bb.301:                              ;   in Loop: Header=BB407_13 Depth=1
	v_bfe_u32 v181, v28, 16, 1
	s_delay_alu instid0(VALU_DEP_1)
	v_add3_u32 v181, v28, v181, 0x7fff
                                        ; implicit-def: $vgpr28
; %bb.302:                              ;   in Loop: Header=BB407_13 Depth=1
	s_and_not1_saveexec_b32 s20, s2
; %bb.303:                              ;   in Loop: Header=BB407_13 Depth=1
	v_and_b32_e32 v181, 0xffff, v28
	v_or_b32_e32 v182, 0x10000, v28
	s_delay_alu instid0(VALU_DEP_2) | instskip(NEXT) | instid1(VALU_DEP_1)
	v_cmp_eq_u32_e64 s2, 0, v181
	v_cndmask_b32_e64 v181, v182, v28, s2
; %bb.304:                              ;   in Loop: Header=BB407_13 Depth=1
	s_or_b32 exec_lo, exec_lo, s20
	flat_load_b32 v41, v[80:81] offset:768
	v_mov_b32_e32 v28, 0
	s_mov_b32 s20, exec_lo
	s_waitcnt vmcnt(0) lgkmcnt(0)
	v_and_b32_e32 v182, 0xff, v41
	s_delay_alu instid0(VALU_DEP_1)
	v_cmpx_ne_u16_e64 0, v182
	s_cbranch_execz .LBB407_312
; %bb.305:                              ;   in Loop: Header=BB407_13 Depth=1
	v_bfrev_b32_e32 v28, 1
	s_mov_b32 s21, exec_lo
	v_cmpx_ne_u16_e64 0x80, v182
	s_cbranch_execz .LBB407_311
; %bb.306:                              ;   in Loop: Header=BB407_13 Depth=1
	v_and_b32_e32 v183, 0x7f, v41
	v_mov_b32_e32 v28, 0x7f800001
	s_mov_b32 s22, exec_lo
	s_delay_alu instid0(VALU_DEP_2)
	v_cmpx_ne_u32_e32 0x7f, v183
	s_cbranch_execz .LBB407_310
; %bb.307:                              ;   in Loop: Header=BB407_13 Depth=1
	v_and_b32_e32 v28, 7, v41
	v_lshrrev_b32_e32 v182, 3, v183
	s_mov_b32 s23, exec_lo
	v_cmpx_gt_u32_e32 8, v183
; %bb.308:                              ;   in Loop: Header=BB407_13 Depth=1
	s_delay_alu instid0(VALU_DEP_3) | instskip(NEXT) | instid1(VALU_DEP_1)
	v_clz_i32_u32_e32 v182, v28
	v_min_u32_e32 v182, 32, v182
	s_delay_alu instid0(VALU_DEP_1) | instskip(SKIP_1) | instid1(VALU_DEP_2)
	v_subrev_nc_u32_e32 v183, 28, v182
	v_sub_nc_u32_e32 v182, 29, v182
	v_lshlrev_b64 v[42:43], v183, v[28:29]
	s_delay_alu instid0(VALU_DEP_1)
	v_and_b32_e32 v28, 7, v42
; %bb.309:                              ;   in Loop: Header=BB407_13 Depth=1
	s_or_b32 exec_lo, exec_lo, s23
	v_lshlrev_b32_e32 v183, 24, v41
	s_delay_alu instid0(VALU_DEP_2) | instskip(SKIP_1) | instid1(VALU_DEP_3)
	v_lshlrev_b32_e32 v28, 20, v28
	v_lshl_add_u32 v182, v182, 23, 0x3c000000
	v_and_b32_e32 v183, 0x80000000, v183
	s_delay_alu instid0(VALU_DEP_1)
	v_or3_b32 v28, v28, v183, v182
.LBB407_310:                            ;   in Loop: Header=BB407_13 Depth=1
	s_or_b32 exec_lo, exec_lo, s22
.LBB407_311:                            ;   in Loop: Header=BB407_13 Depth=1
	s_delay_alu instid0(SALU_CYCLE_1)
	s_or_b32 exec_lo, exec_lo, s21
.LBB407_312:                            ;   in Loop: Header=BB407_13 Depth=1
	s_delay_alu instid0(SALU_CYCLE_1) | instskip(NEXT) | instid1(VALU_DEP_1)
	s_or_b32 exec_lo, exec_lo, s20
	v_mul_f32_e32 v28, v133, v28
	s_delay_alu instid0(VALU_DEP_1) | instskip(NEXT) | instid1(VALU_DEP_1)
	v_and_b32_e32 v182, 0x7f800000, v28
	v_cmp_ne_u32_e64 s2, 0x7f800000, v182
                                        ; implicit-def: $vgpr182
	s_delay_alu instid0(VALU_DEP_1) | instskip(NEXT) | instid1(SALU_CYCLE_1)
	s_and_saveexec_b32 s20, s2
	s_xor_b32 s2, exec_lo, s20
; %bb.313:                              ;   in Loop: Header=BB407_13 Depth=1
	v_bfe_u32 v182, v28, 16, 1
	s_delay_alu instid0(VALU_DEP_1)
	v_add3_u32 v182, v28, v182, 0x7fff
                                        ; implicit-def: $vgpr28
; %bb.314:                              ;   in Loop: Header=BB407_13 Depth=1
	s_and_not1_saveexec_b32 s20, s2
; %bb.315:                              ;   in Loop: Header=BB407_13 Depth=1
	v_and_b32_e32 v182, 0xffff, v28
	v_or_b32_e32 v183, 0x10000, v28
	s_delay_alu instid0(VALU_DEP_2) | instskip(NEXT) | instid1(VALU_DEP_1)
	v_cmp_eq_u32_e64 s2, 0, v182
	v_cndmask_b32_e64 v182, v183, v28, s2
; %bb.316:                              ;   in Loop: Header=BB407_13 Depth=1
	s_or_b32 exec_lo, exec_lo, s20
	v_lshrrev_b16 v183, 8, v41
	v_mov_b32_e32 v28, 0
	s_mov_b32 s20, exec_lo
	s_delay_alu instid0(VALU_DEP_2)
	v_cmpx_ne_u16_e64 0, v183
	s_cbranch_execz .LBB407_324
; %bb.317:                              ;   in Loop: Header=BB407_13 Depth=1
	v_bfrev_b32_e32 v28, 1
	s_mov_b32 s21, exec_lo
	v_cmpx_ne_u16_e64 0x80, v183
	s_cbranch_execz .LBB407_323
; %bb.318:                              ;   in Loop: Header=BB407_13 Depth=1
	v_and_b32_e32 v183, 0xffff, v183
	v_mov_b32_e32 v28, 0x7f800001
	s_mov_b32 s22, exec_lo
	s_delay_alu instid0(VALU_DEP_2) | instskip(NEXT) | instid1(VALU_DEP_1)
	v_and_b32_e32 v40, 0x7f, v183
	v_cmpx_ne_u32_e32 0x7f, v40
	s_cbranch_execz .LBB407_322
; %bb.319:                              ;   in Loop: Header=BB407_13 Depth=1
	v_and_b32_e32 v28, 7, v183
	v_lshrrev_b32_e32 v183, 3, v40
	s_mov_b32 s23, exec_lo
	v_cmpx_gt_u32_e32 8, v40
; %bb.320:                              ;   in Loop: Header=BB407_13 Depth=1
	s_delay_alu instid0(VALU_DEP_3) | instskip(NEXT) | instid1(VALU_DEP_1)
	v_clz_i32_u32_e32 v183, v28
	v_min_u32_e32 v183, 32, v183
	s_delay_alu instid0(VALU_DEP_1) | instskip(SKIP_1) | instid1(VALU_DEP_2)
	v_subrev_nc_u32_e32 v40, 28, v183
	v_sub_nc_u32_e32 v183, 29, v183
	v_lshlrev_b64 v[42:43], v40, v[28:29]
	s_delay_alu instid0(VALU_DEP_1)
	v_and_b32_e32 v28, 7, v42
; %bb.321:                              ;   in Loop: Header=BB407_13 Depth=1
	s_or_b32 exec_lo, exec_lo, s23
	v_lshlrev_b32_e32 v40, 16, v41
	s_delay_alu instid0(VALU_DEP_2) | instskip(SKIP_1) | instid1(VALU_DEP_3)
	v_lshlrev_b32_e32 v28, 20, v28
	v_lshl_add_u32 v183, v183, 23, 0x3c000000
	v_and_b32_e32 v40, 0x80000000, v40
	s_delay_alu instid0(VALU_DEP_1)
	v_or3_b32 v28, v28, v40, v183
.LBB407_322:                            ;   in Loop: Header=BB407_13 Depth=1
	s_or_b32 exec_lo, exec_lo, s22
.LBB407_323:                            ;   in Loop: Header=BB407_13 Depth=1
	s_delay_alu instid0(SALU_CYCLE_1)
	s_or_b32 exec_lo, exec_lo, s21
.LBB407_324:                            ;   in Loop: Header=BB407_13 Depth=1
	s_delay_alu instid0(SALU_CYCLE_1) | instskip(NEXT) | instid1(VALU_DEP_1)
	s_or_b32 exec_lo, exec_lo, s20
	v_mul_f32_e32 v28, v133, v28
	s_delay_alu instid0(VALU_DEP_1) | instskip(NEXT) | instid1(VALU_DEP_1)
	v_and_b32_e32 v183, 0x7f800000, v28
	v_cmp_ne_u32_e64 s2, 0x7f800000, v183
                                        ; implicit-def: $vgpr183
	s_delay_alu instid0(VALU_DEP_1) | instskip(NEXT) | instid1(SALU_CYCLE_1)
	s_and_saveexec_b32 s20, s2
	s_xor_b32 s2, exec_lo, s20
; %bb.325:                              ;   in Loop: Header=BB407_13 Depth=1
	v_bfe_u32 v183, v28, 16, 1
	s_delay_alu instid0(VALU_DEP_1)
	v_add3_u32 v183, v28, v183, 0x7fff
                                        ; implicit-def: $vgpr28
; %bb.326:                              ;   in Loop: Header=BB407_13 Depth=1
	s_and_not1_saveexec_b32 s20, s2
; %bb.327:                              ;   in Loop: Header=BB407_13 Depth=1
	v_and_b32_e32 v183, 0xffff, v28
	v_or_b32_e32 v40, 0x10000, v28
	s_delay_alu instid0(VALU_DEP_2) | instskip(NEXT) | instid1(VALU_DEP_1)
	v_cmp_eq_u32_e64 s2, 0, v183
	v_cndmask_b32_e64 v183, v40, v28, s2
; %bb.328:                              ;   in Loop: Header=BB407_13 Depth=1
	s_or_b32 exec_lo, exec_lo, s20
	v_lshrrev_b32_e32 v40, 16, v41
	v_mov_b32_e32 v28, 0
	s_mov_b32 s20, exec_lo
	s_delay_alu instid0(VALU_DEP_2) | instskip(NEXT) | instid1(VALU_DEP_1)
	v_and_b32_e32 v42, 0xff, v40
	v_cmpx_ne_u16_e32 0, v42
	s_cbranch_execz .LBB407_336
; %bb.329:                              ;   in Loop: Header=BB407_13 Depth=1
	v_bfrev_b32_e32 v28, 1
	s_mov_b32 s21, exec_lo
	v_cmpx_ne_u16_e32 0x80, v42
	s_cbranch_execz .LBB407_335
; %bb.330:                              ;   in Loop: Header=BB407_13 Depth=1
	v_bfe_u32 v43, v41, 16, 7
	v_mov_b32_e32 v28, 0x7f800001
	s_mov_b32 s22, exec_lo
	s_delay_alu instid0(VALU_DEP_2)
	v_cmpx_ne_u32_e32 0x7f, v43
	s_cbranch_execz .LBB407_334
; %bb.331:                              ;   in Loop: Header=BB407_13 Depth=1
	v_and_b32_e32 v28, 7, v40
	v_lshrrev_b32_e32 v42, 3, v43
	s_mov_b32 s23, exec_lo
	v_cmpx_gt_u32_e32 8, v43
; %bb.332:                              ;   in Loop: Header=BB407_13 Depth=1
	s_delay_alu instid0(VALU_DEP_3) | instskip(NEXT) | instid1(VALU_DEP_1)
	v_clz_i32_u32_e32 v42, v28
	v_min_u32_e32 v42, 32, v42
	s_delay_alu instid0(VALU_DEP_1) | instskip(SKIP_1) | instid1(VALU_DEP_2)
	v_subrev_nc_u32_e32 v43, 28, v42
	v_sub_nc_u32_e32 v42, 29, v42
	v_lshlrev_b64 v[43:44], v43, v[28:29]
	s_delay_alu instid0(VALU_DEP_1)
	v_and_b32_e32 v28, 7, v43
; %bb.333:                              ;   in Loop: Header=BB407_13 Depth=1
	s_or_b32 exec_lo, exec_lo, s23
	v_lshlrev_b32_e32 v40, 24, v40
	s_delay_alu instid0(VALU_DEP_2) | instskip(SKIP_1) | instid1(VALU_DEP_3)
	v_lshlrev_b32_e32 v28, 20, v28
	v_lshl_add_u32 v42, v42, 23, 0x3c000000
	v_and_b32_e32 v40, 0x80000000, v40
	s_delay_alu instid0(VALU_DEP_1)
	v_or3_b32 v28, v28, v40, v42
.LBB407_334:                            ;   in Loop: Header=BB407_13 Depth=1
	s_or_b32 exec_lo, exec_lo, s22
.LBB407_335:                            ;   in Loop: Header=BB407_13 Depth=1
	s_delay_alu instid0(SALU_CYCLE_1)
	s_or_b32 exec_lo, exec_lo, s21
.LBB407_336:                            ;   in Loop: Header=BB407_13 Depth=1
	s_delay_alu instid0(SALU_CYCLE_1) | instskip(NEXT) | instid1(VALU_DEP_1)
	s_or_b32 exec_lo, exec_lo, s20
	v_mul_f32_e32 v28, v133, v28
	s_delay_alu instid0(VALU_DEP_1) | instskip(NEXT) | instid1(VALU_DEP_1)
	v_and_b32_e32 v40, 0x7f800000, v28
	v_cmp_ne_u32_e64 s2, 0x7f800000, v40
                                        ; implicit-def: $vgpr40
	s_delay_alu instid0(VALU_DEP_1) | instskip(NEXT) | instid1(SALU_CYCLE_1)
	s_and_saveexec_b32 s20, s2
	s_xor_b32 s2, exec_lo, s20
; %bb.337:                              ;   in Loop: Header=BB407_13 Depth=1
	v_bfe_u32 v40, v28, 16, 1
	s_delay_alu instid0(VALU_DEP_1)
	v_add3_u32 v40, v28, v40, 0x7fff
                                        ; implicit-def: $vgpr28
; %bb.338:                              ;   in Loop: Header=BB407_13 Depth=1
	s_and_not1_saveexec_b32 s20, s2
; %bb.339:                              ;   in Loop: Header=BB407_13 Depth=1
	v_and_b32_e32 v40, 0xffff, v28
	v_or_b32_e32 v42, 0x10000, v28
	s_delay_alu instid0(VALU_DEP_2) | instskip(NEXT) | instid1(VALU_DEP_1)
	v_cmp_eq_u32_e64 s2, 0, v40
	v_cndmask_b32_e64 v40, v42, v28, s2
; %bb.340:                              ;   in Loop: Header=BB407_13 Depth=1
	s_or_b32 exec_lo, exec_lo, s20
	v_mov_b32_e32 v28, 0
	s_mov_b32 s20, exec_lo
	v_cmpx_lt_u32_e32 0xffffff, v41
	s_cbranch_execz .LBB407_348
; %bb.341:                              ;   in Loop: Header=BB407_13 Depth=1
	v_lshrrev_b32_e32 v42, 24, v41
	v_bfrev_b32_e32 v28, 1
	s_mov_b32 s21, exec_lo
	s_delay_alu instid0(VALU_DEP_2)
	v_cmpx_ne_u32_e32 0x80, v42
	s_cbranch_execz .LBB407_347
; %bb.342:                              ;   in Loop: Header=BB407_13 Depth=1
	v_bfe_u32 v43, v41, 24, 7
	v_mov_b32_e32 v28, 0x7f800001
	s_mov_b32 s22, exec_lo
	s_delay_alu instid0(VALU_DEP_2)
	v_cmpx_ne_u32_e32 0x7f, v43
	s_cbranch_execz .LBB407_346
; %bb.343:                              ;   in Loop: Header=BB407_13 Depth=1
	v_and_b32_e32 v28, 7, v42
	v_lshrrev_b32_e32 v41, 3, v43
	s_mov_b32 s23, exec_lo
	v_cmpx_gt_u32_e32 8, v43
; %bb.344:                              ;   in Loop: Header=BB407_13 Depth=1
	s_delay_alu instid0(VALU_DEP_3) | instskip(NEXT) | instid1(VALU_DEP_1)
	v_clz_i32_u32_e32 v41, v28
	v_min_u32_e32 v41, 32, v41
	s_delay_alu instid0(VALU_DEP_1) | instskip(SKIP_1) | instid1(VALU_DEP_2)
	v_subrev_nc_u32_e32 v43, 28, v41
	v_sub_nc_u32_e32 v41, 29, v41
	v_lshlrev_b64 v[43:44], v43, v[28:29]
	s_delay_alu instid0(VALU_DEP_1)
	v_and_b32_e32 v28, 7, v43
; %bb.345:                              ;   in Loop: Header=BB407_13 Depth=1
	s_or_b32 exec_lo, exec_lo, s23
	v_lshlrev_b32_e32 v42, 24, v42
	s_delay_alu instid0(VALU_DEP_2) | instskip(SKIP_1) | instid1(VALU_DEP_3)
	v_lshlrev_b32_e32 v28, 20, v28
	v_lshl_add_u32 v41, v41, 23, 0x3c000000
	v_and_b32_e32 v42, 0x80000000, v42
	s_delay_alu instid0(VALU_DEP_1)
	v_or3_b32 v28, v28, v42, v41
.LBB407_346:                            ;   in Loop: Header=BB407_13 Depth=1
	s_or_b32 exec_lo, exec_lo, s22
.LBB407_347:                            ;   in Loop: Header=BB407_13 Depth=1
	s_delay_alu instid0(SALU_CYCLE_1)
	s_or_b32 exec_lo, exec_lo, s21
.LBB407_348:                            ;   in Loop: Header=BB407_13 Depth=1
	s_delay_alu instid0(SALU_CYCLE_1) | instskip(NEXT) | instid1(VALU_DEP_1)
	s_or_b32 exec_lo, exec_lo, s20
	v_mul_f32_e32 v28, v133, v28
	s_delay_alu instid0(VALU_DEP_1) | instskip(NEXT) | instid1(VALU_DEP_1)
	v_and_b32_e32 v41, 0x7f800000, v28
	v_cmp_ne_u32_e64 s2, 0x7f800000, v41
                                        ; implicit-def: $vgpr41
	s_delay_alu instid0(VALU_DEP_1) | instskip(NEXT) | instid1(SALU_CYCLE_1)
	s_and_saveexec_b32 s20, s2
	s_xor_b32 s2, exec_lo, s20
; %bb.349:                              ;   in Loop: Header=BB407_13 Depth=1
	v_bfe_u32 v41, v28, 16, 1
	s_delay_alu instid0(VALU_DEP_1)
	v_add3_u32 v41, v28, v41, 0x7fff
                                        ; implicit-def: $vgpr28
; %bb.350:                              ;   in Loop: Header=BB407_13 Depth=1
	s_and_not1_saveexec_b32 s20, s2
; %bb.351:                              ;   in Loop: Header=BB407_13 Depth=1
	v_and_b32_e32 v41, 0xffff, v28
	v_or_b32_e32 v42, 0x10000, v28
	s_delay_alu instid0(VALU_DEP_2) | instskip(NEXT) | instid1(VALU_DEP_1)
	v_cmp_eq_u32_e64 s2, 0, v41
	v_cndmask_b32_e64 v41, v42, v28, s2
; %bb.352:                              ;   in Loop: Header=BB407_13 Depth=1
	s_or_b32 exec_lo, exec_lo, s20
	flat_load_b32 v45, v[80:81] offset:776
	v_mov_b32_e32 v28, 0
	s_mov_b32 s20, exec_lo
	s_waitcnt vmcnt(0) lgkmcnt(0)
	v_and_b32_e32 v42, 0xff, v45
	s_delay_alu instid0(VALU_DEP_1)
	v_cmpx_ne_u16_e32 0, v42
	s_cbranch_execz .LBB407_360
; %bb.353:                              ;   in Loop: Header=BB407_13 Depth=1
	v_bfrev_b32_e32 v28, 1
	s_mov_b32 s21, exec_lo
	v_cmpx_ne_u16_e32 0x80, v42
	s_cbranch_execz .LBB407_359
; %bb.354:                              ;   in Loop: Header=BB407_13 Depth=1
	v_and_b32_e32 v43, 0x7f, v45
	v_mov_b32_e32 v28, 0x7f800001
	s_mov_b32 s22, exec_lo
	s_delay_alu instid0(VALU_DEP_2)
	v_cmpx_ne_u32_e32 0x7f, v43
	s_cbranch_execz .LBB407_358
; %bb.355:                              ;   in Loop: Header=BB407_13 Depth=1
	v_and_b32_e32 v28, 7, v45
	v_lshrrev_b32_e32 v42, 3, v43
	s_mov_b32 s23, exec_lo
	v_cmpx_gt_u32_e32 8, v43
; %bb.356:                              ;   in Loop: Header=BB407_13 Depth=1
	s_delay_alu instid0(VALU_DEP_3) | instskip(NEXT) | instid1(VALU_DEP_1)
	v_clz_i32_u32_e32 v42, v28
	v_min_u32_e32 v42, 32, v42
	s_delay_alu instid0(VALU_DEP_1) | instskip(SKIP_1) | instid1(VALU_DEP_2)
	v_subrev_nc_u32_e32 v43, 28, v42
	v_sub_nc_u32_e32 v42, 29, v42
	v_lshlrev_b64 v[43:44], v43, v[28:29]
	s_delay_alu instid0(VALU_DEP_1)
	v_and_b32_e32 v28, 7, v43
; %bb.357:                              ;   in Loop: Header=BB407_13 Depth=1
	s_or_b32 exec_lo, exec_lo, s23
	v_lshlrev_b32_e32 v43, 24, v45
	s_delay_alu instid0(VALU_DEP_2) | instskip(SKIP_1) | instid1(VALU_DEP_3)
	v_lshlrev_b32_e32 v28, 20, v28
	v_lshl_add_u32 v42, v42, 23, 0x3c000000
	v_and_b32_e32 v43, 0x80000000, v43
	s_delay_alu instid0(VALU_DEP_1)
	v_or3_b32 v28, v28, v43, v42
.LBB407_358:                            ;   in Loop: Header=BB407_13 Depth=1
	s_or_b32 exec_lo, exec_lo, s22
.LBB407_359:                            ;   in Loop: Header=BB407_13 Depth=1
	s_delay_alu instid0(SALU_CYCLE_1)
	s_or_b32 exec_lo, exec_lo, s21
.LBB407_360:                            ;   in Loop: Header=BB407_13 Depth=1
	s_delay_alu instid0(SALU_CYCLE_1) | instskip(NEXT) | instid1(VALU_DEP_1)
	s_or_b32 exec_lo, exec_lo, s20
	v_mul_f32_e32 v28, v133, v28
	s_delay_alu instid0(VALU_DEP_1) | instskip(NEXT) | instid1(VALU_DEP_1)
	v_and_b32_e32 v42, 0x7f800000, v28
	v_cmp_ne_u32_e64 s2, 0x7f800000, v42
                                        ; implicit-def: $vgpr42
	s_delay_alu instid0(VALU_DEP_1) | instskip(NEXT) | instid1(SALU_CYCLE_1)
	s_and_saveexec_b32 s20, s2
	s_xor_b32 s2, exec_lo, s20
; %bb.361:                              ;   in Loop: Header=BB407_13 Depth=1
	v_bfe_u32 v42, v28, 16, 1
	s_delay_alu instid0(VALU_DEP_1)
	v_add3_u32 v42, v28, v42, 0x7fff
                                        ; implicit-def: $vgpr28
; %bb.362:                              ;   in Loop: Header=BB407_13 Depth=1
	s_and_not1_saveexec_b32 s20, s2
; %bb.363:                              ;   in Loop: Header=BB407_13 Depth=1
	v_and_b32_e32 v42, 0xffff, v28
	v_or_b32_e32 v43, 0x10000, v28
	s_delay_alu instid0(VALU_DEP_2) | instskip(NEXT) | instid1(VALU_DEP_1)
	v_cmp_eq_u32_e64 s2, 0, v42
	v_cndmask_b32_e64 v42, v43, v28, s2
; %bb.364:                              ;   in Loop: Header=BB407_13 Depth=1
	s_or_b32 exec_lo, exec_lo, s20
	v_lshrrev_b16 v43, 8, v45
	v_mov_b32_e32 v28, 0
	s_mov_b32 s20, exec_lo
	s_delay_alu instid0(VALU_DEP_2)
	v_cmpx_ne_u16_e32 0, v43
	s_cbranch_execz .LBB407_372
; %bb.365:                              ;   in Loop: Header=BB407_13 Depth=1
	v_bfrev_b32_e32 v28, 1
	s_mov_b32 s21, exec_lo
	v_cmpx_ne_u16_e32 0x80, v43
	s_cbranch_execz .LBB407_371
; %bb.366:                              ;   in Loop: Header=BB407_13 Depth=1
	v_and_b32_e32 v43, 0xffff, v43
	v_mov_b32_e32 v28, 0x7f800001
	s_mov_b32 s22, exec_lo
	s_delay_alu instid0(VALU_DEP_2) | instskip(NEXT) | instid1(VALU_DEP_1)
	v_and_b32_e32 v44, 0x7f, v43
	v_cmpx_ne_u32_e32 0x7f, v44
	s_cbranch_execz .LBB407_370
; %bb.367:                              ;   in Loop: Header=BB407_13 Depth=1
	v_and_b32_e32 v28, 7, v43
	v_lshrrev_b32_e32 v43, 3, v44
	s_mov_b32 s23, exec_lo
	v_cmpx_gt_u32_e32 8, v44
; %bb.368:                              ;   in Loop: Header=BB407_13 Depth=1
	s_delay_alu instid0(VALU_DEP_3) | instskip(NEXT) | instid1(VALU_DEP_1)
	v_clz_i32_u32_e32 v43, v28
	v_min_u32_e32 v43, 32, v43
	s_delay_alu instid0(VALU_DEP_1) | instskip(SKIP_1) | instid1(VALU_DEP_2)
	v_subrev_nc_u32_e32 v44, 28, v43
	v_sub_nc_u32_e32 v43, 29, v43
	v_lshlrev_b64 v[46:47], v44, v[28:29]
	s_delay_alu instid0(VALU_DEP_1)
	v_and_b32_e32 v28, 7, v46
; %bb.369:                              ;   in Loop: Header=BB407_13 Depth=1
	s_or_b32 exec_lo, exec_lo, s23
	v_lshlrev_b32_e32 v44, 16, v45
	s_delay_alu instid0(VALU_DEP_2) | instskip(SKIP_1) | instid1(VALU_DEP_3)
	v_lshlrev_b32_e32 v28, 20, v28
	v_lshl_add_u32 v43, v43, 23, 0x3c000000
	v_and_b32_e32 v44, 0x80000000, v44
	s_delay_alu instid0(VALU_DEP_1)
	v_or3_b32 v28, v28, v44, v43
.LBB407_370:                            ;   in Loop: Header=BB407_13 Depth=1
	s_or_b32 exec_lo, exec_lo, s22
.LBB407_371:                            ;   in Loop: Header=BB407_13 Depth=1
	s_delay_alu instid0(SALU_CYCLE_1)
	s_or_b32 exec_lo, exec_lo, s21
.LBB407_372:                            ;   in Loop: Header=BB407_13 Depth=1
	s_delay_alu instid0(SALU_CYCLE_1) | instskip(NEXT) | instid1(VALU_DEP_1)
	s_or_b32 exec_lo, exec_lo, s20
	v_mul_f32_e32 v28, v133, v28
	s_delay_alu instid0(VALU_DEP_1) | instskip(NEXT) | instid1(VALU_DEP_1)
	v_and_b32_e32 v43, 0x7f800000, v28
	v_cmp_ne_u32_e64 s2, 0x7f800000, v43
                                        ; implicit-def: $vgpr43
	s_delay_alu instid0(VALU_DEP_1) | instskip(NEXT) | instid1(SALU_CYCLE_1)
	s_and_saveexec_b32 s20, s2
	s_xor_b32 s2, exec_lo, s20
; %bb.373:                              ;   in Loop: Header=BB407_13 Depth=1
	v_bfe_u32 v43, v28, 16, 1
	s_delay_alu instid0(VALU_DEP_1)
	v_add3_u32 v43, v28, v43, 0x7fff
                                        ; implicit-def: $vgpr28
; %bb.374:                              ;   in Loop: Header=BB407_13 Depth=1
	s_and_not1_saveexec_b32 s20, s2
; %bb.375:                              ;   in Loop: Header=BB407_13 Depth=1
	v_and_b32_e32 v43, 0xffff, v28
	v_or_b32_e32 v44, 0x10000, v28
	s_delay_alu instid0(VALU_DEP_2) | instskip(NEXT) | instid1(VALU_DEP_1)
	v_cmp_eq_u32_e64 s2, 0, v43
	v_cndmask_b32_e64 v43, v44, v28, s2
; %bb.376:                              ;   in Loop: Header=BB407_13 Depth=1
	s_or_b32 exec_lo, exec_lo, s20
	v_lshrrev_b32_e32 v44, 16, v45
	v_mov_b32_e32 v28, 0
	s_mov_b32 s20, exec_lo
	s_delay_alu instid0(VALU_DEP_2) | instskip(NEXT) | instid1(VALU_DEP_1)
	v_and_b32_e32 v46, 0xff, v44
	v_cmpx_ne_u16_e32 0, v46
	s_cbranch_execz .LBB407_384
; %bb.377:                              ;   in Loop: Header=BB407_13 Depth=1
	v_bfrev_b32_e32 v28, 1
	s_mov_b32 s21, exec_lo
	v_cmpx_ne_u16_e32 0x80, v46
	s_cbranch_execz .LBB407_383
; %bb.378:                              ;   in Loop: Header=BB407_13 Depth=1
	v_bfe_u32 v47, v45, 16, 7
	v_mov_b32_e32 v28, 0x7f800001
	s_mov_b32 s22, exec_lo
	s_delay_alu instid0(VALU_DEP_2)
	v_cmpx_ne_u32_e32 0x7f, v47
	s_cbranch_execz .LBB407_382
; %bb.379:                              ;   in Loop: Header=BB407_13 Depth=1
	v_and_b32_e32 v28, 7, v44
	v_lshrrev_b32_e32 v46, 3, v47
	s_mov_b32 s23, exec_lo
	v_cmpx_gt_u32_e32 8, v47
; %bb.380:                              ;   in Loop: Header=BB407_13 Depth=1
	s_delay_alu instid0(VALU_DEP_3) | instskip(NEXT) | instid1(VALU_DEP_1)
	v_clz_i32_u32_e32 v46, v28
	v_min_u32_e32 v46, 32, v46
	s_delay_alu instid0(VALU_DEP_1) | instskip(SKIP_1) | instid1(VALU_DEP_2)
	v_subrev_nc_u32_e32 v47, 28, v46
	v_sub_nc_u32_e32 v46, 29, v46
	v_lshlrev_b64 v[56:57], v47, v[28:29]
	s_delay_alu instid0(VALU_DEP_1)
	v_and_b32_e32 v28, 7, v56
; %bb.381:                              ;   in Loop: Header=BB407_13 Depth=1
	s_or_b32 exec_lo, exec_lo, s23
	v_lshlrev_b32_e32 v44, 24, v44
	s_delay_alu instid0(VALU_DEP_2) | instskip(SKIP_1) | instid1(VALU_DEP_3)
	v_lshlrev_b32_e32 v28, 20, v28
	v_lshl_add_u32 v46, v46, 23, 0x3c000000
	v_and_b32_e32 v44, 0x80000000, v44
	s_delay_alu instid0(VALU_DEP_1)
	v_or3_b32 v28, v28, v44, v46
.LBB407_382:                            ;   in Loop: Header=BB407_13 Depth=1
	s_or_b32 exec_lo, exec_lo, s22
.LBB407_383:                            ;   in Loop: Header=BB407_13 Depth=1
	s_delay_alu instid0(SALU_CYCLE_1)
	s_or_b32 exec_lo, exec_lo, s21
.LBB407_384:                            ;   in Loop: Header=BB407_13 Depth=1
	s_delay_alu instid0(SALU_CYCLE_1) | instskip(NEXT) | instid1(VALU_DEP_1)
	s_or_b32 exec_lo, exec_lo, s20
	v_mul_f32_e32 v28, v133, v28
	s_delay_alu instid0(VALU_DEP_1) | instskip(NEXT) | instid1(VALU_DEP_1)
	v_and_b32_e32 v44, 0x7f800000, v28
	v_cmp_ne_u32_e64 s2, 0x7f800000, v44
                                        ; implicit-def: $vgpr44
	s_delay_alu instid0(VALU_DEP_1) | instskip(NEXT) | instid1(SALU_CYCLE_1)
	s_and_saveexec_b32 s20, s2
	s_xor_b32 s2, exec_lo, s20
; %bb.385:                              ;   in Loop: Header=BB407_13 Depth=1
	v_bfe_u32 v44, v28, 16, 1
	s_delay_alu instid0(VALU_DEP_1)
	v_add3_u32 v44, v28, v44, 0x7fff
                                        ; implicit-def: $vgpr28
; %bb.386:                              ;   in Loop: Header=BB407_13 Depth=1
	s_and_not1_saveexec_b32 s20, s2
; %bb.387:                              ;   in Loop: Header=BB407_13 Depth=1
	v_and_b32_e32 v44, 0xffff, v28
	v_or_b32_e32 v46, 0x10000, v28
	s_delay_alu instid0(VALU_DEP_2) | instskip(NEXT) | instid1(VALU_DEP_1)
	v_cmp_eq_u32_e64 s2, 0, v44
	v_cndmask_b32_e64 v44, v46, v28, s2
; %bb.388:                              ;   in Loop: Header=BB407_13 Depth=1
	s_or_b32 exec_lo, exec_lo, s20
	v_mov_b32_e32 v28, 0
	s_mov_b32 s20, exec_lo
	v_cmpx_lt_u32_e32 0xffffff, v45
	s_cbranch_execz .LBB407_396
; %bb.389:                              ;   in Loop: Header=BB407_13 Depth=1
	v_lshrrev_b32_e32 v46, 24, v45
	v_bfrev_b32_e32 v28, 1
	s_mov_b32 s21, exec_lo
	s_delay_alu instid0(VALU_DEP_2)
	v_cmpx_ne_u32_e32 0x80, v46
	s_cbranch_execz .LBB407_395
; %bb.390:                              ;   in Loop: Header=BB407_13 Depth=1
	v_bfe_u32 v47, v45, 24, 7
	v_mov_b32_e32 v28, 0x7f800001
	s_mov_b32 s22, exec_lo
	s_delay_alu instid0(VALU_DEP_2)
	v_cmpx_ne_u32_e32 0x7f, v47
	s_cbranch_execz .LBB407_394
; %bb.391:                              ;   in Loop: Header=BB407_13 Depth=1
	v_and_b32_e32 v28, 7, v46
	v_lshrrev_b32_e32 v45, 3, v47
	s_mov_b32 s23, exec_lo
	v_cmpx_gt_u32_e32 8, v47
; %bb.392:                              ;   in Loop: Header=BB407_13 Depth=1
	s_delay_alu instid0(VALU_DEP_3) | instskip(NEXT) | instid1(VALU_DEP_1)
	v_clz_i32_u32_e32 v45, v28
	v_min_u32_e32 v45, 32, v45
	s_delay_alu instid0(VALU_DEP_1) | instskip(SKIP_1) | instid1(VALU_DEP_2)
	v_subrev_nc_u32_e32 v47, 28, v45
	v_sub_nc_u32_e32 v45, 29, v45
	v_lshlrev_b64 v[56:57], v47, v[28:29]
	s_delay_alu instid0(VALU_DEP_1)
	v_and_b32_e32 v28, 7, v56
; %bb.393:                              ;   in Loop: Header=BB407_13 Depth=1
	s_or_b32 exec_lo, exec_lo, s23
	v_lshlrev_b32_e32 v46, 24, v46
	s_delay_alu instid0(VALU_DEP_2) | instskip(SKIP_1) | instid1(VALU_DEP_3)
	v_lshlrev_b32_e32 v28, 20, v28
	v_lshl_add_u32 v45, v45, 23, 0x3c000000
	v_and_b32_e32 v46, 0x80000000, v46
	s_delay_alu instid0(VALU_DEP_1)
	v_or3_b32 v28, v28, v46, v45
.LBB407_394:                            ;   in Loop: Header=BB407_13 Depth=1
	s_or_b32 exec_lo, exec_lo, s22
.LBB407_395:                            ;   in Loop: Header=BB407_13 Depth=1
	s_delay_alu instid0(SALU_CYCLE_1)
	s_or_b32 exec_lo, exec_lo, s21
.LBB407_396:                            ;   in Loop: Header=BB407_13 Depth=1
	s_delay_alu instid0(SALU_CYCLE_1) | instskip(NEXT) | instid1(VALU_DEP_1)
	s_or_b32 exec_lo, exec_lo, s20
	v_mul_f32_e32 v28, v133, v28
	s_delay_alu instid0(VALU_DEP_1) | instskip(NEXT) | instid1(VALU_DEP_1)
	v_and_b32_e32 v45, 0x7f800000, v28
	v_cmp_ne_u32_e64 s2, 0x7f800000, v45
                                        ; implicit-def: $vgpr45
	s_delay_alu instid0(VALU_DEP_1) | instskip(NEXT) | instid1(SALU_CYCLE_1)
	s_and_saveexec_b32 s20, s2
	s_xor_b32 s2, exec_lo, s20
; %bb.397:                              ;   in Loop: Header=BB407_13 Depth=1
	v_bfe_u32 v45, v28, 16, 1
	s_delay_alu instid0(VALU_DEP_1)
	v_add3_u32 v45, v28, v45, 0x7fff
                                        ; implicit-def: $vgpr28
; %bb.398:                              ;   in Loop: Header=BB407_13 Depth=1
	s_and_not1_saveexec_b32 s20, s2
; %bb.399:                              ;   in Loop: Header=BB407_13 Depth=1
	v_and_b32_e32 v45, 0xffff, v28
	v_or_b32_e32 v46, 0x10000, v28
	s_delay_alu instid0(VALU_DEP_2) | instskip(NEXT) | instid1(VALU_DEP_1)
	v_cmp_eq_u32_e64 s2, 0, v45
	v_cndmask_b32_e64 v45, v46, v28, s2
; %bb.400:                              ;   in Loop: Header=BB407_13 Depth=1
	s_or_b32 exec_lo, exec_lo, s20
	flat_load_b32 v57, v[80:81] offset:1024
	v_mov_b32_e32 v28, 0
	s_mov_b32 s20, exec_lo
	s_waitcnt vmcnt(0) lgkmcnt(0)
	v_and_b32_e32 v46, 0xff, v57
	s_delay_alu instid0(VALU_DEP_1)
	v_cmpx_ne_u16_e32 0, v46
	s_cbranch_execz .LBB407_408
; %bb.401:                              ;   in Loop: Header=BB407_13 Depth=1
	v_bfrev_b32_e32 v28, 1
	s_mov_b32 s21, exec_lo
	v_cmpx_ne_u16_e32 0x80, v46
	s_cbranch_execz .LBB407_407
; %bb.402:                              ;   in Loop: Header=BB407_13 Depth=1
	v_and_b32_e32 v47, 0x7f, v57
	v_mov_b32_e32 v28, 0x7f800001
	s_mov_b32 s22, exec_lo
	s_delay_alu instid0(VALU_DEP_2)
	v_cmpx_ne_u32_e32 0x7f, v47
	s_cbranch_execz .LBB407_406
; %bb.403:                              ;   in Loop: Header=BB407_13 Depth=1
	v_and_b32_e32 v28, 7, v57
	v_lshrrev_b32_e32 v46, 3, v47
	s_mov_b32 s23, exec_lo
	v_cmpx_gt_u32_e32 8, v47
; %bb.404:                              ;   in Loop: Header=BB407_13 Depth=1
	s_delay_alu instid0(VALU_DEP_3) | instskip(NEXT) | instid1(VALU_DEP_1)
	v_clz_i32_u32_e32 v46, v28
	v_min_u32_e32 v46, 32, v46
	s_delay_alu instid0(VALU_DEP_1) | instskip(SKIP_1) | instid1(VALU_DEP_2)
	v_subrev_nc_u32_e32 v47, 28, v46
	v_sub_nc_u32_e32 v46, 29, v46
	v_lshlrev_b64 v[58:59], v47, v[28:29]
	s_delay_alu instid0(VALU_DEP_1)
	v_and_b32_e32 v28, 7, v58
; %bb.405:                              ;   in Loop: Header=BB407_13 Depth=1
	s_or_b32 exec_lo, exec_lo, s23
	v_lshlrev_b32_e32 v47, 24, v57
	s_delay_alu instid0(VALU_DEP_2) | instskip(SKIP_1) | instid1(VALU_DEP_3)
	v_lshlrev_b32_e32 v28, 20, v28
	v_lshl_add_u32 v46, v46, 23, 0x3c000000
	v_and_b32_e32 v47, 0x80000000, v47
	s_delay_alu instid0(VALU_DEP_1)
	v_or3_b32 v28, v28, v47, v46
.LBB407_406:                            ;   in Loop: Header=BB407_13 Depth=1
	s_or_b32 exec_lo, exec_lo, s22
.LBB407_407:                            ;   in Loop: Header=BB407_13 Depth=1
	s_delay_alu instid0(SALU_CYCLE_1)
	s_or_b32 exec_lo, exec_lo, s21
.LBB407_408:                            ;   in Loop: Header=BB407_13 Depth=1
	s_delay_alu instid0(SALU_CYCLE_1) | instskip(NEXT) | instid1(VALU_DEP_1)
	s_or_b32 exec_lo, exec_lo, s20
	v_mul_f32_e32 v28, v133, v28
	s_delay_alu instid0(VALU_DEP_1) | instskip(NEXT) | instid1(VALU_DEP_1)
	v_and_b32_e32 v46, 0x7f800000, v28
	v_cmp_ne_u32_e64 s2, 0x7f800000, v46
                                        ; implicit-def: $vgpr46
	s_delay_alu instid0(VALU_DEP_1) | instskip(NEXT) | instid1(SALU_CYCLE_1)
	s_and_saveexec_b32 s20, s2
	s_xor_b32 s2, exec_lo, s20
; %bb.409:                              ;   in Loop: Header=BB407_13 Depth=1
	v_bfe_u32 v46, v28, 16, 1
	s_delay_alu instid0(VALU_DEP_1)
	v_add3_u32 v46, v28, v46, 0x7fff
                                        ; implicit-def: $vgpr28
; %bb.410:                              ;   in Loop: Header=BB407_13 Depth=1
	s_and_not1_saveexec_b32 s20, s2
; %bb.411:                              ;   in Loop: Header=BB407_13 Depth=1
	v_and_b32_e32 v46, 0xffff, v28
	v_or_b32_e32 v47, 0x10000, v28
	s_delay_alu instid0(VALU_DEP_2) | instskip(NEXT) | instid1(VALU_DEP_1)
	v_cmp_eq_u32_e64 s2, 0, v46
	v_cndmask_b32_e64 v46, v47, v28, s2
; %bb.412:                              ;   in Loop: Header=BB407_13 Depth=1
	s_or_b32 exec_lo, exec_lo, s20
	v_lshrrev_b16 v47, 8, v57
	v_mov_b32_e32 v28, 0
	s_mov_b32 s20, exec_lo
	s_delay_alu instid0(VALU_DEP_2)
	v_cmpx_ne_u16_e32 0, v47
	s_cbranch_execz .LBB407_420
; %bb.413:                              ;   in Loop: Header=BB407_13 Depth=1
	v_bfrev_b32_e32 v28, 1
	s_mov_b32 s21, exec_lo
	v_cmpx_ne_u16_e32 0x80, v47
	s_cbranch_execz .LBB407_419
; %bb.414:                              ;   in Loop: Header=BB407_13 Depth=1
	v_and_b32_e32 v47, 0xffff, v47
	v_mov_b32_e32 v28, 0x7f800001
	s_mov_b32 s22, exec_lo
	s_delay_alu instid0(VALU_DEP_2) | instskip(NEXT) | instid1(VALU_DEP_1)
	v_and_b32_e32 v56, 0x7f, v47
	v_cmpx_ne_u32_e32 0x7f, v56
	s_cbranch_execz .LBB407_418
; %bb.415:                              ;   in Loop: Header=BB407_13 Depth=1
	v_and_b32_e32 v28, 7, v47
	v_lshrrev_b32_e32 v47, 3, v56
	s_mov_b32 s23, exec_lo
	v_cmpx_gt_u32_e32 8, v56
; %bb.416:                              ;   in Loop: Header=BB407_13 Depth=1
	s_delay_alu instid0(VALU_DEP_3) | instskip(NEXT) | instid1(VALU_DEP_1)
	v_clz_i32_u32_e32 v47, v28
	v_min_u32_e32 v47, 32, v47
	s_delay_alu instid0(VALU_DEP_1) | instskip(SKIP_1) | instid1(VALU_DEP_2)
	v_subrev_nc_u32_e32 v56, 28, v47
	v_sub_nc_u32_e32 v47, 29, v47
	v_lshlrev_b64 v[58:59], v56, v[28:29]
	s_delay_alu instid0(VALU_DEP_1)
	v_and_b32_e32 v28, 7, v58
; %bb.417:                              ;   in Loop: Header=BB407_13 Depth=1
	s_or_b32 exec_lo, exec_lo, s23
	v_lshlrev_b32_e32 v56, 16, v57
	s_delay_alu instid0(VALU_DEP_2) | instskip(SKIP_1) | instid1(VALU_DEP_3)
	v_lshlrev_b32_e32 v28, 20, v28
	v_lshl_add_u32 v47, v47, 23, 0x3c000000
	v_and_b32_e32 v56, 0x80000000, v56
	s_delay_alu instid0(VALU_DEP_1)
	v_or3_b32 v28, v28, v56, v47
.LBB407_418:                            ;   in Loop: Header=BB407_13 Depth=1
	s_or_b32 exec_lo, exec_lo, s22
.LBB407_419:                            ;   in Loop: Header=BB407_13 Depth=1
	s_delay_alu instid0(SALU_CYCLE_1)
	s_or_b32 exec_lo, exec_lo, s21
.LBB407_420:                            ;   in Loop: Header=BB407_13 Depth=1
	s_delay_alu instid0(SALU_CYCLE_1) | instskip(NEXT) | instid1(VALU_DEP_1)
	s_or_b32 exec_lo, exec_lo, s20
	v_mul_f32_e32 v28, v133, v28
	s_delay_alu instid0(VALU_DEP_1) | instskip(NEXT) | instid1(VALU_DEP_1)
	v_and_b32_e32 v47, 0x7f800000, v28
	v_cmp_ne_u32_e64 s2, 0x7f800000, v47
                                        ; implicit-def: $vgpr47
	s_delay_alu instid0(VALU_DEP_1) | instskip(NEXT) | instid1(SALU_CYCLE_1)
	s_and_saveexec_b32 s20, s2
	s_xor_b32 s2, exec_lo, s20
; %bb.421:                              ;   in Loop: Header=BB407_13 Depth=1
	v_bfe_u32 v47, v28, 16, 1
	s_delay_alu instid0(VALU_DEP_1)
	v_add3_u32 v47, v28, v47, 0x7fff
                                        ; implicit-def: $vgpr28
; %bb.422:                              ;   in Loop: Header=BB407_13 Depth=1
	s_and_not1_saveexec_b32 s20, s2
; %bb.423:                              ;   in Loop: Header=BB407_13 Depth=1
	v_and_b32_e32 v47, 0xffff, v28
	v_or_b32_e32 v56, 0x10000, v28
	s_delay_alu instid0(VALU_DEP_2) | instskip(NEXT) | instid1(VALU_DEP_1)
	v_cmp_eq_u32_e64 s2, 0, v47
	v_cndmask_b32_e64 v47, v56, v28, s2
; %bb.424:                              ;   in Loop: Header=BB407_13 Depth=1
	s_or_b32 exec_lo, exec_lo, s20
	v_lshrrev_b32_e32 v56, 16, v57
	v_mov_b32_e32 v28, 0
	s_mov_b32 s20, exec_lo
	s_delay_alu instid0(VALU_DEP_2) | instskip(NEXT) | instid1(VALU_DEP_1)
	v_and_b32_e32 v58, 0xff, v56
	v_cmpx_ne_u16_e32 0, v58
	s_cbranch_execz .LBB407_432
; %bb.425:                              ;   in Loop: Header=BB407_13 Depth=1
	v_bfrev_b32_e32 v28, 1
	s_mov_b32 s21, exec_lo
	v_cmpx_ne_u16_e32 0x80, v58
	s_cbranch_execz .LBB407_431
; %bb.426:                              ;   in Loop: Header=BB407_13 Depth=1
	v_bfe_u32 v59, v57, 16, 7
	v_mov_b32_e32 v28, 0x7f800001
	s_mov_b32 s22, exec_lo
	s_delay_alu instid0(VALU_DEP_2)
	v_cmpx_ne_u32_e32 0x7f, v59
	s_cbranch_execz .LBB407_430
; %bb.427:                              ;   in Loop: Header=BB407_13 Depth=1
	v_and_b32_e32 v28, 7, v56
	v_lshrrev_b32_e32 v58, 3, v59
	s_mov_b32 s23, exec_lo
	v_cmpx_gt_u32_e32 8, v59
; %bb.428:                              ;   in Loop: Header=BB407_13 Depth=1
	s_delay_alu instid0(VALU_DEP_3) | instskip(NEXT) | instid1(VALU_DEP_1)
	v_clz_i32_u32_e32 v58, v28
	v_min_u32_e32 v58, 32, v58
	s_delay_alu instid0(VALU_DEP_1) | instskip(SKIP_1) | instid1(VALU_DEP_2)
	v_subrev_nc_u32_e32 v59, 28, v58
	v_sub_nc_u32_e32 v58, 29, v58
	v_lshlrev_b64 v[59:60], v59, v[28:29]
	s_delay_alu instid0(VALU_DEP_1)
	v_and_b32_e32 v28, 7, v59
; %bb.429:                              ;   in Loop: Header=BB407_13 Depth=1
	s_or_b32 exec_lo, exec_lo, s23
	v_lshlrev_b32_e32 v56, 24, v56
	s_delay_alu instid0(VALU_DEP_2) | instskip(SKIP_1) | instid1(VALU_DEP_3)
	v_lshlrev_b32_e32 v28, 20, v28
	v_lshl_add_u32 v58, v58, 23, 0x3c000000
	v_and_b32_e32 v56, 0x80000000, v56
	s_delay_alu instid0(VALU_DEP_1)
	v_or3_b32 v28, v28, v56, v58
.LBB407_430:                            ;   in Loop: Header=BB407_13 Depth=1
	s_or_b32 exec_lo, exec_lo, s22
.LBB407_431:                            ;   in Loop: Header=BB407_13 Depth=1
	s_delay_alu instid0(SALU_CYCLE_1)
	s_or_b32 exec_lo, exec_lo, s21
.LBB407_432:                            ;   in Loop: Header=BB407_13 Depth=1
	s_delay_alu instid0(SALU_CYCLE_1) | instskip(NEXT) | instid1(VALU_DEP_1)
	s_or_b32 exec_lo, exec_lo, s20
	v_mul_f32_e32 v28, v133, v28
	s_delay_alu instid0(VALU_DEP_1) | instskip(NEXT) | instid1(VALU_DEP_1)
	v_and_b32_e32 v56, 0x7f800000, v28
	v_cmp_ne_u32_e64 s2, 0x7f800000, v56
                                        ; implicit-def: $vgpr56
	s_delay_alu instid0(VALU_DEP_1) | instskip(NEXT) | instid1(SALU_CYCLE_1)
	s_and_saveexec_b32 s20, s2
	s_xor_b32 s2, exec_lo, s20
; %bb.433:                              ;   in Loop: Header=BB407_13 Depth=1
	v_bfe_u32 v56, v28, 16, 1
	s_delay_alu instid0(VALU_DEP_1)
	v_add3_u32 v56, v28, v56, 0x7fff
                                        ; implicit-def: $vgpr28
; %bb.434:                              ;   in Loop: Header=BB407_13 Depth=1
	s_and_not1_saveexec_b32 s20, s2
; %bb.435:                              ;   in Loop: Header=BB407_13 Depth=1
	v_and_b32_e32 v56, 0xffff, v28
	v_or_b32_e32 v58, 0x10000, v28
	s_delay_alu instid0(VALU_DEP_2) | instskip(NEXT) | instid1(VALU_DEP_1)
	v_cmp_eq_u32_e64 s2, 0, v56
	v_cndmask_b32_e64 v56, v58, v28, s2
; %bb.436:                              ;   in Loop: Header=BB407_13 Depth=1
	s_or_b32 exec_lo, exec_lo, s20
	v_mov_b32_e32 v28, 0
	s_mov_b32 s20, exec_lo
	v_cmpx_lt_u32_e32 0xffffff, v57
	s_cbranch_execz .LBB407_444
; %bb.437:                              ;   in Loop: Header=BB407_13 Depth=1
	v_lshrrev_b32_e32 v58, 24, v57
	v_bfrev_b32_e32 v28, 1
	s_mov_b32 s21, exec_lo
	s_delay_alu instid0(VALU_DEP_2)
	v_cmpx_ne_u32_e32 0x80, v58
	s_cbranch_execz .LBB407_443
; %bb.438:                              ;   in Loop: Header=BB407_13 Depth=1
	v_bfe_u32 v59, v57, 24, 7
	v_mov_b32_e32 v28, 0x7f800001
	s_mov_b32 s22, exec_lo
	s_delay_alu instid0(VALU_DEP_2)
	v_cmpx_ne_u32_e32 0x7f, v59
	s_cbranch_execz .LBB407_442
; %bb.439:                              ;   in Loop: Header=BB407_13 Depth=1
	v_and_b32_e32 v28, 7, v58
	v_lshrrev_b32_e32 v57, 3, v59
	s_mov_b32 s23, exec_lo
	v_cmpx_gt_u32_e32 8, v59
; %bb.440:                              ;   in Loop: Header=BB407_13 Depth=1
	s_delay_alu instid0(VALU_DEP_3) | instskip(NEXT) | instid1(VALU_DEP_1)
	v_clz_i32_u32_e32 v57, v28
	v_min_u32_e32 v57, 32, v57
	s_delay_alu instid0(VALU_DEP_1) | instskip(SKIP_1) | instid1(VALU_DEP_2)
	v_subrev_nc_u32_e32 v59, 28, v57
	v_sub_nc_u32_e32 v57, 29, v57
	v_lshlrev_b64 v[59:60], v59, v[28:29]
	s_delay_alu instid0(VALU_DEP_1)
	v_and_b32_e32 v28, 7, v59
; %bb.441:                              ;   in Loop: Header=BB407_13 Depth=1
	s_or_b32 exec_lo, exec_lo, s23
	v_lshlrev_b32_e32 v58, 24, v58
	s_delay_alu instid0(VALU_DEP_2) | instskip(SKIP_1) | instid1(VALU_DEP_3)
	v_lshlrev_b32_e32 v28, 20, v28
	v_lshl_add_u32 v57, v57, 23, 0x3c000000
	v_and_b32_e32 v58, 0x80000000, v58
	s_delay_alu instid0(VALU_DEP_1)
	v_or3_b32 v28, v28, v58, v57
.LBB407_442:                            ;   in Loop: Header=BB407_13 Depth=1
	s_or_b32 exec_lo, exec_lo, s22
.LBB407_443:                            ;   in Loop: Header=BB407_13 Depth=1
	s_delay_alu instid0(SALU_CYCLE_1)
	s_or_b32 exec_lo, exec_lo, s21
.LBB407_444:                            ;   in Loop: Header=BB407_13 Depth=1
	s_delay_alu instid0(SALU_CYCLE_1) | instskip(NEXT) | instid1(VALU_DEP_1)
	s_or_b32 exec_lo, exec_lo, s20
	v_mul_f32_e32 v28, v133, v28
	s_delay_alu instid0(VALU_DEP_1) | instskip(NEXT) | instid1(VALU_DEP_1)
	v_and_b32_e32 v57, 0x7f800000, v28
	v_cmp_ne_u32_e64 s2, 0x7f800000, v57
                                        ; implicit-def: $vgpr57
	s_delay_alu instid0(VALU_DEP_1) | instskip(NEXT) | instid1(SALU_CYCLE_1)
	s_and_saveexec_b32 s20, s2
	s_xor_b32 s2, exec_lo, s20
; %bb.445:                              ;   in Loop: Header=BB407_13 Depth=1
	v_bfe_u32 v57, v28, 16, 1
	s_delay_alu instid0(VALU_DEP_1)
	v_add3_u32 v57, v28, v57, 0x7fff
                                        ; implicit-def: $vgpr28
; %bb.446:                              ;   in Loop: Header=BB407_13 Depth=1
	s_and_not1_saveexec_b32 s20, s2
; %bb.447:                              ;   in Loop: Header=BB407_13 Depth=1
	v_and_b32_e32 v57, 0xffff, v28
	v_or_b32_e32 v58, 0x10000, v28
	s_delay_alu instid0(VALU_DEP_2) | instskip(NEXT) | instid1(VALU_DEP_1)
	v_cmp_eq_u32_e64 s2, 0, v57
	v_cndmask_b32_e64 v57, v58, v28, s2
; %bb.448:                              ;   in Loop: Header=BB407_13 Depth=1
	s_or_b32 exec_lo, exec_lo, s20
	flat_load_b32 v61, v[80:81] offset:1032
	v_mov_b32_e32 v28, 0
	s_mov_b32 s20, exec_lo
	s_waitcnt vmcnt(0) lgkmcnt(0)
	v_and_b32_e32 v58, 0xff, v61
	s_delay_alu instid0(VALU_DEP_1)
	v_cmpx_ne_u16_e32 0, v58
	s_cbranch_execz .LBB407_456
; %bb.449:                              ;   in Loop: Header=BB407_13 Depth=1
	v_bfrev_b32_e32 v28, 1
	s_mov_b32 s21, exec_lo
	v_cmpx_ne_u16_e32 0x80, v58
	s_cbranch_execz .LBB407_455
; %bb.450:                              ;   in Loop: Header=BB407_13 Depth=1
	v_and_b32_e32 v59, 0x7f, v61
	v_mov_b32_e32 v28, 0x7f800001
	s_mov_b32 s22, exec_lo
	s_delay_alu instid0(VALU_DEP_2)
	v_cmpx_ne_u32_e32 0x7f, v59
	s_cbranch_execz .LBB407_454
; %bb.451:                              ;   in Loop: Header=BB407_13 Depth=1
	v_and_b32_e32 v28, 7, v61
	v_lshrrev_b32_e32 v58, 3, v59
	s_mov_b32 s23, exec_lo
	v_cmpx_gt_u32_e32 8, v59
; %bb.452:                              ;   in Loop: Header=BB407_13 Depth=1
	s_delay_alu instid0(VALU_DEP_3) | instskip(NEXT) | instid1(VALU_DEP_1)
	v_clz_i32_u32_e32 v58, v28
	v_min_u32_e32 v58, 32, v58
	s_delay_alu instid0(VALU_DEP_1) | instskip(SKIP_1) | instid1(VALU_DEP_2)
	v_subrev_nc_u32_e32 v59, 28, v58
	v_sub_nc_u32_e32 v58, 29, v58
	v_lshlrev_b64 v[59:60], v59, v[28:29]
	s_delay_alu instid0(VALU_DEP_1)
	v_and_b32_e32 v28, 7, v59
; %bb.453:                              ;   in Loop: Header=BB407_13 Depth=1
	s_or_b32 exec_lo, exec_lo, s23
	v_lshlrev_b32_e32 v59, 24, v61
	s_delay_alu instid0(VALU_DEP_2) | instskip(SKIP_1) | instid1(VALU_DEP_3)
	v_lshlrev_b32_e32 v28, 20, v28
	v_lshl_add_u32 v58, v58, 23, 0x3c000000
	v_and_b32_e32 v59, 0x80000000, v59
	s_delay_alu instid0(VALU_DEP_1)
	v_or3_b32 v28, v28, v59, v58
.LBB407_454:                            ;   in Loop: Header=BB407_13 Depth=1
	s_or_b32 exec_lo, exec_lo, s22
.LBB407_455:                            ;   in Loop: Header=BB407_13 Depth=1
	s_delay_alu instid0(SALU_CYCLE_1)
	s_or_b32 exec_lo, exec_lo, s21
.LBB407_456:                            ;   in Loop: Header=BB407_13 Depth=1
	s_delay_alu instid0(SALU_CYCLE_1) | instskip(NEXT) | instid1(VALU_DEP_1)
	s_or_b32 exec_lo, exec_lo, s20
	v_mul_f32_e32 v28, v133, v28
	s_delay_alu instid0(VALU_DEP_1) | instskip(NEXT) | instid1(VALU_DEP_1)
	v_and_b32_e32 v58, 0x7f800000, v28
	v_cmp_ne_u32_e64 s2, 0x7f800000, v58
                                        ; implicit-def: $vgpr58
	s_delay_alu instid0(VALU_DEP_1) | instskip(NEXT) | instid1(SALU_CYCLE_1)
	s_and_saveexec_b32 s20, s2
	s_xor_b32 s2, exec_lo, s20
; %bb.457:                              ;   in Loop: Header=BB407_13 Depth=1
	v_bfe_u32 v58, v28, 16, 1
	s_delay_alu instid0(VALU_DEP_1)
	v_add3_u32 v58, v28, v58, 0x7fff
                                        ; implicit-def: $vgpr28
; %bb.458:                              ;   in Loop: Header=BB407_13 Depth=1
	s_and_not1_saveexec_b32 s20, s2
; %bb.459:                              ;   in Loop: Header=BB407_13 Depth=1
	v_and_b32_e32 v58, 0xffff, v28
	v_or_b32_e32 v59, 0x10000, v28
	s_delay_alu instid0(VALU_DEP_2) | instskip(NEXT) | instid1(VALU_DEP_1)
	v_cmp_eq_u32_e64 s2, 0, v58
	v_cndmask_b32_e64 v58, v59, v28, s2
; %bb.460:                              ;   in Loop: Header=BB407_13 Depth=1
	s_or_b32 exec_lo, exec_lo, s20
	v_lshrrev_b16 v59, 8, v61
	v_mov_b32_e32 v28, 0
	s_mov_b32 s20, exec_lo
	s_delay_alu instid0(VALU_DEP_2)
	v_cmpx_ne_u16_e32 0, v59
	s_cbranch_execz .LBB407_468
; %bb.461:                              ;   in Loop: Header=BB407_13 Depth=1
	v_bfrev_b32_e32 v28, 1
	s_mov_b32 s21, exec_lo
	v_cmpx_ne_u16_e32 0x80, v59
	s_cbranch_execz .LBB407_467
; %bb.462:                              ;   in Loop: Header=BB407_13 Depth=1
	v_and_b32_e32 v59, 0xffff, v59
	v_mov_b32_e32 v28, 0x7f800001
	s_mov_b32 s22, exec_lo
	s_delay_alu instid0(VALU_DEP_2) | instskip(NEXT) | instid1(VALU_DEP_1)
	v_and_b32_e32 v60, 0x7f, v59
	v_cmpx_ne_u32_e32 0x7f, v60
	s_cbranch_execz .LBB407_466
; %bb.463:                              ;   in Loop: Header=BB407_13 Depth=1
	v_and_b32_e32 v28, 7, v59
	v_lshrrev_b32_e32 v59, 3, v60
	s_mov_b32 s23, exec_lo
	v_cmpx_gt_u32_e32 8, v60
; %bb.464:                              ;   in Loop: Header=BB407_13 Depth=1
	s_delay_alu instid0(VALU_DEP_3) | instskip(NEXT) | instid1(VALU_DEP_1)
	v_clz_i32_u32_e32 v59, v28
	v_min_u32_e32 v59, 32, v59
	s_delay_alu instid0(VALU_DEP_1) | instskip(SKIP_1) | instid1(VALU_DEP_2)
	v_subrev_nc_u32_e32 v60, 28, v59
	v_sub_nc_u32_e32 v59, 29, v59
	v_lshlrev_b64 v[62:63], v60, v[28:29]
	s_delay_alu instid0(VALU_DEP_1)
	v_and_b32_e32 v28, 7, v62
; %bb.465:                              ;   in Loop: Header=BB407_13 Depth=1
	s_or_b32 exec_lo, exec_lo, s23
	v_lshlrev_b32_e32 v60, 16, v61
	s_delay_alu instid0(VALU_DEP_2) | instskip(SKIP_1) | instid1(VALU_DEP_3)
	v_lshlrev_b32_e32 v28, 20, v28
	v_lshl_add_u32 v59, v59, 23, 0x3c000000
	v_and_b32_e32 v60, 0x80000000, v60
	s_delay_alu instid0(VALU_DEP_1)
	v_or3_b32 v28, v28, v60, v59
.LBB407_466:                            ;   in Loop: Header=BB407_13 Depth=1
	s_or_b32 exec_lo, exec_lo, s22
.LBB407_467:                            ;   in Loop: Header=BB407_13 Depth=1
	s_delay_alu instid0(SALU_CYCLE_1)
	s_or_b32 exec_lo, exec_lo, s21
.LBB407_468:                            ;   in Loop: Header=BB407_13 Depth=1
	s_delay_alu instid0(SALU_CYCLE_1) | instskip(NEXT) | instid1(VALU_DEP_1)
	s_or_b32 exec_lo, exec_lo, s20
	v_mul_f32_e32 v28, v133, v28
	s_delay_alu instid0(VALU_DEP_1) | instskip(NEXT) | instid1(VALU_DEP_1)
	v_and_b32_e32 v59, 0x7f800000, v28
	v_cmp_ne_u32_e64 s2, 0x7f800000, v59
                                        ; implicit-def: $vgpr59
	s_delay_alu instid0(VALU_DEP_1) | instskip(NEXT) | instid1(SALU_CYCLE_1)
	s_and_saveexec_b32 s20, s2
	s_xor_b32 s2, exec_lo, s20
; %bb.469:                              ;   in Loop: Header=BB407_13 Depth=1
	v_bfe_u32 v59, v28, 16, 1
	s_delay_alu instid0(VALU_DEP_1)
	v_add3_u32 v59, v28, v59, 0x7fff
                                        ; implicit-def: $vgpr28
; %bb.470:                              ;   in Loop: Header=BB407_13 Depth=1
	s_and_not1_saveexec_b32 s20, s2
; %bb.471:                              ;   in Loop: Header=BB407_13 Depth=1
	v_and_b32_e32 v59, 0xffff, v28
	v_or_b32_e32 v60, 0x10000, v28
	s_delay_alu instid0(VALU_DEP_2) | instskip(NEXT) | instid1(VALU_DEP_1)
	v_cmp_eq_u32_e64 s2, 0, v59
	v_cndmask_b32_e64 v59, v60, v28, s2
; %bb.472:                              ;   in Loop: Header=BB407_13 Depth=1
	s_or_b32 exec_lo, exec_lo, s20
	v_lshrrev_b32_e32 v60, 16, v61
	v_mov_b32_e32 v28, 0
	s_mov_b32 s20, exec_lo
	s_delay_alu instid0(VALU_DEP_2) | instskip(NEXT) | instid1(VALU_DEP_1)
	v_and_b32_e32 v62, 0xff, v60
	v_cmpx_ne_u16_e32 0, v62
	s_cbranch_execz .LBB407_480
; %bb.473:                              ;   in Loop: Header=BB407_13 Depth=1
	v_bfrev_b32_e32 v28, 1
	s_mov_b32 s21, exec_lo
	v_cmpx_ne_u16_e32 0x80, v62
	s_cbranch_execz .LBB407_479
; %bb.474:                              ;   in Loop: Header=BB407_13 Depth=1
	v_bfe_u32 v63, v61, 16, 7
	v_mov_b32_e32 v28, 0x7f800001
	s_mov_b32 s22, exec_lo
	s_delay_alu instid0(VALU_DEP_2)
	v_cmpx_ne_u32_e32 0x7f, v63
	s_cbranch_execz .LBB407_478
; %bb.475:                              ;   in Loop: Header=BB407_13 Depth=1
	v_and_b32_e32 v28, 7, v60
	v_lshrrev_b32_e32 v62, 3, v63
	s_mov_b32 s23, exec_lo
	v_cmpx_gt_u32_e32 8, v63
; %bb.476:                              ;   in Loop: Header=BB407_13 Depth=1
	s_delay_alu instid0(VALU_DEP_3) | instskip(NEXT) | instid1(VALU_DEP_1)
	v_clz_i32_u32_e32 v62, v28
	v_min_u32_e32 v62, 32, v62
	s_delay_alu instid0(VALU_DEP_1) | instskip(SKIP_1) | instid1(VALU_DEP_2)
	v_subrev_nc_u32_e32 v63, 28, v62
	v_sub_nc_u32_e32 v62, 29, v62
	v_lshlrev_b64 v[72:73], v63, v[28:29]
	s_delay_alu instid0(VALU_DEP_1)
	v_and_b32_e32 v28, 7, v72
; %bb.477:                              ;   in Loop: Header=BB407_13 Depth=1
	s_or_b32 exec_lo, exec_lo, s23
	v_lshlrev_b32_e32 v60, 24, v60
	s_delay_alu instid0(VALU_DEP_2) | instskip(SKIP_1) | instid1(VALU_DEP_3)
	v_lshlrev_b32_e32 v28, 20, v28
	v_lshl_add_u32 v62, v62, 23, 0x3c000000
	v_and_b32_e32 v60, 0x80000000, v60
	s_delay_alu instid0(VALU_DEP_1)
	v_or3_b32 v28, v28, v60, v62
.LBB407_478:                            ;   in Loop: Header=BB407_13 Depth=1
	s_or_b32 exec_lo, exec_lo, s22
.LBB407_479:                            ;   in Loop: Header=BB407_13 Depth=1
	s_delay_alu instid0(SALU_CYCLE_1)
	s_or_b32 exec_lo, exec_lo, s21
.LBB407_480:                            ;   in Loop: Header=BB407_13 Depth=1
	s_delay_alu instid0(SALU_CYCLE_1) | instskip(NEXT) | instid1(VALU_DEP_1)
	s_or_b32 exec_lo, exec_lo, s20
	v_mul_f32_e32 v28, v133, v28
	s_delay_alu instid0(VALU_DEP_1) | instskip(NEXT) | instid1(VALU_DEP_1)
	v_and_b32_e32 v60, 0x7f800000, v28
	v_cmp_ne_u32_e64 s2, 0x7f800000, v60
                                        ; implicit-def: $vgpr60
	s_delay_alu instid0(VALU_DEP_1) | instskip(NEXT) | instid1(SALU_CYCLE_1)
	s_and_saveexec_b32 s20, s2
	s_xor_b32 s2, exec_lo, s20
; %bb.481:                              ;   in Loop: Header=BB407_13 Depth=1
	v_bfe_u32 v60, v28, 16, 1
	s_delay_alu instid0(VALU_DEP_1)
	v_add3_u32 v60, v28, v60, 0x7fff
                                        ; implicit-def: $vgpr28
; %bb.482:                              ;   in Loop: Header=BB407_13 Depth=1
	s_and_not1_saveexec_b32 s20, s2
; %bb.483:                              ;   in Loop: Header=BB407_13 Depth=1
	v_and_b32_e32 v60, 0xffff, v28
	v_or_b32_e32 v62, 0x10000, v28
	s_delay_alu instid0(VALU_DEP_2) | instskip(NEXT) | instid1(VALU_DEP_1)
	v_cmp_eq_u32_e64 s2, 0, v60
	v_cndmask_b32_e64 v60, v62, v28, s2
; %bb.484:                              ;   in Loop: Header=BB407_13 Depth=1
	s_or_b32 exec_lo, exec_lo, s20
	v_mov_b32_e32 v28, 0
	s_mov_b32 s20, exec_lo
	v_cmpx_lt_u32_e32 0xffffff, v61
	s_cbranch_execz .LBB407_492
; %bb.485:                              ;   in Loop: Header=BB407_13 Depth=1
	v_lshrrev_b32_e32 v62, 24, v61
	v_bfrev_b32_e32 v28, 1
	s_mov_b32 s21, exec_lo
	s_delay_alu instid0(VALU_DEP_2)
	v_cmpx_ne_u32_e32 0x80, v62
	s_cbranch_execz .LBB407_491
; %bb.486:                              ;   in Loop: Header=BB407_13 Depth=1
	v_bfe_u32 v63, v61, 24, 7
	v_mov_b32_e32 v28, 0x7f800001
	s_mov_b32 s22, exec_lo
	s_delay_alu instid0(VALU_DEP_2)
	v_cmpx_ne_u32_e32 0x7f, v63
	s_cbranch_execz .LBB407_490
; %bb.487:                              ;   in Loop: Header=BB407_13 Depth=1
	v_and_b32_e32 v28, 7, v62
	v_lshrrev_b32_e32 v61, 3, v63
	s_mov_b32 s23, exec_lo
	v_cmpx_gt_u32_e32 8, v63
; %bb.488:                              ;   in Loop: Header=BB407_13 Depth=1
	s_delay_alu instid0(VALU_DEP_3) | instskip(NEXT) | instid1(VALU_DEP_1)
	v_clz_i32_u32_e32 v61, v28
	v_min_u32_e32 v61, 32, v61
	s_delay_alu instid0(VALU_DEP_1) | instskip(SKIP_1) | instid1(VALU_DEP_2)
	v_subrev_nc_u32_e32 v63, 28, v61
	v_sub_nc_u32_e32 v61, 29, v61
	v_lshlrev_b64 v[72:73], v63, v[28:29]
	s_delay_alu instid0(VALU_DEP_1)
	v_and_b32_e32 v28, 7, v72
; %bb.489:                              ;   in Loop: Header=BB407_13 Depth=1
	s_or_b32 exec_lo, exec_lo, s23
	v_lshlrev_b32_e32 v62, 24, v62
	s_delay_alu instid0(VALU_DEP_2) | instskip(SKIP_1) | instid1(VALU_DEP_3)
	v_lshlrev_b32_e32 v28, 20, v28
	v_lshl_add_u32 v61, v61, 23, 0x3c000000
	v_and_b32_e32 v62, 0x80000000, v62
	s_delay_alu instid0(VALU_DEP_1)
	v_or3_b32 v28, v28, v62, v61
.LBB407_490:                            ;   in Loop: Header=BB407_13 Depth=1
	s_or_b32 exec_lo, exec_lo, s22
.LBB407_491:                            ;   in Loop: Header=BB407_13 Depth=1
	s_delay_alu instid0(SALU_CYCLE_1)
	s_or_b32 exec_lo, exec_lo, s21
.LBB407_492:                            ;   in Loop: Header=BB407_13 Depth=1
	s_delay_alu instid0(SALU_CYCLE_1) | instskip(NEXT) | instid1(VALU_DEP_1)
	s_or_b32 exec_lo, exec_lo, s20
	v_mul_f32_e32 v28, v133, v28
	s_delay_alu instid0(VALU_DEP_1) | instskip(NEXT) | instid1(VALU_DEP_1)
	v_and_b32_e32 v61, 0x7f800000, v28
	v_cmp_ne_u32_e64 s2, 0x7f800000, v61
                                        ; implicit-def: $vgpr61
	s_delay_alu instid0(VALU_DEP_1) | instskip(NEXT) | instid1(SALU_CYCLE_1)
	s_and_saveexec_b32 s20, s2
	s_xor_b32 s2, exec_lo, s20
; %bb.493:                              ;   in Loop: Header=BB407_13 Depth=1
	v_bfe_u32 v61, v28, 16, 1
	s_delay_alu instid0(VALU_DEP_1)
	v_add3_u32 v61, v28, v61, 0x7fff
                                        ; implicit-def: $vgpr28
; %bb.494:                              ;   in Loop: Header=BB407_13 Depth=1
	s_and_not1_saveexec_b32 s20, s2
; %bb.495:                              ;   in Loop: Header=BB407_13 Depth=1
	v_and_b32_e32 v61, 0xffff, v28
	v_or_b32_e32 v62, 0x10000, v28
	s_delay_alu instid0(VALU_DEP_2) | instskip(NEXT) | instid1(VALU_DEP_1)
	v_cmp_eq_u32_e64 s2, 0, v61
	v_cndmask_b32_e64 v61, v62, v28, s2
; %bb.496:                              ;   in Loop: Header=BB407_13 Depth=1
	s_or_b32 exec_lo, exec_lo, s20
	flat_load_b32 v73, v[80:81] offset:1280
	v_mov_b32_e32 v28, 0
	s_mov_b32 s20, exec_lo
	s_waitcnt vmcnt(0) lgkmcnt(0)
	v_and_b32_e32 v62, 0xff, v73
	s_delay_alu instid0(VALU_DEP_1)
	v_cmpx_ne_u16_e32 0, v62
	s_cbranch_execz .LBB407_504
; %bb.497:                              ;   in Loop: Header=BB407_13 Depth=1
	v_bfrev_b32_e32 v28, 1
	s_mov_b32 s21, exec_lo
	v_cmpx_ne_u16_e32 0x80, v62
	s_cbranch_execz .LBB407_503
; %bb.498:                              ;   in Loop: Header=BB407_13 Depth=1
	v_and_b32_e32 v63, 0x7f, v73
	v_mov_b32_e32 v28, 0x7f800001
	s_mov_b32 s22, exec_lo
	s_delay_alu instid0(VALU_DEP_2)
	v_cmpx_ne_u32_e32 0x7f, v63
	s_cbranch_execz .LBB407_502
; %bb.499:                              ;   in Loop: Header=BB407_13 Depth=1
	v_and_b32_e32 v28, 7, v73
	v_lshrrev_b32_e32 v62, 3, v63
	s_mov_b32 s23, exec_lo
	v_cmpx_gt_u32_e32 8, v63
; %bb.500:                              ;   in Loop: Header=BB407_13 Depth=1
	s_delay_alu instid0(VALU_DEP_3) | instskip(NEXT) | instid1(VALU_DEP_1)
	v_clz_i32_u32_e32 v62, v28
	v_min_u32_e32 v62, 32, v62
	s_delay_alu instid0(VALU_DEP_1) | instskip(SKIP_1) | instid1(VALU_DEP_2)
	v_subrev_nc_u32_e32 v63, 28, v62
	v_sub_nc_u32_e32 v62, 29, v62
	v_lshlrev_b64 v[74:75], v63, v[28:29]
	s_delay_alu instid0(VALU_DEP_1)
	v_and_b32_e32 v28, 7, v74
; %bb.501:                              ;   in Loop: Header=BB407_13 Depth=1
	s_or_b32 exec_lo, exec_lo, s23
	v_lshlrev_b32_e32 v63, 24, v73
	s_delay_alu instid0(VALU_DEP_2) | instskip(SKIP_1) | instid1(VALU_DEP_3)
	v_lshlrev_b32_e32 v28, 20, v28
	v_lshl_add_u32 v62, v62, 23, 0x3c000000
	v_and_b32_e32 v63, 0x80000000, v63
	s_delay_alu instid0(VALU_DEP_1)
	v_or3_b32 v28, v28, v63, v62
.LBB407_502:                            ;   in Loop: Header=BB407_13 Depth=1
	s_or_b32 exec_lo, exec_lo, s22
.LBB407_503:                            ;   in Loop: Header=BB407_13 Depth=1
	s_delay_alu instid0(SALU_CYCLE_1)
	s_or_b32 exec_lo, exec_lo, s21
.LBB407_504:                            ;   in Loop: Header=BB407_13 Depth=1
	s_delay_alu instid0(SALU_CYCLE_1) | instskip(NEXT) | instid1(VALU_DEP_1)
	s_or_b32 exec_lo, exec_lo, s20
	v_mul_f32_e32 v28, v133, v28
	s_delay_alu instid0(VALU_DEP_1) | instskip(NEXT) | instid1(VALU_DEP_1)
	v_and_b32_e32 v62, 0x7f800000, v28
	v_cmp_ne_u32_e64 s2, 0x7f800000, v62
                                        ; implicit-def: $vgpr62
	s_delay_alu instid0(VALU_DEP_1) | instskip(NEXT) | instid1(SALU_CYCLE_1)
	s_and_saveexec_b32 s20, s2
	s_xor_b32 s2, exec_lo, s20
; %bb.505:                              ;   in Loop: Header=BB407_13 Depth=1
	v_bfe_u32 v62, v28, 16, 1
	s_delay_alu instid0(VALU_DEP_1)
	v_add3_u32 v62, v28, v62, 0x7fff
                                        ; implicit-def: $vgpr28
; %bb.506:                              ;   in Loop: Header=BB407_13 Depth=1
	s_and_not1_saveexec_b32 s20, s2
; %bb.507:                              ;   in Loop: Header=BB407_13 Depth=1
	v_and_b32_e32 v62, 0xffff, v28
	v_or_b32_e32 v63, 0x10000, v28
	s_delay_alu instid0(VALU_DEP_2) | instskip(NEXT) | instid1(VALU_DEP_1)
	v_cmp_eq_u32_e64 s2, 0, v62
	v_cndmask_b32_e64 v62, v63, v28, s2
; %bb.508:                              ;   in Loop: Header=BB407_13 Depth=1
	s_or_b32 exec_lo, exec_lo, s20
	v_lshrrev_b16 v63, 8, v73
	v_mov_b32_e32 v28, 0
	s_mov_b32 s20, exec_lo
	s_delay_alu instid0(VALU_DEP_2)
	v_cmpx_ne_u16_e32 0, v63
	s_cbranch_execz .LBB407_516
; %bb.509:                              ;   in Loop: Header=BB407_13 Depth=1
	v_bfrev_b32_e32 v28, 1
	s_mov_b32 s21, exec_lo
	v_cmpx_ne_u16_e32 0x80, v63
	s_cbranch_execz .LBB407_515
; %bb.510:                              ;   in Loop: Header=BB407_13 Depth=1
	v_and_b32_e32 v63, 0xffff, v63
	v_mov_b32_e32 v28, 0x7f800001
	s_mov_b32 s22, exec_lo
	s_delay_alu instid0(VALU_DEP_2) | instskip(NEXT) | instid1(VALU_DEP_1)
	v_and_b32_e32 v72, 0x7f, v63
	v_cmpx_ne_u32_e32 0x7f, v72
	s_cbranch_execz .LBB407_514
; %bb.511:                              ;   in Loop: Header=BB407_13 Depth=1
	v_and_b32_e32 v28, 7, v63
	v_lshrrev_b32_e32 v63, 3, v72
	s_mov_b32 s23, exec_lo
	v_cmpx_gt_u32_e32 8, v72
; %bb.512:                              ;   in Loop: Header=BB407_13 Depth=1
	s_delay_alu instid0(VALU_DEP_3) | instskip(NEXT) | instid1(VALU_DEP_1)
	v_clz_i32_u32_e32 v63, v28
	v_min_u32_e32 v63, 32, v63
	s_delay_alu instid0(VALU_DEP_1) | instskip(SKIP_1) | instid1(VALU_DEP_2)
	v_subrev_nc_u32_e32 v72, 28, v63
	v_sub_nc_u32_e32 v63, 29, v63
	v_lshlrev_b64 v[74:75], v72, v[28:29]
	s_delay_alu instid0(VALU_DEP_1)
	v_and_b32_e32 v28, 7, v74
; %bb.513:                              ;   in Loop: Header=BB407_13 Depth=1
	s_or_b32 exec_lo, exec_lo, s23
	v_lshlrev_b32_e32 v72, 16, v73
	s_delay_alu instid0(VALU_DEP_2) | instskip(SKIP_1) | instid1(VALU_DEP_3)
	v_lshlrev_b32_e32 v28, 20, v28
	v_lshl_add_u32 v63, v63, 23, 0x3c000000
	v_and_b32_e32 v72, 0x80000000, v72
	s_delay_alu instid0(VALU_DEP_1)
	v_or3_b32 v28, v28, v72, v63
.LBB407_514:                            ;   in Loop: Header=BB407_13 Depth=1
	s_or_b32 exec_lo, exec_lo, s22
.LBB407_515:                            ;   in Loop: Header=BB407_13 Depth=1
	s_delay_alu instid0(SALU_CYCLE_1)
	s_or_b32 exec_lo, exec_lo, s21
.LBB407_516:                            ;   in Loop: Header=BB407_13 Depth=1
	s_delay_alu instid0(SALU_CYCLE_1) | instskip(NEXT) | instid1(VALU_DEP_1)
	s_or_b32 exec_lo, exec_lo, s20
	v_mul_f32_e32 v28, v133, v28
	s_delay_alu instid0(VALU_DEP_1) | instskip(NEXT) | instid1(VALU_DEP_1)
	v_and_b32_e32 v63, 0x7f800000, v28
	v_cmp_ne_u32_e64 s2, 0x7f800000, v63
                                        ; implicit-def: $vgpr63
	s_delay_alu instid0(VALU_DEP_1) | instskip(NEXT) | instid1(SALU_CYCLE_1)
	s_and_saveexec_b32 s20, s2
	s_xor_b32 s2, exec_lo, s20
; %bb.517:                              ;   in Loop: Header=BB407_13 Depth=1
	v_bfe_u32 v63, v28, 16, 1
	s_delay_alu instid0(VALU_DEP_1)
	v_add3_u32 v63, v28, v63, 0x7fff
                                        ; implicit-def: $vgpr28
; %bb.518:                              ;   in Loop: Header=BB407_13 Depth=1
	s_and_not1_saveexec_b32 s20, s2
; %bb.519:                              ;   in Loop: Header=BB407_13 Depth=1
	v_and_b32_e32 v63, 0xffff, v28
	v_or_b32_e32 v72, 0x10000, v28
	s_delay_alu instid0(VALU_DEP_2) | instskip(NEXT) | instid1(VALU_DEP_1)
	v_cmp_eq_u32_e64 s2, 0, v63
	v_cndmask_b32_e64 v63, v72, v28, s2
; %bb.520:                              ;   in Loop: Header=BB407_13 Depth=1
	s_or_b32 exec_lo, exec_lo, s20
	v_lshrrev_b32_e32 v72, 16, v73
	v_mov_b32_e32 v28, 0
	s_mov_b32 s20, exec_lo
	s_delay_alu instid0(VALU_DEP_2) | instskip(NEXT) | instid1(VALU_DEP_1)
	v_and_b32_e32 v74, 0xff, v72
	v_cmpx_ne_u16_e32 0, v74
	s_cbranch_execz .LBB407_528
; %bb.521:                              ;   in Loop: Header=BB407_13 Depth=1
	v_bfrev_b32_e32 v28, 1
	s_mov_b32 s21, exec_lo
	v_cmpx_ne_u16_e32 0x80, v74
	s_cbranch_execz .LBB407_527
; %bb.522:                              ;   in Loop: Header=BB407_13 Depth=1
	v_bfe_u32 v75, v73, 16, 7
	v_mov_b32_e32 v28, 0x7f800001
	s_mov_b32 s22, exec_lo
	s_delay_alu instid0(VALU_DEP_2)
	v_cmpx_ne_u32_e32 0x7f, v75
	s_cbranch_execz .LBB407_526
; %bb.523:                              ;   in Loop: Header=BB407_13 Depth=1
	v_and_b32_e32 v28, 7, v72
	v_lshrrev_b32_e32 v74, 3, v75
	s_mov_b32 s23, exec_lo
	v_cmpx_gt_u32_e32 8, v75
; %bb.524:                              ;   in Loop: Header=BB407_13 Depth=1
	s_delay_alu instid0(VALU_DEP_3) | instskip(NEXT) | instid1(VALU_DEP_1)
	v_clz_i32_u32_e32 v74, v28
	v_min_u32_e32 v74, 32, v74
	s_delay_alu instid0(VALU_DEP_1) | instskip(SKIP_1) | instid1(VALU_DEP_2)
	v_subrev_nc_u32_e32 v75, 28, v74
	v_sub_nc_u32_e32 v74, 29, v74
	v_lshlrev_b64 v[75:76], v75, v[28:29]
	s_delay_alu instid0(VALU_DEP_1)
	v_and_b32_e32 v28, 7, v75
; %bb.525:                              ;   in Loop: Header=BB407_13 Depth=1
	s_or_b32 exec_lo, exec_lo, s23
	v_lshlrev_b32_e32 v72, 24, v72
	s_delay_alu instid0(VALU_DEP_2) | instskip(SKIP_1) | instid1(VALU_DEP_3)
	v_lshlrev_b32_e32 v28, 20, v28
	v_lshl_add_u32 v74, v74, 23, 0x3c000000
	v_and_b32_e32 v72, 0x80000000, v72
	s_delay_alu instid0(VALU_DEP_1)
	v_or3_b32 v28, v28, v72, v74
.LBB407_526:                            ;   in Loop: Header=BB407_13 Depth=1
	s_or_b32 exec_lo, exec_lo, s22
.LBB407_527:                            ;   in Loop: Header=BB407_13 Depth=1
	s_delay_alu instid0(SALU_CYCLE_1)
	s_or_b32 exec_lo, exec_lo, s21
.LBB407_528:                            ;   in Loop: Header=BB407_13 Depth=1
	s_delay_alu instid0(SALU_CYCLE_1) | instskip(NEXT) | instid1(VALU_DEP_1)
	s_or_b32 exec_lo, exec_lo, s20
	v_mul_f32_e32 v28, v133, v28
	s_delay_alu instid0(VALU_DEP_1) | instskip(NEXT) | instid1(VALU_DEP_1)
	v_and_b32_e32 v72, 0x7f800000, v28
	v_cmp_ne_u32_e64 s2, 0x7f800000, v72
                                        ; implicit-def: $vgpr72
	s_delay_alu instid0(VALU_DEP_1) | instskip(NEXT) | instid1(SALU_CYCLE_1)
	s_and_saveexec_b32 s20, s2
	s_xor_b32 s2, exec_lo, s20
; %bb.529:                              ;   in Loop: Header=BB407_13 Depth=1
	v_bfe_u32 v72, v28, 16, 1
	s_delay_alu instid0(VALU_DEP_1)
	v_add3_u32 v72, v28, v72, 0x7fff
                                        ; implicit-def: $vgpr28
; %bb.530:                              ;   in Loop: Header=BB407_13 Depth=1
	s_and_not1_saveexec_b32 s20, s2
; %bb.531:                              ;   in Loop: Header=BB407_13 Depth=1
	v_and_b32_e32 v72, 0xffff, v28
	v_or_b32_e32 v74, 0x10000, v28
	s_delay_alu instid0(VALU_DEP_2) | instskip(NEXT) | instid1(VALU_DEP_1)
	v_cmp_eq_u32_e64 s2, 0, v72
	v_cndmask_b32_e64 v72, v74, v28, s2
; %bb.532:                              ;   in Loop: Header=BB407_13 Depth=1
	s_or_b32 exec_lo, exec_lo, s20
	v_mov_b32_e32 v28, 0
	s_mov_b32 s20, exec_lo
	v_cmpx_lt_u32_e32 0xffffff, v73
	s_cbranch_execz .LBB407_540
; %bb.533:                              ;   in Loop: Header=BB407_13 Depth=1
	v_lshrrev_b32_e32 v74, 24, v73
	v_bfrev_b32_e32 v28, 1
	s_mov_b32 s21, exec_lo
	s_delay_alu instid0(VALU_DEP_2)
	v_cmpx_ne_u32_e32 0x80, v74
	s_cbranch_execz .LBB407_539
; %bb.534:                              ;   in Loop: Header=BB407_13 Depth=1
	v_bfe_u32 v75, v73, 24, 7
	v_mov_b32_e32 v28, 0x7f800001
	s_mov_b32 s22, exec_lo
	s_delay_alu instid0(VALU_DEP_2)
	v_cmpx_ne_u32_e32 0x7f, v75
	s_cbranch_execz .LBB407_538
; %bb.535:                              ;   in Loop: Header=BB407_13 Depth=1
	v_and_b32_e32 v28, 7, v74
	v_lshrrev_b32_e32 v73, 3, v75
	s_mov_b32 s23, exec_lo
	v_cmpx_gt_u32_e32 8, v75
; %bb.536:                              ;   in Loop: Header=BB407_13 Depth=1
	s_delay_alu instid0(VALU_DEP_3) | instskip(NEXT) | instid1(VALU_DEP_1)
	v_clz_i32_u32_e32 v73, v28
	v_min_u32_e32 v73, 32, v73
	s_delay_alu instid0(VALU_DEP_1) | instskip(SKIP_1) | instid1(VALU_DEP_2)
	v_subrev_nc_u32_e32 v75, 28, v73
	v_sub_nc_u32_e32 v73, 29, v73
	v_lshlrev_b64 v[75:76], v75, v[28:29]
	s_delay_alu instid0(VALU_DEP_1)
	v_and_b32_e32 v28, 7, v75
; %bb.537:                              ;   in Loop: Header=BB407_13 Depth=1
	s_or_b32 exec_lo, exec_lo, s23
	v_lshlrev_b32_e32 v74, 24, v74
	s_delay_alu instid0(VALU_DEP_2) | instskip(SKIP_1) | instid1(VALU_DEP_3)
	v_lshlrev_b32_e32 v28, 20, v28
	v_lshl_add_u32 v73, v73, 23, 0x3c000000
	v_and_b32_e32 v74, 0x80000000, v74
	s_delay_alu instid0(VALU_DEP_1)
	v_or3_b32 v28, v28, v74, v73
.LBB407_538:                            ;   in Loop: Header=BB407_13 Depth=1
	s_or_b32 exec_lo, exec_lo, s22
.LBB407_539:                            ;   in Loop: Header=BB407_13 Depth=1
	s_delay_alu instid0(SALU_CYCLE_1)
	s_or_b32 exec_lo, exec_lo, s21
.LBB407_540:                            ;   in Loop: Header=BB407_13 Depth=1
	s_delay_alu instid0(SALU_CYCLE_1) | instskip(NEXT) | instid1(VALU_DEP_1)
	s_or_b32 exec_lo, exec_lo, s20
	v_mul_f32_e32 v28, v133, v28
	s_delay_alu instid0(VALU_DEP_1) | instskip(NEXT) | instid1(VALU_DEP_1)
	v_and_b32_e32 v73, 0x7f800000, v28
	v_cmp_ne_u32_e64 s2, 0x7f800000, v73
                                        ; implicit-def: $vgpr73
	s_delay_alu instid0(VALU_DEP_1) | instskip(NEXT) | instid1(SALU_CYCLE_1)
	s_and_saveexec_b32 s20, s2
	s_xor_b32 s2, exec_lo, s20
; %bb.541:                              ;   in Loop: Header=BB407_13 Depth=1
	v_bfe_u32 v73, v28, 16, 1
	s_delay_alu instid0(VALU_DEP_1)
	v_add3_u32 v73, v28, v73, 0x7fff
                                        ; implicit-def: $vgpr28
; %bb.542:                              ;   in Loop: Header=BB407_13 Depth=1
	s_and_not1_saveexec_b32 s20, s2
; %bb.543:                              ;   in Loop: Header=BB407_13 Depth=1
	v_and_b32_e32 v73, 0xffff, v28
	v_or_b32_e32 v74, 0x10000, v28
	s_delay_alu instid0(VALU_DEP_2) | instskip(NEXT) | instid1(VALU_DEP_1)
	v_cmp_eq_u32_e64 s2, 0, v73
	v_cndmask_b32_e64 v73, v74, v28, s2
; %bb.544:                              ;   in Loop: Header=BB407_13 Depth=1
	s_or_b32 exec_lo, exec_lo, s20
	flat_load_b32 v77, v[80:81] offset:1288
	v_mov_b32_e32 v28, 0
	s_mov_b32 s20, exec_lo
	s_waitcnt vmcnt(0) lgkmcnt(0)
	v_and_b32_e32 v74, 0xff, v77
	s_delay_alu instid0(VALU_DEP_1)
	v_cmpx_ne_u16_e32 0, v74
	s_cbranch_execz .LBB407_552
; %bb.545:                              ;   in Loop: Header=BB407_13 Depth=1
	v_bfrev_b32_e32 v28, 1
	s_mov_b32 s21, exec_lo
	v_cmpx_ne_u16_e32 0x80, v74
	s_cbranch_execz .LBB407_551
; %bb.546:                              ;   in Loop: Header=BB407_13 Depth=1
	v_and_b32_e32 v75, 0x7f, v77
	v_mov_b32_e32 v28, 0x7f800001
	s_mov_b32 s22, exec_lo
	s_delay_alu instid0(VALU_DEP_2)
	v_cmpx_ne_u32_e32 0x7f, v75
	s_cbranch_execz .LBB407_550
; %bb.547:                              ;   in Loop: Header=BB407_13 Depth=1
	v_and_b32_e32 v28, 7, v77
	v_lshrrev_b32_e32 v74, 3, v75
	s_mov_b32 s23, exec_lo
	v_cmpx_gt_u32_e32 8, v75
; %bb.548:                              ;   in Loop: Header=BB407_13 Depth=1
	s_delay_alu instid0(VALU_DEP_3) | instskip(NEXT) | instid1(VALU_DEP_1)
	v_clz_i32_u32_e32 v74, v28
	v_min_u32_e32 v74, 32, v74
	s_delay_alu instid0(VALU_DEP_1) | instskip(SKIP_1) | instid1(VALU_DEP_2)
	v_subrev_nc_u32_e32 v75, 28, v74
	v_sub_nc_u32_e32 v74, 29, v74
	v_lshlrev_b64 v[75:76], v75, v[28:29]
	s_delay_alu instid0(VALU_DEP_1)
	v_and_b32_e32 v28, 7, v75
; %bb.549:                              ;   in Loop: Header=BB407_13 Depth=1
	s_or_b32 exec_lo, exec_lo, s23
	v_lshlrev_b32_e32 v75, 24, v77
	s_delay_alu instid0(VALU_DEP_2) | instskip(SKIP_1) | instid1(VALU_DEP_3)
	v_lshlrev_b32_e32 v28, 20, v28
	v_lshl_add_u32 v74, v74, 23, 0x3c000000
	v_and_b32_e32 v75, 0x80000000, v75
	s_delay_alu instid0(VALU_DEP_1)
	v_or3_b32 v28, v28, v75, v74
.LBB407_550:                            ;   in Loop: Header=BB407_13 Depth=1
	s_or_b32 exec_lo, exec_lo, s22
.LBB407_551:                            ;   in Loop: Header=BB407_13 Depth=1
	s_delay_alu instid0(SALU_CYCLE_1)
	s_or_b32 exec_lo, exec_lo, s21
.LBB407_552:                            ;   in Loop: Header=BB407_13 Depth=1
	s_delay_alu instid0(SALU_CYCLE_1) | instskip(NEXT) | instid1(VALU_DEP_1)
	s_or_b32 exec_lo, exec_lo, s20
	v_mul_f32_e32 v28, v133, v28
	s_delay_alu instid0(VALU_DEP_1) | instskip(NEXT) | instid1(VALU_DEP_1)
	v_and_b32_e32 v74, 0x7f800000, v28
	v_cmp_ne_u32_e64 s2, 0x7f800000, v74
                                        ; implicit-def: $vgpr74
	s_delay_alu instid0(VALU_DEP_1) | instskip(NEXT) | instid1(SALU_CYCLE_1)
	s_and_saveexec_b32 s20, s2
	s_xor_b32 s2, exec_lo, s20
; %bb.553:                              ;   in Loop: Header=BB407_13 Depth=1
	v_bfe_u32 v74, v28, 16, 1
	s_delay_alu instid0(VALU_DEP_1)
	v_add3_u32 v74, v28, v74, 0x7fff
                                        ; implicit-def: $vgpr28
; %bb.554:                              ;   in Loop: Header=BB407_13 Depth=1
	s_and_not1_saveexec_b32 s20, s2
; %bb.555:                              ;   in Loop: Header=BB407_13 Depth=1
	v_and_b32_e32 v74, 0xffff, v28
	v_or_b32_e32 v75, 0x10000, v28
	s_delay_alu instid0(VALU_DEP_2) | instskip(NEXT) | instid1(VALU_DEP_1)
	v_cmp_eq_u32_e64 s2, 0, v74
	v_cndmask_b32_e64 v74, v75, v28, s2
; %bb.556:                              ;   in Loop: Header=BB407_13 Depth=1
	s_or_b32 exec_lo, exec_lo, s20
	v_lshrrev_b16 v75, 8, v77
	v_mov_b32_e32 v28, 0
	s_mov_b32 s20, exec_lo
	s_delay_alu instid0(VALU_DEP_2)
	v_cmpx_ne_u16_e32 0, v75
	s_cbranch_execz .LBB407_564
; %bb.557:                              ;   in Loop: Header=BB407_13 Depth=1
	v_bfrev_b32_e32 v28, 1
	s_mov_b32 s21, exec_lo
	v_cmpx_ne_u16_e32 0x80, v75
	s_cbranch_execz .LBB407_563
; %bb.558:                              ;   in Loop: Header=BB407_13 Depth=1
	v_and_b32_e32 v75, 0xffff, v75
	v_mov_b32_e32 v28, 0x7f800001
	s_mov_b32 s22, exec_lo
	s_delay_alu instid0(VALU_DEP_2) | instskip(NEXT) | instid1(VALU_DEP_1)
	v_and_b32_e32 v76, 0x7f, v75
	v_cmpx_ne_u32_e32 0x7f, v76
	s_cbranch_execz .LBB407_562
; %bb.559:                              ;   in Loop: Header=BB407_13 Depth=1
	v_and_b32_e32 v28, 7, v75
	v_lshrrev_b32_e32 v75, 3, v76
	s_mov_b32 s23, exec_lo
	v_cmpx_gt_u32_e32 8, v76
; %bb.560:                              ;   in Loop: Header=BB407_13 Depth=1
	s_delay_alu instid0(VALU_DEP_3) | instskip(NEXT) | instid1(VALU_DEP_1)
	v_clz_i32_u32_e32 v75, v28
	v_min_u32_e32 v75, 32, v75
	s_delay_alu instid0(VALU_DEP_1) | instskip(SKIP_1) | instid1(VALU_DEP_2)
	v_subrev_nc_u32_e32 v76, 28, v75
	v_sub_nc_u32_e32 v75, 29, v75
	v_lshlrev_b64 v[78:79], v76, v[28:29]
	s_delay_alu instid0(VALU_DEP_1)
	v_and_b32_e32 v28, 7, v78
; %bb.561:                              ;   in Loop: Header=BB407_13 Depth=1
	s_or_b32 exec_lo, exec_lo, s23
	v_lshlrev_b32_e32 v76, 16, v77
	s_delay_alu instid0(VALU_DEP_2) | instskip(SKIP_1) | instid1(VALU_DEP_3)
	v_lshlrev_b32_e32 v28, 20, v28
	v_lshl_add_u32 v75, v75, 23, 0x3c000000
	v_and_b32_e32 v76, 0x80000000, v76
	s_delay_alu instid0(VALU_DEP_1)
	v_or3_b32 v28, v28, v76, v75
.LBB407_562:                            ;   in Loop: Header=BB407_13 Depth=1
	s_or_b32 exec_lo, exec_lo, s22
.LBB407_563:                            ;   in Loop: Header=BB407_13 Depth=1
	s_delay_alu instid0(SALU_CYCLE_1)
	s_or_b32 exec_lo, exec_lo, s21
.LBB407_564:                            ;   in Loop: Header=BB407_13 Depth=1
	s_delay_alu instid0(SALU_CYCLE_1) | instskip(NEXT) | instid1(VALU_DEP_1)
	s_or_b32 exec_lo, exec_lo, s20
	v_mul_f32_e32 v28, v133, v28
	s_delay_alu instid0(VALU_DEP_1) | instskip(NEXT) | instid1(VALU_DEP_1)
	v_and_b32_e32 v75, 0x7f800000, v28
	v_cmp_ne_u32_e64 s2, 0x7f800000, v75
                                        ; implicit-def: $vgpr75
	s_delay_alu instid0(VALU_DEP_1) | instskip(NEXT) | instid1(SALU_CYCLE_1)
	s_and_saveexec_b32 s20, s2
	s_xor_b32 s2, exec_lo, s20
; %bb.565:                              ;   in Loop: Header=BB407_13 Depth=1
	v_bfe_u32 v75, v28, 16, 1
	s_delay_alu instid0(VALU_DEP_1)
	v_add3_u32 v75, v28, v75, 0x7fff
                                        ; implicit-def: $vgpr28
; %bb.566:                              ;   in Loop: Header=BB407_13 Depth=1
	s_and_not1_saveexec_b32 s20, s2
; %bb.567:                              ;   in Loop: Header=BB407_13 Depth=1
	v_and_b32_e32 v75, 0xffff, v28
	v_or_b32_e32 v76, 0x10000, v28
	s_delay_alu instid0(VALU_DEP_2) | instskip(NEXT) | instid1(VALU_DEP_1)
	v_cmp_eq_u32_e64 s2, 0, v75
	v_cndmask_b32_e64 v75, v76, v28, s2
; %bb.568:                              ;   in Loop: Header=BB407_13 Depth=1
	s_or_b32 exec_lo, exec_lo, s20
	v_lshrrev_b32_e32 v76, 16, v77
	v_mov_b32_e32 v28, 0
	s_mov_b32 s20, exec_lo
	s_delay_alu instid0(VALU_DEP_2) | instskip(NEXT) | instid1(VALU_DEP_1)
	v_and_b32_e32 v78, 0xff, v76
	v_cmpx_ne_u16_e32 0, v78
	s_cbranch_execz .LBB407_576
; %bb.569:                              ;   in Loop: Header=BB407_13 Depth=1
	v_bfrev_b32_e32 v28, 1
	s_mov_b32 s21, exec_lo
	v_cmpx_ne_u16_e32 0x80, v78
	s_cbranch_execz .LBB407_575
; %bb.570:                              ;   in Loop: Header=BB407_13 Depth=1
	v_bfe_u32 v79, v77, 16, 7
	v_mov_b32_e32 v28, 0x7f800001
	s_mov_b32 s22, exec_lo
	s_delay_alu instid0(VALU_DEP_2)
	v_cmpx_ne_u32_e32 0x7f, v79
	s_cbranch_execz .LBB407_574
; %bb.571:                              ;   in Loop: Header=BB407_13 Depth=1
	v_and_b32_e32 v28, 7, v76
	v_lshrrev_b32_e32 v78, 3, v79
	s_mov_b32 s23, exec_lo
	v_cmpx_gt_u32_e32 8, v79
; %bb.572:                              ;   in Loop: Header=BB407_13 Depth=1
	s_delay_alu instid0(VALU_DEP_3) | instskip(NEXT) | instid1(VALU_DEP_1)
	v_clz_i32_u32_e32 v78, v28
	v_min_u32_e32 v78, 32, v78
	s_delay_alu instid0(VALU_DEP_1) | instskip(SKIP_1) | instid1(VALU_DEP_2)
	v_subrev_nc_u32_e32 v79, 28, v78
	v_sub_nc_u32_e32 v78, 29, v78
	v_lshlrev_b64 v[88:89], v79, v[28:29]
	s_delay_alu instid0(VALU_DEP_1)
	v_and_b32_e32 v28, 7, v88
; %bb.573:                              ;   in Loop: Header=BB407_13 Depth=1
	s_or_b32 exec_lo, exec_lo, s23
	v_lshlrev_b32_e32 v76, 24, v76
	s_delay_alu instid0(VALU_DEP_2) | instskip(SKIP_1) | instid1(VALU_DEP_3)
	v_lshlrev_b32_e32 v28, 20, v28
	v_lshl_add_u32 v78, v78, 23, 0x3c000000
	v_and_b32_e32 v76, 0x80000000, v76
	s_delay_alu instid0(VALU_DEP_1)
	v_or3_b32 v28, v28, v76, v78
.LBB407_574:                            ;   in Loop: Header=BB407_13 Depth=1
	s_or_b32 exec_lo, exec_lo, s22
.LBB407_575:                            ;   in Loop: Header=BB407_13 Depth=1
	s_delay_alu instid0(SALU_CYCLE_1)
	s_or_b32 exec_lo, exec_lo, s21
.LBB407_576:                            ;   in Loop: Header=BB407_13 Depth=1
	s_delay_alu instid0(SALU_CYCLE_1) | instskip(NEXT) | instid1(VALU_DEP_1)
	s_or_b32 exec_lo, exec_lo, s20
	v_mul_f32_e32 v28, v133, v28
	s_delay_alu instid0(VALU_DEP_1) | instskip(NEXT) | instid1(VALU_DEP_1)
	v_and_b32_e32 v76, 0x7f800000, v28
	v_cmp_ne_u32_e64 s2, 0x7f800000, v76
                                        ; implicit-def: $vgpr76
	s_delay_alu instid0(VALU_DEP_1) | instskip(NEXT) | instid1(SALU_CYCLE_1)
	s_and_saveexec_b32 s20, s2
	s_xor_b32 s2, exec_lo, s20
; %bb.577:                              ;   in Loop: Header=BB407_13 Depth=1
	v_bfe_u32 v76, v28, 16, 1
	s_delay_alu instid0(VALU_DEP_1)
	v_add3_u32 v76, v28, v76, 0x7fff
                                        ; implicit-def: $vgpr28
; %bb.578:                              ;   in Loop: Header=BB407_13 Depth=1
	s_and_not1_saveexec_b32 s20, s2
; %bb.579:                              ;   in Loop: Header=BB407_13 Depth=1
	v_and_b32_e32 v76, 0xffff, v28
	v_or_b32_e32 v78, 0x10000, v28
	s_delay_alu instid0(VALU_DEP_2) | instskip(NEXT) | instid1(VALU_DEP_1)
	v_cmp_eq_u32_e64 s2, 0, v76
	v_cndmask_b32_e64 v76, v78, v28, s2
; %bb.580:                              ;   in Loop: Header=BB407_13 Depth=1
	s_or_b32 exec_lo, exec_lo, s20
	v_mov_b32_e32 v28, 0
	s_mov_b32 s20, exec_lo
	v_cmpx_lt_u32_e32 0xffffff, v77
	s_cbranch_execz .LBB407_588
; %bb.581:                              ;   in Loop: Header=BB407_13 Depth=1
	v_lshrrev_b32_e32 v78, 24, v77
	v_bfrev_b32_e32 v28, 1
	s_mov_b32 s21, exec_lo
	s_delay_alu instid0(VALU_DEP_2)
	v_cmpx_ne_u32_e32 0x80, v78
	s_cbranch_execz .LBB407_587
; %bb.582:                              ;   in Loop: Header=BB407_13 Depth=1
	v_bfe_u32 v79, v77, 24, 7
	v_mov_b32_e32 v28, 0x7f800001
	s_mov_b32 s22, exec_lo
	s_delay_alu instid0(VALU_DEP_2)
	v_cmpx_ne_u32_e32 0x7f, v79
	s_cbranch_execz .LBB407_586
; %bb.583:                              ;   in Loop: Header=BB407_13 Depth=1
	v_and_b32_e32 v28, 7, v78
	v_lshrrev_b32_e32 v77, 3, v79
	s_mov_b32 s23, exec_lo
	v_cmpx_gt_u32_e32 8, v79
; %bb.584:                              ;   in Loop: Header=BB407_13 Depth=1
	s_delay_alu instid0(VALU_DEP_3) | instskip(NEXT) | instid1(VALU_DEP_1)
	v_clz_i32_u32_e32 v77, v28
	v_min_u32_e32 v77, 32, v77
	s_delay_alu instid0(VALU_DEP_1) | instskip(SKIP_1) | instid1(VALU_DEP_2)
	v_subrev_nc_u32_e32 v79, 28, v77
	v_sub_nc_u32_e32 v77, 29, v77
	v_lshlrev_b64 v[88:89], v79, v[28:29]
	s_delay_alu instid0(VALU_DEP_1)
	v_and_b32_e32 v28, 7, v88
; %bb.585:                              ;   in Loop: Header=BB407_13 Depth=1
	s_or_b32 exec_lo, exec_lo, s23
	v_lshlrev_b32_e32 v78, 24, v78
	s_delay_alu instid0(VALU_DEP_2) | instskip(SKIP_1) | instid1(VALU_DEP_3)
	v_lshlrev_b32_e32 v28, 20, v28
	v_lshl_add_u32 v77, v77, 23, 0x3c000000
	v_and_b32_e32 v78, 0x80000000, v78
	s_delay_alu instid0(VALU_DEP_1)
	v_or3_b32 v28, v28, v78, v77
.LBB407_586:                            ;   in Loop: Header=BB407_13 Depth=1
	s_or_b32 exec_lo, exec_lo, s22
.LBB407_587:                            ;   in Loop: Header=BB407_13 Depth=1
	s_delay_alu instid0(SALU_CYCLE_1)
	s_or_b32 exec_lo, exec_lo, s21
.LBB407_588:                            ;   in Loop: Header=BB407_13 Depth=1
	s_delay_alu instid0(SALU_CYCLE_1) | instskip(NEXT) | instid1(VALU_DEP_1)
	s_or_b32 exec_lo, exec_lo, s20
	v_mul_f32_e32 v28, v133, v28
	s_delay_alu instid0(VALU_DEP_1) | instskip(NEXT) | instid1(VALU_DEP_1)
	v_and_b32_e32 v77, 0x7f800000, v28
	v_cmp_ne_u32_e64 s2, 0x7f800000, v77
                                        ; implicit-def: $vgpr77
	s_delay_alu instid0(VALU_DEP_1) | instskip(NEXT) | instid1(SALU_CYCLE_1)
	s_and_saveexec_b32 s20, s2
	s_xor_b32 s2, exec_lo, s20
; %bb.589:                              ;   in Loop: Header=BB407_13 Depth=1
	v_bfe_u32 v77, v28, 16, 1
	s_delay_alu instid0(VALU_DEP_1)
	v_add3_u32 v77, v28, v77, 0x7fff
                                        ; implicit-def: $vgpr28
; %bb.590:                              ;   in Loop: Header=BB407_13 Depth=1
	s_and_not1_saveexec_b32 s20, s2
; %bb.591:                              ;   in Loop: Header=BB407_13 Depth=1
	v_and_b32_e32 v77, 0xffff, v28
	v_or_b32_e32 v78, 0x10000, v28
	s_delay_alu instid0(VALU_DEP_2) | instskip(NEXT) | instid1(VALU_DEP_1)
	v_cmp_eq_u32_e64 s2, 0, v77
	v_cndmask_b32_e64 v77, v78, v28, s2
; %bb.592:                              ;   in Loop: Header=BB407_13 Depth=1
	s_or_b32 exec_lo, exec_lo, s20
	flat_load_b32 v89, v[80:81] offset:1536
	v_mov_b32_e32 v28, 0
	s_mov_b32 s20, exec_lo
	s_waitcnt vmcnt(0) lgkmcnt(0)
	v_and_b32_e32 v78, 0xff, v89
	s_delay_alu instid0(VALU_DEP_1)
	v_cmpx_ne_u16_e32 0, v78
	s_cbranch_execz .LBB407_600
; %bb.593:                              ;   in Loop: Header=BB407_13 Depth=1
	v_bfrev_b32_e32 v28, 1
	s_mov_b32 s21, exec_lo
	v_cmpx_ne_u16_e32 0x80, v78
	s_cbranch_execz .LBB407_599
; %bb.594:                              ;   in Loop: Header=BB407_13 Depth=1
	v_and_b32_e32 v79, 0x7f, v89
	v_mov_b32_e32 v28, 0x7f800001
	s_mov_b32 s22, exec_lo
	s_delay_alu instid0(VALU_DEP_2)
	v_cmpx_ne_u32_e32 0x7f, v79
	s_cbranch_execz .LBB407_598
; %bb.595:                              ;   in Loop: Header=BB407_13 Depth=1
	v_and_b32_e32 v28, 7, v89
	v_lshrrev_b32_e32 v78, 3, v79
	s_mov_b32 s23, exec_lo
	v_cmpx_gt_u32_e32 8, v79
; %bb.596:                              ;   in Loop: Header=BB407_13 Depth=1
	s_delay_alu instid0(VALU_DEP_3) | instskip(NEXT) | instid1(VALU_DEP_1)
	v_clz_i32_u32_e32 v78, v28
	v_min_u32_e32 v78, 32, v78
	s_delay_alu instid0(VALU_DEP_1) | instskip(SKIP_1) | instid1(VALU_DEP_2)
	v_subrev_nc_u32_e32 v79, 28, v78
	v_sub_nc_u32_e32 v78, 29, v78
	v_lshlrev_b64 v[90:91], v79, v[28:29]
	s_delay_alu instid0(VALU_DEP_1)
	v_and_b32_e32 v28, 7, v90
; %bb.597:                              ;   in Loop: Header=BB407_13 Depth=1
	s_or_b32 exec_lo, exec_lo, s23
	v_lshlrev_b32_e32 v79, 24, v89
	s_delay_alu instid0(VALU_DEP_2) | instskip(SKIP_1) | instid1(VALU_DEP_3)
	v_lshlrev_b32_e32 v28, 20, v28
	v_lshl_add_u32 v78, v78, 23, 0x3c000000
	v_and_b32_e32 v79, 0x80000000, v79
	s_delay_alu instid0(VALU_DEP_1)
	v_or3_b32 v28, v28, v79, v78
.LBB407_598:                            ;   in Loop: Header=BB407_13 Depth=1
	s_or_b32 exec_lo, exec_lo, s22
.LBB407_599:                            ;   in Loop: Header=BB407_13 Depth=1
	s_delay_alu instid0(SALU_CYCLE_1)
	s_or_b32 exec_lo, exec_lo, s21
.LBB407_600:                            ;   in Loop: Header=BB407_13 Depth=1
	s_delay_alu instid0(SALU_CYCLE_1) | instskip(NEXT) | instid1(VALU_DEP_1)
	s_or_b32 exec_lo, exec_lo, s20
	v_mul_f32_e32 v28, v133, v28
	s_delay_alu instid0(VALU_DEP_1) | instskip(NEXT) | instid1(VALU_DEP_1)
	v_and_b32_e32 v78, 0x7f800000, v28
	v_cmp_ne_u32_e64 s2, 0x7f800000, v78
                                        ; implicit-def: $vgpr78
	s_delay_alu instid0(VALU_DEP_1) | instskip(NEXT) | instid1(SALU_CYCLE_1)
	s_and_saveexec_b32 s20, s2
	s_xor_b32 s2, exec_lo, s20
; %bb.601:                              ;   in Loop: Header=BB407_13 Depth=1
	v_bfe_u32 v78, v28, 16, 1
	s_delay_alu instid0(VALU_DEP_1)
	v_add3_u32 v78, v28, v78, 0x7fff
                                        ; implicit-def: $vgpr28
; %bb.602:                              ;   in Loop: Header=BB407_13 Depth=1
	s_and_not1_saveexec_b32 s20, s2
; %bb.603:                              ;   in Loop: Header=BB407_13 Depth=1
	v_and_b32_e32 v78, 0xffff, v28
	v_or_b32_e32 v79, 0x10000, v28
	s_delay_alu instid0(VALU_DEP_2) | instskip(NEXT) | instid1(VALU_DEP_1)
	v_cmp_eq_u32_e64 s2, 0, v78
	v_cndmask_b32_e64 v78, v79, v28, s2
; %bb.604:                              ;   in Loop: Header=BB407_13 Depth=1
	s_or_b32 exec_lo, exec_lo, s20
	v_lshrrev_b16 v79, 8, v89
	v_mov_b32_e32 v28, 0
	s_mov_b32 s20, exec_lo
	s_delay_alu instid0(VALU_DEP_2)
	v_cmpx_ne_u16_e32 0, v79
	s_cbranch_execz .LBB407_612
; %bb.605:                              ;   in Loop: Header=BB407_13 Depth=1
	v_bfrev_b32_e32 v28, 1
	s_mov_b32 s21, exec_lo
	v_cmpx_ne_u16_e32 0x80, v79
	s_cbranch_execz .LBB407_611
; %bb.606:                              ;   in Loop: Header=BB407_13 Depth=1
	v_and_b32_e32 v79, 0xffff, v79
	v_mov_b32_e32 v28, 0x7f800001
	s_mov_b32 s22, exec_lo
	s_delay_alu instid0(VALU_DEP_2) | instskip(NEXT) | instid1(VALU_DEP_1)
	v_and_b32_e32 v88, 0x7f, v79
	v_cmpx_ne_u32_e32 0x7f, v88
	s_cbranch_execz .LBB407_610
; %bb.607:                              ;   in Loop: Header=BB407_13 Depth=1
	v_and_b32_e32 v28, 7, v79
	v_lshrrev_b32_e32 v79, 3, v88
	s_mov_b32 s23, exec_lo
	v_cmpx_gt_u32_e32 8, v88
; %bb.608:                              ;   in Loop: Header=BB407_13 Depth=1
	s_delay_alu instid0(VALU_DEP_3) | instskip(NEXT) | instid1(VALU_DEP_1)
	v_clz_i32_u32_e32 v79, v28
	v_min_u32_e32 v79, 32, v79
	s_delay_alu instid0(VALU_DEP_1) | instskip(SKIP_1) | instid1(VALU_DEP_2)
	v_subrev_nc_u32_e32 v88, 28, v79
	v_sub_nc_u32_e32 v79, 29, v79
	v_lshlrev_b64 v[90:91], v88, v[28:29]
	s_delay_alu instid0(VALU_DEP_1)
	v_and_b32_e32 v28, 7, v90
; %bb.609:                              ;   in Loop: Header=BB407_13 Depth=1
	s_or_b32 exec_lo, exec_lo, s23
	v_lshlrev_b32_e32 v88, 16, v89
	s_delay_alu instid0(VALU_DEP_2) | instskip(SKIP_1) | instid1(VALU_DEP_3)
	v_lshlrev_b32_e32 v28, 20, v28
	v_lshl_add_u32 v79, v79, 23, 0x3c000000
	v_and_b32_e32 v88, 0x80000000, v88
	s_delay_alu instid0(VALU_DEP_1)
	v_or3_b32 v28, v28, v88, v79
.LBB407_610:                            ;   in Loop: Header=BB407_13 Depth=1
	s_or_b32 exec_lo, exec_lo, s22
.LBB407_611:                            ;   in Loop: Header=BB407_13 Depth=1
	s_delay_alu instid0(SALU_CYCLE_1)
	s_or_b32 exec_lo, exec_lo, s21
.LBB407_612:                            ;   in Loop: Header=BB407_13 Depth=1
	s_delay_alu instid0(SALU_CYCLE_1) | instskip(NEXT) | instid1(VALU_DEP_1)
	s_or_b32 exec_lo, exec_lo, s20
	v_mul_f32_e32 v28, v133, v28
	s_delay_alu instid0(VALU_DEP_1) | instskip(NEXT) | instid1(VALU_DEP_1)
	v_and_b32_e32 v79, 0x7f800000, v28
	v_cmp_ne_u32_e64 s2, 0x7f800000, v79
                                        ; implicit-def: $vgpr79
	s_delay_alu instid0(VALU_DEP_1) | instskip(NEXT) | instid1(SALU_CYCLE_1)
	s_and_saveexec_b32 s20, s2
	s_xor_b32 s2, exec_lo, s20
; %bb.613:                              ;   in Loop: Header=BB407_13 Depth=1
	v_bfe_u32 v79, v28, 16, 1
	s_delay_alu instid0(VALU_DEP_1)
	v_add3_u32 v79, v28, v79, 0x7fff
                                        ; implicit-def: $vgpr28
; %bb.614:                              ;   in Loop: Header=BB407_13 Depth=1
	s_and_not1_saveexec_b32 s20, s2
; %bb.615:                              ;   in Loop: Header=BB407_13 Depth=1
	v_and_b32_e32 v79, 0xffff, v28
	v_or_b32_e32 v88, 0x10000, v28
	s_delay_alu instid0(VALU_DEP_2) | instskip(NEXT) | instid1(VALU_DEP_1)
	v_cmp_eq_u32_e64 s2, 0, v79
	v_cndmask_b32_e64 v79, v88, v28, s2
; %bb.616:                              ;   in Loop: Header=BB407_13 Depth=1
	s_or_b32 exec_lo, exec_lo, s20
	v_lshrrev_b32_e32 v88, 16, v89
	v_mov_b32_e32 v28, 0
	s_mov_b32 s20, exec_lo
	s_delay_alu instid0(VALU_DEP_2) | instskip(NEXT) | instid1(VALU_DEP_1)
	v_and_b32_e32 v90, 0xff, v88
	v_cmpx_ne_u16_e32 0, v90
	s_cbranch_execz .LBB407_624
; %bb.617:                              ;   in Loop: Header=BB407_13 Depth=1
	v_bfrev_b32_e32 v28, 1
	s_mov_b32 s21, exec_lo
	v_cmpx_ne_u16_e32 0x80, v90
	s_cbranch_execz .LBB407_623
; %bb.618:                              ;   in Loop: Header=BB407_13 Depth=1
	v_bfe_u32 v91, v89, 16, 7
	v_mov_b32_e32 v28, 0x7f800001
	s_mov_b32 s22, exec_lo
	s_delay_alu instid0(VALU_DEP_2)
	v_cmpx_ne_u32_e32 0x7f, v91
	s_cbranch_execz .LBB407_622
; %bb.619:                              ;   in Loop: Header=BB407_13 Depth=1
	v_and_b32_e32 v28, 7, v88
	v_lshrrev_b32_e32 v90, 3, v91
	s_mov_b32 s23, exec_lo
	v_cmpx_gt_u32_e32 8, v91
; %bb.620:                              ;   in Loop: Header=BB407_13 Depth=1
	s_delay_alu instid0(VALU_DEP_3) | instskip(NEXT) | instid1(VALU_DEP_1)
	v_clz_i32_u32_e32 v90, v28
	v_min_u32_e32 v90, 32, v90
	s_delay_alu instid0(VALU_DEP_1) | instskip(SKIP_1) | instid1(VALU_DEP_2)
	v_subrev_nc_u32_e32 v91, 28, v90
	v_sub_nc_u32_e32 v90, 29, v90
	v_lshlrev_b64 v[91:92], v91, v[28:29]
	s_delay_alu instid0(VALU_DEP_1)
	v_and_b32_e32 v28, 7, v91
; %bb.621:                              ;   in Loop: Header=BB407_13 Depth=1
	s_or_b32 exec_lo, exec_lo, s23
	v_lshlrev_b32_e32 v88, 24, v88
	s_delay_alu instid0(VALU_DEP_2) | instskip(SKIP_1) | instid1(VALU_DEP_3)
	v_lshlrev_b32_e32 v28, 20, v28
	v_lshl_add_u32 v90, v90, 23, 0x3c000000
	v_and_b32_e32 v88, 0x80000000, v88
	s_delay_alu instid0(VALU_DEP_1)
	v_or3_b32 v28, v28, v88, v90
.LBB407_622:                            ;   in Loop: Header=BB407_13 Depth=1
	s_or_b32 exec_lo, exec_lo, s22
.LBB407_623:                            ;   in Loop: Header=BB407_13 Depth=1
	s_delay_alu instid0(SALU_CYCLE_1)
	s_or_b32 exec_lo, exec_lo, s21
.LBB407_624:                            ;   in Loop: Header=BB407_13 Depth=1
	s_delay_alu instid0(SALU_CYCLE_1) | instskip(NEXT) | instid1(VALU_DEP_1)
	s_or_b32 exec_lo, exec_lo, s20
	v_mul_f32_e32 v28, v133, v28
	s_delay_alu instid0(VALU_DEP_1) | instskip(NEXT) | instid1(VALU_DEP_1)
	v_and_b32_e32 v88, 0x7f800000, v28
	v_cmp_ne_u32_e64 s2, 0x7f800000, v88
                                        ; implicit-def: $vgpr88
	s_delay_alu instid0(VALU_DEP_1) | instskip(NEXT) | instid1(SALU_CYCLE_1)
	s_and_saveexec_b32 s20, s2
	s_xor_b32 s2, exec_lo, s20
; %bb.625:                              ;   in Loop: Header=BB407_13 Depth=1
	v_bfe_u32 v88, v28, 16, 1
	s_delay_alu instid0(VALU_DEP_1)
	v_add3_u32 v88, v28, v88, 0x7fff
                                        ; implicit-def: $vgpr28
; %bb.626:                              ;   in Loop: Header=BB407_13 Depth=1
	s_and_not1_saveexec_b32 s20, s2
; %bb.627:                              ;   in Loop: Header=BB407_13 Depth=1
	v_and_b32_e32 v88, 0xffff, v28
	v_or_b32_e32 v90, 0x10000, v28
	s_delay_alu instid0(VALU_DEP_2) | instskip(NEXT) | instid1(VALU_DEP_1)
	v_cmp_eq_u32_e64 s2, 0, v88
	v_cndmask_b32_e64 v88, v90, v28, s2
; %bb.628:                              ;   in Loop: Header=BB407_13 Depth=1
	s_or_b32 exec_lo, exec_lo, s20
	v_mov_b32_e32 v28, 0
	s_mov_b32 s20, exec_lo
	v_cmpx_lt_u32_e32 0xffffff, v89
	s_cbranch_execz .LBB407_636
; %bb.629:                              ;   in Loop: Header=BB407_13 Depth=1
	v_lshrrev_b32_e32 v90, 24, v89
	v_bfrev_b32_e32 v28, 1
	s_mov_b32 s21, exec_lo
	s_delay_alu instid0(VALU_DEP_2)
	v_cmpx_ne_u32_e32 0x80, v90
	s_cbranch_execz .LBB407_635
; %bb.630:                              ;   in Loop: Header=BB407_13 Depth=1
	v_bfe_u32 v91, v89, 24, 7
	v_mov_b32_e32 v28, 0x7f800001
	s_mov_b32 s22, exec_lo
	s_delay_alu instid0(VALU_DEP_2)
	v_cmpx_ne_u32_e32 0x7f, v91
	s_cbranch_execz .LBB407_634
; %bb.631:                              ;   in Loop: Header=BB407_13 Depth=1
	v_and_b32_e32 v28, 7, v90
	v_lshrrev_b32_e32 v89, 3, v91
	s_mov_b32 s23, exec_lo
	v_cmpx_gt_u32_e32 8, v91
; %bb.632:                              ;   in Loop: Header=BB407_13 Depth=1
	s_delay_alu instid0(VALU_DEP_3) | instskip(NEXT) | instid1(VALU_DEP_1)
	v_clz_i32_u32_e32 v89, v28
	v_min_u32_e32 v89, 32, v89
	s_delay_alu instid0(VALU_DEP_1) | instskip(SKIP_1) | instid1(VALU_DEP_2)
	v_subrev_nc_u32_e32 v91, 28, v89
	v_sub_nc_u32_e32 v89, 29, v89
	v_lshlrev_b64 v[91:92], v91, v[28:29]
	s_delay_alu instid0(VALU_DEP_1)
	v_and_b32_e32 v28, 7, v91
; %bb.633:                              ;   in Loop: Header=BB407_13 Depth=1
	s_or_b32 exec_lo, exec_lo, s23
	v_lshlrev_b32_e32 v90, 24, v90
	s_delay_alu instid0(VALU_DEP_2) | instskip(SKIP_1) | instid1(VALU_DEP_3)
	v_lshlrev_b32_e32 v28, 20, v28
	v_lshl_add_u32 v89, v89, 23, 0x3c000000
	v_and_b32_e32 v90, 0x80000000, v90
	s_delay_alu instid0(VALU_DEP_1)
	v_or3_b32 v28, v28, v90, v89
.LBB407_634:                            ;   in Loop: Header=BB407_13 Depth=1
	s_or_b32 exec_lo, exec_lo, s22
.LBB407_635:                            ;   in Loop: Header=BB407_13 Depth=1
	s_delay_alu instid0(SALU_CYCLE_1)
	s_or_b32 exec_lo, exec_lo, s21
.LBB407_636:                            ;   in Loop: Header=BB407_13 Depth=1
	s_delay_alu instid0(SALU_CYCLE_1) | instskip(NEXT) | instid1(VALU_DEP_1)
	s_or_b32 exec_lo, exec_lo, s20
	v_mul_f32_e32 v28, v133, v28
	s_delay_alu instid0(VALU_DEP_1) | instskip(NEXT) | instid1(VALU_DEP_1)
	v_and_b32_e32 v89, 0x7f800000, v28
	v_cmp_ne_u32_e64 s2, 0x7f800000, v89
                                        ; implicit-def: $vgpr89
	s_delay_alu instid0(VALU_DEP_1) | instskip(NEXT) | instid1(SALU_CYCLE_1)
	s_and_saveexec_b32 s20, s2
	s_xor_b32 s2, exec_lo, s20
; %bb.637:                              ;   in Loop: Header=BB407_13 Depth=1
	v_bfe_u32 v89, v28, 16, 1
	s_delay_alu instid0(VALU_DEP_1)
	v_add3_u32 v89, v28, v89, 0x7fff
                                        ; implicit-def: $vgpr28
; %bb.638:                              ;   in Loop: Header=BB407_13 Depth=1
	s_and_not1_saveexec_b32 s20, s2
; %bb.639:                              ;   in Loop: Header=BB407_13 Depth=1
	v_and_b32_e32 v89, 0xffff, v28
	v_or_b32_e32 v90, 0x10000, v28
	s_delay_alu instid0(VALU_DEP_2) | instskip(NEXT) | instid1(VALU_DEP_1)
	v_cmp_eq_u32_e64 s2, 0, v89
	v_cndmask_b32_e64 v89, v90, v28, s2
; %bb.640:                              ;   in Loop: Header=BB407_13 Depth=1
	s_or_b32 exec_lo, exec_lo, s20
	flat_load_b32 v81, v[80:81] offset:1544
	v_mov_b32_e32 v28, 0
	s_mov_b32 s20, exec_lo
	s_waitcnt vmcnt(0) lgkmcnt(0)
	v_and_b32_e32 v80, 0xff, v81
	s_delay_alu instid0(VALU_DEP_1)
	v_cmpx_ne_u16_e32 0, v80
	s_cbranch_execz .LBB407_648
; %bb.641:                              ;   in Loop: Header=BB407_13 Depth=1
	v_bfrev_b32_e32 v28, 1
	s_mov_b32 s21, exec_lo
	v_cmpx_ne_u16_e32 0x80, v80
	s_cbranch_execz .LBB407_647
; %bb.642:                              ;   in Loop: Header=BB407_13 Depth=1
	v_and_b32_e32 v90, 0x7f, v81
	v_mov_b32_e32 v28, 0x7f800001
	s_mov_b32 s22, exec_lo
	s_delay_alu instid0(VALU_DEP_2)
	v_cmpx_ne_u32_e32 0x7f, v90
	s_cbranch_execz .LBB407_646
; %bb.643:                              ;   in Loop: Header=BB407_13 Depth=1
	v_and_b32_e32 v28, 7, v81
	v_lshrrev_b32_e32 v80, 3, v90
	s_mov_b32 s23, exec_lo
	v_cmpx_gt_u32_e32 8, v90
; %bb.644:                              ;   in Loop: Header=BB407_13 Depth=1
	s_delay_alu instid0(VALU_DEP_3) | instskip(NEXT) | instid1(VALU_DEP_1)
	v_clz_i32_u32_e32 v80, v28
	v_min_u32_e32 v80, 32, v80
	s_delay_alu instid0(VALU_DEP_1) | instskip(SKIP_1) | instid1(VALU_DEP_2)
	v_subrev_nc_u32_e32 v90, 28, v80
	v_sub_nc_u32_e32 v80, 29, v80
	v_lshlrev_b64 v[90:91], v90, v[28:29]
	s_delay_alu instid0(VALU_DEP_1)
	v_and_b32_e32 v28, 7, v90
; %bb.645:                              ;   in Loop: Header=BB407_13 Depth=1
	s_or_b32 exec_lo, exec_lo, s23
	v_lshlrev_b32_e32 v90, 24, v81
	s_delay_alu instid0(VALU_DEP_2) | instskip(SKIP_1) | instid1(VALU_DEP_3)
	v_lshlrev_b32_e32 v28, 20, v28
	v_lshl_add_u32 v80, v80, 23, 0x3c000000
	v_and_b32_e32 v90, 0x80000000, v90
	s_delay_alu instid0(VALU_DEP_1)
	v_or3_b32 v28, v28, v90, v80
.LBB407_646:                            ;   in Loop: Header=BB407_13 Depth=1
	s_or_b32 exec_lo, exec_lo, s22
.LBB407_647:                            ;   in Loop: Header=BB407_13 Depth=1
	s_delay_alu instid0(SALU_CYCLE_1)
	s_or_b32 exec_lo, exec_lo, s21
.LBB407_648:                            ;   in Loop: Header=BB407_13 Depth=1
	s_delay_alu instid0(SALU_CYCLE_1) | instskip(NEXT) | instid1(VALU_DEP_1)
	s_or_b32 exec_lo, exec_lo, s20
	v_mul_f32_e32 v28, v133, v28
	s_delay_alu instid0(VALU_DEP_1) | instskip(NEXT) | instid1(VALU_DEP_1)
	v_and_b32_e32 v80, 0x7f800000, v28
	v_cmp_ne_u32_e64 s2, 0x7f800000, v80
                                        ; implicit-def: $vgpr80
	s_delay_alu instid0(VALU_DEP_1) | instskip(NEXT) | instid1(SALU_CYCLE_1)
	s_and_saveexec_b32 s20, s2
	s_xor_b32 s2, exec_lo, s20
; %bb.649:                              ;   in Loop: Header=BB407_13 Depth=1
	v_bfe_u32 v80, v28, 16, 1
	s_delay_alu instid0(VALU_DEP_1)
	v_add3_u32 v80, v28, v80, 0x7fff
                                        ; implicit-def: $vgpr28
; %bb.650:                              ;   in Loop: Header=BB407_13 Depth=1
	s_and_not1_saveexec_b32 s20, s2
; %bb.651:                              ;   in Loop: Header=BB407_13 Depth=1
	v_and_b32_e32 v80, 0xffff, v28
	v_or_b32_e32 v90, 0x10000, v28
	s_delay_alu instid0(VALU_DEP_2) | instskip(NEXT) | instid1(VALU_DEP_1)
	v_cmp_eq_u32_e64 s2, 0, v80
	v_cndmask_b32_e64 v80, v90, v28, s2
; %bb.652:                              ;   in Loop: Header=BB407_13 Depth=1
	s_or_b32 exec_lo, exec_lo, s20
	v_lshrrev_b16 v90, 8, v81
	v_mov_b32_e32 v28, 0
	s_mov_b32 s20, exec_lo
	s_delay_alu instid0(VALU_DEP_2)
	v_cmpx_ne_u16_e32 0, v90
	s_cbranch_execz .LBB407_660
; %bb.653:                              ;   in Loop: Header=BB407_13 Depth=1
	v_bfrev_b32_e32 v28, 1
	s_mov_b32 s21, exec_lo
	v_cmpx_ne_u16_e32 0x80, v90
	s_cbranch_execz .LBB407_659
; %bb.654:                              ;   in Loop: Header=BB407_13 Depth=1
	v_and_b32_e32 v90, 0xffff, v90
	v_mov_b32_e32 v28, 0x7f800001
	s_mov_b32 s22, exec_lo
	s_delay_alu instid0(VALU_DEP_2) | instskip(NEXT) | instid1(VALU_DEP_1)
	v_and_b32_e32 v91, 0x7f, v90
	v_cmpx_ne_u32_e32 0x7f, v91
	s_cbranch_execz .LBB407_658
; %bb.655:                              ;   in Loop: Header=BB407_13 Depth=1
	v_and_b32_e32 v28, 7, v90
	v_lshrrev_b32_e32 v90, 3, v91
	s_mov_b32 s23, exec_lo
	v_cmpx_gt_u32_e32 8, v91
; %bb.656:                              ;   in Loop: Header=BB407_13 Depth=1
	s_delay_alu instid0(VALU_DEP_3) | instskip(NEXT) | instid1(VALU_DEP_1)
	v_clz_i32_u32_e32 v90, v28
	v_min_u32_e32 v90, 32, v90
	s_delay_alu instid0(VALU_DEP_1) | instskip(SKIP_1) | instid1(VALU_DEP_2)
	v_subrev_nc_u32_e32 v91, 28, v90
	v_sub_nc_u32_e32 v90, 29, v90
	v_lshlrev_b64 v[91:92], v91, v[28:29]
	s_delay_alu instid0(VALU_DEP_1)
	v_and_b32_e32 v28, 7, v91
; %bb.657:                              ;   in Loop: Header=BB407_13 Depth=1
	s_or_b32 exec_lo, exec_lo, s23
	v_lshlrev_b32_e32 v91, 16, v81
	s_delay_alu instid0(VALU_DEP_2) | instskip(SKIP_1) | instid1(VALU_DEP_3)
	v_lshlrev_b32_e32 v28, 20, v28
	v_lshl_add_u32 v90, v90, 23, 0x3c000000
	v_and_b32_e32 v91, 0x80000000, v91
	s_delay_alu instid0(VALU_DEP_1)
	v_or3_b32 v28, v28, v91, v90
.LBB407_658:                            ;   in Loop: Header=BB407_13 Depth=1
	s_or_b32 exec_lo, exec_lo, s22
.LBB407_659:                            ;   in Loop: Header=BB407_13 Depth=1
	s_delay_alu instid0(SALU_CYCLE_1)
	s_or_b32 exec_lo, exec_lo, s21
.LBB407_660:                            ;   in Loop: Header=BB407_13 Depth=1
	s_delay_alu instid0(SALU_CYCLE_1) | instskip(NEXT) | instid1(VALU_DEP_1)
	s_or_b32 exec_lo, exec_lo, s20
	v_mul_f32_e32 v28, v133, v28
	s_delay_alu instid0(VALU_DEP_1) | instskip(NEXT) | instid1(VALU_DEP_1)
	v_and_b32_e32 v90, 0x7f800000, v28
	v_cmp_ne_u32_e64 s2, 0x7f800000, v90
                                        ; implicit-def: $vgpr90
	s_delay_alu instid0(VALU_DEP_1) | instskip(NEXT) | instid1(SALU_CYCLE_1)
	s_and_saveexec_b32 s20, s2
	s_xor_b32 s2, exec_lo, s20
; %bb.661:                              ;   in Loop: Header=BB407_13 Depth=1
	v_bfe_u32 v90, v28, 16, 1
	s_delay_alu instid0(VALU_DEP_1)
	v_add3_u32 v90, v28, v90, 0x7fff
                                        ; implicit-def: $vgpr28
; %bb.662:                              ;   in Loop: Header=BB407_13 Depth=1
	s_and_not1_saveexec_b32 s20, s2
; %bb.663:                              ;   in Loop: Header=BB407_13 Depth=1
	v_and_b32_e32 v90, 0xffff, v28
	v_or_b32_e32 v91, 0x10000, v28
	s_delay_alu instid0(VALU_DEP_2) | instskip(NEXT) | instid1(VALU_DEP_1)
	v_cmp_eq_u32_e64 s2, 0, v90
	v_cndmask_b32_e64 v90, v91, v28, s2
; %bb.664:                              ;   in Loop: Header=BB407_13 Depth=1
	s_or_b32 exec_lo, exec_lo, s20
	v_lshrrev_b32_e32 v91, 16, v81
	v_mov_b32_e32 v28, 0
	s_mov_b32 s20, exec_lo
	s_delay_alu instid0(VALU_DEP_2) | instskip(NEXT) | instid1(VALU_DEP_1)
	v_and_b32_e32 v92, 0xff, v91
	v_cmpx_ne_u16_e32 0, v92
	s_cbranch_execz .LBB407_672
; %bb.665:                              ;   in Loop: Header=BB407_13 Depth=1
	v_bfrev_b32_e32 v28, 1
	s_mov_b32 s21, exec_lo
	v_cmpx_ne_u16_e32 0x80, v92
	s_cbranch_execz .LBB407_671
; %bb.666:                              ;   in Loop: Header=BB407_13 Depth=1
	v_bfe_u32 v93, v81, 16, 7
	v_mov_b32_e32 v28, 0x7f800001
	s_mov_b32 s22, exec_lo
	s_delay_alu instid0(VALU_DEP_2)
	v_cmpx_ne_u32_e32 0x7f, v93
	s_cbranch_execz .LBB407_670
; %bb.667:                              ;   in Loop: Header=BB407_13 Depth=1
	v_and_b32_e32 v28, 7, v91
	v_lshrrev_b32_e32 v92, 3, v93
	s_mov_b32 s23, exec_lo
	v_cmpx_gt_u32_e32 8, v93
; %bb.668:                              ;   in Loop: Header=BB407_13 Depth=1
	s_delay_alu instid0(VALU_DEP_3) | instskip(NEXT) | instid1(VALU_DEP_1)
	v_clz_i32_u32_e32 v92, v28
	v_min_u32_e32 v92, 32, v92
	s_delay_alu instid0(VALU_DEP_1) | instskip(SKIP_1) | instid1(VALU_DEP_2)
	v_subrev_nc_u32_e32 v93, 28, v92
	v_sub_nc_u32_e32 v92, 29, v92
	v_lshlrev_b64 v[93:94], v93, v[28:29]
	s_delay_alu instid0(VALU_DEP_1)
	v_and_b32_e32 v28, 7, v93
; %bb.669:                              ;   in Loop: Header=BB407_13 Depth=1
	s_or_b32 exec_lo, exec_lo, s23
	v_lshlrev_b32_e32 v91, 24, v91
	s_delay_alu instid0(VALU_DEP_2) | instskip(SKIP_1) | instid1(VALU_DEP_3)
	v_lshlrev_b32_e32 v28, 20, v28
	v_lshl_add_u32 v92, v92, 23, 0x3c000000
	v_and_b32_e32 v91, 0x80000000, v91
	s_delay_alu instid0(VALU_DEP_1)
	v_or3_b32 v28, v28, v91, v92
.LBB407_670:                            ;   in Loop: Header=BB407_13 Depth=1
	s_or_b32 exec_lo, exec_lo, s22
.LBB407_671:                            ;   in Loop: Header=BB407_13 Depth=1
	s_delay_alu instid0(SALU_CYCLE_1)
	s_or_b32 exec_lo, exec_lo, s21
.LBB407_672:                            ;   in Loop: Header=BB407_13 Depth=1
	s_delay_alu instid0(SALU_CYCLE_1) | instskip(NEXT) | instid1(VALU_DEP_1)
	s_or_b32 exec_lo, exec_lo, s20
	v_mul_f32_e32 v28, v133, v28
	s_delay_alu instid0(VALU_DEP_1) | instskip(NEXT) | instid1(VALU_DEP_1)
	v_and_b32_e32 v91, 0x7f800000, v28
	v_cmp_ne_u32_e64 s2, 0x7f800000, v91
                                        ; implicit-def: $vgpr91
	s_delay_alu instid0(VALU_DEP_1) | instskip(NEXT) | instid1(SALU_CYCLE_1)
	s_and_saveexec_b32 s20, s2
	s_xor_b32 s2, exec_lo, s20
; %bb.673:                              ;   in Loop: Header=BB407_13 Depth=1
	v_bfe_u32 v91, v28, 16, 1
	s_delay_alu instid0(VALU_DEP_1)
	v_add3_u32 v91, v28, v91, 0x7fff
                                        ; implicit-def: $vgpr28
; %bb.674:                              ;   in Loop: Header=BB407_13 Depth=1
	s_and_not1_saveexec_b32 s20, s2
; %bb.675:                              ;   in Loop: Header=BB407_13 Depth=1
	v_and_b32_e32 v91, 0xffff, v28
	v_or_b32_e32 v92, 0x10000, v28
	s_delay_alu instid0(VALU_DEP_2) | instskip(NEXT) | instid1(VALU_DEP_1)
	v_cmp_eq_u32_e64 s2, 0, v91
	v_cndmask_b32_e64 v91, v92, v28, s2
; %bb.676:                              ;   in Loop: Header=BB407_13 Depth=1
	s_or_b32 exec_lo, exec_lo, s20
	v_mov_b32_e32 v28, 0
	s_mov_b32 s20, exec_lo
	v_cmpx_lt_u32_e32 0xffffff, v81
	s_cbranch_execz .LBB407_684
; %bb.677:                              ;   in Loop: Header=BB407_13 Depth=1
	v_lshrrev_b32_e32 v92, 24, v81
	v_bfrev_b32_e32 v28, 1
	s_mov_b32 s21, exec_lo
	s_delay_alu instid0(VALU_DEP_2)
	v_cmpx_ne_u32_e32 0x80, v92
	s_cbranch_execz .LBB407_683
; %bb.678:                              ;   in Loop: Header=BB407_13 Depth=1
	v_bfe_u32 v93, v81, 24, 7
	v_mov_b32_e32 v28, 0x7f800001
	s_mov_b32 s22, exec_lo
	s_delay_alu instid0(VALU_DEP_2)
	v_cmpx_ne_u32_e32 0x7f, v93
	s_cbranch_execz .LBB407_682
; %bb.679:                              ;   in Loop: Header=BB407_13 Depth=1
	v_and_b32_e32 v28, 7, v92
	v_lshrrev_b32_e32 v81, 3, v93
	s_mov_b32 s23, exec_lo
	v_cmpx_gt_u32_e32 8, v93
; %bb.680:                              ;   in Loop: Header=BB407_13 Depth=1
	s_delay_alu instid0(VALU_DEP_3) | instskip(NEXT) | instid1(VALU_DEP_1)
	v_clz_i32_u32_e32 v81, v28
	v_min_u32_e32 v81, 32, v81
	s_delay_alu instid0(VALU_DEP_1) | instskip(SKIP_1) | instid1(VALU_DEP_2)
	v_subrev_nc_u32_e32 v93, 28, v81
	v_sub_nc_u32_e32 v81, 29, v81
	v_lshlrev_b64 v[93:94], v93, v[28:29]
	s_delay_alu instid0(VALU_DEP_1)
	v_and_b32_e32 v28, 7, v93
; %bb.681:                              ;   in Loop: Header=BB407_13 Depth=1
	s_or_b32 exec_lo, exec_lo, s23
	v_lshlrev_b32_e32 v92, 24, v92
	s_delay_alu instid0(VALU_DEP_2) | instskip(SKIP_1) | instid1(VALU_DEP_3)
	v_lshlrev_b32_e32 v28, 20, v28
	v_lshl_add_u32 v81, v81, 23, 0x3c000000
	v_and_b32_e32 v92, 0x80000000, v92
	s_delay_alu instid0(VALU_DEP_1)
	v_or3_b32 v28, v28, v92, v81
.LBB407_682:                            ;   in Loop: Header=BB407_13 Depth=1
	s_or_b32 exec_lo, exec_lo, s22
.LBB407_683:                            ;   in Loop: Header=BB407_13 Depth=1
	s_delay_alu instid0(SALU_CYCLE_1)
	s_or_b32 exec_lo, exec_lo, s21
.LBB407_684:                            ;   in Loop: Header=BB407_13 Depth=1
	s_delay_alu instid0(SALU_CYCLE_1) | instskip(NEXT) | instid1(VALU_DEP_1)
	s_or_b32 exec_lo, exec_lo, s20
	v_mul_f32_e32 v81, v133, v28
	s_delay_alu instid0(VALU_DEP_1) | instskip(NEXT) | instid1(VALU_DEP_1)
	v_and_b32_e32 v28, 0x7f800000, v81
	v_cmp_ne_u32_e64 s2, 0x7f800000, v28
                                        ; implicit-def: $vgpr28
	s_delay_alu instid0(VALU_DEP_1) | instskip(NEXT) | instid1(SALU_CYCLE_1)
	s_and_saveexec_b32 s20, s2
	s_xor_b32 s2, exec_lo, s20
; %bb.685:                              ;   in Loop: Header=BB407_13 Depth=1
	v_bfe_u32 v28, v81, 16, 1
	s_delay_alu instid0(VALU_DEP_1)
	v_add3_u32 v28, v81, v28, 0x7fff
                                        ; implicit-def: $vgpr81
; %bb.686:                              ;   in Loop: Header=BB407_13 Depth=1
	s_and_not1_saveexec_b32 s20, s2
; %bb.687:                              ;   in Loop: Header=BB407_13 Depth=1
	v_and_b32_e32 v28, 0xffff, v81
	v_or_b32_e32 v133, 0x10000, v81
	s_delay_alu instid0(VALU_DEP_2) | instskip(NEXT) | instid1(VALU_DEP_1)
	v_cmp_eq_u32_e64 s2, 0, v28
	v_cndmask_b32_e64 v28, v133, v81, s2
; %bb.688:                              ;   in Loop: Header=BB407_13 Depth=1
	s_or_b32 exec_lo, exec_lo, s20
	v_lshlrev_b32_e32 v92, 16, v54
	v_lshlrev_b32_e32 v93, 16, v55
	;; [unrolled: 1-line block ×4, first 2 shown]
	v_and_b32_e32 v147, 0xffff0000, v147
	v_and_b32_e32 v54, 0xffff0000, v54
	;; [unrolled: 1-line block ×5, first 2 shown]
	s_delay_alu instid0(VALU_DEP_4) | instskip(SKIP_2) | instid1(VALU_DEP_4)
	v_dual_mul_f32 v54, v54, v147 :: v_dual_and_b32 v81, 0xffff0000, v90
	v_and_b32_e32 v80, 0xffff0000, v80
	v_lshlrev_b32_e32 v137, 16, v9
	v_mul_f32_e32 v55, v55, v149
	v_and_b32_e32 v135, 0xffff0000, v135
	v_lshlrev_b32_e32 v132, 16, v132
	v_and_b32_e32 v146, 0xffff0000, v146
	v_and_b32_e32 v133, 0xffff0000, v88
	;; [unrolled: 1-line block ×5, first 2 shown]
	v_lshlrev_b32_e32 v89, 16, v52
	v_and_b32_e32 v52, 0xffff0000, v52
	v_and_b32_e32 v77, 0xffff0000, v77
	;; [unrolled: 1-line block ×3, first 2 shown]
	v_lshlrev_b32_e32 v94, 16, v48
	v_and_b32_e32 v48, 0xffff0000, v48
	v_dual_fmac_f32 v54, v52, v135 :: v_dual_and_b32 v73, 0xffff0000, v73
	v_and_b32_e32 v134, 0xffff0000, v134
	v_lshlrev_b32_e32 v104, 16, v50
	v_lshlrev_b32_e32 v126, 16, v6
	v_and_b32_e32 v163, 0xffff0000, v163
	v_and_b32_e32 v50, 0xffff0000, v50
	v_mul_f32_e32 v146, v92, v146
	v_fmac_f32_e32 v54, v48, v151
	v_and_b32_e32 v79, 0xffff0000, v79
	v_and_b32_e32 v61, 0xffff0000, v61
	v_lshlrev_b32_e32 v90, 16, v53
	v_lshlrev_b32_e32 v106, 16, v35
	;; [unrolled: 1-line block ×3, first 2 shown]
	v_and_b32_e32 v167, 0xffff0000, v167
	v_and_b32_e32 v53, 0xffff0000, v53
	v_dual_fmac_f32 v146, v89, v134 :: v_dual_and_b32 v35, 0xffff0000, v35
	v_dual_fmac_f32 v54, v50, v163 :: v_dual_and_b32 v145, 0xffff0000, v145
	v_and_b32_e32 v76, 0xffff0000, v76
	v_and_b32_e32 v57, 0xffff0000, v57
	v_lshlrev_b32_e32 v95, 16, v49
	v_and_b32_e32 v49, 0xffff0000, v49
	v_dual_fmac_f32 v55, v53, v145 :: v_dual_and_b32 v150, 0xffff0000, v150
	v_dual_fmac_f32 v54, v35, v167 :: v_dual_and_b32 v35, 0xffff0000, v6
	v_and_b32_e32 v161, 0xffff0000, v161
	s_delay_alu instid0(VALU_DEP_3) | instskip(SKIP_2) | instid1(VALU_DEP_4)
	v_dual_fmac_f32 v146, v94, v150 :: v_dual_and_b32 v75, 0xffff0000, v75
	v_and_b32_e32 v72, 0xffff0000, v72
	v_lshlrev_b32_e32 v105, 16, v51
	v_fmac_f32_e32 v55, v49, v161
	v_lshlrev_b32_e32 v127, 16, v7
	v_and_b32_e32 v162, 0xffff0000, v162
	v_and_b32_e32 v51, 0xffff0000, v51
	;; [unrolled: 1-line block ×4, first 2 shown]
	s_delay_alu instid0(VALU_DEP_4) | instskip(SKIP_2) | instid1(VALU_DEP_4)
	v_dual_fmac_f32 v146, v104, v162 :: v_dual_and_b32 v63, 0xffff0000, v63
	v_and_b32_e32 v60, 0xffff0000, v60
	v_lshlrev_b32_e32 v107, 16, v36
	v_dual_fmac_f32 v55, v51, v165 :: v_dual_lshlrev_b32 v122, 16, v16
	v_lshlrev_b32_e32 v125, 16, v19
	v_and_b32_e32 v166, 0xffff0000, v166
	v_and_b32_e32 v36, 0xffff0000, v36
	;; [unrolled: 1-line block ×4, first 2 shown]
	s_delay_alu instid0(VALU_DEP_4) | instskip(SKIP_2) | instid1(VALU_DEP_4)
	v_dual_fmac_f32 v146, v106, v166 :: v_dual_and_b32 v59, 0xffff0000, v59
	v_and_b32_e32 v56, 0xffff0000, v56
	v_lshlrev_b32_e32 v108, 16, v37
	v_fmac_f32_e32 v55, v36, v177
	v_lshlrev_b32_e32 v109, 16, v38
	v_lshlrev_b32_e32 v120, 16, v33
	;; [unrolled: 1-line block ×3, first 2 shown]
	v_and_b32_e32 v178, 0xffff0000, v178
	v_and_b32_e32 v38, 0xffff0000, v38
	v_and_b32_e32 v33, 0xffff0000, v33
	v_and_b32_e32 v181, 0xffff0000, v181
	s_delay_alu instid0(VALU_DEP_4)
	v_dual_fmac_f32 v146, v108, v178 :: v_dual_and_b32 v47, 0xffff0000, v47
	v_and_b32_e32 v44, 0xffff0000, v44
	v_and_b32_e32 v179, 0xffff0000, v179
	v_lshlrev_b32_e32 v110, 16, v31
	v_lshlrev_b32_e32 v121, 16, v34
	v_and_b32_e32 v37, 0xffff0000, v37
	v_dual_fmac_f32 v55, v38, v181 :: v_dual_and_b32 v182, 0xffff0000, v182
	v_and_b32_e32 v45, 0xffff0000, v45
	v_and_b32_e32 v43, 0xffff0000, v43
	v_lshlrev_b32_e32 v111, 16, v32
	s_delay_alu instid0(VALU_DEP_4)
	v_dual_fmac_f32 v146, v110, v182 :: v_dual_and_b32 v31, 0xffff0000, v31
	v_and_b32_e32 v183, 0xffff0000, v183
	v_and_b32_e32 v32, 0xffff0000, v32
	v_dual_fmac_f32 v54, v37, v179 :: v_dual_and_b32 v41, 0xffff0000, v41
	v_and_b32_e32 v34, 0xffff0000, v34
	v_and_b32_e32 v17, 0xffff0000, v17
	;; [unrolled: 1-line block ×3, first 2 shown]
	s_delay_alu instid0(VALU_DEP_4)
	v_fmac_f32_e32 v54, v31, v183
	v_dual_fmac_f32 v55, v32, v41 :: v_dual_and_b32 v40, 0xffff0000, v40
	v_and_b32_e32 v180, 0xffff0000, v180
	ds_load_b64 v[6:7], v116 offset:102
	v_and_b32_e32 v19, 0xffff0000, v19
	v_dual_fmac_f32 v54, v33, v43 :: v_dual_fmac_f32 v55, v34, v45
	v_and_b32_e32 v176, 0xffff0000, v176
	v_and_b32_e32 v91, 0xffff0000, v91
	v_xor_b32_e32 v139, 1, v103
	s_delay_alu instid0(VALU_DEP_4)
	v_dual_fmac_f32 v54, v16, v47 :: v_dual_fmac_f32 v55, v17, v57
	v_and_b32_e32 v164, 0xffff0000, v164
	ds_load_u16 v16, v116 offset:110
	v_and_b32_e32 v17, 0xffff0000, v131
	v_dual_fmac_f32 v54, v18, v59 :: v_dual_fmac_f32 v55, v19, v61
	v_and_b32_e32 v160, 0xffff0000, v160
	v_cmp_gt_i32_e64 s2, 32, v139
	s_delay_alu instid0(VALU_DEP_3) | instskip(NEXT) | instid1(VALU_DEP_1)
	v_dual_fmac_f32 v54, v35, v63 :: v_dual_fmac_f32 v55, v36, v73
	v_dual_fmac_f32 v54, v8, v75 :: v_dual_fmac_f32 v55, v9, v77
	v_mul_f32_e32 v147, v93, v148
	s_waitcnt lgkmcnt(1)
	v_lshlrev_b32_e32 v9, 16, v7
	v_and_b32_e32 v7, 0xffff0000, v7
	v_and_b32_e32 v144, 0xffff0000, v144
	;; [unrolled: 1-line block ×4, first 2 shown]
	v_fmac_f32_e32 v54, v17, v79
	s_delay_alu instid0(VALU_DEP_4) | instskip(SKIP_1) | instid1(VALU_DEP_2)
	v_dual_fmac_f32 v147, v90, v144 :: v_dual_lshlrev_b32 v6, 16, v6
	v_and_b32_e32 v74, 0xffff0000, v74
	v_dual_fmac_f32 v54, v9, v81 :: v_dual_fmac_f32 v55, v6, v88
	s_delay_alu instid0(VALU_DEP_3) | instskip(SKIP_3) | instid1(VALU_DEP_3)
	v_dual_fmac_f32 v147, v95, v160 :: v_dual_and_b32 v62, 0xffff0000, v62
	s_waitcnt lgkmcnt(0)
	v_lshlrev_b32_e32 v6, 16, v16
	v_cndmask_b32_e64 v9, v103, v139, s2
	v_dual_fmac_f32 v147, v105, v164 :: v_dual_and_b32 v58, 0xffff0000, v58
	s_delay_alu instid0(VALU_DEP_1) | instskip(NEXT) | instid1(VALU_DEP_1)
	v_dual_fmac_f32 v147, v107, v176 :: v_dual_and_b32 v46, 0xffff0000, v46
	v_dual_fmac_f32 v147, v109, v180 :: v_dual_and_b32 v42, 0xffff0000, v42
	s_delay_alu instid0(VALU_DEP_1) | instskip(NEXT) | instid1(VALU_DEP_1)
	v_dual_fmac_f32 v147, v111, v40 :: v_dual_fmac_f32 v146, v120, v42
	v_dual_fmac_f32 v147, v121, v44 :: v_dual_fmac_f32 v146, v122, v46
	s_delay_alu instid0(VALU_DEP_1) | instskip(NEXT) | instid1(VALU_DEP_1)
	v_dual_fmac_f32 v147, v123, v56 :: v_dual_fmac_f32 v146, v124, v58
	v_dual_fmac_f32 v147, v125, v60 :: v_dual_fmac_f32 v146, v126, v62
	;; [unrolled: 3-line block ×3, first 2 shown]
	s_delay_alu instid0(VALU_DEP_1) | instskip(NEXT) | instid1(VALU_DEP_2)
	v_fmac_f32_e32 v147, v132, v133
	v_fmac_f32_e32 v146, v8, v80
	s_delay_alu instid0(VALU_DEP_2) | instskip(NEXT) | instid1(VALU_DEP_2)
	v_dual_fmac_f32 v147, v7, v91 :: v_dual_and_b32 v8, 0xffff0000, v28
	v_add_f32_e32 v7, v146, v54
	s_delay_alu instid0(VALU_DEP_1) | instskip(NEXT) | instid1(VALU_DEP_1)
	v_dual_fmac_f32 v55, v6, v8 :: v_dual_add_f32 v6, v7, v147
	v_dual_add_f32 v6, v55, v6 :: v_dual_lshlrev_b32 v7, 2, v9
	ds_bpermute_b32 v7, v7, v6
	s_and_saveexec_b32 s20, vcc_lo
	s_cbranch_execz .LBB407_11
; %bb.689:                              ;   in Loop: Header=BB407_13 Depth=1
	v_add_nc_u32_e32 v8, v128, v117
	s_load_b32 s21, s[8:9], 0x0
	s_waitcnt lgkmcnt(0)
	v_add_f32_e32 v6, v6, v7
	s_delay_alu instid0(VALU_DEP_2) | instskip(NEXT) | instid1(VALU_DEP_1)
	v_cvt_f32_i32_e32 v8, v8
	v_mul_f32_e32 v8, v102, v8
	s_delay_alu instid0(VALU_DEP_1) | instskip(NEXT) | instid1(VALU_DEP_1)
	v_cndmask_b32_e64 v7, 0, v8, s1
	v_dual_max_f32 v8, v112, v112 :: v_dual_fmac_f32 v7, v6, v13
	v_add_nc_u32_e32 v6, v114, v117
	s_delay_alu instid0(VALU_DEP_2) | instskip(NEXT) | instid1(VALU_DEP_2)
	v_max_f32_e32 v8, v8, v7
	v_cmp_lt_i32_e64 s2, v6, v83
	v_add_nc_u32_e32 v6, s21, v119
	s_delay_alu instid0(VALU_DEP_2) | instskip(NEXT) | instid1(VALU_DEP_4)
	v_cndmask_b32_e64 v7, 0, v7, s2
	v_cndmask_b32_e64 v112, v112, v8, s2
	ds_store_b32 v6, v7
	s_branch .LBB407_11
.LBB407_690:
	s_or_b32 exec_lo, exec_lo, s19
.LBB407_691:
	s_delay_alu instid0(SALU_CYCLE_1)
	s_or_b32 exec_lo, exec_lo, s18
	v_xor_b32_e32 v6, 16, v103
	s_waitcnt lgkmcnt(0)
	v_xor_b32_e32 v7, 8, v103
	v_and_b32_e32 v16, 31, v82
	s_lshr_b32 s8, s17, 16
	v_max_f32_e32 v8, v112, v112
	v_cmp_gt_i32_e32 vcc_lo, 32, v6
	v_dual_cndmask_b32 v6, v103, v6 :: v_dual_lshlrev_b32 v19, 2, v21
	v_cmp_gt_i32_e32 vcc_lo, 32, v7
	v_cndmask_b32_e32 v7, v103, v7, vcc_lo
	s_delay_alu instid0(VALU_DEP_1) | instskip(NEXT) | instid1(VALU_DEP_4)
	v_lshlrev_b32_e32 v13, 2, v7
	v_lshlrev_b32_e32 v9, 2, v6
	ds_bpermute_b32 v6, v9, v112
	s_waitcnt lgkmcnt(0)
	v_max_f32_e32 v6, v6, v6
	s_delay_alu instid0(VALU_DEP_1) | instskip(SKIP_4) | instid1(VALU_DEP_1)
	v_max_f32_e32 v6, v8, v6
	v_xor_b32_e32 v8, 4, v103
	ds_bpermute_b32 v7, v13, v6
	v_cmp_gt_i32_e32 vcc_lo, 32, v8
	v_cndmask_b32_e32 v8, v103, v8, vcc_lo
	v_lshlrev_b32_e32 v18, 2, v8
	v_xor_b32_e32 v8, 2, v103
	s_delay_alu instid0(VALU_DEP_1) | instskip(SKIP_4) | instid1(VALU_DEP_3)
	v_cmp_gt_i32_e32 vcc_lo, 32, v8
	s_waitcnt lgkmcnt(0)
	v_max_f32_e32 v7, v7, v7
	v_cndmask_b32_e32 v8, v103, v8, vcc_lo
	v_cmp_eq_u32_e32 vcc_lo, 0, v16
	v_max_f32_e32 v6, v6, v7
	s_delay_alu instid0(VALU_DEP_3) | instskip(SKIP_3) | instid1(VALU_DEP_1)
	v_lshlrev_b32_e32 v8, 2, v8
	ds_bpermute_b32 v7, v18, v6
	s_waitcnt lgkmcnt(0)
	v_max_f32_e32 v7, v7, v7
	v_max_f32_e32 v6, v6, v7
	ds_bpermute_b32 v7, v8, v6
	s_and_saveexec_b32 s1, vcc_lo
	s_cbranch_execz .LBB407_693
; %bb.692:
	s_waitcnt lgkmcnt(0)
	v_dual_max_f32 v7, v7, v7 :: v_dual_max_f32 v6, v6, v6
	s_delay_alu instid0(VALU_DEP_1)
	v_max_f32_e32 v6, v6, v7
	ds_store_b32 v19, v6 offset:224
.LBB407_693:
	s_or_b32 exec_lo, exec_lo, s1
	v_cmp_gt_u32_e64 s1, 4, v16
	v_mov_b32_e32 v6, 0xff7fffff
	v_lshlrev_b32_e32 v24, 2, v16
	s_waitcnt lgkmcnt(0)
	s_barrier
	buffer_gl0_inv
	s_and_saveexec_b32 s2, s1
	s_cbranch_execz .LBB407_695
; %bb.694:
	ds_load_b32 v6, v24 offset:224
.LBB407_695:
	s_or_b32 exec_lo, exec_lo, s2
	s_waitcnt lgkmcnt(0)
	ds_bpermute_b32 v7, v8, v6
	v_xor_b32_e32 v17, 1, v103
	v_max_f32_e32 v6, v6, v6
	v_subrev_nc_u32_e32 v28, s13, v96
	v_mov_b32_e32 v25, 0
	s_delay_alu instid0(VALU_DEP_4) | instskip(NEXT) | instid1(VALU_DEP_1)
	v_cmp_gt_i32_e64 s2, 32, v17
	v_cndmask_b32_e64 v17, v103, v17, s2
	s_waitcnt lgkmcnt(0)
	v_max_f32_e32 v7, v7, v7
	s_delay_alu instid0(VALU_DEP_1) | instskip(SKIP_3) | instid1(VALU_DEP_1)
	v_dual_max_f32 v6, v6, v7 :: v_dual_lshlrev_b32 v17, 2, v17
	ds_bpermute_b32 v7, v17, v6
	s_waitcnt lgkmcnt(0)
	v_max_f32_e32 v7, v7, v7
	v_max_f32_e32 v6, v6, v7
	v_lshl_add_u32 v7, v28, 4, s15
	ds_bpermute_b32 v6, v25, v6
	v_min_i32_e32 v7, v7, v83
	s_delay_alu instid0(VALU_DEP_1) | instskip(NEXT) | instid1(VALU_DEP_1)
	v_subrev_nc_u32_e32 v7, s15, v7
	v_cmp_lt_i32_e64 s2, v82, v7
	s_delay_alu instid0(VALU_DEP_1)
	s_and_saveexec_b32 s9, s2
	s_cbranch_execz .LBB407_699
; %bb.696:
	s_getpc_b64 s[18:19]
	s_add_u32 s18, s18, llvm.amdgcn.dynlds.offset.table@rel32@lo+4
	s_addc_u32 s19, s19, llvm.amdgcn.dynlds.offset.table@rel32@hi+12
	s_ashr_i32 s11, s10, 31
	v_mov_b32_e32 v25, 0
	s_lshl_b64 s[20:21], s[10:11], 2
	v_mov_b32_e32 v29, v82
	s_add_u32 s18, s20, s18
	s_addc_u32 s19, s21, s19
	s_mov_b32 s11, 0
	s_load_b32 s3, s[18:19], 0x0
	s_waitcnt lgkmcnt(0)
	v_lshl_add_u32 v28, v82, 2, s3
	.p2align	6
.LBB407_697:                            ; =>This Inner Loop Header: Depth=1
	ds_load_b32 v31, v28
	v_add_nc_u32_e32 v29, 0x80, v29
	s_delay_alu instid0(VALU_DEP_1) | instskip(NEXT) | instid1(VALU_DEP_1)
	v_cmp_ge_i32_e64 s3, v29, v7
	s_or_b32 s11, s3, s11
	s_waitcnt lgkmcnt(0)
	v_sub_f32_e32 v31, v31, v6
	s_delay_alu instid0(VALU_DEP_1) | instskip(NEXT) | instid1(VALU_DEP_1)
	v_mul_f32_e32 v31, 0x3fb8aa3b, v31
	v_exp_f32_e32 v31, v31
	ds_store_b32 v28, v31
	v_dual_add_f32 v25, v25, v31 :: v_dual_add_nc_u32 v28, 0x200, v28
	s_and_not1_b32 exec_lo, exec_lo, s11
	s_cbranch_execnz .LBB407_697
; %bb.698:
	s_or_b32 exec_lo, exec_lo, s11
.LBB407_699:
	s_delay_alu instid0(SALU_CYCLE_1)
	s_or_b32 exec_lo, exec_lo, s9
	ds_bpermute_b32 v9, v9, v25
	s_waitcnt lgkmcnt(0)
	v_add_f32_e32 v9, v25, v9
	ds_bpermute_b32 v13, v13, v9
	s_waitcnt lgkmcnt(0)
	v_add_f32_e32 v9, v9, v13
	;; [unrolled: 3-line block ×5, first 2 shown]
	s_and_saveexec_b32 s3, vcc_lo
	s_cbranch_execz .LBB407_701
; %bb.700:
	ds_store_b32 v19, v9 offset:240
.LBB407_701:
	s_or_b32 exec_lo, exec_lo, s3
	s_waitcnt lgkmcnt(0)
	s_barrier
	buffer_gl0_inv
	s_and_saveexec_b32 s3, s1
	s_cbranch_execz .LBB407_703
; %bb.702:
	ds_load_b32 v9, v24 offset:240
.LBB407_703:
	s_or_b32 exec_lo, exec_lo, s3
	s_waitcnt lgkmcnt(0)
	ds_bpermute_b32 v8, v8, v9
	s_waitcnt lgkmcnt(0)
	v_add_f32_e32 v8, v9, v8
	ds_bpermute_b32 v9, v17, v8
	s_waitcnt lgkmcnt(0)
	v_dual_add_f32 v8, v8, v9 :: v_dual_mov_b32 v9, 0
	ds_bpermute_b32 v8, v9, v8
	s_and_saveexec_b32 s1, s2
	s_cbranch_execz .LBB407_706
; %bb.704:
	s_waitcnt lgkmcnt(0)
	v_add_f32_e32 v13, 0x358637bd, v8
	s_getpc_b64 s[2:3]
	s_add_u32 s2, s2, llvm.amdgcn.dynlds.offset.table@rel32@lo+4
	s_addc_u32 s3, s3, llvm.amdgcn.dynlds.offset.table@rel32@hi+12
	s_ashr_i32 s11, s10, 31
	s_delay_alu instid0(SALU_CYCLE_1) | instskip(SKIP_4) | instid1(VALU_DEP_1)
	s_lshl_b64 s[18:19], s[10:11], 2
	v_div_scale_f32 v9, null, v13, v13, 1.0
	s_add_u32 s2, s18, s2
	s_addc_u32 s3, s19, s3
	s_load_b32 s2, s[2:3], 0x0
	v_rcp_f32_e32 v18, v9
	s_waitcnt_depctr 0xfff
	v_fma_f32 v19, -v9, v18, 1.0
	s_delay_alu instid0(VALU_DEP_1) | instskip(SKIP_1) | instid1(VALU_DEP_1)
	v_fmac_f32_e32 v18, v19, v18
	v_div_scale_f32 v24, vcc_lo, 1.0, v13, 1.0
	v_mul_f32_e32 v19, v24, v18
	s_delay_alu instid0(VALU_DEP_1) | instskip(NEXT) | instid1(VALU_DEP_1)
	v_fma_f32 v25, -v9, v19, v24
	v_fmac_f32_e32 v19, v25, v18
	s_delay_alu instid0(VALU_DEP_1) | instskip(NEXT) | instid1(VALU_DEP_1)
	v_fma_f32 v9, -v9, v19, v24
	v_div_fmas_f32 v18, v9, v18, v19
	s_waitcnt lgkmcnt(0)
	v_lshl_add_u32 v9, v82, 2, s2
	s_mov_b32 s2, 0
	s_delay_alu instid0(VALU_DEP_2)
	v_div_fixup_f32 v13, v18, v13, 1.0
	v_mov_b32_e32 v18, v82
.LBB407_705:                            ; =>This Inner Loop Header: Depth=1
	ds_load_b32 v19, v9
	s_waitcnt lgkmcnt(0)
	v_dual_mul_f32 v19, v13, v19 :: v_dual_add_nc_u32 v18, 0x80, v18
	s_delay_alu instid0(VALU_DEP_1) | instskip(SKIP_3) | instid1(SALU_CYCLE_1)
	v_cmp_ge_i32_e32 vcc_lo, v18, v7
	ds_store_b32 v9, v19
	v_add_nc_u32_e32 v9, 0x200, v9
	s_or_b32 s2, vcc_lo, s2
	s_and_not1_b32 exec_lo, exec_lo, s2
	s_cbranch_execnz .LBB407_705
.LBB407_706:
	s_or_b32 exec_lo, exec_lo, s1
	v_cmp_ne_u16_e64 s1, s8, 0
	s_mov_b32 s2, exec_lo
	s_waitcnt lgkmcnt(0)
	s_barrier
	buffer_gl0_inv
	s_cmp_lg_u32 s1, 0
	s_addc_u32 s1, s7, 0
	v_cmpx_eq_u32_e32 0, v82
	s_cbranch_execz .LBB407_708
; %bb.707:
	s_mul_i32 s3, s1, s4
	s_mul_i32 s8, s1, s12
	;; [unrolled: 1-line block ×3, first 2 shown]
	s_ashr_i32 s9, s8, 31
	s_ashr_i32 s15, s14, 31
	;; [unrolled: 1-line block ×3, first 2 shown]
	s_lshl_b64 s[8:9], s[8:9], 2
	s_lshl_b64 s[18:19], s[14:15], 2
	;; [unrolled: 1-line block ×3, first 2 shown]
	s_add_u32 s3, s18, s8
	s_addc_u32 s7, s19, s9
	s_add_u32 s3, s3, s12
	s_addc_u32 s7, s7, s13
	v_add_co_u32 v2, vcc_lo, s3, v2
	v_add_co_ci_u32_e32 v3, vcc_lo, s7, v3, vcc_lo
	v_add_co_u32 v0, vcc_lo, s3, v0
	v_add_co_ci_u32_e32 v1, vcc_lo, s7, v1, vcc_lo
	flat_store_b32 v[2:3], v6
	flat_store_b32 v[0:1], v8
.LBB407_708:
	s_or_b32 exec_lo, exec_lo, s2
	s_getpc_b64 s[2:3]
	s_add_u32 s2, s2, llvm.amdgcn.dynlds.offset.table@rel32@lo+4
	s_addc_u32 s3, s3, llvm.amdgcn.dynlds.offset.table@rel32@hi+12
	s_ashr_i32 s11, s10, 31
	v_dual_mov_b32 v31, 0 :: v_dual_mov_b32 v18, 0
	s_lshl_b64 s[8:9], s[10:11], 2
	v_dual_mov_b32 v24, 0 :: v_dual_mov_b32 v19, 0
	s_add_u32 s2, s8, s2
	s_addc_u32 s3, s9, s3
	v_dual_mov_b32 v25, 0 :: v_dual_mov_b32 v28, 0
	s_load_b32 s11, s[2:3], 0x0
	s_mov_b32 s10, 0
	s_waitcnt lgkmcnt(0)
	v_dual_mov_b32 v29, 0 :: v_dual_mov_b32 v0, s11
	s_and_saveexec_b32 s7, s0
	s_cbranch_execz .LBB407_1656
; %bb.709:
	v_max_i32_e32 v30, v30, v100
	v_add_co_u32 v2, vcc_lo, v10, v12
	v_dual_mov_b32 v29, 0 :: v_dual_and_b32 v6, 0xf8, v98
	s_delay_alu instid0(VALU_DEP_3) | instskip(SKIP_3) | instid1(VALU_DEP_4)
	v_cvt_f32_u32_e32 v0, v30
	v_sub_nc_u32_e32 v9, 0, v30
	v_add_co_ci_u32_e32 v3, vcc_lo, v11, v101, vcc_lo
	v_dual_mov_b32 v25, 0 :: v_dual_lshlrev_b32 v8, 5, v84
	v_rcp_iflag_f32_e32 v0, v0
	v_and_b32_e32 v32, 8, v98
	v_add_co_u32 v11, vcc_lo, v2, v6
	v_add_co_ci_u32_e32 v12, vcc_lo, 0, v3, vcc_lo
	v_lshl_or_b32 v2, v21, 6, v8
	v_dual_mov_b32 v10, 0 :: v_dual_add_nc_u32 v33, -1, v99
	v_dual_mov_b32 v28, 0 :: v_dual_mov_b32 v19, 0
	s_delay_alu instid0(TRANS32_DEP_1) | instskip(SKIP_3) | instid1(VALU_DEP_4)
	v_mul_f32_e32 v7, 0x4f7ffffe, v0
	v_lshlrev_b64 v[0:1], 2, v[64:65]
	v_dual_mov_b32 v18, 0 :: v_dual_mov_b32 v31, 0
	v_add_nc_u32_e32 v34, s11, v2
	v_cvt_u32_f32_e32 v7, v7
	s_mov_b32 s8, -1
	s_delay_alu instid0(VALU_DEP_4) | instskip(SKIP_1) | instid1(VALU_DEP_3)
	v_add_co_u32 v0, vcc_lo, v66, v0
	v_add_co_ci_u32_e32 v1, vcc_lo, v67, v1, vcc_lo
	v_mul_lo_u32 v9, v9, v7
	s_delay_alu instid0(VALU_DEP_3) | instskip(NEXT) | instid1(VALU_DEP_3)
	v_add_co_u32 v13, vcc_lo, v14, v0
	v_add_co_ci_u32_e32 v14, vcc_lo, v15, v1, vcc_lo
	s_mov_b32 s9, 0xffffff
	s_delay_alu instid0(VALU_DEP_3) | instskip(NEXT) | instid1(VALU_DEP_1)
	v_mul_hi_u32 v3, v7, v9
	v_dual_mov_b32 v24, 0 :: v_dual_add_nc_u32 v15, v7, v3
	s_branch .LBB407_712
.LBB407_710:                            ;   in Loop: Header=BB407_712 Depth=1
	s_or_b32 exec_lo, exec_lo, s0
	v_and_b32_e32 v7, 0xffff0000, v7
	v_and_b32_e32 v69, 0xffff0000, v149
	;; [unrolled: 1-line block ×7, first 2 shown]
	v_dual_add_f32 v6, v6, v7 :: v_dual_and_b32 v65, 0xffff0000, v165
	v_and_b32_e32 v54, 0xffff0000, v176
	v_and_b32_e32 v70, 0xffff0000, v151
	;; [unrolled: 1-line block ×3, first 2 shown]
	s_delay_alu instid0(VALU_DEP_4)
	v_dual_add_f32 v7, v65, v55 :: v_dual_and_b32 v48, 0xffff0000, v48
	v_and_b32_e32 v55, 0xffff0000, v160
	v_and_b32_e32 v68, 0xffff0000, v178
	;; [unrolled: 1-line block ×4, first 2 shown]
	v_dual_add_f32 v6, v6, v7 :: v_dual_and_b32 v67, 0xffff0000, v177
	v_add_f32_e32 v55, v70, v55
	v_and_b32_e32 v66, 0xffff0000, v167
	v_and_b32_e32 v70, 0xffff0000, v101
	v_dual_add_f32 v35, v35, v36 :: v_dual_and_b32 v38, 0xffff0000, v38
	v_and_b32_e32 v1, 0xffff0000, v1
	s_delay_alu instid0(VALU_DEP_4) | instskip(SKIP_1) | instid1(VALU_DEP_4)
	v_add_f32_e32 v7, v66, v54
	v_and_b32_e32 v71, 0xffff0000, v103
	v_dual_add_f32 v36, v37, v38 :: v_dual_and_b32 v51, 0xffff0000, v51
	s_delay_alu instid0(VALU_DEP_3) | instskip(SKIP_3) | instid1(VALU_DEP_3)
	v_dual_add_f32 v6, v6, v7 :: v_dual_and_b32 v37, 0xffff0000, v52
	v_dual_add_f32 v7, v67, v68 :: v_dual_and_b32 v68, 0xffff0000, v119
	v_and_b32_e32 v0, 0xffff0000, v0
	v_and_b32_e32 v50, 0xffff0000, v50
	v_add_f32_e32 v6, v6, v7
	s_delay_alu instid0(VALU_DEP_3) | instskip(NEXT) | instid1(VALU_DEP_2)
	v_dual_add_f32 v0, v0, v1 :: v_dual_add_f32 v1, v2, v3
	v_dual_add_f32 v3, v35, v36 :: v_dual_add_f32 v18, v18, v6
	v_dual_add_f32 v65, v69, v65 :: v_dual_and_b32 v54, 0xffff0000, v162
	v_and_b32_e32 v69, 0xffff0000, v129
	v_and_b32_e32 v2, 0xffff0000, v9
	;; [unrolled: 1-line block ×3, first 2 shown]
	s_delay_alu instid0(VALU_DEP_4) | instskip(SKIP_1) | instid1(VALU_DEP_4)
	v_dual_add_f32 v55, v65, v55 :: v_dual_and_b32 v66, 0xffff0000, v161
	v_dual_add_f32 v0, v0, v1 :: v_dual_and_b32 v65, 0xffff0000, v164
	;; [unrolled: 1-line block ×3, first 2 shown]
	s_delay_alu instid0(VALU_DEP_3) | instskip(NEXT) | instid1(VALU_DEP_2)
	v_add_f32_e32 v54, v66, v54
	v_dual_add_f32 v0, v0, v1 :: v_dual_add_f32 v1, v35, v2
	s_delay_alu instid0(VALU_DEP_2) | instskip(SKIP_1) | instid1(VALU_DEP_3)
	v_add_f32_e32 v7, v55, v54
	v_and_b32_e32 v67, 0xffff0000, v163
	v_dual_add_f32 v0, v0, v1 :: v_dual_and_b32 v55, 0xffff0000, v144
	s_delay_alu instid0(VALU_DEP_2) | instskip(SKIP_1) | instid1(VALU_DEP_3)
	v_dual_add_f32 v54, v67, v65 :: v_dual_and_b32 v65, 0xffff0000, v134
	v_and_b32_e32 v67, 0xffff0000, v135
	v_dual_add_f32 v31, v31, v0 :: v_dual_and_b32 v66, 0xffff0000, v133
	s_delay_alu instid0(VALU_DEP_3) | instskip(NEXT) | instid1(VALU_DEP_2)
	v_add_f32_e32 v6, v7, v54
	v_dual_add_f32 v55, v67, v55 :: v_dual_add_f32 v54, v66, v65
	s_delay_alu instid0(VALU_DEP_2) | instskip(NEXT) | instid1(VALU_DEP_2)
	v_dual_add_f32 v24, v24, v6 :: v_dual_and_b32 v65, 0xffff0000, v145
	v_dual_add_f32 v54, v54, v55 :: v_dual_and_b32 v55, 0xffff0000, v128
	s_delay_alu instid0(VALU_DEP_1) | instskip(NEXT) | instid1(VALU_DEP_1)
	v_dual_add_f32 v55, v68, v55 :: v_dual_and_b32 v68, 0xffff0000, v102
	v_dual_add_f32 v68, v70, v68 :: v_dual_and_b32 v7, 0xffff0000, v146
	v_and_b32_e32 v66, 0xffff0000, v148
	s_delay_alu instid0(VALU_DEP_2) | instskip(SKIP_1) | instid1(VALU_DEP_2)
	v_dual_add_f32 v7, v65, v7 :: v_dual_and_b32 v70, 0xffff0000, v113
	v_and_b32_e32 v65, 0xffff0000, v118
	v_dual_add_f32 v7, v54, v7 :: v_dual_and_b32 v54, 0xffff0000, v130
	s_delay_alu instid0(VALU_DEP_1) | instskip(NEXT) | instid1(VALU_DEP_1)
	v_dual_add_f32 v54, v69, v54 :: v_dual_and_b32 v67, 0xffff0000, v117
	v_dual_add_f32 v65, v67, v65 :: v_dual_and_b32 v6, 0xffff0000, v147
	s_delay_alu instid0(VALU_DEP_1) | instskip(SKIP_1) | instid1(VALU_DEP_3)
	v_dual_add_f32 v6, v6, v66 :: v_dual_and_b32 v67, 0xffff0000, v112
	v_and_b32_e32 v69, 0xffff0000, v132
	v_add_f32_e32 v55, v65, v55
	v_and_b32_e32 v65, 0xffff0000, v114
	s_delay_alu instid0(VALU_DEP_4) | instskip(SKIP_1) | instid1(VALU_DEP_3)
	v_add_f32_e32 v67, v71, v67
	v_add_f32_e32 v2, v7, v6
	v_dual_add_f32 v54, v55, v54 :: v_dual_add_f32 v65, v70, v65
	s_delay_alu instid0(VALU_DEP_3)
	v_add_f32_e32 v66, v68, v67
	v_and_b32_e32 v80, 0xffff0000, v131
	v_and_b32_e32 v68, 0xffff0000, v116
	;; [unrolled: 1-line block ×3, first 2 shown]
	v_add_f32_e32 v19, v19, v2
	v_add_f32_e32 v65, v66, v65
	;; [unrolled: 1-line block ×3, first 2 shown]
	s_delay_alu instid0(VALU_DEP_4) | instskip(NEXT) | instid1(VALU_DEP_1)
	v_dual_add_f32 v8, v67, v68 :: v_dual_and_b32 v49, 0xffff0000, v49
	v_dual_add_f32 v6, v54, v55 :: v_dual_add_f32 v9, v48, v49
	s_delay_alu instid0(VALU_DEP_2) | instskip(NEXT) | instid1(VALU_DEP_2)
	v_add_f32_e32 v7, v65, v8
	v_add_f32_e32 v25, v25, v6
	s_delay_alu instid0(VALU_DEP_3) | instskip(SKIP_1) | instid1(VALU_DEP_1)
	v_add_f32_e32 v3, v3, v9
	v_add_f32_e32 v9, v50, v51
	v_dual_add_f32 v28, v28, v7 :: v_dual_add_f32 v3, v3, v9
	s_delay_alu instid0(VALU_DEP_1)
	v_add_f32_e32 v29, v29, v3
.LBB407_711:                            ;   in Loop: Header=BB407_712 Depth=1
	s_or_b32 exec_lo, exec_lo, s11
	v_add_nc_u32_e32 v64, 4, v64
	v_add_co_u32 v13, s0, v13, 16
	s_delay_alu instid0(VALU_DEP_1) | instskip(NEXT) | instid1(VALU_DEP_3)
	v_add_co_ci_u32_e64 v14, s0, 0, v14, s0
	v_cmp_ge_i32_e32 vcc_lo, v64, v96
	v_add_nc_u32_e32 v23, 64, v23
	v_add_nc_u32_e32 v34, 0x100, v34
	s_or_b32 s10, vcc_lo, s10
	s_delay_alu instid0(SALU_CYCLE_1)
	s_and_not1_b32 exec_lo, exec_lo, s10
	s_cbranch_execz .LBB407_1655
.LBB407_712:                            ; =>This Inner Loop Header: Depth=1
	v_sub_nc_u32_e32 v0, 0, v23
	s_delay_alu instid0(VALU_DEP_1) | instskip(NEXT) | instid1(VALU_DEP_1)
	v_max_i32_e32 v0, v23, v0
	v_mul_hi_u32 v1, v0, v86
	s_delay_alu instid0(VALU_DEP_1) | instskip(NEXT) | instid1(VALU_DEP_1)
	v_mul_lo_u32 v2, v1, v85
	v_sub_nc_u32_e32 v0, v0, v2
	v_add_nc_u32_e32 v2, 1, v1
	s_delay_alu instid0(VALU_DEP_2) | instskip(SKIP_1) | instid1(VALU_DEP_2)
	v_sub_nc_u32_e32 v3, v0, v85
	v_cmp_ge_u32_e32 vcc_lo, v0, v85
	v_dual_cndmask_b32 v1, v1, v2 :: v_dual_cndmask_b32 v0, v0, v3
	v_ashrrev_i32_e32 v2, 31, v23
	s_delay_alu instid0(VALU_DEP_2) | instskip(NEXT) | instid1(VALU_DEP_3)
	v_add_nc_u32_e32 v3, 1, v1
	v_cmp_ge_u32_e32 vcc_lo, v0, v85
	s_delay_alu instid0(VALU_DEP_3) | instskip(NEXT) | instid1(VALU_DEP_3)
	v_xor_b32_e32 v2, v2, v87
	v_cndmask_b32_e32 v0, v1, v3, vcc_lo
	s_delay_alu instid0(VALU_DEP_1) | instskip(NEXT) | instid1(VALU_DEP_1)
	v_xor_b32_e32 v0, v0, v2
	v_sub_nc_u32_e32 v0, v0, v2
	s_delay_alu instid0(VALU_DEP_1) | instskip(SKIP_1) | instid1(VALU_DEP_2)
	v_add_nc_u32_e32 v1, v0, v20
	v_cmp_gt_i32_e64 s0, v0, v97
	v_sub_nc_u32_e32 v2, 0, v1
	s_delay_alu instid0(VALU_DEP_1) | instskip(NEXT) | instid1(VALU_DEP_1)
	v_max_i32_e32 v2, v1, v2
	v_mul_hi_u32 v3, v2, v15
	s_delay_alu instid0(VALU_DEP_1) | instskip(NEXT) | instid1(VALU_DEP_1)
	v_mul_lo_u32 v3, v3, v30
	v_sub_nc_u32_e32 v2, v2, v3
	s_delay_alu instid0(VALU_DEP_1) | instskip(SKIP_1) | instid1(VALU_DEP_2)
	v_sub_nc_u32_e32 v3, v2, v30
	v_cmp_ge_u32_e32 vcc_lo, v2, v30
	v_cndmask_b32_e32 v2, v2, v3, vcc_lo
	v_ashrrev_i32_e32 v1, 31, v1
	s_delay_alu instid0(VALU_DEP_2) | instskip(SKIP_1) | instid1(VALU_DEP_2)
	v_sub_nc_u32_e32 v3, v2, v30
	v_cmp_ge_u32_e32 vcc_lo, v2, v30
	v_cndmask_b32_e32 v2, v2, v3, vcc_lo
	s_delay_alu instid0(VALU_DEP_1) | instskip(NEXT) | instid1(VALU_DEP_1)
	v_xor_b32_e32 v2, v2, v1
	v_sub_nc_u32_e32 v1, v2, v1
	s_delay_alu instid0(VALU_DEP_1) | instskip(SKIP_1) | instid1(SALU_CYCLE_1)
	v_cmp_eq_u32_e32 vcc_lo, 0, v1
	s_or_b32 s0, vcc_lo, s0
	s_and_saveexec_b32 s11, s0
	s_cbranch_execz .LBB407_711
; %bb.713:                              ;   in Loop: Header=BB407_712 Depth=1
	flat_load_b32 v52, v[13:14]
	ds_load_2addr_b64 v[6:9], v34 offset1:1
	ds_load_2addr_b64 v[0:3], v34 offset0:2 offset1:3
	s_waitcnt lgkmcnt(1)
	v_and_b32_e32 v35, 0x7f800000, v6
	s_delay_alu instid0(VALU_DEP_1) | instskip(SKIP_1) | instid1(SALU_CYCLE_1)
	v_cmp_ne_u32_e32 vcc_lo, 0x7f800000, v35
                                        ; implicit-def: $vgpr35
	s_and_saveexec_b32 s0, vcc_lo
	s_xor_b32 s0, exec_lo, s0
; %bb.714:                              ;   in Loop: Header=BB407_712 Depth=1
	v_bfe_u32 v35, v6, 16, 1
	s_delay_alu instid0(VALU_DEP_1)
	v_add3_u32 v35, v6, v35, 0x7fff
; %bb.715:                              ;   in Loop: Header=BB407_712 Depth=1
	s_and_not1_saveexec_b32 s0, s0
; %bb.716:                              ;   in Loop: Header=BB407_712 Depth=1
	v_and_b32_e32 v35, 0xffff, v6
	v_or_b32_e32 v36, 0x10000, v6
	s_delay_alu instid0(VALU_DEP_2) | instskip(NEXT) | instid1(VALU_DEP_2)
	v_cmp_eq_u32_e32 vcc_lo, 0, v35
	v_cndmask_b32_e32 v35, v36, v6, vcc_lo
; %bb.717:                              ;   in Loop: Header=BB407_712 Depth=1
	s_or_b32 exec_lo, exec_lo, s0
	v_and_b32_e32 v6, 0x7f800000, v7
	s_mov_b32 s0, exec_lo
                                        ; implicit-def: $vgpr36
	s_delay_alu instid0(VALU_DEP_1)
	v_cmpx_ne_u32_e32 0x7f800000, v6
	s_xor_b32 s0, exec_lo, s0
; %bb.718:                              ;   in Loop: Header=BB407_712 Depth=1
	v_bfe_u32 v6, v7, 16, 1
	s_delay_alu instid0(VALU_DEP_1)
	v_add3_u32 v36, v7, v6, 0x7fff
; %bb.719:                              ;   in Loop: Header=BB407_712 Depth=1
	s_and_not1_saveexec_b32 s0, s0
; %bb.720:                              ;   in Loop: Header=BB407_712 Depth=1
	v_and_b32_e32 v6, 0xffff, v7
	v_or_b32_e32 v36, 0x10000, v7
	s_delay_alu instid0(VALU_DEP_2) | instskip(NEXT) | instid1(VALU_DEP_2)
	v_cmp_eq_u32_e32 vcc_lo, 0, v6
	v_cndmask_b32_e32 v36, v36, v7, vcc_lo
; %bb.721:                              ;   in Loop: Header=BB407_712 Depth=1
	s_or_b32 exec_lo, exec_lo, s0
	v_and_b32_e32 v6, 0x7f800000, v8
	s_mov_b32 s0, exec_lo
                                        ; implicit-def: $vgpr37
	s_delay_alu instid0(VALU_DEP_1)
	v_cmpx_ne_u32_e32 0x7f800000, v6
	s_xor_b32 s0, exec_lo, s0
; %bb.722:                              ;   in Loop: Header=BB407_712 Depth=1
	v_bfe_u32 v6, v8, 16, 1
	s_delay_alu instid0(VALU_DEP_1)
	v_add3_u32 v37, v8, v6, 0x7fff
; %bb.723:                              ;   in Loop: Header=BB407_712 Depth=1
	s_and_not1_saveexec_b32 s0, s0
; %bb.724:                              ;   in Loop: Header=BB407_712 Depth=1
	v_and_b32_e32 v6, 0xffff, v8
	v_or_b32_e32 v7, 0x10000, v8
	s_delay_alu instid0(VALU_DEP_2) | instskip(NEXT) | instid1(VALU_DEP_2)
	v_cmp_eq_u32_e32 vcc_lo, 0, v6
	v_cndmask_b32_e32 v37, v7, v8, vcc_lo
; %bb.725:                              ;   in Loop: Header=BB407_712 Depth=1
	s_or_b32 exec_lo, exec_lo, s0
	v_and_b32_e32 v6, 0x7f800000, v9
	s_mov_b32 s0, exec_lo
                                        ; implicit-def: $vgpr38
	s_delay_alu instid0(VALU_DEP_1)
	v_cmpx_ne_u32_e32 0x7f800000, v6
	s_xor_b32 s0, exec_lo, s0
; %bb.726:                              ;   in Loop: Header=BB407_712 Depth=1
	v_bfe_u32 v6, v9, 16, 1
	s_delay_alu instid0(VALU_DEP_1)
	v_add3_u32 v38, v9, v6, 0x7fff
                                        ; implicit-def: $vgpr6_vgpr7_vgpr8_vgpr9
; %bb.727:                              ;   in Loop: Header=BB407_712 Depth=1
	s_and_not1_saveexec_b32 s0, s0
; %bb.728:                              ;   in Loop: Header=BB407_712 Depth=1
	v_and_b32_e32 v6, 0xffff, v9
	v_or_b32_e32 v7, 0x10000, v9
	s_delay_alu instid0(VALU_DEP_2) | instskip(NEXT) | instid1(VALU_DEP_2)
	v_cmp_eq_u32_e32 vcc_lo, 0, v6
	v_cndmask_b32_e32 v38, v7, v9, vcc_lo
; %bb.729:                              ;   in Loop: Header=BB407_712 Depth=1
	s_or_b32 exec_lo, exec_lo, s0
	s_waitcnt lgkmcnt(0)
	v_and_b32_e32 v6, 0x7f800000, v0
	s_mov_b32 s0, exec_lo
                                        ; implicit-def: $vgpr48
	s_delay_alu instid0(VALU_DEP_1)
	v_cmpx_ne_u32_e32 0x7f800000, v6
	s_xor_b32 s0, exec_lo, s0
; %bb.730:                              ;   in Loop: Header=BB407_712 Depth=1
	v_bfe_u32 v6, v0, 16, 1
	s_delay_alu instid0(VALU_DEP_1)
	v_add3_u32 v48, v0, v6, 0x7fff
; %bb.731:                              ;   in Loop: Header=BB407_712 Depth=1
	s_and_not1_saveexec_b32 s0, s0
; %bb.732:                              ;   in Loop: Header=BB407_712 Depth=1
	v_and_b32_e32 v6, 0xffff, v0
	v_or_b32_e32 v7, 0x10000, v0
	s_delay_alu instid0(VALU_DEP_2) | instskip(NEXT) | instid1(VALU_DEP_2)
	v_cmp_eq_u32_e32 vcc_lo, 0, v6
	v_cndmask_b32_e32 v48, v7, v0, vcc_lo
; %bb.733:                              ;   in Loop: Header=BB407_712 Depth=1
	s_or_b32 exec_lo, exec_lo, s0
	v_and_b32_e32 v0, 0x7f800000, v1
	s_mov_b32 s0, exec_lo
                                        ; implicit-def: $vgpr49
	s_delay_alu instid0(VALU_DEP_1)
	v_cmpx_ne_u32_e32 0x7f800000, v0
	s_xor_b32 s0, exec_lo, s0
; %bb.734:                              ;   in Loop: Header=BB407_712 Depth=1
	v_bfe_u32 v0, v1, 16, 1
	s_delay_alu instid0(VALU_DEP_1)
	v_add3_u32 v49, v1, v0, 0x7fff
; %bb.735:                              ;   in Loop: Header=BB407_712 Depth=1
	s_and_not1_saveexec_b32 s0, s0
; %bb.736:                              ;   in Loop: Header=BB407_712 Depth=1
	v_and_b32_e32 v0, 0xffff, v1
	v_or_b32_e32 v6, 0x10000, v1
	s_delay_alu instid0(VALU_DEP_2) | instskip(NEXT) | instid1(VALU_DEP_2)
	v_cmp_eq_u32_e32 vcc_lo, 0, v0
	v_cndmask_b32_e32 v49, v6, v1, vcc_lo
; %bb.737:                              ;   in Loop: Header=BB407_712 Depth=1
	s_or_b32 exec_lo, exec_lo, s0
	v_and_b32_e32 v0, 0x7f800000, v2
	s_mov_b32 s0, exec_lo
                                        ; implicit-def: $vgpr50
	s_delay_alu instid0(VALU_DEP_1)
	v_cmpx_ne_u32_e32 0x7f800000, v0
	s_xor_b32 s0, exec_lo, s0
; %bb.738:                              ;   in Loop: Header=BB407_712 Depth=1
	v_bfe_u32 v0, v2, 16, 1
	s_delay_alu instid0(VALU_DEP_1)
	v_add3_u32 v50, v2, v0, 0x7fff
; %bb.739:                              ;   in Loop: Header=BB407_712 Depth=1
	s_and_not1_saveexec_b32 s0, s0
; %bb.740:                              ;   in Loop: Header=BB407_712 Depth=1
	v_and_b32_e32 v0, 0xffff, v2
	v_or_b32_e32 v1, 0x10000, v2
	s_delay_alu instid0(VALU_DEP_2) | instskip(NEXT) | instid1(VALU_DEP_2)
	v_cmp_eq_u32_e32 vcc_lo, 0, v0
	v_cndmask_b32_e32 v50, v1, v2, vcc_lo
; %bb.741:                              ;   in Loop: Header=BB407_712 Depth=1
	s_or_b32 exec_lo, exec_lo, s0
	v_and_b32_e32 v0, 0x7f800000, v3
	s_mov_b32 s0, exec_lo
                                        ; implicit-def: $vgpr51
	s_delay_alu instid0(VALU_DEP_1)
	v_cmpx_ne_u32_e32 0x7f800000, v0
	s_xor_b32 s0, exec_lo, s0
; %bb.742:                              ;   in Loop: Header=BB407_712 Depth=1
	v_bfe_u32 v0, v3, 16, 1
	s_delay_alu instid0(VALU_DEP_1)
	v_add3_u32 v51, v3, v0, 0x7fff
                                        ; implicit-def: $vgpr0_vgpr1_vgpr2_vgpr3
; %bb.743:                              ;   in Loop: Header=BB407_712 Depth=1
	s_and_not1_saveexec_b32 s0, s0
; %bb.744:                              ;   in Loop: Header=BB407_712 Depth=1
	v_and_b32_e32 v0, 0xffff, v3
	v_or_b32_e32 v1, 0x10000, v3
	s_delay_alu instid0(VALU_DEP_2) | instskip(NEXT) | instid1(VALU_DEP_2)
	v_cmp_eq_u32_e32 vcc_lo, 0, v0
	v_cndmask_b32_e32 v51, v1, v3, vcc_lo
; %bb.745:                              ;   in Loop: Header=BB407_712 Depth=1
	s_or_b32 exec_lo, exec_lo, s0
	s_waitcnt vmcnt(0)
	v_mad_i64_i32 v[0:1], null, v52, v22, v[11:12]
	s_mov_b32 s0, exec_lo
	flat_load_b64 v[2:3], v[0:1]
	flat_load_b32 v8, v[26:27]
	s_waitcnt vmcnt(1) lgkmcnt(1)
	v_dual_mov_b32 v6, 0 :: v_dual_and_b32 v7, 0xff, v2
	s_delay_alu instid0(VALU_DEP_1)
	v_cmpx_ne_u16_e32 0, v7
	s_cbranch_execz .LBB407_753
; %bb.746:                              ;   in Loop: Header=BB407_712 Depth=1
	v_bfrev_b32_e32 v6, 1
	s_mov_b32 s12, exec_lo
	v_cmpx_ne_u16_e32 0x80, v7
	s_cbranch_execz .LBB407_752
; %bb.747:                              ;   in Loop: Header=BB407_712 Depth=1
	v_and_b32_e32 v7, 0x7f, v2
	v_mov_b32_e32 v6, 0x7f800001
	s_mov_b32 s13, exec_lo
	s_delay_alu instid0(VALU_DEP_2)
	v_cmpx_ne_u32_e32 0x7f, v7
	s_cbranch_execz .LBB407_751
; %bb.748:                              ;   in Loop: Header=BB407_712 Depth=1
	v_lshrrev_b32_e32 v9, 3, v7
	v_cmp_gt_u32_e32 vcc_lo, 8, v7
	v_dual_mov_b32 v7, v3 :: v_dual_mov_b32 v6, v2
	s_and_saveexec_b32 s15, vcc_lo
; %bb.749:                              ;   in Loop: Header=BB407_712 Depth=1
	v_and_b32_e32 v6, 7, v2
	s_delay_alu instid0(VALU_DEP_1) | instskip(NEXT) | instid1(VALU_DEP_1)
	v_clz_i32_u32_e32 v6, v6
	v_min_u32_e32 v9, 32, v6
	s_delay_alu instid0(VALU_DEP_1) | instskip(SKIP_1) | instid1(VALU_DEP_2)
	v_subrev_nc_u32_e32 v6, 28, v9
	v_sub_nc_u32_e32 v9, 29, v9
	v_lshlrev_b64 v[6:7], v6, v[2:3]
; %bb.750:                              ;   in Loop: Header=BB407_712 Depth=1
	s_or_b32 exec_lo, exec_lo, s15
	s_delay_alu instid0(VALU_DEP_1) | instskip(SKIP_2) | instid1(VALU_DEP_3)
	v_lshlrev_b32_e32 v6, 20, v6
	v_lshlrev_b32_e32 v7, 24, v2
	v_lshl_add_u32 v9, v9, 23, 0x3c000000
	v_and_b32_e32 v6, 0x700000, v6
	s_delay_alu instid0(VALU_DEP_3) | instskip(NEXT) | instid1(VALU_DEP_1)
	v_and_b32_e32 v7, 0x80000000, v7
	v_or3_b32 v6, v6, v7, v9
.LBB407_751:                            ;   in Loop: Header=BB407_712 Depth=1
	s_or_b32 exec_lo, exec_lo, s13
.LBB407_752:                            ;   in Loop: Header=BB407_712 Depth=1
	s_delay_alu instid0(SALU_CYCLE_1)
	s_or_b32 exec_lo, exec_lo, s12
.LBB407_753:                            ;   in Loop: Header=BB407_712 Depth=1
	s_delay_alu instid0(SALU_CYCLE_1) | instskip(SKIP_3) | instid1(VALU_DEP_1)
	s_or_b32 exec_lo, exec_lo, s0
	s_waitcnt vmcnt(0) lgkmcnt(0)
	v_mul_f32_e32 v6, v8, v6
	s_mov_b32 s0, exec_lo
                                        ; implicit-def: $vgpr53
	v_and_b32_e32 v7, 0x7f800000, v6
	s_delay_alu instid0(VALU_DEP_1)
	v_cmpx_ne_u32_e32 0x7f800000, v7
	s_xor_b32 s0, exec_lo, s0
; %bb.754:                              ;   in Loop: Header=BB407_712 Depth=1
	v_bfe_u32 v7, v6, 16, 1
	s_delay_alu instid0(VALU_DEP_1)
	v_add3_u32 v53, v6, v7, 0x7fff
                                        ; implicit-def: $vgpr6
; %bb.755:                              ;   in Loop: Header=BB407_712 Depth=1
	s_and_not1_saveexec_b32 s0, s0
; %bb.756:                              ;   in Loop: Header=BB407_712 Depth=1
	v_and_b32_e32 v7, 0xffff, v6
	v_or_b32_e32 v9, 0x10000, v6
	s_delay_alu instid0(VALU_DEP_2) | instskip(NEXT) | instid1(VALU_DEP_2)
	v_cmp_eq_u32_e32 vcc_lo, 0, v7
	v_cndmask_b32_e32 v53, v9, v6, vcc_lo
; %bb.757:                              ;   in Loop: Header=BB407_712 Depth=1
	s_or_b32 exec_lo, exec_lo, s0
	v_lshrrev_b16 v7, 8, v2
	v_mov_b32_e32 v6, 0
	s_mov_b32 s0, exec_lo
	s_delay_alu instid0(VALU_DEP_2)
	v_cmpx_ne_u16_e32 0, v7
	s_cbranch_execz .LBB407_765
; %bb.758:                              ;   in Loop: Header=BB407_712 Depth=1
	v_bfrev_b32_e32 v6, 1
	s_mov_b32 s12, exec_lo
	v_cmpx_ne_u16_e32 0x80, v7
	s_cbranch_execz .LBB407_764
; %bb.759:                              ;   in Loop: Header=BB407_712 Depth=1
	v_and_b32_e32 v9, 0xffff, v7
	v_mov_b32_e32 v6, 0x7f800001
	s_mov_b32 s13, exec_lo
	s_delay_alu instid0(VALU_DEP_2) | instskip(NEXT) | instid1(VALU_DEP_1)
	v_and_b32_e32 v7, 0x7f, v9
	v_cmpx_ne_u32_e32 0x7f, v7
	s_cbranch_execz .LBB407_763
; %bb.760:                              ;   in Loop: Header=BB407_712 Depth=1
	v_and_b32_e32 v9, 7, v9
	v_lshrrev_b32_e32 v6, 3, v7
	s_mov_b32 s15, exec_lo
	v_cmpx_gt_u32_e32 8, v7
; %bb.761:                              ;   in Loop: Header=BB407_712 Depth=1
	s_delay_alu instid0(VALU_DEP_3) | instskip(NEXT) | instid1(VALU_DEP_1)
	v_clz_i32_u32_e32 v6, v9
	v_min_u32_e32 v6, 32, v6
	s_delay_alu instid0(VALU_DEP_1) | instskip(SKIP_1) | instid1(VALU_DEP_2)
	v_subrev_nc_u32_e32 v7, 28, v6
	v_sub_nc_u32_e32 v6, 29, v6
	v_lshlrev_b64 v[54:55], v7, v[9:10]
	s_delay_alu instid0(VALU_DEP_1)
	v_and_b32_e32 v9, 7, v54
; %bb.762:                              ;   in Loop: Header=BB407_712 Depth=1
	s_or_b32 exec_lo, exec_lo, s15
	v_lshlrev_b32_e32 v7, 16, v2
	s_delay_alu instid0(VALU_DEP_2) | instskip(SKIP_1) | instid1(VALU_DEP_3)
	v_lshlrev_b32_e32 v9, 20, v9
	v_lshl_add_u32 v6, v6, 23, 0x3c000000
	v_and_b32_e32 v7, 0x80000000, v7
	s_delay_alu instid0(VALU_DEP_1)
	v_or3_b32 v6, v9, v7, v6
.LBB407_763:                            ;   in Loop: Header=BB407_712 Depth=1
	s_or_b32 exec_lo, exec_lo, s13
.LBB407_764:                            ;   in Loop: Header=BB407_712 Depth=1
	s_delay_alu instid0(SALU_CYCLE_1)
	s_or_b32 exec_lo, exec_lo, s12
.LBB407_765:                            ;   in Loop: Header=BB407_712 Depth=1
	s_delay_alu instid0(SALU_CYCLE_1) | instskip(NEXT) | instid1(VALU_DEP_1)
	s_or_b32 exec_lo, exec_lo, s0
	v_mul_f32_e32 v6, v8, v6
	s_mov_b32 s0, exec_lo
                                        ; implicit-def: $vgpr54
	s_delay_alu instid0(VALU_DEP_1) | instskip(NEXT) | instid1(VALU_DEP_1)
	v_and_b32_e32 v7, 0x7f800000, v6
	v_cmpx_ne_u32_e32 0x7f800000, v7
	s_xor_b32 s0, exec_lo, s0
; %bb.766:                              ;   in Loop: Header=BB407_712 Depth=1
	v_bfe_u32 v7, v6, 16, 1
	s_delay_alu instid0(VALU_DEP_1)
	v_add3_u32 v54, v6, v7, 0x7fff
                                        ; implicit-def: $vgpr6
; %bb.767:                              ;   in Loop: Header=BB407_712 Depth=1
	s_and_not1_saveexec_b32 s0, s0
; %bb.768:                              ;   in Loop: Header=BB407_712 Depth=1
	v_and_b32_e32 v7, 0xffff, v6
	v_or_b32_e32 v9, 0x10000, v6
	s_delay_alu instid0(VALU_DEP_2) | instskip(NEXT) | instid1(VALU_DEP_2)
	v_cmp_eq_u32_e32 vcc_lo, 0, v7
	v_cndmask_b32_e32 v54, v9, v6, vcc_lo
; %bb.769:                              ;   in Loop: Header=BB407_712 Depth=1
	s_or_b32 exec_lo, exec_lo, s0
	v_lshrrev_b32_e32 v6, 16, v2
	v_mov_b32_e32 v7, 0
	s_mov_b32 s0, exec_lo
	s_delay_alu instid0(VALU_DEP_2) | instskip(NEXT) | instid1(VALU_DEP_1)
	v_and_b32_e32 v9, 0xff, v6
	v_cmpx_ne_u16_e32 0, v9
	s_cbranch_execz .LBB407_777
; %bb.770:                              ;   in Loop: Header=BB407_712 Depth=1
	v_bfrev_b32_e32 v7, 1
	s_mov_b32 s12, exec_lo
	v_cmpx_ne_u16_e32 0x80, v9
	s_cbranch_execz .LBB407_776
; %bb.771:                              ;   in Loop: Header=BB407_712 Depth=1
	v_bfe_u32 v52, v2, 16, 7
	v_mov_b32_e32 v7, 0x7f800001
	s_mov_b32 s13, exec_lo
	s_delay_alu instid0(VALU_DEP_2)
	v_cmpx_ne_u32_e32 0x7f, v52
	s_cbranch_execz .LBB407_775
; %bb.772:                              ;   in Loop: Header=BB407_712 Depth=1
	v_and_b32_e32 v9, 7, v6
	v_lshrrev_b32_e32 v7, 3, v52
	s_mov_b32 s15, exec_lo
	v_cmpx_gt_u32_e32 8, v52
; %bb.773:                              ;   in Loop: Header=BB407_712 Depth=1
	s_delay_alu instid0(VALU_DEP_3) | instskip(NEXT) | instid1(VALU_DEP_1)
	v_clz_i32_u32_e32 v7, v9
	v_min_u32_e32 v7, 32, v7
	s_delay_alu instid0(VALU_DEP_1) | instskip(SKIP_1) | instid1(VALU_DEP_2)
	v_subrev_nc_u32_e32 v52, 28, v7
	v_sub_nc_u32_e32 v7, 29, v7
	v_lshlrev_b64 v[65:66], v52, v[9:10]
	s_delay_alu instid0(VALU_DEP_1)
	v_and_b32_e32 v9, 7, v65
; %bb.774:                              ;   in Loop: Header=BB407_712 Depth=1
	s_or_b32 exec_lo, exec_lo, s15
	v_lshlrev_b32_e32 v6, 24, v6
	s_delay_alu instid0(VALU_DEP_2) | instskip(SKIP_1) | instid1(VALU_DEP_3)
	v_lshlrev_b32_e32 v9, 20, v9
	v_lshl_add_u32 v7, v7, 23, 0x3c000000
	v_and_b32_e32 v6, 0x80000000, v6
	s_delay_alu instid0(VALU_DEP_1)
	v_or3_b32 v7, v9, v6, v7
.LBB407_775:                            ;   in Loop: Header=BB407_712 Depth=1
	s_or_b32 exec_lo, exec_lo, s13
.LBB407_776:                            ;   in Loop: Header=BB407_712 Depth=1
	s_delay_alu instid0(SALU_CYCLE_1)
	s_or_b32 exec_lo, exec_lo, s12
.LBB407_777:                            ;   in Loop: Header=BB407_712 Depth=1
	s_delay_alu instid0(SALU_CYCLE_1) | instskip(NEXT) | instid1(VALU_DEP_1)
	s_or_b32 exec_lo, exec_lo, s0
	v_mul_f32_e32 v6, v8, v7
	s_mov_b32 s0, exec_lo
                                        ; implicit-def: $vgpr55
	s_delay_alu instid0(VALU_DEP_1) | instskip(NEXT) | instid1(VALU_DEP_1)
	v_and_b32_e32 v7, 0x7f800000, v6
	v_cmpx_ne_u32_e32 0x7f800000, v7
	s_xor_b32 s0, exec_lo, s0
; %bb.778:                              ;   in Loop: Header=BB407_712 Depth=1
	v_bfe_u32 v7, v6, 16, 1
	s_delay_alu instid0(VALU_DEP_1)
	v_add3_u32 v55, v6, v7, 0x7fff
                                        ; implicit-def: $vgpr6
; %bb.779:                              ;   in Loop: Header=BB407_712 Depth=1
	s_and_not1_saveexec_b32 s0, s0
; %bb.780:                              ;   in Loop: Header=BB407_712 Depth=1
	v_and_b32_e32 v7, 0xffff, v6
	v_or_b32_e32 v9, 0x10000, v6
	s_delay_alu instid0(VALU_DEP_2) | instskip(NEXT) | instid1(VALU_DEP_2)
	v_cmp_eq_u32_e32 vcc_lo, 0, v7
	v_cndmask_b32_e32 v55, v9, v6, vcc_lo
; %bb.781:                              ;   in Loop: Header=BB407_712 Depth=1
	s_or_b32 exec_lo, exec_lo, s0
	v_mov_b32_e32 v7, 0
	s_mov_b32 s0, exec_lo
	v_cmpx_lt_u32_e32 0xffffff, v2
	s_cbranch_execz .LBB407_789
; %bb.782:                              ;   in Loop: Header=BB407_712 Depth=1
	v_lshrrev_b32_e32 v6, 24, v2
	v_bfrev_b32_e32 v7, 1
	s_mov_b32 s12, exec_lo
	s_delay_alu instid0(VALU_DEP_2)
	v_cmpx_ne_u32_e32 0x80, v6
	s_cbranch_execz .LBB407_788
; %bb.783:                              ;   in Loop: Header=BB407_712 Depth=1
	v_bfe_u32 v52, v2, 24, 7
	v_mov_b32_e32 v7, 0x7f800001
	s_mov_b32 s13, exec_lo
	s_delay_alu instid0(VALU_DEP_2)
	v_cmpx_ne_u32_e32 0x7f, v52
	s_cbranch_execz .LBB407_787
; %bb.784:                              ;   in Loop: Header=BB407_712 Depth=1
	v_and_b32_e32 v9, 7, v6
	v_lshrrev_b32_e32 v7, 3, v52
	s_mov_b32 s15, exec_lo
	v_cmpx_gt_u32_e32 8, v52
; %bb.785:                              ;   in Loop: Header=BB407_712 Depth=1
	s_delay_alu instid0(VALU_DEP_3) | instskip(NEXT) | instid1(VALU_DEP_1)
	v_clz_i32_u32_e32 v7, v9
	v_min_u32_e32 v7, 32, v7
	s_delay_alu instid0(VALU_DEP_1) | instskip(SKIP_1) | instid1(VALU_DEP_2)
	v_subrev_nc_u32_e32 v52, 28, v7
	v_sub_nc_u32_e32 v7, 29, v7
	v_lshlrev_b64 v[65:66], v52, v[9:10]
	s_delay_alu instid0(VALU_DEP_1)
	v_and_b32_e32 v9, 7, v65
; %bb.786:                              ;   in Loop: Header=BB407_712 Depth=1
	s_or_b32 exec_lo, exec_lo, s15
	v_lshlrev_b32_e32 v6, 24, v6
	s_delay_alu instid0(VALU_DEP_2) | instskip(SKIP_1) | instid1(VALU_DEP_3)
	v_lshlrev_b32_e32 v9, 20, v9
	v_lshl_add_u32 v7, v7, 23, 0x3c000000
	v_and_b32_e32 v6, 0x80000000, v6
	s_delay_alu instid0(VALU_DEP_1)
	v_or3_b32 v7, v9, v6, v7
.LBB407_787:                            ;   in Loop: Header=BB407_712 Depth=1
	s_or_b32 exec_lo, exec_lo, s13
.LBB407_788:                            ;   in Loop: Header=BB407_712 Depth=1
	s_delay_alu instid0(SALU_CYCLE_1)
	s_or_b32 exec_lo, exec_lo, s12
.LBB407_789:                            ;   in Loop: Header=BB407_712 Depth=1
	s_delay_alu instid0(SALU_CYCLE_1) | instskip(NEXT) | instid1(VALU_DEP_1)
	s_or_b32 exec_lo, exec_lo, s0
	v_mul_f32_e32 v6, v8, v7
	s_mov_b32 s0, exec_lo
                                        ; implicit-def: $vgpr65
	s_delay_alu instid0(VALU_DEP_1) | instskip(NEXT) | instid1(VALU_DEP_1)
	v_and_b32_e32 v7, 0x7f800000, v6
	v_cmpx_ne_u32_e32 0x7f800000, v7
	s_xor_b32 s0, exec_lo, s0
; %bb.790:                              ;   in Loop: Header=BB407_712 Depth=1
	v_bfe_u32 v7, v6, 16, 1
	s_delay_alu instid0(VALU_DEP_1)
	v_add3_u32 v65, v6, v7, 0x7fff
                                        ; implicit-def: $vgpr6
; %bb.791:                              ;   in Loop: Header=BB407_712 Depth=1
	s_and_not1_saveexec_b32 s0, s0
; %bb.792:                              ;   in Loop: Header=BB407_712 Depth=1
	v_and_b32_e32 v7, 0xffff, v6
	v_or_b32_e32 v9, 0x10000, v6
	s_delay_alu instid0(VALU_DEP_2) | instskip(NEXT) | instid1(VALU_DEP_2)
	v_cmp_eq_u32_e32 vcc_lo, 0, v7
	v_cndmask_b32_e32 v65, v9, v6, vcc_lo
; %bb.793:                              ;   in Loop: Header=BB407_712 Depth=1
	s_or_b32 exec_lo, exec_lo, s0
	v_dual_mov_b32 v6, 0 :: v_dual_and_b32 v7, 0xff, v3
	v_mov_b32_e32 v9, v3
	s_mov_b32 s0, exec_lo
	s_delay_alu instid0(VALU_DEP_2)
	v_cmpx_ne_u16_e32 0, v7
	s_cbranch_execz .LBB407_801
; %bb.794:                              ;   in Loop: Header=BB407_712 Depth=1
	v_bfrev_b32_e32 v6, 1
	s_mov_b32 s12, exec_lo
	v_cmpx_ne_u16_e32 0x80, v7
	s_cbranch_execz .LBB407_800
; %bb.795:                              ;   in Loop: Header=BB407_712 Depth=1
	v_and_b32_e32 v7, 0x7f, v3
	v_mov_b32_e32 v6, 0x7f800001
	s_mov_b32 s13, exec_lo
	s_delay_alu instid0(VALU_DEP_2)
	v_cmpx_ne_u32_e32 0x7f, v7
	s_cbranch_execz .LBB407_799
; %bb.796:                              ;   in Loop: Header=BB407_712 Depth=1
	v_lshrrev_b32_e32 v52, 3, v7
	v_cmp_gt_u32_e32 vcc_lo, 8, v7
	v_dual_mov_b32 v6, v9 :: v_dual_mov_b32 v7, v10
	s_and_saveexec_b32 s15, vcc_lo
; %bb.797:                              ;   in Loop: Header=BB407_712 Depth=1
	v_and_b32_e32 v6, 7, v3
	s_delay_alu instid0(VALU_DEP_1) | instskip(NEXT) | instid1(VALU_DEP_1)
	v_clz_i32_u32_e32 v6, v6
	v_min_u32_e32 v52, 32, v6
	s_delay_alu instid0(VALU_DEP_1) | instskip(SKIP_1) | instid1(VALU_DEP_2)
	v_subrev_nc_u32_e32 v6, 28, v52
	v_sub_nc_u32_e32 v52, 29, v52
	v_lshlrev_b64 v[6:7], v6, v[9:10]
; %bb.798:                              ;   in Loop: Header=BB407_712 Depth=1
	s_or_b32 exec_lo, exec_lo, s15
	s_delay_alu instid0(VALU_DEP_1) | instskip(SKIP_2) | instid1(VALU_DEP_3)
	v_lshlrev_b32_e32 v6, 20, v6
	v_lshlrev_b32_e32 v7, 24, v9
	v_lshl_add_u32 v52, v52, 23, 0x3c000000
	v_and_b32_e32 v6, 0x700000, v6
	s_delay_alu instid0(VALU_DEP_3) | instskip(NEXT) | instid1(VALU_DEP_1)
	v_and_b32_e32 v7, 0x80000000, v7
	v_or3_b32 v6, v6, v7, v52
.LBB407_799:                            ;   in Loop: Header=BB407_712 Depth=1
	s_or_b32 exec_lo, exec_lo, s13
.LBB407_800:                            ;   in Loop: Header=BB407_712 Depth=1
	s_delay_alu instid0(SALU_CYCLE_1)
	s_or_b32 exec_lo, exec_lo, s12
.LBB407_801:                            ;   in Loop: Header=BB407_712 Depth=1
	s_delay_alu instid0(SALU_CYCLE_1) | instskip(NEXT) | instid1(VALU_DEP_1)
	s_or_b32 exec_lo, exec_lo, s0
	v_mul_f32_e32 v6, v8, v6
	s_mov_b32 s0, exec_lo
                                        ; implicit-def: $vgpr66
	s_delay_alu instid0(VALU_DEP_1) | instskip(NEXT) | instid1(VALU_DEP_1)
	v_and_b32_e32 v7, 0x7f800000, v6
	v_cmpx_ne_u32_e32 0x7f800000, v7
	s_xor_b32 s0, exec_lo, s0
; %bb.802:                              ;   in Loop: Header=BB407_712 Depth=1
	v_bfe_u32 v7, v6, 16, 1
	s_delay_alu instid0(VALU_DEP_1)
	v_add3_u32 v66, v6, v7, 0x7fff
                                        ; implicit-def: $vgpr6
; %bb.803:                              ;   in Loop: Header=BB407_712 Depth=1
	s_and_not1_saveexec_b32 s0, s0
; %bb.804:                              ;   in Loop: Header=BB407_712 Depth=1
	v_and_b32_e32 v7, 0xffff, v6
	v_or_b32_e32 v52, 0x10000, v6
	s_delay_alu instid0(VALU_DEP_2) | instskip(NEXT) | instid1(VALU_DEP_2)
	v_cmp_eq_u32_e32 vcc_lo, 0, v7
	v_cndmask_b32_e32 v66, v52, v6, vcc_lo
; %bb.805:                              ;   in Loop: Header=BB407_712 Depth=1
	s_or_b32 exec_lo, exec_lo, s0
	v_lshrrev_b16 v7, 8, v9
	v_mov_b32_e32 v6, 0
	s_mov_b32 s0, exec_lo
	s_delay_alu instid0(VALU_DEP_2)
	v_cmpx_ne_u16_e32 0, v7
	s_cbranch_execz .LBB407_813
; %bb.806:                              ;   in Loop: Header=BB407_712 Depth=1
	v_bfrev_b32_e32 v6, 1
	s_mov_b32 s12, exec_lo
	v_cmpx_ne_u16_e32 0x80, v7
	s_cbranch_execz .LBB407_812
; %bb.807:                              ;   in Loop: Header=BB407_712 Depth=1
	v_and_b32_e32 v7, 0xffff, v7
	v_mov_b32_e32 v6, 0x7f800001
	s_mov_b32 s13, exec_lo
	s_delay_alu instid0(VALU_DEP_2) | instskip(NEXT) | instid1(VALU_DEP_1)
	v_and_b32_e32 v67, 0x7f, v7
	v_cmpx_ne_u32_e32 0x7f, v67
	s_cbranch_execz .LBB407_811
; %bb.808:                              ;   in Loop: Header=BB407_712 Depth=1
	v_dual_mov_b32 v7, v10 :: v_dual_and_b32 v6, 7, v7
	v_lshrrev_b32_e32 v52, 3, v67
	s_mov_b32 s15, exec_lo
	v_cmpx_gt_u32_e32 8, v67
; %bb.809:                              ;   in Loop: Header=BB407_712 Depth=1
	s_delay_alu instid0(VALU_DEP_3) | instskip(NEXT) | instid1(VALU_DEP_1)
	v_clz_i32_u32_e32 v52, v6
	v_min_u32_e32 v52, 32, v52
	s_delay_alu instid0(VALU_DEP_1) | instskip(SKIP_1) | instid1(VALU_DEP_2)
	v_subrev_nc_u32_e32 v67, 28, v52
	v_sub_nc_u32_e32 v52, 29, v52
	v_lshlrev_b64 v[6:7], v67, v[6:7]
	s_delay_alu instid0(VALU_DEP_1)
	v_and_b32_e32 v6, 7, v6
; %bb.810:                              ;   in Loop: Header=BB407_712 Depth=1
	s_or_b32 exec_lo, exec_lo, s15
	v_lshlrev_b32_e32 v7, 16, v9
	s_delay_alu instid0(VALU_DEP_2) | instskip(SKIP_1) | instid1(VALU_DEP_3)
	v_lshlrev_b32_e32 v6, 20, v6
	v_lshl_add_u32 v9, v52, 23, 0x3c000000
	v_and_b32_e32 v7, 0x80000000, v7
	s_delay_alu instid0(VALU_DEP_1)
	v_or3_b32 v6, v6, v7, v9
.LBB407_811:                            ;   in Loop: Header=BB407_712 Depth=1
	s_or_b32 exec_lo, exec_lo, s13
.LBB407_812:                            ;   in Loop: Header=BB407_712 Depth=1
	s_delay_alu instid0(SALU_CYCLE_1)
	s_or_b32 exec_lo, exec_lo, s12
.LBB407_813:                            ;   in Loop: Header=BB407_712 Depth=1
	s_delay_alu instid0(SALU_CYCLE_1) | instskip(NEXT) | instid1(VALU_DEP_1)
	s_or_b32 exec_lo, exec_lo, s0
	v_mul_f32_e32 v7, v8, v6
	s_delay_alu instid0(VALU_DEP_1) | instskip(NEXT) | instid1(VALU_DEP_1)
	v_and_b32_e32 v6, 0x7f800000, v7
	v_cmp_ne_u32_e32 vcc_lo, 0x7f800000, v6
                                        ; implicit-def: $vgpr6
	s_and_saveexec_b32 s0, vcc_lo
	s_delay_alu instid0(SALU_CYCLE_1)
	s_xor_b32 s0, exec_lo, s0
; %bb.814:                              ;   in Loop: Header=BB407_712 Depth=1
	v_bfe_u32 v6, v7, 16, 1
	s_delay_alu instid0(VALU_DEP_1)
	v_add3_u32 v6, v7, v6, 0x7fff
                                        ; implicit-def: $vgpr7
; %bb.815:                              ;   in Loop: Header=BB407_712 Depth=1
	s_and_not1_saveexec_b32 s0, s0
; %bb.816:                              ;   in Loop: Header=BB407_712 Depth=1
	v_and_b32_e32 v6, 0xffff, v7
	v_or_b32_e32 v9, 0x10000, v7
	s_delay_alu instid0(VALU_DEP_2) | instskip(NEXT) | instid1(VALU_DEP_2)
	v_cmp_eq_u32_e32 vcc_lo, 0, v6
	v_cndmask_b32_e32 v6, v9, v7, vcc_lo
; %bb.817:                              ;   in Loop: Header=BB407_712 Depth=1
	s_or_b32 exec_lo, exec_lo, s0
	v_lshrrev_b32_e32 v7, 16, v3
	s_mov_b32 s0, exec_lo
	s_delay_alu instid0(VALU_DEP_1) | instskip(NEXT) | instid1(VALU_DEP_1)
	v_dual_mov_b32 v9, 0 :: v_dual_and_b32 v52, 0xff, v7
	v_cmpx_ne_u16_e32 0, v52
	s_cbranch_execz .LBB407_825
; %bb.818:                              ;   in Loop: Header=BB407_712 Depth=1
	v_bfrev_b32_e32 v9, 1
	s_mov_b32 s12, exec_lo
	v_cmpx_ne_u16_e32 0x80, v52
	s_cbranch_execz .LBB407_824
; %bb.819:                              ;   in Loop: Header=BB407_712 Depth=1
	v_bfe_u32 v67, v3, 16, 7
	v_mov_b32_e32 v9, 0x7f800001
	s_mov_b32 s13, exec_lo
	s_delay_alu instid0(VALU_DEP_2)
	v_cmpx_ne_u32_e32 0x7f, v67
	s_cbranch_execz .LBB407_823
; %bb.820:                              ;   in Loop: Header=BB407_712 Depth=1
	v_and_b32_e32 v9, 7, v7
	v_lshrrev_b32_e32 v52, 3, v67
	s_mov_b32 s15, exec_lo
	v_cmpx_gt_u32_e32 8, v67
; %bb.821:                              ;   in Loop: Header=BB407_712 Depth=1
	s_delay_alu instid0(VALU_DEP_3) | instskip(NEXT) | instid1(VALU_DEP_1)
	v_clz_i32_u32_e32 v52, v9
	v_min_u32_e32 v52, 32, v52
	s_delay_alu instid0(VALU_DEP_1) | instskip(SKIP_1) | instid1(VALU_DEP_2)
	v_subrev_nc_u32_e32 v67, 28, v52
	v_sub_nc_u32_e32 v52, 29, v52
	v_lshlrev_b64 v[67:68], v67, v[9:10]
	s_delay_alu instid0(VALU_DEP_1)
	v_and_b32_e32 v9, 7, v67
; %bb.822:                              ;   in Loop: Header=BB407_712 Depth=1
	s_or_b32 exec_lo, exec_lo, s15
	v_lshlrev_b32_e32 v7, 24, v7
	s_delay_alu instid0(VALU_DEP_2) | instskip(SKIP_1) | instid1(VALU_DEP_3)
	v_lshlrev_b32_e32 v9, 20, v9
	v_lshl_add_u32 v52, v52, 23, 0x3c000000
	v_and_b32_e32 v7, 0x80000000, v7
	s_delay_alu instid0(VALU_DEP_1)
	v_or3_b32 v9, v9, v7, v52
.LBB407_823:                            ;   in Loop: Header=BB407_712 Depth=1
	s_or_b32 exec_lo, exec_lo, s13
.LBB407_824:                            ;   in Loop: Header=BB407_712 Depth=1
	s_delay_alu instid0(SALU_CYCLE_1)
	s_or_b32 exec_lo, exec_lo, s12
.LBB407_825:                            ;   in Loop: Header=BB407_712 Depth=1
	s_delay_alu instid0(SALU_CYCLE_1) | instskip(NEXT) | instid1(VALU_DEP_1)
	s_or_b32 exec_lo, exec_lo, s0
	v_mul_f32_e32 v7, v8, v9
	s_mov_b32 s0, exec_lo
                                        ; implicit-def: $vgpr67
	s_delay_alu instid0(VALU_DEP_1) | instskip(NEXT) | instid1(VALU_DEP_1)
	v_and_b32_e32 v9, 0x7f800000, v7
	v_cmpx_ne_u32_e32 0x7f800000, v9
	s_xor_b32 s0, exec_lo, s0
; %bb.826:                              ;   in Loop: Header=BB407_712 Depth=1
	v_bfe_u32 v9, v7, 16, 1
	s_delay_alu instid0(VALU_DEP_1)
	v_add3_u32 v67, v7, v9, 0x7fff
                                        ; implicit-def: $vgpr7
; %bb.827:                              ;   in Loop: Header=BB407_712 Depth=1
	s_and_not1_saveexec_b32 s0, s0
; %bb.828:                              ;   in Loop: Header=BB407_712 Depth=1
	v_and_b32_e32 v9, 0xffff, v7
	v_or_b32_e32 v52, 0x10000, v7
	s_delay_alu instid0(VALU_DEP_2) | instskip(NEXT) | instid1(VALU_DEP_2)
	v_cmp_eq_u32_e32 vcc_lo, 0, v9
	v_cndmask_b32_e32 v67, v52, v7, vcc_lo
; %bb.829:                              ;   in Loop: Header=BB407_712 Depth=1
	s_or_b32 exec_lo, exec_lo, s0
	v_mov_b32_e32 v7, 0
	s_mov_b32 s0, exec_lo
	v_cmpx_lt_u64_e64 s[8:9], v[2:3]
	s_cbranch_execz .LBB407_837
; %bb.830:                              ;   in Loop: Header=BB407_712 Depth=1
	v_lshrrev_b32_e32 v2, 24, v3
	v_bfrev_b32_e32 v7, 1
	s_mov_b32 s12, exec_lo
	s_delay_alu instid0(VALU_DEP_2)
	v_cmpx_ne_u32_e32 0x80, v2
	s_cbranch_execz .LBB407_836
; %bb.831:                              ;   in Loop: Header=BB407_712 Depth=1
	v_bfe_u32 v52, v3, 24, 7
	v_mov_b32_e32 v7, 0x7f800001
	s_mov_b32 s13, exec_lo
	s_delay_alu instid0(VALU_DEP_2)
	v_cmpx_ne_u32_e32 0x7f, v52
	s_cbranch_execz .LBB407_835
; %bb.832:                              ;   in Loop: Header=BB407_712 Depth=1
	v_and_b32_e32 v9, 7, v2
	v_lshrrev_b32_e32 v3, 3, v52
	s_mov_b32 s15, exec_lo
	v_cmpx_gt_u32_e32 8, v52
; %bb.833:                              ;   in Loop: Header=BB407_712 Depth=1
	s_delay_alu instid0(VALU_DEP_3) | instskip(NEXT) | instid1(VALU_DEP_1)
	v_clz_i32_u32_e32 v3, v9
	v_min_u32_e32 v3, 32, v3
	s_delay_alu instid0(VALU_DEP_1) | instskip(SKIP_1) | instid1(VALU_DEP_2)
	v_subrev_nc_u32_e32 v7, 28, v3
	v_sub_nc_u32_e32 v3, 29, v3
	v_lshlrev_b64 v[68:69], v7, v[9:10]
	s_delay_alu instid0(VALU_DEP_1)
	v_and_b32_e32 v9, 7, v68
; %bb.834:                              ;   in Loop: Header=BB407_712 Depth=1
	s_or_b32 exec_lo, exec_lo, s15
	v_lshlrev_b32_e32 v2, 24, v2
	s_delay_alu instid0(VALU_DEP_2) | instskip(SKIP_1) | instid1(VALU_DEP_3)
	v_lshlrev_b32_e32 v7, 20, v9
	v_lshl_add_u32 v3, v3, 23, 0x3c000000
	v_and_b32_e32 v2, 0x80000000, v2
	s_delay_alu instid0(VALU_DEP_1)
	v_or3_b32 v7, v7, v2, v3
.LBB407_835:                            ;   in Loop: Header=BB407_712 Depth=1
	s_or_b32 exec_lo, exec_lo, s13
.LBB407_836:                            ;   in Loop: Header=BB407_712 Depth=1
	s_delay_alu instid0(SALU_CYCLE_1)
	s_or_b32 exec_lo, exec_lo, s12
.LBB407_837:                            ;   in Loop: Header=BB407_712 Depth=1
	s_delay_alu instid0(SALU_CYCLE_1) | instskip(NEXT) | instid1(VALU_DEP_1)
	s_or_b32 exec_lo, exec_lo, s0
	v_mul_f32_e32 v3, v8, v7
	s_delay_alu instid0(VALU_DEP_1) | instskip(NEXT) | instid1(VALU_DEP_1)
	v_and_b32_e32 v2, 0x7f800000, v3
	v_cmp_ne_u32_e32 vcc_lo, 0x7f800000, v2
                                        ; implicit-def: $vgpr2
	s_and_saveexec_b32 s0, vcc_lo
	s_delay_alu instid0(SALU_CYCLE_1)
	s_xor_b32 s0, exec_lo, s0
; %bb.838:                              ;   in Loop: Header=BB407_712 Depth=1
	v_bfe_u32 v2, v3, 16, 1
	s_delay_alu instid0(VALU_DEP_1)
	v_add3_u32 v2, v3, v2, 0x7fff
                                        ; implicit-def: $vgpr3
; %bb.839:                              ;   in Loop: Header=BB407_712 Depth=1
	s_and_not1_saveexec_b32 s0, s0
; %bb.840:                              ;   in Loop: Header=BB407_712 Depth=1
	v_and_b32_e32 v2, 0xffff, v3
	v_or_b32_e32 v7, 0x10000, v3
	s_delay_alu instid0(VALU_DEP_2) | instskip(NEXT) | instid1(VALU_DEP_2)
	v_cmp_eq_u32_e32 vcc_lo, 0, v2
	v_cndmask_b32_e32 v2, v7, v3, vcc_lo
; %bb.841:                              ;   in Loop: Header=BB407_712 Depth=1
	s_or_b32 exec_lo, exec_lo, s0
	v_add_nc_u32_e32 v52, v32, v23
	v_cmp_eq_u32_e32 vcc_lo, v33, v64
	v_lshrrev_b32_e32 v6, 16, v6
	v_lshrrev_b32_e32 v7, 16, v66
	;; [unrolled: 1-line block ×8, first 2 shown]
	v_add_nc_u32_e32 v68, 1, v52
	v_add_nc_u32_e32 v67, 2, v52
	;; [unrolled: 1-line block ×7, first 2 shown]
	s_and_saveexec_b32 s12, vcc_lo
	s_cbranch_execz .LBB407_843
; %bb.842:                              ;   in Loop: Header=BB407_712 Depth=1
	v_cmp_lt_i32_e64 s0, v52, v83
	s_delay_alu instid0(VALU_DEP_1) | instskip(SKIP_1) | instid1(VALU_DEP_1)
	v_cndmask_b32_e64 v70, 0, v70, s0
	v_cmp_lt_i32_e64 s0, v68, v83
	v_cndmask_b32_e64 v71, 0, v71, s0
	v_cmp_lt_i32_e64 s0, v67, v83
	s_delay_alu instid0(VALU_DEP_1) | instskip(SKIP_1) | instid1(VALU_DEP_1)
	v_cndmask_b32_e64 v80, 0, v80, s0
	v_cmp_lt_i32_e64 s0, v66, v83
	v_cndmask_b32_e64 v9, 0, v9, s0
	;; [unrolled: 5-line block ×4, first 2 shown]
.LBB407_843:                            ;   in Loop: Header=BB407_712 Depth=1
	s_or_b32 exec_lo, exec_lo, s12
	v_and_b32_e32 v69, 0xffff0000, v35
	v_lshlrev_b32_e32 v35, 16, v70
	s_delay_alu instid0(VALU_DEP_1) | instskip(NEXT) | instid1(VALU_DEP_1)
	v_mul_f32_e32 v70, v69, v35
	v_and_b32_e32 v35, 0x7f800000, v70
	s_delay_alu instid0(VALU_DEP_1) | instskip(NEXT) | instid1(VALU_DEP_1)
	v_cmp_ne_u32_e64 s0, 0x7f800000, v35
                                        ; implicit-def: $vgpr35
	s_and_saveexec_b32 s12, s0
	s_delay_alu instid0(SALU_CYCLE_1)
	s_xor_b32 s0, exec_lo, s12
; %bb.844:                              ;   in Loop: Header=BB407_712 Depth=1
	v_bfe_u32 v35, v70, 16, 1
	s_delay_alu instid0(VALU_DEP_1)
	v_add3_u32 v35, v70, v35, 0x7fff
                                        ; implicit-def: $vgpr70
; %bb.845:                              ;   in Loop: Header=BB407_712 Depth=1
	s_and_not1_saveexec_b32 s12, s0
; %bb.846:                              ;   in Loop: Header=BB407_712 Depth=1
	v_and_b32_e32 v35, 0xffff, v70
	v_or_b32_e32 v81, 0x10000, v70
	s_delay_alu instid0(VALU_DEP_2) | instskip(NEXT) | instid1(VALU_DEP_1)
	v_cmp_eq_u32_e64 s0, 0, v35
	v_cndmask_b32_e64 v35, v81, v70, s0
; %bb.847:                              ;   in Loop: Header=BB407_712 Depth=1
	s_or_b32 exec_lo, exec_lo, s12
	v_and_b32_e32 v70, 0xffff0000, v36
	v_lshlrev_b32_e32 v36, 16, v71
	s_delay_alu instid0(VALU_DEP_1) | instskip(NEXT) | instid1(VALU_DEP_1)
	v_mul_f32_e32 v71, v70, v36
	v_and_b32_e32 v36, 0x7f800000, v71
	s_delay_alu instid0(VALU_DEP_1) | instskip(NEXT) | instid1(VALU_DEP_1)
	v_cmp_ne_u32_e64 s0, 0x7f800000, v36
                                        ; implicit-def: $vgpr36
	s_and_saveexec_b32 s12, s0
	s_delay_alu instid0(SALU_CYCLE_1)
	s_xor_b32 s0, exec_lo, s12
; %bb.848:                              ;   in Loop: Header=BB407_712 Depth=1
	v_bfe_u32 v36, v71, 16, 1
	s_delay_alu instid0(VALU_DEP_1)
	v_add3_u32 v36, v71, v36, 0x7fff
                                        ; implicit-def: $vgpr71
; %bb.849:                              ;   in Loop: Header=BB407_712 Depth=1
	s_and_not1_saveexec_b32 s12, s0
; %bb.850:                              ;   in Loop: Header=BB407_712 Depth=1
	v_and_b32_e32 v36, 0xffff, v71
	v_or_b32_e32 v81, 0x10000, v71
	s_delay_alu instid0(VALU_DEP_2) | instskip(NEXT) | instid1(VALU_DEP_1)
	v_cmp_eq_u32_e64 s0, 0, v36
	v_cndmask_b32_e64 v36, v81, v71, s0
; %bb.851:                              ;   in Loop: Header=BB407_712 Depth=1
	s_or_b32 exec_lo, exec_lo, s12
	v_and_b32_e32 v71, 0xffff0000, v37
	v_lshlrev_b32_e32 v37, 16, v80
	s_delay_alu instid0(VALU_DEP_1) | instskip(NEXT) | instid1(VALU_DEP_1)
	v_mul_f32_e32 v80, v71, v37
	v_and_b32_e32 v37, 0x7f800000, v80
	s_delay_alu instid0(VALU_DEP_1) | instskip(NEXT) | instid1(VALU_DEP_1)
	v_cmp_ne_u32_e64 s0, 0x7f800000, v37
                                        ; implicit-def: $vgpr37
	s_and_saveexec_b32 s12, s0
	s_delay_alu instid0(SALU_CYCLE_1)
	s_xor_b32 s0, exec_lo, s12
; %bb.852:                              ;   in Loop: Header=BB407_712 Depth=1
	v_bfe_u32 v37, v80, 16, 1
	s_delay_alu instid0(VALU_DEP_1)
	v_add3_u32 v37, v80, v37, 0x7fff
                                        ; implicit-def: $vgpr80
; %bb.853:                              ;   in Loop: Header=BB407_712 Depth=1
	s_and_not1_saveexec_b32 s12, s0
; %bb.854:                              ;   in Loop: Header=BB407_712 Depth=1
	v_and_b32_e32 v37, 0xffff, v80
	v_or_b32_e32 v81, 0x10000, v80
	s_delay_alu instid0(VALU_DEP_2) | instskip(NEXT) | instid1(VALU_DEP_1)
	v_cmp_eq_u32_e64 s0, 0, v37
	v_cndmask_b32_e64 v37, v81, v80, s0
; %bb.855:                              ;   in Loop: Header=BB407_712 Depth=1
	s_or_b32 exec_lo, exec_lo, s12
	v_and_b32_e32 v80, 0xffff0000, v38
	v_lshlrev_b32_e32 v9, 16, v9
	s_delay_alu instid0(VALU_DEP_1) | instskip(NEXT) | instid1(VALU_DEP_1)
	v_mul_f32_e32 v9, v80, v9
	v_and_b32_e32 v38, 0x7f800000, v9
	s_delay_alu instid0(VALU_DEP_1) | instskip(NEXT) | instid1(VALU_DEP_1)
	v_cmp_ne_u32_e64 s0, 0x7f800000, v38
                                        ; implicit-def: $vgpr38
	s_and_saveexec_b32 s12, s0
	s_delay_alu instid0(SALU_CYCLE_1)
	s_xor_b32 s0, exec_lo, s12
; %bb.856:                              ;   in Loop: Header=BB407_712 Depth=1
	v_bfe_u32 v38, v9, 16, 1
	s_delay_alu instid0(VALU_DEP_1)
	v_add3_u32 v38, v9, v38, 0x7fff
                                        ; implicit-def: $vgpr9
; %bb.857:                              ;   in Loop: Header=BB407_712 Depth=1
	s_and_not1_saveexec_b32 s12, s0
; %bb.858:                              ;   in Loop: Header=BB407_712 Depth=1
	v_and_b32_e32 v38, 0xffff, v9
	v_or_b32_e32 v81, 0x10000, v9
	s_delay_alu instid0(VALU_DEP_2) | instskip(NEXT) | instid1(VALU_DEP_1)
	v_cmp_eq_u32_e64 s0, 0, v38
	v_cndmask_b32_e64 v38, v81, v9, s0
; %bb.859:                              ;   in Loop: Header=BB407_712 Depth=1
	s_or_b32 exec_lo, exec_lo, s12
	v_and_b32_e32 v81, 0xffff0000, v48
	v_lshlrev_b32_e32 v7, 16, v7
                                        ; implicit-def: $vgpr48
	s_delay_alu instid0(VALU_DEP_1) | instskip(NEXT) | instid1(VALU_DEP_1)
	v_mul_f32_e32 v7, v81, v7
	v_and_b32_e32 v9, 0x7f800000, v7
	s_delay_alu instid0(VALU_DEP_1) | instskip(NEXT) | instid1(VALU_DEP_1)
	v_cmp_ne_u32_e64 s0, 0x7f800000, v9
	s_and_saveexec_b32 s12, s0
	s_delay_alu instid0(SALU_CYCLE_1)
	s_xor_b32 s0, exec_lo, s12
; %bb.860:                              ;   in Loop: Header=BB407_712 Depth=1
	v_bfe_u32 v9, v7, 16, 1
	s_delay_alu instid0(VALU_DEP_1)
	v_add3_u32 v48, v7, v9, 0x7fff
                                        ; implicit-def: $vgpr7
; %bb.861:                              ;   in Loop: Header=BB407_712 Depth=1
	s_and_not1_saveexec_b32 s12, s0
; %bb.862:                              ;   in Loop: Header=BB407_712 Depth=1
	v_and_b32_e32 v9, 0xffff, v7
	v_or_b32_e32 v48, 0x10000, v7
	s_delay_alu instid0(VALU_DEP_2) | instskip(NEXT) | instid1(VALU_DEP_1)
	v_cmp_eq_u32_e64 s0, 0, v9
	v_cndmask_b32_e64 v48, v48, v7, s0
; %bb.863:                              ;   in Loop: Header=BB407_712 Depth=1
	s_or_b32 exec_lo, exec_lo, s12
	v_and_b32_e32 v98, 0xffff0000, v49
	v_lshlrev_b32_e32 v6, 16, v6
                                        ; implicit-def: $vgpr49
	s_delay_alu instid0(VALU_DEP_1) | instskip(NEXT) | instid1(VALU_DEP_1)
	v_mul_f32_e32 v6, v98, v6
	v_and_b32_e32 v7, 0x7f800000, v6
	s_delay_alu instid0(VALU_DEP_1) | instskip(NEXT) | instid1(VALU_DEP_1)
	v_cmp_ne_u32_e64 s0, 0x7f800000, v7
	s_and_saveexec_b32 s12, s0
	s_delay_alu instid0(SALU_CYCLE_1)
	s_xor_b32 s0, exec_lo, s12
; %bb.864:                              ;   in Loop: Header=BB407_712 Depth=1
	v_bfe_u32 v7, v6, 16, 1
	s_delay_alu instid0(VALU_DEP_1)
	v_add3_u32 v49, v6, v7, 0x7fff
                                        ; implicit-def: $vgpr6
; %bb.865:                              ;   in Loop: Header=BB407_712 Depth=1
	s_and_not1_saveexec_b32 s12, s0
; %bb.866:                              ;   in Loop: Header=BB407_712 Depth=1
	v_and_b32_e32 v7, 0xffff, v6
	v_or_b32_e32 v9, 0x10000, v6
	s_delay_alu instid0(VALU_DEP_2) | instskip(NEXT) | instid1(VALU_DEP_1)
	v_cmp_eq_u32_e64 s0, 0, v7
	v_cndmask_b32_e64 v49, v9, v6, s0
; %bb.867:                              ;   in Loop: Header=BB407_712 Depth=1
	s_or_b32 exec_lo, exec_lo, s12
	v_and_b32_e32 v99, 0xffff0000, v50
	v_lshlrev_b32_e32 v3, 16, v3
                                        ; implicit-def: $vgpr50
	s_delay_alu instid0(VALU_DEP_1) | instskip(NEXT) | instid1(VALU_DEP_1)
	v_mul_f32_e32 v3, v99, v3
	v_and_b32_e32 v6, 0x7f800000, v3
	s_delay_alu instid0(VALU_DEP_1) | instskip(NEXT) | instid1(VALU_DEP_1)
	v_cmp_ne_u32_e64 s0, 0x7f800000, v6
	s_and_saveexec_b32 s12, s0
	s_delay_alu instid0(SALU_CYCLE_1)
	s_xor_b32 s0, exec_lo, s12
; %bb.868:                              ;   in Loop: Header=BB407_712 Depth=1
	v_bfe_u32 v6, v3, 16, 1
	s_delay_alu instid0(VALU_DEP_1)
	v_add3_u32 v50, v3, v6, 0x7fff
                                        ; implicit-def: $vgpr3
; %bb.869:                              ;   in Loop: Header=BB407_712 Depth=1
	s_and_not1_saveexec_b32 s12, s0
; %bb.870:                              ;   in Loop: Header=BB407_712 Depth=1
	v_and_b32_e32 v6, 0xffff, v3
	v_or_b32_e32 v7, 0x10000, v3
	s_delay_alu instid0(VALU_DEP_2) | instskip(NEXT) | instid1(VALU_DEP_1)
	v_cmp_eq_u32_e64 s0, 0, v6
	v_cndmask_b32_e64 v50, v7, v3, s0
; %bb.871:                              ;   in Loop: Header=BB407_712 Depth=1
	s_or_b32 exec_lo, exec_lo, s12
	v_and_b32_e32 v100, 0xffff0000, v51
	v_lshlrev_b32_e32 v2, 16, v2
                                        ; implicit-def: $vgpr51
	s_delay_alu instid0(VALU_DEP_1) | instskip(NEXT) | instid1(VALU_DEP_1)
	v_mul_f32_e32 v2, v100, v2
	v_and_b32_e32 v3, 0x7f800000, v2
	s_delay_alu instid0(VALU_DEP_1) | instskip(NEXT) | instid1(VALU_DEP_1)
	v_cmp_ne_u32_e64 s0, 0x7f800000, v3
	s_and_saveexec_b32 s12, s0
	s_delay_alu instid0(SALU_CYCLE_1)
	s_xor_b32 s0, exec_lo, s12
; %bb.872:                              ;   in Loop: Header=BB407_712 Depth=1
	v_bfe_u32 v3, v2, 16, 1
	s_delay_alu instid0(VALU_DEP_1)
	v_add3_u32 v51, v2, v3, 0x7fff
                                        ; implicit-def: $vgpr2
; %bb.873:                              ;   in Loop: Header=BB407_712 Depth=1
	s_and_not1_saveexec_b32 s12, s0
; %bb.874:                              ;   in Loop: Header=BB407_712 Depth=1
	v_and_b32_e32 v3, 0xffff, v2
	v_or_b32_e32 v6, 0x10000, v2
	s_delay_alu instid0(VALU_DEP_2) | instskip(NEXT) | instid1(VALU_DEP_1)
	v_cmp_eq_u32_e64 s0, 0, v3
	v_cndmask_b32_e64 v51, v6, v2, s0
; %bb.875:                              ;   in Loop: Header=BB407_712 Depth=1
	s_or_b32 exec_lo, exec_lo, s12
	flat_load_b64 v[2:3], v[0:1] offset:256
	s_mov_b32 s12, exec_lo
	s_waitcnt vmcnt(0) lgkmcnt(0)
	v_dual_mov_b32 v6, 0 :: v_dual_and_b32 v7, 0xff, v2
	s_delay_alu instid0(VALU_DEP_1)
	v_cmpx_ne_u16_e32 0, v7
	s_cbranch_execz .LBB407_883
; %bb.876:                              ;   in Loop: Header=BB407_712 Depth=1
	v_bfrev_b32_e32 v6, 1
	s_mov_b32 s13, exec_lo
	v_cmpx_ne_u16_e32 0x80, v7
	s_cbranch_execz .LBB407_882
; %bb.877:                              ;   in Loop: Header=BB407_712 Depth=1
	v_and_b32_e32 v7, 0x7f, v2
	v_mov_b32_e32 v6, 0x7f800001
	s_mov_b32 s15, exec_lo
	s_delay_alu instid0(VALU_DEP_2)
	v_cmpx_ne_u32_e32 0x7f, v7
	s_cbranch_execz .LBB407_881
; %bb.878:                              ;   in Loop: Header=BB407_712 Depth=1
	v_lshrrev_b32_e32 v9, 3, v7
	v_cmp_gt_u32_e64 s0, 8, v7
	v_dual_mov_b32 v7, v3 :: v_dual_mov_b32 v6, v2
	s_delay_alu instid0(VALU_DEP_2)
	s_and_saveexec_b32 s17, s0
; %bb.879:                              ;   in Loop: Header=BB407_712 Depth=1
	v_and_b32_e32 v6, 7, v2
	s_delay_alu instid0(VALU_DEP_1) | instskip(NEXT) | instid1(VALU_DEP_1)
	v_clz_i32_u32_e32 v6, v6
	v_min_u32_e32 v9, 32, v6
	s_delay_alu instid0(VALU_DEP_1) | instskip(SKIP_1) | instid1(VALU_DEP_2)
	v_subrev_nc_u32_e32 v6, 28, v9
	v_sub_nc_u32_e32 v9, 29, v9
	v_lshlrev_b64 v[6:7], v6, v[2:3]
; %bb.880:                              ;   in Loop: Header=BB407_712 Depth=1
	s_or_b32 exec_lo, exec_lo, s17
	s_delay_alu instid0(VALU_DEP_1) | instskip(SKIP_2) | instid1(VALU_DEP_3)
	v_lshlrev_b32_e32 v6, 20, v6
	v_lshlrev_b32_e32 v7, 24, v2
	v_lshl_add_u32 v9, v9, 23, 0x3c000000
	v_and_b32_e32 v6, 0x700000, v6
	s_delay_alu instid0(VALU_DEP_3) | instskip(NEXT) | instid1(VALU_DEP_1)
	v_and_b32_e32 v7, 0x80000000, v7
	v_or3_b32 v6, v6, v7, v9
.LBB407_881:                            ;   in Loop: Header=BB407_712 Depth=1
	s_or_b32 exec_lo, exec_lo, s15
.LBB407_882:                            ;   in Loop: Header=BB407_712 Depth=1
	s_delay_alu instid0(SALU_CYCLE_1)
	s_or_b32 exec_lo, exec_lo, s13
.LBB407_883:                            ;   in Loop: Header=BB407_712 Depth=1
	s_delay_alu instid0(SALU_CYCLE_1) | instskip(NEXT) | instid1(VALU_DEP_1)
	s_or_b32 exec_lo, exec_lo, s12
	v_mul_f32_e32 v6, v8, v6
                                        ; implicit-def: $vgpr101
	s_delay_alu instid0(VALU_DEP_1) | instskip(NEXT) | instid1(VALU_DEP_1)
	v_and_b32_e32 v7, 0x7f800000, v6
	v_cmp_ne_u32_e64 s0, 0x7f800000, v7
	s_delay_alu instid0(VALU_DEP_1) | instskip(NEXT) | instid1(SALU_CYCLE_1)
	s_and_saveexec_b32 s12, s0
	s_xor_b32 s0, exec_lo, s12
; %bb.884:                              ;   in Loop: Header=BB407_712 Depth=1
	v_bfe_u32 v7, v6, 16, 1
	s_delay_alu instid0(VALU_DEP_1)
	v_add3_u32 v101, v6, v7, 0x7fff
                                        ; implicit-def: $vgpr6
; %bb.885:                              ;   in Loop: Header=BB407_712 Depth=1
	s_and_not1_saveexec_b32 s12, s0
; %bb.886:                              ;   in Loop: Header=BB407_712 Depth=1
	v_and_b32_e32 v7, 0xffff, v6
	v_or_b32_e32 v9, 0x10000, v6
	s_delay_alu instid0(VALU_DEP_2) | instskip(NEXT) | instid1(VALU_DEP_1)
	v_cmp_eq_u32_e64 s0, 0, v7
	v_cndmask_b32_e64 v101, v9, v6, s0
; %bb.887:                              ;   in Loop: Header=BB407_712 Depth=1
	s_or_b32 exec_lo, exec_lo, s12
	v_lshrrev_b16 v7, 8, v2
	v_mov_b32_e32 v6, 0
	s_mov_b32 s12, exec_lo
	s_delay_alu instid0(VALU_DEP_2)
	v_cmpx_ne_u16_e32 0, v7
	s_cbranch_execz .LBB407_895
; %bb.888:                              ;   in Loop: Header=BB407_712 Depth=1
	v_bfrev_b32_e32 v6, 1
	s_mov_b32 s13, exec_lo
	v_cmpx_ne_u16_e32 0x80, v7
	s_cbranch_execz .LBB407_894
; %bb.889:                              ;   in Loop: Header=BB407_712 Depth=1
	v_and_b32_e32 v9, 0xffff, v7
	v_mov_b32_e32 v6, 0x7f800001
	s_mov_b32 s15, exec_lo
	s_delay_alu instid0(VALU_DEP_2) | instskip(NEXT) | instid1(VALU_DEP_1)
	v_and_b32_e32 v7, 0x7f, v9
	v_cmpx_ne_u32_e32 0x7f, v7
	s_cbranch_execz .LBB407_893
; %bb.890:                              ;   in Loop: Header=BB407_712 Depth=1
	v_and_b32_e32 v9, 7, v9
	v_lshrrev_b32_e32 v6, 3, v7
	s_mov_b32 s17, exec_lo
	v_cmpx_gt_u32_e32 8, v7
; %bb.891:                              ;   in Loop: Header=BB407_712 Depth=1
	s_delay_alu instid0(VALU_DEP_3) | instskip(NEXT) | instid1(VALU_DEP_1)
	v_clz_i32_u32_e32 v6, v9
	v_min_u32_e32 v6, 32, v6
	s_delay_alu instid0(VALU_DEP_1) | instskip(SKIP_1) | instid1(VALU_DEP_2)
	v_subrev_nc_u32_e32 v7, 28, v6
	v_sub_nc_u32_e32 v6, 29, v6
	v_lshlrev_b64 v[102:103], v7, v[9:10]
	s_delay_alu instid0(VALU_DEP_1)
	v_and_b32_e32 v9, 7, v102
; %bb.892:                              ;   in Loop: Header=BB407_712 Depth=1
	s_or_b32 exec_lo, exec_lo, s17
	v_lshlrev_b32_e32 v7, 16, v2
	s_delay_alu instid0(VALU_DEP_2) | instskip(SKIP_1) | instid1(VALU_DEP_3)
	v_lshlrev_b32_e32 v9, 20, v9
	v_lshl_add_u32 v6, v6, 23, 0x3c000000
	v_and_b32_e32 v7, 0x80000000, v7
	s_delay_alu instid0(VALU_DEP_1)
	v_or3_b32 v6, v9, v7, v6
.LBB407_893:                            ;   in Loop: Header=BB407_712 Depth=1
	s_or_b32 exec_lo, exec_lo, s15
.LBB407_894:                            ;   in Loop: Header=BB407_712 Depth=1
	s_delay_alu instid0(SALU_CYCLE_1)
	s_or_b32 exec_lo, exec_lo, s13
.LBB407_895:                            ;   in Loop: Header=BB407_712 Depth=1
	s_delay_alu instid0(SALU_CYCLE_1) | instskip(NEXT) | instid1(VALU_DEP_1)
	s_or_b32 exec_lo, exec_lo, s12
	v_mul_f32_e32 v6, v8, v6
                                        ; implicit-def: $vgpr102
	s_delay_alu instid0(VALU_DEP_1) | instskip(NEXT) | instid1(VALU_DEP_1)
	v_and_b32_e32 v7, 0x7f800000, v6
	v_cmp_ne_u32_e64 s0, 0x7f800000, v7
	s_delay_alu instid0(VALU_DEP_1) | instskip(NEXT) | instid1(SALU_CYCLE_1)
	s_and_saveexec_b32 s12, s0
	s_xor_b32 s0, exec_lo, s12
; %bb.896:                              ;   in Loop: Header=BB407_712 Depth=1
	v_bfe_u32 v7, v6, 16, 1
	s_delay_alu instid0(VALU_DEP_1)
	v_add3_u32 v102, v6, v7, 0x7fff
                                        ; implicit-def: $vgpr6
; %bb.897:                              ;   in Loop: Header=BB407_712 Depth=1
	s_and_not1_saveexec_b32 s12, s0
; %bb.898:                              ;   in Loop: Header=BB407_712 Depth=1
	v_and_b32_e32 v7, 0xffff, v6
	v_or_b32_e32 v9, 0x10000, v6
	s_delay_alu instid0(VALU_DEP_2) | instskip(NEXT) | instid1(VALU_DEP_1)
	v_cmp_eq_u32_e64 s0, 0, v7
	v_cndmask_b32_e64 v102, v9, v6, s0
; %bb.899:                              ;   in Loop: Header=BB407_712 Depth=1
	s_or_b32 exec_lo, exec_lo, s12
	v_lshrrev_b32_e32 v6, 16, v2
	v_mov_b32_e32 v7, 0
	s_mov_b32 s12, exec_lo
	s_delay_alu instid0(VALU_DEP_2) | instskip(NEXT) | instid1(VALU_DEP_1)
	v_and_b32_e32 v9, 0xff, v6
	v_cmpx_ne_u16_e32 0, v9
	s_cbranch_execz .LBB407_907
; %bb.900:                              ;   in Loop: Header=BB407_712 Depth=1
	v_bfrev_b32_e32 v7, 1
	s_mov_b32 s13, exec_lo
	v_cmpx_ne_u16_e32 0x80, v9
	s_cbranch_execz .LBB407_906
; %bb.901:                              ;   in Loop: Header=BB407_712 Depth=1
	v_bfe_u32 v103, v2, 16, 7
	v_mov_b32_e32 v7, 0x7f800001
	s_mov_b32 s15, exec_lo
	s_delay_alu instid0(VALU_DEP_2)
	v_cmpx_ne_u32_e32 0x7f, v103
	s_cbranch_execz .LBB407_905
; %bb.902:                              ;   in Loop: Header=BB407_712 Depth=1
	v_and_b32_e32 v9, 7, v6
	v_lshrrev_b32_e32 v7, 3, v103
	s_mov_b32 s17, exec_lo
	v_cmpx_gt_u32_e32 8, v103
; %bb.903:                              ;   in Loop: Header=BB407_712 Depth=1
	s_delay_alu instid0(VALU_DEP_3) | instskip(NEXT) | instid1(VALU_DEP_1)
	v_clz_i32_u32_e32 v7, v9
	v_min_u32_e32 v7, 32, v7
	s_delay_alu instid0(VALU_DEP_1) | instskip(SKIP_1) | instid1(VALU_DEP_2)
	v_subrev_nc_u32_e32 v103, 28, v7
	v_sub_nc_u32_e32 v7, 29, v7
	v_lshlrev_b64 v[112:113], v103, v[9:10]
	s_delay_alu instid0(VALU_DEP_1)
	v_and_b32_e32 v9, 7, v112
; %bb.904:                              ;   in Loop: Header=BB407_712 Depth=1
	s_or_b32 exec_lo, exec_lo, s17
	v_lshlrev_b32_e32 v6, 24, v6
	s_delay_alu instid0(VALU_DEP_2) | instskip(SKIP_1) | instid1(VALU_DEP_3)
	v_lshlrev_b32_e32 v9, 20, v9
	v_lshl_add_u32 v7, v7, 23, 0x3c000000
	v_and_b32_e32 v6, 0x80000000, v6
	s_delay_alu instid0(VALU_DEP_1)
	v_or3_b32 v7, v9, v6, v7
.LBB407_905:                            ;   in Loop: Header=BB407_712 Depth=1
	s_or_b32 exec_lo, exec_lo, s15
.LBB407_906:                            ;   in Loop: Header=BB407_712 Depth=1
	s_delay_alu instid0(SALU_CYCLE_1)
	s_or_b32 exec_lo, exec_lo, s13
.LBB407_907:                            ;   in Loop: Header=BB407_712 Depth=1
	s_delay_alu instid0(SALU_CYCLE_1) | instskip(NEXT) | instid1(VALU_DEP_1)
	s_or_b32 exec_lo, exec_lo, s12
	v_mul_f32_e32 v6, v8, v7
                                        ; implicit-def: $vgpr103
	s_delay_alu instid0(VALU_DEP_1) | instskip(NEXT) | instid1(VALU_DEP_1)
	v_and_b32_e32 v7, 0x7f800000, v6
	v_cmp_ne_u32_e64 s0, 0x7f800000, v7
	s_delay_alu instid0(VALU_DEP_1) | instskip(NEXT) | instid1(SALU_CYCLE_1)
	s_and_saveexec_b32 s12, s0
	s_xor_b32 s0, exec_lo, s12
; %bb.908:                              ;   in Loop: Header=BB407_712 Depth=1
	v_bfe_u32 v7, v6, 16, 1
	s_delay_alu instid0(VALU_DEP_1)
	v_add3_u32 v103, v6, v7, 0x7fff
                                        ; implicit-def: $vgpr6
; %bb.909:                              ;   in Loop: Header=BB407_712 Depth=1
	s_and_not1_saveexec_b32 s12, s0
; %bb.910:                              ;   in Loop: Header=BB407_712 Depth=1
	v_and_b32_e32 v7, 0xffff, v6
	v_or_b32_e32 v9, 0x10000, v6
	s_delay_alu instid0(VALU_DEP_2) | instskip(NEXT) | instid1(VALU_DEP_1)
	v_cmp_eq_u32_e64 s0, 0, v7
	v_cndmask_b32_e64 v103, v9, v6, s0
; %bb.911:                              ;   in Loop: Header=BB407_712 Depth=1
	s_or_b32 exec_lo, exec_lo, s12
	v_mov_b32_e32 v7, 0
	s_mov_b32 s12, exec_lo
	v_cmpx_lt_u32_e32 0xffffff, v2
	s_cbranch_execz .LBB407_919
; %bb.912:                              ;   in Loop: Header=BB407_712 Depth=1
	v_lshrrev_b32_e32 v6, 24, v2
	v_bfrev_b32_e32 v7, 1
	s_mov_b32 s13, exec_lo
	s_delay_alu instid0(VALU_DEP_2)
	v_cmpx_ne_u32_e32 0x80, v6
	s_cbranch_execz .LBB407_918
; %bb.913:                              ;   in Loop: Header=BB407_712 Depth=1
	v_bfe_u32 v112, v2, 24, 7
	v_mov_b32_e32 v7, 0x7f800001
	s_mov_b32 s15, exec_lo
	s_delay_alu instid0(VALU_DEP_2)
	v_cmpx_ne_u32_e32 0x7f, v112
	s_cbranch_execz .LBB407_917
; %bb.914:                              ;   in Loop: Header=BB407_712 Depth=1
	v_and_b32_e32 v9, 7, v6
	v_lshrrev_b32_e32 v7, 3, v112
	s_mov_b32 s17, exec_lo
	v_cmpx_gt_u32_e32 8, v112
; %bb.915:                              ;   in Loop: Header=BB407_712 Depth=1
	s_delay_alu instid0(VALU_DEP_3) | instskip(NEXT) | instid1(VALU_DEP_1)
	v_clz_i32_u32_e32 v7, v9
	v_min_u32_e32 v7, 32, v7
	s_delay_alu instid0(VALU_DEP_1) | instskip(SKIP_1) | instid1(VALU_DEP_2)
	v_subrev_nc_u32_e32 v112, 28, v7
	v_sub_nc_u32_e32 v7, 29, v7
	v_lshlrev_b64 v[112:113], v112, v[9:10]
	s_delay_alu instid0(VALU_DEP_1)
	v_and_b32_e32 v9, 7, v112
; %bb.916:                              ;   in Loop: Header=BB407_712 Depth=1
	s_or_b32 exec_lo, exec_lo, s17
	v_lshlrev_b32_e32 v6, 24, v6
	s_delay_alu instid0(VALU_DEP_2) | instskip(SKIP_1) | instid1(VALU_DEP_3)
	v_lshlrev_b32_e32 v9, 20, v9
	v_lshl_add_u32 v7, v7, 23, 0x3c000000
	v_and_b32_e32 v6, 0x80000000, v6
	s_delay_alu instid0(VALU_DEP_1)
	v_or3_b32 v7, v9, v6, v7
.LBB407_917:                            ;   in Loop: Header=BB407_712 Depth=1
	s_or_b32 exec_lo, exec_lo, s15
.LBB407_918:                            ;   in Loop: Header=BB407_712 Depth=1
	s_delay_alu instid0(SALU_CYCLE_1)
	s_or_b32 exec_lo, exec_lo, s13
.LBB407_919:                            ;   in Loop: Header=BB407_712 Depth=1
	s_delay_alu instid0(SALU_CYCLE_1) | instskip(NEXT) | instid1(VALU_DEP_1)
	s_or_b32 exec_lo, exec_lo, s12
	v_mul_f32_e32 v6, v8, v7
                                        ; implicit-def: $vgpr112
	s_delay_alu instid0(VALU_DEP_1) | instskip(NEXT) | instid1(VALU_DEP_1)
	v_and_b32_e32 v7, 0x7f800000, v6
	v_cmp_ne_u32_e64 s0, 0x7f800000, v7
	s_delay_alu instid0(VALU_DEP_1) | instskip(NEXT) | instid1(SALU_CYCLE_1)
	s_and_saveexec_b32 s12, s0
	s_xor_b32 s0, exec_lo, s12
; %bb.920:                              ;   in Loop: Header=BB407_712 Depth=1
	v_bfe_u32 v7, v6, 16, 1
	s_delay_alu instid0(VALU_DEP_1)
	v_add3_u32 v112, v6, v7, 0x7fff
                                        ; implicit-def: $vgpr6
; %bb.921:                              ;   in Loop: Header=BB407_712 Depth=1
	s_and_not1_saveexec_b32 s12, s0
; %bb.922:                              ;   in Loop: Header=BB407_712 Depth=1
	v_and_b32_e32 v7, 0xffff, v6
	v_or_b32_e32 v9, 0x10000, v6
	s_delay_alu instid0(VALU_DEP_2) | instskip(NEXT) | instid1(VALU_DEP_1)
	v_cmp_eq_u32_e64 s0, 0, v7
	v_cndmask_b32_e64 v112, v9, v6, s0
; %bb.923:                              ;   in Loop: Header=BB407_712 Depth=1
	s_or_b32 exec_lo, exec_lo, s12
	v_dual_mov_b32 v6, 0 :: v_dual_and_b32 v7, 0xff, v3
	v_mov_b32_e32 v9, v3
	s_mov_b32 s12, exec_lo
	s_delay_alu instid0(VALU_DEP_2)
	v_cmpx_ne_u16_e32 0, v7
	s_cbranch_execz .LBB407_931
; %bb.924:                              ;   in Loop: Header=BB407_712 Depth=1
	v_bfrev_b32_e32 v6, 1
	s_mov_b32 s13, exec_lo
	v_cmpx_ne_u16_e32 0x80, v7
	s_cbranch_execz .LBB407_930
; %bb.925:                              ;   in Loop: Header=BB407_712 Depth=1
	v_and_b32_e32 v7, 0x7f, v3
	v_mov_b32_e32 v6, 0x7f800001
	s_mov_b32 s15, exec_lo
	s_delay_alu instid0(VALU_DEP_2)
	v_cmpx_ne_u32_e32 0x7f, v7
	s_cbranch_execz .LBB407_929
; %bb.926:                              ;   in Loop: Header=BB407_712 Depth=1
	v_lshrrev_b32_e32 v113, 3, v7
	v_cmp_gt_u32_e64 s0, 8, v7
	v_dual_mov_b32 v6, v9 :: v_dual_mov_b32 v7, v10
	s_delay_alu instid0(VALU_DEP_2)
	s_and_saveexec_b32 s17, s0
; %bb.927:                              ;   in Loop: Header=BB407_712 Depth=1
	v_and_b32_e32 v6, 7, v3
	s_delay_alu instid0(VALU_DEP_1) | instskip(NEXT) | instid1(VALU_DEP_1)
	v_clz_i32_u32_e32 v6, v6
	v_min_u32_e32 v113, 32, v6
	s_delay_alu instid0(VALU_DEP_1) | instskip(SKIP_1) | instid1(VALU_DEP_2)
	v_subrev_nc_u32_e32 v6, 28, v113
	v_sub_nc_u32_e32 v113, 29, v113
	v_lshlrev_b64 v[6:7], v6, v[9:10]
; %bb.928:                              ;   in Loop: Header=BB407_712 Depth=1
	s_or_b32 exec_lo, exec_lo, s17
	s_delay_alu instid0(VALU_DEP_1) | instskip(SKIP_2) | instid1(VALU_DEP_3)
	v_lshlrev_b32_e32 v6, 20, v6
	v_lshlrev_b32_e32 v7, 24, v9
	v_lshl_add_u32 v113, v113, 23, 0x3c000000
	v_and_b32_e32 v6, 0x700000, v6
	s_delay_alu instid0(VALU_DEP_3) | instskip(NEXT) | instid1(VALU_DEP_1)
	v_and_b32_e32 v7, 0x80000000, v7
	v_or3_b32 v6, v6, v7, v113
.LBB407_929:                            ;   in Loop: Header=BB407_712 Depth=1
	s_or_b32 exec_lo, exec_lo, s15
.LBB407_930:                            ;   in Loop: Header=BB407_712 Depth=1
	s_delay_alu instid0(SALU_CYCLE_1)
	s_or_b32 exec_lo, exec_lo, s13
.LBB407_931:                            ;   in Loop: Header=BB407_712 Depth=1
	s_delay_alu instid0(SALU_CYCLE_1) | instskip(NEXT) | instid1(VALU_DEP_1)
	s_or_b32 exec_lo, exec_lo, s12
	v_mul_f32_e32 v6, v8, v6
                                        ; implicit-def: $vgpr113
	s_delay_alu instid0(VALU_DEP_1) | instskip(NEXT) | instid1(VALU_DEP_1)
	v_and_b32_e32 v7, 0x7f800000, v6
	v_cmp_ne_u32_e64 s0, 0x7f800000, v7
	s_delay_alu instid0(VALU_DEP_1) | instskip(NEXT) | instid1(SALU_CYCLE_1)
	s_and_saveexec_b32 s12, s0
	s_xor_b32 s0, exec_lo, s12
; %bb.932:                              ;   in Loop: Header=BB407_712 Depth=1
	v_bfe_u32 v7, v6, 16, 1
	s_delay_alu instid0(VALU_DEP_1)
	v_add3_u32 v113, v6, v7, 0x7fff
                                        ; implicit-def: $vgpr6
; %bb.933:                              ;   in Loop: Header=BB407_712 Depth=1
	s_and_not1_saveexec_b32 s12, s0
; %bb.934:                              ;   in Loop: Header=BB407_712 Depth=1
	v_and_b32_e32 v7, 0xffff, v6
	v_or_b32_e32 v113, 0x10000, v6
	s_delay_alu instid0(VALU_DEP_2) | instskip(NEXT) | instid1(VALU_DEP_1)
	v_cmp_eq_u32_e64 s0, 0, v7
	v_cndmask_b32_e64 v113, v113, v6, s0
; %bb.935:                              ;   in Loop: Header=BB407_712 Depth=1
	s_or_b32 exec_lo, exec_lo, s12
	v_lshrrev_b16 v7, 8, v9
	v_mov_b32_e32 v6, 0
	s_mov_b32 s12, exec_lo
	s_delay_alu instid0(VALU_DEP_2)
	v_cmpx_ne_u16_e32 0, v7
	s_cbranch_execz .LBB407_943
; %bb.936:                              ;   in Loop: Header=BB407_712 Depth=1
	v_bfrev_b32_e32 v6, 1
	s_mov_b32 s13, exec_lo
	v_cmpx_ne_u16_e32 0x80, v7
	s_cbranch_execz .LBB407_942
; %bb.937:                              ;   in Loop: Header=BB407_712 Depth=1
	v_and_b32_e32 v7, 0xffff, v7
	v_mov_b32_e32 v6, 0x7f800001
	s_mov_b32 s15, exec_lo
	s_delay_alu instid0(VALU_DEP_2) | instskip(NEXT) | instid1(VALU_DEP_1)
	v_and_b32_e32 v115, 0x7f, v7
	v_cmpx_ne_u32_e32 0x7f, v115
	s_cbranch_execz .LBB407_941
; %bb.938:                              ;   in Loop: Header=BB407_712 Depth=1
	v_dual_mov_b32 v7, v10 :: v_dual_and_b32 v6, 7, v7
	v_lshrrev_b32_e32 v114, 3, v115
	s_mov_b32 s17, exec_lo
	v_cmpx_gt_u32_e32 8, v115
; %bb.939:                              ;   in Loop: Header=BB407_712 Depth=1
	s_delay_alu instid0(VALU_DEP_3) | instskip(NEXT) | instid1(VALU_DEP_1)
	v_clz_i32_u32_e32 v114, v6
	v_min_u32_e32 v114, 32, v114
	s_delay_alu instid0(VALU_DEP_1) | instskip(SKIP_1) | instid1(VALU_DEP_2)
	v_subrev_nc_u32_e32 v115, 28, v114
	v_sub_nc_u32_e32 v114, 29, v114
	v_lshlrev_b64 v[6:7], v115, v[6:7]
	s_delay_alu instid0(VALU_DEP_1)
	v_and_b32_e32 v6, 7, v6
; %bb.940:                              ;   in Loop: Header=BB407_712 Depth=1
	s_or_b32 exec_lo, exec_lo, s17
	v_lshlrev_b32_e32 v7, 16, v9
	s_delay_alu instid0(VALU_DEP_2) | instskip(SKIP_1) | instid1(VALU_DEP_3)
	v_lshlrev_b32_e32 v6, 20, v6
	v_lshl_add_u32 v9, v114, 23, 0x3c000000
	v_and_b32_e32 v7, 0x80000000, v7
	s_delay_alu instid0(VALU_DEP_1)
	v_or3_b32 v6, v6, v7, v9
.LBB407_941:                            ;   in Loop: Header=BB407_712 Depth=1
	s_or_b32 exec_lo, exec_lo, s15
.LBB407_942:                            ;   in Loop: Header=BB407_712 Depth=1
	s_delay_alu instid0(SALU_CYCLE_1)
	s_or_b32 exec_lo, exec_lo, s13
.LBB407_943:                            ;   in Loop: Header=BB407_712 Depth=1
	s_delay_alu instid0(SALU_CYCLE_1) | instskip(NEXT) | instid1(VALU_DEP_1)
	s_or_b32 exec_lo, exec_lo, s12
	v_mul_f32_e32 v7, v8, v6
	s_delay_alu instid0(VALU_DEP_1) | instskip(NEXT) | instid1(VALU_DEP_1)
	v_and_b32_e32 v6, 0x7f800000, v7
	v_cmp_ne_u32_e64 s0, 0x7f800000, v6
                                        ; implicit-def: $vgpr6
	s_delay_alu instid0(VALU_DEP_1) | instskip(NEXT) | instid1(SALU_CYCLE_1)
	s_and_saveexec_b32 s12, s0
	s_xor_b32 s0, exec_lo, s12
; %bb.944:                              ;   in Loop: Header=BB407_712 Depth=1
	v_bfe_u32 v6, v7, 16, 1
	s_delay_alu instid0(VALU_DEP_1)
	v_add3_u32 v6, v7, v6, 0x7fff
                                        ; implicit-def: $vgpr7
; %bb.945:                              ;   in Loop: Header=BB407_712 Depth=1
	s_and_not1_saveexec_b32 s12, s0
; %bb.946:                              ;   in Loop: Header=BB407_712 Depth=1
	v_and_b32_e32 v6, 0xffff, v7
	v_or_b32_e32 v9, 0x10000, v7
	s_delay_alu instid0(VALU_DEP_2) | instskip(NEXT) | instid1(VALU_DEP_1)
	v_cmp_eq_u32_e64 s0, 0, v6
	v_cndmask_b32_e64 v6, v9, v7, s0
; %bb.947:                              ;   in Loop: Header=BB407_712 Depth=1
	s_or_b32 exec_lo, exec_lo, s12
	v_lshrrev_b32_e32 v7, 16, v3
	s_mov_b32 s12, exec_lo
	s_delay_alu instid0(VALU_DEP_1) | instskip(NEXT) | instid1(VALU_DEP_1)
	v_dual_mov_b32 v9, 0 :: v_dual_and_b32 v114, 0xff, v7
	v_cmpx_ne_u16_e32 0, v114
	s_cbranch_execz .LBB407_955
; %bb.948:                              ;   in Loop: Header=BB407_712 Depth=1
	v_bfrev_b32_e32 v9, 1
	s_mov_b32 s13, exec_lo
	v_cmpx_ne_u16_e32 0x80, v114
	s_cbranch_execz .LBB407_954
; %bb.949:                              ;   in Loop: Header=BB407_712 Depth=1
	v_bfe_u32 v115, v3, 16, 7
	v_mov_b32_e32 v9, 0x7f800001
	s_mov_b32 s15, exec_lo
	s_delay_alu instid0(VALU_DEP_2)
	v_cmpx_ne_u32_e32 0x7f, v115
	s_cbranch_execz .LBB407_953
; %bb.950:                              ;   in Loop: Header=BB407_712 Depth=1
	v_and_b32_e32 v9, 7, v7
	v_lshrrev_b32_e32 v114, 3, v115
	s_mov_b32 s17, exec_lo
	v_cmpx_gt_u32_e32 8, v115
; %bb.951:                              ;   in Loop: Header=BB407_712 Depth=1
	s_delay_alu instid0(VALU_DEP_3) | instskip(NEXT) | instid1(VALU_DEP_1)
	v_clz_i32_u32_e32 v114, v9
	v_min_u32_e32 v114, 32, v114
	s_delay_alu instid0(VALU_DEP_1) | instskip(SKIP_1) | instid1(VALU_DEP_2)
	v_subrev_nc_u32_e32 v115, 28, v114
	v_sub_nc_u32_e32 v114, 29, v114
	v_lshlrev_b64 v[115:116], v115, v[9:10]
	s_delay_alu instid0(VALU_DEP_1)
	v_and_b32_e32 v9, 7, v115
; %bb.952:                              ;   in Loop: Header=BB407_712 Depth=1
	s_or_b32 exec_lo, exec_lo, s17
	v_lshlrev_b32_e32 v7, 24, v7
	s_delay_alu instid0(VALU_DEP_2) | instskip(SKIP_1) | instid1(VALU_DEP_3)
	v_lshlrev_b32_e32 v9, 20, v9
	v_lshl_add_u32 v114, v114, 23, 0x3c000000
	v_and_b32_e32 v7, 0x80000000, v7
	s_delay_alu instid0(VALU_DEP_1)
	v_or3_b32 v9, v9, v7, v114
.LBB407_953:                            ;   in Loop: Header=BB407_712 Depth=1
	s_or_b32 exec_lo, exec_lo, s15
.LBB407_954:                            ;   in Loop: Header=BB407_712 Depth=1
	s_delay_alu instid0(SALU_CYCLE_1)
	s_or_b32 exec_lo, exec_lo, s13
.LBB407_955:                            ;   in Loop: Header=BB407_712 Depth=1
	s_delay_alu instid0(SALU_CYCLE_1) | instskip(NEXT) | instid1(VALU_DEP_1)
	s_or_b32 exec_lo, exec_lo, s12
	v_mul_f32_e32 v7, v8, v9
                                        ; implicit-def: $vgpr114
	s_delay_alu instid0(VALU_DEP_1) | instskip(NEXT) | instid1(VALU_DEP_1)
	v_and_b32_e32 v9, 0x7f800000, v7
	v_cmp_ne_u32_e64 s0, 0x7f800000, v9
	s_delay_alu instid0(VALU_DEP_1) | instskip(NEXT) | instid1(SALU_CYCLE_1)
	s_and_saveexec_b32 s12, s0
	s_xor_b32 s0, exec_lo, s12
; %bb.956:                              ;   in Loop: Header=BB407_712 Depth=1
	v_bfe_u32 v9, v7, 16, 1
	s_delay_alu instid0(VALU_DEP_1)
	v_add3_u32 v114, v7, v9, 0x7fff
                                        ; implicit-def: $vgpr7
; %bb.957:                              ;   in Loop: Header=BB407_712 Depth=1
	s_and_not1_saveexec_b32 s12, s0
; %bb.958:                              ;   in Loop: Header=BB407_712 Depth=1
	v_and_b32_e32 v9, 0xffff, v7
	v_or_b32_e32 v114, 0x10000, v7
	s_delay_alu instid0(VALU_DEP_2) | instskip(NEXT) | instid1(VALU_DEP_1)
	v_cmp_eq_u32_e64 s0, 0, v9
	v_cndmask_b32_e64 v114, v114, v7, s0
; %bb.959:                              ;   in Loop: Header=BB407_712 Depth=1
	s_or_b32 exec_lo, exec_lo, s12
	v_mov_b32_e32 v7, 0
	s_mov_b32 s12, exec_lo
	v_cmpx_lt_u64_e64 s[8:9], v[2:3]
	s_cbranch_execz .LBB407_967
; %bb.960:                              ;   in Loop: Header=BB407_712 Depth=1
	v_lshrrev_b32_e32 v2, 24, v3
	v_bfrev_b32_e32 v7, 1
	s_mov_b32 s13, exec_lo
	s_delay_alu instid0(VALU_DEP_2)
	v_cmpx_ne_u32_e32 0x80, v2
	s_cbranch_execz .LBB407_966
; %bb.961:                              ;   in Loop: Header=BB407_712 Depth=1
	v_bfe_u32 v115, v3, 24, 7
	v_mov_b32_e32 v7, 0x7f800001
	s_mov_b32 s15, exec_lo
	s_delay_alu instid0(VALU_DEP_2)
	v_cmpx_ne_u32_e32 0x7f, v115
	s_cbranch_execz .LBB407_965
; %bb.962:                              ;   in Loop: Header=BB407_712 Depth=1
	v_and_b32_e32 v9, 7, v2
	v_lshrrev_b32_e32 v3, 3, v115
	s_mov_b32 s17, exec_lo
	v_cmpx_gt_u32_e32 8, v115
; %bb.963:                              ;   in Loop: Header=BB407_712 Depth=1
	s_delay_alu instid0(VALU_DEP_3) | instskip(NEXT) | instid1(VALU_DEP_1)
	v_clz_i32_u32_e32 v3, v9
	v_min_u32_e32 v3, 32, v3
	s_delay_alu instid0(VALU_DEP_1) | instskip(SKIP_1) | instid1(VALU_DEP_2)
	v_subrev_nc_u32_e32 v7, 28, v3
	v_sub_nc_u32_e32 v3, 29, v3
	v_lshlrev_b64 v[115:116], v7, v[9:10]
	s_delay_alu instid0(VALU_DEP_1)
	v_and_b32_e32 v9, 7, v115
; %bb.964:                              ;   in Loop: Header=BB407_712 Depth=1
	s_or_b32 exec_lo, exec_lo, s17
	v_lshlrev_b32_e32 v2, 24, v2
	s_delay_alu instid0(VALU_DEP_2) | instskip(SKIP_1) | instid1(VALU_DEP_3)
	v_lshlrev_b32_e32 v7, 20, v9
	v_lshl_add_u32 v3, v3, 23, 0x3c000000
	v_and_b32_e32 v2, 0x80000000, v2
	s_delay_alu instid0(VALU_DEP_1)
	v_or3_b32 v7, v7, v2, v3
.LBB407_965:                            ;   in Loop: Header=BB407_712 Depth=1
	s_or_b32 exec_lo, exec_lo, s15
.LBB407_966:                            ;   in Loop: Header=BB407_712 Depth=1
	s_delay_alu instid0(SALU_CYCLE_1)
	s_or_b32 exec_lo, exec_lo, s13
.LBB407_967:                            ;   in Loop: Header=BB407_712 Depth=1
	s_delay_alu instid0(SALU_CYCLE_1) | instskip(NEXT) | instid1(VALU_DEP_1)
	s_or_b32 exec_lo, exec_lo, s12
	v_mul_f32_e32 v3, v8, v7
	s_delay_alu instid0(VALU_DEP_1) | instskip(NEXT) | instid1(VALU_DEP_1)
	v_and_b32_e32 v2, 0x7f800000, v3
	v_cmp_ne_u32_e64 s0, 0x7f800000, v2
                                        ; implicit-def: $vgpr2
	s_delay_alu instid0(VALU_DEP_1) | instskip(NEXT) | instid1(SALU_CYCLE_1)
	s_and_saveexec_b32 s12, s0
	s_xor_b32 s0, exec_lo, s12
; %bb.968:                              ;   in Loop: Header=BB407_712 Depth=1
	v_bfe_u32 v2, v3, 16, 1
	s_delay_alu instid0(VALU_DEP_1)
	v_add3_u32 v2, v3, v2, 0x7fff
                                        ; implicit-def: $vgpr3
; %bb.969:                              ;   in Loop: Header=BB407_712 Depth=1
	s_and_not1_saveexec_b32 s12, s0
; %bb.970:                              ;   in Loop: Header=BB407_712 Depth=1
	v_and_b32_e32 v2, 0xffff, v3
	v_or_b32_e32 v7, 0x10000, v3
	s_delay_alu instid0(VALU_DEP_2) | instskip(NEXT) | instid1(VALU_DEP_1)
	v_cmp_eq_u32_e64 s0, 0, v2
	v_cndmask_b32_e64 v2, v7, v3, s0
; %bb.971:                              ;   in Loop: Header=BB407_712 Depth=1
	s_or_b32 exec_lo, exec_lo, s12
	v_lshrrev_b32_e32 v6, 16, v6
	v_lshrrev_b32_e32 v7, 16, v113
	;; [unrolled: 1-line block ×8, first 2 shown]
	s_and_saveexec_b32 s12, vcc_lo
	s_cbranch_execz .LBB407_973
; %bb.972:                              ;   in Loop: Header=BB407_712 Depth=1
	v_cmp_lt_i32_e64 s0, v52, v83
	s_delay_alu instid0(VALU_DEP_1) | instskip(SKIP_1) | instid1(VALU_DEP_1)
	v_cndmask_b32_e64 v101, 0, v101, s0
	v_cmp_lt_i32_e64 s0, v68, v83
	v_cndmask_b32_e64 v102, 0, v102, s0
	v_cmp_lt_i32_e64 s0, v67, v83
	s_delay_alu instid0(VALU_DEP_1) | instskip(SKIP_1) | instid1(VALU_DEP_1)
	v_cndmask_b32_e64 v103, 0, v103, s0
	v_cmp_lt_i32_e64 s0, v66, v83
	v_cndmask_b32_e64 v9, 0, v9, s0
	;; [unrolled: 5-line block ×4, first 2 shown]
.LBB407_973:                            ;   in Loop: Header=BB407_712 Depth=1
	s_or_b32 exec_lo, exec_lo, s12
	v_lshlrev_b32_e32 v101, 16, v101
	s_delay_alu instid0(VALU_DEP_1) | instskip(NEXT) | instid1(VALU_DEP_1)
	v_mul_f32_e32 v112, v69, v101
	v_and_b32_e32 v101, 0x7f800000, v112
	s_delay_alu instid0(VALU_DEP_1) | instskip(NEXT) | instid1(VALU_DEP_1)
	v_cmp_ne_u32_e64 s0, 0x7f800000, v101
                                        ; implicit-def: $vgpr101
	s_and_saveexec_b32 s12, s0
	s_delay_alu instid0(SALU_CYCLE_1)
	s_xor_b32 s0, exec_lo, s12
; %bb.974:                              ;   in Loop: Header=BB407_712 Depth=1
	v_bfe_u32 v101, v112, 16, 1
	s_delay_alu instid0(VALU_DEP_1)
	v_add3_u32 v101, v112, v101, 0x7fff
                                        ; implicit-def: $vgpr112
; %bb.975:                              ;   in Loop: Header=BB407_712 Depth=1
	s_and_not1_saveexec_b32 s12, s0
; %bb.976:                              ;   in Loop: Header=BB407_712 Depth=1
	v_and_b32_e32 v101, 0xffff, v112
	v_or_b32_e32 v113, 0x10000, v112
	s_delay_alu instid0(VALU_DEP_2) | instskip(NEXT) | instid1(VALU_DEP_1)
	v_cmp_eq_u32_e64 s0, 0, v101
	v_cndmask_b32_e64 v101, v113, v112, s0
; %bb.977:                              ;   in Loop: Header=BB407_712 Depth=1
	s_or_b32 exec_lo, exec_lo, s12
	v_lshlrev_b32_e32 v102, 16, v102
	s_delay_alu instid0(VALU_DEP_1) | instskip(NEXT) | instid1(VALU_DEP_1)
	v_mul_f32_e32 v112, v70, v102
	v_and_b32_e32 v102, 0x7f800000, v112
	s_delay_alu instid0(VALU_DEP_1) | instskip(NEXT) | instid1(VALU_DEP_1)
	v_cmp_ne_u32_e64 s0, 0x7f800000, v102
                                        ; implicit-def: $vgpr102
	s_and_saveexec_b32 s12, s0
	s_delay_alu instid0(SALU_CYCLE_1)
	s_xor_b32 s0, exec_lo, s12
; %bb.978:                              ;   in Loop: Header=BB407_712 Depth=1
	v_bfe_u32 v102, v112, 16, 1
	s_delay_alu instid0(VALU_DEP_1)
	v_add3_u32 v102, v112, v102, 0x7fff
                                        ; implicit-def: $vgpr112
; %bb.979:                              ;   in Loop: Header=BB407_712 Depth=1
	s_and_not1_saveexec_b32 s12, s0
; %bb.980:                              ;   in Loop: Header=BB407_712 Depth=1
	v_and_b32_e32 v102, 0xffff, v112
	v_or_b32_e32 v113, 0x10000, v112
	s_delay_alu instid0(VALU_DEP_2) | instskip(NEXT) | instid1(VALU_DEP_1)
	v_cmp_eq_u32_e64 s0, 0, v102
	v_cndmask_b32_e64 v102, v113, v112, s0
; %bb.981:                              ;   in Loop: Header=BB407_712 Depth=1
	s_or_b32 exec_lo, exec_lo, s12
	v_lshlrev_b32_e32 v103, 16, v103
	s_delay_alu instid0(VALU_DEP_1) | instskip(NEXT) | instid1(VALU_DEP_1)
	v_mul_f32_e32 v112, v71, v103
	v_and_b32_e32 v103, 0x7f800000, v112
	s_delay_alu instid0(VALU_DEP_1) | instskip(NEXT) | instid1(VALU_DEP_1)
	v_cmp_ne_u32_e64 s0, 0x7f800000, v103
                                        ; implicit-def: $vgpr103
	s_and_saveexec_b32 s12, s0
	s_delay_alu instid0(SALU_CYCLE_1)
	s_xor_b32 s0, exec_lo, s12
; %bb.982:                              ;   in Loop: Header=BB407_712 Depth=1
	v_bfe_u32 v103, v112, 16, 1
	s_delay_alu instid0(VALU_DEP_1)
	v_add3_u32 v103, v112, v103, 0x7fff
                                        ; implicit-def: $vgpr112
; %bb.983:                              ;   in Loop: Header=BB407_712 Depth=1
	s_and_not1_saveexec_b32 s12, s0
; %bb.984:                              ;   in Loop: Header=BB407_712 Depth=1
	v_and_b32_e32 v103, 0xffff, v112
	v_or_b32_e32 v113, 0x10000, v112
	s_delay_alu instid0(VALU_DEP_2) | instskip(NEXT) | instid1(VALU_DEP_1)
	v_cmp_eq_u32_e64 s0, 0, v103
	v_cndmask_b32_e64 v103, v113, v112, s0
; %bb.985:                              ;   in Loop: Header=BB407_712 Depth=1
	s_or_b32 exec_lo, exec_lo, s12
	v_lshlrev_b32_e32 v9, 16, v9
	s_delay_alu instid0(VALU_DEP_1) | instskip(NEXT) | instid1(VALU_DEP_1)
	v_mul_f32_e32 v9, v80, v9
	v_and_b32_e32 v112, 0x7f800000, v9
	s_delay_alu instid0(VALU_DEP_1) | instskip(NEXT) | instid1(VALU_DEP_1)
	v_cmp_ne_u32_e64 s0, 0x7f800000, v112
                                        ; implicit-def: $vgpr112
	s_and_saveexec_b32 s12, s0
	s_delay_alu instid0(SALU_CYCLE_1)
	s_xor_b32 s0, exec_lo, s12
; %bb.986:                              ;   in Loop: Header=BB407_712 Depth=1
	v_bfe_u32 v112, v9, 16, 1
	s_delay_alu instid0(VALU_DEP_1)
	v_add3_u32 v112, v9, v112, 0x7fff
                                        ; implicit-def: $vgpr9
; %bb.987:                              ;   in Loop: Header=BB407_712 Depth=1
	s_and_not1_saveexec_b32 s12, s0
; %bb.988:                              ;   in Loop: Header=BB407_712 Depth=1
	v_and_b32_e32 v112, 0xffff, v9
	v_or_b32_e32 v113, 0x10000, v9
	s_delay_alu instid0(VALU_DEP_2) | instskip(NEXT) | instid1(VALU_DEP_1)
	v_cmp_eq_u32_e64 s0, 0, v112
	v_cndmask_b32_e64 v112, v113, v9, s0
; %bb.989:                              ;   in Loop: Header=BB407_712 Depth=1
	s_or_b32 exec_lo, exec_lo, s12
	v_lshlrev_b32_e32 v7, 16, v7
                                        ; implicit-def: $vgpr113
	s_delay_alu instid0(VALU_DEP_1) | instskip(NEXT) | instid1(VALU_DEP_1)
	v_mul_f32_e32 v7, v81, v7
	v_and_b32_e32 v9, 0x7f800000, v7
	s_delay_alu instid0(VALU_DEP_1) | instskip(NEXT) | instid1(VALU_DEP_1)
	v_cmp_ne_u32_e64 s0, 0x7f800000, v9
	s_and_saveexec_b32 s12, s0
	s_delay_alu instid0(SALU_CYCLE_1)
	s_xor_b32 s0, exec_lo, s12
; %bb.990:                              ;   in Loop: Header=BB407_712 Depth=1
	v_bfe_u32 v9, v7, 16, 1
	s_delay_alu instid0(VALU_DEP_1)
	v_add3_u32 v113, v7, v9, 0x7fff
                                        ; implicit-def: $vgpr7
; %bb.991:                              ;   in Loop: Header=BB407_712 Depth=1
	s_and_not1_saveexec_b32 s12, s0
; %bb.992:                              ;   in Loop: Header=BB407_712 Depth=1
	v_and_b32_e32 v9, 0xffff, v7
	v_or_b32_e32 v113, 0x10000, v7
	s_delay_alu instid0(VALU_DEP_2) | instskip(NEXT) | instid1(VALU_DEP_1)
	v_cmp_eq_u32_e64 s0, 0, v9
	v_cndmask_b32_e64 v113, v113, v7, s0
; %bb.993:                              ;   in Loop: Header=BB407_712 Depth=1
	s_or_b32 exec_lo, exec_lo, s12
	v_lshlrev_b32_e32 v6, 16, v6
                                        ; implicit-def: $vgpr114
	s_delay_alu instid0(VALU_DEP_1) | instskip(NEXT) | instid1(VALU_DEP_1)
	v_mul_f32_e32 v6, v98, v6
	v_and_b32_e32 v7, 0x7f800000, v6
	s_delay_alu instid0(VALU_DEP_1) | instskip(NEXT) | instid1(VALU_DEP_1)
	v_cmp_ne_u32_e64 s0, 0x7f800000, v7
	s_and_saveexec_b32 s12, s0
	s_delay_alu instid0(SALU_CYCLE_1)
	s_xor_b32 s0, exec_lo, s12
; %bb.994:                              ;   in Loop: Header=BB407_712 Depth=1
	v_bfe_u32 v7, v6, 16, 1
	s_delay_alu instid0(VALU_DEP_1)
	v_add3_u32 v114, v6, v7, 0x7fff
                                        ; implicit-def: $vgpr6
; %bb.995:                              ;   in Loop: Header=BB407_712 Depth=1
	s_and_not1_saveexec_b32 s12, s0
; %bb.996:                              ;   in Loop: Header=BB407_712 Depth=1
	v_and_b32_e32 v7, 0xffff, v6
	v_or_b32_e32 v9, 0x10000, v6
	s_delay_alu instid0(VALU_DEP_2) | instskip(NEXT) | instid1(VALU_DEP_1)
	v_cmp_eq_u32_e64 s0, 0, v7
	v_cndmask_b32_e64 v114, v9, v6, s0
; %bb.997:                              ;   in Loop: Header=BB407_712 Depth=1
	s_or_b32 exec_lo, exec_lo, s12
	v_lshlrev_b32_e32 v3, 16, v3
                                        ; implicit-def: $vgpr115
	s_delay_alu instid0(VALU_DEP_1) | instskip(NEXT) | instid1(VALU_DEP_1)
	v_mul_f32_e32 v3, v99, v3
	v_and_b32_e32 v6, 0x7f800000, v3
	s_delay_alu instid0(VALU_DEP_1) | instskip(NEXT) | instid1(VALU_DEP_1)
	v_cmp_ne_u32_e64 s0, 0x7f800000, v6
	s_and_saveexec_b32 s12, s0
	s_delay_alu instid0(SALU_CYCLE_1)
	s_xor_b32 s0, exec_lo, s12
; %bb.998:                              ;   in Loop: Header=BB407_712 Depth=1
	v_bfe_u32 v6, v3, 16, 1
	s_delay_alu instid0(VALU_DEP_1)
	v_add3_u32 v115, v3, v6, 0x7fff
                                        ; implicit-def: $vgpr3
; %bb.999:                              ;   in Loop: Header=BB407_712 Depth=1
	s_and_not1_saveexec_b32 s12, s0
; %bb.1000:                             ;   in Loop: Header=BB407_712 Depth=1
	v_and_b32_e32 v6, 0xffff, v3
	v_or_b32_e32 v7, 0x10000, v3
	s_delay_alu instid0(VALU_DEP_2) | instskip(NEXT) | instid1(VALU_DEP_1)
	v_cmp_eq_u32_e64 s0, 0, v6
	v_cndmask_b32_e64 v115, v7, v3, s0
; %bb.1001:                             ;   in Loop: Header=BB407_712 Depth=1
	s_or_b32 exec_lo, exec_lo, s12
	v_lshlrev_b32_e32 v2, 16, v2
                                        ; implicit-def: $vgpr116
	s_delay_alu instid0(VALU_DEP_1) | instskip(NEXT) | instid1(VALU_DEP_1)
	v_mul_f32_e32 v2, v100, v2
	v_and_b32_e32 v3, 0x7f800000, v2
	s_delay_alu instid0(VALU_DEP_1) | instskip(NEXT) | instid1(VALU_DEP_1)
	v_cmp_ne_u32_e64 s0, 0x7f800000, v3
	s_and_saveexec_b32 s12, s0
	s_delay_alu instid0(SALU_CYCLE_1)
	s_xor_b32 s0, exec_lo, s12
; %bb.1002:                             ;   in Loop: Header=BB407_712 Depth=1
	v_bfe_u32 v3, v2, 16, 1
	s_delay_alu instid0(VALU_DEP_1)
	v_add3_u32 v116, v2, v3, 0x7fff
                                        ; implicit-def: $vgpr2
; %bb.1003:                             ;   in Loop: Header=BB407_712 Depth=1
	s_and_not1_saveexec_b32 s12, s0
; %bb.1004:                             ;   in Loop: Header=BB407_712 Depth=1
	v_and_b32_e32 v3, 0xffff, v2
	v_or_b32_e32 v6, 0x10000, v2
	s_delay_alu instid0(VALU_DEP_2) | instskip(NEXT) | instid1(VALU_DEP_1)
	v_cmp_eq_u32_e64 s0, 0, v3
	v_cndmask_b32_e64 v116, v6, v2, s0
; %bb.1005:                             ;   in Loop: Header=BB407_712 Depth=1
	s_or_b32 exec_lo, exec_lo, s12
	flat_load_b64 v[2:3], v[0:1] offset:512
	s_mov_b32 s12, exec_lo
	s_waitcnt vmcnt(0) lgkmcnt(0)
	v_dual_mov_b32 v6, 0 :: v_dual_and_b32 v7, 0xff, v2
	s_delay_alu instid0(VALU_DEP_1)
	v_cmpx_ne_u16_e32 0, v7
	s_cbranch_execz .LBB407_1013
; %bb.1006:                             ;   in Loop: Header=BB407_712 Depth=1
	v_bfrev_b32_e32 v6, 1
	s_mov_b32 s13, exec_lo
	v_cmpx_ne_u16_e32 0x80, v7
	s_cbranch_execz .LBB407_1012
; %bb.1007:                             ;   in Loop: Header=BB407_712 Depth=1
	v_and_b32_e32 v7, 0x7f, v2
	v_mov_b32_e32 v6, 0x7f800001
	s_mov_b32 s15, exec_lo
	s_delay_alu instid0(VALU_DEP_2)
	v_cmpx_ne_u32_e32 0x7f, v7
	s_cbranch_execz .LBB407_1011
; %bb.1008:                             ;   in Loop: Header=BB407_712 Depth=1
	v_lshrrev_b32_e32 v9, 3, v7
	v_cmp_gt_u32_e64 s0, 8, v7
	v_dual_mov_b32 v7, v3 :: v_dual_mov_b32 v6, v2
	s_delay_alu instid0(VALU_DEP_2)
	s_and_saveexec_b32 s17, s0
; %bb.1009:                             ;   in Loop: Header=BB407_712 Depth=1
	v_and_b32_e32 v6, 7, v2
	s_delay_alu instid0(VALU_DEP_1) | instskip(NEXT) | instid1(VALU_DEP_1)
	v_clz_i32_u32_e32 v6, v6
	v_min_u32_e32 v9, 32, v6
	s_delay_alu instid0(VALU_DEP_1) | instskip(SKIP_1) | instid1(VALU_DEP_2)
	v_subrev_nc_u32_e32 v6, 28, v9
	v_sub_nc_u32_e32 v9, 29, v9
	v_lshlrev_b64 v[6:7], v6, v[2:3]
; %bb.1010:                             ;   in Loop: Header=BB407_712 Depth=1
	s_or_b32 exec_lo, exec_lo, s17
	s_delay_alu instid0(VALU_DEP_1) | instskip(SKIP_2) | instid1(VALU_DEP_3)
	v_lshlrev_b32_e32 v6, 20, v6
	v_lshlrev_b32_e32 v7, 24, v2
	v_lshl_add_u32 v9, v9, 23, 0x3c000000
	v_and_b32_e32 v6, 0x700000, v6
	s_delay_alu instid0(VALU_DEP_3) | instskip(NEXT) | instid1(VALU_DEP_1)
	v_and_b32_e32 v7, 0x80000000, v7
	v_or3_b32 v6, v6, v7, v9
.LBB407_1011:                           ;   in Loop: Header=BB407_712 Depth=1
	s_or_b32 exec_lo, exec_lo, s15
.LBB407_1012:                           ;   in Loop: Header=BB407_712 Depth=1
	s_delay_alu instid0(SALU_CYCLE_1)
	s_or_b32 exec_lo, exec_lo, s13
.LBB407_1013:                           ;   in Loop: Header=BB407_712 Depth=1
	s_delay_alu instid0(SALU_CYCLE_1) | instskip(NEXT) | instid1(VALU_DEP_1)
	s_or_b32 exec_lo, exec_lo, s12
	v_mul_f32_e32 v6, v8, v6
                                        ; implicit-def: $vgpr117
	s_delay_alu instid0(VALU_DEP_1) | instskip(NEXT) | instid1(VALU_DEP_1)
	v_and_b32_e32 v7, 0x7f800000, v6
	v_cmp_ne_u32_e64 s0, 0x7f800000, v7
	s_delay_alu instid0(VALU_DEP_1) | instskip(NEXT) | instid1(SALU_CYCLE_1)
	s_and_saveexec_b32 s12, s0
	s_xor_b32 s0, exec_lo, s12
; %bb.1014:                             ;   in Loop: Header=BB407_712 Depth=1
	v_bfe_u32 v7, v6, 16, 1
	s_delay_alu instid0(VALU_DEP_1)
	v_add3_u32 v117, v6, v7, 0x7fff
                                        ; implicit-def: $vgpr6
; %bb.1015:                             ;   in Loop: Header=BB407_712 Depth=1
	s_and_not1_saveexec_b32 s12, s0
; %bb.1016:                             ;   in Loop: Header=BB407_712 Depth=1
	v_and_b32_e32 v7, 0xffff, v6
	v_or_b32_e32 v9, 0x10000, v6
	s_delay_alu instid0(VALU_DEP_2) | instskip(NEXT) | instid1(VALU_DEP_1)
	v_cmp_eq_u32_e64 s0, 0, v7
	v_cndmask_b32_e64 v117, v9, v6, s0
; %bb.1017:                             ;   in Loop: Header=BB407_712 Depth=1
	s_or_b32 exec_lo, exec_lo, s12
	v_lshrrev_b16 v7, 8, v2
	v_mov_b32_e32 v6, 0
	s_mov_b32 s12, exec_lo
	s_delay_alu instid0(VALU_DEP_2)
	v_cmpx_ne_u16_e32 0, v7
	s_cbranch_execz .LBB407_1025
; %bb.1018:                             ;   in Loop: Header=BB407_712 Depth=1
	v_bfrev_b32_e32 v6, 1
	s_mov_b32 s13, exec_lo
	v_cmpx_ne_u16_e32 0x80, v7
	s_cbranch_execz .LBB407_1024
; %bb.1019:                             ;   in Loop: Header=BB407_712 Depth=1
	v_and_b32_e32 v9, 0xffff, v7
	v_mov_b32_e32 v6, 0x7f800001
	s_mov_b32 s15, exec_lo
	s_delay_alu instid0(VALU_DEP_2) | instskip(NEXT) | instid1(VALU_DEP_1)
	v_and_b32_e32 v7, 0x7f, v9
	v_cmpx_ne_u32_e32 0x7f, v7
	s_cbranch_execz .LBB407_1023
; %bb.1020:                             ;   in Loop: Header=BB407_712 Depth=1
	v_and_b32_e32 v9, 7, v9
	v_lshrrev_b32_e32 v6, 3, v7
	s_mov_b32 s17, exec_lo
	v_cmpx_gt_u32_e32 8, v7
; %bb.1021:                             ;   in Loop: Header=BB407_712 Depth=1
	s_delay_alu instid0(VALU_DEP_3) | instskip(NEXT) | instid1(VALU_DEP_1)
	v_clz_i32_u32_e32 v6, v9
	v_min_u32_e32 v6, 32, v6
	s_delay_alu instid0(VALU_DEP_1) | instskip(SKIP_1) | instid1(VALU_DEP_2)
	v_subrev_nc_u32_e32 v7, 28, v6
	v_sub_nc_u32_e32 v6, 29, v6
	v_lshlrev_b64 v[118:119], v7, v[9:10]
	s_delay_alu instid0(VALU_DEP_1)
	v_and_b32_e32 v9, 7, v118
; %bb.1022:                             ;   in Loop: Header=BB407_712 Depth=1
	s_or_b32 exec_lo, exec_lo, s17
	v_lshlrev_b32_e32 v7, 16, v2
	s_delay_alu instid0(VALU_DEP_2) | instskip(SKIP_1) | instid1(VALU_DEP_3)
	v_lshlrev_b32_e32 v9, 20, v9
	v_lshl_add_u32 v6, v6, 23, 0x3c000000
	v_and_b32_e32 v7, 0x80000000, v7
	s_delay_alu instid0(VALU_DEP_1)
	v_or3_b32 v6, v9, v7, v6
.LBB407_1023:                           ;   in Loop: Header=BB407_712 Depth=1
	s_or_b32 exec_lo, exec_lo, s15
.LBB407_1024:                           ;   in Loop: Header=BB407_712 Depth=1
	s_delay_alu instid0(SALU_CYCLE_1)
	s_or_b32 exec_lo, exec_lo, s13
.LBB407_1025:                           ;   in Loop: Header=BB407_712 Depth=1
	s_delay_alu instid0(SALU_CYCLE_1) | instskip(NEXT) | instid1(VALU_DEP_1)
	s_or_b32 exec_lo, exec_lo, s12
	v_mul_f32_e32 v6, v8, v6
                                        ; implicit-def: $vgpr118
	s_delay_alu instid0(VALU_DEP_1) | instskip(NEXT) | instid1(VALU_DEP_1)
	v_and_b32_e32 v7, 0x7f800000, v6
	v_cmp_ne_u32_e64 s0, 0x7f800000, v7
	s_delay_alu instid0(VALU_DEP_1) | instskip(NEXT) | instid1(SALU_CYCLE_1)
	s_and_saveexec_b32 s12, s0
	s_xor_b32 s0, exec_lo, s12
; %bb.1026:                             ;   in Loop: Header=BB407_712 Depth=1
	v_bfe_u32 v7, v6, 16, 1
	s_delay_alu instid0(VALU_DEP_1)
	v_add3_u32 v118, v6, v7, 0x7fff
                                        ; implicit-def: $vgpr6
; %bb.1027:                             ;   in Loop: Header=BB407_712 Depth=1
	s_and_not1_saveexec_b32 s12, s0
; %bb.1028:                             ;   in Loop: Header=BB407_712 Depth=1
	v_and_b32_e32 v7, 0xffff, v6
	v_or_b32_e32 v9, 0x10000, v6
	s_delay_alu instid0(VALU_DEP_2) | instskip(NEXT) | instid1(VALU_DEP_1)
	v_cmp_eq_u32_e64 s0, 0, v7
	v_cndmask_b32_e64 v118, v9, v6, s0
; %bb.1029:                             ;   in Loop: Header=BB407_712 Depth=1
	s_or_b32 exec_lo, exec_lo, s12
	v_lshrrev_b32_e32 v6, 16, v2
	v_mov_b32_e32 v7, 0
	s_mov_b32 s12, exec_lo
	s_delay_alu instid0(VALU_DEP_2) | instskip(NEXT) | instid1(VALU_DEP_1)
	v_and_b32_e32 v9, 0xff, v6
	v_cmpx_ne_u16_e32 0, v9
	s_cbranch_execz .LBB407_1037
; %bb.1030:                             ;   in Loop: Header=BB407_712 Depth=1
	v_bfrev_b32_e32 v7, 1
	s_mov_b32 s13, exec_lo
	v_cmpx_ne_u16_e32 0x80, v9
	s_cbranch_execz .LBB407_1036
; %bb.1031:                             ;   in Loop: Header=BB407_712 Depth=1
	v_bfe_u32 v119, v2, 16, 7
	v_mov_b32_e32 v7, 0x7f800001
	s_mov_b32 s15, exec_lo
	s_delay_alu instid0(VALU_DEP_2)
	v_cmpx_ne_u32_e32 0x7f, v119
	s_cbranch_execz .LBB407_1035
; %bb.1032:                             ;   in Loop: Header=BB407_712 Depth=1
	v_and_b32_e32 v9, 7, v6
	v_lshrrev_b32_e32 v7, 3, v119
	s_mov_b32 s17, exec_lo
	v_cmpx_gt_u32_e32 8, v119
; %bb.1033:                             ;   in Loop: Header=BB407_712 Depth=1
	s_delay_alu instid0(VALU_DEP_3) | instskip(NEXT) | instid1(VALU_DEP_1)
	v_clz_i32_u32_e32 v7, v9
	v_min_u32_e32 v7, 32, v7
	s_delay_alu instid0(VALU_DEP_1) | instskip(SKIP_1) | instid1(VALU_DEP_2)
	v_subrev_nc_u32_e32 v119, 28, v7
	v_sub_nc_u32_e32 v7, 29, v7
	v_lshlrev_b64 v[128:129], v119, v[9:10]
	s_delay_alu instid0(VALU_DEP_1)
	v_and_b32_e32 v9, 7, v128
; %bb.1034:                             ;   in Loop: Header=BB407_712 Depth=1
	s_or_b32 exec_lo, exec_lo, s17
	v_lshlrev_b32_e32 v6, 24, v6
	s_delay_alu instid0(VALU_DEP_2) | instskip(SKIP_1) | instid1(VALU_DEP_3)
	v_lshlrev_b32_e32 v9, 20, v9
	v_lshl_add_u32 v7, v7, 23, 0x3c000000
	v_and_b32_e32 v6, 0x80000000, v6
	s_delay_alu instid0(VALU_DEP_1)
	v_or3_b32 v7, v9, v6, v7
.LBB407_1035:                           ;   in Loop: Header=BB407_712 Depth=1
	s_or_b32 exec_lo, exec_lo, s15
.LBB407_1036:                           ;   in Loop: Header=BB407_712 Depth=1
	s_delay_alu instid0(SALU_CYCLE_1)
	s_or_b32 exec_lo, exec_lo, s13
.LBB407_1037:                           ;   in Loop: Header=BB407_712 Depth=1
	s_delay_alu instid0(SALU_CYCLE_1) | instskip(NEXT) | instid1(VALU_DEP_1)
	s_or_b32 exec_lo, exec_lo, s12
	v_mul_f32_e32 v6, v8, v7
                                        ; implicit-def: $vgpr119
	s_delay_alu instid0(VALU_DEP_1) | instskip(NEXT) | instid1(VALU_DEP_1)
	v_and_b32_e32 v7, 0x7f800000, v6
	v_cmp_ne_u32_e64 s0, 0x7f800000, v7
	s_delay_alu instid0(VALU_DEP_1) | instskip(NEXT) | instid1(SALU_CYCLE_1)
	s_and_saveexec_b32 s12, s0
	s_xor_b32 s0, exec_lo, s12
; %bb.1038:                             ;   in Loop: Header=BB407_712 Depth=1
	v_bfe_u32 v7, v6, 16, 1
	s_delay_alu instid0(VALU_DEP_1)
	v_add3_u32 v119, v6, v7, 0x7fff
                                        ; implicit-def: $vgpr6
; %bb.1039:                             ;   in Loop: Header=BB407_712 Depth=1
	s_and_not1_saveexec_b32 s12, s0
; %bb.1040:                             ;   in Loop: Header=BB407_712 Depth=1
	v_and_b32_e32 v7, 0xffff, v6
	v_or_b32_e32 v9, 0x10000, v6
	s_delay_alu instid0(VALU_DEP_2) | instskip(NEXT) | instid1(VALU_DEP_1)
	v_cmp_eq_u32_e64 s0, 0, v7
	v_cndmask_b32_e64 v119, v9, v6, s0
; %bb.1041:                             ;   in Loop: Header=BB407_712 Depth=1
	s_or_b32 exec_lo, exec_lo, s12
	v_mov_b32_e32 v7, 0
	s_mov_b32 s12, exec_lo
	v_cmpx_lt_u32_e32 0xffffff, v2
	s_cbranch_execz .LBB407_1049
; %bb.1042:                             ;   in Loop: Header=BB407_712 Depth=1
	v_lshrrev_b32_e32 v6, 24, v2
	v_bfrev_b32_e32 v7, 1
	s_mov_b32 s13, exec_lo
	s_delay_alu instid0(VALU_DEP_2)
	v_cmpx_ne_u32_e32 0x80, v6
	s_cbranch_execz .LBB407_1048
; %bb.1043:                             ;   in Loop: Header=BB407_712 Depth=1
	v_bfe_u32 v128, v2, 24, 7
	v_mov_b32_e32 v7, 0x7f800001
	s_mov_b32 s15, exec_lo
	s_delay_alu instid0(VALU_DEP_2)
	v_cmpx_ne_u32_e32 0x7f, v128
	s_cbranch_execz .LBB407_1047
; %bb.1044:                             ;   in Loop: Header=BB407_712 Depth=1
	v_and_b32_e32 v9, 7, v6
	v_lshrrev_b32_e32 v7, 3, v128
	s_mov_b32 s17, exec_lo
	v_cmpx_gt_u32_e32 8, v128
; %bb.1045:                             ;   in Loop: Header=BB407_712 Depth=1
	s_delay_alu instid0(VALU_DEP_3) | instskip(NEXT) | instid1(VALU_DEP_1)
	v_clz_i32_u32_e32 v7, v9
	v_min_u32_e32 v7, 32, v7
	s_delay_alu instid0(VALU_DEP_1) | instskip(SKIP_1) | instid1(VALU_DEP_2)
	v_subrev_nc_u32_e32 v128, 28, v7
	v_sub_nc_u32_e32 v7, 29, v7
	v_lshlrev_b64 v[128:129], v128, v[9:10]
	s_delay_alu instid0(VALU_DEP_1)
	v_and_b32_e32 v9, 7, v128
; %bb.1046:                             ;   in Loop: Header=BB407_712 Depth=1
	s_or_b32 exec_lo, exec_lo, s17
	v_lshlrev_b32_e32 v6, 24, v6
	s_delay_alu instid0(VALU_DEP_2) | instskip(SKIP_1) | instid1(VALU_DEP_3)
	v_lshlrev_b32_e32 v9, 20, v9
	v_lshl_add_u32 v7, v7, 23, 0x3c000000
	v_and_b32_e32 v6, 0x80000000, v6
	s_delay_alu instid0(VALU_DEP_1)
	v_or3_b32 v7, v9, v6, v7
.LBB407_1047:                           ;   in Loop: Header=BB407_712 Depth=1
	s_or_b32 exec_lo, exec_lo, s15
.LBB407_1048:                           ;   in Loop: Header=BB407_712 Depth=1
	s_delay_alu instid0(SALU_CYCLE_1)
	s_or_b32 exec_lo, exec_lo, s13
.LBB407_1049:                           ;   in Loop: Header=BB407_712 Depth=1
	s_delay_alu instid0(SALU_CYCLE_1) | instskip(NEXT) | instid1(VALU_DEP_1)
	s_or_b32 exec_lo, exec_lo, s12
	v_mul_f32_e32 v6, v8, v7
                                        ; implicit-def: $vgpr128
	s_delay_alu instid0(VALU_DEP_1) | instskip(NEXT) | instid1(VALU_DEP_1)
	v_and_b32_e32 v7, 0x7f800000, v6
	v_cmp_ne_u32_e64 s0, 0x7f800000, v7
	s_delay_alu instid0(VALU_DEP_1) | instskip(NEXT) | instid1(SALU_CYCLE_1)
	s_and_saveexec_b32 s12, s0
	s_xor_b32 s0, exec_lo, s12
; %bb.1050:                             ;   in Loop: Header=BB407_712 Depth=1
	v_bfe_u32 v7, v6, 16, 1
	s_delay_alu instid0(VALU_DEP_1)
	v_add3_u32 v128, v6, v7, 0x7fff
                                        ; implicit-def: $vgpr6
; %bb.1051:                             ;   in Loop: Header=BB407_712 Depth=1
	s_and_not1_saveexec_b32 s12, s0
; %bb.1052:                             ;   in Loop: Header=BB407_712 Depth=1
	v_and_b32_e32 v7, 0xffff, v6
	v_or_b32_e32 v9, 0x10000, v6
	s_delay_alu instid0(VALU_DEP_2) | instskip(NEXT) | instid1(VALU_DEP_1)
	v_cmp_eq_u32_e64 s0, 0, v7
	v_cndmask_b32_e64 v128, v9, v6, s0
; %bb.1053:                             ;   in Loop: Header=BB407_712 Depth=1
	s_or_b32 exec_lo, exec_lo, s12
	v_dual_mov_b32 v6, 0 :: v_dual_and_b32 v7, 0xff, v3
	v_mov_b32_e32 v9, v3
	s_mov_b32 s12, exec_lo
	s_delay_alu instid0(VALU_DEP_2)
	v_cmpx_ne_u16_e32 0, v7
	s_cbranch_execz .LBB407_1061
; %bb.1054:                             ;   in Loop: Header=BB407_712 Depth=1
	v_bfrev_b32_e32 v6, 1
	s_mov_b32 s13, exec_lo
	v_cmpx_ne_u16_e32 0x80, v7
	s_cbranch_execz .LBB407_1060
; %bb.1055:                             ;   in Loop: Header=BB407_712 Depth=1
	v_and_b32_e32 v7, 0x7f, v3
	v_mov_b32_e32 v6, 0x7f800001
	s_mov_b32 s15, exec_lo
	s_delay_alu instid0(VALU_DEP_2)
	v_cmpx_ne_u32_e32 0x7f, v7
	s_cbranch_execz .LBB407_1059
; %bb.1056:                             ;   in Loop: Header=BB407_712 Depth=1
	v_lshrrev_b32_e32 v129, 3, v7
	v_cmp_gt_u32_e64 s0, 8, v7
	v_dual_mov_b32 v6, v9 :: v_dual_mov_b32 v7, v10
	s_delay_alu instid0(VALU_DEP_2)
	s_and_saveexec_b32 s17, s0
; %bb.1057:                             ;   in Loop: Header=BB407_712 Depth=1
	v_and_b32_e32 v6, 7, v3
	s_delay_alu instid0(VALU_DEP_1) | instskip(NEXT) | instid1(VALU_DEP_1)
	v_clz_i32_u32_e32 v6, v6
	v_min_u32_e32 v129, 32, v6
	s_delay_alu instid0(VALU_DEP_1) | instskip(SKIP_1) | instid1(VALU_DEP_2)
	v_subrev_nc_u32_e32 v6, 28, v129
	v_sub_nc_u32_e32 v129, 29, v129
	v_lshlrev_b64 v[6:7], v6, v[9:10]
; %bb.1058:                             ;   in Loop: Header=BB407_712 Depth=1
	s_or_b32 exec_lo, exec_lo, s17
	s_delay_alu instid0(VALU_DEP_1) | instskip(SKIP_2) | instid1(VALU_DEP_3)
	v_lshlrev_b32_e32 v6, 20, v6
	v_lshlrev_b32_e32 v7, 24, v9
	v_lshl_add_u32 v129, v129, 23, 0x3c000000
	v_and_b32_e32 v6, 0x700000, v6
	s_delay_alu instid0(VALU_DEP_3) | instskip(NEXT) | instid1(VALU_DEP_1)
	v_and_b32_e32 v7, 0x80000000, v7
	v_or3_b32 v6, v6, v7, v129
.LBB407_1059:                           ;   in Loop: Header=BB407_712 Depth=1
	s_or_b32 exec_lo, exec_lo, s15
.LBB407_1060:                           ;   in Loop: Header=BB407_712 Depth=1
	s_delay_alu instid0(SALU_CYCLE_1)
	s_or_b32 exec_lo, exec_lo, s13
.LBB407_1061:                           ;   in Loop: Header=BB407_712 Depth=1
	s_delay_alu instid0(SALU_CYCLE_1) | instskip(NEXT) | instid1(VALU_DEP_1)
	s_or_b32 exec_lo, exec_lo, s12
	v_mul_f32_e32 v6, v8, v6
                                        ; implicit-def: $vgpr129
	s_delay_alu instid0(VALU_DEP_1) | instskip(NEXT) | instid1(VALU_DEP_1)
	v_and_b32_e32 v7, 0x7f800000, v6
	v_cmp_ne_u32_e64 s0, 0x7f800000, v7
	s_delay_alu instid0(VALU_DEP_1) | instskip(NEXT) | instid1(SALU_CYCLE_1)
	s_and_saveexec_b32 s12, s0
	s_xor_b32 s0, exec_lo, s12
; %bb.1062:                             ;   in Loop: Header=BB407_712 Depth=1
	v_bfe_u32 v7, v6, 16, 1
	s_delay_alu instid0(VALU_DEP_1)
	v_add3_u32 v129, v6, v7, 0x7fff
                                        ; implicit-def: $vgpr6
; %bb.1063:                             ;   in Loop: Header=BB407_712 Depth=1
	s_and_not1_saveexec_b32 s12, s0
; %bb.1064:                             ;   in Loop: Header=BB407_712 Depth=1
	v_and_b32_e32 v7, 0xffff, v6
	v_or_b32_e32 v129, 0x10000, v6
	s_delay_alu instid0(VALU_DEP_2) | instskip(NEXT) | instid1(VALU_DEP_1)
	v_cmp_eq_u32_e64 s0, 0, v7
	v_cndmask_b32_e64 v129, v129, v6, s0
; %bb.1065:                             ;   in Loop: Header=BB407_712 Depth=1
	s_or_b32 exec_lo, exec_lo, s12
	v_lshrrev_b16 v7, 8, v9
	v_mov_b32_e32 v6, 0
	s_mov_b32 s12, exec_lo
	s_delay_alu instid0(VALU_DEP_2)
	v_cmpx_ne_u16_e32 0, v7
	s_cbranch_execz .LBB407_1073
; %bb.1066:                             ;   in Loop: Header=BB407_712 Depth=1
	v_bfrev_b32_e32 v6, 1
	s_mov_b32 s13, exec_lo
	v_cmpx_ne_u16_e32 0x80, v7
	s_cbranch_execz .LBB407_1072
; %bb.1067:                             ;   in Loop: Header=BB407_712 Depth=1
	v_and_b32_e32 v7, 0xffff, v7
	v_mov_b32_e32 v6, 0x7f800001
	s_mov_b32 s15, exec_lo
	s_delay_alu instid0(VALU_DEP_2) | instskip(NEXT) | instid1(VALU_DEP_1)
	v_and_b32_e32 v131, 0x7f, v7
	v_cmpx_ne_u32_e32 0x7f, v131
	s_cbranch_execz .LBB407_1071
; %bb.1068:                             ;   in Loop: Header=BB407_712 Depth=1
	v_dual_mov_b32 v7, v10 :: v_dual_and_b32 v6, 7, v7
	v_lshrrev_b32_e32 v130, 3, v131
	s_mov_b32 s17, exec_lo
	v_cmpx_gt_u32_e32 8, v131
; %bb.1069:                             ;   in Loop: Header=BB407_712 Depth=1
	s_delay_alu instid0(VALU_DEP_3) | instskip(NEXT) | instid1(VALU_DEP_1)
	v_clz_i32_u32_e32 v130, v6
	v_min_u32_e32 v130, 32, v130
	s_delay_alu instid0(VALU_DEP_1) | instskip(SKIP_1) | instid1(VALU_DEP_2)
	v_subrev_nc_u32_e32 v131, 28, v130
	v_sub_nc_u32_e32 v130, 29, v130
	v_lshlrev_b64 v[6:7], v131, v[6:7]
	s_delay_alu instid0(VALU_DEP_1)
	v_and_b32_e32 v6, 7, v6
; %bb.1070:                             ;   in Loop: Header=BB407_712 Depth=1
	s_or_b32 exec_lo, exec_lo, s17
	v_lshlrev_b32_e32 v7, 16, v9
	s_delay_alu instid0(VALU_DEP_2) | instskip(SKIP_1) | instid1(VALU_DEP_3)
	v_lshlrev_b32_e32 v6, 20, v6
	v_lshl_add_u32 v9, v130, 23, 0x3c000000
	v_and_b32_e32 v7, 0x80000000, v7
	s_delay_alu instid0(VALU_DEP_1)
	v_or3_b32 v6, v6, v7, v9
.LBB407_1071:                           ;   in Loop: Header=BB407_712 Depth=1
	s_or_b32 exec_lo, exec_lo, s15
.LBB407_1072:                           ;   in Loop: Header=BB407_712 Depth=1
	s_delay_alu instid0(SALU_CYCLE_1)
	s_or_b32 exec_lo, exec_lo, s13
.LBB407_1073:                           ;   in Loop: Header=BB407_712 Depth=1
	s_delay_alu instid0(SALU_CYCLE_1) | instskip(NEXT) | instid1(VALU_DEP_1)
	s_or_b32 exec_lo, exec_lo, s12
	v_mul_f32_e32 v7, v8, v6
	s_delay_alu instid0(VALU_DEP_1) | instskip(NEXT) | instid1(VALU_DEP_1)
	v_and_b32_e32 v6, 0x7f800000, v7
	v_cmp_ne_u32_e64 s0, 0x7f800000, v6
                                        ; implicit-def: $vgpr6
	s_delay_alu instid0(VALU_DEP_1) | instskip(NEXT) | instid1(SALU_CYCLE_1)
	s_and_saveexec_b32 s12, s0
	s_xor_b32 s0, exec_lo, s12
; %bb.1074:                             ;   in Loop: Header=BB407_712 Depth=1
	v_bfe_u32 v6, v7, 16, 1
	s_delay_alu instid0(VALU_DEP_1)
	v_add3_u32 v6, v7, v6, 0x7fff
                                        ; implicit-def: $vgpr7
; %bb.1075:                             ;   in Loop: Header=BB407_712 Depth=1
	s_and_not1_saveexec_b32 s12, s0
; %bb.1076:                             ;   in Loop: Header=BB407_712 Depth=1
	v_and_b32_e32 v6, 0xffff, v7
	v_or_b32_e32 v9, 0x10000, v7
	s_delay_alu instid0(VALU_DEP_2) | instskip(NEXT) | instid1(VALU_DEP_1)
	v_cmp_eq_u32_e64 s0, 0, v6
	v_cndmask_b32_e64 v6, v9, v7, s0
; %bb.1077:                             ;   in Loop: Header=BB407_712 Depth=1
	s_or_b32 exec_lo, exec_lo, s12
	v_lshrrev_b32_e32 v7, 16, v3
	s_mov_b32 s12, exec_lo
	s_delay_alu instid0(VALU_DEP_1) | instskip(NEXT) | instid1(VALU_DEP_1)
	v_dual_mov_b32 v9, 0 :: v_dual_and_b32 v130, 0xff, v7
	v_cmpx_ne_u16_e64 0, v130
	s_cbranch_execz .LBB407_1085
; %bb.1078:                             ;   in Loop: Header=BB407_712 Depth=1
	v_bfrev_b32_e32 v9, 1
	s_mov_b32 s13, exec_lo
	v_cmpx_ne_u16_e64 0x80, v130
	s_cbranch_execz .LBB407_1084
; %bb.1079:                             ;   in Loop: Header=BB407_712 Depth=1
	v_bfe_u32 v131, v3, 16, 7
	v_mov_b32_e32 v9, 0x7f800001
	s_mov_b32 s15, exec_lo
	s_delay_alu instid0(VALU_DEP_2)
	v_cmpx_ne_u32_e32 0x7f, v131
	s_cbranch_execz .LBB407_1083
; %bb.1080:                             ;   in Loop: Header=BB407_712 Depth=1
	v_and_b32_e32 v9, 7, v7
	v_lshrrev_b32_e32 v130, 3, v131
	s_mov_b32 s17, exec_lo
	v_cmpx_gt_u32_e32 8, v131
; %bb.1081:                             ;   in Loop: Header=BB407_712 Depth=1
	s_delay_alu instid0(VALU_DEP_3) | instskip(NEXT) | instid1(VALU_DEP_1)
	v_clz_i32_u32_e32 v130, v9
	v_min_u32_e32 v130, 32, v130
	s_delay_alu instid0(VALU_DEP_1) | instskip(SKIP_1) | instid1(VALU_DEP_2)
	v_subrev_nc_u32_e32 v131, 28, v130
	v_sub_nc_u32_e32 v130, 29, v130
	v_lshlrev_b64 v[131:132], v131, v[9:10]
	s_delay_alu instid0(VALU_DEP_1)
	v_and_b32_e32 v9, 7, v131
; %bb.1082:                             ;   in Loop: Header=BB407_712 Depth=1
	s_or_b32 exec_lo, exec_lo, s17
	v_lshlrev_b32_e32 v7, 24, v7
	s_delay_alu instid0(VALU_DEP_2) | instskip(SKIP_1) | instid1(VALU_DEP_3)
	v_lshlrev_b32_e32 v9, 20, v9
	v_lshl_add_u32 v130, v130, 23, 0x3c000000
	v_and_b32_e32 v7, 0x80000000, v7
	s_delay_alu instid0(VALU_DEP_1)
	v_or3_b32 v9, v9, v7, v130
.LBB407_1083:                           ;   in Loop: Header=BB407_712 Depth=1
	s_or_b32 exec_lo, exec_lo, s15
.LBB407_1084:                           ;   in Loop: Header=BB407_712 Depth=1
	s_delay_alu instid0(SALU_CYCLE_1)
	s_or_b32 exec_lo, exec_lo, s13
.LBB407_1085:                           ;   in Loop: Header=BB407_712 Depth=1
	s_delay_alu instid0(SALU_CYCLE_1) | instskip(NEXT) | instid1(VALU_DEP_1)
	s_or_b32 exec_lo, exec_lo, s12
	v_mul_f32_e32 v7, v8, v9
                                        ; implicit-def: $vgpr130
	s_delay_alu instid0(VALU_DEP_1) | instskip(NEXT) | instid1(VALU_DEP_1)
	v_and_b32_e32 v9, 0x7f800000, v7
	v_cmp_ne_u32_e64 s0, 0x7f800000, v9
	s_delay_alu instid0(VALU_DEP_1) | instskip(NEXT) | instid1(SALU_CYCLE_1)
	s_and_saveexec_b32 s12, s0
	s_xor_b32 s0, exec_lo, s12
; %bb.1086:                             ;   in Loop: Header=BB407_712 Depth=1
	v_bfe_u32 v9, v7, 16, 1
	s_delay_alu instid0(VALU_DEP_1)
	v_add3_u32 v130, v7, v9, 0x7fff
                                        ; implicit-def: $vgpr7
; %bb.1087:                             ;   in Loop: Header=BB407_712 Depth=1
	s_and_not1_saveexec_b32 s12, s0
; %bb.1088:                             ;   in Loop: Header=BB407_712 Depth=1
	v_and_b32_e32 v9, 0xffff, v7
	v_or_b32_e32 v130, 0x10000, v7
	s_delay_alu instid0(VALU_DEP_2) | instskip(NEXT) | instid1(VALU_DEP_1)
	v_cmp_eq_u32_e64 s0, 0, v9
	v_cndmask_b32_e64 v130, v130, v7, s0
; %bb.1089:                             ;   in Loop: Header=BB407_712 Depth=1
	s_or_b32 exec_lo, exec_lo, s12
	v_mov_b32_e32 v7, 0
	s_mov_b32 s12, exec_lo
	v_cmpx_lt_u64_e64 s[8:9], v[2:3]
	s_cbranch_execz .LBB407_1097
; %bb.1090:                             ;   in Loop: Header=BB407_712 Depth=1
	v_lshrrev_b32_e32 v2, 24, v3
	v_bfrev_b32_e32 v7, 1
	s_mov_b32 s13, exec_lo
	s_delay_alu instid0(VALU_DEP_2)
	v_cmpx_ne_u32_e32 0x80, v2
	s_cbranch_execz .LBB407_1096
; %bb.1091:                             ;   in Loop: Header=BB407_712 Depth=1
	v_bfe_u32 v131, v3, 24, 7
	v_mov_b32_e32 v7, 0x7f800001
	s_mov_b32 s15, exec_lo
	s_delay_alu instid0(VALU_DEP_2)
	v_cmpx_ne_u32_e32 0x7f, v131
	s_cbranch_execz .LBB407_1095
; %bb.1092:                             ;   in Loop: Header=BB407_712 Depth=1
	v_and_b32_e32 v9, 7, v2
	v_lshrrev_b32_e32 v3, 3, v131
	s_mov_b32 s17, exec_lo
	v_cmpx_gt_u32_e32 8, v131
; %bb.1093:                             ;   in Loop: Header=BB407_712 Depth=1
	s_delay_alu instid0(VALU_DEP_3) | instskip(NEXT) | instid1(VALU_DEP_1)
	v_clz_i32_u32_e32 v3, v9
	v_min_u32_e32 v3, 32, v3
	s_delay_alu instid0(VALU_DEP_1) | instskip(SKIP_1) | instid1(VALU_DEP_2)
	v_subrev_nc_u32_e32 v7, 28, v3
	v_sub_nc_u32_e32 v3, 29, v3
	v_lshlrev_b64 v[131:132], v7, v[9:10]
	s_delay_alu instid0(VALU_DEP_1)
	v_and_b32_e32 v9, 7, v131
; %bb.1094:                             ;   in Loop: Header=BB407_712 Depth=1
	s_or_b32 exec_lo, exec_lo, s17
	v_lshlrev_b32_e32 v2, 24, v2
	s_delay_alu instid0(VALU_DEP_2) | instskip(SKIP_1) | instid1(VALU_DEP_3)
	v_lshlrev_b32_e32 v7, 20, v9
	v_lshl_add_u32 v3, v3, 23, 0x3c000000
	v_and_b32_e32 v2, 0x80000000, v2
	s_delay_alu instid0(VALU_DEP_1)
	v_or3_b32 v7, v7, v2, v3
.LBB407_1095:                           ;   in Loop: Header=BB407_712 Depth=1
	s_or_b32 exec_lo, exec_lo, s15
.LBB407_1096:                           ;   in Loop: Header=BB407_712 Depth=1
	s_delay_alu instid0(SALU_CYCLE_1)
	s_or_b32 exec_lo, exec_lo, s13
.LBB407_1097:                           ;   in Loop: Header=BB407_712 Depth=1
	s_delay_alu instid0(SALU_CYCLE_1) | instskip(NEXT) | instid1(VALU_DEP_1)
	s_or_b32 exec_lo, exec_lo, s12
	v_mul_f32_e32 v3, v8, v7
	s_delay_alu instid0(VALU_DEP_1) | instskip(NEXT) | instid1(VALU_DEP_1)
	v_and_b32_e32 v2, 0x7f800000, v3
	v_cmp_ne_u32_e64 s0, 0x7f800000, v2
                                        ; implicit-def: $vgpr2
	s_delay_alu instid0(VALU_DEP_1) | instskip(NEXT) | instid1(SALU_CYCLE_1)
	s_and_saveexec_b32 s12, s0
	s_xor_b32 s0, exec_lo, s12
; %bb.1098:                             ;   in Loop: Header=BB407_712 Depth=1
	v_bfe_u32 v2, v3, 16, 1
	s_delay_alu instid0(VALU_DEP_1)
	v_add3_u32 v2, v3, v2, 0x7fff
                                        ; implicit-def: $vgpr3
; %bb.1099:                             ;   in Loop: Header=BB407_712 Depth=1
	s_and_not1_saveexec_b32 s12, s0
; %bb.1100:                             ;   in Loop: Header=BB407_712 Depth=1
	v_and_b32_e32 v2, 0xffff, v3
	v_or_b32_e32 v7, 0x10000, v3
	s_delay_alu instid0(VALU_DEP_2) | instskip(NEXT) | instid1(VALU_DEP_1)
	v_cmp_eq_u32_e64 s0, 0, v2
	v_cndmask_b32_e64 v2, v7, v3, s0
; %bb.1101:                             ;   in Loop: Header=BB407_712 Depth=1
	s_or_b32 exec_lo, exec_lo, s12
	v_lshrrev_b32_e32 v6, 16, v6
	v_lshrrev_b32_e32 v7, 16, v129
	;; [unrolled: 1-line block ×8, first 2 shown]
	s_and_saveexec_b32 s12, vcc_lo
	s_cbranch_execz .LBB407_1103
; %bb.1102:                             ;   in Loop: Header=BB407_712 Depth=1
	v_cmp_lt_i32_e64 s0, v52, v83
	s_delay_alu instid0(VALU_DEP_1) | instskip(SKIP_1) | instid1(VALU_DEP_1)
	v_cndmask_b32_e64 v117, 0, v117, s0
	v_cmp_lt_i32_e64 s0, v68, v83
	v_cndmask_b32_e64 v118, 0, v118, s0
	v_cmp_lt_i32_e64 s0, v67, v83
	s_delay_alu instid0(VALU_DEP_1) | instskip(SKIP_1) | instid1(VALU_DEP_1)
	v_cndmask_b32_e64 v119, 0, v119, s0
	v_cmp_lt_i32_e64 s0, v66, v83
	v_cndmask_b32_e64 v9, 0, v9, s0
	;; [unrolled: 5-line block ×4, first 2 shown]
.LBB407_1103:                           ;   in Loop: Header=BB407_712 Depth=1
	s_or_b32 exec_lo, exec_lo, s12
	v_lshlrev_b32_e32 v117, 16, v117
	s_delay_alu instid0(VALU_DEP_1) | instskip(NEXT) | instid1(VALU_DEP_1)
	v_mul_f32_e32 v128, v69, v117
	v_and_b32_e32 v117, 0x7f800000, v128
	s_delay_alu instid0(VALU_DEP_1) | instskip(NEXT) | instid1(VALU_DEP_1)
	v_cmp_ne_u32_e64 s0, 0x7f800000, v117
                                        ; implicit-def: $vgpr117
	s_and_saveexec_b32 s12, s0
	s_delay_alu instid0(SALU_CYCLE_1)
	s_xor_b32 s0, exec_lo, s12
; %bb.1104:                             ;   in Loop: Header=BB407_712 Depth=1
	v_bfe_u32 v117, v128, 16, 1
	s_delay_alu instid0(VALU_DEP_1)
	v_add3_u32 v117, v128, v117, 0x7fff
                                        ; implicit-def: $vgpr128
; %bb.1105:                             ;   in Loop: Header=BB407_712 Depth=1
	s_and_not1_saveexec_b32 s12, s0
; %bb.1106:                             ;   in Loop: Header=BB407_712 Depth=1
	v_and_b32_e32 v117, 0xffff, v128
	v_or_b32_e32 v129, 0x10000, v128
	s_delay_alu instid0(VALU_DEP_2) | instskip(NEXT) | instid1(VALU_DEP_1)
	v_cmp_eq_u32_e64 s0, 0, v117
	v_cndmask_b32_e64 v117, v129, v128, s0
; %bb.1107:                             ;   in Loop: Header=BB407_712 Depth=1
	s_or_b32 exec_lo, exec_lo, s12
	v_lshlrev_b32_e32 v118, 16, v118
	s_delay_alu instid0(VALU_DEP_1) | instskip(NEXT) | instid1(VALU_DEP_1)
	v_mul_f32_e32 v128, v70, v118
	v_and_b32_e32 v118, 0x7f800000, v128
	s_delay_alu instid0(VALU_DEP_1) | instskip(NEXT) | instid1(VALU_DEP_1)
	v_cmp_ne_u32_e64 s0, 0x7f800000, v118
                                        ; implicit-def: $vgpr118
	s_and_saveexec_b32 s12, s0
	s_delay_alu instid0(SALU_CYCLE_1)
	s_xor_b32 s0, exec_lo, s12
; %bb.1108:                             ;   in Loop: Header=BB407_712 Depth=1
	v_bfe_u32 v118, v128, 16, 1
	s_delay_alu instid0(VALU_DEP_1)
	v_add3_u32 v118, v128, v118, 0x7fff
                                        ; implicit-def: $vgpr128
; %bb.1109:                             ;   in Loop: Header=BB407_712 Depth=1
	s_and_not1_saveexec_b32 s12, s0
; %bb.1110:                             ;   in Loop: Header=BB407_712 Depth=1
	v_and_b32_e32 v118, 0xffff, v128
	v_or_b32_e32 v129, 0x10000, v128
	s_delay_alu instid0(VALU_DEP_2) | instskip(NEXT) | instid1(VALU_DEP_1)
	v_cmp_eq_u32_e64 s0, 0, v118
	v_cndmask_b32_e64 v118, v129, v128, s0
; %bb.1111:                             ;   in Loop: Header=BB407_712 Depth=1
	s_or_b32 exec_lo, exec_lo, s12
	v_lshlrev_b32_e32 v119, 16, v119
	s_delay_alu instid0(VALU_DEP_1) | instskip(NEXT) | instid1(VALU_DEP_1)
	v_mul_f32_e32 v128, v71, v119
	v_and_b32_e32 v119, 0x7f800000, v128
	s_delay_alu instid0(VALU_DEP_1) | instskip(NEXT) | instid1(VALU_DEP_1)
	v_cmp_ne_u32_e64 s0, 0x7f800000, v119
                                        ; implicit-def: $vgpr119
	s_and_saveexec_b32 s12, s0
	s_delay_alu instid0(SALU_CYCLE_1)
	s_xor_b32 s0, exec_lo, s12
; %bb.1112:                             ;   in Loop: Header=BB407_712 Depth=1
	v_bfe_u32 v119, v128, 16, 1
	s_delay_alu instid0(VALU_DEP_1)
	v_add3_u32 v119, v128, v119, 0x7fff
                                        ; implicit-def: $vgpr128
; %bb.1113:                             ;   in Loop: Header=BB407_712 Depth=1
	s_and_not1_saveexec_b32 s12, s0
; %bb.1114:                             ;   in Loop: Header=BB407_712 Depth=1
	v_and_b32_e32 v119, 0xffff, v128
	v_or_b32_e32 v129, 0x10000, v128
	s_delay_alu instid0(VALU_DEP_2) | instskip(NEXT) | instid1(VALU_DEP_1)
	v_cmp_eq_u32_e64 s0, 0, v119
	v_cndmask_b32_e64 v119, v129, v128, s0
; %bb.1115:                             ;   in Loop: Header=BB407_712 Depth=1
	s_or_b32 exec_lo, exec_lo, s12
	v_lshlrev_b32_e32 v9, 16, v9
	s_delay_alu instid0(VALU_DEP_1) | instskip(NEXT) | instid1(VALU_DEP_1)
	v_mul_f32_e32 v9, v80, v9
	v_and_b32_e32 v128, 0x7f800000, v9
	s_delay_alu instid0(VALU_DEP_1) | instskip(NEXT) | instid1(VALU_DEP_1)
	v_cmp_ne_u32_e64 s0, 0x7f800000, v128
                                        ; implicit-def: $vgpr128
	s_and_saveexec_b32 s12, s0
	s_delay_alu instid0(SALU_CYCLE_1)
	s_xor_b32 s0, exec_lo, s12
; %bb.1116:                             ;   in Loop: Header=BB407_712 Depth=1
	v_bfe_u32 v128, v9, 16, 1
	s_delay_alu instid0(VALU_DEP_1)
	v_add3_u32 v128, v9, v128, 0x7fff
                                        ; implicit-def: $vgpr9
; %bb.1117:                             ;   in Loop: Header=BB407_712 Depth=1
	s_and_not1_saveexec_b32 s12, s0
; %bb.1118:                             ;   in Loop: Header=BB407_712 Depth=1
	v_and_b32_e32 v128, 0xffff, v9
	v_or_b32_e32 v129, 0x10000, v9
	s_delay_alu instid0(VALU_DEP_2) | instskip(NEXT) | instid1(VALU_DEP_1)
	v_cmp_eq_u32_e64 s0, 0, v128
	v_cndmask_b32_e64 v128, v129, v9, s0
; %bb.1119:                             ;   in Loop: Header=BB407_712 Depth=1
	s_or_b32 exec_lo, exec_lo, s12
	v_lshlrev_b32_e32 v7, 16, v7
                                        ; implicit-def: $vgpr129
	s_delay_alu instid0(VALU_DEP_1) | instskip(NEXT) | instid1(VALU_DEP_1)
	v_mul_f32_e32 v7, v81, v7
	v_and_b32_e32 v9, 0x7f800000, v7
	s_delay_alu instid0(VALU_DEP_1) | instskip(NEXT) | instid1(VALU_DEP_1)
	v_cmp_ne_u32_e64 s0, 0x7f800000, v9
	s_and_saveexec_b32 s12, s0
	s_delay_alu instid0(SALU_CYCLE_1)
	s_xor_b32 s0, exec_lo, s12
; %bb.1120:                             ;   in Loop: Header=BB407_712 Depth=1
	v_bfe_u32 v9, v7, 16, 1
	s_delay_alu instid0(VALU_DEP_1)
	v_add3_u32 v129, v7, v9, 0x7fff
                                        ; implicit-def: $vgpr7
; %bb.1121:                             ;   in Loop: Header=BB407_712 Depth=1
	s_and_not1_saveexec_b32 s12, s0
; %bb.1122:                             ;   in Loop: Header=BB407_712 Depth=1
	v_and_b32_e32 v9, 0xffff, v7
	v_or_b32_e32 v129, 0x10000, v7
	s_delay_alu instid0(VALU_DEP_2) | instskip(NEXT) | instid1(VALU_DEP_1)
	v_cmp_eq_u32_e64 s0, 0, v9
	v_cndmask_b32_e64 v129, v129, v7, s0
; %bb.1123:                             ;   in Loop: Header=BB407_712 Depth=1
	s_or_b32 exec_lo, exec_lo, s12
	v_lshlrev_b32_e32 v6, 16, v6
                                        ; implicit-def: $vgpr130
	s_delay_alu instid0(VALU_DEP_1) | instskip(NEXT) | instid1(VALU_DEP_1)
	v_mul_f32_e32 v6, v98, v6
	v_and_b32_e32 v7, 0x7f800000, v6
	s_delay_alu instid0(VALU_DEP_1) | instskip(NEXT) | instid1(VALU_DEP_1)
	v_cmp_ne_u32_e64 s0, 0x7f800000, v7
	s_and_saveexec_b32 s12, s0
	s_delay_alu instid0(SALU_CYCLE_1)
	s_xor_b32 s0, exec_lo, s12
; %bb.1124:                             ;   in Loop: Header=BB407_712 Depth=1
	v_bfe_u32 v7, v6, 16, 1
	s_delay_alu instid0(VALU_DEP_1)
	v_add3_u32 v130, v6, v7, 0x7fff
                                        ; implicit-def: $vgpr6
; %bb.1125:                             ;   in Loop: Header=BB407_712 Depth=1
	s_and_not1_saveexec_b32 s12, s0
; %bb.1126:                             ;   in Loop: Header=BB407_712 Depth=1
	v_and_b32_e32 v7, 0xffff, v6
	v_or_b32_e32 v9, 0x10000, v6
	s_delay_alu instid0(VALU_DEP_2) | instskip(NEXT) | instid1(VALU_DEP_1)
	v_cmp_eq_u32_e64 s0, 0, v7
	v_cndmask_b32_e64 v130, v9, v6, s0
; %bb.1127:                             ;   in Loop: Header=BB407_712 Depth=1
	s_or_b32 exec_lo, exec_lo, s12
	v_lshlrev_b32_e32 v3, 16, v3
                                        ; implicit-def: $vgpr131
	s_delay_alu instid0(VALU_DEP_1) | instskip(NEXT) | instid1(VALU_DEP_1)
	v_mul_f32_e32 v3, v99, v3
	v_and_b32_e32 v6, 0x7f800000, v3
	s_delay_alu instid0(VALU_DEP_1) | instskip(NEXT) | instid1(VALU_DEP_1)
	v_cmp_ne_u32_e64 s0, 0x7f800000, v6
	s_and_saveexec_b32 s12, s0
	s_delay_alu instid0(SALU_CYCLE_1)
	s_xor_b32 s0, exec_lo, s12
; %bb.1128:                             ;   in Loop: Header=BB407_712 Depth=1
	v_bfe_u32 v6, v3, 16, 1
	s_delay_alu instid0(VALU_DEP_1)
	v_add3_u32 v131, v3, v6, 0x7fff
                                        ; implicit-def: $vgpr3
; %bb.1129:                             ;   in Loop: Header=BB407_712 Depth=1
	s_and_not1_saveexec_b32 s12, s0
; %bb.1130:                             ;   in Loop: Header=BB407_712 Depth=1
	v_and_b32_e32 v6, 0xffff, v3
	v_or_b32_e32 v7, 0x10000, v3
	s_delay_alu instid0(VALU_DEP_2) | instskip(NEXT) | instid1(VALU_DEP_1)
	v_cmp_eq_u32_e64 s0, 0, v6
	v_cndmask_b32_e64 v131, v7, v3, s0
; %bb.1131:                             ;   in Loop: Header=BB407_712 Depth=1
	s_or_b32 exec_lo, exec_lo, s12
	v_lshlrev_b32_e32 v2, 16, v2
                                        ; implicit-def: $vgpr132
	s_delay_alu instid0(VALU_DEP_1) | instskip(NEXT) | instid1(VALU_DEP_1)
	v_mul_f32_e32 v2, v100, v2
	v_and_b32_e32 v3, 0x7f800000, v2
	s_delay_alu instid0(VALU_DEP_1) | instskip(NEXT) | instid1(VALU_DEP_1)
	v_cmp_ne_u32_e64 s0, 0x7f800000, v3
	s_and_saveexec_b32 s12, s0
	s_delay_alu instid0(SALU_CYCLE_1)
	s_xor_b32 s0, exec_lo, s12
; %bb.1132:                             ;   in Loop: Header=BB407_712 Depth=1
	v_bfe_u32 v3, v2, 16, 1
	s_delay_alu instid0(VALU_DEP_1)
	v_add3_u32 v132, v2, v3, 0x7fff
                                        ; implicit-def: $vgpr2
; %bb.1133:                             ;   in Loop: Header=BB407_712 Depth=1
	s_and_not1_saveexec_b32 s12, s0
; %bb.1134:                             ;   in Loop: Header=BB407_712 Depth=1
	v_and_b32_e32 v3, 0xffff, v2
	v_or_b32_e32 v6, 0x10000, v2
	s_delay_alu instid0(VALU_DEP_2) | instskip(NEXT) | instid1(VALU_DEP_1)
	v_cmp_eq_u32_e64 s0, 0, v3
	v_cndmask_b32_e64 v132, v6, v2, s0
; %bb.1135:                             ;   in Loop: Header=BB407_712 Depth=1
	s_or_b32 exec_lo, exec_lo, s12
	flat_load_b64 v[2:3], v[0:1] offset:768
	s_mov_b32 s12, exec_lo
	s_waitcnt vmcnt(0) lgkmcnt(0)
	v_dual_mov_b32 v6, 0 :: v_dual_and_b32 v7, 0xff, v2
	s_delay_alu instid0(VALU_DEP_1)
	v_cmpx_ne_u16_e32 0, v7
	s_cbranch_execz .LBB407_1143
; %bb.1136:                             ;   in Loop: Header=BB407_712 Depth=1
	v_bfrev_b32_e32 v6, 1
	s_mov_b32 s13, exec_lo
	v_cmpx_ne_u16_e32 0x80, v7
	s_cbranch_execz .LBB407_1142
; %bb.1137:                             ;   in Loop: Header=BB407_712 Depth=1
	v_and_b32_e32 v7, 0x7f, v2
	v_mov_b32_e32 v6, 0x7f800001
	s_mov_b32 s15, exec_lo
	s_delay_alu instid0(VALU_DEP_2)
	v_cmpx_ne_u32_e32 0x7f, v7
	s_cbranch_execz .LBB407_1141
; %bb.1138:                             ;   in Loop: Header=BB407_712 Depth=1
	v_lshrrev_b32_e32 v9, 3, v7
	v_cmp_gt_u32_e64 s0, 8, v7
	v_dual_mov_b32 v7, v3 :: v_dual_mov_b32 v6, v2
	s_delay_alu instid0(VALU_DEP_2)
	s_and_saveexec_b32 s17, s0
; %bb.1139:                             ;   in Loop: Header=BB407_712 Depth=1
	v_and_b32_e32 v6, 7, v2
	s_delay_alu instid0(VALU_DEP_1) | instskip(NEXT) | instid1(VALU_DEP_1)
	v_clz_i32_u32_e32 v6, v6
	v_min_u32_e32 v9, 32, v6
	s_delay_alu instid0(VALU_DEP_1) | instskip(SKIP_1) | instid1(VALU_DEP_2)
	v_subrev_nc_u32_e32 v6, 28, v9
	v_sub_nc_u32_e32 v9, 29, v9
	v_lshlrev_b64 v[6:7], v6, v[2:3]
; %bb.1140:                             ;   in Loop: Header=BB407_712 Depth=1
	s_or_b32 exec_lo, exec_lo, s17
	s_delay_alu instid0(VALU_DEP_1) | instskip(SKIP_2) | instid1(VALU_DEP_3)
	v_lshlrev_b32_e32 v6, 20, v6
	v_lshlrev_b32_e32 v7, 24, v2
	v_lshl_add_u32 v9, v9, 23, 0x3c000000
	v_and_b32_e32 v6, 0x700000, v6
	s_delay_alu instid0(VALU_DEP_3) | instskip(NEXT) | instid1(VALU_DEP_1)
	v_and_b32_e32 v7, 0x80000000, v7
	v_or3_b32 v6, v6, v7, v9
.LBB407_1141:                           ;   in Loop: Header=BB407_712 Depth=1
	s_or_b32 exec_lo, exec_lo, s15
.LBB407_1142:                           ;   in Loop: Header=BB407_712 Depth=1
	s_delay_alu instid0(SALU_CYCLE_1)
	s_or_b32 exec_lo, exec_lo, s13
.LBB407_1143:                           ;   in Loop: Header=BB407_712 Depth=1
	s_delay_alu instid0(SALU_CYCLE_1) | instskip(NEXT) | instid1(VALU_DEP_1)
	s_or_b32 exec_lo, exec_lo, s12
	v_mul_f32_e32 v6, v8, v6
                                        ; implicit-def: $vgpr133
	s_delay_alu instid0(VALU_DEP_1) | instskip(NEXT) | instid1(VALU_DEP_1)
	v_and_b32_e32 v7, 0x7f800000, v6
	v_cmp_ne_u32_e64 s0, 0x7f800000, v7
	s_delay_alu instid0(VALU_DEP_1) | instskip(NEXT) | instid1(SALU_CYCLE_1)
	s_and_saveexec_b32 s12, s0
	s_xor_b32 s0, exec_lo, s12
; %bb.1144:                             ;   in Loop: Header=BB407_712 Depth=1
	v_bfe_u32 v7, v6, 16, 1
	s_delay_alu instid0(VALU_DEP_1)
	v_add3_u32 v133, v6, v7, 0x7fff
                                        ; implicit-def: $vgpr6
; %bb.1145:                             ;   in Loop: Header=BB407_712 Depth=1
	s_and_not1_saveexec_b32 s12, s0
; %bb.1146:                             ;   in Loop: Header=BB407_712 Depth=1
	v_and_b32_e32 v7, 0xffff, v6
	v_or_b32_e32 v9, 0x10000, v6
	s_delay_alu instid0(VALU_DEP_2) | instskip(NEXT) | instid1(VALU_DEP_1)
	v_cmp_eq_u32_e64 s0, 0, v7
	v_cndmask_b32_e64 v133, v9, v6, s0
; %bb.1147:                             ;   in Loop: Header=BB407_712 Depth=1
	s_or_b32 exec_lo, exec_lo, s12
	v_lshrrev_b16 v7, 8, v2
	v_mov_b32_e32 v6, 0
	s_mov_b32 s12, exec_lo
	s_delay_alu instid0(VALU_DEP_2)
	v_cmpx_ne_u16_e32 0, v7
	s_cbranch_execz .LBB407_1155
; %bb.1148:                             ;   in Loop: Header=BB407_712 Depth=1
	v_bfrev_b32_e32 v6, 1
	s_mov_b32 s13, exec_lo
	v_cmpx_ne_u16_e32 0x80, v7
	s_cbranch_execz .LBB407_1154
; %bb.1149:                             ;   in Loop: Header=BB407_712 Depth=1
	v_and_b32_e32 v9, 0xffff, v7
	v_mov_b32_e32 v6, 0x7f800001
	s_mov_b32 s15, exec_lo
	s_delay_alu instid0(VALU_DEP_2) | instskip(NEXT) | instid1(VALU_DEP_1)
	v_and_b32_e32 v7, 0x7f, v9
	v_cmpx_ne_u32_e32 0x7f, v7
	s_cbranch_execz .LBB407_1153
; %bb.1150:                             ;   in Loop: Header=BB407_712 Depth=1
	v_and_b32_e32 v9, 7, v9
	v_lshrrev_b32_e32 v6, 3, v7
	s_mov_b32 s17, exec_lo
	v_cmpx_gt_u32_e32 8, v7
; %bb.1151:                             ;   in Loop: Header=BB407_712 Depth=1
	s_delay_alu instid0(VALU_DEP_3) | instskip(NEXT) | instid1(VALU_DEP_1)
	v_clz_i32_u32_e32 v6, v9
	v_min_u32_e32 v6, 32, v6
	s_delay_alu instid0(VALU_DEP_1) | instskip(SKIP_1) | instid1(VALU_DEP_2)
	v_subrev_nc_u32_e32 v7, 28, v6
	v_sub_nc_u32_e32 v6, 29, v6
	v_lshlrev_b64 v[134:135], v7, v[9:10]
	s_delay_alu instid0(VALU_DEP_1)
	v_and_b32_e32 v9, 7, v134
; %bb.1152:                             ;   in Loop: Header=BB407_712 Depth=1
	s_or_b32 exec_lo, exec_lo, s17
	v_lshlrev_b32_e32 v7, 16, v2
	s_delay_alu instid0(VALU_DEP_2) | instskip(SKIP_1) | instid1(VALU_DEP_3)
	v_lshlrev_b32_e32 v9, 20, v9
	v_lshl_add_u32 v6, v6, 23, 0x3c000000
	v_and_b32_e32 v7, 0x80000000, v7
	s_delay_alu instid0(VALU_DEP_1)
	v_or3_b32 v6, v9, v7, v6
.LBB407_1153:                           ;   in Loop: Header=BB407_712 Depth=1
	s_or_b32 exec_lo, exec_lo, s15
.LBB407_1154:                           ;   in Loop: Header=BB407_712 Depth=1
	s_delay_alu instid0(SALU_CYCLE_1)
	s_or_b32 exec_lo, exec_lo, s13
.LBB407_1155:                           ;   in Loop: Header=BB407_712 Depth=1
	s_delay_alu instid0(SALU_CYCLE_1) | instskip(NEXT) | instid1(VALU_DEP_1)
	s_or_b32 exec_lo, exec_lo, s12
	v_mul_f32_e32 v6, v8, v6
                                        ; implicit-def: $vgpr134
	s_delay_alu instid0(VALU_DEP_1) | instskip(NEXT) | instid1(VALU_DEP_1)
	v_and_b32_e32 v7, 0x7f800000, v6
	v_cmp_ne_u32_e64 s0, 0x7f800000, v7
	s_delay_alu instid0(VALU_DEP_1) | instskip(NEXT) | instid1(SALU_CYCLE_1)
	s_and_saveexec_b32 s12, s0
	s_xor_b32 s0, exec_lo, s12
; %bb.1156:                             ;   in Loop: Header=BB407_712 Depth=1
	v_bfe_u32 v7, v6, 16, 1
	s_delay_alu instid0(VALU_DEP_1)
	v_add3_u32 v134, v6, v7, 0x7fff
                                        ; implicit-def: $vgpr6
; %bb.1157:                             ;   in Loop: Header=BB407_712 Depth=1
	s_and_not1_saveexec_b32 s12, s0
; %bb.1158:                             ;   in Loop: Header=BB407_712 Depth=1
	v_and_b32_e32 v7, 0xffff, v6
	v_or_b32_e32 v9, 0x10000, v6
	s_delay_alu instid0(VALU_DEP_2) | instskip(NEXT) | instid1(VALU_DEP_1)
	v_cmp_eq_u32_e64 s0, 0, v7
	v_cndmask_b32_e64 v134, v9, v6, s0
; %bb.1159:                             ;   in Loop: Header=BB407_712 Depth=1
	s_or_b32 exec_lo, exec_lo, s12
	v_lshrrev_b32_e32 v6, 16, v2
	v_mov_b32_e32 v7, 0
	s_mov_b32 s12, exec_lo
	s_delay_alu instid0(VALU_DEP_2) | instskip(NEXT) | instid1(VALU_DEP_1)
	v_and_b32_e32 v9, 0xff, v6
	v_cmpx_ne_u16_e32 0, v9
	s_cbranch_execz .LBB407_1167
; %bb.1160:                             ;   in Loop: Header=BB407_712 Depth=1
	v_bfrev_b32_e32 v7, 1
	s_mov_b32 s13, exec_lo
	v_cmpx_ne_u16_e32 0x80, v9
	s_cbranch_execz .LBB407_1166
; %bb.1161:                             ;   in Loop: Header=BB407_712 Depth=1
	v_bfe_u32 v135, v2, 16, 7
	v_mov_b32_e32 v7, 0x7f800001
	s_mov_b32 s15, exec_lo
	s_delay_alu instid0(VALU_DEP_2)
	v_cmpx_ne_u32_e32 0x7f, v135
	s_cbranch_execz .LBB407_1165
; %bb.1162:                             ;   in Loop: Header=BB407_712 Depth=1
	v_and_b32_e32 v9, 7, v6
	v_lshrrev_b32_e32 v7, 3, v135
	s_mov_b32 s17, exec_lo
	v_cmpx_gt_u32_e32 8, v135
; %bb.1163:                             ;   in Loop: Header=BB407_712 Depth=1
	s_delay_alu instid0(VALU_DEP_3) | instskip(NEXT) | instid1(VALU_DEP_1)
	v_clz_i32_u32_e32 v7, v9
	v_min_u32_e32 v7, 32, v7
	s_delay_alu instid0(VALU_DEP_1) | instskip(SKIP_1) | instid1(VALU_DEP_2)
	v_subrev_nc_u32_e32 v135, 28, v7
	v_sub_nc_u32_e32 v7, 29, v7
	v_lshlrev_b64 v[144:145], v135, v[9:10]
	s_delay_alu instid0(VALU_DEP_1)
	v_and_b32_e32 v9, 7, v144
; %bb.1164:                             ;   in Loop: Header=BB407_712 Depth=1
	s_or_b32 exec_lo, exec_lo, s17
	v_lshlrev_b32_e32 v6, 24, v6
	s_delay_alu instid0(VALU_DEP_2) | instskip(SKIP_1) | instid1(VALU_DEP_3)
	v_lshlrev_b32_e32 v9, 20, v9
	v_lshl_add_u32 v7, v7, 23, 0x3c000000
	v_and_b32_e32 v6, 0x80000000, v6
	s_delay_alu instid0(VALU_DEP_1)
	v_or3_b32 v7, v9, v6, v7
.LBB407_1165:                           ;   in Loop: Header=BB407_712 Depth=1
	s_or_b32 exec_lo, exec_lo, s15
.LBB407_1166:                           ;   in Loop: Header=BB407_712 Depth=1
	s_delay_alu instid0(SALU_CYCLE_1)
	s_or_b32 exec_lo, exec_lo, s13
.LBB407_1167:                           ;   in Loop: Header=BB407_712 Depth=1
	s_delay_alu instid0(SALU_CYCLE_1) | instskip(NEXT) | instid1(VALU_DEP_1)
	s_or_b32 exec_lo, exec_lo, s12
	v_mul_f32_e32 v6, v8, v7
                                        ; implicit-def: $vgpr135
	s_delay_alu instid0(VALU_DEP_1) | instskip(NEXT) | instid1(VALU_DEP_1)
	v_and_b32_e32 v7, 0x7f800000, v6
	v_cmp_ne_u32_e64 s0, 0x7f800000, v7
	s_delay_alu instid0(VALU_DEP_1) | instskip(NEXT) | instid1(SALU_CYCLE_1)
	s_and_saveexec_b32 s12, s0
	s_xor_b32 s0, exec_lo, s12
; %bb.1168:                             ;   in Loop: Header=BB407_712 Depth=1
	v_bfe_u32 v7, v6, 16, 1
	s_delay_alu instid0(VALU_DEP_1)
	v_add3_u32 v135, v6, v7, 0x7fff
                                        ; implicit-def: $vgpr6
; %bb.1169:                             ;   in Loop: Header=BB407_712 Depth=1
	s_and_not1_saveexec_b32 s12, s0
; %bb.1170:                             ;   in Loop: Header=BB407_712 Depth=1
	v_and_b32_e32 v7, 0xffff, v6
	v_or_b32_e32 v9, 0x10000, v6
	s_delay_alu instid0(VALU_DEP_2) | instskip(NEXT) | instid1(VALU_DEP_1)
	v_cmp_eq_u32_e64 s0, 0, v7
	v_cndmask_b32_e64 v135, v9, v6, s0
; %bb.1171:                             ;   in Loop: Header=BB407_712 Depth=1
	s_or_b32 exec_lo, exec_lo, s12
	v_mov_b32_e32 v7, 0
	s_mov_b32 s12, exec_lo
	v_cmpx_lt_u32_e32 0xffffff, v2
	s_cbranch_execz .LBB407_1179
; %bb.1172:                             ;   in Loop: Header=BB407_712 Depth=1
	v_lshrrev_b32_e32 v6, 24, v2
	v_bfrev_b32_e32 v7, 1
	s_mov_b32 s13, exec_lo
	s_delay_alu instid0(VALU_DEP_2)
	v_cmpx_ne_u32_e32 0x80, v6
	s_cbranch_execz .LBB407_1178
; %bb.1173:                             ;   in Loop: Header=BB407_712 Depth=1
	v_bfe_u32 v144, v2, 24, 7
	v_mov_b32_e32 v7, 0x7f800001
	s_mov_b32 s15, exec_lo
	s_delay_alu instid0(VALU_DEP_2)
	v_cmpx_ne_u32_e32 0x7f, v144
	s_cbranch_execz .LBB407_1177
; %bb.1174:                             ;   in Loop: Header=BB407_712 Depth=1
	v_and_b32_e32 v9, 7, v6
	v_lshrrev_b32_e32 v7, 3, v144
	s_mov_b32 s17, exec_lo
	v_cmpx_gt_u32_e32 8, v144
; %bb.1175:                             ;   in Loop: Header=BB407_712 Depth=1
	s_delay_alu instid0(VALU_DEP_3) | instskip(NEXT) | instid1(VALU_DEP_1)
	v_clz_i32_u32_e32 v7, v9
	v_min_u32_e32 v7, 32, v7
	s_delay_alu instid0(VALU_DEP_1) | instskip(SKIP_1) | instid1(VALU_DEP_2)
	v_subrev_nc_u32_e32 v144, 28, v7
	v_sub_nc_u32_e32 v7, 29, v7
	v_lshlrev_b64 v[144:145], v144, v[9:10]
	s_delay_alu instid0(VALU_DEP_1)
	v_and_b32_e32 v9, 7, v144
; %bb.1176:                             ;   in Loop: Header=BB407_712 Depth=1
	s_or_b32 exec_lo, exec_lo, s17
	v_lshlrev_b32_e32 v6, 24, v6
	s_delay_alu instid0(VALU_DEP_2) | instskip(SKIP_1) | instid1(VALU_DEP_3)
	v_lshlrev_b32_e32 v9, 20, v9
	v_lshl_add_u32 v7, v7, 23, 0x3c000000
	v_and_b32_e32 v6, 0x80000000, v6
	s_delay_alu instid0(VALU_DEP_1)
	v_or3_b32 v7, v9, v6, v7
.LBB407_1177:                           ;   in Loop: Header=BB407_712 Depth=1
	s_or_b32 exec_lo, exec_lo, s15
.LBB407_1178:                           ;   in Loop: Header=BB407_712 Depth=1
	s_delay_alu instid0(SALU_CYCLE_1)
	s_or_b32 exec_lo, exec_lo, s13
.LBB407_1179:                           ;   in Loop: Header=BB407_712 Depth=1
	s_delay_alu instid0(SALU_CYCLE_1) | instskip(NEXT) | instid1(VALU_DEP_1)
	s_or_b32 exec_lo, exec_lo, s12
	v_mul_f32_e32 v6, v8, v7
                                        ; implicit-def: $vgpr144
	s_delay_alu instid0(VALU_DEP_1) | instskip(NEXT) | instid1(VALU_DEP_1)
	v_and_b32_e32 v7, 0x7f800000, v6
	v_cmp_ne_u32_e64 s0, 0x7f800000, v7
	s_delay_alu instid0(VALU_DEP_1) | instskip(NEXT) | instid1(SALU_CYCLE_1)
	s_and_saveexec_b32 s12, s0
	s_xor_b32 s0, exec_lo, s12
; %bb.1180:                             ;   in Loop: Header=BB407_712 Depth=1
	v_bfe_u32 v7, v6, 16, 1
	s_delay_alu instid0(VALU_DEP_1)
	v_add3_u32 v144, v6, v7, 0x7fff
                                        ; implicit-def: $vgpr6
; %bb.1181:                             ;   in Loop: Header=BB407_712 Depth=1
	s_and_not1_saveexec_b32 s12, s0
; %bb.1182:                             ;   in Loop: Header=BB407_712 Depth=1
	v_and_b32_e32 v7, 0xffff, v6
	v_or_b32_e32 v9, 0x10000, v6
	s_delay_alu instid0(VALU_DEP_2) | instskip(NEXT) | instid1(VALU_DEP_1)
	v_cmp_eq_u32_e64 s0, 0, v7
	v_cndmask_b32_e64 v144, v9, v6, s0
; %bb.1183:                             ;   in Loop: Header=BB407_712 Depth=1
	s_or_b32 exec_lo, exec_lo, s12
	v_dual_mov_b32 v6, 0 :: v_dual_and_b32 v7, 0xff, v3
	v_mov_b32_e32 v9, v3
	s_mov_b32 s12, exec_lo
	s_delay_alu instid0(VALU_DEP_2)
	v_cmpx_ne_u16_e32 0, v7
	s_cbranch_execz .LBB407_1191
; %bb.1184:                             ;   in Loop: Header=BB407_712 Depth=1
	v_bfrev_b32_e32 v6, 1
	s_mov_b32 s13, exec_lo
	v_cmpx_ne_u16_e32 0x80, v7
	s_cbranch_execz .LBB407_1190
; %bb.1185:                             ;   in Loop: Header=BB407_712 Depth=1
	v_and_b32_e32 v7, 0x7f, v3
	v_mov_b32_e32 v6, 0x7f800001
	s_mov_b32 s15, exec_lo
	s_delay_alu instid0(VALU_DEP_2)
	v_cmpx_ne_u32_e32 0x7f, v7
	s_cbranch_execz .LBB407_1189
; %bb.1186:                             ;   in Loop: Header=BB407_712 Depth=1
	v_lshrrev_b32_e32 v145, 3, v7
	v_cmp_gt_u32_e64 s0, 8, v7
	v_dual_mov_b32 v6, v9 :: v_dual_mov_b32 v7, v10
	s_delay_alu instid0(VALU_DEP_2)
	s_and_saveexec_b32 s17, s0
; %bb.1187:                             ;   in Loop: Header=BB407_712 Depth=1
	v_and_b32_e32 v6, 7, v3
	s_delay_alu instid0(VALU_DEP_1) | instskip(NEXT) | instid1(VALU_DEP_1)
	v_clz_i32_u32_e32 v6, v6
	v_min_u32_e32 v145, 32, v6
	s_delay_alu instid0(VALU_DEP_1) | instskip(SKIP_1) | instid1(VALU_DEP_2)
	v_subrev_nc_u32_e32 v6, 28, v145
	v_sub_nc_u32_e32 v145, 29, v145
	v_lshlrev_b64 v[6:7], v6, v[9:10]
; %bb.1188:                             ;   in Loop: Header=BB407_712 Depth=1
	s_or_b32 exec_lo, exec_lo, s17
	s_delay_alu instid0(VALU_DEP_1) | instskip(SKIP_2) | instid1(VALU_DEP_3)
	v_lshlrev_b32_e32 v6, 20, v6
	v_lshlrev_b32_e32 v7, 24, v9
	v_lshl_add_u32 v145, v145, 23, 0x3c000000
	v_and_b32_e32 v6, 0x700000, v6
	s_delay_alu instid0(VALU_DEP_3) | instskip(NEXT) | instid1(VALU_DEP_1)
	v_and_b32_e32 v7, 0x80000000, v7
	v_or3_b32 v6, v6, v7, v145
.LBB407_1189:                           ;   in Loop: Header=BB407_712 Depth=1
	s_or_b32 exec_lo, exec_lo, s15
.LBB407_1190:                           ;   in Loop: Header=BB407_712 Depth=1
	s_delay_alu instid0(SALU_CYCLE_1)
	s_or_b32 exec_lo, exec_lo, s13
.LBB407_1191:                           ;   in Loop: Header=BB407_712 Depth=1
	s_delay_alu instid0(SALU_CYCLE_1) | instskip(NEXT) | instid1(VALU_DEP_1)
	s_or_b32 exec_lo, exec_lo, s12
	v_mul_f32_e32 v6, v8, v6
                                        ; implicit-def: $vgpr145
	s_delay_alu instid0(VALU_DEP_1) | instskip(NEXT) | instid1(VALU_DEP_1)
	v_and_b32_e32 v7, 0x7f800000, v6
	v_cmp_ne_u32_e64 s0, 0x7f800000, v7
	s_delay_alu instid0(VALU_DEP_1) | instskip(NEXT) | instid1(SALU_CYCLE_1)
	s_and_saveexec_b32 s12, s0
	s_xor_b32 s0, exec_lo, s12
; %bb.1192:                             ;   in Loop: Header=BB407_712 Depth=1
	v_bfe_u32 v7, v6, 16, 1
	s_delay_alu instid0(VALU_DEP_1)
	v_add3_u32 v145, v6, v7, 0x7fff
                                        ; implicit-def: $vgpr6
; %bb.1193:                             ;   in Loop: Header=BB407_712 Depth=1
	s_and_not1_saveexec_b32 s12, s0
; %bb.1194:                             ;   in Loop: Header=BB407_712 Depth=1
	v_and_b32_e32 v7, 0xffff, v6
	v_or_b32_e32 v145, 0x10000, v6
	s_delay_alu instid0(VALU_DEP_2) | instskip(NEXT) | instid1(VALU_DEP_1)
	v_cmp_eq_u32_e64 s0, 0, v7
	v_cndmask_b32_e64 v145, v145, v6, s0
; %bb.1195:                             ;   in Loop: Header=BB407_712 Depth=1
	s_or_b32 exec_lo, exec_lo, s12
	v_lshrrev_b16 v7, 8, v9
	v_mov_b32_e32 v6, 0
	s_mov_b32 s12, exec_lo
	s_delay_alu instid0(VALU_DEP_2)
	v_cmpx_ne_u16_e32 0, v7
	s_cbranch_execz .LBB407_1203
; %bb.1196:                             ;   in Loop: Header=BB407_712 Depth=1
	v_bfrev_b32_e32 v6, 1
	s_mov_b32 s13, exec_lo
	v_cmpx_ne_u16_e32 0x80, v7
	s_cbranch_execz .LBB407_1202
; %bb.1197:                             ;   in Loop: Header=BB407_712 Depth=1
	v_and_b32_e32 v7, 0xffff, v7
	v_mov_b32_e32 v6, 0x7f800001
	s_mov_b32 s15, exec_lo
	s_delay_alu instid0(VALU_DEP_2) | instskip(NEXT) | instid1(VALU_DEP_1)
	v_and_b32_e32 v147, 0x7f, v7
	v_cmpx_ne_u32_e32 0x7f, v147
	s_cbranch_execz .LBB407_1201
; %bb.1198:                             ;   in Loop: Header=BB407_712 Depth=1
	v_dual_mov_b32 v7, v10 :: v_dual_and_b32 v6, 7, v7
	v_lshrrev_b32_e32 v146, 3, v147
	s_mov_b32 s17, exec_lo
	v_cmpx_gt_u32_e32 8, v147
; %bb.1199:                             ;   in Loop: Header=BB407_712 Depth=1
	s_delay_alu instid0(VALU_DEP_3) | instskip(NEXT) | instid1(VALU_DEP_1)
	v_clz_i32_u32_e32 v146, v6
	v_min_u32_e32 v146, 32, v146
	s_delay_alu instid0(VALU_DEP_1) | instskip(SKIP_1) | instid1(VALU_DEP_2)
	v_subrev_nc_u32_e32 v147, 28, v146
	v_sub_nc_u32_e32 v146, 29, v146
	v_lshlrev_b64 v[6:7], v147, v[6:7]
	s_delay_alu instid0(VALU_DEP_1)
	v_and_b32_e32 v6, 7, v6
; %bb.1200:                             ;   in Loop: Header=BB407_712 Depth=1
	s_or_b32 exec_lo, exec_lo, s17
	v_lshlrev_b32_e32 v7, 16, v9
	s_delay_alu instid0(VALU_DEP_2) | instskip(SKIP_1) | instid1(VALU_DEP_3)
	v_lshlrev_b32_e32 v6, 20, v6
	v_lshl_add_u32 v9, v146, 23, 0x3c000000
	v_and_b32_e32 v7, 0x80000000, v7
	s_delay_alu instid0(VALU_DEP_1)
	v_or3_b32 v6, v6, v7, v9
.LBB407_1201:                           ;   in Loop: Header=BB407_712 Depth=1
	s_or_b32 exec_lo, exec_lo, s15
.LBB407_1202:                           ;   in Loop: Header=BB407_712 Depth=1
	s_delay_alu instid0(SALU_CYCLE_1)
	s_or_b32 exec_lo, exec_lo, s13
.LBB407_1203:                           ;   in Loop: Header=BB407_712 Depth=1
	s_delay_alu instid0(SALU_CYCLE_1) | instskip(NEXT) | instid1(VALU_DEP_1)
	s_or_b32 exec_lo, exec_lo, s12
	v_mul_f32_e32 v7, v8, v6
	s_delay_alu instid0(VALU_DEP_1) | instskip(NEXT) | instid1(VALU_DEP_1)
	v_and_b32_e32 v6, 0x7f800000, v7
	v_cmp_ne_u32_e64 s0, 0x7f800000, v6
                                        ; implicit-def: $vgpr6
	s_delay_alu instid0(VALU_DEP_1) | instskip(NEXT) | instid1(SALU_CYCLE_1)
	s_and_saveexec_b32 s12, s0
	s_xor_b32 s0, exec_lo, s12
; %bb.1204:                             ;   in Loop: Header=BB407_712 Depth=1
	v_bfe_u32 v6, v7, 16, 1
	s_delay_alu instid0(VALU_DEP_1)
	v_add3_u32 v6, v7, v6, 0x7fff
                                        ; implicit-def: $vgpr7
; %bb.1205:                             ;   in Loop: Header=BB407_712 Depth=1
	s_and_not1_saveexec_b32 s12, s0
; %bb.1206:                             ;   in Loop: Header=BB407_712 Depth=1
	v_and_b32_e32 v6, 0xffff, v7
	v_or_b32_e32 v9, 0x10000, v7
	s_delay_alu instid0(VALU_DEP_2) | instskip(NEXT) | instid1(VALU_DEP_1)
	v_cmp_eq_u32_e64 s0, 0, v6
	v_cndmask_b32_e64 v6, v9, v7, s0
; %bb.1207:                             ;   in Loop: Header=BB407_712 Depth=1
	s_or_b32 exec_lo, exec_lo, s12
	v_lshrrev_b32_e32 v7, 16, v3
	s_mov_b32 s12, exec_lo
	s_delay_alu instid0(VALU_DEP_1) | instskip(NEXT) | instid1(VALU_DEP_1)
	v_dual_mov_b32 v9, 0 :: v_dual_and_b32 v146, 0xff, v7
	v_cmpx_ne_u16_e64 0, v146
	s_cbranch_execz .LBB407_1215
; %bb.1208:                             ;   in Loop: Header=BB407_712 Depth=1
	v_bfrev_b32_e32 v9, 1
	s_mov_b32 s13, exec_lo
	v_cmpx_ne_u16_e64 0x80, v146
	s_cbranch_execz .LBB407_1214
; %bb.1209:                             ;   in Loop: Header=BB407_712 Depth=1
	v_bfe_u32 v147, v3, 16, 7
	v_mov_b32_e32 v9, 0x7f800001
	s_mov_b32 s15, exec_lo
	s_delay_alu instid0(VALU_DEP_2)
	v_cmpx_ne_u32_e32 0x7f, v147
	s_cbranch_execz .LBB407_1213
; %bb.1210:                             ;   in Loop: Header=BB407_712 Depth=1
	v_and_b32_e32 v9, 7, v7
	v_lshrrev_b32_e32 v146, 3, v147
	s_mov_b32 s17, exec_lo
	v_cmpx_gt_u32_e32 8, v147
; %bb.1211:                             ;   in Loop: Header=BB407_712 Depth=1
	s_delay_alu instid0(VALU_DEP_3) | instskip(NEXT) | instid1(VALU_DEP_1)
	v_clz_i32_u32_e32 v146, v9
	v_min_u32_e32 v146, 32, v146
	s_delay_alu instid0(VALU_DEP_1) | instskip(SKIP_1) | instid1(VALU_DEP_2)
	v_subrev_nc_u32_e32 v147, 28, v146
	v_sub_nc_u32_e32 v146, 29, v146
	v_lshlrev_b64 v[147:148], v147, v[9:10]
	s_delay_alu instid0(VALU_DEP_1)
	v_and_b32_e32 v9, 7, v147
; %bb.1212:                             ;   in Loop: Header=BB407_712 Depth=1
	s_or_b32 exec_lo, exec_lo, s17
	v_lshlrev_b32_e32 v7, 24, v7
	s_delay_alu instid0(VALU_DEP_2) | instskip(SKIP_1) | instid1(VALU_DEP_3)
	v_lshlrev_b32_e32 v9, 20, v9
	v_lshl_add_u32 v146, v146, 23, 0x3c000000
	v_and_b32_e32 v7, 0x80000000, v7
	s_delay_alu instid0(VALU_DEP_1)
	v_or3_b32 v9, v9, v7, v146
.LBB407_1213:                           ;   in Loop: Header=BB407_712 Depth=1
	s_or_b32 exec_lo, exec_lo, s15
.LBB407_1214:                           ;   in Loop: Header=BB407_712 Depth=1
	s_delay_alu instid0(SALU_CYCLE_1)
	s_or_b32 exec_lo, exec_lo, s13
.LBB407_1215:                           ;   in Loop: Header=BB407_712 Depth=1
	s_delay_alu instid0(SALU_CYCLE_1) | instskip(NEXT) | instid1(VALU_DEP_1)
	s_or_b32 exec_lo, exec_lo, s12
	v_mul_f32_e32 v7, v8, v9
                                        ; implicit-def: $vgpr146
	s_delay_alu instid0(VALU_DEP_1) | instskip(NEXT) | instid1(VALU_DEP_1)
	v_and_b32_e32 v9, 0x7f800000, v7
	v_cmp_ne_u32_e64 s0, 0x7f800000, v9
	s_delay_alu instid0(VALU_DEP_1) | instskip(NEXT) | instid1(SALU_CYCLE_1)
	s_and_saveexec_b32 s12, s0
	s_xor_b32 s0, exec_lo, s12
; %bb.1216:                             ;   in Loop: Header=BB407_712 Depth=1
	v_bfe_u32 v9, v7, 16, 1
	s_delay_alu instid0(VALU_DEP_1)
	v_add3_u32 v146, v7, v9, 0x7fff
                                        ; implicit-def: $vgpr7
; %bb.1217:                             ;   in Loop: Header=BB407_712 Depth=1
	s_and_not1_saveexec_b32 s12, s0
; %bb.1218:                             ;   in Loop: Header=BB407_712 Depth=1
	v_and_b32_e32 v9, 0xffff, v7
	v_or_b32_e32 v146, 0x10000, v7
	s_delay_alu instid0(VALU_DEP_2) | instskip(NEXT) | instid1(VALU_DEP_1)
	v_cmp_eq_u32_e64 s0, 0, v9
	v_cndmask_b32_e64 v146, v146, v7, s0
; %bb.1219:                             ;   in Loop: Header=BB407_712 Depth=1
	s_or_b32 exec_lo, exec_lo, s12
	v_mov_b32_e32 v7, 0
	s_mov_b32 s12, exec_lo
	v_cmpx_lt_u64_e64 s[8:9], v[2:3]
	s_cbranch_execz .LBB407_1227
; %bb.1220:                             ;   in Loop: Header=BB407_712 Depth=1
	v_lshrrev_b32_e32 v2, 24, v3
	v_bfrev_b32_e32 v7, 1
	s_mov_b32 s13, exec_lo
	s_delay_alu instid0(VALU_DEP_2)
	v_cmpx_ne_u32_e32 0x80, v2
	s_cbranch_execz .LBB407_1226
; %bb.1221:                             ;   in Loop: Header=BB407_712 Depth=1
	v_bfe_u32 v147, v3, 24, 7
	v_mov_b32_e32 v7, 0x7f800001
	s_mov_b32 s15, exec_lo
	s_delay_alu instid0(VALU_DEP_2)
	v_cmpx_ne_u32_e32 0x7f, v147
	s_cbranch_execz .LBB407_1225
; %bb.1222:                             ;   in Loop: Header=BB407_712 Depth=1
	v_and_b32_e32 v9, 7, v2
	v_lshrrev_b32_e32 v3, 3, v147
	s_mov_b32 s17, exec_lo
	v_cmpx_gt_u32_e32 8, v147
; %bb.1223:                             ;   in Loop: Header=BB407_712 Depth=1
	s_delay_alu instid0(VALU_DEP_3) | instskip(NEXT) | instid1(VALU_DEP_1)
	v_clz_i32_u32_e32 v3, v9
	v_min_u32_e32 v3, 32, v3
	s_delay_alu instid0(VALU_DEP_1) | instskip(SKIP_1) | instid1(VALU_DEP_2)
	v_subrev_nc_u32_e32 v7, 28, v3
	v_sub_nc_u32_e32 v3, 29, v3
	v_lshlrev_b64 v[147:148], v7, v[9:10]
	s_delay_alu instid0(VALU_DEP_1)
	v_and_b32_e32 v9, 7, v147
; %bb.1224:                             ;   in Loop: Header=BB407_712 Depth=1
	s_or_b32 exec_lo, exec_lo, s17
	v_lshlrev_b32_e32 v2, 24, v2
	s_delay_alu instid0(VALU_DEP_2) | instskip(SKIP_1) | instid1(VALU_DEP_3)
	v_lshlrev_b32_e32 v7, 20, v9
	v_lshl_add_u32 v3, v3, 23, 0x3c000000
	v_and_b32_e32 v2, 0x80000000, v2
	s_delay_alu instid0(VALU_DEP_1)
	v_or3_b32 v7, v7, v2, v3
.LBB407_1225:                           ;   in Loop: Header=BB407_712 Depth=1
	s_or_b32 exec_lo, exec_lo, s15
.LBB407_1226:                           ;   in Loop: Header=BB407_712 Depth=1
	s_delay_alu instid0(SALU_CYCLE_1)
	s_or_b32 exec_lo, exec_lo, s13
.LBB407_1227:                           ;   in Loop: Header=BB407_712 Depth=1
	s_delay_alu instid0(SALU_CYCLE_1) | instskip(NEXT) | instid1(VALU_DEP_1)
	s_or_b32 exec_lo, exec_lo, s12
	v_mul_f32_e32 v3, v8, v7
	s_delay_alu instid0(VALU_DEP_1) | instskip(NEXT) | instid1(VALU_DEP_1)
	v_and_b32_e32 v2, 0x7f800000, v3
	v_cmp_ne_u32_e64 s0, 0x7f800000, v2
                                        ; implicit-def: $vgpr2
	s_delay_alu instid0(VALU_DEP_1) | instskip(NEXT) | instid1(SALU_CYCLE_1)
	s_and_saveexec_b32 s12, s0
	s_xor_b32 s0, exec_lo, s12
; %bb.1228:                             ;   in Loop: Header=BB407_712 Depth=1
	v_bfe_u32 v2, v3, 16, 1
	s_delay_alu instid0(VALU_DEP_1)
	v_add3_u32 v2, v3, v2, 0x7fff
                                        ; implicit-def: $vgpr3
; %bb.1229:                             ;   in Loop: Header=BB407_712 Depth=1
	s_and_not1_saveexec_b32 s12, s0
; %bb.1230:                             ;   in Loop: Header=BB407_712 Depth=1
	v_and_b32_e32 v2, 0xffff, v3
	v_or_b32_e32 v7, 0x10000, v3
	s_delay_alu instid0(VALU_DEP_2) | instskip(NEXT) | instid1(VALU_DEP_1)
	v_cmp_eq_u32_e64 s0, 0, v2
	v_cndmask_b32_e64 v2, v7, v3, s0
; %bb.1231:                             ;   in Loop: Header=BB407_712 Depth=1
	s_or_b32 exec_lo, exec_lo, s12
	v_lshrrev_b32_e32 v6, 16, v6
	v_lshrrev_b32_e32 v7, 16, v145
	;; [unrolled: 1-line block ×8, first 2 shown]
	s_and_saveexec_b32 s12, vcc_lo
	s_cbranch_execz .LBB407_1233
; %bb.1232:                             ;   in Loop: Header=BB407_712 Depth=1
	v_cmp_lt_i32_e64 s0, v52, v83
	s_delay_alu instid0(VALU_DEP_1) | instskip(SKIP_1) | instid1(VALU_DEP_1)
	v_cndmask_b32_e64 v133, 0, v133, s0
	v_cmp_lt_i32_e64 s0, v68, v83
	v_cndmask_b32_e64 v134, 0, v134, s0
	v_cmp_lt_i32_e64 s0, v67, v83
	s_delay_alu instid0(VALU_DEP_1) | instskip(SKIP_1) | instid1(VALU_DEP_1)
	v_cndmask_b32_e64 v135, 0, v135, s0
	v_cmp_lt_i32_e64 s0, v66, v83
	v_cndmask_b32_e64 v9, 0, v9, s0
	;; [unrolled: 5-line block ×4, first 2 shown]
.LBB407_1233:                           ;   in Loop: Header=BB407_712 Depth=1
	s_or_b32 exec_lo, exec_lo, s12
	v_lshlrev_b32_e32 v133, 16, v133
	s_delay_alu instid0(VALU_DEP_1) | instskip(NEXT) | instid1(VALU_DEP_1)
	v_mul_f32_e32 v144, v69, v133
	v_and_b32_e32 v133, 0x7f800000, v144
	s_delay_alu instid0(VALU_DEP_1) | instskip(NEXT) | instid1(VALU_DEP_1)
	v_cmp_ne_u32_e64 s0, 0x7f800000, v133
                                        ; implicit-def: $vgpr133
	s_and_saveexec_b32 s12, s0
	s_delay_alu instid0(SALU_CYCLE_1)
	s_xor_b32 s0, exec_lo, s12
; %bb.1234:                             ;   in Loop: Header=BB407_712 Depth=1
	v_bfe_u32 v133, v144, 16, 1
	s_delay_alu instid0(VALU_DEP_1)
	v_add3_u32 v133, v144, v133, 0x7fff
                                        ; implicit-def: $vgpr144
; %bb.1235:                             ;   in Loop: Header=BB407_712 Depth=1
	s_and_not1_saveexec_b32 s12, s0
; %bb.1236:                             ;   in Loop: Header=BB407_712 Depth=1
	v_and_b32_e32 v133, 0xffff, v144
	v_or_b32_e32 v145, 0x10000, v144
	s_delay_alu instid0(VALU_DEP_2) | instskip(NEXT) | instid1(VALU_DEP_1)
	v_cmp_eq_u32_e64 s0, 0, v133
	v_cndmask_b32_e64 v133, v145, v144, s0
; %bb.1237:                             ;   in Loop: Header=BB407_712 Depth=1
	s_or_b32 exec_lo, exec_lo, s12
	v_lshlrev_b32_e32 v134, 16, v134
	s_delay_alu instid0(VALU_DEP_1) | instskip(NEXT) | instid1(VALU_DEP_1)
	v_mul_f32_e32 v144, v70, v134
	v_and_b32_e32 v134, 0x7f800000, v144
	s_delay_alu instid0(VALU_DEP_1) | instskip(NEXT) | instid1(VALU_DEP_1)
	v_cmp_ne_u32_e64 s0, 0x7f800000, v134
                                        ; implicit-def: $vgpr134
	s_and_saveexec_b32 s12, s0
	s_delay_alu instid0(SALU_CYCLE_1)
	s_xor_b32 s0, exec_lo, s12
; %bb.1238:                             ;   in Loop: Header=BB407_712 Depth=1
	v_bfe_u32 v134, v144, 16, 1
	s_delay_alu instid0(VALU_DEP_1)
	v_add3_u32 v134, v144, v134, 0x7fff
                                        ; implicit-def: $vgpr144
; %bb.1239:                             ;   in Loop: Header=BB407_712 Depth=1
	s_and_not1_saveexec_b32 s12, s0
; %bb.1240:                             ;   in Loop: Header=BB407_712 Depth=1
	v_and_b32_e32 v134, 0xffff, v144
	v_or_b32_e32 v145, 0x10000, v144
	s_delay_alu instid0(VALU_DEP_2) | instskip(NEXT) | instid1(VALU_DEP_1)
	v_cmp_eq_u32_e64 s0, 0, v134
	v_cndmask_b32_e64 v134, v145, v144, s0
; %bb.1241:                             ;   in Loop: Header=BB407_712 Depth=1
	s_or_b32 exec_lo, exec_lo, s12
	v_lshlrev_b32_e32 v135, 16, v135
	s_delay_alu instid0(VALU_DEP_1) | instskip(NEXT) | instid1(VALU_DEP_1)
	v_mul_f32_e32 v144, v71, v135
	v_and_b32_e32 v135, 0x7f800000, v144
	s_delay_alu instid0(VALU_DEP_1) | instskip(NEXT) | instid1(VALU_DEP_1)
	v_cmp_ne_u32_e64 s0, 0x7f800000, v135
                                        ; implicit-def: $vgpr135
	s_and_saveexec_b32 s12, s0
	s_delay_alu instid0(SALU_CYCLE_1)
	s_xor_b32 s0, exec_lo, s12
; %bb.1242:                             ;   in Loop: Header=BB407_712 Depth=1
	v_bfe_u32 v135, v144, 16, 1
	s_delay_alu instid0(VALU_DEP_1)
	v_add3_u32 v135, v144, v135, 0x7fff
                                        ; implicit-def: $vgpr144
; %bb.1243:                             ;   in Loop: Header=BB407_712 Depth=1
	s_and_not1_saveexec_b32 s12, s0
; %bb.1244:                             ;   in Loop: Header=BB407_712 Depth=1
	v_and_b32_e32 v135, 0xffff, v144
	v_or_b32_e32 v145, 0x10000, v144
	s_delay_alu instid0(VALU_DEP_2) | instskip(NEXT) | instid1(VALU_DEP_1)
	v_cmp_eq_u32_e64 s0, 0, v135
	v_cndmask_b32_e64 v135, v145, v144, s0
; %bb.1245:                             ;   in Loop: Header=BB407_712 Depth=1
	s_or_b32 exec_lo, exec_lo, s12
	v_lshlrev_b32_e32 v9, 16, v9
	s_delay_alu instid0(VALU_DEP_1) | instskip(NEXT) | instid1(VALU_DEP_1)
	v_mul_f32_e32 v9, v80, v9
	v_and_b32_e32 v144, 0x7f800000, v9
	s_delay_alu instid0(VALU_DEP_1) | instskip(NEXT) | instid1(VALU_DEP_1)
	v_cmp_ne_u32_e64 s0, 0x7f800000, v144
                                        ; implicit-def: $vgpr144
	s_and_saveexec_b32 s12, s0
	s_delay_alu instid0(SALU_CYCLE_1)
	s_xor_b32 s0, exec_lo, s12
; %bb.1246:                             ;   in Loop: Header=BB407_712 Depth=1
	v_bfe_u32 v144, v9, 16, 1
	s_delay_alu instid0(VALU_DEP_1)
	v_add3_u32 v144, v9, v144, 0x7fff
                                        ; implicit-def: $vgpr9
; %bb.1247:                             ;   in Loop: Header=BB407_712 Depth=1
	s_and_not1_saveexec_b32 s12, s0
; %bb.1248:                             ;   in Loop: Header=BB407_712 Depth=1
	v_and_b32_e32 v144, 0xffff, v9
	v_or_b32_e32 v145, 0x10000, v9
	s_delay_alu instid0(VALU_DEP_2) | instskip(NEXT) | instid1(VALU_DEP_1)
	v_cmp_eq_u32_e64 s0, 0, v144
	v_cndmask_b32_e64 v144, v145, v9, s0
; %bb.1249:                             ;   in Loop: Header=BB407_712 Depth=1
	s_or_b32 exec_lo, exec_lo, s12
	v_lshlrev_b32_e32 v7, 16, v7
                                        ; implicit-def: $vgpr145
	s_delay_alu instid0(VALU_DEP_1) | instskip(NEXT) | instid1(VALU_DEP_1)
	v_mul_f32_e32 v7, v81, v7
	v_and_b32_e32 v9, 0x7f800000, v7
	s_delay_alu instid0(VALU_DEP_1) | instskip(NEXT) | instid1(VALU_DEP_1)
	v_cmp_ne_u32_e64 s0, 0x7f800000, v9
	s_and_saveexec_b32 s12, s0
	s_delay_alu instid0(SALU_CYCLE_1)
	s_xor_b32 s0, exec_lo, s12
; %bb.1250:                             ;   in Loop: Header=BB407_712 Depth=1
	v_bfe_u32 v9, v7, 16, 1
	s_delay_alu instid0(VALU_DEP_1)
	v_add3_u32 v145, v7, v9, 0x7fff
                                        ; implicit-def: $vgpr7
; %bb.1251:                             ;   in Loop: Header=BB407_712 Depth=1
	s_and_not1_saveexec_b32 s12, s0
; %bb.1252:                             ;   in Loop: Header=BB407_712 Depth=1
	v_and_b32_e32 v9, 0xffff, v7
	v_or_b32_e32 v145, 0x10000, v7
	s_delay_alu instid0(VALU_DEP_2) | instskip(NEXT) | instid1(VALU_DEP_1)
	v_cmp_eq_u32_e64 s0, 0, v9
	v_cndmask_b32_e64 v145, v145, v7, s0
; %bb.1253:                             ;   in Loop: Header=BB407_712 Depth=1
	s_or_b32 exec_lo, exec_lo, s12
	v_lshlrev_b32_e32 v6, 16, v6
                                        ; implicit-def: $vgpr146
	s_delay_alu instid0(VALU_DEP_1) | instskip(NEXT) | instid1(VALU_DEP_1)
	v_mul_f32_e32 v6, v98, v6
	v_and_b32_e32 v7, 0x7f800000, v6
	s_delay_alu instid0(VALU_DEP_1) | instskip(NEXT) | instid1(VALU_DEP_1)
	v_cmp_ne_u32_e64 s0, 0x7f800000, v7
	s_and_saveexec_b32 s12, s0
	s_delay_alu instid0(SALU_CYCLE_1)
	s_xor_b32 s0, exec_lo, s12
; %bb.1254:                             ;   in Loop: Header=BB407_712 Depth=1
	v_bfe_u32 v7, v6, 16, 1
	s_delay_alu instid0(VALU_DEP_1)
	v_add3_u32 v146, v6, v7, 0x7fff
                                        ; implicit-def: $vgpr6
; %bb.1255:                             ;   in Loop: Header=BB407_712 Depth=1
	s_and_not1_saveexec_b32 s12, s0
; %bb.1256:                             ;   in Loop: Header=BB407_712 Depth=1
	v_and_b32_e32 v7, 0xffff, v6
	v_or_b32_e32 v9, 0x10000, v6
	s_delay_alu instid0(VALU_DEP_2) | instskip(NEXT) | instid1(VALU_DEP_1)
	v_cmp_eq_u32_e64 s0, 0, v7
	v_cndmask_b32_e64 v146, v9, v6, s0
; %bb.1257:                             ;   in Loop: Header=BB407_712 Depth=1
	s_or_b32 exec_lo, exec_lo, s12
	v_lshlrev_b32_e32 v3, 16, v3
                                        ; implicit-def: $vgpr147
	s_delay_alu instid0(VALU_DEP_1) | instskip(NEXT) | instid1(VALU_DEP_1)
	v_mul_f32_e32 v3, v99, v3
	v_and_b32_e32 v6, 0x7f800000, v3
	s_delay_alu instid0(VALU_DEP_1) | instskip(NEXT) | instid1(VALU_DEP_1)
	v_cmp_ne_u32_e64 s0, 0x7f800000, v6
	s_and_saveexec_b32 s12, s0
	s_delay_alu instid0(SALU_CYCLE_1)
	s_xor_b32 s0, exec_lo, s12
; %bb.1258:                             ;   in Loop: Header=BB407_712 Depth=1
	v_bfe_u32 v6, v3, 16, 1
	s_delay_alu instid0(VALU_DEP_1)
	v_add3_u32 v147, v3, v6, 0x7fff
                                        ; implicit-def: $vgpr3
; %bb.1259:                             ;   in Loop: Header=BB407_712 Depth=1
	s_and_not1_saveexec_b32 s12, s0
; %bb.1260:                             ;   in Loop: Header=BB407_712 Depth=1
	v_and_b32_e32 v6, 0xffff, v3
	v_or_b32_e32 v7, 0x10000, v3
	s_delay_alu instid0(VALU_DEP_2) | instskip(NEXT) | instid1(VALU_DEP_1)
	v_cmp_eq_u32_e64 s0, 0, v6
	v_cndmask_b32_e64 v147, v7, v3, s0
; %bb.1261:                             ;   in Loop: Header=BB407_712 Depth=1
	s_or_b32 exec_lo, exec_lo, s12
	v_lshlrev_b32_e32 v2, 16, v2
                                        ; implicit-def: $vgpr148
	s_delay_alu instid0(VALU_DEP_1) | instskip(NEXT) | instid1(VALU_DEP_1)
	v_mul_f32_e32 v2, v100, v2
	v_and_b32_e32 v3, 0x7f800000, v2
	s_delay_alu instid0(VALU_DEP_1) | instskip(NEXT) | instid1(VALU_DEP_1)
	v_cmp_ne_u32_e64 s0, 0x7f800000, v3
	s_and_saveexec_b32 s12, s0
	s_delay_alu instid0(SALU_CYCLE_1)
	s_xor_b32 s0, exec_lo, s12
; %bb.1262:                             ;   in Loop: Header=BB407_712 Depth=1
	v_bfe_u32 v3, v2, 16, 1
	s_delay_alu instid0(VALU_DEP_1)
	v_add3_u32 v148, v2, v3, 0x7fff
                                        ; implicit-def: $vgpr2
; %bb.1263:                             ;   in Loop: Header=BB407_712 Depth=1
	s_and_not1_saveexec_b32 s12, s0
; %bb.1264:                             ;   in Loop: Header=BB407_712 Depth=1
	v_and_b32_e32 v3, 0xffff, v2
	v_or_b32_e32 v6, 0x10000, v2
	s_delay_alu instid0(VALU_DEP_2) | instskip(NEXT) | instid1(VALU_DEP_1)
	v_cmp_eq_u32_e64 s0, 0, v3
	v_cndmask_b32_e64 v148, v6, v2, s0
; %bb.1265:                             ;   in Loop: Header=BB407_712 Depth=1
	s_or_b32 exec_lo, exec_lo, s12
	flat_load_b64 v[2:3], v[0:1] offset:1024
	s_mov_b32 s12, exec_lo
	s_waitcnt vmcnt(0) lgkmcnt(0)
	v_dual_mov_b32 v6, 0 :: v_dual_and_b32 v7, 0xff, v2
	s_delay_alu instid0(VALU_DEP_1)
	v_cmpx_ne_u16_e32 0, v7
	s_cbranch_execz .LBB407_1273
; %bb.1266:                             ;   in Loop: Header=BB407_712 Depth=1
	v_bfrev_b32_e32 v6, 1
	s_mov_b32 s13, exec_lo
	v_cmpx_ne_u16_e32 0x80, v7
	s_cbranch_execz .LBB407_1272
; %bb.1267:                             ;   in Loop: Header=BB407_712 Depth=1
	v_and_b32_e32 v7, 0x7f, v2
	v_mov_b32_e32 v6, 0x7f800001
	s_mov_b32 s15, exec_lo
	s_delay_alu instid0(VALU_DEP_2)
	v_cmpx_ne_u32_e32 0x7f, v7
	s_cbranch_execz .LBB407_1271
; %bb.1268:                             ;   in Loop: Header=BB407_712 Depth=1
	v_lshrrev_b32_e32 v9, 3, v7
	v_cmp_gt_u32_e64 s0, 8, v7
	v_dual_mov_b32 v7, v3 :: v_dual_mov_b32 v6, v2
	s_delay_alu instid0(VALU_DEP_2)
	s_and_saveexec_b32 s17, s0
; %bb.1269:                             ;   in Loop: Header=BB407_712 Depth=1
	v_and_b32_e32 v6, 7, v2
	s_delay_alu instid0(VALU_DEP_1) | instskip(NEXT) | instid1(VALU_DEP_1)
	v_clz_i32_u32_e32 v6, v6
	v_min_u32_e32 v9, 32, v6
	s_delay_alu instid0(VALU_DEP_1) | instskip(SKIP_1) | instid1(VALU_DEP_2)
	v_subrev_nc_u32_e32 v6, 28, v9
	v_sub_nc_u32_e32 v9, 29, v9
	v_lshlrev_b64 v[6:7], v6, v[2:3]
; %bb.1270:                             ;   in Loop: Header=BB407_712 Depth=1
	s_or_b32 exec_lo, exec_lo, s17
	s_delay_alu instid0(VALU_DEP_1) | instskip(SKIP_2) | instid1(VALU_DEP_3)
	v_lshlrev_b32_e32 v6, 20, v6
	v_lshlrev_b32_e32 v7, 24, v2
	v_lshl_add_u32 v9, v9, 23, 0x3c000000
	v_and_b32_e32 v6, 0x700000, v6
	s_delay_alu instid0(VALU_DEP_3) | instskip(NEXT) | instid1(VALU_DEP_1)
	v_and_b32_e32 v7, 0x80000000, v7
	v_or3_b32 v6, v6, v7, v9
.LBB407_1271:                           ;   in Loop: Header=BB407_712 Depth=1
	s_or_b32 exec_lo, exec_lo, s15
.LBB407_1272:                           ;   in Loop: Header=BB407_712 Depth=1
	s_delay_alu instid0(SALU_CYCLE_1)
	s_or_b32 exec_lo, exec_lo, s13
.LBB407_1273:                           ;   in Loop: Header=BB407_712 Depth=1
	s_delay_alu instid0(SALU_CYCLE_1) | instskip(NEXT) | instid1(VALU_DEP_1)
	s_or_b32 exec_lo, exec_lo, s12
	v_mul_f32_e32 v6, v8, v6
                                        ; implicit-def: $vgpr149
	s_delay_alu instid0(VALU_DEP_1) | instskip(NEXT) | instid1(VALU_DEP_1)
	v_and_b32_e32 v7, 0x7f800000, v6
	v_cmp_ne_u32_e64 s0, 0x7f800000, v7
	s_delay_alu instid0(VALU_DEP_1) | instskip(NEXT) | instid1(SALU_CYCLE_1)
	s_and_saveexec_b32 s12, s0
	s_xor_b32 s0, exec_lo, s12
; %bb.1274:                             ;   in Loop: Header=BB407_712 Depth=1
	v_bfe_u32 v7, v6, 16, 1
	s_delay_alu instid0(VALU_DEP_1)
	v_add3_u32 v149, v6, v7, 0x7fff
                                        ; implicit-def: $vgpr6
; %bb.1275:                             ;   in Loop: Header=BB407_712 Depth=1
	s_and_not1_saveexec_b32 s12, s0
; %bb.1276:                             ;   in Loop: Header=BB407_712 Depth=1
	v_and_b32_e32 v7, 0xffff, v6
	v_or_b32_e32 v9, 0x10000, v6
	s_delay_alu instid0(VALU_DEP_2) | instskip(NEXT) | instid1(VALU_DEP_1)
	v_cmp_eq_u32_e64 s0, 0, v7
	v_cndmask_b32_e64 v149, v9, v6, s0
; %bb.1277:                             ;   in Loop: Header=BB407_712 Depth=1
	s_or_b32 exec_lo, exec_lo, s12
	v_lshrrev_b16 v7, 8, v2
	v_mov_b32_e32 v6, 0
	s_mov_b32 s12, exec_lo
	s_delay_alu instid0(VALU_DEP_2)
	v_cmpx_ne_u16_e32 0, v7
	s_cbranch_execz .LBB407_1285
; %bb.1278:                             ;   in Loop: Header=BB407_712 Depth=1
	v_bfrev_b32_e32 v6, 1
	s_mov_b32 s13, exec_lo
	v_cmpx_ne_u16_e32 0x80, v7
	s_cbranch_execz .LBB407_1284
; %bb.1279:                             ;   in Loop: Header=BB407_712 Depth=1
	v_and_b32_e32 v9, 0xffff, v7
	v_mov_b32_e32 v6, 0x7f800001
	s_mov_b32 s15, exec_lo
	s_delay_alu instid0(VALU_DEP_2) | instskip(NEXT) | instid1(VALU_DEP_1)
	v_and_b32_e32 v7, 0x7f, v9
	v_cmpx_ne_u32_e32 0x7f, v7
	s_cbranch_execz .LBB407_1283
; %bb.1280:                             ;   in Loop: Header=BB407_712 Depth=1
	v_and_b32_e32 v9, 7, v9
	v_lshrrev_b32_e32 v6, 3, v7
	s_mov_b32 s17, exec_lo
	v_cmpx_gt_u32_e32 8, v7
; %bb.1281:                             ;   in Loop: Header=BB407_712 Depth=1
	s_delay_alu instid0(VALU_DEP_3) | instskip(NEXT) | instid1(VALU_DEP_1)
	v_clz_i32_u32_e32 v6, v9
	v_min_u32_e32 v6, 32, v6
	s_delay_alu instid0(VALU_DEP_1) | instskip(SKIP_1) | instid1(VALU_DEP_2)
	v_subrev_nc_u32_e32 v7, 28, v6
	v_sub_nc_u32_e32 v6, 29, v6
	v_lshlrev_b64 v[150:151], v7, v[9:10]
	s_delay_alu instid0(VALU_DEP_1)
	v_and_b32_e32 v9, 7, v150
; %bb.1282:                             ;   in Loop: Header=BB407_712 Depth=1
	s_or_b32 exec_lo, exec_lo, s17
	v_lshlrev_b32_e32 v7, 16, v2
	s_delay_alu instid0(VALU_DEP_2) | instskip(SKIP_1) | instid1(VALU_DEP_3)
	v_lshlrev_b32_e32 v9, 20, v9
	v_lshl_add_u32 v6, v6, 23, 0x3c000000
	v_and_b32_e32 v7, 0x80000000, v7
	s_delay_alu instid0(VALU_DEP_1)
	v_or3_b32 v6, v9, v7, v6
.LBB407_1283:                           ;   in Loop: Header=BB407_712 Depth=1
	s_or_b32 exec_lo, exec_lo, s15
.LBB407_1284:                           ;   in Loop: Header=BB407_712 Depth=1
	s_delay_alu instid0(SALU_CYCLE_1)
	s_or_b32 exec_lo, exec_lo, s13
.LBB407_1285:                           ;   in Loop: Header=BB407_712 Depth=1
	s_delay_alu instid0(SALU_CYCLE_1) | instskip(NEXT) | instid1(VALU_DEP_1)
	s_or_b32 exec_lo, exec_lo, s12
	v_mul_f32_e32 v6, v8, v6
                                        ; implicit-def: $vgpr150
	s_delay_alu instid0(VALU_DEP_1) | instskip(NEXT) | instid1(VALU_DEP_1)
	v_and_b32_e32 v7, 0x7f800000, v6
	v_cmp_ne_u32_e64 s0, 0x7f800000, v7
	s_delay_alu instid0(VALU_DEP_1) | instskip(NEXT) | instid1(SALU_CYCLE_1)
	s_and_saveexec_b32 s12, s0
	s_xor_b32 s0, exec_lo, s12
; %bb.1286:                             ;   in Loop: Header=BB407_712 Depth=1
	v_bfe_u32 v7, v6, 16, 1
	s_delay_alu instid0(VALU_DEP_1)
	v_add3_u32 v150, v6, v7, 0x7fff
                                        ; implicit-def: $vgpr6
; %bb.1287:                             ;   in Loop: Header=BB407_712 Depth=1
	s_and_not1_saveexec_b32 s12, s0
; %bb.1288:                             ;   in Loop: Header=BB407_712 Depth=1
	v_and_b32_e32 v7, 0xffff, v6
	v_or_b32_e32 v9, 0x10000, v6
	s_delay_alu instid0(VALU_DEP_2) | instskip(NEXT) | instid1(VALU_DEP_1)
	v_cmp_eq_u32_e64 s0, 0, v7
	v_cndmask_b32_e64 v150, v9, v6, s0
; %bb.1289:                             ;   in Loop: Header=BB407_712 Depth=1
	s_or_b32 exec_lo, exec_lo, s12
	v_lshrrev_b32_e32 v6, 16, v2
	v_mov_b32_e32 v7, 0
	s_mov_b32 s12, exec_lo
	s_delay_alu instid0(VALU_DEP_2) | instskip(NEXT) | instid1(VALU_DEP_1)
	v_and_b32_e32 v9, 0xff, v6
	v_cmpx_ne_u16_e32 0, v9
	s_cbranch_execz .LBB407_1297
; %bb.1290:                             ;   in Loop: Header=BB407_712 Depth=1
	v_bfrev_b32_e32 v7, 1
	s_mov_b32 s13, exec_lo
	v_cmpx_ne_u16_e32 0x80, v9
	s_cbranch_execz .LBB407_1296
; %bb.1291:                             ;   in Loop: Header=BB407_712 Depth=1
	v_bfe_u32 v151, v2, 16, 7
	v_mov_b32_e32 v7, 0x7f800001
	s_mov_b32 s15, exec_lo
	s_delay_alu instid0(VALU_DEP_2)
	v_cmpx_ne_u32_e32 0x7f, v151
	s_cbranch_execz .LBB407_1295
; %bb.1292:                             ;   in Loop: Header=BB407_712 Depth=1
	v_and_b32_e32 v9, 7, v6
	v_lshrrev_b32_e32 v7, 3, v151
	s_mov_b32 s17, exec_lo
	v_cmpx_gt_u32_e32 8, v151
; %bb.1293:                             ;   in Loop: Header=BB407_712 Depth=1
	s_delay_alu instid0(VALU_DEP_3) | instskip(NEXT) | instid1(VALU_DEP_1)
	v_clz_i32_u32_e32 v7, v9
	v_min_u32_e32 v7, 32, v7
	s_delay_alu instid0(VALU_DEP_1) | instskip(SKIP_1) | instid1(VALU_DEP_2)
	v_subrev_nc_u32_e32 v151, 28, v7
	v_sub_nc_u32_e32 v7, 29, v7
	v_lshlrev_b64 v[160:161], v151, v[9:10]
	s_delay_alu instid0(VALU_DEP_1)
	v_and_b32_e32 v9, 7, v160
; %bb.1294:                             ;   in Loop: Header=BB407_712 Depth=1
	s_or_b32 exec_lo, exec_lo, s17
	v_lshlrev_b32_e32 v6, 24, v6
	s_delay_alu instid0(VALU_DEP_2) | instskip(SKIP_1) | instid1(VALU_DEP_3)
	v_lshlrev_b32_e32 v9, 20, v9
	v_lshl_add_u32 v7, v7, 23, 0x3c000000
	v_and_b32_e32 v6, 0x80000000, v6
	s_delay_alu instid0(VALU_DEP_1)
	v_or3_b32 v7, v9, v6, v7
.LBB407_1295:                           ;   in Loop: Header=BB407_712 Depth=1
	s_or_b32 exec_lo, exec_lo, s15
.LBB407_1296:                           ;   in Loop: Header=BB407_712 Depth=1
	s_delay_alu instid0(SALU_CYCLE_1)
	s_or_b32 exec_lo, exec_lo, s13
.LBB407_1297:                           ;   in Loop: Header=BB407_712 Depth=1
	s_delay_alu instid0(SALU_CYCLE_1) | instskip(NEXT) | instid1(VALU_DEP_1)
	s_or_b32 exec_lo, exec_lo, s12
	v_mul_f32_e32 v6, v8, v7
                                        ; implicit-def: $vgpr151
	s_delay_alu instid0(VALU_DEP_1) | instskip(NEXT) | instid1(VALU_DEP_1)
	v_and_b32_e32 v7, 0x7f800000, v6
	v_cmp_ne_u32_e64 s0, 0x7f800000, v7
	s_delay_alu instid0(VALU_DEP_1) | instskip(NEXT) | instid1(SALU_CYCLE_1)
	s_and_saveexec_b32 s12, s0
	s_xor_b32 s0, exec_lo, s12
; %bb.1298:                             ;   in Loop: Header=BB407_712 Depth=1
	v_bfe_u32 v7, v6, 16, 1
	s_delay_alu instid0(VALU_DEP_1)
	v_add3_u32 v151, v6, v7, 0x7fff
                                        ; implicit-def: $vgpr6
; %bb.1299:                             ;   in Loop: Header=BB407_712 Depth=1
	s_and_not1_saveexec_b32 s12, s0
; %bb.1300:                             ;   in Loop: Header=BB407_712 Depth=1
	v_and_b32_e32 v7, 0xffff, v6
	v_or_b32_e32 v9, 0x10000, v6
	s_delay_alu instid0(VALU_DEP_2) | instskip(NEXT) | instid1(VALU_DEP_1)
	v_cmp_eq_u32_e64 s0, 0, v7
	v_cndmask_b32_e64 v151, v9, v6, s0
; %bb.1301:                             ;   in Loop: Header=BB407_712 Depth=1
	s_or_b32 exec_lo, exec_lo, s12
	v_mov_b32_e32 v7, 0
	s_mov_b32 s12, exec_lo
	v_cmpx_lt_u32_e32 0xffffff, v2
	s_cbranch_execz .LBB407_1309
; %bb.1302:                             ;   in Loop: Header=BB407_712 Depth=1
	v_lshrrev_b32_e32 v6, 24, v2
	v_bfrev_b32_e32 v7, 1
	s_mov_b32 s13, exec_lo
	s_delay_alu instid0(VALU_DEP_2)
	v_cmpx_ne_u32_e32 0x80, v6
	s_cbranch_execz .LBB407_1308
; %bb.1303:                             ;   in Loop: Header=BB407_712 Depth=1
	v_bfe_u32 v160, v2, 24, 7
	v_mov_b32_e32 v7, 0x7f800001
	s_mov_b32 s15, exec_lo
	s_delay_alu instid0(VALU_DEP_2)
	v_cmpx_ne_u32_e32 0x7f, v160
	s_cbranch_execz .LBB407_1307
; %bb.1304:                             ;   in Loop: Header=BB407_712 Depth=1
	v_and_b32_e32 v9, 7, v6
	v_lshrrev_b32_e32 v7, 3, v160
	s_mov_b32 s17, exec_lo
	v_cmpx_gt_u32_e32 8, v160
; %bb.1305:                             ;   in Loop: Header=BB407_712 Depth=1
	s_delay_alu instid0(VALU_DEP_3) | instskip(NEXT) | instid1(VALU_DEP_1)
	v_clz_i32_u32_e32 v7, v9
	v_min_u32_e32 v7, 32, v7
	s_delay_alu instid0(VALU_DEP_1) | instskip(SKIP_1) | instid1(VALU_DEP_2)
	v_subrev_nc_u32_e32 v160, 28, v7
	v_sub_nc_u32_e32 v7, 29, v7
	v_lshlrev_b64 v[160:161], v160, v[9:10]
	s_delay_alu instid0(VALU_DEP_1)
	v_and_b32_e32 v9, 7, v160
; %bb.1306:                             ;   in Loop: Header=BB407_712 Depth=1
	s_or_b32 exec_lo, exec_lo, s17
	v_lshlrev_b32_e32 v6, 24, v6
	s_delay_alu instid0(VALU_DEP_2) | instskip(SKIP_1) | instid1(VALU_DEP_3)
	v_lshlrev_b32_e32 v9, 20, v9
	v_lshl_add_u32 v7, v7, 23, 0x3c000000
	v_and_b32_e32 v6, 0x80000000, v6
	s_delay_alu instid0(VALU_DEP_1)
	v_or3_b32 v7, v9, v6, v7
.LBB407_1307:                           ;   in Loop: Header=BB407_712 Depth=1
	s_or_b32 exec_lo, exec_lo, s15
.LBB407_1308:                           ;   in Loop: Header=BB407_712 Depth=1
	s_delay_alu instid0(SALU_CYCLE_1)
	s_or_b32 exec_lo, exec_lo, s13
.LBB407_1309:                           ;   in Loop: Header=BB407_712 Depth=1
	s_delay_alu instid0(SALU_CYCLE_1) | instskip(NEXT) | instid1(VALU_DEP_1)
	s_or_b32 exec_lo, exec_lo, s12
	v_mul_f32_e32 v6, v8, v7
                                        ; implicit-def: $vgpr160
	s_delay_alu instid0(VALU_DEP_1) | instskip(NEXT) | instid1(VALU_DEP_1)
	v_and_b32_e32 v7, 0x7f800000, v6
	v_cmp_ne_u32_e64 s0, 0x7f800000, v7
	s_delay_alu instid0(VALU_DEP_1) | instskip(NEXT) | instid1(SALU_CYCLE_1)
	s_and_saveexec_b32 s12, s0
	s_xor_b32 s0, exec_lo, s12
; %bb.1310:                             ;   in Loop: Header=BB407_712 Depth=1
	v_bfe_u32 v7, v6, 16, 1
	s_delay_alu instid0(VALU_DEP_1)
	v_add3_u32 v160, v6, v7, 0x7fff
                                        ; implicit-def: $vgpr6
; %bb.1311:                             ;   in Loop: Header=BB407_712 Depth=1
	s_and_not1_saveexec_b32 s12, s0
; %bb.1312:                             ;   in Loop: Header=BB407_712 Depth=1
	v_and_b32_e32 v7, 0xffff, v6
	v_or_b32_e32 v9, 0x10000, v6
	s_delay_alu instid0(VALU_DEP_2) | instskip(NEXT) | instid1(VALU_DEP_1)
	v_cmp_eq_u32_e64 s0, 0, v7
	v_cndmask_b32_e64 v160, v9, v6, s0
; %bb.1313:                             ;   in Loop: Header=BB407_712 Depth=1
	s_or_b32 exec_lo, exec_lo, s12
	v_dual_mov_b32 v6, 0 :: v_dual_and_b32 v7, 0xff, v3
	v_mov_b32_e32 v9, v3
	s_mov_b32 s12, exec_lo
	s_delay_alu instid0(VALU_DEP_2)
	v_cmpx_ne_u16_e32 0, v7
	s_cbranch_execz .LBB407_1321
; %bb.1314:                             ;   in Loop: Header=BB407_712 Depth=1
	v_bfrev_b32_e32 v6, 1
	s_mov_b32 s13, exec_lo
	v_cmpx_ne_u16_e32 0x80, v7
	s_cbranch_execz .LBB407_1320
; %bb.1315:                             ;   in Loop: Header=BB407_712 Depth=1
	v_and_b32_e32 v7, 0x7f, v3
	v_mov_b32_e32 v6, 0x7f800001
	s_mov_b32 s15, exec_lo
	s_delay_alu instid0(VALU_DEP_2)
	v_cmpx_ne_u32_e32 0x7f, v7
	s_cbranch_execz .LBB407_1319
; %bb.1316:                             ;   in Loop: Header=BB407_712 Depth=1
	v_lshrrev_b32_e32 v161, 3, v7
	v_cmp_gt_u32_e64 s0, 8, v7
	v_dual_mov_b32 v6, v9 :: v_dual_mov_b32 v7, v10
	s_delay_alu instid0(VALU_DEP_2)
	s_and_saveexec_b32 s17, s0
; %bb.1317:                             ;   in Loop: Header=BB407_712 Depth=1
	v_and_b32_e32 v6, 7, v3
	s_delay_alu instid0(VALU_DEP_1) | instskip(NEXT) | instid1(VALU_DEP_1)
	v_clz_i32_u32_e32 v6, v6
	v_min_u32_e32 v161, 32, v6
	s_delay_alu instid0(VALU_DEP_1) | instskip(SKIP_1) | instid1(VALU_DEP_2)
	v_subrev_nc_u32_e32 v6, 28, v161
	v_sub_nc_u32_e32 v161, 29, v161
	v_lshlrev_b64 v[6:7], v6, v[9:10]
; %bb.1318:                             ;   in Loop: Header=BB407_712 Depth=1
	s_or_b32 exec_lo, exec_lo, s17
	s_delay_alu instid0(VALU_DEP_1) | instskip(SKIP_2) | instid1(VALU_DEP_3)
	v_lshlrev_b32_e32 v6, 20, v6
	v_lshlrev_b32_e32 v7, 24, v9
	v_lshl_add_u32 v161, v161, 23, 0x3c000000
	v_and_b32_e32 v6, 0x700000, v6
	s_delay_alu instid0(VALU_DEP_3) | instskip(NEXT) | instid1(VALU_DEP_1)
	v_and_b32_e32 v7, 0x80000000, v7
	v_or3_b32 v6, v6, v7, v161
.LBB407_1319:                           ;   in Loop: Header=BB407_712 Depth=1
	s_or_b32 exec_lo, exec_lo, s15
.LBB407_1320:                           ;   in Loop: Header=BB407_712 Depth=1
	s_delay_alu instid0(SALU_CYCLE_1)
	s_or_b32 exec_lo, exec_lo, s13
.LBB407_1321:                           ;   in Loop: Header=BB407_712 Depth=1
	s_delay_alu instid0(SALU_CYCLE_1) | instskip(NEXT) | instid1(VALU_DEP_1)
	s_or_b32 exec_lo, exec_lo, s12
	v_mul_f32_e32 v6, v8, v6
                                        ; implicit-def: $vgpr161
	s_delay_alu instid0(VALU_DEP_1) | instskip(NEXT) | instid1(VALU_DEP_1)
	v_and_b32_e32 v7, 0x7f800000, v6
	v_cmp_ne_u32_e64 s0, 0x7f800000, v7
	s_delay_alu instid0(VALU_DEP_1) | instskip(NEXT) | instid1(SALU_CYCLE_1)
	s_and_saveexec_b32 s12, s0
	s_xor_b32 s0, exec_lo, s12
; %bb.1322:                             ;   in Loop: Header=BB407_712 Depth=1
	v_bfe_u32 v7, v6, 16, 1
	s_delay_alu instid0(VALU_DEP_1)
	v_add3_u32 v161, v6, v7, 0x7fff
                                        ; implicit-def: $vgpr6
; %bb.1323:                             ;   in Loop: Header=BB407_712 Depth=1
	s_and_not1_saveexec_b32 s12, s0
; %bb.1324:                             ;   in Loop: Header=BB407_712 Depth=1
	v_and_b32_e32 v7, 0xffff, v6
	v_or_b32_e32 v161, 0x10000, v6
	s_delay_alu instid0(VALU_DEP_2) | instskip(NEXT) | instid1(VALU_DEP_1)
	v_cmp_eq_u32_e64 s0, 0, v7
	v_cndmask_b32_e64 v161, v161, v6, s0
; %bb.1325:                             ;   in Loop: Header=BB407_712 Depth=1
	s_or_b32 exec_lo, exec_lo, s12
	v_lshrrev_b16 v7, 8, v9
	v_mov_b32_e32 v6, 0
	s_mov_b32 s12, exec_lo
	s_delay_alu instid0(VALU_DEP_2)
	v_cmpx_ne_u16_e32 0, v7
	s_cbranch_execz .LBB407_1333
; %bb.1326:                             ;   in Loop: Header=BB407_712 Depth=1
	v_bfrev_b32_e32 v6, 1
	s_mov_b32 s13, exec_lo
	v_cmpx_ne_u16_e32 0x80, v7
	s_cbranch_execz .LBB407_1332
; %bb.1327:                             ;   in Loop: Header=BB407_712 Depth=1
	v_and_b32_e32 v7, 0xffff, v7
	v_mov_b32_e32 v6, 0x7f800001
	s_mov_b32 s15, exec_lo
	s_delay_alu instid0(VALU_DEP_2) | instskip(NEXT) | instid1(VALU_DEP_1)
	v_and_b32_e32 v163, 0x7f, v7
	v_cmpx_ne_u32_e32 0x7f, v163
	s_cbranch_execz .LBB407_1331
; %bb.1328:                             ;   in Loop: Header=BB407_712 Depth=1
	v_dual_mov_b32 v7, v10 :: v_dual_and_b32 v6, 7, v7
	v_lshrrev_b32_e32 v162, 3, v163
	s_mov_b32 s17, exec_lo
	v_cmpx_gt_u32_e32 8, v163
; %bb.1329:                             ;   in Loop: Header=BB407_712 Depth=1
	s_delay_alu instid0(VALU_DEP_3) | instskip(NEXT) | instid1(VALU_DEP_1)
	v_clz_i32_u32_e32 v162, v6
	v_min_u32_e32 v162, 32, v162
	s_delay_alu instid0(VALU_DEP_1) | instskip(SKIP_1) | instid1(VALU_DEP_2)
	v_subrev_nc_u32_e32 v163, 28, v162
	v_sub_nc_u32_e32 v162, 29, v162
	v_lshlrev_b64 v[6:7], v163, v[6:7]
	s_delay_alu instid0(VALU_DEP_1)
	v_and_b32_e32 v6, 7, v6
; %bb.1330:                             ;   in Loop: Header=BB407_712 Depth=1
	s_or_b32 exec_lo, exec_lo, s17
	v_lshlrev_b32_e32 v7, 16, v9
	s_delay_alu instid0(VALU_DEP_2) | instskip(SKIP_1) | instid1(VALU_DEP_3)
	v_lshlrev_b32_e32 v6, 20, v6
	v_lshl_add_u32 v9, v162, 23, 0x3c000000
	v_and_b32_e32 v7, 0x80000000, v7
	s_delay_alu instid0(VALU_DEP_1)
	v_or3_b32 v6, v6, v7, v9
.LBB407_1331:                           ;   in Loop: Header=BB407_712 Depth=1
	s_or_b32 exec_lo, exec_lo, s15
.LBB407_1332:                           ;   in Loop: Header=BB407_712 Depth=1
	s_delay_alu instid0(SALU_CYCLE_1)
	s_or_b32 exec_lo, exec_lo, s13
.LBB407_1333:                           ;   in Loop: Header=BB407_712 Depth=1
	s_delay_alu instid0(SALU_CYCLE_1) | instskip(NEXT) | instid1(VALU_DEP_1)
	s_or_b32 exec_lo, exec_lo, s12
	v_mul_f32_e32 v7, v8, v6
	s_delay_alu instid0(VALU_DEP_1) | instskip(NEXT) | instid1(VALU_DEP_1)
	v_and_b32_e32 v6, 0x7f800000, v7
	v_cmp_ne_u32_e64 s0, 0x7f800000, v6
                                        ; implicit-def: $vgpr6
	s_delay_alu instid0(VALU_DEP_1) | instskip(NEXT) | instid1(SALU_CYCLE_1)
	s_and_saveexec_b32 s12, s0
	s_xor_b32 s0, exec_lo, s12
; %bb.1334:                             ;   in Loop: Header=BB407_712 Depth=1
	v_bfe_u32 v6, v7, 16, 1
	s_delay_alu instid0(VALU_DEP_1)
	v_add3_u32 v6, v7, v6, 0x7fff
                                        ; implicit-def: $vgpr7
; %bb.1335:                             ;   in Loop: Header=BB407_712 Depth=1
	s_and_not1_saveexec_b32 s12, s0
; %bb.1336:                             ;   in Loop: Header=BB407_712 Depth=1
	v_and_b32_e32 v6, 0xffff, v7
	v_or_b32_e32 v9, 0x10000, v7
	s_delay_alu instid0(VALU_DEP_2) | instskip(NEXT) | instid1(VALU_DEP_1)
	v_cmp_eq_u32_e64 s0, 0, v6
	v_cndmask_b32_e64 v6, v9, v7, s0
; %bb.1337:                             ;   in Loop: Header=BB407_712 Depth=1
	s_or_b32 exec_lo, exec_lo, s12
	v_lshrrev_b32_e32 v7, 16, v3
	s_mov_b32 s12, exec_lo
	s_delay_alu instid0(VALU_DEP_1) | instskip(NEXT) | instid1(VALU_DEP_1)
	v_dual_mov_b32 v9, 0 :: v_dual_and_b32 v162, 0xff, v7
	v_cmpx_ne_u16_e64 0, v162
	s_cbranch_execz .LBB407_1345
; %bb.1338:                             ;   in Loop: Header=BB407_712 Depth=1
	v_bfrev_b32_e32 v9, 1
	s_mov_b32 s13, exec_lo
	v_cmpx_ne_u16_e64 0x80, v162
	s_cbranch_execz .LBB407_1344
; %bb.1339:                             ;   in Loop: Header=BB407_712 Depth=1
	v_bfe_u32 v163, v3, 16, 7
	v_mov_b32_e32 v9, 0x7f800001
	s_mov_b32 s15, exec_lo
	s_delay_alu instid0(VALU_DEP_2)
	v_cmpx_ne_u32_e32 0x7f, v163
	s_cbranch_execz .LBB407_1343
; %bb.1340:                             ;   in Loop: Header=BB407_712 Depth=1
	v_and_b32_e32 v9, 7, v7
	v_lshrrev_b32_e32 v162, 3, v163
	s_mov_b32 s17, exec_lo
	v_cmpx_gt_u32_e32 8, v163
; %bb.1341:                             ;   in Loop: Header=BB407_712 Depth=1
	s_delay_alu instid0(VALU_DEP_3) | instskip(NEXT) | instid1(VALU_DEP_1)
	v_clz_i32_u32_e32 v162, v9
	v_min_u32_e32 v162, 32, v162
	s_delay_alu instid0(VALU_DEP_1) | instskip(SKIP_1) | instid1(VALU_DEP_2)
	v_subrev_nc_u32_e32 v163, 28, v162
	v_sub_nc_u32_e32 v162, 29, v162
	v_lshlrev_b64 v[163:164], v163, v[9:10]
	s_delay_alu instid0(VALU_DEP_1)
	v_and_b32_e32 v9, 7, v163
; %bb.1342:                             ;   in Loop: Header=BB407_712 Depth=1
	s_or_b32 exec_lo, exec_lo, s17
	v_lshlrev_b32_e32 v7, 24, v7
	s_delay_alu instid0(VALU_DEP_2) | instskip(SKIP_1) | instid1(VALU_DEP_3)
	v_lshlrev_b32_e32 v9, 20, v9
	v_lshl_add_u32 v162, v162, 23, 0x3c000000
	v_and_b32_e32 v7, 0x80000000, v7
	s_delay_alu instid0(VALU_DEP_1)
	v_or3_b32 v9, v9, v7, v162
.LBB407_1343:                           ;   in Loop: Header=BB407_712 Depth=1
	s_or_b32 exec_lo, exec_lo, s15
.LBB407_1344:                           ;   in Loop: Header=BB407_712 Depth=1
	s_delay_alu instid0(SALU_CYCLE_1)
	s_or_b32 exec_lo, exec_lo, s13
.LBB407_1345:                           ;   in Loop: Header=BB407_712 Depth=1
	s_delay_alu instid0(SALU_CYCLE_1) | instskip(NEXT) | instid1(VALU_DEP_1)
	s_or_b32 exec_lo, exec_lo, s12
	v_mul_f32_e32 v7, v8, v9
                                        ; implicit-def: $vgpr162
	s_delay_alu instid0(VALU_DEP_1) | instskip(NEXT) | instid1(VALU_DEP_1)
	v_and_b32_e32 v9, 0x7f800000, v7
	v_cmp_ne_u32_e64 s0, 0x7f800000, v9
	s_delay_alu instid0(VALU_DEP_1) | instskip(NEXT) | instid1(SALU_CYCLE_1)
	s_and_saveexec_b32 s12, s0
	s_xor_b32 s0, exec_lo, s12
; %bb.1346:                             ;   in Loop: Header=BB407_712 Depth=1
	v_bfe_u32 v9, v7, 16, 1
	s_delay_alu instid0(VALU_DEP_1)
	v_add3_u32 v162, v7, v9, 0x7fff
                                        ; implicit-def: $vgpr7
; %bb.1347:                             ;   in Loop: Header=BB407_712 Depth=1
	s_and_not1_saveexec_b32 s12, s0
; %bb.1348:                             ;   in Loop: Header=BB407_712 Depth=1
	v_and_b32_e32 v9, 0xffff, v7
	v_or_b32_e32 v162, 0x10000, v7
	s_delay_alu instid0(VALU_DEP_2) | instskip(NEXT) | instid1(VALU_DEP_1)
	v_cmp_eq_u32_e64 s0, 0, v9
	v_cndmask_b32_e64 v162, v162, v7, s0
; %bb.1349:                             ;   in Loop: Header=BB407_712 Depth=1
	s_or_b32 exec_lo, exec_lo, s12
	v_mov_b32_e32 v7, 0
	s_mov_b32 s12, exec_lo
	v_cmpx_lt_u64_e64 s[8:9], v[2:3]
	s_cbranch_execz .LBB407_1357
; %bb.1350:                             ;   in Loop: Header=BB407_712 Depth=1
	v_lshrrev_b32_e32 v2, 24, v3
	v_bfrev_b32_e32 v7, 1
	s_mov_b32 s13, exec_lo
	s_delay_alu instid0(VALU_DEP_2)
	v_cmpx_ne_u32_e32 0x80, v2
	s_cbranch_execz .LBB407_1356
; %bb.1351:                             ;   in Loop: Header=BB407_712 Depth=1
	v_bfe_u32 v163, v3, 24, 7
	v_mov_b32_e32 v7, 0x7f800001
	s_mov_b32 s15, exec_lo
	s_delay_alu instid0(VALU_DEP_2)
	v_cmpx_ne_u32_e32 0x7f, v163
	s_cbranch_execz .LBB407_1355
; %bb.1352:                             ;   in Loop: Header=BB407_712 Depth=1
	v_and_b32_e32 v9, 7, v2
	v_lshrrev_b32_e32 v3, 3, v163
	s_mov_b32 s17, exec_lo
	v_cmpx_gt_u32_e32 8, v163
; %bb.1353:                             ;   in Loop: Header=BB407_712 Depth=1
	s_delay_alu instid0(VALU_DEP_3) | instskip(NEXT) | instid1(VALU_DEP_1)
	v_clz_i32_u32_e32 v3, v9
	v_min_u32_e32 v3, 32, v3
	s_delay_alu instid0(VALU_DEP_1) | instskip(SKIP_1) | instid1(VALU_DEP_2)
	v_subrev_nc_u32_e32 v7, 28, v3
	v_sub_nc_u32_e32 v3, 29, v3
	v_lshlrev_b64 v[163:164], v7, v[9:10]
	s_delay_alu instid0(VALU_DEP_1)
	v_and_b32_e32 v9, 7, v163
; %bb.1354:                             ;   in Loop: Header=BB407_712 Depth=1
	s_or_b32 exec_lo, exec_lo, s17
	v_lshlrev_b32_e32 v2, 24, v2
	s_delay_alu instid0(VALU_DEP_2) | instskip(SKIP_1) | instid1(VALU_DEP_3)
	v_lshlrev_b32_e32 v7, 20, v9
	v_lshl_add_u32 v3, v3, 23, 0x3c000000
	v_and_b32_e32 v2, 0x80000000, v2
	s_delay_alu instid0(VALU_DEP_1)
	v_or3_b32 v7, v7, v2, v3
.LBB407_1355:                           ;   in Loop: Header=BB407_712 Depth=1
	s_or_b32 exec_lo, exec_lo, s15
.LBB407_1356:                           ;   in Loop: Header=BB407_712 Depth=1
	s_delay_alu instid0(SALU_CYCLE_1)
	s_or_b32 exec_lo, exec_lo, s13
.LBB407_1357:                           ;   in Loop: Header=BB407_712 Depth=1
	s_delay_alu instid0(SALU_CYCLE_1) | instskip(NEXT) | instid1(VALU_DEP_1)
	s_or_b32 exec_lo, exec_lo, s12
	v_mul_f32_e32 v3, v8, v7
	s_delay_alu instid0(VALU_DEP_1) | instskip(NEXT) | instid1(VALU_DEP_1)
	v_and_b32_e32 v2, 0x7f800000, v3
	v_cmp_ne_u32_e64 s0, 0x7f800000, v2
                                        ; implicit-def: $vgpr2
	s_delay_alu instid0(VALU_DEP_1) | instskip(NEXT) | instid1(SALU_CYCLE_1)
	s_and_saveexec_b32 s12, s0
	s_xor_b32 s0, exec_lo, s12
; %bb.1358:                             ;   in Loop: Header=BB407_712 Depth=1
	v_bfe_u32 v2, v3, 16, 1
	s_delay_alu instid0(VALU_DEP_1)
	v_add3_u32 v2, v3, v2, 0x7fff
                                        ; implicit-def: $vgpr3
; %bb.1359:                             ;   in Loop: Header=BB407_712 Depth=1
	s_and_not1_saveexec_b32 s12, s0
; %bb.1360:                             ;   in Loop: Header=BB407_712 Depth=1
	v_and_b32_e32 v2, 0xffff, v3
	v_or_b32_e32 v7, 0x10000, v3
	s_delay_alu instid0(VALU_DEP_2) | instskip(NEXT) | instid1(VALU_DEP_1)
	v_cmp_eq_u32_e64 s0, 0, v2
	v_cndmask_b32_e64 v2, v7, v3, s0
; %bb.1361:                             ;   in Loop: Header=BB407_712 Depth=1
	s_or_b32 exec_lo, exec_lo, s12
	v_lshrrev_b32_e32 v6, 16, v6
	v_lshrrev_b32_e32 v7, 16, v161
	;; [unrolled: 1-line block ×8, first 2 shown]
	s_and_saveexec_b32 s12, vcc_lo
	s_cbranch_execz .LBB407_1363
; %bb.1362:                             ;   in Loop: Header=BB407_712 Depth=1
	v_cmp_lt_i32_e64 s0, v52, v83
	s_delay_alu instid0(VALU_DEP_1) | instskip(SKIP_1) | instid1(VALU_DEP_1)
	v_cndmask_b32_e64 v149, 0, v149, s0
	v_cmp_lt_i32_e64 s0, v68, v83
	v_cndmask_b32_e64 v150, 0, v150, s0
	v_cmp_lt_i32_e64 s0, v67, v83
	s_delay_alu instid0(VALU_DEP_1) | instskip(SKIP_1) | instid1(VALU_DEP_1)
	v_cndmask_b32_e64 v151, 0, v151, s0
	v_cmp_lt_i32_e64 s0, v66, v83
	v_cndmask_b32_e64 v9, 0, v9, s0
	;; [unrolled: 5-line block ×4, first 2 shown]
.LBB407_1363:                           ;   in Loop: Header=BB407_712 Depth=1
	s_or_b32 exec_lo, exec_lo, s12
	v_lshlrev_b32_e32 v149, 16, v149
	s_delay_alu instid0(VALU_DEP_1) | instskip(NEXT) | instid1(VALU_DEP_1)
	v_mul_f32_e32 v160, v69, v149
	v_and_b32_e32 v149, 0x7f800000, v160
	s_delay_alu instid0(VALU_DEP_1) | instskip(NEXT) | instid1(VALU_DEP_1)
	v_cmp_ne_u32_e64 s0, 0x7f800000, v149
                                        ; implicit-def: $vgpr149
	s_and_saveexec_b32 s12, s0
	s_delay_alu instid0(SALU_CYCLE_1)
	s_xor_b32 s0, exec_lo, s12
; %bb.1364:                             ;   in Loop: Header=BB407_712 Depth=1
	v_bfe_u32 v149, v160, 16, 1
	s_delay_alu instid0(VALU_DEP_1)
	v_add3_u32 v149, v160, v149, 0x7fff
                                        ; implicit-def: $vgpr160
; %bb.1365:                             ;   in Loop: Header=BB407_712 Depth=1
	s_and_not1_saveexec_b32 s12, s0
; %bb.1366:                             ;   in Loop: Header=BB407_712 Depth=1
	v_and_b32_e32 v149, 0xffff, v160
	v_or_b32_e32 v161, 0x10000, v160
	s_delay_alu instid0(VALU_DEP_2) | instskip(NEXT) | instid1(VALU_DEP_1)
	v_cmp_eq_u32_e64 s0, 0, v149
	v_cndmask_b32_e64 v149, v161, v160, s0
; %bb.1367:                             ;   in Loop: Header=BB407_712 Depth=1
	s_or_b32 exec_lo, exec_lo, s12
	v_lshlrev_b32_e32 v150, 16, v150
	s_delay_alu instid0(VALU_DEP_1) | instskip(NEXT) | instid1(VALU_DEP_1)
	v_mul_f32_e32 v160, v70, v150
	v_and_b32_e32 v150, 0x7f800000, v160
	s_delay_alu instid0(VALU_DEP_1) | instskip(NEXT) | instid1(VALU_DEP_1)
	v_cmp_ne_u32_e64 s0, 0x7f800000, v150
                                        ; implicit-def: $vgpr150
	s_and_saveexec_b32 s12, s0
	s_delay_alu instid0(SALU_CYCLE_1)
	s_xor_b32 s0, exec_lo, s12
; %bb.1368:                             ;   in Loop: Header=BB407_712 Depth=1
	v_bfe_u32 v150, v160, 16, 1
	s_delay_alu instid0(VALU_DEP_1)
	v_add3_u32 v150, v160, v150, 0x7fff
                                        ; implicit-def: $vgpr160
; %bb.1369:                             ;   in Loop: Header=BB407_712 Depth=1
	s_and_not1_saveexec_b32 s12, s0
; %bb.1370:                             ;   in Loop: Header=BB407_712 Depth=1
	v_and_b32_e32 v150, 0xffff, v160
	v_or_b32_e32 v161, 0x10000, v160
	s_delay_alu instid0(VALU_DEP_2) | instskip(NEXT) | instid1(VALU_DEP_1)
	v_cmp_eq_u32_e64 s0, 0, v150
	v_cndmask_b32_e64 v150, v161, v160, s0
; %bb.1371:                             ;   in Loop: Header=BB407_712 Depth=1
	s_or_b32 exec_lo, exec_lo, s12
	v_lshlrev_b32_e32 v151, 16, v151
	s_delay_alu instid0(VALU_DEP_1) | instskip(NEXT) | instid1(VALU_DEP_1)
	v_mul_f32_e32 v160, v71, v151
	v_and_b32_e32 v151, 0x7f800000, v160
	s_delay_alu instid0(VALU_DEP_1) | instskip(NEXT) | instid1(VALU_DEP_1)
	v_cmp_ne_u32_e64 s0, 0x7f800000, v151
                                        ; implicit-def: $vgpr151
	s_and_saveexec_b32 s12, s0
	s_delay_alu instid0(SALU_CYCLE_1)
	s_xor_b32 s0, exec_lo, s12
; %bb.1372:                             ;   in Loop: Header=BB407_712 Depth=1
	v_bfe_u32 v151, v160, 16, 1
	s_delay_alu instid0(VALU_DEP_1)
	v_add3_u32 v151, v160, v151, 0x7fff
                                        ; implicit-def: $vgpr160
; %bb.1373:                             ;   in Loop: Header=BB407_712 Depth=1
	s_and_not1_saveexec_b32 s12, s0
; %bb.1374:                             ;   in Loop: Header=BB407_712 Depth=1
	v_and_b32_e32 v151, 0xffff, v160
	v_or_b32_e32 v161, 0x10000, v160
	s_delay_alu instid0(VALU_DEP_2) | instskip(NEXT) | instid1(VALU_DEP_1)
	v_cmp_eq_u32_e64 s0, 0, v151
	v_cndmask_b32_e64 v151, v161, v160, s0
; %bb.1375:                             ;   in Loop: Header=BB407_712 Depth=1
	s_or_b32 exec_lo, exec_lo, s12
	v_lshlrev_b32_e32 v9, 16, v9
	s_delay_alu instid0(VALU_DEP_1) | instskip(NEXT) | instid1(VALU_DEP_1)
	v_mul_f32_e32 v9, v80, v9
	v_and_b32_e32 v160, 0x7f800000, v9
	s_delay_alu instid0(VALU_DEP_1) | instskip(NEXT) | instid1(VALU_DEP_1)
	v_cmp_ne_u32_e64 s0, 0x7f800000, v160
                                        ; implicit-def: $vgpr160
	s_and_saveexec_b32 s12, s0
	s_delay_alu instid0(SALU_CYCLE_1)
	s_xor_b32 s0, exec_lo, s12
; %bb.1376:                             ;   in Loop: Header=BB407_712 Depth=1
	v_bfe_u32 v160, v9, 16, 1
	s_delay_alu instid0(VALU_DEP_1)
	v_add3_u32 v160, v9, v160, 0x7fff
                                        ; implicit-def: $vgpr9
; %bb.1377:                             ;   in Loop: Header=BB407_712 Depth=1
	s_and_not1_saveexec_b32 s12, s0
; %bb.1378:                             ;   in Loop: Header=BB407_712 Depth=1
	v_and_b32_e32 v160, 0xffff, v9
	v_or_b32_e32 v161, 0x10000, v9
	s_delay_alu instid0(VALU_DEP_2) | instskip(NEXT) | instid1(VALU_DEP_1)
	v_cmp_eq_u32_e64 s0, 0, v160
	v_cndmask_b32_e64 v160, v161, v9, s0
; %bb.1379:                             ;   in Loop: Header=BB407_712 Depth=1
	s_or_b32 exec_lo, exec_lo, s12
	v_lshlrev_b32_e32 v7, 16, v7
                                        ; implicit-def: $vgpr161
	s_delay_alu instid0(VALU_DEP_1) | instskip(NEXT) | instid1(VALU_DEP_1)
	v_mul_f32_e32 v7, v81, v7
	v_and_b32_e32 v9, 0x7f800000, v7
	s_delay_alu instid0(VALU_DEP_1) | instskip(NEXT) | instid1(VALU_DEP_1)
	v_cmp_ne_u32_e64 s0, 0x7f800000, v9
	s_and_saveexec_b32 s12, s0
	s_delay_alu instid0(SALU_CYCLE_1)
	s_xor_b32 s0, exec_lo, s12
; %bb.1380:                             ;   in Loop: Header=BB407_712 Depth=1
	v_bfe_u32 v9, v7, 16, 1
	s_delay_alu instid0(VALU_DEP_1)
	v_add3_u32 v161, v7, v9, 0x7fff
                                        ; implicit-def: $vgpr7
; %bb.1381:                             ;   in Loop: Header=BB407_712 Depth=1
	s_and_not1_saveexec_b32 s12, s0
; %bb.1382:                             ;   in Loop: Header=BB407_712 Depth=1
	v_and_b32_e32 v9, 0xffff, v7
	v_or_b32_e32 v161, 0x10000, v7
	s_delay_alu instid0(VALU_DEP_2) | instskip(NEXT) | instid1(VALU_DEP_1)
	v_cmp_eq_u32_e64 s0, 0, v9
	v_cndmask_b32_e64 v161, v161, v7, s0
; %bb.1383:                             ;   in Loop: Header=BB407_712 Depth=1
	s_or_b32 exec_lo, exec_lo, s12
	v_lshlrev_b32_e32 v6, 16, v6
                                        ; implicit-def: $vgpr162
	s_delay_alu instid0(VALU_DEP_1) | instskip(NEXT) | instid1(VALU_DEP_1)
	v_mul_f32_e32 v6, v98, v6
	v_and_b32_e32 v7, 0x7f800000, v6
	s_delay_alu instid0(VALU_DEP_1) | instskip(NEXT) | instid1(VALU_DEP_1)
	v_cmp_ne_u32_e64 s0, 0x7f800000, v7
	s_and_saveexec_b32 s12, s0
	s_delay_alu instid0(SALU_CYCLE_1)
	s_xor_b32 s0, exec_lo, s12
; %bb.1384:                             ;   in Loop: Header=BB407_712 Depth=1
	v_bfe_u32 v7, v6, 16, 1
	s_delay_alu instid0(VALU_DEP_1)
	v_add3_u32 v162, v6, v7, 0x7fff
                                        ; implicit-def: $vgpr6
; %bb.1385:                             ;   in Loop: Header=BB407_712 Depth=1
	s_and_not1_saveexec_b32 s12, s0
; %bb.1386:                             ;   in Loop: Header=BB407_712 Depth=1
	v_and_b32_e32 v7, 0xffff, v6
	v_or_b32_e32 v9, 0x10000, v6
	s_delay_alu instid0(VALU_DEP_2) | instskip(NEXT) | instid1(VALU_DEP_1)
	v_cmp_eq_u32_e64 s0, 0, v7
	v_cndmask_b32_e64 v162, v9, v6, s0
; %bb.1387:                             ;   in Loop: Header=BB407_712 Depth=1
	s_or_b32 exec_lo, exec_lo, s12
	v_lshlrev_b32_e32 v3, 16, v3
                                        ; implicit-def: $vgpr163
	s_delay_alu instid0(VALU_DEP_1) | instskip(NEXT) | instid1(VALU_DEP_1)
	v_mul_f32_e32 v3, v99, v3
	v_and_b32_e32 v6, 0x7f800000, v3
	s_delay_alu instid0(VALU_DEP_1) | instskip(NEXT) | instid1(VALU_DEP_1)
	v_cmp_ne_u32_e64 s0, 0x7f800000, v6
	s_and_saveexec_b32 s12, s0
	s_delay_alu instid0(SALU_CYCLE_1)
	s_xor_b32 s0, exec_lo, s12
; %bb.1388:                             ;   in Loop: Header=BB407_712 Depth=1
	v_bfe_u32 v6, v3, 16, 1
	s_delay_alu instid0(VALU_DEP_1)
	v_add3_u32 v163, v3, v6, 0x7fff
                                        ; implicit-def: $vgpr3
; %bb.1389:                             ;   in Loop: Header=BB407_712 Depth=1
	s_and_not1_saveexec_b32 s12, s0
; %bb.1390:                             ;   in Loop: Header=BB407_712 Depth=1
	v_and_b32_e32 v6, 0xffff, v3
	v_or_b32_e32 v7, 0x10000, v3
	s_delay_alu instid0(VALU_DEP_2) | instskip(NEXT) | instid1(VALU_DEP_1)
	v_cmp_eq_u32_e64 s0, 0, v6
	v_cndmask_b32_e64 v163, v7, v3, s0
; %bb.1391:                             ;   in Loop: Header=BB407_712 Depth=1
	s_or_b32 exec_lo, exec_lo, s12
	v_lshlrev_b32_e32 v2, 16, v2
                                        ; implicit-def: $vgpr164
	s_delay_alu instid0(VALU_DEP_1) | instskip(NEXT) | instid1(VALU_DEP_1)
	v_mul_f32_e32 v2, v100, v2
	v_and_b32_e32 v3, 0x7f800000, v2
	s_delay_alu instid0(VALU_DEP_1) | instskip(NEXT) | instid1(VALU_DEP_1)
	v_cmp_ne_u32_e64 s0, 0x7f800000, v3
	s_and_saveexec_b32 s12, s0
	s_delay_alu instid0(SALU_CYCLE_1)
	s_xor_b32 s0, exec_lo, s12
; %bb.1392:                             ;   in Loop: Header=BB407_712 Depth=1
	v_bfe_u32 v3, v2, 16, 1
	s_delay_alu instid0(VALU_DEP_1)
	v_add3_u32 v164, v2, v3, 0x7fff
                                        ; implicit-def: $vgpr2
; %bb.1393:                             ;   in Loop: Header=BB407_712 Depth=1
	s_and_not1_saveexec_b32 s12, s0
; %bb.1394:                             ;   in Loop: Header=BB407_712 Depth=1
	v_and_b32_e32 v3, 0xffff, v2
	v_or_b32_e32 v6, 0x10000, v2
	s_delay_alu instid0(VALU_DEP_2) | instskip(NEXT) | instid1(VALU_DEP_1)
	v_cmp_eq_u32_e64 s0, 0, v3
	v_cndmask_b32_e64 v164, v6, v2, s0
; %bb.1395:                             ;   in Loop: Header=BB407_712 Depth=1
	s_or_b32 exec_lo, exec_lo, s12
	flat_load_b64 v[2:3], v[0:1] offset:1280
	s_mov_b32 s12, exec_lo
	s_waitcnt vmcnt(0) lgkmcnt(0)
	v_dual_mov_b32 v6, 0 :: v_dual_and_b32 v7, 0xff, v2
	s_delay_alu instid0(VALU_DEP_1)
	v_cmpx_ne_u16_e32 0, v7
	s_cbranch_execz .LBB407_1403
; %bb.1396:                             ;   in Loop: Header=BB407_712 Depth=1
	v_bfrev_b32_e32 v6, 1
	s_mov_b32 s13, exec_lo
	v_cmpx_ne_u16_e32 0x80, v7
	s_cbranch_execz .LBB407_1402
; %bb.1397:                             ;   in Loop: Header=BB407_712 Depth=1
	v_and_b32_e32 v7, 0x7f, v2
	v_mov_b32_e32 v6, 0x7f800001
	s_mov_b32 s15, exec_lo
	s_delay_alu instid0(VALU_DEP_2)
	v_cmpx_ne_u32_e32 0x7f, v7
	s_cbranch_execz .LBB407_1401
; %bb.1398:                             ;   in Loop: Header=BB407_712 Depth=1
	v_lshrrev_b32_e32 v9, 3, v7
	v_cmp_gt_u32_e64 s0, 8, v7
	v_dual_mov_b32 v7, v3 :: v_dual_mov_b32 v6, v2
	s_delay_alu instid0(VALU_DEP_2)
	s_and_saveexec_b32 s17, s0
; %bb.1399:                             ;   in Loop: Header=BB407_712 Depth=1
	v_and_b32_e32 v6, 7, v2
	s_delay_alu instid0(VALU_DEP_1) | instskip(NEXT) | instid1(VALU_DEP_1)
	v_clz_i32_u32_e32 v6, v6
	v_min_u32_e32 v9, 32, v6
	s_delay_alu instid0(VALU_DEP_1) | instskip(SKIP_1) | instid1(VALU_DEP_2)
	v_subrev_nc_u32_e32 v6, 28, v9
	v_sub_nc_u32_e32 v9, 29, v9
	v_lshlrev_b64 v[6:7], v6, v[2:3]
; %bb.1400:                             ;   in Loop: Header=BB407_712 Depth=1
	s_or_b32 exec_lo, exec_lo, s17
	s_delay_alu instid0(VALU_DEP_1) | instskip(SKIP_2) | instid1(VALU_DEP_3)
	v_lshlrev_b32_e32 v6, 20, v6
	v_lshlrev_b32_e32 v7, 24, v2
	v_lshl_add_u32 v9, v9, 23, 0x3c000000
	v_and_b32_e32 v6, 0x700000, v6
	s_delay_alu instid0(VALU_DEP_3) | instskip(NEXT) | instid1(VALU_DEP_1)
	v_and_b32_e32 v7, 0x80000000, v7
	v_or3_b32 v6, v6, v7, v9
.LBB407_1401:                           ;   in Loop: Header=BB407_712 Depth=1
	s_or_b32 exec_lo, exec_lo, s15
.LBB407_1402:                           ;   in Loop: Header=BB407_712 Depth=1
	s_delay_alu instid0(SALU_CYCLE_1)
	s_or_b32 exec_lo, exec_lo, s13
.LBB407_1403:                           ;   in Loop: Header=BB407_712 Depth=1
	s_delay_alu instid0(SALU_CYCLE_1) | instskip(NEXT) | instid1(VALU_DEP_1)
	s_or_b32 exec_lo, exec_lo, s12
	v_mul_f32_e32 v6, v8, v6
                                        ; implicit-def: $vgpr165
	s_delay_alu instid0(VALU_DEP_1) | instskip(NEXT) | instid1(VALU_DEP_1)
	v_and_b32_e32 v7, 0x7f800000, v6
	v_cmp_ne_u32_e64 s0, 0x7f800000, v7
	s_delay_alu instid0(VALU_DEP_1) | instskip(NEXT) | instid1(SALU_CYCLE_1)
	s_and_saveexec_b32 s12, s0
	s_xor_b32 s0, exec_lo, s12
; %bb.1404:                             ;   in Loop: Header=BB407_712 Depth=1
	v_bfe_u32 v7, v6, 16, 1
	s_delay_alu instid0(VALU_DEP_1)
	v_add3_u32 v165, v6, v7, 0x7fff
                                        ; implicit-def: $vgpr6
; %bb.1405:                             ;   in Loop: Header=BB407_712 Depth=1
	s_and_not1_saveexec_b32 s12, s0
; %bb.1406:                             ;   in Loop: Header=BB407_712 Depth=1
	v_and_b32_e32 v7, 0xffff, v6
	v_or_b32_e32 v9, 0x10000, v6
	s_delay_alu instid0(VALU_DEP_2) | instskip(NEXT) | instid1(VALU_DEP_1)
	v_cmp_eq_u32_e64 s0, 0, v7
	v_cndmask_b32_e64 v165, v9, v6, s0
; %bb.1407:                             ;   in Loop: Header=BB407_712 Depth=1
	s_or_b32 exec_lo, exec_lo, s12
	v_lshrrev_b16 v7, 8, v2
	v_mov_b32_e32 v6, 0
	s_mov_b32 s12, exec_lo
	s_delay_alu instid0(VALU_DEP_2)
	v_cmpx_ne_u16_e32 0, v7
	s_cbranch_execz .LBB407_1415
; %bb.1408:                             ;   in Loop: Header=BB407_712 Depth=1
	v_bfrev_b32_e32 v6, 1
	s_mov_b32 s13, exec_lo
	v_cmpx_ne_u16_e32 0x80, v7
	s_cbranch_execz .LBB407_1414
; %bb.1409:                             ;   in Loop: Header=BB407_712 Depth=1
	v_and_b32_e32 v9, 0xffff, v7
	v_mov_b32_e32 v6, 0x7f800001
	s_mov_b32 s15, exec_lo
	s_delay_alu instid0(VALU_DEP_2) | instskip(NEXT) | instid1(VALU_DEP_1)
	v_and_b32_e32 v7, 0x7f, v9
	v_cmpx_ne_u32_e32 0x7f, v7
	s_cbranch_execz .LBB407_1413
; %bb.1410:                             ;   in Loop: Header=BB407_712 Depth=1
	v_and_b32_e32 v9, 7, v9
	v_lshrrev_b32_e32 v6, 3, v7
	s_mov_b32 s17, exec_lo
	v_cmpx_gt_u32_e32 8, v7
; %bb.1411:                             ;   in Loop: Header=BB407_712 Depth=1
	s_delay_alu instid0(VALU_DEP_3) | instskip(NEXT) | instid1(VALU_DEP_1)
	v_clz_i32_u32_e32 v6, v9
	v_min_u32_e32 v6, 32, v6
	s_delay_alu instid0(VALU_DEP_1) | instskip(SKIP_1) | instid1(VALU_DEP_2)
	v_subrev_nc_u32_e32 v7, 28, v6
	v_sub_nc_u32_e32 v6, 29, v6
	v_lshlrev_b64 v[166:167], v7, v[9:10]
	s_delay_alu instid0(VALU_DEP_1)
	v_and_b32_e32 v9, 7, v166
; %bb.1412:                             ;   in Loop: Header=BB407_712 Depth=1
	s_or_b32 exec_lo, exec_lo, s17
	v_lshlrev_b32_e32 v7, 16, v2
	s_delay_alu instid0(VALU_DEP_2) | instskip(SKIP_1) | instid1(VALU_DEP_3)
	v_lshlrev_b32_e32 v9, 20, v9
	v_lshl_add_u32 v6, v6, 23, 0x3c000000
	v_and_b32_e32 v7, 0x80000000, v7
	s_delay_alu instid0(VALU_DEP_1)
	v_or3_b32 v6, v9, v7, v6
.LBB407_1413:                           ;   in Loop: Header=BB407_712 Depth=1
	s_or_b32 exec_lo, exec_lo, s15
.LBB407_1414:                           ;   in Loop: Header=BB407_712 Depth=1
	s_delay_alu instid0(SALU_CYCLE_1)
	s_or_b32 exec_lo, exec_lo, s13
.LBB407_1415:                           ;   in Loop: Header=BB407_712 Depth=1
	s_delay_alu instid0(SALU_CYCLE_1) | instskip(NEXT) | instid1(VALU_DEP_1)
	s_or_b32 exec_lo, exec_lo, s12
	v_mul_f32_e32 v6, v8, v6
                                        ; implicit-def: $vgpr166
	s_delay_alu instid0(VALU_DEP_1) | instskip(NEXT) | instid1(VALU_DEP_1)
	v_and_b32_e32 v7, 0x7f800000, v6
	v_cmp_ne_u32_e64 s0, 0x7f800000, v7
	s_delay_alu instid0(VALU_DEP_1) | instskip(NEXT) | instid1(SALU_CYCLE_1)
	s_and_saveexec_b32 s12, s0
	s_xor_b32 s0, exec_lo, s12
; %bb.1416:                             ;   in Loop: Header=BB407_712 Depth=1
	v_bfe_u32 v7, v6, 16, 1
	s_delay_alu instid0(VALU_DEP_1)
	v_add3_u32 v166, v6, v7, 0x7fff
                                        ; implicit-def: $vgpr6
; %bb.1417:                             ;   in Loop: Header=BB407_712 Depth=1
	s_and_not1_saveexec_b32 s12, s0
; %bb.1418:                             ;   in Loop: Header=BB407_712 Depth=1
	v_and_b32_e32 v7, 0xffff, v6
	v_or_b32_e32 v9, 0x10000, v6
	s_delay_alu instid0(VALU_DEP_2) | instskip(NEXT) | instid1(VALU_DEP_1)
	v_cmp_eq_u32_e64 s0, 0, v7
	v_cndmask_b32_e64 v166, v9, v6, s0
; %bb.1419:                             ;   in Loop: Header=BB407_712 Depth=1
	s_or_b32 exec_lo, exec_lo, s12
	v_lshrrev_b32_e32 v6, 16, v2
	v_mov_b32_e32 v7, 0
	s_mov_b32 s12, exec_lo
	s_delay_alu instid0(VALU_DEP_2) | instskip(NEXT) | instid1(VALU_DEP_1)
	v_and_b32_e32 v9, 0xff, v6
	v_cmpx_ne_u16_e32 0, v9
	s_cbranch_execz .LBB407_1427
; %bb.1420:                             ;   in Loop: Header=BB407_712 Depth=1
	v_bfrev_b32_e32 v7, 1
	s_mov_b32 s13, exec_lo
	v_cmpx_ne_u16_e32 0x80, v9
	s_cbranch_execz .LBB407_1426
; %bb.1421:                             ;   in Loop: Header=BB407_712 Depth=1
	v_bfe_u32 v167, v2, 16, 7
	v_mov_b32_e32 v7, 0x7f800001
	s_mov_b32 s15, exec_lo
	s_delay_alu instid0(VALU_DEP_2)
	v_cmpx_ne_u32_e32 0x7f, v167
	s_cbranch_execz .LBB407_1425
; %bb.1422:                             ;   in Loop: Header=BB407_712 Depth=1
	v_and_b32_e32 v9, 7, v6
	v_lshrrev_b32_e32 v7, 3, v167
	s_mov_b32 s17, exec_lo
	v_cmpx_gt_u32_e32 8, v167
; %bb.1423:                             ;   in Loop: Header=BB407_712 Depth=1
	s_delay_alu instid0(VALU_DEP_3) | instskip(NEXT) | instid1(VALU_DEP_1)
	v_clz_i32_u32_e32 v7, v9
	v_min_u32_e32 v7, 32, v7
	s_delay_alu instid0(VALU_DEP_1) | instskip(SKIP_1) | instid1(VALU_DEP_2)
	v_subrev_nc_u32_e32 v167, 28, v7
	v_sub_nc_u32_e32 v7, 29, v7
	v_lshlrev_b64 v[176:177], v167, v[9:10]
	s_delay_alu instid0(VALU_DEP_1)
	v_and_b32_e32 v9, 7, v176
; %bb.1424:                             ;   in Loop: Header=BB407_712 Depth=1
	s_or_b32 exec_lo, exec_lo, s17
	v_lshlrev_b32_e32 v6, 24, v6
	s_delay_alu instid0(VALU_DEP_2) | instskip(SKIP_1) | instid1(VALU_DEP_3)
	v_lshlrev_b32_e32 v9, 20, v9
	v_lshl_add_u32 v7, v7, 23, 0x3c000000
	v_and_b32_e32 v6, 0x80000000, v6
	s_delay_alu instid0(VALU_DEP_1)
	v_or3_b32 v7, v9, v6, v7
.LBB407_1425:                           ;   in Loop: Header=BB407_712 Depth=1
	s_or_b32 exec_lo, exec_lo, s15
.LBB407_1426:                           ;   in Loop: Header=BB407_712 Depth=1
	s_delay_alu instid0(SALU_CYCLE_1)
	s_or_b32 exec_lo, exec_lo, s13
.LBB407_1427:                           ;   in Loop: Header=BB407_712 Depth=1
	s_delay_alu instid0(SALU_CYCLE_1) | instskip(NEXT) | instid1(VALU_DEP_1)
	s_or_b32 exec_lo, exec_lo, s12
	v_mul_f32_e32 v6, v8, v7
                                        ; implicit-def: $vgpr167
	s_delay_alu instid0(VALU_DEP_1) | instskip(NEXT) | instid1(VALU_DEP_1)
	v_and_b32_e32 v7, 0x7f800000, v6
	v_cmp_ne_u32_e64 s0, 0x7f800000, v7
	s_delay_alu instid0(VALU_DEP_1) | instskip(NEXT) | instid1(SALU_CYCLE_1)
	s_and_saveexec_b32 s12, s0
	s_xor_b32 s0, exec_lo, s12
; %bb.1428:                             ;   in Loop: Header=BB407_712 Depth=1
	v_bfe_u32 v7, v6, 16, 1
	s_delay_alu instid0(VALU_DEP_1)
	v_add3_u32 v167, v6, v7, 0x7fff
                                        ; implicit-def: $vgpr6
; %bb.1429:                             ;   in Loop: Header=BB407_712 Depth=1
	s_and_not1_saveexec_b32 s12, s0
; %bb.1430:                             ;   in Loop: Header=BB407_712 Depth=1
	v_and_b32_e32 v7, 0xffff, v6
	v_or_b32_e32 v9, 0x10000, v6
	s_delay_alu instid0(VALU_DEP_2) | instskip(NEXT) | instid1(VALU_DEP_1)
	v_cmp_eq_u32_e64 s0, 0, v7
	v_cndmask_b32_e64 v167, v9, v6, s0
; %bb.1431:                             ;   in Loop: Header=BB407_712 Depth=1
	s_or_b32 exec_lo, exec_lo, s12
	v_mov_b32_e32 v7, 0
	s_mov_b32 s12, exec_lo
	v_cmpx_lt_u32_e32 0xffffff, v2
	s_cbranch_execz .LBB407_1439
; %bb.1432:                             ;   in Loop: Header=BB407_712 Depth=1
	v_lshrrev_b32_e32 v6, 24, v2
	v_bfrev_b32_e32 v7, 1
	s_mov_b32 s13, exec_lo
	s_delay_alu instid0(VALU_DEP_2)
	v_cmpx_ne_u32_e32 0x80, v6
	s_cbranch_execz .LBB407_1438
; %bb.1433:                             ;   in Loop: Header=BB407_712 Depth=1
	v_bfe_u32 v176, v2, 24, 7
	v_mov_b32_e32 v7, 0x7f800001
	s_mov_b32 s15, exec_lo
	s_delay_alu instid0(VALU_DEP_2)
	v_cmpx_ne_u32_e32 0x7f, v176
	s_cbranch_execz .LBB407_1437
; %bb.1434:                             ;   in Loop: Header=BB407_712 Depth=1
	v_and_b32_e32 v9, 7, v6
	v_lshrrev_b32_e32 v7, 3, v176
	s_mov_b32 s17, exec_lo
	v_cmpx_gt_u32_e32 8, v176
; %bb.1435:                             ;   in Loop: Header=BB407_712 Depth=1
	s_delay_alu instid0(VALU_DEP_3) | instskip(NEXT) | instid1(VALU_DEP_1)
	v_clz_i32_u32_e32 v7, v9
	v_min_u32_e32 v7, 32, v7
	s_delay_alu instid0(VALU_DEP_1) | instskip(SKIP_1) | instid1(VALU_DEP_2)
	v_subrev_nc_u32_e32 v176, 28, v7
	v_sub_nc_u32_e32 v7, 29, v7
	v_lshlrev_b64 v[176:177], v176, v[9:10]
	s_delay_alu instid0(VALU_DEP_1)
	v_and_b32_e32 v9, 7, v176
; %bb.1436:                             ;   in Loop: Header=BB407_712 Depth=1
	s_or_b32 exec_lo, exec_lo, s17
	v_lshlrev_b32_e32 v6, 24, v6
	s_delay_alu instid0(VALU_DEP_2) | instskip(SKIP_1) | instid1(VALU_DEP_3)
	v_lshlrev_b32_e32 v9, 20, v9
	v_lshl_add_u32 v7, v7, 23, 0x3c000000
	v_and_b32_e32 v6, 0x80000000, v6
	s_delay_alu instid0(VALU_DEP_1)
	v_or3_b32 v7, v9, v6, v7
.LBB407_1437:                           ;   in Loop: Header=BB407_712 Depth=1
	s_or_b32 exec_lo, exec_lo, s15
.LBB407_1438:                           ;   in Loop: Header=BB407_712 Depth=1
	s_delay_alu instid0(SALU_CYCLE_1)
	s_or_b32 exec_lo, exec_lo, s13
.LBB407_1439:                           ;   in Loop: Header=BB407_712 Depth=1
	s_delay_alu instid0(SALU_CYCLE_1) | instskip(NEXT) | instid1(VALU_DEP_1)
	s_or_b32 exec_lo, exec_lo, s12
	v_mul_f32_e32 v6, v8, v7
                                        ; implicit-def: $vgpr176
	s_delay_alu instid0(VALU_DEP_1) | instskip(NEXT) | instid1(VALU_DEP_1)
	v_and_b32_e32 v7, 0x7f800000, v6
	v_cmp_ne_u32_e64 s0, 0x7f800000, v7
	s_delay_alu instid0(VALU_DEP_1) | instskip(NEXT) | instid1(SALU_CYCLE_1)
	s_and_saveexec_b32 s12, s0
	s_xor_b32 s0, exec_lo, s12
; %bb.1440:                             ;   in Loop: Header=BB407_712 Depth=1
	v_bfe_u32 v7, v6, 16, 1
	s_delay_alu instid0(VALU_DEP_1)
	v_add3_u32 v176, v6, v7, 0x7fff
                                        ; implicit-def: $vgpr6
; %bb.1441:                             ;   in Loop: Header=BB407_712 Depth=1
	s_and_not1_saveexec_b32 s12, s0
; %bb.1442:                             ;   in Loop: Header=BB407_712 Depth=1
	v_and_b32_e32 v7, 0xffff, v6
	v_or_b32_e32 v9, 0x10000, v6
	s_delay_alu instid0(VALU_DEP_2) | instskip(NEXT) | instid1(VALU_DEP_1)
	v_cmp_eq_u32_e64 s0, 0, v7
	v_cndmask_b32_e64 v176, v9, v6, s0
; %bb.1443:                             ;   in Loop: Header=BB407_712 Depth=1
	s_or_b32 exec_lo, exec_lo, s12
	v_dual_mov_b32 v6, 0 :: v_dual_and_b32 v7, 0xff, v3
	v_mov_b32_e32 v9, v3
	s_mov_b32 s12, exec_lo
	s_delay_alu instid0(VALU_DEP_2)
	v_cmpx_ne_u16_e32 0, v7
	s_cbranch_execz .LBB407_1451
; %bb.1444:                             ;   in Loop: Header=BB407_712 Depth=1
	v_bfrev_b32_e32 v6, 1
	s_mov_b32 s13, exec_lo
	v_cmpx_ne_u16_e32 0x80, v7
	s_cbranch_execz .LBB407_1450
; %bb.1445:                             ;   in Loop: Header=BB407_712 Depth=1
	v_and_b32_e32 v7, 0x7f, v3
	v_mov_b32_e32 v6, 0x7f800001
	s_mov_b32 s15, exec_lo
	s_delay_alu instid0(VALU_DEP_2)
	v_cmpx_ne_u32_e32 0x7f, v7
	s_cbranch_execz .LBB407_1449
; %bb.1446:                             ;   in Loop: Header=BB407_712 Depth=1
	v_lshrrev_b32_e32 v177, 3, v7
	v_cmp_gt_u32_e64 s0, 8, v7
	v_dual_mov_b32 v6, v9 :: v_dual_mov_b32 v7, v10
	s_delay_alu instid0(VALU_DEP_2)
	s_and_saveexec_b32 s17, s0
; %bb.1447:                             ;   in Loop: Header=BB407_712 Depth=1
	v_and_b32_e32 v6, 7, v3
	s_delay_alu instid0(VALU_DEP_1) | instskip(NEXT) | instid1(VALU_DEP_1)
	v_clz_i32_u32_e32 v6, v6
	v_min_u32_e32 v177, 32, v6
	s_delay_alu instid0(VALU_DEP_1) | instskip(SKIP_1) | instid1(VALU_DEP_2)
	v_subrev_nc_u32_e32 v6, 28, v177
	v_sub_nc_u32_e32 v177, 29, v177
	v_lshlrev_b64 v[6:7], v6, v[9:10]
; %bb.1448:                             ;   in Loop: Header=BB407_712 Depth=1
	s_or_b32 exec_lo, exec_lo, s17
	s_delay_alu instid0(VALU_DEP_1) | instskip(SKIP_2) | instid1(VALU_DEP_3)
	v_lshlrev_b32_e32 v6, 20, v6
	v_lshlrev_b32_e32 v7, 24, v9
	v_lshl_add_u32 v177, v177, 23, 0x3c000000
	v_and_b32_e32 v6, 0x700000, v6
	s_delay_alu instid0(VALU_DEP_3) | instskip(NEXT) | instid1(VALU_DEP_1)
	v_and_b32_e32 v7, 0x80000000, v7
	v_or3_b32 v6, v6, v7, v177
.LBB407_1449:                           ;   in Loop: Header=BB407_712 Depth=1
	s_or_b32 exec_lo, exec_lo, s15
.LBB407_1450:                           ;   in Loop: Header=BB407_712 Depth=1
	s_delay_alu instid0(SALU_CYCLE_1)
	s_or_b32 exec_lo, exec_lo, s13
.LBB407_1451:                           ;   in Loop: Header=BB407_712 Depth=1
	s_delay_alu instid0(SALU_CYCLE_1) | instskip(NEXT) | instid1(VALU_DEP_1)
	s_or_b32 exec_lo, exec_lo, s12
	v_mul_f32_e32 v6, v8, v6
                                        ; implicit-def: $vgpr177
	s_delay_alu instid0(VALU_DEP_1) | instskip(NEXT) | instid1(VALU_DEP_1)
	v_and_b32_e32 v7, 0x7f800000, v6
	v_cmp_ne_u32_e64 s0, 0x7f800000, v7
	s_delay_alu instid0(VALU_DEP_1) | instskip(NEXT) | instid1(SALU_CYCLE_1)
	s_and_saveexec_b32 s12, s0
	s_xor_b32 s0, exec_lo, s12
; %bb.1452:                             ;   in Loop: Header=BB407_712 Depth=1
	v_bfe_u32 v7, v6, 16, 1
	s_delay_alu instid0(VALU_DEP_1)
	v_add3_u32 v177, v6, v7, 0x7fff
                                        ; implicit-def: $vgpr6
; %bb.1453:                             ;   in Loop: Header=BB407_712 Depth=1
	s_and_not1_saveexec_b32 s12, s0
; %bb.1454:                             ;   in Loop: Header=BB407_712 Depth=1
	v_and_b32_e32 v7, 0xffff, v6
	v_or_b32_e32 v177, 0x10000, v6
	s_delay_alu instid0(VALU_DEP_2) | instskip(NEXT) | instid1(VALU_DEP_1)
	v_cmp_eq_u32_e64 s0, 0, v7
	v_cndmask_b32_e64 v177, v177, v6, s0
; %bb.1455:                             ;   in Loop: Header=BB407_712 Depth=1
	s_or_b32 exec_lo, exec_lo, s12
	v_lshrrev_b16 v7, 8, v9
	v_mov_b32_e32 v6, 0
	s_mov_b32 s12, exec_lo
	s_delay_alu instid0(VALU_DEP_2)
	v_cmpx_ne_u16_e32 0, v7
	s_cbranch_execz .LBB407_1463
; %bb.1456:                             ;   in Loop: Header=BB407_712 Depth=1
	v_bfrev_b32_e32 v6, 1
	s_mov_b32 s13, exec_lo
	v_cmpx_ne_u16_e32 0x80, v7
	s_cbranch_execz .LBB407_1462
; %bb.1457:                             ;   in Loop: Header=BB407_712 Depth=1
	v_and_b32_e32 v7, 0xffff, v7
	v_mov_b32_e32 v6, 0x7f800001
	s_mov_b32 s15, exec_lo
	s_delay_alu instid0(VALU_DEP_2) | instskip(NEXT) | instid1(VALU_DEP_1)
	v_and_b32_e32 v179, 0x7f, v7
	v_cmpx_ne_u32_e32 0x7f, v179
	s_cbranch_execz .LBB407_1461
; %bb.1458:                             ;   in Loop: Header=BB407_712 Depth=1
	v_dual_mov_b32 v7, v10 :: v_dual_and_b32 v6, 7, v7
	v_lshrrev_b32_e32 v178, 3, v179
	s_mov_b32 s17, exec_lo
	v_cmpx_gt_u32_e32 8, v179
; %bb.1459:                             ;   in Loop: Header=BB407_712 Depth=1
	s_delay_alu instid0(VALU_DEP_3) | instskip(NEXT) | instid1(VALU_DEP_1)
	v_clz_i32_u32_e32 v178, v6
	v_min_u32_e32 v178, 32, v178
	s_delay_alu instid0(VALU_DEP_1) | instskip(SKIP_1) | instid1(VALU_DEP_2)
	v_subrev_nc_u32_e32 v179, 28, v178
	v_sub_nc_u32_e32 v178, 29, v178
	v_lshlrev_b64 v[6:7], v179, v[6:7]
	s_delay_alu instid0(VALU_DEP_1)
	v_and_b32_e32 v6, 7, v6
; %bb.1460:                             ;   in Loop: Header=BB407_712 Depth=1
	s_or_b32 exec_lo, exec_lo, s17
	v_lshlrev_b32_e32 v7, 16, v9
	s_delay_alu instid0(VALU_DEP_2) | instskip(SKIP_1) | instid1(VALU_DEP_3)
	v_lshlrev_b32_e32 v6, 20, v6
	v_lshl_add_u32 v9, v178, 23, 0x3c000000
	v_and_b32_e32 v7, 0x80000000, v7
	s_delay_alu instid0(VALU_DEP_1)
	v_or3_b32 v6, v6, v7, v9
.LBB407_1461:                           ;   in Loop: Header=BB407_712 Depth=1
	s_or_b32 exec_lo, exec_lo, s15
.LBB407_1462:                           ;   in Loop: Header=BB407_712 Depth=1
	s_delay_alu instid0(SALU_CYCLE_1)
	s_or_b32 exec_lo, exec_lo, s13
.LBB407_1463:                           ;   in Loop: Header=BB407_712 Depth=1
	s_delay_alu instid0(SALU_CYCLE_1) | instskip(NEXT) | instid1(VALU_DEP_1)
	s_or_b32 exec_lo, exec_lo, s12
	v_mul_f32_e32 v7, v8, v6
	s_delay_alu instid0(VALU_DEP_1) | instskip(NEXT) | instid1(VALU_DEP_1)
	v_and_b32_e32 v6, 0x7f800000, v7
	v_cmp_ne_u32_e64 s0, 0x7f800000, v6
                                        ; implicit-def: $vgpr6
	s_delay_alu instid0(VALU_DEP_1) | instskip(NEXT) | instid1(SALU_CYCLE_1)
	s_and_saveexec_b32 s12, s0
	s_xor_b32 s0, exec_lo, s12
; %bb.1464:                             ;   in Loop: Header=BB407_712 Depth=1
	v_bfe_u32 v6, v7, 16, 1
	s_delay_alu instid0(VALU_DEP_1)
	v_add3_u32 v6, v7, v6, 0x7fff
                                        ; implicit-def: $vgpr7
; %bb.1465:                             ;   in Loop: Header=BB407_712 Depth=1
	s_and_not1_saveexec_b32 s12, s0
; %bb.1466:                             ;   in Loop: Header=BB407_712 Depth=1
	v_and_b32_e32 v6, 0xffff, v7
	v_or_b32_e32 v9, 0x10000, v7
	s_delay_alu instid0(VALU_DEP_2) | instskip(NEXT) | instid1(VALU_DEP_1)
	v_cmp_eq_u32_e64 s0, 0, v6
	v_cndmask_b32_e64 v6, v9, v7, s0
; %bb.1467:                             ;   in Loop: Header=BB407_712 Depth=1
	s_or_b32 exec_lo, exec_lo, s12
	v_lshrrev_b32_e32 v7, 16, v3
	s_mov_b32 s12, exec_lo
	s_delay_alu instid0(VALU_DEP_1) | instskip(NEXT) | instid1(VALU_DEP_1)
	v_dual_mov_b32 v9, 0 :: v_dual_and_b32 v178, 0xff, v7
	v_cmpx_ne_u16_e64 0, v178
	s_cbranch_execz .LBB407_1475
; %bb.1468:                             ;   in Loop: Header=BB407_712 Depth=1
	v_bfrev_b32_e32 v9, 1
	s_mov_b32 s13, exec_lo
	v_cmpx_ne_u16_e64 0x80, v178
	s_cbranch_execz .LBB407_1474
; %bb.1469:                             ;   in Loop: Header=BB407_712 Depth=1
	v_bfe_u32 v179, v3, 16, 7
	v_mov_b32_e32 v9, 0x7f800001
	s_mov_b32 s15, exec_lo
	s_delay_alu instid0(VALU_DEP_2)
	v_cmpx_ne_u32_e32 0x7f, v179
	s_cbranch_execz .LBB407_1473
; %bb.1470:                             ;   in Loop: Header=BB407_712 Depth=1
	v_and_b32_e32 v9, 7, v7
	v_lshrrev_b32_e32 v178, 3, v179
	s_mov_b32 s17, exec_lo
	v_cmpx_gt_u32_e32 8, v179
; %bb.1471:                             ;   in Loop: Header=BB407_712 Depth=1
	s_delay_alu instid0(VALU_DEP_3) | instskip(NEXT) | instid1(VALU_DEP_1)
	v_clz_i32_u32_e32 v178, v9
	v_min_u32_e32 v178, 32, v178
	s_delay_alu instid0(VALU_DEP_1) | instskip(SKIP_1) | instid1(VALU_DEP_2)
	v_subrev_nc_u32_e32 v179, 28, v178
	v_sub_nc_u32_e32 v178, 29, v178
	v_lshlrev_b64 v[179:180], v179, v[9:10]
	s_delay_alu instid0(VALU_DEP_1)
	v_and_b32_e32 v9, 7, v179
; %bb.1472:                             ;   in Loop: Header=BB407_712 Depth=1
	s_or_b32 exec_lo, exec_lo, s17
	v_lshlrev_b32_e32 v7, 24, v7
	s_delay_alu instid0(VALU_DEP_2) | instskip(SKIP_1) | instid1(VALU_DEP_3)
	v_lshlrev_b32_e32 v9, 20, v9
	v_lshl_add_u32 v178, v178, 23, 0x3c000000
	v_and_b32_e32 v7, 0x80000000, v7
	s_delay_alu instid0(VALU_DEP_1)
	v_or3_b32 v9, v9, v7, v178
.LBB407_1473:                           ;   in Loop: Header=BB407_712 Depth=1
	s_or_b32 exec_lo, exec_lo, s15
.LBB407_1474:                           ;   in Loop: Header=BB407_712 Depth=1
	s_delay_alu instid0(SALU_CYCLE_1)
	s_or_b32 exec_lo, exec_lo, s13
.LBB407_1475:                           ;   in Loop: Header=BB407_712 Depth=1
	s_delay_alu instid0(SALU_CYCLE_1) | instskip(NEXT) | instid1(VALU_DEP_1)
	s_or_b32 exec_lo, exec_lo, s12
	v_mul_f32_e32 v9, v8, v9
	s_delay_alu instid0(VALU_DEP_1) | instskip(NEXT) | instid1(VALU_DEP_1)
	v_and_b32_e32 v7, 0x7f800000, v9
	v_cmp_ne_u32_e64 s0, 0x7f800000, v7
                                        ; implicit-def: $vgpr7
	s_delay_alu instid0(VALU_DEP_1) | instskip(NEXT) | instid1(SALU_CYCLE_1)
	s_and_saveexec_b32 s12, s0
	s_xor_b32 s0, exec_lo, s12
; %bb.1476:                             ;   in Loop: Header=BB407_712 Depth=1
	v_bfe_u32 v7, v9, 16, 1
	s_delay_alu instid0(VALU_DEP_1)
	v_add3_u32 v7, v9, v7, 0x7fff
                                        ; implicit-def: $vgpr9
; %bb.1477:                             ;   in Loop: Header=BB407_712 Depth=1
	s_and_not1_saveexec_b32 s12, s0
; %bb.1478:                             ;   in Loop: Header=BB407_712 Depth=1
	v_and_b32_e32 v7, 0xffff, v9
	v_or_b32_e32 v178, 0x10000, v9
	s_delay_alu instid0(VALU_DEP_2) | instskip(NEXT) | instid1(VALU_DEP_1)
	v_cmp_eq_u32_e64 s0, 0, v7
	v_cndmask_b32_e64 v7, v178, v9, s0
; %bb.1479:                             ;   in Loop: Header=BB407_712 Depth=1
	s_or_b32 exec_lo, exec_lo, s12
	v_mov_b32_e32 v9, 0
	s_mov_b32 s12, exec_lo
	v_cmpx_lt_u64_e64 s[8:9], v[2:3]
	s_cbranch_execz .LBB407_1487
; %bb.1480:                             ;   in Loop: Header=BB407_712 Depth=1
	v_lshrrev_b32_e32 v2, 24, v3
	v_bfrev_b32_e32 v9, 1
	s_mov_b32 s13, exec_lo
	s_delay_alu instid0(VALU_DEP_2)
	v_cmpx_ne_u32_e32 0x80, v2
	s_cbranch_execz .LBB407_1486
; %bb.1481:                             ;   in Loop: Header=BB407_712 Depth=1
	v_bfe_u32 v178, v3, 24, 7
	v_mov_b32_e32 v9, 0x7f800001
	s_mov_b32 s15, exec_lo
	s_delay_alu instid0(VALU_DEP_2)
	v_cmpx_ne_u32_e32 0x7f, v178
	s_cbranch_execz .LBB407_1485
; %bb.1482:                             ;   in Loop: Header=BB407_712 Depth=1
	v_and_b32_e32 v9, 7, v2
	v_lshrrev_b32_e32 v3, 3, v178
	s_mov_b32 s17, exec_lo
	v_cmpx_gt_u32_e32 8, v178
; %bb.1483:                             ;   in Loop: Header=BB407_712 Depth=1
	s_delay_alu instid0(VALU_DEP_3) | instskip(NEXT) | instid1(VALU_DEP_1)
	v_clz_i32_u32_e32 v3, v9
	v_min_u32_e32 v3, 32, v3
	s_delay_alu instid0(VALU_DEP_1) | instskip(SKIP_1) | instid1(VALU_DEP_2)
	v_subrev_nc_u32_e32 v178, 28, v3
	v_sub_nc_u32_e32 v3, 29, v3
	v_lshlrev_b64 v[178:179], v178, v[9:10]
	s_delay_alu instid0(VALU_DEP_1)
	v_and_b32_e32 v9, 7, v178
; %bb.1484:                             ;   in Loop: Header=BB407_712 Depth=1
	s_or_b32 exec_lo, exec_lo, s17
	v_lshlrev_b32_e32 v2, 24, v2
	s_delay_alu instid0(VALU_DEP_2) | instskip(SKIP_1) | instid1(VALU_DEP_3)
	v_lshlrev_b32_e32 v9, 20, v9
	v_lshl_add_u32 v3, v3, 23, 0x3c000000
	v_and_b32_e32 v2, 0x80000000, v2
	s_delay_alu instid0(VALU_DEP_1)
	v_or3_b32 v9, v9, v2, v3
.LBB407_1485:                           ;   in Loop: Header=BB407_712 Depth=1
	s_or_b32 exec_lo, exec_lo, s15
.LBB407_1486:                           ;   in Loop: Header=BB407_712 Depth=1
	s_delay_alu instid0(SALU_CYCLE_1)
	s_or_b32 exec_lo, exec_lo, s13
.LBB407_1487:                           ;   in Loop: Header=BB407_712 Depth=1
	s_delay_alu instid0(SALU_CYCLE_1) | instskip(NEXT) | instid1(VALU_DEP_1)
	s_or_b32 exec_lo, exec_lo, s12
	v_mul_f32_e32 v3, v8, v9
	s_delay_alu instid0(VALU_DEP_1) | instskip(NEXT) | instid1(VALU_DEP_1)
	v_and_b32_e32 v2, 0x7f800000, v3
	v_cmp_ne_u32_e64 s0, 0x7f800000, v2
                                        ; implicit-def: $vgpr2
	s_delay_alu instid0(VALU_DEP_1) | instskip(NEXT) | instid1(SALU_CYCLE_1)
	s_and_saveexec_b32 s12, s0
	s_xor_b32 s0, exec_lo, s12
; %bb.1488:                             ;   in Loop: Header=BB407_712 Depth=1
	v_bfe_u32 v2, v3, 16, 1
	s_delay_alu instid0(VALU_DEP_1)
	v_add3_u32 v2, v3, v2, 0x7fff
                                        ; implicit-def: $vgpr3
; %bb.1489:                             ;   in Loop: Header=BB407_712 Depth=1
	s_and_not1_saveexec_b32 s12, s0
; %bb.1490:                             ;   in Loop: Header=BB407_712 Depth=1
	v_and_b32_e32 v2, 0xffff, v3
	v_or_b32_e32 v9, 0x10000, v3
	s_delay_alu instid0(VALU_DEP_2) | instskip(NEXT) | instid1(VALU_DEP_1)
	v_cmp_eq_u32_e64 s0, 0, v2
	v_cndmask_b32_e64 v2, v9, v3, s0
; %bb.1491:                             ;   in Loop: Header=BB407_712 Depth=1
	s_or_b32 exec_lo, exec_lo, s12
	v_lshrrev_b32_e32 v9, 16, v6
	v_lshrrev_b32_e32 v177, 16, v177
	;; [unrolled: 1-line block ×8, first 2 shown]
	s_and_saveexec_b32 s12, vcc_lo
	s_cbranch_execz .LBB407_1493
; %bb.1492:                             ;   in Loop: Header=BB407_712 Depth=1
	v_cmp_lt_i32_e64 s0, v52, v83
	s_delay_alu instid0(VALU_DEP_1) | instskip(SKIP_1) | instid1(VALU_DEP_1)
	v_cndmask_b32_e64 v6, 0, v6, s0
	v_cmp_lt_i32_e64 s0, v68, v83
	v_cndmask_b32_e64 v166, 0, v166, s0
	v_cmp_lt_i32_e64 s0, v67, v83
	s_delay_alu instid0(VALU_DEP_1) | instskip(SKIP_1) | instid1(VALU_DEP_1)
	v_cndmask_b32_e64 v167, 0, v167, s0
	v_cmp_lt_i32_e64 s0, v66, v83
	v_cndmask_b32_e64 v176, 0, v176, s0
	;; [unrolled: 5-line block ×4, first 2 shown]
.LBB407_1493:                           ;   in Loop: Header=BB407_712 Depth=1
	s_or_b32 exec_lo, exec_lo, s12
	v_lshlrev_b32_e32 v6, 16, v6
	s_delay_alu instid0(VALU_DEP_1) | instskip(NEXT) | instid1(VALU_DEP_1)
	v_mul_f32_e32 v7, v69, v6
	v_and_b32_e32 v6, 0x7f800000, v7
	s_delay_alu instid0(VALU_DEP_1) | instskip(NEXT) | instid1(VALU_DEP_1)
	v_cmp_ne_u32_e64 s0, 0x7f800000, v6
                                        ; implicit-def: $vgpr6
	s_and_saveexec_b32 s12, s0
	s_delay_alu instid0(SALU_CYCLE_1)
	s_xor_b32 s0, exec_lo, s12
; %bb.1494:                             ;   in Loop: Header=BB407_712 Depth=1
	v_bfe_u32 v6, v7, 16, 1
	s_delay_alu instid0(VALU_DEP_1)
	v_add3_u32 v6, v7, v6, 0x7fff
                                        ; implicit-def: $vgpr7
; %bb.1495:                             ;   in Loop: Header=BB407_712 Depth=1
	s_and_not1_saveexec_b32 s12, s0
; %bb.1496:                             ;   in Loop: Header=BB407_712 Depth=1
	v_and_b32_e32 v6, 0xffff, v7
	v_or_b32_e32 v165, 0x10000, v7
	s_delay_alu instid0(VALU_DEP_2) | instskip(NEXT) | instid1(VALU_DEP_1)
	v_cmp_eq_u32_e64 s0, 0, v6
	v_cndmask_b32_e64 v6, v165, v7, s0
; %bb.1497:                             ;   in Loop: Header=BB407_712 Depth=1
	s_or_b32 exec_lo, exec_lo, s12
	v_lshlrev_b32_e32 v7, 16, v166
	s_delay_alu instid0(VALU_DEP_1) | instskip(NEXT) | instid1(VALU_DEP_1)
	v_mul_f32_e32 v165, v70, v7
	v_and_b32_e32 v7, 0x7f800000, v165
	s_delay_alu instid0(VALU_DEP_1) | instskip(NEXT) | instid1(VALU_DEP_1)
	v_cmp_ne_u32_e64 s0, 0x7f800000, v7
                                        ; implicit-def: $vgpr7
	s_and_saveexec_b32 s12, s0
	s_delay_alu instid0(SALU_CYCLE_1)
	s_xor_b32 s0, exec_lo, s12
; %bb.1498:                             ;   in Loop: Header=BB407_712 Depth=1
	v_bfe_u32 v7, v165, 16, 1
	s_delay_alu instid0(VALU_DEP_1)
	v_add3_u32 v7, v165, v7, 0x7fff
                                        ; implicit-def: $vgpr165
; %bb.1499:                             ;   in Loop: Header=BB407_712 Depth=1
	s_and_not1_saveexec_b32 s12, s0
; %bb.1500:                             ;   in Loop: Header=BB407_712 Depth=1
	v_and_b32_e32 v7, 0xffff, v165
	v_or_b32_e32 v166, 0x10000, v165
	s_delay_alu instid0(VALU_DEP_2) | instskip(NEXT) | instid1(VALU_DEP_1)
	v_cmp_eq_u32_e64 s0, 0, v7
	v_cndmask_b32_e64 v7, v166, v165, s0
; %bb.1501:                             ;   in Loop: Header=BB407_712 Depth=1
	s_or_b32 exec_lo, exec_lo, s12
	v_lshlrev_b32_e32 v165, 16, v167
	s_delay_alu instid0(VALU_DEP_1) | instskip(NEXT) | instid1(VALU_DEP_1)
	v_mul_f32_e32 v166, v71, v165
	v_and_b32_e32 v165, 0x7f800000, v166
	s_delay_alu instid0(VALU_DEP_1) | instskip(NEXT) | instid1(VALU_DEP_1)
	v_cmp_ne_u32_e64 s0, 0x7f800000, v165
                                        ; implicit-def: $vgpr165
	s_and_saveexec_b32 s12, s0
	s_delay_alu instid0(SALU_CYCLE_1)
	s_xor_b32 s0, exec_lo, s12
; %bb.1502:                             ;   in Loop: Header=BB407_712 Depth=1
	v_bfe_u32 v165, v166, 16, 1
	s_delay_alu instid0(VALU_DEP_1)
	v_add3_u32 v165, v166, v165, 0x7fff
                                        ; implicit-def: $vgpr166
; %bb.1503:                             ;   in Loop: Header=BB407_712 Depth=1
	s_and_not1_saveexec_b32 s12, s0
; %bb.1504:                             ;   in Loop: Header=BB407_712 Depth=1
	v_and_b32_e32 v165, 0xffff, v166
	v_or_b32_e32 v167, 0x10000, v166
	s_delay_alu instid0(VALU_DEP_2) | instskip(NEXT) | instid1(VALU_DEP_1)
	v_cmp_eq_u32_e64 s0, 0, v165
	v_cndmask_b32_e64 v165, v167, v166, s0
; %bb.1505:                             ;   in Loop: Header=BB407_712 Depth=1
	s_or_b32 exec_lo, exec_lo, s12
	v_lshlrev_b32_e32 v166, 16, v176
	s_delay_alu instid0(VALU_DEP_1) | instskip(NEXT) | instid1(VALU_DEP_1)
	v_mul_f32_e32 v167, v80, v166
	v_and_b32_e32 v166, 0x7f800000, v167
	s_delay_alu instid0(VALU_DEP_1) | instskip(NEXT) | instid1(VALU_DEP_1)
	v_cmp_ne_u32_e64 s0, 0x7f800000, v166
                                        ; implicit-def: $vgpr166
	s_and_saveexec_b32 s12, s0
	s_delay_alu instid0(SALU_CYCLE_1)
	s_xor_b32 s0, exec_lo, s12
; %bb.1506:                             ;   in Loop: Header=BB407_712 Depth=1
	v_bfe_u32 v166, v167, 16, 1
	s_delay_alu instid0(VALU_DEP_1)
	v_add3_u32 v166, v167, v166, 0x7fff
                                        ; implicit-def: $vgpr167
; %bb.1507:                             ;   in Loop: Header=BB407_712 Depth=1
	s_and_not1_saveexec_b32 s12, s0
; %bb.1508:                             ;   in Loop: Header=BB407_712 Depth=1
	v_and_b32_e32 v166, 0xffff, v167
	v_or_b32_e32 v176, 0x10000, v167
	s_delay_alu instid0(VALU_DEP_2) | instskip(NEXT) | instid1(VALU_DEP_1)
	v_cmp_eq_u32_e64 s0, 0, v166
	v_cndmask_b32_e64 v166, v176, v167, s0
; %bb.1509:                             ;   in Loop: Header=BB407_712 Depth=1
	s_or_b32 exec_lo, exec_lo, s12
	v_lshlrev_b32_e32 v167, 16, v177
	s_delay_alu instid0(VALU_DEP_1) | instskip(NEXT) | instid1(VALU_DEP_1)
	v_mul_f32_e32 v176, v81, v167
	v_and_b32_e32 v167, 0x7f800000, v176
	s_delay_alu instid0(VALU_DEP_1) | instskip(NEXT) | instid1(VALU_DEP_1)
	v_cmp_ne_u32_e64 s0, 0x7f800000, v167
                                        ; implicit-def: $vgpr167
	s_and_saveexec_b32 s12, s0
	s_delay_alu instid0(SALU_CYCLE_1)
	s_xor_b32 s0, exec_lo, s12
; %bb.1510:                             ;   in Loop: Header=BB407_712 Depth=1
	v_bfe_u32 v167, v176, 16, 1
	s_delay_alu instid0(VALU_DEP_1)
	v_add3_u32 v167, v176, v167, 0x7fff
                                        ; implicit-def: $vgpr176
; %bb.1511:                             ;   in Loop: Header=BB407_712 Depth=1
	s_and_not1_saveexec_b32 s12, s0
; %bb.1512:                             ;   in Loop: Header=BB407_712 Depth=1
	v_and_b32_e32 v167, 0xffff, v176
	v_or_b32_e32 v177, 0x10000, v176
	s_delay_alu instid0(VALU_DEP_2) | instskip(NEXT) | instid1(VALU_DEP_1)
	v_cmp_eq_u32_e64 s0, 0, v167
	v_cndmask_b32_e64 v167, v177, v176, s0
; %bb.1513:                             ;   in Loop: Header=BB407_712 Depth=1
	s_or_b32 exec_lo, exec_lo, s12
	v_lshlrev_b32_e32 v9, 16, v9
	s_delay_alu instid0(VALU_DEP_1) | instskip(NEXT) | instid1(VALU_DEP_1)
	v_mul_f32_e32 v9, v98, v9
	v_and_b32_e32 v176, 0x7f800000, v9
	s_delay_alu instid0(VALU_DEP_1) | instskip(NEXT) | instid1(VALU_DEP_1)
	v_cmp_ne_u32_e64 s0, 0x7f800000, v176
                                        ; implicit-def: $vgpr176
	s_and_saveexec_b32 s12, s0
	s_delay_alu instid0(SALU_CYCLE_1)
	s_xor_b32 s0, exec_lo, s12
; %bb.1514:                             ;   in Loop: Header=BB407_712 Depth=1
	v_bfe_u32 v176, v9, 16, 1
	s_delay_alu instid0(VALU_DEP_1)
	v_add3_u32 v176, v9, v176, 0x7fff
                                        ; implicit-def: $vgpr9
; %bb.1515:                             ;   in Loop: Header=BB407_712 Depth=1
	s_and_not1_saveexec_b32 s12, s0
; %bb.1516:                             ;   in Loop: Header=BB407_712 Depth=1
	v_and_b32_e32 v176, 0xffff, v9
	v_or_b32_e32 v177, 0x10000, v9
	s_delay_alu instid0(VALU_DEP_2) | instskip(NEXT) | instid1(VALU_DEP_1)
	v_cmp_eq_u32_e64 s0, 0, v176
	v_cndmask_b32_e64 v176, v177, v9, s0
; %bb.1517:                             ;   in Loop: Header=BB407_712 Depth=1
	s_or_b32 exec_lo, exec_lo, s12
	v_lshlrev_b32_e32 v3, 16, v3
                                        ; implicit-def: $vgpr177
	s_delay_alu instid0(VALU_DEP_1) | instskip(NEXT) | instid1(VALU_DEP_1)
	v_mul_f32_e32 v3, v99, v3
	v_and_b32_e32 v9, 0x7f800000, v3
	s_delay_alu instid0(VALU_DEP_1) | instskip(NEXT) | instid1(VALU_DEP_1)
	v_cmp_ne_u32_e64 s0, 0x7f800000, v9
	s_and_saveexec_b32 s12, s0
	s_delay_alu instid0(SALU_CYCLE_1)
	s_xor_b32 s0, exec_lo, s12
; %bb.1518:                             ;   in Loop: Header=BB407_712 Depth=1
	v_bfe_u32 v9, v3, 16, 1
	s_delay_alu instid0(VALU_DEP_1)
	v_add3_u32 v177, v3, v9, 0x7fff
                                        ; implicit-def: $vgpr3
; %bb.1519:                             ;   in Loop: Header=BB407_712 Depth=1
	s_and_not1_saveexec_b32 s12, s0
; %bb.1520:                             ;   in Loop: Header=BB407_712 Depth=1
	v_and_b32_e32 v9, 0xffff, v3
	v_or_b32_e32 v177, 0x10000, v3
	s_delay_alu instid0(VALU_DEP_2) | instskip(NEXT) | instid1(VALU_DEP_1)
	v_cmp_eq_u32_e64 s0, 0, v9
	v_cndmask_b32_e64 v177, v177, v3, s0
; %bb.1521:                             ;   in Loop: Header=BB407_712 Depth=1
	s_or_b32 exec_lo, exec_lo, s12
	v_lshlrev_b32_e32 v2, 16, v2
                                        ; implicit-def: $vgpr178
	s_delay_alu instid0(VALU_DEP_1) | instskip(NEXT) | instid1(VALU_DEP_1)
	v_mul_f32_e32 v2, v100, v2
	v_and_b32_e32 v3, 0x7f800000, v2
	s_delay_alu instid0(VALU_DEP_1) | instskip(NEXT) | instid1(VALU_DEP_1)
	v_cmp_ne_u32_e64 s0, 0x7f800000, v3
	s_and_saveexec_b32 s12, s0
	s_delay_alu instid0(SALU_CYCLE_1)
	s_xor_b32 s0, exec_lo, s12
; %bb.1522:                             ;   in Loop: Header=BB407_712 Depth=1
	v_bfe_u32 v3, v2, 16, 1
	s_delay_alu instid0(VALU_DEP_1)
	v_add3_u32 v178, v2, v3, 0x7fff
                                        ; implicit-def: $vgpr2
; %bb.1523:                             ;   in Loop: Header=BB407_712 Depth=1
	s_and_not1_saveexec_b32 s12, s0
; %bb.1524:                             ;   in Loop: Header=BB407_712 Depth=1
	v_and_b32_e32 v3, 0xffff, v2
	v_or_b32_e32 v9, 0x10000, v2
	s_delay_alu instid0(VALU_DEP_2) | instskip(NEXT) | instid1(VALU_DEP_1)
	v_cmp_eq_u32_e64 s0, 0, v3
	v_cndmask_b32_e64 v178, v9, v2, s0
; %bb.1525:                             ;   in Loop: Header=BB407_712 Depth=1
	s_or_b32 exec_lo, exec_lo, s12
	flat_load_b64 v[0:1], v[0:1] offset:1536
	s_mov_b32 s12, exec_lo
	s_waitcnt vmcnt(0) lgkmcnt(0)
	v_dual_mov_b32 v2, 0 :: v_dual_and_b32 v3, 0xff, v0
	s_delay_alu instid0(VALU_DEP_1)
	v_cmpx_ne_u16_e32 0, v3
	s_cbranch_execz .LBB407_1533
; %bb.1526:                             ;   in Loop: Header=BB407_712 Depth=1
	v_bfrev_b32_e32 v2, 1
	s_mov_b32 s13, exec_lo
	v_cmpx_ne_u16_e32 0x80, v3
	s_cbranch_execz .LBB407_1532
; %bb.1527:                             ;   in Loop: Header=BB407_712 Depth=1
	v_and_b32_e32 v3, 0x7f, v0
	v_mov_b32_e32 v2, 0x7f800001
	s_mov_b32 s15, exec_lo
	s_delay_alu instid0(VALU_DEP_2)
	v_cmpx_ne_u32_e32 0x7f, v3
	s_cbranch_execz .LBB407_1531
; %bb.1528:                             ;   in Loop: Header=BB407_712 Depth=1
	v_lshrrev_b32_e32 v9, 3, v3
	v_cmp_gt_u32_e64 s0, 8, v3
	v_dual_mov_b32 v3, v1 :: v_dual_mov_b32 v2, v0
	s_delay_alu instid0(VALU_DEP_2)
	s_and_saveexec_b32 s17, s0
; %bb.1529:                             ;   in Loop: Header=BB407_712 Depth=1
	v_and_b32_e32 v2, 7, v0
	s_delay_alu instid0(VALU_DEP_1) | instskip(NEXT) | instid1(VALU_DEP_1)
	v_clz_i32_u32_e32 v2, v2
	v_min_u32_e32 v9, 32, v2
	s_delay_alu instid0(VALU_DEP_1) | instskip(SKIP_1) | instid1(VALU_DEP_2)
	v_subrev_nc_u32_e32 v2, 28, v9
	v_sub_nc_u32_e32 v9, 29, v9
	v_lshlrev_b64 v[2:3], v2, v[0:1]
; %bb.1530:                             ;   in Loop: Header=BB407_712 Depth=1
	s_or_b32 exec_lo, exec_lo, s17
	s_delay_alu instid0(VALU_DEP_1) | instskip(SKIP_2) | instid1(VALU_DEP_3)
	v_lshlrev_b32_e32 v2, 20, v2
	v_lshlrev_b32_e32 v3, 24, v0
	v_lshl_add_u32 v9, v9, 23, 0x3c000000
	v_and_b32_e32 v2, 0x700000, v2
	s_delay_alu instid0(VALU_DEP_3) | instskip(NEXT) | instid1(VALU_DEP_1)
	v_and_b32_e32 v3, 0x80000000, v3
	v_or3_b32 v2, v2, v3, v9
.LBB407_1531:                           ;   in Loop: Header=BB407_712 Depth=1
	s_or_b32 exec_lo, exec_lo, s15
.LBB407_1532:                           ;   in Loop: Header=BB407_712 Depth=1
	s_delay_alu instid0(SALU_CYCLE_1)
	s_or_b32 exec_lo, exec_lo, s13
.LBB407_1533:                           ;   in Loop: Header=BB407_712 Depth=1
	s_delay_alu instid0(SALU_CYCLE_1) | instskip(NEXT) | instid1(VALU_DEP_1)
	s_or_b32 exec_lo, exec_lo, s12
	v_mul_f32_e32 v2, v8, v2
                                        ; implicit-def: $vgpr179
	s_delay_alu instid0(VALU_DEP_1) | instskip(NEXT) | instid1(VALU_DEP_1)
	v_and_b32_e32 v3, 0x7f800000, v2
	v_cmp_ne_u32_e64 s0, 0x7f800000, v3
	s_delay_alu instid0(VALU_DEP_1) | instskip(NEXT) | instid1(SALU_CYCLE_1)
	s_and_saveexec_b32 s12, s0
	s_xor_b32 s0, exec_lo, s12
; %bb.1534:                             ;   in Loop: Header=BB407_712 Depth=1
	v_bfe_u32 v3, v2, 16, 1
	s_delay_alu instid0(VALU_DEP_1)
	v_add3_u32 v179, v2, v3, 0x7fff
                                        ; implicit-def: $vgpr2
; %bb.1535:                             ;   in Loop: Header=BB407_712 Depth=1
	s_and_not1_saveexec_b32 s12, s0
; %bb.1536:                             ;   in Loop: Header=BB407_712 Depth=1
	v_and_b32_e32 v3, 0xffff, v2
	v_or_b32_e32 v9, 0x10000, v2
	s_delay_alu instid0(VALU_DEP_2) | instskip(NEXT) | instid1(VALU_DEP_1)
	v_cmp_eq_u32_e64 s0, 0, v3
	v_cndmask_b32_e64 v179, v9, v2, s0
; %bb.1537:                             ;   in Loop: Header=BB407_712 Depth=1
	s_or_b32 exec_lo, exec_lo, s12
	v_lshrrev_b16 v3, 8, v0
	v_mov_b32_e32 v2, 0
	s_mov_b32 s12, exec_lo
	s_delay_alu instid0(VALU_DEP_2)
	v_cmpx_ne_u16_e32 0, v3
	s_cbranch_execz .LBB407_1545
; %bb.1538:                             ;   in Loop: Header=BB407_712 Depth=1
	v_bfrev_b32_e32 v2, 1
	s_mov_b32 s13, exec_lo
	v_cmpx_ne_u16_e32 0x80, v3
	s_cbranch_execz .LBB407_1544
; %bb.1539:                             ;   in Loop: Header=BB407_712 Depth=1
	v_and_b32_e32 v9, 0xffff, v3
	v_mov_b32_e32 v2, 0x7f800001
	s_mov_b32 s15, exec_lo
	s_delay_alu instid0(VALU_DEP_2) | instskip(NEXT) | instid1(VALU_DEP_1)
	v_and_b32_e32 v3, 0x7f, v9
	v_cmpx_ne_u32_e32 0x7f, v3
	s_cbranch_execz .LBB407_1543
; %bb.1540:                             ;   in Loop: Header=BB407_712 Depth=1
	v_and_b32_e32 v9, 7, v9
	v_lshrrev_b32_e32 v2, 3, v3
	s_mov_b32 s17, exec_lo
	v_cmpx_gt_u32_e32 8, v3
; %bb.1541:                             ;   in Loop: Header=BB407_712 Depth=1
	s_delay_alu instid0(VALU_DEP_3) | instskip(NEXT) | instid1(VALU_DEP_1)
	v_clz_i32_u32_e32 v2, v9
	v_min_u32_e32 v2, 32, v2
	s_delay_alu instid0(VALU_DEP_1) | instskip(SKIP_1) | instid1(VALU_DEP_2)
	v_subrev_nc_u32_e32 v3, 28, v2
	v_sub_nc_u32_e32 v2, 29, v2
	v_lshlrev_b64 v[180:181], v3, v[9:10]
	s_delay_alu instid0(VALU_DEP_1)
	v_and_b32_e32 v9, 7, v180
; %bb.1542:                             ;   in Loop: Header=BB407_712 Depth=1
	s_or_b32 exec_lo, exec_lo, s17
	v_lshlrev_b32_e32 v3, 16, v0
	s_delay_alu instid0(VALU_DEP_2) | instskip(SKIP_1) | instid1(VALU_DEP_3)
	v_lshlrev_b32_e32 v9, 20, v9
	v_lshl_add_u32 v2, v2, 23, 0x3c000000
	v_and_b32_e32 v3, 0x80000000, v3
	s_delay_alu instid0(VALU_DEP_1)
	v_or3_b32 v2, v9, v3, v2
.LBB407_1543:                           ;   in Loop: Header=BB407_712 Depth=1
	s_or_b32 exec_lo, exec_lo, s15
.LBB407_1544:                           ;   in Loop: Header=BB407_712 Depth=1
	s_delay_alu instid0(SALU_CYCLE_1)
	s_or_b32 exec_lo, exec_lo, s13
.LBB407_1545:                           ;   in Loop: Header=BB407_712 Depth=1
	s_delay_alu instid0(SALU_CYCLE_1) | instskip(NEXT) | instid1(VALU_DEP_1)
	s_or_b32 exec_lo, exec_lo, s12
	v_mul_f32_e32 v2, v8, v2
                                        ; implicit-def: $vgpr180
	s_delay_alu instid0(VALU_DEP_1) | instskip(NEXT) | instid1(VALU_DEP_1)
	v_and_b32_e32 v3, 0x7f800000, v2
	v_cmp_ne_u32_e64 s0, 0x7f800000, v3
	s_delay_alu instid0(VALU_DEP_1) | instskip(NEXT) | instid1(SALU_CYCLE_1)
	s_and_saveexec_b32 s12, s0
	s_xor_b32 s0, exec_lo, s12
; %bb.1546:                             ;   in Loop: Header=BB407_712 Depth=1
	v_bfe_u32 v3, v2, 16, 1
	s_delay_alu instid0(VALU_DEP_1)
	v_add3_u32 v180, v2, v3, 0x7fff
                                        ; implicit-def: $vgpr2
; %bb.1547:                             ;   in Loop: Header=BB407_712 Depth=1
	s_and_not1_saveexec_b32 s12, s0
; %bb.1548:                             ;   in Loop: Header=BB407_712 Depth=1
	v_and_b32_e32 v3, 0xffff, v2
	v_or_b32_e32 v9, 0x10000, v2
	s_delay_alu instid0(VALU_DEP_2) | instskip(NEXT) | instid1(VALU_DEP_1)
	v_cmp_eq_u32_e64 s0, 0, v3
	v_cndmask_b32_e64 v180, v9, v2, s0
; %bb.1549:                             ;   in Loop: Header=BB407_712 Depth=1
	s_or_b32 exec_lo, exec_lo, s12
	v_lshrrev_b32_e32 v2, 16, v0
	v_mov_b32_e32 v3, 0
	s_mov_b32 s12, exec_lo
	s_delay_alu instid0(VALU_DEP_2) | instskip(NEXT) | instid1(VALU_DEP_1)
	v_and_b32_e32 v9, 0xff, v2
	v_cmpx_ne_u16_e32 0, v9
	s_cbranch_execz .LBB407_1557
; %bb.1550:                             ;   in Loop: Header=BB407_712 Depth=1
	v_bfrev_b32_e32 v3, 1
	s_mov_b32 s13, exec_lo
	v_cmpx_ne_u16_e32 0x80, v9
	s_cbranch_execz .LBB407_1556
; %bb.1551:                             ;   in Loop: Header=BB407_712 Depth=1
	v_bfe_u32 v181, v0, 16, 7
	v_mov_b32_e32 v3, 0x7f800001
	s_mov_b32 s15, exec_lo
	s_delay_alu instid0(VALU_DEP_2)
	v_cmpx_ne_u32_e32 0x7f, v181
	s_cbranch_execz .LBB407_1555
; %bb.1552:                             ;   in Loop: Header=BB407_712 Depth=1
	v_and_b32_e32 v9, 7, v2
	v_lshrrev_b32_e32 v3, 3, v181
	s_mov_b32 s17, exec_lo
	v_cmpx_gt_u32_e32 8, v181
; %bb.1553:                             ;   in Loop: Header=BB407_712 Depth=1
	s_delay_alu instid0(VALU_DEP_3) | instskip(NEXT) | instid1(VALU_DEP_1)
	v_clz_i32_u32_e32 v3, v9
	v_min_u32_e32 v3, 32, v3
	s_delay_alu instid0(VALU_DEP_1) | instskip(SKIP_1) | instid1(VALU_DEP_2)
	v_subrev_nc_u32_e32 v181, 28, v3
	v_sub_nc_u32_e32 v3, 29, v3
	v_lshlrev_b64 v[181:182], v181, v[9:10]
	s_delay_alu instid0(VALU_DEP_1)
	v_and_b32_e32 v9, 7, v181
; %bb.1554:                             ;   in Loop: Header=BB407_712 Depth=1
	s_or_b32 exec_lo, exec_lo, s17
	v_lshlrev_b32_e32 v2, 24, v2
	s_delay_alu instid0(VALU_DEP_2) | instskip(SKIP_1) | instid1(VALU_DEP_3)
	v_lshlrev_b32_e32 v9, 20, v9
	v_lshl_add_u32 v3, v3, 23, 0x3c000000
	v_and_b32_e32 v2, 0x80000000, v2
	s_delay_alu instid0(VALU_DEP_1)
	v_or3_b32 v3, v9, v2, v3
.LBB407_1555:                           ;   in Loop: Header=BB407_712 Depth=1
	s_or_b32 exec_lo, exec_lo, s15
.LBB407_1556:                           ;   in Loop: Header=BB407_712 Depth=1
	s_delay_alu instid0(SALU_CYCLE_1)
	s_or_b32 exec_lo, exec_lo, s13
.LBB407_1557:                           ;   in Loop: Header=BB407_712 Depth=1
	s_delay_alu instid0(SALU_CYCLE_1) | instskip(NEXT) | instid1(VALU_DEP_1)
	s_or_b32 exec_lo, exec_lo, s12
	v_mul_f32_e32 v2, v8, v3
                                        ; implicit-def: $vgpr181
	s_delay_alu instid0(VALU_DEP_1) | instskip(NEXT) | instid1(VALU_DEP_1)
	v_and_b32_e32 v3, 0x7f800000, v2
	v_cmp_ne_u32_e64 s0, 0x7f800000, v3
	s_delay_alu instid0(VALU_DEP_1) | instskip(NEXT) | instid1(SALU_CYCLE_1)
	s_and_saveexec_b32 s12, s0
	s_xor_b32 s0, exec_lo, s12
; %bb.1558:                             ;   in Loop: Header=BB407_712 Depth=1
	v_bfe_u32 v3, v2, 16, 1
	s_delay_alu instid0(VALU_DEP_1)
	v_add3_u32 v181, v2, v3, 0x7fff
                                        ; implicit-def: $vgpr2
; %bb.1559:                             ;   in Loop: Header=BB407_712 Depth=1
	s_and_not1_saveexec_b32 s12, s0
; %bb.1560:                             ;   in Loop: Header=BB407_712 Depth=1
	v_and_b32_e32 v3, 0xffff, v2
	v_or_b32_e32 v9, 0x10000, v2
	s_delay_alu instid0(VALU_DEP_2) | instskip(NEXT) | instid1(VALU_DEP_1)
	v_cmp_eq_u32_e64 s0, 0, v3
	v_cndmask_b32_e64 v181, v9, v2, s0
; %bb.1561:                             ;   in Loop: Header=BB407_712 Depth=1
	s_or_b32 exec_lo, exec_lo, s12
	v_mov_b32_e32 v3, 0
	s_mov_b32 s12, exec_lo
	v_cmpx_lt_u32_e32 0xffffff, v0
	s_cbranch_execz .LBB407_1569
; %bb.1562:                             ;   in Loop: Header=BB407_712 Depth=1
	v_lshrrev_b32_e32 v2, 24, v0
	v_bfrev_b32_e32 v3, 1
	s_mov_b32 s13, exec_lo
	s_delay_alu instid0(VALU_DEP_2)
	v_cmpx_ne_u32_e32 0x80, v2
	s_cbranch_execz .LBB407_1568
; %bb.1563:                             ;   in Loop: Header=BB407_712 Depth=1
	v_bfe_u32 v182, v0, 24, 7
	v_mov_b32_e32 v3, 0x7f800001
	s_mov_b32 s15, exec_lo
	s_delay_alu instid0(VALU_DEP_2)
	v_cmpx_ne_u32_e32 0x7f, v182
	s_cbranch_execz .LBB407_1567
; %bb.1564:                             ;   in Loop: Header=BB407_712 Depth=1
	v_and_b32_e32 v9, 7, v2
	v_lshrrev_b32_e32 v3, 3, v182
	s_mov_b32 s17, exec_lo
	v_cmpx_gt_u32_e32 8, v182
; %bb.1565:                             ;   in Loop: Header=BB407_712 Depth=1
	s_delay_alu instid0(VALU_DEP_3) | instskip(NEXT) | instid1(VALU_DEP_1)
	v_clz_i32_u32_e32 v3, v9
	v_min_u32_e32 v3, 32, v3
	s_delay_alu instid0(VALU_DEP_1) | instskip(SKIP_1) | instid1(VALU_DEP_2)
	v_subrev_nc_u32_e32 v182, 28, v3
	v_sub_nc_u32_e32 v3, 29, v3
	v_lshlrev_b64 v[182:183], v182, v[9:10]
	s_delay_alu instid0(VALU_DEP_1)
	v_and_b32_e32 v9, 7, v182
; %bb.1566:                             ;   in Loop: Header=BB407_712 Depth=1
	s_or_b32 exec_lo, exec_lo, s17
	v_lshlrev_b32_e32 v2, 24, v2
	s_delay_alu instid0(VALU_DEP_2) | instskip(SKIP_1) | instid1(VALU_DEP_3)
	v_lshlrev_b32_e32 v9, 20, v9
	v_lshl_add_u32 v3, v3, 23, 0x3c000000
	v_and_b32_e32 v2, 0x80000000, v2
	s_delay_alu instid0(VALU_DEP_1)
	v_or3_b32 v3, v9, v2, v3
.LBB407_1567:                           ;   in Loop: Header=BB407_712 Depth=1
	s_or_b32 exec_lo, exec_lo, s15
.LBB407_1568:                           ;   in Loop: Header=BB407_712 Depth=1
	s_delay_alu instid0(SALU_CYCLE_1)
	s_or_b32 exec_lo, exec_lo, s13
.LBB407_1569:                           ;   in Loop: Header=BB407_712 Depth=1
	s_delay_alu instid0(SALU_CYCLE_1) | instskip(NEXT) | instid1(VALU_DEP_1)
	s_or_b32 exec_lo, exec_lo, s12
	v_mul_f32_e32 v2, v8, v3
                                        ; implicit-def: $vgpr182
	s_delay_alu instid0(VALU_DEP_1) | instskip(NEXT) | instid1(VALU_DEP_1)
	v_and_b32_e32 v3, 0x7f800000, v2
	v_cmp_ne_u32_e64 s0, 0x7f800000, v3
	s_delay_alu instid0(VALU_DEP_1) | instskip(NEXT) | instid1(SALU_CYCLE_1)
	s_and_saveexec_b32 s12, s0
	s_xor_b32 s0, exec_lo, s12
; %bb.1570:                             ;   in Loop: Header=BB407_712 Depth=1
	v_bfe_u32 v3, v2, 16, 1
	s_delay_alu instid0(VALU_DEP_1)
	v_add3_u32 v182, v2, v3, 0x7fff
                                        ; implicit-def: $vgpr2
; %bb.1571:                             ;   in Loop: Header=BB407_712 Depth=1
	s_and_not1_saveexec_b32 s12, s0
; %bb.1572:                             ;   in Loop: Header=BB407_712 Depth=1
	v_and_b32_e32 v3, 0xffff, v2
	v_or_b32_e32 v9, 0x10000, v2
	s_delay_alu instid0(VALU_DEP_2) | instskip(NEXT) | instid1(VALU_DEP_1)
	v_cmp_eq_u32_e64 s0, 0, v3
	v_cndmask_b32_e64 v182, v9, v2, s0
; %bb.1573:                             ;   in Loop: Header=BB407_712 Depth=1
	s_or_b32 exec_lo, exec_lo, s12
	v_dual_mov_b32 v2, 0 :: v_dual_and_b32 v3, 0xff, v1
	v_mov_b32_e32 v9, v1
	s_mov_b32 s12, exec_lo
	s_delay_alu instid0(VALU_DEP_2)
	v_cmpx_ne_u16_e32 0, v3
	s_cbranch_execz .LBB407_1581
; %bb.1574:                             ;   in Loop: Header=BB407_712 Depth=1
	v_bfrev_b32_e32 v2, 1
	s_mov_b32 s13, exec_lo
	v_cmpx_ne_u16_e32 0x80, v3
	s_cbranch_execz .LBB407_1580
; %bb.1575:                             ;   in Loop: Header=BB407_712 Depth=1
	v_and_b32_e32 v3, 0x7f, v1
	v_mov_b32_e32 v2, 0x7f800001
	s_mov_b32 s15, exec_lo
	s_delay_alu instid0(VALU_DEP_2)
	v_cmpx_ne_u32_e32 0x7f, v3
	s_cbranch_execz .LBB407_1579
; %bb.1576:                             ;   in Loop: Header=BB407_712 Depth=1
	v_lshrrev_b32_e32 v183, 3, v3
	v_cmp_gt_u32_e64 s0, 8, v3
	v_dual_mov_b32 v2, v9 :: v_dual_mov_b32 v3, v10
	s_delay_alu instid0(VALU_DEP_2)
	s_and_saveexec_b32 s17, s0
; %bb.1577:                             ;   in Loop: Header=BB407_712 Depth=1
	v_and_b32_e32 v2, 7, v1
	s_delay_alu instid0(VALU_DEP_1) | instskip(NEXT) | instid1(VALU_DEP_1)
	v_clz_i32_u32_e32 v2, v2
	v_min_u32_e32 v183, 32, v2
	s_delay_alu instid0(VALU_DEP_1) | instskip(SKIP_1) | instid1(VALU_DEP_2)
	v_subrev_nc_u32_e32 v2, 28, v183
	v_sub_nc_u32_e32 v183, 29, v183
	v_lshlrev_b64 v[2:3], v2, v[9:10]
; %bb.1578:                             ;   in Loop: Header=BB407_712 Depth=1
	s_or_b32 exec_lo, exec_lo, s17
	s_delay_alu instid0(VALU_DEP_1) | instskip(SKIP_2) | instid1(VALU_DEP_3)
	v_lshlrev_b32_e32 v2, 20, v2
	v_lshlrev_b32_e32 v3, 24, v9
	v_lshl_add_u32 v183, v183, 23, 0x3c000000
	v_and_b32_e32 v2, 0x700000, v2
	s_delay_alu instid0(VALU_DEP_3) | instskip(NEXT) | instid1(VALU_DEP_1)
	v_and_b32_e32 v3, 0x80000000, v3
	v_or3_b32 v2, v2, v3, v183
.LBB407_1579:                           ;   in Loop: Header=BB407_712 Depth=1
	s_or_b32 exec_lo, exec_lo, s15
.LBB407_1580:                           ;   in Loop: Header=BB407_712 Depth=1
	s_delay_alu instid0(SALU_CYCLE_1)
	s_or_b32 exec_lo, exec_lo, s13
.LBB407_1581:                           ;   in Loop: Header=BB407_712 Depth=1
	s_delay_alu instid0(SALU_CYCLE_1) | instskip(NEXT) | instid1(VALU_DEP_1)
	s_or_b32 exec_lo, exec_lo, s12
	v_mul_f32_e32 v2, v8, v2
                                        ; implicit-def: $vgpr183
	s_delay_alu instid0(VALU_DEP_1) | instskip(NEXT) | instid1(VALU_DEP_1)
	v_and_b32_e32 v3, 0x7f800000, v2
	v_cmp_ne_u32_e64 s0, 0x7f800000, v3
	s_delay_alu instid0(VALU_DEP_1) | instskip(NEXT) | instid1(SALU_CYCLE_1)
	s_and_saveexec_b32 s12, s0
	s_xor_b32 s0, exec_lo, s12
; %bb.1582:                             ;   in Loop: Header=BB407_712 Depth=1
	v_bfe_u32 v3, v2, 16, 1
	s_delay_alu instid0(VALU_DEP_1)
	v_add3_u32 v183, v2, v3, 0x7fff
                                        ; implicit-def: $vgpr2
; %bb.1583:                             ;   in Loop: Header=BB407_712 Depth=1
	s_and_not1_saveexec_b32 s12, s0
; %bb.1584:                             ;   in Loop: Header=BB407_712 Depth=1
	v_and_b32_e32 v3, 0xffff, v2
	v_or_b32_e32 v183, 0x10000, v2
	s_delay_alu instid0(VALU_DEP_2) | instskip(NEXT) | instid1(VALU_DEP_1)
	v_cmp_eq_u32_e64 s0, 0, v3
	v_cndmask_b32_e64 v183, v183, v2, s0
; %bb.1585:                             ;   in Loop: Header=BB407_712 Depth=1
	s_or_b32 exec_lo, exec_lo, s12
	v_lshrrev_b16 v3, 8, v9
	v_mov_b32_e32 v2, 0
	s_mov_b32 s12, exec_lo
	s_delay_alu instid0(VALU_DEP_2)
	v_cmpx_ne_u16_e32 0, v3
	s_cbranch_execz .LBB407_1593
; %bb.1586:                             ;   in Loop: Header=BB407_712 Depth=1
	v_bfrev_b32_e32 v2, 1
	s_mov_b32 s13, exec_lo
	v_cmpx_ne_u16_e32 0x80, v3
	s_cbranch_execz .LBB407_1592
; %bb.1587:                             ;   in Loop: Header=BB407_712 Depth=1
	v_and_b32_e32 v3, 0xffff, v3
	v_mov_b32_e32 v2, 0x7f800001
	s_mov_b32 s15, exec_lo
	s_delay_alu instid0(VALU_DEP_2) | instskip(NEXT) | instid1(VALU_DEP_1)
	v_and_b32_e32 v41, 0x7f, v3
	v_cmpx_ne_u32_e32 0x7f, v41
	s_cbranch_execz .LBB407_1591
; %bb.1588:                             ;   in Loop: Header=BB407_712 Depth=1
	v_dual_mov_b32 v3, v10 :: v_dual_and_b32 v2, 7, v3
	v_lshrrev_b32_e32 v40, 3, v41
	s_mov_b32 s17, exec_lo
	v_cmpx_gt_u32_e32 8, v41
; %bb.1589:                             ;   in Loop: Header=BB407_712 Depth=1
	s_delay_alu instid0(VALU_DEP_3) | instskip(NEXT) | instid1(VALU_DEP_1)
	v_clz_i32_u32_e32 v40, v2
	v_min_u32_e32 v40, 32, v40
	s_delay_alu instid0(VALU_DEP_1) | instskip(SKIP_1) | instid1(VALU_DEP_2)
	v_subrev_nc_u32_e32 v41, 28, v40
	v_sub_nc_u32_e32 v40, 29, v40
	v_lshlrev_b64 v[2:3], v41, v[2:3]
	s_delay_alu instid0(VALU_DEP_1)
	v_and_b32_e32 v2, 7, v2
; %bb.1590:                             ;   in Loop: Header=BB407_712 Depth=1
	s_or_b32 exec_lo, exec_lo, s17
	v_lshlrev_b32_e32 v3, 16, v9
	s_delay_alu instid0(VALU_DEP_2) | instskip(SKIP_1) | instid1(VALU_DEP_3)
	v_lshlrev_b32_e32 v2, 20, v2
	v_lshl_add_u32 v9, v40, 23, 0x3c000000
	v_and_b32_e32 v3, 0x80000000, v3
	s_delay_alu instid0(VALU_DEP_1)
	v_or3_b32 v2, v2, v3, v9
.LBB407_1591:                           ;   in Loop: Header=BB407_712 Depth=1
	s_or_b32 exec_lo, exec_lo, s15
.LBB407_1592:                           ;   in Loop: Header=BB407_712 Depth=1
	s_delay_alu instid0(SALU_CYCLE_1)
	s_or_b32 exec_lo, exec_lo, s13
.LBB407_1593:                           ;   in Loop: Header=BB407_712 Depth=1
	s_delay_alu instid0(SALU_CYCLE_1) | instskip(NEXT) | instid1(VALU_DEP_1)
	s_or_b32 exec_lo, exec_lo, s12
	v_mul_f32_e32 v3, v8, v2
	s_delay_alu instid0(VALU_DEP_1) | instskip(NEXT) | instid1(VALU_DEP_1)
	v_and_b32_e32 v2, 0x7f800000, v3
	v_cmp_ne_u32_e64 s0, 0x7f800000, v2
                                        ; implicit-def: $vgpr2
	s_delay_alu instid0(VALU_DEP_1) | instskip(NEXT) | instid1(SALU_CYCLE_1)
	s_and_saveexec_b32 s12, s0
	s_xor_b32 s0, exec_lo, s12
; %bb.1594:                             ;   in Loop: Header=BB407_712 Depth=1
	v_bfe_u32 v2, v3, 16, 1
	s_delay_alu instid0(VALU_DEP_1)
	v_add3_u32 v2, v3, v2, 0x7fff
                                        ; implicit-def: $vgpr3
; %bb.1595:                             ;   in Loop: Header=BB407_712 Depth=1
	s_and_not1_saveexec_b32 s12, s0
; %bb.1596:                             ;   in Loop: Header=BB407_712 Depth=1
	v_and_b32_e32 v2, 0xffff, v3
	v_or_b32_e32 v9, 0x10000, v3
	s_delay_alu instid0(VALU_DEP_2) | instskip(NEXT) | instid1(VALU_DEP_1)
	v_cmp_eq_u32_e64 s0, 0, v2
	v_cndmask_b32_e64 v2, v9, v3, s0
; %bb.1597:                             ;   in Loop: Header=BB407_712 Depth=1
	s_or_b32 exec_lo, exec_lo, s12
	v_lshrrev_b32_e32 v3, 16, v1
	s_mov_b32 s12, exec_lo
	s_delay_alu instid0(VALU_DEP_1) | instskip(NEXT) | instid1(VALU_DEP_1)
	v_dual_mov_b32 v9, 0 :: v_dual_and_b32 v40, 0xff, v3
	v_cmpx_ne_u16_e32 0, v40
	s_cbranch_execz .LBB407_1605
; %bb.1598:                             ;   in Loop: Header=BB407_712 Depth=1
	v_bfrev_b32_e32 v9, 1
	s_mov_b32 s13, exec_lo
	v_cmpx_ne_u16_e32 0x80, v40
	s_cbranch_execz .LBB407_1604
; %bb.1599:                             ;   in Loop: Header=BB407_712 Depth=1
	v_bfe_u32 v41, v1, 16, 7
	v_mov_b32_e32 v9, 0x7f800001
	s_mov_b32 s15, exec_lo
	s_delay_alu instid0(VALU_DEP_2)
	v_cmpx_ne_u32_e32 0x7f, v41
	s_cbranch_execz .LBB407_1603
; %bb.1600:                             ;   in Loop: Header=BB407_712 Depth=1
	v_and_b32_e32 v9, 7, v3
	v_lshrrev_b32_e32 v40, 3, v41
	s_mov_b32 s17, exec_lo
	v_cmpx_gt_u32_e32 8, v41
; %bb.1601:                             ;   in Loop: Header=BB407_712 Depth=1
	s_delay_alu instid0(VALU_DEP_3) | instskip(NEXT) | instid1(VALU_DEP_1)
	v_clz_i32_u32_e32 v40, v9
	v_min_u32_e32 v40, 32, v40
	s_delay_alu instid0(VALU_DEP_1) | instskip(SKIP_1) | instid1(VALU_DEP_2)
	v_subrev_nc_u32_e32 v41, 28, v40
	v_sub_nc_u32_e32 v40, 29, v40
	v_lshlrev_b64 v[41:42], v41, v[9:10]
	s_delay_alu instid0(VALU_DEP_1)
	v_and_b32_e32 v9, 7, v41
; %bb.1602:                             ;   in Loop: Header=BB407_712 Depth=1
	s_or_b32 exec_lo, exec_lo, s17
	v_lshlrev_b32_e32 v3, 24, v3
	s_delay_alu instid0(VALU_DEP_2) | instskip(SKIP_1) | instid1(VALU_DEP_3)
	v_lshlrev_b32_e32 v9, 20, v9
	v_lshl_add_u32 v40, v40, 23, 0x3c000000
	v_and_b32_e32 v3, 0x80000000, v3
	s_delay_alu instid0(VALU_DEP_1)
	v_or3_b32 v9, v9, v3, v40
.LBB407_1603:                           ;   in Loop: Header=BB407_712 Depth=1
	s_or_b32 exec_lo, exec_lo, s15
.LBB407_1604:                           ;   in Loop: Header=BB407_712 Depth=1
	s_delay_alu instid0(SALU_CYCLE_1)
	s_or_b32 exec_lo, exec_lo, s13
.LBB407_1605:                           ;   in Loop: Header=BB407_712 Depth=1
	s_delay_alu instid0(SALU_CYCLE_1) | instskip(NEXT) | instid1(VALU_DEP_1)
	s_or_b32 exec_lo, exec_lo, s12
	v_mul_f32_e32 v3, v8, v9
                                        ; implicit-def: $vgpr41
	s_delay_alu instid0(VALU_DEP_1) | instskip(NEXT) | instid1(VALU_DEP_1)
	v_and_b32_e32 v9, 0x7f800000, v3
	v_cmp_ne_u32_e64 s0, 0x7f800000, v9
	s_delay_alu instid0(VALU_DEP_1) | instskip(NEXT) | instid1(SALU_CYCLE_1)
	s_and_saveexec_b32 s12, s0
	s_xor_b32 s0, exec_lo, s12
; %bb.1606:                             ;   in Loop: Header=BB407_712 Depth=1
	v_bfe_u32 v9, v3, 16, 1
	s_delay_alu instid0(VALU_DEP_1)
	v_add3_u32 v41, v3, v9, 0x7fff
                                        ; implicit-def: $vgpr3
; %bb.1607:                             ;   in Loop: Header=BB407_712 Depth=1
	s_and_not1_saveexec_b32 s12, s0
; %bb.1608:                             ;   in Loop: Header=BB407_712 Depth=1
	v_and_b32_e32 v9, 0xffff, v3
	v_or_b32_e32 v40, 0x10000, v3
	s_delay_alu instid0(VALU_DEP_2) | instskip(NEXT) | instid1(VALU_DEP_1)
	v_cmp_eq_u32_e64 s0, 0, v9
	v_cndmask_b32_e64 v41, v40, v3, s0
; %bb.1609:                             ;   in Loop: Header=BB407_712 Depth=1
	s_or_b32 exec_lo, exec_lo, s12
	v_mov_b32_e32 v3, 0
	s_mov_b32 s12, exec_lo
	v_cmpx_lt_u64_e64 s[8:9], v[0:1]
	s_cbranch_execz .LBB407_1617
; %bb.1610:                             ;   in Loop: Header=BB407_712 Depth=1
	v_lshrrev_b32_e32 v0, 24, v1
	v_bfrev_b32_e32 v3, 1
	s_mov_b32 s13, exec_lo
	s_delay_alu instid0(VALU_DEP_2)
	v_cmpx_ne_u32_e32 0x80, v0
	s_cbranch_execz .LBB407_1616
; %bb.1611:                             ;   in Loop: Header=BB407_712 Depth=1
	v_bfe_u32 v40, v1, 24, 7
	v_mov_b32_e32 v3, 0x7f800001
	s_mov_b32 s15, exec_lo
	s_delay_alu instid0(VALU_DEP_2)
	v_cmpx_ne_u32_e32 0x7f, v40
	s_cbranch_execz .LBB407_1615
; %bb.1612:                             ;   in Loop: Header=BB407_712 Depth=1
	v_and_b32_e32 v9, 7, v0
	v_lshrrev_b32_e32 v1, 3, v40
	s_mov_b32 s17, exec_lo
	v_cmpx_gt_u32_e32 8, v40
; %bb.1613:                             ;   in Loop: Header=BB407_712 Depth=1
	s_delay_alu instid0(VALU_DEP_3) | instskip(NEXT) | instid1(VALU_DEP_1)
	v_clz_i32_u32_e32 v1, v9
	v_min_u32_e32 v1, 32, v1
	s_delay_alu instid0(VALU_DEP_1) | instskip(SKIP_1) | instid1(VALU_DEP_2)
	v_subrev_nc_u32_e32 v3, 28, v1
	v_sub_nc_u32_e32 v1, 29, v1
	v_lshlrev_b64 v[42:43], v3, v[9:10]
	s_delay_alu instid0(VALU_DEP_1)
	v_and_b32_e32 v9, 7, v42
; %bb.1614:                             ;   in Loop: Header=BB407_712 Depth=1
	s_or_b32 exec_lo, exec_lo, s17
	v_lshlrev_b32_e32 v0, 24, v0
	s_delay_alu instid0(VALU_DEP_2) | instskip(SKIP_1) | instid1(VALU_DEP_3)
	v_lshlrev_b32_e32 v3, 20, v9
	v_lshl_add_u32 v1, v1, 23, 0x3c000000
	v_and_b32_e32 v0, 0x80000000, v0
	s_delay_alu instid0(VALU_DEP_1)
	v_or3_b32 v3, v3, v0, v1
.LBB407_1615:                           ;   in Loop: Header=BB407_712 Depth=1
	s_or_b32 exec_lo, exec_lo, s15
.LBB407_1616:                           ;   in Loop: Header=BB407_712 Depth=1
	s_delay_alu instid0(SALU_CYCLE_1)
	s_or_b32 exec_lo, exec_lo, s13
.LBB407_1617:                           ;   in Loop: Header=BB407_712 Depth=1
	s_delay_alu instid0(SALU_CYCLE_1) | instskip(NEXT) | instid1(VALU_DEP_1)
	s_or_b32 exec_lo, exec_lo, s12
	v_mul_f32_e32 v0, v8, v3
                                        ; implicit-def: $vgpr8
	s_delay_alu instid0(VALU_DEP_1) | instskip(NEXT) | instid1(VALU_DEP_1)
	v_and_b32_e32 v1, 0x7f800000, v0
	v_cmp_ne_u32_e64 s0, 0x7f800000, v1
	s_delay_alu instid0(VALU_DEP_1) | instskip(NEXT) | instid1(SALU_CYCLE_1)
	s_and_saveexec_b32 s12, s0
	s_xor_b32 s0, exec_lo, s12
; %bb.1618:                             ;   in Loop: Header=BB407_712 Depth=1
	v_bfe_u32 v1, v0, 16, 1
	s_delay_alu instid0(VALU_DEP_1)
	v_add3_u32 v8, v0, v1, 0x7fff
                                        ; implicit-def: $vgpr0
; %bb.1619:                             ;   in Loop: Header=BB407_712 Depth=1
	s_and_not1_saveexec_b32 s12, s0
; %bb.1620:                             ;   in Loop: Header=BB407_712 Depth=1
	v_and_b32_e32 v1, 0xffff, v0
	v_or_b32_e32 v3, 0x10000, v0
	s_delay_alu instid0(VALU_DEP_2) | instskip(NEXT) | instid1(VALU_DEP_1)
	v_cmp_eq_u32_e64 s0, 0, v1
	v_cndmask_b32_e64 v8, v3, v0, s0
; %bb.1621:                             ;   in Loop: Header=BB407_712 Depth=1
	s_or_b32 exec_lo, exec_lo, s12
	v_lshrrev_b32_e32 v40, 16, v2
	v_lshrrev_b32_e32 v9, 16, v183
	;; [unrolled: 1-line block ×8, first 2 shown]
	s_and_saveexec_b32 s0, vcc_lo
	s_cbranch_execz .LBB407_1623
; %bb.1622:                             ;   in Loop: Header=BB407_712 Depth=1
	v_cmp_lt_i32_e32 vcc_lo, v52, v83
	v_cndmask_b32_e32 v0, 0, v0, vcc_lo
	v_cmp_lt_i32_e32 vcc_lo, v68, v83
	v_cndmask_b32_e32 v1, 0, v1, vcc_lo
	;; [unrolled: 2-line block ×8, first 2 shown]
.LBB407_1623:                           ;   in Loop: Header=BB407_712 Depth=1
	s_or_b32 exec_lo, exec_lo, s0
	v_lshlrev_b32_e32 v0, 16, v0
	s_delay_alu instid0(VALU_DEP_1) | instskip(NEXT) | instid1(VALU_DEP_1)
	v_mul_f32_e32 v52, v69, v0
	v_and_b32_e32 v0, 0x7f800000, v52
	s_delay_alu instid0(VALU_DEP_1) | instskip(SKIP_1) | instid1(SALU_CYCLE_1)
	v_cmp_ne_u32_e32 vcc_lo, 0x7f800000, v0
                                        ; implicit-def: $vgpr0
	s_and_saveexec_b32 s0, vcc_lo
	s_xor_b32 s0, exec_lo, s0
; %bb.1624:                             ;   in Loop: Header=BB407_712 Depth=1
	v_bfe_u32 v0, v52, 16, 1
	s_delay_alu instid0(VALU_DEP_1)
	v_add3_u32 v0, v52, v0, 0x7fff
                                        ; implicit-def: $vgpr52
; %bb.1625:                             ;   in Loop: Header=BB407_712 Depth=1
	s_and_not1_saveexec_b32 s0, s0
; %bb.1626:                             ;   in Loop: Header=BB407_712 Depth=1
	v_and_b32_e32 v0, 0xffff, v52
	v_or_b32_e32 v53, 0x10000, v52
	s_delay_alu instid0(VALU_DEP_2) | instskip(NEXT) | instid1(VALU_DEP_2)
	v_cmp_eq_u32_e32 vcc_lo, 0, v0
	v_cndmask_b32_e32 v0, v53, v52, vcc_lo
; %bb.1627:                             ;   in Loop: Header=BB407_712 Depth=1
	s_or_b32 exec_lo, exec_lo, s0
	v_lshlrev_b32_e32 v1, 16, v1
	s_delay_alu instid0(VALU_DEP_1) | instskip(NEXT) | instid1(VALU_DEP_1)
	v_mul_f32_e32 v52, v70, v1
	v_and_b32_e32 v1, 0x7f800000, v52
	s_delay_alu instid0(VALU_DEP_1) | instskip(SKIP_1) | instid1(SALU_CYCLE_1)
	v_cmp_ne_u32_e32 vcc_lo, 0x7f800000, v1
                                        ; implicit-def: $vgpr1
	s_and_saveexec_b32 s0, vcc_lo
	s_xor_b32 s0, exec_lo, s0
; %bb.1628:                             ;   in Loop: Header=BB407_712 Depth=1
	v_bfe_u32 v1, v52, 16, 1
	s_delay_alu instid0(VALU_DEP_1)
	v_add3_u32 v1, v52, v1, 0x7fff
                                        ; implicit-def: $vgpr52
; %bb.1629:                             ;   in Loop: Header=BB407_712 Depth=1
	s_and_not1_saveexec_b32 s0, s0
; %bb.1630:                             ;   in Loop: Header=BB407_712 Depth=1
	v_and_b32_e32 v1, 0xffff, v52
	v_or_b32_e32 v53, 0x10000, v52
	s_delay_alu instid0(VALU_DEP_2) | instskip(NEXT) | instid1(VALU_DEP_2)
	v_cmp_eq_u32_e32 vcc_lo, 0, v1
	v_cndmask_b32_e32 v1, v53, v52, vcc_lo
; %bb.1631:                             ;   in Loop: Header=BB407_712 Depth=1
	s_or_b32 exec_lo, exec_lo, s0
	v_lshlrev_b32_e32 v2, 16, v2
	s_delay_alu instid0(VALU_DEP_1) | instskip(NEXT) | instid1(VALU_DEP_1)
	v_mul_f32_e32 v52, v71, v2
	v_and_b32_e32 v2, 0x7f800000, v52
	s_delay_alu instid0(VALU_DEP_1) | instskip(SKIP_1) | instid1(SALU_CYCLE_1)
	v_cmp_ne_u32_e32 vcc_lo, 0x7f800000, v2
                                        ; implicit-def: $vgpr2
	s_and_saveexec_b32 s0, vcc_lo
	s_xor_b32 s0, exec_lo, s0
; %bb.1632:                             ;   in Loop: Header=BB407_712 Depth=1
	v_bfe_u32 v2, v52, 16, 1
	s_delay_alu instid0(VALU_DEP_1)
	v_add3_u32 v2, v52, v2, 0x7fff
                                        ; implicit-def: $vgpr52
; %bb.1633:                             ;   in Loop: Header=BB407_712 Depth=1
	s_and_not1_saveexec_b32 s0, s0
; %bb.1634:                             ;   in Loop: Header=BB407_712 Depth=1
	v_and_b32_e32 v2, 0xffff, v52
	v_or_b32_e32 v53, 0x10000, v52
	s_delay_alu instid0(VALU_DEP_2) | instskip(NEXT) | instid1(VALU_DEP_2)
	v_cmp_eq_u32_e32 vcc_lo, 0, v2
	v_cndmask_b32_e32 v2, v53, v52, vcc_lo
; %bb.1635:                             ;   in Loop: Header=BB407_712 Depth=1
	s_or_b32 exec_lo, exec_lo, s0
	v_lshlrev_b32_e32 v3, 16, v3
	s_delay_alu instid0(VALU_DEP_1) | instskip(NEXT) | instid1(VALU_DEP_1)
	v_mul_f32_e32 v52, v80, v3
	v_and_b32_e32 v3, 0x7f800000, v52
	s_delay_alu instid0(VALU_DEP_1) | instskip(SKIP_1) | instid1(SALU_CYCLE_1)
	v_cmp_ne_u32_e32 vcc_lo, 0x7f800000, v3
                                        ; implicit-def: $vgpr3
	s_and_saveexec_b32 s0, vcc_lo
	s_xor_b32 s0, exec_lo, s0
; %bb.1636:                             ;   in Loop: Header=BB407_712 Depth=1
	v_bfe_u32 v3, v52, 16, 1
	s_delay_alu instid0(VALU_DEP_1)
	v_add3_u32 v3, v52, v3, 0x7fff
                                        ; implicit-def: $vgpr52
; %bb.1637:                             ;   in Loop: Header=BB407_712 Depth=1
	s_and_not1_saveexec_b32 s0, s0
; %bb.1638:                             ;   in Loop: Header=BB407_712 Depth=1
	v_and_b32_e32 v3, 0xffff, v52
	v_or_b32_e32 v53, 0x10000, v52
	s_delay_alu instid0(VALU_DEP_2) | instskip(NEXT) | instid1(VALU_DEP_2)
	v_cmp_eq_u32_e32 vcc_lo, 0, v3
	v_cndmask_b32_e32 v3, v53, v52, vcc_lo
; %bb.1639:                             ;   in Loop: Header=BB407_712 Depth=1
	s_or_b32 exec_lo, exec_lo, s0
	v_lshlrev_b32_e32 v9, 16, v9
	s_delay_alu instid0(VALU_DEP_1) | instskip(NEXT) | instid1(VALU_DEP_1)
	v_mul_f32_e32 v52, v81, v9
	v_and_b32_e32 v9, 0x7f800000, v52
	s_delay_alu instid0(VALU_DEP_1) | instskip(SKIP_1) | instid1(SALU_CYCLE_1)
	v_cmp_ne_u32_e32 vcc_lo, 0x7f800000, v9
                                        ; implicit-def: $vgpr9
	s_and_saveexec_b32 s0, vcc_lo
	s_xor_b32 s0, exec_lo, s0
; %bb.1640:                             ;   in Loop: Header=BB407_712 Depth=1
	v_bfe_u32 v9, v52, 16, 1
	s_delay_alu instid0(VALU_DEP_1)
	v_add3_u32 v9, v52, v9, 0x7fff
                                        ; implicit-def: $vgpr52
; %bb.1641:                             ;   in Loop: Header=BB407_712 Depth=1
	s_and_not1_saveexec_b32 s0, s0
; %bb.1642:                             ;   in Loop: Header=BB407_712 Depth=1
	v_and_b32_e32 v9, 0xffff, v52
	v_or_b32_e32 v53, 0x10000, v52
	s_delay_alu instid0(VALU_DEP_2) | instskip(NEXT) | instid1(VALU_DEP_2)
	v_cmp_eq_u32_e32 vcc_lo, 0, v9
	v_cndmask_b32_e32 v9, v53, v52, vcc_lo
; %bb.1643:                             ;   in Loop: Header=BB407_712 Depth=1
	s_or_b32 exec_lo, exec_lo, s0
	v_lshlrev_b32_e32 v52, 16, v40
	s_delay_alu instid0(VALU_DEP_1) | instskip(NEXT) | instid1(VALU_DEP_1)
	v_mul_f32_e32 v53, v98, v52
	v_and_b32_e32 v52, 0x7f800000, v53
	s_delay_alu instid0(VALU_DEP_1) | instskip(SKIP_1) | instid1(SALU_CYCLE_1)
	v_cmp_ne_u32_e32 vcc_lo, 0x7f800000, v52
                                        ; implicit-def: $vgpr52
	s_and_saveexec_b32 s0, vcc_lo
	s_xor_b32 s0, exec_lo, s0
; %bb.1644:                             ;   in Loop: Header=BB407_712 Depth=1
	v_bfe_u32 v52, v53, 16, 1
	s_delay_alu instid0(VALU_DEP_1)
	v_add3_u32 v52, v53, v52, 0x7fff
                                        ; implicit-def: $vgpr53
; %bb.1645:                             ;   in Loop: Header=BB407_712 Depth=1
	s_and_not1_saveexec_b32 s0, s0
; %bb.1646:                             ;   in Loop: Header=BB407_712 Depth=1
	v_and_b32_e32 v52, 0xffff, v53
	v_or_b32_e32 v54, 0x10000, v53
	s_delay_alu instid0(VALU_DEP_2) | instskip(NEXT) | instid1(VALU_DEP_2)
	v_cmp_eq_u32_e32 vcc_lo, 0, v52
	v_cndmask_b32_e32 v52, v54, v53, vcc_lo
; %bb.1647:                             ;   in Loop: Header=BB407_712 Depth=1
	s_or_b32 exec_lo, exec_lo, s0
	v_lshlrev_b32_e32 v53, 16, v179
	s_delay_alu instid0(VALU_DEP_1) | instskip(NEXT) | instid1(VALU_DEP_1)
	v_mul_f32_e32 v54, v99, v53
	v_and_b32_e32 v53, 0x7f800000, v54
	s_delay_alu instid0(VALU_DEP_1) | instskip(SKIP_1) | instid1(SALU_CYCLE_1)
	v_cmp_ne_u32_e32 vcc_lo, 0x7f800000, v53
                                        ; implicit-def: $vgpr53
	s_and_saveexec_b32 s0, vcc_lo
	s_xor_b32 s0, exec_lo, s0
; %bb.1648:                             ;   in Loop: Header=BB407_712 Depth=1
	v_bfe_u32 v53, v54, 16, 1
	s_delay_alu instid0(VALU_DEP_1)
	v_add3_u32 v53, v54, v53, 0x7fff
                                        ; implicit-def: $vgpr54
; %bb.1649:                             ;   in Loop: Header=BB407_712 Depth=1
	s_and_not1_saveexec_b32 s0, s0
; %bb.1650:                             ;   in Loop: Header=BB407_712 Depth=1
	v_and_b32_e32 v53, 0xffff, v54
	v_or_b32_e32 v55, 0x10000, v54
	s_delay_alu instid0(VALU_DEP_2) | instskip(NEXT) | instid1(VALU_DEP_2)
	v_cmp_eq_u32_e32 vcc_lo, 0, v53
	v_cndmask_b32_e32 v53, v55, v54, vcc_lo
; %bb.1651:                             ;   in Loop: Header=BB407_712 Depth=1
	s_or_b32 exec_lo, exec_lo, s0
	v_lshlrev_b32_e32 v8, 16, v8
	s_delay_alu instid0(VALU_DEP_1) | instskip(NEXT) | instid1(VALU_DEP_1)
	v_mul_f32_e32 v54, v100, v8
	v_and_b32_e32 v8, 0x7f800000, v54
	s_delay_alu instid0(VALU_DEP_1) | instskip(SKIP_1) | instid1(SALU_CYCLE_1)
	v_cmp_ne_u32_e32 vcc_lo, 0x7f800000, v8
                                        ; implicit-def: $vgpr8
	s_and_saveexec_b32 s0, vcc_lo
	s_xor_b32 s0, exec_lo, s0
; %bb.1652:                             ;   in Loop: Header=BB407_712 Depth=1
	v_bfe_u32 v8, v54, 16, 1
	s_delay_alu instid0(VALU_DEP_1)
	v_add3_u32 v8, v54, v8, 0x7fff
                                        ; implicit-def: $vgpr54
; %bb.1653:                             ;   in Loop: Header=BB407_712 Depth=1
	s_and_not1_saveexec_b32 s0, s0
	s_cbranch_execz .LBB407_710
; %bb.1654:                             ;   in Loop: Header=BB407_712 Depth=1
	v_and_b32_e32 v8, 0xffff, v54
	v_or_b32_e32 v55, 0x10000, v54
	s_delay_alu instid0(VALU_DEP_2) | instskip(NEXT) | instid1(VALU_DEP_2)
	v_cmp_eq_u32_e32 vcc_lo, 0, v8
	v_cndmask_b32_e32 v8, v55, v54, vcc_lo
	s_branch .LBB407_710
.LBB407_1655:
	s_or_b32 exec_lo, exec_lo, s10
	s_load_b32 s0, s[2:3], 0x0
	s_waitcnt lgkmcnt(0)
	v_mov_b32_e32 v0, s0
.LBB407_1656:
	s_or_b32 exec_lo, exec_lo, s7
	ds_bpermute_b32 v1, v17, v29
	ds_bpermute_b32 v2, v17, v28
	;; [unrolled: 1-line block ×7, first 2 shown]
	v_and_b32_e32 v7, 0x3c1, v82
	v_lshrrev_b32_e32 v8, 1, v16
	v_mad_u32_u24 v10, 0x1c0, v21, v0
	s_waitcnt lgkmcnt(0)
	s_waitcnt_vscnt null, 0x0
	s_barrier
	buffer_gl0_inv
	v_add_f32_e32 v9, v28, v2
	v_dual_add_f32 v3, v25, v3 :: v_dual_add_f32 v2, v19, v6
	v_add_f32_e32 v0, v18, v12
	v_add_f32_e32 v6, v31, v13
	v_cmp_eq_u32_e32 vcc_lo, 64, v7
	v_add_f32_e32 v7, v29, v1
	v_add_f32_e32 v1, v24, v11
	v_lshlrev_b32_e32 v11, 2, v8
	s_and_saveexec_b32 s0, vcc_lo
	s_cbranch_execz .LBB407_1658
; %bb.1657:
	s_delay_alu instid0(VALU_DEP_1)
	v_add3_u32 v12, v10, v11, 0xfffffc80
	ds_store_2addr_b32 v12, v7, v9 offset1:16
	ds_store_2addr_b32 v12, v3, v2 offset0:32 offset1:48
	ds_store_2addr_b32 v12, v1, v0 offset0:64 offset1:80
	ds_store_b32 v12, v6 offset:384
.LBB407_1658:
	s_or_b32 exec_lo, exec_lo, s0
	v_cmp_eq_u32_e32 vcc_lo, 0, v84
	s_mov_b32 s2, exec_lo
	s_waitcnt lgkmcnt(0)
	s_barrier
	buffer_gl0_inv
	v_cmpx_gt_u32_e32 64, v82
	s_cbranch_execz .LBB407_1668
; %bb.1659:
	s_and_saveexec_b32 s0, vcc_lo
	s_cbranch_execnz .LBB407_1712
; %bb.1660:
	s_or_b32 exec_lo, exec_lo, s0
	s_and_saveexec_b32 s0, vcc_lo
	s_cbranch_execnz .LBB407_1713
.LBB407_1661:
	s_or_b32 exec_lo, exec_lo, s0
	s_and_saveexec_b32 s0, vcc_lo
	s_cbranch_execnz .LBB407_1714
.LBB407_1662:
	s_or_b32 exec_lo, exec_lo, s0
	s_and_saveexec_b32 s0, vcc_lo
	s_cbranch_execnz .LBB407_1715
.LBB407_1663:
	s_or_b32 exec_lo, exec_lo, s0
	s_and_saveexec_b32 s0, vcc_lo
	s_cbranch_execnz .LBB407_1716
.LBB407_1664:
	s_or_b32 exec_lo, exec_lo, s0
	s_and_saveexec_b32 s0, vcc_lo
	s_cbranch_execnz .LBB407_1717
.LBB407_1665:
	s_or_b32 exec_lo, exec_lo, s0
	s_and_saveexec_b32 s0, vcc_lo
	s_cbranch_execz .LBB407_1667
.LBB407_1666:
	v_lshl_add_u32 v12, v8, 2, v10
	ds_load_b32 v12, v12 offset:384
	s_waitcnt lgkmcnt(0)
	v_add_f32_e32 v6, v6, v12
.LBB407_1667:
	s_or_b32 exec_lo, exec_lo, s0
.LBB407_1668:
	s_delay_alu instid0(SALU_CYCLE_1)
	s_or_b32 exec_lo, exec_lo, s2
	v_and_b32_e32 v12, 0x3e1, v82
	s_mov_b32 s2, exec_lo
	s_barrier
	buffer_gl0_inv
	v_cmpx_eq_u32_e32 32, v12
	s_cbranch_execz .LBB407_1670
; %bb.1669:
	v_add3_u32 v11, v10, v11, 0xfffffe40
	ds_store_2addr_b32 v11, v7, v9 offset1:16
	ds_store_2addr_b32 v11, v3, v2 offset0:32 offset1:48
	ds_store_2addr_b32 v11, v1, v0 offset0:64 offset1:80
	ds_store_b32 v11, v6 offset:384
.LBB407_1670:
	s_or_b32 exec_lo, exec_lo, s2
	v_cmp_gt_u32_e64 s0, 32, v82
	s_waitcnt lgkmcnt(0)
	s_barrier
	buffer_gl0_inv
	s_and_saveexec_b32 s2, s0
	s_cbranch_execz .LBB407_1680
; %bb.1671:
	v_lshl_add_u32 v8, v8, 2, v10
	s_and_saveexec_b32 s3, vcc_lo
	s_cbranch_execnz .LBB407_1718
; %bb.1672:
	s_or_b32 exec_lo, exec_lo, s3
	s_and_saveexec_b32 s3, vcc_lo
	s_cbranch_execnz .LBB407_1719
.LBB407_1673:
	s_or_b32 exec_lo, exec_lo, s3
	s_and_saveexec_b32 s3, vcc_lo
	s_cbranch_execnz .LBB407_1720
.LBB407_1674:
	s_or_b32 exec_lo, exec_lo, s3
	s_and_saveexec_b32 s3, vcc_lo
	s_cbranch_execnz .LBB407_1721
.LBB407_1675:
	s_or_b32 exec_lo, exec_lo, s3
	s_and_saveexec_b32 s3, vcc_lo
	s_cbranch_execnz .LBB407_1722
.LBB407_1676:
	s_or_b32 exec_lo, exec_lo, s3
	s_and_saveexec_b32 s3, vcc_lo
	s_cbranch_execnz .LBB407_1723
.LBB407_1677:
	s_or_b32 exec_lo, exec_lo, s3
	s_and_saveexec_b32 s3, vcc_lo
	s_cbranch_execz .LBB407_1679
.LBB407_1678:
	ds_load_b32 v8, v8 offset:384
	s_waitcnt lgkmcnt(0)
	v_add_f32_e32 v6, v6, v8
.LBB407_1679:
	s_or_b32 exec_lo, exec_lo, s3
.LBB407_1680:
	s_delay_alu instid0(SALU_CYCLE_1)
	s_or_b32 exec_lo, exec_lo, s2
	s_barrier
	buffer_gl0_inv
	s_and_b32 exec_lo, exec_lo, s0
	s_cbranch_execz .LBB407_1711
; %bb.1681:
	s_and_b32 exec_lo, exec_lo, vcc_lo
	s_cbranch_execz .LBB407_1711
; %bb.1682:
	v_and_b32_e32 v8, 0x7f800000, v7
	s_mov_b32 s0, exec_lo
                                        ; implicit-def: $vgpr10
	s_delay_alu instid0(VALU_DEP_1)
	v_cmpx_ne_u32_e32 0x7f800000, v8
	s_xor_b32 s0, exec_lo, s0
; %bb.1683:
	v_bfe_u32 v8, v7, 16, 1
	s_delay_alu instid0(VALU_DEP_1)
	v_add3_u32 v10, v7, v8, 0x7fff
; %bb.1684:
	s_and_not1_saveexec_b32 s0, s0
; %bb.1685:
	v_and_b32_e32 v8, 0xffff, v7
	v_or_b32_e32 v10, 0x10000, v7
	s_delay_alu instid0(VALU_DEP_2) | instskip(NEXT) | instid1(VALU_DEP_2)
	v_cmp_eq_u32_e32 vcc_lo, 0, v8
	v_cndmask_b32_e32 v10, v10, v7, vcc_lo
; %bb.1686:
	s_or_b32 exec_lo, exec_lo, s0
	s_mul_i32 s2, s1, s4
	s_mul_i32 s0, s6, s1
	;; [unrolled: 1-line block ×5, first 2 shown]
	s_ashr_i32 s1, s0, 31
	s_ashr_i32 s3, s2, 31
	;; [unrolled: 1-line block ×3, first 2 shown]
	s_lshl_b64 s[0:1], s[0:1], 1
	s_lshl_b64 s[2:3], s[2:3], 1
	;; [unrolled: 1-line block ×3, first 2 shown]
	s_add_u32 s0, s2, s0
	s_addc_u32 s1, s3, s1
	s_add_u32 s0, s0, s6
	s_addc_u32 s1, s1, s7
	v_lshlrev_b32_e32 v7, 1, v39
	v_add_co_u32 v4, vcc_lo, s0, v4
	v_add_co_ci_u32_e32 v5, vcc_lo, s1, v5, vcc_lo
	v_and_b32_e32 v11, 0x7f800000, v9
	s_delay_alu instid0(VALU_DEP_3) | instskip(NEXT) | instid1(VALU_DEP_3)
	v_add_co_u32 v7, vcc_lo, v4, v7
	v_add_co_ci_u32_e32 v8, vcc_lo, 0, v5, vcc_lo
	s_mov_b32 s0, exec_lo
                                        ; implicit-def: $vgpr4
	flat_store_d16_hi_b16 v[7:8], v10
	v_cmpx_ne_u32_e32 0x7f800000, v11
	s_xor_b32 s0, exec_lo, s0
; %bb.1687:
	v_bfe_u32 v4, v9, 16, 1
	s_delay_alu instid0(VALU_DEP_1)
	v_add3_u32 v4, v9, v4, 0x7fff
; %bb.1688:
	s_and_not1_saveexec_b32 s0, s0
; %bb.1689:
	v_and_b32_e32 v4, 0xffff, v9
	v_or_b32_e32 v5, 0x10000, v9
	s_delay_alu instid0(VALU_DEP_2) | instskip(NEXT) | instid1(VALU_DEP_2)
	v_cmp_eq_u32_e32 vcc_lo, 0, v4
	v_cndmask_b32_e32 v4, v5, v9, vcc_lo
; %bb.1690:
	s_or_b32 exec_lo, exec_lo, s0
	v_and_b32_e32 v5, 0x7f800000, v3
	s_mov_b32 s0, exec_lo
	flat_store_d16_hi_b16 v[7:8], v4 offset:32
                                        ; implicit-def: $vgpr4
	v_cmpx_ne_u32_e32 0x7f800000, v5
	s_xor_b32 s0, exec_lo, s0
; %bb.1691:
	v_bfe_u32 v4, v3, 16, 1
	s_delay_alu instid0(VALU_DEP_1)
	v_add3_u32 v4, v3, v4, 0x7fff
; %bb.1692:
	s_and_not1_saveexec_b32 s0, s0
; %bb.1693:
	v_and_b32_e32 v4, 0xffff, v3
	v_or_b32_e32 v5, 0x10000, v3
	s_delay_alu instid0(VALU_DEP_2) | instskip(NEXT) | instid1(VALU_DEP_2)
	v_cmp_eq_u32_e32 vcc_lo, 0, v4
	v_cndmask_b32_e32 v4, v5, v3, vcc_lo
; %bb.1694:
	s_or_b32 exec_lo, exec_lo, s0
	v_and_b32_e32 v3, 0x7f800000, v2
	flat_store_d16_hi_b16 v[7:8], v4 offset:64
	v_cmp_ne_u32_e32 vcc_lo, 0x7f800000, v3
                                        ; implicit-def: $vgpr3
	s_and_saveexec_b32 s0, vcc_lo
	s_delay_alu instid0(SALU_CYCLE_1)
	s_xor_b32 s0, exec_lo, s0
; %bb.1695:
	v_bfe_u32 v3, v2, 16, 1
	s_delay_alu instid0(VALU_DEP_1)
	v_add3_u32 v3, v2, v3, 0x7fff
; %bb.1696:
	s_and_not1_saveexec_b32 s0, s0
; %bb.1697:
	v_and_b32_e32 v3, 0xffff, v2
	v_or_b32_e32 v4, 0x10000, v2
	s_delay_alu instid0(VALU_DEP_2) | instskip(NEXT) | instid1(VALU_DEP_2)
	v_cmp_eq_u32_e32 vcc_lo, 0, v3
	v_cndmask_b32_e32 v3, v4, v2, vcc_lo
; %bb.1698:
	s_or_b32 exec_lo, exec_lo, s0
	v_and_b32_e32 v2, 0x7f800000, v1
	flat_store_d16_hi_b16 v[7:8], v3 offset:96
	v_cmp_ne_u32_e32 vcc_lo, 0x7f800000, v2
                                        ; implicit-def: $vgpr2
	s_and_saveexec_b32 s0, vcc_lo
	s_delay_alu instid0(SALU_CYCLE_1)
	s_xor_b32 s0, exec_lo, s0
; %bb.1699:
	v_bfe_u32 v2, v1, 16, 1
	s_delay_alu instid0(VALU_DEP_1)
	v_add3_u32 v2, v1, v2, 0x7fff
; %bb.1700:
	s_and_not1_saveexec_b32 s0, s0
; %bb.1701:
	v_and_b32_e32 v2, 0xffff, v1
	v_or_b32_e32 v3, 0x10000, v1
	s_delay_alu instid0(VALU_DEP_2) | instskip(NEXT) | instid1(VALU_DEP_2)
	v_cmp_eq_u32_e32 vcc_lo, 0, v2
	v_cndmask_b32_e32 v2, v3, v1, vcc_lo
; %bb.1702:
	s_or_b32 exec_lo, exec_lo, s0
	v_and_b32_e32 v1, 0x7f800000, v0
	flat_store_d16_hi_b16 v[7:8], v2 offset:128
	v_cmp_ne_u32_e32 vcc_lo, 0x7f800000, v1
                                        ; implicit-def: $vgpr1
	s_and_saveexec_b32 s0, vcc_lo
	s_delay_alu instid0(SALU_CYCLE_1)
	s_xor_b32 s0, exec_lo, s0
; %bb.1703:
	v_bfe_u32 v1, v0, 16, 1
	s_delay_alu instid0(VALU_DEP_1)
	v_add3_u32 v1, v0, v1, 0x7fff
; %bb.1704:
	s_and_not1_saveexec_b32 s0, s0
; %bb.1705:
	v_and_b32_e32 v1, 0xffff, v0
	v_or_b32_e32 v2, 0x10000, v0
	s_delay_alu instid0(VALU_DEP_2) | instskip(NEXT) | instid1(VALU_DEP_2)
	v_cmp_eq_u32_e32 vcc_lo, 0, v1
	v_cndmask_b32_e32 v1, v2, v0, vcc_lo
; %bb.1706:
	s_or_b32 exec_lo, exec_lo, s0
	v_and_b32_e32 v0, 0x7f800000, v6
	s_mov_b32 s0, exec_lo
	flat_store_d16_hi_b16 v[7:8], v1 offset:160
                                        ; implicit-def: $vgpr9
	v_cmpx_ne_u32_e32 0x7f800000, v0
	s_xor_b32 s0, exec_lo, s0
; %bb.1707:
	v_bfe_u32 v0, v6, 16, 1
	s_delay_alu instid0(VALU_DEP_1)
	v_add3_u32 v9, v6, v0, 0x7fff
                                        ; implicit-def: $vgpr0_vgpr1_vgpr2_vgpr3_vgpr4_vgpr5_vgpr6
; %bb.1708:
	s_and_not1_saveexec_b32 s0, s0
; %bb.1709:
	v_and_b32_e32 v0, 0xffff, v6
	v_or_b32_e32 v1, 0x10000, v6
	s_delay_alu instid0(VALU_DEP_2) | instskip(NEXT) | instid1(VALU_DEP_2)
	v_cmp_eq_u32_e32 vcc_lo, 0, v0
	v_cndmask_b32_e32 v9, v1, v6, vcc_lo
; %bb.1710:
	s_or_b32 exec_lo, exec_lo, s0
	flat_store_d16_hi_b16 v[7:8], v9 offset:192
.LBB407_1711:
	s_or_b32 exec_lo, exec_lo, s5
	s_clause 0x1f
	scratch_load_b32 v139, off, s32 offset:8
	scratch_load_b32 v138, off, s32 offset:12
	;; [unrolled: 1-line block ×32, first 2 shown]
	s_clause 0x13
	scratch_load_b32 v75, off, s32 offset:136
	scratch_load_b32 v74, off, s32 offset:140
	;; [unrolled: 1-line block ×20, first 2 shown]
	s_waitcnt vmcnt(0) lgkmcnt(0)
	s_setpc_b64 s[30:31]
.LBB407_1712:
	v_lshl_add_u32 v12, v8, 2, v10
	ds_load_b32 v12, v12
	s_waitcnt lgkmcnt(0)
	v_add_f32_e32 v7, v7, v12
	s_or_b32 exec_lo, exec_lo, s0
	s_and_saveexec_b32 s0, vcc_lo
	s_cbranch_execz .LBB407_1661
.LBB407_1713:
	v_lshl_add_u32 v12, v8, 2, v10
	ds_load_b32 v12, v12 offset:64
	s_waitcnt lgkmcnt(0)
	v_add_f32_e32 v9, v9, v12
	s_or_b32 exec_lo, exec_lo, s0
	s_and_saveexec_b32 s0, vcc_lo
	s_cbranch_execz .LBB407_1662
.LBB407_1714:
	v_lshl_add_u32 v12, v8, 2, v10
	ds_load_b32 v12, v12 offset:128
	s_waitcnt lgkmcnt(0)
	v_add_f32_e32 v3, v3, v12
	s_or_b32 exec_lo, exec_lo, s0
	s_and_saveexec_b32 s0, vcc_lo
	s_cbranch_execz .LBB407_1663
.LBB407_1715:
	v_lshl_add_u32 v12, v8, 2, v10
	ds_load_b32 v12, v12 offset:192
	s_waitcnt lgkmcnt(0)
	v_add_f32_e32 v2, v2, v12
	s_or_b32 exec_lo, exec_lo, s0
	s_and_saveexec_b32 s0, vcc_lo
	s_cbranch_execz .LBB407_1664
.LBB407_1716:
	v_lshl_add_u32 v12, v8, 2, v10
	ds_load_b32 v12, v12 offset:256
	s_waitcnt lgkmcnt(0)
	v_add_f32_e32 v1, v1, v12
	s_or_b32 exec_lo, exec_lo, s0
	s_and_saveexec_b32 s0, vcc_lo
	s_cbranch_execz .LBB407_1665
.LBB407_1717:
	v_lshl_add_u32 v12, v8, 2, v10
	ds_load_b32 v12, v12 offset:320
	s_waitcnt lgkmcnt(0)
	v_add_f32_e32 v0, v0, v12
	s_or_b32 exec_lo, exec_lo, s0
	s_and_saveexec_b32 s0, vcc_lo
	s_cbranch_execnz .LBB407_1666
	s_branch .LBB407_1667
.LBB407_1718:
	ds_load_b32 v10, v8
	s_waitcnt lgkmcnt(0)
	v_add_f32_e32 v7, v7, v10
	s_or_b32 exec_lo, exec_lo, s3
	s_and_saveexec_b32 s3, vcc_lo
	s_cbranch_execz .LBB407_1673
.LBB407_1719:
	ds_load_b32 v10, v8 offset:64
	s_waitcnt lgkmcnt(0)
	v_add_f32_e32 v9, v9, v10
	s_or_b32 exec_lo, exec_lo, s3
	s_and_saveexec_b32 s3, vcc_lo
	s_cbranch_execz .LBB407_1674
.LBB407_1720:
	ds_load_b32 v10, v8 offset:128
	s_waitcnt lgkmcnt(0)
	v_add_f32_e32 v3, v3, v10
	s_or_b32 exec_lo, exec_lo, s3
	s_and_saveexec_b32 s3, vcc_lo
	s_cbranch_execz .LBB407_1675
.LBB407_1721:
	ds_load_b32 v10, v8 offset:192
	s_waitcnt lgkmcnt(0)
	v_add_f32_e32 v2, v2, v10
	s_or_b32 exec_lo, exec_lo, s3
	s_and_saveexec_b32 s3, vcc_lo
	s_cbranch_execz .LBB407_1676
.LBB407_1722:
	ds_load_b32 v10, v8 offset:256
	s_waitcnt lgkmcnt(0)
	v_add_f32_e32 v1, v1, v10
	s_or_b32 exec_lo, exec_lo, s3
	s_and_saveexec_b32 s3, vcc_lo
	s_cbranch_execz .LBB407_1677
.LBB407_1723:
	ds_load_b32 v10, v8 offset:320
	s_waitcnt lgkmcnt(0)
	v_add_f32_e32 v0, v0, v10
	s_or_b32 exec_lo, exec_lo, s3
	s_and_saveexec_b32 s3, vcc_lo
	s_cbranch_execnz .LBB407_1678
	s_branch .LBB407_1679
.Lfunc_end407:
	.size	_ZN4vllm22paged_attention_kernelI14__hip_bfloat16hLi112ELi16ELi128ELNS_18Fp8KVCacheDataTypeE1ELb1ELi512EEEvPfS3_PT_PKS4_PKT0_SA_ifPKiSC_iPKfiiiSE_SE_iiiii, .Lfunc_end407-_ZN4vllm22paged_attention_kernelI14__hip_bfloat16hLi112ELi16ELi128ELNS_18Fp8KVCacheDataTypeE1ELb1ELi512EEEvPfS3_PT_PKS4_PKT0_SA_ifPKiSC_iPKfiiiSE_SE_iiiii
                                        ; -- End function
	.section	.AMDGPU.csdata,"",@progbits
; Function info:
; codeLenInByte = 53008
; NumSgprs: 35
; NumVgprs: 184
; ScratchSize: 220
; MemoryBound: 0
	.section	.text._ZN4vllm25paged_attention_v2_kernelI14__hip_bfloat16hLi112ELi16ELi128ELNS_18Fp8KVCacheDataTypeE1ELb1ELi512EEEvPfS3_PT_PKS4_PKT0_SA_ifPKiSC_iPKfiiiSE_SE_iiiii,"axG",@progbits,_ZN4vllm25paged_attention_v2_kernelI14__hip_bfloat16hLi112ELi16ELi128ELNS_18Fp8KVCacheDataTypeE1ELb1ELi512EEEvPfS3_PT_PKS4_PKT0_SA_ifPKiSC_iPKfiiiSE_SE_iiiii,comdat
	.protected	_ZN4vllm25paged_attention_v2_kernelI14__hip_bfloat16hLi112ELi16ELi128ELNS_18Fp8KVCacheDataTypeE1ELb1ELi512EEEvPfS3_PT_PKS4_PKT0_SA_ifPKiSC_iPKfiiiSE_SE_iiiii ; -- Begin function _ZN4vllm25paged_attention_v2_kernelI14__hip_bfloat16hLi112ELi16ELi128ELNS_18Fp8KVCacheDataTypeE1ELb1ELi512EEEvPfS3_PT_PKS4_PKT0_SA_ifPKiSC_iPKfiiiSE_SE_iiiii
	.globl	_ZN4vllm25paged_attention_v2_kernelI14__hip_bfloat16hLi112ELi16ELi128ELNS_18Fp8KVCacheDataTypeE1ELb1ELi512EEEvPfS3_PT_PKS4_PKT0_SA_ifPKiSC_iPKfiiiSE_SE_iiiii
	.p2align	8
	.type	_ZN4vllm25paged_attention_v2_kernelI14__hip_bfloat16hLi112ELi16ELi128ELNS_18Fp8KVCacheDataTypeE1ELb1ELi512EEEvPfS3_PT_PKS4_PKT0_SA_ifPKiSC_iPKfiiiSE_SE_iiiii,@function
_ZN4vllm25paged_attention_v2_kernelI14__hip_bfloat16hLi112ELi16ELi128ELNS_18Fp8KVCacheDataTypeE1ELb1ELi512EEEvPfS3_PT_PKS4_PKT0_SA_ifPKiSC_iPKfiiiSE_SE_iiiii: ; @_ZN4vllm25paged_attention_v2_kernelI14__hip_bfloat16hLi112ELi16ELi128ELNS_18Fp8KVCacheDataTypeE1ELb1ELi512EEEvPfS3_PT_PKS4_PKT0_SA_ifPKiSC_iPKfiiiSE_SE_iiiii
; %bb.0:
	s_mov_b32 s12, s13
	s_clause 0x7
	s_load_b128 s[4:7], s[0:1], 0x78
	s_load_b32 s8, s[0:1], 0x88
	s_load_b256 s[24:31], s[0:1], 0x0
	s_load_b256 s[36:43], s[0:1], 0x20
	s_load_b64 s[2:3], s[0:1], 0x40
	s_load_b64 s[10:11], s[0:1], 0x50
	s_load_b32 s13, s[0:1], 0x48
	s_load_b256 s[16:23], s[0:1], 0x58
	s_mov_b32 s32, 0
	v_mov_b32_e32 v31, v0
	s_waitcnt lgkmcnt(0)
	v_dual_mov_b32 v1, s7 :: v_dual_mov_b32 v2, s8
	v_dual_mov_b32 v0, s24 :: v_dual_mov_b32 v3, s27
	;; [unrolled: 1-line block ×3, first 2 shown]
	v_mov_b32_e32 v6, s30
	scratch_store_b64 off, v[1:2], s32
	v_dual_mov_b32 v1, s25 :: v_dual_mov_b32 v2, s26
	v_dual_mov_b32 v7, s31 :: v_dual_mov_b32 v8, s36
	;; [unrolled: 1-line block ×13, first 2 shown]
	s_add_u32 s8, s0, 0x90
	s_addc_u32 s9, s1, 0
	s_mov_b32 s13, s14
	s_mov_b32 s14, s15
	;; [unrolled: 1-line block ×3, first 2 shown]
	s_getpc_b64 s[0:1]
	s_add_u32 s0, s0, _ZN4vllm22paged_attention_kernelI14__hip_bfloat16hLi112ELi16ELi128ELNS_18Fp8KVCacheDataTypeE1ELb1ELi512EEEvPfS3_PT_PKS4_PKT0_SA_ifPKiSC_iPKfiiiSE_SE_iiiii@rel32@lo+4
	s_addc_u32 s1, s1, _ZN4vllm22paged_attention_kernelI14__hip_bfloat16hLi112ELi16ELi128ELNS_18Fp8KVCacheDataTypeE1ELb1ELi512EEEvPfS3_PT_PKS4_PKT0_SA_ifPKiSC_iPKfiiiSE_SE_iiiii@rel32@hi+12
	s_delay_alu instid0(SALU_CYCLE_1)
	s_swappc_b64 s[30:31], s[0:1]
	s_endpgm
	.section	.rodata,"a",@progbits
	.p2align	6, 0x0
	.amdhsa_kernel _ZN4vllm25paged_attention_v2_kernelI14__hip_bfloat16hLi112ELi16ELi128ELNS_18Fp8KVCacheDataTypeE1ELb1ELi512EEEvPfS3_PT_PKS4_PKT0_SA_ifPKiSC_iPKfiiiSE_SE_iiiii
		.amdhsa_group_segment_fixed_size 256
		.amdhsa_private_segment_fixed_size 220
		.amdhsa_kernarg_size 400
		.amdhsa_user_sgpr_count 13
		.amdhsa_user_sgpr_dispatch_ptr 0
		.amdhsa_user_sgpr_queue_ptr 0
		.amdhsa_user_sgpr_kernarg_segment_ptr 1
		.amdhsa_user_sgpr_dispatch_id 0
		.amdhsa_user_sgpr_private_segment_size 0
		.amdhsa_wavefront_size32 1
		.amdhsa_uses_dynamic_stack 0
		.amdhsa_enable_private_segment 1
		.amdhsa_system_sgpr_workgroup_id_x 1
		.amdhsa_system_sgpr_workgroup_id_y 1
		.amdhsa_system_sgpr_workgroup_id_z 1
		.amdhsa_system_sgpr_workgroup_info 0
		.amdhsa_system_vgpr_workitem_id 0
		.amdhsa_next_free_vgpr 184
		.amdhsa_next_free_sgpr 44
		.amdhsa_reserve_vcc 1
		.amdhsa_float_round_mode_32 0
		.amdhsa_float_round_mode_16_64 0
		.amdhsa_float_denorm_mode_32 3
		.amdhsa_float_denorm_mode_16_64 3
		.amdhsa_dx10_clamp 1
		.amdhsa_ieee_mode 1
		.amdhsa_fp16_overflow 0
		.amdhsa_workgroup_processor_mode 1
		.amdhsa_memory_ordered 1
		.amdhsa_forward_progress 0
		.amdhsa_shared_vgpr_count 0
		.amdhsa_exception_fp_ieee_invalid_op 0
		.amdhsa_exception_fp_denorm_src 0
		.amdhsa_exception_fp_ieee_div_zero 0
		.amdhsa_exception_fp_ieee_overflow 0
		.amdhsa_exception_fp_ieee_underflow 0
		.amdhsa_exception_fp_ieee_inexact 0
		.amdhsa_exception_int_div_zero 0
	.end_amdhsa_kernel
	.section	.text._ZN4vllm25paged_attention_v2_kernelI14__hip_bfloat16hLi112ELi16ELi128ELNS_18Fp8KVCacheDataTypeE1ELb1ELi512EEEvPfS3_PT_PKS4_PKT0_SA_ifPKiSC_iPKfiiiSE_SE_iiiii,"axG",@progbits,_ZN4vllm25paged_attention_v2_kernelI14__hip_bfloat16hLi112ELi16ELi128ELNS_18Fp8KVCacheDataTypeE1ELb1ELi512EEEvPfS3_PT_PKS4_PKT0_SA_ifPKiSC_iPKfiiiSE_SE_iiiii,comdat
.Lfunc_end408:
	.size	_ZN4vllm25paged_attention_v2_kernelI14__hip_bfloat16hLi112ELi16ELi128ELNS_18Fp8KVCacheDataTypeE1ELb1ELi512EEEvPfS3_PT_PKS4_PKT0_SA_ifPKiSC_iPKfiiiSE_SE_iiiii, .Lfunc_end408-_ZN4vllm25paged_attention_v2_kernelI14__hip_bfloat16hLi112ELi16ELi128ELNS_18Fp8KVCacheDataTypeE1ELb1ELi512EEEvPfS3_PT_PKS4_PKT0_SA_ifPKiSC_iPKfiiiSE_SE_iiiii
                                        ; -- End function
	.section	.AMDGPU.csdata,"",@progbits
; Kernel info:
; codeLenInByte = 280
; NumSgprs: 46
; NumVgprs: 184
; ScratchSize: 220
; MemoryBound: 0
; FloatMode: 240
; IeeeMode: 1
; LDSByteSize: 256 bytes/workgroup (compile time only)
; SGPRBlocks: 5
; VGPRBlocks: 22
; NumSGPRsForWavesPerEU: 46
; NumVGPRsForWavesPerEU: 184
; Occupancy: 8
; WaveLimiterHint : 1
; COMPUTE_PGM_RSRC2:SCRATCH_EN: 1
; COMPUTE_PGM_RSRC2:USER_SGPR: 13
; COMPUTE_PGM_RSRC2:TRAP_HANDLER: 0
; COMPUTE_PGM_RSRC2:TGID_X_EN: 1
; COMPUTE_PGM_RSRC2:TGID_Y_EN: 1
; COMPUTE_PGM_RSRC2:TGID_Z_EN: 1
; COMPUTE_PGM_RSRC2:TIDIG_COMP_CNT: 0
	.text
	.p2align	2                               ; -- Begin function _ZN4vllm22paged_attention_kernelI14__hip_bfloat16hLi120ELi16ELi128ELNS_18Fp8KVCacheDataTypeE1ELb1ELi512EEEvPfS3_PT_PKS4_PKT0_SA_ifPKiSC_iPKfiiiSE_SE_iiiii
	.type	_ZN4vllm22paged_attention_kernelI14__hip_bfloat16hLi120ELi16ELi128ELNS_18Fp8KVCacheDataTypeE1ELb1ELi512EEEvPfS3_PT_PKS4_PKT0_SA_ifPKiSC_iPKfiiiSE_SE_iiiii,@function
_ZN4vllm22paged_attention_kernelI14__hip_bfloat16hLi120ELi16ELi128ELNS_18Fp8KVCacheDataTypeE1ELb1ELi512EEEvPfS3_PT_PKS4_PKT0_SA_ifPKiSC_iPKfiiiSE_SE_iiiii: ; @_ZN4vllm22paged_attention_kernelI14__hip_bfloat16hLi120ELi16ELi128ELNS_18Fp8KVCacheDataTypeE1ELb1ELi512EEEvPfS3_PT_PKS4_PKT0_SA_ifPKiSC_iPKfiiiSE_SE_iiiii
; %bb.0:
	s_waitcnt vmcnt(0) expcnt(0) lgkmcnt(0)
	s_clause 0x1f
	scratch_store_b32 off, v40, s32 offset:224
	; meta instruction
	scratch_store_b32 off, v41, s32 offset:220
	; meta instruction
	scratch_store_b32 off, v42, s32 offset:216
	; meta instruction
	scratch_store_b32 off, v43, s32 offset:212
	; meta instruction
	scratch_store_b32 off, v44, s32 offset:208
	; meta instruction
	scratch_store_b32 off, v45, s32 offset:204
	; meta instruction
	scratch_store_b32 off, v46, s32 offset:200
	; meta instruction
	scratch_store_b32 off, v47, s32 offset:196
	; meta instruction
	scratch_store_b32 off, v56, s32 offset:192
	; meta instruction
	scratch_store_b32 off, v57, s32 offset:188
	; meta instruction
	scratch_store_b32 off, v58, s32 offset:184
	; meta instruction
	scratch_store_b32 off, v59, s32 offset:180
	; meta instruction
	scratch_store_b32 off, v60, s32 offset:176
	; meta instruction
	scratch_store_b32 off, v61, s32 offset:172
	; meta instruction
	scratch_store_b32 off, v62, s32 offset:168
	; meta instruction
	scratch_store_b32 off, v63, s32 offset:164
	; meta instruction
	scratch_store_b32 off, v72, s32 offset:160
	; meta instruction
	scratch_store_b32 off, v73, s32 offset:156
	; meta instruction
	scratch_store_b32 off, v74, s32 offset:152
	; meta instruction
	scratch_store_b32 off, v75, s32 offset:148
	; meta instruction
	scratch_store_b32 off, v76, s32 offset:144
	; meta instruction
	scratch_store_b32 off, v77, s32 offset:140
	; meta instruction
	scratch_store_b32 off, v78, s32 offset:136
	; meta instruction
	scratch_store_b32 off, v79, s32 offset:132
	; meta instruction
	scratch_store_b32 off, v88, s32 offset:128
	; meta instruction
	scratch_store_b32 off, v89, s32 offset:124
	; meta instruction
	scratch_store_b32 off, v90, s32 offset:120
	; meta instruction
	scratch_store_b32 off, v91, s32 offset:116
	; meta instruction
	scratch_store_b32 off, v92, s32 offset:112
	; meta instruction
	scratch_store_b32 off, v93, s32 offset:108
	; meta instruction
	scratch_store_b32 off, v94, s32 offset:104
	; meta instruction
	scratch_store_b32 off, v95, s32 offset:100
	s_clause 0x16
	scratch_store_b32 off, v104, s32 offset:96
	; meta instruction
	scratch_store_b32 off, v105, s32 offset:92
	; meta instruction
	;; [unrolled: 2-line block ×22, first 2 shown]
	scratch_store_b32 off, v142, s32 offset:8
	s_mov_b32 s10, s13
	s_ashr_i32 s11, s13, 31
	s_lshl_b32 s16, s14, 9
	s_lshl_b64 s[0:1], s[10:11], 2
	s_mov_b32 s11, exec_lo
	v_add_co_u32 v16, vcc_lo, v16, s0
	v_add_co_ci_u32_e32 v17, vcc_lo, s1, v17, vcc_lo
	flat_load_b32 v83, v[16:17]
	s_clause 0x1
	scratch_load_b32 v32, off, s32 offset:4
	scratch_load_b32 v33, off, s32
	s_waitcnt vmcnt(2) lgkmcnt(0)
	v_cmpx_lt_i32_e64 s16, v83
	s_cbranch_execz .LBB409_1921
; %bb.1:
	v_sub_nc_u32_e32 v16, 0, v12
	s_clause 0x1
	s_load_b32 s0, s[8:9], 0x10
	s_load_b32 s1, s[8:9], 0x0
	s_mov_b32 s6, s15
	v_mov_b32_e32 v102, 0
	v_max_i32_e32 v16, v12, v16
	s_delay_alu instid0(VALU_DEP_1) | instskip(SKIP_1) | instid1(VALU_DEP_2)
	v_cvt_f32_u32_e32 v17, v16
	v_sub_nc_u32_e32 v34, 0, v16
	v_rcp_iflag_f32_e32 v17, v17
	s_waitcnt lgkmcnt(0)
	s_lshr_b32 s0, s0, 16
	s_delay_alu instid0(SALU_CYCLE_1) | instskip(SKIP_3) | instid1(SALU_CYCLE_1)
	s_cmp_lg_u32 s0, 0
	s_waitcnt_depctr 0xfff
	v_mul_f32_e32 v17, 0x4f7ffffe, v17
	s_cselect_b32 s0, -1, 0
	s_cmp_lg_u32 s0, 0
	s_delay_alu instid0(VALU_DEP_1) | instskip(SKIP_3) | instid1(VALU_DEP_1)
	v_cvt_u32_f32_e32 v17, v17
	s_addc_u32 s15, s1, 0
	s_mov_b32 s1, exec_lo
	s_abs_i32 s0, s15
	v_mul_lo_u32 v34, v34, v17
	s_delay_alu instid0(VALU_DEP_1) | instskip(NEXT) | instid1(VALU_DEP_1)
	v_mul_hi_u32 v34, v17, v34
	v_add_nc_u32_e32 v17, v17, v34
	s_delay_alu instid0(VALU_DEP_1) | instskip(NEXT) | instid1(VALU_DEP_1)
	v_mul_hi_u32 v17, s0, v17
	v_mul_lo_u32 v34, v17, v16
	v_add_nc_u32_e32 v35, 1, v17
	s_delay_alu instid0(VALU_DEP_2) | instskip(SKIP_1) | instid1(VALU_DEP_1)
	v_sub_nc_u32_e32 v34, s0, v34
	s_abs_i32 s0, s12
	v_sub_nc_u32_e32 v36, v34, v16
	v_cmp_ge_u32_e32 vcc_lo, v34, v16
	s_delay_alu instid0(VALU_DEP_2) | instskip(SKIP_1) | instid1(VALU_DEP_2)
	v_dual_cndmask_b32 v17, v17, v35 :: v_dual_cndmask_b32 v34, v34, v36
	v_xor_b32_e32 v35, s15, v12
	v_add_nc_u32_e32 v36, 1, v17
	s_delay_alu instid0(VALU_DEP_3) | instskip(NEXT) | instid1(VALU_DEP_3)
	v_cmp_ge_u32_e32 vcc_lo, v34, v16
	v_ashrrev_i32_e32 v35, 31, v35
	s_delay_alu instid0(VALU_DEP_3) | instskip(NEXT) | instid1(VALU_DEP_1)
	v_cndmask_b32_e32 v16, v17, v36, vcc_lo
	v_xor_b32_e32 v16, v16, v35
	s_delay_alu instid0(VALU_DEP_1) | instskip(NEXT) | instid1(VALU_DEP_1)
	v_sub_nc_u32_e32 v35, v16, v35
	v_sub_nc_u32_e32 v16, 0, v35
	s_delay_alu instid0(VALU_DEP_1) | instskip(NEXT) | instid1(VALU_DEP_1)
	v_max_i32_e32 v34, v35, v16
	v_cvt_f32_u32_e32 v16, v34
	v_sub_nc_u32_e32 v17, 0, v34
	s_delay_alu instid0(VALU_DEP_2) | instskip(SKIP_2) | instid1(VALU_DEP_1)
	v_rcp_iflag_f32_e32 v16, v16
	s_waitcnt_depctr 0xfff
	v_mul_f32_e32 v16, 0x4f7ffffe, v16
	v_cvt_u32_f32_e32 v16, v16
	s_delay_alu instid0(VALU_DEP_1) | instskip(NEXT) | instid1(VALU_DEP_1)
	v_mul_lo_u32 v17, v17, v16
	v_mul_hi_u32 v17, v16, v17
	s_delay_alu instid0(VALU_DEP_1) | instskip(NEXT) | instid1(VALU_DEP_1)
	v_add_nc_u32_e32 v36, v16, v17
	v_mad_u64_u32 v[16:17], null, s0, v36, 0
	v_cmpx_ne_u64_e32 0, v[19:20]
	s_cbranch_execz .LBB409_3
; %bb.2:
	s_ashr_i32 s13, s12, 31
	s_delay_alu instid0(SALU_CYCLE_1) | instskip(NEXT) | instid1(SALU_CYCLE_1)
	s_lshl_b64 s[2:3], s[12:13], 2
	v_add_co_u32 v19, vcc_lo, v19, s2
	v_add_co_ci_u32_e32 v20, vcc_lo, s3, v20, vcc_lo
	flat_load_b32 v102, v[19:20]
.LBB409_3:
	s_or_b32 exec_lo, exec_lo, s1
	v_and_b32_e32 v82, 0x3ff, v31
	v_ashrrev_i32_e32 v16, 31, v35
	s_ashr_i32 s1, s12, 31
	s_mul_i32 s4, s12, 0x78
	s_mov_b32 s2, exec_lo
	v_lshrrev_b32_e32 v39, 1, v82
	v_and_b32_e32 v84, 1, v82
	v_lshlrev_b32_e32 v98, 3, v82
	v_cmpx_gt_u32_e32 30, v82
	s_cbranch_execz .LBB409_5
; %bb.4:
	v_mul_lo_u32 v19, s10, v21
	s_ashr_i32 s5, s4, 31
	s_delay_alu instid0(SALU_CYCLE_1) | instskip(NEXT) | instid1(VALU_DEP_1)
	s_lshl_b64 s[18:19], s[4:5], 1
	v_ashrrev_i32_e32 v20, 31, v19
	s_delay_alu instid0(VALU_DEP_1) | instskip(NEXT) | instid1(VALU_DEP_1)
	v_lshlrev_b64 v[19:20], 1, v[19:20]
	v_add_co_u32 v6, vcc_lo, v6, v19
	s_delay_alu instid0(VALU_DEP_2) | instskip(SKIP_1) | instid1(VALU_DEP_3)
	v_add_co_ci_u32_e32 v7, vcc_lo, v7, v20, vcc_lo
	v_lshlrev_b32_e32 v19, 3, v39
	v_add_co_u32 v6, vcc_lo, v6, s18
	s_delay_alu instid0(VALU_DEP_3) | instskip(NEXT) | instid1(VALU_DEP_3)
	v_add_co_ci_u32_e32 v7, vcc_lo, s19, v7, vcc_lo
	v_mad_u32_u24 v19, 0x78, v84, v19
	s_delay_alu instid0(VALU_DEP_3) | instskip(NEXT) | instid1(VALU_DEP_3)
	v_add_co_u32 v6, vcc_lo, v6, v98
	v_add_co_ci_u32_e32 v7, vcc_lo, 0, v7, vcc_lo
	flat_load_b64 v[6:7], v[6:7]
	s_waitcnt vmcnt(0) lgkmcnt(0)
	ds_store_b64 v19, v[6:7]
.LBB409_5:
	s_or_b32 exec_lo, exec_lo, s2
	s_waitcnt vmcnt(0)
	v_sub_nc_u32_e32 v6, 0, v33
	v_mul_lo_u32 v7, v17, v34
	v_add_nc_u32_e32 v20, 1, v17
	v_xor_b32_e32 v35, s1, v16
	s_waitcnt lgkmcnt(0)
	s_waitcnt_vscnt null, 0x0
	v_max_i32_e32 v85, v33, v6
	s_barrier
	buffer_gl0_inv
	v_sub_nc_u32_e32 v7, s0, v7
	v_cvt_f32_u32_e32 v6, v85
	v_sub_nc_u32_e32 v19, 0, v85
	s_mov_b32 s0, exec_lo
	s_delay_alu instid0(VALU_DEP_3) | instskip(NEXT) | instid1(VALU_DEP_3)
	v_cmp_ge_u32_e32 vcc_lo, v7, v34
	v_rcp_iflag_f32_e32 v6, v6
	v_sub_nc_u32_e32 v21, v7, v34
	v_dual_cndmask_b32 v20, v17, v20 :: v_dual_add_nc_u32 v17, -1, v83
	s_delay_alu instid0(VALU_DEP_2) | instskip(SKIP_4) | instid1(VALU_DEP_3)
	v_cndmask_b32_e32 v7, v7, v21, vcc_lo
	s_waitcnt_depctr 0xfff
	v_dual_mul_f32 v6, 0x4f7ffffe, v6 :: v_dual_add_nc_u32 v21, 1, v20
	v_cmp_ge_u32_e32 vcc_lo, v7, v34
	v_sub_nc_u32_e32 v31, 0, v17
	v_cvt_u32_f32_e32 v6, v6
	s_delay_alu instid0(VALU_DEP_2) | instskip(NEXT) | instid1(VALU_DEP_2)
	v_max_i32_e32 v16, v17, v31
	v_mul_lo_u32 v19, v19, v6
	s_delay_alu instid0(VALU_DEP_1) | instskip(SKIP_1) | instid1(VALU_DEP_2)
	v_mul_hi_u32 v19, v6, v19
	v_cndmask_b32_e32 v7, v20, v21, vcc_lo
                                        ; implicit-def: $vgpr20
	v_add_nc_u32_e32 v86, v6, v19
	s_delay_alu instid0(VALU_DEP_2) | instskip(NEXT) | instid1(VALU_DEP_2)
	v_xor_b32_e32 v19, v7, v35
	v_mad_u64_u32 v[6:7], null, v16, v86, 0
	s_delay_alu instid0(VALU_DEP_2)
	v_sub_nc_u32_e32 v6, v19, v35
	v_cmpx_gt_i32_e32 0, v32
	s_xor_b32 s0, exec_lo, s0
; %bb.6:
	s_delay_alu instid0(VALU_DEP_2) | instskip(NEXT) | instid1(VALU_DEP_1)
	v_mad_u64_u32 v[19:20], null, v28, v12, v[6:7]
                                        ; implicit-def: $vgpr28
	v_mul_lo_u32 v12, v19, v32
                                        ; implicit-def: $vgpr32
	s_delay_alu instid0(VALU_DEP_1)
	v_sub_nc_u32_e32 v20, 1, v12
; %bb.7:
	s_or_saveexec_b32 s0, s0
	v_ashrrev_i32_e32 v12, 31, v17
	v_ashrrev_i32_e32 v87, 31, v33
	s_xor_b32 exec_lo, exec_lo, s0
; %bb.8:
	v_mad_u64_u32 v[19:20], null, s15, v28, s[12:13]
	s_delay_alu instid0(VALU_DEP_1)
	v_mad_u64_u32 v[20:21], null, v19, v32, 1
; %bb.9:
	s_or_b32 exec_lo, exec_lo, s0
	v_mul_lo_u32 v17, v7, v85
	v_dual_mov_b32 v112, 0xff7fffff :: v_dual_add_nc_u32 v19, 15, v83
	v_xor_b32_e32 v28, v12, v87
	v_mul_lo_u32 v99, v6, v23
	s_clause 0x1
	s_load_b32 s17, s[8:9], 0x14
	s_load_b32 s5, s[8:9], 0x8
	v_ashrrev_i32_e32 v12, 31, v19
	v_lshrrev_b32_e32 v21, 5, v82
	v_sub_nc_u32_e32 v17, v16, v17
	v_mul_lo_u32 v16, s10, v18
	v_add_nc_u32_e32 v18, 1, v7
	v_lshrrev_b32_e32 v12, 28, v12
	s_lshl_b32 s13, s14, 5
	v_sub_nc_u32_e32 v31, v17, v85
	v_cmp_ge_u32_e32 vcc_lo, v17, v85
	s_add_i32 s0, s13, 32
	v_or_b32_e32 v64, s13, v21
	v_sub_nc_u32_e32 v100, 0, v30
	v_add_nc_u32_e32 v6, v19, v12
	v_cndmask_b32_e32 v7, v7, v18, vcc_lo
	v_cndmask_b32_e32 v17, v17, v31, vcc_lo
	v_lshl_add_u32 v96, v21, 4, s16
	v_ashrrev_i32_e32 v101, 31, v99
	v_ashrrev_i32_e32 v12, 4, v6
	v_add_nc_u32_e32 v18, 1, v7
	v_cmp_ge_u32_e32 vcc_lo, v17, v85
	v_ashrrev_i32_e32 v17, 31, v16
	v_ashrrev_i32_e32 v65, 31, v64
	v_min_i32_e32 v23, s0, v12
	v_mbcnt_lo_u32_b32 v103, -1, 0
	v_cndmask_b32_e32 v7, v7, v18, vcc_lo
	v_lshlrev_b64 v[66:67], 2, v[16:17]
	s_mov_b32 s18, exec_lo
	v_cmp_ge_i32_e64 s0, v64, v23
	s_delay_alu instid0(VALU_DEP_3) | instskip(NEXT) | instid1(VALU_DEP_1)
	v_xor_b32_e32 v6, v7, v28
	v_sub_nc_u32_e32 v6, v6, v28
	s_delay_alu instid0(VALU_DEP_1)
	v_sub_nc_u32_e32 v97, v6, v29
	v_cmpx_lt_i32_e64 v64, v23
	s_cbranch_execz .LBB409_739
; %bb.10:
	v_max_i32_e32 v113, v30, v100
	s_ashr_i32 s7, s6, 31
	s_getpc_b64 s[2:3]
	s_add_u32 s2, s2, llvm.amdgcn.dynlds.offset.table@rel32@lo+4
	s_addc_u32 s3, s3, llvm.amdgcn.dynlds.offset.table@rel32@hi+12
	s_lshl_b64 s[8:9], s[6:7], 2
	v_bfe_u32 v114, v82, 1, 4
	v_cvt_f32_u32_e32 v6, v113
	v_sub_nc_u32_e32 v17, 0, v113
	s_add_u32 s8, s8, s2
	s_addc_u32 s9, s9, s3
	v_add_co_u32 v8, s1, v8, v99
	v_rcp_iflag_f32_e32 v16, v6
	v_mov_b32_e32 v29, 0
	s_load_b32 s7, s[8:9], 0x0
	v_lshlrev_b64 v[6:7], 2, v[64:65]
	v_dual_mov_b32 v129, v64 :: v_dual_lshlrev_b32 v18, 4, v114
	v_add_co_ci_u32_e64 v9, s1, v9, v101, s1
	v_lshlrev_b32_e32 v19, 2, v114
	s_delay_alu instid0(VALU_DEP_4) | instskip(NEXT) | instid1(TRANS32_DEP_1)
	v_add_co_u32 v6, s2, v66, v6
	v_mul_f32_e32 v16, 0x4f7ffffe, v16
	v_add_co_ci_u32_e64 v7, s2, v67, v7, s2
	v_sub_nc_u32_e32 v28, v114, v83
	v_add_co_u32 v68, s2, v8, v18
	s_delay_alu instid0(VALU_DEP_4) | instskip(SKIP_2) | instid1(VALU_DEP_3)
	v_cvt_u32_f32_e32 v16, v16
	v_add_co_ci_u32_e64 v69, s2, 0, v9, s2
	v_add_co_u32 v70, s2, v14, v6
	v_mul_lo_u32 v17, v17, v16
	v_cmp_eq_u32_e32 vcc_lo, 0, v84
	v_dual_mov_b32 v112, 0xff7fffff :: v_dual_lshlrev_b32 v115, 2, v84
	v_mul_u32_u24_e32 v116, 0x78, v84
	v_cmp_neq_f32_e64 s1, 0, v102
	v_lshl_add_u32 v117, v21, 4, s16
	v_lshl_or_b32 v118, v21, 6, v19
	v_mul_hi_u32 v17, v16, v17
	v_add_nc_u32_e32 v119, 1, v28
	v_add_co_ci_u32_e64 v71, s2, v15, v7, s2
	s_mov_b32 s19, 0
	s_delay_alu instid0(VALU_DEP_3)
	v_add_nc_u32_e32 v128, v16, v17
	s_branch .LBB409_13
.LBB409_11:                             ;   in Loop: Header=BB409_13 Depth=1
	s_or_b32 exec_lo, exec_lo, s20
.LBB409_12:                             ;   in Loop: Header=BB409_13 Depth=1
	s_delay_alu instid0(SALU_CYCLE_1) | instskip(SKIP_2) | instid1(VALU_DEP_1)
	s_or_b32 exec_lo, exec_lo, s3
	v_add_nc_u32_e32 v129, 4, v129
	v_add_co_u32 v70, s3, v70, 16
	v_add_co_ci_u32_e64 v71, s3, 0, v71, s3
	s_delay_alu instid0(VALU_DEP_3) | instskip(SKIP_2) | instid1(VALU_DEP_3)
	v_cmp_ge_i32_e64 s2, v129, v23
	v_add_nc_u32_e32 v117, 64, v117
	v_add_nc_u32_e32 v118, 0x100, v118
	s_or_b32 s19, s2, s19
	s_delay_alu instid0(SALU_CYCLE_1)
	s_and_not1_b32 exec_lo, exec_lo, s19
	s_cbranch_execz .LBB409_738
.LBB409_13:                             ; =>This Inner Loop Header: Depth=1
	v_sub_nc_u32_e32 v6, 0, v117
	s_delay_alu instid0(VALU_DEP_1) | instskip(SKIP_1) | instid1(VALU_DEP_1)
	v_max_i32_e32 v6, v117, v6
	s_waitcnt lgkmcnt(0)
	v_mul_hi_u32 v7, v6, v86
	s_delay_alu instid0(VALU_DEP_1) | instskip(NEXT) | instid1(VALU_DEP_1)
	v_mul_lo_u32 v8, v7, v85
	v_sub_nc_u32_e32 v6, v6, v8
	v_add_nc_u32_e32 v8, 1, v7
	s_delay_alu instid0(VALU_DEP_2) | instskip(SKIP_1) | instid1(VALU_DEP_1)
	v_sub_nc_u32_e32 v9, v6, v85
	v_cmp_ge_u32_e64 s2, v6, v85
	v_cndmask_b32_e64 v7, v7, v8, s2
	s_delay_alu instid0(VALU_DEP_3) | instskip(SKIP_1) | instid1(VALU_DEP_3)
	v_cndmask_b32_e64 v6, v6, v9, s2
	v_ashrrev_i32_e32 v8, 31, v117
	v_add_nc_u32_e32 v9, 1, v7
	s_delay_alu instid0(VALU_DEP_3) | instskip(NEXT) | instid1(VALU_DEP_3)
	v_cmp_ge_u32_e64 s2, v6, v85
	v_xor_b32_e32 v8, v8, v87
	s_delay_alu instid0(VALU_DEP_2) | instskip(NEXT) | instid1(VALU_DEP_1)
	v_cndmask_b32_e64 v6, v7, v9, s2
	v_xor_b32_e32 v6, v6, v8
	s_delay_alu instid0(VALU_DEP_1) | instskip(NEXT) | instid1(VALU_DEP_1)
	v_sub_nc_u32_e32 v6, v6, v8
	v_add_nc_u32_e32 v7, v6, v20
	v_cmp_le_i32_e64 s3, v6, v97
	s_delay_alu instid0(VALU_DEP_2) | instskip(NEXT) | instid1(VALU_DEP_1)
	v_sub_nc_u32_e32 v8, 0, v7
	v_max_i32_e32 v8, v7, v8
	v_ashrrev_i32_e32 v7, 31, v7
	s_delay_alu instid0(VALU_DEP_2) | instskip(NEXT) | instid1(VALU_DEP_1)
	v_mul_hi_u32 v9, v8, v128
	v_mul_lo_u32 v9, v9, v113
	s_delay_alu instid0(VALU_DEP_1) | instskip(NEXT) | instid1(VALU_DEP_1)
	v_sub_nc_u32_e32 v8, v8, v9
	v_sub_nc_u32_e32 v9, v8, v113
	v_cmp_ge_u32_e64 s2, v8, v113
	s_delay_alu instid0(VALU_DEP_1) | instskip(NEXT) | instid1(VALU_DEP_1)
	v_cndmask_b32_e64 v8, v8, v9, s2
	v_sub_nc_u32_e32 v9, v8, v113
	v_cmp_ge_u32_e64 s2, v8, v113
	s_delay_alu instid0(VALU_DEP_1) | instskip(NEXT) | instid1(VALU_DEP_1)
	v_cndmask_b32_e64 v8, v8, v9, s2
	v_xor_b32_e32 v8, v8, v7
	s_delay_alu instid0(VALU_DEP_1) | instskip(NEXT) | instid1(VALU_DEP_1)
	v_sub_nc_u32_e32 v7, v8, v7
	v_cmp_ne_u32_e64 s2, 0, v7
	s_delay_alu instid0(VALU_DEP_1) | instskip(NEXT) | instid1(SALU_CYCLE_1)
	s_and_b32 s2, s2, s3
	s_and_b32 s20, vcc_lo, s2
	s_delay_alu instid0(SALU_CYCLE_1)
	s_and_saveexec_b32 s3, s20
	s_cbranch_execz .LBB409_15
; %bb.14:                               ;   in Loop: Header=BB409_13 Depth=1
	s_waitcnt lgkmcnt(0)
	v_dual_mov_b32 v7, 0xff7fffff :: v_dual_add_nc_u32 v6, s7, v118
	ds_store_b32 v6, v7
.LBB409_15:                             ;   in Loop: Header=BB409_13 Depth=1
	s_or_b32 exec_lo, exec_lo, s3
	s_xor_b32 s2, s2, -1
	s_delay_alu instid0(SALU_CYCLE_1)
	s_and_saveexec_b32 s3, s2
	s_cbranch_execz .LBB409_12
; %bb.16:                               ;   in Loop: Header=BB409_13 Depth=1
	flat_load_b32 v8, v[70:71]
	s_mov_b32 s20, exec_lo
	v_mov_b32_e32 v28, 0
	s_waitcnt vmcnt(0) lgkmcnt(0)
	v_mad_i64_i32 v[6:7], null, v8, v22, v[68:69]
	s_delay_alu instid0(VALU_DEP_1) | instskip(NEXT) | instid1(VALU_DEP_1)
	v_add_co_u32 v80, s2, v6, v115
	v_add_co_ci_u32_e64 v81, s2, 0, v7, s2
	flat_load_b32 v144, v[80:81]
	flat_load_b32 v132, v[24:25]
	ds_load_2addr_b64 v[52:55], v116 offset1:1
	ds_load_2addr_b64 v[48:51], v116 offset0:2 offset1:3
	ds_load_2addr_b64 v[35:38], v116 offset0:4 offset1:5
	;; [unrolled: 1-line block ×5, first 2 shown]
	ds_load_b32 v130, v116 offset:96
	ds_load_u16 v131, v116 offset:100
	s_waitcnt vmcnt(1) lgkmcnt(9)
	v_and_b32_e32 v133, 0xff, v144
	s_delay_alu instid0(VALU_DEP_1)
	v_cmpx_ne_u16_e64 0, v133
	s_cbranch_execz .LBB409_24
; %bb.17:                               ;   in Loop: Header=BB409_13 Depth=1
	v_bfrev_b32_e32 v28, 1
	s_mov_b32 s21, exec_lo
	v_cmpx_ne_u16_e64 0x80, v133
	s_cbranch_execz .LBB409_23
; %bb.18:                               ;   in Loop: Header=BB409_13 Depth=1
	v_and_b32_e32 v134, 0x7f, v144
	v_mov_b32_e32 v28, 0x7f800001
	s_mov_b32 s22, exec_lo
	s_delay_alu instid0(VALU_DEP_2)
	v_cmpx_ne_u32_e32 0x7f, v134
	s_cbranch_execz .LBB409_22
; %bb.19:                               ;   in Loop: Header=BB409_13 Depth=1
	v_and_b32_e32 v28, 7, v144
	v_lshrrev_b32_e32 v133, 3, v134
	s_mov_b32 s23, exec_lo
	v_cmpx_gt_u32_e32 8, v134
; %bb.20:                               ;   in Loop: Header=BB409_13 Depth=1
	s_delay_alu instid0(VALU_DEP_3) | instskip(NEXT) | instid1(VALU_DEP_1)
	v_clz_i32_u32_e32 v133, v28
	v_min_u32_e32 v133, 32, v133
	s_delay_alu instid0(VALU_DEP_1) | instskip(SKIP_1) | instid1(VALU_DEP_2)
	v_subrev_nc_u32_e32 v134, 28, v133
	v_sub_nc_u32_e32 v133, 29, v133
	v_lshlrev_b64 v[134:135], v134, v[28:29]
	s_delay_alu instid0(VALU_DEP_1)
	v_and_b32_e32 v28, 7, v134
; %bb.21:                               ;   in Loop: Header=BB409_13 Depth=1
	s_or_b32 exec_lo, exec_lo, s23
	v_lshlrev_b32_e32 v134, 24, v144
	s_delay_alu instid0(VALU_DEP_2) | instskip(SKIP_1) | instid1(VALU_DEP_3)
	v_lshlrev_b32_e32 v28, 20, v28
	v_lshl_add_u32 v133, v133, 23, 0x3c000000
	v_and_b32_e32 v134, 0x80000000, v134
	s_delay_alu instid0(VALU_DEP_1)
	v_or3_b32 v28, v28, v134, v133
.LBB409_22:                             ;   in Loop: Header=BB409_13 Depth=1
	s_or_b32 exec_lo, exec_lo, s22
.LBB409_23:                             ;   in Loop: Header=BB409_13 Depth=1
	s_delay_alu instid0(SALU_CYCLE_1)
	s_or_b32 exec_lo, exec_lo, s21
.LBB409_24:                             ;   in Loop: Header=BB409_13 Depth=1
	s_delay_alu instid0(SALU_CYCLE_1) | instskip(SKIP_2) | instid1(VALU_DEP_1)
	s_or_b32 exec_lo, exec_lo, s20
	s_waitcnt vmcnt(0) lgkmcnt(8)
	v_mul_f32_e32 v28, v132, v28
	v_and_b32_e32 v133, 0x7f800000, v28
	s_delay_alu instid0(VALU_DEP_1) | instskip(NEXT) | instid1(VALU_DEP_1)
	v_cmp_ne_u32_e64 s2, 0x7f800000, v133
                                        ; implicit-def: $vgpr133
	s_and_saveexec_b32 s20, s2
	s_delay_alu instid0(SALU_CYCLE_1)
	s_xor_b32 s2, exec_lo, s20
; %bb.25:                               ;   in Loop: Header=BB409_13 Depth=1
	v_bfe_u32 v133, v28, 16, 1
	s_delay_alu instid0(VALU_DEP_1)
	v_add3_u32 v133, v28, v133, 0x7fff
                                        ; implicit-def: $vgpr28
; %bb.26:                               ;   in Loop: Header=BB409_13 Depth=1
	s_and_not1_saveexec_b32 s20, s2
; %bb.27:                               ;   in Loop: Header=BB409_13 Depth=1
	v_and_b32_e32 v133, 0xffff, v28
	v_or_b32_e32 v134, 0x10000, v28
	s_delay_alu instid0(VALU_DEP_2) | instskip(NEXT) | instid1(VALU_DEP_1)
	v_cmp_eq_u32_e64 s2, 0, v133
	v_cndmask_b32_e64 v133, v134, v28, s2
; %bb.28:                               ;   in Loop: Header=BB409_13 Depth=1
	s_or_b32 exec_lo, exec_lo, s20
	v_lshrrev_b16 v134, 8, v144
	v_mov_b32_e32 v28, 0
	s_mov_b32 s20, exec_lo
	s_delay_alu instid0(VALU_DEP_2)
	v_cmpx_ne_u16_e64 0, v134
	s_cbranch_execz .LBB409_36
; %bb.29:                               ;   in Loop: Header=BB409_13 Depth=1
	v_bfrev_b32_e32 v28, 1
	s_mov_b32 s21, exec_lo
	v_cmpx_ne_u16_e64 0x80, v134
	s_cbranch_execz .LBB409_35
; %bb.30:                               ;   in Loop: Header=BB409_13 Depth=1
	v_and_b32_e32 v134, 0xffff, v134
	v_mov_b32_e32 v28, 0x7f800001
	s_mov_b32 s22, exec_lo
	s_delay_alu instid0(VALU_DEP_2) | instskip(NEXT) | instid1(VALU_DEP_1)
	v_and_b32_e32 v135, 0x7f, v134
	v_cmpx_ne_u32_e32 0x7f, v135
	s_cbranch_execz .LBB409_34
; %bb.31:                               ;   in Loop: Header=BB409_13 Depth=1
	v_and_b32_e32 v28, 7, v134
	v_lshrrev_b32_e32 v134, 3, v135
	s_mov_b32 s23, exec_lo
	v_cmpx_gt_u32_e32 8, v135
; %bb.32:                               ;   in Loop: Header=BB409_13 Depth=1
	s_delay_alu instid0(VALU_DEP_3) | instskip(NEXT) | instid1(VALU_DEP_1)
	v_clz_i32_u32_e32 v134, v28
	v_min_u32_e32 v134, 32, v134
	s_delay_alu instid0(VALU_DEP_1) | instskip(SKIP_1) | instid1(VALU_DEP_2)
	v_subrev_nc_u32_e32 v135, 28, v134
	v_sub_nc_u32_e32 v134, 29, v134
	v_lshlrev_b64 v[145:146], v135, v[28:29]
	s_delay_alu instid0(VALU_DEP_1)
	v_and_b32_e32 v28, 7, v145
; %bb.33:                               ;   in Loop: Header=BB409_13 Depth=1
	s_or_b32 exec_lo, exec_lo, s23
	v_lshlrev_b32_e32 v135, 16, v144
	s_delay_alu instid0(VALU_DEP_2) | instskip(SKIP_1) | instid1(VALU_DEP_3)
	v_lshlrev_b32_e32 v28, 20, v28
	v_lshl_add_u32 v134, v134, 23, 0x3c000000
	v_and_b32_e32 v135, 0x80000000, v135
	s_delay_alu instid0(VALU_DEP_1)
	v_or3_b32 v28, v28, v135, v134
.LBB409_34:                             ;   in Loop: Header=BB409_13 Depth=1
	s_or_b32 exec_lo, exec_lo, s22
.LBB409_35:                             ;   in Loop: Header=BB409_13 Depth=1
	s_delay_alu instid0(SALU_CYCLE_1)
	s_or_b32 exec_lo, exec_lo, s21
.LBB409_36:                             ;   in Loop: Header=BB409_13 Depth=1
	s_delay_alu instid0(SALU_CYCLE_1) | instskip(NEXT) | instid1(VALU_DEP_1)
	s_or_b32 exec_lo, exec_lo, s20
	v_mul_f32_e32 v28, v132, v28
	s_delay_alu instid0(VALU_DEP_1) | instskip(NEXT) | instid1(VALU_DEP_1)
	v_and_b32_e32 v134, 0x7f800000, v28
	v_cmp_ne_u32_e64 s2, 0x7f800000, v134
                                        ; implicit-def: $vgpr134
	s_delay_alu instid0(VALU_DEP_1) | instskip(NEXT) | instid1(SALU_CYCLE_1)
	s_and_saveexec_b32 s20, s2
	s_xor_b32 s2, exec_lo, s20
; %bb.37:                               ;   in Loop: Header=BB409_13 Depth=1
	v_bfe_u32 v134, v28, 16, 1
	s_delay_alu instid0(VALU_DEP_1)
	v_add3_u32 v134, v28, v134, 0x7fff
                                        ; implicit-def: $vgpr28
; %bb.38:                               ;   in Loop: Header=BB409_13 Depth=1
	s_and_not1_saveexec_b32 s20, s2
; %bb.39:                               ;   in Loop: Header=BB409_13 Depth=1
	v_and_b32_e32 v134, 0xffff, v28
	v_or_b32_e32 v135, 0x10000, v28
	s_delay_alu instid0(VALU_DEP_2) | instskip(NEXT) | instid1(VALU_DEP_1)
	v_cmp_eq_u32_e64 s2, 0, v134
	v_cndmask_b32_e64 v134, v135, v28, s2
; %bb.40:                               ;   in Loop: Header=BB409_13 Depth=1
	s_or_b32 exec_lo, exec_lo, s20
	v_lshrrev_b32_e32 v135, 16, v144
	s_mov_b32 s20, exec_lo
	s_delay_alu instid0(VALU_DEP_1) | instskip(NEXT) | instid1(VALU_DEP_1)
	v_dual_mov_b32 v28, 0 :: v_dual_and_b32 v145, 0xff, v135
	v_cmpx_ne_u16_e64 0, v145
	s_cbranch_execz .LBB409_48
; %bb.41:                               ;   in Loop: Header=BB409_13 Depth=1
	v_bfrev_b32_e32 v28, 1
	s_mov_b32 s21, exec_lo
	v_cmpx_ne_u16_e64 0x80, v145
	s_cbranch_execz .LBB409_47
; %bb.42:                               ;   in Loop: Header=BB409_13 Depth=1
	v_bfe_u32 v146, v144, 16, 7
	v_mov_b32_e32 v28, 0x7f800001
	s_mov_b32 s22, exec_lo
	s_delay_alu instid0(VALU_DEP_2)
	v_cmpx_ne_u32_e32 0x7f, v146
	s_cbranch_execz .LBB409_46
; %bb.43:                               ;   in Loop: Header=BB409_13 Depth=1
	v_and_b32_e32 v28, 7, v135
	v_lshrrev_b32_e32 v145, 3, v146
	s_mov_b32 s23, exec_lo
	v_cmpx_gt_u32_e32 8, v146
; %bb.44:                               ;   in Loop: Header=BB409_13 Depth=1
	s_delay_alu instid0(VALU_DEP_3) | instskip(NEXT) | instid1(VALU_DEP_1)
	v_clz_i32_u32_e32 v145, v28
	v_min_u32_e32 v145, 32, v145
	s_delay_alu instid0(VALU_DEP_1) | instskip(SKIP_1) | instid1(VALU_DEP_2)
	v_subrev_nc_u32_e32 v146, 28, v145
	v_sub_nc_u32_e32 v145, 29, v145
	v_lshlrev_b64 v[146:147], v146, v[28:29]
	s_delay_alu instid0(VALU_DEP_1)
	v_and_b32_e32 v28, 7, v146
; %bb.45:                               ;   in Loop: Header=BB409_13 Depth=1
	s_or_b32 exec_lo, exec_lo, s23
	v_lshlrev_b32_e32 v135, 24, v135
	s_delay_alu instid0(VALU_DEP_2) | instskip(SKIP_1) | instid1(VALU_DEP_3)
	v_lshlrev_b32_e32 v28, 20, v28
	v_lshl_add_u32 v145, v145, 23, 0x3c000000
	v_and_b32_e32 v135, 0x80000000, v135
	s_delay_alu instid0(VALU_DEP_1)
	v_or3_b32 v28, v28, v135, v145
.LBB409_46:                             ;   in Loop: Header=BB409_13 Depth=1
	s_or_b32 exec_lo, exec_lo, s22
.LBB409_47:                             ;   in Loop: Header=BB409_13 Depth=1
	s_delay_alu instid0(SALU_CYCLE_1)
	s_or_b32 exec_lo, exec_lo, s21
.LBB409_48:                             ;   in Loop: Header=BB409_13 Depth=1
	s_delay_alu instid0(SALU_CYCLE_1) | instskip(NEXT) | instid1(VALU_DEP_1)
	s_or_b32 exec_lo, exec_lo, s20
	v_mul_f32_e32 v28, v132, v28
	s_delay_alu instid0(VALU_DEP_1) | instskip(NEXT) | instid1(VALU_DEP_1)
	v_and_b32_e32 v135, 0x7f800000, v28
	v_cmp_ne_u32_e64 s2, 0x7f800000, v135
                                        ; implicit-def: $vgpr135
	s_delay_alu instid0(VALU_DEP_1) | instskip(NEXT) | instid1(SALU_CYCLE_1)
	s_and_saveexec_b32 s20, s2
	s_xor_b32 s2, exec_lo, s20
; %bb.49:                               ;   in Loop: Header=BB409_13 Depth=1
	v_bfe_u32 v135, v28, 16, 1
	s_delay_alu instid0(VALU_DEP_1)
	v_add3_u32 v135, v28, v135, 0x7fff
                                        ; implicit-def: $vgpr28
; %bb.50:                               ;   in Loop: Header=BB409_13 Depth=1
	s_and_not1_saveexec_b32 s20, s2
; %bb.51:                               ;   in Loop: Header=BB409_13 Depth=1
	v_and_b32_e32 v135, 0xffff, v28
	v_or_b32_e32 v145, 0x10000, v28
	s_delay_alu instid0(VALU_DEP_2) | instskip(NEXT) | instid1(VALU_DEP_1)
	v_cmp_eq_u32_e64 s2, 0, v135
	v_cndmask_b32_e64 v135, v145, v28, s2
; %bb.52:                               ;   in Loop: Header=BB409_13 Depth=1
	s_or_b32 exec_lo, exec_lo, s20
	v_mov_b32_e32 v28, 0
	s_mov_b32 s20, exec_lo
	v_cmpx_lt_u32_e32 0xffffff, v144
	s_cbranch_execz .LBB409_60
; %bb.53:                               ;   in Loop: Header=BB409_13 Depth=1
	v_lshrrev_b32_e32 v145, 24, v144
	v_bfrev_b32_e32 v28, 1
	s_mov_b32 s21, exec_lo
	s_delay_alu instid0(VALU_DEP_2)
	v_cmpx_ne_u32_e32 0x80, v145
	s_cbranch_execz .LBB409_59
; %bb.54:                               ;   in Loop: Header=BB409_13 Depth=1
	v_bfe_u32 v146, v144, 24, 7
	v_mov_b32_e32 v28, 0x7f800001
	s_mov_b32 s22, exec_lo
	s_delay_alu instid0(VALU_DEP_2)
	v_cmpx_ne_u32_e32 0x7f, v146
	s_cbranch_execz .LBB409_58
; %bb.55:                               ;   in Loop: Header=BB409_13 Depth=1
	v_and_b32_e32 v28, 7, v145
	v_lshrrev_b32_e32 v144, 3, v146
	s_mov_b32 s23, exec_lo
	v_cmpx_gt_u32_e32 8, v146
; %bb.56:                               ;   in Loop: Header=BB409_13 Depth=1
	s_delay_alu instid0(VALU_DEP_3) | instskip(NEXT) | instid1(VALU_DEP_1)
	v_clz_i32_u32_e32 v144, v28
	v_min_u32_e32 v144, 32, v144
	s_delay_alu instid0(VALU_DEP_1) | instskip(SKIP_1) | instid1(VALU_DEP_2)
	v_subrev_nc_u32_e32 v146, 28, v144
	v_sub_nc_u32_e32 v144, 29, v144
	v_lshlrev_b64 v[146:147], v146, v[28:29]
	s_delay_alu instid0(VALU_DEP_1)
	v_and_b32_e32 v28, 7, v146
; %bb.57:                               ;   in Loop: Header=BB409_13 Depth=1
	s_or_b32 exec_lo, exec_lo, s23
	v_lshlrev_b32_e32 v145, 24, v145
	s_delay_alu instid0(VALU_DEP_2) | instskip(SKIP_1) | instid1(VALU_DEP_3)
	v_lshlrev_b32_e32 v28, 20, v28
	v_lshl_add_u32 v144, v144, 23, 0x3c000000
	v_and_b32_e32 v145, 0x80000000, v145
	s_delay_alu instid0(VALU_DEP_1)
	v_or3_b32 v28, v28, v145, v144
.LBB409_58:                             ;   in Loop: Header=BB409_13 Depth=1
	s_or_b32 exec_lo, exec_lo, s22
.LBB409_59:                             ;   in Loop: Header=BB409_13 Depth=1
	s_delay_alu instid0(SALU_CYCLE_1)
	s_or_b32 exec_lo, exec_lo, s21
.LBB409_60:                             ;   in Loop: Header=BB409_13 Depth=1
	s_delay_alu instid0(SALU_CYCLE_1) | instskip(NEXT) | instid1(VALU_DEP_1)
	s_or_b32 exec_lo, exec_lo, s20
	v_mul_f32_e32 v28, v132, v28
	s_delay_alu instid0(VALU_DEP_1) | instskip(NEXT) | instid1(VALU_DEP_1)
	v_and_b32_e32 v144, 0x7f800000, v28
	v_cmp_ne_u32_e64 s2, 0x7f800000, v144
                                        ; implicit-def: $vgpr144
	s_delay_alu instid0(VALU_DEP_1) | instskip(NEXT) | instid1(SALU_CYCLE_1)
	s_and_saveexec_b32 s20, s2
	s_xor_b32 s2, exec_lo, s20
; %bb.61:                               ;   in Loop: Header=BB409_13 Depth=1
	v_bfe_u32 v144, v28, 16, 1
	s_delay_alu instid0(VALU_DEP_1)
	v_add3_u32 v144, v28, v144, 0x7fff
                                        ; implicit-def: $vgpr28
; %bb.62:                               ;   in Loop: Header=BB409_13 Depth=1
	s_and_not1_saveexec_b32 s20, s2
; %bb.63:                               ;   in Loop: Header=BB409_13 Depth=1
	v_and_b32_e32 v144, 0xffff, v28
	v_or_b32_e32 v145, 0x10000, v28
	s_delay_alu instid0(VALU_DEP_2) | instskip(NEXT) | instid1(VALU_DEP_1)
	v_cmp_eq_u32_e64 s2, 0, v144
	v_cndmask_b32_e64 v144, v145, v28, s2
; %bb.64:                               ;   in Loop: Header=BB409_13 Depth=1
	s_or_b32 exec_lo, exec_lo, s20
	flat_load_b32 v148, v[80:81] offset:8
	s_mov_b32 s20, exec_lo
	s_waitcnt vmcnt(0) lgkmcnt(0)
	v_dual_mov_b32 v28, 0 :: v_dual_and_b32 v145, 0xff, v148
	s_delay_alu instid0(VALU_DEP_1)
	v_cmpx_ne_u16_e64 0, v145
	s_cbranch_execz .LBB409_72
; %bb.65:                               ;   in Loop: Header=BB409_13 Depth=1
	v_bfrev_b32_e32 v28, 1
	s_mov_b32 s21, exec_lo
	v_cmpx_ne_u16_e64 0x80, v145
	s_cbranch_execz .LBB409_71
; %bb.66:                               ;   in Loop: Header=BB409_13 Depth=1
	v_and_b32_e32 v146, 0x7f, v148
	v_mov_b32_e32 v28, 0x7f800001
	s_mov_b32 s22, exec_lo
	s_delay_alu instid0(VALU_DEP_2)
	v_cmpx_ne_u32_e32 0x7f, v146
	s_cbranch_execz .LBB409_70
; %bb.67:                               ;   in Loop: Header=BB409_13 Depth=1
	v_and_b32_e32 v28, 7, v148
	v_lshrrev_b32_e32 v145, 3, v146
	s_mov_b32 s23, exec_lo
	v_cmpx_gt_u32_e32 8, v146
; %bb.68:                               ;   in Loop: Header=BB409_13 Depth=1
	s_delay_alu instid0(VALU_DEP_3) | instskip(NEXT) | instid1(VALU_DEP_1)
	v_clz_i32_u32_e32 v145, v28
	v_min_u32_e32 v145, 32, v145
	s_delay_alu instid0(VALU_DEP_1) | instskip(SKIP_1) | instid1(VALU_DEP_2)
	v_subrev_nc_u32_e32 v146, 28, v145
	v_sub_nc_u32_e32 v145, 29, v145
	v_lshlrev_b64 v[146:147], v146, v[28:29]
	s_delay_alu instid0(VALU_DEP_1)
	v_and_b32_e32 v28, 7, v146
; %bb.69:                               ;   in Loop: Header=BB409_13 Depth=1
	s_or_b32 exec_lo, exec_lo, s23
	v_lshlrev_b32_e32 v146, 24, v148
	s_delay_alu instid0(VALU_DEP_2) | instskip(SKIP_1) | instid1(VALU_DEP_3)
	v_lshlrev_b32_e32 v28, 20, v28
	v_lshl_add_u32 v145, v145, 23, 0x3c000000
	v_and_b32_e32 v146, 0x80000000, v146
	s_delay_alu instid0(VALU_DEP_1)
	v_or3_b32 v28, v28, v146, v145
.LBB409_70:                             ;   in Loop: Header=BB409_13 Depth=1
	s_or_b32 exec_lo, exec_lo, s22
.LBB409_71:                             ;   in Loop: Header=BB409_13 Depth=1
	s_delay_alu instid0(SALU_CYCLE_1)
	s_or_b32 exec_lo, exec_lo, s21
.LBB409_72:                             ;   in Loop: Header=BB409_13 Depth=1
	s_delay_alu instid0(SALU_CYCLE_1) | instskip(NEXT) | instid1(VALU_DEP_1)
	s_or_b32 exec_lo, exec_lo, s20
	v_mul_f32_e32 v28, v132, v28
	s_delay_alu instid0(VALU_DEP_1) | instskip(NEXT) | instid1(VALU_DEP_1)
	v_and_b32_e32 v145, 0x7f800000, v28
	v_cmp_ne_u32_e64 s2, 0x7f800000, v145
                                        ; implicit-def: $vgpr145
	s_delay_alu instid0(VALU_DEP_1) | instskip(NEXT) | instid1(SALU_CYCLE_1)
	s_and_saveexec_b32 s20, s2
	s_xor_b32 s2, exec_lo, s20
; %bb.73:                               ;   in Loop: Header=BB409_13 Depth=1
	v_bfe_u32 v145, v28, 16, 1
	s_delay_alu instid0(VALU_DEP_1)
	v_add3_u32 v145, v28, v145, 0x7fff
                                        ; implicit-def: $vgpr28
; %bb.74:                               ;   in Loop: Header=BB409_13 Depth=1
	s_and_not1_saveexec_b32 s20, s2
; %bb.75:                               ;   in Loop: Header=BB409_13 Depth=1
	v_and_b32_e32 v145, 0xffff, v28
	v_or_b32_e32 v146, 0x10000, v28
	s_delay_alu instid0(VALU_DEP_2) | instskip(NEXT) | instid1(VALU_DEP_1)
	v_cmp_eq_u32_e64 s2, 0, v145
	v_cndmask_b32_e64 v145, v146, v28, s2
; %bb.76:                               ;   in Loop: Header=BB409_13 Depth=1
	s_or_b32 exec_lo, exec_lo, s20
	v_lshrrev_b16 v146, 8, v148
	v_mov_b32_e32 v28, 0
	s_mov_b32 s20, exec_lo
	s_delay_alu instid0(VALU_DEP_2)
	v_cmpx_ne_u16_e64 0, v146
	s_cbranch_execz .LBB409_84
; %bb.77:                               ;   in Loop: Header=BB409_13 Depth=1
	v_bfrev_b32_e32 v28, 1
	s_mov_b32 s21, exec_lo
	v_cmpx_ne_u16_e64 0x80, v146
	s_cbranch_execz .LBB409_83
; %bb.78:                               ;   in Loop: Header=BB409_13 Depth=1
	v_and_b32_e32 v146, 0xffff, v146
	v_mov_b32_e32 v28, 0x7f800001
	s_mov_b32 s22, exec_lo
	s_delay_alu instid0(VALU_DEP_2) | instskip(NEXT) | instid1(VALU_DEP_1)
	v_and_b32_e32 v147, 0x7f, v146
	v_cmpx_ne_u32_e32 0x7f, v147
	s_cbranch_execz .LBB409_82
; %bb.79:                               ;   in Loop: Header=BB409_13 Depth=1
	v_and_b32_e32 v28, 7, v146
	v_lshrrev_b32_e32 v146, 3, v147
	s_mov_b32 s23, exec_lo
	v_cmpx_gt_u32_e32 8, v147
; %bb.80:                               ;   in Loop: Header=BB409_13 Depth=1
	s_delay_alu instid0(VALU_DEP_3) | instskip(NEXT) | instid1(VALU_DEP_1)
	v_clz_i32_u32_e32 v146, v28
	v_min_u32_e32 v146, 32, v146
	s_delay_alu instid0(VALU_DEP_1) | instskip(SKIP_1) | instid1(VALU_DEP_2)
	v_subrev_nc_u32_e32 v147, 28, v146
	v_sub_nc_u32_e32 v146, 29, v146
	v_lshlrev_b64 v[149:150], v147, v[28:29]
	s_delay_alu instid0(VALU_DEP_1)
	v_and_b32_e32 v28, 7, v149
; %bb.81:                               ;   in Loop: Header=BB409_13 Depth=1
	s_or_b32 exec_lo, exec_lo, s23
	v_lshlrev_b32_e32 v147, 16, v148
	s_delay_alu instid0(VALU_DEP_2) | instskip(SKIP_1) | instid1(VALU_DEP_3)
	v_lshlrev_b32_e32 v28, 20, v28
	v_lshl_add_u32 v146, v146, 23, 0x3c000000
	v_and_b32_e32 v147, 0x80000000, v147
	s_delay_alu instid0(VALU_DEP_1)
	v_or3_b32 v28, v28, v147, v146
.LBB409_82:                             ;   in Loop: Header=BB409_13 Depth=1
	s_or_b32 exec_lo, exec_lo, s22
.LBB409_83:                             ;   in Loop: Header=BB409_13 Depth=1
	s_delay_alu instid0(SALU_CYCLE_1)
	s_or_b32 exec_lo, exec_lo, s21
.LBB409_84:                             ;   in Loop: Header=BB409_13 Depth=1
	s_delay_alu instid0(SALU_CYCLE_1) | instskip(NEXT) | instid1(VALU_DEP_1)
	s_or_b32 exec_lo, exec_lo, s20
	v_mul_f32_e32 v28, v132, v28
	s_delay_alu instid0(VALU_DEP_1) | instskip(NEXT) | instid1(VALU_DEP_1)
	v_and_b32_e32 v146, 0x7f800000, v28
	v_cmp_ne_u32_e64 s2, 0x7f800000, v146
                                        ; implicit-def: $vgpr146
	s_delay_alu instid0(VALU_DEP_1) | instskip(NEXT) | instid1(SALU_CYCLE_1)
	s_and_saveexec_b32 s20, s2
	s_xor_b32 s2, exec_lo, s20
; %bb.85:                               ;   in Loop: Header=BB409_13 Depth=1
	v_bfe_u32 v146, v28, 16, 1
	s_delay_alu instid0(VALU_DEP_1)
	v_add3_u32 v146, v28, v146, 0x7fff
                                        ; implicit-def: $vgpr28
; %bb.86:                               ;   in Loop: Header=BB409_13 Depth=1
	s_and_not1_saveexec_b32 s20, s2
; %bb.87:                               ;   in Loop: Header=BB409_13 Depth=1
	v_and_b32_e32 v146, 0xffff, v28
	v_or_b32_e32 v147, 0x10000, v28
	s_delay_alu instid0(VALU_DEP_2) | instskip(NEXT) | instid1(VALU_DEP_1)
	v_cmp_eq_u32_e64 s2, 0, v146
	v_cndmask_b32_e64 v146, v147, v28, s2
; %bb.88:                               ;   in Loop: Header=BB409_13 Depth=1
	s_or_b32 exec_lo, exec_lo, s20
	v_lshrrev_b32_e32 v147, 16, v148
	s_mov_b32 s20, exec_lo
	s_delay_alu instid0(VALU_DEP_1) | instskip(NEXT) | instid1(VALU_DEP_1)
	v_dual_mov_b32 v28, 0 :: v_dual_and_b32 v149, 0xff, v147
	v_cmpx_ne_u16_e64 0, v149
	s_cbranch_execz .LBB409_96
; %bb.89:                               ;   in Loop: Header=BB409_13 Depth=1
	v_bfrev_b32_e32 v28, 1
	s_mov_b32 s21, exec_lo
	v_cmpx_ne_u16_e64 0x80, v149
	s_cbranch_execz .LBB409_95
; %bb.90:                               ;   in Loop: Header=BB409_13 Depth=1
	v_bfe_u32 v150, v148, 16, 7
	v_mov_b32_e32 v28, 0x7f800001
	s_mov_b32 s22, exec_lo
	s_delay_alu instid0(VALU_DEP_2)
	v_cmpx_ne_u32_e32 0x7f, v150
	s_cbranch_execz .LBB409_94
; %bb.91:                               ;   in Loop: Header=BB409_13 Depth=1
	v_and_b32_e32 v28, 7, v147
	v_lshrrev_b32_e32 v149, 3, v150
	s_mov_b32 s23, exec_lo
	v_cmpx_gt_u32_e32 8, v150
; %bb.92:                               ;   in Loop: Header=BB409_13 Depth=1
	s_delay_alu instid0(VALU_DEP_3) | instskip(NEXT) | instid1(VALU_DEP_1)
	v_clz_i32_u32_e32 v149, v28
	v_min_u32_e32 v149, 32, v149
	s_delay_alu instid0(VALU_DEP_1) | instskip(SKIP_1) | instid1(VALU_DEP_2)
	v_subrev_nc_u32_e32 v150, 28, v149
	v_sub_nc_u32_e32 v149, 29, v149
	v_lshlrev_b64 v[150:151], v150, v[28:29]
	s_delay_alu instid0(VALU_DEP_1)
	v_and_b32_e32 v28, 7, v150
; %bb.93:                               ;   in Loop: Header=BB409_13 Depth=1
	s_or_b32 exec_lo, exec_lo, s23
	v_lshlrev_b32_e32 v147, 24, v147
	s_delay_alu instid0(VALU_DEP_2) | instskip(SKIP_1) | instid1(VALU_DEP_3)
	v_lshlrev_b32_e32 v28, 20, v28
	v_lshl_add_u32 v149, v149, 23, 0x3c000000
	v_and_b32_e32 v147, 0x80000000, v147
	s_delay_alu instid0(VALU_DEP_1)
	v_or3_b32 v28, v28, v147, v149
.LBB409_94:                             ;   in Loop: Header=BB409_13 Depth=1
	s_or_b32 exec_lo, exec_lo, s22
.LBB409_95:                             ;   in Loop: Header=BB409_13 Depth=1
	s_delay_alu instid0(SALU_CYCLE_1)
	s_or_b32 exec_lo, exec_lo, s21
.LBB409_96:                             ;   in Loop: Header=BB409_13 Depth=1
	s_delay_alu instid0(SALU_CYCLE_1) | instskip(NEXT) | instid1(VALU_DEP_1)
	s_or_b32 exec_lo, exec_lo, s20
	v_mul_f32_e32 v28, v132, v28
	s_delay_alu instid0(VALU_DEP_1) | instskip(NEXT) | instid1(VALU_DEP_1)
	v_and_b32_e32 v147, 0x7f800000, v28
	v_cmp_ne_u32_e64 s2, 0x7f800000, v147
                                        ; implicit-def: $vgpr147
	s_delay_alu instid0(VALU_DEP_1) | instskip(NEXT) | instid1(SALU_CYCLE_1)
	s_and_saveexec_b32 s20, s2
	s_xor_b32 s2, exec_lo, s20
; %bb.97:                               ;   in Loop: Header=BB409_13 Depth=1
	v_bfe_u32 v147, v28, 16, 1
	s_delay_alu instid0(VALU_DEP_1)
	v_add3_u32 v147, v28, v147, 0x7fff
                                        ; implicit-def: $vgpr28
; %bb.98:                               ;   in Loop: Header=BB409_13 Depth=1
	s_and_not1_saveexec_b32 s20, s2
; %bb.99:                               ;   in Loop: Header=BB409_13 Depth=1
	v_and_b32_e32 v147, 0xffff, v28
	v_or_b32_e32 v149, 0x10000, v28
	s_delay_alu instid0(VALU_DEP_2) | instskip(NEXT) | instid1(VALU_DEP_1)
	v_cmp_eq_u32_e64 s2, 0, v147
	v_cndmask_b32_e64 v147, v149, v28, s2
; %bb.100:                              ;   in Loop: Header=BB409_13 Depth=1
	s_or_b32 exec_lo, exec_lo, s20
	v_mov_b32_e32 v28, 0
	s_mov_b32 s20, exec_lo
	v_cmpx_lt_u32_e32 0xffffff, v148
	s_cbranch_execz .LBB409_108
; %bb.101:                              ;   in Loop: Header=BB409_13 Depth=1
	v_lshrrev_b32_e32 v149, 24, v148
	v_bfrev_b32_e32 v28, 1
	s_mov_b32 s21, exec_lo
	s_delay_alu instid0(VALU_DEP_2)
	v_cmpx_ne_u32_e32 0x80, v149
	s_cbranch_execz .LBB409_107
; %bb.102:                              ;   in Loop: Header=BB409_13 Depth=1
	v_bfe_u32 v150, v148, 24, 7
	v_mov_b32_e32 v28, 0x7f800001
	s_mov_b32 s22, exec_lo
	s_delay_alu instid0(VALU_DEP_2)
	v_cmpx_ne_u32_e32 0x7f, v150
	s_cbranch_execz .LBB409_106
; %bb.103:                              ;   in Loop: Header=BB409_13 Depth=1
	v_and_b32_e32 v28, 7, v149
	v_lshrrev_b32_e32 v148, 3, v150
	s_mov_b32 s23, exec_lo
	v_cmpx_gt_u32_e32 8, v150
; %bb.104:                              ;   in Loop: Header=BB409_13 Depth=1
	s_delay_alu instid0(VALU_DEP_3) | instskip(NEXT) | instid1(VALU_DEP_1)
	v_clz_i32_u32_e32 v148, v28
	v_min_u32_e32 v148, 32, v148
	s_delay_alu instid0(VALU_DEP_1) | instskip(SKIP_1) | instid1(VALU_DEP_2)
	v_subrev_nc_u32_e32 v150, 28, v148
	v_sub_nc_u32_e32 v148, 29, v148
	v_lshlrev_b64 v[150:151], v150, v[28:29]
	s_delay_alu instid0(VALU_DEP_1)
	v_and_b32_e32 v28, 7, v150
; %bb.105:                              ;   in Loop: Header=BB409_13 Depth=1
	s_or_b32 exec_lo, exec_lo, s23
	v_lshlrev_b32_e32 v149, 24, v149
	s_delay_alu instid0(VALU_DEP_2) | instskip(SKIP_1) | instid1(VALU_DEP_3)
	v_lshlrev_b32_e32 v28, 20, v28
	v_lshl_add_u32 v148, v148, 23, 0x3c000000
	v_and_b32_e32 v149, 0x80000000, v149
	s_delay_alu instid0(VALU_DEP_1)
	v_or3_b32 v28, v28, v149, v148
.LBB409_106:                            ;   in Loop: Header=BB409_13 Depth=1
	s_or_b32 exec_lo, exec_lo, s22
.LBB409_107:                            ;   in Loop: Header=BB409_13 Depth=1
	s_delay_alu instid0(SALU_CYCLE_1)
	s_or_b32 exec_lo, exec_lo, s21
.LBB409_108:                            ;   in Loop: Header=BB409_13 Depth=1
	s_delay_alu instid0(SALU_CYCLE_1) | instskip(NEXT) | instid1(VALU_DEP_1)
	s_or_b32 exec_lo, exec_lo, s20
	v_mul_f32_e32 v28, v132, v28
	s_delay_alu instid0(VALU_DEP_1) | instskip(NEXT) | instid1(VALU_DEP_1)
	v_and_b32_e32 v148, 0x7f800000, v28
	v_cmp_ne_u32_e64 s2, 0x7f800000, v148
                                        ; implicit-def: $vgpr148
	s_delay_alu instid0(VALU_DEP_1) | instskip(NEXT) | instid1(SALU_CYCLE_1)
	s_and_saveexec_b32 s20, s2
	s_xor_b32 s2, exec_lo, s20
; %bb.109:                              ;   in Loop: Header=BB409_13 Depth=1
	v_bfe_u32 v148, v28, 16, 1
	s_delay_alu instid0(VALU_DEP_1)
	v_add3_u32 v148, v28, v148, 0x7fff
                                        ; implicit-def: $vgpr28
; %bb.110:                              ;   in Loop: Header=BB409_13 Depth=1
	s_and_not1_saveexec_b32 s20, s2
; %bb.111:                              ;   in Loop: Header=BB409_13 Depth=1
	v_and_b32_e32 v148, 0xffff, v28
	v_or_b32_e32 v149, 0x10000, v28
	s_delay_alu instid0(VALU_DEP_2) | instskip(NEXT) | instid1(VALU_DEP_1)
	v_cmp_eq_u32_e64 s2, 0, v148
	v_cndmask_b32_e64 v148, v149, v28, s2
; %bb.112:                              ;   in Loop: Header=BB409_13 Depth=1
	s_or_b32 exec_lo, exec_lo, s20
	flat_load_b32 v160, v[80:81] offset:256
	s_mov_b32 s20, exec_lo
	s_waitcnt vmcnt(0) lgkmcnt(0)
	v_dual_mov_b32 v28, 0 :: v_dual_and_b32 v149, 0xff, v160
	s_delay_alu instid0(VALU_DEP_1)
	v_cmpx_ne_u16_e64 0, v149
	s_cbranch_execz .LBB409_120
; %bb.113:                              ;   in Loop: Header=BB409_13 Depth=1
	v_bfrev_b32_e32 v28, 1
	s_mov_b32 s21, exec_lo
	v_cmpx_ne_u16_e64 0x80, v149
	s_cbranch_execz .LBB409_119
; %bb.114:                              ;   in Loop: Header=BB409_13 Depth=1
	v_and_b32_e32 v150, 0x7f, v160
	v_mov_b32_e32 v28, 0x7f800001
	s_mov_b32 s22, exec_lo
	s_delay_alu instid0(VALU_DEP_2)
	v_cmpx_ne_u32_e32 0x7f, v150
	s_cbranch_execz .LBB409_118
; %bb.115:                              ;   in Loop: Header=BB409_13 Depth=1
	v_and_b32_e32 v28, 7, v160
	v_lshrrev_b32_e32 v149, 3, v150
	s_mov_b32 s23, exec_lo
	v_cmpx_gt_u32_e32 8, v150
; %bb.116:                              ;   in Loop: Header=BB409_13 Depth=1
	s_delay_alu instid0(VALU_DEP_3) | instskip(NEXT) | instid1(VALU_DEP_1)
	v_clz_i32_u32_e32 v149, v28
	v_min_u32_e32 v149, 32, v149
	s_delay_alu instid0(VALU_DEP_1) | instskip(SKIP_1) | instid1(VALU_DEP_2)
	v_subrev_nc_u32_e32 v150, 28, v149
	v_sub_nc_u32_e32 v149, 29, v149
	v_lshlrev_b64 v[150:151], v150, v[28:29]
	s_delay_alu instid0(VALU_DEP_1)
	v_and_b32_e32 v28, 7, v150
; %bb.117:                              ;   in Loop: Header=BB409_13 Depth=1
	s_or_b32 exec_lo, exec_lo, s23
	v_lshlrev_b32_e32 v150, 24, v160
	s_delay_alu instid0(VALU_DEP_2) | instskip(SKIP_1) | instid1(VALU_DEP_3)
	v_lshlrev_b32_e32 v28, 20, v28
	v_lshl_add_u32 v149, v149, 23, 0x3c000000
	v_and_b32_e32 v150, 0x80000000, v150
	s_delay_alu instid0(VALU_DEP_1)
	v_or3_b32 v28, v28, v150, v149
.LBB409_118:                            ;   in Loop: Header=BB409_13 Depth=1
	s_or_b32 exec_lo, exec_lo, s22
.LBB409_119:                            ;   in Loop: Header=BB409_13 Depth=1
	s_delay_alu instid0(SALU_CYCLE_1)
	s_or_b32 exec_lo, exec_lo, s21
.LBB409_120:                            ;   in Loop: Header=BB409_13 Depth=1
	s_delay_alu instid0(SALU_CYCLE_1) | instskip(NEXT) | instid1(VALU_DEP_1)
	s_or_b32 exec_lo, exec_lo, s20
	v_mul_f32_e32 v28, v132, v28
	s_delay_alu instid0(VALU_DEP_1) | instskip(NEXT) | instid1(VALU_DEP_1)
	v_and_b32_e32 v149, 0x7f800000, v28
	v_cmp_ne_u32_e64 s2, 0x7f800000, v149
                                        ; implicit-def: $vgpr149
	s_delay_alu instid0(VALU_DEP_1) | instskip(NEXT) | instid1(SALU_CYCLE_1)
	s_and_saveexec_b32 s20, s2
	s_xor_b32 s2, exec_lo, s20
; %bb.121:                              ;   in Loop: Header=BB409_13 Depth=1
	v_bfe_u32 v149, v28, 16, 1
	s_delay_alu instid0(VALU_DEP_1)
	v_add3_u32 v149, v28, v149, 0x7fff
                                        ; implicit-def: $vgpr28
; %bb.122:                              ;   in Loop: Header=BB409_13 Depth=1
	s_and_not1_saveexec_b32 s20, s2
; %bb.123:                              ;   in Loop: Header=BB409_13 Depth=1
	v_and_b32_e32 v149, 0xffff, v28
	v_or_b32_e32 v150, 0x10000, v28
	s_delay_alu instid0(VALU_DEP_2) | instskip(NEXT) | instid1(VALU_DEP_1)
	v_cmp_eq_u32_e64 s2, 0, v149
	v_cndmask_b32_e64 v149, v150, v28, s2
; %bb.124:                              ;   in Loop: Header=BB409_13 Depth=1
	s_or_b32 exec_lo, exec_lo, s20
	v_lshrrev_b16 v150, 8, v160
	v_mov_b32_e32 v28, 0
	s_mov_b32 s20, exec_lo
	s_delay_alu instid0(VALU_DEP_2)
	v_cmpx_ne_u16_e64 0, v150
	s_cbranch_execz .LBB409_132
; %bb.125:                              ;   in Loop: Header=BB409_13 Depth=1
	v_bfrev_b32_e32 v28, 1
	s_mov_b32 s21, exec_lo
	v_cmpx_ne_u16_e64 0x80, v150
	s_cbranch_execz .LBB409_131
; %bb.126:                              ;   in Loop: Header=BB409_13 Depth=1
	v_and_b32_e32 v150, 0xffff, v150
	v_mov_b32_e32 v28, 0x7f800001
	s_mov_b32 s22, exec_lo
	s_delay_alu instid0(VALU_DEP_2) | instskip(NEXT) | instid1(VALU_DEP_1)
	v_and_b32_e32 v151, 0x7f, v150
	v_cmpx_ne_u32_e32 0x7f, v151
	s_cbranch_execz .LBB409_130
; %bb.127:                              ;   in Loop: Header=BB409_13 Depth=1
	v_and_b32_e32 v28, 7, v150
	v_lshrrev_b32_e32 v150, 3, v151
	s_mov_b32 s23, exec_lo
	v_cmpx_gt_u32_e32 8, v151
; %bb.128:                              ;   in Loop: Header=BB409_13 Depth=1
	s_delay_alu instid0(VALU_DEP_3) | instskip(NEXT) | instid1(VALU_DEP_1)
	v_clz_i32_u32_e32 v150, v28
	v_min_u32_e32 v150, 32, v150
	s_delay_alu instid0(VALU_DEP_1) | instskip(SKIP_1) | instid1(VALU_DEP_2)
	v_subrev_nc_u32_e32 v151, 28, v150
	v_sub_nc_u32_e32 v150, 29, v150
	v_lshlrev_b64 v[161:162], v151, v[28:29]
	s_delay_alu instid0(VALU_DEP_1)
	v_and_b32_e32 v28, 7, v161
; %bb.129:                              ;   in Loop: Header=BB409_13 Depth=1
	s_or_b32 exec_lo, exec_lo, s23
	v_lshlrev_b32_e32 v151, 16, v160
	s_delay_alu instid0(VALU_DEP_2) | instskip(SKIP_1) | instid1(VALU_DEP_3)
	v_lshlrev_b32_e32 v28, 20, v28
	v_lshl_add_u32 v150, v150, 23, 0x3c000000
	v_and_b32_e32 v151, 0x80000000, v151
	s_delay_alu instid0(VALU_DEP_1)
	v_or3_b32 v28, v28, v151, v150
.LBB409_130:                            ;   in Loop: Header=BB409_13 Depth=1
	s_or_b32 exec_lo, exec_lo, s22
.LBB409_131:                            ;   in Loop: Header=BB409_13 Depth=1
	s_delay_alu instid0(SALU_CYCLE_1)
	s_or_b32 exec_lo, exec_lo, s21
.LBB409_132:                            ;   in Loop: Header=BB409_13 Depth=1
	s_delay_alu instid0(SALU_CYCLE_1) | instskip(NEXT) | instid1(VALU_DEP_1)
	s_or_b32 exec_lo, exec_lo, s20
	v_mul_f32_e32 v28, v132, v28
	s_delay_alu instid0(VALU_DEP_1) | instskip(NEXT) | instid1(VALU_DEP_1)
	v_and_b32_e32 v150, 0x7f800000, v28
	v_cmp_ne_u32_e64 s2, 0x7f800000, v150
                                        ; implicit-def: $vgpr150
	s_delay_alu instid0(VALU_DEP_1) | instskip(NEXT) | instid1(SALU_CYCLE_1)
	s_and_saveexec_b32 s20, s2
	s_xor_b32 s2, exec_lo, s20
; %bb.133:                              ;   in Loop: Header=BB409_13 Depth=1
	v_bfe_u32 v150, v28, 16, 1
	s_delay_alu instid0(VALU_DEP_1)
	v_add3_u32 v150, v28, v150, 0x7fff
                                        ; implicit-def: $vgpr28
; %bb.134:                              ;   in Loop: Header=BB409_13 Depth=1
	s_and_not1_saveexec_b32 s20, s2
; %bb.135:                              ;   in Loop: Header=BB409_13 Depth=1
	v_and_b32_e32 v150, 0xffff, v28
	v_or_b32_e32 v151, 0x10000, v28
	s_delay_alu instid0(VALU_DEP_2) | instskip(NEXT) | instid1(VALU_DEP_1)
	v_cmp_eq_u32_e64 s2, 0, v150
	v_cndmask_b32_e64 v150, v151, v28, s2
; %bb.136:                              ;   in Loop: Header=BB409_13 Depth=1
	s_or_b32 exec_lo, exec_lo, s20
	v_lshrrev_b32_e32 v151, 16, v160
	s_mov_b32 s20, exec_lo
	s_delay_alu instid0(VALU_DEP_1) | instskip(NEXT) | instid1(VALU_DEP_1)
	v_dual_mov_b32 v28, 0 :: v_dual_and_b32 v161, 0xff, v151
	v_cmpx_ne_u16_e64 0, v161
	s_cbranch_execz .LBB409_144
; %bb.137:                              ;   in Loop: Header=BB409_13 Depth=1
	v_bfrev_b32_e32 v28, 1
	s_mov_b32 s21, exec_lo
	v_cmpx_ne_u16_e64 0x80, v161
	s_cbranch_execz .LBB409_143
; %bb.138:                              ;   in Loop: Header=BB409_13 Depth=1
	v_bfe_u32 v162, v160, 16, 7
	v_mov_b32_e32 v28, 0x7f800001
	s_mov_b32 s22, exec_lo
	s_delay_alu instid0(VALU_DEP_2)
	v_cmpx_ne_u32_e32 0x7f, v162
	s_cbranch_execz .LBB409_142
; %bb.139:                              ;   in Loop: Header=BB409_13 Depth=1
	v_and_b32_e32 v28, 7, v151
	v_lshrrev_b32_e32 v161, 3, v162
	s_mov_b32 s23, exec_lo
	v_cmpx_gt_u32_e32 8, v162
; %bb.140:                              ;   in Loop: Header=BB409_13 Depth=1
	s_delay_alu instid0(VALU_DEP_3) | instskip(NEXT) | instid1(VALU_DEP_1)
	v_clz_i32_u32_e32 v161, v28
	v_min_u32_e32 v161, 32, v161
	s_delay_alu instid0(VALU_DEP_1) | instskip(SKIP_1) | instid1(VALU_DEP_2)
	v_subrev_nc_u32_e32 v162, 28, v161
	v_sub_nc_u32_e32 v161, 29, v161
	v_lshlrev_b64 v[162:163], v162, v[28:29]
	s_delay_alu instid0(VALU_DEP_1)
	v_and_b32_e32 v28, 7, v162
; %bb.141:                              ;   in Loop: Header=BB409_13 Depth=1
	s_or_b32 exec_lo, exec_lo, s23
	v_lshlrev_b32_e32 v151, 24, v151
	s_delay_alu instid0(VALU_DEP_2) | instskip(SKIP_1) | instid1(VALU_DEP_3)
	v_lshlrev_b32_e32 v28, 20, v28
	v_lshl_add_u32 v161, v161, 23, 0x3c000000
	v_and_b32_e32 v151, 0x80000000, v151
	s_delay_alu instid0(VALU_DEP_1)
	v_or3_b32 v28, v28, v151, v161
.LBB409_142:                            ;   in Loop: Header=BB409_13 Depth=1
	s_or_b32 exec_lo, exec_lo, s22
.LBB409_143:                            ;   in Loop: Header=BB409_13 Depth=1
	s_delay_alu instid0(SALU_CYCLE_1)
	s_or_b32 exec_lo, exec_lo, s21
.LBB409_144:                            ;   in Loop: Header=BB409_13 Depth=1
	s_delay_alu instid0(SALU_CYCLE_1) | instskip(NEXT) | instid1(VALU_DEP_1)
	s_or_b32 exec_lo, exec_lo, s20
	v_mul_f32_e32 v28, v132, v28
	s_delay_alu instid0(VALU_DEP_1) | instskip(NEXT) | instid1(VALU_DEP_1)
	v_and_b32_e32 v151, 0x7f800000, v28
	v_cmp_ne_u32_e64 s2, 0x7f800000, v151
                                        ; implicit-def: $vgpr151
	s_delay_alu instid0(VALU_DEP_1) | instskip(NEXT) | instid1(SALU_CYCLE_1)
	s_and_saveexec_b32 s20, s2
	s_xor_b32 s2, exec_lo, s20
; %bb.145:                              ;   in Loop: Header=BB409_13 Depth=1
	v_bfe_u32 v151, v28, 16, 1
	s_delay_alu instid0(VALU_DEP_1)
	v_add3_u32 v151, v28, v151, 0x7fff
                                        ; implicit-def: $vgpr28
; %bb.146:                              ;   in Loop: Header=BB409_13 Depth=1
	s_and_not1_saveexec_b32 s20, s2
; %bb.147:                              ;   in Loop: Header=BB409_13 Depth=1
	v_and_b32_e32 v151, 0xffff, v28
	v_or_b32_e32 v161, 0x10000, v28
	s_delay_alu instid0(VALU_DEP_2) | instskip(NEXT) | instid1(VALU_DEP_1)
	v_cmp_eq_u32_e64 s2, 0, v151
	v_cndmask_b32_e64 v151, v161, v28, s2
; %bb.148:                              ;   in Loop: Header=BB409_13 Depth=1
	s_or_b32 exec_lo, exec_lo, s20
	v_mov_b32_e32 v28, 0
	s_mov_b32 s20, exec_lo
	v_cmpx_lt_u32_e32 0xffffff, v160
	s_cbranch_execz .LBB409_156
; %bb.149:                              ;   in Loop: Header=BB409_13 Depth=1
	v_lshrrev_b32_e32 v161, 24, v160
	v_bfrev_b32_e32 v28, 1
	s_mov_b32 s21, exec_lo
	s_delay_alu instid0(VALU_DEP_2)
	v_cmpx_ne_u32_e32 0x80, v161
	s_cbranch_execz .LBB409_155
; %bb.150:                              ;   in Loop: Header=BB409_13 Depth=1
	v_bfe_u32 v162, v160, 24, 7
	v_mov_b32_e32 v28, 0x7f800001
	s_mov_b32 s22, exec_lo
	s_delay_alu instid0(VALU_DEP_2)
	v_cmpx_ne_u32_e32 0x7f, v162
	s_cbranch_execz .LBB409_154
; %bb.151:                              ;   in Loop: Header=BB409_13 Depth=1
	v_and_b32_e32 v28, 7, v161
	v_lshrrev_b32_e32 v160, 3, v162
	s_mov_b32 s23, exec_lo
	v_cmpx_gt_u32_e32 8, v162
; %bb.152:                              ;   in Loop: Header=BB409_13 Depth=1
	s_delay_alu instid0(VALU_DEP_3) | instskip(NEXT) | instid1(VALU_DEP_1)
	v_clz_i32_u32_e32 v160, v28
	v_min_u32_e32 v160, 32, v160
	s_delay_alu instid0(VALU_DEP_1) | instskip(SKIP_1) | instid1(VALU_DEP_2)
	v_subrev_nc_u32_e32 v162, 28, v160
	v_sub_nc_u32_e32 v160, 29, v160
	v_lshlrev_b64 v[162:163], v162, v[28:29]
	s_delay_alu instid0(VALU_DEP_1)
	v_and_b32_e32 v28, 7, v162
; %bb.153:                              ;   in Loop: Header=BB409_13 Depth=1
	s_or_b32 exec_lo, exec_lo, s23
	v_lshlrev_b32_e32 v161, 24, v161
	s_delay_alu instid0(VALU_DEP_2) | instskip(SKIP_1) | instid1(VALU_DEP_3)
	v_lshlrev_b32_e32 v28, 20, v28
	v_lshl_add_u32 v160, v160, 23, 0x3c000000
	v_and_b32_e32 v161, 0x80000000, v161
	s_delay_alu instid0(VALU_DEP_1)
	v_or3_b32 v28, v28, v161, v160
.LBB409_154:                            ;   in Loop: Header=BB409_13 Depth=1
	s_or_b32 exec_lo, exec_lo, s22
.LBB409_155:                            ;   in Loop: Header=BB409_13 Depth=1
	s_delay_alu instid0(SALU_CYCLE_1)
	s_or_b32 exec_lo, exec_lo, s21
.LBB409_156:                            ;   in Loop: Header=BB409_13 Depth=1
	s_delay_alu instid0(SALU_CYCLE_1) | instskip(NEXT) | instid1(VALU_DEP_1)
	s_or_b32 exec_lo, exec_lo, s20
	v_mul_f32_e32 v28, v132, v28
	s_delay_alu instid0(VALU_DEP_1) | instskip(NEXT) | instid1(VALU_DEP_1)
	v_and_b32_e32 v160, 0x7f800000, v28
	v_cmp_ne_u32_e64 s2, 0x7f800000, v160
                                        ; implicit-def: $vgpr160
	s_delay_alu instid0(VALU_DEP_1) | instskip(NEXT) | instid1(SALU_CYCLE_1)
	s_and_saveexec_b32 s20, s2
	s_xor_b32 s2, exec_lo, s20
; %bb.157:                              ;   in Loop: Header=BB409_13 Depth=1
	v_bfe_u32 v160, v28, 16, 1
	s_delay_alu instid0(VALU_DEP_1)
	v_add3_u32 v160, v28, v160, 0x7fff
                                        ; implicit-def: $vgpr28
; %bb.158:                              ;   in Loop: Header=BB409_13 Depth=1
	s_and_not1_saveexec_b32 s20, s2
; %bb.159:                              ;   in Loop: Header=BB409_13 Depth=1
	v_and_b32_e32 v160, 0xffff, v28
	v_or_b32_e32 v161, 0x10000, v28
	s_delay_alu instid0(VALU_DEP_2) | instskip(NEXT) | instid1(VALU_DEP_1)
	v_cmp_eq_u32_e64 s2, 0, v160
	v_cndmask_b32_e64 v160, v161, v28, s2
; %bb.160:                              ;   in Loop: Header=BB409_13 Depth=1
	s_or_b32 exec_lo, exec_lo, s20
	flat_load_b32 v164, v[80:81] offset:264
	s_mov_b32 s20, exec_lo
	s_waitcnt vmcnt(0) lgkmcnt(0)
	v_dual_mov_b32 v28, 0 :: v_dual_and_b32 v161, 0xff, v164
	s_delay_alu instid0(VALU_DEP_1)
	v_cmpx_ne_u16_e64 0, v161
	s_cbranch_execz .LBB409_168
; %bb.161:                              ;   in Loop: Header=BB409_13 Depth=1
	v_bfrev_b32_e32 v28, 1
	s_mov_b32 s21, exec_lo
	v_cmpx_ne_u16_e64 0x80, v161
	s_cbranch_execz .LBB409_167
; %bb.162:                              ;   in Loop: Header=BB409_13 Depth=1
	v_and_b32_e32 v162, 0x7f, v164
	v_mov_b32_e32 v28, 0x7f800001
	s_mov_b32 s22, exec_lo
	s_delay_alu instid0(VALU_DEP_2)
	v_cmpx_ne_u32_e32 0x7f, v162
	s_cbranch_execz .LBB409_166
; %bb.163:                              ;   in Loop: Header=BB409_13 Depth=1
	v_and_b32_e32 v28, 7, v164
	v_lshrrev_b32_e32 v161, 3, v162
	s_mov_b32 s23, exec_lo
	v_cmpx_gt_u32_e32 8, v162
; %bb.164:                              ;   in Loop: Header=BB409_13 Depth=1
	s_delay_alu instid0(VALU_DEP_3) | instskip(NEXT) | instid1(VALU_DEP_1)
	v_clz_i32_u32_e32 v161, v28
	v_min_u32_e32 v161, 32, v161
	s_delay_alu instid0(VALU_DEP_1) | instskip(SKIP_1) | instid1(VALU_DEP_2)
	v_subrev_nc_u32_e32 v162, 28, v161
	v_sub_nc_u32_e32 v161, 29, v161
	v_lshlrev_b64 v[162:163], v162, v[28:29]
	s_delay_alu instid0(VALU_DEP_1)
	v_and_b32_e32 v28, 7, v162
; %bb.165:                              ;   in Loop: Header=BB409_13 Depth=1
	s_or_b32 exec_lo, exec_lo, s23
	v_lshlrev_b32_e32 v162, 24, v164
	s_delay_alu instid0(VALU_DEP_2) | instskip(SKIP_1) | instid1(VALU_DEP_3)
	v_lshlrev_b32_e32 v28, 20, v28
	v_lshl_add_u32 v161, v161, 23, 0x3c000000
	v_and_b32_e32 v162, 0x80000000, v162
	s_delay_alu instid0(VALU_DEP_1)
	v_or3_b32 v28, v28, v162, v161
.LBB409_166:                            ;   in Loop: Header=BB409_13 Depth=1
	s_or_b32 exec_lo, exec_lo, s22
.LBB409_167:                            ;   in Loop: Header=BB409_13 Depth=1
	s_delay_alu instid0(SALU_CYCLE_1)
	s_or_b32 exec_lo, exec_lo, s21
.LBB409_168:                            ;   in Loop: Header=BB409_13 Depth=1
	s_delay_alu instid0(SALU_CYCLE_1) | instskip(NEXT) | instid1(VALU_DEP_1)
	s_or_b32 exec_lo, exec_lo, s20
	v_mul_f32_e32 v28, v132, v28
	s_delay_alu instid0(VALU_DEP_1) | instskip(NEXT) | instid1(VALU_DEP_1)
	v_and_b32_e32 v161, 0x7f800000, v28
	v_cmp_ne_u32_e64 s2, 0x7f800000, v161
                                        ; implicit-def: $vgpr161
	s_delay_alu instid0(VALU_DEP_1) | instskip(NEXT) | instid1(SALU_CYCLE_1)
	s_and_saveexec_b32 s20, s2
	s_xor_b32 s2, exec_lo, s20
; %bb.169:                              ;   in Loop: Header=BB409_13 Depth=1
	v_bfe_u32 v161, v28, 16, 1
	s_delay_alu instid0(VALU_DEP_1)
	v_add3_u32 v161, v28, v161, 0x7fff
                                        ; implicit-def: $vgpr28
; %bb.170:                              ;   in Loop: Header=BB409_13 Depth=1
	s_and_not1_saveexec_b32 s20, s2
; %bb.171:                              ;   in Loop: Header=BB409_13 Depth=1
	v_and_b32_e32 v161, 0xffff, v28
	v_or_b32_e32 v162, 0x10000, v28
	s_delay_alu instid0(VALU_DEP_2) | instskip(NEXT) | instid1(VALU_DEP_1)
	v_cmp_eq_u32_e64 s2, 0, v161
	v_cndmask_b32_e64 v161, v162, v28, s2
; %bb.172:                              ;   in Loop: Header=BB409_13 Depth=1
	s_or_b32 exec_lo, exec_lo, s20
	v_lshrrev_b16 v162, 8, v164
	v_mov_b32_e32 v28, 0
	s_mov_b32 s20, exec_lo
	s_delay_alu instid0(VALU_DEP_2)
	v_cmpx_ne_u16_e64 0, v162
	s_cbranch_execz .LBB409_180
; %bb.173:                              ;   in Loop: Header=BB409_13 Depth=1
	v_bfrev_b32_e32 v28, 1
	s_mov_b32 s21, exec_lo
	v_cmpx_ne_u16_e64 0x80, v162
	s_cbranch_execz .LBB409_179
; %bb.174:                              ;   in Loop: Header=BB409_13 Depth=1
	v_and_b32_e32 v162, 0xffff, v162
	v_mov_b32_e32 v28, 0x7f800001
	s_mov_b32 s22, exec_lo
	s_delay_alu instid0(VALU_DEP_2) | instskip(NEXT) | instid1(VALU_DEP_1)
	v_and_b32_e32 v163, 0x7f, v162
	v_cmpx_ne_u32_e32 0x7f, v163
	s_cbranch_execz .LBB409_178
; %bb.175:                              ;   in Loop: Header=BB409_13 Depth=1
	v_and_b32_e32 v28, 7, v162
	v_lshrrev_b32_e32 v162, 3, v163
	s_mov_b32 s23, exec_lo
	v_cmpx_gt_u32_e32 8, v163
; %bb.176:                              ;   in Loop: Header=BB409_13 Depth=1
	s_delay_alu instid0(VALU_DEP_3) | instskip(NEXT) | instid1(VALU_DEP_1)
	v_clz_i32_u32_e32 v162, v28
	v_min_u32_e32 v162, 32, v162
	s_delay_alu instid0(VALU_DEP_1) | instskip(SKIP_1) | instid1(VALU_DEP_2)
	v_subrev_nc_u32_e32 v163, 28, v162
	v_sub_nc_u32_e32 v162, 29, v162
	v_lshlrev_b64 v[165:166], v163, v[28:29]
	s_delay_alu instid0(VALU_DEP_1)
	v_and_b32_e32 v28, 7, v165
; %bb.177:                              ;   in Loop: Header=BB409_13 Depth=1
	s_or_b32 exec_lo, exec_lo, s23
	v_lshlrev_b32_e32 v163, 16, v164
	s_delay_alu instid0(VALU_DEP_2) | instskip(SKIP_1) | instid1(VALU_DEP_3)
	v_lshlrev_b32_e32 v28, 20, v28
	v_lshl_add_u32 v162, v162, 23, 0x3c000000
	v_and_b32_e32 v163, 0x80000000, v163
	s_delay_alu instid0(VALU_DEP_1)
	v_or3_b32 v28, v28, v163, v162
.LBB409_178:                            ;   in Loop: Header=BB409_13 Depth=1
	s_or_b32 exec_lo, exec_lo, s22
.LBB409_179:                            ;   in Loop: Header=BB409_13 Depth=1
	s_delay_alu instid0(SALU_CYCLE_1)
	s_or_b32 exec_lo, exec_lo, s21
.LBB409_180:                            ;   in Loop: Header=BB409_13 Depth=1
	s_delay_alu instid0(SALU_CYCLE_1) | instskip(NEXT) | instid1(VALU_DEP_1)
	s_or_b32 exec_lo, exec_lo, s20
	v_mul_f32_e32 v28, v132, v28
	s_delay_alu instid0(VALU_DEP_1) | instskip(NEXT) | instid1(VALU_DEP_1)
	v_and_b32_e32 v162, 0x7f800000, v28
	v_cmp_ne_u32_e64 s2, 0x7f800000, v162
                                        ; implicit-def: $vgpr162
	s_delay_alu instid0(VALU_DEP_1) | instskip(NEXT) | instid1(SALU_CYCLE_1)
	s_and_saveexec_b32 s20, s2
	s_xor_b32 s2, exec_lo, s20
; %bb.181:                              ;   in Loop: Header=BB409_13 Depth=1
	v_bfe_u32 v162, v28, 16, 1
	s_delay_alu instid0(VALU_DEP_1)
	v_add3_u32 v162, v28, v162, 0x7fff
                                        ; implicit-def: $vgpr28
; %bb.182:                              ;   in Loop: Header=BB409_13 Depth=1
	s_and_not1_saveexec_b32 s20, s2
; %bb.183:                              ;   in Loop: Header=BB409_13 Depth=1
	v_and_b32_e32 v162, 0xffff, v28
	v_or_b32_e32 v163, 0x10000, v28
	s_delay_alu instid0(VALU_DEP_2) | instskip(NEXT) | instid1(VALU_DEP_1)
	v_cmp_eq_u32_e64 s2, 0, v162
	v_cndmask_b32_e64 v162, v163, v28, s2
; %bb.184:                              ;   in Loop: Header=BB409_13 Depth=1
	s_or_b32 exec_lo, exec_lo, s20
	v_lshrrev_b32_e32 v163, 16, v164
	s_mov_b32 s20, exec_lo
	s_delay_alu instid0(VALU_DEP_1) | instskip(NEXT) | instid1(VALU_DEP_1)
	v_dual_mov_b32 v28, 0 :: v_dual_and_b32 v165, 0xff, v163
	v_cmpx_ne_u16_e64 0, v165
	s_cbranch_execz .LBB409_192
; %bb.185:                              ;   in Loop: Header=BB409_13 Depth=1
	v_bfrev_b32_e32 v28, 1
	s_mov_b32 s21, exec_lo
	v_cmpx_ne_u16_e64 0x80, v165
	s_cbranch_execz .LBB409_191
; %bb.186:                              ;   in Loop: Header=BB409_13 Depth=1
	v_bfe_u32 v166, v164, 16, 7
	v_mov_b32_e32 v28, 0x7f800001
	s_mov_b32 s22, exec_lo
	s_delay_alu instid0(VALU_DEP_2)
	v_cmpx_ne_u32_e32 0x7f, v166
	s_cbranch_execz .LBB409_190
; %bb.187:                              ;   in Loop: Header=BB409_13 Depth=1
	v_and_b32_e32 v28, 7, v163
	v_lshrrev_b32_e32 v165, 3, v166
	s_mov_b32 s23, exec_lo
	v_cmpx_gt_u32_e32 8, v166
; %bb.188:                              ;   in Loop: Header=BB409_13 Depth=1
	s_delay_alu instid0(VALU_DEP_3) | instskip(NEXT) | instid1(VALU_DEP_1)
	v_clz_i32_u32_e32 v165, v28
	v_min_u32_e32 v165, 32, v165
	s_delay_alu instid0(VALU_DEP_1) | instskip(SKIP_1) | instid1(VALU_DEP_2)
	v_subrev_nc_u32_e32 v166, 28, v165
	v_sub_nc_u32_e32 v165, 29, v165
	v_lshlrev_b64 v[166:167], v166, v[28:29]
	s_delay_alu instid0(VALU_DEP_1)
	v_and_b32_e32 v28, 7, v166
; %bb.189:                              ;   in Loop: Header=BB409_13 Depth=1
	s_or_b32 exec_lo, exec_lo, s23
	v_lshlrev_b32_e32 v163, 24, v163
	s_delay_alu instid0(VALU_DEP_2) | instskip(SKIP_1) | instid1(VALU_DEP_3)
	v_lshlrev_b32_e32 v28, 20, v28
	v_lshl_add_u32 v165, v165, 23, 0x3c000000
	v_and_b32_e32 v163, 0x80000000, v163
	s_delay_alu instid0(VALU_DEP_1)
	v_or3_b32 v28, v28, v163, v165
.LBB409_190:                            ;   in Loop: Header=BB409_13 Depth=1
	s_or_b32 exec_lo, exec_lo, s22
.LBB409_191:                            ;   in Loop: Header=BB409_13 Depth=1
	s_delay_alu instid0(SALU_CYCLE_1)
	s_or_b32 exec_lo, exec_lo, s21
.LBB409_192:                            ;   in Loop: Header=BB409_13 Depth=1
	s_delay_alu instid0(SALU_CYCLE_1) | instskip(NEXT) | instid1(VALU_DEP_1)
	s_or_b32 exec_lo, exec_lo, s20
	v_mul_f32_e32 v28, v132, v28
	s_delay_alu instid0(VALU_DEP_1) | instskip(NEXT) | instid1(VALU_DEP_1)
	v_and_b32_e32 v163, 0x7f800000, v28
	v_cmp_ne_u32_e64 s2, 0x7f800000, v163
                                        ; implicit-def: $vgpr163
	s_delay_alu instid0(VALU_DEP_1) | instskip(NEXT) | instid1(SALU_CYCLE_1)
	s_and_saveexec_b32 s20, s2
	s_xor_b32 s2, exec_lo, s20
; %bb.193:                              ;   in Loop: Header=BB409_13 Depth=1
	v_bfe_u32 v163, v28, 16, 1
	s_delay_alu instid0(VALU_DEP_1)
	v_add3_u32 v163, v28, v163, 0x7fff
                                        ; implicit-def: $vgpr28
; %bb.194:                              ;   in Loop: Header=BB409_13 Depth=1
	s_and_not1_saveexec_b32 s20, s2
; %bb.195:                              ;   in Loop: Header=BB409_13 Depth=1
	v_and_b32_e32 v163, 0xffff, v28
	v_or_b32_e32 v165, 0x10000, v28
	s_delay_alu instid0(VALU_DEP_2) | instskip(NEXT) | instid1(VALU_DEP_1)
	v_cmp_eq_u32_e64 s2, 0, v163
	v_cndmask_b32_e64 v163, v165, v28, s2
; %bb.196:                              ;   in Loop: Header=BB409_13 Depth=1
	s_or_b32 exec_lo, exec_lo, s20
	v_mov_b32_e32 v28, 0
	s_mov_b32 s20, exec_lo
	v_cmpx_lt_u32_e32 0xffffff, v164
	s_cbranch_execz .LBB409_204
; %bb.197:                              ;   in Loop: Header=BB409_13 Depth=1
	v_lshrrev_b32_e32 v165, 24, v164
	v_bfrev_b32_e32 v28, 1
	s_mov_b32 s21, exec_lo
	s_delay_alu instid0(VALU_DEP_2)
	v_cmpx_ne_u32_e32 0x80, v165
	s_cbranch_execz .LBB409_203
; %bb.198:                              ;   in Loop: Header=BB409_13 Depth=1
	v_bfe_u32 v166, v164, 24, 7
	v_mov_b32_e32 v28, 0x7f800001
	s_mov_b32 s22, exec_lo
	s_delay_alu instid0(VALU_DEP_2)
	v_cmpx_ne_u32_e32 0x7f, v166
	s_cbranch_execz .LBB409_202
; %bb.199:                              ;   in Loop: Header=BB409_13 Depth=1
	v_and_b32_e32 v28, 7, v165
	v_lshrrev_b32_e32 v164, 3, v166
	s_mov_b32 s23, exec_lo
	v_cmpx_gt_u32_e32 8, v166
; %bb.200:                              ;   in Loop: Header=BB409_13 Depth=1
	s_delay_alu instid0(VALU_DEP_3) | instskip(NEXT) | instid1(VALU_DEP_1)
	v_clz_i32_u32_e32 v164, v28
	v_min_u32_e32 v164, 32, v164
	s_delay_alu instid0(VALU_DEP_1) | instskip(SKIP_1) | instid1(VALU_DEP_2)
	v_subrev_nc_u32_e32 v166, 28, v164
	v_sub_nc_u32_e32 v164, 29, v164
	v_lshlrev_b64 v[166:167], v166, v[28:29]
	s_delay_alu instid0(VALU_DEP_1)
	v_and_b32_e32 v28, 7, v166
; %bb.201:                              ;   in Loop: Header=BB409_13 Depth=1
	s_or_b32 exec_lo, exec_lo, s23
	v_lshlrev_b32_e32 v165, 24, v165
	s_delay_alu instid0(VALU_DEP_2) | instskip(SKIP_1) | instid1(VALU_DEP_3)
	v_lshlrev_b32_e32 v28, 20, v28
	v_lshl_add_u32 v164, v164, 23, 0x3c000000
	v_and_b32_e32 v165, 0x80000000, v165
	s_delay_alu instid0(VALU_DEP_1)
	v_or3_b32 v28, v28, v165, v164
.LBB409_202:                            ;   in Loop: Header=BB409_13 Depth=1
	s_or_b32 exec_lo, exec_lo, s22
.LBB409_203:                            ;   in Loop: Header=BB409_13 Depth=1
	s_delay_alu instid0(SALU_CYCLE_1)
	s_or_b32 exec_lo, exec_lo, s21
.LBB409_204:                            ;   in Loop: Header=BB409_13 Depth=1
	s_delay_alu instid0(SALU_CYCLE_1) | instskip(NEXT) | instid1(VALU_DEP_1)
	s_or_b32 exec_lo, exec_lo, s20
	v_mul_f32_e32 v28, v132, v28
	s_delay_alu instid0(VALU_DEP_1) | instskip(NEXT) | instid1(VALU_DEP_1)
	v_and_b32_e32 v164, 0x7f800000, v28
	v_cmp_ne_u32_e64 s2, 0x7f800000, v164
                                        ; implicit-def: $vgpr164
	s_delay_alu instid0(VALU_DEP_1) | instskip(NEXT) | instid1(SALU_CYCLE_1)
	s_and_saveexec_b32 s20, s2
	s_xor_b32 s2, exec_lo, s20
; %bb.205:                              ;   in Loop: Header=BB409_13 Depth=1
	v_bfe_u32 v164, v28, 16, 1
	s_delay_alu instid0(VALU_DEP_1)
	v_add3_u32 v164, v28, v164, 0x7fff
                                        ; implicit-def: $vgpr28
; %bb.206:                              ;   in Loop: Header=BB409_13 Depth=1
	s_and_not1_saveexec_b32 s20, s2
; %bb.207:                              ;   in Loop: Header=BB409_13 Depth=1
	v_and_b32_e32 v164, 0xffff, v28
	v_or_b32_e32 v165, 0x10000, v28
	s_delay_alu instid0(VALU_DEP_2) | instskip(NEXT) | instid1(VALU_DEP_1)
	v_cmp_eq_u32_e64 s2, 0, v164
	v_cndmask_b32_e64 v164, v165, v28, s2
; %bb.208:                              ;   in Loop: Header=BB409_13 Depth=1
	s_or_b32 exec_lo, exec_lo, s20
	flat_load_b32 v176, v[80:81] offset:512
	s_mov_b32 s20, exec_lo
	s_waitcnt vmcnt(0) lgkmcnt(0)
	v_dual_mov_b32 v28, 0 :: v_dual_and_b32 v165, 0xff, v176
	s_delay_alu instid0(VALU_DEP_1)
	v_cmpx_ne_u16_e64 0, v165
	s_cbranch_execz .LBB409_216
; %bb.209:                              ;   in Loop: Header=BB409_13 Depth=1
	v_bfrev_b32_e32 v28, 1
	s_mov_b32 s21, exec_lo
	v_cmpx_ne_u16_e64 0x80, v165
	s_cbranch_execz .LBB409_215
; %bb.210:                              ;   in Loop: Header=BB409_13 Depth=1
	v_and_b32_e32 v166, 0x7f, v176
	v_mov_b32_e32 v28, 0x7f800001
	s_mov_b32 s22, exec_lo
	s_delay_alu instid0(VALU_DEP_2)
	v_cmpx_ne_u32_e32 0x7f, v166
	s_cbranch_execz .LBB409_214
; %bb.211:                              ;   in Loop: Header=BB409_13 Depth=1
	v_and_b32_e32 v28, 7, v176
	v_lshrrev_b32_e32 v165, 3, v166
	s_mov_b32 s23, exec_lo
	v_cmpx_gt_u32_e32 8, v166
; %bb.212:                              ;   in Loop: Header=BB409_13 Depth=1
	s_delay_alu instid0(VALU_DEP_3) | instskip(NEXT) | instid1(VALU_DEP_1)
	v_clz_i32_u32_e32 v165, v28
	v_min_u32_e32 v165, 32, v165
	s_delay_alu instid0(VALU_DEP_1) | instskip(SKIP_1) | instid1(VALU_DEP_2)
	v_subrev_nc_u32_e32 v166, 28, v165
	v_sub_nc_u32_e32 v165, 29, v165
	v_lshlrev_b64 v[166:167], v166, v[28:29]
	s_delay_alu instid0(VALU_DEP_1)
	v_and_b32_e32 v28, 7, v166
; %bb.213:                              ;   in Loop: Header=BB409_13 Depth=1
	s_or_b32 exec_lo, exec_lo, s23
	v_lshlrev_b32_e32 v166, 24, v176
	s_delay_alu instid0(VALU_DEP_2) | instskip(SKIP_1) | instid1(VALU_DEP_3)
	v_lshlrev_b32_e32 v28, 20, v28
	v_lshl_add_u32 v165, v165, 23, 0x3c000000
	v_and_b32_e32 v166, 0x80000000, v166
	s_delay_alu instid0(VALU_DEP_1)
	v_or3_b32 v28, v28, v166, v165
.LBB409_214:                            ;   in Loop: Header=BB409_13 Depth=1
	s_or_b32 exec_lo, exec_lo, s22
.LBB409_215:                            ;   in Loop: Header=BB409_13 Depth=1
	s_delay_alu instid0(SALU_CYCLE_1)
	s_or_b32 exec_lo, exec_lo, s21
.LBB409_216:                            ;   in Loop: Header=BB409_13 Depth=1
	s_delay_alu instid0(SALU_CYCLE_1) | instskip(NEXT) | instid1(VALU_DEP_1)
	s_or_b32 exec_lo, exec_lo, s20
	v_mul_f32_e32 v28, v132, v28
	s_delay_alu instid0(VALU_DEP_1) | instskip(NEXT) | instid1(VALU_DEP_1)
	v_and_b32_e32 v165, 0x7f800000, v28
	v_cmp_ne_u32_e64 s2, 0x7f800000, v165
                                        ; implicit-def: $vgpr165
	s_delay_alu instid0(VALU_DEP_1) | instskip(NEXT) | instid1(SALU_CYCLE_1)
	s_and_saveexec_b32 s20, s2
	s_xor_b32 s2, exec_lo, s20
; %bb.217:                              ;   in Loop: Header=BB409_13 Depth=1
	v_bfe_u32 v165, v28, 16, 1
	s_delay_alu instid0(VALU_DEP_1)
	v_add3_u32 v165, v28, v165, 0x7fff
                                        ; implicit-def: $vgpr28
; %bb.218:                              ;   in Loop: Header=BB409_13 Depth=1
	s_and_not1_saveexec_b32 s20, s2
; %bb.219:                              ;   in Loop: Header=BB409_13 Depth=1
	v_and_b32_e32 v165, 0xffff, v28
	v_or_b32_e32 v166, 0x10000, v28
	s_delay_alu instid0(VALU_DEP_2) | instskip(NEXT) | instid1(VALU_DEP_1)
	v_cmp_eq_u32_e64 s2, 0, v165
	v_cndmask_b32_e64 v165, v166, v28, s2
; %bb.220:                              ;   in Loop: Header=BB409_13 Depth=1
	s_or_b32 exec_lo, exec_lo, s20
	v_lshrrev_b16 v166, 8, v176
	v_mov_b32_e32 v28, 0
	s_mov_b32 s20, exec_lo
	s_delay_alu instid0(VALU_DEP_2)
	v_cmpx_ne_u16_e64 0, v166
	s_cbranch_execz .LBB409_228
; %bb.221:                              ;   in Loop: Header=BB409_13 Depth=1
	v_bfrev_b32_e32 v28, 1
	s_mov_b32 s21, exec_lo
	v_cmpx_ne_u16_e64 0x80, v166
	s_cbranch_execz .LBB409_227
; %bb.222:                              ;   in Loop: Header=BB409_13 Depth=1
	v_and_b32_e32 v166, 0xffff, v166
	v_mov_b32_e32 v28, 0x7f800001
	s_mov_b32 s22, exec_lo
	s_delay_alu instid0(VALU_DEP_2) | instskip(NEXT) | instid1(VALU_DEP_1)
	v_and_b32_e32 v167, 0x7f, v166
	v_cmpx_ne_u32_e32 0x7f, v167
	s_cbranch_execz .LBB409_226
; %bb.223:                              ;   in Loop: Header=BB409_13 Depth=1
	v_and_b32_e32 v28, 7, v166
	v_lshrrev_b32_e32 v166, 3, v167
	s_mov_b32 s23, exec_lo
	v_cmpx_gt_u32_e32 8, v167
; %bb.224:                              ;   in Loop: Header=BB409_13 Depth=1
	s_delay_alu instid0(VALU_DEP_3) | instskip(NEXT) | instid1(VALU_DEP_1)
	v_clz_i32_u32_e32 v166, v28
	v_min_u32_e32 v166, 32, v166
	s_delay_alu instid0(VALU_DEP_1) | instskip(SKIP_1) | instid1(VALU_DEP_2)
	v_subrev_nc_u32_e32 v167, 28, v166
	v_sub_nc_u32_e32 v166, 29, v166
	v_lshlrev_b64 v[177:178], v167, v[28:29]
	s_delay_alu instid0(VALU_DEP_1)
	v_and_b32_e32 v28, 7, v177
; %bb.225:                              ;   in Loop: Header=BB409_13 Depth=1
	s_or_b32 exec_lo, exec_lo, s23
	v_lshlrev_b32_e32 v167, 16, v176
	s_delay_alu instid0(VALU_DEP_2) | instskip(SKIP_1) | instid1(VALU_DEP_3)
	v_lshlrev_b32_e32 v28, 20, v28
	v_lshl_add_u32 v166, v166, 23, 0x3c000000
	v_and_b32_e32 v167, 0x80000000, v167
	s_delay_alu instid0(VALU_DEP_1)
	v_or3_b32 v28, v28, v167, v166
.LBB409_226:                            ;   in Loop: Header=BB409_13 Depth=1
	s_or_b32 exec_lo, exec_lo, s22
.LBB409_227:                            ;   in Loop: Header=BB409_13 Depth=1
	s_delay_alu instid0(SALU_CYCLE_1)
	s_or_b32 exec_lo, exec_lo, s21
.LBB409_228:                            ;   in Loop: Header=BB409_13 Depth=1
	s_delay_alu instid0(SALU_CYCLE_1) | instskip(NEXT) | instid1(VALU_DEP_1)
	s_or_b32 exec_lo, exec_lo, s20
	v_mul_f32_e32 v28, v132, v28
	s_delay_alu instid0(VALU_DEP_1) | instskip(NEXT) | instid1(VALU_DEP_1)
	v_and_b32_e32 v166, 0x7f800000, v28
	v_cmp_ne_u32_e64 s2, 0x7f800000, v166
                                        ; implicit-def: $vgpr166
	s_delay_alu instid0(VALU_DEP_1) | instskip(NEXT) | instid1(SALU_CYCLE_1)
	s_and_saveexec_b32 s20, s2
	s_xor_b32 s2, exec_lo, s20
; %bb.229:                              ;   in Loop: Header=BB409_13 Depth=1
	v_bfe_u32 v166, v28, 16, 1
	s_delay_alu instid0(VALU_DEP_1)
	v_add3_u32 v166, v28, v166, 0x7fff
                                        ; implicit-def: $vgpr28
; %bb.230:                              ;   in Loop: Header=BB409_13 Depth=1
	s_and_not1_saveexec_b32 s20, s2
; %bb.231:                              ;   in Loop: Header=BB409_13 Depth=1
	v_and_b32_e32 v166, 0xffff, v28
	v_or_b32_e32 v167, 0x10000, v28
	s_delay_alu instid0(VALU_DEP_2) | instskip(NEXT) | instid1(VALU_DEP_1)
	v_cmp_eq_u32_e64 s2, 0, v166
	v_cndmask_b32_e64 v166, v167, v28, s2
; %bb.232:                              ;   in Loop: Header=BB409_13 Depth=1
	s_or_b32 exec_lo, exec_lo, s20
	v_lshrrev_b32_e32 v167, 16, v176
	s_mov_b32 s20, exec_lo
	s_delay_alu instid0(VALU_DEP_1) | instskip(NEXT) | instid1(VALU_DEP_1)
	v_dual_mov_b32 v28, 0 :: v_dual_and_b32 v177, 0xff, v167
	v_cmpx_ne_u16_e64 0, v177
	s_cbranch_execz .LBB409_240
; %bb.233:                              ;   in Loop: Header=BB409_13 Depth=1
	v_bfrev_b32_e32 v28, 1
	s_mov_b32 s21, exec_lo
	v_cmpx_ne_u16_e64 0x80, v177
	s_cbranch_execz .LBB409_239
; %bb.234:                              ;   in Loop: Header=BB409_13 Depth=1
	v_bfe_u32 v178, v176, 16, 7
	v_mov_b32_e32 v28, 0x7f800001
	s_mov_b32 s22, exec_lo
	s_delay_alu instid0(VALU_DEP_2)
	v_cmpx_ne_u32_e32 0x7f, v178
	s_cbranch_execz .LBB409_238
; %bb.235:                              ;   in Loop: Header=BB409_13 Depth=1
	v_and_b32_e32 v28, 7, v167
	v_lshrrev_b32_e32 v177, 3, v178
	s_mov_b32 s23, exec_lo
	v_cmpx_gt_u32_e32 8, v178
; %bb.236:                              ;   in Loop: Header=BB409_13 Depth=1
	s_delay_alu instid0(VALU_DEP_3) | instskip(NEXT) | instid1(VALU_DEP_1)
	v_clz_i32_u32_e32 v177, v28
	v_min_u32_e32 v177, 32, v177
	s_delay_alu instid0(VALU_DEP_1) | instskip(SKIP_1) | instid1(VALU_DEP_2)
	v_subrev_nc_u32_e32 v178, 28, v177
	v_sub_nc_u32_e32 v177, 29, v177
	v_lshlrev_b64 v[178:179], v178, v[28:29]
	s_delay_alu instid0(VALU_DEP_1)
	v_and_b32_e32 v28, 7, v178
; %bb.237:                              ;   in Loop: Header=BB409_13 Depth=1
	s_or_b32 exec_lo, exec_lo, s23
	v_lshlrev_b32_e32 v167, 24, v167
	s_delay_alu instid0(VALU_DEP_2) | instskip(SKIP_1) | instid1(VALU_DEP_3)
	v_lshlrev_b32_e32 v28, 20, v28
	v_lshl_add_u32 v177, v177, 23, 0x3c000000
	v_and_b32_e32 v167, 0x80000000, v167
	s_delay_alu instid0(VALU_DEP_1)
	v_or3_b32 v28, v28, v167, v177
.LBB409_238:                            ;   in Loop: Header=BB409_13 Depth=1
	s_or_b32 exec_lo, exec_lo, s22
.LBB409_239:                            ;   in Loop: Header=BB409_13 Depth=1
	s_delay_alu instid0(SALU_CYCLE_1)
	s_or_b32 exec_lo, exec_lo, s21
.LBB409_240:                            ;   in Loop: Header=BB409_13 Depth=1
	s_delay_alu instid0(SALU_CYCLE_1) | instskip(NEXT) | instid1(VALU_DEP_1)
	s_or_b32 exec_lo, exec_lo, s20
	v_mul_f32_e32 v28, v132, v28
	s_delay_alu instid0(VALU_DEP_1) | instskip(NEXT) | instid1(VALU_DEP_1)
	v_and_b32_e32 v167, 0x7f800000, v28
	v_cmp_ne_u32_e64 s2, 0x7f800000, v167
                                        ; implicit-def: $vgpr167
	s_delay_alu instid0(VALU_DEP_1) | instskip(NEXT) | instid1(SALU_CYCLE_1)
	s_and_saveexec_b32 s20, s2
	s_xor_b32 s2, exec_lo, s20
; %bb.241:                              ;   in Loop: Header=BB409_13 Depth=1
	v_bfe_u32 v167, v28, 16, 1
	s_delay_alu instid0(VALU_DEP_1)
	v_add3_u32 v167, v28, v167, 0x7fff
                                        ; implicit-def: $vgpr28
; %bb.242:                              ;   in Loop: Header=BB409_13 Depth=1
	s_and_not1_saveexec_b32 s20, s2
; %bb.243:                              ;   in Loop: Header=BB409_13 Depth=1
	v_and_b32_e32 v167, 0xffff, v28
	v_or_b32_e32 v177, 0x10000, v28
	s_delay_alu instid0(VALU_DEP_2) | instskip(NEXT) | instid1(VALU_DEP_1)
	v_cmp_eq_u32_e64 s2, 0, v167
	v_cndmask_b32_e64 v167, v177, v28, s2
; %bb.244:                              ;   in Loop: Header=BB409_13 Depth=1
	s_or_b32 exec_lo, exec_lo, s20
	v_mov_b32_e32 v28, 0
	s_mov_b32 s20, exec_lo
	v_cmpx_lt_u32_e32 0xffffff, v176
	s_cbranch_execz .LBB409_252
; %bb.245:                              ;   in Loop: Header=BB409_13 Depth=1
	v_lshrrev_b32_e32 v177, 24, v176
	v_bfrev_b32_e32 v28, 1
	s_mov_b32 s21, exec_lo
	s_delay_alu instid0(VALU_DEP_2)
	v_cmpx_ne_u32_e32 0x80, v177
	s_cbranch_execz .LBB409_251
; %bb.246:                              ;   in Loop: Header=BB409_13 Depth=1
	v_bfe_u32 v178, v176, 24, 7
	v_mov_b32_e32 v28, 0x7f800001
	s_mov_b32 s22, exec_lo
	s_delay_alu instid0(VALU_DEP_2)
	v_cmpx_ne_u32_e32 0x7f, v178
	s_cbranch_execz .LBB409_250
; %bb.247:                              ;   in Loop: Header=BB409_13 Depth=1
	v_and_b32_e32 v28, 7, v177
	v_lshrrev_b32_e32 v176, 3, v178
	s_mov_b32 s23, exec_lo
	v_cmpx_gt_u32_e32 8, v178
; %bb.248:                              ;   in Loop: Header=BB409_13 Depth=1
	s_delay_alu instid0(VALU_DEP_3) | instskip(NEXT) | instid1(VALU_DEP_1)
	v_clz_i32_u32_e32 v176, v28
	v_min_u32_e32 v176, 32, v176
	s_delay_alu instid0(VALU_DEP_1) | instskip(SKIP_1) | instid1(VALU_DEP_2)
	v_subrev_nc_u32_e32 v178, 28, v176
	v_sub_nc_u32_e32 v176, 29, v176
	v_lshlrev_b64 v[178:179], v178, v[28:29]
	s_delay_alu instid0(VALU_DEP_1)
	v_and_b32_e32 v28, 7, v178
; %bb.249:                              ;   in Loop: Header=BB409_13 Depth=1
	s_or_b32 exec_lo, exec_lo, s23
	v_lshlrev_b32_e32 v177, 24, v177
	s_delay_alu instid0(VALU_DEP_2) | instskip(SKIP_1) | instid1(VALU_DEP_3)
	v_lshlrev_b32_e32 v28, 20, v28
	v_lshl_add_u32 v176, v176, 23, 0x3c000000
	v_and_b32_e32 v177, 0x80000000, v177
	s_delay_alu instid0(VALU_DEP_1)
	v_or3_b32 v28, v28, v177, v176
.LBB409_250:                            ;   in Loop: Header=BB409_13 Depth=1
	s_or_b32 exec_lo, exec_lo, s22
.LBB409_251:                            ;   in Loop: Header=BB409_13 Depth=1
	s_delay_alu instid0(SALU_CYCLE_1)
	s_or_b32 exec_lo, exec_lo, s21
.LBB409_252:                            ;   in Loop: Header=BB409_13 Depth=1
	s_delay_alu instid0(SALU_CYCLE_1) | instskip(NEXT) | instid1(VALU_DEP_1)
	s_or_b32 exec_lo, exec_lo, s20
	v_mul_f32_e32 v28, v132, v28
	s_delay_alu instid0(VALU_DEP_1) | instskip(NEXT) | instid1(VALU_DEP_1)
	v_and_b32_e32 v176, 0x7f800000, v28
	v_cmp_ne_u32_e64 s2, 0x7f800000, v176
                                        ; implicit-def: $vgpr176
	s_delay_alu instid0(VALU_DEP_1) | instskip(NEXT) | instid1(SALU_CYCLE_1)
	s_and_saveexec_b32 s20, s2
	s_xor_b32 s2, exec_lo, s20
; %bb.253:                              ;   in Loop: Header=BB409_13 Depth=1
	v_bfe_u32 v176, v28, 16, 1
	s_delay_alu instid0(VALU_DEP_1)
	v_add3_u32 v176, v28, v176, 0x7fff
                                        ; implicit-def: $vgpr28
; %bb.254:                              ;   in Loop: Header=BB409_13 Depth=1
	s_and_not1_saveexec_b32 s20, s2
; %bb.255:                              ;   in Loop: Header=BB409_13 Depth=1
	v_and_b32_e32 v176, 0xffff, v28
	v_or_b32_e32 v177, 0x10000, v28
	s_delay_alu instid0(VALU_DEP_2) | instskip(NEXT) | instid1(VALU_DEP_1)
	v_cmp_eq_u32_e64 s2, 0, v176
	v_cndmask_b32_e64 v176, v177, v28, s2
; %bb.256:                              ;   in Loop: Header=BB409_13 Depth=1
	s_or_b32 exec_lo, exec_lo, s20
	flat_load_b32 v180, v[80:81] offset:520
	s_mov_b32 s20, exec_lo
	s_waitcnt vmcnt(0) lgkmcnt(0)
	v_dual_mov_b32 v28, 0 :: v_dual_and_b32 v177, 0xff, v180
	s_delay_alu instid0(VALU_DEP_1)
	v_cmpx_ne_u16_e64 0, v177
	s_cbranch_execz .LBB409_264
; %bb.257:                              ;   in Loop: Header=BB409_13 Depth=1
	v_bfrev_b32_e32 v28, 1
	s_mov_b32 s21, exec_lo
	v_cmpx_ne_u16_e64 0x80, v177
	s_cbranch_execz .LBB409_263
; %bb.258:                              ;   in Loop: Header=BB409_13 Depth=1
	v_and_b32_e32 v178, 0x7f, v180
	v_mov_b32_e32 v28, 0x7f800001
	s_mov_b32 s22, exec_lo
	s_delay_alu instid0(VALU_DEP_2)
	v_cmpx_ne_u32_e32 0x7f, v178
	s_cbranch_execz .LBB409_262
; %bb.259:                              ;   in Loop: Header=BB409_13 Depth=1
	v_and_b32_e32 v28, 7, v180
	v_lshrrev_b32_e32 v177, 3, v178
	s_mov_b32 s23, exec_lo
	v_cmpx_gt_u32_e32 8, v178
; %bb.260:                              ;   in Loop: Header=BB409_13 Depth=1
	s_delay_alu instid0(VALU_DEP_3) | instskip(NEXT) | instid1(VALU_DEP_1)
	v_clz_i32_u32_e32 v177, v28
	v_min_u32_e32 v177, 32, v177
	s_delay_alu instid0(VALU_DEP_1) | instskip(SKIP_1) | instid1(VALU_DEP_2)
	v_subrev_nc_u32_e32 v178, 28, v177
	v_sub_nc_u32_e32 v177, 29, v177
	v_lshlrev_b64 v[178:179], v178, v[28:29]
	s_delay_alu instid0(VALU_DEP_1)
	v_and_b32_e32 v28, 7, v178
; %bb.261:                              ;   in Loop: Header=BB409_13 Depth=1
	s_or_b32 exec_lo, exec_lo, s23
	v_lshlrev_b32_e32 v178, 24, v180
	s_delay_alu instid0(VALU_DEP_2) | instskip(SKIP_1) | instid1(VALU_DEP_3)
	v_lshlrev_b32_e32 v28, 20, v28
	v_lshl_add_u32 v177, v177, 23, 0x3c000000
	v_and_b32_e32 v178, 0x80000000, v178
	s_delay_alu instid0(VALU_DEP_1)
	v_or3_b32 v28, v28, v178, v177
.LBB409_262:                            ;   in Loop: Header=BB409_13 Depth=1
	s_or_b32 exec_lo, exec_lo, s22
.LBB409_263:                            ;   in Loop: Header=BB409_13 Depth=1
	s_delay_alu instid0(SALU_CYCLE_1)
	s_or_b32 exec_lo, exec_lo, s21
.LBB409_264:                            ;   in Loop: Header=BB409_13 Depth=1
	s_delay_alu instid0(SALU_CYCLE_1) | instskip(NEXT) | instid1(VALU_DEP_1)
	s_or_b32 exec_lo, exec_lo, s20
	v_mul_f32_e32 v28, v132, v28
	s_delay_alu instid0(VALU_DEP_1) | instskip(NEXT) | instid1(VALU_DEP_1)
	v_and_b32_e32 v177, 0x7f800000, v28
	v_cmp_ne_u32_e64 s2, 0x7f800000, v177
                                        ; implicit-def: $vgpr177
	s_delay_alu instid0(VALU_DEP_1) | instskip(NEXT) | instid1(SALU_CYCLE_1)
	s_and_saveexec_b32 s20, s2
	s_xor_b32 s2, exec_lo, s20
; %bb.265:                              ;   in Loop: Header=BB409_13 Depth=1
	v_bfe_u32 v177, v28, 16, 1
	s_delay_alu instid0(VALU_DEP_1)
	v_add3_u32 v177, v28, v177, 0x7fff
                                        ; implicit-def: $vgpr28
; %bb.266:                              ;   in Loop: Header=BB409_13 Depth=1
	s_and_not1_saveexec_b32 s20, s2
; %bb.267:                              ;   in Loop: Header=BB409_13 Depth=1
	v_and_b32_e32 v177, 0xffff, v28
	v_or_b32_e32 v178, 0x10000, v28
	s_delay_alu instid0(VALU_DEP_2) | instskip(NEXT) | instid1(VALU_DEP_1)
	v_cmp_eq_u32_e64 s2, 0, v177
	v_cndmask_b32_e64 v177, v178, v28, s2
; %bb.268:                              ;   in Loop: Header=BB409_13 Depth=1
	s_or_b32 exec_lo, exec_lo, s20
	v_lshrrev_b16 v178, 8, v180
	v_mov_b32_e32 v28, 0
	s_mov_b32 s20, exec_lo
	s_delay_alu instid0(VALU_DEP_2)
	v_cmpx_ne_u16_e64 0, v178
	s_cbranch_execz .LBB409_276
; %bb.269:                              ;   in Loop: Header=BB409_13 Depth=1
	v_bfrev_b32_e32 v28, 1
	s_mov_b32 s21, exec_lo
	v_cmpx_ne_u16_e64 0x80, v178
	s_cbranch_execz .LBB409_275
; %bb.270:                              ;   in Loop: Header=BB409_13 Depth=1
	v_and_b32_e32 v178, 0xffff, v178
	v_mov_b32_e32 v28, 0x7f800001
	s_mov_b32 s22, exec_lo
	s_delay_alu instid0(VALU_DEP_2) | instskip(NEXT) | instid1(VALU_DEP_1)
	v_and_b32_e32 v179, 0x7f, v178
	v_cmpx_ne_u32_e32 0x7f, v179
	s_cbranch_execz .LBB409_274
; %bb.271:                              ;   in Loop: Header=BB409_13 Depth=1
	v_and_b32_e32 v28, 7, v178
	v_lshrrev_b32_e32 v178, 3, v179
	s_mov_b32 s23, exec_lo
	v_cmpx_gt_u32_e32 8, v179
; %bb.272:                              ;   in Loop: Header=BB409_13 Depth=1
	s_delay_alu instid0(VALU_DEP_3) | instskip(NEXT) | instid1(VALU_DEP_1)
	v_clz_i32_u32_e32 v178, v28
	v_min_u32_e32 v178, 32, v178
	s_delay_alu instid0(VALU_DEP_1) | instskip(SKIP_1) | instid1(VALU_DEP_2)
	v_subrev_nc_u32_e32 v179, 28, v178
	v_sub_nc_u32_e32 v178, 29, v178
	v_lshlrev_b64 v[181:182], v179, v[28:29]
	s_delay_alu instid0(VALU_DEP_1)
	v_and_b32_e32 v28, 7, v181
; %bb.273:                              ;   in Loop: Header=BB409_13 Depth=1
	s_or_b32 exec_lo, exec_lo, s23
	v_lshlrev_b32_e32 v179, 16, v180
	s_delay_alu instid0(VALU_DEP_2) | instskip(SKIP_1) | instid1(VALU_DEP_3)
	v_lshlrev_b32_e32 v28, 20, v28
	v_lshl_add_u32 v178, v178, 23, 0x3c000000
	v_and_b32_e32 v179, 0x80000000, v179
	s_delay_alu instid0(VALU_DEP_1)
	v_or3_b32 v28, v28, v179, v178
.LBB409_274:                            ;   in Loop: Header=BB409_13 Depth=1
	s_or_b32 exec_lo, exec_lo, s22
.LBB409_275:                            ;   in Loop: Header=BB409_13 Depth=1
	s_delay_alu instid0(SALU_CYCLE_1)
	s_or_b32 exec_lo, exec_lo, s21
.LBB409_276:                            ;   in Loop: Header=BB409_13 Depth=1
	s_delay_alu instid0(SALU_CYCLE_1) | instskip(NEXT) | instid1(VALU_DEP_1)
	s_or_b32 exec_lo, exec_lo, s20
	v_mul_f32_e32 v28, v132, v28
	s_delay_alu instid0(VALU_DEP_1) | instskip(NEXT) | instid1(VALU_DEP_1)
	v_and_b32_e32 v178, 0x7f800000, v28
	v_cmp_ne_u32_e64 s2, 0x7f800000, v178
                                        ; implicit-def: $vgpr178
	s_delay_alu instid0(VALU_DEP_1) | instskip(NEXT) | instid1(SALU_CYCLE_1)
	s_and_saveexec_b32 s20, s2
	s_xor_b32 s2, exec_lo, s20
; %bb.277:                              ;   in Loop: Header=BB409_13 Depth=1
	v_bfe_u32 v178, v28, 16, 1
	s_delay_alu instid0(VALU_DEP_1)
	v_add3_u32 v178, v28, v178, 0x7fff
                                        ; implicit-def: $vgpr28
; %bb.278:                              ;   in Loop: Header=BB409_13 Depth=1
	s_and_not1_saveexec_b32 s20, s2
; %bb.279:                              ;   in Loop: Header=BB409_13 Depth=1
	v_and_b32_e32 v178, 0xffff, v28
	v_or_b32_e32 v179, 0x10000, v28
	s_delay_alu instid0(VALU_DEP_2) | instskip(NEXT) | instid1(VALU_DEP_1)
	v_cmp_eq_u32_e64 s2, 0, v178
	v_cndmask_b32_e64 v178, v179, v28, s2
; %bb.280:                              ;   in Loop: Header=BB409_13 Depth=1
	s_or_b32 exec_lo, exec_lo, s20
	v_lshrrev_b32_e32 v179, 16, v180
	s_mov_b32 s20, exec_lo
	s_delay_alu instid0(VALU_DEP_1) | instskip(NEXT) | instid1(VALU_DEP_1)
	v_dual_mov_b32 v28, 0 :: v_dual_and_b32 v181, 0xff, v179
	v_cmpx_ne_u16_e64 0, v181
	s_cbranch_execz .LBB409_288
; %bb.281:                              ;   in Loop: Header=BB409_13 Depth=1
	v_bfrev_b32_e32 v28, 1
	s_mov_b32 s21, exec_lo
	v_cmpx_ne_u16_e64 0x80, v181
	s_cbranch_execz .LBB409_287
; %bb.282:                              ;   in Loop: Header=BB409_13 Depth=1
	v_bfe_u32 v182, v180, 16, 7
	v_mov_b32_e32 v28, 0x7f800001
	s_mov_b32 s22, exec_lo
	s_delay_alu instid0(VALU_DEP_2)
	v_cmpx_ne_u32_e32 0x7f, v182
	s_cbranch_execz .LBB409_286
; %bb.283:                              ;   in Loop: Header=BB409_13 Depth=1
	v_and_b32_e32 v28, 7, v179
	v_lshrrev_b32_e32 v181, 3, v182
	s_mov_b32 s23, exec_lo
	v_cmpx_gt_u32_e32 8, v182
; %bb.284:                              ;   in Loop: Header=BB409_13 Depth=1
	s_delay_alu instid0(VALU_DEP_3) | instskip(NEXT) | instid1(VALU_DEP_1)
	v_clz_i32_u32_e32 v181, v28
	v_min_u32_e32 v181, 32, v181
	s_delay_alu instid0(VALU_DEP_1) | instskip(SKIP_1) | instid1(VALU_DEP_2)
	v_subrev_nc_u32_e32 v182, 28, v181
	v_sub_nc_u32_e32 v181, 29, v181
	v_lshlrev_b64 v[182:183], v182, v[28:29]
	s_delay_alu instid0(VALU_DEP_1)
	v_and_b32_e32 v28, 7, v182
; %bb.285:                              ;   in Loop: Header=BB409_13 Depth=1
	s_or_b32 exec_lo, exec_lo, s23
	v_lshlrev_b32_e32 v179, 24, v179
	s_delay_alu instid0(VALU_DEP_2) | instskip(SKIP_1) | instid1(VALU_DEP_3)
	v_lshlrev_b32_e32 v28, 20, v28
	v_lshl_add_u32 v181, v181, 23, 0x3c000000
	v_and_b32_e32 v179, 0x80000000, v179
	s_delay_alu instid0(VALU_DEP_1)
	v_or3_b32 v28, v28, v179, v181
.LBB409_286:                            ;   in Loop: Header=BB409_13 Depth=1
	s_or_b32 exec_lo, exec_lo, s22
.LBB409_287:                            ;   in Loop: Header=BB409_13 Depth=1
	s_delay_alu instid0(SALU_CYCLE_1)
	s_or_b32 exec_lo, exec_lo, s21
.LBB409_288:                            ;   in Loop: Header=BB409_13 Depth=1
	s_delay_alu instid0(SALU_CYCLE_1) | instskip(NEXT) | instid1(VALU_DEP_1)
	s_or_b32 exec_lo, exec_lo, s20
	v_mul_f32_e32 v28, v132, v28
	s_delay_alu instid0(VALU_DEP_1) | instskip(NEXT) | instid1(VALU_DEP_1)
	v_and_b32_e32 v179, 0x7f800000, v28
	v_cmp_ne_u32_e64 s2, 0x7f800000, v179
                                        ; implicit-def: $vgpr179
	s_delay_alu instid0(VALU_DEP_1) | instskip(NEXT) | instid1(SALU_CYCLE_1)
	s_and_saveexec_b32 s20, s2
	s_xor_b32 s2, exec_lo, s20
; %bb.289:                              ;   in Loop: Header=BB409_13 Depth=1
	v_bfe_u32 v179, v28, 16, 1
	s_delay_alu instid0(VALU_DEP_1)
	v_add3_u32 v179, v28, v179, 0x7fff
                                        ; implicit-def: $vgpr28
; %bb.290:                              ;   in Loop: Header=BB409_13 Depth=1
	s_and_not1_saveexec_b32 s20, s2
; %bb.291:                              ;   in Loop: Header=BB409_13 Depth=1
	v_and_b32_e32 v179, 0xffff, v28
	v_or_b32_e32 v181, 0x10000, v28
	s_delay_alu instid0(VALU_DEP_2) | instskip(NEXT) | instid1(VALU_DEP_1)
	v_cmp_eq_u32_e64 s2, 0, v179
	v_cndmask_b32_e64 v179, v181, v28, s2
; %bb.292:                              ;   in Loop: Header=BB409_13 Depth=1
	s_or_b32 exec_lo, exec_lo, s20
	v_mov_b32_e32 v28, 0
	s_mov_b32 s20, exec_lo
	v_cmpx_lt_u32_e32 0xffffff, v180
	s_cbranch_execz .LBB409_300
; %bb.293:                              ;   in Loop: Header=BB409_13 Depth=1
	v_lshrrev_b32_e32 v181, 24, v180
	v_bfrev_b32_e32 v28, 1
	s_mov_b32 s21, exec_lo
	s_delay_alu instid0(VALU_DEP_2)
	v_cmpx_ne_u32_e32 0x80, v181
	s_cbranch_execz .LBB409_299
; %bb.294:                              ;   in Loop: Header=BB409_13 Depth=1
	v_bfe_u32 v182, v180, 24, 7
	v_mov_b32_e32 v28, 0x7f800001
	s_mov_b32 s22, exec_lo
	s_delay_alu instid0(VALU_DEP_2)
	v_cmpx_ne_u32_e32 0x7f, v182
	s_cbranch_execz .LBB409_298
; %bb.295:                              ;   in Loop: Header=BB409_13 Depth=1
	v_and_b32_e32 v28, 7, v181
	v_lshrrev_b32_e32 v180, 3, v182
	s_mov_b32 s23, exec_lo
	v_cmpx_gt_u32_e32 8, v182
; %bb.296:                              ;   in Loop: Header=BB409_13 Depth=1
	s_delay_alu instid0(VALU_DEP_3) | instskip(NEXT) | instid1(VALU_DEP_1)
	v_clz_i32_u32_e32 v180, v28
	v_min_u32_e32 v180, 32, v180
	s_delay_alu instid0(VALU_DEP_1) | instskip(SKIP_1) | instid1(VALU_DEP_2)
	v_subrev_nc_u32_e32 v182, 28, v180
	v_sub_nc_u32_e32 v180, 29, v180
	v_lshlrev_b64 v[182:183], v182, v[28:29]
	s_delay_alu instid0(VALU_DEP_1)
	v_and_b32_e32 v28, 7, v182
; %bb.297:                              ;   in Loop: Header=BB409_13 Depth=1
	s_or_b32 exec_lo, exec_lo, s23
	v_lshlrev_b32_e32 v181, 24, v181
	s_delay_alu instid0(VALU_DEP_2) | instskip(SKIP_1) | instid1(VALU_DEP_3)
	v_lshlrev_b32_e32 v28, 20, v28
	v_lshl_add_u32 v180, v180, 23, 0x3c000000
	v_and_b32_e32 v181, 0x80000000, v181
	s_delay_alu instid0(VALU_DEP_1)
	v_or3_b32 v28, v28, v181, v180
.LBB409_298:                            ;   in Loop: Header=BB409_13 Depth=1
	s_or_b32 exec_lo, exec_lo, s22
.LBB409_299:                            ;   in Loop: Header=BB409_13 Depth=1
	s_delay_alu instid0(SALU_CYCLE_1)
	s_or_b32 exec_lo, exec_lo, s21
.LBB409_300:                            ;   in Loop: Header=BB409_13 Depth=1
	s_delay_alu instid0(SALU_CYCLE_1) | instskip(NEXT) | instid1(VALU_DEP_1)
	s_or_b32 exec_lo, exec_lo, s20
	v_mul_f32_e32 v28, v132, v28
	s_delay_alu instid0(VALU_DEP_1) | instskip(NEXT) | instid1(VALU_DEP_1)
	v_and_b32_e32 v180, 0x7f800000, v28
	v_cmp_ne_u32_e64 s2, 0x7f800000, v180
                                        ; implicit-def: $vgpr180
	s_delay_alu instid0(VALU_DEP_1) | instskip(NEXT) | instid1(SALU_CYCLE_1)
	s_and_saveexec_b32 s20, s2
	s_xor_b32 s2, exec_lo, s20
; %bb.301:                              ;   in Loop: Header=BB409_13 Depth=1
	v_bfe_u32 v180, v28, 16, 1
	s_delay_alu instid0(VALU_DEP_1)
	v_add3_u32 v180, v28, v180, 0x7fff
                                        ; implicit-def: $vgpr28
; %bb.302:                              ;   in Loop: Header=BB409_13 Depth=1
	s_and_not1_saveexec_b32 s20, s2
; %bb.303:                              ;   in Loop: Header=BB409_13 Depth=1
	v_and_b32_e32 v180, 0xffff, v28
	v_or_b32_e32 v181, 0x10000, v28
	s_delay_alu instid0(VALU_DEP_2) | instskip(NEXT) | instid1(VALU_DEP_1)
	v_cmp_eq_u32_e64 s2, 0, v180
	v_cndmask_b32_e64 v180, v181, v28, s2
; %bb.304:                              ;   in Loop: Header=BB409_13 Depth=1
	s_or_b32 exec_lo, exec_lo, s20
	flat_load_b32 v40, v[80:81] offset:768
	s_mov_b32 s20, exec_lo
	s_waitcnt vmcnt(0) lgkmcnt(0)
	v_dual_mov_b32 v28, 0 :: v_dual_and_b32 v181, 0xff, v40
	s_delay_alu instid0(VALU_DEP_1)
	v_cmpx_ne_u16_e64 0, v181
	s_cbranch_execz .LBB409_312
; %bb.305:                              ;   in Loop: Header=BB409_13 Depth=1
	v_bfrev_b32_e32 v28, 1
	s_mov_b32 s21, exec_lo
	v_cmpx_ne_u16_e64 0x80, v181
	s_cbranch_execz .LBB409_311
; %bb.306:                              ;   in Loop: Header=BB409_13 Depth=1
	v_and_b32_e32 v182, 0x7f, v40
	v_mov_b32_e32 v28, 0x7f800001
	s_mov_b32 s22, exec_lo
	s_delay_alu instid0(VALU_DEP_2)
	v_cmpx_ne_u32_e32 0x7f, v182
	s_cbranch_execz .LBB409_310
; %bb.307:                              ;   in Loop: Header=BB409_13 Depth=1
	v_and_b32_e32 v28, 7, v40
	v_lshrrev_b32_e32 v181, 3, v182
	s_mov_b32 s23, exec_lo
	v_cmpx_gt_u32_e32 8, v182
; %bb.308:                              ;   in Loop: Header=BB409_13 Depth=1
	s_delay_alu instid0(VALU_DEP_3) | instskip(NEXT) | instid1(VALU_DEP_1)
	v_clz_i32_u32_e32 v181, v28
	v_min_u32_e32 v181, 32, v181
	s_delay_alu instid0(VALU_DEP_1) | instskip(SKIP_1) | instid1(VALU_DEP_2)
	v_subrev_nc_u32_e32 v182, 28, v181
	v_sub_nc_u32_e32 v181, 29, v181
	v_lshlrev_b64 v[182:183], v182, v[28:29]
	s_delay_alu instid0(VALU_DEP_1)
	v_and_b32_e32 v28, 7, v182
; %bb.309:                              ;   in Loop: Header=BB409_13 Depth=1
	s_or_b32 exec_lo, exec_lo, s23
	v_lshlrev_b32_e32 v182, 24, v40
	s_delay_alu instid0(VALU_DEP_2) | instskip(SKIP_1) | instid1(VALU_DEP_3)
	v_lshlrev_b32_e32 v28, 20, v28
	v_lshl_add_u32 v181, v181, 23, 0x3c000000
	v_and_b32_e32 v182, 0x80000000, v182
	s_delay_alu instid0(VALU_DEP_1)
	v_or3_b32 v28, v28, v182, v181
.LBB409_310:                            ;   in Loop: Header=BB409_13 Depth=1
	s_or_b32 exec_lo, exec_lo, s22
.LBB409_311:                            ;   in Loop: Header=BB409_13 Depth=1
	s_delay_alu instid0(SALU_CYCLE_1)
	s_or_b32 exec_lo, exec_lo, s21
.LBB409_312:                            ;   in Loop: Header=BB409_13 Depth=1
	s_delay_alu instid0(SALU_CYCLE_1) | instskip(NEXT) | instid1(VALU_DEP_1)
	s_or_b32 exec_lo, exec_lo, s20
	v_mul_f32_e32 v28, v132, v28
	s_delay_alu instid0(VALU_DEP_1) | instskip(NEXT) | instid1(VALU_DEP_1)
	v_and_b32_e32 v181, 0x7f800000, v28
	v_cmp_ne_u32_e64 s2, 0x7f800000, v181
                                        ; implicit-def: $vgpr181
	s_delay_alu instid0(VALU_DEP_1) | instskip(NEXT) | instid1(SALU_CYCLE_1)
	s_and_saveexec_b32 s20, s2
	s_xor_b32 s2, exec_lo, s20
; %bb.313:                              ;   in Loop: Header=BB409_13 Depth=1
	v_bfe_u32 v181, v28, 16, 1
	s_delay_alu instid0(VALU_DEP_1)
	v_add3_u32 v181, v28, v181, 0x7fff
                                        ; implicit-def: $vgpr28
; %bb.314:                              ;   in Loop: Header=BB409_13 Depth=1
	s_and_not1_saveexec_b32 s20, s2
; %bb.315:                              ;   in Loop: Header=BB409_13 Depth=1
	v_and_b32_e32 v181, 0xffff, v28
	v_or_b32_e32 v182, 0x10000, v28
	s_delay_alu instid0(VALU_DEP_2) | instskip(NEXT) | instid1(VALU_DEP_1)
	v_cmp_eq_u32_e64 s2, 0, v181
	v_cndmask_b32_e64 v181, v182, v28, s2
; %bb.316:                              ;   in Loop: Header=BB409_13 Depth=1
	s_or_b32 exec_lo, exec_lo, s20
	v_lshrrev_b16 v182, 8, v40
	v_mov_b32_e32 v28, 0
	s_mov_b32 s20, exec_lo
	s_delay_alu instid0(VALU_DEP_2)
	v_cmpx_ne_u16_e64 0, v182
	s_cbranch_execz .LBB409_324
; %bb.317:                              ;   in Loop: Header=BB409_13 Depth=1
	v_bfrev_b32_e32 v28, 1
	s_mov_b32 s21, exec_lo
	v_cmpx_ne_u16_e64 0x80, v182
	s_cbranch_execz .LBB409_323
; %bb.318:                              ;   in Loop: Header=BB409_13 Depth=1
	v_and_b32_e32 v182, 0xffff, v182
	v_mov_b32_e32 v28, 0x7f800001
	s_mov_b32 s22, exec_lo
	s_delay_alu instid0(VALU_DEP_2) | instskip(NEXT) | instid1(VALU_DEP_1)
	v_and_b32_e32 v183, 0x7f, v182
	v_cmpx_ne_u32_e32 0x7f, v183
	s_cbranch_execz .LBB409_322
; %bb.319:                              ;   in Loop: Header=BB409_13 Depth=1
	v_and_b32_e32 v28, 7, v182
	v_lshrrev_b32_e32 v182, 3, v183
	s_mov_b32 s23, exec_lo
	v_cmpx_gt_u32_e32 8, v183
; %bb.320:                              ;   in Loop: Header=BB409_13 Depth=1
	s_delay_alu instid0(VALU_DEP_3) | instskip(NEXT) | instid1(VALU_DEP_1)
	v_clz_i32_u32_e32 v182, v28
	v_min_u32_e32 v182, 32, v182
	s_delay_alu instid0(VALU_DEP_1) | instskip(SKIP_1) | instid1(VALU_DEP_2)
	v_subrev_nc_u32_e32 v183, 28, v182
	v_sub_nc_u32_e32 v182, 29, v182
	v_lshlrev_b64 v[41:42], v183, v[28:29]
	s_delay_alu instid0(VALU_DEP_1)
	v_and_b32_e32 v28, 7, v41
; %bb.321:                              ;   in Loop: Header=BB409_13 Depth=1
	s_or_b32 exec_lo, exec_lo, s23
	v_lshlrev_b32_e32 v183, 16, v40
	s_delay_alu instid0(VALU_DEP_2) | instskip(SKIP_1) | instid1(VALU_DEP_3)
	v_lshlrev_b32_e32 v28, 20, v28
	v_lshl_add_u32 v182, v182, 23, 0x3c000000
	v_and_b32_e32 v183, 0x80000000, v183
	s_delay_alu instid0(VALU_DEP_1)
	v_or3_b32 v28, v28, v183, v182
.LBB409_322:                            ;   in Loop: Header=BB409_13 Depth=1
	s_or_b32 exec_lo, exec_lo, s22
.LBB409_323:                            ;   in Loop: Header=BB409_13 Depth=1
	s_delay_alu instid0(SALU_CYCLE_1)
	s_or_b32 exec_lo, exec_lo, s21
.LBB409_324:                            ;   in Loop: Header=BB409_13 Depth=1
	s_delay_alu instid0(SALU_CYCLE_1) | instskip(NEXT) | instid1(VALU_DEP_1)
	s_or_b32 exec_lo, exec_lo, s20
	v_mul_f32_e32 v28, v132, v28
	s_delay_alu instid0(VALU_DEP_1) | instskip(NEXT) | instid1(VALU_DEP_1)
	v_and_b32_e32 v182, 0x7f800000, v28
	v_cmp_ne_u32_e64 s2, 0x7f800000, v182
                                        ; implicit-def: $vgpr182
	s_delay_alu instid0(VALU_DEP_1) | instskip(NEXT) | instid1(SALU_CYCLE_1)
	s_and_saveexec_b32 s20, s2
	s_xor_b32 s2, exec_lo, s20
; %bb.325:                              ;   in Loop: Header=BB409_13 Depth=1
	v_bfe_u32 v182, v28, 16, 1
	s_delay_alu instid0(VALU_DEP_1)
	v_add3_u32 v182, v28, v182, 0x7fff
                                        ; implicit-def: $vgpr28
; %bb.326:                              ;   in Loop: Header=BB409_13 Depth=1
	s_and_not1_saveexec_b32 s20, s2
; %bb.327:                              ;   in Loop: Header=BB409_13 Depth=1
	v_and_b32_e32 v182, 0xffff, v28
	v_or_b32_e32 v183, 0x10000, v28
	s_delay_alu instid0(VALU_DEP_2) | instskip(NEXT) | instid1(VALU_DEP_1)
	v_cmp_eq_u32_e64 s2, 0, v182
	v_cndmask_b32_e64 v182, v183, v28, s2
; %bb.328:                              ;   in Loop: Header=BB409_13 Depth=1
	s_or_b32 exec_lo, exec_lo, s20
	v_lshrrev_b32_e32 v183, 16, v40
	s_mov_b32 s20, exec_lo
	s_delay_alu instid0(VALU_DEP_1) | instskip(NEXT) | instid1(VALU_DEP_1)
	v_dual_mov_b32 v28, 0 :: v_dual_and_b32 v41, 0xff, v183
	v_cmpx_ne_u16_e32 0, v41
	s_cbranch_execz .LBB409_336
; %bb.329:                              ;   in Loop: Header=BB409_13 Depth=1
	v_bfrev_b32_e32 v28, 1
	s_mov_b32 s21, exec_lo
	v_cmpx_ne_u16_e32 0x80, v41
	s_cbranch_execz .LBB409_335
; %bb.330:                              ;   in Loop: Header=BB409_13 Depth=1
	v_bfe_u32 v42, v40, 16, 7
	v_mov_b32_e32 v28, 0x7f800001
	s_mov_b32 s22, exec_lo
	s_delay_alu instid0(VALU_DEP_2)
	v_cmpx_ne_u32_e32 0x7f, v42
	s_cbranch_execz .LBB409_334
; %bb.331:                              ;   in Loop: Header=BB409_13 Depth=1
	v_and_b32_e32 v28, 7, v183
	v_lshrrev_b32_e32 v41, 3, v42
	s_mov_b32 s23, exec_lo
	v_cmpx_gt_u32_e32 8, v42
; %bb.332:                              ;   in Loop: Header=BB409_13 Depth=1
	s_delay_alu instid0(VALU_DEP_3) | instskip(NEXT) | instid1(VALU_DEP_1)
	v_clz_i32_u32_e32 v41, v28
	v_min_u32_e32 v41, 32, v41
	s_delay_alu instid0(VALU_DEP_1) | instskip(SKIP_1) | instid1(VALU_DEP_2)
	v_subrev_nc_u32_e32 v42, 28, v41
	v_sub_nc_u32_e32 v41, 29, v41
	v_lshlrev_b64 v[42:43], v42, v[28:29]
	s_delay_alu instid0(VALU_DEP_1)
	v_and_b32_e32 v28, 7, v42
; %bb.333:                              ;   in Loop: Header=BB409_13 Depth=1
	s_or_b32 exec_lo, exec_lo, s23
	v_lshlrev_b32_e32 v183, 24, v183
	s_delay_alu instid0(VALU_DEP_2) | instskip(SKIP_1) | instid1(VALU_DEP_3)
	v_lshlrev_b32_e32 v28, 20, v28
	v_lshl_add_u32 v41, v41, 23, 0x3c000000
	v_and_b32_e32 v183, 0x80000000, v183
	s_delay_alu instid0(VALU_DEP_1)
	v_or3_b32 v28, v28, v183, v41
.LBB409_334:                            ;   in Loop: Header=BB409_13 Depth=1
	s_or_b32 exec_lo, exec_lo, s22
.LBB409_335:                            ;   in Loop: Header=BB409_13 Depth=1
	s_delay_alu instid0(SALU_CYCLE_1)
	s_or_b32 exec_lo, exec_lo, s21
.LBB409_336:                            ;   in Loop: Header=BB409_13 Depth=1
	s_delay_alu instid0(SALU_CYCLE_1) | instskip(NEXT) | instid1(VALU_DEP_1)
	s_or_b32 exec_lo, exec_lo, s20
	v_mul_f32_e32 v28, v132, v28
	s_delay_alu instid0(VALU_DEP_1) | instskip(NEXT) | instid1(VALU_DEP_1)
	v_and_b32_e32 v183, 0x7f800000, v28
	v_cmp_ne_u32_e64 s2, 0x7f800000, v183
                                        ; implicit-def: $vgpr183
	s_delay_alu instid0(VALU_DEP_1) | instskip(NEXT) | instid1(SALU_CYCLE_1)
	s_and_saveexec_b32 s20, s2
	s_xor_b32 s2, exec_lo, s20
; %bb.337:                              ;   in Loop: Header=BB409_13 Depth=1
	v_bfe_u32 v183, v28, 16, 1
	s_delay_alu instid0(VALU_DEP_1)
	v_add3_u32 v183, v28, v183, 0x7fff
                                        ; implicit-def: $vgpr28
; %bb.338:                              ;   in Loop: Header=BB409_13 Depth=1
	s_and_not1_saveexec_b32 s20, s2
; %bb.339:                              ;   in Loop: Header=BB409_13 Depth=1
	v_and_b32_e32 v183, 0xffff, v28
	v_or_b32_e32 v41, 0x10000, v28
	s_delay_alu instid0(VALU_DEP_2) | instskip(NEXT) | instid1(VALU_DEP_1)
	v_cmp_eq_u32_e64 s2, 0, v183
	v_cndmask_b32_e64 v183, v41, v28, s2
; %bb.340:                              ;   in Loop: Header=BB409_13 Depth=1
	s_or_b32 exec_lo, exec_lo, s20
	v_mov_b32_e32 v28, 0
	s_mov_b32 s20, exec_lo
	v_cmpx_lt_u32_e32 0xffffff, v40
	s_cbranch_execz .LBB409_348
; %bb.341:                              ;   in Loop: Header=BB409_13 Depth=1
	v_lshrrev_b32_e32 v41, 24, v40
	v_bfrev_b32_e32 v28, 1
	s_mov_b32 s21, exec_lo
	s_delay_alu instid0(VALU_DEP_2)
	v_cmpx_ne_u32_e32 0x80, v41
	s_cbranch_execz .LBB409_347
; %bb.342:                              ;   in Loop: Header=BB409_13 Depth=1
	v_bfe_u32 v42, v40, 24, 7
	v_mov_b32_e32 v28, 0x7f800001
	s_mov_b32 s22, exec_lo
	s_delay_alu instid0(VALU_DEP_2)
	v_cmpx_ne_u32_e32 0x7f, v42
	s_cbranch_execz .LBB409_346
; %bb.343:                              ;   in Loop: Header=BB409_13 Depth=1
	v_and_b32_e32 v28, 7, v41
	v_lshrrev_b32_e32 v40, 3, v42
	s_mov_b32 s23, exec_lo
	v_cmpx_gt_u32_e32 8, v42
; %bb.344:                              ;   in Loop: Header=BB409_13 Depth=1
	s_delay_alu instid0(VALU_DEP_3) | instskip(NEXT) | instid1(VALU_DEP_1)
	v_clz_i32_u32_e32 v40, v28
	v_min_u32_e32 v40, 32, v40
	s_delay_alu instid0(VALU_DEP_1) | instskip(SKIP_1) | instid1(VALU_DEP_2)
	v_subrev_nc_u32_e32 v42, 28, v40
	v_sub_nc_u32_e32 v40, 29, v40
	v_lshlrev_b64 v[42:43], v42, v[28:29]
	s_delay_alu instid0(VALU_DEP_1)
	v_and_b32_e32 v28, 7, v42
; %bb.345:                              ;   in Loop: Header=BB409_13 Depth=1
	s_or_b32 exec_lo, exec_lo, s23
	v_lshlrev_b32_e32 v41, 24, v41
	s_delay_alu instid0(VALU_DEP_2) | instskip(SKIP_1) | instid1(VALU_DEP_3)
	v_lshlrev_b32_e32 v28, 20, v28
	v_lshl_add_u32 v40, v40, 23, 0x3c000000
	v_and_b32_e32 v41, 0x80000000, v41
	s_delay_alu instid0(VALU_DEP_1)
	v_or3_b32 v28, v28, v41, v40
.LBB409_346:                            ;   in Loop: Header=BB409_13 Depth=1
	s_or_b32 exec_lo, exec_lo, s22
.LBB409_347:                            ;   in Loop: Header=BB409_13 Depth=1
	s_delay_alu instid0(SALU_CYCLE_1)
	s_or_b32 exec_lo, exec_lo, s21
.LBB409_348:                            ;   in Loop: Header=BB409_13 Depth=1
	s_delay_alu instid0(SALU_CYCLE_1) | instskip(NEXT) | instid1(VALU_DEP_1)
	s_or_b32 exec_lo, exec_lo, s20
	v_mul_f32_e32 v28, v132, v28
	s_delay_alu instid0(VALU_DEP_1) | instskip(NEXT) | instid1(VALU_DEP_1)
	v_and_b32_e32 v40, 0x7f800000, v28
	v_cmp_ne_u32_e64 s2, 0x7f800000, v40
                                        ; implicit-def: $vgpr40
	s_delay_alu instid0(VALU_DEP_1) | instskip(NEXT) | instid1(SALU_CYCLE_1)
	s_and_saveexec_b32 s20, s2
	s_xor_b32 s2, exec_lo, s20
; %bb.349:                              ;   in Loop: Header=BB409_13 Depth=1
	v_bfe_u32 v40, v28, 16, 1
	s_delay_alu instid0(VALU_DEP_1)
	v_add3_u32 v40, v28, v40, 0x7fff
                                        ; implicit-def: $vgpr28
; %bb.350:                              ;   in Loop: Header=BB409_13 Depth=1
	s_and_not1_saveexec_b32 s20, s2
; %bb.351:                              ;   in Loop: Header=BB409_13 Depth=1
	v_and_b32_e32 v40, 0xffff, v28
	v_or_b32_e32 v41, 0x10000, v28
	s_delay_alu instid0(VALU_DEP_2) | instskip(NEXT) | instid1(VALU_DEP_1)
	v_cmp_eq_u32_e64 s2, 0, v40
	v_cndmask_b32_e64 v40, v41, v28, s2
; %bb.352:                              ;   in Loop: Header=BB409_13 Depth=1
	s_or_b32 exec_lo, exec_lo, s20
	flat_load_b32 v44, v[80:81] offset:776
	s_mov_b32 s20, exec_lo
	s_waitcnt vmcnt(0) lgkmcnt(0)
	v_dual_mov_b32 v28, 0 :: v_dual_and_b32 v41, 0xff, v44
	s_delay_alu instid0(VALU_DEP_1)
	v_cmpx_ne_u16_e32 0, v41
	s_cbranch_execz .LBB409_360
; %bb.353:                              ;   in Loop: Header=BB409_13 Depth=1
	v_bfrev_b32_e32 v28, 1
	s_mov_b32 s21, exec_lo
	v_cmpx_ne_u16_e32 0x80, v41
	s_cbranch_execz .LBB409_359
; %bb.354:                              ;   in Loop: Header=BB409_13 Depth=1
	v_and_b32_e32 v42, 0x7f, v44
	v_mov_b32_e32 v28, 0x7f800001
	s_mov_b32 s22, exec_lo
	s_delay_alu instid0(VALU_DEP_2)
	v_cmpx_ne_u32_e32 0x7f, v42
	s_cbranch_execz .LBB409_358
; %bb.355:                              ;   in Loop: Header=BB409_13 Depth=1
	v_and_b32_e32 v28, 7, v44
	v_lshrrev_b32_e32 v41, 3, v42
	s_mov_b32 s23, exec_lo
	v_cmpx_gt_u32_e32 8, v42
; %bb.356:                              ;   in Loop: Header=BB409_13 Depth=1
	s_delay_alu instid0(VALU_DEP_3) | instskip(NEXT) | instid1(VALU_DEP_1)
	v_clz_i32_u32_e32 v41, v28
	v_min_u32_e32 v41, 32, v41
	s_delay_alu instid0(VALU_DEP_1) | instskip(SKIP_1) | instid1(VALU_DEP_2)
	v_subrev_nc_u32_e32 v42, 28, v41
	v_sub_nc_u32_e32 v41, 29, v41
	v_lshlrev_b64 v[42:43], v42, v[28:29]
	s_delay_alu instid0(VALU_DEP_1)
	v_and_b32_e32 v28, 7, v42
; %bb.357:                              ;   in Loop: Header=BB409_13 Depth=1
	s_or_b32 exec_lo, exec_lo, s23
	v_lshlrev_b32_e32 v42, 24, v44
	s_delay_alu instid0(VALU_DEP_2) | instskip(SKIP_1) | instid1(VALU_DEP_3)
	v_lshlrev_b32_e32 v28, 20, v28
	v_lshl_add_u32 v41, v41, 23, 0x3c000000
	v_and_b32_e32 v42, 0x80000000, v42
	s_delay_alu instid0(VALU_DEP_1)
	v_or3_b32 v28, v28, v42, v41
.LBB409_358:                            ;   in Loop: Header=BB409_13 Depth=1
	s_or_b32 exec_lo, exec_lo, s22
.LBB409_359:                            ;   in Loop: Header=BB409_13 Depth=1
	s_delay_alu instid0(SALU_CYCLE_1)
	s_or_b32 exec_lo, exec_lo, s21
.LBB409_360:                            ;   in Loop: Header=BB409_13 Depth=1
	s_delay_alu instid0(SALU_CYCLE_1) | instskip(NEXT) | instid1(VALU_DEP_1)
	s_or_b32 exec_lo, exec_lo, s20
	v_mul_f32_e32 v28, v132, v28
	s_delay_alu instid0(VALU_DEP_1) | instskip(NEXT) | instid1(VALU_DEP_1)
	v_and_b32_e32 v41, 0x7f800000, v28
	v_cmp_ne_u32_e64 s2, 0x7f800000, v41
                                        ; implicit-def: $vgpr41
	s_delay_alu instid0(VALU_DEP_1) | instskip(NEXT) | instid1(SALU_CYCLE_1)
	s_and_saveexec_b32 s20, s2
	s_xor_b32 s2, exec_lo, s20
; %bb.361:                              ;   in Loop: Header=BB409_13 Depth=1
	v_bfe_u32 v41, v28, 16, 1
	s_delay_alu instid0(VALU_DEP_1)
	v_add3_u32 v41, v28, v41, 0x7fff
                                        ; implicit-def: $vgpr28
; %bb.362:                              ;   in Loop: Header=BB409_13 Depth=1
	s_and_not1_saveexec_b32 s20, s2
; %bb.363:                              ;   in Loop: Header=BB409_13 Depth=1
	v_and_b32_e32 v41, 0xffff, v28
	v_or_b32_e32 v42, 0x10000, v28
	s_delay_alu instid0(VALU_DEP_2) | instskip(NEXT) | instid1(VALU_DEP_1)
	v_cmp_eq_u32_e64 s2, 0, v41
	v_cndmask_b32_e64 v41, v42, v28, s2
; %bb.364:                              ;   in Loop: Header=BB409_13 Depth=1
	s_or_b32 exec_lo, exec_lo, s20
	v_lshrrev_b16 v42, 8, v44
	v_mov_b32_e32 v28, 0
	s_mov_b32 s20, exec_lo
	s_delay_alu instid0(VALU_DEP_2)
	v_cmpx_ne_u16_e32 0, v42
	s_cbranch_execz .LBB409_372
; %bb.365:                              ;   in Loop: Header=BB409_13 Depth=1
	v_bfrev_b32_e32 v28, 1
	s_mov_b32 s21, exec_lo
	v_cmpx_ne_u16_e32 0x80, v42
	s_cbranch_execz .LBB409_371
; %bb.366:                              ;   in Loop: Header=BB409_13 Depth=1
	v_and_b32_e32 v42, 0xffff, v42
	v_mov_b32_e32 v28, 0x7f800001
	s_mov_b32 s22, exec_lo
	s_delay_alu instid0(VALU_DEP_2) | instskip(NEXT) | instid1(VALU_DEP_1)
	v_and_b32_e32 v43, 0x7f, v42
	v_cmpx_ne_u32_e32 0x7f, v43
	s_cbranch_execz .LBB409_370
; %bb.367:                              ;   in Loop: Header=BB409_13 Depth=1
	v_and_b32_e32 v28, 7, v42
	v_lshrrev_b32_e32 v42, 3, v43
	s_mov_b32 s23, exec_lo
	v_cmpx_gt_u32_e32 8, v43
; %bb.368:                              ;   in Loop: Header=BB409_13 Depth=1
	s_delay_alu instid0(VALU_DEP_3) | instskip(NEXT) | instid1(VALU_DEP_1)
	v_clz_i32_u32_e32 v42, v28
	v_min_u32_e32 v42, 32, v42
	s_delay_alu instid0(VALU_DEP_1) | instskip(SKIP_1) | instid1(VALU_DEP_2)
	v_subrev_nc_u32_e32 v43, 28, v42
	v_sub_nc_u32_e32 v42, 29, v42
	v_lshlrev_b64 v[45:46], v43, v[28:29]
	s_delay_alu instid0(VALU_DEP_1)
	v_and_b32_e32 v28, 7, v45
; %bb.369:                              ;   in Loop: Header=BB409_13 Depth=1
	s_or_b32 exec_lo, exec_lo, s23
	v_lshlrev_b32_e32 v43, 16, v44
	s_delay_alu instid0(VALU_DEP_2) | instskip(SKIP_1) | instid1(VALU_DEP_3)
	v_lshlrev_b32_e32 v28, 20, v28
	v_lshl_add_u32 v42, v42, 23, 0x3c000000
	v_and_b32_e32 v43, 0x80000000, v43
	s_delay_alu instid0(VALU_DEP_1)
	v_or3_b32 v28, v28, v43, v42
.LBB409_370:                            ;   in Loop: Header=BB409_13 Depth=1
	s_or_b32 exec_lo, exec_lo, s22
.LBB409_371:                            ;   in Loop: Header=BB409_13 Depth=1
	s_delay_alu instid0(SALU_CYCLE_1)
	s_or_b32 exec_lo, exec_lo, s21
.LBB409_372:                            ;   in Loop: Header=BB409_13 Depth=1
	s_delay_alu instid0(SALU_CYCLE_1) | instskip(NEXT) | instid1(VALU_DEP_1)
	s_or_b32 exec_lo, exec_lo, s20
	v_mul_f32_e32 v28, v132, v28
	s_delay_alu instid0(VALU_DEP_1) | instskip(NEXT) | instid1(VALU_DEP_1)
	v_and_b32_e32 v42, 0x7f800000, v28
	v_cmp_ne_u32_e64 s2, 0x7f800000, v42
                                        ; implicit-def: $vgpr42
	s_delay_alu instid0(VALU_DEP_1) | instskip(NEXT) | instid1(SALU_CYCLE_1)
	s_and_saveexec_b32 s20, s2
	s_xor_b32 s2, exec_lo, s20
; %bb.373:                              ;   in Loop: Header=BB409_13 Depth=1
	v_bfe_u32 v42, v28, 16, 1
	s_delay_alu instid0(VALU_DEP_1)
	v_add3_u32 v42, v28, v42, 0x7fff
                                        ; implicit-def: $vgpr28
; %bb.374:                              ;   in Loop: Header=BB409_13 Depth=1
	s_and_not1_saveexec_b32 s20, s2
; %bb.375:                              ;   in Loop: Header=BB409_13 Depth=1
	v_and_b32_e32 v42, 0xffff, v28
	v_or_b32_e32 v43, 0x10000, v28
	s_delay_alu instid0(VALU_DEP_2) | instskip(NEXT) | instid1(VALU_DEP_1)
	v_cmp_eq_u32_e64 s2, 0, v42
	v_cndmask_b32_e64 v42, v43, v28, s2
; %bb.376:                              ;   in Loop: Header=BB409_13 Depth=1
	s_or_b32 exec_lo, exec_lo, s20
	v_lshrrev_b32_e32 v43, 16, v44
	s_mov_b32 s20, exec_lo
	s_delay_alu instid0(VALU_DEP_1) | instskip(NEXT) | instid1(VALU_DEP_1)
	v_dual_mov_b32 v28, 0 :: v_dual_and_b32 v45, 0xff, v43
	v_cmpx_ne_u16_e32 0, v45
	s_cbranch_execz .LBB409_384
; %bb.377:                              ;   in Loop: Header=BB409_13 Depth=1
	v_bfrev_b32_e32 v28, 1
	s_mov_b32 s21, exec_lo
	v_cmpx_ne_u16_e32 0x80, v45
	s_cbranch_execz .LBB409_383
; %bb.378:                              ;   in Loop: Header=BB409_13 Depth=1
	v_bfe_u32 v46, v44, 16, 7
	v_mov_b32_e32 v28, 0x7f800001
	s_mov_b32 s22, exec_lo
	s_delay_alu instid0(VALU_DEP_2)
	v_cmpx_ne_u32_e32 0x7f, v46
	s_cbranch_execz .LBB409_382
; %bb.379:                              ;   in Loop: Header=BB409_13 Depth=1
	v_and_b32_e32 v28, 7, v43
	v_lshrrev_b32_e32 v45, 3, v46
	s_mov_b32 s23, exec_lo
	v_cmpx_gt_u32_e32 8, v46
; %bb.380:                              ;   in Loop: Header=BB409_13 Depth=1
	s_delay_alu instid0(VALU_DEP_3) | instskip(NEXT) | instid1(VALU_DEP_1)
	v_clz_i32_u32_e32 v45, v28
	v_min_u32_e32 v45, 32, v45
	s_delay_alu instid0(VALU_DEP_1) | instskip(SKIP_1) | instid1(VALU_DEP_2)
	v_subrev_nc_u32_e32 v46, 28, v45
	v_sub_nc_u32_e32 v45, 29, v45
	v_lshlrev_b64 v[46:47], v46, v[28:29]
	s_delay_alu instid0(VALU_DEP_1)
	v_and_b32_e32 v28, 7, v46
; %bb.381:                              ;   in Loop: Header=BB409_13 Depth=1
	s_or_b32 exec_lo, exec_lo, s23
	v_lshlrev_b32_e32 v43, 24, v43
	s_delay_alu instid0(VALU_DEP_2) | instskip(SKIP_1) | instid1(VALU_DEP_3)
	v_lshlrev_b32_e32 v28, 20, v28
	v_lshl_add_u32 v45, v45, 23, 0x3c000000
	v_and_b32_e32 v43, 0x80000000, v43
	s_delay_alu instid0(VALU_DEP_1)
	v_or3_b32 v28, v28, v43, v45
.LBB409_382:                            ;   in Loop: Header=BB409_13 Depth=1
	s_or_b32 exec_lo, exec_lo, s22
.LBB409_383:                            ;   in Loop: Header=BB409_13 Depth=1
	s_delay_alu instid0(SALU_CYCLE_1)
	s_or_b32 exec_lo, exec_lo, s21
.LBB409_384:                            ;   in Loop: Header=BB409_13 Depth=1
	s_delay_alu instid0(SALU_CYCLE_1) | instskip(NEXT) | instid1(VALU_DEP_1)
	s_or_b32 exec_lo, exec_lo, s20
	v_mul_f32_e32 v28, v132, v28
	s_delay_alu instid0(VALU_DEP_1) | instskip(NEXT) | instid1(VALU_DEP_1)
	v_and_b32_e32 v43, 0x7f800000, v28
	v_cmp_ne_u32_e64 s2, 0x7f800000, v43
                                        ; implicit-def: $vgpr43
	s_delay_alu instid0(VALU_DEP_1) | instskip(NEXT) | instid1(SALU_CYCLE_1)
	s_and_saveexec_b32 s20, s2
	s_xor_b32 s2, exec_lo, s20
; %bb.385:                              ;   in Loop: Header=BB409_13 Depth=1
	v_bfe_u32 v43, v28, 16, 1
	s_delay_alu instid0(VALU_DEP_1)
	v_add3_u32 v43, v28, v43, 0x7fff
                                        ; implicit-def: $vgpr28
; %bb.386:                              ;   in Loop: Header=BB409_13 Depth=1
	s_and_not1_saveexec_b32 s20, s2
; %bb.387:                              ;   in Loop: Header=BB409_13 Depth=1
	v_and_b32_e32 v43, 0xffff, v28
	v_or_b32_e32 v45, 0x10000, v28
	s_delay_alu instid0(VALU_DEP_2) | instskip(NEXT) | instid1(VALU_DEP_1)
	v_cmp_eq_u32_e64 s2, 0, v43
	v_cndmask_b32_e64 v43, v45, v28, s2
; %bb.388:                              ;   in Loop: Header=BB409_13 Depth=1
	s_or_b32 exec_lo, exec_lo, s20
	v_mov_b32_e32 v28, 0
	s_mov_b32 s20, exec_lo
	v_cmpx_lt_u32_e32 0xffffff, v44
	s_cbranch_execz .LBB409_396
; %bb.389:                              ;   in Loop: Header=BB409_13 Depth=1
	v_lshrrev_b32_e32 v45, 24, v44
	v_bfrev_b32_e32 v28, 1
	s_mov_b32 s21, exec_lo
	s_delay_alu instid0(VALU_DEP_2)
	v_cmpx_ne_u32_e32 0x80, v45
	s_cbranch_execz .LBB409_395
; %bb.390:                              ;   in Loop: Header=BB409_13 Depth=1
	v_bfe_u32 v46, v44, 24, 7
	v_mov_b32_e32 v28, 0x7f800001
	s_mov_b32 s22, exec_lo
	s_delay_alu instid0(VALU_DEP_2)
	v_cmpx_ne_u32_e32 0x7f, v46
	s_cbranch_execz .LBB409_394
; %bb.391:                              ;   in Loop: Header=BB409_13 Depth=1
	v_and_b32_e32 v28, 7, v45
	v_lshrrev_b32_e32 v44, 3, v46
	s_mov_b32 s23, exec_lo
	v_cmpx_gt_u32_e32 8, v46
; %bb.392:                              ;   in Loop: Header=BB409_13 Depth=1
	s_delay_alu instid0(VALU_DEP_3) | instskip(NEXT) | instid1(VALU_DEP_1)
	v_clz_i32_u32_e32 v44, v28
	v_min_u32_e32 v44, 32, v44
	s_delay_alu instid0(VALU_DEP_1) | instskip(SKIP_1) | instid1(VALU_DEP_2)
	v_subrev_nc_u32_e32 v46, 28, v44
	v_sub_nc_u32_e32 v44, 29, v44
	v_lshlrev_b64 v[46:47], v46, v[28:29]
	s_delay_alu instid0(VALU_DEP_1)
	v_and_b32_e32 v28, 7, v46
; %bb.393:                              ;   in Loop: Header=BB409_13 Depth=1
	s_or_b32 exec_lo, exec_lo, s23
	v_lshlrev_b32_e32 v45, 24, v45
	s_delay_alu instid0(VALU_DEP_2) | instskip(SKIP_1) | instid1(VALU_DEP_3)
	v_lshlrev_b32_e32 v28, 20, v28
	v_lshl_add_u32 v44, v44, 23, 0x3c000000
	v_and_b32_e32 v45, 0x80000000, v45
	s_delay_alu instid0(VALU_DEP_1)
	v_or3_b32 v28, v28, v45, v44
.LBB409_394:                            ;   in Loop: Header=BB409_13 Depth=1
	s_or_b32 exec_lo, exec_lo, s22
.LBB409_395:                            ;   in Loop: Header=BB409_13 Depth=1
	s_delay_alu instid0(SALU_CYCLE_1)
	s_or_b32 exec_lo, exec_lo, s21
.LBB409_396:                            ;   in Loop: Header=BB409_13 Depth=1
	s_delay_alu instid0(SALU_CYCLE_1) | instskip(NEXT) | instid1(VALU_DEP_1)
	s_or_b32 exec_lo, exec_lo, s20
	v_mul_f32_e32 v28, v132, v28
	s_delay_alu instid0(VALU_DEP_1) | instskip(NEXT) | instid1(VALU_DEP_1)
	v_and_b32_e32 v44, 0x7f800000, v28
	v_cmp_ne_u32_e64 s2, 0x7f800000, v44
                                        ; implicit-def: $vgpr44
	s_delay_alu instid0(VALU_DEP_1) | instskip(NEXT) | instid1(SALU_CYCLE_1)
	s_and_saveexec_b32 s20, s2
	s_xor_b32 s2, exec_lo, s20
; %bb.397:                              ;   in Loop: Header=BB409_13 Depth=1
	v_bfe_u32 v44, v28, 16, 1
	s_delay_alu instid0(VALU_DEP_1)
	v_add3_u32 v44, v28, v44, 0x7fff
                                        ; implicit-def: $vgpr28
; %bb.398:                              ;   in Loop: Header=BB409_13 Depth=1
	s_and_not1_saveexec_b32 s20, s2
; %bb.399:                              ;   in Loop: Header=BB409_13 Depth=1
	v_and_b32_e32 v44, 0xffff, v28
	v_or_b32_e32 v45, 0x10000, v28
	s_delay_alu instid0(VALU_DEP_2) | instskip(NEXT) | instid1(VALU_DEP_1)
	v_cmp_eq_u32_e64 s2, 0, v44
	v_cndmask_b32_e64 v44, v45, v28, s2
; %bb.400:                              ;   in Loop: Header=BB409_13 Depth=1
	s_or_b32 exec_lo, exec_lo, s20
	flat_load_b32 v56, v[80:81] offset:1024
	s_mov_b32 s20, exec_lo
	s_waitcnt vmcnt(0) lgkmcnt(0)
	v_dual_mov_b32 v28, 0 :: v_dual_and_b32 v45, 0xff, v56
	s_delay_alu instid0(VALU_DEP_1)
	v_cmpx_ne_u16_e32 0, v45
	s_cbranch_execz .LBB409_408
; %bb.401:                              ;   in Loop: Header=BB409_13 Depth=1
	v_bfrev_b32_e32 v28, 1
	s_mov_b32 s21, exec_lo
	v_cmpx_ne_u16_e32 0x80, v45
	s_cbranch_execz .LBB409_407
; %bb.402:                              ;   in Loop: Header=BB409_13 Depth=1
	v_and_b32_e32 v46, 0x7f, v56
	v_mov_b32_e32 v28, 0x7f800001
	s_mov_b32 s22, exec_lo
	s_delay_alu instid0(VALU_DEP_2)
	v_cmpx_ne_u32_e32 0x7f, v46
	s_cbranch_execz .LBB409_406
; %bb.403:                              ;   in Loop: Header=BB409_13 Depth=1
	v_and_b32_e32 v28, 7, v56
	v_lshrrev_b32_e32 v45, 3, v46
	s_mov_b32 s23, exec_lo
	v_cmpx_gt_u32_e32 8, v46
; %bb.404:                              ;   in Loop: Header=BB409_13 Depth=1
	s_delay_alu instid0(VALU_DEP_3) | instskip(NEXT) | instid1(VALU_DEP_1)
	v_clz_i32_u32_e32 v45, v28
	v_min_u32_e32 v45, 32, v45
	s_delay_alu instid0(VALU_DEP_1) | instskip(SKIP_1) | instid1(VALU_DEP_2)
	v_subrev_nc_u32_e32 v46, 28, v45
	v_sub_nc_u32_e32 v45, 29, v45
	v_lshlrev_b64 v[46:47], v46, v[28:29]
	s_delay_alu instid0(VALU_DEP_1)
	v_and_b32_e32 v28, 7, v46
; %bb.405:                              ;   in Loop: Header=BB409_13 Depth=1
	s_or_b32 exec_lo, exec_lo, s23
	v_lshlrev_b32_e32 v46, 24, v56
	s_delay_alu instid0(VALU_DEP_2) | instskip(SKIP_1) | instid1(VALU_DEP_3)
	v_lshlrev_b32_e32 v28, 20, v28
	v_lshl_add_u32 v45, v45, 23, 0x3c000000
	v_and_b32_e32 v46, 0x80000000, v46
	s_delay_alu instid0(VALU_DEP_1)
	v_or3_b32 v28, v28, v46, v45
.LBB409_406:                            ;   in Loop: Header=BB409_13 Depth=1
	s_or_b32 exec_lo, exec_lo, s22
.LBB409_407:                            ;   in Loop: Header=BB409_13 Depth=1
	s_delay_alu instid0(SALU_CYCLE_1)
	s_or_b32 exec_lo, exec_lo, s21
.LBB409_408:                            ;   in Loop: Header=BB409_13 Depth=1
	s_delay_alu instid0(SALU_CYCLE_1) | instskip(NEXT) | instid1(VALU_DEP_1)
	s_or_b32 exec_lo, exec_lo, s20
	v_mul_f32_e32 v28, v132, v28
	s_delay_alu instid0(VALU_DEP_1) | instskip(NEXT) | instid1(VALU_DEP_1)
	v_and_b32_e32 v45, 0x7f800000, v28
	v_cmp_ne_u32_e64 s2, 0x7f800000, v45
                                        ; implicit-def: $vgpr45
	s_delay_alu instid0(VALU_DEP_1) | instskip(NEXT) | instid1(SALU_CYCLE_1)
	s_and_saveexec_b32 s20, s2
	s_xor_b32 s2, exec_lo, s20
; %bb.409:                              ;   in Loop: Header=BB409_13 Depth=1
	v_bfe_u32 v45, v28, 16, 1
	s_delay_alu instid0(VALU_DEP_1)
	v_add3_u32 v45, v28, v45, 0x7fff
                                        ; implicit-def: $vgpr28
; %bb.410:                              ;   in Loop: Header=BB409_13 Depth=1
	s_and_not1_saveexec_b32 s20, s2
; %bb.411:                              ;   in Loop: Header=BB409_13 Depth=1
	v_and_b32_e32 v45, 0xffff, v28
	v_or_b32_e32 v46, 0x10000, v28
	s_delay_alu instid0(VALU_DEP_2) | instskip(NEXT) | instid1(VALU_DEP_1)
	v_cmp_eq_u32_e64 s2, 0, v45
	v_cndmask_b32_e64 v45, v46, v28, s2
; %bb.412:                              ;   in Loop: Header=BB409_13 Depth=1
	s_or_b32 exec_lo, exec_lo, s20
	v_lshrrev_b16 v46, 8, v56
	v_mov_b32_e32 v28, 0
	s_mov_b32 s20, exec_lo
	s_delay_alu instid0(VALU_DEP_2)
	v_cmpx_ne_u16_e32 0, v46
	s_cbranch_execz .LBB409_420
; %bb.413:                              ;   in Loop: Header=BB409_13 Depth=1
	v_bfrev_b32_e32 v28, 1
	s_mov_b32 s21, exec_lo
	v_cmpx_ne_u16_e32 0x80, v46
	s_cbranch_execz .LBB409_419
; %bb.414:                              ;   in Loop: Header=BB409_13 Depth=1
	v_and_b32_e32 v46, 0xffff, v46
	v_mov_b32_e32 v28, 0x7f800001
	s_mov_b32 s22, exec_lo
	s_delay_alu instid0(VALU_DEP_2) | instskip(NEXT) | instid1(VALU_DEP_1)
	v_and_b32_e32 v47, 0x7f, v46
	v_cmpx_ne_u32_e32 0x7f, v47
	s_cbranch_execz .LBB409_418
; %bb.415:                              ;   in Loop: Header=BB409_13 Depth=1
	v_and_b32_e32 v28, 7, v46
	v_lshrrev_b32_e32 v46, 3, v47
	s_mov_b32 s23, exec_lo
	v_cmpx_gt_u32_e32 8, v47
; %bb.416:                              ;   in Loop: Header=BB409_13 Depth=1
	s_delay_alu instid0(VALU_DEP_3) | instskip(NEXT) | instid1(VALU_DEP_1)
	v_clz_i32_u32_e32 v46, v28
	v_min_u32_e32 v46, 32, v46
	s_delay_alu instid0(VALU_DEP_1) | instskip(SKIP_1) | instid1(VALU_DEP_2)
	v_subrev_nc_u32_e32 v47, 28, v46
	v_sub_nc_u32_e32 v46, 29, v46
	v_lshlrev_b64 v[57:58], v47, v[28:29]
	s_delay_alu instid0(VALU_DEP_1)
	v_and_b32_e32 v28, 7, v57
; %bb.417:                              ;   in Loop: Header=BB409_13 Depth=1
	s_or_b32 exec_lo, exec_lo, s23
	v_lshlrev_b32_e32 v47, 16, v56
	s_delay_alu instid0(VALU_DEP_2) | instskip(SKIP_1) | instid1(VALU_DEP_3)
	v_lshlrev_b32_e32 v28, 20, v28
	v_lshl_add_u32 v46, v46, 23, 0x3c000000
	v_and_b32_e32 v47, 0x80000000, v47
	s_delay_alu instid0(VALU_DEP_1)
	v_or3_b32 v28, v28, v47, v46
.LBB409_418:                            ;   in Loop: Header=BB409_13 Depth=1
	s_or_b32 exec_lo, exec_lo, s22
.LBB409_419:                            ;   in Loop: Header=BB409_13 Depth=1
	s_delay_alu instid0(SALU_CYCLE_1)
	s_or_b32 exec_lo, exec_lo, s21
.LBB409_420:                            ;   in Loop: Header=BB409_13 Depth=1
	s_delay_alu instid0(SALU_CYCLE_1) | instskip(NEXT) | instid1(VALU_DEP_1)
	s_or_b32 exec_lo, exec_lo, s20
	v_mul_f32_e32 v28, v132, v28
	s_delay_alu instid0(VALU_DEP_1) | instskip(NEXT) | instid1(VALU_DEP_1)
	v_and_b32_e32 v46, 0x7f800000, v28
	v_cmp_ne_u32_e64 s2, 0x7f800000, v46
                                        ; implicit-def: $vgpr46
	s_delay_alu instid0(VALU_DEP_1) | instskip(NEXT) | instid1(SALU_CYCLE_1)
	s_and_saveexec_b32 s20, s2
	s_xor_b32 s2, exec_lo, s20
; %bb.421:                              ;   in Loop: Header=BB409_13 Depth=1
	v_bfe_u32 v46, v28, 16, 1
	s_delay_alu instid0(VALU_DEP_1)
	v_add3_u32 v46, v28, v46, 0x7fff
                                        ; implicit-def: $vgpr28
; %bb.422:                              ;   in Loop: Header=BB409_13 Depth=1
	s_and_not1_saveexec_b32 s20, s2
; %bb.423:                              ;   in Loop: Header=BB409_13 Depth=1
	v_and_b32_e32 v46, 0xffff, v28
	v_or_b32_e32 v47, 0x10000, v28
	s_delay_alu instid0(VALU_DEP_2) | instskip(NEXT) | instid1(VALU_DEP_1)
	v_cmp_eq_u32_e64 s2, 0, v46
	v_cndmask_b32_e64 v46, v47, v28, s2
; %bb.424:                              ;   in Loop: Header=BB409_13 Depth=1
	s_or_b32 exec_lo, exec_lo, s20
	v_lshrrev_b32_e32 v47, 16, v56
	s_mov_b32 s20, exec_lo
	s_delay_alu instid0(VALU_DEP_1) | instskip(NEXT) | instid1(VALU_DEP_1)
	v_dual_mov_b32 v28, 0 :: v_dual_and_b32 v57, 0xff, v47
	v_cmpx_ne_u16_e32 0, v57
	s_cbranch_execz .LBB409_432
; %bb.425:                              ;   in Loop: Header=BB409_13 Depth=1
	v_bfrev_b32_e32 v28, 1
	s_mov_b32 s21, exec_lo
	v_cmpx_ne_u16_e32 0x80, v57
	s_cbranch_execz .LBB409_431
; %bb.426:                              ;   in Loop: Header=BB409_13 Depth=1
	v_bfe_u32 v58, v56, 16, 7
	v_mov_b32_e32 v28, 0x7f800001
	s_mov_b32 s22, exec_lo
	s_delay_alu instid0(VALU_DEP_2)
	v_cmpx_ne_u32_e32 0x7f, v58
	s_cbranch_execz .LBB409_430
; %bb.427:                              ;   in Loop: Header=BB409_13 Depth=1
	v_and_b32_e32 v28, 7, v47
	v_lshrrev_b32_e32 v57, 3, v58
	s_mov_b32 s23, exec_lo
	v_cmpx_gt_u32_e32 8, v58
; %bb.428:                              ;   in Loop: Header=BB409_13 Depth=1
	s_delay_alu instid0(VALU_DEP_3) | instskip(NEXT) | instid1(VALU_DEP_1)
	v_clz_i32_u32_e32 v57, v28
	v_min_u32_e32 v57, 32, v57
	s_delay_alu instid0(VALU_DEP_1) | instskip(SKIP_1) | instid1(VALU_DEP_2)
	v_subrev_nc_u32_e32 v58, 28, v57
	v_sub_nc_u32_e32 v57, 29, v57
	v_lshlrev_b64 v[58:59], v58, v[28:29]
	s_delay_alu instid0(VALU_DEP_1)
	v_and_b32_e32 v28, 7, v58
; %bb.429:                              ;   in Loop: Header=BB409_13 Depth=1
	s_or_b32 exec_lo, exec_lo, s23
	v_lshlrev_b32_e32 v47, 24, v47
	s_delay_alu instid0(VALU_DEP_2) | instskip(SKIP_1) | instid1(VALU_DEP_3)
	v_lshlrev_b32_e32 v28, 20, v28
	v_lshl_add_u32 v57, v57, 23, 0x3c000000
	v_and_b32_e32 v47, 0x80000000, v47
	s_delay_alu instid0(VALU_DEP_1)
	v_or3_b32 v28, v28, v47, v57
.LBB409_430:                            ;   in Loop: Header=BB409_13 Depth=1
	s_or_b32 exec_lo, exec_lo, s22
.LBB409_431:                            ;   in Loop: Header=BB409_13 Depth=1
	s_delay_alu instid0(SALU_CYCLE_1)
	s_or_b32 exec_lo, exec_lo, s21
.LBB409_432:                            ;   in Loop: Header=BB409_13 Depth=1
	s_delay_alu instid0(SALU_CYCLE_1) | instskip(NEXT) | instid1(VALU_DEP_1)
	s_or_b32 exec_lo, exec_lo, s20
	v_mul_f32_e32 v28, v132, v28
	s_delay_alu instid0(VALU_DEP_1) | instskip(NEXT) | instid1(VALU_DEP_1)
	v_and_b32_e32 v47, 0x7f800000, v28
	v_cmp_ne_u32_e64 s2, 0x7f800000, v47
                                        ; implicit-def: $vgpr47
	s_delay_alu instid0(VALU_DEP_1) | instskip(NEXT) | instid1(SALU_CYCLE_1)
	s_and_saveexec_b32 s20, s2
	s_xor_b32 s2, exec_lo, s20
; %bb.433:                              ;   in Loop: Header=BB409_13 Depth=1
	v_bfe_u32 v47, v28, 16, 1
	s_delay_alu instid0(VALU_DEP_1)
	v_add3_u32 v47, v28, v47, 0x7fff
                                        ; implicit-def: $vgpr28
; %bb.434:                              ;   in Loop: Header=BB409_13 Depth=1
	s_and_not1_saveexec_b32 s20, s2
; %bb.435:                              ;   in Loop: Header=BB409_13 Depth=1
	v_and_b32_e32 v47, 0xffff, v28
	v_or_b32_e32 v57, 0x10000, v28
	s_delay_alu instid0(VALU_DEP_2) | instskip(NEXT) | instid1(VALU_DEP_1)
	v_cmp_eq_u32_e64 s2, 0, v47
	v_cndmask_b32_e64 v47, v57, v28, s2
; %bb.436:                              ;   in Loop: Header=BB409_13 Depth=1
	s_or_b32 exec_lo, exec_lo, s20
	v_mov_b32_e32 v28, 0
	s_mov_b32 s20, exec_lo
	v_cmpx_lt_u32_e32 0xffffff, v56
	s_cbranch_execz .LBB409_444
; %bb.437:                              ;   in Loop: Header=BB409_13 Depth=1
	v_lshrrev_b32_e32 v57, 24, v56
	v_bfrev_b32_e32 v28, 1
	s_mov_b32 s21, exec_lo
	s_delay_alu instid0(VALU_DEP_2)
	v_cmpx_ne_u32_e32 0x80, v57
	s_cbranch_execz .LBB409_443
; %bb.438:                              ;   in Loop: Header=BB409_13 Depth=1
	v_bfe_u32 v58, v56, 24, 7
	v_mov_b32_e32 v28, 0x7f800001
	s_mov_b32 s22, exec_lo
	s_delay_alu instid0(VALU_DEP_2)
	v_cmpx_ne_u32_e32 0x7f, v58
	s_cbranch_execz .LBB409_442
; %bb.439:                              ;   in Loop: Header=BB409_13 Depth=1
	v_and_b32_e32 v28, 7, v57
	v_lshrrev_b32_e32 v56, 3, v58
	s_mov_b32 s23, exec_lo
	v_cmpx_gt_u32_e32 8, v58
; %bb.440:                              ;   in Loop: Header=BB409_13 Depth=1
	s_delay_alu instid0(VALU_DEP_3) | instskip(NEXT) | instid1(VALU_DEP_1)
	v_clz_i32_u32_e32 v56, v28
	v_min_u32_e32 v56, 32, v56
	s_delay_alu instid0(VALU_DEP_1) | instskip(SKIP_1) | instid1(VALU_DEP_2)
	v_subrev_nc_u32_e32 v58, 28, v56
	v_sub_nc_u32_e32 v56, 29, v56
	v_lshlrev_b64 v[58:59], v58, v[28:29]
	s_delay_alu instid0(VALU_DEP_1)
	v_and_b32_e32 v28, 7, v58
; %bb.441:                              ;   in Loop: Header=BB409_13 Depth=1
	s_or_b32 exec_lo, exec_lo, s23
	v_lshlrev_b32_e32 v57, 24, v57
	s_delay_alu instid0(VALU_DEP_2) | instskip(SKIP_1) | instid1(VALU_DEP_3)
	v_lshlrev_b32_e32 v28, 20, v28
	v_lshl_add_u32 v56, v56, 23, 0x3c000000
	v_and_b32_e32 v57, 0x80000000, v57
	s_delay_alu instid0(VALU_DEP_1)
	v_or3_b32 v28, v28, v57, v56
.LBB409_442:                            ;   in Loop: Header=BB409_13 Depth=1
	s_or_b32 exec_lo, exec_lo, s22
.LBB409_443:                            ;   in Loop: Header=BB409_13 Depth=1
	s_delay_alu instid0(SALU_CYCLE_1)
	s_or_b32 exec_lo, exec_lo, s21
.LBB409_444:                            ;   in Loop: Header=BB409_13 Depth=1
	s_delay_alu instid0(SALU_CYCLE_1) | instskip(NEXT) | instid1(VALU_DEP_1)
	s_or_b32 exec_lo, exec_lo, s20
	v_mul_f32_e32 v28, v132, v28
	s_delay_alu instid0(VALU_DEP_1) | instskip(NEXT) | instid1(VALU_DEP_1)
	v_and_b32_e32 v56, 0x7f800000, v28
	v_cmp_ne_u32_e64 s2, 0x7f800000, v56
                                        ; implicit-def: $vgpr56
	s_delay_alu instid0(VALU_DEP_1) | instskip(NEXT) | instid1(SALU_CYCLE_1)
	s_and_saveexec_b32 s20, s2
	s_xor_b32 s2, exec_lo, s20
; %bb.445:                              ;   in Loop: Header=BB409_13 Depth=1
	v_bfe_u32 v56, v28, 16, 1
	s_delay_alu instid0(VALU_DEP_1)
	v_add3_u32 v56, v28, v56, 0x7fff
                                        ; implicit-def: $vgpr28
; %bb.446:                              ;   in Loop: Header=BB409_13 Depth=1
	s_and_not1_saveexec_b32 s20, s2
; %bb.447:                              ;   in Loop: Header=BB409_13 Depth=1
	v_and_b32_e32 v56, 0xffff, v28
	v_or_b32_e32 v57, 0x10000, v28
	s_delay_alu instid0(VALU_DEP_2) | instskip(NEXT) | instid1(VALU_DEP_1)
	v_cmp_eq_u32_e64 s2, 0, v56
	v_cndmask_b32_e64 v56, v57, v28, s2
; %bb.448:                              ;   in Loop: Header=BB409_13 Depth=1
	s_or_b32 exec_lo, exec_lo, s20
	flat_load_b32 v60, v[80:81] offset:1032
	s_mov_b32 s20, exec_lo
	s_waitcnt vmcnt(0) lgkmcnt(0)
	v_dual_mov_b32 v28, 0 :: v_dual_and_b32 v57, 0xff, v60
	s_delay_alu instid0(VALU_DEP_1)
	v_cmpx_ne_u16_e32 0, v57
	s_cbranch_execz .LBB409_456
; %bb.449:                              ;   in Loop: Header=BB409_13 Depth=1
	v_bfrev_b32_e32 v28, 1
	s_mov_b32 s21, exec_lo
	v_cmpx_ne_u16_e32 0x80, v57
	s_cbranch_execz .LBB409_455
; %bb.450:                              ;   in Loop: Header=BB409_13 Depth=1
	v_and_b32_e32 v58, 0x7f, v60
	v_mov_b32_e32 v28, 0x7f800001
	s_mov_b32 s22, exec_lo
	s_delay_alu instid0(VALU_DEP_2)
	v_cmpx_ne_u32_e32 0x7f, v58
	s_cbranch_execz .LBB409_454
; %bb.451:                              ;   in Loop: Header=BB409_13 Depth=1
	v_and_b32_e32 v28, 7, v60
	v_lshrrev_b32_e32 v57, 3, v58
	s_mov_b32 s23, exec_lo
	v_cmpx_gt_u32_e32 8, v58
; %bb.452:                              ;   in Loop: Header=BB409_13 Depth=1
	s_delay_alu instid0(VALU_DEP_3) | instskip(NEXT) | instid1(VALU_DEP_1)
	v_clz_i32_u32_e32 v57, v28
	v_min_u32_e32 v57, 32, v57
	s_delay_alu instid0(VALU_DEP_1) | instskip(SKIP_1) | instid1(VALU_DEP_2)
	v_subrev_nc_u32_e32 v58, 28, v57
	v_sub_nc_u32_e32 v57, 29, v57
	v_lshlrev_b64 v[58:59], v58, v[28:29]
	s_delay_alu instid0(VALU_DEP_1)
	v_and_b32_e32 v28, 7, v58
; %bb.453:                              ;   in Loop: Header=BB409_13 Depth=1
	s_or_b32 exec_lo, exec_lo, s23
	v_lshlrev_b32_e32 v58, 24, v60
	s_delay_alu instid0(VALU_DEP_2) | instskip(SKIP_1) | instid1(VALU_DEP_3)
	v_lshlrev_b32_e32 v28, 20, v28
	v_lshl_add_u32 v57, v57, 23, 0x3c000000
	v_and_b32_e32 v58, 0x80000000, v58
	s_delay_alu instid0(VALU_DEP_1)
	v_or3_b32 v28, v28, v58, v57
.LBB409_454:                            ;   in Loop: Header=BB409_13 Depth=1
	s_or_b32 exec_lo, exec_lo, s22
.LBB409_455:                            ;   in Loop: Header=BB409_13 Depth=1
	s_delay_alu instid0(SALU_CYCLE_1)
	s_or_b32 exec_lo, exec_lo, s21
.LBB409_456:                            ;   in Loop: Header=BB409_13 Depth=1
	s_delay_alu instid0(SALU_CYCLE_1) | instskip(NEXT) | instid1(VALU_DEP_1)
	s_or_b32 exec_lo, exec_lo, s20
	v_mul_f32_e32 v28, v132, v28
	s_delay_alu instid0(VALU_DEP_1) | instskip(NEXT) | instid1(VALU_DEP_1)
	v_and_b32_e32 v57, 0x7f800000, v28
	v_cmp_ne_u32_e64 s2, 0x7f800000, v57
                                        ; implicit-def: $vgpr57
	s_delay_alu instid0(VALU_DEP_1) | instskip(NEXT) | instid1(SALU_CYCLE_1)
	s_and_saveexec_b32 s20, s2
	s_xor_b32 s2, exec_lo, s20
; %bb.457:                              ;   in Loop: Header=BB409_13 Depth=1
	v_bfe_u32 v57, v28, 16, 1
	s_delay_alu instid0(VALU_DEP_1)
	v_add3_u32 v57, v28, v57, 0x7fff
                                        ; implicit-def: $vgpr28
; %bb.458:                              ;   in Loop: Header=BB409_13 Depth=1
	s_and_not1_saveexec_b32 s20, s2
; %bb.459:                              ;   in Loop: Header=BB409_13 Depth=1
	v_and_b32_e32 v57, 0xffff, v28
	v_or_b32_e32 v58, 0x10000, v28
	s_delay_alu instid0(VALU_DEP_2) | instskip(NEXT) | instid1(VALU_DEP_1)
	v_cmp_eq_u32_e64 s2, 0, v57
	v_cndmask_b32_e64 v57, v58, v28, s2
; %bb.460:                              ;   in Loop: Header=BB409_13 Depth=1
	s_or_b32 exec_lo, exec_lo, s20
	v_lshrrev_b16 v58, 8, v60
	v_mov_b32_e32 v28, 0
	s_mov_b32 s20, exec_lo
	s_delay_alu instid0(VALU_DEP_2)
	v_cmpx_ne_u16_e32 0, v58
	s_cbranch_execz .LBB409_468
; %bb.461:                              ;   in Loop: Header=BB409_13 Depth=1
	v_bfrev_b32_e32 v28, 1
	s_mov_b32 s21, exec_lo
	v_cmpx_ne_u16_e32 0x80, v58
	s_cbranch_execz .LBB409_467
; %bb.462:                              ;   in Loop: Header=BB409_13 Depth=1
	v_and_b32_e32 v58, 0xffff, v58
	v_mov_b32_e32 v28, 0x7f800001
	s_mov_b32 s22, exec_lo
	s_delay_alu instid0(VALU_DEP_2) | instskip(NEXT) | instid1(VALU_DEP_1)
	v_and_b32_e32 v59, 0x7f, v58
	v_cmpx_ne_u32_e32 0x7f, v59
	s_cbranch_execz .LBB409_466
; %bb.463:                              ;   in Loop: Header=BB409_13 Depth=1
	v_and_b32_e32 v28, 7, v58
	v_lshrrev_b32_e32 v58, 3, v59
	s_mov_b32 s23, exec_lo
	v_cmpx_gt_u32_e32 8, v59
; %bb.464:                              ;   in Loop: Header=BB409_13 Depth=1
	s_delay_alu instid0(VALU_DEP_3) | instskip(NEXT) | instid1(VALU_DEP_1)
	v_clz_i32_u32_e32 v58, v28
	v_min_u32_e32 v58, 32, v58
	s_delay_alu instid0(VALU_DEP_1) | instskip(SKIP_1) | instid1(VALU_DEP_2)
	v_subrev_nc_u32_e32 v59, 28, v58
	v_sub_nc_u32_e32 v58, 29, v58
	v_lshlrev_b64 v[61:62], v59, v[28:29]
	s_delay_alu instid0(VALU_DEP_1)
	v_and_b32_e32 v28, 7, v61
; %bb.465:                              ;   in Loop: Header=BB409_13 Depth=1
	s_or_b32 exec_lo, exec_lo, s23
	v_lshlrev_b32_e32 v59, 16, v60
	s_delay_alu instid0(VALU_DEP_2) | instskip(SKIP_1) | instid1(VALU_DEP_3)
	v_lshlrev_b32_e32 v28, 20, v28
	v_lshl_add_u32 v58, v58, 23, 0x3c000000
	v_and_b32_e32 v59, 0x80000000, v59
	s_delay_alu instid0(VALU_DEP_1)
	v_or3_b32 v28, v28, v59, v58
.LBB409_466:                            ;   in Loop: Header=BB409_13 Depth=1
	s_or_b32 exec_lo, exec_lo, s22
.LBB409_467:                            ;   in Loop: Header=BB409_13 Depth=1
	s_delay_alu instid0(SALU_CYCLE_1)
	s_or_b32 exec_lo, exec_lo, s21
.LBB409_468:                            ;   in Loop: Header=BB409_13 Depth=1
	s_delay_alu instid0(SALU_CYCLE_1) | instskip(NEXT) | instid1(VALU_DEP_1)
	s_or_b32 exec_lo, exec_lo, s20
	v_mul_f32_e32 v28, v132, v28
	s_delay_alu instid0(VALU_DEP_1) | instskip(NEXT) | instid1(VALU_DEP_1)
	v_and_b32_e32 v58, 0x7f800000, v28
	v_cmp_ne_u32_e64 s2, 0x7f800000, v58
                                        ; implicit-def: $vgpr58
	s_delay_alu instid0(VALU_DEP_1) | instskip(NEXT) | instid1(SALU_CYCLE_1)
	s_and_saveexec_b32 s20, s2
	s_xor_b32 s2, exec_lo, s20
; %bb.469:                              ;   in Loop: Header=BB409_13 Depth=1
	v_bfe_u32 v58, v28, 16, 1
	s_delay_alu instid0(VALU_DEP_1)
	v_add3_u32 v58, v28, v58, 0x7fff
                                        ; implicit-def: $vgpr28
; %bb.470:                              ;   in Loop: Header=BB409_13 Depth=1
	s_and_not1_saveexec_b32 s20, s2
; %bb.471:                              ;   in Loop: Header=BB409_13 Depth=1
	v_and_b32_e32 v58, 0xffff, v28
	v_or_b32_e32 v59, 0x10000, v28
	s_delay_alu instid0(VALU_DEP_2) | instskip(NEXT) | instid1(VALU_DEP_1)
	v_cmp_eq_u32_e64 s2, 0, v58
	v_cndmask_b32_e64 v58, v59, v28, s2
; %bb.472:                              ;   in Loop: Header=BB409_13 Depth=1
	s_or_b32 exec_lo, exec_lo, s20
	v_lshrrev_b32_e32 v59, 16, v60
	s_mov_b32 s20, exec_lo
	s_delay_alu instid0(VALU_DEP_1) | instskip(NEXT) | instid1(VALU_DEP_1)
	v_dual_mov_b32 v28, 0 :: v_dual_and_b32 v61, 0xff, v59
	v_cmpx_ne_u16_e32 0, v61
	s_cbranch_execz .LBB409_480
; %bb.473:                              ;   in Loop: Header=BB409_13 Depth=1
	v_bfrev_b32_e32 v28, 1
	s_mov_b32 s21, exec_lo
	v_cmpx_ne_u16_e32 0x80, v61
	s_cbranch_execz .LBB409_479
; %bb.474:                              ;   in Loop: Header=BB409_13 Depth=1
	v_bfe_u32 v62, v60, 16, 7
	v_mov_b32_e32 v28, 0x7f800001
	s_mov_b32 s22, exec_lo
	s_delay_alu instid0(VALU_DEP_2)
	v_cmpx_ne_u32_e32 0x7f, v62
	s_cbranch_execz .LBB409_478
; %bb.475:                              ;   in Loop: Header=BB409_13 Depth=1
	v_and_b32_e32 v28, 7, v59
	v_lshrrev_b32_e32 v61, 3, v62
	s_mov_b32 s23, exec_lo
	v_cmpx_gt_u32_e32 8, v62
; %bb.476:                              ;   in Loop: Header=BB409_13 Depth=1
	s_delay_alu instid0(VALU_DEP_3) | instskip(NEXT) | instid1(VALU_DEP_1)
	v_clz_i32_u32_e32 v61, v28
	v_min_u32_e32 v61, 32, v61
	s_delay_alu instid0(VALU_DEP_1) | instskip(SKIP_1) | instid1(VALU_DEP_2)
	v_subrev_nc_u32_e32 v62, 28, v61
	v_sub_nc_u32_e32 v61, 29, v61
	v_lshlrev_b64 v[62:63], v62, v[28:29]
	s_delay_alu instid0(VALU_DEP_1)
	v_and_b32_e32 v28, 7, v62
; %bb.477:                              ;   in Loop: Header=BB409_13 Depth=1
	s_or_b32 exec_lo, exec_lo, s23
	v_lshlrev_b32_e32 v59, 24, v59
	s_delay_alu instid0(VALU_DEP_2) | instskip(SKIP_1) | instid1(VALU_DEP_3)
	v_lshlrev_b32_e32 v28, 20, v28
	v_lshl_add_u32 v61, v61, 23, 0x3c000000
	v_and_b32_e32 v59, 0x80000000, v59
	s_delay_alu instid0(VALU_DEP_1)
	v_or3_b32 v28, v28, v59, v61
.LBB409_478:                            ;   in Loop: Header=BB409_13 Depth=1
	s_or_b32 exec_lo, exec_lo, s22
.LBB409_479:                            ;   in Loop: Header=BB409_13 Depth=1
	s_delay_alu instid0(SALU_CYCLE_1)
	s_or_b32 exec_lo, exec_lo, s21
.LBB409_480:                            ;   in Loop: Header=BB409_13 Depth=1
	s_delay_alu instid0(SALU_CYCLE_1) | instskip(NEXT) | instid1(VALU_DEP_1)
	s_or_b32 exec_lo, exec_lo, s20
	v_mul_f32_e32 v28, v132, v28
	s_delay_alu instid0(VALU_DEP_1) | instskip(NEXT) | instid1(VALU_DEP_1)
	v_and_b32_e32 v59, 0x7f800000, v28
	v_cmp_ne_u32_e64 s2, 0x7f800000, v59
                                        ; implicit-def: $vgpr59
	s_delay_alu instid0(VALU_DEP_1) | instskip(NEXT) | instid1(SALU_CYCLE_1)
	s_and_saveexec_b32 s20, s2
	s_xor_b32 s2, exec_lo, s20
; %bb.481:                              ;   in Loop: Header=BB409_13 Depth=1
	v_bfe_u32 v59, v28, 16, 1
	s_delay_alu instid0(VALU_DEP_1)
	v_add3_u32 v59, v28, v59, 0x7fff
                                        ; implicit-def: $vgpr28
; %bb.482:                              ;   in Loop: Header=BB409_13 Depth=1
	s_and_not1_saveexec_b32 s20, s2
; %bb.483:                              ;   in Loop: Header=BB409_13 Depth=1
	v_and_b32_e32 v59, 0xffff, v28
	v_or_b32_e32 v61, 0x10000, v28
	s_delay_alu instid0(VALU_DEP_2) | instskip(NEXT) | instid1(VALU_DEP_1)
	v_cmp_eq_u32_e64 s2, 0, v59
	v_cndmask_b32_e64 v59, v61, v28, s2
; %bb.484:                              ;   in Loop: Header=BB409_13 Depth=1
	s_or_b32 exec_lo, exec_lo, s20
	v_mov_b32_e32 v28, 0
	s_mov_b32 s20, exec_lo
	v_cmpx_lt_u32_e32 0xffffff, v60
	s_cbranch_execz .LBB409_492
; %bb.485:                              ;   in Loop: Header=BB409_13 Depth=1
	v_lshrrev_b32_e32 v61, 24, v60
	v_bfrev_b32_e32 v28, 1
	s_mov_b32 s21, exec_lo
	s_delay_alu instid0(VALU_DEP_2)
	v_cmpx_ne_u32_e32 0x80, v61
	s_cbranch_execz .LBB409_491
; %bb.486:                              ;   in Loop: Header=BB409_13 Depth=1
	v_bfe_u32 v62, v60, 24, 7
	v_mov_b32_e32 v28, 0x7f800001
	s_mov_b32 s22, exec_lo
	s_delay_alu instid0(VALU_DEP_2)
	v_cmpx_ne_u32_e32 0x7f, v62
	s_cbranch_execz .LBB409_490
; %bb.487:                              ;   in Loop: Header=BB409_13 Depth=1
	v_and_b32_e32 v28, 7, v61
	v_lshrrev_b32_e32 v60, 3, v62
	s_mov_b32 s23, exec_lo
	v_cmpx_gt_u32_e32 8, v62
; %bb.488:                              ;   in Loop: Header=BB409_13 Depth=1
	s_delay_alu instid0(VALU_DEP_3) | instskip(NEXT) | instid1(VALU_DEP_1)
	v_clz_i32_u32_e32 v60, v28
	v_min_u32_e32 v60, 32, v60
	s_delay_alu instid0(VALU_DEP_1) | instskip(SKIP_1) | instid1(VALU_DEP_2)
	v_subrev_nc_u32_e32 v62, 28, v60
	v_sub_nc_u32_e32 v60, 29, v60
	v_lshlrev_b64 v[62:63], v62, v[28:29]
	s_delay_alu instid0(VALU_DEP_1)
	v_and_b32_e32 v28, 7, v62
; %bb.489:                              ;   in Loop: Header=BB409_13 Depth=1
	s_or_b32 exec_lo, exec_lo, s23
	v_lshlrev_b32_e32 v61, 24, v61
	s_delay_alu instid0(VALU_DEP_2) | instskip(SKIP_1) | instid1(VALU_DEP_3)
	v_lshlrev_b32_e32 v28, 20, v28
	v_lshl_add_u32 v60, v60, 23, 0x3c000000
	v_and_b32_e32 v61, 0x80000000, v61
	s_delay_alu instid0(VALU_DEP_1)
	v_or3_b32 v28, v28, v61, v60
.LBB409_490:                            ;   in Loop: Header=BB409_13 Depth=1
	s_or_b32 exec_lo, exec_lo, s22
.LBB409_491:                            ;   in Loop: Header=BB409_13 Depth=1
	s_delay_alu instid0(SALU_CYCLE_1)
	s_or_b32 exec_lo, exec_lo, s21
.LBB409_492:                            ;   in Loop: Header=BB409_13 Depth=1
	s_delay_alu instid0(SALU_CYCLE_1) | instskip(NEXT) | instid1(VALU_DEP_1)
	s_or_b32 exec_lo, exec_lo, s20
	v_mul_f32_e32 v28, v132, v28
	s_delay_alu instid0(VALU_DEP_1) | instskip(NEXT) | instid1(VALU_DEP_1)
	v_and_b32_e32 v60, 0x7f800000, v28
	v_cmp_ne_u32_e64 s2, 0x7f800000, v60
                                        ; implicit-def: $vgpr60
	s_delay_alu instid0(VALU_DEP_1) | instskip(NEXT) | instid1(SALU_CYCLE_1)
	s_and_saveexec_b32 s20, s2
	s_xor_b32 s2, exec_lo, s20
; %bb.493:                              ;   in Loop: Header=BB409_13 Depth=1
	v_bfe_u32 v60, v28, 16, 1
	s_delay_alu instid0(VALU_DEP_1)
	v_add3_u32 v60, v28, v60, 0x7fff
                                        ; implicit-def: $vgpr28
; %bb.494:                              ;   in Loop: Header=BB409_13 Depth=1
	s_and_not1_saveexec_b32 s20, s2
; %bb.495:                              ;   in Loop: Header=BB409_13 Depth=1
	v_and_b32_e32 v60, 0xffff, v28
	v_or_b32_e32 v61, 0x10000, v28
	s_delay_alu instid0(VALU_DEP_2) | instskip(NEXT) | instid1(VALU_DEP_1)
	v_cmp_eq_u32_e64 s2, 0, v60
	v_cndmask_b32_e64 v60, v61, v28, s2
; %bb.496:                              ;   in Loop: Header=BB409_13 Depth=1
	s_or_b32 exec_lo, exec_lo, s20
	flat_load_b32 v72, v[80:81] offset:1280
	s_mov_b32 s20, exec_lo
	s_waitcnt vmcnt(0) lgkmcnt(0)
	v_dual_mov_b32 v28, 0 :: v_dual_and_b32 v61, 0xff, v72
	s_delay_alu instid0(VALU_DEP_1)
	v_cmpx_ne_u16_e32 0, v61
	s_cbranch_execz .LBB409_504
; %bb.497:                              ;   in Loop: Header=BB409_13 Depth=1
	v_bfrev_b32_e32 v28, 1
	s_mov_b32 s21, exec_lo
	v_cmpx_ne_u16_e32 0x80, v61
	s_cbranch_execz .LBB409_503
; %bb.498:                              ;   in Loop: Header=BB409_13 Depth=1
	v_and_b32_e32 v62, 0x7f, v72
	v_mov_b32_e32 v28, 0x7f800001
	s_mov_b32 s22, exec_lo
	s_delay_alu instid0(VALU_DEP_2)
	v_cmpx_ne_u32_e32 0x7f, v62
	s_cbranch_execz .LBB409_502
; %bb.499:                              ;   in Loop: Header=BB409_13 Depth=1
	v_and_b32_e32 v28, 7, v72
	v_lshrrev_b32_e32 v61, 3, v62
	s_mov_b32 s23, exec_lo
	v_cmpx_gt_u32_e32 8, v62
; %bb.500:                              ;   in Loop: Header=BB409_13 Depth=1
	s_delay_alu instid0(VALU_DEP_3) | instskip(NEXT) | instid1(VALU_DEP_1)
	v_clz_i32_u32_e32 v61, v28
	v_min_u32_e32 v61, 32, v61
	s_delay_alu instid0(VALU_DEP_1) | instskip(SKIP_1) | instid1(VALU_DEP_2)
	v_subrev_nc_u32_e32 v62, 28, v61
	v_sub_nc_u32_e32 v61, 29, v61
	v_lshlrev_b64 v[62:63], v62, v[28:29]
	s_delay_alu instid0(VALU_DEP_1)
	v_and_b32_e32 v28, 7, v62
; %bb.501:                              ;   in Loop: Header=BB409_13 Depth=1
	s_or_b32 exec_lo, exec_lo, s23
	v_lshlrev_b32_e32 v62, 24, v72
	s_delay_alu instid0(VALU_DEP_2) | instskip(SKIP_1) | instid1(VALU_DEP_3)
	v_lshlrev_b32_e32 v28, 20, v28
	v_lshl_add_u32 v61, v61, 23, 0x3c000000
	v_and_b32_e32 v62, 0x80000000, v62
	s_delay_alu instid0(VALU_DEP_1)
	v_or3_b32 v28, v28, v62, v61
.LBB409_502:                            ;   in Loop: Header=BB409_13 Depth=1
	s_or_b32 exec_lo, exec_lo, s22
.LBB409_503:                            ;   in Loop: Header=BB409_13 Depth=1
	s_delay_alu instid0(SALU_CYCLE_1)
	s_or_b32 exec_lo, exec_lo, s21
.LBB409_504:                            ;   in Loop: Header=BB409_13 Depth=1
	s_delay_alu instid0(SALU_CYCLE_1) | instskip(NEXT) | instid1(VALU_DEP_1)
	s_or_b32 exec_lo, exec_lo, s20
	v_mul_f32_e32 v28, v132, v28
	s_delay_alu instid0(VALU_DEP_1) | instskip(NEXT) | instid1(VALU_DEP_1)
	v_and_b32_e32 v61, 0x7f800000, v28
	v_cmp_ne_u32_e64 s2, 0x7f800000, v61
                                        ; implicit-def: $vgpr61
	s_delay_alu instid0(VALU_DEP_1) | instskip(NEXT) | instid1(SALU_CYCLE_1)
	s_and_saveexec_b32 s20, s2
	s_xor_b32 s2, exec_lo, s20
; %bb.505:                              ;   in Loop: Header=BB409_13 Depth=1
	v_bfe_u32 v61, v28, 16, 1
	s_delay_alu instid0(VALU_DEP_1)
	v_add3_u32 v61, v28, v61, 0x7fff
                                        ; implicit-def: $vgpr28
; %bb.506:                              ;   in Loop: Header=BB409_13 Depth=1
	s_and_not1_saveexec_b32 s20, s2
; %bb.507:                              ;   in Loop: Header=BB409_13 Depth=1
	v_and_b32_e32 v61, 0xffff, v28
	v_or_b32_e32 v62, 0x10000, v28
	s_delay_alu instid0(VALU_DEP_2) | instskip(NEXT) | instid1(VALU_DEP_1)
	v_cmp_eq_u32_e64 s2, 0, v61
	v_cndmask_b32_e64 v61, v62, v28, s2
; %bb.508:                              ;   in Loop: Header=BB409_13 Depth=1
	s_or_b32 exec_lo, exec_lo, s20
	v_lshrrev_b16 v62, 8, v72
	v_mov_b32_e32 v28, 0
	s_mov_b32 s20, exec_lo
	s_delay_alu instid0(VALU_DEP_2)
	v_cmpx_ne_u16_e32 0, v62
	s_cbranch_execz .LBB409_516
; %bb.509:                              ;   in Loop: Header=BB409_13 Depth=1
	v_bfrev_b32_e32 v28, 1
	s_mov_b32 s21, exec_lo
	v_cmpx_ne_u16_e32 0x80, v62
	s_cbranch_execz .LBB409_515
; %bb.510:                              ;   in Loop: Header=BB409_13 Depth=1
	v_and_b32_e32 v62, 0xffff, v62
	v_mov_b32_e32 v28, 0x7f800001
	s_mov_b32 s22, exec_lo
	s_delay_alu instid0(VALU_DEP_2) | instskip(NEXT) | instid1(VALU_DEP_1)
	v_and_b32_e32 v63, 0x7f, v62
	v_cmpx_ne_u32_e32 0x7f, v63
	s_cbranch_execz .LBB409_514
; %bb.511:                              ;   in Loop: Header=BB409_13 Depth=1
	v_and_b32_e32 v28, 7, v62
	v_lshrrev_b32_e32 v62, 3, v63
	s_mov_b32 s23, exec_lo
	v_cmpx_gt_u32_e32 8, v63
; %bb.512:                              ;   in Loop: Header=BB409_13 Depth=1
	s_delay_alu instid0(VALU_DEP_3) | instskip(NEXT) | instid1(VALU_DEP_1)
	v_clz_i32_u32_e32 v62, v28
	v_min_u32_e32 v62, 32, v62
	s_delay_alu instid0(VALU_DEP_1) | instskip(SKIP_1) | instid1(VALU_DEP_2)
	v_subrev_nc_u32_e32 v63, 28, v62
	v_sub_nc_u32_e32 v62, 29, v62
	v_lshlrev_b64 v[73:74], v63, v[28:29]
	s_delay_alu instid0(VALU_DEP_1)
	v_and_b32_e32 v28, 7, v73
; %bb.513:                              ;   in Loop: Header=BB409_13 Depth=1
	s_or_b32 exec_lo, exec_lo, s23
	v_lshlrev_b32_e32 v63, 16, v72
	s_delay_alu instid0(VALU_DEP_2) | instskip(SKIP_1) | instid1(VALU_DEP_3)
	v_lshlrev_b32_e32 v28, 20, v28
	v_lshl_add_u32 v62, v62, 23, 0x3c000000
	v_and_b32_e32 v63, 0x80000000, v63
	s_delay_alu instid0(VALU_DEP_1)
	v_or3_b32 v28, v28, v63, v62
.LBB409_514:                            ;   in Loop: Header=BB409_13 Depth=1
	s_or_b32 exec_lo, exec_lo, s22
.LBB409_515:                            ;   in Loop: Header=BB409_13 Depth=1
	s_delay_alu instid0(SALU_CYCLE_1)
	s_or_b32 exec_lo, exec_lo, s21
.LBB409_516:                            ;   in Loop: Header=BB409_13 Depth=1
	s_delay_alu instid0(SALU_CYCLE_1) | instskip(NEXT) | instid1(VALU_DEP_1)
	s_or_b32 exec_lo, exec_lo, s20
	v_mul_f32_e32 v28, v132, v28
	s_delay_alu instid0(VALU_DEP_1) | instskip(NEXT) | instid1(VALU_DEP_1)
	v_and_b32_e32 v62, 0x7f800000, v28
	v_cmp_ne_u32_e64 s2, 0x7f800000, v62
                                        ; implicit-def: $vgpr62
	s_delay_alu instid0(VALU_DEP_1) | instskip(NEXT) | instid1(SALU_CYCLE_1)
	s_and_saveexec_b32 s20, s2
	s_xor_b32 s2, exec_lo, s20
; %bb.517:                              ;   in Loop: Header=BB409_13 Depth=1
	v_bfe_u32 v62, v28, 16, 1
	s_delay_alu instid0(VALU_DEP_1)
	v_add3_u32 v62, v28, v62, 0x7fff
                                        ; implicit-def: $vgpr28
; %bb.518:                              ;   in Loop: Header=BB409_13 Depth=1
	s_and_not1_saveexec_b32 s20, s2
; %bb.519:                              ;   in Loop: Header=BB409_13 Depth=1
	v_and_b32_e32 v62, 0xffff, v28
	v_or_b32_e32 v63, 0x10000, v28
	s_delay_alu instid0(VALU_DEP_2) | instskip(NEXT) | instid1(VALU_DEP_1)
	v_cmp_eq_u32_e64 s2, 0, v62
	v_cndmask_b32_e64 v62, v63, v28, s2
; %bb.520:                              ;   in Loop: Header=BB409_13 Depth=1
	s_or_b32 exec_lo, exec_lo, s20
	v_lshrrev_b32_e32 v63, 16, v72
	s_mov_b32 s20, exec_lo
	s_delay_alu instid0(VALU_DEP_1) | instskip(NEXT) | instid1(VALU_DEP_1)
	v_dual_mov_b32 v28, 0 :: v_dual_and_b32 v73, 0xff, v63
	v_cmpx_ne_u16_e32 0, v73
	s_cbranch_execz .LBB409_528
; %bb.521:                              ;   in Loop: Header=BB409_13 Depth=1
	v_bfrev_b32_e32 v28, 1
	s_mov_b32 s21, exec_lo
	v_cmpx_ne_u16_e32 0x80, v73
	s_cbranch_execz .LBB409_527
; %bb.522:                              ;   in Loop: Header=BB409_13 Depth=1
	v_bfe_u32 v74, v72, 16, 7
	v_mov_b32_e32 v28, 0x7f800001
	s_mov_b32 s22, exec_lo
	s_delay_alu instid0(VALU_DEP_2)
	v_cmpx_ne_u32_e32 0x7f, v74
	s_cbranch_execz .LBB409_526
; %bb.523:                              ;   in Loop: Header=BB409_13 Depth=1
	v_and_b32_e32 v28, 7, v63
	v_lshrrev_b32_e32 v73, 3, v74
	s_mov_b32 s23, exec_lo
	v_cmpx_gt_u32_e32 8, v74
; %bb.524:                              ;   in Loop: Header=BB409_13 Depth=1
	s_delay_alu instid0(VALU_DEP_3) | instskip(NEXT) | instid1(VALU_DEP_1)
	v_clz_i32_u32_e32 v73, v28
	v_min_u32_e32 v73, 32, v73
	s_delay_alu instid0(VALU_DEP_1) | instskip(SKIP_1) | instid1(VALU_DEP_2)
	v_subrev_nc_u32_e32 v74, 28, v73
	v_sub_nc_u32_e32 v73, 29, v73
	v_lshlrev_b64 v[74:75], v74, v[28:29]
	s_delay_alu instid0(VALU_DEP_1)
	v_and_b32_e32 v28, 7, v74
; %bb.525:                              ;   in Loop: Header=BB409_13 Depth=1
	s_or_b32 exec_lo, exec_lo, s23
	v_lshlrev_b32_e32 v63, 24, v63
	s_delay_alu instid0(VALU_DEP_2) | instskip(SKIP_1) | instid1(VALU_DEP_3)
	v_lshlrev_b32_e32 v28, 20, v28
	v_lshl_add_u32 v73, v73, 23, 0x3c000000
	v_and_b32_e32 v63, 0x80000000, v63
	s_delay_alu instid0(VALU_DEP_1)
	v_or3_b32 v28, v28, v63, v73
.LBB409_526:                            ;   in Loop: Header=BB409_13 Depth=1
	s_or_b32 exec_lo, exec_lo, s22
.LBB409_527:                            ;   in Loop: Header=BB409_13 Depth=1
	s_delay_alu instid0(SALU_CYCLE_1)
	s_or_b32 exec_lo, exec_lo, s21
.LBB409_528:                            ;   in Loop: Header=BB409_13 Depth=1
	s_delay_alu instid0(SALU_CYCLE_1) | instskip(NEXT) | instid1(VALU_DEP_1)
	s_or_b32 exec_lo, exec_lo, s20
	v_mul_f32_e32 v28, v132, v28
	s_delay_alu instid0(VALU_DEP_1) | instskip(NEXT) | instid1(VALU_DEP_1)
	v_and_b32_e32 v63, 0x7f800000, v28
	v_cmp_ne_u32_e64 s2, 0x7f800000, v63
                                        ; implicit-def: $vgpr63
	s_delay_alu instid0(VALU_DEP_1) | instskip(NEXT) | instid1(SALU_CYCLE_1)
	s_and_saveexec_b32 s20, s2
	s_xor_b32 s2, exec_lo, s20
; %bb.529:                              ;   in Loop: Header=BB409_13 Depth=1
	v_bfe_u32 v63, v28, 16, 1
	s_delay_alu instid0(VALU_DEP_1)
	v_add3_u32 v63, v28, v63, 0x7fff
                                        ; implicit-def: $vgpr28
; %bb.530:                              ;   in Loop: Header=BB409_13 Depth=1
	s_and_not1_saveexec_b32 s20, s2
; %bb.531:                              ;   in Loop: Header=BB409_13 Depth=1
	v_and_b32_e32 v63, 0xffff, v28
	v_or_b32_e32 v73, 0x10000, v28
	s_delay_alu instid0(VALU_DEP_2) | instskip(NEXT) | instid1(VALU_DEP_1)
	v_cmp_eq_u32_e64 s2, 0, v63
	v_cndmask_b32_e64 v63, v73, v28, s2
; %bb.532:                              ;   in Loop: Header=BB409_13 Depth=1
	s_or_b32 exec_lo, exec_lo, s20
	v_mov_b32_e32 v28, 0
	s_mov_b32 s20, exec_lo
	v_cmpx_lt_u32_e32 0xffffff, v72
	s_cbranch_execz .LBB409_540
; %bb.533:                              ;   in Loop: Header=BB409_13 Depth=1
	v_lshrrev_b32_e32 v73, 24, v72
	v_bfrev_b32_e32 v28, 1
	s_mov_b32 s21, exec_lo
	s_delay_alu instid0(VALU_DEP_2)
	v_cmpx_ne_u32_e32 0x80, v73
	s_cbranch_execz .LBB409_539
; %bb.534:                              ;   in Loop: Header=BB409_13 Depth=1
	v_bfe_u32 v74, v72, 24, 7
	v_mov_b32_e32 v28, 0x7f800001
	s_mov_b32 s22, exec_lo
	s_delay_alu instid0(VALU_DEP_2)
	v_cmpx_ne_u32_e32 0x7f, v74
	s_cbranch_execz .LBB409_538
; %bb.535:                              ;   in Loop: Header=BB409_13 Depth=1
	v_and_b32_e32 v28, 7, v73
	v_lshrrev_b32_e32 v72, 3, v74
	s_mov_b32 s23, exec_lo
	v_cmpx_gt_u32_e32 8, v74
; %bb.536:                              ;   in Loop: Header=BB409_13 Depth=1
	s_delay_alu instid0(VALU_DEP_3) | instskip(NEXT) | instid1(VALU_DEP_1)
	v_clz_i32_u32_e32 v72, v28
	v_min_u32_e32 v72, 32, v72
	s_delay_alu instid0(VALU_DEP_1) | instskip(SKIP_1) | instid1(VALU_DEP_2)
	v_subrev_nc_u32_e32 v74, 28, v72
	v_sub_nc_u32_e32 v72, 29, v72
	v_lshlrev_b64 v[74:75], v74, v[28:29]
	s_delay_alu instid0(VALU_DEP_1)
	v_and_b32_e32 v28, 7, v74
; %bb.537:                              ;   in Loop: Header=BB409_13 Depth=1
	s_or_b32 exec_lo, exec_lo, s23
	v_lshlrev_b32_e32 v73, 24, v73
	s_delay_alu instid0(VALU_DEP_2) | instskip(SKIP_1) | instid1(VALU_DEP_3)
	v_lshlrev_b32_e32 v28, 20, v28
	v_lshl_add_u32 v72, v72, 23, 0x3c000000
	v_and_b32_e32 v73, 0x80000000, v73
	s_delay_alu instid0(VALU_DEP_1)
	v_or3_b32 v28, v28, v73, v72
.LBB409_538:                            ;   in Loop: Header=BB409_13 Depth=1
	s_or_b32 exec_lo, exec_lo, s22
.LBB409_539:                            ;   in Loop: Header=BB409_13 Depth=1
	s_delay_alu instid0(SALU_CYCLE_1)
	s_or_b32 exec_lo, exec_lo, s21
.LBB409_540:                            ;   in Loop: Header=BB409_13 Depth=1
	s_delay_alu instid0(SALU_CYCLE_1) | instskip(NEXT) | instid1(VALU_DEP_1)
	s_or_b32 exec_lo, exec_lo, s20
	v_mul_f32_e32 v28, v132, v28
	s_delay_alu instid0(VALU_DEP_1) | instskip(NEXT) | instid1(VALU_DEP_1)
	v_and_b32_e32 v72, 0x7f800000, v28
	v_cmp_ne_u32_e64 s2, 0x7f800000, v72
                                        ; implicit-def: $vgpr72
	s_delay_alu instid0(VALU_DEP_1) | instskip(NEXT) | instid1(SALU_CYCLE_1)
	s_and_saveexec_b32 s20, s2
	s_xor_b32 s2, exec_lo, s20
; %bb.541:                              ;   in Loop: Header=BB409_13 Depth=1
	v_bfe_u32 v72, v28, 16, 1
	s_delay_alu instid0(VALU_DEP_1)
	v_add3_u32 v72, v28, v72, 0x7fff
                                        ; implicit-def: $vgpr28
; %bb.542:                              ;   in Loop: Header=BB409_13 Depth=1
	s_and_not1_saveexec_b32 s20, s2
; %bb.543:                              ;   in Loop: Header=BB409_13 Depth=1
	v_and_b32_e32 v72, 0xffff, v28
	v_or_b32_e32 v73, 0x10000, v28
	s_delay_alu instid0(VALU_DEP_2) | instskip(NEXT) | instid1(VALU_DEP_1)
	v_cmp_eq_u32_e64 s2, 0, v72
	v_cndmask_b32_e64 v72, v73, v28, s2
; %bb.544:                              ;   in Loop: Header=BB409_13 Depth=1
	s_or_b32 exec_lo, exec_lo, s20
	flat_load_b32 v76, v[80:81] offset:1288
	s_mov_b32 s20, exec_lo
	s_waitcnt vmcnt(0) lgkmcnt(0)
	v_dual_mov_b32 v28, 0 :: v_dual_and_b32 v73, 0xff, v76
	s_delay_alu instid0(VALU_DEP_1)
	v_cmpx_ne_u16_e32 0, v73
	s_cbranch_execz .LBB409_552
; %bb.545:                              ;   in Loop: Header=BB409_13 Depth=1
	v_bfrev_b32_e32 v28, 1
	s_mov_b32 s21, exec_lo
	v_cmpx_ne_u16_e32 0x80, v73
	s_cbranch_execz .LBB409_551
; %bb.546:                              ;   in Loop: Header=BB409_13 Depth=1
	v_and_b32_e32 v74, 0x7f, v76
	v_mov_b32_e32 v28, 0x7f800001
	s_mov_b32 s22, exec_lo
	s_delay_alu instid0(VALU_DEP_2)
	v_cmpx_ne_u32_e32 0x7f, v74
	s_cbranch_execz .LBB409_550
; %bb.547:                              ;   in Loop: Header=BB409_13 Depth=1
	v_and_b32_e32 v28, 7, v76
	v_lshrrev_b32_e32 v73, 3, v74
	s_mov_b32 s23, exec_lo
	v_cmpx_gt_u32_e32 8, v74
; %bb.548:                              ;   in Loop: Header=BB409_13 Depth=1
	s_delay_alu instid0(VALU_DEP_3) | instskip(NEXT) | instid1(VALU_DEP_1)
	v_clz_i32_u32_e32 v73, v28
	v_min_u32_e32 v73, 32, v73
	s_delay_alu instid0(VALU_DEP_1) | instskip(SKIP_1) | instid1(VALU_DEP_2)
	v_subrev_nc_u32_e32 v74, 28, v73
	v_sub_nc_u32_e32 v73, 29, v73
	v_lshlrev_b64 v[74:75], v74, v[28:29]
	s_delay_alu instid0(VALU_DEP_1)
	v_and_b32_e32 v28, 7, v74
; %bb.549:                              ;   in Loop: Header=BB409_13 Depth=1
	s_or_b32 exec_lo, exec_lo, s23
	v_lshlrev_b32_e32 v74, 24, v76
	s_delay_alu instid0(VALU_DEP_2) | instskip(SKIP_1) | instid1(VALU_DEP_3)
	v_lshlrev_b32_e32 v28, 20, v28
	v_lshl_add_u32 v73, v73, 23, 0x3c000000
	v_and_b32_e32 v74, 0x80000000, v74
	s_delay_alu instid0(VALU_DEP_1)
	v_or3_b32 v28, v28, v74, v73
.LBB409_550:                            ;   in Loop: Header=BB409_13 Depth=1
	s_or_b32 exec_lo, exec_lo, s22
.LBB409_551:                            ;   in Loop: Header=BB409_13 Depth=1
	s_delay_alu instid0(SALU_CYCLE_1)
	s_or_b32 exec_lo, exec_lo, s21
.LBB409_552:                            ;   in Loop: Header=BB409_13 Depth=1
	s_delay_alu instid0(SALU_CYCLE_1) | instskip(NEXT) | instid1(VALU_DEP_1)
	s_or_b32 exec_lo, exec_lo, s20
	v_mul_f32_e32 v28, v132, v28
	s_delay_alu instid0(VALU_DEP_1) | instskip(NEXT) | instid1(VALU_DEP_1)
	v_and_b32_e32 v73, 0x7f800000, v28
	v_cmp_ne_u32_e64 s2, 0x7f800000, v73
                                        ; implicit-def: $vgpr73
	s_delay_alu instid0(VALU_DEP_1) | instskip(NEXT) | instid1(SALU_CYCLE_1)
	s_and_saveexec_b32 s20, s2
	s_xor_b32 s2, exec_lo, s20
; %bb.553:                              ;   in Loop: Header=BB409_13 Depth=1
	v_bfe_u32 v73, v28, 16, 1
	s_delay_alu instid0(VALU_DEP_1)
	v_add3_u32 v73, v28, v73, 0x7fff
                                        ; implicit-def: $vgpr28
; %bb.554:                              ;   in Loop: Header=BB409_13 Depth=1
	s_and_not1_saveexec_b32 s20, s2
; %bb.555:                              ;   in Loop: Header=BB409_13 Depth=1
	v_and_b32_e32 v73, 0xffff, v28
	v_or_b32_e32 v74, 0x10000, v28
	s_delay_alu instid0(VALU_DEP_2) | instskip(NEXT) | instid1(VALU_DEP_1)
	v_cmp_eq_u32_e64 s2, 0, v73
	v_cndmask_b32_e64 v73, v74, v28, s2
; %bb.556:                              ;   in Loop: Header=BB409_13 Depth=1
	s_or_b32 exec_lo, exec_lo, s20
	v_lshrrev_b16 v74, 8, v76
	v_mov_b32_e32 v28, 0
	s_mov_b32 s20, exec_lo
	s_delay_alu instid0(VALU_DEP_2)
	v_cmpx_ne_u16_e32 0, v74
	s_cbranch_execz .LBB409_564
; %bb.557:                              ;   in Loop: Header=BB409_13 Depth=1
	v_bfrev_b32_e32 v28, 1
	s_mov_b32 s21, exec_lo
	v_cmpx_ne_u16_e32 0x80, v74
	s_cbranch_execz .LBB409_563
; %bb.558:                              ;   in Loop: Header=BB409_13 Depth=1
	v_and_b32_e32 v74, 0xffff, v74
	v_mov_b32_e32 v28, 0x7f800001
	s_mov_b32 s22, exec_lo
	s_delay_alu instid0(VALU_DEP_2) | instskip(NEXT) | instid1(VALU_DEP_1)
	v_and_b32_e32 v75, 0x7f, v74
	v_cmpx_ne_u32_e32 0x7f, v75
	s_cbranch_execz .LBB409_562
; %bb.559:                              ;   in Loop: Header=BB409_13 Depth=1
	v_and_b32_e32 v28, 7, v74
	v_lshrrev_b32_e32 v74, 3, v75
	s_mov_b32 s23, exec_lo
	v_cmpx_gt_u32_e32 8, v75
; %bb.560:                              ;   in Loop: Header=BB409_13 Depth=1
	s_delay_alu instid0(VALU_DEP_3) | instskip(NEXT) | instid1(VALU_DEP_1)
	v_clz_i32_u32_e32 v74, v28
	v_min_u32_e32 v74, 32, v74
	s_delay_alu instid0(VALU_DEP_1) | instskip(SKIP_1) | instid1(VALU_DEP_2)
	v_subrev_nc_u32_e32 v75, 28, v74
	v_sub_nc_u32_e32 v74, 29, v74
	v_lshlrev_b64 v[77:78], v75, v[28:29]
	s_delay_alu instid0(VALU_DEP_1)
	v_and_b32_e32 v28, 7, v77
; %bb.561:                              ;   in Loop: Header=BB409_13 Depth=1
	s_or_b32 exec_lo, exec_lo, s23
	v_lshlrev_b32_e32 v75, 16, v76
	s_delay_alu instid0(VALU_DEP_2) | instskip(SKIP_1) | instid1(VALU_DEP_3)
	v_lshlrev_b32_e32 v28, 20, v28
	v_lshl_add_u32 v74, v74, 23, 0x3c000000
	v_and_b32_e32 v75, 0x80000000, v75
	s_delay_alu instid0(VALU_DEP_1)
	v_or3_b32 v28, v28, v75, v74
.LBB409_562:                            ;   in Loop: Header=BB409_13 Depth=1
	s_or_b32 exec_lo, exec_lo, s22
.LBB409_563:                            ;   in Loop: Header=BB409_13 Depth=1
	s_delay_alu instid0(SALU_CYCLE_1)
	s_or_b32 exec_lo, exec_lo, s21
.LBB409_564:                            ;   in Loop: Header=BB409_13 Depth=1
	s_delay_alu instid0(SALU_CYCLE_1) | instskip(NEXT) | instid1(VALU_DEP_1)
	s_or_b32 exec_lo, exec_lo, s20
	v_mul_f32_e32 v28, v132, v28
	s_delay_alu instid0(VALU_DEP_1) | instskip(NEXT) | instid1(VALU_DEP_1)
	v_and_b32_e32 v74, 0x7f800000, v28
	v_cmp_ne_u32_e64 s2, 0x7f800000, v74
                                        ; implicit-def: $vgpr74
	s_delay_alu instid0(VALU_DEP_1) | instskip(NEXT) | instid1(SALU_CYCLE_1)
	s_and_saveexec_b32 s20, s2
	s_xor_b32 s2, exec_lo, s20
; %bb.565:                              ;   in Loop: Header=BB409_13 Depth=1
	v_bfe_u32 v74, v28, 16, 1
	s_delay_alu instid0(VALU_DEP_1)
	v_add3_u32 v74, v28, v74, 0x7fff
                                        ; implicit-def: $vgpr28
; %bb.566:                              ;   in Loop: Header=BB409_13 Depth=1
	s_and_not1_saveexec_b32 s20, s2
; %bb.567:                              ;   in Loop: Header=BB409_13 Depth=1
	v_and_b32_e32 v74, 0xffff, v28
	v_or_b32_e32 v75, 0x10000, v28
	s_delay_alu instid0(VALU_DEP_2) | instskip(NEXT) | instid1(VALU_DEP_1)
	v_cmp_eq_u32_e64 s2, 0, v74
	v_cndmask_b32_e64 v74, v75, v28, s2
; %bb.568:                              ;   in Loop: Header=BB409_13 Depth=1
	s_or_b32 exec_lo, exec_lo, s20
	v_lshrrev_b32_e32 v75, 16, v76
	s_mov_b32 s20, exec_lo
	s_delay_alu instid0(VALU_DEP_1) | instskip(NEXT) | instid1(VALU_DEP_1)
	v_dual_mov_b32 v28, 0 :: v_dual_and_b32 v77, 0xff, v75
	v_cmpx_ne_u16_e32 0, v77
	s_cbranch_execz .LBB409_576
; %bb.569:                              ;   in Loop: Header=BB409_13 Depth=1
	v_bfrev_b32_e32 v28, 1
	s_mov_b32 s21, exec_lo
	v_cmpx_ne_u16_e32 0x80, v77
	s_cbranch_execz .LBB409_575
; %bb.570:                              ;   in Loop: Header=BB409_13 Depth=1
	v_bfe_u32 v78, v76, 16, 7
	v_mov_b32_e32 v28, 0x7f800001
	s_mov_b32 s22, exec_lo
	s_delay_alu instid0(VALU_DEP_2)
	v_cmpx_ne_u32_e32 0x7f, v78
	s_cbranch_execz .LBB409_574
; %bb.571:                              ;   in Loop: Header=BB409_13 Depth=1
	v_and_b32_e32 v28, 7, v75
	v_lshrrev_b32_e32 v77, 3, v78
	s_mov_b32 s23, exec_lo
	v_cmpx_gt_u32_e32 8, v78
; %bb.572:                              ;   in Loop: Header=BB409_13 Depth=1
	s_delay_alu instid0(VALU_DEP_3) | instskip(NEXT) | instid1(VALU_DEP_1)
	v_clz_i32_u32_e32 v77, v28
	v_min_u32_e32 v77, 32, v77
	s_delay_alu instid0(VALU_DEP_1) | instskip(SKIP_1) | instid1(VALU_DEP_2)
	v_subrev_nc_u32_e32 v78, 28, v77
	v_sub_nc_u32_e32 v77, 29, v77
	v_lshlrev_b64 v[78:79], v78, v[28:29]
	s_delay_alu instid0(VALU_DEP_1)
	v_and_b32_e32 v28, 7, v78
; %bb.573:                              ;   in Loop: Header=BB409_13 Depth=1
	s_or_b32 exec_lo, exec_lo, s23
	v_lshlrev_b32_e32 v75, 24, v75
	s_delay_alu instid0(VALU_DEP_2) | instskip(SKIP_1) | instid1(VALU_DEP_3)
	v_lshlrev_b32_e32 v28, 20, v28
	v_lshl_add_u32 v77, v77, 23, 0x3c000000
	v_and_b32_e32 v75, 0x80000000, v75
	s_delay_alu instid0(VALU_DEP_1)
	v_or3_b32 v28, v28, v75, v77
.LBB409_574:                            ;   in Loop: Header=BB409_13 Depth=1
	s_or_b32 exec_lo, exec_lo, s22
.LBB409_575:                            ;   in Loop: Header=BB409_13 Depth=1
	s_delay_alu instid0(SALU_CYCLE_1)
	s_or_b32 exec_lo, exec_lo, s21
.LBB409_576:                            ;   in Loop: Header=BB409_13 Depth=1
	s_delay_alu instid0(SALU_CYCLE_1) | instskip(NEXT) | instid1(VALU_DEP_1)
	s_or_b32 exec_lo, exec_lo, s20
	v_mul_f32_e32 v28, v132, v28
	s_delay_alu instid0(VALU_DEP_1) | instskip(NEXT) | instid1(VALU_DEP_1)
	v_and_b32_e32 v75, 0x7f800000, v28
	v_cmp_ne_u32_e64 s2, 0x7f800000, v75
                                        ; implicit-def: $vgpr75
	s_delay_alu instid0(VALU_DEP_1) | instskip(NEXT) | instid1(SALU_CYCLE_1)
	s_and_saveexec_b32 s20, s2
	s_xor_b32 s2, exec_lo, s20
; %bb.577:                              ;   in Loop: Header=BB409_13 Depth=1
	v_bfe_u32 v75, v28, 16, 1
	s_delay_alu instid0(VALU_DEP_1)
	v_add3_u32 v75, v28, v75, 0x7fff
                                        ; implicit-def: $vgpr28
; %bb.578:                              ;   in Loop: Header=BB409_13 Depth=1
	s_and_not1_saveexec_b32 s20, s2
; %bb.579:                              ;   in Loop: Header=BB409_13 Depth=1
	v_and_b32_e32 v75, 0xffff, v28
	v_or_b32_e32 v77, 0x10000, v28
	s_delay_alu instid0(VALU_DEP_2) | instskip(NEXT) | instid1(VALU_DEP_1)
	v_cmp_eq_u32_e64 s2, 0, v75
	v_cndmask_b32_e64 v75, v77, v28, s2
; %bb.580:                              ;   in Loop: Header=BB409_13 Depth=1
	s_or_b32 exec_lo, exec_lo, s20
	v_mov_b32_e32 v28, 0
	s_mov_b32 s20, exec_lo
	v_cmpx_lt_u32_e32 0xffffff, v76
	s_cbranch_execz .LBB409_588
; %bb.581:                              ;   in Loop: Header=BB409_13 Depth=1
	v_lshrrev_b32_e32 v77, 24, v76
	v_bfrev_b32_e32 v28, 1
	s_mov_b32 s21, exec_lo
	s_delay_alu instid0(VALU_DEP_2)
	v_cmpx_ne_u32_e32 0x80, v77
	s_cbranch_execz .LBB409_587
; %bb.582:                              ;   in Loop: Header=BB409_13 Depth=1
	v_bfe_u32 v78, v76, 24, 7
	v_mov_b32_e32 v28, 0x7f800001
	s_mov_b32 s22, exec_lo
	s_delay_alu instid0(VALU_DEP_2)
	v_cmpx_ne_u32_e32 0x7f, v78
	s_cbranch_execz .LBB409_586
; %bb.583:                              ;   in Loop: Header=BB409_13 Depth=1
	v_and_b32_e32 v28, 7, v77
	v_lshrrev_b32_e32 v76, 3, v78
	s_mov_b32 s23, exec_lo
	v_cmpx_gt_u32_e32 8, v78
; %bb.584:                              ;   in Loop: Header=BB409_13 Depth=1
	s_delay_alu instid0(VALU_DEP_3) | instskip(NEXT) | instid1(VALU_DEP_1)
	v_clz_i32_u32_e32 v76, v28
	v_min_u32_e32 v76, 32, v76
	s_delay_alu instid0(VALU_DEP_1) | instskip(SKIP_1) | instid1(VALU_DEP_2)
	v_subrev_nc_u32_e32 v78, 28, v76
	v_sub_nc_u32_e32 v76, 29, v76
	v_lshlrev_b64 v[78:79], v78, v[28:29]
	s_delay_alu instid0(VALU_DEP_1)
	v_and_b32_e32 v28, 7, v78
; %bb.585:                              ;   in Loop: Header=BB409_13 Depth=1
	s_or_b32 exec_lo, exec_lo, s23
	v_lshlrev_b32_e32 v77, 24, v77
	s_delay_alu instid0(VALU_DEP_2) | instskip(SKIP_1) | instid1(VALU_DEP_3)
	v_lshlrev_b32_e32 v28, 20, v28
	v_lshl_add_u32 v76, v76, 23, 0x3c000000
	v_and_b32_e32 v77, 0x80000000, v77
	s_delay_alu instid0(VALU_DEP_1)
	v_or3_b32 v28, v28, v77, v76
.LBB409_586:                            ;   in Loop: Header=BB409_13 Depth=1
	s_or_b32 exec_lo, exec_lo, s22
.LBB409_587:                            ;   in Loop: Header=BB409_13 Depth=1
	s_delay_alu instid0(SALU_CYCLE_1)
	s_or_b32 exec_lo, exec_lo, s21
.LBB409_588:                            ;   in Loop: Header=BB409_13 Depth=1
	s_delay_alu instid0(SALU_CYCLE_1) | instskip(NEXT) | instid1(VALU_DEP_1)
	s_or_b32 exec_lo, exec_lo, s20
	v_mul_f32_e32 v28, v132, v28
	s_delay_alu instid0(VALU_DEP_1) | instskip(NEXT) | instid1(VALU_DEP_1)
	v_and_b32_e32 v76, 0x7f800000, v28
	v_cmp_ne_u32_e64 s2, 0x7f800000, v76
                                        ; implicit-def: $vgpr76
	s_delay_alu instid0(VALU_DEP_1) | instskip(NEXT) | instid1(SALU_CYCLE_1)
	s_and_saveexec_b32 s20, s2
	s_xor_b32 s2, exec_lo, s20
; %bb.589:                              ;   in Loop: Header=BB409_13 Depth=1
	v_bfe_u32 v76, v28, 16, 1
	s_delay_alu instid0(VALU_DEP_1)
	v_add3_u32 v76, v28, v76, 0x7fff
                                        ; implicit-def: $vgpr28
; %bb.590:                              ;   in Loop: Header=BB409_13 Depth=1
	s_and_not1_saveexec_b32 s20, s2
; %bb.591:                              ;   in Loop: Header=BB409_13 Depth=1
	v_and_b32_e32 v76, 0xffff, v28
	v_or_b32_e32 v77, 0x10000, v28
	s_delay_alu instid0(VALU_DEP_2) | instskip(NEXT) | instid1(VALU_DEP_1)
	v_cmp_eq_u32_e64 s2, 0, v76
	v_cndmask_b32_e64 v76, v77, v28, s2
; %bb.592:                              ;   in Loop: Header=BB409_13 Depth=1
	s_or_b32 exec_lo, exec_lo, s20
	flat_load_b32 v88, v[80:81] offset:1536
	s_mov_b32 s20, exec_lo
	s_waitcnt vmcnt(0) lgkmcnt(0)
	v_dual_mov_b32 v28, 0 :: v_dual_and_b32 v77, 0xff, v88
	s_delay_alu instid0(VALU_DEP_1)
	v_cmpx_ne_u16_e32 0, v77
	s_cbranch_execz .LBB409_600
; %bb.593:                              ;   in Loop: Header=BB409_13 Depth=1
	v_bfrev_b32_e32 v28, 1
	s_mov_b32 s21, exec_lo
	v_cmpx_ne_u16_e32 0x80, v77
	s_cbranch_execz .LBB409_599
; %bb.594:                              ;   in Loop: Header=BB409_13 Depth=1
	v_and_b32_e32 v78, 0x7f, v88
	v_mov_b32_e32 v28, 0x7f800001
	s_mov_b32 s22, exec_lo
	s_delay_alu instid0(VALU_DEP_2)
	v_cmpx_ne_u32_e32 0x7f, v78
	s_cbranch_execz .LBB409_598
; %bb.595:                              ;   in Loop: Header=BB409_13 Depth=1
	v_and_b32_e32 v28, 7, v88
	v_lshrrev_b32_e32 v77, 3, v78
	s_mov_b32 s23, exec_lo
	v_cmpx_gt_u32_e32 8, v78
; %bb.596:                              ;   in Loop: Header=BB409_13 Depth=1
	s_delay_alu instid0(VALU_DEP_3) | instskip(NEXT) | instid1(VALU_DEP_1)
	v_clz_i32_u32_e32 v77, v28
	v_min_u32_e32 v77, 32, v77
	s_delay_alu instid0(VALU_DEP_1) | instskip(SKIP_1) | instid1(VALU_DEP_2)
	v_subrev_nc_u32_e32 v78, 28, v77
	v_sub_nc_u32_e32 v77, 29, v77
	v_lshlrev_b64 v[78:79], v78, v[28:29]
	s_delay_alu instid0(VALU_DEP_1)
	v_and_b32_e32 v28, 7, v78
; %bb.597:                              ;   in Loop: Header=BB409_13 Depth=1
	s_or_b32 exec_lo, exec_lo, s23
	v_lshlrev_b32_e32 v78, 24, v88
	s_delay_alu instid0(VALU_DEP_2) | instskip(SKIP_1) | instid1(VALU_DEP_3)
	v_lshlrev_b32_e32 v28, 20, v28
	v_lshl_add_u32 v77, v77, 23, 0x3c000000
	v_and_b32_e32 v78, 0x80000000, v78
	s_delay_alu instid0(VALU_DEP_1)
	v_or3_b32 v28, v28, v78, v77
.LBB409_598:                            ;   in Loop: Header=BB409_13 Depth=1
	s_or_b32 exec_lo, exec_lo, s22
.LBB409_599:                            ;   in Loop: Header=BB409_13 Depth=1
	s_delay_alu instid0(SALU_CYCLE_1)
	s_or_b32 exec_lo, exec_lo, s21
.LBB409_600:                            ;   in Loop: Header=BB409_13 Depth=1
	s_delay_alu instid0(SALU_CYCLE_1) | instskip(NEXT) | instid1(VALU_DEP_1)
	s_or_b32 exec_lo, exec_lo, s20
	v_mul_f32_e32 v28, v132, v28
	s_delay_alu instid0(VALU_DEP_1) | instskip(NEXT) | instid1(VALU_DEP_1)
	v_and_b32_e32 v77, 0x7f800000, v28
	v_cmp_ne_u32_e64 s2, 0x7f800000, v77
                                        ; implicit-def: $vgpr77
	s_delay_alu instid0(VALU_DEP_1) | instskip(NEXT) | instid1(SALU_CYCLE_1)
	s_and_saveexec_b32 s20, s2
	s_xor_b32 s2, exec_lo, s20
; %bb.601:                              ;   in Loop: Header=BB409_13 Depth=1
	v_bfe_u32 v77, v28, 16, 1
	s_delay_alu instid0(VALU_DEP_1)
	v_add3_u32 v77, v28, v77, 0x7fff
                                        ; implicit-def: $vgpr28
; %bb.602:                              ;   in Loop: Header=BB409_13 Depth=1
	s_and_not1_saveexec_b32 s20, s2
; %bb.603:                              ;   in Loop: Header=BB409_13 Depth=1
	v_and_b32_e32 v77, 0xffff, v28
	v_or_b32_e32 v78, 0x10000, v28
	s_delay_alu instid0(VALU_DEP_2) | instskip(NEXT) | instid1(VALU_DEP_1)
	v_cmp_eq_u32_e64 s2, 0, v77
	v_cndmask_b32_e64 v77, v78, v28, s2
; %bb.604:                              ;   in Loop: Header=BB409_13 Depth=1
	s_or_b32 exec_lo, exec_lo, s20
	v_lshrrev_b16 v78, 8, v88
	v_mov_b32_e32 v28, 0
	s_mov_b32 s20, exec_lo
	s_delay_alu instid0(VALU_DEP_2)
	v_cmpx_ne_u16_e32 0, v78
	s_cbranch_execz .LBB409_612
; %bb.605:                              ;   in Loop: Header=BB409_13 Depth=1
	v_bfrev_b32_e32 v28, 1
	s_mov_b32 s21, exec_lo
	v_cmpx_ne_u16_e32 0x80, v78
	s_cbranch_execz .LBB409_611
; %bb.606:                              ;   in Loop: Header=BB409_13 Depth=1
	v_and_b32_e32 v78, 0xffff, v78
	v_mov_b32_e32 v28, 0x7f800001
	s_mov_b32 s22, exec_lo
	s_delay_alu instid0(VALU_DEP_2) | instskip(NEXT) | instid1(VALU_DEP_1)
	v_and_b32_e32 v79, 0x7f, v78
	v_cmpx_ne_u32_e32 0x7f, v79
	s_cbranch_execz .LBB409_610
; %bb.607:                              ;   in Loop: Header=BB409_13 Depth=1
	v_and_b32_e32 v28, 7, v78
	v_lshrrev_b32_e32 v78, 3, v79
	s_mov_b32 s23, exec_lo
	v_cmpx_gt_u32_e32 8, v79
; %bb.608:                              ;   in Loop: Header=BB409_13 Depth=1
	s_delay_alu instid0(VALU_DEP_3) | instskip(NEXT) | instid1(VALU_DEP_1)
	v_clz_i32_u32_e32 v78, v28
	v_min_u32_e32 v78, 32, v78
	s_delay_alu instid0(VALU_DEP_1) | instskip(SKIP_1) | instid1(VALU_DEP_2)
	v_subrev_nc_u32_e32 v79, 28, v78
	v_sub_nc_u32_e32 v78, 29, v78
	v_lshlrev_b64 v[89:90], v79, v[28:29]
	s_delay_alu instid0(VALU_DEP_1)
	v_and_b32_e32 v28, 7, v89
; %bb.609:                              ;   in Loop: Header=BB409_13 Depth=1
	s_or_b32 exec_lo, exec_lo, s23
	v_lshlrev_b32_e32 v79, 16, v88
	s_delay_alu instid0(VALU_DEP_2) | instskip(SKIP_1) | instid1(VALU_DEP_3)
	v_lshlrev_b32_e32 v28, 20, v28
	v_lshl_add_u32 v78, v78, 23, 0x3c000000
	v_and_b32_e32 v79, 0x80000000, v79
	s_delay_alu instid0(VALU_DEP_1)
	v_or3_b32 v28, v28, v79, v78
.LBB409_610:                            ;   in Loop: Header=BB409_13 Depth=1
	s_or_b32 exec_lo, exec_lo, s22
.LBB409_611:                            ;   in Loop: Header=BB409_13 Depth=1
	s_delay_alu instid0(SALU_CYCLE_1)
	s_or_b32 exec_lo, exec_lo, s21
.LBB409_612:                            ;   in Loop: Header=BB409_13 Depth=1
	s_delay_alu instid0(SALU_CYCLE_1) | instskip(NEXT) | instid1(VALU_DEP_1)
	s_or_b32 exec_lo, exec_lo, s20
	v_mul_f32_e32 v28, v132, v28
	s_delay_alu instid0(VALU_DEP_1) | instskip(NEXT) | instid1(VALU_DEP_1)
	v_and_b32_e32 v78, 0x7f800000, v28
	v_cmp_ne_u32_e64 s2, 0x7f800000, v78
                                        ; implicit-def: $vgpr78
	s_delay_alu instid0(VALU_DEP_1) | instskip(NEXT) | instid1(SALU_CYCLE_1)
	s_and_saveexec_b32 s20, s2
	s_xor_b32 s2, exec_lo, s20
; %bb.613:                              ;   in Loop: Header=BB409_13 Depth=1
	v_bfe_u32 v78, v28, 16, 1
	s_delay_alu instid0(VALU_DEP_1)
	v_add3_u32 v78, v28, v78, 0x7fff
                                        ; implicit-def: $vgpr28
; %bb.614:                              ;   in Loop: Header=BB409_13 Depth=1
	s_and_not1_saveexec_b32 s20, s2
; %bb.615:                              ;   in Loop: Header=BB409_13 Depth=1
	v_and_b32_e32 v78, 0xffff, v28
	v_or_b32_e32 v79, 0x10000, v28
	s_delay_alu instid0(VALU_DEP_2) | instskip(NEXT) | instid1(VALU_DEP_1)
	v_cmp_eq_u32_e64 s2, 0, v78
	v_cndmask_b32_e64 v78, v79, v28, s2
; %bb.616:                              ;   in Loop: Header=BB409_13 Depth=1
	s_or_b32 exec_lo, exec_lo, s20
	v_lshrrev_b32_e32 v79, 16, v88
	s_mov_b32 s20, exec_lo
	s_delay_alu instid0(VALU_DEP_1) | instskip(NEXT) | instid1(VALU_DEP_1)
	v_dual_mov_b32 v28, 0 :: v_dual_and_b32 v89, 0xff, v79
	v_cmpx_ne_u16_e32 0, v89
	s_cbranch_execz .LBB409_624
; %bb.617:                              ;   in Loop: Header=BB409_13 Depth=1
	v_bfrev_b32_e32 v28, 1
	s_mov_b32 s21, exec_lo
	v_cmpx_ne_u16_e32 0x80, v89
	s_cbranch_execz .LBB409_623
; %bb.618:                              ;   in Loop: Header=BB409_13 Depth=1
	v_bfe_u32 v90, v88, 16, 7
	v_mov_b32_e32 v28, 0x7f800001
	s_mov_b32 s22, exec_lo
	s_delay_alu instid0(VALU_DEP_2)
	v_cmpx_ne_u32_e32 0x7f, v90
	s_cbranch_execz .LBB409_622
; %bb.619:                              ;   in Loop: Header=BB409_13 Depth=1
	v_and_b32_e32 v28, 7, v79
	v_lshrrev_b32_e32 v89, 3, v90
	s_mov_b32 s23, exec_lo
	v_cmpx_gt_u32_e32 8, v90
; %bb.620:                              ;   in Loop: Header=BB409_13 Depth=1
	s_delay_alu instid0(VALU_DEP_3) | instskip(NEXT) | instid1(VALU_DEP_1)
	v_clz_i32_u32_e32 v89, v28
	v_min_u32_e32 v89, 32, v89
	s_delay_alu instid0(VALU_DEP_1) | instskip(SKIP_1) | instid1(VALU_DEP_2)
	v_subrev_nc_u32_e32 v90, 28, v89
	v_sub_nc_u32_e32 v89, 29, v89
	v_lshlrev_b64 v[90:91], v90, v[28:29]
	s_delay_alu instid0(VALU_DEP_1)
	v_and_b32_e32 v28, 7, v90
; %bb.621:                              ;   in Loop: Header=BB409_13 Depth=1
	s_or_b32 exec_lo, exec_lo, s23
	v_lshlrev_b32_e32 v79, 24, v79
	s_delay_alu instid0(VALU_DEP_2) | instskip(SKIP_1) | instid1(VALU_DEP_3)
	v_lshlrev_b32_e32 v28, 20, v28
	v_lshl_add_u32 v89, v89, 23, 0x3c000000
	v_and_b32_e32 v79, 0x80000000, v79
	s_delay_alu instid0(VALU_DEP_1)
	v_or3_b32 v28, v28, v79, v89
.LBB409_622:                            ;   in Loop: Header=BB409_13 Depth=1
	s_or_b32 exec_lo, exec_lo, s22
.LBB409_623:                            ;   in Loop: Header=BB409_13 Depth=1
	s_delay_alu instid0(SALU_CYCLE_1)
	s_or_b32 exec_lo, exec_lo, s21
.LBB409_624:                            ;   in Loop: Header=BB409_13 Depth=1
	s_delay_alu instid0(SALU_CYCLE_1) | instskip(NEXT) | instid1(VALU_DEP_1)
	s_or_b32 exec_lo, exec_lo, s20
	v_mul_f32_e32 v28, v132, v28
	s_delay_alu instid0(VALU_DEP_1) | instskip(NEXT) | instid1(VALU_DEP_1)
	v_and_b32_e32 v79, 0x7f800000, v28
	v_cmp_ne_u32_e64 s2, 0x7f800000, v79
                                        ; implicit-def: $vgpr79
	s_delay_alu instid0(VALU_DEP_1) | instskip(NEXT) | instid1(SALU_CYCLE_1)
	s_and_saveexec_b32 s20, s2
	s_xor_b32 s2, exec_lo, s20
; %bb.625:                              ;   in Loop: Header=BB409_13 Depth=1
	v_bfe_u32 v79, v28, 16, 1
	s_delay_alu instid0(VALU_DEP_1)
	v_add3_u32 v79, v28, v79, 0x7fff
                                        ; implicit-def: $vgpr28
; %bb.626:                              ;   in Loop: Header=BB409_13 Depth=1
	s_and_not1_saveexec_b32 s20, s2
; %bb.627:                              ;   in Loop: Header=BB409_13 Depth=1
	v_and_b32_e32 v79, 0xffff, v28
	v_or_b32_e32 v89, 0x10000, v28
	s_delay_alu instid0(VALU_DEP_2) | instskip(NEXT) | instid1(VALU_DEP_1)
	v_cmp_eq_u32_e64 s2, 0, v79
	v_cndmask_b32_e64 v79, v89, v28, s2
; %bb.628:                              ;   in Loop: Header=BB409_13 Depth=1
	s_or_b32 exec_lo, exec_lo, s20
	v_mov_b32_e32 v28, 0
	s_mov_b32 s20, exec_lo
	v_cmpx_lt_u32_e32 0xffffff, v88
	s_cbranch_execz .LBB409_636
; %bb.629:                              ;   in Loop: Header=BB409_13 Depth=1
	v_lshrrev_b32_e32 v89, 24, v88
	v_bfrev_b32_e32 v28, 1
	s_mov_b32 s21, exec_lo
	s_delay_alu instid0(VALU_DEP_2)
	v_cmpx_ne_u32_e32 0x80, v89
	s_cbranch_execz .LBB409_635
; %bb.630:                              ;   in Loop: Header=BB409_13 Depth=1
	v_bfe_u32 v90, v88, 24, 7
	v_mov_b32_e32 v28, 0x7f800001
	s_mov_b32 s22, exec_lo
	s_delay_alu instid0(VALU_DEP_2)
	v_cmpx_ne_u32_e32 0x7f, v90
	s_cbranch_execz .LBB409_634
; %bb.631:                              ;   in Loop: Header=BB409_13 Depth=1
	v_and_b32_e32 v28, 7, v89
	v_lshrrev_b32_e32 v88, 3, v90
	s_mov_b32 s23, exec_lo
	v_cmpx_gt_u32_e32 8, v90
; %bb.632:                              ;   in Loop: Header=BB409_13 Depth=1
	s_delay_alu instid0(VALU_DEP_3) | instskip(NEXT) | instid1(VALU_DEP_1)
	v_clz_i32_u32_e32 v88, v28
	v_min_u32_e32 v88, 32, v88
	s_delay_alu instid0(VALU_DEP_1) | instskip(SKIP_1) | instid1(VALU_DEP_2)
	v_subrev_nc_u32_e32 v90, 28, v88
	v_sub_nc_u32_e32 v88, 29, v88
	v_lshlrev_b64 v[90:91], v90, v[28:29]
	s_delay_alu instid0(VALU_DEP_1)
	v_and_b32_e32 v28, 7, v90
; %bb.633:                              ;   in Loop: Header=BB409_13 Depth=1
	s_or_b32 exec_lo, exec_lo, s23
	v_lshlrev_b32_e32 v89, 24, v89
	s_delay_alu instid0(VALU_DEP_2) | instskip(SKIP_1) | instid1(VALU_DEP_3)
	v_lshlrev_b32_e32 v28, 20, v28
	v_lshl_add_u32 v88, v88, 23, 0x3c000000
	v_and_b32_e32 v89, 0x80000000, v89
	s_delay_alu instid0(VALU_DEP_1)
	v_or3_b32 v28, v28, v89, v88
.LBB409_634:                            ;   in Loop: Header=BB409_13 Depth=1
	s_or_b32 exec_lo, exec_lo, s22
.LBB409_635:                            ;   in Loop: Header=BB409_13 Depth=1
	s_delay_alu instid0(SALU_CYCLE_1)
	s_or_b32 exec_lo, exec_lo, s21
.LBB409_636:                            ;   in Loop: Header=BB409_13 Depth=1
	s_delay_alu instid0(SALU_CYCLE_1) | instskip(NEXT) | instid1(VALU_DEP_1)
	s_or_b32 exec_lo, exec_lo, s20
	v_mul_f32_e32 v28, v132, v28
	s_delay_alu instid0(VALU_DEP_1) | instskip(NEXT) | instid1(VALU_DEP_1)
	v_and_b32_e32 v88, 0x7f800000, v28
	v_cmp_ne_u32_e64 s2, 0x7f800000, v88
                                        ; implicit-def: $vgpr88
	s_delay_alu instid0(VALU_DEP_1) | instskip(NEXT) | instid1(SALU_CYCLE_1)
	s_and_saveexec_b32 s20, s2
	s_xor_b32 s2, exec_lo, s20
; %bb.637:                              ;   in Loop: Header=BB409_13 Depth=1
	v_bfe_u32 v88, v28, 16, 1
	s_delay_alu instid0(VALU_DEP_1)
	v_add3_u32 v88, v28, v88, 0x7fff
                                        ; implicit-def: $vgpr28
; %bb.638:                              ;   in Loop: Header=BB409_13 Depth=1
	s_and_not1_saveexec_b32 s20, s2
; %bb.639:                              ;   in Loop: Header=BB409_13 Depth=1
	v_and_b32_e32 v88, 0xffff, v28
	v_or_b32_e32 v89, 0x10000, v28
	s_delay_alu instid0(VALU_DEP_2) | instskip(NEXT) | instid1(VALU_DEP_1)
	v_cmp_eq_u32_e64 s2, 0, v88
	v_cndmask_b32_e64 v88, v89, v28, s2
; %bb.640:                              ;   in Loop: Header=BB409_13 Depth=1
	s_or_b32 exec_lo, exec_lo, s20
	flat_load_b32 v92, v[80:81] offset:1544
	s_mov_b32 s20, exec_lo
	s_waitcnt vmcnt(0) lgkmcnt(0)
	v_dual_mov_b32 v28, 0 :: v_dual_and_b32 v89, 0xff, v92
	s_delay_alu instid0(VALU_DEP_1)
	v_cmpx_ne_u16_e32 0, v89
	s_cbranch_execz .LBB409_648
; %bb.641:                              ;   in Loop: Header=BB409_13 Depth=1
	v_bfrev_b32_e32 v28, 1
	s_mov_b32 s21, exec_lo
	v_cmpx_ne_u16_e32 0x80, v89
	s_cbranch_execz .LBB409_647
; %bb.642:                              ;   in Loop: Header=BB409_13 Depth=1
	v_and_b32_e32 v90, 0x7f, v92
	v_mov_b32_e32 v28, 0x7f800001
	s_mov_b32 s22, exec_lo
	s_delay_alu instid0(VALU_DEP_2)
	v_cmpx_ne_u32_e32 0x7f, v90
	s_cbranch_execz .LBB409_646
; %bb.643:                              ;   in Loop: Header=BB409_13 Depth=1
	v_and_b32_e32 v28, 7, v92
	v_lshrrev_b32_e32 v89, 3, v90
	s_mov_b32 s23, exec_lo
	v_cmpx_gt_u32_e32 8, v90
; %bb.644:                              ;   in Loop: Header=BB409_13 Depth=1
	s_delay_alu instid0(VALU_DEP_3) | instskip(NEXT) | instid1(VALU_DEP_1)
	v_clz_i32_u32_e32 v89, v28
	v_min_u32_e32 v89, 32, v89
	s_delay_alu instid0(VALU_DEP_1) | instskip(SKIP_1) | instid1(VALU_DEP_2)
	v_subrev_nc_u32_e32 v90, 28, v89
	v_sub_nc_u32_e32 v89, 29, v89
	v_lshlrev_b64 v[90:91], v90, v[28:29]
	s_delay_alu instid0(VALU_DEP_1)
	v_and_b32_e32 v28, 7, v90
; %bb.645:                              ;   in Loop: Header=BB409_13 Depth=1
	s_or_b32 exec_lo, exec_lo, s23
	v_lshlrev_b32_e32 v90, 24, v92
	s_delay_alu instid0(VALU_DEP_2) | instskip(SKIP_1) | instid1(VALU_DEP_3)
	v_lshlrev_b32_e32 v28, 20, v28
	v_lshl_add_u32 v89, v89, 23, 0x3c000000
	v_and_b32_e32 v90, 0x80000000, v90
	s_delay_alu instid0(VALU_DEP_1)
	v_or3_b32 v28, v28, v90, v89
.LBB409_646:                            ;   in Loop: Header=BB409_13 Depth=1
	s_or_b32 exec_lo, exec_lo, s22
.LBB409_647:                            ;   in Loop: Header=BB409_13 Depth=1
	s_delay_alu instid0(SALU_CYCLE_1)
	s_or_b32 exec_lo, exec_lo, s21
.LBB409_648:                            ;   in Loop: Header=BB409_13 Depth=1
	s_delay_alu instid0(SALU_CYCLE_1) | instskip(NEXT) | instid1(VALU_DEP_1)
	s_or_b32 exec_lo, exec_lo, s20
	v_mul_f32_e32 v28, v132, v28
	s_delay_alu instid0(VALU_DEP_1) | instskip(NEXT) | instid1(VALU_DEP_1)
	v_and_b32_e32 v89, 0x7f800000, v28
	v_cmp_ne_u32_e64 s2, 0x7f800000, v89
                                        ; implicit-def: $vgpr89
	s_delay_alu instid0(VALU_DEP_1) | instskip(NEXT) | instid1(SALU_CYCLE_1)
	s_and_saveexec_b32 s20, s2
	s_xor_b32 s2, exec_lo, s20
; %bb.649:                              ;   in Loop: Header=BB409_13 Depth=1
	v_bfe_u32 v89, v28, 16, 1
	s_delay_alu instid0(VALU_DEP_1)
	v_add3_u32 v89, v28, v89, 0x7fff
                                        ; implicit-def: $vgpr28
; %bb.650:                              ;   in Loop: Header=BB409_13 Depth=1
	s_and_not1_saveexec_b32 s20, s2
; %bb.651:                              ;   in Loop: Header=BB409_13 Depth=1
	v_and_b32_e32 v89, 0xffff, v28
	v_or_b32_e32 v90, 0x10000, v28
	s_delay_alu instid0(VALU_DEP_2) | instskip(NEXT) | instid1(VALU_DEP_1)
	v_cmp_eq_u32_e64 s2, 0, v89
	v_cndmask_b32_e64 v89, v90, v28, s2
; %bb.652:                              ;   in Loop: Header=BB409_13 Depth=1
	s_or_b32 exec_lo, exec_lo, s20
	v_lshrrev_b16 v90, 8, v92
	v_mov_b32_e32 v28, 0
	s_mov_b32 s20, exec_lo
	s_delay_alu instid0(VALU_DEP_2)
	v_cmpx_ne_u16_e32 0, v90
	s_cbranch_execz .LBB409_660
; %bb.653:                              ;   in Loop: Header=BB409_13 Depth=1
	v_bfrev_b32_e32 v28, 1
	s_mov_b32 s21, exec_lo
	v_cmpx_ne_u16_e32 0x80, v90
	s_cbranch_execz .LBB409_659
; %bb.654:                              ;   in Loop: Header=BB409_13 Depth=1
	v_and_b32_e32 v90, 0xffff, v90
	v_mov_b32_e32 v28, 0x7f800001
	s_mov_b32 s22, exec_lo
	s_delay_alu instid0(VALU_DEP_2) | instskip(NEXT) | instid1(VALU_DEP_1)
	v_and_b32_e32 v91, 0x7f, v90
	v_cmpx_ne_u32_e32 0x7f, v91
	s_cbranch_execz .LBB409_658
; %bb.655:                              ;   in Loop: Header=BB409_13 Depth=1
	v_and_b32_e32 v28, 7, v90
	v_lshrrev_b32_e32 v90, 3, v91
	s_mov_b32 s23, exec_lo
	v_cmpx_gt_u32_e32 8, v91
; %bb.656:                              ;   in Loop: Header=BB409_13 Depth=1
	s_delay_alu instid0(VALU_DEP_3) | instskip(NEXT) | instid1(VALU_DEP_1)
	v_clz_i32_u32_e32 v90, v28
	v_min_u32_e32 v90, 32, v90
	s_delay_alu instid0(VALU_DEP_1) | instskip(SKIP_1) | instid1(VALU_DEP_2)
	v_subrev_nc_u32_e32 v91, 28, v90
	v_sub_nc_u32_e32 v90, 29, v90
	v_lshlrev_b64 v[93:94], v91, v[28:29]
	s_delay_alu instid0(VALU_DEP_1)
	v_and_b32_e32 v28, 7, v93
; %bb.657:                              ;   in Loop: Header=BB409_13 Depth=1
	s_or_b32 exec_lo, exec_lo, s23
	v_lshlrev_b32_e32 v91, 16, v92
	s_delay_alu instid0(VALU_DEP_2) | instskip(SKIP_1) | instid1(VALU_DEP_3)
	v_lshlrev_b32_e32 v28, 20, v28
	v_lshl_add_u32 v90, v90, 23, 0x3c000000
	v_and_b32_e32 v91, 0x80000000, v91
	s_delay_alu instid0(VALU_DEP_1)
	v_or3_b32 v28, v28, v91, v90
.LBB409_658:                            ;   in Loop: Header=BB409_13 Depth=1
	s_or_b32 exec_lo, exec_lo, s22
.LBB409_659:                            ;   in Loop: Header=BB409_13 Depth=1
	s_delay_alu instid0(SALU_CYCLE_1)
	s_or_b32 exec_lo, exec_lo, s21
.LBB409_660:                            ;   in Loop: Header=BB409_13 Depth=1
	s_delay_alu instid0(SALU_CYCLE_1) | instskip(NEXT) | instid1(VALU_DEP_1)
	s_or_b32 exec_lo, exec_lo, s20
	v_mul_f32_e32 v28, v132, v28
	s_delay_alu instid0(VALU_DEP_1) | instskip(NEXT) | instid1(VALU_DEP_1)
	v_and_b32_e32 v90, 0x7f800000, v28
	v_cmp_ne_u32_e64 s2, 0x7f800000, v90
                                        ; implicit-def: $vgpr90
	s_delay_alu instid0(VALU_DEP_1) | instskip(NEXT) | instid1(SALU_CYCLE_1)
	s_and_saveexec_b32 s20, s2
	s_xor_b32 s2, exec_lo, s20
; %bb.661:                              ;   in Loop: Header=BB409_13 Depth=1
	v_bfe_u32 v90, v28, 16, 1
	s_delay_alu instid0(VALU_DEP_1)
	v_add3_u32 v90, v28, v90, 0x7fff
                                        ; implicit-def: $vgpr28
; %bb.662:                              ;   in Loop: Header=BB409_13 Depth=1
	s_and_not1_saveexec_b32 s20, s2
; %bb.663:                              ;   in Loop: Header=BB409_13 Depth=1
	v_and_b32_e32 v90, 0xffff, v28
	v_or_b32_e32 v91, 0x10000, v28
	s_delay_alu instid0(VALU_DEP_2) | instskip(NEXT) | instid1(VALU_DEP_1)
	v_cmp_eq_u32_e64 s2, 0, v90
	v_cndmask_b32_e64 v90, v91, v28, s2
; %bb.664:                              ;   in Loop: Header=BB409_13 Depth=1
	s_or_b32 exec_lo, exec_lo, s20
	v_lshrrev_b32_e32 v91, 16, v92
	s_mov_b32 s20, exec_lo
	s_delay_alu instid0(VALU_DEP_1) | instskip(NEXT) | instid1(VALU_DEP_1)
	v_dual_mov_b32 v28, 0 :: v_dual_and_b32 v93, 0xff, v91
	v_cmpx_ne_u16_e32 0, v93
	s_cbranch_execz .LBB409_672
; %bb.665:                              ;   in Loop: Header=BB409_13 Depth=1
	v_bfrev_b32_e32 v28, 1
	s_mov_b32 s21, exec_lo
	v_cmpx_ne_u16_e32 0x80, v93
	s_cbranch_execz .LBB409_671
; %bb.666:                              ;   in Loop: Header=BB409_13 Depth=1
	v_bfe_u32 v94, v92, 16, 7
	v_mov_b32_e32 v28, 0x7f800001
	s_mov_b32 s22, exec_lo
	s_delay_alu instid0(VALU_DEP_2)
	v_cmpx_ne_u32_e32 0x7f, v94
	s_cbranch_execz .LBB409_670
; %bb.667:                              ;   in Loop: Header=BB409_13 Depth=1
	v_and_b32_e32 v28, 7, v91
	v_lshrrev_b32_e32 v93, 3, v94
	s_mov_b32 s23, exec_lo
	v_cmpx_gt_u32_e32 8, v94
; %bb.668:                              ;   in Loop: Header=BB409_13 Depth=1
	s_delay_alu instid0(VALU_DEP_3) | instskip(NEXT) | instid1(VALU_DEP_1)
	v_clz_i32_u32_e32 v93, v28
	v_min_u32_e32 v93, 32, v93
	s_delay_alu instid0(VALU_DEP_1) | instskip(SKIP_1) | instid1(VALU_DEP_2)
	v_subrev_nc_u32_e32 v94, 28, v93
	v_sub_nc_u32_e32 v93, 29, v93
	v_lshlrev_b64 v[94:95], v94, v[28:29]
	s_delay_alu instid0(VALU_DEP_1)
	v_and_b32_e32 v28, 7, v94
; %bb.669:                              ;   in Loop: Header=BB409_13 Depth=1
	s_or_b32 exec_lo, exec_lo, s23
	v_lshlrev_b32_e32 v91, 24, v91
	s_delay_alu instid0(VALU_DEP_2) | instskip(SKIP_1) | instid1(VALU_DEP_3)
	v_lshlrev_b32_e32 v28, 20, v28
	v_lshl_add_u32 v93, v93, 23, 0x3c000000
	v_and_b32_e32 v91, 0x80000000, v91
	s_delay_alu instid0(VALU_DEP_1)
	v_or3_b32 v28, v28, v91, v93
.LBB409_670:                            ;   in Loop: Header=BB409_13 Depth=1
	s_or_b32 exec_lo, exec_lo, s22
.LBB409_671:                            ;   in Loop: Header=BB409_13 Depth=1
	s_delay_alu instid0(SALU_CYCLE_1)
	s_or_b32 exec_lo, exec_lo, s21
.LBB409_672:                            ;   in Loop: Header=BB409_13 Depth=1
	s_delay_alu instid0(SALU_CYCLE_1) | instskip(NEXT) | instid1(VALU_DEP_1)
	s_or_b32 exec_lo, exec_lo, s20
	v_mul_f32_e32 v28, v132, v28
	s_delay_alu instid0(VALU_DEP_1) | instskip(NEXT) | instid1(VALU_DEP_1)
	v_and_b32_e32 v91, 0x7f800000, v28
	v_cmp_ne_u32_e64 s2, 0x7f800000, v91
                                        ; implicit-def: $vgpr91
	s_delay_alu instid0(VALU_DEP_1) | instskip(NEXT) | instid1(SALU_CYCLE_1)
	s_and_saveexec_b32 s20, s2
	s_xor_b32 s2, exec_lo, s20
; %bb.673:                              ;   in Loop: Header=BB409_13 Depth=1
	v_bfe_u32 v91, v28, 16, 1
	s_delay_alu instid0(VALU_DEP_1)
	v_add3_u32 v91, v28, v91, 0x7fff
                                        ; implicit-def: $vgpr28
; %bb.674:                              ;   in Loop: Header=BB409_13 Depth=1
	s_and_not1_saveexec_b32 s20, s2
; %bb.675:                              ;   in Loop: Header=BB409_13 Depth=1
	v_and_b32_e32 v91, 0xffff, v28
	v_or_b32_e32 v93, 0x10000, v28
	s_delay_alu instid0(VALU_DEP_2) | instskip(NEXT) | instid1(VALU_DEP_1)
	v_cmp_eq_u32_e64 s2, 0, v91
	v_cndmask_b32_e64 v91, v93, v28, s2
; %bb.676:                              ;   in Loop: Header=BB409_13 Depth=1
	s_or_b32 exec_lo, exec_lo, s20
	v_mov_b32_e32 v28, 0
	s_mov_b32 s20, exec_lo
	v_cmpx_lt_u32_e32 0xffffff, v92
	s_cbranch_execz .LBB409_684
; %bb.677:                              ;   in Loop: Header=BB409_13 Depth=1
	v_lshrrev_b32_e32 v93, 24, v92
	v_bfrev_b32_e32 v28, 1
	s_mov_b32 s21, exec_lo
	s_delay_alu instid0(VALU_DEP_2)
	v_cmpx_ne_u32_e32 0x80, v93
	s_cbranch_execz .LBB409_683
; %bb.678:                              ;   in Loop: Header=BB409_13 Depth=1
	v_bfe_u32 v94, v92, 24, 7
	v_mov_b32_e32 v28, 0x7f800001
	s_mov_b32 s22, exec_lo
	s_delay_alu instid0(VALU_DEP_2)
	v_cmpx_ne_u32_e32 0x7f, v94
	s_cbranch_execz .LBB409_682
; %bb.679:                              ;   in Loop: Header=BB409_13 Depth=1
	v_and_b32_e32 v28, 7, v93
	v_lshrrev_b32_e32 v92, 3, v94
	s_mov_b32 s23, exec_lo
	v_cmpx_gt_u32_e32 8, v94
; %bb.680:                              ;   in Loop: Header=BB409_13 Depth=1
	s_delay_alu instid0(VALU_DEP_3) | instskip(NEXT) | instid1(VALU_DEP_1)
	v_clz_i32_u32_e32 v92, v28
	v_min_u32_e32 v92, 32, v92
	s_delay_alu instid0(VALU_DEP_1) | instskip(SKIP_1) | instid1(VALU_DEP_2)
	v_subrev_nc_u32_e32 v94, 28, v92
	v_sub_nc_u32_e32 v92, 29, v92
	v_lshlrev_b64 v[94:95], v94, v[28:29]
	s_delay_alu instid0(VALU_DEP_1)
	v_and_b32_e32 v28, 7, v94
; %bb.681:                              ;   in Loop: Header=BB409_13 Depth=1
	s_or_b32 exec_lo, exec_lo, s23
	v_lshlrev_b32_e32 v93, 24, v93
	s_delay_alu instid0(VALU_DEP_2) | instskip(SKIP_1) | instid1(VALU_DEP_3)
	v_lshlrev_b32_e32 v28, 20, v28
	v_lshl_add_u32 v92, v92, 23, 0x3c000000
	v_and_b32_e32 v93, 0x80000000, v93
	s_delay_alu instid0(VALU_DEP_1)
	v_or3_b32 v28, v28, v93, v92
.LBB409_682:                            ;   in Loop: Header=BB409_13 Depth=1
	s_or_b32 exec_lo, exec_lo, s22
.LBB409_683:                            ;   in Loop: Header=BB409_13 Depth=1
	s_delay_alu instid0(SALU_CYCLE_1)
	s_or_b32 exec_lo, exec_lo, s21
.LBB409_684:                            ;   in Loop: Header=BB409_13 Depth=1
	s_delay_alu instid0(SALU_CYCLE_1) | instskip(NEXT) | instid1(VALU_DEP_1)
	s_or_b32 exec_lo, exec_lo, s20
	v_mul_f32_e32 v28, v132, v28
	s_delay_alu instid0(VALU_DEP_1) | instskip(NEXT) | instid1(VALU_DEP_1)
	v_and_b32_e32 v92, 0x7f800000, v28
	v_cmp_ne_u32_e64 s2, 0x7f800000, v92
                                        ; implicit-def: $vgpr92
	s_delay_alu instid0(VALU_DEP_1) | instskip(NEXT) | instid1(SALU_CYCLE_1)
	s_and_saveexec_b32 s20, s2
	s_xor_b32 s2, exec_lo, s20
; %bb.685:                              ;   in Loop: Header=BB409_13 Depth=1
	v_bfe_u32 v92, v28, 16, 1
	s_delay_alu instid0(VALU_DEP_1)
	v_add3_u32 v92, v28, v92, 0x7fff
                                        ; implicit-def: $vgpr28
; %bb.686:                              ;   in Loop: Header=BB409_13 Depth=1
	s_and_not1_saveexec_b32 s20, s2
; %bb.687:                              ;   in Loop: Header=BB409_13 Depth=1
	v_and_b32_e32 v92, 0xffff, v28
	v_or_b32_e32 v93, 0x10000, v28
	s_delay_alu instid0(VALU_DEP_2) | instskip(NEXT) | instid1(VALU_DEP_1)
	v_cmp_eq_u32_e64 s2, 0, v92
	v_cndmask_b32_e64 v92, v93, v28, s2
; %bb.688:                              ;   in Loop: Header=BB409_13 Depth=1
	s_or_b32 exec_lo, exec_lo, s20
	flat_load_b32 v81, v[80:81] offset:1792
	v_mov_b32_e32 v28, 0
	s_mov_b32 s20, exec_lo
	s_waitcnt vmcnt(0) lgkmcnt(0)
	v_and_b32_e32 v80, 0xff, v81
	s_delay_alu instid0(VALU_DEP_1)
	v_cmpx_ne_u16_e32 0, v80
	s_cbranch_execz .LBB409_696
; %bb.689:                              ;   in Loop: Header=BB409_13 Depth=1
	v_bfrev_b32_e32 v28, 1
	s_mov_b32 s21, exec_lo
	v_cmpx_ne_u16_e32 0x80, v80
	s_cbranch_execz .LBB409_695
; %bb.690:                              ;   in Loop: Header=BB409_13 Depth=1
	v_and_b32_e32 v93, 0x7f, v81
	v_mov_b32_e32 v28, 0x7f800001
	s_mov_b32 s22, exec_lo
	s_delay_alu instid0(VALU_DEP_2)
	v_cmpx_ne_u32_e32 0x7f, v93
	s_cbranch_execz .LBB409_694
; %bb.691:                              ;   in Loop: Header=BB409_13 Depth=1
	v_and_b32_e32 v28, 7, v81
	v_lshrrev_b32_e32 v80, 3, v93
	s_mov_b32 s23, exec_lo
	v_cmpx_gt_u32_e32 8, v93
; %bb.692:                              ;   in Loop: Header=BB409_13 Depth=1
	s_delay_alu instid0(VALU_DEP_3) | instskip(NEXT) | instid1(VALU_DEP_1)
	v_clz_i32_u32_e32 v80, v28
	v_min_u32_e32 v80, 32, v80
	s_delay_alu instid0(VALU_DEP_1) | instskip(SKIP_1) | instid1(VALU_DEP_2)
	v_subrev_nc_u32_e32 v93, 28, v80
	v_sub_nc_u32_e32 v80, 29, v80
	v_lshlrev_b64 v[93:94], v93, v[28:29]
	s_delay_alu instid0(VALU_DEP_1)
	v_and_b32_e32 v28, 7, v93
; %bb.693:                              ;   in Loop: Header=BB409_13 Depth=1
	s_or_b32 exec_lo, exec_lo, s23
	v_lshlrev_b32_e32 v93, 24, v81
	s_delay_alu instid0(VALU_DEP_2) | instskip(SKIP_1) | instid1(VALU_DEP_3)
	v_lshlrev_b32_e32 v28, 20, v28
	v_lshl_add_u32 v80, v80, 23, 0x3c000000
	v_and_b32_e32 v93, 0x80000000, v93
	s_delay_alu instid0(VALU_DEP_1)
	v_or3_b32 v28, v28, v93, v80
.LBB409_694:                            ;   in Loop: Header=BB409_13 Depth=1
	s_or_b32 exec_lo, exec_lo, s22
.LBB409_695:                            ;   in Loop: Header=BB409_13 Depth=1
	s_delay_alu instid0(SALU_CYCLE_1)
	s_or_b32 exec_lo, exec_lo, s21
.LBB409_696:                            ;   in Loop: Header=BB409_13 Depth=1
	s_delay_alu instid0(SALU_CYCLE_1) | instskip(NEXT) | instid1(VALU_DEP_1)
	s_or_b32 exec_lo, exec_lo, s20
	v_mul_f32_e32 v28, v132, v28
	s_delay_alu instid0(VALU_DEP_1) | instskip(NEXT) | instid1(VALU_DEP_1)
	v_and_b32_e32 v80, 0x7f800000, v28
	v_cmp_ne_u32_e64 s2, 0x7f800000, v80
                                        ; implicit-def: $vgpr80
	s_delay_alu instid0(VALU_DEP_1) | instskip(NEXT) | instid1(SALU_CYCLE_1)
	s_and_saveexec_b32 s20, s2
	s_xor_b32 s2, exec_lo, s20
; %bb.697:                              ;   in Loop: Header=BB409_13 Depth=1
	v_bfe_u32 v80, v28, 16, 1
	s_delay_alu instid0(VALU_DEP_1)
	v_add3_u32 v80, v28, v80, 0x7fff
                                        ; implicit-def: $vgpr28
; %bb.698:                              ;   in Loop: Header=BB409_13 Depth=1
	s_and_not1_saveexec_b32 s20, s2
; %bb.699:                              ;   in Loop: Header=BB409_13 Depth=1
	v_and_b32_e32 v80, 0xffff, v28
	v_or_b32_e32 v93, 0x10000, v28
	s_delay_alu instid0(VALU_DEP_2) | instskip(NEXT) | instid1(VALU_DEP_1)
	v_cmp_eq_u32_e64 s2, 0, v80
	v_cndmask_b32_e64 v80, v93, v28, s2
; %bb.700:                              ;   in Loop: Header=BB409_13 Depth=1
	s_or_b32 exec_lo, exec_lo, s20
	v_lshrrev_b16 v93, 8, v81
	v_mov_b32_e32 v28, 0
	s_mov_b32 s20, exec_lo
	s_delay_alu instid0(VALU_DEP_2)
	v_cmpx_ne_u16_e32 0, v93
	s_cbranch_execz .LBB409_708
; %bb.701:                              ;   in Loop: Header=BB409_13 Depth=1
	v_bfrev_b32_e32 v28, 1
	s_mov_b32 s21, exec_lo
	v_cmpx_ne_u16_e32 0x80, v93
	s_cbranch_execz .LBB409_707
; %bb.702:                              ;   in Loop: Header=BB409_13 Depth=1
	v_and_b32_e32 v93, 0xffff, v93
	v_mov_b32_e32 v28, 0x7f800001
	s_mov_b32 s22, exec_lo
	s_delay_alu instid0(VALU_DEP_2) | instskip(NEXT) | instid1(VALU_DEP_1)
	v_and_b32_e32 v94, 0x7f, v93
	v_cmpx_ne_u32_e32 0x7f, v94
	s_cbranch_execz .LBB409_706
; %bb.703:                              ;   in Loop: Header=BB409_13 Depth=1
	v_and_b32_e32 v28, 7, v93
	v_lshrrev_b32_e32 v93, 3, v94
	s_mov_b32 s23, exec_lo
	v_cmpx_gt_u32_e32 8, v94
; %bb.704:                              ;   in Loop: Header=BB409_13 Depth=1
	s_delay_alu instid0(VALU_DEP_3) | instskip(NEXT) | instid1(VALU_DEP_1)
	v_clz_i32_u32_e32 v93, v28
	v_min_u32_e32 v93, 32, v93
	s_delay_alu instid0(VALU_DEP_1) | instskip(SKIP_1) | instid1(VALU_DEP_2)
	v_subrev_nc_u32_e32 v94, 28, v93
	v_sub_nc_u32_e32 v93, 29, v93
	v_lshlrev_b64 v[94:95], v94, v[28:29]
	s_delay_alu instid0(VALU_DEP_1)
	v_and_b32_e32 v28, 7, v94
; %bb.705:                              ;   in Loop: Header=BB409_13 Depth=1
	s_or_b32 exec_lo, exec_lo, s23
	v_lshlrev_b32_e32 v94, 16, v81
	s_delay_alu instid0(VALU_DEP_2) | instskip(SKIP_1) | instid1(VALU_DEP_3)
	v_lshlrev_b32_e32 v28, 20, v28
	v_lshl_add_u32 v93, v93, 23, 0x3c000000
	v_and_b32_e32 v94, 0x80000000, v94
	s_delay_alu instid0(VALU_DEP_1)
	v_or3_b32 v28, v28, v94, v93
.LBB409_706:                            ;   in Loop: Header=BB409_13 Depth=1
	s_or_b32 exec_lo, exec_lo, s22
.LBB409_707:                            ;   in Loop: Header=BB409_13 Depth=1
	s_delay_alu instid0(SALU_CYCLE_1)
	s_or_b32 exec_lo, exec_lo, s21
.LBB409_708:                            ;   in Loop: Header=BB409_13 Depth=1
	s_delay_alu instid0(SALU_CYCLE_1) | instskip(NEXT) | instid1(VALU_DEP_1)
	s_or_b32 exec_lo, exec_lo, s20
	v_mul_f32_e32 v28, v132, v28
	s_delay_alu instid0(VALU_DEP_1) | instskip(NEXT) | instid1(VALU_DEP_1)
	v_and_b32_e32 v93, 0x7f800000, v28
	v_cmp_ne_u32_e64 s2, 0x7f800000, v93
                                        ; implicit-def: $vgpr93
	s_delay_alu instid0(VALU_DEP_1) | instskip(NEXT) | instid1(SALU_CYCLE_1)
	s_and_saveexec_b32 s20, s2
	s_xor_b32 s2, exec_lo, s20
; %bb.709:                              ;   in Loop: Header=BB409_13 Depth=1
	v_bfe_u32 v93, v28, 16, 1
	s_delay_alu instid0(VALU_DEP_1)
	v_add3_u32 v93, v28, v93, 0x7fff
                                        ; implicit-def: $vgpr28
; %bb.710:                              ;   in Loop: Header=BB409_13 Depth=1
	s_and_not1_saveexec_b32 s20, s2
; %bb.711:                              ;   in Loop: Header=BB409_13 Depth=1
	v_and_b32_e32 v93, 0xffff, v28
	v_or_b32_e32 v94, 0x10000, v28
	s_delay_alu instid0(VALU_DEP_2) | instskip(NEXT) | instid1(VALU_DEP_1)
	v_cmp_eq_u32_e64 s2, 0, v93
	v_cndmask_b32_e64 v93, v94, v28, s2
; %bb.712:                              ;   in Loop: Header=BB409_13 Depth=1
	s_or_b32 exec_lo, exec_lo, s20
	v_lshrrev_b32_e32 v94, 16, v81
	s_mov_b32 s20, exec_lo
	s_delay_alu instid0(VALU_DEP_1) | instskip(NEXT) | instid1(VALU_DEP_1)
	v_dual_mov_b32 v28, 0 :: v_dual_and_b32 v95, 0xff, v94
	v_cmpx_ne_u16_e32 0, v95
	s_cbranch_execz .LBB409_720
; %bb.713:                              ;   in Loop: Header=BB409_13 Depth=1
	v_bfrev_b32_e32 v28, 1
	s_mov_b32 s21, exec_lo
	v_cmpx_ne_u16_e32 0x80, v95
	s_cbranch_execz .LBB409_719
; %bb.714:                              ;   in Loop: Header=BB409_13 Depth=1
	v_bfe_u32 v104, v81, 16, 7
	v_mov_b32_e32 v28, 0x7f800001
	s_mov_b32 s22, exec_lo
	s_delay_alu instid0(VALU_DEP_2)
	v_cmpx_ne_u32_e32 0x7f, v104
	s_cbranch_execz .LBB409_718
; %bb.715:                              ;   in Loop: Header=BB409_13 Depth=1
	v_and_b32_e32 v28, 7, v94
	v_lshrrev_b32_e32 v95, 3, v104
	s_mov_b32 s23, exec_lo
	v_cmpx_gt_u32_e32 8, v104
; %bb.716:                              ;   in Loop: Header=BB409_13 Depth=1
	s_delay_alu instid0(VALU_DEP_3) | instskip(NEXT) | instid1(VALU_DEP_1)
	v_clz_i32_u32_e32 v95, v28
	v_min_u32_e32 v95, 32, v95
	s_delay_alu instid0(VALU_DEP_1) | instskip(SKIP_1) | instid1(VALU_DEP_2)
	v_subrev_nc_u32_e32 v104, 28, v95
	v_sub_nc_u32_e32 v95, 29, v95
	v_lshlrev_b64 v[104:105], v104, v[28:29]
	s_delay_alu instid0(VALU_DEP_1)
	v_and_b32_e32 v28, 7, v104
; %bb.717:                              ;   in Loop: Header=BB409_13 Depth=1
	s_or_b32 exec_lo, exec_lo, s23
	v_lshlrev_b32_e32 v94, 24, v94
	s_delay_alu instid0(VALU_DEP_2) | instskip(SKIP_1) | instid1(VALU_DEP_3)
	v_lshlrev_b32_e32 v28, 20, v28
	v_lshl_add_u32 v95, v95, 23, 0x3c000000
	v_and_b32_e32 v94, 0x80000000, v94
	s_delay_alu instid0(VALU_DEP_1)
	v_or3_b32 v28, v28, v94, v95
.LBB409_718:                            ;   in Loop: Header=BB409_13 Depth=1
	s_or_b32 exec_lo, exec_lo, s22
.LBB409_719:                            ;   in Loop: Header=BB409_13 Depth=1
	s_delay_alu instid0(SALU_CYCLE_1)
	s_or_b32 exec_lo, exec_lo, s21
.LBB409_720:                            ;   in Loop: Header=BB409_13 Depth=1
	s_delay_alu instid0(SALU_CYCLE_1) | instskip(NEXT) | instid1(VALU_DEP_1)
	s_or_b32 exec_lo, exec_lo, s20
	v_mul_f32_e32 v28, v132, v28
	s_delay_alu instid0(VALU_DEP_1) | instskip(NEXT) | instid1(VALU_DEP_1)
	v_and_b32_e32 v94, 0x7f800000, v28
	v_cmp_ne_u32_e64 s2, 0x7f800000, v94
                                        ; implicit-def: $vgpr94
	s_delay_alu instid0(VALU_DEP_1) | instskip(NEXT) | instid1(SALU_CYCLE_1)
	s_and_saveexec_b32 s20, s2
	s_xor_b32 s2, exec_lo, s20
; %bb.721:                              ;   in Loop: Header=BB409_13 Depth=1
	v_bfe_u32 v94, v28, 16, 1
	s_delay_alu instid0(VALU_DEP_1)
	v_add3_u32 v94, v28, v94, 0x7fff
                                        ; implicit-def: $vgpr28
; %bb.722:                              ;   in Loop: Header=BB409_13 Depth=1
	s_and_not1_saveexec_b32 s20, s2
; %bb.723:                              ;   in Loop: Header=BB409_13 Depth=1
	v_and_b32_e32 v94, 0xffff, v28
	v_or_b32_e32 v95, 0x10000, v28
	s_delay_alu instid0(VALU_DEP_2) | instskip(NEXT) | instid1(VALU_DEP_1)
	v_cmp_eq_u32_e64 s2, 0, v94
	v_cndmask_b32_e64 v94, v95, v28, s2
; %bb.724:                              ;   in Loop: Header=BB409_13 Depth=1
	s_or_b32 exec_lo, exec_lo, s20
	v_mov_b32_e32 v28, 0
	s_mov_b32 s20, exec_lo
	v_cmpx_lt_u32_e32 0xffffff, v81
	s_cbranch_execz .LBB409_732
; %bb.725:                              ;   in Loop: Header=BB409_13 Depth=1
	v_lshrrev_b32_e32 v95, 24, v81
	v_bfrev_b32_e32 v28, 1
	s_mov_b32 s21, exec_lo
	s_delay_alu instid0(VALU_DEP_2)
	v_cmpx_ne_u32_e32 0x80, v95
	s_cbranch_execz .LBB409_731
; %bb.726:                              ;   in Loop: Header=BB409_13 Depth=1
	v_bfe_u32 v104, v81, 24, 7
	v_mov_b32_e32 v28, 0x7f800001
	s_mov_b32 s22, exec_lo
	s_delay_alu instid0(VALU_DEP_2)
	v_cmpx_ne_u32_e32 0x7f, v104
	s_cbranch_execz .LBB409_730
; %bb.727:                              ;   in Loop: Header=BB409_13 Depth=1
	v_and_b32_e32 v28, 7, v95
	v_lshrrev_b32_e32 v81, 3, v104
	s_mov_b32 s23, exec_lo
	v_cmpx_gt_u32_e32 8, v104
; %bb.728:                              ;   in Loop: Header=BB409_13 Depth=1
	s_delay_alu instid0(VALU_DEP_3) | instskip(NEXT) | instid1(VALU_DEP_1)
	v_clz_i32_u32_e32 v81, v28
	v_min_u32_e32 v81, 32, v81
	s_delay_alu instid0(VALU_DEP_1) | instskip(SKIP_1) | instid1(VALU_DEP_2)
	v_subrev_nc_u32_e32 v104, 28, v81
	v_sub_nc_u32_e32 v81, 29, v81
	v_lshlrev_b64 v[104:105], v104, v[28:29]
	s_delay_alu instid0(VALU_DEP_1)
	v_and_b32_e32 v28, 7, v104
; %bb.729:                              ;   in Loop: Header=BB409_13 Depth=1
	s_or_b32 exec_lo, exec_lo, s23
	v_lshlrev_b32_e32 v95, 24, v95
	s_delay_alu instid0(VALU_DEP_2) | instskip(SKIP_1) | instid1(VALU_DEP_3)
	v_lshlrev_b32_e32 v28, 20, v28
	v_lshl_add_u32 v81, v81, 23, 0x3c000000
	v_and_b32_e32 v95, 0x80000000, v95
	s_delay_alu instid0(VALU_DEP_1)
	v_or3_b32 v28, v28, v95, v81
.LBB409_730:                            ;   in Loop: Header=BB409_13 Depth=1
	s_or_b32 exec_lo, exec_lo, s22
.LBB409_731:                            ;   in Loop: Header=BB409_13 Depth=1
	s_delay_alu instid0(SALU_CYCLE_1)
	s_or_b32 exec_lo, exec_lo, s21
.LBB409_732:                            ;   in Loop: Header=BB409_13 Depth=1
	s_delay_alu instid0(SALU_CYCLE_1) | instskip(NEXT) | instid1(VALU_DEP_1)
	s_or_b32 exec_lo, exec_lo, s20
	v_mul_f32_e32 v81, v132, v28
	s_delay_alu instid0(VALU_DEP_1) | instskip(NEXT) | instid1(VALU_DEP_1)
	v_and_b32_e32 v28, 0x7f800000, v81
	v_cmp_ne_u32_e64 s2, 0x7f800000, v28
                                        ; implicit-def: $vgpr28
	s_delay_alu instid0(VALU_DEP_1) | instskip(NEXT) | instid1(SALU_CYCLE_1)
	s_and_saveexec_b32 s20, s2
	s_xor_b32 s2, exec_lo, s20
; %bb.733:                              ;   in Loop: Header=BB409_13 Depth=1
	v_bfe_u32 v28, v81, 16, 1
	s_delay_alu instid0(VALU_DEP_1)
	v_add3_u32 v28, v81, v28, 0x7fff
                                        ; implicit-def: $vgpr81
; %bb.734:                              ;   in Loop: Header=BB409_13 Depth=1
	s_and_not1_saveexec_b32 s20, s2
; %bb.735:                              ;   in Loop: Header=BB409_13 Depth=1
	v_and_b32_e32 v28, 0xffff, v81
	v_or_b32_e32 v132, 0x10000, v81
	s_delay_alu instid0(VALU_DEP_2) | instskip(NEXT) | instid1(VALU_DEP_1)
	v_cmp_eq_u32_e64 s2, 0, v28
	v_cndmask_b32_e64 v28, v132, v81, s2
; %bb.736:                              ;   in Loop: Header=BB409_13 Depth=1
	s_or_b32 exec_lo, exec_lo, s20
	v_and_b32_e32 v147, 0xffff0000, v147
	v_and_b32_e32 v148, 0xffff0000, v148
	;; [unrolled: 1-line block ×3, first 2 shown]
	v_lshlrev_b32_e32 v95, 16, v54
	v_lshlrev_b32_e32 v104, 16, v55
	v_and_b32_e32 v54, 0xffff0000, v54
	v_and_b32_e32 v55, 0xffff0000, v55
	;; [unrolled: 1-line block ×5, first 2 shown]
	v_lshlrev_b32_e32 v93, 16, v53
	v_dual_mul_f32 v54, v54, v146 :: v_dual_and_b32 v53, 0xffff0000, v53
	v_mul_f32_e32 v146, v104, v147
	v_and_b32_e32 v144, 0xffff0000, v144
	v_mul_f32_e32 v55, v55, v148
	v_and_b32_e32 v135, 0xffff0000, v135
	v_and_b32_e32 v78, 0xffff0000, v78
	;; [unrolled: 1-line block ×4, first 2 shown]
	v_lshlrev_b32_e32 v92, 16, v52
	v_lshlrev_b32_e32 v106, 16, v49
	;; [unrolled: 1-line block ×3, first 2 shown]
	v_and_b32_e32 v52, 0xffff0000, v52
	v_dual_fmac_f32 v146, v93, v135 :: v_dual_and_b32 v49, 0xffff0000, v49
	v_and_b32_e32 v160, 0xffff0000, v160
	v_fmac_f32_e32 v55, v53, v144
	v_and_b32_e32 v151, 0xffff0000, v151
	v_dual_fmac_f32 v54, v52, v134 :: v_dual_and_b32 v89, 0xffff0000, v89
	s_delay_alu instid0(VALU_DEP_3) | instskip(NEXT) | instid1(VALU_DEP_3)
	v_dual_fmac_f32 v55, v49, v160 :: v_dual_and_b32 v74, 0xffff0000, v74
	v_dual_fmac_f32 v146, v106, v151 :: v_dual_and_b32 v73, 0xffff0000, v73
	v_lshlrev_b32_e32 v105, 16, v48
	v_lshlrev_b32_e32 v108, 16, v51
	;; [unrolled: 1-line block ×3, first 2 shown]
	v_and_b32_e32 v164, 0xffff0000, v164
	v_lshlrev_b32_e32 v140, 16, v9
	v_and_b32_e32 v48, 0xffff0000, v48
	v_and_b32_e32 v51, 0xffff0000, v51
	;; [unrolled: 1-line block ×7, first 2 shown]
	v_dual_fmac_f32 v55, v51, v164 :: v_dual_and_b32 v62, 0xffff0000, v62
	v_dual_fmac_f32 v146, v108, v163 :: v_dual_and_b32 v61, 0xffff0000, v61
	v_lshlrev_b32_e32 v107, 16, v50
	v_lshlrev_b32_e32 v110, 16, v36
	;; [unrolled: 1-line block ×3, first 2 shown]
	v_and_b32_e32 v176, 0xffff0000, v176
	v_lshlrev_b32_e32 v138, 16, v7
	v_and_b32_e32 v50, 0xffff0000, v50
	v_and_b32_e32 v36, 0xffff0000, v36
	v_dual_fmac_f32 v54, v48, v150 :: v_dual_and_b32 v7, 0xffff0000, v7
	v_and_b32_e32 v162, 0xffff0000, v162
	v_and_b32_e32 v75, 0xffff0000, v75
	s_delay_alu instid0(VALU_DEP_4) | instskip(SKIP_1) | instid1(VALU_DEP_4)
	v_dual_fmac_f32 v55, v36, v176 :: v_dual_and_b32 v58, 0xffff0000, v58
	v_lshlrev_b32_e32 v109, 16, v35
	v_dual_fmac_f32 v54, v50, v162 :: v_dual_and_b32 v35, 0xffff0000, v35
	v_and_b32_e32 v36, 0xffff0000, v19
	v_and_b32_e32 v166, 0xffff0000, v166
	;; [unrolled: 1-line block ×6, first 2 shown]
	v_lshlrev_b32_e32 v120, 16, v38
	s_delay_alu instid0(VALU_DEP_4)
	v_dual_fmac_f32 v146, v110, v167 :: v_dual_lshlrev_b32 v127, 16, v18
	v_and_b32_e32 v180, 0xffff0000, v180
	v_and_b32_e32 v38, 0xffff0000, v38
	v_fmac_f32_e32 v54, v35, v166
	v_and_b32_e32 v35, 0xffff0000, v18
	v_and_b32_e32 v179, 0xffff0000, v179
	s_delay_alu instid0(VALU_DEP_4) | instskip(SKIP_1) | instid1(VALU_DEP_3)
	v_dual_fmac_f32 v55, v38, v180 :: v_dual_and_b32 v46, 0xffff0000, v46
	v_and_b32_e32 v45, 0xffff0000, v45
	v_dual_fmac_f32 v146, v120, v179 :: v_dual_lshlrev_b32 v111, 16, v37
	v_lshlrev_b32_e32 v122, 16, v32
	v_lshlrev_b32_e32 v125, 16, v16
	v_and_b32_e32 v40, 0xffff0000, v40
	v_and_b32_e32 v37, 0xffff0000, v37
	;; [unrolled: 1-line block ×6, first 2 shown]
	s_delay_alu instid0(VALU_DEP_4)
	v_dual_fmac_f32 v55, v32, v40 :: v_dual_and_b32 v42, 0xffff0000, v42
	v_lshlrev_b32_e32 v121, 16, v31
	v_lshlrev_b32_e32 v124, 16, v34
	v_and_b32_e32 v31, 0xffff0000, v31
	v_and_b32_e32 v34, 0xffff0000, v34
	;; [unrolled: 1-line block ×3, first 2 shown]
	v_dual_fmac_f32 v54, v37, v178 :: v_dual_and_b32 v47, 0xffff0000, v47
	v_lshlrev_b32_e32 v123, 16, v33
	v_and_b32_e32 v33, 0xffff0000, v33
	v_and_b32_e32 v16, 0xffff0000, v16
	s_delay_alu instid0(VALU_DEP_4) | instskip(SKIP_2) | instid1(VALU_DEP_3)
	v_dual_fmac_f32 v54, v31, v182 :: v_dual_and_b32 v43, 0xffff0000, v43
	v_lshlrev_b32_e32 v126, 16, v17
	v_lshlrev_b32_e32 v136, 16, v19
	v_dual_fmac_f32 v54, v33, v42 :: v_dual_lshlrev_b32 v131, 16, v131
	v_and_b32_e32 v183, 0xffff0000, v183
	v_and_b32_e32 v94, 0xffff0000, v94
	;; [unrolled: 1-line block ×3, first 2 shown]
	v_xor_b32_e32 v142, 1, v103
	v_dual_fmac_f32 v54, v16, v46 :: v_dual_and_b32 v41, 0xffff0000, v41
	v_dual_fmac_f32 v146, v122, v183 :: v_dual_and_b32 v181, 0xffff0000, v181
	ds_load_b128 v[16:19], v116 offset:102
	v_fmac_f32_e32 v54, v35, v58
	v_cmp_gt_i32_e64 s2, 32, v142
	v_dual_fmac_f32 v146, v124, v43 :: v_dual_and_b32 v177, 0xffff0000, v177
	s_delay_alu instid0(VALU_DEP_3) | instskip(SKIP_1) | instid1(VALU_DEP_3)
	v_fmac_f32_e32 v54, v6, v62
	v_and_b32_e32 v6, 0xffff0000, v130
	v_dual_fmac_f32 v146, v126, v47 :: v_dual_and_b32 v165, 0xffff0000, v165
	s_delay_alu instid0(VALU_DEP_3) | instskip(NEXT) | instid1(VALU_DEP_2)
	v_fmac_f32_e32 v54, v8, v74
	v_dual_fmac_f32 v146, v136, v59 :: v_dual_and_b32 v161, 0xffff0000, v161
	s_delay_alu instid0(VALU_DEP_2) | instskip(NEXT) | instid1(VALU_DEP_2)
	v_fmac_f32_e32 v54, v6, v78
	v_dual_fmac_f32 v146, v138, v63 :: v_dual_and_b32 v149, 0xffff0000, v149
	s_delay_alu instid0(VALU_DEP_1) | instskip(NEXT) | instid1(VALU_DEP_1)
	v_dual_fmac_f32 v146, v140, v75 :: v_dual_and_b32 v145, 0xffff0000, v145
	v_fmac_f32_e32 v146, v131, v79
	s_delay_alu instid0(VALU_DEP_2) | instskip(NEXT) | instid1(VALU_DEP_1)
	v_dual_mul_f32 v145, v95, v145 :: v_dual_and_b32 v80, 0xffff0000, v80
	v_dual_fmac_f32 v145, v92, v133 :: v_dual_and_b32 v90, 0xffff0000, v90
	s_delay_alu instid0(VALU_DEP_1) | instskip(NEXT) | instid1(VALU_DEP_1)
	v_dual_fmac_f32 v145, v105, v149 :: v_dual_and_b32 v88, 0xffff0000, v88
	v_dual_fmac_f32 v145, v107, v161 :: v_dual_and_b32 v76, 0xffff0000, v76
	s_delay_alu instid0(VALU_DEP_1) | instskip(NEXT) | instid1(VALU_DEP_1)
	v_dual_fmac_f32 v145, v109, v165 :: v_dual_and_b32 v72, 0xffff0000, v72
	;; [unrolled: 3-line block ×3, first 2 shown]
	v_dual_fmac_f32 v145, v123, v41 :: v_dual_and_b32 v44, 0xffff0000, v44
	s_delay_alu instid0(VALU_DEP_1) | instskip(NEXT) | instid1(VALU_DEP_2)
	v_fmac_f32_e32 v55, v34, v44
	v_fmac_f32_e32 v145, v125, v45
	s_delay_alu instid0(VALU_DEP_2) | instskip(NEXT) | instid1(VALU_DEP_2)
	v_fmac_f32_e32 v55, v48, v56
	v_fmac_f32_e32 v145, v127, v57
	s_delay_alu instid0(VALU_DEP_2) | instskip(NEXT) | instid1(VALU_DEP_2)
	v_fmac_f32_e32 v55, v36, v60
	v_fmac_f32_e32 v145, v137, v61
	s_delay_alu instid0(VALU_DEP_2)
	v_fmac_f32_e32 v55, v7, v72
	ds_load_u16 v7, v116 offset:118
	s_waitcnt lgkmcnt(1)
	v_lshlrev_b32_e32 v8, 16, v16
	v_lshlrev_b32_e32 v6, 16, v17
	v_fmac_f32_e32 v145, v139, v73
	v_fmac_f32_e32 v55, v9, v76
	v_and_b32_e32 v9, 0xffff0000, v16
	v_lshlrev_b32_e32 v16, 16, v18
	s_delay_alu instid0(VALU_DEP_4) | instskip(NEXT) | instid1(VALU_DEP_4)
	v_dual_fmac_f32 v54, v6, v90 :: v_dual_fmac_f32 v145, v141, v77
	v_dual_fmac_f32 v55, v8, v88 :: v_dual_and_b32 v8, 0xffff0000, v17
	s_delay_alu instid0(VALU_DEP_2) | instskip(NEXT) | instid1(VALU_DEP_2)
	v_dual_fmac_f32 v145, v9, v89 :: v_dual_lshlrev_b32 v6, 16, v19
	v_dual_fmac_f32 v146, v8, v132 :: v_dual_and_b32 v9, 0xffff0000, v18
	v_and_b32_e32 v8, 0xffff0000, v19
	s_delay_alu instid0(VALU_DEP_3) | instskip(SKIP_1) | instid1(VALU_DEP_4)
	v_fmac_f32_e32 v54, v6, v81
	v_and_b32_e32 v6, 0xffff0000, v28
	v_fmac_f32_e32 v145, v9, v80
	v_fmac_f32_e32 v55, v16, v91
	s_waitcnt lgkmcnt(0)
	v_dual_fmac_f32 v146, v8, v94 :: v_dual_lshlrev_b32 v7, 16, v7
	v_cndmask_b32_e64 v9, v103, v142, s2
	v_add_f32_e32 v8, v145, v54
	s_delay_alu instid0(VALU_DEP_3) | instskip(NEXT) | instid1(VALU_DEP_2)
	v_fmac_f32_e32 v55, v7, v6
	v_dual_add_f32 v6, v8, v146 :: v_dual_lshlrev_b32 v7, 2, v9
	s_delay_alu instid0(VALU_DEP_1)
	v_add_f32_e32 v6, v55, v6
	ds_bpermute_b32 v7, v7, v6
	s_and_saveexec_b32 s20, vcc_lo
	s_cbranch_execz .LBB409_11
; %bb.737:                              ;   in Loop: Header=BB409_13 Depth=1
	v_add_nc_u32_e32 v8, v119, v117
	s_load_b32 s21, s[8:9], 0x0
	s_waitcnt lgkmcnt(0)
	v_add_f32_e32 v6, v6, v7
	s_delay_alu instid0(VALU_DEP_2) | instskip(NEXT) | instid1(VALU_DEP_1)
	v_cvt_f32_i32_e32 v8, v8
	v_mul_f32_e32 v8, v102, v8
	s_delay_alu instid0(VALU_DEP_1) | instskip(NEXT) | instid1(VALU_DEP_1)
	v_cndmask_b32_e64 v7, 0, v8, s1
	v_dual_max_f32 v8, v112, v112 :: v_dual_fmac_f32 v7, v6, v13
	v_add_nc_u32_e32 v6, v114, v117
	s_delay_alu instid0(VALU_DEP_2) | instskip(NEXT) | instid1(VALU_DEP_2)
	v_max_f32_e32 v8, v8, v7
	v_cmp_lt_i32_e64 s2, v6, v83
	v_add_nc_u32_e32 v6, s21, v118
	s_delay_alu instid0(VALU_DEP_2) | instskip(NEXT) | instid1(VALU_DEP_4)
	v_cndmask_b32_e64 v7, 0, v7, s2
	v_cndmask_b32_e64 v112, v112, v8, s2
	ds_store_b32 v6, v7
	s_branch .LBB409_11
.LBB409_738:
	s_or_b32 exec_lo, exec_lo, s19
.LBB409_739:
	s_delay_alu instid0(SALU_CYCLE_1)
	s_or_b32 exec_lo, exec_lo, s18
	v_xor_b32_e32 v6, 16, v103
	s_waitcnt lgkmcnt(0)
	v_xor_b32_e32 v7, 8, v103
	s_lshr_b32 s8, s17, 16
	v_dual_max_f32 v8, v112, v112 :: v_dual_lshlrev_b32 v19, 2, v21
	v_cmp_gt_i32_e32 vcc_lo, 32, v6
	v_cndmask_b32_e32 v6, v103, v6, vcc_lo
	v_cmp_gt_i32_e32 vcc_lo, 32, v7
	s_delay_alu instid0(VALU_DEP_2) | instskip(SKIP_3) | instid1(VALU_DEP_1)
	v_lshlrev_b32_e32 v13, 2, v6
	ds_bpermute_b32 v6, v13, v112
	s_waitcnt lgkmcnt(0)
	v_dual_cndmask_b32 v7, v103, v7 :: v_dual_max_f32 v6, v6, v6
	v_lshlrev_b32_e32 v16, 2, v7
	s_delay_alu instid0(VALU_DEP_2)
	v_max_f32_e32 v6, v8, v6
	v_xor_b32_e32 v8, 4, v103
	ds_bpermute_b32 v7, v16, v6
	v_cmp_gt_i32_e32 vcc_lo, 32, v8
	s_waitcnt lgkmcnt(0)
	v_max_f32_e32 v7, v7, v7
	s_delay_alu instid0(VALU_DEP_1) | instskip(SKIP_1) | instid1(VALU_DEP_1)
	v_max_f32_e32 v6, v6, v7
	v_cndmask_b32_e32 v8, v103, v8, vcc_lo
	v_lshlrev_b32_e32 v18, 2, v8
	v_xor_b32_e32 v8, 2, v103
	ds_bpermute_b32 v7, v18, v6
	v_cmp_gt_i32_e32 vcc_lo, 32, v8
	v_cndmask_b32_e32 v8, v103, v8, vcc_lo
	s_delay_alu instid0(VALU_DEP_1) | instskip(SKIP_2) | instid1(VALU_DEP_1)
	v_lshlrev_b32_e32 v9, 2, v8
	s_waitcnt lgkmcnt(0)
	v_max_f32_e32 v7, v7, v7
	v_dual_max_f32 v7, v6, v7 :: v_dual_and_b32 v6, 31, v82
	ds_bpermute_b32 v8, v9, v7
	v_cmp_eq_u32_e32 vcc_lo, 0, v6
	s_and_saveexec_b32 s1, vcc_lo
	s_cbranch_execz .LBB409_741
; %bb.740:
	s_waitcnt lgkmcnt(0)
	v_dual_max_f32 v8, v8, v8 :: v_dual_max_f32 v7, v7, v7
	s_delay_alu instid0(VALU_DEP_1)
	v_max_f32_e32 v7, v7, v8
	ds_store_b32 v19, v7 offset:240
.LBB409_741:
	s_or_b32 exec_lo, exec_lo, s1
	v_cmp_gt_u32_e64 s1, 4, v6
	v_dual_mov_b32 v7, 0xff7fffff :: v_dual_lshlrev_b32 v24, 2, v6
	s_waitcnt lgkmcnt(0)
	s_barrier
	buffer_gl0_inv
	s_and_saveexec_b32 s2, s1
	s_cbranch_execz .LBB409_743
; %bb.742:
	ds_load_b32 v7, v24 offset:240
.LBB409_743:
	s_or_b32 exec_lo, exec_lo, s2
	s_waitcnt lgkmcnt(0)
	ds_bpermute_b32 v8, v9, v7
	v_xor_b32_e32 v17, 1, v103
	v_max_f32_e32 v7, v7, v7
	v_subrev_nc_u32_e32 v28, s13, v23
	v_mov_b32_e32 v25, 0
	s_delay_alu instid0(VALU_DEP_4) | instskip(NEXT) | instid1(VALU_DEP_1)
	v_cmp_gt_i32_e64 s2, 32, v17
	v_cndmask_b32_e64 v17, v103, v17, s2
	s_waitcnt lgkmcnt(0)
	s_delay_alu instid0(VALU_DEP_1) | instskip(NEXT) | instid1(VALU_DEP_1)
	v_dual_max_f32 v8, v8, v8 :: v_dual_lshlrev_b32 v17, 2, v17
	v_max_f32_e32 v7, v7, v8
	ds_bpermute_b32 v8, v17, v7
	s_waitcnt lgkmcnt(0)
	v_max_f32_e32 v8, v8, v8
	s_delay_alu instid0(VALU_DEP_1) | instskip(SKIP_3) | instid1(VALU_DEP_1)
	v_max_f32_e32 v7, v7, v8
	v_lshl_add_u32 v8, v28, 4, s16
	ds_bpermute_b32 v7, v25, v7
	v_min_i32_e32 v8, v8, v83
	v_subrev_nc_u32_e32 v8, s16, v8
	s_delay_alu instid0(VALU_DEP_1) | instskip(NEXT) | instid1(VALU_DEP_1)
	v_cmp_lt_i32_e64 s2, v82, v8
	s_and_saveexec_b32 s9, s2
	s_cbranch_execz .LBB409_747
; %bb.744:
	s_getpc_b64 s[16:17]
	s_add_u32 s16, s16, llvm.amdgcn.dynlds.offset.table@rel32@lo+4
	s_addc_u32 s17, s17, llvm.amdgcn.dynlds.offset.table@rel32@hi+12
	s_ashr_i32 s7, s6, 31
	v_mov_b32_e32 v25, 0
	s_lshl_b64 s[18:19], s[6:7], 2
	v_mov_b32_e32 v29, v82
	s_add_u32 s16, s18, s16
	s_addc_u32 s17, s19, s17
	s_mov_b32 s7, 0
	s_load_b32 s3, s[16:17], 0x0
	s_waitcnt lgkmcnt(0)
	v_lshl_add_u32 v28, v82, 2, s3
	.p2align	6
.LBB409_745:                            ; =>This Inner Loop Header: Depth=1
	ds_load_b32 v31, v28
	v_add_nc_u32_e32 v29, 0x80, v29
	s_delay_alu instid0(VALU_DEP_1) | instskip(NEXT) | instid1(VALU_DEP_1)
	v_cmp_ge_i32_e64 s3, v29, v8
	s_or_b32 s7, s3, s7
	s_waitcnt lgkmcnt(0)
	v_sub_f32_e32 v31, v31, v7
	s_delay_alu instid0(VALU_DEP_1) | instskip(NEXT) | instid1(VALU_DEP_1)
	v_mul_f32_e32 v31, 0x3fb8aa3b, v31
	v_exp_f32_e32 v31, v31
	ds_store_b32 v28, v31
	v_dual_add_f32 v25, v25, v31 :: v_dual_add_nc_u32 v28, 0x200, v28
	s_and_not1_b32 exec_lo, exec_lo, s7
	s_cbranch_execnz .LBB409_745
; %bb.746:
	s_or_b32 exec_lo, exec_lo, s7
.LBB409_747:
	s_delay_alu instid0(SALU_CYCLE_1)
	s_or_b32 exec_lo, exec_lo, s9
	ds_bpermute_b32 v13, v13, v25
	s_waitcnt lgkmcnt(0)
	v_add_f32_e32 v13, v25, v13
	ds_bpermute_b32 v16, v16, v13
	s_waitcnt lgkmcnt(0)
	v_add_f32_e32 v13, v13, v16
	;; [unrolled: 3-line block ×5, first 2 shown]
	s_and_saveexec_b32 s3, vcc_lo
	s_cbranch_execz .LBB409_749
; %bb.748:
	ds_store_b32 v19, v13 offset:256
.LBB409_749:
	s_or_b32 exec_lo, exec_lo, s3
	s_waitcnt lgkmcnt(0)
	s_barrier
	buffer_gl0_inv
	s_and_saveexec_b32 s3, s1
	s_cbranch_execz .LBB409_751
; %bb.750:
	ds_load_b32 v13, v24 offset:256
.LBB409_751:
	s_or_b32 exec_lo, exec_lo, s3
	s_waitcnt lgkmcnt(0)
	ds_bpermute_b32 v9, v9, v13
	s_waitcnt lgkmcnt(0)
	v_add_f32_e32 v9, v13, v9
	ds_bpermute_b32 v13, v17, v9
	s_waitcnt lgkmcnt(0)
	v_add_f32_e32 v9, v9, v13
	v_mov_b32_e32 v13, 0
	ds_bpermute_b32 v9, v13, v9
	s_and_saveexec_b32 s1, s2
	s_cbranch_execz .LBB409_754
; %bb.752:
	s_waitcnt lgkmcnt(0)
	v_add_f32_e32 v16, 0x358637bd, v9
	s_getpc_b64 s[2:3]
	s_add_u32 s2, s2, llvm.amdgcn.dynlds.offset.table@rel32@lo+4
	s_addc_u32 s3, s3, llvm.amdgcn.dynlds.offset.table@rel32@hi+12
	s_ashr_i32 s7, s6, 31
	s_delay_alu instid0(SALU_CYCLE_1) | instskip(SKIP_3) | instid1(VALU_DEP_2)
	s_lshl_b64 s[16:17], s[6:7], 2
	v_div_scale_f32 v13, null, v16, v16, 1.0
	v_div_scale_f32 v24, vcc_lo, 1.0, v16, 1.0
	s_add_u32 s2, s16, s2
	v_rcp_f32_e32 v18, v13
	s_addc_u32 s3, s17, s3
	s_load_b32 s2, s[2:3], 0x0
	s_waitcnt_depctr 0xfff
	v_fma_f32 v19, -v13, v18, 1.0
	s_delay_alu instid0(VALU_DEP_1) | instskip(NEXT) | instid1(VALU_DEP_1)
	v_fmac_f32_e32 v18, v19, v18
	v_mul_f32_e32 v19, v24, v18
	s_delay_alu instid0(VALU_DEP_1) | instskip(NEXT) | instid1(VALU_DEP_1)
	v_fma_f32 v25, -v13, v19, v24
	v_fmac_f32_e32 v19, v25, v18
	s_delay_alu instid0(VALU_DEP_1) | instskip(NEXT) | instid1(VALU_DEP_1)
	v_fma_f32 v13, -v13, v19, v24
	v_div_fmas_f32 v18, v13, v18, v19
	s_waitcnt lgkmcnt(0)
	v_lshl_add_u32 v13, v82, 2, s2
	s_mov_b32 s2, 0
	s_delay_alu instid0(VALU_DEP_2)
	v_div_fixup_f32 v16, v18, v16, 1.0
	v_mov_b32_e32 v18, v82
.LBB409_753:                            ; =>This Inner Loop Header: Depth=1
	ds_load_b32 v19, v13
	s_waitcnt lgkmcnt(0)
	v_dual_mul_f32 v19, v16, v19 :: v_dual_add_nc_u32 v18, 0x80, v18
	s_delay_alu instid0(VALU_DEP_1) | instskip(SKIP_3) | instid1(SALU_CYCLE_1)
	v_cmp_ge_i32_e32 vcc_lo, v18, v8
	ds_store_b32 v13, v19
	v_add_nc_u32_e32 v13, 0x200, v13
	s_or_b32 s2, vcc_lo, s2
	s_and_not1_b32 exec_lo, exec_lo, s2
	s_cbranch_execnz .LBB409_753
.LBB409_754:
	s_or_b32 exec_lo, exec_lo, s1
	v_cmp_ne_u16_e64 s1, s8, 0
	s_waitcnt lgkmcnt(0)
	s_barrier
	buffer_gl0_inv
	s_cmp_lg_u32 s1, 0
	s_addc_u32 s5, s5, 0
	s_delay_alu instid0(SALU_CYCLE_1) | instskip(NEXT) | instid1(SALU_CYCLE_1)
	s_mul_i32 s1, s5, s10
	s_mul_i32 s2, s1, s15
	s_mov_b32 s1, exec_lo
	v_cmpx_eq_u32_e32 0, v82
	s_cbranch_execz .LBB409_756
; %bb.755:
	s_mul_i32 s8, s5, s12
	s_ashr_i32 s15, s14, 31
	s_ashr_i32 s9, s8, 31
	s_ashr_i32 s3, s2, 31
	s_lshl_b64 s[8:9], s[8:9], 2
	s_lshl_b64 s[12:13], s[14:15], 2
	;; [unrolled: 1-line block ×3, first 2 shown]
	s_add_u32 s3, s12, s8
	s_addc_u32 s7, s13, s9
	s_add_u32 s3, s3, s16
	s_addc_u32 s7, s7, s17
	v_add_co_u32 v2, vcc_lo, s3, v2
	v_add_co_ci_u32_e32 v3, vcc_lo, s7, v3, vcc_lo
	v_add_co_u32 v0, vcc_lo, s3, v0
	v_add_co_ci_u32_e32 v1, vcc_lo, s7, v1, vcc_lo
	flat_store_b32 v[2:3], v7
	flat_store_b32 v[0:1], v9
.LBB409_756:
	s_or_b32 exec_lo, exec_lo, s1
	s_getpc_b64 s[8:9]
	s_add_u32 s8, s8, llvm.amdgcn.dynlds.offset.table@rel32@lo+4
	s_addc_u32 s9, s9, llvm.amdgcn.dynlds.offset.table@rel32@hi+12
	s_ashr_i32 s7, s6, 31
	v_lshrrev_b32_e32 v16, 1, v6
	s_lshl_b64 s[6:7], s[6:7], 2
	s_delay_alu instid0(SALU_CYCLE_1) | instskip(SKIP_3) | instid1(SALU_CYCLE_1)
	s_add_u32 s6, s6, s8
	s_addc_u32 s7, s7, s9
                                        ; implicit-def: $sgpr8
	s_load_b32 s1, s[6:7], 0x0
	s_and_saveexec_b32 s3, s0
	s_xor_b32 s0, exec_lo, s3
; %bb.757:
	v_lshrrev_b32_e32 v16, 1, v6
	s_mov_b32 s8, 0
                                        ; implicit-def: $vgpr83
                                        ; implicit-def: $vgpr87
                                        ; implicit-def: $vgpr85
                                        ; implicit-def: $vgpr20
                                        ; implicit-def: $vgpr12
                                        ; implicit-def: $vgpr23
                                        ; implicit-def: $vgpr64
                                        ; implicit-def: $vgpr10
                                        ; implicit-def: $vgpr11
                                        ; implicit-def: $vgpr14
                                        ; implicit-def: $vgpr15
                                        ; implicit-def: $vgpr22
                                        ; implicit-def: $vgpr30
                                        ; implicit-def: $vgpr86
                                        ; implicit-def: $vgpr26_vgpr27
                                        ; implicit-def: $vgpr97
                                        ; implicit-def: $vgpr99
                                        ; implicit-def: $vgpr101
                                        ; implicit-def: $vgpr100
                                        ; implicit-def: $vgpr66_vgpr67
                                        ; implicit-def: $vgpr96
                                        ; implicit-def: $vgpr98
; %bb.758:
	s_or_saveexec_b32 s3, s0
	v_dual_mov_b32 v32, s8 :: v_dual_mov_b32 v19, s8
	s_waitcnt lgkmcnt(0)
	v_dual_mov_b32 v0, s1 :: v_dual_mov_b32 v25, s8
	v_dual_mov_b32 v18, s8 :: v_dual_mov_b32 v29, s8
	;; [unrolled: 1-line block ×3, first 2 shown]
	v_mov_b32_e32 v28, s8
	s_xor_b32 exec_lo, exec_lo, s3
	s_cbranch_execz .LBB409_1838
; %bb.759:
	v_max_i32_e32 v30, v30, v100
	v_or_b32_e32 v3, 0x70, v16
	v_dual_mov_b32 v31, 0 :: v_dual_lshlrev_b32 v6, 5, v84
	v_add_co_u32 v10, vcc_lo, v10, v99
	s_delay_alu instid0(VALU_DEP_4) | instskip(SKIP_3) | instid1(VALU_DEP_4)
	v_cvt_f32_u32_e32 v0, v30
	v_sub_nc_u32_e32 v7, 0, v30
	v_add_co_ci_u32_e32 v11, vcc_lo, v11, v101, vcc_lo
	v_cmp_gt_u32_e32 vcc_lo, 0x78, v3
	v_rcp_iflag_f32_e32 v0, v0
	v_and_b32_e32 v33, 8, v98
	v_dual_mov_b32 v13, 0 :: v_dual_add_nc_u32 v34, -1, v12
	v_dual_mov_b32 v29, 0 :: v_dual_mov_b32 v28, 0
	v_dual_mov_b32 v24, 0 :: v_dual_mov_b32 v25, 0
	;; [unrolled: 1-line block ×3, first 2 shown]
	s_waitcnt_depctr 0xfff
	v_mul_f32_e32 v2, 0x4f7ffffe, v0
	v_lshlrev_b64 v[0:1], 2, v[64:65]
	v_lshl_or_b32 v36, v3, 4, v33
	v_lshl_or_b32 v3, v21, 6, v6
	;; [unrolled: 1-line block ×3, first 2 shown]
	v_cvt_u32_f32_e32 v2, v2
	v_mov_b32_e32 v32, 0
	v_add_co_u32 v0, s0, v66, v0
	s_delay_alu instid0(VALU_DEP_1) | instskip(NEXT) | instid1(VALU_DEP_4)
	v_add_co_ci_u32_e64 v1, s0, v67, v1, s0
	v_mul_lo_u32 v7, v7, v2
	s_delay_alu instid0(VALU_DEP_3) | instskip(SKIP_1) | instid1(VALU_DEP_4)
	v_add_co_u32 v14, s0, v14, v0
	v_add_nc_u32_e32 v37, s1, v3
	v_add_co_ci_u32_e64 v15, s0, v15, v1, s0
	s_mov_b32 s8, -1
	s_mov_b32 s9, 0xffffff
	s_delay_alu instid0(VALU_DEP_4) | instskip(SKIP_1) | instid1(VALU_DEP_1)
	v_mul_hi_u32 v6, v2, v7
	s_mov_b32 s10, 0
	v_add_nc_u32_e32 v38, v2, v6
	s_branch .LBB409_763
.LBB409_760:                            ;   in Loop: Header=BB409_763 Depth=1
	s_or_b32 exec_lo, exec_lo, s1
	v_and_b32_e32 v12, 0xffff0000, v12
	v_and_b32_e32 v2, 0xffff0000, v2
	;; [unrolled: 1-line block ×5, first 2 shown]
	s_delay_alu instid0(VALU_DEP_4) | instskip(NEXT) | instid1(VALU_DEP_1)
	v_dual_add_f32 v2, v2, v12 :: v_dual_and_b32 v67, 0xffff0000, v67
	v_dual_add_f32 v3, v67, v3 :: v_dual_and_b32 v66, 0xffff0000, v66
	s_delay_alu instid0(VALU_DEP_1) | instskip(NEXT) | instid1(VALU_DEP_1)
	v_add_f32_e32 v12, v55, v66
	v_dual_add_f32 v2, v2, v12 :: v_dual_and_b32 v1, 0xffff0000, v1
	s_delay_alu instid0(VALU_DEP_1) | instskip(NEXT) | instid1(VALU_DEP_2)
	v_add_f32_e32 v2, v2, v3
	v_add_f32_e32 v0, v1, v0
	s_delay_alu instid0(VALU_DEP_1) | instskip(NEXT) | instid1(VALU_DEP_1)
	v_add_f32_e32 v0, v2, v0
	v_add_f32_e32 v32, v32, v0
.LBB409_761:                            ;   in Loop: Header=BB409_763 Depth=1
	s_or_b32 exec_lo, exec_lo, s13
	v_and_b32_e32 v3, 0xffff0000, v48
	v_and_b32_e32 v12, 0xffff0000, v50
	;; [unrolled: 1-line block ×7, first 2 shown]
	s_delay_alu instid0(VALU_DEP_4) | instskip(NEXT) | instid1(VALU_DEP_4)
	v_dual_add_f32 v2, v3, v2 :: v_dual_and_b32 v9, 0xffff0000, v9
	v_dual_add_f32 v1, v12, v1 :: v_dual_and_b32 v48, 0xffff0000, v52
	v_and_b32_e32 v12, 0xffff0000, v99
	v_and_b32_e32 v52, 0xffff0000, v100
	;; [unrolled: 1-line block ×3, first 2 shown]
	v_add_f32_e32 v6, v6, v7
	v_add_f32_e32 v1, v2, v1
	v_and_b32_e32 v51, 0xffff0000, v98
	v_and_b32_e32 v3, 0xffff0000, v101
	;; [unrolled: 1-line block ×4, first 2 shown]
	s_delay_alu instid0(VALU_DEP_4) | instskip(NEXT) | instid1(VALU_DEP_4)
	v_dual_add_f32 v12, v51, v12 :: v_dual_and_b32 v55, 0xffff0000, v167
	v_dual_add_f32 v3, v52, v3 :: v_dual_and_b32 v0, 0xffff0000, v53
	v_and_b32_e32 v49, 0xffff0000, v54
	v_add_f32_e32 v7, v66, v65
	v_and_b32_e32 v53, 0xffff0000, v148
	s_delay_alu instid0(VALU_DEP_4) | instskip(SKIP_3) | instid1(VALU_DEP_4)
	v_add_f32_e32 v0, v48, v0
	v_dual_add_f32 v3, v12, v3 :: v_dual_and_b32 v48, 0xffff0000, v102
	v_and_b32_e32 v54, 0xffff0000, v144
	v_add_f32_e32 v8, v8, v9
	v_add_f32_e32 v0, v1, v0
	;; [unrolled: 1-line block ×3, first 2 shown]
	v_and_b32_e32 v49, 0xffff0000, v112
	v_and_b32_e32 v50, 0xffff0000, v132
	;; [unrolled: 1-line block ×3, first 2 shown]
	v_add_f32_e32 v6, v6, v7
	v_add_f32_e32 v0, v0, v1
	s_delay_alu instid0(VALU_DEP_1) | instskip(NEXT) | instid1(VALU_DEP_1)
	v_dual_add_f32 v31, v31, v0 :: v_dual_and_b32 v2, 0xffff0000, v103
	v_add_f32_e32 v2, v48, v2
	s_delay_alu instid0(VALU_DEP_1) | instskip(SKIP_2) | instid1(VALU_DEP_3)
	v_dual_add_f32 v1, v3, v2 :: v_dual_add_f32 v2, v49, v12
	v_and_b32_e32 v3, 0xffff0000, v117
	v_and_b32_e32 v12, 0xffff0000, v115
	v_dual_add_f32 v0, v1, v2 :: v_dual_and_b32 v49, 0xffff0000, v116
	v_and_b32_e32 v1, 0xffff0000, v119
	s_delay_alu instid0(VALU_DEP_2) | instskip(NEXT) | instid1(VALU_DEP_3)
	v_dual_add_f32 v3, v49, v3 :: v_dual_and_b32 v48, 0xffff0000, v114
	v_add_f32_e32 v29, v29, v0
	s_delay_alu instid0(VALU_DEP_2) | instskip(SKIP_1) | instid1(VALU_DEP_2)
	v_add_f32_e32 v2, v48, v12
	v_and_b32_e32 v12, 0xffff0000, v118
	v_dual_add_f32 v2, v2, v3 :: v_dual_and_b32 v3, 0xffff0000, v133
	s_delay_alu instid0(VALU_DEP_2) | instskip(SKIP_1) | instid1(VALU_DEP_3)
	v_dual_add_f32 v1, v12, v1 :: v_dual_and_b32 v12, 0xffff0000, v131
	v_and_b32_e32 v51, 0xffff0000, v134
	v_add_f32_e32 v3, v50, v3
	s_delay_alu instid0(VALU_DEP_3) | instskip(SKIP_1) | instid1(VALU_DEP_2)
	v_dual_add_f32 v1, v2, v1 :: v_dual_and_b32 v2, 0xffff0000, v135
	v_and_b32_e32 v50, 0xffff0000, v147
	v_dual_add_f32 v2, v51, v2 :: v_dual_and_b32 v51, 0xffff0000, v145
	v_and_b32_e32 v48, 0xffff0000, v129
	v_and_b32_e32 v49, 0xffff0000, v130
	s_delay_alu instid0(VALU_DEP_1) | instskip(NEXT) | instid1(VALU_DEP_1)
	v_add_f32_e32 v12, v49, v12
	v_dual_add_f32 v3, v12, v3 :: v_dual_and_b32 v0, 0xffff0000, v128
	v_and_b32_e32 v12, 0xffff0000, v151
	s_delay_alu instid0(VALU_DEP_2) | instskip(SKIP_4) | instid1(VALU_DEP_1)
	v_dual_add_f32 v2, v3, v2 :: v_dual_add_f32 v3, v54, v51
	v_and_b32_e32 v51, 0xffff0000, v164
	v_and_b32_e32 v54, 0xffff0000, v166
	;; [unrolled: 1-line block ×3, first 2 shown]
	v_dual_add_f32 v0, v0, v48 :: v_dual_and_b32 v49, 0xffff0000, v149
	v_dual_add_f32 v50, v52, v50 :: v_dual_add_f32 v49, v53, v49
	v_and_b32_e32 v52, 0xffff0000, v150
	s_delay_alu instid0(VALU_DEP_3) | instskip(SKIP_1) | instid1(VALU_DEP_4)
	v_dual_add_f32 v0, v1, v0 :: v_dual_and_b32 v53, 0xffff0000, v162
	v_add_f32_e32 v1, v2, v3
	v_dual_add_f32 v48, v50, v49 :: v_dual_and_b32 v49, 0xffff0000, v160
	s_delay_alu instid0(VALU_DEP_4) | instskip(SKIP_4) | instid1(VALU_DEP_4)
	v_add_f32_e32 v12, v52, v12
	v_and_b32_e32 v50, 0xffff0000, v161
	v_and_b32_e32 v52, 0xffff0000, v163
	v_add_f32_e32 v28, v28, v0
	v_add_f32_e32 v24, v24, v1
	v_dual_add_f32 v12, v48, v12 :: v_dual_add_f32 v49, v49, v50
	s_delay_alu instid0(VALU_DEP_4) | instskip(NEXT) | instid1(VALU_DEP_2)
	v_dual_add_f32 v9, v53, v52 :: v_dual_and_b32 v52, 0xffff0000, v179
	v_add_f32_e32 v2, v12, v49
	v_and_b32_e32 v48, 0xffff0000, v165
	s_delay_alu instid0(VALU_DEP_2) | instskip(NEXT) | instid1(VALU_DEP_2)
	v_dual_add_f32 v8, v8, v9 :: v_dual_add_f32 v25, v25, v2
	v_add_f32_e32 v9, v51, v48
	v_and_b32_e32 v53, 0xffff0000, v178
	v_and_b32_e32 v48, 0xffff0000, v180
	s_delay_alu instid0(VALU_DEP_2) | instskip(SKIP_2) | instid1(VALU_DEP_3)
	v_dual_add_f32 v8, v8, v9 :: v_dual_add_f32 v7, v53, v52
	v_and_b32_e32 v51, 0xffff0000, v181
	v_add_f32_e32 v9, v54, v55
	v_add_f32_e32 v6, v6, v7
	s_delay_alu instid0(VALU_DEP_3) | instskip(NEXT) | instid1(VALU_DEP_1)
	v_add_f32_e32 v7, v48, v51
	v_dual_add_f32 v3, v8, v9 :: v_dual_add_f32 v6, v6, v7
	s_delay_alu instid0(VALU_DEP_1)
	v_dual_add_f32 v19, v19, v3 :: v_dual_add_f32 v18, v18, v6
.LBB409_762:                            ;   in Loop: Header=BB409_763 Depth=1
	s_or_b32 exec_lo, exec_lo, s12
	v_add_nc_u32_e32 v64, 4, v64
	v_add_co_u32 v14, s1, v14, 16
	s_delay_alu instid0(VALU_DEP_1) | instskip(NEXT) | instid1(VALU_DEP_3)
	v_add_co_ci_u32_e64 v15, s1, 0, v15, s1
	v_cmp_ge_i32_e64 s0, v64, v23
	v_add_nc_u32_e32 v96, 64, v96
	v_add_nc_u32_e32 v37, 0x100, v37
	s_delay_alu instid0(VALU_DEP_3) | instskip(NEXT) | instid1(SALU_CYCLE_1)
	s_or_b32 s10, s0, s10
	s_and_not1_b32 exec_lo, exec_lo, s10
	s_cbranch_execz .LBB409_1837
.LBB409_763:                            ; =>This Inner Loop Header: Depth=1
	v_sub_nc_u32_e32 v0, 0, v96
	s_delay_alu instid0(VALU_DEP_1) | instskip(NEXT) | instid1(VALU_DEP_1)
	v_max_i32_e32 v0, v96, v0
	v_mul_hi_u32 v1, v0, v86
	s_delay_alu instid0(VALU_DEP_1) | instskip(NEXT) | instid1(VALU_DEP_1)
	v_mul_lo_u32 v2, v1, v85
	v_sub_nc_u32_e32 v0, v0, v2
	v_add_nc_u32_e32 v2, 1, v1
	s_delay_alu instid0(VALU_DEP_2) | instskip(SKIP_1) | instid1(VALU_DEP_1)
	v_sub_nc_u32_e32 v3, v0, v85
	v_cmp_ge_u32_e64 s0, v0, v85
	v_cndmask_b32_e64 v1, v1, v2, s0
	s_delay_alu instid0(VALU_DEP_3) | instskip(SKIP_1) | instid1(VALU_DEP_3)
	v_cndmask_b32_e64 v0, v0, v3, s0
	v_ashrrev_i32_e32 v2, 31, v96
	v_add_nc_u32_e32 v3, 1, v1
	s_delay_alu instid0(VALU_DEP_3) | instskip(NEXT) | instid1(VALU_DEP_3)
	v_cmp_ge_u32_e64 s0, v0, v85
	v_xor_b32_e32 v2, v2, v87
	s_delay_alu instid0(VALU_DEP_2) | instskip(NEXT) | instid1(VALU_DEP_1)
	v_cndmask_b32_e64 v0, v1, v3, s0
	v_xor_b32_e32 v0, v0, v2
	s_delay_alu instid0(VALU_DEP_1) | instskip(NEXT) | instid1(VALU_DEP_1)
	v_sub_nc_u32_e32 v0, v0, v2
	v_add_nc_u32_e32 v1, v0, v20
	v_cmp_gt_i32_e64 s1, v0, v97
	s_delay_alu instid0(VALU_DEP_2) | instskip(NEXT) | instid1(VALU_DEP_1)
	v_sub_nc_u32_e32 v2, 0, v1
	v_max_i32_e32 v2, v1, v2
	v_ashrrev_i32_e32 v1, 31, v1
	s_delay_alu instid0(VALU_DEP_2) | instskip(NEXT) | instid1(VALU_DEP_1)
	v_mul_hi_u32 v3, v2, v38
	v_mul_lo_u32 v3, v3, v30
	s_delay_alu instid0(VALU_DEP_1) | instskip(NEXT) | instid1(VALU_DEP_1)
	v_sub_nc_u32_e32 v2, v2, v3
	v_sub_nc_u32_e32 v3, v2, v30
	v_cmp_ge_u32_e64 s0, v2, v30
	s_delay_alu instid0(VALU_DEP_1) | instskip(NEXT) | instid1(VALU_DEP_1)
	v_cndmask_b32_e64 v2, v2, v3, s0
	v_sub_nc_u32_e32 v3, v2, v30
	v_cmp_ge_u32_e64 s0, v2, v30
	s_delay_alu instid0(VALU_DEP_1) | instskip(NEXT) | instid1(VALU_DEP_1)
	v_cndmask_b32_e64 v2, v2, v3, s0
	v_xor_b32_e32 v2, v2, v1
	s_delay_alu instid0(VALU_DEP_1) | instskip(NEXT) | instid1(VALU_DEP_1)
	v_sub_nc_u32_e32 v1, v2, v1
	v_cmp_eq_u32_e64 s0, 0, v1
	s_delay_alu instid0(VALU_DEP_1) | instskip(NEXT) | instid1(SALU_CYCLE_1)
	s_or_b32 s0, s0, s1
	s_and_saveexec_b32 s12, s0
	s_cbranch_execz .LBB409_762
; %bb.764:                              ;   in Loop: Header=BB409_763 Depth=1
	flat_load_b32 v12, v[14:15]
	ds_load_2addr_b64 v[6:9], v37 offset1:1
	ds_load_2addr_b64 v[0:3], v37 offset0:2 offset1:3
	s_waitcnt lgkmcnt(1)
	v_and_b32_e32 v48, 0x7f800000, v6
	s_delay_alu instid0(VALU_DEP_1) | instskip(NEXT) | instid1(VALU_DEP_1)
	v_cmp_ne_u32_e64 s0, 0x7f800000, v48
                                        ; implicit-def: $vgpr48
	s_and_saveexec_b32 s1, s0
	s_delay_alu instid0(SALU_CYCLE_1)
	s_xor_b32 s0, exec_lo, s1
; %bb.765:                              ;   in Loop: Header=BB409_763 Depth=1
	v_bfe_u32 v48, v6, 16, 1
	s_delay_alu instid0(VALU_DEP_1)
	v_add3_u32 v48, v6, v48, 0x7fff
; %bb.766:                              ;   in Loop: Header=BB409_763 Depth=1
	s_and_not1_saveexec_b32 s1, s0
; %bb.767:                              ;   in Loop: Header=BB409_763 Depth=1
	v_and_b32_e32 v48, 0xffff, v6
	v_or_b32_e32 v49, 0x10000, v6
	s_delay_alu instid0(VALU_DEP_2) | instskip(NEXT) | instid1(VALU_DEP_1)
	v_cmp_eq_u32_e64 s0, 0, v48
	v_cndmask_b32_e64 v48, v49, v6, s0
; %bb.768:                              ;   in Loop: Header=BB409_763 Depth=1
	s_or_b32 exec_lo, exec_lo, s1
	v_and_b32_e32 v6, 0x7f800000, v7
                                        ; implicit-def: $vgpr49
	s_delay_alu instid0(VALU_DEP_1) | instskip(NEXT) | instid1(VALU_DEP_1)
	v_cmp_ne_u32_e64 s0, 0x7f800000, v6
	s_and_saveexec_b32 s1, s0
	s_delay_alu instid0(SALU_CYCLE_1)
	s_xor_b32 s0, exec_lo, s1
; %bb.769:                              ;   in Loop: Header=BB409_763 Depth=1
	v_bfe_u32 v6, v7, 16, 1
	s_delay_alu instid0(VALU_DEP_1)
	v_add3_u32 v49, v7, v6, 0x7fff
; %bb.770:                              ;   in Loop: Header=BB409_763 Depth=1
	s_and_not1_saveexec_b32 s1, s0
; %bb.771:                              ;   in Loop: Header=BB409_763 Depth=1
	v_and_b32_e32 v6, 0xffff, v7
	v_or_b32_e32 v49, 0x10000, v7
	s_delay_alu instid0(VALU_DEP_2) | instskip(NEXT) | instid1(VALU_DEP_1)
	v_cmp_eq_u32_e64 s0, 0, v6
	v_cndmask_b32_e64 v49, v49, v7, s0
; %bb.772:                              ;   in Loop: Header=BB409_763 Depth=1
	s_or_b32 exec_lo, exec_lo, s1
	v_and_b32_e32 v6, 0x7f800000, v8
                                        ; implicit-def: $vgpr50
	s_delay_alu instid0(VALU_DEP_1) | instskip(NEXT) | instid1(VALU_DEP_1)
	v_cmp_ne_u32_e64 s0, 0x7f800000, v6
	s_and_saveexec_b32 s1, s0
	s_delay_alu instid0(SALU_CYCLE_1)
	s_xor_b32 s0, exec_lo, s1
; %bb.773:                              ;   in Loop: Header=BB409_763 Depth=1
	v_bfe_u32 v6, v8, 16, 1
	s_delay_alu instid0(VALU_DEP_1)
	v_add3_u32 v50, v8, v6, 0x7fff
; %bb.774:                              ;   in Loop: Header=BB409_763 Depth=1
	s_and_not1_saveexec_b32 s1, s0
; %bb.775:                              ;   in Loop: Header=BB409_763 Depth=1
	v_and_b32_e32 v6, 0xffff, v8
	v_or_b32_e32 v7, 0x10000, v8
	s_delay_alu instid0(VALU_DEP_2) | instskip(NEXT) | instid1(VALU_DEP_1)
	v_cmp_eq_u32_e64 s0, 0, v6
	v_cndmask_b32_e64 v50, v7, v8, s0
; %bb.776:                              ;   in Loop: Header=BB409_763 Depth=1
	s_or_b32 exec_lo, exec_lo, s1
	v_and_b32_e32 v6, 0x7f800000, v9
                                        ; implicit-def: $vgpr51
	s_delay_alu instid0(VALU_DEP_1) | instskip(NEXT) | instid1(VALU_DEP_1)
	v_cmp_ne_u32_e64 s0, 0x7f800000, v6
	s_and_saveexec_b32 s1, s0
	s_delay_alu instid0(SALU_CYCLE_1)
	s_xor_b32 s0, exec_lo, s1
; %bb.777:                              ;   in Loop: Header=BB409_763 Depth=1
	v_bfe_u32 v6, v9, 16, 1
	s_delay_alu instid0(VALU_DEP_1)
	v_add3_u32 v51, v9, v6, 0x7fff
                                        ; implicit-def: $vgpr6_vgpr7_vgpr8_vgpr9
; %bb.778:                              ;   in Loop: Header=BB409_763 Depth=1
	s_and_not1_saveexec_b32 s1, s0
; %bb.779:                              ;   in Loop: Header=BB409_763 Depth=1
	v_and_b32_e32 v6, 0xffff, v9
	v_or_b32_e32 v7, 0x10000, v9
	s_delay_alu instid0(VALU_DEP_2) | instskip(NEXT) | instid1(VALU_DEP_1)
	v_cmp_eq_u32_e64 s0, 0, v6
	v_cndmask_b32_e64 v51, v7, v9, s0
; %bb.780:                              ;   in Loop: Header=BB409_763 Depth=1
	s_or_b32 exec_lo, exec_lo, s1
	s_waitcnt lgkmcnt(0)
	v_and_b32_e32 v6, 0x7f800000, v0
                                        ; implicit-def: $vgpr52
	s_delay_alu instid0(VALU_DEP_1) | instskip(NEXT) | instid1(VALU_DEP_1)
	v_cmp_ne_u32_e64 s0, 0x7f800000, v6
	s_and_saveexec_b32 s1, s0
	s_delay_alu instid0(SALU_CYCLE_1)
	s_xor_b32 s0, exec_lo, s1
; %bb.781:                              ;   in Loop: Header=BB409_763 Depth=1
	v_bfe_u32 v6, v0, 16, 1
	s_delay_alu instid0(VALU_DEP_1)
	v_add3_u32 v52, v0, v6, 0x7fff
; %bb.782:                              ;   in Loop: Header=BB409_763 Depth=1
	s_and_not1_saveexec_b32 s1, s0
; %bb.783:                              ;   in Loop: Header=BB409_763 Depth=1
	v_and_b32_e32 v6, 0xffff, v0
	v_or_b32_e32 v7, 0x10000, v0
	s_delay_alu instid0(VALU_DEP_2) | instskip(NEXT) | instid1(VALU_DEP_1)
	v_cmp_eq_u32_e64 s0, 0, v6
	v_cndmask_b32_e64 v52, v7, v0, s0
; %bb.784:                              ;   in Loop: Header=BB409_763 Depth=1
	s_or_b32 exec_lo, exec_lo, s1
	v_and_b32_e32 v0, 0x7f800000, v1
                                        ; implicit-def: $vgpr53
	s_delay_alu instid0(VALU_DEP_1) | instskip(NEXT) | instid1(VALU_DEP_1)
	v_cmp_ne_u32_e64 s0, 0x7f800000, v0
	s_and_saveexec_b32 s1, s0
	s_delay_alu instid0(SALU_CYCLE_1)
	s_xor_b32 s0, exec_lo, s1
; %bb.785:                              ;   in Loop: Header=BB409_763 Depth=1
	v_bfe_u32 v0, v1, 16, 1
	s_delay_alu instid0(VALU_DEP_1)
	v_add3_u32 v53, v1, v0, 0x7fff
; %bb.786:                              ;   in Loop: Header=BB409_763 Depth=1
	s_and_not1_saveexec_b32 s1, s0
; %bb.787:                              ;   in Loop: Header=BB409_763 Depth=1
	v_and_b32_e32 v0, 0xffff, v1
	v_or_b32_e32 v6, 0x10000, v1
	s_delay_alu instid0(VALU_DEP_2) | instskip(NEXT) | instid1(VALU_DEP_1)
	v_cmp_eq_u32_e64 s0, 0, v0
	v_cndmask_b32_e64 v53, v6, v1, s0
; %bb.788:                              ;   in Loop: Header=BB409_763 Depth=1
	s_or_b32 exec_lo, exec_lo, s1
	v_and_b32_e32 v0, 0x7f800000, v2
                                        ; implicit-def: $vgpr54
	s_delay_alu instid0(VALU_DEP_1) | instskip(NEXT) | instid1(VALU_DEP_1)
	v_cmp_ne_u32_e64 s0, 0x7f800000, v0
	s_and_saveexec_b32 s1, s0
	s_delay_alu instid0(SALU_CYCLE_1)
	s_xor_b32 s0, exec_lo, s1
; %bb.789:                              ;   in Loop: Header=BB409_763 Depth=1
	v_bfe_u32 v0, v2, 16, 1
	s_delay_alu instid0(VALU_DEP_1)
	v_add3_u32 v54, v2, v0, 0x7fff
; %bb.790:                              ;   in Loop: Header=BB409_763 Depth=1
	s_and_not1_saveexec_b32 s1, s0
; %bb.791:                              ;   in Loop: Header=BB409_763 Depth=1
	v_and_b32_e32 v0, 0xffff, v2
	v_or_b32_e32 v1, 0x10000, v2
	s_delay_alu instid0(VALU_DEP_2) | instskip(NEXT) | instid1(VALU_DEP_1)
	v_cmp_eq_u32_e64 s0, 0, v0
	v_cndmask_b32_e64 v54, v1, v2, s0
; %bb.792:                              ;   in Loop: Header=BB409_763 Depth=1
	s_or_b32 exec_lo, exec_lo, s1
	v_and_b32_e32 v0, 0x7f800000, v3
                                        ; implicit-def: $vgpr65
	s_delay_alu instid0(VALU_DEP_1) | instskip(NEXT) | instid1(VALU_DEP_1)
	v_cmp_ne_u32_e64 s0, 0x7f800000, v0
	s_and_saveexec_b32 s1, s0
	s_delay_alu instid0(SALU_CYCLE_1)
	s_xor_b32 s0, exec_lo, s1
; %bb.793:                              ;   in Loop: Header=BB409_763 Depth=1
	v_bfe_u32 v0, v3, 16, 1
	s_delay_alu instid0(VALU_DEP_1)
	v_add3_u32 v65, v3, v0, 0x7fff
                                        ; implicit-def: $vgpr0_vgpr1_vgpr2_vgpr3
; %bb.794:                              ;   in Loop: Header=BB409_763 Depth=1
	s_and_not1_saveexec_b32 s1, s0
; %bb.795:                              ;   in Loop: Header=BB409_763 Depth=1
	v_and_b32_e32 v0, 0xffff, v3
	v_or_b32_e32 v1, 0x10000, v3
	s_delay_alu instid0(VALU_DEP_2) | instskip(NEXT) | instid1(VALU_DEP_1)
	v_cmp_eq_u32_e64 s0, 0, v0
	v_cndmask_b32_e64 v65, v1, v3, s0
; %bb.796:                              ;   in Loop: Header=BB409_763 Depth=1
	s_or_b32 exec_lo, exec_lo, s1
	s_waitcnt vmcnt(0)
	v_mad_i64_i32 v[0:1], null, v12, v22, v[10:11]
	s_mov_b32 s1, exec_lo
	v_mov_b32_e32 v8, 0
	s_delay_alu instid0(VALU_DEP_2) | instskip(NEXT) | instid1(VALU_DEP_1)
	v_add_co_u32 v2, s0, v0, v35
	v_add_co_ci_u32_e64 v3, s0, 0, v1, s0
	flat_load_b64 v[6:7], v[2:3]
	flat_load_b32 v114, v[26:27]
	s_waitcnt vmcnt(1) lgkmcnt(1)
	v_and_b32_e32 v9, 0xff, v6
	s_delay_alu instid0(VALU_DEP_1)
	v_cmpx_ne_u16_e32 0, v9
	s_cbranch_execz .LBB409_804
; %bb.797:                              ;   in Loop: Header=BB409_763 Depth=1
	v_bfrev_b32_e32 v8, 1
	s_mov_b32 s13, exec_lo
	v_cmpx_ne_u16_e32 0x80, v9
	s_cbranch_execz .LBB409_803
; %bb.798:                              ;   in Loop: Header=BB409_763 Depth=1
	v_and_b32_e32 v9, 0x7f, v6
	v_mov_b32_e32 v8, 0x7f800001
	s_mov_b32 s15, exec_lo
	s_delay_alu instid0(VALU_DEP_2)
	v_cmpx_ne_u32_e32 0x7f, v9
	s_cbranch_execz .LBB409_802
; %bb.799:                              ;   in Loop: Header=BB409_763 Depth=1
	v_lshrrev_b32_e32 v12, 3, v9
	v_cmp_gt_u32_e64 s0, 8, v9
	v_dual_mov_b32 v9, v7 :: v_dual_mov_b32 v8, v6
	s_delay_alu instid0(VALU_DEP_2)
	s_and_saveexec_b32 s16, s0
; %bb.800:                              ;   in Loop: Header=BB409_763 Depth=1
	v_and_b32_e32 v8, 7, v6
	s_delay_alu instid0(VALU_DEP_1) | instskip(NEXT) | instid1(VALU_DEP_1)
	v_clz_i32_u32_e32 v8, v8
	v_min_u32_e32 v12, 32, v8
	s_delay_alu instid0(VALU_DEP_1) | instskip(SKIP_1) | instid1(VALU_DEP_2)
	v_subrev_nc_u32_e32 v8, 28, v12
	v_sub_nc_u32_e32 v12, 29, v12
	v_lshlrev_b64 v[8:9], v8, v[6:7]
; %bb.801:                              ;   in Loop: Header=BB409_763 Depth=1
	s_or_b32 exec_lo, exec_lo, s16
	s_delay_alu instid0(VALU_DEP_1) | instskip(SKIP_2) | instid1(VALU_DEP_3)
	v_lshlrev_b32_e32 v8, 20, v8
	v_lshlrev_b32_e32 v9, 24, v6
	v_lshl_add_u32 v12, v12, 23, 0x3c000000
	v_and_b32_e32 v8, 0x700000, v8
	s_delay_alu instid0(VALU_DEP_3) | instskip(NEXT) | instid1(VALU_DEP_1)
	v_and_b32_e32 v9, 0x80000000, v9
	v_or3_b32 v8, v8, v9, v12
.LBB409_802:                            ;   in Loop: Header=BB409_763 Depth=1
	s_or_b32 exec_lo, exec_lo, s15
.LBB409_803:                            ;   in Loop: Header=BB409_763 Depth=1
	s_delay_alu instid0(SALU_CYCLE_1)
	s_or_b32 exec_lo, exec_lo, s13
.LBB409_804:                            ;   in Loop: Header=BB409_763 Depth=1
	s_delay_alu instid0(SALU_CYCLE_1) | instskip(SKIP_2) | instid1(VALU_DEP_1)
	s_or_b32 exec_lo, exec_lo, s1
	s_waitcnt vmcnt(0) lgkmcnt(0)
	v_mul_f32_e32 v8, v114, v8
                                        ; implicit-def: $vgpr66
	v_and_b32_e32 v9, 0x7f800000, v8
	s_delay_alu instid0(VALU_DEP_1) | instskip(NEXT) | instid1(VALU_DEP_1)
	v_cmp_ne_u32_e64 s0, 0x7f800000, v9
	s_and_saveexec_b32 s1, s0
	s_delay_alu instid0(SALU_CYCLE_1)
	s_xor_b32 s0, exec_lo, s1
; %bb.805:                              ;   in Loop: Header=BB409_763 Depth=1
	v_bfe_u32 v9, v8, 16, 1
	s_delay_alu instid0(VALU_DEP_1)
	v_add3_u32 v66, v8, v9, 0x7fff
                                        ; implicit-def: $vgpr8
; %bb.806:                              ;   in Loop: Header=BB409_763 Depth=1
	s_and_not1_saveexec_b32 s1, s0
; %bb.807:                              ;   in Loop: Header=BB409_763 Depth=1
	v_and_b32_e32 v9, 0xffff, v8
	v_or_b32_e32 v12, 0x10000, v8
	s_delay_alu instid0(VALU_DEP_2) | instskip(NEXT) | instid1(VALU_DEP_1)
	v_cmp_eq_u32_e64 s0, 0, v9
	v_cndmask_b32_e64 v66, v12, v8, s0
; %bb.808:                              ;   in Loop: Header=BB409_763 Depth=1
	s_or_b32 exec_lo, exec_lo, s1
	v_lshrrev_b16 v9, 8, v6
	v_mov_b32_e32 v8, 0
	s_mov_b32 s1, exec_lo
	s_delay_alu instid0(VALU_DEP_2)
	v_cmpx_ne_u16_e32 0, v9
	s_cbranch_execz .LBB409_816
; %bb.809:                              ;   in Loop: Header=BB409_763 Depth=1
	v_bfrev_b32_e32 v8, 1
	s_mov_b32 s13, exec_lo
	v_cmpx_ne_u16_e32 0x80, v9
	s_cbranch_execz .LBB409_815
; %bb.810:                              ;   in Loop: Header=BB409_763 Depth=1
	v_and_b32_e32 v12, 0xffff, v9
	v_mov_b32_e32 v8, 0x7f800001
	s_mov_b32 s15, exec_lo
	s_delay_alu instid0(VALU_DEP_2) | instskip(NEXT) | instid1(VALU_DEP_1)
	v_and_b32_e32 v9, 0x7f, v12
	v_cmpx_ne_u32_e32 0x7f, v9
	s_cbranch_execz .LBB409_814
; %bb.811:                              ;   in Loop: Header=BB409_763 Depth=1
	v_and_b32_e32 v12, 7, v12
	v_lshrrev_b32_e32 v8, 3, v9
	s_mov_b32 s16, exec_lo
	v_cmpx_gt_u32_e32 8, v9
; %bb.812:                              ;   in Loop: Header=BB409_763 Depth=1
	s_delay_alu instid0(VALU_DEP_3) | instskip(NEXT) | instid1(VALU_DEP_1)
	v_clz_i32_u32_e32 v8, v12
	v_min_u32_e32 v8, 32, v8
	s_delay_alu instid0(VALU_DEP_1) | instskip(SKIP_1) | instid1(VALU_DEP_2)
	v_subrev_nc_u32_e32 v9, 28, v8
	v_sub_nc_u32_e32 v8, 29, v8
	v_lshlrev_b64 v[67:68], v9, v[12:13]
	s_delay_alu instid0(VALU_DEP_1)
	v_and_b32_e32 v12, 7, v67
; %bb.813:                              ;   in Loop: Header=BB409_763 Depth=1
	s_or_b32 exec_lo, exec_lo, s16
	v_lshlrev_b32_e32 v9, 16, v6
	s_delay_alu instid0(VALU_DEP_2) | instskip(SKIP_1) | instid1(VALU_DEP_3)
	v_lshlrev_b32_e32 v12, 20, v12
	v_lshl_add_u32 v8, v8, 23, 0x3c000000
	v_and_b32_e32 v9, 0x80000000, v9
	s_delay_alu instid0(VALU_DEP_1)
	v_or3_b32 v8, v12, v9, v8
.LBB409_814:                            ;   in Loop: Header=BB409_763 Depth=1
	s_or_b32 exec_lo, exec_lo, s15
.LBB409_815:                            ;   in Loop: Header=BB409_763 Depth=1
	s_delay_alu instid0(SALU_CYCLE_1)
	s_or_b32 exec_lo, exec_lo, s13
.LBB409_816:                            ;   in Loop: Header=BB409_763 Depth=1
	s_delay_alu instid0(SALU_CYCLE_1) | instskip(NEXT) | instid1(VALU_DEP_1)
	s_or_b32 exec_lo, exec_lo, s1
	v_mul_f32_e32 v8, v114, v8
                                        ; implicit-def: $vgpr67
	s_delay_alu instid0(VALU_DEP_1) | instskip(NEXT) | instid1(VALU_DEP_1)
	v_and_b32_e32 v9, 0x7f800000, v8
	v_cmp_ne_u32_e64 s0, 0x7f800000, v9
	s_delay_alu instid0(VALU_DEP_1) | instskip(NEXT) | instid1(SALU_CYCLE_1)
	s_and_saveexec_b32 s1, s0
	s_xor_b32 s0, exec_lo, s1
; %bb.817:                              ;   in Loop: Header=BB409_763 Depth=1
	v_bfe_u32 v9, v8, 16, 1
	s_delay_alu instid0(VALU_DEP_1)
	v_add3_u32 v67, v8, v9, 0x7fff
                                        ; implicit-def: $vgpr8
; %bb.818:                              ;   in Loop: Header=BB409_763 Depth=1
	s_and_not1_saveexec_b32 s1, s0
; %bb.819:                              ;   in Loop: Header=BB409_763 Depth=1
	v_and_b32_e32 v9, 0xffff, v8
	v_or_b32_e32 v12, 0x10000, v8
	s_delay_alu instid0(VALU_DEP_2) | instskip(NEXT) | instid1(VALU_DEP_1)
	v_cmp_eq_u32_e64 s0, 0, v9
	v_cndmask_b32_e64 v67, v12, v8, s0
; %bb.820:                              ;   in Loop: Header=BB409_763 Depth=1
	s_or_b32 exec_lo, exec_lo, s1
	v_lshrrev_b32_e32 v8, 16, v6
	s_mov_b32 s1, exec_lo
	s_delay_alu instid0(VALU_DEP_1) | instskip(NEXT) | instid1(VALU_DEP_1)
	v_dual_mov_b32 v9, 0 :: v_dual_and_b32 v12, 0xff, v8
	v_cmpx_ne_u16_e32 0, v12
	s_cbranch_execz .LBB409_828
; %bb.821:                              ;   in Loop: Header=BB409_763 Depth=1
	v_bfrev_b32_e32 v9, 1
	s_mov_b32 s13, exec_lo
	v_cmpx_ne_u16_e32 0x80, v12
	s_cbranch_execz .LBB409_827
; %bb.822:                              ;   in Loop: Header=BB409_763 Depth=1
	v_bfe_u32 v55, v6, 16, 7
	v_mov_b32_e32 v9, 0x7f800001
	s_mov_b32 s15, exec_lo
	s_delay_alu instid0(VALU_DEP_2)
	v_cmpx_ne_u32_e32 0x7f, v55
	s_cbranch_execz .LBB409_826
; %bb.823:                              ;   in Loop: Header=BB409_763 Depth=1
	v_and_b32_e32 v12, 7, v8
	v_lshrrev_b32_e32 v9, 3, v55
	s_mov_b32 s16, exec_lo
	v_cmpx_gt_u32_e32 8, v55
; %bb.824:                              ;   in Loop: Header=BB409_763 Depth=1
	s_delay_alu instid0(VALU_DEP_3) | instskip(NEXT) | instid1(VALU_DEP_1)
	v_clz_i32_u32_e32 v9, v12
	v_min_u32_e32 v9, 32, v9
	s_delay_alu instid0(VALU_DEP_1) | instskip(SKIP_1) | instid1(VALU_DEP_2)
	v_subrev_nc_u32_e32 v55, 28, v9
	v_sub_nc_u32_e32 v9, 29, v9
	v_lshlrev_b64 v[68:69], v55, v[12:13]
	s_delay_alu instid0(VALU_DEP_1)
	v_and_b32_e32 v12, 7, v68
; %bb.825:                              ;   in Loop: Header=BB409_763 Depth=1
	s_or_b32 exec_lo, exec_lo, s16
	v_lshlrev_b32_e32 v8, 24, v8
	s_delay_alu instid0(VALU_DEP_2) | instskip(SKIP_1) | instid1(VALU_DEP_3)
	v_lshlrev_b32_e32 v12, 20, v12
	v_lshl_add_u32 v9, v9, 23, 0x3c000000
	v_and_b32_e32 v8, 0x80000000, v8
	s_delay_alu instid0(VALU_DEP_1)
	v_or3_b32 v9, v12, v8, v9
.LBB409_826:                            ;   in Loop: Header=BB409_763 Depth=1
	s_or_b32 exec_lo, exec_lo, s15
.LBB409_827:                            ;   in Loop: Header=BB409_763 Depth=1
	s_delay_alu instid0(SALU_CYCLE_1)
	s_or_b32 exec_lo, exec_lo, s13
.LBB409_828:                            ;   in Loop: Header=BB409_763 Depth=1
	s_delay_alu instid0(SALU_CYCLE_1) | instskip(NEXT) | instid1(VALU_DEP_1)
	s_or_b32 exec_lo, exec_lo, s1
	v_mul_f32_e32 v8, v114, v9
                                        ; implicit-def: $vgpr68
	s_delay_alu instid0(VALU_DEP_1) | instskip(NEXT) | instid1(VALU_DEP_1)
	v_and_b32_e32 v9, 0x7f800000, v8
	v_cmp_ne_u32_e64 s0, 0x7f800000, v9
	s_delay_alu instid0(VALU_DEP_1) | instskip(NEXT) | instid1(SALU_CYCLE_1)
	s_and_saveexec_b32 s1, s0
	s_xor_b32 s0, exec_lo, s1
; %bb.829:                              ;   in Loop: Header=BB409_763 Depth=1
	v_bfe_u32 v9, v8, 16, 1
	s_delay_alu instid0(VALU_DEP_1)
	v_add3_u32 v68, v8, v9, 0x7fff
                                        ; implicit-def: $vgpr8
; %bb.830:                              ;   in Loop: Header=BB409_763 Depth=1
	s_and_not1_saveexec_b32 s1, s0
; %bb.831:                              ;   in Loop: Header=BB409_763 Depth=1
	v_and_b32_e32 v9, 0xffff, v8
	v_or_b32_e32 v12, 0x10000, v8
	s_delay_alu instid0(VALU_DEP_2) | instskip(NEXT) | instid1(VALU_DEP_1)
	v_cmp_eq_u32_e64 s0, 0, v9
	v_cndmask_b32_e64 v68, v12, v8, s0
; %bb.832:                              ;   in Loop: Header=BB409_763 Depth=1
	s_or_b32 exec_lo, exec_lo, s1
	v_mov_b32_e32 v9, 0
	s_mov_b32 s1, exec_lo
	v_cmpx_lt_u32_e32 0xffffff, v6
	s_cbranch_execz .LBB409_840
; %bb.833:                              ;   in Loop: Header=BB409_763 Depth=1
	v_lshrrev_b32_e32 v8, 24, v6
	v_bfrev_b32_e32 v9, 1
	s_mov_b32 s13, exec_lo
	s_delay_alu instid0(VALU_DEP_2)
	v_cmpx_ne_u32_e32 0x80, v8
	s_cbranch_execz .LBB409_839
; %bb.834:                              ;   in Loop: Header=BB409_763 Depth=1
	v_bfe_u32 v55, v6, 24, 7
	v_mov_b32_e32 v9, 0x7f800001
	s_mov_b32 s15, exec_lo
	s_delay_alu instid0(VALU_DEP_2)
	v_cmpx_ne_u32_e32 0x7f, v55
	s_cbranch_execz .LBB409_838
; %bb.835:                              ;   in Loop: Header=BB409_763 Depth=1
	v_and_b32_e32 v12, 7, v8
	v_lshrrev_b32_e32 v9, 3, v55
	s_mov_b32 s16, exec_lo
	v_cmpx_gt_u32_e32 8, v55
; %bb.836:                              ;   in Loop: Header=BB409_763 Depth=1
	s_delay_alu instid0(VALU_DEP_3) | instskip(NEXT) | instid1(VALU_DEP_1)
	v_clz_i32_u32_e32 v9, v12
	v_min_u32_e32 v9, 32, v9
	s_delay_alu instid0(VALU_DEP_1) | instskip(SKIP_1) | instid1(VALU_DEP_2)
	v_subrev_nc_u32_e32 v55, 28, v9
	v_sub_nc_u32_e32 v9, 29, v9
	v_lshlrev_b64 v[69:70], v55, v[12:13]
	s_delay_alu instid0(VALU_DEP_1)
	v_and_b32_e32 v12, 7, v69
; %bb.837:                              ;   in Loop: Header=BB409_763 Depth=1
	s_or_b32 exec_lo, exec_lo, s16
	v_lshlrev_b32_e32 v8, 24, v8
	s_delay_alu instid0(VALU_DEP_2) | instskip(SKIP_1) | instid1(VALU_DEP_3)
	v_lshlrev_b32_e32 v12, 20, v12
	v_lshl_add_u32 v9, v9, 23, 0x3c000000
	v_and_b32_e32 v8, 0x80000000, v8
	s_delay_alu instid0(VALU_DEP_1)
	v_or3_b32 v9, v12, v8, v9
.LBB409_838:                            ;   in Loop: Header=BB409_763 Depth=1
	s_or_b32 exec_lo, exec_lo, s15
.LBB409_839:                            ;   in Loop: Header=BB409_763 Depth=1
	s_delay_alu instid0(SALU_CYCLE_1)
	s_or_b32 exec_lo, exec_lo, s13
.LBB409_840:                            ;   in Loop: Header=BB409_763 Depth=1
	s_delay_alu instid0(SALU_CYCLE_1) | instskip(NEXT) | instid1(VALU_DEP_1)
	s_or_b32 exec_lo, exec_lo, s1
	v_mul_f32_e32 v8, v114, v9
                                        ; implicit-def: $vgpr69
	s_delay_alu instid0(VALU_DEP_1) | instskip(NEXT) | instid1(VALU_DEP_1)
	v_and_b32_e32 v9, 0x7f800000, v8
	v_cmp_ne_u32_e64 s0, 0x7f800000, v9
	s_delay_alu instid0(VALU_DEP_1) | instskip(NEXT) | instid1(SALU_CYCLE_1)
	s_and_saveexec_b32 s1, s0
	s_xor_b32 s0, exec_lo, s1
; %bb.841:                              ;   in Loop: Header=BB409_763 Depth=1
	v_bfe_u32 v9, v8, 16, 1
	s_delay_alu instid0(VALU_DEP_1)
	v_add3_u32 v69, v8, v9, 0x7fff
                                        ; implicit-def: $vgpr8
; %bb.842:                              ;   in Loop: Header=BB409_763 Depth=1
	s_and_not1_saveexec_b32 s1, s0
; %bb.843:                              ;   in Loop: Header=BB409_763 Depth=1
	v_and_b32_e32 v9, 0xffff, v8
	v_or_b32_e32 v12, 0x10000, v8
	s_delay_alu instid0(VALU_DEP_2) | instskip(NEXT) | instid1(VALU_DEP_1)
	v_cmp_eq_u32_e64 s0, 0, v9
	v_cndmask_b32_e64 v69, v12, v8, s0
; %bb.844:                              ;   in Loop: Header=BB409_763 Depth=1
	s_or_b32 exec_lo, exec_lo, s1
	v_dual_mov_b32 v12, v7 :: v_dual_and_b32 v9, 0xff, v7
	v_mov_b32_e32 v8, 0
	s_mov_b32 s1, exec_lo
	s_delay_alu instid0(VALU_DEP_2)
	v_cmpx_ne_u16_e32 0, v9
	s_cbranch_execz .LBB409_852
; %bb.845:                              ;   in Loop: Header=BB409_763 Depth=1
	v_bfrev_b32_e32 v8, 1
	s_mov_b32 s13, exec_lo
	v_cmpx_ne_u16_e32 0x80, v9
	s_cbranch_execz .LBB409_851
; %bb.846:                              ;   in Loop: Header=BB409_763 Depth=1
	v_and_b32_e32 v9, 0x7f, v7
	v_mov_b32_e32 v8, 0x7f800001
	s_mov_b32 s15, exec_lo
	s_delay_alu instid0(VALU_DEP_2)
	v_cmpx_ne_u32_e32 0x7f, v9
	s_cbranch_execz .LBB409_850
; %bb.847:                              ;   in Loop: Header=BB409_763 Depth=1
	v_lshrrev_b32_e32 v55, 3, v9
	v_cmp_gt_u32_e64 s0, 8, v9
	v_dual_mov_b32 v8, v12 :: v_dual_mov_b32 v9, v13
	s_delay_alu instid0(VALU_DEP_2)
	s_and_saveexec_b32 s16, s0
; %bb.848:                              ;   in Loop: Header=BB409_763 Depth=1
	v_and_b32_e32 v8, 7, v7
	s_delay_alu instid0(VALU_DEP_1) | instskip(NEXT) | instid1(VALU_DEP_1)
	v_clz_i32_u32_e32 v8, v8
	v_min_u32_e32 v55, 32, v8
	s_delay_alu instid0(VALU_DEP_1) | instskip(SKIP_1) | instid1(VALU_DEP_2)
	v_subrev_nc_u32_e32 v8, 28, v55
	v_sub_nc_u32_e32 v55, 29, v55
	v_lshlrev_b64 v[8:9], v8, v[12:13]
; %bb.849:                              ;   in Loop: Header=BB409_763 Depth=1
	s_or_b32 exec_lo, exec_lo, s16
	s_delay_alu instid0(VALU_DEP_1) | instskip(SKIP_2) | instid1(VALU_DEP_3)
	v_lshlrev_b32_e32 v8, 20, v8
	v_lshlrev_b32_e32 v9, 24, v12
	v_lshl_add_u32 v55, v55, 23, 0x3c000000
	v_and_b32_e32 v8, 0x700000, v8
	s_delay_alu instid0(VALU_DEP_3) | instskip(NEXT) | instid1(VALU_DEP_1)
	v_and_b32_e32 v9, 0x80000000, v9
	v_or3_b32 v8, v8, v9, v55
.LBB409_850:                            ;   in Loop: Header=BB409_763 Depth=1
	s_or_b32 exec_lo, exec_lo, s15
.LBB409_851:                            ;   in Loop: Header=BB409_763 Depth=1
	s_delay_alu instid0(SALU_CYCLE_1)
	s_or_b32 exec_lo, exec_lo, s13
.LBB409_852:                            ;   in Loop: Header=BB409_763 Depth=1
	s_delay_alu instid0(SALU_CYCLE_1) | instskip(NEXT) | instid1(VALU_DEP_1)
	s_or_b32 exec_lo, exec_lo, s1
	v_mul_f32_e32 v8, v114, v8
                                        ; implicit-def: $vgpr70
	s_delay_alu instid0(VALU_DEP_1) | instskip(NEXT) | instid1(VALU_DEP_1)
	v_and_b32_e32 v9, 0x7f800000, v8
	v_cmp_ne_u32_e64 s0, 0x7f800000, v9
	s_delay_alu instid0(VALU_DEP_1) | instskip(NEXT) | instid1(SALU_CYCLE_1)
	s_and_saveexec_b32 s1, s0
	s_xor_b32 s0, exec_lo, s1
; %bb.853:                              ;   in Loop: Header=BB409_763 Depth=1
	v_bfe_u32 v9, v8, 16, 1
	s_delay_alu instid0(VALU_DEP_1)
	v_add3_u32 v70, v8, v9, 0x7fff
                                        ; implicit-def: $vgpr8
; %bb.854:                              ;   in Loop: Header=BB409_763 Depth=1
	s_and_not1_saveexec_b32 s1, s0
; %bb.855:                              ;   in Loop: Header=BB409_763 Depth=1
	v_and_b32_e32 v9, 0xffff, v8
	v_or_b32_e32 v55, 0x10000, v8
	s_delay_alu instid0(VALU_DEP_2) | instskip(NEXT) | instid1(VALU_DEP_1)
	v_cmp_eq_u32_e64 s0, 0, v9
	v_cndmask_b32_e64 v70, v55, v8, s0
; %bb.856:                              ;   in Loop: Header=BB409_763 Depth=1
	s_or_b32 exec_lo, exec_lo, s1
	v_lshrrev_b16 v9, 8, v12
	v_mov_b32_e32 v8, 0
	s_mov_b32 s1, exec_lo
	s_delay_alu instid0(VALU_DEP_2)
	v_cmpx_ne_u16_e32 0, v9
	s_cbranch_execz .LBB409_864
; %bb.857:                              ;   in Loop: Header=BB409_763 Depth=1
	v_bfrev_b32_e32 v8, 1
	s_mov_b32 s13, exec_lo
	v_cmpx_ne_u16_e32 0x80, v9
	s_cbranch_execz .LBB409_863
; %bb.858:                              ;   in Loop: Header=BB409_763 Depth=1
	v_and_b32_e32 v9, 0xffff, v9
	v_mov_b32_e32 v8, 0x7f800001
	s_mov_b32 s15, exec_lo
	s_delay_alu instid0(VALU_DEP_2) | instskip(NEXT) | instid1(VALU_DEP_1)
	v_and_b32_e32 v71, 0x7f, v9
	v_cmpx_ne_u32_e32 0x7f, v71
	s_cbranch_execz .LBB409_862
; %bb.859:                              ;   in Loop: Header=BB409_763 Depth=1
	v_dual_mov_b32 v9, v13 :: v_dual_and_b32 v8, 7, v9
	v_lshrrev_b32_e32 v55, 3, v71
	s_mov_b32 s16, exec_lo
	v_cmpx_gt_u32_e32 8, v71
; %bb.860:                              ;   in Loop: Header=BB409_763 Depth=1
	s_delay_alu instid0(VALU_DEP_3) | instskip(NEXT) | instid1(VALU_DEP_1)
	v_clz_i32_u32_e32 v55, v8
	v_min_u32_e32 v55, 32, v55
	s_delay_alu instid0(VALU_DEP_1) | instskip(SKIP_1) | instid1(VALU_DEP_2)
	v_subrev_nc_u32_e32 v71, 28, v55
	v_sub_nc_u32_e32 v55, 29, v55
	v_lshlrev_b64 v[8:9], v71, v[8:9]
	s_delay_alu instid0(VALU_DEP_1)
	v_and_b32_e32 v8, 7, v8
; %bb.861:                              ;   in Loop: Header=BB409_763 Depth=1
	s_or_b32 exec_lo, exec_lo, s16
	v_lshlrev_b32_e32 v9, 16, v12
	s_delay_alu instid0(VALU_DEP_2) | instskip(SKIP_1) | instid1(VALU_DEP_3)
	v_lshlrev_b32_e32 v8, 20, v8
	v_lshl_add_u32 v12, v55, 23, 0x3c000000
	v_and_b32_e32 v9, 0x80000000, v9
	s_delay_alu instid0(VALU_DEP_1)
	v_or3_b32 v8, v8, v9, v12
.LBB409_862:                            ;   in Loop: Header=BB409_763 Depth=1
	s_or_b32 exec_lo, exec_lo, s15
.LBB409_863:                            ;   in Loop: Header=BB409_763 Depth=1
	s_delay_alu instid0(SALU_CYCLE_1)
	s_or_b32 exec_lo, exec_lo, s13
.LBB409_864:                            ;   in Loop: Header=BB409_763 Depth=1
	s_delay_alu instid0(SALU_CYCLE_1) | instskip(NEXT) | instid1(VALU_DEP_1)
	s_or_b32 exec_lo, exec_lo, s1
	v_mul_f32_e32 v9, v114, v8
	s_delay_alu instid0(VALU_DEP_1) | instskip(NEXT) | instid1(VALU_DEP_1)
	v_and_b32_e32 v8, 0x7f800000, v9
	v_cmp_ne_u32_e64 s0, 0x7f800000, v8
                                        ; implicit-def: $vgpr8
	s_delay_alu instid0(VALU_DEP_1) | instskip(NEXT) | instid1(SALU_CYCLE_1)
	s_and_saveexec_b32 s1, s0
	s_xor_b32 s0, exec_lo, s1
; %bb.865:                              ;   in Loop: Header=BB409_763 Depth=1
	v_bfe_u32 v8, v9, 16, 1
	s_delay_alu instid0(VALU_DEP_1)
	v_add3_u32 v8, v9, v8, 0x7fff
                                        ; implicit-def: $vgpr9
; %bb.866:                              ;   in Loop: Header=BB409_763 Depth=1
	s_and_not1_saveexec_b32 s1, s0
; %bb.867:                              ;   in Loop: Header=BB409_763 Depth=1
	v_and_b32_e32 v8, 0xffff, v9
	v_or_b32_e32 v12, 0x10000, v9
	s_delay_alu instid0(VALU_DEP_2) | instskip(NEXT) | instid1(VALU_DEP_1)
	v_cmp_eq_u32_e64 s0, 0, v8
	v_cndmask_b32_e64 v8, v12, v9, s0
; %bb.868:                              ;   in Loop: Header=BB409_763 Depth=1
	s_or_b32 exec_lo, exec_lo, s1
	v_lshrrev_b32_e32 v9, 16, v7
	s_mov_b32 s1, exec_lo
	s_delay_alu instid0(VALU_DEP_1) | instskip(NEXT) | instid1(VALU_DEP_1)
	v_dual_mov_b32 v12, 0 :: v_dual_and_b32 v55, 0xff, v9
	v_cmpx_ne_u16_e32 0, v55
	s_cbranch_execz .LBB409_876
; %bb.869:                              ;   in Loop: Header=BB409_763 Depth=1
	v_bfrev_b32_e32 v12, 1
	s_mov_b32 s13, exec_lo
	v_cmpx_ne_u16_e32 0x80, v55
	s_cbranch_execz .LBB409_875
; %bb.870:                              ;   in Loop: Header=BB409_763 Depth=1
	v_bfe_u32 v71, v7, 16, 7
	v_mov_b32_e32 v12, 0x7f800001
	s_mov_b32 s15, exec_lo
	s_delay_alu instid0(VALU_DEP_2)
	v_cmpx_ne_u32_e32 0x7f, v71
	s_cbranch_execz .LBB409_874
; %bb.871:                              ;   in Loop: Header=BB409_763 Depth=1
	v_and_b32_e32 v12, 7, v9
	v_lshrrev_b32_e32 v55, 3, v71
	s_mov_b32 s16, exec_lo
	v_cmpx_gt_u32_e32 8, v71
; %bb.872:                              ;   in Loop: Header=BB409_763 Depth=1
	s_delay_alu instid0(VALU_DEP_3) | instskip(NEXT) | instid1(VALU_DEP_1)
	v_clz_i32_u32_e32 v55, v12
	v_min_u32_e32 v55, 32, v55
	s_delay_alu instid0(VALU_DEP_1) | instskip(SKIP_1) | instid1(VALU_DEP_2)
	v_subrev_nc_u32_e32 v71, 28, v55
	v_sub_nc_u32_e32 v55, 29, v55
	v_lshlrev_b64 v[80:81], v71, v[12:13]
	s_delay_alu instid0(VALU_DEP_1)
	v_and_b32_e32 v12, 7, v80
; %bb.873:                              ;   in Loop: Header=BB409_763 Depth=1
	s_or_b32 exec_lo, exec_lo, s16
	v_lshlrev_b32_e32 v9, 24, v9
	s_delay_alu instid0(VALU_DEP_2) | instskip(SKIP_1) | instid1(VALU_DEP_3)
	v_lshlrev_b32_e32 v12, 20, v12
	v_lshl_add_u32 v55, v55, 23, 0x3c000000
	v_and_b32_e32 v9, 0x80000000, v9
	s_delay_alu instid0(VALU_DEP_1)
	v_or3_b32 v12, v12, v9, v55
.LBB409_874:                            ;   in Loop: Header=BB409_763 Depth=1
	s_or_b32 exec_lo, exec_lo, s15
.LBB409_875:                            ;   in Loop: Header=BB409_763 Depth=1
	s_delay_alu instid0(SALU_CYCLE_1)
	s_or_b32 exec_lo, exec_lo, s13
.LBB409_876:                            ;   in Loop: Header=BB409_763 Depth=1
	s_delay_alu instid0(SALU_CYCLE_1) | instskip(NEXT) | instid1(VALU_DEP_1)
	s_or_b32 exec_lo, exec_lo, s1
	v_mul_f32_e32 v9, v114, v12
                                        ; implicit-def: $vgpr71
	s_delay_alu instid0(VALU_DEP_1) | instskip(NEXT) | instid1(VALU_DEP_1)
	v_and_b32_e32 v12, 0x7f800000, v9
	v_cmp_ne_u32_e64 s0, 0x7f800000, v12
	s_delay_alu instid0(VALU_DEP_1) | instskip(NEXT) | instid1(SALU_CYCLE_1)
	s_and_saveexec_b32 s1, s0
	s_xor_b32 s0, exec_lo, s1
; %bb.877:                              ;   in Loop: Header=BB409_763 Depth=1
	v_bfe_u32 v12, v9, 16, 1
	s_delay_alu instid0(VALU_DEP_1)
	v_add3_u32 v71, v9, v12, 0x7fff
                                        ; implicit-def: $vgpr9
; %bb.878:                              ;   in Loop: Header=BB409_763 Depth=1
	s_and_not1_saveexec_b32 s1, s0
; %bb.879:                              ;   in Loop: Header=BB409_763 Depth=1
	v_and_b32_e32 v12, 0xffff, v9
	v_or_b32_e32 v55, 0x10000, v9
	s_delay_alu instid0(VALU_DEP_2) | instskip(NEXT) | instid1(VALU_DEP_1)
	v_cmp_eq_u32_e64 s0, 0, v12
	v_cndmask_b32_e64 v71, v55, v9, s0
; %bb.880:                              ;   in Loop: Header=BB409_763 Depth=1
	s_or_b32 exec_lo, exec_lo, s1
	v_mov_b32_e32 v9, 0
	s_mov_b32 s1, exec_lo
	v_cmpx_lt_u64_e64 s[8:9], v[6:7]
	s_cbranch_execz .LBB409_888
; %bb.881:                              ;   in Loop: Header=BB409_763 Depth=1
	v_lshrrev_b32_e32 v6, 24, v7
	v_bfrev_b32_e32 v9, 1
	s_mov_b32 s13, exec_lo
	s_delay_alu instid0(VALU_DEP_2)
	v_cmpx_ne_u32_e32 0x80, v6
	s_cbranch_execz .LBB409_887
; %bb.882:                              ;   in Loop: Header=BB409_763 Depth=1
	v_bfe_u32 v55, v7, 24, 7
	v_mov_b32_e32 v9, 0x7f800001
	s_mov_b32 s15, exec_lo
	s_delay_alu instid0(VALU_DEP_2)
	v_cmpx_ne_u32_e32 0x7f, v55
	s_cbranch_execz .LBB409_886
; %bb.883:                              ;   in Loop: Header=BB409_763 Depth=1
	v_and_b32_e32 v12, 7, v6
	v_lshrrev_b32_e32 v7, 3, v55
	s_mov_b32 s16, exec_lo
	v_cmpx_gt_u32_e32 8, v55
; %bb.884:                              ;   in Loop: Header=BB409_763 Depth=1
	s_delay_alu instid0(VALU_DEP_3) | instskip(NEXT) | instid1(VALU_DEP_1)
	v_clz_i32_u32_e32 v7, v12
	v_min_u32_e32 v7, 32, v7
	s_delay_alu instid0(VALU_DEP_1) | instskip(SKIP_1) | instid1(VALU_DEP_2)
	v_subrev_nc_u32_e32 v9, 28, v7
	v_sub_nc_u32_e32 v7, 29, v7
	v_lshlrev_b64 v[80:81], v9, v[12:13]
	s_delay_alu instid0(VALU_DEP_1)
	v_and_b32_e32 v12, 7, v80
; %bb.885:                              ;   in Loop: Header=BB409_763 Depth=1
	s_or_b32 exec_lo, exec_lo, s16
	v_lshlrev_b32_e32 v6, 24, v6
	s_delay_alu instid0(VALU_DEP_2) | instskip(SKIP_1) | instid1(VALU_DEP_3)
	v_lshlrev_b32_e32 v9, 20, v12
	v_lshl_add_u32 v7, v7, 23, 0x3c000000
	v_and_b32_e32 v6, 0x80000000, v6
	s_delay_alu instid0(VALU_DEP_1)
	v_or3_b32 v9, v9, v6, v7
.LBB409_886:                            ;   in Loop: Header=BB409_763 Depth=1
	s_or_b32 exec_lo, exec_lo, s15
.LBB409_887:                            ;   in Loop: Header=BB409_763 Depth=1
	s_delay_alu instid0(SALU_CYCLE_1)
	s_or_b32 exec_lo, exec_lo, s13
.LBB409_888:                            ;   in Loop: Header=BB409_763 Depth=1
	s_delay_alu instid0(SALU_CYCLE_1) | instskip(NEXT) | instid1(VALU_DEP_1)
	s_or_b32 exec_lo, exec_lo, s1
	v_mul_f32_e32 v7, v114, v9
	s_delay_alu instid0(VALU_DEP_1) | instskip(NEXT) | instid1(VALU_DEP_1)
	v_and_b32_e32 v6, 0x7f800000, v7
	v_cmp_ne_u32_e64 s0, 0x7f800000, v6
                                        ; implicit-def: $vgpr6
	s_delay_alu instid0(VALU_DEP_1) | instskip(NEXT) | instid1(SALU_CYCLE_1)
	s_and_saveexec_b32 s1, s0
	s_xor_b32 s0, exec_lo, s1
; %bb.889:                              ;   in Loop: Header=BB409_763 Depth=1
	v_bfe_u32 v6, v7, 16, 1
	s_delay_alu instid0(VALU_DEP_1)
	v_add3_u32 v6, v7, v6, 0x7fff
                                        ; implicit-def: $vgpr7
; %bb.890:                              ;   in Loop: Header=BB409_763 Depth=1
	s_and_not1_saveexec_b32 s1, s0
; %bb.891:                              ;   in Loop: Header=BB409_763 Depth=1
	v_and_b32_e32 v6, 0xffff, v7
	v_or_b32_e32 v9, 0x10000, v7
	s_delay_alu instid0(VALU_DEP_2) | instskip(NEXT) | instid1(VALU_DEP_1)
	v_cmp_eq_u32_e64 s0, 0, v6
	v_cndmask_b32_e64 v6, v9, v7, s0
; %bb.892:                              ;   in Loop: Header=BB409_763 Depth=1
	s_or_b32 exec_lo, exec_lo, s1
	v_cmp_eq_u32_e64 s0, v34, v64
	v_add_nc_u32_e32 v55, v33, v96
	v_lshrrev_b32_e32 v8, 16, v8
	v_lshrrev_b32_e32 v9, 16, v70
	;; [unrolled: 1-line block ×8, first 2 shown]
	s_and_saveexec_b32 s13, s0
	s_cbranch_execz .LBB409_894
; %bb.893:                              ;   in Loop: Header=BB409_763 Depth=1
	v_add_nc_u32_e32 v66, 1, v55
	v_cmp_lt_i32_e64 s1, v55, v83
	v_add_nc_u32_e32 v70, 2, v55
	v_add_nc_u32_e32 v71, 3, v55
	s_delay_alu instid0(VALU_DEP_3) | instskip(SKIP_2) | instid1(VALU_DEP_2)
	v_cndmask_b32_e64 v67, 0, v67, s1
	v_cmp_lt_i32_e64 s1, v66, v83
	v_add_nc_u32_e32 v66, 4, v55
	v_cndmask_b32_e64 v68, 0, v68, s1
	v_cmp_lt_i32_e64 s1, v70, v83
	v_add_nc_u32_e32 v70, 5, v55
	s_delay_alu instid0(VALU_DEP_2) | instskip(SKIP_2) | instid1(VALU_DEP_2)
	v_cndmask_b32_e64 v69, 0, v69, s1
	v_cmp_lt_i32_e64 s1, v71, v83
	v_add_nc_u32_e32 v71, 6, v55
	v_cndmask_b32_e64 v12, 0, v12, s1
	v_cmp_lt_i32_e64 s1, v66, v83
	v_add_nc_u32_e32 v66, 7, v55
	s_delay_alu instid0(VALU_DEP_2) | instskip(SKIP_1) | instid1(VALU_DEP_1)
	v_cndmask_b32_e64 v9, 0, v9, s1
	v_cmp_lt_i32_e64 s1, v70, v83
	v_cndmask_b32_e64 v8, 0, v8, s1
	v_cmp_lt_i32_e64 s1, v71, v83
	s_delay_alu instid0(VALU_DEP_1) | instskip(SKIP_1) | instid1(VALU_DEP_1)
	v_cndmask_b32_e64 v7, 0, v7, s1
	v_cmp_lt_i32_e64 s1, v66, v83
	v_cndmask_b32_e64 v6, 0, v6, s1
.LBB409_894:                            ;   in Loop: Header=BB409_763 Depth=1
	s_or_b32 exec_lo, exec_lo, s13
	v_and_b32_e32 v66, 0xffff0000, v48
	v_lshlrev_b32_e32 v48, 16, v67
	s_delay_alu instid0(VALU_DEP_1) | instskip(NEXT) | instid1(VALU_DEP_1)
	v_mul_f32_e32 v67, v66, v48
	v_and_b32_e32 v48, 0x7f800000, v67
	s_delay_alu instid0(VALU_DEP_1) | instskip(NEXT) | instid1(VALU_DEP_1)
	v_cmp_ne_u32_e64 s1, 0x7f800000, v48
                                        ; implicit-def: $vgpr48
	s_and_saveexec_b32 s13, s1
	s_delay_alu instid0(SALU_CYCLE_1)
	s_xor_b32 s1, exec_lo, s13
; %bb.895:                              ;   in Loop: Header=BB409_763 Depth=1
	v_bfe_u32 v48, v67, 16, 1
	s_delay_alu instid0(VALU_DEP_1)
	v_add3_u32 v48, v67, v48, 0x7fff
                                        ; implicit-def: $vgpr67
; %bb.896:                              ;   in Loop: Header=BB409_763 Depth=1
	s_and_not1_saveexec_b32 s13, s1
; %bb.897:                              ;   in Loop: Header=BB409_763 Depth=1
	v_and_b32_e32 v48, 0xffff, v67
	v_or_b32_e32 v70, 0x10000, v67
	s_delay_alu instid0(VALU_DEP_2) | instskip(NEXT) | instid1(VALU_DEP_1)
	v_cmp_eq_u32_e64 s1, 0, v48
	v_cndmask_b32_e64 v48, v70, v67, s1
; %bb.898:                              ;   in Loop: Header=BB409_763 Depth=1
	s_or_b32 exec_lo, exec_lo, s13
	v_and_b32_e32 v67, 0xffff0000, v49
	v_lshlrev_b32_e32 v49, 16, v68
	s_delay_alu instid0(VALU_DEP_1) | instskip(NEXT) | instid1(VALU_DEP_1)
	v_mul_f32_e32 v68, v67, v49
	v_and_b32_e32 v49, 0x7f800000, v68
	s_delay_alu instid0(VALU_DEP_1) | instskip(NEXT) | instid1(VALU_DEP_1)
	v_cmp_ne_u32_e64 s1, 0x7f800000, v49
                                        ; implicit-def: $vgpr49
	s_and_saveexec_b32 s13, s1
	s_delay_alu instid0(SALU_CYCLE_1)
	s_xor_b32 s1, exec_lo, s13
; %bb.899:                              ;   in Loop: Header=BB409_763 Depth=1
	v_bfe_u32 v49, v68, 16, 1
	s_delay_alu instid0(VALU_DEP_1)
	v_add3_u32 v49, v68, v49, 0x7fff
                                        ; implicit-def: $vgpr68
; %bb.900:                              ;   in Loop: Header=BB409_763 Depth=1
	s_and_not1_saveexec_b32 s13, s1
; %bb.901:                              ;   in Loop: Header=BB409_763 Depth=1
	v_and_b32_e32 v49, 0xffff, v68
	v_or_b32_e32 v70, 0x10000, v68
	s_delay_alu instid0(VALU_DEP_2) | instskip(NEXT) | instid1(VALU_DEP_1)
	v_cmp_eq_u32_e64 s1, 0, v49
	v_cndmask_b32_e64 v49, v70, v68, s1
; %bb.902:                              ;   in Loop: Header=BB409_763 Depth=1
	s_or_b32 exec_lo, exec_lo, s13
	v_and_b32_e32 v68, 0xffff0000, v50
	v_lshlrev_b32_e32 v50, 16, v69
	s_delay_alu instid0(VALU_DEP_1) | instskip(NEXT) | instid1(VALU_DEP_1)
	v_mul_f32_e32 v69, v68, v50
	v_and_b32_e32 v50, 0x7f800000, v69
	s_delay_alu instid0(VALU_DEP_1) | instskip(NEXT) | instid1(VALU_DEP_1)
	v_cmp_ne_u32_e64 s1, 0x7f800000, v50
                                        ; implicit-def: $vgpr50
	s_and_saveexec_b32 s13, s1
	s_delay_alu instid0(SALU_CYCLE_1)
	s_xor_b32 s1, exec_lo, s13
; %bb.903:                              ;   in Loop: Header=BB409_763 Depth=1
	v_bfe_u32 v50, v69, 16, 1
	s_delay_alu instid0(VALU_DEP_1)
	v_add3_u32 v50, v69, v50, 0x7fff
                                        ; implicit-def: $vgpr69
; %bb.904:                              ;   in Loop: Header=BB409_763 Depth=1
	s_and_not1_saveexec_b32 s13, s1
; %bb.905:                              ;   in Loop: Header=BB409_763 Depth=1
	v_and_b32_e32 v50, 0xffff, v69
	v_or_b32_e32 v70, 0x10000, v69
	s_delay_alu instid0(VALU_DEP_2) | instskip(NEXT) | instid1(VALU_DEP_1)
	v_cmp_eq_u32_e64 s1, 0, v50
	v_cndmask_b32_e64 v50, v70, v69, s1
; %bb.906:                              ;   in Loop: Header=BB409_763 Depth=1
	s_or_b32 exec_lo, exec_lo, s13
	v_and_b32_e32 v69, 0xffff0000, v51
	v_lshlrev_b32_e32 v12, 16, v12
	s_delay_alu instid0(VALU_DEP_1) | instskip(NEXT) | instid1(VALU_DEP_1)
	v_mul_f32_e32 v12, v69, v12
	v_and_b32_e32 v51, 0x7f800000, v12
	s_delay_alu instid0(VALU_DEP_1) | instskip(NEXT) | instid1(VALU_DEP_1)
	v_cmp_ne_u32_e64 s1, 0x7f800000, v51
                                        ; implicit-def: $vgpr51
	s_and_saveexec_b32 s13, s1
	s_delay_alu instid0(SALU_CYCLE_1)
	s_xor_b32 s1, exec_lo, s13
; %bb.907:                              ;   in Loop: Header=BB409_763 Depth=1
	v_bfe_u32 v51, v12, 16, 1
	s_delay_alu instid0(VALU_DEP_1)
	v_add3_u32 v51, v12, v51, 0x7fff
                                        ; implicit-def: $vgpr12
; %bb.908:                              ;   in Loop: Header=BB409_763 Depth=1
	s_and_not1_saveexec_b32 s13, s1
; %bb.909:                              ;   in Loop: Header=BB409_763 Depth=1
	v_and_b32_e32 v51, 0xffff, v12
	v_or_b32_e32 v70, 0x10000, v12
	s_delay_alu instid0(VALU_DEP_2) | instskip(NEXT) | instid1(VALU_DEP_1)
	v_cmp_eq_u32_e64 s1, 0, v51
	v_cndmask_b32_e64 v51, v70, v12, s1
; %bb.910:                              ;   in Loop: Header=BB409_763 Depth=1
	s_or_b32 exec_lo, exec_lo, s13
	v_and_b32_e32 v70, 0xffff0000, v52
	v_lshlrev_b32_e32 v9, 16, v9
                                        ; implicit-def: $vgpr52
	s_delay_alu instid0(VALU_DEP_1) | instskip(NEXT) | instid1(VALU_DEP_1)
	v_mul_f32_e32 v9, v70, v9
	v_and_b32_e32 v12, 0x7f800000, v9
	s_delay_alu instid0(VALU_DEP_1) | instskip(NEXT) | instid1(VALU_DEP_1)
	v_cmp_ne_u32_e64 s1, 0x7f800000, v12
	s_and_saveexec_b32 s13, s1
	s_delay_alu instid0(SALU_CYCLE_1)
	s_xor_b32 s1, exec_lo, s13
; %bb.911:                              ;   in Loop: Header=BB409_763 Depth=1
	v_bfe_u32 v12, v9, 16, 1
	s_delay_alu instid0(VALU_DEP_1)
	v_add3_u32 v52, v9, v12, 0x7fff
                                        ; implicit-def: $vgpr9
; %bb.912:                              ;   in Loop: Header=BB409_763 Depth=1
	s_and_not1_saveexec_b32 s13, s1
; %bb.913:                              ;   in Loop: Header=BB409_763 Depth=1
	v_and_b32_e32 v12, 0xffff, v9
	v_or_b32_e32 v52, 0x10000, v9
	s_delay_alu instid0(VALU_DEP_2) | instskip(NEXT) | instid1(VALU_DEP_1)
	v_cmp_eq_u32_e64 s1, 0, v12
	v_cndmask_b32_e64 v52, v52, v9, s1
; %bb.914:                              ;   in Loop: Header=BB409_763 Depth=1
	s_or_b32 exec_lo, exec_lo, s13
	v_and_b32_e32 v71, 0xffff0000, v53
	v_lshlrev_b32_e32 v8, 16, v8
                                        ; implicit-def: $vgpr53
	s_delay_alu instid0(VALU_DEP_1) | instskip(NEXT) | instid1(VALU_DEP_1)
	v_mul_f32_e32 v8, v71, v8
	v_and_b32_e32 v9, 0x7f800000, v8
	s_delay_alu instid0(VALU_DEP_1) | instskip(NEXT) | instid1(VALU_DEP_1)
	v_cmp_ne_u32_e64 s1, 0x7f800000, v9
	s_and_saveexec_b32 s13, s1
	s_delay_alu instid0(SALU_CYCLE_1)
	s_xor_b32 s1, exec_lo, s13
; %bb.915:                              ;   in Loop: Header=BB409_763 Depth=1
	v_bfe_u32 v9, v8, 16, 1
	s_delay_alu instid0(VALU_DEP_1)
	v_add3_u32 v53, v8, v9, 0x7fff
                                        ; implicit-def: $vgpr8
; %bb.916:                              ;   in Loop: Header=BB409_763 Depth=1
	s_and_not1_saveexec_b32 s13, s1
; %bb.917:                              ;   in Loop: Header=BB409_763 Depth=1
	v_and_b32_e32 v9, 0xffff, v8
	v_or_b32_e32 v12, 0x10000, v8
	s_delay_alu instid0(VALU_DEP_2) | instskip(NEXT) | instid1(VALU_DEP_1)
	v_cmp_eq_u32_e64 s1, 0, v9
	v_cndmask_b32_e64 v53, v12, v8, s1
; %bb.918:                              ;   in Loop: Header=BB409_763 Depth=1
	s_or_b32 exec_lo, exec_lo, s13
	v_and_b32_e32 v80, 0xffff0000, v54
	v_lshlrev_b32_e32 v7, 16, v7
                                        ; implicit-def: $vgpr54
	s_delay_alu instid0(VALU_DEP_1) | instskip(NEXT) | instid1(VALU_DEP_1)
	v_mul_f32_e32 v7, v80, v7
	v_and_b32_e32 v8, 0x7f800000, v7
	s_delay_alu instid0(VALU_DEP_1) | instskip(NEXT) | instid1(VALU_DEP_1)
	v_cmp_ne_u32_e64 s1, 0x7f800000, v8
	s_and_saveexec_b32 s13, s1
	s_delay_alu instid0(SALU_CYCLE_1)
	s_xor_b32 s1, exec_lo, s13
; %bb.919:                              ;   in Loop: Header=BB409_763 Depth=1
	v_bfe_u32 v8, v7, 16, 1
	s_delay_alu instid0(VALU_DEP_1)
	v_add3_u32 v54, v7, v8, 0x7fff
                                        ; implicit-def: $vgpr7
; %bb.920:                              ;   in Loop: Header=BB409_763 Depth=1
	s_and_not1_saveexec_b32 s13, s1
; %bb.921:                              ;   in Loop: Header=BB409_763 Depth=1
	v_and_b32_e32 v8, 0xffff, v7
	v_or_b32_e32 v9, 0x10000, v7
	s_delay_alu instid0(VALU_DEP_2) | instskip(NEXT) | instid1(VALU_DEP_1)
	v_cmp_eq_u32_e64 s1, 0, v8
	v_cndmask_b32_e64 v54, v9, v7, s1
; %bb.922:                              ;   in Loop: Header=BB409_763 Depth=1
	s_or_b32 exec_lo, exec_lo, s13
	v_and_b32_e32 v81, 0xffff0000, v65
	v_lshlrev_b32_e32 v6, 16, v6
                                        ; implicit-def: $vgpr65
	s_delay_alu instid0(VALU_DEP_1) | instskip(NEXT) | instid1(VALU_DEP_1)
	v_mul_f32_e32 v6, v81, v6
	v_and_b32_e32 v7, 0x7f800000, v6
	s_delay_alu instid0(VALU_DEP_1) | instskip(NEXT) | instid1(VALU_DEP_1)
	v_cmp_ne_u32_e64 s1, 0x7f800000, v7
	s_and_saveexec_b32 s13, s1
	s_delay_alu instid0(SALU_CYCLE_1)
	s_xor_b32 s1, exec_lo, s13
; %bb.923:                              ;   in Loop: Header=BB409_763 Depth=1
	v_bfe_u32 v7, v6, 16, 1
	s_delay_alu instid0(VALU_DEP_1)
	v_add3_u32 v65, v6, v7, 0x7fff
                                        ; implicit-def: $vgpr6
; %bb.924:                              ;   in Loop: Header=BB409_763 Depth=1
	s_and_not1_saveexec_b32 s13, s1
; %bb.925:                              ;   in Loop: Header=BB409_763 Depth=1
	v_and_b32_e32 v7, 0xffff, v6
	v_or_b32_e32 v8, 0x10000, v6
	s_delay_alu instid0(VALU_DEP_2) | instskip(NEXT) | instid1(VALU_DEP_1)
	v_cmp_eq_u32_e64 s1, 0, v7
	v_cndmask_b32_e64 v65, v8, v6, s1
; %bb.926:                              ;   in Loop: Header=BB409_763 Depth=1
	s_or_b32 exec_lo, exec_lo, s13
	flat_load_b64 v[6:7], v[2:3] offset:256
	s_mov_b32 s13, exec_lo
	s_waitcnt vmcnt(0) lgkmcnt(0)
	v_dual_mov_b32 v8, 0 :: v_dual_and_b32 v9, 0xff, v6
	s_delay_alu instid0(VALU_DEP_1)
	v_cmpx_ne_u16_e32 0, v9
	s_cbranch_execz .LBB409_934
; %bb.927:                              ;   in Loop: Header=BB409_763 Depth=1
	v_bfrev_b32_e32 v8, 1
	s_mov_b32 s15, exec_lo
	v_cmpx_ne_u16_e32 0x80, v9
	s_cbranch_execz .LBB409_933
; %bb.928:                              ;   in Loop: Header=BB409_763 Depth=1
	v_and_b32_e32 v9, 0x7f, v6
	v_mov_b32_e32 v8, 0x7f800001
	s_mov_b32 s16, exec_lo
	s_delay_alu instid0(VALU_DEP_2)
	v_cmpx_ne_u32_e32 0x7f, v9
	s_cbranch_execz .LBB409_932
; %bb.929:                              ;   in Loop: Header=BB409_763 Depth=1
	v_lshrrev_b32_e32 v12, 3, v9
	v_cmp_gt_u32_e64 s1, 8, v9
	v_dual_mov_b32 v9, v7 :: v_dual_mov_b32 v8, v6
	s_delay_alu instid0(VALU_DEP_2)
	s_and_saveexec_b32 s17, s1
; %bb.930:                              ;   in Loop: Header=BB409_763 Depth=1
	v_and_b32_e32 v8, 7, v6
	s_delay_alu instid0(VALU_DEP_1) | instskip(NEXT) | instid1(VALU_DEP_1)
	v_clz_i32_u32_e32 v8, v8
	v_min_u32_e32 v12, 32, v8
	s_delay_alu instid0(VALU_DEP_1) | instskip(SKIP_1) | instid1(VALU_DEP_2)
	v_subrev_nc_u32_e32 v8, 28, v12
	v_sub_nc_u32_e32 v12, 29, v12
	v_lshlrev_b64 v[8:9], v8, v[6:7]
; %bb.931:                              ;   in Loop: Header=BB409_763 Depth=1
	s_or_b32 exec_lo, exec_lo, s17
	s_delay_alu instid0(VALU_DEP_1) | instskip(SKIP_2) | instid1(VALU_DEP_3)
	v_lshlrev_b32_e32 v8, 20, v8
	v_lshlrev_b32_e32 v9, 24, v6
	v_lshl_add_u32 v12, v12, 23, 0x3c000000
	v_and_b32_e32 v8, 0x700000, v8
	s_delay_alu instid0(VALU_DEP_3) | instskip(NEXT) | instid1(VALU_DEP_1)
	v_and_b32_e32 v9, 0x80000000, v9
	v_or3_b32 v8, v8, v9, v12
.LBB409_932:                            ;   in Loop: Header=BB409_763 Depth=1
	s_or_b32 exec_lo, exec_lo, s16
.LBB409_933:                            ;   in Loop: Header=BB409_763 Depth=1
	s_delay_alu instid0(SALU_CYCLE_1)
	s_or_b32 exec_lo, exec_lo, s15
.LBB409_934:                            ;   in Loop: Header=BB409_763 Depth=1
	s_delay_alu instid0(SALU_CYCLE_1) | instskip(NEXT) | instid1(VALU_DEP_1)
	s_or_b32 exec_lo, exec_lo, s13
	v_mul_f32_e32 v8, v114, v8
                                        ; implicit-def: $vgpr98
	s_delay_alu instid0(VALU_DEP_1) | instskip(NEXT) | instid1(VALU_DEP_1)
	v_and_b32_e32 v9, 0x7f800000, v8
	v_cmp_ne_u32_e64 s1, 0x7f800000, v9
	s_delay_alu instid0(VALU_DEP_1) | instskip(NEXT) | instid1(SALU_CYCLE_1)
	s_and_saveexec_b32 s13, s1
	s_xor_b32 s1, exec_lo, s13
; %bb.935:                              ;   in Loop: Header=BB409_763 Depth=1
	v_bfe_u32 v9, v8, 16, 1
	s_delay_alu instid0(VALU_DEP_1)
	v_add3_u32 v98, v8, v9, 0x7fff
                                        ; implicit-def: $vgpr8
; %bb.936:                              ;   in Loop: Header=BB409_763 Depth=1
	s_and_not1_saveexec_b32 s13, s1
; %bb.937:                              ;   in Loop: Header=BB409_763 Depth=1
	v_and_b32_e32 v9, 0xffff, v8
	v_or_b32_e32 v12, 0x10000, v8
	s_delay_alu instid0(VALU_DEP_2) | instskip(NEXT) | instid1(VALU_DEP_1)
	v_cmp_eq_u32_e64 s1, 0, v9
	v_cndmask_b32_e64 v98, v12, v8, s1
; %bb.938:                              ;   in Loop: Header=BB409_763 Depth=1
	s_or_b32 exec_lo, exec_lo, s13
	v_lshrrev_b16 v9, 8, v6
	v_mov_b32_e32 v8, 0
	s_mov_b32 s13, exec_lo
	s_delay_alu instid0(VALU_DEP_2)
	v_cmpx_ne_u16_e32 0, v9
	s_cbranch_execz .LBB409_946
; %bb.939:                              ;   in Loop: Header=BB409_763 Depth=1
	v_bfrev_b32_e32 v8, 1
	s_mov_b32 s15, exec_lo
	v_cmpx_ne_u16_e32 0x80, v9
	s_cbranch_execz .LBB409_945
; %bb.940:                              ;   in Loop: Header=BB409_763 Depth=1
	v_and_b32_e32 v12, 0xffff, v9
	v_mov_b32_e32 v8, 0x7f800001
	s_mov_b32 s16, exec_lo
	s_delay_alu instid0(VALU_DEP_2) | instskip(NEXT) | instid1(VALU_DEP_1)
	v_and_b32_e32 v9, 0x7f, v12
	v_cmpx_ne_u32_e32 0x7f, v9
	s_cbranch_execz .LBB409_944
; %bb.941:                              ;   in Loop: Header=BB409_763 Depth=1
	v_and_b32_e32 v12, 7, v12
	v_lshrrev_b32_e32 v8, 3, v9
	s_mov_b32 s17, exec_lo
	v_cmpx_gt_u32_e32 8, v9
; %bb.942:                              ;   in Loop: Header=BB409_763 Depth=1
	s_delay_alu instid0(VALU_DEP_3) | instskip(NEXT) | instid1(VALU_DEP_1)
	v_clz_i32_u32_e32 v8, v12
	v_min_u32_e32 v8, 32, v8
	s_delay_alu instid0(VALU_DEP_1) | instskip(SKIP_1) | instid1(VALU_DEP_2)
	v_subrev_nc_u32_e32 v9, 28, v8
	v_sub_nc_u32_e32 v8, 29, v8
	v_lshlrev_b64 v[99:100], v9, v[12:13]
	s_delay_alu instid0(VALU_DEP_1)
	v_and_b32_e32 v12, 7, v99
; %bb.943:                              ;   in Loop: Header=BB409_763 Depth=1
	s_or_b32 exec_lo, exec_lo, s17
	v_lshlrev_b32_e32 v9, 16, v6
	s_delay_alu instid0(VALU_DEP_2) | instskip(SKIP_1) | instid1(VALU_DEP_3)
	v_lshlrev_b32_e32 v12, 20, v12
	v_lshl_add_u32 v8, v8, 23, 0x3c000000
	v_and_b32_e32 v9, 0x80000000, v9
	s_delay_alu instid0(VALU_DEP_1)
	v_or3_b32 v8, v12, v9, v8
.LBB409_944:                            ;   in Loop: Header=BB409_763 Depth=1
	s_or_b32 exec_lo, exec_lo, s16
.LBB409_945:                            ;   in Loop: Header=BB409_763 Depth=1
	s_delay_alu instid0(SALU_CYCLE_1)
	s_or_b32 exec_lo, exec_lo, s15
.LBB409_946:                            ;   in Loop: Header=BB409_763 Depth=1
	s_delay_alu instid0(SALU_CYCLE_1) | instskip(NEXT) | instid1(VALU_DEP_1)
	s_or_b32 exec_lo, exec_lo, s13
	v_mul_f32_e32 v8, v114, v8
                                        ; implicit-def: $vgpr99
	s_delay_alu instid0(VALU_DEP_1) | instskip(NEXT) | instid1(VALU_DEP_1)
	v_and_b32_e32 v9, 0x7f800000, v8
	v_cmp_ne_u32_e64 s1, 0x7f800000, v9
	s_delay_alu instid0(VALU_DEP_1) | instskip(NEXT) | instid1(SALU_CYCLE_1)
	s_and_saveexec_b32 s13, s1
	s_xor_b32 s1, exec_lo, s13
; %bb.947:                              ;   in Loop: Header=BB409_763 Depth=1
	v_bfe_u32 v9, v8, 16, 1
	s_delay_alu instid0(VALU_DEP_1)
	v_add3_u32 v99, v8, v9, 0x7fff
                                        ; implicit-def: $vgpr8
; %bb.948:                              ;   in Loop: Header=BB409_763 Depth=1
	s_and_not1_saveexec_b32 s13, s1
; %bb.949:                              ;   in Loop: Header=BB409_763 Depth=1
	v_and_b32_e32 v9, 0xffff, v8
	v_or_b32_e32 v12, 0x10000, v8
	s_delay_alu instid0(VALU_DEP_2) | instskip(NEXT) | instid1(VALU_DEP_1)
	v_cmp_eq_u32_e64 s1, 0, v9
	v_cndmask_b32_e64 v99, v12, v8, s1
; %bb.950:                              ;   in Loop: Header=BB409_763 Depth=1
	s_or_b32 exec_lo, exec_lo, s13
	v_lshrrev_b32_e32 v8, 16, v6
	s_mov_b32 s13, exec_lo
	s_delay_alu instid0(VALU_DEP_1) | instskip(NEXT) | instid1(VALU_DEP_1)
	v_dual_mov_b32 v9, 0 :: v_dual_and_b32 v12, 0xff, v8
	v_cmpx_ne_u16_e32 0, v12
	s_cbranch_execz .LBB409_958
; %bb.951:                              ;   in Loop: Header=BB409_763 Depth=1
	v_bfrev_b32_e32 v9, 1
	s_mov_b32 s15, exec_lo
	v_cmpx_ne_u16_e32 0x80, v12
	s_cbranch_execz .LBB409_957
; %bb.952:                              ;   in Loop: Header=BB409_763 Depth=1
	v_bfe_u32 v100, v6, 16, 7
	v_mov_b32_e32 v9, 0x7f800001
	s_mov_b32 s16, exec_lo
	s_delay_alu instid0(VALU_DEP_2)
	v_cmpx_ne_u32_e32 0x7f, v100
	s_cbranch_execz .LBB409_956
; %bb.953:                              ;   in Loop: Header=BB409_763 Depth=1
	v_and_b32_e32 v12, 7, v8
	v_lshrrev_b32_e32 v9, 3, v100
	s_mov_b32 s17, exec_lo
	v_cmpx_gt_u32_e32 8, v100
; %bb.954:                              ;   in Loop: Header=BB409_763 Depth=1
	s_delay_alu instid0(VALU_DEP_3) | instskip(NEXT) | instid1(VALU_DEP_1)
	v_clz_i32_u32_e32 v9, v12
	v_min_u32_e32 v9, 32, v9
	s_delay_alu instid0(VALU_DEP_1) | instskip(SKIP_1) | instid1(VALU_DEP_2)
	v_subrev_nc_u32_e32 v100, 28, v9
	v_sub_nc_u32_e32 v9, 29, v9
	v_lshlrev_b64 v[100:101], v100, v[12:13]
	s_delay_alu instid0(VALU_DEP_1)
	v_and_b32_e32 v12, 7, v100
; %bb.955:                              ;   in Loop: Header=BB409_763 Depth=1
	s_or_b32 exec_lo, exec_lo, s17
	v_lshlrev_b32_e32 v8, 24, v8
	s_delay_alu instid0(VALU_DEP_2) | instskip(SKIP_1) | instid1(VALU_DEP_3)
	v_lshlrev_b32_e32 v12, 20, v12
	v_lshl_add_u32 v9, v9, 23, 0x3c000000
	v_and_b32_e32 v8, 0x80000000, v8
	s_delay_alu instid0(VALU_DEP_1)
	v_or3_b32 v9, v12, v8, v9
.LBB409_956:                            ;   in Loop: Header=BB409_763 Depth=1
	s_or_b32 exec_lo, exec_lo, s16
.LBB409_957:                            ;   in Loop: Header=BB409_763 Depth=1
	s_delay_alu instid0(SALU_CYCLE_1)
	s_or_b32 exec_lo, exec_lo, s15
.LBB409_958:                            ;   in Loop: Header=BB409_763 Depth=1
	s_delay_alu instid0(SALU_CYCLE_1) | instskip(NEXT) | instid1(VALU_DEP_1)
	s_or_b32 exec_lo, exec_lo, s13
	v_mul_f32_e32 v8, v114, v9
                                        ; implicit-def: $vgpr100
	s_delay_alu instid0(VALU_DEP_1) | instskip(NEXT) | instid1(VALU_DEP_1)
	v_and_b32_e32 v9, 0x7f800000, v8
	v_cmp_ne_u32_e64 s1, 0x7f800000, v9
	s_delay_alu instid0(VALU_DEP_1) | instskip(NEXT) | instid1(SALU_CYCLE_1)
	s_and_saveexec_b32 s13, s1
	s_xor_b32 s1, exec_lo, s13
; %bb.959:                              ;   in Loop: Header=BB409_763 Depth=1
	v_bfe_u32 v9, v8, 16, 1
	s_delay_alu instid0(VALU_DEP_1)
	v_add3_u32 v100, v8, v9, 0x7fff
                                        ; implicit-def: $vgpr8
; %bb.960:                              ;   in Loop: Header=BB409_763 Depth=1
	s_and_not1_saveexec_b32 s13, s1
; %bb.961:                              ;   in Loop: Header=BB409_763 Depth=1
	v_and_b32_e32 v9, 0xffff, v8
	v_or_b32_e32 v12, 0x10000, v8
	s_delay_alu instid0(VALU_DEP_2) | instskip(NEXT) | instid1(VALU_DEP_1)
	v_cmp_eq_u32_e64 s1, 0, v9
	v_cndmask_b32_e64 v100, v12, v8, s1
; %bb.962:                              ;   in Loop: Header=BB409_763 Depth=1
	s_or_b32 exec_lo, exec_lo, s13
	v_mov_b32_e32 v9, 0
	s_mov_b32 s13, exec_lo
	v_cmpx_lt_u32_e32 0xffffff, v6
	s_cbranch_execz .LBB409_970
; %bb.963:                              ;   in Loop: Header=BB409_763 Depth=1
	v_lshrrev_b32_e32 v8, 24, v6
	v_bfrev_b32_e32 v9, 1
	s_mov_b32 s15, exec_lo
	s_delay_alu instid0(VALU_DEP_2)
	v_cmpx_ne_u32_e32 0x80, v8
	s_cbranch_execz .LBB409_969
; %bb.964:                              ;   in Loop: Header=BB409_763 Depth=1
	v_bfe_u32 v101, v6, 24, 7
	v_mov_b32_e32 v9, 0x7f800001
	s_mov_b32 s16, exec_lo
	s_delay_alu instid0(VALU_DEP_2)
	v_cmpx_ne_u32_e32 0x7f, v101
	s_cbranch_execz .LBB409_968
; %bb.965:                              ;   in Loop: Header=BB409_763 Depth=1
	v_and_b32_e32 v12, 7, v8
	v_lshrrev_b32_e32 v9, 3, v101
	s_mov_b32 s17, exec_lo
	v_cmpx_gt_u32_e32 8, v101
; %bb.966:                              ;   in Loop: Header=BB409_763 Depth=1
	s_delay_alu instid0(VALU_DEP_3) | instskip(NEXT) | instid1(VALU_DEP_1)
	v_clz_i32_u32_e32 v9, v12
	v_min_u32_e32 v9, 32, v9
	s_delay_alu instid0(VALU_DEP_1) | instskip(SKIP_1) | instid1(VALU_DEP_2)
	v_subrev_nc_u32_e32 v101, 28, v9
	v_sub_nc_u32_e32 v9, 29, v9
	v_lshlrev_b64 v[101:102], v101, v[12:13]
	s_delay_alu instid0(VALU_DEP_1)
	v_and_b32_e32 v12, 7, v101
; %bb.967:                              ;   in Loop: Header=BB409_763 Depth=1
	s_or_b32 exec_lo, exec_lo, s17
	v_lshlrev_b32_e32 v8, 24, v8
	s_delay_alu instid0(VALU_DEP_2) | instskip(SKIP_1) | instid1(VALU_DEP_3)
	v_lshlrev_b32_e32 v12, 20, v12
	v_lshl_add_u32 v9, v9, 23, 0x3c000000
	v_and_b32_e32 v8, 0x80000000, v8
	s_delay_alu instid0(VALU_DEP_1)
	v_or3_b32 v9, v12, v8, v9
.LBB409_968:                            ;   in Loop: Header=BB409_763 Depth=1
	s_or_b32 exec_lo, exec_lo, s16
.LBB409_969:                            ;   in Loop: Header=BB409_763 Depth=1
	s_delay_alu instid0(SALU_CYCLE_1)
	s_or_b32 exec_lo, exec_lo, s15
.LBB409_970:                            ;   in Loop: Header=BB409_763 Depth=1
	s_delay_alu instid0(SALU_CYCLE_1) | instskip(NEXT) | instid1(VALU_DEP_1)
	s_or_b32 exec_lo, exec_lo, s13
	v_mul_f32_e32 v8, v114, v9
                                        ; implicit-def: $vgpr101
	s_delay_alu instid0(VALU_DEP_1) | instskip(NEXT) | instid1(VALU_DEP_1)
	v_and_b32_e32 v9, 0x7f800000, v8
	v_cmp_ne_u32_e64 s1, 0x7f800000, v9
	s_delay_alu instid0(VALU_DEP_1) | instskip(NEXT) | instid1(SALU_CYCLE_1)
	s_and_saveexec_b32 s13, s1
	s_xor_b32 s1, exec_lo, s13
; %bb.971:                              ;   in Loop: Header=BB409_763 Depth=1
	v_bfe_u32 v9, v8, 16, 1
	s_delay_alu instid0(VALU_DEP_1)
	v_add3_u32 v101, v8, v9, 0x7fff
                                        ; implicit-def: $vgpr8
; %bb.972:                              ;   in Loop: Header=BB409_763 Depth=1
	s_and_not1_saveexec_b32 s13, s1
; %bb.973:                              ;   in Loop: Header=BB409_763 Depth=1
	v_and_b32_e32 v9, 0xffff, v8
	v_or_b32_e32 v12, 0x10000, v8
	s_delay_alu instid0(VALU_DEP_2) | instskip(NEXT) | instid1(VALU_DEP_1)
	v_cmp_eq_u32_e64 s1, 0, v9
	v_cndmask_b32_e64 v101, v12, v8, s1
; %bb.974:                              ;   in Loop: Header=BB409_763 Depth=1
	s_or_b32 exec_lo, exec_lo, s13
	v_dual_mov_b32 v12, v7 :: v_dual_and_b32 v9, 0xff, v7
	v_mov_b32_e32 v8, 0
	s_mov_b32 s13, exec_lo
	s_delay_alu instid0(VALU_DEP_2)
	v_cmpx_ne_u16_e32 0, v9
	s_cbranch_execz .LBB409_982
; %bb.975:                              ;   in Loop: Header=BB409_763 Depth=1
	v_bfrev_b32_e32 v8, 1
	s_mov_b32 s15, exec_lo
	v_cmpx_ne_u16_e32 0x80, v9
	s_cbranch_execz .LBB409_981
; %bb.976:                              ;   in Loop: Header=BB409_763 Depth=1
	v_and_b32_e32 v9, 0x7f, v7
	v_mov_b32_e32 v8, 0x7f800001
	s_mov_b32 s16, exec_lo
	s_delay_alu instid0(VALU_DEP_2)
	v_cmpx_ne_u32_e32 0x7f, v9
	s_cbranch_execz .LBB409_980
; %bb.977:                              ;   in Loop: Header=BB409_763 Depth=1
	v_lshrrev_b32_e32 v102, 3, v9
	v_cmp_gt_u32_e64 s1, 8, v9
	v_dual_mov_b32 v8, v12 :: v_dual_mov_b32 v9, v13
	s_delay_alu instid0(VALU_DEP_2)
	s_and_saveexec_b32 s17, s1
; %bb.978:                              ;   in Loop: Header=BB409_763 Depth=1
	v_and_b32_e32 v8, 7, v7
	s_delay_alu instid0(VALU_DEP_1) | instskip(NEXT) | instid1(VALU_DEP_1)
	v_clz_i32_u32_e32 v8, v8
	v_min_u32_e32 v102, 32, v8
	s_delay_alu instid0(VALU_DEP_1) | instskip(SKIP_1) | instid1(VALU_DEP_2)
	v_subrev_nc_u32_e32 v8, 28, v102
	v_sub_nc_u32_e32 v102, 29, v102
	v_lshlrev_b64 v[8:9], v8, v[12:13]
; %bb.979:                              ;   in Loop: Header=BB409_763 Depth=1
	s_or_b32 exec_lo, exec_lo, s17
	s_delay_alu instid0(VALU_DEP_1) | instskip(SKIP_2) | instid1(VALU_DEP_3)
	v_lshlrev_b32_e32 v8, 20, v8
	v_lshlrev_b32_e32 v9, 24, v12
	v_lshl_add_u32 v102, v102, 23, 0x3c000000
	v_and_b32_e32 v8, 0x700000, v8
	s_delay_alu instid0(VALU_DEP_3) | instskip(NEXT) | instid1(VALU_DEP_1)
	v_and_b32_e32 v9, 0x80000000, v9
	v_or3_b32 v8, v8, v9, v102
.LBB409_980:                            ;   in Loop: Header=BB409_763 Depth=1
	s_or_b32 exec_lo, exec_lo, s16
.LBB409_981:                            ;   in Loop: Header=BB409_763 Depth=1
	s_delay_alu instid0(SALU_CYCLE_1)
	s_or_b32 exec_lo, exec_lo, s15
.LBB409_982:                            ;   in Loop: Header=BB409_763 Depth=1
	s_delay_alu instid0(SALU_CYCLE_1) | instskip(NEXT) | instid1(VALU_DEP_1)
	s_or_b32 exec_lo, exec_lo, s13
	v_mul_f32_e32 v8, v114, v8
                                        ; implicit-def: $vgpr102
	s_delay_alu instid0(VALU_DEP_1) | instskip(NEXT) | instid1(VALU_DEP_1)
	v_and_b32_e32 v9, 0x7f800000, v8
	v_cmp_ne_u32_e64 s1, 0x7f800000, v9
	s_delay_alu instid0(VALU_DEP_1) | instskip(NEXT) | instid1(SALU_CYCLE_1)
	s_and_saveexec_b32 s13, s1
	s_xor_b32 s1, exec_lo, s13
; %bb.983:                              ;   in Loop: Header=BB409_763 Depth=1
	v_bfe_u32 v9, v8, 16, 1
	s_delay_alu instid0(VALU_DEP_1)
	v_add3_u32 v102, v8, v9, 0x7fff
                                        ; implicit-def: $vgpr8
; %bb.984:                              ;   in Loop: Header=BB409_763 Depth=1
	s_and_not1_saveexec_b32 s13, s1
; %bb.985:                              ;   in Loop: Header=BB409_763 Depth=1
	v_and_b32_e32 v9, 0xffff, v8
	v_or_b32_e32 v102, 0x10000, v8
	s_delay_alu instid0(VALU_DEP_2) | instskip(NEXT) | instid1(VALU_DEP_1)
	v_cmp_eq_u32_e64 s1, 0, v9
	v_cndmask_b32_e64 v102, v102, v8, s1
; %bb.986:                              ;   in Loop: Header=BB409_763 Depth=1
	s_or_b32 exec_lo, exec_lo, s13
	v_lshrrev_b16 v9, 8, v12
	v_mov_b32_e32 v8, 0
	s_mov_b32 s13, exec_lo
	s_delay_alu instid0(VALU_DEP_2)
	v_cmpx_ne_u16_e32 0, v9
	s_cbranch_execz .LBB409_994
; %bb.987:                              ;   in Loop: Header=BB409_763 Depth=1
	v_bfrev_b32_e32 v8, 1
	s_mov_b32 s15, exec_lo
	v_cmpx_ne_u16_e32 0x80, v9
	s_cbranch_execz .LBB409_993
; %bb.988:                              ;   in Loop: Header=BB409_763 Depth=1
	v_and_b32_e32 v9, 0xffff, v9
	v_mov_b32_e32 v8, 0x7f800001
	s_mov_b32 s16, exec_lo
	s_delay_alu instid0(VALU_DEP_2) | instskip(NEXT) | instid1(VALU_DEP_1)
	v_and_b32_e32 v112, 0x7f, v9
	v_cmpx_ne_u32_e32 0x7f, v112
	s_cbranch_execz .LBB409_992
; %bb.989:                              ;   in Loop: Header=BB409_763 Depth=1
	v_dual_mov_b32 v9, v13 :: v_dual_and_b32 v8, 7, v9
	v_lshrrev_b32_e32 v103, 3, v112
	s_mov_b32 s17, exec_lo
	v_cmpx_gt_u32_e32 8, v112
; %bb.990:                              ;   in Loop: Header=BB409_763 Depth=1
	s_delay_alu instid0(VALU_DEP_3) | instskip(NEXT) | instid1(VALU_DEP_1)
	v_clz_i32_u32_e32 v103, v8
	v_min_u32_e32 v103, 32, v103
	s_delay_alu instid0(VALU_DEP_1) | instskip(SKIP_1) | instid1(VALU_DEP_2)
	v_subrev_nc_u32_e32 v112, 28, v103
	v_sub_nc_u32_e32 v103, 29, v103
	v_lshlrev_b64 v[8:9], v112, v[8:9]
	s_delay_alu instid0(VALU_DEP_1)
	v_and_b32_e32 v8, 7, v8
; %bb.991:                              ;   in Loop: Header=BB409_763 Depth=1
	s_or_b32 exec_lo, exec_lo, s17
	v_lshlrev_b32_e32 v9, 16, v12
	s_delay_alu instid0(VALU_DEP_2) | instskip(SKIP_1) | instid1(VALU_DEP_3)
	v_lshlrev_b32_e32 v8, 20, v8
	v_lshl_add_u32 v12, v103, 23, 0x3c000000
	v_and_b32_e32 v9, 0x80000000, v9
	s_delay_alu instid0(VALU_DEP_1)
	v_or3_b32 v8, v8, v9, v12
.LBB409_992:                            ;   in Loop: Header=BB409_763 Depth=1
	s_or_b32 exec_lo, exec_lo, s16
.LBB409_993:                            ;   in Loop: Header=BB409_763 Depth=1
	s_delay_alu instid0(SALU_CYCLE_1)
	s_or_b32 exec_lo, exec_lo, s15
.LBB409_994:                            ;   in Loop: Header=BB409_763 Depth=1
	s_delay_alu instid0(SALU_CYCLE_1) | instskip(NEXT) | instid1(VALU_DEP_1)
	s_or_b32 exec_lo, exec_lo, s13
	v_mul_f32_e32 v9, v114, v8
	s_delay_alu instid0(VALU_DEP_1) | instskip(NEXT) | instid1(VALU_DEP_1)
	v_and_b32_e32 v8, 0x7f800000, v9
	v_cmp_ne_u32_e64 s1, 0x7f800000, v8
                                        ; implicit-def: $vgpr8
	s_delay_alu instid0(VALU_DEP_1) | instskip(NEXT) | instid1(SALU_CYCLE_1)
	s_and_saveexec_b32 s13, s1
	s_xor_b32 s1, exec_lo, s13
; %bb.995:                              ;   in Loop: Header=BB409_763 Depth=1
	v_bfe_u32 v8, v9, 16, 1
	s_delay_alu instid0(VALU_DEP_1)
	v_add3_u32 v8, v9, v8, 0x7fff
                                        ; implicit-def: $vgpr9
; %bb.996:                              ;   in Loop: Header=BB409_763 Depth=1
	s_and_not1_saveexec_b32 s13, s1
; %bb.997:                              ;   in Loop: Header=BB409_763 Depth=1
	v_and_b32_e32 v8, 0xffff, v9
	v_or_b32_e32 v12, 0x10000, v9
	s_delay_alu instid0(VALU_DEP_2) | instskip(NEXT) | instid1(VALU_DEP_1)
	v_cmp_eq_u32_e64 s1, 0, v8
	v_cndmask_b32_e64 v8, v12, v9, s1
; %bb.998:                              ;   in Loop: Header=BB409_763 Depth=1
	s_or_b32 exec_lo, exec_lo, s13
	v_lshrrev_b32_e32 v9, 16, v7
	s_mov_b32 s13, exec_lo
	s_delay_alu instid0(VALU_DEP_1) | instskip(NEXT) | instid1(VALU_DEP_1)
	v_dual_mov_b32 v12, 0 :: v_dual_and_b32 v103, 0xff, v9
	v_cmpx_ne_u16_e32 0, v103
	s_cbranch_execz .LBB409_1006
; %bb.999:                              ;   in Loop: Header=BB409_763 Depth=1
	v_bfrev_b32_e32 v12, 1
	s_mov_b32 s15, exec_lo
	v_cmpx_ne_u16_e32 0x80, v103
	s_cbranch_execz .LBB409_1005
; %bb.1000:                             ;   in Loop: Header=BB409_763 Depth=1
	v_bfe_u32 v112, v7, 16, 7
	v_mov_b32_e32 v12, 0x7f800001
	s_mov_b32 s16, exec_lo
	s_delay_alu instid0(VALU_DEP_2)
	v_cmpx_ne_u32_e32 0x7f, v112
	s_cbranch_execz .LBB409_1004
; %bb.1001:                             ;   in Loop: Header=BB409_763 Depth=1
	v_and_b32_e32 v12, 7, v9
	v_lshrrev_b32_e32 v103, 3, v112
	s_mov_b32 s17, exec_lo
	v_cmpx_gt_u32_e32 8, v112
; %bb.1002:                             ;   in Loop: Header=BB409_763 Depth=1
	s_delay_alu instid0(VALU_DEP_3) | instskip(NEXT) | instid1(VALU_DEP_1)
	v_clz_i32_u32_e32 v103, v12
	v_min_u32_e32 v103, 32, v103
	s_delay_alu instid0(VALU_DEP_1) | instskip(SKIP_1) | instid1(VALU_DEP_2)
	v_subrev_nc_u32_e32 v112, 28, v103
	v_sub_nc_u32_e32 v103, 29, v103
	v_lshlrev_b64 v[112:113], v112, v[12:13]
	s_delay_alu instid0(VALU_DEP_1)
	v_and_b32_e32 v12, 7, v112
; %bb.1003:                             ;   in Loop: Header=BB409_763 Depth=1
	s_or_b32 exec_lo, exec_lo, s17
	v_lshlrev_b32_e32 v9, 24, v9
	s_delay_alu instid0(VALU_DEP_2) | instskip(SKIP_1) | instid1(VALU_DEP_3)
	v_lshlrev_b32_e32 v12, 20, v12
	v_lshl_add_u32 v103, v103, 23, 0x3c000000
	v_and_b32_e32 v9, 0x80000000, v9
	s_delay_alu instid0(VALU_DEP_1)
	v_or3_b32 v12, v12, v9, v103
.LBB409_1004:                           ;   in Loop: Header=BB409_763 Depth=1
	s_or_b32 exec_lo, exec_lo, s16
.LBB409_1005:                           ;   in Loop: Header=BB409_763 Depth=1
	s_delay_alu instid0(SALU_CYCLE_1)
	s_or_b32 exec_lo, exec_lo, s15
.LBB409_1006:                           ;   in Loop: Header=BB409_763 Depth=1
	s_delay_alu instid0(SALU_CYCLE_1) | instskip(NEXT) | instid1(VALU_DEP_1)
	s_or_b32 exec_lo, exec_lo, s13
	v_mul_f32_e32 v9, v114, v12
                                        ; implicit-def: $vgpr103
	s_delay_alu instid0(VALU_DEP_1) | instskip(NEXT) | instid1(VALU_DEP_1)
	v_and_b32_e32 v12, 0x7f800000, v9
	v_cmp_ne_u32_e64 s1, 0x7f800000, v12
	s_delay_alu instid0(VALU_DEP_1) | instskip(NEXT) | instid1(SALU_CYCLE_1)
	s_and_saveexec_b32 s13, s1
	s_xor_b32 s1, exec_lo, s13
; %bb.1007:                             ;   in Loop: Header=BB409_763 Depth=1
	v_bfe_u32 v12, v9, 16, 1
	s_delay_alu instid0(VALU_DEP_1)
	v_add3_u32 v103, v9, v12, 0x7fff
                                        ; implicit-def: $vgpr9
; %bb.1008:                             ;   in Loop: Header=BB409_763 Depth=1
	s_and_not1_saveexec_b32 s13, s1
; %bb.1009:                             ;   in Loop: Header=BB409_763 Depth=1
	v_and_b32_e32 v12, 0xffff, v9
	v_or_b32_e32 v103, 0x10000, v9
	s_delay_alu instid0(VALU_DEP_2) | instskip(NEXT) | instid1(VALU_DEP_1)
	v_cmp_eq_u32_e64 s1, 0, v12
	v_cndmask_b32_e64 v103, v103, v9, s1
; %bb.1010:                             ;   in Loop: Header=BB409_763 Depth=1
	s_or_b32 exec_lo, exec_lo, s13
	v_mov_b32_e32 v9, 0
	s_mov_b32 s13, exec_lo
	v_cmpx_lt_u64_e64 s[8:9], v[6:7]
	s_cbranch_execz .LBB409_1018
; %bb.1011:                             ;   in Loop: Header=BB409_763 Depth=1
	v_lshrrev_b32_e32 v6, 24, v7
	v_bfrev_b32_e32 v9, 1
	s_mov_b32 s15, exec_lo
	s_delay_alu instid0(VALU_DEP_2)
	v_cmpx_ne_u32_e32 0x80, v6
	s_cbranch_execz .LBB409_1017
; %bb.1012:                             ;   in Loop: Header=BB409_763 Depth=1
	v_bfe_u32 v112, v7, 24, 7
	v_mov_b32_e32 v9, 0x7f800001
	s_mov_b32 s16, exec_lo
	s_delay_alu instid0(VALU_DEP_2)
	v_cmpx_ne_u32_e32 0x7f, v112
	s_cbranch_execz .LBB409_1016
; %bb.1013:                             ;   in Loop: Header=BB409_763 Depth=1
	v_and_b32_e32 v12, 7, v6
	v_lshrrev_b32_e32 v7, 3, v112
	s_mov_b32 s17, exec_lo
	v_cmpx_gt_u32_e32 8, v112
; %bb.1014:                             ;   in Loop: Header=BB409_763 Depth=1
	s_delay_alu instid0(VALU_DEP_3) | instskip(NEXT) | instid1(VALU_DEP_1)
	v_clz_i32_u32_e32 v7, v12
	v_min_u32_e32 v7, 32, v7
	s_delay_alu instid0(VALU_DEP_1) | instskip(SKIP_1) | instid1(VALU_DEP_2)
	v_subrev_nc_u32_e32 v9, 28, v7
	v_sub_nc_u32_e32 v7, 29, v7
	v_lshlrev_b64 v[112:113], v9, v[12:13]
	s_delay_alu instid0(VALU_DEP_1)
	v_and_b32_e32 v12, 7, v112
; %bb.1015:                             ;   in Loop: Header=BB409_763 Depth=1
	s_or_b32 exec_lo, exec_lo, s17
	v_lshlrev_b32_e32 v6, 24, v6
	s_delay_alu instid0(VALU_DEP_2) | instskip(SKIP_1) | instid1(VALU_DEP_3)
	v_lshlrev_b32_e32 v9, 20, v12
	v_lshl_add_u32 v7, v7, 23, 0x3c000000
	v_and_b32_e32 v6, 0x80000000, v6
	s_delay_alu instid0(VALU_DEP_1)
	v_or3_b32 v9, v9, v6, v7
.LBB409_1016:                           ;   in Loop: Header=BB409_763 Depth=1
	s_or_b32 exec_lo, exec_lo, s16
.LBB409_1017:                           ;   in Loop: Header=BB409_763 Depth=1
	s_delay_alu instid0(SALU_CYCLE_1)
	s_or_b32 exec_lo, exec_lo, s15
.LBB409_1018:                           ;   in Loop: Header=BB409_763 Depth=1
	s_delay_alu instid0(SALU_CYCLE_1) | instskip(NEXT) | instid1(VALU_DEP_1)
	s_or_b32 exec_lo, exec_lo, s13
	v_mul_f32_e32 v7, v114, v9
	s_delay_alu instid0(VALU_DEP_1) | instskip(NEXT) | instid1(VALU_DEP_1)
	v_and_b32_e32 v6, 0x7f800000, v7
	v_cmp_ne_u32_e64 s1, 0x7f800000, v6
                                        ; implicit-def: $vgpr6
	s_delay_alu instid0(VALU_DEP_1) | instskip(NEXT) | instid1(SALU_CYCLE_1)
	s_and_saveexec_b32 s13, s1
	s_xor_b32 s1, exec_lo, s13
; %bb.1019:                             ;   in Loop: Header=BB409_763 Depth=1
	v_bfe_u32 v6, v7, 16, 1
	s_delay_alu instid0(VALU_DEP_1)
	v_add3_u32 v6, v7, v6, 0x7fff
                                        ; implicit-def: $vgpr7
; %bb.1020:                             ;   in Loop: Header=BB409_763 Depth=1
	s_and_not1_saveexec_b32 s13, s1
; %bb.1021:                             ;   in Loop: Header=BB409_763 Depth=1
	v_and_b32_e32 v6, 0xffff, v7
	v_or_b32_e32 v9, 0x10000, v7
	s_delay_alu instid0(VALU_DEP_2) | instskip(NEXT) | instid1(VALU_DEP_1)
	v_cmp_eq_u32_e64 s1, 0, v6
	v_cndmask_b32_e64 v6, v9, v7, s1
; %bb.1022:                             ;   in Loop: Header=BB409_763 Depth=1
	s_or_b32 exec_lo, exec_lo, s13
	v_lshrrev_b32_e32 v8, 16, v8
	v_lshrrev_b32_e32 v9, 16, v102
	;; [unrolled: 1-line block ×8, first 2 shown]
	s_and_saveexec_b32 s13, s0
	s_cbranch_execz .LBB409_1024
; %bb.1023:                             ;   in Loop: Header=BB409_763 Depth=1
	v_add_nc_u32_e32 v101, 1, v55
	v_cmp_lt_i32_e64 s1, v55, v83
	v_add_nc_u32_e32 v102, 2, v55
	v_add_nc_u32_e32 v103, 3, v55
	s_delay_alu instid0(VALU_DEP_3) | instskip(SKIP_2) | instid1(VALU_DEP_2)
	v_cndmask_b32_e64 v98, 0, v98, s1
	v_cmp_lt_i32_e64 s1, v101, v83
	v_add_nc_u32_e32 v101, 4, v55
	v_cndmask_b32_e64 v99, 0, v99, s1
	v_cmp_lt_i32_e64 s1, v102, v83
	v_add_nc_u32_e32 v102, 5, v55
	s_delay_alu instid0(VALU_DEP_2) | instskip(SKIP_2) | instid1(VALU_DEP_2)
	v_cndmask_b32_e64 v100, 0, v100, s1
	v_cmp_lt_i32_e64 s1, v103, v83
	v_add_nc_u32_e32 v103, 6, v55
	v_cndmask_b32_e64 v12, 0, v12, s1
	v_cmp_lt_i32_e64 s1, v101, v83
	v_add_nc_u32_e32 v101, 7, v55
	s_delay_alu instid0(VALU_DEP_2) | instskip(SKIP_1) | instid1(VALU_DEP_1)
	v_cndmask_b32_e64 v9, 0, v9, s1
	v_cmp_lt_i32_e64 s1, v102, v83
	v_cndmask_b32_e64 v8, 0, v8, s1
	v_cmp_lt_i32_e64 s1, v103, v83
	s_delay_alu instid0(VALU_DEP_1) | instskip(SKIP_1) | instid1(VALU_DEP_1)
	v_cndmask_b32_e64 v7, 0, v7, s1
	v_cmp_lt_i32_e64 s1, v101, v83
	v_cndmask_b32_e64 v6, 0, v6, s1
.LBB409_1024:                           ;   in Loop: Header=BB409_763 Depth=1
	s_or_b32 exec_lo, exec_lo, s13
	v_lshlrev_b32_e32 v98, 16, v98
	s_delay_alu instid0(VALU_DEP_1) | instskip(NEXT) | instid1(VALU_DEP_1)
	v_mul_f32_e32 v101, v66, v98
	v_and_b32_e32 v98, 0x7f800000, v101
	s_delay_alu instid0(VALU_DEP_1) | instskip(NEXT) | instid1(VALU_DEP_1)
	v_cmp_ne_u32_e64 s1, 0x7f800000, v98
                                        ; implicit-def: $vgpr98
	s_and_saveexec_b32 s13, s1
	s_delay_alu instid0(SALU_CYCLE_1)
	s_xor_b32 s1, exec_lo, s13
; %bb.1025:                             ;   in Loop: Header=BB409_763 Depth=1
	v_bfe_u32 v98, v101, 16, 1
	s_delay_alu instid0(VALU_DEP_1)
	v_add3_u32 v98, v101, v98, 0x7fff
                                        ; implicit-def: $vgpr101
; %bb.1026:                             ;   in Loop: Header=BB409_763 Depth=1
	s_and_not1_saveexec_b32 s13, s1
; %bb.1027:                             ;   in Loop: Header=BB409_763 Depth=1
	v_and_b32_e32 v98, 0xffff, v101
	v_or_b32_e32 v102, 0x10000, v101
	s_delay_alu instid0(VALU_DEP_2) | instskip(NEXT) | instid1(VALU_DEP_1)
	v_cmp_eq_u32_e64 s1, 0, v98
	v_cndmask_b32_e64 v98, v102, v101, s1
; %bb.1028:                             ;   in Loop: Header=BB409_763 Depth=1
	s_or_b32 exec_lo, exec_lo, s13
	v_lshlrev_b32_e32 v99, 16, v99
	s_delay_alu instid0(VALU_DEP_1) | instskip(NEXT) | instid1(VALU_DEP_1)
	v_mul_f32_e32 v101, v67, v99
	v_and_b32_e32 v99, 0x7f800000, v101
	s_delay_alu instid0(VALU_DEP_1) | instskip(NEXT) | instid1(VALU_DEP_1)
	v_cmp_ne_u32_e64 s1, 0x7f800000, v99
                                        ; implicit-def: $vgpr99
	s_and_saveexec_b32 s13, s1
	s_delay_alu instid0(SALU_CYCLE_1)
	s_xor_b32 s1, exec_lo, s13
; %bb.1029:                             ;   in Loop: Header=BB409_763 Depth=1
	v_bfe_u32 v99, v101, 16, 1
	s_delay_alu instid0(VALU_DEP_1)
	v_add3_u32 v99, v101, v99, 0x7fff
                                        ; implicit-def: $vgpr101
; %bb.1030:                             ;   in Loop: Header=BB409_763 Depth=1
	s_and_not1_saveexec_b32 s13, s1
; %bb.1031:                             ;   in Loop: Header=BB409_763 Depth=1
	v_and_b32_e32 v99, 0xffff, v101
	v_or_b32_e32 v102, 0x10000, v101
	s_delay_alu instid0(VALU_DEP_2) | instskip(NEXT) | instid1(VALU_DEP_1)
	v_cmp_eq_u32_e64 s1, 0, v99
	v_cndmask_b32_e64 v99, v102, v101, s1
; %bb.1032:                             ;   in Loop: Header=BB409_763 Depth=1
	s_or_b32 exec_lo, exec_lo, s13
	v_lshlrev_b32_e32 v100, 16, v100
	s_delay_alu instid0(VALU_DEP_1) | instskip(NEXT) | instid1(VALU_DEP_1)
	v_mul_f32_e32 v101, v68, v100
	v_and_b32_e32 v100, 0x7f800000, v101
	s_delay_alu instid0(VALU_DEP_1) | instskip(NEXT) | instid1(VALU_DEP_1)
	v_cmp_ne_u32_e64 s1, 0x7f800000, v100
                                        ; implicit-def: $vgpr100
	s_and_saveexec_b32 s13, s1
	s_delay_alu instid0(SALU_CYCLE_1)
	s_xor_b32 s1, exec_lo, s13
; %bb.1033:                             ;   in Loop: Header=BB409_763 Depth=1
	v_bfe_u32 v100, v101, 16, 1
	s_delay_alu instid0(VALU_DEP_1)
	v_add3_u32 v100, v101, v100, 0x7fff
                                        ; implicit-def: $vgpr101
; %bb.1034:                             ;   in Loop: Header=BB409_763 Depth=1
	s_and_not1_saveexec_b32 s13, s1
; %bb.1035:                             ;   in Loop: Header=BB409_763 Depth=1
	v_and_b32_e32 v100, 0xffff, v101
	v_or_b32_e32 v102, 0x10000, v101
	s_delay_alu instid0(VALU_DEP_2) | instskip(NEXT) | instid1(VALU_DEP_1)
	v_cmp_eq_u32_e64 s1, 0, v100
	v_cndmask_b32_e64 v100, v102, v101, s1
; %bb.1036:                             ;   in Loop: Header=BB409_763 Depth=1
	s_or_b32 exec_lo, exec_lo, s13
	v_lshlrev_b32_e32 v12, 16, v12
	s_delay_alu instid0(VALU_DEP_1) | instskip(NEXT) | instid1(VALU_DEP_1)
	v_mul_f32_e32 v12, v69, v12
	v_and_b32_e32 v101, 0x7f800000, v12
	s_delay_alu instid0(VALU_DEP_1) | instskip(NEXT) | instid1(VALU_DEP_1)
	v_cmp_ne_u32_e64 s1, 0x7f800000, v101
                                        ; implicit-def: $vgpr101
	s_and_saveexec_b32 s13, s1
	s_delay_alu instid0(SALU_CYCLE_1)
	s_xor_b32 s1, exec_lo, s13
; %bb.1037:                             ;   in Loop: Header=BB409_763 Depth=1
	v_bfe_u32 v101, v12, 16, 1
	s_delay_alu instid0(VALU_DEP_1)
	v_add3_u32 v101, v12, v101, 0x7fff
                                        ; implicit-def: $vgpr12
; %bb.1038:                             ;   in Loop: Header=BB409_763 Depth=1
	s_and_not1_saveexec_b32 s13, s1
; %bb.1039:                             ;   in Loop: Header=BB409_763 Depth=1
	v_and_b32_e32 v101, 0xffff, v12
	v_or_b32_e32 v102, 0x10000, v12
	s_delay_alu instid0(VALU_DEP_2) | instskip(NEXT) | instid1(VALU_DEP_1)
	v_cmp_eq_u32_e64 s1, 0, v101
	v_cndmask_b32_e64 v101, v102, v12, s1
; %bb.1040:                             ;   in Loop: Header=BB409_763 Depth=1
	s_or_b32 exec_lo, exec_lo, s13
	v_lshlrev_b32_e32 v9, 16, v9
                                        ; implicit-def: $vgpr102
	s_delay_alu instid0(VALU_DEP_1) | instskip(NEXT) | instid1(VALU_DEP_1)
	v_mul_f32_e32 v9, v70, v9
	v_and_b32_e32 v12, 0x7f800000, v9
	s_delay_alu instid0(VALU_DEP_1) | instskip(NEXT) | instid1(VALU_DEP_1)
	v_cmp_ne_u32_e64 s1, 0x7f800000, v12
	s_and_saveexec_b32 s13, s1
	s_delay_alu instid0(SALU_CYCLE_1)
	s_xor_b32 s1, exec_lo, s13
; %bb.1041:                             ;   in Loop: Header=BB409_763 Depth=1
	v_bfe_u32 v12, v9, 16, 1
	s_delay_alu instid0(VALU_DEP_1)
	v_add3_u32 v102, v9, v12, 0x7fff
                                        ; implicit-def: $vgpr9
; %bb.1042:                             ;   in Loop: Header=BB409_763 Depth=1
	s_and_not1_saveexec_b32 s13, s1
; %bb.1043:                             ;   in Loop: Header=BB409_763 Depth=1
	v_and_b32_e32 v12, 0xffff, v9
	v_or_b32_e32 v102, 0x10000, v9
	s_delay_alu instid0(VALU_DEP_2) | instskip(NEXT) | instid1(VALU_DEP_1)
	v_cmp_eq_u32_e64 s1, 0, v12
	v_cndmask_b32_e64 v102, v102, v9, s1
; %bb.1044:                             ;   in Loop: Header=BB409_763 Depth=1
	s_or_b32 exec_lo, exec_lo, s13
	v_lshlrev_b32_e32 v8, 16, v8
                                        ; implicit-def: $vgpr103
	s_delay_alu instid0(VALU_DEP_1) | instskip(NEXT) | instid1(VALU_DEP_1)
	v_mul_f32_e32 v8, v71, v8
	v_and_b32_e32 v9, 0x7f800000, v8
	s_delay_alu instid0(VALU_DEP_1) | instskip(NEXT) | instid1(VALU_DEP_1)
	v_cmp_ne_u32_e64 s1, 0x7f800000, v9
	s_and_saveexec_b32 s13, s1
	s_delay_alu instid0(SALU_CYCLE_1)
	s_xor_b32 s1, exec_lo, s13
; %bb.1045:                             ;   in Loop: Header=BB409_763 Depth=1
	v_bfe_u32 v9, v8, 16, 1
	s_delay_alu instid0(VALU_DEP_1)
	v_add3_u32 v103, v8, v9, 0x7fff
                                        ; implicit-def: $vgpr8
; %bb.1046:                             ;   in Loop: Header=BB409_763 Depth=1
	s_and_not1_saveexec_b32 s13, s1
; %bb.1047:                             ;   in Loop: Header=BB409_763 Depth=1
	v_and_b32_e32 v9, 0xffff, v8
	v_or_b32_e32 v12, 0x10000, v8
	s_delay_alu instid0(VALU_DEP_2) | instskip(NEXT) | instid1(VALU_DEP_1)
	v_cmp_eq_u32_e64 s1, 0, v9
	v_cndmask_b32_e64 v103, v12, v8, s1
; %bb.1048:                             ;   in Loop: Header=BB409_763 Depth=1
	s_or_b32 exec_lo, exec_lo, s13
	v_lshlrev_b32_e32 v7, 16, v7
                                        ; implicit-def: $vgpr112
	s_delay_alu instid0(VALU_DEP_1) | instskip(NEXT) | instid1(VALU_DEP_1)
	v_mul_f32_e32 v7, v80, v7
	v_and_b32_e32 v8, 0x7f800000, v7
	s_delay_alu instid0(VALU_DEP_1) | instskip(NEXT) | instid1(VALU_DEP_1)
	v_cmp_ne_u32_e64 s1, 0x7f800000, v8
	s_and_saveexec_b32 s13, s1
	s_delay_alu instid0(SALU_CYCLE_1)
	s_xor_b32 s1, exec_lo, s13
; %bb.1049:                             ;   in Loop: Header=BB409_763 Depth=1
	v_bfe_u32 v8, v7, 16, 1
	s_delay_alu instid0(VALU_DEP_1)
	v_add3_u32 v112, v7, v8, 0x7fff
                                        ; implicit-def: $vgpr7
; %bb.1050:                             ;   in Loop: Header=BB409_763 Depth=1
	s_and_not1_saveexec_b32 s13, s1
; %bb.1051:                             ;   in Loop: Header=BB409_763 Depth=1
	v_and_b32_e32 v8, 0xffff, v7
	v_or_b32_e32 v9, 0x10000, v7
	s_delay_alu instid0(VALU_DEP_2) | instskip(NEXT) | instid1(VALU_DEP_1)
	v_cmp_eq_u32_e64 s1, 0, v8
	v_cndmask_b32_e64 v112, v9, v7, s1
; %bb.1052:                             ;   in Loop: Header=BB409_763 Depth=1
	s_or_b32 exec_lo, exec_lo, s13
	v_lshlrev_b32_e32 v6, 16, v6
                                        ; implicit-def: $vgpr113
	s_delay_alu instid0(VALU_DEP_1) | instskip(NEXT) | instid1(VALU_DEP_1)
	v_mul_f32_e32 v6, v81, v6
	v_and_b32_e32 v7, 0x7f800000, v6
	s_delay_alu instid0(VALU_DEP_1) | instskip(NEXT) | instid1(VALU_DEP_1)
	v_cmp_ne_u32_e64 s1, 0x7f800000, v7
	s_and_saveexec_b32 s13, s1
	s_delay_alu instid0(SALU_CYCLE_1)
	s_xor_b32 s1, exec_lo, s13
; %bb.1053:                             ;   in Loop: Header=BB409_763 Depth=1
	v_bfe_u32 v7, v6, 16, 1
	s_delay_alu instid0(VALU_DEP_1)
	v_add3_u32 v113, v6, v7, 0x7fff
                                        ; implicit-def: $vgpr6
; %bb.1054:                             ;   in Loop: Header=BB409_763 Depth=1
	s_and_not1_saveexec_b32 s13, s1
; %bb.1055:                             ;   in Loop: Header=BB409_763 Depth=1
	v_and_b32_e32 v7, 0xffff, v6
	v_or_b32_e32 v8, 0x10000, v6
	s_delay_alu instid0(VALU_DEP_2) | instskip(NEXT) | instid1(VALU_DEP_1)
	v_cmp_eq_u32_e64 s1, 0, v7
	v_cndmask_b32_e64 v113, v8, v6, s1
; %bb.1056:                             ;   in Loop: Header=BB409_763 Depth=1
	s_or_b32 exec_lo, exec_lo, s13
	flat_load_b64 v[6:7], v[2:3] offset:512
	s_mov_b32 s13, exec_lo
	s_waitcnt vmcnt(0) lgkmcnt(0)
	v_dual_mov_b32 v8, 0 :: v_dual_and_b32 v9, 0xff, v6
	s_delay_alu instid0(VALU_DEP_1)
	v_cmpx_ne_u16_e32 0, v9
	s_cbranch_execz .LBB409_1064
; %bb.1057:                             ;   in Loop: Header=BB409_763 Depth=1
	v_bfrev_b32_e32 v8, 1
	s_mov_b32 s15, exec_lo
	v_cmpx_ne_u16_e32 0x80, v9
	s_cbranch_execz .LBB409_1063
; %bb.1058:                             ;   in Loop: Header=BB409_763 Depth=1
	v_and_b32_e32 v9, 0x7f, v6
	v_mov_b32_e32 v8, 0x7f800001
	s_mov_b32 s16, exec_lo
	s_delay_alu instid0(VALU_DEP_2)
	v_cmpx_ne_u32_e32 0x7f, v9
	s_cbranch_execz .LBB409_1062
; %bb.1059:                             ;   in Loop: Header=BB409_763 Depth=1
	v_lshrrev_b32_e32 v12, 3, v9
	v_cmp_gt_u32_e64 s1, 8, v9
	v_dual_mov_b32 v9, v7 :: v_dual_mov_b32 v8, v6
	s_delay_alu instid0(VALU_DEP_2)
	s_and_saveexec_b32 s17, s1
; %bb.1060:                             ;   in Loop: Header=BB409_763 Depth=1
	v_and_b32_e32 v8, 7, v6
	s_delay_alu instid0(VALU_DEP_1) | instskip(NEXT) | instid1(VALU_DEP_1)
	v_clz_i32_u32_e32 v8, v8
	v_min_u32_e32 v12, 32, v8
	s_delay_alu instid0(VALU_DEP_1) | instskip(SKIP_1) | instid1(VALU_DEP_2)
	v_subrev_nc_u32_e32 v8, 28, v12
	v_sub_nc_u32_e32 v12, 29, v12
	v_lshlrev_b64 v[8:9], v8, v[6:7]
; %bb.1061:                             ;   in Loop: Header=BB409_763 Depth=1
	s_or_b32 exec_lo, exec_lo, s17
	s_delay_alu instid0(VALU_DEP_1) | instskip(SKIP_2) | instid1(VALU_DEP_3)
	v_lshlrev_b32_e32 v8, 20, v8
	v_lshlrev_b32_e32 v9, 24, v6
	v_lshl_add_u32 v12, v12, 23, 0x3c000000
	v_and_b32_e32 v8, 0x700000, v8
	s_delay_alu instid0(VALU_DEP_3) | instskip(NEXT) | instid1(VALU_DEP_1)
	v_and_b32_e32 v9, 0x80000000, v9
	v_or3_b32 v8, v8, v9, v12
.LBB409_1062:                           ;   in Loop: Header=BB409_763 Depth=1
	s_or_b32 exec_lo, exec_lo, s16
.LBB409_1063:                           ;   in Loop: Header=BB409_763 Depth=1
	s_delay_alu instid0(SALU_CYCLE_1)
	s_or_b32 exec_lo, exec_lo, s15
.LBB409_1064:                           ;   in Loop: Header=BB409_763 Depth=1
	s_delay_alu instid0(SALU_CYCLE_1) | instskip(NEXT) | instid1(VALU_DEP_1)
	s_or_b32 exec_lo, exec_lo, s13
	v_mul_f32_e32 v8, v114, v8
                                        ; implicit-def: $vgpr115
	s_delay_alu instid0(VALU_DEP_1) | instskip(NEXT) | instid1(VALU_DEP_1)
	v_and_b32_e32 v9, 0x7f800000, v8
	v_cmp_ne_u32_e64 s1, 0x7f800000, v9
	s_delay_alu instid0(VALU_DEP_1) | instskip(NEXT) | instid1(SALU_CYCLE_1)
	s_and_saveexec_b32 s13, s1
	s_xor_b32 s1, exec_lo, s13
; %bb.1065:                             ;   in Loop: Header=BB409_763 Depth=1
	v_bfe_u32 v9, v8, 16, 1
	s_delay_alu instid0(VALU_DEP_1)
	v_add3_u32 v115, v8, v9, 0x7fff
                                        ; implicit-def: $vgpr8
; %bb.1066:                             ;   in Loop: Header=BB409_763 Depth=1
	s_and_not1_saveexec_b32 s13, s1
; %bb.1067:                             ;   in Loop: Header=BB409_763 Depth=1
	v_and_b32_e32 v9, 0xffff, v8
	v_or_b32_e32 v12, 0x10000, v8
	s_delay_alu instid0(VALU_DEP_2) | instskip(NEXT) | instid1(VALU_DEP_1)
	v_cmp_eq_u32_e64 s1, 0, v9
	v_cndmask_b32_e64 v115, v12, v8, s1
; %bb.1068:                             ;   in Loop: Header=BB409_763 Depth=1
	s_or_b32 exec_lo, exec_lo, s13
	v_lshrrev_b16 v9, 8, v6
	v_mov_b32_e32 v8, 0
	s_mov_b32 s13, exec_lo
	s_delay_alu instid0(VALU_DEP_2)
	v_cmpx_ne_u16_e32 0, v9
	s_cbranch_execz .LBB409_1076
; %bb.1069:                             ;   in Loop: Header=BB409_763 Depth=1
	v_bfrev_b32_e32 v8, 1
	s_mov_b32 s15, exec_lo
	v_cmpx_ne_u16_e32 0x80, v9
	s_cbranch_execz .LBB409_1075
; %bb.1070:                             ;   in Loop: Header=BB409_763 Depth=1
	v_and_b32_e32 v12, 0xffff, v9
	v_mov_b32_e32 v8, 0x7f800001
	s_mov_b32 s16, exec_lo
	s_delay_alu instid0(VALU_DEP_2) | instskip(NEXT) | instid1(VALU_DEP_1)
	v_and_b32_e32 v9, 0x7f, v12
	v_cmpx_ne_u32_e32 0x7f, v9
	s_cbranch_execz .LBB409_1074
; %bb.1071:                             ;   in Loop: Header=BB409_763 Depth=1
	v_and_b32_e32 v12, 7, v12
	v_lshrrev_b32_e32 v8, 3, v9
	s_mov_b32 s17, exec_lo
	v_cmpx_gt_u32_e32 8, v9
; %bb.1072:                             ;   in Loop: Header=BB409_763 Depth=1
	s_delay_alu instid0(VALU_DEP_3) | instskip(NEXT) | instid1(VALU_DEP_1)
	v_clz_i32_u32_e32 v8, v12
	v_min_u32_e32 v8, 32, v8
	s_delay_alu instid0(VALU_DEP_1) | instskip(SKIP_1) | instid1(VALU_DEP_2)
	v_subrev_nc_u32_e32 v9, 28, v8
	v_sub_nc_u32_e32 v8, 29, v8
	v_lshlrev_b64 v[116:117], v9, v[12:13]
	s_delay_alu instid0(VALU_DEP_1)
	v_and_b32_e32 v12, 7, v116
; %bb.1073:                             ;   in Loop: Header=BB409_763 Depth=1
	s_or_b32 exec_lo, exec_lo, s17
	v_lshlrev_b32_e32 v9, 16, v6
	s_delay_alu instid0(VALU_DEP_2) | instskip(SKIP_1) | instid1(VALU_DEP_3)
	v_lshlrev_b32_e32 v12, 20, v12
	v_lshl_add_u32 v8, v8, 23, 0x3c000000
	v_and_b32_e32 v9, 0x80000000, v9
	s_delay_alu instid0(VALU_DEP_1)
	v_or3_b32 v8, v12, v9, v8
.LBB409_1074:                           ;   in Loop: Header=BB409_763 Depth=1
	s_or_b32 exec_lo, exec_lo, s16
.LBB409_1075:                           ;   in Loop: Header=BB409_763 Depth=1
	s_delay_alu instid0(SALU_CYCLE_1)
	s_or_b32 exec_lo, exec_lo, s15
.LBB409_1076:                           ;   in Loop: Header=BB409_763 Depth=1
	s_delay_alu instid0(SALU_CYCLE_1) | instskip(NEXT) | instid1(VALU_DEP_1)
	s_or_b32 exec_lo, exec_lo, s13
	v_mul_f32_e32 v8, v114, v8
                                        ; implicit-def: $vgpr116
	s_delay_alu instid0(VALU_DEP_1) | instskip(NEXT) | instid1(VALU_DEP_1)
	v_and_b32_e32 v9, 0x7f800000, v8
	v_cmp_ne_u32_e64 s1, 0x7f800000, v9
	s_delay_alu instid0(VALU_DEP_1) | instskip(NEXT) | instid1(SALU_CYCLE_1)
	s_and_saveexec_b32 s13, s1
	s_xor_b32 s1, exec_lo, s13
; %bb.1077:                             ;   in Loop: Header=BB409_763 Depth=1
	v_bfe_u32 v9, v8, 16, 1
	s_delay_alu instid0(VALU_DEP_1)
	v_add3_u32 v116, v8, v9, 0x7fff
                                        ; implicit-def: $vgpr8
; %bb.1078:                             ;   in Loop: Header=BB409_763 Depth=1
	s_and_not1_saveexec_b32 s13, s1
; %bb.1079:                             ;   in Loop: Header=BB409_763 Depth=1
	v_and_b32_e32 v9, 0xffff, v8
	v_or_b32_e32 v12, 0x10000, v8
	s_delay_alu instid0(VALU_DEP_2) | instskip(NEXT) | instid1(VALU_DEP_1)
	v_cmp_eq_u32_e64 s1, 0, v9
	v_cndmask_b32_e64 v116, v12, v8, s1
; %bb.1080:                             ;   in Loop: Header=BB409_763 Depth=1
	s_or_b32 exec_lo, exec_lo, s13
	v_lshrrev_b32_e32 v8, 16, v6
	s_mov_b32 s13, exec_lo
	s_delay_alu instid0(VALU_DEP_1) | instskip(NEXT) | instid1(VALU_DEP_1)
	v_dual_mov_b32 v9, 0 :: v_dual_and_b32 v12, 0xff, v8
	v_cmpx_ne_u16_e32 0, v12
	s_cbranch_execz .LBB409_1088
; %bb.1081:                             ;   in Loop: Header=BB409_763 Depth=1
	v_bfrev_b32_e32 v9, 1
	s_mov_b32 s15, exec_lo
	v_cmpx_ne_u16_e32 0x80, v12
	s_cbranch_execz .LBB409_1087
; %bb.1082:                             ;   in Loop: Header=BB409_763 Depth=1
	v_bfe_u32 v117, v6, 16, 7
	v_mov_b32_e32 v9, 0x7f800001
	s_mov_b32 s16, exec_lo
	s_delay_alu instid0(VALU_DEP_2)
	v_cmpx_ne_u32_e32 0x7f, v117
	s_cbranch_execz .LBB409_1086
; %bb.1083:                             ;   in Loop: Header=BB409_763 Depth=1
	v_and_b32_e32 v12, 7, v8
	v_lshrrev_b32_e32 v9, 3, v117
	s_mov_b32 s17, exec_lo
	v_cmpx_gt_u32_e32 8, v117
; %bb.1084:                             ;   in Loop: Header=BB409_763 Depth=1
	s_delay_alu instid0(VALU_DEP_3) | instskip(NEXT) | instid1(VALU_DEP_1)
	v_clz_i32_u32_e32 v9, v12
	v_min_u32_e32 v9, 32, v9
	s_delay_alu instid0(VALU_DEP_1) | instskip(SKIP_1) | instid1(VALU_DEP_2)
	v_subrev_nc_u32_e32 v117, 28, v9
	v_sub_nc_u32_e32 v9, 29, v9
	v_lshlrev_b64 v[117:118], v117, v[12:13]
	s_delay_alu instid0(VALU_DEP_1)
	v_and_b32_e32 v12, 7, v117
; %bb.1085:                             ;   in Loop: Header=BB409_763 Depth=1
	s_or_b32 exec_lo, exec_lo, s17
	v_lshlrev_b32_e32 v8, 24, v8
	s_delay_alu instid0(VALU_DEP_2) | instskip(SKIP_1) | instid1(VALU_DEP_3)
	v_lshlrev_b32_e32 v12, 20, v12
	v_lshl_add_u32 v9, v9, 23, 0x3c000000
	v_and_b32_e32 v8, 0x80000000, v8
	s_delay_alu instid0(VALU_DEP_1)
	v_or3_b32 v9, v12, v8, v9
.LBB409_1086:                           ;   in Loop: Header=BB409_763 Depth=1
	s_or_b32 exec_lo, exec_lo, s16
.LBB409_1087:                           ;   in Loop: Header=BB409_763 Depth=1
	s_delay_alu instid0(SALU_CYCLE_1)
	s_or_b32 exec_lo, exec_lo, s15
.LBB409_1088:                           ;   in Loop: Header=BB409_763 Depth=1
	s_delay_alu instid0(SALU_CYCLE_1) | instskip(NEXT) | instid1(VALU_DEP_1)
	s_or_b32 exec_lo, exec_lo, s13
	v_mul_f32_e32 v8, v114, v9
                                        ; implicit-def: $vgpr117
	s_delay_alu instid0(VALU_DEP_1) | instskip(NEXT) | instid1(VALU_DEP_1)
	v_and_b32_e32 v9, 0x7f800000, v8
	v_cmp_ne_u32_e64 s1, 0x7f800000, v9
	s_delay_alu instid0(VALU_DEP_1) | instskip(NEXT) | instid1(SALU_CYCLE_1)
	s_and_saveexec_b32 s13, s1
	s_xor_b32 s1, exec_lo, s13
; %bb.1089:                             ;   in Loop: Header=BB409_763 Depth=1
	v_bfe_u32 v9, v8, 16, 1
	s_delay_alu instid0(VALU_DEP_1)
	v_add3_u32 v117, v8, v9, 0x7fff
                                        ; implicit-def: $vgpr8
; %bb.1090:                             ;   in Loop: Header=BB409_763 Depth=1
	s_and_not1_saveexec_b32 s13, s1
; %bb.1091:                             ;   in Loop: Header=BB409_763 Depth=1
	v_and_b32_e32 v9, 0xffff, v8
	v_or_b32_e32 v12, 0x10000, v8
	s_delay_alu instid0(VALU_DEP_2) | instskip(NEXT) | instid1(VALU_DEP_1)
	v_cmp_eq_u32_e64 s1, 0, v9
	v_cndmask_b32_e64 v117, v12, v8, s1
; %bb.1092:                             ;   in Loop: Header=BB409_763 Depth=1
	s_or_b32 exec_lo, exec_lo, s13
	v_mov_b32_e32 v9, 0
	s_mov_b32 s13, exec_lo
	v_cmpx_lt_u32_e32 0xffffff, v6
	s_cbranch_execz .LBB409_1100
; %bb.1093:                             ;   in Loop: Header=BB409_763 Depth=1
	v_lshrrev_b32_e32 v8, 24, v6
	v_bfrev_b32_e32 v9, 1
	s_mov_b32 s15, exec_lo
	s_delay_alu instid0(VALU_DEP_2)
	v_cmpx_ne_u32_e32 0x80, v8
	s_cbranch_execz .LBB409_1099
; %bb.1094:                             ;   in Loop: Header=BB409_763 Depth=1
	v_bfe_u32 v118, v6, 24, 7
	v_mov_b32_e32 v9, 0x7f800001
	s_mov_b32 s16, exec_lo
	s_delay_alu instid0(VALU_DEP_2)
	v_cmpx_ne_u32_e32 0x7f, v118
	s_cbranch_execz .LBB409_1098
; %bb.1095:                             ;   in Loop: Header=BB409_763 Depth=1
	v_and_b32_e32 v12, 7, v8
	v_lshrrev_b32_e32 v9, 3, v118
	s_mov_b32 s17, exec_lo
	v_cmpx_gt_u32_e32 8, v118
; %bb.1096:                             ;   in Loop: Header=BB409_763 Depth=1
	s_delay_alu instid0(VALU_DEP_3) | instskip(NEXT) | instid1(VALU_DEP_1)
	v_clz_i32_u32_e32 v9, v12
	v_min_u32_e32 v9, 32, v9
	s_delay_alu instid0(VALU_DEP_1) | instskip(SKIP_1) | instid1(VALU_DEP_2)
	v_subrev_nc_u32_e32 v118, 28, v9
	v_sub_nc_u32_e32 v9, 29, v9
	v_lshlrev_b64 v[118:119], v118, v[12:13]
	s_delay_alu instid0(VALU_DEP_1)
	v_and_b32_e32 v12, 7, v118
; %bb.1097:                             ;   in Loop: Header=BB409_763 Depth=1
	s_or_b32 exec_lo, exec_lo, s17
	v_lshlrev_b32_e32 v8, 24, v8
	s_delay_alu instid0(VALU_DEP_2) | instskip(SKIP_1) | instid1(VALU_DEP_3)
	v_lshlrev_b32_e32 v12, 20, v12
	v_lshl_add_u32 v9, v9, 23, 0x3c000000
	v_and_b32_e32 v8, 0x80000000, v8
	s_delay_alu instid0(VALU_DEP_1)
	v_or3_b32 v9, v12, v8, v9
.LBB409_1098:                           ;   in Loop: Header=BB409_763 Depth=1
	s_or_b32 exec_lo, exec_lo, s16
.LBB409_1099:                           ;   in Loop: Header=BB409_763 Depth=1
	s_delay_alu instid0(SALU_CYCLE_1)
	s_or_b32 exec_lo, exec_lo, s15
.LBB409_1100:                           ;   in Loop: Header=BB409_763 Depth=1
	s_delay_alu instid0(SALU_CYCLE_1) | instskip(NEXT) | instid1(VALU_DEP_1)
	s_or_b32 exec_lo, exec_lo, s13
	v_mul_f32_e32 v8, v114, v9
                                        ; implicit-def: $vgpr118
	s_delay_alu instid0(VALU_DEP_1) | instskip(NEXT) | instid1(VALU_DEP_1)
	v_and_b32_e32 v9, 0x7f800000, v8
	v_cmp_ne_u32_e64 s1, 0x7f800000, v9
	s_delay_alu instid0(VALU_DEP_1) | instskip(NEXT) | instid1(SALU_CYCLE_1)
	s_and_saveexec_b32 s13, s1
	s_xor_b32 s1, exec_lo, s13
; %bb.1101:                             ;   in Loop: Header=BB409_763 Depth=1
	v_bfe_u32 v9, v8, 16, 1
	s_delay_alu instid0(VALU_DEP_1)
	v_add3_u32 v118, v8, v9, 0x7fff
                                        ; implicit-def: $vgpr8
; %bb.1102:                             ;   in Loop: Header=BB409_763 Depth=1
	s_and_not1_saveexec_b32 s13, s1
; %bb.1103:                             ;   in Loop: Header=BB409_763 Depth=1
	v_and_b32_e32 v9, 0xffff, v8
	v_or_b32_e32 v12, 0x10000, v8
	s_delay_alu instid0(VALU_DEP_2) | instskip(NEXT) | instid1(VALU_DEP_1)
	v_cmp_eq_u32_e64 s1, 0, v9
	v_cndmask_b32_e64 v118, v12, v8, s1
; %bb.1104:                             ;   in Loop: Header=BB409_763 Depth=1
	s_or_b32 exec_lo, exec_lo, s13
	v_dual_mov_b32 v12, v7 :: v_dual_and_b32 v9, 0xff, v7
	v_mov_b32_e32 v8, 0
	s_mov_b32 s13, exec_lo
	s_delay_alu instid0(VALU_DEP_2)
	v_cmpx_ne_u16_e32 0, v9
	s_cbranch_execz .LBB409_1112
; %bb.1105:                             ;   in Loop: Header=BB409_763 Depth=1
	v_bfrev_b32_e32 v8, 1
	s_mov_b32 s15, exec_lo
	v_cmpx_ne_u16_e32 0x80, v9
	s_cbranch_execz .LBB409_1111
; %bb.1106:                             ;   in Loop: Header=BB409_763 Depth=1
	v_and_b32_e32 v9, 0x7f, v7
	v_mov_b32_e32 v8, 0x7f800001
	s_mov_b32 s16, exec_lo
	s_delay_alu instid0(VALU_DEP_2)
	v_cmpx_ne_u32_e32 0x7f, v9
	s_cbranch_execz .LBB409_1110
; %bb.1107:                             ;   in Loop: Header=BB409_763 Depth=1
	v_lshrrev_b32_e32 v119, 3, v9
	v_cmp_gt_u32_e64 s1, 8, v9
	v_dual_mov_b32 v8, v12 :: v_dual_mov_b32 v9, v13
	s_delay_alu instid0(VALU_DEP_2)
	s_and_saveexec_b32 s17, s1
; %bb.1108:                             ;   in Loop: Header=BB409_763 Depth=1
	v_and_b32_e32 v8, 7, v7
	s_delay_alu instid0(VALU_DEP_1) | instskip(NEXT) | instid1(VALU_DEP_1)
	v_clz_i32_u32_e32 v8, v8
	v_min_u32_e32 v119, 32, v8
	s_delay_alu instid0(VALU_DEP_1) | instskip(SKIP_1) | instid1(VALU_DEP_2)
	v_subrev_nc_u32_e32 v8, 28, v119
	v_sub_nc_u32_e32 v119, 29, v119
	v_lshlrev_b64 v[8:9], v8, v[12:13]
; %bb.1109:                             ;   in Loop: Header=BB409_763 Depth=1
	s_or_b32 exec_lo, exec_lo, s17
	s_delay_alu instid0(VALU_DEP_1) | instskip(SKIP_2) | instid1(VALU_DEP_3)
	v_lshlrev_b32_e32 v8, 20, v8
	v_lshlrev_b32_e32 v9, 24, v12
	v_lshl_add_u32 v119, v119, 23, 0x3c000000
	v_and_b32_e32 v8, 0x700000, v8
	s_delay_alu instid0(VALU_DEP_3) | instskip(NEXT) | instid1(VALU_DEP_1)
	v_and_b32_e32 v9, 0x80000000, v9
	v_or3_b32 v8, v8, v9, v119
.LBB409_1110:                           ;   in Loop: Header=BB409_763 Depth=1
	s_or_b32 exec_lo, exec_lo, s16
.LBB409_1111:                           ;   in Loop: Header=BB409_763 Depth=1
	s_delay_alu instid0(SALU_CYCLE_1)
	s_or_b32 exec_lo, exec_lo, s15
.LBB409_1112:                           ;   in Loop: Header=BB409_763 Depth=1
	s_delay_alu instid0(SALU_CYCLE_1) | instskip(NEXT) | instid1(VALU_DEP_1)
	s_or_b32 exec_lo, exec_lo, s13
	v_mul_f32_e32 v8, v114, v8
                                        ; implicit-def: $vgpr119
	s_delay_alu instid0(VALU_DEP_1) | instskip(NEXT) | instid1(VALU_DEP_1)
	v_and_b32_e32 v9, 0x7f800000, v8
	v_cmp_ne_u32_e64 s1, 0x7f800000, v9
	s_delay_alu instid0(VALU_DEP_1) | instskip(NEXT) | instid1(SALU_CYCLE_1)
	s_and_saveexec_b32 s13, s1
	s_xor_b32 s1, exec_lo, s13
; %bb.1113:                             ;   in Loop: Header=BB409_763 Depth=1
	v_bfe_u32 v9, v8, 16, 1
	s_delay_alu instid0(VALU_DEP_1)
	v_add3_u32 v119, v8, v9, 0x7fff
                                        ; implicit-def: $vgpr8
; %bb.1114:                             ;   in Loop: Header=BB409_763 Depth=1
	s_and_not1_saveexec_b32 s13, s1
; %bb.1115:                             ;   in Loop: Header=BB409_763 Depth=1
	v_and_b32_e32 v9, 0xffff, v8
	v_or_b32_e32 v119, 0x10000, v8
	s_delay_alu instid0(VALU_DEP_2) | instskip(NEXT) | instid1(VALU_DEP_1)
	v_cmp_eq_u32_e64 s1, 0, v9
	v_cndmask_b32_e64 v119, v119, v8, s1
; %bb.1116:                             ;   in Loop: Header=BB409_763 Depth=1
	s_or_b32 exec_lo, exec_lo, s13
	v_lshrrev_b16 v9, 8, v12
	v_mov_b32_e32 v8, 0
	s_mov_b32 s13, exec_lo
	s_delay_alu instid0(VALU_DEP_2)
	v_cmpx_ne_u16_e32 0, v9
	s_cbranch_execz .LBB409_1124
; %bb.1117:                             ;   in Loop: Header=BB409_763 Depth=1
	v_bfrev_b32_e32 v8, 1
	s_mov_b32 s15, exec_lo
	v_cmpx_ne_u16_e32 0x80, v9
	s_cbranch_execz .LBB409_1123
; %bb.1118:                             ;   in Loop: Header=BB409_763 Depth=1
	v_and_b32_e32 v9, 0xffff, v9
	v_mov_b32_e32 v8, 0x7f800001
	s_mov_b32 s16, exec_lo
	s_delay_alu instid0(VALU_DEP_2) | instskip(NEXT) | instid1(VALU_DEP_1)
	v_and_b32_e32 v129, 0x7f, v9
	v_cmpx_ne_u32_e32 0x7f, v129
	s_cbranch_execz .LBB409_1122
; %bb.1119:                             ;   in Loop: Header=BB409_763 Depth=1
	v_dual_mov_b32 v9, v13 :: v_dual_and_b32 v8, 7, v9
	v_lshrrev_b32_e32 v128, 3, v129
	s_mov_b32 s17, exec_lo
	v_cmpx_gt_u32_e32 8, v129
; %bb.1120:                             ;   in Loop: Header=BB409_763 Depth=1
	s_delay_alu instid0(VALU_DEP_3) | instskip(NEXT) | instid1(VALU_DEP_1)
	v_clz_i32_u32_e32 v128, v8
	v_min_u32_e32 v128, 32, v128
	s_delay_alu instid0(VALU_DEP_1) | instskip(SKIP_1) | instid1(VALU_DEP_2)
	v_subrev_nc_u32_e32 v129, 28, v128
	v_sub_nc_u32_e32 v128, 29, v128
	v_lshlrev_b64 v[8:9], v129, v[8:9]
	s_delay_alu instid0(VALU_DEP_1)
	v_and_b32_e32 v8, 7, v8
; %bb.1121:                             ;   in Loop: Header=BB409_763 Depth=1
	s_or_b32 exec_lo, exec_lo, s17
	v_lshlrev_b32_e32 v9, 16, v12
	s_delay_alu instid0(VALU_DEP_2) | instskip(SKIP_1) | instid1(VALU_DEP_3)
	v_lshlrev_b32_e32 v8, 20, v8
	v_lshl_add_u32 v12, v128, 23, 0x3c000000
	v_and_b32_e32 v9, 0x80000000, v9
	s_delay_alu instid0(VALU_DEP_1)
	v_or3_b32 v8, v8, v9, v12
.LBB409_1122:                           ;   in Loop: Header=BB409_763 Depth=1
	s_or_b32 exec_lo, exec_lo, s16
.LBB409_1123:                           ;   in Loop: Header=BB409_763 Depth=1
	s_delay_alu instid0(SALU_CYCLE_1)
	s_or_b32 exec_lo, exec_lo, s15
.LBB409_1124:                           ;   in Loop: Header=BB409_763 Depth=1
	s_delay_alu instid0(SALU_CYCLE_1) | instskip(NEXT) | instid1(VALU_DEP_1)
	s_or_b32 exec_lo, exec_lo, s13
	v_mul_f32_e32 v9, v114, v8
	s_delay_alu instid0(VALU_DEP_1) | instskip(NEXT) | instid1(VALU_DEP_1)
	v_and_b32_e32 v8, 0x7f800000, v9
	v_cmp_ne_u32_e64 s1, 0x7f800000, v8
                                        ; implicit-def: $vgpr8
	s_delay_alu instid0(VALU_DEP_1) | instskip(NEXT) | instid1(SALU_CYCLE_1)
	s_and_saveexec_b32 s13, s1
	s_xor_b32 s1, exec_lo, s13
; %bb.1125:                             ;   in Loop: Header=BB409_763 Depth=1
	v_bfe_u32 v8, v9, 16, 1
	s_delay_alu instid0(VALU_DEP_1)
	v_add3_u32 v8, v9, v8, 0x7fff
                                        ; implicit-def: $vgpr9
; %bb.1126:                             ;   in Loop: Header=BB409_763 Depth=1
	s_and_not1_saveexec_b32 s13, s1
; %bb.1127:                             ;   in Loop: Header=BB409_763 Depth=1
	v_and_b32_e32 v8, 0xffff, v9
	v_or_b32_e32 v12, 0x10000, v9
	s_delay_alu instid0(VALU_DEP_2) | instskip(NEXT) | instid1(VALU_DEP_1)
	v_cmp_eq_u32_e64 s1, 0, v8
	v_cndmask_b32_e64 v8, v12, v9, s1
; %bb.1128:                             ;   in Loop: Header=BB409_763 Depth=1
	s_or_b32 exec_lo, exec_lo, s13
	v_lshrrev_b32_e32 v9, 16, v7
	v_mov_b32_e32 v12, 0
	s_mov_b32 s13, exec_lo
	s_delay_alu instid0(VALU_DEP_2) | instskip(NEXT) | instid1(VALU_DEP_1)
	v_and_b32_e32 v128, 0xff, v9
	v_cmpx_ne_u16_e64 0, v128
	s_cbranch_execz .LBB409_1136
; %bb.1129:                             ;   in Loop: Header=BB409_763 Depth=1
	v_bfrev_b32_e32 v12, 1
	s_mov_b32 s15, exec_lo
	v_cmpx_ne_u16_e64 0x80, v128
	s_cbranch_execz .LBB409_1135
; %bb.1130:                             ;   in Loop: Header=BB409_763 Depth=1
	v_bfe_u32 v129, v7, 16, 7
	v_mov_b32_e32 v12, 0x7f800001
	s_mov_b32 s16, exec_lo
	s_delay_alu instid0(VALU_DEP_2)
	v_cmpx_ne_u32_e32 0x7f, v129
	s_cbranch_execz .LBB409_1134
; %bb.1131:                             ;   in Loop: Header=BB409_763 Depth=1
	v_and_b32_e32 v12, 7, v9
	v_lshrrev_b32_e32 v128, 3, v129
	s_mov_b32 s17, exec_lo
	v_cmpx_gt_u32_e32 8, v129
; %bb.1132:                             ;   in Loop: Header=BB409_763 Depth=1
	s_delay_alu instid0(VALU_DEP_3) | instskip(NEXT) | instid1(VALU_DEP_1)
	v_clz_i32_u32_e32 v128, v12
	v_min_u32_e32 v128, 32, v128
	s_delay_alu instid0(VALU_DEP_1) | instskip(SKIP_1) | instid1(VALU_DEP_2)
	v_subrev_nc_u32_e32 v129, 28, v128
	v_sub_nc_u32_e32 v128, 29, v128
	v_lshlrev_b64 v[129:130], v129, v[12:13]
	s_delay_alu instid0(VALU_DEP_1)
	v_and_b32_e32 v12, 7, v129
; %bb.1133:                             ;   in Loop: Header=BB409_763 Depth=1
	s_or_b32 exec_lo, exec_lo, s17
	v_lshlrev_b32_e32 v9, 24, v9
	s_delay_alu instid0(VALU_DEP_2) | instskip(SKIP_1) | instid1(VALU_DEP_3)
	v_lshlrev_b32_e32 v12, 20, v12
	v_lshl_add_u32 v128, v128, 23, 0x3c000000
	v_and_b32_e32 v9, 0x80000000, v9
	s_delay_alu instid0(VALU_DEP_1)
	v_or3_b32 v12, v12, v9, v128
.LBB409_1134:                           ;   in Loop: Header=BB409_763 Depth=1
	s_or_b32 exec_lo, exec_lo, s16
.LBB409_1135:                           ;   in Loop: Header=BB409_763 Depth=1
	s_delay_alu instid0(SALU_CYCLE_1)
	s_or_b32 exec_lo, exec_lo, s15
.LBB409_1136:                           ;   in Loop: Header=BB409_763 Depth=1
	s_delay_alu instid0(SALU_CYCLE_1) | instskip(NEXT) | instid1(VALU_DEP_1)
	s_or_b32 exec_lo, exec_lo, s13
	v_mul_f32_e32 v9, v114, v12
                                        ; implicit-def: $vgpr128
	s_delay_alu instid0(VALU_DEP_1) | instskip(NEXT) | instid1(VALU_DEP_1)
	v_and_b32_e32 v12, 0x7f800000, v9
	v_cmp_ne_u32_e64 s1, 0x7f800000, v12
	s_delay_alu instid0(VALU_DEP_1) | instskip(NEXT) | instid1(SALU_CYCLE_1)
	s_and_saveexec_b32 s13, s1
	s_xor_b32 s1, exec_lo, s13
; %bb.1137:                             ;   in Loop: Header=BB409_763 Depth=1
	v_bfe_u32 v12, v9, 16, 1
	s_delay_alu instid0(VALU_DEP_1)
	v_add3_u32 v128, v9, v12, 0x7fff
                                        ; implicit-def: $vgpr9
; %bb.1138:                             ;   in Loop: Header=BB409_763 Depth=1
	s_and_not1_saveexec_b32 s13, s1
; %bb.1139:                             ;   in Loop: Header=BB409_763 Depth=1
	v_and_b32_e32 v12, 0xffff, v9
	v_or_b32_e32 v128, 0x10000, v9
	s_delay_alu instid0(VALU_DEP_2) | instskip(NEXT) | instid1(VALU_DEP_1)
	v_cmp_eq_u32_e64 s1, 0, v12
	v_cndmask_b32_e64 v128, v128, v9, s1
; %bb.1140:                             ;   in Loop: Header=BB409_763 Depth=1
	s_or_b32 exec_lo, exec_lo, s13
	v_mov_b32_e32 v9, 0
	s_mov_b32 s13, exec_lo
	v_cmpx_lt_u64_e64 s[8:9], v[6:7]
	s_cbranch_execz .LBB409_1148
; %bb.1141:                             ;   in Loop: Header=BB409_763 Depth=1
	v_lshrrev_b32_e32 v6, 24, v7
	v_bfrev_b32_e32 v9, 1
	s_mov_b32 s15, exec_lo
	s_delay_alu instid0(VALU_DEP_2)
	v_cmpx_ne_u32_e32 0x80, v6
	s_cbranch_execz .LBB409_1147
; %bb.1142:                             ;   in Loop: Header=BB409_763 Depth=1
	v_bfe_u32 v129, v7, 24, 7
	v_mov_b32_e32 v9, 0x7f800001
	s_mov_b32 s16, exec_lo
	s_delay_alu instid0(VALU_DEP_2)
	v_cmpx_ne_u32_e32 0x7f, v129
	s_cbranch_execz .LBB409_1146
; %bb.1143:                             ;   in Loop: Header=BB409_763 Depth=1
	v_and_b32_e32 v12, 7, v6
	v_lshrrev_b32_e32 v7, 3, v129
	s_mov_b32 s17, exec_lo
	v_cmpx_gt_u32_e32 8, v129
; %bb.1144:                             ;   in Loop: Header=BB409_763 Depth=1
	s_delay_alu instid0(VALU_DEP_3) | instskip(NEXT) | instid1(VALU_DEP_1)
	v_clz_i32_u32_e32 v7, v12
	v_min_u32_e32 v7, 32, v7
	s_delay_alu instid0(VALU_DEP_1) | instskip(SKIP_1) | instid1(VALU_DEP_2)
	v_subrev_nc_u32_e32 v9, 28, v7
	v_sub_nc_u32_e32 v7, 29, v7
	v_lshlrev_b64 v[129:130], v9, v[12:13]
	s_delay_alu instid0(VALU_DEP_1)
	v_and_b32_e32 v12, 7, v129
; %bb.1145:                             ;   in Loop: Header=BB409_763 Depth=1
	s_or_b32 exec_lo, exec_lo, s17
	v_lshlrev_b32_e32 v6, 24, v6
	s_delay_alu instid0(VALU_DEP_2) | instskip(SKIP_1) | instid1(VALU_DEP_3)
	v_lshlrev_b32_e32 v9, 20, v12
	v_lshl_add_u32 v7, v7, 23, 0x3c000000
	v_and_b32_e32 v6, 0x80000000, v6
	s_delay_alu instid0(VALU_DEP_1)
	v_or3_b32 v9, v9, v6, v7
.LBB409_1146:                           ;   in Loop: Header=BB409_763 Depth=1
	s_or_b32 exec_lo, exec_lo, s16
.LBB409_1147:                           ;   in Loop: Header=BB409_763 Depth=1
	s_delay_alu instid0(SALU_CYCLE_1)
	s_or_b32 exec_lo, exec_lo, s15
.LBB409_1148:                           ;   in Loop: Header=BB409_763 Depth=1
	s_delay_alu instid0(SALU_CYCLE_1) | instskip(NEXT) | instid1(VALU_DEP_1)
	s_or_b32 exec_lo, exec_lo, s13
	v_mul_f32_e32 v7, v114, v9
	s_delay_alu instid0(VALU_DEP_1) | instskip(NEXT) | instid1(VALU_DEP_1)
	v_and_b32_e32 v6, 0x7f800000, v7
	v_cmp_ne_u32_e64 s1, 0x7f800000, v6
                                        ; implicit-def: $vgpr6
	s_delay_alu instid0(VALU_DEP_1) | instskip(NEXT) | instid1(SALU_CYCLE_1)
	s_and_saveexec_b32 s13, s1
	s_xor_b32 s1, exec_lo, s13
; %bb.1149:                             ;   in Loop: Header=BB409_763 Depth=1
	v_bfe_u32 v6, v7, 16, 1
	s_delay_alu instid0(VALU_DEP_1)
	v_add3_u32 v6, v7, v6, 0x7fff
                                        ; implicit-def: $vgpr7
; %bb.1150:                             ;   in Loop: Header=BB409_763 Depth=1
	s_and_not1_saveexec_b32 s13, s1
; %bb.1151:                             ;   in Loop: Header=BB409_763 Depth=1
	v_and_b32_e32 v6, 0xffff, v7
	v_or_b32_e32 v9, 0x10000, v7
	s_delay_alu instid0(VALU_DEP_2) | instskip(NEXT) | instid1(VALU_DEP_1)
	v_cmp_eq_u32_e64 s1, 0, v6
	v_cndmask_b32_e64 v6, v9, v7, s1
; %bb.1152:                             ;   in Loop: Header=BB409_763 Depth=1
	s_or_b32 exec_lo, exec_lo, s13
	v_lshrrev_b32_e32 v8, 16, v8
	v_lshrrev_b32_e32 v9, 16, v119
	;; [unrolled: 1-line block ×8, first 2 shown]
	s_and_saveexec_b32 s13, s0
	s_cbranch_execz .LBB409_1154
; %bb.1153:                             ;   in Loop: Header=BB409_763 Depth=1
	v_add_nc_u32_e32 v115, 1, v55
	v_cmp_lt_i32_e64 s1, v55, v83
	v_add_nc_u32_e32 v118, 2, v55
	v_add_nc_u32_e32 v119, 3, v55
	s_delay_alu instid0(VALU_DEP_3) | instskip(SKIP_2) | instid1(VALU_DEP_2)
	v_cndmask_b32_e64 v114, 0, v114, s1
	v_cmp_lt_i32_e64 s1, v115, v83
	v_add_nc_u32_e32 v115, 4, v55
	v_cndmask_b32_e64 v116, 0, v116, s1
	v_cmp_lt_i32_e64 s1, v118, v83
	v_add_nc_u32_e32 v118, 5, v55
	s_delay_alu instid0(VALU_DEP_2) | instskip(SKIP_2) | instid1(VALU_DEP_2)
	v_cndmask_b32_e64 v117, 0, v117, s1
	v_cmp_lt_i32_e64 s1, v119, v83
	v_add_nc_u32_e32 v119, 6, v55
	v_cndmask_b32_e64 v12, 0, v12, s1
	v_cmp_lt_i32_e64 s1, v115, v83
	v_add_nc_u32_e32 v115, 7, v55
	s_delay_alu instid0(VALU_DEP_2) | instskip(SKIP_1) | instid1(VALU_DEP_1)
	v_cndmask_b32_e64 v9, 0, v9, s1
	v_cmp_lt_i32_e64 s1, v118, v83
	v_cndmask_b32_e64 v8, 0, v8, s1
	v_cmp_lt_i32_e64 s1, v119, v83
	s_delay_alu instid0(VALU_DEP_1) | instskip(SKIP_1) | instid1(VALU_DEP_1)
	v_cndmask_b32_e64 v7, 0, v7, s1
	v_cmp_lt_i32_e64 s1, v115, v83
	v_cndmask_b32_e64 v6, 0, v6, s1
.LBB409_1154:                           ;   in Loop: Header=BB409_763 Depth=1
	s_or_b32 exec_lo, exec_lo, s13
	v_lshlrev_b32_e32 v114, 16, v114
	s_delay_alu instid0(VALU_DEP_1) | instskip(NEXT) | instid1(VALU_DEP_1)
	v_mul_f32_e32 v115, v66, v114
	v_and_b32_e32 v114, 0x7f800000, v115
	s_delay_alu instid0(VALU_DEP_1) | instskip(NEXT) | instid1(VALU_DEP_1)
	v_cmp_ne_u32_e64 s1, 0x7f800000, v114
                                        ; implicit-def: $vgpr114
	s_and_saveexec_b32 s13, s1
	s_delay_alu instid0(SALU_CYCLE_1)
	s_xor_b32 s1, exec_lo, s13
; %bb.1155:                             ;   in Loop: Header=BB409_763 Depth=1
	v_bfe_u32 v114, v115, 16, 1
	s_delay_alu instid0(VALU_DEP_1)
	v_add3_u32 v114, v115, v114, 0x7fff
                                        ; implicit-def: $vgpr115
; %bb.1156:                             ;   in Loop: Header=BB409_763 Depth=1
	s_and_not1_saveexec_b32 s13, s1
; %bb.1157:                             ;   in Loop: Header=BB409_763 Depth=1
	v_and_b32_e32 v114, 0xffff, v115
	v_or_b32_e32 v118, 0x10000, v115
	s_delay_alu instid0(VALU_DEP_2) | instskip(NEXT) | instid1(VALU_DEP_1)
	v_cmp_eq_u32_e64 s1, 0, v114
	v_cndmask_b32_e64 v114, v118, v115, s1
; %bb.1158:                             ;   in Loop: Header=BB409_763 Depth=1
	s_or_b32 exec_lo, exec_lo, s13
	v_lshlrev_b32_e32 v115, 16, v116
	s_delay_alu instid0(VALU_DEP_1) | instskip(NEXT) | instid1(VALU_DEP_1)
	v_mul_f32_e32 v116, v67, v115
	v_and_b32_e32 v115, 0x7f800000, v116
	s_delay_alu instid0(VALU_DEP_1) | instskip(NEXT) | instid1(VALU_DEP_1)
	v_cmp_ne_u32_e64 s1, 0x7f800000, v115
                                        ; implicit-def: $vgpr115
	s_and_saveexec_b32 s13, s1
	s_delay_alu instid0(SALU_CYCLE_1)
	s_xor_b32 s1, exec_lo, s13
; %bb.1159:                             ;   in Loop: Header=BB409_763 Depth=1
	v_bfe_u32 v115, v116, 16, 1
	s_delay_alu instid0(VALU_DEP_1)
	v_add3_u32 v115, v116, v115, 0x7fff
                                        ; implicit-def: $vgpr116
; %bb.1160:                             ;   in Loop: Header=BB409_763 Depth=1
	s_and_not1_saveexec_b32 s13, s1
; %bb.1161:                             ;   in Loop: Header=BB409_763 Depth=1
	v_and_b32_e32 v115, 0xffff, v116
	v_or_b32_e32 v118, 0x10000, v116
	s_delay_alu instid0(VALU_DEP_2) | instskip(NEXT) | instid1(VALU_DEP_1)
	v_cmp_eq_u32_e64 s1, 0, v115
	v_cndmask_b32_e64 v115, v118, v116, s1
; %bb.1162:                             ;   in Loop: Header=BB409_763 Depth=1
	s_or_b32 exec_lo, exec_lo, s13
	v_lshlrev_b32_e32 v116, 16, v117
	s_delay_alu instid0(VALU_DEP_1) | instskip(NEXT) | instid1(VALU_DEP_1)
	v_mul_f32_e32 v117, v68, v116
	v_and_b32_e32 v116, 0x7f800000, v117
	s_delay_alu instid0(VALU_DEP_1) | instskip(NEXT) | instid1(VALU_DEP_1)
	v_cmp_ne_u32_e64 s1, 0x7f800000, v116
                                        ; implicit-def: $vgpr116
	s_and_saveexec_b32 s13, s1
	s_delay_alu instid0(SALU_CYCLE_1)
	s_xor_b32 s1, exec_lo, s13
; %bb.1163:                             ;   in Loop: Header=BB409_763 Depth=1
	v_bfe_u32 v116, v117, 16, 1
	s_delay_alu instid0(VALU_DEP_1)
	v_add3_u32 v116, v117, v116, 0x7fff
                                        ; implicit-def: $vgpr117
; %bb.1164:                             ;   in Loop: Header=BB409_763 Depth=1
	s_and_not1_saveexec_b32 s13, s1
; %bb.1165:                             ;   in Loop: Header=BB409_763 Depth=1
	v_and_b32_e32 v116, 0xffff, v117
	v_or_b32_e32 v118, 0x10000, v117
	s_delay_alu instid0(VALU_DEP_2) | instskip(NEXT) | instid1(VALU_DEP_1)
	v_cmp_eq_u32_e64 s1, 0, v116
	v_cndmask_b32_e64 v116, v118, v117, s1
; %bb.1166:                             ;   in Loop: Header=BB409_763 Depth=1
	s_or_b32 exec_lo, exec_lo, s13
	v_lshlrev_b32_e32 v12, 16, v12
	s_delay_alu instid0(VALU_DEP_1) | instskip(NEXT) | instid1(VALU_DEP_1)
	v_mul_f32_e32 v12, v69, v12
	v_and_b32_e32 v117, 0x7f800000, v12
	s_delay_alu instid0(VALU_DEP_1) | instskip(NEXT) | instid1(VALU_DEP_1)
	v_cmp_ne_u32_e64 s1, 0x7f800000, v117
                                        ; implicit-def: $vgpr117
	s_and_saveexec_b32 s13, s1
	s_delay_alu instid0(SALU_CYCLE_1)
	s_xor_b32 s1, exec_lo, s13
; %bb.1167:                             ;   in Loop: Header=BB409_763 Depth=1
	v_bfe_u32 v117, v12, 16, 1
	s_delay_alu instid0(VALU_DEP_1)
	v_add3_u32 v117, v12, v117, 0x7fff
                                        ; implicit-def: $vgpr12
; %bb.1168:                             ;   in Loop: Header=BB409_763 Depth=1
	s_and_not1_saveexec_b32 s13, s1
; %bb.1169:                             ;   in Loop: Header=BB409_763 Depth=1
	v_and_b32_e32 v117, 0xffff, v12
	v_or_b32_e32 v118, 0x10000, v12
	s_delay_alu instid0(VALU_DEP_2) | instskip(NEXT) | instid1(VALU_DEP_1)
	v_cmp_eq_u32_e64 s1, 0, v117
	v_cndmask_b32_e64 v117, v118, v12, s1
; %bb.1170:                             ;   in Loop: Header=BB409_763 Depth=1
	s_or_b32 exec_lo, exec_lo, s13
	v_lshlrev_b32_e32 v9, 16, v9
                                        ; implicit-def: $vgpr118
	s_delay_alu instid0(VALU_DEP_1) | instskip(NEXT) | instid1(VALU_DEP_1)
	v_mul_f32_e32 v9, v70, v9
	v_and_b32_e32 v12, 0x7f800000, v9
	s_delay_alu instid0(VALU_DEP_1) | instskip(NEXT) | instid1(VALU_DEP_1)
	v_cmp_ne_u32_e64 s1, 0x7f800000, v12
	s_and_saveexec_b32 s13, s1
	s_delay_alu instid0(SALU_CYCLE_1)
	s_xor_b32 s1, exec_lo, s13
; %bb.1171:                             ;   in Loop: Header=BB409_763 Depth=1
	v_bfe_u32 v12, v9, 16, 1
	s_delay_alu instid0(VALU_DEP_1)
	v_add3_u32 v118, v9, v12, 0x7fff
                                        ; implicit-def: $vgpr9
; %bb.1172:                             ;   in Loop: Header=BB409_763 Depth=1
	s_and_not1_saveexec_b32 s13, s1
; %bb.1173:                             ;   in Loop: Header=BB409_763 Depth=1
	v_and_b32_e32 v12, 0xffff, v9
	v_or_b32_e32 v118, 0x10000, v9
	s_delay_alu instid0(VALU_DEP_2) | instskip(NEXT) | instid1(VALU_DEP_1)
	v_cmp_eq_u32_e64 s1, 0, v12
	v_cndmask_b32_e64 v118, v118, v9, s1
; %bb.1174:                             ;   in Loop: Header=BB409_763 Depth=1
	s_or_b32 exec_lo, exec_lo, s13
	v_lshlrev_b32_e32 v8, 16, v8
                                        ; implicit-def: $vgpr119
	s_delay_alu instid0(VALU_DEP_1) | instskip(NEXT) | instid1(VALU_DEP_1)
	v_mul_f32_e32 v8, v71, v8
	v_and_b32_e32 v9, 0x7f800000, v8
	s_delay_alu instid0(VALU_DEP_1) | instskip(NEXT) | instid1(VALU_DEP_1)
	v_cmp_ne_u32_e64 s1, 0x7f800000, v9
	s_and_saveexec_b32 s13, s1
	s_delay_alu instid0(SALU_CYCLE_1)
	s_xor_b32 s1, exec_lo, s13
; %bb.1175:                             ;   in Loop: Header=BB409_763 Depth=1
	v_bfe_u32 v9, v8, 16, 1
	s_delay_alu instid0(VALU_DEP_1)
	v_add3_u32 v119, v8, v9, 0x7fff
                                        ; implicit-def: $vgpr8
; %bb.1176:                             ;   in Loop: Header=BB409_763 Depth=1
	s_and_not1_saveexec_b32 s13, s1
; %bb.1177:                             ;   in Loop: Header=BB409_763 Depth=1
	v_and_b32_e32 v9, 0xffff, v8
	v_or_b32_e32 v12, 0x10000, v8
	s_delay_alu instid0(VALU_DEP_2) | instskip(NEXT) | instid1(VALU_DEP_1)
	v_cmp_eq_u32_e64 s1, 0, v9
	v_cndmask_b32_e64 v119, v12, v8, s1
; %bb.1178:                             ;   in Loop: Header=BB409_763 Depth=1
	s_or_b32 exec_lo, exec_lo, s13
	v_lshlrev_b32_e32 v7, 16, v7
                                        ; implicit-def: $vgpr128
	s_delay_alu instid0(VALU_DEP_1) | instskip(NEXT) | instid1(VALU_DEP_1)
	v_mul_f32_e32 v7, v80, v7
	v_and_b32_e32 v8, 0x7f800000, v7
	s_delay_alu instid0(VALU_DEP_1) | instskip(NEXT) | instid1(VALU_DEP_1)
	v_cmp_ne_u32_e64 s1, 0x7f800000, v8
	s_and_saveexec_b32 s13, s1
	s_delay_alu instid0(SALU_CYCLE_1)
	s_xor_b32 s1, exec_lo, s13
; %bb.1179:                             ;   in Loop: Header=BB409_763 Depth=1
	v_bfe_u32 v8, v7, 16, 1
	s_delay_alu instid0(VALU_DEP_1)
	v_add3_u32 v128, v7, v8, 0x7fff
                                        ; implicit-def: $vgpr7
; %bb.1180:                             ;   in Loop: Header=BB409_763 Depth=1
	s_and_not1_saveexec_b32 s13, s1
; %bb.1181:                             ;   in Loop: Header=BB409_763 Depth=1
	v_and_b32_e32 v8, 0xffff, v7
	v_or_b32_e32 v9, 0x10000, v7
	s_delay_alu instid0(VALU_DEP_2) | instskip(NEXT) | instid1(VALU_DEP_1)
	v_cmp_eq_u32_e64 s1, 0, v8
	v_cndmask_b32_e64 v128, v9, v7, s1
; %bb.1182:                             ;   in Loop: Header=BB409_763 Depth=1
	s_or_b32 exec_lo, exec_lo, s13
	v_lshlrev_b32_e32 v6, 16, v6
                                        ; implicit-def: $vgpr129
	s_delay_alu instid0(VALU_DEP_1) | instskip(NEXT) | instid1(VALU_DEP_1)
	v_mul_f32_e32 v6, v81, v6
	v_and_b32_e32 v7, 0x7f800000, v6
	s_delay_alu instid0(VALU_DEP_1) | instskip(NEXT) | instid1(VALU_DEP_1)
	v_cmp_ne_u32_e64 s1, 0x7f800000, v7
	s_and_saveexec_b32 s13, s1
	s_delay_alu instid0(SALU_CYCLE_1)
	s_xor_b32 s1, exec_lo, s13
; %bb.1183:                             ;   in Loop: Header=BB409_763 Depth=1
	v_bfe_u32 v7, v6, 16, 1
	s_delay_alu instid0(VALU_DEP_1)
	v_add3_u32 v129, v6, v7, 0x7fff
                                        ; implicit-def: $vgpr6
; %bb.1184:                             ;   in Loop: Header=BB409_763 Depth=1
	s_and_not1_saveexec_b32 s13, s1
; %bb.1185:                             ;   in Loop: Header=BB409_763 Depth=1
	v_and_b32_e32 v7, 0xffff, v6
	v_or_b32_e32 v8, 0x10000, v6
	s_delay_alu instid0(VALU_DEP_2) | instskip(NEXT) | instid1(VALU_DEP_1)
	v_cmp_eq_u32_e64 s1, 0, v7
	v_cndmask_b32_e64 v129, v8, v6, s1
; %bb.1186:                             ;   in Loop: Header=BB409_763 Depth=1
	s_or_b32 exec_lo, exec_lo, s13
	flat_load_b64 v[6:7], v[2:3] offset:768
	flat_load_b32 v162, v[26:27]
	s_mov_b32 s13, exec_lo
	s_waitcnt vmcnt(1) lgkmcnt(1)
	v_dual_mov_b32 v8, 0 :: v_dual_and_b32 v9, 0xff, v6
	s_delay_alu instid0(VALU_DEP_1)
	v_cmpx_ne_u16_e32 0, v9
	s_cbranch_execz .LBB409_1194
; %bb.1187:                             ;   in Loop: Header=BB409_763 Depth=1
	v_bfrev_b32_e32 v8, 1
	s_mov_b32 s15, exec_lo
	v_cmpx_ne_u16_e32 0x80, v9
	s_cbranch_execz .LBB409_1193
; %bb.1188:                             ;   in Loop: Header=BB409_763 Depth=1
	v_and_b32_e32 v9, 0x7f, v6
	v_mov_b32_e32 v8, 0x7f800001
	s_mov_b32 s16, exec_lo
	s_delay_alu instid0(VALU_DEP_2)
	v_cmpx_ne_u32_e32 0x7f, v9
	s_cbranch_execz .LBB409_1192
; %bb.1189:                             ;   in Loop: Header=BB409_763 Depth=1
	v_lshrrev_b32_e32 v12, 3, v9
	v_cmp_gt_u32_e64 s1, 8, v9
	v_dual_mov_b32 v9, v7 :: v_dual_mov_b32 v8, v6
	s_delay_alu instid0(VALU_DEP_2)
	s_and_saveexec_b32 s17, s1
; %bb.1190:                             ;   in Loop: Header=BB409_763 Depth=1
	v_and_b32_e32 v8, 7, v6
	s_delay_alu instid0(VALU_DEP_1) | instskip(NEXT) | instid1(VALU_DEP_1)
	v_clz_i32_u32_e32 v8, v8
	v_min_u32_e32 v12, 32, v8
	s_delay_alu instid0(VALU_DEP_1) | instskip(SKIP_1) | instid1(VALU_DEP_2)
	v_subrev_nc_u32_e32 v8, 28, v12
	v_sub_nc_u32_e32 v12, 29, v12
	v_lshlrev_b64 v[8:9], v8, v[6:7]
; %bb.1191:                             ;   in Loop: Header=BB409_763 Depth=1
	s_or_b32 exec_lo, exec_lo, s17
	s_delay_alu instid0(VALU_DEP_1) | instskip(SKIP_2) | instid1(VALU_DEP_3)
	v_lshlrev_b32_e32 v8, 20, v8
	v_lshlrev_b32_e32 v9, 24, v6
	v_lshl_add_u32 v12, v12, 23, 0x3c000000
	v_and_b32_e32 v8, 0x700000, v8
	s_delay_alu instid0(VALU_DEP_3) | instskip(NEXT) | instid1(VALU_DEP_1)
	v_and_b32_e32 v9, 0x80000000, v9
	v_or3_b32 v8, v8, v9, v12
.LBB409_1192:                           ;   in Loop: Header=BB409_763 Depth=1
	s_or_b32 exec_lo, exec_lo, s16
.LBB409_1193:                           ;   in Loop: Header=BB409_763 Depth=1
	s_delay_alu instid0(SALU_CYCLE_1)
	s_or_b32 exec_lo, exec_lo, s15
.LBB409_1194:                           ;   in Loop: Header=BB409_763 Depth=1
	s_delay_alu instid0(SALU_CYCLE_1) | instskip(SKIP_2) | instid1(VALU_DEP_1)
	s_or_b32 exec_lo, exec_lo, s13
	s_waitcnt vmcnt(0) lgkmcnt(0)
	v_mul_f32_e32 v8, v162, v8
                                        ; implicit-def: $vgpr130
	v_and_b32_e32 v9, 0x7f800000, v8
	s_delay_alu instid0(VALU_DEP_1) | instskip(NEXT) | instid1(VALU_DEP_1)
	v_cmp_ne_u32_e64 s1, 0x7f800000, v9
	s_and_saveexec_b32 s13, s1
	s_delay_alu instid0(SALU_CYCLE_1)
	s_xor_b32 s1, exec_lo, s13
; %bb.1195:                             ;   in Loop: Header=BB409_763 Depth=1
	v_bfe_u32 v9, v8, 16, 1
	s_delay_alu instid0(VALU_DEP_1)
	v_add3_u32 v130, v8, v9, 0x7fff
                                        ; implicit-def: $vgpr8
; %bb.1196:                             ;   in Loop: Header=BB409_763 Depth=1
	s_and_not1_saveexec_b32 s13, s1
; %bb.1197:                             ;   in Loop: Header=BB409_763 Depth=1
	v_and_b32_e32 v9, 0xffff, v8
	v_or_b32_e32 v12, 0x10000, v8
	s_delay_alu instid0(VALU_DEP_2) | instskip(NEXT) | instid1(VALU_DEP_1)
	v_cmp_eq_u32_e64 s1, 0, v9
	v_cndmask_b32_e64 v130, v12, v8, s1
; %bb.1198:                             ;   in Loop: Header=BB409_763 Depth=1
	s_or_b32 exec_lo, exec_lo, s13
	v_lshrrev_b16 v9, 8, v6
	v_mov_b32_e32 v8, 0
	s_mov_b32 s13, exec_lo
	s_delay_alu instid0(VALU_DEP_2)
	v_cmpx_ne_u16_e32 0, v9
	s_cbranch_execz .LBB409_1206
; %bb.1199:                             ;   in Loop: Header=BB409_763 Depth=1
	v_bfrev_b32_e32 v8, 1
	s_mov_b32 s15, exec_lo
	v_cmpx_ne_u16_e32 0x80, v9
	s_cbranch_execz .LBB409_1205
; %bb.1200:                             ;   in Loop: Header=BB409_763 Depth=1
	v_and_b32_e32 v12, 0xffff, v9
	v_mov_b32_e32 v8, 0x7f800001
	s_mov_b32 s16, exec_lo
	s_delay_alu instid0(VALU_DEP_2) | instskip(NEXT) | instid1(VALU_DEP_1)
	v_and_b32_e32 v9, 0x7f, v12
	v_cmpx_ne_u32_e32 0x7f, v9
	s_cbranch_execz .LBB409_1204
; %bb.1201:                             ;   in Loop: Header=BB409_763 Depth=1
	v_and_b32_e32 v12, 7, v12
	v_lshrrev_b32_e32 v8, 3, v9
	s_mov_b32 s17, exec_lo
	v_cmpx_gt_u32_e32 8, v9
; %bb.1202:                             ;   in Loop: Header=BB409_763 Depth=1
	s_delay_alu instid0(VALU_DEP_3) | instskip(NEXT) | instid1(VALU_DEP_1)
	v_clz_i32_u32_e32 v8, v12
	v_min_u32_e32 v8, 32, v8
	s_delay_alu instid0(VALU_DEP_1) | instskip(SKIP_1) | instid1(VALU_DEP_2)
	v_subrev_nc_u32_e32 v9, 28, v8
	v_sub_nc_u32_e32 v8, 29, v8
	v_lshlrev_b64 v[131:132], v9, v[12:13]
	s_delay_alu instid0(VALU_DEP_1)
	v_and_b32_e32 v12, 7, v131
; %bb.1203:                             ;   in Loop: Header=BB409_763 Depth=1
	s_or_b32 exec_lo, exec_lo, s17
	v_lshlrev_b32_e32 v9, 16, v6
	s_delay_alu instid0(VALU_DEP_2) | instskip(SKIP_1) | instid1(VALU_DEP_3)
	v_lshlrev_b32_e32 v12, 20, v12
	v_lshl_add_u32 v8, v8, 23, 0x3c000000
	v_and_b32_e32 v9, 0x80000000, v9
	s_delay_alu instid0(VALU_DEP_1)
	v_or3_b32 v8, v12, v9, v8
.LBB409_1204:                           ;   in Loop: Header=BB409_763 Depth=1
	s_or_b32 exec_lo, exec_lo, s16
.LBB409_1205:                           ;   in Loop: Header=BB409_763 Depth=1
	s_delay_alu instid0(SALU_CYCLE_1)
	s_or_b32 exec_lo, exec_lo, s15
.LBB409_1206:                           ;   in Loop: Header=BB409_763 Depth=1
	s_delay_alu instid0(SALU_CYCLE_1) | instskip(NEXT) | instid1(VALU_DEP_1)
	s_or_b32 exec_lo, exec_lo, s13
	v_mul_f32_e32 v8, v162, v8
                                        ; implicit-def: $vgpr131
	s_delay_alu instid0(VALU_DEP_1) | instskip(NEXT) | instid1(VALU_DEP_1)
	v_and_b32_e32 v9, 0x7f800000, v8
	v_cmp_ne_u32_e64 s1, 0x7f800000, v9
	s_delay_alu instid0(VALU_DEP_1) | instskip(NEXT) | instid1(SALU_CYCLE_1)
	s_and_saveexec_b32 s13, s1
	s_xor_b32 s1, exec_lo, s13
; %bb.1207:                             ;   in Loop: Header=BB409_763 Depth=1
	v_bfe_u32 v9, v8, 16, 1
	s_delay_alu instid0(VALU_DEP_1)
	v_add3_u32 v131, v8, v9, 0x7fff
                                        ; implicit-def: $vgpr8
; %bb.1208:                             ;   in Loop: Header=BB409_763 Depth=1
	s_and_not1_saveexec_b32 s13, s1
; %bb.1209:                             ;   in Loop: Header=BB409_763 Depth=1
	v_and_b32_e32 v9, 0xffff, v8
	v_or_b32_e32 v12, 0x10000, v8
	s_delay_alu instid0(VALU_DEP_2) | instskip(NEXT) | instid1(VALU_DEP_1)
	v_cmp_eq_u32_e64 s1, 0, v9
	v_cndmask_b32_e64 v131, v12, v8, s1
; %bb.1210:                             ;   in Loop: Header=BB409_763 Depth=1
	s_or_b32 exec_lo, exec_lo, s13
	v_lshrrev_b32_e32 v8, 16, v6
	s_mov_b32 s13, exec_lo
	s_delay_alu instid0(VALU_DEP_1) | instskip(NEXT) | instid1(VALU_DEP_1)
	v_dual_mov_b32 v9, 0 :: v_dual_and_b32 v12, 0xff, v8
	v_cmpx_ne_u16_e32 0, v12
	s_cbranch_execz .LBB409_1218
; %bb.1211:                             ;   in Loop: Header=BB409_763 Depth=1
	v_bfrev_b32_e32 v9, 1
	s_mov_b32 s15, exec_lo
	v_cmpx_ne_u16_e32 0x80, v12
	s_cbranch_execz .LBB409_1217
; %bb.1212:                             ;   in Loop: Header=BB409_763 Depth=1
	v_bfe_u32 v132, v6, 16, 7
	v_mov_b32_e32 v9, 0x7f800001
	s_mov_b32 s16, exec_lo
	s_delay_alu instid0(VALU_DEP_2)
	v_cmpx_ne_u32_e32 0x7f, v132
	s_cbranch_execz .LBB409_1216
; %bb.1213:                             ;   in Loop: Header=BB409_763 Depth=1
	v_and_b32_e32 v12, 7, v8
	v_lshrrev_b32_e32 v9, 3, v132
	s_mov_b32 s17, exec_lo
	v_cmpx_gt_u32_e32 8, v132
; %bb.1214:                             ;   in Loop: Header=BB409_763 Depth=1
	s_delay_alu instid0(VALU_DEP_3) | instskip(NEXT) | instid1(VALU_DEP_1)
	v_clz_i32_u32_e32 v9, v12
	v_min_u32_e32 v9, 32, v9
	s_delay_alu instid0(VALU_DEP_1) | instskip(SKIP_1) | instid1(VALU_DEP_2)
	v_subrev_nc_u32_e32 v132, 28, v9
	v_sub_nc_u32_e32 v9, 29, v9
	v_lshlrev_b64 v[132:133], v132, v[12:13]
	s_delay_alu instid0(VALU_DEP_1)
	v_and_b32_e32 v12, 7, v132
; %bb.1215:                             ;   in Loop: Header=BB409_763 Depth=1
	s_or_b32 exec_lo, exec_lo, s17
	v_lshlrev_b32_e32 v8, 24, v8
	s_delay_alu instid0(VALU_DEP_2) | instskip(SKIP_1) | instid1(VALU_DEP_3)
	v_lshlrev_b32_e32 v12, 20, v12
	v_lshl_add_u32 v9, v9, 23, 0x3c000000
	v_and_b32_e32 v8, 0x80000000, v8
	s_delay_alu instid0(VALU_DEP_1)
	v_or3_b32 v9, v12, v8, v9
.LBB409_1216:                           ;   in Loop: Header=BB409_763 Depth=1
	s_or_b32 exec_lo, exec_lo, s16
.LBB409_1217:                           ;   in Loop: Header=BB409_763 Depth=1
	s_delay_alu instid0(SALU_CYCLE_1)
	s_or_b32 exec_lo, exec_lo, s15
.LBB409_1218:                           ;   in Loop: Header=BB409_763 Depth=1
	s_delay_alu instid0(SALU_CYCLE_1) | instskip(NEXT) | instid1(VALU_DEP_1)
	s_or_b32 exec_lo, exec_lo, s13
	v_mul_f32_e32 v8, v162, v9
                                        ; implicit-def: $vgpr132
	s_delay_alu instid0(VALU_DEP_1) | instskip(NEXT) | instid1(VALU_DEP_1)
	v_and_b32_e32 v9, 0x7f800000, v8
	v_cmp_ne_u32_e64 s1, 0x7f800000, v9
	s_delay_alu instid0(VALU_DEP_1) | instskip(NEXT) | instid1(SALU_CYCLE_1)
	s_and_saveexec_b32 s13, s1
	s_xor_b32 s1, exec_lo, s13
; %bb.1219:                             ;   in Loop: Header=BB409_763 Depth=1
	v_bfe_u32 v9, v8, 16, 1
	s_delay_alu instid0(VALU_DEP_1)
	v_add3_u32 v132, v8, v9, 0x7fff
                                        ; implicit-def: $vgpr8
; %bb.1220:                             ;   in Loop: Header=BB409_763 Depth=1
	s_and_not1_saveexec_b32 s13, s1
; %bb.1221:                             ;   in Loop: Header=BB409_763 Depth=1
	v_and_b32_e32 v9, 0xffff, v8
	v_or_b32_e32 v12, 0x10000, v8
	s_delay_alu instid0(VALU_DEP_2) | instskip(NEXT) | instid1(VALU_DEP_1)
	v_cmp_eq_u32_e64 s1, 0, v9
	v_cndmask_b32_e64 v132, v12, v8, s1
; %bb.1222:                             ;   in Loop: Header=BB409_763 Depth=1
	s_or_b32 exec_lo, exec_lo, s13
	v_mov_b32_e32 v9, 0
	s_mov_b32 s13, exec_lo
	v_cmpx_lt_u32_e32 0xffffff, v6
	s_cbranch_execz .LBB409_1230
; %bb.1223:                             ;   in Loop: Header=BB409_763 Depth=1
	v_lshrrev_b32_e32 v8, 24, v6
	v_bfrev_b32_e32 v9, 1
	s_mov_b32 s15, exec_lo
	s_delay_alu instid0(VALU_DEP_2)
	v_cmpx_ne_u32_e32 0x80, v8
	s_cbranch_execz .LBB409_1229
; %bb.1224:                             ;   in Loop: Header=BB409_763 Depth=1
	v_bfe_u32 v133, v6, 24, 7
	v_mov_b32_e32 v9, 0x7f800001
	s_mov_b32 s16, exec_lo
	s_delay_alu instid0(VALU_DEP_2)
	v_cmpx_ne_u32_e32 0x7f, v133
	s_cbranch_execz .LBB409_1228
; %bb.1225:                             ;   in Loop: Header=BB409_763 Depth=1
	v_and_b32_e32 v12, 7, v8
	v_lshrrev_b32_e32 v9, 3, v133
	s_mov_b32 s17, exec_lo
	v_cmpx_gt_u32_e32 8, v133
; %bb.1226:                             ;   in Loop: Header=BB409_763 Depth=1
	s_delay_alu instid0(VALU_DEP_3) | instskip(NEXT) | instid1(VALU_DEP_1)
	v_clz_i32_u32_e32 v9, v12
	v_min_u32_e32 v9, 32, v9
	s_delay_alu instid0(VALU_DEP_1) | instskip(SKIP_1) | instid1(VALU_DEP_2)
	v_subrev_nc_u32_e32 v133, 28, v9
	v_sub_nc_u32_e32 v9, 29, v9
	v_lshlrev_b64 v[133:134], v133, v[12:13]
	s_delay_alu instid0(VALU_DEP_1)
	v_and_b32_e32 v12, 7, v133
; %bb.1227:                             ;   in Loop: Header=BB409_763 Depth=1
	s_or_b32 exec_lo, exec_lo, s17
	v_lshlrev_b32_e32 v8, 24, v8
	s_delay_alu instid0(VALU_DEP_2) | instskip(SKIP_1) | instid1(VALU_DEP_3)
	v_lshlrev_b32_e32 v12, 20, v12
	v_lshl_add_u32 v9, v9, 23, 0x3c000000
	v_and_b32_e32 v8, 0x80000000, v8
	s_delay_alu instid0(VALU_DEP_1)
	v_or3_b32 v9, v12, v8, v9
.LBB409_1228:                           ;   in Loop: Header=BB409_763 Depth=1
	s_or_b32 exec_lo, exec_lo, s16
.LBB409_1229:                           ;   in Loop: Header=BB409_763 Depth=1
	s_delay_alu instid0(SALU_CYCLE_1)
	s_or_b32 exec_lo, exec_lo, s15
.LBB409_1230:                           ;   in Loop: Header=BB409_763 Depth=1
	s_delay_alu instid0(SALU_CYCLE_1) | instskip(NEXT) | instid1(VALU_DEP_1)
	s_or_b32 exec_lo, exec_lo, s13
	v_mul_f32_e32 v8, v162, v9
                                        ; implicit-def: $vgpr133
	s_delay_alu instid0(VALU_DEP_1) | instskip(NEXT) | instid1(VALU_DEP_1)
	v_and_b32_e32 v9, 0x7f800000, v8
	v_cmp_ne_u32_e64 s1, 0x7f800000, v9
	s_delay_alu instid0(VALU_DEP_1) | instskip(NEXT) | instid1(SALU_CYCLE_1)
	s_and_saveexec_b32 s13, s1
	s_xor_b32 s1, exec_lo, s13
; %bb.1231:                             ;   in Loop: Header=BB409_763 Depth=1
	v_bfe_u32 v9, v8, 16, 1
	s_delay_alu instid0(VALU_DEP_1)
	v_add3_u32 v133, v8, v9, 0x7fff
                                        ; implicit-def: $vgpr8
; %bb.1232:                             ;   in Loop: Header=BB409_763 Depth=1
	s_and_not1_saveexec_b32 s13, s1
; %bb.1233:                             ;   in Loop: Header=BB409_763 Depth=1
	v_and_b32_e32 v9, 0xffff, v8
	v_or_b32_e32 v12, 0x10000, v8
	s_delay_alu instid0(VALU_DEP_2) | instskip(NEXT) | instid1(VALU_DEP_1)
	v_cmp_eq_u32_e64 s1, 0, v9
	v_cndmask_b32_e64 v133, v12, v8, s1
; %bb.1234:                             ;   in Loop: Header=BB409_763 Depth=1
	s_or_b32 exec_lo, exec_lo, s13
	v_dual_mov_b32 v12, v7 :: v_dual_and_b32 v9, 0xff, v7
	v_mov_b32_e32 v8, 0
	s_mov_b32 s13, exec_lo
	s_delay_alu instid0(VALU_DEP_2)
	v_cmpx_ne_u16_e32 0, v9
	s_cbranch_execz .LBB409_1242
; %bb.1235:                             ;   in Loop: Header=BB409_763 Depth=1
	v_bfrev_b32_e32 v8, 1
	s_mov_b32 s15, exec_lo
	v_cmpx_ne_u16_e32 0x80, v9
	s_cbranch_execz .LBB409_1241
; %bb.1236:                             ;   in Loop: Header=BB409_763 Depth=1
	v_and_b32_e32 v9, 0x7f, v7
	v_mov_b32_e32 v8, 0x7f800001
	s_mov_b32 s16, exec_lo
	s_delay_alu instid0(VALU_DEP_2)
	v_cmpx_ne_u32_e32 0x7f, v9
	s_cbranch_execz .LBB409_1240
; %bb.1237:                             ;   in Loop: Header=BB409_763 Depth=1
	v_lshrrev_b32_e32 v134, 3, v9
	v_cmp_gt_u32_e64 s1, 8, v9
	v_dual_mov_b32 v8, v12 :: v_dual_mov_b32 v9, v13
	s_delay_alu instid0(VALU_DEP_2)
	s_and_saveexec_b32 s17, s1
; %bb.1238:                             ;   in Loop: Header=BB409_763 Depth=1
	v_and_b32_e32 v8, 7, v7
	s_delay_alu instid0(VALU_DEP_1) | instskip(NEXT) | instid1(VALU_DEP_1)
	v_clz_i32_u32_e32 v8, v8
	v_min_u32_e32 v134, 32, v8
	s_delay_alu instid0(VALU_DEP_1) | instskip(SKIP_1) | instid1(VALU_DEP_2)
	v_subrev_nc_u32_e32 v8, 28, v134
	v_sub_nc_u32_e32 v134, 29, v134
	v_lshlrev_b64 v[8:9], v8, v[12:13]
; %bb.1239:                             ;   in Loop: Header=BB409_763 Depth=1
	s_or_b32 exec_lo, exec_lo, s17
	s_delay_alu instid0(VALU_DEP_1) | instskip(SKIP_2) | instid1(VALU_DEP_3)
	v_lshlrev_b32_e32 v8, 20, v8
	v_lshlrev_b32_e32 v9, 24, v12
	v_lshl_add_u32 v134, v134, 23, 0x3c000000
	v_and_b32_e32 v8, 0x700000, v8
	s_delay_alu instid0(VALU_DEP_3) | instskip(NEXT) | instid1(VALU_DEP_1)
	v_and_b32_e32 v9, 0x80000000, v9
	v_or3_b32 v8, v8, v9, v134
.LBB409_1240:                           ;   in Loop: Header=BB409_763 Depth=1
	s_or_b32 exec_lo, exec_lo, s16
.LBB409_1241:                           ;   in Loop: Header=BB409_763 Depth=1
	s_delay_alu instid0(SALU_CYCLE_1)
	s_or_b32 exec_lo, exec_lo, s15
.LBB409_1242:                           ;   in Loop: Header=BB409_763 Depth=1
	s_delay_alu instid0(SALU_CYCLE_1) | instskip(NEXT) | instid1(VALU_DEP_1)
	s_or_b32 exec_lo, exec_lo, s13
	v_mul_f32_e32 v8, v162, v8
                                        ; implicit-def: $vgpr134
	s_delay_alu instid0(VALU_DEP_1) | instskip(NEXT) | instid1(VALU_DEP_1)
	v_and_b32_e32 v9, 0x7f800000, v8
	v_cmp_ne_u32_e64 s1, 0x7f800000, v9
	s_delay_alu instid0(VALU_DEP_1) | instskip(NEXT) | instid1(SALU_CYCLE_1)
	s_and_saveexec_b32 s13, s1
	s_xor_b32 s1, exec_lo, s13
; %bb.1243:                             ;   in Loop: Header=BB409_763 Depth=1
	v_bfe_u32 v9, v8, 16, 1
	s_delay_alu instid0(VALU_DEP_1)
	v_add3_u32 v134, v8, v9, 0x7fff
                                        ; implicit-def: $vgpr8
; %bb.1244:                             ;   in Loop: Header=BB409_763 Depth=1
	s_and_not1_saveexec_b32 s13, s1
; %bb.1245:                             ;   in Loop: Header=BB409_763 Depth=1
	v_and_b32_e32 v9, 0xffff, v8
	v_or_b32_e32 v134, 0x10000, v8
	s_delay_alu instid0(VALU_DEP_2) | instskip(NEXT) | instid1(VALU_DEP_1)
	v_cmp_eq_u32_e64 s1, 0, v9
	v_cndmask_b32_e64 v134, v134, v8, s1
; %bb.1246:                             ;   in Loop: Header=BB409_763 Depth=1
	s_or_b32 exec_lo, exec_lo, s13
	v_lshrrev_b16 v9, 8, v12
	v_mov_b32_e32 v8, 0
	s_mov_b32 s13, exec_lo
	s_delay_alu instid0(VALU_DEP_2)
	v_cmpx_ne_u16_e32 0, v9
	s_cbranch_execz .LBB409_1254
; %bb.1247:                             ;   in Loop: Header=BB409_763 Depth=1
	v_bfrev_b32_e32 v8, 1
	s_mov_b32 s15, exec_lo
	v_cmpx_ne_u16_e32 0x80, v9
	s_cbranch_execz .LBB409_1253
; %bb.1248:                             ;   in Loop: Header=BB409_763 Depth=1
	v_and_b32_e32 v9, 0xffff, v9
	v_mov_b32_e32 v8, 0x7f800001
	s_mov_b32 s16, exec_lo
	s_delay_alu instid0(VALU_DEP_2) | instskip(NEXT) | instid1(VALU_DEP_1)
	v_and_b32_e32 v144, 0x7f, v9
	v_cmpx_ne_u32_e32 0x7f, v144
	s_cbranch_execz .LBB409_1252
; %bb.1249:                             ;   in Loop: Header=BB409_763 Depth=1
	v_dual_mov_b32 v9, v13 :: v_dual_and_b32 v8, 7, v9
	v_lshrrev_b32_e32 v135, 3, v144
	s_mov_b32 s17, exec_lo
	v_cmpx_gt_u32_e32 8, v144
; %bb.1250:                             ;   in Loop: Header=BB409_763 Depth=1
	s_delay_alu instid0(VALU_DEP_3) | instskip(NEXT) | instid1(VALU_DEP_1)
	v_clz_i32_u32_e32 v135, v8
	v_min_u32_e32 v135, 32, v135
	s_delay_alu instid0(VALU_DEP_1) | instskip(SKIP_1) | instid1(VALU_DEP_2)
	v_subrev_nc_u32_e32 v144, 28, v135
	v_sub_nc_u32_e32 v135, 29, v135
	v_lshlrev_b64 v[8:9], v144, v[8:9]
	s_delay_alu instid0(VALU_DEP_1)
	v_and_b32_e32 v8, 7, v8
; %bb.1251:                             ;   in Loop: Header=BB409_763 Depth=1
	s_or_b32 exec_lo, exec_lo, s17
	v_lshlrev_b32_e32 v9, 16, v12
	s_delay_alu instid0(VALU_DEP_2) | instskip(SKIP_1) | instid1(VALU_DEP_3)
	v_lshlrev_b32_e32 v8, 20, v8
	v_lshl_add_u32 v12, v135, 23, 0x3c000000
	v_and_b32_e32 v9, 0x80000000, v9
	s_delay_alu instid0(VALU_DEP_1)
	v_or3_b32 v8, v8, v9, v12
.LBB409_1252:                           ;   in Loop: Header=BB409_763 Depth=1
	s_or_b32 exec_lo, exec_lo, s16
.LBB409_1253:                           ;   in Loop: Header=BB409_763 Depth=1
	s_delay_alu instid0(SALU_CYCLE_1)
	s_or_b32 exec_lo, exec_lo, s15
.LBB409_1254:                           ;   in Loop: Header=BB409_763 Depth=1
	s_delay_alu instid0(SALU_CYCLE_1) | instskip(NEXT) | instid1(VALU_DEP_1)
	s_or_b32 exec_lo, exec_lo, s13
	v_mul_f32_e32 v9, v162, v8
	s_delay_alu instid0(VALU_DEP_1) | instskip(NEXT) | instid1(VALU_DEP_1)
	v_and_b32_e32 v8, 0x7f800000, v9
	v_cmp_ne_u32_e64 s1, 0x7f800000, v8
                                        ; implicit-def: $vgpr8
	s_delay_alu instid0(VALU_DEP_1) | instskip(NEXT) | instid1(SALU_CYCLE_1)
	s_and_saveexec_b32 s13, s1
	s_xor_b32 s1, exec_lo, s13
; %bb.1255:                             ;   in Loop: Header=BB409_763 Depth=1
	v_bfe_u32 v8, v9, 16, 1
	s_delay_alu instid0(VALU_DEP_1)
	v_add3_u32 v8, v9, v8, 0x7fff
                                        ; implicit-def: $vgpr9
; %bb.1256:                             ;   in Loop: Header=BB409_763 Depth=1
	s_and_not1_saveexec_b32 s13, s1
; %bb.1257:                             ;   in Loop: Header=BB409_763 Depth=1
	v_and_b32_e32 v8, 0xffff, v9
	v_or_b32_e32 v12, 0x10000, v9
	s_delay_alu instid0(VALU_DEP_2) | instskip(NEXT) | instid1(VALU_DEP_1)
	v_cmp_eq_u32_e64 s1, 0, v8
	v_cndmask_b32_e64 v8, v12, v9, s1
; %bb.1258:                             ;   in Loop: Header=BB409_763 Depth=1
	s_or_b32 exec_lo, exec_lo, s13
	v_lshrrev_b32_e32 v9, 16, v7
	s_mov_b32 s13, exec_lo
	s_delay_alu instid0(VALU_DEP_1) | instskip(NEXT) | instid1(VALU_DEP_1)
	v_dual_mov_b32 v12, 0 :: v_dual_and_b32 v135, 0xff, v9
	v_cmpx_ne_u16_e64 0, v135
	s_cbranch_execz .LBB409_1266
; %bb.1259:                             ;   in Loop: Header=BB409_763 Depth=1
	v_bfrev_b32_e32 v12, 1
	s_mov_b32 s15, exec_lo
	v_cmpx_ne_u16_e64 0x80, v135
	s_cbranch_execz .LBB409_1265
; %bb.1260:                             ;   in Loop: Header=BB409_763 Depth=1
	v_bfe_u32 v144, v7, 16, 7
	v_mov_b32_e32 v12, 0x7f800001
	s_mov_b32 s16, exec_lo
	s_delay_alu instid0(VALU_DEP_2)
	v_cmpx_ne_u32_e32 0x7f, v144
	s_cbranch_execz .LBB409_1264
; %bb.1261:                             ;   in Loop: Header=BB409_763 Depth=1
	v_and_b32_e32 v12, 7, v9
	v_lshrrev_b32_e32 v135, 3, v144
	s_mov_b32 s17, exec_lo
	v_cmpx_gt_u32_e32 8, v144
; %bb.1262:                             ;   in Loop: Header=BB409_763 Depth=1
	s_delay_alu instid0(VALU_DEP_3) | instskip(NEXT) | instid1(VALU_DEP_1)
	v_clz_i32_u32_e32 v135, v12
	v_min_u32_e32 v135, 32, v135
	s_delay_alu instid0(VALU_DEP_1) | instskip(SKIP_1) | instid1(VALU_DEP_2)
	v_subrev_nc_u32_e32 v144, 28, v135
	v_sub_nc_u32_e32 v135, 29, v135
	v_lshlrev_b64 v[144:145], v144, v[12:13]
	s_delay_alu instid0(VALU_DEP_1)
	v_and_b32_e32 v12, 7, v144
; %bb.1263:                             ;   in Loop: Header=BB409_763 Depth=1
	s_or_b32 exec_lo, exec_lo, s17
	v_lshlrev_b32_e32 v9, 24, v9
	s_delay_alu instid0(VALU_DEP_2) | instskip(SKIP_1) | instid1(VALU_DEP_3)
	v_lshlrev_b32_e32 v12, 20, v12
	v_lshl_add_u32 v135, v135, 23, 0x3c000000
	v_and_b32_e32 v9, 0x80000000, v9
	s_delay_alu instid0(VALU_DEP_1)
	v_or3_b32 v12, v12, v9, v135
.LBB409_1264:                           ;   in Loop: Header=BB409_763 Depth=1
	s_or_b32 exec_lo, exec_lo, s16
.LBB409_1265:                           ;   in Loop: Header=BB409_763 Depth=1
	s_delay_alu instid0(SALU_CYCLE_1)
	s_or_b32 exec_lo, exec_lo, s15
.LBB409_1266:                           ;   in Loop: Header=BB409_763 Depth=1
	s_delay_alu instid0(SALU_CYCLE_1) | instskip(NEXT) | instid1(VALU_DEP_1)
	s_or_b32 exec_lo, exec_lo, s13
	v_mul_f32_e32 v9, v162, v12
                                        ; implicit-def: $vgpr135
	s_delay_alu instid0(VALU_DEP_1) | instskip(NEXT) | instid1(VALU_DEP_1)
	v_and_b32_e32 v12, 0x7f800000, v9
	v_cmp_ne_u32_e64 s1, 0x7f800000, v12
	s_delay_alu instid0(VALU_DEP_1) | instskip(NEXT) | instid1(SALU_CYCLE_1)
	s_and_saveexec_b32 s13, s1
	s_xor_b32 s1, exec_lo, s13
; %bb.1267:                             ;   in Loop: Header=BB409_763 Depth=1
	v_bfe_u32 v12, v9, 16, 1
	s_delay_alu instid0(VALU_DEP_1)
	v_add3_u32 v135, v9, v12, 0x7fff
                                        ; implicit-def: $vgpr9
; %bb.1268:                             ;   in Loop: Header=BB409_763 Depth=1
	s_and_not1_saveexec_b32 s13, s1
; %bb.1269:                             ;   in Loop: Header=BB409_763 Depth=1
	v_and_b32_e32 v12, 0xffff, v9
	v_or_b32_e32 v135, 0x10000, v9
	s_delay_alu instid0(VALU_DEP_2) | instskip(NEXT) | instid1(VALU_DEP_1)
	v_cmp_eq_u32_e64 s1, 0, v12
	v_cndmask_b32_e64 v135, v135, v9, s1
; %bb.1270:                             ;   in Loop: Header=BB409_763 Depth=1
	s_or_b32 exec_lo, exec_lo, s13
	v_mov_b32_e32 v9, 0
	s_mov_b32 s13, exec_lo
	v_cmpx_lt_u64_e64 s[8:9], v[6:7]
	s_cbranch_execz .LBB409_1278
; %bb.1271:                             ;   in Loop: Header=BB409_763 Depth=1
	v_lshrrev_b32_e32 v6, 24, v7
	v_bfrev_b32_e32 v9, 1
	s_mov_b32 s15, exec_lo
	s_delay_alu instid0(VALU_DEP_2)
	v_cmpx_ne_u32_e32 0x80, v6
	s_cbranch_execz .LBB409_1277
; %bb.1272:                             ;   in Loop: Header=BB409_763 Depth=1
	v_bfe_u32 v144, v7, 24, 7
	v_mov_b32_e32 v9, 0x7f800001
	s_mov_b32 s16, exec_lo
	s_delay_alu instid0(VALU_DEP_2)
	v_cmpx_ne_u32_e32 0x7f, v144
	s_cbranch_execz .LBB409_1276
; %bb.1273:                             ;   in Loop: Header=BB409_763 Depth=1
	v_and_b32_e32 v12, 7, v6
	v_lshrrev_b32_e32 v7, 3, v144
	s_mov_b32 s17, exec_lo
	v_cmpx_gt_u32_e32 8, v144
; %bb.1274:                             ;   in Loop: Header=BB409_763 Depth=1
	s_delay_alu instid0(VALU_DEP_3) | instskip(NEXT) | instid1(VALU_DEP_1)
	v_clz_i32_u32_e32 v7, v12
	v_min_u32_e32 v7, 32, v7
	s_delay_alu instid0(VALU_DEP_1) | instskip(SKIP_1) | instid1(VALU_DEP_2)
	v_subrev_nc_u32_e32 v9, 28, v7
	v_sub_nc_u32_e32 v7, 29, v7
	v_lshlrev_b64 v[144:145], v9, v[12:13]
	s_delay_alu instid0(VALU_DEP_1)
	v_and_b32_e32 v12, 7, v144
; %bb.1275:                             ;   in Loop: Header=BB409_763 Depth=1
	s_or_b32 exec_lo, exec_lo, s17
	v_lshlrev_b32_e32 v6, 24, v6
	s_delay_alu instid0(VALU_DEP_2) | instskip(SKIP_1) | instid1(VALU_DEP_3)
	v_lshlrev_b32_e32 v9, 20, v12
	v_lshl_add_u32 v7, v7, 23, 0x3c000000
	v_and_b32_e32 v6, 0x80000000, v6
	s_delay_alu instid0(VALU_DEP_1)
	v_or3_b32 v9, v9, v6, v7
.LBB409_1276:                           ;   in Loop: Header=BB409_763 Depth=1
	s_or_b32 exec_lo, exec_lo, s16
.LBB409_1277:                           ;   in Loop: Header=BB409_763 Depth=1
	s_delay_alu instid0(SALU_CYCLE_1)
	s_or_b32 exec_lo, exec_lo, s15
.LBB409_1278:                           ;   in Loop: Header=BB409_763 Depth=1
	s_delay_alu instid0(SALU_CYCLE_1) | instskip(NEXT) | instid1(VALU_DEP_1)
	s_or_b32 exec_lo, exec_lo, s13
	v_mul_f32_e32 v7, v162, v9
	s_delay_alu instid0(VALU_DEP_1) | instskip(NEXT) | instid1(VALU_DEP_1)
	v_and_b32_e32 v6, 0x7f800000, v7
	v_cmp_ne_u32_e64 s1, 0x7f800000, v6
                                        ; implicit-def: $vgpr6
	s_delay_alu instid0(VALU_DEP_1) | instskip(NEXT) | instid1(SALU_CYCLE_1)
	s_and_saveexec_b32 s13, s1
	s_xor_b32 s1, exec_lo, s13
; %bb.1279:                             ;   in Loop: Header=BB409_763 Depth=1
	v_bfe_u32 v6, v7, 16, 1
	s_delay_alu instid0(VALU_DEP_1)
	v_add3_u32 v6, v7, v6, 0x7fff
                                        ; implicit-def: $vgpr7
; %bb.1280:                             ;   in Loop: Header=BB409_763 Depth=1
	s_and_not1_saveexec_b32 s13, s1
; %bb.1281:                             ;   in Loop: Header=BB409_763 Depth=1
	v_and_b32_e32 v6, 0xffff, v7
	v_or_b32_e32 v9, 0x10000, v7
	s_delay_alu instid0(VALU_DEP_2) | instskip(NEXT) | instid1(VALU_DEP_1)
	v_cmp_eq_u32_e64 s1, 0, v6
	v_cndmask_b32_e64 v6, v9, v7, s1
; %bb.1282:                             ;   in Loop: Header=BB409_763 Depth=1
	s_or_b32 exec_lo, exec_lo, s13
	v_lshrrev_b32_e32 v8, 16, v8
	v_lshrrev_b32_e32 v9, 16, v134
	v_lshrrev_b32_e32 v12, 16, v133
	v_lshrrev_b32_e32 v132, 16, v132
	v_lshrrev_b32_e32 v131, 16, v131
	v_lshrrev_b32_e32 v130, 16, v130
	v_lshrrev_b32_e32 v7, 16, v135
	v_lshrrev_b32_e32 v6, 16, v6
	s_and_saveexec_b32 s13, s0
	s_cbranch_execz .LBB409_1284
; %bb.1283:                             ;   in Loop: Header=BB409_763 Depth=1
	v_add_nc_u32_e32 v133, 1, v55
	v_cmp_lt_i32_e64 s1, v55, v83
	v_add_nc_u32_e32 v134, 2, v55
	v_add_nc_u32_e32 v135, 3, v55
	s_delay_alu instid0(VALU_DEP_3) | instskip(SKIP_2) | instid1(VALU_DEP_2)
	v_cndmask_b32_e64 v130, 0, v130, s1
	v_cmp_lt_i32_e64 s1, v133, v83
	v_add_nc_u32_e32 v133, 4, v55
	v_cndmask_b32_e64 v131, 0, v131, s1
	v_cmp_lt_i32_e64 s1, v134, v83
	v_add_nc_u32_e32 v134, 5, v55
	s_delay_alu instid0(VALU_DEP_2) | instskip(SKIP_2) | instid1(VALU_DEP_2)
	v_cndmask_b32_e64 v132, 0, v132, s1
	v_cmp_lt_i32_e64 s1, v135, v83
	v_add_nc_u32_e32 v135, 6, v55
	v_cndmask_b32_e64 v12, 0, v12, s1
	v_cmp_lt_i32_e64 s1, v133, v83
	v_add_nc_u32_e32 v133, 7, v55
	s_delay_alu instid0(VALU_DEP_2) | instskip(SKIP_1) | instid1(VALU_DEP_1)
	v_cndmask_b32_e64 v9, 0, v9, s1
	v_cmp_lt_i32_e64 s1, v134, v83
	v_cndmask_b32_e64 v8, 0, v8, s1
	v_cmp_lt_i32_e64 s1, v135, v83
	s_delay_alu instid0(VALU_DEP_1) | instskip(SKIP_1) | instid1(VALU_DEP_1)
	v_cndmask_b32_e64 v7, 0, v7, s1
	v_cmp_lt_i32_e64 s1, v133, v83
	v_cndmask_b32_e64 v6, 0, v6, s1
.LBB409_1284:                           ;   in Loop: Header=BB409_763 Depth=1
	s_or_b32 exec_lo, exec_lo, s13
	v_lshlrev_b32_e32 v130, 16, v130
	s_delay_alu instid0(VALU_DEP_1) | instskip(NEXT) | instid1(VALU_DEP_1)
	v_mul_f32_e32 v133, v66, v130
	v_and_b32_e32 v130, 0x7f800000, v133
	s_delay_alu instid0(VALU_DEP_1) | instskip(NEXT) | instid1(VALU_DEP_1)
	v_cmp_ne_u32_e64 s1, 0x7f800000, v130
                                        ; implicit-def: $vgpr130
	s_and_saveexec_b32 s13, s1
	s_delay_alu instid0(SALU_CYCLE_1)
	s_xor_b32 s1, exec_lo, s13
; %bb.1285:                             ;   in Loop: Header=BB409_763 Depth=1
	v_bfe_u32 v130, v133, 16, 1
	s_delay_alu instid0(VALU_DEP_1)
	v_add3_u32 v130, v133, v130, 0x7fff
                                        ; implicit-def: $vgpr133
; %bb.1286:                             ;   in Loop: Header=BB409_763 Depth=1
	s_and_not1_saveexec_b32 s13, s1
; %bb.1287:                             ;   in Loop: Header=BB409_763 Depth=1
	v_and_b32_e32 v130, 0xffff, v133
	v_or_b32_e32 v134, 0x10000, v133
	s_delay_alu instid0(VALU_DEP_2) | instskip(NEXT) | instid1(VALU_DEP_1)
	v_cmp_eq_u32_e64 s1, 0, v130
	v_cndmask_b32_e64 v130, v134, v133, s1
; %bb.1288:                             ;   in Loop: Header=BB409_763 Depth=1
	s_or_b32 exec_lo, exec_lo, s13
	v_lshlrev_b32_e32 v131, 16, v131
	s_delay_alu instid0(VALU_DEP_1) | instskip(NEXT) | instid1(VALU_DEP_1)
	v_mul_f32_e32 v133, v67, v131
	v_and_b32_e32 v131, 0x7f800000, v133
	s_delay_alu instid0(VALU_DEP_1) | instskip(NEXT) | instid1(VALU_DEP_1)
	v_cmp_ne_u32_e64 s1, 0x7f800000, v131
                                        ; implicit-def: $vgpr131
	s_and_saveexec_b32 s13, s1
	s_delay_alu instid0(SALU_CYCLE_1)
	s_xor_b32 s1, exec_lo, s13
; %bb.1289:                             ;   in Loop: Header=BB409_763 Depth=1
	v_bfe_u32 v131, v133, 16, 1
	s_delay_alu instid0(VALU_DEP_1)
	v_add3_u32 v131, v133, v131, 0x7fff
                                        ; implicit-def: $vgpr133
; %bb.1290:                             ;   in Loop: Header=BB409_763 Depth=1
	s_and_not1_saveexec_b32 s13, s1
; %bb.1291:                             ;   in Loop: Header=BB409_763 Depth=1
	v_and_b32_e32 v131, 0xffff, v133
	v_or_b32_e32 v134, 0x10000, v133
	s_delay_alu instid0(VALU_DEP_2) | instskip(NEXT) | instid1(VALU_DEP_1)
	v_cmp_eq_u32_e64 s1, 0, v131
	v_cndmask_b32_e64 v131, v134, v133, s1
; %bb.1292:                             ;   in Loop: Header=BB409_763 Depth=1
	s_or_b32 exec_lo, exec_lo, s13
	v_lshlrev_b32_e32 v132, 16, v132
	s_delay_alu instid0(VALU_DEP_1) | instskip(NEXT) | instid1(VALU_DEP_1)
	v_mul_f32_e32 v133, v68, v132
	v_and_b32_e32 v132, 0x7f800000, v133
	s_delay_alu instid0(VALU_DEP_1) | instskip(NEXT) | instid1(VALU_DEP_1)
	v_cmp_ne_u32_e64 s1, 0x7f800000, v132
                                        ; implicit-def: $vgpr132
	s_and_saveexec_b32 s13, s1
	s_delay_alu instid0(SALU_CYCLE_1)
	s_xor_b32 s1, exec_lo, s13
; %bb.1293:                             ;   in Loop: Header=BB409_763 Depth=1
	v_bfe_u32 v132, v133, 16, 1
	s_delay_alu instid0(VALU_DEP_1)
	v_add3_u32 v132, v133, v132, 0x7fff
                                        ; implicit-def: $vgpr133
; %bb.1294:                             ;   in Loop: Header=BB409_763 Depth=1
	s_and_not1_saveexec_b32 s13, s1
; %bb.1295:                             ;   in Loop: Header=BB409_763 Depth=1
	v_and_b32_e32 v132, 0xffff, v133
	v_or_b32_e32 v134, 0x10000, v133
	s_delay_alu instid0(VALU_DEP_2) | instskip(NEXT) | instid1(VALU_DEP_1)
	v_cmp_eq_u32_e64 s1, 0, v132
	v_cndmask_b32_e64 v132, v134, v133, s1
; %bb.1296:                             ;   in Loop: Header=BB409_763 Depth=1
	s_or_b32 exec_lo, exec_lo, s13
	v_lshlrev_b32_e32 v12, 16, v12
	s_delay_alu instid0(VALU_DEP_1) | instskip(NEXT) | instid1(VALU_DEP_1)
	v_mul_f32_e32 v12, v69, v12
	v_and_b32_e32 v133, 0x7f800000, v12
	s_delay_alu instid0(VALU_DEP_1) | instskip(NEXT) | instid1(VALU_DEP_1)
	v_cmp_ne_u32_e64 s1, 0x7f800000, v133
                                        ; implicit-def: $vgpr133
	s_and_saveexec_b32 s13, s1
	s_delay_alu instid0(SALU_CYCLE_1)
	s_xor_b32 s1, exec_lo, s13
; %bb.1297:                             ;   in Loop: Header=BB409_763 Depth=1
	v_bfe_u32 v133, v12, 16, 1
	s_delay_alu instid0(VALU_DEP_1)
	v_add3_u32 v133, v12, v133, 0x7fff
                                        ; implicit-def: $vgpr12
; %bb.1298:                             ;   in Loop: Header=BB409_763 Depth=1
	s_and_not1_saveexec_b32 s13, s1
; %bb.1299:                             ;   in Loop: Header=BB409_763 Depth=1
	v_and_b32_e32 v133, 0xffff, v12
	v_or_b32_e32 v134, 0x10000, v12
	s_delay_alu instid0(VALU_DEP_2) | instskip(NEXT) | instid1(VALU_DEP_1)
	v_cmp_eq_u32_e64 s1, 0, v133
	v_cndmask_b32_e64 v133, v134, v12, s1
; %bb.1300:                             ;   in Loop: Header=BB409_763 Depth=1
	s_or_b32 exec_lo, exec_lo, s13
	v_lshlrev_b32_e32 v9, 16, v9
                                        ; implicit-def: $vgpr134
	s_delay_alu instid0(VALU_DEP_1) | instskip(NEXT) | instid1(VALU_DEP_1)
	v_mul_f32_e32 v9, v70, v9
	v_and_b32_e32 v12, 0x7f800000, v9
	s_delay_alu instid0(VALU_DEP_1) | instskip(NEXT) | instid1(VALU_DEP_1)
	v_cmp_ne_u32_e64 s1, 0x7f800000, v12
	s_and_saveexec_b32 s13, s1
	s_delay_alu instid0(SALU_CYCLE_1)
	s_xor_b32 s1, exec_lo, s13
; %bb.1301:                             ;   in Loop: Header=BB409_763 Depth=1
	v_bfe_u32 v12, v9, 16, 1
	s_delay_alu instid0(VALU_DEP_1)
	v_add3_u32 v134, v9, v12, 0x7fff
                                        ; implicit-def: $vgpr9
; %bb.1302:                             ;   in Loop: Header=BB409_763 Depth=1
	s_and_not1_saveexec_b32 s13, s1
; %bb.1303:                             ;   in Loop: Header=BB409_763 Depth=1
	v_and_b32_e32 v12, 0xffff, v9
	v_or_b32_e32 v134, 0x10000, v9
	s_delay_alu instid0(VALU_DEP_2) | instskip(NEXT) | instid1(VALU_DEP_1)
	v_cmp_eq_u32_e64 s1, 0, v12
	v_cndmask_b32_e64 v134, v134, v9, s1
; %bb.1304:                             ;   in Loop: Header=BB409_763 Depth=1
	s_or_b32 exec_lo, exec_lo, s13
	v_lshlrev_b32_e32 v8, 16, v8
                                        ; implicit-def: $vgpr135
	s_delay_alu instid0(VALU_DEP_1) | instskip(NEXT) | instid1(VALU_DEP_1)
	v_mul_f32_e32 v8, v71, v8
	v_and_b32_e32 v9, 0x7f800000, v8
	s_delay_alu instid0(VALU_DEP_1) | instskip(NEXT) | instid1(VALU_DEP_1)
	v_cmp_ne_u32_e64 s1, 0x7f800000, v9
	s_and_saveexec_b32 s13, s1
	s_delay_alu instid0(SALU_CYCLE_1)
	s_xor_b32 s1, exec_lo, s13
; %bb.1305:                             ;   in Loop: Header=BB409_763 Depth=1
	v_bfe_u32 v9, v8, 16, 1
	s_delay_alu instid0(VALU_DEP_1)
	v_add3_u32 v135, v8, v9, 0x7fff
                                        ; implicit-def: $vgpr8
; %bb.1306:                             ;   in Loop: Header=BB409_763 Depth=1
	s_and_not1_saveexec_b32 s13, s1
; %bb.1307:                             ;   in Loop: Header=BB409_763 Depth=1
	v_and_b32_e32 v9, 0xffff, v8
	v_or_b32_e32 v12, 0x10000, v8
	s_delay_alu instid0(VALU_DEP_2) | instskip(NEXT) | instid1(VALU_DEP_1)
	v_cmp_eq_u32_e64 s1, 0, v9
	v_cndmask_b32_e64 v135, v12, v8, s1
; %bb.1308:                             ;   in Loop: Header=BB409_763 Depth=1
	s_or_b32 exec_lo, exec_lo, s13
	v_lshlrev_b32_e32 v7, 16, v7
                                        ; implicit-def: $vgpr144
	s_delay_alu instid0(VALU_DEP_1) | instskip(NEXT) | instid1(VALU_DEP_1)
	v_mul_f32_e32 v7, v80, v7
	v_and_b32_e32 v8, 0x7f800000, v7
	s_delay_alu instid0(VALU_DEP_1) | instskip(NEXT) | instid1(VALU_DEP_1)
	v_cmp_ne_u32_e64 s1, 0x7f800000, v8
	s_and_saveexec_b32 s13, s1
	s_delay_alu instid0(SALU_CYCLE_1)
	s_xor_b32 s1, exec_lo, s13
; %bb.1309:                             ;   in Loop: Header=BB409_763 Depth=1
	v_bfe_u32 v8, v7, 16, 1
	s_delay_alu instid0(VALU_DEP_1)
	v_add3_u32 v144, v7, v8, 0x7fff
                                        ; implicit-def: $vgpr7
; %bb.1310:                             ;   in Loop: Header=BB409_763 Depth=1
	s_and_not1_saveexec_b32 s13, s1
; %bb.1311:                             ;   in Loop: Header=BB409_763 Depth=1
	v_and_b32_e32 v8, 0xffff, v7
	v_or_b32_e32 v9, 0x10000, v7
	s_delay_alu instid0(VALU_DEP_2) | instskip(NEXT) | instid1(VALU_DEP_1)
	v_cmp_eq_u32_e64 s1, 0, v8
	v_cndmask_b32_e64 v144, v9, v7, s1
; %bb.1312:                             ;   in Loop: Header=BB409_763 Depth=1
	s_or_b32 exec_lo, exec_lo, s13
	v_lshlrev_b32_e32 v6, 16, v6
                                        ; implicit-def: $vgpr145
	s_delay_alu instid0(VALU_DEP_1) | instskip(NEXT) | instid1(VALU_DEP_1)
	v_mul_f32_e32 v6, v81, v6
	v_and_b32_e32 v7, 0x7f800000, v6
	s_delay_alu instid0(VALU_DEP_1) | instskip(NEXT) | instid1(VALU_DEP_1)
	v_cmp_ne_u32_e64 s1, 0x7f800000, v7
	s_and_saveexec_b32 s13, s1
	s_delay_alu instid0(SALU_CYCLE_1)
	s_xor_b32 s1, exec_lo, s13
; %bb.1313:                             ;   in Loop: Header=BB409_763 Depth=1
	v_bfe_u32 v7, v6, 16, 1
	s_delay_alu instid0(VALU_DEP_1)
	v_add3_u32 v145, v6, v7, 0x7fff
                                        ; implicit-def: $vgpr6
; %bb.1314:                             ;   in Loop: Header=BB409_763 Depth=1
	s_and_not1_saveexec_b32 s13, s1
; %bb.1315:                             ;   in Loop: Header=BB409_763 Depth=1
	v_and_b32_e32 v7, 0xffff, v6
	v_or_b32_e32 v8, 0x10000, v6
	s_delay_alu instid0(VALU_DEP_2) | instskip(NEXT) | instid1(VALU_DEP_1)
	v_cmp_eq_u32_e64 s1, 0, v7
	v_cndmask_b32_e64 v145, v8, v6, s1
; %bb.1316:                             ;   in Loop: Header=BB409_763 Depth=1
	s_or_b32 exec_lo, exec_lo, s13
	flat_load_b64 v[6:7], v[2:3] offset:1024
	s_mov_b32 s13, exec_lo
	s_waitcnt vmcnt(0) lgkmcnt(0)
	v_dual_mov_b32 v8, 0 :: v_dual_and_b32 v9, 0xff, v6
	s_delay_alu instid0(VALU_DEP_1)
	v_cmpx_ne_u16_e32 0, v9
	s_cbranch_execz .LBB409_1324
; %bb.1317:                             ;   in Loop: Header=BB409_763 Depth=1
	v_bfrev_b32_e32 v8, 1
	s_mov_b32 s15, exec_lo
	v_cmpx_ne_u16_e32 0x80, v9
	s_cbranch_execz .LBB409_1323
; %bb.1318:                             ;   in Loop: Header=BB409_763 Depth=1
	v_and_b32_e32 v9, 0x7f, v6
	v_mov_b32_e32 v8, 0x7f800001
	s_mov_b32 s16, exec_lo
	s_delay_alu instid0(VALU_DEP_2)
	v_cmpx_ne_u32_e32 0x7f, v9
	s_cbranch_execz .LBB409_1322
; %bb.1319:                             ;   in Loop: Header=BB409_763 Depth=1
	v_lshrrev_b32_e32 v12, 3, v9
	v_cmp_gt_u32_e64 s1, 8, v9
	v_dual_mov_b32 v9, v7 :: v_dual_mov_b32 v8, v6
	s_delay_alu instid0(VALU_DEP_2)
	s_and_saveexec_b32 s17, s1
; %bb.1320:                             ;   in Loop: Header=BB409_763 Depth=1
	v_and_b32_e32 v8, 7, v6
	s_delay_alu instid0(VALU_DEP_1) | instskip(NEXT) | instid1(VALU_DEP_1)
	v_clz_i32_u32_e32 v8, v8
	v_min_u32_e32 v12, 32, v8
	s_delay_alu instid0(VALU_DEP_1) | instskip(SKIP_1) | instid1(VALU_DEP_2)
	v_subrev_nc_u32_e32 v8, 28, v12
	v_sub_nc_u32_e32 v12, 29, v12
	v_lshlrev_b64 v[8:9], v8, v[6:7]
; %bb.1321:                             ;   in Loop: Header=BB409_763 Depth=1
	s_or_b32 exec_lo, exec_lo, s17
	s_delay_alu instid0(VALU_DEP_1) | instskip(SKIP_2) | instid1(VALU_DEP_3)
	v_lshlrev_b32_e32 v8, 20, v8
	v_lshlrev_b32_e32 v9, 24, v6
	v_lshl_add_u32 v12, v12, 23, 0x3c000000
	v_and_b32_e32 v8, 0x700000, v8
	s_delay_alu instid0(VALU_DEP_3) | instskip(NEXT) | instid1(VALU_DEP_1)
	v_and_b32_e32 v9, 0x80000000, v9
	v_or3_b32 v8, v8, v9, v12
.LBB409_1322:                           ;   in Loop: Header=BB409_763 Depth=1
	s_or_b32 exec_lo, exec_lo, s16
.LBB409_1323:                           ;   in Loop: Header=BB409_763 Depth=1
	s_delay_alu instid0(SALU_CYCLE_1)
	s_or_b32 exec_lo, exec_lo, s15
.LBB409_1324:                           ;   in Loop: Header=BB409_763 Depth=1
	s_delay_alu instid0(SALU_CYCLE_1) | instskip(NEXT) | instid1(VALU_DEP_1)
	s_or_b32 exec_lo, exec_lo, s13
	v_mul_f32_e32 v8, v162, v8
                                        ; implicit-def: $vgpr146
	s_delay_alu instid0(VALU_DEP_1) | instskip(NEXT) | instid1(VALU_DEP_1)
	v_and_b32_e32 v9, 0x7f800000, v8
	v_cmp_ne_u32_e64 s1, 0x7f800000, v9
	s_delay_alu instid0(VALU_DEP_1) | instskip(NEXT) | instid1(SALU_CYCLE_1)
	s_and_saveexec_b32 s13, s1
	s_xor_b32 s1, exec_lo, s13
; %bb.1325:                             ;   in Loop: Header=BB409_763 Depth=1
	v_bfe_u32 v9, v8, 16, 1
	s_delay_alu instid0(VALU_DEP_1)
	v_add3_u32 v146, v8, v9, 0x7fff
                                        ; implicit-def: $vgpr8
; %bb.1326:                             ;   in Loop: Header=BB409_763 Depth=1
	s_and_not1_saveexec_b32 s13, s1
; %bb.1327:                             ;   in Loop: Header=BB409_763 Depth=1
	v_and_b32_e32 v9, 0xffff, v8
	v_or_b32_e32 v12, 0x10000, v8
	s_delay_alu instid0(VALU_DEP_2) | instskip(NEXT) | instid1(VALU_DEP_1)
	v_cmp_eq_u32_e64 s1, 0, v9
	v_cndmask_b32_e64 v146, v12, v8, s1
; %bb.1328:                             ;   in Loop: Header=BB409_763 Depth=1
	s_or_b32 exec_lo, exec_lo, s13
	v_lshrrev_b16 v9, 8, v6
	v_mov_b32_e32 v8, 0
	s_mov_b32 s13, exec_lo
	s_delay_alu instid0(VALU_DEP_2)
	v_cmpx_ne_u16_e32 0, v9
	s_cbranch_execz .LBB409_1336
; %bb.1329:                             ;   in Loop: Header=BB409_763 Depth=1
	v_bfrev_b32_e32 v8, 1
	s_mov_b32 s15, exec_lo
	v_cmpx_ne_u16_e32 0x80, v9
	s_cbranch_execz .LBB409_1335
; %bb.1330:                             ;   in Loop: Header=BB409_763 Depth=1
	v_and_b32_e32 v12, 0xffff, v9
	v_mov_b32_e32 v8, 0x7f800001
	s_mov_b32 s16, exec_lo
	s_delay_alu instid0(VALU_DEP_2) | instskip(NEXT) | instid1(VALU_DEP_1)
	v_and_b32_e32 v9, 0x7f, v12
	v_cmpx_ne_u32_e32 0x7f, v9
	s_cbranch_execz .LBB409_1334
; %bb.1331:                             ;   in Loop: Header=BB409_763 Depth=1
	v_and_b32_e32 v12, 7, v12
	v_lshrrev_b32_e32 v8, 3, v9
	s_mov_b32 s17, exec_lo
	v_cmpx_gt_u32_e32 8, v9
; %bb.1332:                             ;   in Loop: Header=BB409_763 Depth=1
	s_delay_alu instid0(VALU_DEP_3) | instskip(NEXT) | instid1(VALU_DEP_1)
	v_clz_i32_u32_e32 v8, v12
	v_min_u32_e32 v8, 32, v8
	s_delay_alu instid0(VALU_DEP_1) | instskip(SKIP_1) | instid1(VALU_DEP_2)
	v_subrev_nc_u32_e32 v9, 28, v8
	v_sub_nc_u32_e32 v8, 29, v8
	v_lshlrev_b64 v[147:148], v9, v[12:13]
	s_delay_alu instid0(VALU_DEP_1)
	v_and_b32_e32 v12, 7, v147
; %bb.1333:                             ;   in Loop: Header=BB409_763 Depth=1
	s_or_b32 exec_lo, exec_lo, s17
	v_lshlrev_b32_e32 v9, 16, v6
	s_delay_alu instid0(VALU_DEP_2) | instskip(SKIP_1) | instid1(VALU_DEP_3)
	v_lshlrev_b32_e32 v12, 20, v12
	v_lshl_add_u32 v8, v8, 23, 0x3c000000
	v_and_b32_e32 v9, 0x80000000, v9
	s_delay_alu instid0(VALU_DEP_1)
	v_or3_b32 v8, v12, v9, v8
.LBB409_1334:                           ;   in Loop: Header=BB409_763 Depth=1
	s_or_b32 exec_lo, exec_lo, s16
.LBB409_1335:                           ;   in Loop: Header=BB409_763 Depth=1
	s_delay_alu instid0(SALU_CYCLE_1)
	s_or_b32 exec_lo, exec_lo, s15
.LBB409_1336:                           ;   in Loop: Header=BB409_763 Depth=1
	s_delay_alu instid0(SALU_CYCLE_1) | instskip(NEXT) | instid1(VALU_DEP_1)
	s_or_b32 exec_lo, exec_lo, s13
	v_mul_f32_e32 v8, v162, v8
                                        ; implicit-def: $vgpr147
	s_delay_alu instid0(VALU_DEP_1) | instskip(NEXT) | instid1(VALU_DEP_1)
	v_and_b32_e32 v9, 0x7f800000, v8
	v_cmp_ne_u32_e64 s1, 0x7f800000, v9
	s_delay_alu instid0(VALU_DEP_1) | instskip(NEXT) | instid1(SALU_CYCLE_1)
	s_and_saveexec_b32 s13, s1
	s_xor_b32 s1, exec_lo, s13
; %bb.1337:                             ;   in Loop: Header=BB409_763 Depth=1
	v_bfe_u32 v9, v8, 16, 1
	s_delay_alu instid0(VALU_DEP_1)
	v_add3_u32 v147, v8, v9, 0x7fff
                                        ; implicit-def: $vgpr8
; %bb.1338:                             ;   in Loop: Header=BB409_763 Depth=1
	s_and_not1_saveexec_b32 s13, s1
; %bb.1339:                             ;   in Loop: Header=BB409_763 Depth=1
	v_and_b32_e32 v9, 0xffff, v8
	v_or_b32_e32 v12, 0x10000, v8
	s_delay_alu instid0(VALU_DEP_2) | instskip(NEXT) | instid1(VALU_DEP_1)
	v_cmp_eq_u32_e64 s1, 0, v9
	v_cndmask_b32_e64 v147, v12, v8, s1
; %bb.1340:                             ;   in Loop: Header=BB409_763 Depth=1
	s_or_b32 exec_lo, exec_lo, s13
	v_lshrrev_b32_e32 v8, 16, v6
	s_mov_b32 s13, exec_lo
	s_delay_alu instid0(VALU_DEP_1) | instskip(NEXT) | instid1(VALU_DEP_1)
	v_dual_mov_b32 v9, 0 :: v_dual_and_b32 v12, 0xff, v8
	v_cmpx_ne_u16_e32 0, v12
	s_cbranch_execz .LBB409_1348
; %bb.1341:                             ;   in Loop: Header=BB409_763 Depth=1
	v_bfrev_b32_e32 v9, 1
	s_mov_b32 s15, exec_lo
	v_cmpx_ne_u16_e32 0x80, v12
	s_cbranch_execz .LBB409_1347
; %bb.1342:                             ;   in Loop: Header=BB409_763 Depth=1
	v_bfe_u32 v148, v6, 16, 7
	v_mov_b32_e32 v9, 0x7f800001
	s_mov_b32 s16, exec_lo
	s_delay_alu instid0(VALU_DEP_2)
	v_cmpx_ne_u32_e32 0x7f, v148
	s_cbranch_execz .LBB409_1346
; %bb.1343:                             ;   in Loop: Header=BB409_763 Depth=1
	v_and_b32_e32 v12, 7, v8
	v_lshrrev_b32_e32 v9, 3, v148
	s_mov_b32 s17, exec_lo
	v_cmpx_gt_u32_e32 8, v148
; %bb.1344:                             ;   in Loop: Header=BB409_763 Depth=1
	s_delay_alu instid0(VALU_DEP_3) | instskip(NEXT) | instid1(VALU_DEP_1)
	v_clz_i32_u32_e32 v9, v12
	v_min_u32_e32 v9, 32, v9
	s_delay_alu instid0(VALU_DEP_1) | instskip(SKIP_1) | instid1(VALU_DEP_2)
	v_subrev_nc_u32_e32 v148, 28, v9
	v_sub_nc_u32_e32 v9, 29, v9
	v_lshlrev_b64 v[148:149], v148, v[12:13]
	s_delay_alu instid0(VALU_DEP_1)
	v_and_b32_e32 v12, 7, v148
; %bb.1345:                             ;   in Loop: Header=BB409_763 Depth=1
	s_or_b32 exec_lo, exec_lo, s17
	v_lshlrev_b32_e32 v8, 24, v8
	s_delay_alu instid0(VALU_DEP_2) | instskip(SKIP_1) | instid1(VALU_DEP_3)
	v_lshlrev_b32_e32 v12, 20, v12
	v_lshl_add_u32 v9, v9, 23, 0x3c000000
	v_and_b32_e32 v8, 0x80000000, v8
	s_delay_alu instid0(VALU_DEP_1)
	v_or3_b32 v9, v12, v8, v9
.LBB409_1346:                           ;   in Loop: Header=BB409_763 Depth=1
	s_or_b32 exec_lo, exec_lo, s16
.LBB409_1347:                           ;   in Loop: Header=BB409_763 Depth=1
	s_delay_alu instid0(SALU_CYCLE_1)
	s_or_b32 exec_lo, exec_lo, s15
.LBB409_1348:                           ;   in Loop: Header=BB409_763 Depth=1
	s_delay_alu instid0(SALU_CYCLE_1) | instskip(NEXT) | instid1(VALU_DEP_1)
	s_or_b32 exec_lo, exec_lo, s13
	v_mul_f32_e32 v8, v162, v9
                                        ; implicit-def: $vgpr148
	s_delay_alu instid0(VALU_DEP_1) | instskip(NEXT) | instid1(VALU_DEP_1)
	v_and_b32_e32 v9, 0x7f800000, v8
	v_cmp_ne_u32_e64 s1, 0x7f800000, v9
	s_delay_alu instid0(VALU_DEP_1) | instskip(NEXT) | instid1(SALU_CYCLE_1)
	s_and_saveexec_b32 s13, s1
	s_xor_b32 s1, exec_lo, s13
; %bb.1349:                             ;   in Loop: Header=BB409_763 Depth=1
	v_bfe_u32 v9, v8, 16, 1
	s_delay_alu instid0(VALU_DEP_1)
	v_add3_u32 v148, v8, v9, 0x7fff
                                        ; implicit-def: $vgpr8
; %bb.1350:                             ;   in Loop: Header=BB409_763 Depth=1
	s_and_not1_saveexec_b32 s13, s1
; %bb.1351:                             ;   in Loop: Header=BB409_763 Depth=1
	v_and_b32_e32 v9, 0xffff, v8
	v_or_b32_e32 v12, 0x10000, v8
	s_delay_alu instid0(VALU_DEP_2) | instskip(NEXT) | instid1(VALU_DEP_1)
	v_cmp_eq_u32_e64 s1, 0, v9
	v_cndmask_b32_e64 v148, v12, v8, s1
; %bb.1352:                             ;   in Loop: Header=BB409_763 Depth=1
	s_or_b32 exec_lo, exec_lo, s13
	v_mov_b32_e32 v9, 0
	s_mov_b32 s13, exec_lo
	v_cmpx_lt_u32_e32 0xffffff, v6
	s_cbranch_execz .LBB409_1360
; %bb.1353:                             ;   in Loop: Header=BB409_763 Depth=1
	v_lshrrev_b32_e32 v8, 24, v6
	v_bfrev_b32_e32 v9, 1
	s_mov_b32 s15, exec_lo
	s_delay_alu instid0(VALU_DEP_2)
	v_cmpx_ne_u32_e32 0x80, v8
	s_cbranch_execz .LBB409_1359
; %bb.1354:                             ;   in Loop: Header=BB409_763 Depth=1
	v_bfe_u32 v149, v6, 24, 7
	v_mov_b32_e32 v9, 0x7f800001
	s_mov_b32 s16, exec_lo
	s_delay_alu instid0(VALU_DEP_2)
	v_cmpx_ne_u32_e32 0x7f, v149
	s_cbranch_execz .LBB409_1358
; %bb.1355:                             ;   in Loop: Header=BB409_763 Depth=1
	v_and_b32_e32 v12, 7, v8
	v_lshrrev_b32_e32 v9, 3, v149
	s_mov_b32 s17, exec_lo
	v_cmpx_gt_u32_e32 8, v149
; %bb.1356:                             ;   in Loop: Header=BB409_763 Depth=1
	s_delay_alu instid0(VALU_DEP_3) | instskip(NEXT) | instid1(VALU_DEP_1)
	v_clz_i32_u32_e32 v9, v12
	v_min_u32_e32 v9, 32, v9
	s_delay_alu instid0(VALU_DEP_1) | instskip(SKIP_1) | instid1(VALU_DEP_2)
	v_subrev_nc_u32_e32 v149, 28, v9
	v_sub_nc_u32_e32 v9, 29, v9
	v_lshlrev_b64 v[149:150], v149, v[12:13]
	s_delay_alu instid0(VALU_DEP_1)
	v_and_b32_e32 v12, 7, v149
; %bb.1357:                             ;   in Loop: Header=BB409_763 Depth=1
	s_or_b32 exec_lo, exec_lo, s17
	v_lshlrev_b32_e32 v8, 24, v8
	s_delay_alu instid0(VALU_DEP_2) | instskip(SKIP_1) | instid1(VALU_DEP_3)
	v_lshlrev_b32_e32 v12, 20, v12
	v_lshl_add_u32 v9, v9, 23, 0x3c000000
	v_and_b32_e32 v8, 0x80000000, v8
	s_delay_alu instid0(VALU_DEP_1)
	v_or3_b32 v9, v12, v8, v9
.LBB409_1358:                           ;   in Loop: Header=BB409_763 Depth=1
	s_or_b32 exec_lo, exec_lo, s16
.LBB409_1359:                           ;   in Loop: Header=BB409_763 Depth=1
	s_delay_alu instid0(SALU_CYCLE_1)
	s_or_b32 exec_lo, exec_lo, s15
.LBB409_1360:                           ;   in Loop: Header=BB409_763 Depth=1
	s_delay_alu instid0(SALU_CYCLE_1) | instskip(NEXT) | instid1(VALU_DEP_1)
	s_or_b32 exec_lo, exec_lo, s13
	v_mul_f32_e32 v8, v162, v9
                                        ; implicit-def: $vgpr149
	s_delay_alu instid0(VALU_DEP_1) | instskip(NEXT) | instid1(VALU_DEP_1)
	v_and_b32_e32 v9, 0x7f800000, v8
	v_cmp_ne_u32_e64 s1, 0x7f800000, v9
	s_delay_alu instid0(VALU_DEP_1) | instskip(NEXT) | instid1(SALU_CYCLE_1)
	s_and_saveexec_b32 s13, s1
	s_xor_b32 s1, exec_lo, s13
; %bb.1361:                             ;   in Loop: Header=BB409_763 Depth=1
	v_bfe_u32 v9, v8, 16, 1
	s_delay_alu instid0(VALU_DEP_1)
	v_add3_u32 v149, v8, v9, 0x7fff
                                        ; implicit-def: $vgpr8
; %bb.1362:                             ;   in Loop: Header=BB409_763 Depth=1
	s_and_not1_saveexec_b32 s13, s1
; %bb.1363:                             ;   in Loop: Header=BB409_763 Depth=1
	v_and_b32_e32 v9, 0xffff, v8
	v_or_b32_e32 v12, 0x10000, v8
	s_delay_alu instid0(VALU_DEP_2) | instskip(NEXT) | instid1(VALU_DEP_1)
	v_cmp_eq_u32_e64 s1, 0, v9
	v_cndmask_b32_e64 v149, v12, v8, s1
; %bb.1364:                             ;   in Loop: Header=BB409_763 Depth=1
	s_or_b32 exec_lo, exec_lo, s13
	v_dual_mov_b32 v12, v7 :: v_dual_and_b32 v9, 0xff, v7
	v_mov_b32_e32 v8, 0
	s_mov_b32 s13, exec_lo
	s_delay_alu instid0(VALU_DEP_2)
	v_cmpx_ne_u16_e32 0, v9
	s_cbranch_execz .LBB409_1372
; %bb.1365:                             ;   in Loop: Header=BB409_763 Depth=1
	v_bfrev_b32_e32 v8, 1
	s_mov_b32 s15, exec_lo
	v_cmpx_ne_u16_e32 0x80, v9
	s_cbranch_execz .LBB409_1371
; %bb.1366:                             ;   in Loop: Header=BB409_763 Depth=1
	v_and_b32_e32 v9, 0x7f, v7
	v_mov_b32_e32 v8, 0x7f800001
	s_mov_b32 s16, exec_lo
	s_delay_alu instid0(VALU_DEP_2)
	v_cmpx_ne_u32_e32 0x7f, v9
	s_cbranch_execz .LBB409_1370
; %bb.1367:                             ;   in Loop: Header=BB409_763 Depth=1
	v_lshrrev_b32_e32 v150, 3, v9
	v_cmp_gt_u32_e64 s1, 8, v9
	v_dual_mov_b32 v8, v12 :: v_dual_mov_b32 v9, v13
	s_delay_alu instid0(VALU_DEP_2)
	s_and_saveexec_b32 s17, s1
; %bb.1368:                             ;   in Loop: Header=BB409_763 Depth=1
	v_and_b32_e32 v8, 7, v7
	s_delay_alu instid0(VALU_DEP_1) | instskip(NEXT) | instid1(VALU_DEP_1)
	v_clz_i32_u32_e32 v8, v8
	v_min_u32_e32 v150, 32, v8
	s_delay_alu instid0(VALU_DEP_1) | instskip(SKIP_1) | instid1(VALU_DEP_2)
	v_subrev_nc_u32_e32 v8, 28, v150
	v_sub_nc_u32_e32 v150, 29, v150
	v_lshlrev_b64 v[8:9], v8, v[12:13]
; %bb.1369:                             ;   in Loop: Header=BB409_763 Depth=1
	s_or_b32 exec_lo, exec_lo, s17
	s_delay_alu instid0(VALU_DEP_1) | instskip(SKIP_2) | instid1(VALU_DEP_3)
	v_lshlrev_b32_e32 v8, 20, v8
	v_lshlrev_b32_e32 v9, 24, v12
	v_lshl_add_u32 v150, v150, 23, 0x3c000000
	v_and_b32_e32 v8, 0x700000, v8
	s_delay_alu instid0(VALU_DEP_3) | instskip(NEXT) | instid1(VALU_DEP_1)
	v_and_b32_e32 v9, 0x80000000, v9
	v_or3_b32 v8, v8, v9, v150
.LBB409_1370:                           ;   in Loop: Header=BB409_763 Depth=1
	s_or_b32 exec_lo, exec_lo, s16
.LBB409_1371:                           ;   in Loop: Header=BB409_763 Depth=1
	s_delay_alu instid0(SALU_CYCLE_1)
	s_or_b32 exec_lo, exec_lo, s15
.LBB409_1372:                           ;   in Loop: Header=BB409_763 Depth=1
	s_delay_alu instid0(SALU_CYCLE_1) | instskip(NEXT) | instid1(VALU_DEP_1)
	s_or_b32 exec_lo, exec_lo, s13
	v_mul_f32_e32 v8, v162, v8
                                        ; implicit-def: $vgpr150
	s_delay_alu instid0(VALU_DEP_1) | instskip(NEXT) | instid1(VALU_DEP_1)
	v_and_b32_e32 v9, 0x7f800000, v8
	v_cmp_ne_u32_e64 s1, 0x7f800000, v9
	s_delay_alu instid0(VALU_DEP_1) | instskip(NEXT) | instid1(SALU_CYCLE_1)
	s_and_saveexec_b32 s13, s1
	s_xor_b32 s1, exec_lo, s13
; %bb.1373:                             ;   in Loop: Header=BB409_763 Depth=1
	v_bfe_u32 v9, v8, 16, 1
	s_delay_alu instid0(VALU_DEP_1)
	v_add3_u32 v150, v8, v9, 0x7fff
                                        ; implicit-def: $vgpr8
; %bb.1374:                             ;   in Loop: Header=BB409_763 Depth=1
	s_and_not1_saveexec_b32 s13, s1
; %bb.1375:                             ;   in Loop: Header=BB409_763 Depth=1
	v_and_b32_e32 v9, 0xffff, v8
	v_or_b32_e32 v150, 0x10000, v8
	s_delay_alu instid0(VALU_DEP_2) | instskip(NEXT) | instid1(VALU_DEP_1)
	v_cmp_eq_u32_e64 s1, 0, v9
	v_cndmask_b32_e64 v150, v150, v8, s1
; %bb.1376:                             ;   in Loop: Header=BB409_763 Depth=1
	s_or_b32 exec_lo, exec_lo, s13
	v_lshrrev_b16 v9, 8, v12
	v_mov_b32_e32 v8, 0
	s_mov_b32 s13, exec_lo
	s_delay_alu instid0(VALU_DEP_2)
	v_cmpx_ne_u16_e32 0, v9
	s_cbranch_execz .LBB409_1384
; %bb.1377:                             ;   in Loop: Header=BB409_763 Depth=1
	v_bfrev_b32_e32 v8, 1
	s_mov_b32 s15, exec_lo
	v_cmpx_ne_u16_e32 0x80, v9
	s_cbranch_execz .LBB409_1383
; %bb.1378:                             ;   in Loop: Header=BB409_763 Depth=1
	v_and_b32_e32 v9, 0xffff, v9
	v_mov_b32_e32 v8, 0x7f800001
	s_mov_b32 s16, exec_lo
	s_delay_alu instid0(VALU_DEP_2) | instskip(NEXT) | instid1(VALU_DEP_1)
	v_and_b32_e32 v160, 0x7f, v9
	v_cmpx_ne_u32_e32 0x7f, v160
	s_cbranch_execz .LBB409_1382
; %bb.1379:                             ;   in Loop: Header=BB409_763 Depth=1
	v_dual_mov_b32 v9, v13 :: v_dual_and_b32 v8, 7, v9
	v_lshrrev_b32_e32 v151, 3, v160
	s_mov_b32 s17, exec_lo
	v_cmpx_gt_u32_e32 8, v160
; %bb.1380:                             ;   in Loop: Header=BB409_763 Depth=1
	s_delay_alu instid0(VALU_DEP_3) | instskip(NEXT) | instid1(VALU_DEP_1)
	v_clz_i32_u32_e32 v151, v8
	v_min_u32_e32 v151, 32, v151
	s_delay_alu instid0(VALU_DEP_1) | instskip(SKIP_1) | instid1(VALU_DEP_2)
	v_subrev_nc_u32_e32 v160, 28, v151
	v_sub_nc_u32_e32 v151, 29, v151
	v_lshlrev_b64 v[8:9], v160, v[8:9]
	s_delay_alu instid0(VALU_DEP_1)
	v_and_b32_e32 v8, 7, v8
; %bb.1381:                             ;   in Loop: Header=BB409_763 Depth=1
	s_or_b32 exec_lo, exec_lo, s17
	v_lshlrev_b32_e32 v9, 16, v12
	s_delay_alu instid0(VALU_DEP_2) | instskip(SKIP_1) | instid1(VALU_DEP_3)
	v_lshlrev_b32_e32 v8, 20, v8
	v_lshl_add_u32 v12, v151, 23, 0x3c000000
	v_and_b32_e32 v9, 0x80000000, v9
	s_delay_alu instid0(VALU_DEP_1)
	v_or3_b32 v8, v8, v9, v12
.LBB409_1382:                           ;   in Loop: Header=BB409_763 Depth=1
	s_or_b32 exec_lo, exec_lo, s16
.LBB409_1383:                           ;   in Loop: Header=BB409_763 Depth=1
	s_delay_alu instid0(SALU_CYCLE_1)
	s_or_b32 exec_lo, exec_lo, s15
.LBB409_1384:                           ;   in Loop: Header=BB409_763 Depth=1
	s_delay_alu instid0(SALU_CYCLE_1) | instskip(NEXT) | instid1(VALU_DEP_1)
	s_or_b32 exec_lo, exec_lo, s13
	v_mul_f32_e32 v9, v162, v8
	s_delay_alu instid0(VALU_DEP_1) | instskip(NEXT) | instid1(VALU_DEP_1)
	v_and_b32_e32 v8, 0x7f800000, v9
	v_cmp_ne_u32_e64 s1, 0x7f800000, v8
                                        ; implicit-def: $vgpr8
	s_delay_alu instid0(VALU_DEP_1) | instskip(NEXT) | instid1(SALU_CYCLE_1)
	s_and_saveexec_b32 s13, s1
	s_xor_b32 s1, exec_lo, s13
; %bb.1385:                             ;   in Loop: Header=BB409_763 Depth=1
	v_bfe_u32 v8, v9, 16, 1
	s_delay_alu instid0(VALU_DEP_1)
	v_add3_u32 v8, v9, v8, 0x7fff
                                        ; implicit-def: $vgpr9
; %bb.1386:                             ;   in Loop: Header=BB409_763 Depth=1
	s_and_not1_saveexec_b32 s13, s1
; %bb.1387:                             ;   in Loop: Header=BB409_763 Depth=1
	v_and_b32_e32 v8, 0xffff, v9
	v_or_b32_e32 v12, 0x10000, v9
	s_delay_alu instid0(VALU_DEP_2) | instskip(NEXT) | instid1(VALU_DEP_1)
	v_cmp_eq_u32_e64 s1, 0, v8
	v_cndmask_b32_e64 v8, v12, v9, s1
; %bb.1388:                             ;   in Loop: Header=BB409_763 Depth=1
	s_or_b32 exec_lo, exec_lo, s13
	v_lshrrev_b32_e32 v9, 16, v7
	s_mov_b32 s13, exec_lo
	s_delay_alu instid0(VALU_DEP_1) | instskip(NEXT) | instid1(VALU_DEP_1)
	v_dual_mov_b32 v12, 0 :: v_dual_and_b32 v151, 0xff, v9
	v_cmpx_ne_u16_e64 0, v151
	s_cbranch_execz .LBB409_1396
; %bb.1389:                             ;   in Loop: Header=BB409_763 Depth=1
	v_bfrev_b32_e32 v12, 1
	s_mov_b32 s15, exec_lo
	v_cmpx_ne_u16_e64 0x80, v151
	s_cbranch_execz .LBB409_1395
; %bb.1390:                             ;   in Loop: Header=BB409_763 Depth=1
	v_bfe_u32 v160, v7, 16, 7
	v_mov_b32_e32 v12, 0x7f800001
	s_mov_b32 s16, exec_lo
	s_delay_alu instid0(VALU_DEP_2)
	v_cmpx_ne_u32_e32 0x7f, v160
	s_cbranch_execz .LBB409_1394
; %bb.1391:                             ;   in Loop: Header=BB409_763 Depth=1
	v_and_b32_e32 v12, 7, v9
	v_lshrrev_b32_e32 v151, 3, v160
	s_mov_b32 s17, exec_lo
	v_cmpx_gt_u32_e32 8, v160
; %bb.1392:                             ;   in Loop: Header=BB409_763 Depth=1
	s_delay_alu instid0(VALU_DEP_3) | instskip(NEXT) | instid1(VALU_DEP_1)
	v_clz_i32_u32_e32 v151, v12
	v_min_u32_e32 v151, 32, v151
	s_delay_alu instid0(VALU_DEP_1) | instskip(SKIP_1) | instid1(VALU_DEP_2)
	v_subrev_nc_u32_e32 v160, 28, v151
	v_sub_nc_u32_e32 v151, 29, v151
	v_lshlrev_b64 v[160:161], v160, v[12:13]
	s_delay_alu instid0(VALU_DEP_1)
	v_and_b32_e32 v12, 7, v160
; %bb.1393:                             ;   in Loop: Header=BB409_763 Depth=1
	s_or_b32 exec_lo, exec_lo, s17
	v_lshlrev_b32_e32 v9, 24, v9
	s_delay_alu instid0(VALU_DEP_2) | instskip(SKIP_1) | instid1(VALU_DEP_3)
	v_lshlrev_b32_e32 v12, 20, v12
	v_lshl_add_u32 v151, v151, 23, 0x3c000000
	v_and_b32_e32 v9, 0x80000000, v9
	s_delay_alu instid0(VALU_DEP_1)
	v_or3_b32 v12, v12, v9, v151
.LBB409_1394:                           ;   in Loop: Header=BB409_763 Depth=1
	s_or_b32 exec_lo, exec_lo, s16
.LBB409_1395:                           ;   in Loop: Header=BB409_763 Depth=1
	s_delay_alu instid0(SALU_CYCLE_1)
	s_or_b32 exec_lo, exec_lo, s15
.LBB409_1396:                           ;   in Loop: Header=BB409_763 Depth=1
	s_delay_alu instid0(SALU_CYCLE_1) | instskip(NEXT) | instid1(VALU_DEP_1)
	s_or_b32 exec_lo, exec_lo, s13
	v_mul_f32_e32 v9, v162, v12
                                        ; implicit-def: $vgpr151
	s_delay_alu instid0(VALU_DEP_1) | instskip(NEXT) | instid1(VALU_DEP_1)
	v_and_b32_e32 v12, 0x7f800000, v9
	v_cmp_ne_u32_e64 s1, 0x7f800000, v12
	s_delay_alu instid0(VALU_DEP_1) | instskip(NEXT) | instid1(SALU_CYCLE_1)
	s_and_saveexec_b32 s13, s1
	s_xor_b32 s1, exec_lo, s13
; %bb.1397:                             ;   in Loop: Header=BB409_763 Depth=1
	v_bfe_u32 v12, v9, 16, 1
	s_delay_alu instid0(VALU_DEP_1)
	v_add3_u32 v151, v9, v12, 0x7fff
                                        ; implicit-def: $vgpr9
; %bb.1398:                             ;   in Loop: Header=BB409_763 Depth=1
	s_and_not1_saveexec_b32 s13, s1
; %bb.1399:                             ;   in Loop: Header=BB409_763 Depth=1
	v_and_b32_e32 v12, 0xffff, v9
	v_or_b32_e32 v151, 0x10000, v9
	s_delay_alu instid0(VALU_DEP_2) | instskip(NEXT) | instid1(VALU_DEP_1)
	v_cmp_eq_u32_e64 s1, 0, v12
	v_cndmask_b32_e64 v151, v151, v9, s1
; %bb.1400:                             ;   in Loop: Header=BB409_763 Depth=1
	s_or_b32 exec_lo, exec_lo, s13
	v_mov_b32_e32 v9, 0
	s_mov_b32 s13, exec_lo
	v_cmpx_lt_u64_e64 s[8:9], v[6:7]
	s_cbranch_execz .LBB409_1408
; %bb.1401:                             ;   in Loop: Header=BB409_763 Depth=1
	v_lshrrev_b32_e32 v6, 24, v7
	v_bfrev_b32_e32 v9, 1
	s_mov_b32 s15, exec_lo
	s_delay_alu instid0(VALU_DEP_2)
	v_cmpx_ne_u32_e32 0x80, v6
	s_cbranch_execz .LBB409_1407
; %bb.1402:                             ;   in Loop: Header=BB409_763 Depth=1
	v_bfe_u32 v160, v7, 24, 7
	v_mov_b32_e32 v9, 0x7f800001
	s_mov_b32 s16, exec_lo
	s_delay_alu instid0(VALU_DEP_2)
	v_cmpx_ne_u32_e32 0x7f, v160
	s_cbranch_execz .LBB409_1406
; %bb.1403:                             ;   in Loop: Header=BB409_763 Depth=1
	v_and_b32_e32 v12, 7, v6
	v_lshrrev_b32_e32 v7, 3, v160
	s_mov_b32 s17, exec_lo
	v_cmpx_gt_u32_e32 8, v160
; %bb.1404:                             ;   in Loop: Header=BB409_763 Depth=1
	s_delay_alu instid0(VALU_DEP_3) | instskip(NEXT) | instid1(VALU_DEP_1)
	v_clz_i32_u32_e32 v7, v12
	v_min_u32_e32 v7, 32, v7
	s_delay_alu instid0(VALU_DEP_1) | instskip(SKIP_1) | instid1(VALU_DEP_2)
	v_subrev_nc_u32_e32 v9, 28, v7
	v_sub_nc_u32_e32 v7, 29, v7
	v_lshlrev_b64 v[160:161], v9, v[12:13]
	s_delay_alu instid0(VALU_DEP_1)
	v_and_b32_e32 v12, 7, v160
; %bb.1405:                             ;   in Loop: Header=BB409_763 Depth=1
	s_or_b32 exec_lo, exec_lo, s17
	v_lshlrev_b32_e32 v6, 24, v6
	s_delay_alu instid0(VALU_DEP_2) | instskip(SKIP_1) | instid1(VALU_DEP_3)
	v_lshlrev_b32_e32 v9, 20, v12
	v_lshl_add_u32 v7, v7, 23, 0x3c000000
	v_and_b32_e32 v6, 0x80000000, v6
	s_delay_alu instid0(VALU_DEP_1)
	v_or3_b32 v9, v9, v6, v7
.LBB409_1406:                           ;   in Loop: Header=BB409_763 Depth=1
	s_or_b32 exec_lo, exec_lo, s16
.LBB409_1407:                           ;   in Loop: Header=BB409_763 Depth=1
	s_delay_alu instid0(SALU_CYCLE_1)
	s_or_b32 exec_lo, exec_lo, s15
.LBB409_1408:                           ;   in Loop: Header=BB409_763 Depth=1
	s_delay_alu instid0(SALU_CYCLE_1) | instskip(NEXT) | instid1(VALU_DEP_1)
	s_or_b32 exec_lo, exec_lo, s13
	v_mul_f32_e32 v7, v162, v9
	s_delay_alu instid0(VALU_DEP_1) | instskip(NEXT) | instid1(VALU_DEP_1)
	v_and_b32_e32 v6, 0x7f800000, v7
	v_cmp_ne_u32_e64 s1, 0x7f800000, v6
                                        ; implicit-def: $vgpr6
	s_delay_alu instid0(VALU_DEP_1) | instskip(NEXT) | instid1(SALU_CYCLE_1)
	s_and_saveexec_b32 s13, s1
	s_xor_b32 s1, exec_lo, s13
; %bb.1409:                             ;   in Loop: Header=BB409_763 Depth=1
	v_bfe_u32 v6, v7, 16, 1
	s_delay_alu instid0(VALU_DEP_1)
	v_add3_u32 v6, v7, v6, 0x7fff
                                        ; implicit-def: $vgpr7
; %bb.1410:                             ;   in Loop: Header=BB409_763 Depth=1
	s_and_not1_saveexec_b32 s13, s1
; %bb.1411:                             ;   in Loop: Header=BB409_763 Depth=1
	v_and_b32_e32 v6, 0xffff, v7
	v_or_b32_e32 v9, 0x10000, v7
	s_delay_alu instid0(VALU_DEP_2) | instskip(NEXT) | instid1(VALU_DEP_1)
	v_cmp_eq_u32_e64 s1, 0, v6
	v_cndmask_b32_e64 v6, v9, v7, s1
; %bb.1412:                             ;   in Loop: Header=BB409_763 Depth=1
	s_or_b32 exec_lo, exec_lo, s13
	v_lshrrev_b32_e32 v8, 16, v8
	v_lshrrev_b32_e32 v9, 16, v150
	;; [unrolled: 1-line block ×8, first 2 shown]
	s_and_saveexec_b32 s13, s0
	s_cbranch_execz .LBB409_1414
; %bb.1413:                             ;   in Loop: Header=BB409_763 Depth=1
	v_add_nc_u32_e32 v149, 1, v55
	v_cmp_lt_i32_e64 s1, v55, v83
	v_add_nc_u32_e32 v150, 2, v55
	v_add_nc_u32_e32 v151, 3, v55
	s_delay_alu instid0(VALU_DEP_3) | instskip(SKIP_2) | instid1(VALU_DEP_2)
	v_cndmask_b32_e64 v146, 0, v146, s1
	v_cmp_lt_i32_e64 s1, v149, v83
	v_add_nc_u32_e32 v149, 4, v55
	v_cndmask_b32_e64 v147, 0, v147, s1
	v_cmp_lt_i32_e64 s1, v150, v83
	v_add_nc_u32_e32 v150, 5, v55
	s_delay_alu instid0(VALU_DEP_2) | instskip(SKIP_2) | instid1(VALU_DEP_2)
	v_cndmask_b32_e64 v148, 0, v148, s1
	v_cmp_lt_i32_e64 s1, v151, v83
	v_add_nc_u32_e32 v151, 6, v55
	v_cndmask_b32_e64 v12, 0, v12, s1
	v_cmp_lt_i32_e64 s1, v149, v83
	v_add_nc_u32_e32 v149, 7, v55
	s_delay_alu instid0(VALU_DEP_2) | instskip(SKIP_1) | instid1(VALU_DEP_1)
	v_cndmask_b32_e64 v9, 0, v9, s1
	v_cmp_lt_i32_e64 s1, v150, v83
	v_cndmask_b32_e64 v8, 0, v8, s1
	v_cmp_lt_i32_e64 s1, v151, v83
	s_delay_alu instid0(VALU_DEP_1) | instskip(SKIP_1) | instid1(VALU_DEP_1)
	v_cndmask_b32_e64 v7, 0, v7, s1
	v_cmp_lt_i32_e64 s1, v149, v83
	v_cndmask_b32_e64 v6, 0, v6, s1
.LBB409_1414:                           ;   in Loop: Header=BB409_763 Depth=1
	s_or_b32 exec_lo, exec_lo, s13
	v_lshlrev_b32_e32 v146, 16, v146
	s_delay_alu instid0(VALU_DEP_1) | instskip(NEXT) | instid1(VALU_DEP_1)
	v_mul_f32_e32 v149, v66, v146
	v_and_b32_e32 v146, 0x7f800000, v149
	s_delay_alu instid0(VALU_DEP_1) | instskip(NEXT) | instid1(VALU_DEP_1)
	v_cmp_ne_u32_e64 s1, 0x7f800000, v146
                                        ; implicit-def: $vgpr146
	s_and_saveexec_b32 s13, s1
	s_delay_alu instid0(SALU_CYCLE_1)
	s_xor_b32 s1, exec_lo, s13
; %bb.1415:                             ;   in Loop: Header=BB409_763 Depth=1
	v_bfe_u32 v146, v149, 16, 1
	s_delay_alu instid0(VALU_DEP_1)
	v_add3_u32 v146, v149, v146, 0x7fff
                                        ; implicit-def: $vgpr149
; %bb.1416:                             ;   in Loop: Header=BB409_763 Depth=1
	s_and_not1_saveexec_b32 s13, s1
; %bb.1417:                             ;   in Loop: Header=BB409_763 Depth=1
	v_and_b32_e32 v146, 0xffff, v149
	v_or_b32_e32 v150, 0x10000, v149
	s_delay_alu instid0(VALU_DEP_2) | instskip(NEXT) | instid1(VALU_DEP_1)
	v_cmp_eq_u32_e64 s1, 0, v146
	v_cndmask_b32_e64 v146, v150, v149, s1
; %bb.1418:                             ;   in Loop: Header=BB409_763 Depth=1
	s_or_b32 exec_lo, exec_lo, s13
	v_lshlrev_b32_e32 v147, 16, v147
	s_delay_alu instid0(VALU_DEP_1) | instskip(NEXT) | instid1(VALU_DEP_1)
	v_mul_f32_e32 v149, v67, v147
	v_and_b32_e32 v147, 0x7f800000, v149
	s_delay_alu instid0(VALU_DEP_1) | instskip(NEXT) | instid1(VALU_DEP_1)
	v_cmp_ne_u32_e64 s1, 0x7f800000, v147
                                        ; implicit-def: $vgpr147
	s_and_saveexec_b32 s13, s1
	s_delay_alu instid0(SALU_CYCLE_1)
	s_xor_b32 s1, exec_lo, s13
; %bb.1419:                             ;   in Loop: Header=BB409_763 Depth=1
	v_bfe_u32 v147, v149, 16, 1
	s_delay_alu instid0(VALU_DEP_1)
	v_add3_u32 v147, v149, v147, 0x7fff
                                        ; implicit-def: $vgpr149
; %bb.1420:                             ;   in Loop: Header=BB409_763 Depth=1
	s_and_not1_saveexec_b32 s13, s1
; %bb.1421:                             ;   in Loop: Header=BB409_763 Depth=1
	v_and_b32_e32 v147, 0xffff, v149
	v_or_b32_e32 v150, 0x10000, v149
	s_delay_alu instid0(VALU_DEP_2) | instskip(NEXT) | instid1(VALU_DEP_1)
	v_cmp_eq_u32_e64 s1, 0, v147
	v_cndmask_b32_e64 v147, v150, v149, s1
; %bb.1422:                             ;   in Loop: Header=BB409_763 Depth=1
	s_or_b32 exec_lo, exec_lo, s13
	v_lshlrev_b32_e32 v148, 16, v148
	s_delay_alu instid0(VALU_DEP_1) | instskip(NEXT) | instid1(VALU_DEP_1)
	v_mul_f32_e32 v149, v68, v148
	v_and_b32_e32 v148, 0x7f800000, v149
	s_delay_alu instid0(VALU_DEP_1) | instskip(NEXT) | instid1(VALU_DEP_1)
	v_cmp_ne_u32_e64 s1, 0x7f800000, v148
                                        ; implicit-def: $vgpr148
	s_and_saveexec_b32 s13, s1
	s_delay_alu instid0(SALU_CYCLE_1)
	s_xor_b32 s1, exec_lo, s13
; %bb.1423:                             ;   in Loop: Header=BB409_763 Depth=1
	v_bfe_u32 v148, v149, 16, 1
	s_delay_alu instid0(VALU_DEP_1)
	v_add3_u32 v148, v149, v148, 0x7fff
                                        ; implicit-def: $vgpr149
; %bb.1424:                             ;   in Loop: Header=BB409_763 Depth=1
	s_and_not1_saveexec_b32 s13, s1
; %bb.1425:                             ;   in Loop: Header=BB409_763 Depth=1
	v_and_b32_e32 v148, 0xffff, v149
	v_or_b32_e32 v150, 0x10000, v149
	s_delay_alu instid0(VALU_DEP_2) | instskip(NEXT) | instid1(VALU_DEP_1)
	v_cmp_eq_u32_e64 s1, 0, v148
	v_cndmask_b32_e64 v148, v150, v149, s1
; %bb.1426:                             ;   in Loop: Header=BB409_763 Depth=1
	s_or_b32 exec_lo, exec_lo, s13
	v_lshlrev_b32_e32 v12, 16, v12
	s_delay_alu instid0(VALU_DEP_1) | instskip(NEXT) | instid1(VALU_DEP_1)
	v_mul_f32_e32 v12, v69, v12
	v_and_b32_e32 v149, 0x7f800000, v12
	s_delay_alu instid0(VALU_DEP_1) | instskip(NEXT) | instid1(VALU_DEP_1)
	v_cmp_ne_u32_e64 s1, 0x7f800000, v149
                                        ; implicit-def: $vgpr149
	s_and_saveexec_b32 s13, s1
	s_delay_alu instid0(SALU_CYCLE_1)
	s_xor_b32 s1, exec_lo, s13
; %bb.1427:                             ;   in Loop: Header=BB409_763 Depth=1
	v_bfe_u32 v149, v12, 16, 1
	s_delay_alu instid0(VALU_DEP_1)
	v_add3_u32 v149, v12, v149, 0x7fff
                                        ; implicit-def: $vgpr12
; %bb.1428:                             ;   in Loop: Header=BB409_763 Depth=1
	s_and_not1_saveexec_b32 s13, s1
; %bb.1429:                             ;   in Loop: Header=BB409_763 Depth=1
	v_and_b32_e32 v149, 0xffff, v12
	v_or_b32_e32 v150, 0x10000, v12
	s_delay_alu instid0(VALU_DEP_2) | instskip(NEXT) | instid1(VALU_DEP_1)
	v_cmp_eq_u32_e64 s1, 0, v149
	v_cndmask_b32_e64 v149, v150, v12, s1
; %bb.1430:                             ;   in Loop: Header=BB409_763 Depth=1
	s_or_b32 exec_lo, exec_lo, s13
	v_lshlrev_b32_e32 v9, 16, v9
                                        ; implicit-def: $vgpr150
	s_delay_alu instid0(VALU_DEP_1) | instskip(NEXT) | instid1(VALU_DEP_1)
	v_mul_f32_e32 v9, v70, v9
	v_and_b32_e32 v12, 0x7f800000, v9
	s_delay_alu instid0(VALU_DEP_1) | instskip(NEXT) | instid1(VALU_DEP_1)
	v_cmp_ne_u32_e64 s1, 0x7f800000, v12
	s_and_saveexec_b32 s13, s1
	s_delay_alu instid0(SALU_CYCLE_1)
	s_xor_b32 s1, exec_lo, s13
; %bb.1431:                             ;   in Loop: Header=BB409_763 Depth=1
	v_bfe_u32 v12, v9, 16, 1
	s_delay_alu instid0(VALU_DEP_1)
	v_add3_u32 v150, v9, v12, 0x7fff
                                        ; implicit-def: $vgpr9
; %bb.1432:                             ;   in Loop: Header=BB409_763 Depth=1
	s_and_not1_saveexec_b32 s13, s1
; %bb.1433:                             ;   in Loop: Header=BB409_763 Depth=1
	v_and_b32_e32 v12, 0xffff, v9
	v_or_b32_e32 v150, 0x10000, v9
	s_delay_alu instid0(VALU_DEP_2) | instskip(NEXT) | instid1(VALU_DEP_1)
	v_cmp_eq_u32_e64 s1, 0, v12
	v_cndmask_b32_e64 v150, v150, v9, s1
; %bb.1434:                             ;   in Loop: Header=BB409_763 Depth=1
	s_or_b32 exec_lo, exec_lo, s13
	v_lshlrev_b32_e32 v8, 16, v8
                                        ; implicit-def: $vgpr151
	s_delay_alu instid0(VALU_DEP_1) | instskip(NEXT) | instid1(VALU_DEP_1)
	v_mul_f32_e32 v8, v71, v8
	v_and_b32_e32 v9, 0x7f800000, v8
	s_delay_alu instid0(VALU_DEP_1) | instskip(NEXT) | instid1(VALU_DEP_1)
	v_cmp_ne_u32_e64 s1, 0x7f800000, v9
	s_and_saveexec_b32 s13, s1
	s_delay_alu instid0(SALU_CYCLE_1)
	s_xor_b32 s1, exec_lo, s13
; %bb.1435:                             ;   in Loop: Header=BB409_763 Depth=1
	v_bfe_u32 v9, v8, 16, 1
	s_delay_alu instid0(VALU_DEP_1)
	v_add3_u32 v151, v8, v9, 0x7fff
                                        ; implicit-def: $vgpr8
; %bb.1436:                             ;   in Loop: Header=BB409_763 Depth=1
	s_and_not1_saveexec_b32 s13, s1
; %bb.1437:                             ;   in Loop: Header=BB409_763 Depth=1
	v_and_b32_e32 v9, 0xffff, v8
	v_or_b32_e32 v12, 0x10000, v8
	s_delay_alu instid0(VALU_DEP_2) | instskip(NEXT) | instid1(VALU_DEP_1)
	v_cmp_eq_u32_e64 s1, 0, v9
	v_cndmask_b32_e64 v151, v12, v8, s1
; %bb.1438:                             ;   in Loop: Header=BB409_763 Depth=1
	s_or_b32 exec_lo, exec_lo, s13
	v_lshlrev_b32_e32 v7, 16, v7
                                        ; implicit-def: $vgpr160
	s_delay_alu instid0(VALU_DEP_1) | instskip(NEXT) | instid1(VALU_DEP_1)
	v_mul_f32_e32 v7, v80, v7
	v_and_b32_e32 v8, 0x7f800000, v7
	s_delay_alu instid0(VALU_DEP_1) | instskip(NEXT) | instid1(VALU_DEP_1)
	v_cmp_ne_u32_e64 s1, 0x7f800000, v8
	s_and_saveexec_b32 s13, s1
	s_delay_alu instid0(SALU_CYCLE_1)
	s_xor_b32 s1, exec_lo, s13
; %bb.1439:                             ;   in Loop: Header=BB409_763 Depth=1
	v_bfe_u32 v8, v7, 16, 1
	s_delay_alu instid0(VALU_DEP_1)
	v_add3_u32 v160, v7, v8, 0x7fff
                                        ; implicit-def: $vgpr7
; %bb.1440:                             ;   in Loop: Header=BB409_763 Depth=1
	s_and_not1_saveexec_b32 s13, s1
; %bb.1441:                             ;   in Loop: Header=BB409_763 Depth=1
	v_and_b32_e32 v8, 0xffff, v7
	v_or_b32_e32 v9, 0x10000, v7
	s_delay_alu instid0(VALU_DEP_2) | instskip(NEXT) | instid1(VALU_DEP_1)
	v_cmp_eq_u32_e64 s1, 0, v8
	v_cndmask_b32_e64 v160, v9, v7, s1
; %bb.1442:                             ;   in Loop: Header=BB409_763 Depth=1
	s_or_b32 exec_lo, exec_lo, s13
	v_lshlrev_b32_e32 v6, 16, v6
                                        ; implicit-def: $vgpr161
	s_delay_alu instid0(VALU_DEP_1) | instskip(NEXT) | instid1(VALU_DEP_1)
	v_mul_f32_e32 v6, v81, v6
	v_and_b32_e32 v7, 0x7f800000, v6
	s_delay_alu instid0(VALU_DEP_1) | instskip(NEXT) | instid1(VALU_DEP_1)
	v_cmp_ne_u32_e64 s1, 0x7f800000, v7
	s_and_saveexec_b32 s13, s1
	s_delay_alu instid0(SALU_CYCLE_1)
	s_xor_b32 s1, exec_lo, s13
; %bb.1443:                             ;   in Loop: Header=BB409_763 Depth=1
	v_bfe_u32 v7, v6, 16, 1
	s_delay_alu instid0(VALU_DEP_1)
	v_add3_u32 v161, v6, v7, 0x7fff
                                        ; implicit-def: $vgpr6
; %bb.1444:                             ;   in Loop: Header=BB409_763 Depth=1
	s_and_not1_saveexec_b32 s13, s1
; %bb.1445:                             ;   in Loop: Header=BB409_763 Depth=1
	v_and_b32_e32 v7, 0xffff, v6
	v_or_b32_e32 v8, 0x10000, v6
	s_delay_alu instid0(VALU_DEP_2) | instskip(NEXT) | instid1(VALU_DEP_1)
	v_cmp_eq_u32_e64 s1, 0, v7
	v_cndmask_b32_e64 v161, v8, v6, s1
; %bb.1446:                             ;   in Loop: Header=BB409_763 Depth=1
	s_or_b32 exec_lo, exec_lo, s13
	flat_load_b64 v[6:7], v[2:3] offset:1280
	s_mov_b32 s13, exec_lo
	s_waitcnt vmcnt(0) lgkmcnt(0)
	v_dual_mov_b32 v8, 0 :: v_dual_and_b32 v9, 0xff, v6
	s_delay_alu instid0(VALU_DEP_1)
	v_cmpx_ne_u16_e32 0, v9
	s_cbranch_execz .LBB409_1454
; %bb.1447:                             ;   in Loop: Header=BB409_763 Depth=1
	v_bfrev_b32_e32 v8, 1
	s_mov_b32 s15, exec_lo
	v_cmpx_ne_u16_e32 0x80, v9
	s_cbranch_execz .LBB409_1453
; %bb.1448:                             ;   in Loop: Header=BB409_763 Depth=1
	v_and_b32_e32 v9, 0x7f, v6
	v_mov_b32_e32 v8, 0x7f800001
	s_mov_b32 s16, exec_lo
	s_delay_alu instid0(VALU_DEP_2)
	v_cmpx_ne_u32_e32 0x7f, v9
	s_cbranch_execz .LBB409_1452
; %bb.1449:                             ;   in Loop: Header=BB409_763 Depth=1
	v_lshrrev_b32_e32 v12, 3, v9
	v_cmp_gt_u32_e64 s1, 8, v9
	v_dual_mov_b32 v9, v7 :: v_dual_mov_b32 v8, v6
	s_delay_alu instid0(VALU_DEP_2)
	s_and_saveexec_b32 s17, s1
; %bb.1450:                             ;   in Loop: Header=BB409_763 Depth=1
	v_and_b32_e32 v8, 7, v6
	s_delay_alu instid0(VALU_DEP_1) | instskip(NEXT) | instid1(VALU_DEP_1)
	v_clz_i32_u32_e32 v8, v8
	v_min_u32_e32 v12, 32, v8
	s_delay_alu instid0(VALU_DEP_1) | instskip(SKIP_1) | instid1(VALU_DEP_2)
	v_subrev_nc_u32_e32 v8, 28, v12
	v_sub_nc_u32_e32 v12, 29, v12
	v_lshlrev_b64 v[8:9], v8, v[6:7]
; %bb.1451:                             ;   in Loop: Header=BB409_763 Depth=1
	s_or_b32 exec_lo, exec_lo, s17
	s_delay_alu instid0(VALU_DEP_1) | instskip(SKIP_2) | instid1(VALU_DEP_3)
	v_lshlrev_b32_e32 v8, 20, v8
	v_lshlrev_b32_e32 v9, 24, v6
	v_lshl_add_u32 v12, v12, 23, 0x3c000000
	v_and_b32_e32 v8, 0x700000, v8
	s_delay_alu instid0(VALU_DEP_3) | instskip(NEXT) | instid1(VALU_DEP_1)
	v_and_b32_e32 v9, 0x80000000, v9
	v_or3_b32 v8, v8, v9, v12
.LBB409_1452:                           ;   in Loop: Header=BB409_763 Depth=1
	s_or_b32 exec_lo, exec_lo, s16
.LBB409_1453:                           ;   in Loop: Header=BB409_763 Depth=1
	s_delay_alu instid0(SALU_CYCLE_1)
	s_or_b32 exec_lo, exec_lo, s15
.LBB409_1454:                           ;   in Loop: Header=BB409_763 Depth=1
	s_delay_alu instid0(SALU_CYCLE_1) | instskip(NEXT) | instid1(VALU_DEP_1)
	s_or_b32 exec_lo, exec_lo, s13
	v_mul_f32_e32 v8, v162, v8
                                        ; implicit-def: $vgpr163
	s_delay_alu instid0(VALU_DEP_1) | instskip(NEXT) | instid1(VALU_DEP_1)
	v_and_b32_e32 v9, 0x7f800000, v8
	v_cmp_ne_u32_e64 s1, 0x7f800000, v9
	s_delay_alu instid0(VALU_DEP_1) | instskip(NEXT) | instid1(SALU_CYCLE_1)
	s_and_saveexec_b32 s13, s1
	s_xor_b32 s1, exec_lo, s13
; %bb.1455:                             ;   in Loop: Header=BB409_763 Depth=1
	v_bfe_u32 v9, v8, 16, 1
	s_delay_alu instid0(VALU_DEP_1)
	v_add3_u32 v163, v8, v9, 0x7fff
                                        ; implicit-def: $vgpr8
; %bb.1456:                             ;   in Loop: Header=BB409_763 Depth=1
	s_and_not1_saveexec_b32 s13, s1
; %bb.1457:                             ;   in Loop: Header=BB409_763 Depth=1
	v_and_b32_e32 v9, 0xffff, v8
	v_or_b32_e32 v12, 0x10000, v8
	s_delay_alu instid0(VALU_DEP_2) | instskip(NEXT) | instid1(VALU_DEP_1)
	v_cmp_eq_u32_e64 s1, 0, v9
	v_cndmask_b32_e64 v163, v12, v8, s1
; %bb.1458:                             ;   in Loop: Header=BB409_763 Depth=1
	s_or_b32 exec_lo, exec_lo, s13
	v_lshrrev_b16 v9, 8, v6
	v_mov_b32_e32 v8, 0
	s_mov_b32 s13, exec_lo
	s_delay_alu instid0(VALU_DEP_2)
	v_cmpx_ne_u16_e32 0, v9
	s_cbranch_execz .LBB409_1466
; %bb.1459:                             ;   in Loop: Header=BB409_763 Depth=1
	v_bfrev_b32_e32 v8, 1
	s_mov_b32 s15, exec_lo
	v_cmpx_ne_u16_e32 0x80, v9
	s_cbranch_execz .LBB409_1465
; %bb.1460:                             ;   in Loop: Header=BB409_763 Depth=1
	v_and_b32_e32 v12, 0xffff, v9
	v_mov_b32_e32 v8, 0x7f800001
	s_mov_b32 s16, exec_lo
	s_delay_alu instid0(VALU_DEP_2) | instskip(NEXT) | instid1(VALU_DEP_1)
	v_and_b32_e32 v9, 0x7f, v12
	v_cmpx_ne_u32_e32 0x7f, v9
	s_cbranch_execz .LBB409_1464
; %bb.1461:                             ;   in Loop: Header=BB409_763 Depth=1
	v_and_b32_e32 v12, 7, v12
	v_lshrrev_b32_e32 v8, 3, v9
	s_mov_b32 s17, exec_lo
	v_cmpx_gt_u32_e32 8, v9
; %bb.1462:                             ;   in Loop: Header=BB409_763 Depth=1
	s_delay_alu instid0(VALU_DEP_3) | instskip(NEXT) | instid1(VALU_DEP_1)
	v_clz_i32_u32_e32 v8, v12
	v_min_u32_e32 v8, 32, v8
	s_delay_alu instid0(VALU_DEP_1) | instskip(SKIP_1) | instid1(VALU_DEP_2)
	v_subrev_nc_u32_e32 v9, 28, v8
	v_sub_nc_u32_e32 v8, 29, v8
	v_lshlrev_b64 v[164:165], v9, v[12:13]
	s_delay_alu instid0(VALU_DEP_1)
	v_and_b32_e32 v12, 7, v164
; %bb.1463:                             ;   in Loop: Header=BB409_763 Depth=1
	s_or_b32 exec_lo, exec_lo, s17
	v_lshlrev_b32_e32 v9, 16, v6
	s_delay_alu instid0(VALU_DEP_2) | instskip(SKIP_1) | instid1(VALU_DEP_3)
	v_lshlrev_b32_e32 v12, 20, v12
	v_lshl_add_u32 v8, v8, 23, 0x3c000000
	v_and_b32_e32 v9, 0x80000000, v9
	s_delay_alu instid0(VALU_DEP_1)
	v_or3_b32 v8, v12, v9, v8
.LBB409_1464:                           ;   in Loop: Header=BB409_763 Depth=1
	s_or_b32 exec_lo, exec_lo, s16
.LBB409_1465:                           ;   in Loop: Header=BB409_763 Depth=1
	s_delay_alu instid0(SALU_CYCLE_1)
	s_or_b32 exec_lo, exec_lo, s15
.LBB409_1466:                           ;   in Loop: Header=BB409_763 Depth=1
	s_delay_alu instid0(SALU_CYCLE_1) | instskip(NEXT) | instid1(VALU_DEP_1)
	s_or_b32 exec_lo, exec_lo, s13
	v_mul_f32_e32 v8, v162, v8
                                        ; implicit-def: $vgpr164
	s_delay_alu instid0(VALU_DEP_1) | instskip(NEXT) | instid1(VALU_DEP_1)
	v_and_b32_e32 v9, 0x7f800000, v8
	v_cmp_ne_u32_e64 s1, 0x7f800000, v9
	s_delay_alu instid0(VALU_DEP_1) | instskip(NEXT) | instid1(SALU_CYCLE_1)
	s_and_saveexec_b32 s13, s1
	s_xor_b32 s1, exec_lo, s13
; %bb.1467:                             ;   in Loop: Header=BB409_763 Depth=1
	v_bfe_u32 v9, v8, 16, 1
	s_delay_alu instid0(VALU_DEP_1)
	v_add3_u32 v164, v8, v9, 0x7fff
                                        ; implicit-def: $vgpr8
; %bb.1468:                             ;   in Loop: Header=BB409_763 Depth=1
	s_and_not1_saveexec_b32 s13, s1
; %bb.1469:                             ;   in Loop: Header=BB409_763 Depth=1
	v_and_b32_e32 v9, 0xffff, v8
	v_or_b32_e32 v12, 0x10000, v8
	s_delay_alu instid0(VALU_DEP_2) | instskip(NEXT) | instid1(VALU_DEP_1)
	v_cmp_eq_u32_e64 s1, 0, v9
	v_cndmask_b32_e64 v164, v12, v8, s1
; %bb.1470:                             ;   in Loop: Header=BB409_763 Depth=1
	s_or_b32 exec_lo, exec_lo, s13
	v_lshrrev_b32_e32 v8, 16, v6
	s_mov_b32 s13, exec_lo
	s_delay_alu instid0(VALU_DEP_1) | instskip(NEXT) | instid1(VALU_DEP_1)
	v_dual_mov_b32 v9, 0 :: v_dual_and_b32 v12, 0xff, v8
	v_cmpx_ne_u16_e32 0, v12
	s_cbranch_execz .LBB409_1478
; %bb.1471:                             ;   in Loop: Header=BB409_763 Depth=1
	v_bfrev_b32_e32 v9, 1
	s_mov_b32 s15, exec_lo
	v_cmpx_ne_u16_e32 0x80, v12
	s_cbranch_execz .LBB409_1477
; %bb.1472:                             ;   in Loop: Header=BB409_763 Depth=1
	v_bfe_u32 v165, v6, 16, 7
	v_mov_b32_e32 v9, 0x7f800001
	s_mov_b32 s16, exec_lo
	s_delay_alu instid0(VALU_DEP_2)
	v_cmpx_ne_u32_e32 0x7f, v165
	s_cbranch_execz .LBB409_1476
; %bb.1473:                             ;   in Loop: Header=BB409_763 Depth=1
	v_and_b32_e32 v12, 7, v8
	v_lshrrev_b32_e32 v9, 3, v165
	s_mov_b32 s17, exec_lo
	v_cmpx_gt_u32_e32 8, v165
; %bb.1474:                             ;   in Loop: Header=BB409_763 Depth=1
	s_delay_alu instid0(VALU_DEP_3) | instskip(NEXT) | instid1(VALU_DEP_1)
	v_clz_i32_u32_e32 v9, v12
	v_min_u32_e32 v9, 32, v9
	s_delay_alu instid0(VALU_DEP_1) | instskip(SKIP_1) | instid1(VALU_DEP_2)
	v_subrev_nc_u32_e32 v165, 28, v9
	v_sub_nc_u32_e32 v9, 29, v9
	v_lshlrev_b64 v[165:166], v165, v[12:13]
	s_delay_alu instid0(VALU_DEP_1)
	v_and_b32_e32 v12, 7, v165
; %bb.1475:                             ;   in Loop: Header=BB409_763 Depth=1
	s_or_b32 exec_lo, exec_lo, s17
	v_lshlrev_b32_e32 v8, 24, v8
	s_delay_alu instid0(VALU_DEP_2) | instskip(SKIP_1) | instid1(VALU_DEP_3)
	v_lshlrev_b32_e32 v12, 20, v12
	v_lshl_add_u32 v9, v9, 23, 0x3c000000
	v_and_b32_e32 v8, 0x80000000, v8
	s_delay_alu instid0(VALU_DEP_1)
	v_or3_b32 v9, v12, v8, v9
.LBB409_1476:                           ;   in Loop: Header=BB409_763 Depth=1
	s_or_b32 exec_lo, exec_lo, s16
.LBB409_1477:                           ;   in Loop: Header=BB409_763 Depth=1
	s_delay_alu instid0(SALU_CYCLE_1)
	s_or_b32 exec_lo, exec_lo, s15
.LBB409_1478:                           ;   in Loop: Header=BB409_763 Depth=1
	s_delay_alu instid0(SALU_CYCLE_1) | instskip(NEXT) | instid1(VALU_DEP_1)
	s_or_b32 exec_lo, exec_lo, s13
	v_mul_f32_e32 v8, v162, v9
                                        ; implicit-def: $vgpr165
	s_delay_alu instid0(VALU_DEP_1) | instskip(NEXT) | instid1(VALU_DEP_1)
	v_and_b32_e32 v9, 0x7f800000, v8
	v_cmp_ne_u32_e64 s1, 0x7f800000, v9
	s_delay_alu instid0(VALU_DEP_1) | instskip(NEXT) | instid1(SALU_CYCLE_1)
	s_and_saveexec_b32 s13, s1
	s_xor_b32 s1, exec_lo, s13
; %bb.1479:                             ;   in Loop: Header=BB409_763 Depth=1
	v_bfe_u32 v9, v8, 16, 1
	s_delay_alu instid0(VALU_DEP_1)
	v_add3_u32 v165, v8, v9, 0x7fff
                                        ; implicit-def: $vgpr8
; %bb.1480:                             ;   in Loop: Header=BB409_763 Depth=1
	s_and_not1_saveexec_b32 s13, s1
; %bb.1481:                             ;   in Loop: Header=BB409_763 Depth=1
	v_and_b32_e32 v9, 0xffff, v8
	v_or_b32_e32 v12, 0x10000, v8
	s_delay_alu instid0(VALU_DEP_2) | instskip(NEXT) | instid1(VALU_DEP_1)
	v_cmp_eq_u32_e64 s1, 0, v9
	v_cndmask_b32_e64 v165, v12, v8, s1
; %bb.1482:                             ;   in Loop: Header=BB409_763 Depth=1
	s_or_b32 exec_lo, exec_lo, s13
	v_mov_b32_e32 v9, 0
	s_mov_b32 s13, exec_lo
	v_cmpx_lt_u32_e32 0xffffff, v6
	s_cbranch_execz .LBB409_1490
; %bb.1483:                             ;   in Loop: Header=BB409_763 Depth=1
	v_lshrrev_b32_e32 v8, 24, v6
	v_bfrev_b32_e32 v9, 1
	s_mov_b32 s15, exec_lo
	s_delay_alu instid0(VALU_DEP_2)
	v_cmpx_ne_u32_e32 0x80, v8
	s_cbranch_execz .LBB409_1489
; %bb.1484:                             ;   in Loop: Header=BB409_763 Depth=1
	v_bfe_u32 v166, v6, 24, 7
	v_mov_b32_e32 v9, 0x7f800001
	s_mov_b32 s16, exec_lo
	s_delay_alu instid0(VALU_DEP_2)
	v_cmpx_ne_u32_e32 0x7f, v166
	s_cbranch_execz .LBB409_1488
; %bb.1485:                             ;   in Loop: Header=BB409_763 Depth=1
	v_and_b32_e32 v12, 7, v8
	v_lshrrev_b32_e32 v9, 3, v166
	s_mov_b32 s17, exec_lo
	v_cmpx_gt_u32_e32 8, v166
; %bb.1486:                             ;   in Loop: Header=BB409_763 Depth=1
	s_delay_alu instid0(VALU_DEP_3) | instskip(NEXT) | instid1(VALU_DEP_1)
	v_clz_i32_u32_e32 v9, v12
	v_min_u32_e32 v9, 32, v9
	s_delay_alu instid0(VALU_DEP_1) | instskip(SKIP_1) | instid1(VALU_DEP_2)
	v_subrev_nc_u32_e32 v166, 28, v9
	v_sub_nc_u32_e32 v9, 29, v9
	v_lshlrev_b64 v[166:167], v166, v[12:13]
	s_delay_alu instid0(VALU_DEP_1)
	v_and_b32_e32 v12, 7, v166
; %bb.1487:                             ;   in Loop: Header=BB409_763 Depth=1
	s_or_b32 exec_lo, exec_lo, s17
	v_lshlrev_b32_e32 v8, 24, v8
	s_delay_alu instid0(VALU_DEP_2) | instskip(SKIP_1) | instid1(VALU_DEP_3)
	v_lshlrev_b32_e32 v12, 20, v12
	v_lshl_add_u32 v9, v9, 23, 0x3c000000
	v_and_b32_e32 v8, 0x80000000, v8
	s_delay_alu instid0(VALU_DEP_1)
	v_or3_b32 v9, v12, v8, v9
.LBB409_1488:                           ;   in Loop: Header=BB409_763 Depth=1
	s_or_b32 exec_lo, exec_lo, s16
.LBB409_1489:                           ;   in Loop: Header=BB409_763 Depth=1
	s_delay_alu instid0(SALU_CYCLE_1)
	s_or_b32 exec_lo, exec_lo, s15
.LBB409_1490:                           ;   in Loop: Header=BB409_763 Depth=1
	s_delay_alu instid0(SALU_CYCLE_1) | instskip(NEXT) | instid1(VALU_DEP_1)
	s_or_b32 exec_lo, exec_lo, s13
	v_mul_f32_e32 v8, v162, v9
                                        ; implicit-def: $vgpr166
	s_delay_alu instid0(VALU_DEP_1) | instskip(NEXT) | instid1(VALU_DEP_1)
	v_and_b32_e32 v9, 0x7f800000, v8
	v_cmp_ne_u32_e64 s1, 0x7f800000, v9
	s_delay_alu instid0(VALU_DEP_1) | instskip(NEXT) | instid1(SALU_CYCLE_1)
	s_and_saveexec_b32 s13, s1
	s_xor_b32 s1, exec_lo, s13
; %bb.1491:                             ;   in Loop: Header=BB409_763 Depth=1
	v_bfe_u32 v9, v8, 16, 1
	s_delay_alu instid0(VALU_DEP_1)
	v_add3_u32 v166, v8, v9, 0x7fff
                                        ; implicit-def: $vgpr8
; %bb.1492:                             ;   in Loop: Header=BB409_763 Depth=1
	s_and_not1_saveexec_b32 s13, s1
; %bb.1493:                             ;   in Loop: Header=BB409_763 Depth=1
	v_and_b32_e32 v9, 0xffff, v8
	v_or_b32_e32 v12, 0x10000, v8
	s_delay_alu instid0(VALU_DEP_2) | instskip(NEXT) | instid1(VALU_DEP_1)
	v_cmp_eq_u32_e64 s1, 0, v9
	v_cndmask_b32_e64 v166, v12, v8, s1
; %bb.1494:                             ;   in Loop: Header=BB409_763 Depth=1
	s_or_b32 exec_lo, exec_lo, s13
	v_dual_mov_b32 v12, v7 :: v_dual_and_b32 v9, 0xff, v7
	v_mov_b32_e32 v8, 0
	s_mov_b32 s13, exec_lo
	s_delay_alu instid0(VALU_DEP_2)
	v_cmpx_ne_u16_e32 0, v9
	s_cbranch_execz .LBB409_1502
; %bb.1495:                             ;   in Loop: Header=BB409_763 Depth=1
	v_bfrev_b32_e32 v8, 1
	s_mov_b32 s15, exec_lo
	v_cmpx_ne_u16_e32 0x80, v9
	s_cbranch_execz .LBB409_1501
; %bb.1496:                             ;   in Loop: Header=BB409_763 Depth=1
	v_and_b32_e32 v9, 0x7f, v7
	v_mov_b32_e32 v8, 0x7f800001
	s_mov_b32 s16, exec_lo
	s_delay_alu instid0(VALU_DEP_2)
	v_cmpx_ne_u32_e32 0x7f, v9
	s_cbranch_execz .LBB409_1500
; %bb.1497:                             ;   in Loop: Header=BB409_763 Depth=1
	v_lshrrev_b32_e32 v167, 3, v9
	v_cmp_gt_u32_e64 s1, 8, v9
	v_dual_mov_b32 v8, v12 :: v_dual_mov_b32 v9, v13
	s_delay_alu instid0(VALU_DEP_2)
	s_and_saveexec_b32 s17, s1
; %bb.1498:                             ;   in Loop: Header=BB409_763 Depth=1
	v_and_b32_e32 v8, 7, v7
	s_delay_alu instid0(VALU_DEP_1) | instskip(NEXT) | instid1(VALU_DEP_1)
	v_clz_i32_u32_e32 v8, v8
	v_min_u32_e32 v167, 32, v8
	s_delay_alu instid0(VALU_DEP_1) | instskip(SKIP_1) | instid1(VALU_DEP_2)
	v_subrev_nc_u32_e32 v8, 28, v167
	v_sub_nc_u32_e32 v167, 29, v167
	v_lshlrev_b64 v[8:9], v8, v[12:13]
; %bb.1499:                             ;   in Loop: Header=BB409_763 Depth=1
	s_or_b32 exec_lo, exec_lo, s17
	s_delay_alu instid0(VALU_DEP_1) | instskip(SKIP_2) | instid1(VALU_DEP_3)
	v_lshlrev_b32_e32 v8, 20, v8
	v_lshlrev_b32_e32 v9, 24, v12
	v_lshl_add_u32 v167, v167, 23, 0x3c000000
	v_and_b32_e32 v8, 0x700000, v8
	s_delay_alu instid0(VALU_DEP_3) | instskip(NEXT) | instid1(VALU_DEP_1)
	v_and_b32_e32 v9, 0x80000000, v9
	v_or3_b32 v8, v8, v9, v167
.LBB409_1500:                           ;   in Loop: Header=BB409_763 Depth=1
	s_or_b32 exec_lo, exec_lo, s16
.LBB409_1501:                           ;   in Loop: Header=BB409_763 Depth=1
	s_delay_alu instid0(SALU_CYCLE_1)
	s_or_b32 exec_lo, exec_lo, s15
.LBB409_1502:                           ;   in Loop: Header=BB409_763 Depth=1
	s_delay_alu instid0(SALU_CYCLE_1) | instskip(NEXT) | instid1(VALU_DEP_1)
	s_or_b32 exec_lo, exec_lo, s13
	v_mul_f32_e32 v8, v162, v8
                                        ; implicit-def: $vgpr167
	s_delay_alu instid0(VALU_DEP_1) | instskip(NEXT) | instid1(VALU_DEP_1)
	v_and_b32_e32 v9, 0x7f800000, v8
	v_cmp_ne_u32_e64 s1, 0x7f800000, v9
	s_delay_alu instid0(VALU_DEP_1) | instskip(NEXT) | instid1(SALU_CYCLE_1)
	s_and_saveexec_b32 s13, s1
	s_xor_b32 s1, exec_lo, s13
; %bb.1503:                             ;   in Loop: Header=BB409_763 Depth=1
	v_bfe_u32 v9, v8, 16, 1
	s_delay_alu instid0(VALU_DEP_1)
	v_add3_u32 v167, v8, v9, 0x7fff
                                        ; implicit-def: $vgpr8
; %bb.1504:                             ;   in Loop: Header=BB409_763 Depth=1
	s_and_not1_saveexec_b32 s13, s1
; %bb.1505:                             ;   in Loop: Header=BB409_763 Depth=1
	v_and_b32_e32 v9, 0xffff, v8
	v_or_b32_e32 v167, 0x10000, v8
	s_delay_alu instid0(VALU_DEP_2) | instskip(NEXT) | instid1(VALU_DEP_1)
	v_cmp_eq_u32_e64 s1, 0, v9
	v_cndmask_b32_e64 v167, v167, v8, s1
; %bb.1506:                             ;   in Loop: Header=BB409_763 Depth=1
	s_or_b32 exec_lo, exec_lo, s13
	v_lshrrev_b16 v9, 8, v12
	v_mov_b32_e32 v8, 0
	s_mov_b32 s13, exec_lo
	s_delay_alu instid0(VALU_DEP_2)
	v_cmpx_ne_u16_e32 0, v9
	s_cbranch_execz .LBB409_1514
; %bb.1507:                             ;   in Loop: Header=BB409_763 Depth=1
	v_bfrev_b32_e32 v8, 1
	s_mov_b32 s15, exec_lo
	v_cmpx_ne_u16_e32 0x80, v9
	s_cbranch_execz .LBB409_1513
; %bb.1508:                             ;   in Loop: Header=BB409_763 Depth=1
	v_and_b32_e32 v9, 0xffff, v9
	v_mov_b32_e32 v8, 0x7f800001
	s_mov_b32 s16, exec_lo
	s_delay_alu instid0(VALU_DEP_2) | instskip(NEXT) | instid1(VALU_DEP_1)
	v_and_b32_e32 v177, 0x7f, v9
	v_cmpx_ne_u32_e32 0x7f, v177
	s_cbranch_execz .LBB409_1512
; %bb.1509:                             ;   in Loop: Header=BB409_763 Depth=1
	v_dual_mov_b32 v9, v13 :: v_dual_and_b32 v8, 7, v9
	v_lshrrev_b32_e32 v176, 3, v177
	s_mov_b32 s17, exec_lo
	v_cmpx_gt_u32_e32 8, v177
; %bb.1510:                             ;   in Loop: Header=BB409_763 Depth=1
	s_delay_alu instid0(VALU_DEP_3) | instskip(NEXT) | instid1(VALU_DEP_1)
	v_clz_i32_u32_e32 v176, v8
	v_min_u32_e32 v176, 32, v176
	s_delay_alu instid0(VALU_DEP_1) | instskip(SKIP_1) | instid1(VALU_DEP_2)
	v_subrev_nc_u32_e32 v177, 28, v176
	v_sub_nc_u32_e32 v176, 29, v176
	v_lshlrev_b64 v[8:9], v177, v[8:9]
	s_delay_alu instid0(VALU_DEP_1)
	v_and_b32_e32 v8, 7, v8
; %bb.1511:                             ;   in Loop: Header=BB409_763 Depth=1
	s_or_b32 exec_lo, exec_lo, s17
	v_lshlrev_b32_e32 v9, 16, v12
	s_delay_alu instid0(VALU_DEP_2) | instskip(SKIP_1) | instid1(VALU_DEP_3)
	v_lshlrev_b32_e32 v8, 20, v8
	v_lshl_add_u32 v12, v176, 23, 0x3c000000
	v_and_b32_e32 v9, 0x80000000, v9
	s_delay_alu instid0(VALU_DEP_1)
	v_or3_b32 v8, v8, v9, v12
.LBB409_1512:                           ;   in Loop: Header=BB409_763 Depth=1
	s_or_b32 exec_lo, exec_lo, s16
.LBB409_1513:                           ;   in Loop: Header=BB409_763 Depth=1
	s_delay_alu instid0(SALU_CYCLE_1)
	s_or_b32 exec_lo, exec_lo, s15
.LBB409_1514:                           ;   in Loop: Header=BB409_763 Depth=1
	s_delay_alu instid0(SALU_CYCLE_1) | instskip(NEXT) | instid1(VALU_DEP_1)
	s_or_b32 exec_lo, exec_lo, s13
	v_mul_f32_e32 v9, v162, v8
	s_delay_alu instid0(VALU_DEP_1) | instskip(NEXT) | instid1(VALU_DEP_1)
	v_and_b32_e32 v8, 0x7f800000, v9
	v_cmp_ne_u32_e64 s1, 0x7f800000, v8
                                        ; implicit-def: $vgpr8
	s_delay_alu instid0(VALU_DEP_1) | instskip(NEXT) | instid1(SALU_CYCLE_1)
	s_and_saveexec_b32 s13, s1
	s_xor_b32 s1, exec_lo, s13
; %bb.1515:                             ;   in Loop: Header=BB409_763 Depth=1
	v_bfe_u32 v8, v9, 16, 1
	s_delay_alu instid0(VALU_DEP_1)
	v_add3_u32 v8, v9, v8, 0x7fff
                                        ; implicit-def: $vgpr9
; %bb.1516:                             ;   in Loop: Header=BB409_763 Depth=1
	s_and_not1_saveexec_b32 s13, s1
; %bb.1517:                             ;   in Loop: Header=BB409_763 Depth=1
	v_and_b32_e32 v8, 0xffff, v9
	v_or_b32_e32 v12, 0x10000, v9
	s_delay_alu instid0(VALU_DEP_2) | instskip(NEXT) | instid1(VALU_DEP_1)
	v_cmp_eq_u32_e64 s1, 0, v8
	v_cndmask_b32_e64 v8, v12, v9, s1
; %bb.1518:                             ;   in Loop: Header=BB409_763 Depth=1
	s_or_b32 exec_lo, exec_lo, s13
	v_lshrrev_b32_e32 v9, 16, v7
	v_mov_b32_e32 v12, 0
	s_mov_b32 s13, exec_lo
	s_delay_alu instid0(VALU_DEP_2) | instskip(NEXT) | instid1(VALU_DEP_1)
	v_and_b32_e32 v176, 0xff, v9
	v_cmpx_ne_u16_e64 0, v176
	s_cbranch_execz .LBB409_1526
; %bb.1519:                             ;   in Loop: Header=BB409_763 Depth=1
	v_bfrev_b32_e32 v12, 1
	s_mov_b32 s15, exec_lo
	v_cmpx_ne_u16_e64 0x80, v176
	s_cbranch_execz .LBB409_1525
; %bb.1520:                             ;   in Loop: Header=BB409_763 Depth=1
	v_bfe_u32 v177, v7, 16, 7
	v_mov_b32_e32 v12, 0x7f800001
	s_mov_b32 s16, exec_lo
	s_delay_alu instid0(VALU_DEP_2)
	v_cmpx_ne_u32_e32 0x7f, v177
	s_cbranch_execz .LBB409_1524
; %bb.1521:                             ;   in Loop: Header=BB409_763 Depth=1
	v_and_b32_e32 v12, 7, v9
	v_lshrrev_b32_e32 v176, 3, v177
	s_mov_b32 s17, exec_lo
	v_cmpx_gt_u32_e32 8, v177
; %bb.1522:                             ;   in Loop: Header=BB409_763 Depth=1
	s_delay_alu instid0(VALU_DEP_3) | instskip(NEXT) | instid1(VALU_DEP_1)
	v_clz_i32_u32_e32 v176, v12
	v_min_u32_e32 v176, 32, v176
	s_delay_alu instid0(VALU_DEP_1) | instskip(SKIP_1) | instid1(VALU_DEP_2)
	v_subrev_nc_u32_e32 v177, 28, v176
	v_sub_nc_u32_e32 v176, 29, v176
	v_lshlrev_b64 v[177:178], v177, v[12:13]
	s_delay_alu instid0(VALU_DEP_1)
	v_and_b32_e32 v12, 7, v177
; %bb.1523:                             ;   in Loop: Header=BB409_763 Depth=1
	s_or_b32 exec_lo, exec_lo, s17
	v_lshlrev_b32_e32 v9, 24, v9
	s_delay_alu instid0(VALU_DEP_2) | instskip(SKIP_1) | instid1(VALU_DEP_3)
	v_lshlrev_b32_e32 v12, 20, v12
	v_lshl_add_u32 v176, v176, 23, 0x3c000000
	v_and_b32_e32 v9, 0x80000000, v9
	s_delay_alu instid0(VALU_DEP_1)
	v_or3_b32 v12, v12, v9, v176
.LBB409_1524:                           ;   in Loop: Header=BB409_763 Depth=1
	s_or_b32 exec_lo, exec_lo, s16
.LBB409_1525:                           ;   in Loop: Header=BB409_763 Depth=1
	s_delay_alu instid0(SALU_CYCLE_1)
	s_or_b32 exec_lo, exec_lo, s15
.LBB409_1526:                           ;   in Loop: Header=BB409_763 Depth=1
	s_delay_alu instid0(SALU_CYCLE_1) | instskip(NEXT) | instid1(VALU_DEP_1)
	s_or_b32 exec_lo, exec_lo, s13
	v_mul_f32_e32 v12, v162, v12
	s_delay_alu instid0(VALU_DEP_1) | instskip(NEXT) | instid1(VALU_DEP_1)
	v_and_b32_e32 v9, 0x7f800000, v12
	v_cmp_ne_u32_e64 s1, 0x7f800000, v9
                                        ; implicit-def: $vgpr9
	s_delay_alu instid0(VALU_DEP_1) | instskip(NEXT) | instid1(SALU_CYCLE_1)
	s_and_saveexec_b32 s13, s1
	s_xor_b32 s1, exec_lo, s13
; %bb.1527:                             ;   in Loop: Header=BB409_763 Depth=1
	v_bfe_u32 v9, v12, 16, 1
	s_delay_alu instid0(VALU_DEP_1)
	v_add3_u32 v9, v12, v9, 0x7fff
                                        ; implicit-def: $vgpr12
; %bb.1528:                             ;   in Loop: Header=BB409_763 Depth=1
	s_and_not1_saveexec_b32 s13, s1
; %bb.1529:                             ;   in Loop: Header=BB409_763 Depth=1
	v_and_b32_e32 v9, 0xffff, v12
	v_or_b32_e32 v176, 0x10000, v12
	s_delay_alu instid0(VALU_DEP_2) | instskip(NEXT) | instid1(VALU_DEP_1)
	v_cmp_eq_u32_e64 s1, 0, v9
	v_cndmask_b32_e64 v9, v176, v12, s1
; %bb.1530:                             ;   in Loop: Header=BB409_763 Depth=1
	s_or_b32 exec_lo, exec_lo, s13
	v_mov_b32_e32 v12, 0
	s_mov_b32 s13, exec_lo
	v_cmpx_lt_u64_e64 s[8:9], v[6:7]
	s_cbranch_execz .LBB409_1538
; %bb.1531:                             ;   in Loop: Header=BB409_763 Depth=1
	v_lshrrev_b32_e32 v6, 24, v7
	v_bfrev_b32_e32 v12, 1
	s_mov_b32 s15, exec_lo
	s_delay_alu instid0(VALU_DEP_2)
	v_cmpx_ne_u32_e32 0x80, v6
	s_cbranch_execz .LBB409_1537
; %bb.1532:                             ;   in Loop: Header=BB409_763 Depth=1
	v_bfe_u32 v176, v7, 24, 7
	v_mov_b32_e32 v12, 0x7f800001
	s_mov_b32 s16, exec_lo
	s_delay_alu instid0(VALU_DEP_2)
	v_cmpx_ne_u32_e32 0x7f, v176
	s_cbranch_execz .LBB409_1536
; %bb.1533:                             ;   in Loop: Header=BB409_763 Depth=1
	v_and_b32_e32 v12, 7, v6
	v_lshrrev_b32_e32 v7, 3, v176
	s_mov_b32 s17, exec_lo
	v_cmpx_gt_u32_e32 8, v176
; %bb.1534:                             ;   in Loop: Header=BB409_763 Depth=1
	s_delay_alu instid0(VALU_DEP_3) | instskip(NEXT) | instid1(VALU_DEP_1)
	v_clz_i32_u32_e32 v7, v12
	v_min_u32_e32 v7, 32, v7
	s_delay_alu instid0(VALU_DEP_1) | instskip(SKIP_1) | instid1(VALU_DEP_2)
	v_subrev_nc_u32_e32 v176, 28, v7
	v_sub_nc_u32_e32 v7, 29, v7
	v_lshlrev_b64 v[176:177], v176, v[12:13]
	s_delay_alu instid0(VALU_DEP_1)
	v_and_b32_e32 v12, 7, v176
; %bb.1535:                             ;   in Loop: Header=BB409_763 Depth=1
	s_or_b32 exec_lo, exec_lo, s17
	v_lshlrev_b32_e32 v6, 24, v6
	s_delay_alu instid0(VALU_DEP_2) | instskip(SKIP_1) | instid1(VALU_DEP_3)
	v_lshlrev_b32_e32 v12, 20, v12
	v_lshl_add_u32 v7, v7, 23, 0x3c000000
	v_and_b32_e32 v6, 0x80000000, v6
	s_delay_alu instid0(VALU_DEP_1)
	v_or3_b32 v12, v12, v6, v7
.LBB409_1536:                           ;   in Loop: Header=BB409_763 Depth=1
	s_or_b32 exec_lo, exec_lo, s16
.LBB409_1537:                           ;   in Loop: Header=BB409_763 Depth=1
	s_delay_alu instid0(SALU_CYCLE_1)
	s_or_b32 exec_lo, exec_lo, s15
.LBB409_1538:                           ;   in Loop: Header=BB409_763 Depth=1
	s_delay_alu instid0(SALU_CYCLE_1) | instskip(NEXT) | instid1(VALU_DEP_1)
	s_or_b32 exec_lo, exec_lo, s13
	v_mul_f32_e32 v7, v162, v12
	s_delay_alu instid0(VALU_DEP_1) | instskip(NEXT) | instid1(VALU_DEP_1)
	v_and_b32_e32 v6, 0x7f800000, v7
	v_cmp_ne_u32_e64 s1, 0x7f800000, v6
                                        ; implicit-def: $vgpr6
	s_delay_alu instid0(VALU_DEP_1) | instskip(NEXT) | instid1(SALU_CYCLE_1)
	s_and_saveexec_b32 s13, s1
	s_xor_b32 s1, exec_lo, s13
; %bb.1539:                             ;   in Loop: Header=BB409_763 Depth=1
	v_bfe_u32 v6, v7, 16, 1
	s_delay_alu instid0(VALU_DEP_1)
	v_add3_u32 v6, v7, v6, 0x7fff
                                        ; implicit-def: $vgpr7
; %bb.1540:                             ;   in Loop: Header=BB409_763 Depth=1
	s_and_not1_saveexec_b32 s13, s1
; %bb.1541:                             ;   in Loop: Header=BB409_763 Depth=1
	v_and_b32_e32 v6, 0xffff, v7
	v_or_b32_e32 v12, 0x10000, v7
	s_delay_alu instid0(VALU_DEP_2) | instskip(NEXT) | instid1(VALU_DEP_1)
	v_cmp_eq_u32_e64 s1, 0, v6
	v_cndmask_b32_e64 v6, v12, v7, s1
; %bb.1542:                             ;   in Loop: Header=BB409_763 Depth=1
	s_or_b32 exec_lo, exec_lo, s13
	v_lshrrev_b32_e32 v12, 16, v8
	v_lshrrev_b32_e32 v167, 16, v167
	;; [unrolled: 1-line block ×8, first 2 shown]
	s_and_saveexec_b32 s13, s0
	s_cbranch_execz .LBB409_1544
; %bb.1543:                             ;   in Loop: Header=BB409_763 Depth=1
	v_add_nc_u32_e32 v9, 1, v55
	v_cmp_lt_i32_e64 s1, v55, v83
	v_add_nc_u32_e32 v163, 2, v55
	v_add_nc_u32_e32 v165, 3, v55
	s_delay_alu instid0(VALU_DEP_3) | instskip(SKIP_2) | instid1(VALU_DEP_2)
	v_cndmask_b32_e64 v8, 0, v8, s1
	v_cmp_lt_i32_e64 s1, v9, v83
	v_add_nc_u32_e32 v9, 4, v55
	v_cndmask_b32_e64 v164, 0, v164, s1
	v_cmp_lt_i32_e64 s1, v163, v83
	v_add_nc_u32_e32 v163, 5, v55
	s_delay_alu instid0(VALU_DEP_2) | instskip(SKIP_2) | instid1(VALU_DEP_2)
	v_cndmask_b32_e64 v162, 0, v162, s1
	v_cmp_lt_i32_e64 s1, v165, v83
	v_add_nc_u32_e32 v165, 6, v55
	v_cndmask_b32_e64 v166, 0, v166, s1
	v_cmp_lt_i32_e64 s1, v9, v83
	v_add_nc_u32_e32 v9, 7, v55
	s_delay_alu instid0(VALU_DEP_2) | instskip(SKIP_1) | instid1(VALU_DEP_1)
	v_cndmask_b32_e64 v167, 0, v167, s1
	v_cmp_lt_i32_e64 s1, v163, v83
	v_cndmask_b32_e64 v12, 0, v12, s1
	v_cmp_lt_i32_e64 s1, v165, v83
	s_delay_alu instid0(VALU_DEP_1) | instskip(SKIP_1) | instid1(VALU_DEP_1)
	v_cndmask_b32_e64 v7, 0, v7, s1
	v_cmp_lt_i32_e64 s1, v9, v83
	v_cndmask_b32_e64 v6, 0, v6, s1
.LBB409_1544:                           ;   in Loop: Header=BB409_763 Depth=1
	s_or_b32 exec_lo, exec_lo, s13
	v_lshlrev_b32_e32 v8, 16, v8
	s_delay_alu instid0(VALU_DEP_1) | instskip(NEXT) | instid1(VALU_DEP_1)
	v_mul_f32_e32 v9, v66, v8
	v_and_b32_e32 v8, 0x7f800000, v9
	s_delay_alu instid0(VALU_DEP_1) | instskip(NEXT) | instid1(VALU_DEP_1)
	v_cmp_ne_u32_e64 s1, 0x7f800000, v8
                                        ; implicit-def: $vgpr8
	s_and_saveexec_b32 s13, s1
	s_delay_alu instid0(SALU_CYCLE_1)
	s_xor_b32 s1, exec_lo, s13
; %bb.1545:                             ;   in Loop: Header=BB409_763 Depth=1
	v_bfe_u32 v8, v9, 16, 1
	s_delay_alu instid0(VALU_DEP_1)
	v_add3_u32 v8, v9, v8, 0x7fff
                                        ; implicit-def: $vgpr9
; %bb.1546:                             ;   in Loop: Header=BB409_763 Depth=1
	s_and_not1_saveexec_b32 s13, s1
; %bb.1547:                             ;   in Loop: Header=BB409_763 Depth=1
	v_and_b32_e32 v8, 0xffff, v9
	v_or_b32_e32 v163, 0x10000, v9
	s_delay_alu instid0(VALU_DEP_2) | instskip(NEXT) | instid1(VALU_DEP_1)
	v_cmp_eq_u32_e64 s1, 0, v8
	v_cndmask_b32_e64 v8, v163, v9, s1
; %bb.1548:                             ;   in Loop: Header=BB409_763 Depth=1
	s_or_b32 exec_lo, exec_lo, s13
	v_lshlrev_b32_e32 v9, 16, v164
	s_delay_alu instid0(VALU_DEP_1) | instskip(NEXT) | instid1(VALU_DEP_1)
	v_mul_f32_e32 v163, v67, v9
	v_and_b32_e32 v9, 0x7f800000, v163
	s_delay_alu instid0(VALU_DEP_1) | instskip(NEXT) | instid1(VALU_DEP_1)
	v_cmp_ne_u32_e64 s1, 0x7f800000, v9
                                        ; implicit-def: $vgpr9
	s_and_saveexec_b32 s13, s1
	s_delay_alu instid0(SALU_CYCLE_1)
	s_xor_b32 s1, exec_lo, s13
; %bb.1549:                             ;   in Loop: Header=BB409_763 Depth=1
	v_bfe_u32 v9, v163, 16, 1
	s_delay_alu instid0(VALU_DEP_1)
	v_add3_u32 v9, v163, v9, 0x7fff
                                        ; implicit-def: $vgpr163
; %bb.1550:                             ;   in Loop: Header=BB409_763 Depth=1
	s_and_not1_saveexec_b32 s13, s1
; %bb.1551:                             ;   in Loop: Header=BB409_763 Depth=1
	v_and_b32_e32 v9, 0xffff, v163
	v_or_b32_e32 v164, 0x10000, v163
	s_delay_alu instid0(VALU_DEP_2) | instskip(NEXT) | instid1(VALU_DEP_1)
	v_cmp_eq_u32_e64 s1, 0, v9
	v_cndmask_b32_e64 v9, v164, v163, s1
; %bb.1552:                             ;   in Loop: Header=BB409_763 Depth=1
	s_or_b32 exec_lo, exec_lo, s13
	v_lshlrev_b32_e32 v162, 16, v162
	s_delay_alu instid0(VALU_DEP_1) | instskip(NEXT) | instid1(VALU_DEP_1)
	v_mul_f32_e32 v163, v68, v162
	v_and_b32_e32 v162, 0x7f800000, v163
	s_delay_alu instid0(VALU_DEP_1) | instskip(NEXT) | instid1(VALU_DEP_1)
	v_cmp_ne_u32_e64 s1, 0x7f800000, v162
                                        ; implicit-def: $vgpr162
	s_and_saveexec_b32 s13, s1
	s_delay_alu instid0(SALU_CYCLE_1)
	s_xor_b32 s1, exec_lo, s13
; %bb.1553:                             ;   in Loop: Header=BB409_763 Depth=1
	v_bfe_u32 v162, v163, 16, 1
	s_delay_alu instid0(VALU_DEP_1)
	v_add3_u32 v162, v163, v162, 0x7fff
                                        ; implicit-def: $vgpr163
; %bb.1554:                             ;   in Loop: Header=BB409_763 Depth=1
	s_and_not1_saveexec_b32 s13, s1
; %bb.1555:                             ;   in Loop: Header=BB409_763 Depth=1
	v_and_b32_e32 v162, 0xffff, v163
	v_or_b32_e32 v164, 0x10000, v163
	s_delay_alu instid0(VALU_DEP_2) | instskip(NEXT) | instid1(VALU_DEP_1)
	v_cmp_eq_u32_e64 s1, 0, v162
	v_cndmask_b32_e64 v162, v164, v163, s1
; %bb.1556:                             ;   in Loop: Header=BB409_763 Depth=1
	s_or_b32 exec_lo, exec_lo, s13
	v_lshlrev_b32_e32 v163, 16, v166
	s_delay_alu instid0(VALU_DEP_1) | instskip(NEXT) | instid1(VALU_DEP_1)
	v_mul_f32_e32 v164, v69, v163
	v_and_b32_e32 v163, 0x7f800000, v164
	s_delay_alu instid0(VALU_DEP_1) | instskip(NEXT) | instid1(VALU_DEP_1)
	v_cmp_ne_u32_e64 s1, 0x7f800000, v163
                                        ; implicit-def: $vgpr163
	s_and_saveexec_b32 s13, s1
	s_delay_alu instid0(SALU_CYCLE_1)
	s_xor_b32 s1, exec_lo, s13
; %bb.1557:                             ;   in Loop: Header=BB409_763 Depth=1
	v_bfe_u32 v163, v164, 16, 1
	s_delay_alu instid0(VALU_DEP_1)
	v_add3_u32 v163, v164, v163, 0x7fff
                                        ; implicit-def: $vgpr164
; %bb.1558:                             ;   in Loop: Header=BB409_763 Depth=1
	s_and_not1_saveexec_b32 s13, s1
; %bb.1559:                             ;   in Loop: Header=BB409_763 Depth=1
	v_and_b32_e32 v163, 0xffff, v164
	v_or_b32_e32 v165, 0x10000, v164
	s_delay_alu instid0(VALU_DEP_2) | instskip(NEXT) | instid1(VALU_DEP_1)
	v_cmp_eq_u32_e64 s1, 0, v163
	v_cndmask_b32_e64 v163, v165, v164, s1
; %bb.1560:                             ;   in Loop: Header=BB409_763 Depth=1
	s_or_b32 exec_lo, exec_lo, s13
	v_lshlrev_b32_e32 v164, 16, v167
	s_delay_alu instid0(VALU_DEP_1) | instskip(NEXT) | instid1(VALU_DEP_1)
	v_mul_f32_e32 v165, v70, v164
	v_and_b32_e32 v164, 0x7f800000, v165
	s_delay_alu instid0(VALU_DEP_1) | instskip(NEXT) | instid1(VALU_DEP_1)
	v_cmp_ne_u32_e64 s1, 0x7f800000, v164
                                        ; implicit-def: $vgpr164
	s_and_saveexec_b32 s13, s1
	s_delay_alu instid0(SALU_CYCLE_1)
	s_xor_b32 s1, exec_lo, s13
; %bb.1561:                             ;   in Loop: Header=BB409_763 Depth=1
	v_bfe_u32 v164, v165, 16, 1
	s_delay_alu instid0(VALU_DEP_1)
	v_add3_u32 v164, v165, v164, 0x7fff
                                        ; implicit-def: $vgpr165
; %bb.1562:                             ;   in Loop: Header=BB409_763 Depth=1
	s_and_not1_saveexec_b32 s13, s1
; %bb.1563:                             ;   in Loop: Header=BB409_763 Depth=1
	v_and_b32_e32 v164, 0xffff, v165
	v_or_b32_e32 v166, 0x10000, v165
	s_delay_alu instid0(VALU_DEP_2) | instskip(NEXT) | instid1(VALU_DEP_1)
	v_cmp_eq_u32_e64 s1, 0, v164
	v_cndmask_b32_e64 v164, v166, v165, s1
; %bb.1564:                             ;   in Loop: Header=BB409_763 Depth=1
	s_or_b32 exec_lo, exec_lo, s13
	v_lshlrev_b32_e32 v12, 16, v12
	s_delay_alu instid0(VALU_DEP_1) | instskip(NEXT) | instid1(VALU_DEP_1)
	v_mul_f32_e32 v12, v71, v12
	v_and_b32_e32 v165, 0x7f800000, v12
	s_delay_alu instid0(VALU_DEP_1) | instskip(NEXT) | instid1(VALU_DEP_1)
	v_cmp_ne_u32_e64 s1, 0x7f800000, v165
                                        ; implicit-def: $vgpr165
	s_and_saveexec_b32 s13, s1
	s_delay_alu instid0(SALU_CYCLE_1)
	s_xor_b32 s1, exec_lo, s13
; %bb.1565:                             ;   in Loop: Header=BB409_763 Depth=1
	v_bfe_u32 v165, v12, 16, 1
	s_delay_alu instid0(VALU_DEP_1)
	v_add3_u32 v165, v12, v165, 0x7fff
                                        ; implicit-def: $vgpr12
; %bb.1566:                             ;   in Loop: Header=BB409_763 Depth=1
	s_and_not1_saveexec_b32 s13, s1
; %bb.1567:                             ;   in Loop: Header=BB409_763 Depth=1
	v_and_b32_e32 v165, 0xffff, v12
	v_or_b32_e32 v166, 0x10000, v12
	s_delay_alu instid0(VALU_DEP_2) | instskip(NEXT) | instid1(VALU_DEP_1)
	v_cmp_eq_u32_e64 s1, 0, v165
	v_cndmask_b32_e64 v165, v166, v12, s1
; %bb.1568:                             ;   in Loop: Header=BB409_763 Depth=1
	s_or_b32 exec_lo, exec_lo, s13
	v_lshlrev_b32_e32 v7, 16, v7
                                        ; implicit-def: $vgpr166
	s_delay_alu instid0(VALU_DEP_1) | instskip(NEXT) | instid1(VALU_DEP_1)
	v_mul_f32_e32 v7, v80, v7
	v_and_b32_e32 v12, 0x7f800000, v7
	s_delay_alu instid0(VALU_DEP_1) | instskip(NEXT) | instid1(VALU_DEP_1)
	v_cmp_ne_u32_e64 s1, 0x7f800000, v12
	s_and_saveexec_b32 s13, s1
	s_delay_alu instid0(SALU_CYCLE_1)
	s_xor_b32 s1, exec_lo, s13
; %bb.1569:                             ;   in Loop: Header=BB409_763 Depth=1
	v_bfe_u32 v12, v7, 16, 1
	s_delay_alu instid0(VALU_DEP_1)
	v_add3_u32 v166, v7, v12, 0x7fff
                                        ; implicit-def: $vgpr7
; %bb.1570:                             ;   in Loop: Header=BB409_763 Depth=1
	s_and_not1_saveexec_b32 s13, s1
; %bb.1571:                             ;   in Loop: Header=BB409_763 Depth=1
	v_and_b32_e32 v12, 0xffff, v7
	v_or_b32_e32 v166, 0x10000, v7
	s_delay_alu instid0(VALU_DEP_2) | instskip(NEXT) | instid1(VALU_DEP_1)
	v_cmp_eq_u32_e64 s1, 0, v12
	v_cndmask_b32_e64 v166, v166, v7, s1
; %bb.1572:                             ;   in Loop: Header=BB409_763 Depth=1
	s_or_b32 exec_lo, exec_lo, s13
	v_lshlrev_b32_e32 v6, 16, v6
                                        ; implicit-def: $vgpr167
	s_delay_alu instid0(VALU_DEP_1) | instskip(NEXT) | instid1(VALU_DEP_1)
	v_mul_f32_e32 v6, v81, v6
	v_and_b32_e32 v7, 0x7f800000, v6
	s_delay_alu instid0(VALU_DEP_1) | instskip(NEXT) | instid1(VALU_DEP_1)
	v_cmp_ne_u32_e64 s1, 0x7f800000, v7
	s_and_saveexec_b32 s13, s1
	s_delay_alu instid0(SALU_CYCLE_1)
	s_xor_b32 s1, exec_lo, s13
; %bb.1573:                             ;   in Loop: Header=BB409_763 Depth=1
	v_bfe_u32 v7, v6, 16, 1
	s_delay_alu instid0(VALU_DEP_1)
	v_add3_u32 v167, v6, v7, 0x7fff
                                        ; implicit-def: $vgpr6
; %bb.1574:                             ;   in Loop: Header=BB409_763 Depth=1
	s_and_not1_saveexec_b32 s13, s1
; %bb.1575:                             ;   in Loop: Header=BB409_763 Depth=1
	v_and_b32_e32 v7, 0xffff, v6
	v_or_b32_e32 v12, 0x10000, v6
	s_delay_alu instid0(VALU_DEP_2) | instskip(NEXT) | instid1(VALU_DEP_1)
	v_cmp_eq_u32_e64 s1, 0, v7
	v_cndmask_b32_e64 v167, v12, v6, s1
; %bb.1576:                             ;   in Loop: Header=BB409_763 Depth=1
	s_or_b32 exec_lo, exec_lo, s13
	flat_load_b64 v[2:3], v[2:3] offset:1536
	flat_load_b32 v176, v[26:27]
	s_mov_b32 s13, exec_lo
	s_waitcnt vmcnt(1) lgkmcnt(1)
	v_dual_mov_b32 v6, 0 :: v_dual_and_b32 v7, 0xff, v2
	s_delay_alu instid0(VALU_DEP_1)
	v_cmpx_ne_u16_e32 0, v7
	s_cbranch_execz .LBB409_1584
; %bb.1577:                             ;   in Loop: Header=BB409_763 Depth=1
	v_bfrev_b32_e32 v6, 1
	s_mov_b32 s15, exec_lo
	v_cmpx_ne_u16_e32 0x80, v7
	s_cbranch_execz .LBB409_1583
; %bb.1578:                             ;   in Loop: Header=BB409_763 Depth=1
	v_and_b32_e32 v7, 0x7f, v2
	v_mov_b32_e32 v6, 0x7f800001
	s_mov_b32 s16, exec_lo
	s_delay_alu instid0(VALU_DEP_2)
	v_cmpx_ne_u32_e32 0x7f, v7
	s_cbranch_execz .LBB409_1582
; %bb.1579:                             ;   in Loop: Header=BB409_763 Depth=1
	v_lshrrev_b32_e32 v12, 3, v7
	v_cmp_gt_u32_e64 s1, 8, v7
	v_dual_mov_b32 v7, v3 :: v_dual_mov_b32 v6, v2
	s_delay_alu instid0(VALU_DEP_2)
	s_and_saveexec_b32 s17, s1
; %bb.1580:                             ;   in Loop: Header=BB409_763 Depth=1
	v_and_b32_e32 v6, 7, v2
	s_delay_alu instid0(VALU_DEP_1) | instskip(NEXT) | instid1(VALU_DEP_1)
	v_clz_i32_u32_e32 v6, v6
	v_min_u32_e32 v12, 32, v6
	s_delay_alu instid0(VALU_DEP_1) | instskip(SKIP_1) | instid1(VALU_DEP_2)
	v_subrev_nc_u32_e32 v6, 28, v12
	v_sub_nc_u32_e32 v12, 29, v12
	v_lshlrev_b64 v[6:7], v6, v[2:3]
; %bb.1581:                             ;   in Loop: Header=BB409_763 Depth=1
	s_or_b32 exec_lo, exec_lo, s17
	s_delay_alu instid0(VALU_DEP_1) | instskip(SKIP_2) | instid1(VALU_DEP_3)
	v_lshlrev_b32_e32 v6, 20, v6
	v_lshlrev_b32_e32 v7, 24, v2
	v_lshl_add_u32 v12, v12, 23, 0x3c000000
	v_and_b32_e32 v6, 0x700000, v6
	s_delay_alu instid0(VALU_DEP_3) | instskip(NEXT) | instid1(VALU_DEP_1)
	v_and_b32_e32 v7, 0x80000000, v7
	v_or3_b32 v6, v6, v7, v12
.LBB409_1582:                           ;   in Loop: Header=BB409_763 Depth=1
	s_or_b32 exec_lo, exec_lo, s16
.LBB409_1583:                           ;   in Loop: Header=BB409_763 Depth=1
	s_delay_alu instid0(SALU_CYCLE_1)
	s_or_b32 exec_lo, exec_lo, s15
.LBB409_1584:                           ;   in Loop: Header=BB409_763 Depth=1
	s_delay_alu instid0(SALU_CYCLE_1) | instskip(SKIP_2) | instid1(VALU_DEP_1)
	s_or_b32 exec_lo, exec_lo, s13
	s_waitcnt vmcnt(0) lgkmcnt(0)
	v_mul_f32_e32 v6, v176, v6
                                        ; implicit-def: $vgpr177
	v_and_b32_e32 v7, 0x7f800000, v6
	s_delay_alu instid0(VALU_DEP_1) | instskip(NEXT) | instid1(VALU_DEP_1)
	v_cmp_ne_u32_e64 s1, 0x7f800000, v7
	s_and_saveexec_b32 s13, s1
	s_delay_alu instid0(SALU_CYCLE_1)
	s_xor_b32 s1, exec_lo, s13
; %bb.1585:                             ;   in Loop: Header=BB409_763 Depth=1
	v_bfe_u32 v7, v6, 16, 1
	s_delay_alu instid0(VALU_DEP_1)
	v_add3_u32 v177, v6, v7, 0x7fff
                                        ; implicit-def: $vgpr6
; %bb.1586:                             ;   in Loop: Header=BB409_763 Depth=1
	s_and_not1_saveexec_b32 s13, s1
; %bb.1587:                             ;   in Loop: Header=BB409_763 Depth=1
	v_and_b32_e32 v7, 0xffff, v6
	v_or_b32_e32 v12, 0x10000, v6
	s_delay_alu instid0(VALU_DEP_2) | instskip(NEXT) | instid1(VALU_DEP_1)
	v_cmp_eq_u32_e64 s1, 0, v7
	v_cndmask_b32_e64 v177, v12, v6, s1
; %bb.1588:                             ;   in Loop: Header=BB409_763 Depth=1
	s_or_b32 exec_lo, exec_lo, s13
	v_lshrrev_b16 v7, 8, v2
	v_mov_b32_e32 v6, 0
	s_mov_b32 s13, exec_lo
	s_delay_alu instid0(VALU_DEP_2)
	v_cmpx_ne_u16_e32 0, v7
	s_cbranch_execz .LBB409_1596
; %bb.1589:                             ;   in Loop: Header=BB409_763 Depth=1
	v_bfrev_b32_e32 v6, 1
	s_mov_b32 s15, exec_lo
	v_cmpx_ne_u16_e32 0x80, v7
	s_cbranch_execz .LBB409_1595
; %bb.1590:                             ;   in Loop: Header=BB409_763 Depth=1
	v_and_b32_e32 v12, 0xffff, v7
	v_mov_b32_e32 v6, 0x7f800001
	s_mov_b32 s16, exec_lo
	s_delay_alu instid0(VALU_DEP_2) | instskip(NEXT) | instid1(VALU_DEP_1)
	v_and_b32_e32 v7, 0x7f, v12
	v_cmpx_ne_u32_e32 0x7f, v7
	s_cbranch_execz .LBB409_1594
; %bb.1591:                             ;   in Loop: Header=BB409_763 Depth=1
	v_and_b32_e32 v12, 7, v12
	v_lshrrev_b32_e32 v6, 3, v7
	s_mov_b32 s17, exec_lo
	v_cmpx_gt_u32_e32 8, v7
; %bb.1592:                             ;   in Loop: Header=BB409_763 Depth=1
	s_delay_alu instid0(VALU_DEP_3) | instskip(NEXT) | instid1(VALU_DEP_1)
	v_clz_i32_u32_e32 v6, v12
	v_min_u32_e32 v6, 32, v6
	s_delay_alu instid0(VALU_DEP_1) | instskip(SKIP_1) | instid1(VALU_DEP_2)
	v_subrev_nc_u32_e32 v7, 28, v6
	v_sub_nc_u32_e32 v6, 29, v6
	v_lshlrev_b64 v[178:179], v7, v[12:13]
	s_delay_alu instid0(VALU_DEP_1)
	v_and_b32_e32 v12, 7, v178
; %bb.1593:                             ;   in Loop: Header=BB409_763 Depth=1
	s_or_b32 exec_lo, exec_lo, s17
	v_lshlrev_b32_e32 v7, 16, v2
	s_delay_alu instid0(VALU_DEP_2) | instskip(SKIP_1) | instid1(VALU_DEP_3)
	v_lshlrev_b32_e32 v12, 20, v12
	v_lshl_add_u32 v6, v6, 23, 0x3c000000
	v_and_b32_e32 v7, 0x80000000, v7
	s_delay_alu instid0(VALU_DEP_1)
	v_or3_b32 v6, v12, v7, v6
.LBB409_1594:                           ;   in Loop: Header=BB409_763 Depth=1
	s_or_b32 exec_lo, exec_lo, s16
.LBB409_1595:                           ;   in Loop: Header=BB409_763 Depth=1
	s_delay_alu instid0(SALU_CYCLE_1)
	s_or_b32 exec_lo, exec_lo, s15
.LBB409_1596:                           ;   in Loop: Header=BB409_763 Depth=1
	s_delay_alu instid0(SALU_CYCLE_1) | instskip(NEXT) | instid1(VALU_DEP_1)
	s_or_b32 exec_lo, exec_lo, s13
	v_mul_f32_e32 v6, v176, v6
                                        ; implicit-def: $vgpr178
	s_delay_alu instid0(VALU_DEP_1) | instskip(NEXT) | instid1(VALU_DEP_1)
	v_and_b32_e32 v7, 0x7f800000, v6
	v_cmp_ne_u32_e64 s1, 0x7f800000, v7
	s_delay_alu instid0(VALU_DEP_1) | instskip(NEXT) | instid1(SALU_CYCLE_1)
	s_and_saveexec_b32 s13, s1
	s_xor_b32 s1, exec_lo, s13
; %bb.1597:                             ;   in Loop: Header=BB409_763 Depth=1
	v_bfe_u32 v7, v6, 16, 1
	s_delay_alu instid0(VALU_DEP_1)
	v_add3_u32 v178, v6, v7, 0x7fff
                                        ; implicit-def: $vgpr6
; %bb.1598:                             ;   in Loop: Header=BB409_763 Depth=1
	s_and_not1_saveexec_b32 s13, s1
; %bb.1599:                             ;   in Loop: Header=BB409_763 Depth=1
	v_and_b32_e32 v7, 0xffff, v6
	v_or_b32_e32 v12, 0x10000, v6
	s_delay_alu instid0(VALU_DEP_2) | instskip(NEXT) | instid1(VALU_DEP_1)
	v_cmp_eq_u32_e64 s1, 0, v7
	v_cndmask_b32_e64 v178, v12, v6, s1
; %bb.1600:                             ;   in Loop: Header=BB409_763 Depth=1
	s_or_b32 exec_lo, exec_lo, s13
	v_lshrrev_b32_e32 v6, 16, v2
	s_mov_b32 s13, exec_lo
	s_delay_alu instid0(VALU_DEP_1) | instskip(NEXT) | instid1(VALU_DEP_1)
	v_dual_mov_b32 v7, 0 :: v_dual_and_b32 v12, 0xff, v6
	v_cmpx_ne_u16_e32 0, v12
	s_cbranch_execz .LBB409_1608
; %bb.1601:                             ;   in Loop: Header=BB409_763 Depth=1
	v_bfrev_b32_e32 v7, 1
	s_mov_b32 s15, exec_lo
	v_cmpx_ne_u16_e32 0x80, v12
	s_cbranch_execz .LBB409_1607
; %bb.1602:                             ;   in Loop: Header=BB409_763 Depth=1
	v_bfe_u32 v179, v2, 16, 7
	v_mov_b32_e32 v7, 0x7f800001
	s_mov_b32 s16, exec_lo
	s_delay_alu instid0(VALU_DEP_2)
	v_cmpx_ne_u32_e32 0x7f, v179
	s_cbranch_execz .LBB409_1606
; %bb.1603:                             ;   in Loop: Header=BB409_763 Depth=1
	v_and_b32_e32 v12, 7, v6
	v_lshrrev_b32_e32 v7, 3, v179
	s_mov_b32 s17, exec_lo
	v_cmpx_gt_u32_e32 8, v179
; %bb.1604:                             ;   in Loop: Header=BB409_763 Depth=1
	s_delay_alu instid0(VALU_DEP_3) | instskip(NEXT) | instid1(VALU_DEP_1)
	v_clz_i32_u32_e32 v7, v12
	v_min_u32_e32 v7, 32, v7
	s_delay_alu instid0(VALU_DEP_1) | instskip(SKIP_1) | instid1(VALU_DEP_2)
	v_subrev_nc_u32_e32 v179, 28, v7
	v_sub_nc_u32_e32 v7, 29, v7
	v_lshlrev_b64 v[179:180], v179, v[12:13]
	s_delay_alu instid0(VALU_DEP_1)
	v_and_b32_e32 v12, 7, v179
; %bb.1605:                             ;   in Loop: Header=BB409_763 Depth=1
	s_or_b32 exec_lo, exec_lo, s17
	v_lshlrev_b32_e32 v6, 24, v6
	s_delay_alu instid0(VALU_DEP_2) | instskip(SKIP_1) | instid1(VALU_DEP_3)
	v_lshlrev_b32_e32 v12, 20, v12
	v_lshl_add_u32 v7, v7, 23, 0x3c000000
	v_and_b32_e32 v6, 0x80000000, v6
	s_delay_alu instid0(VALU_DEP_1)
	v_or3_b32 v7, v12, v6, v7
.LBB409_1606:                           ;   in Loop: Header=BB409_763 Depth=1
	s_or_b32 exec_lo, exec_lo, s16
.LBB409_1607:                           ;   in Loop: Header=BB409_763 Depth=1
	s_delay_alu instid0(SALU_CYCLE_1)
	s_or_b32 exec_lo, exec_lo, s15
.LBB409_1608:                           ;   in Loop: Header=BB409_763 Depth=1
	s_delay_alu instid0(SALU_CYCLE_1) | instskip(NEXT) | instid1(VALU_DEP_1)
	s_or_b32 exec_lo, exec_lo, s13
	v_mul_f32_e32 v6, v176, v7
                                        ; implicit-def: $vgpr179
	s_delay_alu instid0(VALU_DEP_1) | instskip(NEXT) | instid1(VALU_DEP_1)
	v_and_b32_e32 v7, 0x7f800000, v6
	v_cmp_ne_u32_e64 s1, 0x7f800000, v7
	s_delay_alu instid0(VALU_DEP_1) | instskip(NEXT) | instid1(SALU_CYCLE_1)
	s_and_saveexec_b32 s13, s1
	s_xor_b32 s1, exec_lo, s13
; %bb.1609:                             ;   in Loop: Header=BB409_763 Depth=1
	v_bfe_u32 v7, v6, 16, 1
	s_delay_alu instid0(VALU_DEP_1)
	v_add3_u32 v179, v6, v7, 0x7fff
                                        ; implicit-def: $vgpr6
; %bb.1610:                             ;   in Loop: Header=BB409_763 Depth=1
	s_and_not1_saveexec_b32 s13, s1
; %bb.1611:                             ;   in Loop: Header=BB409_763 Depth=1
	v_and_b32_e32 v7, 0xffff, v6
	v_or_b32_e32 v12, 0x10000, v6
	s_delay_alu instid0(VALU_DEP_2) | instskip(NEXT) | instid1(VALU_DEP_1)
	v_cmp_eq_u32_e64 s1, 0, v7
	v_cndmask_b32_e64 v179, v12, v6, s1
; %bb.1612:                             ;   in Loop: Header=BB409_763 Depth=1
	s_or_b32 exec_lo, exec_lo, s13
	v_mov_b32_e32 v7, 0
	s_mov_b32 s13, exec_lo
	v_cmpx_lt_u32_e32 0xffffff, v2
	s_cbranch_execz .LBB409_1620
; %bb.1613:                             ;   in Loop: Header=BB409_763 Depth=1
	v_lshrrev_b32_e32 v6, 24, v2
	v_bfrev_b32_e32 v7, 1
	s_mov_b32 s15, exec_lo
	s_delay_alu instid0(VALU_DEP_2)
	v_cmpx_ne_u32_e32 0x80, v6
	s_cbranch_execz .LBB409_1619
; %bb.1614:                             ;   in Loop: Header=BB409_763 Depth=1
	v_bfe_u32 v180, v2, 24, 7
	v_mov_b32_e32 v7, 0x7f800001
	s_mov_b32 s16, exec_lo
	s_delay_alu instid0(VALU_DEP_2)
	v_cmpx_ne_u32_e32 0x7f, v180
	s_cbranch_execz .LBB409_1618
; %bb.1615:                             ;   in Loop: Header=BB409_763 Depth=1
	v_and_b32_e32 v12, 7, v6
	v_lshrrev_b32_e32 v7, 3, v180
	s_mov_b32 s17, exec_lo
	v_cmpx_gt_u32_e32 8, v180
; %bb.1616:                             ;   in Loop: Header=BB409_763 Depth=1
	s_delay_alu instid0(VALU_DEP_3) | instskip(NEXT) | instid1(VALU_DEP_1)
	v_clz_i32_u32_e32 v7, v12
	v_min_u32_e32 v7, 32, v7
	s_delay_alu instid0(VALU_DEP_1) | instskip(SKIP_1) | instid1(VALU_DEP_2)
	v_subrev_nc_u32_e32 v180, 28, v7
	v_sub_nc_u32_e32 v7, 29, v7
	v_lshlrev_b64 v[180:181], v180, v[12:13]
	s_delay_alu instid0(VALU_DEP_1)
	v_and_b32_e32 v12, 7, v180
; %bb.1617:                             ;   in Loop: Header=BB409_763 Depth=1
	s_or_b32 exec_lo, exec_lo, s17
	v_lshlrev_b32_e32 v6, 24, v6
	s_delay_alu instid0(VALU_DEP_2) | instskip(SKIP_1) | instid1(VALU_DEP_3)
	v_lshlrev_b32_e32 v12, 20, v12
	v_lshl_add_u32 v7, v7, 23, 0x3c000000
	v_and_b32_e32 v6, 0x80000000, v6
	s_delay_alu instid0(VALU_DEP_1)
	v_or3_b32 v7, v12, v6, v7
.LBB409_1618:                           ;   in Loop: Header=BB409_763 Depth=1
	s_or_b32 exec_lo, exec_lo, s16
.LBB409_1619:                           ;   in Loop: Header=BB409_763 Depth=1
	s_delay_alu instid0(SALU_CYCLE_1)
	s_or_b32 exec_lo, exec_lo, s15
.LBB409_1620:                           ;   in Loop: Header=BB409_763 Depth=1
	s_delay_alu instid0(SALU_CYCLE_1) | instskip(NEXT) | instid1(VALU_DEP_1)
	s_or_b32 exec_lo, exec_lo, s13
	v_mul_f32_e32 v6, v176, v7
                                        ; implicit-def: $vgpr180
	s_delay_alu instid0(VALU_DEP_1) | instskip(NEXT) | instid1(VALU_DEP_1)
	v_and_b32_e32 v7, 0x7f800000, v6
	v_cmp_ne_u32_e64 s1, 0x7f800000, v7
	s_delay_alu instid0(VALU_DEP_1) | instskip(NEXT) | instid1(SALU_CYCLE_1)
	s_and_saveexec_b32 s13, s1
	s_xor_b32 s1, exec_lo, s13
; %bb.1621:                             ;   in Loop: Header=BB409_763 Depth=1
	v_bfe_u32 v7, v6, 16, 1
	s_delay_alu instid0(VALU_DEP_1)
	v_add3_u32 v180, v6, v7, 0x7fff
                                        ; implicit-def: $vgpr6
; %bb.1622:                             ;   in Loop: Header=BB409_763 Depth=1
	s_and_not1_saveexec_b32 s13, s1
; %bb.1623:                             ;   in Loop: Header=BB409_763 Depth=1
	v_and_b32_e32 v7, 0xffff, v6
	v_or_b32_e32 v12, 0x10000, v6
	s_delay_alu instid0(VALU_DEP_2) | instskip(NEXT) | instid1(VALU_DEP_1)
	v_cmp_eq_u32_e64 s1, 0, v7
	v_cndmask_b32_e64 v180, v12, v6, s1
; %bb.1624:                             ;   in Loop: Header=BB409_763 Depth=1
	s_or_b32 exec_lo, exec_lo, s13
	v_dual_mov_b32 v12, v3 :: v_dual_and_b32 v7, 0xff, v3
	v_mov_b32_e32 v6, 0
	s_mov_b32 s13, exec_lo
	s_delay_alu instid0(VALU_DEP_2)
	v_cmpx_ne_u16_e32 0, v7
	s_cbranch_execz .LBB409_1632
; %bb.1625:                             ;   in Loop: Header=BB409_763 Depth=1
	v_bfrev_b32_e32 v6, 1
	s_mov_b32 s15, exec_lo
	v_cmpx_ne_u16_e32 0x80, v7
	s_cbranch_execz .LBB409_1631
; %bb.1626:                             ;   in Loop: Header=BB409_763 Depth=1
	v_and_b32_e32 v7, 0x7f, v3
	v_mov_b32_e32 v6, 0x7f800001
	s_mov_b32 s16, exec_lo
	s_delay_alu instid0(VALU_DEP_2)
	v_cmpx_ne_u32_e32 0x7f, v7
	s_cbranch_execz .LBB409_1630
; %bb.1627:                             ;   in Loop: Header=BB409_763 Depth=1
	v_lshrrev_b32_e32 v181, 3, v7
	v_cmp_gt_u32_e64 s1, 8, v7
	v_dual_mov_b32 v6, v12 :: v_dual_mov_b32 v7, v13
	s_delay_alu instid0(VALU_DEP_2)
	s_and_saveexec_b32 s17, s1
; %bb.1628:                             ;   in Loop: Header=BB409_763 Depth=1
	v_and_b32_e32 v6, 7, v3
	s_delay_alu instid0(VALU_DEP_1) | instskip(NEXT) | instid1(VALU_DEP_1)
	v_clz_i32_u32_e32 v6, v6
	v_min_u32_e32 v181, 32, v6
	s_delay_alu instid0(VALU_DEP_1) | instskip(SKIP_1) | instid1(VALU_DEP_2)
	v_subrev_nc_u32_e32 v6, 28, v181
	v_sub_nc_u32_e32 v181, 29, v181
	v_lshlrev_b64 v[6:7], v6, v[12:13]
; %bb.1629:                             ;   in Loop: Header=BB409_763 Depth=1
	s_or_b32 exec_lo, exec_lo, s17
	s_delay_alu instid0(VALU_DEP_1) | instskip(SKIP_2) | instid1(VALU_DEP_3)
	v_lshlrev_b32_e32 v6, 20, v6
	v_lshlrev_b32_e32 v7, 24, v12
	v_lshl_add_u32 v181, v181, 23, 0x3c000000
	v_and_b32_e32 v6, 0x700000, v6
	s_delay_alu instid0(VALU_DEP_3) | instskip(NEXT) | instid1(VALU_DEP_1)
	v_and_b32_e32 v7, 0x80000000, v7
	v_or3_b32 v6, v6, v7, v181
.LBB409_1630:                           ;   in Loop: Header=BB409_763 Depth=1
	s_or_b32 exec_lo, exec_lo, s16
.LBB409_1631:                           ;   in Loop: Header=BB409_763 Depth=1
	s_delay_alu instid0(SALU_CYCLE_1)
	s_or_b32 exec_lo, exec_lo, s15
.LBB409_1632:                           ;   in Loop: Header=BB409_763 Depth=1
	s_delay_alu instid0(SALU_CYCLE_1) | instskip(NEXT) | instid1(VALU_DEP_1)
	s_or_b32 exec_lo, exec_lo, s13
	v_mul_f32_e32 v6, v176, v6
                                        ; implicit-def: $vgpr181
	s_delay_alu instid0(VALU_DEP_1) | instskip(NEXT) | instid1(VALU_DEP_1)
	v_and_b32_e32 v7, 0x7f800000, v6
	v_cmp_ne_u32_e64 s1, 0x7f800000, v7
	s_delay_alu instid0(VALU_DEP_1) | instskip(NEXT) | instid1(SALU_CYCLE_1)
	s_and_saveexec_b32 s13, s1
	s_xor_b32 s1, exec_lo, s13
; %bb.1633:                             ;   in Loop: Header=BB409_763 Depth=1
	v_bfe_u32 v7, v6, 16, 1
	s_delay_alu instid0(VALU_DEP_1)
	v_add3_u32 v181, v6, v7, 0x7fff
                                        ; implicit-def: $vgpr6
; %bb.1634:                             ;   in Loop: Header=BB409_763 Depth=1
	s_and_not1_saveexec_b32 s13, s1
; %bb.1635:                             ;   in Loop: Header=BB409_763 Depth=1
	v_and_b32_e32 v7, 0xffff, v6
	v_or_b32_e32 v181, 0x10000, v6
	s_delay_alu instid0(VALU_DEP_2) | instskip(NEXT) | instid1(VALU_DEP_1)
	v_cmp_eq_u32_e64 s1, 0, v7
	v_cndmask_b32_e64 v181, v181, v6, s1
; %bb.1636:                             ;   in Loop: Header=BB409_763 Depth=1
	s_or_b32 exec_lo, exec_lo, s13
	v_lshrrev_b16 v7, 8, v12
	v_mov_b32_e32 v6, 0
	s_mov_b32 s13, exec_lo
	s_delay_alu instid0(VALU_DEP_2)
	v_cmpx_ne_u16_e32 0, v7
	s_cbranch_execz .LBB409_1644
; %bb.1637:                             ;   in Loop: Header=BB409_763 Depth=1
	v_bfrev_b32_e32 v6, 1
	s_mov_b32 s15, exec_lo
	v_cmpx_ne_u16_e32 0x80, v7
	s_cbranch_execz .LBB409_1643
; %bb.1638:                             ;   in Loop: Header=BB409_763 Depth=1
	v_and_b32_e32 v7, 0xffff, v7
	v_mov_b32_e32 v6, 0x7f800001
	s_mov_b32 s16, exec_lo
	s_delay_alu instid0(VALU_DEP_2) | instskip(NEXT) | instid1(VALU_DEP_1)
	v_and_b32_e32 v183, 0x7f, v7
	v_cmpx_ne_u32_e32 0x7f, v183
	s_cbranch_execz .LBB409_1642
; %bb.1639:                             ;   in Loop: Header=BB409_763 Depth=1
	v_dual_mov_b32 v7, v13 :: v_dual_and_b32 v6, 7, v7
	v_lshrrev_b32_e32 v182, 3, v183
	s_mov_b32 s17, exec_lo
	v_cmpx_gt_u32_e32 8, v183
; %bb.1640:                             ;   in Loop: Header=BB409_763 Depth=1
	s_delay_alu instid0(VALU_DEP_3) | instskip(NEXT) | instid1(VALU_DEP_1)
	v_clz_i32_u32_e32 v182, v6
	v_min_u32_e32 v182, 32, v182
	s_delay_alu instid0(VALU_DEP_1) | instskip(SKIP_1) | instid1(VALU_DEP_2)
	v_subrev_nc_u32_e32 v183, 28, v182
	v_sub_nc_u32_e32 v182, 29, v182
	v_lshlrev_b64 v[6:7], v183, v[6:7]
	s_delay_alu instid0(VALU_DEP_1)
	v_and_b32_e32 v6, 7, v6
; %bb.1641:                             ;   in Loop: Header=BB409_763 Depth=1
	s_or_b32 exec_lo, exec_lo, s17
	v_lshlrev_b32_e32 v7, 16, v12
	s_delay_alu instid0(VALU_DEP_2) | instskip(SKIP_1) | instid1(VALU_DEP_3)
	v_lshlrev_b32_e32 v6, 20, v6
	v_lshl_add_u32 v12, v182, 23, 0x3c000000
	v_and_b32_e32 v7, 0x80000000, v7
	s_delay_alu instid0(VALU_DEP_1)
	v_or3_b32 v6, v6, v7, v12
.LBB409_1642:                           ;   in Loop: Header=BB409_763 Depth=1
	s_or_b32 exec_lo, exec_lo, s16
.LBB409_1643:                           ;   in Loop: Header=BB409_763 Depth=1
	s_delay_alu instid0(SALU_CYCLE_1)
	s_or_b32 exec_lo, exec_lo, s15
.LBB409_1644:                           ;   in Loop: Header=BB409_763 Depth=1
	s_delay_alu instid0(SALU_CYCLE_1) | instskip(NEXT) | instid1(VALU_DEP_1)
	s_or_b32 exec_lo, exec_lo, s13
	v_mul_f32_e32 v7, v176, v6
	s_delay_alu instid0(VALU_DEP_1) | instskip(NEXT) | instid1(VALU_DEP_1)
	v_and_b32_e32 v6, 0x7f800000, v7
	v_cmp_ne_u32_e64 s1, 0x7f800000, v6
                                        ; implicit-def: $vgpr6
	s_delay_alu instid0(VALU_DEP_1) | instskip(NEXT) | instid1(SALU_CYCLE_1)
	s_and_saveexec_b32 s13, s1
	s_xor_b32 s1, exec_lo, s13
; %bb.1645:                             ;   in Loop: Header=BB409_763 Depth=1
	v_bfe_u32 v6, v7, 16, 1
	s_delay_alu instid0(VALU_DEP_1)
	v_add3_u32 v6, v7, v6, 0x7fff
                                        ; implicit-def: $vgpr7
; %bb.1646:                             ;   in Loop: Header=BB409_763 Depth=1
	s_and_not1_saveexec_b32 s13, s1
; %bb.1647:                             ;   in Loop: Header=BB409_763 Depth=1
	v_and_b32_e32 v6, 0xffff, v7
	v_or_b32_e32 v12, 0x10000, v7
	s_delay_alu instid0(VALU_DEP_2) | instskip(NEXT) | instid1(VALU_DEP_1)
	v_cmp_eq_u32_e64 s1, 0, v6
	v_cndmask_b32_e64 v6, v12, v7, s1
; %bb.1648:                             ;   in Loop: Header=BB409_763 Depth=1
	s_or_b32 exec_lo, exec_lo, s13
	v_lshrrev_b32_e32 v7, 16, v3
	v_mov_b32_e32 v12, 0
	s_mov_b32 s13, exec_lo
	s_delay_alu instid0(VALU_DEP_2) | instskip(NEXT) | instid1(VALU_DEP_1)
	v_and_b32_e32 v182, 0xff, v7
	v_cmpx_ne_u16_e64 0, v182
	s_cbranch_execz .LBB409_1656
; %bb.1649:                             ;   in Loop: Header=BB409_763 Depth=1
	v_bfrev_b32_e32 v12, 1
	s_mov_b32 s15, exec_lo
	v_cmpx_ne_u16_e64 0x80, v182
	s_cbranch_execz .LBB409_1655
; %bb.1650:                             ;   in Loop: Header=BB409_763 Depth=1
	v_bfe_u32 v183, v3, 16, 7
	v_mov_b32_e32 v12, 0x7f800001
	s_mov_b32 s16, exec_lo
	s_delay_alu instid0(VALU_DEP_2)
	v_cmpx_ne_u32_e32 0x7f, v183
	s_cbranch_execz .LBB409_1654
; %bb.1651:                             ;   in Loop: Header=BB409_763 Depth=1
	v_and_b32_e32 v12, 7, v7
	v_lshrrev_b32_e32 v182, 3, v183
	s_mov_b32 s17, exec_lo
	v_cmpx_gt_u32_e32 8, v183
; %bb.1652:                             ;   in Loop: Header=BB409_763 Depth=1
	s_delay_alu instid0(VALU_DEP_3) | instskip(NEXT) | instid1(VALU_DEP_1)
	v_clz_i32_u32_e32 v182, v12
	v_min_u32_e32 v182, 32, v182
	s_delay_alu instid0(VALU_DEP_1) | instskip(SKIP_1) | instid1(VALU_DEP_2)
	v_subrev_nc_u32_e32 v183, 28, v182
	v_sub_nc_u32_e32 v182, 29, v182
	v_lshlrev_b64 v[40:41], v183, v[12:13]
	s_delay_alu instid0(VALU_DEP_1)
	v_and_b32_e32 v12, 7, v40
; %bb.1653:                             ;   in Loop: Header=BB409_763 Depth=1
	s_or_b32 exec_lo, exec_lo, s17
	v_lshlrev_b32_e32 v7, 24, v7
	s_delay_alu instid0(VALU_DEP_2) | instskip(SKIP_1) | instid1(VALU_DEP_3)
	v_lshlrev_b32_e32 v12, 20, v12
	v_lshl_add_u32 v182, v182, 23, 0x3c000000
	v_and_b32_e32 v7, 0x80000000, v7
	s_delay_alu instid0(VALU_DEP_1)
	v_or3_b32 v12, v12, v7, v182
.LBB409_1654:                           ;   in Loop: Header=BB409_763 Depth=1
	s_or_b32 exec_lo, exec_lo, s16
.LBB409_1655:                           ;   in Loop: Header=BB409_763 Depth=1
	s_delay_alu instid0(SALU_CYCLE_1)
	s_or_b32 exec_lo, exec_lo, s15
.LBB409_1656:                           ;   in Loop: Header=BB409_763 Depth=1
	s_delay_alu instid0(SALU_CYCLE_1) | instskip(NEXT) | instid1(VALU_DEP_1)
	s_or_b32 exec_lo, exec_lo, s13
	v_mul_f32_e32 v12, v176, v12
	s_delay_alu instid0(VALU_DEP_1) | instskip(NEXT) | instid1(VALU_DEP_1)
	v_and_b32_e32 v7, 0x7f800000, v12
	v_cmp_ne_u32_e64 s1, 0x7f800000, v7
                                        ; implicit-def: $vgpr7
	s_delay_alu instid0(VALU_DEP_1) | instskip(NEXT) | instid1(SALU_CYCLE_1)
	s_and_saveexec_b32 s13, s1
	s_xor_b32 s1, exec_lo, s13
; %bb.1657:                             ;   in Loop: Header=BB409_763 Depth=1
	v_bfe_u32 v7, v12, 16, 1
	s_delay_alu instid0(VALU_DEP_1)
	v_add3_u32 v7, v12, v7, 0x7fff
                                        ; implicit-def: $vgpr12
; %bb.1658:                             ;   in Loop: Header=BB409_763 Depth=1
	s_and_not1_saveexec_b32 s13, s1
; %bb.1659:                             ;   in Loop: Header=BB409_763 Depth=1
	v_and_b32_e32 v7, 0xffff, v12
	v_or_b32_e32 v182, 0x10000, v12
	s_delay_alu instid0(VALU_DEP_2) | instskip(NEXT) | instid1(VALU_DEP_1)
	v_cmp_eq_u32_e64 s1, 0, v7
	v_cndmask_b32_e64 v7, v182, v12, s1
; %bb.1660:                             ;   in Loop: Header=BB409_763 Depth=1
	s_or_b32 exec_lo, exec_lo, s13
	v_mov_b32_e32 v12, 0
	s_mov_b32 s13, exec_lo
	v_cmpx_lt_u64_e64 s[8:9], v[2:3]
	s_cbranch_execz .LBB409_1668
; %bb.1661:                             ;   in Loop: Header=BB409_763 Depth=1
	v_lshrrev_b32_e32 v2, 24, v3
	v_bfrev_b32_e32 v12, 1
	s_mov_b32 s15, exec_lo
	s_delay_alu instid0(VALU_DEP_2)
	v_cmpx_ne_u32_e32 0x80, v2
	s_cbranch_execz .LBB409_1667
; %bb.1662:                             ;   in Loop: Header=BB409_763 Depth=1
	v_bfe_u32 v182, v3, 24, 7
	v_mov_b32_e32 v12, 0x7f800001
	s_mov_b32 s16, exec_lo
	s_delay_alu instid0(VALU_DEP_2)
	v_cmpx_ne_u32_e32 0x7f, v182
	s_cbranch_execz .LBB409_1666
; %bb.1663:                             ;   in Loop: Header=BB409_763 Depth=1
	v_and_b32_e32 v12, 7, v2
	v_lshrrev_b32_e32 v3, 3, v182
	s_mov_b32 s17, exec_lo
	v_cmpx_gt_u32_e32 8, v182
; %bb.1664:                             ;   in Loop: Header=BB409_763 Depth=1
	s_delay_alu instid0(VALU_DEP_3) | instskip(NEXT) | instid1(VALU_DEP_1)
	v_clz_i32_u32_e32 v3, v12
	v_min_u32_e32 v3, 32, v3
	s_delay_alu instid0(VALU_DEP_1) | instskip(SKIP_1) | instid1(VALU_DEP_2)
	v_subrev_nc_u32_e32 v182, 28, v3
	v_sub_nc_u32_e32 v3, 29, v3
	v_lshlrev_b64 v[182:183], v182, v[12:13]
	s_delay_alu instid0(VALU_DEP_1)
	v_and_b32_e32 v12, 7, v182
; %bb.1665:                             ;   in Loop: Header=BB409_763 Depth=1
	s_or_b32 exec_lo, exec_lo, s17
	v_lshlrev_b32_e32 v2, 24, v2
	s_delay_alu instid0(VALU_DEP_2) | instskip(SKIP_1) | instid1(VALU_DEP_3)
	v_lshlrev_b32_e32 v12, 20, v12
	v_lshl_add_u32 v3, v3, 23, 0x3c000000
	v_and_b32_e32 v2, 0x80000000, v2
	s_delay_alu instid0(VALU_DEP_1)
	v_or3_b32 v12, v12, v2, v3
.LBB409_1666:                           ;   in Loop: Header=BB409_763 Depth=1
	s_or_b32 exec_lo, exec_lo, s16
.LBB409_1667:                           ;   in Loop: Header=BB409_763 Depth=1
	s_delay_alu instid0(SALU_CYCLE_1)
	s_or_b32 exec_lo, exec_lo, s15
.LBB409_1668:                           ;   in Loop: Header=BB409_763 Depth=1
	s_delay_alu instid0(SALU_CYCLE_1) | instskip(NEXT) | instid1(VALU_DEP_1)
	s_or_b32 exec_lo, exec_lo, s13
	v_mul_f32_e32 v3, v176, v12
	s_delay_alu instid0(VALU_DEP_1) | instskip(NEXT) | instid1(VALU_DEP_1)
	v_and_b32_e32 v2, 0x7f800000, v3
	v_cmp_ne_u32_e64 s1, 0x7f800000, v2
                                        ; implicit-def: $vgpr2
	s_delay_alu instid0(VALU_DEP_1) | instskip(NEXT) | instid1(SALU_CYCLE_1)
	s_and_saveexec_b32 s13, s1
	s_xor_b32 s1, exec_lo, s13
; %bb.1669:                             ;   in Loop: Header=BB409_763 Depth=1
	v_bfe_u32 v2, v3, 16, 1
	s_delay_alu instid0(VALU_DEP_1)
	v_add3_u32 v2, v3, v2, 0x7fff
                                        ; implicit-def: $vgpr3
; %bb.1670:                             ;   in Loop: Header=BB409_763 Depth=1
	s_and_not1_saveexec_b32 s13, s1
; %bb.1671:                             ;   in Loop: Header=BB409_763 Depth=1
	v_and_b32_e32 v2, 0xffff, v3
	v_or_b32_e32 v12, 0x10000, v3
	s_delay_alu instid0(VALU_DEP_2) | instskip(NEXT) | instid1(VALU_DEP_1)
	v_cmp_eq_u32_e64 s1, 0, v2
	v_cndmask_b32_e64 v2, v12, v3, s1
; %bb.1672:                             ;   in Loop: Header=BB409_763 Depth=1
	s_or_b32 exec_lo, exec_lo, s13
	v_lshrrev_b32_e32 v12, 16, v6
	v_lshrrev_b32_e32 v181, 16, v181
	;; [unrolled: 1-line block ×8, first 2 shown]
	s_and_saveexec_b32 s13, s0
	s_cbranch_execz .LBB409_1674
; %bb.1673:                             ;   in Loop: Header=BB409_763 Depth=1
	v_add_nc_u32_e32 v7, 1, v55
	v_cmp_lt_i32_e64 s1, v55, v83
	v_add_nc_u32_e32 v177, 2, v55
	v_add_nc_u32_e32 v179, 3, v55
	s_delay_alu instid0(VALU_DEP_3) | instskip(SKIP_2) | instid1(VALU_DEP_2)
	v_cndmask_b32_e64 v6, 0, v6, s1
	v_cmp_lt_i32_e64 s1, v7, v83
	v_add_nc_u32_e32 v7, 4, v55
	v_cndmask_b32_e64 v178, 0, v178, s1
	v_cmp_lt_i32_e64 s1, v177, v83
	v_add_nc_u32_e32 v177, 5, v55
	s_delay_alu instid0(VALU_DEP_2) | instskip(SKIP_2) | instid1(VALU_DEP_2)
	v_cndmask_b32_e64 v176, 0, v176, s1
	v_cmp_lt_i32_e64 s1, v179, v83
	v_add_nc_u32_e32 v179, 6, v55
	v_cndmask_b32_e64 v180, 0, v180, s1
	v_cmp_lt_i32_e64 s1, v7, v83
	v_add_nc_u32_e32 v7, 7, v55
	s_delay_alu instid0(VALU_DEP_2) | instskip(SKIP_1) | instid1(VALU_DEP_1)
	v_cndmask_b32_e64 v181, 0, v181, s1
	v_cmp_lt_i32_e64 s1, v177, v83
	v_cndmask_b32_e64 v12, 0, v12, s1
	v_cmp_lt_i32_e64 s1, v179, v83
	s_delay_alu instid0(VALU_DEP_1) | instskip(SKIP_1) | instid1(VALU_DEP_1)
	v_cndmask_b32_e64 v3, 0, v3, s1
	v_cmp_lt_i32_e64 s1, v7, v83
	v_cndmask_b32_e64 v2, 0, v2, s1
.LBB409_1674:                           ;   in Loop: Header=BB409_763 Depth=1
	s_or_b32 exec_lo, exec_lo, s13
	v_lshlrev_b32_e32 v6, 16, v6
	s_delay_alu instid0(VALU_DEP_1) | instskip(NEXT) | instid1(VALU_DEP_1)
	v_mul_f32_e32 v7, v66, v6
	v_and_b32_e32 v6, 0x7f800000, v7
	s_delay_alu instid0(VALU_DEP_1) | instskip(NEXT) | instid1(VALU_DEP_1)
	v_cmp_ne_u32_e64 s1, 0x7f800000, v6
                                        ; implicit-def: $vgpr6
	s_and_saveexec_b32 s13, s1
	s_delay_alu instid0(SALU_CYCLE_1)
	s_xor_b32 s1, exec_lo, s13
; %bb.1675:                             ;   in Loop: Header=BB409_763 Depth=1
	v_bfe_u32 v6, v7, 16, 1
	s_delay_alu instid0(VALU_DEP_1)
	v_add3_u32 v6, v7, v6, 0x7fff
                                        ; implicit-def: $vgpr7
; %bb.1676:                             ;   in Loop: Header=BB409_763 Depth=1
	s_and_not1_saveexec_b32 s13, s1
; %bb.1677:                             ;   in Loop: Header=BB409_763 Depth=1
	v_and_b32_e32 v6, 0xffff, v7
	v_or_b32_e32 v177, 0x10000, v7
	s_delay_alu instid0(VALU_DEP_2) | instskip(NEXT) | instid1(VALU_DEP_1)
	v_cmp_eq_u32_e64 s1, 0, v6
	v_cndmask_b32_e64 v6, v177, v7, s1
; %bb.1678:                             ;   in Loop: Header=BB409_763 Depth=1
	s_or_b32 exec_lo, exec_lo, s13
	v_lshlrev_b32_e32 v7, 16, v178
	s_delay_alu instid0(VALU_DEP_1) | instskip(NEXT) | instid1(VALU_DEP_1)
	v_mul_f32_e32 v177, v67, v7
	v_and_b32_e32 v7, 0x7f800000, v177
	s_delay_alu instid0(VALU_DEP_1) | instskip(NEXT) | instid1(VALU_DEP_1)
	v_cmp_ne_u32_e64 s1, 0x7f800000, v7
                                        ; implicit-def: $vgpr7
	s_and_saveexec_b32 s13, s1
	s_delay_alu instid0(SALU_CYCLE_1)
	s_xor_b32 s1, exec_lo, s13
; %bb.1679:                             ;   in Loop: Header=BB409_763 Depth=1
	v_bfe_u32 v7, v177, 16, 1
	s_delay_alu instid0(VALU_DEP_1)
	v_add3_u32 v7, v177, v7, 0x7fff
                                        ; implicit-def: $vgpr177
; %bb.1680:                             ;   in Loop: Header=BB409_763 Depth=1
	s_and_not1_saveexec_b32 s13, s1
; %bb.1681:                             ;   in Loop: Header=BB409_763 Depth=1
	v_and_b32_e32 v7, 0xffff, v177
	v_or_b32_e32 v178, 0x10000, v177
	s_delay_alu instid0(VALU_DEP_2) | instskip(NEXT) | instid1(VALU_DEP_1)
	v_cmp_eq_u32_e64 s1, 0, v7
	v_cndmask_b32_e64 v7, v178, v177, s1
; %bb.1682:                             ;   in Loop: Header=BB409_763 Depth=1
	s_or_b32 exec_lo, exec_lo, s13
	v_lshlrev_b32_e32 v176, 16, v176
	s_delay_alu instid0(VALU_DEP_1) | instskip(NEXT) | instid1(VALU_DEP_1)
	v_mul_f32_e32 v177, v68, v176
	v_and_b32_e32 v176, 0x7f800000, v177
	s_delay_alu instid0(VALU_DEP_1) | instskip(NEXT) | instid1(VALU_DEP_1)
	v_cmp_ne_u32_e64 s1, 0x7f800000, v176
                                        ; implicit-def: $vgpr176
	s_and_saveexec_b32 s13, s1
	s_delay_alu instid0(SALU_CYCLE_1)
	s_xor_b32 s1, exec_lo, s13
; %bb.1683:                             ;   in Loop: Header=BB409_763 Depth=1
	v_bfe_u32 v176, v177, 16, 1
	s_delay_alu instid0(VALU_DEP_1)
	v_add3_u32 v176, v177, v176, 0x7fff
                                        ; implicit-def: $vgpr177
; %bb.1684:                             ;   in Loop: Header=BB409_763 Depth=1
	s_and_not1_saveexec_b32 s13, s1
; %bb.1685:                             ;   in Loop: Header=BB409_763 Depth=1
	v_and_b32_e32 v176, 0xffff, v177
	v_or_b32_e32 v178, 0x10000, v177
	s_delay_alu instid0(VALU_DEP_2) | instskip(NEXT) | instid1(VALU_DEP_1)
	v_cmp_eq_u32_e64 s1, 0, v176
	v_cndmask_b32_e64 v176, v178, v177, s1
; %bb.1686:                             ;   in Loop: Header=BB409_763 Depth=1
	s_or_b32 exec_lo, exec_lo, s13
	v_lshlrev_b32_e32 v177, 16, v180
	s_delay_alu instid0(VALU_DEP_1) | instskip(NEXT) | instid1(VALU_DEP_1)
	v_mul_f32_e32 v178, v69, v177
	v_and_b32_e32 v177, 0x7f800000, v178
	s_delay_alu instid0(VALU_DEP_1) | instskip(NEXT) | instid1(VALU_DEP_1)
	v_cmp_ne_u32_e64 s1, 0x7f800000, v177
                                        ; implicit-def: $vgpr177
	s_and_saveexec_b32 s13, s1
	s_delay_alu instid0(SALU_CYCLE_1)
	s_xor_b32 s1, exec_lo, s13
; %bb.1687:                             ;   in Loop: Header=BB409_763 Depth=1
	v_bfe_u32 v177, v178, 16, 1
	s_delay_alu instid0(VALU_DEP_1)
	v_add3_u32 v177, v178, v177, 0x7fff
                                        ; implicit-def: $vgpr178
; %bb.1688:                             ;   in Loop: Header=BB409_763 Depth=1
	s_and_not1_saveexec_b32 s13, s1
; %bb.1689:                             ;   in Loop: Header=BB409_763 Depth=1
	v_and_b32_e32 v177, 0xffff, v178
	v_or_b32_e32 v179, 0x10000, v178
	s_delay_alu instid0(VALU_DEP_2) | instskip(NEXT) | instid1(VALU_DEP_1)
	v_cmp_eq_u32_e64 s1, 0, v177
	v_cndmask_b32_e64 v177, v179, v178, s1
; %bb.1690:                             ;   in Loop: Header=BB409_763 Depth=1
	s_or_b32 exec_lo, exec_lo, s13
	v_lshlrev_b32_e32 v178, 16, v181
	s_delay_alu instid0(VALU_DEP_1) | instskip(NEXT) | instid1(VALU_DEP_1)
	v_mul_f32_e32 v179, v70, v178
	v_and_b32_e32 v178, 0x7f800000, v179
	s_delay_alu instid0(VALU_DEP_1) | instskip(NEXT) | instid1(VALU_DEP_1)
	v_cmp_ne_u32_e64 s1, 0x7f800000, v178
                                        ; implicit-def: $vgpr178
	s_and_saveexec_b32 s13, s1
	s_delay_alu instid0(SALU_CYCLE_1)
	s_xor_b32 s1, exec_lo, s13
; %bb.1691:                             ;   in Loop: Header=BB409_763 Depth=1
	v_bfe_u32 v178, v179, 16, 1
	s_delay_alu instid0(VALU_DEP_1)
	v_add3_u32 v178, v179, v178, 0x7fff
                                        ; implicit-def: $vgpr179
; %bb.1692:                             ;   in Loop: Header=BB409_763 Depth=1
	s_and_not1_saveexec_b32 s13, s1
; %bb.1693:                             ;   in Loop: Header=BB409_763 Depth=1
	v_and_b32_e32 v178, 0xffff, v179
	v_or_b32_e32 v180, 0x10000, v179
	s_delay_alu instid0(VALU_DEP_2) | instskip(NEXT) | instid1(VALU_DEP_1)
	v_cmp_eq_u32_e64 s1, 0, v178
	v_cndmask_b32_e64 v178, v180, v179, s1
; %bb.1694:                             ;   in Loop: Header=BB409_763 Depth=1
	s_or_b32 exec_lo, exec_lo, s13
	v_lshlrev_b32_e32 v12, 16, v12
	s_delay_alu instid0(VALU_DEP_1) | instskip(NEXT) | instid1(VALU_DEP_1)
	v_mul_f32_e32 v12, v71, v12
	v_and_b32_e32 v179, 0x7f800000, v12
	s_delay_alu instid0(VALU_DEP_1) | instskip(NEXT) | instid1(VALU_DEP_1)
	v_cmp_ne_u32_e64 s1, 0x7f800000, v179
                                        ; implicit-def: $vgpr179
	s_and_saveexec_b32 s13, s1
	s_delay_alu instid0(SALU_CYCLE_1)
	s_xor_b32 s1, exec_lo, s13
; %bb.1695:                             ;   in Loop: Header=BB409_763 Depth=1
	v_bfe_u32 v179, v12, 16, 1
	s_delay_alu instid0(VALU_DEP_1)
	v_add3_u32 v179, v12, v179, 0x7fff
                                        ; implicit-def: $vgpr12
; %bb.1696:                             ;   in Loop: Header=BB409_763 Depth=1
	s_and_not1_saveexec_b32 s13, s1
; %bb.1697:                             ;   in Loop: Header=BB409_763 Depth=1
	v_and_b32_e32 v179, 0xffff, v12
	v_or_b32_e32 v180, 0x10000, v12
	s_delay_alu instid0(VALU_DEP_2) | instskip(NEXT) | instid1(VALU_DEP_1)
	v_cmp_eq_u32_e64 s1, 0, v179
	v_cndmask_b32_e64 v179, v180, v12, s1
; %bb.1698:                             ;   in Loop: Header=BB409_763 Depth=1
	s_or_b32 exec_lo, exec_lo, s13
	v_lshlrev_b32_e32 v3, 16, v3
                                        ; implicit-def: $vgpr180
	s_delay_alu instid0(VALU_DEP_1) | instskip(NEXT) | instid1(VALU_DEP_1)
	v_mul_f32_e32 v3, v80, v3
	v_and_b32_e32 v12, 0x7f800000, v3
	s_delay_alu instid0(VALU_DEP_1) | instskip(NEXT) | instid1(VALU_DEP_1)
	v_cmp_ne_u32_e64 s1, 0x7f800000, v12
	s_and_saveexec_b32 s13, s1
	s_delay_alu instid0(SALU_CYCLE_1)
	s_xor_b32 s1, exec_lo, s13
; %bb.1699:                             ;   in Loop: Header=BB409_763 Depth=1
	v_bfe_u32 v12, v3, 16, 1
	s_delay_alu instid0(VALU_DEP_1)
	v_add3_u32 v180, v3, v12, 0x7fff
                                        ; implicit-def: $vgpr3
; %bb.1700:                             ;   in Loop: Header=BB409_763 Depth=1
	s_and_not1_saveexec_b32 s13, s1
; %bb.1701:                             ;   in Loop: Header=BB409_763 Depth=1
	v_and_b32_e32 v12, 0xffff, v3
	v_or_b32_e32 v180, 0x10000, v3
	s_delay_alu instid0(VALU_DEP_2) | instskip(NEXT) | instid1(VALU_DEP_1)
	v_cmp_eq_u32_e64 s1, 0, v12
	v_cndmask_b32_e64 v180, v180, v3, s1
; %bb.1702:                             ;   in Loop: Header=BB409_763 Depth=1
	s_or_b32 exec_lo, exec_lo, s13
	v_lshlrev_b32_e32 v2, 16, v2
                                        ; implicit-def: $vgpr181
	s_delay_alu instid0(VALU_DEP_1) | instskip(NEXT) | instid1(VALU_DEP_1)
	v_mul_f32_e32 v2, v81, v2
	v_and_b32_e32 v3, 0x7f800000, v2
	s_delay_alu instid0(VALU_DEP_1) | instskip(NEXT) | instid1(VALU_DEP_1)
	v_cmp_ne_u32_e64 s1, 0x7f800000, v3
	s_and_saveexec_b32 s13, s1
	s_delay_alu instid0(SALU_CYCLE_1)
	s_xor_b32 s1, exec_lo, s13
	s_cbranch_execnz .LBB409_1705
; %bb.1703:                             ;   in Loop: Header=BB409_763 Depth=1
	s_and_not1_saveexec_b32 s13, s1
	s_cbranch_execnz .LBB409_1706
.LBB409_1704:                           ;   in Loop: Header=BB409_763 Depth=1
	s_or_b32 exec_lo, exec_lo, s13
	s_and_saveexec_b32 s13, vcc_lo
	s_cbranch_execz .LBB409_761
	s_branch .LBB409_1707
.LBB409_1705:                           ;   in Loop: Header=BB409_763 Depth=1
	v_bfe_u32 v3, v2, 16, 1
	s_delay_alu instid0(VALU_DEP_1)
	v_add3_u32 v181, v2, v3, 0x7fff
                                        ; implicit-def: $vgpr2
	s_and_not1_saveexec_b32 s13, s1
	s_cbranch_execz .LBB409_1704
.LBB409_1706:                           ;   in Loop: Header=BB409_763 Depth=1
	v_and_b32_e32 v3, 0xffff, v2
	v_or_b32_e32 v12, 0x10000, v2
	s_delay_alu instid0(VALU_DEP_2) | instskip(NEXT) | instid1(VALU_DEP_1)
	v_cmp_eq_u32_e64 s1, 0, v3
	v_cndmask_b32_e64 v181, v12, v2, s1
	s_or_b32 exec_lo, exec_lo, s13
	s_and_saveexec_b32 s13, vcc_lo
	s_cbranch_execz .LBB409_761
.LBB409_1707:                           ;   in Loop: Header=BB409_763 Depth=1
	v_add_co_u32 v0, s1, v0, v36
	s_delay_alu instid0(VALU_DEP_1)
	v_add_co_ci_u32_e64 v1, s1, 0, v1, s1
	s_mov_b32 s15, exec_lo
	flat_load_b64 v[0:1], v[0:1]
	flat_load_b32 v182, v[26:27]
	s_waitcnt vmcnt(1) lgkmcnt(1)
	v_dual_mov_b32 v2, 0 :: v_dual_and_b32 v3, 0xff, v0
	s_delay_alu instid0(VALU_DEP_1)
	v_cmpx_ne_u16_e32 0, v3
	s_cbranch_execz .LBB409_1715
; %bb.1708:                             ;   in Loop: Header=BB409_763 Depth=1
	v_bfrev_b32_e32 v2, 1
	s_mov_b32 s16, exec_lo
	v_cmpx_ne_u16_e32 0x80, v3
	s_cbranch_execz .LBB409_1714
; %bb.1709:                             ;   in Loop: Header=BB409_763 Depth=1
	v_and_b32_e32 v3, 0x7f, v0
	v_mov_b32_e32 v2, 0x7f800001
	s_mov_b32 s17, exec_lo
	s_delay_alu instid0(VALU_DEP_2)
	v_cmpx_ne_u32_e32 0x7f, v3
	s_cbranch_execz .LBB409_1713
; %bb.1710:                             ;   in Loop: Header=BB409_763 Depth=1
	v_lshrrev_b32_e32 v12, 3, v3
	v_cmp_gt_u32_e64 s1, 8, v3
	v_dual_mov_b32 v3, v1 :: v_dual_mov_b32 v2, v0
	s_delay_alu instid0(VALU_DEP_2)
	s_and_saveexec_b32 s18, s1
; %bb.1711:                             ;   in Loop: Header=BB409_763 Depth=1
	v_and_b32_e32 v2, 7, v0
	s_delay_alu instid0(VALU_DEP_1) | instskip(NEXT) | instid1(VALU_DEP_1)
	v_clz_i32_u32_e32 v2, v2
	v_min_u32_e32 v12, 32, v2
	s_delay_alu instid0(VALU_DEP_1) | instskip(SKIP_1) | instid1(VALU_DEP_2)
	v_subrev_nc_u32_e32 v2, 28, v12
	v_sub_nc_u32_e32 v12, 29, v12
	v_lshlrev_b64 v[2:3], v2, v[0:1]
; %bb.1712:                             ;   in Loop: Header=BB409_763 Depth=1
	s_or_b32 exec_lo, exec_lo, s18
	s_delay_alu instid0(VALU_DEP_1) | instskip(SKIP_2) | instid1(VALU_DEP_3)
	v_lshlrev_b32_e32 v2, 20, v2
	v_lshlrev_b32_e32 v3, 24, v0
	v_lshl_add_u32 v12, v12, 23, 0x3c000000
	v_and_b32_e32 v2, 0x700000, v2
	s_delay_alu instid0(VALU_DEP_3) | instskip(NEXT) | instid1(VALU_DEP_1)
	v_and_b32_e32 v3, 0x80000000, v3
	v_or3_b32 v2, v2, v3, v12
.LBB409_1713:                           ;   in Loop: Header=BB409_763 Depth=1
	s_or_b32 exec_lo, exec_lo, s17
.LBB409_1714:                           ;   in Loop: Header=BB409_763 Depth=1
	s_delay_alu instid0(SALU_CYCLE_1)
	s_or_b32 exec_lo, exec_lo, s16
.LBB409_1715:                           ;   in Loop: Header=BB409_763 Depth=1
	s_delay_alu instid0(SALU_CYCLE_1) | instskip(SKIP_2) | instid1(VALU_DEP_1)
	s_or_b32 exec_lo, exec_lo, s15
	s_waitcnt vmcnt(0) lgkmcnt(0)
	v_mul_f32_e32 v2, v182, v2
                                        ; implicit-def: $vgpr183
	v_and_b32_e32 v3, 0x7f800000, v2
	s_delay_alu instid0(VALU_DEP_1) | instskip(NEXT) | instid1(VALU_DEP_1)
	v_cmp_ne_u32_e64 s1, 0x7f800000, v3
	s_and_saveexec_b32 s15, s1
	s_delay_alu instid0(SALU_CYCLE_1)
	s_xor_b32 s1, exec_lo, s15
; %bb.1716:                             ;   in Loop: Header=BB409_763 Depth=1
	v_bfe_u32 v3, v2, 16, 1
	s_delay_alu instid0(VALU_DEP_1)
	v_add3_u32 v183, v2, v3, 0x7fff
                                        ; implicit-def: $vgpr2
; %bb.1717:                             ;   in Loop: Header=BB409_763 Depth=1
	s_and_not1_saveexec_b32 s15, s1
; %bb.1718:                             ;   in Loop: Header=BB409_763 Depth=1
	v_and_b32_e32 v3, 0xffff, v2
	v_or_b32_e32 v12, 0x10000, v2
	s_delay_alu instid0(VALU_DEP_2) | instskip(NEXT) | instid1(VALU_DEP_1)
	v_cmp_eq_u32_e64 s1, 0, v3
	v_cndmask_b32_e64 v183, v12, v2, s1
; %bb.1719:                             ;   in Loop: Header=BB409_763 Depth=1
	s_or_b32 exec_lo, exec_lo, s15
	v_lshrrev_b16 v3, 8, v0
	v_mov_b32_e32 v2, 0
	s_mov_b32 s15, exec_lo
	s_delay_alu instid0(VALU_DEP_2)
	v_cmpx_ne_u16_e32 0, v3
	s_cbranch_execz .LBB409_1727
; %bb.1720:                             ;   in Loop: Header=BB409_763 Depth=1
	v_bfrev_b32_e32 v2, 1
	s_mov_b32 s16, exec_lo
	v_cmpx_ne_u16_e32 0x80, v3
	s_cbranch_execz .LBB409_1726
; %bb.1721:                             ;   in Loop: Header=BB409_763 Depth=1
	v_and_b32_e32 v12, 0xffff, v3
	v_mov_b32_e32 v2, 0x7f800001
	s_mov_b32 s17, exec_lo
	s_delay_alu instid0(VALU_DEP_2) | instskip(NEXT) | instid1(VALU_DEP_1)
	v_and_b32_e32 v3, 0x7f, v12
	v_cmpx_ne_u32_e32 0x7f, v3
	s_cbranch_execz .LBB409_1725
; %bb.1722:                             ;   in Loop: Header=BB409_763 Depth=1
	v_and_b32_e32 v12, 7, v12
	v_lshrrev_b32_e32 v2, 3, v3
	s_mov_b32 s18, exec_lo
	v_cmpx_gt_u32_e32 8, v3
; %bb.1723:                             ;   in Loop: Header=BB409_763 Depth=1
	s_delay_alu instid0(VALU_DEP_3) | instskip(NEXT) | instid1(VALU_DEP_1)
	v_clz_i32_u32_e32 v2, v12
	v_min_u32_e32 v2, 32, v2
	s_delay_alu instid0(VALU_DEP_1) | instskip(SKIP_1) | instid1(VALU_DEP_2)
	v_subrev_nc_u32_e32 v3, 28, v2
	v_sub_nc_u32_e32 v2, 29, v2
	v_lshlrev_b64 v[40:41], v3, v[12:13]
	s_delay_alu instid0(VALU_DEP_1)
	v_and_b32_e32 v12, 7, v40
; %bb.1724:                             ;   in Loop: Header=BB409_763 Depth=1
	s_or_b32 exec_lo, exec_lo, s18
	v_lshlrev_b32_e32 v3, 16, v0
	s_delay_alu instid0(VALU_DEP_2) | instskip(SKIP_1) | instid1(VALU_DEP_3)
	v_lshlrev_b32_e32 v12, 20, v12
	v_lshl_add_u32 v2, v2, 23, 0x3c000000
	v_and_b32_e32 v3, 0x80000000, v3
	s_delay_alu instid0(VALU_DEP_1)
	v_or3_b32 v2, v12, v3, v2
.LBB409_1725:                           ;   in Loop: Header=BB409_763 Depth=1
	s_or_b32 exec_lo, exec_lo, s17
.LBB409_1726:                           ;   in Loop: Header=BB409_763 Depth=1
	s_delay_alu instid0(SALU_CYCLE_1)
	s_or_b32 exec_lo, exec_lo, s16
.LBB409_1727:                           ;   in Loop: Header=BB409_763 Depth=1
	s_delay_alu instid0(SALU_CYCLE_1) | instskip(NEXT) | instid1(VALU_DEP_1)
	s_or_b32 exec_lo, exec_lo, s15
	v_mul_f32_e32 v2, v182, v2
                                        ; implicit-def: $vgpr40
	s_delay_alu instid0(VALU_DEP_1) | instskip(NEXT) | instid1(VALU_DEP_1)
	v_and_b32_e32 v3, 0x7f800000, v2
	v_cmp_ne_u32_e64 s1, 0x7f800000, v3
	s_delay_alu instid0(VALU_DEP_1) | instskip(NEXT) | instid1(SALU_CYCLE_1)
	s_and_saveexec_b32 s15, s1
	s_xor_b32 s1, exec_lo, s15
; %bb.1728:                             ;   in Loop: Header=BB409_763 Depth=1
	v_bfe_u32 v3, v2, 16, 1
	s_delay_alu instid0(VALU_DEP_1)
	v_add3_u32 v40, v2, v3, 0x7fff
                                        ; implicit-def: $vgpr2
; %bb.1729:                             ;   in Loop: Header=BB409_763 Depth=1
	s_and_not1_saveexec_b32 s15, s1
; %bb.1730:                             ;   in Loop: Header=BB409_763 Depth=1
	v_and_b32_e32 v3, 0xffff, v2
	v_or_b32_e32 v12, 0x10000, v2
	s_delay_alu instid0(VALU_DEP_2) | instskip(NEXT) | instid1(VALU_DEP_1)
	v_cmp_eq_u32_e64 s1, 0, v3
	v_cndmask_b32_e64 v40, v12, v2, s1
; %bb.1731:                             ;   in Loop: Header=BB409_763 Depth=1
	s_or_b32 exec_lo, exec_lo, s15
	v_lshrrev_b32_e32 v2, 16, v0
	s_mov_b32 s15, exec_lo
	s_delay_alu instid0(VALU_DEP_1) | instskip(NEXT) | instid1(VALU_DEP_1)
	v_dual_mov_b32 v3, 0 :: v_dual_and_b32 v12, 0xff, v2
	v_cmpx_ne_u16_e32 0, v12
	s_cbranch_execz .LBB409_1739
; %bb.1732:                             ;   in Loop: Header=BB409_763 Depth=1
	v_bfrev_b32_e32 v3, 1
	s_mov_b32 s16, exec_lo
	v_cmpx_ne_u16_e32 0x80, v12
	s_cbranch_execz .LBB409_1738
; %bb.1733:                             ;   in Loop: Header=BB409_763 Depth=1
	v_bfe_u32 v41, v0, 16, 7
	v_mov_b32_e32 v3, 0x7f800001
	s_mov_b32 s17, exec_lo
	s_delay_alu instid0(VALU_DEP_2)
	v_cmpx_ne_u32_e32 0x7f, v41
	s_cbranch_execz .LBB409_1737
; %bb.1734:                             ;   in Loop: Header=BB409_763 Depth=1
	v_and_b32_e32 v12, 7, v2
	v_lshrrev_b32_e32 v3, 3, v41
	s_mov_b32 s18, exec_lo
	v_cmpx_gt_u32_e32 8, v41
; %bb.1735:                             ;   in Loop: Header=BB409_763 Depth=1
	s_delay_alu instid0(VALU_DEP_3) | instskip(NEXT) | instid1(VALU_DEP_1)
	v_clz_i32_u32_e32 v3, v12
	v_min_u32_e32 v3, 32, v3
	s_delay_alu instid0(VALU_DEP_1) | instskip(SKIP_1) | instid1(VALU_DEP_2)
	v_subrev_nc_u32_e32 v41, 28, v3
	v_sub_nc_u32_e32 v3, 29, v3
	v_lshlrev_b64 v[41:42], v41, v[12:13]
	s_delay_alu instid0(VALU_DEP_1)
	v_and_b32_e32 v12, 7, v41
; %bb.1736:                             ;   in Loop: Header=BB409_763 Depth=1
	s_or_b32 exec_lo, exec_lo, s18
	v_lshlrev_b32_e32 v2, 24, v2
	s_delay_alu instid0(VALU_DEP_2) | instskip(SKIP_1) | instid1(VALU_DEP_3)
	v_lshlrev_b32_e32 v12, 20, v12
	v_lshl_add_u32 v3, v3, 23, 0x3c000000
	v_and_b32_e32 v2, 0x80000000, v2
	s_delay_alu instid0(VALU_DEP_1)
	v_or3_b32 v3, v12, v2, v3
.LBB409_1737:                           ;   in Loop: Header=BB409_763 Depth=1
	s_or_b32 exec_lo, exec_lo, s17
.LBB409_1738:                           ;   in Loop: Header=BB409_763 Depth=1
	s_delay_alu instid0(SALU_CYCLE_1)
	s_or_b32 exec_lo, exec_lo, s16
.LBB409_1739:                           ;   in Loop: Header=BB409_763 Depth=1
	s_delay_alu instid0(SALU_CYCLE_1) | instskip(NEXT) | instid1(VALU_DEP_1)
	s_or_b32 exec_lo, exec_lo, s15
	v_mul_f32_e32 v2, v182, v3
                                        ; implicit-def: $vgpr41
	s_delay_alu instid0(VALU_DEP_1) | instskip(NEXT) | instid1(VALU_DEP_1)
	v_and_b32_e32 v3, 0x7f800000, v2
	v_cmp_ne_u32_e64 s1, 0x7f800000, v3
	s_delay_alu instid0(VALU_DEP_1) | instskip(NEXT) | instid1(SALU_CYCLE_1)
	s_and_saveexec_b32 s15, s1
	s_xor_b32 s1, exec_lo, s15
; %bb.1740:                             ;   in Loop: Header=BB409_763 Depth=1
	v_bfe_u32 v3, v2, 16, 1
	s_delay_alu instid0(VALU_DEP_1)
	v_add3_u32 v41, v2, v3, 0x7fff
                                        ; implicit-def: $vgpr2
; %bb.1741:                             ;   in Loop: Header=BB409_763 Depth=1
	s_and_not1_saveexec_b32 s15, s1
; %bb.1742:                             ;   in Loop: Header=BB409_763 Depth=1
	v_and_b32_e32 v3, 0xffff, v2
	v_or_b32_e32 v12, 0x10000, v2
	s_delay_alu instid0(VALU_DEP_2) | instskip(NEXT) | instid1(VALU_DEP_1)
	v_cmp_eq_u32_e64 s1, 0, v3
	v_cndmask_b32_e64 v41, v12, v2, s1
; %bb.1743:                             ;   in Loop: Header=BB409_763 Depth=1
	s_or_b32 exec_lo, exec_lo, s15
	v_mov_b32_e32 v3, 0
	s_mov_b32 s15, exec_lo
	v_cmpx_lt_u32_e32 0xffffff, v0
	s_cbranch_execz .LBB409_1751
; %bb.1744:                             ;   in Loop: Header=BB409_763 Depth=1
	v_lshrrev_b32_e32 v2, 24, v0
	v_bfrev_b32_e32 v3, 1
	s_mov_b32 s16, exec_lo
	s_delay_alu instid0(VALU_DEP_2)
	v_cmpx_ne_u32_e32 0x80, v2
	s_cbranch_execz .LBB409_1750
; %bb.1745:                             ;   in Loop: Header=BB409_763 Depth=1
	v_bfe_u32 v42, v0, 24, 7
	v_mov_b32_e32 v3, 0x7f800001
	s_mov_b32 s17, exec_lo
	s_delay_alu instid0(VALU_DEP_2)
	v_cmpx_ne_u32_e32 0x7f, v42
	s_cbranch_execz .LBB409_1749
; %bb.1746:                             ;   in Loop: Header=BB409_763 Depth=1
	v_and_b32_e32 v12, 7, v2
	v_lshrrev_b32_e32 v3, 3, v42
	s_mov_b32 s18, exec_lo
	v_cmpx_gt_u32_e32 8, v42
; %bb.1747:                             ;   in Loop: Header=BB409_763 Depth=1
	s_delay_alu instid0(VALU_DEP_3) | instskip(NEXT) | instid1(VALU_DEP_1)
	v_clz_i32_u32_e32 v3, v12
	v_min_u32_e32 v3, 32, v3
	s_delay_alu instid0(VALU_DEP_1) | instskip(SKIP_1) | instid1(VALU_DEP_2)
	v_subrev_nc_u32_e32 v42, 28, v3
	v_sub_nc_u32_e32 v3, 29, v3
	v_lshlrev_b64 v[42:43], v42, v[12:13]
	s_delay_alu instid0(VALU_DEP_1)
	v_and_b32_e32 v12, 7, v42
; %bb.1748:                             ;   in Loop: Header=BB409_763 Depth=1
	s_or_b32 exec_lo, exec_lo, s18
	v_lshlrev_b32_e32 v2, 24, v2
	s_delay_alu instid0(VALU_DEP_2) | instskip(SKIP_1) | instid1(VALU_DEP_3)
	v_lshlrev_b32_e32 v12, 20, v12
	v_lshl_add_u32 v3, v3, 23, 0x3c000000
	v_and_b32_e32 v2, 0x80000000, v2
	s_delay_alu instid0(VALU_DEP_1)
	v_or3_b32 v3, v12, v2, v3
.LBB409_1749:                           ;   in Loop: Header=BB409_763 Depth=1
	s_or_b32 exec_lo, exec_lo, s17
.LBB409_1750:                           ;   in Loop: Header=BB409_763 Depth=1
	s_delay_alu instid0(SALU_CYCLE_1)
	s_or_b32 exec_lo, exec_lo, s16
.LBB409_1751:                           ;   in Loop: Header=BB409_763 Depth=1
	s_delay_alu instid0(SALU_CYCLE_1) | instskip(NEXT) | instid1(VALU_DEP_1)
	s_or_b32 exec_lo, exec_lo, s15
	v_mul_f32_e32 v2, v182, v3
                                        ; implicit-def: $vgpr42
	s_delay_alu instid0(VALU_DEP_1) | instskip(NEXT) | instid1(VALU_DEP_1)
	v_and_b32_e32 v3, 0x7f800000, v2
	v_cmp_ne_u32_e64 s1, 0x7f800000, v3
	s_delay_alu instid0(VALU_DEP_1) | instskip(NEXT) | instid1(SALU_CYCLE_1)
	s_and_saveexec_b32 s15, s1
	s_xor_b32 s1, exec_lo, s15
; %bb.1752:                             ;   in Loop: Header=BB409_763 Depth=1
	v_bfe_u32 v3, v2, 16, 1
	s_delay_alu instid0(VALU_DEP_1)
	v_add3_u32 v42, v2, v3, 0x7fff
                                        ; implicit-def: $vgpr2
; %bb.1753:                             ;   in Loop: Header=BB409_763 Depth=1
	s_and_not1_saveexec_b32 s15, s1
; %bb.1754:                             ;   in Loop: Header=BB409_763 Depth=1
	v_and_b32_e32 v3, 0xffff, v2
	v_or_b32_e32 v12, 0x10000, v2
	s_delay_alu instid0(VALU_DEP_2) | instskip(NEXT) | instid1(VALU_DEP_1)
	v_cmp_eq_u32_e64 s1, 0, v3
	v_cndmask_b32_e64 v42, v12, v2, s1
; %bb.1755:                             ;   in Loop: Header=BB409_763 Depth=1
	s_or_b32 exec_lo, exec_lo, s15
	v_dual_mov_b32 v12, v1 :: v_dual_and_b32 v3, 0xff, v1
	v_mov_b32_e32 v2, 0
	s_mov_b32 s15, exec_lo
	s_delay_alu instid0(VALU_DEP_2)
	v_cmpx_ne_u16_e32 0, v3
	s_cbranch_execz .LBB409_1763
; %bb.1756:                             ;   in Loop: Header=BB409_763 Depth=1
	v_bfrev_b32_e32 v2, 1
	s_mov_b32 s16, exec_lo
	v_cmpx_ne_u16_e32 0x80, v3
	s_cbranch_execz .LBB409_1762
; %bb.1757:                             ;   in Loop: Header=BB409_763 Depth=1
	v_and_b32_e32 v3, 0x7f, v1
	v_mov_b32_e32 v2, 0x7f800001
	s_mov_b32 s17, exec_lo
	s_delay_alu instid0(VALU_DEP_2)
	v_cmpx_ne_u32_e32 0x7f, v3
	s_cbranch_execz .LBB409_1761
; %bb.1758:                             ;   in Loop: Header=BB409_763 Depth=1
	v_lshrrev_b32_e32 v43, 3, v3
	v_cmp_gt_u32_e64 s1, 8, v3
	v_dual_mov_b32 v2, v12 :: v_dual_mov_b32 v3, v13
	s_delay_alu instid0(VALU_DEP_2)
	s_and_saveexec_b32 s18, s1
; %bb.1759:                             ;   in Loop: Header=BB409_763 Depth=1
	v_and_b32_e32 v2, 7, v1
	s_delay_alu instid0(VALU_DEP_1) | instskip(NEXT) | instid1(VALU_DEP_1)
	v_clz_i32_u32_e32 v2, v2
	v_min_u32_e32 v43, 32, v2
	s_delay_alu instid0(VALU_DEP_1) | instskip(SKIP_1) | instid1(VALU_DEP_2)
	v_subrev_nc_u32_e32 v2, 28, v43
	v_sub_nc_u32_e32 v43, 29, v43
	v_lshlrev_b64 v[2:3], v2, v[12:13]
; %bb.1760:                             ;   in Loop: Header=BB409_763 Depth=1
	s_or_b32 exec_lo, exec_lo, s18
	s_delay_alu instid0(VALU_DEP_1) | instskip(SKIP_2) | instid1(VALU_DEP_3)
	v_lshlrev_b32_e32 v2, 20, v2
	v_lshlrev_b32_e32 v3, 24, v12
	v_lshl_add_u32 v43, v43, 23, 0x3c000000
	v_and_b32_e32 v2, 0x700000, v2
	s_delay_alu instid0(VALU_DEP_3) | instskip(NEXT) | instid1(VALU_DEP_1)
	v_and_b32_e32 v3, 0x80000000, v3
	v_or3_b32 v2, v2, v3, v43
.LBB409_1761:                           ;   in Loop: Header=BB409_763 Depth=1
	s_or_b32 exec_lo, exec_lo, s17
.LBB409_1762:                           ;   in Loop: Header=BB409_763 Depth=1
	s_delay_alu instid0(SALU_CYCLE_1)
	s_or_b32 exec_lo, exec_lo, s16
.LBB409_1763:                           ;   in Loop: Header=BB409_763 Depth=1
	s_delay_alu instid0(SALU_CYCLE_1) | instskip(NEXT) | instid1(VALU_DEP_1)
	s_or_b32 exec_lo, exec_lo, s15
	v_mul_f32_e32 v2, v182, v2
                                        ; implicit-def: $vgpr43
	s_delay_alu instid0(VALU_DEP_1) | instskip(NEXT) | instid1(VALU_DEP_1)
	v_and_b32_e32 v3, 0x7f800000, v2
	v_cmp_ne_u32_e64 s1, 0x7f800000, v3
	s_delay_alu instid0(VALU_DEP_1) | instskip(NEXT) | instid1(SALU_CYCLE_1)
	s_and_saveexec_b32 s15, s1
	s_xor_b32 s1, exec_lo, s15
; %bb.1764:                             ;   in Loop: Header=BB409_763 Depth=1
	v_bfe_u32 v3, v2, 16, 1
	s_delay_alu instid0(VALU_DEP_1)
	v_add3_u32 v43, v2, v3, 0x7fff
                                        ; implicit-def: $vgpr2
; %bb.1765:                             ;   in Loop: Header=BB409_763 Depth=1
	s_and_not1_saveexec_b32 s15, s1
; %bb.1766:                             ;   in Loop: Header=BB409_763 Depth=1
	v_and_b32_e32 v3, 0xffff, v2
	v_or_b32_e32 v43, 0x10000, v2
	s_delay_alu instid0(VALU_DEP_2) | instskip(NEXT) | instid1(VALU_DEP_1)
	v_cmp_eq_u32_e64 s1, 0, v3
	v_cndmask_b32_e64 v43, v43, v2, s1
; %bb.1767:                             ;   in Loop: Header=BB409_763 Depth=1
	s_or_b32 exec_lo, exec_lo, s15
	v_lshrrev_b16 v3, 8, v12
	v_mov_b32_e32 v2, 0
	s_mov_b32 s15, exec_lo
	s_delay_alu instid0(VALU_DEP_2)
	v_cmpx_ne_u16_e32 0, v3
	s_cbranch_execz .LBB409_1775
; %bb.1768:                             ;   in Loop: Header=BB409_763 Depth=1
	v_bfrev_b32_e32 v2, 1
	s_mov_b32 s16, exec_lo
	v_cmpx_ne_u16_e32 0x80, v3
	s_cbranch_execz .LBB409_1774
; %bb.1769:                             ;   in Loop: Header=BB409_763 Depth=1
	v_and_b32_e32 v3, 0xffff, v3
	v_mov_b32_e32 v2, 0x7f800001
	s_mov_b32 s17, exec_lo
	s_delay_alu instid0(VALU_DEP_2) | instskip(NEXT) | instid1(VALU_DEP_1)
	v_and_b32_e32 v45, 0x7f, v3
	v_cmpx_ne_u32_e32 0x7f, v45
	s_cbranch_execz .LBB409_1773
; %bb.1770:                             ;   in Loop: Header=BB409_763 Depth=1
	v_dual_mov_b32 v3, v13 :: v_dual_and_b32 v2, 7, v3
	v_lshrrev_b32_e32 v44, 3, v45
	s_mov_b32 s18, exec_lo
	v_cmpx_gt_u32_e32 8, v45
; %bb.1771:                             ;   in Loop: Header=BB409_763 Depth=1
	s_delay_alu instid0(VALU_DEP_3) | instskip(NEXT) | instid1(VALU_DEP_1)
	v_clz_i32_u32_e32 v44, v2
	v_min_u32_e32 v44, 32, v44
	s_delay_alu instid0(VALU_DEP_1) | instskip(SKIP_1) | instid1(VALU_DEP_2)
	v_subrev_nc_u32_e32 v45, 28, v44
	v_sub_nc_u32_e32 v44, 29, v44
	v_lshlrev_b64 v[2:3], v45, v[2:3]
	s_delay_alu instid0(VALU_DEP_1)
	v_and_b32_e32 v2, 7, v2
; %bb.1772:                             ;   in Loop: Header=BB409_763 Depth=1
	s_or_b32 exec_lo, exec_lo, s18
	v_lshlrev_b32_e32 v3, 16, v12
	s_delay_alu instid0(VALU_DEP_2) | instskip(SKIP_1) | instid1(VALU_DEP_3)
	v_lshlrev_b32_e32 v2, 20, v2
	v_lshl_add_u32 v12, v44, 23, 0x3c000000
	v_and_b32_e32 v3, 0x80000000, v3
	s_delay_alu instid0(VALU_DEP_1)
	v_or3_b32 v2, v2, v3, v12
.LBB409_1773:                           ;   in Loop: Header=BB409_763 Depth=1
	s_or_b32 exec_lo, exec_lo, s17
.LBB409_1774:                           ;   in Loop: Header=BB409_763 Depth=1
	s_delay_alu instid0(SALU_CYCLE_1)
	s_or_b32 exec_lo, exec_lo, s16
.LBB409_1775:                           ;   in Loop: Header=BB409_763 Depth=1
	s_delay_alu instid0(SALU_CYCLE_1) | instskip(NEXT) | instid1(VALU_DEP_1)
	s_or_b32 exec_lo, exec_lo, s15
	v_mul_f32_e32 v3, v182, v2
	s_delay_alu instid0(VALU_DEP_1) | instskip(NEXT) | instid1(VALU_DEP_1)
	v_and_b32_e32 v2, 0x7f800000, v3
	v_cmp_ne_u32_e64 s1, 0x7f800000, v2
                                        ; implicit-def: $vgpr2
	s_delay_alu instid0(VALU_DEP_1) | instskip(NEXT) | instid1(SALU_CYCLE_1)
	s_and_saveexec_b32 s15, s1
	s_xor_b32 s1, exec_lo, s15
; %bb.1776:                             ;   in Loop: Header=BB409_763 Depth=1
	v_bfe_u32 v2, v3, 16, 1
	s_delay_alu instid0(VALU_DEP_1)
	v_add3_u32 v2, v3, v2, 0x7fff
                                        ; implicit-def: $vgpr3
; %bb.1777:                             ;   in Loop: Header=BB409_763 Depth=1
	s_and_not1_saveexec_b32 s15, s1
; %bb.1778:                             ;   in Loop: Header=BB409_763 Depth=1
	v_and_b32_e32 v2, 0xffff, v3
	v_or_b32_e32 v12, 0x10000, v3
	s_delay_alu instid0(VALU_DEP_2) | instskip(NEXT) | instid1(VALU_DEP_1)
	v_cmp_eq_u32_e64 s1, 0, v2
	v_cndmask_b32_e64 v2, v12, v3, s1
; %bb.1779:                             ;   in Loop: Header=BB409_763 Depth=1
	s_or_b32 exec_lo, exec_lo, s15
	v_lshrrev_b32_e32 v3, 16, v1
	v_mov_b32_e32 v12, 0
	s_mov_b32 s15, exec_lo
	s_delay_alu instid0(VALU_DEP_2) | instskip(NEXT) | instid1(VALU_DEP_1)
	v_and_b32_e32 v44, 0xff, v3
	v_cmpx_ne_u16_e32 0, v44
	s_cbranch_execz .LBB409_1787
; %bb.1780:                             ;   in Loop: Header=BB409_763 Depth=1
	v_bfrev_b32_e32 v12, 1
	s_mov_b32 s16, exec_lo
	v_cmpx_ne_u16_e32 0x80, v44
	s_cbranch_execz .LBB409_1786
; %bb.1781:                             ;   in Loop: Header=BB409_763 Depth=1
	v_bfe_u32 v45, v1, 16, 7
	v_mov_b32_e32 v12, 0x7f800001
	s_mov_b32 s17, exec_lo
	s_delay_alu instid0(VALU_DEP_2)
	v_cmpx_ne_u32_e32 0x7f, v45
	s_cbranch_execz .LBB409_1785
; %bb.1782:                             ;   in Loop: Header=BB409_763 Depth=1
	v_and_b32_e32 v12, 7, v3
	v_lshrrev_b32_e32 v44, 3, v45
	s_mov_b32 s18, exec_lo
	v_cmpx_gt_u32_e32 8, v45
; %bb.1783:                             ;   in Loop: Header=BB409_763 Depth=1
	s_delay_alu instid0(VALU_DEP_3) | instskip(NEXT) | instid1(VALU_DEP_1)
	v_clz_i32_u32_e32 v44, v12
	v_min_u32_e32 v44, 32, v44
	s_delay_alu instid0(VALU_DEP_1) | instskip(SKIP_1) | instid1(VALU_DEP_2)
	v_subrev_nc_u32_e32 v45, 28, v44
	v_sub_nc_u32_e32 v44, 29, v44
	v_lshlrev_b64 v[45:46], v45, v[12:13]
	s_delay_alu instid0(VALU_DEP_1)
	v_and_b32_e32 v12, 7, v45
; %bb.1784:                             ;   in Loop: Header=BB409_763 Depth=1
	s_or_b32 exec_lo, exec_lo, s18
	v_lshlrev_b32_e32 v3, 24, v3
	s_delay_alu instid0(VALU_DEP_2) | instskip(SKIP_1) | instid1(VALU_DEP_3)
	v_lshlrev_b32_e32 v12, 20, v12
	v_lshl_add_u32 v44, v44, 23, 0x3c000000
	v_and_b32_e32 v3, 0x80000000, v3
	s_delay_alu instid0(VALU_DEP_1)
	v_or3_b32 v12, v12, v3, v44
.LBB409_1785:                           ;   in Loop: Header=BB409_763 Depth=1
	s_or_b32 exec_lo, exec_lo, s17
.LBB409_1786:                           ;   in Loop: Header=BB409_763 Depth=1
	s_delay_alu instid0(SALU_CYCLE_1)
	s_or_b32 exec_lo, exec_lo, s16
.LBB409_1787:                           ;   in Loop: Header=BB409_763 Depth=1
	s_delay_alu instid0(SALU_CYCLE_1) | instskip(NEXT) | instid1(VALU_DEP_1)
	s_or_b32 exec_lo, exec_lo, s15
	v_mul_f32_e32 v3, v182, v12
                                        ; implicit-def: $vgpr44
	s_delay_alu instid0(VALU_DEP_1) | instskip(NEXT) | instid1(VALU_DEP_1)
	v_and_b32_e32 v12, 0x7f800000, v3
	v_cmp_ne_u32_e64 s1, 0x7f800000, v12
	s_delay_alu instid0(VALU_DEP_1) | instskip(NEXT) | instid1(SALU_CYCLE_1)
	s_and_saveexec_b32 s15, s1
	s_xor_b32 s1, exec_lo, s15
; %bb.1788:                             ;   in Loop: Header=BB409_763 Depth=1
	v_bfe_u32 v12, v3, 16, 1
	s_delay_alu instid0(VALU_DEP_1)
	v_add3_u32 v44, v3, v12, 0x7fff
                                        ; implicit-def: $vgpr3
; %bb.1789:                             ;   in Loop: Header=BB409_763 Depth=1
	s_and_not1_saveexec_b32 s15, s1
; %bb.1790:                             ;   in Loop: Header=BB409_763 Depth=1
	v_and_b32_e32 v12, 0xffff, v3
	v_or_b32_e32 v44, 0x10000, v3
	s_delay_alu instid0(VALU_DEP_2) | instskip(NEXT) | instid1(VALU_DEP_1)
	v_cmp_eq_u32_e64 s1, 0, v12
	v_cndmask_b32_e64 v44, v44, v3, s1
; %bb.1791:                             ;   in Loop: Header=BB409_763 Depth=1
	s_or_b32 exec_lo, exec_lo, s15
	v_mov_b32_e32 v3, 0
	s_mov_b32 s15, exec_lo
	v_cmpx_lt_u64_e64 s[8:9], v[0:1]
	s_cbranch_execz .LBB409_1799
; %bb.1792:                             ;   in Loop: Header=BB409_763 Depth=1
	v_lshrrev_b32_e32 v0, 24, v1
	v_bfrev_b32_e32 v3, 1
	s_mov_b32 s16, exec_lo
	s_delay_alu instid0(VALU_DEP_2)
	v_cmpx_ne_u32_e32 0x80, v0
	s_cbranch_execz .LBB409_1798
; %bb.1793:                             ;   in Loop: Header=BB409_763 Depth=1
	v_bfe_u32 v45, v1, 24, 7
	v_mov_b32_e32 v3, 0x7f800001
	s_mov_b32 s17, exec_lo
	s_delay_alu instid0(VALU_DEP_2)
	v_cmpx_ne_u32_e32 0x7f, v45
	s_cbranch_execz .LBB409_1797
; %bb.1794:                             ;   in Loop: Header=BB409_763 Depth=1
	v_and_b32_e32 v12, 7, v0
	v_lshrrev_b32_e32 v1, 3, v45
	s_mov_b32 s18, exec_lo
	v_cmpx_gt_u32_e32 8, v45
; %bb.1795:                             ;   in Loop: Header=BB409_763 Depth=1
	s_delay_alu instid0(VALU_DEP_3) | instskip(NEXT) | instid1(VALU_DEP_1)
	v_clz_i32_u32_e32 v1, v12
	v_min_u32_e32 v1, 32, v1
	s_delay_alu instid0(VALU_DEP_1) | instskip(SKIP_1) | instid1(VALU_DEP_2)
	v_subrev_nc_u32_e32 v3, 28, v1
	v_sub_nc_u32_e32 v1, 29, v1
	v_lshlrev_b64 v[45:46], v3, v[12:13]
	s_delay_alu instid0(VALU_DEP_1)
	v_and_b32_e32 v12, 7, v45
; %bb.1796:                             ;   in Loop: Header=BB409_763 Depth=1
	s_or_b32 exec_lo, exec_lo, s18
	v_lshlrev_b32_e32 v0, 24, v0
	s_delay_alu instid0(VALU_DEP_2) | instskip(SKIP_1) | instid1(VALU_DEP_3)
	v_lshlrev_b32_e32 v3, 20, v12
	v_lshl_add_u32 v1, v1, 23, 0x3c000000
	v_and_b32_e32 v0, 0x80000000, v0
	s_delay_alu instid0(VALU_DEP_1)
	v_or3_b32 v3, v3, v0, v1
.LBB409_1797:                           ;   in Loop: Header=BB409_763 Depth=1
	s_or_b32 exec_lo, exec_lo, s17
.LBB409_1798:                           ;   in Loop: Header=BB409_763 Depth=1
	s_delay_alu instid0(SALU_CYCLE_1)
	s_or_b32 exec_lo, exec_lo, s16
.LBB409_1799:                           ;   in Loop: Header=BB409_763 Depth=1
	s_delay_alu instid0(SALU_CYCLE_1) | instskip(NEXT) | instid1(VALU_DEP_1)
	s_or_b32 exec_lo, exec_lo, s15
	v_mul_f32_e32 v1, v182, v3
	s_delay_alu instid0(VALU_DEP_1) | instskip(NEXT) | instid1(VALU_DEP_1)
	v_and_b32_e32 v0, 0x7f800000, v1
	v_cmp_ne_u32_e64 s1, 0x7f800000, v0
                                        ; implicit-def: $vgpr0
	s_delay_alu instid0(VALU_DEP_1) | instskip(NEXT) | instid1(SALU_CYCLE_1)
	s_and_saveexec_b32 s15, s1
	s_xor_b32 s1, exec_lo, s15
; %bb.1800:                             ;   in Loop: Header=BB409_763 Depth=1
	v_bfe_u32 v0, v1, 16, 1
	s_delay_alu instid0(VALU_DEP_1)
	v_add3_u32 v0, v1, v0, 0x7fff
                                        ; implicit-def: $vgpr1
; %bb.1801:                             ;   in Loop: Header=BB409_763 Depth=1
	s_and_not1_saveexec_b32 s15, s1
; %bb.1802:                             ;   in Loop: Header=BB409_763 Depth=1
	v_and_b32_e32 v0, 0xffff, v1
	v_or_b32_e32 v3, 0x10000, v1
	s_delay_alu instid0(VALU_DEP_2) | instskip(NEXT) | instid1(VALU_DEP_1)
	v_cmp_eq_u32_e64 s1, 0, v0
	v_cndmask_b32_e64 v0, v3, v1, s1
; %bb.1803:                             ;   in Loop: Header=BB409_763 Depth=1
	s_or_b32 exec_lo, exec_lo, s15
	v_lshrrev_b32_e32 v3, 16, v2
	v_lshrrev_b32_e32 v182, 16, v43
	;; [unrolled: 1-line block ×8, first 2 shown]
	s_and_saveexec_b32 s1, s0
	s_cbranch_execz .LBB409_1805
; %bb.1804:                             ;   in Loop: Header=BB409_763 Depth=1
	v_add_nc_u32_e32 v183, 1, v55
	v_cmp_lt_i32_e64 s0, v55, v83
	v_add_nc_u32_e32 v40, 2, v55
	v_add_nc_u32_e32 v43, 3, v55
	s_delay_alu instid0(VALU_DEP_3) | instskip(SKIP_2) | instid1(VALU_DEP_2)
	v_cndmask_b32_e64 v2, 0, v2, s0
	v_cmp_lt_i32_e64 s0, v183, v83
	v_add_nc_u32_e32 v183, 4, v55
	v_cndmask_b32_e64 v12, 0, v12, s0
	v_cmp_lt_i32_e64 s0, v40, v83
	v_add_nc_u32_e32 v40, 5, v55
	s_delay_alu instid0(VALU_DEP_2) | instskip(SKIP_3) | instid1(VALU_DEP_3)
	v_cndmask_b32_e64 v41, 0, v41, s0
	v_cmp_lt_i32_e64 s0, v43, v83
	v_add_nc_u32_e32 v43, 6, v55
	v_add_nc_u32_e32 v55, 7, v55
	v_cndmask_b32_e64 v42, 0, v42, s0
	v_cmp_lt_i32_e64 s0, v183, v83
	s_delay_alu instid0(VALU_DEP_1) | instskip(SKIP_1) | instid1(VALU_DEP_1)
	v_cndmask_b32_e64 v182, 0, v182, s0
	v_cmp_lt_i32_e64 s0, v40, v83
	v_cndmask_b32_e64 v3, 0, v3, s0
	v_cmp_lt_i32_e64 s0, v43, v83
	s_delay_alu instid0(VALU_DEP_1) | instskip(SKIP_1) | instid1(VALU_DEP_1)
	v_cndmask_b32_e64 v1, 0, v1, s0
	v_cmp_lt_i32_e64 s0, v55, v83
	v_cndmask_b32_e64 v0, 0, v0, s0
.LBB409_1805:                           ;   in Loop: Header=BB409_763 Depth=1
	s_or_b32 exec_lo, exec_lo, s1
	v_lshlrev_b32_e32 v2, 16, v2
	s_delay_alu instid0(VALU_DEP_1) | instskip(NEXT) | instid1(VALU_DEP_1)
	v_mul_f32_e32 v55, v66, v2
	v_and_b32_e32 v2, 0x7f800000, v55
	s_delay_alu instid0(VALU_DEP_1) | instskip(NEXT) | instid1(VALU_DEP_1)
	v_cmp_ne_u32_e64 s0, 0x7f800000, v2
                                        ; implicit-def: $vgpr2
	s_and_saveexec_b32 s1, s0
	s_delay_alu instid0(SALU_CYCLE_1)
	s_xor_b32 s0, exec_lo, s1
; %bb.1806:                             ;   in Loop: Header=BB409_763 Depth=1
	v_bfe_u32 v2, v55, 16, 1
	s_delay_alu instid0(VALU_DEP_1)
	v_add3_u32 v2, v55, v2, 0x7fff
                                        ; implicit-def: $vgpr55
; %bb.1807:                             ;   in Loop: Header=BB409_763 Depth=1
	s_and_not1_saveexec_b32 s1, s0
; %bb.1808:                             ;   in Loop: Header=BB409_763 Depth=1
	v_and_b32_e32 v2, 0xffff, v55
	v_or_b32_e32 v66, 0x10000, v55
	s_delay_alu instid0(VALU_DEP_2) | instskip(NEXT) | instid1(VALU_DEP_1)
	v_cmp_eq_u32_e64 s0, 0, v2
	v_cndmask_b32_e64 v2, v66, v55, s0
; %bb.1809:                             ;   in Loop: Header=BB409_763 Depth=1
	s_or_b32 exec_lo, exec_lo, s1
	v_lshlrev_b32_e32 v12, 16, v12
	s_delay_alu instid0(VALU_DEP_1) | instskip(NEXT) | instid1(VALU_DEP_1)
	v_mul_f32_e32 v55, v67, v12
	v_and_b32_e32 v12, 0x7f800000, v55
	s_delay_alu instid0(VALU_DEP_1) | instskip(NEXT) | instid1(VALU_DEP_1)
	v_cmp_ne_u32_e64 s0, 0x7f800000, v12
                                        ; implicit-def: $vgpr12
	s_and_saveexec_b32 s1, s0
	s_delay_alu instid0(SALU_CYCLE_1)
	s_xor_b32 s0, exec_lo, s1
; %bb.1810:                             ;   in Loop: Header=BB409_763 Depth=1
	v_bfe_u32 v12, v55, 16, 1
	s_delay_alu instid0(VALU_DEP_1)
	v_add3_u32 v12, v55, v12, 0x7fff
                                        ; implicit-def: $vgpr55
; %bb.1811:                             ;   in Loop: Header=BB409_763 Depth=1
	s_and_not1_saveexec_b32 s1, s0
; %bb.1812:                             ;   in Loop: Header=BB409_763 Depth=1
	v_and_b32_e32 v12, 0xffff, v55
	v_or_b32_e32 v66, 0x10000, v55
	s_delay_alu instid0(VALU_DEP_2) | instskip(NEXT) | instid1(VALU_DEP_1)
	v_cmp_eq_u32_e64 s0, 0, v12
	v_cndmask_b32_e64 v12, v66, v55, s0
; %bb.1813:                             ;   in Loop: Header=BB409_763 Depth=1
	s_or_b32 exec_lo, exec_lo, s1
	v_lshlrev_b32_e32 v55, 16, v41
	s_delay_alu instid0(VALU_DEP_1) | instskip(NEXT) | instid1(VALU_DEP_1)
	v_mul_f32_e32 v66, v68, v55
	v_and_b32_e32 v55, 0x7f800000, v66
	s_delay_alu instid0(VALU_DEP_1) | instskip(NEXT) | instid1(VALU_DEP_1)
	v_cmp_ne_u32_e64 s0, 0x7f800000, v55
                                        ; implicit-def: $vgpr55
	s_and_saveexec_b32 s1, s0
	s_delay_alu instid0(SALU_CYCLE_1)
	s_xor_b32 s0, exec_lo, s1
; %bb.1814:                             ;   in Loop: Header=BB409_763 Depth=1
	v_bfe_u32 v55, v66, 16, 1
	s_delay_alu instid0(VALU_DEP_1)
	v_add3_u32 v55, v66, v55, 0x7fff
                                        ; implicit-def: $vgpr66
; %bb.1815:                             ;   in Loop: Header=BB409_763 Depth=1
	s_and_not1_saveexec_b32 s1, s0
; %bb.1816:                             ;   in Loop: Header=BB409_763 Depth=1
	v_and_b32_e32 v55, 0xffff, v66
	v_or_b32_e32 v67, 0x10000, v66
	s_delay_alu instid0(VALU_DEP_2) | instskip(NEXT) | instid1(VALU_DEP_1)
	v_cmp_eq_u32_e64 s0, 0, v55
	v_cndmask_b32_e64 v55, v67, v66, s0
; %bb.1817:                             ;   in Loop: Header=BB409_763 Depth=1
	s_or_b32 exec_lo, exec_lo, s1
	v_lshlrev_b32_e32 v66, 16, v42
	s_delay_alu instid0(VALU_DEP_1) | instskip(NEXT) | instid1(VALU_DEP_1)
	v_mul_f32_e32 v67, v69, v66
	v_and_b32_e32 v66, 0x7f800000, v67
	s_delay_alu instid0(VALU_DEP_1) | instskip(NEXT) | instid1(VALU_DEP_1)
	v_cmp_ne_u32_e64 s0, 0x7f800000, v66
                                        ; implicit-def: $vgpr66
	s_and_saveexec_b32 s1, s0
	s_delay_alu instid0(SALU_CYCLE_1)
	s_xor_b32 s0, exec_lo, s1
; %bb.1818:                             ;   in Loop: Header=BB409_763 Depth=1
	v_bfe_u32 v66, v67, 16, 1
	s_delay_alu instid0(VALU_DEP_1)
	v_add3_u32 v66, v67, v66, 0x7fff
                                        ; implicit-def: $vgpr67
; %bb.1819:                             ;   in Loop: Header=BB409_763 Depth=1
	s_and_not1_saveexec_b32 s1, s0
; %bb.1820:                             ;   in Loop: Header=BB409_763 Depth=1
	v_and_b32_e32 v66, 0xffff, v67
	v_or_b32_e32 v68, 0x10000, v67
	s_delay_alu instid0(VALU_DEP_2) | instskip(NEXT) | instid1(VALU_DEP_1)
	v_cmp_eq_u32_e64 s0, 0, v66
	v_cndmask_b32_e64 v66, v68, v67, s0
; %bb.1821:                             ;   in Loop: Header=BB409_763 Depth=1
	s_or_b32 exec_lo, exec_lo, s1
	v_lshlrev_b32_e32 v67, 16, v182
	s_delay_alu instid0(VALU_DEP_1) | instskip(NEXT) | instid1(VALU_DEP_1)
	v_mul_f32_e32 v68, v70, v67
	v_and_b32_e32 v67, 0x7f800000, v68
	s_delay_alu instid0(VALU_DEP_1) | instskip(NEXT) | instid1(VALU_DEP_1)
	v_cmp_ne_u32_e64 s0, 0x7f800000, v67
                                        ; implicit-def: $vgpr67
	s_and_saveexec_b32 s1, s0
	s_delay_alu instid0(SALU_CYCLE_1)
	s_xor_b32 s0, exec_lo, s1
; %bb.1822:                             ;   in Loop: Header=BB409_763 Depth=1
	v_bfe_u32 v67, v68, 16, 1
	s_delay_alu instid0(VALU_DEP_1)
	v_add3_u32 v67, v68, v67, 0x7fff
                                        ; implicit-def: $vgpr68
; %bb.1823:                             ;   in Loop: Header=BB409_763 Depth=1
	s_and_not1_saveexec_b32 s1, s0
; %bb.1824:                             ;   in Loop: Header=BB409_763 Depth=1
	v_and_b32_e32 v67, 0xffff, v68
	v_or_b32_e32 v69, 0x10000, v68
	s_delay_alu instid0(VALU_DEP_2) | instskip(NEXT) | instid1(VALU_DEP_1)
	v_cmp_eq_u32_e64 s0, 0, v67
	v_cndmask_b32_e64 v67, v69, v68, s0
; %bb.1825:                             ;   in Loop: Header=BB409_763 Depth=1
	s_or_b32 exec_lo, exec_lo, s1
	v_lshlrev_b32_e32 v3, 16, v3
	s_delay_alu instid0(VALU_DEP_1) | instskip(NEXT) | instid1(VALU_DEP_1)
	v_mul_f32_e32 v68, v71, v3
	v_and_b32_e32 v3, 0x7f800000, v68
	s_delay_alu instid0(VALU_DEP_1) | instskip(NEXT) | instid1(VALU_DEP_1)
	v_cmp_ne_u32_e64 s0, 0x7f800000, v3
                                        ; implicit-def: $vgpr3
	s_and_saveexec_b32 s1, s0
	s_delay_alu instid0(SALU_CYCLE_1)
	s_xor_b32 s0, exec_lo, s1
; %bb.1826:                             ;   in Loop: Header=BB409_763 Depth=1
	v_bfe_u32 v3, v68, 16, 1
	s_delay_alu instid0(VALU_DEP_1)
	v_add3_u32 v3, v68, v3, 0x7fff
                                        ; implicit-def: $vgpr68
; %bb.1827:                             ;   in Loop: Header=BB409_763 Depth=1
	s_and_not1_saveexec_b32 s1, s0
; %bb.1828:                             ;   in Loop: Header=BB409_763 Depth=1
	v_and_b32_e32 v3, 0xffff, v68
	v_or_b32_e32 v69, 0x10000, v68
	s_delay_alu instid0(VALU_DEP_2) | instskip(NEXT) | instid1(VALU_DEP_1)
	v_cmp_eq_u32_e64 s0, 0, v3
	v_cndmask_b32_e64 v3, v69, v68, s0
; %bb.1829:                             ;   in Loop: Header=BB409_763 Depth=1
	s_or_b32 exec_lo, exec_lo, s1
	v_lshlrev_b32_e32 v1, 16, v1
	s_delay_alu instid0(VALU_DEP_1) | instskip(NEXT) | instid1(VALU_DEP_1)
	v_mul_f32_e32 v68, v80, v1
	v_and_b32_e32 v1, 0x7f800000, v68
	s_delay_alu instid0(VALU_DEP_1) | instskip(NEXT) | instid1(VALU_DEP_1)
	v_cmp_ne_u32_e64 s0, 0x7f800000, v1
                                        ; implicit-def: $vgpr1
	s_and_saveexec_b32 s1, s0
	s_delay_alu instid0(SALU_CYCLE_1)
	s_xor_b32 s0, exec_lo, s1
; %bb.1830:                             ;   in Loop: Header=BB409_763 Depth=1
	v_bfe_u32 v1, v68, 16, 1
	s_delay_alu instid0(VALU_DEP_1)
	v_add3_u32 v1, v68, v1, 0x7fff
                                        ; implicit-def: $vgpr68
; %bb.1831:                             ;   in Loop: Header=BB409_763 Depth=1
	s_and_not1_saveexec_b32 s1, s0
; %bb.1832:                             ;   in Loop: Header=BB409_763 Depth=1
	v_and_b32_e32 v1, 0xffff, v68
	v_or_b32_e32 v69, 0x10000, v68
	s_delay_alu instid0(VALU_DEP_2) | instskip(NEXT) | instid1(VALU_DEP_1)
	v_cmp_eq_u32_e64 s0, 0, v1
	v_cndmask_b32_e64 v1, v69, v68, s0
; %bb.1833:                             ;   in Loop: Header=BB409_763 Depth=1
	s_or_b32 exec_lo, exec_lo, s1
	v_lshlrev_b32_e32 v0, 16, v0
	s_delay_alu instid0(VALU_DEP_1) | instskip(NEXT) | instid1(VALU_DEP_1)
	v_mul_f32_e32 v68, v81, v0
	v_and_b32_e32 v0, 0x7f800000, v68
	s_delay_alu instid0(VALU_DEP_1) | instskip(NEXT) | instid1(VALU_DEP_1)
	v_cmp_ne_u32_e64 s0, 0x7f800000, v0
                                        ; implicit-def: $vgpr0
	s_and_saveexec_b32 s1, s0
	s_delay_alu instid0(SALU_CYCLE_1)
	s_xor_b32 s0, exec_lo, s1
; %bb.1834:                             ;   in Loop: Header=BB409_763 Depth=1
	v_bfe_u32 v0, v68, 16, 1
	s_delay_alu instid0(VALU_DEP_1)
	v_add3_u32 v0, v68, v0, 0x7fff
                                        ; implicit-def: $vgpr68
; %bb.1835:                             ;   in Loop: Header=BB409_763 Depth=1
	s_and_not1_saveexec_b32 s1, s0
	s_cbranch_execz .LBB409_760
; %bb.1836:                             ;   in Loop: Header=BB409_763 Depth=1
	v_and_b32_e32 v0, 0xffff, v68
	v_or_b32_e32 v69, 0x10000, v68
	s_delay_alu instid0(VALU_DEP_2) | instskip(NEXT) | instid1(VALU_DEP_1)
	v_cmp_eq_u32_e64 s0, 0, v0
	v_cndmask_b32_e64 v0, v69, v68, s0
	s_branch .LBB409_760
.LBB409_1837:
	s_or_b32 exec_lo, exec_lo, s10
	s_load_b32 s0, s[6:7], 0x0
	s_waitcnt lgkmcnt(0)
	v_mov_b32_e32 v0, s0
.LBB409_1838:
	s_or_b32 exec_lo, exec_lo, s3
	ds_bpermute_b32 v1, v17, v31
	ds_bpermute_b32 v2, v17, v29
	;; [unrolled: 1-line block ×8, first 2 shown]
	v_cmp_eq_u32_e32 vcc_lo, 0, v84
	v_mad_u32_u24 v10, 0x1e0, v21, v0
	v_and_b32_e32 v15, 0x3c0, v82
	s_mov_b32 s1, exec_lo
	s_waitcnt lgkmcnt(0)
	s_waitcnt_vscnt null, 0x0
	s_barrier
	buffer_gl0_inv
	v_dual_add_f32 v9, v31, v1 :: v_dual_add_f32 v8, v29, v2
	v_add_f32_e32 v6, v28, v3
	v_add_f32_e32 v3, v24, v7
	v_dual_add_f32 v2, v25, v11 :: v_dual_add_f32 v1, v19, v12
	v_dual_add_f32 v0, v18, v13 :: v_dual_add_f32 v7, v32, v14
	v_cmpx_eq_u32_e32 64, v15
	s_cbranch_execz .LBB409_1843
; %bb.1839:
	v_add_nc_u32_e32 v11, 0xfffffc40, v10
	s_delay_alu instid0(VALU_DEP_1)
	v_lshl_add_u32 v11, v16, 2, v11
	s_and_saveexec_b32 s0, vcc_lo
	s_cbranch_execz .LBB409_1841
; %bb.1840:
	ds_store_2addr_b32 v11, v9, v8 offset1:16
	ds_store_2addr_b32 v11, v6, v3 offset0:32 offset1:48
	ds_store_2addr_b32 v11, v2, v1 offset0:64 offset1:80
	ds_store_b32 v11, v0 offset:384
.LBB409_1841:
	s_or_b32 exec_lo, exec_lo, s0
	v_or_b32_e32 v12, 0x70, v16
	s_delay_alu instid0(VALU_DEP_1) | instskip(NEXT) | instid1(VALU_DEP_1)
	v_cmp_gt_u32_e64 s0, 0x78, v12
	s_and_b32 s0, vcc_lo, s0
	s_delay_alu instid0(SALU_CYCLE_1)
	s_and_b32 exec_lo, exec_lo, s0
	s_cbranch_execz .LBB409_1843
; %bb.1842:
	ds_store_b32 v11, v7 offset:448
.LBB409_1843:
	s_or_b32 exec_lo, exec_lo, s1
	s_delay_alu instid0(SALU_CYCLE_1)
	s_mov_b32 s1, exec_lo
	s_waitcnt lgkmcnt(0)
	s_barrier
	buffer_gl0_inv
	v_cmpx_gt_u32_e32 64, v82
	s_cbranch_execz .LBB409_1855
; %bb.1844:
	s_and_saveexec_b32 s0, vcc_lo
	s_cbranch_execnz .LBB409_1922
; %bb.1845:
	s_or_b32 exec_lo, exec_lo, s0
	s_and_saveexec_b32 s0, vcc_lo
	s_cbranch_execnz .LBB409_1923
.LBB409_1846:
	s_or_b32 exec_lo, exec_lo, s0
	s_and_saveexec_b32 s0, vcc_lo
	s_cbranch_execnz .LBB409_1924
.LBB409_1847:
	s_or_b32 exec_lo, exec_lo, s0
	s_and_saveexec_b32 s0, vcc_lo
	s_cbranch_execnz .LBB409_1925
.LBB409_1848:
	s_or_b32 exec_lo, exec_lo, s0
	s_and_saveexec_b32 s0, vcc_lo
	s_cbranch_execnz .LBB409_1926
.LBB409_1849:
	s_or_b32 exec_lo, exec_lo, s0
	s_and_saveexec_b32 s0, vcc_lo
	s_cbranch_execnz .LBB409_1927
.LBB409_1850:
	s_or_b32 exec_lo, exec_lo, s0
	s_and_saveexec_b32 s0, vcc_lo
	s_cbranch_execz .LBB409_1852
.LBB409_1851:
	v_lshl_add_u32 v11, v16, 2, v10
	ds_load_b32 v11, v11 offset:384
	s_waitcnt lgkmcnt(0)
	v_add_f32_e32 v0, v0, v11
.LBB409_1852:
	s_or_b32 exec_lo, exec_lo, s0
	v_or_b32_e32 v11, 0x70, v16
	s_delay_alu instid0(VALU_DEP_1) | instskip(NEXT) | instid1(VALU_DEP_1)
	v_cmp_gt_u32_e64 s0, 0x78, v11
	s_and_b32 s3, vcc_lo, s0
	s_delay_alu instid0(SALU_CYCLE_1)
	s_and_saveexec_b32 s0, s3
	s_cbranch_execz .LBB409_1854
; %bb.1853:
	v_lshl_add_u32 v11, v16, 2, v10
	ds_load_b32 v11, v11 offset:448
	s_waitcnt lgkmcnt(0)
	v_add_f32_e32 v7, v7, v11
.LBB409_1854:
	s_or_b32 exec_lo, exec_lo, s0
.LBB409_1855:
	s_delay_alu instid0(SALU_CYCLE_1)
	s_or_b32 exec_lo, exec_lo, s1
	v_and_b32_e32 v11, 0x3e0, v82
	s_mov_b32 s1, exec_lo
	s_barrier
	buffer_gl0_inv
	v_cmpx_eq_u32_e32 32, v11
	s_cbranch_execz .LBB409_1860
; %bb.1856:
	v_add_nc_u32_e32 v11, 0xfffffe20, v10
	s_delay_alu instid0(VALU_DEP_1)
	v_lshl_add_u32 v11, v16, 2, v11
	s_and_saveexec_b32 s0, vcc_lo
	s_cbranch_execz .LBB409_1858
; %bb.1857:
	ds_store_2addr_b32 v11, v9, v8 offset1:16
	ds_store_2addr_b32 v11, v6, v3 offset0:32 offset1:48
	ds_store_2addr_b32 v11, v2, v1 offset0:64 offset1:80
	ds_store_b32 v11, v0 offset:384
.LBB409_1858:
	s_or_b32 exec_lo, exec_lo, s0
	v_or_b32_e32 v12, 0x70, v16
	s_delay_alu instid0(VALU_DEP_1) | instskip(NEXT) | instid1(VALU_DEP_1)
	v_cmp_gt_u32_e64 s0, 0x78, v12
	s_and_b32 s0, vcc_lo, s0
	s_delay_alu instid0(SALU_CYCLE_1)
	s_and_b32 exec_lo, exec_lo, s0
	s_cbranch_execz .LBB409_1860
; %bb.1859:
	ds_store_b32 v11, v7 offset:448
.LBB409_1860:
	s_or_b32 exec_lo, exec_lo, s1
	v_cmp_gt_u32_e64 s0, 32, v82
	s_waitcnt lgkmcnt(0)
	s_barrier
	buffer_gl0_inv
	s_and_saveexec_b32 s3, s0
	s_cbranch_execz .LBB409_1872
; %bb.1861:
	v_lshl_add_u32 v10, v16, 2, v10
	s_and_saveexec_b32 s1, vcc_lo
	s_cbranch_execnz .LBB409_1928
; %bb.1862:
	s_or_b32 exec_lo, exec_lo, s1
	s_and_saveexec_b32 s1, vcc_lo
	s_cbranch_execnz .LBB409_1929
.LBB409_1863:
	s_or_b32 exec_lo, exec_lo, s1
	s_and_saveexec_b32 s1, vcc_lo
	s_cbranch_execnz .LBB409_1930
.LBB409_1864:
	s_or_b32 exec_lo, exec_lo, s1
	s_and_saveexec_b32 s1, vcc_lo
	s_cbranch_execnz .LBB409_1931
.LBB409_1865:
	s_or_b32 exec_lo, exec_lo, s1
	s_and_saveexec_b32 s1, vcc_lo
	s_cbranch_execnz .LBB409_1932
.LBB409_1866:
	s_or_b32 exec_lo, exec_lo, s1
	s_and_saveexec_b32 s1, vcc_lo
	s_cbranch_execnz .LBB409_1933
.LBB409_1867:
	s_or_b32 exec_lo, exec_lo, s1
	s_and_saveexec_b32 s1, vcc_lo
	s_cbranch_execz .LBB409_1869
.LBB409_1868:
	ds_load_b32 v11, v10 offset:384
	s_waitcnt lgkmcnt(0)
	v_add_f32_e32 v0, v0, v11
.LBB409_1869:
	s_or_b32 exec_lo, exec_lo, s1
	v_or_b32_e32 v11, 0x70, v16
	s_delay_alu instid0(VALU_DEP_1) | instskip(NEXT) | instid1(VALU_DEP_1)
	v_cmp_gt_u32_e64 s1, 0x78, v11
	s_and_b32 s6, vcc_lo, s1
	s_delay_alu instid0(SALU_CYCLE_1)
	s_and_saveexec_b32 s1, s6
	s_cbranch_execz .LBB409_1871
; %bb.1870:
	ds_load_b32 v10, v10 offset:448
	s_waitcnt lgkmcnt(0)
	v_add_f32_e32 v7, v7, v10
.LBB409_1871:
	s_or_b32 exec_lo, exec_lo, s1
.LBB409_1872:
	s_delay_alu instid0(SALU_CYCLE_1)
	s_or_b32 exec_lo, exec_lo, s3
	s_barrier
	buffer_gl0_inv
	s_and_b32 exec_lo, exec_lo, s0
	s_cbranch_execz .LBB409_1921
; %bb.1873:
	s_mul_i32 s0, s2, 0x78
	s_mul_i32 s2, s4, s5
	;; [unrolled: 1-line block ×3, first 2 shown]
	s_ashr_i32 s3, s2, 31
	s_ashr_i32 s5, s4, 31
	s_ashr_i32 s1, s0, 31
	s_lshl_b64 s[2:3], s[2:3], 1
	s_lshl_b64 s[4:5], s[4:5], 1
	;; [unrolled: 1-line block ×3, first 2 shown]
	s_add_u32 s2, s4, s2
	s_addc_u32 s3, s5, s3
	s_add_u32 s0, s2, s0
	s_addc_u32 s1, s3, s1
	v_add_co_u32 v10, s0, s0, v4
	s_delay_alu instid0(VALU_DEP_1)
	v_add_co_ci_u32_e64 v11, s0, s1, v5, s0
	s_and_saveexec_b32 s1, vcc_lo
	s_cbranch_execz .LBB409_1879
; %bb.1874:
	v_and_b32_e32 v4, 0x7f800000, v9
	s_delay_alu instid0(VALU_DEP_1) | instskip(NEXT) | instid1(VALU_DEP_1)
	v_cmp_ne_u32_e64 s0, 0x7f800000, v4
                                        ; implicit-def: $vgpr4
	s_and_saveexec_b32 s2, s0
	s_delay_alu instid0(SALU_CYCLE_1)
	s_xor_b32 s0, exec_lo, s2
; %bb.1875:
	v_bfe_u32 v4, v9, 16, 1
	s_delay_alu instid0(VALU_DEP_1)
	v_add3_u32 v4, v9, v4, 0x7fff
; %bb.1876:
	s_and_not1_saveexec_b32 s2, s0
; %bb.1877:
	v_and_b32_e32 v4, 0xffff, v9
	v_or_b32_e32 v5, 0x10000, v9
	s_delay_alu instid0(VALU_DEP_2) | instskip(NEXT) | instid1(VALU_DEP_1)
	v_cmp_eq_u32_e64 s0, 0, v4
	v_cndmask_b32_e64 v4, v5, v9, s0
; %bb.1878:
	s_or_b32 exec_lo, exec_lo, s2
	v_lshlrev_b32_e32 v5, 1, v39
	s_delay_alu instid0(VALU_DEP_1) | instskip(NEXT) | instid1(VALU_DEP_1)
	v_add_co_u32 v12, s0, v10, v5
	v_add_co_ci_u32_e64 v13, s0, 0, v11, s0
	flat_store_d16_hi_b16 v[12:13], v4
.LBB409_1879:
	s_or_b32 exec_lo, exec_lo, s1
	v_or_b32_e32 v4, 16, v39
	s_delay_alu instid0(VALU_DEP_1) | instskip(NEXT) | instid1(VALU_DEP_1)
	v_cmp_gt_u32_e64 s0, 0x78, v4
	s_and_b32 s0, vcc_lo, s0
	s_delay_alu instid0(SALU_CYCLE_1)
	s_and_saveexec_b32 s1, s0
	s_cbranch_execz .LBB409_1885
; %bb.1880:
	v_and_b32_e32 v4, 0x7f800000, v8
	s_delay_alu instid0(VALU_DEP_1) | instskip(NEXT) | instid1(VALU_DEP_1)
	v_cmp_ne_u32_e64 s0, 0x7f800000, v4
                                        ; implicit-def: $vgpr4
	s_and_saveexec_b32 s2, s0
	s_delay_alu instid0(SALU_CYCLE_1)
	s_xor_b32 s0, exec_lo, s2
; %bb.1881:
	v_bfe_u32 v4, v8, 16, 1
	s_delay_alu instid0(VALU_DEP_1)
	v_add3_u32 v4, v8, v4, 0x7fff
; %bb.1882:
	s_and_not1_saveexec_b32 s2, s0
; %bb.1883:
	v_and_b32_e32 v4, 0xffff, v8
	v_or_b32_e32 v5, 0x10000, v8
	s_delay_alu instid0(VALU_DEP_2) | instskip(NEXT) | instid1(VALU_DEP_1)
	v_cmp_eq_u32_e64 s0, 0, v4
	v_cndmask_b32_e64 v4, v5, v8, s0
; %bb.1884:
	s_or_b32 exec_lo, exec_lo, s2
	v_lshlrev_b32_e32 v5, 1, v39
	s_delay_alu instid0(VALU_DEP_1) | instskip(NEXT) | instid1(VALU_DEP_1)
	v_add_co_u32 v8, s0, v10, v5
	v_add_co_ci_u32_e64 v9, s0, 0, v11, s0
	flat_store_d16_hi_b16 v[8:9], v4 offset:32
.LBB409_1885:
	s_or_b32 exec_lo, exec_lo, s1
	v_or_b32_e32 v4, 32, v39
	s_delay_alu instid0(VALU_DEP_1) | instskip(NEXT) | instid1(VALU_DEP_1)
	v_cmp_gt_u32_e64 s0, 0x78, v4
	s_and_b32 s0, vcc_lo, s0
	s_delay_alu instid0(SALU_CYCLE_1)
	s_and_saveexec_b32 s1, s0
	s_cbranch_execz .LBB409_1891
; %bb.1886:
	v_and_b32_e32 v4, 0x7f800000, v6
	s_delay_alu instid0(VALU_DEP_1) | instskip(NEXT) | instid1(VALU_DEP_1)
	v_cmp_ne_u32_e64 s0, 0x7f800000, v4
                                        ; implicit-def: $vgpr4
	s_and_saveexec_b32 s2, s0
	s_delay_alu instid0(SALU_CYCLE_1)
	s_xor_b32 s0, exec_lo, s2
; %bb.1887:
	v_bfe_u32 v4, v6, 16, 1
	s_delay_alu instid0(VALU_DEP_1)
	v_add3_u32 v4, v6, v4, 0x7fff
; %bb.1888:
	s_and_not1_saveexec_b32 s2, s0
; %bb.1889:
	v_and_b32_e32 v4, 0xffff, v6
	v_or_b32_e32 v5, 0x10000, v6
	s_delay_alu instid0(VALU_DEP_2) | instskip(NEXT) | instid1(VALU_DEP_1)
	v_cmp_eq_u32_e64 s0, 0, v4
	v_cndmask_b32_e64 v4, v5, v6, s0
; %bb.1890:
	s_or_b32 exec_lo, exec_lo, s2
	v_lshlrev_b32_e32 v5, 1, v39
	s_delay_alu instid0(VALU_DEP_1) | instskip(NEXT) | instid1(VALU_DEP_1)
	v_add_co_u32 v5, s0, v10, v5
	v_add_co_ci_u32_e64 v6, s0, 0, v11, s0
	flat_store_d16_hi_b16 v[5:6], v4 offset:64
.LBB409_1891:
	;; [unrolled: 36-line block ×3, first 2 shown]
	s_or_b32 exec_lo, exec_lo, s1
	v_or_b32_e32 v3, 64, v39
	s_delay_alu instid0(VALU_DEP_1) | instskip(NEXT) | instid1(VALU_DEP_1)
	v_cmp_gt_u32_e64 s0, 0x78, v3
	s_and_b32 s0, vcc_lo, s0
	s_delay_alu instid0(SALU_CYCLE_1)
	s_and_saveexec_b32 s1, s0
	s_cbranch_execz .LBB409_1903
; %bb.1898:
	v_and_b32_e32 v3, 0x7f800000, v2
	s_delay_alu instid0(VALU_DEP_1) | instskip(NEXT) | instid1(VALU_DEP_1)
	v_cmp_ne_u32_e64 s0, 0x7f800000, v3
                                        ; implicit-def: $vgpr3
	s_and_saveexec_b32 s2, s0
	s_delay_alu instid0(SALU_CYCLE_1)
	s_xor_b32 s0, exec_lo, s2
; %bb.1899:
	v_bfe_u32 v3, v2, 16, 1
	s_delay_alu instid0(VALU_DEP_1)
	v_add3_u32 v3, v2, v3, 0x7fff
; %bb.1900:
	s_and_not1_saveexec_b32 s2, s0
; %bb.1901:
	v_and_b32_e32 v3, 0xffff, v2
	v_or_b32_e32 v4, 0x10000, v2
	s_delay_alu instid0(VALU_DEP_2) | instskip(NEXT) | instid1(VALU_DEP_1)
	v_cmp_eq_u32_e64 s0, 0, v3
	v_cndmask_b32_e64 v3, v4, v2, s0
; %bb.1902:
	s_or_b32 exec_lo, exec_lo, s2
	v_lshlrev_b32_e32 v2, 1, v39
	s_delay_alu instid0(VALU_DEP_1) | instskip(NEXT) | instid1(VALU_DEP_1)
	v_add_co_u32 v4, s0, v10, v2
	v_add_co_ci_u32_e64 v5, s0, 0, v11, s0
	flat_store_d16_hi_b16 v[4:5], v3 offset:128
.LBB409_1903:
	s_or_b32 exec_lo, exec_lo, s1
	v_or_b32_e32 v2, 0x50, v39
	s_delay_alu instid0(VALU_DEP_1) | instskip(NEXT) | instid1(VALU_DEP_1)
	v_cmp_gt_u32_e64 s0, 0x78, v2
	s_and_b32 s0, vcc_lo, s0
	s_delay_alu instid0(SALU_CYCLE_1)
	s_and_saveexec_b32 s1, s0
	s_cbranch_execz .LBB409_1909
; %bb.1904:
	v_and_b32_e32 v2, 0x7f800000, v1
	s_delay_alu instid0(VALU_DEP_1) | instskip(NEXT) | instid1(VALU_DEP_1)
	v_cmp_ne_u32_e64 s0, 0x7f800000, v2
                                        ; implicit-def: $vgpr2
	s_and_saveexec_b32 s2, s0
	s_delay_alu instid0(SALU_CYCLE_1)
	s_xor_b32 s0, exec_lo, s2
; %bb.1905:
	v_bfe_u32 v2, v1, 16, 1
	s_delay_alu instid0(VALU_DEP_1)
	v_add3_u32 v2, v1, v2, 0x7fff
; %bb.1906:
	s_and_not1_saveexec_b32 s2, s0
; %bb.1907:
	v_and_b32_e32 v2, 0xffff, v1
	v_or_b32_e32 v3, 0x10000, v1
	s_delay_alu instid0(VALU_DEP_2) | instskip(NEXT) | instid1(VALU_DEP_1)
	v_cmp_eq_u32_e64 s0, 0, v2
	v_cndmask_b32_e64 v2, v3, v1, s0
; %bb.1908:
	s_or_b32 exec_lo, exec_lo, s2
	v_lshlrev_b32_e32 v1, 1, v39
	s_delay_alu instid0(VALU_DEP_1) | instskip(NEXT) | instid1(VALU_DEP_1)
	v_add_co_u32 v3, s0, v10, v1
	v_add_co_ci_u32_e64 v4, s0, 0, v11, s0
	flat_store_d16_hi_b16 v[3:4], v2 offset:160
.LBB409_1909:
	s_or_b32 exec_lo, exec_lo, s1
	v_or_b32_e32 v1, 0x60, v39
	s_delay_alu instid0(VALU_DEP_1) | instskip(NEXT) | instid1(VALU_DEP_1)
	v_cmp_gt_u32_e64 s0, 0x78, v1
	s_and_b32 s0, vcc_lo, s0
	s_delay_alu instid0(SALU_CYCLE_1)
	s_and_saveexec_b32 s1, s0
	s_cbranch_execz .LBB409_1915
; %bb.1910:
	v_and_b32_e32 v1, 0x7f800000, v0
	s_delay_alu instid0(VALU_DEP_1) | instskip(NEXT) | instid1(VALU_DEP_1)
	v_cmp_ne_u32_e64 s0, 0x7f800000, v1
                                        ; implicit-def: $vgpr1
	s_and_saveexec_b32 s2, s0
	s_delay_alu instid0(SALU_CYCLE_1)
	s_xor_b32 s0, exec_lo, s2
; %bb.1911:
	v_bfe_u32 v1, v0, 16, 1
	s_delay_alu instid0(VALU_DEP_1)
	v_add3_u32 v1, v0, v1, 0x7fff
; %bb.1912:
	s_and_not1_saveexec_b32 s2, s0
; %bb.1913:
	v_and_b32_e32 v1, 0xffff, v0
	v_or_b32_e32 v2, 0x10000, v0
	s_delay_alu instid0(VALU_DEP_2) | instskip(NEXT) | instid1(VALU_DEP_1)
	v_cmp_eq_u32_e64 s0, 0, v1
	v_cndmask_b32_e64 v1, v2, v0, s0
; %bb.1914:
	s_or_b32 exec_lo, exec_lo, s2
	v_lshlrev_b32_e32 v0, 1, v39
	s_delay_alu instid0(VALU_DEP_1) | instskip(NEXT) | instid1(VALU_DEP_1)
	v_add_co_u32 v2, s0, v10, v0
	v_add_co_ci_u32_e64 v3, s0, 0, v11, s0
	flat_store_d16_hi_b16 v[2:3], v1 offset:192
.LBB409_1915:
	s_or_b32 exec_lo, exec_lo, s1
	v_or_b32_e32 v0, 0x70, v39
	s_delay_alu instid0(VALU_DEP_1) | instskip(NEXT) | instid1(VALU_DEP_1)
	v_cmp_gt_u32_e64 s0, 0x78, v0
	s_and_b32 s0, vcc_lo, s0
	s_delay_alu instid0(SALU_CYCLE_1)
	s_and_b32 exec_lo, exec_lo, s0
	s_cbranch_execz .LBB409_1921
; %bb.1916:
	v_and_b32_e32 v0, 0x7f800000, v7
	s_mov_b32 s0, exec_lo
                                        ; implicit-def: $vgpr8
	s_delay_alu instid0(VALU_DEP_1)
	v_cmpx_ne_u32_e32 0x7f800000, v0
	s_xor_b32 s0, exec_lo, s0
; %bb.1917:
	v_bfe_u32 v0, v7, 16, 1
	s_delay_alu instid0(VALU_DEP_1)
	v_add3_u32 v8, v7, v0, 0x7fff
                                        ; implicit-def: $vgpr0_vgpr1_vgpr2_vgpr3_vgpr4_vgpr5_vgpr6_vgpr7
; %bb.1918:
	s_and_not1_saveexec_b32 s0, s0
; %bb.1919:
	v_and_b32_e32 v0, 0xffff, v7
	v_or_b32_e32 v1, 0x10000, v7
	s_delay_alu instid0(VALU_DEP_2) | instskip(NEXT) | instid1(VALU_DEP_2)
	v_cmp_eq_u32_e32 vcc_lo, 0, v0
	v_cndmask_b32_e32 v8, v1, v7, vcc_lo
; %bb.1920:
	s_or_b32 exec_lo, exec_lo, s0
	v_lshlrev_b32_e32 v0, 1, v39
	s_delay_alu instid0(VALU_DEP_1)
	v_add_co_u32 v0, vcc_lo, v10, v0
	v_add_co_ci_u32_e32 v1, vcc_lo, 0, v11, vcc_lo
	flat_store_d16_hi_b16 v[0:1], v8 offset:224
.LBB409_1921:
	s_or_b32 exec_lo, exec_lo, s11
	s_clause 0x1f
	scratch_load_b32 v142, off, s32 offset:8
	scratch_load_b32 v141, off, s32 offset:12
	;; [unrolled: 1-line block ×32, first 2 shown]
	s_clause 0x16
	scratch_load_b32 v78, off, s32 offset:136
	scratch_load_b32 v77, off, s32 offset:140
	scratch_load_b32 v76, off, s32 offset:144
	scratch_load_b32 v75, off, s32 offset:148
	scratch_load_b32 v74, off, s32 offset:152
	scratch_load_b32 v73, off, s32 offset:156
	scratch_load_b32 v72, off, s32 offset:160
	scratch_load_b32 v63, off, s32 offset:164
	scratch_load_b32 v62, off, s32 offset:168
	scratch_load_b32 v61, off, s32 offset:172
	scratch_load_b32 v60, off, s32 offset:176
	scratch_load_b32 v59, off, s32 offset:180
	scratch_load_b32 v58, off, s32 offset:184
	scratch_load_b32 v57, off, s32 offset:188
	scratch_load_b32 v56, off, s32 offset:192
	scratch_load_b32 v47, off, s32 offset:196
	scratch_load_b32 v46, off, s32 offset:200
	scratch_load_b32 v45, off, s32 offset:204
	scratch_load_b32 v44, off, s32 offset:208
	scratch_load_b32 v43, off, s32 offset:212
	scratch_load_b32 v42, off, s32 offset:216
	scratch_load_b32 v41, off, s32 offset:220
	scratch_load_b32 v40, off, s32 offset:224
	s_waitcnt vmcnt(0) lgkmcnt(0)
	s_setpc_b64 s[30:31]
.LBB409_1922:
	v_lshl_add_u32 v11, v16, 2, v10
	ds_load_b32 v11, v11
	s_waitcnt lgkmcnt(0)
	v_add_f32_e32 v9, v9, v11
	s_or_b32 exec_lo, exec_lo, s0
	s_and_saveexec_b32 s0, vcc_lo
	s_cbranch_execz .LBB409_1846
.LBB409_1923:
	v_lshl_add_u32 v11, v16, 2, v10
	ds_load_b32 v11, v11 offset:64
	s_waitcnt lgkmcnt(0)
	v_add_f32_e32 v8, v8, v11
	s_or_b32 exec_lo, exec_lo, s0
	s_and_saveexec_b32 s0, vcc_lo
	s_cbranch_execz .LBB409_1847
.LBB409_1924:
	v_lshl_add_u32 v11, v16, 2, v10
	ds_load_b32 v11, v11 offset:128
	s_waitcnt lgkmcnt(0)
	v_add_f32_e32 v6, v6, v11
	s_or_b32 exec_lo, exec_lo, s0
	s_and_saveexec_b32 s0, vcc_lo
	s_cbranch_execz .LBB409_1848
.LBB409_1925:
	v_lshl_add_u32 v11, v16, 2, v10
	ds_load_b32 v11, v11 offset:192
	s_waitcnt lgkmcnt(0)
	v_add_f32_e32 v3, v3, v11
	s_or_b32 exec_lo, exec_lo, s0
	s_and_saveexec_b32 s0, vcc_lo
	s_cbranch_execz .LBB409_1849
.LBB409_1926:
	v_lshl_add_u32 v11, v16, 2, v10
	ds_load_b32 v11, v11 offset:256
	s_waitcnt lgkmcnt(0)
	v_add_f32_e32 v2, v2, v11
	s_or_b32 exec_lo, exec_lo, s0
	s_and_saveexec_b32 s0, vcc_lo
	s_cbranch_execz .LBB409_1850
.LBB409_1927:
	v_lshl_add_u32 v11, v16, 2, v10
	ds_load_b32 v11, v11 offset:320
	s_waitcnt lgkmcnt(0)
	v_add_f32_e32 v1, v1, v11
	s_or_b32 exec_lo, exec_lo, s0
	s_and_saveexec_b32 s0, vcc_lo
	s_cbranch_execnz .LBB409_1851
	s_branch .LBB409_1852
.LBB409_1928:
	ds_load_b32 v11, v10
	s_waitcnt lgkmcnt(0)
	v_add_f32_e32 v9, v9, v11
	s_or_b32 exec_lo, exec_lo, s1
	s_and_saveexec_b32 s1, vcc_lo
	s_cbranch_execz .LBB409_1863
.LBB409_1929:
	ds_load_b32 v11, v10 offset:64
	s_waitcnt lgkmcnt(0)
	v_add_f32_e32 v8, v8, v11
	s_or_b32 exec_lo, exec_lo, s1
	s_and_saveexec_b32 s1, vcc_lo
	s_cbranch_execz .LBB409_1864
.LBB409_1930:
	ds_load_b32 v11, v10 offset:128
	s_waitcnt lgkmcnt(0)
	v_add_f32_e32 v6, v6, v11
	s_or_b32 exec_lo, exec_lo, s1
	s_and_saveexec_b32 s1, vcc_lo
	s_cbranch_execz .LBB409_1865
.LBB409_1931:
	ds_load_b32 v11, v10 offset:192
	s_waitcnt lgkmcnt(0)
	v_add_f32_e32 v3, v3, v11
	s_or_b32 exec_lo, exec_lo, s1
	s_and_saveexec_b32 s1, vcc_lo
	s_cbranch_execz .LBB409_1866
.LBB409_1932:
	ds_load_b32 v11, v10 offset:256
	s_waitcnt lgkmcnt(0)
	v_add_f32_e32 v2, v2, v11
	s_or_b32 exec_lo, exec_lo, s1
	s_and_saveexec_b32 s1, vcc_lo
	s_cbranch_execz .LBB409_1867
.LBB409_1933:
	ds_load_b32 v11, v10 offset:320
	s_waitcnt lgkmcnt(0)
	v_add_f32_e32 v1, v1, v11
	s_or_b32 exec_lo, exec_lo, s1
	s_and_saveexec_b32 s1, vcc_lo
	s_cbranch_execnz .LBB409_1868
	s_branch .LBB409_1869
.Lfunc_end409:
	.size	_ZN4vllm22paged_attention_kernelI14__hip_bfloat16hLi120ELi16ELi128ELNS_18Fp8KVCacheDataTypeE1ELb1ELi512EEEvPfS3_PT_PKS4_PKT0_SA_ifPKiSC_iPKfiiiSE_SE_iiiii, .Lfunc_end409-_ZN4vllm22paged_attention_kernelI14__hip_bfloat16hLi120ELi16ELi128ELNS_18Fp8KVCacheDataTypeE1ELb1ELi512EEEvPfS3_PT_PKS4_PKT0_SA_ifPKiSC_iPKfiiiSE_SE_iiiii
                                        ; -- End function
	.section	.AMDGPU.csdata,"",@progbits
; Function info:
; codeLenInByte = 60120
; NumSgprs: 35
; NumVgprs: 184
; ScratchSize: 232
; MemoryBound: 0
	.section	.text._ZN4vllm25paged_attention_v2_kernelI14__hip_bfloat16hLi120ELi16ELi128ELNS_18Fp8KVCacheDataTypeE1ELb1ELi512EEEvPfS3_PT_PKS4_PKT0_SA_ifPKiSC_iPKfiiiSE_SE_iiiii,"axG",@progbits,_ZN4vllm25paged_attention_v2_kernelI14__hip_bfloat16hLi120ELi16ELi128ELNS_18Fp8KVCacheDataTypeE1ELb1ELi512EEEvPfS3_PT_PKS4_PKT0_SA_ifPKiSC_iPKfiiiSE_SE_iiiii,comdat
	.protected	_ZN4vllm25paged_attention_v2_kernelI14__hip_bfloat16hLi120ELi16ELi128ELNS_18Fp8KVCacheDataTypeE1ELb1ELi512EEEvPfS3_PT_PKS4_PKT0_SA_ifPKiSC_iPKfiiiSE_SE_iiiii ; -- Begin function _ZN4vllm25paged_attention_v2_kernelI14__hip_bfloat16hLi120ELi16ELi128ELNS_18Fp8KVCacheDataTypeE1ELb1ELi512EEEvPfS3_PT_PKS4_PKT0_SA_ifPKiSC_iPKfiiiSE_SE_iiiii
	.globl	_ZN4vllm25paged_attention_v2_kernelI14__hip_bfloat16hLi120ELi16ELi128ELNS_18Fp8KVCacheDataTypeE1ELb1ELi512EEEvPfS3_PT_PKS4_PKT0_SA_ifPKiSC_iPKfiiiSE_SE_iiiii
	.p2align	8
	.type	_ZN4vllm25paged_attention_v2_kernelI14__hip_bfloat16hLi120ELi16ELi128ELNS_18Fp8KVCacheDataTypeE1ELb1ELi512EEEvPfS3_PT_PKS4_PKT0_SA_ifPKiSC_iPKfiiiSE_SE_iiiii,@function
_ZN4vllm25paged_attention_v2_kernelI14__hip_bfloat16hLi120ELi16ELi128ELNS_18Fp8KVCacheDataTypeE1ELb1ELi512EEEvPfS3_PT_PKS4_PKT0_SA_ifPKiSC_iPKfiiiSE_SE_iiiii: ; @_ZN4vllm25paged_attention_v2_kernelI14__hip_bfloat16hLi120ELi16ELi128ELNS_18Fp8KVCacheDataTypeE1ELb1ELi512EEEvPfS3_PT_PKS4_PKT0_SA_ifPKiSC_iPKfiiiSE_SE_iiiii
; %bb.0:
	s_mov_b32 s12, s13
	s_clause 0x7
	s_load_b128 s[4:7], s[0:1], 0x78
	s_load_b32 s8, s[0:1], 0x88
	s_load_b256 s[24:31], s[0:1], 0x0
	s_load_b256 s[36:43], s[0:1], 0x20
	s_load_b64 s[2:3], s[0:1], 0x40
	s_load_b64 s[10:11], s[0:1], 0x50
	s_load_b32 s13, s[0:1], 0x48
	s_load_b256 s[16:23], s[0:1], 0x58
	s_mov_b32 s32, 0
	v_mov_b32_e32 v31, v0
	s_waitcnt lgkmcnt(0)
	v_dual_mov_b32 v1, s7 :: v_dual_mov_b32 v2, s8
	v_dual_mov_b32 v0, s24 :: v_dual_mov_b32 v3, s27
	;; [unrolled: 1-line block ×3, first 2 shown]
	v_mov_b32_e32 v6, s30
	scratch_store_b64 off, v[1:2], s32
	v_dual_mov_b32 v1, s25 :: v_dual_mov_b32 v2, s26
	v_dual_mov_b32 v7, s31 :: v_dual_mov_b32 v8, s36
	;; [unrolled: 1-line block ×13, first 2 shown]
	s_add_u32 s8, s0, 0x90
	s_addc_u32 s9, s1, 0
	s_mov_b32 s13, s14
	s_mov_b32 s14, s15
	;; [unrolled: 1-line block ×3, first 2 shown]
	s_getpc_b64 s[0:1]
	s_add_u32 s0, s0, _ZN4vllm22paged_attention_kernelI14__hip_bfloat16hLi120ELi16ELi128ELNS_18Fp8KVCacheDataTypeE1ELb1ELi512EEEvPfS3_PT_PKS4_PKT0_SA_ifPKiSC_iPKfiiiSE_SE_iiiii@rel32@lo+4
	s_addc_u32 s1, s1, _ZN4vllm22paged_attention_kernelI14__hip_bfloat16hLi120ELi16ELi128ELNS_18Fp8KVCacheDataTypeE1ELb1ELi512EEEvPfS3_PT_PKS4_PKT0_SA_ifPKiSC_iPKfiiiSE_SE_iiiii@rel32@hi+12
	s_delay_alu instid0(SALU_CYCLE_1)
	s_swappc_b64 s[30:31], s[0:1]
	s_endpgm
	.section	.rodata,"a",@progbits
	.p2align	6, 0x0
	.amdhsa_kernel _ZN4vllm25paged_attention_v2_kernelI14__hip_bfloat16hLi120ELi16ELi128ELNS_18Fp8KVCacheDataTypeE1ELb1ELi512EEEvPfS3_PT_PKS4_PKT0_SA_ifPKiSC_iPKfiiiSE_SE_iiiii
		.amdhsa_group_segment_fixed_size 272
		.amdhsa_private_segment_fixed_size 232
		.amdhsa_kernarg_size 400
		.amdhsa_user_sgpr_count 13
		.amdhsa_user_sgpr_dispatch_ptr 0
		.amdhsa_user_sgpr_queue_ptr 0
		.amdhsa_user_sgpr_kernarg_segment_ptr 1
		.amdhsa_user_sgpr_dispatch_id 0
		.amdhsa_user_sgpr_private_segment_size 0
		.amdhsa_wavefront_size32 1
		.amdhsa_uses_dynamic_stack 0
		.amdhsa_enable_private_segment 1
		.amdhsa_system_sgpr_workgroup_id_x 1
		.amdhsa_system_sgpr_workgroup_id_y 1
		.amdhsa_system_sgpr_workgroup_id_z 1
		.amdhsa_system_sgpr_workgroup_info 0
		.amdhsa_system_vgpr_workitem_id 0
		.amdhsa_next_free_vgpr 184
		.amdhsa_next_free_sgpr 44
		.amdhsa_reserve_vcc 1
		.amdhsa_float_round_mode_32 0
		.amdhsa_float_round_mode_16_64 0
		.amdhsa_float_denorm_mode_32 3
		.amdhsa_float_denorm_mode_16_64 3
		.amdhsa_dx10_clamp 1
		.amdhsa_ieee_mode 1
		.amdhsa_fp16_overflow 0
		.amdhsa_workgroup_processor_mode 1
		.amdhsa_memory_ordered 1
		.amdhsa_forward_progress 0
		.amdhsa_shared_vgpr_count 0
		.amdhsa_exception_fp_ieee_invalid_op 0
		.amdhsa_exception_fp_denorm_src 0
		.amdhsa_exception_fp_ieee_div_zero 0
		.amdhsa_exception_fp_ieee_overflow 0
		.amdhsa_exception_fp_ieee_underflow 0
		.amdhsa_exception_fp_ieee_inexact 0
		.amdhsa_exception_int_div_zero 0
	.end_amdhsa_kernel
	.section	.text._ZN4vllm25paged_attention_v2_kernelI14__hip_bfloat16hLi120ELi16ELi128ELNS_18Fp8KVCacheDataTypeE1ELb1ELi512EEEvPfS3_PT_PKS4_PKT0_SA_ifPKiSC_iPKfiiiSE_SE_iiiii,"axG",@progbits,_ZN4vllm25paged_attention_v2_kernelI14__hip_bfloat16hLi120ELi16ELi128ELNS_18Fp8KVCacheDataTypeE1ELb1ELi512EEEvPfS3_PT_PKS4_PKT0_SA_ifPKiSC_iPKfiiiSE_SE_iiiii,comdat
.Lfunc_end410:
	.size	_ZN4vllm25paged_attention_v2_kernelI14__hip_bfloat16hLi120ELi16ELi128ELNS_18Fp8KVCacheDataTypeE1ELb1ELi512EEEvPfS3_PT_PKS4_PKT0_SA_ifPKiSC_iPKfiiiSE_SE_iiiii, .Lfunc_end410-_ZN4vllm25paged_attention_v2_kernelI14__hip_bfloat16hLi120ELi16ELi128ELNS_18Fp8KVCacheDataTypeE1ELb1ELi512EEEvPfS3_PT_PKS4_PKT0_SA_ifPKiSC_iPKfiiiSE_SE_iiiii
                                        ; -- End function
	.section	.AMDGPU.csdata,"",@progbits
; Kernel info:
; codeLenInByte = 280
; NumSgprs: 46
; NumVgprs: 184
; ScratchSize: 232
; MemoryBound: 0
; FloatMode: 240
; IeeeMode: 1
; LDSByteSize: 272 bytes/workgroup (compile time only)
; SGPRBlocks: 5
; VGPRBlocks: 22
; NumSGPRsForWavesPerEU: 46
; NumVGPRsForWavesPerEU: 184
; Occupancy: 8
; WaveLimiterHint : 1
; COMPUTE_PGM_RSRC2:SCRATCH_EN: 1
; COMPUTE_PGM_RSRC2:USER_SGPR: 13
; COMPUTE_PGM_RSRC2:TRAP_HANDLER: 0
; COMPUTE_PGM_RSRC2:TGID_X_EN: 1
; COMPUTE_PGM_RSRC2:TGID_Y_EN: 1
; COMPUTE_PGM_RSRC2:TGID_Z_EN: 1
; COMPUTE_PGM_RSRC2:TIDIG_COMP_CNT: 0
	.text
	.p2align	2                               ; -- Begin function _ZN4vllm22paged_attention_kernelI14__hip_bfloat16hLi128ELi16ELi128ELNS_18Fp8KVCacheDataTypeE1ELb1ELi512EEEvPfS3_PT_PKS4_PKT0_SA_ifPKiSC_iPKfiiiSE_SE_iiiii
	.type	_ZN4vllm22paged_attention_kernelI14__hip_bfloat16hLi128ELi16ELi128ELNS_18Fp8KVCacheDataTypeE1ELb1ELi512EEEvPfS3_PT_PKS4_PKT0_SA_ifPKiSC_iPKfiiiSE_SE_iiiii,@function
_ZN4vllm22paged_attention_kernelI14__hip_bfloat16hLi128ELi16ELi128ELNS_18Fp8KVCacheDataTypeE1ELb1ELi512EEEvPfS3_PT_PKS4_PKT0_SA_ifPKiSC_iPKfiiiSE_SE_iiiii: ; @_ZN4vllm22paged_attention_kernelI14__hip_bfloat16hLi128ELi16ELi128ELNS_18Fp8KVCacheDataTypeE1ELb1ELi512EEEvPfS3_PT_PKS4_PKT0_SA_ifPKiSC_iPKfiiiSE_SE_iiiii
; %bb.0:
	s_waitcnt vmcnt(0) expcnt(0) lgkmcnt(0)
	s_clause 0x1f
	scratch_store_b32 off, v40, s32 offset:244
	; meta instruction
	scratch_store_b32 off, v41, s32 offset:240
	; meta instruction
	;; [unrolled: 2-line block ×31, first 2 shown]
	scratch_store_b32 off, v95, s32 offset:120
	s_clause 0x1b
	scratch_store_b32 off, v104, s32 offset:116
	; meta instruction
	scratch_store_b32 off, v105, s32 offset:112
	; meta instruction
	;; [unrolled: 2-line block ×27, first 2 shown]
	scratch_store_b32 off, v155, s32 offset:8
	s_mov_b32 s6, s13
	s_ashr_i32 s7, s13, 31
	s_lshl_b32 s5, s14, 9
	s_lshl_b64 s[0:1], s[6:7], 2
	s_mov_b32 s7, exec_lo
	v_add_co_u32 v16, vcc_lo, v16, s0
	v_add_co_ci_u32_e32 v17, vcc_lo, s1, v17, vcc_lo
	flat_load_b32 v83, v[16:17]
	s_clause 0x1
	scratch_load_b32 v32, off, s32 offset:4
	scratch_load_b32 v33, off, s32
	s_waitcnt vmcnt(2) lgkmcnt(0)
	v_cmpx_lt_i32_e64 s5, v83
	s_cbranch_execz .LBB411_1943
; %bb.1:
	v_sub_nc_u32_e32 v16, 0, v12
	s_clause 0x1
	s_load_b32 s0, s[8:9], 0x10
	s_load_b32 s1, s[8:9], 0x0
	s_mov_b32 s16, s15
	v_mov_b32_e32 v102, 0
	v_max_i32_e32 v16, v12, v16
	s_delay_alu instid0(VALU_DEP_1) | instskip(SKIP_1) | instid1(VALU_DEP_2)
	v_cvt_f32_u32_e32 v17, v16
	v_sub_nc_u32_e32 v34, 0, v16
	v_rcp_iflag_f32_e32 v17, v17
	s_waitcnt lgkmcnt(0)
	s_lshr_b32 s0, s0, 16
	s_delay_alu instid0(SALU_CYCLE_1) | instskip(SKIP_3) | instid1(SALU_CYCLE_1)
	s_cmp_lg_u32 s0, 0
	s_waitcnt_depctr 0xfff
	v_mul_f32_e32 v17, 0x4f7ffffe, v17
	s_cselect_b32 s0, -1, 0
	s_cmp_lg_u32 s0, 0
	s_delay_alu instid0(VALU_DEP_1) | instskip(SKIP_3) | instid1(VALU_DEP_1)
	v_cvt_u32_f32_e32 v17, v17
	s_addc_u32 s18, s1, 0
	s_abs_i32 s1, s12
	s_abs_i32 s0, s18
	v_mul_lo_u32 v34, v34, v17
	s_delay_alu instid0(VALU_DEP_1) | instskip(NEXT) | instid1(VALU_DEP_1)
	v_mul_hi_u32 v34, v17, v34
	v_add_nc_u32_e32 v17, v17, v34
	s_delay_alu instid0(VALU_DEP_1) | instskip(NEXT) | instid1(VALU_DEP_1)
	v_mul_hi_u32 v17, s0, v17
	v_mul_lo_u32 v34, v17, v16
	v_add_nc_u32_e32 v35, 1, v17
	s_delay_alu instid0(VALU_DEP_2) | instskip(SKIP_1) | instid1(VALU_DEP_1)
	v_sub_nc_u32_e32 v34, s0, v34
	s_mov_b32 s0, exec_lo
	v_sub_nc_u32_e32 v36, v34, v16
	v_cmp_ge_u32_e32 vcc_lo, v34, v16
	s_delay_alu instid0(VALU_DEP_2) | instskip(SKIP_1) | instid1(VALU_DEP_2)
	v_dual_cndmask_b32 v17, v17, v35 :: v_dual_cndmask_b32 v34, v34, v36
	v_xor_b32_e32 v35, s18, v12
	v_add_nc_u32_e32 v36, 1, v17
	s_delay_alu instid0(VALU_DEP_3) | instskip(NEXT) | instid1(VALU_DEP_3)
	v_cmp_ge_u32_e32 vcc_lo, v34, v16
	v_ashrrev_i32_e32 v35, 31, v35
	s_delay_alu instid0(VALU_DEP_3) | instskip(NEXT) | instid1(VALU_DEP_1)
	v_cndmask_b32_e32 v16, v17, v36, vcc_lo
	v_xor_b32_e32 v16, v16, v35
	s_delay_alu instid0(VALU_DEP_1) | instskip(NEXT) | instid1(VALU_DEP_1)
	v_sub_nc_u32_e32 v35, v16, v35
	v_sub_nc_u32_e32 v16, 0, v35
	s_delay_alu instid0(VALU_DEP_1) | instskip(NEXT) | instid1(VALU_DEP_1)
	v_max_i32_e32 v34, v35, v16
	v_cvt_f32_u32_e32 v16, v34
	v_sub_nc_u32_e32 v17, 0, v34
	s_delay_alu instid0(VALU_DEP_2) | instskip(SKIP_2) | instid1(VALU_DEP_1)
	v_rcp_iflag_f32_e32 v16, v16
	s_waitcnt_depctr 0xfff
	v_mul_f32_e32 v16, 0x4f7ffffe, v16
	v_cvt_u32_f32_e32 v16, v16
	s_delay_alu instid0(VALU_DEP_1) | instskip(NEXT) | instid1(VALU_DEP_1)
	v_mul_lo_u32 v17, v17, v16
	v_mul_hi_u32 v17, v16, v17
	s_delay_alu instid0(VALU_DEP_1) | instskip(NEXT) | instid1(VALU_DEP_1)
	v_add_nc_u32_e32 v36, v16, v17
	v_mad_u64_u32 v[16:17], null, s1, v36, 0
	v_cmpx_ne_u64_e32 0, v[19:20]
	s_cbranch_execz .LBB411_3
; %bb.2:
	s_ashr_i32 s13, s12, 31
	s_delay_alu instid0(SALU_CYCLE_1) | instskip(NEXT) | instid1(SALU_CYCLE_1)
	s_lshl_b64 s[2:3], s[12:13], 2
	v_add_co_u32 v19, vcc_lo, v19, s2
	v_add_co_ci_u32_e32 v20, vcc_lo, s3, v20, vcc_lo
	flat_load_b32 v102, v[19:20]
.LBB411_3:
	s_or_b32 exec_lo, exec_lo, s0
	v_and_b32_e32 v82, 0x3ff, v31
	v_ashrrev_i32_e32 v16, 31, v35
	s_ashr_i32 s2, s12, 31
	s_lshl_b32 s10, s12, 7
	s_delay_alu instid0(VALU_DEP_2) | instskip(SKIP_3) | instid1(VALU_DEP_2)
	v_lshrrev_b32_e32 v39, 1, v82
	v_and_b32_e32 v84, 1, v82
	v_cmp_gt_u32_e64 s0, 32, v82
	v_lshlrev_b32_e32 v98, 3, v82
	s_and_saveexec_b32 s3, s0
	s_cbranch_execz .LBB411_5
; %bb.4:
	v_mul_lo_u32 v19, s6, v21
	s_ashr_i32 s11, s10, 31
	s_delay_alu instid0(SALU_CYCLE_1) | instskip(NEXT) | instid1(VALU_DEP_1)
	s_lshl_b64 s[20:21], s[10:11], 1
	v_ashrrev_i32_e32 v20, 31, v19
	s_delay_alu instid0(VALU_DEP_1) | instskip(NEXT) | instid1(VALU_DEP_1)
	v_lshlrev_b64 v[19:20], 1, v[19:20]
	v_add_co_u32 v6, vcc_lo, v6, v19
	s_delay_alu instid0(VALU_DEP_2) | instskip(SKIP_1) | instid1(VALU_DEP_3)
	v_add_co_ci_u32_e32 v7, vcc_lo, v7, v20, vcc_lo
	v_lshlrev_b32_e32 v19, 3, v39
	v_add_co_u32 v6, vcc_lo, v6, s20
	s_delay_alu instid0(VALU_DEP_3) | instskip(NEXT) | instid1(VALU_DEP_3)
	v_add_co_ci_u32_e32 v7, vcc_lo, s21, v7, vcc_lo
	v_lshl_add_u32 v19, v84, 7, v19
	s_delay_alu instid0(VALU_DEP_3) | instskip(NEXT) | instid1(VALU_DEP_3)
	v_add_co_u32 v6, vcc_lo, v6, v98
	v_add_co_ci_u32_e32 v7, vcc_lo, 0, v7, vcc_lo
	flat_load_b64 v[6:7], v[6:7]
	s_waitcnt vmcnt(0) lgkmcnt(0)
	ds_store_b64 v19, v[6:7]
.LBB411_5:
	s_or_b32 exec_lo, exec_lo, s3
	s_waitcnt vmcnt(0)
	v_sub_nc_u32_e32 v6, 0, v33
	v_mul_lo_u32 v7, v17, v34
	v_add_nc_u32_e32 v20, 1, v17
	v_xor_b32_e32 v35, s2, v16
	s_waitcnt lgkmcnt(0)
	s_waitcnt_vscnt null, 0x0
	v_max_i32_e32 v85, v33, v6
	s_barrier
	buffer_gl0_inv
	v_sub_nc_u32_e32 v7, s1, v7
	v_cvt_f32_u32_e32 v6, v85
	v_sub_nc_u32_e32 v19, 0, v85
	s_mov_b32 s1, exec_lo
	s_delay_alu instid0(VALU_DEP_3) | instskip(NEXT) | instid1(VALU_DEP_3)
	v_cmp_ge_u32_e32 vcc_lo, v7, v34
	v_rcp_iflag_f32_e32 v6, v6
	v_sub_nc_u32_e32 v21, v7, v34
	v_dual_cndmask_b32 v20, v17, v20 :: v_dual_add_nc_u32 v17, -1, v83
	s_delay_alu instid0(VALU_DEP_2) | instskip(SKIP_4) | instid1(VALU_DEP_3)
	v_cndmask_b32_e32 v7, v7, v21, vcc_lo
	s_waitcnt_depctr 0xfff
	v_dual_mul_f32 v6, 0x4f7ffffe, v6 :: v_dual_add_nc_u32 v21, 1, v20
	v_cmp_ge_u32_e32 vcc_lo, v7, v34
	v_sub_nc_u32_e32 v31, 0, v17
	v_cvt_u32_f32_e32 v6, v6
	s_delay_alu instid0(VALU_DEP_2) | instskip(NEXT) | instid1(VALU_DEP_2)
	v_max_i32_e32 v16, v17, v31
	v_mul_lo_u32 v19, v19, v6
	s_delay_alu instid0(VALU_DEP_1) | instskip(SKIP_1) | instid1(VALU_DEP_2)
	v_mul_hi_u32 v19, v6, v19
	v_cndmask_b32_e32 v7, v20, v21, vcc_lo
                                        ; implicit-def: $vgpr20
	v_add_nc_u32_e32 v86, v6, v19
	s_delay_alu instid0(VALU_DEP_2) | instskip(NEXT) | instid1(VALU_DEP_2)
	v_xor_b32_e32 v19, v7, v35
	v_mad_u64_u32 v[6:7], null, v16, v86, 0
	s_delay_alu instid0(VALU_DEP_2)
	v_sub_nc_u32_e32 v6, v19, v35
	v_cmpx_gt_i32_e32 0, v32
	s_xor_b32 s1, exec_lo, s1
; %bb.6:
	s_delay_alu instid0(VALU_DEP_2) | instskip(NEXT) | instid1(VALU_DEP_1)
	v_mad_u64_u32 v[19:20], null, v28, v12, v[6:7]
                                        ; implicit-def: $vgpr28
	v_mul_lo_u32 v12, v19, v32
                                        ; implicit-def: $vgpr32
	s_delay_alu instid0(VALU_DEP_1)
	v_sub_nc_u32_e32 v20, 1, v12
; %bb.7:
	s_or_saveexec_b32 s1, s1
	v_ashrrev_i32_e32 v12, 31, v17
	v_ashrrev_i32_e32 v87, 31, v33
	s_xor_b32 exec_lo, exec_lo, s1
; %bb.8:
	v_mad_u64_u32 v[19:20], null, s18, v28, s[12:13]
	s_delay_alu instid0(VALU_DEP_1)
	v_mad_u64_u32 v[20:21], null, v19, v32, 1
; %bb.9:
	s_or_b32 exec_lo, exec_lo, s1
	v_mul_lo_u32 v17, v7, v85
	v_dual_mov_b32 v112, 0xff7fffff :: v_dual_add_nc_u32 v19, 15, v83
	v_add_nc_u32_e32 v21, 1, v7
	v_xor_b32_e32 v31, v12, v87
	s_clause 0x1
	s_load_b32 s15, s[8:9], 0x14
	s_load_b32 s11, s[8:9], 0x8
	s_lshl_b32 s13, s14, 5
	v_sub_nc_u32_e32 v100, 0, v30
	v_sub_nc_u32_e32 v17, v16, v17
	v_mul_lo_u32 v16, s6, v18
	v_ashrrev_i32_e32 v18, 31, v19
	s_add_i32 s1, s13, 32
	v_mbcnt_lo_u32_b32 v103, -1, 0
	v_sub_nc_u32_e32 v28, v17, v85
	v_cmp_ge_u32_e32 vcc_lo, v17, v85
	v_lshrrev_b32_e32 v12, 28, v18
	v_cndmask_b32_e32 v7, v7, v21, vcc_lo
	s_delay_alu instid0(VALU_DEP_4) | instskip(NEXT) | instid1(VALU_DEP_3)
	v_cndmask_b32_e32 v17, v17, v28, vcc_lo
	v_add_nc_u32_e32 v19, v19, v12
	v_lshrrev_b32_e32 v21, 5, v82
	v_mul_lo_u32 v12, v6, v23
	v_add_nc_u32_e32 v18, 1, v7
	v_cmp_ge_u32_e32 vcc_lo, v17, v85
	v_ashrrev_i32_e32 v99, 4, v19
	v_ashrrev_i32_e32 v17, 31, v16
	v_or_b32_e32 v64, s13, v21
	v_lshl_add_u32 v23, v21, 4, s5
	v_cndmask_b32_e32 v7, v7, v18, vcc_lo
	v_min_i32_e32 v96, s1, v99
	v_lshlrev_b64 v[66:67], 2, v[16:17]
	v_ashrrev_i32_e32 v101, 31, v12
	v_ashrrev_i32_e32 v65, 31, v64
	v_xor_b32_e32 v6, v7, v31
	v_cmp_lt_i32_e64 s1, v64, v96
	s_delay_alu instid0(VALU_DEP_2) | instskip(NEXT) | instid1(VALU_DEP_1)
	v_sub_nc_u32_e32 v6, v6, v31
	v_sub_nc_u32_e32 v97, v6, v29
	s_delay_alu instid0(VALU_DEP_3)
	s_and_saveexec_b32 s19, s1
	s_cbranch_execz .LBB411_787
; %bb.10:
	v_max_i32_e32 v113, v30, v100
	v_bfe_u32 v114, v82, 1, 4
	s_ashr_i32 s17, s16, 31
	s_getpc_b64 s[8:9]
	s_add_u32 s8, s8, llvm.amdgcn.dynlds.offset.table@rel32@lo+4
	s_addc_u32 s9, s9, llvm.amdgcn.dynlds.offset.table@rel32@hi+12
	s_lshl_b64 s[20:21], s[16:17], 2
	v_cvt_f32_u32_e32 v6, v113
	v_sub_nc_u32_e32 v17, 0, v113
	s_add_u32 s8, s20, s8
	s_addc_u32 s9, s21, s9
	v_add_co_u32 v8, s2, v8, v12
	v_rcp_iflag_f32_e32 v16, v6
	s_load_b32 s17, s[8:9], 0x0
	v_lshlrev_b64 v[6:7], 2, v[64:65]
	v_lshlrev_b32_e32 v18, 4, v114
	v_add_co_ci_u32_e64 v9, s2, v9, v101, s2
	v_sub_nc_u32_e32 v28, v114, v83
	v_cmp_eq_u32_e32 vcc_lo, 0, v84
	v_add_co_u32 v6, s3, v66, v6
	s_delay_alu instid0(TRANS32_DEP_1) | instskip(SKIP_2) | instid1(VALU_DEP_3)
	v_dual_mul_f32 v16, 0x4f7ffffe, v16 :: v_dual_lshlrev_b32 v19, 2, v114
	v_add_co_ci_u32_e64 v7, s3, v67, v7, s3
	v_add_co_u32 v68, s3, v8, v18
	v_cvt_u32_f32_e32 v16, v16
	v_add_co_ci_u32_e64 v69, s3, 0, v9, s3
	v_add_co_u32 v70, s3, v14, v6
	s_delay_alu instid0(VALU_DEP_3)
	v_mul_lo_u32 v17, v17, v16
	v_dual_mov_b32 v29, 0 :: v_dual_lshlrev_b32 v116, 7, v84
	v_dual_mov_b32 v118, 0xff7fffff :: v_dual_lshlrev_b32 v115, 2, v84
	v_cmp_neq_f32_e64 s2, 0, v102
	v_lshl_add_u32 v117, v21, 4, s5
	v_lshl_or_b32 v119, v21, 6, v19
	v_mul_hi_u32 v17, v16, v17
	v_mov_b32_e32 v112, 0xff7fffff
	v_add_nc_u32_e32 v128, 1, v28
	v_add_co_ci_u32_e64 v71, s3, v15, v7, s3
	v_mov_b32_e32 v130, v64
	s_mov_b32 s20, 0
	v_add_nc_u32_e32 v129, v16, v17
	s_branch .LBB411_13
.LBB411_11:                             ;   in Loop: Header=BB411_13 Depth=1
	s_or_b32 exec_lo, exec_lo, s21
.LBB411_12:                             ;   in Loop: Header=BB411_13 Depth=1
	s_delay_alu instid0(SALU_CYCLE_1) | instskip(SKIP_2) | instid1(VALU_DEP_1)
	s_or_b32 exec_lo, exec_lo, s4
	v_add_nc_u32_e32 v130, 4, v130
	v_add_co_u32 v70, s4, v70, 16
	v_add_co_ci_u32_e64 v71, s4, 0, v71, s4
	s_delay_alu instid0(VALU_DEP_3) | instskip(SKIP_2) | instid1(VALU_DEP_3)
	v_cmp_ge_i32_e64 s3, v130, v96
	v_add_nc_u32_e32 v117, 64, v117
	v_add_nc_u32_e32 v119, 0x100, v119
	s_or_b32 s20, s3, s20
	s_delay_alu instid0(SALU_CYCLE_1)
	s_and_not1_b32 exec_lo, exec_lo, s20
	s_cbranch_execz .LBB411_786
.LBB411_13:                             ; =>This Inner Loop Header: Depth=1
	v_sub_nc_u32_e32 v6, 0, v117
	s_delay_alu instid0(VALU_DEP_1) | instskip(SKIP_1) | instid1(VALU_DEP_1)
	v_max_i32_e32 v6, v117, v6
	s_waitcnt lgkmcnt(0)
	v_mul_hi_u32 v7, v6, v86
	s_delay_alu instid0(VALU_DEP_1) | instskip(NEXT) | instid1(VALU_DEP_1)
	v_mul_lo_u32 v8, v7, v85
	v_sub_nc_u32_e32 v6, v6, v8
	v_add_nc_u32_e32 v8, 1, v7
	s_delay_alu instid0(VALU_DEP_2) | instskip(SKIP_1) | instid1(VALU_DEP_1)
	v_sub_nc_u32_e32 v9, v6, v85
	v_cmp_ge_u32_e64 s3, v6, v85
	v_cndmask_b32_e64 v7, v7, v8, s3
	s_delay_alu instid0(VALU_DEP_3) | instskip(SKIP_1) | instid1(VALU_DEP_3)
	v_cndmask_b32_e64 v6, v6, v9, s3
	v_ashrrev_i32_e32 v8, 31, v117
	v_add_nc_u32_e32 v9, 1, v7
	s_delay_alu instid0(VALU_DEP_3) | instskip(NEXT) | instid1(VALU_DEP_3)
	v_cmp_ge_u32_e64 s3, v6, v85
	v_xor_b32_e32 v8, v8, v87
	s_delay_alu instid0(VALU_DEP_2) | instskip(NEXT) | instid1(VALU_DEP_1)
	v_cndmask_b32_e64 v6, v7, v9, s3
	v_xor_b32_e32 v6, v6, v8
	s_delay_alu instid0(VALU_DEP_1) | instskip(NEXT) | instid1(VALU_DEP_1)
	v_sub_nc_u32_e32 v6, v6, v8
	v_add_nc_u32_e32 v7, v6, v20
	v_cmp_le_i32_e64 s4, v6, v97
	s_delay_alu instid0(VALU_DEP_2) | instskip(NEXT) | instid1(VALU_DEP_1)
	v_sub_nc_u32_e32 v8, 0, v7
	v_max_i32_e32 v8, v7, v8
	v_ashrrev_i32_e32 v7, 31, v7
	s_delay_alu instid0(VALU_DEP_2) | instskip(NEXT) | instid1(VALU_DEP_1)
	v_mul_hi_u32 v9, v8, v129
	v_mul_lo_u32 v9, v9, v113
	s_delay_alu instid0(VALU_DEP_1) | instskip(NEXT) | instid1(VALU_DEP_1)
	v_sub_nc_u32_e32 v8, v8, v9
	v_sub_nc_u32_e32 v9, v8, v113
	v_cmp_ge_u32_e64 s3, v8, v113
	s_delay_alu instid0(VALU_DEP_1) | instskip(NEXT) | instid1(VALU_DEP_1)
	v_cndmask_b32_e64 v8, v8, v9, s3
	v_sub_nc_u32_e32 v9, v8, v113
	v_cmp_ge_u32_e64 s3, v8, v113
	s_delay_alu instid0(VALU_DEP_1) | instskip(NEXT) | instid1(VALU_DEP_1)
	v_cndmask_b32_e64 v8, v8, v9, s3
	v_xor_b32_e32 v8, v8, v7
	s_delay_alu instid0(VALU_DEP_1) | instskip(NEXT) | instid1(VALU_DEP_1)
	v_sub_nc_u32_e32 v7, v8, v7
	v_cmp_ne_u32_e64 s3, 0, v7
	s_delay_alu instid0(VALU_DEP_1) | instskip(NEXT) | instid1(SALU_CYCLE_1)
	s_and_b32 s3, s3, s4
	s_and_b32 s21, vcc_lo, s3
	s_delay_alu instid0(SALU_CYCLE_1)
	s_and_saveexec_b32 s4, s21
	s_cbranch_execz .LBB411_15
; %bb.14:                               ;   in Loop: Header=BB411_13 Depth=1
	s_waitcnt lgkmcnt(0)
	v_add_nc_u32_e32 v6, s17, v119
	ds_store_b32 v6, v118
.LBB411_15:                             ;   in Loop: Header=BB411_13 Depth=1
	s_or_b32 exec_lo, exec_lo, s4
	s_xor_b32 s3, s3, -1
	s_delay_alu instid0(SALU_CYCLE_1)
	s_and_saveexec_b32 s4, s3
	s_cbranch_execz .LBB411_12
; %bb.16:                               ;   in Loop: Header=BB411_13 Depth=1
	flat_load_b32 v8, v[70:71]
	v_mov_b32_e32 v28, 0
	s_mov_b32 s21, exec_lo
	s_waitcnt vmcnt(0) lgkmcnt(0)
	v_mad_i64_i32 v[6:7], null, v8, v22, v[68:69]
	s_delay_alu instid0(VALU_DEP_1) | instskip(NEXT) | instid1(VALU_DEP_1)
	v_add_co_u32 v80, s3, v6, v115
	v_add_co_ci_u32_e64 v81, s3, 0, v7, s3
	flat_load_b32 v145, v[80:81]
	flat_load_b32 v133, v[24:25]
	ds_load_b128 v[52:55], v116
	ds_load_b128 v[48:51], v116 offset:16
	ds_load_b128 v[35:38], v116 offset:32
	;; [unrolled: 1-line block ×5, first 2 shown]
	ds_load_b32 v131, v116 offset:96
	ds_load_u16 v132, v116 offset:100
	s_waitcnt vmcnt(1) lgkmcnt(9)
	v_and_b32_e32 v134, 0xff, v145
	s_delay_alu instid0(VALU_DEP_1)
	v_cmpx_ne_u16_e64 0, v134
	s_cbranch_execz .LBB411_24
; %bb.17:                               ;   in Loop: Header=BB411_13 Depth=1
	v_bfrev_b32_e32 v28, 1
	s_mov_b32 s22, exec_lo
	v_cmpx_ne_u16_e64 0x80, v134
	s_cbranch_execz .LBB411_23
; %bb.18:                               ;   in Loop: Header=BB411_13 Depth=1
	v_and_b32_e32 v135, 0x7f, v145
	v_mov_b32_e32 v28, 0x7f800001
	s_mov_b32 s23, exec_lo
	s_delay_alu instid0(VALU_DEP_2)
	v_cmpx_ne_u32_e32 0x7f, v135
	s_cbranch_execz .LBB411_22
; %bb.19:                               ;   in Loop: Header=BB411_13 Depth=1
	v_and_b32_e32 v28, 7, v145
	v_lshrrev_b32_e32 v134, 3, v135
	s_mov_b32 s24, exec_lo
	v_cmpx_gt_u32_e32 8, v135
; %bb.20:                               ;   in Loop: Header=BB411_13 Depth=1
	s_delay_alu instid0(VALU_DEP_3) | instskip(NEXT) | instid1(VALU_DEP_1)
	v_clz_i32_u32_e32 v134, v28
	v_min_u32_e32 v134, 32, v134
	s_delay_alu instid0(VALU_DEP_1) | instskip(SKIP_1) | instid1(VALU_DEP_2)
	v_subrev_nc_u32_e32 v135, 28, v134
	v_sub_nc_u32_e32 v134, 29, v134
	v_lshlrev_b64 v[146:147], v135, v[28:29]
	s_delay_alu instid0(VALU_DEP_1)
	v_and_b32_e32 v28, 7, v146
; %bb.21:                               ;   in Loop: Header=BB411_13 Depth=1
	s_or_b32 exec_lo, exec_lo, s24
	v_lshlrev_b32_e32 v135, 24, v145
	s_delay_alu instid0(VALU_DEP_2) | instskip(SKIP_1) | instid1(VALU_DEP_3)
	v_lshlrev_b32_e32 v28, 20, v28
	v_lshl_add_u32 v134, v134, 23, 0x3c000000
	v_and_b32_e32 v135, 0x80000000, v135
	s_delay_alu instid0(VALU_DEP_1)
	v_or3_b32 v28, v28, v135, v134
.LBB411_22:                             ;   in Loop: Header=BB411_13 Depth=1
	s_or_b32 exec_lo, exec_lo, s23
.LBB411_23:                             ;   in Loop: Header=BB411_13 Depth=1
	s_delay_alu instid0(SALU_CYCLE_1)
	s_or_b32 exec_lo, exec_lo, s22
.LBB411_24:                             ;   in Loop: Header=BB411_13 Depth=1
	s_delay_alu instid0(SALU_CYCLE_1) | instskip(SKIP_2) | instid1(VALU_DEP_1)
	s_or_b32 exec_lo, exec_lo, s21
	s_waitcnt vmcnt(0) lgkmcnt(8)
	v_mul_f32_e32 v28, v133, v28
	v_and_b32_e32 v134, 0x7f800000, v28
	s_delay_alu instid0(VALU_DEP_1) | instskip(NEXT) | instid1(VALU_DEP_1)
	v_cmp_ne_u32_e64 s3, 0x7f800000, v134
                                        ; implicit-def: $vgpr134
	s_and_saveexec_b32 s21, s3
	s_delay_alu instid0(SALU_CYCLE_1)
	s_xor_b32 s3, exec_lo, s21
; %bb.25:                               ;   in Loop: Header=BB411_13 Depth=1
	v_bfe_u32 v134, v28, 16, 1
	s_delay_alu instid0(VALU_DEP_1)
	v_add3_u32 v134, v28, v134, 0x7fff
                                        ; implicit-def: $vgpr28
; %bb.26:                               ;   in Loop: Header=BB411_13 Depth=1
	s_and_not1_saveexec_b32 s21, s3
; %bb.27:                               ;   in Loop: Header=BB411_13 Depth=1
	v_and_b32_e32 v134, 0xffff, v28
	v_or_b32_e32 v135, 0x10000, v28
	s_delay_alu instid0(VALU_DEP_2) | instskip(NEXT) | instid1(VALU_DEP_1)
	v_cmp_eq_u32_e64 s3, 0, v134
	v_cndmask_b32_e64 v134, v135, v28, s3
; %bb.28:                               ;   in Loop: Header=BB411_13 Depth=1
	s_or_b32 exec_lo, exec_lo, s21
	v_lshrrev_b16 v135, 8, v145
	v_mov_b32_e32 v28, 0
	s_mov_b32 s21, exec_lo
	s_delay_alu instid0(VALU_DEP_2)
	v_cmpx_ne_u16_e64 0, v135
	s_cbranch_execz .LBB411_36
; %bb.29:                               ;   in Loop: Header=BB411_13 Depth=1
	v_bfrev_b32_e32 v28, 1
	s_mov_b32 s22, exec_lo
	v_cmpx_ne_u16_e64 0x80, v135
	s_cbranch_execz .LBB411_35
; %bb.30:                               ;   in Loop: Header=BB411_13 Depth=1
	v_and_b32_e32 v135, 0xffff, v135
	v_mov_b32_e32 v28, 0x7f800001
	s_mov_b32 s23, exec_lo
	s_delay_alu instid0(VALU_DEP_2) | instskip(NEXT) | instid1(VALU_DEP_1)
	v_and_b32_e32 v144, 0x7f, v135
	v_cmpx_ne_u32_e32 0x7f, v144
	s_cbranch_execz .LBB411_34
; %bb.31:                               ;   in Loop: Header=BB411_13 Depth=1
	v_and_b32_e32 v28, 7, v135
	v_lshrrev_b32_e32 v135, 3, v144
	s_mov_b32 s24, exec_lo
	v_cmpx_gt_u32_e32 8, v144
; %bb.32:                               ;   in Loop: Header=BB411_13 Depth=1
	s_delay_alu instid0(VALU_DEP_3) | instskip(NEXT) | instid1(VALU_DEP_1)
	v_clz_i32_u32_e32 v135, v28
	v_min_u32_e32 v135, 32, v135
	s_delay_alu instid0(VALU_DEP_1) | instskip(SKIP_1) | instid1(VALU_DEP_2)
	v_subrev_nc_u32_e32 v144, 28, v135
	v_sub_nc_u32_e32 v135, 29, v135
	v_lshlrev_b64 v[146:147], v144, v[28:29]
	s_delay_alu instid0(VALU_DEP_1)
	v_and_b32_e32 v28, 7, v146
; %bb.33:                               ;   in Loop: Header=BB411_13 Depth=1
	s_or_b32 exec_lo, exec_lo, s24
	v_lshlrev_b32_e32 v144, 16, v145
	s_delay_alu instid0(VALU_DEP_2) | instskip(SKIP_1) | instid1(VALU_DEP_3)
	v_lshlrev_b32_e32 v28, 20, v28
	v_lshl_add_u32 v135, v135, 23, 0x3c000000
	v_and_b32_e32 v144, 0x80000000, v144
	s_delay_alu instid0(VALU_DEP_1)
	v_or3_b32 v28, v28, v144, v135
.LBB411_34:                             ;   in Loop: Header=BB411_13 Depth=1
	s_or_b32 exec_lo, exec_lo, s23
.LBB411_35:                             ;   in Loop: Header=BB411_13 Depth=1
	s_delay_alu instid0(SALU_CYCLE_1)
	s_or_b32 exec_lo, exec_lo, s22
.LBB411_36:                             ;   in Loop: Header=BB411_13 Depth=1
	s_delay_alu instid0(SALU_CYCLE_1) | instskip(NEXT) | instid1(VALU_DEP_1)
	s_or_b32 exec_lo, exec_lo, s21
	v_mul_f32_e32 v28, v133, v28
	s_delay_alu instid0(VALU_DEP_1) | instskip(NEXT) | instid1(VALU_DEP_1)
	v_and_b32_e32 v135, 0x7f800000, v28
	v_cmp_ne_u32_e64 s3, 0x7f800000, v135
                                        ; implicit-def: $vgpr135
	s_delay_alu instid0(VALU_DEP_1) | instskip(NEXT) | instid1(SALU_CYCLE_1)
	s_and_saveexec_b32 s21, s3
	s_xor_b32 s3, exec_lo, s21
; %bb.37:                               ;   in Loop: Header=BB411_13 Depth=1
	v_bfe_u32 v135, v28, 16, 1
	s_delay_alu instid0(VALU_DEP_1)
	v_add3_u32 v135, v28, v135, 0x7fff
                                        ; implicit-def: $vgpr28
; %bb.38:                               ;   in Loop: Header=BB411_13 Depth=1
	s_and_not1_saveexec_b32 s21, s3
; %bb.39:                               ;   in Loop: Header=BB411_13 Depth=1
	v_and_b32_e32 v135, 0xffff, v28
	v_or_b32_e32 v144, 0x10000, v28
	s_delay_alu instid0(VALU_DEP_2) | instskip(NEXT) | instid1(VALU_DEP_1)
	v_cmp_eq_u32_e64 s3, 0, v135
	v_cndmask_b32_e64 v135, v144, v28, s3
; %bb.40:                               ;   in Loop: Header=BB411_13 Depth=1
	s_or_b32 exec_lo, exec_lo, s21
	v_lshrrev_b32_e32 v144, 16, v145
	v_mov_b32_e32 v28, 0
	s_mov_b32 s21, exec_lo
	s_delay_alu instid0(VALU_DEP_2) | instskip(NEXT) | instid1(VALU_DEP_1)
	v_and_b32_e32 v146, 0xff, v144
	v_cmpx_ne_u16_e64 0, v146
	s_cbranch_execz .LBB411_48
; %bb.41:                               ;   in Loop: Header=BB411_13 Depth=1
	v_bfrev_b32_e32 v28, 1
	s_mov_b32 s22, exec_lo
	v_cmpx_ne_u16_e64 0x80, v146
	s_cbranch_execz .LBB411_47
; %bb.42:                               ;   in Loop: Header=BB411_13 Depth=1
	v_bfe_u32 v147, v145, 16, 7
	v_mov_b32_e32 v28, 0x7f800001
	s_mov_b32 s23, exec_lo
	s_delay_alu instid0(VALU_DEP_2)
	v_cmpx_ne_u32_e32 0x7f, v147
	s_cbranch_execz .LBB411_46
; %bb.43:                               ;   in Loop: Header=BB411_13 Depth=1
	v_and_b32_e32 v28, 7, v144
	v_lshrrev_b32_e32 v146, 3, v147
	s_mov_b32 s24, exec_lo
	v_cmpx_gt_u32_e32 8, v147
; %bb.44:                               ;   in Loop: Header=BB411_13 Depth=1
	s_delay_alu instid0(VALU_DEP_3) | instskip(NEXT) | instid1(VALU_DEP_1)
	v_clz_i32_u32_e32 v146, v28
	v_min_u32_e32 v146, 32, v146
	s_delay_alu instid0(VALU_DEP_1) | instskip(SKIP_1) | instid1(VALU_DEP_2)
	v_subrev_nc_u32_e32 v147, 28, v146
	v_sub_nc_u32_e32 v146, 29, v146
	v_lshlrev_b64 v[147:148], v147, v[28:29]
	s_delay_alu instid0(VALU_DEP_1)
	v_and_b32_e32 v28, 7, v147
; %bb.45:                               ;   in Loop: Header=BB411_13 Depth=1
	s_or_b32 exec_lo, exec_lo, s24
	v_lshlrev_b32_e32 v144, 24, v144
	s_delay_alu instid0(VALU_DEP_2) | instskip(SKIP_1) | instid1(VALU_DEP_3)
	v_lshlrev_b32_e32 v28, 20, v28
	v_lshl_add_u32 v146, v146, 23, 0x3c000000
	v_and_b32_e32 v144, 0x80000000, v144
	s_delay_alu instid0(VALU_DEP_1)
	v_or3_b32 v28, v28, v144, v146
.LBB411_46:                             ;   in Loop: Header=BB411_13 Depth=1
	s_or_b32 exec_lo, exec_lo, s23
.LBB411_47:                             ;   in Loop: Header=BB411_13 Depth=1
	s_delay_alu instid0(SALU_CYCLE_1)
	s_or_b32 exec_lo, exec_lo, s22
.LBB411_48:                             ;   in Loop: Header=BB411_13 Depth=1
	s_delay_alu instid0(SALU_CYCLE_1) | instskip(NEXT) | instid1(VALU_DEP_1)
	s_or_b32 exec_lo, exec_lo, s21
	v_mul_f32_e32 v28, v133, v28
	s_delay_alu instid0(VALU_DEP_1) | instskip(NEXT) | instid1(VALU_DEP_1)
	v_and_b32_e32 v144, 0x7f800000, v28
	v_cmp_ne_u32_e64 s3, 0x7f800000, v144
                                        ; implicit-def: $vgpr144
	s_delay_alu instid0(VALU_DEP_1) | instskip(NEXT) | instid1(SALU_CYCLE_1)
	s_and_saveexec_b32 s21, s3
	s_xor_b32 s3, exec_lo, s21
; %bb.49:                               ;   in Loop: Header=BB411_13 Depth=1
	v_bfe_u32 v144, v28, 16, 1
	s_delay_alu instid0(VALU_DEP_1)
	v_add3_u32 v144, v28, v144, 0x7fff
                                        ; implicit-def: $vgpr28
; %bb.50:                               ;   in Loop: Header=BB411_13 Depth=1
	s_and_not1_saveexec_b32 s21, s3
; %bb.51:                               ;   in Loop: Header=BB411_13 Depth=1
	v_and_b32_e32 v144, 0xffff, v28
	v_or_b32_e32 v146, 0x10000, v28
	s_delay_alu instid0(VALU_DEP_2) | instskip(NEXT) | instid1(VALU_DEP_1)
	v_cmp_eq_u32_e64 s3, 0, v144
	v_cndmask_b32_e64 v144, v146, v28, s3
; %bb.52:                               ;   in Loop: Header=BB411_13 Depth=1
	s_or_b32 exec_lo, exec_lo, s21
	v_mov_b32_e32 v28, 0
	s_mov_b32 s21, exec_lo
	v_cmpx_lt_u32_e32 0xffffff, v145
	s_cbranch_execz .LBB411_60
; %bb.53:                               ;   in Loop: Header=BB411_13 Depth=1
	v_lshrrev_b32_e32 v146, 24, v145
	v_bfrev_b32_e32 v28, 1
	s_mov_b32 s22, exec_lo
	s_delay_alu instid0(VALU_DEP_2)
	v_cmpx_ne_u32_e32 0x80, v146
	s_cbranch_execz .LBB411_59
; %bb.54:                               ;   in Loop: Header=BB411_13 Depth=1
	v_bfe_u32 v147, v145, 24, 7
	v_mov_b32_e32 v28, 0x7f800001
	s_mov_b32 s23, exec_lo
	s_delay_alu instid0(VALU_DEP_2)
	v_cmpx_ne_u32_e32 0x7f, v147
	s_cbranch_execz .LBB411_58
; %bb.55:                               ;   in Loop: Header=BB411_13 Depth=1
	v_and_b32_e32 v28, 7, v146
	v_lshrrev_b32_e32 v145, 3, v147
	s_mov_b32 s24, exec_lo
	v_cmpx_gt_u32_e32 8, v147
; %bb.56:                               ;   in Loop: Header=BB411_13 Depth=1
	s_delay_alu instid0(VALU_DEP_3) | instskip(NEXT) | instid1(VALU_DEP_1)
	v_clz_i32_u32_e32 v145, v28
	v_min_u32_e32 v145, 32, v145
	s_delay_alu instid0(VALU_DEP_1) | instskip(SKIP_1) | instid1(VALU_DEP_2)
	v_subrev_nc_u32_e32 v147, 28, v145
	v_sub_nc_u32_e32 v145, 29, v145
	v_lshlrev_b64 v[147:148], v147, v[28:29]
	s_delay_alu instid0(VALU_DEP_1)
	v_and_b32_e32 v28, 7, v147
; %bb.57:                               ;   in Loop: Header=BB411_13 Depth=1
	s_or_b32 exec_lo, exec_lo, s24
	v_lshlrev_b32_e32 v146, 24, v146
	s_delay_alu instid0(VALU_DEP_2) | instskip(SKIP_1) | instid1(VALU_DEP_3)
	v_lshlrev_b32_e32 v28, 20, v28
	v_lshl_add_u32 v145, v145, 23, 0x3c000000
	v_and_b32_e32 v146, 0x80000000, v146
	s_delay_alu instid0(VALU_DEP_1)
	v_or3_b32 v28, v28, v146, v145
.LBB411_58:                             ;   in Loop: Header=BB411_13 Depth=1
	s_or_b32 exec_lo, exec_lo, s23
.LBB411_59:                             ;   in Loop: Header=BB411_13 Depth=1
	s_delay_alu instid0(SALU_CYCLE_1)
	s_or_b32 exec_lo, exec_lo, s22
.LBB411_60:                             ;   in Loop: Header=BB411_13 Depth=1
	s_delay_alu instid0(SALU_CYCLE_1) | instskip(NEXT) | instid1(VALU_DEP_1)
	s_or_b32 exec_lo, exec_lo, s21
	v_mul_f32_e32 v28, v133, v28
	s_delay_alu instid0(VALU_DEP_1) | instskip(NEXT) | instid1(VALU_DEP_1)
	v_and_b32_e32 v145, 0x7f800000, v28
	v_cmp_ne_u32_e64 s3, 0x7f800000, v145
                                        ; implicit-def: $vgpr145
	s_delay_alu instid0(VALU_DEP_1) | instskip(NEXT) | instid1(SALU_CYCLE_1)
	s_and_saveexec_b32 s21, s3
	s_xor_b32 s3, exec_lo, s21
; %bb.61:                               ;   in Loop: Header=BB411_13 Depth=1
	v_bfe_u32 v145, v28, 16, 1
	s_delay_alu instid0(VALU_DEP_1)
	v_add3_u32 v145, v28, v145, 0x7fff
                                        ; implicit-def: $vgpr28
; %bb.62:                               ;   in Loop: Header=BB411_13 Depth=1
	s_and_not1_saveexec_b32 s21, s3
; %bb.63:                               ;   in Loop: Header=BB411_13 Depth=1
	v_and_b32_e32 v145, 0xffff, v28
	v_or_b32_e32 v146, 0x10000, v28
	s_delay_alu instid0(VALU_DEP_2) | instskip(NEXT) | instid1(VALU_DEP_1)
	v_cmp_eq_u32_e64 s3, 0, v145
	v_cndmask_b32_e64 v145, v146, v28, s3
; %bb.64:                               ;   in Loop: Header=BB411_13 Depth=1
	s_or_b32 exec_lo, exec_lo, s21
	flat_load_b32 v149, v[80:81] offset:8
	v_mov_b32_e32 v28, 0
	s_mov_b32 s21, exec_lo
	s_waitcnt vmcnt(0) lgkmcnt(0)
	v_and_b32_e32 v146, 0xff, v149
	s_delay_alu instid0(VALU_DEP_1)
	v_cmpx_ne_u16_e64 0, v146
	s_cbranch_execz .LBB411_72
; %bb.65:                               ;   in Loop: Header=BB411_13 Depth=1
	v_bfrev_b32_e32 v28, 1
	s_mov_b32 s22, exec_lo
	v_cmpx_ne_u16_e64 0x80, v146
	s_cbranch_execz .LBB411_71
; %bb.66:                               ;   in Loop: Header=BB411_13 Depth=1
	v_and_b32_e32 v147, 0x7f, v149
	v_mov_b32_e32 v28, 0x7f800001
	s_mov_b32 s23, exec_lo
	s_delay_alu instid0(VALU_DEP_2)
	v_cmpx_ne_u32_e32 0x7f, v147
	s_cbranch_execz .LBB411_70
; %bb.67:                               ;   in Loop: Header=BB411_13 Depth=1
	v_and_b32_e32 v28, 7, v149
	v_lshrrev_b32_e32 v146, 3, v147
	s_mov_b32 s24, exec_lo
	v_cmpx_gt_u32_e32 8, v147
; %bb.68:                               ;   in Loop: Header=BB411_13 Depth=1
	s_delay_alu instid0(VALU_DEP_3) | instskip(NEXT) | instid1(VALU_DEP_1)
	v_clz_i32_u32_e32 v146, v28
	v_min_u32_e32 v146, 32, v146
	s_delay_alu instid0(VALU_DEP_1) | instskip(SKIP_1) | instid1(VALU_DEP_2)
	v_subrev_nc_u32_e32 v147, 28, v146
	v_sub_nc_u32_e32 v146, 29, v146
	v_lshlrev_b64 v[147:148], v147, v[28:29]
	s_delay_alu instid0(VALU_DEP_1)
	v_and_b32_e32 v28, 7, v147
; %bb.69:                               ;   in Loop: Header=BB411_13 Depth=1
	s_or_b32 exec_lo, exec_lo, s24
	v_lshlrev_b32_e32 v147, 24, v149
	s_delay_alu instid0(VALU_DEP_2) | instskip(SKIP_1) | instid1(VALU_DEP_3)
	v_lshlrev_b32_e32 v28, 20, v28
	v_lshl_add_u32 v146, v146, 23, 0x3c000000
	v_and_b32_e32 v147, 0x80000000, v147
	s_delay_alu instid0(VALU_DEP_1)
	v_or3_b32 v28, v28, v147, v146
.LBB411_70:                             ;   in Loop: Header=BB411_13 Depth=1
	s_or_b32 exec_lo, exec_lo, s23
.LBB411_71:                             ;   in Loop: Header=BB411_13 Depth=1
	s_delay_alu instid0(SALU_CYCLE_1)
	s_or_b32 exec_lo, exec_lo, s22
.LBB411_72:                             ;   in Loop: Header=BB411_13 Depth=1
	s_delay_alu instid0(SALU_CYCLE_1) | instskip(NEXT) | instid1(VALU_DEP_1)
	s_or_b32 exec_lo, exec_lo, s21
	v_mul_f32_e32 v28, v133, v28
	s_delay_alu instid0(VALU_DEP_1) | instskip(NEXT) | instid1(VALU_DEP_1)
	v_and_b32_e32 v146, 0x7f800000, v28
	v_cmp_ne_u32_e64 s3, 0x7f800000, v146
                                        ; implicit-def: $vgpr146
	s_delay_alu instid0(VALU_DEP_1) | instskip(NEXT) | instid1(SALU_CYCLE_1)
	s_and_saveexec_b32 s21, s3
	s_xor_b32 s3, exec_lo, s21
; %bb.73:                               ;   in Loop: Header=BB411_13 Depth=1
	v_bfe_u32 v146, v28, 16, 1
	s_delay_alu instid0(VALU_DEP_1)
	v_add3_u32 v146, v28, v146, 0x7fff
                                        ; implicit-def: $vgpr28
; %bb.74:                               ;   in Loop: Header=BB411_13 Depth=1
	s_and_not1_saveexec_b32 s21, s3
; %bb.75:                               ;   in Loop: Header=BB411_13 Depth=1
	v_and_b32_e32 v146, 0xffff, v28
	v_or_b32_e32 v147, 0x10000, v28
	s_delay_alu instid0(VALU_DEP_2) | instskip(NEXT) | instid1(VALU_DEP_1)
	v_cmp_eq_u32_e64 s3, 0, v146
	v_cndmask_b32_e64 v146, v147, v28, s3
; %bb.76:                               ;   in Loop: Header=BB411_13 Depth=1
	s_or_b32 exec_lo, exec_lo, s21
	v_lshrrev_b16 v147, 8, v149
	v_mov_b32_e32 v28, 0
	s_mov_b32 s21, exec_lo
	s_delay_alu instid0(VALU_DEP_2)
	v_cmpx_ne_u16_e64 0, v147
	s_cbranch_execz .LBB411_84
; %bb.77:                               ;   in Loop: Header=BB411_13 Depth=1
	v_bfrev_b32_e32 v28, 1
	s_mov_b32 s22, exec_lo
	v_cmpx_ne_u16_e64 0x80, v147
	s_cbranch_execz .LBB411_83
; %bb.78:                               ;   in Loop: Header=BB411_13 Depth=1
	v_and_b32_e32 v147, 0xffff, v147
	v_mov_b32_e32 v28, 0x7f800001
	s_mov_b32 s23, exec_lo
	s_delay_alu instid0(VALU_DEP_2) | instskip(NEXT) | instid1(VALU_DEP_1)
	v_and_b32_e32 v148, 0x7f, v147
	v_cmpx_ne_u32_e32 0x7f, v148
	s_cbranch_execz .LBB411_82
; %bb.79:                               ;   in Loop: Header=BB411_13 Depth=1
	v_and_b32_e32 v28, 7, v147
	v_lshrrev_b32_e32 v147, 3, v148
	s_mov_b32 s24, exec_lo
	v_cmpx_gt_u32_e32 8, v148
; %bb.80:                               ;   in Loop: Header=BB411_13 Depth=1
	s_delay_alu instid0(VALU_DEP_3) | instskip(NEXT) | instid1(VALU_DEP_1)
	v_clz_i32_u32_e32 v147, v28
	v_min_u32_e32 v147, 32, v147
	s_delay_alu instid0(VALU_DEP_1) | instskip(SKIP_1) | instid1(VALU_DEP_2)
	v_subrev_nc_u32_e32 v148, 28, v147
	v_sub_nc_u32_e32 v147, 29, v147
	v_lshlrev_b64 v[150:151], v148, v[28:29]
	s_delay_alu instid0(VALU_DEP_1)
	v_and_b32_e32 v28, 7, v150
; %bb.81:                               ;   in Loop: Header=BB411_13 Depth=1
	s_or_b32 exec_lo, exec_lo, s24
	v_lshlrev_b32_e32 v148, 16, v149
	s_delay_alu instid0(VALU_DEP_2) | instskip(SKIP_1) | instid1(VALU_DEP_3)
	v_lshlrev_b32_e32 v28, 20, v28
	v_lshl_add_u32 v147, v147, 23, 0x3c000000
	v_and_b32_e32 v148, 0x80000000, v148
	s_delay_alu instid0(VALU_DEP_1)
	v_or3_b32 v28, v28, v148, v147
.LBB411_82:                             ;   in Loop: Header=BB411_13 Depth=1
	s_or_b32 exec_lo, exec_lo, s23
.LBB411_83:                             ;   in Loop: Header=BB411_13 Depth=1
	s_delay_alu instid0(SALU_CYCLE_1)
	s_or_b32 exec_lo, exec_lo, s22
.LBB411_84:                             ;   in Loop: Header=BB411_13 Depth=1
	s_delay_alu instid0(SALU_CYCLE_1) | instskip(NEXT) | instid1(VALU_DEP_1)
	s_or_b32 exec_lo, exec_lo, s21
	v_mul_f32_e32 v28, v133, v28
	s_delay_alu instid0(VALU_DEP_1) | instskip(NEXT) | instid1(VALU_DEP_1)
	v_and_b32_e32 v147, 0x7f800000, v28
	v_cmp_ne_u32_e64 s3, 0x7f800000, v147
                                        ; implicit-def: $vgpr147
	s_delay_alu instid0(VALU_DEP_1) | instskip(NEXT) | instid1(SALU_CYCLE_1)
	s_and_saveexec_b32 s21, s3
	s_xor_b32 s3, exec_lo, s21
; %bb.85:                               ;   in Loop: Header=BB411_13 Depth=1
	v_bfe_u32 v147, v28, 16, 1
	s_delay_alu instid0(VALU_DEP_1)
	v_add3_u32 v147, v28, v147, 0x7fff
                                        ; implicit-def: $vgpr28
; %bb.86:                               ;   in Loop: Header=BB411_13 Depth=1
	s_and_not1_saveexec_b32 s21, s3
; %bb.87:                               ;   in Loop: Header=BB411_13 Depth=1
	v_and_b32_e32 v147, 0xffff, v28
	v_or_b32_e32 v148, 0x10000, v28
	s_delay_alu instid0(VALU_DEP_2) | instskip(NEXT) | instid1(VALU_DEP_1)
	v_cmp_eq_u32_e64 s3, 0, v147
	v_cndmask_b32_e64 v147, v148, v28, s3
; %bb.88:                               ;   in Loop: Header=BB411_13 Depth=1
	s_or_b32 exec_lo, exec_lo, s21
	v_lshrrev_b32_e32 v148, 16, v149
	v_mov_b32_e32 v28, 0
	s_mov_b32 s21, exec_lo
	s_delay_alu instid0(VALU_DEP_2) | instskip(NEXT) | instid1(VALU_DEP_1)
	v_and_b32_e32 v150, 0xff, v148
	v_cmpx_ne_u16_e64 0, v150
	s_cbranch_execz .LBB411_96
; %bb.89:                               ;   in Loop: Header=BB411_13 Depth=1
	v_bfrev_b32_e32 v28, 1
	s_mov_b32 s22, exec_lo
	v_cmpx_ne_u16_e64 0x80, v150
	s_cbranch_execz .LBB411_95
; %bb.90:                               ;   in Loop: Header=BB411_13 Depth=1
	v_bfe_u32 v151, v149, 16, 7
	v_mov_b32_e32 v28, 0x7f800001
	s_mov_b32 s23, exec_lo
	s_delay_alu instid0(VALU_DEP_2)
	v_cmpx_ne_u32_e32 0x7f, v151
	s_cbranch_execz .LBB411_94
; %bb.91:                               ;   in Loop: Header=BB411_13 Depth=1
	v_and_b32_e32 v28, 7, v148
	v_lshrrev_b32_e32 v150, 3, v151
	s_mov_b32 s24, exec_lo
	v_cmpx_gt_u32_e32 8, v151
; %bb.92:                               ;   in Loop: Header=BB411_13 Depth=1
	s_delay_alu instid0(VALU_DEP_3) | instskip(NEXT) | instid1(VALU_DEP_1)
	v_clz_i32_u32_e32 v150, v28
	v_min_u32_e32 v150, 32, v150
	s_delay_alu instid0(VALU_DEP_1) | instskip(SKIP_1) | instid1(VALU_DEP_2)
	v_subrev_nc_u32_e32 v151, 28, v150
	v_sub_nc_u32_e32 v150, 29, v150
	v_lshlrev_b64 v[160:161], v151, v[28:29]
	s_delay_alu instid0(VALU_DEP_1)
	v_and_b32_e32 v28, 7, v160
; %bb.93:                               ;   in Loop: Header=BB411_13 Depth=1
	s_or_b32 exec_lo, exec_lo, s24
	v_lshlrev_b32_e32 v148, 24, v148
	s_delay_alu instid0(VALU_DEP_2) | instskip(SKIP_1) | instid1(VALU_DEP_3)
	v_lshlrev_b32_e32 v28, 20, v28
	v_lshl_add_u32 v150, v150, 23, 0x3c000000
	v_and_b32_e32 v148, 0x80000000, v148
	s_delay_alu instid0(VALU_DEP_1)
	v_or3_b32 v28, v28, v148, v150
.LBB411_94:                             ;   in Loop: Header=BB411_13 Depth=1
	s_or_b32 exec_lo, exec_lo, s23
.LBB411_95:                             ;   in Loop: Header=BB411_13 Depth=1
	s_delay_alu instid0(SALU_CYCLE_1)
	s_or_b32 exec_lo, exec_lo, s22
.LBB411_96:                             ;   in Loop: Header=BB411_13 Depth=1
	s_delay_alu instid0(SALU_CYCLE_1) | instskip(NEXT) | instid1(VALU_DEP_1)
	s_or_b32 exec_lo, exec_lo, s21
	v_mul_f32_e32 v28, v133, v28
	s_delay_alu instid0(VALU_DEP_1) | instskip(NEXT) | instid1(VALU_DEP_1)
	v_and_b32_e32 v148, 0x7f800000, v28
	v_cmp_ne_u32_e64 s3, 0x7f800000, v148
                                        ; implicit-def: $vgpr148
	s_delay_alu instid0(VALU_DEP_1) | instskip(NEXT) | instid1(SALU_CYCLE_1)
	s_and_saveexec_b32 s21, s3
	s_xor_b32 s3, exec_lo, s21
; %bb.97:                               ;   in Loop: Header=BB411_13 Depth=1
	v_bfe_u32 v148, v28, 16, 1
	s_delay_alu instid0(VALU_DEP_1)
	v_add3_u32 v148, v28, v148, 0x7fff
                                        ; implicit-def: $vgpr28
; %bb.98:                               ;   in Loop: Header=BB411_13 Depth=1
	s_and_not1_saveexec_b32 s21, s3
; %bb.99:                               ;   in Loop: Header=BB411_13 Depth=1
	v_and_b32_e32 v148, 0xffff, v28
	v_or_b32_e32 v150, 0x10000, v28
	s_delay_alu instid0(VALU_DEP_2) | instskip(NEXT) | instid1(VALU_DEP_1)
	v_cmp_eq_u32_e64 s3, 0, v148
	v_cndmask_b32_e64 v148, v150, v28, s3
; %bb.100:                              ;   in Loop: Header=BB411_13 Depth=1
	s_or_b32 exec_lo, exec_lo, s21
	v_mov_b32_e32 v28, 0
	s_mov_b32 s21, exec_lo
	v_cmpx_lt_u32_e32 0xffffff, v149
	s_cbranch_execz .LBB411_108
; %bb.101:                              ;   in Loop: Header=BB411_13 Depth=1
	v_lshrrev_b32_e32 v150, 24, v149
	v_bfrev_b32_e32 v28, 1
	s_mov_b32 s22, exec_lo
	s_delay_alu instid0(VALU_DEP_2)
	v_cmpx_ne_u32_e32 0x80, v150
	s_cbranch_execz .LBB411_107
; %bb.102:                              ;   in Loop: Header=BB411_13 Depth=1
	v_bfe_u32 v151, v149, 24, 7
	v_mov_b32_e32 v28, 0x7f800001
	s_mov_b32 s23, exec_lo
	s_delay_alu instid0(VALU_DEP_2)
	v_cmpx_ne_u32_e32 0x7f, v151
	s_cbranch_execz .LBB411_106
; %bb.103:                              ;   in Loop: Header=BB411_13 Depth=1
	v_and_b32_e32 v28, 7, v150
	v_lshrrev_b32_e32 v149, 3, v151
	s_mov_b32 s24, exec_lo
	v_cmpx_gt_u32_e32 8, v151
; %bb.104:                              ;   in Loop: Header=BB411_13 Depth=1
	s_delay_alu instid0(VALU_DEP_3) | instskip(NEXT) | instid1(VALU_DEP_1)
	v_clz_i32_u32_e32 v149, v28
	v_min_u32_e32 v149, 32, v149
	s_delay_alu instid0(VALU_DEP_1) | instskip(SKIP_1) | instid1(VALU_DEP_2)
	v_subrev_nc_u32_e32 v151, 28, v149
	v_sub_nc_u32_e32 v149, 29, v149
	v_lshlrev_b64 v[160:161], v151, v[28:29]
	s_delay_alu instid0(VALU_DEP_1)
	v_and_b32_e32 v28, 7, v160
; %bb.105:                              ;   in Loop: Header=BB411_13 Depth=1
	s_or_b32 exec_lo, exec_lo, s24
	v_lshlrev_b32_e32 v150, 24, v150
	s_delay_alu instid0(VALU_DEP_2) | instskip(SKIP_1) | instid1(VALU_DEP_3)
	v_lshlrev_b32_e32 v28, 20, v28
	v_lshl_add_u32 v149, v149, 23, 0x3c000000
	v_and_b32_e32 v150, 0x80000000, v150
	s_delay_alu instid0(VALU_DEP_1)
	v_or3_b32 v28, v28, v150, v149
.LBB411_106:                            ;   in Loop: Header=BB411_13 Depth=1
	s_or_b32 exec_lo, exec_lo, s23
.LBB411_107:                            ;   in Loop: Header=BB411_13 Depth=1
	s_delay_alu instid0(SALU_CYCLE_1)
	s_or_b32 exec_lo, exec_lo, s22
.LBB411_108:                            ;   in Loop: Header=BB411_13 Depth=1
	s_delay_alu instid0(SALU_CYCLE_1) | instskip(NEXT) | instid1(VALU_DEP_1)
	s_or_b32 exec_lo, exec_lo, s21
	v_mul_f32_e32 v28, v133, v28
	s_delay_alu instid0(VALU_DEP_1) | instskip(NEXT) | instid1(VALU_DEP_1)
	v_and_b32_e32 v149, 0x7f800000, v28
	v_cmp_ne_u32_e64 s3, 0x7f800000, v149
                                        ; implicit-def: $vgpr149
	s_delay_alu instid0(VALU_DEP_1) | instskip(NEXT) | instid1(SALU_CYCLE_1)
	s_and_saveexec_b32 s21, s3
	s_xor_b32 s3, exec_lo, s21
; %bb.109:                              ;   in Loop: Header=BB411_13 Depth=1
	v_bfe_u32 v149, v28, 16, 1
	s_delay_alu instid0(VALU_DEP_1)
	v_add3_u32 v149, v28, v149, 0x7fff
                                        ; implicit-def: $vgpr28
; %bb.110:                              ;   in Loop: Header=BB411_13 Depth=1
	s_and_not1_saveexec_b32 s21, s3
; %bb.111:                              ;   in Loop: Header=BB411_13 Depth=1
	v_and_b32_e32 v149, 0xffff, v28
	v_or_b32_e32 v150, 0x10000, v28
	s_delay_alu instid0(VALU_DEP_2) | instskip(NEXT) | instid1(VALU_DEP_1)
	v_cmp_eq_u32_e64 s3, 0, v149
	v_cndmask_b32_e64 v149, v150, v28, s3
; %bb.112:                              ;   in Loop: Header=BB411_13 Depth=1
	s_or_b32 exec_lo, exec_lo, s21
	flat_load_b32 v161, v[80:81] offset:256
	v_mov_b32_e32 v28, 0
	s_mov_b32 s21, exec_lo
	s_waitcnt vmcnt(0) lgkmcnt(0)
	v_and_b32_e32 v150, 0xff, v161
	s_delay_alu instid0(VALU_DEP_1)
	v_cmpx_ne_u16_e64 0, v150
	s_cbranch_execz .LBB411_120
; %bb.113:                              ;   in Loop: Header=BB411_13 Depth=1
	v_bfrev_b32_e32 v28, 1
	s_mov_b32 s22, exec_lo
	v_cmpx_ne_u16_e64 0x80, v150
	s_cbranch_execz .LBB411_119
; %bb.114:                              ;   in Loop: Header=BB411_13 Depth=1
	v_and_b32_e32 v151, 0x7f, v161
	v_mov_b32_e32 v28, 0x7f800001
	s_mov_b32 s23, exec_lo
	s_delay_alu instid0(VALU_DEP_2)
	v_cmpx_ne_u32_e32 0x7f, v151
	s_cbranch_execz .LBB411_118
; %bb.115:                              ;   in Loop: Header=BB411_13 Depth=1
	v_and_b32_e32 v28, 7, v161
	v_lshrrev_b32_e32 v150, 3, v151
	s_mov_b32 s24, exec_lo
	v_cmpx_gt_u32_e32 8, v151
; %bb.116:                              ;   in Loop: Header=BB411_13 Depth=1
	s_delay_alu instid0(VALU_DEP_3) | instskip(NEXT) | instid1(VALU_DEP_1)
	v_clz_i32_u32_e32 v150, v28
	v_min_u32_e32 v150, 32, v150
	s_delay_alu instid0(VALU_DEP_1) | instskip(SKIP_1) | instid1(VALU_DEP_2)
	v_subrev_nc_u32_e32 v151, 28, v150
	v_sub_nc_u32_e32 v150, 29, v150
	v_lshlrev_b64 v[162:163], v151, v[28:29]
	s_delay_alu instid0(VALU_DEP_1)
	v_and_b32_e32 v28, 7, v162
; %bb.117:                              ;   in Loop: Header=BB411_13 Depth=1
	s_or_b32 exec_lo, exec_lo, s24
	v_lshlrev_b32_e32 v151, 24, v161
	s_delay_alu instid0(VALU_DEP_2) | instskip(SKIP_1) | instid1(VALU_DEP_3)
	v_lshlrev_b32_e32 v28, 20, v28
	v_lshl_add_u32 v150, v150, 23, 0x3c000000
	v_and_b32_e32 v151, 0x80000000, v151
	s_delay_alu instid0(VALU_DEP_1)
	v_or3_b32 v28, v28, v151, v150
.LBB411_118:                            ;   in Loop: Header=BB411_13 Depth=1
	s_or_b32 exec_lo, exec_lo, s23
.LBB411_119:                            ;   in Loop: Header=BB411_13 Depth=1
	s_delay_alu instid0(SALU_CYCLE_1)
	s_or_b32 exec_lo, exec_lo, s22
.LBB411_120:                            ;   in Loop: Header=BB411_13 Depth=1
	s_delay_alu instid0(SALU_CYCLE_1) | instskip(NEXT) | instid1(VALU_DEP_1)
	s_or_b32 exec_lo, exec_lo, s21
	v_mul_f32_e32 v28, v133, v28
	s_delay_alu instid0(VALU_DEP_1) | instskip(NEXT) | instid1(VALU_DEP_1)
	v_and_b32_e32 v150, 0x7f800000, v28
	v_cmp_ne_u32_e64 s3, 0x7f800000, v150
                                        ; implicit-def: $vgpr150
	s_delay_alu instid0(VALU_DEP_1) | instskip(NEXT) | instid1(SALU_CYCLE_1)
	s_and_saveexec_b32 s21, s3
	s_xor_b32 s3, exec_lo, s21
; %bb.121:                              ;   in Loop: Header=BB411_13 Depth=1
	v_bfe_u32 v150, v28, 16, 1
	s_delay_alu instid0(VALU_DEP_1)
	v_add3_u32 v150, v28, v150, 0x7fff
                                        ; implicit-def: $vgpr28
; %bb.122:                              ;   in Loop: Header=BB411_13 Depth=1
	s_and_not1_saveexec_b32 s21, s3
; %bb.123:                              ;   in Loop: Header=BB411_13 Depth=1
	v_and_b32_e32 v150, 0xffff, v28
	v_or_b32_e32 v151, 0x10000, v28
	s_delay_alu instid0(VALU_DEP_2) | instskip(NEXT) | instid1(VALU_DEP_1)
	v_cmp_eq_u32_e64 s3, 0, v150
	v_cndmask_b32_e64 v150, v151, v28, s3
; %bb.124:                              ;   in Loop: Header=BB411_13 Depth=1
	s_or_b32 exec_lo, exec_lo, s21
	v_lshrrev_b16 v151, 8, v161
	v_mov_b32_e32 v28, 0
	s_mov_b32 s21, exec_lo
	s_delay_alu instid0(VALU_DEP_2)
	v_cmpx_ne_u16_e64 0, v151
	s_cbranch_execz .LBB411_132
; %bb.125:                              ;   in Loop: Header=BB411_13 Depth=1
	v_bfrev_b32_e32 v28, 1
	s_mov_b32 s22, exec_lo
	v_cmpx_ne_u16_e64 0x80, v151
	s_cbranch_execz .LBB411_131
; %bb.126:                              ;   in Loop: Header=BB411_13 Depth=1
	v_and_b32_e32 v151, 0xffff, v151
	v_mov_b32_e32 v28, 0x7f800001
	s_mov_b32 s23, exec_lo
	s_delay_alu instid0(VALU_DEP_2) | instskip(NEXT) | instid1(VALU_DEP_1)
	v_and_b32_e32 v160, 0x7f, v151
	v_cmpx_ne_u32_e32 0x7f, v160
	s_cbranch_execz .LBB411_130
; %bb.127:                              ;   in Loop: Header=BB411_13 Depth=1
	v_and_b32_e32 v28, 7, v151
	v_lshrrev_b32_e32 v151, 3, v160
	s_mov_b32 s24, exec_lo
	v_cmpx_gt_u32_e32 8, v160
; %bb.128:                              ;   in Loop: Header=BB411_13 Depth=1
	s_delay_alu instid0(VALU_DEP_3) | instskip(NEXT) | instid1(VALU_DEP_1)
	v_clz_i32_u32_e32 v151, v28
	v_min_u32_e32 v151, 32, v151
	s_delay_alu instid0(VALU_DEP_1) | instskip(SKIP_1) | instid1(VALU_DEP_2)
	v_subrev_nc_u32_e32 v160, 28, v151
	v_sub_nc_u32_e32 v151, 29, v151
	v_lshlrev_b64 v[162:163], v160, v[28:29]
	s_delay_alu instid0(VALU_DEP_1)
	v_and_b32_e32 v28, 7, v162
; %bb.129:                              ;   in Loop: Header=BB411_13 Depth=1
	s_or_b32 exec_lo, exec_lo, s24
	v_lshlrev_b32_e32 v160, 16, v161
	s_delay_alu instid0(VALU_DEP_2) | instskip(SKIP_1) | instid1(VALU_DEP_3)
	v_lshlrev_b32_e32 v28, 20, v28
	v_lshl_add_u32 v151, v151, 23, 0x3c000000
	v_and_b32_e32 v160, 0x80000000, v160
	s_delay_alu instid0(VALU_DEP_1)
	v_or3_b32 v28, v28, v160, v151
.LBB411_130:                            ;   in Loop: Header=BB411_13 Depth=1
	s_or_b32 exec_lo, exec_lo, s23
.LBB411_131:                            ;   in Loop: Header=BB411_13 Depth=1
	s_delay_alu instid0(SALU_CYCLE_1)
	s_or_b32 exec_lo, exec_lo, s22
.LBB411_132:                            ;   in Loop: Header=BB411_13 Depth=1
	s_delay_alu instid0(SALU_CYCLE_1) | instskip(NEXT) | instid1(VALU_DEP_1)
	s_or_b32 exec_lo, exec_lo, s21
	v_mul_f32_e32 v28, v133, v28
	s_delay_alu instid0(VALU_DEP_1) | instskip(NEXT) | instid1(VALU_DEP_1)
	v_and_b32_e32 v151, 0x7f800000, v28
	v_cmp_ne_u32_e64 s3, 0x7f800000, v151
                                        ; implicit-def: $vgpr151
	s_delay_alu instid0(VALU_DEP_1) | instskip(NEXT) | instid1(SALU_CYCLE_1)
	s_and_saveexec_b32 s21, s3
	s_xor_b32 s3, exec_lo, s21
; %bb.133:                              ;   in Loop: Header=BB411_13 Depth=1
	v_bfe_u32 v151, v28, 16, 1
	s_delay_alu instid0(VALU_DEP_1)
	v_add3_u32 v151, v28, v151, 0x7fff
                                        ; implicit-def: $vgpr28
; %bb.134:                              ;   in Loop: Header=BB411_13 Depth=1
	s_and_not1_saveexec_b32 s21, s3
; %bb.135:                              ;   in Loop: Header=BB411_13 Depth=1
	v_and_b32_e32 v151, 0xffff, v28
	v_or_b32_e32 v160, 0x10000, v28
	s_delay_alu instid0(VALU_DEP_2) | instskip(NEXT) | instid1(VALU_DEP_1)
	v_cmp_eq_u32_e64 s3, 0, v151
	v_cndmask_b32_e64 v151, v160, v28, s3
; %bb.136:                              ;   in Loop: Header=BB411_13 Depth=1
	s_or_b32 exec_lo, exec_lo, s21
	v_lshrrev_b32_e32 v160, 16, v161
	v_mov_b32_e32 v28, 0
	s_mov_b32 s21, exec_lo
	s_delay_alu instid0(VALU_DEP_2) | instskip(NEXT) | instid1(VALU_DEP_1)
	v_and_b32_e32 v162, 0xff, v160
	v_cmpx_ne_u16_e64 0, v162
	s_cbranch_execz .LBB411_144
; %bb.137:                              ;   in Loop: Header=BB411_13 Depth=1
	v_bfrev_b32_e32 v28, 1
	s_mov_b32 s22, exec_lo
	v_cmpx_ne_u16_e64 0x80, v162
	s_cbranch_execz .LBB411_143
; %bb.138:                              ;   in Loop: Header=BB411_13 Depth=1
	v_bfe_u32 v163, v161, 16, 7
	v_mov_b32_e32 v28, 0x7f800001
	s_mov_b32 s23, exec_lo
	s_delay_alu instid0(VALU_DEP_2)
	v_cmpx_ne_u32_e32 0x7f, v163
	s_cbranch_execz .LBB411_142
; %bb.139:                              ;   in Loop: Header=BB411_13 Depth=1
	v_and_b32_e32 v28, 7, v160
	v_lshrrev_b32_e32 v162, 3, v163
	s_mov_b32 s24, exec_lo
	v_cmpx_gt_u32_e32 8, v163
; %bb.140:                              ;   in Loop: Header=BB411_13 Depth=1
	s_delay_alu instid0(VALU_DEP_3) | instskip(NEXT) | instid1(VALU_DEP_1)
	v_clz_i32_u32_e32 v162, v28
	v_min_u32_e32 v162, 32, v162
	s_delay_alu instid0(VALU_DEP_1) | instskip(SKIP_1) | instid1(VALU_DEP_2)
	v_subrev_nc_u32_e32 v163, 28, v162
	v_sub_nc_u32_e32 v162, 29, v162
	v_lshlrev_b64 v[163:164], v163, v[28:29]
	s_delay_alu instid0(VALU_DEP_1)
	v_and_b32_e32 v28, 7, v163
; %bb.141:                              ;   in Loop: Header=BB411_13 Depth=1
	s_or_b32 exec_lo, exec_lo, s24
	v_lshlrev_b32_e32 v160, 24, v160
	s_delay_alu instid0(VALU_DEP_2) | instskip(SKIP_1) | instid1(VALU_DEP_3)
	v_lshlrev_b32_e32 v28, 20, v28
	v_lshl_add_u32 v162, v162, 23, 0x3c000000
	v_and_b32_e32 v160, 0x80000000, v160
	s_delay_alu instid0(VALU_DEP_1)
	v_or3_b32 v28, v28, v160, v162
.LBB411_142:                            ;   in Loop: Header=BB411_13 Depth=1
	s_or_b32 exec_lo, exec_lo, s23
.LBB411_143:                            ;   in Loop: Header=BB411_13 Depth=1
	s_delay_alu instid0(SALU_CYCLE_1)
	s_or_b32 exec_lo, exec_lo, s22
.LBB411_144:                            ;   in Loop: Header=BB411_13 Depth=1
	s_delay_alu instid0(SALU_CYCLE_1) | instskip(NEXT) | instid1(VALU_DEP_1)
	s_or_b32 exec_lo, exec_lo, s21
	v_mul_f32_e32 v28, v133, v28
	s_delay_alu instid0(VALU_DEP_1) | instskip(NEXT) | instid1(VALU_DEP_1)
	v_and_b32_e32 v160, 0x7f800000, v28
	v_cmp_ne_u32_e64 s3, 0x7f800000, v160
                                        ; implicit-def: $vgpr160
	s_delay_alu instid0(VALU_DEP_1) | instskip(NEXT) | instid1(SALU_CYCLE_1)
	s_and_saveexec_b32 s21, s3
	s_xor_b32 s3, exec_lo, s21
; %bb.145:                              ;   in Loop: Header=BB411_13 Depth=1
	v_bfe_u32 v160, v28, 16, 1
	s_delay_alu instid0(VALU_DEP_1)
	v_add3_u32 v160, v28, v160, 0x7fff
                                        ; implicit-def: $vgpr28
; %bb.146:                              ;   in Loop: Header=BB411_13 Depth=1
	s_and_not1_saveexec_b32 s21, s3
; %bb.147:                              ;   in Loop: Header=BB411_13 Depth=1
	v_and_b32_e32 v160, 0xffff, v28
	v_or_b32_e32 v162, 0x10000, v28
	s_delay_alu instid0(VALU_DEP_2) | instskip(NEXT) | instid1(VALU_DEP_1)
	v_cmp_eq_u32_e64 s3, 0, v160
	v_cndmask_b32_e64 v160, v162, v28, s3
; %bb.148:                              ;   in Loop: Header=BB411_13 Depth=1
	s_or_b32 exec_lo, exec_lo, s21
	v_mov_b32_e32 v28, 0
	s_mov_b32 s21, exec_lo
	v_cmpx_lt_u32_e32 0xffffff, v161
	s_cbranch_execz .LBB411_156
; %bb.149:                              ;   in Loop: Header=BB411_13 Depth=1
	v_lshrrev_b32_e32 v162, 24, v161
	v_bfrev_b32_e32 v28, 1
	s_mov_b32 s22, exec_lo
	s_delay_alu instid0(VALU_DEP_2)
	v_cmpx_ne_u32_e32 0x80, v162
	s_cbranch_execz .LBB411_155
; %bb.150:                              ;   in Loop: Header=BB411_13 Depth=1
	v_bfe_u32 v163, v161, 24, 7
	v_mov_b32_e32 v28, 0x7f800001
	s_mov_b32 s23, exec_lo
	s_delay_alu instid0(VALU_DEP_2)
	v_cmpx_ne_u32_e32 0x7f, v163
	s_cbranch_execz .LBB411_154
; %bb.151:                              ;   in Loop: Header=BB411_13 Depth=1
	v_and_b32_e32 v28, 7, v162
	v_lshrrev_b32_e32 v161, 3, v163
	s_mov_b32 s24, exec_lo
	v_cmpx_gt_u32_e32 8, v163
; %bb.152:                              ;   in Loop: Header=BB411_13 Depth=1
	s_delay_alu instid0(VALU_DEP_3) | instskip(NEXT) | instid1(VALU_DEP_1)
	v_clz_i32_u32_e32 v161, v28
	v_min_u32_e32 v161, 32, v161
	s_delay_alu instid0(VALU_DEP_1) | instskip(SKIP_1) | instid1(VALU_DEP_2)
	v_subrev_nc_u32_e32 v163, 28, v161
	v_sub_nc_u32_e32 v161, 29, v161
	v_lshlrev_b64 v[163:164], v163, v[28:29]
	s_delay_alu instid0(VALU_DEP_1)
	v_and_b32_e32 v28, 7, v163
; %bb.153:                              ;   in Loop: Header=BB411_13 Depth=1
	s_or_b32 exec_lo, exec_lo, s24
	v_lshlrev_b32_e32 v162, 24, v162
	s_delay_alu instid0(VALU_DEP_2) | instskip(SKIP_1) | instid1(VALU_DEP_3)
	v_lshlrev_b32_e32 v28, 20, v28
	v_lshl_add_u32 v161, v161, 23, 0x3c000000
	v_and_b32_e32 v162, 0x80000000, v162
	s_delay_alu instid0(VALU_DEP_1)
	v_or3_b32 v28, v28, v162, v161
.LBB411_154:                            ;   in Loop: Header=BB411_13 Depth=1
	s_or_b32 exec_lo, exec_lo, s23
.LBB411_155:                            ;   in Loop: Header=BB411_13 Depth=1
	s_delay_alu instid0(SALU_CYCLE_1)
	s_or_b32 exec_lo, exec_lo, s22
.LBB411_156:                            ;   in Loop: Header=BB411_13 Depth=1
	s_delay_alu instid0(SALU_CYCLE_1) | instskip(NEXT) | instid1(VALU_DEP_1)
	s_or_b32 exec_lo, exec_lo, s21
	v_mul_f32_e32 v28, v133, v28
	s_delay_alu instid0(VALU_DEP_1) | instskip(NEXT) | instid1(VALU_DEP_1)
	v_and_b32_e32 v161, 0x7f800000, v28
	v_cmp_ne_u32_e64 s3, 0x7f800000, v161
                                        ; implicit-def: $vgpr161
	s_delay_alu instid0(VALU_DEP_1) | instskip(NEXT) | instid1(SALU_CYCLE_1)
	s_and_saveexec_b32 s21, s3
	s_xor_b32 s3, exec_lo, s21
; %bb.157:                              ;   in Loop: Header=BB411_13 Depth=1
	v_bfe_u32 v161, v28, 16, 1
	s_delay_alu instid0(VALU_DEP_1)
	v_add3_u32 v161, v28, v161, 0x7fff
                                        ; implicit-def: $vgpr28
; %bb.158:                              ;   in Loop: Header=BB411_13 Depth=1
	s_and_not1_saveexec_b32 s21, s3
; %bb.159:                              ;   in Loop: Header=BB411_13 Depth=1
	v_and_b32_e32 v161, 0xffff, v28
	v_or_b32_e32 v162, 0x10000, v28
	s_delay_alu instid0(VALU_DEP_2) | instskip(NEXT) | instid1(VALU_DEP_1)
	v_cmp_eq_u32_e64 s3, 0, v161
	v_cndmask_b32_e64 v161, v162, v28, s3
; %bb.160:                              ;   in Loop: Header=BB411_13 Depth=1
	s_or_b32 exec_lo, exec_lo, s21
	flat_load_b32 v165, v[80:81] offset:264
	v_mov_b32_e32 v28, 0
	s_mov_b32 s21, exec_lo
	s_waitcnt vmcnt(0) lgkmcnt(0)
	v_and_b32_e32 v162, 0xff, v165
	s_delay_alu instid0(VALU_DEP_1)
	v_cmpx_ne_u16_e64 0, v162
	s_cbranch_execz .LBB411_168
; %bb.161:                              ;   in Loop: Header=BB411_13 Depth=1
	v_bfrev_b32_e32 v28, 1
	s_mov_b32 s22, exec_lo
	v_cmpx_ne_u16_e64 0x80, v162
	s_cbranch_execz .LBB411_167
; %bb.162:                              ;   in Loop: Header=BB411_13 Depth=1
	v_and_b32_e32 v163, 0x7f, v165
	v_mov_b32_e32 v28, 0x7f800001
	s_mov_b32 s23, exec_lo
	s_delay_alu instid0(VALU_DEP_2)
	v_cmpx_ne_u32_e32 0x7f, v163
	s_cbranch_execz .LBB411_166
; %bb.163:                              ;   in Loop: Header=BB411_13 Depth=1
	v_and_b32_e32 v28, 7, v165
	v_lshrrev_b32_e32 v162, 3, v163
	s_mov_b32 s24, exec_lo
	v_cmpx_gt_u32_e32 8, v163
; %bb.164:                              ;   in Loop: Header=BB411_13 Depth=1
	s_delay_alu instid0(VALU_DEP_3) | instskip(NEXT) | instid1(VALU_DEP_1)
	v_clz_i32_u32_e32 v162, v28
	v_min_u32_e32 v162, 32, v162
	s_delay_alu instid0(VALU_DEP_1) | instskip(SKIP_1) | instid1(VALU_DEP_2)
	v_subrev_nc_u32_e32 v163, 28, v162
	v_sub_nc_u32_e32 v162, 29, v162
	v_lshlrev_b64 v[163:164], v163, v[28:29]
	s_delay_alu instid0(VALU_DEP_1)
	v_and_b32_e32 v28, 7, v163
; %bb.165:                              ;   in Loop: Header=BB411_13 Depth=1
	s_or_b32 exec_lo, exec_lo, s24
	v_lshlrev_b32_e32 v163, 24, v165
	s_delay_alu instid0(VALU_DEP_2) | instskip(SKIP_1) | instid1(VALU_DEP_3)
	v_lshlrev_b32_e32 v28, 20, v28
	v_lshl_add_u32 v162, v162, 23, 0x3c000000
	v_and_b32_e32 v163, 0x80000000, v163
	s_delay_alu instid0(VALU_DEP_1)
	v_or3_b32 v28, v28, v163, v162
.LBB411_166:                            ;   in Loop: Header=BB411_13 Depth=1
	s_or_b32 exec_lo, exec_lo, s23
.LBB411_167:                            ;   in Loop: Header=BB411_13 Depth=1
	s_delay_alu instid0(SALU_CYCLE_1)
	s_or_b32 exec_lo, exec_lo, s22
.LBB411_168:                            ;   in Loop: Header=BB411_13 Depth=1
	s_delay_alu instid0(SALU_CYCLE_1) | instskip(NEXT) | instid1(VALU_DEP_1)
	s_or_b32 exec_lo, exec_lo, s21
	v_mul_f32_e32 v28, v133, v28
	s_delay_alu instid0(VALU_DEP_1) | instskip(NEXT) | instid1(VALU_DEP_1)
	v_and_b32_e32 v162, 0x7f800000, v28
	v_cmp_ne_u32_e64 s3, 0x7f800000, v162
                                        ; implicit-def: $vgpr162
	s_delay_alu instid0(VALU_DEP_1) | instskip(NEXT) | instid1(SALU_CYCLE_1)
	s_and_saveexec_b32 s21, s3
	s_xor_b32 s3, exec_lo, s21
; %bb.169:                              ;   in Loop: Header=BB411_13 Depth=1
	v_bfe_u32 v162, v28, 16, 1
	s_delay_alu instid0(VALU_DEP_1)
	v_add3_u32 v162, v28, v162, 0x7fff
                                        ; implicit-def: $vgpr28
; %bb.170:                              ;   in Loop: Header=BB411_13 Depth=1
	s_and_not1_saveexec_b32 s21, s3
; %bb.171:                              ;   in Loop: Header=BB411_13 Depth=1
	v_and_b32_e32 v162, 0xffff, v28
	v_or_b32_e32 v163, 0x10000, v28
	s_delay_alu instid0(VALU_DEP_2) | instskip(NEXT) | instid1(VALU_DEP_1)
	v_cmp_eq_u32_e64 s3, 0, v162
	v_cndmask_b32_e64 v162, v163, v28, s3
; %bb.172:                              ;   in Loop: Header=BB411_13 Depth=1
	s_or_b32 exec_lo, exec_lo, s21
	v_lshrrev_b16 v163, 8, v165
	v_mov_b32_e32 v28, 0
	s_mov_b32 s21, exec_lo
	s_delay_alu instid0(VALU_DEP_2)
	v_cmpx_ne_u16_e64 0, v163
	s_cbranch_execz .LBB411_180
; %bb.173:                              ;   in Loop: Header=BB411_13 Depth=1
	v_bfrev_b32_e32 v28, 1
	s_mov_b32 s22, exec_lo
	v_cmpx_ne_u16_e64 0x80, v163
	s_cbranch_execz .LBB411_179
; %bb.174:                              ;   in Loop: Header=BB411_13 Depth=1
	v_and_b32_e32 v163, 0xffff, v163
	v_mov_b32_e32 v28, 0x7f800001
	s_mov_b32 s23, exec_lo
	s_delay_alu instid0(VALU_DEP_2) | instskip(NEXT) | instid1(VALU_DEP_1)
	v_and_b32_e32 v164, 0x7f, v163
	v_cmpx_ne_u32_e32 0x7f, v164
	s_cbranch_execz .LBB411_178
; %bb.175:                              ;   in Loop: Header=BB411_13 Depth=1
	v_and_b32_e32 v28, 7, v163
	v_lshrrev_b32_e32 v163, 3, v164
	s_mov_b32 s24, exec_lo
	v_cmpx_gt_u32_e32 8, v164
; %bb.176:                              ;   in Loop: Header=BB411_13 Depth=1
	s_delay_alu instid0(VALU_DEP_3) | instskip(NEXT) | instid1(VALU_DEP_1)
	v_clz_i32_u32_e32 v163, v28
	v_min_u32_e32 v163, 32, v163
	s_delay_alu instid0(VALU_DEP_1) | instskip(SKIP_1) | instid1(VALU_DEP_2)
	v_subrev_nc_u32_e32 v164, 28, v163
	v_sub_nc_u32_e32 v163, 29, v163
	v_lshlrev_b64 v[166:167], v164, v[28:29]
	s_delay_alu instid0(VALU_DEP_1)
	v_and_b32_e32 v28, 7, v166
; %bb.177:                              ;   in Loop: Header=BB411_13 Depth=1
	s_or_b32 exec_lo, exec_lo, s24
	v_lshlrev_b32_e32 v164, 16, v165
	s_delay_alu instid0(VALU_DEP_2) | instskip(SKIP_1) | instid1(VALU_DEP_3)
	v_lshlrev_b32_e32 v28, 20, v28
	v_lshl_add_u32 v163, v163, 23, 0x3c000000
	v_and_b32_e32 v164, 0x80000000, v164
	s_delay_alu instid0(VALU_DEP_1)
	v_or3_b32 v28, v28, v164, v163
.LBB411_178:                            ;   in Loop: Header=BB411_13 Depth=1
	s_or_b32 exec_lo, exec_lo, s23
.LBB411_179:                            ;   in Loop: Header=BB411_13 Depth=1
	s_delay_alu instid0(SALU_CYCLE_1)
	s_or_b32 exec_lo, exec_lo, s22
.LBB411_180:                            ;   in Loop: Header=BB411_13 Depth=1
	s_delay_alu instid0(SALU_CYCLE_1) | instskip(NEXT) | instid1(VALU_DEP_1)
	s_or_b32 exec_lo, exec_lo, s21
	v_mul_f32_e32 v28, v133, v28
	s_delay_alu instid0(VALU_DEP_1) | instskip(NEXT) | instid1(VALU_DEP_1)
	v_and_b32_e32 v163, 0x7f800000, v28
	v_cmp_ne_u32_e64 s3, 0x7f800000, v163
                                        ; implicit-def: $vgpr163
	s_delay_alu instid0(VALU_DEP_1) | instskip(NEXT) | instid1(SALU_CYCLE_1)
	s_and_saveexec_b32 s21, s3
	s_xor_b32 s3, exec_lo, s21
; %bb.181:                              ;   in Loop: Header=BB411_13 Depth=1
	v_bfe_u32 v163, v28, 16, 1
	s_delay_alu instid0(VALU_DEP_1)
	v_add3_u32 v163, v28, v163, 0x7fff
                                        ; implicit-def: $vgpr28
; %bb.182:                              ;   in Loop: Header=BB411_13 Depth=1
	s_and_not1_saveexec_b32 s21, s3
; %bb.183:                              ;   in Loop: Header=BB411_13 Depth=1
	v_and_b32_e32 v163, 0xffff, v28
	v_or_b32_e32 v164, 0x10000, v28
	s_delay_alu instid0(VALU_DEP_2) | instskip(NEXT) | instid1(VALU_DEP_1)
	v_cmp_eq_u32_e64 s3, 0, v163
	v_cndmask_b32_e64 v163, v164, v28, s3
; %bb.184:                              ;   in Loop: Header=BB411_13 Depth=1
	s_or_b32 exec_lo, exec_lo, s21
	v_lshrrev_b32_e32 v164, 16, v165
	v_mov_b32_e32 v28, 0
	s_mov_b32 s21, exec_lo
	s_delay_alu instid0(VALU_DEP_2) | instskip(NEXT) | instid1(VALU_DEP_1)
	v_and_b32_e32 v166, 0xff, v164
	v_cmpx_ne_u16_e64 0, v166
	s_cbranch_execz .LBB411_192
; %bb.185:                              ;   in Loop: Header=BB411_13 Depth=1
	v_bfrev_b32_e32 v28, 1
	s_mov_b32 s22, exec_lo
	v_cmpx_ne_u16_e64 0x80, v166
	s_cbranch_execz .LBB411_191
; %bb.186:                              ;   in Loop: Header=BB411_13 Depth=1
	v_bfe_u32 v167, v165, 16, 7
	v_mov_b32_e32 v28, 0x7f800001
	s_mov_b32 s23, exec_lo
	s_delay_alu instid0(VALU_DEP_2)
	v_cmpx_ne_u32_e32 0x7f, v167
	s_cbranch_execz .LBB411_190
; %bb.187:                              ;   in Loop: Header=BB411_13 Depth=1
	v_and_b32_e32 v28, 7, v164
	v_lshrrev_b32_e32 v166, 3, v167
	s_mov_b32 s24, exec_lo
	v_cmpx_gt_u32_e32 8, v167
; %bb.188:                              ;   in Loop: Header=BB411_13 Depth=1
	s_delay_alu instid0(VALU_DEP_3) | instskip(NEXT) | instid1(VALU_DEP_1)
	v_clz_i32_u32_e32 v166, v28
	v_min_u32_e32 v166, 32, v166
	s_delay_alu instid0(VALU_DEP_1) | instskip(SKIP_1) | instid1(VALU_DEP_2)
	v_subrev_nc_u32_e32 v167, 28, v166
	v_sub_nc_u32_e32 v166, 29, v166
	v_lshlrev_b64 v[176:177], v167, v[28:29]
	s_delay_alu instid0(VALU_DEP_1)
	v_and_b32_e32 v28, 7, v176
; %bb.189:                              ;   in Loop: Header=BB411_13 Depth=1
	s_or_b32 exec_lo, exec_lo, s24
	v_lshlrev_b32_e32 v164, 24, v164
	s_delay_alu instid0(VALU_DEP_2) | instskip(SKIP_1) | instid1(VALU_DEP_3)
	v_lshlrev_b32_e32 v28, 20, v28
	v_lshl_add_u32 v166, v166, 23, 0x3c000000
	v_and_b32_e32 v164, 0x80000000, v164
	s_delay_alu instid0(VALU_DEP_1)
	v_or3_b32 v28, v28, v164, v166
.LBB411_190:                            ;   in Loop: Header=BB411_13 Depth=1
	s_or_b32 exec_lo, exec_lo, s23
.LBB411_191:                            ;   in Loop: Header=BB411_13 Depth=1
	s_delay_alu instid0(SALU_CYCLE_1)
	s_or_b32 exec_lo, exec_lo, s22
.LBB411_192:                            ;   in Loop: Header=BB411_13 Depth=1
	s_delay_alu instid0(SALU_CYCLE_1) | instskip(NEXT) | instid1(VALU_DEP_1)
	s_or_b32 exec_lo, exec_lo, s21
	v_mul_f32_e32 v28, v133, v28
	s_delay_alu instid0(VALU_DEP_1) | instskip(NEXT) | instid1(VALU_DEP_1)
	v_and_b32_e32 v164, 0x7f800000, v28
	v_cmp_ne_u32_e64 s3, 0x7f800000, v164
                                        ; implicit-def: $vgpr164
	s_delay_alu instid0(VALU_DEP_1) | instskip(NEXT) | instid1(SALU_CYCLE_1)
	s_and_saveexec_b32 s21, s3
	s_xor_b32 s3, exec_lo, s21
; %bb.193:                              ;   in Loop: Header=BB411_13 Depth=1
	v_bfe_u32 v164, v28, 16, 1
	s_delay_alu instid0(VALU_DEP_1)
	v_add3_u32 v164, v28, v164, 0x7fff
                                        ; implicit-def: $vgpr28
; %bb.194:                              ;   in Loop: Header=BB411_13 Depth=1
	s_and_not1_saveexec_b32 s21, s3
; %bb.195:                              ;   in Loop: Header=BB411_13 Depth=1
	v_and_b32_e32 v164, 0xffff, v28
	v_or_b32_e32 v166, 0x10000, v28
	s_delay_alu instid0(VALU_DEP_2) | instskip(NEXT) | instid1(VALU_DEP_1)
	v_cmp_eq_u32_e64 s3, 0, v164
	v_cndmask_b32_e64 v164, v166, v28, s3
; %bb.196:                              ;   in Loop: Header=BB411_13 Depth=1
	s_or_b32 exec_lo, exec_lo, s21
	v_mov_b32_e32 v28, 0
	s_mov_b32 s21, exec_lo
	v_cmpx_lt_u32_e32 0xffffff, v165
	s_cbranch_execz .LBB411_204
; %bb.197:                              ;   in Loop: Header=BB411_13 Depth=1
	v_lshrrev_b32_e32 v166, 24, v165
	v_bfrev_b32_e32 v28, 1
	s_mov_b32 s22, exec_lo
	s_delay_alu instid0(VALU_DEP_2)
	v_cmpx_ne_u32_e32 0x80, v166
	s_cbranch_execz .LBB411_203
; %bb.198:                              ;   in Loop: Header=BB411_13 Depth=1
	v_bfe_u32 v167, v165, 24, 7
	v_mov_b32_e32 v28, 0x7f800001
	s_mov_b32 s23, exec_lo
	s_delay_alu instid0(VALU_DEP_2)
	v_cmpx_ne_u32_e32 0x7f, v167
	s_cbranch_execz .LBB411_202
; %bb.199:                              ;   in Loop: Header=BB411_13 Depth=1
	v_and_b32_e32 v28, 7, v166
	v_lshrrev_b32_e32 v165, 3, v167
	s_mov_b32 s24, exec_lo
	v_cmpx_gt_u32_e32 8, v167
; %bb.200:                              ;   in Loop: Header=BB411_13 Depth=1
	s_delay_alu instid0(VALU_DEP_3) | instskip(NEXT) | instid1(VALU_DEP_1)
	v_clz_i32_u32_e32 v165, v28
	v_min_u32_e32 v165, 32, v165
	s_delay_alu instid0(VALU_DEP_1) | instskip(SKIP_1) | instid1(VALU_DEP_2)
	v_subrev_nc_u32_e32 v167, 28, v165
	v_sub_nc_u32_e32 v165, 29, v165
	v_lshlrev_b64 v[176:177], v167, v[28:29]
	s_delay_alu instid0(VALU_DEP_1)
	v_and_b32_e32 v28, 7, v176
; %bb.201:                              ;   in Loop: Header=BB411_13 Depth=1
	s_or_b32 exec_lo, exec_lo, s24
	v_lshlrev_b32_e32 v166, 24, v166
	s_delay_alu instid0(VALU_DEP_2) | instskip(SKIP_1) | instid1(VALU_DEP_3)
	v_lshlrev_b32_e32 v28, 20, v28
	v_lshl_add_u32 v165, v165, 23, 0x3c000000
	v_and_b32_e32 v166, 0x80000000, v166
	s_delay_alu instid0(VALU_DEP_1)
	v_or3_b32 v28, v28, v166, v165
.LBB411_202:                            ;   in Loop: Header=BB411_13 Depth=1
	s_or_b32 exec_lo, exec_lo, s23
.LBB411_203:                            ;   in Loop: Header=BB411_13 Depth=1
	s_delay_alu instid0(SALU_CYCLE_1)
	s_or_b32 exec_lo, exec_lo, s22
.LBB411_204:                            ;   in Loop: Header=BB411_13 Depth=1
	s_delay_alu instid0(SALU_CYCLE_1) | instskip(NEXT) | instid1(VALU_DEP_1)
	s_or_b32 exec_lo, exec_lo, s21
	v_mul_f32_e32 v28, v133, v28
	s_delay_alu instid0(VALU_DEP_1) | instskip(NEXT) | instid1(VALU_DEP_1)
	v_and_b32_e32 v165, 0x7f800000, v28
	v_cmp_ne_u32_e64 s3, 0x7f800000, v165
                                        ; implicit-def: $vgpr165
	s_delay_alu instid0(VALU_DEP_1) | instskip(NEXT) | instid1(SALU_CYCLE_1)
	s_and_saveexec_b32 s21, s3
	s_xor_b32 s3, exec_lo, s21
; %bb.205:                              ;   in Loop: Header=BB411_13 Depth=1
	v_bfe_u32 v165, v28, 16, 1
	s_delay_alu instid0(VALU_DEP_1)
	v_add3_u32 v165, v28, v165, 0x7fff
                                        ; implicit-def: $vgpr28
; %bb.206:                              ;   in Loop: Header=BB411_13 Depth=1
	s_and_not1_saveexec_b32 s21, s3
; %bb.207:                              ;   in Loop: Header=BB411_13 Depth=1
	v_and_b32_e32 v165, 0xffff, v28
	v_or_b32_e32 v166, 0x10000, v28
	s_delay_alu instid0(VALU_DEP_2) | instskip(NEXT) | instid1(VALU_DEP_1)
	v_cmp_eq_u32_e64 s3, 0, v165
	v_cndmask_b32_e64 v165, v166, v28, s3
; %bb.208:                              ;   in Loop: Header=BB411_13 Depth=1
	s_or_b32 exec_lo, exec_lo, s21
	flat_load_b32 v177, v[80:81] offset:512
	v_mov_b32_e32 v28, 0
	s_mov_b32 s21, exec_lo
	s_waitcnt vmcnt(0) lgkmcnt(0)
	v_and_b32_e32 v166, 0xff, v177
	s_delay_alu instid0(VALU_DEP_1)
	v_cmpx_ne_u16_e64 0, v166
	s_cbranch_execz .LBB411_216
; %bb.209:                              ;   in Loop: Header=BB411_13 Depth=1
	v_bfrev_b32_e32 v28, 1
	s_mov_b32 s22, exec_lo
	v_cmpx_ne_u16_e64 0x80, v166
	s_cbranch_execz .LBB411_215
; %bb.210:                              ;   in Loop: Header=BB411_13 Depth=1
	v_and_b32_e32 v167, 0x7f, v177
	v_mov_b32_e32 v28, 0x7f800001
	s_mov_b32 s23, exec_lo
	s_delay_alu instid0(VALU_DEP_2)
	v_cmpx_ne_u32_e32 0x7f, v167
	s_cbranch_execz .LBB411_214
; %bb.211:                              ;   in Loop: Header=BB411_13 Depth=1
	v_and_b32_e32 v28, 7, v177
	v_lshrrev_b32_e32 v166, 3, v167
	s_mov_b32 s24, exec_lo
	v_cmpx_gt_u32_e32 8, v167
; %bb.212:                              ;   in Loop: Header=BB411_13 Depth=1
	s_delay_alu instid0(VALU_DEP_3) | instskip(NEXT) | instid1(VALU_DEP_1)
	v_clz_i32_u32_e32 v166, v28
	v_min_u32_e32 v166, 32, v166
	s_delay_alu instid0(VALU_DEP_1) | instskip(SKIP_1) | instid1(VALU_DEP_2)
	v_subrev_nc_u32_e32 v167, 28, v166
	v_sub_nc_u32_e32 v166, 29, v166
	v_lshlrev_b64 v[178:179], v167, v[28:29]
	s_delay_alu instid0(VALU_DEP_1)
	v_and_b32_e32 v28, 7, v178
; %bb.213:                              ;   in Loop: Header=BB411_13 Depth=1
	s_or_b32 exec_lo, exec_lo, s24
	v_lshlrev_b32_e32 v167, 24, v177
	s_delay_alu instid0(VALU_DEP_2) | instskip(SKIP_1) | instid1(VALU_DEP_3)
	v_lshlrev_b32_e32 v28, 20, v28
	v_lshl_add_u32 v166, v166, 23, 0x3c000000
	v_and_b32_e32 v167, 0x80000000, v167
	s_delay_alu instid0(VALU_DEP_1)
	v_or3_b32 v28, v28, v167, v166
.LBB411_214:                            ;   in Loop: Header=BB411_13 Depth=1
	s_or_b32 exec_lo, exec_lo, s23
.LBB411_215:                            ;   in Loop: Header=BB411_13 Depth=1
	s_delay_alu instid0(SALU_CYCLE_1)
	s_or_b32 exec_lo, exec_lo, s22
.LBB411_216:                            ;   in Loop: Header=BB411_13 Depth=1
	s_delay_alu instid0(SALU_CYCLE_1) | instskip(NEXT) | instid1(VALU_DEP_1)
	s_or_b32 exec_lo, exec_lo, s21
	v_mul_f32_e32 v28, v133, v28
	s_delay_alu instid0(VALU_DEP_1) | instskip(NEXT) | instid1(VALU_DEP_1)
	v_and_b32_e32 v166, 0x7f800000, v28
	v_cmp_ne_u32_e64 s3, 0x7f800000, v166
                                        ; implicit-def: $vgpr166
	s_delay_alu instid0(VALU_DEP_1) | instskip(NEXT) | instid1(SALU_CYCLE_1)
	s_and_saveexec_b32 s21, s3
	s_xor_b32 s3, exec_lo, s21
; %bb.217:                              ;   in Loop: Header=BB411_13 Depth=1
	v_bfe_u32 v166, v28, 16, 1
	s_delay_alu instid0(VALU_DEP_1)
	v_add3_u32 v166, v28, v166, 0x7fff
                                        ; implicit-def: $vgpr28
; %bb.218:                              ;   in Loop: Header=BB411_13 Depth=1
	s_and_not1_saveexec_b32 s21, s3
; %bb.219:                              ;   in Loop: Header=BB411_13 Depth=1
	v_and_b32_e32 v166, 0xffff, v28
	v_or_b32_e32 v167, 0x10000, v28
	s_delay_alu instid0(VALU_DEP_2) | instskip(NEXT) | instid1(VALU_DEP_1)
	v_cmp_eq_u32_e64 s3, 0, v166
	v_cndmask_b32_e64 v166, v167, v28, s3
; %bb.220:                              ;   in Loop: Header=BB411_13 Depth=1
	s_or_b32 exec_lo, exec_lo, s21
	v_lshrrev_b16 v167, 8, v177
	v_mov_b32_e32 v28, 0
	s_mov_b32 s21, exec_lo
	s_delay_alu instid0(VALU_DEP_2)
	v_cmpx_ne_u16_e64 0, v167
	s_cbranch_execz .LBB411_228
; %bb.221:                              ;   in Loop: Header=BB411_13 Depth=1
	v_bfrev_b32_e32 v28, 1
	s_mov_b32 s22, exec_lo
	v_cmpx_ne_u16_e64 0x80, v167
	s_cbranch_execz .LBB411_227
; %bb.222:                              ;   in Loop: Header=BB411_13 Depth=1
	v_and_b32_e32 v167, 0xffff, v167
	v_mov_b32_e32 v28, 0x7f800001
	s_mov_b32 s23, exec_lo
	s_delay_alu instid0(VALU_DEP_2) | instskip(NEXT) | instid1(VALU_DEP_1)
	v_and_b32_e32 v176, 0x7f, v167
	v_cmpx_ne_u32_e32 0x7f, v176
	s_cbranch_execz .LBB411_226
; %bb.223:                              ;   in Loop: Header=BB411_13 Depth=1
	v_and_b32_e32 v28, 7, v167
	v_lshrrev_b32_e32 v167, 3, v176
	s_mov_b32 s24, exec_lo
	v_cmpx_gt_u32_e32 8, v176
; %bb.224:                              ;   in Loop: Header=BB411_13 Depth=1
	s_delay_alu instid0(VALU_DEP_3) | instskip(NEXT) | instid1(VALU_DEP_1)
	v_clz_i32_u32_e32 v167, v28
	v_min_u32_e32 v167, 32, v167
	s_delay_alu instid0(VALU_DEP_1) | instskip(SKIP_1) | instid1(VALU_DEP_2)
	v_subrev_nc_u32_e32 v176, 28, v167
	v_sub_nc_u32_e32 v167, 29, v167
	v_lshlrev_b64 v[178:179], v176, v[28:29]
	s_delay_alu instid0(VALU_DEP_1)
	v_and_b32_e32 v28, 7, v178
; %bb.225:                              ;   in Loop: Header=BB411_13 Depth=1
	s_or_b32 exec_lo, exec_lo, s24
	v_lshlrev_b32_e32 v176, 16, v177
	s_delay_alu instid0(VALU_DEP_2) | instskip(SKIP_1) | instid1(VALU_DEP_3)
	v_lshlrev_b32_e32 v28, 20, v28
	v_lshl_add_u32 v167, v167, 23, 0x3c000000
	v_and_b32_e32 v176, 0x80000000, v176
	s_delay_alu instid0(VALU_DEP_1)
	v_or3_b32 v28, v28, v176, v167
.LBB411_226:                            ;   in Loop: Header=BB411_13 Depth=1
	s_or_b32 exec_lo, exec_lo, s23
.LBB411_227:                            ;   in Loop: Header=BB411_13 Depth=1
	s_delay_alu instid0(SALU_CYCLE_1)
	s_or_b32 exec_lo, exec_lo, s22
.LBB411_228:                            ;   in Loop: Header=BB411_13 Depth=1
	s_delay_alu instid0(SALU_CYCLE_1) | instskip(NEXT) | instid1(VALU_DEP_1)
	s_or_b32 exec_lo, exec_lo, s21
	v_mul_f32_e32 v28, v133, v28
	s_delay_alu instid0(VALU_DEP_1) | instskip(NEXT) | instid1(VALU_DEP_1)
	v_and_b32_e32 v167, 0x7f800000, v28
	v_cmp_ne_u32_e64 s3, 0x7f800000, v167
                                        ; implicit-def: $vgpr167
	s_delay_alu instid0(VALU_DEP_1) | instskip(NEXT) | instid1(SALU_CYCLE_1)
	s_and_saveexec_b32 s21, s3
	s_xor_b32 s3, exec_lo, s21
; %bb.229:                              ;   in Loop: Header=BB411_13 Depth=1
	v_bfe_u32 v167, v28, 16, 1
	s_delay_alu instid0(VALU_DEP_1)
	v_add3_u32 v167, v28, v167, 0x7fff
                                        ; implicit-def: $vgpr28
; %bb.230:                              ;   in Loop: Header=BB411_13 Depth=1
	s_and_not1_saveexec_b32 s21, s3
; %bb.231:                              ;   in Loop: Header=BB411_13 Depth=1
	v_and_b32_e32 v167, 0xffff, v28
	v_or_b32_e32 v176, 0x10000, v28
	s_delay_alu instid0(VALU_DEP_2) | instskip(NEXT) | instid1(VALU_DEP_1)
	v_cmp_eq_u32_e64 s3, 0, v167
	v_cndmask_b32_e64 v167, v176, v28, s3
; %bb.232:                              ;   in Loop: Header=BB411_13 Depth=1
	s_or_b32 exec_lo, exec_lo, s21
	v_lshrrev_b32_e32 v176, 16, v177
	v_mov_b32_e32 v28, 0
	s_mov_b32 s21, exec_lo
	s_delay_alu instid0(VALU_DEP_2) | instskip(NEXT) | instid1(VALU_DEP_1)
	v_and_b32_e32 v178, 0xff, v176
	v_cmpx_ne_u16_e64 0, v178
	s_cbranch_execz .LBB411_240
; %bb.233:                              ;   in Loop: Header=BB411_13 Depth=1
	v_bfrev_b32_e32 v28, 1
	s_mov_b32 s22, exec_lo
	v_cmpx_ne_u16_e64 0x80, v178
	s_cbranch_execz .LBB411_239
; %bb.234:                              ;   in Loop: Header=BB411_13 Depth=1
	v_bfe_u32 v179, v177, 16, 7
	v_mov_b32_e32 v28, 0x7f800001
	s_mov_b32 s23, exec_lo
	s_delay_alu instid0(VALU_DEP_2)
	v_cmpx_ne_u32_e32 0x7f, v179
	s_cbranch_execz .LBB411_238
; %bb.235:                              ;   in Loop: Header=BB411_13 Depth=1
	v_and_b32_e32 v28, 7, v176
	v_lshrrev_b32_e32 v178, 3, v179
	s_mov_b32 s24, exec_lo
	v_cmpx_gt_u32_e32 8, v179
; %bb.236:                              ;   in Loop: Header=BB411_13 Depth=1
	s_delay_alu instid0(VALU_DEP_3) | instskip(NEXT) | instid1(VALU_DEP_1)
	v_clz_i32_u32_e32 v178, v28
	v_min_u32_e32 v178, 32, v178
	s_delay_alu instid0(VALU_DEP_1) | instskip(SKIP_1) | instid1(VALU_DEP_2)
	v_subrev_nc_u32_e32 v179, 28, v178
	v_sub_nc_u32_e32 v178, 29, v178
	v_lshlrev_b64 v[179:180], v179, v[28:29]
	s_delay_alu instid0(VALU_DEP_1)
	v_and_b32_e32 v28, 7, v179
; %bb.237:                              ;   in Loop: Header=BB411_13 Depth=1
	s_or_b32 exec_lo, exec_lo, s24
	v_lshlrev_b32_e32 v176, 24, v176
	s_delay_alu instid0(VALU_DEP_2) | instskip(SKIP_1) | instid1(VALU_DEP_3)
	v_lshlrev_b32_e32 v28, 20, v28
	v_lshl_add_u32 v178, v178, 23, 0x3c000000
	v_and_b32_e32 v176, 0x80000000, v176
	s_delay_alu instid0(VALU_DEP_1)
	v_or3_b32 v28, v28, v176, v178
.LBB411_238:                            ;   in Loop: Header=BB411_13 Depth=1
	s_or_b32 exec_lo, exec_lo, s23
.LBB411_239:                            ;   in Loop: Header=BB411_13 Depth=1
	s_delay_alu instid0(SALU_CYCLE_1)
	s_or_b32 exec_lo, exec_lo, s22
.LBB411_240:                            ;   in Loop: Header=BB411_13 Depth=1
	s_delay_alu instid0(SALU_CYCLE_1) | instskip(NEXT) | instid1(VALU_DEP_1)
	s_or_b32 exec_lo, exec_lo, s21
	v_mul_f32_e32 v28, v133, v28
	s_delay_alu instid0(VALU_DEP_1) | instskip(NEXT) | instid1(VALU_DEP_1)
	v_and_b32_e32 v176, 0x7f800000, v28
	v_cmp_ne_u32_e64 s3, 0x7f800000, v176
                                        ; implicit-def: $vgpr176
	s_delay_alu instid0(VALU_DEP_1) | instskip(NEXT) | instid1(SALU_CYCLE_1)
	s_and_saveexec_b32 s21, s3
	s_xor_b32 s3, exec_lo, s21
; %bb.241:                              ;   in Loop: Header=BB411_13 Depth=1
	v_bfe_u32 v176, v28, 16, 1
	s_delay_alu instid0(VALU_DEP_1)
	v_add3_u32 v176, v28, v176, 0x7fff
                                        ; implicit-def: $vgpr28
; %bb.242:                              ;   in Loop: Header=BB411_13 Depth=1
	s_and_not1_saveexec_b32 s21, s3
; %bb.243:                              ;   in Loop: Header=BB411_13 Depth=1
	v_and_b32_e32 v176, 0xffff, v28
	v_or_b32_e32 v178, 0x10000, v28
	s_delay_alu instid0(VALU_DEP_2) | instskip(NEXT) | instid1(VALU_DEP_1)
	v_cmp_eq_u32_e64 s3, 0, v176
	v_cndmask_b32_e64 v176, v178, v28, s3
; %bb.244:                              ;   in Loop: Header=BB411_13 Depth=1
	s_or_b32 exec_lo, exec_lo, s21
	v_mov_b32_e32 v28, 0
	s_mov_b32 s21, exec_lo
	v_cmpx_lt_u32_e32 0xffffff, v177
	s_cbranch_execz .LBB411_252
; %bb.245:                              ;   in Loop: Header=BB411_13 Depth=1
	v_lshrrev_b32_e32 v178, 24, v177
	v_bfrev_b32_e32 v28, 1
	s_mov_b32 s22, exec_lo
	s_delay_alu instid0(VALU_DEP_2)
	v_cmpx_ne_u32_e32 0x80, v178
	s_cbranch_execz .LBB411_251
; %bb.246:                              ;   in Loop: Header=BB411_13 Depth=1
	v_bfe_u32 v179, v177, 24, 7
	v_mov_b32_e32 v28, 0x7f800001
	s_mov_b32 s23, exec_lo
	s_delay_alu instid0(VALU_DEP_2)
	v_cmpx_ne_u32_e32 0x7f, v179
	s_cbranch_execz .LBB411_250
; %bb.247:                              ;   in Loop: Header=BB411_13 Depth=1
	v_and_b32_e32 v28, 7, v178
	v_lshrrev_b32_e32 v177, 3, v179
	s_mov_b32 s24, exec_lo
	v_cmpx_gt_u32_e32 8, v179
; %bb.248:                              ;   in Loop: Header=BB411_13 Depth=1
	s_delay_alu instid0(VALU_DEP_3) | instskip(NEXT) | instid1(VALU_DEP_1)
	v_clz_i32_u32_e32 v177, v28
	v_min_u32_e32 v177, 32, v177
	s_delay_alu instid0(VALU_DEP_1) | instskip(SKIP_1) | instid1(VALU_DEP_2)
	v_subrev_nc_u32_e32 v179, 28, v177
	v_sub_nc_u32_e32 v177, 29, v177
	v_lshlrev_b64 v[179:180], v179, v[28:29]
	s_delay_alu instid0(VALU_DEP_1)
	v_and_b32_e32 v28, 7, v179
; %bb.249:                              ;   in Loop: Header=BB411_13 Depth=1
	s_or_b32 exec_lo, exec_lo, s24
	v_lshlrev_b32_e32 v178, 24, v178
	s_delay_alu instid0(VALU_DEP_2) | instskip(SKIP_1) | instid1(VALU_DEP_3)
	v_lshlrev_b32_e32 v28, 20, v28
	v_lshl_add_u32 v177, v177, 23, 0x3c000000
	v_and_b32_e32 v178, 0x80000000, v178
	s_delay_alu instid0(VALU_DEP_1)
	v_or3_b32 v28, v28, v178, v177
.LBB411_250:                            ;   in Loop: Header=BB411_13 Depth=1
	s_or_b32 exec_lo, exec_lo, s23
.LBB411_251:                            ;   in Loop: Header=BB411_13 Depth=1
	s_delay_alu instid0(SALU_CYCLE_1)
	s_or_b32 exec_lo, exec_lo, s22
.LBB411_252:                            ;   in Loop: Header=BB411_13 Depth=1
	s_delay_alu instid0(SALU_CYCLE_1) | instskip(NEXT) | instid1(VALU_DEP_1)
	s_or_b32 exec_lo, exec_lo, s21
	v_mul_f32_e32 v28, v133, v28
	s_delay_alu instid0(VALU_DEP_1) | instskip(NEXT) | instid1(VALU_DEP_1)
	v_and_b32_e32 v177, 0x7f800000, v28
	v_cmp_ne_u32_e64 s3, 0x7f800000, v177
                                        ; implicit-def: $vgpr177
	s_delay_alu instid0(VALU_DEP_1) | instskip(NEXT) | instid1(SALU_CYCLE_1)
	s_and_saveexec_b32 s21, s3
	s_xor_b32 s3, exec_lo, s21
; %bb.253:                              ;   in Loop: Header=BB411_13 Depth=1
	v_bfe_u32 v177, v28, 16, 1
	s_delay_alu instid0(VALU_DEP_1)
	v_add3_u32 v177, v28, v177, 0x7fff
                                        ; implicit-def: $vgpr28
; %bb.254:                              ;   in Loop: Header=BB411_13 Depth=1
	s_and_not1_saveexec_b32 s21, s3
; %bb.255:                              ;   in Loop: Header=BB411_13 Depth=1
	v_and_b32_e32 v177, 0xffff, v28
	v_or_b32_e32 v178, 0x10000, v28
	s_delay_alu instid0(VALU_DEP_2) | instskip(NEXT) | instid1(VALU_DEP_1)
	v_cmp_eq_u32_e64 s3, 0, v177
	v_cndmask_b32_e64 v177, v178, v28, s3
; %bb.256:                              ;   in Loop: Header=BB411_13 Depth=1
	s_or_b32 exec_lo, exec_lo, s21
	flat_load_b32 v181, v[80:81] offset:520
	v_mov_b32_e32 v28, 0
	s_mov_b32 s21, exec_lo
	s_waitcnt vmcnt(0) lgkmcnt(0)
	v_and_b32_e32 v178, 0xff, v181
	s_delay_alu instid0(VALU_DEP_1)
	v_cmpx_ne_u16_e64 0, v178
	s_cbranch_execz .LBB411_264
; %bb.257:                              ;   in Loop: Header=BB411_13 Depth=1
	v_bfrev_b32_e32 v28, 1
	s_mov_b32 s22, exec_lo
	v_cmpx_ne_u16_e64 0x80, v178
	s_cbranch_execz .LBB411_263
; %bb.258:                              ;   in Loop: Header=BB411_13 Depth=1
	v_and_b32_e32 v179, 0x7f, v181
	v_mov_b32_e32 v28, 0x7f800001
	s_mov_b32 s23, exec_lo
	s_delay_alu instid0(VALU_DEP_2)
	v_cmpx_ne_u32_e32 0x7f, v179
	s_cbranch_execz .LBB411_262
; %bb.259:                              ;   in Loop: Header=BB411_13 Depth=1
	v_and_b32_e32 v28, 7, v181
	v_lshrrev_b32_e32 v178, 3, v179
	s_mov_b32 s24, exec_lo
	v_cmpx_gt_u32_e32 8, v179
; %bb.260:                              ;   in Loop: Header=BB411_13 Depth=1
	s_delay_alu instid0(VALU_DEP_3) | instskip(NEXT) | instid1(VALU_DEP_1)
	v_clz_i32_u32_e32 v178, v28
	v_min_u32_e32 v178, 32, v178
	s_delay_alu instid0(VALU_DEP_1) | instskip(SKIP_1) | instid1(VALU_DEP_2)
	v_subrev_nc_u32_e32 v179, 28, v178
	v_sub_nc_u32_e32 v178, 29, v178
	v_lshlrev_b64 v[179:180], v179, v[28:29]
	s_delay_alu instid0(VALU_DEP_1)
	v_and_b32_e32 v28, 7, v179
; %bb.261:                              ;   in Loop: Header=BB411_13 Depth=1
	s_or_b32 exec_lo, exec_lo, s24
	v_lshlrev_b32_e32 v179, 24, v181
	s_delay_alu instid0(VALU_DEP_2) | instskip(SKIP_1) | instid1(VALU_DEP_3)
	v_lshlrev_b32_e32 v28, 20, v28
	v_lshl_add_u32 v178, v178, 23, 0x3c000000
	v_and_b32_e32 v179, 0x80000000, v179
	s_delay_alu instid0(VALU_DEP_1)
	v_or3_b32 v28, v28, v179, v178
.LBB411_262:                            ;   in Loop: Header=BB411_13 Depth=1
	s_or_b32 exec_lo, exec_lo, s23
.LBB411_263:                            ;   in Loop: Header=BB411_13 Depth=1
	s_delay_alu instid0(SALU_CYCLE_1)
	s_or_b32 exec_lo, exec_lo, s22
.LBB411_264:                            ;   in Loop: Header=BB411_13 Depth=1
	s_delay_alu instid0(SALU_CYCLE_1) | instskip(NEXT) | instid1(VALU_DEP_1)
	s_or_b32 exec_lo, exec_lo, s21
	v_mul_f32_e32 v28, v133, v28
	s_delay_alu instid0(VALU_DEP_1) | instskip(NEXT) | instid1(VALU_DEP_1)
	v_and_b32_e32 v178, 0x7f800000, v28
	v_cmp_ne_u32_e64 s3, 0x7f800000, v178
                                        ; implicit-def: $vgpr178
	s_delay_alu instid0(VALU_DEP_1) | instskip(NEXT) | instid1(SALU_CYCLE_1)
	s_and_saveexec_b32 s21, s3
	s_xor_b32 s3, exec_lo, s21
; %bb.265:                              ;   in Loop: Header=BB411_13 Depth=1
	v_bfe_u32 v178, v28, 16, 1
	s_delay_alu instid0(VALU_DEP_1)
	v_add3_u32 v178, v28, v178, 0x7fff
                                        ; implicit-def: $vgpr28
; %bb.266:                              ;   in Loop: Header=BB411_13 Depth=1
	s_and_not1_saveexec_b32 s21, s3
; %bb.267:                              ;   in Loop: Header=BB411_13 Depth=1
	v_and_b32_e32 v178, 0xffff, v28
	v_or_b32_e32 v179, 0x10000, v28
	s_delay_alu instid0(VALU_DEP_2) | instskip(NEXT) | instid1(VALU_DEP_1)
	v_cmp_eq_u32_e64 s3, 0, v178
	v_cndmask_b32_e64 v178, v179, v28, s3
; %bb.268:                              ;   in Loop: Header=BB411_13 Depth=1
	s_or_b32 exec_lo, exec_lo, s21
	v_lshrrev_b16 v179, 8, v181
	v_mov_b32_e32 v28, 0
	s_mov_b32 s21, exec_lo
	s_delay_alu instid0(VALU_DEP_2)
	v_cmpx_ne_u16_e64 0, v179
	s_cbranch_execz .LBB411_276
; %bb.269:                              ;   in Loop: Header=BB411_13 Depth=1
	v_bfrev_b32_e32 v28, 1
	s_mov_b32 s22, exec_lo
	v_cmpx_ne_u16_e64 0x80, v179
	s_cbranch_execz .LBB411_275
; %bb.270:                              ;   in Loop: Header=BB411_13 Depth=1
	v_and_b32_e32 v179, 0xffff, v179
	v_mov_b32_e32 v28, 0x7f800001
	s_mov_b32 s23, exec_lo
	s_delay_alu instid0(VALU_DEP_2) | instskip(NEXT) | instid1(VALU_DEP_1)
	v_and_b32_e32 v180, 0x7f, v179
	v_cmpx_ne_u32_e32 0x7f, v180
	s_cbranch_execz .LBB411_274
; %bb.271:                              ;   in Loop: Header=BB411_13 Depth=1
	v_and_b32_e32 v28, 7, v179
	v_lshrrev_b32_e32 v179, 3, v180
	s_mov_b32 s24, exec_lo
	v_cmpx_gt_u32_e32 8, v180
; %bb.272:                              ;   in Loop: Header=BB411_13 Depth=1
	s_delay_alu instid0(VALU_DEP_3) | instskip(NEXT) | instid1(VALU_DEP_1)
	v_clz_i32_u32_e32 v179, v28
	v_min_u32_e32 v179, 32, v179
	s_delay_alu instid0(VALU_DEP_1) | instskip(SKIP_1) | instid1(VALU_DEP_2)
	v_subrev_nc_u32_e32 v180, 28, v179
	v_sub_nc_u32_e32 v179, 29, v179
	v_lshlrev_b64 v[182:183], v180, v[28:29]
	s_delay_alu instid0(VALU_DEP_1)
	v_and_b32_e32 v28, 7, v182
; %bb.273:                              ;   in Loop: Header=BB411_13 Depth=1
	s_or_b32 exec_lo, exec_lo, s24
	v_lshlrev_b32_e32 v180, 16, v181
	s_delay_alu instid0(VALU_DEP_2) | instskip(SKIP_1) | instid1(VALU_DEP_3)
	v_lshlrev_b32_e32 v28, 20, v28
	v_lshl_add_u32 v179, v179, 23, 0x3c000000
	v_and_b32_e32 v180, 0x80000000, v180
	s_delay_alu instid0(VALU_DEP_1)
	v_or3_b32 v28, v28, v180, v179
.LBB411_274:                            ;   in Loop: Header=BB411_13 Depth=1
	s_or_b32 exec_lo, exec_lo, s23
.LBB411_275:                            ;   in Loop: Header=BB411_13 Depth=1
	s_delay_alu instid0(SALU_CYCLE_1)
	s_or_b32 exec_lo, exec_lo, s22
.LBB411_276:                            ;   in Loop: Header=BB411_13 Depth=1
	s_delay_alu instid0(SALU_CYCLE_1) | instskip(NEXT) | instid1(VALU_DEP_1)
	s_or_b32 exec_lo, exec_lo, s21
	v_mul_f32_e32 v28, v133, v28
	s_delay_alu instid0(VALU_DEP_1) | instskip(NEXT) | instid1(VALU_DEP_1)
	v_and_b32_e32 v179, 0x7f800000, v28
	v_cmp_ne_u32_e64 s3, 0x7f800000, v179
                                        ; implicit-def: $vgpr179
	s_delay_alu instid0(VALU_DEP_1) | instskip(NEXT) | instid1(SALU_CYCLE_1)
	s_and_saveexec_b32 s21, s3
	s_xor_b32 s3, exec_lo, s21
; %bb.277:                              ;   in Loop: Header=BB411_13 Depth=1
	v_bfe_u32 v179, v28, 16, 1
	s_delay_alu instid0(VALU_DEP_1)
	v_add3_u32 v179, v28, v179, 0x7fff
                                        ; implicit-def: $vgpr28
; %bb.278:                              ;   in Loop: Header=BB411_13 Depth=1
	s_and_not1_saveexec_b32 s21, s3
; %bb.279:                              ;   in Loop: Header=BB411_13 Depth=1
	v_and_b32_e32 v179, 0xffff, v28
	v_or_b32_e32 v180, 0x10000, v28
	s_delay_alu instid0(VALU_DEP_2) | instskip(NEXT) | instid1(VALU_DEP_1)
	v_cmp_eq_u32_e64 s3, 0, v179
	v_cndmask_b32_e64 v179, v180, v28, s3
; %bb.280:                              ;   in Loop: Header=BB411_13 Depth=1
	s_or_b32 exec_lo, exec_lo, s21
	v_lshrrev_b32_e32 v180, 16, v181
	v_mov_b32_e32 v28, 0
	s_mov_b32 s21, exec_lo
	s_delay_alu instid0(VALU_DEP_2) | instskip(NEXT) | instid1(VALU_DEP_1)
	v_and_b32_e32 v182, 0xff, v180
	v_cmpx_ne_u16_e64 0, v182
	s_cbranch_execz .LBB411_288
; %bb.281:                              ;   in Loop: Header=BB411_13 Depth=1
	v_bfrev_b32_e32 v28, 1
	s_mov_b32 s22, exec_lo
	v_cmpx_ne_u16_e64 0x80, v182
	s_cbranch_execz .LBB411_287
; %bb.282:                              ;   in Loop: Header=BB411_13 Depth=1
	v_bfe_u32 v183, v181, 16, 7
	v_mov_b32_e32 v28, 0x7f800001
	s_mov_b32 s23, exec_lo
	s_delay_alu instid0(VALU_DEP_2)
	v_cmpx_ne_u32_e32 0x7f, v183
	s_cbranch_execz .LBB411_286
; %bb.283:                              ;   in Loop: Header=BB411_13 Depth=1
	v_and_b32_e32 v28, 7, v180
	v_lshrrev_b32_e32 v182, 3, v183
	s_mov_b32 s24, exec_lo
	v_cmpx_gt_u32_e32 8, v183
; %bb.284:                              ;   in Loop: Header=BB411_13 Depth=1
	s_delay_alu instid0(VALU_DEP_3) | instskip(NEXT) | instid1(VALU_DEP_1)
	v_clz_i32_u32_e32 v182, v28
	v_min_u32_e32 v182, 32, v182
	s_delay_alu instid0(VALU_DEP_1) | instskip(SKIP_1) | instid1(VALU_DEP_2)
	v_subrev_nc_u32_e32 v183, 28, v182
	v_sub_nc_u32_e32 v182, 29, v182
	v_lshlrev_b64 v[40:41], v183, v[28:29]
	s_delay_alu instid0(VALU_DEP_1)
	v_and_b32_e32 v28, 7, v40
; %bb.285:                              ;   in Loop: Header=BB411_13 Depth=1
	s_or_b32 exec_lo, exec_lo, s24
	v_lshlrev_b32_e32 v180, 24, v180
	s_delay_alu instid0(VALU_DEP_2) | instskip(SKIP_1) | instid1(VALU_DEP_3)
	v_lshlrev_b32_e32 v28, 20, v28
	v_lshl_add_u32 v182, v182, 23, 0x3c000000
	v_and_b32_e32 v180, 0x80000000, v180
	s_delay_alu instid0(VALU_DEP_1)
	v_or3_b32 v28, v28, v180, v182
.LBB411_286:                            ;   in Loop: Header=BB411_13 Depth=1
	s_or_b32 exec_lo, exec_lo, s23
.LBB411_287:                            ;   in Loop: Header=BB411_13 Depth=1
	s_delay_alu instid0(SALU_CYCLE_1)
	s_or_b32 exec_lo, exec_lo, s22
.LBB411_288:                            ;   in Loop: Header=BB411_13 Depth=1
	s_delay_alu instid0(SALU_CYCLE_1) | instskip(NEXT) | instid1(VALU_DEP_1)
	s_or_b32 exec_lo, exec_lo, s21
	v_mul_f32_e32 v28, v133, v28
	s_delay_alu instid0(VALU_DEP_1) | instskip(NEXT) | instid1(VALU_DEP_1)
	v_and_b32_e32 v180, 0x7f800000, v28
	v_cmp_ne_u32_e64 s3, 0x7f800000, v180
                                        ; implicit-def: $vgpr180
	s_delay_alu instid0(VALU_DEP_1) | instskip(NEXT) | instid1(SALU_CYCLE_1)
	s_and_saveexec_b32 s21, s3
	s_xor_b32 s3, exec_lo, s21
; %bb.289:                              ;   in Loop: Header=BB411_13 Depth=1
	v_bfe_u32 v180, v28, 16, 1
	s_delay_alu instid0(VALU_DEP_1)
	v_add3_u32 v180, v28, v180, 0x7fff
                                        ; implicit-def: $vgpr28
; %bb.290:                              ;   in Loop: Header=BB411_13 Depth=1
	s_and_not1_saveexec_b32 s21, s3
; %bb.291:                              ;   in Loop: Header=BB411_13 Depth=1
	v_and_b32_e32 v180, 0xffff, v28
	v_or_b32_e32 v182, 0x10000, v28
	s_delay_alu instid0(VALU_DEP_2) | instskip(NEXT) | instid1(VALU_DEP_1)
	v_cmp_eq_u32_e64 s3, 0, v180
	v_cndmask_b32_e64 v180, v182, v28, s3
; %bb.292:                              ;   in Loop: Header=BB411_13 Depth=1
	s_or_b32 exec_lo, exec_lo, s21
	v_mov_b32_e32 v28, 0
	s_mov_b32 s21, exec_lo
	v_cmpx_lt_u32_e32 0xffffff, v181
	s_cbranch_execz .LBB411_300
; %bb.293:                              ;   in Loop: Header=BB411_13 Depth=1
	v_lshrrev_b32_e32 v182, 24, v181
	v_bfrev_b32_e32 v28, 1
	s_mov_b32 s22, exec_lo
	s_delay_alu instid0(VALU_DEP_2)
	v_cmpx_ne_u32_e32 0x80, v182
	s_cbranch_execz .LBB411_299
; %bb.294:                              ;   in Loop: Header=BB411_13 Depth=1
	v_bfe_u32 v183, v181, 24, 7
	v_mov_b32_e32 v28, 0x7f800001
	s_mov_b32 s23, exec_lo
	s_delay_alu instid0(VALU_DEP_2)
	v_cmpx_ne_u32_e32 0x7f, v183
	s_cbranch_execz .LBB411_298
; %bb.295:                              ;   in Loop: Header=BB411_13 Depth=1
	v_and_b32_e32 v28, 7, v182
	v_lshrrev_b32_e32 v181, 3, v183
	s_mov_b32 s24, exec_lo
	v_cmpx_gt_u32_e32 8, v183
; %bb.296:                              ;   in Loop: Header=BB411_13 Depth=1
	s_delay_alu instid0(VALU_DEP_3) | instskip(NEXT) | instid1(VALU_DEP_1)
	v_clz_i32_u32_e32 v181, v28
	v_min_u32_e32 v181, 32, v181
	s_delay_alu instid0(VALU_DEP_1) | instskip(SKIP_1) | instid1(VALU_DEP_2)
	v_subrev_nc_u32_e32 v183, 28, v181
	v_sub_nc_u32_e32 v181, 29, v181
	v_lshlrev_b64 v[40:41], v183, v[28:29]
	s_delay_alu instid0(VALU_DEP_1)
	v_and_b32_e32 v28, 7, v40
; %bb.297:                              ;   in Loop: Header=BB411_13 Depth=1
	s_or_b32 exec_lo, exec_lo, s24
	v_lshlrev_b32_e32 v182, 24, v182
	s_delay_alu instid0(VALU_DEP_2) | instskip(SKIP_1) | instid1(VALU_DEP_3)
	v_lshlrev_b32_e32 v28, 20, v28
	v_lshl_add_u32 v181, v181, 23, 0x3c000000
	v_and_b32_e32 v182, 0x80000000, v182
	s_delay_alu instid0(VALU_DEP_1)
	v_or3_b32 v28, v28, v182, v181
.LBB411_298:                            ;   in Loop: Header=BB411_13 Depth=1
	s_or_b32 exec_lo, exec_lo, s23
.LBB411_299:                            ;   in Loop: Header=BB411_13 Depth=1
	s_delay_alu instid0(SALU_CYCLE_1)
	s_or_b32 exec_lo, exec_lo, s22
.LBB411_300:                            ;   in Loop: Header=BB411_13 Depth=1
	s_delay_alu instid0(SALU_CYCLE_1) | instskip(NEXT) | instid1(VALU_DEP_1)
	s_or_b32 exec_lo, exec_lo, s21
	v_mul_f32_e32 v28, v133, v28
	s_delay_alu instid0(VALU_DEP_1) | instskip(NEXT) | instid1(VALU_DEP_1)
	v_and_b32_e32 v181, 0x7f800000, v28
	v_cmp_ne_u32_e64 s3, 0x7f800000, v181
                                        ; implicit-def: $vgpr181
	s_delay_alu instid0(VALU_DEP_1) | instskip(NEXT) | instid1(SALU_CYCLE_1)
	s_and_saveexec_b32 s21, s3
	s_xor_b32 s3, exec_lo, s21
; %bb.301:                              ;   in Loop: Header=BB411_13 Depth=1
	v_bfe_u32 v181, v28, 16, 1
	s_delay_alu instid0(VALU_DEP_1)
	v_add3_u32 v181, v28, v181, 0x7fff
                                        ; implicit-def: $vgpr28
; %bb.302:                              ;   in Loop: Header=BB411_13 Depth=1
	s_and_not1_saveexec_b32 s21, s3
; %bb.303:                              ;   in Loop: Header=BB411_13 Depth=1
	v_and_b32_e32 v181, 0xffff, v28
	v_or_b32_e32 v182, 0x10000, v28
	s_delay_alu instid0(VALU_DEP_2) | instskip(NEXT) | instid1(VALU_DEP_1)
	v_cmp_eq_u32_e64 s3, 0, v181
	v_cndmask_b32_e64 v181, v182, v28, s3
; %bb.304:                              ;   in Loop: Header=BB411_13 Depth=1
	s_or_b32 exec_lo, exec_lo, s21
	flat_load_b32 v41, v[80:81] offset:768
	v_mov_b32_e32 v28, 0
	s_mov_b32 s21, exec_lo
	s_waitcnt vmcnt(0) lgkmcnt(0)
	v_and_b32_e32 v182, 0xff, v41
	s_delay_alu instid0(VALU_DEP_1)
	v_cmpx_ne_u16_e64 0, v182
	s_cbranch_execz .LBB411_312
; %bb.305:                              ;   in Loop: Header=BB411_13 Depth=1
	v_bfrev_b32_e32 v28, 1
	s_mov_b32 s22, exec_lo
	v_cmpx_ne_u16_e64 0x80, v182
	s_cbranch_execz .LBB411_311
; %bb.306:                              ;   in Loop: Header=BB411_13 Depth=1
	v_and_b32_e32 v183, 0x7f, v41
	v_mov_b32_e32 v28, 0x7f800001
	s_mov_b32 s23, exec_lo
	s_delay_alu instid0(VALU_DEP_2)
	v_cmpx_ne_u32_e32 0x7f, v183
	s_cbranch_execz .LBB411_310
; %bb.307:                              ;   in Loop: Header=BB411_13 Depth=1
	v_and_b32_e32 v28, 7, v41
	v_lshrrev_b32_e32 v182, 3, v183
	s_mov_b32 s24, exec_lo
	v_cmpx_gt_u32_e32 8, v183
; %bb.308:                              ;   in Loop: Header=BB411_13 Depth=1
	s_delay_alu instid0(VALU_DEP_3) | instskip(NEXT) | instid1(VALU_DEP_1)
	v_clz_i32_u32_e32 v182, v28
	v_min_u32_e32 v182, 32, v182
	s_delay_alu instid0(VALU_DEP_1) | instskip(SKIP_1) | instid1(VALU_DEP_2)
	v_subrev_nc_u32_e32 v183, 28, v182
	v_sub_nc_u32_e32 v182, 29, v182
	v_lshlrev_b64 v[42:43], v183, v[28:29]
	s_delay_alu instid0(VALU_DEP_1)
	v_and_b32_e32 v28, 7, v42
; %bb.309:                              ;   in Loop: Header=BB411_13 Depth=1
	s_or_b32 exec_lo, exec_lo, s24
	v_lshlrev_b32_e32 v183, 24, v41
	s_delay_alu instid0(VALU_DEP_2) | instskip(SKIP_1) | instid1(VALU_DEP_3)
	v_lshlrev_b32_e32 v28, 20, v28
	v_lshl_add_u32 v182, v182, 23, 0x3c000000
	v_and_b32_e32 v183, 0x80000000, v183
	s_delay_alu instid0(VALU_DEP_1)
	v_or3_b32 v28, v28, v183, v182
.LBB411_310:                            ;   in Loop: Header=BB411_13 Depth=1
	s_or_b32 exec_lo, exec_lo, s23
.LBB411_311:                            ;   in Loop: Header=BB411_13 Depth=1
	s_delay_alu instid0(SALU_CYCLE_1)
	s_or_b32 exec_lo, exec_lo, s22
.LBB411_312:                            ;   in Loop: Header=BB411_13 Depth=1
	s_delay_alu instid0(SALU_CYCLE_1) | instskip(NEXT) | instid1(VALU_DEP_1)
	s_or_b32 exec_lo, exec_lo, s21
	v_mul_f32_e32 v28, v133, v28
	s_delay_alu instid0(VALU_DEP_1) | instskip(NEXT) | instid1(VALU_DEP_1)
	v_and_b32_e32 v182, 0x7f800000, v28
	v_cmp_ne_u32_e64 s3, 0x7f800000, v182
                                        ; implicit-def: $vgpr182
	s_delay_alu instid0(VALU_DEP_1) | instskip(NEXT) | instid1(SALU_CYCLE_1)
	s_and_saveexec_b32 s21, s3
	s_xor_b32 s3, exec_lo, s21
; %bb.313:                              ;   in Loop: Header=BB411_13 Depth=1
	v_bfe_u32 v182, v28, 16, 1
	s_delay_alu instid0(VALU_DEP_1)
	v_add3_u32 v182, v28, v182, 0x7fff
                                        ; implicit-def: $vgpr28
; %bb.314:                              ;   in Loop: Header=BB411_13 Depth=1
	s_and_not1_saveexec_b32 s21, s3
; %bb.315:                              ;   in Loop: Header=BB411_13 Depth=1
	v_and_b32_e32 v182, 0xffff, v28
	v_or_b32_e32 v183, 0x10000, v28
	s_delay_alu instid0(VALU_DEP_2) | instskip(NEXT) | instid1(VALU_DEP_1)
	v_cmp_eq_u32_e64 s3, 0, v182
	v_cndmask_b32_e64 v182, v183, v28, s3
; %bb.316:                              ;   in Loop: Header=BB411_13 Depth=1
	s_or_b32 exec_lo, exec_lo, s21
	v_lshrrev_b16 v183, 8, v41
	v_mov_b32_e32 v28, 0
	s_mov_b32 s21, exec_lo
	s_delay_alu instid0(VALU_DEP_2)
	v_cmpx_ne_u16_e64 0, v183
	s_cbranch_execz .LBB411_324
; %bb.317:                              ;   in Loop: Header=BB411_13 Depth=1
	v_bfrev_b32_e32 v28, 1
	s_mov_b32 s22, exec_lo
	v_cmpx_ne_u16_e64 0x80, v183
	s_cbranch_execz .LBB411_323
; %bb.318:                              ;   in Loop: Header=BB411_13 Depth=1
	v_and_b32_e32 v183, 0xffff, v183
	v_mov_b32_e32 v28, 0x7f800001
	s_mov_b32 s23, exec_lo
	s_delay_alu instid0(VALU_DEP_2) | instskip(NEXT) | instid1(VALU_DEP_1)
	v_and_b32_e32 v40, 0x7f, v183
	v_cmpx_ne_u32_e32 0x7f, v40
	s_cbranch_execz .LBB411_322
; %bb.319:                              ;   in Loop: Header=BB411_13 Depth=1
	v_and_b32_e32 v28, 7, v183
	v_lshrrev_b32_e32 v183, 3, v40
	s_mov_b32 s24, exec_lo
	v_cmpx_gt_u32_e32 8, v40
; %bb.320:                              ;   in Loop: Header=BB411_13 Depth=1
	s_delay_alu instid0(VALU_DEP_3) | instskip(NEXT) | instid1(VALU_DEP_1)
	v_clz_i32_u32_e32 v183, v28
	v_min_u32_e32 v183, 32, v183
	s_delay_alu instid0(VALU_DEP_1) | instskip(SKIP_1) | instid1(VALU_DEP_2)
	v_subrev_nc_u32_e32 v40, 28, v183
	v_sub_nc_u32_e32 v183, 29, v183
	v_lshlrev_b64 v[42:43], v40, v[28:29]
	s_delay_alu instid0(VALU_DEP_1)
	v_and_b32_e32 v28, 7, v42
; %bb.321:                              ;   in Loop: Header=BB411_13 Depth=1
	s_or_b32 exec_lo, exec_lo, s24
	v_lshlrev_b32_e32 v40, 16, v41
	s_delay_alu instid0(VALU_DEP_2) | instskip(SKIP_1) | instid1(VALU_DEP_3)
	v_lshlrev_b32_e32 v28, 20, v28
	v_lshl_add_u32 v183, v183, 23, 0x3c000000
	v_and_b32_e32 v40, 0x80000000, v40
	s_delay_alu instid0(VALU_DEP_1)
	v_or3_b32 v28, v28, v40, v183
.LBB411_322:                            ;   in Loop: Header=BB411_13 Depth=1
	s_or_b32 exec_lo, exec_lo, s23
.LBB411_323:                            ;   in Loop: Header=BB411_13 Depth=1
	s_delay_alu instid0(SALU_CYCLE_1)
	s_or_b32 exec_lo, exec_lo, s22
.LBB411_324:                            ;   in Loop: Header=BB411_13 Depth=1
	s_delay_alu instid0(SALU_CYCLE_1) | instskip(NEXT) | instid1(VALU_DEP_1)
	s_or_b32 exec_lo, exec_lo, s21
	v_mul_f32_e32 v28, v133, v28
	s_delay_alu instid0(VALU_DEP_1) | instskip(NEXT) | instid1(VALU_DEP_1)
	v_and_b32_e32 v183, 0x7f800000, v28
	v_cmp_ne_u32_e64 s3, 0x7f800000, v183
                                        ; implicit-def: $vgpr183
	s_delay_alu instid0(VALU_DEP_1) | instskip(NEXT) | instid1(SALU_CYCLE_1)
	s_and_saveexec_b32 s21, s3
	s_xor_b32 s3, exec_lo, s21
; %bb.325:                              ;   in Loop: Header=BB411_13 Depth=1
	v_bfe_u32 v183, v28, 16, 1
	s_delay_alu instid0(VALU_DEP_1)
	v_add3_u32 v183, v28, v183, 0x7fff
                                        ; implicit-def: $vgpr28
; %bb.326:                              ;   in Loop: Header=BB411_13 Depth=1
	s_and_not1_saveexec_b32 s21, s3
; %bb.327:                              ;   in Loop: Header=BB411_13 Depth=1
	v_and_b32_e32 v183, 0xffff, v28
	v_or_b32_e32 v40, 0x10000, v28
	s_delay_alu instid0(VALU_DEP_2) | instskip(NEXT) | instid1(VALU_DEP_1)
	v_cmp_eq_u32_e64 s3, 0, v183
	v_cndmask_b32_e64 v183, v40, v28, s3
; %bb.328:                              ;   in Loop: Header=BB411_13 Depth=1
	s_or_b32 exec_lo, exec_lo, s21
	v_lshrrev_b32_e32 v40, 16, v41
	v_mov_b32_e32 v28, 0
	s_mov_b32 s21, exec_lo
	s_delay_alu instid0(VALU_DEP_2) | instskip(NEXT) | instid1(VALU_DEP_1)
	v_and_b32_e32 v42, 0xff, v40
	v_cmpx_ne_u16_e32 0, v42
	s_cbranch_execz .LBB411_336
; %bb.329:                              ;   in Loop: Header=BB411_13 Depth=1
	v_bfrev_b32_e32 v28, 1
	s_mov_b32 s22, exec_lo
	v_cmpx_ne_u16_e32 0x80, v42
	s_cbranch_execz .LBB411_335
; %bb.330:                              ;   in Loop: Header=BB411_13 Depth=1
	v_bfe_u32 v43, v41, 16, 7
	v_mov_b32_e32 v28, 0x7f800001
	s_mov_b32 s23, exec_lo
	s_delay_alu instid0(VALU_DEP_2)
	v_cmpx_ne_u32_e32 0x7f, v43
	s_cbranch_execz .LBB411_334
; %bb.331:                              ;   in Loop: Header=BB411_13 Depth=1
	v_and_b32_e32 v28, 7, v40
	v_lshrrev_b32_e32 v42, 3, v43
	s_mov_b32 s24, exec_lo
	v_cmpx_gt_u32_e32 8, v43
; %bb.332:                              ;   in Loop: Header=BB411_13 Depth=1
	s_delay_alu instid0(VALU_DEP_3) | instskip(NEXT) | instid1(VALU_DEP_1)
	v_clz_i32_u32_e32 v42, v28
	v_min_u32_e32 v42, 32, v42
	s_delay_alu instid0(VALU_DEP_1) | instskip(SKIP_1) | instid1(VALU_DEP_2)
	v_subrev_nc_u32_e32 v43, 28, v42
	v_sub_nc_u32_e32 v42, 29, v42
	v_lshlrev_b64 v[43:44], v43, v[28:29]
	s_delay_alu instid0(VALU_DEP_1)
	v_and_b32_e32 v28, 7, v43
; %bb.333:                              ;   in Loop: Header=BB411_13 Depth=1
	s_or_b32 exec_lo, exec_lo, s24
	v_lshlrev_b32_e32 v40, 24, v40
	s_delay_alu instid0(VALU_DEP_2) | instskip(SKIP_1) | instid1(VALU_DEP_3)
	v_lshlrev_b32_e32 v28, 20, v28
	v_lshl_add_u32 v42, v42, 23, 0x3c000000
	v_and_b32_e32 v40, 0x80000000, v40
	s_delay_alu instid0(VALU_DEP_1)
	v_or3_b32 v28, v28, v40, v42
.LBB411_334:                            ;   in Loop: Header=BB411_13 Depth=1
	s_or_b32 exec_lo, exec_lo, s23
.LBB411_335:                            ;   in Loop: Header=BB411_13 Depth=1
	s_delay_alu instid0(SALU_CYCLE_1)
	s_or_b32 exec_lo, exec_lo, s22
.LBB411_336:                            ;   in Loop: Header=BB411_13 Depth=1
	s_delay_alu instid0(SALU_CYCLE_1) | instskip(NEXT) | instid1(VALU_DEP_1)
	s_or_b32 exec_lo, exec_lo, s21
	v_mul_f32_e32 v28, v133, v28
	s_delay_alu instid0(VALU_DEP_1) | instskip(NEXT) | instid1(VALU_DEP_1)
	v_and_b32_e32 v40, 0x7f800000, v28
	v_cmp_ne_u32_e64 s3, 0x7f800000, v40
                                        ; implicit-def: $vgpr40
	s_delay_alu instid0(VALU_DEP_1) | instskip(NEXT) | instid1(SALU_CYCLE_1)
	s_and_saveexec_b32 s21, s3
	s_xor_b32 s3, exec_lo, s21
; %bb.337:                              ;   in Loop: Header=BB411_13 Depth=1
	v_bfe_u32 v40, v28, 16, 1
	s_delay_alu instid0(VALU_DEP_1)
	v_add3_u32 v40, v28, v40, 0x7fff
                                        ; implicit-def: $vgpr28
; %bb.338:                              ;   in Loop: Header=BB411_13 Depth=1
	s_and_not1_saveexec_b32 s21, s3
; %bb.339:                              ;   in Loop: Header=BB411_13 Depth=1
	v_and_b32_e32 v40, 0xffff, v28
	v_or_b32_e32 v42, 0x10000, v28
	s_delay_alu instid0(VALU_DEP_2) | instskip(NEXT) | instid1(VALU_DEP_1)
	v_cmp_eq_u32_e64 s3, 0, v40
	v_cndmask_b32_e64 v40, v42, v28, s3
; %bb.340:                              ;   in Loop: Header=BB411_13 Depth=1
	s_or_b32 exec_lo, exec_lo, s21
	v_mov_b32_e32 v28, 0
	s_mov_b32 s21, exec_lo
	v_cmpx_lt_u32_e32 0xffffff, v41
	s_cbranch_execz .LBB411_348
; %bb.341:                              ;   in Loop: Header=BB411_13 Depth=1
	v_lshrrev_b32_e32 v42, 24, v41
	v_bfrev_b32_e32 v28, 1
	s_mov_b32 s22, exec_lo
	s_delay_alu instid0(VALU_DEP_2)
	v_cmpx_ne_u32_e32 0x80, v42
	s_cbranch_execz .LBB411_347
; %bb.342:                              ;   in Loop: Header=BB411_13 Depth=1
	v_bfe_u32 v43, v41, 24, 7
	v_mov_b32_e32 v28, 0x7f800001
	s_mov_b32 s23, exec_lo
	s_delay_alu instid0(VALU_DEP_2)
	v_cmpx_ne_u32_e32 0x7f, v43
	s_cbranch_execz .LBB411_346
; %bb.343:                              ;   in Loop: Header=BB411_13 Depth=1
	v_and_b32_e32 v28, 7, v42
	v_lshrrev_b32_e32 v41, 3, v43
	s_mov_b32 s24, exec_lo
	v_cmpx_gt_u32_e32 8, v43
; %bb.344:                              ;   in Loop: Header=BB411_13 Depth=1
	s_delay_alu instid0(VALU_DEP_3) | instskip(NEXT) | instid1(VALU_DEP_1)
	v_clz_i32_u32_e32 v41, v28
	v_min_u32_e32 v41, 32, v41
	s_delay_alu instid0(VALU_DEP_1) | instskip(SKIP_1) | instid1(VALU_DEP_2)
	v_subrev_nc_u32_e32 v43, 28, v41
	v_sub_nc_u32_e32 v41, 29, v41
	v_lshlrev_b64 v[43:44], v43, v[28:29]
	s_delay_alu instid0(VALU_DEP_1)
	v_and_b32_e32 v28, 7, v43
; %bb.345:                              ;   in Loop: Header=BB411_13 Depth=1
	s_or_b32 exec_lo, exec_lo, s24
	v_lshlrev_b32_e32 v42, 24, v42
	s_delay_alu instid0(VALU_DEP_2) | instskip(SKIP_1) | instid1(VALU_DEP_3)
	v_lshlrev_b32_e32 v28, 20, v28
	v_lshl_add_u32 v41, v41, 23, 0x3c000000
	v_and_b32_e32 v42, 0x80000000, v42
	s_delay_alu instid0(VALU_DEP_1)
	v_or3_b32 v28, v28, v42, v41
.LBB411_346:                            ;   in Loop: Header=BB411_13 Depth=1
	s_or_b32 exec_lo, exec_lo, s23
.LBB411_347:                            ;   in Loop: Header=BB411_13 Depth=1
	s_delay_alu instid0(SALU_CYCLE_1)
	s_or_b32 exec_lo, exec_lo, s22
.LBB411_348:                            ;   in Loop: Header=BB411_13 Depth=1
	s_delay_alu instid0(SALU_CYCLE_1) | instskip(NEXT) | instid1(VALU_DEP_1)
	s_or_b32 exec_lo, exec_lo, s21
	v_mul_f32_e32 v28, v133, v28
	s_delay_alu instid0(VALU_DEP_1) | instskip(NEXT) | instid1(VALU_DEP_1)
	v_and_b32_e32 v41, 0x7f800000, v28
	v_cmp_ne_u32_e64 s3, 0x7f800000, v41
                                        ; implicit-def: $vgpr41
	s_delay_alu instid0(VALU_DEP_1) | instskip(NEXT) | instid1(SALU_CYCLE_1)
	s_and_saveexec_b32 s21, s3
	s_xor_b32 s3, exec_lo, s21
; %bb.349:                              ;   in Loop: Header=BB411_13 Depth=1
	v_bfe_u32 v41, v28, 16, 1
	s_delay_alu instid0(VALU_DEP_1)
	v_add3_u32 v41, v28, v41, 0x7fff
                                        ; implicit-def: $vgpr28
; %bb.350:                              ;   in Loop: Header=BB411_13 Depth=1
	s_and_not1_saveexec_b32 s21, s3
; %bb.351:                              ;   in Loop: Header=BB411_13 Depth=1
	v_and_b32_e32 v41, 0xffff, v28
	v_or_b32_e32 v42, 0x10000, v28
	s_delay_alu instid0(VALU_DEP_2) | instskip(NEXT) | instid1(VALU_DEP_1)
	v_cmp_eq_u32_e64 s3, 0, v41
	v_cndmask_b32_e64 v41, v42, v28, s3
; %bb.352:                              ;   in Loop: Header=BB411_13 Depth=1
	s_or_b32 exec_lo, exec_lo, s21
	flat_load_b32 v45, v[80:81] offset:776
	v_mov_b32_e32 v28, 0
	s_mov_b32 s21, exec_lo
	s_waitcnt vmcnt(0) lgkmcnt(0)
	v_and_b32_e32 v42, 0xff, v45
	s_delay_alu instid0(VALU_DEP_1)
	v_cmpx_ne_u16_e32 0, v42
	s_cbranch_execz .LBB411_360
; %bb.353:                              ;   in Loop: Header=BB411_13 Depth=1
	v_bfrev_b32_e32 v28, 1
	s_mov_b32 s22, exec_lo
	v_cmpx_ne_u16_e32 0x80, v42
	s_cbranch_execz .LBB411_359
; %bb.354:                              ;   in Loop: Header=BB411_13 Depth=1
	v_and_b32_e32 v43, 0x7f, v45
	v_mov_b32_e32 v28, 0x7f800001
	s_mov_b32 s23, exec_lo
	s_delay_alu instid0(VALU_DEP_2)
	v_cmpx_ne_u32_e32 0x7f, v43
	s_cbranch_execz .LBB411_358
; %bb.355:                              ;   in Loop: Header=BB411_13 Depth=1
	v_and_b32_e32 v28, 7, v45
	v_lshrrev_b32_e32 v42, 3, v43
	s_mov_b32 s24, exec_lo
	v_cmpx_gt_u32_e32 8, v43
; %bb.356:                              ;   in Loop: Header=BB411_13 Depth=1
	s_delay_alu instid0(VALU_DEP_3) | instskip(NEXT) | instid1(VALU_DEP_1)
	v_clz_i32_u32_e32 v42, v28
	v_min_u32_e32 v42, 32, v42
	s_delay_alu instid0(VALU_DEP_1) | instskip(SKIP_1) | instid1(VALU_DEP_2)
	v_subrev_nc_u32_e32 v43, 28, v42
	v_sub_nc_u32_e32 v42, 29, v42
	v_lshlrev_b64 v[43:44], v43, v[28:29]
	s_delay_alu instid0(VALU_DEP_1)
	v_and_b32_e32 v28, 7, v43
; %bb.357:                              ;   in Loop: Header=BB411_13 Depth=1
	s_or_b32 exec_lo, exec_lo, s24
	v_lshlrev_b32_e32 v43, 24, v45
	s_delay_alu instid0(VALU_DEP_2) | instskip(SKIP_1) | instid1(VALU_DEP_3)
	v_lshlrev_b32_e32 v28, 20, v28
	v_lshl_add_u32 v42, v42, 23, 0x3c000000
	v_and_b32_e32 v43, 0x80000000, v43
	s_delay_alu instid0(VALU_DEP_1)
	v_or3_b32 v28, v28, v43, v42
.LBB411_358:                            ;   in Loop: Header=BB411_13 Depth=1
	s_or_b32 exec_lo, exec_lo, s23
.LBB411_359:                            ;   in Loop: Header=BB411_13 Depth=1
	s_delay_alu instid0(SALU_CYCLE_1)
	s_or_b32 exec_lo, exec_lo, s22
.LBB411_360:                            ;   in Loop: Header=BB411_13 Depth=1
	s_delay_alu instid0(SALU_CYCLE_1) | instskip(NEXT) | instid1(VALU_DEP_1)
	s_or_b32 exec_lo, exec_lo, s21
	v_mul_f32_e32 v28, v133, v28
	s_delay_alu instid0(VALU_DEP_1) | instskip(NEXT) | instid1(VALU_DEP_1)
	v_and_b32_e32 v42, 0x7f800000, v28
	v_cmp_ne_u32_e64 s3, 0x7f800000, v42
                                        ; implicit-def: $vgpr42
	s_delay_alu instid0(VALU_DEP_1) | instskip(NEXT) | instid1(SALU_CYCLE_1)
	s_and_saveexec_b32 s21, s3
	s_xor_b32 s3, exec_lo, s21
; %bb.361:                              ;   in Loop: Header=BB411_13 Depth=1
	v_bfe_u32 v42, v28, 16, 1
	s_delay_alu instid0(VALU_DEP_1)
	v_add3_u32 v42, v28, v42, 0x7fff
                                        ; implicit-def: $vgpr28
; %bb.362:                              ;   in Loop: Header=BB411_13 Depth=1
	s_and_not1_saveexec_b32 s21, s3
; %bb.363:                              ;   in Loop: Header=BB411_13 Depth=1
	v_and_b32_e32 v42, 0xffff, v28
	v_or_b32_e32 v43, 0x10000, v28
	s_delay_alu instid0(VALU_DEP_2) | instskip(NEXT) | instid1(VALU_DEP_1)
	v_cmp_eq_u32_e64 s3, 0, v42
	v_cndmask_b32_e64 v42, v43, v28, s3
; %bb.364:                              ;   in Loop: Header=BB411_13 Depth=1
	s_or_b32 exec_lo, exec_lo, s21
	v_lshrrev_b16 v43, 8, v45
	v_mov_b32_e32 v28, 0
	s_mov_b32 s21, exec_lo
	s_delay_alu instid0(VALU_DEP_2)
	v_cmpx_ne_u16_e32 0, v43
	s_cbranch_execz .LBB411_372
; %bb.365:                              ;   in Loop: Header=BB411_13 Depth=1
	v_bfrev_b32_e32 v28, 1
	s_mov_b32 s22, exec_lo
	v_cmpx_ne_u16_e32 0x80, v43
	s_cbranch_execz .LBB411_371
; %bb.366:                              ;   in Loop: Header=BB411_13 Depth=1
	v_and_b32_e32 v43, 0xffff, v43
	v_mov_b32_e32 v28, 0x7f800001
	s_mov_b32 s23, exec_lo
	s_delay_alu instid0(VALU_DEP_2) | instskip(NEXT) | instid1(VALU_DEP_1)
	v_and_b32_e32 v44, 0x7f, v43
	v_cmpx_ne_u32_e32 0x7f, v44
	s_cbranch_execz .LBB411_370
; %bb.367:                              ;   in Loop: Header=BB411_13 Depth=1
	v_and_b32_e32 v28, 7, v43
	v_lshrrev_b32_e32 v43, 3, v44
	s_mov_b32 s24, exec_lo
	v_cmpx_gt_u32_e32 8, v44
; %bb.368:                              ;   in Loop: Header=BB411_13 Depth=1
	s_delay_alu instid0(VALU_DEP_3) | instskip(NEXT) | instid1(VALU_DEP_1)
	v_clz_i32_u32_e32 v43, v28
	v_min_u32_e32 v43, 32, v43
	s_delay_alu instid0(VALU_DEP_1) | instskip(SKIP_1) | instid1(VALU_DEP_2)
	v_subrev_nc_u32_e32 v44, 28, v43
	v_sub_nc_u32_e32 v43, 29, v43
	v_lshlrev_b64 v[46:47], v44, v[28:29]
	s_delay_alu instid0(VALU_DEP_1)
	v_and_b32_e32 v28, 7, v46
; %bb.369:                              ;   in Loop: Header=BB411_13 Depth=1
	s_or_b32 exec_lo, exec_lo, s24
	v_lshlrev_b32_e32 v44, 16, v45
	s_delay_alu instid0(VALU_DEP_2) | instskip(SKIP_1) | instid1(VALU_DEP_3)
	v_lshlrev_b32_e32 v28, 20, v28
	v_lshl_add_u32 v43, v43, 23, 0x3c000000
	v_and_b32_e32 v44, 0x80000000, v44
	s_delay_alu instid0(VALU_DEP_1)
	v_or3_b32 v28, v28, v44, v43
.LBB411_370:                            ;   in Loop: Header=BB411_13 Depth=1
	s_or_b32 exec_lo, exec_lo, s23
.LBB411_371:                            ;   in Loop: Header=BB411_13 Depth=1
	s_delay_alu instid0(SALU_CYCLE_1)
	s_or_b32 exec_lo, exec_lo, s22
.LBB411_372:                            ;   in Loop: Header=BB411_13 Depth=1
	s_delay_alu instid0(SALU_CYCLE_1) | instskip(NEXT) | instid1(VALU_DEP_1)
	s_or_b32 exec_lo, exec_lo, s21
	v_mul_f32_e32 v28, v133, v28
	s_delay_alu instid0(VALU_DEP_1) | instskip(NEXT) | instid1(VALU_DEP_1)
	v_and_b32_e32 v43, 0x7f800000, v28
	v_cmp_ne_u32_e64 s3, 0x7f800000, v43
                                        ; implicit-def: $vgpr43
	s_delay_alu instid0(VALU_DEP_1) | instskip(NEXT) | instid1(SALU_CYCLE_1)
	s_and_saveexec_b32 s21, s3
	s_xor_b32 s3, exec_lo, s21
; %bb.373:                              ;   in Loop: Header=BB411_13 Depth=1
	v_bfe_u32 v43, v28, 16, 1
	s_delay_alu instid0(VALU_DEP_1)
	v_add3_u32 v43, v28, v43, 0x7fff
                                        ; implicit-def: $vgpr28
; %bb.374:                              ;   in Loop: Header=BB411_13 Depth=1
	s_and_not1_saveexec_b32 s21, s3
; %bb.375:                              ;   in Loop: Header=BB411_13 Depth=1
	v_and_b32_e32 v43, 0xffff, v28
	v_or_b32_e32 v44, 0x10000, v28
	s_delay_alu instid0(VALU_DEP_2) | instskip(NEXT) | instid1(VALU_DEP_1)
	v_cmp_eq_u32_e64 s3, 0, v43
	v_cndmask_b32_e64 v43, v44, v28, s3
; %bb.376:                              ;   in Loop: Header=BB411_13 Depth=1
	s_or_b32 exec_lo, exec_lo, s21
	v_lshrrev_b32_e32 v44, 16, v45
	v_mov_b32_e32 v28, 0
	s_mov_b32 s21, exec_lo
	s_delay_alu instid0(VALU_DEP_2) | instskip(NEXT) | instid1(VALU_DEP_1)
	v_and_b32_e32 v46, 0xff, v44
	v_cmpx_ne_u16_e32 0, v46
	s_cbranch_execz .LBB411_384
; %bb.377:                              ;   in Loop: Header=BB411_13 Depth=1
	v_bfrev_b32_e32 v28, 1
	s_mov_b32 s22, exec_lo
	v_cmpx_ne_u16_e32 0x80, v46
	s_cbranch_execz .LBB411_383
; %bb.378:                              ;   in Loop: Header=BB411_13 Depth=1
	v_bfe_u32 v47, v45, 16, 7
	v_mov_b32_e32 v28, 0x7f800001
	s_mov_b32 s23, exec_lo
	s_delay_alu instid0(VALU_DEP_2)
	v_cmpx_ne_u32_e32 0x7f, v47
	s_cbranch_execz .LBB411_382
; %bb.379:                              ;   in Loop: Header=BB411_13 Depth=1
	v_and_b32_e32 v28, 7, v44
	v_lshrrev_b32_e32 v46, 3, v47
	s_mov_b32 s24, exec_lo
	v_cmpx_gt_u32_e32 8, v47
; %bb.380:                              ;   in Loop: Header=BB411_13 Depth=1
	s_delay_alu instid0(VALU_DEP_3) | instskip(NEXT) | instid1(VALU_DEP_1)
	v_clz_i32_u32_e32 v46, v28
	v_min_u32_e32 v46, 32, v46
	s_delay_alu instid0(VALU_DEP_1) | instskip(SKIP_1) | instid1(VALU_DEP_2)
	v_subrev_nc_u32_e32 v47, 28, v46
	v_sub_nc_u32_e32 v46, 29, v46
	v_lshlrev_b64 v[56:57], v47, v[28:29]
	s_delay_alu instid0(VALU_DEP_1)
	v_and_b32_e32 v28, 7, v56
; %bb.381:                              ;   in Loop: Header=BB411_13 Depth=1
	s_or_b32 exec_lo, exec_lo, s24
	v_lshlrev_b32_e32 v44, 24, v44
	s_delay_alu instid0(VALU_DEP_2) | instskip(SKIP_1) | instid1(VALU_DEP_3)
	v_lshlrev_b32_e32 v28, 20, v28
	v_lshl_add_u32 v46, v46, 23, 0x3c000000
	v_and_b32_e32 v44, 0x80000000, v44
	s_delay_alu instid0(VALU_DEP_1)
	v_or3_b32 v28, v28, v44, v46
.LBB411_382:                            ;   in Loop: Header=BB411_13 Depth=1
	s_or_b32 exec_lo, exec_lo, s23
.LBB411_383:                            ;   in Loop: Header=BB411_13 Depth=1
	s_delay_alu instid0(SALU_CYCLE_1)
	s_or_b32 exec_lo, exec_lo, s22
.LBB411_384:                            ;   in Loop: Header=BB411_13 Depth=1
	s_delay_alu instid0(SALU_CYCLE_1) | instskip(NEXT) | instid1(VALU_DEP_1)
	s_or_b32 exec_lo, exec_lo, s21
	v_mul_f32_e32 v28, v133, v28
	s_delay_alu instid0(VALU_DEP_1) | instskip(NEXT) | instid1(VALU_DEP_1)
	v_and_b32_e32 v44, 0x7f800000, v28
	v_cmp_ne_u32_e64 s3, 0x7f800000, v44
                                        ; implicit-def: $vgpr44
	s_delay_alu instid0(VALU_DEP_1) | instskip(NEXT) | instid1(SALU_CYCLE_1)
	s_and_saveexec_b32 s21, s3
	s_xor_b32 s3, exec_lo, s21
; %bb.385:                              ;   in Loop: Header=BB411_13 Depth=1
	v_bfe_u32 v44, v28, 16, 1
	s_delay_alu instid0(VALU_DEP_1)
	v_add3_u32 v44, v28, v44, 0x7fff
                                        ; implicit-def: $vgpr28
; %bb.386:                              ;   in Loop: Header=BB411_13 Depth=1
	s_and_not1_saveexec_b32 s21, s3
; %bb.387:                              ;   in Loop: Header=BB411_13 Depth=1
	v_and_b32_e32 v44, 0xffff, v28
	v_or_b32_e32 v46, 0x10000, v28
	s_delay_alu instid0(VALU_DEP_2) | instskip(NEXT) | instid1(VALU_DEP_1)
	v_cmp_eq_u32_e64 s3, 0, v44
	v_cndmask_b32_e64 v44, v46, v28, s3
; %bb.388:                              ;   in Loop: Header=BB411_13 Depth=1
	s_or_b32 exec_lo, exec_lo, s21
	v_mov_b32_e32 v28, 0
	s_mov_b32 s21, exec_lo
	v_cmpx_lt_u32_e32 0xffffff, v45
	s_cbranch_execz .LBB411_396
; %bb.389:                              ;   in Loop: Header=BB411_13 Depth=1
	v_lshrrev_b32_e32 v46, 24, v45
	v_bfrev_b32_e32 v28, 1
	s_mov_b32 s22, exec_lo
	s_delay_alu instid0(VALU_DEP_2)
	v_cmpx_ne_u32_e32 0x80, v46
	s_cbranch_execz .LBB411_395
; %bb.390:                              ;   in Loop: Header=BB411_13 Depth=1
	v_bfe_u32 v47, v45, 24, 7
	v_mov_b32_e32 v28, 0x7f800001
	s_mov_b32 s23, exec_lo
	s_delay_alu instid0(VALU_DEP_2)
	v_cmpx_ne_u32_e32 0x7f, v47
	s_cbranch_execz .LBB411_394
; %bb.391:                              ;   in Loop: Header=BB411_13 Depth=1
	v_and_b32_e32 v28, 7, v46
	v_lshrrev_b32_e32 v45, 3, v47
	s_mov_b32 s24, exec_lo
	v_cmpx_gt_u32_e32 8, v47
; %bb.392:                              ;   in Loop: Header=BB411_13 Depth=1
	s_delay_alu instid0(VALU_DEP_3) | instskip(NEXT) | instid1(VALU_DEP_1)
	v_clz_i32_u32_e32 v45, v28
	v_min_u32_e32 v45, 32, v45
	s_delay_alu instid0(VALU_DEP_1) | instskip(SKIP_1) | instid1(VALU_DEP_2)
	v_subrev_nc_u32_e32 v47, 28, v45
	v_sub_nc_u32_e32 v45, 29, v45
	v_lshlrev_b64 v[56:57], v47, v[28:29]
	s_delay_alu instid0(VALU_DEP_1)
	v_and_b32_e32 v28, 7, v56
; %bb.393:                              ;   in Loop: Header=BB411_13 Depth=1
	s_or_b32 exec_lo, exec_lo, s24
	v_lshlrev_b32_e32 v46, 24, v46
	s_delay_alu instid0(VALU_DEP_2) | instskip(SKIP_1) | instid1(VALU_DEP_3)
	v_lshlrev_b32_e32 v28, 20, v28
	v_lshl_add_u32 v45, v45, 23, 0x3c000000
	v_and_b32_e32 v46, 0x80000000, v46
	s_delay_alu instid0(VALU_DEP_1)
	v_or3_b32 v28, v28, v46, v45
.LBB411_394:                            ;   in Loop: Header=BB411_13 Depth=1
	s_or_b32 exec_lo, exec_lo, s23
.LBB411_395:                            ;   in Loop: Header=BB411_13 Depth=1
	s_delay_alu instid0(SALU_CYCLE_1)
	s_or_b32 exec_lo, exec_lo, s22
.LBB411_396:                            ;   in Loop: Header=BB411_13 Depth=1
	s_delay_alu instid0(SALU_CYCLE_1) | instskip(NEXT) | instid1(VALU_DEP_1)
	s_or_b32 exec_lo, exec_lo, s21
	v_mul_f32_e32 v28, v133, v28
	s_delay_alu instid0(VALU_DEP_1) | instskip(NEXT) | instid1(VALU_DEP_1)
	v_and_b32_e32 v45, 0x7f800000, v28
	v_cmp_ne_u32_e64 s3, 0x7f800000, v45
                                        ; implicit-def: $vgpr45
	s_delay_alu instid0(VALU_DEP_1) | instskip(NEXT) | instid1(SALU_CYCLE_1)
	s_and_saveexec_b32 s21, s3
	s_xor_b32 s3, exec_lo, s21
; %bb.397:                              ;   in Loop: Header=BB411_13 Depth=1
	v_bfe_u32 v45, v28, 16, 1
	s_delay_alu instid0(VALU_DEP_1)
	v_add3_u32 v45, v28, v45, 0x7fff
                                        ; implicit-def: $vgpr28
; %bb.398:                              ;   in Loop: Header=BB411_13 Depth=1
	s_and_not1_saveexec_b32 s21, s3
; %bb.399:                              ;   in Loop: Header=BB411_13 Depth=1
	v_and_b32_e32 v45, 0xffff, v28
	v_or_b32_e32 v46, 0x10000, v28
	s_delay_alu instid0(VALU_DEP_2) | instskip(NEXT) | instid1(VALU_DEP_1)
	v_cmp_eq_u32_e64 s3, 0, v45
	v_cndmask_b32_e64 v45, v46, v28, s3
; %bb.400:                              ;   in Loop: Header=BB411_13 Depth=1
	s_or_b32 exec_lo, exec_lo, s21
	flat_load_b32 v57, v[80:81] offset:1024
	v_mov_b32_e32 v28, 0
	s_mov_b32 s21, exec_lo
	s_waitcnt vmcnt(0) lgkmcnt(0)
	v_and_b32_e32 v46, 0xff, v57
	s_delay_alu instid0(VALU_DEP_1)
	v_cmpx_ne_u16_e32 0, v46
	s_cbranch_execz .LBB411_408
; %bb.401:                              ;   in Loop: Header=BB411_13 Depth=1
	v_bfrev_b32_e32 v28, 1
	s_mov_b32 s22, exec_lo
	v_cmpx_ne_u16_e32 0x80, v46
	s_cbranch_execz .LBB411_407
; %bb.402:                              ;   in Loop: Header=BB411_13 Depth=1
	v_and_b32_e32 v47, 0x7f, v57
	v_mov_b32_e32 v28, 0x7f800001
	s_mov_b32 s23, exec_lo
	s_delay_alu instid0(VALU_DEP_2)
	v_cmpx_ne_u32_e32 0x7f, v47
	s_cbranch_execz .LBB411_406
; %bb.403:                              ;   in Loop: Header=BB411_13 Depth=1
	v_and_b32_e32 v28, 7, v57
	v_lshrrev_b32_e32 v46, 3, v47
	s_mov_b32 s24, exec_lo
	v_cmpx_gt_u32_e32 8, v47
; %bb.404:                              ;   in Loop: Header=BB411_13 Depth=1
	s_delay_alu instid0(VALU_DEP_3) | instskip(NEXT) | instid1(VALU_DEP_1)
	v_clz_i32_u32_e32 v46, v28
	v_min_u32_e32 v46, 32, v46
	s_delay_alu instid0(VALU_DEP_1) | instskip(SKIP_1) | instid1(VALU_DEP_2)
	v_subrev_nc_u32_e32 v47, 28, v46
	v_sub_nc_u32_e32 v46, 29, v46
	v_lshlrev_b64 v[58:59], v47, v[28:29]
	s_delay_alu instid0(VALU_DEP_1)
	v_and_b32_e32 v28, 7, v58
; %bb.405:                              ;   in Loop: Header=BB411_13 Depth=1
	s_or_b32 exec_lo, exec_lo, s24
	v_lshlrev_b32_e32 v47, 24, v57
	s_delay_alu instid0(VALU_DEP_2) | instskip(SKIP_1) | instid1(VALU_DEP_3)
	v_lshlrev_b32_e32 v28, 20, v28
	v_lshl_add_u32 v46, v46, 23, 0x3c000000
	v_and_b32_e32 v47, 0x80000000, v47
	s_delay_alu instid0(VALU_DEP_1)
	v_or3_b32 v28, v28, v47, v46
.LBB411_406:                            ;   in Loop: Header=BB411_13 Depth=1
	s_or_b32 exec_lo, exec_lo, s23
.LBB411_407:                            ;   in Loop: Header=BB411_13 Depth=1
	s_delay_alu instid0(SALU_CYCLE_1)
	s_or_b32 exec_lo, exec_lo, s22
.LBB411_408:                            ;   in Loop: Header=BB411_13 Depth=1
	s_delay_alu instid0(SALU_CYCLE_1) | instskip(NEXT) | instid1(VALU_DEP_1)
	s_or_b32 exec_lo, exec_lo, s21
	v_mul_f32_e32 v28, v133, v28
	s_delay_alu instid0(VALU_DEP_1) | instskip(NEXT) | instid1(VALU_DEP_1)
	v_and_b32_e32 v46, 0x7f800000, v28
	v_cmp_ne_u32_e64 s3, 0x7f800000, v46
                                        ; implicit-def: $vgpr46
	s_delay_alu instid0(VALU_DEP_1) | instskip(NEXT) | instid1(SALU_CYCLE_1)
	s_and_saveexec_b32 s21, s3
	s_xor_b32 s3, exec_lo, s21
; %bb.409:                              ;   in Loop: Header=BB411_13 Depth=1
	v_bfe_u32 v46, v28, 16, 1
	s_delay_alu instid0(VALU_DEP_1)
	v_add3_u32 v46, v28, v46, 0x7fff
                                        ; implicit-def: $vgpr28
; %bb.410:                              ;   in Loop: Header=BB411_13 Depth=1
	s_and_not1_saveexec_b32 s21, s3
; %bb.411:                              ;   in Loop: Header=BB411_13 Depth=1
	v_and_b32_e32 v46, 0xffff, v28
	v_or_b32_e32 v47, 0x10000, v28
	s_delay_alu instid0(VALU_DEP_2) | instskip(NEXT) | instid1(VALU_DEP_1)
	v_cmp_eq_u32_e64 s3, 0, v46
	v_cndmask_b32_e64 v46, v47, v28, s3
; %bb.412:                              ;   in Loop: Header=BB411_13 Depth=1
	s_or_b32 exec_lo, exec_lo, s21
	v_lshrrev_b16 v47, 8, v57
	v_mov_b32_e32 v28, 0
	s_mov_b32 s21, exec_lo
	s_delay_alu instid0(VALU_DEP_2)
	v_cmpx_ne_u16_e32 0, v47
	s_cbranch_execz .LBB411_420
; %bb.413:                              ;   in Loop: Header=BB411_13 Depth=1
	v_bfrev_b32_e32 v28, 1
	s_mov_b32 s22, exec_lo
	v_cmpx_ne_u16_e32 0x80, v47
	s_cbranch_execz .LBB411_419
; %bb.414:                              ;   in Loop: Header=BB411_13 Depth=1
	v_and_b32_e32 v47, 0xffff, v47
	v_mov_b32_e32 v28, 0x7f800001
	s_mov_b32 s23, exec_lo
	s_delay_alu instid0(VALU_DEP_2) | instskip(NEXT) | instid1(VALU_DEP_1)
	v_and_b32_e32 v56, 0x7f, v47
	v_cmpx_ne_u32_e32 0x7f, v56
	s_cbranch_execz .LBB411_418
; %bb.415:                              ;   in Loop: Header=BB411_13 Depth=1
	v_and_b32_e32 v28, 7, v47
	v_lshrrev_b32_e32 v47, 3, v56
	s_mov_b32 s24, exec_lo
	v_cmpx_gt_u32_e32 8, v56
; %bb.416:                              ;   in Loop: Header=BB411_13 Depth=1
	s_delay_alu instid0(VALU_DEP_3) | instskip(NEXT) | instid1(VALU_DEP_1)
	v_clz_i32_u32_e32 v47, v28
	v_min_u32_e32 v47, 32, v47
	s_delay_alu instid0(VALU_DEP_1) | instskip(SKIP_1) | instid1(VALU_DEP_2)
	v_subrev_nc_u32_e32 v56, 28, v47
	v_sub_nc_u32_e32 v47, 29, v47
	v_lshlrev_b64 v[58:59], v56, v[28:29]
	s_delay_alu instid0(VALU_DEP_1)
	v_and_b32_e32 v28, 7, v58
; %bb.417:                              ;   in Loop: Header=BB411_13 Depth=1
	s_or_b32 exec_lo, exec_lo, s24
	v_lshlrev_b32_e32 v56, 16, v57
	s_delay_alu instid0(VALU_DEP_2) | instskip(SKIP_1) | instid1(VALU_DEP_3)
	v_lshlrev_b32_e32 v28, 20, v28
	v_lshl_add_u32 v47, v47, 23, 0x3c000000
	v_and_b32_e32 v56, 0x80000000, v56
	s_delay_alu instid0(VALU_DEP_1)
	v_or3_b32 v28, v28, v56, v47
.LBB411_418:                            ;   in Loop: Header=BB411_13 Depth=1
	s_or_b32 exec_lo, exec_lo, s23
.LBB411_419:                            ;   in Loop: Header=BB411_13 Depth=1
	s_delay_alu instid0(SALU_CYCLE_1)
	s_or_b32 exec_lo, exec_lo, s22
.LBB411_420:                            ;   in Loop: Header=BB411_13 Depth=1
	s_delay_alu instid0(SALU_CYCLE_1) | instskip(NEXT) | instid1(VALU_DEP_1)
	s_or_b32 exec_lo, exec_lo, s21
	v_mul_f32_e32 v28, v133, v28
	s_delay_alu instid0(VALU_DEP_1) | instskip(NEXT) | instid1(VALU_DEP_1)
	v_and_b32_e32 v47, 0x7f800000, v28
	v_cmp_ne_u32_e64 s3, 0x7f800000, v47
                                        ; implicit-def: $vgpr47
	s_delay_alu instid0(VALU_DEP_1) | instskip(NEXT) | instid1(SALU_CYCLE_1)
	s_and_saveexec_b32 s21, s3
	s_xor_b32 s3, exec_lo, s21
; %bb.421:                              ;   in Loop: Header=BB411_13 Depth=1
	v_bfe_u32 v47, v28, 16, 1
	s_delay_alu instid0(VALU_DEP_1)
	v_add3_u32 v47, v28, v47, 0x7fff
                                        ; implicit-def: $vgpr28
; %bb.422:                              ;   in Loop: Header=BB411_13 Depth=1
	s_and_not1_saveexec_b32 s21, s3
; %bb.423:                              ;   in Loop: Header=BB411_13 Depth=1
	v_and_b32_e32 v47, 0xffff, v28
	v_or_b32_e32 v56, 0x10000, v28
	s_delay_alu instid0(VALU_DEP_2) | instskip(NEXT) | instid1(VALU_DEP_1)
	v_cmp_eq_u32_e64 s3, 0, v47
	v_cndmask_b32_e64 v47, v56, v28, s3
; %bb.424:                              ;   in Loop: Header=BB411_13 Depth=1
	s_or_b32 exec_lo, exec_lo, s21
	v_lshrrev_b32_e32 v56, 16, v57
	v_mov_b32_e32 v28, 0
	s_mov_b32 s21, exec_lo
	s_delay_alu instid0(VALU_DEP_2) | instskip(NEXT) | instid1(VALU_DEP_1)
	v_and_b32_e32 v58, 0xff, v56
	v_cmpx_ne_u16_e32 0, v58
	s_cbranch_execz .LBB411_432
; %bb.425:                              ;   in Loop: Header=BB411_13 Depth=1
	v_bfrev_b32_e32 v28, 1
	s_mov_b32 s22, exec_lo
	v_cmpx_ne_u16_e32 0x80, v58
	s_cbranch_execz .LBB411_431
; %bb.426:                              ;   in Loop: Header=BB411_13 Depth=1
	v_bfe_u32 v59, v57, 16, 7
	v_mov_b32_e32 v28, 0x7f800001
	s_mov_b32 s23, exec_lo
	s_delay_alu instid0(VALU_DEP_2)
	v_cmpx_ne_u32_e32 0x7f, v59
	s_cbranch_execz .LBB411_430
; %bb.427:                              ;   in Loop: Header=BB411_13 Depth=1
	v_and_b32_e32 v28, 7, v56
	v_lshrrev_b32_e32 v58, 3, v59
	s_mov_b32 s24, exec_lo
	v_cmpx_gt_u32_e32 8, v59
; %bb.428:                              ;   in Loop: Header=BB411_13 Depth=1
	s_delay_alu instid0(VALU_DEP_3) | instskip(NEXT) | instid1(VALU_DEP_1)
	v_clz_i32_u32_e32 v58, v28
	v_min_u32_e32 v58, 32, v58
	s_delay_alu instid0(VALU_DEP_1) | instskip(SKIP_1) | instid1(VALU_DEP_2)
	v_subrev_nc_u32_e32 v59, 28, v58
	v_sub_nc_u32_e32 v58, 29, v58
	v_lshlrev_b64 v[59:60], v59, v[28:29]
	s_delay_alu instid0(VALU_DEP_1)
	v_and_b32_e32 v28, 7, v59
; %bb.429:                              ;   in Loop: Header=BB411_13 Depth=1
	s_or_b32 exec_lo, exec_lo, s24
	v_lshlrev_b32_e32 v56, 24, v56
	s_delay_alu instid0(VALU_DEP_2) | instskip(SKIP_1) | instid1(VALU_DEP_3)
	v_lshlrev_b32_e32 v28, 20, v28
	v_lshl_add_u32 v58, v58, 23, 0x3c000000
	v_and_b32_e32 v56, 0x80000000, v56
	s_delay_alu instid0(VALU_DEP_1)
	v_or3_b32 v28, v28, v56, v58
.LBB411_430:                            ;   in Loop: Header=BB411_13 Depth=1
	s_or_b32 exec_lo, exec_lo, s23
.LBB411_431:                            ;   in Loop: Header=BB411_13 Depth=1
	s_delay_alu instid0(SALU_CYCLE_1)
	s_or_b32 exec_lo, exec_lo, s22
.LBB411_432:                            ;   in Loop: Header=BB411_13 Depth=1
	s_delay_alu instid0(SALU_CYCLE_1) | instskip(NEXT) | instid1(VALU_DEP_1)
	s_or_b32 exec_lo, exec_lo, s21
	v_mul_f32_e32 v28, v133, v28
	s_delay_alu instid0(VALU_DEP_1) | instskip(NEXT) | instid1(VALU_DEP_1)
	v_and_b32_e32 v56, 0x7f800000, v28
	v_cmp_ne_u32_e64 s3, 0x7f800000, v56
                                        ; implicit-def: $vgpr56
	s_delay_alu instid0(VALU_DEP_1) | instskip(NEXT) | instid1(SALU_CYCLE_1)
	s_and_saveexec_b32 s21, s3
	s_xor_b32 s3, exec_lo, s21
; %bb.433:                              ;   in Loop: Header=BB411_13 Depth=1
	v_bfe_u32 v56, v28, 16, 1
	s_delay_alu instid0(VALU_DEP_1)
	v_add3_u32 v56, v28, v56, 0x7fff
                                        ; implicit-def: $vgpr28
; %bb.434:                              ;   in Loop: Header=BB411_13 Depth=1
	s_and_not1_saveexec_b32 s21, s3
; %bb.435:                              ;   in Loop: Header=BB411_13 Depth=1
	v_and_b32_e32 v56, 0xffff, v28
	v_or_b32_e32 v58, 0x10000, v28
	s_delay_alu instid0(VALU_DEP_2) | instskip(NEXT) | instid1(VALU_DEP_1)
	v_cmp_eq_u32_e64 s3, 0, v56
	v_cndmask_b32_e64 v56, v58, v28, s3
; %bb.436:                              ;   in Loop: Header=BB411_13 Depth=1
	s_or_b32 exec_lo, exec_lo, s21
	v_mov_b32_e32 v28, 0
	s_mov_b32 s21, exec_lo
	v_cmpx_lt_u32_e32 0xffffff, v57
	s_cbranch_execz .LBB411_444
; %bb.437:                              ;   in Loop: Header=BB411_13 Depth=1
	v_lshrrev_b32_e32 v58, 24, v57
	v_bfrev_b32_e32 v28, 1
	s_mov_b32 s22, exec_lo
	s_delay_alu instid0(VALU_DEP_2)
	v_cmpx_ne_u32_e32 0x80, v58
	s_cbranch_execz .LBB411_443
; %bb.438:                              ;   in Loop: Header=BB411_13 Depth=1
	v_bfe_u32 v59, v57, 24, 7
	v_mov_b32_e32 v28, 0x7f800001
	s_mov_b32 s23, exec_lo
	s_delay_alu instid0(VALU_DEP_2)
	v_cmpx_ne_u32_e32 0x7f, v59
	s_cbranch_execz .LBB411_442
; %bb.439:                              ;   in Loop: Header=BB411_13 Depth=1
	v_and_b32_e32 v28, 7, v58
	v_lshrrev_b32_e32 v57, 3, v59
	s_mov_b32 s24, exec_lo
	v_cmpx_gt_u32_e32 8, v59
; %bb.440:                              ;   in Loop: Header=BB411_13 Depth=1
	s_delay_alu instid0(VALU_DEP_3) | instskip(NEXT) | instid1(VALU_DEP_1)
	v_clz_i32_u32_e32 v57, v28
	v_min_u32_e32 v57, 32, v57
	s_delay_alu instid0(VALU_DEP_1) | instskip(SKIP_1) | instid1(VALU_DEP_2)
	v_subrev_nc_u32_e32 v59, 28, v57
	v_sub_nc_u32_e32 v57, 29, v57
	v_lshlrev_b64 v[59:60], v59, v[28:29]
	s_delay_alu instid0(VALU_DEP_1)
	v_and_b32_e32 v28, 7, v59
; %bb.441:                              ;   in Loop: Header=BB411_13 Depth=1
	s_or_b32 exec_lo, exec_lo, s24
	v_lshlrev_b32_e32 v58, 24, v58
	s_delay_alu instid0(VALU_DEP_2) | instskip(SKIP_1) | instid1(VALU_DEP_3)
	v_lshlrev_b32_e32 v28, 20, v28
	v_lshl_add_u32 v57, v57, 23, 0x3c000000
	v_and_b32_e32 v58, 0x80000000, v58
	s_delay_alu instid0(VALU_DEP_1)
	v_or3_b32 v28, v28, v58, v57
.LBB411_442:                            ;   in Loop: Header=BB411_13 Depth=1
	s_or_b32 exec_lo, exec_lo, s23
.LBB411_443:                            ;   in Loop: Header=BB411_13 Depth=1
	s_delay_alu instid0(SALU_CYCLE_1)
	s_or_b32 exec_lo, exec_lo, s22
.LBB411_444:                            ;   in Loop: Header=BB411_13 Depth=1
	s_delay_alu instid0(SALU_CYCLE_1) | instskip(NEXT) | instid1(VALU_DEP_1)
	s_or_b32 exec_lo, exec_lo, s21
	v_mul_f32_e32 v28, v133, v28
	s_delay_alu instid0(VALU_DEP_1) | instskip(NEXT) | instid1(VALU_DEP_1)
	v_and_b32_e32 v57, 0x7f800000, v28
	v_cmp_ne_u32_e64 s3, 0x7f800000, v57
                                        ; implicit-def: $vgpr57
	s_delay_alu instid0(VALU_DEP_1) | instskip(NEXT) | instid1(SALU_CYCLE_1)
	s_and_saveexec_b32 s21, s3
	s_xor_b32 s3, exec_lo, s21
; %bb.445:                              ;   in Loop: Header=BB411_13 Depth=1
	v_bfe_u32 v57, v28, 16, 1
	s_delay_alu instid0(VALU_DEP_1)
	v_add3_u32 v57, v28, v57, 0x7fff
                                        ; implicit-def: $vgpr28
; %bb.446:                              ;   in Loop: Header=BB411_13 Depth=1
	s_and_not1_saveexec_b32 s21, s3
; %bb.447:                              ;   in Loop: Header=BB411_13 Depth=1
	v_and_b32_e32 v57, 0xffff, v28
	v_or_b32_e32 v58, 0x10000, v28
	s_delay_alu instid0(VALU_DEP_2) | instskip(NEXT) | instid1(VALU_DEP_1)
	v_cmp_eq_u32_e64 s3, 0, v57
	v_cndmask_b32_e64 v57, v58, v28, s3
; %bb.448:                              ;   in Loop: Header=BB411_13 Depth=1
	s_or_b32 exec_lo, exec_lo, s21
	flat_load_b32 v61, v[80:81] offset:1032
	v_mov_b32_e32 v28, 0
	s_mov_b32 s21, exec_lo
	s_waitcnt vmcnt(0) lgkmcnt(0)
	v_and_b32_e32 v58, 0xff, v61
	s_delay_alu instid0(VALU_DEP_1)
	v_cmpx_ne_u16_e32 0, v58
	s_cbranch_execz .LBB411_456
; %bb.449:                              ;   in Loop: Header=BB411_13 Depth=1
	v_bfrev_b32_e32 v28, 1
	s_mov_b32 s22, exec_lo
	v_cmpx_ne_u16_e32 0x80, v58
	s_cbranch_execz .LBB411_455
; %bb.450:                              ;   in Loop: Header=BB411_13 Depth=1
	v_and_b32_e32 v59, 0x7f, v61
	v_mov_b32_e32 v28, 0x7f800001
	s_mov_b32 s23, exec_lo
	s_delay_alu instid0(VALU_DEP_2)
	v_cmpx_ne_u32_e32 0x7f, v59
	s_cbranch_execz .LBB411_454
; %bb.451:                              ;   in Loop: Header=BB411_13 Depth=1
	v_and_b32_e32 v28, 7, v61
	v_lshrrev_b32_e32 v58, 3, v59
	s_mov_b32 s24, exec_lo
	v_cmpx_gt_u32_e32 8, v59
; %bb.452:                              ;   in Loop: Header=BB411_13 Depth=1
	s_delay_alu instid0(VALU_DEP_3) | instskip(NEXT) | instid1(VALU_DEP_1)
	v_clz_i32_u32_e32 v58, v28
	v_min_u32_e32 v58, 32, v58
	s_delay_alu instid0(VALU_DEP_1) | instskip(SKIP_1) | instid1(VALU_DEP_2)
	v_subrev_nc_u32_e32 v59, 28, v58
	v_sub_nc_u32_e32 v58, 29, v58
	v_lshlrev_b64 v[59:60], v59, v[28:29]
	s_delay_alu instid0(VALU_DEP_1)
	v_and_b32_e32 v28, 7, v59
; %bb.453:                              ;   in Loop: Header=BB411_13 Depth=1
	s_or_b32 exec_lo, exec_lo, s24
	v_lshlrev_b32_e32 v59, 24, v61
	s_delay_alu instid0(VALU_DEP_2) | instskip(SKIP_1) | instid1(VALU_DEP_3)
	v_lshlrev_b32_e32 v28, 20, v28
	v_lshl_add_u32 v58, v58, 23, 0x3c000000
	v_and_b32_e32 v59, 0x80000000, v59
	s_delay_alu instid0(VALU_DEP_1)
	v_or3_b32 v28, v28, v59, v58
.LBB411_454:                            ;   in Loop: Header=BB411_13 Depth=1
	s_or_b32 exec_lo, exec_lo, s23
.LBB411_455:                            ;   in Loop: Header=BB411_13 Depth=1
	s_delay_alu instid0(SALU_CYCLE_1)
	s_or_b32 exec_lo, exec_lo, s22
.LBB411_456:                            ;   in Loop: Header=BB411_13 Depth=1
	s_delay_alu instid0(SALU_CYCLE_1) | instskip(NEXT) | instid1(VALU_DEP_1)
	s_or_b32 exec_lo, exec_lo, s21
	v_mul_f32_e32 v28, v133, v28
	s_delay_alu instid0(VALU_DEP_1) | instskip(NEXT) | instid1(VALU_DEP_1)
	v_and_b32_e32 v58, 0x7f800000, v28
	v_cmp_ne_u32_e64 s3, 0x7f800000, v58
                                        ; implicit-def: $vgpr58
	s_delay_alu instid0(VALU_DEP_1) | instskip(NEXT) | instid1(SALU_CYCLE_1)
	s_and_saveexec_b32 s21, s3
	s_xor_b32 s3, exec_lo, s21
; %bb.457:                              ;   in Loop: Header=BB411_13 Depth=1
	v_bfe_u32 v58, v28, 16, 1
	s_delay_alu instid0(VALU_DEP_1)
	v_add3_u32 v58, v28, v58, 0x7fff
                                        ; implicit-def: $vgpr28
; %bb.458:                              ;   in Loop: Header=BB411_13 Depth=1
	s_and_not1_saveexec_b32 s21, s3
; %bb.459:                              ;   in Loop: Header=BB411_13 Depth=1
	v_and_b32_e32 v58, 0xffff, v28
	v_or_b32_e32 v59, 0x10000, v28
	s_delay_alu instid0(VALU_DEP_2) | instskip(NEXT) | instid1(VALU_DEP_1)
	v_cmp_eq_u32_e64 s3, 0, v58
	v_cndmask_b32_e64 v58, v59, v28, s3
; %bb.460:                              ;   in Loop: Header=BB411_13 Depth=1
	s_or_b32 exec_lo, exec_lo, s21
	v_lshrrev_b16 v59, 8, v61
	v_mov_b32_e32 v28, 0
	s_mov_b32 s21, exec_lo
	s_delay_alu instid0(VALU_DEP_2)
	v_cmpx_ne_u16_e32 0, v59
	s_cbranch_execz .LBB411_468
; %bb.461:                              ;   in Loop: Header=BB411_13 Depth=1
	v_bfrev_b32_e32 v28, 1
	s_mov_b32 s22, exec_lo
	v_cmpx_ne_u16_e32 0x80, v59
	s_cbranch_execz .LBB411_467
; %bb.462:                              ;   in Loop: Header=BB411_13 Depth=1
	v_and_b32_e32 v59, 0xffff, v59
	v_mov_b32_e32 v28, 0x7f800001
	s_mov_b32 s23, exec_lo
	s_delay_alu instid0(VALU_DEP_2) | instskip(NEXT) | instid1(VALU_DEP_1)
	v_and_b32_e32 v60, 0x7f, v59
	v_cmpx_ne_u32_e32 0x7f, v60
	s_cbranch_execz .LBB411_466
; %bb.463:                              ;   in Loop: Header=BB411_13 Depth=1
	v_and_b32_e32 v28, 7, v59
	v_lshrrev_b32_e32 v59, 3, v60
	s_mov_b32 s24, exec_lo
	v_cmpx_gt_u32_e32 8, v60
; %bb.464:                              ;   in Loop: Header=BB411_13 Depth=1
	s_delay_alu instid0(VALU_DEP_3) | instskip(NEXT) | instid1(VALU_DEP_1)
	v_clz_i32_u32_e32 v59, v28
	v_min_u32_e32 v59, 32, v59
	s_delay_alu instid0(VALU_DEP_1) | instskip(SKIP_1) | instid1(VALU_DEP_2)
	v_subrev_nc_u32_e32 v60, 28, v59
	v_sub_nc_u32_e32 v59, 29, v59
	v_lshlrev_b64 v[62:63], v60, v[28:29]
	s_delay_alu instid0(VALU_DEP_1)
	v_and_b32_e32 v28, 7, v62
; %bb.465:                              ;   in Loop: Header=BB411_13 Depth=1
	s_or_b32 exec_lo, exec_lo, s24
	v_lshlrev_b32_e32 v60, 16, v61
	s_delay_alu instid0(VALU_DEP_2) | instskip(SKIP_1) | instid1(VALU_DEP_3)
	v_lshlrev_b32_e32 v28, 20, v28
	v_lshl_add_u32 v59, v59, 23, 0x3c000000
	v_and_b32_e32 v60, 0x80000000, v60
	s_delay_alu instid0(VALU_DEP_1)
	v_or3_b32 v28, v28, v60, v59
.LBB411_466:                            ;   in Loop: Header=BB411_13 Depth=1
	s_or_b32 exec_lo, exec_lo, s23
.LBB411_467:                            ;   in Loop: Header=BB411_13 Depth=1
	s_delay_alu instid0(SALU_CYCLE_1)
	s_or_b32 exec_lo, exec_lo, s22
.LBB411_468:                            ;   in Loop: Header=BB411_13 Depth=1
	s_delay_alu instid0(SALU_CYCLE_1) | instskip(NEXT) | instid1(VALU_DEP_1)
	s_or_b32 exec_lo, exec_lo, s21
	v_mul_f32_e32 v28, v133, v28
	s_delay_alu instid0(VALU_DEP_1) | instskip(NEXT) | instid1(VALU_DEP_1)
	v_and_b32_e32 v59, 0x7f800000, v28
	v_cmp_ne_u32_e64 s3, 0x7f800000, v59
                                        ; implicit-def: $vgpr59
	s_delay_alu instid0(VALU_DEP_1) | instskip(NEXT) | instid1(SALU_CYCLE_1)
	s_and_saveexec_b32 s21, s3
	s_xor_b32 s3, exec_lo, s21
; %bb.469:                              ;   in Loop: Header=BB411_13 Depth=1
	v_bfe_u32 v59, v28, 16, 1
	s_delay_alu instid0(VALU_DEP_1)
	v_add3_u32 v59, v28, v59, 0x7fff
                                        ; implicit-def: $vgpr28
; %bb.470:                              ;   in Loop: Header=BB411_13 Depth=1
	s_and_not1_saveexec_b32 s21, s3
; %bb.471:                              ;   in Loop: Header=BB411_13 Depth=1
	v_and_b32_e32 v59, 0xffff, v28
	v_or_b32_e32 v60, 0x10000, v28
	s_delay_alu instid0(VALU_DEP_2) | instskip(NEXT) | instid1(VALU_DEP_1)
	v_cmp_eq_u32_e64 s3, 0, v59
	v_cndmask_b32_e64 v59, v60, v28, s3
; %bb.472:                              ;   in Loop: Header=BB411_13 Depth=1
	s_or_b32 exec_lo, exec_lo, s21
	v_lshrrev_b32_e32 v60, 16, v61
	v_mov_b32_e32 v28, 0
	s_mov_b32 s21, exec_lo
	s_delay_alu instid0(VALU_DEP_2) | instskip(NEXT) | instid1(VALU_DEP_1)
	v_and_b32_e32 v62, 0xff, v60
	v_cmpx_ne_u16_e32 0, v62
	s_cbranch_execz .LBB411_480
; %bb.473:                              ;   in Loop: Header=BB411_13 Depth=1
	v_bfrev_b32_e32 v28, 1
	s_mov_b32 s22, exec_lo
	v_cmpx_ne_u16_e32 0x80, v62
	s_cbranch_execz .LBB411_479
; %bb.474:                              ;   in Loop: Header=BB411_13 Depth=1
	v_bfe_u32 v63, v61, 16, 7
	v_mov_b32_e32 v28, 0x7f800001
	s_mov_b32 s23, exec_lo
	s_delay_alu instid0(VALU_DEP_2)
	v_cmpx_ne_u32_e32 0x7f, v63
	s_cbranch_execz .LBB411_478
; %bb.475:                              ;   in Loop: Header=BB411_13 Depth=1
	v_and_b32_e32 v28, 7, v60
	v_lshrrev_b32_e32 v62, 3, v63
	s_mov_b32 s24, exec_lo
	v_cmpx_gt_u32_e32 8, v63
; %bb.476:                              ;   in Loop: Header=BB411_13 Depth=1
	s_delay_alu instid0(VALU_DEP_3) | instskip(NEXT) | instid1(VALU_DEP_1)
	v_clz_i32_u32_e32 v62, v28
	v_min_u32_e32 v62, 32, v62
	s_delay_alu instid0(VALU_DEP_1) | instskip(SKIP_1) | instid1(VALU_DEP_2)
	v_subrev_nc_u32_e32 v63, 28, v62
	v_sub_nc_u32_e32 v62, 29, v62
	v_lshlrev_b64 v[72:73], v63, v[28:29]
	s_delay_alu instid0(VALU_DEP_1)
	v_and_b32_e32 v28, 7, v72
; %bb.477:                              ;   in Loop: Header=BB411_13 Depth=1
	s_or_b32 exec_lo, exec_lo, s24
	v_lshlrev_b32_e32 v60, 24, v60
	s_delay_alu instid0(VALU_DEP_2) | instskip(SKIP_1) | instid1(VALU_DEP_3)
	v_lshlrev_b32_e32 v28, 20, v28
	v_lshl_add_u32 v62, v62, 23, 0x3c000000
	v_and_b32_e32 v60, 0x80000000, v60
	s_delay_alu instid0(VALU_DEP_1)
	v_or3_b32 v28, v28, v60, v62
.LBB411_478:                            ;   in Loop: Header=BB411_13 Depth=1
	s_or_b32 exec_lo, exec_lo, s23
.LBB411_479:                            ;   in Loop: Header=BB411_13 Depth=1
	s_delay_alu instid0(SALU_CYCLE_1)
	s_or_b32 exec_lo, exec_lo, s22
.LBB411_480:                            ;   in Loop: Header=BB411_13 Depth=1
	s_delay_alu instid0(SALU_CYCLE_1) | instskip(NEXT) | instid1(VALU_DEP_1)
	s_or_b32 exec_lo, exec_lo, s21
	v_mul_f32_e32 v28, v133, v28
	s_delay_alu instid0(VALU_DEP_1) | instskip(NEXT) | instid1(VALU_DEP_1)
	v_and_b32_e32 v60, 0x7f800000, v28
	v_cmp_ne_u32_e64 s3, 0x7f800000, v60
                                        ; implicit-def: $vgpr60
	s_delay_alu instid0(VALU_DEP_1) | instskip(NEXT) | instid1(SALU_CYCLE_1)
	s_and_saveexec_b32 s21, s3
	s_xor_b32 s3, exec_lo, s21
; %bb.481:                              ;   in Loop: Header=BB411_13 Depth=1
	v_bfe_u32 v60, v28, 16, 1
	s_delay_alu instid0(VALU_DEP_1)
	v_add3_u32 v60, v28, v60, 0x7fff
                                        ; implicit-def: $vgpr28
; %bb.482:                              ;   in Loop: Header=BB411_13 Depth=1
	s_and_not1_saveexec_b32 s21, s3
; %bb.483:                              ;   in Loop: Header=BB411_13 Depth=1
	v_and_b32_e32 v60, 0xffff, v28
	v_or_b32_e32 v62, 0x10000, v28
	s_delay_alu instid0(VALU_DEP_2) | instskip(NEXT) | instid1(VALU_DEP_1)
	v_cmp_eq_u32_e64 s3, 0, v60
	v_cndmask_b32_e64 v60, v62, v28, s3
; %bb.484:                              ;   in Loop: Header=BB411_13 Depth=1
	s_or_b32 exec_lo, exec_lo, s21
	v_mov_b32_e32 v28, 0
	s_mov_b32 s21, exec_lo
	v_cmpx_lt_u32_e32 0xffffff, v61
	s_cbranch_execz .LBB411_492
; %bb.485:                              ;   in Loop: Header=BB411_13 Depth=1
	v_lshrrev_b32_e32 v62, 24, v61
	v_bfrev_b32_e32 v28, 1
	s_mov_b32 s22, exec_lo
	s_delay_alu instid0(VALU_DEP_2)
	v_cmpx_ne_u32_e32 0x80, v62
	s_cbranch_execz .LBB411_491
; %bb.486:                              ;   in Loop: Header=BB411_13 Depth=1
	v_bfe_u32 v63, v61, 24, 7
	v_mov_b32_e32 v28, 0x7f800001
	s_mov_b32 s23, exec_lo
	s_delay_alu instid0(VALU_DEP_2)
	v_cmpx_ne_u32_e32 0x7f, v63
	s_cbranch_execz .LBB411_490
; %bb.487:                              ;   in Loop: Header=BB411_13 Depth=1
	v_and_b32_e32 v28, 7, v62
	v_lshrrev_b32_e32 v61, 3, v63
	s_mov_b32 s24, exec_lo
	v_cmpx_gt_u32_e32 8, v63
; %bb.488:                              ;   in Loop: Header=BB411_13 Depth=1
	s_delay_alu instid0(VALU_DEP_3) | instskip(NEXT) | instid1(VALU_DEP_1)
	v_clz_i32_u32_e32 v61, v28
	v_min_u32_e32 v61, 32, v61
	s_delay_alu instid0(VALU_DEP_1) | instskip(SKIP_1) | instid1(VALU_DEP_2)
	v_subrev_nc_u32_e32 v63, 28, v61
	v_sub_nc_u32_e32 v61, 29, v61
	v_lshlrev_b64 v[72:73], v63, v[28:29]
	s_delay_alu instid0(VALU_DEP_1)
	v_and_b32_e32 v28, 7, v72
; %bb.489:                              ;   in Loop: Header=BB411_13 Depth=1
	s_or_b32 exec_lo, exec_lo, s24
	v_lshlrev_b32_e32 v62, 24, v62
	s_delay_alu instid0(VALU_DEP_2) | instskip(SKIP_1) | instid1(VALU_DEP_3)
	v_lshlrev_b32_e32 v28, 20, v28
	v_lshl_add_u32 v61, v61, 23, 0x3c000000
	v_and_b32_e32 v62, 0x80000000, v62
	s_delay_alu instid0(VALU_DEP_1)
	v_or3_b32 v28, v28, v62, v61
.LBB411_490:                            ;   in Loop: Header=BB411_13 Depth=1
	s_or_b32 exec_lo, exec_lo, s23
.LBB411_491:                            ;   in Loop: Header=BB411_13 Depth=1
	s_delay_alu instid0(SALU_CYCLE_1)
	s_or_b32 exec_lo, exec_lo, s22
.LBB411_492:                            ;   in Loop: Header=BB411_13 Depth=1
	s_delay_alu instid0(SALU_CYCLE_1) | instskip(NEXT) | instid1(VALU_DEP_1)
	s_or_b32 exec_lo, exec_lo, s21
	v_mul_f32_e32 v28, v133, v28
	s_delay_alu instid0(VALU_DEP_1) | instskip(NEXT) | instid1(VALU_DEP_1)
	v_and_b32_e32 v61, 0x7f800000, v28
	v_cmp_ne_u32_e64 s3, 0x7f800000, v61
                                        ; implicit-def: $vgpr61
	s_delay_alu instid0(VALU_DEP_1) | instskip(NEXT) | instid1(SALU_CYCLE_1)
	s_and_saveexec_b32 s21, s3
	s_xor_b32 s3, exec_lo, s21
; %bb.493:                              ;   in Loop: Header=BB411_13 Depth=1
	v_bfe_u32 v61, v28, 16, 1
	s_delay_alu instid0(VALU_DEP_1)
	v_add3_u32 v61, v28, v61, 0x7fff
                                        ; implicit-def: $vgpr28
; %bb.494:                              ;   in Loop: Header=BB411_13 Depth=1
	s_and_not1_saveexec_b32 s21, s3
; %bb.495:                              ;   in Loop: Header=BB411_13 Depth=1
	v_and_b32_e32 v61, 0xffff, v28
	v_or_b32_e32 v62, 0x10000, v28
	s_delay_alu instid0(VALU_DEP_2) | instskip(NEXT) | instid1(VALU_DEP_1)
	v_cmp_eq_u32_e64 s3, 0, v61
	v_cndmask_b32_e64 v61, v62, v28, s3
; %bb.496:                              ;   in Loop: Header=BB411_13 Depth=1
	s_or_b32 exec_lo, exec_lo, s21
	flat_load_b32 v73, v[80:81] offset:1280
	v_mov_b32_e32 v28, 0
	s_mov_b32 s21, exec_lo
	s_waitcnt vmcnt(0) lgkmcnt(0)
	v_and_b32_e32 v62, 0xff, v73
	s_delay_alu instid0(VALU_DEP_1)
	v_cmpx_ne_u16_e32 0, v62
	s_cbranch_execz .LBB411_504
; %bb.497:                              ;   in Loop: Header=BB411_13 Depth=1
	v_bfrev_b32_e32 v28, 1
	s_mov_b32 s22, exec_lo
	v_cmpx_ne_u16_e32 0x80, v62
	s_cbranch_execz .LBB411_503
; %bb.498:                              ;   in Loop: Header=BB411_13 Depth=1
	v_and_b32_e32 v63, 0x7f, v73
	v_mov_b32_e32 v28, 0x7f800001
	s_mov_b32 s23, exec_lo
	s_delay_alu instid0(VALU_DEP_2)
	v_cmpx_ne_u32_e32 0x7f, v63
	s_cbranch_execz .LBB411_502
; %bb.499:                              ;   in Loop: Header=BB411_13 Depth=1
	v_and_b32_e32 v28, 7, v73
	v_lshrrev_b32_e32 v62, 3, v63
	s_mov_b32 s24, exec_lo
	v_cmpx_gt_u32_e32 8, v63
; %bb.500:                              ;   in Loop: Header=BB411_13 Depth=1
	s_delay_alu instid0(VALU_DEP_3) | instskip(NEXT) | instid1(VALU_DEP_1)
	v_clz_i32_u32_e32 v62, v28
	v_min_u32_e32 v62, 32, v62
	s_delay_alu instid0(VALU_DEP_1) | instskip(SKIP_1) | instid1(VALU_DEP_2)
	v_subrev_nc_u32_e32 v63, 28, v62
	v_sub_nc_u32_e32 v62, 29, v62
	v_lshlrev_b64 v[74:75], v63, v[28:29]
	s_delay_alu instid0(VALU_DEP_1)
	v_and_b32_e32 v28, 7, v74
; %bb.501:                              ;   in Loop: Header=BB411_13 Depth=1
	s_or_b32 exec_lo, exec_lo, s24
	v_lshlrev_b32_e32 v63, 24, v73
	s_delay_alu instid0(VALU_DEP_2) | instskip(SKIP_1) | instid1(VALU_DEP_3)
	v_lshlrev_b32_e32 v28, 20, v28
	v_lshl_add_u32 v62, v62, 23, 0x3c000000
	v_and_b32_e32 v63, 0x80000000, v63
	s_delay_alu instid0(VALU_DEP_1)
	v_or3_b32 v28, v28, v63, v62
.LBB411_502:                            ;   in Loop: Header=BB411_13 Depth=1
	s_or_b32 exec_lo, exec_lo, s23
.LBB411_503:                            ;   in Loop: Header=BB411_13 Depth=1
	s_delay_alu instid0(SALU_CYCLE_1)
	s_or_b32 exec_lo, exec_lo, s22
.LBB411_504:                            ;   in Loop: Header=BB411_13 Depth=1
	s_delay_alu instid0(SALU_CYCLE_1) | instskip(NEXT) | instid1(VALU_DEP_1)
	s_or_b32 exec_lo, exec_lo, s21
	v_mul_f32_e32 v28, v133, v28
	s_delay_alu instid0(VALU_DEP_1) | instskip(NEXT) | instid1(VALU_DEP_1)
	v_and_b32_e32 v62, 0x7f800000, v28
	v_cmp_ne_u32_e64 s3, 0x7f800000, v62
                                        ; implicit-def: $vgpr62
	s_delay_alu instid0(VALU_DEP_1) | instskip(NEXT) | instid1(SALU_CYCLE_1)
	s_and_saveexec_b32 s21, s3
	s_xor_b32 s3, exec_lo, s21
; %bb.505:                              ;   in Loop: Header=BB411_13 Depth=1
	v_bfe_u32 v62, v28, 16, 1
	s_delay_alu instid0(VALU_DEP_1)
	v_add3_u32 v62, v28, v62, 0x7fff
                                        ; implicit-def: $vgpr28
; %bb.506:                              ;   in Loop: Header=BB411_13 Depth=1
	s_and_not1_saveexec_b32 s21, s3
; %bb.507:                              ;   in Loop: Header=BB411_13 Depth=1
	v_and_b32_e32 v62, 0xffff, v28
	v_or_b32_e32 v63, 0x10000, v28
	s_delay_alu instid0(VALU_DEP_2) | instskip(NEXT) | instid1(VALU_DEP_1)
	v_cmp_eq_u32_e64 s3, 0, v62
	v_cndmask_b32_e64 v62, v63, v28, s3
; %bb.508:                              ;   in Loop: Header=BB411_13 Depth=1
	s_or_b32 exec_lo, exec_lo, s21
	v_lshrrev_b16 v63, 8, v73
	v_mov_b32_e32 v28, 0
	s_mov_b32 s21, exec_lo
	s_delay_alu instid0(VALU_DEP_2)
	v_cmpx_ne_u16_e32 0, v63
	s_cbranch_execz .LBB411_516
; %bb.509:                              ;   in Loop: Header=BB411_13 Depth=1
	v_bfrev_b32_e32 v28, 1
	s_mov_b32 s22, exec_lo
	v_cmpx_ne_u16_e32 0x80, v63
	s_cbranch_execz .LBB411_515
; %bb.510:                              ;   in Loop: Header=BB411_13 Depth=1
	v_and_b32_e32 v63, 0xffff, v63
	v_mov_b32_e32 v28, 0x7f800001
	s_mov_b32 s23, exec_lo
	s_delay_alu instid0(VALU_DEP_2) | instskip(NEXT) | instid1(VALU_DEP_1)
	v_and_b32_e32 v72, 0x7f, v63
	v_cmpx_ne_u32_e32 0x7f, v72
	s_cbranch_execz .LBB411_514
; %bb.511:                              ;   in Loop: Header=BB411_13 Depth=1
	v_and_b32_e32 v28, 7, v63
	v_lshrrev_b32_e32 v63, 3, v72
	s_mov_b32 s24, exec_lo
	v_cmpx_gt_u32_e32 8, v72
; %bb.512:                              ;   in Loop: Header=BB411_13 Depth=1
	s_delay_alu instid0(VALU_DEP_3) | instskip(NEXT) | instid1(VALU_DEP_1)
	v_clz_i32_u32_e32 v63, v28
	v_min_u32_e32 v63, 32, v63
	s_delay_alu instid0(VALU_DEP_1) | instskip(SKIP_1) | instid1(VALU_DEP_2)
	v_subrev_nc_u32_e32 v72, 28, v63
	v_sub_nc_u32_e32 v63, 29, v63
	v_lshlrev_b64 v[74:75], v72, v[28:29]
	s_delay_alu instid0(VALU_DEP_1)
	v_and_b32_e32 v28, 7, v74
; %bb.513:                              ;   in Loop: Header=BB411_13 Depth=1
	s_or_b32 exec_lo, exec_lo, s24
	v_lshlrev_b32_e32 v72, 16, v73
	s_delay_alu instid0(VALU_DEP_2) | instskip(SKIP_1) | instid1(VALU_DEP_3)
	v_lshlrev_b32_e32 v28, 20, v28
	v_lshl_add_u32 v63, v63, 23, 0x3c000000
	v_and_b32_e32 v72, 0x80000000, v72
	s_delay_alu instid0(VALU_DEP_1)
	v_or3_b32 v28, v28, v72, v63
.LBB411_514:                            ;   in Loop: Header=BB411_13 Depth=1
	s_or_b32 exec_lo, exec_lo, s23
.LBB411_515:                            ;   in Loop: Header=BB411_13 Depth=1
	s_delay_alu instid0(SALU_CYCLE_1)
	s_or_b32 exec_lo, exec_lo, s22
.LBB411_516:                            ;   in Loop: Header=BB411_13 Depth=1
	s_delay_alu instid0(SALU_CYCLE_1) | instskip(NEXT) | instid1(VALU_DEP_1)
	s_or_b32 exec_lo, exec_lo, s21
	v_mul_f32_e32 v28, v133, v28
	s_delay_alu instid0(VALU_DEP_1) | instskip(NEXT) | instid1(VALU_DEP_1)
	v_and_b32_e32 v63, 0x7f800000, v28
	v_cmp_ne_u32_e64 s3, 0x7f800000, v63
                                        ; implicit-def: $vgpr63
	s_delay_alu instid0(VALU_DEP_1) | instskip(NEXT) | instid1(SALU_CYCLE_1)
	s_and_saveexec_b32 s21, s3
	s_xor_b32 s3, exec_lo, s21
; %bb.517:                              ;   in Loop: Header=BB411_13 Depth=1
	v_bfe_u32 v63, v28, 16, 1
	s_delay_alu instid0(VALU_DEP_1)
	v_add3_u32 v63, v28, v63, 0x7fff
                                        ; implicit-def: $vgpr28
; %bb.518:                              ;   in Loop: Header=BB411_13 Depth=1
	s_and_not1_saveexec_b32 s21, s3
; %bb.519:                              ;   in Loop: Header=BB411_13 Depth=1
	v_and_b32_e32 v63, 0xffff, v28
	v_or_b32_e32 v72, 0x10000, v28
	s_delay_alu instid0(VALU_DEP_2) | instskip(NEXT) | instid1(VALU_DEP_1)
	v_cmp_eq_u32_e64 s3, 0, v63
	v_cndmask_b32_e64 v63, v72, v28, s3
; %bb.520:                              ;   in Loop: Header=BB411_13 Depth=1
	s_or_b32 exec_lo, exec_lo, s21
	v_lshrrev_b32_e32 v72, 16, v73
	v_mov_b32_e32 v28, 0
	s_mov_b32 s21, exec_lo
	s_delay_alu instid0(VALU_DEP_2) | instskip(NEXT) | instid1(VALU_DEP_1)
	v_and_b32_e32 v74, 0xff, v72
	v_cmpx_ne_u16_e32 0, v74
	s_cbranch_execz .LBB411_528
; %bb.521:                              ;   in Loop: Header=BB411_13 Depth=1
	v_bfrev_b32_e32 v28, 1
	s_mov_b32 s22, exec_lo
	v_cmpx_ne_u16_e32 0x80, v74
	s_cbranch_execz .LBB411_527
; %bb.522:                              ;   in Loop: Header=BB411_13 Depth=1
	v_bfe_u32 v75, v73, 16, 7
	v_mov_b32_e32 v28, 0x7f800001
	s_mov_b32 s23, exec_lo
	s_delay_alu instid0(VALU_DEP_2)
	v_cmpx_ne_u32_e32 0x7f, v75
	s_cbranch_execz .LBB411_526
; %bb.523:                              ;   in Loop: Header=BB411_13 Depth=1
	v_and_b32_e32 v28, 7, v72
	v_lshrrev_b32_e32 v74, 3, v75
	s_mov_b32 s24, exec_lo
	v_cmpx_gt_u32_e32 8, v75
; %bb.524:                              ;   in Loop: Header=BB411_13 Depth=1
	s_delay_alu instid0(VALU_DEP_3) | instskip(NEXT) | instid1(VALU_DEP_1)
	v_clz_i32_u32_e32 v74, v28
	v_min_u32_e32 v74, 32, v74
	s_delay_alu instid0(VALU_DEP_1) | instskip(SKIP_1) | instid1(VALU_DEP_2)
	v_subrev_nc_u32_e32 v75, 28, v74
	v_sub_nc_u32_e32 v74, 29, v74
	v_lshlrev_b64 v[75:76], v75, v[28:29]
	s_delay_alu instid0(VALU_DEP_1)
	v_and_b32_e32 v28, 7, v75
; %bb.525:                              ;   in Loop: Header=BB411_13 Depth=1
	s_or_b32 exec_lo, exec_lo, s24
	v_lshlrev_b32_e32 v72, 24, v72
	s_delay_alu instid0(VALU_DEP_2) | instskip(SKIP_1) | instid1(VALU_DEP_3)
	v_lshlrev_b32_e32 v28, 20, v28
	v_lshl_add_u32 v74, v74, 23, 0x3c000000
	v_and_b32_e32 v72, 0x80000000, v72
	s_delay_alu instid0(VALU_DEP_1)
	v_or3_b32 v28, v28, v72, v74
.LBB411_526:                            ;   in Loop: Header=BB411_13 Depth=1
	s_or_b32 exec_lo, exec_lo, s23
.LBB411_527:                            ;   in Loop: Header=BB411_13 Depth=1
	s_delay_alu instid0(SALU_CYCLE_1)
	s_or_b32 exec_lo, exec_lo, s22
.LBB411_528:                            ;   in Loop: Header=BB411_13 Depth=1
	s_delay_alu instid0(SALU_CYCLE_1) | instskip(NEXT) | instid1(VALU_DEP_1)
	s_or_b32 exec_lo, exec_lo, s21
	v_mul_f32_e32 v28, v133, v28
	s_delay_alu instid0(VALU_DEP_1) | instskip(NEXT) | instid1(VALU_DEP_1)
	v_and_b32_e32 v72, 0x7f800000, v28
	v_cmp_ne_u32_e64 s3, 0x7f800000, v72
                                        ; implicit-def: $vgpr72
	s_delay_alu instid0(VALU_DEP_1) | instskip(NEXT) | instid1(SALU_CYCLE_1)
	s_and_saveexec_b32 s21, s3
	s_xor_b32 s3, exec_lo, s21
; %bb.529:                              ;   in Loop: Header=BB411_13 Depth=1
	v_bfe_u32 v72, v28, 16, 1
	s_delay_alu instid0(VALU_DEP_1)
	v_add3_u32 v72, v28, v72, 0x7fff
                                        ; implicit-def: $vgpr28
; %bb.530:                              ;   in Loop: Header=BB411_13 Depth=1
	s_and_not1_saveexec_b32 s21, s3
; %bb.531:                              ;   in Loop: Header=BB411_13 Depth=1
	v_and_b32_e32 v72, 0xffff, v28
	v_or_b32_e32 v74, 0x10000, v28
	s_delay_alu instid0(VALU_DEP_2) | instskip(NEXT) | instid1(VALU_DEP_1)
	v_cmp_eq_u32_e64 s3, 0, v72
	v_cndmask_b32_e64 v72, v74, v28, s3
; %bb.532:                              ;   in Loop: Header=BB411_13 Depth=1
	s_or_b32 exec_lo, exec_lo, s21
	v_mov_b32_e32 v28, 0
	s_mov_b32 s21, exec_lo
	v_cmpx_lt_u32_e32 0xffffff, v73
	s_cbranch_execz .LBB411_540
; %bb.533:                              ;   in Loop: Header=BB411_13 Depth=1
	v_lshrrev_b32_e32 v74, 24, v73
	v_bfrev_b32_e32 v28, 1
	s_mov_b32 s22, exec_lo
	s_delay_alu instid0(VALU_DEP_2)
	v_cmpx_ne_u32_e32 0x80, v74
	s_cbranch_execz .LBB411_539
; %bb.534:                              ;   in Loop: Header=BB411_13 Depth=1
	v_bfe_u32 v75, v73, 24, 7
	v_mov_b32_e32 v28, 0x7f800001
	s_mov_b32 s23, exec_lo
	s_delay_alu instid0(VALU_DEP_2)
	v_cmpx_ne_u32_e32 0x7f, v75
	s_cbranch_execz .LBB411_538
; %bb.535:                              ;   in Loop: Header=BB411_13 Depth=1
	v_and_b32_e32 v28, 7, v74
	v_lshrrev_b32_e32 v73, 3, v75
	s_mov_b32 s24, exec_lo
	v_cmpx_gt_u32_e32 8, v75
; %bb.536:                              ;   in Loop: Header=BB411_13 Depth=1
	s_delay_alu instid0(VALU_DEP_3) | instskip(NEXT) | instid1(VALU_DEP_1)
	v_clz_i32_u32_e32 v73, v28
	v_min_u32_e32 v73, 32, v73
	s_delay_alu instid0(VALU_DEP_1) | instskip(SKIP_1) | instid1(VALU_DEP_2)
	v_subrev_nc_u32_e32 v75, 28, v73
	v_sub_nc_u32_e32 v73, 29, v73
	v_lshlrev_b64 v[75:76], v75, v[28:29]
	s_delay_alu instid0(VALU_DEP_1)
	v_and_b32_e32 v28, 7, v75
; %bb.537:                              ;   in Loop: Header=BB411_13 Depth=1
	s_or_b32 exec_lo, exec_lo, s24
	v_lshlrev_b32_e32 v74, 24, v74
	s_delay_alu instid0(VALU_DEP_2) | instskip(SKIP_1) | instid1(VALU_DEP_3)
	v_lshlrev_b32_e32 v28, 20, v28
	v_lshl_add_u32 v73, v73, 23, 0x3c000000
	v_and_b32_e32 v74, 0x80000000, v74
	s_delay_alu instid0(VALU_DEP_1)
	v_or3_b32 v28, v28, v74, v73
.LBB411_538:                            ;   in Loop: Header=BB411_13 Depth=1
	s_or_b32 exec_lo, exec_lo, s23
.LBB411_539:                            ;   in Loop: Header=BB411_13 Depth=1
	s_delay_alu instid0(SALU_CYCLE_1)
	s_or_b32 exec_lo, exec_lo, s22
.LBB411_540:                            ;   in Loop: Header=BB411_13 Depth=1
	s_delay_alu instid0(SALU_CYCLE_1) | instskip(NEXT) | instid1(VALU_DEP_1)
	s_or_b32 exec_lo, exec_lo, s21
	v_mul_f32_e32 v28, v133, v28
	s_delay_alu instid0(VALU_DEP_1) | instskip(NEXT) | instid1(VALU_DEP_1)
	v_and_b32_e32 v73, 0x7f800000, v28
	v_cmp_ne_u32_e64 s3, 0x7f800000, v73
                                        ; implicit-def: $vgpr73
	s_delay_alu instid0(VALU_DEP_1) | instskip(NEXT) | instid1(SALU_CYCLE_1)
	s_and_saveexec_b32 s21, s3
	s_xor_b32 s3, exec_lo, s21
; %bb.541:                              ;   in Loop: Header=BB411_13 Depth=1
	v_bfe_u32 v73, v28, 16, 1
	s_delay_alu instid0(VALU_DEP_1)
	v_add3_u32 v73, v28, v73, 0x7fff
                                        ; implicit-def: $vgpr28
; %bb.542:                              ;   in Loop: Header=BB411_13 Depth=1
	s_and_not1_saveexec_b32 s21, s3
; %bb.543:                              ;   in Loop: Header=BB411_13 Depth=1
	v_and_b32_e32 v73, 0xffff, v28
	v_or_b32_e32 v74, 0x10000, v28
	s_delay_alu instid0(VALU_DEP_2) | instskip(NEXT) | instid1(VALU_DEP_1)
	v_cmp_eq_u32_e64 s3, 0, v73
	v_cndmask_b32_e64 v73, v74, v28, s3
; %bb.544:                              ;   in Loop: Header=BB411_13 Depth=1
	s_or_b32 exec_lo, exec_lo, s21
	flat_load_b32 v77, v[80:81] offset:1288
	v_mov_b32_e32 v28, 0
	s_mov_b32 s21, exec_lo
	s_waitcnt vmcnt(0) lgkmcnt(0)
	v_and_b32_e32 v74, 0xff, v77
	s_delay_alu instid0(VALU_DEP_1)
	v_cmpx_ne_u16_e32 0, v74
	s_cbranch_execz .LBB411_552
; %bb.545:                              ;   in Loop: Header=BB411_13 Depth=1
	v_bfrev_b32_e32 v28, 1
	s_mov_b32 s22, exec_lo
	v_cmpx_ne_u16_e32 0x80, v74
	s_cbranch_execz .LBB411_551
; %bb.546:                              ;   in Loop: Header=BB411_13 Depth=1
	v_and_b32_e32 v75, 0x7f, v77
	v_mov_b32_e32 v28, 0x7f800001
	s_mov_b32 s23, exec_lo
	s_delay_alu instid0(VALU_DEP_2)
	v_cmpx_ne_u32_e32 0x7f, v75
	s_cbranch_execz .LBB411_550
; %bb.547:                              ;   in Loop: Header=BB411_13 Depth=1
	v_and_b32_e32 v28, 7, v77
	v_lshrrev_b32_e32 v74, 3, v75
	s_mov_b32 s24, exec_lo
	v_cmpx_gt_u32_e32 8, v75
; %bb.548:                              ;   in Loop: Header=BB411_13 Depth=1
	s_delay_alu instid0(VALU_DEP_3) | instskip(NEXT) | instid1(VALU_DEP_1)
	v_clz_i32_u32_e32 v74, v28
	v_min_u32_e32 v74, 32, v74
	s_delay_alu instid0(VALU_DEP_1) | instskip(SKIP_1) | instid1(VALU_DEP_2)
	v_subrev_nc_u32_e32 v75, 28, v74
	v_sub_nc_u32_e32 v74, 29, v74
	v_lshlrev_b64 v[75:76], v75, v[28:29]
	s_delay_alu instid0(VALU_DEP_1)
	v_and_b32_e32 v28, 7, v75
; %bb.549:                              ;   in Loop: Header=BB411_13 Depth=1
	s_or_b32 exec_lo, exec_lo, s24
	v_lshlrev_b32_e32 v75, 24, v77
	s_delay_alu instid0(VALU_DEP_2) | instskip(SKIP_1) | instid1(VALU_DEP_3)
	v_lshlrev_b32_e32 v28, 20, v28
	v_lshl_add_u32 v74, v74, 23, 0x3c000000
	v_and_b32_e32 v75, 0x80000000, v75
	s_delay_alu instid0(VALU_DEP_1)
	v_or3_b32 v28, v28, v75, v74
.LBB411_550:                            ;   in Loop: Header=BB411_13 Depth=1
	s_or_b32 exec_lo, exec_lo, s23
.LBB411_551:                            ;   in Loop: Header=BB411_13 Depth=1
	s_delay_alu instid0(SALU_CYCLE_1)
	s_or_b32 exec_lo, exec_lo, s22
.LBB411_552:                            ;   in Loop: Header=BB411_13 Depth=1
	s_delay_alu instid0(SALU_CYCLE_1) | instskip(NEXT) | instid1(VALU_DEP_1)
	s_or_b32 exec_lo, exec_lo, s21
	v_mul_f32_e32 v28, v133, v28
	s_delay_alu instid0(VALU_DEP_1) | instskip(NEXT) | instid1(VALU_DEP_1)
	v_and_b32_e32 v74, 0x7f800000, v28
	v_cmp_ne_u32_e64 s3, 0x7f800000, v74
                                        ; implicit-def: $vgpr74
	s_delay_alu instid0(VALU_DEP_1) | instskip(NEXT) | instid1(SALU_CYCLE_1)
	s_and_saveexec_b32 s21, s3
	s_xor_b32 s3, exec_lo, s21
; %bb.553:                              ;   in Loop: Header=BB411_13 Depth=1
	v_bfe_u32 v74, v28, 16, 1
	s_delay_alu instid0(VALU_DEP_1)
	v_add3_u32 v74, v28, v74, 0x7fff
                                        ; implicit-def: $vgpr28
; %bb.554:                              ;   in Loop: Header=BB411_13 Depth=1
	s_and_not1_saveexec_b32 s21, s3
; %bb.555:                              ;   in Loop: Header=BB411_13 Depth=1
	v_and_b32_e32 v74, 0xffff, v28
	v_or_b32_e32 v75, 0x10000, v28
	s_delay_alu instid0(VALU_DEP_2) | instskip(NEXT) | instid1(VALU_DEP_1)
	v_cmp_eq_u32_e64 s3, 0, v74
	v_cndmask_b32_e64 v74, v75, v28, s3
; %bb.556:                              ;   in Loop: Header=BB411_13 Depth=1
	s_or_b32 exec_lo, exec_lo, s21
	v_lshrrev_b16 v75, 8, v77
	v_mov_b32_e32 v28, 0
	s_mov_b32 s21, exec_lo
	s_delay_alu instid0(VALU_DEP_2)
	v_cmpx_ne_u16_e32 0, v75
	s_cbranch_execz .LBB411_564
; %bb.557:                              ;   in Loop: Header=BB411_13 Depth=1
	v_bfrev_b32_e32 v28, 1
	s_mov_b32 s22, exec_lo
	v_cmpx_ne_u16_e32 0x80, v75
	s_cbranch_execz .LBB411_563
; %bb.558:                              ;   in Loop: Header=BB411_13 Depth=1
	v_and_b32_e32 v75, 0xffff, v75
	v_mov_b32_e32 v28, 0x7f800001
	s_mov_b32 s23, exec_lo
	s_delay_alu instid0(VALU_DEP_2) | instskip(NEXT) | instid1(VALU_DEP_1)
	v_and_b32_e32 v76, 0x7f, v75
	v_cmpx_ne_u32_e32 0x7f, v76
	s_cbranch_execz .LBB411_562
; %bb.559:                              ;   in Loop: Header=BB411_13 Depth=1
	v_and_b32_e32 v28, 7, v75
	v_lshrrev_b32_e32 v75, 3, v76
	s_mov_b32 s24, exec_lo
	v_cmpx_gt_u32_e32 8, v76
; %bb.560:                              ;   in Loop: Header=BB411_13 Depth=1
	s_delay_alu instid0(VALU_DEP_3) | instskip(NEXT) | instid1(VALU_DEP_1)
	v_clz_i32_u32_e32 v75, v28
	v_min_u32_e32 v75, 32, v75
	s_delay_alu instid0(VALU_DEP_1) | instskip(SKIP_1) | instid1(VALU_DEP_2)
	v_subrev_nc_u32_e32 v76, 28, v75
	v_sub_nc_u32_e32 v75, 29, v75
	v_lshlrev_b64 v[78:79], v76, v[28:29]
	s_delay_alu instid0(VALU_DEP_1)
	v_and_b32_e32 v28, 7, v78
; %bb.561:                              ;   in Loop: Header=BB411_13 Depth=1
	s_or_b32 exec_lo, exec_lo, s24
	v_lshlrev_b32_e32 v76, 16, v77
	s_delay_alu instid0(VALU_DEP_2) | instskip(SKIP_1) | instid1(VALU_DEP_3)
	v_lshlrev_b32_e32 v28, 20, v28
	v_lshl_add_u32 v75, v75, 23, 0x3c000000
	v_and_b32_e32 v76, 0x80000000, v76
	s_delay_alu instid0(VALU_DEP_1)
	v_or3_b32 v28, v28, v76, v75
.LBB411_562:                            ;   in Loop: Header=BB411_13 Depth=1
	s_or_b32 exec_lo, exec_lo, s23
.LBB411_563:                            ;   in Loop: Header=BB411_13 Depth=1
	s_delay_alu instid0(SALU_CYCLE_1)
	s_or_b32 exec_lo, exec_lo, s22
.LBB411_564:                            ;   in Loop: Header=BB411_13 Depth=1
	s_delay_alu instid0(SALU_CYCLE_1) | instskip(NEXT) | instid1(VALU_DEP_1)
	s_or_b32 exec_lo, exec_lo, s21
	v_mul_f32_e32 v28, v133, v28
	s_delay_alu instid0(VALU_DEP_1) | instskip(NEXT) | instid1(VALU_DEP_1)
	v_and_b32_e32 v75, 0x7f800000, v28
	v_cmp_ne_u32_e64 s3, 0x7f800000, v75
                                        ; implicit-def: $vgpr75
	s_delay_alu instid0(VALU_DEP_1) | instskip(NEXT) | instid1(SALU_CYCLE_1)
	s_and_saveexec_b32 s21, s3
	s_xor_b32 s3, exec_lo, s21
; %bb.565:                              ;   in Loop: Header=BB411_13 Depth=1
	v_bfe_u32 v75, v28, 16, 1
	s_delay_alu instid0(VALU_DEP_1)
	v_add3_u32 v75, v28, v75, 0x7fff
                                        ; implicit-def: $vgpr28
; %bb.566:                              ;   in Loop: Header=BB411_13 Depth=1
	s_and_not1_saveexec_b32 s21, s3
; %bb.567:                              ;   in Loop: Header=BB411_13 Depth=1
	v_and_b32_e32 v75, 0xffff, v28
	v_or_b32_e32 v76, 0x10000, v28
	s_delay_alu instid0(VALU_DEP_2) | instskip(NEXT) | instid1(VALU_DEP_1)
	v_cmp_eq_u32_e64 s3, 0, v75
	v_cndmask_b32_e64 v75, v76, v28, s3
; %bb.568:                              ;   in Loop: Header=BB411_13 Depth=1
	s_or_b32 exec_lo, exec_lo, s21
	v_lshrrev_b32_e32 v76, 16, v77
	v_mov_b32_e32 v28, 0
	s_mov_b32 s21, exec_lo
	s_delay_alu instid0(VALU_DEP_2) | instskip(NEXT) | instid1(VALU_DEP_1)
	v_and_b32_e32 v78, 0xff, v76
	v_cmpx_ne_u16_e32 0, v78
	s_cbranch_execz .LBB411_576
; %bb.569:                              ;   in Loop: Header=BB411_13 Depth=1
	v_bfrev_b32_e32 v28, 1
	s_mov_b32 s22, exec_lo
	v_cmpx_ne_u16_e32 0x80, v78
	s_cbranch_execz .LBB411_575
; %bb.570:                              ;   in Loop: Header=BB411_13 Depth=1
	v_bfe_u32 v79, v77, 16, 7
	v_mov_b32_e32 v28, 0x7f800001
	s_mov_b32 s23, exec_lo
	s_delay_alu instid0(VALU_DEP_2)
	v_cmpx_ne_u32_e32 0x7f, v79
	s_cbranch_execz .LBB411_574
; %bb.571:                              ;   in Loop: Header=BB411_13 Depth=1
	v_and_b32_e32 v28, 7, v76
	v_lshrrev_b32_e32 v78, 3, v79
	s_mov_b32 s24, exec_lo
	v_cmpx_gt_u32_e32 8, v79
; %bb.572:                              ;   in Loop: Header=BB411_13 Depth=1
	s_delay_alu instid0(VALU_DEP_3) | instskip(NEXT) | instid1(VALU_DEP_1)
	v_clz_i32_u32_e32 v78, v28
	v_min_u32_e32 v78, 32, v78
	s_delay_alu instid0(VALU_DEP_1) | instskip(SKIP_1) | instid1(VALU_DEP_2)
	v_subrev_nc_u32_e32 v79, 28, v78
	v_sub_nc_u32_e32 v78, 29, v78
	v_lshlrev_b64 v[88:89], v79, v[28:29]
	s_delay_alu instid0(VALU_DEP_1)
	v_and_b32_e32 v28, 7, v88
; %bb.573:                              ;   in Loop: Header=BB411_13 Depth=1
	s_or_b32 exec_lo, exec_lo, s24
	v_lshlrev_b32_e32 v76, 24, v76
	s_delay_alu instid0(VALU_DEP_2) | instskip(SKIP_1) | instid1(VALU_DEP_3)
	v_lshlrev_b32_e32 v28, 20, v28
	v_lshl_add_u32 v78, v78, 23, 0x3c000000
	v_and_b32_e32 v76, 0x80000000, v76
	s_delay_alu instid0(VALU_DEP_1)
	v_or3_b32 v28, v28, v76, v78
.LBB411_574:                            ;   in Loop: Header=BB411_13 Depth=1
	s_or_b32 exec_lo, exec_lo, s23
.LBB411_575:                            ;   in Loop: Header=BB411_13 Depth=1
	s_delay_alu instid0(SALU_CYCLE_1)
	s_or_b32 exec_lo, exec_lo, s22
.LBB411_576:                            ;   in Loop: Header=BB411_13 Depth=1
	s_delay_alu instid0(SALU_CYCLE_1) | instskip(NEXT) | instid1(VALU_DEP_1)
	s_or_b32 exec_lo, exec_lo, s21
	v_mul_f32_e32 v28, v133, v28
	s_delay_alu instid0(VALU_DEP_1) | instskip(NEXT) | instid1(VALU_DEP_1)
	v_and_b32_e32 v76, 0x7f800000, v28
	v_cmp_ne_u32_e64 s3, 0x7f800000, v76
                                        ; implicit-def: $vgpr76
	s_delay_alu instid0(VALU_DEP_1) | instskip(NEXT) | instid1(SALU_CYCLE_1)
	s_and_saveexec_b32 s21, s3
	s_xor_b32 s3, exec_lo, s21
; %bb.577:                              ;   in Loop: Header=BB411_13 Depth=1
	v_bfe_u32 v76, v28, 16, 1
	s_delay_alu instid0(VALU_DEP_1)
	v_add3_u32 v76, v28, v76, 0x7fff
                                        ; implicit-def: $vgpr28
; %bb.578:                              ;   in Loop: Header=BB411_13 Depth=1
	s_and_not1_saveexec_b32 s21, s3
; %bb.579:                              ;   in Loop: Header=BB411_13 Depth=1
	v_and_b32_e32 v76, 0xffff, v28
	v_or_b32_e32 v78, 0x10000, v28
	s_delay_alu instid0(VALU_DEP_2) | instskip(NEXT) | instid1(VALU_DEP_1)
	v_cmp_eq_u32_e64 s3, 0, v76
	v_cndmask_b32_e64 v76, v78, v28, s3
; %bb.580:                              ;   in Loop: Header=BB411_13 Depth=1
	s_or_b32 exec_lo, exec_lo, s21
	v_mov_b32_e32 v28, 0
	s_mov_b32 s21, exec_lo
	v_cmpx_lt_u32_e32 0xffffff, v77
	s_cbranch_execz .LBB411_588
; %bb.581:                              ;   in Loop: Header=BB411_13 Depth=1
	v_lshrrev_b32_e32 v78, 24, v77
	v_bfrev_b32_e32 v28, 1
	s_mov_b32 s22, exec_lo
	s_delay_alu instid0(VALU_DEP_2)
	v_cmpx_ne_u32_e32 0x80, v78
	s_cbranch_execz .LBB411_587
; %bb.582:                              ;   in Loop: Header=BB411_13 Depth=1
	v_bfe_u32 v79, v77, 24, 7
	v_mov_b32_e32 v28, 0x7f800001
	s_mov_b32 s23, exec_lo
	s_delay_alu instid0(VALU_DEP_2)
	v_cmpx_ne_u32_e32 0x7f, v79
	s_cbranch_execz .LBB411_586
; %bb.583:                              ;   in Loop: Header=BB411_13 Depth=1
	v_and_b32_e32 v28, 7, v78
	v_lshrrev_b32_e32 v77, 3, v79
	s_mov_b32 s24, exec_lo
	v_cmpx_gt_u32_e32 8, v79
; %bb.584:                              ;   in Loop: Header=BB411_13 Depth=1
	s_delay_alu instid0(VALU_DEP_3) | instskip(NEXT) | instid1(VALU_DEP_1)
	v_clz_i32_u32_e32 v77, v28
	v_min_u32_e32 v77, 32, v77
	s_delay_alu instid0(VALU_DEP_1) | instskip(SKIP_1) | instid1(VALU_DEP_2)
	v_subrev_nc_u32_e32 v79, 28, v77
	v_sub_nc_u32_e32 v77, 29, v77
	v_lshlrev_b64 v[88:89], v79, v[28:29]
	s_delay_alu instid0(VALU_DEP_1)
	v_and_b32_e32 v28, 7, v88
; %bb.585:                              ;   in Loop: Header=BB411_13 Depth=1
	s_or_b32 exec_lo, exec_lo, s24
	v_lshlrev_b32_e32 v78, 24, v78
	s_delay_alu instid0(VALU_DEP_2) | instskip(SKIP_1) | instid1(VALU_DEP_3)
	v_lshlrev_b32_e32 v28, 20, v28
	v_lshl_add_u32 v77, v77, 23, 0x3c000000
	v_and_b32_e32 v78, 0x80000000, v78
	s_delay_alu instid0(VALU_DEP_1)
	v_or3_b32 v28, v28, v78, v77
.LBB411_586:                            ;   in Loop: Header=BB411_13 Depth=1
	s_or_b32 exec_lo, exec_lo, s23
.LBB411_587:                            ;   in Loop: Header=BB411_13 Depth=1
	s_delay_alu instid0(SALU_CYCLE_1)
	s_or_b32 exec_lo, exec_lo, s22
.LBB411_588:                            ;   in Loop: Header=BB411_13 Depth=1
	s_delay_alu instid0(SALU_CYCLE_1) | instskip(NEXT) | instid1(VALU_DEP_1)
	s_or_b32 exec_lo, exec_lo, s21
	v_mul_f32_e32 v28, v133, v28
	s_delay_alu instid0(VALU_DEP_1) | instskip(NEXT) | instid1(VALU_DEP_1)
	v_and_b32_e32 v77, 0x7f800000, v28
	v_cmp_ne_u32_e64 s3, 0x7f800000, v77
                                        ; implicit-def: $vgpr77
	s_delay_alu instid0(VALU_DEP_1) | instskip(NEXT) | instid1(SALU_CYCLE_1)
	s_and_saveexec_b32 s21, s3
	s_xor_b32 s3, exec_lo, s21
; %bb.589:                              ;   in Loop: Header=BB411_13 Depth=1
	v_bfe_u32 v77, v28, 16, 1
	s_delay_alu instid0(VALU_DEP_1)
	v_add3_u32 v77, v28, v77, 0x7fff
                                        ; implicit-def: $vgpr28
; %bb.590:                              ;   in Loop: Header=BB411_13 Depth=1
	s_and_not1_saveexec_b32 s21, s3
; %bb.591:                              ;   in Loop: Header=BB411_13 Depth=1
	v_and_b32_e32 v77, 0xffff, v28
	v_or_b32_e32 v78, 0x10000, v28
	s_delay_alu instid0(VALU_DEP_2) | instskip(NEXT) | instid1(VALU_DEP_1)
	v_cmp_eq_u32_e64 s3, 0, v77
	v_cndmask_b32_e64 v77, v78, v28, s3
; %bb.592:                              ;   in Loop: Header=BB411_13 Depth=1
	s_or_b32 exec_lo, exec_lo, s21
	flat_load_b32 v89, v[80:81] offset:1536
	v_mov_b32_e32 v28, 0
	s_mov_b32 s21, exec_lo
	s_waitcnt vmcnt(0) lgkmcnt(0)
	v_and_b32_e32 v78, 0xff, v89
	s_delay_alu instid0(VALU_DEP_1)
	v_cmpx_ne_u16_e32 0, v78
	s_cbranch_execz .LBB411_600
; %bb.593:                              ;   in Loop: Header=BB411_13 Depth=1
	v_bfrev_b32_e32 v28, 1
	s_mov_b32 s22, exec_lo
	v_cmpx_ne_u16_e32 0x80, v78
	s_cbranch_execz .LBB411_599
; %bb.594:                              ;   in Loop: Header=BB411_13 Depth=1
	v_and_b32_e32 v79, 0x7f, v89
	v_mov_b32_e32 v28, 0x7f800001
	s_mov_b32 s23, exec_lo
	s_delay_alu instid0(VALU_DEP_2)
	v_cmpx_ne_u32_e32 0x7f, v79
	s_cbranch_execz .LBB411_598
; %bb.595:                              ;   in Loop: Header=BB411_13 Depth=1
	v_and_b32_e32 v28, 7, v89
	v_lshrrev_b32_e32 v78, 3, v79
	s_mov_b32 s24, exec_lo
	v_cmpx_gt_u32_e32 8, v79
; %bb.596:                              ;   in Loop: Header=BB411_13 Depth=1
	s_delay_alu instid0(VALU_DEP_3) | instskip(NEXT) | instid1(VALU_DEP_1)
	v_clz_i32_u32_e32 v78, v28
	v_min_u32_e32 v78, 32, v78
	s_delay_alu instid0(VALU_DEP_1) | instskip(SKIP_1) | instid1(VALU_DEP_2)
	v_subrev_nc_u32_e32 v79, 28, v78
	v_sub_nc_u32_e32 v78, 29, v78
	v_lshlrev_b64 v[90:91], v79, v[28:29]
	s_delay_alu instid0(VALU_DEP_1)
	v_and_b32_e32 v28, 7, v90
; %bb.597:                              ;   in Loop: Header=BB411_13 Depth=1
	s_or_b32 exec_lo, exec_lo, s24
	v_lshlrev_b32_e32 v79, 24, v89
	s_delay_alu instid0(VALU_DEP_2) | instskip(SKIP_1) | instid1(VALU_DEP_3)
	v_lshlrev_b32_e32 v28, 20, v28
	v_lshl_add_u32 v78, v78, 23, 0x3c000000
	v_and_b32_e32 v79, 0x80000000, v79
	s_delay_alu instid0(VALU_DEP_1)
	v_or3_b32 v28, v28, v79, v78
.LBB411_598:                            ;   in Loop: Header=BB411_13 Depth=1
	s_or_b32 exec_lo, exec_lo, s23
.LBB411_599:                            ;   in Loop: Header=BB411_13 Depth=1
	s_delay_alu instid0(SALU_CYCLE_1)
	s_or_b32 exec_lo, exec_lo, s22
.LBB411_600:                            ;   in Loop: Header=BB411_13 Depth=1
	s_delay_alu instid0(SALU_CYCLE_1) | instskip(NEXT) | instid1(VALU_DEP_1)
	s_or_b32 exec_lo, exec_lo, s21
	v_mul_f32_e32 v28, v133, v28
	s_delay_alu instid0(VALU_DEP_1) | instskip(NEXT) | instid1(VALU_DEP_1)
	v_and_b32_e32 v78, 0x7f800000, v28
	v_cmp_ne_u32_e64 s3, 0x7f800000, v78
                                        ; implicit-def: $vgpr78
	s_delay_alu instid0(VALU_DEP_1) | instskip(NEXT) | instid1(SALU_CYCLE_1)
	s_and_saveexec_b32 s21, s3
	s_xor_b32 s3, exec_lo, s21
; %bb.601:                              ;   in Loop: Header=BB411_13 Depth=1
	v_bfe_u32 v78, v28, 16, 1
	s_delay_alu instid0(VALU_DEP_1)
	v_add3_u32 v78, v28, v78, 0x7fff
                                        ; implicit-def: $vgpr28
; %bb.602:                              ;   in Loop: Header=BB411_13 Depth=1
	s_and_not1_saveexec_b32 s21, s3
; %bb.603:                              ;   in Loop: Header=BB411_13 Depth=1
	v_and_b32_e32 v78, 0xffff, v28
	v_or_b32_e32 v79, 0x10000, v28
	s_delay_alu instid0(VALU_DEP_2) | instskip(NEXT) | instid1(VALU_DEP_1)
	v_cmp_eq_u32_e64 s3, 0, v78
	v_cndmask_b32_e64 v78, v79, v28, s3
; %bb.604:                              ;   in Loop: Header=BB411_13 Depth=1
	s_or_b32 exec_lo, exec_lo, s21
	v_lshrrev_b16 v79, 8, v89
	v_mov_b32_e32 v28, 0
	s_mov_b32 s21, exec_lo
	s_delay_alu instid0(VALU_DEP_2)
	v_cmpx_ne_u16_e32 0, v79
	s_cbranch_execz .LBB411_612
; %bb.605:                              ;   in Loop: Header=BB411_13 Depth=1
	v_bfrev_b32_e32 v28, 1
	s_mov_b32 s22, exec_lo
	v_cmpx_ne_u16_e32 0x80, v79
	s_cbranch_execz .LBB411_611
; %bb.606:                              ;   in Loop: Header=BB411_13 Depth=1
	v_and_b32_e32 v79, 0xffff, v79
	v_mov_b32_e32 v28, 0x7f800001
	s_mov_b32 s23, exec_lo
	s_delay_alu instid0(VALU_DEP_2) | instskip(NEXT) | instid1(VALU_DEP_1)
	v_and_b32_e32 v88, 0x7f, v79
	v_cmpx_ne_u32_e32 0x7f, v88
	s_cbranch_execz .LBB411_610
; %bb.607:                              ;   in Loop: Header=BB411_13 Depth=1
	v_and_b32_e32 v28, 7, v79
	v_lshrrev_b32_e32 v79, 3, v88
	s_mov_b32 s24, exec_lo
	v_cmpx_gt_u32_e32 8, v88
; %bb.608:                              ;   in Loop: Header=BB411_13 Depth=1
	s_delay_alu instid0(VALU_DEP_3) | instskip(NEXT) | instid1(VALU_DEP_1)
	v_clz_i32_u32_e32 v79, v28
	v_min_u32_e32 v79, 32, v79
	s_delay_alu instid0(VALU_DEP_1) | instskip(SKIP_1) | instid1(VALU_DEP_2)
	v_subrev_nc_u32_e32 v88, 28, v79
	v_sub_nc_u32_e32 v79, 29, v79
	v_lshlrev_b64 v[90:91], v88, v[28:29]
	s_delay_alu instid0(VALU_DEP_1)
	v_and_b32_e32 v28, 7, v90
; %bb.609:                              ;   in Loop: Header=BB411_13 Depth=1
	s_or_b32 exec_lo, exec_lo, s24
	v_lshlrev_b32_e32 v88, 16, v89
	s_delay_alu instid0(VALU_DEP_2) | instskip(SKIP_1) | instid1(VALU_DEP_3)
	v_lshlrev_b32_e32 v28, 20, v28
	v_lshl_add_u32 v79, v79, 23, 0x3c000000
	v_and_b32_e32 v88, 0x80000000, v88
	s_delay_alu instid0(VALU_DEP_1)
	v_or3_b32 v28, v28, v88, v79
.LBB411_610:                            ;   in Loop: Header=BB411_13 Depth=1
	s_or_b32 exec_lo, exec_lo, s23
.LBB411_611:                            ;   in Loop: Header=BB411_13 Depth=1
	s_delay_alu instid0(SALU_CYCLE_1)
	s_or_b32 exec_lo, exec_lo, s22
.LBB411_612:                            ;   in Loop: Header=BB411_13 Depth=1
	s_delay_alu instid0(SALU_CYCLE_1) | instskip(NEXT) | instid1(VALU_DEP_1)
	s_or_b32 exec_lo, exec_lo, s21
	v_mul_f32_e32 v28, v133, v28
	s_delay_alu instid0(VALU_DEP_1) | instskip(NEXT) | instid1(VALU_DEP_1)
	v_and_b32_e32 v79, 0x7f800000, v28
	v_cmp_ne_u32_e64 s3, 0x7f800000, v79
                                        ; implicit-def: $vgpr79
	s_delay_alu instid0(VALU_DEP_1) | instskip(NEXT) | instid1(SALU_CYCLE_1)
	s_and_saveexec_b32 s21, s3
	s_xor_b32 s3, exec_lo, s21
; %bb.613:                              ;   in Loop: Header=BB411_13 Depth=1
	v_bfe_u32 v79, v28, 16, 1
	s_delay_alu instid0(VALU_DEP_1)
	v_add3_u32 v79, v28, v79, 0x7fff
                                        ; implicit-def: $vgpr28
; %bb.614:                              ;   in Loop: Header=BB411_13 Depth=1
	s_and_not1_saveexec_b32 s21, s3
; %bb.615:                              ;   in Loop: Header=BB411_13 Depth=1
	v_and_b32_e32 v79, 0xffff, v28
	v_or_b32_e32 v88, 0x10000, v28
	s_delay_alu instid0(VALU_DEP_2) | instskip(NEXT) | instid1(VALU_DEP_1)
	v_cmp_eq_u32_e64 s3, 0, v79
	v_cndmask_b32_e64 v79, v88, v28, s3
; %bb.616:                              ;   in Loop: Header=BB411_13 Depth=1
	s_or_b32 exec_lo, exec_lo, s21
	v_lshrrev_b32_e32 v88, 16, v89
	v_mov_b32_e32 v28, 0
	s_mov_b32 s21, exec_lo
	s_delay_alu instid0(VALU_DEP_2) | instskip(NEXT) | instid1(VALU_DEP_1)
	v_and_b32_e32 v90, 0xff, v88
	v_cmpx_ne_u16_e32 0, v90
	s_cbranch_execz .LBB411_624
; %bb.617:                              ;   in Loop: Header=BB411_13 Depth=1
	v_bfrev_b32_e32 v28, 1
	s_mov_b32 s22, exec_lo
	v_cmpx_ne_u16_e32 0x80, v90
	s_cbranch_execz .LBB411_623
; %bb.618:                              ;   in Loop: Header=BB411_13 Depth=1
	v_bfe_u32 v91, v89, 16, 7
	v_mov_b32_e32 v28, 0x7f800001
	s_mov_b32 s23, exec_lo
	s_delay_alu instid0(VALU_DEP_2)
	v_cmpx_ne_u32_e32 0x7f, v91
	s_cbranch_execz .LBB411_622
; %bb.619:                              ;   in Loop: Header=BB411_13 Depth=1
	v_and_b32_e32 v28, 7, v88
	v_lshrrev_b32_e32 v90, 3, v91
	s_mov_b32 s24, exec_lo
	v_cmpx_gt_u32_e32 8, v91
; %bb.620:                              ;   in Loop: Header=BB411_13 Depth=1
	s_delay_alu instid0(VALU_DEP_3) | instskip(NEXT) | instid1(VALU_DEP_1)
	v_clz_i32_u32_e32 v90, v28
	v_min_u32_e32 v90, 32, v90
	s_delay_alu instid0(VALU_DEP_1) | instskip(SKIP_1) | instid1(VALU_DEP_2)
	v_subrev_nc_u32_e32 v91, 28, v90
	v_sub_nc_u32_e32 v90, 29, v90
	v_lshlrev_b64 v[91:92], v91, v[28:29]
	s_delay_alu instid0(VALU_DEP_1)
	v_and_b32_e32 v28, 7, v91
; %bb.621:                              ;   in Loop: Header=BB411_13 Depth=1
	s_or_b32 exec_lo, exec_lo, s24
	v_lshlrev_b32_e32 v88, 24, v88
	s_delay_alu instid0(VALU_DEP_2) | instskip(SKIP_1) | instid1(VALU_DEP_3)
	v_lshlrev_b32_e32 v28, 20, v28
	v_lshl_add_u32 v90, v90, 23, 0x3c000000
	v_and_b32_e32 v88, 0x80000000, v88
	s_delay_alu instid0(VALU_DEP_1)
	v_or3_b32 v28, v28, v88, v90
.LBB411_622:                            ;   in Loop: Header=BB411_13 Depth=1
	s_or_b32 exec_lo, exec_lo, s23
.LBB411_623:                            ;   in Loop: Header=BB411_13 Depth=1
	s_delay_alu instid0(SALU_CYCLE_1)
	s_or_b32 exec_lo, exec_lo, s22
.LBB411_624:                            ;   in Loop: Header=BB411_13 Depth=1
	s_delay_alu instid0(SALU_CYCLE_1) | instskip(NEXT) | instid1(VALU_DEP_1)
	s_or_b32 exec_lo, exec_lo, s21
	v_mul_f32_e32 v28, v133, v28
	s_delay_alu instid0(VALU_DEP_1) | instskip(NEXT) | instid1(VALU_DEP_1)
	v_and_b32_e32 v88, 0x7f800000, v28
	v_cmp_ne_u32_e64 s3, 0x7f800000, v88
                                        ; implicit-def: $vgpr88
	s_delay_alu instid0(VALU_DEP_1) | instskip(NEXT) | instid1(SALU_CYCLE_1)
	s_and_saveexec_b32 s21, s3
	s_xor_b32 s3, exec_lo, s21
; %bb.625:                              ;   in Loop: Header=BB411_13 Depth=1
	v_bfe_u32 v88, v28, 16, 1
	s_delay_alu instid0(VALU_DEP_1)
	v_add3_u32 v88, v28, v88, 0x7fff
                                        ; implicit-def: $vgpr28
; %bb.626:                              ;   in Loop: Header=BB411_13 Depth=1
	s_and_not1_saveexec_b32 s21, s3
; %bb.627:                              ;   in Loop: Header=BB411_13 Depth=1
	v_and_b32_e32 v88, 0xffff, v28
	v_or_b32_e32 v90, 0x10000, v28
	s_delay_alu instid0(VALU_DEP_2) | instskip(NEXT) | instid1(VALU_DEP_1)
	v_cmp_eq_u32_e64 s3, 0, v88
	v_cndmask_b32_e64 v88, v90, v28, s3
; %bb.628:                              ;   in Loop: Header=BB411_13 Depth=1
	s_or_b32 exec_lo, exec_lo, s21
	v_mov_b32_e32 v28, 0
	s_mov_b32 s21, exec_lo
	v_cmpx_lt_u32_e32 0xffffff, v89
	s_cbranch_execz .LBB411_636
; %bb.629:                              ;   in Loop: Header=BB411_13 Depth=1
	v_lshrrev_b32_e32 v90, 24, v89
	v_bfrev_b32_e32 v28, 1
	s_mov_b32 s22, exec_lo
	s_delay_alu instid0(VALU_DEP_2)
	v_cmpx_ne_u32_e32 0x80, v90
	s_cbranch_execz .LBB411_635
; %bb.630:                              ;   in Loop: Header=BB411_13 Depth=1
	v_bfe_u32 v91, v89, 24, 7
	v_mov_b32_e32 v28, 0x7f800001
	s_mov_b32 s23, exec_lo
	s_delay_alu instid0(VALU_DEP_2)
	v_cmpx_ne_u32_e32 0x7f, v91
	s_cbranch_execz .LBB411_634
; %bb.631:                              ;   in Loop: Header=BB411_13 Depth=1
	v_and_b32_e32 v28, 7, v90
	v_lshrrev_b32_e32 v89, 3, v91
	s_mov_b32 s24, exec_lo
	v_cmpx_gt_u32_e32 8, v91
; %bb.632:                              ;   in Loop: Header=BB411_13 Depth=1
	s_delay_alu instid0(VALU_DEP_3) | instskip(NEXT) | instid1(VALU_DEP_1)
	v_clz_i32_u32_e32 v89, v28
	v_min_u32_e32 v89, 32, v89
	s_delay_alu instid0(VALU_DEP_1) | instskip(SKIP_1) | instid1(VALU_DEP_2)
	v_subrev_nc_u32_e32 v91, 28, v89
	v_sub_nc_u32_e32 v89, 29, v89
	v_lshlrev_b64 v[91:92], v91, v[28:29]
	s_delay_alu instid0(VALU_DEP_1)
	v_and_b32_e32 v28, 7, v91
; %bb.633:                              ;   in Loop: Header=BB411_13 Depth=1
	s_or_b32 exec_lo, exec_lo, s24
	v_lshlrev_b32_e32 v90, 24, v90
	s_delay_alu instid0(VALU_DEP_2) | instskip(SKIP_1) | instid1(VALU_DEP_3)
	v_lshlrev_b32_e32 v28, 20, v28
	v_lshl_add_u32 v89, v89, 23, 0x3c000000
	v_and_b32_e32 v90, 0x80000000, v90
	s_delay_alu instid0(VALU_DEP_1)
	v_or3_b32 v28, v28, v90, v89
.LBB411_634:                            ;   in Loop: Header=BB411_13 Depth=1
	s_or_b32 exec_lo, exec_lo, s23
.LBB411_635:                            ;   in Loop: Header=BB411_13 Depth=1
	s_delay_alu instid0(SALU_CYCLE_1)
	s_or_b32 exec_lo, exec_lo, s22
.LBB411_636:                            ;   in Loop: Header=BB411_13 Depth=1
	s_delay_alu instid0(SALU_CYCLE_1) | instskip(NEXT) | instid1(VALU_DEP_1)
	s_or_b32 exec_lo, exec_lo, s21
	v_mul_f32_e32 v28, v133, v28
	s_delay_alu instid0(VALU_DEP_1) | instskip(NEXT) | instid1(VALU_DEP_1)
	v_and_b32_e32 v89, 0x7f800000, v28
	v_cmp_ne_u32_e64 s3, 0x7f800000, v89
                                        ; implicit-def: $vgpr89
	s_delay_alu instid0(VALU_DEP_1) | instskip(NEXT) | instid1(SALU_CYCLE_1)
	s_and_saveexec_b32 s21, s3
	s_xor_b32 s3, exec_lo, s21
; %bb.637:                              ;   in Loop: Header=BB411_13 Depth=1
	v_bfe_u32 v89, v28, 16, 1
	s_delay_alu instid0(VALU_DEP_1)
	v_add3_u32 v89, v28, v89, 0x7fff
                                        ; implicit-def: $vgpr28
; %bb.638:                              ;   in Loop: Header=BB411_13 Depth=1
	s_and_not1_saveexec_b32 s21, s3
; %bb.639:                              ;   in Loop: Header=BB411_13 Depth=1
	v_and_b32_e32 v89, 0xffff, v28
	v_or_b32_e32 v90, 0x10000, v28
	s_delay_alu instid0(VALU_DEP_2) | instskip(NEXT) | instid1(VALU_DEP_1)
	v_cmp_eq_u32_e64 s3, 0, v89
	v_cndmask_b32_e64 v89, v90, v28, s3
; %bb.640:                              ;   in Loop: Header=BB411_13 Depth=1
	s_or_b32 exec_lo, exec_lo, s21
	flat_load_b32 v93, v[80:81] offset:1544
	v_mov_b32_e32 v28, 0
	s_mov_b32 s21, exec_lo
	s_waitcnt vmcnt(0) lgkmcnt(0)
	v_and_b32_e32 v90, 0xff, v93
	s_delay_alu instid0(VALU_DEP_1)
	v_cmpx_ne_u16_e32 0, v90
	s_cbranch_execz .LBB411_648
; %bb.641:                              ;   in Loop: Header=BB411_13 Depth=1
	v_bfrev_b32_e32 v28, 1
	s_mov_b32 s22, exec_lo
	v_cmpx_ne_u16_e32 0x80, v90
	s_cbranch_execz .LBB411_647
; %bb.642:                              ;   in Loop: Header=BB411_13 Depth=1
	v_and_b32_e32 v91, 0x7f, v93
	v_mov_b32_e32 v28, 0x7f800001
	s_mov_b32 s23, exec_lo
	s_delay_alu instid0(VALU_DEP_2)
	v_cmpx_ne_u32_e32 0x7f, v91
	s_cbranch_execz .LBB411_646
; %bb.643:                              ;   in Loop: Header=BB411_13 Depth=1
	v_and_b32_e32 v28, 7, v93
	v_lshrrev_b32_e32 v90, 3, v91
	s_mov_b32 s24, exec_lo
	v_cmpx_gt_u32_e32 8, v91
; %bb.644:                              ;   in Loop: Header=BB411_13 Depth=1
	s_delay_alu instid0(VALU_DEP_3) | instskip(NEXT) | instid1(VALU_DEP_1)
	v_clz_i32_u32_e32 v90, v28
	v_min_u32_e32 v90, 32, v90
	s_delay_alu instid0(VALU_DEP_1) | instskip(SKIP_1) | instid1(VALU_DEP_2)
	v_subrev_nc_u32_e32 v91, 28, v90
	v_sub_nc_u32_e32 v90, 29, v90
	v_lshlrev_b64 v[91:92], v91, v[28:29]
	s_delay_alu instid0(VALU_DEP_1)
	v_and_b32_e32 v28, 7, v91
; %bb.645:                              ;   in Loop: Header=BB411_13 Depth=1
	s_or_b32 exec_lo, exec_lo, s24
	v_lshlrev_b32_e32 v91, 24, v93
	s_delay_alu instid0(VALU_DEP_2) | instskip(SKIP_1) | instid1(VALU_DEP_3)
	v_lshlrev_b32_e32 v28, 20, v28
	v_lshl_add_u32 v90, v90, 23, 0x3c000000
	v_and_b32_e32 v91, 0x80000000, v91
	s_delay_alu instid0(VALU_DEP_1)
	v_or3_b32 v28, v28, v91, v90
.LBB411_646:                            ;   in Loop: Header=BB411_13 Depth=1
	s_or_b32 exec_lo, exec_lo, s23
.LBB411_647:                            ;   in Loop: Header=BB411_13 Depth=1
	s_delay_alu instid0(SALU_CYCLE_1)
	s_or_b32 exec_lo, exec_lo, s22
.LBB411_648:                            ;   in Loop: Header=BB411_13 Depth=1
	s_delay_alu instid0(SALU_CYCLE_1) | instskip(NEXT) | instid1(VALU_DEP_1)
	s_or_b32 exec_lo, exec_lo, s21
	v_mul_f32_e32 v28, v133, v28
	s_delay_alu instid0(VALU_DEP_1) | instskip(NEXT) | instid1(VALU_DEP_1)
	v_and_b32_e32 v90, 0x7f800000, v28
	v_cmp_ne_u32_e64 s3, 0x7f800000, v90
                                        ; implicit-def: $vgpr90
	s_delay_alu instid0(VALU_DEP_1) | instskip(NEXT) | instid1(SALU_CYCLE_1)
	s_and_saveexec_b32 s21, s3
	s_xor_b32 s3, exec_lo, s21
; %bb.649:                              ;   in Loop: Header=BB411_13 Depth=1
	v_bfe_u32 v90, v28, 16, 1
	s_delay_alu instid0(VALU_DEP_1)
	v_add3_u32 v90, v28, v90, 0x7fff
                                        ; implicit-def: $vgpr28
; %bb.650:                              ;   in Loop: Header=BB411_13 Depth=1
	s_and_not1_saveexec_b32 s21, s3
; %bb.651:                              ;   in Loop: Header=BB411_13 Depth=1
	v_and_b32_e32 v90, 0xffff, v28
	v_or_b32_e32 v91, 0x10000, v28
	s_delay_alu instid0(VALU_DEP_2) | instskip(NEXT) | instid1(VALU_DEP_1)
	v_cmp_eq_u32_e64 s3, 0, v90
	v_cndmask_b32_e64 v90, v91, v28, s3
; %bb.652:                              ;   in Loop: Header=BB411_13 Depth=1
	s_or_b32 exec_lo, exec_lo, s21
	v_lshrrev_b16 v91, 8, v93
	v_mov_b32_e32 v28, 0
	s_mov_b32 s21, exec_lo
	s_delay_alu instid0(VALU_DEP_2)
	v_cmpx_ne_u16_e32 0, v91
	s_cbranch_execz .LBB411_660
; %bb.653:                              ;   in Loop: Header=BB411_13 Depth=1
	v_bfrev_b32_e32 v28, 1
	s_mov_b32 s22, exec_lo
	v_cmpx_ne_u16_e32 0x80, v91
	s_cbranch_execz .LBB411_659
; %bb.654:                              ;   in Loop: Header=BB411_13 Depth=1
	v_and_b32_e32 v91, 0xffff, v91
	v_mov_b32_e32 v28, 0x7f800001
	s_mov_b32 s23, exec_lo
	s_delay_alu instid0(VALU_DEP_2) | instskip(NEXT) | instid1(VALU_DEP_1)
	v_and_b32_e32 v92, 0x7f, v91
	v_cmpx_ne_u32_e32 0x7f, v92
	s_cbranch_execz .LBB411_658
; %bb.655:                              ;   in Loop: Header=BB411_13 Depth=1
	v_and_b32_e32 v28, 7, v91
	v_lshrrev_b32_e32 v91, 3, v92
	s_mov_b32 s24, exec_lo
	v_cmpx_gt_u32_e32 8, v92
; %bb.656:                              ;   in Loop: Header=BB411_13 Depth=1
	s_delay_alu instid0(VALU_DEP_3) | instskip(NEXT) | instid1(VALU_DEP_1)
	v_clz_i32_u32_e32 v91, v28
	v_min_u32_e32 v91, 32, v91
	s_delay_alu instid0(VALU_DEP_1) | instskip(SKIP_1) | instid1(VALU_DEP_2)
	v_subrev_nc_u32_e32 v92, 28, v91
	v_sub_nc_u32_e32 v91, 29, v91
	v_lshlrev_b64 v[94:95], v92, v[28:29]
	s_delay_alu instid0(VALU_DEP_1)
	v_and_b32_e32 v28, 7, v94
; %bb.657:                              ;   in Loop: Header=BB411_13 Depth=1
	s_or_b32 exec_lo, exec_lo, s24
	v_lshlrev_b32_e32 v92, 16, v93
	s_delay_alu instid0(VALU_DEP_2) | instskip(SKIP_1) | instid1(VALU_DEP_3)
	v_lshlrev_b32_e32 v28, 20, v28
	v_lshl_add_u32 v91, v91, 23, 0x3c000000
	v_and_b32_e32 v92, 0x80000000, v92
	s_delay_alu instid0(VALU_DEP_1)
	v_or3_b32 v28, v28, v92, v91
.LBB411_658:                            ;   in Loop: Header=BB411_13 Depth=1
	s_or_b32 exec_lo, exec_lo, s23
.LBB411_659:                            ;   in Loop: Header=BB411_13 Depth=1
	s_delay_alu instid0(SALU_CYCLE_1)
	s_or_b32 exec_lo, exec_lo, s22
.LBB411_660:                            ;   in Loop: Header=BB411_13 Depth=1
	s_delay_alu instid0(SALU_CYCLE_1) | instskip(NEXT) | instid1(VALU_DEP_1)
	s_or_b32 exec_lo, exec_lo, s21
	v_mul_f32_e32 v28, v133, v28
	s_delay_alu instid0(VALU_DEP_1) | instskip(NEXT) | instid1(VALU_DEP_1)
	v_and_b32_e32 v91, 0x7f800000, v28
	v_cmp_ne_u32_e64 s3, 0x7f800000, v91
                                        ; implicit-def: $vgpr91
	s_delay_alu instid0(VALU_DEP_1) | instskip(NEXT) | instid1(SALU_CYCLE_1)
	s_and_saveexec_b32 s21, s3
	s_xor_b32 s3, exec_lo, s21
; %bb.661:                              ;   in Loop: Header=BB411_13 Depth=1
	v_bfe_u32 v91, v28, 16, 1
	s_delay_alu instid0(VALU_DEP_1)
	v_add3_u32 v91, v28, v91, 0x7fff
                                        ; implicit-def: $vgpr28
; %bb.662:                              ;   in Loop: Header=BB411_13 Depth=1
	s_and_not1_saveexec_b32 s21, s3
; %bb.663:                              ;   in Loop: Header=BB411_13 Depth=1
	v_and_b32_e32 v91, 0xffff, v28
	v_or_b32_e32 v92, 0x10000, v28
	s_delay_alu instid0(VALU_DEP_2) | instskip(NEXT) | instid1(VALU_DEP_1)
	v_cmp_eq_u32_e64 s3, 0, v91
	v_cndmask_b32_e64 v91, v92, v28, s3
; %bb.664:                              ;   in Loop: Header=BB411_13 Depth=1
	s_or_b32 exec_lo, exec_lo, s21
	v_lshrrev_b32_e32 v92, 16, v93
	v_mov_b32_e32 v28, 0
	s_mov_b32 s21, exec_lo
	s_delay_alu instid0(VALU_DEP_2) | instskip(NEXT) | instid1(VALU_DEP_1)
	v_and_b32_e32 v94, 0xff, v92
	v_cmpx_ne_u16_e32 0, v94
	s_cbranch_execz .LBB411_672
; %bb.665:                              ;   in Loop: Header=BB411_13 Depth=1
	v_bfrev_b32_e32 v28, 1
	s_mov_b32 s22, exec_lo
	v_cmpx_ne_u16_e32 0x80, v94
	s_cbranch_execz .LBB411_671
; %bb.666:                              ;   in Loop: Header=BB411_13 Depth=1
	v_bfe_u32 v95, v93, 16, 7
	v_mov_b32_e32 v28, 0x7f800001
	s_mov_b32 s23, exec_lo
	s_delay_alu instid0(VALU_DEP_2)
	v_cmpx_ne_u32_e32 0x7f, v95
	s_cbranch_execz .LBB411_670
; %bb.667:                              ;   in Loop: Header=BB411_13 Depth=1
	v_and_b32_e32 v28, 7, v92
	v_lshrrev_b32_e32 v94, 3, v95
	s_mov_b32 s24, exec_lo
	v_cmpx_gt_u32_e32 8, v95
; %bb.668:                              ;   in Loop: Header=BB411_13 Depth=1
	s_delay_alu instid0(VALU_DEP_3) | instskip(NEXT) | instid1(VALU_DEP_1)
	v_clz_i32_u32_e32 v94, v28
	v_min_u32_e32 v94, 32, v94
	s_delay_alu instid0(VALU_DEP_1) | instskip(SKIP_1) | instid1(VALU_DEP_2)
	v_subrev_nc_u32_e32 v95, 28, v94
	v_sub_nc_u32_e32 v94, 29, v94
	v_lshlrev_b64 v[104:105], v95, v[28:29]
	s_delay_alu instid0(VALU_DEP_1)
	v_and_b32_e32 v28, 7, v104
; %bb.669:                              ;   in Loop: Header=BB411_13 Depth=1
	s_or_b32 exec_lo, exec_lo, s24
	v_lshlrev_b32_e32 v92, 24, v92
	s_delay_alu instid0(VALU_DEP_2) | instskip(SKIP_1) | instid1(VALU_DEP_3)
	v_lshlrev_b32_e32 v28, 20, v28
	v_lshl_add_u32 v94, v94, 23, 0x3c000000
	v_and_b32_e32 v92, 0x80000000, v92
	s_delay_alu instid0(VALU_DEP_1)
	v_or3_b32 v28, v28, v92, v94
.LBB411_670:                            ;   in Loop: Header=BB411_13 Depth=1
	s_or_b32 exec_lo, exec_lo, s23
.LBB411_671:                            ;   in Loop: Header=BB411_13 Depth=1
	s_delay_alu instid0(SALU_CYCLE_1)
	s_or_b32 exec_lo, exec_lo, s22
.LBB411_672:                            ;   in Loop: Header=BB411_13 Depth=1
	s_delay_alu instid0(SALU_CYCLE_1) | instskip(NEXT) | instid1(VALU_DEP_1)
	s_or_b32 exec_lo, exec_lo, s21
	v_mul_f32_e32 v28, v133, v28
	s_delay_alu instid0(VALU_DEP_1) | instskip(NEXT) | instid1(VALU_DEP_1)
	v_and_b32_e32 v92, 0x7f800000, v28
	v_cmp_ne_u32_e64 s3, 0x7f800000, v92
                                        ; implicit-def: $vgpr92
	s_delay_alu instid0(VALU_DEP_1) | instskip(NEXT) | instid1(SALU_CYCLE_1)
	s_and_saveexec_b32 s21, s3
	s_xor_b32 s3, exec_lo, s21
; %bb.673:                              ;   in Loop: Header=BB411_13 Depth=1
	v_bfe_u32 v92, v28, 16, 1
	s_delay_alu instid0(VALU_DEP_1)
	v_add3_u32 v92, v28, v92, 0x7fff
                                        ; implicit-def: $vgpr28
; %bb.674:                              ;   in Loop: Header=BB411_13 Depth=1
	s_and_not1_saveexec_b32 s21, s3
; %bb.675:                              ;   in Loop: Header=BB411_13 Depth=1
	v_and_b32_e32 v92, 0xffff, v28
	v_or_b32_e32 v94, 0x10000, v28
	s_delay_alu instid0(VALU_DEP_2) | instskip(NEXT) | instid1(VALU_DEP_1)
	v_cmp_eq_u32_e64 s3, 0, v92
	v_cndmask_b32_e64 v92, v94, v28, s3
; %bb.676:                              ;   in Loop: Header=BB411_13 Depth=1
	s_or_b32 exec_lo, exec_lo, s21
	v_mov_b32_e32 v28, 0
	s_mov_b32 s21, exec_lo
	v_cmpx_lt_u32_e32 0xffffff, v93
	s_cbranch_execz .LBB411_684
; %bb.677:                              ;   in Loop: Header=BB411_13 Depth=1
	v_lshrrev_b32_e32 v94, 24, v93
	v_bfrev_b32_e32 v28, 1
	s_mov_b32 s22, exec_lo
	s_delay_alu instid0(VALU_DEP_2)
	v_cmpx_ne_u32_e32 0x80, v94
	s_cbranch_execz .LBB411_683
; %bb.678:                              ;   in Loop: Header=BB411_13 Depth=1
	v_bfe_u32 v95, v93, 24, 7
	v_mov_b32_e32 v28, 0x7f800001
	s_mov_b32 s23, exec_lo
	s_delay_alu instid0(VALU_DEP_2)
	v_cmpx_ne_u32_e32 0x7f, v95
	s_cbranch_execz .LBB411_682
; %bb.679:                              ;   in Loop: Header=BB411_13 Depth=1
	v_and_b32_e32 v28, 7, v94
	v_lshrrev_b32_e32 v93, 3, v95
	s_mov_b32 s24, exec_lo
	v_cmpx_gt_u32_e32 8, v95
; %bb.680:                              ;   in Loop: Header=BB411_13 Depth=1
	s_delay_alu instid0(VALU_DEP_3) | instskip(NEXT) | instid1(VALU_DEP_1)
	v_clz_i32_u32_e32 v93, v28
	v_min_u32_e32 v93, 32, v93
	s_delay_alu instid0(VALU_DEP_1) | instskip(SKIP_1) | instid1(VALU_DEP_2)
	v_subrev_nc_u32_e32 v95, 28, v93
	v_sub_nc_u32_e32 v93, 29, v93
	v_lshlrev_b64 v[104:105], v95, v[28:29]
	s_delay_alu instid0(VALU_DEP_1)
	v_and_b32_e32 v28, 7, v104
; %bb.681:                              ;   in Loop: Header=BB411_13 Depth=1
	s_or_b32 exec_lo, exec_lo, s24
	v_lshlrev_b32_e32 v94, 24, v94
	s_delay_alu instid0(VALU_DEP_2) | instskip(SKIP_1) | instid1(VALU_DEP_3)
	v_lshlrev_b32_e32 v28, 20, v28
	v_lshl_add_u32 v93, v93, 23, 0x3c000000
	v_and_b32_e32 v94, 0x80000000, v94
	s_delay_alu instid0(VALU_DEP_1)
	v_or3_b32 v28, v28, v94, v93
.LBB411_682:                            ;   in Loop: Header=BB411_13 Depth=1
	s_or_b32 exec_lo, exec_lo, s23
.LBB411_683:                            ;   in Loop: Header=BB411_13 Depth=1
	s_delay_alu instid0(SALU_CYCLE_1)
	s_or_b32 exec_lo, exec_lo, s22
.LBB411_684:                            ;   in Loop: Header=BB411_13 Depth=1
	s_delay_alu instid0(SALU_CYCLE_1) | instskip(NEXT) | instid1(VALU_DEP_1)
	s_or_b32 exec_lo, exec_lo, s21
	v_mul_f32_e32 v28, v133, v28
	s_delay_alu instid0(VALU_DEP_1) | instskip(NEXT) | instid1(VALU_DEP_1)
	v_and_b32_e32 v93, 0x7f800000, v28
	v_cmp_ne_u32_e64 s3, 0x7f800000, v93
                                        ; implicit-def: $vgpr93
	s_delay_alu instid0(VALU_DEP_1) | instskip(NEXT) | instid1(SALU_CYCLE_1)
	s_and_saveexec_b32 s21, s3
	s_xor_b32 s3, exec_lo, s21
; %bb.685:                              ;   in Loop: Header=BB411_13 Depth=1
	v_bfe_u32 v93, v28, 16, 1
	s_delay_alu instid0(VALU_DEP_1)
	v_add3_u32 v93, v28, v93, 0x7fff
                                        ; implicit-def: $vgpr28
; %bb.686:                              ;   in Loop: Header=BB411_13 Depth=1
	s_and_not1_saveexec_b32 s21, s3
; %bb.687:                              ;   in Loop: Header=BB411_13 Depth=1
	v_and_b32_e32 v93, 0xffff, v28
	v_or_b32_e32 v94, 0x10000, v28
	s_delay_alu instid0(VALU_DEP_2) | instskip(NEXT) | instid1(VALU_DEP_1)
	v_cmp_eq_u32_e64 s3, 0, v93
	v_cndmask_b32_e64 v93, v94, v28, s3
; %bb.688:                              ;   in Loop: Header=BB411_13 Depth=1
	s_or_b32 exec_lo, exec_lo, s21
	flat_load_b32 v105, v[80:81] offset:1792
	v_mov_b32_e32 v28, 0
	s_mov_b32 s21, exec_lo
	s_waitcnt vmcnt(0) lgkmcnt(0)
	v_and_b32_e32 v94, 0xff, v105
	s_delay_alu instid0(VALU_DEP_1)
	v_cmpx_ne_u16_e32 0, v94
	s_cbranch_execz .LBB411_696
; %bb.689:                              ;   in Loop: Header=BB411_13 Depth=1
	v_bfrev_b32_e32 v28, 1
	s_mov_b32 s22, exec_lo
	v_cmpx_ne_u16_e32 0x80, v94
	s_cbranch_execz .LBB411_695
; %bb.690:                              ;   in Loop: Header=BB411_13 Depth=1
	v_and_b32_e32 v95, 0x7f, v105
	v_mov_b32_e32 v28, 0x7f800001
	s_mov_b32 s23, exec_lo
	s_delay_alu instid0(VALU_DEP_2)
	v_cmpx_ne_u32_e32 0x7f, v95
	s_cbranch_execz .LBB411_694
; %bb.691:                              ;   in Loop: Header=BB411_13 Depth=1
	v_and_b32_e32 v28, 7, v105
	v_lshrrev_b32_e32 v94, 3, v95
	s_mov_b32 s24, exec_lo
	v_cmpx_gt_u32_e32 8, v95
; %bb.692:                              ;   in Loop: Header=BB411_13 Depth=1
	s_delay_alu instid0(VALU_DEP_3) | instskip(NEXT) | instid1(VALU_DEP_1)
	v_clz_i32_u32_e32 v94, v28
	v_min_u32_e32 v94, 32, v94
	s_delay_alu instid0(VALU_DEP_1) | instskip(SKIP_1) | instid1(VALU_DEP_2)
	v_subrev_nc_u32_e32 v95, 28, v94
	v_sub_nc_u32_e32 v94, 29, v94
	v_lshlrev_b64 v[106:107], v95, v[28:29]
	s_delay_alu instid0(VALU_DEP_1)
	v_and_b32_e32 v28, 7, v106
; %bb.693:                              ;   in Loop: Header=BB411_13 Depth=1
	s_or_b32 exec_lo, exec_lo, s24
	v_lshlrev_b32_e32 v95, 24, v105
	s_delay_alu instid0(VALU_DEP_2) | instskip(SKIP_1) | instid1(VALU_DEP_3)
	v_lshlrev_b32_e32 v28, 20, v28
	v_lshl_add_u32 v94, v94, 23, 0x3c000000
	v_and_b32_e32 v95, 0x80000000, v95
	s_delay_alu instid0(VALU_DEP_1)
	v_or3_b32 v28, v28, v95, v94
.LBB411_694:                            ;   in Loop: Header=BB411_13 Depth=1
	s_or_b32 exec_lo, exec_lo, s23
.LBB411_695:                            ;   in Loop: Header=BB411_13 Depth=1
	s_delay_alu instid0(SALU_CYCLE_1)
	s_or_b32 exec_lo, exec_lo, s22
.LBB411_696:                            ;   in Loop: Header=BB411_13 Depth=1
	s_delay_alu instid0(SALU_CYCLE_1) | instskip(NEXT) | instid1(VALU_DEP_1)
	s_or_b32 exec_lo, exec_lo, s21
	v_mul_f32_e32 v28, v133, v28
	s_delay_alu instid0(VALU_DEP_1) | instskip(NEXT) | instid1(VALU_DEP_1)
	v_and_b32_e32 v94, 0x7f800000, v28
	v_cmp_ne_u32_e64 s3, 0x7f800000, v94
                                        ; implicit-def: $vgpr94
	s_delay_alu instid0(VALU_DEP_1) | instskip(NEXT) | instid1(SALU_CYCLE_1)
	s_and_saveexec_b32 s21, s3
	s_xor_b32 s3, exec_lo, s21
; %bb.697:                              ;   in Loop: Header=BB411_13 Depth=1
	v_bfe_u32 v94, v28, 16, 1
	s_delay_alu instid0(VALU_DEP_1)
	v_add3_u32 v94, v28, v94, 0x7fff
                                        ; implicit-def: $vgpr28
; %bb.698:                              ;   in Loop: Header=BB411_13 Depth=1
	s_and_not1_saveexec_b32 s21, s3
; %bb.699:                              ;   in Loop: Header=BB411_13 Depth=1
	v_and_b32_e32 v94, 0xffff, v28
	v_or_b32_e32 v95, 0x10000, v28
	s_delay_alu instid0(VALU_DEP_2) | instskip(NEXT) | instid1(VALU_DEP_1)
	v_cmp_eq_u32_e64 s3, 0, v94
	v_cndmask_b32_e64 v94, v95, v28, s3
; %bb.700:                              ;   in Loop: Header=BB411_13 Depth=1
	s_or_b32 exec_lo, exec_lo, s21
	v_lshrrev_b16 v95, 8, v105
	v_mov_b32_e32 v28, 0
	s_mov_b32 s21, exec_lo
	s_delay_alu instid0(VALU_DEP_2)
	v_cmpx_ne_u16_e32 0, v95
	s_cbranch_execz .LBB411_708
; %bb.701:                              ;   in Loop: Header=BB411_13 Depth=1
	v_bfrev_b32_e32 v28, 1
	s_mov_b32 s22, exec_lo
	v_cmpx_ne_u16_e32 0x80, v95
	s_cbranch_execz .LBB411_707
; %bb.702:                              ;   in Loop: Header=BB411_13 Depth=1
	v_and_b32_e32 v95, 0xffff, v95
	v_mov_b32_e32 v28, 0x7f800001
	s_mov_b32 s23, exec_lo
	s_delay_alu instid0(VALU_DEP_2) | instskip(NEXT) | instid1(VALU_DEP_1)
	v_and_b32_e32 v104, 0x7f, v95
	v_cmpx_ne_u32_e32 0x7f, v104
	s_cbranch_execz .LBB411_706
; %bb.703:                              ;   in Loop: Header=BB411_13 Depth=1
	v_and_b32_e32 v28, 7, v95
	v_lshrrev_b32_e32 v95, 3, v104
	s_mov_b32 s24, exec_lo
	v_cmpx_gt_u32_e32 8, v104
; %bb.704:                              ;   in Loop: Header=BB411_13 Depth=1
	s_delay_alu instid0(VALU_DEP_3) | instskip(NEXT) | instid1(VALU_DEP_1)
	v_clz_i32_u32_e32 v95, v28
	v_min_u32_e32 v95, 32, v95
	s_delay_alu instid0(VALU_DEP_1) | instskip(SKIP_1) | instid1(VALU_DEP_2)
	v_subrev_nc_u32_e32 v104, 28, v95
	v_sub_nc_u32_e32 v95, 29, v95
	v_lshlrev_b64 v[106:107], v104, v[28:29]
	s_delay_alu instid0(VALU_DEP_1)
	v_and_b32_e32 v28, 7, v106
; %bb.705:                              ;   in Loop: Header=BB411_13 Depth=1
	s_or_b32 exec_lo, exec_lo, s24
	v_lshlrev_b32_e32 v104, 16, v105
	s_delay_alu instid0(VALU_DEP_2) | instskip(SKIP_1) | instid1(VALU_DEP_3)
	v_lshlrev_b32_e32 v28, 20, v28
	v_lshl_add_u32 v95, v95, 23, 0x3c000000
	v_and_b32_e32 v104, 0x80000000, v104
	s_delay_alu instid0(VALU_DEP_1)
	v_or3_b32 v28, v28, v104, v95
.LBB411_706:                            ;   in Loop: Header=BB411_13 Depth=1
	s_or_b32 exec_lo, exec_lo, s23
.LBB411_707:                            ;   in Loop: Header=BB411_13 Depth=1
	s_delay_alu instid0(SALU_CYCLE_1)
	s_or_b32 exec_lo, exec_lo, s22
.LBB411_708:                            ;   in Loop: Header=BB411_13 Depth=1
	s_delay_alu instid0(SALU_CYCLE_1) | instskip(NEXT) | instid1(VALU_DEP_1)
	s_or_b32 exec_lo, exec_lo, s21
	v_mul_f32_e32 v28, v133, v28
	s_delay_alu instid0(VALU_DEP_1) | instskip(NEXT) | instid1(VALU_DEP_1)
	v_and_b32_e32 v95, 0x7f800000, v28
	v_cmp_ne_u32_e64 s3, 0x7f800000, v95
                                        ; implicit-def: $vgpr95
	s_delay_alu instid0(VALU_DEP_1) | instskip(NEXT) | instid1(SALU_CYCLE_1)
	s_and_saveexec_b32 s21, s3
	s_xor_b32 s3, exec_lo, s21
; %bb.709:                              ;   in Loop: Header=BB411_13 Depth=1
	v_bfe_u32 v95, v28, 16, 1
	s_delay_alu instid0(VALU_DEP_1)
	v_add3_u32 v95, v28, v95, 0x7fff
                                        ; implicit-def: $vgpr28
; %bb.710:                              ;   in Loop: Header=BB411_13 Depth=1
	s_and_not1_saveexec_b32 s21, s3
; %bb.711:                              ;   in Loop: Header=BB411_13 Depth=1
	v_and_b32_e32 v95, 0xffff, v28
	v_or_b32_e32 v104, 0x10000, v28
	s_delay_alu instid0(VALU_DEP_2) | instskip(NEXT) | instid1(VALU_DEP_1)
	v_cmp_eq_u32_e64 s3, 0, v95
	v_cndmask_b32_e64 v95, v104, v28, s3
; %bb.712:                              ;   in Loop: Header=BB411_13 Depth=1
	s_or_b32 exec_lo, exec_lo, s21
	v_lshrrev_b32_e32 v104, 16, v105
	v_mov_b32_e32 v28, 0
	s_mov_b32 s21, exec_lo
	s_delay_alu instid0(VALU_DEP_2) | instskip(NEXT) | instid1(VALU_DEP_1)
	v_and_b32_e32 v106, 0xff, v104
	v_cmpx_ne_u16_e32 0, v106
	s_cbranch_execz .LBB411_720
; %bb.713:                              ;   in Loop: Header=BB411_13 Depth=1
	v_bfrev_b32_e32 v28, 1
	s_mov_b32 s22, exec_lo
	v_cmpx_ne_u16_e32 0x80, v106
	s_cbranch_execz .LBB411_719
; %bb.714:                              ;   in Loop: Header=BB411_13 Depth=1
	v_bfe_u32 v107, v105, 16, 7
	v_mov_b32_e32 v28, 0x7f800001
	s_mov_b32 s23, exec_lo
	s_delay_alu instid0(VALU_DEP_2)
	v_cmpx_ne_u32_e32 0x7f, v107
	s_cbranch_execz .LBB411_718
; %bb.715:                              ;   in Loop: Header=BB411_13 Depth=1
	v_and_b32_e32 v28, 7, v104
	v_lshrrev_b32_e32 v106, 3, v107
	s_mov_b32 s24, exec_lo
	v_cmpx_gt_u32_e32 8, v107
; %bb.716:                              ;   in Loop: Header=BB411_13 Depth=1
	s_delay_alu instid0(VALU_DEP_3) | instskip(NEXT) | instid1(VALU_DEP_1)
	v_clz_i32_u32_e32 v106, v28
	v_min_u32_e32 v106, 32, v106
	s_delay_alu instid0(VALU_DEP_1) | instskip(SKIP_1) | instid1(VALU_DEP_2)
	v_subrev_nc_u32_e32 v107, 28, v106
	v_sub_nc_u32_e32 v106, 29, v106
	v_lshlrev_b64 v[107:108], v107, v[28:29]
	s_delay_alu instid0(VALU_DEP_1)
	v_and_b32_e32 v28, 7, v107
; %bb.717:                              ;   in Loop: Header=BB411_13 Depth=1
	s_or_b32 exec_lo, exec_lo, s24
	v_lshlrev_b32_e32 v104, 24, v104
	s_delay_alu instid0(VALU_DEP_2) | instskip(SKIP_1) | instid1(VALU_DEP_3)
	v_lshlrev_b32_e32 v28, 20, v28
	v_lshl_add_u32 v106, v106, 23, 0x3c000000
	v_and_b32_e32 v104, 0x80000000, v104
	s_delay_alu instid0(VALU_DEP_1)
	v_or3_b32 v28, v28, v104, v106
.LBB411_718:                            ;   in Loop: Header=BB411_13 Depth=1
	s_or_b32 exec_lo, exec_lo, s23
.LBB411_719:                            ;   in Loop: Header=BB411_13 Depth=1
	s_delay_alu instid0(SALU_CYCLE_1)
	s_or_b32 exec_lo, exec_lo, s22
.LBB411_720:                            ;   in Loop: Header=BB411_13 Depth=1
	s_delay_alu instid0(SALU_CYCLE_1) | instskip(NEXT) | instid1(VALU_DEP_1)
	s_or_b32 exec_lo, exec_lo, s21
	v_mul_f32_e32 v28, v133, v28
	s_delay_alu instid0(VALU_DEP_1) | instskip(NEXT) | instid1(VALU_DEP_1)
	v_and_b32_e32 v104, 0x7f800000, v28
	v_cmp_ne_u32_e64 s3, 0x7f800000, v104
                                        ; implicit-def: $vgpr104
	s_delay_alu instid0(VALU_DEP_1) | instskip(NEXT) | instid1(SALU_CYCLE_1)
	s_and_saveexec_b32 s21, s3
	s_xor_b32 s3, exec_lo, s21
; %bb.721:                              ;   in Loop: Header=BB411_13 Depth=1
	v_bfe_u32 v104, v28, 16, 1
	s_delay_alu instid0(VALU_DEP_1)
	v_add3_u32 v104, v28, v104, 0x7fff
                                        ; implicit-def: $vgpr28
; %bb.722:                              ;   in Loop: Header=BB411_13 Depth=1
	s_and_not1_saveexec_b32 s21, s3
; %bb.723:                              ;   in Loop: Header=BB411_13 Depth=1
	v_and_b32_e32 v104, 0xffff, v28
	v_or_b32_e32 v106, 0x10000, v28
	s_delay_alu instid0(VALU_DEP_2) | instskip(NEXT) | instid1(VALU_DEP_1)
	v_cmp_eq_u32_e64 s3, 0, v104
	v_cndmask_b32_e64 v104, v106, v28, s3
; %bb.724:                              ;   in Loop: Header=BB411_13 Depth=1
	s_or_b32 exec_lo, exec_lo, s21
	v_mov_b32_e32 v28, 0
	s_mov_b32 s21, exec_lo
	v_cmpx_lt_u32_e32 0xffffff, v105
	s_cbranch_execz .LBB411_732
; %bb.725:                              ;   in Loop: Header=BB411_13 Depth=1
	v_lshrrev_b32_e32 v106, 24, v105
	v_bfrev_b32_e32 v28, 1
	s_mov_b32 s22, exec_lo
	s_delay_alu instid0(VALU_DEP_2)
	v_cmpx_ne_u32_e32 0x80, v106
	s_cbranch_execz .LBB411_731
; %bb.726:                              ;   in Loop: Header=BB411_13 Depth=1
	v_bfe_u32 v107, v105, 24, 7
	v_mov_b32_e32 v28, 0x7f800001
	s_mov_b32 s23, exec_lo
	s_delay_alu instid0(VALU_DEP_2)
	v_cmpx_ne_u32_e32 0x7f, v107
	s_cbranch_execz .LBB411_730
; %bb.727:                              ;   in Loop: Header=BB411_13 Depth=1
	v_and_b32_e32 v28, 7, v106
	v_lshrrev_b32_e32 v105, 3, v107
	s_mov_b32 s24, exec_lo
	v_cmpx_gt_u32_e32 8, v107
; %bb.728:                              ;   in Loop: Header=BB411_13 Depth=1
	s_delay_alu instid0(VALU_DEP_3) | instskip(NEXT) | instid1(VALU_DEP_1)
	v_clz_i32_u32_e32 v105, v28
	v_min_u32_e32 v105, 32, v105
	s_delay_alu instid0(VALU_DEP_1) | instskip(SKIP_1) | instid1(VALU_DEP_2)
	v_subrev_nc_u32_e32 v107, 28, v105
	v_sub_nc_u32_e32 v105, 29, v105
	v_lshlrev_b64 v[107:108], v107, v[28:29]
	s_delay_alu instid0(VALU_DEP_1)
	v_and_b32_e32 v28, 7, v107
; %bb.729:                              ;   in Loop: Header=BB411_13 Depth=1
	s_or_b32 exec_lo, exec_lo, s24
	v_lshlrev_b32_e32 v106, 24, v106
	s_delay_alu instid0(VALU_DEP_2) | instskip(SKIP_1) | instid1(VALU_DEP_3)
	v_lshlrev_b32_e32 v28, 20, v28
	v_lshl_add_u32 v105, v105, 23, 0x3c000000
	v_and_b32_e32 v106, 0x80000000, v106
	s_delay_alu instid0(VALU_DEP_1)
	v_or3_b32 v28, v28, v106, v105
.LBB411_730:                            ;   in Loop: Header=BB411_13 Depth=1
	s_or_b32 exec_lo, exec_lo, s23
.LBB411_731:                            ;   in Loop: Header=BB411_13 Depth=1
	s_delay_alu instid0(SALU_CYCLE_1)
	s_or_b32 exec_lo, exec_lo, s22
.LBB411_732:                            ;   in Loop: Header=BB411_13 Depth=1
	s_delay_alu instid0(SALU_CYCLE_1) | instskip(NEXT) | instid1(VALU_DEP_1)
	s_or_b32 exec_lo, exec_lo, s21
	v_mul_f32_e32 v28, v133, v28
	s_delay_alu instid0(VALU_DEP_1) | instskip(NEXT) | instid1(VALU_DEP_1)
	v_and_b32_e32 v105, 0x7f800000, v28
	v_cmp_ne_u32_e64 s3, 0x7f800000, v105
                                        ; implicit-def: $vgpr105
	s_delay_alu instid0(VALU_DEP_1) | instskip(NEXT) | instid1(SALU_CYCLE_1)
	s_and_saveexec_b32 s21, s3
	s_xor_b32 s3, exec_lo, s21
; %bb.733:                              ;   in Loop: Header=BB411_13 Depth=1
	v_bfe_u32 v105, v28, 16, 1
	s_delay_alu instid0(VALU_DEP_1)
	v_add3_u32 v105, v28, v105, 0x7fff
                                        ; implicit-def: $vgpr28
; %bb.734:                              ;   in Loop: Header=BB411_13 Depth=1
	s_and_not1_saveexec_b32 s21, s3
; %bb.735:                              ;   in Loop: Header=BB411_13 Depth=1
	v_and_b32_e32 v105, 0xffff, v28
	v_or_b32_e32 v106, 0x10000, v28
	s_delay_alu instid0(VALU_DEP_2) | instskip(NEXT) | instid1(VALU_DEP_1)
	v_cmp_eq_u32_e64 s3, 0, v105
	v_cndmask_b32_e64 v105, v106, v28, s3
; %bb.736:                              ;   in Loop: Header=BB411_13 Depth=1
	s_or_b32 exec_lo, exec_lo, s21
	flat_load_b32 v81, v[80:81] offset:1800
	v_mov_b32_e32 v28, 0
	s_mov_b32 s21, exec_lo
	s_waitcnt vmcnt(0) lgkmcnt(0)
	v_and_b32_e32 v80, 0xff, v81
	s_delay_alu instid0(VALU_DEP_1)
	v_cmpx_ne_u16_e32 0, v80
	s_cbranch_execz .LBB411_744
; %bb.737:                              ;   in Loop: Header=BB411_13 Depth=1
	v_bfrev_b32_e32 v28, 1
	s_mov_b32 s22, exec_lo
	v_cmpx_ne_u16_e32 0x80, v80
	s_cbranch_execz .LBB411_743
; %bb.738:                              ;   in Loop: Header=BB411_13 Depth=1
	v_and_b32_e32 v106, 0x7f, v81
	v_mov_b32_e32 v28, 0x7f800001
	s_mov_b32 s23, exec_lo
	s_delay_alu instid0(VALU_DEP_2)
	v_cmpx_ne_u32_e32 0x7f, v106
	s_cbranch_execz .LBB411_742
; %bb.739:                              ;   in Loop: Header=BB411_13 Depth=1
	v_and_b32_e32 v28, 7, v81
	v_lshrrev_b32_e32 v80, 3, v106
	s_mov_b32 s24, exec_lo
	v_cmpx_gt_u32_e32 8, v106
; %bb.740:                              ;   in Loop: Header=BB411_13 Depth=1
	s_delay_alu instid0(VALU_DEP_3) | instskip(NEXT) | instid1(VALU_DEP_1)
	v_clz_i32_u32_e32 v80, v28
	v_min_u32_e32 v80, 32, v80
	s_delay_alu instid0(VALU_DEP_1) | instskip(SKIP_1) | instid1(VALU_DEP_2)
	v_subrev_nc_u32_e32 v106, 28, v80
	v_sub_nc_u32_e32 v80, 29, v80
	v_lshlrev_b64 v[106:107], v106, v[28:29]
	s_delay_alu instid0(VALU_DEP_1)
	v_and_b32_e32 v28, 7, v106
; %bb.741:                              ;   in Loop: Header=BB411_13 Depth=1
	s_or_b32 exec_lo, exec_lo, s24
	v_lshlrev_b32_e32 v106, 24, v81
	s_delay_alu instid0(VALU_DEP_2) | instskip(SKIP_1) | instid1(VALU_DEP_3)
	v_lshlrev_b32_e32 v28, 20, v28
	v_lshl_add_u32 v80, v80, 23, 0x3c000000
	v_and_b32_e32 v106, 0x80000000, v106
	s_delay_alu instid0(VALU_DEP_1)
	v_or3_b32 v28, v28, v106, v80
.LBB411_742:                            ;   in Loop: Header=BB411_13 Depth=1
	s_or_b32 exec_lo, exec_lo, s23
.LBB411_743:                            ;   in Loop: Header=BB411_13 Depth=1
	s_delay_alu instid0(SALU_CYCLE_1)
	s_or_b32 exec_lo, exec_lo, s22
.LBB411_744:                            ;   in Loop: Header=BB411_13 Depth=1
	s_delay_alu instid0(SALU_CYCLE_1) | instskip(NEXT) | instid1(VALU_DEP_1)
	s_or_b32 exec_lo, exec_lo, s21
	v_mul_f32_e32 v28, v133, v28
	s_delay_alu instid0(VALU_DEP_1) | instskip(NEXT) | instid1(VALU_DEP_1)
	v_and_b32_e32 v80, 0x7f800000, v28
	v_cmp_ne_u32_e64 s3, 0x7f800000, v80
                                        ; implicit-def: $vgpr80
	s_delay_alu instid0(VALU_DEP_1) | instskip(NEXT) | instid1(SALU_CYCLE_1)
	s_and_saveexec_b32 s21, s3
	s_xor_b32 s3, exec_lo, s21
; %bb.745:                              ;   in Loop: Header=BB411_13 Depth=1
	v_bfe_u32 v80, v28, 16, 1
	s_delay_alu instid0(VALU_DEP_1)
	v_add3_u32 v80, v28, v80, 0x7fff
                                        ; implicit-def: $vgpr28
; %bb.746:                              ;   in Loop: Header=BB411_13 Depth=1
	s_and_not1_saveexec_b32 s21, s3
; %bb.747:                              ;   in Loop: Header=BB411_13 Depth=1
	v_and_b32_e32 v80, 0xffff, v28
	v_or_b32_e32 v106, 0x10000, v28
	s_delay_alu instid0(VALU_DEP_2) | instskip(NEXT) | instid1(VALU_DEP_1)
	v_cmp_eq_u32_e64 s3, 0, v80
	v_cndmask_b32_e64 v80, v106, v28, s3
; %bb.748:                              ;   in Loop: Header=BB411_13 Depth=1
	s_or_b32 exec_lo, exec_lo, s21
	v_lshrrev_b16 v106, 8, v81
	v_mov_b32_e32 v28, 0
	s_mov_b32 s21, exec_lo
	s_delay_alu instid0(VALU_DEP_2)
	v_cmpx_ne_u16_e32 0, v106
	s_cbranch_execz .LBB411_756
; %bb.749:                              ;   in Loop: Header=BB411_13 Depth=1
	v_bfrev_b32_e32 v28, 1
	s_mov_b32 s22, exec_lo
	v_cmpx_ne_u16_e32 0x80, v106
	s_cbranch_execz .LBB411_755
; %bb.750:                              ;   in Loop: Header=BB411_13 Depth=1
	v_and_b32_e32 v106, 0xffff, v106
	v_mov_b32_e32 v28, 0x7f800001
	s_mov_b32 s23, exec_lo
	s_delay_alu instid0(VALU_DEP_2) | instskip(NEXT) | instid1(VALU_DEP_1)
	v_and_b32_e32 v107, 0x7f, v106
	v_cmpx_ne_u32_e32 0x7f, v107
	s_cbranch_execz .LBB411_754
; %bb.751:                              ;   in Loop: Header=BB411_13 Depth=1
	v_and_b32_e32 v28, 7, v106
	v_lshrrev_b32_e32 v106, 3, v107
	s_mov_b32 s24, exec_lo
	v_cmpx_gt_u32_e32 8, v107
; %bb.752:                              ;   in Loop: Header=BB411_13 Depth=1
	s_delay_alu instid0(VALU_DEP_3) | instskip(NEXT) | instid1(VALU_DEP_1)
	v_clz_i32_u32_e32 v106, v28
	v_min_u32_e32 v106, 32, v106
	s_delay_alu instid0(VALU_DEP_1) | instskip(SKIP_1) | instid1(VALU_DEP_2)
	v_subrev_nc_u32_e32 v107, 28, v106
	v_sub_nc_u32_e32 v106, 29, v106
	v_lshlrev_b64 v[107:108], v107, v[28:29]
	s_delay_alu instid0(VALU_DEP_1)
	v_and_b32_e32 v28, 7, v107
; %bb.753:                              ;   in Loop: Header=BB411_13 Depth=1
	s_or_b32 exec_lo, exec_lo, s24
	v_lshlrev_b32_e32 v107, 16, v81
	s_delay_alu instid0(VALU_DEP_2) | instskip(SKIP_1) | instid1(VALU_DEP_3)
	v_lshlrev_b32_e32 v28, 20, v28
	v_lshl_add_u32 v106, v106, 23, 0x3c000000
	v_and_b32_e32 v107, 0x80000000, v107
	s_delay_alu instid0(VALU_DEP_1)
	v_or3_b32 v28, v28, v107, v106
.LBB411_754:                            ;   in Loop: Header=BB411_13 Depth=1
	s_or_b32 exec_lo, exec_lo, s23
.LBB411_755:                            ;   in Loop: Header=BB411_13 Depth=1
	s_delay_alu instid0(SALU_CYCLE_1)
	s_or_b32 exec_lo, exec_lo, s22
.LBB411_756:                            ;   in Loop: Header=BB411_13 Depth=1
	s_delay_alu instid0(SALU_CYCLE_1) | instskip(NEXT) | instid1(VALU_DEP_1)
	s_or_b32 exec_lo, exec_lo, s21
	v_mul_f32_e32 v28, v133, v28
	s_delay_alu instid0(VALU_DEP_1) | instskip(NEXT) | instid1(VALU_DEP_1)
	v_and_b32_e32 v106, 0x7f800000, v28
	v_cmp_ne_u32_e64 s3, 0x7f800000, v106
                                        ; implicit-def: $vgpr106
	s_delay_alu instid0(VALU_DEP_1) | instskip(NEXT) | instid1(SALU_CYCLE_1)
	s_and_saveexec_b32 s21, s3
	s_xor_b32 s3, exec_lo, s21
; %bb.757:                              ;   in Loop: Header=BB411_13 Depth=1
	v_bfe_u32 v106, v28, 16, 1
	s_delay_alu instid0(VALU_DEP_1)
	v_add3_u32 v106, v28, v106, 0x7fff
                                        ; implicit-def: $vgpr28
; %bb.758:                              ;   in Loop: Header=BB411_13 Depth=1
	s_and_not1_saveexec_b32 s21, s3
; %bb.759:                              ;   in Loop: Header=BB411_13 Depth=1
	v_and_b32_e32 v106, 0xffff, v28
	v_or_b32_e32 v107, 0x10000, v28
	s_delay_alu instid0(VALU_DEP_2) | instskip(NEXT) | instid1(VALU_DEP_1)
	v_cmp_eq_u32_e64 s3, 0, v106
	v_cndmask_b32_e64 v106, v107, v28, s3
; %bb.760:                              ;   in Loop: Header=BB411_13 Depth=1
	s_or_b32 exec_lo, exec_lo, s21
	v_lshrrev_b32_e32 v107, 16, v81
	v_mov_b32_e32 v28, 0
	s_mov_b32 s21, exec_lo
	s_delay_alu instid0(VALU_DEP_2) | instskip(NEXT) | instid1(VALU_DEP_1)
	v_and_b32_e32 v108, 0xff, v107
	v_cmpx_ne_u16_e32 0, v108
	s_cbranch_execz .LBB411_768
; %bb.761:                              ;   in Loop: Header=BB411_13 Depth=1
	v_bfrev_b32_e32 v28, 1
	s_mov_b32 s22, exec_lo
	v_cmpx_ne_u16_e32 0x80, v108
	s_cbranch_execz .LBB411_767
; %bb.762:                              ;   in Loop: Header=BB411_13 Depth=1
	v_bfe_u32 v109, v81, 16, 7
	v_mov_b32_e32 v28, 0x7f800001
	s_mov_b32 s23, exec_lo
	s_delay_alu instid0(VALU_DEP_2)
	v_cmpx_ne_u32_e32 0x7f, v109
	s_cbranch_execz .LBB411_766
; %bb.763:                              ;   in Loop: Header=BB411_13 Depth=1
	v_and_b32_e32 v28, 7, v107
	v_lshrrev_b32_e32 v108, 3, v109
	s_mov_b32 s24, exec_lo
	v_cmpx_gt_u32_e32 8, v109
; %bb.764:                              ;   in Loop: Header=BB411_13 Depth=1
	s_delay_alu instid0(VALU_DEP_3) | instskip(NEXT) | instid1(VALU_DEP_1)
	v_clz_i32_u32_e32 v108, v28
	v_min_u32_e32 v108, 32, v108
	s_delay_alu instid0(VALU_DEP_1) | instskip(SKIP_1) | instid1(VALU_DEP_2)
	v_subrev_nc_u32_e32 v109, 28, v108
	v_sub_nc_u32_e32 v108, 29, v108
	v_lshlrev_b64 v[109:110], v109, v[28:29]
	s_delay_alu instid0(VALU_DEP_1)
	v_and_b32_e32 v28, 7, v109
; %bb.765:                              ;   in Loop: Header=BB411_13 Depth=1
	s_or_b32 exec_lo, exec_lo, s24
	v_lshlrev_b32_e32 v107, 24, v107
	s_delay_alu instid0(VALU_DEP_2) | instskip(SKIP_1) | instid1(VALU_DEP_3)
	v_lshlrev_b32_e32 v28, 20, v28
	v_lshl_add_u32 v108, v108, 23, 0x3c000000
	v_and_b32_e32 v107, 0x80000000, v107
	s_delay_alu instid0(VALU_DEP_1)
	v_or3_b32 v28, v28, v107, v108
.LBB411_766:                            ;   in Loop: Header=BB411_13 Depth=1
	s_or_b32 exec_lo, exec_lo, s23
.LBB411_767:                            ;   in Loop: Header=BB411_13 Depth=1
	s_delay_alu instid0(SALU_CYCLE_1)
	s_or_b32 exec_lo, exec_lo, s22
.LBB411_768:                            ;   in Loop: Header=BB411_13 Depth=1
	s_delay_alu instid0(SALU_CYCLE_1) | instskip(NEXT) | instid1(VALU_DEP_1)
	s_or_b32 exec_lo, exec_lo, s21
	v_mul_f32_e32 v28, v133, v28
	s_delay_alu instid0(VALU_DEP_1) | instskip(NEXT) | instid1(VALU_DEP_1)
	v_and_b32_e32 v107, 0x7f800000, v28
	v_cmp_ne_u32_e64 s3, 0x7f800000, v107
                                        ; implicit-def: $vgpr107
	s_delay_alu instid0(VALU_DEP_1) | instskip(NEXT) | instid1(SALU_CYCLE_1)
	s_and_saveexec_b32 s21, s3
	s_xor_b32 s3, exec_lo, s21
; %bb.769:                              ;   in Loop: Header=BB411_13 Depth=1
	v_bfe_u32 v107, v28, 16, 1
	s_delay_alu instid0(VALU_DEP_1)
	v_add3_u32 v107, v28, v107, 0x7fff
                                        ; implicit-def: $vgpr28
; %bb.770:                              ;   in Loop: Header=BB411_13 Depth=1
	s_and_not1_saveexec_b32 s21, s3
; %bb.771:                              ;   in Loop: Header=BB411_13 Depth=1
	v_and_b32_e32 v107, 0xffff, v28
	v_or_b32_e32 v108, 0x10000, v28
	s_delay_alu instid0(VALU_DEP_2) | instskip(NEXT) | instid1(VALU_DEP_1)
	v_cmp_eq_u32_e64 s3, 0, v107
	v_cndmask_b32_e64 v107, v108, v28, s3
; %bb.772:                              ;   in Loop: Header=BB411_13 Depth=1
	s_or_b32 exec_lo, exec_lo, s21
	v_mov_b32_e32 v28, 0
	s_mov_b32 s21, exec_lo
	v_cmpx_lt_u32_e32 0xffffff, v81
	s_cbranch_execz .LBB411_780
; %bb.773:                              ;   in Loop: Header=BB411_13 Depth=1
	v_lshrrev_b32_e32 v108, 24, v81
	v_bfrev_b32_e32 v28, 1
	s_mov_b32 s22, exec_lo
	s_delay_alu instid0(VALU_DEP_2)
	v_cmpx_ne_u32_e32 0x80, v108
	s_cbranch_execz .LBB411_779
; %bb.774:                              ;   in Loop: Header=BB411_13 Depth=1
	v_bfe_u32 v109, v81, 24, 7
	v_mov_b32_e32 v28, 0x7f800001
	s_mov_b32 s23, exec_lo
	s_delay_alu instid0(VALU_DEP_2)
	v_cmpx_ne_u32_e32 0x7f, v109
	s_cbranch_execz .LBB411_778
; %bb.775:                              ;   in Loop: Header=BB411_13 Depth=1
	v_and_b32_e32 v28, 7, v108
	v_lshrrev_b32_e32 v81, 3, v109
	s_mov_b32 s24, exec_lo
	v_cmpx_gt_u32_e32 8, v109
; %bb.776:                              ;   in Loop: Header=BB411_13 Depth=1
	s_delay_alu instid0(VALU_DEP_3) | instskip(NEXT) | instid1(VALU_DEP_1)
	v_clz_i32_u32_e32 v81, v28
	v_min_u32_e32 v81, 32, v81
	s_delay_alu instid0(VALU_DEP_1) | instskip(SKIP_1) | instid1(VALU_DEP_2)
	v_subrev_nc_u32_e32 v109, 28, v81
	v_sub_nc_u32_e32 v81, 29, v81
	v_lshlrev_b64 v[109:110], v109, v[28:29]
	s_delay_alu instid0(VALU_DEP_1)
	v_and_b32_e32 v28, 7, v109
; %bb.777:                              ;   in Loop: Header=BB411_13 Depth=1
	s_or_b32 exec_lo, exec_lo, s24
	v_lshlrev_b32_e32 v108, 24, v108
	s_delay_alu instid0(VALU_DEP_2) | instskip(SKIP_1) | instid1(VALU_DEP_3)
	v_lshlrev_b32_e32 v28, 20, v28
	v_lshl_add_u32 v81, v81, 23, 0x3c000000
	v_and_b32_e32 v108, 0x80000000, v108
	s_delay_alu instid0(VALU_DEP_1)
	v_or3_b32 v28, v28, v108, v81
.LBB411_778:                            ;   in Loop: Header=BB411_13 Depth=1
	s_or_b32 exec_lo, exec_lo, s23
.LBB411_779:                            ;   in Loop: Header=BB411_13 Depth=1
	s_delay_alu instid0(SALU_CYCLE_1)
	s_or_b32 exec_lo, exec_lo, s22
.LBB411_780:                            ;   in Loop: Header=BB411_13 Depth=1
	s_delay_alu instid0(SALU_CYCLE_1) | instskip(NEXT) | instid1(VALU_DEP_1)
	s_or_b32 exec_lo, exec_lo, s21
	v_mul_f32_e32 v81, v133, v28
	s_delay_alu instid0(VALU_DEP_1) | instskip(NEXT) | instid1(VALU_DEP_1)
	v_and_b32_e32 v28, 0x7f800000, v81
	v_cmp_ne_u32_e64 s3, 0x7f800000, v28
                                        ; implicit-def: $vgpr28
	s_delay_alu instid0(VALU_DEP_1) | instskip(NEXT) | instid1(SALU_CYCLE_1)
	s_and_saveexec_b32 s21, s3
	s_xor_b32 s3, exec_lo, s21
; %bb.781:                              ;   in Loop: Header=BB411_13 Depth=1
	v_bfe_u32 v28, v81, 16, 1
	s_delay_alu instid0(VALU_DEP_1)
	v_add3_u32 v28, v81, v28, 0x7fff
                                        ; implicit-def: $vgpr81
; %bb.782:                              ;   in Loop: Header=BB411_13 Depth=1
	s_and_not1_saveexec_b32 s21, s3
; %bb.783:                              ;   in Loop: Header=BB411_13 Depth=1
	v_and_b32_e32 v28, 0xffff, v81
	v_or_b32_e32 v133, 0x10000, v81
	s_delay_alu instid0(VALU_DEP_2) | instskip(NEXT) | instid1(VALU_DEP_1)
	v_cmp_eq_u32_e64 s3, 0, v28
	v_cndmask_b32_e64 v28, v133, v81, s3
; %bb.784:                              ;   in Loop: Header=BB411_13 Depth=1
	s_or_b32 exec_lo, exec_lo, s21
	v_and_b32_e32 v149, 0xffff0000, v149
	v_and_b32_e32 v147, 0xffff0000, v147
	v_lshlrev_b32_e32 v108, 16, v54
	v_lshlrev_b32_e32 v109, 16, v55
	v_and_b32_e32 v54, 0xffff0000, v54
	v_and_b32_e32 v55, 0xffff0000, v55
	;; [unrolled: 1-line block ×8, first 2 shown]
	s_delay_alu instid0(VALU_DEP_4)
	v_dual_mul_f32 v54, v54, v147 :: v_dual_mul_f32 v147, v109, v148
	v_lshlrev_b32_e32 v105, 16, v52
	v_dual_mul_f32 v55, v55, v149 :: v_dual_and_b32 v52, 0xffff0000, v52
	v_and_b32_e32 v135, 0xffff0000, v135
	v_and_b32_e32 v93, 0xffff0000, v93
	v_and_b32_e32 v151, 0xffff0000, v151
	v_lshlrev_b32_e32 v110, 16, v48
	v_and_b32_e32 v48, 0xffff0000, v48
	v_dual_fmac_f32 v54, v52, v135 :: v_dual_and_b32 v89, 0xffff0000, v89
	v_lshlrev_b32_e32 v120, 16, v50
	v_lshlrev_b32_e32 v154, 16, v131
	v_and_b32_e32 v163, 0xffff0000, v163
	v_and_b32_e32 v50, 0xffff0000, v50
	v_dual_fmac_f32 v54, v48, v151 :: v_dual_and_b32 v77, 0xffff0000, v77
	v_lshlrev_b32_e32 v122, 16, v35
	v_lshlrev_b32_e32 v152, 16, v8
	v_and_b32_e32 v167, 0xffff0000, v167
	v_and_b32_e32 v35, 0xffff0000, v35
	v_dual_fmac_f32 v54, v50, v163 :: v_dual_and_b32 v73, 0xffff0000, v73
	v_and_b32_e32 v134, 0xffff0000, v134
	v_lshlrev_b32_e32 v124, 16, v37
	v_lshlrev_b32_e32 v142, 16, v6
	v_and_b32_e32 v179, 0xffff0000, v179
	v_dual_mul_f32 v146, v108, v146 :: v_dual_and_b32 v37, 0xffff0000, v37
	v_fmac_f32_e32 v54, v35, v167
	v_and_b32_e32 v95, 0xffff0000, v95
	v_and_b32_e32 v61, 0xffff0000, v61
	v_lshlrev_b32_e32 v106, 16, v53
	v_lshlrev_b32_e32 v126, 16, v31
	;; [unrolled: 1-line block ×3, first 2 shown]
	v_and_b32_e32 v183, 0xffff0000, v183
	v_and_b32_e32 v53, 0xffff0000, v53
	v_dual_fmac_f32 v146, v105, v134 :: v_dual_and_b32 v31, 0xffff0000, v31
	v_dual_fmac_f32 v54, v37, v179 :: v_dual_and_b32 v145, 0xffff0000, v145
	v_and_b32_e32 v92, 0xffff0000, v92
	v_and_b32_e32 v57, 0xffff0000, v57
	v_lshlrev_b32_e32 v111, 16, v49
	v_and_b32_e32 v49, 0xffff0000, v49
	v_dual_fmac_f32 v55, v53, v145 :: v_dual_and_b32 v150, 0xffff0000, v150
	v_fmac_f32_e32 v54, v31, v183
	v_and_b32_e32 v31, 0xffff0000, v131
	v_and_b32_e32 v161, 0xffff0000, v161
	s_delay_alu instid0(VALU_DEP_4) | instskip(SKIP_2) | instid1(VALU_DEP_4)
	v_dual_fmac_f32 v146, v110, v150 :: v_dual_and_b32 v91, 0xffff0000, v91
	v_and_b32_e32 v88, 0xffff0000, v88
	v_lshlrev_b32_e32 v121, 16, v51
	v_dual_fmac_f32 v55, v49, v161 :: v_dual_lshlrev_b32 v132, 16, v132
	v_and_b32_e32 v162, 0xffff0000, v162
	v_and_b32_e32 v51, 0xffff0000, v51
	v_and_b32_e32 v8, 0xffff0000, v8
	v_and_b32_e32 v165, 0xffff0000, v165
	s_delay_alu instid0(VALU_DEP_4) | instskip(SKIP_2) | instid1(VALU_DEP_4)
	v_dual_fmac_f32 v146, v120, v162 :: v_dual_and_b32 v79, 0xffff0000, v79
	v_and_b32_e32 v76, 0xffff0000, v76
	v_lshlrev_b32_e32 v123, 16, v36
	v_fmac_f32_e32 v55, v51, v165
	v_lshlrev_b32_e32 v153, 16, v9
	v_and_b32_e32 v166, 0xffff0000, v166
	v_and_b32_e32 v36, 0xffff0000, v36
	;; [unrolled: 1-line block ×4, first 2 shown]
	s_delay_alu instid0(VALU_DEP_4) | instskip(SKIP_2) | instid1(VALU_DEP_4)
	v_dual_fmac_f32 v146, v122, v166 :: v_dual_and_b32 v75, 0xffff0000, v75
	v_and_b32_e32 v72, 0xffff0000, v72
	v_lshlrev_b32_e32 v125, 16, v38
	v_fmac_f32_e32 v55, v36, v177
	v_lshlrev_b32_e32 v143, 16, v7
	v_and_b32_e32 v178, 0xffff0000, v178
	v_and_b32_e32 v38, 0xffff0000, v38
	;; [unrolled: 1-line block ×4, first 2 shown]
	s_delay_alu instid0(VALU_DEP_4) | instskip(SKIP_2) | instid1(VALU_DEP_4)
	v_dual_fmac_f32 v146, v124, v178 :: v_dual_and_b32 v63, 0xffff0000, v63
	v_and_b32_e32 v60, 0xffff0000, v60
	v_lshlrev_b32_e32 v127, 16, v32
	v_dual_fmac_f32 v55, v38, v181 :: v_dual_lshlrev_b32 v138, 16, v16
	v_lshlrev_b32_e32 v141, 16, v19
	v_and_b32_e32 v182, 0xffff0000, v182
	v_and_b32_e32 v32, 0xffff0000, v32
	;; [unrolled: 1-line block ×4, first 2 shown]
	s_delay_alu instid0(VALU_DEP_4) | instskip(SKIP_2) | instid1(VALU_DEP_4)
	v_dual_fmac_f32 v146, v126, v182 :: v_dual_and_b32 v59, 0xffff0000, v59
	v_and_b32_e32 v56, 0xffff0000, v56
	v_lshlrev_b32_e32 v136, 16, v33
	v_fmac_f32_e32 v55, v32, v41
	v_lshlrev_b32_e32 v139, 16, v17
	v_and_b32_e32 v42, 0xffff0000, v42
	v_and_b32_e32 v47, 0xffff0000, v47
	;; [unrolled: 1-line block ×3, first 2 shown]
	v_lshlrev_b32_e32 v137, 16, v34
	v_and_b32_e32 v34, 0xffff0000, v34
	v_dual_fmac_f32 v146, v136, v42 :: v_dual_and_b32 v43, 0xffff0000, v43
	v_and_b32_e32 v45, 0xffff0000, v45
	v_and_b32_e32 v48, 0xffff0000, v17
	;; [unrolled: 1-line block ×4, first 2 shown]
	v_fmac_f32_e32 v54, v33, v43
	v_dual_fmac_f32 v55, v34, v45 :: v_dual_and_b32 v44, 0xffff0000, v44
	v_and_b32_e32 v40, 0xffff0000, v40
	s_delay_alu instid0(VALU_DEP_3)
	v_dual_fmac_f32 v54, v16, v47 :: v_dual_and_b32 v9, 0xffff0000, v9
	ds_load_b128 v[16:19], v116 offset:102
	v_dual_fmac_f32 v55, v48, v57 :: v_dual_and_b32 v180, 0xffff0000, v180
	v_and_b32_e32 v107, 0xffff0000, v107
	v_fmac_f32_e32 v54, v35, v59
	v_xor_b32_e32 v155, 1, v103
	s_delay_alu instid0(VALU_DEP_4) | instskip(NEXT) | instid1(VALU_DEP_3)
	v_dual_fmac_f32 v55, v36, v61 :: v_dual_and_b32 v176, 0xffff0000, v176
	v_fmac_f32_e32 v54, v6, v63
	s_delay_alu instid0(VALU_DEP_3) | instskip(NEXT) | instid1(VALU_DEP_3)
	v_cmp_gt_i32_e64 s3, 32, v155
	v_fmac_f32_e32 v55, v7, v73
	ds_load_b64 v[6:7], v116 offset:118
	v_and_b32_e32 v164, 0xffff0000, v164
	v_fmac_f32_e32 v54, v8, v75
	ds_load_u16 v8, v116 offset:126
	v_dual_fmac_f32 v55, v9, v77 :: v_dual_fmac_f32 v54, v31, v79
	s_waitcnt lgkmcnt(2)
	v_lshlrev_b32_e32 v9, 16, v16
	v_and_b32_e32 v160, 0xffff0000, v160
	s_delay_alu instid0(VALU_DEP_2) | instskip(SKIP_1) | instid1(VALU_DEP_1)
	v_dual_fmac_f32 v55, v9, v89 :: v_dual_and_b32 v16, 0xffff0000, v16
	v_lshlrev_b32_e32 v9, 16, v17
	v_dual_fmac_f32 v54, v9, v91 :: v_dual_and_b32 v17, 0xffff0000, v17
	v_lshlrev_b32_e32 v9, 16, v19
	s_delay_alu instid0(VALU_DEP_1)
	v_fmac_f32_e32 v54, v9, v95
	s_waitcnt lgkmcnt(1)
	v_lshlrev_b32_e32 v9, 16, v7
	v_and_b32_e32 v7, 0xffff0000, v7
	v_and_b32_e32 v144, 0xffff0000, v144
	;; [unrolled: 1-line block ×3, first 2 shown]
	s_delay_alu instid0(VALU_DEP_4) | instskip(NEXT) | instid1(VALU_DEP_3)
	v_dual_fmac_f32 v54, v9, v81 :: v_dual_and_b32 v9, 0xffff0000, v28
	v_dual_fmac_f32 v147, v106, v144 :: v_dual_and_b32 v90, 0xffff0000, v90
	s_delay_alu instid0(VALU_DEP_1) | instskip(NEXT) | instid1(VALU_DEP_1)
	v_dual_fmac_f32 v147, v111, v160 :: v_dual_and_b32 v78, 0xffff0000, v78
	v_dual_fmac_f32 v147, v121, v164 :: v_dual_and_b32 v74, 0xffff0000, v74
	s_delay_alu instid0(VALU_DEP_1) | instskip(NEXT) | instid1(VALU_DEP_1)
	;; [unrolled: 3-line block ×3, first 2 shown]
	v_dual_fmac_f32 v147, v127, v40 :: v_dual_and_b32 v46, 0xffff0000, v46
	v_dual_fmac_f32 v147, v137, v44 :: v_dual_fmac_f32 v146, v138, v46
	s_delay_alu instid0(VALU_DEP_1) | instskip(NEXT) | instid1(VALU_DEP_1)
	v_dual_fmac_f32 v147, v139, v56 :: v_dual_fmac_f32 v146, v140, v58
	v_dual_fmac_f32 v147, v141, v60 :: v_dual_fmac_f32 v146, v142, v62
	s_delay_alu instid0(VALU_DEP_1) | instskip(NEXT) | instid1(VALU_DEP_1)
	v_dual_fmac_f32 v147, v143, v72 :: v_dual_fmac_f32 v146, v152, v74
	v_dual_fmac_f32 v147, v153, v76 :: v_dual_fmac_f32 v146, v154, v78
	s_delay_alu instid0(VALU_DEP_1) | instskip(NEXT) | instid1(VALU_DEP_2)
	v_fmac_f32_e32 v147, v132, v88
	v_fmac_f32_e32 v146, v16, v90
	v_lshlrev_b32_e32 v16, 16, v18
	s_delay_alu instid0(VALU_DEP_3) | instskip(SKIP_1) | instid1(VALU_DEP_2)
	v_dual_fmac_f32 v147, v17, v92 :: v_dual_and_b32 v18, 0xffff0000, v18
	v_and_b32_e32 v17, 0xffff0000, v6
	v_dual_fmac_f32 v55, v16, v93 :: v_dual_fmac_f32 v146, v18, v94
	v_and_b32_e32 v16, 0xffff0000, v19
	v_lshlrev_b32_e32 v6, 16, v6
	s_delay_alu instid0(VALU_DEP_2) | instskip(NEXT) | instid1(VALU_DEP_2)
	v_dual_fmac_f32 v146, v17, v80 :: v_dual_fmac_f32 v147, v16, v133
	v_fmac_f32_e32 v55, v6, v104
	s_waitcnt lgkmcnt(0)
	v_lshlrev_b32_e32 v6, 16, v8
	v_cndmask_b32_e64 v8, v103, v155, s3
	v_fmac_f32_e32 v147, v7, v107
	v_add_f32_e32 v7, v146, v54
	s_delay_alu instid0(VALU_DEP_1) | instskip(NEXT) | instid1(VALU_DEP_1)
	v_dual_fmac_f32 v55, v6, v9 :: v_dual_add_f32 v6, v7, v147
	v_dual_add_f32 v6, v55, v6 :: v_dual_lshlrev_b32 v7, 2, v8
	ds_bpermute_b32 v7, v7, v6
	s_and_saveexec_b32 s21, vcc_lo
	s_cbranch_execz .LBB411_11
; %bb.785:                              ;   in Loop: Header=BB411_13 Depth=1
	v_add_nc_u32_e32 v8, v128, v117
	s_load_b32 s22, s[8:9], 0x0
	s_waitcnt lgkmcnt(0)
	v_add_f32_e32 v6, v6, v7
	s_delay_alu instid0(VALU_DEP_2) | instskip(NEXT) | instid1(VALU_DEP_1)
	v_cvt_f32_i32_e32 v8, v8
	v_mul_f32_e32 v8, v102, v8
	s_delay_alu instid0(VALU_DEP_1) | instskip(NEXT) | instid1(VALU_DEP_1)
	v_cndmask_b32_e64 v7, 0, v8, s2
	v_dual_max_f32 v8, v112, v112 :: v_dual_fmac_f32 v7, v6, v13
	v_add_nc_u32_e32 v6, v114, v117
	s_delay_alu instid0(VALU_DEP_2) | instskip(NEXT) | instid1(VALU_DEP_2)
	v_max_f32_e32 v8, v8, v7
	v_cmp_lt_i32_e64 s3, v6, v83
	v_add_nc_u32_e32 v6, s22, v119
	s_delay_alu instid0(VALU_DEP_2) | instskip(NEXT) | instid1(VALU_DEP_4)
	v_cndmask_b32_e64 v7, 0, v7, s3
	v_cndmask_b32_e64 v112, v112, v8, s3
	ds_store_b32 v6, v7
	s_branch .LBB411_11
.LBB411_786:
	s_or_b32 exec_lo, exec_lo, s20
.LBB411_787:
	s_delay_alu instid0(SALU_CYCLE_1)
	s_or_b32 exec_lo, exec_lo, s19
	v_xor_b32_e32 v6, 16, v103
	s_waitcnt lgkmcnt(0)
	v_xor_b32_e32 v7, 8, v103
	v_and_b32_e32 v16, 31, v82
	s_lshr_b32 s8, s15, 16
	v_max_f32_e32 v8, v112, v112
	v_cmp_gt_i32_e32 vcc_lo, 32, v6
	v_dual_cndmask_b32 v6, v103, v6 :: v_dual_lshlrev_b32 v19, 2, v21
	v_cmp_gt_i32_e32 vcc_lo, 32, v7
	v_cndmask_b32_e32 v7, v103, v7, vcc_lo
	s_delay_alu instid0(VALU_DEP_1) | instskip(NEXT) | instid1(VALU_DEP_4)
	v_lshlrev_b32_e32 v13, 2, v7
	v_lshlrev_b32_e32 v9, 2, v6
	ds_bpermute_b32 v6, v9, v112
	s_waitcnt lgkmcnt(0)
	v_max_f32_e32 v6, v6, v6
	s_delay_alu instid0(VALU_DEP_1) | instskip(SKIP_4) | instid1(VALU_DEP_1)
	v_max_f32_e32 v6, v8, v6
	v_xor_b32_e32 v8, 4, v103
	ds_bpermute_b32 v7, v13, v6
	v_cmp_gt_i32_e32 vcc_lo, 32, v8
	v_cndmask_b32_e32 v8, v103, v8, vcc_lo
	v_lshlrev_b32_e32 v18, 2, v8
	v_xor_b32_e32 v8, 2, v103
	s_delay_alu instid0(VALU_DEP_1) | instskip(SKIP_4) | instid1(VALU_DEP_3)
	v_cmp_gt_i32_e32 vcc_lo, 32, v8
	s_waitcnt lgkmcnt(0)
	v_max_f32_e32 v7, v7, v7
	v_cndmask_b32_e32 v8, v103, v8, vcc_lo
	v_cmp_eq_u32_e32 vcc_lo, 0, v16
	v_max_f32_e32 v6, v6, v7
	s_delay_alu instid0(VALU_DEP_3) | instskip(SKIP_3) | instid1(VALU_DEP_1)
	v_lshlrev_b32_e32 v8, 2, v8
	ds_bpermute_b32 v7, v18, v6
	s_waitcnt lgkmcnt(0)
	v_max_f32_e32 v7, v7, v7
	v_max_f32_e32 v6, v6, v7
	ds_bpermute_b32 v7, v8, v6
	s_and_saveexec_b32 s2, vcc_lo
	s_cbranch_execz .LBB411_789
; %bb.788:
	s_waitcnt lgkmcnt(0)
	v_dual_max_f32 v7, v7, v7 :: v_dual_max_f32 v6, v6, v6
	s_delay_alu instid0(VALU_DEP_1)
	v_max_f32_e32 v6, v6, v7
	ds_store_b32 v19, v6 offset:256
.LBB411_789:
	s_or_b32 exec_lo, exec_lo, s2
	v_cmp_gt_u32_e64 s2, 4, v16
	v_mov_b32_e32 v6, 0xff7fffff
	v_lshlrev_b32_e32 v24, 2, v16
	s_waitcnt lgkmcnt(0)
	s_barrier
	buffer_gl0_inv
	s_and_saveexec_b32 s3, s2
	s_cbranch_execz .LBB411_791
; %bb.790:
	ds_load_b32 v6, v24 offset:256
.LBB411_791:
	s_or_b32 exec_lo, exec_lo, s3
	s_waitcnt lgkmcnt(0)
	ds_bpermute_b32 v7, v8, v6
	v_xor_b32_e32 v17, 1, v103
	v_max_f32_e32 v6, v6, v6
	v_subrev_nc_u32_e32 v28, s13, v96
	v_mov_b32_e32 v25, 0
	s_delay_alu instid0(VALU_DEP_4) | instskip(NEXT) | instid1(VALU_DEP_1)
	v_cmp_gt_i32_e64 s3, 32, v17
	v_cndmask_b32_e64 v17, v103, v17, s3
	s_waitcnt lgkmcnt(0)
	v_max_f32_e32 v7, v7, v7
	s_delay_alu instid0(VALU_DEP_1) | instskip(SKIP_3) | instid1(VALU_DEP_1)
	v_dual_max_f32 v6, v6, v7 :: v_dual_lshlrev_b32 v17, 2, v17
	ds_bpermute_b32 v7, v17, v6
	s_waitcnt lgkmcnt(0)
	v_max_f32_e32 v7, v7, v7
	v_max_f32_e32 v6, v6, v7
	v_lshl_add_u32 v7, v28, 4, s5
	ds_bpermute_b32 v6, v25, v6
	v_min_i32_e32 v7, v7, v83
	s_delay_alu instid0(VALU_DEP_1) | instskip(NEXT) | instid1(VALU_DEP_1)
	v_subrev_nc_u32_e32 v7, s5, v7
	v_cmp_lt_i32_e64 s3, v82, v7
	s_delay_alu instid0(VALU_DEP_1)
	s_and_saveexec_b32 s5, s3
	s_cbranch_execz .LBB411_795
; %bb.792:
	s_getpc_b64 s[20:21]
	s_add_u32 s20, s20, llvm.amdgcn.dynlds.offset.table@rel32@lo+4
	s_addc_u32 s21, s21, llvm.amdgcn.dynlds.offset.table@rel32@hi+12
	s_ashr_i32 s17, s16, 31
	v_mov_b32_e32 v25, 0
	s_lshl_b64 s[22:23], s[16:17], 2
	v_mov_b32_e32 v29, v82
	s_add_u32 s20, s22, s20
	s_addc_u32 s21, s23, s21
	s_mov_b32 s9, 0
	s_load_b32 s4, s[20:21], 0x0
	s_waitcnt lgkmcnt(0)
	v_lshl_add_u32 v28, v82, 2, s4
	.p2align	6
.LBB411_793:                            ; =>This Inner Loop Header: Depth=1
	ds_load_b32 v31, v28
	v_add_nc_u32_e32 v29, 0x80, v29
	s_delay_alu instid0(VALU_DEP_1) | instskip(NEXT) | instid1(VALU_DEP_1)
	v_cmp_ge_i32_e64 s4, v29, v7
	s_or_b32 s9, s4, s9
	s_waitcnt lgkmcnt(0)
	v_sub_f32_e32 v31, v31, v6
	s_delay_alu instid0(VALU_DEP_1) | instskip(NEXT) | instid1(VALU_DEP_1)
	v_mul_f32_e32 v31, 0x3fb8aa3b, v31
	v_exp_f32_e32 v31, v31
	ds_store_b32 v28, v31
	v_dual_add_f32 v25, v25, v31 :: v_dual_add_nc_u32 v28, 0x200, v28
	s_and_not1_b32 exec_lo, exec_lo, s9
	s_cbranch_execnz .LBB411_793
; %bb.794:
	s_or_b32 exec_lo, exec_lo, s9
.LBB411_795:
	s_delay_alu instid0(SALU_CYCLE_1)
	s_or_b32 exec_lo, exec_lo, s5
	ds_bpermute_b32 v9, v9, v25
	s_waitcnt lgkmcnt(0)
	v_add_f32_e32 v9, v25, v9
	ds_bpermute_b32 v13, v13, v9
	s_waitcnt lgkmcnt(0)
	v_add_f32_e32 v9, v9, v13
	;; [unrolled: 3-line block ×5, first 2 shown]
	s_and_saveexec_b32 s4, vcc_lo
	s_cbranch_execz .LBB411_797
; %bb.796:
	ds_store_b32 v19, v9 offset:272
.LBB411_797:
	s_or_b32 exec_lo, exec_lo, s4
	s_waitcnt lgkmcnt(0)
	s_barrier
	buffer_gl0_inv
	s_and_saveexec_b32 s4, s2
	s_cbranch_execz .LBB411_799
; %bb.798:
	ds_load_b32 v9, v24 offset:272
.LBB411_799:
	s_or_b32 exec_lo, exec_lo, s4
	s_waitcnt lgkmcnt(0)
	ds_bpermute_b32 v8, v8, v9
	s_waitcnt lgkmcnt(0)
	v_add_f32_e32 v8, v9, v8
	ds_bpermute_b32 v9, v17, v8
	s_waitcnt lgkmcnt(0)
	v_dual_add_f32 v8, v8, v9 :: v_dual_mov_b32 v9, 0
	ds_bpermute_b32 v8, v9, v8
	s_and_saveexec_b32 s2, s3
	s_cbranch_execz .LBB411_802
; %bb.800:
	s_waitcnt lgkmcnt(0)
	v_add_f32_e32 v13, 0x358637bd, v8
	s_getpc_b64 s[4:5]
	s_add_u32 s4, s4, llvm.amdgcn.dynlds.offset.table@rel32@lo+4
	s_addc_u32 s5, s5, llvm.amdgcn.dynlds.offset.table@rel32@hi+12
	s_ashr_i32 s17, s16, 31
	s_delay_alu instid0(SALU_CYCLE_1) | instskip(SKIP_4) | instid1(VALU_DEP_1)
	s_lshl_b64 s[20:21], s[16:17], 2
	v_div_scale_f32 v9, null, v13, v13, 1.0
	s_add_u32 s4, s20, s4
	s_addc_u32 s5, s21, s5
	s_load_b32 s3, s[4:5], 0x0
	v_rcp_f32_e32 v18, v9
	s_waitcnt_depctr 0xfff
	v_fma_f32 v19, -v9, v18, 1.0
	s_delay_alu instid0(VALU_DEP_1) | instskip(SKIP_1) | instid1(VALU_DEP_1)
	v_fmac_f32_e32 v18, v19, v18
	v_div_scale_f32 v24, vcc_lo, 1.0, v13, 1.0
	v_mul_f32_e32 v19, v24, v18
	s_delay_alu instid0(VALU_DEP_1) | instskip(NEXT) | instid1(VALU_DEP_1)
	v_fma_f32 v25, -v9, v19, v24
	v_fmac_f32_e32 v19, v25, v18
	s_delay_alu instid0(VALU_DEP_1) | instskip(NEXT) | instid1(VALU_DEP_1)
	v_fma_f32 v9, -v9, v19, v24
	v_div_fmas_f32 v18, v9, v18, v19
	s_waitcnt lgkmcnt(0)
	v_lshl_add_u32 v9, v82, 2, s3
	s_mov_b32 s3, 0
	s_delay_alu instid0(VALU_DEP_2)
	v_div_fixup_f32 v13, v18, v13, 1.0
	v_mov_b32_e32 v18, v82
.LBB411_801:                            ; =>This Inner Loop Header: Depth=1
	ds_load_b32 v19, v9
	s_waitcnt lgkmcnt(0)
	v_dual_mul_f32 v19, v13, v19 :: v_dual_add_nc_u32 v18, 0x80, v18
	s_delay_alu instid0(VALU_DEP_1) | instskip(SKIP_3) | instid1(SALU_CYCLE_1)
	v_cmp_ge_i32_e32 vcc_lo, v18, v7
	ds_store_b32 v9, v19
	v_add_nc_u32_e32 v9, 0x200, v9
	s_or_b32 s3, vcc_lo, s3
	s_and_not1_b32 exec_lo, exec_lo, s3
	s_cbranch_execnz .LBB411_801
.LBB411_802:
	s_or_b32 exec_lo, exec_lo, s2
	v_cmp_ne_u16_e64 s2, s8, 0
	s_waitcnt lgkmcnt(0)
	s_barrier
	buffer_gl0_inv
	s_cmp_lg_u32 s2, 0
	s_mov_b32 s2, exec_lo
	s_addc_u32 s8, s11, 0
	v_cmpx_eq_u32_e32 0, v82
	s_cbranch_execz .LBB411_804
; %bb.803:
	s_mul_i32 s3, s8, s6
	s_mul_i32 s4, s8, s12
	;; [unrolled: 1-line block ×3, first 2 shown]
	s_ashr_i32 s5, s4, 31
	s_ashr_i32 s15, s14, 31
	;; [unrolled: 1-line block ×3, first 2 shown]
	s_lshl_b64 s[4:5], s[4:5], 2
	s_lshl_b64 s[20:21], s[14:15], 2
	;; [unrolled: 1-line block ×3, first 2 shown]
	s_add_u32 s3, s20, s4
	s_addc_u32 s4, s21, s5
	s_add_u32 s3, s3, s12
	s_addc_u32 s4, s4, s13
	v_add_co_u32 v2, vcc_lo, s3, v2
	v_add_co_ci_u32_e32 v3, vcc_lo, s4, v3, vcc_lo
	v_add_co_u32 v0, vcc_lo, s3, v0
	v_add_co_ci_u32_e32 v1, vcc_lo, s4, v1, vcc_lo
	flat_store_b32 v[2:3], v6
	flat_store_b32 v[0:1], v8
.LBB411_804:
	s_or_b32 exec_lo, exec_lo, s2
	s_getpc_b64 s[2:3]
	s_add_u32 s2, s2, llvm.amdgcn.dynlds.offset.table@rel32@lo+4
	s_addc_u32 s3, s3, llvm.amdgcn.dynlds.offset.table@rel32@hi+12
	s_ashr_i32 s17, s16, 31
	v_dual_mov_b32 v32, 0 :: v_dual_mov_b32 v19, 0
	s_lshl_b64 s[4:5], s[16:17], 2
	v_dual_mov_b32 v18, 0 :: v_dual_mov_b32 v25, 0
	s_add_u32 s2, s4, s2
	s_addc_u32 s3, s5, s3
	v_dual_mov_b32 v24, 0 :: v_dual_mov_b32 v31, 0
	s_load_b32 s12, s[2:3], 0x0
	v_dual_mov_b32 v28, 0 :: v_dual_mov_b32 v29, 0
	s_mov_b32 s11, 0
	s_waitcnt lgkmcnt(0)
	v_mov_b32_e32 v9, s12
	s_and_saveexec_b32 s9, s1
	s_cbranch_execz .LBB411_1882
; %bb.805:
	v_max_i32_e32 v30, v30, v100
	v_add_co_u32 v2, vcc_lo, v10, v12
	v_dual_mov_b32 v29, 0 :: v_dual_and_b32 v6, 0xf8, v98
	s_delay_alu instid0(VALU_DEP_3) | instskip(SKIP_3) | instid1(VALU_DEP_4)
	v_cvt_f32_u32_e32 v0, v30
	v_sub_nc_u32_e32 v9, 0, v30
	v_add_co_ci_u32_e32 v3, vcc_lo, v11, v101, vcc_lo
	v_dual_mov_b32 v31, 0 :: v_dual_lshlrev_b32 v8, 5, v84
	v_rcp_iflag_f32_e32 v0, v0
	v_add_nc_u32_e32 v34, -1, v99
	v_add_co_u32 v11, vcc_lo, v2, v6
	v_add_co_ci_u32_e32 v12, vcc_lo, 0, v3, vcc_lo
	v_lshl_or_b32 v2, v21, 6, v8
	v_dual_mov_b32 v10, 0 :: v_dual_and_b32 v33, 8, v98
	v_dual_mov_b32 v28, 0 :: v_dual_mov_b32 v25, 0
	s_delay_alu instid0(TRANS32_DEP_1) | instskip(SKIP_3) | instid1(VALU_DEP_4)
	v_mul_f32_e32 v7, 0x4f7ffffe, v0
	v_lshlrev_b64 v[0:1], 2, v[64:65]
	v_dual_mov_b32 v19, 0 :: v_dual_mov_b32 v24, 0
	v_dual_mov_b32 v18, 0 :: v_dual_add_nc_u32 v35, s12, v2
	v_cvt_u32_f32_e32 v7, v7
	s_delay_alu instid0(VALU_DEP_4) | instskip(SKIP_1) | instid1(VALU_DEP_3)
	v_add_co_u32 v0, vcc_lo, v66, v0
	v_add_co_ci_u32_e32 v1, vcc_lo, v67, v1, vcc_lo
	v_mul_lo_u32 v9, v9, v7
	s_delay_alu instid0(VALU_DEP_3) | instskip(NEXT) | instid1(VALU_DEP_3)
	v_add_co_u32 v13, vcc_lo, v14, v0
	v_add_co_ci_u32_e32 v14, vcc_lo, v15, v1, vcc_lo
	s_mov_b32 s4, -1
	s_mov_b32 s5, 0xffffff
	v_mov_b32_e32 v32, 0
	s_delay_alu instid0(VALU_DEP_4) | instskip(NEXT) | instid1(VALU_DEP_1)
	v_mul_hi_u32 v3, v7, v9
	v_add_nc_u32_e32 v15, v7, v3
	s_branch .LBB411_808
.LBB411_806:                            ;   in Loop: Header=BB411_808 Depth=1
	s_or_b32 exec_lo, exec_lo, s1
	v_and_b32_e32 v66, 0xffff0000, v41
	v_and_b32_e32 v67, 0xffff0000, v40
	;; [unrolled: 1-line block ×6, first 2 shown]
	v_dual_add_f32 v66, v67, v66 :: v_dual_and_b32 v7, 0xffff0000, v7
	v_and_b32_e32 v65, 0xffff0000, v182
	v_and_b32_e32 v6, 0xffff0000, v6
	;; [unrolled: 1-line block ×6, first 2 shown]
	v_add_f32_e32 v6, v6, v7
	v_dual_add_f32 v7, v65, v55 :: v_dual_and_b32 v2, 0xffff0000, v2
	v_and_b32_e32 v48, 0xffff0000, v48
	v_and_b32_e32 v37, 0xffff0000, v37
	s_delay_alu instid0(VALU_DEP_3) | instskip(SKIP_3) | instid1(VALU_DEP_4)
	v_dual_add_f32 v6, v6, v7 :: v_dual_and_b32 v49, 0xffff0000, v49
	v_and_b32_e32 v51, 0xffff0000, v51
	v_and_b32_e32 v52, 0xffff0000, v52
	v_dual_add_f32 v0, v0, v1 :: v_dual_add_f32 v1, v2, v3
	v_add_f32_e32 v6, v6, v66
	v_and_b32_e32 v66, 0xffff0000, v167
	v_and_b32_e32 v65, 0xffff0000, v43
	;; [unrolled: 1-line block ×4, first 2 shown]
	v_add_f32_e32 v0, v0, v1
	v_add_f32_e32 v66, v68, v66
	v_and_b32_e32 v68, 0xffff0000, v161
	s_delay_alu instid0(VALU_DEP_4) | instskip(SKIP_2) | instid1(VALU_DEP_3)
	v_dual_add_f32 v36, v36, v37 :: v_dual_and_b32 v55, 0xffff0000, v42
	v_and_b32_e32 v38, 0xffff0000, v38
	v_and_b32_e32 v50, 0xffff0000, v50
	v_dual_add_f32 v68, v80, v68 :: v_dual_add_f32 v55, v55, v65
	v_and_b32_e32 v65, 0xffff0000, v177
	v_and_b32_e32 v80, 0xffff0000, v112
	s_delay_alu instid0(VALU_DEP_4) | instskip(SKIP_1) | instid1(VALU_DEP_4)
	v_dual_add_f32 v37, v38, v48 :: v_dual_add_f32 v8, v49, v50
	v_and_b32_e32 v38, 0xffff0000, v53
	v_add_f32_e32 v65, v69, v65
	v_and_b32_e32 v69, 0xffff0000, v151
	s_delay_alu instid0(VALU_DEP_4) | instskip(NEXT) | instid1(VALU_DEP_4)
	v_add_f32_e32 v3, v36, v37
	v_add_f32_e32 v1, v2, v38
	s_delay_alu instid0(VALU_DEP_4)
	v_dual_add_f32 v65, v66, v65 :: v_dual_and_b32 v66, 0xffff0000, v163
	v_and_b32_e32 v7, 0xffff0000, v179
	v_dual_add_f32 v6, v6, v55 :: v_dual_and_b32 v67, 0xffff0000, v178
	v_and_b32_e32 v55, 0xffff0000, v180
	v_add_f32_e32 v3, v3, v8
	v_add_f32_e32 v8, v51, v52
	s_delay_alu instid0(VALU_DEP_4) | instskip(SKIP_2) | instid1(VALU_DEP_3)
	v_dual_add_f32 v7, v67, v7 :: v_dual_and_b32 v70, 0xffff0000, v181
	v_add_f32_e32 v67, v71, v69
	v_and_b32_e32 v69, 0xffff0000, v162
	v_dual_add_f32 v18, v18, v6 :: v_dual_add_f32 v7, v65, v7
	s_delay_alu instid0(VALU_DEP_4) | instskip(SKIP_3) | instid1(VALU_DEP_4)
	v_add_f32_e32 v55, v55, v70
	v_and_b32_e32 v65, 0xffff0000, v164
	v_dual_add_f32 v67, v67, v68 :: v_dual_and_b32 v68, 0xffff0000, v165
	v_dual_add_f32 v66, v69, v66 :: v_dual_and_b32 v69, 0xffff0000, v128
	v_add_f32_e32 v6, v7, v55
	s_delay_alu instid0(VALU_DEP_3) | instskip(NEXT) | instid1(VALU_DEP_3)
	v_dual_add_f32 v55, v65, v68 :: v_dual_and_b32 v70, 0xffff0000, v130
	v_dual_add_f32 v7, v67, v66 :: v_dual_and_b32 v66, 0xffff0000, v135
	v_and_b32_e32 v65, 0xffff0000, v145
	v_and_b32_e32 v67, 0xffff0000, v134
	;; [unrolled: 1-line block ×3, first 2 shown]
	v_add_f32_e32 v24, v24, v6
	v_add_f32_e32 v6, v7, v55
	v_and_b32_e32 v7, 0xffff0000, v147
	v_add_f32_e32 v55, v67, v66
	v_dual_add_f32 v65, v68, v65 :: v_dual_and_b32 v66, 0xffff0000, v146
	s_delay_alu instid0(VALU_DEP_4) | instskip(SKIP_1) | instid1(VALU_DEP_3)
	v_dual_add_f32 v19, v19, v6 :: v_dual_and_b32 v6, 0xffff0000, v148
	v_and_b32_e32 v67, 0xffff0000, v149
	v_dual_add_f32 v55, v55, v65 :: v_dual_and_b32 v68, 0xffff0000, v118
	s_delay_alu instid0(VALU_DEP_4)
	v_add_f32_e32 v7, v66, v7
	v_and_b32_e32 v65, 0xffff0000, v129
	v_and_b32_e32 v66, 0xffff0000, v119
	v_add_f32_e32 v6, v6, v67
	v_dual_add_f32 v3, v3, v8 :: v_dual_and_b32 v36, 0xffff0000, v54
	v_add_f32_e32 v7, v55, v7
	s_delay_alu instid0(VALU_DEP_4) | instskip(SKIP_3) | instid1(VALU_DEP_4)
	v_dual_add_f32 v66, v68, v66 :: v_dual_and_b32 v55, 0xffff0000, v131
	v_add_f32_e32 v65, v69, v65
	v_and_b32_e32 v68, 0xffff0000, v113
	v_and_b32_e32 v81, 0xffff0000, v132
	v_dual_add_f32 v55, v70, v55 :: v_dual_and_b32 v70, 0xffff0000, v133
	s_delay_alu instid0(VALU_DEP_4) | instskip(SKIP_3) | instid1(VALU_DEP_4)
	v_add_f32_e32 v65, v66, v65
	v_and_b32_e32 v2, 0xffff0000, v9
	v_dual_add_f32 v0, v0, v1 :: v_dual_and_b32 v69, 0xffff0000, v103
	v_and_b32_e32 v66, 0xffff0000, v115
	v_add_f32_e32 v55, v65, v55
	s_delay_alu instid0(VALU_DEP_4) | instskip(SKIP_3) | instid1(VALU_DEP_3)
	v_add_f32_e32 v1, v36, v2
	v_add_f32_e32 v2, v7, v6
	;; [unrolled: 1-line block ×3, first 2 shown]
	v_dual_add_f32 v68, v80, v68 :: v_dual_and_b32 v71, 0xffff0000, v102
	v_dual_add_f32 v0, v0, v1 :: v_dual_add_f32 v25, v25, v2
	s_delay_alu instid0(VALU_DEP_3) | instskip(NEXT) | instid1(VALU_DEP_3)
	v_add_f32_e32 v6, v55, v65
	v_add_f32_e32 v69, v71, v69
	v_and_b32_e32 v71, 0xffff0000, v114
	s_delay_alu instid0(VALU_DEP_4) | instskip(NEXT) | instid1(VALU_DEP_3)
	v_dual_add_f32 v29, v29, v3 :: v_dual_add_f32 v32, v32, v0
	v_dual_add_f32 v28, v28, v6 :: v_dual_add_f32 v67, v69, v68
	s_delay_alu instid0(VALU_DEP_3) | instskip(SKIP_1) | instid1(VALU_DEP_2)
	v_add_f32_e32 v66, v71, v66
	v_and_b32_e32 v68, 0xffff0000, v116
	v_dual_add_f32 v66, v67, v66 :: v_dual_and_b32 v69, 0xffff0000, v117
	s_delay_alu instid0(VALU_DEP_1) | instskip(NEXT) | instid1(VALU_DEP_1)
	v_add_f32_e32 v9, v68, v69
	v_add_f32_e32 v7, v66, v9
	s_delay_alu instid0(VALU_DEP_1)
	v_add_f32_e32 v31, v31, v7
.LBB411_807:                            ;   in Loop: Header=BB411_808 Depth=1
	s_or_b32 exec_lo, exec_lo, s12
	v_add_nc_u32_e32 v64, 4, v64
	v_add_co_u32 v13, s1, v13, 16
	s_delay_alu instid0(VALU_DEP_1) | instskip(NEXT) | instid1(VALU_DEP_3)
	v_add_co_ci_u32_e64 v14, s1, 0, v14, s1
	v_cmp_ge_i32_e32 vcc_lo, v64, v96
	v_add_nc_u32_e32 v23, 64, v23
	v_add_nc_u32_e32 v35, 0x100, v35
	s_or_b32 s11, vcc_lo, s11
	s_delay_alu instid0(SALU_CYCLE_1)
	s_and_not1_b32 exec_lo, exec_lo, s11
	s_cbranch_execz .LBB411_1881
.LBB411_808:                            ; =>This Inner Loop Header: Depth=1
	v_sub_nc_u32_e32 v0, 0, v23
	s_delay_alu instid0(VALU_DEP_1) | instskip(NEXT) | instid1(VALU_DEP_1)
	v_max_i32_e32 v0, v23, v0
	v_mul_hi_u32 v1, v0, v86
	s_delay_alu instid0(VALU_DEP_1) | instskip(NEXT) | instid1(VALU_DEP_1)
	v_mul_lo_u32 v2, v1, v85
	v_sub_nc_u32_e32 v0, v0, v2
	v_add_nc_u32_e32 v2, 1, v1
	s_delay_alu instid0(VALU_DEP_2) | instskip(SKIP_1) | instid1(VALU_DEP_2)
	v_sub_nc_u32_e32 v3, v0, v85
	v_cmp_ge_u32_e32 vcc_lo, v0, v85
	v_dual_cndmask_b32 v1, v1, v2 :: v_dual_cndmask_b32 v0, v0, v3
	v_ashrrev_i32_e32 v2, 31, v23
	s_delay_alu instid0(VALU_DEP_2) | instskip(NEXT) | instid1(VALU_DEP_3)
	v_add_nc_u32_e32 v3, 1, v1
	v_cmp_ge_u32_e32 vcc_lo, v0, v85
	s_delay_alu instid0(VALU_DEP_3) | instskip(NEXT) | instid1(VALU_DEP_3)
	v_xor_b32_e32 v2, v2, v87
	v_cndmask_b32_e32 v0, v1, v3, vcc_lo
	s_delay_alu instid0(VALU_DEP_1) | instskip(NEXT) | instid1(VALU_DEP_1)
	v_xor_b32_e32 v0, v0, v2
	v_sub_nc_u32_e32 v0, v0, v2
	s_delay_alu instid0(VALU_DEP_1) | instskip(SKIP_1) | instid1(VALU_DEP_2)
	v_add_nc_u32_e32 v1, v0, v20
	v_cmp_gt_i32_e64 s1, v0, v97
	v_sub_nc_u32_e32 v2, 0, v1
	s_delay_alu instid0(VALU_DEP_1) | instskip(NEXT) | instid1(VALU_DEP_1)
	v_max_i32_e32 v2, v1, v2
	v_mul_hi_u32 v3, v2, v15
	s_delay_alu instid0(VALU_DEP_1) | instskip(NEXT) | instid1(VALU_DEP_1)
	v_mul_lo_u32 v3, v3, v30
	v_sub_nc_u32_e32 v2, v2, v3
	s_delay_alu instid0(VALU_DEP_1) | instskip(SKIP_1) | instid1(VALU_DEP_2)
	v_sub_nc_u32_e32 v3, v2, v30
	v_cmp_ge_u32_e32 vcc_lo, v2, v30
	v_cndmask_b32_e32 v2, v2, v3, vcc_lo
	v_ashrrev_i32_e32 v1, 31, v1
	s_delay_alu instid0(VALU_DEP_2) | instskip(SKIP_1) | instid1(VALU_DEP_2)
	v_sub_nc_u32_e32 v3, v2, v30
	v_cmp_ge_u32_e32 vcc_lo, v2, v30
	v_cndmask_b32_e32 v2, v2, v3, vcc_lo
	s_delay_alu instid0(VALU_DEP_1) | instskip(NEXT) | instid1(VALU_DEP_1)
	v_xor_b32_e32 v2, v2, v1
	v_sub_nc_u32_e32 v1, v2, v1
	s_delay_alu instid0(VALU_DEP_1) | instskip(SKIP_1) | instid1(SALU_CYCLE_1)
	v_cmp_eq_u32_e32 vcc_lo, 0, v1
	s_or_b32 s1, vcc_lo, s1
	s_and_saveexec_b32 s12, s1
	s_cbranch_execz .LBB411_807
; %bb.809:                              ;   in Loop: Header=BB411_808 Depth=1
	flat_load_b32 v53, v[13:14]
	ds_load_2addr_b64 v[6:9], v35 offset1:1
	ds_load_2addr_b64 v[0:3], v35 offset0:2 offset1:3
	s_waitcnt lgkmcnt(1)
	v_and_b32_e32 v36, 0x7f800000, v6
	s_delay_alu instid0(VALU_DEP_1) | instskip(SKIP_1) | instid1(SALU_CYCLE_1)
	v_cmp_ne_u32_e32 vcc_lo, 0x7f800000, v36
                                        ; implicit-def: $vgpr36
	s_and_saveexec_b32 s1, vcc_lo
	s_xor_b32 s1, exec_lo, s1
; %bb.810:                              ;   in Loop: Header=BB411_808 Depth=1
	v_bfe_u32 v36, v6, 16, 1
	s_delay_alu instid0(VALU_DEP_1)
	v_add3_u32 v36, v6, v36, 0x7fff
; %bb.811:                              ;   in Loop: Header=BB411_808 Depth=1
	s_and_not1_saveexec_b32 s1, s1
; %bb.812:                              ;   in Loop: Header=BB411_808 Depth=1
	v_and_b32_e32 v36, 0xffff, v6
	v_or_b32_e32 v37, 0x10000, v6
	s_delay_alu instid0(VALU_DEP_2) | instskip(NEXT) | instid1(VALU_DEP_2)
	v_cmp_eq_u32_e32 vcc_lo, 0, v36
	v_cndmask_b32_e32 v36, v37, v6, vcc_lo
; %bb.813:                              ;   in Loop: Header=BB411_808 Depth=1
	s_or_b32 exec_lo, exec_lo, s1
	v_and_b32_e32 v6, 0x7f800000, v7
	s_mov_b32 s1, exec_lo
                                        ; implicit-def: $vgpr37
	s_delay_alu instid0(VALU_DEP_1)
	v_cmpx_ne_u32_e32 0x7f800000, v6
	s_xor_b32 s1, exec_lo, s1
; %bb.814:                              ;   in Loop: Header=BB411_808 Depth=1
	v_bfe_u32 v6, v7, 16, 1
	s_delay_alu instid0(VALU_DEP_1)
	v_add3_u32 v37, v7, v6, 0x7fff
; %bb.815:                              ;   in Loop: Header=BB411_808 Depth=1
	s_and_not1_saveexec_b32 s1, s1
; %bb.816:                              ;   in Loop: Header=BB411_808 Depth=1
	v_and_b32_e32 v6, 0xffff, v7
	v_or_b32_e32 v37, 0x10000, v7
	s_delay_alu instid0(VALU_DEP_2) | instskip(NEXT) | instid1(VALU_DEP_2)
	v_cmp_eq_u32_e32 vcc_lo, 0, v6
	v_cndmask_b32_e32 v37, v37, v7, vcc_lo
; %bb.817:                              ;   in Loop: Header=BB411_808 Depth=1
	s_or_b32 exec_lo, exec_lo, s1
	v_and_b32_e32 v6, 0x7f800000, v8
	s_mov_b32 s1, exec_lo
                                        ; implicit-def: $vgpr38
	s_delay_alu instid0(VALU_DEP_1)
	v_cmpx_ne_u32_e32 0x7f800000, v6
	s_xor_b32 s1, exec_lo, s1
; %bb.818:                              ;   in Loop: Header=BB411_808 Depth=1
	v_bfe_u32 v6, v8, 16, 1
	s_delay_alu instid0(VALU_DEP_1)
	v_add3_u32 v38, v8, v6, 0x7fff
; %bb.819:                              ;   in Loop: Header=BB411_808 Depth=1
	s_and_not1_saveexec_b32 s1, s1
; %bb.820:                              ;   in Loop: Header=BB411_808 Depth=1
	v_and_b32_e32 v6, 0xffff, v8
	v_or_b32_e32 v7, 0x10000, v8
	s_delay_alu instid0(VALU_DEP_2) | instskip(NEXT) | instid1(VALU_DEP_2)
	v_cmp_eq_u32_e32 vcc_lo, 0, v6
	v_cndmask_b32_e32 v38, v7, v8, vcc_lo
; %bb.821:                              ;   in Loop: Header=BB411_808 Depth=1
	s_or_b32 exec_lo, exec_lo, s1
	v_and_b32_e32 v6, 0x7f800000, v9
	s_mov_b32 s1, exec_lo
                                        ; implicit-def: $vgpr48
	s_delay_alu instid0(VALU_DEP_1)
	v_cmpx_ne_u32_e32 0x7f800000, v6
	s_xor_b32 s1, exec_lo, s1
; %bb.822:                              ;   in Loop: Header=BB411_808 Depth=1
	v_bfe_u32 v6, v9, 16, 1
	s_delay_alu instid0(VALU_DEP_1)
	v_add3_u32 v48, v9, v6, 0x7fff
                                        ; implicit-def: $vgpr6_vgpr7_vgpr8_vgpr9
; %bb.823:                              ;   in Loop: Header=BB411_808 Depth=1
	s_and_not1_saveexec_b32 s1, s1
; %bb.824:                              ;   in Loop: Header=BB411_808 Depth=1
	v_and_b32_e32 v6, 0xffff, v9
	v_or_b32_e32 v7, 0x10000, v9
	s_delay_alu instid0(VALU_DEP_2) | instskip(NEXT) | instid1(VALU_DEP_2)
	v_cmp_eq_u32_e32 vcc_lo, 0, v6
	v_cndmask_b32_e32 v48, v7, v9, vcc_lo
; %bb.825:                              ;   in Loop: Header=BB411_808 Depth=1
	s_or_b32 exec_lo, exec_lo, s1
	s_waitcnt lgkmcnt(0)
	v_and_b32_e32 v6, 0x7f800000, v0
	s_mov_b32 s1, exec_lo
                                        ; implicit-def: $vgpr49
	s_delay_alu instid0(VALU_DEP_1)
	v_cmpx_ne_u32_e32 0x7f800000, v6
	s_xor_b32 s1, exec_lo, s1
; %bb.826:                              ;   in Loop: Header=BB411_808 Depth=1
	v_bfe_u32 v6, v0, 16, 1
	s_delay_alu instid0(VALU_DEP_1)
	v_add3_u32 v49, v0, v6, 0x7fff
; %bb.827:                              ;   in Loop: Header=BB411_808 Depth=1
	s_and_not1_saveexec_b32 s1, s1
; %bb.828:                              ;   in Loop: Header=BB411_808 Depth=1
	v_and_b32_e32 v6, 0xffff, v0
	v_or_b32_e32 v7, 0x10000, v0
	s_delay_alu instid0(VALU_DEP_2) | instskip(NEXT) | instid1(VALU_DEP_2)
	v_cmp_eq_u32_e32 vcc_lo, 0, v6
	v_cndmask_b32_e32 v49, v7, v0, vcc_lo
; %bb.829:                              ;   in Loop: Header=BB411_808 Depth=1
	s_or_b32 exec_lo, exec_lo, s1
	v_and_b32_e32 v0, 0x7f800000, v1
	s_mov_b32 s1, exec_lo
                                        ; implicit-def: $vgpr50
	s_delay_alu instid0(VALU_DEP_1)
	v_cmpx_ne_u32_e32 0x7f800000, v0
	s_xor_b32 s1, exec_lo, s1
; %bb.830:                              ;   in Loop: Header=BB411_808 Depth=1
	v_bfe_u32 v0, v1, 16, 1
	s_delay_alu instid0(VALU_DEP_1)
	v_add3_u32 v50, v1, v0, 0x7fff
; %bb.831:                              ;   in Loop: Header=BB411_808 Depth=1
	s_and_not1_saveexec_b32 s1, s1
; %bb.832:                              ;   in Loop: Header=BB411_808 Depth=1
	v_and_b32_e32 v0, 0xffff, v1
	v_or_b32_e32 v6, 0x10000, v1
	s_delay_alu instid0(VALU_DEP_2) | instskip(NEXT) | instid1(VALU_DEP_2)
	v_cmp_eq_u32_e32 vcc_lo, 0, v0
	v_cndmask_b32_e32 v50, v6, v1, vcc_lo
; %bb.833:                              ;   in Loop: Header=BB411_808 Depth=1
	s_or_b32 exec_lo, exec_lo, s1
	v_and_b32_e32 v0, 0x7f800000, v2
	s_mov_b32 s1, exec_lo
                                        ; implicit-def: $vgpr51
	s_delay_alu instid0(VALU_DEP_1)
	v_cmpx_ne_u32_e32 0x7f800000, v0
	s_xor_b32 s1, exec_lo, s1
; %bb.834:                              ;   in Loop: Header=BB411_808 Depth=1
	v_bfe_u32 v0, v2, 16, 1
	s_delay_alu instid0(VALU_DEP_1)
	v_add3_u32 v51, v2, v0, 0x7fff
; %bb.835:                              ;   in Loop: Header=BB411_808 Depth=1
	s_and_not1_saveexec_b32 s1, s1
; %bb.836:                              ;   in Loop: Header=BB411_808 Depth=1
	v_and_b32_e32 v0, 0xffff, v2
	v_or_b32_e32 v1, 0x10000, v2
	s_delay_alu instid0(VALU_DEP_2) | instskip(NEXT) | instid1(VALU_DEP_2)
	v_cmp_eq_u32_e32 vcc_lo, 0, v0
	v_cndmask_b32_e32 v51, v1, v2, vcc_lo
; %bb.837:                              ;   in Loop: Header=BB411_808 Depth=1
	s_or_b32 exec_lo, exec_lo, s1
	v_and_b32_e32 v0, 0x7f800000, v3
	s_mov_b32 s1, exec_lo
                                        ; implicit-def: $vgpr52
	s_delay_alu instid0(VALU_DEP_1)
	v_cmpx_ne_u32_e32 0x7f800000, v0
	s_xor_b32 s1, exec_lo, s1
; %bb.838:                              ;   in Loop: Header=BB411_808 Depth=1
	v_bfe_u32 v0, v3, 16, 1
	s_delay_alu instid0(VALU_DEP_1)
	v_add3_u32 v52, v3, v0, 0x7fff
                                        ; implicit-def: $vgpr0_vgpr1_vgpr2_vgpr3
; %bb.839:                              ;   in Loop: Header=BB411_808 Depth=1
	s_and_not1_saveexec_b32 s1, s1
; %bb.840:                              ;   in Loop: Header=BB411_808 Depth=1
	v_and_b32_e32 v0, 0xffff, v3
	v_or_b32_e32 v1, 0x10000, v3
	s_delay_alu instid0(VALU_DEP_2) | instskip(NEXT) | instid1(VALU_DEP_2)
	v_cmp_eq_u32_e32 vcc_lo, 0, v0
	v_cndmask_b32_e32 v52, v1, v3, vcc_lo
; %bb.841:                              ;   in Loop: Header=BB411_808 Depth=1
	s_or_b32 exec_lo, exec_lo, s1
	s_waitcnt vmcnt(0)
	v_mad_i64_i32 v[0:1], null, v53, v22, v[11:12]
	s_mov_b32 s1, exec_lo
	flat_load_b64 v[2:3], v[0:1]
	flat_load_b32 v8, v[26:27]
	s_waitcnt vmcnt(1) lgkmcnt(1)
	v_dual_mov_b32 v6, 0 :: v_dual_and_b32 v7, 0xff, v2
	s_delay_alu instid0(VALU_DEP_1)
	v_cmpx_ne_u16_e32 0, v7
	s_cbranch_execz .LBB411_849
; %bb.842:                              ;   in Loop: Header=BB411_808 Depth=1
	v_bfrev_b32_e32 v6, 1
	s_mov_b32 s13, exec_lo
	v_cmpx_ne_u16_e32 0x80, v7
	s_cbranch_execz .LBB411_848
; %bb.843:                              ;   in Loop: Header=BB411_808 Depth=1
	v_and_b32_e32 v7, 0x7f, v2
	v_mov_b32_e32 v6, 0x7f800001
	s_mov_b32 s15, exec_lo
	s_delay_alu instid0(VALU_DEP_2)
	v_cmpx_ne_u32_e32 0x7f, v7
	s_cbranch_execz .LBB411_847
; %bb.844:                              ;   in Loop: Header=BB411_808 Depth=1
	v_lshrrev_b32_e32 v9, 3, v7
	v_cmp_gt_u32_e32 vcc_lo, 8, v7
	v_dual_mov_b32 v7, v3 :: v_dual_mov_b32 v6, v2
	s_and_saveexec_b32 s16, vcc_lo
; %bb.845:                              ;   in Loop: Header=BB411_808 Depth=1
	v_and_b32_e32 v6, 7, v2
	s_delay_alu instid0(VALU_DEP_1) | instskip(NEXT) | instid1(VALU_DEP_1)
	v_clz_i32_u32_e32 v6, v6
	v_min_u32_e32 v9, 32, v6
	s_delay_alu instid0(VALU_DEP_1) | instskip(SKIP_1) | instid1(VALU_DEP_2)
	v_subrev_nc_u32_e32 v6, 28, v9
	v_sub_nc_u32_e32 v9, 29, v9
	v_lshlrev_b64 v[6:7], v6, v[2:3]
; %bb.846:                              ;   in Loop: Header=BB411_808 Depth=1
	s_or_b32 exec_lo, exec_lo, s16
	s_delay_alu instid0(VALU_DEP_1) | instskip(SKIP_2) | instid1(VALU_DEP_3)
	v_lshlrev_b32_e32 v6, 20, v6
	v_lshlrev_b32_e32 v7, 24, v2
	v_lshl_add_u32 v9, v9, 23, 0x3c000000
	v_and_b32_e32 v6, 0x700000, v6
	s_delay_alu instid0(VALU_DEP_3) | instskip(NEXT) | instid1(VALU_DEP_1)
	v_and_b32_e32 v7, 0x80000000, v7
	v_or3_b32 v6, v6, v7, v9
.LBB411_847:                            ;   in Loop: Header=BB411_808 Depth=1
	s_or_b32 exec_lo, exec_lo, s15
.LBB411_848:                            ;   in Loop: Header=BB411_808 Depth=1
	s_delay_alu instid0(SALU_CYCLE_1)
	s_or_b32 exec_lo, exec_lo, s13
.LBB411_849:                            ;   in Loop: Header=BB411_808 Depth=1
	s_delay_alu instid0(SALU_CYCLE_1) | instskip(SKIP_3) | instid1(VALU_DEP_1)
	s_or_b32 exec_lo, exec_lo, s1
	s_waitcnt vmcnt(0) lgkmcnt(0)
	v_mul_f32_e32 v6, v8, v6
	s_mov_b32 s1, exec_lo
                                        ; implicit-def: $vgpr54
	v_and_b32_e32 v7, 0x7f800000, v6
	s_delay_alu instid0(VALU_DEP_1)
	v_cmpx_ne_u32_e32 0x7f800000, v7
	s_xor_b32 s1, exec_lo, s1
; %bb.850:                              ;   in Loop: Header=BB411_808 Depth=1
	v_bfe_u32 v7, v6, 16, 1
	s_delay_alu instid0(VALU_DEP_1)
	v_add3_u32 v54, v6, v7, 0x7fff
                                        ; implicit-def: $vgpr6
; %bb.851:                              ;   in Loop: Header=BB411_808 Depth=1
	s_and_not1_saveexec_b32 s1, s1
; %bb.852:                              ;   in Loop: Header=BB411_808 Depth=1
	v_and_b32_e32 v7, 0xffff, v6
	v_or_b32_e32 v9, 0x10000, v6
	s_delay_alu instid0(VALU_DEP_2) | instskip(NEXT) | instid1(VALU_DEP_2)
	v_cmp_eq_u32_e32 vcc_lo, 0, v7
	v_cndmask_b32_e32 v54, v9, v6, vcc_lo
; %bb.853:                              ;   in Loop: Header=BB411_808 Depth=1
	s_or_b32 exec_lo, exec_lo, s1
	v_lshrrev_b16 v7, 8, v2
	v_mov_b32_e32 v6, 0
	s_mov_b32 s1, exec_lo
	s_delay_alu instid0(VALU_DEP_2)
	v_cmpx_ne_u16_e32 0, v7
	s_cbranch_execz .LBB411_861
; %bb.854:                              ;   in Loop: Header=BB411_808 Depth=1
	v_bfrev_b32_e32 v6, 1
	s_mov_b32 s13, exec_lo
	v_cmpx_ne_u16_e32 0x80, v7
	s_cbranch_execz .LBB411_860
; %bb.855:                              ;   in Loop: Header=BB411_808 Depth=1
	v_and_b32_e32 v9, 0xffff, v7
	v_mov_b32_e32 v6, 0x7f800001
	s_mov_b32 s15, exec_lo
	s_delay_alu instid0(VALU_DEP_2) | instskip(NEXT) | instid1(VALU_DEP_1)
	v_and_b32_e32 v7, 0x7f, v9
	v_cmpx_ne_u32_e32 0x7f, v7
	s_cbranch_execz .LBB411_859
; %bb.856:                              ;   in Loop: Header=BB411_808 Depth=1
	v_and_b32_e32 v9, 7, v9
	v_lshrrev_b32_e32 v6, 3, v7
	s_mov_b32 s16, exec_lo
	v_cmpx_gt_u32_e32 8, v7
; %bb.857:                              ;   in Loop: Header=BB411_808 Depth=1
	s_delay_alu instid0(VALU_DEP_3) | instskip(NEXT) | instid1(VALU_DEP_1)
	v_clz_i32_u32_e32 v6, v9
	v_min_u32_e32 v6, 32, v6
	s_delay_alu instid0(VALU_DEP_1) | instskip(SKIP_1) | instid1(VALU_DEP_2)
	v_subrev_nc_u32_e32 v7, 28, v6
	v_sub_nc_u32_e32 v6, 29, v6
	v_lshlrev_b64 v[65:66], v7, v[9:10]
	s_delay_alu instid0(VALU_DEP_1)
	v_and_b32_e32 v9, 7, v65
; %bb.858:                              ;   in Loop: Header=BB411_808 Depth=1
	s_or_b32 exec_lo, exec_lo, s16
	v_lshlrev_b32_e32 v7, 16, v2
	s_delay_alu instid0(VALU_DEP_2) | instskip(SKIP_1) | instid1(VALU_DEP_3)
	v_lshlrev_b32_e32 v9, 20, v9
	v_lshl_add_u32 v6, v6, 23, 0x3c000000
	v_and_b32_e32 v7, 0x80000000, v7
	s_delay_alu instid0(VALU_DEP_1)
	v_or3_b32 v6, v9, v7, v6
.LBB411_859:                            ;   in Loop: Header=BB411_808 Depth=1
	s_or_b32 exec_lo, exec_lo, s15
.LBB411_860:                            ;   in Loop: Header=BB411_808 Depth=1
	s_delay_alu instid0(SALU_CYCLE_1)
	s_or_b32 exec_lo, exec_lo, s13
.LBB411_861:                            ;   in Loop: Header=BB411_808 Depth=1
	s_delay_alu instid0(SALU_CYCLE_1) | instskip(NEXT) | instid1(VALU_DEP_1)
	s_or_b32 exec_lo, exec_lo, s1
	v_mul_f32_e32 v6, v8, v6
	s_mov_b32 s1, exec_lo
                                        ; implicit-def: $vgpr55
	s_delay_alu instid0(VALU_DEP_1) | instskip(NEXT) | instid1(VALU_DEP_1)
	v_and_b32_e32 v7, 0x7f800000, v6
	v_cmpx_ne_u32_e32 0x7f800000, v7
	s_xor_b32 s1, exec_lo, s1
; %bb.862:                              ;   in Loop: Header=BB411_808 Depth=1
	v_bfe_u32 v7, v6, 16, 1
	s_delay_alu instid0(VALU_DEP_1)
	v_add3_u32 v55, v6, v7, 0x7fff
                                        ; implicit-def: $vgpr6
; %bb.863:                              ;   in Loop: Header=BB411_808 Depth=1
	s_and_not1_saveexec_b32 s1, s1
; %bb.864:                              ;   in Loop: Header=BB411_808 Depth=1
	v_and_b32_e32 v7, 0xffff, v6
	v_or_b32_e32 v9, 0x10000, v6
	s_delay_alu instid0(VALU_DEP_2) | instskip(NEXT) | instid1(VALU_DEP_2)
	v_cmp_eq_u32_e32 vcc_lo, 0, v7
	v_cndmask_b32_e32 v55, v9, v6, vcc_lo
; %bb.865:                              ;   in Loop: Header=BB411_808 Depth=1
	s_or_b32 exec_lo, exec_lo, s1
	v_lshrrev_b32_e32 v6, 16, v2
	v_mov_b32_e32 v7, 0
	s_mov_b32 s1, exec_lo
	s_delay_alu instid0(VALU_DEP_2) | instskip(NEXT) | instid1(VALU_DEP_1)
	v_and_b32_e32 v9, 0xff, v6
	v_cmpx_ne_u16_e32 0, v9
	s_cbranch_execz .LBB411_873
; %bb.866:                              ;   in Loop: Header=BB411_808 Depth=1
	v_bfrev_b32_e32 v7, 1
	s_mov_b32 s13, exec_lo
	v_cmpx_ne_u16_e32 0x80, v9
	s_cbranch_execz .LBB411_872
; %bb.867:                              ;   in Loop: Header=BB411_808 Depth=1
	v_bfe_u32 v53, v2, 16, 7
	v_mov_b32_e32 v7, 0x7f800001
	s_mov_b32 s15, exec_lo
	s_delay_alu instid0(VALU_DEP_2)
	v_cmpx_ne_u32_e32 0x7f, v53
	s_cbranch_execz .LBB411_871
; %bb.868:                              ;   in Loop: Header=BB411_808 Depth=1
	v_and_b32_e32 v9, 7, v6
	v_lshrrev_b32_e32 v7, 3, v53
	s_mov_b32 s16, exec_lo
	v_cmpx_gt_u32_e32 8, v53
; %bb.869:                              ;   in Loop: Header=BB411_808 Depth=1
	s_delay_alu instid0(VALU_DEP_3) | instskip(NEXT) | instid1(VALU_DEP_1)
	v_clz_i32_u32_e32 v7, v9
	v_min_u32_e32 v7, 32, v7
	s_delay_alu instid0(VALU_DEP_1) | instskip(SKIP_1) | instid1(VALU_DEP_2)
	v_subrev_nc_u32_e32 v53, 28, v7
	v_sub_nc_u32_e32 v7, 29, v7
	v_lshlrev_b64 v[65:66], v53, v[9:10]
	s_delay_alu instid0(VALU_DEP_1)
	v_and_b32_e32 v9, 7, v65
; %bb.870:                              ;   in Loop: Header=BB411_808 Depth=1
	s_or_b32 exec_lo, exec_lo, s16
	v_lshlrev_b32_e32 v6, 24, v6
	s_delay_alu instid0(VALU_DEP_2) | instskip(SKIP_1) | instid1(VALU_DEP_3)
	v_lshlrev_b32_e32 v9, 20, v9
	v_lshl_add_u32 v7, v7, 23, 0x3c000000
	v_and_b32_e32 v6, 0x80000000, v6
	s_delay_alu instid0(VALU_DEP_1)
	v_or3_b32 v7, v9, v6, v7
.LBB411_871:                            ;   in Loop: Header=BB411_808 Depth=1
	s_or_b32 exec_lo, exec_lo, s15
.LBB411_872:                            ;   in Loop: Header=BB411_808 Depth=1
	s_delay_alu instid0(SALU_CYCLE_1)
	s_or_b32 exec_lo, exec_lo, s13
.LBB411_873:                            ;   in Loop: Header=BB411_808 Depth=1
	s_delay_alu instid0(SALU_CYCLE_1) | instskip(NEXT) | instid1(VALU_DEP_1)
	s_or_b32 exec_lo, exec_lo, s1
	v_mul_f32_e32 v6, v8, v7
	s_mov_b32 s1, exec_lo
                                        ; implicit-def: $vgpr65
	s_delay_alu instid0(VALU_DEP_1) | instskip(NEXT) | instid1(VALU_DEP_1)
	v_and_b32_e32 v7, 0x7f800000, v6
	v_cmpx_ne_u32_e32 0x7f800000, v7
	s_xor_b32 s1, exec_lo, s1
; %bb.874:                              ;   in Loop: Header=BB411_808 Depth=1
	v_bfe_u32 v7, v6, 16, 1
	s_delay_alu instid0(VALU_DEP_1)
	v_add3_u32 v65, v6, v7, 0x7fff
                                        ; implicit-def: $vgpr6
; %bb.875:                              ;   in Loop: Header=BB411_808 Depth=1
	s_and_not1_saveexec_b32 s1, s1
; %bb.876:                              ;   in Loop: Header=BB411_808 Depth=1
	v_and_b32_e32 v7, 0xffff, v6
	v_or_b32_e32 v9, 0x10000, v6
	s_delay_alu instid0(VALU_DEP_2) | instskip(NEXT) | instid1(VALU_DEP_2)
	v_cmp_eq_u32_e32 vcc_lo, 0, v7
	v_cndmask_b32_e32 v65, v9, v6, vcc_lo
; %bb.877:                              ;   in Loop: Header=BB411_808 Depth=1
	s_or_b32 exec_lo, exec_lo, s1
	v_mov_b32_e32 v7, 0
	s_mov_b32 s1, exec_lo
	v_cmpx_lt_u32_e32 0xffffff, v2
	s_cbranch_execz .LBB411_885
; %bb.878:                              ;   in Loop: Header=BB411_808 Depth=1
	v_lshrrev_b32_e32 v6, 24, v2
	v_bfrev_b32_e32 v7, 1
	s_mov_b32 s13, exec_lo
	s_delay_alu instid0(VALU_DEP_2)
	v_cmpx_ne_u32_e32 0x80, v6
	s_cbranch_execz .LBB411_884
; %bb.879:                              ;   in Loop: Header=BB411_808 Depth=1
	v_bfe_u32 v53, v2, 24, 7
	v_mov_b32_e32 v7, 0x7f800001
	s_mov_b32 s15, exec_lo
	s_delay_alu instid0(VALU_DEP_2)
	v_cmpx_ne_u32_e32 0x7f, v53
	s_cbranch_execz .LBB411_883
; %bb.880:                              ;   in Loop: Header=BB411_808 Depth=1
	v_and_b32_e32 v9, 7, v6
	v_lshrrev_b32_e32 v7, 3, v53
	s_mov_b32 s16, exec_lo
	v_cmpx_gt_u32_e32 8, v53
; %bb.881:                              ;   in Loop: Header=BB411_808 Depth=1
	s_delay_alu instid0(VALU_DEP_3) | instskip(NEXT) | instid1(VALU_DEP_1)
	v_clz_i32_u32_e32 v7, v9
	v_min_u32_e32 v7, 32, v7
	s_delay_alu instid0(VALU_DEP_1) | instskip(SKIP_1) | instid1(VALU_DEP_2)
	v_subrev_nc_u32_e32 v53, 28, v7
	v_sub_nc_u32_e32 v7, 29, v7
	v_lshlrev_b64 v[66:67], v53, v[9:10]
	s_delay_alu instid0(VALU_DEP_1)
	v_and_b32_e32 v9, 7, v66
; %bb.882:                              ;   in Loop: Header=BB411_808 Depth=1
	s_or_b32 exec_lo, exec_lo, s16
	v_lshlrev_b32_e32 v6, 24, v6
	s_delay_alu instid0(VALU_DEP_2) | instskip(SKIP_1) | instid1(VALU_DEP_3)
	v_lshlrev_b32_e32 v9, 20, v9
	v_lshl_add_u32 v7, v7, 23, 0x3c000000
	v_and_b32_e32 v6, 0x80000000, v6
	s_delay_alu instid0(VALU_DEP_1)
	v_or3_b32 v7, v9, v6, v7
.LBB411_883:                            ;   in Loop: Header=BB411_808 Depth=1
	s_or_b32 exec_lo, exec_lo, s15
.LBB411_884:                            ;   in Loop: Header=BB411_808 Depth=1
	s_delay_alu instid0(SALU_CYCLE_1)
	s_or_b32 exec_lo, exec_lo, s13
.LBB411_885:                            ;   in Loop: Header=BB411_808 Depth=1
	s_delay_alu instid0(SALU_CYCLE_1) | instskip(NEXT) | instid1(VALU_DEP_1)
	s_or_b32 exec_lo, exec_lo, s1
	v_mul_f32_e32 v6, v8, v7
	s_mov_b32 s1, exec_lo
                                        ; implicit-def: $vgpr66
	s_delay_alu instid0(VALU_DEP_1) | instskip(NEXT) | instid1(VALU_DEP_1)
	v_and_b32_e32 v7, 0x7f800000, v6
	v_cmpx_ne_u32_e32 0x7f800000, v7
	s_xor_b32 s1, exec_lo, s1
; %bb.886:                              ;   in Loop: Header=BB411_808 Depth=1
	v_bfe_u32 v7, v6, 16, 1
	s_delay_alu instid0(VALU_DEP_1)
	v_add3_u32 v66, v6, v7, 0x7fff
                                        ; implicit-def: $vgpr6
; %bb.887:                              ;   in Loop: Header=BB411_808 Depth=1
	s_and_not1_saveexec_b32 s1, s1
; %bb.888:                              ;   in Loop: Header=BB411_808 Depth=1
	v_and_b32_e32 v7, 0xffff, v6
	v_or_b32_e32 v9, 0x10000, v6
	s_delay_alu instid0(VALU_DEP_2) | instskip(NEXT) | instid1(VALU_DEP_2)
	v_cmp_eq_u32_e32 vcc_lo, 0, v7
	v_cndmask_b32_e32 v66, v9, v6, vcc_lo
; %bb.889:                              ;   in Loop: Header=BB411_808 Depth=1
	s_or_b32 exec_lo, exec_lo, s1
	v_dual_mov_b32 v6, 0 :: v_dual_and_b32 v7, 0xff, v3
	v_mov_b32_e32 v9, v3
	s_mov_b32 s1, exec_lo
	s_delay_alu instid0(VALU_DEP_2)
	v_cmpx_ne_u16_e32 0, v7
	s_cbranch_execz .LBB411_897
; %bb.890:                              ;   in Loop: Header=BB411_808 Depth=1
	v_bfrev_b32_e32 v6, 1
	s_mov_b32 s13, exec_lo
	v_cmpx_ne_u16_e32 0x80, v7
	s_cbranch_execz .LBB411_896
; %bb.891:                              ;   in Loop: Header=BB411_808 Depth=1
	v_and_b32_e32 v7, 0x7f, v3
	v_mov_b32_e32 v6, 0x7f800001
	s_mov_b32 s15, exec_lo
	s_delay_alu instid0(VALU_DEP_2)
	v_cmpx_ne_u32_e32 0x7f, v7
	s_cbranch_execz .LBB411_895
; %bb.892:                              ;   in Loop: Header=BB411_808 Depth=1
	v_lshrrev_b32_e32 v53, 3, v7
	v_cmp_gt_u32_e32 vcc_lo, 8, v7
	v_dual_mov_b32 v6, v9 :: v_dual_mov_b32 v7, v10
	s_and_saveexec_b32 s16, vcc_lo
; %bb.893:                              ;   in Loop: Header=BB411_808 Depth=1
	v_and_b32_e32 v6, 7, v3
	s_delay_alu instid0(VALU_DEP_1) | instskip(NEXT) | instid1(VALU_DEP_1)
	v_clz_i32_u32_e32 v6, v6
	v_min_u32_e32 v53, 32, v6
	s_delay_alu instid0(VALU_DEP_1) | instskip(SKIP_1) | instid1(VALU_DEP_2)
	v_subrev_nc_u32_e32 v6, 28, v53
	v_sub_nc_u32_e32 v53, 29, v53
	v_lshlrev_b64 v[6:7], v6, v[9:10]
; %bb.894:                              ;   in Loop: Header=BB411_808 Depth=1
	s_or_b32 exec_lo, exec_lo, s16
	s_delay_alu instid0(VALU_DEP_1) | instskip(SKIP_2) | instid1(VALU_DEP_3)
	v_lshlrev_b32_e32 v6, 20, v6
	v_lshlrev_b32_e32 v7, 24, v9
	v_lshl_add_u32 v53, v53, 23, 0x3c000000
	v_and_b32_e32 v6, 0x700000, v6
	s_delay_alu instid0(VALU_DEP_3) | instskip(NEXT) | instid1(VALU_DEP_1)
	v_and_b32_e32 v7, 0x80000000, v7
	v_or3_b32 v6, v6, v7, v53
.LBB411_895:                            ;   in Loop: Header=BB411_808 Depth=1
	s_or_b32 exec_lo, exec_lo, s15
.LBB411_896:                            ;   in Loop: Header=BB411_808 Depth=1
	s_delay_alu instid0(SALU_CYCLE_1)
	s_or_b32 exec_lo, exec_lo, s13
.LBB411_897:                            ;   in Loop: Header=BB411_808 Depth=1
	s_delay_alu instid0(SALU_CYCLE_1) | instskip(NEXT) | instid1(VALU_DEP_1)
	s_or_b32 exec_lo, exec_lo, s1
	v_mul_f32_e32 v6, v8, v6
	s_mov_b32 s1, exec_lo
                                        ; implicit-def: $vgpr67
	s_delay_alu instid0(VALU_DEP_1) | instskip(NEXT) | instid1(VALU_DEP_1)
	v_and_b32_e32 v7, 0x7f800000, v6
	v_cmpx_ne_u32_e32 0x7f800000, v7
	s_xor_b32 s1, exec_lo, s1
; %bb.898:                              ;   in Loop: Header=BB411_808 Depth=1
	v_bfe_u32 v7, v6, 16, 1
	s_delay_alu instid0(VALU_DEP_1)
	v_add3_u32 v67, v6, v7, 0x7fff
                                        ; implicit-def: $vgpr6
; %bb.899:                              ;   in Loop: Header=BB411_808 Depth=1
	s_and_not1_saveexec_b32 s1, s1
; %bb.900:                              ;   in Loop: Header=BB411_808 Depth=1
	v_and_b32_e32 v7, 0xffff, v6
	v_or_b32_e32 v53, 0x10000, v6
	s_delay_alu instid0(VALU_DEP_2) | instskip(NEXT) | instid1(VALU_DEP_2)
	v_cmp_eq_u32_e32 vcc_lo, 0, v7
	v_cndmask_b32_e32 v67, v53, v6, vcc_lo
; %bb.901:                              ;   in Loop: Header=BB411_808 Depth=1
	s_or_b32 exec_lo, exec_lo, s1
	v_lshrrev_b16 v7, 8, v9
	v_mov_b32_e32 v6, 0
	s_mov_b32 s1, exec_lo
	s_delay_alu instid0(VALU_DEP_2)
	v_cmpx_ne_u16_e32 0, v7
	s_cbranch_execz .LBB411_909
; %bb.902:                              ;   in Loop: Header=BB411_808 Depth=1
	v_bfrev_b32_e32 v6, 1
	s_mov_b32 s13, exec_lo
	v_cmpx_ne_u16_e32 0x80, v7
	s_cbranch_execz .LBB411_908
; %bb.903:                              ;   in Loop: Header=BB411_808 Depth=1
	v_and_b32_e32 v7, 0xffff, v7
	v_mov_b32_e32 v6, 0x7f800001
	s_mov_b32 s15, exec_lo
	s_delay_alu instid0(VALU_DEP_2) | instskip(NEXT) | instid1(VALU_DEP_1)
	v_and_b32_e32 v68, 0x7f, v7
	v_cmpx_ne_u32_e32 0x7f, v68
	s_cbranch_execz .LBB411_907
; %bb.904:                              ;   in Loop: Header=BB411_808 Depth=1
	v_dual_mov_b32 v7, v10 :: v_dual_and_b32 v6, 7, v7
	v_lshrrev_b32_e32 v53, 3, v68
	s_mov_b32 s16, exec_lo
	v_cmpx_gt_u32_e32 8, v68
; %bb.905:                              ;   in Loop: Header=BB411_808 Depth=1
	s_delay_alu instid0(VALU_DEP_3) | instskip(NEXT) | instid1(VALU_DEP_1)
	v_clz_i32_u32_e32 v53, v6
	v_min_u32_e32 v53, 32, v53
	s_delay_alu instid0(VALU_DEP_1) | instskip(SKIP_1) | instid1(VALU_DEP_2)
	v_subrev_nc_u32_e32 v68, 28, v53
	v_sub_nc_u32_e32 v53, 29, v53
	v_lshlrev_b64 v[6:7], v68, v[6:7]
	s_delay_alu instid0(VALU_DEP_1)
	v_and_b32_e32 v6, 7, v6
; %bb.906:                              ;   in Loop: Header=BB411_808 Depth=1
	s_or_b32 exec_lo, exec_lo, s16
	v_lshlrev_b32_e32 v7, 16, v9
	s_delay_alu instid0(VALU_DEP_2) | instskip(SKIP_1) | instid1(VALU_DEP_3)
	v_lshlrev_b32_e32 v6, 20, v6
	v_lshl_add_u32 v9, v53, 23, 0x3c000000
	v_and_b32_e32 v7, 0x80000000, v7
	s_delay_alu instid0(VALU_DEP_1)
	v_or3_b32 v6, v6, v7, v9
.LBB411_907:                            ;   in Loop: Header=BB411_808 Depth=1
	s_or_b32 exec_lo, exec_lo, s15
.LBB411_908:                            ;   in Loop: Header=BB411_808 Depth=1
	s_delay_alu instid0(SALU_CYCLE_1)
	s_or_b32 exec_lo, exec_lo, s13
.LBB411_909:                            ;   in Loop: Header=BB411_808 Depth=1
	s_delay_alu instid0(SALU_CYCLE_1) | instskip(NEXT) | instid1(VALU_DEP_1)
	s_or_b32 exec_lo, exec_lo, s1
	v_mul_f32_e32 v7, v8, v6
	s_delay_alu instid0(VALU_DEP_1) | instskip(NEXT) | instid1(VALU_DEP_1)
	v_and_b32_e32 v6, 0x7f800000, v7
	v_cmp_ne_u32_e32 vcc_lo, 0x7f800000, v6
                                        ; implicit-def: $vgpr6
	s_and_saveexec_b32 s1, vcc_lo
	s_delay_alu instid0(SALU_CYCLE_1)
	s_xor_b32 s1, exec_lo, s1
; %bb.910:                              ;   in Loop: Header=BB411_808 Depth=1
	v_bfe_u32 v6, v7, 16, 1
	s_delay_alu instid0(VALU_DEP_1)
	v_add3_u32 v6, v7, v6, 0x7fff
                                        ; implicit-def: $vgpr7
; %bb.911:                              ;   in Loop: Header=BB411_808 Depth=1
	s_and_not1_saveexec_b32 s1, s1
; %bb.912:                              ;   in Loop: Header=BB411_808 Depth=1
	v_and_b32_e32 v6, 0xffff, v7
	v_or_b32_e32 v9, 0x10000, v7
	s_delay_alu instid0(VALU_DEP_2) | instskip(NEXT) | instid1(VALU_DEP_2)
	v_cmp_eq_u32_e32 vcc_lo, 0, v6
	v_cndmask_b32_e32 v6, v9, v7, vcc_lo
; %bb.913:                              ;   in Loop: Header=BB411_808 Depth=1
	s_or_b32 exec_lo, exec_lo, s1
	v_lshrrev_b32_e32 v7, 16, v3
	v_mov_b32_e32 v9, 0
	s_mov_b32 s1, exec_lo
	s_delay_alu instid0(VALU_DEP_2) | instskip(NEXT) | instid1(VALU_DEP_1)
	v_and_b32_e32 v53, 0xff, v7
	v_cmpx_ne_u16_e32 0, v53
	s_cbranch_execz .LBB411_921
; %bb.914:                              ;   in Loop: Header=BB411_808 Depth=1
	v_bfrev_b32_e32 v9, 1
	s_mov_b32 s13, exec_lo
	v_cmpx_ne_u16_e32 0x80, v53
	s_cbranch_execz .LBB411_920
; %bb.915:                              ;   in Loop: Header=BB411_808 Depth=1
	v_bfe_u32 v68, v3, 16, 7
	v_mov_b32_e32 v9, 0x7f800001
	s_mov_b32 s15, exec_lo
	s_delay_alu instid0(VALU_DEP_2)
	v_cmpx_ne_u32_e32 0x7f, v68
	s_cbranch_execz .LBB411_919
; %bb.916:                              ;   in Loop: Header=BB411_808 Depth=1
	v_and_b32_e32 v9, 7, v7
	v_lshrrev_b32_e32 v53, 3, v68
	s_mov_b32 s16, exec_lo
	v_cmpx_gt_u32_e32 8, v68
; %bb.917:                              ;   in Loop: Header=BB411_808 Depth=1
	s_delay_alu instid0(VALU_DEP_3) | instskip(NEXT) | instid1(VALU_DEP_1)
	v_clz_i32_u32_e32 v53, v9
	v_min_u32_e32 v53, 32, v53
	s_delay_alu instid0(VALU_DEP_1) | instskip(SKIP_1) | instid1(VALU_DEP_2)
	v_subrev_nc_u32_e32 v68, 28, v53
	v_sub_nc_u32_e32 v53, 29, v53
	v_lshlrev_b64 v[68:69], v68, v[9:10]
	s_delay_alu instid0(VALU_DEP_1)
	v_and_b32_e32 v9, 7, v68
; %bb.918:                              ;   in Loop: Header=BB411_808 Depth=1
	s_or_b32 exec_lo, exec_lo, s16
	v_lshlrev_b32_e32 v7, 24, v7
	s_delay_alu instid0(VALU_DEP_2) | instskip(SKIP_1) | instid1(VALU_DEP_3)
	v_lshlrev_b32_e32 v9, 20, v9
	v_lshl_add_u32 v53, v53, 23, 0x3c000000
	v_and_b32_e32 v7, 0x80000000, v7
	s_delay_alu instid0(VALU_DEP_1)
	v_or3_b32 v9, v9, v7, v53
.LBB411_919:                            ;   in Loop: Header=BB411_808 Depth=1
	s_or_b32 exec_lo, exec_lo, s15
.LBB411_920:                            ;   in Loop: Header=BB411_808 Depth=1
	s_delay_alu instid0(SALU_CYCLE_1)
	s_or_b32 exec_lo, exec_lo, s13
.LBB411_921:                            ;   in Loop: Header=BB411_808 Depth=1
	s_delay_alu instid0(SALU_CYCLE_1) | instskip(NEXT) | instid1(VALU_DEP_1)
	s_or_b32 exec_lo, exec_lo, s1
	v_mul_f32_e32 v7, v8, v9
	s_mov_b32 s1, exec_lo
                                        ; implicit-def: $vgpr68
	s_delay_alu instid0(VALU_DEP_1) | instskip(NEXT) | instid1(VALU_DEP_1)
	v_and_b32_e32 v9, 0x7f800000, v7
	v_cmpx_ne_u32_e32 0x7f800000, v9
	s_xor_b32 s1, exec_lo, s1
; %bb.922:                              ;   in Loop: Header=BB411_808 Depth=1
	v_bfe_u32 v9, v7, 16, 1
	s_delay_alu instid0(VALU_DEP_1)
	v_add3_u32 v68, v7, v9, 0x7fff
                                        ; implicit-def: $vgpr7
; %bb.923:                              ;   in Loop: Header=BB411_808 Depth=1
	s_and_not1_saveexec_b32 s1, s1
; %bb.924:                              ;   in Loop: Header=BB411_808 Depth=1
	v_and_b32_e32 v9, 0xffff, v7
	v_or_b32_e32 v53, 0x10000, v7
	s_delay_alu instid0(VALU_DEP_2) | instskip(NEXT) | instid1(VALU_DEP_2)
	v_cmp_eq_u32_e32 vcc_lo, 0, v9
	v_cndmask_b32_e32 v68, v53, v7, vcc_lo
; %bb.925:                              ;   in Loop: Header=BB411_808 Depth=1
	s_or_b32 exec_lo, exec_lo, s1
	v_mov_b32_e32 v7, 0
	s_mov_b32 s1, exec_lo
	v_cmpx_lt_u64_e64 s[4:5], v[2:3]
	s_cbranch_execz .LBB411_933
; %bb.926:                              ;   in Loop: Header=BB411_808 Depth=1
	v_lshrrev_b32_e32 v2, 24, v3
	v_bfrev_b32_e32 v7, 1
	s_mov_b32 s13, exec_lo
	s_delay_alu instid0(VALU_DEP_2)
	v_cmpx_ne_u32_e32 0x80, v2
	s_cbranch_execz .LBB411_932
; %bb.927:                              ;   in Loop: Header=BB411_808 Depth=1
	v_bfe_u32 v53, v3, 24, 7
	v_mov_b32_e32 v7, 0x7f800001
	s_mov_b32 s15, exec_lo
	s_delay_alu instid0(VALU_DEP_2)
	v_cmpx_ne_u32_e32 0x7f, v53
	s_cbranch_execz .LBB411_931
; %bb.928:                              ;   in Loop: Header=BB411_808 Depth=1
	v_and_b32_e32 v9, 7, v2
	v_lshrrev_b32_e32 v3, 3, v53
	s_mov_b32 s16, exec_lo
	v_cmpx_gt_u32_e32 8, v53
; %bb.929:                              ;   in Loop: Header=BB411_808 Depth=1
	s_delay_alu instid0(VALU_DEP_3) | instskip(NEXT) | instid1(VALU_DEP_1)
	v_clz_i32_u32_e32 v3, v9
	v_min_u32_e32 v3, 32, v3
	s_delay_alu instid0(VALU_DEP_1) | instskip(SKIP_1) | instid1(VALU_DEP_2)
	v_subrev_nc_u32_e32 v7, 28, v3
	v_sub_nc_u32_e32 v3, 29, v3
	v_lshlrev_b64 v[69:70], v7, v[9:10]
	s_delay_alu instid0(VALU_DEP_1)
	v_and_b32_e32 v9, 7, v69
; %bb.930:                              ;   in Loop: Header=BB411_808 Depth=1
	s_or_b32 exec_lo, exec_lo, s16
	v_lshlrev_b32_e32 v2, 24, v2
	s_delay_alu instid0(VALU_DEP_2) | instskip(SKIP_1) | instid1(VALU_DEP_3)
	v_lshlrev_b32_e32 v7, 20, v9
	v_lshl_add_u32 v3, v3, 23, 0x3c000000
	v_and_b32_e32 v2, 0x80000000, v2
	s_delay_alu instid0(VALU_DEP_1)
	v_or3_b32 v7, v7, v2, v3
.LBB411_931:                            ;   in Loop: Header=BB411_808 Depth=1
	s_or_b32 exec_lo, exec_lo, s15
.LBB411_932:                            ;   in Loop: Header=BB411_808 Depth=1
	s_delay_alu instid0(SALU_CYCLE_1)
	s_or_b32 exec_lo, exec_lo, s13
.LBB411_933:                            ;   in Loop: Header=BB411_808 Depth=1
	s_delay_alu instid0(SALU_CYCLE_1) | instskip(NEXT) | instid1(VALU_DEP_1)
	s_or_b32 exec_lo, exec_lo, s1
	v_mul_f32_e32 v3, v8, v7
	s_delay_alu instid0(VALU_DEP_1) | instskip(NEXT) | instid1(VALU_DEP_1)
	v_and_b32_e32 v2, 0x7f800000, v3
	v_cmp_ne_u32_e32 vcc_lo, 0x7f800000, v2
                                        ; implicit-def: $vgpr2
	s_and_saveexec_b32 s1, vcc_lo
	s_delay_alu instid0(SALU_CYCLE_1)
	s_xor_b32 s1, exec_lo, s1
; %bb.934:                              ;   in Loop: Header=BB411_808 Depth=1
	v_bfe_u32 v2, v3, 16, 1
	s_delay_alu instid0(VALU_DEP_1)
	v_add3_u32 v2, v3, v2, 0x7fff
                                        ; implicit-def: $vgpr3
; %bb.935:                              ;   in Loop: Header=BB411_808 Depth=1
	s_and_not1_saveexec_b32 s1, s1
; %bb.936:                              ;   in Loop: Header=BB411_808 Depth=1
	v_and_b32_e32 v2, 0xffff, v3
	v_or_b32_e32 v7, 0x10000, v3
	s_delay_alu instid0(VALU_DEP_2) | instskip(NEXT) | instid1(VALU_DEP_2)
	v_cmp_eq_u32_e32 vcc_lo, 0, v2
	v_cndmask_b32_e32 v2, v7, v3, vcc_lo
; %bb.937:                              ;   in Loop: Header=BB411_808 Depth=1
	s_or_b32 exec_lo, exec_lo, s1
	v_add_nc_u32_e32 v53, v33, v23
	v_cmp_eq_u32_e32 vcc_lo, v34, v64
	v_lshrrev_b32_e32 v6, 16, v6
	v_lshrrev_b32_e32 v7, 16, v67
	;; [unrolled: 1-line block ×8, first 2 shown]
	v_add_nc_u32_e32 v69, 1, v53
	v_add_nc_u32_e32 v68, 2, v53
	v_add_nc_u32_e32 v67, 3, v53
	v_add_nc_u32_e32 v66, 4, v53
	v_add_nc_u32_e32 v65, 5, v53
	v_add_nc_u32_e32 v55, 6, v53
	v_add_nc_u32_e32 v54, 7, v53
	s_and_saveexec_b32 s13, vcc_lo
	s_cbranch_execz .LBB411_939
; %bb.938:                              ;   in Loop: Header=BB411_808 Depth=1
	v_cmp_lt_i32_e64 s1, v53, v83
	s_delay_alu instid0(VALU_DEP_1) | instskip(SKIP_1) | instid1(VALU_DEP_1)
	v_cndmask_b32_e64 v71, 0, v71, s1
	v_cmp_lt_i32_e64 s1, v69, v83
	v_cndmask_b32_e64 v80, 0, v80, s1
	v_cmp_lt_i32_e64 s1, v68, v83
	s_delay_alu instid0(VALU_DEP_1) | instskip(SKIP_1) | instid1(VALU_DEP_1)
	v_cndmask_b32_e64 v81, 0, v81, s1
	v_cmp_lt_i32_e64 s1, v67, v83
	v_cndmask_b32_e64 v9, 0, v9, s1
	;; [unrolled: 5-line block ×4, first 2 shown]
.LBB411_939:                            ;   in Loop: Header=BB411_808 Depth=1
	s_or_b32 exec_lo, exec_lo, s13
	v_and_b32_e32 v70, 0xffff0000, v36
	v_lshlrev_b32_e32 v36, 16, v71
	s_delay_alu instid0(VALU_DEP_1) | instskip(NEXT) | instid1(VALU_DEP_1)
	v_mul_f32_e32 v71, v70, v36
	v_and_b32_e32 v36, 0x7f800000, v71
	s_delay_alu instid0(VALU_DEP_1) | instskip(NEXT) | instid1(VALU_DEP_1)
	v_cmp_ne_u32_e64 s1, 0x7f800000, v36
                                        ; implicit-def: $vgpr36
	s_and_saveexec_b32 s13, s1
	s_delay_alu instid0(SALU_CYCLE_1)
	s_xor_b32 s1, exec_lo, s13
; %bb.940:                              ;   in Loop: Header=BB411_808 Depth=1
	v_bfe_u32 v36, v71, 16, 1
	s_delay_alu instid0(VALU_DEP_1)
	v_add3_u32 v36, v71, v36, 0x7fff
                                        ; implicit-def: $vgpr71
; %bb.941:                              ;   in Loop: Header=BB411_808 Depth=1
	s_and_not1_saveexec_b32 s13, s1
; %bb.942:                              ;   in Loop: Header=BB411_808 Depth=1
	v_and_b32_e32 v36, 0xffff, v71
	v_or_b32_e32 v98, 0x10000, v71
	s_delay_alu instid0(VALU_DEP_2) | instskip(NEXT) | instid1(VALU_DEP_1)
	v_cmp_eq_u32_e64 s1, 0, v36
	v_cndmask_b32_e64 v36, v98, v71, s1
; %bb.943:                              ;   in Loop: Header=BB411_808 Depth=1
	s_or_b32 exec_lo, exec_lo, s13
	v_and_b32_e32 v71, 0xffff0000, v37
	v_lshlrev_b32_e32 v37, 16, v80
	s_delay_alu instid0(VALU_DEP_1) | instskip(NEXT) | instid1(VALU_DEP_1)
	v_mul_f32_e32 v80, v71, v37
	v_and_b32_e32 v37, 0x7f800000, v80
	s_delay_alu instid0(VALU_DEP_1) | instskip(NEXT) | instid1(VALU_DEP_1)
	v_cmp_ne_u32_e64 s1, 0x7f800000, v37
                                        ; implicit-def: $vgpr37
	s_and_saveexec_b32 s13, s1
	s_delay_alu instid0(SALU_CYCLE_1)
	s_xor_b32 s1, exec_lo, s13
; %bb.944:                              ;   in Loop: Header=BB411_808 Depth=1
	v_bfe_u32 v37, v80, 16, 1
	s_delay_alu instid0(VALU_DEP_1)
	v_add3_u32 v37, v80, v37, 0x7fff
                                        ; implicit-def: $vgpr80
; %bb.945:                              ;   in Loop: Header=BB411_808 Depth=1
	s_and_not1_saveexec_b32 s13, s1
; %bb.946:                              ;   in Loop: Header=BB411_808 Depth=1
	v_and_b32_e32 v37, 0xffff, v80
	v_or_b32_e32 v98, 0x10000, v80
	s_delay_alu instid0(VALU_DEP_2) | instskip(NEXT) | instid1(VALU_DEP_1)
	v_cmp_eq_u32_e64 s1, 0, v37
	v_cndmask_b32_e64 v37, v98, v80, s1
; %bb.947:                              ;   in Loop: Header=BB411_808 Depth=1
	s_or_b32 exec_lo, exec_lo, s13
	v_and_b32_e32 v80, 0xffff0000, v38
	v_lshlrev_b32_e32 v38, 16, v81
	s_delay_alu instid0(VALU_DEP_1) | instskip(NEXT) | instid1(VALU_DEP_1)
	v_mul_f32_e32 v81, v80, v38
	v_and_b32_e32 v38, 0x7f800000, v81
	s_delay_alu instid0(VALU_DEP_1) | instskip(NEXT) | instid1(VALU_DEP_1)
	v_cmp_ne_u32_e64 s1, 0x7f800000, v38
                                        ; implicit-def: $vgpr38
	s_and_saveexec_b32 s13, s1
	s_delay_alu instid0(SALU_CYCLE_1)
	s_xor_b32 s1, exec_lo, s13
; %bb.948:                              ;   in Loop: Header=BB411_808 Depth=1
	v_bfe_u32 v38, v81, 16, 1
	s_delay_alu instid0(VALU_DEP_1)
	v_add3_u32 v38, v81, v38, 0x7fff
                                        ; implicit-def: $vgpr81
; %bb.949:                              ;   in Loop: Header=BB411_808 Depth=1
	s_and_not1_saveexec_b32 s13, s1
; %bb.950:                              ;   in Loop: Header=BB411_808 Depth=1
	v_and_b32_e32 v38, 0xffff, v81
	v_or_b32_e32 v98, 0x10000, v81
	s_delay_alu instid0(VALU_DEP_2) | instskip(NEXT) | instid1(VALU_DEP_1)
	v_cmp_eq_u32_e64 s1, 0, v38
	v_cndmask_b32_e64 v38, v98, v81, s1
; %bb.951:                              ;   in Loop: Header=BB411_808 Depth=1
	s_or_b32 exec_lo, exec_lo, s13
	v_and_b32_e32 v81, 0xffff0000, v48
	v_lshlrev_b32_e32 v9, 16, v9
	s_delay_alu instid0(VALU_DEP_1) | instskip(NEXT) | instid1(VALU_DEP_1)
	v_mul_f32_e32 v9, v81, v9
	v_and_b32_e32 v48, 0x7f800000, v9
	s_delay_alu instid0(VALU_DEP_1) | instskip(NEXT) | instid1(VALU_DEP_1)
	v_cmp_ne_u32_e64 s1, 0x7f800000, v48
                                        ; implicit-def: $vgpr48
	s_and_saveexec_b32 s13, s1
	s_delay_alu instid0(SALU_CYCLE_1)
	s_xor_b32 s1, exec_lo, s13
; %bb.952:                              ;   in Loop: Header=BB411_808 Depth=1
	v_bfe_u32 v48, v9, 16, 1
	s_delay_alu instid0(VALU_DEP_1)
	v_add3_u32 v48, v9, v48, 0x7fff
                                        ; implicit-def: $vgpr9
; %bb.953:                              ;   in Loop: Header=BB411_808 Depth=1
	s_and_not1_saveexec_b32 s13, s1
; %bb.954:                              ;   in Loop: Header=BB411_808 Depth=1
	v_and_b32_e32 v48, 0xffff, v9
	v_or_b32_e32 v98, 0x10000, v9
	s_delay_alu instid0(VALU_DEP_2) | instskip(NEXT) | instid1(VALU_DEP_1)
	v_cmp_eq_u32_e64 s1, 0, v48
	v_cndmask_b32_e64 v48, v98, v9, s1
; %bb.955:                              ;   in Loop: Header=BB411_808 Depth=1
	s_or_b32 exec_lo, exec_lo, s13
	v_and_b32_e32 v98, 0xffff0000, v49
	v_lshlrev_b32_e32 v7, 16, v7
                                        ; implicit-def: $vgpr49
	s_delay_alu instid0(VALU_DEP_1) | instskip(NEXT) | instid1(VALU_DEP_1)
	v_mul_f32_e32 v7, v98, v7
	v_and_b32_e32 v9, 0x7f800000, v7
	s_delay_alu instid0(VALU_DEP_1) | instskip(NEXT) | instid1(VALU_DEP_1)
	v_cmp_ne_u32_e64 s1, 0x7f800000, v9
	s_and_saveexec_b32 s13, s1
	s_delay_alu instid0(SALU_CYCLE_1)
	s_xor_b32 s1, exec_lo, s13
; %bb.956:                              ;   in Loop: Header=BB411_808 Depth=1
	v_bfe_u32 v9, v7, 16, 1
	s_delay_alu instid0(VALU_DEP_1)
	v_add3_u32 v49, v7, v9, 0x7fff
                                        ; implicit-def: $vgpr7
; %bb.957:                              ;   in Loop: Header=BB411_808 Depth=1
	s_and_not1_saveexec_b32 s13, s1
; %bb.958:                              ;   in Loop: Header=BB411_808 Depth=1
	v_and_b32_e32 v9, 0xffff, v7
	v_or_b32_e32 v49, 0x10000, v7
	s_delay_alu instid0(VALU_DEP_2) | instskip(NEXT) | instid1(VALU_DEP_1)
	v_cmp_eq_u32_e64 s1, 0, v9
	v_cndmask_b32_e64 v49, v49, v7, s1
; %bb.959:                              ;   in Loop: Header=BB411_808 Depth=1
	s_or_b32 exec_lo, exec_lo, s13
	v_and_b32_e32 v99, 0xffff0000, v50
	v_lshlrev_b32_e32 v6, 16, v6
                                        ; implicit-def: $vgpr50
	s_delay_alu instid0(VALU_DEP_1) | instskip(NEXT) | instid1(VALU_DEP_1)
	v_mul_f32_e32 v6, v99, v6
	v_and_b32_e32 v7, 0x7f800000, v6
	s_delay_alu instid0(VALU_DEP_1) | instskip(NEXT) | instid1(VALU_DEP_1)
	v_cmp_ne_u32_e64 s1, 0x7f800000, v7
	s_and_saveexec_b32 s13, s1
	s_delay_alu instid0(SALU_CYCLE_1)
	s_xor_b32 s1, exec_lo, s13
; %bb.960:                              ;   in Loop: Header=BB411_808 Depth=1
	v_bfe_u32 v7, v6, 16, 1
	s_delay_alu instid0(VALU_DEP_1)
	v_add3_u32 v50, v6, v7, 0x7fff
                                        ; implicit-def: $vgpr6
; %bb.961:                              ;   in Loop: Header=BB411_808 Depth=1
	s_and_not1_saveexec_b32 s13, s1
; %bb.962:                              ;   in Loop: Header=BB411_808 Depth=1
	v_and_b32_e32 v7, 0xffff, v6
	v_or_b32_e32 v9, 0x10000, v6
	s_delay_alu instid0(VALU_DEP_2) | instskip(NEXT) | instid1(VALU_DEP_1)
	v_cmp_eq_u32_e64 s1, 0, v7
	v_cndmask_b32_e64 v50, v9, v6, s1
; %bb.963:                              ;   in Loop: Header=BB411_808 Depth=1
	s_or_b32 exec_lo, exec_lo, s13
	v_and_b32_e32 v100, 0xffff0000, v51
	v_lshlrev_b32_e32 v3, 16, v3
                                        ; implicit-def: $vgpr51
	s_delay_alu instid0(VALU_DEP_1) | instskip(NEXT) | instid1(VALU_DEP_1)
	v_mul_f32_e32 v3, v100, v3
	v_and_b32_e32 v6, 0x7f800000, v3
	s_delay_alu instid0(VALU_DEP_1) | instskip(NEXT) | instid1(VALU_DEP_1)
	v_cmp_ne_u32_e64 s1, 0x7f800000, v6
	s_and_saveexec_b32 s13, s1
	s_delay_alu instid0(SALU_CYCLE_1)
	s_xor_b32 s1, exec_lo, s13
; %bb.964:                              ;   in Loop: Header=BB411_808 Depth=1
	v_bfe_u32 v6, v3, 16, 1
	s_delay_alu instid0(VALU_DEP_1)
	v_add3_u32 v51, v3, v6, 0x7fff
                                        ; implicit-def: $vgpr3
; %bb.965:                              ;   in Loop: Header=BB411_808 Depth=1
	s_and_not1_saveexec_b32 s13, s1
; %bb.966:                              ;   in Loop: Header=BB411_808 Depth=1
	v_and_b32_e32 v6, 0xffff, v3
	v_or_b32_e32 v7, 0x10000, v3
	s_delay_alu instid0(VALU_DEP_2) | instskip(NEXT) | instid1(VALU_DEP_1)
	v_cmp_eq_u32_e64 s1, 0, v6
	v_cndmask_b32_e64 v51, v7, v3, s1
; %bb.967:                              ;   in Loop: Header=BB411_808 Depth=1
	s_or_b32 exec_lo, exec_lo, s13
	v_and_b32_e32 v101, 0xffff0000, v52
	v_lshlrev_b32_e32 v2, 16, v2
                                        ; implicit-def: $vgpr52
	s_delay_alu instid0(VALU_DEP_1) | instskip(NEXT) | instid1(VALU_DEP_1)
	v_mul_f32_e32 v2, v101, v2
	v_and_b32_e32 v3, 0x7f800000, v2
	s_delay_alu instid0(VALU_DEP_1) | instskip(NEXT) | instid1(VALU_DEP_1)
	v_cmp_ne_u32_e64 s1, 0x7f800000, v3
	s_and_saveexec_b32 s13, s1
	s_delay_alu instid0(SALU_CYCLE_1)
	s_xor_b32 s1, exec_lo, s13
; %bb.968:                              ;   in Loop: Header=BB411_808 Depth=1
	v_bfe_u32 v3, v2, 16, 1
	s_delay_alu instid0(VALU_DEP_1)
	v_add3_u32 v52, v2, v3, 0x7fff
                                        ; implicit-def: $vgpr2
; %bb.969:                              ;   in Loop: Header=BB411_808 Depth=1
	s_and_not1_saveexec_b32 s13, s1
; %bb.970:                              ;   in Loop: Header=BB411_808 Depth=1
	v_and_b32_e32 v3, 0xffff, v2
	v_or_b32_e32 v6, 0x10000, v2
	s_delay_alu instid0(VALU_DEP_2) | instskip(NEXT) | instid1(VALU_DEP_1)
	v_cmp_eq_u32_e64 s1, 0, v3
	v_cndmask_b32_e64 v52, v6, v2, s1
; %bb.971:                              ;   in Loop: Header=BB411_808 Depth=1
	s_or_b32 exec_lo, exec_lo, s13
	flat_load_b64 v[2:3], v[0:1] offset:256
	s_mov_b32 s13, exec_lo
	s_waitcnt vmcnt(0) lgkmcnt(0)
	v_dual_mov_b32 v6, 0 :: v_dual_and_b32 v7, 0xff, v2
	s_delay_alu instid0(VALU_DEP_1)
	v_cmpx_ne_u16_e32 0, v7
	s_cbranch_execz .LBB411_979
; %bb.972:                              ;   in Loop: Header=BB411_808 Depth=1
	v_bfrev_b32_e32 v6, 1
	s_mov_b32 s15, exec_lo
	v_cmpx_ne_u16_e32 0x80, v7
	s_cbranch_execz .LBB411_978
; %bb.973:                              ;   in Loop: Header=BB411_808 Depth=1
	v_and_b32_e32 v7, 0x7f, v2
	v_mov_b32_e32 v6, 0x7f800001
	s_mov_b32 s16, exec_lo
	s_delay_alu instid0(VALU_DEP_2)
	v_cmpx_ne_u32_e32 0x7f, v7
	s_cbranch_execz .LBB411_977
; %bb.974:                              ;   in Loop: Header=BB411_808 Depth=1
	v_lshrrev_b32_e32 v9, 3, v7
	v_cmp_gt_u32_e64 s1, 8, v7
	v_dual_mov_b32 v7, v3 :: v_dual_mov_b32 v6, v2
	s_delay_alu instid0(VALU_DEP_2)
	s_and_saveexec_b32 s17, s1
; %bb.975:                              ;   in Loop: Header=BB411_808 Depth=1
	v_and_b32_e32 v6, 7, v2
	s_delay_alu instid0(VALU_DEP_1) | instskip(NEXT) | instid1(VALU_DEP_1)
	v_clz_i32_u32_e32 v6, v6
	v_min_u32_e32 v9, 32, v6
	s_delay_alu instid0(VALU_DEP_1) | instskip(SKIP_1) | instid1(VALU_DEP_2)
	v_subrev_nc_u32_e32 v6, 28, v9
	v_sub_nc_u32_e32 v9, 29, v9
	v_lshlrev_b64 v[6:7], v6, v[2:3]
; %bb.976:                              ;   in Loop: Header=BB411_808 Depth=1
	s_or_b32 exec_lo, exec_lo, s17
	s_delay_alu instid0(VALU_DEP_1) | instskip(SKIP_2) | instid1(VALU_DEP_3)
	v_lshlrev_b32_e32 v6, 20, v6
	v_lshlrev_b32_e32 v7, 24, v2
	v_lshl_add_u32 v9, v9, 23, 0x3c000000
	v_and_b32_e32 v6, 0x700000, v6
	s_delay_alu instid0(VALU_DEP_3) | instskip(NEXT) | instid1(VALU_DEP_1)
	v_and_b32_e32 v7, 0x80000000, v7
	v_or3_b32 v6, v6, v7, v9
.LBB411_977:                            ;   in Loop: Header=BB411_808 Depth=1
	s_or_b32 exec_lo, exec_lo, s16
.LBB411_978:                            ;   in Loop: Header=BB411_808 Depth=1
	s_delay_alu instid0(SALU_CYCLE_1)
	s_or_b32 exec_lo, exec_lo, s15
.LBB411_979:                            ;   in Loop: Header=BB411_808 Depth=1
	s_delay_alu instid0(SALU_CYCLE_1) | instskip(NEXT) | instid1(VALU_DEP_1)
	s_or_b32 exec_lo, exec_lo, s13
	v_mul_f32_e32 v6, v8, v6
                                        ; implicit-def: $vgpr102
	s_delay_alu instid0(VALU_DEP_1) | instskip(NEXT) | instid1(VALU_DEP_1)
	v_and_b32_e32 v7, 0x7f800000, v6
	v_cmp_ne_u32_e64 s1, 0x7f800000, v7
	s_delay_alu instid0(VALU_DEP_1) | instskip(NEXT) | instid1(SALU_CYCLE_1)
	s_and_saveexec_b32 s13, s1
	s_xor_b32 s1, exec_lo, s13
; %bb.980:                              ;   in Loop: Header=BB411_808 Depth=1
	v_bfe_u32 v7, v6, 16, 1
	s_delay_alu instid0(VALU_DEP_1)
	v_add3_u32 v102, v6, v7, 0x7fff
                                        ; implicit-def: $vgpr6
; %bb.981:                              ;   in Loop: Header=BB411_808 Depth=1
	s_and_not1_saveexec_b32 s13, s1
; %bb.982:                              ;   in Loop: Header=BB411_808 Depth=1
	v_and_b32_e32 v7, 0xffff, v6
	v_or_b32_e32 v9, 0x10000, v6
	s_delay_alu instid0(VALU_DEP_2) | instskip(NEXT) | instid1(VALU_DEP_1)
	v_cmp_eq_u32_e64 s1, 0, v7
	v_cndmask_b32_e64 v102, v9, v6, s1
; %bb.983:                              ;   in Loop: Header=BB411_808 Depth=1
	s_or_b32 exec_lo, exec_lo, s13
	v_lshrrev_b16 v7, 8, v2
	v_mov_b32_e32 v6, 0
	s_mov_b32 s13, exec_lo
	s_delay_alu instid0(VALU_DEP_2)
	v_cmpx_ne_u16_e32 0, v7
	s_cbranch_execz .LBB411_991
; %bb.984:                              ;   in Loop: Header=BB411_808 Depth=1
	v_bfrev_b32_e32 v6, 1
	s_mov_b32 s15, exec_lo
	v_cmpx_ne_u16_e32 0x80, v7
	s_cbranch_execz .LBB411_990
; %bb.985:                              ;   in Loop: Header=BB411_808 Depth=1
	v_and_b32_e32 v9, 0xffff, v7
	v_mov_b32_e32 v6, 0x7f800001
	s_mov_b32 s16, exec_lo
	s_delay_alu instid0(VALU_DEP_2) | instskip(NEXT) | instid1(VALU_DEP_1)
	v_and_b32_e32 v7, 0x7f, v9
	v_cmpx_ne_u32_e32 0x7f, v7
	s_cbranch_execz .LBB411_989
; %bb.986:                              ;   in Loop: Header=BB411_808 Depth=1
	v_and_b32_e32 v9, 7, v9
	v_lshrrev_b32_e32 v6, 3, v7
	s_mov_b32 s17, exec_lo
	v_cmpx_gt_u32_e32 8, v7
; %bb.987:                              ;   in Loop: Header=BB411_808 Depth=1
	s_delay_alu instid0(VALU_DEP_3) | instskip(NEXT) | instid1(VALU_DEP_1)
	v_clz_i32_u32_e32 v6, v9
	v_min_u32_e32 v6, 32, v6
	s_delay_alu instid0(VALU_DEP_1) | instskip(SKIP_1) | instid1(VALU_DEP_2)
	v_subrev_nc_u32_e32 v7, 28, v6
	v_sub_nc_u32_e32 v6, 29, v6
	v_lshlrev_b64 v[112:113], v7, v[9:10]
	s_delay_alu instid0(VALU_DEP_1)
	v_and_b32_e32 v9, 7, v112
; %bb.988:                              ;   in Loop: Header=BB411_808 Depth=1
	s_or_b32 exec_lo, exec_lo, s17
	v_lshlrev_b32_e32 v7, 16, v2
	s_delay_alu instid0(VALU_DEP_2) | instskip(SKIP_1) | instid1(VALU_DEP_3)
	v_lshlrev_b32_e32 v9, 20, v9
	v_lshl_add_u32 v6, v6, 23, 0x3c000000
	v_and_b32_e32 v7, 0x80000000, v7
	s_delay_alu instid0(VALU_DEP_1)
	v_or3_b32 v6, v9, v7, v6
.LBB411_989:                            ;   in Loop: Header=BB411_808 Depth=1
	s_or_b32 exec_lo, exec_lo, s16
.LBB411_990:                            ;   in Loop: Header=BB411_808 Depth=1
	s_delay_alu instid0(SALU_CYCLE_1)
	s_or_b32 exec_lo, exec_lo, s15
.LBB411_991:                            ;   in Loop: Header=BB411_808 Depth=1
	s_delay_alu instid0(SALU_CYCLE_1) | instskip(NEXT) | instid1(VALU_DEP_1)
	s_or_b32 exec_lo, exec_lo, s13
	v_mul_f32_e32 v6, v8, v6
                                        ; implicit-def: $vgpr103
	s_delay_alu instid0(VALU_DEP_1) | instskip(NEXT) | instid1(VALU_DEP_1)
	v_and_b32_e32 v7, 0x7f800000, v6
	v_cmp_ne_u32_e64 s1, 0x7f800000, v7
	s_delay_alu instid0(VALU_DEP_1) | instskip(NEXT) | instid1(SALU_CYCLE_1)
	s_and_saveexec_b32 s13, s1
	s_xor_b32 s1, exec_lo, s13
; %bb.992:                              ;   in Loop: Header=BB411_808 Depth=1
	v_bfe_u32 v7, v6, 16, 1
	s_delay_alu instid0(VALU_DEP_1)
	v_add3_u32 v103, v6, v7, 0x7fff
                                        ; implicit-def: $vgpr6
; %bb.993:                              ;   in Loop: Header=BB411_808 Depth=1
	s_and_not1_saveexec_b32 s13, s1
; %bb.994:                              ;   in Loop: Header=BB411_808 Depth=1
	v_and_b32_e32 v7, 0xffff, v6
	v_or_b32_e32 v9, 0x10000, v6
	s_delay_alu instid0(VALU_DEP_2) | instskip(NEXT) | instid1(VALU_DEP_1)
	v_cmp_eq_u32_e64 s1, 0, v7
	v_cndmask_b32_e64 v103, v9, v6, s1
; %bb.995:                              ;   in Loop: Header=BB411_808 Depth=1
	s_or_b32 exec_lo, exec_lo, s13
	v_lshrrev_b32_e32 v6, 16, v2
	v_mov_b32_e32 v7, 0
	s_mov_b32 s13, exec_lo
	s_delay_alu instid0(VALU_DEP_2) | instskip(NEXT) | instid1(VALU_DEP_1)
	v_and_b32_e32 v9, 0xff, v6
	v_cmpx_ne_u16_e32 0, v9
	s_cbranch_execz .LBB411_1003
; %bb.996:                              ;   in Loop: Header=BB411_808 Depth=1
	v_bfrev_b32_e32 v7, 1
	s_mov_b32 s15, exec_lo
	v_cmpx_ne_u16_e32 0x80, v9
	s_cbranch_execz .LBB411_1002
; %bb.997:                              ;   in Loop: Header=BB411_808 Depth=1
	v_bfe_u32 v112, v2, 16, 7
	v_mov_b32_e32 v7, 0x7f800001
	s_mov_b32 s16, exec_lo
	s_delay_alu instid0(VALU_DEP_2)
	v_cmpx_ne_u32_e32 0x7f, v112
	s_cbranch_execz .LBB411_1001
; %bb.998:                              ;   in Loop: Header=BB411_808 Depth=1
	v_and_b32_e32 v9, 7, v6
	v_lshrrev_b32_e32 v7, 3, v112
	s_mov_b32 s17, exec_lo
	v_cmpx_gt_u32_e32 8, v112
; %bb.999:                              ;   in Loop: Header=BB411_808 Depth=1
	s_delay_alu instid0(VALU_DEP_3) | instskip(NEXT) | instid1(VALU_DEP_1)
	v_clz_i32_u32_e32 v7, v9
	v_min_u32_e32 v7, 32, v7
	s_delay_alu instid0(VALU_DEP_1) | instskip(SKIP_1) | instid1(VALU_DEP_2)
	v_subrev_nc_u32_e32 v112, 28, v7
	v_sub_nc_u32_e32 v7, 29, v7
	v_lshlrev_b64 v[112:113], v112, v[9:10]
	s_delay_alu instid0(VALU_DEP_1)
	v_and_b32_e32 v9, 7, v112
; %bb.1000:                             ;   in Loop: Header=BB411_808 Depth=1
	s_or_b32 exec_lo, exec_lo, s17
	v_lshlrev_b32_e32 v6, 24, v6
	s_delay_alu instid0(VALU_DEP_2) | instskip(SKIP_1) | instid1(VALU_DEP_3)
	v_lshlrev_b32_e32 v9, 20, v9
	v_lshl_add_u32 v7, v7, 23, 0x3c000000
	v_and_b32_e32 v6, 0x80000000, v6
	s_delay_alu instid0(VALU_DEP_1)
	v_or3_b32 v7, v9, v6, v7
.LBB411_1001:                           ;   in Loop: Header=BB411_808 Depth=1
	s_or_b32 exec_lo, exec_lo, s16
.LBB411_1002:                           ;   in Loop: Header=BB411_808 Depth=1
	s_delay_alu instid0(SALU_CYCLE_1)
	s_or_b32 exec_lo, exec_lo, s15
.LBB411_1003:                           ;   in Loop: Header=BB411_808 Depth=1
	s_delay_alu instid0(SALU_CYCLE_1) | instskip(NEXT) | instid1(VALU_DEP_1)
	s_or_b32 exec_lo, exec_lo, s13
	v_mul_f32_e32 v6, v8, v7
                                        ; implicit-def: $vgpr112
	s_delay_alu instid0(VALU_DEP_1) | instskip(NEXT) | instid1(VALU_DEP_1)
	v_and_b32_e32 v7, 0x7f800000, v6
	v_cmp_ne_u32_e64 s1, 0x7f800000, v7
	s_delay_alu instid0(VALU_DEP_1) | instskip(NEXT) | instid1(SALU_CYCLE_1)
	s_and_saveexec_b32 s13, s1
	s_xor_b32 s1, exec_lo, s13
; %bb.1004:                             ;   in Loop: Header=BB411_808 Depth=1
	v_bfe_u32 v7, v6, 16, 1
	s_delay_alu instid0(VALU_DEP_1)
	v_add3_u32 v112, v6, v7, 0x7fff
                                        ; implicit-def: $vgpr6
; %bb.1005:                             ;   in Loop: Header=BB411_808 Depth=1
	s_and_not1_saveexec_b32 s13, s1
; %bb.1006:                             ;   in Loop: Header=BB411_808 Depth=1
	v_and_b32_e32 v7, 0xffff, v6
	v_or_b32_e32 v9, 0x10000, v6
	s_delay_alu instid0(VALU_DEP_2) | instskip(NEXT) | instid1(VALU_DEP_1)
	v_cmp_eq_u32_e64 s1, 0, v7
	v_cndmask_b32_e64 v112, v9, v6, s1
; %bb.1007:                             ;   in Loop: Header=BB411_808 Depth=1
	s_or_b32 exec_lo, exec_lo, s13
	v_mov_b32_e32 v7, 0
	s_mov_b32 s13, exec_lo
	v_cmpx_lt_u32_e32 0xffffff, v2
	s_cbranch_execz .LBB411_1015
; %bb.1008:                             ;   in Loop: Header=BB411_808 Depth=1
	v_lshrrev_b32_e32 v6, 24, v2
	v_bfrev_b32_e32 v7, 1
	s_mov_b32 s15, exec_lo
	s_delay_alu instid0(VALU_DEP_2)
	v_cmpx_ne_u32_e32 0x80, v6
	s_cbranch_execz .LBB411_1014
; %bb.1009:                             ;   in Loop: Header=BB411_808 Depth=1
	v_bfe_u32 v113, v2, 24, 7
	v_mov_b32_e32 v7, 0x7f800001
	s_mov_b32 s16, exec_lo
	s_delay_alu instid0(VALU_DEP_2)
	v_cmpx_ne_u32_e32 0x7f, v113
	s_cbranch_execz .LBB411_1013
; %bb.1010:                             ;   in Loop: Header=BB411_808 Depth=1
	v_and_b32_e32 v9, 7, v6
	v_lshrrev_b32_e32 v7, 3, v113
	s_mov_b32 s17, exec_lo
	v_cmpx_gt_u32_e32 8, v113
; %bb.1011:                             ;   in Loop: Header=BB411_808 Depth=1
	s_delay_alu instid0(VALU_DEP_3) | instskip(NEXT) | instid1(VALU_DEP_1)
	v_clz_i32_u32_e32 v7, v9
	v_min_u32_e32 v7, 32, v7
	s_delay_alu instid0(VALU_DEP_1) | instskip(SKIP_1) | instid1(VALU_DEP_2)
	v_subrev_nc_u32_e32 v113, 28, v7
	v_sub_nc_u32_e32 v7, 29, v7
	v_lshlrev_b64 v[113:114], v113, v[9:10]
	s_delay_alu instid0(VALU_DEP_1)
	v_and_b32_e32 v9, 7, v113
; %bb.1012:                             ;   in Loop: Header=BB411_808 Depth=1
	s_or_b32 exec_lo, exec_lo, s17
	v_lshlrev_b32_e32 v6, 24, v6
	s_delay_alu instid0(VALU_DEP_2) | instskip(SKIP_1) | instid1(VALU_DEP_3)
	v_lshlrev_b32_e32 v9, 20, v9
	v_lshl_add_u32 v7, v7, 23, 0x3c000000
	v_and_b32_e32 v6, 0x80000000, v6
	s_delay_alu instid0(VALU_DEP_1)
	v_or3_b32 v7, v9, v6, v7
.LBB411_1013:                           ;   in Loop: Header=BB411_808 Depth=1
	s_or_b32 exec_lo, exec_lo, s16
.LBB411_1014:                           ;   in Loop: Header=BB411_808 Depth=1
	s_delay_alu instid0(SALU_CYCLE_1)
	s_or_b32 exec_lo, exec_lo, s15
.LBB411_1015:                           ;   in Loop: Header=BB411_808 Depth=1
	s_delay_alu instid0(SALU_CYCLE_1) | instskip(NEXT) | instid1(VALU_DEP_1)
	s_or_b32 exec_lo, exec_lo, s13
	v_mul_f32_e32 v6, v8, v7
                                        ; implicit-def: $vgpr113
	s_delay_alu instid0(VALU_DEP_1) | instskip(NEXT) | instid1(VALU_DEP_1)
	v_and_b32_e32 v7, 0x7f800000, v6
	v_cmp_ne_u32_e64 s1, 0x7f800000, v7
	s_delay_alu instid0(VALU_DEP_1) | instskip(NEXT) | instid1(SALU_CYCLE_1)
	s_and_saveexec_b32 s13, s1
	s_xor_b32 s1, exec_lo, s13
; %bb.1016:                             ;   in Loop: Header=BB411_808 Depth=1
	v_bfe_u32 v7, v6, 16, 1
	s_delay_alu instid0(VALU_DEP_1)
	v_add3_u32 v113, v6, v7, 0x7fff
                                        ; implicit-def: $vgpr6
; %bb.1017:                             ;   in Loop: Header=BB411_808 Depth=1
	s_and_not1_saveexec_b32 s13, s1
; %bb.1018:                             ;   in Loop: Header=BB411_808 Depth=1
	v_and_b32_e32 v7, 0xffff, v6
	v_or_b32_e32 v9, 0x10000, v6
	s_delay_alu instid0(VALU_DEP_2) | instskip(NEXT) | instid1(VALU_DEP_1)
	v_cmp_eq_u32_e64 s1, 0, v7
	v_cndmask_b32_e64 v113, v9, v6, s1
; %bb.1019:                             ;   in Loop: Header=BB411_808 Depth=1
	s_or_b32 exec_lo, exec_lo, s13
	v_dual_mov_b32 v6, 0 :: v_dual_and_b32 v7, 0xff, v3
	v_mov_b32_e32 v9, v3
	s_mov_b32 s13, exec_lo
	s_delay_alu instid0(VALU_DEP_2)
	v_cmpx_ne_u16_e32 0, v7
	s_cbranch_execz .LBB411_1027
; %bb.1020:                             ;   in Loop: Header=BB411_808 Depth=1
	v_bfrev_b32_e32 v6, 1
	s_mov_b32 s15, exec_lo
	v_cmpx_ne_u16_e32 0x80, v7
	s_cbranch_execz .LBB411_1026
; %bb.1021:                             ;   in Loop: Header=BB411_808 Depth=1
	v_and_b32_e32 v7, 0x7f, v3
	v_mov_b32_e32 v6, 0x7f800001
	s_mov_b32 s16, exec_lo
	s_delay_alu instid0(VALU_DEP_2)
	v_cmpx_ne_u32_e32 0x7f, v7
	s_cbranch_execz .LBB411_1025
; %bb.1022:                             ;   in Loop: Header=BB411_808 Depth=1
	v_lshrrev_b32_e32 v114, 3, v7
	v_cmp_gt_u32_e64 s1, 8, v7
	v_dual_mov_b32 v6, v9 :: v_dual_mov_b32 v7, v10
	s_delay_alu instid0(VALU_DEP_2)
	s_and_saveexec_b32 s17, s1
; %bb.1023:                             ;   in Loop: Header=BB411_808 Depth=1
	v_and_b32_e32 v6, 7, v3
	s_delay_alu instid0(VALU_DEP_1) | instskip(NEXT) | instid1(VALU_DEP_1)
	v_clz_i32_u32_e32 v6, v6
	v_min_u32_e32 v114, 32, v6
	s_delay_alu instid0(VALU_DEP_1) | instskip(SKIP_1) | instid1(VALU_DEP_2)
	v_subrev_nc_u32_e32 v6, 28, v114
	v_sub_nc_u32_e32 v114, 29, v114
	v_lshlrev_b64 v[6:7], v6, v[9:10]
; %bb.1024:                             ;   in Loop: Header=BB411_808 Depth=1
	s_or_b32 exec_lo, exec_lo, s17
	s_delay_alu instid0(VALU_DEP_1) | instskip(SKIP_2) | instid1(VALU_DEP_3)
	v_lshlrev_b32_e32 v6, 20, v6
	v_lshlrev_b32_e32 v7, 24, v9
	v_lshl_add_u32 v114, v114, 23, 0x3c000000
	v_and_b32_e32 v6, 0x700000, v6
	s_delay_alu instid0(VALU_DEP_3) | instskip(NEXT) | instid1(VALU_DEP_1)
	v_and_b32_e32 v7, 0x80000000, v7
	v_or3_b32 v6, v6, v7, v114
.LBB411_1025:                           ;   in Loop: Header=BB411_808 Depth=1
	s_or_b32 exec_lo, exec_lo, s16
.LBB411_1026:                           ;   in Loop: Header=BB411_808 Depth=1
	s_delay_alu instid0(SALU_CYCLE_1)
	s_or_b32 exec_lo, exec_lo, s15
.LBB411_1027:                           ;   in Loop: Header=BB411_808 Depth=1
	s_delay_alu instid0(SALU_CYCLE_1) | instskip(NEXT) | instid1(VALU_DEP_1)
	s_or_b32 exec_lo, exec_lo, s13
	v_mul_f32_e32 v6, v8, v6
                                        ; implicit-def: $vgpr114
	s_delay_alu instid0(VALU_DEP_1) | instskip(NEXT) | instid1(VALU_DEP_1)
	v_and_b32_e32 v7, 0x7f800000, v6
	v_cmp_ne_u32_e64 s1, 0x7f800000, v7
	s_delay_alu instid0(VALU_DEP_1) | instskip(NEXT) | instid1(SALU_CYCLE_1)
	s_and_saveexec_b32 s13, s1
	s_xor_b32 s1, exec_lo, s13
; %bb.1028:                             ;   in Loop: Header=BB411_808 Depth=1
	v_bfe_u32 v7, v6, 16, 1
	s_delay_alu instid0(VALU_DEP_1)
	v_add3_u32 v114, v6, v7, 0x7fff
                                        ; implicit-def: $vgpr6
; %bb.1029:                             ;   in Loop: Header=BB411_808 Depth=1
	s_and_not1_saveexec_b32 s13, s1
; %bb.1030:                             ;   in Loop: Header=BB411_808 Depth=1
	v_and_b32_e32 v7, 0xffff, v6
	v_or_b32_e32 v114, 0x10000, v6
	s_delay_alu instid0(VALU_DEP_2) | instskip(NEXT) | instid1(VALU_DEP_1)
	v_cmp_eq_u32_e64 s1, 0, v7
	v_cndmask_b32_e64 v114, v114, v6, s1
; %bb.1031:                             ;   in Loop: Header=BB411_808 Depth=1
	s_or_b32 exec_lo, exec_lo, s13
	v_lshrrev_b16 v7, 8, v9
	v_mov_b32_e32 v6, 0
	s_mov_b32 s13, exec_lo
	s_delay_alu instid0(VALU_DEP_2)
	v_cmpx_ne_u16_e32 0, v7
	s_cbranch_execz .LBB411_1039
; %bb.1032:                             ;   in Loop: Header=BB411_808 Depth=1
	v_bfrev_b32_e32 v6, 1
	s_mov_b32 s15, exec_lo
	v_cmpx_ne_u16_e32 0x80, v7
	s_cbranch_execz .LBB411_1038
; %bb.1033:                             ;   in Loop: Header=BB411_808 Depth=1
	v_and_b32_e32 v7, 0xffff, v7
	v_mov_b32_e32 v6, 0x7f800001
	s_mov_b32 s16, exec_lo
	s_delay_alu instid0(VALU_DEP_2) | instskip(NEXT) | instid1(VALU_DEP_1)
	v_and_b32_e32 v116, 0x7f, v7
	v_cmpx_ne_u32_e32 0x7f, v116
	s_cbranch_execz .LBB411_1037
; %bb.1034:                             ;   in Loop: Header=BB411_808 Depth=1
	v_dual_mov_b32 v7, v10 :: v_dual_and_b32 v6, 7, v7
	v_lshrrev_b32_e32 v115, 3, v116
	s_mov_b32 s17, exec_lo
	v_cmpx_gt_u32_e32 8, v116
; %bb.1035:                             ;   in Loop: Header=BB411_808 Depth=1
	s_delay_alu instid0(VALU_DEP_3) | instskip(NEXT) | instid1(VALU_DEP_1)
	v_clz_i32_u32_e32 v115, v6
	v_min_u32_e32 v115, 32, v115
	s_delay_alu instid0(VALU_DEP_1) | instskip(SKIP_1) | instid1(VALU_DEP_2)
	v_subrev_nc_u32_e32 v116, 28, v115
	v_sub_nc_u32_e32 v115, 29, v115
	v_lshlrev_b64 v[6:7], v116, v[6:7]
	s_delay_alu instid0(VALU_DEP_1)
	v_and_b32_e32 v6, 7, v6
; %bb.1036:                             ;   in Loop: Header=BB411_808 Depth=1
	s_or_b32 exec_lo, exec_lo, s17
	v_lshlrev_b32_e32 v7, 16, v9
	s_delay_alu instid0(VALU_DEP_2) | instskip(SKIP_1) | instid1(VALU_DEP_3)
	v_lshlrev_b32_e32 v6, 20, v6
	v_lshl_add_u32 v9, v115, 23, 0x3c000000
	v_and_b32_e32 v7, 0x80000000, v7
	s_delay_alu instid0(VALU_DEP_1)
	v_or3_b32 v6, v6, v7, v9
.LBB411_1037:                           ;   in Loop: Header=BB411_808 Depth=1
	s_or_b32 exec_lo, exec_lo, s16
.LBB411_1038:                           ;   in Loop: Header=BB411_808 Depth=1
	s_delay_alu instid0(SALU_CYCLE_1)
	s_or_b32 exec_lo, exec_lo, s15
.LBB411_1039:                           ;   in Loop: Header=BB411_808 Depth=1
	s_delay_alu instid0(SALU_CYCLE_1) | instskip(NEXT) | instid1(VALU_DEP_1)
	s_or_b32 exec_lo, exec_lo, s13
	v_mul_f32_e32 v7, v8, v6
	s_delay_alu instid0(VALU_DEP_1) | instskip(NEXT) | instid1(VALU_DEP_1)
	v_and_b32_e32 v6, 0x7f800000, v7
	v_cmp_ne_u32_e64 s1, 0x7f800000, v6
                                        ; implicit-def: $vgpr6
	s_delay_alu instid0(VALU_DEP_1) | instskip(NEXT) | instid1(SALU_CYCLE_1)
	s_and_saveexec_b32 s13, s1
	s_xor_b32 s1, exec_lo, s13
; %bb.1040:                             ;   in Loop: Header=BB411_808 Depth=1
	v_bfe_u32 v6, v7, 16, 1
	s_delay_alu instid0(VALU_DEP_1)
	v_add3_u32 v6, v7, v6, 0x7fff
                                        ; implicit-def: $vgpr7
; %bb.1041:                             ;   in Loop: Header=BB411_808 Depth=1
	s_and_not1_saveexec_b32 s13, s1
; %bb.1042:                             ;   in Loop: Header=BB411_808 Depth=1
	v_and_b32_e32 v6, 0xffff, v7
	v_or_b32_e32 v9, 0x10000, v7
	s_delay_alu instid0(VALU_DEP_2) | instskip(NEXT) | instid1(VALU_DEP_1)
	v_cmp_eq_u32_e64 s1, 0, v6
	v_cndmask_b32_e64 v6, v9, v7, s1
; %bb.1043:                             ;   in Loop: Header=BB411_808 Depth=1
	s_or_b32 exec_lo, exec_lo, s13
	v_lshrrev_b32_e32 v7, 16, v3
	v_mov_b32_e32 v9, 0
	s_mov_b32 s13, exec_lo
	s_delay_alu instid0(VALU_DEP_2) | instskip(NEXT) | instid1(VALU_DEP_1)
	v_and_b32_e32 v115, 0xff, v7
	v_cmpx_ne_u16_e32 0, v115
	s_cbranch_execz .LBB411_1051
; %bb.1044:                             ;   in Loop: Header=BB411_808 Depth=1
	v_bfrev_b32_e32 v9, 1
	s_mov_b32 s15, exec_lo
	v_cmpx_ne_u16_e32 0x80, v115
	s_cbranch_execz .LBB411_1050
; %bb.1045:                             ;   in Loop: Header=BB411_808 Depth=1
	v_bfe_u32 v116, v3, 16, 7
	v_mov_b32_e32 v9, 0x7f800001
	s_mov_b32 s16, exec_lo
	s_delay_alu instid0(VALU_DEP_2)
	v_cmpx_ne_u32_e32 0x7f, v116
	s_cbranch_execz .LBB411_1049
; %bb.1046:                             ;   in Loop: Header=BB411_808 Depth=1
	v_and_b32_e32 v9, 7, v7
	v_lshrrev_b32_e32 v115, 3, v116
	s_mov_b32 s17, exec_lo
	v_cmpx_gt_u32_e32 8, v116
; %bb.1047:                             ;   in Loop: Header=BB411_808 Depth=1
	s_delay_alu instid0(VALU_DEP_3) | instskip(NEXT) | instid1(VALU_DEP_1)
	v_clz_i32_u32_e32 v115, v9
	v_min_u32_e32 v115, 32, v115
	s_delay_alu instid0(VALU_DEP_1) | instskip(SKIP_1) | instid1(VALU_DEP_2)
	v_subrev_nc_u32_e32 v116, 28, v115
	v_sub_nc_u32_e32 v115, 29, v115
	v_lshlrev_b64 v[116:117], v116, v[9:10]
	s_delay_alu instid0(VALU_DEP_1)
	v_and_b32_e32 v9, 7, v116
; %bb.1048:                             ;   in Loop: Header=BB411_808 Depth=1
	s_or_b32 exec_lo, exec_lo, s17
	v_lshlrev_b32_e32 v7, 24, v7
	s_delay_alu instid0(VALU_DEP_2) | instskip(SKIP_1) | instid1(VALU_DEP_3)
	v_lshlrev_b32_e32 v9, 20, v9
	v_lshl_add_u32 v115, v115, 23, 0x3c000000
	v_and_b32_e32 v7, 0x80000000, v7
	s_delay_alu instid0(VALU_DEP_1)
	v_or3_b32 v9, v9, v7, v115
.LBB411_1049:                           ;   in Loop: Header=BB411_808 Depth=1
	s_or_b32 exec_lo, exec_lo, s16
.LBB411_1050:                           ;   in Loop: Header=BB411_808 Depth=1
	s_delay_alu instid0(SALU_CYCLE_1)
	s_or_b32 exec_lo, exec_lo, s15
.LBB411_1051:                           ;   in Loop: Header=BB411_808 Depth=1
	s_delay_alu instid0(SALU_CYCLE_1) | instskip(NEXT) | instid1(VALU_DEP_1)
	s_or_b32 exec_lo, exec_lo, s13
	v_mul_f32_e32 v7, v8, v9
                                        ; implicit-def: $vgpr115
	s_delay_alu instid0(VALU_DEP_1) | instskip(NEXT) | instid1(VALU_DEP_1)
	v_and_b32_e32 v9, 0x7f800000, v7
	v_cmp_ne_u32_e64 s1, 0x7f800000, v9
	s_delay_alu instid0(VALU_DEP_1) | instskip(NEXT) | instid1(SALU_CYCLE_1)
	s_and_saveexec_b32 s13, s1
	s_xor_b32 s1, exec_lo, s13
; %bb.1052:                             ;   in Loop: Header=BB411_808 Depth=1
	v_bfe_u32 v9, v7, 16, 1
	s_delay_alu instid0(VALU_DEP_1)
	v_add3_u32 v115, v7, v9, 0x7fff
                                        ; implicit-def: $vgpr7
; %bb.1053:                             ;   in Loop: Header=BB411_808 Depth=1
	s_and_not1_saveexec_b32 s13, s1
; %bb.1054:                             ;   in Loop: Header=BB411_808 Depth=1
	v_and_b32_e32 v9, 0xffff, v7
	v_or_b32_e32 v115, 0x10000, v7
	s_delay_alu instid0(VALU_DEP_2) | instskip(NEXT) | instid1(VALU_DEP_1)
	v_cmp_eq_u32_e64 s1, 0, v9
	v_cndmask_b32_e64 v115, v115, v7, s1
; %bb.1055:                             ;   in Loop: Header=BB411_808 Depth=1
	s_or_b32 exec_lo, exec_lo, s13
	v_mov_b32_e32 v7, 0
	s_mov_b32 s13, exec_lo
	v_cmpx_lt_u64_e64 s[4:5], v[2:3]
	s_cbranch_execz .LBB411_1063
; %bb.1056:                             ;   in Loop: Header=BB411_808 Depth=1
	v_lshrrev_b32_e32 v2, 24, v3
	v_bfrev_b32_e32 v7, 1
	s_mov_b32 s15, exec_lo
	s_delay_alu instid0(VALU_DEP_2)
	v_cmpx_ne_u32_e32 0x80, v2
	s_cbranch_execz .LBB411_1062
; %bb.1057:                             ;   in Loop: Header=BB411_808 Depth=1
	v_bfe_u32 v116, v3, 24, 7
	v_mov_b32_e32 v7, 0x7f800001
	s_mov_b32 s16, exec_lo
	s_delay_alu instid0(VALU_DEP_2)
	v_cmpx_ne_u32_e32 0x7f, v116
	s_cbranch_execz .LBB411_1061
; %bb.1058:                             ;   in Loop: Header=BB411_808 Depth=1
	v_and_b32_e32 v9, 7, v2
	v_lshrrev_b32_e32 v3, 3, v116
	s_mov_b32 s17, exec_lo
	v_cmpx_gt_u32_e32 8, v116
; %bb.1059:                             ;   in Loop: Header=BB411_808 Depth=1
	s_delay_alu instid0(VALU_DEP_3) | instskip(NEXT) | instid1(VALU_DEP_1)
	v_clz_i32_u32_e32 v3, v9
	v_min_u32_e32 v3, 32, v3
	s_delay_alu instid0(VALU_DEP_1) | instskip(SKIP_1) | instid1(VALU_DEP_2)
	v_subrev_nc_u32_e32 v7, 28, v3
	v_sub_nc_u32_e32 v3, 29, v3
	v_lshlrev_b64 v[116:117], v7, v[9:10]
	s_delay_alu instid0(VALU_DEP_1)
	v_and_b32_e32 v9, 7, v116
; %bb.1060:                             ;   in Loop: Header=BB411_808 Depth=1
	s_or_b32 exec_lo, exec_lo, s17
	v_lshlrev_b32_e32 v2, 24, v2
	s_delay_alu instid0(VALU_DEP_2) | instskip(SKIP_1) | instid1(VALU_DEP_3)
	v_lshlrev_b32_e32 v7, 20, v9
	v_lshl_add_u32 v3, v3, 23, 0x3c000000
	v_and_b32_e32 v2, 0x80000000, v2
	s_delay_alu instid0(VALU_DEP_1)
	v_or3_b32 v7, v7, v2, v3
.LBB411_1061:                           ;   in Loop: Header=BB411_808 Depth=1
	s_or_b32 exec_lo, exec_lo, s16
.LBB411_1062:                           ;   in Loop: Header=BB411_808 Depth=1
	s_delay_alu instid0(SALU_CYCLE_1)
	s_or_b32 exec_lo, exec_lo, s15
.LBB411_1063:                           ;   in Loop: Header=BB411_808 Depth=1
	s_delay_alu instid0(SALU_CYCLE_1) | instskip(NEXT) | instid1(VALU_DEP_1)
	s_or_b32 exec_lo, exec_lo, s13
	v_mul_f32_e32 v3, v8, v7
	s_delay_alu instid0(VALU_DEP_1) | instskip(NEXT) | instid1(VALU_DEP_1)
	v_and_b32_e32 v2, 0x7f800000, v3
	v_cmp_ne_u32_e64 s1, 0x7f800000, v2
                                        ; implicit-def: $vgpr2
	s_delay_alu instid0(VALU_DEP_1) | instskip(NEXT) | instid1(SALU_CYCLE_1)
	s_and_saveexec_b32 s13, s1
	s_xor_b32 s1, exec_lo, s13
; %bb.1064:                             ;   in Loop: Header=BB411_808 Depth=1
	v_bfe_u32 v2, v3, 16, 1
	s_delay_alu instid0(VALU_DEP_1)
	v_add3_u32 v2, v3, v2, 0x7fff
                                        ; implicit-def: $vgpr3
; %bb.1065:                             ;   in Loop: Header=BB411_808 Depth=1
	s_and_not1_saveexec_b32 s13, s1
; %bb.1066:                             ;   in Loop: Header=BB411_808 Depth=1
	v_and_b32_e32 v2, 0xffff, v3
	v_or_b32_e32 v7, 0x10000, v3
	s_delay_alu instid0(VALU_DEP_2) | instskip(NEXT) | instid1(VALU_DEP_1)
	v_cmp_eq_u32_e64 s1, 0, v2
	v_cndmask_b32_e64 v2, v7, v3, s1
; %bb.1067:                             ;   in Loop: Header=BB411_808 Depth=1
	s_or_b32 exec_lo, exec_lo, s13
	v_lshrrev_b32_e32 v6, 16, v6
	v_lshrrev_b32_e32 v7, 16, v114
	;; [unrolled: 1-line block ×8, first 2 shown]
	s_and_saveexec_b32 s13, vcc_lo
	s_cbranch_execz .LBB411_1069
; %bb.1068:                             ;   in Loop: Header=BB411_808 Depth=1
	v_cmp_lt_i32_e64 s1, v53, v83
	s_delay_alu instid0(VALU_DEP_1) | instskip(SKIP_1) | instid1(VALU_DEP_1)
	v_cndmask_b32_e64 v102, 0, v102, s1
	v_cmp_lt_i32_e64 s1, v69, v83
	v_cndmask_b32_e64 v103, 0, v103, s1
	v_cmp_lt_i32_e64 s1, v68, v83
	s_delay_alu instid0(VALU_DEP_1) | instskip(SKIP_1) | instid1(VALU_DEP_1)
	v_cndmask_b32_e64 v112, 0, v112, s1
	v_cmp_lt_i32_e64 s1, v67, v83
	v_cndmask_b32_e64 v9, 0, v9, s1
	;; [unrolled: 5-line block ×4, first 2 shown]
.LBB411_1069:                           ;   in Loop: Header=BB411_808 Depth=1
	s_or_b32 exec_lo, exec_lo, s13
	v_lshlrev_b32_e32 v102, 16, v102
	s_delay_alu instid0(VALU_DEP_1) | instskip(NEXT) | instid1(VALU_DEP_1)
	v_mul_f32_e32 v113, v70, v102
	v_and_b32_e32 v102, 0x7f800000, v113
	s_delay_alu instid0(VALU_DEP_1) | instskip(NEXT) | instid1(VALU_DEP_1)
	v_cmp_ne_u32_e64 s1, 0x7f800000, v102
                                        ; implicit-def: $vgpr102
	s_and_saveexec_b32 s13, s1
	s_delay_alu instid0(SALU_CYCLE_1)
	s_xor_b32 s1, exec_lo, s13
; %bb.1070:                             ;   in Loop: Header=BB411_808 Depth=1
	v_bfe_u32 v102, v113, 16, 1
	s_delay_alu instid0(VALU_DEP_1)
	v_add3_u32 v102, v113, v102, 0x7fff
                                        ; implicit-def: $vgpr113
; %bb.1071:                             ;   in Loop: Header=BB411_808 Depth=1
	s_and_not1_saveexec_b32 s13, s1
; %bb.1072:                             ;   in Loop: Header=BB411_808 Depth=1
	v_and_b32_e32 v102, 0xffff, v113
	v_or_b32_e32 v114, 0x10000, v113
	s_delay_alu instid0(VALU_DEP_2) | instskip(NEXT) | instid1(VALU_DEP_1)
	v_cmp_eq_u32_e64 s1, 0, v102
	v_cndmask_b32_e64 v102, v114, v113, s1
; %bb.1073:                             ;   in Loop: Header=BB411_808 Depth=1
	s_or_b32 exec_lo, exec_lo, s13
	v_lshlrev_b32_e32 v103, 16, v103
	s_delay_alu instid0(VALU_DEP_1) | instskip(NEXT) | instid1(VALU_DEP_1)
	v_mul_f32_e32 v113, v71, v103
	v_and_b32_e32 v103, 0x7f800000, v113
	s_delay_alu instid0(VALU_DEP_1) | instskip(NEXT) | instid1(VALU_DEP_1)
	v_cmp_ne_u32_e64 s1, 0x7f800000, v103
                                        ; implicit-def: $vgpr103
	s_and_saveexec_b32 s13, s1
	s_delay_alu instid0(SALU_CYCLE_1)
	s_xor_b32 s1, exec_lo, s13
; %bb.1074:                             ;   in Loop: Header=BB411_808 Depth=1
	v_bfe_u32 v103, v113, 16, 1
	s_delay_alu instid0(VALU_DEP_1)
	v_add3_u32 v103, v113, v103, 0x7fff
                                        ; implicit-def: $vgpr113
; %bb.1075:                             ;   in Loop: Header=BB411_808 Depth=1
	s_and_not1_saveexec_b32 s13, s1
; %bb.1076:                             ;   in Loop: Header=BB411_808 Depth=1
	v_and_b32_e32 v103, 0xffff, v113
	v_or_b32_e32 v114, 0x10000, v113
	s_delay_alu instid0(VALU_DEP_2) | instskip(NEXT) | instid1(VALU_DEP_1)
	v_cmp_eq_u32_e64 s1, 0, v103
	v_cndmask_b32_e64 v103, v114, v113, s1
; %bb.1077:                             ;   in Loop: Header=BB411_808 Depth=1
	s_or_b32 exec_lo, exec_lo, s13
	v_lshlrev_b32_e32 v112, 16, v112
	s_delay_alu instid0(VALU_DEP_1) | instskip(NEXT) | instid1(VALU_DEP_1)
	v_mul_f32_e32 v113, v80, v112
	v_and_b32_e32 v112, 0x7f800000, v113
	s_delay_alu instid0(VALU_DEP_1) | instskip(NEXT) | instid1(VALU_DEP_1)
	v_cmp_ne_u32_e64 s1, 0x7f800000, v112
                                        ; implicit-def: $vgpr112
	s_and_saveexec_b32 s13, s1
	s_delay_alu instid0(SALU_CYCLE_1)
	s_xor_b32 s1, exec_lo, s13
; %bb.1078:                             ;   in Loop: Header=BB411_808 Depth=1
	v_bfe_u32 v112, v113, 16, 1
	s_delay_alu instid0(VALU_DEP_1)
	v_add3_u32 v112, v113, v112, 0x7fff
                                        ; implicit-def: $vgpr113
; %bb.1079:                             ;   in Loop: Header=BB411_808 Depth=1
	s_and_not1_saveexec_b32 s13, s1
; %bb.1080:                             ;   in Loop: Header=BB411_808 Depth=1
	v_and_b32_e32 v112, 0xffff, v113
	v_or_b32_e32 v114, 0x10000, v113
	s_delay_alu instid0(VALU_DEP_2) | instskip(NEXT) | instid1(VALU_DEP_1)
	v_cmp_eq_u32_e64 s1, 0, v112
	v_cndmask_b32_e64 v112, v114, v113, s1
; %bb.1081:                             ;   in Loop: Header=BB411_808 Depth=1
	s_or_b32 exec_lo, exec_lo, s13
	v_lshlrev_b32_e32 v9, 16, v9
	s_delay_alu instid0(VALU_DEP_1) | instskip(NEXT) | instid1(VALU_DEP_1)
	v_mul_f32_e32 v9, v81, v9
	v_and_b32_e32 v113, 0x7f800000, v9
	s_delay_alu instid0(VALU_DEP_1) | instskip(NEXT) | instid1(VALU_DEP_1)
	v_cmp_ne_u32_e64 s1, 0x7f800000, v113
                                        ; implicit-def: $vgpr113
	s_and_saveexec_b32 s13, s1
	s_delay_alu instid0(SALU_CYCLE_1)
	s_xor_b32 s1, exec_lo, s13
; %bb.1082:                             ;   in Loop: Header=BB411_808 Depth=1
	v_bfe_u32 v113, v9, 16, 1
	s_delay_alu instid0(VALU_DEP_1)
	v_add3_u32 v113, v9, v113, 0x7fff
                                        ; implicit-def: $vgpr9
; %bb.1083:                             ;   in Loop: Header=BB411_808 Depth=1
	s_and_not1_saveexec_b32 s13, s1
; %bb.1084:                             ;   in Loop: Header=BB411_808 Depth=1
	v_and_b32_e32 v113, 0xffff, v9
	v_or_b32_e32 v114, 0x10000, v9
	s_delay_alu instid0(VALU_DEP_2) | instskip(NEXT) | instid1(VALU_DEP_1)
	v_cmp_eq_u32_e64 s1, 0, v113
	v_cndmask_b32_e64 v113, v114, v9, s1
; %bb.1085:                             ;   in Loop: Header=BB411_808 Depth=1
	s_or_b32 exec_lo, exec_lo, s13
	v_lshlrev_b32_e32 v7, 16, v7
                                        ; implicit-def: $vgpr114
	s_delay_alu instid0(VALU_DEP_1) | instskip(NEXT) | instid1(VALU_DEP_1)
	v_mul_f32_e32 v7, v98, v7
	v_and_b32_e32 v9, 0x7f800000, v7
	s_delay_alu instid0(VALU_DEP_1) | instskip(NEXT) | instid1(VALU_DEP_1)
	v_cmp_ne_u32_e64 s1, 0x7f800000, v9
	s_and_saveexec_b32 s13, s1
	s_delay_alu instid0(SALU_CYCLE_1)
	s_xor_b32 s1, exec_lo, s13
; %bb.1086:                             ;   in Loop: Header=BB411_808 Depth=1
	v_bfe_u32 v9, v7, 16, 1
	s_delay_alu instid0(VALU_DEP_1)
	v_add3_u32 v114, v7, v9, 0x7fff
                                        ; implicit-def: $vgpr7
; %bb.1087:                             ;   in Loop: Header=BB411_808 Depth=1
	s_and_not1_saveexec_b32 s13, s1
; %bb.1088:                             ;   in Loop: Header=BB411_808 Depth=1
	v_and_b32_e32 v9, 0xffff, v7
	v_or_b32_e32 v114, 0x10000, v7
	s_delay_alu instid0(VALU_DEP_2) | instskip(NEXT) | instid1(VALU_DEP_1)
	v_cmp_eq_u32_e64 s1, 0, v9
	v_cndmask_b32_e64 v114, v114, v7, s1
; %bb.1089:                             ;   in Loop: Header=BB411_808 Depth=1
	s_or_b32 exec_lo, exec_lo, s13
	v_lshlrev_b32_e32 v6, 16, v6
                                        ; implicit-def: $vgpr115
	s_delay_alu instid0(VALU_DEP_1) | instskip(NEXT) | instid1(VALU_DEP_1)
	v_mul_f32_e32 v6, v99, v6
	v_and_b32_e32 v7, 0x7f800000, v6
	s_delay_alu instid0(VALU_DEP_1) | instskip(NEXT) | instid1(VALU_DEP_1)
	v_cmp_ne_u32_e64 s1, 0x7f800000, v7
	s_and_saveexec_b32 s13, s1
	s_delay_alu instid0(SALU_CYCLE_1)
	s_xor_b32 s1, exec_lo, s13
; %bb.1090:                             ;   in Loop: Header=BB411_808 Depth=1
	v_bfe_u32 v7, v6, 16, 1
	s_delay_alu instid0(VALU_DEP_1)
	v_add3_u32 v115, v6, v7, 0x7fff
                                        ; implicit-def: $vgpr6
; %bb.1091:                             ;   in Loop: Header=BB411_808 Depth=1
	s_and_not1_saveexec_b32 s13, s1
; %bb.1092:                             ;   in Loop: Header=BB411_808 Depth=1
	v_and_b32_e32 v7, 0xffff, v6
	v_or_b32_e32 v9, 0x10000, v6
	s_delay_alu instid0(VALU_DEP_2) | instskip(NEXT) | instid1(VALU_DEP_1)
	v_cmp_eq_u32_e64 s1, 0, v7
	v_cndmask_b32_e64 v115, v9, v6, s1
; %bb.1093:                             ;   in Loop: Header=BB411_808 Depth=1
	s_or_b32 exec_lo, exec_lo, s13
	v_lshlrev_b32_e32 v3, 16, v3
                                        ; implicit-def: $vgpr116
	s_delay_alu instid0(VALU_DEP_1) | instskip(NEXT) | instid1(VALU_DEP_1)
	v_mul_f32_e32 v3, v100, v3
	v_and_b32_e32 v6, 0x7f800000, v3
	s_delay_alu instid0(VALU_DEP_1) | instskip(NEXT) | instid1(VALU_DEP_1)
	v_cmp_ne_u32_e64 s1, 0x7f800000, v6
	s_and_saveexec_b32 s13, s1
	s_delay_alu instid0(SALU_CYCLE_1)
	s_xor_b32 s1, exec_lo, s13
; %bb.1094:                             ;   in Loop: Header=BB411_808 Depth=1
	v_bfe_u32 v6, v3, 16, 1
	s_delay_alu instid0(VALU_DEP_1)
	v_add3_u32 v116, v3, v6, 0x7fff
                                        ; implicit-def: $vgpr3
; %bb.1095:                             ;   in Loop: Header=BB411_808 Depth=1
	s_and_not1_saveexec_b32 s13, s1
; %bb.1096:                             ;   in Loop: Header=BB411_808 Depth=1
	v_and_b32_e32 v6, 0xffff, v3
	v_or_b32_e32 v7, 0x10000, v3
	s_delay_alu instid0(VALU_DEP_2) | instskip(NEXT) | instid1(VALU_DEP_1)
	v_cmp_eq_u32_e64 s1, 0, v6
	v_cndmask_b32_e64 v116, v7, v3, s1
; %bb.1097:                             ;   in Loop: Header=BB411_808 Depth=1
	s_or_b32 exec_lo, exec_lo, s13
	v_lshlrev_b32_e32 v2, 16, v2
                                        ; implicit-def: $vgpr117
	s_delay_alu instid0(VALU_DEP_1) | instskip(NEXT) | instid1(VALU_DEP_1)
	v_mul_f32_e32 v2, v101, v2
	v_and_b32_e32 v3, 0x7f800000, v2
	s_delay_alu instid0(VALU_DEP_1) | instskip(NEXT) | instid1(VALU_DEP_1)
	v_cmp_ne_u32_e64 s1, 0x7f800000, v3
	s_and_saveexec_b32 s13, s1
	s_delay_alu instid0(SALU_CYCLE_1)
	s_xor_b32 s1, exec_lo, s13
; %bb.1098:                             ;   in Loop: Header=BB411_808 Depth=1
	v_bfe_u32 v3, v2, 16, 1
	s_delay_alu instid0(VALU_DEP_1)
	v_add3_u32 v117, v2, v3, 0x7fff
                                        ; implicit-def: $vgpr2
; %bb.1099:                             ;   in Loop: Header=BB411_808 Depth=1
	s_and_not1_saveexec_b32 s13, s1
; %bb.1100:                             ;   in Loop: Header=BB411_808 Depth=1
	v_and_b32_e32 v3, 0xffff, v2
	v_or_b32_e32 v6, 0x10000, v2
	s_delay_alu instid0(VALU_DEP_2) | instskip(NEXT) | instid1(VALU_DEP_1)
	v_cmp_eq_u32_e64 s1, 0, v3
	v_cndmask_b32_e64 v117, v6, v2, s1
; %bb.1101:                             ;   in Loop: Header=BB411_808 Depth=1
	s_or_b32 exec_lo, exec_lo, s13
	flat_load_b64 v[2:3], v[0:1] offset:512
	s_mov_b32 s13, exec_lo
	s_waitcnt vmcnt(0) lgkmcnt(0)
	v_dual_mov_b32 v6, 0 :: v_dual_and_b32 v7, 0xff, v2
	s_delay_alu instid0(VALU_DEP_1)
	v_cmpx_ne_u16_e32 0, v7
	s_cbranch_execz .LBB411_1109
; %bb.1102:                             ;   in Loop: Header=BB411_808 Depth=1
	v_bfrev_b32_e32 v6, 1
	s_mov_b32 s15, exec_lo
	v_cmpx_ne_u16_e32 0x80, v7
	s_cbranch_execz .LBB411_1108
; %bb.1103:                             ;   in Loop: Header=BB411_808 Depth=1
	v_and_b32_e32 v7, 0x7f, v2
	v_mov_b32_e32 v6, 0x7f800001
	s_mov_b32 s16, exec_lo
	s_delay_alu instid0(VALU_DEP_2)
	v_cmpx_ne_u32_e32 0x7f, v7
	s_cbranch_execz .LBB411_1107
; %bb.1104:                             ;   in Loop: Header=BB411_808 Depth=1
	v_lshrrev_b32_e32 v9, 3, v7
	v_cmp_gt_u32_e64 s1, 8, v7
	v_dual_mov_b32 v7, v3 :: v_dual_mov_b32 v6, v2
	s_delay_alu instid0(VALU_DEP_2)
	s_and_saveexec_b32 s17, s1
; %bb.1105:                             ;   in Loop: Header=BB411_808 Depth=1
	v_and_b32_e32 v6, 7, v2
	s_delay_alu instid0(VALU_DEP_1) | instskip(NEXT) | instid1(VALU_DEP_1)
	v_clz_i32_u32_e32 v6, v6
	v_min_u32_e32 v9, 32, v6
	s_delay_alu instid0(VALU_DEP_1) | instskip(SKIP_1) | instid1(VALU_DEP_2)
	v_subrev_nc_u32_e32 v6, 28, v9
	v_sub_nc_u32_e32 v9, 29, v9
	v_lshlrev_b64 v[6:7], v6, v[2:3]
; %bb.1106:                             ;   in Loop: Header=BB411_808 Depth=1
	s_or_b32 exec_lo, exec_lo, s17
	s_delay_alu instid0(VALU_DEP_1) | instskip(SKIP_2) | instid1(VALU_DEP_3)
	v_lshlrev_b32_e32 v6, 20, v6
	v_lshlrev_b32_e32 v7, 24, v2
	v_lshl_add_u32 v9, v9, 23, 0x3c000000
	v_and_b32_e32 v6, 0x700000, v6
	s_delay_alu instid0(VALU_DEP_3) | instskip(NEXT) | instid1(VALU_DEP_1)
	v_and_b32_e32 v7, 0x80000000, v7
	v_or3_b32 v6, v6, v7, v9
.LBB411_1107:                           ;   in Loop: Header=BB411_808 Depth=1
	s_or_b32 exec_lo, exec_lo, s16
.LBB411_1108:                           ;   in Loop: Header=BB411_808 Depth=1
	s_delay_alu instid0(SALU_CYCLE_1)
	s_or_b32 exec_lo, exec_lo, s15
.LBB411_1109:                           ;   in Loop: Header=BB411_808 Depth=1
	s_delay_alu instid0(SALU_CYCLE_1) | instskip(NEXT) | instid1(VALU_DEP_1)
	s_or_b32 exec_lo, exec_lo, s13
	v_mul_f32_e32 v6, v8, v6
                                        ; implicit-def: $vgpr118
	s_delay_alu instid0(VALU_DEP_1) | instskip(NEXT) | instid1(VALU_DEP_1)
	v_and_b32_e32 v7, 0x7f800000, v6
	v_cmp_ne_u32_e64 s1, 0x7f800000, v7
	s_delay_alu instid0(VALU_DEP_1) | instskip(NEXT) | instid1(SALU_CYCLE_1)
	s_and_saveexec_b32 s13, s1
	s_xor_b32 s1, exec_lo, s13
; %bb.1110:                             ;   in Loop: Header=BB411_808 Depth=1
	v_bfe_u32 v7, v6, 16, 1
	s_delay_alu instid0(VALU_DEP_1)
	v_add3_u32 v118, v6, v7, 0x7fff
                                        ; implicit-def: $vgpr6
; %bb.1111:                             ;   in Loop: Header=BB411_808 Depth=1
	s_and_not1_saveexec_b32 s13, s1
; %bb.1112:                             ;   in Loop: Header=BB411_808 Depth=1
	v_and_b32_e32 v7, 0xffff, v6
	v_or_b32_e32 v9, 0x10000, v6
	s_delay_alu instid0(VALU_DEP_2) | instskip(NEXT) | instid1(VALU_DEP_1)
	v_cmp_eq_u32_e64 s1, 0, v7
	v_cndmask_b32_e64 v118, v9, v6, s1
; %bb.1113:                             ;   in Loop: Header=BB411_808 Depth=1
	s_or_b32 exec_lo, exec_lo, s13
	v_lshrrev_b16 v7, 8, v2
	v_mov_b32_e32 v6, 0
	s_mov_b32 s13, exec_lo
	s_delay_alu instid0(VALU_DEP_2)
	v_cmpx_ne_u16_e32 0, v7
	s_cbranch_execz .LBB411_1121
; %bb.1114:                             ;   in Loop: Header=BB411_808 Depth=1
	v_bfrev_b32_e32 v6, 1
	s_mov_b32 s15, exec_lo
	v_cmpx_ne_u16_e32 0x80, v7
	s_cbranch_execz .LBB411_1120
; %bb.1115:                             ;   in Loop: Header=BB411_808 Depth=1
	v_and_b32_e32 v9, 0xffff, v7
	v_mov_b32_e32 v6, 0x7f800001
	s_mov_b32 s16, exec_lo
	s_delay_alu instid0(VALU_DEP_2) | instskip(NEXT) | instid1(VALU_DEP_1)
	v_and_b32_e32 v7, 0x7f, v9
	v_cmpx_ne_u32_e32 0x7f, v7
	s_cbranch_execz .LBB411_1119
; %bb.1116:                             ;   in Loop: Header=BB411_808 Depth=1
	v_and_b32_e32 v9, 7, v9
	v_lshrrev_b32_e32 v6, 3, v7
	s_mov_b32 s17, exec_lo
	v_cmpx_gt_u32_e32 8, v7
; %bb.1117:                             ;   in Loop: Header=BB411_808 Depth=1
	s_delay_alu instid0(VALU_DEP_3) | instskip(NEXT) | instid1(VALU_DEP_1)
	v_clz_i32_u32_e32 v6, v9
	v_min_u32_e32 v6, 32, v6
	s_delay_alu instid0(VALU_DEP_1) | instskip(SKIP_1) | instid1(VALU_DEP_2)
	v_subrev_nc_u32_e32 v7, 28, v6
	v_sub_nc_u32_e32 v6, 29, v6
	v_lshlrev_b64 v[128:129], v7, v[9:10]
	s_delay_alu instid0(VALU_DEP_1)
	v_and_b32_e32 v9, 7, v128
; %bb.1118:                             ;   in Loop: Header=BB411_808 Depth=1
	s_or_b32 exec_lo, exec_lo, s17
	v_lshlrev_b32_e32 v7, 16, v2
	s_delay_alu instid0(VALU_DEP_2) | instskip(SKIP_1) | instid1(VALU_DEP_3)
	v_lshlrev_b32_e32 v9, 20, v9
	v_lshl_add_u32 v6, v6, 23, 0x3c000000
	v_and_b32_e32 v7, 0x80000000, v7
	s_delay_alu instid0(VALU_DEP_1)
	v_or3_b32 v6, v9, v7, v6
.LBB411_1119:                           ;   in Loop: Header=BB411_808 Depth=1
	s_or_b32 exec_lo, exec_lo, s16
.LBB411_1120:                           ;   in Loop: Header=BB411_808 Depth=1
	s_delay_alu instid0(SALU_CYCLE_1)
	s_or_b32 exec_lo, exec_lo, s15
.LBB411_1121:                           ;   in Loop: Header=BB411_808 Depth=1
	s_delay_alu instid0(SALU_CYCLE_1) | instskip(NEXT) | instid1(VALU_DEP_1)
	s_or_b32 exec_lo, exec_lo, s13
	v_mul_f32_e32 v6, v8, v6
                                        ; implicit-def: $vgpr119
	s_delay_alu instid0(VALU_DEP_1) | instskip(NEXT) | instid1(VALU_DEP_1)
	v_and_b32_e32 v7, 0x7f800000, v6
	v_cmp_ne_u32_e64 s1, 0x7f800000, v7
	s_delay_alu instid0(VALU_DEP_1) | instskip(NEXT) | instid1(SALU_CYCLE_1)
	s_and_saveexec_b32 s13, s1
	s_xor_b32 s1, exec_lo, s13
; %bb.1122:                             ;   in Loop: Header=BB411_808 Depth=1
	v_bfe_u32 v7, v6, 16, 1
	s_delay_alu instid0(VALU_DEP_1)
	v_add3_u32 v119, v6, v7, 0x7fff
                                        ; implicit-def: $vgpr6
; %bb.1123:                             ;   in Loop: Header=BB411_808 Depth=1
	s_and_not1_saveexec_b32 s13, s1
; %bb.1124:                             ;   in Loop: Header=BB411_808 Depth=1
	v_and_b32_e32 v7, 0xffff, v6
	v_or_b32_e32 v9, 0x10000, v6
	s_delay_alu instid0(VALU_DEP_2) | instskip(NEXT) | instid1(VALU_DEP_1)
	v_cmp_eq_u32_e64 s1, 0, v7
	v_cndmask_b32_e64 v119, v9, v6, s1
; %bb.1125:                             ;   in Loop: Header=BB411_808 Depth=1
	s_or_b32 exec_lo, exec_lo, s13
	v_lshrrev_b32_e32 v6, 16, v2
	v_mov_b32_e32 v7, 0
	s_mov_b32 s13, exec_lo
	s_delay_alu instid0(VALU_DEP_2) | instskip(NEXT) | instid1(VALU_DEP_1)
	v_and_b32_e32 v9, 0xff, v6
	v_cmpx_ne_u16_e32 0, v9
	s_cbranch_execz .LBB411_1133
; %bb.1126:                             ;   in Loop: Header=BB411_808 Depth=1
	v_bfrev_b32_e32 v7, 1
	s_mov_b32 s15, exec_lo
	v_cmpx_ne_u16_e32 0x80, v9
	s_cbranch_execz .LBB411_1132
; %bb.1127:                             ;   in Loop: Header=BB411_808 Depth=1
	v_bfe_u32 v128, v2, 16, 7
	v_mov_b32_e32 v7, 0x7f800001
	s_mov_b32 s16, exec_lo
	s_delay_alu instid0(VALU_DEP_2)
	v_cmpx_ne_u32_e32 0x7f, v128
	s_cbranch_execz .LBB411_1131
; %bb.1128:                             ;   in Loop: Header=BB411_808 Depth=1
	v_and_b32_e32 v9, 7, v6
	v_lshrrev_b32_e32 v7, 3, v128
	s_mov_b32 s17, exec_lo
	v_cmpx_gt_u32_e32 8, v128
; %bb.1129:                             ;   in Loop: Header=BB411_808 Depth=1
	s_delay_alu instid0(VALU_DEP_3) | instskip(NEXT) | instid1(VALU_DEP_1)
	v_clz_i32_u32_e32 v7, v9
	v_min_u32_e32 v7, 32, v7
	s_delay_alu instid0(VALU_DEP_1) | instskip(SKIP_1) | instid1(VALU_DEP_2)
	v_subrev_nc_u32_e32 v128, 28, v7
	v_sub_nc_u32_e32 v7, 29, v7
	v_lshlrev_b64 v[128:129], v128, v[9:10]
	s_delay_alu instid0(VALU_DEP_1)
	v_and_b32_e32 v9, 7, v128
; %bb.1130:                             ;   in Loop: Header=BB411_808 Depth=1
	s_or_b32 exec_lo, exec_lo, s17
	v_lshlrev_b32_e32 v6, 24, v6
	s_delay_alu instid0(VALU_DEP_2) | instskip(SKIP_1) | instid1(VALU_DEP_3)
	v_lshlrev_b32_e32 v9, 20, v9
	v_lshl_add_u32 v7, v7, 23, 0x3c000000
	v_and_b32_e32 v6, 0x80000000, v6
	s_delay_alu instid0(VALU_DEP_1)
	v_or3_b32 v7, v9, v6, v7
.LBB411_1131:                           ;   in Loop: Header=BB411_808 Depth=1
	s_or_b32 exec_lo, exec_lo, s16
.LBB411_1132:                           ;   in Loop: Header=BB411_808 Depth=1
	s_delay_alu instid0(SALU_CYCLE_1)
	s_or_b32 exec_lo, exec_lo, s15
.LBB411_1133:                           ;   in Loop: Header=BB411_808 Depth=1
	s_delay_alu instid0(SALU_CYCLE_1) | instskip(NEXT) | instid1(VALU_DEP_1)
	s_or_b32 exec_lo, exec_lo, s13
	v_mul_f32_e32 v6, v8, v7
                                        ; implicit-def: $vgpr128
	s_delay_alu instid0(VALU_DEP_1) | instskip(NEXT) | instid1(VALU_DEP_1)
	v_and_b32_e32 v7, 0x7f800000, v6
	v_cmp_ne_u32_e64 s1, 0x7f800000, v7
	s_delay_alu instid0(VALU_DEP_1) | instskip(NEXT) | instid1(SALU_CYCLE_1)
	s_and_saveexec_b32 s13, s1
	s_xor_b32 s1, exec_lo, s13
; %bb.1134:                             ;   in Loop: Header=BB411_808 Depth=1
	v_bfe_u32 v7, v6, 16, 1
	s_delay_alu instid0(VALU_DEP_1)
	v_add3_u32 v128, v6, v7, 0x7fff
                                        ; implicit-def: $vgpr6
; %bb.1135:                             ;   in Loop: Header=BB411_808 Depth=1
	s_and_not1_saveexec_b32 s13, s1
; %bb.1136:                             ;   in Loop: Header=BB411_808 Depth=1
	v_and_b32_e32 v7, 0xffff, v6
	v_or_b32_e32 v9, 0x10000, v6
	s_delay_alu instid0(VALU_DEP_2) | instskip(NEXT) | instid1(VALU_DEP_1)
	v_cmp_eq_u32_e64 s1, 0, v7
	v_cndmask_b32_e64 v128, v9, v6, s1
; %bb.1137:                             ;   in Loop: Header=BB411_808 Depth=1
	s_or_b32 exec_lo, exec_lo, s13
	v_mov_b32_e32 v7, 0
	s_mov_b32 s13, exec_lo
	v_cmpx_lt_u32_e32 0xffffff, v2
	s_cbranch_execz .LBB411_1145
; %bb.1138:                             ;   in Loop: Header=BB411_808 Depth=1
	v_lshrrev_b32_e32 v6, 24, v2
	v_bfrev_b32_e32 v7, 1
	s_mov_b32 s15, exec_lo
	s_delay_alu instid0(VALU_DEP_2)
	v_cmpx_ne_u32_e32 0x80, v6
	s_cbranch_execz .LBB411_1144
; %bb.1139:                             ;   in Loop: Header=BB411_808 Depth=1
	v_bfe_u32 v129, v2, 24, 7
	v_mov_b32_e32 v7, 0x7f800001
	s_mov_b32 s16, exec_lo
	s_delay_alu instid0(VALU_DEP_2)
	v_cmpx_ne_u32_e32 0x7f, v129
	s_cbranch_execz .LBB411_1143
; %bb.1140:                             ;   in Loop: Header=BB411_808 Depth=1
	v_and_b32_e32 v9, 7, v6
	v_lshrrev_b32_e32 v7, 3, v129
	s_mov_b32 s17, exec_lo
	v_cmpx_gt_u32_e32 8, v129
; %bb.1141:                             ;   in Loop: Header=BB411_808 Depth=1
	s_delay_alu instid0(VALU_DEP_3) | instskip(NEXT) | instid1(VALU_DEP_1)
	v_clz_i32_u32_e32 v7, v9
	v_min_u32_e32 v7, 32, v7
	s_delay_alu instid0(VALU_DEP_1) | instskip(SKIP_1) | instid1(VALU_DEP_2)
	v_subrev_nc_u32_e32 v129, 28, v7
	v_sub_nc_u32_e32 v7, 29, v7
	v_lshlrev_b64 v[129:130], v129, v[9:10]
	s_delay_alu instid0(VALU_DEP_1)
	v_and_b32_e32 v9, 7, v129
; %bb.1142:                             ;   in Loop: Header=BB411_808 Depth=1
	s_or_b32 exec_lo, exec_lo, s17
	v_lshlrev_b32_e32 v6, 24, v6
	s_delay_alu instid0(VALU_DEP_2) | instskip(SKIP_1) | instid1(VALU_DEP_3)
	v_lshlrev_b32_e32 v9, 20, v9
	v_lshl_add_u32 v7, v7, 23, 0x3c000000
	v_and_b32_e32 v6, 0x80000000, v6
	s_delay_alu instid0(VALU_DEP_1)
	v_or3_b32 v7, v9, v6, v7
.LBB411_1143:                           ;   in Loop: Header=BB411_808 Depth=1
	s_or_b32 exec_lo, exec_lo, s16
.LBB411_1144:                           ;   in Loop: Header=BB411_808 Depth=1
	s_delay_alu instid0(SALU_CYCLE_1)
	s_or_b32 exec_lo, exec_lo, s15
.LBB411_1145:                           ;   in Loop: Header=BB411_808 Depth=1
	s_delay_alu instid0(SALU_CYCLE_1) | instskip(NEXT) | instid1(VALU_DEP_1)
	s_or_b32 exec_lo, exec_lo, s13
	v_mul_f32_e32 v6, v8, v7
                                        ; implicit-def: $vgpr129
	s_delay_alu instid0(VALU_DEP_1) | instskip(NEXT) | instid1(VALU_DEP_1)
	v_and_b32_e32 v7, 0x7f800000, v6
	v_cmp_ne_u32_e64 s1, 0x7f800000, v7
	s_delay_alu instid0(VALU_DEP_1) | instskip(NEXT) | instid1(SALU_CYCLE_1)
	s_and_saveexec_b32 s13, s1
	s_xor_b32 s1, exec_lo, s13
; %bb.1146:                             ;   in Loop: Header=BB411_808 Depth=1
	v_bfe_u32 v7, v6, 16, 1
	s_delay_alu instid0(VALU_DEP_1)
	v_add3_u32 v129, v6, v7, 0x7fff
                                        ; implicit-def: $vgpr6
; %bb.1147:                             ;   in Loop: Header=BB411_808 Depth=1
	s_and_not1_saveexec_b32 s13, s1
; %bb.1148:                             ;   in Loop: Header=BB411_808 Depth=1
	v_and_b32_e32 v7, 0xffff, v6
	v_or_b32_e32 v9, 0x10000, v6
	s_delay_alu instid0(VALU_DEP_2) | instskip(NEXT) | instid1(VALU_DEP_1)
	v_cmp_eq_u32_e64 s1, 0, v7
	v_cndmask_b32_e64 v129, v9, v6, s1
; %bb.1149:                             ;   in Loop: Header=BB411_808 Depth=1
	s_or_b32 exec_lo, exec_lo, s13
	v_dual_mov_b32 v6, 0 :: v_dual_and_b32 v7, 0xff, v3
	v_mov_b32_e32 v9, v3
	s_mov_b32 s13, exec_lo
	s_delay_alu instid0(VALU_DEP_2)
	v_cmpx_ne_u16_e32 0, v7
	s_cbranch_execz .LBB411_1157
; %bb.1150:                             ;   in Loop: Header=BB411_808 Depth=1
	v_bfrev_b32_e32 v6, 1
	s_mov_b32 s15, exec_lo
	v_cmpx_ne_u16_e32 0x80, v7
	s_cbranch_execz .LBB411_1156
; %bb.1151:                             ;   in Loop: Header=BB411_808 Depth=1
	v_and_b32_e32 v7, 0x7f, v3
	v_mov_b32_e32 v6, 0x7f800001
	s_mov_b32 s16, exec_lo
	s_delay_alu instid0(VALU_DEP_2)
	v_cmpx_ne_u32_e32 0x7f, v7
	s_cbranch_execz .LBB411_1155
; %bb.1152:                             ;   in Loop: Header=BB411_808 Depth=1
	v_lshrrev_b32_e32 v130, 3, v7
	v_cmp_gt_u32_e64 s1, 8, v7
	v_dual_mov_b32 v6, v9 :: v_dual_mov_b32 v7, v10
	s_delay_alu instid0(VALU_DEP_2)
	s_and_saveexec_b32 s17, s1
; %bb.1153:                             ;   in Loop: Header=BB411_808 Depth=1
	v_and_b32_e32 v6, 7, v3
	s_delay_alu instid0(VALU_DEP_1) | instskip(NEXT) | instid1(VALU_DEP_1)
	v_clz_i32_u32_e32 v6, v6
	v_min_u32_e32 v130, 32, v6
	s_delay_alu instid0(VALU_DEP_1) | instskip(SKIP_1) | instid1(VALU_DEP_2)
	v_subrev_nc_u32_e32 v6, 28, v130
	v_sub_nc_u32_e32 v130, 29, v130
	v_lshlrev_b64 v[6:7], v6, v[9:10]
; %bb.1154:                             ;   in Loop: Header=BB411_808 Depth=1
	s_or_b32 exec_lo, exec_lo, s17
	s_delay_alu instid0(VALU_DEP_1) | instskip(SKIP_2) | instid1(VALU_DEP_3)
	v_lshlrev_b32_e32 v6, 20, v6
	v_lshlrev_b32_e32 v7, 24, v9
	v_lshl_add_u32 v130, v130, 23, 0x3c000000
	v_and_b32_e32 v6, 0x700000, v6
	s_delay_alu instid0(VALU_DEP_3) | instskip(NEXT) | instid1(VALU_DEP_1)
	v_and_b32_e32 v7, 0x80000000, v7
	v_or3_b32 v6, v6, v7, v130
.LBB411_1155:                           ;   in Loop: Header=BB411_808 Depth=1
	s_or_b32 exec_lo, exec_lo, s16
.LBB411_1156:                           ;   in Loop: Header=BB411_808 Depth=1
	s_delay_alu instid0(SALU_CYCLE_1)
	s_or_b32 exec_lo, exec_lo, s15
.LBB411_1157:                           ;   in Loop: Header=BB411_808 Depth=1
	s_delay_alu instid0(SALU_CYCLE_1) | instskip(NEXT) | instid1(VALU_DEP_1)
	s_or_b32 exec_lo, exec_lo, s13
	v_mul_f32_e32 v6, v8, v6
                                        ; implicit-def: $vgpr130
	s_delay_alu instid0(VALU_DEP_1) | instskip(NEXT) | instid1(VALU_DEP_1)
	v_and_b32_e32 v7, 0x7f800000, v6
	v_cmp_ne_u32_e64 s1, 0x7f800000, v7
	s_delay_alu instid0(VALU_DEP_1) | instskip(NEXT) | instid1(SALU_CYCLE_1)
	s_and_saveexec_b32 s13, s1
	s_xor_b32 s1, exec_lo, s13
; %bb.1158:                             ;   in Loop: Header=BB411_808 Depth=1
	v_bfe_u32 v7, v6, 16, 1
	s_delay_alu instid0(VALU_DEP_1)
	v_add3_u32 v130, v6, v7, 0x7fff
                                        ; implicit-def: $vgpr6
; %bb.1159:                             ;   in Loop: Header=BB411_808 Depth=1
	s_and_not1_saveexec_b32 s13, s1
; %bb.1160:                             ;   in Loop: Header=BB411_808 Depth=1
	v_and_b32_e32 v7, 0xffff, v6
	v_or_b32_e32 v130, 0x10000, v6
	s_delay_alu instid0(VALU_DEP_2) | instskip(NEXT) | instid1(VALU_DEP_1)
	v_cmp_eq_u32_e64 s1, 0, v7
	v_cndmask_b32_e64 v130, v130, v6, s1
; %bb.1161:                             ;   in Loop: Header=BB411_808 Depth=1
	s_or_b32 exec_lo, exec_lo, s13
	v_lshrrev_b16 v7, 8, v9
	v_mov_b32_e32 v6, 0
	s_mov_b32 s13, exec_lo
	s_delay_alu instid0(VALU_DEP_2)
	v_cmpx_ne_u16_e32 0, v7
	s_cbranch_execz .LBB411_1169
; %bb.1162:                             ;   in Loop: Header=BB411_808 Depth=1
	v_bfrev_b32_e32 v6, 1
	s_mov_b32 s15, exec_lo
	v_cmpx_ne_u16_e32 0x80, v7
	s_cbranch_execz .LBB411_1168
; %bb.1163:                             ;   in Loop: Header=BB411_808 Depth=1
	v_and_b32_e32 v7, 0xffff, v7
	v_mov_b32_e32 v6, 0x7f800001
	s_mov_b32 s16, exec_lo
	s_delay_alu instid0(VALU_DEP_2) | instskip(NEXT) | instid1(VALU_DEP_1)
	v_and_b32_e32 v132, 0x7f, v7
	v_cmpx_ne_u32_e32 0x7f, v132
	s_cbranch_execz .LBB411_1167
; %bb.1164:                             ;   in Loop: Header=BB411_808 Depth=1
	v_dual_mov_b32 v7, v10 :: v_dual_and_b32 v6, 7, v7
	v_lshrrev_b32_e32 v131, 3, v132
	s_mov_b32 s17, exec_lo
	v_cmpx_gt_u32_e32 8, v132
; %bb.1165:                             ;   in Loop: Header=BB411_808 Depth=1
	s_delay_alu instid0(VALU_DEP_3) | instskip(NEXT) | instid1(VALU_DEP_1)
	v_clz_i32_u32_e32 v131, v6
	v_min_u32_e32 v131, 32, v131
	s_delay_alu instid0(VALU_DEP_1) | instskip(SKIP_1) | instid1(VALU_DEP_2)
	v_subrev_nc_u32_e32 v132, 28, v131
	v_sub_nc_u32_e32 v131, 29, v131
	v_lshlrev_b64 v[6:7], v132, v[6:7]
	s_delay_alu instid0(VALU_DEP_1)
	v_and_b32_e32 v6, 7, v6
; %bb.1166:                             ;   in Loop: Header=BB411_808 Depth=1
	s_or_b32 exec_lo, exec_lo, s17
	v_lshlrev_b32_e32 v7, 16, v9
	s_delay_alu instid0(VALU_DEP_2) | instskip(SKIP_1) | instid1(VALU_DEP_3)
	v_lshlrev_b32_e32 v6, 20, v6
	v_lshl_add_u32 v9, v131, 23, 0x3c000000
	v_and_b32_e32 v7, 0x80000000, v7
	s_delay_alu instid0(VALU_DEP_1)
	v_or3_b32 v6, v6, v7, v9
.LBB411_1167:                           ;   in Loop: Header=BB411_808 Depth=1
	s_or_b32 exec_lo, exec_lo, s16
.LBB411_1168:                           ;   in Loop: Header=BB411_808 Depth=1
	s_delay_alu instid0(SALU_CYCLE_1)
	s_or_b32 exec_lo, exec_lo, s15
.LBB411_1169:                           ;   in Loop: Header=BB411_808 Depth=1
	s_delay_alu instid0(SALU_CYCLE_1) | instskip(NEXT) | instid1(VALU_DEP_1)
	s_or_b32 exec_lo, exec_lo, s13
	v_mul_f32_e32 v7, v8, v6
	s_delay_alu instid0(VALU_DEP_1) | instskip(NEXT) | instid1(VALU_DEP_1)
	v_and_b32_e32 v6, 0x7f800000, v7
	v_cmp_ne_u32_e64 s1, 0x7f800000, v6
                                        ; implicit-def: $vgpr6
	s_delay_alu instid0(VALU_DEP_1) | instskip(NEXT) | instid1(SALU_CYCLE_1)
	s_and_saveexec_b32 s13, s1
	s_xor_b32 s1, exec_lo, s13
; %bb.1170:                             ;   in Loop: Header=BB411_808 Depth=1
	v_bfe_u32 v6, v7, 16, 1
	s_delay_alu instid0(VALU_DEP_1)
	v_add3_u32 v6, v7, v6, 0x7fff
                                        ; implicit-def: $vgpr7
; %bb.1171:                             ;   in Loop: Header=BB411_808 Depth=1
	s_and_not1_saveexec_b32 s13, s1
; %bb.1172:                             ;   in Loop: Header=BB411_808 Depth=1
	v_and_b32_e32 v6, 0xffff, v7
	v_or_b32_e32 v9, 0x10000, v7
	s_delay_alu instid0(VALU_DEP_2) | instskip(NEXT) | instid1(VALU_DEP_1)
	v_cmp_eq_u32_e64 s1, 0, v6
	v_cndmask_b32_e64 v6, v9, v7, s1
; %bb.1173:                             ;   in Loop: Header=BB411_808 Depth=1
	s_or_b32 exec_lo, exec_lo, s13
	v_lshrrev_b32_e32 v7, 16, v3
	v_mov_b32_e32 v9, 0
	s_mov_b32 s13, exec_lo
	s_delay_alu instid0(VALU_DEP_2) | instskip(NEXT) | instid1(VALU_DEP_1)
	v_and_b32_e32 v131, 0xff, v7
	v_cmpx_ne_u16_e64 0, v131
	s_cbranch_execz .LBB411_1181
; %bb.1174:                             ;   in Loop: Header=BB411_808 Depth=1
	v_bfrev_b32_e32 v9, 1
	s_mov_b32 s15, exec_lo
	v_cmpx_ne_u16_e64 0x80, v131
	s_cbranch_execz .LBB411_1180
; %bb.1175:                             ;   in Loop: Header=BB411_808 Depth=1
	v_bfe_u32 v132, v3, 16, 7
	v_mov_b32_e32 v9, 0x7f800001
	s_mov_b32 s16, exec_lo
	s_delay_alu instid0(VALU_DEP_2)
	v_cmpx_ne_u32_e32 0x7f, v132
	s_cbranch_execz .LBB411_1179
; %bb.1176:                             ;   in Loop: Header=BB411_808 Depth=1
	v_and_b32_e32 v9, 7, v7
	v_lshrrev_b32_e32 v131, 3, v132
	s_mov_b32 s17, exec_lo
	v_cmpx_gt_u32_e32 8, v132
; %bb.1177:                             ;   in Loop: Header=BB411_808 Depth=1
	s_delay_alu instid0(VALU_DEP_3) | instskip(NEXT) | instid1(VALU_DEP_1)
	v_clz_i32_u32_e32 v131, v9
	v_min_u32_e32 v131, 32, v131
	s_delay_alu instid0(VALU_DEP_1) | instskip(SKIP_1) | instid1(VALU_DEP_2)
	v_subrev_nc_u32_e32 v132, 28, v131
	v_sub_nc_u32_e32 v131, 29, v131
	v_lshlrev_b64 v[132:133], v132, v[9:10]
	s_delay_alu instid0(VALU_DEP_1)
	v_and_b32_e32 v9, 7, v132
; %bb.1178:                             ;   in Loop: Header=BB411_808 Depth=1
	s_or_b32 exec_lo, exec_lo, s17
	v_lshlrev_b32_e32 v7, 24, v7
	s_delay_alu instid0(VALU_DEP_2) | instskip(SKIP_1) | instid1(VALU_DEP_3)
	v_lshlrev_b32_e32 v9, 20, v9
	v_lshl_add_u32 v131, v131, 23, 0x3c000000
	v_and_b32_e32 v7, 0x80000000, v7
	s_delay_alu instid0(VALU_DEP_1)
	v_or3_b32 v9, v9, v7, v131
.LBB411_1179:                           ;   in Loop: Header=BB411_808 Depth=1
	s_or_b32 exec_lo, exec_lo, s16
.LBB411_1180:                           ;   in Loop: Header=BB411_808 Depth=1
	s_delay_alu instid0(SALU_CYCLE_1)
	s_or_b32 exec_lo, exec_lo, s15
.LBB411_1181:                           ;   in Loop: Header=BB411_808 Depth=1
	s_delay_alu instid0(SALU_CYCLE_1) | instskip(NEXT) | instid1(VALU_DEP_1)
	s_or_b32 exec_lo, exec_lo, s13
	v_mul_f32_e32 v7, v8, v9
                                        ; implicit-def: $vgpr131
	s_delay_alu instid0(VALU_DEP_1) | instskip(NEXT) | instid1(VALU_DEP_1)
	v_and_b32_e32 v9, 0x7f800000, v7
	v_cmp_ne_u32_e64 s1, 0x7f800000, v9
	s_delay_alu instid0(VALU_DEP_1) | instskip(NEXT) | instid1(SALU_CYCLE_1)
	s_and_saveexec_b32 s13, s1
	s_xor_b32 s1, exec_lo, s13
; %bb.1182:                             ;   in Loop: Header=BB411_808 Depth=1
	v_bfe_u32 v9, v7, 16, 1
	s_delay_alu instid0(VALU_DEP_1)
	v_add3_u32 v131, v7, v9, 0x7fff
                                        ; implicit-def: $vgpr7
; %bb.1183:                             ;   in Loop: Header=BB411_808 Depth=1
	s_and_not1_saveexec_b32 s13, s1
; %bb.1184:                             ;   in Loop: Header=BB411_808 Depth=1
	v_and_b32_e32 v9, 0xffff, v7
	v_or_b32_e32 v131, 0x10000, v7
	s_delay_alu instid0(VALU_DEP_2) | instskip(NEXT) | instid1(VALU_DEP_1)
	v_cmp_eq_u32_e64 s1, 0, v9
	v_cndmask_b32_e64 v131, v131, v7, s1
; %bb.1185:                             ;   in Loop: Header=BB411_808 Depth=1
	s_or_b32 exec_lo, exec_lo, s13
	v_mov_b32_e32 v7, 0
	s_mov_b32 s13, exec_lo
	v_cmpx_lt_u64_e64 s[4:5], v[2:3]
	s_cbranch_execz .LBB411_1193
; %bb.1186:                             ;   in Loop: Header=BB411_808 Depth=1
	v_lshrrev_b32_e32 v2, 24, v3
	v_bfrev_b32_e32 v7, 1
	s_mov_b32 s15, exec_lo
	s_delay_alu instid0(VALU_DEP_2)
	v_cmpx_ne_u32_e32 0x80, v2
	s_cbranch_execz .LBB411_1192
; %bb.1187:                             ;   in Loop: Header=BB411_808 Depth=1
	v_bfe_u32 v132, v3, 24, 7
	v_mov_b32_e32 v7, 0x7f800001
	s_mov_b32 s16, exec_lo
	s_delay_alu instid0(VALU_DEP_2)
	v_cmpx_ne_u32_e32 0x7f, v132
	s_cbranch_execz .LBB411_1191
; %bb.1188:                             ;   in Loop: Header=BB411_808 Depth=1
	v_and_b32_e32 v9, 7, v2
	v_lshrrev_b32_e32 v3, 3, v132
	s_mov_b32 s17, exec_lo
	v_cmpx_gt_u32_e32 8, v132
; %bb.1189:                             ;   in Loop: Header=BB411_808 Depth=1
	s_delay_alu instid0(VALU_DEP_3) | instskip(NEXT) | instid1(VALU_DEP_1)
	v_clz_i32_u32_e32 v3, v9
	v_min_u32_e32 v3, 32, v3
	s_delay_alu instid0(VALU_DEP_1) | instskip(SKIP_1) | instid1(VALU_DEP_2)
	v_subrev_nc_u32_e32 v7, 28, v3
	v_sub_nc_u32_e32 v3, 29, v3
	v_lshlrev_b64 v[132:133], v7, v[9:10]
	s_delay_alu instid0(VALU_DEP_1)
	v_and_b32_e32 v9, 7, v132
; %bb.1190:                             ;   in Loop: Header=BB411_808 Depth=1
	s_or_b32 exec_lo, exec_lo, s17
	v_lshlrev_b32_e32 v2, 24, v2
	s_delay_alu instid0(VALU_DEP_2) | instskip(SKIP_1) | instid1(VALU_DEP_3)
	v_lshlrev_b32_e32 v7, 20, v9
	v_lshl_add_u32 v3, v3, 23, 0x3c000000
	v_and_b32_e32 v2, 0x80000000, v2
	s_delay_alu instid0(VALU_DEP_1)
	v_or3_b32 v7, v7, v2, v3
.LBB411_1191:                           ;   in Loop: Header=BB411_808 Depth=1
	s_or_b32 exec_lo, exec_lo, s16
.LBB411_1192:                           ;   in Loop: Header=BB411_808 Depth=1
	s_delay_alu instid0(SALU_CYCLE_1)
	s_or_b32 exec_lo, exec_lo, s15
.LBB411_1193:                           ;   in Loop: Header=BB411_808 Depth=1
	s_delay_alu instid0(SALU_CYCLE_1) | instskip(NEXT) | instid1(VALU_DEP_1)
	s_or_b32 exec_lo, exec_lo, s13
	v_mul_f32_e32 v3, v8, v7
	s_delay_alu instid0(VALU_DEP_1) | instskip(NEXT) | instid1(VALU_DEP_1)
	v_and_b32_e32 v2, 0x7f800000, v3
	v_cmp_ne_u32_e64 s1, 0x7f800000, v2
                                        ; implicit-def: $vgpr2
	s_delay_alu instid0(VALU_DEP_1) | instskip(NEXT) | instid1(SALU_CYCLE_1)
	s_and_saveexec_b32 s13, s1
	s_xor_b32 s1, exec_lo, s13
; %bb.1194:                             ;   in Loop: Header=BB411_808 Depth=1
	v_bfe_u32 v2, v3, 16, 1
	s_delay_alu instid0(VALU_DEP_1)
	v_add3_u32 v2, v3, v2, 0x7fff
                                        ; implicit-def: $vgpr3
; %bb.1195:                             ;   in Loop: Header=BB411_808 Depth=1
	s_and_not1_saveexec_b32 s13, s1
; %bb.1196:                             ;   in Loop: Header=BB411_808 Depth=1
	v_and_b32_e32 v2, 0xffff, v3
	v_or_b32_e32 v7, 0x10000, v3
	s_delay_alu instid0(VALU_DEP_2) | instskip(NEXT) | instid1(VALU_DEP_1)
	v_cmp_eq_u32_e64 s1, 0, v2
	v_cndmask_b32_e64 v2, v7, v3, s1
; %bb.1197:                             ;   in Loop: Header=BB411_808 Depth=1
	s_or_b32 exec_lo, exec_lo, s13
	v_lshrrev_b32_e32 v6, 16, v6
	v_lshrrev_b32_e32 v7, 16, v130
	;; [unrolled: 1-line block ×8, first 2 shown]
	s_and_saveexec_b32 s13, vcc_lo
	s_cbranch_execz .LBB411_1199
; %bb.1198:                             ;   in Loop: Header=BB411_808 Depth=1
	v_cmp_lt_i32_e64 s1, v53, v83
	s_delay_alu instid0(VALU_DEP_1) | instskip(SKIP_1) | instid1(VALU_DEP_1)
	v_cndmask_b32_e64 v118, 0, v118, s1
	v_cmp_lt_i32_e64 s1, v69, v83
	v_cndmask_b32_e64 v119, 0, v119, s1
	v_cmp_lt_i32_e64 s1, v68, v83
	s_delay_alu instid0(VALU_DEP_1) | instskip(SKIP_1) | instid1(VALU_DEP_1)
	v_cndmask_b32_e64 v128, 0, v128, s1
	v_cmp_lt_i32_e64 s1, v67, v83
	v_cndmask_b32_e64 v9, 0, v9, s1
	;; [unrolled: 5-line block ×4, first 2 shown]
.LBB411_1199:                           ;   in Loop: Header=BB411_808 Depth=1
	s_or_b32 exec_lo, exec_lo, s13
	v_lshlrev_b32_e32 v118, 16, v118
	s_delay_alu instid0(VALU_DEP_1) | instskip(NEXT) | instid1(VALU_DEP_1)
	v_mul_f32_e32 v129, v70, v118
	v_and_b32_e32 v118, 0x7f800000, v129
	s_delay_alu instid0(VALU_DEP_1) | instskip(NEXT) | instid1(VALU_DEP_1)
	v_cmp_ne_u32_e64 s1, 0x7f800000, v118
                                        ; implicit-def: $vgpr118
	s_and_saveexec_b32 s13, s1
	s_delay_alu instid0(SALU_CYCLE_1)
	s_xor_b32 s1, exec_lo, s13
; %bb.1200:                             ;   in Loop: Header=BB411_808 Depth=1
	v_bfe_u32 v118, v129, 16, 1
	s_delay_alu instid0(VALU_DEP_1)
	v_add3_u32 v118, v129, v118, 0x7fff
                                        ; implicit-def: $vgpr129
; %bb.1201:                             ;   in Loop: Header=BB411_808 Depth=1
	s_and_not1_saveexec_b32 s13, s1
; %bb.1202:                             ;   in Loop: Header=BB411_808 Depth=1
	v_and_b32_e32 v118, 0xffff, v129
	v_or_b32_e32 v130, 0x10000, v129
	s_delay_alu instid0(VALU_DEP_2) | instskip(NEXT) | instid1(VALU_DEP_1)
	v_cmp_eq_u32_e64 s1, 0, v118
	v_cndmask_b32_e64 v118, v130, v129, s1
; %bb.1203:                             ;   in Loop: Header=BB411_808 Depth=1
	s_or_b32 exec_lo, exec_lo, s13
	v_lshlrev_b32_e32 v119, 16, v119
	s_delay_alu instid0(VALU_DEP_1) | instskip(NEXT) | instid1(VALU_DEP_1)
	v_mul_f32_e32 v129, v71, v119
	v_and_b32_e32 v119, 0x7f800000, v129
	s_delay_alu instid0(VALU_DEP_1) | instskip(NEXT) | instid1(VALU_DEP_1)
	v_cmp_ne_u32_e64 s1, 0x7f800000, v119
                                        ; implicit-def: $vgpr119
	s_and_saveexec_b32 s13, s1
	s_delay_alu instid0(SALU_CYCLE_1)
	s_xor_b32 s1, exec_lo, s13
; %bb.1204:                             ;   in Loop: Header=BB411_808 Depth=1
	v_bfe_u32 v119, v129, 16, 1
	s_delay_alu instid0(VALU_DEP_1)
	v_add3_u32 v119, v129, v119, 0x7fff
                                        ; implicit-def: $vgpr129
; %bb.1205:                             ;   in Loop: Header=BB411_808 Depth=1
	s_and_not1_saveexec_b32 s13, s1
; %bb.1206:                             ;   in Loop: Header=BB411_808 Depth=1
	v_and_b32_e32 v119, 0xffff, v129
	v_or_b32_e32 v130, 0x10000, v129
	s_delay_alu instid0(VALU_DEP_2) | instskip(NEXT) | instid1(VALU_DEP_1)
	v_cmp_eq_u32_e64 s1, 0, v119
	v_cndmask_b32_e64 v119, v130, v129, s1
; %bb.1207:                             ;   in Loop: Header=BB411_808 Depth=1
	s_or_b32 exec_lo, exec_lo, s13
	v_lshlrev_b32_e32 v128, 16, v128
	s_delay_alu instid0(VALU_DEP_1) | instskip(NEXT) | instid1(VALU_DEP_1)
	v_mul_f32_e32 v129, v80, v128
	v_and_b32_e32 v128, 0x7f800000, v129
	s_delay_alu instid0(VALU_DEP_1) | instskip(NEXT) | instid1(VALU_DEP_1)
	v_cmp_ne_u32_e64 s1, 0x7f800000, v128
                                        ; implicit-def: $vgpr128
	s_and_saveexec_b32 s13, s1
	s_delay_alu instid0(SALU_CYCLE_1)
	s_xor_b32 s1, exec_lo, s13
; %bb.1208:                             ;   in Loop: Header=BB411_808 Depth=1
	v_bfe_u32 v128, v129, 16, 1
	s_delay_alu instid0(VALU_DEP_1)
	v_add3_u32 v128, v129, v128, 0x7fff
                                        ; implicit-def: $vgpr129
; %bb.1209:                             ;   in Loop: Header=BB411_808 Depth=1
	s_and_not1_saveexec_b32 s13, s1
; %bb.1210:                             ;   in Loop: Header=BB411_808 Depth=1
	v_and_b32_e32 v128, 0xffff, v129
	v_or_b32_e32 v130, 0x10000, v129
	s_delay_alu instid0(VALU_DEP_2) | instskip(NEXT) | instid1(VALU_DEP_1)
	v_cmp_eq_u32_e64 s1, 0, v128
	v_cndmask_b32_e64 v128, v130, v129, s1
; %bb.1211:                             ;   in Loop: Header=BB411_808 Depth=1
	s_or_b32 exec_lo, exec_lo, s13
	v_lshlrev_b32_e32 v9, 16, v9
	s_delay_alu instid0(VALU_DEP_1) | instskip(NEXT) | instid1(VALU_DEP_1)
	v_mul_f32_e32 v9, v81, v9
	v_and_b32_e32 v129, 0x7f800000, v9
	s_delay_alu instid0(VALU_DEP_1) | instskip(NEXT) | instid1(VALU_DEP_1)
	v_cmp_ne_u32_e64 s1, 0x7f800000, v129
                                        ; implicit-def: $vgpr129
	s_and_saveexec_b32 s13, s1
	s_delay_alu instid0(SALU_CYCLE_1)
	s_xor_b32 s1, exec_lo, s13
; %bb.1212:                             ;   in Loop: Header=BB411_808 Depth=1
	v_bfe_u32 v129, v9, 16, 1
	s_delay_alu instid0(VALU_DEP_1)
	v_add3_u32 v129, v9, v129, 0x7fff
                                        ; implicit-def: $vgpr9
; %bb.1213:                             ;   in Loop: Header=BB411_808 Depth=1
	s_and_not1_saveexec_b32 s13, s1
; %bb.1214:                             ;   in Loop: Header=BB411_808 Depth=1
	v_and_b32_e32 v129, 0xffff, v9
	v_or_b32_e32 v130, 0x10000, v9
	s_delay_alu instid0(VALU_DEP_2) | instskip(NEXT) | instid1(VALU_DEP_1)
	v_cmp_eq_u32_e64 s1, 0, v129
	v_cndmask_b32_e64 v129, v130, v9, s1
; %bb.1215:                             ;   in Loop: Header=BB411_808 Depth=1
	s_or_b32 exec_lo, exec_lo, s13
	v_lshlrev_b32_e32 v7, 16, v7
                                        ; implicit-def: $vgpr130
	s_delay_alu instid0(VALU_DEP_1) | instskip(NEXT) | instid1(VALU_DEP_1)
	v_mul_f32_e32 v7, v98, v7
	v_and_b32_e32 v9, 0x7f800000, v7
	s_delay_alu instid0(VALU_DEP_1) | instskip(NEXT) | instid1(VALU_DEP_1)
	v_cmp_ne_u32_e64 s1, 0x7f800000, v9
	s_and_saveexec_b32 s13, s1
	s_delay_alu instid0(SALU_CYCLE_1)
	s_xor_b32 s1, exec_lo, s13
; %bb.1216:                             ;   in Loop: Header=BB411_808 Depth=1
	v_bfe_u32 v9, v7, 16, 1
	s_delay_alu instid0(VALU_DEP_1)
	v_add3_u32 v130, v7, v9, 0x7fff
                                        ; implicit-def: $vgpr7
; %bb.1217:                             ;   in Loop: Header=BB411_808 Depth=1
	s_and_not1_saveexec_b32 s13, s1
; %bb.1218:                             ;   in Loop: Header=BB411_808 Depth=1
	v_and_b32_e32 v9, 0xffff, v7
	v_or_b32_e32 v130, 0x10000, v7
	s_delay_alu instid0(VALU_DEP_2) | instskip(NEXT) | instid1(VALU_DEP_1)
	v_cmp_eq_u32_e64 s1, 0, v9
	v_cndmask_b32_e64 v130, v130, v7, s1
; %bb.1219:                             ;   in Loop: Header=BB411_808 Depth=1
	s_or_b32 exec_lo, exec_lo, s13
	v_lshlrev_b32_e32 v6, 16, v6
                                        ; implicit-def: $vgpr131
	s_delay_alu instid0(VALU_DEP_1) | instskip(NEXT) | instid1(VALU_DEP_1)
	v_mul_f32_e32 v6, v99, v6
	v_and_b32_e32 v7, 0x7f800000, v6
	s_delay_alu instid0(VALU_DEP_1) | instskip(NEXT) | instid1(VALU_DEP_1)
	v_cmp_ne_u32_e64 s1, 0x7f800000, v7
	s_and_saveexec_b32 s13, s1
	s_delay_alu instid0(SALU_CYCLE_1)
	s_xor_b32 s1, exec_lo, s13
; %bb.1220:                             ;   in Loop: Header=BB411_808 Depth=1
	v_bfe_u32 v7, v6, 16, 1
	s_delay_alu instid0(VALU_DEP_1)
	v_add3_u32 v131, v6, v7, 0x7fff
                                        ; implicit-def: $vgpr6
; %bb.1221:                             ;   in Loop: Header=BB411_808 Depth=1
	s_and_not1_saveexec_b32 s13, s1
; %bb.1222:                             ;   in Loop: Header=BB411_808 Depth=1
	v_and_b32_e32 v7, 0xffff, v6
	v_or_b32_e32 v9, 0x10000, v6
	s_delay_alu instid0(VALU_DEP_2) | instskip(NEXT) | instid1(VALU_DEP_1)
	v_cmp_eq_u32_e64 s1, 0, v7
	v_cndmask_b32_e64 v131, v9, v6, s1
; %bb.1223:                             ;   in Loop: Header=BB411_808 Depth=1
	s_or_b32 exec_lo, exec_lo, s13
	v_lshlrev_b32_e32 v3, 16, v3
                                        ; implicit-def: $vgpr132
	s_delay_alu instid0(VALU_DEP_1) | instskip(NEXT) | instid1(VALU_DEP_1)
	v_mul_f32_e32 v3, v100, v3
	v_and_b32_e32 v6, 0x7f800000, v3
	s_delay_alu instid0(VALU_DEP_1) | instskip(NEXT) | instid1(VALU_DEP_1)
	v_cmp_ne_u32_e64 s1, 0x7f800000, v6
	s_and_saveexec_b32 s13, s1
	s_delay_alu instid0(SALU_CYCLE_1)
	s_xor_b32 s1, exec_lo, s13
; %bb.1224:                             ;   in Loop: Header=BB411_808 Depth=1
	v_bfe_u32 v6, v3, 16, 1
	s_delay_alu instid0(VALU_DEP_1)
	v_add3_u32 v132, v3, v6, 0x7fff
                                        ; implicit-def: $vgpr3
; %bb.1225:                             ;   in Loop: Header=BB411_808 Depth=1
	s_and_not1_saveexec_b32 s13, s1
; %bb.1226:                             ;   in Loop: Header=BB411_808 Depth=1
	v_and_b32_e32 v6, 0xffff, v3
	v_or_b32_e32 v7, 0x10000, v3
	s_delay_alu instid0(VALU_DEP_2) | instskip(NEXT) | instid1(VALU_DEP_1)
	v_cmp_eq_u32_e64 s1, 0, v6
	v_cndmask_b32_e64 v132, v7, v3, s1
; %bb.1227:                             ;   in Loop: Header=BB411_808 Depth=1
	s_or_b32 exec_lo, exec_lo, s13
	v_lshlrev_b32_e32 v2, 16, v2
                                        ; implicit-def: $vgpr133
	s_delay_alu instid0(VALU_DEP_1) | instskip(NEXT) | instid1(VALU_DEP_1)
	v_mul_f32_e32 v2, v101, v2
	v_and_b32_e32 v3, 0x7f800000, v2
	s_delay_alu instid0(VALU_DEP_1) | instskip(NEXT) | instid1(VALU_DEP_1)
	v_cmp_ne_u32_e64 s1, 0x7f800000, v3
	s_and_saveexec_b32 s13, s1
	s_delay_alu instid0(SALU_CYCLE_1)
	s_xor_b32 s1, exec_lo, s13
; %bb.1228:                             ;   in Loop: Header=BB411_808 Depth=1
	v_bfe_u32 v3, v2, 16, 1
	s_delay_alu instid0(VALU_DEP_1)
	v_add3_u32 v133, v2, v3, 0x7fff
                                        ; implicit-def: $vgpr2
; %bb.1229:                             ;   in Loop: Header=BB411_808 Depth=1
	s_and_not1_saveexec_b32 s13, s1
; %bb.1230:                             ;   in Loop: Header=BB411_808 Depth=1
	v_and_b32_e32 v3, 0xffff, v2
	v_or_b32_e32 v6, 0x10000, v2
	s_delay_alu instid0(VALU_DEP_2) | instskip(NEXT) | instid1(VALU_DEP_1)
	v_cmp_eq_u32_e64 s1, 0, v3
	v_cndmask_b32_e64 v133, v6, v2, s1
; %bb.1231:                             ;   in Loop: Header=BB411_808 Depth=1
	s_or_b32 exec_lo, exec_lo, s13
	flat_load_b64 v[2:3], v[0:1] offset:768
	s_mov_b32 s13, exec_lo
	s_waitcnt vmcnt(0) lgkmcnt(0)
	v_dual_mov_b32 v6, 0 :: v_dual_and_b32 v7, 0xff, v2
	s_delay_alu instid0(VALU_DEP_1)
	v_cmpx_ne_u16_e32 0, v7
	s_cbranch_execz .LBB411_1239
; %bb.1232:                             ;   in Loop: Header=BB411_808 Depth=1
	v_bfrev_b32_e32 v6, 1
	s_mov_b32 s15, exec_lo
	v_cmpx_ne_u16_e32 0x80, v7
	s_cbranch_execz .LBB411_1238
; %bb.1233:                             ;   in Loop: Header=BB411_808 Depth=1
	v_and_b32_e32 v7, 0x7f, v2
	v_mov_b32_e32 v6, 0x7f800001
	s_mov_b32 s16, exec_lo
	s_delay_alu instid0(VALU_DEP_2)
	v_cmpx_ne_u32_e32 0x7f, v7
	s_cbranch_execz .LBB411_1237
; %bb.1234:                             ;   in Loop: Header=BB411_808 Depth=1
	v_lshrrev_b32_e32 v9, 3, v7
	v_cmp_gt_u32_e64 s1, 8, v7
	v_dual_mov_b32 v7, v3 :: v_dual_mov_b32 v6, v2
	s_delay_alu instid0(VALU_DEP_2)
	s_and_saveexec_b32 s17, s1
; %bb.1235:                             ;   in Loop: Header=BB411_808 Depth=1
	v_and_b32_e32 v6, 7, v2
	s_delay_alu instid0(VALU_DEP_1) | instskip(NEXT) | instid1(VALU_DEP_1)
	v_clz_i32_u32_e32 v6, v6
	v_min_u32_e32 v9, 32, v6
	s_delay_alu instid0(VALU_DEP_1) | instskip(SKIP_1) | instid1(VALU_DEP_2)
	v_subrev_nc_u32_e32 v6, 28, v9
	v_sub_nc_u32_e32 v9, 29, v9
	v_lshlrev_b64 v[6:7], v6, v[2:3]
; %bb.1236:                             ;   in Loop: Header=BB411_808 Depth=1
	s_or_b32 exec_lo, exec_lo, s17
	s_delay_alu instid0(VALU_DEP_1) | instskip(SKIP_2) | instid1(VALU_DEP_3)
	v_lshlrev_b32_e32 v6, 20, v6
	v_lshlrev_b32_e32 v7, 24, v2
	v_lshl_add_u32 v9, v9, 23, 0x3c000000
	v_and_b32_e32 v6, 0x700000, v6
	s_delay_alu instid0(VALU_DEP_3) | instskip(NEXT) | instid1(VALU_DEP_1)
	v_and_b32_e32 v7, 0x80000000, v7
	v_or3_b32 v6, v6, v7, v9
.LBB411_1237:                           ;   in Loop: Header=BB411_808 Depth=1
	s_or_b32 exec_lo, exec_lo, s16
.LBB411_1238:                           ;   in Loop: Header=BB411_808 Depth=1
	s_delay_alu instid0(SALU_CYCLE_1)
	s_or_b32 exec_lo, exec_lo, s15
.LBB411_1239:                           ;   in Loop: Header=BB411_808 Depth=1
	s_delay_alu instid0(SALU_CYCLE_1) | instskip(NEXT) | instid1(VALU_DEP_1)
	s_or_b32 exec_lo, exec_lo, s13
	v_mul_f32_e32 v6, v8, v6
                                        ; implicit-def: $vgpr134
	s_delay_alu instid0(VALU_DEP_1) | instskip(NEXT) | instid1(VALU_DEP_1)
	v_and_b32_e32 v7, 0x7f800000, v6
	v_cmp_ne_u32_e64 s1, 0x7f800000, v7
	s_delay_alu instid0(VALU_DEP_1) | instskip(NEXT) | instid1(SALU_CYCLE_1)
	s_and_saveexec_b32 s13, s1
	s_xor_b32 s1, exec_lo, s13
; %bb.1240:                             ;   in Loop: Header=BB411_808 Depth=1
	v_bfe_u32 v7, v6, 16, 1
	s_delay_alu instid0(VALU_DEP_1)
	v_add3_u32 v134, v6, v7, 0x7fff
                                        ; implicit-def: $vgpr6
; %bb.1241:                             ;   in Loop: Header=BB411_808 Depth=1
	s_and_not1_saveexec_b32 s13, s1
; %bb.1242:                             ;   in Loop: Header=BB411_808 Depth=1
	v_and_b32_e32 v7, 0xffff, v6
	v_or_b32_e32 v9, 0x10000, v6
	s_delay_alu instid0(VALU_DEP_2) | instskip(NEXT) | instid1(VALU_DEP_1)
	v_cmp_eq_u32_e64 s1, 0, v7
	v_cndmask_b32_e64 v134, v9, v6, s1
; %bb.1243:                             ;   in Loop: Header=BB411_808 Depth=1
	s_or_b32 exec_lo, exec_lo, s13
	v_lshrrev_b16 v7, 8, v2
	v_mov_b32_e32 v6, 0
	s_mov_b32 s13, exec_lo
	s_delay_alu instid0(VALU_DEP_2)
	v_cmpx_ne_u16_e32 0, v7
	s_cbranch_execz .LBB411_1251
; %bb.1244:                             ;   in Loop: Header=BB411_808 Depth=1
	v_bfrev_b32_e32 v6, 1
	s_mov_b32 s15, exec_lo
	v_cmpx_ne_u16_e32 0x80, v7
	s_cbranch_execz .LBB411_1250
; %bb.1245:                             ;   in Loop: Header=BB411_808 Depth=1
	v_and_b32_e32 v9, 0xffff, v7
	v_mov_b32_e32 v6, 0x7f800001
	s_mov_b32 s16, exec_lo
	s_delay_alu instid0(VALU_DEP_2) | instskip(NEXT) | instid1(VALU_DEP_1)
	v_and_b32_e32 v7, 0x7f, v9
	v_cmpx_ne_u32_e32 0x7f, v7
	s_cbranch_execz .LBB411_1249
; %bb.1246:                             ;   in Loop: Header=BB411_808 Depth=1
	v_and_b32_e32 v9, 7, v9
	v_lshrrev_b32_e32 v6, 3, v7
	s_mov_b32 s17, exec_lo
	v_cmpx_gt_u32_e32 8, v7
; %bb.1247:                             ;   in Loop: Header=BB411_808 Depth=1
	s_delay_alu instid0(VALU_DEP_3) | instskip(NEXT) | instid1(VALU_DEP_1)
	v_clz_i32_u32_e32 v6, v9
	v_min_u32_e32 v6, 32, v6
	s_delay_alu instid0(VALU_DEP_1) | instskip(SKIP_1) | instid1(VALU_DEP_2)
	v_subrev_nc_u32_e32 v7, 28, v6
	v_sub_nc_u32_e32 v6, 29, v6
	v_lshlrev_b64 v[144:145], v7, v[9:10]
	s_delay_alu instid0(VALU_DEP_1)
	v_and_b32_e32 v9, 7, v144
; %bb.1248:                             ;   in Loop: Header=BB411_808 Depth=1
	s_or_b32 exec_lo, exec_lo, s17
	v_lshlrev_b32_e32 v7, 16, v2
	s_delay_alu instid0(VALU_DEP_2) | instskip(SKIP_1) | instid1(VALU_DEP_3)
	v_lshlrev_b32_e32 v9, 20, v9
	v_lshl_add_u32 v6, v6, 23, 0x3c000000
	v_and_b32_e32 v7, 0x80000000, v7
	s_delay_alu instid0(VALU_DEP_1)
	v_or3_b32 v6, v9, v7, v6
.LBB411_1249:                           ;   in Loop: Header=BB411_808 Depth=1
	s_or_b32 exec_lo, exec_lo, s16
.LBB411_1250:                           ;   in Loop: Header=BB411_808 Depth=1
	s_delay_alu instid0(SALU_CYCLE_1)
	s_or_b32 exec_lo, exec_lo, s15
.LBB411_1251:                           ;   in Loop: Header=BB411_808 Depth=1
	s_delay_alu instid0(SALU_CYCLE_1) | instskip(NEXT) | instid1(VALU_DEP_1)
	s_or_b32 exec_lo, exec_lo, s13
	v_mul_f32_e32 v6, v8, v6
                                        ; implicit-def: $vgpr135
	s_delay_alu instid0(VALU_DEP_1) | instskip(NEXT) | instid1(VALU_DEP_1)
	v_and_b32_e32 v7, 0x7f800000, v6
	v_cmp_ne_u32_e64 s1, 0x7f800000, v7
	s_delay_alu instid0(VALU_DEP_1) | instskip(NEXT) | instid1(SALU_CYCLE_1)
	s_and_saveexec_b32 s13, s1
	s_xor_b32 s1, exec_lo, s13
; %bb.1252:                             ;   in Loop: Header=BB411_808 Depth=1
	v_bfe_u32 v7, v6, 16, 1
	s_delay_alu instid0(VALU_DEP_1)
	v_add3_u32 v135, v6, v7, 0x7fff
                                        ; implicit-def: $vgpr6
; %bb.1253:                             ;   in Loop: Header=BB411_808 Depth=1
	s_and_not1_saveexec_b32 s13, s1
; %bb.1254:                             ;   in Loop: Header=BB411_808 Depth=1
	v_and_b32_e32 v7, 0xffff, v6
	v_or_b32_e32 v9, 0x10000, v6
	s_delay_alu instid0(VALU_DEP_2) | instskip(NEXT) | instid1(VALU_DEP_1)
	v_cmp_eq_u32_e64 s1, 0, v7
	v_cndmask_b32_e64 v135, v9, v6, s1
; %bb.1255:                             ;   in Loop: Header=BB411_808 Depth=1
	s_or_b32 exec_lo, exec_lo, s13
	v_lshrrev_b32_e32 v6, 16, v2
	v_mov_b32_e32 v7, 0
	s_mov_b32 s13, exec_lo
	s_delay_alu instid0(VALU_DEP_2) | instskip(NEXT) | instid1(VALU_DEP_1)
	v_and_b32_e32 v9, 0xff, v6
	v_cmpx_ne_u16_e32 0, v9
	s_cbranch_execz .LBB411_1263
; %bb.1256:                             ;   in Loop: Header=BB411_808 Depth=1
	v_bfrev_b32_e32 v7, 1
	s_mov_b32 s15, exec_lo
	v_cmpx_ne_u16_e32 0x80, v9
	s_cbranch_execz .LBB411_1262
; %bb.1257:                             ;   in Loop: Header=BB411_808 Depth=1
	v_bfe_u32 v144, v2, 16, 7
	v_mov_b32_e32 v7, 0x7f800001
	s_mov_b32 s16, exec_lo
	s_delay_alu instid0(VALU_DEP_2)
	v_cmpx_ne_u32_e32 0x7f, v144
	s_cbranch_execz .LBB411_1261
; %bb.1258:                             ;   in Loop: Header=BB411_808 Depth=1
	v_and_b32_e32 v9, 7, v6
	v_lshrrev_b32_e32 v7, 3, v144
	s_mov_b32 s17, exec_lo
	v_cmpx_gt_u32_e32 8, v144
; %bb.1259:                             ;   in Loop: Header=BB411_808 Depth=1
	s_delay_alu instid0(VALU_DEP_3) | instskip(NEXT) | instid1(VALU_DEP_1)
	v_clz_i32_u32_e32 v7, v9
	v_min_u32_e32 v7, 32, v7
	s_delay_alu instid0(VALU_DEP_1) | instskip(SKIP_1) | instid1(VALU_DEP_2)
	v_subrev_nc_u32_e32 v144, 28, v7
	v_sub_nc_u32_e32 v7, 29, v7
	v_lshlrev_b64 v[144:145], v144, v[9:10]
	s_delay_alu instid0(VALU_DEP_1)
	v_and_b32_e32 v9, 7, v144
; %bb.1260:                             ;   in Loop: Header=BB411_808 Depth=1
	s_or_b32 exec_lo, exec_lo, s17
	v_lshlrev_b32_e32 v6, 24, v6
	s_delay_alu instid0(VALU_DEP_2) | instskip(SKIP_1) | instid1(VALU_DEP_3)
	v_lshlrev_b32_e32 v9, 20, v9
	v_lshl_add_u32 v7, v7, 23, 0x3c000000
	v_and_b32_e32 v6, 0x80000000, v6
	s_delay_alu instid0(VALU_DEP_1)
	v_or3_b32 v7, v9, v6, v7
.LBB411_1261:                           ;   in Loop: Header=BB411_808 Depth=1
	s_or_b32 exec_lo, exec_lo, s16
.LBB411_1262:                           ;   in Loop: Header=BB411_808 Depth=1
	s_delay_alu instid0(SALU_CYCLE_1)
	s_or_b32 exec_lo, exec_lo, s15
.LBB411_1263:                           ;   in Loop: Header=BB411_808 Depth=1
	s_delay_alu instid0(SALU_CYCLE_1) | instskip(NEXT) | instid1(VALU_DEP_1)
	s_or_b32 exec_lo, exec_lo, s13
	v_mul_f32_e32 v6, v8, v7
                                        ; implicit-def: $vgpr144
	s_delay_alu instid0(VALU_DEP_1) | instskip(NEXT) | instid1(VALU_DEP_1)
	v_and_b32_e32 v7, 0x7f800000, v6
	v_cmp_ne_u32_e64 s1, 0x7f800000, v7
	s_delay_alu instid0(VALU_DEP_1) | instskip(NEXT) | instid1(SALU_CYCLE_1)
	s_and_saveexec_b32 s13, s1
	s_xor_b32 s1, exec_lo, s13
; %bb.1264:                             ;   in Loop: Header=BB411_808 Depth=1
	v_bfe_u32 v7, v6, 16, 1
	s_delay_alu instid0(VALU_DEP_1)
	v_add3_u32 v144, v6, v7, 0x7fff
                                        ; implicit-def: $vgpr6
; %bb.1265:                             ;   in Loop: Header=BB411_808 Depth=1
	s_and_not1_saveexec_b32 s13, s1
; %bb.1266:                             ;   in Loop: Header=BB411_808 Depth=1
	v_and_b32_e32 v7, 0xffff, v6
	v_or_b32_e32 v9, 0x10000, v6
	s_delay_alu instid0(VALU_DEP_2) | instskip(NEXT) | instid1(VALU_DEP_1)
	v_cmp_eq_u32_e64 s1, 0, v7
	v_cndmask_b32_e64 v144, v9, v6, s1
; %bb.1267:                             ;   in Loop: Header=BB411_808 Depth=1
	s_or_b32 exec_lo, exec_lo, s13
	v_mov_b32_e32 v7, 0
	s_mov_b32 s13, exec_lo
	v_cmpx_lt_u32_e32 0xffffff, v2
	s_cbranch_execz .LBB411_1275
; %bb.1268:                             ;   in Loop: Header=BB411_808 Depth=1
	v_lshrrev_b32_e32 v6, 24, v2
	v_bfrev_b32_e32 v7, 1
	s_mov_b32 s15, exec_lo
	s_delay_alu instid0(VALU_DEP_2)
	v_cmpx_ne_u32_e32 0x80, v6
	s_cbranch_execz .LBB411_1274
; %bb.1269:                             ;   in Loop: Header=BB411_808 Depth=1
	v_bfe_u32 v145, v2, 24, 7
	v_mov_b32_e32 v7, 0x7f800001
	s_mov_b32 s16, exec_lo
	s_delay_alu instid0(VALU_DEP_2)
	v_cmpx_ne_u32_e32 0x7f, v145
	s_cbranch_execz .LBB411_1273
; %bb.1270:                             ;   in Loop: Header=BB411_808 Depth=1
	v_and_b32_e32 v9, 7, v6
	v_lshrrev_b32_e32 v7, 3, v145
	s_mov_b32 s17, exec_lo
	v_cmpx_gt_u32_e32 8, v145
; %bb.1271:                             ;   in Loop: Header=BB411_808 Depth=1
	s_delay_alu instid0(VALU_DEP_3) | instskip(NEXT) | instid1(VALU_DEP_1)
	v_clz_i32_u32_e32 v7, v9
	v_min_u32_e32 v7, 32, v7
	s_delay_alu instid0(VALU_DEP_1) | instskip(SKIP_1) | instid1(VALU_DEP_2)
	v_subrev_nc_u32_e32 v145, 28, v7
	v_sub_nc_u32_e32 v7, 29, v7
	v_lshlrev_b64 v[145:146], v145, v[9:10]
	s_delay_alu instid0(VALU_DEP_1)
	v_and_b32_e32 v9, 7, v145
; %bb.1272:                             ;   in Loop: Header=BB411_808 Depth=1
	s_or_b32 exec_lo, exec_lo, s17
	v_lshlrev_b32_e32 v6, 24, v6
	s_delay_alu instid0(VALU_DEP_2) | instskip(SKIP_1) | instid1(VALU_DEP_3)
	v_lshlrev_b32_e32 v9, 20, v9
	v_lshl_add_u32 v7, v7, 23, 0x3c000000
	v_and_b32_e32 v6, 0x80000000, v6
	s_delay_alu instid0(VALU_DEP_1)
	v_or3_b32 v7, v9, v6, v7
.LBB411_1273:                           ;   in Loop: Header=BB411_808 Depth=1
	s_or_b32 exec_lo, exec_lo, s16
.LBB411_1274:                           ;   in Loop: Header=BB411_808 Depth=1
	s_delay_alu instid0(SALU_CYCLE_1)
	s_or_b32 exec_lo, exec_lo, s15
.LBB411_1275:                           ;   in Loop: Header=BB411_808 Depth=1
	s_delay_alu instid0(SALU_CYCLE_1) | instskip(NEXT) | instid1(VALU_DEP_1)
	s_or_b32 exec_lo, exec_lo, s13
	v_mul_f32_e32 v6, v8, v7
                                        ; implicit-def: $vgpr145
	s_delay_alu instid0(VALU_DEP_1) | instskip(NEXT) | instid1(VALU_DEP_1)
	v_and_b32_e32 v7, 0x7f800000, v6
	v_cmp_ne_u32_e64 s1, 0x7f800000, v7
	s_delay_alu instid0(VALU_DEP_1) | instskip(NEXT) | instid1(SALU_CYCLE_1)
	s_and_saveexec_b32 s13, s1
	s_xor_b32 s1, exec_lo, s13
; %bb.1276:                             ;   in Loop: Header=BB411_808 Depth=1
	v_bfe_u32 v7, v6, 16, 1
	s_delay_alu instid0(VALU_DEP_1)
	v_add3_u32 v145, v6, v7, 0x7fff
                                        ; implicit-def: $vgpr6
; %bb.1277:                             ;   in Loop: Header=BB411_808 Depth=1
	s_and_not1_saveexec_b32 s13, s1
; %bb.1278:                             ;   in Loop: Header=BB411_808 Depth=1
	v_and_b32_e32 v7, 0xffff, v6
	v_or_b32_e32 v9, 0x10000, v6
	s_delay_alu instid0(VALU_DEP_2) | instskip(NEXT) | instid1(VALU_DEP_1)
	v_cmp_eq_u32_e64 s1, 0, v7
	v_cndmask_b32_e64 v145, v9, v6, s1
; %bb.1279:                             ;   in Loop: Header=BB411_808 Depth=1
	s_or_b32 exec_lo, exec_lo, s13
	v_dual_mov_b32 v6, 0 :: v_dual_and_b32 v7, 0xff, v3
	v_mov_b32_e32 v9, v3
	s_mov_b32 s13, exec_lo
	s_delay_alu instid0(VALU_DEP_2)
	v_cmpx_ne_u16_e32 0, v7
	s_cbranch_execz .LBB411_1287
; %bb.1280:                             ;   in Loop: Header=BB411_808 Depth=1
	v_bfrev_b32_e32 v6, 1
	s_mov_b32 s15, exec_lo
	v_cmpx_ne_u16_e32 0x80, v7
	s_cbranch_execz .LBB411_1286
; %bb.1281:                             ;   in Loop: Header=BB411_808 Depth=1
	v_and_b32_e32 v7, 0x7f, v3
	v_mov_b32_e32 v6, 0x7f800001
	s_mov_b32 s16, exec_lo
	s_delay_alu instid0(VALU_DEP_2)
	v_cmpx_ne_u32_e32 0x7f, v7
	s_cbranch_execz .LBB411_1285
; %bb.1282:                             ;   in Loop: Header=BB411_808 Depth=1
	v_lshrrev_b32_e32 v146, 3, v7
	v_cmp_gt_u32_e64 s1, 8, v7
	v_dual_mov_b32 v6, v9 :: v_dual_mov_b32 v7, v10
	s_delay_alu instid0(VALU_DEP_2)
	s_and_saveexec_b32 s17, s1
; %bb.1283:                             ;   in Loop: Header=BB411_808 Depth=1
	v_and_b32_e32 v6, 7, v3
	s_delay_alu instid0(VALU_DEP_1) | instskip(NEXT) | instid1(VALU_DEP_1)
	v_clz_i32_u32_e32 v6, v6
	v_min_u32_e32 v146, 32, v6
	s_delay_alu instid0(VALU_DEP_1) | instskip(SKIP_1) | instid1(VALU_DEP_2)
	v_subrev_nc_u32_e32 v6, 28, v146
	v_sub_nc_u32_e32 v146, 29, v146
	v_lshlrev_b64 v[6:7], v6, v[9:10]
; %bb.1284:                             ;   in Loop: Header=BB411_808 Depth=1
	s_or_b32 exec_lo, exec_lo, s17
	s_delay_alu instid0(VALU_DEP_1) | instskip(SKIP_2) | instid1(VALU_DEP_3)
	v_lshlrev_b32_e32 v6, 20, v6
	v_lshlrev_b32_e32 v7, 24, v9
	v_lshl_add_u32 v146, v146, 23, 0x3c000000
	v_and_b32_e32 v6, 0x700000, v6
	s_delay_alu instid0(VALU_DEP_3) | instskip(NEXT) | instid1(VALU_DEP_1)
	v_and_b32_e32 v7, 0x80000000, v7
	v_or3_b32 v6, v6, v7, v146
.LBB411_1285:                           ;   in Loop: Header=BB411_808 Depth=1
	s_or_b32 exec_lo, exec_lo, s16
.LBB411_1286:                           ;   in Loop: Header=BB411_808 Depth=1
	s_delay_alu instid0(SALU_CYCLE_1)
	s_or_b32 exec_lo, exec_lo, s15
.LBB411_1287:                           ;   in Loop: Header=BB411_808 Depth=1
	s_delay_alu instid0(SALU_CYCLE_1) | instskip(NEXT) | instid1(VALU_DEP_1)
	s_or_b32 exec_lo, exec_lo, s13
	v_mul_f32_e32 v6, v8, v6
                                        ; implicit-def: $vgpr146
	s_delay_alu instid0(VALU_DEP_1) | instskip(NEXT) | instid1(VALU_DEP_1)
	v_and_b32_e32 v7, 0x7f800000, v6
	v_cmp_ne_u32_e64 s1, 0x7f800000, v7
	s_delay_alu instid0(VALU_DEP_1) | instskip(NEXT) | instid1(SALU_CYCLE_1)
	s_and_saveexec_b32 s13, s1
	s_xor_b32 s1, exec_lo, s13
; %bb.1288:                             ;   in Loop: Header=BB411_808 Depth=1
	v_bfe_u32 v7, v6, 16, 1
	s_delay_alu instid0(VALU_DEP_1)
	v_add3_u32 v146, v6, v7, 0x7fff
                                        ; implicit-def: $vgpr6
; %bb.1289:                             ;   in Loop: Header=BB411_808 Depth=1
	s_and_not1_saveexec_b32 s13, s1
; %bb.1290:                             ;   in Loop: Header=BB411_808 Depth=1
	v_and_b32_e32 v7, 0xffff, v6
	v_or_b32_e32 v146, 0x10000, v6
	s_delay_alu instid0(VALU_DEP_2) | instskip(NEXT) | instid1(VALU_DEP_1)
	v_cmp_eq_u32_e64 s1, 0, v7
	v_cndmask_b32_e64 v146, v146, v6, s1
; %bb.1291:                             ;   in Loop: Header=BB411_808 Depth=1
	s_or_b32 exec_lo, exec_lo, s13
	v_lshrrev_b16 v7, 8, v9
	v_mov_b32_e32 v6, 0
	s_mov_b32 s13, exec_lo
	s_delay_alu instid0(VALU_DEP_2)
	v_cmpx_ne_u16_e32 0, v7
	s_cbranch_execz .LBB411_1299
; %bb.1292:                             ;   in Loop: Header=BB411_808 Depth=1
	v_bfrev_b32_e32 v6, 1
	s_mov_b32 s15, exec_lo
	v_cmpx_ne_u16_e32 0x80, v7
	s_cbranch_execz .LBB411_1298
; %bb.1293:                             ;   in Loop: Header=BB411_808 Depth=1
	v_and_b32_e32 v7, 0xffff, v7
	v_mov_b32_e32 v6, 0x7f800001
	s_mov_b32 s16, exec_lo
	s_delay_alu instid0(VALU_DEP_2) | instskip(NEXT) | instid1(VALU_DEP_1)
	v_and_b32_e32 v148, 0x7f, v7
	v_cmpx_ne_u32_e32 0x7f, v148
	s_cbranch_execz .LBB411_1297
; %bb.1294:                             ;   in Loop: Header=BB411_808 Depth=1
	v_dual_mov_b32 v7, v10 :: v_dual_and_b32 v6, 7, v7
	v_lshrrev_b32_e32 v147, 3, v148
	s_mov_b32 s17, exec_lo
	v_cmpx_gt_u32_e32 8, v148
; %bb.1295:                             ;   in Loop: Header=BB411_808 Depth=1
	s_delay_alu instid0(VALU_DEP_3) | instskip(NEXT) | instid1(VALU_DEP_1)
	v_clz_i32_u32_e32 v147, v6
	v_min_u32_e32 v147, 32, v147
	s_delay_alu instid0(VALU_DEP_1) | instskip(SKIP_1) | instid1(VALU_DEP_2)
	v_subrev_nc_u32_e32 v148, 28, v147
	v_sub_nc_u32_e32 v147, 29, v147
	v_lshlrev_b64 v[6:7], v148, v[6:7]
	s_delay_alu instid0(VALU_DEP_1)
	v_and_b32_e32 v6, 7, v6
; %bb.1296:                             ;   in Loop: Header=BB411_808 Depth=1
	s_or_b32 exec_lo, exec_lo, s17
	v_lshlrev_b32_e32 v7, 16, v9
	s_delay_alu instid0(VALU_DEP_2) | instskip(SKIP_1) | instid1(VALU_DEP_3)
	v_lshlrev_b32_e32 v6, 20, v6
	v_lshl_add_u32 v9, v147, 23, 0x3c000000
	v_and_b32_e32 v7, 0x80000000, v7
	s_delay_alu instid0(VALU_DEP_1)
	v_or3_b32 v6, v6, v7, v9
.LBB411_1297:                           ;   in Loop: Header=BB411_808 Depth=1
	s_or_b32 exec_lo, exec_lo, s16
.LBB411_1298:                           ;   in Loop: Header=BB411_808 Depth=1
	s_delay_alu instid0(SALU_CYCLE_1)
	s_or_b32 exec_lo, exec_lo, s15
.LBB411_1299:                           ;   in Loop: Header=BB411_808 Depth=1
	s_delay_alu instid0(SALU_CYCLE_1) | instskip(NEXT) | instid1(VALU_DEP_1)
	s_or_b32 exec_lo, exec_lo, s13
	v_mul_f32_e32 v7, v8, v6
	s_delay_alu instid0(VALU_DEP_1) | instskip(NEXT) | instid1(VALU_DEP_1)
	v_and_b32_e32 v6, 0x7f800000, v7
	v_cmp_ne_u32_e64 s1, 0x7f800000, v6
                                        ; implicit-def: $vgpr6
	s_delay_alu instid0(VALU_DEP_1) | instskip(NEXT) | instid1(SALU_CYCLE_1)
	s_and_saveexec_b32 s13, s1
	s_xor_b32 s1, exec_lo, s13
; %bb.1300:                             ;   in Loop: Header=BB411_808 Depth=1
	v_bfe_u32 v6, v7, 16, 1
	s_delay_alu instid0(VALU_DEP_1)
	v_add3_u32 v6, v7, v6, 0x7fff
                                        ; implicit-def: $vgpr7
; %bb.1301:                             ;   in Loop: Header=BB411_808 Depth=1
	s_and_not1_saveexec_b32 s13, s1
; %bb.1302:                             ;   in Loop: Header=BB411_808 Depth=1
	v_and_b32_e32 v6, 0xffff, v7
	v_or_b32_e32 v9, 0x10000, v7
	s_delay_alu instid0(VALU_DEP_2) | instskip(NEXT) | instid1(VALU_DEP_1)
	v_cmp_eq_u32_e64 s1, 0, v6
	v_cndmask_b32_e64 v6, v9, v7, s1
; %bb.1303:                             ;   in Loop: Header=BB411_808 Depth=1
	s_or_b32 exec_lo, exec_lo, s13
	v_lshrrev_b32_e32 v7, 16, v3
	v_mov_b32_e32 v9, 0
	s_mov_b32 s13, exec_lo
	s_delay_alu instid0(VALU_DEP_2) | instskip(NEXT) | instid1(VALU_DEP_1)
	v_and_b32_e32 v147, 0xff, v7
	v_cmpx_ne_u16_e64 0, v147
	s_cbranch_execz .LBB411_1311
; %bb.1304:                             ;   in Loop: Header=BB411_808 Depth=1
	v_bfrev_b32_e32 v9, 1
	s_mov_b32 s15, exec_lo
	v_cmpx_ne_u16_e64 0x80, v147
	s_cbranch_execz .LBB411_1310
; %bb.1305:                             ;   in Loop: Header=BB411_808 Depth=1
	v_bfe_u32 v148, v3, 16, 7
	v_mov_b32_e32 v9, 0x7f800001
	s_mov_b32 s16, exec_lo
	s_delay_alu instid0(VALU_DEP_2)
	v_cmpx_ne_u32_e32 0x7f, v148
	s_cbranch_execz .LBB411_1309
; %bb.1306:                             ;   in Loop: Header=BB411_808 Depth=1
	v_and_b32_e32 v9, 7, v7
	v_lshrrev_b32_e32 v147, 3, v148
	s_mov_b32 s17, exec_lo
	v_cmpx_gt_u32_e32 8, v148
; %bb.1307:                             ;   in Loop: Header=BB411_808 Depth=1
	s_delay_alu instid0(VALU_DEP_3) | instskip(NEXT) | instid1(VALU_DEP_1)
	v_clz_i32_u32_e32 v147, v9
	v_min_u32_e32 v147, 32, v147
	s_delay_alu instid0(VALU_DEP_1) | instskip(SKIP_1) | instid1(VALU_DEP_2)
	v_subrev_nc_u32_e32 v148, 28, v147
	v_sub_nc_u32_e32 v147, 29, v147
	v_lshlrev_b64 v[148:149], v148, v[9:10]
	s_delay_alu instid0(VALU_DEP_1)
	v_and_b32_e32 v9, 7, v148
; %bb.1308:                             ;   in Loop: Header=BB411_808 Depth=1
	s_or_b32 exec_lo, exec_lo, s17
	v_lshlrev_b32_e32 v7, 24, v7
	s_delay_alu instid0(VALU_DEP_2) | instskip(SKIP_1) | instid1(VALU_DEP_3)
	v_lshlrev_b32_e32 v9, 20, v9
	v_lshl_add_u32 v147, v147, 23, 0x3c000000
	v_and_b32_e32 v7, 0x80000000, v7
	s_delay_alu instid0(VALU_DEP_1)
	v_or3_b32 v9, v9, v7, v147
.LBB411_1309:                           ;   in Loop: Header=BB411_808 Depth=1
	s_or_b32 exec_lo, exec_lo, s16
.LBB411_1310:                           ;   in Loop: Header=BB411_808 Depth=1
	s_delay_alu instid0(SALU_CYCLE_1)
	s_or_b32 exec_lo, exec_lo, s15
.LBB411_1311:                           ;   in Loop: Header=BB411_808 Depth=1
	s_delay_alu instid0(SALU_CYCLE_1) | instskip(NEXT) | instid1(VALU_DEP_1)
	s_or_b32 exec_lo, exec_lo, s13
	v_mul_f32_e32 v7, v8, v9
                                        ; implicit-def: $vgpr147
	s_delay_alu instid0(VALU_DEP_1) | instskip(NEXT) | instid1(VALU_DEP_1)
	v_and_b32_e32 v9, 0x7f800000, v7
	v_cmp_ne_u32_e64 s1, 0x7f800000, v9
	s_delay_alu instid0(VALU_DEP_1) | instskip(NEXT) | instid1(SALU_CYCLE_1)
	s_and_saveexec_b32 s13, s1
	s_xor_b32 s1, exec_lo, s13
; %bb.1312:                             ;   in Loop: Header=BB411_808 Depth=1
	v_bfe_u32 v9, v7, 16, 1
	s_delay_alu instid0(VALU_DEP_1)
	v_add3_u32 v147, v7, v9, 0x7fff
                                        ; implicit-def: $vgpr7
; %bb.1313:                             ;   in Loop: Header=BB411_808 Depth=1
	s_and_not1_saveexec_b32 s13, s1
; %bb.1314:                             ;   in Loop: Header=BB411_808 Depth=1
	v_and_b32_e32 v9, 0xffff, v7
	v_or_b32_e32 v147, 0x10000, v7
	s_delay_alu instid0(VALU_DEP_2) | instskip(NEXT) | instid1(VALU_DEP_1)
	v_cmp_eq_u32_e64 s1, 0, v9
	v_cndmask_b32_e64 v147, v147, v7, s1
; %bb.1315:                             ;   in Loop: Header=BB411_808 Depth=1
	s_or_b32 exec_lo, exec_lo, s13
	v_mov_b32_e32 v7, 0
	s_mov_b32 s13, exec_lo
	v_cmpx_lt_u64_e64 s[4:5], v[2:3]
	s_cbranch_execz .LBB411_1323
; %bb.1316:                             ;   in Loop: Header=BB411_808 Depth=1
	v_lshrrev_b32_e32 v2, 24, v3
	v_bfrev_b32_e32 v7, 1
	s_mov_b32 s15, exec_lo
	s_delay_alu instid0(VALU_DEP_2)
	v_cmpx_ne_u32_e32 0x80, v2
	s_cbranch_execz .LBB411_1322
; %bb.1317:                             ;   in Loop: Header=BB411_808 Depth=1
	v_bfe_u32 v148, v3, 24, 7
	v_mov_b32_e32 v7, 0x7f800001
	s_mov_b32 s16, exec_lo
	s_delay_alu instid0(VALU_DEP_2)
	v_cmpx_ne_u32_e32 0x7f, v148
	s_cbranch_execz .LBB411_1321
; %bb.1318:                             ;   in Loop: Header=BB411_808 Depth=1
	v_and_b32_e32 v9, 7, v2
	v_lshrrev_b32_e32 v3, 3, v148
	s_mov_b32 s17, exec_lo
	v_cmpx_gt_u32_e32 8, v148
; %bb.1319:                             ;   in Loop: Header=BB411_808 Depth=1
	s_delay_alu instid0(VALU_DEP_3) | instskip(NEXT) | instid1(VALU_DEP_1)
	v_clz_i32_u32_e32 v3, v9
	v_min_u32_e32 v3, 32, v3
	s_delay_alu instid0(VALU_DEP_1) | instskip(SKIP_1) | instid1(VALU_DEP_2)
	v_subrev_nc_u32_e32 v7, 28, v3
	v_sub_nc_u32_e32 v3, 29, v3
	v_lshlrev_b64 v[148:149], v7, v[9:10]
	s_delay_alu instid0(VALU_DEP_1)
	v_and_b32_e32 v9, 7, v148
; %bb.1320:                             ;   in Loop: Header=BB411_808 Depth=1
	s_or_b32 exec_lo, exec_lo, s17
	v_lshlrev_b32_e32 v2, 24, v2
	s_delay_alu instid0(VALU_DEP_2) | instskip(SKIP_1) | instid1(VALU_DEP_3)
	v_lshlrev_b32_e32 v7, 20, v9
	v_lshl_add_u32 v3, v3, 23, 0x3c000000
	v_and_b32_e32 v2, 0x80000000, v2
	s_delay_alu instid0(VALU_DEP_1)
	v_or3_b32 v7, v7, v2, v3
.LBB411_1321:                           ;   in Loop: Header=BB411_808 Depth=1
	s_or_b32 exec_lo, exec_lo, s16
.LBB411_1322:                           ;   in Loop: Header=BB411_808 Depth=1
	s_delay_alu instid0(SALU_CYCLE_1)
	s_or_b32 exec_lo, exec_lo, s15
.LBB411_1323:                           ;   in Loop: Header=BB411_808 Depth=1
	s_delay_alu instid0(SALU_CYCLE_1) | instskip(NEXT) | instid1(VALU_DEP_1)
	s_or_b32 exec_lo, exec_lo, s13
	v_mul_f32_e32 v3, v8, v7
	s_delay_alu instid0(VALU_DEP_1) | instskip(NEXT) | instid1(VALU_DEP_1)
	v_and_b32_e32 v2, 0x7f800000, v3
	v_cmp_ne_u32_e64 s1, 0x7f800000, v2
                                        ; implicit-def: $vgpr2
	s_delay_alu instid0(VALU_DEP_1) | instskip(NEXT) | instid1(SALU_CYCLE_1)
	s_and_saveexec_b32 s13, s1
	s_xor_b32 s1, exec_lo, s13
; %bb.1324:                             ;   in Loop: Header=BB411_808 Depth=1
	v_bfe_u32 v2, v3, 16, 1
	s_delay_alu instid0(VALU_DEP_1)
	v_add3_u32 v2, v3, v2, 0x7fff
                                        ; implicit-def: $vgpr3
; %bb.1325:                             ;   in Loop: Header=BB411_808 Depth=1
	s_and_not1_saveexec_b32 s13, s1
; %bb.1326:                             ;   in Loop: Header=BB411_808 Depth=1
	v_and_b32_e32 v2, 0xffff, v3
	v_or_b32_e32 v7, 0x10000, v3
	s_delay_alu instid0(VALU_DEP_2) | instskip(NEXT) | instid1(VALU_DEP_1)
	v_cmp_eq_u32_e64 s1, 0, v2
	v_cndmask_b32_e64 v2, v7, v3, s1
; %bb.1327:                             ;   in Loop: Header=BB411_808 Depth=1
	s_or_b32 exec_lo, exec_lo, s13
	v_lshrrev_b32_e32 v6, 16, v6
	v_lshrrev_b32_e32 v7, 16, v146
	;; [unrolled: 1-line block ×8, first 2 shown]
	s_and_saveexec_b32 s13, vcc_lo
	s_cbranch_execz .LBB411_1329
; %bb.1328:                             ;   in Loop: Header=BB411_808 Depth=1
	v_cmp_lt_i32_e64 s1, v53, v83
	s_delay_alu instid0(VALU_DEP_1) | instskip(SKIP_1) | instid1(VALU_DEP_1)
	v_cndmask_b32_e64 v134, 0, v134, s1
	v_cmp_lt_i32_e64 s1, v69, v83
	v_cndmask_b32_e64 v135, 0, v135, s1
	v_cmp_lt_i32_e64 s1, v68, v83
	s_delay_alu instid0(VALU_DEP_1) | instskip(SKIP_1) | instid1(VALU_DEP_1)
	v_cndmask_b32_e64 v144, 0, v144, s1
	v_cmp_lt_i32_e64 s1, v67, v83
	v_cndmask_b32_e64 v9, 0, v9, s1
	v_cmp_lt_i32_e64 s1, v66, v83
	s_delay_alu instid0(VALU_DEP_1) | instskip(SKIP_1) | instid1(VALU_DEP_1)
	v_cndmask_b32_e64 v7, 0, v7, s1
	v_cmp_lt_i32_e64 s1, v65, v83
	v_cndmask_b32_e64 v6, 0, v6, s1
	v_cmp_lt_i32_e64 s1, v55, v83
	s_delay_alu instid0(VALU_DEP_1) | instskip(SKIP_1) | instid1(VALU_DEP_1)
	v_cndmask_b32_e64 v3, 0, v3, s1
	v_cmp_lt_i32_e64 s1, v54, v83
	v_cndmask_b32_e64 v2, 0, v2, s1
.LBB411_1329:                           ;   in Loop: Header=BB411_808 Depth=1
	s_or_b32 exec_lo, exec_lo, s13
	v_lshlrev_b32_e32 v134, 16, v134
	s_delay_alu instid0(VALU_DEP_1) | instskip(NEXT) | instid1(VALU_DEP_1)
	v_mul_f32_e32 v145, v70, v134
	v_and_b32_e32 v134, 0x7f800000, v145
	s_delay_alu instid0(VALU_DEP_1) | instskip(NEXT) | instid1(VALU_DEP_1)
	v_cmp_ne_u32_e64 s1, 0x7f800000, v134
                                        ; implicit-def: $vgpr134
	s_and_saveexec_b32 s13, s1
	s_delay_alu instid0(SALU_CYCLE_1)
	s_xor_b32 s1, exec_lo, s13
; %bb.1330:                             ;   in Loop: Header=BB411_808 Depth=1
	v_bfe_u32 v134, v145, 16, 1
	s_delay_alu instid0(VALU_DEP_1)
	v_add3_u32 v134, v145, v134, 0x7fff
                                        ; implicit-def: $vgpr145
; %bb.1331:                             ;   in Loop: Header=BB411_808 Depth=1
	s_and_not1_saveexec_b32 s13, s1
; %bb.1332:                             ;   in Loop: Header=BB411_808 Depth=1
	v_and_b32_e32 v134, 0xffff, v145
	v_or_b32_e32 v146, 0x10000, v145
	s_delay_alu instid0(VALU_DEP_2) | instskip(NEXT) | instid1(VALU_DEP_1)
	v_cmp_eq_u32_e64 s1, 0, v134
	v_cndmask_b32_e64 v134, v146, v145, s1
; %bb.1333:                             ;   in Loop: Header=BB411_808 Depth=1
	s_or_b32 exec_lo, exec_lo, s13
	v_lshlrev_b32_e32 v135, 16, v135
	s_delay_alu instid0(VALU_DEP_1) | instskip(NEXT) | instid1(VALU_DEP_1)
	v_mul_f32_e32 v145, v71, v135
	v_and_b32_e32 v135, 0x7f800000, v145
	s_delay_alu instid0(VALU_DEP_1) | instskip(NEXT) | instid1(VALU_DEP_1)
	v_cmp_ne_u32_e64 s1, 0x7f800000, v135
                                        ; implicit-def: $vgpr135
	s_and_saveexec_b32 s13, s1
	s_delay_alu instid0(SALU_CYCLE_1)
	s_xor_b32 s1, exec_lo, s13
; %bb.1334:                             ;   in Loop: Header=BB411_808 Depth=1
	v_bfe_u32 v135, v145, 16, 1
	s_delay_alu instid0(VALU_DEP_1)
	v_add3_u32 v135, v145, v135, 0x7fff
                                        ; implicit-def: $vgpr145
; %bb.1335:                             ;   in Loop: Header=BB411_808 Depth=1
	s_and_not1_saveexec_b32 s13, s1
; %bb.1336:                             ;   in Loop: Header=BB411_808 Depth=1
	v_and_b32_e32 v135, 0xffff, v145
	v_or_b32_e32 v146, 0x10000, v145
	s_delay_alu instid0(VALU_DEP_2) | instskip(NEXT) | instid1(VALU_DEP_1)
	v_cmp_eq_u32_e64 s1, 0, v135
	v_cndmask_b32_e64 v135, v146, v145, s1
; %bb.1337:                             ;   in Loop: Header=BB411_808 Depth=1
	s_or_b32 exec_lo, exec_lo, s13
	v_lshlrev_b32_e32 v144, 16, v144
	s_delay_alu instid0(VALU_DEP_1) | instskip(NEXT) | instid1(VALU_DEP_1)
	v_mul_f32_e32 v145, v80, v144
	v_and_b32_e32 v144, 0x7f800000, v145
	s_delay_alu instid0(VALU_DEP_1) | instskip(NEXT) | instid1(VALU_DEP_1)
	v_cmp_ne_u32_e64 s1, 0x7f800000, v144
                                        ; implicit-def: $vgpr144
	s_and_saveexec_b32 s13, s1
	s_delay_alu instid0(SALU_CYCLE_1)
	s_xor_b32 s1, exec_lo, s13
; %bb.1338:                             ;   in Loop: Header=BB411_808 Depth=1
	v_bfe_u32 v144, v145, 16, 1
	s_delay_alu instid0(VALU_DEP_1)
	v_add3_u32 v144, v145, v144, 0x7fff
                                        ; implicit-def: $vgpr145
; %bb.1339:                             ;   in Loop: Header=BB411_808 Depth=1
	s_and_not1_saveexec_b32 s13, s1
; %bb.1340:                             ;   in Loop: Header=BB411_808 Depth=1
	v_and_b32_e32 v144, 0xffff, v145
	v_or_b32_e32 v146, 0x10000, v145
	s_delay_alu instid0(VALU_DEP_2) | instskip(NEXT) | instid1(VALU_DEP_1)
	v_cmp_eq_u32_e64 s1, 0, v144
	v_cndmask_b32_e64 v144, v146, v145, s1
; %bb.1341:                             ;   in Loop: Header=BB411_808 Depth=1
	s_or_b32 exec_lo, exec_lo, s13
	v_lshlrev_b32_e32 v9, 16, v9
	s_delay_alu instid0(VALU_DEP_1) | instskip(NEXT) | instid1(VALU_DEP_1)
	v_mul_f32_e32 v9, v81, v9
	v_and_b32_e32 v145, 0x7f800000, v9
	s_delay_alu instid0(VALU_DEP_1) | instskip(NEXT) | instid1(VALU_DEP_1)
	v_cmp_ne_u32_e64 s1, 0x7f800000, v145
                                        ; implicit-def: $vgpr145
	s_and_saveexec_b32 s13, s1
	s_delay_alu instid0(SALU_CYCLE_1)
	s_xor_b32 s1, exec_lo, s13
; %bb.1342:                             ;   in Loop: Header=BB411_808 Depth=1
	v_bfe_u32 v145, v9, 16, 1
	s_delay_alu instid0(VALU_DEP_1)
	v_add3_u32 v145, v9, v145, 0x7fff
                                        ; implicit-def: $vgpr9
; %bb.1343:                             ;   in Loop: Header=BB411_808 Depth=1
	s_and_not1_saveexec_b32 s13, s1
; %bb.1344:                             ;   in Loop: Header=BB411_808 Depth=1
	v_and_b32_e32 v145, 0xffff, v9
	v_or_b32_e32 v146, 0x10000, v9
	s_delay_alu instid0(VALU_DEP_2) | instskip(NEXT) | instid1(VALU_DEP_1)
	v_cmp_eq_u32_e64 s1, 0, v145
	v_cndmask_b32_e64 v145, v146, v9, s1
; %bb.1345:                             ;   in Loop: Header=BB411_808 Depth=1
	s_or_b32 exec_lo, exec_lo, s13
	v_lshlrev_b32_e32 v7, 16, v7
                                        ; implicit-def: $vgpr146
	s_delay_alu instid0(VALU_DEP_1) | instskip(NEXT) | instid1(VALU_DEP_1)
	v_mul_f32_e32 v7, v98, v7
	v_and_b32_e32 v9, 0x7f800000, v7
	s_delay_alu instid0(VALU_DEP_1) | instskip(NEXT) | instid1(VALU_DEP_1)
	v_cmp_ne_u32_e64 s1, 0x7f800000, v9
	s_and_saveexec_b32 s13, s1
	s_delay_alu instid0(SALU_CYCLE_1)
	s_xor_b32 s1, exec_lo, s13
; %bb.1346:                             ;   in Loop: Header=BB411_808 Depth=1
	v_bfe_u32 v9, v7, 16, 1
	s_delay_alu instid0(VALU_DEP_1)
	v_add3_u32 v146, v7, v9, 0x7fff
                                        ; implicit-def: $vgpr7
; %bb.1347:                             ;   in Loop: Header=BB411_808 Depth=1
	s_and_not1_saveexec_b32 s13, s1
; %bb.1348:                             ;   in Loop: Header=BB411_808 Depth=1
	v_and_b32_e32 v9, 0xffff, v7
	v_or_b32_e32 v146, 0x10000, v7
	s_delay_alu instid0(VALU_DEP_2) | instskip(NEXT) | instid1(VALU_DEP_1)
	v_cmp_eq_u32_e64 s1, 0, v9
	v_cndmask_b32_e64 v146, v146, v7, s1
; %bb.1349:                             ;   in Loop: Header=BB411_808 Depth=1
	s_or_b32 exec_lo, exec_lo, s13
	v_lshlrev_b32_e32 v6, 16, v6
                                        ; implicit-def: $vgpr147
	s_delay_alu instid0(VALU_DEP_1) | instskip(NEXT) | instid1(VALU_DEP_1)
	v_mul_f32_e32 v6, v99, v6
	v_and_b32_e32 v7, 0x7f800000, v6
	s_delay_alu instid0(VALU_DEP_1) | instskip(NEXT) | instid1(VALU_DEP_1)
	v_cmp_ne_u32_e64 s1, 0x7f800000, v7
	s_and_saveexec_b32 s13, s1
	s_delay_alu instid0(SALU_CYCLE_1)
	s_xor_b32 s1, exec_lo, s13
; %bb.1350:                             ;   in Loop: Header=BB411_808 Depth=1
	v_bfe_u32 v7, v6, 16, 1
	s_delay_alu instid0(VALU_DEP_1)
	v_add3_u32 v147, v6, v7, 0x7fff
                                        ; implicit-def: $vgpr6
; %bb.1351:                             ;   in Loop: Header=BB411_808 Depth=1
	s_and_not1_saveexec_b32 s13, s1
; %bb.1352:                             ;   in Loop: Header=BB411_808 Depth=1
	v_and_b32_e32 v7, 0xffff, v6
	v_or_b32_e32 v9, 0x10000, v6
	s_delay_alu instid0(VALU_DEP_2) | instskip(NEXT) | instid1(VALU_DEP_1)
	v_cmp_eq_u32_e64 s1, 0, v7
	v_cndmask_b32_e64 v147, v9, v6, s1
; %bb.1353:                             ;   in Loop: Header=BB411_808 Depth=1
	s_or_b32 exec_lo, exec_lo, s13
	v_lshlrev_b32_e32 v3, 16, v3
                                        ; implicit-def: $vgpr148
	s_delay_alu instid0(VALU_DEP_1) | instskip(NEXT) | instid1(VALU_DEP_1)
	v_mul_f32_e32 v3, v100, v3
	v_and_b32_e32 v6, 0x7f800000, v3
	s_delay_alu instid0(VALU_DEP_1) | instskip(NEXT) | instid1(VALU_DEP_1)
	v_cmp_ne_u32_e64 s1, 0x7f800000, v6
	s_and_saveexec_b32 s13, s1
	s_delay_alu instid0(SALU_CYCLE_1)
	s_xor_b32 s1, exec_lo, s13
; %bb.1354:                             ;   in Loop: Header=BB411_808 Depth=1
	v_bfe_u32 v6, v3, 16, 1
	s_delay_alu instid0(VALU_DEP_1)
	v_add3_u32 v148, v3, v6, 0x7fff
                                        ; implicit-def: $vgpr3
; %bb.1355:                             ;   in Loop: Header=BB411_808 Depth=1
	s_and_not1_saveexec_b32 s13, s1
; %bb.1356:                             ;   in Loop: Header=BB411_808 Depth=1
	v_and_b32_e32 v6, 0xffff, v3
	v_or_b32_e32 v7, 0x10000, v3
	s_delay_alu instid0(VALU_DEP_2) | instskip(NEXT) | instid1(VALU_DEP_1)
	v_cmp_eq_u32_e64 s1, 0, v6
	v_cndmask_b32_e64 v148, v7, v3, s1
; %bb.1357:                             ;   in Loop: Header=BB411_808 Depth=1
	s_or_b32 exec_lo, exec_lo, s13
	v_lshlrev_b32_e32 v2, 16, v2
                                        ; implicit-def: $vgpr149
	s_delay_alu instid0(VALU_DEP_1) | instskip(NEXT) | instid1(VALU_DEP_1)
	v_mul_f32_e32 v2, v101, v2
	v_and_b32_e32 v3, 0x7f800000, v2
	s_delay_alu instid0(VALU_DEP_1) | instskip(NEXT) | instid1(VALU_DEP_1)
	v_cmp_ne_u32_e64 s1, 0x7f800000, v3
	s_and_saveexec_b32 s13, s1
	s_delay_alu instid0(SALU_CYCLE_1)
	s_xor_b32 s1, exec_lo, s13
; %bb.1358:                             ;   in Loop: Header=BB411_808 Depth=1
	v_bfe_u32 v3, v2, 16, 1
	s_delay_alu instid0(VALU_DEP_1)
	v_add3_u32 v149, v2, v3, 0x7fff
                                        ; implicit-def: $vgpr2
; %bb.1359:                             ;   in Loop: Header=BB411_808 Depth=1
	s_and_not1_saveexec_b32 s13, s1
; %bb.1360:                             ;   in Loop: Header=BB411_808 Depth=1
	v_and_b32_e32 v3, 0xffff, v2
	v_or_b32_e32 v6, 0x10000, v2
	s_delay_alu instid0(VALU_DEP_2) | instskip(NEXT) | instid1(VALU_DEP_1)
	v_cmp_eq_u32_e64 s1, 0, v3
	v_cndmask_b32_e64 v149, v6, v2, s1
; %bb.1361:                             ;   in Loop: Header=BB411_808 Depth=1
	s_or_b32 exec_lo, exec_lo, s13
	flat_load_b64 v[2:3], v[0:1] offset:1024
	s_mov_b32 s13, exec_lo
	s_waitcnt vmcnt(0) lgkmcnt(0)
	v_dual_mov_b32 v6, 0 :: v_dual_and_b32 v7, 0xff, v2
	s_delay_alu instid0(VALU_DEP_1)
	v_cmpx_ne_u16_e32 0, v7
	s_cbranch_execz .LBB411_1369
; %bb.1362:                             ;   in Loop: Header=BB411_808 Depth=1
	v_bfrev_b32_e32 v6, 1
	s_mov_b32 s15, exec_lo
	v_cmpx_ne_u16_e32 0x80, v7
	s_cbranch_execz .LBB411_1368
; %bb.1363:                             ;   in Loop: Header=BB411_808 Depth=1
	v_and_b32_e32 v7, 0x7f, v2
	v_mov_b32_e32 v6, 0x7f800001
	s_mov_b32 s16, exec_lo
	s_delay_alu instid0(VALU_DEP_2)
	v_cmpx_ne_u32_e32 0x7f, v7
	s_cbranch_execz .LBB411_1367
; %bb.1364:                             ;   in Loop: Header=BB411_808 Depth=1
	v_lshrrev_b32_e32 v9, 3, v7
	v_cmp_gt_u32_e64 s1, 8, v7
	v_dual_mov_b32 v7, v3 :: v_dual_mov_b32 v6, v2
	s_delay_alu instid0(VALU_DEP_2)
	s_and_saveexec_b32 s17, s1
; %bb.1365:                             ;   in Loop: Header=BB411_808 Depth=1
	v_and_b32_e32 v6, 7, v2
	s_delay_alu instid0(VALU_DEP_1) | instskip(NEXT) | instid1(VALU_DEP_1)
	v_clz_i32_u32_e32 v6, v6
	v_min_u32_e32 v9, 32, v6
	s_delay_alu instid0(VALU_DEP_1) | instskip(SKIP_1) | instid1(VALU_DEP_2)
	v_subrev_nc_u32_e32 v6, 28, v9
	v_sub_nc_u32_e32 v9, 29, v9
	v_lshlrev_b64 v[6:7], v6, v[2:3]
; %bb.1366:                             ;   in Loop: Header=BB411_808 Depth=1
	s_or_b32 exec_lo, exec_lo, s17
	s_delay_alu instid0(VALU_DEP_1) | instskip(SKIP_2) | instid1(VALU_DEP_3)
	v_lshlrev_b32_e32 v6, 20, v6
	v_lshlrev_b32_e32 v7, 24, v2
	v_lshl_add_u32 v9, v9, 23, 0x3c000000
	v_and_b32_e32 v6, 0x700000, v6
	s_delay_alu instid0(VALU_DEP_3) | instskip(NEXT) | instid1(VALU_DEP_1)
	v_and_b32_e32 v7, 0x80000000, v7
	v_or3_b32 v6, v6, v7, v9
.LBB411_1367:                           ;   in Loop: Header=BB411_808 Depth=1
	s_or_b32 exec_lo, exec_lo, s16
.LBB411_1368:                           ;   in Loop: Header=BB411_808 Depth=1
	s_delay_alu instid0(SALU_CYCLE_1)
	s_or_b32 exec_lo, exec_lo, s15
.LBB411_1369:                           ;   in Loop: Header=BB411_808 Depth=1
	s_delay_alu instid0(SALU_CYCLE_1) | instskip(NEXT) | instid1(VALU_DEP_1)
	s_or_b32 exec_lo, exec_lo, s13
	v_mul_f32_e32 v6, v8, v6
                                        ; implicit-def: $vgpr150
	s_delay_alu instid0(VALU_DEP_1) | instskip(NEXT) | instid1(VALU_DEP_1)
	v_and_b32_e32 v7, 0x7f800000, v6
	v_cmp_ne_u32_e64 s1, 0x7f800000, v7
	s_delay_alu instid0(VALU_DEP_1) | instskip(NEXT) | instid1(SALU_CYCLE_1)
	s_and_saveexec_b32 s13, s1
	s_xor_b32 s1, exec_lo, s13
; %bb.1370:                             ;   in Loop: Header=BB411_808 Depth=1
	v_bfe_u32 v7, v6, 16, 1
	s_delay_alu instid0(VALU_DEP_1)
	v_add3_u32 v150, v6, v7, 0x7fff
                                        ; implicit-def: $vgpr6
; %bb.1371:                             ;   in Loop: Header=BB411_808 Depth=1
	s_and_not1_saveexec_b32 s13, s1
; %bb.1372:                             ;   in Loop: Header=BB411_808 Depth=1
	v_and_b32_e32 v7, 0xffff, v6
	v_or_b32_e32 v9, 0x10000, v6
	s_delay_alu instid0(VALU_DEP_2) | instskip(NEXT) | instid1(VALU_DEP_1)
	v_cmp_eq_u32_e64 s1, 0, v7
	v_cndmask_b32_e64 v150, v9, v6, s1
; %bb.1373:                             ;   in Loop: Header=BB411_808 Depth=1
	s_or_b32 exec_lo, exec_lo, s13
	v_lshrrev_b16 v7, 8, v2
	v_mov_b32_e32 v6, 0
	s_mov_b32 s13, exec_lo
	s_delay_alu instid0(VALU_DEP_2)
	v_cmpx_ne_u16_e32 0, v7
	s_cbranch_execz .LBB411_1381
; %bb.1374:                             ;   in Loop: Header=BB411_808 Depth=1
	v_bfrev_b32_e32 v6, 1
	s_mov_b32 s15, exec_lo
	v_cmpx_ne_u16_e32 0x80, v7
	s_cbranch_execz .LBB411_1380
; %bb.1375:                             ;   in Loop: Header=BB411_808 Depth=1
	v_and_b32_e32 v9, 0xffff, v7
	v_mov_b32_e32 v6, 0x7f800001
	s_mov_b32 s16, exec_lo
	s_delay_alu instid0(VALU_DEP_2) | instskip(NEXT) | instid1(VALU_DEP_1)
	v_and_b32_e32 v7, 0x7f, v9
	v_cmpx_ne_u32_e32 0x7f, v7
	s_cbranch_execz .LBB411_1379
; %bb.1376:                             ;   in Loop: Header=BB411_808 Depth=1
	v_and_b32_e32 v9, 7, v9
	v_lshrrev_b32_e32 v6, 3, v7
	s_mov_b32 s17, exec_lo
	v_cmpx_gt_u32_e32 8, v7
; %bb.1377:                             ;   in Loop: Header=BB411_808 Depth=1
	s_delay_alu instid0(VALU_DEP_3) | instskip(NEXT) | instid1(VALU_DEP_1)
	v_clz_i32_u32_e32 v6, v9
	v_min_u32_e32 v6, 32, v6
	s_delay_alu instid0(VALU_DEP_1) | instskip(SKIP_1) | instid1(VALU_DEP_2)
	v_subrev_nc_u32_e32 v7, 28, v6
	v_sub_nc_u32_e32 v6, 29, v6
	v_lshlrev_b64 v[160:161], v7, v[9:10]
	s_delay_alu instid0(VALU_DEP_1)
	v_and_b32_e32 v9, 7, v160
; %bb.1378:                             ;   in Loop: Header=BB411_808 Depth=1
	s_or_b32 exec_lo, exec_lo, s17
	v_lshlrev_b32_e32 v7, 16, v2
	s_delay_alu instid0(VALU_DEP_2) | instskip(SKIP_1) | instid1(VALU_DEP_3)
	v_lshlrev_b32_e32 v9, 20, v9
	v_lshl_add_u32 v6, v6, 23, 0x3c000000
	v_and_b32_e32 v7, 0x80000000, v7
	s_delay_alu instid0(VALU_DEP_1)
	v_or3_b32 v6, v9, v7, v6
.LBB411_1379:                           ;   in Loop: Header=BB411_808 Depth=1
	s_or_b32 exec_lo, exec_lo, s16
.LBB411_1380:                           ;   in Loop: Header=BB411_808 Depth=1
	s_delay_alu instid0(SALU_CYCLE_1)
	s_or_b32 exec_lo, exec_lo, s15
.LBB411_1381:                           ;   in Loop: Header=BB411_808 Depth=1
	s_delay_alu instid0(SALU_CYCLE_1) | instskip(NEXT) | instid1(VALU_DEP_1)
	s_or_b32 exec_lo, exec_lo, s13
	v_mul_f32_e32 v6, v8, v6
                                        ; implicit-def: $vgpr151
	s_delay_alu instid0(VALU_DEP_1) | instskip(NEXT) | instid1(VALU_DEP_1)
	v_and_b32_e32 v7, 0x7f800000, v6
	v_cmp_ne_u32_e64 s1, 0x7f800000, v7
	s_delay_alu instid0(VALU_DEP_1) | instskip(NEXT) | instid1(SALU_CYCLE_1)
	s_and_saveexec_b32 s13, s1
	s_xor_b32 s1, exec_lo, s13
; %bb.1382:                             ;   in Loop: Header=BB411_808 Depth=1
	v_bfe_u32 v7, v6, 16, 1
	s_delay_alu instid0(VALU_DEP_1)
	v_add3_u32 v151, v6, v7, 0x7fff
                                        ; implicit-def: $vgpr6
; %bb.1383:                             ;   in Loop: Header=BB411_808 Depth=1
	s_and_not1_saveexec_b32 s13, s1
; %bb.1384:                             ;   in Loop: Header=BB411_808 Depth=1
	v_and_b32_e32 v7, 0xffff, v6
	v_or_b32_e32 v9, 0x10000, v6
	s_delay_alu instid0(VALU_DEP_2) | instskip(NEXT) | instid1(VALU_DEP_1)
	v_cmp_eq_u32_e64 s1, 0, v7
	v_cndmask_b32_e64 v151, v9, v6, s1
; %bb.1385:                             ;   in Loop: Header=BB411_808 Depth=1
	s_or_b32 exec_lo, exec_lo, s13
	v_lshrrev_b32_e32 v6, 16, v2
	v_mov_b32_e32 v7, 0
	s_mov_b32 s13, exec_lo
	s_delay_alu instid0(VALU_DEP_2) | instskip(NEXT) | instid1(VALU_DEP_1)
	v_and_b32_e32 v9, 0xff, v6
	v_cmpx_ne_u16_e32 0, v9
	s_cbranch_execz .LBB411_1393
; %bb.1386:                             ;   in Loop: Header=BB411_808 Depth=1
	v_bfrev_b32_e32 v7, 1
	s_mov_b32 s15, exec_lo
	v_cmpx_ne_u16_e32 0x80, v9
	s_cbranch_execz .LBB411_1392
; %bb.1387:                             ;   in Loop: Header=BB411_808 Depth=1
	v_bfe_u32 v160, v2, 16, 7
	v_mov_b32_e32 v7, 0x7f800001
	s_mov_b32 s16, exec_lo
	s_delay_alu instid0(VALU_DEP_2)
	v_cmpx_ne_u32_e32 0x7f, v160
	s_cbranch_execz .LBB411_1391
; %bb.1388:                             ;   in Loop: Header=BB411_808 Depth=1
	v_and_b32_e32 v9, 7, v6
	v_lshrrev_b32_e32 v7, 3, v160
	s_mov_b32 s17, exec_lo
	v_cmpx_gt_u32_e32 8, v160
; %bb.1389:                             ;   in Loop: Header=BB411_808 Depth=1
	s_delay_alu instid0(VALU_DEP_3) | instskip(NEXT) | instid1(VALU_DEP_1)
	v_clz_i32_u32_e32 v7, v9
	v_min_u32_e32 v7, 32, v7
	s_delay_alu instid0(VALU_DEP_1) | instskip(SKIP_1) | instid1(VALU_DEP_2)
	v_subrev_nc_u32_e32 v160, 28, v7
	v_sub_nc_u32_e32 v7, 29, v7
	v_lshlrev_b64 v[160:161], v160, v[9:10]
	s_delay_alu instid0(VALU_DEP_1)
	v_and_b32_e32 v9, 7, v160
; %bb.1390:                             ;   in Loop: Header=BB411_808 Depth=1
	s_or_b32 exec_lo, exec_lo, s17
	v_lshlrev_b32_e32 v6, 24, v6
	s_delay_alu instid0(VALU_DEP_2) | instskip(SKIP_1) | instid1(VALU_DEP_3)
	v_lshlrev_b32_e32 v9, 20, v9
	v_lshl_add_u32 v7, v7, 23, 0x3c000000
	v_and_b32_e32 v6, 0x80000000, v6
	s_delay_alu instid0(VALU_DEP_1)
	v_or3_b32 v7, v9, v6, v7
.LBB411_1391:                           ;   in Loop: Header=BB411_808 Depth=1
	s_or_b32 exec_lo, exec_lo, s16
.LBB411_1392:                           ;   in Loop: Header=BB411_808 Depth=1
	s_delay_alu instid0(SALU_CYCLE_1)
	s_or_b32 exec_lo, exec_lo, s15
.LBB411_1393:                           ;   in Loop: Header=BB411_808 Depth=1
	s_delay_alu instid0(SALU_CYCLE_1) | instskip(NEXT) | instid1(VALU_DEP_1)
	s_or_b32 exec_lo, exec_lo, s13
	v_mul_f32_e32 v6, v8, v7
                                        ; implicit-def: $vgpr160
	s_delay_alu instid0(VALU_DEP_1) | instskip(NEXT) | instid1(VALU_DEP_1)
	v_and_b32_e32 v7, 0x7f800000, v6
	v_cmp_ne_u32_e64 s1, 0x7f800000, v7
	s_delay_alu instid0(VALU_DEP_1) | instskip(NEXT) | instid1(SALU_CYCLE_1)
	s_and_saveexec_b32 s13, s1
	s_xor_b32 s1, exec_lo, s13
; %bb.1394:                             ;   in Loop: Header=BB411_808 Depth=1
	v_bfe_u32 v7, v6, 16, 1
	s_delay_alu instid0(VALU_DEP_1)
	v_add3_u32 v160, v6, v7, 0x7fff
                                        ; implicit-def: $vgpr6
; %bb.1395:                             ;   in Loop: Header=BB411_808 Depth=1
	s_and_not1_saveexec_b32 s13, s1
; %bb.1396:                             ;   in Loop: Header=BB411_808 Depth=1
	v_and_b32_e32 v7, 0xffff, v6
	v_or_b32_e32 v9, 0x10000, v6
	s_delay_alu instid0(VALU_DEP_2) | instskip(NEXT) | instid1(VALU_DEP_1)
	v_cmp_eq_u32_e64 s1, 0, v7
	v_cndmask_b32_e64 v160, v9, v6, s1
; %bb.1397:                             ;   in Loop: Header=BB411_808 Depth=1
	s_or_b32 exec_lo, exec_lo, s13
	v_mov_b32_e32 v7, 0
	s_mov_b32 s13, exec_lo
	v_cmpx_lt_u32_e32 0xffffff, v2
	s_cbranch_execz .LBB411_1405
; %bb.1398:                             ;   in Loop: Header=BB411_808 Depth=1
	v_lshrrev_b32_e32 v6, 24, v2
	v_bfrev_b32_e32 v7, 1
	s_mov_b32 s15, exec_lo
	s_delay_alu instid0(VALU_DEP_2)
	v_cmpx_ne_u32_e32 0x80, v6
	s_cbranch_execz .LBB411_1404
; %bb.1399:                             ;   in Loop: Header=BB411_808 Depth=1
	v_bfe_u32 v161, v2, 24, 7
	v_mov_b32_e32 v7, 0x7f800001
	s_mov_b32 s16, exec_lo
	s_delay_alu instid0(VALU_DEP_2)
	v_cmpx_ne_u32_e32 0x7f, v161
	s_cbranch_execz .LBB411_1403
; %bb.1400:                             ;   in Loop: Header=BB411_808 Depth=1
	v_and_b32_e32 v9, 7, v6
	v_lshrrev_b32_e32 v7, 3, v161
	s_mov_b32 s17, exec_lo
	v_cmpx_gt_u32_e32 8, v161
; %bb.1401:                             ;   in Loop: Header=BB411_808 Depth=1
	s_delay_alu instid0(VALU_DEP_3) | instskip(NEXT) | instid1(VALU_DEP_1)
	v_clz_i32_u32_e32 v7, v9
	v_min_u32_e32 v7, 32, v7
	s_delay_alu instid0(VALU_DEP_1) | instskip(SKIP_1) | instid1(VALU_DEP_2)
	v_subrev_nc_u32_e32 v161, 28, v7
	v_sub_nc_u32_e32 v7, 29, v7
	v_lshlrev_b64 v[161:162], v161, v[9:10]
	s_delay_alu instid0(VALU_DEP_1)
	v_and_b32_e32 v9, 7, v161
; %bb.1402:                             ;   in Loop: Header=BB411_808 Depth=1
	s_or_b32 exec_lo, exec_lo, s17
	v_lshlrev_b32_e32 v6, 24, v6
	s_delay_alu instid0(VALU_DEP_2) | instskip(SKIP_1) | instid1(VALU_DEP_3)
	v_lshlrev_b32_e32 v9, 20, v9
	v_lshl_add_u32 v7, v7, 23, 0x3c000000
	v_and_b32_e32 v6, 0x80000000, v6
	s_delay_alu instid0(VALU_DEP_1)
	v_or3_b32 v7, v9, v6, v7
.LBB411_1403:                           ;   in Loop: Header=BB411_808 Depth=1
	s_or_b32 exec_lo, exec_lo, s16
.LBB411_1404:                           ;   in Loop: Header=BB411_808 Depth=1
	s_delay_alu instid0(SALU_CYCLE_1)
	s_or_b32 exec_lo, exec_lo, s15
.LBB411_1405:                           ;   in Loop: Header=BB411_808 Depth=1
	s_delay_alu instid0(SALU_CYCLE_1) | instskip(NEXT) | instid1(VALU_DEP_1)
	s_or_b32 exec_lo, exec_lo, s13
	v_mul_f32_e32 v6, v8, v7
                                        ; implicit-def: $vgpr161
	s_delay_alu instid0(VALU_DEP_1) | instskip(NEXT) | instid1(VALU_DEP_1)
	v_and_b32_e32 v7, 0x7f800000, v6
	v_cmp_ne_u32_e64 s1, 0x7f800000, v7
	s_delay_alu instid0(VALU_DEP_1) | instskip(NEXT) | instid1(SALU_CYCLE_1)
	s_and_saveexec_b32 s13, s1
	s_xor_b32 s1, exec_lo, s13
; %bb.1406:                             ;   in Loop: Header=BB411_808 Depth=1
	v_bfe_u32 v7, v6, 16, 1
	s_delay_alu instid0(VALU_DEP_1)
	v_add3_u32 v161, v6, v7, 0x7fff
                                        ; implicit-def: $vgpr6
; %bb.1407:                             ;   in Loop: Header=BB411_808 Depth=1
	s_and_not1_saveexec_b32 s13, s1
; %bb.1408:                             ;   in Loop: Header=BB411_808 Depth=1
	v_and_b32_e32 v7, 0xffff, v6
	v_or_b32_e32 v9, 0x10000, v6
	s_delay_alu instid0(VALU_DEP_2) | instskip(NEXT) | instid1(VALU_DEP_1)
	v_cmp_eq_u32_e64 s1, 0, v7
	v_cndmask_b32_e64 v161, v9, v6, s1
; %bb.1409:                             ;   in Loop: Header=BB411_808 Depth=1
	s_or_b32 exec_lo, exec_lo, s13
	v_dual_mov_b32 v6, 0 :: v_dual_and_b32 v7, 0xff, v3
	v_mov_b32_e32 v9, v3
	s_mov_b32 s13, exec_lo
	s_delay_alu instid0(VALU_DEP_2)
	v_cmpx_ne_u16_e32 0, v7
	s_cbranch_execz .LBB411_1417
; %bb.1410:                             ;   in Loop: Header=BB411_808 Depth=1
	v_bfrev_b32_e32 v6, 1
	s_mov_b32 s15, exec_lo
	v_cmpx_ne_u16_e32 0x80, v7
	s_cbranch_execz .LBB411_1416
; %bb.1411:                             ;   in Loop: Header=BB411_808 Depth=1
	v_and_b32_e32 v7, 0x7f, v3
	v_mov_b32_e32 v6, 0x7f800001
	s_mov_b32 s16, exec_lo
	s_delay_alu instid0(VALU_DEP_2)
	v_cmpx_ne_u32_e32 0x7f, v7
	s_cbranch_execz .LBB411_1415
; %bb.1412:                             ;   in Loop: Header=BB411_808 Depth=1
	v_lshrrev_b32_e32 v162, 3, v7
	v_cmp_gt_u32_e64 s1, 8, v7
	v_dual_mov_b32 v6, v9 :: v_dual_mov_b32 v7, v10
	s_delay_alu instid0(VALU_DEP_2)
	s_and_saveexec_b32 s17, s1
; %bb.1413:                             ;   in Loop: Header=BB411_808 Depth=1
	v_and_b32_e32 v6, 7, v3
	s_delay_alu instid0(VALU_DEP_1) | instskip(NEXT) | instid1(VALU_DEP_1)
	v_clz_i32_u32_e32 v6, v6
	v_min_u32_e32 v162, 32, v6
	s_delay_alu instid0(VALU_DEP_1) | instskip(SKIP_1) | instid1(VALU_DEP_2)
	v_subrev_nc_u32_e32 v6, 28, v162
	v_sub_nc_u32_e32 v162, 29, v162
	v_lshlrev_b64 v[6:7], v6, v[9:10]
; %bb.1414:                             ;   in Loop: Header=BB411_808 Depth=1
	s_or_b32 exec_lo, exec_lo, s17
	s_delay_alu instid0(VALU_DEP_1) | instskip(SKIP_2) | instid1(VALU_DEP_3)
	v_lshlrev_b32_e32 v6, 20, v6
	v_lshlrev_b32_e32 v7, 24, v9
	v_lshl_add_u32 v162, v162, 23, 0x3c000000
	v_and_b32_e32 v6, 0x700000, v6
	s_delay_alu instid0(VALU_DEP_3) | instskip(NEXT) | instid1(VALU_DEP_1)
	v_and_b32_e32 v7, 0x80000000, v7
	v_or3_b32 v6, v6, v7, v162
.LBB411_1415:                           ;   in Loop: Header=BB411_808 Depth=1
	s_or_b32 exec_lo, exec_lo, s16
.LBB411_1416:                           ;   in Loop: Header=BB411_808 Depth=1
	s_delay_alu instid0(SALU_CYCLE_1)
	s_or_b32 exec_lo, exec_lo, s15
.LBB411_1417:                           ;   in Loop: Header=BB411_808 Depth=1
	s_delay_alu instid0(SALU_CYCLE_1) | instskip(NEXT) | instid1(VALU_DEP_1)
	s_or_b32 exec_lo, exec_lo, s13
	v_mul_f32_e32 v6, v8, v6
                                        ; implicit-def: $vgpr162
	s_delay_alu instid0(VALU_DEP_1) | instskip(NEXT) | instid1(VALU_DEP_1)
	v_and_b32_e32 v7, 0x7f800000, v6
	v_cmp_ne_u32_e64 s1, 0x7f800000, v7
	s_delay_alu instid0(VALU_DEP_1) | instskip(NEXT) | instid1(SALU_CYCLE_1)
	s_and_saveexec_b32 s13, s1
	s_xor_b32 s1, exec_lo, s13
; %bb.1418:                             ;   in Loop: Header=BB411_808 Depth=1
	v_bfe_u32 v7, v6, 16, 1
	s_delay_alu instid0(VALU_DEP_1)
	v_add3_u32 v162, v6, v7, 0x7fff
                                        ; implicit-def: $vgpr6
; %bb.1419:                             ;   in Loop: Header=BB411_808 Depth=1
	s_and_not1_saveexec_b32 s13, s1
; %bb.1420:                             ;   in Loop: Header=BB411_808 Depth=1
	v_and_b32_e32 v7, 0xffff, v6
	v_or_b32_e32 v162, 0x10000, v6
	s_delay_alu instid0(VALU_DEP_2) | instskip(NEXT) | instid1(VALU_DEP_1)
	v_cmp_eq_u32_e64 s1, 0, v7
	v_cndmask_b32_e64 v162, v162, v6, s1
; %bb.1421:                             ;   in Loop: Header=BB411_808 Depth=1
	s_or_b32 exec_lo, exec_lo, s13
	v_lshrrev_b16 v7, 8, v9
	v_mov_b32_e32 v6, 0
	s_mov_b32 s13, exec_lo
	s_delay_alu instid0(VALU_DEP_2)
	v_cmpx_ne_u16_e32 0, v7
	s_cbranch_execz .LBB411_1429
; %bb.1422:                             ;   in Loop: Header=BB411_808 Depth=1
	v_bfrev_b32_e32 v6, 1
	s_mov_b32 s15, exec_lo
	v_cmpx_ne_u16_e32 0x80, v7
	s_cbranch_execz .LBB411_1428
; %bb.1423:                             ;   in Loop: Header=BB411_808 Depth=1
	v_and_b32_e32 v7, 0xffff, v7
	v_mov_b32_e32 v6, 0x7f800001
	s_mov_b32 s16, exec_lo
	s_delay_alu instid0(VALU_DEP_2) | instskip(NEXT) | instid1(VALU_DEP_1)
	v_and_b32_e32 v164, 0x7f, v7
	v_cmpx_ne_u32_e32 0x7f, v164
	s_cbranch_execz .LBB411_1427
; %bb.1424:                             ;   in Loop: Header=BB411_808 Depth=1
	v_dual_mov_b32 v7, v10 :: v_dual_and_b32 v6, 7, v7
	v_lshrrev_b32_e32 v163, 3, v164
	s_mov_b32 s17, exec_lo
	v_cmpx_gt_u32_e32 8, v164
; %bb.1425:                             ;   in Loop: Header=BB411_808 Depth=1
	s_delay_alu instid0(VALU_DEP_3) | instskip(NEXT) | instid1(VALU_DEP_1)
	v_clz_i32_u32_e32 v163, v6
	v_min_u32_e32 v163, 32, v163
	s_delay_alu instid0(VALU_DEP_1) | instskip(SKIP_1) | instid1(VALU_DEP_2)
	v_subrev_nc_u32_e32 v164, 28, v163
	v_sub_nc_u32_e32 v163, 29, v163
	v_lshlrev_b64 v[6:7], v164, v[6:7]
	s_delay_alu instid0(VALU_DEP_1)
	v_and_b32_e32 v6, 7, v6
; %bb.1426:                             ;   in Loop: Header=BB411_808 Depth=1
	s_or_b32 exec_lo, exec_lo, s17
	v_lshlrev_b32_e32 v7, 16, v9
	s_delay_alu instid0(VALU_DEP_2) | instskip(SKIP_1) | instid1(VALU_DEP_3)
	v_lshlrev_b32_e32 v6, 20, v6
	v_lshl_add_u32 v9, v163, 23, 0x3c000000
	v_and_b32_e32 v7, 0x80000000, v7
	s_delay_alu instid0(VALU_DEP_1)
	v_or3_b32 v6, v6, v7, v9
.LBB411_1427:                           ;   in Loop: Header=BB411_808 Depth=1
	s_or_b32 exec_lo, exec_lo, s16
.LBB411_1428:                           ;   in Loop: Header=BB411_808 Depth=1
	s_delay_alu instid0(SALU_CYCLE_1)
	s_or_b32 exec_lo, exec_lo, s15
.LBB411_1429:                           ;   in Loop: Header=BB411_808 Depth=1
	s_delay_alu instid0(SALU_CYCLE_1) | instskip(NEXT) | instid1(VALU_DEP_1)
	s_or_b32 exec_lo, exec_lo, s13
	v_mul_f32_e32 v7, v8, v6
	s_delay_alu instid0(VALU_DEP_1) | instskip(NEXT) | instid1(VALU_DEP_1)
	v_and_b32_e32 v6, 0x7f800000, v7
	v_cmp_ne_u32_e64 s1, 0x7f800000, v6
                                        ; implicit-def: $vgpr6
	s_delay_alu instid0(VALU_DEP_1) | instskip(NEXT) | instid1(SALU_CYCLE_1)
	s_and_saveexec_b32 s13, s1
	s_xor_b32 s1, exec_lo, s13
; %bb.1430:                             ;   in Loop: Header=BB411_808 Depth=1
	v_bfe_u32 v6, v7, 16, 1
	s_delay_alu instid0(VALU_DEP_1)
	v_add3_u32 v6, v7, v6, 0x7fff
                                        ; implicit-def: $vgpr7
; %bb.1431:                             ;   in Loop: Header=BB411_808 Depth=1
	s_and_not1_saveexec_b32 s13, s1
; %bb.1432:                             ;   in Loop: Header=BB411_808 Depth=1
	v_and_b32_e32 v6, 0xffff, v7
	v_or_b32_e32 v9, 0x10000, v7
	s_delay_alu instid0(VALU_DEP_2) | instskip(NEXT) | instid1(VALU_DEP_1)
	v_cmp_eq_u32_e64 s1, 0, v6
	v_cndmask_b32_e64 v6, v9, v7, s1
; %bb.1433:                             ;   in Loop: Header=BB411_808 Depth=1
	s_or_b32 exec_lo, exec_lo, s13
	v_lshrrev_b32_e32 v7, 16, v3
	v_mov_b32_e32 v9, 0
	s_mov_b32 s13, exec_lo
	s_delay_alu instid0(VALU_DEP_2) | instskip(NEXT) | instid1(VALU_DEP_1)
	v_and_b32_e32 v163, 0xff, v7
	v_cmpx_ne_u16_e64 0, v163
	s_cbranch_execz .LBB411_1441
; %bb.1434:                             ;   in Loop: Header=BB411_808 Depth=1
	v_bfrev_b32_e32 v9, 1
	s_mov_b32 s15, exec_lo
	v_cmpx_ne_u16_e64 0x80, v163
	s_cbranch_execz .LBB411_1440
; %bb.1435:                             ;   in Loop: Header=BB411_808 Depth=1
	v_bfe_u32 v164, v3, 16, 7
	v_mov_b32_e32 v9, 0x7f800001
	s_mov_b32 s16, exec_lo
	s_delay_alu instid0(VALU_DEP_2)
	v_cmpx_ne_u32_e32 0x7f, v164
	s_cbranch_execz .LBB411_1439
; %bb.1436:                             ;   in Loop: Header=BB411_808 Depth=1
	v_and_b32_e32 v9, 7, v7
	v_lshrrev_b32_e32 v163, 3, v164
	s_mov_b32 s17, exec_lo
	v_cmpx_gt_u32_e32 8, v164
; %bb.1437:                             ;   in Loop: Header=BB411_808 Depth=1
	s_delay_alu instid0(VALU_DEP_3) | instskip(NEXT) | instid1(VALU_DEP_1)
	v_clz_i32_u32_e32 v163, v9
	v_min_u32_e32 v163, 32, v163
	s_delay_alu instid0(VALU_DEP_1) | instskip(SKIP_1) | instid1(VALU_DEP_2)
	v_subrev_nc_u32_e32 v164, 28, v163
	v_sub_nc_u32_e32 v163, 29, v163
	v_lshlrev_b64 v[164:165], v164, v[9:10]
	s_delay_alu instid0(VALU_DEP_1)
	v_and_b32_e32 v9, 7, v164
; %bb.1438:                             ;   in Loop: Header=BB411_808 Depth=1
	s_or_b32 exec_lo, exec_lo, s17
	v_lshlrev_b32_e32 v7, 24, v7
	s_delay_alu instid0(VALU_DEP_2) | instskip(SKIP_1) | instid1(VALU_DEP_3)
	v_lshlrev_b32_e32 v9, 20, v9
	v_lshl_add_u32 v163, v163, 23, 0x3c000000
	v_and_b32_e32 v7, 0x80000000, v7
	s_delay_alu instid0(VALU_DEP_1)
	v_or3_b32 v9, v9, v7, v163
.LBB411_1439:                           ;   in Loop: Header=BB411_808 Depth=1
	s_or_b32 exec_lo, exec_lo, s16
.LBB411_1440:                           ;   in Loop: Header=BB411_808 Depth=1
	s_delay_alu instid0(SALU_CYCLE_1)
	s_or_b32 exec_lo, exec_lo, s15
.LBB411_1441:                           ;   in Loop: Header=BB411_808 Depth=1
	s_delay_alu instid0(SALU_CYCLE_1) | instskip(NEXT) | instid1(VALU_DEP_1)
	s_or_b32 exec_lo, exec_lo, s13
	v_mul_f32_e32 v7, v8, v9
                                        ; implicit-def: $vgpr163
	s_delay_alu instid0(VALU_DEP_1) | instskip(NEXT) | instid1(VALU_DEP_1)
	v_and_b32_e32 v9, 0x7f800000, v7
	v_cmp_ne_u32_e64 s1, 0x7f800000, v9
	s_delay_alu instid0(VALU_DEP_1) | instskip(NEXT) | instid1(SALU_CYCLE_1)
	s_and_saveexec_b32 s13, s1
	s_xor_b32 s1, exec_lo, s13
; %bb.1442:                             ;   in Loop: Header=BB411_808 Depth=1
	v_bfe_u32 v9, v7, 16, 1
	s_delay_alu instid0(VALU_DEP_1)
	v_add3_u32 v163, v7, v9, 0x7fff
                                        ; implicit-def: $vgpr7
; %bb.1443:                             ;   in Loop: Header=BB411_808 Depth=1
	s_and_not1_saveexec_b32 s13, s1
; %bb.1444:                             ;   in Loop: Header=BB411_808 Depth=1
	v_and_b32_e32 v9, 0xffff, v7
	v_or_b32_e32 v163, 0x10000, v7
	s_delay_alu instid0(VALU_DEP_2) | instskip(NEXT) | instid1(VALU_DEP_1)
	v_cmp_eq_u32_e64 s1, 0, v9
	v_cndmask_b32_e64 v163, v163, v7, s1
; %bb.1445:                             ;   in Loop: Header=BB411_808 Depth=1
	s_or_b32 exec_lo, exec_lo, s13
	v_mov_b32_e32 v7, 0
	s_mov_b32 s13, exec_lo
	v_cmpx_lt_u64_e64 s[4:5], v[2:3]
	s_cbranch_execz .LBB411_1453
; %bb.1446:                             ;   in Loop: Header=BB411_808 Depth=1
	v_lshrrev_b32_e32 v2, 24, v3
	v_bfrev_b32_e32 v7, 1
	s_mov_b32 s15, exec_lo
	s_delay_alu instid0(VALU_DEP_2)
	v_cmpx_ne_u32_e32 0x80, v2
	s_cbranch_execz .LBB411_1452
; %bb.1447:                             ;   in Loop: Header=BB411_808 Depth=1
	v_bfe_u32 v164, v3, 24, 7
	v_mov_b32_e32 v7, 0x7f800001
	s_mov_b32 s16, exec_lo
	s_delay_alu instid0(VALU_DEP_2)
	v_cmpx_ne_u32_e32 0x7f, v164
	s_cbranch_execz .LBB411_1451
; %bb.1448:                             ;   in Loop: Header=BB411_808 Depth=1
	v_and_b32_e32 v9, 7, v2
	v_lshrrev_b32_e32 v3, 3, v164
	s_mov_b32 s17, exec_lo
	v_cmpx_gt_u32_e32 8, v164
; %bb.1449:                             ;   in Loop: Header=BB411_808 Depth=1
	s_delay_alu instid0(VALU_DEP_3) | instskip(NEXT) | instid1(VALU_DEP_1)
	v_clz_i32_u32_e32 v3, v9
	v_min_u32_e32 v3, 32, v3
	s_delay_alu instid0(VALU_DEP_1) | instskip(SKIP_1) | instid1(VALU_DEP_2)
	v_subrev_nc_u32_e32 v7, 28, v3
	v_sub_nc_u32_e32 v3, 29, v3
	v_lshlrev_b64 v[164:165], v7, v[9:10]
	s_delay_alu instid0(VALU_DEP_1)
	v_and_b32_e32 v9, 7, v164
; %bb.1450:                             ;   in Loop: Header=BB411_808 Depth=1
	s_or_b32 exec_lo, exec_lo, s17
	v_lshlrev_b32_e32 v2, 24, v2
	s_delay_alu instid0(VALU_DEP_2) | instskip(SKIP_1) | instid1(VALU_DEP_3)
	v_lshlrev_b32_e32 v7, 20, v9
	v_lshl_add_u32 v3, v3, 23, 0x3c000000
	v_and_b32_e32 v2, 0x80000000, v2
	s_delay_alu instid0(VALU_DEP_1)
	v_or3_b32 v7, v7, v2, v3
.LBB411_1451:                           ;   in Loop: Header=BB411_808 Depth=1
	s_or_b32 exec_lo, exec_lo, s16
.LBB411_1452:                           ;   in Loop: Header=BB411_808 Depth=1
	s_delay_alu instid0(SALU_CYCLE_1)
	s_or_b32 exec_lo, exec_lo, s15
.LBB411_1453:                           ;   in Loop: Header=BB411_808 Depth=1
	s_delay_alu instid0(SALU_CYCLE_1) | instskip(NEXT) | instid1(VALU_DEP_1)
	s_or_b32 exec_lo, exec_lo, s13
	v_mul_f32_e32 v3, v8, v7
	s_delay_alu instid0(VALU_DEP_1) | instskip(NEXT) | instid1(VALU_DEP_1)
	v_and_b32_e32 v2, 0x7f800000, v3
	v_cmp_ne_u32_e64 s1, 0x7f800000, v2
                                        ; implicit-def: $vgpr2
	s_delay_alu instid0(VALU_DEP_1) | instskip(NEXT) | instid1(SALU_CYCLE_1)
	s_and_saveexec_b32 s13, s1
	s_xor_b32 s1, exec_lo, s13
; %bb.1454:                             ;   in Loop: Header=BB411_808 Depth=1
	v_bfe_u32 v2, v3, 16, 1
	s_delay_alu instid0(VALU_DEP_1)
	v_add3_u32 v2, v3, v2, 0x7fff
                                        ; implicit-def: $vgpr3
; %bb.1455:                             ;   in Loop: Header=BB411_808 Depth=1
	s_and_not1_saveexec_b32 s13, s1
; %bb.1456:                             ;   in Loop: Header=BB411_808 Depth=1
	v_and_b32_e32 v2, 0xffff, v3
	v_or_b32_e32 v7, 0x10000, v3
	s_delay_alu instid0(VALU_DEP_2) | instskip(NEXT) | instid1(VALU_DEP_1)
	v_cmp_eq_u32_e64 s1, 0, v2
	v_cndmask_b32_e64 v2, v7, v3, s1
; %bb.1457:                             ;   in Loop: Header=BB411_808 Depth=1
	s_or_b32 exec_lo, exec_lo, s13
	v_lshrrev_b32_e32 v6, 16, v6
	v_lshrrev_b32_e32 v7, 16, v162
	;; [unrolled: 1-line block ×8, first 2 shown]
	s_and_saveexec_b32 s13, vcc_lo
	s_cbranch_execz .LBB411_1459
; %bb.1458:                             ;   in Loop: Header=BB411_808 Depth=1
	v_cmp_lt_i32_e64 s1, v53, v83
	s_delay_alu instid0(VALU_DEP_1) | instskip(SKIP_1) | instid1(VALU_DEP_1)
	v_cndmask_b32_e64 v150, 0, v150, s1
	v_cmp_lt_i32_e64 s1, v69, v83
	v_cndmask_b32_e64 v151, 0, v151, s1
	v_cmp_lt_i32_e64 s1, v68, v83
	s_delay_alu instid0(VALU_DEP_1) | instskip(SKIP_1) | instid1(VALU_DEP_1)
	v_cndmask_b32_e64 v160, 0, v160, s1
	v_cmp_lt_i32_e64 s1, v67, v83
	v_cndmask_b32_e64 v9, 0, v9, s1
	;; [unrolled: 5-line block ×4, first 2 shown]
.LBB411_1459:                           ;   in Loop: Header=BB411_808 Depth=1
	s_or_b32 exec_lo, exec_lo, s13
	v_lshlrev_b32_e32 v150, 16, v150
	s_delay_alu instid0(VALU_DEP_1) | instskip(NEXT) | instid1(VALU_DEP_1)
	v_mul_f32_e32 v161, v70, v150
	v_and_b32_e32 v150, 0x7f800000, v161
	s_delay_alu instid0(VALU_DEP_1) | instskip(NEXT) | instid1(VALU_DEP_1)
	v_cmp_ne_u32_e64 s1, 0x7f800000, v150
                                        ; implicit-def: $vgpr150
	s_and_saveexec_b32 s13, s1
	s_delay_alu instid0(SALU_CYCLE_1)
	s_xor_b32 s1, exec_lo, s13
; %bb.1460:                             ;   in Loop: Header=BB411_808 Depth=1
	v_bfe_u32 v150, v161, 16, 1
	s_delay_alu instid0(VALU_DEP_1)
	v_add3_u32 v150, v161, v150, 0x7fff
                                        ; implicit-def: $vgpr161
; %bb.1461:                             ;   in Loop: Header=BB411_808 Depth=1
	s_and_not1_saveexec_b32 s13, s1
; %bb.1462:                             ;   in Loop: Header=BB411_808 Depth=1
	v_and_b32_e32 v150, 0xffff, v161
	v_or_b32_e32 v162, 0x10000, v161
	s_delay_alu instid0(VALU_DEP_2) | instskip(NEXT) | instid1(VALU_DEP_1)
	v_cmp_eq_u32_e64 s1, 0, v150
	v_cndmask_b32_e64 v150, v162, v161, s1
; %bb.1463:                             ;   in Loop: Header=BB411_808 Depth=1
	s_or_b32 exec_lo, exec_lo, s13
	v_lshlrev_b32_e32 v151, 16, v151
	s_delay_alu instid0(VALU_DEP_1) | instskip(NEXT) | instid1(VALU_DEP_1)
	v_mul_f32_e32 v161, v71, v151
	v_and_b32_e32 v151, 0x7f800000, v161
	s_delay_alu instid0(VALU_DEP_1) | instskip(NEXT) | instid1(VALU_DEP_1)
	v_cmp_ne_u32_e64 s1, 0x7f800000, v151
                                        ; implicit-def: $vgpr151
	s_and_saveexec_b32 s13, s1
	s_delay_alu instid0(SALU_CYCLE_1)
	s_xor_b32 s1, exec_lo, s13
; %bb.1464:                             ;   in Loop: Header=BB411_808 Depth=1
	v_bfe_u32 v151, v161, 16, 1
	s_delay_alu instid0(VALU_DEP_1)
	v_add3_u32 v151, v161, v151, 0x7fff
                                        ; implicit-def: $vgpr161
; %bb.1465:                             ;   in Loop: Header=BB411_808 Depth=1
	s_and_not1_saveexec_b32 s13, s1
; %bb.1466:                             ;   in Loop: Header=BB411_808 Depth=1
	v_and_b32_e32 v151, 0xffff, v161
	v_or_b32_e32 v162, 0x10000, v161
	s_delay_alu instid0(VALU_DEP_2) | instskip(NEXT) | instid1(VALU_DEP_1)
	v_cmp_eq_u32_e64 s1, 0, v151
	v_cndmask_b32_e64 v151, v162, v161, s1
; %bb.1467:                             ;   in Loop: Header=BB411_808 Depth=1
	s_or_b32 exec_lo, exec_lo, s13
	v_lshlrev_b32_e32 v160, 16, v160
	s_delay_alu instid0(VALU_DEP_1) | instskip(NEXT) | instid1(VALU_DEP_1)
	v_mul_f32_e32 v161, v80, v160
	v_and_b32_e32 v160, 0x7f800000, v161
	s_delay_alu instid0(VALU_DEP_1) | instskip(NEXT) | instid1(VALU_DEP_1)
	v_cmp_ne_u32_e64 s1, 0x7f800000, v160
                                        ; implicit-def: $vgpr160
	s_and_saveexec_b32 s13, s1
	s_delay_alu instid0(SALU_CYCLE_1)
	s_xor_b32 s1, exec_lo, s13
; %bb.1468:                             ;   in Loop: Header=BB411_808 Depth=1
	v_bfe_u32 v160, v161, 16, 1
	s_delay_alu instid0(VALU_DEP_1)
	v_add3_u32 v160, v161, v160, 0x7fff
                                        ; implicit-def: $vgpr161
; %bb.1469:                             ;   in Loop: Header=BB411_808 Depth=1
	s_and_not1_saveexec_b32 s13, s1
; %bb.1470:                             ;   in Loop: Header=BB411_808 Depth=1
	v_and_b32_e32 v160, 0xffff, v161
	v_or_b32_e32 v162, 0x10000, v161
	s_delay_alu instid0(VALU_DEP_2) | instskip(NEXT) | instid1(VALU_DEP_1)
	v_cmp_eq_u32_e64 s1, 0, v160
	v_cndmask_b32_e64 v160, v162, v161, s1
; %bb.1471:                             ;   in Loop: Header=BB411_808 Depth=1
	s_or_b32 exec_lo, exec_lo, s13
	v_lshlrev_b32_e32 v9, 16, v9
	s_delay_alu instid0(VALU_DEP_1) | instskip(NEXT) | instid1(VALU_DEP_1)
	v_mul_f32_e32 v9, v81, v9
	v_and_b32_e32 v161, 0x7f800000, v9
	s_delay_alu instid0(VALU_DEP_1) | instskip(NEXT) | instid1(VALU_DEP_1)
	v_cmp_ne_u32_e64 s1, 0x7f800000, v161
                                        ; implicit-def: $vgpr161
	s_and_saveexec_b32 s13, s1
	s_delay_alu instid0(SALU_CYCLE_1)
	s_xor_b32 s1, exec_lo, s13
; %bb.1472:                             ;   in Loop: Header=BB411_808 Depth=1
	v_bfe_u32 v161, v9, 16, 1
	s_delay_alu instid0(VALU_DEP_1)
	v_add3_u32 v161, v9, v161, 0x7fff
                                        ; implicit-def: $vgpr9
; %bb.1473:                             ;   in Loop: Header=BB411_808 Depth=1
	s_and_not1_saveexec_b32 s13, s1
; %bb.1474:                             ;   in Loop: Header=BB411_808 Depth=1
	v_and_b32_e32 v161, 0xffff, v9
	v_or_b32_e32 v162, 0x10000, v9
	s_delay_alu instid0(VALU_DEP_2) | instskip(NEXT) | instid1(VALU_DEP_1)
	v_cmp_eq_u32_e64 s1, 0, v161
	v_cndmask_b32_e64 v161, v162, v9, s1
; %bb.1475:                             ;   in Loop: Header=BB411_808 Depth=1
	s_or_b32 exec_lo, exec_lo, s13
	v_lshlrev_b32_e32 v7, 16, v7
                                        ; implicit-def: $vgpr162
	s_delay_alu instid0(VALU_DEP_1) | instskip(NEXT) | instid1(VALU_DEP_1)
	v_mul_f32_e32 v7, v98, v7
	v_and_b32_e32 v9, 0x7f800000, v7
	s_delay_alu instid0(VALU_DEP_1) | instskip(NEXT) | instid1(VALU_DEP_1)
	v_cmp_ne_u32_e64 s1, 0x7f800000, v9
	s_and_saveexec_b32 s13, s1
	s_delay_alu instid0(SALU_CYCLE_1)
	s_xor_b32 s1, exec_lo, s13
; %bb.1476:                             ;   in Loop: Header=BB411_808 Depth=1
	v_bfe_u32 v9, v7, 16, 1
	s_delay_alu instid0(VALU_DEP_1)
	v_add3_u32 v162, v7, v9, 0x7fff
                                        ; implicit-def: $vgpr7
; %bb.1477:                             ;   in Loop: Header=BB411_808 Depth=1
	s_and_not1_saveexec_b32 s13, s1
; %bb.1478:                             ;   in Loop: Header=BB411_808 Depth=1
	v_and_b32_e32 v9, 0xffff, v7
	v_or_b32_e32 v162, 0x10000, v7
	s_delay_alu instid0(VALU_DEP_2) | instskip(NEXT) | instid1(VALU_DEP_1)
	v_cmp_eq_u32_e64 s1, 0, v9
	v_cndmask_b32_e64 v162, v162, v7, s1
; %bb.1479:                             ;   in Loop: Header=BB411_808 Depth=1
	s_or_b32 exec_lo, exec_lo, s13
	v_lshlrev_b32_e32 v6, 16, v6
                                        ; implicit-def: $vgpr163
	s_delay_alu instid0(VALU_DEP_1) | instskip(NEXT) | instid1(VALU_DEP_1)
	v_mul_f32_e32 v6, v99, v6
	v_and_b32_e32 v7, 0x7f800000, v6
	s_delay_alu instid0(VALU_DEP_1) | instskip(NEXT) | instid1(VALU_DEP_1)
	v_cmp_ne_u32_e64 s1, 0x7f800000, v7
	s_and_saveexec_b32 s13, s1
	s_delay_alu instid0(SALU_CYCLE_1)
	s_xor_b32 s1, exec_lo, s13
; %bb.1480:                             ;   in Loop: Header=BB411_808 Depth=1
	v_bfe_u32 v7, v6, 16, 1
	s_delay_alu instid0(VALU_DEP_1)
	v_add3_u32 v163, v6, v7, 0x7fff
                                        ; implicit-def: $vgpr6
; %bb.1481:                             ;   in Loop: Header=BB411_808 Depth=1
	s_and_not1_saveexec_b32 s13, s1
; %bb.1482:                             ;   in Loop: Header=BB411_808 Depth=1
	v_and_b32_e32 v7, 0xffff, v6
	v_or_b32_e32 v9, 0x10000, v6
	s_delay_alu instid0(VALU_DEP_2) | instskip(NEXT) | instid1(VALU_DEP_1)
	v_cmp_eq_u32_e64 s1, 0, v7
	v_cndmask_b32_e64 v163, v9, v6, s1
; %bb.1483:                             ;   in Loop: Header=BB411_808 Depth=1
	s_or_b32 exec_lo, exec_lo, s13
	v_lshlrev_b32_e32 v3, 16, v3
                                        ; implicit-def: $vgpr164
	s_delay_alu instid0(VALU_DEP_1) | instskip(NEXT) | instid1(VALU_DEP_1)
	v_mul_f32_e32 v3, v100, v3
	v_and_b32_e32 v6, 0x7f800000, v3
	s_delay_alu instid0(VALU_DEP_1) | instskip(NEXT) | instid1(VALU_DEP_1)
	v_cmp_ne_u32_e64 s1, 0x7f800000, v6
	s_and_saveexec_b32 s13, s1
	s_delay_alu instid0(SALU_CYCLE_1)
	s_xor_b32 s1, exec_lo, s13
; %bb.1484:                             ;   in Loop: Header=BB411_808 Depth=1
	v_bfe_u32 v6, v3, 16, 1
	s_delay_alu instid0(VALU_DEP_1)
	v_add3_u32 v164, v3, v6, 0x7fff
                                        ; implicit-def: $vgpr3
; %bb.1485:                             ;   in Loop: Header=BB411_808 Depth=1
	s_and_not1_saveexec_b32 s13, s1
; %bb.1486:                             ;   in Loop: Header=BB411_808 Depth=1
	v_and_b32_e32 v6, 0xffff, v3
	v_or_b32_e32 v7, 0x10000, v3
	s_delay_alu instid0(VALU_DEP_2) | instskip(NEXT) | instid1(VALU_DEP_1)
	v_cmp_eq_u32_e64 s1, 0, v6
	v_cndmask_b32_e64 v164, v7, v3, s1
; %bb.1487:                             ;   in Loop: Header=BB411_808 Depth=1
	s_or_b32 exec_lo, exec_lo, s13
	v_lshlrev_b32_e32 v2, 16, v2
                                        ; implicit-def: $vgpr165
	s_delay_alu instid0(VALU_DEP_1) | instskip(NEXT) | instid1(VALU_DEP_1)
	v_mul_f32_e32 v2, v101, v2
	v_and_b32_e32 v3, 0x7f800000, v2
	s_delay_alu instid0(VALU_DEP_1) | instskip(NEXT) | instid1(VALU_DEP_1)
	v_cmp_ne_u32_e64 s1, 0x7f800000, v3
	s_and_saveexec_b32 s13, s1
	s_delay_alu instid0(SALU_CYCLE_1)
	s_xor_b32 s1, exec_lo, s13
; %bb.1488:                             ;   in Loop: Header=BB411_808 Depth=1
	v_bfe_u32 v3, v2, 16, 1
	s_delay_alu instid0(VALU_DEP_1)
	v_add3_u32 v165, v2, v3, 0x7fff
                                        ; implicit-def: $vgpr2
; %bb.1489:                             ;   in Loop: Header=BB411_808 Depth=1
	s_and_not1_saveexec_b32 s13, s1
; %bb.1490:                             ;   in Loop: Header=BB411_808 Depth=1
	v_and_b32_e32 v3, 0xffff, v2
	v_or_b32_e32 v6, 0x10000, v2
	s_delay_alu instid0(VALU_DEP_2) | instskip(NEXT) | instid1(VALU_DEP_1)
	v_cmp_eq_u32_e64 s1, 0, v3
	v_cndmask_b32_e64 v165, v6, v2, s1
; %bb.1491:                             ;   in Loop: Header=BB411_808 Depth=1
	s_or_b32 exec_lo, exec_lo, s13
	flat_load_b64 v[2:3], v[0:1] offset:1280
	s_mov_b32 s13, exec_lo
	s_waitcnt vmcnt(0) lgkmcnt(0)
	v_dual_mov_b32 v6, 0 :: v_dual_and_b32 v7, 0xff, v2
	s_delay_alu instid0(VALU_DEP_1)
	v_cmpx_ne_u16_e32 0, v7
	s_cbranch_execz .LBB411_1499
; %bb.1492:                             ;   in Loop: Header=BB411_808 Depth=1
	v_bfrev_b32_e32 v6, 1
	s_mov_b32 s15, exec_lo
	v_cmpx_ne_u16_e32 0x80, v7
	s_cbranch_execz .LBB411_1498
; %bb.1493:                             ;   in Loop: Header=BB411_808 Depth=1
	v_and_b32_e32 v7, 0x7f, v2
	v_mov_b32_e32 v6, 0x7f800001
	s_mov_b32 s16, exec_lo
	s_delay_alu instid0(VALU_DEP_2)
	v_cmpx_ne_u32_e32 0x7f, v7
	s_cbranch_execz .LBB411_1497
; %bb.1494:                             ;   in Loop: Header=BB411_808 Depth=1
	v_lshrrev_b32_e32 v9, 3, v7
	v_cmp_gt_u32_e64 s1, 8, v7
	v_dual_mov_b32 v7, v3 :: v_dual_mov_b32 v6, v2
	s_delay_alu instid0(VALU_DEP_2)
	s_and_saveexec_b32 s17, s1
; %bb.1495:                             ;   in Loop: Header=BB411_808 Depth=1
	v_and_b32_e32 v6, 7, v2
	s_delay_alu instid0(VALU_DEP_1) | instskip(NEXT) | instid1(VALU_DEP_1)
	v_clz_i32_u32_e32 v6, v6
	v_min_u32_e32 v9, 32, v6
	s_delay_alu instid0(VALU_DEP_1) | instskip(SKIP_1) | instid1(VALU_DEP_2)
	v_subrev_nc_u32_e32 v6, 28, v9
	v_sub_nc_u32_e32 v9, 29, v9
	v_lshlrev_b64 v[6:7], v6, v[2:3]
; %bb.1496:                             ;   in Loop: Header=BB411_808 Depth=1
	s_or_b32 exec_lo, exec_lo, s17
	s_delay_alu instid0(VALU_DEP_1) | instskip(SKIP_2) | instid1(VALU_DEP_3)
	v_lshlrev_b32_e32 v6, 20, v6
	v_lshlrev_b32_e32 v7, 24, v2
	v_lshl_add_u32 v9, v9, 23, 0x3c000000
	v_and_b32_e32 v6, 0x700000, v6
	s_delay_alu instid0(VALU_DEP_3) | instskip(NEXT) | instid1(VALU_DEP_1)
	v_and_b32_e32 v7, 0x80000000, v7
	v_or3_b32 v6, v6, v7, v9
.LBB411_1497:                           ;   in Loop: Header=BB411_808 Depth=1
	s_or_b32 exec_lo, exec_lo, s16
.LBB411_1498:                           ;   in Loop: Header=BB411_808 Depth=1
	s_delay_alu instid0(SALU_CYCLE_1)
	s_or_b32 exec_lo, exec_lo, s15
.LBB411_1499:                           ;   in Loop: Header=BB411_808 Depth=1
	s_delay_alu instid0(SALU_CYCLE_1) | instskip(NEXT) | instid1(VALU_DEP_1)
	s_or_b32 exec_lo, exec_lo, s13
	v_mul_f32_e32 v6, v8, v6
                                        ; implicit-def: $vgpr166
	s_delay_alu instid0(VALU_DEP_1) | instskip(NEXT) | instid1(VALU_DEP_1)
	v_and_b32_e32 v7, 0x7f800000, v6
	v_cmp_ne_u32_e64 s1, 0x7f800000, v7
	s_delay_alu instid0(VALU_DEP_1) | instskip(NEXT) | instid1(SALU_CYCLE_1)
	s_and_saveexec_b32 s13, s1
	s_xor_b32 s1, exec_lo, s13
; %bb.1500:                             ;   in Loop: Header=BB411_808 Depth=1
	v_bfe_u32 v7, v6, 16, 1
	s_delay_alu instid0(VALU_DEP_1)
	v_add3_u32 v166, v6, v7, 0x7fff
                                        ; implicit-def: $vgpr6
; %bb.1501:                             ;   in Loop: Header=BB411_808 Depth=1
	s_and_not1_saveexec_b32 s13, s1
; %bb.1502:                             ;   in Loop: Header=BB411_808 Depth=1
	v_and_b32_e32 v7, 0xffff, v6
	v_or_b32_e32 v9, 0x10000, v6
	s_delay_alu instid0(VALU_DEP_2) | instskip(NEXT) | instid1(VALU_DEP_1)
	v_cmp_eq_u32_e64 s1, 0, v7
	v_cndmask_b32_e64 v166, v9, v6, s1
; %bb.1503:                             ;   in Loop: Header=BB411_808 Depth=1
	s_or_b32 exec_lo, exec_lo, s13
	v_lshrrev_b16 v7, 8, v2
	v_mov_b32_e32 v6, 0
	s_mov_b32 s13, exec_lo
	s_delay_alu instid0(VALU_DEP_2)
	v_cmpx_ne_u16_e32 0, v7
	s_cbranch_execz .LBB411_1511
; %bb.1504:                             ;   in Loop: Header=BB411_808 Depth=1
	v_bfrev_b32_e32 v6, 1
	s_mov_b32 s15, exec_lo
	v_cmpx_ne_u16_e32 0x80, v7
	s_cbranch_execz .LBB411_1510
; %bb.1505:                             ;   in Loop: Header=BB411_808 Depth=1
	v_and_b32_e32 v9, 0xffff, v7
	v_mov_b32_e32 v6, 0x7f800001
	s_mov_b32 s16, exec_lo
	s_delay_alu instid0(VALU_DEP_2) | instskip(NEXT) | instid1(VALU_DEP_1)
	v_and_b32_e32 v7, 0x7f, v9
	v_cmpx_ne_u32_e32 0x7f, v7
	s_cbranch_execz .LBB411_1509
; %bb.1506:                             ;   in Loop: Header=BB411_808 Depth=1
	v_and_b32_e32 v9, 7, v9
	v_lshrrev_b32_e32 v6, 3, v7
	s_mov_b32 s17, exec_lo
	v_cmpx_gt_u32_e32 8, v7
; %bb.1507:                             ;   in Loop: Header=BB411_808 Depth=1
	s_delay_alu instid0(VALU_DEP_3) | instskip(NEXT) | instid1(VALU_DEP_1)
	v_clz_i32_u32_e32 v6, v9
	v_min_u32_e32 v6, 32, v6
	s_delay_alu instid0(VALU_DEP_1) | instskip(SKIP_1) | instid1(VALU_DEP_2)
	v_subrev_nc_u32_e32 v7, 28, v6
	v_sub_nc_u32_e32 v6, 29, v6
	v_lshlrev_b64 v[176:177], v7, v[9:10]
	s_delay_alu instid0(VALU_DEP_1)
	v_and_b32_e32 v9, 7, v176
; %bb.1508:                             ;   in Loop: Header=BB411_808 Depth=1
	s_or_b32 exec_lo, exec_lo, s17
	v_lshlrev_b32_e32 v7, 16, v2
	s_delay_alu instid0(VALU_DEP_2) | instskip(SKIP_1) | instid1(VALU_DEP_3)
	v_lshlrev_b32_e32 v9, 20, v9
	v_lshl_add_u32 v6, v6, 23, 0x3c000000
	v_and_b32_e32 v7, 0x80000000, v7
	s_delay_alu instid0(VALU_DEP_1)
	v_or3_b32 v6, v9, v7, v6
.LBB411_1509:                           ;   in Loop: Header=BB411_808 Depth=1
	s_or_b32 exec_lo, exec_lo, s16
.LBB411_1510:                           ;   in Loop: Header=BB411_808 Depth=1
	s_delay_alu instid0(SALU_CYCLE_1)
	s_or_b32 exec_lo, exec_lo, s15
.LBB411_1511:                           ;   in Loop: Header=BB411_808 Depth=1
	s_delay_alu instid0(SALU_CYCLE_1) | instskip(NEXT) | instid1(VALU_DEP_1)
	s_or_b32 exec_lo, exec_lo, s13
	v_mul_f32_e32 v6, v8, v6
                                        ; implicit-def: $vgpr167
	s_delay_alu instid0(VALU_DEP_1) | instskip(NEXT) | instid1(VALU_DEP_1)
	v_and_b32_e32 v7, 0x7f800000, v6
	v_cmp_ne_u32_e64 s1, 0x7f800000, v7
	s_delay_alu instid0(VALU_DEP_1) | instskip(NEXT) | instid1(SALU_CYCLE_1)
	s_and_saveexec_b32 s13, s1
	s_xor_b32 s1, exec_lo, s13
; %bb.1512:                             ;   in Loop: Header=BB411_808 Depth=1
	v_bfe_u32 v7, v6, 16, 1
	s_delay_alu instid0(VALU_DEP_1)
	v_add3_u32 v167, v6, v7, 0x7fff
                                        ; implicit-def: $vgpr6
; %bb.1513:                             ;   in Loop: Header=BB411_808 Depth=1
	s_and_not1_saveexec_b32 s13, s1
; %bb.1514:                             ;   in Loop: Header=BB411_808 Depth=1
	v_and_b32_e32 v7, 0xffff, v6
	v_or_b32_e32 v9, 0x10000, v6
	s_delay_alu instid0(VALU_DEP_2) | instskip(NEXT) | instid1(VALU_DEP_1)
	v_cmp_eq_u32_e64 s1, 0, v7
	v_cndmask_b32_e64 v167, v9, v6, s1
; %bb.1515:                             ;   in Loop: Header=BB411_808 Depth=1
	s_or_b32 exec_lo, exec_lo, s13
	v_lshrrev_b32_e32 v6, 16, v2
	v_mov_b32_e32 v7, 0
	s_mov_b32 s13, exec_lo
	s_delay_alu instid0(VALU_DEP_2) | instskip(NEXT) | instid1(VALU_DEP_1)
	v_and_b32_e32 v9, 0xff, v6
	v_cmpx_ne_u16_e32 0, v9
	s_cbranch_execz .LBB411_1523
; %bb.1516:                             ;   in Loop: Header=BB411_808 Depth=1
	v_bfrev_b32_e32 v7, 1
	s_mov_b32 s15, exec_lo
	v_cmpx_ne_u16_e32 0x80, v9
	s_cbranch_execz .LBB411_1522
; %bb.1517:                             ;   in Loop: Header=BB411_808 Depth=1
	v_bfe_u32 v176, v2, 16, 7
	v_mov_b32_e32 v7, 0x7f800001
	s_mov_b32 s16, exec_lo
	s_delay_alu instid0(VALU_DEP_2)
	v_cmpx_ne_u32_e32 0x7f, v176
	s_cbranch_execz .LBB411_1521
; %bb.1518:                             ;   in Loop: Header=BB411_808 Depth=1
	v_and_b32_e32 v9, 7, v6
	v_lshrrev_b32_e32 v7, 3, v176
	s_mov_b32 s17, exec_lo
	v_cmpx_gt_u32_e32 8, v176
; %bb.1519:                             ;   in Loop: Header=BB411_808 Depth=1
	s_delay_alu instid0(VALU_DEP_3) | instskip(NEXT) | instid1(VALU_DEP_1)
	v_clz_i32_u32_e32 v7, v9
	v_min_u32_e32 v7, 32, v7
	s_delay_alu instid0(VALU_DEP_1) | instskip(SKIP_1) | instid1(VALU_DEP_2)
	v_subrev_nc_u32_e32 v176, 28, v7
	v_sub_nc_u32_e32 v7, 29, v7
	v_lshlrev_b64 v[176:177], v176, v[9:10]
	s_delay_alu instid0(VALU_DEP_1)
	v_and_b32_e32 v9, 7, v176
; %bb.1520:                             ;   in Loop: Header=BB411_808 Depth=1
	s_or_b32 exec_lo, exec_lo, s17
	v_lshlrev_b32_e32 v6, 24, v6
	s_delay_alu instid0(VALU_DEP_2) | instskip(SKIP_1) | instid1(VALU_DEP_3)
	v_lshlrev_b32_e32 v9, 20, v9
	v_lshl_add_u32 v7, v7, 23, 0x3c000000
	v_and_b32_e32 v6, 0x80000000, v6
	s_delay_alu instid0(VALU_DEP_1)
	v_or3_b32 v7, v9, v6, v7
.LBB411_1521:                           ;   in Loop: Header=BB411_808 Depth=1
	s_or_b32 exec_lo, exec_lo, s16
.LBB411_1522:                           ;   in Loop: Header=BB411_808 Depth=1
	s_delay_alu instid0(SALU_CYCLE_1)
	s_or_b32 exec_lo, exec_lo, s15
.LBB411_1523:                           ;   in Loop: Header=BB411_808 Depth=1
	s_delay_alu instid0(SALU_CYCLE_1) | instskip(NEXT) | instid1(VALU_DEP_1)
	s_or_b32 exec_lo, exec_lo, s13
	v_mul_f32_e32 v6, v8, v7
                                        ; implicit-def: $vgpr176
	s_delay_alu instid0(VALU_DEP_1) | instskip(NEXT) | instid1(VALU_DEP_1)
	v_and_b32_e32 v7, 0x7f800000, v6
	v_cmp_ne_u32_e64 s1, 0x7f800000, v7
	s_delay_alu instid0(VALU_DEP_1) | instskip(NEXT) | instid1(SALU_CYCLE_1)
	s_and_saveexec_b32 s13, s1
	s_xor_b32 s1, exec_lo, s13
; %bb.1524:                             ;   in Loop: Header=BB411_808 Depth=1
	v_bfe_u32 v7, v6, 16, 1
	s_delay_alu instid0(VALU_DEP_1)
	v_add3_u32 v176, v6, v7, 0x7fff
                                        ; implicit-def: $vgpr6
; %bb.1525:                             ;   in Loop: Header=BB411_808 Depth=1
	s_and_not1_saveexec_b32 s13, s1
; %bb.1526:                             ;   in Loop: Header=BB411_808 Depth=1
	v_and_b32_e32 v7, 0xffff, v6
	v_or_b32_e32 v9, 0x10000, v6
	s_delay_alu instid0(VALU_DEP_2) | instskip(NEXT) | instid1(VALU_DEP_1)
	v_cmp_eq_u32_e64 s1, 0, v7
	v_cndmask_b32_e64 v176, v9, v6, s1
; %bb.1527:                             ;   in Loop: Header=BB411_808 Depth=1
	s_or_b32 exec_lo, exec_lo, s13
	v_mov_b32_e32 v7, 0
	s_mov_b32 s13, exec_lo
	v_cmpx_lt_u32_e32 0xffffff, v2
	s_cbranch_execz .LBB411_1535
; %bb.1528:                             ;   in Loop: Header=BB411_808 Depth=1
	v_lshrrev_b32_e32 v6, 24, v2
	v_bfrev_b32_e32 v7, 1
	s_mov_b32 s15, exec_lo
	s_delay_alu instid0(VALU_DEP_2)
	v_cmpx_ne_u32_e32 0x80, v6
	s_cbranch_execz .LBB411_1534
; %bb.1529:                             ;   in Loop: Header=BB411_808 Depth=1
	v_bfe_u32 v177, v2, 24, 7
	v_mov_b32_e32 v7, 0x7f800001
	s_mov_b32 s16, exec_lo
	s_delay_alu instid0(VALU_DEP_2)
	v_cmpx_ne_u32_e32 0x7f, v177
	s_cbranch_execz .LBB411_1533
; %bb.1530:                             ;   in Loop: Header=BB411_808 Depth=1
	v_and_b32_e32 v9, 7, v6
	v_lshrrev_b32_e32 v7, 3, v177
	s_mov_b32 s17, exec_lo
	v_cmpx_gt_u32_e32 8, v177
; %bb.1531:                             ;   in Loop: Header=BB411_808 Depth=1
	s_delay_alu instid0(VALU_DEP_3) | instskip(NEXT) | instid1(VALU_DEP_1)
	v_clz_i32_u32_e32 v7, v9
	v_min_u32_e32 v7, 32, v7
	s_delay_alu instid0(VALU_DEP_1) | instskip(SKIP_1) | instid1(VALU_DEP_2)
	v_subrev_nc_u32_e32 v177, 28, v7
	v_sub_nc_u32_e32 v7, 29, v7
	v_lshlrev_b64 v[177:178], v177, v[9:10]
	s_delay_alu instid0(VALU_DEP_1)
	v_and_b32_e32 v9, 7, v177
; %bb.1532:                             ;   in Loop: Header=BB411_808 Depth=1
	s_or_b32 exec_lo, exec_lo, s17
	v_lshlrev_b32_e32 v6, 24, v6
	s_delay_alu instid0(VALU_DEP_2) | instskip(SKIP_1) | instid1(VALU_DEP_3)
	v_lshlrev_b32_e32 v9, 20, v9
	v_lshl_add_u32 v7, v7, 23, 0x3c000000
	v_and_b32_e32 v6, 0x80000000, v6
	s_delay_alu instid0(VALU_DEP_1)
	v_or3_b32 v7, v9, v6, v7
.LBB411_1533:                           ;   in Loop: Header=BB411_808 Depth=1
	s_or_b32 exec_lo, exec_lo, s16
.LBB411_1534:                           ;   in Loop: Header=BB411_808 Depth=1
	s_delay_alu instid0(SALU_CYCLE_1)
	s_or_b32 exec_lo, exec_lo, s15
.LBB411_1535:                           ;   in Loop: Header=BB411_808 Depth=1
	s_delay_alu instid0(SALU_CYCLE_1) | instskip(NEXT) | instid1(VALU_DEP_1)
	s_or_b32 exec_lo, exec_lo, s13
	v_mul_f32_e32 v6, v8, v7
                                        ; implicit-def: $vgpr177
	s_delay_alu instid0(VALU_DEP_1) | instskip(NEXT) | instid1(VALU_DEP_1)
	v_and_b32_e32 v7, 0x7f800000, v6
	v_cmp_ne_u32_e64 s1, 0x7f800000, v7
	s_delay_alu instid0(VALU_DEP_1) | instskip(NEXT) | instid1(SALU_CYCLE_1)
	s_and_saveexec_b32 s13, s1
	s_xor_b32 s1, exec_lo, s13
; %bb.1536:                             ;   in Loop: Header=BB411_808 Depth=1
	v_bfe_u32 v7, v6, 16, 1
	s_delay_alu instid0(VALU_DEP_1)
	v_add3_u32 v177, v6, v7, 0x7fff
                                        ; implicit-def: $vgpr6
; %bb.1537:                             ;   in Loop: Header=BB411_808 Depth=1
	s_and_not1_saveexec_b32 s13, s1
; %bb.1538:                             ;   in Loop: Header=BB411_808 Depth=1
	v_and_b32_e32 v7, 0xffff, v6
	v_or_b32_e32 v9, 0x10000, v6
	s_delay_alu instid0(VALU_DEP_2) | instskip(NEXT) | instid1(VALU_DEP_1)
	v_cmp_eq_u32_e64 s1, 0, v7
	v_cndmask_b32_e64 v177, v9, v6, s1
; %bb.1539:                             ;   in Loop: Header=BB411_808 Depth=1
	s_or_b32 exec_lo, exec_lo, s13
	v_dual_mov_b32 v6, 0 :: v_dual_and_b32 v7, 0xff, v3
	v_mov_b32_e32 v9, v3
	s_mov_b32 s13, exec_lo
	s_delay_alu instid0(VALU_DEP_2)
	v_cmpx_ne_u16_e32 0, v7
	s_cbranch_execz .LBB411_1547
; %bb.1540:                             ;   in Loop: Header=BB411_808 Depth=1
	v_bfrev_b32_e32 v6, 1
	s_mov_b32 s15, exec_lo
	v_cmpx_ne_u16_e32 0x80, v7
	s_cbranch_execz .LBB411_1546
; %bb.1541:                             ;   in Loop: Header=BB411_808 Depth=1
	v_and_b32_e32 v7, 0x7f, v3
	v_mov_b32_e32 v6, 0x7f800001
	s_mov_b32 s16, exec_lo
	s_delay_alu instid0(VALU_DEP_2)
	v_cmpx_ne_u32_e32 0x7f, v7
	s_cbranch_execz .LBB411_1545
; %bb.1542:                             ;   in Loop: Header=BB411_808 Depth=1
	v_lshrrev_b32_e32 v178, 3, v7
	v_cmp_gt_u32_e64 s1, 8, v7
	v_dual_mov_b32 v6, v9 :: v_dual_mov_b32 v7, v10
	s_delay_alu instid0(VALU_DEP_2)
	s_and_saveexec_b32 s17, s1
; %bb.1543:                             ;   in Loop: Header=BB411_808 Depth=1
	v_and_b32_e32 v6, 7, v3
	s_delay_alu instid0(VALU_DEP_1) | instskip(NEXT) | instid1(VALU_DEP_1)
	v_clz_i32_u32_e32 v6, v6
	v_min_u32_e32 v178, 32, v6
	s_delay_alu instid0(VALU_DEP_1) | instskip(SKIP_1) | instid1(VALU_DEP_2)
	v_subrev_nc_u32_e32 v6, 28, v178
	v_sub_nc_u32_e32 v178, 29, v178
	v_lshlrev_b64 v[6:7], v6, v[9:10]
; %bb.1544:                             ;   in Loop: Header=BB411_808 Depth=1
	s_or_b32 exec_lo, exec_lo, s17
	s_delay_alu instid0(VALU_DEP_1) | instskip(SKIP_2) | instid1(VALU_DEP_3)
	v_lshlrev_b32_e32 v6, 20, v6
	v_lshlrev_b32_e32 v7, 24, v9
	v_lshl_add_u32 v178, v178, 23, 0x3c000000
	v_and_b32_e32 v6, 0x700000, v6
	s_delay_alu instid0(VALU_DEP_3) | instskip(NEXT) | instid1(VALU_DEP_1)
	v_and_b32_e32 v7, 0x80000000, v7
	v_or3_b32 v6, v6, v7, v178
.LBB411_1545:                           ;   in Loop: Header=BB411_808 Depth=1
	s_or_b32 exec_lo, exec_lo, s16
.LBB411_1546:                           ;   in Loop: Header=BB411_808 Depth=1
	s_delay_alu instid0(SALU_CYCLE_1)
	s_or_b32 exec_lo, exec_lo, s15
.LBB411_1547:                           ;   in Loop: Header=BB411_808 Depth=1
	s_delay_alu instid0(SALU_CYCLE_1) | instskip(NEXT) | instid1(VALU_DEP_1)
	s_or_b32 exec_lo, exec_lo, s13
	v_mul_f32_e32 v6, v8, v6
                                        ; implicit-def: $vgpr178
	s_delay_alu instid0(VALU_DEP_1) | instskip(NEXT) | instid1(VALU_DEP_1)
	v_and_b32_e32 v7, 0x7f800000, v6
	v_cmp_ne_u32_e64 s1, 0x7f800000, v7
	s_delay_alu instid0(VALU_DEP_1) | instskip(NEXT) | instid1(SALU_CYCLE_1)
	s_and_saveexec_b32 s13, s1
	s_xor_b32 s1, exec_lo, s13
; %bb.1548:                             ;   in Loop: Header=BB411_808 Depth=1
	v_bfe_u32 v7, v6, 16, 1
	s_delay_alu instid0(VALU_DEP_1)
	v_add3_u32 v178, v6, v7, 0x7fff
                                        ; implicit-def: $vgpr6
; %bb.1549:                             ;   in Loop: Header=BB411_808 Depth=1
	s_and_not1_saveexec_b32 s13, s1
; %bb.1550:                             ;   in Loop: Header=BB411_808 Depth=1
	v_and_b32_e32 v7, 0xffff, v6
	v_or_b32_e32 v178, 0x10000, v6
	s_delay_alu instid0(VALU_DEP_2) | instskip(NEXT) | instid1(VALU_DEP_1)
	v_cmp_eq_u32_e64 s1, 0, v7
	v_cndmask_b32_e64 v178, v178, v6, s1
; %bb.1551:                             ;   in Loop: Header=BB411_808 Depth=1
	s_or_b32 exec_lo, exec_lo, s13
	v_lshrrev_b16 v7, 8, v9
	v_mov_b32_e32 v6, 0
	s_mov_b32 s13, exec_lo
	s_delay_alu instid0(VALU_DEP_2)
	v_cmpx_ne_u16_e32 0, v7
	s_cbranch_execz .LBB411_1559
; %bb.1552:                             ;   in Loop: Header=BB411_808 Depth=1
	v_bfrev_b32_e32 v6, 1
	s_mov_b32 s15, exec_lo
	v_cmpx_ne_u16_e32 0x80, v7
	s_cbranch_execz .LBB411_1558
; %bb.1553:                             ;   in Loop: Header=BB411_808 Depth=1
	v_and_b32_e32 v7, 0xffff, v7
	v_mov_b32_e32 v6, 0x7f800001
	s_mov_b32 s16, exec_lo
	s_delay_alu instid0(VALU_DEP_2) | instskip(NEXT) | instid1(VALU_DEP_1)
	v_and_b32_e32 v180, 0x7f, v7
	v_cmpx_ne_u32_e32 0x7f, v180
	s_cbranch_execz .LBB411_1557
; %bb.1554:                             ;   in Loop: Header=BB411_808 Depth=1
	v_dual_mov_b32 v7, v10 :: v_dual_and_b32 v6, 7, v7
	v_lshrrev_b32_e32 v179, 3, v180
	s_mov_b32 s17, exec_lo
	v_cmpx_gt_u32_e32 8, v180
; %bb.1555:                             ;   in Loop: Header=BB411_808 Depth=1
	s_delay_alu instid0(VALU_DEP_3) | instskip(NEXT) | instid1(VALU_DEP_1)
	v_clz_i32_u32_e32 v179, v6
	v_min_u32_e32 v179, 32, v179
	s_delay_alu instid0(VALU_DEP_1) | instskip(SKIP_1) | instid1(VALU_DEP_2)
	v_subrev_nc_u32_e32 v180, 28, v179
	v_sub_nc_u32_e32 v179, 29, v179
	v_lshlrev_b64 v[6:7], v180, v[6:7]
	s_delay_alu instid0(VALU_DEP_1)
	v_and_b32_e32 v6, 7, v6
; %bb.1556:                             ;   in Loop: Header=BB411_808 Depth=1
	s_or_b32 exec_lo, exec_lo, s17
	v_lshlrev_b32_e32 v7, 16, v9
	s_delay_alu instid0(VALU_DEP_2) | instskip(SKIP_1) | instid1(VALU_DEP_3)
	v_lshlrev_b32_e32 v6, 20, v6
	v_lshl_add_u32 v9, v179, 23, 0x3c000000
	v_and_b32_e32 v7, 0x80000000, v7
	s_delay_alu instid0(VALU_DEP_1)
	v_or3_b32 v6, v6, v7, v9
.LBB411_1557:                           ;   in Loop: Header=BB411_808 Depth=1
	s_or_b32 exec_lo, exec_lo, s16
.LBB411_1558:                           ;   in Loop: Header=BB411_808 Depth=1
	s_delay_alu instid0(SALU_CYCLE_1)
	s_or_b32 exec_lo, exec_lo, s15
.LBB411_1559:                           ;   in Loop: Header=BB411_808 Depth=1
	s_delay_alu instid0(SALU_CYCLE_1) | instskip(NEXT) | instid1(VALU_DEP_1)
	s_or_b32 exec_lo, exec_lo, s13
	v_mul_f32_e32 v7, v8, v6
	s_delay_alu instid0(VALU_DEP_1) | instskip(NEXT) | instid1(VALU_DEP_1)
	v_and_b32_e32 v6, 0x7f800000, v7
	v_cmp_ne_u32_e64 s1, 0x7f800000, v6
                                        ; implicit-def: $vgpr6
	s_delay_alu instid0(VALU_DEP_1) | instskip(NEXT) | instid1(SALU_CYCLE_1)
	s_and_saveexec_b32 s13, s1
	s_xor_b32 s1, exec_lo, s13
; %bb.1560:                             ;   in Loop: Header=BB411_808 Depth=1
	v_bfe_u32 v6, v7, 16, 1
	s_delay_alu instid0(VALU_DEP_1)
	v_add3_u32 v6, v7, v6, 0x7fff
                                        ; implicit-def: $vgpr7
; %bb.1561:                             ;   in Loop: Header=BB411_808 Depth=1
	s_and_not1_saveexec_b32 s13, s1
; %bb.1562:                             ;   in Loop: Header=BB411_808 Depth=1
	v_and_b32_e32 v6, 0xffff, v7
	v_or_b32_e32 v9, 0x10000, v7
	s_delay_alu instid0(VALU_DEP_2) | instskip(NEXT) | instid1(VALU_DEP_1)
	v_cmp_eq_u32_e64 s1, 0, v6
	v_cndmask_b32_e64 v6, v9, v7, s1
; %bb.1563:                             ;   in Loop: Header=BB411_808 Depth=1
	s_or_b32 exec_lo, exec_lo, s13
	v_lshrrev_b32_e32 v7, 16, v3
	v_mov_b32_e32 v9, 0
	s_mov_b32 s13, exec_lo
	s_delay_alu instid0(VALU_DEP_2) | instskip(NEXT) | instid1(VALU_DEP_1)
	v_and_b32_e32 v179, 0xff, v7
	v_cmpx_ne_u16_e64 0, v179
	s_cbranch_execz .LBB411_1571
; %bb.1564:                             ;   in Loop: Header=BB411_808 Depth=1
	v_bfrev_b32_e32 v9, 1
	s_mov_b32 s15, exec_lo
	v_cmpx_ne_u16_e64 0x80, v179
	s_cbranch_execz .LBB411_1570
; %bb.1565:                             ;   in Loop: Header=BB411_808 Depth=1
	v_bfe_u32 v180, v3, 16, 7
	v_mov_b32_e32 v9, 0x7f800001
	s_mov_b32 s16, exec_lo
	s_delay_alu instid0(VALU_DEP_2)
	v_cmpx_ne_u32_e32 0x7f, v180
	s_cbranch_execz .LBB411_1569
; %bb.1566:                             ;   in Loop: Header=BB411_808 Depth=1
	v_and_b32_e32 v9, 7, v7
	v_lshrrev_b32_e32 v179, 3, v180
	s_mov_b32 s17, exec_lo
	v_cmpx_gt_u32_e32 8, v180
; %bb.1567:                             ;   in Loop: Header=BB411_808 Depth=1
	s_delay_alu instid0(VALU_DEP_3) | instskip(NEXT) | instid1(VALU_DEP_1)
	v_clz_i32_u32_e32 v179, v9
	v_min_u32_e32 v179, 32, v179
	s_delay_alu instid0(VALU_DEP_1) | instskip(SKIP_1) | instid1(VALU_DEP_2)
	v_subrev_nc_u32_e32 v180, 28, v179
	v_sub_nc_u32_e32 v179, 29, v179
	v_lshlrev_b64 v[180:181], v180, v[9:10]
	s_delay_alu instid0(VALU_DEP_1)
	v_and_b32_e32 v9, 7, v180
; %bb.1568:                             ;   in Loop: Header=BB411_808 Depth=1
	s_or_b32 exec_lo, exec_lo, s17
	v_lshlrev_b32_e32 v7, 24, v7
	s_delay_alu instid0(VALU_DEP_2) | instskip(SKIP_1) | instid1(VALU_DEP_3)
	v_lshlrev_b32_e32 v9, 20, v9
	v_lshl_add_u32 v179, v179, 23, 0x3c000000
	v_and_b32_e32 v7, 0x80000000, v7
	s_delay_alu instid0(VALU_DEP_1)
	v_or3_b32 v9, v9, v7, v179
.LBB411_1569:                           ;   in Loop: Header=BB411_808 Depth=1
	s_or_b32 exec_lo, exec_lo, s16
.LBB411_1570:                           ;   in Loop: Header=BB411_808 Depth=1
	s_delay_alu instid0(SALU_CYCLE_1)
	s_or_b32 exec_lo, exec_lo, s15
.LBB411_1571:                           ;   in Loop: Header=BB411_808 Depth=1
	s_delay_alu instid0(SALU_CYCLE_1) | instskip(NEXT) | instid1(VALU_DEP_1)
	s_or_b32 exec_lo, exec_lo, s13
	v_mul_f32_e32 v7, v8, v9
                                        ; implicit-def: $vgpr179
	s_delay_alu instid0(VALU_DEP_1) | instskip(NEXT) | instid1(VALU_DEP_1)
	v_and_b32_e32 v9, 0x7f800000, v7
	v_cmp_ne_u32_e64 s1, 0x7f800000, v9
	s_delay_alu instid0(VALU_DEP_1) | instskip(NEXT) | instid1(SALU_CYCLE_1)
	s_and_saveexec_b32 s13, s1
	s_xor_b32 s1, exec_lo, s13
; %bb.1572:                             ;   in Loop: Header=BB411_808 Depth=1
	v_bfe_u32 v9, v7, 16, 1
	s_delay_alu instid0(VALU_DEP_1)
	v_add3_u32 v179, v7, v9, 0x7fff
                                        ; implicit-def: $vgpr7
; %bb.1573:                             ;   in Loop: Header=BB411_808 Depth=1
	s_and_not1_saveexec_b32 s13, s1
; %bb.1574:                             ;   in Loop: Header=BB411_808 Depth=1
	v_and_b32_e32 v9, 0xffff, v7
	v_or_b32_e32 v179, 0x10000, v7
	s_delay_alu instid0(VALU_DEP_2) | instskip(NEXT) | instid1(VALU_DEP_1)
	v_cmp_eq_u32_e64 s1, 0, v9
	v_cndmask_b32_e64 v179, v179, v7, s1
; %bb.1575:                             ;   in Loop: Header=BB411_808 Depth=1
	s_or_b32 exec_lo, exec_lo, s13
	v_mov_b32_e32 v7, 0
	s_mov_b32 s13, exec_lo
	v_cmpx_lt_u64_e64 s[4:5], v[2:3]
	s_cbranch_execz .LBB411_1583
; %bb.1576:                             ;   in Loop: Header=BB411_808 Depth=1
	v_lshrrev_b32_e32 v2, 24, v3
	v_bfrev_b32_e32 v7, 1
	s_mov_b32 s15, exec_lo
	s_delay_alu instid0(VALU_DEP_2)
	v_cmpx_ne_u32_e32 0x80, v2
	s_cbranch_execz .LBB411_1582
; %bb.1577:                             ;   in Loop: Header=BB411_808 Depth=1
	v_bfe_u32 v180, v3, 24, 7
	v_mov_b32_e32 v7, 0x7f800001
	s_mov_b32 s16, exec_lo
	s_delay_alu instid0(VALU_DEP_2)
	v_cmpx_ne_u32_e32 0x7f, v180
	s_cbranch_execz .LBB411_1581
; %bb.1578:                             ;   in Loop: Header=BB411_808 Depth=1
	v_and_b32_e32 v9, 7, v2
	v_lshrrev_b32_e32 v3, 3, v180
	s_mov_b32 s17, exec_lo
	v_cmpx_gt_u32_e32 8, v180
; %bb.1579:                             ;   in Loop: Header=BB411_808 Depth=1
	s_delay_alu instid0(VALU_DEP_3) | instskip(NEXT) | instid1(VALU_DEP_1)
	v_clz_i32_u32_e32 v3, v9
	v_min_u32_e32 v3, 32, v3
	s_delay_alu instid0(VALU_DEP_1) | instskip(SKIP_1) | instid1(VALU_DEP_2)
	v_subrev_nc_u32_e32 v7, 28, v3
	v_sub_nc_u32_e32 v3, 29, v3
	v_lshlrev_b64 v[180:181], v7, v[9:10]
	s_delay_alu instid0(VALU_DEP_1)
	v_and_b32_e32 v9, 7, v180
; %bb.1580:                             ;   in Loop: Header=BB411_808 Depth=1
	s_or_b32 exec_lo, exec_lo, s17
	v_lshlrev_b32_e32 v2, 24, v2
	s_delay_alu instid0(VALU_DEP_2) | instskip(SKIP_1) | instid1(VALU_DEP_3)
	v_lshlrev_b32_e32 v7, 20, v9
	v_lshl_add_u32 v3, v3, 23, 0x3c000000
	v_and_b32_e32 v2, 0x80000000, v2
	s_delay_alu instid0(VALU_DEP_1)
	v_or3_b32 v7, v7, v2, v3
.LBB411_1581:                           ;   in Loop: Header=BB411_808 Depth=1
	s_or_b32 exec_lo, exec_lo, s16
.LBB411_1582:                           ;   in Loop: Header=BB411_808 Depth=1
	s_delay_alu instid0(SALU_CYCLE_1)
	s_or_b32 exec_lo, exec_lo, s15
.LBB411_1583:                           ;   in Loop: Header=BB411_808 Depth=1
	s_delay_alu instid0(SALU_CYCLE_1) | instskip(NEXT) | instid1(VALU_DEP_1)
	s_or_b32 exec_lo, exec_lo, s13
	v_mul_f32_e32 v3, v8, v7
	s_delay_alu instid0(VALU_DEP_1) | instskip(NEXT) | instid1(VALU_DEP_1)
	v_and_b32_e32 v2, 0x7f800000, v3
	v_cmp_ne_u32_e64 s1, 0x7f800000, v2
                                        ; implicit-def: $vgpr2
	s_delay_alu instid0(VALU_DEP_1) | instskip(NEXT) | instid1(SALU_CYCLE_1)
	s_and_saveexec_b32 s13, s1
	s_xor_b32 s1, exec_lo, s13
; %bb.1584:                             ;   in Loop: Header=BB411_808 Depth=1
	v_bfe_u32 v2, v3, 16, 1
	s_delay_alu instid0(VALU_DEP_1)
	v_add3_u32 v2, v3, v2, 0x7fff
                                        ; implicit-def: $vgpr3
; %bb.1585:                             ;   in Loop: Header=BB411_808 Depth=1
	s_and_not1_saveexec_b32 s13, s1
; %bb.1586:                             ;   in Loop: Header=BB411_808 Depth=1
	v_and_b32_e32 v2, 0xffff, v3
	v_or_b32_e32 v7, 0x10000, v3
	s_delay_alu instid0(VALU_DEP_2) | instskip(NEXT) | instid1(VALU_DEP_1)
	v_cmp_eq_u32_e64 s1, 0, v2
	v_cndmask_b32_e64 v2, v7, v3, s1
; %bb.1587:                             ;   in Loop: Header=BB411_808 Depth=1
	s_or_b32 exec_lo, exec_lo, s13
	v_lshrrev_b32_e32 v6, 16, v6
	v_lshrrev_b32_e32 v7, 16, v178
	;; [unrolled: 1-line block ×8, first 2 shown]
	s_and_saveexec_b32 s13, vcc_lo
	s_cbranch_execz .LBB411_1589
; %bb.1588:                             ;   in Loop: Header=BB411_808 Depth=1
	v_cmp_lt_i32_e64 s1, v53, v83
	s_delay_alu instid0(VALU_DEP_1) | instskip(SKIP_1) | instid1(VALU_DEP_1)
	v_cndmask_b32_e64 v166, 0, v166, s1
	v_cmp_lt_i32_e64 s1, v69, v83
	v_cndmask_b32_e64 v167, 0, v167, s1
	v_cmp_lt_i32_e64 s1, v68, v83
	s_delay_alu instid0(VALU_DEP_1) | instskip(SKIP_1) | instid1(VALU_DEP_1)
	v_cndmask_b32_e64 v176, 0, v176, s1
	v_cmp_lt_i32_e64 s1, v67, v83
	v_cndmask_b32_e64 v9, 0, v9, s1
	;; [unrolled: 5-line block ×4, first 2 shown]
.LBB411_1589:                           ;   in Loop: Header=BB411_808 Depth=1
	s_or_b32 exec_lo, exec_lo, s13
	v_lshlrev_b32_e32 v166, 16, v166
	s_delay_alu instid0(VALU_DEP_1) | instskip(NEXT) | instid1(VALU_DEP_1)
	v_mul_f32_e32 v177, v70, v166
	v_and_b32_e32 v166, 0x7f800000, v177
	s_delay_alu instid0(VALU_DEP_1) | instskip(NEXT) | instid1(VALU_DEP_1)
	v_cmp_ne_u32_e64 s1, 0x7f800000, v166
                                        ; implicit-def: $vgpr166
	s_and_saveexec_b32 s13, s1
	s_delay_alu instid0(SALU_CYCLE_1)
	s_xor_b32 s1, exec_lo, s13
; %bb.1590:                             ;   in Loop: Header=BB411_808 Depth=1
	v_bfe_u32 v166, v177, 16, 1
	s_delay_alu instid0(VALU_DEP_1)
	v_add3_u32 v166, v177, v166, 0x7fff
                                        ; implicit-def: $vgpr177
; %bb.1591:                             ;   in Loop: Header=BB411_808 Depth=1
	s_and_not1_saveexec_b32 s13, s1
; %bb.1592:                             ;   in Loop: Header=BB411_808 Depth=1
	v_and_b32_e32 v166, 0xffff, v177
	v_or_b32_e32 v178, 0x10000, v177
	s_delay_alu instid0(VALU_DEP_2) | instskip(NEXT) | instid1(VALU_DEP_1)
	v_cmp_eq_u32_e64 s1, 0, v166
	v_cndmask_b32_e64 v166, v178, v177, s1
; %bb.1593:                             ;   in Loop: Header=BB411_808 Depth=1
	s_or_b32 exec_lo, exec_lo, s13
	v_lshlrev_b32_e32 v167, 16, v167
	s_delay_alu instid0(VALU_DEP_1) | instskip(NEXT) | instid1(VALU_DEP_1)
	v_mul_f32_e32 v177, v71, v167
	v_and_b32_e32 v167, 0x7f800000, v177
	s_delay_alu instid0(VALU_DEP_1) | instskip(NEXT) | instid1(VALU_DEP_1)
	v_cmp_ne_u32_e64 s1, 0x7f800000, v167
                                        ; implicit-def: $vgpr167
	s_and_saveexec_b32 s13, s1
	s_delay_alu instid0(SALU_CYCLE_1)
	s_xor_b32 s1, exec_lo, s13
; %bb.1594:                             ;   in Loop: Header=BB411_808 Depth=1
	v_bfe_u32 v167, v177, 16, 1
	s_delay_alu instid0(VALU_DEP_1)
	v_add3_u32 v167, v177, v167, 0x7fff
                                        ; implicit-def: $vgpr177
; %bb.1595:                             ;   in Loop: Header=BB411_808 Depth=1
	s_and_not1_saveexec_b32 s13, s1
; %bb.1596:                             ;   in Loop: Header=BB411_808 Depth=1
	v_and_b32_e32 v167, 0xffff, v177
	v_or_b32_e32 v178, 0x10000, v177
	s_delay_alu instid0(VALU_DEP_2) | instskip(NEXT) | instid1(VALU_DEP_1)
	v_cmp_eq_u32_e64 s1, 0, v167
	v_cndmask_b32_e64 v167, v178, v177, s1
; %bb.1597:                             ;   in Loop: Header=BB411_808 Depth=1
	s_or_b32 exec_lo, exec_lo, s13
	v_lshlrev_b32_e32 v176, 16, v176
	s_delay_alu instid0(VALU_DEP_1) | instskip(NEXT) | instid1(VALU_DEP_1)
	v_mul_f32_e32 v177, v80, v176
	v_and_b32_e32 v176, 0x7f800000, v177
	s_delay_alu instid0(VALU_DEP_1) | instskip(NEXT) | instid1(VALU_DEP_1)
	v_cmp_ne_u32_e64 s1, 0x7f800000, v176
                                        ; implicit-def: $vgpr176
	s_and_saveexec_b32 s13, s1
	s_delay_alu instid0(SALU_CYCLE_1)
	s_xor_b32 s1, exec_lo, s13
; %bb.1598:                             ;   in Loop: Header=BB411_808 Depth=1
	v_bfe_u32 v176, v177, 16, 1
	s_delay_alu instid0(VALU_DEP_1)
	v_add3_u32 v176, v177, v176, 0x7fff
                                        ; implicit-def: $vgpr177
; %bb.1599:                             ;   in Loop: Header=BB411_808 Depth=1
	s_and_not1_saveexec_b32 s13, s1
; %bb.1600:                             ;   in Loop: Header=BB411_808 Depth=1
	v_and_b32_e32 v176, 0xffff, v177
	v_or_b32_e32 v178, 0x10000, v177
	s_delay_alu instid0(VALU_DEP_2) | instskip(NEXT) | instid1(VALU_DEP_1)
	v_cmp_eq_u32_e64 s1, 0, v176
	v_cndmask_b32_e64 v176, v178, v177, s1
; %bb.1601:                             ;   in Loop: Header=BB411_808 Depth=1
	s_or_b32 exec_lo, exec_lo, s13
	v_lshlrev_b32_e32 v9, 16, v9
	s_delay_alu instid0(VALU_DEP_1) | instskip(NEXT) | instid1(VALU_DEP_1)
	v_mul_f32_e32 v9, v81, v9
	v_and_b32_e32 v177, 0x7f800000, v9
	s_delay_alu instid0(VALU_DEP_1) | instskip(NEXT) | instid1(VALU_DEP_1)
	v_cmp_ne_u32_e64 s1, 0x7f800000, v177
                                        ; implicit-def: $vgpr177
	s_and_saveexec_b32 s13, s1
	s_delay_alu instid0(SALU_CYCLE_1)
	s_xor_b32 s1, exec_lo, s13
; %bb.1602:                             ;   in Loop: Header=BB411_808 Depth=1
	v_bfe_u32 v177, v9, 16, 1
	s_delay_alu instid0(VALU_DEP_1)
	v_add3_u32 v177, v9, v177, 0x7fff
                                        ; implicit-def: $vgpr9
; %bb.1603:                             ;   in Loop: Header=BB411_808 Depth=1
	s_and_not1_saveexec_b32 s13, s1
; %bb.1604:                             ;   in Loop: Header=BB411_808 Depth=1
	v_and_b32_e32 v177, 0xffff, v9
	v_or_b32_e32 v178, 0x10000, v9
	s_delay_alu instid0(VALU_DEP_2) | instskip(NEXT) | instid1(VALU_DEP_1)
	v_cmp_eq_u32_e64 s1, 0, v177
	v_cndmask_b32_e64 v177, v178, v9, s1
; %bb.1605:                             ;   in Loop: Header=BB411_808 Depth=1
	s_or_b32 exec_lo, exec_lo, s13
	v_lshlrev_b32_e32 v7, 16, v7
                                        ; implicit-def: $vgpr178
	s_delay_alu instid0(VALU_DEP_1) | instskip(NEXT) | instid1(VALU_DEP_1)
	v_mul_f32_e32 v7, v98, v7
	v_and_b32_e32 v9, 0x7f800000, v7
	s_delay_alu instid0(VALU_DEP_1) | instskip(NEXT) | instid1(VALU_DEP_1)
	v_cmp_ne_u32_e64 s1, 0x7f800000, v9
	s_and_saveexec_b32 s13, s1
	s_delay_alu instid0(SALU_CYCLE_1)
	s_xor_b32 s1, exec_lo, s13
; %bb.1606:                             ;   in Loop: Header=BB411_808 Depth=1
	v_bfe_u32 v9, v7, 16, 1
	s_delay_alu instid0(VALU_DEP_1)
	v_add3_u32 v178, v7, v9, 0x7fff
                                        ; implicit-def: $vgpr7
; %bb.1607:                             ;   in Loop: Header=BB411_808 Depth=1
	s_and_not1_saveexec_b32 s13, s1
; %bb.1608:                             ;   in Loop: Header=BB411_808 Depth=1
	v_and_b32_e32 v9, 0xffff, v7
	v_or_b32_e32 v178, 0x10000, v7
	s_delay_alu instid0(VALU_DEP_2) | instskip(NEXT) | instid1(VALU_DEP_1)
	v_cmp_eq_u32_e64 s1, 0, v9
	v_cndmask_b32_e64 v178, v178, v7, s1
; %bb.1609:                             ;   in Loop: Header=BB411_808 Depth=1
	s_or_b32 exec_lo, exec_lo, s13
	v_lshlrev_b32_e32 v6, 16, v6
                                        ; implicit-def: $vgpr179
	s_delay_alu instid0(VALU_DEP_1) | instskip(NEXT) | instid1(VALU_DEP_1)
	v_mul_f32_e32 v6, v99, v6
	v_and_b32_e32 v7, 0x7f800000, v6
	s_delay_alu instid0(VALU_DEP_1) | instskip(NEXT) | instid1(VALU_DEP_1)
	v_cmp_ne_u32_e64 s1, 0x7f800000, v7
	s_and_saveexec_b32 s13, s1
	s_delay_alu instid0(SALU_CYCLE_1)
	s_xor_b32 s1, exec_lo, s13
; %bb.1610:                             ;   in Loop: Header=BB411_808 Depth=1
	v_bfe_u32 v7, v6, 16, 1
	s_delay_alu instid0(VALU_DEP_1)
	v_add3_u32 v179, v6, v7, 0x7fff
                                        ; implicit-def: $vgpr6
; %bb.1611:                             ;   in Loop: Header=BB411_808 Depth=1
	s_and_not1_saveexec_b32 s13, s1
; %bb.1612:                             ;   in Loop: Header=BB411_808 Depth=1
	v_and_b32_e32 v7, 0xffff, v6
	v_or_b32_e32 v9, 0x10000, v6
	s_delay_alu instid0(VALU_DEP_2) | instskip(NEXT) | instid1(VALU_DEP_1)
	v_cmp_eq_u32_e64 s1, 0, v7
	v_cndmask_b32_e64 v179, v9, v6, s1
; %bb.1613:                             ;   in Loop: Header=BB411_808 Depth=1
	s_or_b32 exec_lo, exec_lo, s13
	v_lshlrev_b32_e32 v3, 16, v3
                                        ; implicit-def: $vgpr180
	s_delay_alu instid0(VALU_DEP_1) | instskip(NEXT) | instid1(VALU_DEP_1)
	v_mul_f32_e32 v3, v100, v3
	v_and_b32_e32 v6, 0x7f800000, v3
	s_delay_alu instid0(VALU_DEP_1) | instskip(NEXT) | instid1(VALU_DEP_1)
	v_cmp_ne_u32_e64 s1, 0x7f800000, v6
	s_and_saveexec_b32 s13, s1
	s_delay_alu instid0(SALU_CYCLE_1)
	s_xor_b32 s1, exec_lo, s13
; %bb.1614:                             ;   in Loop: Header=BB411_808 Depth=1
	v_bfe_u32 v6, v3, 16, 1
	s_delay_alu instid0(VALU_DEP_1)
	v_add3_u32 v180, v3, v6, 0x7fff
                                        ; implicit-def: $vgpr3
; %bb.1615:                             ;   in Loop: Header=BB411_808 Depth=1
	s_and_not1_saveexec_b32 s13, s1
; %bb.1616:                             ;   in Loop: Header=BB411_808 Depth=1
	v_and_b32_e32 v6, 0xffff, v3
	v_or_b32_e32 v7, 0x10000, v3
	s_delay_alu instid0(VALU_DEP_2) | instskip(NEXT) | instid1(VALU_DEP_1)
	v_cmp_eq_u32_e64 s1, 0, v6
	v_cndmask_b32_e64 v180, v7, v3, s1
; %bb.1617:                             ;   in Loop: Header=BB411_808 Depth=1
	s_or_b32 exec_lo, exec_lo, s13
	v_lshlrev_b32_e32 v2, 16, v2
                                        ; implicit-def: $vgpr181
	s_delay_alu instid0(VALU_DEP_1) | instskip(NEXT) | instid1(VALU_DEP_1)
	v_mul_f32_e32 v2, v101, v2
	v_and_b32_e32 v3, 0x7f800000, v2
	s_delay_alu instid0(VALU_DEP_1) | instskip(NEXT) | instid1(VALU_DEP_1)
	v_cmp_ne_u32_e64 s1, 0x7f800000, v3
	s_and_saveexec_b32 s13, s1
	s_delay_alu instid0(SALU_CYCLE_1)
	s_xor_b32 s1, exec_lo, s13
; %bb.1618:                             ;   in Loop: Header=BB411_808 Depth=1
	v_bfe_u32 v3, v2, 16, 1
	s_delay_alu instid0(VALU_DEP_1)
	v_add3_u32 v181, v2, v3, 0x7fff
                                        ; implicit-def: $vgpr2
; %bb.1619:                             ;   in Loop: Header=BB411_808 Depth=1
	s_and_not1_saveexec_b32 s13, s1
; %bb.1620:                             ;   in Loop: Header=BB411_808 Depth=1
	v_and_b32_e32 v3, 0xffff, v2
	v_or_b32_e32 v6, 0x10000, v2
	s_delay_alu instid0(VALU_DEP_2) | instskip(NEXT) | instid1(VALU_DEP_1)
	v_cmp_eq_u32_e64 s1, 0, v3
	v_cndmask_b32_e64 v181, v6, v2, s1
; %bb.1621:                             ;   in Loop: Header=BB411_808 Depth=1
	s_or_b32 exec_lo, exec_lo, s13
	flat_load_b64 v[2:3], v[0:1] offset:1536
	s_mov_b32 s13, exec_lo
	s_waitcnt vmcnt(0) lgkmcnt(0)
	v_dual_mov_b32 v6, 0 :: v_dual_and_b32 v7, 0xff, v2
	s_delay_alu instid0(VALU_DEP_1)
	v_cmpx_ne_u16_e32 0, v7
	s_cbranch_execz .LBB411_1629
; %bb.1622:                             ;   in Loop: Header=BB411_808 Depth=1
	v_bfrev_b32_e32 v6, 1
	s_mov_b32 s15, exec_lo
	v_cmpx_ne_u16_e32 0x80, v7
	s_cbranch_execz .LBB411_1628
; %bb.1623:                             ;   in Loop: Header=BB411_808 Depth=1
	v_and_b32_e32 v7, 0x7f, v2
	v_mov_b32_e32 v6, 0x7f800001
	s_mov_b32 s16, exec_lo
	s_delay_alu instid0(VALU_DEP_2)
	v_cmpx_ne_u32_e32 0x7f, v7
	s_cbranch_execz .LBB411_1627
; %bb.1624:                             ;   in Loop: Header=BB411_808 Depth=1
	v_lshrrev_b32_e32 v9, 3, v7
	v_cmp_gt_u32_e64 s1, 8, v7
	v_dual_mov_b32 v7, v3 :: v_dual_mov_b32 v6, v2
	s_delay_alu instid0(VALU_DEP_2)
	s_and_saveexec_b32 s17, s1
; %bb.1625:                             ;   in Loop: Header=BB411_808 Depth=1
	v_and_b32_e32 v6, 7, v2
	s_delay_alu instid0(VALU_DEP_1) | instskip(NEXT) | instid1(VALU_DEP_1)
	v_clz_i32_u32_e32 v6, v6
	v_min_u32_e32 v9, 32, v6
	s_delay_alu instid0(VALU_DEP_1) | instskip(SKIP_1) | instid1(VALU_DEP_2)
	v_subrev_nc_u32_e32 v6, 28, v9
	v_sub_nc_u32_e32 v9, 29, v9
	v_lshlrev_b64 v[6:7], v6, v[2:3]
; %bb.1626:                             ;   in Loop: Header=BB411_808 Depth=1
	s_or_b32 exec_lo, exec_lo, s17
	s_delay_alu instid0(VALU_DEP_1) | instskip(SKIP_2) | instid1(VALU_DEP_3)
	v_lshlrev_b32_e32 v6, 20, v6
	v_lshlrev_b32_e32 v7, 24, v2
	v_lshl_add_u32 v9, v9, 23, 0x3c000000
	v_and_b32_e32 v6, 0x700000, v6
	s_delay_alu instid0(VALU_DEP_3) | instskip(NEXT) | instid1(VALU_DEP_1)
	v_and_b32_e32 v7, 0x80000000, v7
	v_or3_b32 v6, v6, v7, v9
.LBB411_1627:                           ;   in Loop: Header=BB411_808 Depth=1
	s_or_b32 exec_lo, exec_lo, s16
.LBB411_1628:                           ;   in Loop: Header=BB411_808 Depth=1
	s_delay_alu instid0(SALU_CYCLE_1)
	s_or_b32 exec_lo, exec_lo, s15
.LBB411_1629:                           ;   in Loop: Header=BB411_808 Depth=1
	s_delay_alu instid0(SALU_CYCLE_1) | instskip(NEXT) | instid1(VALU_DEP_1)
	s_or_b32 exec_lo, exec_lo, s13
	v_mul_f32_e32 v6, v8, v6
                                        ; implicit-def: $vgpr182
	s_delay_alu instid0(VALU_DEP_1) | instskip(NEXT) | instid1(VALU_DEP_1)
	v_and_b32_e32 v7, 0x7f800000, v6
	v_cmp_ne_u32_e64 s1, 0x7f800000, v7
	s_delay_alu instid0(VALU_DEP_1) | instskip(NEXT) | instid1(SALU_CYCLE_1)
	s_and_saveexec_b32 s13, s1
	s_xor_b32 s1, exec_lo, s13
; %bb.1630:                             ;   in Loop: Header=BB411_808 Depth=1
	v_bfe_u32 v7, v6, 16, 1
	s_delay_alu instid0(VALU_DEP_1)
	v_add3_u32 v182, v6, v7, 0x7fff
                                        ; implicit-def: $vgpr6
; %bb.1631:                             ;   in Loop: Header=BB411_808 Depth=1
	s_and_not1_saveexec_b32 s13, s1
; %bb.1632:                             ;   in Loop: Header=BB411_808 Depth=1
	v_and_b32_e32 v7, 0xffff, v6
	v_or_b32_e32 v9, 0x10000, v6
	s_delay_alu instid0(VALU_DEP_2) | instskip(NEXT) | instid1(VALU_DEP_1)
	v_cmp_eq_u32_e64 s1, 0, v7
	v_cndmask_b32_e64 v182, v9, v6, s1
; %bb.1633:                             ;   in Loop: Header=BB411_808 Depth=1
	s_or_b32 exec_lo, exec_lo, s13
	v_lshrrev_b16 v7, 8, v2
	v_mov_b32_e32 v6, 0
	s_mov_b32 s13, exec_lo
	s_delay_alu instid0(VALU_DEP_2)
	v_cmpx_ne_u16_e32 0, v7
	s_cbranch_execz .LBB411_1641
; %bb.1634:                             ;   in Loop: Header=BB411_808 Depth=1
	v_bfrev_b32_e32 v6, 1
	s_mov_b32 s15, exec_lo
	v_cmpx_ne_u16_e32 0x80, v7
	s_cbranch_execz .LBB411_1640
; %bb.1635:                             ;   in Loop: Header=BB411_808 Depth=1
	v_and_b32_e32 v9, 0xffff, v7
	v_mov_b32_e32 v6, 0x7f800001
	s_mov_b32 s16, exec_lo
	s_delay_alu instid0(VALU_DEP_2) | instskip(NEXT) | instid1(VALU_DEP_1)
	v_and_b32_e32 v7, 0x7f, v9
	v_cmpx_ne_u32_e32 0x7f, v7
	s_cbranch_execz .LBB411_1639
; %bb.1636:                             ;   in Loop: Header=BB411_808 Depth=1
	v_and_b32_e32 v9, 7, v9
	v_lshrrev_b32_e32 v6, 3, v7
	s_mov_b32 s17, exec_lo
	v_cmpx_gt_u32_e32 8, v7
; %bb.1637:                             ;   in Loop: Header=BB411_808 Depth=1
	s_delay_alu instid0(VALU_DEP_3) | instskip(NEXT) | instid1(VALU_DEP_1)
	v_clz_i32_u32_e32 v6, v9
	v_min_u32_e32 v6, 32, v6
	s_delay_alu instid0(VALU_DEP_1) | instskip(SKIP_1) | instid1(VALU_DEP_2)
	v_subrev_nc_u32_e32 v7, 28, v6
	v_sub_nc_u32_e32 v6, 29, v6
	v_lshlrev_b64 v[40:41], v7, v[9:10]
	s_delay_alu instid0(VALU_DEP_1)
	v_and_b32_e32 v9, 7, v40
; %bb.1638:                             ;   in Loop: Header=BB411_808 Depth=1
	s_or_b32 exec_lo, exec_lo, s17
	v_lshlrev_b32_e32 v7, 16, v2
	s_delay_alu instid0(VALU_DEP_2) | instskip(SKIP_1) | instid1(VALU_DEP_3)
	v_lshlrev_b32_e32 v9, 20, v9
	v_lshl_add_u32 v6, v6, 23, 0x3c000000
	v_and_b32_e32 v7, 0x80000000, v7
	s_delay_alu instid0(VALU_DEP_1)
	v_or3_b32 v6, v9, v7, v6
.LBB411_1639:                           ;   in Loop: Header=BB411_808 Depth=1
	s_or_b32 exec_lo, exec_lo, s16
.LBB411_1640:                           ;   in Loop: Header=BB411_808 Depth=1
	s_delay_alu instid0(SALU_CYCLE_1)
	s_or_b32 exec_lo, exec_lo, s15
.LBB411_1641:                           ;   in Loop: Header=BB411_808 Depth=1
	s_delay_alu instid0(SALU_CYCLE_1) | instskip(NEXT) | instid1(VALU_DEP_1)
	s_or_b32 exec_lo, exec_lo, s13
	v_mul_f32_e32 v6, v8, v6
                                        ; implicit-def: $vgpr183
	s_delay_alu instid0(VALU_DEP_1) | instskip(NEXT) | instid1(VALU_DEP_1)
	v_and_b32_e32 v7, 0x7f800000, v6
	v_cmp_ne_u32_e64 s1, 0x7f800000, v7
	s_delay_alu instid0(VALU_DEP_1) | instskip(NEXT) | instid1(SALU_CYCLE_1)
	s_and_saveexec_b32 s13, s1
	s_xor_b32 s1, exec_lo, s13
; %bb.1642:                             ;   in Loop: Header=BB411_808 Depth=1
	v_bfe_u32 v7, v6, 16, 1
	s_delay_alu instid0(VALU_DEP_1)
	v_add3_u32 v183, v6, v7, 0x7fff
                                        ; implicit-def: $vgpr6
; %bb.1643:                             ;   in Loop: Header=BB411_808 Depth=1
	s_and_not1_saveexec_b32 s13, s1
; %bb.1644:                             ;   in Loop: Header=BB411_808 Depth=1
	v_and_b32_e32 v7, 0xffff, v6
	v_or_b32_e32 v9, 0x10000, v6
	s_delay_alu instid0(VALU_DEP_2) | instskip(NEXT) | instid1(VALU_DEP_1)
	v_cmp_eq_u32_e64 s1, 0, v7
	v_cndmask_b32_e64 v183, v9, v6, s1
; %bb.1645:                             ;   in Loop: Header=BB411_808 Depth=1
	s_or_b32 exec_lo, exec_lo, s13
	v_lshrrev_b32_e32 v6, 16, v2
	v_mov_b32_e32 v7, 0
	s_mov_b32 s13, exec_lo
	s_delay_alu instid0(VALU_DEP_2) | instskip(NEXT) | instid1(VALU_DEP_1)
	v_and_b32_e32 v9, 0xff, v6
	v_cmpx_ne_u16_e32 0, v9
	s_cbranch_execz .LBB411_1653
; %bb.1646:                             ;   in Loop: Header=BB411_808 Depth=1
	v_bfrev_b32_e32 v7, 1
	s_mov_b32 s15, exec_lo
	v_cmpx_ne_u16_e32 0x80, v9
	s_cbranch_execz .LBB411_1652
; %bb.1647:                             ;   in Loop: Header=BB411_808 Depth=1
	v_bfe_u32 v40, v2, 16, 7
	v_mov_b32_e32 v7, 0x7f800001
	s_mov_b32 s16, exec_lo
	s_delay_alu instid0(VALU_DEP_2)
	v_cmpx_ne_u32_e32 0x7f, v40
	s_cbranch_execz .LBB411_1651
; %bb.1648:                             ;   in Loop: Header=BB411_808 Depth=1
	v_and_b32_e32 v9, 7, v6
	v_lshrrev_b32_e32 v7, 3, v40
	s_mov_b32 s17, exec_lo
	v_cmpx_gt_u32_e32 8, v40
; %bb.1649:                             ;   in Loop: Header=BB411_808 Depth=1
	s_delay_alu instid0(VALU_DEP_3) | instskip(NEXT) | instid1(VALU_DEP_1)
	v_clz_i32_u32_e32 v7, v9
	v_min_u32_e32 v7, 32, v7
	s_delay_alu instid0(VALU_DEP_1) | instskip(SKIP_1) | instid1(VALU_DEP_2)
	v_subrev_nc_u32_e32 v40, 28, v7
	v_sub_nc_u32_e32 v7, 29, v7
	v_lshlrev_b64 v[40:41], v40, v[9:10]
	s_delay_alu instid0(VALU_DEP_1)
	v_and_b32_e32 v9, 7, v40
; %bb.1650:                             ;   in Loop: Header=BB411_808 Depth=1
	s_or_b32 exec_lo, exec_lo, s17
	v_lshlrev_b32_e32 v6, 24, v6
	s_delay_alu instid0(VALU_DEP_2) | instskip(SKIP_1) | instid1(VALU_DEP_3)
	v_lshlrev_b32_e32 v9, 20, v9
	v_lshl_add_u32 v7, v7, 23, 0x3c000000
	v_and_b32_e32 v6, 0x80000000, v6
	s_delay_alu instid0(VALU_DEP_1)
	v_or3_b32 v7, v9, v6, v7
.LBB411_1651:                           ;   in Loop: Header=BB411_808 Depth=1
	s_or_b32 exec_lo, exec_lo, s16
.LBB411_1652:                           ;   in Loop: Header=BB411_808 Depth=1
	s_delay_alu instid0(SALU_CYCLE_1)
	s_or_b32 exec_lo, exec_lo, s15
.LBB411_1653:                           ;   in Loop: Header=BB411_808 Depth=1
	s_delay_alu instid0(SALU_CYCLE_1) | instskip(NEXT) | instid1(VALU_DEP_1)
	s_or_b32 exec_lo, exec_lo, s13
	v_mul_f32_e32 v6, v8, v7
                                        ; implicit-def: $vgpr40
	s_delay_alu instid0(VALU_DEP_1) | instskip(NEXT) | instid1(VALU_DEP_1)
	v_and_b32_e32 v7, 0x7f800000, v6
	v_cmp_ne_u32_e64 s1, 0x7f800000, v7
	s_delay_alu instid0(VALU_DEP_1) | instskip(NEXT) | instid1(SALU_CYCLE_1)
	s_and_saveexec_b32 s13, s1
	s_xor_b32 s1, exec_lo, s13
; %bb.1654:                             ;   in Loop: Header=BB411_808 Depth=1
	v_bfe_u32 v7, v6, 16, 1
	s_delay_alu instid0(VALU_DEP_1)
	v_add3_u32 v40, v6, v7, 0x7fff
                                        ; implicit-def: $vgpr6
; %bb.1655:                             ;   in Loop: Header=BB411_808 Depth=1
	s_and_not1_saveexec_b32 s13, s1
; %bb.1656:                             ;   in Loop: Header=BB411_808 Depth=1
	v_and_b32_e32 v7, 0xffff, v6
	v_or_b32_e32 v9, 0x10000, v6
	s_delay_alu instid0(VALU_DEP_2) | instskip(NEXT) | instid1(VALU_DEP_1)
	v_cmp_eq_u32_e64 s1, 0, v7
	v_cndmask_b32_e64 v40, v9, v6, s1
; %bb.1657:                             ;   in Loop: Header=BB411_808 Depth=1
	s_or_b32 exec_lo, exec_lo, s13
	v_mov_b32_e32 v7, 0
	s_mov_b32 s13, exec_lo
	v_cmpx_lt_u32_e32 0xffffff, v2
	s_cbranch_execz .LBB411_1665
; %bb.1658:                             ;   in Loop: Header=BB411_808 Depth=1
	v_lshrrev_b32_e32 v6, 24, v2
	v_bfrev_b32_e32 v7, 1
	s_mov_b32 s15, exec_lo
	s_delay_alu instid0(VALU_DEP_2)
	v_cmpx_ne_u32_e32 0x80, v6
	s_cbranch_execz .LBB411_1664
; %bb.1659:                             ;   in Loop: Header=BB411_808 Depth=1
	v_bfe_u32 v41, v2, 24, 7
	v_mov_b32_e32 v7, 0x7f800001
	s_mov_b32 s16, exec_lo
	s_delay_alu instid0(VALU_DEP_2)
	v_cmpx_ne_u32_e32 0x7f, v41
	s_cbranch_execz .LBB411_1663
; %bb.1660:                             ;   in Loop: Header=BB411_808 Depth=1
	v_and_b32_e32 v9, 7, v6
	v_lshrrev_b32_e32 v7, 3, v41
	s_mov_b32 s17, exec_lo
	v_cmpx_gt_u32_e32 8, v41
; %bb.1661:                             ;   in Loop: Header=BB411_808 Depth=1
	s_delay_alu instid0(VALU_DEP_3) | instskip(NEXT) | instid1(VALU_DEP_1)
	v_clz_i32_u32_e32 v7, v9
	v_min_u32_e32 v7, 32, v7
	s_delay_alu instid0(VALU_DEP_1) | instskip(SKIP_1) | instid1(VALU_DEP_2)
	v_subrev_nc_u32_e32 v41, 28, v7
	v_sub_nc_u32_e32 v7, 29, v7
	v_lshlrev_b64 v[41:42], v41, v[9:10]
	s_delay_alu instid0(VALU_DEP_1)
	v_and_b32_e32 v9, 7, v41
; %bb.1662:                             ;   in Loop: Header=BB411_808 Depth=1
	s_or_b32 exec_lo, exec_lo, s17
	v_lshlrev_b32_e32 v6, 24, v6
	s_delay_alu instid0(VALU_DEP_2) | instskip(SKIP_1) | instid1(VALU_DEP_3)
	v_lshlrev_b32_e32 v9, 20, v9
	v_lshl_add_u32 v7, v7, 23, 0x3c000000
	v_and_b32_e32 v6, 0x80000000, v6
	s_delay_alu instid0(VALU_DEP_1)
	v_or3_b32 v7, v9, v6, v7
.LBB411_1663:                           ;   in Loop: Header=BB411_808 Depth=1
	s_or_b32 exec_lo, exec_lo, s16
.LBB411_1664:                           ;   in Loop: Header=BB411_808 Depth=1
	s_delay_alu instid0(SALU_CYCLE_1)
	s_or_b32 exec_lo, exec_lo, s15
.LBB411_1665:                           ;   in Loop: Header=BB411_808 Depth=1
	s_delay_alu instid0(SALU_CYCLE_1) | instskip(NEXT) | instid1(VALU_DEP_1)
	s_or_b32 exec_lo, exec_lo, s13
	v_mul_f32_e32 v6, v8, v7
                                        ; implicit-def: $vgpr41
	s_delay_alu instid0(VALU_DEP_1) | instskip(NEXT) | instid1(VALU_DEP_1)
	v_and_b32_e32 v7, 0x7f800000, v6
	v_cmp_ne_u32_e64 s1, 0x7f800000, v7
	s_delay_alu instid0(VALU_DEP_1) | instskip(NEXT) | instid1(SALU_CYCLE_1)
	s_and_saveexec_b32 s13, s1
	s_xor_b32 s1, exec_lo, s13
; %bb.1666:                             ;   in Loop: Header=BB411_808 Depth=1
	v_bfe_u32 v7, v6, 16, 1
	s_delay_alu instid0(VALU_DEP_1)
	v_add3_u32 v41, v6, v7, 0x7fff
                                        ; implicit-def: $vgpr6
; %bb.1667:                             ;   in Loop: Header=BB411_808 Depth=1
	s_and_not1_saveexec_b32 s13, s1
; %bb.1668:                             ;   in Loop: Header=BB411_808 Depth=1
	v_and_b32_e32 v7, 0xffff, v6
	v_or_b32_e32 v9, 0x10000, v6
	s_delay_alu instid0(VALU_DEP_2) | instskip(NEXT) | instid1(VALU_DEP_1)
	v_cmp_eq_u32_e64 s1, 0, v7
	v_cndmask_b32_e64 v41, v9, v6, s1
; %bb.1669:                             ;   in Loop: Header=BB411_808 Depth=1
	s_or_b32 exec_lo, exec_lo, s13
	v_dual_mov_b32 v6, 0 :: v_dual_and_b32 v7, 0xff, v3
	v_mov_b32_e32 v9, v3
	s_mov_b32 s13, exec_lo
	s_delay_alu instid0(VALU_DEP_2)
	v_cmpx_ne_u16_e32 0, v7
	s_cbranch_execz .LBB411_1677
; %bb.1670:                             ;   in Loop: Header=BB411_808 Depth=1
	v_bfrev_b32_e32 v6, 1
	s_mov_b32 s15, exec_lo
	v_cmpx_ne_u16_e32 0x80, v7
	s_cbranch_execz .LBB411_1676
; %bb.1671:                             ;   in Loop: Header=BB411_808 Depth=1
	v_and_b32_e32 v7, 0x7f, v3
	v_mov_b32_e32 v6, 0x7f800001
	s_mov_b32 s16, exec_lo
	s_delay_alu instid0(VALU_DEP_2)
	v_cmpx_ne_u32_e32 0x7f, v7
	s_cbranch_execz .LBB411_1675
; %bb.1672:                             ;   in Loop: Header=BB411_808 Depth=1
	v_lshrrev_b32_e32 v42, 3, v7
	v_cmp_gt_u32_e64 s1, 8, v7
	v_dual_mov_b32 v6, v9 :: v_dual_mov_b32 v7, v10
	s_delay_alu instid0(VALU_DEP_2)
	s_and_saveexec_b32 s17, s1
; %bb.1673:                             ;   in Loop: Header=BB411_808 Depth=1
	v_and_b32_e32 v6, 7, v3
	s_delay_alu instid0(VALU_DEP_1) | instskip(NEXT) | instid1(VALU_DEP_1)
	v_clz_i32_u32_e32 v6, v6
	v_min_u32_e32 v42, 32, v6
	s_delay_alu instid0(VALU_DEP_1) | instskip(SKIP_1) | instid1(VALU_DEP_2)
	v_subrev_nc_u32_e32 v6, 28, v42
	v_sub_nc_u32_e32 v42, 29, v42
	v_lshlrev_b64 v[6:7], v6, v[9:10]
; %bb.1674:                             ;   in Loop: Header=BB411_808 Depth=1
	s_or_b32 exec_lo, exec_lo, s17
	s_delay_alu instid0(VALU_DEP_1) | instskip(SKIP_2) | instid1(VALU_DEP_3)
	v_lshlrev_b32_e32 v6, 20, v6
	v_lshlrev_b32_e32 v7, 24, v9
	v_lshl_add_u32 v42, v42, 23, 0x3c000000
	v_and_b32_e32 v6, 0x700000, v6
	s_delay_alu instid0(VALU_DEP_3) | instskip(NEXT) | instid1(VALU_DEP_1)
	v_and_b32_e32 v7, 0x80000000, v7
	v_or3_b32 v6, v6, v7, v42
.LBB411_1675:                           ;   in Loop: Header=BB411_808 Depth=1
	s_or_b32 exec_lo, exec_lo, s16
.LBB411_1676:                           ;   in Loop: Header=BB411_808 Depth=1
	s_delay_alu instid0(SALU_CYCLE_1)
	s_or_b32 exec_lo, exec_lo, s15
.LBB411_1677:                           ;   in Loop: Header=BB411_808 Depth=1
	s_delay_alu instid0(SALU_CYCLE_1) | instskip(NEXT) | instid1(VALU_DEP_1)
	s_or_b32 exec_lo, exec_lo, s13
	v_mul_f32_e32 v6, v8, v6
                                        ; implicit-def: $vgpr42
	s_delay_alu instid0(VALU_DEP_1) | instskip(NEXT) | instid1(VALU_DEP_1)
	v_and_b32_e32 v7, 0x7f800000, v6
	v_cmp_ne_u32_e64 s1, 0x7f800000, v7
	s_delay_alu instid0(VALU_DEP_1) | instskip(NEXT) | instid1(SALU_CYCLE_1)
	s_and_saveexec_b32 s13, s1
	s_xor_b32 s1, exec_lo, s13
; %bb.1678:                             ;   in Loop: Header=BB411_808 Depth=1
	v_bfe_u32 v7, v6, 16, 1
	s_delay_alu instid0(VALU_DEP_1)
	v_add3_u32 v42, v6, v7, 0x7fff
                                        ; implicit-def: $vgpr6
; %bb.1679:                             ;   in Loop: Header=BB411_808 Depth=1
	s_and_not1_saveexec_b32 s13, s1
; %bb.1680:                             ;   in Loop: Header=BB411_808 Depth=1
	v_and_b32_e32 v7, 0xffff, v6
	v_or_b32_e32 v42, 0x10000, v6
	s_delay_alu instid0(VALU_DEP_2) | instskip(NEXT) | instid1(VALU_DEP_1)
	v_cmp_eq_u32_e64 s1, 0, v7
	v_cndmask_b32_e64 v42, v42, v6, s1
; %bb.1681:                             ;   in Loop: Header=BB411_808 Depth=1
	s_or_b32 exec_lo, exec_lo, s13
	v_lshrrev_b16 v7, 8, v9
	v_mov_b32_e32 v6, 0
	s_mov_b32 s13, exec_lo
	s_delay_alu instid0(VALU_DEP_2)
	v_cmpx_ne_u16_e32 0, v7
	s_cbranch_execz .LBB411_1689
; %bb.1682:                             ;   in Loop: Header=BB411_808 Depth=1
	v_bfrev_b32_e32 v6, 1
	s_mov_b32 s15, exec_lo
	v_cmpx_ne_u16_e32 0x80, v7
	s_cbranch_execz .LBB411_1688
; %bb.1683:                             ;   in Loop: Header=BB411_808 Depth=1
	v_and_b32_e32 v7, 0xffff, v7
	v_mov_b32_e32 v6, 0x7f800001
	s_mov_b32 s16, exec_lo
	s_delay_alu instid0(VALU_DEP_2) | instskip(NEXT) | instid1(VALU_DEP_1)
	v_and_b32_e32 v44, 0x7f, v7
	v_cmpx_ne_u32_e32 0x7f, v44
	s_cbranch_execz .LBB411_1687
; %bb.1684:                             ;   in Loop: Header=BB411_808 Depth=1
	v_dual_mov_b32 v7, v10 :: v_dual_and_b32 v6, 7, v7
	v_lshrrev_b32_e32 v43, 3, v44
	s_mov_b32 s17, exec_lo
	v_cmpx_gt_u32_e32 8, v44
; %bb.1685:                             ;   in Loop: Header=BB411_808 Depth=1
	s_delay_alu instid0(VALU_DEP_3) | instskip(NEXT) | instid1(VALU_DEP_1)
	v_clz_i32_u32_e32 v43, v6
	v_min_u32_e32 v43, 32, v43
	s_delay_alu instid0(VALU_DEP_1) | instskip(SKIP_1) | instid1(VALU_DEP_2)
	v_subrev_nc_u32_e32 v44, 28, v43
	v_sub_nc_u32_e32 v43, 29, v43
	v_lshlrev_b64 v[6:7], v44, v[6:7]
	s_delay_alu instid0(VALU_DEP_1)
	v_and_b32_e32 v6, 7, v6
; %bb.1686:                             ;   in Loop: Header=BB411_808 Depth=1
	s_or_b32 exec_lo, exec_lo, s17
	v_lshlrev_b32_e32 v7, 16, v9
	s_delay_alu instid0(VALU_DEP_2) | instskip(SKIP_1) | instid1(VALU_DEP_3)
	v_lshlrev_b32_e32 v6, 20, v6
	v_lshl_add_u32 v9, v43, 23, 0x3c000000
	v_and_b32_e32 v7, 0x80000000, v7
	s_delay_alu instid0(VALU_DEP_1)
	v_or3_b32 v6, v6, v7, v9
.LBB411_1687:                           ;   in Loop: Header=BB411_808 Depth=1
	s_or_b32 exec_lo, exec_lo, s16
.LBB411_1688:                           ;   in Loop: Header=BB411_808 Depth=1
	s_delay_alu instid0(SALU_CYCLE_1)
	s_or_b32 exec_lo, exec_lo, s15
.LBB411_1689:                           ;   in Loop: Header=BB411_808 Depth=1
	s_delay_alu instid0(SALU_CYCLE_1) | instskip(NEXT) | instid1(VALU_DEP_1)
	s_or_b32 exec_lo, exec_lo, s13
	v_mul_f32_e32 v7, v8, v6
	s_delay_alu instid0(VALU_DEP_1) | instskip(NEXT) | instid1(VALU_DEP_1)
	v_and_b32_e32 v6, 0x7f800000, v7
	v_cmp_ne_u32_e64 s1, 0x7f800000, v6
                                        ; implicit-def: $vgpr6
	s_delay_alu instid0(VALU_DEP_1) | instskip(NEXT) | instid1(SALU_CYCLE_1)
	s_and_saveexec_b32 s13, s1
	s_xor_b32 s1, exec_lo, s13
; %bb.1690:                             ;   in Loop: Header=BB411_808 Depth=1
	v_bfe_u32 v6, v7, 16, 1
	s_delay_alu instid0(VALU_DEP_1)
	v_add3_u32 v6, v7, v6, 0x7fff
                                        ; implicit-def: $vgpr7
; %bb.1691:                             ;   in Loop: Header=BB411_808 Depth=1
	s_and_not1_saveexec_b32 s13, s1
; %bb.1692:                             ;   in Loop: Header=BB411_808 Depth=1
	v_and_b32_e32 v6, 0xffff, v7
	v_or_b32_e32 v9, 0x10000, v7
	s_delay_alu instid0(VALU_DEP_2) | instskip(NEXT) | instid1(VALU_DEP_1)
	v_cmp_eq_u32_e64 s1, 0, v6
	v_cndmask_b32_e64 v6, v9, v7, s1
; %bb.1693:                             ;   in Loop: Header=BB411_808 Depth=1
	s_or_b32 exec_lo, exec_lo, s13
	v_lshrrev_b32_e32 v7, 16, v3
	v_mov_b32_e32 v9, 0
	s_mov_b32 s13, exec_lo
	s_delay_alu instid0(VALU_DEP_2) | instskip(NEXT) | instid1(VALU_DEP_1)
	v_and_b32_e32 v43, 0xff, v7
	v_cmpx_ne_u16_e32 0, v43
	s_cbranch_execz .LBB411_1701
; %bb.1694:                             ;   in Loop: Header=BB411_808 Depth=1
	v_bfrev_b32_e32 v9, 1
	s_mov_b32 s15, exec_lo
	v_cmpx_ne_u16_e32 0x80, v43
	s_cbranch_execz .LBB411_1700
; %bb.1695:                             ;   in Loop: Header=BB411_808 Depth=1
	v_bfe_u32 v44, v3, 16, 7
	v_mov_b32_e32 v9, 0x7f800001
	s_mov_b32 s16, exec_lo
	s_delay_alu instid0(VALU_DEP_2)
	v_cmpx_ne_u32_e32 0x7f, v44
	s_cbranch_execz .LBB411_1699
; %bb.1696:                             ;   in Loop: Header=BB411_808 Depth=1
	v_and_b32_e32 v9, 7, v7
	v_lshrrev_b32_e32 v43, 3, v44
	s_mov_b32 s17, exec_lo
	v_cmpx_gt_u32_e32 8, v44
; %bb.1697:                             ;   in Loop: Header=BB411_808 Depth=1
	s_delay_alu instid0(VALU_DEP_3) | instskip(NEXT) | instid1(VALU_DEP_1)
	v_clz_i32_u32_e32 v43, v9
	v_min_u32_e32 v43, 32, v43
	s_delay_alu instid0(VALU_DEP_1) | instskip(SKIP_1) | instid1(VALU_DEP_2)
	v_subrev_nc_u32_e32 v44, 28, v43
	v_sub_nc_u32_e32 v43, 29, v43
	v_lshlrev_b64 v[44:45], v44, v[9:10]
	s_delay_alu instid0(VALU_DEP_1)
	v_and_b32_e32 v9, 7, v44
; %bb.1698:                             ;   in Loop: Header=BB411_808 Depth=1
	s_or_b32 exec_lo, exec_lo, s17
	v_lshlrev_b32_e32 v7, 24, v7
	s_delay_alu instid0(VALU_DEP_2) | instskip(SKIP_1) | instid1(VALU_DEP_3)
	v_lshlrev_b32_e32 v9, 20, v9
	v_lshl_add_u32 v43, v43, 23, 0x3c000000
	v_and_b32_e32 v7, 0x80000000, v7
	s_delay_alu instid0(VALU_DEP_1)
	v_or3_b32 v9, v9, v7, v43
.LBB411_1699:                           ;   in Loop: Header=BB411_808 Depth=1
	s_or_b32 exec_lo, exec_lo, s16
.LBB411_1700:                           ;   in Loop: Header=BB411_808 Depth=1
	s_delay_alu instid0(SALU_CYCLE_1)
	s_or_b32 exec_lo, exec_lo, s15
.LBB411_1701:                           ;   in Loop: Header=BB411_808 Depth=1
	s_delay_alu instid0(SALU_CYCLE_1) | instskip(NEXT) | instid1(VALU_DEP_1)
	s_or_b32 exec_lo, exec_lo, s13
	v_mul_f32_e32 v9, v8, v9
	s_delay_alu instid0(VALU_DEP_1) | instskip(NEXT) | instid1(VALU_DEP_1)
	v_and_b32_e32 v7, 0x7f800000, v9
	v_cmp_ne_u32_e64 s1, 0x7f800000, v7
                                        ; implicit-def: $vgpr7
	s_delay_alu instid0(VALU_DEP_1) | instskip(NEXT) | instid1(SALU_CYCLE_1)
	s_and_saveexec_b32 s13, s1
	s_xor_b32 s1, exec_lo, s13
; %bb.1702:                             ;   in Loop: Header=BB411_808 Depth=1
	v_bfe_u32 v7, v9, 16, 1
	s_delay_alu instid0(VALU_DEP_1)
	v_add3_u32 v7, v9, v7, 0x7fff
                                        ; implicit-def: $vgpr9
; %bb.1703:                             ;   in Loop: Header=BB411_808 Depth=1
	s_and_not1_saveexec_b32 s13, s1
; %bb.1704:                             ;   in Loop: Header=BB411_808 Depth=1
	v_and_b32_e32 v7, 0xffff, v9
	v_or_b32_e32 v43, 0x10000, v9
	s_delay_alu instid0(VALU_DEP_2) | instskip(NEXT) | instid1(VALU_DEP_1)
	v_cmp_eq_u32_e64 s1, 0, v7
	v_cndmask_b32_e64 v7, v43, v9, s1
; %bb.1705:                             ;   in Loop: Header=BB411_808 Depth=1
	s_or_b32 exec_lo, exec_lo, s13
	v_mov_b32_e32 v9, 0
	s_mov_b32 s13, exec_lo
	v_cmpx_lt_u64_e64 s[4:5], v[2:3]
	s_cbranch_execz .LBB411_1713
; %bb.1706:                             ;   in Loop: Header=BB411_808 Depth=1
	v_lshrrev_b32_e32 v2, 24, v3
	v_bfrev_b32_e32 v9, 1
	s_mov_b32 s15, exec_lo
	s_delay_alu instid0(VALU_DEP_2)
	v_cmpx_ne_u32_e32 0x80, v2
	s_cbranch_execz .LBB411_1712
; %bb.1707:                             ;   in Loop: Header=BB411_808 Depth=1
	v_bfe_u32 v43, v3, 24, 7
	v_mov_b32_e32 v9, 0x7f800001
	s_mov_b32 s16, exec_lo
	s_delay_alu instid0(VALU_DEP_2)
	v_cmpx_ne_u32_e32 0x7f, v43
	s_cbranch_execz .LBB411_1711
; %bb.1708:                             ;   in Loop: Header=BB411_808 Depth=1
	v_and_b32_e32 v9, 7, v2
	v_lshrrev_b32_e32 v3, 3, v43
	s_mov_b32 s17, exec_lo
	v_cmpx_gt_u32_e32 8, v43
; %bb.1709:                             ;   in Loop: Header=BB411_808 Depth=1
	s_delay_alu instid0(VALU_DEP_3) | instskip(NEXT) | instid1(VALU_DEP_1)
	v_clz_i32_u32_e32 v3, v9
	v_min_u32_e32 v3, 32, v3
	s_delay_alu instid0(VALU_DEP_1) | instskip(SKIP_1) | instid1(VALU_DEP_2)
	v_subrev_nc_u32_e32 v43, 28, v3
	v_sub_nc_u32_e32 v3, 29, v3
	v_lshlrev_b64 v[43:44], v43, v[9:10]
	s_delay_alu instid0(VALU_DEP_1)
	v_and_b32_e32 v9, 7, v43
; %bb.1710:                             ;   in Loop: Header=BB411_808 Depth=1
	s_or_b32 exec_lo, exec_lo, s17
	v_lshlrev_b32_e32 v2, 24, v2
	s_delay_alu instid0(VALU_DEP_2) | instskip(SKIP_1) | instid1(VALU_DEP_3)
	v_lshlrev_b32_e32 v9, 20, v9
	v_lshl_add_u32 v3, v3, 23, 0x3c000000
	v_and_b32_e32 v2, 0x80000000, v2
	s_delay_alu instid0(VALU_DEP_1)
	v_or3_b32 v9, v9, v2, v3
.LBB411_1711:                           ;   in Loop: Header=BB411_808 Depth=1
	s_or_b32 exec_lo, exec_lo, s16
.LBB411_1712:                           ;   in Loop: Header=BB411_808 Depth=1
	s_delay_alu instid0(SALU_CYCLE_1)
	s_or_b32 exec_lo, exec_lo, s15
.LBB411_1713:                           ;   in Loop: Header=BB411_808 Depth=1
	s_delay_alu instid0(SALU_CYCLE_1) | instskip(NEXT) | instid1(VALU_DEP_1)
	s_or_b32 exec_lo, exec_lo, s13
	v_mul_f32_e32 v3, v8, v9
	s_delay_alu instid0(VALU_DEP_1) | instskip(NEXT) | instid1(VALU_DEP_1)
	v_and_b32_e32 v2, 0x7f800000, v3
	v_cmp_ne_u32_e64 s1, 0x7f800000, v2
                                        ; implicit-def: $vgpr2
	s_delay_alu instid0(VALU_DEP_1) | instskip(NEXT) | instid1(SALU_CYCLE_1)
	s_and_saveexec_b32 s13, s1
	s_xor_b32 s1, exec_lo, s13
; %bb.1714:                             ;   in Loop: Header=BB411_808 Depth=1
	v_bfe_u32 v2, v3, 16, 1
	s_delay_alu instid0(VALU_DEP_1)
	v_add3_u32 v2, v3, v2, 0x7fff
                                        ; implicit-def: $vgpr3
; %bb.1715:                             ;   in Loop: Header=BB411_808 Depth=1
	s_and_not1_saveexec_b32 s13, s1
; %bb.1716:                             ;   in Loop: Header=BB411_808 Depth=1
	v_and_b32_e32 v2, 0xffff, v3
	v_or_b32_e32 v9, 0x10000, v3
	s_delay_alu instid0(VALU_DEP_2) | instskip(NEXT) | instid1(VALU_DEP_1)
	v_cmp_eq_u32_e64 s1, 0, v2
	v_cndmask_b32_e64 v2, v9, v3, s1
; %bb.1717:                             ;   in Loop: Header=BB411_808 Depth=1
	s_or_b32 exec_lo, exec_lo, s13
	v_lshrrev_b32_e32 v9, 16, v6
	v_lshrrev_b32_e32 v42, 16, v42
	;; [unrolled: 1-line block ×8, first 2 shown]
	s_and_saveexec_b32 s13, vcc_lo
	s_cbranch_execz .LBB411_1719
; %bb.1718:                             ;   in Loop: Header=BB411_808 Depth=1
	v_cmp_lt_i32_e64 s1, v53, v83
	s_delay_alu instid0(VALU_DEP_1) | instskip(SKIP_1) | instid1(VALU_DEP_1)
	v_cndmask_b32_e64 v6, 0, v6, s1
	v_cmp_lt_i32_e64 s1, v69, v83
	v_cndmask_b32_e64 v183, 0, v183, s1
	v_cmp_lt_i32_e64 s1, v68, v83
	s_delay_alu instid0(VALU_DEP_1) | instskip(SKIP_1) | instid1(VALU_DEP_1)
	v_cndmask_b32_e64 v40, 0, v40, s1
	v_cmp_lt_i32_e64 s1, v67, v83
	v_cndmask_b32_e64 v41, 0, v41, s1
	;; [unrolled: 5-line block ×4, first 2 shown]
.LBB411_1719:                           ;   in Loop: Header=BB411_808 Depth=1
	s_or_b32 exec_lo, exec_lo, s13
	v_lshlrev_b32_e32 v6, 16, v6
	s_delay_alu instid0(VALU_DEP_1) | instskip(NEXT) | instid1(VALU_DEP_1)
	v_mul_f32_e32 v7, v70, v6
	v_and_b32_e32 v6, 0x7f800000, v7
	s_delay_alu instid0(VALU_DEP_1) | instskip(NEXT) | instid1(VALU_DEP_1)
	v_cmp_ne_u32_e64 s1, 0x7f800000, v6
                                        ; implicit-def: $vgpr6
	s_and_saveexec_b32 s13, s1
	s_delay_alu instid0(SALU_CYCLE_1)
	s_xor_b32 s1, exec_lo, s13
; %bb.1720:                             ;   in Loop: Header=BB411_808 Depth=1
	v_bfe_u32 v6, v7, 16, 1
	s_delay_alu instid0(VALU_DEP_1)
	v_add3_u32 v6, v7, v6, 0x7fff
                                        ; implicit-def: $vgpr7
; %bb.1721:                             ;   in Loop: Header=BB411_808 Depth=1
	s_and_not1_saveexec_b32 s13, s1
; %bb.1722:                             ;   in Loop: Header=BB411_808 Depth=1
	v_and_b32_e32 v6, 0xffff, v7
	v_or_b32_e32 v182, 0x10000, v7
	s_delay_alu instid0(VALU_DEP_2) | instskip(NEXT) | instid1(VALU_DEP_1)
	v_cmp_eq_u32_e64 s1, 0, v6
	v_cndmask_b32_e64 v6, v182, v7, s1
; %bb.1723:                             ;   in Loop: Header=BB411_808 Depth=1
	s_or_b32 exec_lo, exec_lo, s13
	v_lshlrev_b32_e32 v7, 16, v183
	s_delay_alu instid0(VALU_DEP_1) | instskip(NEXT) | instid1(VALU_DEP_1)
	v_mul_f32_e32 v182, v71, v7
	v_and_b32_e32 v7, 0x7f800000, v182
	s_delay_alu instid0(VALU_DEP_1) | instskip(NEXT) | instid1(VALU_DEP_1)
	v_cmp_ne_u32_e64 s1, 0x7f800000, v7
                                        ; implicit-def: $vgpr7
	s_and_saveexec_b32 s13, s1
	s_delay_alu instid0(SALU_CYCLE_1)
	s_xor_b32 s1, exec_lo, s13
; %bb.1724:                             ;   in Loop: Header=BB411_808 Depth=1
	v_bfe_u32 v7, v182, 16, 1
	s_delay_alu instid0(VALU_DEP_1)
	v_add3_u32 v7, v182, v7, 0x7fff
                                        ; implicit-def: $vgpr182
; %bb.1725:                             ;   in Loop: Header=BB411_808 Depth=1
	s_and_not1_saveexec_b32 s13, s1
; %bb.1726:                             ;   in Loop: Header=BB411_808 Depth=1
	v_and_b32_e32 v7, 0xffff, v182
	v_or_b32_e32 v183, 0x10000, v182
	s_delay_alu instid0(VALU_DEP_2) | instskip(NEXT) | instid1(VALU_DEP_1)
	v_cmp_eq_u32_e64 s1, 0, v7
	v_cndmask_b32_e64 v7, v183, v182, s1
; %bb.1727:                             ;   in Loop: Header=BB411_808 Depth=1
	s_or_b32 exec_lo, exec_lo, s13
	v_lshlrev_b32_e32 v182, 16, v40
	s_delay_alu instid0(VALU_DEP_1) | instskip(NEXT) | instid1(VALU_DEP_1)
	v_mul_f32_e32 v183, v80, v182
	v_and_b32_e32 v182, 0x7f800000, v183
	s_delay_alu instid0(VALU_DEP_1) | instskip(NEXT) | instid1(VALU_DEP_1)
	v_cmp_ne_u32_e64 s1, 0x7f800000, v182
                                        ; implicit-def: $vgpr182
	s_and_saveexec_b32 s13, s1
	s_delay_alu instid0(SALU_CYCLE_1)
	s_xor_b32 s1, exec_lo, s13
; %bb.1728:                             ;   in Loop: Header=BB411_808 Depth=1
	v_bfe_u32 v182, v183, 16, 1
	s_delay_alu instid0(VALU_DEP_1)
	v_add3_u32 v182, v183, v182, 0x7fff
                                        ; implicit-def: $vgpr183
; %bb.1729:                             ;   in Loop: Header=BB411_808 Depth=1
	s_and_not1_saveexec_b32 s13, s1
; %bb.1730:                             ;   in Loop: Header=BB411_808 Depth=1
	v_and_b32_e32 v182, 0xffff, v183
	v_or_b32_e32 v40, 0x10000, v183
	s_delay_alu instid0(VALU_DEP_2) | instskip(NEXT) | instid1(VALU_DEP_1)
	v_cmp_eq_u32_e64 s1, 0, v182
	v_cndmask_b32_e64 v182, v40, v183, s1
; %bb.1731:                             ;   in Loop: Header=BB411_808 Depth=1
	s_or_b32 exec_lo, exec_lo, s13
	v_lshlrev_b32_e32 v183, 16, v41
	s_delay_alu instid0(VALU_DEP_1) | instskip(NEXT) | instid1(VALU_DEP_1)
	v_mul_f32_e32 v40, v81, v183
	v_and_b32_e32 v183, 0x7f800000, v40
	s_delay_alu instid0(VALU_DEP_1) | instskip(NEXT) | instid1(VALU_DEP_1)
	v_cmp_ne_u32_e64 s1, 0x7f800000, v183
                                        ; implicit-def: $vgpr183
	s_and_saveexec_b32 s13, s1
	s_delay_alu instid0(SALU_CYCLE_1)
	s_xor_b32 s1, exec_lo, s13
; %bb.1732:                             ;   in Loop: Header=BB411_808 Depth=1
	v_bfe_u32 v183, v40, 16, 1
	s_delay_alu instid0(VALU_DEP_1)
	v_add3_u32 v183, v40, v183, 0x7fff
                                        ; implicit-def: $vgpr40
; %bb.1733:                             ;   in Loop: Header=BB411_808 Depth=1
	s_and_not1_saveexec_b32 s13, s1
; %bb.1734:                             ;   in Loop: Header=BB411_808 Depth=1
	v_and_b32_e32 v183, 0xffff, v40
	v_or_b32_e32 v41, 0x10000, v40
	s_delay_alu instid0(VALU_DEP_2) | instskip(NEXT) | instid1(VALU_DEP_1)
	v_cmp_eq_u32_e64 s1, 0, v183
	v_cndmask_b32_e64 v183, v41, v40, s1
; %bb.1735:                             ;   in Loop: Header=BB411_808 Depth=1
	s_or_b32 exec_lo, exec_lo, s13
	v_lshlrev_b32_e32 v40, 16, v42
	s_delay_alu instid0(VALU_DEP_1) | instskip(NEXT) | instid1(VALU_DEP_1)
	v_mul_f32_e32 v41, v98, v40
	v_and_b32_e32 v40, 0x7f800000, v41
	s_delay_alu instid0(VALU_DEP_1) | instskip(NEXT) | instid1(VALU_DEP_1)
	v_cmp_ne_u32_e64 s1, 0x7f800000, v40
                                        ; implicit-def: $vgpr40
	s_and_saveexec_b32 s13, s1
	s_delay_alu instid0(SALU_CYCLE_1)
	s_xor_b32 s1, exec_lo, s13
; %bb.1736:                             ;   in Loop: Header=BB411_808 Depth=1
	v_bfe_u32 v40, v41, 16, 1
	s_delay_alu instid0(VALU_DEP_1)
	v_add3_u32 v40, v41, v40, 0x7fff
                                        ; implicit-def: $vgpr41
; %bb.1737:                             ;   in Loop: Header=BB411_808 Depth=1
	s_and_not1_saveexec_b32 s13, s1
; %bb.1738:                             ;   in Loop: Header=BB411_808 Depth=1
	v_and_b32_e32 v40, 0xffff, v41
	v_or_b32_e32 v42, 0x10000, v41
	s_delay_alu instid0(VALU_DEP_2) | instskip(NEXT) | instid1(VALU_DEP_1)
	v_cmp_eq_u32_e64 s1, 0, v40
	v_cndmask_b32_e64 v40, v42, v41, s1
; %bb.1739:                             ;   in Loop: Header=BB411_808 Depth=1
	s_or_b32 exec_lo, exec_lo, s13
	v_lshlrev_b32_e32 v9, 16, v9
	s_delay_alu instid0(VALU_DEP_1) | instskip(NEXT) | instid1(VALU_DEP_1)
	v_mul_f32_e32 v9, v99, v9
	v_and_b32_e32 v41, 0x7f800000, v9
	s_delay_alu instid0(VALU_DEP_1) | instskip(NEXT) | instid1(VALU_DEP_1)
	v_cmp_ne_u32_e64 s1, 0x7f800000, v41
                                        ; implicit-def: $vgpr41
	s_and_saveexec_b32 s13, s1
	s_delay_alu instid0(SALU_CYCLE_1)
	s_xor_b32 s1, exec_lo, s13
; %bb.1740:                             ;   in Loop: Header=BB411_808 Depth=1
	v_bfe_u32 v41, v9, 16, 1
	s_delay_alu instid0(VALU_DEP_1)
	v_add3_u32 v41, v9, v41, 0x7fff
                                        ; implicit-def: $vgpr9
; %bb.1741:                             ;   in Loop: Header=BB411_808 Depth=1
	s_and_not1_saveexec_b32 s13, s1
; %bb.1742:                             ;   in Loop: Header=BB411_808 Depth=1
	v_and_b32_e32 v41, 0xffff, v9
	v_or_b32_e32 v42, 0x10000, v9
	s_delay_alu instid0(VALU_DEP_2) | instskip(NEXT) | instid1(VALU_DEP_1)
	v_cmp_eq_u32_e64 s1, 0, v41
	v_cndmask_b32_e64 v41, v42, v9, s1
; %bb.1743:                             ;   in Loop: Header=BB411_808 Depth=1
	s_or_b32 exec_lo, exec_lo, s13
	v_lshlrev_b32_e32 v3, 16, v3
                                        ; implicit-def: $vgpr42
	s_delay_alu instid0(VALU_DEP_1) | instskip(NEXT) | instid1(VALU_DEP_1)
	v_mul_f32_e32 v3, v100, v3
	v_and_b32_e32 v9, 0x7f800000, v3
	s_delay_alu instid0(VALU_DEP_1) | instskip(NEXT) | instid1(VALU_DEP_1)
	v_cmp_ne_u32_e64 s1, 0x7f800000, v9
	s_and_saveexec_b32 s13, s1
	s_delay_alu instid0(SALU_CYCLE_1)
	s_xor_b32 s1, exec_lo, s13
; %bb.1744:                             ;   in Loop: Header=BB411_808 Depth=1
	v_bfe_u32 v9, v3, 16, 1
	s_delay_alu instid0(VALU_DEP_1)
	v_add3_u32 v42, v3, v9, 0x7fff
                                        ; implicit-def: $vgpr3
; %bb.1745:                             ;   in Loop: Header=BB411_808 Depth=1
	s_and_not1_saveexec_b32 s13, s1
; %bb.1746:                             ;   in Loop: Header=BB411_808 Depth=1
	v_and_b32_e32 v9, 0xffff, v3
	v_or_b32_e32 v42, 0x10000, v3
	s_delay_alu instid0(VALU_DEP_2) | instskip(NEXT) | instid1(VALU_DEP_1)
	v_cmp_eq_u32_e64 s1, 0, v9
	v_cndmask_b32_e64 v42, v42, v3, s1
; %bb.1747:                             ;   in Loop: Header=BB411_808 Depth=1
	s_or_b32 exec_lo, exec_lo, s13
	v_lshlrev_b32_e32 v2, 16, v2
                                        ; implicit-def: $vgpr43
	s_delay_alu instid0(VALU_DEP_1) | instskip(NEXT) | instid1(VALU_DEP_1)
	v_mul_f32_e32 v2, v101, v2
	v_and_b32_e32 v3, 0x7f800000, v2
	s_delay_alu instid0(VALU_DEP_1) | instskip(NEXT) | instid1(VALU_DEP_1)
	v_cmp_ne_u32_e64 s1, 0x7f800000, v3
	s_and_saveexec_b32 s13, s1
	s_delay_alu instid0(SALU_CYCLE_1)
	s_xor_b32 s1, exec_lo, s13
; %bb.1748:                             ;   in Loop: Header=BB411_808 Depth=1
	v_bfe_u32 v3, v2, 16, 1
	s_delay_alu instid0(VALU_DEP_1)
	v_add3_u32 v43, v2, v3, 0x7fff
                                        ; implicit-def: $vgpr2
; %bb.1749:                             ;   in Loop: Header=BB411_808 Depth=1
	s_and_not1_saveexec_b32 s13, s1
; %bb.1750:                             ;   in Loop: Header=BB411_808 Depth=1
	v_and_b32_e32 v3, 0xffff, v2
	v_or_b32_e32 v9, 0x10000, v2
	s_delay_alu instid0(VALU_DEP_2) | instskip(NEXT) | instid1(VALU_DEP_1)
	v_cmp_eq_u32_e64 s1, 0, v3
	v_cndmask_b32_e64 v43, v9, v2, s1
; %bb.1751:                             ;   in Loop: Header=BB411_808 Depth=1
	s_or_b32 exec_lo, exec_lo, s13
	flat_load_b64 v[0:1], v[0:1] offset:1792
	s_mov_b32 s13, exec_lo
	s_waitcnt vmcnt(0) lgkmcnt(0)
	v_dual_mov_b32 v2, 0 :: v_dual_and_b32 v3, 0xff, v0
	s_delay_alu instid0(VALU_DEP_1)
	v_cmpx_ne_u16_e32 0, v3
	s_cbranch_execz .LBB411_1759
; %bb.1752:                             ;   in Loop: Header=BB411_808 Depth=1
	v_bfrev_b32_e32 v2, 1
	s_mov_b32 s15, exec_lo
	v_cmpx_ne_u16_e32 0x80, v3
	s_cbranch_execz .LBB411_1758
; %bb.1753:                             ;   in Loop: Header=BB411_808 Depth=1
	v_and_b32_e32 v3, 0x7f, v0
	v_mov_b32_e32 v2, 0x7f800001
	s_mov_b32 s16, exec_lo
	s_delay_alu instid0(VALU_DEP_2)
	v_cmpx_ne_u32_e32 0x7f, v3
	s_cbranch_execz .LBB411_1757
; %bb.1754:                             ;   in Loop: Header=BB411_808 Depth=1
	v_lshrrev_b32_e32 v9, 3, v3
	v_cmp_gt_u32_e64 s1, 8, v3
	v_dual_mov_b32 v3, v1 :: v_dual_mov_b32 v2, v0
	s_delay_alu instid0(VALU_DEP_2)
	s_and_saveexec_b32 s17, s1
; %bb.1755:                             ;   in Loop: Header=BB411_808 Depth=1
	v_and_b32_e32 v2, 7, v0
	s_delay_alu instid0(VALU_DEP_1) | instskip(NEXT) | instid1(VALU_DEP_1)
	v_clz_i32_u32_e32 v2, v2
	v_min_u32_e32 v9, 32, v2
	s_delay_alu instid0(VALU_DEP_1) | instskip(SKIP_1) | instid1(VALU_DEP_2)
	v_subrev_nc_u32_e32 v2, 28, v9
	v_sub_nc_u32_e32 v9, 29, v9
	v_lshlrev_b64 v[2:3], v2, v[0:1]
; %bb.1756:                             ;   in Loop: Header=BB411_808 Depth=1
	s_or_b32 exec_lo, exec_lo, s17
	s_delay_alu instid0(VALU_DEP_1) | instskip(SKIP_2) | instid1(VALU_DEP_3)
	v_lshlrev_b32_e32 v2, 20, v2
	v_lshlrev_b32_e32 v3, 24, v0
	v_lshl_add_u32 v9, v9, 23, 0x3c000000
	v_and_b32_e32 v2, 0x700000, v2
	s_delay_alu instid0(VALU_DEP_3) | instskip(NEXT) | instid1(VALU_DEP_1)
	v_and_b32_e32 v3, 0x80000000, v3
	v_or3_b32 v2, v2, v3, v9
.LBB411_1757:                           ;   in Loop: Header=BB411_808 Depth=1
	s_or_b32 exec_lo, exec_lo, s16
.LBB411_1758:                           ;   in Loop: Header=BB411_808 Depth=1
	s_delay_alu instid0(SALU_CYCLE_1)
	s_or_b32 exec_lo, exec_lo, s15
.LBB411_1759:                           ;   in Loop: Header=BB411_808 Depth=1
	s_delay_alu instid0(SALU_CYCLE_1) | instskip(NEXT) | instid1(VALU_DEP_1)
	s_or_b32 exec_lo, exec_lo, s13
	v_mul_f32_e32 v2, v8, v2
                                        ; implicit-def: $vgpr44
	s_delay_alu instid0(VALU_DEP_1) | instskip(NEXT) | instid1(VALU_DEP_1)
	v_and_b32_e32 v3, 0x7f800000, v2
	v_cmp_ne_u32_e64 s1, 0x7f800000, v3
	s_delay_alu instid0(VALU_DEP_1) | instskip(NEXT) | instid1(SALU_CYCLE_1)
	s_and_saveexec_b32 s13, s1
	s_xor_b32 s1, exec_lo, s13
; %bb.1760:                             ;   in Loop: Header=BB411_808 Depth=1
	v_bfe_u32 v3, v2, 16, 1
	s_delay_alu instid0(VALU_DEP_1)
	v_add3_u32 v44, v2, v3, 0x7fff
                                        ; implicit-def: $vgpr2
; %bb.1761:                             ;   in Loop: Header=BB411_808 Depth=1
	s_and_not1_saveexec_b32 s13, s1
; %bb.1762:                             ;   in Loop: Header=BB411_808 Depth=1
	v_and_b32_e32 v3, 0xffff, v2
	v_or_b32_e32 v9, 0x10000, v2
	s_delay_alu instid0(VALU_DEP_2) | instskip(NEXT) | instid1(VALU_DEP_1)
	v_cmp_eq_u32_e64 s1, 0, v3
	v_cndmask_b32_e64 v44, v9, v2, s1
; %bb.1763:                             ;   in Loop: Header=BB411_808 Depth=1
	s_or_b32 exec_lo, exec_lo, s13
	v_lshrrev_b16 v3, 8, v0
	v_mov_b32_e32 v2, 0
	s_mov_b32 s13, exec_lo
	s_delay_alu instid0(VALU_DEP_2)
	v_cmpx_ne_u16_e32 0, v3
	s_cbranch_execz .LBB411_1771
; %bb.1764:                             ;   in Loop: Header=BB411_808 Depth=1
	v_bfrev_b32_e32 v2, 1
	s_mov_b32 s15, exec_lo
	v_cmpx_ne_u16_e32 0x80, v3
	s_cbranch_execz .LBB411_1770
; %bb.1765:                             ;   in Loop: Header=BB411_808 Depth=1
	v_and_b32_e32 v9, 0xffff, v3
	v_mov_b32_e32 v2, 0x7f800001
	s_mov_b32 s16, exec_lo
	s_delay_alu instid0(VALU_DEP_2) | instskip(NEXT) | instid1(VALU_DEP_1)
	v_and_b32_e32 v3, 0x7f, v9
	v_cmpx_ne_u32_e32 0x7f, v3
	s_cbranch_execz .LBB411_1769
; %bb.1766:                             ;   in Loop: Header=BB411_808 Depth=1
	v_and_b32_e32 v9, 7, v9
	v_lshrrev_b32_e32 v2, 3, v3
	s_mov_b32 s17, exec_lo
	v_cmpx_gt_u32_e32 8, v3
; %bb.1767:                             ;   in Loop: Header=BB411_808 Depth=1
	s_delay_alu instid0(VALU_DEP_3) | instskip(NEXT) | instid1(VALU_DEP_1)
	v_clz_i32_u32_e32 v2, v9
	v_min_u32_e32 v2, 32, v2
	s_delay_alu instid0(VALU_DEP_1) | instskip(SKIP_1) | instid1(VALU_DEP_2)
	v_subrev_nc_u32_e32 v3, 28, v2
	v_sub_nc_u32_e32 v2, 29, v2
	v_lshlrev_b64 v[45:46], v3, v[9:10]
	s_delay_alu instid0(VALU_DEP_1)
	v_and_b32_e32 v9, 7, v45
; %bb.1768:                             ;   in Loop: Header=BB411_808 Depth=1
	s_or_b32 exec_lo, exec_lo, s17
	v_lshlrev_b32_e32 v3, 16, v0
	s_delay_alu instid0(VALU_DEP_2) | instskip(SKIP_1) | instid1(VALU_DEP_3)
	v_lshlrev_b32_e32 v9, 20, v9
	v_lshl_add_u32 v2, v2, 23, 0x3c000000
	v_and_b32_e32 v3, 0x80000000, v3
	s_delay_alu instid0(VALU_DEP_1)
	v_or3_b32 v2, v9, v3, v2
.LBB411_1769:                           ;   in Loop: Header=BB411_808 Depth=1
	s_or_b32 exec_lo, exec_lo, s16
.LBB411_1770:                           ;   in Loop: Header=BB411_808 Depth=1
	s_delay_alu instid0(SALU_CYCLE_1)
	s_or_b32 exec_lo, exec_lo, s15
.LBB411_1771:                           ;   in Loop: Header=BB411_808 Depth=1
	s_delay_alu instid0(SALU_CYCLE_1) | instskip(NEXT) | instid1(VALU_DEP_1)
	s_or_b32 exec_lo, exec_lo, s13
	v_mul_f32_e32 v2, v8, v2
                                        ; implicit-def: $vgpr45
	s_delay_alu instid0(VALU_DEP_1) | instskip(NEXT) | instid1(VALU_DEP_1)
	v_and_b32_e32 v3, 0x7f800000, v2
	v_cmp_ne_u32_e64 s1, 0x7f800000, v3
	s_delay_alu instid0(VALU_DEP_1) | instskip(NEXT) | instid1(SALU_CYCLE_1)
	s_and_saveexec_b32 s13, s1
	s_xor_b32 s1, exec_lo, s13
; %bb.1772:                             ;   in Loop: Header=BB411_808 Depth=1
	v_bfe_u32 v3, v2, 16, 1
	s_delay_alu instid0(VALU_DEP_1)
	v_add3_u32 v45, v2, v3, 0x7fff
                                        ; implicit-def: $vgpr2
; %bb.1773:                             ;   in Loop: Header=BB411_808 Depth=1
	s_and_not1_saveexec_b32 s13, s1
; %bb.1774:                             ;   in Loop: Header=BB411_808 Depth=1
	v_and_b32_e32 v3, 0xffff, v2
	v_or_b32_e32 v9, 0x10000, v2
	s_delay_alu instid0(VALU_DEP_2) | instskip(NEXT) | instid1(VALU_DEP_1)
	v_cmp_eq_u32_e64 s1, 0, v3
	v_cndmask_b32_e64 v45, v9, v2, s1
; %bb.1775:                             ;   in Loop: Header=BB411_808 Depth=1
	s_or_b32 exec_lo, exec_lo, s13
	v_lshrrev_b32_e32 v2, 16, v0
	v_mov_b32_e32 v3, 0
	s_mov_b32 s13, exec_lo
	s_delay_alu instid0(VALU_DEP_2) | instskip(NEXT) | instid1(VALU_DEP_1)
	v_and_b32_e32 v9, 0xff, v2
	v_cmpx_ne_u16_e32 0, v9
	s_cbranch_execz .LBB411_1783
; %bb.1776:                             ;   in Loop: Header=BB411_808 Depth=1
	v_bfrev_b32_e32 v3, 1
	s_mov_b32 s15, exec_lo
	v_cmpx_ne_u16_e32 0x80, v9
	s_cbranch_execz .LBB411_1782
; %bb.1777:                             ;   in Loop: Header=BB411_808 Depth=1
	v_bfe_u32 v46, v0, 16, 7
	v_mov_b32_e32 v3, 0x7f800001
	s_mov_b32 s16, exec_lo
	s_delay_alu instid0(VALU_DEP_2)
	v_cmpx_ne_u32_e32 0x7f, v46
	s_cbranch_execz .LBB411_1781
; %bb.1778:                             ;   in Loop: Header=BB411_808 Depth=1
	v_and_b32_e32 v9, 7, v2
	v_lshrrev_b32_e32 v3, 3, v46
	s_mov_b32 s17, exec_lo
	v_cmpx_gt_u32_e32 8, v46
; %bb.1779:                             ;   in Loop: Header=BB411_808 Depth=1
	s_delay_alu instid0(VALU_DEP_3) | instskip(NEXT) | instid1(VALU_DEP_1)
	v_clz_i32_u32_e32 v3, v9
	v_min_u32_e32 v3, 32, v3
	s_delay_alu instid0(VALU_DEP_1) | instskip(SKIP_1) | instid1(VALU_DEP_2)
	v_subrev_nc_u32_e32 v46, 28, v3
	v_sub_nc_u32_e32 v3, 29, v3
	v_lshlrev_b64 v[46:47], v46, v[9:10]
	s_delay_alu instid0(VALU_DEP_1)
	v_and_b32_e32 v9, 7, v46
; %bb.1780:                             ;   in Loop: Header=BB411_808 Depth=1
	s_or_b32 exec_lo, exec_lo, s17
	v_lshlrev_b32_e32 v2, 24, v2
	s_delay_alu instid0(VALU_DEP_2) | instskip(SKIP_1) | instid1(VALU_DEP_3)
	v_lshlrev_b32_e32 v9, 20, v9
	v_lshl_add_u32 v3, v3, 23, 0x3c000000
	v_and_b32_e32 v2, 0x80000000, v2
	s_delay_alu instid0(VALU_DEP_1)
	v_or3_b32 v3, v9, v2, v3
.LBB411_1781:                           ;   in Loop: Header=BB411_808 Depth=1
	s_or_b32 exec_lo, exec_lo, s16
.LBB411_1782:                           ;   in Loop: Header=BB411_808 Depth=1
	s_delay_alu instid0(SALU_CYCLE_1)
	s_or_b32 exec_lo, exec_lo, s15
.LBB411_1783:                           ;   in Loop: Header=BB411_808 Depth=1
	s_delay_alu instid0(SALU_CYCLE_1) | instskip(NEXT) | instid1(VALU_DEP_1)
	s_or_b32 exec_lo, exec_lo, s13
	v_mul_f32_e32 v2, v8, v3
                                        ; implicit-def: $vgpr46
	s_delay_alu instid0(VALU_DEP_1) | instskip(NEXT) | instid1(VALU_DEP_1)
	v_and_b32_e32 v3, 0x7f800000, v2
	v_cmp_ne_u32_e64 s1, 0x7f800000, v3
	s_delay_alu instid0(VALU_DEP_1) | instskip(NEXT) | instid1(SALU_CYCLE_1)
	s_and_saveexec_b32 s13, s1
	s_xor_b32 s1, exec_lo, s13
; %bb.1784:                             ;   in Loop: Header=BB411_808 Depth=1
	v_bfe_u32 v3, v2, 16, 1
	s_delay_alu instid0(VALU_DEP_1)
	v_add3_u32 v46, v2, v3, 0x7fff
                                        ; implicit-def: $vgpr2
; %bb.1785:                             ;   in Loop: Header=BB411_808 Depth=1
	s_and_not1_saveexec_b32 s13, s1
; %bb.1786:                             ;   in Loop: Header=BB411_808 Depth=1
	v_and_b32_e32 v3, 0xffff, v2
	v_or_b32_e32 v9, 0x10000, v2
	s_delay_alu instid0(VALU_DEP_2) | instskip(NEXT) | instid1(VALU_DEP_1)
	v_cmp_eq_u32_e64 s1, 0, v3
	v_cndmask_b32_e64 v46, v9, v2, s1
; %bb.1787:                             ;   in Loop: Header=BB411_808 Depth=1
	s_or_b32 exec_lo, exec_lo, s13
	v_mov_b32_e32 v3, 0
	s_mov_b32 s13, exec_lo
	v_cmpx_lt_u32_e32 0xffffff, v0
	s_cbranch_execz .LBB411_1795
; %bb.1788:                             ;   in Loop: Header=BB411_808 Depth=1
	v_lshrrev_b32_e32 v2, 24, v0
	v_bfrev_b32_e32 v3, 1
	s_mov_b32 s15, exec_lo
	s_delay_alu instid0(VALU_DEP_2)
	v_cmpx_ne_u32_e32 0x80, v2
	s_cbranch_execz .LBB411_1794
; %bb.1789:                             ;   in Loop: Header=BB411_808 Depth=1
	v_bfe_u32 v47, v0, 24, 7
	v_mov_b32_e32 v3, 0x7f800001
	s_mov_b32 s16, exec_lo
	s_delay_alu instid0(VALU_DEP_2)
	v_cmpx_ne_u32_e32 0x7f, v47
	s_cbranch_execz .LBB411_1793
; %bb.1790:                             ;   in Loop: Header=BB411_808 Depth=1
	v_and_b32_e32 v9, 7, v2
	v_lshrrev_b32_e32 v3, 3, v47
	s_mov_b32 s17, exec_lo
	v_cmpx_gt_u32_e32 8, v47
; %bb.1791:                             ;   in Loop: Header=BB411_808 Depth=1
	s_delay_alu instid0(VALU_DEP_3) | instskip(NEXT) | instid1(VALU_DEP_1)
	v_clz_i32_u32_e32 v3, v9
	v_min_u32_e32 v3, 32, v3
	s_delay_alu instid0(VALU_DEP_1) | instskip(SKIP_1) | instid1(VALU_DEP_2)
	v_subrev_nc_u32_e32 v47, 28, v3
	v_sub_nc_u32_e32 v3, 29, v3
	v_lshlrev_b64 v[56:57], v47, v[9:10]
	s_delay_alu instid0(VALU_DEP_1)
	v_and_b32_e32 v9, 7, v56
; %bb.1792:                             ;   in Loop: Header=BB411_808 Depth=1
	s_or_b32 exec_lo, exec_lo, s17
	v_lshlrev_b32_e32 v2, 24, v2
	s_delay_alu instid0(VALU_DEP_2) | instskip(SKIP_1) | instid1(VALU_DEP_3)
	v_lshlrev_b32_e32 v9, 20, v9
	v_lshl_add_u32 v3, v3, 23, 0x3c000000
	v_and_b32_e32 v2, 0x80000000, v2
	s_delay_alu instid0(VALU_DEP_1)
	v_or3_b32 v3, v9, v2, v3
.LBB411_1793:                           ;   in Loop: Header=BB411_808 Depth=1
	s_or_b32 exec_lo, exec_lo, s16
.LBB411_1794:                           ;   in Loop: Header=BB411_808 Depth=1
	s_delay_alu instid0(SALU_CYCLE_1)
	s_or_b32 exec_lo, exec_lo, s15
.LBB411_1795:                           ;   in Loop: Header=BB411_808 Depth=1
	s_delay_alu instid0(SALU_CYCLE_1) | instskip(NEXT) | instid1(VALU_DEP_1)
	s_or_b32 exec_lo, exec_lo, s13
	v_mul_f32_e32 v2, v8, v3
                                        ; implicit-def: $vgpr47
	s_delay_alu instid0(VALU_DEP_1) | instskip(NEXT) | instid1(VALU_DEP_1)
	v_and_b32_e32 v3, 0x7f800000, v2
	v_cmp_ne_u32_e64 s1, 0x7f800000, v3
	s_delay_alu instid0(VALU_DEP_1) | instskip(NEXT) | instid1(SALU_CYCLE_1)
	s_and_saveexec_b32 s13, s1
	s_xor_b32 s1, exec_lo, s13
; %bb.1796:                             ;   in Loop: Header=BB411_808 Depth=1
	v_bfe_u32 v3, v2, 16, 1
	s_delay_alu instid0(VALU_DEP_1)
	v_add3_u32 v47, v2, v3, 0x7fff
                                        ; implicit-def: $vgpr2
; %bb.1797:                             ;   in Loop: Header=BB411_808 Depth=1
	s_and_not1_saveexec_b32 s13, s1
; %bb.1798:                             ;   in Loop: Header=BB411_808 Depth=1
	v_and_b32_e32 v3, 0xffff, v2
	v_or_b32_e32 v9, 0x10000, v2
	s_delay_alu instid0(VALU_DEP_2) | instskip(NEXT) | instid1(VALU_DEP_1)
	v_cmp_eq_u32_e64 s1, 0, v3
	v_cndmask_b32_e64 v47, v9, v2, s1
; %bb.1799:                             ;   in Loop: Header=BB411_808 Depth=1
	s_or_b32 exec_lo, exec_lo, s13
	v_dual_mov_b32 v2, 0 :: v_dual_and_b32 v3, 0xff, v1
	v_mov_b32_e32 v9, v1
	s_mov_b32 s13, exec_lo
	s_delay_alu instid0(VALU_DEP_2)
	v_cmpx_ne_u16_e32 0, v3
	s_cbranch_execz .LBB411_1807
; %bb.1800:                             ;   in Loop: Header=BB411_808 Depth=1
	v_bfrev_b32_e32 v2, 1
	s_mov_b32 s15, exec_lo
	v_cmpx_ne_u16_e32 0x80, v3
	s_cbranch_execz .LBB411_1806
; %bb.1801:                             ;   in Loop: Header=BB411_808 Depth=1
	v_and_b32_e32 v3, 0x7f, v1
	v_mov_b32_e32 v2, 0x7f800001
	s_mov_b32 s16, exec_lo
	s_delay_alu instid0(VALU_DEP_2)
	v_cmpx_ne_u32_e32 0x7f, v3
	s_cbranch_execz .LBB411_1805
; %bb.1802:                             ;   in Loop: Header=BB411_808 Depth=1
	v_lshrrev_b32_e32 v56, 3, v3
	v_cmp_gt_u32_e64 s1, 8, v3
	v_dual_mov_b32 v2, v9 :: v_dual_mov_b32 v3, v10
	s_delay_alu instid0(VALU_DEP_2)
	s_and_saveexec_b32 s17, s1
; %bb.1803:                             ;   in Loop: Header=BB411_808 Depth=1
	v_and_b32_e32 v2, 7, v1
	s_delay_alu instid0(VALU_DEP_1) | instskip(NEXT) | instid1(VALU_DEP_1)
	v_clz_i32_u32_e32 v2, v2
	v_min_u32_e32 v56, 32, v2
	s_delay_alu instid0(VALU_DEP_1) | instskip(SKIP_1) | instid1(VALU_DEP_2)
	v_subrev_nc_u32_e32 v2, 28, v56
	v_sub_nc_u32_e32 v56, 29, v56
	v_lshlrev_b64 v[2:3], v2, v[9:10]
; %bb.1804:                             ;   in Loop: Header=BB411_808 Depth=1
	s_or_b32 exec_lo, exec_lo, s17
	s_delay_alu instid0(VALU_DEP_1) | instskip(SKIP_2) | instid1(VALU_DEP_3)
	v_lshlrev_b32_e32 v2, 20, v2
	v_lshlrev_b32_e32 v3, 24, v9
	v_lshl_add_u32 v56, v56, 23, 0x3c000000
	v_and_b32_e32 v2, 0x700000, v2
	s_delay_alu instid0(VALU_DEP_3) | instskip(NEXT) | instid1(VALU_DEP_1)
	v_and_b32_e32 v3, 0x80000000, v3
	v_or3_b32 v2, v2, v3, v56
.LBB411_1805:                           ;   in Loop: Header=BB411_808 Depth=1
	s_or_b32 exec_lo, exec_lo, s16
.LBB411_1806:                           ;   in Loop: Header=BB411_808 Depth=1
	s_delay_alu instid0(SALU_CYCLE_1)
	s_or_b32 exec_lo, exec_lo, s15
.LBB411_1807:                           ;   in Loop: Header=BB411_808 Depth=1
	s_delay_alu instid0(SALU_CYCLE_1) | instskip(NEXT) | instid1(VALU_DEP_1)
	s_or_b32 exec_lo, exec_lo, s13
	v_mul_f32_e32 v2, v8, v2
                                        ; implicit-def: $vgpr56
	s_delay_alu instid0(VALU_DEP_1) | instskip(NEXT) | instid1(VALU_DEP_1)
	v_and_b32_e32 v3, 0x7f800000, v2
	v_cmp_ne_u32_e64 s1, 0x7f800000, v3
	s_delay_alu instid0(VALU_DEP_1) | instskip(NEXT) | instid1(SALU_CYCLE_1)
	s_and_saveexec_b32 s13, s1
	s_xor_b32 s1, exec_lo, s13
; %bb.1808:                             ;   in Loop: Header=BB411_808 Depth=1
	v_bfe_u32 v3, v2, 16, 1
	s_delay_alu instid0(VALU_DEP_1)
	v_add3_u32 v56, v2, v3, 0x7fff
                                        ; implicit-def: $vgpr2
; %bb.1809:                             ;   in Loop: Header=BB411_808 Depth=1
	s_and_not1_saveexec_b32 s13, s1
; %bb.1810:                             ;   in Loop: Header=BB411_808 Depth=1
	v_and_b32_e32 v3, 0xffff, v2
	v_or_b32_e32 v56, 0x10000, v2
	s_delay_alu instid0(VALU_DEP_2) | instskip(NEXT) | instid1(VALU_DEP_1)
	v_cmp_eq_u32_e64 s1, 0, v3
	v_cndmask_b32_e64 v56, v56, v2, s1
; %bb.1811:                             ;   in Loop: Header=BB411_808 Depth=1
	s_or_b32 exec_lo, exec_lo, s13
	v_lshrrev_b16 v3, 8, v9
	v_mov_b32_e32 v2, 0
	s_mov_b32 s13, exec_lo
	s_delay_alu instid0(VALU_DEP_2)
	v_cmpx_ne_u16_e32 0, v3
	s_cbranch_execz .LBB411_1819
; %bb.1812:                             ;   in Loop: Header=BB411_808 Depth=1
	v_bfrev_b32_e32 v2, 1
	s_mov_b32 s15, exec_lo
	v_cmpx_ne_u16_e32 0x80, v3
	s_cbranch_execz .LBB411_1818
; %bb.1813:                             ;   in Loop: Header=BB411_808 Depth=1
	v_and_b32_e32 v3, 0xffff, v3
	v_mov_b32_e32 v2, 0x7f800001
	s_mov_b32 s16, exec_lo
	s_delay_alu instid0(VALU_DEP_2) | instskip(NEXT) | instid1(VALU_DEP_1)
	v_and_b32_e32 v58, 0x7f, v3
	v_cmpx_ne_u32_e32 0x7f, v58
	s_cbranch_execz .LBB411_1817
; %bb.1814:                             ;   in Loop: Header=BB411_808 Depth=1
	v_dual_mov_b32 v3, v10 :: v_dual_and_b32 v2, 7, v3
	v_lshrrev_b32_e32 v57, 3, v58
	s_mov_b32 s17, exec_lo
	v_cmpx_gt_u32_e32 8, v58
; %bb.1815:                             ;   in Loop: Header=BB411_808 Depth=1
	s_delay_alu instid0(VALU_DEP_3) | instskip(NEXT) | instid1(VALU_DEP_1)
	v_clz_i32_u32_e32 v57, v2
	v_min_u32_e32 v57, 32, v57
	s_delay_alu instid0(VALU_DEP_1) | instskip(SKIP_1) | instid1(VALU_DEP_2)
	v_subrev_nc_u32_e32 v58, 28, v57
	v_sub_nc_u32_e32 v57, 29, v57
	v_lshlrev_b64 v[2:3], v58, v[2:3]
	s_delay_alu instid0(VALU_DEP_1)
	v_and_b32_e32 v2, 7, v2
; %bb.1816:                             ;   in Loop: Header=BB411_808 Depth=1
	s_or_b32 exec_lo, exec_lo, s17
	v_lshlrev_b32_e32 v3, 16, v9
	s_delay_alu instid0(VALU_DEP_2) | instskip(SKIP_1) | instid1(VALU_DEP_3)
	v_lshlrev_b32_e32 v2, 20, v2
	v_lshl_add_u32 v9, v57, 23, 0x3c000000
	v_and_b32_e32 v3, 0x80000000, v3
	s_delay_alu instid0(VALU_DEP_1)
	v_or3_b32 v2, v2, v3, v9
.LBB411_1817:                           ;   in Loop: Header=BB411_808 Depth=1
	s_or_b32 exec_lo, exec_lo, s16
.LBB411_1818:                           ;   in Loop: Header=BB411_808 Depth=1
	s_delay_alu instid0(SALU_CYCLE_1)
	s_or_b32 exec_lo, exec_lo, s15
.LBB411_1819:                           ;   in Loop: Header=BB411_808 Depth=1
	s_delay_alu instid0(SALU_CYCLE_1) | instskip(NEXT) | instid1(VALU_DEP_1)
	s_or_b32 exec_lo, exec_lo, s13
	v_mul_f32_e32 v3, v8, v2
	s_delay_alu instid0(VALU_DEP_1) | instskip(NEXT) | instid1(VALU_DEP_1)
	v_and_b32_e32 v2, 0x7f800000, v3
	v_cmp_ne_u32_e64 s1, 0x7f800000, v2
                                        ; implicit-def: $vgpr2
	s_delay_alu instid0(VALU_DEP_1) | instskip(NEXT) | instid1(SALU_CYCLE_1)
	s_and_saveexec_b32 s13, s1
	s_xor_b32 s1, exec_lo, s13
; %bb.1820:                             ;   in Loop: Header=BB411_808 Depth=1
	v_bfe_u32 v2, v3, 16, 1
	s_delay_alu instid0(VALU_DEP_1)
	v_add3_u32 v2, v3, v2, 0x7fff
                                        ; implicit-def: $vgpr3
; %bb.1821:                             ;   in Loop: Header=BB411_808 Depth=1
	s_and_not1_saveexec_b32 s13, s1
; %bb.1822:                             ;   in Loop: Header=BB411_808 Depth=1
	v_and_b32_e32 v2, 0xffff, v3
	v_or_b32_e32 v9, 0x10000, v3
	s_delay_alu instid0(VALU_DEP_2) | instskip(NEXT) | instid1(VALU_DEP_1)
	v_cmp_eq_u32_e64 s1, 0, v2
	v_cndmask_b32_e64 v2, v9, v3, s1
; %bb.1823:                             ;   in Loop: Header=BB411_808 Depth=1
	s_or_b32 exec_lo, exec_lo, s13
	v_lshrrev_b32_e32 v3, 16, v1
	v_mov_b32_e32 v9, 0
	s_mov_b32 s13, exec_lo
	s_delay_alu instid0(VALU_DEP_2) | instskip(NEXT) | instid1(VALU_DEP_1)
	v_and_b32_e32 v57, 0xff, v3
	v_cmpx_ne_u16_e32 0, v57
	s_cbranch_execz .LBB411_1831
; %bb.1824:                             ;   in Loop: Header=BB411_808 Depth=1
	v_bfrev_b32_e32 v9, 1
	s_mov_b32 s15, exec_lo
	v_cmpx_ne_u16_e32 0x80, v57
	s_cbranch_execz .LBB411_1830
; %bb.1825:                             ;   in Loop: Header=BB411_808 Depth=1
	v_bfe_u32 v58, v1, 16, 7
	v_mov_b32_e32 v9, 0x7f800001
	s_mov_b32 s16, exec_lo
	s_delay_alu instid0(VALU_DEP_2)
	v_cmpx_ne_u32_e32 0x7f, v58
	s_cbranch_execz .LBB411_1829
; %bb.1826:                             ;   in Loop: Header=BB411_808 Depth=1
	v_and_b32_e32 v9, 7, v3
	v_lshrrev_b32_e32 v57, 3, v58
	s_mov_b32 s17, exec_lo
	v_cmpx_gt_u32_e32 8, v58
; %bb.1827:                             ;   in Loop: Header=BB411_808 Depth=1
	s_delay_alu instid0(VALU_DEP_3) | instskip(NEXT) | instid1(VALU_DEP_1)
	v_clz_i32_u32_e32 v57, v9
	v_min_u32_e32 v57, 32, v57
	s_delay_alu instid0(VALU_DEP_1) | instskip(SKIP_1) | instid1(VALU_DEP_2)
	v_subrev_nc_u32_e32 v58, 28, v57
	v_sub_nc_u32_e32 v57, 29, v57
	v_lshlrev_b64 v[58:59], v58, v[9:10]
	s_delay_alu instid0(VALU_DEP_1)
	v_and_b32_e32 v9, 7, v58
; %bb.1828:                             ;   in Loop: Header=BB411_808 Depth=1
	s_or_b32 exec_lo, exec_lo, s17
	v_lshlrev_b32_e32 v3, 24, v3
	s_delay_alu instid0(VALU_DEP_2) | instskip(SKIP_1) | instid1(VALU_DEP_3)
	v_lshlrev_b32_e32 v9, 20, v9
	v_lshl_add_u32 v57, v57, 23, 0x3c000000
	v_and_b32_e32 v3, 0x80000000, v3
	s_delay_alu instid0(VALU_DEP_1)
	v_or3_b32 v9, v9, v3, v57
.LBB411_1829:                           ;   in Loop: Header=BB411_808 Depth=1
	s_or_b32 exec_lo, exec_lo, s16
.LBB411_1830:                           ;   in Loop: Header=BB411_808 Depth=1
	s_delay_alu instid0(SALU_CYCLE_1)
	s_or_b32 exec_lo, exec_lo, s15
.LBB411_1831:                           ;   in Loop: Header=BB411_808 Depth=1
	s_delay_alu instid0(SALU_CYCLE_1) | instskip(NEXT) | instid1(VALU_DEP_1)
	s_or_b32 exec_lo, exec_lo, s13
	v_mul_f32_e32 v3, v8, v9
                                        ; implicit-def: $vgpr58
	s_delay_alu instid0(VALU_DEP_1) | instskip(NEXT) | instid1(VALU_DEP_1)
	v_and_b32_e32 v9, 0x7f800000, v3
	v_cmp_ne_u32_e64 s1, 0x7f800000, v9
	s_delay_alu instid0(VALU_DEP_1) | instskip(NEXT) | instid1(SALU_CYCLE_1)
	s_and_saveexec_b32 s13, s1
	s_xor_b32 s1, exec_lo, s13
; %bb.1832:                             ;   in Loop: Header=BB411_808 Depth=1
	v_bfe_u32 v9, v3, 16, 1
	s_delay_alu instid0(VALU_DEP_1)
	v_add3_u32 v58, v3, v9, 0x7fff
                                        ; implicit-def: $vgpr3
; %bb.1833:                             ;   in Loop: Header=BB411_808 Depth=1
	s_and_not1_saveexec_b32 s13, s1
; %bb.1834:                             ;   in Loop: Header=BB411_808 Depth=1
	v_and_b32_e32 v9, 0xffff, v3
	v_or_b32_e32 v57, 0x10000, v3
	s_delay_alu instid0(VALU_DEP_2) | instskip(NEXT) | instid1(VALU_DEP_1)
	v_cmp_eq_u32_e64 s1, 0, v9
	v_cndmask_b32_e64 v58, v57, v3, s1
; %bb.1835:                             ;   in Loop: Header=BB411_808 Depth=1
	s_or_b32 exec_lo, exec_lo, s13
	v_mov_b32_e32 v3, 0
	s_mov_b32 s13, exec_lo
	v_cmpx_lt_u64_e64 s[4:5], v[0:1]
	s_cbranch_execz .LBB411_1843
; %bb.1836:                             ;   in Loop: Header=BB411_808 Depth=1
	v_lshrrev_b32_e32 v0, 24, v1
	v_bfrev_b32_e32 v3, 1
	s_mov_b32 s15, exec_lo
	s_delay_alu instid0(VALU_DEP_2)
	v_cmpx_ne_u32_e32 0x80, v0
	s_cbranch_execz .LBB411_1842
; %bb.1837:                             ;   in Loop: Header=BB411_808 Depth=1
	v_bfe_u32 v57, v1, 24, 7
	v_mov_b32_e32 v3, 0x7f800001
	s_mov_b32 s16, exec_lo
	s_delay_alu instid0(VALU_DEP_2)
	v_cmpx_ne_u32_e32 0x7f, v57
	s_cbranch_execz .LBB411_1841
; %bb.1838:                             ;   in Loop: Header=BB411_808 Depth=1
	v_and_b32_e32 v9, 7, v0
	v_lshrrev_b32_e32 v1, 3, v57
	s_mov_b32 s17, exec_lo
	v_cmpx_gt_u32_e32 8, v57
; %bb.1839:                             ;   in Loop: Header=BB411_808 Depth=1
	s_delay_alu instid0(VALU_DEP_3) | instskip(NEXT) | instid1(VALU_DEP_1)
	v_clz_i32_u32_e32 v1, v9
	v_min_u32_e32 v1, 32, v1
	s_delay_alu instid0(VALU_DEP_1) | instskip(SKIP_1) | instid1(VALU_DEP_2)
	v_subrev_nc_u32_e32 v3, 28, v1
	v_sub_nc_u32_e32 v1, 29, v1
	v_lshlrev_b64 v[59:60], v3, v[9:10]
	s_delay_alu instid0(VALU_DEP_1)
	v_and_b32_e32 v9, 7, v59
; %bb.1840:                             ;   in Loop: Header=BB411_808 Depth=1
	s_or_b32 exec_lo, exec_lo, s17
	v_lshlrev_b32_e32 v0, 24, v0
	s_delay_alu instid0(VALU_DEP_2) | instskip(SKIP_1) | instid1(VALU_DEP_3)
	v_lshlrev_b32_e32 v3, 20, v9
	v_lshl_add_u32 v1, v1, 23, 0x3c000000
	v_and_b32_e32 v0, 0x80000000, v0
	s_delay_alu instid0(VALU_DEP_1)
	v_or3_b32 v3, v3, v0, v1
.LBB411_1841:                           ;   in Loop: Header=BB411_808 Depth=1
	s_or_b32 exec_lo, exec_lo, s16
.LBB411_1842:                           ;   in Loop: Header=BB411_808 Depth=1
	s_delay_alu instid0(SALU_CYCLE_1)
	s_or_b32 exec_lo, exec_lo, s15
.LBB411_1843:                           ;   in Loop: Header=BB411_808 Depth=1
	s_delay_alu instid0(SALU_CYCLE_1) | instskip(NEXT) | instid1(VALU_DEP_1)
	s_or_b32 exec_lo, exec_lo, s13
	v_mul_f32_e32 v0, v8, v3
                                        ; implicit-def: $vgpr9
	s_delay_alu instid0(VALU_DEP_1) | instskip(NEXT) | instid1(VALU_DEP_1)
	v_and_b32_e32 v1, 0x7f800000, v0
	v_cmp_ne_u32_e64 s1, 0x7f800000, v1
	s_delay_alu instid0(VALU_DEP_1) | instskip(NEXT) | instid1(SALU_CYCLE_1)
	s_and_saveexec_b32 s13, s1
	s_xor_b32 s1, exec_lo, s13
; %bb.1844:                             ;   in Loop: Header=BB411_808 Depth=1
	v_bfe_u32 v1, v0, 16, 1
	s_delay_alu instid0(VALU_DEP_1)
	v_add3_u32 v9, v0, v1, 0x7fff
                                        ; implicit-def: $vgpr0
; %bb.1845:                             ;   in Loop: Header=BB411_808 Depth=1
	s_and_not1_saveexec_b32 s13, s1
; %bb.1846:                             ;   in Loop: Header=BB411_808 Depth=1
	v_and_b32_e32 v1, 0xffff, v0
	v_or_b32_e32 v3, 0x10000, v0
	s_delay_alu instid0(VALU_DEP_2) | instskip(NEXT) | instid1(VALU_DEP_1)
	v_cmp_eq_u32_e64 s1, 0, v1
	v_cndmask_b32_e64 v9, v3, v0, s1
; %bb.1847:                             ;   in Loop: Header=BB411_808 Depth=1
	s_or_b32 exec_lo, exec_lo, s13
	v_lshrrev_b32_e32 v57, 16, v2
	v_lshrrev_b32_e32 v8, 16, v56
	;; [unrolled: 1-line block ×8, first 2 shown]
	s_and_saveexec_b32 s1, vcc_lo
	s_cbranch_execz .LBB411_1849
; %bb.1848:                             ;   in Loop: Header=BB411_808 Depth=1
	v_cmp_lt_i32_e32 vcc_lo, v53, v83
	v_cndmask_b32_e32 v0, 0, v0, vcc_lo
	v_cmp_lt_i32_e32 vcc_lo, v69, v83
	v_cndmask_b32_e32 v1, 0, v1, vcc_lo
	v_cmp_lt_i32_e32 vcc_lo, v68, v83
	v_cndmask_b32_e32 v2, 0, v2, vcc_lo
	v_cmp_lt_i32_e32 vcc_lo, v67, v83
	v_cndmask_b32_e32 v3, 0, v3, vcc_lo
	v_cmp_lt_i32_e32 vcc_lo, v66, v83
	v_cndmask_b32_e32 v8, 0, v8, vcc_lo
	v_cmp_lt_i32_e32 vcc_lo, v65, v83
	v_cndmask_b32_e32 v57, 0, v57, vcc_lo
	v_cmp_lt_i32_e32 vcc_lo, v55, v83
	v_cndmask_b32_e32 v44, 0, v44, vcc_lo
	v_cmp_lt_i32_e32 vcc_lo, v54, v83
	v_cndmask_b32_e32 v9, 0, v9, vcc_lo
.LBB411_1849:                           ;   in Loop: Header=BB411_808 Depth=1
	s_or_b32 exec_lo, exec_lo, s1
	v_lshlrev_b32_e32 v0, 16, v0
	s_delay_alu instid0(VALU_DEP_1) | instskip(NEXT) | instid1(VALU_DEP_1)
	v_mul_f32_e32 v53, v70, v0
	v_and_b32_e32 v0, 0x7f800000, v53
	s_delay_alu instid0(VALU_DEP_1) | instskip(SKIP_1) | instid1(SALU_CYCLE_1)
	v_cmp_ne_u32_e32 vcc_lo, 0x7f800000, v0
                                        ; implicit-def: $vgpr0
	s_and_saveexec_b32 s1, vcc_lo
	s_xor_b32 s1, exec_lo, s1
; %bb.1850:                             ;   in Loop: Header=BB411_808 Depth=1
	v_bfe_u32 v0, v53, 16, 1
	s_delay_alu instid0(VALU_DEP_1)
	v_add3_u32 v0, v53, v0, 0x7fff
                                        ; implicit-def: $vgpr53
; %bb.1851:                             ;   in Loop: Header=BB411_808 Depth=1
	s_and_not1_saveexec_b32 s1, s1
; %bb.1852:                             ;   in Loop: Header=BB411_808 Depth=1
	v_and_b32_e32 v0, 0xffff, v53
	v_or_b32_e32 v54, 0x10000, v53
	s_delay_alu instid0(VALU_DEP_2) | instskip(NEXT) | instid1(VALU_DEP_2)
	v_cmp_eq_u32_e32 vcc_lo, 0, v0
	v_cndmask_b32_e32 v0, v54, v53, vcc_lo
; %bb.1853:                             ;   in Loop: Header=BB411_808 Depth=1
	s_or_b32 exec_lo, exec_lo, s1
	v_lshlrev_b32_e32 v1, 16, v1
	s_delay_alu instid0(VALU_DEP_1) | instskip(NEXT) | instid1(VALU_DEP_1)
	v_mul_f32_e32 v53, v71, v1
	v_and_b32_e32 v1, 0x7f800000, v53
	s_delay_alu instid0(VALU_DEP_1) | instskip(SKIP_1) | instid1(SALU_CYCLE_1)
	v_cmp_ne_u32_e32 vcc_lo, 0x7f800000, v1
                                        ; implicit-def: $vgpr1
	s_and_saveexec_b32 s1, vcc_lo
	s_xor_b32 s1, exec_lo, s1
; %bb.1854:                             ;   in Loop: Header=BB411_808 Depth=1
	v_bfe_u32 v1, v53, 16, 1
	s_delay_alu instid0(VALU_DEP_1)
	v_add3_u32 v1, v53, v1, 0x7fff
                                        ; implicit-def: $vgpr53
; %bb.1855:                             ;   in Loop: Header=BB411_808 Depth=1
	s_and_not1_saveexec_b32 s1, s1
; %bb.1856:                             ;   in Loop: Header=BB411_808 Depth=1
	v_and_b32_e32 v1, 0xffff, v53
	v_or_b32_e32 v54, 0x10000, v53
	s_delay_alu instid0(VALU_DEP_2) | instskip(NEXT) | instid1(VALU_DEP_2)
	v_cmp_eq_u32_e32 vcc_lo, 0, v1
	v_cndmask_b32_e32 v1, v54, v53, vcc_lo
; %bb.1857:                             ;   in Loop: Header=BB411_808 Depth=1
	s_or_b32 exec_lo, exec_lo, s1
	v_lshlrev_b32_e32 v2, 16, v2
	s_delay_alu instid0(VALU_DEP_1) | instskip(NEXT) | instid1(VALU_DEP_1)
	v_mul_f32_e32 v53, v80, v2
	v_and_b32_e32 v2, 0x7f800000, v53
	s_delay_alu instid0(VALU_DEP_1) | instskip(SKIP_1) | instid1(SALU_CYCLE_1)
	v_cmp_ne_u32_e32 vcc_lo, 0x7f800000, v2
                                        ; implicit-def: $vgpr2
	s_and_saveexec_b32 s1, vcc_lo
	s_xor_b32 s1, exec_lo, s1
; %bb.1858:                             ;   in Loop: Header=BB411_808 Depth=1
	v_bfe_u32 v2, v53, 16, 1
	s_delay_alu instid0(VALU_DEP_1)
	v_add3_u32 v2, v53, v2, 0x7fff
                                        ; implicit-def: $vgpr53
; %bb.1859:                             ;   in Loop: Header=BB411_808 Depth=1
	s_and_not1_saveexec_b32 s1, s1
; %bb.1860:                             ;   in Loop: Header=BB411_808 Depth=1
	v_and_b32_e32 v2, 0xffff, v53
	v_or_b32_e32 v54, 0x10000, v53
	s_delay_alu instid0(VALU_DEP_2) | instskip(NEXT) | instid1(VALU_DEP_2)
	v_cmp_eq_u32_e32 vcc_lo, 0, v2
	v_cndmask_b32_e32 v2, v54, v53, vcc_lo
; %bb.1861:                             ;   in Loop: Header=BB411_808 Depth=1
	s_or_b32 exec_lo, exec_lo, s1
	v_lshlrev_b32_e32 v3, 16, v3
	s_delay_alu instid0(VALU_DEP_1) | instskip(NEXT) | instid1(VALU_DEP_1)
	v_mul_f32_e32 v53, v81, v3
	v_and_b32_e32 v3, 0x7f800000, v53
	s_delay_alu instid0(VALU_DEP_1) | instskip(SKIP_1) | instid1(SALU_CYCLE_1)
	v_cmp_ne_u32_e32 vcc_lo, 0x7f800000, v3
                                        ; implicit-def: $vgpr3
	s_and_saveexec_b32 s1, vcc_lo
	s_xor_b32 s1, exec_lo, s1
; %bb.1862:                             ;   in Loop: Header=BB411_808 Depth=1
	v_bfe_u32 v3, v53, 16, 1
	s_delay_alu instid0(VALU_DEP_1)
	v_add3_u32 v3, v53, v3, 0x7fff
                                        ; implicit-def: $vgpr53
; %bb.1863:                             ;   in Loop: Header=BB411_808 Depth=1
	s_and_not1_saveexec_b32 s1, s1
; %bb.1864:                             ;   in Loop: Header=BB411_808 Depth=1
	v_and_b32_e32 v3, 0xffff, v53
	v_or_b32_e32 v54, 0x10000, v53
	s_delay_alu instid0(VALU_DEP_2) | instskip(NEXT) | instid1(VALU_DEP_2)
	v_cmp_eq_u32_e32 vcc_lo, 0, v3
	v_cndmask_b32_e32 v3, v54, v53, vcc_lo
; %bb.1865:                             ;   in Loop: Header=BB411_808 Depth=1
	s_or_b32 exec_lo, exec_lo, s1
	v_lshlrev_b32_e32 v8, 16, v8
	s_delay_alu instid0(VALU_DEP_1) | instskip(NEXT) | instid1(VALU_DEP_1)
	v_mul_f32_e32 v53, v98, v8
	v_and_b32_e32 v8, 0x7f800000, v53
	s_delay_alu instid0(VALU_DEP_1) | instskip(SKIP_1) | instid1(SALU_CYCLE_1)
	v_cmp_ne_u32_e32 vcc_lo, 0x7f800000, v8
                                        ; implicit-def: $vgpr8
	s_and_saveexec_b32 s1, vcc_lo
	s_xor_b32 s1, exec_lo, s1
; %bb.1866:                             ;   in Loop: Header=BB411_808 Depth=1
	v_bfe_u32 v8, v53, 16, 1
	s_delay_alu instid0(VALU_DEP_1)
	v_add3_u32 v8, v53, v8, 0x7fff
                                        ; implicit-def: $vgpr53
; %bb.1867:                             ;   in Loop: Header=BB411_808 Depth=1
	s_and_not1_saveexec_b32 s1, s1
; %bb.1868:                             ;   in Loop: Header=BB411_808 Depth=1
	v_and_b32_e32 v8, 0xffff, v53
	v_or_b32_e32 v54, 0x10000, v53
	s_delay_alu instid0(VALU_DEP_2) | instskip(NEXT) | instid1(VALU_DEP_2)
	v_cmp_eq_u32_e32 vcc_lo, 0, v8
	v_cndmask_b32_e32 v8, v54, v53, vcc_lo
; %bb.1869:                             ;   in Loop: Header=BB411_808 Depth=1
	s_or_b32 exec_lo, exec_lo, s1
	v_lshlrev_b32_e32 v53, 16, v57
	s_delay_alu instid0(VALU_DEP_1) | instskip(NEXT) | instid1(VALU_DEP_1)
	v_mul_f32_e32 v54, v99, v53
	v_and_b32_e32 v53, 0x7f800000, v54
	s_delay_alu instid0(VALU_DEP_1) | instskip(SKIP_1) | instid1(SALU_CYCLE_1)
	v_cmp_ne_u32_e32 vcc_lo, 0x7f800000, v53
                                        ; implicit-def: $vgpr53
	s_and_saveexec_b32 s1, vcc_lo
	s_xor_b32 s1, exec_lo, s1
; %bb.1870:                             ;   in Loop: Header=BB411_808 Depth=1
	v_bfe_u32 v53, v54, 16, 1
	s_delay_alu instid0(VALU_DEP_1)
	v_add3_u32 v53, v54, v53, 0x7fff
                                        ; implicit-def: $vgpr54
; %bb.1871:                             ;   in Loop: Header=BB411_808 Depth=1
	s_and_not1_saveexec_b32 s1, s1
; %bb.1872:                             ;   in Loop: Header=BB411_808 Depth=1
	v_and_b32_e32 v53, 0xffff, v54
	v_or_b32_e32 v55, 0x10000, v54
	s_delay_alu instid0(VALU_DEP_2) | instskip(NEXT) | instid1(VALU_DEP_2)
	v_cmp_eq_u32_e32 vcc_lo, 0, v53
	v_cndmask_b32_e32 v53, v55, v54, vcc_lo
; %bb.1873:                             ;   in Loop: Header=BB411_808 Depth=1
	s_or_b32 exec_lo, exec_lo, s1
	v_lshlrev_b32_e32 v54, 16, v44
	s_delay_alu instid0(VALU_DEP_1) | instskip(NEXT) | instid1(VALU_DEP_1)
	v_mul_f32_e32 v55, v100, v54
	v_and_b32_e32 v54, 0x7f800000, v55
	s_delay_alu instid0(VALU_DEP_1) | instskip(SKIP_1) | instid1(SALU_CYCLE_1)
	v_cmp_ne_u32_e32 vcc_lo, 0x7f800000, v54
                                        ; implicit-def: $vgpr54
	s_and_saveexec_b32 s1, vcc_lo
	s_xor_b32 s1, exec_lo, s1
; %bb.1874:                             ;   in Loop: Header=BB411_808 Depth=1
	v_bfe_u32 v54, v55, 16, 1
	s_delay_alu instid0(VALU_DEP_1)
	v_add3_u32 v54, v55, v54, 0x7fff
                                        ; implicit-def: $vgpr55
; %bb.1875:                             ;   in Loop: Header=BB411_808 Depth=1
	s_and_not1_saveexec_b32 s1, s1
; %bb.1876:                             ;   in Loop: Header=BB411_808 Depth=1
	v_and_b32_e32 v54, 0xffff, v55
	v_or_b32_e32 v65, 0x10000, v55
	s_delay_alu instid0(VALU_DEP_2) | instskip(NEXT) | instid1(VALU_DEP_2)
	v_cmp_eq_u32_e32 vcc_lo, 0, v54
	v_cndmask_b32_e32 v54, v65, v55, vcc_lo
; %bb.1877:                             ;   in Loop: Header=BB411_808 Depth=1
	s_or_b32 exec_lo, exec_lo, s1
	v_lshlrev_b32_e32 v9, 16, v9
	s_delay_alu instid0(VALU_DEP_1) | instskip(NEXT) | instid1(VALU_DEP_1)
	v_mul_f32_e32 v55, v101, v9
	v_and_b32_e32 v9, 0x7f800000, v55
	s_delay_alu instid0(VALU_DEP_1) | instskip(SKIP_1) | instid1(SALU_CYCLE_1)
	v_cmp_ne_u32_e32 vcc_lo, 0x7f800000, v9
                                        ; implicit-def: $vgpr9
	s_and_saveexec_b32 s1, vcc_lo
	s_xor_b32 s1, exec_lo, s1
; %bb.1878:                             ;   in Loop: Header=BB411_808 Depth=1
	v_bfe_u32 v9, v55, 16, 1
	s_delay_alu instid0(VALU_DEP_1)
	v_add3_u32 v9, v55, v9, 0x7fff
                                        ; implicit-def: $vgpr55
; %bb.1879:                             ;   in Loop: Header=BB411_808 Depth=1
	s_and_not1_saveexec_b32 s1, s1
	s_cbranch_execz .LBB411_806
; %bb.1880:                             ;   in Loop: Header=BB411_808 Depth=1
	v_and_b32_e32 v9, 0xffff, v55
	v_or_b32_e32 v65, 0x10000, v55
	s_delay_alu instid0(VALU_DEP_2) | instskip(NEXT) | instid1(VALU_DEP_2)
	v_cmp_eq_u32_e32 vcc_lo, 0, v9
	v_cndmask_b32_e32 v9, v65, v55, vcc_lo
	s_branch .LBB411_806
.LBB411_1881:
	s_or_b32 exec_lo, exec_lo, s11
	s_load_b32 s1, s[2:3], 0x0
	s_waitcnt lgkmcnt(0)
	v_mov_b32_e32 v9, s1
.LBB411_1882:
	s_or_b32 exec_lo, exec_lo, s9
	ds_bpermute_b32 v0, v17, v29
	ds_bpermute_b32 v1, v17, v31
	;; [unrolled: 1-line block ×8, first 2 shown]
	v_lshrrev_b32_e32 v11, 1, v16
	v_lshl_add_u32 v12, v21, 9, v9
	v_and_b32_e32 v16, 0x3c1, v82
	s_mov_b32 s1, exec_lo
	s_waitcnt lgkmcnt(0)
	s_waitcnt_vscnt null, 0x0
	s_barrier
	buffer_gl0_inv
	v_add_f32_e32 v8, v29, v0
	v_add_f32_e32 v10, v31, v1
	v_dual_add_f32 v6, v28, v2 :: v_dual_add_f32 v3, v25, v3
	v_dual_add_f32 v2, v19, v7 :: v_dual_add_f32 v1, v24, v13
	;; [unrolled: 1-line block ×3, first 2 shown]
	v_cmpx_eq_u32_e32 64, v16
	s_cbranch_execz .LBB411_1884
; %bb.1883:
	v_lshlrev_b32_e32 v13, 2, v11
	s_delay_alu instid0(VALU_DEP_1)
	v_add3_u32 v13, v12, v13, 0xfffffc00
	ds_store_2addr_b32 v13, v8, v10 offset1:16
	ds_store_2addr_b32 v13, v6, v3 offset0:32 offset1:48
	ds_store_2addr_b32 v13, v2, v1 offset0:64 offset1:80
	;; [unrolled: 1-line block ×3, first 2 shown]
.LBB411_1884:
	s_or_b32 exec_lo, exec_lo, s1
	v_cmp_eq_u32_e32 vcc_lo, 0, v84
	s_mov_b32 s2, exec_lo
	s_waitcnt lgkmcnt(0)
	s_barrier
	buffer_gl0_inv
	v_cmpx_gt_u32_e32 64, v82
	s_cbranch_execz .LBB411_1895
; %bb.1885:
	s_and_saveexec_b32 s1, vcc_lo
	s_cbranch_execnz .LBB411_1944
; %bb.1886:
	s_or_b32 exec_lo, exec_lo, s1
	s_and_saveexec_b32 s1, vcc_lo
	s_cbranch_execnz .LBB411_1945
.LBB411_1887:
	s_or_b32 exec_lo, exec_lo, s1
	s_and_saveexec_b32 s1, vcc_lo
	s_cbranch_execnz .LBB411_1946
.LBB411_1888:
	s_or_b32 exec_lo, exec_lo, s1
	s_and_saveexec_b32 s1, vcc_lo
	s_cbranch_execnz .LBB411_1947
.LBB411_1889:
	s_or_b32 exec_lo, exec_lo, s1
	s_and_saveexec_b32 s1, vcc_lo
	s_cbranch_execnz .LBB411_1948
.LBB411_1890:
	s_or_b32 exec_lo, exec_lo, s1
	s_and_saveexec_b32 s1, vcc_lo
	s_cbranch_execnz .LBB411_1949
.LBB411_1891:
	s_or_b32 exec_lo, exec_lo, s1
	s_and_saveexec_b32 s1, vcc_lo
	s_cbranch_execnz .LBB411_1950
.LBB411_1892:
	s_or_b32 exec_lo, exec_lo, s1
	s_and_saveexec_b32 s1, vcc_lo
	s_cbranch_execz .LBB411_1894
.LBB411_1893:
	v_lshl_add_u32 v13, v11, 2, v12
	ds_load_b32 v13, v13 offset:448
	s_waitcnt lgkmcnt(0)
	v_add_f32_e32 v7, v7, v13
.LBB411_1894:
	s_or_b32 exec_lo, exec_lo, s1
.LBB411_1895:
	s_delay_alu instid0(SALU_CYCLE_1)
	s_or_b32 exec_lo, exec_lo, s2
	v_and_b32_e32 v13, 0x3e1, v82
	s_mov_b32 s2, exec_lo
	s_barrier
	buffer_gl0_inv
	v_cmpx_eq_u32_e32 32, v13
	s_cbranch_execz .LBB411_1897
; %bb.1896:
	v_lshl_add_u32 v9, v11, 2, v9
	ds_store_2addr_b32 v9, v8, v10 offset1:16
	ds_store_2addr_b32 v9, v6, v3 offset0:32 offset1:48
	ds_store_2addr_b32 v9, v2, v1 offset0:64 offset1:80
	;; [unrolled: 1-line block ×3, first 2 shown]
.LBB411_1897:
	s_or_b32 exec_lo, exec_lo, s2
	s_waitcnt lgkmcnt(0)
	s_barrier
	buffer_gl0_inv
	s_and_saveexec_b32 s1, s0
	s_cbranch_execz .LBB411_1908
; %bb.1898:
	v_lshl_add_u32 v9, v11, 2, v12
	s_and_saveexec_b32 s2, vcc_lo
	s_cbranch_execnz .LBB411_1951
; %bb.1899:
	s_or_b32 exec_lo, exec_lo, s2
	s_and_saveexec_b32 s2, vcc_lo
	s_cbranch_execnz .LBB411_1952
.LBB411_1900:
	s_or_b32 exec_lo, exec_lo, s2
	s_and_saveexec_b32 s2, vcc_lo
	s_cbranch_execnz .LBB411_1953
.LBB411_1901:
	s_or_b32 exec_lo, exec_lo, s2
	s_and_saveexec_b32 s2, vcc_lo
	s_cbranch_execnz .LBB411_1954
.LBB411_1902:
	s_or_b32 exec_lo, exec_lo, s2
	s_and_saveexec_b32 s2, vcc_lo
	s_cbranch_execnz .LBB411_1955
.LBB411_1903:
	s_or_b32 exec_lo, exec_lo, s2
	s_and_saveexec_b32 s2, vcc_lo
	s_cbranch_execnz .LBB411_1956
.LBB411_1904:
	s_or_b32 exec_lo, exec_lo, s2
	s_and_saveexec_b32 s2, vcc_lo
	s_cbranch_execnz .LBB411_1957
.LBB411_1905:
	s_or_b32 exec_lo, exec_lo, s2
	s_and_saveexec_b32 s2, vcc_lo
	s_cbranch_execz .LBB411_1907
.LBB411_1906:
	ds_load_b32 v9, v9 offset:448
	s_waitcnt lgkmcnt(0)
	v_add_f32_e32 v7, v7, v9
.LBB411_1907:
	s_or_b32 exec_lo, exec_lo, s2
.LBB411_1908:
	s_delay_alu instid0(SALU_CYCLE_1)
	s_or_b32 exec_lo, exec_lo, s1
	s_barrier
	buffer_gl0_inv
	s_and_b32 exec_lo, exec_lo, s0
	s_cbranch_execz .LBB411_1943
; %bb.1909:
	s_and_b32 exec_lo, exec_lo, vcc_lo
	s_cbranch_execz .LBB411_1943
; %bb.1910:
	v_and_b32_e32 v9, 0x7f800000, v8
	s_mov_b32 s0, exec_lo
                                        ; implicit-def: $vgpr11
	s_delay_alu instid0(VALU_DEP_1)
	v_cmpx_ne_u32_e32 0x7f800000, v9
	s_xor_b32 s0, exec_lo, s0
; %bb.1911:
	v_bfe_u32 v9, v8, 16, 1
	s_delay_alu instid0(VALU_DEP_1)
	v_add3_u32 v11, v8, v9, 0x7fff
; %bb.1912:
	s_and_not1_saveexec_b32 s0, s0
; %bb.1913:
	v_and_b32_e32 v9, 0xffff, v8
	v_or_b32_e32 v11, 0x10000, v8
	s_delay_alu instid0(VALU_DEP_2) | instskip(NEXT) | instid1(VALU_DEP_2)
	v_cmp_eq_u32_e32 vcc_lo, 0, v9
	v_cndmask_b32_e32 v11, v11, v8, vcc_lo
; %bb.1914:
	s_or_b32 exec_lo, exec_lo, s0
	s_mul_i32 s1, s8, s6
	s_mul_i32 s0, s10, s8
	s_mul_i32 s1, s1, s18
	s_lshl_b32 s2, s14, 7
	s_lshl_b32 s4, s1, 7
	s_ashr_i32 s1, s0, 31
	s_ashr_i32 s3, s2, 31
	;; [unrolled: 1-line block ×3, first 2 shown]
	s_lshl_b64 s[0:1], s[0:1], 1
	s_lshl_b64 s[2:3], s[2:3], 1
	;; [unrolled: 1-line block ×3, first 2 shown]
	s_add_u32 s0, s2, s0
	s_addc_u32 s1, s3, s1
	s_add_u32 s0, s0, s4
	s_addc_u32 s1, s1, s5
	v_lshlrev_b32_e32 v8, 1, v39
	v_add_co_u32 v4, vcc_lo, s0, v4
	v_add_co_ci_u32_e32 v5, vcc_lo, s1, v5, vcc_lo
	v_and_b32_e32 v12, 0x7f800000, v10
	s_delay_alu instid0(VALU_DEP_3) | instskip(NEXT) | instid1(VALU_DEP_3)
	v_add_co_u32 v8, vcc_lo, v4, v8
	v_add_co_ci_u32_e32 v9, vcc_lo, 0, v5, vcc_lo
	s_mov_b32 s0, exec_lo
                                        ; implicit-def: $vgpr4
	flat_store_d16_hi_b16 v[8:9], v11
	v_cmpx_ne_u32_e32 0x7f800000, v12
	s_xor_b32 s0, exec_lo, s0
; %bb.1915:
	v_bfe_u32 v4, v10, 16, 1
	s_delay_alu instid0(VALU_DEP_1)
	v_add3_u32 v4, v10, v4, 0x7fff
; %bb.1916:
	s_and_not1_saveexec_b32 s0, s0
; %bb.1917:
	v_and_b32_e32 v4, 0xffff, v10
	v_or_b32_e32 v5, 0x10000, v10
	s_delay_alu instid0(VALU_DEP_2) | instskip(NEXT) | instid1(VALU_DEP_2)
	v_cmp_eq_u32_e32 vcc_lo, 0, v4
	v_cndmask_b32_e32 v4, v5, v10, vcc_lo
; %bb.1918:
	s_or_b32 exec_lo, exec_lo, s0
	v_and_b32_e32 v5, 0x7f800000, v6
	s_mov_b32 s0, exec_lo
	flat_store_d16_hi_b16 v[8:9], v4 offset:32
                                        ; implicit-def: $vgpr4
	v_cmpx_ne_u32_e32 0x7f800000, v5
	s_xor_b32 s0, exec_lo, s0
; %bb.1919:
	v_bfe_u32 v4, v6, 16, 1
	s_delay_alu instid0(VALU_DEP_1)
	v_add3_u32 v4, v6, v4, 0x7fff
; %bb.1920:
	s_and_not1_saveexec_b32 s0, s0
; %bb.1921:
	v_and_b32_e32 v4, 0xffff, v6
	v_or_b32_e32 v5, 0x10000, v6
	s_delay_alu instid0(VALU_DEP_2) | instskip(NEXT) | instid1(VALU_DEP_2)
	v_cmp_eq_u32_e32 vcc_lo, 0, v4
	v_cndmask_b32_e32 v4, v5, v6, vcc_lo
; %bb.1922:
	s_or_b32 exec_lo, exec_lo, s0
	v_and_b32_e32 v5, 0x7f800000, v3
	s_mov_b32 s0, exec_lo
	flat_store_d16_hi_b16 v[8:9], v4 offset:64
                                        ; implicit-def: $vgpr4
	v_cmpx_ne_u32_e32 0x7f800000, v5
	s_xor_b32 s0, exec_lo, s0
; %bb.1923:
	v_bfe_u32 v4, v3, 16, 1
	s_delay_alu instid0(VALU_DEP_1)
	v_add3_u32 v4, v3, v4, 0x7fff
; %bb.1924:
	s_and_not1_saveexec_b32 s0, s0
; %bb.1925:
	v_and_b32_e32 v4, 0xffff, v3
	v_or_b32_e32 v5, 0x10000, v3
	s_delay_alu instid0(VALU_DEP_2) | instskip(NEXT) | instid1(VALU_DEP_2)
	v_cmp_eq_u32_e32 vcc_lo, 0, v4
	v_cndmask_b32_e32 v4, v5, v3, vcc_lo
; %bb.1926:
	s_or_b32 exec_lo, exec_lo, s0
	v_and_b32_e32 v3, 0x7f800000, v2
	flat_store_d16_hi_b16 v[8:9], v4 offset:96
	v_cmp_ne_u32_e32 vcc_lo, 0x7f800000, v3
                                        ; implicit-def: $vgpr3
	s_and_saveexec_b32 s0, vcc_lo
	s_delay_alu instid0(SALU_CYCLE_1)
	s_xor_b32 s0, exec_lo, s0
; %bb.1927:
	v_bfe_u32 v3, v2, 16, 1
	s_delay_alu instid0(VALU_DEP_1)
	v_add3_u32 v3, v2, v3, 0x7fff
; %bb.1928:
	s_and_not1_saveexec_b32 s0, s0
; %bb.1929:
	v_and_b32_e32 v3, 0xffff, v2
	v_or_b32_e32 v4, 0x10000, v2
	s_delay_alu instid0(VALU_DEP_2) | instskip(NEXT) | instid1(VALU_DEP_2)
	v_cmp_eq_u32_e32 vcc_lo, 0, v3
	v_cndmask_b32_e32 v3, v4, v2, vcc_lo
; %bb.1930:
	s_or_b32 exec_lo, exec_lo, s0
	v_and_b32_e32 v2, 0x7f800000, v1
	flat_store_d16_hi_b16 v[8:9], v3 offset:128
	v_cmp_ne_u32_e32 vcc_lo, 0x7f800000, v2
                                        ; implicit-def: $vgpr2
	s_and_saveexec_b32 s0, vcc_lo
	s_delay_alu instid0(SALU_CYCLE_1)
	s_xor_b32 s0, exec_lo, s0
; %bb.1931:
	v_bfe_u32 v2, v1, 16, 1
	s_delay_alu instid0(VALU_DEP_1)
	v_add3_u32 v2, v1, v2, 0x7fff
; %bb.1932:
	s_and_not1_saveexec_b32 s0, s0
; %bb.1933:
	v_and_b32_e32 v2, 0xffff, v1
	v_or_b32_e32 v3, 0x10000, v1
	s_delay_alu instid0(VALU_DEP_2) | instskip(NEXT) | instid1(VALU_DEP_2)
	v_cmp_eq_u32_e32 vcc_lo, 0, v2
	v_cndmask_b32_e32 v2, v3, v1, vcc_lo
; %bb.1934:
	s_or_b32 exec_lo, exec_lo, s0
	v_and_b32_e32 v1, 0x7f800000, v0
	flat_store_d16_hi_b16 v[8:9], v2 offset:160
	v_cmp_ne_u32_e32 vcc_lo, 0x7f800000, v1
                                        ; implicit-def: $vgpr1
	s_and_saveexec_b32 s0, vcc_lo
	s_delay_alu instid0(SALU_CYCLE_1)
	s_xor_b32 s0, exec_lo, s0
; %bb.1935:
	v_bfe_u32 v1, v0, 16, 1
	s_delay_alu instid0(VALU_DEP_1)
	v_add3_u32 v1, v0, v1, 0x7fff
; %bb.1936:
	s_and_not1_saveexec_b32 s0, s0
; %bb.1937:
	v_and_b32_e32 v1, 0xffff, v0
	v_or_b32_e32 v2, 0x10000, v0
	s_delay_alu instid0(VALU_DEP_2) | instskip(NEXT) | instid1(VALU_DEP_2)
	v_cmp_eq_u32_e32 vcc_lo, 0, v1
	v_cndmask_b32_e32 v1, v2, v0, vcc_lo
; %bb.1938:
	s_or_b32 exec_lo, exec_lo, s0
	v_and_b32_e32 v0, 0x7f800000, v7
	s_mov_b32 s0, exec_lo
	flat_store_d16_hi_b16 v[8:9], v1 offset:192
                                        ; implicit-def: $vgpr10
	v_cmpx_ne_u32_e32 0x7f800000, v0
	s_xor_b32 s0, exec_lo, s0
; %bb.1939:
	v_bfe_u32 v0, v7, 16, 1
	s_delay_alu instid0(VALU_DEP_1)
	v_add3_u32 v10, v7, v0, 0x7fff
                                        ; implicit-def: $vgpr0_vgpr1_vgpr2_vgpr3_vgpr4_vgpr5_vgpr6_vgpr7
; %bb.1940:
	s_and_not1_saveexec_b32 s0, s0
; %bb.1941:
	v_and_b32_e32 v0, 0xffff, v7
	v_or_b32_e32 v1, 0x10000, v7
	s_delay_alu instid0(VALU_DEP_2) | instskip(NEXT) | instid1(VALU_DEP_2)
	v_cmp_eq_u32_e32 vcc_lo, 0, v0
	v_cndmask_b32_e32 v10, v1, v7, vcc_lo
; %bb.1942:
	s_or_b32 exec_lo, exec_lo, s0
	flat_store_d16_hi_b16 v[8:9], v10 offset:224
.LBB411_1943:
	s_or_b32 exec_lo, exec_lo, s7
	s_clause 0x1f
	scratch_load_b32 v155, off, s32 offset:8
	scratch_load_b32 v154, off, s32 offset:12
	;; [unrolled: 1-line block ×32, first 2 shown]
	s_clause 0x1b
	scratch_load_b32 v91, off, s32 offset:136
	scratch_load_b32 v90, off, s32 offset:140
	;; [unrolled: 1-line block ×28, first 2 shown]
	s_waitcnt vmcnt(0) lgkmcnt(0)
	s_setpc_b64 s[30:31]
.LBB411_1944:
	v_lshl_add_u32 v13, v11, 2, v12
	ds_load_b32 v13, v13
	s_waitcnt lgkmcnt(0)
	v_add_f32_e32 v8, v8, v13
	s_or_b32 exec_lo, exec_lo, s1
	s_and_saveexec_b32 s1, vcc_lo
	s_cbranch_execz .LBB411_1887
.LBB411_1945:
	v_lshl_add_u32 v13, v11, 2, v12
	ds_load_b32 v13, v13 offset:64
	s_waitcnt lgkmcnt(0)
	v_add_f32_e32 v10, v10, v13
	s_or_b32 exec_lo, exec_lo, s1
	s_and_saveexec_b32 s1, vcc_lo
	s_cbranch_execz .LBB411_1888
.LBB411_1946:
	v_lshl_add_u32 v13, v11, 2, v12
	ds_load_b32 v13, v13 offset:128
	s_waitcnt lgkmcnt(0)
	v_add_f32_e32 v6, v6, v13
	s_or_b32 exec_lo, exec_lo, s1
	s_and_saveexec_b32 s1, vcc_lo
	s_cbranch_execz .LBB411_1889
.LBB411_1947:
	v_lshl_add_u32 v13, v11, 2, v12
	ds_load_b32 v13, v13 offset:192
	s_waitcnt lgkmcnt(0)
	v_add_f32_e32 v3, v3, v13
	s_or_b32 exec_lo, exec_lo, s1
	s_and_saveexec_b32 s1, vcc_lo
	s_cbranch_execz .LBB411_1890
.LBB411_1948:
	v_lshl_add_u32 v13, v11, 2, v12
	ds_load_b32 v13, v13 offset:256
	s_waitcnt lgkmcnt(0)
	v_add_f32_e32 v2, v2, v13
	s_or_b32 exec_lo, exec_lo, s1
	s_and_saveexec_b32 s1, vcc_lo
	s_cbranch_execz .LBB411_1891
.LBB411_1949:
	v_lshl_add_u32 v13, v11, 2, v12
	ds_load_b32 v13, v13 offset:320
	s_waitcnt lgkmcnt(0)
	v_add_f32_e32 v1, v1, v13
	s_or_b32 exec_lo, exec_lo, s1
	s_and_saveexec_b32 s1, vcc_lo
	s_cbranch_execz .LBB411_1892
.LBB411_1950:
	v_lshl_add_u32 v13, v11, 2, v12
	ds_load_b32 v13, v13 offset:384
	s_waitcnt lgkmcnt(0)
	v_add_f32_e32 v0, v0, v13
	s_or_b32 exec_lo, exec_lo, s1
	s_and_saveexec_b32 s1, vcc_lo
	s_cbranch_execnz .LBB411_1893
	s_branch .LBB411_1894
.LBB411_1951:
	ds_load_b32 v11, v9
	s_waitcnt lgkmcnt(0)
	v_add_f32_e32 v8, v8, v11
	s_or_b32 exec_lo, exec_lo, s2
	s_and_saveexec_b32 s2, vcc_lo
	s_cbranch_execz .LBB411_1900
.LBB411_1952:
	ds_load_b32 v11, v9 offset:64
	s_waitcnt lgkmcnt(0)
	v_add_f32_e32 v10, v10, v11
	s_or_b32 exec_lo, exec_lo, s2
	s_and_saveexec_b32 s2, vcc_lo
	s_cbranch_execz .LBB411_1901
.LBB411_1953:
	ds_load_b32 v11, v9 offset:128
	s_waitcnt lgkmcnt(0)
	v_add_f32_e32 v6, v6, v11
	s_or_b32 exec_lo, exec_lo, s2
	s_and_saveexec_b32 s2, vcc_lo
	s_cbranch_execz .LBB411_1902
.LBB411_1954:
	ds_load_b32 v11, v9 offset:192
	s_waitcnt lgkmcnt(0)
	v_add_f32_e32 v3, v3, v11
	s_or_b32 exec_lo, exec_lo, s2
	s_and_saveexec_b32 s2, vcc_lo
	s_cbranch_execz .LBB411_1903
.LBB411_1955:
	ds_load_b32 v11, v9 offset:256
	s_waitcnt lgkmcnt(0)
	v_add_f32_e32 v2, v2, v11
	s_or_b32 exec_lo, exec_lo, s2
	s_and_saveexec_b32 s2, vcc_lo
	s_cbranch_execz .LBB411_1904
.LBB411_1956:
	ds_load_b32 v11, v9 offset:320
	s_waitcnt lgkmcnt(0)
	v_add_f32_e32 v1, v1, v11
	s_or_b32 exec_lo, exec_lo, s2
	s_and_saveexec_b32 s2, vcc_lo
	s_cbranch_execz .LBB411_1905
.LBB411_1957:
	ds_load_b32 v11, v9 offset:384
	s_waitcnt lgkmcnt(0)
	v_add_f32_e32 v0, v0, v11
	s_or_b32 exec_lo, exec_lo, s2
	s_and_saveexec_b32 s2, vcc_lo
	s_cbranch_execnz .LBB411_1906
	s_branch .LBB411_1907
.Lfunc_end411:
	.size	_ZN4vllm22paged_attention_kernelI14__hip_bfloat16hLi128ELi16ELi128ELNS_18Fp8KVCacheDataTypeE1ELb1ELi512EEEvPfS3_PT_PKS4_PKT0_SA_ifPKiSC_iPKfiiiSE_SE_iiiii, .Lfunc_end411-_ZN4vllm22paged_attention_kernelI14__hip_bfloat16hLi128ELi16ELi128ELNS_18Fp8KVCacheDataTypeE1ELb1ELi512EEEvPfS3_PT_PKS4_PKT0_SA_ifPKiSC_iPKfiiiSE_SE_iiiii
                                        ; -- End function
	.section	.AMDGPU.csdata,"",@progbits
; Function info:
; codeLenInByte = 59856
; NumSgprs: 35
; NumVgprs: 184
; ScratchSize: 252
; MemoryBound: 0
	.section	.text._ZN4vllm25paged_attention_v2_kernelI14__hip_bfloat16hLi128ELi16ELi128ELNS_18Fp8KVCacheDataTypeE1ELb1ELi512EEEvPfS3_PT_PKS4_PKT0_SA_ifPKiSC_iPKfiiiSE_SE_iiiii,"axG",@progbits,_ZN4vllm25paged_attention_v2_kernelI14__hip_bfloat16hLi128ELi16ELi128ELNS_18Fp8KVCacheDataTypeE1ELb1ELi512EEEvPfS3_PT_PKS4_PKT0_SA_ifPKiSC_iPKfiiiSE_SE_iiiii,comdat
	.protected	_ZN4vllm25paged_attention_v2_kernelI14__hip_bfloat16hLi128ELi16ELi128ELNS_18Fp8KVCacheDataTypeE1ELb1ELi512EEEvPfS3_PT_PKS4_PKT0_SA_ifPKiSC_iPKfiiiSE_SE_iiiii ; -- Begin function _ZN4vllm25paged_attention_v2_kernelI14__hip_bfloat16hLi128ELi16ELi128ELNS_18Fp8KVCacheDataTypeE1ELb1ELi512EEEvPfS3_PT_PKS4_PKT0_SA_ifPKiSC_iPKfiiiSE_SE_iiiii
	.globl	_ZN4vllm25paged_attention_v2_kernelI14__hip_bfloat16hLi128ELi16ELi128ELNS_18Fp8KVCacheDataTypeE1ELb1ELi512EEEvPfS3_PT_PKS4_PKT0_SA_ifPKiSC_iPKfiiiSE_SE_iiiii
	.p2align	8
	.type	_ZN4vllm25paged_attention_v2_kernelI14__hip_bfloat16hLi128ELi16ELi128ELNS_18Fp8KVCacheDataTypeE1ELb1ELi512EEEvPfS3_PT_PKS4_PKT0_SA_ifPKiSC_iPKfiiiSE_SE_iiiii,@function
_ZN4vllm25paged_attention_v2_kernelI14__hip_bfloat16hLi128ELi16ELi128ELNS_18Fp8KVCacheDataTypeE1ELb1ELi512EEEvPfS3_PT_PKS4_PKT0_SA_ifPKiSC_iPKfiiiSE_SE_iiiii: ; @_ZN4vllm25paged_attention_v2_kernelI14__hip_bfloat16hLi128ELi16ELi128ELNS_18Fp8KVCacheDataTypeE1ELb1ELi512EEEvPfS3_PT_PKS4_PKT0_SA_ifPKiSC_iPKfiiiSE_SE_iiiii
; %bb.0:
	s_mov_b32 s12, s13
	s_clause 0x7
	s_load_b128 s[4:7], s[0:1], 0x78
	s_load_b32 s8, s[0:1], 0x88
	s_load_b256 s[24:31], s[0:1], 0x0
	s_load_b256 s[36:43], s[0:1], 0x20
	s_load_b64 s[2:3], s[0:1], 0x40
	s_load_b64 s[10:11], s[0:1], 0x50
	s_load_b32 s13, s[0:1], 0x48
	s_load_b256 s[16:23], s[0:1], 0x58
	s_mov_b32 s32, 0
	v_mov_b32_e32 v31, v0
	s_waitcnt lgkmcnt(0)
	v_dual_mov_b32 v1, s7 :: v_dual_mov_b32 v2, s8
	v_dual_mov_b32 v0, s24 :: v_dual_mov_b32 v3, s27
	;; [unrolled: 1-line block ×3, first 2 shown]
	v_mov_b32_e32 v6, s30
	scratch_store_b64 off, v[1:2], s32
	v_dual_mov_b32 v1, s25 :: v_dual_mov_b32 v2, s26
	v_dual_mov_b32 v7, s31 :: v_dual_mov_b32 v8, s36
	;; [unrolled: 1-line block ×13, first 2 shown]
	s_add_u32 s8, s0, 0x90
	s_addc_u32 s9, s1, 0
	s_mov_b32 s13, s14
	s_mov_b32 s14, s15
	;; [unrolled: 1-line block ×3, first 2 shown]
	s_getpc_b64 s[0:1]
	s_add_u32 s0, s0, _ZN4vllm22paged_attention_kernelI14__hip_bfloat16hLi128ELi16ELi128ELNS_18Fp8KVCacheDataTypeE1ELb1ELi512EEEvPfS3_PT_PKS4_PKT0_SA_ifPKiSC_iPKfiiiSE_SE_iiiii@rel32@lo+4
	s_addc_u32 s1, s1, _ZN4vllm22paged_attention_kernelI14__hip_bfloat16hLi128ELi16ELi128ELNS_18Fp8KVCacheDataTypeE1ELb1ELi512EEEvPfS3_PT_PKS4_PKT0_SA_ifPKiSC_iPKfiiiSE_SE_iiiii@rel32@hi+12
	s_delay_alu instid0(SALU_CYCLE_1)
	s_swappc_b64 s[30:31], s[0:1]
	s_endpgm
	.section	.rodata,"a",@progbits
	.p2align	6, 0x0
	.amdhsa_kernel _ZN4vllm25paged_attention_v2_kernelI14__hip_bfloat16hLi128ELi16ELi128ELNS_18Fp8KVCacheDataTypeE1ELb1ELi512EEEvPfS3_PT_PKS4_PKT0_SA_ifPKiSC_iPKfiiiSE_SE_iiiii
		.amdhsa_group_segment_fixed_size 288
		.amdhsa_private_segment_fixed_size 252
		.amdhsa_kernarg_size 400
		.amdhsa_user_sgpr_count 13
		.amdhsa_user_sgpr_dispatch_ptr 0
		.amdhsa_user_sgpr_queue_ptr 0
		.amdhsa_user_sgpr_kernarg_segment_ptr 1
		.amdhsa_user_sgpr_dispatch_id 0
		.amdhsa_user_sgpr_private_segment_size 0
		.amdhsa_wavefront_size32 1
		.amdhsa_uses_dynamic_stack 0
		.amdhsa_enable_private_segment 1
		.amdhsa_system_sgpr_workgroup_id_x 1
		.amdhsa_system_sgpr_workgroup_id_y 1
		.amdhsa_system_sgpr_workgroup_id_z 1
		.amdhsa_system_sgpr_workgroup_info 0
		.amdhsa_system_vgpr_workitem_id 0
		.amdhsa_next_free_vgpr 184
		.amdhsa_next_free_sgpr 44
		.amdhsa_reserve_vcc 1
		.amdhsa_float_round_mode_32 0
		.amdhsa_float_round_mode_16_64 0
		.amdhsa_float_denorm_mode_32 3
		.amdhsa_float_denorm_mode_16_64 3
		.amdhsa_dx10_clamp 1
		.amdhsa_ieee_mode 1
		.amdhsa_fp16_overflow 0
		.amdhsa_workgroup_processor_mode 1
		.amdhsa_memory_ordered 1
		.amdhsa_forward_progress 0
		.amdhsa_shared_vgpr_count 0
		.amdhsa_exception_fp_ieee_invalid_op 0
		.amdhsa_exception_fp_denorm_src 0
		.amdhsa_exception_fp_ieee_div_zero 0
		.amdhsa_exception_fp_ieee_overflow 0
		.amdhsa_exception_fp_ieee_underflow 0
		.amdhsa_exception_fp_ieee_inexact 0
		.amdhsa_exception_int_div_zero 0
	.end_amdhsa_kernel
	.section	.text._ZN4vllm25paged_attention_v2_kernelI14__hip_bfloat16hLi128ELi16ELi128ELNS_18Fp8KVCacheDataTypeE1ELb1ELi512EEEvPfS3_PT_PKS4_PKT0_SA_ifPKiSC_iPKfiiiSE_SE_iiiii,"axG",@progbits,_ZN4vllm25paged_attention_v2_kernelI14__hip_bfloat16hLi128ELi16ELi128ELNS_18Fp8KVCacheDataTypeE1ELb1ELi512EEEvPfS3_PT_PKS4_PKT0_SA_ifPKiSC_iPKfiiiSE_SE_iiiii,comdat
.Lfunc_end412:
	.size	_ZN4vllm25paged_attention_v2_kernelI14__hip_bfloat16hLi128ELi16ELi128ELNS_18Fp8KVCacheDataTypeE1ELb1ELi512EEEvPfS3_PT_PKS4_PKT0_SA_ifPKiSC_iPKfiiiSE_SE_iiiii, .Lfunc_end412-_ZN4vllm25paged_attention_v2_kernelI14__hip_bfloat16hLi128ELi16ELi128ELNS_18Fp8KVCacheDataTypeE1ELb1ELi512EEEvPfS3_PT_PKS4_PKT0_SA_ifPKiSC_iPKfiiiSE_SE_iiiii
                                        ; -- End function
	.section	.AMDGPU.csdata,"",@progbits
; Kernel info:
; codeLenInByte = 280
; NumSgprs: 46
; NumVgprs: 184
; ScratchSize: 252
; MemoryBound: 0
; FloatMode: 240
; IeeeMode: 1
; LDSByteSize: 288 bytes/workgroup (compile time only)
; SGPRBlocks: 5
; VGPRBlocks: 22
; NumSGPRsForWavesPerEU: 46
; NumVGPRsForWavesPerEU: 184
; Occupancy: 8
; WaveLimiterHint : 1
; COMPUTE_PGM_RSRC2:SCRATCH_EN: 1
; COMPUTE_PGM_RSRC2:USER_SGPR: 13
; COMPUTE_PGM_RSRC2:TRAP_HANDLER: 0
; COMPUTE_PGM_RSRC2:TGID_X_EN: 1
; COMPUTE_PGM_RSRC2:TGID_Y_EN: 1
; COMPUTE_PGM_RSRC2:TGID_Z_EN: 1
; COMPUTE_PGM_RSRC2:TIDIG_COMP_CNT: 0
	.text
	.p2align	2                               ; -- Begin function _ZN4vllm22paged_attention_kernelI14__hip_bfloat16hLi192ELi16ELi128ELNS_18Fp8KVCacheDataTypeE1ELb1ELi512EEEvPfS3_PT_PKS4_PKT0_SA_ifPKiSC_iPKfiiiSE_SE_iiiii
	.type	_ZN4vllm22paged_attention_kernelI14__hip_bfloat16hLi192ELi16ELi128ELNS_18Fp8KVCacheDataTypeE1ELb1ELi512EEEvPfS3_PT_PKS4_PKT0_SA_ifPKiSC_iPKfiiiSE_SE_iiiii,@function
_ZN4vllm22paged_attention_kernelI14__hip_bfloat16hLi192ELi16ELi128ELNS_18Fp8KVCacheDataTypeE1ELb1ELi512EEEvPfS3_PT_PKS4_PKT0_SA_ifPKiSC_iPKfiiiSE_SE_iiiii: ; @_ZN4vllm22paged_attention_kernelI14__hip_bfloat16hLi192ELi16ELi128ELNS_18Fp8KVCacheDataTypeE1ELb1ELi512EEEvPfS3_PT_PKS4_PKT0_SA_ifPKiSC_iPKfiiiSE_SE_iiiii
; %bb.0:
	s_waitcnt vmcnt(0) expcnt(0) lgkmcnt(0)
	s_clause 0x1f
	scratch_store_b32 off, v40, s32 offset:324
	; meta instruction
	scratch_store_b32 off, v41, s32 offset:320
	; meta instruction
	;; [unrolled: 2-line block ×31, first 2 shown]
	scratch_store_b32 off, v95, s32 offset:200
	s_clause 0x1f
	scratch_store_b32 off, v104, s32 offset:196
	; meta instruction
	scratch_store_b32 off, v105, s32 offset:192
	; meta instruction
	;; [unrolled: 2-line block ×31, first 2 shown]
	scratch_store_b32 off, v159, s32 offset:72
	s_clause 0xf
	scratch_store_b32 off, v168, s32 offset:68
	; meta instruction
	scratch_store_b32 off, v169, s32 offset:64
	; meta instruction
	;; [unrolled: 2-line block ×15, first 2 shown]
	scratch_store_b32 off, v191, s32 offset:8
	s_mov_b32 s4, s13
	s_ashr_i32 s5, s13, 31
	v_mov_b32_e32 v37, v1
	s_lshl_b64 s[0:1], s[4:5], 2
	s_mov_b32 s10, s15
	v_add_co_u32 v16, vcc_lo, v16, s0
	v_add_co_ci_u32_e32 v17, vcc_lo, s1, v17, vcc_lo
	s_lshl_b32 s15, s14, 9
	s_mov_b32 s5, exec_lo
	flat_load_b32 v85, v[16:17]
	s_clause 0x1
	scratch_load_b32 v32, off, s32 offset:4
	scratch_load_b32 v33, off, s32
	s_waitcnt vmcnt(2) lgkmcnt(0)
	v_cmpx_lt_i32_e64 s15, v85
	s_cbranch_execz .LBB413_2871
; %bb.1:
	v_sub_nc_u32_e32 v16, 0, v12
	s_clause 0x1
	scratch_store_b32 off, v4, s32 offset:336
	scratch_store_b32 off, v5, s32 offset:332
	s_clause 0x1
	s_load_b32 s0, s[8:9], 0x10
	s_load_b32 s1, s[8:9], 0x0
	v_mov_b32_e32 v112, 0
	v_max_i32_e32 v16, v12, v16
	s_delay_alu instid0(VALU_DEP_1) | instskip(SKIP_1) | instid1(VALU_DEP_2)
	v_cvt_f32_u32_e32 v17, v16
	v_sub_nc_u32_e32 v34, 0, v16
	v_rcp_iflag_f32_e32 v17, v17
	s_waitcnt lgkmcnt(0)
	s_lshr_b32 s0, s0, 16
	s_delay_alu instid0(SALU_CYCLE_1) | instskip(SKIP_3) | instid1(SALU_CYCLE_1)
	s_cmp_lg_u32 s0, 0
	s_waitcnt_depctr 0xfff
	v_mul_f32_e32 v17, 0x4f7ffffe, v17
	s_cselect_b32 s0, -1, 0
	s_cmp_lg_u32 s0, 0
	s_delay_alu instid0(VALU_DEP_1) | instskip(SKIP_3) | instid1(VALU_DEP_1)
	v_cvt_u32_f32_e32 v17, v17
	s_addc_u32 s16, s1, 0
	s_mov_b32 s1, exec_lo
	s_abs_i32 s0, s16
	v_mul_lo_u32 v34, v34, v17
	s_delay_alu instid0(VALU_DEP_1) | instskip(NEXT) | instid1(VALU_DEP_1)
	v_mul_hi_u32 v34, v17, v34
	v_add_nc_u32_e32 v17, v17, v34
	s_delay_alu instid0(VALU_DEP_1) | instskip(NEXT) | instid1(VALU_DEP_1)
	v_mul_hi_u32 v17, s0, v17
	v_mul_lo_u32 v34, v17, v16
	v_add_nc_u32_e32 v35, 1, v17
	s_delay_alu instid0(VALU_DEP_2) | instskip(SKIP_1) | instid1(VALU_DEP_1)
	v_sub_nc_u32_e32 v34, s0, v34
	s_abs_i32 s0, s12
	v_sub_nc_u32_e32 v36, v34, v16
	v_cmp_ge_u32_e32 vcc_lo, v34, v16
	s_delay_alu instid0(VALU_DEP_2) | instskip(SKIP_1) | instid1(VALU_DEP_2)
	v_dual_cndmask_b32 v17, v17, v35 :: v_dual_cndmask_b32 v34, v34, v36
	v_xor_b32_e32 v35, s16, v12
	v_add_nc_u32_e32 v36, 1, v17
	s_delay_alu instid0(VALU_DEP_3) | instskip(NEXT) | instid1(VALU_DEP_3)
	v_cmp_ge_u32_e32 vcc_lo, v34, v16
	v_ashrrev_i32_e32 v35, 31, v35
	s_delay_alu instid0(VALU_DEP_3) | instskip(NEXT) | instid1(VALU_DEP_1)
	v_cndmask_b32_e32 v16, v17, v36, vcc_lo
	v_xor_b32_e32 v16, v16, v35
	s_delay_alu instid0(VALU_DEP_1) | instskip(NEXT) | instid1(VALU_DEP_1)
	v_sub_nc_u32_e32 v35, v16, v35
	v_sub_nc_u32_e32 v16, 0, v35
	s_delay_alu instid0(VALU_DEP_1) | instskip(NEXT) | instid1(VALU_DEP_1)
	v_max_i32_e32 v34, v35, v16
	v_cvt_f32_u32_e32 v16, v34
	v_sub_nc_u32_e32 v17, 0, v34
	s_delay_alu instid0(VALU_DEP_2) | instskip(SKIP_2) | instid1(VALU_DEP_1)
	v_rcp_iflag_f32_e32 v16, v16
	s_waitcnt_depctr 0xfff
	v_mul_f32_e32 v16, 0x4f7ffffe, v16
	v_cvt_u32_f32_e32 v16, v16
	s_delay_alu instid0(VALU_DEP_1) | instskip(NEXT) | instid1(VALU_DEP_1)
	v_mul_lo_u32 v17, v17, v16
	v_mul_hi_u32 v17, v16, v17
	s_delay_alu instid0(VALU_DEP_1) | instskip(NEXT) | instid1(VALU_DEP_1)
	v_add_nc_u32_e32 v36, v16, v17
	v_mad_u64_u32 v[16:17], null, s0, v36, 0
	v_cmpx_ne_u64_e32 0, v[19:20]
	s_cbranch_execz .LBB413_3
; %bb.2:
	s_ashr_i32 s13, s12, 31
	s_delay_alu instid0(SALU_CYCLE_1) | instskip(NEXT) | instid1(SALU_CYCLE_1)
	s_lshl_b64 s[2:3], s[12:13], 2
	v_add_co_u32 v19, vcc_lo, v19, s2
	v_add_co_ci_u32_e32 v20, vcc_lo, s3, v20, vcc_lo
	flat_load_b32 v112, v[19:20]
.LBB413_3:
	s_or_b32 exec_lo, exec_lo, s1
	v_and_b32_e32 v84, 0x3ff, v31
	v_ashrrev_i32_e32 v16, 31, v35
	s_ashr_i32 s1, s12, 31
	s_mul_i32 s6, s12, 0xc0
	s_mov_b32 s2, exec_lo
	v_lshrrev_b32_e32 v1, 1, v84
	v_lshlrev_b32_e32 v39, 3, v84
	scratch_store_b32 off, v1, s32 offset:340 ; 4-byte Folded Spill
	v_cmpx_gt_u32_e32 48, v84
	s_cbranch_execz .LBB413_5
; %bb.4:
	v_mul_lo_u32 v19, s4, v21
	s_ashr_i32 s7, s6, 31
	v_lshrrev_b32_e32 v1, 1, v84
	s_lshl_b64 s[18:19], s[6:7], 1
	s_delay_alu instid0(VALU_DEP_2) | instskip(NEXT) | instid1(VALU_DEP_1)
	v_ashrrev_i32_e32 v20, 31, v19
	v_lshlrev_b64 v[19:20], 1, v[19:20]
	s_delay_alu instid0(VALU_DEP_1) | instskip(NEXT) | instid1(VALU_DEP_2)
	v_add_co_u32 v6, vcc_lo, v6, v19
	v_add_co_ci_u32_e32 v7, vcc_lo, v7, v20, vcc_lo
	v_lshlrev_b32_e32 v19, 3, v1
	s_delay_alu instid0(VALU_DEP_3) | instskip(NEXT) | instid1(VALU_DEP_3)
	v_add_co_u32 v6, vcc_lo, v6, s18
	v_add_co_ci_u32_e32 v7, vcc_lo, s19, v7, vcc_lo
	v_and_b32_e32 v1, 1, v84
	s_delay_alu instid0(VALU_DEP_3) | instskip(NEXT) | instid1(VALU_DEP_3)
	v_add_co_u32 v6, vcc_lo, v6, v39
	v_add_co_ci_u32_e32 v7, vcc_lo, 0, v7, vcc_lo
	s_delay_alu instid0(VALU_DEP_3)
	v_mad_u32_u24 v19, 0xc0, v1, v19
	flat_load_b64 v[6:7], v[6:7]
	s_waitcnt vmcnt(0) lgkmcnt(0)
	ds_store_b64 v19, v[6:7]
.LBB413_5:
	s_or_b32 exec_lo, exec_lo, s2
	s_waitcnt vmcnt(0)
	v_sub_nc_u32_e32 v6, 0, v33
	v_mul_lo_u32 v7, v17, v34
	v_add_nc_u32_e32 v20, 1, v17
	v_xor_b32_e32 v35, s1, v16
	s_waitcnt lgkmcnt(0)
	s_waitcnt_vscnt null, 0x0
	v_max_i32_e32 v87, v33, v6
	s_barrier
	buffer_gl0_inv
	v_sub_nc_u32_e32 v7, s0, v7
	v_cvt_f32_u32_e32 v6, v87
	v_sub_nc_u32_e32 v19, 0, v87
	s_mov_b32 s0, exec_lo
	s_delay_alu instid0(VALU_DEP_3) | instskip(NEXT) | instid1(VALU_DEP_3)
	v_cmp_ge_u32_e32 vcc_lo, v7, v34
	v_rcp_iflag_f32_e32 v6, v6
	v_sub_nc_u32_e32 v21, v7, v34
	v_dual_cndmask_b32 v20, v17, v20 :: v_dual_add_nc_u32 v17, -1, v85
	s_delay_alu instid0(VALU_DEP_2) | instskip(SKIP_4) | instid1(VALU_DEP_3)
	v_cndmask_b32_e32 v7, v7, v21, vcc_lo
	s_waitcnt_depctr 0xfff
	v_dual_mul_f32 v6, 0x4f7ffffe, v6 :: v_dual_add_nc_u32 v21, 1, v20
	v_cmp_ge_u32_e32 vcc_lo, v7, v34
	v_sub_nc_u32_e32 v31, 0, v17
	v_cvt_u32_f32_e32 v6, v6
	s_delay_alu instid0(VALU_DEP_2) | instskip(NEXT) | instid1(VALU_DEP_2)
	v_max_i32_e32 v16, v17, v31
	v_mul_lo_u32 v19, v19, v6
	s_delay_alu instid0(VALU_DEP_1) | instskip(SKIP_1) | instid1(VALU_DEP_2)
	v_mul_hi_u32 v19, v6, v19
	v_cndmask_b32_e32 v7, v20, v21, vcc_lo
                                        ; implicit-def: $vgpr20
	v_add_nc_u32_e32 v96, v6, v19
	s_delay_alu instid0(VALU_DEP_2) | instskip(NEXT) | instid1(VALU_DEP_2)
	v_xor_b32_e32 v19, v7, v35
	v_mad_u64_u32 v[6:7], null, v16, v96, 0
	s_delay_alu instid0(VALU_DEP_2)
	v_sub_nc_u32_e32 v6, v19, v35
	v_cmpx_gt_i32_e32 0, v32
	s_xor_b32 s0, exec_lo, s0
; %bb.6:
	s_delay_alu instid0(VALU_DEP_2) | instskip(NEXT) | instid1(VALU_DEP_1)
	v_mad_u64_u32 v[19:20], null, v28, v12, v[6:7]
                                        ; implicit-def: $vgpr28
	v_mul_lo_u32 v12, v19, v32
                                        ; implicit-def: $vgpr32
	s_delay_alu instid0(VALU_DEP_1)
	v_sub_nc_u32_e32 v20, 1, v12
; %bb.7:
	s_or_saveexec_b32 s0, s0
	v_ashrrev_i32_e32 v12, 31, v17
	v_ashrrev_i32_e32 v97, 31, v33
	s_xor_b32 exec_lo, exec_lo, s0
; %bb.8:
	v_mad_u64_u32 v[19:20], null, s16, v28, s[12:13]
	s_delay_alu instid0(VALU_DEP_1)
	v_mad_u64_u32 v[20:21], null, v19, v32, 1
; %bb.9:
	s_or_b32 exec_lo, exec_lo, s0
	v_mul_lo_u32 v17, v7, v87
	v_dual_mov_b32 v114, 0xff7fffff :: v_dual_add_nc_u32 v19, 15, v85
	v_add_nc_u32_e32 v21, 1, v7
	v_xor_b32_e32 v31, v12, v97
	s_clause 0x1
	s_load_b32 s17, s[8:9], 0x14
	s_load_b32 s7, s[8:9], 0x8
	v_lshrrev_b32_e32 v1, 5, v84
	s_lshl_b32 s13, s14, 5
	v_sub_nc_u32_e32 v17, v16, v17
	v_mul_lo_u32 v16, s4, v18
	v_ashrrev_i32_e32 v18, 31, v19
	s_add_i32 s0, s13, 32
	v_or_b32_e32 v64, s13, v1
	v_sub_nc_u32_e32 v28, v17, v87
	v_cmp_ge_u32_e32 vcc_lo, v17, v87
	v_lshrrev_b32_e32 v12, 28, v18
	v_sub_nc_u32_e32 v50, 0, v30
	v_ashrrev_i32_e32 v65, 31, v64
	v_mbcnt_lo_u32_b32 v113, -1, 0
	v_cndmask_b32_e32 v7, v7, v21, vcc_lo
	v_cndmask_b32_e32 v17, v17, v28, vcc_lo
	v_add_nc_u32_e32 v19, v19, v12
	v_mul_lo_u32 v21, v6, v23
	v_lshl_add_u32 v23, v1, 4, s15
	v_add_nc_u32_e32 v18, 1, v7
	v_cmp_ge_u32_e32 vcc_lo, v17, v87
	v_ashrrev_i32_e32 v38, 4, v19
	v_ashrrev_i32_e32 v17, 31, v16
	s_delay_alu instid0(VALU_DEP_4) | instskip(NEXT) | instid1(VALU_DEP_3)
	v_cndmask_b32_e32 v7, v7, v18, vcc_lo
	v_min_i32_e32 v98, s0, v38
	s_delay_alu instid0(VALU_DEP_3) | instskip(SKIP_1) | instid1(VALU_DEP_4)
	v_lshlrev_b64 v[48:49], 2, v[16:17]
	v_ashrrev_i32_e32 v51, 31, v21
	v_xor_b32_e32 v6, v7, v31
	s_delay_alu instid0(VALU_DEP_4) | instskip(NEXT) | instid1(VALU_DEP_2)
	v_cmp_lt_i32_e64 s0, v64, v98
	v_sub_nc_u32_e32 v6, v6, v31
	s_delay_alu instid0(VALU_DEP_1) | instskip(NEXT) | instid1(VALU_DEP_3)
	v_sub_nc_u32_e32 v99, v6, v29
	s_and_saveexec_b32 s18, s0
	s_cbranch_execz .LBB413_1171
; %bb.10:
	v_max_i32_e32 v115, v30, v50
	v_bfe_u32 v1, v84, 1, 4
	s_ashr_i32 s11, s10, 31
	s_getpc_b64 s[2:3]
	s_add_u32 s2, s2, llvm.amdgcn.dynlds.offset.table@rel32@lo+4
	s_addc_u32 s3, s3, llvm.amdgcn.dynlds.offset.table@rel32@hi+12
	s_lshl_b64 s[8:9], s[10:11], 2
	v_cvt_f32_u32_e32 v6, v115
	v_sub_nc_u32_e32 v17, 0, v115
	s_add_u32 s8, s8, s2
	s_addc_u32 s9, s9, s3
	s_clause 0x3
	scratch_store_b32 off, v38, s32 offset:368
	scratch_store_b32 off, v37, s32 offset:352
	;; [unrolled: 1-line block ×4, first 2 shown]
	v_rcp_iflag_f32_e32 v16, v6
	s_load_b32 s11, s[8:9], 0x0
	v_lshlrev_b64 v[6:7], 2, v[64:65]
	v_dual_mov_b32 v29, 0 :: v_dual_and_b32 v4, 1, v84
	v_add_co_u32 v8, s1, v8, v21
	v_lshlrev_b32_e32 v18, 4, v1
	v_add_co_ci_u32_e64 v9, s1, v9, v51, s1
	s_waitcnt_depctr 0xfff
	v_dual_mul_f32 v16, 0x4f7ffffe, v16 :: v_dual_lshlrev_b32 v19, 2, v1
	v_add_co_u32 v6, s2, v48, v6
	s_delay_alu instid0(VALU_DEP_1) | instskip(NEXT) | instid1(VALU_DEP_3)
	v_add_co_ci_u32_e64 v7, s2, v49, v7, s2
	v_cvt_u32_f32_e32 v16, v16
	v_cmp_eq_u32_e32 vcc_lo, 0, v4
	v_dual_mov_b32 v128, 0xff7fffff :: v_dual_lshlrev_b32 v117, 2, v4
	v_mul_u32_u24_e32 v118, 0xc0, v4
	s_delay_alu instid0(VALU_DEP_4) | instskip(SKIP_3) | instid1(VALU_DEP_1)
	v_mul_lo_u32 v17, v17, v16
	v_lshrrev_b32_e32 v4, 5, v84
	v_sub_nc_u32_e32 v28, v1, v85
	v_add_co_u32 v68, s2, v8, v18
	v_add_co_ci_u32_e64 v69, s2, 0, v9, s2
	v_add_co_u32 v70, s2, v14, v6
	v_mul_hi_u32 v17, v16, v17
	v_cmp_neq_f32_e64 s1, 0, v112
	v_lshl_add_u32 v119, v4, 4, s15
	v_mov_b32_e32 v114, 0xff7fffff
	v_lshl_or_b32 v129, v4, 6, v19
	v_add_nc_u32_e32 v4, 1, v28
	v_add_co_ci_u32_e64 v71, s2, v15, v7, s2
	v_add_nc_u32_e32 v131, v16, v17
	v_mov_b32_e32 v132, v64
	s_mov_b32 s19, 0
	s_clause 0x3
	scratch_store_b32 off, v21, s32 offset:364
	scratch_store_b32 off, v51, s32 offset:372
	scratch_store_b64 off, v[48:49], s32 offset:356
	scratch_store_b32 off, v4, s32 offset:328
	s_branch .LBB413_13
.LBB413_11:                             ;   in Loop: Header=BB413_13 Depth=1
	s_or_b32 exec_lo, exec_lo, s20
.LBB413_12:                             ;   in Loop: Header=BB413_13 Depth=1
	s_delay_alu instid0(SALU_CYCLE_1) | instskip(SKIP_2) | instid1(VALU_DEP_1)
	s_or_b32 exec_lo, exec_lo, s3
	v_add_nc_u32_e32 v132, 4, v132
	v_add_co_u32 v70, s3, v70, 16
	v_add_co_ci_u32_e64 v71, s3, 0, v71, s3
	s_delay_alu instid0(VALU_DEP_3) | instskip(SKIP_2) | instid1(VALU_DEP_3)
	v_cmp_ge_i32_e64 s2, v132, v98
	v_add_nc_u32_e32 v119, 64, v119
	v_add_nc_u32_e32 v129, 0x100, v129
	s_or_b32 s19, s2, s19
	s_delay_alu instid0(SALU_CYCLE_1)
	s_and_not1_b32 exec_lo, exec_lo, s19
	s_cbranch_execz .LBB413_1170
.LBB413_13:                             ; =>This Inner Loop Header: Depth=1
	v_sub_nc_u32_e32 v6, 0, v119
	s_delay_alu instid0(VALU_DEP_1) | instskip(SKIP_1) | instid1(VALU_DEP_1)
	v_max_i32_e32 v6, v119, v6
	s_waitcnt lgkmcnt(0)
	v_mul_hi_u32 v7, v6, v96
	s_delay_alu instid0(VALU_DEP_1) | instskip(NEXT) | instid1(VALU_DEP_1)
	v_mul_lo_u32 v8, v7, v87
	v_sub_nc_u32_e32 v6, v6, v8
	v_add_nc_u32_e32 v8, 1, v7
	s_delay_alu instid0(VALU_DEP_2) | instskip(SKIP_1) | instid1(VALU_DEP_1)
	v_sub_nc_u32_e32 v9, v6, v87
	v_cmp_ge_u32_e64 s2, v6, v87
	v_cndmask_b32_e64 v7, v7, v8, s2
	s_delay_alu instid0(VALU_DEP_3) | instskip(SKIP_1) | instid1(VALU_DEP_3)
	v_cndmask_b32_e64 v6, v6, v9, s2
	v_ashrrev_i32_e32 v8, 31, v119
	v_add_nc_u32_e32 v9, 1, v7
	s_delay_alu instid0(VALU_DEP_3) | instskip(NEXT) | instid1(VALU_DEP_3)
	v_cmp_ge_u32_e64 s2, v6, v87
	v_xor_b32_e32 v8, v8, v97
	s_delay_alu instid0(VALU_DEP_2) | instskip(NEXT) | instid1(VALU_DEP_1)
	v_cndmask_b32_e64 v6, v7, v9, s2
	v_xor_b32_e32 v6, v6, v8
	s_delay_alu instid0(VALU_DEP_1) | instskip(NEXT) | instid1(VALU_DEP_1)
	v_sub_nc_u32_e32 v6, v6, v8
	v_add_nc_u32_e32 v7, v6, v20
	v_cmp_le_i32_e64 s3, v6, v99
	s_delay_alu instid0(VALU_DEP_2) | instskip(NEXT) | instid1(VALU_DEP_1)
	v_sub_nc_u32_e32 v8, 0, v7
	v_max_i32_e32 v8, v7, v8
	v_ashrrev_i32_e32 v7, 31, v7
	s_delay_alu instid0(VALU_DEP_2) | instskip(NEXT) | instid1(VALU_DEP_1)
	v_mul_hi_u32 v9, v8, v131
	v_mul_lo_u32 v9, v9, v115
	s_delay_alu instid0(VALU_DEP_1) | instskip(NEXT) | instid1(VALU_DEP_1)
	v_sub_nc_u32_e32 v8, v8, v9
	v_sub_nc_u32_e32 v9, v8, v115
	v_cmp_ge_u32_e64 s2, v8, v115
	s_delay_alu instid0(VALU_DEP_1) | instskip(NEXT) | instid1(VALU_DEP_1)
	v_cndmask_b32_e64 v8, v8, v9, s2
	v_sub_nc_u32_e32 v9, v8, v115
	v_cmp_ge_u32_e64 s2, v8, v115
	s_delay_alu instid0(VALU_DEP_1) | instskip(NEXT) | instid1(VALU_DEP_1)
	v_cndmask_b32_e64 v8, v8, v9, s2
	v_xor_b32_e32 v8, v8, v7
	s_delay_alu instid0(VALU_DEP_1) | instskip(NEXT) | instid1(VALU_DEP_1)
	v_sub_nc_u32_e32 v7, v8, v7
	v_cmp_ne_u32_e64 s2, 0, v7
	s_delay_alu instid0(VALU_DEP_1) | instskip(NEXT) | instid1(SALU_CYCLE_1)
	s_and_b32 s2, s2, s3
	s_and_b32 s20, vcc_lo, s2
	s_delay_alu instid0(SALU_CYCLE_1)
	s_and_saveexec_b32 s3, s20
	s_cbranch_execz .LBB413_15
; %bb.14:                               ;   in Loop: Header=BB413_13 Depth=1
	s_waitcnt lgkmcnt(0)
	v_add_nc_u32_e32 v6, s11, v129
	ds_store_b32 v6, v128
.LBB413_15:                             ;   in Loop: Header=BB413_13 Depth=1
	s_or_b32 exec_lo, exec_lo, s3
	s_xor_b32 s2, s2, -1
	s_delay_alu instid0(SALU_CYCLE_1)
	s_and_saveexec_b32 s3, s2
	s_cbranch_execz .LBB413_12
; %bb.16:                               ;   in Loop: Header=BB413_13 Depth=1
	flat_load_b32 v8, v[70:71]
	v_mov_b32_e32 v28, 0
	s_mov_b32 s20, exec_lo
	s_waitcnt vmcnt(0) lgkmcnt(0)
	v_mad_i64_i32 v[6:7], null, v8, v22, v[68:69]
	s_delay_alu instid0(VALU_DEP_1) | instskip(NEXT) | instid1(VALU_DEP_1)
	v_add_co_u32 v80, s2, v6, v117
	v_add_co_ci_u32_e64 v81, s2, 0, v7, s2
	flat_load_b32 v147, v[80:81]
	flat_load_b32 v144, v[24:25]
	ds_load_b128 v[52:55], v118
	ds_load_b128 v[48:51], v118 offset:16
	ds_load_b128 v[35:38], v118 offset:32
	;; [unrolled: 1-line block ×5, first 2 shown]
	ds_load_b32 v133, v118 offset:96
	ds_load_u16 v134, v118 offset:100
	s_waitcnt vmcnt(1) lgkmcnt(9)
	v_and_b32_e32 v82, 0xff, v147
	s_delay_alu instid0(VALU_DEP_1)
	v_cmpx_ne_u16_e32 0, v82
	s_cbranch_execz .LBB413_24
; %bb.17:                               ;   in Loop: Header=BB413_13 Depth=1
	v_bfrev_b32_e32 v28, 1
	s_mov_b32 s21, exec_lo
	v_cmpx_ne_u16_e32 0x80, v82
	s_cbranch_execz .LBB413_23
; %bb.18:                               ;   in Loop: Header=BB413_13 Depth=1
	v_and_b32_e32 v82, 0x7f, v147
	v_mov_b32_e32 v28, 0x7f800001
	s_mov_b32 s22, exec_lo
	s_delay_alu instid0(VALU_DEP_2)
	v_cmpx_ne_u32_e32 0x7f, v82
	s_cbranch_execz .LBB413_22
; %bb.19:                               ;   in Loop: Header=BB413_13 Depth=1
	v_and_b32_e32 v28, 7, v147
	v_lshrrev_b32_e32 v135, 3, v82
	v_cmp_gt_u32_e64 s2, 8, v82
	s_delay_alu instid0(VALU_DEP_3) | instskip(NEXT) | instid1(VALU_DEP_2)
	v_dual_mov_b32 v83, v29 :: v_dual_mov_b32 v82, v28
	s_and_saveexec_b32 s23, s2
; %bb.20:                               ;   in Loop: Header=BB413_13 Depth=1
	v_clz_i32_u32_e32 v82, v28
	s_delay_alu instid0(VALU_DEP_1) | instskip(NEXT) | instid1(VALU_DEP_1)
	v_min_u32_e32 v135, 32, v82
	v_subrev_nc_u32_e32 v82, 28, v135
	v_sub_nc_u32_e32 v135, 29, v135
	s_delay_alu instid0(VALU_DEP_2) | instskip(NEXT) | instid1(VALU_DEP_1)
	v_lshlrev_b64 v[82:83], v82, v[28:29]
	v_and_b32_e32 v82, 7, v82
; %bb.21:                               ;   in Loop: Header=BB413_13 Depth=1
	s_or_b32 exec_lo, exec_lo, s23
	v_lshlrev_b32_e32 v28, 24, v147
	s_delay_alu instid0(VALU_DEP_2) | instskip(SKIP_1) | instid1(VALU_DEP_3)
	v_lshlrev_b32_e32 v82, 20, v82
	v_lshl_add_u32 v83, v135, 23, 0x3c000000
	v_and_b32_e32 v28, 0x80000000, v28
	s_delay_alu instid0(VALU_DEP_1)
	v_or3_b32 v28, v82, v28, v83
.LBB413_22:                             ;   in Loop: Header=BB413_13 Depth=1
	s_or_b32 exec_lo, exec_lo, s22
.LBB413_23:                             ;   in Loop: Header=BB413_13 Depth=1
	s_delay_alu instid0(SALU_CYCLE_1)
	s_or_b32 exec_lo, exec_lo, s21
.LBB413_24:                             ;   in Loop: Header=BB413_13 Depth=1
	s_delay_alu instid0(SALU_CYCLE_1) | instskip(SKIP_2) | instid1(VALU_DEP_1)
	s_or_b32 exec_lo, exec_lo, s20
	s_waitcnt vmcnt(0) lgkmcnt(8)
	v_mul_f32_e32 v28, v144, v28
                                        ; implicit-def: $vgpr135
	v_and_b32_e32 v82, 0x7f800000, v28
	s_delay_alu instid0(VALU_DEP_1) | instskip(NEXT) | instid1(VALU_DEP_1)
	v_cmp_ne_u32_e64 s2, 0x7f800000, v82
	s_and_saveexec_b32 s20, s2
	s_delay_alu instid0(SALU_CYCLE_1)
	s_xor_b32 s2, exec_lo, s20
; %bb.25:                               ;   in Loop: Header=BB413_13 Depth=1
	v_bfe_u32 v82, v28, 16, 1
	s_delay_alu instid0(VALU_DEP_1)
	v_add3_u32 v135, v28, v82, 0x7fff
                                        ; implicit-def: $vgpr28
; %bb.26:                               ;   in Loop: Header=BB413_13 Depth=1
	s_and_not1_saveexec_b32 s20, s2
; %bb.27:                               ;   in Loop: Header=BB413_13 Depth=1
	v_and_b32_e32 v82, 0xffff, v28
	v_or_b32_e32 v83, 0x10000, v28
	s_delay_alu instid0(VALU_DEP_2) | instskip(NEXT) | instid1(VALU_DEP_1)
	v_cmp_eq_u32_e64 s2, 0, v82
	v_cndmask_b32_e64 v135, v83, v28, s2
; %bb.28:                               ;   in Loop: Header=BB413_13 Depth=1
	s_or_b32 exec_lo, exec_lo, s20
	v_lshrrev_b16 v82, 8, v147
	v_mov_b32_e32 v28, 0
	s_mov_b32 s20, exec_lo
	s_delay_alu instid0(VALU_DEP_2)
	v_cmpx_ne_u16_e32 0, v82
	s_cbranch_execz .LBB413_36
; %bb.29:                               ;   in Loop: Header=BB413_13 Depth=1
	v_bfrev_b32_e32 v28, 1
	s_mov_b32 s21, exec_lo
	v_cmpx_ne_u16_e32 0x80, v82
	s_cbranch_execz .LBB413_35
; %bb.30:                               ;   in Loop: Header=BB413_13 Depth=1
	v_and_b32_e32 v83, 0xffff, v82
	v_mov_b32_e32 v28, 0x7f800001
	s_mov_b32 s22, exec_lo
	s_delay_alu instid0(VALU_DEP_2) | instskip(NEXT) | instid1(VALU_DEP_1)
	v_and_b32_e32 v82, 0x7f, v83
	v_cmpx_ne_u32_e32 0x7f, v82
	s_cbranch_execz .LBB413_34
; %bb.31:                               ;   in Loop: Header=BB413_13 Depth=1
	v_and_b32_e32 v28, 7, v83
	v_lshrrev_b32_e32 v145, 3, v82
	v_cmp_gt_u32_e64 s2, 8, v82
	s_delay_alu instid0(VALU_DEP_3) | instskip(NEXT) | instid1(VALU_DEP_2)
	v_dual_mov_b32 v83, v29 :: v_dual_mov_b32 v82, v28
	s_and_saveexec_b32 s23, s2
; %bb.32:                               ;   in Loop: Header=BB413_13 Depth=1
	v_clz_i32_u32_e32 v82, v28
	s_delay_alu instid0(VALU_DEP_1) | instskip(NEXT) | instid1(VALU_DEP_1)
	v_min_u32_e32 v145, 32, v82
	v_subrev_nc_u32_e32 v82, 28, v145
	v_sub_nc_u32_e32 v145, 29, v145
	s_delay_alu instid0(VALU_DEP_2) | instskip(NEXT) | instid1(VALU_DEP_1)
	v_lshlrev_b64 v[82:83], v82, v[28:29]
	v_and_b32_e32 v82, 7, v82
; %bb.33:                               ;   in Loop: Header=BB413_13 Depth=1
	s_or_b32 exec_lo, exec_lo, s23
	v_lshlrev_b32_e32 v28, 16, v147
	s_delay_alu instid0(VALU_DEP_2) | instskip(SKIP_1) | instid1(VALU_DEP_3)
	v_lshlrev_b32_e32 v82, 20, v82
	v_lshl_add_u32 v83, v145, 23, 0x3c000000
	v_and_b32_e32 v28, 0x80000000, v28
	s_delay_alu instid0(VALU_DEP_1)
	v_or3_b32 v28, v82, v28, v83
.LBB413_34:                             ;   in Loop: Header=BB413_13 Depth=1
	s_or_b32 exec_lo, exec_lo, s22
.LBB413_35:                             ;   in Loop: Header=BB413_13 Depth=1
	s_delay_alu instid0(SALU_CYCLE_1)
	s_or_b32 exec_lo, exec_lo, s21
.LBB413_36:                             ;   in Loop: Header=BB413_13 Depth=1
	s_delay_alu instid0(SALU_CYCLE_1) | instskip(NEXT) | instid1(VALU_DEP_1)
	s_or_b32 exec_lo, exec_lo, s20
	v_mul_f32_e32 v28, v144, v28
                                        ; implicit-def: $vgpr145
	s_delay_alu instid0(VALU_DEP_1) | instskip(NEXT) | instid1(VALU_DEP_1)
	v_and_b32_e32 v82, 0x7f800000, v28
	v_cmp_ne_u32_e64 s2, 0x7f800000, v82
	s_delay_alu instid0(VALU_DEP_1) | instskip(NEXT) | instid1(SALU_CYCLE_1)
	s_and_saveexec_b32 s20, s2
	s_xor_b32 s2, exec_lo, s20
; %bb.37:                               ;   in Loop: Header=BB413_13 Depth=1
	v_bfe_u32 v82, v28, 16, 1
	s_delay_alu instid0(VALU_DEP_1)
	v_add3_u32 v145, v28, v82, 0x7fff
                                        ; implicit-def: $vgpr28
; %bb.38:                               ;   in Loop: Header=BB413_13 Depth=1
	s_and_not1_saveexec_b32 s20, s2
; %bb.39:                               ;   in Loop: Header=BB413_13 Depth=1
	v_and_b32_e32 v82, 0xffff, v28
	v_or_b32_e32 v83, 0x10000, v28
	s_delay_alu instid0(VALU_DEP_2) | instskip(NEXT) | instid1(VALU_DEP_1)
	v_cmp_eq_u32_e64 s2, 0, v82
	v_cndmask_b32_e64 v145, v83, v28, s2
; %bb.40:                               ;   in Loop: Header=BB413_13 Depth=1
	s_or_b32 exec_lo, exec_lo, s20
	v_lshrrev_b32_e32 v146, 16, v147
	v_mov_b32_e32 v28, 0
	s_mov_b32 s20, exec_lo
	s_delay_alu instid0(VALU_DEP_2) | instskip(NEXT) | instid1(VALU_DEP_1)
	v_and_b32_e32 v82, 0xff, v146
	v_cmpx_ne_u16_e32 0, v82
	s_cbranch_execz .LBB413_48
; %bb.41:                               ;   in Loop: Header=BB413_13 Depth=1
	v_bfrev_b32_e32 v28, 1
	s_mov_b32 s21, exec_lo
	v_cmpx_ne_u16_e32 0x80, v82
	s_cbranch_execz .LBB413_47
; %bb.42:                               ;   in Loop: Header=BB413_13 Depth=1
	v_bfe_u32 v82, v147, 16, 7
	v_mov_b32_e32 v28, 0x7f800001
	s_mov_b32 s22, exec_lo
	s_delay_alu instid0(VALU_DEP_2)
	v_cmpx_ne_u32_e32 0x7f, v82
	s_cbranch_execz .LBB413_46
; %bb.43:                               ;   in Loop: Header=BB413_13 Depth=1
	v_and_b32_e32 v28, 7, v146
	v_lshrrev_b32_e32 v148, 3, v82
	v_cmp_gt_u32_e64 s2, 8, v82
	s_delay_alu instid0(VALU_DEP_3) | instskip(NEXT) | instid1(VALU_DEP_2)
	v_dual_mov_b32 v83, v29 :: v_dual_mov_b32 v82, v28
	s_and_saveexec_b32 s23, s2
; %bb.44:                               ;   in Loop: Header=BB413_13 Depth=1
	v_clz_i32_u32_e32 v82, v28
	s_delay_alu instid0(VALU_DEP_1) | instskip(NEXT) | instid1(VALU_DEP_1)
	v_min_u32_e32 v148, 32, v82
	v_subrev_nc_u32_e32 v82, 28, v148
	v_sub_nc_u32_e32 v148, 29, v148
	s_delay_alu instid0(VALU_DEP_2) | instskip(NEXT) | instid1(VALU_DEP_1)
	v_lshlrev_b64 v[82:83], v82, v[28:29]
	v_and_b32_e32 v82, 7, v82
; %bb.45:                               ;   in Loop: Header=BB413_13 Depth=1
	s_or_b32 exec_lo, exec_lo, s23
	v_lshlrev_b32_e32 v28, 24, v146
	s_delay_alu instid0(VALU_DEP_2) | instskip(SKIP_1) | instid1(VALU_DEP_3)
	v_lshlrev_b32_e32 v82, 20, v82
	v_lshl_add_u32 v83, v148, 23, 0x3c000000
	v_and_b32_e32 v28, 0x80000000, v28
	s_delay_alu instid0(VALU_DEP_1)
	v_or3_b32 v28, v82, v28, v83
.LBB413_46:                             ;   in Loop: Header=BB413_13 Depth=1
	s_or_b32 exec_lo, exec_lo, s22
.LBB413_47:                             ;   in Loop: Header=BB413_13 Depth=1
	s_delay_alu instid0(SALU_CYCLE_1)
	s_or_b32 exec_lo, exec_lo, s21
.LBB413_48:                             ;   in Loop: Header=BB413_13 Depth=1
	s_delay_alu instid0(SALU_CYCLE_1) | instskip(NEXT) | instid1(VALU_DEP_1)
	s_or_b32 exec_lo, exec_lo, s20
	v_mul_f32_e32 v28, v144, v28
                                        ; implicit-def: $vgpr146
	s_delay_alu instid0(VALU_DEP_1) | instskip(NEXT) | instid1(VALU_DEP_1)
	v_and_b32_e32 v82, 0x7f800000, v28
	v_cmp_ne_u32_e64 s2, 0x7f800000, v82
	s_delay_alu instid0(VALU_DEP_1) | instskip(NEXT) | instid1(SALU_CYCLE_1)
	s_and_saveexec_b32 s20, s2
	s_xor_b32 s2, exec_lo, s20
; %bb.49:                               ;   in Loop: Header=BB413_13 Depth=1
	v_bfe_u32 v82, v28, 16, 1
	s_delay_alu instid0(VALU_DEP_1)
	v_add3_u32 v146, v28, v82, 0x7fff
                                        ; implicit-def: $vgpr28
; %bb.50:                               ;   in Loop: Header=BB413_13 Depth=1
	s_and_not1_saveexec_b32 s20, s2
; %bb.51:                               ;   in Loop: Header=BB413_13 Depth=1
	v_and_b32_e32 v82, 0xffff, v28
	v_or_b32_e32 v83, 0x10000, v28
	s_delay_alu instid0(VALU_DEP_2) | instskip(NEXT) | instid1(VALU_DEP_1)
	v_cmp_eq_u32_e64 s2, 0, v82
	v_cndmask_b32_e64 v146, v83, v28, s2
; %bb.52:                               ;   in Loop: Header=BB413_13 Depth=1
	s_or_b32 exec_lo, exec_lo, s20
	v_mov_b32_e32 v28, 0
	s_mov_b32 s20, exec_lo
	v_cmpx_lt_u32_e32 0xffffff, v147
	s_cbranch_execz .LBB413_60
; %bb.53:                               ;   in Loop: Header=BB413_13 Depth=1
	v_lshrrev_b32_e32 v148, 24, v147
	v_bfrev_b32_e32 v28, 1
	s_mov_b32 s21, exec_lo
	s_delay_alu instid0(VALU_DEP_2)
	v_cmpx_ne_u32_e32 0x80, v148
	s_cbranch_execz .LBB413_59
; %bb.54:                               ;   in Loop: Header=BB413_13 Depth=1
	v_bfe_u32 v82, v147, 24, 7
	v_mov_b32_e32 v28, 0x7f800001
	s_mov_b32 s22, exec_lo
	s_delay_alu instid0(VALU_DEP_2)
	v_cmpx_ne_u32_e32 0x7f, v82
	s_cbranch_execz .LBB413_58
; %bb.55:                               ;   in Loop: Header=BB413_13 Depth=1
	v_and_b32_e32 v28, 7, v148
	v_lshrrev_b32_e32 v147, 3, v82
	v_cmp_gt_u32_e64 s2, 8, v82
	s_delay_alu instid0(VALU_DEP_3) | instskip(NEXT) | instid1(VALU_DEP_2)
	v_dual_mov_b32 v83, v29 :: v_dual_mov_b32 v82, v28
	s_and_saveexec_b32 s23, s2
; %bb.56:                               ;   in Loop: Header=BB413_13 Depth=1
	v_clz_i32_u32_e32 v82, v28
	s_delay_alu instid0(VALU_DEP_1) | instskip(NEXT) | instid1(VALU_DEP_1)
	v_min_u32_e32 v147, 32, v82
	v_subrev_nc_u32_e32 v82, 28, v147
	v_sub_nc_u32_e32 v147, 29, v147
	s_delay_alu instid0(VALU_DEP_2) | instskip(NEXT) | instid1(VALU_DEP_1)
	v_lshlrev_b64 v[82:83], v82, v[28:29]
	v_and_b32_e32 v82, 7, v82
; %bb.57:                               ;   in Loop: Header=BB413_13 Depth=1
	s_or_b32 exec_lo, exec_lo, s23
	v_lshlrev_b32_e32 v28, 24, v148
	s_delay_alu instid0(VALU_DEP_2) | instskip(SKIP_1) | instid1(VALU_DEP_3)
	v_lshlrev_b32_e32 v82, 20, v82
	v_lshl_add_u32 v83, v147, 23, 0x3c000000
	v_and_b32_e32 v28, 0x80000000, v28
	s_delay_alu instid0(VALU_DEP_1)
	v_or3_b32 v28, v82, v28, v83
.LBB413_58:                             ;   in Loop: Header=BB413_13 Depth=1
	s_or_b32 exec_lo, exec_lo, s22
.LBB413_59:                             ;   in Loop: Header=BB413_13 Depth=1
	s_delay_alu instid0(SALU_CYCLE_1)
	s_or_b32 exec_lo, exec_lo, s21
.LBB413_60:                             ;   in Loop: Header=BB413_13 Depth=1
	s_delay_alu instid0(SALU_CYCLE_1) | instskip(NEXT) | instid1(VALU_DEP_1)
	s_or_b32 exec_lo, exec_lo, s20
	v_mul_f32_e32 v28, v144, v28
                                        ; implicit-def: $vgpr147
	s_delay_alu instid0(VALU_DEP_1) | instskip(NEXT) | instid1(VALU_DEP_1)
	v_and_b32_e32 v82, 0x7f800000, v28
	v_cmp_ne_u32_e64 s2, 0x7f800000, v82
	s_delay_alu instid0(VALU_DEP_1) | instskip(NEXT) | instid1(SALU_CYCLE_1)
	s_and_saveexec_b32 s20, s2
	s_xor_b32 s2, exec_lo, s20
; %bb.61:                               ;   in Loop: Header=BB413_13 Depth=1
	v_bfe_u32 v82, v28, 16, 1
	s_delay_alu instid0(VALU_DEP_1)
	v_add3_u32 v147, v28, v82, 0x7fff
                                        ; implicit-def: $vgpr28
; %bb.62:                               ;   in Loop: Header=BB413_13 Depth=1
	s_and_not1_saveexec_b32 s20, s2
; %bb.63:                               ;   in Loop: Header=BB413_13 Depth=1
	v_and_b32_e32 v82, 0xffff, v28
	v_or_b32_e32 v83, 0x10000, v28
	s_delay_alu instid0(VALU_DEP_2) | instskip(NEXT) | instid1(VALU_DEP_1)
	v_cmp_eq_u32_e64 s2, 0, v82
	v_cndmask_b32_e64 v147, v83, v28, s2
; %bb.64:                               ;   in Loop: Header=BB413_13 Depth=1
	s_or_b32 exec_lo, exec_lo, s20
	flat_load_b32 v151, v[80:81] offset:8
	v_mov_b32_e32 v28, 0
	s_mov_b32 s20, exec_lo
	s_waitcnt vmcnt(0) lgkmcnt(0)
	v_and_b32_e32 v82, 0xff, v151
	s_delay_alu instid0(VALU_DEP_1)
	v_cmpx_ne_u16_e32 0, v82
	s_cbranch_execz .LBB413_72
; %bb.65:                               ;   in Loop: Header=BB413_13 Depth=1
	v_bfrev_b32_e32 v28, 1
	s_mov_b32 s21, exec_lo
	v_cmpx_ne_u16_e32 0x80, v82
	s_cbranch_execz .LBB413_71
; %bb.66:                               ;   in Loop: Header=BB413_13 Depth=1
	v_and_b32_e32 v82, 0x7f, v151
	v_mov_b32_e32 v28, 0x7f800001
	s_mov_b32 s22, exec_lo
	s_delay_alu instid0(VALU_DEP_2)
	v_cmpx_ne_u32_e32 0x7f, v82
	s_cbranch_execz .LBB413_70
; %bb.67:                               ;   in Loop: Header=BB413_13 Depth=1
	v_and_b32_e32 v28, 7, v151
	v_lshrrev_b32_e32 v148, 3, v82
	v_cmp_gt_u32_e64 s2, 8, v82
	s_delay_alu instid0(VALU_DEP_3) | instskip(NEXT) | instid1(VALU_DEP_2)
	v_dual_mov_b32 v83, v29 :: v_dual_mov_b32 v82, v28
	s_and_saveexec_b32 s23, s2
; %bb.68:                               ;   in Loop: Header=BB413_13 Depth=1
	v_clz_i32_u32_e32 v82, v28
	s_delay_alu instid0(VALU_DEP_1) | instskip(NEXT) | instid1(VALU_DEP_1)
	v_min_u32_e32 v148, 32, v82
	v_subrev_nc_u32_e32 v82, 28, v148
	v_sub_nc_u32_e32 v148, 29, v148
	s_delay_alu instid0(VALU_DEP_2) | instskip(NEXT) | instid1(VALU_DEP_1)
	v_lshlrev_b64 v[82:83], v82, v[28:29]
	v_and_b32_e32 v82, 7, v82
; %bb.69:                               ;   in Loop: Header=BB413_13 Depth=1
	s_or_b32 exec_lo, exec_lo, s23
	v_lshlrev_b32_e32 v28, 24, v151
	s_delay_alu instid0(VALU_DEP_2) | instskip(SKIP_1) | instid1(VALU_DEP_3)
	v_lshlrev_b32_e32 v82, 20, v82
	v_lshl_add_u32 v83, v148, 23, 0x3c000000
	v_and_b32_e32 v28, 0x80000000, v28
	s_delay_alu instid0(VALU_DEP_1)
	v_or3_b32 v28, v82, v28, v83
.LBB413_70:                             ;   in Loop: Header=BB413_13 Depth=1
	s_or_b32 exec_lo, exec_lo, s22
.LBB413_71:                             ;   in Loop: Header=BB413_13 Depth=1
	s_delay_alu instid0(SALU_CYCLE_1)
	s_or_b32 exec_lo, exec_lo, s21
.LBB413_72:                             ;   in Loop: Header=BB413_13 Depth=1
	s_delay_alu instid0(SALU_CYCLE_1) | instskip(NEXT) | instid1(VALU_DEP_1)
	s_or_b32 exec_lo, exec_lo, s20
	v_mul_f32_e32 v28, v144, v28
                                        ; implicit-def: $vgpr148
	s_delay_alu instid0(VALU_DEP_1) | instskip(NEXT) | instid1(VALU_DEP_1)
	v_and_b32_e32 v82, 0x7f800000, v28
	v_cmp_ne_u32_e64 s2, 0x7f800000, v82
	s_delay_alu instid0(VALU_DEP_1) | instskip(NEXT) | instid1(SALU_CYCLE_1)
	s_and_saveexec_b32 s20, s2
	s_xor_b32 s2, exec_lo, s20
; %bb.73:                               ;   in Loop: Header=BB413_13 Depth=1
	v_bfe_u32 v82, v28, 16, 1
	s_delay_alu instid0(VALU_DEP_1)
	v_add3_u32 v148, v28, v82, 0x7fff
                                        ; implicit-def: $vgpr28
; %bb.74:                               ;   in Loop: Header=BB413_13 Depth=1
	s_and_not1_saveexec_b32 s20, s2
; %bb.75:                               ;   in Loop: Header=BB413_13 Depth=1
	v_and_b32_e32 v82, 0xffff, v28
	v_or_b32_e32 v83, 0x10000, v28
	s_delay_alu instid0(VALU_DEP_2) | instskip(NEXT) | instid1(VALU_DEP_1)
	v_cmp_eq_u32_e64 s2, 0, v82
	v_cndmask_b32_e64 v148, v83, v28, s2
; %bb.76:                               ;   in Loop: Header=BB413_13 Depth=1
	s_or_b32 exec_lo, exec_lo, s20
	v_lshrrev_b16 v82, 8, v151
	v_mov_b32_e32 v28, 0
	s_mov_b32 s20, exec_lo
	s_delay_alu instid0(VALU_DEP_2)
	v_cmpx_ne_u16_e32 0, v82
	s_cbranch_execz .LBB413_84
; %bb.77:                               ;   in Loop: Header=BB413_13 Depth=1
	v_bfrev_b32_e32 v28, 1
	s_mov_b32 s21, exec_lo
	v_cmpx_ne_u16_e32 0x80, v82
	s_cbranch_execz .LBB413_83
; %bb.78:                               ;   in Loop: Header=BB413_13 Depth=1
	v_and_b32_e32 v83, 0xffff, v82
	v_mov_b32_e32 v28, 0x7f800001
	s_mov_b32 s22, exec_lo
	s_delay_alu instid0(VALU_DEP_2) | instskip(NEXT) | instid1(VALU_DEP_1)
	v_and_b32_e32 v82, 0x7f, v83
	v_cmpx_ne_u32_e32 0x7f, v82
	s_cbranch_execz .LBB413_82
; %bb.79:                               ;   in Loop: Header=BB413_13 Depth=1
	v_and_b32_e32 v28, 7, v83
	v_lshrrev_b32_e32 v149, 3, v82
	v_cmp_gt_u32_e64 s2, 8, v82
	s_delay_alu instid0(VALU_DEP_3) | instskip(NEXT) | instid1(VALU_DEP_2)
	v_dual_mov_b32 v83, v29 :: v_dual_mov_b32 v82, v28
	s_and_saveexec_b32 s23, s2
; %bb.80:                               ;   in Loop: Header=BB413_13 Depth=1
	v_clz_i32_u32_e32 v82, v28
	s_delay_alu instid0(VALU_DEP_1) | instskip(NEXT) | instid1(VALU_DEP_1)
	v_min_u32_e32 v149, 32, v82
	v_subrev_nc_u32_e32 v82, 28, v149
	v_sub_nc_u32_e32 v149, 29, v149
	s_delay_alu instid0(VALU_DEP_2) | instskip(NEXT) | instid1(VALU_DEP_1)
	v_lshlrev_b64 v[82:83], v82, v[28:29]
	v_and_b32_e32 v82, 7, v82
; %bb.81:                               ;   in Loop: Header=BB413_13 Depth=1
	s_or_b32 exec_lo, exec_lo, s23
	v_lshlrev_b32_e32 v28, 16, v151
	s_delay_alu instid0(VALU_DEP_2) | instskip(SKIP_1) | instid1(VALU_DEP_3)
	v_lshlrev_b32_e32 v82, 20, v82
	v_lshl_add_u32 v83, v149, 23, 0x3c000000
	v_and_b32_e32 v28, 0x80000000, v28
	s_delay_alu instid0(VALU_DEP_1)
	v_or3_b32 v28, v82, v28, v83
.LBB413_82:                             ;   in Loop: Header=BB413_13 Depth=1
	s_or_b32 exec_lo, exec_lo, s22
.LBB413_83:                             ;   in Loop: Header=BB413_13 Depth=1
	s_delay_alu instid0(SALU_CYCLE_1)
	s_or_b32 exec_lo, exec_lo, s21
.LBB413_84:                             ;   in Loop: Header=BB413_13 Depth=1
	s_delay_alu instid0(SALU_CYCLE_1) | instskip(NEXT) | instid1(VALU_DEP_1)
	s_or_b32 exec_lo, exec_lo, s20
	v_mul_f32_e32 v28, v144, v28
                                        ; implicit-def: $vgpr149
	s_delay_alu instid0(VALU_DEP_1) | instskip(NEXT) | instid1(VALU_DEP_1)
	v_and_b32_e32 v82, 0x7f800000, v28
	v_cmp_ne_u32_e64 s2, 0x7f800000, v82
	s_delay_alu instid0(VALU_DEP_1) | instskip(NEXT) | instid1(SALU_CYCLE_1)
	s_and_saveexec_b32 s20, s2
	s_xor_b32 s2, exec_lo, s20
; %bb.85:                               ;   in Loop: Header=BB413_13 Depth=1
	v_bfe_u32 v82, v28, 16, 1
	s_delay_alu instid0(VALU_DEP_1)
	v_add3_u32 v149, v28, v82, 0x7fff
                                        ; implicit-def: $vgpr28
; %bb.86:                               ;   in Loop: Header=BB413_13 Depth=1
	s_and_not1_saveexec_b32 s20, s2
; %bb.87:                               ;   in Loop: Header=BB413_13 Depth=1
	v_and_b32_e32 v82, 0xffff, v28
	v_or_b32_e32 v83, 0x10000, v28
	s_delay_alu instid0(VALU_DEP_2) | instskip(NEXT) | instid1(VALU_DEP_1)
	v_cmp_eq_u32_e64 s2, 0, v82
	v_cndmask_b32_e64 v149, v83, v28, s2
; %bb.88:                               ;   in Loop: Header=BB413_13 Depth=1
	s_or_b32 exec_lo, exec_lo, s20
	v_lshrrev_b32_e32 v150, 16, v151
	v_mov_b32_e32 v28, 0
	s_mov_b32 s20, exec_lo
	s_delay_alu instid0(VALU_DEP_2) | instskip(NEXT) | instid1(VALU_DEP_1)
	v_and_b32_e32 v82, 0xff, v150
	v_cmpx_ne_u16_e32 0, v82
	s_cbranch_execz .LBB413_96
; %bb.89:                               ;   in Loop: Header=BB413_13 Depth=1
	v_bfrev_b32_e32 v28, 1
	s_mov_b32 s21, exec_lo
	v_cmpx_ne_u16_e32 0x80, v82
	s_cbranch_execz .LBB413_95
; %bb.90:                               ;   in Loop: Header=BB413_13 Depth=1
	v_bfe_u32 v82, v151, 16, 7
	v_mov_b32_e32 v28, 0x7f800001
	s_mov_b32 s22, exec_lo
	s_delay_alu instid0(VALU_DEP_2)
	v_cmpx_ne_u32_e32 0x7f, v82
	s_cbranch_execz .LBB413_94
; %bb.91:                               ;   in Loop: Header=BB413_13 Depth=1
	v_and_b32_e32 v28, 7, v150
	v_lshrrev_b32_e32 v160, 3, v82
	v_cmp_gt_u32_e64 s2, 8, v82
	s_delay_alu instid0(VALU_DEP_3) | instskip(NEXT) | instid1(VALU_DEP_2)
	v_dual_mov_b32 v83, v29 :: v_dual_mov_b32 v82, v28
	s_and_saveexec_b32 s23, s2
; %bb.92:                               ;   in Loop: Header=BB413_13 Depth=1
	v_clz_i32_u32_e32 v82, v28
	s_delay_alu instid0(VALU_DEP_1) | instskip(NEXT) | instid1(VALU_DEP_1)
	v_min_u32_e32 v160, 32, v82
	v_subrev_nc_u32_e32 v82, 28, v160
	v_sub_nc_u32_e32 v160, 29, v160
	s_delay_alu instid0(VALU_DEP_2) | instskip(NEXT) | instid1(VALU_DEP_1)
	v_lshlrev_b64 v[82:83], v82, v[28:29]
	v_and_b32_e32 v82, 7, v82
; %bb.93:                               ;   in Loop: Header=BB413_13 Depth=1
	s_or_b32 exec_lo, exec_lo, s23
	v_lshlrev_b32_e32 v28, 24, v150
	s_delay_alu instid0(VALU_DEP_2) | instskip(SKIP_1) | instid1(VALU_DEP_3)
	v_lshlrev_b32_e32 v82, 20, v82
	v_lshl_add_u32 v83, v160, 23, 0x3c000000
	v_and_b32_e32 v28, 0x80000000, v28
	s_delay_alu instid0(VALU_DEP_1)
	v_or3_b32 v28, v82, v28, v83
.LBB413_94:                             ;   in Loop: Header=BB413_13 Depth=1
	s_or_b32 exec_lo, exec_lo, s22
.LBB413_95:                             ;   in Loop: Header=BB413_13 Depth=1
	s_delay_alu instid0(SALU_CYCLE_1)
	s_or_b32 exec_lo, exec_lo, s21
.LBB413_96:                             ;   in Loop: Header=BB413_13 Depth=1
	s_delay_alu instid0(SALU_CYCLE_1) | instskip(NEXT) | instid1(VALU_DEP_1)
	s_or_b32 exec_lo, exec_lo, s20
	v_mul_f32_e32 v28, v144, v28
                                        ; implicit-def: $vgpr150
	s_delay_alu instid0(VALU_DEP_1) | instskip(NEXT) | instid1(VALU_DEP_1)
	v_and_b32_e32 v82, 0x7f800000, v28
	v_cmp_ne_u32_e64 s2, 0x7f800000, v82
	s_delay_alu instid0(VALU_DEP_1) | instskip(NEXT) | instid1(SALU_CYCLE_1)
	s_and_saveexec_b32 s20, s2
	s_xor_b32 s2, exec_lo, s20
; %bb.97:                               ;   in Loop: Header=BB413_13 Depth=1
	v_bfe_u32 v82, v28, 16, 1
	s_delay_alu instid0(VALU_DEP_1)
	v_add3_u32 v150, v28, v82, 0x7fff
                                        ; implicit-def: $vgpr28
; %bb.98:                               ;   in Loop: Header=BB413_13 Depth=1
	s_and_not1_saveexec_b32 s20, s2
; %bb.99:                               ;   in Loop: Header=BB413_13 Depth=1
	v_and_b32_e32 v82, 0xffff, v28
	v_or_b32_e32 v83, 0x10000, v28
	s_delay_alu instid0(VALU_DEP_2) | instskip(NEXT) | instid1(VALU_DEP_1)
	v_cmp_eq_u32_e64 s2, 0, v82
	v_cndmask_b32_e64 v150, v83, v28, s2
; %bb.100:                              ;   in Loop: Header=BB413_13 Depth=1
	s_or_b32 exec_lo, exec_lo, s20
	v_mov_b32_e32 v28, 0
	s_mov_b32 s20, exec_lo
	v_cmpx_lt_u32_e32 0xffffff, v151
	s_cbranch_execz .LBB413_108
; %bb.101:                              ;   in Loop: Header=BB413_13 Depth=1
	v_lshrrev_b32_e32 v160, 24, v151
	v_bfrev_b32_e32 v28, 1
	s_mov_b32 s21, exec_lo
	s_delay_alu instid0(VALU_DEP_2)
	v_cmpx_ne_u32_e32 0x80, v160
	s_cbranch_execz .LBB413_107
; %bb.102:                              ;   in Loop: Header=BB413_13 Depth=1
	v_bfe_u32 v82, v151, 24, 7
	v_mov_b32_e32 v28, 0x7f800001
	s_mov_b32 s22, exec_lo
	s_delay_alu instid0(VALU_DEP_2)
	v_cmpx_ne_u32_e32 0x7f, v82
	s_cbranch_execz .LBB413_106
; %bb.103:                              ;   in Loop: Header=BB413_13 Depth=1
	v_and_b32_e32 v28, 7, v160
	v_lshrrev_b32_e32 v151, 3, v82
	v_cmp_gt_u32_e64 s2, 8, v82
	s_delay_alu instid0(VALU_DEP_3) | instskip(NEXT) | instid1(VALU_DEP_2)
	v_dual_mov_b32 v83, v29 :: v_dual_mov_b32 v82, v28
	s_and_saveexec_b32 s23, s2
; %bb.104:                              ;   in Loop: Header=BB413_13 Depth=1
	v_clz_i32_u32_e32 v82, v28
	s_delay_alu instid0(VALU_DEP_1) | instskip(NEXT) | instid1(VALU_DEP_1)
	v_min_u32_e32 v151, 32, v82
	v_subrev_nc_u32_e32 v82, 28, v151
	v_sub_nc_u32_e32 v151, 29, v151
	s_delay_alu instid0(VALU_DEP_2) | instskip(NEXT) | instid1(VALU_DEP_1)
	v_lshlrev_b64 v[82:83], v82, v[28:29]
	v_and_b32_e32 v82, 7, v82
; %bb.105:                              ;   in Loop: Header=BB413_13 Depth=1
	s_or_b32 exec_lo, exec_lo, s23
	v_lshlrev_b32_e32 v28, 24, v160
	s_delay_alu instid0(VALU_DEP_2) | instskip(SKIP_1) | instid1(VALU_DEP_3)
	v_lshlrev_b32_e32 v82, 20, v82
	v_lshl_add_u32 v83, v151, 23, 0x3c000000
	v_and_b32_e32 v28, 0x80000000, v28
	s_delay_alu instid0(VALU_DEP_1)
	v_or3_b32 v28, v82, v28, v83
.LBB413_106:                            ;   in Loop: Header=BB413_13 Depth=1
	s_or_b32 exec_lo, exec_lo, s22
.LBB413_107:                            ;   in Loop: Header=BB413_13 Depth=1
	s_delay_alu instid0(SALU_CYCLE_1)
	s_or_b32 exec_lo, exec_lo, s21
.LBB413_108:                            ;   in Loop: Header=BB413_13 Depth=1
	s_delay_alu instid0(SALU_CYCLE_1) | instskip(NEXT) | instid1(VALU_DEP_1)
	s_or_b32 exec_lo, exec_lo, s20
	v_mul_f32_e32 v28, v144, v28
                                        ; implicit-def: $vgpr151
	s_delay_alu instid0(VALU_DEP_1) | instskip(NEXT) | instid1(VALU_DEP_1)
	v_and_b32_e32 v82, 0x7f800000, v28
	v_cmp_ne_u32_e64 s2, 0x7f800000, v82
	s_delay_alu instid0(VALU_DEP_1) | instskip(NEXT) | instid1(SALU_CYCLE_1)
	s_and_saveexec_b32 s20, s2
	s_xor_b32 s2, exec_lo, s20
; %bb.109:                              ;   in Loop: Header=BB413_13 Depth=1
	v_bfe_u32 v82, v28, 16, 1
	s_delay_alu instid0(VALU_DEP_1)
	v_add3_u32 v151, v28, v82, 0x7fff
                                        ; implicit-def: $vgpr28
; %bb.110:                              ;   in Loop: Header=BB413_13 Depth=1
	s_and_not1_saveexec_b32 s20, s2
; %bb.111:                              ;   in Loop: Header=BB413_13 Depth=1
	v_and_b32_e32 v82, 0xffff, v28
	v_or_b32_e32 v83, 0x10000, v28
	s_delay_alu instid0(VALU_DEP_2) | instskip(NEXT) | instid1(VALU_DEP_1)
	v_cmp_eq_u32_e64 s2, 0, v82
	v_cndmask_b32_e64 v151, v83, v28, s2
; %bb.112:                              ;   in Loop: Header=BB413_13 Depth=1
	s_or_b32 exec_lo, exec_lo, s20
	flat_load_b32 v163, v[80:81] offset:256
	v_mov_b32_e32 v28, 0
	s_mov_b32 s20, exec_lo
	s_waitcnt vmcnt(0) lgkmcnt(0)
	v_and_b32_e32 v82, 0xff, v163
	s_delay_alu instid0(VALU_DEP_1)
	v_cmpx_ne_u16_e32 0, v82
	s_cbranch_execz .LBB413_120
; %bb.113:                              ;   in Loop: Header=BB413_13 Depth=1
	v_bfrev_b32_e32 v28, 1
	s_mov_b32 s21, exec_lo
	v_cmpx_ne_u16_e32 0x80, v82
	s_cbranch_execz .LBB413_119
; %bb.114:                              ;   in Loop: Header=BB413_13 Depth=1
	v_and_b32_e32 v82, 0x7f, v163
	v_mov_b32_e32 v28, 0x7f800001
	s_mov_b32 s22, exec_lo
	s_delay_alu instid0(VALU_DEP_2)
	v_cmpx_ne_u32_e32 0x7f, v82
	s_cbranch_execz .LBB413_118
; %bb.115:                              ;   in Loop: Header=BB413_13 Depth=1
	v_and_b32_e32 v28, 7, v163
	v_lshrrev_b32_e32 v160, 3, v82
	v_cmp_gt_u32_e64 s2, 8, v82
	s_delay_alu instid0(VALU_DEP_3) | instskip(NEXT) | instid1(VALU_DEP_2)
	v_dual_mov_b32 v83, v29 :: v_dual_mov_b32 v82, v28
	s_and_saveexec_b32 s23, s2
; %bb.116:                              ;   in Loop: Header=BB413_13 Depth=1
	v_clz_i32_u32_e32 v82, v28
	s_delay_alu instid0(VALU_DEP_1) | instskip(NEXT) | instid1(VALU_DEP_1)
	v_min_u32_e32 v160, 32, v82
	v_subrev_nc_u32_e32 v82, 28, v160
	v_sub_nc_u32_e32 v160, 29, v160
	s_delay_alu instid0(VALU_DEP_2) | instskip(NEXT) | instid1(VALU_DEP_1)
	v_lshlrev_b64 v[82:83], v82, v[28:29]
	v_and_b32_e32 v82, 7, v82
; %bb.117:                              ;   in Loop: Header=BB413_13 Depth=1
	s_or_b32 exec_lo, exec_lo, s23
	v_lshlrev_b32_e32 v28, 24, v163
	s_delay_alu instid0(VALU_DEP_2) | instskip(SKIP_1) | instid1(VALU_DEP_3)
	v_lshlrev_b32_e32 v82, 20, v82
	v_lshl_add_u32 v83, v160, 23, 0x3c000000
	v_and_b32_e32 v28, 0x80000000, v28
	s_delay_alu instid0(VALU_DEP_1)
	v_or3_b32 v28, v82, v28, v83
.LBB413_118:                            ;   in Loop: Header=BB413_13 Depth=1
	s_or_b32 exec_lo, exec_lo, s22
.LBB413_119:                            ;   in Loop: Header=BB413_13 Depth=1
	s_delay_alu instid0(SALU_CYCLE_1)
	s_or_b32 exec_lo, exec_lo, s21
.LBB413_120:                            ;   in Loop: Header=BB413_13 Depth=1
	s_delay_alu instid0(SALU_CYCLE_1) | instskip(NEXT) | instid1(VALU_DEP_1)
	s_or_b32 exec_lo, exec_lo, s20
	v_mul_f32_e32 v28, v144, v28
                                        ; implicit-def: $vgpr160
	s_delay_alu instid0(VALU_DEP_1) | instskip(NEXT) | instid1(VALU_DEP_1)
	v_and_b32_e32 v82, 0x7f800000, v28
	v_cmp_ne_u32_e64 s2, 0x7f800000, v82
	s_delay_alu instid0(VALU_DEP_1) | instskip(NEXT) | instid1(SALU_CYCLE_1)
	s_and_saveexec_b32 s20, s2
	s_xor_b32 s2, exec_lo, s20
; %bb.121:                              ;   in Loop: Header=BB413_13 Depth=1
	v_bfe_u32 v82, v28, 16, 1
	s_delay_alu instid0(VALU_DEP_1)
	v_add3_u32 v160, v28, v82, 0x7fff
                                        ; implicit-def: $vgpr28
; %bb.122:                              ;   in Loop: Header=BB413_13 Depth=1
	s_and_not1_saveexec_b32 s20, s2
; %bb.123:                              ;   in Loop: Header=BB413_13 Depth=1
	v_and_b32_e32 v82, 0xffff, v28
	v_or_b32_e32 v83, 0x10000, v28
	s_delay_alu instid0(VALU_DEP_2) | instskip(NEXT) | instid1(VALU_DEP_1)
	v_cmp_eq_u32_e64 s2, 0, v82
	v_cndmask_b32_e64 v160, v83, v28, s2
; %bb.124:                              ;   in Loop: Header=BB413_13 Depth=1
	s_or_b32 exec_lo, exec_lo, s20
	v_lshrrev_b16 v82, 8, v163
	v_mov_b32_e32 v28, 0
	s_mov_b32 s20, exec_lo
	s_delay_alu instid0(VALU_DEP_2)
	v_cmpx_ne_u16_e32 0, v82
	s_cbranch_execz .LBB413_132
; %bb.125:                              ;   in Loop: Header=BB413_13 Depth=1
	v_bfrev_b32_e32 v28, 1
	s_mov_b32 s21, exec_lo
	v_cmpx_ne_u16_e32 0x80, v82
	s_cbranch_execz .LBB413_131
; %bb.126:                              ;   in Loop: Header=BB413_13 Depth=1
	v_and_b32_e32 v83, 0xffff, v82
	v_mov_b32_e32 v28, 0x7f800001
	s_mov_b32 s22, exec_lo
	s_delay_alu instid0(VALU_DEP_2) | instskip(NEXT) | instid1(VALU_DEP_1)
	v_and_b32_e32 v82, 0x7f, v83
	v_cmpx_ne_u32_e32 0x7f, v82
	s_cbranch_execz .LBB413_130
; %bb.127:                              ;   in Loop: Header=BB413_13 Depth=1
	v_and_b32_e32 v28, 7, v83
	v_lshrrev_b32_e32 v161, 3, v82
	v_cmp_gt_u32_e64 s2, 8, v82
	s_delay_alu instid0(VALU_DEP_3) | instskip(NEXT) | instid1(VALU_DEP_2)
	v_dual_mov_b32 v83, v29 :: v_dual_mov_b32 v82, v28
	s_and_saveexec_b32 s23, s2
; %bb.128:                              ;   in Loop: Header=BB413_13 Depth=1
	v_clz_i32_u32_e32 v82, v28
	s_delay_alu instid0(VALU_DEP_1) | instskip(NEXT) | instid1(VALU_DEP_1)
	v_min_u32_e32 v161, 32, v82
	v_subrev_nc_u32_e32 v82, 28, v161
	v_sub_nc_u32_e32 v161, 29, v161
	s_delay_alu instid0(VALU_DEP_2) | instskip(NEXT) | instid1(VALU_DEP_1)
	v_lshlrev_b64 v[82:83], v82, v[28:29]
	v_and_b32_e32 v82, 7, v82
; %bb.129:                              ;   in Loop: Header=BB413_13 Depth=1
	s_or_b32 exec_lo, exec_lo, s23
	v_lshlrev_b32_e32 v28, 16, v163
	s_delay_alu instid0(VALU_DEP_2) | instskip(SKIP_1) | instid1(VALU_DEP_3)
	v_lshlrev_b32_e32 v82, 20, v82
	v_lshl_add_u32 v83, v161, 23, 0x3c000000
	v_and_b32_e32 v28, 0x80000000, v28
	s_delay_alu instid0(VALU_DEP_1)
	v_or3_b32 v28, v82, v28, v83
.LBB413_130:                            ;   in Loop: Header=BB413_13 Depth=1
	s_or_b32 exec_lo, exec_lo, s22
.LBB413_131:                            ;   in Loop: Header=BB413_13 Depth=1
	s_delay_alu instid0(SALU_CYCLE_1)
	s_or_b32 exec_lo, exec_lo, s21
.LBB413_132:                            ;   in Loop: Header=BB413_13 Depth=1
	s_delay_alu instid0(SALU_CYCLE_1) | instskip(NEXT) | instid1(VALU_DEP_1)
	s_or_b32 exec_lo, exec_lo, s20
	v_mul_f32_e32 v28, v144, v28
                                        ; implicit-def: $vgpr161
	s_delay_alu instid0(VALU_DEP_1) | instskip(NEXT) | instid1(VALU_DEP_1)
	v_and_b32_e32 v82, 0x7f800000, v28
	v_cmp_ne_u32_e64 s2, 0x7f800000, v82
	s_delay_alu instid0(VALU_DEP_1) | instskip(NEXT) | instid1(SALU_CYCLE_1)
	s_and_saveexec_b32 s20, s2
	s_xor_b32 s2, exec_lo, s20
; %bb.133:                              ;   in Loop: Header=BB413_13 Depth=1
	v_bfe_u32 v82, v28, 16, 1
	s_delay_alu instid0(VALU_DEP_1)
	v_add3_u32 v161, v28, v82, 0x7fff
                                        ; implicit-def: $vgpr28
; %bb.134:                              ;   in Loop: Header=BB413_13 Depth=1
	s_and_not1_saveexec_b32 s20, s2
; %bb.135:                              ;   in Loop: Header=BB413_13 Depth=1
	v_and_b32_e32 v82, 0xffff, v28
	v_or_b32_e32 v83, 0x10000, v28
	s_delay_alu instid0(VALU_DEP_2) | instskip(NEXT) | instid1(VALU_DEP_1)
	v_cmp_eq_u32_e64 s2, 0, v82
	v_cndmask_b32_e64 v161, v83, v28, s2
; %bb.136:                              ;   in Loop: Header=BB413_13 Depth=1
	s_or_b32 exec_lo, exec_lo, s20
	v_lshrrev_b32_e32 v162, 16, v163
	v_mov_b32_e32 v28, 0
	s_mov_b32 s20, exec_lo
	s_delay_alu instid0(VALU_DEP_2) | instskip(NEXT) | instid1(VALU_DEP_1)
	v_and_b32_e32 v82, 0xff, v162
	v_cmpx_ne_u16_e32 0, v82
	s_cbranch_execz .LBB413_144
; %bb.137:                              ;   in Loop: Header=BB413_13 Depth=1
	v_bfrev_b32_e32 v28, 1
	s_mov_b32 s21, exec_lo
	v_cmpx_ne_u16_e32 0x80, v82
	s_cbranch_execz .LBB413_143
; %bb.138:                              ;   in Loop: Header=BB413_13 Depth=1
	v_bfe_u32 v82, v163, 16, 7
	v_mov_b32_e32 v28, 0x7f800001
	s_mov_b32 s22, exec_lo
	s_delay_alu instid0(VALU_DEP_2)
	v_cmpx_ne_u32_e32 0x7f, v82
	s_cbranch_execz .LBB413_142
; %bb.139:                              ;   in Loop: Header=BB413_13 Depth=1
	v_and_b32_e32 v28, 7, v162
	v_lshrrev_b32_e32 v164, 3, v82
	v_cmp_gt_u32_e64 s2, 8, v82
	s_delay_alu instid0(VALU_DEP_3) | instskip(NEXT) | instid1(VALU_DEP_2)
	v_dual_mov_b32 v83, v29 :: v_dual_mov_b32 v82, v28
	s_and_saveexec_b32 s23, s2
; %bb.140:                              ;   in Loop: Header=BB413_13 Depth=1
	v_clz_i32_u32_e32 v82, v28
	s_delay_alu instid0(VALU_DEP_1) | instskip(NEXT) | instid1(VALU_DEP_1)
	v_min_u32_e32 v164, 32, v82
	v_subrev_nc_u32_e32 v82, 28, v164
	v_sub_nc_u32_e32 v164, 29, v164
	s_delay_alu instid0(VALU_DEP_2) | instskip(NEXT) | instid1(VALU_DEP_1)
	v_lshlrev_b64 v[82:83], v82, v[28:29]
	v_and_b32_e32 v82, 7, v82
; %bb.141:                              ;   in Loop: Header=BB413_13 Depth=1
	s_or_b32 exec_lo, exec_lo, s23
	v_lshlrev_b32_e32 v28, 24, v162
	s_delay_alu instid0(VALU_DEP_2) | instskip(SKIP_1) | instid1(VALU_DEP_3)
	v_lshlrev_b32_e32 v82, 20, v82
	v_lshl_add_u32 v83, v164, 23, 0x3c000000
	v_and_b32_e32 v28, 0x80000000, v28
	s_delay_alu instid0(VALU_DEP_1)
	v_or3_b32 v28, v82, v28, v83
.LBB413_142:                            ;   in Loop: Header=BB413_13 Depth=1
	s_or_b32 exec_lo, exec_lo, s22
.LBB413_143:                            ;   in Loop: Header=BB413_13 Depth=1
	s_delay_alu instid0(SALU_CYCLE_1)
	s_or_b32 exec_lo, exec_lo, s21
.LBB413_144:                            ;   in Loop: Header=BB413_13 Depth=1
	s_delay_alu instid0(SALU_CYCLE_1) | instskip(NEXT) | instid1(VALU_DEP_1)
	s_or_b32 exec_lo, exec_lo, s20
	v_mul_f32_e32 v28, v144, v28
                                        ; implicit-def: $vgpr162
	s_delay_alu instid0(VALU_DEP_1) | instskip(NEXT) | instid1(VALU_DEP_1)
	v_and_b32_e32 v82, 0x7f800000, v28
	v_cmp_ne_u32_e64 s2, 0x7f800000, v82
	s_delay_alu instid0(VALU_DEP_1) | instskip(NEXT) | instid1(SALU_CYCLE_1)
	s_and_saveexec_b32 s20, s2
	s_xor_b32 s2, exec_lo, s20
; %bb.145:                              ;   in Loop: Header=BB413_13 Depth=1
	v_bfe_u32 v82, v28, 16, 1
	s_delay_alu instid0(VALU_DEP_1)
	v_add3_u32 v162, v28, v82, 0x7fff
                                        ; implicit-def: $vgpr28
; %bb.146:                              ;   in Loop: Header=BB413_13 Depth=1
	s_and_not1_saveexec_b32 s20, s2
; %bb.147:                              ;   in Loop: Header=BB413_13 Depth=1
	v_and_b32_e32 v82, 0xffff, v28
	v_or_b32_e32 v83, 0x10000, v28
	s_delay_alu instid0(VALU_DEP_2) | instskip(NEXT) | instid1(VALU_DEP_1)
	v_cmp_eq_u32_e64 s2, 0, v82
	v_cndmask_b32_e64 v162, v83, v28, s2
; %bb.148:                              ;   in Loop: Header=BB413_13 Depth=1
	s_or_b32 exec_lo, exec_lo, s20
	v_mov_b32_e32 v28, 0
	s_mov_b32 s20, exec_lo
	v_cmpx_lt_u32_e32 0xffffff, v163
	s_cbranch_execz .LBB413_156
; %bb.149:                              ;   in Loop: Header=BB413_13 Depth=1
	v_lshrrev_b32_e32 v164, 24, v163
	v_bfrev_b32_e32 v28, 1
	s_mov_b32 s21, exec_lo
	s_delay_alu instid0(VALU_DEP_2)
	v_cmpx_ne_u32_e32 0x80, v164
	s_cbranch_execz .LBB413_155
; %bb.150:                              ;   in Loop: Header=BB413_13 Depth=1
	v_bfe_u32 v82, v163, 24, 7
	v_mov_b32_e32 v28, 0x7f800001
	s_mov_b32 s22, exec_lo
	s_delay_alu instid0(VALU_DEP_2)
	v_cmpx_ne_u32_e32 0x7f, v82
	s_cbranch_execz .LBB413_154
; %bb.151:                              ;   in Loop: Header=BB413_13 Depth=1
	v_and_b32_e32 v28, 7, v164
	v_lshrrev_b32_e32 v163, 3, v82
	v_cmp_gt_u32_e64 s2, 8, v82
	s_delay_alu instid0(VALU_DEP_3) | instskip(NEXT) | instid1(VALU_DEP_2)
	v_dual_mov_b32 v83, v29 :: v_dual_mov_b32 v82, v28
	s_and_saveexec_b32 s23, s2
; %bb.152:                              ;   in Loop: Header=BB413_13 Depth=1
	v_clz_i32_u32_e32 v82, v28
	s_delay_alu instid0(VALU_DEP_1) | instskip(NEXT) | instid1(VALU_DEP_1)
	v_min_u32_e32 v163, 32, v82
	v_subrev_nc_u32_e32 v82, 28, v163
	v_sub_nc_u32_e32 v163, 29, v163
	s_delay_alu instid0(VALU_DEP_2) | instskip(NEXT) | instid1(VALU_DEP_1)
	v_lshlrev_b64 v[82:83], v82, v[28:29]
	v_and_b32_e32 v82, 7, v82
; %bb.153:                              ;   in Loop: Header=BB413_13 Depth=1
	s_or_b32 exec_lo, exec_lo, s23
	v_lshlrev_b32_e32 v28, 24, v164
	s_delay_alu instid0(VALU_DEP_2) | instskip(SKIP_1) | instid1(VALU_DEP_3)
	v_lshlrev_b32_e32 v82, 20, v82
	v_lshl_add_u32 v83, v163, 23, 0x3c000000
	v_and_b32_e32 v28, 0x80000000, v28
	s_delay_alu instid0(VALU_DEP_1)
	v_or3_b32 v28, v82, v28, v83
.LBB413_154:                            ;   in Loop: Header=BB413_13 Depth=1
	s_or_b32 exec_lo, exec_lo, s22
.LBB413_155:                            ;   in Loop: Header=BB413_13 Depth=1
	s_delay_alu instid0(SALU_CYCLE_1)
	s_or_b32 exec_lo, exec_lo, s21
.LBB413_156:                            ;   in Loop: Header=BB413_13 Depth=1
	s_delay_alu instid0(SALU_CYCLE_1) | instskip(NEXT) | instid1(VALU_DEP_1)
	s_or_b32 exec_lo, exec_lo, s20
	v_mul_f32_e32 v28, v144, v28
                                        ; implicit-def: $vgpr163
	s_delay_alu instid0(VALU_DEP_1) | instskip(NEXT) | instid1(VALU_DEP_1)
	v_and_b32_e32 v82, 0x7f800000, v28
	v_cmp_ne_u32_e64 s2, 0x7f800000, v82
	s_delay_alu instid0(VALU_DEP_1) | instskip(NEXT) | instid1(SALU_CYCLE_1)
	s_and_saveexec_b32 s20, s2
	s_xor_b32 s2, exec_lo, s20
; %bb.157:                              ;   in Loop: Header=BB413_13 Depth=1
	v_bfe_u32 v82, v28, 16, 1
	s_delay_alu instid0(VALU_DEP_1)
	v_add3_u32 v163, v28, v82, 0x7fff
                                        ; implicit-def: $vgpr28
; %bb.158:                              ;   in Loop: Header=BB413_13 Depth=1
	s_and_not1_saveexec_b32 s20, s2
; %bb.159:                              ;   in Loop: Header=BB413_13 Depth=1
	v_and_b32_e32 v82, 0xffff, v28
	v_or_b32_e32 v83, 0x10000, v28
	s_delay_alu instid0(VALU_DEP_2) | instskip(NEXT) | instid1(VALU_DEP_1)
	v_cmp_eq_u32_e64 s2, 0, v82
	v_cndmask_b32_e64 v163, v83, v28, s2
; %bb.160:                              ;   in Loop: Header=BB413_13 Depth=1
	s_or_b32 exec_lo, exec_lo, s20
	flat_load_b32 v167, v[80:81] offset:264
	v_mov_b32_e32 v28, 0
	s_mov_b32 s20, exec_lo
	s_waitcnt vmcnt(0) lgkmcnt(0)
	v_and_b32_e32 v82, 0xff, v167
	s_delay_alu instid0(VALU_DEP_1)
	v_cmpx_ne_u16_e32 0, v82
	s_cbranch_execz .LBB413_168
; %bb.161:                              ;   in Loop: Header=BB413_13 Depth=1
	v_bfrev_b32_e32 v28, 1
	s_mov_b32 s21, exec_lo
	v_cmpx_ne_u16_e32 0x80, v82
	s_cbranch_execz .LBB413_167
; %bb.162:                              ;   in Loop: Header=BB413_13 Depth=1
	v_and_b32_e32 v82, 0x7f, v167
	v_mov_b32_e32 v28, 0x7f800001
	s_mov_b32 s22, exec_lo
	s_delay_alu instid0(VALU_DEP_2)
	v_cmpx_ne_u32_e32 0x7f, v82
	s_cbranch_execz .LBB413_166
; %bb.163:                              ;   in Loop: Header=BB413_13 Depth=1
	v_and_b32_e32 v28, 7, v167
	v_lshrrev_b32_e32 v164, 3, v82
	v_cmp_gt_u32_e64 s2, 8, v82
	s_delay_alu instid0(VALU_DEP_3) | instskip(NEXT) | instid1(VALU_DEP_2)
	v_dual_mov_b32 v83, v29 :: v_dual_mov_b32 v82, v28
	s_and_saveexec_b32 s23, s2
; %bb.164:                              ;   in Loop: Header=BB413_13 Depth=1
	v_clz_i32_u32_e32 v82, v28
	s_delay_alu instid0(VALU_DEP_1) | instskip(NEXT) | instid1(VALU_DEP_1)
	v_min_u32_e32 v164, 32, v82
	v_subrev_nc_u32_e32 v82, 28, v164
	v_sub_nc_u32_e32 v164, 29, v164
	s_delay_alu instid0(VALU_DEP_2) | instskip(NEXT) | instid1(VALU_DEP_1)
	v_lshlrev_b64 v[82:83], v82, v[28:29]
	v_and_b32_e32 v82, 7, v82
; %bb.165:                              ;   in Loop: Header=BB413_13 Depth=1
	s_or_b32 exec_lo, exec_lo, s23
	v_lshlrev_b32_e32 v28, 24, v167
	s_delay_alu instid0(VALU_DEP_2) | instskip(SKIP_1) | instid1(VALU_DEP_3)
	v_lshlrev_b32_e32 v82, 20, v82
	v_lshl_add_u32 v83, v164, 23, 0x3c000000
	v_and_b32_e32 v28, 0x80000000, v28
	s_delay_alu instid0(VALU_DEP_1)
	v_or3_b32 v28, v82, v28, v83
.LBB413_166:                            ;   in Loop: Header=BB413_13 Depth=1
	s_or_b32 exec_lo, exec_lo, s22
.LBB413_167:                            ;   in Loop: Header=BB413_13 Depth=1
	s_delay_alu instid0(SALU_CYCLE_1)
	s_or_b32 exec_lo, exec_lo, s21
.LBB413_168:                            ;   in Loop: Header=BB413_13 Depth=1
	s_delay_alu instid0(SALU_CYCLE_1) | instskip(NEXT) | instid1(VALU_DEP_1)
	s_or_b32 exec_lo, exec_lo, s20
	v_mul_f32_e32 v28, v144, v28
                                        ; implicit-def: $vgpr164
	s_delay_alu instid0(VALU_DEP_1) | instskip(NEXT) | instid1(VALU_DEP_1)
	v_and_b32_e32 v82, 0x7f800000, v28
	v_cmp_ne_u32_e64 s2, 0x7f800000, v82
	s_delay_alu instid0(VALU_DEP_1) | instskip(NEXT) | instid1(SALU_CYCLE_1)
	s_and_saveexec_b32 s20, s2
	s_xor_b32 s2, exec_lo, s20
; %bb.169:                              ;   in Loop: Header=BB413_13 Depth=1
	v_bfe_u32 v82, v28, 16, 1
	s_delay_alu instid0(VALU_DEP_1)
	v_add3_u32 v164, v28, v82, 0x7fff
                                        ; implicit-def: $vgpr28
; %bb.170:                              ;   in Loop: Header=BB413_13 Depth=1
	s_and_not1_saveexec_b32 s20, s2
; %bb.171:                              ;   in Loop: Header=BB413_13 Depth=1
	v_and_b32_e32 v82, 0xffff, v28
	v_or_b32_e32 v83, 0x10000, v28
	s_delay_alu instid0(VALU_DEP_2) | instskip(NEXT) | instid1(VALU_DEP_1)
	v_cmp_eq_u32_e64 s2, 0, v82
	v_cndmask_b32_e64 v164, v83, v28, s2
; %bb.172:                              ;   in Loop: Header=BB413_13 Depth=1
	s_or_b32 exec_lo, exec_lo, s20
	v_lshrrev_b16 v82, 8, v167
	v_mov_b32_e32 v28, 0
	s_mov_b32 s20, exec_lo
	s_delay_alu instid0(VALU_DEP_2)
	v_cmpx_ne_u16_e32 0, v82
	s_cbranch_execz .LBB413_180
; %bb.173:                              ;   in Loop: Header=BB413_13 Depth=1
	v_bfrev_b32_e32 v28, 1
	s_mov_b32 s21, exec_lo
	v_cmpx_ne_u16_e32 0x80, v82
	s_cbranch_execz .LBB413_179
; %bb.174:                              ;   in Loop: Header=BB413_13 Depth=1
	v_and_b32_e32 v83, 0xffff, v82
	v_mov_b32_e32 v28, 0x7f800001
	s_mov_b32 s22, exec_lo
	s_delay_alu instid0(VALU_DEP_2) | instskip(NEXT) | instid1(VALU_DEP_1)
	v_and_b32_e32 v82, 0x7f, v83
	v_cmpx_ne_u32_e32 0x7f, v82
	s_cbranch_execz .LBB413_178
; %bb.175:                              ;   in Loop: Header=BB413_13 Depth=1
	v_and_b32_e32 v28, 7, v83
	v_lshrrev_b32_e32 v165, 3, v82
	v_cmp_gt_u32_e64 s2, 8, v82
	s_delay_alu instid0(VALU_DEP_3) | instskip(NEXT) | instid1(VALU_DEP_2)
	v_dual_mov_b32 v83, v29 :: v_dual_mov_b32 v82, v28
	s_and_saveexec_b32 s23, s2
; %bb.176:                              ;   in Loop: Header=BB413_13 Depth=1
	v_clz_i32_u32_e32 v82, v28
	s_delay_alu instid0(VALU_DEP_1) | instskip(NEXT) | instid1(VALU_DEP_1)
	v_min_u32_e32 v165, 32, v82
	v_subrev_nc_u32_e32 v82, 28, v165
	v_sub_nc_u32_e32 v165, 29, v165
	s_delay_alu instid0(VALU_DEP_2) | instskip(NEXT) | instid1(VALU_DEP_1)
	v_lshlrev_b64 v[82:83], v82, v[28:29]
	v_and_b32_e32 v82, 7, v82
; %bb.177:                              ;   in Loop: Header=BB413_13 Depth=1
	s_or_b32 exec_lo, exec_lo, s23
	v_lshlrev_b32_e32 v28, 16, v167
	s_delay_alu instid0(VALU_DEP_2) | instskip(SKIP_1) | instid1(VALU_DEP_3)
	v_lshlrev_b32_e32 v82, 20, v82
	v_lshl_add_u32 v83, v165, 23, 0x3c000000
	v_and_b32_e32 v28, 0x80000000, v28
	s_delay_alu instid0(VALU_DEP_1)
	v_or3_b32 v28, v82, v28, v83
.LBB413_178:                            ;   in Loop: Header=BB413_13 Depth=1
	s_or_b32 exec_lo, exec_lo, s22
.LBB413_179:                            ;   in Loop: Header=BB413_13 Depth=1
	s_delay_alu instid0(SALU_CYCLE_1)
	s_or_b32 exec_lo, exec_lo, s21
.LBB413_180:                            ;   in Loop: Header=BB413_13 Depth=1
	s_delay_alu instid0(SALU_CYCLE_1) | instskip(NEXT) | instid1(VALU_DEP_1)
	s_or_b32 exec_lo, exec_lo, s20
	v_mul_f32_e32 v28, v144, v28
                                        ; implicit-def: $vgpr165
	s_delay_alu instid0(VALU_DEP_1) | instskip(NEXT) | instid1(VALU_DEP_1)
	v_and_b32_e32 v82, 0x7f800000, v28
	v_cmp_ne_u32_e64 s2, 0x7f800000, v82
	s_delay_alu instid0(VALU_DEP_1) | instskip(NEXT) | instid1(SALU_CYCLE_1)
	s_and_saveexec_b32 s20, s2
	s_xor_b32 s2, exec_lo, s20
; %bb.181:                              ;   in Loop: Header=BB413_13 Depth=1
	v_bfe_u32 v82, v28, 16, 1
	s_delay_alu instid0(VALU_DEP_1)
	v_add3_u32 v165, v28, v82, 0x7fff
                                        ; implicit-def: $vgpr28
; %bb.182:                              ;   in Loop: Header=BB413_13 Depth=1
	s_and_not1_saveexec_b32 s20, s2
; %bb.183:                              ;   in Loop: Header=BB413_13 Depth=1
	v_and_b32_e32 v82, 0xffff, v28
	v_or_b32_e32 v83, 0x10000, v28
	s_delay_alu instid0(VALU_DEP_2) | instskip(NEXT) | instid1(VALU_DEP_1)
	v_cmp_eq_u32_e64 s2, 0, v82
	v_cndmask_b32_e64 v165, v83, v28, s2
; %bb.184:                              ;   in Loop: Header=BB413_13 Depth=1
	s_or_b32 exec_lo, exec_lo, s20
	v_lshrrev_b32_e32 v166, 16, v167
	v_mov_b32_e32 v28, 0
	s_mov_b32 s20, exec_lo
	s_delay_alu instid0(VALU_DEP_2) | instskip(NEXT) | instid1(VALU_DEP_1)
	v_and_b32_e32 v82, 0xff, v166
	v_cmpx_ne_u16_e32 0, v82
	s_cbranch_execz .LBB413_192
; %bb.185:                              ;   in Loop: Header=BB413_13 Depth=1
	v_bfrev_b32_e32 v28, 1
	s_mov_b32 s21, exec_lo
	v_cmpx_ne_u16_e32 0x80, v82
	s_cbranch_execz .LBB413_191
; %bb.186:                              ;   in Loop: Header=BB413_13 Depth=1
	v_bfe_u32 v82, v167, 16, 7
	v_mov_b32_e32 v28, 0x7f800001
	s_mov_b32 s22, exec_lo
	s_delay_alu instid0(VALU_DEP_2)
	v_cmpx_ne_u32_e32 0x7f, v82
	s_cbranch_execz .LBB413_190
; %bb.187:                              ;   in Loop: Header=BB413_13 Depth=1
	v_and_b32_e32 v28, 7, v166
	v_lshrrev_b32_e32 v176, 3, v82
	v_cmp_gt_u32_e64 s2, 8, v82
	s_delay_alu instid0(VALU_DEP_3) | instskip(NEXT) | instid1(VALU_DEP_2)
	v_dual_mov_b32 v83, v29 :: v_dual_mov_b32 v82, v28
	s_and_saveexec_b32 s23, s2
; %bb.188:                              ;   in Loop: Header=BB413_13 Depth=1
	v_clz_i32_u32_e32 v82, v28
	s_delay_alu instid0(VALU_DEP_1) | instskip(NEXT) | instid1(VALU_DEP_1)
	v_min_u32_e32 v176, 32, v82
	v_subrev_nc_u32_e32 v82, 28, v176
	v_sub_nc_u32_e32 v176, 29, v176
	s_delay_alu instid0(VALU_DEP_2) | instskip(NEXT) | instid1(VALU_DEP_1)
	v_lshlrev_b64 v[82:83], v82, v[28:29]
	v_and_b32_e32 v82, 7, v82
; %bb.189:                              ;   in Loop: Header=BB413_13 Depth=1
	s_or_b32 exec_lo, exec_lo, s23
	v_lshlrev_b32_e32 v28, 24, v166
	s_delay_alu instid0(VALU_DEP_2) | instskip(SKIP_1) | instid1(VALU_DEP_3)
	v_lshlrev_b32_e32 v82, 20, v82
	v_lshl_add_u32 v83, v176, 23, 0x3c000000
	v_and_b32_e32 v28, 0x80000000, v28
	s_delay_alu instid0(VALU_DEP_1)
	v_or3_b32 v28, v82, v28, v83
.LBB413_190:                            ;   in Loop: Header=BB413_13 Depth=1
	s_or_b32 exec_lo, exec_lo, s22
.LBB413_191:                            ;   in Loop: Header=BB413_13 Depth=1
	s_delay_alu instid0(SALU_CYCLE_1)
	s_or_b32 exec_lo, exec_lo, s21
.LBB413_192:                            ;   in Loop: Header=BB413_13 Depth=1
	s_delay_alu instid0(SALU_CYCLE_1) | instskip(NEXT) | instid1(VALU_DEP_1)
	s_or_b32 exec_lo, exec_lo, s20
	v_mul_f32_e32 v28, v144, v28
                                        ; implicit-def: $vgpr166
	s_delay_alu instid0(VALU_DEP_1) | instskip(NEXT) | instid1(VALU_DEP_1)
	v_and_b32_e32 v82, 0x7f800000, v28
	v_cmp_ne_u32_e64 s2, 0x7f800000, v82
	s_delay_alu instid0(VALU_DEP_1) | instskip(NEXT) | instid1(SALU_CYCLE_1)
	s_and_saveexec_b32 s20, s2
	s_xor_b32 s2, exec_lo, s20
; %bb.193:                              ;   in Loop: Header=BB413_13 Depth=1
	v_bfe_u32 v82, v28, 16, 1
	s_delay_alu instid0(VALU_DEP_1)
	v_add3_u32 v166, v28, v82, 0x7fff
                                        ; implicit-def: $vgpr28
; %bb.194:                              ;   in Loop: Header=BB413_13 Depth=1
	s_and_not1_saveexec_b32 s20, s2
; %bb.195:                              ;   in Loop: Header=BB413_13 Depth=1
	v_and_b32_e32 v82, 0xffff, v28
	v_or_b32_e32 v83, 0x10000, v28
	s_delay_alu instid0(VALU_DEP_2) | instskip(NEXT) | instid1(VALU_DEP_1)
	v_cmp_eq_u32_e64 s2, 0, v82
	v_cndmask_b32_e64 v166, v83, v28, s2
; %bb.196:                              ;   in Loop: Header=BB413_13 Depth=1
	s_or_b32 exec_lo, exec_lo, s20
	v_mov_b32_e32 v28, 0
	s_mov_b32 s20, exec_lo
	v_cmpx_lt_u32_e32 0xffffff, v167
	s_cbranch_execz .LBB413_204
; %bb.197:                              ;   in Loop: Header=BB413_13 Depth=1
	v_lshrrev_b32_e32 v176, 24, v167
	v_bfrev_b32_e32 v28, 1
	s_mov_b32 s21, exec_lo
	s_delay_alu instid0(VALU_DEP_2)
	v_cmpx_ne_u32_e32 0x80, v176
	s_cbranch_execz .LBB413_203
; %bb.198:                              ;   in Loop: Header=BB413_13 Depth=1
	v_bfe_u32 v82, v167, 24, 7
	v_mov_b32_e32 v28, 0x7f800001
	s_mov_b32 s22, exec_lo
	s_delay_alu instid0(VALU_DEP_2)
	v_cmpx_ne_u32_e32 0x7f, v82
	s_cbranch_execz .LBB413_202
; %bb.199:                              ;   in Loop: Header=BB413_13 Depth=1
	v_and_b32_e32 v28, 7, v176
	v_lshrrev_b32_e32 v167, 3, v82
	v_cmp_gt_u32_e64 s2, 8, v82
	s_delay_alu instid0(VALU_DEP_3) | instskip(NEXT) | instid1(VALU_DEP_2)
	v_dual_mov_b32 v83, v29 :: v_dual_mov_b32 v82, v28
	s_and_saveexec_b32 s23, s2
; %bb.200:                              ;   in Loop: Header=BB413_13 Depth=1
	v_clz_i32_u32_e32 v82, v28
	s_delay_alu instid0(VALU_DEP_1) | instskip(NEXT) | instid1(VALU_DEP_1)
	v_min_u32_e32 v167, 32, v82
	v_subrev_nc_u32_e32 v82, 28, v167
	v_sub_nc_u32_e32 v167, 29, v167
	s_delay_alu instid0(VALU_DEP_2) | instskip(NEXT) | instid1(VALU_DEP_1)
	v_lshlrev_b64 v[82:83], v82, v[28:29]
	v_and_b32_e32 v82, 7, v82
; %bb.201:                              ;   in Loop: Header=BB413_13 Depth=1
	s_or_b32 exec_lo, exec_lo, s23
	v_lshlrev_b32_e32 v28, 24, v176
	s_delay_alu instid0(VALU_DEP_2) | instskip(SKIP_1) | instid1(VALU_DEP_3)
	v_lshlrev_b32_e32 v82, 20, v82
	v_lshl_add_u32 v83, v167, 23, 0x3c000000
	v_and_b32_e32 v28, 0x80000000, v28
	s_delay_alu instid0(VALU_DEP_1)
	v_or3_b32 v28, v82, v28, v83
.LBB413_202:                            ;   in Loop: Header=BB413_13 Depth=1
	s_or_b32 exec_lo, exec_lo, s22
.LBB413_203:                            ;   in Loop: Header=BB413_13 Depth=1
	s_delay_alu instid0(SALU_CYCLE_1)
	s_or_b32 exec_lo, exec_lo, s21
.LBB413_204:                            ;   in Loop: Header=BB413_13 Depth=1
	s_delay_alu instid0(SALU_CYCLE_1) | instskip(NEXT) | instid1(VALU_DEP_1)
	s_or_b32 exec_lo, exec_lo, s20
	v_mul_f32_e32 v28, v144, v28
                                        ; implicit-def: $vgpr167
	s_delay_alu instid0(VALU_DEP_1) | instskip(NEXT) | instid1(VALU_DEP_1)
	v_and_b32_e32 v82, 0x7f800000, v28
	v_cmp_ne_u32_e64 s2, 0x7f800000, v82
	s_delay_alu instid0(VALU_DEP_1) | instskip(NEXT) | instid1(SALU_CYCLE_1)
	s_and_saveexec_b32 s20, s2
	s_xor_b32 s2, exec_lo, s20
; %bb.205:                              ;   in Loop: Header=BB413_13 Depth=1
	v_bfe_u32 v82, v28, 16, 1
	s_delay_alu instid0(VALU_DEP_1)
	v_add3_u32 v167, v28, v82, 0x7fff
                                        ; implicit-def: $vgpr28
; %bb.206:                              ;   in Loop: Header=BB413_13 Depth=1
	s_and_not1_saveexec_b32 s20, s2
; %bb.207:                              ;   in Loop: Header=BB413_13 Depth=1
	v_and_b32_e32 v82, 0xffff, v28
	v_or_b32_e32 v83, 0x10000, v28
	s_delay_alu instid0(VALU_DEP_2) | instskip(NEXT) | instid1(VALU_DEP_1)
	v_cmp_eq_u32_e64 s2, 0, v82
	v_cndmask_b32_e64 v167, v83, v28, s2
; %bb.208:                              ;   in Loop: Header=BB413_13 Depth=1
	s_or_b32 exec_lo, exec_lo, s20
	flat_load_b32 v179, v[80:81] offset:512
	v_mov_b32_e32 v28, 0
	s_mov_b32 s20, exec_lo
	s_waitcnt vmcnt(0) lgkmcnt(0)
	v_and_b32_e32 v82, 0xff, v179
	s_delay_alu instid0(VALU_DEP_1)
	v_cmpx_ne_u16_e32 0, v82
	s_cbranch_execz .LBB413_216
; %bb.209:                              ;   in Loop: Header=BB413_13 Depth=1
	v_bfrev_b32_e32 v28, 1
	s_mov_b32 s21, exec_lo
	v_cmpx_ne_u16_e32 0x80, v82
	s_cbranch_execz .LBB413_215
; %bb.210:                              ;   in Loop: Header=BB413_13 Depth=1
	v_and_b32_e32 v82, 0x7f, v179
	v_mov_b32_e32 v28, 0x7f800001
	s_mov_b32 s22, exec_lo
	s_delay_alu instid0(VALU_DEP_2)
	v_cmpx_ne_u32_e32 0x7f, v82
	s_cbranch_execz .LBB413_214
; %bb.211:                              ;   in Loop: Header=BB413_13 Depth=1
	v_and_b32_e32 v28, 7, v179
	v_lshrrev_b32_e32 v176, 3, v82
	v_cmp_gt_u32_e64 s2, 8, v82
	s_delay_alu instid0(VALU_DEP_3) | instskip(NEXT) | instid1(VALU_DEP_2)
	v_dual_mov_b32 v83, v29 :: v_dual_mov_b32 v82, v28
	s_and_saveexec_b32 s23, s2
; %bb.212:                              ;   in Loop: Header=BB413_13 Depth=1
	v_clz_i32_u32_e32 v82, v28
	s_delay_alu instid0(VALU_DEP_1) | instskip(NEXT) | instid1(VALU_DEP_1)
	v_min_u32_e32 v176, 32, v82
	v_subrev_nc_u32_e32 v82, 28, v176
	v_sub_nc_u32_e32 v176, 29, v176
	s_delay_alu instid0(VALU_DEP_2) | instskip(NEXT) | instid1(VALU_DEP_1)
	v_lshlrev_b64 v[82:83], v82, v[28:29]
	v_and_b32_e32 v82, 7, v82
; %bb.213:                              ;   in Loop: Header=BB413_13 Depth=1
	s_or_b32 exec_lo, exec_lo, s23
	v_lshlrev_b32_e32 v28, 24, v179
	s_delay_alu instid0(VALU_DEP_2) | instskip(SKIP_1) | instid1(VALU_DEP_3)
	v_lshlrev_b32_e32 v82, 20, v82
	v_lshl_add_u32 v83, v176, 23, 0x3c000000
	v_and_b32_e32 v28, 0x80000000, v28
	s_delay_alu instid0(VALU_DEP_1)
	v_or3_b32 v28, v82, v28, v83
.LBB413_214:                            ;   in Loop: Header=BB413_13 Depth=1
	s_or_b32 exec_lo, exec_lo, s22
.LBB413_215:                            ;   in Loop: Header=BB413_13 Depth=1
	s_delay_alu instid0(SALU_CYCLE_1)
	s_or_b32 exec_lo, exec_lo, s21
.LBB413_216:                            ;   in Loop: Header=BB413_13 Depth=1
	s_delay_alu instid0(SALU_CYCLE_1) | instskip(NEXT) | instid1(VALU_DEP_1)
	s_or_b32 exec_lo, exec_lo, s20
	v_mul_f32_e32 v28, v144, v28
                                        ; implicit-def: $vgpr176
	s_delay_alu instid0(VALU_DEP_1) | instskip(NEXT) | instid1(VALU_DEP_1)
	v_and_b32_e32 v82, 0x7f800000, v28
	v_cmp_ne_u32_e64 s2, 0x7f800000, v82
	s_delay_alu instid0(VALU_DEP_1) | instskip(NEXT) | instid1(SALU_CYCLE_1)
	s_and_saveexec_b32 s20, s2
	s_xor_b32 s2, exec_lo, s20
; %bb.217:                              ;   in Loop: Header=BB413_13 Depth=1
	v_bfe_u32 v82, v28, 16, 1
	s_delay_alu instid0(VALU_DEP_1)
	v_add3_u32 v176, v28, v82, 0x7fff
                                        ; implicit-def: $vgpr28
; %bb.218:                              ;   in Loop: Header=BB413_13 Depth=1
	s_and_not1_saveexec_b32 s20, s2
; %bb.219:                              ;   in Loop: Header=BB413_13 Depth=1
	v_and_b32_e32 v82, 0xffff, v28
	v_or_b32_e32 v83, 0x10000, v28
	s_delay_alu instid0(VALU_DEP_2) | instskip(NEXT) | instid1(VALU_DEP_1)
	v_cmp_eq_u32_e64 s2, 0, v82
	v_cndmask_b32_e64 v176, v83, v28, s2
; %bb.220:                              ;   in Loop: Header=BB413_13 Depth=1
	s_or_b32 exec_lo, exec_lo, s20
	v_lshrrev_b16 v82, 8, v179
	v_mov_b32_e32 v28, 0
	s_mov_b32 s20, exec_lo
	s_delay_alu instid0(VALU_DEP_2)
	v_cmpx_ne_u16_e32 0, v82
	s_cbranch_execz .LBB413_228
; %bb.221:                              ;   in Loop: Header=BB413_13 Depth=1
	v_bfrev_b32_e32 v28, 1
	s_mov_b32 s21, exec_lo
	v_cmpx_ne_u16_e32 0x80, v82
	s_cbranch_execz .LBB413_227
; %bb.222:                              ;   in Loop: Header=BB413_13 Depth=1
	v_and_b32_e32 v83, 0xffff, v82
	v_mov_b32_e32 v28, 0x7f800001
	s_mov_b32 s22, exec_lo
	s_delay_alu instid0(VALU_DEP_2) | instskip(NEXT) | instid1(VALU_DEP_1)
	v_and_b32_e32 v82, 0x7f, v83
	v_cmpx_ne_u32_e32 0x7f, v82
	s_cbranch_execz .LBB413_226
; %bb.223:                              ;   in Loop: Header=BB413_13 Depth=1
	v_and_b32_e32 v28, 7, v83
	v_lshrrev_b32_e32 v177, 3, v82
	v_cmp_gt_u32_e64 s2, 8, v82
	s_delay_alu instid0(VALU_DEP_3) | instskip(NEXT) | instid1(VALU_DEP_2)
	v_dual_mov_b32 v83, v29 :: v_dual_mov_b32 v82, v28
	s_and_saveexec_b32 s23, s2
; %bb.224:                              ;   in Loop: Header=BB413_13 Depth=1
	v_clz_i32_u32_e32 v82, v28
	s_delay_alu instid0(VALU_DEP_1) | instskip(NEXT) | instid1(VALU_DEP_1)
	v_min_u32_e32 v177, 32, v82
	v_subrev_nc_u32_e32 v82, 28, v177
	v_sub_nc_u32_e32 v177, 29, v177
	s_delay_alu instid0(VALU_DEP_2) | instskip(NEXT) | instid1(VALU_DEP_1)
	v_lshlrev_b64 v[82:83], v82, v[28:29]
	v_and_b32_e32 v82, 7, v82
; %bb.225:                              ;   in Loop: Header=BB413_13 Depth=1
	s_or_b32 exec_lo, exec_lo, s23
	v_lshlrev_b32_e32 v28, 16, v179
	s_delay_alu instid0(VALU_DEP_2) | instskip(SKIP_1) | instid1(VALU_DEP_3)
	v_lshlrev_b32_e32 v82, 20, v82
	v_lshl_add_u32 v83, v177, 23, 0x3c000000
	v_and_b32_e32 v28, 0x80000000, v28
	s_delay_alu instid0(VALU_DEP_1)
	v_or3_b32 v28, v82, v28, v83
.LBB413_226:                            ;   in Loop: Header=BB413_13 Depth=1
	s_or_b32 exec_lo, exec_lo, s22
.LBB413_227:                            ;   in Loop: Header=BB413_13 Depth=1
	s_delay_alu instid0(SALU_CYCLE_1)
	s_or_b32 exec_lo, exec_lo, s21
.LBB413_228:                            ;   in Loop: Header=BB413_13 Depth=1
	s_delay_alu instid0(SALU_CYCLE_1) | instskip(NEXT) | instid1(VALU_DEP_1)
	s_or_b32 exec_lo, exec_lo, s20
	v_mul_f32_e32 v28, v144, v28
                                        ; implicit-def: $vgpr177
	s_delay_alu instid0(VALU_DEP_1) | instskip(NEXT) | instid1(VALU_DEP_1)
	v_and_b32_e32 v82, 0x7f800000, v28
	v_cmp_ne_u32_e64 s2, 0x7f800000, v82
	s_delay_alu instid0(VALU_DEP_1) | instskip(NEXT) | instid1(SALU_CYCLE_1)
	s_and_saveexec_b32 s20, s2
	s_xor_b32 s2, exec_lo, s20
; %bb.229:                              ;   in Loop: Header=BB413_13 Depth=1
	v_bfe_u32 v82, v28, 16, 1
	s_delay_alu instid0(VALU_DEP_1)
	v_add3_u32 v177, v28, v82, 0x7fff
                                        ; implicit-def: $vgpr28
; %bb.230:                              ;   in Loop: Header=BB413_13 Depth=1
	s_and_not1_saveexec_b32 s20, s2
; %bb.231:                              ;   in Loop: Header=BB413_13 Depth=1
	v_and_b32_e32 v82, 0xffff, v28
	v_or_b32_e32 v83, 0x10000, v28
	s_delay_alu instid0(VALU_DEP_2) | instskip(NEXT) | instid1(VALU_DEP_1)
	v_cmp_eq_u32_e64 s2, 0, v82
	v_cndmask_b32_e64 v177, v83, v28, s2
; %bb.232:                              ;   in Loop: Header=BB413_13 Depth=1
	s_or_b32 exec_lo, exec_lo, s20
	v_lshrrev_b32_e32 v178, 16, v179
	v_mov_b32_e32 v28, 0
	s_mov_b32 s20, exec_lo
	s_delay_alu instid0(VALU_DEP_2) | instskip(NEXT) | instid1(VALU_DEP_1)
	v_and_b32_e32 v82, 0xff, v178
	v_cmpx_ne_u16_e32 0, v82
	s_cbranch_execz .LBB413_240
; %bb.233:                              ;   in Loop: Header=BB413_13 Depth=1
	v_bfrev_b32_e32 v28, 1
	s_mov_b32 s21, exec_lo
	v_cmpx_ne_u16_e32 0x80, v82
	s_cbranch_execz .LBB413_239
; %bb.234:                              ;   in Loop: Header=BB413_13 Depth=1
	v_bfe_u32 v82, v179, 16, 7
	v_mov_b32_e32 v28, 0x7f800001
	s_mov_b32 s22, exec_lo
	s_delay_alu instid0(VALU_DEP_2)
	v_cmpx_ne_u32_e32 0x7f, v82
	s_cbranch_execz .LBB413_238
; %bb.235:                              ;   in Loop: Header=BB413_13 Depth=1
	v_and_b32_e32 v28, 7, v178
	v_lshrrev_b32_e32 v180, 3, v82
	v_cmp_gt_u32_e64 s2, 8, v82
	s_delay_alu instid0(VALU_DEP_3) | instskip(NEXT) | instid1(VALU_DEP_2)
	v_dual_mov_b32 v83, v29 :: v_dual_mov_b32 v82, v28
	s_and_saveexec_b32 s23, s2
; %bb.236:                              ;   in Loop: Header=BB413_13 Depth=1
	v_clz_i32_u32_e32 v82, v28
	s_delay_alu instid0(VALU_DEP_1) | instskip(NEXT) | instid1(VALU_DEP_1)
	v_min_u32_e32 v180, 32, v82
	v_subrev_nc_u32_e32 v82, 28, v180
	v_sub_nc_u32_e32 v180, 29, v180
	s_delay_alu instid0(VALU_DEP_2) | instskip(NEXT) | instid1(VALU_DEP_1)
	v_lshlrev_b64 v[82:83], v82, v[28:29]
	v_and_b32_e32 v82, 7, v82
; %bb.237:                              ;   in Loop: Header=BB413_13 Depth=1
	s_or_b32 exec_lo, exec_lo, s23
	v_lshlrev_b32_e32 v28, 24, v178
	s_delay_alu instid0(VALU_DEP_2) | instskip(SKIP_1) | instid1(VALU_DEP_3)
	v_lshlrev_b32_e32 v82, 20, v82
	v_lshl_add_u32 v83, v180, 23, 0x3c000000
	v_and_b32_e32 v28, 0x80000000, v28
	s_delay_alu instid0(VALU_DEP_1)
	v_or3_b32 v28, v82, v28, v83
.LBB413_238:                            ;   in Loop: Header=BB413_13 Depth=1
	s_or_b32 exec_lo, exec_lo, s22
.LBB413_239:                            ;   in Loop: Header=BB413_13 Depth=1
	s_delay_alu instid0(SALU_CYCLE_1)
	s_or_b32 exec_lo, exec_lo, s21
.LBB413_240:                            ;   in Loop: Header=BB413_13 Depth=1
	s_delay_alu instid0(SALU_CYCLE_1) | instskip(NEXT) | instid1(VALU_DEP_1)
	s_or_b32 exec_lo, exec_lo, s20
	v_mul_f32_e32 v28, v144, v28
                                        ; implicit-def: $vgpr178
	s_delay_alu instid0(VALU_DEP_1) | instskip(NEXT) | instid1(VALU_DEP_1)
	v_and_b32_e32 v82, 0x7f800000, v28
	v_cmp_ne_u32_e64 s2, 0x7f800000, v82
	s_delay_alu instid0(VALU_DEP_1) | instskip(NEXT) | instid1(SALU_CYCLE_1)
	s_and_saveexec_b32 s20, s2
	s_xor_b32 s2, exec_lo, s20
; %bb.241:                              ;   in Loop: Header=BB413_13 Depth=1
	v_bfe_u32 v82, v28, 16, 1
	s_delay_alu instid0(VALU_DEP_1)
	v_add3_u32 v178, v28, v82, 0x7fff
                                        ; implicit-def: $vgpr28
; %bb.242:                              ;   in Loop: Header=BB413_13 Depth=1
	s_and_not1_saveexec_b32 s20, s2
; %bb.243:                              ;   in Loop: Header=BB413_13 Depth=1
	v_and_b32_e32 v82, 0xffff, v28
	v_or_b32_e32 v83, 0x10000, v28
	s_delay_alu instid0(VALU_DEP_2) | instskip(NEXT) | instid1(VALU_DEP_1)
	v_cmp_eq_u32_e64 s2, 0, v82
	v_cndmask_b32_e64 v178, v83, v28, s2
; %bb.244:                              ;   in Loop: Header=BB413_13 Depth=1
	s_or_b32 exec_lo, exec_lo, s20
	v_mov_b32_e32 v28, 0
	s_mov_b32 s20, exec_lo
	v_cmpx_lt_u32_e32 0xffffff, v179
	s_cbranch_execz .LBB413_252
; %bb.245:                              ;   in Loop: Header=BB413_13 Depth=1
	v_lshrrev_b32_e32 v180, 24, v179
	v_bfrev_b32_e32 v28, 1
	s_mov_b32 s21, exec_lo
	s_delay_alu instid0(VALU_DEP_2)
	v_cmpx_ne_u32_e32 0x80, v180
	s_cbranch_execz .LBB413_251
; %bb.246:                              ;   in Loop: Header=BB413_13 Depth=1
	v_bfe_u32 v82, v179, 24, 7
	v_mov_b32_e32 v28, 0x7f800001
	s_mov_b32 s22, exec_lo
	s_delay_alu instid0(VALU_DEP_2)
	v_cmpx_ne_u32_e32 0x7f, v82
	s_cbranch_execz .LBB413_250
; %bb.247:                              ;   in Loop: Header=BB413_13 Depth=1
	v_and_b32_e32 v28, 7, v180
	v_lshrrev_b32_e32 v179, 3, v82
	v_cmp_gt_u32_e64 s2, 8, v82
	s_delay_alu instid0(VALU_DEP_3) | instskip(NEXT) | instid1(VALU_DEP_2)
	v_dual_mov_b32 v83, v29 :: v_dual_mov_b32 v82, v28
	s_and_saveexec_b32 s23, s2
; %bb.248:                              ;   in Loop: Header=BB413_13 Depth=1
	v_clz_i32_u32_e32 v82, v28
	s_delay_alu instid0(VALU_DEP_1) | instskip(NEXT) | instid1(VALU_DEP_1)
	v_min_u32_e32 v179, 32, v82
	v_subrev_nc_u32_e32 v82, 28, v179
	v_sub_nc_u32_e32 v179, 29, v179
	s_delay_alu instid0(VALU_DEP_2) | instskip(NEXT) | instid1(VALU_DEP_1)
	v_lshlrev_b64 v[82:83], v82, v[28:29]
	v_and_b32_e32 v82, 7, v82
; %bb.249:                              ;   in Loop: Header=BB413_13 Depth=1
	s_or_b32 exec_lo, exec_lo, s23
	v_lshlrev_b32_e32 v28, 24, v180
	s_delay_alu instid0(VALU_DEP_2) | instskip(SKIP_1) | instid1(VALU_DEP_3)
	v_lshlrev_b32_e32 v82, 20, v82
	v_lshl_add_u32 v83, v179, 23, 0x3c000000
	v_and_b32_e32 v28, 0x80000000, v28
	s_delay_alu instid0(VALU_DEP_1)
	v_or3_b32 v28, v82, v28, v83
.LBB413_250:                            ;   in Loop: Header=BB413_13 Depth=1
	s_or_b32 exec_lo, exec_lo, s22
.LBB413_251:                            ;   in Loop: Header=BB413_13 Depth=1
	s_delay_alu instid0(SALU_CYCLE_1)
	s_or_b32 exec_lo, exec_lo, s21
.LBB413_252:                            ;   in Loop: Header=BB413_13 Depth=1
	s_delay_alu instid0(SALU_CYCLE_1) | instskip(NEXT) | instid1(VALU_DEP_1)
	s_or_b32 exec_lo, exec_lo, s20
	v_mul_f32_e32 v28, v144, v28
                                        ; implicit-def: $vgpr179
	s_delay_alu instid0(VALU_DEP_1) | instskip(NEXT) | instid1(VALU_DEP_1)
	v_and_b32_e32 v82, 0x7f800000, v28
	v_cmp_ne_u32_e64 s2, 0x7f800000, v82
	s_delay_alu instid0(VALU_DEP_1) | instskip(NEXT) | instid1(SALU_CYCLE_1)
	s_and_saveexec_b32 s20, s2
	s_xor_b32 s2, exec_lo, s20
; %bb.253:                              ;   in Loop: Header=BB413_13 Depth=1
	v_bfe_u32 v82, v28, 16, 1
	s_delay_alu instid0(VALU_DEP_1)
	v_add3_u32 v179, v28, v82, 0x7fff
                                        ; implicit-def: $vgpr28
; %bb.254:                              ;   in Loop: Header=BB413_13 Depth=1
	s_and_not1_saveexec_b32 s20, s2
; %bb.255:                              ;   in Loop: Header=BB413_13 Depth=1
	v_and_b32_e32 v82, 0xffff, v28
	v_or_b32_e32 v83, 0x10000, v28
	s_delay_alu instid0(VALU_DEP_2) | instskip(NEXT) | instid1(VALU_DEP_1)
	v_cmp_eq_u32_e64 s2, 0, v82
	v_cndmask_b32_e64 v179, v83, v28, s2
; %bb.256:                              ;   in Loop: Header=BB413_13 Depth=1
	s_or_b32 exec_lo, exec_lo, s20
	flat_load_b32 v183, v[80:81] offset:520
	v_mov_b32_e32 v28, 0
	s_mov_b32 s20, exec_lo
	s_waitcnt vmcnt(0) lgkmcnt(0)
	v_and_b32_e32 v82, 0xff, v183
	s_delay_alu instid0(VALU_DEP_1)
	v_cmpx_ne_u16_e32 0, v82
	s_cbranch_execz .LBB413_264
; %bb.257:                              ;   in Loop: Header=BB413_13 Depth=1
	v_bfrev_b32_e32 v28, 1
	s_mov_b32 s21, exec_lo
	v_cmpx_ne_u16_e32 0x80, v82
	s_cbranch_execz .LBB413_263
; %bb.258:                              ;   in Loop: Header=BB413_13 Depth=1
	v_and_b32_e32 v82, 0x7f, v183
	v_mov_b32_e32 v28, 0x7f800001
	s_mov_b32 s22, exec_lo
	s_delay_alu instid0(VALU_DEP_2)
	v_cmpx_ne_u32_e32 0x7f, v82
	s_cbranch_execz .LBB413_262
; %bb.259:                              ;   in Loop: Header=BB413_13 Depth=1
	v_and_b32_e32 v28, 7, v183
	v_lshrrev_b32_e32 v180, 3, v82
	v_cmp_gt_u32_e64 s2, 8, v82
	s_delay_alu instid0(VALU_DEP_3) | instskip(NEXT) | instid1(VALU_DEP_2)
	v_dual_mov_b32 v83, v29 :: v_dual_mov_b32 v82, v28
	s_and_saveexec_b32 s23, s2
; %bb.260:                              ;   in Loop: Header=BB413_13 Depth=1
	v_clz_i32_u32_e32 v82, v28
	s_delay_alu instid0(VALU_DEP_1) | instskip(NEXT) | instid1(VALU_DEP_1)
	v_min_u32_e32 v180, 32, v82
	v_subrev_nc_u32_e32 v82, 28, v180
	v_sub_nc_u32_e32 v180, 29, v180
	s_delay_alu instid0(VALU_DEP_2) | instskip(NEXT) | instid1(VALU_DEP_1)
	v_lshlrev_b64 v[82:83], v82, v[28:29]
	v_and_b32_e32 v82, 7, v82
; %bb.261:                              ;   in Loop: Header=BB413_13 Depth=1
	s_or_b32 exec_lo, exec_lo, s23
	v_lshlrev_b32_e32 v28, 24, v183
	s_delay_alu instid0(VALU_DEP_2) | instskip(SKIP_1) | instid1(VALU_DEP_3)
	v_lshlrev_b32_e32 v82, 20, v82
	v_lshl_add_u32 v83, v180, 23, 0x3c000000
	v_and_b32_e32 v28, 0x80000000, v28
	s_delay_alu instid0(VALU_DEP_1)
	v_or3_b32 v28, v82, v28, v83
.LBB413_262:                            ;   in Loop: Header=BB413_13 Depth=1
	s_or_b32 exec_lo, exec_lo, s22
.LBB413_263:                            ;   in Loop: Header=BB413_13 Depth=1
	s_delay_alu instid0(SALU_CYCLE_1)
	s_or_b32 exec_lo, exec_lo, s21
.LBB413_264:                            ;   in Loop: Header=BB413_13 Depth=1
	s_delay_alu instid0(SALU_CYCLE_1) | instskip(NEXT) | instid1(VALU_DEP_1)
	s_or_b32 exec_lo, exec_lo, s20
	v_mul_f32_e32 v28, v144, v28
                                        ; implicit-def: $vgpr180
	s_delay_alu instid0(VALU_DEP_1) | instskip(NEXT) | instid1(VALU_DEP_1)
	v_and_b32_e32 v82, 0x7f800000, v28
	v_cmp_ne_u32_e64 s2, 0x7f800000, v82
	s_delay_alu instid0(VALU_DEP_1) | instskip(NEXT) | instid1(SALU_CYCLE_1)
	s_and_saveexec_b32 s20, s2
	s_xor_b32 s2, exec_lo, s20
; %bb.265:                              ;   in Loop: Header=BB413_13 Depth=1
	v_bfe_u32 v82, v28, 16, 1
	s_delay_alu instid0(VALU_DEP_1)
	v_add3_u32 v180, v28, v82, 0x7fff
                                        ; implicit-def: $vgpr28
; %bb.266:                              ;   in Loop: Header=BB413_13 Depth=1
	s_and_not1_saveexec_b32 s20, s2
; %bb.267:                              ;   in Loop: Header=BB413_13 Depth=1
	v_and_b32_e32 v82, 0xffff, v28
	v_or_b32_e32 v83, 0x10000, v28
	s_delay_alu instid0(VALU_DEP_2) | instskip(NEXT) | instid1(VALU_DEP_1)
	v_cmp_eq_u32_e64 s2, 0, v82
	v_cndmask_b32_e64 v180, v83, v28, s2
; %bb.268:                              ;   in Loop: Header=BB413_13 Depth=1
	s_or_b32 exec_lo, exec_lo, s20
	v_lshrrev_b16 v82, 8, v183
	v_mov_b32_e32 v28, 0
	s_mov_b32 s20, exec_lo
	s_delay_alu instid0(VALU_DEP_2)
	v_cmpx_ne_u16_e32 0, v82
	s_cbranch_execz .LBB413_276
; %bb.269:                              ;   in Loop: Header=BB413_13 Depth=1
	v_bfrev_b32_e32 v28, 1
	s_mov_b32 s21, exec_lo
	v_cmpx_ne_u16_e32 0x80, v82
	s_cbranch_execz .LBB413_275
; %bb.270:                              ;   in Loop: Header=BB413_13 Depth=1
	v_and_b32_e32 v83, 0xffff, v82
	v_mov_b32_e32 v28, 0x7f800001
	s_mov_b32 s22, exec_lo
	s_delay_alu instid0(VALU_DEP_2) | instskip(NEXT) | instid1(VALU_DEP_1)
	v_and_b32_e32 v82, 0x7f, v83
	v_cmpx_ne_u32_e32 0x7f, v82
	s_cbranch_execz .LBB413_274
; %bb.271:                              ;   in Loop: Header=BB413_13 Depth=1
	v_and_b32_e32 v28, 7, v83
	v_lshrrev_b32_e32 v181, 3, v82
	v_cmp_gt_u32_e64 s2, 8, v82
	s_delay_alu instid0(VALU_DEP_3) | instskip(NEXT) | instid1(VALU_DEP_2)
	v_dual_mov_b32 v83, v29 :: v_dual_mov_b32 v82, v28
	s_and_saveexec_b32 s23, s2
; %bb.272:                              ;   in Loop: Header=BB413_13 Depth=1
	v_clz_i32_u32_e32 v82, v28
	s_delay_alu instid0(VALU_DEP_1) | instskip(NEXT) | instid1(VALU_DEP_1)
	v_min_u32_e32 v181, 32, v82
	v_subrev_nc_u32_e32 v82, 28, v181
	v_sub_nc_u32_e32 v181, 29, v181
	s_delay_alu instid0(VALU_DEP_2) | instskip(NEXT) | instid1(VALU_DEP_1)
	v_lshlrev_b64 v[82:83], v82, v[28:29]
	v_and_b32_e32 v82, 7, v82
; %bb.273:                              ;   in Loop: Header=BB413_13 Depth=1
	s_or_b32 exec_lo, exec_lo, s23
	v_lshlrev_b32_e32 v28, 16, v183
	s_delay_alu instid0(VALU_DEP_2) | instskip(SKIP_1) | instid1(VALU_DEP_3)
	v_lshlrev_b32_e32 v82, 20, v82
	v_lshl_add_u32 v83, v181, 23, 0x3c000000
	v_and_b32_e32 v28, 0x80000000, v28
	s_delay_alu instid0(VALU_DEP_1)
	v_or3_b32 v28, v82, v28, v83
.LBB413_274:                            ;   in Loop: Header=BB413_13 Depth=1
	s_or_b32 exec_lo, exec_lo, s22
.LBB413_275:                            ;   in Loop: Header=BB413_13 Depth=1
	s_delay_alu instid0(SALU_CYCLE_1)
	s_or_b32 exec_lo, exec_lo, s21
.LBB413_276:                            ;   in Loop: Header=BB413_13 Depth=1
	s_delay_alu instid0(SALU_CYCLE_1) | instskip(NEXT) | instid1(VALU_DEP_1)
	s_or_b32 exec_lo, exec_lo, s20
	v_mul_f32_e32 v28, v144, v28
                                        ; implicit-def: $vgpr181
	s_delay_alu instid0(VALU_DEP_1) | instskip(NEXT) | instid1(VALU_DEP_1)
	v_and_b32_e32 v82, 0x7f800000, v28
	v_cmp_ne_u32_e64 s2, 0x7f800000, v82
	s_delay_alu instid0(VALU_DEP_1) | instskip(NEXT) | instid1(SALU_CYCLE_1)
	s_and_saveexec_b32 s20, s2
	s_xor_b32 s2, exec_lo, s20
; %bb.277:                              ;   in Loop: Header=BB413_13 Depth=1
	v_bfe_u32 v82, v28, 16, 1
	s_delay_alu instid0(VALU_DEP_1)
	v_add3_u32 v181, v28, v82, 0x7fff
                                        ; implicit-def: $vgpr28
; %bb.278:                              ;   in Loop: Header=BB413_13 Depth=1
	s_and_not1_saveexec_b32 s20, s2
; %bb.279:                              ;   in Loop: Header=BB413_13 Depth=1
	v_and_b32_e32 v82, 0xffff, v28
	v_or_b32_e32 v83, 0x10000, v28
	s_delay_alu instid0(VALU_DEP_2) | instskip(NEXT) | instid1(VALU_DEP_1)
	v_cmp_eq_u32_e64 s2, 0, v82
	v_cndmask_b32_e64 v181, v83, v28, s2
; %bb.280:                              ;   in Loop: Header=BB413_13 Depth=1
	s_or_b32 exec_lo, exec_lo, s20
	v_lshrrev_b32_e32 v182, 16, v183
	v_mov_b32_e32 v28, 0
	s_mov_b32 s20, exec_lo
	s_delay_alu instid0(VALU_DEP_2) | instskip(NEXT) | instid1(VALU_DEP_1)
	v_and_b32_e32 v82, 0xff, v182
	v_cmpx_ne_u16_e32 0, v82
	s_cbranch_execz .LBB413_288
; %bb.281:                              ;   in Loop: Header=BB413_13 Depth=1
	v_bfrev_b32_e32 v28, 1
	s_mov_b32 s21, exec_lo
	v_cmpx_ne_u16_e32 0x80, v82
	s_cbranch_execz .LBB413_287
; %bb.282:                              ;   in Loop: Header=BB413_13 Depth=1
	v_bfe_u32 v82, v183, 16, 7
	v_mov_b32_e32 v28, 0x7f800001
	s_mov_b32 s22, exec_lo
	s_delay_alu instid0(VALU_DEP_2)
	v_cmpx_ne_u32_e32 0x7f, v82
	s_cbranch_execz .LBB413_286
; %bb.283:                              ;   in Loop: Header=BB413_13 Depth=1
	v_and_b32_e32 v28, 7, v182
	v_lshrrev_b32_e32 v40, 3, v82
	v_cmp_gt_u32_e64 s2, 8, v82
	s_delay_alu instid0(VALU_DEP_3) | instskip(NEXT) | instid1(VALU_DEP_2)
	v_dual_mov_b32 v83, v29 :: v_dual_mov_b32 v82, v28
	s_and_saveexec_b32 s23, s2
; %bb.284:                              ;   in Loop: Header=BB413_13 Depth=1
	v_clz_i32_u32_e32 v82, v28
	s_delay_alu instid0(VALU_DEP_1) | instskip(NEXT) | instid1(VALU_DEP_1)
	v_min_u32_e32 v40, 32, v82
	v_subrev_nc_u32_e32 v82, 28, v40
	v_sub_nc_u32_e32 v40, 29, v40
	s_delay_alu instid0(VALU_DEP_2) | instskip(NEXT) | instid1(VALU_DEP_1)
	v_lshlrev_b64 v[82:83], v82, v[28:29]
	v_and_b32_e32 v82, 7, v82
; %bb.285:                              ;   in Loop: Header=BB413_13 Depth=1
	s_or_b32 exec_lo, exec_lo, s23
	v_lshlrev_b32_e32 v28, 24, v182
	s_delay_alu instid0(VALU_DEP_2) | instskip(SKIP_1) | instid1(VALU_DEP_3)
	v_lshlrev_b32_e32 v82, 20, v82
	v_lshl_add_u32 v83, v40, 23, 0x3c000000
	v_and_b32_e32 v28, 0x80000000, v28
	s_delay_alu instid0(VALU_DEP_1)
	v_or3_b32 v28, v82, v28, v83
.LBB413_286:                            ;   in Loop: Header=BB413_13 Depth=1
	s_or_b32 exec_lo, exec_lo, s22
.LBB413_287:                            ;   in Loop: Header=BB413_13 Depth=1
	s_delay_alu instid0(SALU_CYCLE_1)
	s_or_b32 exec_lo, exec_lo, s21
.LBB413_288:                            ;   in Loop: Header=BB413_13 Depth=1
	s_delay_alu instid0(SALU_CYCLE_1) | instskip(NEXT) | instid1(VALU_DEP_1)
	s_or_b32 exec_lo, exec_lo, s20
	v_mul_f32_e32 v28, v144, v28
                                        ; implicit-def: $vgpr182
	s_delay_alu instid0(VALU_DEP_1) | instskip(NEXT) | instid1(VALU_DEP_1)
	v_and_b32_e32 v82, 0x7f800000, v28
	v_cmp_ne_u32_e64 s2, 0x7f800000, v82
	s_delay_alu instid0(VALU_DEP_1) | instskip(NEXT) | instid1(SALU_CYCLE_1)
	s_and_saveexec_b32 s20, s2
	s_xor_b32 s2, exec_lo, s20
; %bb.289:                              ;   in Loop: Header=BB413_13 Depth=1
	v_bfe_u32 v82, v28, 16, 1
	s_delay_alu instid0(VALU_DEP_1)
	v_add3_u32 v182, v28, v82, 0x7fff
                                        ; implicit-def: $vgpr28
; %bb.290:                              ;   in Loop: Header=BB413_13 Depth=1
	s_and_not1_saveexec_b32 s20, s2
; %bb.291:                              ;   in Loop: Header=BB413_13 Depth=1
	v_and_b32_e32 v82, 0xffff, v28
	v_or_b32_e32 v83, 0x10000, v28
	s_delay_alu instid0(VALU_DEP_2) | instskip(NEXT) | instid1(VALU_DEP_1)
	v_cmp_eq_u32_e64 s2, 0, v82
	v_cndmask_b32_e64 v182, v83, v28, s2
; %bb.292:                              ;   in Loop: Header=BB413_13 Depth=1
	s_or_b32 exec_lo, exec_lo, s20
	v_mov_b32_e32 v28, 0
	s_mov_b32 s20, exec_lo
	v_cmpx_lt_u32_e32 0xffffff, v183
	s_cbranch_execz .LBB413_300
; %bb.293:                              ;   in Loop: Header=BB413_13 Depth=1
	v_lshrrev_b32_e32 v40, 24, v183
	v_bfrev_b32_e32 v28, 1
	s_mov_b32 s21, exec_lo
	s_delay_alu instid0(VALU_DEP_2)
	v_cmpx_ne_u32_e32 0x80, v40
	s_cbranch_execz .LBB413_299
; %bb.294:                              ;   in Loop: Header=BB413_13 Depth=1
	v_bfe_u32 v82, v183, 24, 7
	v_mov_b32_e32 v28, 0x7f800001
	s_mov_b32 s22, exec_lo
	s_delay_alu instid0(VALU_DEP_2)
	v_cmpx_ne_u32_e32 0x7f, v82
	s_cbranch_execz .LBB413_298
; %bb.295:                              ;   in Loop: Header=BB413_13 Depth=1
	v_and_b32_e32 v28, 7, v40
	v_lshrrev_b32_e32 v183, 3, v82
	v_cmp_gt_u32_e64 s2, 8, v82
	s_delay_alu instid0(VALU_DEP_3) | instskip(NEXT) | instid1(VALU_DEP_2)
	v_dual_mov_b32 v83, v29 :: v_dual_mov_b32 v82, v28
	s_and_saveexec_b32 s23, s2
; %bb.296:                              ;   in Loop: Header=BB413_13 Depth=1
	v_clz_i32_u32_e32 v82, v28
	s_delay_alu instid0(VALU_DEP_1) | instskip(NEXT) | instid1(VALU_DEP_1)
	v_min_u32_e32 v183, 32, v82
	v_subrev_nc_u32_e32 v82, 28, v183
	v_sub_nc_u32_e32 v183, 29, v183
	s_delay_alu instid0(VALU_DEP_2) | instskip(NEXT) | instid1(VALU_DEP_1)
	v_lshlrev_b64 v[82:83], v82, v[28:29]
	v_and_b32_e32 v82, 7, v82
; %bb.297:                              ;   in Loop: Header=BB413_13 Depth=1
	s_or_b32 exec_lo, exec_lo, s23
	v_lshlrev_b32_e32 v28, 24, v40
	s_delay_alu instid0(VALU_DEP_2) | instskip(SKIP_1) | instid1(VALU_DEP_3)
	v_lshlrev_b32_e32 v82, 20, v82
	v_lshl_add_u32 v83, v183, 23, 0x3c000000
	v_and_b32_e32 v28, 0x80000000, v28
	s_delay_alu instid0(VALU_DEP_1)
	v_or3_b32 v28, v82, v28, v83
.LBB413_298:                            ;   in Loop: Header=BB413_13 Depth=1
	s_or_b32 exec_lo, exec_lo, s22
.LBB413_299:                            ;   in Loop: Header=BB413_13 Depth=1
	s_delay_alu instid0(SALU_CYCLE_1)
	s_or_b32 exec_lo, exec_lo, s21
.LBB413_300:                            ;   in Loop: Header=BB413_13 Depth=1
	s_delay_alu instid0(SALU_CYCLE_1) | instskip(NEXT) | instid1(VALU_DEP_1)
	s_or_b32 exec_lo, exec_lo, s20
	v_mul_f32_e32 v28, v144, v28
                                        ; implicit-def: $vgpr183
	s_delay_alu instid0(VALU_DEP_1) | instskip(NEXT) | instid1(VALU_DEP_1)
	v_and_b32_e32 v82, 0x7f800000, v28
	v_cmp_ne_u32_e64 s2, 0x7f800000, v82
	s_delay_alu instid0(VALU_DEP_1) | instskip(NEXT) | instid1(SALU_CYCLE_1)
	s_and_saveexec_b32 s20, s2
	s_xor_b32 s2, exec_lo, s20
; %bb.301:                              ;   in Loop: Header=BB413_13 Depth=1
	v_bfe_u32 v82, v28, 16, 1
	s_delay_alu instid0(VALU_DEP_1)
	v_add3_u32 v183, v28, v82, 0x7fff
                                        ; implicit-def: $vgpr28
; %bb.302:                              ;   in Loop: Header=BB413_13 Depth=1
	s_and_not1_saveexec_b32 s20, s2
; %bb.303:                              ;   in Loop: Header=BB413_13 Depth=1
	v_and_b32_e32 v82, 0xffff, v28
	v_or_b32_e32 v83, 0x10000, v28
	s_delay_alu instid0(VALU_DEP_2) | instskip(NEXT) | instid1(VALU_DEP_1)
	v_cmp_eq_u32_e64 s2, 0, v82
	v_cndmask_b32_e64 v183, v83, v28, s2
; %bb.304:                              ;   in Loop: Header=BB413_13 Depth=1
	s_or_b32 exec_lo, exec_lo, s20
	flat_load_b32 v43, v[80:81] offset:768
	v_mov_b32_e32 v28, 0
	s_mov_b32 s20, exec_lo
	s_waitcnt vmcnt(0) lgkmcnt(0)
	v_and_b32_e32 v82, 0xff, v43
	s_delay_alu instid0(VALU_DEP_1)
	v_cmpx_ne_u16_e32 0, v82
	s_cbranch_execz .LBB413_312
; %bb.305:                              ;   in Loop: Header=BB413_13 Depth=1
	v_bfrev_b32_e32 v28, 1
	s_mov_b32 s21, exec_lo
	v_cmpx_ne_u16_e32 0x80, v82
	s_cbranch_execz .LBB413_311
; %bb.306:                              ;   in Loop: Header=BB413_13 Depth=1
	v_and_b32_e32 v82, 0x7f, v43
	v_mov_b32_e32 v28, 0x7f800001
	s_mov_b32 s22, exec_lo
	s_delay_alu instid0(VALU_DEP_2)
	v_cmpx_ne_u32_e32 0x7f, v82
	s_cbranch_execz .LBB413_310
; %bb.307:                              ;   in Loop: Header=BB413_13 Depth=1
	v_and_b32_e32 v28, 7, v43
	v_lshrrev_b32_e32 v40, 3, v82
	v_cmp_gt_u32_e64 s2, 8, v82
	s_delay_alu instid0(VALU_DEP_3) | instskip(NEXT) | instid1(VALU_DEP_2)
	v_dual_mov_b32 v83, v29 :: v_dual_mov_b32 v82, v28
	s_and_saveexec_b32 s23, s2
; %bb.308:                              ;   in Loop: Header=BB413_13 Depth=1
	v_clz_i32_u32_e32 v82, v28
	s_delay_alu instid0(VALU_DEP_1) | instskip(NEXT) | instid1(VALU_DEP_1)
	v_min_u32_e32 v40, 32, v82
	v_subrev_nc_u32_e32 v82, 28, v40
	v_sub_nc_u32_e32 v40, 29, v40
	s_delay_alu instid0(VALU_DEP_2) | instskip(NEXT) | instid1(VALU_DEP_1)
	v_lshlrev_b64 v[82:83], v82, v[28:29]
	v_and_b32_e32 v82, 7, v82
; %bb.309:                              ;   in Loop: Header=BB413_13 Depth=1
	s_or_b32 exec_lo, exec_lo, s23
	v_lshlrev_b32_e32 v28, 24, v43
	s_delay_alu instid0(VALU_DEP_2) | instskip(SKIP_1) | instid1(VALU_DEP_3)
	v_lshlrev_b32_e32 v82, 20, v82
	v_lshl_add_u32 v83, v40, 23, 0x3c000000
	v_and_b32_e32 v28, 0x80000000, v28
	s_delay_alu instid0(VALU_DEP_1)
	v_or3_b32 v28, v82, v28, v83
.LBB413_310:                            ;   in Loop: Header=BB413_13 Depth=1
	s_or_b32 exec_lo, exec_lo, s22
.LBB413_311:                            ;   in Loop: Header=BB413_13 Depth=1
	s_delay_alu instid0(SALU_CYCLE_1)
	s_or_b32 exec_lo, exec_lo, s21
.LBB413_312:                            ;   in Loop: Header=BB413_13 Depth=1
	s_delay_alu instid0(SALU_CYCLE_1) | instskip(NEXT) | instid1(VALU_DEP_1)
	s_or_b32 exec_lo, exec_lo, s20
	v_mul_f32_e32 v28, v144, v28
                                        ; implicit-def: $vgpr40
	s_delay_alu instid0(VALU_DEP_1) | instskip(NEXT) | instid1(VALU_DEP_1)
	v_and_b32_e32 v82, 0x7f800000, v28
	v_cmp_ne_u32_e64 s2, 0x7f800000, v82
	s_delay_alu instid0(VALU_DEP_1) | instskip(NEXT) | instid1(SALU_CYCLE_1)
	s_and_saveexec_b32 s20, s2
	s_xor_b32 s2, exec_lo, s20
; %bb.313:                              ;   in Loop: Header=BB413_13 Depth=1
	v_bfe_u32 v82, v28, 16, 1
	s_delay_alu instid0(VALU_DEP_1)
	v_add3_u32 v40, v28, v82, 0x7fff
                                        ; implicit-def: $vgpr28
; %bb.314:                              ;   in Loop: Header=BB413_13 Depth=1
	s_and_not1_saveexec_b32 s20, s2
; %bb.315:                              ;   in Loop: Header=BB413_13 Depth=1
	v_and_b32_e32 v82, 0xffff, v28
	v_or_b32_e32 v83, 0x10000, v28
	s_delay_alu instid0(VALU_DEP_2) | instskip(NEXT) | instid1(VALU_DEP_1)
	v_cmp_eq_u32_e64 s2, 0, v82
	v_cndmask_b32_e64 v40, v83, v28, s2
; %bb.316:                              ;   in Loop: Header=BB413_13 Depth=1
	s_or_b32 exec_lo, exec_lo, s20
	v_lshrrev_b16 v82, 8, v43
	v_mov_b32_e32 v28, 0
	s_mov_b32 s20, exec_lo
	s_delay_alu instid0(VALU_DEP_2)
	v_cmpx_ne_u16_e32 0, v82
	s_cbranch_execz .LBB413_324
; %bb.317:                              ;   in Loop: Header=BB413_13 Depth=1
	v_bfrev_b32_e32 v28, 1
	s_mov_b32 s21, exec_lo
	v_cmpx_ne_u16_e32 0x80, v82
	s_cbranch_execz .LBB413_323
; %bb.318:                              ;   in Loop: Header=BB413_13 Depth=1
	v_and_b32_e32 v83, 0xffff, v82
	v_mov_b32_e32 v28, 0x7f800001
	s_mov_b32 s22, exec_lo
	s_delay_alu instid0(VALU_DEP_2) | instskip(NEXT) | instid1(VALU_DEP_1)
	v_and_b32_e32 v82, 0x7f, v83
	v_cmpx_ne_u32_e32 0x7f, v82
	s_cbranch_execz .LBB413_322
; %bb.319:                              ;   in Loop: Header=BB413_13 Depth=1
	v_and_b32_e32 v28, 7, v83
	v_lshrrev_b32_e32 v41, 3, v82
	v_cmp_gt_u32_e64 s2, 8, v82
	s_delay_alu instid0(VALU_DEP_3) | instskip(NEXT) | instid1(VALU_DEP_2)
	v_dual_mov_b32 v83, v29 :: v_dual_mov_b32 v82, v28
	s_and_saveexec_b32 s23, s2
; %bb.320:                              ;   in Loop: Header=BB413_13 Depth=1
	v_clz_i32_u32_e32 v82, v28
	s_delay_alu instid0(VALU_DEP_1) | instskip(NEXT) | instid1(VALU_DEP_1)
	v_min_u32_e32 v41, 32, v82
	v_subrev_nc_u32_e32 v82, 28, v41
	v_sub_nc_u32_e32 v41, 29, v41
	s_delay_alu instid0(VALU_DEP_2) | instskip(NEXT) | instid1(VALU_DEP_1)
	v_lshlrev_b64 v[82:83], v82, v[28:29]
	v_and_b32_e32 v82, 7, v82
; %bb.321:                              ;   in Loop: Header=BB413_13 Depth=1
	s_or_b32 exec_lo, exec_lo, s23
	v_lshlrev_b32_e32 v28, 16, v43
	s_delay_alu instid0(VALU_DEP_2) | instskip(SKIP_1) | instid1(VALU_DEP_3)
	v_lshlrev_b32_e32 v82, 20, v82
	v_lshl_add_u32 v83, v41, 23, 0x3c000000
	v_and_b32_e32 v28, 0x80000000, v28
	s_delay_alu instid0(VALU_DEP_1)
	v_or3_b32 v28, v82, v28, v83
.LBB413_322:                            ;   in Loop: Header=BB413_13 Depth=1
	s_or_b32 exec_lo, exec_lo, s22
.LBB413_323:                            ;   in Loop: Header=BB413_13 Depth=1
	s_delay_alu instid0(SALU_CYCLE_1)
	s_or_b32 exec_lo, exec_lo, s21
.LBB413_324:                            ;   in Loop: Header=BB413_13 Depth=1
	s_delay_alu instid0(SALU_CYCLE_1) | instskip(NEXT) | instid1(VALU_DEP_1)
	s_or_b32 exec_lo, exec_lo, s20
	v_mul_f32_e32 v28, v144, v28
                                        ; implicit-def: $vgpr41
	s_delay_alu instid0(VALU_DEP_1) | instskip(NEXT) | instid1(VALU_DEP_1)
	v_and_b32_e32 v82, 0x7f800000, v28
	v_cmp_ne_u32_e64 s2, 0x7f800000, v82
	s_delay_alu instid0(VALU_DEP_1) | instskip(NEXT) | instid1(SALU_CYCLE_1)
	s_and_saveexec_b32 s20, s2
	s_xor_b32 s2, exec_lo, s20
; %bb.325:                              ;   in Loop: Header=BB413_13 Depth=1
	v_bfe_u32 v82, v28, 16, 1
	s_delay_alu instid0(VALU_DEP_1)
	v_add3_u32 v41, v28, v82, 0x7fff
                                        ; implicit-def: $vgpr28
; %bb.326:                              ;   in Loop: Header=BB413_13 Depth=1
	s_and_not1_saveexec_b32 s20, s2
; %bb.327:                              ;   in Loop: Header=BB413_13 Depth=1
	v_and_b32_e32 v82, 0xffff, v28
	v_or_b32_e32 v83, 0x10000, v28
	s_delay_alu instid0(VALU_DEP_2) | instskip(NEXT) | instid1(VALU_DEP_1)
	v_cmp_eq_u32_e64 s2, 0, v82
	v_cndmask_b32_e64 v41, v83, v28, s2
; %bb.328:                              ;   in Loop: Header=BB413_13 Depth=1
	s_or_b32 exec_lo, exec_lo, s20
	v_lshrrev_b32_e32 v42, 16, v43
	v_mov_b32_e32 v28, 0
	s_mov_b32 s20, exec_lo
	s_delay_alu instid0(VALU_DEP_2) | instskip(NEXT) | instid1(VALU_DEP_1)
	v_and_b32_e32 v82, 0xff, v42
	v_cmpx_ne_u16_e32 0, v82
	s_cbranch_execz .LBB413_336
; %bb.329:                              ;   in Loop: Header=BB413_13 Depth=1
	v_bfrev_b32_e32 v28, 1
	s_mov_b32 s21, exec_lo
	v_cmpx_ne_u16_e32 0x80, v82
	s_cbranch_execz .LBB413_335
; %bb.330:                              ;   in Loop: Header=BB413_13 Depth=1
	v_bfe_u32 v82, v43, 16, 7
	v_mov_b32_e32 v28, 0x7f800001
	s_mov_b32 s22, exec_lo
	s_delay_alu instid0(VALU_DEP_2)
	v_cmpx_ne_u32_e32 0x7f, v82
	s_cbranch_execz .LBB413_334
; %bb.331:                              ;   in Loop: Header=BB413_13 Depth=1
	v_and_b32_e32 v28, 7, v42
	v_lshrrev_b32_e32 v44, 3, v82
	v_cmp_gt_u32_e64 s2, 8, v82
	s_delay_alu instid0(VALU_DEP_3) | instskip(NEXT) | instid1(VALU_DEP_2)
	v_dual_mov_b32 v83, v29 :: v_dual_mov_b32 v82, v28
	s_and_saveexec_b32 s23, s2
; %bb.332:                              ;   in Loop: Header=BB413_13 Depth=1
	v_clz_i32_u32_e32 v82, v28
	s_delay_alu instid0(VALU_DEP_1) | instskip(NEXT) | instid1(VALU_DEP_1)
	v_min_u32_e32 v44, 32, v82
	v_subrev_nc_u32_e32 v82, 28, v44
	v_sub_nc_u32_e32 v44, 29, v44
	s_delay_alu instid0(VALU_DEP_2) | instskip(NEXT) | instid1(VALU_DEP_1)
	v_lshlrev_b64 v[82:83], v82, v[28:29]
	v_and_b32_e32 v82, 7, v82
; %bb.333:                              ;   in Loop: Header=BB413_13 Depth=1
	s_or_b32 exec_lo, exec_lo, s23
	v_lshlrev_b32_e32 v28, 24, v42
	s_delay_alu instid0(VALU_DEP_2) | instskip(SKIP_1) | instid1(VALU_DEP_3)
	v_lshlrev_b32_e32 v82, 20, v82
	v_lshl_add_u32 v83, v44, 23, 0x3c000000
	v_and_b32_e32 v28, 0x80000000, v28
	s_delay_alu instid0(VALU_DEP_1)
	v_or3_b32 v28, v82, v28, v83
.LBB413_334:                            ;   in Loop: Header=BB413_13 Depth=1
	s_or_b32 exec_lo, exec_lo, s22
.LBB413_335:                            ;   in Loop: Header=BB413_13 Depth=1
	s_delay_alu instid0(SALU_CYCLE_1)
	s_or_b32 exec_lo, exec_lo, s21
.LBB413_336:                            ;   in Loop: Header=BB413_13 Depth=1
	s_delay_alu instid0(SALU_CYCLE_1) | instskip(NEXT) | instid1(VALU_DEP_1)
	s_or_b32 exec_lo, exec_lo, s20
	v_mul_f32_e32 v28, v144, v28
                                        ; implicit-def: $vgpr42
	s_delay_alu instid0(VALU_DEP_1) | instskip(NEXT) | instid1(VALU_DEP_1)
	v_and_b32_e32 v82, 0x7f800000, v28
	v_cmp_ne_u32_e64 s2, 0x7f800000, v82
	s_delay_alu instid0(VALU_DEP_1) | instskip(NEXT) | instid1(SALU_CYCLE_1)
	s_and_saveexec_b32 s20, s2
	s_xor_b32 s2, exec_lo, s20
; %bb.337:                              ;   in Loop: Header=BB413_13 Depth=1
	v_bfe_u32 v82, v28, 16, 1
	s_delay_alu instid0(VALU_DEP_1)
	v_add3_u32 v42, v28, v82, 0x7fff
                                        ; implicit-def: $vgpr28
; %bb.338:                              ;   in Loop: Header=BB413_13 Depth=1
	s_and_not1_saveexec_b32 s20, s2
; %bb.339:                              ;   in Loop: Header=BB413_13 Depth=1
	v_and_b32_e32 v82, 0xffff, v28
	v_or_b32_e32 v83, 0x10000, v28
	s_delay_alu instid0(VALU_DEP_2) | instskip(NEXT) | instid1(VALU_DEP_1)
	v_cmp_eq_u32_e64 s2, 0, v82
	v_cndmask_b32_e64 v42, v83, v28, s2
; %bb.340:                              ;   in Loop: Header=BB413_13 Depth=1
	s_or_b32 exec_lo, exec_lo, s20
	v_mov_b32_e32 v28, 0
	s_mov_b32 s20, exec_lo
	v_cmpx_lt_u32_e32 0xffffff, v43
	s_cbranch_execz .LBB413_348
; %bb.341:                              ;   in Loop: Header=BB413_13 Depth=1
	v_lshrrev_b32_e32 v44, 24, v43
	v_bfrev_b32_e32 v28, 1
	s_mov_b32 s21, exec_lo
	s_delay_alu instid0(VALU_DEP_2)
	v_cmpx_ne_u32_e32 0x80, v44
	s_cbranch_execz .LBB413_347
; %bb.342:                              ;   in Loop: Header=BB413_13 Depth=1
	v_bfe_u32 v82, v43, 24, 7
	v_mov_b32_e32 v28, 0x7f800001
	s_mov_b32 s22, exec_lo
	s_delay_alu instid0(VALU_DEP_2)
	v_cmpx_ne_u32_e32 0x7f, v82
	s_cbranch_execz .LBB413_346
; %bb.343:                              ;   in Loop: Header=BB413_13 Depth=1
	v_and_b32_e32 v28, 7, v44
	v_lshrrev_b32_e32 v43, 3, v82
	v_cmp_gt_u32_e64 s2, 8, v82
	s_delay_alu instid0(VALU_DEP_3) | instskip(NEXT) | instid1(VALU_DEP_2)
	v_dual_mov_b32 v83, v29 :: v_dual_mov_b32 v82, v28
	s_and_saveexec_b32 s23, s2
; %bb.344:                              ;   in Loop: Header=BB413_13 Depth=1
	v_clz_i32_u32_e32 v82, v28
	s_delay_alu instid0(VALU_DEP_1) | instskip(NEXT) | instid1(VALU_DEP_1)
	v_min_u32_e32 v43, 32, v82
	v_subrev_nc_u32_e32 v82, 28, v43
	v_sub_nc_u32_e32 v43, 29, v43
	s_delay_alu instid0(VALU_DEP_2) | instskip(NEXT) | instid1(VALU_DEP_1)
	v_lshlrev_b64 v[82:83], v82, v[28:29]
	v_and_b32_e32 v82, 7, v82
; %bb.345:                              ;   in Loop: Header=BB413_13 Depth=1
	s_or_b32 exec_lo, exec_lo, s23
	v_lshlrev_b32_e32 v28, 24, v44
	s_delay_alu instid0(VALU_DEP_2) | instskip(SKIP_1) | instid1(VALU_DEP_3)
	v_lshlrev_b32_e32 v82, 20, v82
	v_lshl_add_u32 v83, v43, 23, 0x3c000000
	v_and_b32_e32 v28, 0x80000000, v28
	s_delay_alu instid0(VALU_DEP_1)
	v_or3_b32 v28, v82, v28, v83
.LBB413_346:                            ;   in Loop: Header=BB413_13 Depth=1
	s_or_b32 exec_lo, exec_lo, s22
.LBB413_347:                            ;   in Loop: Header=BB413_13 Depth=1
	s_delay_alu instid0(SALU_CYCLE_1)
	s_or_b32 exec_lo, exec_lo, s21
.LBB413_348:                            ;   in Loop: Header=BB413_13 Depth=1
	s_delay_alu instid0(SALU_CYCLE_1) | instskip(NEXT) | instid1(VALU_DEP_1)
	s_or_b32 exec_lo, exec_lo, s20
	v_mul_f32_e32 v28, v144, v28
                                        ; implicit-def: $vgpr43
	s_delay_alu instid0(VALU_DEP_1) | instskip(NEXT) | instid1(VALU_DEP_1)
	v_and_b32_e32 v82, 0x7f800000, v28
	v_cmp_ne_u32_e64 s2, 0x7f800000, v82
	s_delay_alu instid0(VALU_DEP_1) | instskip(NEXT) | instid1(SALU_CYCLE_1)
	s_and_saveexec_b32 s20, s2
	s_xor_b32 s2, exec_lo, s20
; %bb.349:                              ;   in Loop: Header=BB413_13 Depth=1
	v_bfe_u32 v82, v28, 16, 1
	s_delay_alu instid0(VALU_DEP_1)
	v_add3_u32 v43, v28, v82, 0x7fff
                                        ; implicit-def: $vgpr28
; %bb.350:                              ;   in Loop: Header=BB413_13 Depth=1
	s_and_not1_saveexec_b32 s20, s2
; %bb.351:                              ;   in Loop: Header=BB413_13 Depth=1
	v_and_b32_e32 v82, 0xffff, v28
	v_or_b32_e32 v83, 0x10000, v28
	s_delay_alu instid0(VALU_DEP_2) | instskip(NEXT) | instid1(VALU_DEP_1)
	v_cmp_eq_u32_e64 s2, 0, v82
	v_cndmask_b32_e64 v43, v83, v28, s2
; %bb.352:                              ;   in Loop: Header=BB413_13 Depth=1
	s_or_b32 exec_lo, exec_lo, s20
	flat_load_b32 v47, v[80:81] offset:776
	v_mov_b32_e32 v28, 0
	s_mov_b32 s20, exec_lo
	s_waitcnt vmcnt(0) lgkmcnt(0)
	v_and_b32_e32 v82, 0xff, v47
	s_delay_alu instid0(VALU_DEP_1)
	v_cmpx_ne_u16_e32 0, v82
	s_cbranch_execz .LBB413_360
; %bb.353:                              ;   in Loop: Header=BB413_13 Depth=1
	v_bfrev_b32_e32 v28, 1
	s_mov_b32 s21, exec_lo
	v_cmpx_ne_u16_e32 0x80, v82
	s_cbranch_execz .LBB413_359
; %bb.354:                              ;   in Loop: Header=BB413_13 Depth=1
	v_and_b32_e32 v82, 0x7f, v47
	v_mov_b32_e32 v28, 0x7f800001
	s_mov_b32 s22, exec_lo
	s_delay_alu instid0(VALU_DEP_2)
	v_cmpx_ne_u32_e32 0x7f, v82
	s_cbranch_execz .LBB413_358
; %bb.355:                              ;   in Loop: Header=BB413_13 Depth=1
	v_and_b32_e32 v28, 7, v47
	v_lshrrev_b32_e32 v44, 3, v82
	v_cmp_gt_u32_e64 s2, 8, v82
	s_delay_alu instid0(VALU_DEP_3) | instskip(NEXT) | instid1(VALU_DEP_2)
	v_dual_mov_b32 v83, v29 :: v_dual_mov_b32 v82, v28
	s_and_saveexec_b32 s23, s2
; %bb.356:                              ;   in Loop: Header=BB413_13 Depth=1
	v_clz_i32_u32_e32 v82, v28
	s_delay_alu instid0(VALU_DEP_1) | instskip(NEXT) | instid1(VALU_DEP_1)
	v_min_u32_e32 v44, 32, v82
	v_subrev_nc_u32_e32 v82, 28, v44
	v_sub_nc_u32_e32 v44, 29, v44
	s_delay_alu instid0(VALU_DEP_2) | instskip(NEXT) | instid1(VALU_DEP_1)
	v_lshlrev_b64 v[82:83], v82, v[28:29]
	v_and_b32_e32 v82, 7, v82
; %bb.357:                              ;   in Loop: Header=BB413_13 Depth=1
	s_or_b32 exec_lo, exec_lo, s23
	v_lshlrev_b32_e32 v28, 24, v47
	s_delay_alu instid0(VALU_DEP_2) | instskip(SKIP_1) | instid1(VALU_DEP_3)
	v_lshlrev_b32_e32 v82, 20, v82
	v_lshl_add_u32 v83, v44, 23, 0x3c000000
	v_and_b32_e32 v28, 0x80000000, v28
	s_delay_alu instid0(VALU_DEP_1)
	v_or3_b32 v28, v82, v28, v83
.LBB413_358:                            ;   in Loop: Header=BB413_13 Depth=1
	s_or_b32 exec_lo, exec_lo, s22
.LBB413_359:                            ;   in Loop: Header=BB413_13 Depth=1
	s_delay_alu instid0(SALU_CYCLE_1)
	s_or_b32 exec_lo, exec_lo, s21
.LBB413_360:                            ;   in Loop: Header=BB413_13 Depth=1
	s_delay_alu instid0(SALU_CYCLE_1) | instskip(NEXT) | instid1(VALU_DEP_1)
	s_or_b32 exec_lo, exec_lo, s20
	v_mul_f32_e32 v28, v144, v28
                                        ; implicit-def: $vgpr44
	s_delay_alu instid0(VALU_DEP_1) | instskip(NEXT) | instid1(VALU_DEP_1)
	v_and_b32_e32 v82, 0x7f800000, v28
	v_cmp_ne_u32_e64 s2, 0x7f800000, v82
	s_delay_alu instid0(VALU_DEP_1) | instskip(NEXT) | instid1(SALU_CYCLE_1)
	s_and_saveexec_b32 s20, s2
	s_xor_b32 s2, exec_lo, s20
; %bb.361:                              ;   in Loop: Header=BB413_13 Depth=1
	v_bfe_u32 v82, v28, 16, 1
	s_delay_alu instid0(VALU_DEP_1)
	v_add3_u32 v44, v28, v82, 0x7fff
                                        ; implicit-def: $vgpr28
; %bb.362:                              ;   in Loop: Header=BB413_13 Depth=1
	s_and_not1_saveexec_b32 s20, s2
; %bb.363:                              ;   in Loop: Header=BB413_13 Depth=1
	v_and_b32_e32 v82, 0xffff, v28
	v_or_b32_e32 v83, 0x10000, v28
	s_delay_alu instid0(VALU_DEP_2) | instskip(NEXT) | instid1(VALU_DEP_1)
	v_cmp_eq_u32_e64 s2, 0, v82
	v_cndmask_b32_e64 v44, v83, v28, s2
; %bb.364:                              ;   in Loop: Header=BB413_13 Depth=1
	s_or_b32 exec_lo, exec_lo, s20
	v_lshrrev_b16 v82, 8, v47
	v_mov_b32_e32 v28, 0
	s_mov_b32 s20, exec_lo
	s_delay_alu instid0(VALU_DEP_2)
	v_cmpx_ne_u16_e32 0, v82
	s_cbranch_execz .LBB413_372
; %bb.365:                              ;   in Loop: Header=BB413_13 Depth=1
	v_bfrev_b32_e32 v28, 1
	s_mov_b32 s21, exec_lo
	v_cmpx_ne_u16_e32 0x80, v82
	s_cbranch_execz .LBB413_371
; %bb.366:                              ;   in Loop: Header=BB413_13 Depth=1
	v_and_b32_e32 v83, 0xffff, v82
	v_mov_b32_e32 v28, 0x7f800001
	s_mov_b32 s22, exec_lo
	s_delay_alu instid0(VALU_DEP_2) | instskip(NEXT) | instid1(VALU_DEP_1)
	v_and_b32_e32 v82, 0x7f, v83
	v_cmpx_ne_u32_e32 0x7f, v82
	s_cbranch_execz .LBB413_370
; %bb.367:                              ;   in Loop: Header=BB413_13 Depth=1
	v_and_b32_e32 v28, 7, v83
	v_lshrrev_b32_e32 v45, 3, v82
	v_cmp_gt_u32_e64 s2, 8, v82
	s_delay_alu instid0(VALU_DEP_3) | instskip(NEXT) | instid1(VALU_DEP_2)
	v_dual_mov_b32 v83, v29 :: v_dual_mov_b32 v82, v28
	s_and_saveexec_b32 s23, s2
; %bb.368:                              ;   in Loop: Header=BB413_13 Depth=1
	v_clz_i32_u32_e32 v82, v28
	s_delay_alu instid0(VALU_DEP_1) | instskip(NEXT) | instid1(VALU_DEP_1)
	v_min_u32_e32 v45, 32, v82
	v_subrev_nc_u32_e32 v82, 28, v45
	v_sub_nc_u32_e32 v45, 29, v45
	s_delay_alu instid0(VALU_DEP_2) | instskip(NEXT) | instid1(VALU_DEP_1)
	v_lshlrev_b64 v[82:83], v82, v[28:29]
	v_and_b32_e32 v82, 7, v82
; %bb.369:                              ;   in Loop: Header=BB413_13 Depth=1
	s_or_b32 exec_lo, exec_lo, s23
	v_lshlrev_b32_e32 v28, 16, v47
	s_delay_alu instid0(VALU_DEP_2) | instskip(SKIP_1) | instid1(VALU_DEP_3)
	v_lshlrev_b32_e32 v82, 20, v82
	v_lshl_add_u32 v83, v45, 23, 0x3c000000
	v_and_b32_e32 v28, 0x80000000, v28
	s_delay_alu instid0(VALU_DEP_1)
	v_or3_b32 v28, v82, v28, v83
.LBB413_370:                            ;   in Loop: Header=BB413_13 Depth=1
	s_or_b32 exec_lo, exec_lo, s22
.LBB413_371:                            ;   in Loop: Header=BB413_13 Depth=1
	s_delay_alu instid0(SALU_CYCLE_1)
	s_or_b32 exec_lo, exec_lo, s21
.LBB413_372:                            ;   in Loop: Header=BB413_13 Depth=1
	s_delay_alu instid0(SALU_CYCLE_1) | instskip(NEXT) | instid1(VALU_DEP_1)
	s_or_b32 exec_lo, exec_lo, s20
	v_mul_f32_e32 v28, v144, v28
                                        ; implicit-def: $vgpr45
	s_delay_alu instid0(VALU_DEP_1) | instskip(NEXT) | instid1(VALU_DEP_1)
	v_and_b32_e32 v82, 0x7f800000, v28
	v_cmp_ne_u32_e64 s2, 0x7f800000, v82
	s_delay_alu instid0(VALU_DEP_1) | instskip(NEXT) | instid1(SALU_CYCLE_1)
	s_and_saveexec_b32 s20, s2
	s_xor_b32 s2, exec_lo, s20
; %bb.373:                              ;   in Loop: Header=BB413_13 Depth=1
	v_bfe_u32 v82, v28, 16, 1
	s_delay_alu instid0(VALU_DEP_1)
	v_add3_u32 v45, v28, v82, 0x7fff
                                        ; implicit-def: $vgpr28
; %bb.374:                              ;   in Loop: Header=BB413_13 Depth=1
	s_and_not1_saveexec_b32 s20, s2
; %bb.375:                              ;   in Loop: Header=BB413_13 Depth=1
	v_and_b32_e32 v82, 0xffff, v28
	v_or_b32_e32 v83, 0x10000, v28
	s_delay_alu instid0(VALU_DEP_2) | instskip(NEXT) | instid1(VALU_DEP_1)
	v_cmp_eq_u32_e64 s2, 0, v82
	v_cndmask_b32_e64 v45, v83, v28, s2
; %bb.376:                              ;   in Loop: Header=BB413_13 Depth=1
	s_or_b32 exec_lo, exec_lo, s20
	v_lshrrev_b32_e32 v46, 16, v47
	v_mov_b32_e32 v28, 0
	s_mov_b32 s20, exec_lo
	s_delay_alu instid0(VALU_DEP_2) | instskip(NEXT) | instid1(VALU_DEP_1)
	v_and_b32_e32 v82, 0xff, v46
	v_cmpx_ne_u16_e32 0, v82
	s_cbranch_execz .LBB413_384
; %bb.377:                              ;   in Loop: Header=BB413_13 Depth=1
	v_bfrev_b32_e32 v28, 1
	s_mov_b32 s21, exec_lo
	v_cmpx_ne_u16_e32 0x80, v82
	s_cbranch_execz .LBB413_383
; %bb.378:                              ;   in Loop: Header=BB413_13 Depth=1
	v_bfe_u32 v82, v47, 16, 7
	v_mov_b32_e32 v28, 0x7f800001
	s_mov_b32 s22, exec_lo
	s_delay_alu instid0(VALU_DEP_2)
	v_cmpx_ne_u32_e32 0x7f, v82
	s_cbranch_execz .LBB413_382
; %bb.379:                              ;   in Loop: Header=BB413_13 Depth=1
	v_and_b32_e32 v28, 7, v46
	v_lshrrev_b32_e32 v56, 3, v82
	v_cmp_gt_u32_e64 s2, 8, v82
	s_delay_alu instid0(VALU_DEP_3) | instskip(NEXT) | instid1(VALU_DEP_2)
	v_dual_mov_b32 v83, v29 :: v_dual_mov_b32 v82, v28
	s_and_saveexec_b32 s23, s2
; %bb.380:                              ;   in Loop: Header=BB413_13 Depth=1
	v_clz_i32_u32_e32 v82, v28
	s_delay_alu instid0(VALU_DEP_1) | instskip(NEXT) | instid1(VALU_DEP_1)
	v_min_u32_e32 v56, 32, v82
	v_subrev_nc_u32_e32 v82, 28, v56
	v_sub_nc_u32_e32 v56, 29, v56
	s_delay_alu instid0(VALU_DEP_2) | instskip(NEXT) | instid1(VALU_DEP_1)
	v_lshlrev_b64 v[82:83], v82, v[28:29]
	v_and_b32_e32 v82, 7, v82
; %bb.381:                              ;   in Loop: Header=BB413_13 Depth=1
	s_or_b32 exec_lo, exec_lo, s23
	v_lshlrev_b32_e32 v28, 24, v46
	s_delay_alu instid0(VALU_DEP_2) | instskip(SKIP_1) | instid1(VALU_DEP_3)
	v_lshlrev_b32_e32 v82, 20, v82
	v_lshl_add_u32 v83, v56, 23, 0x3c000000
	v_and_b32_e32 v28, 0x80000000, v28
	s_delay_alu instid0(VALU_DEP_1)
	v_or3_b32 v28, v82, v28, v83
.LBB413_382:                            ;   in Loop: Header=BB413_13 Depth=1
	s_or_b32 exec_lo, exec_lo, s22
.LBB413_383:                            ;   in Loop: Header=BB413_13 Depth=1
	s_delay_alu instid0(SALU_CYCLE_1)
	s_or_b32 exec_lo, exec_lo, s21
.LBB413_384:                            ;   in Loop: Header=BB413_13 Depth=1
	s_delay_alu instid0(SALU_CYCLE_1) | instskip(NEXT) | instid1(VALU_DEP_1)
	s_or_b32 exec_lo, exec_lo, s20
	v_mul_f32_e32 v28, v144, v28
                                        ; implicit-def: $vgpr46
	s_delay_alu instid0(VALU_DEP_1) | instskip(NEXT) | instid1(VALU_DEP_1)
	v_and_b32_e32 v82, 0x7f800000, v28
	v_cmp_ne_u32_e64 s2, 0x7f800000, v82
	s_delay_alu instid0(VALU_DEP_1) | instskip(NEXT) | instid1(SALU_CYCLE_1)
	s_and_saveexec_b32 s20, s2
	s_xor_b32 s2, exec_lo, s20
; %bb.385:                              ;   in Loop: Header=BB413_13 Depth=1
	v_bfe_u32 v82, v28, 16, 1
	s_delay_alu instid0(VALU_DEP_1)
	v_add3_u32 v46, v28, v82, 0x7fff
                                        ; implicit-def: $vgpr28
; %bb.386:                              ;   in Loop: Header=BB413_13 Depth=1
	s_and_not1_saveexec_b32 s20, s2
; %bb.387:                              ;   in Loop: Header=BB413_13 Depth=1
	v_and_b32_e32 v82, 0xffff, v28
	v_or_b32_e32 v83, 0x10000, v28
	s_delay_alu instid0(VALU_DEP_2) | instskip(NEXT) | instid1(VALU_DEP_1)
	v_cmp_eq_u32_e64 s2, 0, v82
	v_cndmask_b32_e64 v46, v83, v28, s2
; %bb.388:                              ;   in Loop: Header=BB413_13 Depth=1
	s_or_b32 exec_lo, exec_lo, s20
	v_mov_b32_e32 v28, 0
	s_mov_b32 s20, exec_lo
	v_cmpx_lt_u32_e32 0xffffff, v47
	s_cbranch_execz .LBB413_396
; %bb.389:                              ;   in Loop: Header=BB413_13 Depth=1
	v_lshrrev_b32_e32 v56, 24, v47
	v_bfrev_b32_e32 v28, 1
	s_mov_b32 s21, exec_lo
	s_delay_alu instid0(VALU_DEP_2)
	v_cmpx_ne_u32_e32 0x80, v56
	s_cbranch_execz .LBB413_395
; %bb.390:                              ;   in Loop: Header=BB413_13 Depth=1
	v_bfe_u32 v82, v47, 24, 7
	v_mov_b32_e32 v28, 0x7f800001
	s_mov_b32 s22, exec_lo
	s_delay_alu instid0(VALU_DEP_2)
	v_cmpx_ne_u32_e32 0x7f, v82
	s_cbranch_execz .LBB413_394
; %bb.391:                              ;   in Loop: Header=BB413_13 Depth=1
	v_and_b32_e32 v28, 7, v56
	v_lshrrev_b32_e32 v47, 3, v82
	v_cmp_gt_u32_e64 s2, 8, v82
	s_delay_alu instid0(VALU_DEP_3) | instskip(NEXT) | instid1(VALU_DEP_2)
	v_dual_mov_b32 v83, v29 :: v_dual_mov_b32 v82, v28
	s_and_saveexec_b32 s23, s2
; %bb.392:                              ;   in Loop: Header=BB413_13 Depth=1
	v_clz_i32_u32_e32 v82, v28
	s_delay_alu instid0(VALU_DEP_1) | instskip(NEXT) | instid1(VALU_DEP_1)
	v_min_u32_e32 v47, 32, v82
	v_subrev_nc_u32_e32 v82, 28, v47
	v_sub_nc_u32_e32 v47, 29, v47
	s_delay_alu instid0(VALU_DEP_2) | instskip(NEXT) | instid1(VALU_DEP_1)
	v_lshlrev_b64 v[82:83], v82, v[28:29]
	v_and_b32_e32 v82, 7, v82
; %bb.393:                              ;   in Loop: Header=BB413_13 Depth=1
	s_or_b32 exec_lo, exec_lo, s23
	v_lshlrev_b32_e32 v28, 24, v56
	s_delay_alu instid0(VALU_DEP_2) | instskip(SKIP_1) | instid1(VALU_DEP_3)
	v_lshlrev_b32_e32 v82, 20, v82
	v_lshl_add_u32 v83, v47, 23, 0x3c000000
	v_and_b32_e32 v28, 0x80000000, v28
	s_delay_alu instid0(VALU_DEP_1)
	v_or3_b32 v28, v82, v28, v83
.LBB413_394:                            ;   in Loop: Header=BB413_13 Depth=1
	s_or_b32 exec_lo, exec_lo, s22
.LBB413_395:                            ;   in Loop: Header=BB413_13 Depth=1
	s_delay_alu instid0(SALU_CYCLE_1)
	s_or_b32 exec_lo, exec_lo, s21
.LBB413_396:                            ;   in Loop: Header=BB413_13 Depth=1
	s_delay_alu instid0(SALU_CYCLE_1) | instskip(NEXT) | instid1(VALU_DEP_1)
	s_or_b32 exec_lo, exec_lo, s20
	v_mul_f32_e32 v28, v144, v28
                                        ; implicit-def: $vgpr47
	s_delay_alu instid0(VALU_DEP_1) | instskip(NEXT) | instid1(VALU_DEP_1)
	v_and_b32_e32 v82, 0x7f800000, v28
	v_cmp_ne_u32_e64 s2, 0x7f800000, v82
	s_delay_alu instid0(VALU_DEP_1) | instskip(NEXT) | instid1(SALU_CYCLE_1)
	s_and_saveexec_b32 s20, s2
	s_xor_b32 s2, exec_lo, s20
; %bb.397:                              ;   in Loop: Header=BB413_13 Depth=1
	v_bfe_u32 v82, v28, 16, 1
	s_delay_alu instid0(VALU_DEP_1)
	v_add3_u32 v47, v28, v82, 0x7fff
                                        ; implicit-def: $vgpr28
; %bb.398:                              ;   in Loop: Header=BB413_13 Depth=1
	s_and_not1_saveexec_b32 s20, s2
; %bb.399:                              ;   in Loop: Header=BB413_13 Depth=1
	v_and_b32_e32 v82, 0xffff, v28
	v_or_b32_e32 v83, 0x10000, v28
	s_delay_alu instid0(VALU_DEP_2) | instskip(NEXT) | instid1(VALU_DEP_1)
	v_cmp_eq_u32_e64 s2, 0, v82
	v_cndmask_b32_e64 v47, v83, v28, s2
; %bb.400:                              ;   in Loop: Header=BB413_13 Depth=1
	s_or_b32 exec_lo, exec_lo, s20
	flat_load_b32 v59, v[80:81] offset:1024
	v_mov_b32_e32 v28, 0
	s_mov_b32 s20, exec_lo
	s_waitcnt vmcnt(0) lgkmcnt(0)
	v_and_b32_e32 v82, 0xff, v59
	s_delay_alu instid0(VALU_DEP_1)
	v_cmpx_ne_u16_e32 0, v82
	s_cbranch_execz .LBB413_408
; %bb.401:                              ;   in Loop: Header=BB413_13 Depth=1
	v_bfrev_b32_e32 v28, 1
	s_mov_b32 s21, exec_lo
	v_cmpx_ne_u16_e32 0x80, v82
	s_cbranch_execz .LBB413_407
; %bb.402:                              ;   in Loop: Header=BB413_13 Depth=1
	v_and_b32_e32 v82, 0x7f, v59
	v_mov_b32_e32 v28, 0x7f800001
	s_mov_b32 s22, exec_lo
	s_delay_alu instid0(VALU_DEP_2)
	v_cmpx_ne_u32_e32 0x7f, v82
	s_cbranch_execz .LBB413_406
; %bb.403:                              ;   in Loop: Header=BB413_13 Depth=1
	v_and_b32_e32 v28, 7, v59
	v_lshrrev_b32_e32 v56, 3, v82
	v_cmp_gt_u32_e64 s2, 8, v82
	s_delay_alu instid0(VALU_DEP_3) | instskip(NEXT) | instid1(VALU_DEP_2)
	v_dual_mov_b32 v83, v29 :: v_dual_mov_b32 v82, v28
	s_and_saveexec_b32 s23, s2
; %bb.404:                              ;   in Loop: Header=BB413_13 Depth=1
	v_clz_i32_u32_e32 v82, v28
	s_delay_alu instid0(VALU_DEP_1) | instskip(NEXT) | instid1(VALU_DEP_1)
	v_min_u32_e32 v56, 32, v82
	v_subrev_nc_u32_e32 v82, 28, v56
	v_sub_nc_u32_e32 v56, 29, v56
	s_delay_alu instid0(VALU_DEP_2) | instskip(NEXT) | instid1(VALU_DEP_1)
	v_lshlrev_b64 v[82:83], v82, v[28:29]
	v_and_b32_e32 v82, 7, v82
; %bb.405:                              ;   in Loop: Header=BB413_13 Depth=1
	s_or_b32 exec_lo, exec_lo, s23
	v_lshlrev_b32_e32 v28, 24, v59
	s_delay_alu instid0(VALU_DEP_2) | instskip(SKIP_1) | instid1(VALU_DEP_3)
	v_lshlrev_b32_e32 v82, 20, v82
	v_lshl_add_u32 v83, v56, 23, 0x3c000000
	v_and_b32_e32 v28, 0x80000000, v28
	s_delay_alu instid0(VALU_DEP_1)
	v_or3_b32 v28, v82, v28, v83
.LBB413_406:                            ;   in Loop: Header=BB413_13 Depth=1
	s_or_b32 exec_lo, exec_lo, s22
.LBB413_407:                            ;   in Loop: Header=BB413_13 Depth=1
	s_delay_alu instid0(SALU_CYCLE_1)
	s_or_b32 exec_lo, exec_lo, s21
.LBB413_408:                            ;   in Loop: Header=BB413_13 Depth=1
	s_delay_alu instid0(SALU_CYCLE_1) | instskip(NEXT) | instid1(VALU_DEP_1)
	s_or_b32 exec_lo, exec_lo, s20
	v_mul_f32_e32 v28, v144, v28
                                        ; implicit-def: $vgpr56
	s_delay_alu instid0(VALU_DEP_1) | instskip(NEXT) | instid1(VALU_DEP_1)
	v_and_b32_e32 v82, 0x7f800000, v28
	v_cmp_ne_u32_e64 s2, 0x7f800000, v82
	s_delay_alu instid0(VALU_DEP_1) | instskip(NEXT) | instid1(SALU_CYCLE_1)
	s_and_saveexec_b32 s20, s2
	s_xor_b32 s2, exec_lo, s20
; %bb.409:                              ;   in Loop: Header=BB413_13 Depth=1
	v_bfe_u32 v82, v28, 16, 1
	s_delay_alu instid0(VALU_DEP_1)
	v_add3_u32 v56, v28, v82, 0x7fff
                                        ; implicit-def: $vgpr28
; %bb.410:                              ;   in Loop: Header=BB413_13 Depth=1
	s_and_not1_saveexec_b32 s20, s2
; %bb.411:                              ;   in Loop: Header=BB413_13 Depth=1
	v_and_b32_e32 v82, 0xffff, v28
	v_or_b32_e32 v83, 0x10000, v28
	s_delay_alu instid0(VALU_DEP_2) | instskip(NEXT) | instid1(VALU_DEP_1)
	v_cmp_eq_u32_e64 s2, 0, v82
	v_cndmask_b32_e64 v56, v83, v28, s2
; %bb.412:                              ;   in Loop: Header=BB413_13 Depth=1
	s_or_b32 exec_lo, exec_lo, s20
	v_lshrrev_b16 v82, 8, v59
	v_mov_b32_e32 v28, 0
	s_mov_b32 s20, exec_lo
	s_delay_alu instid0(VALU_DEP_2)
	v_cmpx_ne_u16_e32 0, v82
	s_cbranch_execz .LBB413_420
; %bb.413:                              ;   in Loop: Header=BB413_13 Depth=1
	v_bfrev_b32_e32 v28, 1
	s_mov_b32 s21, exec_lo
	v_cmpx_ne_u16_e32 0x80, v82
	s_cbranch_execz .LBB413_419
; %bb.414:                              ;   in Loop: Header=BB413_13 Depth=1
	v_and_b32_e32 v83, 0xffff, v82
	v_mov_b32_e32 v28, 0x7f800001
	s_mov_b32 s22, exec_lo
	s_delay_alu instid0(VALU_DEP_2) | instskip(NEXT) | instid1(VALU_DEP_1)
	v_and_b32_e32 v82, 0x7f, v83
	v_cmpx_ne_u32_e32 0x7f, v82
	s_cbranch_execz .LBB413_418
; %bb.415:                              ;   in Loop: Header=BB413_13 Depth=1
	v_and_b32_e32 v28, 7, v83
	v_lshrrev_b32_e32 v57, 3, v82
	v_cmp_gt_u32_e64 s2, 8, v82
	s_delay_alu instid0(VALU_DEP_3) | instskip(NEXT) | instid1(VALU_DEP_2)
	v_dual_mov_b32 v83, v29 :: v_dual_mov_b32 v82, v28
	s_and_saveexec_b32 s23, s2
; %bb.416:                              ;   in Loop: Header=BB413_13 Depth=1
	v_clz_i32_u32_e32 v82, v28
	s_delay_alu instid0(VALU_DEP_1) | instskip(NEXT) | instid1(VALU_DEP_1)
	v_min_u32_e32 v57, 32, v82
	v_subrev_nc_u32_e32 v82, 28, v57
	v_sub_nc_u32_e32 v57, 29, v57
	s_delay_alu instid0(VALU_DEP_2) | instskip(NEXT) | instid1(VALU_DEP_1)
	v_lshlrev_b64 v[82:83], v82, v[28:29]
	v_and_b32_e32 v82, 7, v82
; %bb.417:                              ;   in Loop: Header=BB413_13 Depth=1
	s_or_b32 exec_lo, exec_lo, s23
	v_lshlrev_b32_e32 v28, 16, v59
	s_delay_alu instid0(VALU_DEP_2) | instskip(SKIP_1) | instid1(VALU_DEP_3)
	v_lshlrev_b32_e32 v82, 20, v82
	v_lshl_add_u32 v83, v57, 23, 0x3c000000
	v_and_b32_e32 v28, 0x80000000, v28
	s_delay_alu instid0(VALU_DEP_1)
	v_or3_b32 v28, v82, v28, v83
.LBB413_418:                            ;   in Loop: Header=BB413_13 Depth=1
	s_or_b32 exec_lo, exec_lo, s22
.LBB413_419:                            ;   in Loop: Header=BB413_13 Depth=1
	s_delay_alu instid0(SALU_CYCLE_1)
	s_or_b32 exec_lo, exec_lo, s21
.LBB413_420:                            ;   in Loop: Header=BB413_13 Depth=1
	s_delay_alu instid0(SALU_CYCLE_1) | instskip(NEXT) | instid1(VALU_DEP_1)
	s_or_b32 exec_lo, exec_lo, s20
	v_mul_f32_e32 v28, v144, v28
                                        ; implicit-def: $vgpr57
	s_delay_alu instid0(VALU_DEP_1) | instskip(NEXT) | instid1(VALU_DEP_1)
	v_and_b32_e32 v82, 0x7f800000, v28
	v_cmp_ne_u32_e64 s2, 0x7f800000, v82
	s_delay_alu instid0(VALU_DEP_1) | instskip(NEXT) | instid1(SALU_CYCLE_1)
	s_and_saveexec_b32 s20, s2
	s_xor_b32 s2, exec_lo, s20
; %bb.421:                              ;   in Loop: Header=BB413_13 Depth=1
	v_bfe_u32 v82, v28, 16, 1
	s_delay_alu instid0(VALU_DEP_1)
	v_add3_u32 v57, v28, v82, 0x7fff
                                        ; implicit-def: $vgpr28
; %bb.422:                              ;   in Loop: Header=BB413_13 Depth=1
	s_and_not1_saveexec_b32 s20, s2
; %bb.423:                              ;   in Loop: Header=BB413_13 Depth=1
	v_and_b32_e32 v82, 0xffff, v28
	v_or_b32_e32 v83, 0x10000, v28
	s_delay_alu instid0(VALU_DEP_2) | instskip(NEXT) | instid1(VALU_DEP_1)
	v_cmp_eq_u32_e64 s2, 0, v82
	v_cndmask_b32_e64 v57, v83, v28, s2
; %bb.424:                              ;   in Loop: Header=BB413_13 Depth=1
	s_or_b32 exec_lo, exec_lo, s20
	v_lshrrev_b32_e32 v58, 16, v59
	v_mov_b32_e32 v28, 0
	s_mov_b32 s20, exec_lo
	s_delay_alu instid0(VALU_DEP_2) | instskip(NEXT) | instid1(VALU_DEP_1)
	v_and_b32_e32 v82, 0xff, v58
	v_cmpx_ne_u16_e32 0, v82
	s_cbranch_execz .LBB413_432
; %bb.425:                              ;   in Loop: Header=BB413_13 Depth=1
	v_bfrev_b32_e32 v28, 1
	s_mov_b32 s21, exec_lo
	v_cmpx_ne_u16_e32 0x80, v82
	s_cbranch_execz .LBB413_431
; %bb.426:                              ;   in Loop: Header=BB413_13 Depth=1
	v_bfe_u32 v82, v59, 16, 7
	v_mov_b32_e32 v28, 0x7f800001
	s_mov_b32 s22, exec_lo
	s_delay_alu instid0(VALU_DEP_2)
	v_cmpx_ne_u32_e32 0x7f, v82
	s_cbranch_execz .LBB413_430
; %bb.427:                              ;   in Loop: Header=BB413_13 Depth=1
	v_and_b32_e32 v28, 7, v58
	v_lshrrev_b32_e32 v60, 3, v82
	v_cmp_gt_u32_e64 s2, 8, v82
	s_delay_alu instid0(VALU_DEP_3) | instskip(NEXT) | instid1(VALU_DEP_2)
	v_dual_mov_b32 v83, v29 :: v_dual_mov_b32 v82, v28
	s_and_saveexec_b32 s23, s2
; %bb.428:                              ;   in Loop: Header=BB413_13 Depth=1
	v_clz_i32_u32_e32 v82, v28
	s_delay_alu instid0(VALU_DEP_1) | instskip(NEXT) | instid1(VALU_DEP_1)
	v_min_u32_e32 v60, 32, v82
	v_subrev_nc_u32_e32 v82, 28, v60
	v_sub_nc_u32_e32 v60, 29, v60
	s_delay_alu instid0(VALU_DEP_2) | instskip(NEXT) | instid1(VALU_DEP_1)
	v_lshlrev_b64 v[82:83], v82, v[28:29]
	v_and_b32_e32 v82, 7, v82
; %bb.429:                              ;   in Loop: Header=BB413_13 Depth=1
	s_or_b32 exec_lo, exec_lo, s23
	v_lshlrev_b32_e32 v28, 24, v58
	s_delay_alu instid0(VALU_DEP_2) | instskip(SKIP_1) | instid1(VALU_DEP_3)
	v_lshlrev_b32_e32 v82, 20, v82
	v_lshl_add_u32 v83, v60, 23, 0x3c000000
	v_and_b32_e32 v28, 0x80000000, v28
	s_delay_alu instid0(VALU_DEP_1)
	v_or3_b32 v28, v82, v28, v83
.LBB413_430:                            ;   in Loop: Header=BB413_13 Depth=1
	s_or_b32 exec_lo, exec_lo, s22
.LBB413_431:                            ;   in Loop: Header=BB413_13 Depth=1
	s_delay_alu instid0(SALU_CYCLE_1)
	s_or_b32 exec_lo, exec_lo, s21
.LBB413_432:                            ;   in Loop: Header=BB413_13 Depth=1
	s_delay_alu instid0(SALU_CYCLE_1) | instskip(NEXT) | instid1(VALU_DEP_1)
	s_or_b32 exec_lo, exec_lo, s20
	v_mul_f32_e32 v28, v144, v28
                                        ; implicit-def: $vgpr58
	s_delay_alu instid0(VALU_DEP_1) | instskip(NEXT) | instid1(VALU_DEP_1)
	v_and_b32_e32 v82, 0x7f800000, v28
	v_cmp_ne_u32_e64 s2, 0x7f800000, v82
	s_delay_alu instid0(VALU_DEP_1) | instskip(NEXT) | instid1(SALU_CYCLE_1)
	s_and_saveexec_b32 s20, s2
	s_xor_b32 s2, exec_lo, s20
; %bb.433:                              ;   in Loop: Header=BB413_13 Depth=1
	v_bfe_u32 v82, v28, 16, 1
	s_delay_alu instid0(VALU_DEP_1)
	v_add3_u32 v58, v28, v82, 0x7fff
                                        ; implicit-def: $vgpr28
; %bb.434:                              ;   in Loop: Header=BB413_13 Depth=1
	s_and_not1_saveexec_b32 s20, s2
; %bb.435:                              ;   in Loop: Header=BB413_13 Depth=1
	v_and_b32_e32 v82, 0xffff, v28
	v_or_b32_e32 v83, 0x10000, v28
	s_delay_alu instid0(VALU_DEP_2) | instskip(NEXT) | instid1(VALU_DEP_1)
	v_cmp_eq_u32_e64 s2, 0, v82
	v_cndmask_b32_e64 v58, v83, v28, s2
; %bb.436:                              ;   in Loop: Header=BB413_13 Depth=1
	s_or_b32 exec_lo, exec_lo, s20
	v_mov_b32_e32 v28, 0
	s_mov_b32 s20, exec_lo
	v_cmpx_lt_u32_e32 0xffffff, v59
	s_cbranch_execz .LBB413_444
; %bb.437:                              ;   in Loop: Header=BB413_13 Depth=1
	v_lshrrev_b32_e32 v60, 24, v59
	v_bfrev_b32_e32 v28, 1
	s_mov_b32 s21, exec_lo
	s_delay_alu instid0(VALU_DEP_2)
	v_cmpx_ne_u32_e32 0x80, v60
	s_cbranch_execz .LBB413_443
; %bb.438:                              ;   in Loop: Header=BB413_13 Depth=1
	v_bfe_u32 v82, v59, 24, 7
	v_mov_b32_e32 v28, 0x7f800001
	s_mov_b32 s22, exec_lo
	s_delay_alu instid0(VALU_DEP_2)
	v_cmpx_ne_u32_e32 0x7f, v82
	s_cbranch_execz .LBB413_442
; %bb.439:                              ;   in Loop: Header=BB413_13 Depth=1
	v_and_b32_e32 v28, 7, v60
	v_lshrrev_b32_e32 v59, 3, v82
	v_cmp_gt_u32_e64 s2, 8, v82
	s_delay_alu instid0(VALU_DEP_3) | instskip(NEXT) | instid1(VALU_DEP_2)
	v_dual_mov_b32 v83, v29 :: v_dual_mov_b32 v82, v28
	s_and_saveexec_b32 s23, s2
; %bb.440:                              ;   in Loop: Header=BB413_13 Depth=1
	v_clz_i32_u32_e32 v82, v28
	s_delay_alu instid0(VALU_DEP_1) | instskip(NEXT) | instid1(VALU_DEP_1)
	v_min_u32_e32 v59, 32, v82
	v_subrev_nc_u32_e32 v82, 28, v59
	v_sub_nc_u32_e32 v59, 29, v59
	s_delay_alu instid0(VALU_DEP_2) | instskip(NEXT) | instid1(VALU_DEP_1)
	v_lshlrev_b64 v[82:83], v82, v[28:29]
	v_and_b32_e32 v82, 7, v82
; %bb.441:                              ;   in Loop: Header=BB413_13 Depth=1
	s_or_b32 exec_lo, exec_lo, s23
	v_lshlrev_b32_e32 v28, 24, v60
	s_delay_alu instid0(VALU_DEP_2) | instskip(SKIP_1) | instid1(VALU_DEP_3)
	v_lshlrev_b32_e32 v82, 20, v82
	v_lshl_add_u32 v83, v59, 23, 0x3c000000
	v_and_b32_e32 v28, 0x80000000, v28
	s_delay_alu instid0(VALU_DEP_1)
	v_or3_b32 v28, v82, v28, v83
.LBB413_442:                            ;   in Loop: Header=BB413_13 Depth=1
	s_or_b32 exec_lo, exec_lo, s22
.LBB413_443:                            ;   in Loop: Header=BB413_13 Depth=1
	s_delay_alu instid0(SALU_CYCLE_1)
	s_or_b32 exec_lo, exec_lo, s21
.LBB413_444:                            ;   in Loop: Header=BB413_13 Depth=1
	s_delay_alu instid0(SALU_CYCLE_1) | instskip(NEXT) | instid1(VALU_DEP_1)
	s_or_b32 exec_lo, exec_lo, s20
	v_mul_f32_e32 v28, v144, v28
                                        ; implicit-def: $vgpr59
	s_delay_alu instid0(VALU_DEP_1) | instskip(NEXT) | instid1(VALU_DEP_1)
	v_and_b32_e32 v82, 0x7f800000, v28
	v_cmp_ne_u32_e64 s2, 0x7f800000, v82
	s_delay_alu instid0(VALU_DEP_1) | instskip(NEXT) | instid1(SALU_CYCLE_1)
	s_and_saveexec_b32 s20, s2
	s_xor_b32 s2, exec_lo, s20
; %bb.445:                              ;   in Loop: Header=BB413_13 Depth=1
	v_bfe_u32 v82, v28, 16, 1
	s_delay_alu instid0(VALU_DEP_1)
	v_add3_u32 v59, v28, v82, 0x7fff
                                        ; implicit-def: $vgpr28
; %bb.446:                              ;   in Loop: Header=BB413_13 Depth=1
	s_and_not1_saveexec_b32 s20, s2
; %bb.447:                              ;   in Loop: Header=BB413_13 Depth=1
	v_and_b32_e32 v82, 0xffff, v28
	v_or_b32_e32 v83, 0x10000, v28
	s_delay_alu instid0(VALU_DEP_2) | instskip(NEXT) | instid1(VALU_DEP_1)
	v_cmp_eq_u32_e64 s2, 0, v82
	v_cndmask_b32_e64 v59, v83, v28, s2
; %bb.448:                              ;   in Loop: Header=BB413_13 Depth=1
	s_or_b32 exec_lo, exec_lo, s20
	flat_load_b32 v63, v[80:81] offset:1032
	v_mov_b32_e32 v28, 0
	s_mov_b32 s20, exec_lo
	s_waitcnt vmcnt(0) lgkmcnt(0)
	v_and_b32_e32 v82, 0xff, v63
	s_delay_alu instid0(VALU_DEP_1)
	v_cmpx_ne_u16_e32 0, v82
	s_cbranch_execz .LBB413_456
; %bb.449:                              ;   in Loop: Header=BB413_13 Depth=1
	v_bfrev_b32_e32 v28, 1
	s_mov_b32 s21, exec_lo
	v_cmpx_ne_u16_e32 0x80, v82
	s_cbranch_execz .LBB413_455
; %bb.450:                              ;   in Loop: Header=BB413_13 Depth=1
	v_and_b32_e32 v82, 0x7f, v63
	v_mov_b32_e32 v28, 0x7f800001
	s_mov_b32 s22, exec_lo
	s_delay_alu instid0(VALU_DEP_2)
	v_cmpx_ne_u32_e32 0x7f, v82
	s_cbranch_execz .LBB413_454
; %bb.451:                              ;   in Loop: Header=BB413_13 Depth=1
	v_and_b32_e32 v28, 7, v63
	v_lshrrev_b32_e32 v60, 3, v82
	v_cmp_gt_u32_e64 s2, 8, v82
	s_delay_alu instid0(VALU_DEP_3) | instskip(NEXT) | instid1(VALU_DEP_2)
	v_dual_mov_b32 v83, v29 :: v_dual_mov_b32 v82, v28
	s_and_saveexec_b32 s23, s2
; %bb.452:                              ;   in Loop: Header=BB413_13 Depth=1
	v_clz_i32_u32_e32 v82, v28
	s_delay_alu instid0(VALU_DEP_1) | instskip(NEXT) | instid1(VALU_DEP_1)
	v_min_u32_e32 v60, 32, v82
	v_subrev_nc_u32_e32 v82, 28, v60
	v_sub_nc_u32_e32 v60, 29, v60
	s_delay_alu instid0(VALU_DEP_2) | instskip(NEXT) | instid1(VALU_DEP_1)
	v_lshlrev_b64 v[82:83], v82, v[28:29]
	v_and_b32_e32 v82, 7, v82
; %bb.453:                              ;   in Loop: Header=BB413_13 Depth=1
	s_or_b32 exec_lo, exec_lo, s23
	v_lshlrev_b32_e32 v28, 24, v63
	s_delay_alu instid0(VALU_DEP_2) | instskip(SKIP_1) | instid1(VALU_DEP_3)
	v_lshlrev_b32_e32 v82, 20, v82
	v_lshl_add_u32 v83, v60, 23, 0x3c000000
	v_and_b32_e32 v28, 0x80000000, v28
	s_delay_alu instid0(VALU_DEP_1)
	v_or3_b32 v28, v82, v28, v83
.LBB413_454:                            ;   in Loop: Header=BB413_13 Depth=1
	s_or_b32 exec_lo, exec_lo, s22
.LBB413_455:                            ;   in Loop: Header=BB413_13 Depth=1
	s_delay_alu instid0(SALU_CYCLE_1)
	s_or_b32 exec_lo, exec_lo, s21
.LBB413_456:                            ;   in Loop: Header=BB413_13 Depth=1
	s_delay_alu instid0(SALU_CYCLE_1) | instskip(NEXT) | instid1(VALU_DEP_1)
	s_or_b32 exec_lo, exec_lo, s20
	v_mul_f32_e32 v28, v144, v28
                                        ; implicit-def: $vgpr60
	s_delay_alu instid0(VALU_DEP_1) | instskip(NEXT) | instid1(VALU_DEP_1)
	v_and_b32_e32 v82, 0x7f800000, v28
	v_cmp_ne_u32_e64 s2, 0x7f800000, v82
	s_delay_alu instid0(VALU_DEP_1) | instskip(NEXT) | instid1(SALU_CYCLE_1)
	s_and_saveexec_b32 s20, s2
	s_xor_b32 s2, exec_lo, s20
; %bb.457:                              ;   in Loop: Header=BB413_13 Depth=1
	v_bfe_u32 v82, v28, 16, 1
	s_delay_alu instid0(VALU_DEP_1)
	v_add3_u32 v60, v28, v82, 0x7fff
                                        ; implicit-def: $vgpr28
; %bb.458:                              ;   in Loop: Header=BB413_13 Depth=1
	s_and_not1_saveexec_b32 s20, s2
; %bb.459:                              ;   in Loop: Header=BB413_13 Depth=1
	v_and_b32_e32 v82, 0xffff, v28
	v_or_b32_e32 v83, 0x10000, v28
	s_delay_alu instid0(VALU_DEP_2) | instskip(NEXT) | instid1(VALU_DEP_1)
	v_cmp_eq_u32_e64 s2, 0, v82
	v_cndmask_b32_e64 v60, v83, v28, s2
; %bb.460:                              ;   in Loop: Header=BB413_13 Depth=1
	s_or_b32 exec_lo, exec_lo, s20
	v_lshrrev_b16 v82, 8, v63
	v_mov_b32_e32 v28, 0
	s_mov_b32 s20, exec_lo
	s_delay_alu instid0(VALU_DEP_2)
	v_cmpx_ne_u16_e32 0, v82
	s_cbranch_execz .LBB413_468
; %bb.461:                              ;   in Loop: Header=BB413_13 Depth=1
	v_bfrev_b32_e32 v28, 1
	s_mov_b32 s21, exec_lo
	v_cmpx_ne_u16_e32 0x80, v82
	s_cbranch_execz .LBB413_467
; %bb.462:                              ;   in Loop: Header=BB413_13 Depth=1
	v_and_b32_e32 v83, 0xffff, v82
	v_mov_b32_e32 v28, 0x7f800001
	s_mov_b32 s22, exec_lo
	s_delay_alu instid0(VALU_DEP_2) | instskip(NEXT) | instid1(VALU_DEP_1)
	v_and_b32_e32 v82, 0x7f, v83
	v_cmpx_ne_u32_e32 0x7f, v82
	s_cbranch_execz .LBB413_466
; %bb.463:                              ;   in Loop: Header=BB413_13 Depth=1
	v_and_b32_e32 v28, 7, v83
	v_lshrrev_b32_e32 v61, 3, v82
	v_cmp_gt_u32_e64 s2, 8, v82
	s_delay_alu instid0(VALU_DEP_3) | instskip(NEXT) | instid1(VALU_DEP_2)
	v_dual_mov_b32 v83, v29 :: v_dual_mov_b32 v82, v28
	s_and_saveexec_b32 s23, s2
; %bb.464:                              ;   in Loop: Header=BB413_13 Depth=1
	v_clz_i32_u32_e32 v82, v28
	s_delay_alu instid0(VALU_DEP_1) | instskip(NEXT) | instid1(VALU_DEP_1)
	v_min_u32_e32 v61, 32, v82
	v_subrev_nc_u32_e32 v82, 28, v61
	v_sub_nc_u32_e32 v61, 29, v61
	s_delay_alu instid0(VALU_DEP_2) | instskip(NEXT) | instid1(VALU_DEP_1)
	v_lshlrev_b64 v[82:83], v82, v[28:29]
	v_and_b32_e32 v82, 7, v82
; %bb.465:                              ;   in Loop: Header=BB413_13 Depth=1
	s_or_b32 exec_lo, exec_lo, s23
	v_lshlrev_b32_e32 v28, 16, v63
	s_delay_alu instid0(VALU_DEP_2) | instskip(SKIP_1) | instid1(VALU_DEP_3)
	v_lshlrev_b32_e32 v82, 20, v82
	v_lshl_add_u32 v83, v61, 23, 0x3c000000
	v_and_b32_e32 v28, 0x80000000, v28
	s_delay_alu instid0(VALU_DEP_1)
	v_or3_b32 v28, v82, v28, v83
.LBB413_466:                            ;   in Loop: Header=BB413_13 Depth=1
	s_or_b32 exec_lo, exec_lo, s22
.LBB413_467:                            ;   in Loop: Header=BB413_13 Depth=1
	s_delay_alu instid0(SALU_CYCLE_1)
	s_or_b32 exec_lo, exec_lo, s21
.LBB413_468:                            ;   in Loop: Header=BB413_13 Depth=1
	s_delay_alu instid0(SALU_CYCLE_1) | instskip(NEXT) | instid1(VALU_DEP_1)
	s_or_b32 exec_lo, exec_lo, s20
	v_mul_f32_e32 v28, v144, v28
                                        ; implicit-def: $vgpr61
	s_delay_alu instid0(VALU_DEP_1) | instskip(NEXT) | instid1(VALU_DEP_1)
	v_and_b32_e32 v82, 0x7f800000, v28
	v_cmp_ne_u32_e64 s2, 0x7f800000, v82
	s_delay_alu instid0(VALU_DEP_1) | instskip(NEXT) | instid1(SALU_CYCLE_1)
	s_and_saveexec_b32 s20, s2
	s_xor_b32 s2, exec_lo, s20
; %bb.469:                              ;   in Loop: Header=BB413_13 Depth=1
	v_bfe_u32 v82, v28, 16, 1
	s_delay_alu instid0(VALU_DEP_1)
	v_add3_u32 v61, v28, v82, 0x7fff
                                        ; implicit-def: $vgpr28
; %bb.470:                              ;   in Loop: Header=BB413_13 Depth=1
	s_and_not1_saveexec_b32 s20, s2
; %bb.471:                              ;   in Loop: Header=BB413_13 Depth=1
	v_and_b32_e32 v82, 0xffff, v28
	v_or_b32_e32 v83, 0x10000, v28
	s_delay_alu instid0(VALU_DEP_2) | instskip(NEXT) | instid1(VALU_DEP_1)
	v_cmp_eq_u32_e64 s2, 0, v82
	v_cndmask_b32_e64 v61, v83, v28, s2
; %bb.472:                              ;   in Loop: Header=BB413_13 Depth=1
	s_or_b32 exec_lo, exec_lo, s20
	v_lshrrev_b32_e32 v62, 16, v63
	v_mov_b32_e32 v28, 0
	s_mov_b32 s20, exec_lo
	s_delay_alu instid0(VALU_DEP_2) | instskip(NEXT) | instid1(VALU_DEP_1)
	v_and_b32_e32 v82, 0xff, v62
	v_cmpx_ne_u16_e32 0, v82
	s_cbranch_execz .LBB413_480
; %bb.473:                              ;   in Loop: Header=BB413_13 Depth=1
	v_bfrev_b32_e32 v28, 1
	s_mov_b32 s21, exec_lo
	v_cmpx_ne_u16_e32 0x80, v82
	s_cbranch_execz .LBB413_479
; %bb.474:                              ;   in Loop: Header=BB413_13 Depth=1
	v_bfe_u32 v82, v63, 16, 7
	v_mov_b32_e32 v28, 0x7f800001
	s_mov_b32 s22, exec_lo
	s_delay_alu instid0(VALU_DEP_2)
	v_cmpx_ne_u32_e32 0x7f, v82
	s_cbranch_execz .LBB413_478
; %bb.475:                              ;   in Loop: Header=BB413_13 Depth=1
	v_and_b32_e32 v28, 7, v62
	v_lshrrev_b32_e32 v72, 3, v82
	v_cmp_gt_u32_e64 s2, 8, v82
	s_delay_alu instid0(VALU_DEP_3) | instskip(NEXT) | instid1(VALU_DEP_2)
	v_dual_mov_b32 v83, v29 :: v_dual_mov_b32 v82, v28
	s_and_saveexec_b32 s23, s2
; %bb.476:                              ;   in Loop: Header=BB413_13 Depth=1
	v_clz_i32_u32_e32 v82, v28
	s_delay_alu instid0(VALU_DEP_1) | instskip(NEXT) | instid1(VALU_DEP_1)
	v_min_u32_e32 v72, 32, v82
	v_subrev_nc_u32_e32 v82, 28, v72
	v_sub_nc_u32_e32 v72, 29, v72
	s_delay_alu instid0(VALU_DEP_2) | instskip(NEXT) | instid1(VALU_DEP_1)
	v_lshlrev_b64 v[82:83], v82, v[28:29]
	v_and_b32_e32 v82, 7, v82
; %bb.477:                              ;   in Loop: Header=BB413_13 Depth=1
	s_or_b32 exec_lo, exec_lo, s23
	v_lshlrev_b32_e32 v28, 24, v62
	s_delay_alu instid0(VALU_DEP_2) | instskip(SKIP_1) | instid1(VALU_DEP_3)
	v_lshlrev_b32_e32 v82, 20, v82
	v_lshl_add_u32 v83, v72, 23, 0x3c000000
	v_and_b32_e32 v28, 0x80000000, v28
	s_delay_alu instid0(VALU_DEP_1)
	v_or3_b32 v28, v82, v28, v83
.LBB413_478:                            ;   in Loop: Header=BB413_13 Depth=1
	s_or_b32 exec_lo, exec_lo, s22
.LBB413_479:                            ;   in Loop: Header=BB413_13 Depth=1
	s_delay_alu instid0(SALU_CYCLE_1)
	s_or_b32 exec_lo, exec_lo, s21
.LBB413_480:                            ;   in Loop: Header=BB413_13 Depth=1
	s_delay_alu instid0(SALU_CYCLE_1) | instskip(NEXT) | instid1(VALU_DEP_1)
	s_or_b32 exec_lo, exec_lo, s20
	v_mul_f32_e32 v28, v144, v28
                                        ; implicit-def: $vgpr62
	s_delay_alu instid0(VALU_DEP_1) | instskip(NEXT) | instid1(VALU_DEP_1)
	v_and_b32_e32 v82, 0x7f800000, v28
	v_cmp_ne_u32_e64 s2, 0x7f800000, v82
	s_delay_alu instid0(VALU_DEP_1) | instskip(NEXT) | instid1(SALU_CYCLE_1)
	s_and_saveexec_b32 s20, s2
	s_xor_b32 s2, exec_lo, s20
; %bb.481:                              ;   in Loop: Header=BB413_13 Depth=1
	v_bfe_u32 v82, v28, 16, 1
	s_delay_alu instid0(VALU_DEP_1)
	v_add3_u32 v62, v28, v82, 0x7fff
                                        ; implicit-def: $vgpr28
; %bb.482:                              ;   in Loop: Header=BB413_13 Depth=1
	s_and_not1_saveexec_b32 s20, s2
; %bb.483:                              ;   in Loop: Header=BB413_13 Depth=1
	v_and_b32_e32 v82, 0xffff, v28
	v_or_b32_e32 v83, 0x10000, v28
	s_delay_alu instid0(VALU_DEP_2) | instskip(NEXT) | instid1(VALU_DEP_1)
	v_cmp_eq_u32_e64 s2, 0, v82
	v_cndmask_b32_e64 v62, v83, v28, s2
; %bb.484:                              ;   in Loop: Header=BB413_13 Depth=1
	s_or_b32 exec_lo, exec_lo, s20
	v_mov_b32_e32 v28, 0
	s_mov_b32 s20, exec_lo
	v_cmpx_lt_u32_e32 0xffffff, v63
	s_cbranch_execz .LBB413_492
; %bb.485:                              ;   in Loop: Header=BB413_13 Depth=1
	v_lshrrev_b32_e32 v72, 24, v63
	v_bfrev_b32_e32 v28, 1
	s_mov_b32 s21, exec_lo
	s_delay_alu instid0(VALU_DEP_2)
	v_cmpx_ne_u32_e32 0x80, v72
	s_cbranch_execz .LBB413_491
; %bb.486:                              ;   in Loop: Header=BB413_13 Depth=1
	v_bfe_u32 v82, v63, 24, 7
	v_mov_b32_e32 v28, 0x7f800001
	s_mov_b32 s22, exec_lo
	s_delay_alu instid0(VALU_DEP_2)
	v_cmpx_ne_u32_e32 0x7f, v82
	s_cbranch_execz .LBB413_490
; %bb.487:                              ;   in Loop: Header=BB413_13 Depth=1
	v_and_b32_e32 v28, 7, v72
	v_lshrrev_b32_e32 v63, 3, v82
	v_cmp_gt_u32_e64 s2, 8, v82
	s_delay_alu instid0(VALU_DEP_3) | instskip(NEXT) | instid1(VALU_DEP_2)
	v_dual_mov_b32 v83, v29 :: v_dual_mov_b32 v82, v28
	s_and_saveexec_b32 s23, s2
; %bb.488:                              ;   in Loop: Header=BB413_13 Depth=1
	v_clz_i32_u32_e32 v82, v28
	s_delay_alu instid0(VALU_DEP_1) | instskip(NEXT) | instid1(VALU_DEP_1)
	v_min_u32_e32 v63, 32, v82
	v_subrev_nc_u32_e32 v82, 28, v63
	v_sub_nc_u32_e32 v63, 29, v63
	s_delay_alu instid0(VALU_DEP_2) | instskip(NEXT) | instid1(VALU_DEP_1)
	v_lshlrev_b64 v[82:83], v82, v[28:29]
	v_and_b32_e32 v82, 7, v82
; %bb.489:                              ;   in Loop: Header=BB413_13 Depth=1
	s_or_b32 exec_lo, exec_lo, s23
	v_lshlrev_b32_e32 v28, 24, v72
	s_delay_alu instid0(VALU_DEP_2) | instskip(SKIP_1) | instid1(VALU_DEP_3)
	v_lshlrev_b32_e32 v82, 20, v82
	v_lshl_add_u32 v83, v63, 23, 0x3c000000
	v_and_b32_e32 v28, 0x80000000, v28
	s_delay_alu instid0(VALU_DEP_1)
	v_or3_b32 v28, v82, v28, v83
.LBB413_490:                            ;   in Loop: Header=BB413_13 Depth=1
	s_or_b32 exec_lo, exec_lo, s22
.LBB413_491:                            ;   in Loop: Header=BB413_13 Depth=1
	s_delay_alu instid0(SALU_CYCLE_1)
	s_or_b32 exec_lo, exec_lo, s21
.LBB413_492:                            ;   in Loop: Header=BB413_13 Depth=1
	s_delay_alu instid0(SALU_CYCLE_1) | instskip(NEXT) | instid1(VALU_DEP_1)
	s_or_b32 exec_lo, exec_lo, s20
	v_mul_f32_e32 v28, v144, v28
                                        ; implicit-def: $vgpr63
	s_delay_alu instid0(VALU_DEP_1) | instskip(NEXT) | instid1(VALU_DEP_1)
	v_and_b32_e32 v82, 0x7f800000, v28
	v_cmp_ne_u32_e64 s2, 0x7f800000, v82
	s_delay_alu instid0(VALU_DEP_1) | instskip(NEXT) | instid1(SALU_CYCLE_1)
	s_and_saveexec_b32 s20, s2
	s_xor_b32 s2, exec_lo, s20
; %bb.493:                              ;   in Loop: Header=BB413_13 Depth=1
	v_bfe_u32 v82, v28, 16, 1
	s_delay_alu instid0(VALU_DEP_1)
	v_add3_u32 v63, v28, v82, 0x7fff
                                        ; implicit-def: $vgpr28
; %bb.494:                              ;   in Loop: Header=BB413_13 Depth=1
	s_and_not1_saveexec_b32 s20, s2
; %bb.495:                              ;   in Loop: Header=BB413_13 Depth=1
	v_and_b32_e32 v82, 0xffff, v28
	v_or_b32_e32 v83, 0x10000, v28
	s_delay_alu instid0(VALU_DEP_2) | instskip(NEXT) | instid1(VALU_DEP_1)
	v_cmp_eq_u32_e64 s2, 0, v82
	v_cndmask_b32_e64 v63, v83, v28, s2
; %bb.496:                              ;   in Loop: Header=BB413_13 Depth=1
	s_or_b32 exec_lo, exec_lo, s20
	flat_load_b32 v75, v[80:81] offset:1280
	v_mov_b32_e32 v28, 0
	s_mov_b32 s20, exec_lo
	s_waitcnt vmcnt(0) lgkmcnt(0)
	v_and_b32_e32 v82, 0xff, v75
	s_delay_alu instid0(VALU_DEP_1)
	v_cmpx_ne_u16_e32 0, v82
	s_cbranch_execz .LBB413_504
; %bb.497:                              ;   in Loop: Header=BB413_13 Depth=1
	v_bfrev_b32_e32 v28, 1
	s_mov_b32 s21, exec_lo
	v_cmpx_ne_u16_e32 0x80, v82
	s_cbranch_execz .LBB413_503
; %bb.498:                              ;   in Loop: Header=BB413_13 Depth=1
	v_and_b32_e32 v82, 0x7f, v75
	v_mov_b32_e32 v28, 0x7f800001
	s_mov_b32 s22, exec_lo
	s_delay_alu instid0(VALU_DEP_2)
	v_cmpx_ne_u32_e32 0x7f, v82
	s_cbranch_execz .LBB413_502
; %bb.499:                              ;   in Loop: Header=BB413_13 Depth=1
	v_and_b32_e32 v28, 7, v75
	v_lshrrev_b32_e32 v72, 3, v82
	v_cmp_gt_u32_e64 s2, 8, v82
	s_delay_alu instid0(VALU_DEP_3) | instskip(NEXT) | instid1(VALU_DEP_2)
	v_dual_mov_b32 v83, v29 :: v_dual_mov_b32 v82, v28
	s_and_saveexec_b32 s23, s2
; %bb.500:                              ;   in Loop: Header=BB413_13 Depth=1
	v_clz_i32_u32_e32 v82, v28
	s_delay_alu instid0(VALU_DEP_1) | instskip(NEXT) | instid1(VALU_DEP_1)
	v_min_u32_e32 v72, 32, v82
	v_subrev_nc_u32_e32 v82, 28, v72
	v_sub_nc_u32_e32 v72, 29, v72
	s_delay_alu instid0(VALU_DEP_2) | instskip(NEXT) | instid1(VALU_DEP_1)
	v_lshlrev_b64 v[82:83], v82, v[28:29]
	v_and_b32_e32 v82, 7, v82
; %bb.501:                              ;   in Loop: Header=BB413_13 Depth=1
	s_or_b32 exec_lo, exec_lo, s23
	v_lshlrev_b32_e32 v28, 24, v75
	s_delay_alu instid0(VALU_DEP_2) | instskip(SKIP_1) | instid1(VALU_DEP_3)
	v_lshlrev_b32_e32 v82, 20, v82
	v_lshl_add_u32 v83, v72, 23, 0x3c000000
	v_and_b32_e32 v28, 0x80000000, v28
	s_delay_alu instid0(VALU_DEP_1)
	v_or3_b32 v28, v82, v28, v83
.LBB413_502:                            ;   in Loop: Header=BB413_13 Depth=1
	s_or_b32 exec_lo, exec_lo, s22
.LBB413_503:                            ;   in Loop: Header=BB413_13 Depth=1
	s_delay_alu instid0(SALU_CYCLE_1)
	s_or_b32 exec_lo, exec_lo, s21
.LBB413_504:                            ;   in Loop: Header=BB413_13 Depth=1
	s_delay_alu instid0(SALU_CYCLE_1) | instskip(NEXT) | instid1(VALU_DEP_1)
	s_or_b32 exec_lo, exec_lo, s20
	v_mul_f32_e32 v28, v144, v28
                                        ; implicit-def: $vgpr72
	s_delay_alu instid0(VALU_DEP_1) | instskip(NEXT) | instid1(VALU_DEP_1)
	v_and_b32_e32 v82, 0x7f800000, v28
	v_cmp_ne_u32_e64 s2, 0x7f800000, v82
	s_delay_alu instid0(VALU_DEP_1) | instskip(NEXT) | instid1(SALU_CYCLE_1)
	s_and_saveexec_b32 s20, s2
	s_xor_b32 s2, exec_lo, s20
; %bb.505:                              ;   in Loop: Header=BB413_13 Depth=1
	v_bfe_u32 v82, v28, 16, 1
	s_delay_alu instid0(VALU_DEP_1)
	v_add3_u32 v72, v28, v82, 0x7fff
                                        ; implicit-def: $vgpr28
; %bb.506:                              ;   in Loop: Header=BB413_13 Depth=1
	s_and_not1_saveexec_b32 s20, s2
; %bb.507:                              ;   in Loop: Header=BB413_13 Depth=1
	v_and_b32_e32 v82, 0xffff, v28
	v_or_b32_e32 v83, 0x10000, v28
	s_delay_alu instid0(VALU_DEP_2) | instskip(NEXT) | instid1(VALU_DEP_1)
	v_cmp_eq_u32_e64 s2, 0, v82
	v_cndmask_b32_e64 v72, v83, v28, s2
; %bb.508:                              ;   in Loop: Header=BB413_13 Depth=1
	s_or_b32 exec_lo, exec_lo, s20
	v_lshrrev_b16 v82, 8, v75
	v_mov_b32_e32 v28, 0
	s_mov_b32 s20, exec_lo
	s_delay_alu instid0(VALU_DEP_2)
	v_cmpx_ne_u16_e32 0, v82
	s_cbranch_execz .LBB413_516
; %bb.509:                              ;   in Loop: Header=BB413_13 Depth=1
	v_bfrev_b32_e32 v28, 1
	s_mov_b32 s21, exec_lo
	v_cmpx_ne_u16_e32 0x80, v82
	s_cbranch_execz .LBB413_515
; %bb.510:                              ;   in Loop: Header=BB413_13 Depth=1
	v_and_b32_e32 v83, 0xffff, v82
	v_mov_b32_e32 v28, 0x7f800001
	s_mov_b32 s22, exec_lo
	s_delay_alu instid0(VALU_DEP_2) | instskip(NEXT) | instid1(VALU_DEP_1)
	v_and_b32_e32 v82, 0x7f, v83
	v_cmpx_ne_u32_e32 0x7f, v82
	s_cbranch_execz .LBB413_514
; %bb.511:                              ;   in Loop: Header=BB413_13 Depth=1
	v_and_b32_e32 v28, 7, v83
	v_lshrrev_b32_e32 v73, 3, v82
	v_cmp_gt_u32_e64 s2, 8, v82
	s_delay_alu instid0(VALU_DEP_3) | instskip(NEXT) | instid1(VALU_DEP_2)
	v_dual_mov_b32 v83, v29 :: v_dual_mov_b32 v82, v28
	s_and_saveexec_b32 s23, s2
; %bb.512:                              ;   in Loop: Header=BB413_13 Depth=1
	v_clz_i32_u32_e32 v82, v28
	s_delay_alu instid0(VALU_DEP_1) | instskip(NEXT) | instid1(VALU_DEP_1)
	v_min_u32_e32 v73, 32, v82
	v_subrev_nc_u32_e32 v82, 28, v73
	v_sub_nc_u32_e32 v73, 29, v73
	s_delay_alu instid0(VALU_DEP_2) | instskip(NEXT) | instid1(VALU_DEP_1)
	v_lshlrev_b64 v[82:83], v82, v[28:29]
	v_and_b32_e32 v82, 7, v82
; %bb.513:                              ;   in Loop: Header=BB413_13 Depth=1
	s_or_b32 exec_lo, exec_lo, s23
	v_lshlrev_b32_e32 v28, 16, v75
	s_delay_alu instid0(VALU_DEP_2) | instskip(SKIP_1) | instid1(VALU_DEP_3)
	v_lshlrev_b32_e32 v82, 20, v82
	v_lshl_add_u32 v83, v73, 23, 0x3c000000
	v_and_b32_e32 v28, 0x80000000, v28
	s_delay_alu instid0(VALU_DEP_1)
	v_or3_b32 v28, v82, v28, v83
.LBB413_514:                            ;   in Loop: Header=BB413_13 Depth=1
	s_or_b32 exec_lo, exec_lo, s22
.LBB413_515:                            ;   in Loop: Header=BB413_13 Depth=1
	s_delay_alu instid0(SALU_CYCLE_1)
	s_or_b32 exec_lo, exec_lo, s21
.LBB413_516:                            ;   in Loop: Header=BB413_13 Depth=1
	s_delay_alu instid0(SALU_CYCLE_1) | instskip(NEXT) | instid1(VALU_DEP_1)
	s_or_b32 exec_lo, exec_lo, s20
	v_mul_f32_e32 v28, v144, v28
                                        ; implicit-def: $vgpr73
	s_delay_alu instid0(VALU_DEP_1) | instskip(NEXT) | instid1(VALU_DEP_1)
	v_and_b32_e32 v82, 0x7f800000, v28
	v_cmp_ne_u32_e64 s2, 0x7f800000, v82
	s_delay_alu instid0(VALU_DEP_1) | instskip(NEXT) | instid1(SALU_CYCLE_1)
	s_and_saveexec_b32 s20, s2
	s_xor_b32 s2, exec_lo, s20
; %bb.517:                              ;   in Loop: Header=BB413_13 Depth=1
	v_bfe_u32 v82, v28, 16, 1
	s_delay_alu instid0(VALU_DEP_1)
	v_add3_u32 v73, v28, v82, 0x7fff
                                        ; implicit-def: $vgpr28
; %bb.518:                              ;   in Loop: Header=BB413_13 Depth=1
	s_and_not1_saveexec_b32 s20, s2
; %bb.519:                              ;   in Loop: Header=BB413_13 Depth=1
	v_and_b32_e32 v82, 0xffff, v28
	v_or_b32_e32 v83, 0x10000, v28
	s_delay_alu instid0(VALU_DEP_2) | instskip(NEXT) | instid1(VALU_DEP_1)
	v_cmp_eq_u32_e64 s2, 0, v82
	v_cndmask_b32_e64 v73, v83, v28, s2
; %bb.520:                              ;   in Loop: Header=BB413_13 Depth=1
	s_or_b32 exec_lo, exec_lo, s20
	v_lshrrev_b32_e32 v74, 16, v75
	v_mov_b32_e32 v28, 0
	s_mov_b32 s20, exec_lo
	s_delay_alu instid0(VALU_DEP_2) | instskip(NEXT) | instid1(VALU_DEP_1)
	v_and_b32_e32 v82, 0xff, v74
	v_cmpx_ne_u16_e32 0, v82
	s_cbranch_execz .LBB413_528
; %bb.521:                              ;   in Loop: Header=BB413_13 Depth=1
	v_bfrev_b32_e32 v28, 1
	s_mov_b32 s21, exec_lo
	v_cmpx_ne_u16_e32 0x80, v82
	s_cbranch_execz .LBB413_527
; %bb.522:                              ;   in Loop: Header=BB413_13 Depth=1
	v_bfe_u32 v82, v75, 16, 7
	v_mov_b32_e32 v28, 0x7f800001
	s_mov_b32 s22, exec_lo
	s_delay_alu instid0(VALU_DEP_2)
	v_cmpx_ne_u32_e32 0x7f, v82
	s_cbranch_execz .LBB413_526
; %bb.523:                              ;   in Loop: Header=BB413_13 Depth=1
	v_and_b32_e32 v28, 7, v74
	v_lshrrev_b32_e32 v76, 3, v82
	v_cmp_gt_u32_e64 s2, 8, v82
	s_delay_alu instid0(VALU_DEP_3) | instskip(NEXT) | instid1(VALU_DEP_2)
	v_dual_mov_b32 v83, v29 :: v_dual_mov_b32 v82, v28
	s_and_saveexec_b32 s23, s2
; %bb.524:                              ;   in Loop: Header=BB413_13 Depth=1
	v_clz_i32_u32_e32 v82, v28
	s_delay_alu instid0(VALU_DEP_1) | instskip(NEXT) | instid1(VALU_DEP_1)
	v_min_u32_e32 v76, 32, v82
	v_subrev_nc_u32_e32 v82, 28, v76
	v_sub_nc_u32_e32 v76, 29, v76
	s_delay_alu instid0(VALU_DEP_2) | instskip(NEXT) | instid1(VALU_DEP_1)
	v_lshlrev_b64 v[82:83], v82, v[28:29]
	v_and_b32_e32 v82, 7, v82
; %bb.525:                              ;   in Loop: Header=BB413_13 Depth=1
	s_or_b32 exec_lo, exec_lo, s23
	v_lshlrev_b32_e32 v28, 24, v74
	s_delay_alu instid0(VALU_DEP_2) | instskip(SKIP_1) | instid1(VALU_DEP_3)
	v_lshlrev_b32_e32 v82, 20, v82
	v_lshl_add_u32 v83, v76, 23, 0x3c000000
	v_and_b32_e32 v28, 0x80000000, v28
	s_delay_alu instid0(VALU_DEP_1)
	v_or3_b32 v28, v82, v28, v83
.LBB413_526:                            ;   in Loop: Header=BB413_13 Depth=1
	s_or_b32 exec_lo, exec_lo, s22
.LBB413_527:                            ;   in Loop: Header=BB413_13 Depth=1
	s_delay_alu instid0(SALU_CYCLE_1)
	s_or_b32 exec_lo, exec_lo, s21
.LBB413_528:                            ;   in Loop: Header=BB413_13 Depth=1
	s_delay_alu instid0(SALU_CYCLE_1) | instskip(NEXT) | instid1(VALU_DEP_1)
	s_or_b32 exec_lo, exec_lo, s20
	v_mul_f32_e32 v28, v144, v28
                                        ; implicit-def: $vgpr74
	s_delay_alu instid0(VALU_DEP_1) | instskip(NEXT) | instid1(VALU_DEP_1)
	v_and_b32_e32 v82, 0x7f800000, v28
	v_cmp_ne_u32_e64 s2, 0x7f800000, v82
	s_delay_alu instid0(VALU_DEP_1) | instskip(NEXT) | instid1(SALU_CYCLE_1)
	s_and_saveexec_b32 s20, s2
	s_xor_b32 s2, exec_lo, s20
; %bb.529:                              ;   in Loop: Header=BB413_13 Depth=1
	v_bfe_u32 v82, v28, 16, 1
	s_delay_alu instid0(VALU_DEP_1)
	v_add3_u32 v74, v28, v82, 0x7fff
                                        ; implicit-def: $vgpr28
; %bb.530:                              ;   in Loop: Header=BB413_13 Depth=1
	s_and_not1_saveexec_b32 s20, s2
; %bb.531:                              ;   in Loop: Header=BB413_13 Depth=1
	v_and_b32_e32 v82, 0xffff, v28
	v_or_b32_e32 v83, 0x10000, v28
	s_delay_alu instid0(VALU_DEP_2) | instskip(NEXT) | instid1(VALU_DEP_1)
	v_cmp_eq_u32_e64 s2, 0, v82
	v_cndmask_b32_e64 v74, v83, v28, s2
; %bb.532:                              ;   in Loop: Header=BB413_13 Depth=1
	s_or_b32 exec_lo, exec_lo, s20
	v_mov_b32_e32 v28, 0
	s_mov_b32 s20, exec_lo
	v_cmpx_lt_u32_e32 0xffffff, v75
	s_cbranch_execz .LBB413_540
; %bb.533:                              ;   in Loop: Header=BB413_13 Depth=1
	v_lshrrev_b32_e32 v76, 24, v75
	v_bfrev_b32_e32 v28, 1
	s_mov_b32 s21, exec_lo
	s_delay_alu instid0(VALU_DEP_2)
	v_cmpx_ne_u32_e32 0x80, v76
	s_cbranch_execz .LBB413_539
; %bb.534:                              ;   in Loop: Header=BB413_13 Depth=1
	v_bfe_u32 v82, v75, 24, 7
	v_mov_b32_e32 v28, 0x7f800001
	s_mov_b32 s22, exec_lo
	s_delay_alu instid0(VALU_DEP_2)
	v_cmpx_ne_u32_e32 0x7f, v82
	s_cbranch_execz .LBB413_538
; %bb.535:                              ;   in Loop: Header=BB413_13 Depth=1
	v_and_b32_e32 v28, 7, v76
	v_lshrrev_b32_e32 v75, 3, v82
	v_cmp_gt_u32_e64 s2, 8, v82
	s_delay_alu instid0(VALU_DEP_3) | instskip(NEXT) | instid1(VALU_DEP_2)
	v_dual_mov_b32 v83, v29 :: v_dual_mov_b32 v82, v28
	s_and_saveexec_b32 s23, s2
; %bb.536:                              ;   in Loop: Header=BB413_13 Depth=1
	v_clz_i32_u32_e32 v82, v28
	s_delay_alu instid0(VALU_DEP_1) | instskip(NEXT) | instid1(VALU_DEP_1)
	v_min_u32_e32 v75, 32, v82
	v_subrev_nc_u32_e32 v82, 28, v75
	v_sub_nc_u32_e32 v75, 29, v75
	s_delay_alu instid0(VALU_DEP_2) | instskip(NEXT) | instid1(VALU_DEP_1)
	v_lshlrev_b64 v[82:83], v82, v[28:29]
	v_and_b32_e32 v82, 7, v82
; %bb.537:                              ;   in Loop: Header=BB413_13 Depth=1
	s_or_b32 exec_lo, exec_lo, s23
	v_lshlrev_b32_e32 v28, 24, v76
	s_delay_alu instid0(VALU_DEP_2) | instskip(SKIP_1) | instid1(VALU_DEP_3)
	v_lshlrev_b32_e32 v82, 20, v82
	v_lshl_add_u32 v83, v75, 23, 0x3c000000
	v_and_b32_e32 v28, 0x80000000, v28
	s_delay_alu instid0(VALU_DEP_1)
	v_or3_b32 v28, v82, v28, v83
.LBB413_538:                            ;   in Loop: Header=BB413_13 Depth=1
	s_or_b32 exec_lo, exec_lo, s22
.LBB413_539:                            ;   in Loop: Header=BB413_13 Depth=1
	s_delay_alu instid0(SALU_CYCLE_1)
	s_or_b32 exec_lo, exec_lo, s21
.LBB413_540:                            ;   in Loop: Header=BB413_13 Depth=1
	s_delay_alu instid0(SALU_CYCLE_1) | instskip(NEXT) | instid1(VALU_DEP_1)
	s_or_b32 exec_lo, exec_lo, s20
	v_mul_f32_e32 v28, v144, v28
                                        ; implicit-def: $vgpr75
	s_delay_alu instid0(VALU_DEP_1) | instskip(NEXT) | instid1(VALU_DEP_1)
	v_and_b32_e32 v82, 0x7f800000, v28
	v_cmp_ne_u32_e64 s2, 0x7f800000, v82
	s_delay_alu instid0(VALU_DEP_1) | instskip(NEXT) | instid1(SALU_CYCLE_1)
	s_and_saveexec_b32 s20, s2
	s_xor_b32 s2, exec_lo, s20
; %bb.541:                              ;   in Loop: Header=BB413_13 Depth=1
	v_bfe_u32 v82, v28, 16, 1
	s_delay_alu instid0(VALU_DEP_1)
	v_add3_u32 v75, v28, v82, 0x7fff
                                        ; implicit-def: $vgpr28
; %bb.542:                              ;   in Loop: Header=BB413_13 Depth=1
	s_and_not1_saveexec_b32 s20, s2
; %bb.543:                              ;   in Loop: Header=BB413_13 Depth=1
	v_and_b32_e32 v82, 0xffff, v28
	v_or_b32_e32 v83, 0x10000, v28
	s_delay_alu instid0(VALU_DEP_2) | instskip(NEXT) | instid1(VALU_DEP_1)
	v_cmp_eq_u32_e64 s2, 0, v82
	v_cndmask_b32_e64 v75, v83, v28, s2
; %bb.544:                              ;   in Loop: Header=BB413_13 Depth=1
	s_or_b32 exec_lo, exec_lo, s20
	flat_load_b32 v79, v[80:81] offset:1288
	v_mov_b32_e32 v28, 0
	s_mov_b32 s20, exec_lo
	s_waitcnt vmcnt(0) lgkmcnt(0)
	v_and_b32_e32 v82, 0xff, v79
	s_delay_alu instid0(VALU_DEP_1)
	v_cmpx_ne_u16_e32 0, v82
	s_cbranch_execz .LBB413_552
; %bb.545:                              ;   in Loop: Header=BB413_13 Depth=1
	v_bfrev_b32_e32 v28, 1
	s_mov_b32 s21, exec_lo
	v_cmpx_ne_u16_e32 0x80, v82
	s_cbranch_execz .LBB413_551
; %bb.546:                              ;   in Loop: Header=BB413_13 Depth=1
	v_and_b32_e32 v82, 0x7f, v79
	v_mov_b32_e32 v28, 0x7f800001
	s_mov_b32 s22, exec_lo
	s_delay_alu instid0(VALU_DEP_2)
	v_cmpx_ne_u32_e32 0x7f, v82
	s_cbranch_execz .LBB413_550
; %bb.547:                              ;   in Loop: Header=BB413_13 Depth=1
	v_and_b32_e32 v28, 7, v79
	v_lshrrev_b32_e32 v76, 3, v82
	v_cmp_gt_u32_e64 s2, 8, v82
	s_delay_alu instid0(VALU_DEP_3) | instskip(NEXT) | instid1(VALU_DEP_2)
	v_dual_mov_b32 v83, v29 :: v_dual_mov_b32 v82, v28
	s_and_saveexec_b32 s23, s2
; %bb.548:                              ;   in Loop: Header=BB413_13 Depth=1
	v_clz_i32_u32_e32 v82, v28
	s_delay_alu instid0(VALU_DEP_1) | instskip(NEXT) | instid1(VALU_DEP_1)
	v_min_u32_e32 v76, 32, v82
	v_subrev_nc_u32_e32 v82, 28, v76
	v_sub_nc_u32_e32 v76, 29, v76
	s_delay_alu instid0(VALU_DEP_2) | instskip(NEXT) | instid1(VALU_DEP_1)
	v_lshlrev_b64 v[82:83], v82, v[28:29]
	v_and_b32_e32 v82, 7, v82
; %bb.549:                              ;   in Loop: Header=BB413_13 Depth=1
	s_or_b32 exec_lo, exec_lo, s23
	v_lshlrev_b32_e32 v28, 24, v79
	s_delay_alu instid0(VALU_DEP_2) | instskip(SKIP_1) | instid1(VALU_DEP_3)
	v_lshlrev_b32_e32 v82, 20, v82
	v_lshl_add_u32 v83, v76, 23, 0x3c000000
	v_and_b32_e32 v28, 0x80000000, v28
	s_delay_alu instid0(VALU_DEP_1)
	v_or3_b32 v28, v82, v28, v83
.LBB413_550:                            ;   in Loop: Header=BB413_13 Depth=1
	s_or_b32 exec_lo, exec_lo, s22
.LBB413_551:                            ;   in Loop: Header=BB413_13 Depth=1
	s_delay_alu instid0(SALU_CYCLE_1)
	s_or_b32 exec_lo, exec_lo, s21
.LBB413_552:                            ;   in Loop: Header=BB413_13 Depth=1
	s_delay_alu instid0(SALU_CYCLE_1) | instskip(NEXT) | instid1(VALU_DEP_1)
	s_or_b32 exec_lo, exec_lo, s20
	v_mul_f32_e32 v28, v144, v28
                                        ; implicit-def: $vgpr76
	s_delay_alu instid0(VALU_DEP_1) | instskip(NEXT) | instid1(VALU_DEP_1)
	v_and_b32_e32 v82, 0x7f800000, v28
	v_cmp_ne_u32_e64 s2, 0x7f800000, v82
	s_delay_alu instid0(VALU_DEP_1) | instskip(NEXT) | instid1(SALU_CYCLE_1)
	s_and_saveexec_b32 s20, s2
	s_xor_b32 s2, exec_lo, s20
; %bb.553:                              ;   in Loop: Header=BB413_13 Depth=1
	v_bfe_u32 v82, v28, 16, 1
	s_delay_alu instid0(VALU_DEP_1)
	v_add3_u32 v76, v28, v82, 0x7fff
                                        ; implicit-def: $vgpr28
; %bb.554:                              ;   in Loop: Header=BB413_13 Depth=1
	s_and_not1_saveexec_b32 s20, s2
; %bb.555:                              ;   in Loop: Header=BB413_13 Depth=1
	v_and_b32_e32 v82, 0xffff, v28
	v_or_b32_e32 v83, 0x10000, v28
	s_delay_alu instid0(VALU_DEP_2) | instskip(NEXT) | instid1(VALU_DEP_1)
	v_cmp_eq_u32_e64 s2, 0, v82
	v_cndmask_b32_e64 v76, v83, v28, s2
; %bb.556:                              ;   in Loop: Header=BB413_13 Depth=1
	s_or_b32 exec_lo, exec_lo, s20
	v_lshrrev_b16 v82, 8, v79
	v_mov_b32_e32 v28, 0
	s_mov_b32 s20, exec_lo
	s_delay_alu instid0(VALU_DEP_2)
	v_cmpx_ne_u16_e32 0, v82
	s_cbranch_execz .LBB413_564
; %bb.557:                              ;   in Loop: Header=BB413_13 Depth=1
	v_bfrev_b32_e32 v28, 1
	s_mov_b32 s21, exec_lo
	v_cmpx_ne_u16_e32 0x80, v82
	s_cbranch_execz .LBB413_563
; %bb.558:                              ;   in Loop: Header=BB413_13 Depth=1
	v_and_b32_e32 v83, 0xffff, v82
	v_mov_b32_e32 v28, 0x7f800001
	s_mov_b32 s22, exec_lo
	s_delay_alu instid0(VALU_DEP_2) | instskip(NEXT) | instid1(VALU_DEP_1)
	v_and_b32_e32 v82, 0x7f, v83
	v_cmpx_ne_u32_e32 0x7f, v82
	s_cbranch_execz .LBB413_562
; %bb.559:                              ;   in Loop: Header=BB413_13 Depth=1
	v_and_b32_e32 v28, 7, v83
	v_lshrrev_b32_e32 v77, 3, v82
	v_cmp_gt_u32_e64 s2, 8, v82
	s_delay_alu instid0(VALU_DEP_3) | instskip(NEXT) | instid1(VALU_DEP_2)
	v_dual_mov_b32 v83, v29 :: v_dual_mov_b32 v82, v28
	s_and_saveexec_b32 s23, s2
; %bb.560:                              ;   in Loop: Header=BB413_13 Depth=1
	v_clz_i32_u32_e32 v82, v28
	s_delay_alu instid0(VALU_DEP_1) | instskip(NEXT) | instid1(VALU_DEP_1)
	v_min_u32_e32 v77, 32, v82
	v_subrev_nc_u32_e32 v82, 28, v77
	v_sub_nc_u32_e32 v77, 29, v77
	s_delay_alu instid0(VALU_DEP_2) | instskip(NEXT) | instid1(VALU_DEP_1)
	v_lshlrev_b64 v[82:83], v82, v[28:29]
	v_and_b32_e32 v82, 7, v82
; %bb.561:                              ;   in Loop: Header=BB413_13 Depth=1
	s_or_b32 exec_lo, exec_lo, s23
	v_lshlrev_b32_e32 v28, 16, v79
	s_delay_alu instid0(VALU_DEP_2) | instskip(SKIP_1) | instid1(VALU_DEP_3)
	v_lshlrev_b32_e32 v82, 20, v82
	v_lshl_add_u32 v83, v77, 23, 0x3c000000
	v_and_b32_e32 v28, 0x80000000, v28
	s_delay_alu instid0(VALU_DEP_1)
	v_or3_b32 v28, v82, v28, v83
.LBB413_562:                            ;   in Loop: Header=BB413_13 Depth=1
	s_or_b32 exec_lo, exec_lo, s22
.LBB413_563:                            ;   in Loop: Header=BB413_13 Depth=1
	s_delay_alu instid0(SALU_CYCLE_1)
	s_or_b32 exec_lo, exec_lo, s21
.LBB413_564:                            ;   in Loop: Header=BB413_13 Depth=1
	s_delay_alu instid0(SALU_CYCLE_1) | instskip(NEXT) | instid1(VALU_DEP_1)
	s_or_b32 exec_lo, exec_lo, s20
	v_mul_f32_e32 v28, v144, v28
                                        ; implicit-def: $vgpr77
	s_delay_alu instid0(VALU_DEP_1) | instskip(NEXT) | instid1(VALU_DEP_1)
	v_and_b32_e32 v82, 0x7f800000, v28
	v_cmp_ne_u32_e64 s2, 0x7f800000, v82
	s_delay_alu instid0(VALU_DEP_1) | instskip(NEXT) | instid1(SALU_CYCLE_1)
	s_and_saveexec_b32 s20, s2
	s_xor_b32 s2, exec_lo, s20
; %bb.565:                              ;   in Loop: Header=BB413_13 Depth=1
	v_bfe_u32 v82, v28, 16, 1
	s_delay_alu instid0(VALU_DEP_1)
	v_add3_u32 v77, v28, v82, 0x7fff
                                        ; implicit-def: $vgpr28
; %bb.566:                              ;   in Loop: Header=BB413_13 Depth=1
	s_and_not1_saveexec_b32 s20, s2
; %bb.567:                              ;   in Loop: Header=BB413_13 Depth=1
	v_and_b32_e32 v82, 0xffff, v28
	v_or_b32_e32 v83, 0x10000, v28
	s_delay_alu instid0(VALU_DEP_2) | instskip(NEXT) | instid1(VALU_DEP_1)
	v_cmp_eq_u32_e64 s2, 0, v82
	v_cndmask_b32_e64 v77, v83, v28, s2
; %bb.568:                              ;   in Loop: Header=BB413_13 Depth=1
	s_or_b32 exec_lo, exec_lo, s20
	v_lshrrev_b32_e32 v78, 16, v79
	v_mov_b32_e32 v28, 0
	s_mov_b32 s20, exec_lo
	s_delay_alu instid0(VALU_DEP_2) | instskip(NEXT) | instid1(VALU_DEP_1)
	v_and_b32_e32 v82, 0xff, v78
	v_cmpx_ne_u16_e32 0, v82
	s_cbranch_execz .LBB413_576
; %bb.569:                              ;   in Loop: Header=BB413_13 Depth=1
	v_bfrev_b32_e32 v28, 1
	s_mov_b32 s21, exec_lo
	v_cmpx_ne_u16_e32 0x80, v82
	s_cbranch_execz .LBB413_575
; %bb.570:                              ;   in Loop: Header=BB413_13 Depth=1
	v_bfe_u32 v82, v79, 16, 7
	v_mov_b32_e32 v28, 0x7f800001
	s_mov_b32 s22, exec_lo
	s_delay_alu instid0(VALU_DEP_2)
	v_cmpx_ne_u32_e32 0x7f, v82
	s_cbranch_execz .LBB413_574
; %bb.571:                              ;   in Loop: Header=BB413_13 Depth=1
	v_and_b32_e32 v28, 7, v78
	v_lshrrev_b32_e32 v88, 3, v82
	v_cmp_gt_u32_e64 s2, 8, v82
	s_delay_alu instid0(VALU_DEP_3) | instskip(NEXT) | instid1(VALU_DEP_2)
	v_dual_mov_b32 v83, v29 :: v_dual_mov_b32 v82, v28
	s_and_saveexec_b32 s23, s2
; %bb.572:                              ;   in Loop: Header=BB413_13 Depth=1
	v_clz_i32_u32_e32 v82, v28
	s_delay_alu instid0(VALU_DEP_1) | instskip(NEXT) | instid1(VALU_DEP_1)
	v_min_u32_e32 v88, 32, v82
	v_subrev_nc_u32_e32 v82, 28, v88
	v_sub_nc_u32_e32 v88, 29, v88
	s_delay_alu instid0(VALU_DEP_2) | instskip(NEXT) | instid1(VALU_DEP_1)
	v_lshlrev_b64 v[82:83], v82, v[28:29]
	v_and_b32_e32 v82, 7, v82
; %bb.573:                              ;   in Loop: Header=BB413_13 Depth=1
	s_or_b32 exec_lo, exec_lo, s23
	v_lshlrev_b32_e32 v28, 24, v78
	s_delay_alu instid0(VALU_DEP_2) | instskip(SKIP_1) | instid1(VALU_DEP_3)
	v_lshlrev_b32_e32 v82, 20, v82
	v_lshl_add_u32 v83, v88, 23, 0x3c000000
	v_and_b32_e32 v28, 0x80000000, v28
	s_delay_alu instid0(VALU_DEP_1)
	v_or3_b32 v28, v82, v28, v83
.LBB413_574:                            ;   in Loop: Header=BB413_13 Depth=1
	s_or_b32 exec_lo, exec_lo, s22
.LBB413_575:                            ;   in Loop: Header=BB413_13 Depth=1
	s_delay_alu instid0(SALU_CYCLE_1)
	s_or_b32 exec_lo, exec_lo, s21
.LBB413_576:                            ;   in Loop: Header=BB413_13 Depth=1
	s_delay_alu instid0(SALU_CYCLE_1) | instskip(NEXT) | instid1(VALU_DEP_1)
	s_or_b32 exec_lo, exec_lo, s20
	v_mul_f32_e32 v28, v144, v28
                                        ; implicit-def: $vgpr78
	s_delay_alu instid0(VALU_DEP_1) | instskip(NEXT) | instid1(VALU_DEP_1)
	v_and_b32_e32 v82, 0x7f800000, v28
	v_cmp_ne_u32_e64 s2, 0x7f800000, v82
	s_delay_alu instid0(VALU_DEP_1) | instskip(NEXT) | instid1(SALU_CYCLE_1)
	s_and_saveexec_b32 s20, s2
	s_xor_b32 s2, exec_lo, s20
; %bb.577:                              ;   in Loop: Header=BB413_13 Depth=1
	v_bfe_u32 v82, v28, 16, 1
	s_delay_alu instid0(VALU_DEP_1)
	v_add3_u32 v78, v28, v82, 0x7fff
                                        ; implicit-def: $vgpr28
; %bb.578:                              ;   in Loop: Header=BB413_13 Depth=1
	s_and_not1_saveexec_b32 s20, s2
; %bb.579:                              ;   in Loop: Header=BB413_13 Depth=1
	v_and_b32_e32 v82, 0xffff, v28
	v_or_b32_e32 v83, 0x10000, v28
	s_delay_alu instid0(VALU_DEP_2) | instskip(NEXT) | instid1(VALU_DEP_1)
	v_cmp_eq_u32_e64 s2, 0, v82
	v_cndmask_b32_e64 v78, v83, v28, s2
; %bb.580:                              ;   in Loop: Header=BB413_13 Depth=1
	s_or_b32 exec_lo, exec_lo, s20
	v_mov_b32_e32 v28, 0
	s_mov_b32 s20, exec_lo
	v_cmpx_lt_u32_e32 0xffffff, v79
	s_cbranch_execz .LBB413_588
; %bb.581:                              ;   in Loop: Header=BB413_13 Depth=1
	v_lshrrev_b32_e32 v88, 24, v79
	v_bfrev_b32_e32 v28, 1
	s_mov_b32 s21, exec_lo
	s_delay_alu instid0(VALU_DEP_2)
	v_cmpx_ne_u32_e32 0x80, v88
	s_cbranch_execz .LBB413_587
; %bb.582:                              ;   in Loop: Header=BB413_13 Depth=1
	v_bfe_u32 v82, v79, 24, 7
	v_mov_b32_e32 v28, 0x7f800001
	s_mov_b32 s22, exec_lo
	s_delay_alu instid0(VALU_DEP_2)
	v_cmpx_ne_u32_e32 0x7f, v82
	s_cbranch_execz .LBB413_586
; %bb.583:                              ;   in Loop: Header=BB413_13 Depth=1
	v_and_b32_e32 v28, 7, v88
	v_lshrrev_b32_e32 v79, 3, v82
	v_cmp_gt_u32_e64 s2, 8, v82
	s_delay_alu instid0(VALU_DEP_3) | instskip(NEXT) | instid1(VALU_DEP_2)
	v_dual_mov_b32 v83, v29 :: v_dual_mov_b32 v82, v28
	s_and_saveexec_b32 s23, s2
; %bb.584:                              ;   in Loop: Header=BB413_13 Depth=1
	v_clz_i32_u32_e32 v82, v28
	s_delay_alu instid0(VALU_DEP_1) | instskip(NEXT) | instid1(VALU_DEP_1)
	v_min_u32_e32 v79, 32, v82
	v_subrev_nc_u32_e32 v82, 28, v79
	v_sub_nc_u32_e32 v79, 29, v79
	s_delay_alu instid0(VALU_DEP_2) | instskip(NEXT) | instid1(VALU_DEP_1)
	v_lshlrev_b64 v[82:83], v82, v[28:29]
	v_and_b32_e32 v82, 7, v82
; %bb.585:                              ;   in Loop: Header=BB413_13 Depth=1
	s_or_b32 exec_lo, exec_lo, s23
	v_lshlrev_b32_e32 v28, 24, v88
	s_delay_alu instid0(VALU_DEP_2) | instskip(SKIP_1) | instid1(VALU_DEP_3)
	v_lshlrev_b32_e32 v82, 20, v82
	v_lshl_add_u32 v83, v79, 23, 0x3c000000
	v_and_b32_e32 v28, 0x80000000, v28
	s_delay_alu instid0(VALU_DEP_1)
	v_or3_b32 v28, v82, v28, v83
.LBB413_586:                            ;   in Loop: Header=BB413_13 Depth=1
	s_or_b32 exec_lo, exec_lo, s22
.LBB413_587:                            ;   in Loop: Header=BB413_13 Depth=1
	s_delay_alu instid0(SALU_CYCLE_1)
	s_or_b32 exec_lo, exec_lo, s21
.LBB413_588:                            ;   in Loop: Header=BB413_13 Depth=1
	s_delay_alu instid0(SALU_CYCLE_1) | instskip(NEXT) | instid1(VALU_DEP_1)
	s_or_b32 exec_lo, exec_lo, s20
	v_mul_f32_e32 v28, v144, v28
                                        ; implicit-def: $vgpr79
	s_delay_alu instid0(VALU_DEP_1) | instskip(NEXT) | instid1(VALU_DEP_1)
	v_and_b32_e32 v82, 0x7f800000, v28
	v_cmp_ne_u32_e64 s2, 0x7f800000, v82
	s_delay_alu instid0(VALU_DEP_1) | instskip(NEXT) | instid1(SALU_CYCLE_1)
	s_and_saveexec_b32 s20, s2
	s_xor_b32 s2, exec_lo, s20
; %bb.589:                              ;   in Loop: Header=BB413_13 Depth=1
	v_bfe_u32 v82, v28, 16, 1
	s_delay_alu instid0(VALU_DEP_1)
	v_add3_u32 v79, v28, v82, 0x7fff
                                        ; implicit-def: $vgpr28
; %bb.590:                              ;   in Loop: Header=BB413_13 Depth=1
	s_and_not1_saveexec_b32 s20, s2
; %bb.591:                              ;   in Loop: Header=BB413_13 Depth=1
	v_and_b32_e32 v82, 0xffff, v28
	v_or_b32_e32 v83, 0x10000, v28
	s_delay_alu instid0(VALU_DEP_2) | instskip(NEXT) | instid1(VALU_DEP_1)
	v_cmp_eq_u32_e64 s2, 0, v82
	v_cndmask_b32_e64 v79, v83, v28, s2
; %bb.592:                              ;   in Loop: Header=BB413_13 Depth=1
	s_or_b32 exec_lo, exec_lo, s20
	flat_load_b32 v91, v[80:81] offset:1536
	v_mov_b32_e32 v28, 0
	s_mov_b32 s20, exec_lo
	s_waitcnt vmcnt(0) lgkmcnt(0)
	v_and_b32_e32 v82, 0xff, v91
	s_delay_alu instid0(VALU_DEP_1)
	v_cmpx_ne_u16_e32 0, v82
	s_cbranch_execz .LBB413_600
; %bb.593:                              ;   in Loop: Header=BB413_13 Depth=1
	v_bfrev_b32_e32 v28, 1
	s_mov_b32 s21, exec_lo
	v_cmpx_ne_u16_e32 0x80, v82
	s_cbranch_execz .LBB413_599
; %bb.594:                              ;   in Loop: Header=BB413_13 Depth=1
	v_and_b32_e32 v82, 0x7f, v91
	v_mov_b32_e32 v28, 0x7f800001
	s_mov_b32 s22, exec_lo
	s_delay_alu instid0(VALU_DEP_2)
	v_cmpx_ne_u32_e32 0x7f, v82
	s_cbranch_execz .LBB413_598
; %bb.595:                              ;   in Loop: Header=BB413_13 Depth=1
	v_and_b32_e32 v28, 7, v91
	v_lshrrev_b32_e32 v88, 3, v82
	v_cmp_gt_u32_e64 s2, 8, v82
	s_delay_alu instid0(VALU_DEP_3) | instskip(NEXT) | instid1(VALU_DEP_2)
	v_dual_mov_b32 v83, v29 :: v_dual_mov_b32 v82, v28
	s_and_saveexec_b32 s23, s2
; %bb.596:                              ;   in Loop: Header=BB413_13 Depth=1
	v_clz_i32_u32_e32 v82, v28
	s_delay_alu instid0(VALU_DEP_1) | instskip(NEXT) | instid1(VALU_DEP_1)
	v_min_u32_e32 v88, 32, v82
	v_subrev_nc_u32_e32 v82, 28, v88
	v_sub_nc_u32_e32 v88, 29, v88
	s_delay_alu instid0(VALU_DEP_2) | instskip(NEXT) | instid1(VALU_DEP_1)
	v_lshlrev_b64 v[82:83], v82, v[28:29]
	v_and_b32_e32 v82, 7, v82
; %bb.597:                              ;   in Loop: Header=BB413_13 Depth=1
	s_or_b32 exec_lo, exec_lo, s23
	v_lshlrev_b32_e32 v28, 24, v91
	s_delay_alu instid0(VALU_DEP_2) | instskip(SKIP_1) | instid1(VALU_DEP_3)
	v_lshlrev_b32_e32 v82, 20, v82
	v_lshl_add_u32 v83, v88, 23, 0x3c000000
	v_and_b32_e32 v28, 0x80000000, v28
	s_delay_alu instid0(VALU_DEP_1)
	v_or3_b32 v28, v82, v28, v83
.LBB413_598:                            ;   in Loop: Header=BB413_13 Depth=1
	s_or_b32 exec_lo, exec_lo, s22
.LBB413_599:                            ;   in Loop: Header=BB413_13 Depth=1
	s_delay_alu instid0(SALU_CYCLE_1)
	s_or_b32 exec_lo, exec_lo, s21
.LBB413_600:                            ;   in Loop: Header=BB413_13 Depth=1
	s_delay_alu instid0(SALU_CYCLE_1) | instskip(NEXT) | instid1(VALU_DEP_1)
	s_or_b32 exec_lo, exec_lo, s20
	v_mul_f32_e32 v28, v144, v28
                                        ; implicit-def: $vgpr88
	s_delay_alu instid0(VALU_DEP_1) | instskip(NEXT) | instid1(VALU_DEP_1)
	v_and_b32_e32 v82, 0x7f800000, v28
	v_cmp_ne_u32_e64 s2, 0x7f800000, v82
	s_delay_alu instid0(VALU_DEP_1) | instskip(NEXT) | instid1(SALU_CYCLE_1)
	s_and_saveexec_b32 s20, s2
	s_xor_b32 s2, exec_lo, s20
; %bb.601:                              ;   in Loop: Header=BB413_13 Depth=1
	v_bfe_u32 v82, v28, 16, 1
	s_delay_alu instid0(VALU_DEP_1)
	v_add3_u32 v88, v28, v82, 0x7fff
                                        ; implicit-def: $vgpr28
; %bb.602:                              ;   in Loop: Header=BB413_13 Depth=1
	s_and_not1_saveexec_b32 s20, s2
; %bb.603:                              ;   in Loop: Header=BB413_13 Depth=1
	v_and_b32_e32 v82, 0xffff, v28
	v_or_b32_e32 v83, 0x10000, v28
	s_delay_alu instid0(VALU_DEP_2) | instskip(NEXT) | instid1(VALU_DEP_1)
	v_cmp_eq_u32_e64 s2, 0, v82
	v_cndmask_b32_e64 v88, v83, v28, s2
; %bb.604:                              ;   in Loop: Header=BB413_13 Depth=1
	s_or_b32 exec_lo, exec_lo, s20
	v_lshrrev_b16 v82, 8, v91
	v_mov_b32_e32 v28, 0
	s_mov_b32 s20, exec_lo
	s_delay_alu instid0(VALU_DEP_2)
	v_cmpx_ne_u16_e32 0, v82
	s_cbranch_execz .LBB413_612
; %bb.605:                              ;   in Loop: Header=BB413_13 Depth=1
	v_bfrev_b32_e32 v28, 1
	s_mov_b32 s21, exec_lo
	v_cmpx_ne_u16_e32 0x80, v82
	s_cbranch_execz .LBB413_611
; %bb.606:                              ;   in Loop: Header=BB413_13 Depth=1
	v_and_b32_e32 v83, 0xffff, v82
	v_mov_b32_e32 v28, 0x7f800001
	s_mov_b32 s22, exec_lo
	s_delay_alu instid0(VALU_DEP_2) | instskip(NEXT) | instid1(VALU_DEP_1)
	v_and_b32_e32 v82, 0x7f, v83
	v_cmpx_ne_u32_e32 0x7f, v82
	s_cbranch_execz .LBB413_610
; %bb.607:                              ;   in Loop: Header=BB413_13 Depth=1
	v_and_b32_e32 v28, 7, v83
	v_lshrrev_b32_e32 v89, 3, v82
	v_cmp_gt_u32_e64 s2, 8, v82
	s_delay_alu instid0(VALU_DEP_3) | instskip(NEXT) | instid1(VALU_DEP_2)
	v_dual_mov_b32 v83, v29 :: v_dual_mov_b32 v82, v28
	s_and_saveexec_b32 s23, s2
; %bb.608:                              ;   in Loop: Header=BB413_13 Depth=1
	v_clz_i32_u32_e32 v82, v28
	s_delay_alu instid0(VALU_DEP_1) | instskip(NEXT) | instid1(VALU_DEP_1)
	v_min_u32_e32 v89, 32, v82
	v_subrev_nc_u32_e32 v82, 28, v89
	v_sub_nc_u32_e32 v89, 29, v89
	s_delay_alu instid0(VALU_DEP_2) | instskip(NEXT) | instid1(VALU_DEP_1)
	v_lshlrev_b64 v[82:83], v82, v[28:29]
	v_and_b32_e32 v82, 7, v82
; %bb.609:                              ;   in Loop: Header=BB413_13 Depth=1
	s_or_b32 exec_lo, exec_lo, s23
	v_lshlrev_b32_e32 v28, 16, v91
	s_delay_alu instid0(VALU_DEP_2) | instskip(SKIP_1) | instid1(VALU_DEP_3)
	v_lshlrev_b32_e32 v82, 20, v82
	v_lshl_add_u32 v83, v89, 23, 0x3c000000
	v_and_b32_e32 v28, 0x80000000, v28
	s_delay_alu instid0(VALU_DEP_1)
	v_or3_b32 v28, v82, v28, v83
.LBB413_610:                            ;   in Loop: Header=BB413_13 Depth=1
	s_or_b32 exec_lo, exec_lo, s22
.LBB413_611:                            ;   in Loop: Header=BB413_13 Depth=1
	s_delay_alu instid0(SALU_CYCLE_1)
	s_or_b32 exec_lo, exec_lo, s21
.LBB413_612:                            ;   in Loop: Header=BB413_13 Depth=1
	s_delay_alu instid0(SALU_CYCLE_1) | instskip(NEXT) | instid1(VALU_DEP_1)
	s_or_b32 exec_lo, exec_lo, s20
	v_mul_f32_e32 v28, v144, v28
                                        ; implicit-def: $vgpr89
	s_delay_alu instid0(VALU_DEP_1) | instskip(NEXT) | instid1(VALU_DEP_1)
	v_and_b32_e32 v82, 0x7f800000, v28
	v_cmp_ne_u32_e64 s2, 0x7f800000, v82
	s_delay_alu instid0(VALU_DEP_1) | instskip(NEXT) | instid1(SALU_CYCLE_1)
	s_and_saveexec_b32 s20, s2
	s_xor_b32 s2, exec_lo, s20
; %bb.613:                              ;   in Loop: Header=BB413_13 Depth=1
	v_bfe_u32 v82, v28, 16, 1
	s_delay_alu instid0(VALU_DEP_1)
	v_add3_u32 v89, v28, v82, 0x7fff
                                        ; implicit-def: $vgpr28
; %bb.614:                              ;   in Loop: Header=BB413_13 Depth=1
	s_and_not1_saveexec_b32 s20, s2
; %bb.615:                              ;   in Loop: Header=BB413_13 Depth=1
	v_and_b32_e32 v82, 0xffff, v28
	v_or_b32_e32 v83, 0x10000, v28
	s_delay_alu instid0(VALU_DEP_2) | instskip(NEXT) | instid1(VALU_DEP_1)
	v_cmp_eq_u32_e64 s2, 0, v82
	v_cndmask_b32_e64 v89, v83, v28, s2
; %bb.616:                              ;   in Loop: Header=BB413_13 Depth=1
	s_or_b32 exec_lo, exec_lo, s20
	v_lshrrev_b32_e32 v90, 16, v91
	v_mov_b32_e32 v28, 0
	s_mov_b32 s20, exec_lo
	s_delay_alu instid0(VALU_DEP_2) | instskip(NEXT) | instid1(VALU_DEP_1)
	v_and_b32_e32 v82, 0xff, v90
	v_cmpx_ne_u16_e32 0, v82
	s_cbranch_execz .LBB413_624
; %bb.617:                              ;   in Loop: Header=BB413_13 Depth=1
	v_bfrev_b32_e32 v28, 1
	s_mov_b32 s21, exec_lo
	v_cmpx_ne_u16_e32 0x80, v82
	s_cbranch_execz .LBB413_623
; %bb.618:                              ;   in Loop: Header=BB413_13 Depth=1
	v_bfe_u32 v82, v91, 16, 7
	v_mov_b32_e32 v28, 0x7f800001
	s_mov_b32 s22, exec_lo
	s_delay_alu instid0(VALU_DEP_2)
	v_cmpx_ne_u32_e32 0x7f, v82
	s_cbranch_execz .LBB413_622
; %bb.619:                              ;   in Loop: Header=BB413_13 Depth=1
	v_and_b32_e32 v28, 7, v90
	v_lshrrev_b32_e32 v92, 3, v82
	v_cmp_gt_u32_e64 s2, 8, v82
	s_delay_alu instid0(VALU_DEP_3) | instskip(NEXT) | instid1(VALU_DEP_2)
	v_dual_mov_b32 v83, v29 :: v_dual_mov_b32 v82, v28
	s_and_saveexec_b32 s23, s2
; %bb.620:                              ;   in Loop: Header=BB413_13 Depth=1
	v_clz_i32_u32_e32 v82, v28
	s_delay_alu instid0(VALU_DEP_1) | instskip(NEXT) | instid1(VALU_DEP_1)
	v_min_u32_e32 v92, 32, v82
	v_subrev_nc_u32_e32 v82, 28, v92
	v_sub_nc_u32_e32 v92, 29, v92
	s_delay_alu instid0(VALU_DEP_2) | instskip(NEXT) | instid1(VALU_DEP_1)
	v_lshlrev_b64 v[82:83], v82, v[28:29]
	v_and_b32_e32 v82, 7, v82
; %bb.621:                              ;   in Loop: Header=BB413_13 Depth=1
	s_or_b32 exec_lo, exec_lo, s23
	v_lshlrev_b32_e32 v28, 24, v90
	s_delay_alu instid0(VALU_DEP_2) | instskip(SKIP_1) | instid1(VALU_DEP_3)
	v_lshlrev_b32_e32 v82, 20, v82
	v_lshl_add_u32 v83, v92, 23, 0x3c000000
	v_and_b32_e32 v28, 0x80000000, v28
	s_delay_alu instid0(VALU_DEP_1)
	v_or3_b32 v28, v82, v28, v83
.LBB413_622:                            ;   in Loop: Header=BB413_13 Depth=1
	s_or_b32 exec_lo, exec_lo, s22
.LBB413_623:                            ;   in Loop: Header=BB413_13 Depth=1
	s_delay_alu instid0(SALU_CYCLE_1)
	s_or_b32 exec_lo, exec_lo, s21
.LBB413_624:                            ;   in Loop: Header=BB413_13 Depth=1
	s_delay_alu instid0(SALU_CYCLE_1) | instskip(NEXT) | instid1(VALU_DEP_1)
	s_or_b32 exec_lo, exec_lo, s20
	v_mul_f32_e32 v28, v144, v28
                                        ; implicit-def: $vgpr90
	s_delay_alu instid0(VALU_DEP_1) | instskip(NEXT) | instid1(VALU_DEP_1)
	v_and_b32_e32 v82, 0x7f800000, v28
	v_cmp_ne_u32_e64 s2, 0x7f800000, v82
	s_delay_alu instid0(VALU_DEP_1) | instskip(NEXT) | instid1(SALU_CYCLE_1)
	s_and_saveexec_b32 s20, s2
	s_xor_b32 s2, exec_lo, s20
; %bb.625:                              ;   in Loop: Header=BB413_13 Depth=1
	v_bfe_u32 v82, v28, 16, 1
	s_delay_alu instid0(VALU_DEP_1)
	v_add3_u32 v90, v28, v82, 0x7fff
                                        ; implicit-def: $vgpr28
; %bb.626:                              ;   in Loop: Header=BB413_13 Depth=1
	s_and_not1_saveexec_b32 s20, s2
; %bb.627:                              ;   in Loop: Header=BB413_13 Depth=1
	v_and_b32_e32 v82, 0xffff, v28
	v_or_b32_e32 v83, 0x10000, v28
	s_delay_alu instid0(VALU_DEP_2) | instskip(NEXT) | instid1(VALU_DEP_1)
	v_cmp_eq_u32_e64 s2, 0, v82
	v_cndmask_b32_e64 v90, v83, v28, s2
; %bb.628:                              ;   in Loop: Header=BB413_13 Depth=1
	s_or_b32 exec_lo, exec_lo, s20
	v_mov_b32_e32 v28, 0
	s_mov_b32 s20, exec_lo
	v_cmpx_lt_u32_e32 0xffffff, v91
	s_cbranch_execz .LBB413_636
; %bb.629:                              ;   in Loop: Header=BB413_13 Depth=1
	v_lshrrev_b32_e32 v92, 24, v91
	v_bfrev_b32_e32 v28, 1
	s_mov_b32 s21, exec_lo
	s_delay_alu instid0(VALU_DEP_2)
	v_cmpx_ne_u32_e32 0x80, v92
	s_cbranch_execz .LBB413_635
; %bb.630:                              ;   in Loop: Header=BB413_13 Depth=1
	v_bfe_u32 v82, v91, 24, 7
	v_mov_b32_e32 v28, 0x7f800001
	s_mov_b32 s22, exec_lo
	s_delay_alu instid0(VALU_DEP_2)
	v_cmpx_ne_u32_e32 0x7f, v82
	s_cbranch_execz .LBB413_634
; %bb.631:                              ;   in Loop: Header=BB413_13 Depth=1
	v_and_b32_e32 v28, 7, v92
	v_lshrrev_b32_e32 v91, 3, v82
	v_cmp_gt_u32_e64 s2, 8, v82
	s_delay_alu instid0(VALU_DEP_3) | instskip(NEXT) | instid1(VALU_DEP_2)
	v_dual_mov_b32 v83, v29 :: v_dual_mov_b32 v82, v28
	s_and_saveexec_b32 s23, s2
; %bb.632:                              ;   in Loop: Header=BB413_13 Depth=1
	v_clz_i32_u32_e32 v82, v28
	s_delay_alu instid0(VALU_DEP_1) | instskip(NEXT) | instid1(VALU_DEP_1)
	v_min_u32_e32 v91, 32, v82
	v_subrev_nc_u32_e32 v82, 28, v91
	v_sub_nc_u32_e32 v91, 29, v91
	s_delay_alu instid0(VALU_DEP_2) | instskip(NEXT) | instid1(VALU_DEP_1)
	v_lshlrev_b64 v[82:83], v82, v[28:29]
	v_and_b32_e32 v82, 7, v82
; %bb.633:                              ;   in Loop: Header=BB413_13 Depth=1
	s_or_b32 exec_lo, exec_lo, s23
	v_lshlrev_b32_e32 v28, 24, v92
	s_delay_alu instid0(VALU_DEP_2) | instskip(SKIP_1) | instid1(VALU_DEP_3)
	v_lshlrev_b32_e32 v82, 20, v82
	v_lshl_add_u32 v83, v91, 23, 0x3c000000
	v_and_b32_e32 v28, 0x80000000, v28
	s_delay_alu instid0(VALU_DEP_1)
	v_or3_b32 v28, v82, v28, v83
.LBB413_634:                            ;   in Loop: Header=BB413_13 Depth=1
	s_or_b32 exec_lo, exec_lo, s22
.LBB413_635:                            ;   in Loop: Header=BB413_13 Depth=1
	s_delay_alu instid0(SALU_CYCLE_1)
	s_or_b32 exec_lo, exec_lo, s21
.LBB413_636:                            ;   in Loop: Header=BB413_13 Depth=1
	s_delay_alu instid0(SALU_CYCLE_1) | instskip(NEXT) | instid1(VALU_DEP_1)
	s_or_b32 exec_lo, exec_lo, s20
	v_mul_f32_e32 v28, v144, v28
                                        ; implicit-def: $vgpr91
	s_delay_alu instid0(VALU_DEP_1) | instskip(NEXT) | instid1(VALU_DEP_1)
	v_and_b32_e32 v82, 0x7f800000, v28
	v_cmp_ne_u32_e64 s2, 0x7f800000, v82
	s_delay_alu instid0(VALU_DEP_1) | instskip(NEXT) | instid1(SALU_CYCLE_1)
	s_and_saveexec_b32 s20, s2
	s_xor_b32 s2, exec_lo, s20
; %bb.637:                              ;   in Loop: Header=BB413_13 Depth=1
	v_bfe_u32 v82, v28, 16, 1
	s_delay_alu instid0(VALU_DEP_1)
	v_add3_u32 v91, v28, v82, 0x7fff
                                        ; implicit-def: $vgpr28
; %bb.638:                              ;   in Loop: Header=BB413_13 Depth=1
	s_and_not1_saveexec_b32 s20, s2
; %bb.639:                              ;   in Loop: Header=BB413_13 Depth=1
	v_and_b32_e32 v82, 0xffff, v28
	v_or_b32_e32 v83, 0x10000, v28
	s_delay_alu instid0(VALU_DEP_2) | instskip(NEXT) | instid1(VALU_DEP_1)
	v_cmp_eq_u32_e64 s2, 0, v82
	v_cndmask_b32_e64 v91, v83, v28, s2
; %bb.640:                              ;   in Loop: Header=BB413_13 Depth=1
	s_or_b32 exec_lo, exec_lo, s20
	flat_load_b32 v95, v[80:81] offset:1544
	v_mov_b32_e32 v28, 0
	s_mov_b32 s20, exec_lo
	s_waitcnt vmcnt(0) lgkmcnt(0)
	v_and_b32_e32 v82, 0xff, v95
	s_delay_alu instid0(VALU_DEP_1)
	v_cmpx_ne_u16_e32 0, v82
	s_cbranch_execz .LBB413_648
; %bb.641:                              ;   in Loop: Header=BB413_13 Depth=1
	v_bfrev_b32_e32 v28, 1
	s_mov_b32 s21, exec_lo
	v_cmpx_ne_u16_e32 0x80, v82
	s_cbranch_execz .LBB413_647
; %bb.642:                              ;   in Loop: Header=BB413_13 Depth=1
	v_and_b32_e32 v82, 0x7f, v95
	v_mov_b32_e32 v28, 0x7f800001
	s_mov_b32 s22, exec_lo
	s_delay_alu instid0(VALU_DEP_2)
	v_cmpx_ne_u32_e32 0x7f, v82
	s_cbranch_execz .LBB413_646
; %bb.643:                              ;   in Loop: Header=BB413_13 Depth=1
	v_and_b32_e32 v28, 7, v95
	v_lshrrev_b32_e32 v92, 3, v82
	v_cmp_gt_u32_e64 s2, 8, v82
	s_delay_alu instid0(VALU_DEP_3) | instskip(NEXT) | instid1(VALU_DEP_2)
	v_dual_mov_b32 v83, v29 :: v_dual_mov_b32 v82, v28
	s_and_saveexec_b32 s23, s2
; %bb.644:                              ;   in Loop: Header=BB413_13 Depth=1
	v_clz_i32_u32_e32 v82, v28
	s_delay_alu instid0(VALU_DEP_1) | instskip(NEXT) | instid1(VALU_DEP_1)
	v_min_u32_e32 v92, 32, v82
	v_subrev_nc_u32_e32 v82, 28, v92
	v_sub_nc_u32_e32 v92, 29, v92
	s_delay_alu instid0(VALU_DEP_2) | instskip(NEXT) | instid1(VALU_DEP_1)
	v_lshlrev_b64 v[82:83], v82, v[28:29]
	v_and_b32_e32 v82, 7, v82
; %bb.645:                              ;   in Loop: Header=BB413_13 Depth=1
	s_or_b32 exec_lo, exec_lo, s23
	v_lshlrev_b32_e32 v28, 24, v95
	s_delay_alu instid0(VALU_DEP_2) | instskip(SKIP_1) | instid1(VALU_DEP_3)
	v_lshlrev_b32_e32 v82, 20, v82
	v_lshl_add_u32 v83, v92, 23, 0x3c000000
	v_and_b32_e32 v28, 0x80000000, v28
	s_delay_alu instid0(VALU_DEP_1)
	v_or3_b32 v28, v82, v28, v83
.LBB413_646:                            ;   in Loop: Header=BB413_13 Depth=1
	s_or_b32 exec_lo, exec_lo, s22
.LBB413_647:                            ;   in Loop: Header=BB413_13 Depth=1
	s_delay_alu instid0(SALU_CYCLE_1)
	s_or_b32 exec_lo, exec_lo, s21
.LBB413_648:                            ;   in Loop: Header=BB413_13 Depth=1
	s_delay_alu instid0(SALU_CYCLE_1) | instskip(NEXT) | instid1(VALU_DEP_1)
	s_or_b32 exec_lo, exec_lo, s20
	v_mul_f32_e32 v28, v144, v28
                                        ; implicit-def: $vgpr92
	s_delay_alu instid0(VALU_DEP_1) | instskip(NEXT) | instid1(VALU_DEP_1)
	v_and_b32_e32 v82, 0x7f800000, v28
	v_cmp_ne_u32_e64 s2, 0x7f800000, v82
	s_delay_alu instid0(VALU_DEP_1) | instskip(NEXT) | instid1(SALU_CYCLE_1)
	s_and_saveexec_b32 s20, s2
	s_xor_b32 s2, exec_lo, s20
; %bb.649:                              ;   in Loop: Header=BB413_13 Depth=1
	v_bfe_u32 v82, v28, 16, 1
	s_delay_alu instid0(VALU_DEP_1)
	v_add3_u32 v92, v28, v82, 0x7fff
                                        ; implicit-def: $vgpr28
; %bb.650:                              ;   in Loop: Header=BB413_13 Depth=1
	s_and_not1_saveexec_b32 s20, s2
; %bb.651:                              ;   in Loop: Header=BB413_13 Depth=1
	v_and_b32_e32 v82, 0xffff, v28
	v_or_b32_e32 v83, 0x10000, v28
	s_delay_alu instid0(VALU_DEP_2) | instskip(NEXT) | instid1(VALU_DEP_1)
	v_cmp_eq_u32_e64 s2, 0, v82
	v_cndmask_b32_e64 v92, v83, v28, s2
; %bb.652:                              ;   in Loop: Header=BB413_13 Depth=1
	s_or_b32 exec_lo, exec_lo, s20
	v_lshrrev_b16 v82, 8, v95
	v_mov_b32_e32 v28, 0
	s_mov_b32 s20, exec_lo
	s_delay_alu instid0(VALU_DEP_2)
	v_cmpx_ne_u16_e32 0, v82
	s_cbranch_execz .LBB413_660
; %bb.653:                              ;   in Loop: Header=BB413_13 Depth=1
	v_bfrev_b32_e32 v28, 1
	s_mov_b32 s21, exec_lo
	v_cmpx_ne_u16_e32 0x80, v82
	s_cbranch_execz .LBB413_659
; %bb.654:                              ;   in Loop: Header=BB413_13 Depth=1
	v_and_b32_e32 v83, 0xffff, v82
	v_mov_b32_e32 v28, 0x7f800001
	s_mov_b32 s22, exec_lo
	s_delay_alu instid0(VALU_DEP_2) | instskip(NEXT) | instid1(VALU_DEP_1)
	v_and_b32_e32 v82, 0x7f, v83
	v_cmpx_ne_u32_e32 0x7f, v82
	s_cbranch_execz .LBB413_658
; %bb.655:                              ;   in Loop: Header=BB413_13 Depth=1
	v_and_b32_e32 v28, 7, v83
	v_lshrrev_b32_e32 v93, 3, v82
	v_cmp_gt_u32_e64 s2, 8, v82
	s_delay_alu instid0(VALU_DEP_3) | instskip(NEXT) | instid1(VALU_DEP_2)
	v_dual_mov_b32 v83, v29 :: v_dual_mov_b32 v82, v28
	s_and_saveexec_b32 s23, s2
; %bb.656:                              ;   in Loop: Header=BB413_13 Depth=1
	v_clz_i32_u32_e32 v82, v28
	s_delay_alu instid0(VALU_DEP_1) | instskip(NEXT) | instid1(VALU_DEP_1)
	v_min_u32_e32 v93, 32, v82
	v_subrev_nc_u32_e32 v82, 28, v93
	v_sub_nc_u32_e32 v93, 29, v93
	s_delay_alu instid0(VALU_DEP_2) | instskip(NEXT) | instid1(VALU_DEP_1)
	v_lshlrev_b64 v[82:83], v82, v[28:29]
	v_and_b32_e32 v82, 7, v82
; %bb.657:                              ;   in Loop: Header=BB413_13 Depth=1
	s_or_b32 exec_lo, exec_lo, s23
	v_lshlrev_b32_e32 v28, 16, v95
	s_delay_alu instid0(VALU_DEP_2) | instskip(SKIP_1) | instid1(VALU_DEP_3)
	v_lshlrev_b32_e32 v82, 20, v82
	v_lshl_add_u32 v83, v93, 23, 0x3c000000
	v_and_b32_e32 v28, 0x80000000, v28
	s_delay_alu instid0(VALU_DEP_1)
	v_or3_b32 v28, v82, v28, v83
.LBB413_658:                            ;   in Loop: Header=BB413_13 Depth=1
	s_or_b32 exec_lo, exec_lo, s22
.LBB413_659:                            ;   in Loop: Header=BB413_13 Depth=1
	s_delay_alu instid0(SALU_CYCLE_1)
	s_or_b32 exec_lo, exec_lo, s21
.LBB413_660:                            ;   in Loop: Header=BB413_13 Depth=1
	s_delay_alu instid0(SALU_CYCLE_1) | instskip(NEXT) | instid1(VALU_DEP_1)
	s_or_b32 exec_lo, exec_lo, s20
	v_mul_f32_e32 v28, v144, v28
                                        ; implicit-def: $vgpr93
	s_delay_alu instid0(VALU_DEP_1) | instskip(NEXT) | instid1(VALU_DEP_1)
	v_and_b32_e32 v82, 0x7f800000, v28
	v_cmp_ne_u32_e64 s2, 0x7f800000, v82
	s_delay_alu instid0(VALU_DEP_1) | instskip(NEXT) | instid1(SALU_CYCLE_1)
	s_and_saveexec_b32 s20, s2
	s_xor_b32 s2, exec_lo, s20
; %bb.661:                              ;   in Loop: Header=BB413_13 Depth=1
	v_bfe_u32 v82, v28, 16, 1
	s_delay_alu instid0(VALU_DEP_1)
	v_add3_u32 v93, v28, v82, 0x7fff
                                        ; implicit-def: $vgpr28
; %bb.662:                              ;   in Loop: Header=BB413_13 Depth=1
	s_and_not1_saveexec_b32 s20, s2
; %bb.663:                              ;   in Loop: Header=BB413_13 Depth=1
	v_and_b32_e32 v82, 0xffff, v28
	v_or_b32_e32 v83, 0x10000, v28
	s_delay_alu instid0(VALU_DEP_2) | instskip(NEXT) | instid1(VALU_DEP_1)
	v_cmp_eq_u32_e64 s2, 0, v82
	v_cndmask_b32_e64 v93, v83, v28, s2
; %bb.664:                              ;   in Loop: Header=BB413_13 Depth=1
	s_or_b32 exec_lo, exec_lo, s20
	v_lshrrev_b32_e32 v94, 16, v95
	v_mov_b32_e32 v28, 0
	s_mov_b32 s20, exec_lo
	s_delay_alu instid0(VALU_DEP_2) | instskip(NEXT) | instid1(VALU_DEP_1)
	v_and_b32_e32 v82, 0xff, v94
	v_cmpx_ne_u16_e32 0, v82
	s_cbranch_execz .LBB413_672
; %bb.665:                              ;   in Loop: Header=BB413_13 Depth=1
	v_bfrev_b32_e32 v28, 1
	s_mov_b32 s21, exec_lo
	v_cmpx_ne_u16_e32 0x80, v82
	s_cbranch_execz .LBB413_671
; %bb.666:                              ;   in Loop: Header=BB413_13 Depth=1
	v_bfe_u32 v82, v95, 16, 7
	v_mov_b32_e32 v28, 0x7f800001
	s_mov_b32 s22, exec_lo
	s_delay_alu instid0(VALU_DEP_2)
	v_cmpx_ne_u32_e32 0x7f, v82
	s_cbranch_execz .LBB413_670
; %bb.667:                              ;   in Loop: Header=BB413_13 Depth=1
	v_and_b32_e32 v28, 7, v94
	v_lshrrev_b32_e32 v104, 3, v82
	v_cmp_gt_u32_e64 s2, 8, v82
	s_delay_alu instid0(VALU_DEP_3) | instskip(NEXT) | instid1(VALU_DEP_2)
	v_dual_mov_b32 v83, v29 :: v_dual_mov_b32 v82, v28
	s_and_saveexec_b32 s23, s2
; %bb.668:                              ;   in Loop: Header=BB413_13 Depth=1
	v_clz_i32_u32_e32 v82, v28
	s_delay_alu instid0(VALU_DEP_1) | instskip(NEXT) | instid1(VALU_DEP_1)
	v_min_u32_e32 v104, 32, v82
	v_subrev_nc_u32_e32 v82, 28, v104
	v_sub_nc_u32_e32 v104, 29, v104
	s_delay_alu instid0(VALU_DEP_2) | instskip(NEXT) | instid1(VALU_DEP_1)
	v_lshlrev_b64 v[82:83], v82, v[28:29]
	v_and_b32_e32 v82, 7, v82
; %bb.669:                              ;   in Loop: Header=BB413_13 Depth=1
	s_or_b32 exec_lo, exec_lo, s23
	v_lshlrev_b32_e32 v28, 24, v94
	s_delay_alu instid0(VALU_DEP_2) | instskip(SKIP_1) | instid1(VALU_DEP_3)
	v_lshlrev_b32_e32 v82, 20, v82
	v_lshl_add_u32 v83, v104, 23, 0x3c000000
	v_and_b32_e32 v28, 0x80000000, v28
	s_delay_alu instid0(VALU_DEP_1)
	v_or3_b32 v28, v82, v28, v83
.LBB413_670:                            ;   in Loop: Header=BB413_13 Depth=1
	s_or_b32 exec_lo, exec_lo, s22
.LBB413_671:                            ;   in Loop: Header=BB413_13 Depth=1
	s_delay_alu instid0(SALU_CYCLE_1)
	s_or_b32 exec_lo, exec_lo, s21
.LBB413_672:                            ;   in Loop: Header=BB413_13 Depth=1
	s_delay_alu instid0(SALU_CYCLE_1) | instskip(NEXT) | instid1(VALU_DEP_1)
	s_or_b32 exec_lo, exec_lo, s20
	v_mul_f32_e32 v28, v144, v28
                                        ; implicit-def: $vgpr94
	s_delay_alu instid0(VALU_DEP_1) | instskip(NEXT) | instid1(VALU_DEP_1)
	v_and_b32_e32 v82, 0x7f800000, v28
	v_cmp_ne_u32_e64 s2, 0x7f800000, v82
	s_delay_alu instid0(VALU_DEP_1) | instskip(NEXT) | instid1(SALU_CYCLE_1)
	s_and_saveexec_b32 s20, s2
	s_xor_b32 s2, exec_lo, s20
; %bb.673:                              ;   in Loop: Header=BB413_13 Depth=1
	v_bfe_u32 v82, v28, 16, 1
	s_delay_alu instid0(VALU_DEP_1)
	v_add3_u32 v94, v28, v82, 0x7fff
                                        ; implicit-def: $vgpr28
; %bb.674:                              ;   in Loop: Header=BB413_13 Depth=1
	s_and_not1_saveexec_b32 s20, s2
; %bb.675:                              ;   in Loop: Header=BB413_13 Depth=1
	v_and_b32_e32 v82, 0xffff, v28
	v_or_b32_e32 v83, 0x10000, v28
	s_delay_alu instid0(VALU_DEP_2) | instskip(NEXT) | instid1(VALU_DEP_1)
	v_cmp_eq_u32_e64 s2, 0, v82
	v_cndmask_b32_e64 v94, v83, v28, s2
; %bb.676:                              ;   in Loop: Header=BB413_13 Depth=1
	s_or_b32 exec_lo, exec_lo, s20
	v_mov_b32_e32 v28, 0
	s_mov_b32 s20, exec_lo
	v_cmpx_lt_u32_e32 0xffffff, v95
	s_cbranch_execz .LBB413_684
; %bb.677:                              ;   in Loop: Header=BB413_13 Depth=1
	v_lshrrev_b32_e32 v104, 24, v95
	v_bfrev_b32_e32 v28, 1
	s_mov_b32 s21, exec_lo
	s_delay_alu instid0(VALU_DEP_2)
	v_cmpx_ne_u32_e32 0x80, v104
	s_cbranch_execz .LBB413_683
; %bb.678:                              ;   in Loop: Header=BB413_13 Depth=1
	v_bfe_u32 v82, v95, 24, 7
	v_mov_b32_e32 v28, 0x7f800001
	s_mov_b32 s22, exec_lo
	s_delay_alu instid0(VALU_DEP_2)
	v_cmpx_ne_u32_e32 0x7f, v82
	s_cbranch_execz .LBB413_682
; %bb.679:                              ;   in Loop: Header=BB413_13 Depth=1
	v_and_b32_e32 v28, 7, v104
	v_lshrrev_b32_e32 v95, 3, v82
	v_cmp_gt_u32_e64 s2, 8, v82
	s_delay_alu instid0(VALU_DEP_3) | instskip(NEXT) | instid1(VALU_DEP_2)
	v_dual_mov_b32 v83, v29 :: v_dual_mov_b32 v82, v28
	s_and_saveexec_b32 s23, s2
; %bb.680:                              ;   in Loop: Header=BB413_13 Depth=1
	v_clz_i32_u32_e32 v82, v28
	s_delay_alu instid0(VALU_DEP_1) | instskip(NEXT) | instid1(VALU_DEP_1)
	v_min_u32_e32 v95, 32, v82
	v_subrev_nc_u32_e32 v82, 28, v95
	v_sub_nc_u32_e32 v95, 29, v95
	s_delay_alu instid0(VALU_DEP_2) | instskip(NEXT) | instid1(VALU_DEP_1)
	v_lshlrev_b64 v[82:83], v82, v[28:29]
	v_and_b32_e32 v82, 7, v82
; %bb.681:                              ;   in Loop: Header=BB413_13 Depth=1
	s_or_b32 exec_lo, exec_lo, s23
	v_lshlrev_b32_e32 v28, 24, v104
	s_delay_alu instid0(VALU_DEP_2) | instskip(SKIP_1) | instid1(VALU_DEP_3)
	v_lshlrev_b32_e32 v82, 20, v82
	v_lshl_add_u32 v83, v95, 23, 0x3c000000
	v_and_b32_e32 v28, 0x80000000, v28
	s_delay_alu instid0(VALU_DEP_1)
	v_or3_b32 v28, v82, v28, v83
.LBB413_682:                            ;   in Loop: Header=BB413_13 Depth=1
	s_or_b32 exec_lo, exec_lo, s22
.LBB413_683:                            ;   in Loop: Header=BB413_13 Depth=1
	s_delay_alu instid0(SALU_CYCLE_1)
	s_or_b32 exec_lo, exec_lo, s21
.LBB413_684:                            ;   in Loop: Header=BB413_13 Depth=1
	s_delay_alu instid0(SALU_CYCLE_1) | instskip(NEXT) | instid1(VALU_DEP_1)
	s_or_b32 exec_lo, exec_lo, s20
	v_mul_f32_e32 v28, v144, v28
                                        ; implicit-def: $vgpr95
	s_delay_alu instid0(VALU_DEP_1) | instskip(NEXT) | instid1(VALU_DEP_1)
	v_and_b32_e32 v82, 0x7f800000, v28
	v_cmp_ne_u32_e64 s2, 0x7f800000, v82
	s_delay_alu instid0(VALU_DEP_1) | instskip(NEXT) | instid1(SALU_CYCLE_1)
	s_and_saveexec_b32 s20, s2
	s_xor_b32 s2, exec_lo, s20
; %bb.685:                              ;   in Loop: Header=BB413_13 Depth=1
	v_bfe_u32 v82, v28, 16, 1
	s_delay_alu instid0(VALU_DEP_1)
	v_add3_u32 v95, v28, v82, 0x7fff
                                        ; implicit-def: $vgpr28
; %bb.686:                              ;   in Loop: Header=BB413_13 Depth=1
	s_and_not1_saveexec_b32 s20, s2
; %bb.687:                              ;   in Loop: Header=BB413_13 Depth=1
	v_and_b32_e32 v82, 0xffff, v28
	v_or_b32_e32 v83, 0x10000, v28
	s_delay_alu instid0(VALU_DEP_2) | instskip(NEXT) | instid1(VALU_DEP_1)
	v_cmp_eq_u32_e64 s2, 0, v82
	v_cndmask_b32_e64 v95, v83, v28, s2
; %bb.688:                              ;   in Loop: Header=BB413_13 Depth=1
	s_or_b32 exec_lo, exec_lo, s20
	flat_load_b32 v107, v[80:81] offset:1792
	v_mov_b32_e32 v28, 0
	s_mov_b32 s20, exec_lo
	s_waitcnt vmcnt(0) lgkmcnt(0)
	v_and_b32_e32 v82, 0xff, v107
	s_delay_alu instid0(VALU_DEP_1)
	v_cmpx_ne_u16_e32 0, v82
	s_cbranch_execz .LBB413_696
; %bb.689:                              ;   in Loop: Header=BB413_13 Depth=1
	v_bfrev_b32_e32 v28, 1
	s_mov_b32 s21, exec_lo
	v_cmpx_ne_u16_e32 0x80, v82
	s_cbranch_execz .LBB413_695
; %bb.690:                              ;   in Loop: Header=BB413_13 Depth=1
	v_and_b32_e32 v82, 0x7f, v107
	v_mov_b32_e32 v28, 0x7f800001
	s_mov_b32 s22, exec_lo
	s_delay_alu instid0(VALU_DEP_2)
	v_cmpx_ne_u32_e32 0x7f, v82
	s_cbranch_execz .LBB413_694
; %bb.691:                              ;   in Loop: Header=BB413_13 Depth=1
	v_and_b32_e32 v28, 7, v107
	v_lshrrev_b32_e32 v104, 3, v82
	v_cmp_gt_u32_e64 s2, 8, v82
	s_delay_alu instid0(VALU_DEP_3) | instskip(NEXT) | instid1(VALU_DEP_2)
	v_dual_mov_b32 v83, v29 :: v_dual_mov_b32 v82, v28
	s_and_saveexec_b32 s23, s2
; %bb.692:                              ;   in Loop: Header=BB413_13 Depth=1
	v_clz_i32_u32_e32 v82, v28
	s_delay_alu instid0(VALU_DEP_1) | instskip(NEXT) | instid1(VALU_DEP_1)
	v_min_u32_e32 v104, 32, v82
	v_subrev_nc_u32_e32 v82, 28, v104
	v_sub_nc_u32_e32 v104, 29, v104
	s_delay_alu instid0(VALU_DEP_2) | instskip(NEXT) | instid1(VALU_DEP_1)
	v_lshlrev_b64 v[82:83], v82, v[28:29]
	v_and_b32_e32 v82, 7, v82
; %bb.693:                              ;   in Loop: Header=BB413_13 Depth=1
	s_or_b32 exec_lo, exec_lo, s23
	v_lshlrev_b32_e32 v28, 24, v107
	s_delay_alu instid0(VALU_DEP_2) | instskip(SKIP_1) | instid1(VALU_DEP_3)
	v_lshlrev_b32_e32 v82, 20, v82
	v_lshl_add_u32 v83, v104, 23, 0x3c000000
	v_and_b32_e32 v28, 0x80000000, v28
	s_delay_alu instid0(VALU_DEP_1)
	v_or3_b32 v28, v82, v28, v83
.LBB413_694:                            ;   in Loop: Header=BB413_13 Depth=1
	s_or_b32 exec_lo, exec_lo, s22
.LBB413_695:                            ;   in Loop: Header=BB413_13 Depth=1
	s_delay_alu instid0(SALU_CYCLE_1)
	s_or_b32 exec_lo, exec_lo, s21
.LBB413_696:                            ;   in Loop: Header=BB413_13 Depth=1
	s_delay_alu instid0(SALU_CYCLE_1) | instskip(NEXT) | instid1(VALU_DEP_1)
	s_or_b32 exec_lo, exec_lo, s20
	v_mul_f32_e32 v28, v144, v28
                                        ; implicit-def: $vgpr104
	s_delay_alu instid0(VALU_DEP_1) | instskip(NEXT) | instid1(VALU_DEP_1)
	v_and_b32_e32 v82, 0x7f800000, v28
	v_cmp_ne_u32_e64 s2, 0x7f800000, v82
	s_delay_alu instid0(VALU_DEP_1) | instskip(NEXT) | instid1(SALU_CYCLE_1)
	s_and_saveexec_b32 s20, s2
	s_xor_b32 s2, exec_lo, s20
; %bb.697:                              ;   in Loop: Header=BB413_13 Depth=1
	v_bfe_u32 v82, v28, 16, 1
	s_delay_alu instid0(VALU_DEP_1)
	v_add3_u32 v104, v28, v82, 0x7fff
                                        ; implicit-def: $vgpr28
; %bb.698:                              ;   in Loop: Header=BB413_13 Depth=1
	s_and_not1_saveexec_b32 s20, s2
; %bb.699:                              ;   in Loop: Header=BB413_13 Depth=1
	v_and_b32_e32 v82, 0xffff, v28
	v_or_b32_e32 v83, 0x10000, v28
	s_delay_alu instid0(VALU_DEP_2) | instskip(NEXT) | instid1(VALU_DEP_1)
	v_cmp_eq_u32_e64 s2, 0, v82
	v_cndmask_b32_e64 v104, v83, v28, s2
; %bb.700:                              ;   in Loop: Header=BB413_13 Depth=1
	s_or_b32 exec_lo, exec_lo, s20
	v_lshrrev_b16 v82, 8, v107
	v_mov_b32_e32 v28, 0
	s_mov_b32 s20, exec_lo
	s_delay_alu instid0(VALU_DEP_2)
	v_cmpx_ne_u16_e32 0, v82
	s_cbranch_execz .LBB413_708
; %bb.701:                              ;   in Loop: Header=BB413_13 Depth=1
	v_bfrev_b32_e32 v28, 1
	s_mov_b32 s21, exec_lo
	v_cmpx_ne_u16_e32 0x80, v82
	s_cbranch_execz .LBB413_707
; %bb.702:                              ;   in Loop: Header=BB413_13 Depth=1
	v_and_b32_e32 v83, 0xffff, v82
	v_mov_b32_e32 v28, 0x7f800001
	s_mov_b32 s22, exec_lo
	s_delay_alu instid0(VALU_DEP_2) | instskip(NEXT) | instid1(VALU_DEP_1)
	v_and_b32_e32 v82, 0x7f, v83
	v_cmpx_ne_u32_e32 0x7f, v82
	s_cbranch_execz .LBB413_706
; %bb.703:                              ;   in Loop: Header=BB413_13 Depth=1
	v_and_b32_e32 v28, 7, v83
	v_lshrrev_b32_e32 v105, 3, v82
	v_cmp_gt_u32_e64 s2, 8, v82
	s_delay_alu instid0(VALU_DEP_3) | instskip(NEXT) | instid1(VALU_DEP_2)
	v_dual_mov_b32 v83, v29 :: v_dual_mov_b32 v82, v28
	s_and_saveexec_b32 s23, s2
; %bb.704:                              ;   in Loop: Header=BB413_13 Depth=1
	v_clz_i32_u32_e32 v82, v28
	s_delay_alu instid0(VALU_DEP_1) | instskip(NEXT) | instid1(VALU_DEP_1)
	v_min_u32_e32 v105, 32, v82
	v_subrev_nc_u32_e32 v82, 28, v105
	v_sub_nc_u32_e32 v105, 29, v105
	s_delay_alu instid0(VALU_DEP_2) | instskip(NEXT) | instid1(VALU_DEP_1)
	v_lshlrev_b64 v[82:83], v82, v[28:29]
	v_and_b32_e32 v82, 7, v82
; %bb.705:                              ;   in Loop: Header=BB413_13 Depth=1
	s_or_b32 exec_lo, exec_lo, s23
	v_lshlrev_b32_e32 v28, 16, v107
	s_delay_alu instid0(VALU_DEP_2) | instskip(SKIP_1) | instid1(VALU_DEP_3)
	v_lshlrev_b32_e32 v82, 20, v82
	v_lshl_add_u32 v83, v105, 23, 0x3c000000
	v_and_b32_e32 v28, 0x80000000, v28
	s_delay_alu instid0(VALU_DEP_1)
	v_or3_b32 v28, v82, v28, v83
.LBB413_706:                            ;   in Loop: Header=BB413_13 Depth=1
	s_or_b32 exec_lo, exec_lo, s22
.LBB413_707:                            ;   in Loop: Header=BB413_13 Depth=1
	s_delay_alu instid0(SALU_CYCLE_1)
	s_or_b32 exec_lo, exec_lo, s21
.LBB413_708:                            ;   in Loop: Header=BB413_13 Depth=1
	s_delay_alu instid0(SALU_CYCLE_1) | instskip(NEXT) | instid1(VALU_DEP_1)
	s_or_b32 exec_lo, exec_lo, s20
	v_mul_f32_e32 v28, v144, v28
                                        ; implicit-def: $vgpr105
	s_delay_alu instid0(VALU_DEP_1) | instskip(NEXT) | instid1(VALU_DEP_1)
	v_and_b32_e32 v82, 0x7f800000, v28
	v_cmp_ne_u32_e64 s2, 0x7f800000, v82
	s_delay_alu instid0(VALU_DEP_1) | instskip(NEXT) | instid1(SALU_CYCLE_1)
	s_and_saveexec_b32 s20, s2
	s_xor_b32 s2, exec_lo, s20
; %bb.709:                              ;   in Loop: Header=BB413_13 Depth=1
	v_bfe_u32 v82, v28, 16, 1
	s_delay_alu instid0(VALU_DEP_1)
	v_add3_u32 v105, v28, v82, 0x7fff
                                        ; implicit-def: $vgpr28
; %bb.710:                              ;   in Loop: Header=BB413_13 Depth=1
	s_and_not1_saveexec_b32 s20, s2
; %bb.711:                              ;   in Loop: Header=BB413_13 Depth=1
	v_and_b32_e32 v82, 0xffff, v28
	v_or_b32_e32 v83, 0x10000, v28
	s_delay_alu instid0(VALU_DEP_2) | instskip(NEXT) | instid1(VALU_DEP_1)
	v_cmp_eq_u32_e64 s2, 0, v82
	v_cndmask_b32_e64 v105, v83, v28, s2
; %bb.712:                              ;   in Loop: Header=BB413_13 Depth=1
	s_or_b32 exec_lo, exec_lo, s20
	v_lshrrev_b32_e32 v106, 16, v107
	v_mov_b32_e32 v28, 0
	s_mov_b32 s20, exec_lo
	s_delay_alu instid0(VALU_DEP_2) | instskip(NEXT) | instid1(VALU_DEP_1)
	v_and_b32_e32 v82, 0xff, v106
	v_cmpx_ne_u16_e32 0, v82
	s_cbranch_execz .LBB413_720
; %bb.713:                              ;   in Loop: Header=BB413_13 Depth=1
	v_bfrev_b32_e32 v28, 1
	s_mov_b32 s21, exec_lo
	v_cmpx_ne_u16_e32 0x80, v82
	s_cbranch_execz .LBB413_719
; %bb.714:                              ;   in Loop: Header=BB413_13 Depth=1
	v_bfe_u32 v82, v107, 16, 7
	v_mov_b32_e32 v28, 0x7f800001
	s_mov_b32 s22, exec_lo
	s_delay_alu instid0(VALU_DEP_2)
	v_cmpx_ne_u32_e32 0x7f, v82
	s_cbranch_execz .LBB413_718
; %bb.715:                              ;   in Loop: Header=BB413_13 Depth=1
	v_and_b32_e32 v28, 7, v106
	v_lshrrev_b32_e32 v108, 3, v82
	v_cmp_gt_u32_e64 s2, 8, v82
	s_delay_alu instid0(VALU_DEP_3) | instskip(NEXT) | instid1(VALU_DEP_2)
	v_dual_mov_b32 v83, v29 :: v_dual_mov_b32 v82, v28
	s_and_saveexec_b32 s23, s2
; %bb.716:                              ;   in Loop: Header=BB413_13 Depth=1
	v_clz_i32_u32_e32 v82, v28
	s_delay_alu instid0(VALU_DEP_1) | instskip(NEXT) | instid1(VALU_DEP_1)
	v_min_u32_e32 v108, 32, v82
	v_subrev_nc_u32_e32 v82, 28, v108
	v_sub_nc_u32_e32 v108, 29, v108
	s_delay_alu instid0(VALU_DEP_2) | instskip(NEXT) | instid1(VALU_DEP_1)
	v_lshlrev_b64 v[82:83], v82, v[28:29]
	v_and_b32_e32 v82, 7, v82
; %bb.717:                              ;   in Loop: Header=BB413_13 Depth=1
	s_or_b32 exec_lo, exec_lo, s23
	v_lshlrev_b32_e32 v28, 24, v106
	s_delay_alu instid0(VALU_DEP_2) | instskip(SKIP_1) | instid1(VALU_DEP_3)
	v_lshlrev_b32_e32 v82, 20, v82
	v_lshl_add_u32 v83, v108, 23, 0x3c000000
	v_and_b32_e32 v28, 0x80000000, v28
	s_delay_alu instid0(VALU_DEP_1)
	v_or3_b32 v28, v82, v28, v83
.LBB413_718:                            ;   in Loop: Header=BB413_13 Depth=1
	s_or_b32 exec_lo, exec_lo, s22
.LBB413_719:                            ;   in Loop: Header=BB413_13 Depth=1
	s_delay_alu instid0(SALU_CYCLE_1)
	s_or_b32 exec_lo, exec_lo, s21
.LBB413_720:                            ;   in Loop: Header=BB413_13 Depth=1
	s_delay_alu instid0(SALU_CYCLE_1) | instskip(NEXT) | instid1(VALU_DEP_1)
	s_or_b32 exec_lo, exec_lo, s20
	v_mul_f32_e32 v28, v144, v28
                                        ; implicit-def: $vgpr106
	s_delay_alu instid0(VALU_DEP_1) | instskip(NEXT) | instid1(VALU_DEP_1)
	v_and_b32_e32 v82, 0x7f800000, v28
	v_cmp_ne_u32_e64 s2, 0x7f800000, v82
	s_delay_alu instid0(VALU_DEP_1) | instskip(NEXT) | instid1(SALU_CYCLE_1)
	s_and_saveexec_b32 s20, s2
	s_xor_b32 s2, exec_lo, s20
; %bb.721:                              ;   in Loop: Header=BB413_13 Depth=1
	v_bfe_u32 v82, v28, 16, 1
	s_delay_alu instid0(VALU_DEP_1)
	v_add3_u32 v106, v28, v82, 0x7fff
                                        ; implicit-def: $vgpr28
; %bb.722:                              ;   in Loop: Header=BB413_13 Depth=1
	s_and_not1_saveexec_b32 s20, s2
; %bb.723:                              ;   in Loop: Header=BB413_13 Depth=1
	v_and_b32_e32 v82, 0xffff, v28
	v_or_b32_e32 v83, 0x10000, v28
	s_delay_alu instid0(VALU_DEP_2) | instskip(NEXT) | instid1(VALU_DEP_1)
	v_cmp_eq_u32_e64 s2, 0, v82
	v_cndmask_b32_e64 v106, v83, v28, s2
; %bb.724:                              ;   in Loop: Header=BB413_13 Depth=1
	s_or_b32 exec_lo, exec_lo, s20
	v_mov_b32_e32 v28, 0
	s_mov_b32 s20, exec_lo
	v_cmpx_lt_u32_e32 0xffffff, v107
	s_cbranch_execz .LBB413_732
; %bb.725:                              ;   in Loop: Header=BB413_13 Depth=1
	v_lshrrev_b32_e32 v108, 24, v107
	v_bfrev_b32_e32 v28, 1
	s_mov_b32 s21, exec_lo
	s_delay_alu instid0(VALU_DEP_2)
	v_cmpx_ne_u32_e32 0x80, v108
	s_cbranch_execz .LBB413_731
; %bb.726:                              ;   in Loop: Header=BB413_13 Depth=1
	v_bfe_u32 v82, v107, 24, 7
	v_mov_b32_e32 v28, 0x7f800001
	s_mov_b32 s22, exec_lo
	s_delay_alu instid0(VALU_DEP_2)
	v_cmpx_ne_u32_e32 0x7f, v82
	s_cbranch_execz .LBB413_730
; %bb.727:                              ;   in Loop: Header=BB413_13 Depth=1
	v_and_b32_e32 v28, 7, v108
	v_lshrrev_b32_e32 v107, 3, v82
	v_cmp_gt_u32_e64 s2, 8, v82
	s_delay_alu instid0(VALU_DEP_3) | instskip(NEXT) | instid1(VALU_DEP_2)
	v_dual_mov_b32 v83, v29 :: v_dual_mov_b32 v82, v28
	s_and_saveexec_b32 s23, s2
; %bb.728:                              ;   in Loop: Header=BB413_13 Depth=1
	v_clz_i32_u32_e32 v82, v28
	s_delay_alu instid0(VALU_DEP_1) | instskip(NEXT) | instid1(VALU_DEP_1)
	v_min_u32_e32 v107, 32, v82
	v_subrev_nc_u32_e32 v82, 28, v107
	v_sub_nc_u32_e32 v107, 29, v107
	s_delay_alu instid0(VALU_DEP_2) | instskip(NEXT) | instid1(VALU_DEP_1)
	v_lshlrev_b64 v[82:83], v82, v[28:29]
	v_and_b32_e32 v82, 7, v82
; %bb.729:                              ;   in Loop: Header=BB413_13 Depth=1
	s_or_b32 exec_lo, exec_lo, s23
	v_lshlrev_b32_e32 v28, 24, v108
	s_delay_alu instid0(VALU_DEP_2) | instskip(SKIP_1) | instid1(VALU_DEP_3)
	v_lshlrev_b32_e32 v82, 20, v82
	v_lshl_add_u32 v83, v107, 23, 0x3c000000
	v_and_b32_e32 v28, 0x80000000, v28
	s_delay_alu instid0(VALU_DEP_1)
	v_or3_b32 v28, v82, v28, v83
.LBB413_730:                            ;   in Loop: Header=BB413_13 Depth=1
	s_or_b32 exec_lo, exec_lo, s22
.LBB413_731:                            ;   in Loop: Header=BB413_13 Depth=1
	s_delay_alu instid0(SALU_CYCLE_1)
	s_or_b32 exec_lo, exec_lo, s21
.LBB413_732:                            ;   in Loop: Header=BB413_13 Depth=1
	s_delay_alu instid0(SALU_CYCLE_1) | instskip(NEXT) | instid1(VALU_DEP_1)
	s_or_b32 exec_lo, exec_lo, s20
	v_mul_f32_e32 v28, v144, v28
                                        ; implicit-def: $vgpr107
	s_delay_alu instid0(VALU_DEP_1) | instskip(NEXT) | instid1(VALU_DEP_1)
	v_and_b32_e32 v82, 0x7f800000, v28
	v_cmp_ne_u32_e64 s2, 0x7f800000, v82
	s_delay_alu instid0(VALU_DEP_1) | instskip(NEXT) | instid1(SALU_CYCLE_1)
	s_and_saveexec_b32 s20, s2
	s_xor_b32 s2, exec_lo, s20
; %bb.733:                              ;   in Loop: Header=BB413_13 Depth=1
	v_bfe_u32 v82, v28, 16, 1
	s_delay_alu instid0(VALU_DEP_1)
	v_add3_u32 v107, v28, v82, 0x7fff
                                        ; implicit-def: $vgpr28
; %bb.734:                              ;   in Loop: Header=BB413_13 Depth=1
	s_and_not1_saveexec_b32 s20, s2
; %bb.735:                              ;   in Loop: Header=BB413_13 Depth=1
	v_and_b32_e32 v82, 0xffff, v28
	v_or_b32_e32 v83, 0x10000, v28
	s_delay_alu instid0(VALU_DEP_2) | instskip(NEXT) | instid1(VALU_DEP_1)
	v_cmp_eq_u32_e64 s2, 0, v82
	v_cndmask_b32_e64 v107, v83, v28, s2
; %bb.736:                              ;   in Loop: Header=BB413_13 Depth=1
	s_or_b32 exec_lo, exec_lo, s20
	flat_load_b32 v111, v[80:81] offset:1800
	v_mov_b32_e32 v28, 0
	s_mov_b32 s20, exec_lo
	s_waitcnt vmcnt(0) lgkmcnt(0)
	v_and_b32_e32 v82, 0xff, v111
	s_delay_alu instid0(VALU_DEP_1)
	v_cmpx_ne_u16_e32 0, v82
	s_cbranch_execz .LBB413_744
; %bb.737:                              ;   in Loop: Header=BB413_13 Depth=1
	v_bfrev_b32_e32 v28, 1
	s_mov_b32 s21, exec_lo
	v_cmpx_ne_u16_e32 0x80, v82
	s_cbranch_execz .LBB413_743
; %bb.738:                              ;   in Loop: Header=BB413_13 Depth=1
	v_and_b32_e32 v82, 0x7f, v111
	v_mov_b32_e32 v28, 0x7f800001
	s_mov_b32 s22, exec_lo
	s_delay_alu instid0(VALU_DEP_2)
	v_cmpx_ne_u32_e32 0x7f, v82
	s_cbranch_execz .LBB413_742
; %bb.739:                              ;   in Loop: Header=BB413_13 Depth=1
	v_and_b32_e32 v28, 7, v111
	v_lshrrev_b32_e32 v108, 3, v82
	v_cmp_gt_u32_e64 s2, 8, v82
	s_delay_alu instid0(VALU_DEP_3) | instskip(NEXT) | instid1(VALU_DEP_2)
	v_dual_mov_b32 v83, v29 :: v_dual_mov_b32 v82, v28
	s_and_saveexec_b32 s23, s2
; %bb.740:                              ;   in Loop: Header=BB413_13 Depth=1
	v_clz_i32_u32_e32 v82, v28
	s_delay_alu instid0(VALU_DEP_1) | instskip(NEXT) | instid1(VALU_DEP_1)
	v_min_u32_e32 v108, 32, v82
	v_subrev_nc_u32_e32 v82, 28, v108
	v_sub_nc_u32_e32 v108, 29, v108
	s_delay_alu instid0(VALU_DEP_2) | instskip(NEXT) | instid1(VALU_DEP_1)
	v_lshlrev_b64 v[82:83], v82, v[28:29]
	v_and_b32_e32 v82, 7, v82
; %bb.741:                              ;   in Loop: Header=BB413_13 Depth=1
	s_or_b32 exec_lo, exec_lo, s23
	v_lshlrev_b32_e32 v28, 24, v111
	s_delay_alu instid0(VALU_DEP_2) | instskip(SKIP_1) | instid1(VALU_DEP_3)
	v_lshlrev_b32_e32 v82, 20, v82
	v_lshl_add_u32 v83, v108, 23, 0x3c000000
	v_and_b32_e32 v28, 0x80000000, v28
	s_delay_alu instid0(VALU_DEP_1)
	v_or3_b32 v28, v82, v28, v83
.LBB413_742:                            ;   in Loop: Header=BB413_13 Depth=1
	s_or_b32 exec_lo, exec_lo, s22
.LBB413_743:                            ;   in Loop: Header=BB413_13 Depth=1
	s_delay_alu instid0(SALU_CYCLE_1)
	s_or_b32 exec_lo, exec_lo, s21
.LBB413_744:                            ;   in Loop: Header=BB413_13 Depth=1
	s_delay_alu instid0(SALU_CYCLE_1) | instskip(NEXT) | instid1(VALU_DEP_1)
	s_or_b32 exec_lo, exec_lo, s20
	v_mul_f32_e32 v28, v144, v28
                                        ; implicit-def: $vgpr108
	s_delay_alu instid0(VALU_DEP_1) | instskip(NEXT) | instid1(VALU_DEP_1)
	v_and_b32_e32 v82, 0x7f800000, v28
	v_cmp_ne_u32_e64 s2, 0x7f800000, v82
	s_delay_alu instid0(VALU_DEP_1) | instskip(NEXT) | instid1(SALU_CYCLE_1)
	s_and_saveexec_b32 s20, s2
	s_xor_b32 s2, exec_lo, s20
; %bb.745:                              ;   in Loop: Header=BB413_13 Depth=1
	v_bfe_u32 v82, v28, 16, 1
	s_delay_alu instid0(VALU_DEP_1)
	v_add3_u32 v108, v28, v82, 0x7fff
                                        ; implicit-def: $vgpr28
; %bb.746:                              ;   in Loop: Header=BB413_13 Depth=1
	s_and_not1_saveexec_b32 s20, s2
; %bb.747:                              ;   in Loop: Header=BB413_13 Depth=1
	v_and_b32_e32 v82, 0xffff, v28
	v_or_b32_e32 v83, 0x10000, v28
	s_delay_alu instid0(VALU_DEP_2) | instskip(NEXT) | instid1(VALU_DEP_1)
	v_cmp_eq_u32_e64 s2, 0, v82
	v_cndmask_b32_e64 v108, v83, v28, s2
; %bb.748:                              ;   in Loop: Header=BB413_13 Depth=1
	s_or_b32 exec_lo, exec_lo, s20
	v_lshrrev_b16 v82, 8, v111
	v_mov_b32_e32 v28, 0
	s_mov_b32 s20, exec_lo
	s_delay_alu instid0(VALU_DEP_2)
	v_cmpx_ne_u16_e32 0, v82
	s_cbranch_execz .LBB413_756
; %bb.749:                              ;   in Loop: Header=BB413_13 Depth=1
	v_bfrev_b32_e32 v28, 1
	s_mov_b32 s21, exec_lo
	v_cmpx_ne_u16_e32 0x80, v82
	s_cbranch_execz .LBB413_755
; %bb.750:                              ;   in Loop: Header=BB413_13 Depth=1
	v_and_b32_e32 v83, 0xffff, v82
	v_mov_b32_e32 v28, 0x7f800001
	s_mov_b32 s22, exec_lo
	s_delay_alu instid0(VALU_DEP_2) | instskip(NEXT) | instid1(VALU_DEP_1)
	v_and_b32_e32 v82, 0x7f, v83
	v_cmpx_ne_u32_e32 0x7f, v82
	s_cbranch_execz .LBB413_754
; %bb.751:                              ;   in Loop: Header=BB413_13 Depth=1
	v_and_b32_e32 v28, 7, v83
	v_lshrrev_b32_e32 v109, 3, v82
	v_cmp_gt_u32_e64 s2, 8, v82
	s_delay_alu instid0(VALU_DEP_3) | instskip(NEXT) | instid1(VALU_DEP_2)
	v_dual_mov_b32 v83, v29 :: v_dual_mov_b32 v82, v28
	s_and_saveexec_b32 s23, s2
; %bb.752:                              ;   in Loop: Header=BB413_13 Depth=1
	v_clz_i32_u32_e32 v82, v28
	s_delay_alu instid0(VALU_DEP_1) | instskip(NEXT) | instid1(VALU_DEP_1)
	v_min_u32_e32 v109, 32, v82
	v_subrev_nc_u32_e32 v82, 28, v109
	v_sub_nc_u32_e32 v109, 29, v109
	s_delay_alu instid0(VALU_DEP_2) | instskip(NEXT) | instid1(VALU_DEP_1)
	v_lshlrev_b64 v[82:83], v82, v[28:29]
	v_and_b32_e32 v82, 7, v82
; %bb.753:                              ;   in Loop: Header=BB413_13 Depth=1
	s_or_b32 exec_lo, exec_lo, s23
	v_lshlrev_b32_e32 v28, 16, v111
	s_delay_alu instid0(VALU_DEP_2) | instskip(SKIP_1) | instid1(VALU_DEP_3)
	v_lshlrev_b32_e32 v82, 20, v82
	v_lshl_add_u32 v83, v109, 23, 0x3c000000
	v_and_b32_e32 v28, 0x80000000, v28
	s_delay_alu instid0(VALU_DEP_1)
	v_or3_b32 v28, v82, v28, v83
.LBB413_754:                            ;   in Loop: Header=BB413_13 Depth=1
	s_or_b32 exec_lo, exec_lo, s22
.LBB413_755:                            ;   in Loop: Header=BB413_13 Depth=1
	s_delay_alu instid0(SALU_CYCLE_1)
	s_or_b32 exec_lo, exec_lo, s21
.LBB413_756:                            ;   in Loop: Header=BB413_13 Depth=1
	s_delay_alu instid0(SALU_CYCLE_1) | instskip(NEXT) | instid1(VALU_DEP_1)
	s_or_b32 exec_lo, exec_lo, s20
	v_mul_f32_e32 v28, v144, v28
                                        ; implicit-def: $vgpr109
	s_delay_alu instid0(VALU_DEP_1) | instskip(NEXT) | instid1(VALU_DEP_1)
	v_and_b32_e32 v82, 0x7f800000, v28
	v_cmp_ne_u32_e64 s2, 0x7f800000, v82
	s_delay_alu instid0(VALU_DEP_1) | instskip(NEXT) | instid1(SALU_CYCLE_1)
	s_and_saveexec_b32 s20, s2
	s_xor_b32 s2, exec_lo, s20
; %bb.757:                              ;   in Loop: Header=BB413_13 Depth=1
	v_bfe_u32 v82, v28, 16, 1
	s_delay_alu instid0(VALU_DEP_1)
	v_add3_u32 v109, v28, v82, 0x7fff
                                        ; implicit-def: $vgpr28
; %bb.758:                              ;   in Loop: Header=BB413_13 Depth=1
	s_and_not1_saveexec_b32 s20, s2
; %bb.759:                              ;   in Loop: Header=BB413_13 Depth=1
	v_and_b32_e32 v82, 0xffff, v28
	v_or_b32_e32 v83, 0x10000, v28
	s_delay_alu instid0(VALU_DEP_2) | instskip(NEXT) | instid1(VALU_DEP_1)
	v_cmp_eq_u32_e64 s2, 0, v82
	v_cndmask_b32_e64 v109, v83, v28, s2
; %bb.760:                              ;   in Loop: Header=BB413_13 Depth=1
	s_or_b32 exec_lo, exec_lo, s20
	v_lshrrev_b32_e32 v110, 16, v111
	v_mov_b32_e32 v28, 0
	s_mov_b32 s20, exec_lo
	s_delay_alu instid0(VALU_DEP_2) | instskip(NEXT) | instid1(VALU_DEP_1)
	v_and_b32_e32 v82, 0xff, v110
	v_cmpx_ne_u16_e32 0, v82
	s_cbranch_execz .LBB413_768
; %bb.761:                              ;   in Loop: Header=BB413_13 Depth=1
	v_bfrev_b32_e32 v28, 1
	s_mov_b32 s21, exec_lo
	v_cmpx_ne_u16_e32 0x80, v82
	s_cbranch_execz .LBB413_767
; %bb.762:                              ;   in Loop: Header=BB413_13 Depth=1
	v_bfe_u32 v82, v111, 16, 7
	v_mov_b32_e32 v28, 0x7f800001
	s_mov_b32 s22, exec_lo
	s_delay_alu instid0(VALU_DEP_2)
	v_cmpx_ne_u32_e32 0x7f, v82
	s_cbranch_execz .LBB413_766
; %bb.763:                              ;   in Loop: Header=BB413_13 Depth=1
	v_and_b32_e32 v28, 7, v110
	v_lshrrev_b32_e32 v120, 3, v82
	v_cmp_gt_u32_e64 s2, 8, v82
	s_delay_alu instid0(VALU_DEP_3) | instskip(NEXT) | instid1(VALU_DEP_2)
	v_dual_mov_b32 v83, v29 :: v_dual_mov_b32 v82, v28
	s_and_saveexec_b32 s23, s2
; %bb.764:                              ;   in Loop: Header=BB413_13 Depth=1
	v_clz_i32_u32_e32 v82, v28
	s_delay_alu instid0(VALU_DEP_1) | instskip(NEXT) | instid1(VALU_DEP_1)
	v_min_u32_e32 v120, 32, v82
	v_subrev_nc_u32_e32 v82, 28, v120
	v_sub_nc_u32_e32 v120, 29, v120
	s_delay_alu instid0(VALU_DEP_2) | instskip(NEXT) | instid1(VALU_DEP_1)
	v_lshlrev_b64 v[82:83], v82, v[28:29]
	v_and_b32_e32 v82, 7, v82
; %bb.765:                              ;   in Loop: Header=BB413_13 Depth=1
	s_or_b32 exec_lo, exec_lo, s23
	v_lshlrev_b32_e32 v28, 24, v110
	s_delay_alu instid0(VALU_DEP_2) | instskip(SKIP_1) | instid1(VALU_DEP_3)
	v_lshlrev_b32_e32 v82, 20, v82
	v_lshl_add_u32 v83, v120, 23, 0x3c000000
	v_and_b32_e32 v28, 0x80000000, v28
	s_delay_alu instid0(VALU_DEP_1)
	v_or3_b32 v28, v82, v28, v83
.LBB413_766:                            ;   in Loop: Header=BB413_13 Depth=1
	s_or_b32 exec_lo, exec_lo, s22
.LBB413_767:                            ;   in Loop: Header=BB413_13 Depth=1
	s_delay_alu instid0(SALU_CYCLE_1)
	s_or_b32 exec_lo, exec_lo, s21
.LBB413_768:                            ;   in Loop: Header=BB413_13 Depth=1
	s_delay_alu instid0(SALU_CYCLE_1) | instskip(NEXT) | instid1(VALU_DEP_1)
	s_or_b32 exec_lo, exec_lo, s20
	v_mul_f32_e32 v28, v144, v28
                                        ; implicit-def: $vgpr110
	s_delay_alu instid0(VALU_DEP_1) | instskip(NEXT) | instid1(VALU_DEP_1)
	v_and_b32_e32 v82, 0x7f800000, v28
	v_cmp_ne_u32_e64 s2, 0x7f800000, v82
	s_delay_alu instid0(VALU_DEP_1) | instskip(NEXT) | instid1(SALU_CYCLE_1)
	s_and_saveexec_b32 s20, s2
	s_xor_b32 s2, exec_lo, s20
; %bb.769:                              ;   in Loop: Header=BB413_13 Depth=1
	v_bfe_u32 v82, v28, 16, 1
	s_delay_alu instid0(VALU_DEP_1)
	v_add3_u32 v110, v28, v82, 0x7fff
                                        ; implicit-def: $vgpr28
; %bb.770:                              ;   in Loop: Header=BB413_13 Depth=1
	s_and_not1_saveexec_b32 s20, s2
; %bb.771:                              ;   in Loop: Header=BB413_13 Depth=1
	v_and_b32_e32 v82, 0xffff, v28
	v_or_b32_e32 v83, 0x10000, v28
	s_delay_alu instid0(VALU_DEP_2) | instskip(NEXT) | instid1(VALU_DEP_1)
	v_cmp_eq_u32_e64 s2, 0, v82
	v_cndmask_b32_e64 v110, v83, v28, s2
; %bb.772:                              ;   in Loop: Header=BB413_13 Depth=1
	s_or_b32 exec_lo, exec_lo, s20
	v_mov_b32_e32 v28, 0
	s_mov_b32 s20, exec_lo
	v_cmpx_lt_u32_e32 0xffffff, v111
	s_cbranch_execz .LBB413_780
; %bb.773:                              ;   in Loop: Header=BB413_13 Depth=1
	v_lshrrev_b32_e32 v120, 24, v111
	v_bfrev_b32_e32 v28, 1
	s_mov_b32 s21, exec_lo
	s_delay_alu instid0(VALU_DEP_2)
	v_cmpx_ne_u32_e32 0x80, v120
	s_cbranch_execz .LBB413_779
; %bb.774:                              ;   in Loop: Header=BB413_13 Depth=1
	v_bfe_u32 v82, v111, 24, 7
	v_mov_b32_e32 v28, 0x7f800001
	s_mov_b32 s22, exec_lo
	s_delay_alu instid0(VALU_DEP_2)
	v_cmpx_ne_u32_e32 0x7f, v82
	s_cbranch_execz .LBB413_778
; %bb.775:                              ;   in Loop: Header=BB413_13 Depth=1
	v_and_b32_e32 v28, 7, v120
	v_lshrrev_b32_e32 v111, 3, v82
	v_cmp_gt_u32_e64 s2, 8, v82
	s_delay_alu instid0(VALU_DEP_3) | instskip(NEXT) | instid1(VALU_DEP_2)
	v_dual_mov_b32 v83, v29 :: v_dual_mov_b32 v82, v28
	s_and_saveexec_b32 s23, s2
; %bb.776:                              ;   in Loop: Header=BB413_13 Depth=1
	v_clz_i32_u32_e32 v82, v28
	s_delay_alu instid0(VALU_DEP_1) | instskip(NEXT) | instid1(VALU_DEP_1)
	v_min_u32_e32 v111, 32, v82
	v_subrev_nc_u32_e32 v82, 28, v111
	v_sub_nc_u32_e32 v111, 29, v111
	s_delay_alu instid0(VALU_DEP_2) | instskip(NEXT) | instid1(VALU_DEP_1)
	v_lshlrev_b64 v[82:83], v82, v[28:29]
	v_and_b32_e32 v82, 7, v82
; %bb.777:                              ;   in Loop: Header=BB413_13 Depth=1
	s_or_b32 exec_lo, exec_lo, s23
	v_lshlrev_b32_e32 v28, 24, v120
	s_delay_alu instid0(VALU_DEP_2) | instskip(SKIP_1) | instid1(VALU_DEP_3)
	v_lshlrev_b32_e32 v82, 20, v82
	v_lshl_add_u32 v83, v111, 23, 0x3c000000
	v_and_b32_e32 v28, 0x80000000, v28
	s_delay_alu instid0(VALU_DEP_1)
	v_or3_b32 v28, v82, v28, v83
.LBB413_778:                            ;   in Loop: Header=BB413_13 Depth=1
	s_or_b32 exec_lo, exec_lo, s22
.LBB413_779:                            ;   in Loop: Header=BB413_13 Depth=1
	s_delay_alu instid0(SALU_CYCLE_1)
	s_or_b32 exec_lo, exec_lo, s21
.LBB413_780:                            ;   in Loop: Header=BB413_13 Depth=1
	s_delay_alu instid0(SALU_CYCLE_1) | instskip(NEXT) | instid1(VALU_DEP_1)
	s_or_b32 exec_lo, exec_lo, s20
	v_mul_f32_e32 v28, v144, v28
                                        ; implicit-def: $vgpr111
	s_delay_alu instid0(VALU_DEP_1) | instskip(NEXT) | instid1(VALU_DEP_1)
	v_and_b32_e32 v82, 0x7f800000, v28
	v_cmp_ne_u32_e64 s2, 0x7f800000, v82
	s_delay_alu instid0(VALU_DEP_1) | instskip(NEXT) | instid1(SALU_CYCLE_1)
	s_and_saveexec_b32 s20, s2
	s_xor_b32 s2, exec_lo, s20
; %bb.781:                              ;   in Loop: Header=BB413_13 Depth=1
	v_bfe_u32 v82, v28, 16, 1
	s_delay_alu instid0(VALU_DEP_1)
	v_add3_u32 v111, v28, v82, 0x7fff
                                        ; implicit-def: $vgpr28
; %bb.782:                              ;   in Loop: Header=BB413_13 Depth=1
	s_and_not1_saveexec_b32 s20, s2
; %bb.783:                              ;   in Loop: Header=BB413_13 Depth=1
	v_and_b32_e32 v82, 0xffff, v28
	v_or_b32_e32 v83, 0x10000, v28
	s_delay_alu instid0(VALU_DEP_2) | instskip(NEXT) | instid1(VALU_DEP_1)
	v_cmp_eq_u32_e64 s2, 0, v82
	v_cndmask_b32_e64 v111, v83, v28, s2
; %bb.784:                              ;   in Loop: Header=BB413_13 Depth=1
	s_or_b32 exec_lo, exec_lo, s20
	flat_load_b32 v123, v[80:81] offset:2048
	v_mov_b32_e32 v28, 0
	s_mov_b32 s20, exec_lo
	s_waitcnt vmcnt(0) lgkmcnt(0)
	v_and_b32_e32 v82, 0xff, v123
	s_delay_alu instid0(VALU_DEP_1)
	v_cmpx_ne_u16_e32 0, v82
	s_cbranch_execz .LBB413_792
; %bb.785:                              ;   in Loop: Header=BB413_13 Depth=1
	v_bfrev_b32_e32 v28, 1
	s_mov_b32 s21, exec_lo
	v_cmpx_ne_u16_e32 0x80, v82
	s_cbranch_execz .LBB413_791
; %bb.786:                              ;   in Loop: Header=BB413_13 Depth=1
	v_and_b32_e32 v82, 0x7f, v123
	v_mov_b32_e32 v28, 0x7f800001
	s_mov_b32 s22, exec_lo
	s_delay_alu instid0(VALU_DEP_2)
	v_cmpx_ne_u32_e32 0x7f, v82
	s_cbranch_execz .LBB413_790
; %bb.787:                              ;   in Loop: Header=BB413_13 Depth=1
	v_and_b32_e32 v28, 7, v123
	v_lshrrev_b32_e32 v120, 3, v82
	v_cmp_gt_u32_e64 s2, 8, v82
	s_delay_alu instid0(VALU_DEP_3) | instskip(NEXT) | instid1(VALU_DEP_2)
	v_dual_mov_b32 v83, v29 :: v_dual_mov_b32 v82, v28
	s_and_saveexec_b32 s23, s2
; %bb.788:                              ;   in Loop: Header=BB413_13 Depth=1
	v_clz_i32_u32_e32 v82, v28
	s_delay_alu instid0(VALU_DEP_1) | instskip(NEXT) | instid1(VALU_DEP_1)
	v_min_u32_e32 v120, 32, v82
	v_subrev_nc_u32_e32 v82, 28, v120
	v_sub_nc_u32_e32 v120, 29, v120
	s_delay_alu instid0(VALU_DEP_2) | instskip(NEXT) | instid1(VALU_DEP_1)
	v_lshlrev_b64 v[82:83], v82, v[28:29]
	v_and_b32_e32 v82, 7, v82
; %bb.789:                              ;   in Loop: Header=BB413_13 Depth=1
	s_or_b32 exec_lo, exec_lo, s23
	v_lshlrev_b32_e32 v28, 24, v123
	s_delay_alu instid0(VALU_DEP_2) | instskip(SKIP_1) | instid1(VALU_DEP_3)
	v_lshlrev_b32_e32 v82, 20, v82
	v_lshl_add_u32 v83, v120, 23, 0x3c000000
	v_and_b32_e32 v28, 0x80000000, v28
	s_delay_alu instid0(VALU_DEP_1)
	v_or3_b32 v28, v82, v28, v83
.LBB413_790:                            ;   in Loop: Header=BB413_13 Depth=1
	s_or_b32 exec_lo, exec_lo, s22
.LBB413_791:                            ;   in Loop: Header=BB413_13 Depth=1
	s_delay_alu instid0(SALU_CYCLE_1)
	s_or_b32 exec_lo, exec_lo, s21
.LBB413_792:                            ;   in Loop: Header=BB413_13 Depth=1
	s_delay_alu instid0(SALU_CYCLE_1) | instskip(NEXT) | instid1(VALU_DEP_1)
	s_or_b32 exec_lo, exec_lo, s20
	v_mul_f32_e32 v28, v144, v28
                                        ; implicit-def: $vgpr120
	s_delay_alu instid0(VALU_DEP_1) | instskip(NEXT) | instid1(VALU_DEP_1)
	v_and_b32_e32 v82, 0x7f800000, v28
	v_cmp_ne_u32_e64 s2, 0x7f800000, v82
	s_delay_alu instid0(VALU_DEP_1) | instskip(NEXT) | instid1(SALU_CYCLE_1)
	s_and_saveexec_b32 s20, s2
	s_xor_b32 s2, exec_lo, s20
; %bb.793:                              ;   in Loop: Header=BB413_13 Depth=1
	v_bfe_u32 v82, v28, 16, 1
	s_delay_alu instid0(VALU_DEP_1)
	v_add3_u32 v120, v28, v82, 0x7fff
                                        ; implicit-def: $vgpr28
; %bb.794:                              ;   in Loop: Header=BB413_13 Depth=1
	s_and_not1_saveexec_b32 s20, s2
; %bb.795:                              ;   in Loop: Header=BB413_13 Depth=1
	v_and_b32_e32 v82, 0xffff, v28
	v_or_b32_e32 v83, 0x10000, v28
	s_delay_alu instid0(VALU_DEP_2) | instskip(NEXT) | instid1(VALU_DEP_1)
	v_cmp_eq_u32_e64 s2, 0, v82
	v_cndmask_b32_e64 v120, v83, v28, s2
; %bb.796:                              ;   in Loop: Header=BB413_13 Depth=1
	s_or_b32 exec_lo, exec_lo, s20
	v_lshrrev_b16 v82, 8, v123
	v_mov_b32_e32 v28, 0
	s_mov_b32 s20, exec_lo
	s_delay_alu instid0(VALU_DEP_2)
	v_cmpx_ne_u16_e32 0, v82
	s_cbranch_execz .LBB413_804
; %bb.797:                              ;   in Loop: Header=BB413_13 Depth=1
	v_bfrev_b32_e32 v28, 1
	s_mov_b32 s21, exec_lo
	v_cmpx_ne_u16_e32 0x80, v82
	s_cbranch_execz .LBB413_803
; %bb.798:                              ;   in Loop: Header=BB413_13 Depth=1
	v_and_b32_e32 v83, 0xffff, v82
	v_mov_b32_e32 v28, 0x7f800001
	s_mov_b32 s22, exec_lo
	s_delay_alu instid0(VALU_DEP_2) | instskip(NEXT) | instid1(VALU_DEP_1)
	v_and_b32_e32 v82, 0x7f, v83
	v_cmpx_ne_u32_e32 0x7f, v82
	s_cbranch_execz .LBB413_802
; %bb.799:                              ;   in Loop: Header=BB413_13 Depth=1
	v_and_b32_e32 v28, 7, v83
	v_lshrrev_b32_e32 v121, 3, v82
	v_cmp_gt_u32_e64 s2, 8, v82
	s_delay_alu instid0(VALU_DEP_3) | instskip(NEXT) | instid1(VALU_DEP_2)
	v_dual_mov_b32 v83, v29 :: v_dual_mov_b32 v82, v28
	s_and_saveexec_b32 s23, s2
; %bb.800:                              ;   in Loop: Header=BB413_13 Depth=1
	v_clz_i32_u32_e32 v82, v28
	s_delay_alu instid0(VALU_DEP_1) | instskip(NEXT) | instid1(VALU_DEP_1)
	v_min_u32_e32 v121, 32, v82
	v_subrev_nc_u32_e32 v82, 28, v121
	v_sub_nc_u32_e32 v121, 29, v121
	s_delay_alu instid0(VALU_DEP_2) | instskip(NEXT) | instid1(VALU_DEP_1)
	v_lshlrev_b64 v[82:83], v82, v[28:29]
	v_and_b32_e32 v82, 7, v82
; %bb.801:                              ;   in Loop: Header=BB413_13 Depth=1
	s_or_b32 exec_lo, exec_lo, s23
	v_lshlrev_b32_e32 v28, 16, v123
	s_delay_alu instid0(VALU_DEP_2) | instskip(SKIP_1) | instid1(VALU_DEP_3)
	v_lshlrev_b32_e32 v82, 20, v82
	v_lshl_add_u32 v83, v121, 23, 0x3c000000
	v_and_b32_e32 v28, 0x80000000, v28
	s_delay_alu instid0(VALU_DEP_1)
	v_or3_b32 v28, v82, v28, v83
.LBB413_802:                            ;   in Loop: Header=BB413_13 Depth=1
	s_or_b32 exec_lo, exec_lo, s22
.LBB413_803:                            ;   in Loop: Header=BB413_13 Depth=1
	s_delay_alu instid0(SALU_CYCLE_1)
	s_or_b32 exec_lo, exec_lo, s21
.LBB413_804:                            ;   in Loop: Header=BB413_13 Depth=1
	s_delay_alu instid0(SALU_CYCLE_1) | instskip(NEXT) | instid1(VALU_DEP_1)
	s_or_b32 exec_lo, exec_lo, s20
	v_mul_f32_e32 v28, v144, v28
                                        ; implicit-def: $vgpr121
	s_delay_alu instid0(VALU_DEP_1) | instskip(NEXT) | instid1(VALU_DEP_1)
	v_and_b32_e32 v82, 0x7f800000, v28
	v_cmp_ne_u32_e64 s2, 0x7f800000, v82
	s_delay_alu instid0(VALU_DEP_1) | instskip(NEXT) | instid1(SALU_CYCLE_1)
	s_and_saveexec_b32 s20, s2
	s_xor_b32 s2, exec_lo, s20
; %bb.805:                              ;   in Loop: Header=BB413_13 Depth=1
	v_bfe_u32 v82, v28, 16, 1
	s_delay_alu instid0(VALU_DEP_1)
	v_add3_u32 v121, v28, v82, 0x7fff
                                        ; implicit-def: $vgpr28
; %bb.806:                              ;   in Loop: Header=BB413_13 Depth=1
	s_and_not1_saveexec_b32 s20, s2
; %bb.807:                              ;   in Loop: Header=BB413_13 Depth=1
	v_and_b32_e32 v82, 0xffff, v28
	v_or_b32_e32 v83, 0x10000, v28
	s_delay_alu instid0(VALU_DEP_2) | instskip(NEXT) | instid1(VALU_DEP_1)
	v_cmp_eq_u32_e64 s2, 0, v82
	v_cndmask_b32_e64 v121, v83, v28, s2
; %bb.808:                              ;   in Loop: Header=BB413_13 Depth=1
	s_or_b32 exec_lo, exec_lo, s20
	v_lshrrev_b32_e32 v122, 16, v123
	v_mov_b32_e32 v28, 0
	s_mov_b32 s20, exec_lo
	s_delay_alu instid0(VALU_DEP_2) | instskip(NEXT) | instid1(VALU_DEP_1)
	v_and_b32_e32 v82, 0xff, v122
	v_cmpx_ne_u16_e32 0, v82
	s_cbranch_execz .LBB413_816
; %bb.809:                              ;   in Loop: Header=BB413_13 Depth=1
	v_bfrev_b32_e32 v28, 1
	s_mov_b32 s21, exec_lo
	v_cmpx_ne_u16_e32 0x80, v82
	s_cbranch_execz .LBB413_815
; %bb.810:                              ;   in Loop: Header=BB413_13 Depth=1
	v_bfe_u32 v82, v123, 16, 7
	v_mov_b32_e32 v28, 0x7f800001
	s_mov_b32 s22, exec_lo
	s_delay_alu instid0(VALU_DEP_2)
	v_cmpx_ne_u32_e32 0x7f, v82
	s_cbranch_execz .LBB413_814
; %bb.811:                              ;   in Loop: Header=BB413_13 Depth=1
	v_and_b32_e32 v28, 7, v122
	v_lshrrev_b32_e32 v124, 3, v82
	v_cmp_gt_u32_e64 s2, 8, v82
	s_delay_alu instid0(VALU_DEP_3) | instskip(NEXT) | instid1(VALU_DEP_2)
	v_dual_mov_b32 v83, v29 :: v_dual_mov_b32 v82, v28
	s_and_saveexec_b32 s23, s2
; %bb.812:                              ;   in Loop: Header=BB413_13 Depth=1
	v_clz_i32_u32_e32 v82, v28
	s_delay_alu instid0(VALU_DEP_1) | instskip(NEXT) | instid1(VALU_DEP_1)
	v_min_u32_e32 v124, 32, v82
	v_subrev_nc_u32_e32 v82, 28, v124
	v_sub_nc_u32_e32 v124, 29, v124
	s_delay_alu instid0(VALU_DEP_2) | instskip(NEXT) | instid1(VALU_DEP_1)
	v_lshlrev_b64 v[82:83], v82, v[28:29]
	v_and_b32_e32 v82, 7, v82
; %bb.813:                              ;   in Loop: Header=BB413_13 Depth=1
	s_or_b32 exec_lo, exec_lo, s23
	v_lshlrev_b32_e32 v28, 24, v122
	s_delay_alu instid0(VALU_DEP_2) | instskip(SKIP_1) | instid1(VALU_DEP_3)
	v_lshlrev_b32_e32 v82, 20, v82
	v_lshl_add_u32 v83, v124, 23, 0x3c000000
	v_and_b32_e32 v28, 0x80000000, v28
	s_delay_alu instid0(VALU_DEP_1)
	v_or3_b32 v28, v82, v28, v83
.LBB413_814:                            ;   in Loop: Header=BB413_13 Depth=1
	s_or_b32 exec_lo, exec_lo, s22
.LBB413_815:                            ;   in Loop: Header=BB413_13 Depth=1
	s_delay_alu instid0(SALU_CYCLE_1)
	s_or_b32 exec_lo, exec_lo, s21
.LBB413_816:                            ;   in Loop: Header=BB413_13 Depth=1
	s_delay_alu instid0(SALU_CYCLE_1) | instskip(NEXT) | instid1(VALU_DEP_1)
	s_or_b32 exec_lo, exec_lo, s20
	v_mul_f32_e32 v28, v144, v28
                                        ; implicit-def: $vgpr122
	s_delay_alu instid0(VALU_DEP_1) | instskip(NEXT) | instid1(VALU_DEP_1)
	v_and_b32_e32 v82, 0x7f800000, v28
	v_cmp_ne_u32_e64 s2, 0x7f800000, v82
	s_delay_alu instid0(VALU_DEP_1) | instskip(NEXT) | instid1(SALU_CYCLE_1)
	s_and_saveexec_b32 s20, s2
	s_xor_b32 s2, exec_lo, s20
; %bb.817:                              ;   in Loop: Header=BB413_13 Depth=1
	v_bfe_u32 v82, v28, 16, 1
	s_delay_alu instid0(VALU_DEP_1)
	v_add3_u32 v122, v28, v82, 0x7fff
                                        ; implicit-def: $vgpr28
; %bb.818:                              ;   in Loop: Header=BB413_13 Depth=1
	s_and_not1_saveexec_b32 s20, s2
; %bb.819:                              ;   in Loop: Header=BB413_13 Depth=1
	v_and_b32_e32 v82, 0xffff, v28
	v_or_b32_e32 v83, 0x10000, v28
	s_delay_alu instid0(VALU_DEP_2) | instskip(NEXT) | instid1(VALU_DEP_1)
	v_cmp_eq_u32_e64 s2, 0, v82
	v_cndmask_b32_e64 v122, v83, v28, s2
; %bb.820:                              ;   in Loop: Header=BB413_13 Depth=1
	s_or_b32 exec_lo, exec_lo, s20
	v_mov_b32_e32 v28, 0
	s_mov_b32 s20, exec_lo
	v_cmpx_lt_u32_e32 0xffffff, v123
	s_cbranch_execz .LBB413_828
; %bb.821:                              ;   in Loop: Header=BB413_13 Depth=1
	v_lshrrev_b32_e32 v124, 24, v123
	v_bfrev_b32_e32 v28, 1
	s_mov_b32 s21, exec_lo
	s_delay_alu instid0(VALU_DEP_2)
	v_cmpx_ne_u32_e32 0x80, v124
	s_cbranch_execz .LBB413_827
; %bb.822:                              ;   in Loop: Header=BB413_13 Depth=1
	v_bfe_u32 v82, v123, 24, 7
	v_mov_b32_e32 v28, 0x7f800001
	s_mov_b32 s22, exec_lo
	s_delay_alu instid0(VALU_DEP_2)
	v_cmpx_ne_u32_e32 0x7f, v82
	s_cbranch_execz .LBB413_826
; %bb.823:                              ;   in Loop: Header=BB413_13 Depth=1
	v_and_b32_e32 v28, 7, v124
	v_lshrrev_b32_e32 v123, 3, v82
	v_cmp_gt_u32_e64 s2, 8, v82
	s_delay_alu instid0(VALU_DEP_3) | instskip(NEXT) | instid1(VALU_DEP_2)
	v_dual_mov_b32 v83, v29 :: v_dual_mov_b32 v82, v28
	s_and_saveexec_b32 s23, s2
; %bb.824:                              ;   in Loop: Header=BB413_13 Depth=1
	v_clz_i32_u32_e32 v82, v28
	s_delay_alu instid0(VALU_DEP_1) | instskip(NEXT) | instid1(VALU_DEP_1)
	v_min_u32_e32 v123, 32, v82
	v_subrev_nc_u32_e32 v82, 28, v123
	v_sub_nc_u32_e32 v123, 29, v123
	s_delay_alu instid0(VALU_DEP_2) | instskip(NEXT) | instid1(VALU_DEP_1)
	v_lshlrev_b64 v[82:83], v82, v[28:29]
	v_and_b32_e32 v82, 7, v82
; %bb.825:                              ;   in Loop: Header=BB413_13 Depth=1
	s_or_b32 exec_lo, exec_lo, s23
	v_lshlrev_b32_e32 v28, 24, v124
	s_delay_alu instid0(VALU_DEP_2) | instskip(SKIP_1) | instid1(VALU_DEP_3)
	v_lshlrev_b32_e32 v82, 20, v82
	v_lshl_add_u32 v83, v123, 23, 0x3c000000
	v_and_b32_e32 v28, 0x80000000, v28
	s_delay_alu instid0(VALU_DEP_1)
	v_or3_b32 v28, v82, v28, v83
.LBB413_826:                            ;   in Loop: Header=BB413_13 Depth=1
	s_or_b32 exec_lo, exec_lo, s22
.LBB413_827:                            ;   in Loop: Header=BB413_13 Depth=1
	s_delay_alu instid0(SALU_CYCLE_1)
	s_or_b32 exec_lo, exec_lo, s21
.LBB413_828:                            ;   in Loop: Header=BB413_13 Depth=1
	s_delay_alu instid0(SALU_CYCLE_1) | instskip(NEXT) | instid1(VALU_DEP_1)
	s_or_b32 exec_lo, exec_lo, s20
	v_mul_f32_e32 v28, v144, v28
                                        ; implicit-def: $vgpr123
	s_delay_alu instid0(VALU_DEP_1) | instskip(NEXT) | instid1(VALU_DEP_1)
	v_and_b32_e32 v82, 0x7f800000, v28
	v_cmp_ne_u32_e64 s2, 0x7f800000, v82
	s_delay_alu instid0(VALU_DEP_1) | instskip(NEXT) | instid1(SALU_CYCLE_1)
	s_and_saveexec_b32 s20, s2
	s_xor_b32 s2, exec_lo, s20
; %bb.829:                              ;   in Loop: Header=BB413_13 Depth=1
	v_bfe_u32 v82, v28, 16, 1
	s_delay_alu instid0(VALU_DEP_1)
	v_add3_u32 v123, v28, v82, 0x7fff
                                        ; implicit-def: $vgpr28
; %bb.830:                              ;   in Loop: Header=BB413_13 Depth=1
	s_and_not1_saveexec_b32 s20, s2
; %bb.831:                              ;   in Loop: Header=BB413_13 Depth=1
	v_and_b32_e32 v82, 0xffff, v28
	v_or_b32_e32 v83, 0x10000, v28
	s_delay_alu instid0(VALU_DEP_2) | instskip(NEXT) | instid1(VALU_DEP_1)
	v_cmp_eq_u32_e64 s2, 0, v82
	v_cndmask_b32_e64 v123, v83, v28, s2
; %bb.832:                              ;   in Loop: Header=BB413_13 Depth=1
	s_or_b32 exec_lo, exec_lo, s20
	flat_load_b32 v127, v[80:81] offset:2056
	v_mov_b32_e32 v28, 0
	s_mov_b32 s20, exec_lo
	s_waitcnt vmcnt(0) lgkmcnt(0)
	v_and_b32_e32 v82, 0xff, v127
	s_delay_alu instid0(VALU_DEP_1)
	v_cmpx_ne_u16_e32 0, v82
	s_cbranch_execz .LBB413_840
; %bb.833:                              ;   in Loop: Header=BB413_13 Depth=1
	v_bfrev_b32_e32 v28, 1
	s_mov_b32 s21, exec_lo
	v_cmpx_ne_u16_e32 0x80, v82
	s_cbranch_execz .LBB413_839
; %bb.834:                              ;   in Loop: Header=BB413_13 Depth=1
	v_and_b32_e32 v82, 0x7f, v127
	v_mov_b32_e32 v28, 0x7f800001
	s_mov_b32 s22, exec_lo
	s_delay_alu instid0(VALU_DEP_2)
	v_cmpx_ne_u32_e32 0x7f, v82
	s_cbranch_execz .LBB413_838
; %bb.835:                              ;   in Loop: Header=BB413_13 Depth=1
	v_and_b32_e32 v28, 7, v127
	v_lshrrev_b32_e32 v124, 3, v82
	v_cmp_gt_u32_e64 s2, 8, v82
	s_delay_alu instid0(VALU_DEP_3) | instskip(NEXT) | instid1(VALU_DEP_2)
	v_dual_mov_b32 v83, v29 :: v_dual_mov_b32 v82, v28
	s_and_saveexec_b32 s23, s2
; %bb.836:                              ;   in Loop: Header=BB413_13 Depth=1
	v_clz_i32_u32_e32 v82, v28
	s_delay_alu instid0(VALU_DEP_1) | instskip(NEXT) | instid1(VALU_DEP_1)
	v_min_u32_e32 v124, 32, v82
	v_subrev_nc_u32_e32 v82, 28, v124
	v_sub_nc_u32_e32 v124, 29, v124
	s_delay_alu instid0(VALU_DEP_2) | instskip(NEXT) | instid1(VALU_DEP_1)
	v_lshlrev_b64 v[82:83], v82, v[28:29]
	v_and_b32_e32 v82, 7, v82
; %bb.837:                              ;   in Loop: Header=BB413_13 Depth=1
	s_or_b32 exec_lo, exec_lo, s23
	v_lshlrev_b32_e32 v28, 24, v127
	s_delay_alu instid0(VALU_DEP_2) | instskip(SKIP_1) | instid1(VALU_DEP_3)
	v_lshlrev_b32_e32 v82, 20, v82
	v_lshl_add_u32 v83, v124, 23, 0x3c000000
	v_and_b32_e32 v28, 0x80000000, v28
	s_delay_alu instid0(VALU_DEP_1)
	v_or3_b32 v28, v82, v28, v83
.LBB413_838:                            ;   in Loop: Header=BB413_13 Depth=1
	s_or_b32 exec_lo, exec_lo, s22
.LBB413_839:                            ;   in Loop: Header=BB413_13 Depth=1
	s_delay_alu instid0(SALU_CYCLE_1)
	s_or_b32 exec_lo, exec_lo, s21
.LBB413_840:                            ;   in Loop: Header=BB413_13 Depth=1
	s_delay_alu instid0(SALU_CYCLE_1) | instskip(NEXT) | instid1(VALU_DEP_1)
	s_or_b32 exec_lo, exec_lo, s20
	v_mul_f32_e32 v28, v144, v28
                                        ; implicit-def: $vgpr124
	s_delay_alu instid0(VALU_DEP_1) | instskip(NEXT) | instid1(VALU_DEP_1)
	v_and_b32_e32 v82, 0x7f800000, v28
	v_cmp_ne_u32_e64 s2, 0x7f800000, v82
	s_delay_alu instid0(VALU_DEP_1) | instskip(NEXT) | instid1(SALU_CYCLE_1)
	s_and_saveexec_b32 s20, s2
	s_xor_b32 s2, exec_lo, s20
; %bb.841:                              ;   in Loop: Header=BB413_13 Depth=1
	v_bfe_u32 v82, v28, 16, 1
	s_delay_alu instid0(VALU_DEP_1)
	v_add3_u32 v124, v28, v82, 0x7fff
                                        ; implicit-def: $vgpr28
; %bb.842:                              ;   in Loop: Header=BB413_13 Depth=1
	s_and_not1_saveexec_b32 s20, s2
; %bb.843:                              ;   in Loop: Header=BB413_13 Depth=1
	v_and_b32_e32 v82, 0xffff, v28
	v_or_b32_e32 v83, 0x10000, v28
	s_delay_alu instid0(VALU_DEP_2) | instskip(NEXT) | instid1(VALU_DEP_1)
	v_cmp_eq_u32_e64 s2, 0, v82
	v_cndmask_b32_e64 v124, v83, v28, s2
; %bb.844:                              ;   in Loop: Header=BB413_13 Depth=1
	s_or_b32 exec_lo, exec_lo, s20
	v_lshrrev_b16 v82, 8, v127
	v_mov_b32_e32 v28, 0
	s_mov_b32 s20, exec_lo
	s_delay_alu instid0(VALU_DEP_2)
	v_cmpx_ne_u16_e32 0, v82
	s_cbranch_execz .LBB413_852
; %bb.845:                              ;   in Loop: Header=BB413_13 Depth=1
	v_bfrev_b32_e32 v28, 1
	s_mov_b32 s21, exec_lo
	v_cmpx_ne_u16_e32 0x80, v82
	s_cbranch_execz .LBB413_851
; %bb.846:                              ;   in Loop: Header=BB413_13 Depth=1
	v_and_b32_e32 v83, 0xffff, v82
	v_mov_b32_e32 v28, 0x7f800001
	s_mov_b32 s22, exec_lo
	s_delay_alu instid0(VALU_DEP_2) | instskip(NEXT) | instid1(VALU_DEP_1)
	v_and_b32_e32 v82, 0x7f, v83
	v_cmpx_ne_u32_e32 0x7f, v82
	s_cbranch_execz .LBB413_850
; %bb.847:                              ;   in Loop: Header=BB413_13 Depth=1
	v_and_b32_e32 v28, 7, v83
	v_lshrrev_b32_e32 v125, 3, v82
	v_cmp_gt_u32_e64 s2, 8, v82
	s_delay_alu instid0(VALU_DEP_3) | instskip(NEXT) | instid1(VALU_DEP_2)
	v_dual_mov_b32 v83, v29 :: v_dual_mov_b32 v82, v28
	s_and_saveexec_b32 s23, s2
; %bb.848:                              ;   in Loop: Header=BB413_13 Depth=1
	v_clz_i32_u32_e32 v82, v28
	s_delay_alu instid0(VALU_DEP_1) | instskip(NEXT) | instid1(VALU_DEP_1)
	v_min_u32_e32 v125, 32, v82
	v_subrev_nc_u32_e32 v82, 28, v125
	v_sub_nc_u32_e32 v125, 29, v125
	s_delay_alu instid0(VALU_DEP_2) | instskip(NEXT) | instid1(VALU_DEP_1)
	v_lshlrev_b64 v[82:83], v82, v[28:29]
	v_and_b32_e32 v82, 7, v82
; %bb.849:                              ;   in Loop: Header=BB413_13 Depth=1
	s_or_b32 exec_lo, exec_lo, s23
	v_lshlrev_b32_e32 v28, 16, v127
	s_delay_alu instid0(VALU_DEP_2) | instskip(SKIP_1) | instid1(VALU_DEP_3)
	v_lshlrev_b32_e32 v82, 20, v82
	v_lshl_add_u32 v83, v125, 23, 0x3c000000
	v_and_b32_e32 v28, 0x80000000, v28
	s_delay_alu instid0(VALU_DEP_1)
	v_or3_b32 v28, v82, v28, v83
.LBB413_850:                            ;   in Loop: Header=BB413_13 Depth=1
	s_or_b32 exec_lo, exec_lo, s22
.LBB413_851:                            ;   in Loop: Header=BB413_13 Depth=1
	s_delay_alu instid0(SALU_CYCLE_1)
	s_or_b32 exec_lo, exec_lo, s21
.LBB413_852:                            ;   in Loop: Header=BB413_13 Depth=1
	s_delay_alu instid0(SALU_CYCLE_1) | instskip(NEXT) | instid1(VALU_DEP_1)
	s_or_b32 exec_lo, exec_lo, s20
	v_mul_f32_e32 v28, v144, v28
                                        ; implicit-def: $vgpr125
	s_delay_alu instid0(VALU_DEP_1) | instskip(NEXT) | instid1(VALU_DEP_1)
	v_and_b32_e32 v82, 0x7f800000, v28
	v_cmp_ne_u32_e64 s2, 0x7f800000, v82
	s_delay_alu instid0(VALU_DEP_1) | instskip(NEXT) | instid1(SALU_CYCLE_1)
	s_and_saveexec_b32 s20, s2
	s_xor_b32 s2, exec_lo, s20
; %bb.853:                              ;   in Loop: Header=BB413_13 Depth=1
	v_bfe_u32 v82, v28, 16, 1
	s_delay_alu instid0(VALU_DEP_1)
	v_add3_u32 v125, v28, v82, 0x7fff
                                        ; implicit-def: $vgpr28
; %bb.854:                              ;   in Loop: Header=BB413_13 Depth=1
	s_and_not1_saveexec_b32 s20, s2
; %bb.855:                              ;   in Loop: Header=BB413_13 Depth=1
	v_and_b32_e32 v82, 0xffff, v28
	v_or_b32_e32 v83, 0x10000, v28
	s_delay_alu instid0(VALU_DEP_2) | instskip(NEXT) | instid1(VALU_DEP_1)
	v_cmp_eq_u32_e64 s2, 0, v82
	v_cndmask_b32_e64 v125, v83, v28, s2
; %bb.856:                              ;   in Loop: Header=BB413_13 Depth=1
	s_or_b32 exec_lo, exec_lo, s20
	v_lshrrev_b32_e32 v126, 16, v127
	v_mov_b32_e32 v28, 0
	s_mov_b32 s20, exec_lo
	s_delay_alu instid0(VALU_DEP_2) | instskip(NEXT) | instid1(VALU_DEP_1)
	v_and_b32_e32 v82, 0xff, v126
	v_cmpx_ne_u16_e32 0, v82
	s_cbranch_execz .LBB413_864
; %bb.857:                              ;   in Loop: Header=BB413_13 Depth=1
	v_bfrev_b32_e32 v28, 1
	s_mov_b32 s21, exec_lo
	v_cmpx_ne_u16_e32 0x80, v82
	s_cbranch_execz .LBB413_863
; %bb.858:                              ;   in Loop: Header=BB413_13 Depth=1
	v_bfe_u32 v82, v127, 16, 7
	v_mov_b32_e32 v28, 0x7f800001
	s_mov_b32 s22, exec_lo
	s_delay_alu instid0(VALU_DEP_2)
	v_cmpx_ne_u32_e32 0x7f, v82
	s_cbranch_execz .LBB413_862
; %bb.859:                              ;   in Loop: Header=BB413_13 Depth=1
	v_and_b32_e32 v28, 7, v126
	v_lshrrev_b32_e32 v136, 3, v82
	v_cmp_gt_u32_e64 s2, 8, v82
	s_delay_alu instid0(VALU_DEP_3) | instskip(NEXT) | instid1(VALU_DEP_2)
	v_dual_mov_b32 v83, v29 :: v_dual_mov_b32 v82, v28
	s_and_saveexec_b32 s23, s2
; %bb.860:                              ;   in Loop: Header=BB413_13 Depth=1
	v_clz_i32_u32_e32 v82, v28
	s_delay_alu instid0(VALU_DEP_1) | instskip(NEXT) | instid1(VALU_DEP_1)
	v_min_u32_e32 v136, 32, v82
	v_subrev_nc_u32_e32 v82, 28, v136
	v_sub_nc_u32_e32 v136, 29, v136
	s_delay_alu instid0(VALU_DEP_2) | instskip(NEXT) | instid1(VALU_DEP_1)
	v_lshlrev_b64 v[82:83], v82, v[28:29]
	v_and_b32_e32 v82, 7, v82
; %bb.861:                              ;   in Loop: Header=BB413_13 Depth=1
	s_or_b32 exec_lo, exec_lo, s23
	v_lshlrev_b32_e32 v28, 24, v126
	s_delay_alu instid0(VALU_DEP_2) | instskip(SKIP_1) | instid1(VALU_DEP_3)
	v_lshlrev_b32_e32 v82, 20, v82
	v_lshl_add_u32 v83, v136, 23, 0x3c000000
	v_and_b32_e32 v28, 0x80000000, v28
	s_delay_alu instid0(VALU_DEP_1)
	v_or3_b32 v28, v82, v28, v83
.LBB413_862:                            ;   in Loop: Header=BB413_13 Depth=1
	s_or_b32 exec_lo, exec_lo, s22
.LBB413_863:                            ;   in Loop: Header=BB413_13 Depth=1
	s_delay_alu instid0(SALU_CYCLE_1)
	s_or_b32 exec_lo, exec_lo, s21
.LBB413_864:                            ;   in Loop: Header=BB413_13 Depth=1
	s_delay_alu instid0(SALU_CYCLE_1) | instskip(NEXT) | instid1(VALU_DEP_1)
	s_or_b32 exec_lo, exec_lo, s20
	v_mul_f32_e32 v28, v144, v28
                                        ; implicit-def: $vgpr126
	s_delay_alu instid0(VALU_DEP_1) | instskip(NEXT) | instid1(VALU_DEP_1)
	v_and_b32_e32 v82, 0x7f800000, v28
	v_cmp_ne_u32_e64 s2, 0x7f800000, v82
	s_delay_alu instid0(VALU_DEP_1) | instskip(NEXT) | instid1(SALU_CYCLE_1)
	s_and_saveexec_b32 s20, s2
	s_xor_b32 s2, exec_lo, s20
; %bb.865:                              ;   in Loop: Header=BB413_13 Depth=1
	v_bfe_u32 v82, v28, 16, 1
	s_delay_alu instid0(VALU_DEP_1)
	v_add3_u32 v126, v28, v82, 0x7fff
                                        ; implicit-def: $vgpr28
; %bb.866:                              ;   in Loop: Header=BB413_13 Depth=1
	s_and_not1_saveexec_b32 s20, s2
; %bb.867:                              ;   in Loop: Header=BB413_13 Depth=1
	v_and_b32_e32 v82, 0xffff, v28
	v_or_b32_e32 v83, 0x10000, v28
	s_delay_alu instid0(VALU_DEP_2) | instskip(NEXT) | instid1(VALU_DEP_1)
	v_cmp_eq_u32_e64 s2, 0, v82
	v_cndmask_b32_e64 v126, v83, v28, s2
; %bb.868:                              ;   in Loop: Header=BB413_13 Depth=1
	s_or_b32 exec_lo, exec_lo, s20
	v_mov_b32_e32 v28, 0
	s_mov_b32 s20, exec_lo
	v_cmpx_lt_u32_e32 0xffffff, v127
	s_cbranch_execz .LBB413_876
; %bb.869:                              ;   in Loop: Header=BB413_13 Depth=1
	v_lshrrev_b32_e32 v136, 24, v127
	v_bfrev_b32_e32 v28, 1
	s_mov_b32 s21, exec_lo
	s_delay_alu instid0(VALU_DEP_2)
	v_cmpx_ne_u32_e32 0x80, v136
	s_cbranch_execz .LBB413_875
; %bb.870:                              ;   in Loop: Header=BB413_13 Depth=1
	v_bfe_u32 v82, v127, 24, 7
	v_mov_b32_e32 v28, 0x7f800001
	s_mov_b32 s22, exec_lo
	s_delay_alu instid0(VALU_DEP_2)
	v_cmpx_ne_u32_e32 0x7f, v82
	s_cbranch_execz .LBB413_874
; %bb.871:                              ;   in Loop: Header=BB413_13 Depth=1
	v_and_b32_e32 v28, 7, v136
	v_lshrrev_b32_e32 v127, 3, v82
	v_cmp_gt_u32_e64 s2, 8, v82
	s_delay_alu instid0(VALU_DEP_3) | instskip(NEXT) | instid1(VALU_DEP_2)
	v_dual_mov_b32 v83, v29 :: v_dual_mov_b32 v82, v28
	s_and_saveexec_b32 s23, s2
; %bb.872:                              ;   in Loop: Header=BB413_13 Depth=1
	v_clz_i32_u32_e32 v82, v28
	s_delay_alu instid0(VALU_DEP_1) | instskip(NEXT) | instid1(VALU_DEP_1)
	v_min_u32_e32 v127, 32, v82
	v_subrev_nc_u32_e32 v82, 28, v127
	v_sub_nc_u32_e32 v127, 29, v127
	s_delay_alu instid0(VALU_DEP_2) | instskip(NEXT) | instid1(VALU_DEP_1)
	v_lshlrev_b64 v[82:83], v82, v[28:29]
	v_and_b32_e32 v82, 7, v82
; %bb.873:                              ;   in Loop: Header=BB413_13 Depth=1
	s_or_b32 exec_lo, exec_lo, s23
	v_lshlrev_b32_e32 v28, 24, v136
	s_delay_alu instid0(VALU_DEP_2) | instskip(SKIP_1) | instid1(VALU_DEP_3)
	v_lshlrev_b32_e32 v82, 20, v82
	v_lshl_add_u32 v83, v127, 23, 0x3c000000
	v_and_b32_e32 v28, 0x80000000, v28
	s_delay_alu instid0(VALU_DEP_1)
	v_or3_b32 v28, v82, v28, v83
.LBB413_874:                            ;   in Loop: Header=BB413_13 Depth=1
	s_or_b32 exec_lo, exec_lo, s22
.LBB413_875:                            ;   in Loop: Header=BB413_13 Depth=1
	s_delay_alu instid0(SALU_CYCLE_1)
	s_or_b32 exec_lo, exec_lo, s21
.LBB413_876:                            ;   in Loop: Header=BB413_13 Depth=1
	s_delay_alu instid0(SALU_CYCLE_1) | instskip(NEXT) | instid1(VALU_DEP_1)
	s_or_b32 exec_lo, exec_lo, s20
	v_mul_f32_e32 v28, v144, v28
                                        ; implicit-def: $vgpr127
	s_delay_alu instid0(VALU_DEP_1) | instskip(NEXT) | instid1(VALU_DEP_1)
	v_and_b32_e32 v82, 0x7f800000, v28
	v_cmp_ne_u32_e64 s2, 0x7f800000, v82
	s_delay_alu instid0(VALU_DEP_1) | instskip(NEXT) | instid1(SALU_CYCLE_1)
	s_and_saveexec_b32 s20, s2
	s_xor_b32 s2, exec_lo, s20
; %bb.877:                              ;   in Loop: Header=BB413_13 Depth=1
	v_bfe_u32 v82, v28, 16, 1
	s_delay_alu instid0(VALU_DEP_1)
	v_add3_u32 v127, v28, v82, 0x7fff
                                        ; implicit-def: $vgpr28
; %bb.878:                              ;   in Loop: Header=BB413_13 Depth=1
	s_and_not1_saveexec_b32 s20, s2
; %bb.879:                              ;   in Loop: Header=BB413_13 Depth=1
	v_and_b32_e32 v82, 0xffff, v28
	v_or_b32_e32 v83, 0x10000, v28
	s_delay_alu instid0(VALU_DEP_2) | instskip(NEXT) | instid1(VALU_DEP_1)
	v_cmp_eq_u32_e64 s2, 0, v82
	v_cndmask_b32_e64 v127, v83, v28, s2
; %bb.880:                              ;   in Loop: Header=BB413_13 Depth=1
	s_or_b32 exec_lo, exec_lo, s20
	flat_load_b32 v139, v[80:81] offset:2304
	v_mov_b32_e32 v28, 0
	s_mov_b32 s20, exec_lo
	s_waitcnt vmcnt(0) lgkmcnt(0)
	v_and_b32_e32 v82, 0xff, v139
	s_delay_alu instid0(VALU_DEP_1)
	v_cmpx_ne_u16_e32 0, v82
	s_cbranch_execz .LBB413_888
; %bb.881:                              ;   in Loop: Header=BB413_13 Depth=1
	v_bfrev_b32_e32 v28, 1
	s_mov_b32 s21, exec_lo
	v_cmpx_ne_u16_e32 0x80, v82
	s_cbranch_execz .LBB413_887
; %bb.882:                              ;   in Loop: Header=BB413_13 Depth=1
	v_and_b32_e32 v82, 0x7f, v139
	v_mov_b32_e32 v28, 0x7f800001
	s_mov_b32 s22, exec_lo
	s_delay_alu instid0(VALU_DEP_2)
	v_cmpx_ne_u32_e32 0x7f, v82
	s_cbranch_execz .LBB413_886
; %bb.883:                              ;   in Loop: Header=BB413_13 Depth=1
	v_and_b32_e32 v28, 7, v139
	v_lshrrev_b32_e32 v136, 3, v82
	v_cmp_gt_u32_e64 s2, 8, v82
	s_delay_alu instid0(VALU_DEP_3) | instskip(NEXT) | instid1(VALU_DEP_2)
	v_dual_mov_b32 v83, v29 :: v_dual_mov_b32 v82, v28
	s_and_saveexec_b32 s23, s2
; %bb.884:                              ;   in Loop: Header=BB413_13 Depth=1
	v_clz_i32_u32_e32 v82, v28
	s_delay_alu instid0(VALU_DEP_1) | instskip(NEXT) | instid1(VALU_DEP_1)
	v_min_u32_e32 v136, 32, v82
	v_subrev_nc_u32_e32 v82, 28, v136
	v_sub_nc_u32_e32 v136, 29, v136
	s_delay_alu instid0(VALU_DEP_2) | instskip(NEXT) | instid1(VALU_DEP_1)
	v_lshlrev_b64 v[82:83], v82, v[28:29]
	v_and_b32_e32 v82, 7, v82
; %bb.885:                              ;   in Loop: Header=BB413_13 Depth=1
	s_or_b32 exec_lo, exec_lo, s23
	v_lshlrev_b32_e32 v28, 24, v139
	s_delay_alu instid0(VALU_DEP_2) | instskip(SKIP_1) | instid1(VALU_DEP_3)
	v_lshlrev_b32_e32 v82, 20, v82
	v_lshl_add_u32 v83, v136, 23, 0x3c000000
	v_and_b32_e32 v28, 0x80000000, v28
	s_delay_alu instid0(VALU_DEP_1)
	v_or3_b32 v28, v82, v28, v83
.LBB413_886:                            ;   in Loop: Header=BB413_13 Depth=1
	s_or_b32 exec_lo, exec_lo, s22
.LBB413_887:                            ;   in Loop: Header=BB413_13 Depth=1
	s_delay_alu instid0(SALU_CYCLE_1)
	s_or_b32 exec_lo, exec_lo, s21
.LBB413_888:                            ;   in Loop: Header=BB413_13 Depth=1
	s_delay_alu instid0(SALU_CYCLE_1) | instskip(NEXT) | instid1(VALU_DEP_1)
	s_or_b32 exec_lo, exec_lo, s20
	v_mul_f32_e32 v28, v144, v28
                                        ; implicit-def: $vgpr136
	s_delay_alu instid0(VALU_DEP_1) | instskip(NEXT) | instid1(VALU_DEP_1)
	v_and_b32_e32 v82, 0x7f800000, v28
	v_cmp_ne_u32_e64 s2, 0x7f800000, v82
	s_delay_alu instid0(VALU_DEP_1) | instskip(NEXT) | instid1(SALU_CYCLE_1)
	s_and_saveexec_b32 s20, s2
	s_xor_b32 s2, exec_lo, s20
; %bb.889:                              ;   in Loop: Header=BB413_13 Depth=1
	v_bfe_u32 v82, v28, 16, 1
	s_delay_alu instid0(VALU_DEP_1)
	v_add3_u32 v136, v28, v82, 0x7fff
                                        ; implicit-def: $vgpr28
; %bb.890:                              ;   in Loop: Header=BB413_13 Depth=1
	s_and_not1_saveexec_b32 s20, s2
; %bb.891:                              ;   in Loop: Header=BB413_13 Depth=1
	v_and_b32_e32 v82, 0xffff, v28
	v_or_b32_e32 v83, 0x10000, v28
	s_delay_alu instid0(VALU_DEP_2) | instskip(NEXT) | instid1(VALU_DEP_1)
	v_cmp_eq_u32_e64 s2, 0, v82
	v_cndmask_b32_e64 v136, v83, v28, s2
; %bb.892:                              ;   in Loop: Header=BB413_13 Depth=1
	s_or_b32 exec_lo, exec_lo, s20
	v_lshrrev_b16 v82, 8, v139
	v_mov_b32_e32 v28, 0
	s_mov_b32 s20, exec_lo
	s_delay_alu instid0(VALU_DEP_2)
	v_cmpx_ne_u16_e32 0, v82
	s_cbranch_execz .LBB413_900
; %bb.893:                              ;   in Loop: Header=BB413_13 Depth=1
	v_bfrev_b32_e32 v28, 1
	s_mov_b32 s21, exec_lo
	v_cmpx_ne_u16_e32 0x80, v82
	s_cbranch_execz .LBB413_899
; %bb.894:                              ;   in Loop: Header=BB413_13 Depth=1
	v_and_b32_e32 v83, 0xffff, v82
	v_mov_b32_e32 v28, 0x7f800001
	s_mov_b32 s22, exec_lo
	s_delay_alu instid0(VALU_DEP_2) | instskip(NEXT) | instid1(VALU_DEP_1)
	v_and_b32_e32 v82, 0x7f, v83
	v_cmpx_ne_u32_e32 0x7f, v82
	s_cbranch_execz .LBB413_898
; %bb.895:                              ;   in Loop: Header=BB413_13 Depth=1
	v_and_b32_e32 v28, 7, v83
	v_lshrrev_b32_e32 v137, 3, v82
	v_cmp_gt_u32_e64 s2, 8, v82
	s_delay_alu instid0(VALU_DEP_3) | instskip(NEXT) | instid1(VALU_DEP_2)
	v_dual_mov_b32 v83, v29 :: v_dual_mov_b32 v82, v28
	s_and_saveexec_b32 s23, s2
; %bb.896:                              ;   in Loop: Header=BB413_13 Depth=1
	v_clz_i32_u32_e32 v82, v28
	s_delay_alu instid0(VALU_DEP_1) | instskip(NEXT) | instid1(VALU_DEP_1)
	v_min_u32_e32 v137, 32, v82
	v_subrev_nc_u32_e32 v82, 28, v137
	v_sub_nc_u32_e32 v137, 29, v137
	s_delay_alu instid0(VALU_DEP_2) | instskip(NEXT) | instid1(VALU_DEP_1)
	v_lshlrev_b64 v[82:83], v82, v[28:29]
	v_and_b32_e32 v82, 7, v82
; %bb.897:                              ;   in Loop: Header=BB413_13 Depth=1
	s_or_b32 exec_lo, exec_lo, s23
	v_lshlrev_b32_e32 v28, 16, v139
	s_delay_alu instid0(VALU_DEP_2) | instskip(SKIP_1) | instid1(VALU_DEP_3)
	v_lshlrev_b32_e32 v82, 20, v82
	v_lshl_add_u32 v83, v137, 23, 0x3c000000
	v_and_b32_e32 v28, 0x80000000, v28
	s_delay_alu instid0(VALU_DEP_1)
	v_or3_b32 v28, v82, v28, v83
.LBB413_898:                            ;   in Loop: Header=BB413_13 Depth=1
	s_or_b32 exec_lo, exec_lo, s22
.LBB413_899:                            ;   in Loop: Header=BB413_13 Depth=1
	s_delay_alu instid0(SALU_CYCLE_1)
	s_or_b32 exec_lo, exec_lo, s21
.LBB413_900:                            ;   in Loop: Header=BB413_13 Depth=1
	s_delay_alu instid0(SALU_CYCLE_1) | instskip(NEXT) | instid1(VALU_DEP_1)
	s_or_b32 exec_lo, exec_lo, s20
	v_mul_f32_e32 v28, v144, v28
                                        ; implicit-def: $vgpr137
	s_delay_alu instid0(VALU_DEP_1) | instskip(NEXT) | instid1(VALU_DEP_1)
	v_and_b32_e32 v82, 0x7f800000, v28
	v_cmp_ne_u32_e64 s2, 0x7f800000, v82
	s_delay_alu instid0(VALU_DEP_1) | instskip(NEXT) | instid1(SALU_CYCLE_1)
	s_and_saveexec_b32 s20, s2
	s_xor_b32 s2, exec_lo, s20
; %bb.901:                              ;   in Loop: Header=BB413_13 Depth=1
	v_bfe_u32 v82, v28, 16, 1
	s_delay_alu instid0(VALU_DEP_1)
	v_add3_u32 v137, v28, v82, 0x7fff
                                        ; implicit-def: $vgpr28
; %bb.902:                              ;   in Loop: Header=BB413_13 Depth=1
	s_and_not1_saveexec_b32 s20, s2
; %bb.903:                              ;   in Loop: Header=BB413_13 Depth=1
	v_and_b32_e32 v82, 0xffff, v28
	v_or_b32_e32 v83, 0x10000, v28
	s_delay_alu instid0(VALU_DEP_2) | instskip(NEXT) | instid1(VALU_DEP_1)
	v_cmp_eq_u32_e64 s2, 0, v82
	v_cndmask_b32_e64 v137, v83, v28, s2
; %bb.904:                              ;   in Loop: Header=BB413_13 Depth=1
	s_or_b32 exec_lo, exec_lo, s20
	v_lshrrev_b32_e32 v138, 16, v139
	v_mov_b32_e32 v28, 0
	s_mov_b32 s20, exec_lo
	s_delay_alu instid0(VALU_DEP_2) | instskip(NEXT) | instid1(VALU_DEP_1)
	v_and_b32_e32 v82, 0xff, v138
	v_cmpx_ne_u16_e32 0, v82
	s_cbranch_execz .LBB413_912
; %bb.905:                              ;   in Loop: Header=BB413_13 Depth=1
	v_bfrev_b32_e32 v28, 1
	s_mov_b32 s21, exec_lo
	v_cmpx_ne_u16_e32 0x80, v82
	s_cbranch_execz .LBB413_911
; %bb.906:                              ;   in Loop: Header=BB413_13 Depth=1
	v_bfe_u32 v82, v139, 16, 7
	v_mov_b32_e32 v28, 0x7f800001
	s_mov_b32 s22, exec_lo
	s_delay_alu instid0(VALU_DEP_2)
	v_cmpx_ne_u32_e32 0x7f, v82
	s_cbranch_execz .LBB413_910
; %bb.907:                              ;   in Loop: Header=BB413_13 Depth=1
	v_and_b32_e32 v28, 7, v138
	v_lshrrev_b32_e32 v140, 3, v82
	v_cmp_gt_u32_e64 s2, 8, v82
	s_delay_alu instid0(VALU_DEP_3) | instskip(NEXT) | instid1(VALU_DEP_2)
	v_dual_mov_b32 v83, v29 :: v_dual_mov_b32 v82, v28
	s_and_saveexec_b32 s23, s2
; %bb.908:                              ;   in Loop: Header=BB413_13 Depth=1
	v_clz_i32_u32_e32 v82, v28
	s_delay_alu instid0(VALU_DEP_1) | instskip(NEXT) | instid1(VALU_DEP_1)
	v_min_u32_e32 v140, 32, v82
	v_subrev_nc_u32_e32 v82, 28, v140
	v_sub_nc_u32_e32 v140, 29, v140
	s_delay_alu instid0(VALU_DEP_2) | instskip(NEXT) | instid1(VALU_DEP_1)
	v_lshlrev_b64 v[82:83], v82, v[28:29]
	v_and_b32_e32 v82, 7, v82
; %bb.909:                              ;   in Loop: Header=BB413_13 Depth=1
	s_or_b32 exec_lo, exec_lo, s23
	v_lshlrev_b32_e32 v28, 24, v138
	s_delay_alu instid0(VALU_DEP_2) | instskip(SKIP_1) | instid1(VALU_DEP_3)
	v_lshlrev_b32_e32 v82, 20, v82
	v_lshl_add_u32 v83, v140, 23, 0x3c000000
	v_and_b32_e32 v28, 0x80000000, v28
	s_delay_alu instid0(VALU_DEP_1)
	v_or3_b32 v28, v82, v28, v83
.LBB413_910:                            ;   in Loop: Header=BB413_13 Depth=1
	s_or_b32 exec_lo, exec_lo, s22
.LBB413_911:                            ;   in Loop: Header=BB413_13 Depth=1
	s_delay_alu instid0(SALU_CYCLE_1)
	s_or_b32 exec_lo, exec_lo, s21
.LBB413_912:                            ;   in Loop: Header=BB413_13 Depth=1
	s_delay_alu instid0(SALU_CYCLE_1) | instskip(NEXT) | instid1(VALU_DEP_1)
	s_or_b32 exec_lo, exec_lo, s20
	v_mul_f32_e32 v28, v144, v28
                                        ; implicit-def: $vgpr138
	s_delay_alu instid0(VALU_DEP_1) | instskip(NEXT) | instid1(VALU_DEP_1)
	v_and_b32_e32 v82, 0x7f800000, v28
	v_cmp_ne_u32_e64 s2, 0x7f800000, v82
	s_delay_alu instid0(VALU_DEP_1) | instskip(NEXT) | instid1(SALU_CYCLE_1)
	s_and_saveexec_b32 s20, s2
	s_xor_b32 s2, exec_lo, s20
; %bb.913:                              ;   in Loop: Header=BB413_13 Depth=1
	v_bfe_u32 v82, v28, 16, 1
	s_delay_alu instid0(VALU_DEP_1)
	v_add3_u32 v138, v28, v82, 0x7fff
                                        ; implicit-def: $vgpr28
; %bb.914:                              ;   in Loop: Header=BB413_13 Depth=1
	s_and_not1_saveexec_b32 s20, s2
; %bb.915:                              ;   in Loop: Header=BB413_13 Depth=1
	v_and_b32_e32 v82, 0xffff, v28
	v_or_b32_e32 v83, 0x10000, v28
	s_delay_alu instid0(VALU_DEP_2) | instskip(NEXT) | instid1(VALU_DEP_1)
	v_cmp_eq_u32_e64 s2, 0, v82
	v_cndmask_b32_e64 v138, v83, v28, s2
; %bb.916:                              ;   in Loop: Header=BB413_13 Depth=1
	s_or_b32 exec_lo, exec_lo, s20
	v_mov_b32_e32 v28, 0
	s_mov_b32 s20, exec_lo
	v_cmpx_lt_u32_e32 0xffffff, v139
	s_cbranch_execz .LBB413_924
; %bb.917:                              ;   in Loop: Header=BB413_13 Depth=1
	v_lshrrev_b32_e32 v140, 24, v139
	v_bfrev_b32_e32 v28, 1
	s_mov_b32 s21, exec_lo
	s_delay_alu instid0(VALU_DEP_2)
	v_cmpx_ne_u32_e32 0x80, v140
	s_cbranch_execz .LBB413_923
; %bb.918:                              ;   in Loop: Header=BB413_13 Depth=1
	v_bfe_u32 v82, v139, 24, 7
	v_mov_b32_e32 v28, 0x7f800001
	s_mov_b32 s22, exec_lo
	s_delay_alu instid0(VALU_DEP_2)
	v_cmpx_ne_u32_e32 0x7f, v82
	s_cbranch_execz .LBB413_922
; %bb.919:                              ;   in Loop: Header=BB413_13 Depth=1
	v_and_b32_e32 v28, 7, v140
	v_lshrrev_b32_e32 v139, 3, v82
	v_cmp_gt_u32_e64 s2, 8, v82
	s_delay_alu instid0(VALU_DEP_3) | instskip(NEXT) | instid1(VALU_DEP_2)
	v_dual_mov_b32 v83, v29 :: v_dual_mov_b32 v82, v28
	s_and_saveexec_b32 s23, s2
; %bb.920:                              ;   in Loop: Header=BB413_13 Depth=1
	v_clz_i32_u32_e32 v82, v28
	s_delay_alu instid0(VALU_DEP_1) | instskip(NEXT) | instid1(VALU_DEP_1)
	v_min_u32_e32 v139, 32, v82
	v_subrev_nc_u32_e32 v82, 28, v139
	v_sub_nc_u32_e32 v139, 29, v139
	s_delay_alu instid0(VALU_DEP_2) | instskip(NEXT) | instid1(VALU_DEP_1)
	v_lshlrev_b64 v[82:83], v82, v[28:29]
	v_and_b32_e32 v82, 7, v82
; %bb.921:                              ;   in Loop: Header=BB413_13 Depth=1
	s_or_b32 exec_lo, exec_lo, s23
	v_lshlrev_b32_e32 v28, 24, v140
	s_delay_alu instid0(VALU_DEP_2) | instskip(SKIP_1) | instid1(VALU_DEP_3)
	v_lshlrev_b32_e32 v82, 20, v82
	v_lshl_add_u32 v83, v139, 23, 0x3c000000
	v_and_b32_e32 v28, 0x80000000, v28
	s_delay_alu instid0(VALU_DEP_1)
	v_or3_b32 v28, v82, v28, v83
.LBB413_922:                            ;   in Loop: Header=BB413_13 Depth=1
	s_or_b32 exec_lo, exec_lo, s22
.LBB413_923:                            ;   in Loop: Header=BB413_13 Depth=1
	s_delay_alu instid0(SALU_CYCLE_1)
	s_or_b32 exec_lo, exec_lo, s21
.LBB413_924:                            ;   in Loop: Header=BB413_13 Depth=1
	s_delay_alu instid0(SALU_CYCLE_1) | instskip(NEXT) | instid1(VALU_DEP_1)
	s_or_b32 exec_lo, exec_lo, s20
	v_mul_f32_e32 v28, v144, v28
                                        ; implicit-def: $vgpr139
	s_delay_alu instid0(VALU_DEP_1) | instskip(NEXT) | instid1(VALU_DEP_1)
	v_and_b32_e32 v82, 0x7f800000, v28
	v_cmp_ne_u32_e64 s2, 0x7f800000, v82
	s_delay_alu instid0(VALU_DEP_1) | instskip(NEXT) | instid1(SALU_CYCLE_1)
	s_and_saveexec_b32 s20, s2
	s_xor_b32 s2, exec_lo, s20
; %bb.925:                              ;   in Loop: Header=BB413_13 Depth=1
	v_bfe_u32 v82, v28, 16, 1
	s_delay_alu instid0(VALU_DEP_1)
	v_add3_u32 v139, v28, v82, 0x7fff
                                        ; implicit-def: $vgpr28
; %bb.926:                              ;   in Loop: Header=BB413_13 Depth=1
	s_and_not1_saveexec_b32 s20, s2
; %bb.927:                              ;   in Loop: Header=BB413_13 Depth=1
	v_and_b32_e32 v82, 0xffff, v28
	v_or_b32_e32 v83, 0x10000, v28
	s_delay_alu instid0(VALU_DEP_2) | instskip(NEXT) | instid1(VALU_DEP_1)
	v_cmp_eq_u32_e64 s2, 0, v82
	v_cndmask_b32_e64 v139, v83, v28, s2
; %bb.928:                              ;   in Loop: Header=BB413_13 Depth=1
	s_or_b32 exec_lo, exec_lo, s20
	flat_load_b32 v143, v[80:81] offset:2312
	v_mov_b32_e32 v28, 0
	s_mov_b32 s20, exec_lo
	s_waitcnt vmcnt(0) lgkmcnt(0)
	v_and_b32_e32 v82, 0xff, v143
	s_delay_alu instid0(VALU_DEP_1)
	v_cmpx_ne_u16_e32 0, v82
	s_cbranch_execz .LBB413_936
; %bb.929:                              ;   in Loop: Header=BB413_13 Depth=1
	v_bfrev_b32_e32 v28, 1
	s_mov_b32 s21, exec_lo
	v_cmpx_ne_u16_e32 0x80, v82
	s_cbranch_execz .LBB413_935
; %bb.930:                              ;   in Loop: Header=BB413_13 Depth=1
	v_and_b32_e32 v82, 0x7f, v143
	v_mov_b32_e32 v28, 0x7f800001
	s_mov_b32 s22, exec_lo
	s_delay_alu instid0(VALU_DEP_2)
	v_cmpx_ne_u32_e32 0x7f, v82
	s_cbranch_execz .LBB413_934
; %bb.931:                              ;   in Loop: Header=BB413_13 Depth=1
	v_and_b32_e32 v28, 7, v143
	v_lshrrev_b32_e32 v140, 3, v82
	v_cmp_gt_u32_e64 s2, 8, v82
	s_delay_alu instid0(VALU_DEP_3) | instskip(NEXT) | instid1(VALU_DEP_2)
	v_dual_mov_b32 v83, v29 :: v_dual_mov_b32 v82, v28
	s_and_saveexec_b32 s23, s2
; %bb.932:                              ;   in Loop: Header=BB413_13 Depth=1
	v_clz_i32_u32_e32 v82, v28
	s_delay_alu instid0(VALU_DEP_1) | instskip(NEXT) | instid1(VALU_DEP_1)
	v_min_u32_e32 v140, 32, v82
	v_subrev_nc_u32_e32 v82, 28, v140
	v_sub_nc_u32_e32 v140, 29, v140
	s_delay_alu instid0(VALU_DEP_2) | instskip(NEXT) | instid1(VALU_DEP_1)
	v_lshlrev_b64 v[82:83], v82, v[28:29]
	v_and_b32_e32 v82, 7, v82
; %bb.933:                              ;   in Loop: Header=BB413_13 Depth=1
	s_or_b32 exec_lo, exec_lo, s23
	v_lshlrev_b32_e32 v28, 24, v143
	s_delay_alu instid0(VALU_DEP_2) | instskip(SKIP_1) | instid1(VALU_DEP_3)
	v_lshlrev_b32_e32 v82, 20, v82
	v_lshl_add_u32 v83, v140, 23, 0x3c000000
	v_and_b32_e32 v28, 0x80000000, v28
	s_delay_alu instid0(VALU_DEP_1)
	v_or3_b32 v28, v82, v28, v83
.LBB413_934:                            ;   in Loop: Header=BB413_13 Depth=1
	s_or_b32 exec_lo, exec_lo, s22
.LBB413_935:                            ;   in Loop: Header=BB413_13 Depth=1
	s_delay_alu instid0(SALU_CYCLE_1)
	s_or_b32 exec_lo, exec_lo, s21
.LBB413_936:                            ;   in Loop: Header=BB413_13 Depth=1
	s_delay_alu instid0(SALU_CYCLE_1) | instskip(NEXT) | instid1(VALU_DEP_1)
	s_or_b32 exec_lo, exec_lo, s20
	v_mul_f32_e32 v28, v144, v28
                                        ; implicit-def: $vgpr140
	s_delay_alu instid0(VALU_DEP_1) | instskip(NEXT) | instid1(VALU_DEP_1)
	v_and_b32_e32 v82, 0x7f800000, v28
	v_cmp_ne_u32_e64 s2, 0x7f800000, v82
	s_delay_alu instid0(VALU_DEP_1) | instskip(NEXT) | instid1(SALU_CYCLE_1)
	s_and_saveexec_b32 s20, s2
	s_xor_b32 s2, exec_lo, s20
; %bb.937:                              ;   in Loop: Header=BB413_13 Depth=1
	v_bfe_u32 v82, v28, 16, 1
	s_delay_alu instid0(VALU_DEP_1)
	v_add3_u32 v140, v28, v82, 0x7fff
                                        ; implicit-def: $vgpr28
; %bb.938:                              ;   in Loop: Header=BB413_13 Depth=1
	s_and_not1_saveexec_b32 s20, s2
; %bb.939:                              ;   in Loop: Header=BB413_13 Depth=1
	v_and_b32_e32 v82, 0xffff, v28
	v_or_b32_e32 v83, 0x10000, v28
	s_delay_alu instid0(VALU_DEP_2) | instskip(NEXT) | instid1(VALU_DEP_1)
	v_cmp_eq_u32_e64 s2, 0, v82
	v_cndmask_b32_e64 v140, v83, v28, s2
; %bb.940:                              ;   in Loop: Header=BB413_13 Depth=1
	s_or_b32 exec_lo, exec_lo, s20
	v_lshrrev_b16 v82, 8, v143
	v_mov_b32_e32 v28, 0
	s_mov_b32 s20, exec_lo
	s_delay_alu instid0(VALU_DEP_2)
	v_cmpx_ne_u16_e32 0, v82
	s_cbranch_execz .LBB413_948
; %bb.941:                              ;   in Loop: Header=BB413_13 Depth=1
	v_bfrev_b32_e32 v28, 1
	s_mov_b32 s21, exec_lo
	v_cmpx_ne_u16_e32 0x80, v82
	s_cbranch_execz .LBB413_947
; %bb.942:                              ;   in Loop: Header=BB413_13 Depth=1
	v_and_b32_e32 v83, 0xffff, v82
	v_mov_b32_e32 v28, 0x7f800001
	s_mov_b32 s22, exec_lo
	s_delay_alu instid0(VALU_DEP_2) | instskip(NEXT) | instid1(VALU_DEP_1)
	v_and_b32_e32 v82, 0x7f, v83
	v_cmpx_ne_u32_e32 0x7f, v82
	s_cbranch_execz .LBB413_946
; %bb.943:                              ;   in Loop: Header=BB413_13 Depth=1
	v_and_b32_e32 v28, 7, v83
	v_lshrrev_b32_e32 v141, 3, v82
	v_cmp_gt_u32_e64 s2, 8, v82
	s_delay_alu instid0(VALU_DEP_3) | instskip(NEXT) | instid1(VALU_DEP_2)
	v_dual_mov_b32 v83, v29 :: v_dual_mov_b32 v82, v28
	s_and_saveexec_b32 s23, s2
; %bb.944:                              ;   in Loop: Header=BB413_13 Depth=1
	v_clz_i32_u32_e32 v82, v28
	s_delay_alu instid0(VALU_DEP_1) | instskip(NEXT) | instid1(VALU_DEP_1)
	v_min_u32_e32 v141, 32, v82
	v_subrev_nc_u32_e32 v82, 28, v141
	v_sub_nc_u32_e32 v141, 29, v141
	s_delay_alu instid0(VALU_DEP_2) | instskip(NEXT) | instid1(VALU_DEP_1)
	v_lshlrev_b64 v[82:83], v82, v[28:29]
	v_and_b32_e32 v82, 7, v82
; %bb.945:                              ;   in Loop: Header=BB413_13 Depth=1
	s_or_b32 exec_lo, exec_lo, s23
	v_lshlrev_b32_e32 v28, 16, v143
	s_delay_alu instid0(VALU_DEP_2) | instskip(SKIP_1) | instid1(VALU_DEP_3)
	v_lshlrev_b32_e32 v82, 20, v82
	v_lshl_add_u32 v83, v141, 23, 0x3c000000
	v_and_b32_e32 v28, 0x80000000, v28
	s_delay_alu instid0(VALU_DEP_1)
	v_or3_b32 v28, v82, v28, v83
.LBB413_946:                            ;   in Loop: Header=BB413_13 Depth=1
	s_or_b32 exec_lo, exec_lo, s22
.LBB413_947:                            ;   in Loop: Header=BB413_13 Depth=1
	s_delay_alu instid0(SALU_CYCLE_1)
	s_or_b32 exec_lo, exec_lo, s21
.LBB413_948:                            ;   in Loop: Header=BB413_13 Depth=1
	s_delay_alu instid0(SALU_CYCLE_1) | instskip(NEXT) | instid1(VALU_DEP_1)
	s_or_b32 exec_lo, exec_lo, s20
	v_mul_f32_e32 v28, v144, v28
                                        ; implicit-def: $vgpr141
	s_delay_alu instid0(VALU_DEP_1) | instskip(NEXT) | instid1(VALU_DEP_1)
	v_and_b32_e32 v82, 0x7f800000, v28
	v_cmp_ne_u32_e64 s2, 0x7f800000, v82
	s_delay_alu instid0(VALU_DEP_1) | instskip(NEXT) | instid1(SALU_CYCLE_1)
	s_and_saveexec_b32 s20, s2
	s_xor_b32 s2, exec_lo, s20
; %bb.949:                              ;   in Loop: Header=BB413_13 Depth=1
	v_bfe_u32 v82, v28, 16, 1
	s_delay_alu instid0(VALU_DEP_1)
	v_add3_u32 v141, v28, v82, 0x7fff
                                        ; implicit-def: $vgpr28
; %bb.950:                              ;   in Loop: Header=BB413_13 Depth=1
	s_and_not1_saveexec_b32 s20, s2
; %bb.951:                              ;   in Loop: Header=BB413_13 Depth=1
	v_and_b32_e32 v82, 0xffff, v28
	v_or_b32_e32 v83, 0x10000, v28
	s_delay_alu instid0(VALU_DEP_2) | instskip(NEXT) | instid1(VALU_DEP_1)
	v_cmp_eq_u32_e64 s2, 0, v82
	v_cndmask_b32_e64 v141, v83, v28, s2
; %bb.952:                              ;   in Loop: Header=BB413_13 Depth=1
	s_or_b32 exec_lo, exec_lo, s20
	v_lshrrev_b32_e32 v142, 16, v143
	v_mov_b32_e32 v28, 0
	s_mov_b32 s20, exec_lo
	s_delay_alu instid0(VALU_DEP_2) | instskip(NEXT) | instid1(VALU_DEP_1)
	v_and_b32_e32 v82, 0xff, v142
	v_cmpx_ne_u16_e32 0, v82
	s_cbranch_execz .LBB413_960
; %bb.953:                              ;   in Loop: Header=BB413_13 Depth=1
	v_bfrev_b32_e32 v28, 1
	s_mov_b32 s21, exec_lo
	v_cmpx_ne_u16_e32 0x80, v82
	s_cbranch_execz .LBB413_959
; %bb.954:                              ;   in Loop: Header=BB413_13 Depth=1
	v_bfe_u32 v82, v143, 16, 7
	v_mov_b32_e32 v28, 0x7f800001
	s_mov_b32 s22, exec_lo
	s_delay_alu instid0(VALU_DEP_2)
	v_cmpx_ne_u32_e32 0x7f, v82
	s_cbranch_execz .LBB413_958
; %bb.955:                              ;   in Loop: Header=BB413_13 Depth=1
	v_and_b32_e32 v28, 7, v142
	v_lshrrev_b32_e32 v152, 3, v82
	v_cmp_gt_u32_e64 s2, 8, v82
	s_delay_alu instid0(VALU_DEP_3) | instskip(NEXT) | instid1(VALU_DEP_2)
	v_dual_mov_b32 v83, v29 :: v_dual_mov_b32 v82, v28
	s_and_saveexec_b32 s23, s2
; %bb.956:                              ;   in Loop: Header=BB413_13 Depth=1
	v_clz_i32_u32_e32 v82, v28
	s_delay_alu instid0(VALU_DEP_1) | instskip(NEXT) | instid1(VALU_DEP_1)
	v_min_u32_e32 v152, 32, v82
	v_subrev_nc_u32_e32 v82, 28, v152
	v_sub_nc_u32_e32 v152, 29, v152
	s_delay_alu instid0(VALU_DEP_2) | instskip(NEXT) | instid1(VALU_DEP_1)
	v_lshlrev_b64 v[82:83], v82, v[28:29]
	v_and_b32_e32 v82, 7, v82
; %bb.957:                              ;   in Loop: Header=BB413_13 Depth=1
	s_or_b32 exec_lo, exec_lo, s23
	v_lshlrev_b32_e32 v28, 24, v142
	s_delay_alu instid0(VALU_DEP_2) | instskip(SKIP_1) | instid1(VALU_DEP_3)
	v_lshlrev_b32_e32 v82, 20, v82
	v_lshl_add_u32 v83, v152, 23, 0x3c000000
	v_and_b32_e32 v28, 0x80000000, v28
	s_delay_alu instid0(VALU_DEP_1)
	v_or3_b32 v28, v82, v28, v83
.LBB413_958:                            ;   in Loop: Header=BB413_13 Depth=1
	s_or_b32 exec_lo, exec_lo, s22
.LBB413_959:                            ;   in Loop: Header=BB413_13 Depth=1
	s_delay_alu instid0(SALU_CYCLE_1)
	s_or_b32 exec_lo, exec_lo, s21
.LBB413_960:                            ;   in Loop: Header=BB413_13 Depth=1
	s_delay_alu instid0(SALU_CYCLE_1) | instskip(NEXT) | instid1(VALU_DEP_1)
	s_or_b32 exec_lo, exec_lo, s20
	v_mul_f32_e32 v28, v144, v28
                                        ; implicit-def: $vgpr142
	s_delay_alu instid0(VALU_DEP_1) | instskip(NEXT) | instid1(VALU_DEP_1)
	v_and_b32_e32 v82, 0x7f800000, v28
	v_cmp_ne_u32_e64 s2, 0x7f800000, v82
	s_delay_alu instid0(VALU_DEP_1) | instskip(NEXT) | instid1(SALU_CYCLE_1)
	s_and_saveexec_b32 s20, s2
	s_xor_b32 s2, exec_lo, s20
; %bb.961:                              ;   in Loop: Header=BB413_13 Depth=1
	v_bfe_u32 v82, v28, 16, 1
	s_delay_alu instid0(VALU_DEP_1)
	v_add3_u32 v142, v28, v82, 0x7fff
                                        ; implicit-def: $vgpr28
; %bb.962:                              ;   in Loop: Header=BB413_13 Depth=1
	s_and_not1_saveexec_b32 s20, s2
; %bb.963:                              ;   in Loop: Header=BB413_13 Depth=1
	v_and_b32_e32 v82, 0xffff, v28
	v_or_b32_e32 v83, 0x10000, v28
	s_delay_alu instid0(VALU_DEP_2) | instskip(NEXT) | instid1(VALU_DEP_1)
	v_cmp_eq_u32_e64 s2, 0, v82
	v_cndmask_b32_e64 v142, v83, v28, s2
; %bb.964:                              ;   in Loop: Header=BB413_13 Depth=1
	s_or_b32 exec_lo, exec_lo, s20
	v_mov_b32_e32 v28, 0
	s_mov_b32 s20, exec_lo
	v_cmpx_lt_u32_e32 0xffffff, v143
	s_cbranch_execz .LBB413_972
; %bb.965:                              ;   in Loop: Header=BB413_13 Depth=1
	v_lshrrev_b32_e32 v152, 24, v143
	v_bfrev_b32_e32 v28, 1
	s_mov_b32 s21, exec_lo
	s_delay_alu instid0(VALU_DEP_2)
	v_cmpx_ne_u32_e32 0x80, v152
	s_cbranch_execz .LBB413_971
; %bb.966:                              ;   in Loop: Header=BB413_13 Depth=1
	v_bfe_u32 v82, v143, 24, 7
	v_mov_b32_e32 v28, 0x7f800001
	s_mov_b32 s22, exec_lo
	s_delay_alu instid0(VALU_DEP_2)
	v_cmpx_ne_u32_e32 0x7f, v82
	s_cbranch_execz .LBB413_970
; %bb.967:                              ;   in Loop: Header=BB413_13 Depth=1
	v_and_b32_e32 v28, 7, v152
	v_lshrrev_b32_e32 v143, 3, v82
	v_cmp_gt_u32_e64 s2, 8, v82
	s_delay_alu instid0(VALU_DEP_3) | instskip(NEXT) | instid1(VALU_DEP_2)
	v_dual_mov_b32 v83, v29 :: v_dual_mov_b32 v82, v28
	s_and_saveexec_b32 s23, s2
; %bb.968:                              ;   in Loop: Header=BB413_13 Depth=1
	v_clz_i32_u32_e32 v82, v28
	s_delay_alu instid0(VALU_DEP_1) | instskip(NEXT) | instid1(VALU_DEP_1)
	v_min_u32_e32 v143, 32, v82
	v_subrev_nc_u32_e32 v82, 28, v143
	v_sub_nc_u32_e32 v143, 29, v143
	s_delay_alu instid0(VALU_DEP_2) | instskip(NEXT) | instid1(VALU_DEP_1)
	v_lshlrev_b64 v[82:83], v82, v[28:29]
	v_and_b32_e32 v82, 7, v82
; %bb.969:                              ;   in Loop: Header=BB413_13 Depth=1
	s_or_b32 exec_lo, exec_lo, s23
	v_lshlrev_b32_e32 v28, 24, v152
	s_delay_alu instid0(VALU_DEP_2) | instskip(SKIP_1) | instid1(VALU_DEP_3)
	v_lshlrev_b32_e32 v82, 20, v82
	v_lshl_add_u32 v83, v143, 23, 0x3c000000
	v_and_b32_e32 v28, 0x80000000, v28
	s_delay_alu instid0(VALU_DEP_1)
	v_or3_b32 v28, v82, v28, v83
.LBB413_970:                            ;   in Loop: Header=BB413_13 Depth=1
	s_or_b32 exec_lo, exec_lo, s22
.LBB413_971:                            ;   in Loop: Header=BB413_13 Depth=1
	s_delay_alu instid0(SALU_CYCLE_1)
	s_or_b32 exec_lo, exec_lo, s21
.LBB413_972:                            ;   in Loop: Header=BB413_13 Depth=1
	s_delay_alu instid0(SALU_CYCLE_1) | instskip(NEXT) | instid1(VALU_DEP_1)
	s_or_b32 exec_lo, exec_lo, s20
	v_mul_f32_e32 v28, v144, v28
                                        ; implicit-def: $vgpr143
	s_delay_alu instid0(VALU_DEP_1) | instskip(NEXT) | instid1(VALU_DEP_1)
	v_and_b32_e32 v82, 0x7f800000, v28
	v_cmp_ne_u32_e64 s2, 0x7f800000, v82
	s_delay_alu instid0(VALU_DEP_1) | instskip(NEXT) | instid1(SALU_CYCLE_1)
	s_and_saveexec_b32 s20, s2
	s_xor_b32 s2, exec_lo, s20
; %bb.973:                              ;   in Loop: Header=BB413_13 Depth=1
	v_bfe_u32 v82, v28, 16, 1
	s_delay_alu instid0(VALU_DEP_1)
	v_add3_u32 v143, v28, v82, 0x7fff
                                        ; implicit-def: $vgpr28
; %bb.974:                              ;   in Loop: Header=BB413_13 Depth=1
	s_and_not1_saveexec_b32 s20, s2
; %bb.975:                              ;   in Loop: Header=BB413_13 Depth=1
	v_and_b32_e32 v82, 0xffff, v28
	v_or_b32_e32 v83, 0x10000, v28
	s_delay_alu instid0(VALU_DEP_2) | instskip(NEXT) | instid1(VALU_DEP_1)
	v_cmp_eq_u32_e64 s2, 0, v82
	v_cndmask_b32_e64 v143, v83, v28, s2
; %bb.976:                              ;   in Loop: Header=BB413_13 Depth=1
	s_or_b32 exec_lo, exec_lo, s20
	flat_load_b32 v155, v[80:81] offset:2560
	v_mov_b32_e32 v28, 0
	s_mov_b32 s20, exec_lo
	s_waitcnt vmcnt(0) lgkmcnt(0)
	v_and_b32_e32 v82, 0xff, v155
	s_delay_alu instid0(VALU_DEP_1)
	v_cmpx_ne_u16_e32 0, v82
	s_cbranch_execz .LBB413_984
; %bb.977:                              ;   in Loop: Header=BB413_13 Depth=1
	v_bfrev_b32_e32 v28, 1
	s_mov_b32 s21, exec_lo
	v_cmpx_ne_u16_e32 0x80, v82
	s_cbranch_execz .LBB413_983
; %bb.978:                              ;   in Loop: Header=BB413_13 Depth=1
	v_and_b32_e32 v82, 0x7f, v155
	v_mov_b32_e32 v28, 0x7f800001
	s_mov_b32 s22, exec_lo
	s_delay_alu instid0(VALU_DEP_2)
	v_cmpx_ne_u32_e32 0x7f, v82
	s_cbranch_execz .LBB413_982
; %bb.979:                              ;   in Loop: Header=BB413_13 Depth=1
	v_and_b32_e32 v28, 7, v155
	v_lshrrev_b32_e32 v152, 3, v82
	v_cmp_gt_u32_e64 s2, 8, v82
	s_delay_alu instid0(VALU_DEP_3) | instskip(NEXT) | instid1(VALU_DEP_2)
	v_dual_mov_b32 v83, v29 :: v_dual_mov_b32 v82, v28
	s_and_saveexec_b32 s23, s2
; %bb.980:                              ;   in Loop: Header=BB413_13 Depth=1
	v_clz_i32_u32_e32 v82, v28
	s_delay_alu instid0(VALU_DEP_1) | instskip(NEXT) | instid1(VALU_DEP_1)
	v_min_u32_e32 v152, 32, v82
	v_subrev_nc_u32_e32 v82, 28, v152
	v_sub_nc_u32_e32 v152, 29, v152
	s_delay_alu instid0(VALU_DEP_2) | instskip(NEXT) | instid1(VALU_DEP_1)
	v_lshlrev_b64 v[82:83], v82, v[28:29]
	v_and_b32_e32 v82, 7, v82
; %bb.981:                              ;   in Loop: Header=BB413_13 Depth=1
	s_or_b32 exec_lo, exec_lo, s23
	v_lshlrev_b32_e32 v28, 24, v155
	s_delay_alu instid0(VALU_DEP_2) | instskip(SKIP_1) | instid1(VALU_DEP_3)
	v_lshlrev_b32_e32 v82, 20, v82
	v_lshl_add_u32 v83, v152, 23, 0x3c000000
	v_and_b32_e32 v28, 0x80000000, v28
	s_delay_alu instid0(VALU_DEP_1)
	v_or3_b32 v28, v82, v28, v83
.LBB413_982:                            ;   in Loop: Header=BB413_13 Depth=1
	s_or_b32 exec_lo, exec_lo, s22
.LBB413_983:                            ;   in Loop: Header=BB413_13 Depth=1
	s_delay_alu instid0(SALU_CYCLE_1)
	s_or_b32 exec_lo, exec_lo, s21
.LBB413_984:                            ;   in Loop: Header=BB413_13 Depth=1
	s_delay_alu instid0(SALU_CYCLE_1) | instskip(NEXT) | instid1(VALU_DEP_1)
	s_or_b32 exec_lo, exec_lo, s20
	v_mul_f32_e32 v28, v144, v28
                                        ; implicit-def: $vgpr152
	s_delay_alu instid0(VALU_DEP_1) | instskip(NEXT) | instid1(VALU_DEP_1)
	v_and_b32_e32 v82, 0x7f800000, v28
	v_cmp_ne_u32_e64 s2, 0x7f800000, v82
	s_delay_alu instid0(VALU_DEP_1) | instskip(NEXT) | instid1(SALU_CYCLE_1)
	s_and_saveexec_b32 s20, s2
	s_xor_b32 s2, exec_lo, s20
; %bb.985:                              ;   in Loop: Header=BB413_13 Depth=1
	v_bfe_u32 v82, v28, 16, 1
	s_delay_alu instid0(VALU_DEP_1)
	v_add3_u32 v152, v28, v82, 0x7fff
                                        ; implicit-def: $vgpr28
; %bb.986:                              ;   in Loop: Header=BB413_13 Depth=1
	s_and_not1_saveexec_b32 s20, s2
; %bb.987:                              ;   in Loop: Header=BB413_13 Depth=1
	v_and_b32_e32 v82, 0xffff, v28
	v_or_b32_e32 v83, 0x10000, v28
	s_delay_alu instid0(VALU_DEP_2) | instskip(NEXT) | instid1(VALU_DEP_1)
	v_cmp_eq_u32_e64 s2, 0, v82
	v_cndmask_b32_e64 v152, v83, v28, s2
; %bb.988:                              ;   in Loop: Header=BB413_13 Depth=1
	s_or_b32 exec_lo, exec_lo, s20
	v_lshrrev_b16 v82, 8, v155
	v_mov_b32_e32 v28, 0
	s_mov_b32 s20, exec_lo
	s_delay_alu instid0(VALU_DEP_2)
	v_cmpx_ne_u16_e32 0, v82
	s_cbranch_execz .LBB413_996
; %bb.989:                              ;   in Loop: Header=BB413_13 Depth=1
	v_bfrev_b32_e32 v28, 1
	s_mov_b32 s21, exec_lo
	v_cmpx_ne_u16_e32 0x80, v82
	s_cbranch_execz .LBB413_995
; %bb.990:                              ;   in Loop: Header=BB413_13 Depth=1
	v_and_b32_e32 v83, 0xffff, v82
	v_mov_b32_e32 v28, 0x7f800001
	s_mov_b32 s22, exec_lo
	s_delay_alu instid0(VALU_DEP_2) | instskip(NEXT) | instid1(VALU_DEP_1)
	v_and_b32_e32 v82, 0x7f, v83
	v_cmpx_ne_u32_e32 0x7f, v82
	s_cbranch_execz .LBB413_994
; %bb.991:                              ;   in Loop: Header=BB413_13 Depth=1
	v_and_b32_e32 v28, 7, v83
	v_lshrrev_b32_e32 v153, 3, v82
	v_cmp_gt_u32_e64 s2, 8, v82
	s_delay_alu instid0(VALU_DEP_3) | instskip(NEXT) | instid1(VALU_DEP_2)
	v_dual_mov_b32 v83, v29 :: v_dual_mov_b32 v82, v28
	s_and_saveexec_b32 s23, s2
; %bb.992:                              ;   in Loop: Header=BB413_13 Depth=1
	v_clz_i32_u32_e32 v82, v28
	s_delay_alu instid0(VALU_DEP_1) | instskip(NEXT) | instid1(VALU_DEP_1)
	v_min_u32_e32 v153, 32, v82
	v_subrev_nc_u32_e32 v82, 28, v153
	v_sub_nc_u32_e32 v153, 29, v153
	s_delay_alu instid0(VALU_DEP_2) | instskip(NEXT) | instid1(VALU_DEP_1)
	v_lshlrev_b64 v[82:83], v82, v[28:29]
	v_and_b32_e32 v82, 7, v82
; %bb.993:                              ;   in Loop: Header=BB413_13 Depth=1
	s_or_b32 exec_lo, exec_lo, s23
	v_lshlrev_b32_e32 v28, 16, v155
	s_delay_alu instid0(VALU_DEP_2) | instskip(SKIP_1) | instid1(VALU_DEP_3)
	v_lshlrev_b32_e32 v82, 20, v82
	v_lshl_add_u32 v83, v153, 23, 0x3c000000
	v_and_b32_e32 v28, 0x80000000, v28
	s_delay_alu instid0(VALU_DEP_1)
	v_or3_b32 v28, v82, v28, v83
.LBB413_994:                            ;   in Loop: Header=BB413_13 Depth=1
	s_or_b32 exec_lo, exec_lo, s22
.LBB413_995:                            ;   in Loop: Header=BB413_13 Depth=1
	s_delay_alu instid0(SALU_CYCLE_1)
	s_or_b32 exec_lo, exec_lo, s21
.LBB413_996:                            ;   in Loop: Header=BB413_13 Depth=1
	s_delay_alu instid0(SALU_CYCLE_1) | instskip(NEXT) | instid1(VALU_DEP_1)
	s_or_b32 exec_lo, exec_lo, s20
	v_mul_f32_e32 v28, v144, v28
                                        ; implicit-def: $vgpr153
	s_delay_alu instid0(VALU_DEP_1) | instskip(NEXT) | instid1(VALU_DEP_1)
	v_and_b32_e32 v82, 0x7f800000, v28
	v_cmp_ne_u32_e64 s2, 0x7f800000, v82
	s_delay_alu instid0(VALU_DEP_1) | instskip(NEXT) | instid1(SALU_CYCLE_1)
	s_and_saveexec_b32 s20, s2
	s_xor_b32 s2, exec_lo, s20
; %bb.997:                              ;   in Loop: Header=BB413_13 Depth=1
	v_bfe_u32 v82, v28, 16, 1
	s_delay_alu instid0(VALU_DEP_1)
	v_add3_u32 v153, v28, v82, 0x7fff
                                        ; implicit-def: $vgpr28
; %bb.998:                              ;   in Loop: Header=BB413_13 Depth=1
	s_and_not1_saveexec_b32 s20, s2
; %bb.999:                              ;   in Loop: Header=BB413_13 Depth=1
	v_and_b32_e32 v82, 0xffff, v28
	v_or_b32_e32 v83, 0x10000, v28
	s_delay_alu instid0(VALU_DEP_2) | instskip(NEXT) | instid1(VALU_DEP_1)
	v_cmp_eq_u32_e64 s2, 0, v82
	v_cndmask_b32_e64 v153, v83, v28, s2
; %bb.1000:                             ;   in Loop: Header=BB413_13 Depth=1
	s_or_b32 exec_lo, exec_lo, s20
	v_lshrrev_b32_e32 v154, 16, v155
	v_mov_b32_e32 v28, 0
	s_mov_b32 s20, exec_lo
	s_delay_alu instid0(VALU_DEP_2) | instskip(NEXT) | instid1(VALU_DEP_1)
	v_and_b32_e32 v82, 0xff, v154
	v_cmpx_ne_u16_e32 0, v82
	s_cbranch_execz .LBB413_1008
; %bb.1001:                             ;   in Loop: Header=BB413_13 Depth=1
	v_bfrev_b32_e32 v28, 1
	s_mov_b32 s21, exec_lo
	v_cmpx_ne_u16_e32 0x80, v82
	s_cbranch_execz .LBB413_1007
; %bb.1002:                             ;   in Loop: Header=BB413_13 Depth=1
	v_bfe_u32 v82, v155, 16, 7
	v_mov_b32_e32 v28, 0x7f800001
	s_mov_b32 s22, exec_lo
	s_delay_alu instid0(VALU_DEP_2)
	v_cmpx_ne_u32_e32 0x7f, v82
	s_cbranch_execz .LBB413_1006
; %bb.1003:                             ;   in Loop: Header=BB413_13 Depth=1
	v_and_b32_e32 v28, 7, v154
	v_lshrrev_b32_e32 v156, 3, v82
	v_cmp_gt_u32_e64 s2, 8, v82
	s_delay_alu instid0(VALU_DEP_3) | instskip(NEXT) | instid1(VALU_DEP_2)
	v_dual_mov_b32 v83, v29 :: v_dual_mov_b32 v82, v28
	s_and_saveexec_b32 s23, s2
; %bb.1004:                             ;   in Loop: Header=BB413_13 Depth=1
	v_clz_i32_u32_e32 v82, v28
	s_delay_alu instid0(VALU_DEP_1) | instskip(NEXT) | instid1(VALU_DEP_1)
	v_min_u32_e32 v156, 32, v82
	v_subrev_nc_u32_e32 v82, 28, v156
	v_sub_nc_u32_e32 v156, 29, v156
	s_delay_alu instid0(VALU_DEP_2) | instskip(NEXT) | instid1(VALU_DEP_1)
	v_lshlrev_b64 v[82:83], v82, v[28:29]
	v_and_b32_e32 v82, 7, v82
; %bb.1005:                             ;   in Loop: Header=BB413_13 Depth=1
	s_or_b32 exec_lo, exec_lo, s23
	v_lshlrev_b32_e32 v28, 24, v154
	s_delay_alu instid0(VALU_DEP_2) | instskip(SKIP_1) | instid1(VALU_DEP_3)
	v_lshlrev_b32_e32 v82, 20, v82
	v_lshl_add_u32 v83, v156, 23, 0x3c000000
	v_and_b32_e32 v28, 0x80000000, v28
	s_delay_alu instid0(VALU_DEP_1)
	v_or3_b32 v28, v82, v28, v83
.LBB413_1006:                           ;   in Loop: Header=BB413_13 Depth=1
	s_or_b32 exec_lo, exec_lo, s22
.LBB413_1007:                           ;   in Loop: Header=BB413_13 Depth=1
	s_delay_alu instid0(SALU_CYCLE_1)
	s_or_b32 exec_lo, exec_lo, s21
.LBB413_1008:                           ;   in Loop: Header=BB413_13 Depth=1
	s_delay_alu instid0(SALU_CYCLE_1) | instskip(NEXT) | instid1(VALU_DEP_1)
	s_or_b32 exec_lo, exec_lo, s20
	v_mul_f32_e32 v28, v144, v28
                                        ; implicit-def: $vgpr154
	s_delay_alu instid0(VALU_DEP_1) | instskip(NEXT) | instid1(VALU_DEP_1)
	v_and_b32_e32 v82, 0x7f800000, v28
	v_cmp_ne_u32_e64 s2, 0x7f800000, v82
	s_delay_alu instid0(VALU_DEP_1) | instskip(NEXT) | instid1(SALU_CYCLE_1)
	s_and_saveexec_b32 s20, s2
	s_xor_b32 s2, exec_lo, s20
; %bb.1009:                             ;   in Loop: Header=BB413_13 Depth=1
	v_bfe_u32 v82, v28, 16, 1
	s_delay_alu instid0(VALU_DEP_1)
	v_add3_u32 v154, v28, v82, 0x7fff
                                        ; implicit-def: $vgpr28
; %bb.1010:                             ;   in Loop: Header=BB413_13 Depth=1
	s_and_not1_saveexec_b32 s20, s2
; %bb.1011:                             ;   in Loop: Header=BB413_13 Depth=1
	v_and_b32_e32 v82, 0xffff, v28
	v_or_b32_e32 v83, 0x10000, v28
	s_delay_alu instid0(VALU_DEP_2) | instskip(NEXT) | instid1(VALU_DEP_1)
	v_cmp_eq_u32_e64 s2, 0, v82
	v_cndmask_b32_e64 v154, v83, v28, s2
; %bb.1012:                             ;   in Loop: Header=BB413_13 Depth=1
	s_or_b32 exec_lo, exec_lo, s20
	v_mov_b32_e32 v28, 0
	s_mov_b32 s20, exec_lo
	v_cmpx_lt_u32_e32 0xffffff, v155
	s_cbranch_execz .LBB413_1020
; %bb.1013:                             ;   in Loop: Header=BB413_13 Depth=1
	v_lshrrev_b32_e32 v156, 24, v155
	v_bfrev_b32_e32 v28, 1
	s_mov_b32 s21, exec_lo
	s_delay_alu instid0(VALU_DEP_2)
	v_cmpx_ne_u32_e32 0x80, v156
	s_cbranch_execz .LBB413_1019
; %bb.1014:                             ;   in Loop: Header=BB413_13 Depth=1
	v_bfe_u32 v82, v155, 24, 7
	v_mov_b32_e32 v28, 0x7f800001
	s_mov_b32 s22, exec_lo
	s_delay_alu instid0(VALU_DEP_2)
	v_cmpx_ne_u32_e32 0x7f, v82
	s_cbranch_execz .LBB413_1018
; %bb.1015:                             ;   in Loop: Header=BB413_13 Depth=1
	v_and_b32_e32 v28, 7, v156
	v_lshrrev_b32_e32 v155, 3, v82
	v_cmp_gt_u32_e64 s2, 8, v82
	s_delay_alu instid0(VALU_DEP_3) | instskip(NEXT) | instid1(VALU_DEP_2)
	v_dual_mov_b32 v83, v29 :: v_dual_mov_b32 v82, v28
	s_and_saveexec_b32 s23, s2
; %bb.1016:                             ;   in Loop: Header=BB413_13 Depth=1
	v_clz_i32_u32_e32 v82, v28
	s_delay_alu instid0(VALU_DEP_1) | instskip(NEXT) | instid1(VALU_DEP_1)
	v_min_u32_e32 v155, 32, v82
	v_subrev_nc_u32_e32 v82, 28, v155
	v_sub_nc_u32_e32 v155, 29, v155
	s_delay_alu instid0(VALU_DEP_2) | instskip(NEXT) | instid1(VALU_DEP_1)
	v_lshlrev_b64 v[82:83], v82, v[28:29]
	v_and_b32_e32 v82, 7, v82
; %bb.1017:                             ;   in Loop: Header=BB413_13 Depth=1
	s_or_b32 exec_lo, exec_lo, s23
	v_lshlrev_b32_e32 v28, 24, v156
	s_delay_alu instid0(VALU_DEP_2) | instskip(SKIP_1) | instid1(VALU_DEP_3)
	v_lshlrev_b32_e32 v82, 20, v82
	v_lshl_add_u32 v83, v155, 23, 0x3c000000
	v_and_b32_e32 v28, 0x80000000, v28
	s_delay_alu instid0(VALU_DEP_1)
	v_or3_b32 v28, v82, v28, v83
.LBB413_1018:                           ;   in Loop: Header=BB413_13 Depth=1
	s_or_b32 exec_lo, exec_lo, s22
.LBB413_1019:                           ;   in Loop: Header=BB413_13 Depth=1
	s_delay_alu instid0(SALU_CYCLE_1)
	s_or_b32 exec_lo, exec_lo, s21
.LBB413_1020:                           ;   in Loop: Header=BB413_13 Depth=1
	s_delay_alu instid0(SALU_CYCLE_1) | instskip(NEXT) | instid1(VALU_DEP_1)
	s_or_b32 exec_lo, exec_lo, s20
	v_mul_f32_e32 v28, v144, v28
                                        ; implicit-def: $vgpr155
	s_delay_alu instid0(VALU_DEP_1) | instskip(NEXT) | instid1(VALU_DEP_1)
	v_and_b32_e32 v82, 0x7f800000, v28
	v_cmp_ne_u32_e64 s2, 0x7f800000, v82
	s_delay_alu instid0(VALU_DEP_1) | instskip(NEXT) | instid1(SALU_CYCLE_1)
	s_and_saveexec_b32 s20, s2
	s_xor_b32 s2, exec_lo, s20
; %bb.1021:                             ;   in Loop: Header=BB413_13 Depth=1
	v_bfe_u32 v82, v28, 16, 1
	s_delay_alu instid0(VALU_DEP_1)
	v_add3_u32 v155, v28, v82, 0x7fff
                                        ; implicit-def: $vgpr28
; %bb.1022:                             ;   in Loop: Header=BB413_13 Depth=1
	s_and_not1_saveexec_b32 s20, s2
; %bb.1023:                             ;   in Loop: Header=BB413_13 Depth=1
	v_and_b32_e32 v82, 0xffff, v28
	v_or_b32_e32 v83, 0x10000, v28
	s_delay_alu instid0(VALU_DEP_2) | instskip(NEXT) | instid1(VALU_DEP_1)
	v_cmp_eq_u32_e64 s2, 0, v82
	v_cndmask_b32_e64 v155, v83, v28, s2
; %bb.1024:                             ;   in Loop: Header=BB413_13 Depth=1
	s_or_b32 exec_lo, exec_lo, s20
	flat_load_b32 v159, v[80:81] offset:2568
	v_mov_b32_e32 v28, 0
	s_mov_b32 s20, exec_lo
	s_waitcnt vmcnt(0) lgkmcnt(0)
	v_and_b32_e32 v82, 0xff, v159
	s_delay_alu instid0(VALU_DEP_1)
	v_cmpx_ne_u16_e32 0, v82
	s_cbranch_execz .LBB413_1032
; %bb.1025:                             ;   in Loop: Header=BB413_13 Depth=1
	v_bfrev_b32_e32 v28, 1
	s_mov_b32 s21, exec_lo
	v_cmpx_ne_u16_e32 0x80, v82
	s_cbranch_execz .LBB413_1031
; %bb.1026:                             ;   in Loop: Header=BB413_13 Depth=1
	v_and_b32_e32 v82, 0x7f, v159
	v_mov_b32_e32 v28, 0x7f800001
	s_mov_b32 s22, exec_lo
	s_delay_alu instid0(VALU_DEP_2)
	v_cmpx_ne_u32_e32 0x7f, v82
	s_cbranch_execz .LBB413_1030
; %bb.1027:                             ;   in Loop: Header=BB413_13 Depth=1
	v_and_b32_e32 v28, 7, v159
	v_lshrrev_b32_e32 v156, 3, v82
	v_cmp_gt_u32_e64 s2, 8, v82
	s_delay_alu instid0(VALU_DEP_3) | instskip(NEXT) | instid1(VALU_DEP_2)
	v_dual_mov_b32 v83, v29 :: v_dual_mov_b32 v82, v28
	s_and_saveexec_b32 s23, s2
; %bb.1028:                             ;   in Loop: Header=BB413_13 Depth=1
	v_clz_i32_u32_e32 v82, v28
	s_delay_alu instid0(VALU_DEP_1) | instskip(NEXT) | instid1(VALU_DEP_1)
	v_min_u32_e32 v156, 32, v82
	v_subrev_nc_u32_e32 v82, 28, v156
	v_sub_nc_u32_e32 v156, 29, v156
	s_delay_alu instid0(VALU_DEP_2) | instskip(NEXT) | instid1(VALU_DEP_1)
	v_lshlrev_b64 v[82:83], v82, v[28:29]
	v_and_b32_e32 v82, 7, v82
; %bb.1029:                             ;   in Loop: Header=BB413_13 Depth=1
	s_or_b32 exec_lo, exec_lo, s23
	v_lshlrev_b32_e32 v28, 24, v159
	s_delay_alu instid0(VALU_DEP_2) | instskip(SKIP_1) | instid1(VALU_DEP_3)
	v_lshlrev_b32_e32 v82, 20, v82
	v_lshl_add_u32 v83, v156, 23, 0x3c000000
	v_and_b32_e32 v28, 0x80000000, v28
	s_delay_alu instid0(VALU_DEP_1)
	v_or3_b32 v28, v82, v28, v83
.LBB413_1030:                           ;   in Loop: Header=BB413_13 Depth=1
	s_or_b32 exec_lo, exec_lo, s22
.LBB413_1031:                           ;   in Loop: Header=BB413_13 Depth=1
	s_delay_alu instid0(SALU_CYCLE_1)
	s_or_b32 exec_lo, exec_lo, s21
.LBB413_1032:                           ;   in Loop: Header=BB413_13 Depth=1
	s_delay_alu instid0(SALU_CYCLE_1) | instskip(NEXT) | instid1(VALU_DEP_1)
	s_or_b32 exec_lo, exec_lo, s20
	v_mul_f32_e32 v28, v144, v28
                                        ; implicit-def: $vgpr156
	s_delay_alu instid0(VALU_DEP_1) | instskip(NEXT) | instid1(VALU_DEP_1)
	v_and_b32_e32 v82, 0x7f800000, v28
	v_cmp_ne_u32_e64 s2, 0x7f800000, v82
	s_delay_alu instid0(VALU_DEP_1) | instskip(NEXT) | instid1(SALU_CYCLE_1)
	s_and_saveexec_b32 s20, s2
	s_xor_b32 s2, exec_lo, s20
; %bb.1033:                             ;   in Loop: Header=BB413_13 Depth=1
	v_bfe_u32 v82, v28, 16, 1
	s_delay_alu instid0(VALU_DEP_1)
	v_add3_u32 v156, v28, v82, 0x7fff
                                        ; implicit-def: $vgpr28
; %bb.1034:                             ;   in Loop: Header=BB413_13 Depth=1
	s_and_not1_saveexec_b32 s20, s2
; %bb.1035:                             ;   in Loop: Header=BB413_13 Depth=1
	v_and_b32_e32 v82, 0xffff, v28
	v_or_b32_e32 v83, 0x10000, v28
	s_delay_alu instid0(VALU_DEP_2) | instskip(NEXT) | instid1(VALU_DEP_1)
	v_cmp_eq_u32_e64 s2, 0, v82
	v_cndmask_b32_e64 v156, v83, v28, s2
; %bb.1036:                             ;   in Loop: Header=BB413_13 Depth=1
	s_or_b32 exec_lo, exec_lo, s20
	v_lshrrev_b16 v82, 8, v159
	v_mov_b32_e32 v28, 0
	s_mov_b32 s20, exec_lo
	s_delay_alu instid0(VALU_DEP_2)
	v_cmpx_ne_u16_e32 0, v82
	s_cbranch_execz .LBB413_1044
; %bb.1037:                             ;   in Loop: Header=BB413_13 Depth=1
	v_bfrev_b32_e32 v28, 1
	s_mov_b32 s21, exec_lo
	v_cmpx_ne_u16_e32 0x80, v82
	s_cbranch_execz .LBB413_1043
; %bb.1038:                             ;   in Loop: Header=BB413_13 Depth=1
	v_and_b32_e32 v82, 0xffff, v82
	v_mov_b32_e32 v28, 0x7f800001
	s_mov_b32 s22, exec_lo
	s_delay_alu instid0(VALU_DEP_2) | instskip(NEXT) | instid1(VALU_DEP_1)
	v_and_b32_e32 v158, 0x7f, v82
	v_cmpx_ne_u32_e32 0x7f, v158
	s_cbranch_execz .LBB413_1042
; %bb.1039:                             ;   in Loop: Header=BB413_13 Depth=1
	v_and_b32_e32 v28, 7, v82
	v_lshrrev_b32_e32 v157, 3, v158
	v_mov_b32_e32 v83, v29
	s_mov_b32 s23, exec_lo
	s_delay_alu instid0(VALU_DEP_3)
	v_mov_b32_e32 v82, v28
	v_cmpx_gt_u32_e32 8, v158
; %bb.1040:                             ;   in Loop: Header=BB413_13 Depth=1
	v_clz_i32_u32_e32 v82, v28
	s_delay_alu instid0(VALU_DEP_1) | instskip(NEXT) | instid1(VALU_DEP_1)
	v_min_u32_e32 v157, 32, v82
	v_subrev_nc_u32_e32 v82, 28, v157
	v_sub_nc_u32_e32 v157, 29, v157
	s_delay_alu instid0(VALU_DEP_2) | instskip(NEXT) | instid1(VALU_DEP_1)
	v_lshlrev_b64 v[82:83], v82, v[28:29]
	v_and_b32_e32 v82, 7, v82
; %bb.1041:                             ;   in Loop: Header=BB413_13 Depth=1
	s_or_b32 exec_lo, exec_lo, s23
	v_lshlrev_b32_e32 v28, 16, v159
	s_delay_alu instid0(VALU_DEP_2) | instskip(SKIP_1) | instid1(VALU_DEP_3)
	v_lshlrev_b32_e32 v82, 20, v82
	v_lshl_add_u32 v83, v157, 23, 0x3c000000
	v_and_b32_e32 v28, 0x80000000, v28
	s_delay_alu instid0(VALU_DEP_1)
	v_or3_b32 v28, v82, v28, v83
.LBB413_1042:                           ;   in Loop: Header=BB413_13 Depth=1
	s_or_b32 exec_lo, exec_lo, s22
.LBB413_1043:                           ;   in Loop: Header=BB413_13 Depth=1
	s_delay_alu instid0(SALU_CYCLE_1)
	s_or_b32 exec_lo, exec_lo, s21
.LBB413_1044:                           ;   in Loop: Header=BB413_13 Depth=1
	s_delay_alu instid0(SALU_CYCLE_1) | instskip(NEXT) | instid1(VALU_DEP_1)
	s_or_b32 exec_lo, exec_lo, s20
	v_mul_f32_e32 v28, v144, v28
                                        ; implicit-def: $vgpr157
	s_delay_alu instid0(VALU_DEP_1) | instskip(NEXT) | instid1(VALU_DEP_1)
	v_and_b32_e32 v82, 0x7f800000, v28
	v_cmp_ne_u32_e64 s2, 0x7f800000, v82
	s_delay_alu instid0(VALU_DEP_1) | instskip(NEXT) | instid1(SALU_CYCLE_1)
	s_and_saveexec_b32 s20, s2
	s_xor_b32 s2, exec_lo, s20
; %bb.1045:                             ;   in Loop: Header=BB413_13 Depth=1
	v_bfe_u32 v82, v28, 16, 1
	s_delay_alu instid0(VALU_DEP_1)
	v_add3_u32 v157, v28, v82, 0x7fff
                                        ; implicit-def: $vgpr28
; %bb.1046:                             ;   in Loop: Header=BB413_13 Depth=1
	s_and_not1_saveexec_b32 s20, s2
; %bb.1047:                             ;   in Loop: Header=BB413_13 Depth=1
	v_and_b32_e32 v82, 0xffff, v28
	v_or_b32_e32 v83, 0x10000, v28
	s_delay_alu instid0(VALU_DEP_2) | instskip(NEXT) | instid1(VALU_DEP_1)
	v_cmp_eq_u32_e64 s2, 0, v82
	v_cndmask_b32_e64 v157, v83, v28, s2
; %bb.1048:                             ;   in Loop: Header=BB413_13 Depth=1
	s_or_b32 exec_lo, exec_lo, s20
	v_lshrrev_b32_e32 v158, 16, v159
	v_mov_b32_e32 v28, 0
	s_mov_b32 s20, exec_lo
	s_delay_alu instid0(VALU_DEP_2) | instskip(NEXT) | instid1(VALU_DEP_1)
	v_and_b32_e32 v82, 0xff, v158
	v_cmpx_ne_u16_e32 0, v82
	s_cbranch_execz .LBB413_1056
; %bb.1049:                             ;   in Loop: Header=BB413_13 Depth=1
	v_bfrev_b32_e32 v28, 1
	s_mov_b32 s21, exec_lo
	v_cmpx_ne_u16_e32 0x80, v82
	s_cbranch_execz .LBB413_1055
; %bb.1050:                             ;   in Loop: Header=BB413_13 Depth=1
	v_bfe_u32 v169, v159, 16, 7
	v_mov_b32_e32 v28, 0x7f800001
	s_mov_b32 s22, exec_lo
	s_delay_alu instid0(VALU_DEP_2)
	v_cmpx_ne_u32_e32 0x7f, v169
	s_cbranch_execz .LBB413_1054
; %bb.1051:                             ;   in Loop: Header=BB413_13 Depth=1
	v_and_b32_e32 v28, 7, v158
	v_lshrrev_b32_e32 v168, 3, v169
	v_mov_b32_e32 v83, v29
	s_mov_b32 s23, exec_lo
	s_delay_alu instid0(VALU_DEP_3)
	v_mov_b32_e32 v82, v28
	v_cmpx_gt_u32_e32 8, v169
; %bb.1052:                             ;   in Loop: Header=BB413_13 Depth=1
	v_clz_i32_u32_e32 v82, v28
	s_delay_alu instid0(VALU_DEP_1) | instskip(NEXT) | instid1(VALU_DEP_1)
	v_min_u32_e32 v168, 32, v82
	v_subrev_nc_u32_e32 v82, 28, v168
	v_sub_nc_u32_e32 v168, 29, v168
	s_delay_alu instid0(VALU_DEP_2) | instskip(NEXT) | instid1(VALU_DEP_1)
	v_lshlrev_b64 v[82:83], v82, v[28:29]
	v_and_b32_e32 v82, 7, v82
; %bb.1053:                             ;   in Loop: Header=BB413_13 Depth=1
	s_or_b32 exec_lo, exec_lo, s23
	v_lshlrev_b32_e32 v28, 24, v158
	s_delay_alu instid0(VALU_DEP_2) | instskip(SKIP_1) | instid1(VALU_DEP_3)
	v_lshlrev_b32_e32 v82, 20, v82
	v_lshl_add_u32 v83, v168, 23, 0x3c000000
	v_and_b32_e32 v28, 0x80000000, v28
	s_delay_alu instid0(VALU_DEP_1)
	v_or3_b32 v28, v82, v28, v83
.LBB413_1054:                           ;   in Loop: Header=BB413_13 Depth=1
	s_or_b32 exec_lo, exec_lo, s22
.LBB413_1055:                           ;   in Loop: Header=BB413_13 Depth=1
	s_delay_alu instid0(SALU_CYCLE_1)
	s_or_b32 exec_lo, exec_lo, s21
.LBB413_1056:                           ;   in Loop: Header=BB413_13 Depth=1
	s_delay_alu instid0(SALU_CYCLE_1) | instskip(NEXT) | instid1(VALU_DEP_1)
	s_or_b32 exec_lo, exec_lo, s20
	v_mul_f32_e32 v28, v144, v28
                                        ; implicit-def: $vgpr158
	s_delay_alu instid0(VALU_DEP_1) | instskip(NEXT) | instid1(VALU_DEP_1)
	v_and_b32_e32 v82, 0x7f800000, v28
	v_cmp_ne_u32_e64 s2, 0x7f800000, v82
	s_delay_alu instid0(VALU_DEP_1) | instskip(NEXT) | instid1(SALU_CYCLE_1)
	s_and_saveexec_b32 s20, s2
	s_xor_b32 s2, exec_lo, s20
; %bb.1057:                             ;   in Loop: Header=BB413_13 Depth=1
	v_bfe_u32 v82, v28, 16, 1
	s_delay_alu instid0(VALU_DEP_1)
	v_add3_u32 v158, v28, v82, 0x7fff
                                        ; implicit-def: $vgpr28
; %bb.1058:                             ;   in Loop: Header=BB413_13 Depth=1
	s_and_not1_saveexec_b32 s20, s2
; %bb.1059:                             ;   in Loop: Header=BB413_13 Depth=1
	v_and_b32_e32 v82, 0xffff, v28
	v_or_b32_e32 v83, 0x10000, v28
	s_delay_alu instid0(VALU_DEP_2) | instskip(NEXT) | instid1(VALU_DEP_1)
	v_cmp_eq_u32_e64 s2, 0, v82
	v_cndmask_b32_e64 v158, v83, v28, s2
; %bb.1060:                             ;   in Loop: Header=BB413_13 Depth=1
	s_or_b32 exec_lo, exec_lo, s20
	v_mov_b32_e32 v28, 0
	s_mov_b32 s20, exec_lo
	v_cmpx_lt_u32_e32 0xffffff, v159
	s_cbranch_execz .LBB413_1068
; %bb.1061:                             ;   in Loop: Header=BB413_13 Depth=1
	v_lshrrev_b32_e32 v168, 24, v159
	v_bfrev_b32_e32 v28, 1
	s_mov_b32 s21, exec_lo
	s_delay_alu instid0(VALU_DEP_2)
	v_cmpx_ne_u32_e32 0x80, v168
	s_cbranch_execz .LBB413_1067
; %bb.1062:                             ;   in Loop: Header=BB413_13 Depth=1
	v_bfe_u32 v169, v159, 24, 7
	v_mov_b32_e32 v28, 0x7f800001
	s_mov_b32 s22, exec_lo
	s_delay_alu instid0(VALU_DEP_2)
	v_cmpx_ne_u32_e32 0x7f, v169
	s_cbranch_execz .LBB413_1066
; %bb.1063:                             ;   in Loop: Header=BB413_13 Depth=1
	v_and_b32_e32 v28, 7, v168
	v_lshrrev_b32_e32 v159, 3, v169
	v_mov_b32_e32 v83, v29
	s_mov_b32 s23, exec_lo
	s_delay_alu instid0(VALU_DEP_3)
	v_mov_b32_e32 v82, v28
	v_cmpx_gt_u32_e32 8, v169
; %bb.1064:                             ;   in Loop: Header=BB413_13 Depth=1
	v_clz_i32_u32_e32 v82, v28
	s_delay_alu instid0(VALU_DEP_1) | instskip(NEXT) | instid1(VALU_DEP_1)
	v_min_u32_e32 v159, 32, v82
	v_subrev_nc_u32_e32 v82, 28, v159
	v_sub_nc_u32_e32 v159, 29, v159
	s_delay_alu instid0(VALU_DEP_2) | instskip(NEXT) | instid1(VALU_DEP_1)
	v_lshlrev_b64 v[82:83], v82, v[28:29]
	v_and_b32_e32 v82, 7, v82
; %bb.1065:                             ;   in Loop: Header=BB413_13 Depth=1
	s_or_b32 exec_lo, exec_lo, s23
	v_lshlrev_b32_e32 v28, 24, v168
	s_delay_alu instid0(VALU_DEP_2) | instskip(SKIP_1) | instid1(VALU_DEP_3)
	v_lshlrev_b32_e32 v82, 20, v82
	v_lshl_add_u32 v83, v159, 23, 0x3c000000
	v_and_b32_e32 v28, 0x80000000, v28
	s_delay_alu instid0(VALU_DEP_1)
	v_or3_b32 v28, v82, v28, v83
.LBB413_1066:                           ;   in Loop: Header=BB413_13 Depth=1
	s_or_b32 exec_lo, exec_lo, s22
.LBB413_1067:                           ;   in Loop: Header=BB413_13 Depth=1
	s_delay_alu instid0(SALU_CYCLE_1)
	s_or_b32 exec_lo, exec_lo, s21
.LBB413_1068:                           ;   in Loop: Header=BB413_13 Depth=1
	s_delay_alu instid0(SALU_CYCLE_1) | instskip(NEXT) | instid1(VALU_DEP_1)
	s_or_b32 exec_lo, exec_lo, s20
	v_mul_f32_e32 v28, v144, v28
                                        ; implicit-def: $vgpr159
	s_delay_alu instid0(VALU_DEP_1) | instskip(NEXT) | instid1(VALU_DEP_1)
	v_and_b32_e32 v82, 0x7f800000, v28
	v_cmp_ne_u32_e64 s2, 0x7f800000, v82
	s_delay_alu instid0(VALU_DEP_1) | instskip(NEXT) | instid1(SALU_CYCLE_1)
	s_and_saveexec_b32 s20, s2
	s_xor_b32 s2, exec_lo, s20
; %bb.1069:                             ;   in Loop: Header=BB413_13 Depth=1
	v_bfe_u32 v82, v28, 16, 1
	s_delay_alu instid0(VALU_DEP_1)
	v_add3_u32 v159, v28, v82, 0x7fff
                                        ; implicit-def: $vgpr28
; %bb.1070:                             ;   in Loop: Header=BB413_13 Depth=1
	s_and_not1_saveexec_b32 s20, s2
; %bb.1071:                             ;   in Loop: Header=BB413_13 Depth=1
	v_and_b32_e32 v82, 0xffff, v28
	v_or_b32_e32 v83, 0x10000, v28
	s_delay_alu instid0(VALU_DEP_2) | instskip(NEXT) | instid1(VALU_DEP_1)
	v_cmp_eq_u32_e64 s2, 0, v82
	v_cndmask_b32_e64 v159, v83, v28, s2
; %bb.1072:                             ;   in Loop: Header=BB413_13 Depth=1
	s_or_b32 exec_lo, exec_lo, s20
	flat_load_b32 v171, v[80:81] offset:2816
	v_mov_b32_e32 v28, 0
	s_mov_b32 s20, exec_lo
	s_waitcnt vmcnt(0) lgkmcnt(0)
	v_and_b32_e32 v82, 0xff, v171
	s_delay_alu instid0(VALU_DEP_1)
	v_cmpx_ne_u16_e32 0, v82
	s_cbranch_execz .LBB413_1080
; %bb.1073:                             ;   in Loop: Header=BB413_13 Depth=1
	v_bfrev_b32_e32 v28, 1
	s_mov_b32 s21, exec_lo
	v_cmpx_ne_u16_e32 0x80, v82
	s_cbranch_execz .LBB413_1079
; %bb.1074:                             ;   in Loop: Header=BB413_13 Depth=1
	v_and_b32_e32 v169, 0x7f, v171
	v_mov_b32_e32 v28, 0x7f800001
	s_mov_b32 s22, exec_lo
	s_delay_alu instid0(VALU_DEP_2)
	v_cmpx_ne_u32_e32 0x7f, v169
	s_cbranch_execz .LBB413_1078
; %bb.1075:                             ;   in Loop: Header=BB413_13 Depth=1
	v_and_b32_e32 v28, 7, v171
	v_lshrrev_b32_e32 v168, 3, v169
	v_mov_b32_e32 v83, v29
	s_mov_b32 s23, exec_lo
	s_delay_alu instid0(VALU_DEP_3)
	v_mov_b32_e32 v82, v28
	v_cmpx_gt_u32_e32 8, v169
; %bb.1076:                             ;   in Loop: Header=BB413_13 Depth=1
	v_clz_i32_u32_e32 v82, v28
	s_delay_alu instid0(VALU_DEP_1) | instskip(NEXT) | instid1(VALU_DEP_1)
	v_min_u32_e32 v168, 32, v82
	v_subrev_nc_u32_e32 v82, 28, v168
	v_sub_nc_u32_e32 v168, 29, v168
	s_delay_alu instid0(VALU_DEP_2) | instskip(NEXT) | instid1(VALU_DEP_1)
	v_lshlrev_b64 v[82:83], v82, v[28:29]
	v_and_b32_e32 v82, 7, v82
; %bb.1077:                             ;   in Loop: Header=BB413_13 Depth=1
	s_or_b32 exec_lo, exec_lo, s23
	v_lshlrev_b32_e32 v28, 24, v171
	s_delay_alu instid0(VALU_DEP_2) | instskip(SKIP_1) | instid1(VALU_DEP_3)
	v_lshlrev_b32_e32 v82, 20, v82
	v_lshl_add_u32 v83, v168, 23, 0x3c000000
	v_and_b32_e32 v28, 0x80000000, v28
	s_delay_alu instid0(VALU_DEP_1)
	v_or3_b32 v28, v82, v28, v83
.LBB413_1078:                           ;   in Loop: Header=BB413_13 Depth=1
	s_or_b32 exec_lo, exec_lo, s22
.LBB413_1079:                           ;   in Loop: Header=BB413_13 Depth=1
	s_delay_alu instid0(SALU_CYCLE_1)
	s_or_b32 exec_lo, exec_lo, s21
.LBB413_1080:                           ;   in Loop: Header=BB413_13 Depth=1
	s_delay_alu instid0(SALU_CYCLE_1) | instskip(NEXT) | instid1(VALU_DEP_1)
	s_or_b32 exec_lo, exec_lo, s20
	v_mul_f32_e32 v28, v144, v28
                                        ; implicit-def: $vgpr168
	s_delay_alu instid0(VALU_DEP_1) | instskip(NEXT) | instid1(VALU_DEP_1)
	v_and_b32_e32 v82, 0x7f800000, v28
	v_cmp_ne_u32_e64 s2, 0x7f800000, v82
	s_delay_alu instid0(VALU_DEP_1) | instskip(NEXT) | instid1(SALU_CYCLE_1)
	s_and_saveexec_b32 s20, s2
	s_xor_b32 s2, exec_lo, s20
; %bb.1081:                             ;   in Loop: Header=BB413_13 Depth=1
	v_bfe_u32 v82, v28, 16, 1
	s_delay_alu instid0(VALU_DEP_1)
	v_add3_u32 v168, v28, v82, 0x7fff
                                        ; implicit-def: $vgpr28
; %bb.1082:                             ;   in Loop: Header=BB413_13 Depth=1
	s_and_not1_saveexec_b32 s20, s2
; %bb.1083:                             ;   in Loop: Header=BB413_13 Depth=1
	v_and_b32_e32 v82, 0xffff, v28
	v_or_b32_e32 v83, 0x10000, v28
	s_delay_alu instid0(VALU_DEP_2) | instskip(NEXT) | instid1(VALU_DEP_1)
	v_cmp_eq_u32_e64 s2, 0, v82
	v_cndmask_b32_e64 v168, v83, v28, s2
; %bb.1084:                             ;   in Loop: Header=BB413_13 Depth=1
	s_or_b32 exec_lo, exec_lo, s20
	v_lshrrev_b16 v82, 8, v171
	v_mov_b32_e32 v28, 0
	s_mov_b32 s20, exec_lo
	s_delay_alu instid0(VALU_DEP_2)
	v_cmpx_ne_u16_e32 0, v82
	s_cbranch_execz .LBB413_1092
; %bb.1085:                             ;   in Loop: Header=BB413_13 Depth=1
	v_bfrev_b32_e32 v28, 1
	s_mov_b32 s21, exec_lo
	v_cmpx_ne_u16_e32 0x80, v82
	s_cbranch_execz .LBB413_1091
; %bb.1086:                             ;   in Loop: Header=BB413_13 Depth=1
	v_and_b32_e32 v82, 0xffff, v82
	v_mov_b32_e32 v28, 0x7f800001
	s_mov_b32 s22, exec_lo
	s_delay_alu instid0(VALU_DEP_2) | instskip(NEXT) | instid1(VALU_DEP_1)
	v_and_b32_e32 v170, 0x7f, v82
	v_cmpx_ne_u32_e32 0x7f, v170
	s_cbranch_execz .LBB413_1090
; %bb.1087:                             ;   in Loop: Header=BB413_13 Depth=1
	v_and_b32_e32 v28, 7, v82
	v_lshrrev_b32_e32 v169, 3, v170
	v_mov_b32_e32 v83, v29
	s_mov_b32 s23, exec_lo
	s_delay_alu instid0(VALU_DEP_3)
	v_mov_b32_e32 v82, v28
	v_cmpx_gt_u32_e32 8, v170
; %bb.1088:                             ;   in Loop: Header=BB413_13 Depth=1
	v_clz_i32_u32_e32 v82, v28
	s_delay_alu instid0(VALU_DEP_1) | instskip(NEXT) | instid1(VALU_DEP_1)
	v_min_u32_e32 v169, 32, v82
	v_subrev_nc_u32_e32 v82, 28, v169
	v_sub_nc_u32_e32 v169, 29, v169
	s_delay_alu instid0(VALU_DEP_2) | instskip(NEXT) | instid1(VALU_DEP_1)
	v_lshlrev_b64 v[82:83], v82, v[28:29]
	v_and_b32_e32 v82, 7, v82
; %bb.1089:                             ;   in Loop: Header=BB413_13 Depth=1
	s_or_b32 exec_lo, exec_lo, s23
	v_lshlrev_b32_e32 v28, 16, v171
	s_delay_alu instid0(VALU_DEP_2) | instskip(SKIP_1) | instid1(VALU_DEP_3)
	v_lshlrev_b32_e32 v82, 20, v82
	v_lshl_add_u32 v83, v169, 23, 0x3c000000
	v_and_b32_e32 v28, 0x80000000, v28
	s_delay_alu instid0(VALU_DEP_1)
	v_or3_b32 v28, v82, v28, v83
.LBB413_1090:                           ;   in Loop: Header=BB413_13 Depth=1
	s_or_b32 exec_lo, exec_lo, s22
.LBB413_1091:                           ;   in Loop: Header=BB413_13 Depth=1
	s_delay_alu instid0(SALU_CYCLE_1)
	s_or_b32 exec_lo, exec_lo, s21
.LBB413_1092:                           ;   in Loop: Header=BB413_13 Depth=1
	s_delay_alu instid0(SALU_CYCLE_1) | instskip(NEXT) | instid1(VALU_DEP_1)
	s_or_b32 exec_lo, exec_lo, s20
	v_mul_f32_e32 v28, v144, v28
                                        ; implicit-def: $vgpr169
	s_delay_alu instid0(VALU_DEP_1) | instskip(NEXT) | instid1(VALU_DEP_1)
	v_and_b32_e32 v82, 0x7f800000, v28
	v_cmp_ne_u32_e64 s2, 0x7f800000, v82
	s_delay_alu instid0(VALU_DEP_1) | instskip(NEXT) | instid1(SALU_CYCLE_1)
	s_and_saveexec_b32 s20, s2
	s_xor_b32 s2, exec_lo, s20
; %bb.1093:                             ;   in Loop: Header=BB413_13 Depth=1
	v_bfe_u32 v82, v28, 16, 1
	s_delay_alu instid0(VALU_DEP_1)
	v_add3_u32 v169, v28, v82, 0x7fff
                                        ; implicit-def: $vgpr28
; %bb.1094:                             ;   in Loop: Header=BB413_13 Depth=1
	s_and_not1_saveexec_b32 s20, s2
; %bb.1095:                             ;   in Loop: Header=BB413_13 Depth=1
	v_and_b32_e32 v82, 0xffff, v28
	v_or_b32_e32 v83, 0x10000, v28
	s_delay_alu instid0(VALU_DEP_2) | instskip(NEXT) | instid1(VALU_DEP_1)
	v_cmp_eq_u32_e64 s2, 0, v82
	v_cndmask_b32_e64 v169, v83, v28, s2
; %bb.1096:                             ;   in Loop: Header=BB413_13 Depth=1
	s_or_b32 exec_lo, exec_lo, s20
	v_lshrrev_b32_e32 v170, 16, v171
	v_mov_b32_e32 v28, 0
	s_mov_b32 s20, exec_lo
	s_delay_alu instid0(VALU_DEP_2) | instskip(NEXT) | instid1(VALU_DEP_1)
	v_and_b32_e32 v82, 0xff, v170
	v_cmpx_ne_u16_e32 0, v82
	s_cbranch_execz .LBB413_1104
; %bb.1097:                             ;   in Loop: Header=BB413_13 Depth=1
	v_bfrev_b32_e32 v28, 1
	s_mov_b32 s21, exec_lo
	v_cmpx_ne_u16_e32 0x80, v82
	s_cbranch_execz .LBB413_1103
; %bb.1098:                             ;   in Loop: Header=BB413_13 Depth=1
	v_bfe_u32 v173, v171, 16, 7
	v_mov_b32_e32 v28, 0x7f800001
	s_mov_b32 s22, exec_lo
	s_delay_alu instid0(VALU_DEP_2)
	v_cmpx_ne_u32_e32 0x7f, v173
	s_cbranch_execz .LBB413_1102
; %bb.1099:                             ;   in Loop: Header=BB413_13 Depth=1
	v_and_b32_e32 v28, 7, v170
	v_lshrrev_b32_e32 v172, 3, v173
	v_mov_b32_e32 v83, v29
	s_mov_b32 s23, exec_lo
	s_delay_alu instid0(VALU_DEP_3)
	v_mov_b32_e32 v82, v28
	v_cmpx_gt_u32_e32 8, v173
; %bb.1100:                             ;   in Loop: Header=BB413_13 Depth=1
	v_clz_i32_u32_e32 v82, v28
	s_delay_alu instid0(VALU_DEP_1) | instskip(NEXT) | instid1(VALU_DEP_1)
	v_min_u32_e32 v172, 32, v82
	v_subrev_nc_u32_e32 v82, 28, v172
	v_sub_nc_u32_e32 v172, 29, v172
	s_delay_alu instid0(VALU_DEP_2) | instskip(NEXT) | instid1(VALU_DEP_1)
	v_lshlrev_b64 v[82:83], v82, v[28:29]
	v_and_b32_e32 v82, 7, v82
; %bb.1101:                             ;   in Loop: Header=BB413_13 Depth=1
	s_or_b32 exec_lo, exec_lo, s23
	v_lshlrev_b32_e32 v28, 24, v170
	s_delay_alu instid0(VALU_DEP_2) | instskip(SKIP_1) | instid1(VALU_DEP_3)
	v_lshlrev_b32_e32 v82, 20, v82
	v_lshl_add_u32 v83, v172, 23, 0x3c000000
	v_and_b32_e32 v28, 0x80000000, v28
	s_delay_alu instid0(VALU_DEP_1)
	v_or3_b32 v28, v82, v28, v83
.LBB413_1102:                           ;   in Loop: Header=BB413_13 Depth=1
	s_or_b32 exec_lo, exec_lo, s22
.LBB413_1103:                           ;   in Loop: Header=BB413_13 Depth=1
	s_delay_alu instid0(SALU_CYCLE_1)
	s_or_b32 exec_lo, exec_lo, s21
.LBB413_1104:                           ;   in Loop: Header=BB413_13 Depth=1
	s_delay_alu instid0(SALU_CYCLE_1) | instskip(NEXT) | instid1(VALU_DEP_1)
	s_or_b32 exec_lo, exec_lo, s20
	v_mul_f32_e32 v28, v144, v28
                                        ; implicit-def: $vgpr170
	s_delay_alu instid0(VALU_DEP_1) | instskip(NEXT) | instid1(VALU_DEP_1)
	v_and_b32_e32 v82, 0x7f800000, v28
	v_cmp_ne_u32_e64 s2, 0x7f800000, v82
	s_delay_alu instid0(VALU_DEP_1) | instskip(NEXT) | instid1(SALU_CYCLE_1)
	s_and_saveexec_b32 s20, s2
	s_xor_b32 s2, exec_lo, s20
; %bb.1105:                             ;   in Loop: Header=BB413_13 Depth=1
	v_bfe_u32 v82, v28, 16, 1
	s_delay_alu instid0(VALU_DEP_1)
	v_add3_u32 v170, v28, v82, 0x7fff
                                        ; implicit-def: $vgpr28
; %bb.1106:                             ;   in Loop: Header=BB413_13 Depth=1
	s_and_not1_saveexec_b32 s20, s2
; %bb.1107:                             ;   in Loop: Header=BB413_13 Depth=1
	v_and_b32_e32 v82, 0xffff, v28
	v_or_b32_e32 v83, 0x10000, v28
	s_delay_alu instid0(VALU_DEP_2) | instskip(NEXT) | instid1(VALU_DEP_1)
	v_cmp_eq_u32_e64 s2, 0, v82
	v_cndmask_b32_e64 v170, v83, v28, s2
; %bb.1108:                             ;   in Loop: Header=BB413_13 Depth=1
	s_or_b32 exec_lo, exec_lo, s20
	v_mov_b32_e32 v28, 0
	s_mov_b32 s20, exec_lo
	v_cmpx_lt_u32_e32 0xffffff, v171
	s_cbranch_execz .LBB413_1116
; %bb.1109:                             ;   in Loop: Header=BB413_13 Depth=1
	v_lshrrev_b32_e32 v172, 24, v171
	v_bfrev_b32_e32 v28, 1
	s_mov_b32 s21, exec_lo
	s_delay_alu instid0(VALU_DEP_2)
	v_cmpx_ne_u32_e32 0x80, v172
	s_cbranch_execz .LBB413_1115
; %bb.1110:                             ;   in Loop: Header=BB413_13 Depth=1
	v_bfe_u32 v173, v171, 24, 7
	v_mov_b32_e32 v28, 0x7f800001
	s_mov_b32 s22, exec_lo
	s_delay_alu instid0(VALU_DEP_2)
	v_cmpx_ne_u32_e32 0x7f, v173
	s_cbranch_execz .LBB413_1114
; %bb.1111:                             ;   in Loop: Header=BB413_13 Depth=1
	v_and_b32_e32 v28, 7, v172
	v_lshrrev_b32_e32 v171, 3, v173
	v_mov_b32_e32 v83, v29
	s_mov_b32 s23, exec_lo
	s_delay_alu instid0(VALU_DEP_3)
	v_mov_b32_e32 v82, v28
	v_cmpx_gt_u32_e32 8, v173
; %bb.1112:                             ;   in Loop: Header=BB413_13 Depth=1
	v_clz_i32_u32_e32 v82, v28
	s_delay_alu instid0(VALU_DEP_1) | instskip(NEXT) | instid1(VALU_DEP_1)
	v_min_u32_e32 v171, 32, v82
	v_subrev_nc_u32_e32 v82, 28, v171
	v_sub_nc_u32_e32 v171, 29, v171
	s_delay_alu instid0(VALU_DEP_2) | instskip(NEXT) | instid1(VALU_DEP_1)
	v_lshlrev_b64 v[82:83], v82, v[28:29]
	v_and_b32_e32 v82, 7, v82
; %bb.1113:                             ;   in Loop: Header=BB413_13 Depth=1
	s_or_b32 exec_lo, exec_lo, s23
	v_lshlrev_b32_e32 v28, 24, v172
	s_delay_alu instid0(VALU_DEP_2) | instskip(SKIP_1) | instid1(VALU_DEP_3)
	v_lshlrev_b32_e32 v82, 20, v82
	v_lshl_add_u32 v83, v171, 23, 0x3c000000
	v_and_b32_e32 v28, 0x80000000, v28
	s_delay_alu instid0(VALU_DEP_1)
	v_or3_b32 v28, v82, v28, v83
.LBB413_1114:                           ;   in Loop: Header=BB413_13 Depth=1
	s_or_b32 exec_lo, exec_lo, s22
.LBB413_1115:                           ;   in Loop: Header=BB413_13 Depth=1
	s_delay_alu instid0(SALU_CYCLE_1)
	s_or_b32 exec_lo, exec_lo, s21
.LBB413_1116:                           ;   in Loop: Header=BB413_13 Depth=1
	s_delay_alu instid0(SALU_CYCLE_1) | instskip(NEXT) | instid1(VALU_DEP_1)
	s_or_b32 exec_lo, exec_lo, s20
	v_mul_f32_e32 v28, v144, v28
                                        ; implicit-def: $vgpr171
	s_delay_alu instid0(VALU_DEP_1) | instskip(NEXT) | instid1(VALU_DEP_1)
	v_and_b32_e32 v82, 0x7f800000, v28
	v_cmp_ne_u32_e64 s2, 0x7f800000, v82
	s_delay_alu instid0(VALU_DEP_1) | instskip(NEXT) | instid1(SALU_CYCLE_1)
	s_and_saveexec_b32 s20, s2
	s_xor_b32 s2, exec_lo, s20
; %bb.1117:                             ;   in Loop: Header=BB413_13 Depth=1
	v_bfe_u32 v82, v28, 16, 1
	s_delay_alu instid0(VALU_DEP_1)
	v_add3_u32 v171, v28, v82, 0x7fff
                                        ; implicit-def: $vgpr28
; %bb.1118:                             ;   in Loop: Header=BB413_13 Depth=1
	s_and_not1_saveexec_b32 s20, s2
; %bb.1119:                             ;   in Loop: Header=BB413_13 Depth=1
	v_and_b32_e32 v82, 0xffff, v28
	v_or_b32_e32 v83, 0x10000, v28
	s_delay_alu instid0(VALU_DEP_2) | instskip(NEXT) | instid1(VALU_DEP_1)
	v_cmp_eq_u32_e64 s2, 0, v82
	v_cndmask_b32_e64 v171, v83, v28, s2
; %bb.1120:                             ;   in Loop: Header=BB413_13 Depth=1
	s_or_b32 exec_lo, exec_lo, s20
	flat_load_b32 v83, v[80:81] offset:2824
	v_mov_b32_e32 v28, 0
	s_mov_b32 s20, exec_lo
	s_waitcnt vmcnt(0) lgkmcnt(0)
	v_and_b32_e32 v80, 0xff, v83
	s_delay_alu instid0(VALU_DEP_1)
	v_cmpx_ne_u16_e32 0, v80
	s_cbranch_execz .LBB413_1128
; %bb.1121:                             ;   in Loop: Header=BB413_13 Depth=1
	v_bfrev_b32_e32 v28, 1
	s_mov_b32 s21, exec_lo
	v_cmpx_ne_u16_e32 0x80, v80
	s_cbranch_execz .LBB413_1127
; %bb.1122:                             ;   in Loop: Header=BB413_13 Depth=1
	v_and_b32_e32 v172, 0x7f, v83
	v_mov_b32_e32 v28, 0x7f800001
	s_mov_b32 s22, exec_lo
	s_delay_alu instid0(VALU_DEP_2)
	v_cmpx_ne_u32_e32 0x7f, v172
	s_cbranch_execz .LBB413_1126
; %bb.1123:                             ;   in Loop: Header=BB413_13 Depth=1
	v_and_b32_e32 v28, 7, v83
	v_lshrrev_b32_e32 v82, 3, v172
	v_mov_b32_e32 v81, v29
	s_mov_b32 s23, exec_lo
	s_delay_alu instid0(VALU_DEP_3)
	v_mov_b32_e32 v80, v28
	v_cmpx_gt_u32_e32 8, v172
; %bb.1124:                             ;   in Loop: Header=BB413_13 Depth=1
	v_clz_i32_u32_e32 v80, v28
	s_delay_alu instid0(VALU_DEP_1) | instskip(NEXT) | instid1(VALU_DEP_1)
	v_min_u32_e32 v82, 32, v80
	v_subrev_nc_u32_e32 v80, 28, v82
	v_sub_nc_u32_e32 v82, 29, v82
	s_delay_alu instid0(VALU_DEP_2) | instskip(NEXT) | instid1(VALU_DEP_1)
	v_lshlrev_b64 v[80:81], v80, v[28:29]
	v_and_b32_e32 v80, 7, v80
; %bb.1125:                             ;   in Loop: Header=BB413_13 Depth=1
	s_or_b32 exec_lo, exec_lo, s23
	v_lshlrev_b32_e32 v28, 24, v83
	s_delay_alu instid0(VALU_DEP_2) | instskip(SKIP_1) | instid1(VALU_DEP_3)
	v_lshlrev_b32_e32 v80, 20, v80
	v_lshl_add_u32 v81, v82, 23, 0x3c000000
	v_and_b32_e32 v28, 0x80000000, v28
	s_delay_alu instid0(VALU_DEP_1)
	v_or3_b32 v28, v80, v28, v81
.LBB413_1126:                           ;   in Loop: Header=BB413_13 Depth=1
	s_or_b32 exec_lo, exec_lo, s22
.LBB413_1127:                           ;   in Loop: Header=BB413_13 Depth=1
	s_delay_alu instid0(SALU_CYCLE_1)
	s_or_b32 exec_lo, exec_lo, s21
.LBB413_1128:                           ;   in Loop: Header=BB413_13 Depth=1
	s_delay_alu instid0(SALU_CYCLE_1) | instskip(NEXT) | instid1(VALU_DEP_1)
	s_or_b32 exec_lo, exec_lo, s20
	v_mul_f32_e32 v28, v144, v28
                                        ; implicit-def: $vgpr82
	s_delay_alu instid0(VALU_DEP_1) | instskip(NEXT) | instid1(VALU_DEP_1)
	v_and_b32_e32 v80, 0x7f800000, v28
	v_cmp_ne_u32_e64 s2, 0x7f800000, v80
	s_delay_alu instid0(VALU_DEP_1) | instskip(NEXT) | instid1(SALU_CYCLE_1)
	s_and_saveexec_b32 s20, s2
	s_xor_b32 s2, exec_lo, s20
; %bb.1129:                             ;   in Loop: Header=BB413_13 Depth=1
	v_bfe_u32 v80, v28, 16, 1
	s_delay_alu instid0(VALU_DEP_1)
	v_add3_u32 v82, v28, v80, 0x7fff
                                        ; implicit-def: $vgpr28
; %bb.1130:                             ;   in Loop: Header=BB413_13 Depth=1
	s_and_not1_saveexec_b32 s20, s2
; %bb.1131:                             ;   in Loop: Header=BB413_13 Depth=1
	v_and_b32_e32 v80, 0xffff, v28
	v_or_b32_e32 v81, 0x10000, v28
	s_delay_alu instid0(VALU_DEP_2) | instskip(NEXT) | instid1(VALU_DEP_1)
	v_cmp_eq_u32_e64 s2, 0, v80
	v_cndmask_b32_e64 v82, v81, v28, s2
; %bb.1132:                             ;   in Loop: Header=BB413_13 Depth=1
	s_or_b32 exec_lo, exec_lo, s20
	v_lshrrev_b16 v80, 8, v83
	v_mov_b32_e32 v28, 0
	s_mov_b32 s20, exec_lo
	s_delay_alu instid0(VALU_DEP_2)
	v_cmpx_ne_u16_e32 0, v80
	s_cbranch_execz .LBB413_1140
; %bb.1133:                             ;   in Loop: Header=BB413_13 Depth=1
	v_bfrev_b32_e32 v28, 1
	s_mov_b32 s21, exec_lo
	v_cmpx_ne_u16_e32 0x80, v80
	s_cbranch_execz .LBB413_1139
; %bb.1134:                             ;   in Loop: Header=BB413_13 Depth=1
	v_and_b32_e32 v80, 0xffff, v80
	v_mov_b32_e32 v28, 0x7f800001
	s_mov_b32 s22, exec_lo
	s_delay_alu instid0(VALU_DEP_2) | instskip(NEXT) | instid1(VALU_DEP_1)
	v_and_b32_e32 v173, 0x7f, v80
	v_cmpx_ne_u32_e32 0x7f, v173
	s_cbranch_execz .LBB413_1138
; %bb.1135:                             ;   in Loop: Header=BB413_13 Depth=1
	v_and_b32_e32 v28, 7, v80
	v_lshrrev_b32_e32 v172, 3, v173
	v_mov_b32_e32 v81, v29
	s_mov_b32 s23, exec_lo
	s_delay_alu instid0(VALU_DEP_3)
	v_mov_b32_e32 v80, v28
	v_cmpx_gt_u32_e32 8, v173
; %bb.1136:                             ;   in Loop: Header=BB413_13 Depth=1
	v_clz_i32_u32_e32 v80, v28
	s_delay_alu instid0(VALU_DEP_1) | instskip(NEXT) | instid1(VALU_DEP_1)
	v_min_u32_e32 v172, 32, v80
	v_subrev_nc_u32_e32 v80, 28, v172
	v_sub_nc_u32_e32 v172, 29, v172
	s_delay_alu instid0(VALU_DEP_2) | instskip(NEXT) | instid1(VALU_DEP_1)
	v_lshlrev_b64 v[80:81], v80, v[28:29]
	v_and_b32_e32 v80, 7, v80
; %bb.1137:                             ;   in Loop: Header=BB413_13 Depth=1
	s_or_b32 exec_lo, exec_lo, s23
	v_lshlrev_b32_e32 v28, 16, v83
	s_delay_alu instid0(VALU_DEP_2) | instskip(SKIP_1) | instid1(VALU_DEP_3)
	v_lshlrev_b32_e32 v80, 20, v80
	v_lshl_add_u32 v81, v172, 23, 0x3c000000
	v_and_b32_e32 v28, 0x80000000, v28
	s_delay_alu instid0(VALU_DEP_1)
	v_or3_b32 v28, v80, v28, v81
.LBB413_1138:                           ;   in Loop: Header=BB413_13 Depth=1
	s_or_b32 exec_lo, exec_lo, s22
.LBB413_1139:                           ;   in Loop: Header=BB413_13 Depth=1
	s_delay_alu instid0(SALU_CYCLE_1)
	s_or_b32 exec_lo, exec_lo, s21
.LBB413_1140:                           ;   in Loop: Header=BB413_13 Depth=1
	s_delay_alu instid0(SALU_CYCLE_1) | instskip(NEXT) | instid1(VALU_DEP_1)
	s_or_b32 exec_lo, exec_lo, s20
	v_mul_f32_e32 v28, v144, v28
                                        ; implicit-def: $vgpr173
	s_delay_alu instid0(VALU_DEP_1) | instskip(NEXT) | instid1(VALU_DEP_1)
	v_and_b32_e32 v80, 0x7f800000, v28
	v_cmp_ne_u32_e64 s2, 0x7f800000, v80
	s_delay_alu instid0(VALU_DEP_1) | instskip(NEXT) | instid1(SALU_CYCLE_1)
	s_and_saveexec_b32 s20, s2
	s_xor_b32 s2, exec_lo, s20
; %bb.1141:                             ;   in Loop: Header=BB413_13 Depth=1
	v_bfe_u32 v80, v28, 16, 1
	s_delay_alu instid0(VALU_DEP_1)
	v_add3_u32 v173, v28, v80, 0x7fff
                                        ; implicit-def: $vgpr28
; %bb.1142:                             ;   in Loop: Header=BB413_13 Depth=1
	s_and_not1_saveexec_b32 s20, s2
; %bb.1143:                             ;   in Loop: Header=BB413_13 Depth=1
	v_and_b32_e32 v80, 0xffff, v28
	v_or_b32_e32 v81, 0x10000, v28
	s_delay_alu instid0(VALU_DEP_2) | instskip(NEXT) | instid1(VALU_DEP_1)
	v_cmp_eq_u32_e64 s2, 0, v80
	v_cndmask_b32_e64 v173, v81, v28, s2
; %bb.1144:                             ;   in Loop: Header=BB413_13 Depth=1
	s_or_b32 exec_lo, exec_lo, s20
	v_lshrrev_b32_e32 v172, 16, v83
	v_mov_b32_e32 v28, 0
	s_mov_b32 s20, exec_lo
	s_delay_alu instid0(VALU_DEP_2) | instskip(NEXT) | instid1(VALU_DEP_1)
	v_and_b32_e32 v80, 0xff, v172
	v_cmpx_ne_u16_e32 0, v80
	s_cbranch_execz .LBB413_1152
; %bb.1145:                             ;   in Loop: Header=BB413_13 Depth=1
	v_bfrev_b32_e32 v28, 1
	s_mov_b32 s21, exec_lo
	v_cmpx_ne_u16_e32 0x80, v80
	s_cbranch_execz .LBB413_1151
; %bb.1146:                             ;   in Loop: Header=BB413_13 Depth=1
	v_bfe_u32 v175, v83, 16, 7
	v_mov_b32_e32 v28, 0x7f800001
	s_mov_b32 s22, exec_lo
	s_delay_alu instid0(VALU_DEP_2)
	v_cmpx_ne_u32_e32 0x7f, v175
	s_cbranch_execz .LBB413_1150
; %bb.1147:                             ;   in Loop: Header=BB413_13 Depth=1
	v_and_b32_e32 v28, 7, v172
	v_lshrrev_b32_e32 v174, 3, v175
	v_mov_b32_e32 v81, v29
	s_mov_b32 s23, exec_lo
	s_delay_alu instid0(VALU_DEP_3)
	v_mov_b32_e32 v80, v28
	v_cmpx_gt_u32_e32 8, v175
; %bb.1148:                             ;   in Loop: Header=BB413_13 Depth=1
	v_clz_i32_u32_e32 v80, v28
	s_delay_alu instid0(VALU_DEP_1) | instskip(NEXT) | instid1(VALU_DEP_1)
	v_min_u32_e32 v174, 32, v80
	v_subrev_nc_u32_e32 v80, 28, v174
	v_sub_nc_u32_e32 v174, 29, v174
	s_delay_alu instid0(VALU_DEP_2) | instskip(NEXT) | instid1(VALU_DEP_1)
	v_lshlrev_b64 v[80:81], v80, v[28:29]
	v_and_b32_e32 v80, 7, v80
; %bb.1149:                             ;   in Loop: Header=BB413_13 Depth=1
	s_or_b32 exec_lo, exec_lo, s23
	v_lshlrev_b32_e32 v28, 24, v172
	s_delay_alu instid0(VALU_DEP_2) | instskip(SKIP_1) | instid1(VALU_DEP_3)
	v_lshlrev_b32_e32 v80, 20, v80
	v_lshl_add_u32 v81, v174, 23, 0x3c000000
	v_and_b32_e32 v28, 0x80000000, v28
	s_delay_alu instid0(VALU_DEP_1)
	v_or3_b32 v28, v80, v28, v81
.LBB413_1150:                           ;   in Loop: Header=BB413_13 Depth=1
	s_or_b32 exec_lo, exec_lo, s22
.LBB413_1151:                           ;   in Loop: Header=BB413_13 Depth=1
	s_delay_alu instid0(SALU_CYCLE_1)
	s_or_b32 exec_lo, exec_lo, s21
.LBB413_1152:                           ;   in Loop: Header=BB413_13 Depth=1
	s_delay_alu instid0(SALU_CYCLE_1) | instskip(NEXT) | instid1(VALU_DEP_1)
	s_or_b32 exec_lo, exec_lo, s20
	v_mul_f32_e32 v28, v144, v28
                                        ; implicit-def: $vgpr172
	s_delay_alu instid0(VALU_DEP_1) | instskip(NEXT) | instid1(VALU_DEP_1)
	v_and_b32_e32 v80, 0x7f800000, v28
	v_cmp_ne_u32_e64 s2, 0x7f800000, v80
	s_delay_alu instid0(VALU_DEP_1) | instskip(NEXT) | instid1(SALU_CYCLE_1)
	s_and_saveexec_b32 s20, s2
	s_xor_b32 s2, exec_lo, s20
; %bb.1153:                             ;   in Loop: Header=BB413_13 Depth=1
	v_bfe_u32 v80, v28, 16, 1
	s_delay_alu instid0(VALU_DEP_1)
	v_add3_u32 v172, v28, v80, 0x7fff
                                        ; implicit-def: $vgpr28
; %bb.1154:                             ;   in Loop: Header=BB413_13 Depth=1
	s_and_not1_saveexec_b32 s20, s2
; %bb.1155:                             ;   in Loop: Header=BB413_13 Depth=1
	v_and_b32_e32 v80, 0xffff, v28
	v_or_b32_e32 v81, 0x10000, v28
	s_delay_alu instid0(VALU_DEP_2) | instskip(NEXT) | instid1(VALU_DEP_1)
	v_cmp_eq_u32_e64 s2, 0, v80
	v_cndmask_b32_e64 v172, v81, v28, s2
; %bb.1156:                             ;   in Loop: Header=BB413_13 Depth=1
	s_or_b32 exec_lo, exec_lo, s20
	v_mov_b32_e32 v28, 0
	s_mov_b32 s20, exec_lo
	v_cmpx_lt_u32_e32 0xffffff, v83
	s_cbranch_execz .LBB413_1164
; %bb.1157:                             ;   in Loop: Header=BB413_13 Depth=1
	v_lshrrev_b32_e32 v174, 24, v83
	v_bfrev_b32_e32 v28, 1
	s_mov_b32 s21, exec_lo
	s_delay_alu instid0(VALU_DEP_2)
	v_cmpx_ne_u32_e32 0x80, v174
	s_cbranch_execz .LBB413_1163
; %bb.1158:                             ;   in Loop: Header=BB413_13 Depth=1
	v_bfe_u32 v175, v83, 24, 7
	v_mov_b32_e32 v28, 0x7f800001
	s_mov_b32 s22, exec_lo
	s_delay_alu instid0(VALU_DEP_2)
	v_cmpx_ne_u32_e32 0x7f, v175
	s_cbranch_execz .LBB413_1162
; %bb.1159:                             ;   in Loop: Header=BB413_13 Depth=1
	v_and_b32_e32 v28, 7, v174
	v_lshrrev_b32_e32 v83, 3, v175
	v_mov_b32_e32 v81, v29
	s_mov_b32 s23, exec_lo
	s_delay_alu instid0(VALU_DEP_3)
	v_mov_b32_e32 v80, v28
	v_cmpx_gt_u32_e32 8, v175
; %bb.1160:                             ;   in Loop: Header=BB413_13 Depth=1
	v_clz_i32_u32_e32 v80, v28
	s_delay_alu instid0(VALU_DEP_1) | instskip(NEXT) | instid1(VALU_DEP_1)
	v_min_u32_e32 v83, 32, v80
	v_subrev_nc_u32_e32 v80, 28, v83
	v_sub_nc_u32_e32 v83, 29, v83
	s_delay_alu instid0(VALU_DEP_2) | instskip(NEXT) | instid1(VALU_DEP_1)
	v_lshlrev_b64 v[80:81], v80, v[28:29]
	v_and_b32_e32 v80, 7, v80
; %bb.1161:                             ;   in Loop: Header=BB413_13 Depth=1
	s_or_b32 exec_lo, exec_lo, s23
	v_lshlrev_b32_e32 v28, 24, v174
	s_delay_alu instid0(VALU_DEP_2) | instskip(SKIP_1) | instid1(VALU_DEP_3)
	v_lshlrev_b32_e32 v80, 20, v80
	v_lshl_add_u32 v81, v83, 23, 0x3c000000
	v_and_b32_e32 v28, 0x80000000, v28
	s_delay_alu instid0(VALU_DEP_1)
	v_or3_b32 v28, v80, v28, v81
.LBB413_1162:                           ;   in Loop: Header=BB413_13 Depth=1
	s_or_b32 exec_lo, exec_lo, s22
.LBB413_1163:                           ;   in Loop: Header=BB413_13 Depth=1
	s_delay_alu instid0(SALU_CYCLE_1)
	s_or_b32 exec_lo, exec_lo, s21
.LBB413_1164:                           ;   in Loop: Header=BB413_13 Depth=1
	s_delay_alu instid0(SALU_CYCLE_1) | instskip(NEXT) | instid1(VALU_DEP_1)
	s_or_b32 exec_lo, exec_lo, s20
	v_mul_f32_e32 v80, v144, v28
	s_delay_alu instid0(VALU_DEP_1) | instskip(NEXT) | instid1(VALU_DEP_1)
	v_and_b32_e32 v28, 0x7f800000, v80
	v_cmp_ne_u32_e64 s2, 0x7f800000, v28
                                        ; implicit-def: $vgpr28
	s_delay_alu instid0(VALU_DEP_1) | instskip(NEXT) | instid1(SALU_CYCLE_1)
	s_and_saveexec_b32 s20, s2
	s_xor_b32 s2, exec_lo, s20
; %bb.1165:                             ;   in Loop: Header=BB413_13 Depth=1
	v_bfe_u32 v28, v80, 16, 1
	s_delay_alu instid0(VALU_DEP_1)
	v_add3_u32 v28, v80, v28, 0x7fff
                                        ; implicit-def: $vgpr80
; %bb.1166:                             ;   in Loop: Header=BB413_13 Depth=1
	s_and_not1_saveexec_b32 s20, s2
; %bb.1167:                             ;   in Loop: Header=BB413_13 Depth=1
	v_and_b32_e32 v28, 0xffff, v80
	v_or_b32_e32 v81, 0x10000, v80
	s_delay_alu instid0(VALU_DEP_2) | instskip(NEXT) | instid1(VALU_DEP_1)
	v_cmp_eq_u32_e64 s2, 0, v28
	v_cndmask_b32_e64 v28, v81, v80, s2
; %bb.1168:                             ;   in Loop: Header=BB413_13 Depth=1
	s_or_b32 exec_lo, exec_lo, s20
	v_and_b32_e32 v151, 0xffff0000, v151
	v_lshlrev_b32_e32 v174, 16, v55
	v_and_b32_e32 v55, 0xffff0000, v55
	v_and_b32_e32 v144, 0xffff0000, v169
	v_and_b32_e32 v150, 0xffff0000, v150
	v_and_b32_e32 v81, 0xffff0000, v173
	v_and_b32_e32 v149, 0xffff0000, v149
	v_and_b32_e32 v147, 0xffff0000, v147
	v_lshlrev_b32_e32 v173, 16, v54
	v_lshlrev_b32_e32 v191, 16, v31
	v_and_b32_e32 v54, 0xffff0000, v54
	v_and_b32_e32 v80, 0xffff0000, v171
	v_lshlrev_b32_e32 v171, 16, v53
	v_and_b32_e32 v53, 0xffff0000, v53
	v_and_b32_e32 v116, 0xffff0000, v31
	v_dual_mul_f32 v31, v55, v151 :: v_dual_and_b32 v156, 0xffff0000, v156
	v_and_b32_e32 v163, 0xffff0000, v163
	v_lshlrev_b32_e32 v184, 16, v49
	v_and_b32_e32 v49, 0xffff0000, v49
	s_delay_alu instid0(VALU_DEP_4) | instskip(SKIP_3) | instid1(VALU_DEP_4)
	v_dual_fmac_f32 v31, v53, v147 :: v_dual_and_b32 v140, 0xffff0000, v140
	v_and_b32_e32 v167, 0xffff0000, v167
	v_lshlrev_b32_e32 v186, 16, v51
	v_and_b32_e32 v51, 0xffff0000, v51
	v_dual_fmac_f32 v31, v49, v163 :: v_dual_and_b32 v136, 0xffff0000, v136
	v_and_b32_e32 v179, 0xffff0000, v179
	v_and_b32_e32 v145, 0xffff0000, v145
	v_lshlrev_b32_e32 v188, 16, v36
	v_lshlrev_b32_e32 v21, 16, v7
	v_and_b32_e32 v169, 0xffff0000, v158
	v_and_b32_e32 v158, 0xffff0000, v159
	v_dual_fmac_f32 v31, v51, v167 :: v_dual_and_b32 v36, 0xffff0000, v36
	v_and_b32_e32 v122, 0xffff0000, v122
	v_and_b32_e32 v183, 0xffff0000, v183
	v_lshlrev_b32_e32 v190, 16, v38
	s_delay_alu instid0(VALU_DEP_4) | instskip(SKIP_3) | instid1(VALU_DEP_4)
	v_dual_fmac_f32 v31, v36, v179 :: v_dual_and_b32 v38, 0xffff0000, v38
	v_and_b32_e32 v108, 0xffff0000, v108
	v_lshlrev_b32_e32 v39, 16, v32
	v_dual_mul_f32 v32, v174, v150 :: v_dual_and_b32 v11, 0xffff0000, v32
	v_dual_fmac_f32 v31, v38, v183 :: v_dual_and_b32 v146, 0xffff0000, v146
	v_and_b32_e32 v157, 0xffff0000, v157
	v_and_b32_e32 v162, 0xffff0000, v162
	;; [unrolled: 1-line block ×4, first 2 shown]
	v_dual_fmac_f32 v32, v171, v146 :: v_dual_and_b32 v153, 0xffff0000, v153
	s_delay_alu instid0(VALU_DEP_3) | instskip(NEXT) | instid1(VALU_DEP_2)
	v_dual_fmac_f32 v31, v11, v43 :: v_dual_and_b32 v92, 0xffff0000, v92
	v_dual_fmac_f32 v32, v184, v162 :: v_dual_and_b32 v47, 0xffff0000, v47
	v_and_b32_e32 v141, 0xffff0000, v141
	v_and_b32_e32 v178, 0xffff0000, v178
	v_lshlrev_b32_e32 v5, 16, v34
	v_and_b32_e32 v34, 0xffff0000, v34
	v_dual_fmac_f32 v32, v186, v166 :: v_dual_and_b32 v137, 0xffff0000, v137
	v_and_b32_e32 v88, 0xffff0000, v88
	v_and_b32_e32 v59, 0xffff0000, v59
	s_delay_alu instid0(VALU_DEP_4)
	v_fmac_f32_e32 v31, v34, v47
	v_lshlrev_b32_e32 v103, 16, v17
	v_lshlrev_b32_e32 v12, 16, v133
	v_and_b32_e32 v182, 0xffff0000, v182
	v_dual_fmac_f32 v32, v188, v178 :: v_dual_and_b32 v17, 0xffff0000, v17
	v_and_b32_e32 v125, 0xffff0000, v125
	v_and_b32_e32 v73, 0xffff0000, v73
	s_delay_alu instid0(VALU_DEP_3)
	v_dual_fmac_f32 v31, v17, v59 :: v_dual_and_b32 v72, 0xffff0000, v72
	v_and_b32_e32 v61, 0xffff0000, v61
	v_and_b32_e32 v45, 0xffff0000, v45
	;; [unrolled: 1-line block ×7, first 2 shown]
	v_lshlrev_b32_e32 v175, 16, v48
	v_lshlrev_b32_e32 v185, 16, v50
	;; [unrolled: 1-line block ×8, first 2 shown]
	v_and_b32_e32 v159, 0xffff0000, v154
	v_and_b32_e32 v154, 0xffff0000, v155
	v_lshlrev_b32_e32 v130, 16, v134
	v_and_b32_e32 v155, 0xffff0000, v142
	v_and_b32_e32 v142, 0xffff0000, v143
	;; [unrolled: 1-line block ×10, first 2 shown]
	v_lshlrev_b32_e32 v102, 16, v33
	v_and_b32_e32 v10, 0xffff0000, v33
	v_and_b32_e32 v36, 0xffff0000, v19
	v_and_b32_e32 v60, 0xffff0000, v60
	v_fmac_f32_e32 v32, v190, v182
	v_and_b32_e32 v6, 0xffff0000, v6
	v_and_b32_e32 v56, 0xffff0000, v56
	;; [unrolled: 1-line block ×18, first 2 shown]
	v_lshlrev_b32_e32 v66, 16, v8
	v_and_b32_e32 v46, 0xffff0000, v46
	v_and_b32_e32 v58, 0xffff0000, v58
	v_dual_fmac_f32 v32, v39, v42 :: v_dual_and_b32 v121, 0xffff0000, v121
	v_lshlrev_b32_e32 v100, 16, v19
	v_dual_mul_f32 v35, v54, v149 :: v_dual_and_b32 v172, 0xffff0000, v35
	s_delay_alu instid0(VALU_DEP_3) | instskip(SKIP_2) | instid1(VALU_DEP_3)
	v_dual_fmac_f32 v32, v5, v46 :: v_dual_and_b32 v109, 0xffff0000, v109
	v_and_b32_e32 v161, 0xffff0000, v161
	v_and_b32_e32 v177, 0xffff0000, v177
	v_dual_fmac_f32 v32, v103, v58 :: v_dual_and_b32 v181, 0xffff0000, v181
	v_and_b32_e32 v148, 0xffff0000, v148
	v_and_b32_e32 v82, 0xffff0000, v82
	;; [unrolled: 1-line block ×3, first 2 shown]
	v_lshlrev_b32_e32 v170, 16, v52
	v_and_b32_e32 v37, 0xffff0000, v37
	v_mul_f32_e32 v33, v173, v148
	v_and_b32_e32 v168, 0xffff0000, v168
	v_and_b32_e32 v41, 0xffff0000, v41
	;; [unrolled: 1-line block ×3, first 2 shown]
	s_delay_alu instid0(VALU_DEP_4) | instskip(SKIP_3) | instid1(VALU_DEP_4)
	v_dual_fmac_f32 v33, v170, v63 :: v_dual_and_b32 v16, 0xffff0000, v16
	v_dual_fmac_f32 v32, v100, v75 :: v_dual_and_b32 v5, 0xffff0000, v8
	v_and_b32_e32 v89, 0xffff0000, v89
	v_and_b32_e32 v40, 0xffff0000, v40
	v_fmac_f32_e32 v33, v175, v160
	v_and_b32_e32 v48, 0xffff0000, v48
	v_fmac_f32_e32 v32, v21, v79
	v_xor_b32_e32 v134, 1, v113
	s_delay_alu instid0(VALU_DEP_4) | instskip(SKIP_1) | instid1(VALU_DEP_4)
	v_fmac_f32_e32 v33, v185, v164
	v_and_b32_e32 v52, 0xffff0000, v52
	v_fmac_f32_e32 v32, v67, v91
	s_delay_alu instid0(VALU_DEP_4) | instskip(NEXT) | instid1(VALU_DEP_4)
	v_cmp_gt_i32_e64 s2, 32, v134
	v_fmac_f32_e32 v33, v187, v176
	s_delay_alu instid0(VALU_DEP_4) | instskip(NEXT) | instid1(VALU_DEP_4)
	v_dual_fmac_f32 v35, v52, v145 :: v_dual_and_b32 v152, 0xffff0000, v152
	v_dual_fmac_f32 v32, v130, v95 :: v_dual_and_b32 v93, 0xffff0000, v93
	s_delay_alu instid0(VALU_DEP_2) | instskip(NEXT) | instid1(VALU_DEP_1)
	v_dual_fmac_f32 v35, v48, v161 :: v_dual_and_b32 v48, 0xffff0000, v18
	v_dual_fmac_f32 v35, v50, v165 :: v_dual_and_b32 v124, 0xffff0000, v124
	s_delay_alu instid0(VALU_DEP_1) | instskip(NEXT) | instid1(VALU_DEP_1)
	v_dual_fmac_f32 v35, v172, v177 :: v_dual_and_b32 v120, 0xffff0000, v120
	v_dual_fmac_f32 v35, v37, v181 :: v_dual_and_b32 v104, 0xffff0000, v104
	s_delay_alu instid0(VALU_DEP_1) | instskip(NEXT) | instid1(VALU_DEP_1)
	v_fmac_f32_e32 v35, v116, v41
	v_dual_fmac_f32 v35, v10, v45 :: v_dual_and_b32 v76, 0xffff0000, v76
	v_and_b32_e32 v10, 0xffff0000, v133
	s_delay_alu instid0(VALU_DEP_2) | instskip(SKIP_3) | instid1(VALU_DEP_2)
	v_fmac_f32_e32 v35, v16, v57
	ds_load_b128 v[16:19], v118 offset:102
	v_fmac_f32_e32 v35, v48, v61
	v_fmac_f32_e32 v31, v36, v62
	;; [unrolled: 1-line block ×3, first 2 shown]
	s_delay_alu instid0(VALU_DEP_1) | instskip(NEXT) | instid1(VALU_DEP_1)
	v_fmac_f32_e32 v35, v5, v77
	v_fmac_f32_e32 v35, v10, v89
	v_dual_fmac_f32 v33, v189, v180 :: v_dual_and_b32 v106, 0xffff0000, v106
	s_delay_alu instid0(VALU_DEP_1) | instskip(NEXT) | instid1(VALU_DEP_1)
	v_fmac_f32_e32 v33, v191, v40
	v_fmac_f32_e32 v33, v102, v44
	s_delay_alu instid0(VALU_DEP_1) | instskip(NEXT) | instid1(VALU_DEP_1)
	v_dual_fmac_f32 v33, v4, v56 :: v_dual_and_b32 v4, 0xffff0000, v9
	v_fmac_f32_e32 v33, v86, v60
	v_fmac_f32_e32 v31, v7, v74
	ds_load_b128 v[6:9], v118 offset:118
	s_waitcnt lgkmcnt(1)
	v_and_b32_e32 v5, 0xffff0000, v16
	v_and_b32_e32 v11, 0xffff0000, v17
	v_fmac_f32_e32 v33, v101, v72
	v_dual_fmac_f32 v31, v4, v78 :: v_dual_lshlrev_b32 v4, 16, v16
	v_lshlrev_b32_e32 v10, 16, v17
	s_delay_alu instid0(VALU_DEP_3)
	v_dual_fmac_f32 v32, v11, v111 :: v_dual_fmac_f32 v33, v66, v76
	ds_load_b128 v[48:51], v118 offset:134
	ds_load_b128 v[52:55], v118 offset:150
	v_fmac_f32_e32 v31, v4, v90
	v_dual_fmac_f32 v35, v10, v93 :: v_dual_lshlrev_b32 v4, 16, v18
	v_dual_fmac_f32 v33, v12, v88 :: v_dual_lshlrev_b32 v10, 16, v19
	s_delay_alu instid0(VALU_DEP_2) | instskip(NEXT) | instid1(VALU_DEP_2)
	v_dual_fmac_f32 v31, v4, v94 :: v_dual_and_b32 v4, 0xffff0000, v19
	v_fmac_f32_e32 v33, v5, v92
	v_and_b32_e32 v5, 0xffff0000, v18
	v_and_b32_e32 v107, 0xffff0000, v107
	s_waitcnt lgkmcnt(2)
	v_lshlrev_b32_e32 v11, 16, v6
	v_fmac_f32_e32 v32, v4, v106
	v_dual_fmac_f32 v33, v5, v104 :: v_dual_lshlrev_b32 v4, 16, v7
	v_and_b32_e32 v5, 0xffff0000, v6
	s_delay_alu instid0(VALU_DEP_4)
	v_fmac_f32_e32 v31, v11, v107
	v_and_b32_e32 v6, 0xffff0000, v7
	v_and_b32_e32 v7, 0xffff0000, v8
	ds_load_b128 v[16:19], v118 offset:166
	v_fmac_f32_e32 v33, v5, v108
	v_dual_fmac_f32 v32, v6, v127 :: v_dual_lshlrev_b32 v5, 16, v8
	s_waitcnt lgkmcnt(2)
	v_lshlrev_b32_e32 v6, 16, v48
	s_waitcnt lgkmcnt(1)
	v_dual_fmac_f32 v33, v7, v120 :: v_dual_lshlrev_b32 v8, 16, v55
	v_fmac_f32_e32 v31, v5, v110
	v_and_b32_e32 v5, 0xffff0000, v9
	v_and_b32_e32 v105, 0xffff0000, v105
	v_lshlrev_b32_e32 v7, 16, v49
	s_delay_alu instid0(VALU_DEP_3) | instskip(NEXT) | instid1(VALU_DEP_3)
	v_dual_fmac_f32 v31, v6, v123 :: v_dual_fmac_f32 v32, v5, v122
	v_fmac_f32_e32 v35, v10, v105
	v_and_b32_e32 v5, 0xffff0000, v49
	s_delay_alu instid0(VALU_DEP_2) | instskip(SKIP_1) | instid1(VALU_DEP_3)
	v_dual_fmac_f32 v35, v4, v109 :: v_dual_and_b32 v6, 0xffff0000, v50
	v_lshlrev_b32_e32 v4, 16, v9
	v_fmac_f32_e32 v32, v5, v139
	v_lshlrev_b32_e32 v5, 16, v51
	v_and_b32_e32 v9, 0xffff0000, v55
	s_delay_alu instid0(VALU_DEP_4) | instskip(NEXT) | instid1(VALU_DEP_1)
	v_dual_fmac_f32 v35, v4, v121 :: v_dual_and_b32 v4, 0xffff0000, v48
	v_fmac_f32_e32 v35, v7, v125
	s_delay_alu instid0(VALU_DEP_2) | instskip(SKIP_1) | instid1(VALU_DEP_3)
	v_dual_fmac_f32 v33, v4, v124 :: v_dual_lshlrev_b32 v4, 16, v50
	v_lshlrev_b32_e32 v7, 16, v53
	v_fmac_f32_e32 v35, v5, v137
	s_delay_alu instid0(VALU_DEP_3) | instskip(NEXT) | instid1(VALU_DEP_4)
	v_fmac_f32_e32 v33, v6, v136
	v_dual_fmac_f32 v31, v4, v126 :: v_dual_and_b32 v4, 0xffff0000, v51
	v_lshlrev_b32_e32 v5, 16, v52
	s_delay_alu instid0(VALU_DEP_4) | instskip(NEXT) | instid1(VALU_DEP_3)
	v_dual_fmac_f32 v35, v7, v141 :: v_dual_and_b32 v6, 0xffff0000, v52
	v_fmac_f32_e32 v32, v4, v143
	s_delay_alu instid0(VALU_DEP_3) | instskip(NEXT) | instid1(VALU_DEP_3)
	v_dual_fmac_f32 v31, v5, v138 :: v_dual_and_b32 v4, 0xffff0000, v53
	v_fmac_f32_e32 v33, v6, v140
	v_lshlrev_b32_e32 v5, 16, v54
	ds_load_b64 v[6:7], v118 offset:182
	v_fmac_f32_e32 v32, v4, v155
	v_dual_fmac_f32 v35, v8, v153 :: v_dual_and_b32 v4, 0xffff0000, v54
	v_fmac_f32_e32 v31, v5, v142
	s_waitcnt lgkmcnt(1)
	v_lshlrev_b32_e32 v5, 16, v16
	ds_load_u16 v8, v118 offset:190
	v_fmac_f32_e32 v33, v4, v152
	v_and_b32_e32 v4, 0xffff0000, v16
	v_fmac_f32_e32 v32, v9, v159
	v_fmac_f32_e32 v31, v5, v154
	v_lshlrev_b32_e32 v5, 16, v17
	v_and_b32_e32 v9, 0xffff0000, v17
	v_dual_fmac_f32 v33, v4, v156 :: v_dual_lshlrev_b32 v4, 16, v18
	s_delay_alu instid0(VALU_DEP_3) | instskip(NEXT) | instid1(VALU_DEP_3)
	v_dual_fmac_f32 v35, v5, v157 :: v_dual_and_b32 v10, 0xffff0000, v18
	v_dual_fmac_f32 v32, v9, v169 :: v_dual_lshlrev_b32 v5, 16, v19
	s_delay_alu instid0(VALU_DEP_3) | instskip(NEXT) | instid1(VALU_DEP_3)
	v_fmac_f32_e32 v31, v4, v158
	v_dual_fmac_f32 v33, v10, v168 :: v_dual_and_b32 v4, 0xffff0000, v19
	s_waitcnt lgkmcnt(1)
	v_and_b32_e32 v9, 0xffff0000, v6
	v_fmac_f32_e32 v35, v5, v144
	v_lshlrev_b32_e32 v5, 16, v7
	v_lshlrev_b32_e32 v6, 16, v6
	s_delay_alu instid0(VALU_DEP_4) | instskip(NEXT) | instid1(VALU_DEP_3)
	v_dual_fmac_f32 v32, v4, v83 :: v_dual_fmac_f32 v33, v9, v82
	v_dual_fmac_f32 v35, v5, v81 :: v_dual_and_b32 v4, 0xffff0000, v7
	v_and_b32_e32 v5, 0xffff0000, v28
	s_delay_alu instid0(VALU_DEP_4)
	v_fmac_f32_e32 v31, v6, v80
	s_waitcnt lgkmcnt(0)
	v_lshlrev_b32_e32 v6, 16, v8
	v_fmac_f32_e32 v32, v4, v135
	v_add_f32_e32 v4, v33, v35
	v_cndmask_b32_e64 v7, v113, v134, s2
	s_delay_alu instid0(VALU_DEP_2) | instskip(NEXT) | instid1(VALU_DEP_1)
	v_dual_fmac_f32 v31, v6, v5 :: v_dual_add_f32 v4, v4, v32
	v_dual_add_f32 v6, v31, v4 :: v_dual_lshlrev_b32 v5, 2, v7
	ds_bpermute_b32 v7, v5, v6
	s_and_saveexec_b32 s20, vcc_lo
	s_cbranch_execz .LBB413_11
; %bb.1169:                             ;   in Loop: Header=BB413_13 Depth=1
	scratch_load_b32 v4, off, s32 offset:328 ; 4-byte Folded Reload
	s_load_b32 s21, s[8:9], 0x0
	s_waitcnt lgkmcnt(0)
	v_add_f32_e32 v5, v6, v7
	v_max_f32_e32 v6, v114, v114
	s_waitcnt vmcnt(0)
	v_add_nc_u32_e32 v4, v4, v119
	s_delay_alu instid0(VALU_DEP_1) | instskip(NEXT) | instid1(VALU_DEP_1)
	v_cvt_f32_i32_e32 v4, v4
	v_mul_f32_e32 v4, v112, v4
	s_delay_alu instid0(VALU_DEP_1) | instskip(NEXT) | instid1(VALU_DEP_1)
	v_cndmask_b32_e64 v4, 0, v4, s1
	v_fmac_f32_e32 v4, v5, v13
	s_delay_alu instid0(VALU_DEP_1) | instskip(NEXT) | instid1(VALU_DEP_1)
	v_dual_max_f32 v6, v6, v4 :: v_dual_add_nc_u32 v5, v1, v119
	v_cmp_lt_i32_e64 s2, v5, v85
	v_add_nc_u32_e32 v5, s21, v129
	s_delay_alu instid0(VALU_DEP_2) | instskip(NEXT) | instid1(VALU_DEP_4)
	v_cndmask_b32_e64 v4, 0, v4, s2
	v_cndmask_b32_e64 v114, v114, v6, s2
	ds_store_b32 v5, v4
	s_branch .LBB413_11
.LBB413_1170:
	s_or_b32 exec_lo, exec_lo, s19
	s_clause 0x6
	scratch_load_b32 v11, off, s32 offset:344
	scratch_load_b32 v10, off, s32 offset:348
	;; [unrolled: 1-line block ×3, first 2 shown]
	scratch_load_b64 v[48:49], off, s32 offset:356
	scratch_load_b32 v21, off, s32 offset:364
	scratch_load_b32 v38, off, s32 offset:368
	;; [unrolled: 1-line block ×3, first 2 shown]
	v_lshlrev_b32_e32 v39, 3, v84
	v_sub_nc_u32_e32 v50, 0, v30
.LBB413_1171:
	s_or_b32 exec_lo, exec_lo, s18
	v_xor_b32_e32 v6, 16, v113
	s_waitcnt lgkmcnt(0)
	v_xor_b32_e32 v7, 8, v113
	v_lshrrev_b32_e32 v1, 5, v84
	v_and_b32_e32 v16, 31, v84
	s_lshr_b32 s8, s17, 16
	v_cmp_gt_i32_e32 vcc_lo, 32, v6
	s_delay_alu instid0(VALU_DEP_3) | instskip(SKIP_2) | instid1(VALU_DEP_1)
	v_dual_cndmask_b32 v6, v113, v6 :: v_dual_lshlrev_b32 v19, 2, v1
	v_cmp_gt_i32_e32 vcc_lo, 32, v7
	v_dual_max_f32 v8, v114, v114 :: v_dual_cndmask_b32 v7, v113, v7
	v_lshlrev_b32_e32 v13, 2, v7
	s_delay_alu instid0(VALU_DEP_4) | instskip(SKIP_3) | instid1(VALU_DEP_1)
	v_lshlrev_b32_e32 v9, 2, v6
	ds_bpermute_b32 v6, v9, v114
	s_waitcnt lgkmcnt(0)
	v_max_f32_e32 v6, v6, v6
	v_max_f32_e32 v6, v8, v6
	v_xor_b32_e32 v8, 4, v113
	ds_bpermute_b32 v7, v13, v6
	v_cmp_gt_i32_e32 vcc_lo, 32, v8
	v_cndmask_b32_e32 v8, v113, v8, vcc_lo
	s_delay_alu instid0(VALU_DEP_1) | instskip(SKIP_1) | instid1(VALU_DEP_1)
	v_lshlrev_b32_e32 v18, 2, v8
	v_xor_b32_e32 v8, 2, v113
	v_cmp_gt_i32_e32 vcc_lo, 32, v8
	s_waitcnt lgkmcnt(0)
	v_dual_max_f32 v7, v7, v7 :: v_dual_cndmask_b32 v8, v113, v8
	v_cmp_eq_u32_e32 vcc_lo, 0, v16
	s_delay_alu instid0(VALU_DEP_2) | instskip(NEXT) | instid1(VALU_DEP_3)
	v_max_f32_e32 v6, v6, v7
	v_lshlrev_b32_e32 v8, 2, v8
	ds_bpermute_b32 v7, v18, v6
	s_waitcnt lgkmcnt(0)
	v_max_f32_e32 v7, v7, v7
	s_delay_alu instid0(VALU_DEP_1)
	v_max_f32_e32 v6, v6, v7
	ds_bpermute_b32 v7, v8, v6
	s_and_saveexec_b32 s1, vcc_lo
	s_cbranch_execz .LBB413_1173
; %bb.1172:
	s_waitcnt lgkmcnt(0)
	v_dual_max_f32 v1, v7, v7 :: v_dual_max_f32 v4, v6, v6
	s_delay_alu instid0(VALU_DEP_1)
	v_max_f32_e32 v1, v4, v1
	ds_store_b32 v19, v1 offset:384
.LBB413_1173:
	s_or_b32 exec_lo, exec_lo, s1
	v_cmp_gt_u32_e64 s1, 4, v16
	v_mov_b32_e32 v6, 0xff7fffff
	v_lshlrev_b32_e32 v24, 2, v16
	s_waitcnt vmcnt(0) lgkmcnt(0)
	s_waitcnt_vscnt null, 0x0
	s_barrier
	buffer_gl0_inv
	s_and_saveexec_b32 s2, s1
	s_cbranch_execz .LBB413_1175
; %bb.1174:
	ds_load_b32 v6, v24 offset:384
.LBB413_1175:
	s_or_b32 exec_lo, exec_lo, s2
	s_waitcnt lgkmcnt(0)
	ds_bpermute_b32 v1, v8, v6
	v_xor_b32_e32 v4, 1, v113
	v_max_f32_e32 v5, v6, v6
	v_mov_b32_e32 v25, 0
	s_delay_alu instid0(VALU_DEP_3) | instskip(NEXT) | instid1(VALU_DEP_1)
	v_cmp_gt_i32_e64 s2, 32, v4
	v_cndmask_b32_e64 v4, v113, v4, s2
	s_delay_alu instid0(VALU_DEP_1) | instskip(SKIP_2) | instid1(VALU_DEP_1)
	v_lshlrev_b32_e32 v17, 2, v4
	s_waitcnt lgkmcnt(0)
	v_max_f32_e32 v1, v1, v1
	v_max_f32_e32 v1, v5, v1
	v_subrev_nc_u32_e32 v5, s13, v98
	ds_bpermute_b32 v4, v17, v1
	s_waitcnt lgkmcnt(0)
	v_max_f32_e32 v4, v4, v4
	s_delay_alu instid0(VALU_DEP_1) | instskip(SKIP_3) | instid1(VALU_DEP_1)
	v_max_f32_e32 v1, v1, v4
	v_lshl_add_u32 v4, v5, 4, s15
	ds_bpermute_b32 v6, v25, v1
	v_min_i32_e32 v1, v4, v85
	v_subrev_nc_u32_e32 v7, s15, v1
	s_delay_alu instid0(VALU_DEP_1) | instskip(NEXT) | instid1(VALU_DEP_1)
	v_cmp_lt_i32_e64 s2, v84, v7
	s_and_saveexec_b32 s9, s2
	s_cbranch_execz .LBB413_1179
; %bb.1176:
	s_getpc_b64 s[18:19]
	s_add_u32 s18, s18, llvm.amdgcn.dynlds.offset.table@rel32@lo+4
	s_addc_u32 s19, s19, llvm.amdgcn.dynlds.offset.table@rel32@hi+12
	s_ashr_i32 s11, s10, 31
	v_mov_b32_e32 v25, 0
	s_lshl_b64 s[20:21], s[10:11], 2
	v_mov_b32_e32 v29, v84
	s_add_u32 s18, s20, s18
	s_addc_u32 s19, s21, s19
	s_mov_b32 s11, 0
	s_load_b32 s3, s[18:19], 0x0
	s_waitcnt lgkmcnt(0)
	v_lshl_add_u32 v28, v84, 2, s3
	.p2align	6
.LBB413_1177:                           ; =>This Inner Loop Header: Depth=1
	ds_load_b32 v1, v28
	v_add_nc_u32_e32 v29, 0x80, v29
	s_delay_alu instid0(VALU_DEP_1) | instskip(NEXT) | instid1(VALU_DEP_1)
	v_cmp_ge_i32_e64 s3, v29, v7
	s_or_b32 s11, s3, s11
	s_waitcnt lgkmcnt(0)
	v_sub_f32_e32 v1, v1, v6
	s_delay_alu instid0(VALU_DEP_1) | instskip(NEXT) | instid1(VALU_DEP_1)
	v_mul_f32_e32 v1, 0x3fb8aa3b, v1
	v_exp_f32_e32 v1, v1
	ds_store_b32 v28, v1
	v_dual_add_f32 v25, v25, v1 :: v_dual_add_nc_u32 v28, 0x200, v28
	s_and_not1_b32 exec_lo, exec_lo, s11
	s_cbranch_execnz .LBB413_1177
; %bb.1178:
	s_or_b32 exec_lo, exec_lo, s11
.LBB413_1179:
	s_delay_alu instid0(SALU_CYCLE_1)
	s_or_b32 exec_lo, exec_lo, s9
	ds_bpermute_b32 v1, v9, v25
	s_waitcnt lgkmcnt(0)
	v_add_f32_e32 v1, v25, v1
	ds_bpermute_b32 v4, v13, v1
	s_waitcnt lgkmcnt(0)
	v_add_f32_e32 v1, v1, v4
	;; [unrolled: 3-line block ×5, first 2 shown]
	s_and_saveexec_b32 s3, vcc_lo
	s_cbranch_execz .LBB413_1181
; %bb.1180:
	ds_store_b32 v19, v9 offset:400
.LBB413_1181:
	s_or_b32 exec_lo, exec_lo, s3
	s_waitcnt lgkmcnt(0)
	s_barrier
	buffer_gl0_inv
	s_and_saveexec_b32 s3, s1
	s_cbranch_execz .LBB413_1183
; %bb.1182:
	ds_load_b32 v9, v24 offset:400
.LBB413_1183:
	s_or_b32 exec_lo, exec_lo, s3
	s_waitcnt lgkmcnt(0)
	ds_bpermute_b32 v1, v8, v9
	s_waitcnt lgkmcnt(0)
	v_add_f32_e32 v1, v9, v1
	ds_bpermute_b32 v4, v17, v1
	s_waitcnt lgkmcnt(0)
	v_dual_add_f32 v1, v1, v4 :: v_dual_mov_b32 v4, 0
	ds_bpermute_b32 v8, v4, v1
	s_and_saveexec_b32 s1, s2
	s_cbranch_execz .LBB413_1186
; %bb.1184:
	s_waitcnt lgkmcnt(0)
	v_dual_add_f32 v1, 0x358637bd, v8 :: v_dual_mov_b32 v18, v84
	s_getpc_b64 s[2:3]
	s_add_u32 s2, s2, llvm.amdgcn.dynlds.offset.table@rel32@lo+4
	s_addc_u32 s3, s3, llvm.amdgcn.dynlds.offset.table@rel32@hi+12
	s_ashr_i32 s11, s10, 31
	s_delay_alu instid0(SALU_CYCLE_1) | instskip(SKIP_3) | instid1(VALU_DEP_2)
	s_lshl_b64 s[18:19], s[10:11], 2
	v_div_scale_f32 v4, null, v1, v1, 1.0
	v_div_scale_f32 v13, vcc_lo, 1.0, v1, 1.0
	s_add_u32 s2, s18, s2
	v_rcp_f32_e32 v5, v4
	s_addc_u32 s3, s19, s3
	s_load_b32 s2, s[2:3], 0x0
	s_waitcnt_depctr 0xfff
	v_fma_f32 v9, -v4, v5, 1.0
	s_delay_alu instid0(VALU_DEP_1) | instskip(NEXT) | instid1(VALU_DEP_1)
	v_fmac_f32_e32 v5, v9, v5
	v_mul_f32_e32 v9, v13, v5
	s_delay_alu instid0(VALU_DEP_1) | instskip(NEXT) | instid1(VALU_DEP_1)
	v_fma_f32 v12, -v4, v9, v13
	v_fmac_f32_e32 v9, v12, v5
	s_delay_alu instid0(VALU_DEP_1) | instskip(NEXT) | instid1(VALU_DEP_1)
	v_fma_f32 v4, -v4, v9, v13
	v_div_fmas_f32 v4, v4, v5, v9
	s_waitcnt lgkmcnt(0)
	v_lshl_add_u32 v9, v84, 2, s2
	s_mov_b32 s2, 0
	s_delay_alu instid0(VALU_DEP_2)
	v_div_fixup_f32 v13, v4, v1, 1.0
.LBB413_1185:                           ; =>This Inner Loop Header: Depth=1
	ds_load_b32 v1, v9
	s_waitcnt lgkmcnt(0)
	v_dual_mul_f32 v1, v13, v1 :: v_dual_add_nc_u32 v18, 0x80, v18
	s_delay_alu instid0(VALU_DEP_1) | instskip(SKIP_3) | instid1(SALU_CYCLE_1)
	v_cmp_ge_i32_e32 vcc_lo, v18, v7
	ds_store_b32 v9, v1
	v_add_nc_u32_e32 v9, 0x200, v9
	s_or_b32 s2, vcc_lo, s2
	s_and_not1_b32 exec_lo, exec_lo, s2
	s_cbranch_execnz .LBB413_1185
.LBB413_1186:
	s_or_b32 exec_lo, exec_lo, s1
	v_cmp_ne_u16_e64 s1, s8, 0
	s_mov_b32 s2, exec_lo
	s_waitcnt lgkmcnt(0)
	s_barrier
	buffer_gl0_inv
	s_cmp_lg_u32 s1, 0
	s_addc_u32 s1, s7, 0
	v_cmpx_eq_u32_e32 0, v84
	s_cbranch_execz .LBB413_1188
; %bb.1187:
	s_mul_i32 s3, s1, s4
	s_mul_i32 s8, s1, s12
	;; [unrolled: 1-line block ×3, first 2 shown]
	s_ashr_i32 s9, s8, 31
	s_ashr_i32 s15, s14, 31
	s_ashr_i32 s13, s12, 31
	s_lshl_b64 s[8:9], s[8:9], 2
	s_lshl_b64 s[18:19], s[14:15], 2
	;; [unrolled: 1-line block ×3, first 2 shown]
	s_add_u32 s3, s18, s8
	s_addc_u32 s7, s19, s9
	s_add_u32 s3, s3, s12
	s_addc_u32 s7, s7, s13
	v_add_co_u32 v2, vcc_lo, s3, v2
	v_add_co_ci_u32_e32 v3, vcc_lo, s7, v3, vcc_lo
	v_add_co_u32 v0, vcc_lo, s3, v0
	v_add_co_ci_u32_e32 v1, vcc_lo, s7, v37, vcc_lo
	flat_store_b32 v[2:3], v6
	flat_store_b32 v[0:1], v8
.LBB413_1188:
	s_or_b32 exec_lo, exec_lo, s2
	s_getpc_b64 s[2:3]
	s_add_u32 s2, s2, llvm.amdgcn.dynlds.offset.table@rel32@lo+4
	s_addc_u32 s3, s3, llvm.amdgcn.dynlds.offset.table@rel32@hi+12
	s_ashr_i32 s11, s10, 31
	v_dual_mov_b32 v36, 0 :: v_dual_mov_b32 v35, 0
	s_lshl_b64 s[8:9], s[10:11], 2
	v_dual_mov_b32 v34, 0 :: v_dual_mov_b32 v33, 0
	s_add_u32 s2, s8, s2
	s_addc_u32 s3, s9, s3
	v_dual_mov_b32 v32, 0 :: v_dual_mov_b32 v31, 0
	s_load_b32 s11, s[2:3], 0x0
	v_dual_mov_b32 v29, 0 :: v_dual_mov_b32 v28, 0
	v_dual_mov_b32 v25, 0 :: v_dual_mov_b32 v24, 0
	;; [unrolled: 1-line block ×3, first 2 shown]
	s_mov_b32 s10, 0
	s_waitcnt lgkmcnt(0)
	v_mov_b32_e32 v37, s11
	s_and_saveexec_b32 s7, s0
	s_cbranch_execz .LBB413_2786
; %bb.1189:
	v_max_i32_e32 v30, v30, v50
	v_add_co_u32 v2, vcc_lo, v10, v21
	v_dual_mov_b32 v18, 0 :: v_dual_and_b32 v5, 0xf8, v39
	s_delay_alu instid0(VALU_DEP_3) | instskip(SKIP_3) | instid1(VALU_DEP_4)
	v_cvt_f32_u32_e32 v0, v30
	v_sub_nc_u32_e32 v7, 0, v30
	v_dual_mov_b32 v25, 0 :: v_dual_and_b32 v6, 1, v84
	v_add_co_ci_u32_e32 v3, vcc_lo, v11, v51, vcc_lo
	v_rcp_iflag_f32_e32 v4, v0
	v_lshlrev_b64 v[0:1], 2, v[64:65]
	s_delay_alu instid0(VALU_DEP_3)
	v_dual_mov_b32 v29, 0 :: v_dual_lshlrev_b32 v6, 5, v6
	v_add_co_u32 v11, vcc_lo, v2, v5
	v_lshrrev_b32_e32 v2, 5, v84
	v_add_co_ci_u32_e32 v12, vcc_lo, 0, v3, vcc_lo
	s_waitcnt_depctr 0xfff
	v_dual_mov_b32 v31, 0 :: v_dual_mul_f32 v4, 0x4f7ffffe, v4
	v_add_co_u32 v0, vcc_lo, v48, v0
	v_lshl_or_b32 v2, v2, 6, v6
	v_add_co_ci_u32_e32 v1, vcc_lo, v49, v1, vcc_lo
	s_delay_alu instid0(VALU_DEP_4) | instskip(NEXT) | instid1(VALU_DEP_4)
	v_cvt_u32_f32_e32 v4, v4
	v_add_co_u32 v13, vcc_lo, v14, v0
	v_dual_mov_b32 v10, 0 :: v_dual_and_b32 v37, 8, v39
	s_delay_alu instid0(VALU_DEP_3)
	v_mul_lo_u32 v7, v7, v4
	v_dual_mov_b32 v19, 0 :: v_dual_add_nc_u32 v38, -1, v38
	v_dual_mov_b32 v24, 0 :: v_dual_mov_b32 v33, 0
	v_dual_mov_b32 v28, 0 :: v_dual_mov_b32 v35, 0
	v_mov_b32_e32 v34, 0
	v_mul_hi_u32 v3, v4, v7
	v_mov_b32_e32 v32, 0
	v_add_nc_u32_e32 v48, s11, v2
	v_add_co_ci_u32_e32 v14, vcc_lo, v15, v1, vcc_lo
	v_mov_b32_e32 v36, 0
	s_mov_b32 s8, -1
	s_mov_b32 s9, 0xffffff
	v_add_nc_u32_e32 v15, v4, v3
	s_branch .LBB413_1192
.LBB413_1190:                           ;   in Loop: Header=BB413_1192 Depth=1
	s_or_b32 exec_lo, exec_lo, s0
	v_and_b32_e32 v5, 0xffff0000, v7
	v_and_b32_e32 v21, 0xffff0000, v109
	;; [unrolled: 1-line block ×7, first 2 shown]
	v_dual_add_f32 v21, v39, v21 :: v_dual_and_b32 v4, 0xffff0000, v107
	v_add_f32_e32 v5, v6, v5
	v_and_b32_e32 v7, 0xffff0000, v106
	v_and_b32_e32 v39, 0xffff0000, v93
	;; [unrolled: 1-line block ×5, first 2 shown]
	v_dual_add_f32 v4, v7, v4 :: v_dual_and_b32 v7, 0xffff0000, v111
	v_and_b32_e32 v71, 0xffff0000, v105
	s_delay_alu instid0(VALU_DEP_3) | instskip(NEXT) | instid1(VALU_DEP_3)
	v_dual_add_f32 v82, v100, v82 :: v_dual_and_b32 v49, 0xffff0000, v49
	v_dual_add_f32 v4, v5, v4 :: v_dual_and_b32 v3, 0xffff0000, v3
	v_and_b32_e32 v50, 0xffff0000, v50
	v_and_b32_e32 v52, 0xffff0000, v52
	s_delay_alu instid0(VALU_DEP_3)
	v_dual_add_f32 v4, v4, v21 :: v_dual_and_b32 v51, 0xffff0000, v51
	v_and_b32_e32 v21, 0xffff0000, v90
	v_and_b32_e32 v6, 0xffff0000, v110
	v_add_f32_e32 v49, v49, v50
	v_and_b32_e32 v1, 0xffff0000, v1
	v_and_b32_e32 v53, 0xffff0000, v53
	s_delay_alu instid0(VALU_DEP_4) | instskip(SKIP_4) | instid1(VALU_DEP_4)
	v_dual_add_f32 v6, v6, v7 :: v_dual_and_b32 v9, 0xffff0000, v9
	v_and_b32_e32 v7, 0xffff0000, v91
	v_and_b32_e32 v5, 0xffff0000, v95
	;; [unrolled: 1-line block ×3, first 2 shown]
	v_add_f32_e32 v50, v51, v52
	v_dual_add_f32 v4, v4, v6 :: v_dual_add_f32 v7, v21, v7
	v_and_b32_e32 v68, 0xffff0000, v92
	v_dual_add_f32 v5, v69, v5 :: v_dual_and_b32 v70, 0xffff0000, v104
	s_delay_alu instid0(VALU_DEP_3) | instskip(NEXT) | instid1(VALU_DEP_3)
	v_add_f32_e32 v19, v19, v4
	v_dual_add_f32 v21, v68, v39 :: v_dual_and_b32 v0, 0xffff0000, v0
	v_and_b32_e32 v39, 0xffff0000, v77
	v_and_b32_e32 v68, 0xffff0000, v75
	;; [unrolled: 1-line block ×3, first 2 shown]
	s_delay_alu instid0(VALU_DEP_4) | instskip(SKIP_1) | instid1(VALU_DEP_4)
	v_add_f32_e32 v0, v0, v1
	v_add_f32_e32 v7, v7, v21
	v_dual_add_f32 v39, v81, v39 :: v_dual_add_f32 v68, v80, v68
	v_and_b32_e32 v21, 0xffff0000, v79
	s_delay_alu instid0(VALU_DEP_3) | instskip(SKIP_1) | instid1(VALU_DEP_4)
	v_dual_add_f32 v5, v7, v5 :: v_dual_and_b32 v80, 0xffff0000, v72
	v_dual_add_f32 v7, v70, v71 :: v_dual_and_b32 v70, 0xffff0000, v88
	;; [unrolled: 1-line block ×3, first 2 shown]
	v_and_b32_e32 v71, 0xffff0000, v58
	s_delay_alu instid0(VALU_DEP_3) | instskip(SKIP_3) | instid1(VALU_DEP_4)
	v_add_f32_e32 v5, v5, v7
	v_and_b32_e32 v69, 0xffff0000, v78
	v_and_b32_e32 v81, 0xffff0000, v73
	v_dual_add_f32 v7, v70, v68 :: v_dual_and_b32 v68, 0xffff0000, v61
	v_add_f32_e32 v24, v24, v5
	s_delay_alu instid0(VALU_DEP_4) | instskip(SKIP_2) | instid1(VALU_DEP_3)
	v_dual_add_f32 v21, v69, v21 :: v_dual_and_b32 v70, 0xffff0000, v59
	v_and_b32_e32 v69, 0xffff0000, v60
	v_dual_add_f32 v1, v2, v3 :: v_dual_and_b32 v2, 0xffff0000, v8
	v_add_f32_e32 v6, v39, v21
	s_delay_alu instid0(VALU_DEP_4) | instskip(NEXT) | instid1(VALU_DEP_4)
	v_add_f32_e32 v70, v71, v70
	v_dual_add_f32 v68, v69, v68 :: v_dual_and_b32 v69, 0xffff0000, v47
	v_add_f32_e32 v71, v86, v83
	s_delay_alu instid0(VALU_DEP_4) | instskip(NEXT) | instid1(VALU_DEP_3)
	v_dual_add_f32 v6, v6, v7 :: v_dual_and_b32 v83, 0xffff0000, v46
	v_dual_add_f32 v68, v70, v68 :: v_dual_and_b32 v39, 0xffff0000, v62
	s_delay_alu instid0(VALU_DEP_3) | instskip(NEXT) | instid1(VALU_DEP_3)
	v_add_f32_e32 v70, v71, v82
	v_add_f32_e32 v69, v83, v69
	s_delay_alu instid0(VALU_DEP_4) | instskip(SKIP_4) | instid1(VALU_DEP_4)
	v_dual_add_f32 v25, v25, v6 :: v_dual_and_b32 v6, 0xffff0000, v183
	v_and_b32_e32 v21, 0xffff0000, v63
	v_and_b32_e32 v71, 0xffff0000, v57
	v_dual_add_f32 v3, v49, v50 :: v_dual_add_f32 v0, v0, v1
	v_add_f32_e32 v1, v2, v9
	v_add_f32_e32 v21, v39, v21
	v_and_b32_e32 v39, 0xffff0000, v56
	v_and_b32_e32 v2, 0xffff0000, v67
	s_delay_alu instid0(VALU_DEP_4) | instskip(NEXT) | instid1(VALU_DEP_4)
	v_add_f32_e32 v0, v0, v1
	v_add_f32_e32 v7, v68, v21
	;; [unrolled: 1-line block ×4, first 2 shown]
	v_dual_add_f32 v39, v39, v71 :: v_dual_and_b32 v70, 0xffff0000, v40
	v_and_b32_e32 v80, 0xffff0000, v162
	v_and_b32_e32 v69, 0xffff0000, v182
	v_and_b32_e32 v81, 0xffff0000, v164
	v_and_b32_e32 v71, 0xffff0000, v41
	v_add_f32_e32 v5, v68, v39
	v_and_b32_e32 v39, 0xffff0000, v178
	v_and_b32_e32 v68, 0xffff0000, v180
	v_add_f32_e32 v4, v7, v21
	v_and_b32_e32 v7, 0xffff0000, v181
	v_dual_add_f32 v6, v69, v6 :: v_dual_and_b32 v21, 0xffff0000, v179
	s_delay_alu instid0(VALU_DEP_3) | instskip(NEXT) | instid1(VALU_DEP_3)
	v_dual_add_f32 v28, v28, v4 :: v_dual_and_b32 v69, 0xffff0000, v166
	v_add_f32_e32 v7, v68, v7
	s_delay_alu instid0(VALU_DEP_3) | instskip(SKIP_2) | instid1(VALU_DEP_3)
	v_add_f32_e32 v21, v39, v21
	v_and_b32_e32 v39, 0xffff0000, v165
	v_and_b32_e32 v68, 0xffff0000, v163
	v_add_f32_e32 v7, v21, v7
	s_delay_alu instid0(VALU_DEP_2) | instskip(SKIP_2) | instid1(VALU_DEP_4)
	v_dual_add_f32 v39, v81, v39 :: v_dual_add_f32 v68, v80, v68
	v_and_b32_e32 v21, 0xffff0000, v167
	v_and_b32_e32 v80, 0xffff0000, v116
	v_dual_add_f32 v6, v7, v6 :: v_dual_add_f32 v7, v70, v71
	s_delay_alu instid0(VALU_DEP_4) | instskip(SKIP_1) | instid1(VALU_DEP_3)
	v_dual_add_f32 v39, v68, v39 :: v_dual_and_b32 v70, 0xffff0000, v176
	v_and_b32_e32 v68, 0xffff0000, v177
	v_dual_add_f32 v21, v69, v21 :: v_dual_add_f32 v4, v6, v7
	v_and_b32_e32 v7, 0xffff0000, v149
	s_delay_alu instid0(VALU_DEP_3) | instskip(NEXT) | instid1(VALU_DEP_3)
	v_dual_add_f32 v29, v29, v5 :: v_dual_add_f32 v6, v70, v68
	v_dual_add_f32 v5, v39, v21 :: v_dual_and_b32 v68, 0xffff0000, v148
	v_and_b32_e32 v21, 0xffff0000, v147
	v_and_b32_e32 v39, 0xffff0000, v146
	v_add_f32_e32 v31, v31, v4
	s_delay_alu instid0(VALU_DEP_4) | instskip(NEXT) | instid1(VALU_DEP_3)
	v_dual_add_f32 v7, v68, v7 :: v_dual_add_f32 v4, v5, v6
	v_dual_add_f32 v6, v39, v21 :: v_dual_and_b32 v5, 0xffff0000, v151
	v_and_b32_e32 v21, 0xffff0000, v150
	v_and_b32_e32 v68, 0xffff0000, v130
	;; [unrolled: 1-line block ×3, first 2 shown]
	s_delay_alu instid0(VALU_DEP_4) | instskip(NEXT) | instid1(VALU_DEP_4)
	v_dual_add_f32 v6, v6, v7 :: v_dual_and_b32 v71, 0xffff0000, v114
	v_add_f32_e32 v5, v21, v5
	v_and_b32_e32 v7, 0xffff0000, v133
	v_dual_add_f32 v32, v32, v4 :: v_dual_and_b32 v21, 0xffff0000, v131
	v_and_b32_e32 v4, 0xffff0000, v160
	v_and_b32_e32 v39, 0xffff0000, v161
	s_delay_alu instid0(VALU_DEP_4) | instskip(NEXT) | instid1(VALU_DEP_4)
	v_add_f32_e32 v7, v69, v7
	v_add_f32_e32 v21, v68, v21
	v_and_b32_e32 v68, 0xffff0000, v117
	v_and_b32_e32 v69, 0xffff0000, v115
	v_dual_add_f32 v4, v4, v39 :: v_dual_add_f32 v5, v6, v5
	s_delay_alu instid0(VALU_DEP_4) | instskip(SKIP_1) | instid1(VALU_DEP_4)
	v_add_f32_e32 v7, v21, v7
	v_and_b32_e32 v21, 0xffff0000, v119
	v_dual_add_f32 v69, v71, v69 :: v_dual_add_f32 v68, v80, v68
	v_and_b32_e32 v71, 0xffff0000, v118
	v_and_b32_e32 v6, 0xffff0000, v135
	;; [unrolled: 1-line block ×4, first 2 shown]
	v_add_f32_e32 v39, v69, v68
	v_dual_add_f32 v21, v71, v21 :: v_dual_and_b32 v68, 0xffff0000, v128
	s_delay_alu instid0(VALU_DEP_4) | instskip(SKIP_2) | instid1(VALU_DEP_4)
	v_add_f32_e32 v6, v70, v6
	v_and_b32_e32 v70, 0xffff0000, v145
	v_and_b32_e32 v69, 0xffff0000, v129
	v_add_f32_e32 v21, v39, v21
	v_and_b32_e32 v39, 0xffff0000, v54
	v_and_b32_e32 v54, 0xffff0000, v55
	v_dual_add_f32 v6, v7, v6 :: v_dual_and_b32 v55, 0xffff0000, v65
	v_add_f32_e32 v7, v81, v70
	s_delay_alu instid0(VALU_DEP_4) | instskip(SKIP_1) | instid1(VALU_DEP_2)
	v_dual_add_f32 v8, v53, v39 :: v_dual_and_b32 v39, 0xffff0000, v66
	v_add_f32_e32 v9, v68, v69
	v_dual_add_f32 v3, v3, v8 :: v_dual_add_f32 v8, v54, v55
	s_delay_alu instid0(VALU_DEP_3) | instskip(NEXT) | instid1(VALU_DEP_3)
	v_dual_add_f32 v1, v39, v2 :: v_dual_add_f32 v2, v5, v4
	v_dual_add_f32 v4, v6, v7 :: v_dual_add_f32 v5, v21, v9
	s_delay_alu instid0(VALU_DEP_2) | instskip(NEXT) | instid1(VALU_DEP_2)
	v_dual_add_f32 v3, v3, v8 :: v_dual_add_f32 v0, v0, v1
	v_dual_add_f32 v33, v33, v2 :: v_dual_add_f32 v34, v34, v4
	s_delay_alu instid0(VALU_DEP_2) | instskip(NEXT) | instid1(VALU_DEP_3)
	v_dual_add_f32 v35, v35, v5 :: v_dual_add_f32 v36, v36, v3
	v_add_f32_e32 v18, v18, v0
.LBB413_1191:                           ;   in Loop: Header=BB413_1192 Depth=1
	s_or_b32 exec_lo, exec_lo, s11
	v_add_nc_u32_e32 v64, 4, v64
	v_add_co_u32 v13, s0, v13, 16
	s_delay_alu instid0(VALU_DEP_1) | instskip(NEXT) | instid1(VALU_DEP_3)
	v_add_co_ci_u32_e64 v14, s0, 0, v14, s0
	v_cmp_ge_i32_e32 vcc_lo, v64, v98
	v_add_nc_u32_e32 v23, 64, v23
	v_add_nc_u32_e32 v48, 0x100, v48
	s_or_b32 s10, vcc_lo, s10
	s_delay_alu instid0(SALU_CYCLE_1)
	s_and_not1_b32 exec_lo, exec_lo, s10
	s_cbranch_execz .LBB413_2785
.LBB413_1192:                           ; =>This Inner Loop Header: Depth=1
	v_sub_nc_u32_e32 v0, 0, v23
	s_delay_alu instid0(VALU_DEP_1) | instskip(NEXT) | instid1(VALU_DEP_1)
	v_max_i32_e32 v0, v23, v0
	v_mul_hi_u32 v1, v0, v96
	s_delay_alu instid0(VALU_DEP_1) | instskip(NEXT) | instid1(VALU_DEP_1)
	v_mul_lo_u32 v2, v1, v87
	v_sub_nc_u32_e32 v0, v0, v2
	v_add_nc_u32_e32 v2, 1, v1
	s_delay_alu instid0(VALU_DEP_2) | instskip(SKIP_1) | instid1(VALU_DEP_2)
	v_sub_nc_u32_e32 v3, v0, v87
	v_cmp_ge_u32_e32 vcc_lo, v0, v87
	v_dual_cndmask_b32 v1, v1, v2 :: v_dual_cndmask_b32 v0, v0, v3
	v_ashrrev_i32_e32 v2, 31, v23
	s_delay_alu instid0(VALU_DEP_2) | instskip(NEXT) | instid1(VALU_DEP_3)
	v_add_nc_u32_e32 v3, 1, v1
	v_cmp_ge_u32_e32 vcc_lo, v0, v87
	s_delay_alu instid0(VALU_DEP_3) | instskip(NEXT) | instid1(VALU_DEP_3)
	v_xor_b32_e32 v2, v2, v97
	v_cndmask_b32_e32 v0, v1, v3, vcc_lo
	s_delay_alu instid0(VALU_DEP_1) | instskip(NEXT) | instid1(VALU_DEP_1)
	v_xor_b32_e32 v0, v0, v2
	v_sub_nc_u32_e32 v0, v0, v2
	s_delay_alu instid0(VALU_DEP_1) | instskip(SKIP_1) | instid1(VALU_DEP_2)
	v_add_nc_u32_e32 v1, v0, v20
	v_cmp_gt_i32_e64 s0, v0, v99
	v_sub_nc_u32_e32 v2, 0, v1
	s_delay_alu instid0(VALU_DEP_1) | instskip(NEXT) | instid1(VALU_DEP_1)
	v_max_i32_e32 v2, v1, v2
	v_mul_hi_u32 v3, v2, v15
	s_delay_alu instid0(VALU_DEP_1) | instskip(NEXT) | instid1(VALU_DEP_1)
	v_mul_lo_u32 v3, v3, v30
	v_sub_nc_u32_e32 v2, v2, v3
	s_delay_alu instid0(VALU_DEP_1) | instskip(SKIP_1) | instid1(VALU_DEP_2)
	v_sub_nc_u32_e32 v3, v2, v30
	v_cmp_ge_u32_e32 vcc_lo, v2, v30
	v_cndmask_b32_e32 v2, v2, v3, vcc_lo
	v_ashrrev_i32_e32 v1, 31, v1
	s_delay_alu instid0(VALU_DEP_2) | instskip(SKIP_1) | instid1(VALU_DEP_2)
	v_sub_nc_u32_e32 v3, v2, v30
	v_cmp_ge_u32_e32 vcc_lo, v2, v30
	v_cndmask_b32_e32 v2, v2, v3, vcc_lo
	s_delay_alu instid0(VALU_DEP_1) | instskip(NEXT) | instid1(VALU_DEP_1)
	v_xor_b32_e32 v2, v2, v1
	v_sub_nc_u32_e32 v1, v2, v1
	s_delay_alu instid0(VALU_DEP_1) | instskip(SKIP_1) | instid1(SALU_CYCLE_1)
	v_cmp_eq_u32_e32 vcc_lo, 0, v1
	s_or_b32 s0, vcc_lo, s0
	s_and_saveexec_b32 s11, s0
	s_cbranch_execz .LBB413_1191
; %bb.1193:                             ;   in Loop: Header=BB413_1192 Depth=1
	flat_load_b32 v66, v[13:14]
	ds_load_2addr_b64 v[6:9], v48 offset1:1
	ds_load_2addr_b64 v[0:3], v48 offset0:2 offset1:3
	s_mov_b32 s0, exec_lo
                                        ; implicit-def: $vgpr49
	s_waitcnt lgkmcnt(1)
	v_and_b32_e32 v4, 0x7f800000, v6
	s_delay_alu instid0(VALU_DEP_1)
	v_cmpx_ne_u32_e32 0x7f800000, v4
	s_xor_b32 s0, exec_lo, s0
; %bb.1194:                             ;   in Loop: Header=BB413_1192 Depth=1
	v_bfe_u32 v4, v6, 16, 1
	s_delay_alu instid0(VALU_DEP_1)
	v_add3_u32 v49, v6, v4, 0x7fff
; %bb.1195:                             ;   in Loop: Header=BB413_1192 Depth=1
	s_and_not1_saveexec_b32 s0, s0
; %bb.1196:                             ;   in Loop: Header=BB413_1192 Depth=1
	v_and_b32_e32 v4, 0xffff, v6
	v_or_b32_e32 v5, 0x10000, v6
	s_delay_alu instid0(VALU_DEP_2) | instskip(NEXT) | instid1(VALU_DEP_2)
	v_cmp_eq_u32_e32 vcc_lo, 0, v4
	v_cndmask_b32_e32 v49, v5, v6, vcc_lo
; %bb.1197:                             ;   in Loop: Header=BB413_1192 Depth=1
	s_or_b32 exec_lo, exec_lo, s0
	v_and_b32_e32 v4, 0x7f800000, v7
	s_mov_b32 s0, exec_lo
                                        ; implicit-def: $vgpr50
	s_delay_alu instid0(VALU_DEP_1)
	v_cmpx_ne_u32_e32 0x7f800000, v4
	s_xor_b32 s0, exec_lo, s0
; %bb.1198:                             ;   in Loop: Header=BB413_1192 Depth=1
	v_bfe_u32 v4, v7, 16, 1
	s_delay_alu instid0(VALU_DEP_1)
	v_add3_u32 v50, v7, v4, 0x7fff
; %bb.1199:                             ;   in Loop: Header=BB413_1192 Depth=1
	s_and_not1_saveexec_b32 s0, s0
; %bb.1200:                             ;   in Loop: Header=BB413_1192 Depth=1
	v_and_b32_e32 v4, 0xffff, v7
	v_or_b32_e32 v5, 0x10000, v7
	s_delay_alu instid0(VALU_DEP_2) | instskip(NEXT) | instid1(VALU_DEP_2)
	v_cmp_eq_u32_e32 vcc_lo, 0, v4
	v_cndmask_b32_e32 v50, v5, v7, vcc_lo
; %bb.1201:                             ;   in Loop: Header=BB413_1192 Depth=1
	s_or_b32 exec_lo, exec_lo, s0
	v_and_b32_e32 v4, 0x7f800000, v8
	s_mov_b32 s0, exec_lo
                                        ; implicit-def: $vgpr51
	s_delay_alu instid0(VALU_DEP_1)
	v_cmpx_ne_u32_e32 0x7f800000, v4
	s_xor_b32 s0, exec_lo, s0
; %bb.1202:                             ;   in Loop: Header=BB413_1192 Depth=1
	v_bfe_u32 v4, v8, 16, 1
	s_delay_alu instid0(VALU_DEP_1)
	v_add3_u32 v51, v8, v4, 0x7fff
; %bb.1203:                             ;   in Loop: Header=BB413_1192 Depth=1
	s_and_not1_saveexec_b32 s0, s0
; %bb.1204:                             ;   in Loop: Header=BB413_1192 Depth=1
	v_and_b32_e32 v4, 0xffff, v8
	v_or_b32_e32 v5, 0x10000, v8
	s_delay_alu instid0(VALU_DEP_2) | instskip(NEXT) | instid1(VALU_DEP_2)
	v_cmp_eq_u32_e32 vcc_lo, 0, v4
	v_cndmask_b32_e32 v51, v5, v8, vcc_lo
; %bb.1205:                             ;   in Loop: Header=BB413_1192 Depth=1
	s_or_b32 exec_lo, exec_lo, s0
	v_and_b32_e32 v4, 0x7f800000, v9
	s_mov_b32 s0, exec_lo
                                        ; implicit-def: $vgpr52
	s_delay_alu instid0(VALU_DEP_1)
	v_cmpx_ne_u32_e32 0x7f800000, v4
	s_xor_b32 s0, exec_lo, s0
; %bb.1206:                             ;   in Loop: Header=BB413_1192 Depth=1
	v_bfe_u32 v4, v9, 16, 1
	s_delay_alu instid0(VALU_DEP_1)
	v_add3_u32 v52, v9, v4, 0x7fff
                                        ; implicit-def: $vgpr6_vgpr7_vgpr8_vgpr9
; %bb.1207:                             ;   in Loop: Header=BB413_1192 Depth=1
	s_and_not1_saveexec_b32 s0, s0
; %bb.1208:                             ;   in Loop: Header=BB413_1192 Depth=1
	v_and_b32_e32 v4, 0xffff, v9
	v_or_b32_e32 v5, 0x10000, v9
	s_delay_alu instid0(VALU_DEP_2) | instskip(NEXT) | instid1(VALU_DEP_2)
	v_cmp_eq_u32_e32 vcc_lo, 0, v4
	v_cndmask_b32_e32 v52, v5, v9, vcc_lo
; %bb.1209:                             ;   in Loop: Header=BB413_1192 Depth=1
	s_or_b32 exec_lo, exec_lo, s0
	s_waitcnt lgkmcnt(0)
	v_and_b32_e32 v4, 0x7f800000, v0
	s_mov_b32 s0, exec_lo
                                        ; implicit-def: $vgpr53
	s_delay_alu instid0(VALU_DEP_1)
	v_cmpx_ne_u32_e32 0x7f800000, v4
	s_xor_b32 s0, exec_lo, s0
; %bb.1210:                             ;   in Loop: Header=BB413_1192 Depth=1
	v_bfe_u32 v4, v0, 16, 1
	s_delay_alu instid0(VALU_DEP_1)
	v_add3_u32 v53, v0, v4, 0x7fff
; %bb.1211:                             ;   in Loop: Header=BB413_1192 Depth=1
	s_and_not1_saveexec_b32 s0, s0
; %bb.1212:                             ;   in Loop: Header=BB413_1192 Depth=1
	v_and_b32_e32 v4, 0xffff, v0
	v_or_b32_e32 v5, 0x10000, v0
	s_delay_alu instid0(VALU_DEP_2) | instskip(NEXT) | instid1(VALU_DEP_2)
	v_cmp_eq_u32_e32 vcc_lo, 0, v4
	v_cndmask_b32_e32 v53, v5, v0, vcc_lo
; %bb.1213:                             ;   in Loop: Header=BB413_1192 Depth=1
	s_or_b32 exec_lo, exec_lo, s0
	v_and_b32_e32 v0, 0x7f800000, v1
	s_mov_b32 s0, exec_lo
                                        ; implicit-def: $vgpr54
	s_delay_alu instid0(VALU_DEP_1)
	v_cmpx_ne_u32_e32 0x7f800000, v0
	s_xor_b32 s0, exec_lo, s0
; %bb.1214:                             ;   in Loop: Header=BB413_1192 Depth=1
	v_bfe_u32 v0, v1, 16, 1
	s_delay_alu instid0(VALU_DEP_1)
	v_add3_u32 v54, v1, v0, 0x7fff
; %bb.1215:                             ;   in Loop: Header=BB413_1192 Depth=1
	s_and_not1_saveexec_b32 s0, s0
; %bb.1216:                             ;   in Loop: Header=BB413_1192 Depth=1
	v_and_b32_e32 v0, 0xffff, v1
	v_or_b32_e32 v4, 0x10000, v1
	s_delay_alu instid0(VALU_DEP_2) | instskip(NEXT) | instid1(VALU_DEP_2)
	v_cmp_eq_u32_e32 vcc_lo, 0, v0
	v_cndmask_b32_e32 v54, v4, v1, vcc_lo
; %bb.1217:                             ;   in Loop: Header=BB413_1192 Depth=1
	s_or_b32 exec_lo, exec_lo, s0
	v_and_b32_e32 v0, 0x7f800000, v2
	s_mov_b32 s0, exec_lo
                                        ; implicit-def: $vgpr55
	s_delay_alu instid0(VALU_DEP_1)
	v_cmpx_ne_u32_e32 0x7f800000, v0
	s_xor_b32 s0, exec_lo, s0
; %bb.1218:                             ;   in Loop: Header=BB413_1192 Depth=1
	v_bfe_u32 v0, v2, 16, 1
	s_delay_alu instid0(VALU_DEP_1)
	v_add3_u32 v55, v2, v0, 0x7fff
; %bb.1219:                             ;   in Loop: Header=BB413_1192 Depth=1
	s_and_not1_saveexec_b32 s0, s0
; %bb.1220:                             ;   in Loop: Header=BB413_1192 Depth=1
	v_and_b32_e32 v0, 0xffff, v2
	v_or_b32_e32 v1, 0x10000, v2
	s_delay_alu instid0(VALU_DEP_2) | instskip(NEXT) | instid1(VALU_DEP_2)
	v_cmp_eq_u32_e32 vcc_lo, 0, v0
	v_cndmask_b32_e32 v55, v1, v2, vcc_lo
; %bb.1221:                             ;   in Loop: Header=BB413_1192 Depth=1
	s_or_b32 exec_lo, exec_lo, s0
	v_and_b32_e32 v0, 0x7f800000, v3
	s_mov_b32 s0, exec_lo
                                        ; implicit-def: $vgpr65
	s_delay_alu instid0(VALU_DEP_1)
	v_cmpx_ne_u32_e32 0x7f800000, v0
	s_xor_b32 s0, exec_lo, s0
; %bb.1222:                             ;   in Loop: Header=BB413_1192 Depth=1
	v_bfe_u32 v0, v3, 16, 1
	s_delay_alu instid0(VALU_DEP_1)
	v_add3_u32 v65, v3, v0, 0x7fff
                                        ; implicit-def: $vgpr0_vgpr1_vgpr2_vgpr3
; %bb.1223:                             ;   in Loop: Header=BB413_1192 Depth=1
	s_and_not1_saveexec_b32 s0, s0
; %bb.1224:                             ;   in Loop: Header=BB413_1192 Depth=1
	v_and_b32_e32 v0, 0xffff, v3
	v_or_b32_e32 v1, 0x10000, v3
	s_delay_alu instid0(VALU_DEP_2) | instskip(NEXT) | instid1(VALU_DEP_2)
	v_cmp_eq_u32_e32 vcc_lo, 0, v0
	v_cndmask_b32_e32 v65, v1, v3, vcc_lo
; %bb.1225:                             ;   in Loop: Header=BB413_1192 Depth=1
	s_or_b32 exec_lo, exec_lo, s0
	s_waitcnt vmcnt(0)
	v_mad_i64_i32 v[0:1], null, v66, v22, v[11:12]
	s_mov_b32 s0, exec_lo
	flat_load_b64 v[2:3], v[0:1]
	flat_load_b32 v8, v[26:27]
	s_waitcnt vmcnt(1) lgkmcnt(1)
	v_dual_mov_b32 v6, 0 :: v_dual_and_b32 v7, 0xff, v2
	s_delay_alu instid0(VALU_DEP_1)
	v_cmpx_ne_u16_e32 0, v7
	s_cbranch_execz .LBB413_1233
; %bb.1226:                             ;   in Loop: Header=BB413_1192 Depth=1
	v_bfrev_b32_e32 v6, 1
	s_mov_b32 s12, exec_lo
	v_cmpx_ne_u16_e32 0x80, v7
	s_cbranch_execz .LBB413_1232
; %bb.1227:                             ;   in Loop: Header=BB413_1192 Depth=1
	v_and_b32_e32 v7, 0x7f, v2
	v_mov_b32_e32 v6, 0x7f800001
	s_mov_b32 s13, exec_lo
	s_delay_alu instid0(VALU_DEP_2)
	v_cmpx_ne_u32_e32 0x7f, v7
	s_cbranch_execz .LBB413_1231
; %bb.1228:                             ;   in Loop: Header=BB413_1192 Depth=1
	v_lshrrev_b32_e32 v9, 3, v7
	v_cmp_gt_u32_e32 vcc_lo, 8, v7
	v_dual_mov_b32 v7, v3 :: v_dual_mov_b32 v6, v2
	s_and_saveexec_b32 s15, vcc_lo
; %bb.1229:                             ;   in Loop: Header=BB413_1192 Depth=1
	v_and_b32_e32 v4, 7, v2
	s_delay_alu instid0(VALU_DEP_1) | instskip(NEXT) | instid1(VALU_DEP_1)
	v_clz_i32_u32_e32 v4, v4
	v_min_u32_e32 v4, 32, v4
	s_delay_alu instid0(VALU_DEP_1) | instskip(SKIP_1) | instid1(VALU_DEP_2)
	v_subrev_nc_u32_e32 v5, 28, v4
	v_sub_nc_u32_e32 v9, 29, v4
	v_lshlrev_b64 v[6:7], v5, v[2:3]
; %bb.1230:                             ;   in Loop: Header=BB413_1192 Depth=1
	s_or_b32 exec_lo, exec_lo, s15
	s_delay_alu instid0(VALU_DEP_1) | instskip(SKIP_2) | instid1(VALU_DEP_3)
	v_lshlrev_b32_e32 v4, 20, v6
	v_lshlrev_b32_e32 v5, 24, v2
	v_lshl_add_u32 v6, v9, 23, 0x3c000000
	v_and_b32_e32 v4, 0x700000, v4
	s_delay_alu instid0(VALU_DEP_3) | instskip(NEXT) | instid1(VALU_DEP_1)
	v_and_b32_e32 v5, 0x80000000, v5
	v_or3_b32 v6, v4, v5, v6
.LBB413_1231:                           ;   in Loop: Header=BB413_1192 Depth=1
	s_or_b32 exec_lo, exec_lo, s13
.LBB413_1232:                           ;   in Loop: Header=BB413_1192 Depth=1
	s_delay_alu instid0(SALU_CYCLE_1)
	s_or_b32 exec_lo, exec_lo, s12
.LBB413_1233:                           ;   in Loop: Header=BB413_1192 Depth=1
	s_delay_alu instid0(SALU_CYCLE_1) | instskip(SKIP_3) | instid1(VALU_DEP_1)
	s_or_b32 exec_lo, exec_lo, s0
	s_waitcnt vmcnt(0) lgkmcnt(0)
	v_mul_f32_e32 v6, v8, v6
	s_mov_b32 s0, exec_lo
                                        ; implicit-def: $vgpr67
	v_and_b32_e32 v4, 0x7f800000, v6
	s_delay_alu instid0(VALU_DEP_1)
	v_cmpx_ne_u32_e32 0x7f800000, v4
	s_xor_b32 s0, exec_lo, s0
; %bb.1234:                             ;   in Loop: Header=BB413_1192 Depth=1
	v_bfe_u32 v4, v6, 16, 1
	s_delay_alu instid0(VALU_DEP_1)
	v_add3_u32 v67, v6, v4, 0x7fff
                                        ; implicit-def: $vgpr6
; %bb.1235:                             ;   in Loop: Header=BB413_1192 Depth=1
	s_and_not1_saveexec_b32 s0, s0
; %bb.1236:                             ;   in Loop: Header=BB413_1192 Depth=1
	v_and_b32_e32 v4, 0xffff, v6
	v_or_b32_e32 v5, 0x10000, v6
	s_delay_alu instid0(VALU_DEP_2) | instskip(NEXT) | instid1(VALU_DEP_2)
	v_cmp_eq_u32_e32 vcc_lo, 0, v4
	v_cndmask_b32_e32 v67, v5, v6, vcc_lo
; %bb.1237:                             ;   in Loop: Header=BB413_1192 Depth=1
	s_or_b32 exec_lo, exec_lo, s0
	v_lshrrev_b16 v7, 8, v2
	v_mov_b32_e32 v6, 0
	s_mov_b32 s0, exec_lo
	s_delay_alu instid0(VALU_DEP_2)
	v_cmpx_ne_u16_e32 0, v7
	s_cbranch_execz .LBB413_1245
; %bb.1238:                             ;   in Loop: Header=BB413_1192 Depth=1
	v_bfrev_b32_e32 v6, 1
	s_mov_b32 s12, exec_lo
	v_cmpx_ne_u16_e32 0x80, v7
	s_cbranch_execz .LBB413_1244
; %bb.1239:                             ;   in Loop: Header=BB413_1192 Depth=1
	v_and_b32_e32 v9, 0xffff, v7
	v_mov_b32_e32 v6, 0x7f800001
	s_mov_b32 s13, exec_lo
	s_delay_alu instid0(VALU_DEP_2) | instskip(NEXT) | instid1(VALU_DEP_1)
	v_and_b32_e32 v7, 0x7f, v9
	v_cmpx_ne_u32_e32 0x7f, v7
	s_cbranch_execz .LBB413_1243
; %bb.1240:                             ;   in Loop: Header=BB413_1192 Depth=1
	v_and_b32_e32 v9, 7, v9
	v_lshrrev_b32_e32 v6, 3, v7
	s_mov_b32 s15, exec_lo
	v_cmpx_gt_u32_e32 8, v7
; %bb.1241:                             ;   in Loop: Header=BB413_1192 Depth=1
	s_delay_alu instid0(VALU_DEP_3) | instskip(NEXT) | instid1(VALU_DEP_1)
	v_clz_i32_u32_e32 v4, v9
	v_min_u32_e32 v4, 32, v4
	s_delay_alu instid0(VALU_DEP_1) | instskip(SKIP_1) | instid1(VALU_DEP_2)
	v_subrev_nc_u32_e32 v5, 28, v4
	v_sub_nc_u32_e32 v6, 29, v4
	v_lshlrev_b64 v[68:69], v5, v[9:10]
	s_delay_alu instid0(VALU_DEP_1)
	v_and_b32_e32 v9, 7, v68
; %bb.1242:                             ;   in Loop: Header=BB413_1192 Depth=1
	s_or_b32 exec_lo, exec_lo, s15
	v_lshlrev_b32_e32 v4, 16, v2
	s_delay_alu instid0(VALU_DEP_2) | instskip(SKIP_1) | instid1(VALU_DEP_3)
	v_lshlrev_b32_e32 v5, 20, v9
	v_lshl_add_u32 v6, v6, 23, 0x3c000000
	v_and_b32_e32 v4, 0x80000000, v4
	s_delay_alu instid0(VALU_DEP_1)
	v_or3_b32 v6, v5, v4, v6
.LBB413_1243:                           ;   in Loop: Header=BB413_1192 Depth=1
	s_or_b32 exec_lo, exec_lo, s13
.LBB413_1244:                           ;   in Loop: Header=BB413_1192 Depth=1
	s_delay_alu instid0(SALU_CYCLE_1)
	s_or_b32 exec_lo, exec_lo, s12
.LBB413_1245:                           ;   in Loop: Header=BB413_1192 Depth=1
	s_delay_alu instid0(SALU_CYCLE_1) | instskip(NEXT) | instid1(VALU_DEP_1)
	s_or_b32 exec_lo, exec_lo, s0
	v_mul_f32_e32 v6, v8, v6
	s_mov_b32 s0, exec_lo
                                        ; implicit-def: $vgpr68
	s_delay_alu instid0(VALU_DEP_1) | instskip(NEXT) | instid1(VALU_DEP_1)
	v_and_b32_e32 v4, 0x7f800000, v6
	v_cmpx_ne_u32_e32 0x7f800000, v4
	s_xor_b32 s0, exec_lo, s0
; %bb.1246:                             ;   in Loop: Header=BB413_1192 Depth=1
	v_bfe_u32 v4, v6, 16, 1
	s_delay_alu instid0(VALU_DEP_1)
	v_add3_u32 v68, v6, v4, 0x7fff
                                        ; implicit-def: $vgpr6
; %bb.1247:                             ;   in Loop: Header=BB413_1192 Depth=1
	s_and_not1_saveexec_b32 s0, s0
; %bb.1248:                             ;   in Loop: Header=BB413_1192 Depth=1
	v_and_b32_e32 v4, 0xffff, v6
	v_or_b32_e32 v5, 0x10000, v6
	s_delay_alu instid0(VALU_DEP_2) | instskip(NEXT) | instid1(VALU_DEP_2)
	v_cmp_eq_u32_e32 vcc_lo, 0, v4
	v_cndmask_b32_e32 v68, v5, v6, vcc_lo
; %bb.1249:                             ;   in Loop: Header=BB413_1192 Depth=1
	s_or_b32 exec_lo, exec_lo, s0
	v_lshrrev_b32_e32 v6, 16, v2
	v_mov_b32_e32 v7, 0
	s_mov_b32 s0, exec_lo
	s_delay_alu instid0(VALU_DEP_2) | instskip(NEXT) | instid1(VALU_DEP_1)
	v_and_b32_e32 v9, 0xff, v6
	v_cmpx_ne_u16_e32 0, v9
	s_cbranch_execz .LBB413_1257
; %bb.1250:                             ;   in Loop: Header=BB413_1192 Depth=1
	v_bfrev_b32_e32 v7, 1
	s_mov_b32 s12, exec_lo
	v_cmpx_ne_u16_e32 0x80, v9
	s_cbranch_execz .LBB413_1256
; %bb.1251:                             ;   in Loop: Header=BB413_1192 Depth=1
	v_bfe_u32 v66, v2, 16, 7
	v_mov_b32_e32 v7, 0x7f800001
	s_mov_b32 s13, exec_lo
	s_delay_alu instid0(VALU_DEP_2)
	v_cmpx_ne_u32_e32 0x7f, v66
	s_cbranch_execz .LBB413_1255
; %bb.1252:                             ;   in Loop: Header=BB413_1192 Depth=1
	v_and_b32_e32 v9, 7, v6
	v_lshrrev_b32_e32 v7, 3, v66
	s_mov_b32 s15, exec_lo
	v_cmpx_gt_u32_e32 8, v66
; %bb.1253:                             ;   in Loop: Header=BB413_1192 Depth=1
	s_delay_alu instid0(VALU_DEP_3) | instskip(NEXT) | instid1(VALU_DEP_1)
	v_clz_i32_u32_e32 v4, v9
	v_min_u32_e32 v4, 32, v4
	s_delay_alu instid0(VALU_DEP_1) | instskip(SKIP_1) | instid1(VALU_DEP_2)
	v_subrev_nc_u32_e32 v5, 28, v4
	v_sub_nc_u32_e32 v7, 29, v4
	v_lshlrev_b64 v[69:70], v5, v[9:10]
	s_delay_alu instid0(VALU_DEP_1)
	v_and_b32_e32 v9, 7, v69
; %bb.1254:                             ;   in Loop: Header=BB413_1192 Depth=1
	s_or_b32 exec_lo, exec_lo, s15
	v_lshlrev_b32_e32 v4, 24, v6
	s_delay_alu instid0(VALU_DEP_2) | instskip(SKIP_1) | instid1(VALU_DEP_3)
	v_lshlrev_b32_e32 v5, 20, v9
	v_lshl_add_u32 v6, v7, 23, 0x3c000000
	v_and_b32_e32 v4, 0x80000000, v4
	s_delay_alu instid0(VALU_DEP_1)
	v_or3_b32 v7, v5, v4, v6
.LBB413_1255:                           ;   in Loop: Header=BB413_1192 Depth=1
	s_or_b32 exec_lo, exec_lo, s13
.LBB413_1256:                           ;   in Loop: Header=BB413_1192 Depth=1
	s_delay_alu instid0(SALU_CYCLE_1)
	s_or_b32 exec_lo, exec_lo, s12
.LBB413_1257:                           ;   in Loop: Header=BB413_1192 Depth=1
	s_delay_alu instid0(SALU_CYCLE_1) | instskip(NEXT) | instid1(VALU_DEP_1)
	s_or_b32 exec_lo, exec_lo, s0
	v_mul_f32_e32 v6, v8, v7
	s_mov_b32 s0, exec_lo
                                        ; implicit-def: $vgpr69
	s_delay_alu instid0(VALU_DEP_1) | instskip(NEXT) | instid1(VALU_DEP_1)
	v_and_b32_e32 v4, 0x7f800000, v6
	v_cmpx_ne_u32_e32 0x7f800000, v4
	s_xor_b32 s0, exec_lo, s0
; %bb.1258:                             ;   in Loop: Header=BB413_1192 Depth=1
	v_bfe_u32 v4, v6, 16, 1
	s_delay_alu instid0(VALU_DEP_1)
	v_add3_u32 v69, v6, v4, 0x7fff
                                        ; implicit-def: $vgpr6
; %bb.1259:                             ;   in Loop: Header=BB413_1192 Depth=1
	s_and_not1_saveexec_b32 s0, s0
; %bb.1260:                             ;   in Loop: Header=BB413_1192 Depth=1
	v_and_b32_e32 v4, 0xffff, v6
	v_or_b32_e32 v5, 0x10000, v6
	s_delay_alu instid0(VALU_DEP_2) | instskip(NEXT) | instid1(VALU_DEP_2)
	v_cmp_eq_u32_e32 vcc_lo, 0, v4
	v_cndmask_b32_e32 v69, v5, v6, vcc_lo
; %bb.1261:                             ;   in Loop: Header=BB413_1192 Depth=1
	s_or_b32 exec_lo, exec_lo, s0
	v_mov_b32_e32 v7, 0
	s_mov_b32 s0, exec_lo
	v_cmpx_lt_u32_e32 0xffffff, v2
	s_cbranch_execz .LBB413_1269
; %bb.1262:                             ;   in Loop: Header=BB413_1192 Depth=1
	v_lshrrev_b32_e32 v6, 24, v2
	v_bfrev_b32_e32 v7, 1
	s_mov_b32 s12, exec_lo
	s_delay_alu instid0(VALU_DEP_2)
	v_cmpx_ne_u32_e32 0x80, v6
	s_cbranch_execz .LBB413_1268
; %bb.1263:                             ;   in Loop: Header=BB413_1192 Depth=1
	v_bfe_u32 v66, v2, 24, 7
	v_mov_b32_e32 v7, 0x7f800001
	s_mov_b32 s13, exec_lo
	s_delay_alu instid0(VALU_DEP_2)
	v_cmpx_ne_u32_e32 0x7f, v66
	s_cbranch_execz .LBB413_1267
; %bb.1264:                             ;   in Loop: Header=BB413_1192 Depth=1
	v_and_b32_e32 v9, 7, v6
	v_lshrrev_b32_e32 v7, 3, v66
	s_mov_b32 s15, exec_lo
	v_cmpx_gt_u32_e32 8, v66
; %bb.1265:                             ;   in Loop: Header=BB413_1192 Depth=1
	s_delay_alu instid0(VALU_DEP_3) | instskip(NEXT) | instid1(VALU_DEP_1)
	v_clz_i32_u32_e32 v4, v9
	v_min_u32_e32 v4, 32, v4
	s_delay_alu instid0(VALU_DEP_1) | instskip(SKIP_1) | instid1(VALU_DEP_2)
	v_subrev_nc_u32_e32 v5, 28, v4
	v_sub_nc_u32_e32 v7, 29, v4
	v_lshlrev_b64 v[70:71], v5, v[9:10]
	s_delay_alu instid0(VALU_DEP_1)
	v_and_b32_e32 v9, 7, v70
; %bb.1266:                             ;   in Loop: Header=BB413_1192 Depth=1
	s_or_b32 exec_lo, exec_lo, s15
	v_lshlrev_b32_e32 v4, 24, v6
	s_delay_alu instid0(VALU_DEP_2) | instskip(SKIP_1) | instid1(VALU_DEP_3)
	v_lshlrev_b32_e32 v5, 20, v9
	v_lshl_add_u32 v6, v7, 23, 0x3c000000
	v_and_b32_e32 v4, 0x80000000, v4
	s_delay_alu instid0(VALU_DEP_1)
	v_or3_b32 v7, v5, v4, v6
.LBB413_1267:                           ;   in Loop: Header=BB413_1192 Depth=1
	s_or_b32 exec_lo, exec_lo, s13
.LBB413_1268:                           ;   in Loop: Header=BB413_1192 Depth=1
	s_delay_alu instid0(SALU_CYCLE_1)
	s_or_b32 exec_lo, exec_lo, s12
.LBB413_1269:                           ;   in Loop: Header=BB413_1192 Depth=1
	s_delay_alu instid0(SALU_CYCLE_1) | instskip(NEXT) | instid1(VALU_DEP_1)
	s_or_b32 exec_lo, exec_lo, s0
	v_mul_f32_e32 v6, v8, v7
	s_mov_b32 s0, exec_lo
                                        ; implicit-def: $vgpr70
	s_delay_alu instid0(VALU_DEP_1) | instskip(NEXT) | instid1(VALU_DEP_1)
	v_and_b32_e32 v4, 0x7f800000, v6
	v_cmpx_ne_u32_e32 0x7f800000, v4
	s_xor_b32 s0, exec_lo, s0
; %bb.1270:                             ;   in Loop: Header=BB413_1192 Depth=1
	v_bfe_u32 v4, v6, 16, 1
	s_delay_alu instid0(VALU_DEP_1)
	v_add3_u32 v70, v6, v4, 0x7fff
                                        ; implicit-def: $vgpr6
; %bb.1271:                             ;   in Loop: Header=BB413_1192 Depth=1
	s_and_not1_saveexec_b32 s0, s0
; %bb.1272:                             ;   in Loop: Header=BB413_1192 Depth=1
	v_and_b32_e32 v4, 0xffff, v6
	v_or_b32_e32 v5, 0x10000, v6
	s_delay_alu instid0(VALU_DEP_2) | instskip(NEXT) | instid1(VALU_DEP_2)
	v_cmp_eq_u32_e32 vcc_lo, 0, v4
	v_cndmask_b32_e32 v70, v5, v6, vcc_lo
; %bb.1273:                             ;   in Loop: Header=BB413_1192 Depth=1
	s_or_b32 exec_lo, exec_lo, s0
	v_dual_mov_b32 v6, 0 :: v_dual_and_b32 v7, 0xff, v3
	v_mov_b32_e32 v9, v3
	s_mov_b32 s0, exec_lo
	s_delay_alu instid0(VALU_DEP_2)
	v_cmpx_ne_u16_e32 0, v7
	s_cbranch_execz .LBB413_1281
; %bb.1274:                             ;   in Loop: Header=BB413_1192 Depth=1
	v_bfrev_b32_e32 v6, 1
	s_mov_b32 s12, exec_lo
	v_cmpx_ne_u16_e32 0x80, v7
	s_cbranch_execz .LBB413_1280
; %bb.1275:                             ;   in Loop: Header=BB413_1192 Depth=1
	v_and_b32_e32 v7, 0x7f, v3
	v_mov_b32_e32 v6, 0x7f800001
	s_mov_b32 s13, exec_lo
	s_delay_alu instid0(VALU_DEP_2)
	v_cmpx_ne_u32_e32 0x7f, v7
	s_cbranch_execz .LBB413_1279
; %bb.1276:                             ;   in Loop: Header=BB413_1192 Depth=1
	v_lshrrev_b32_e32 v66, 3, v7
	v_cmp_gt_u32_e32 vcc_lo, 8, v7
	v_dual_mov_b32 v6, v9 :: v_dual_mov_b32 v7, v10
	s_and_saveexec_b32 s15, vcc_lo
; %bb.1277:                             ;   in Loop: Header=BB413_1192 Depth=1
	v_and_b32_e32 v4, 7, v3
	s_delay_alu instid0(VALU_DEP_1) | instskip(NEXT) | instid1(VALU_DEP_1)
	v_clz_i32_u32_e32 v4, v4
	v_min_u32_e32 v4, 32, v4
	s_delay_alu instid0(VALU_DEP_1) | instskip(SKIP_1) | instid1(VALU_DEP_2)
	v_subrev_nc_u32_e32 v5, 28, v4
	v_sub_nc_u32_e32 v66, 29, v4
	v_lshlrev_b64 v[6:7], v5, v[9:10]
; %bb.1278:                             ;   in Loop: Header=BB413_1192 Depth=1
	s_or_b32 exec_lo, exec_lo, s15
	s_delay_alu instid0(VALU_DEP_1) | instskip(SKIP_2) | instid1(VALU_DEP_3)
	v_lshlrev_b32_e32 v4, 20, v6
	v_lshlrev_b32_e32 v5, 24, v9
	v_lshl_add_u32 v6, v66, 23, 0x3c000000
	v_and_b32_e32 v4, 0x700000, v4
	s_delay_alu instid0(VALU_DEP_3) | instskip(NEXT) | instid1(VALU_DEP_1)
	v_and_b32_e32 v5, 0x80000000, v5
	v_or3_b32 v6, v4, v5, v6
.LBB413_1279:                           ;   in Loop: Header=BB413_1192 Depth=1
	s_or_b32 exec_lo, exec_lo, s13
.LBB413_1280:                           ;   in Loop: Header=BB413_1192 Depth=1
	s_delay_alu instid0(SALU_CYCLE_1)
	s_or_b32 exec_lo, exec_lo, s12
.LBB413_1281:                           ;   in Loop: Header=BB413_1192 Depth=1
	s_delay_alu instid0(SALU_CYCLE_1) | instskip(NEXT) | instid1(VALU_DEP_1)
	s_or_b32 exec_lo, exec_lo, s0
	v_mul_f32_e32 v6, v8, v6
	s_mov_b32 s0, exec_lo
                                        ; implicit-def: $vgpr71
	s_delay_alu instid0(VALU_DEP_1) | instskip(NEXT) | instid1(VALU_DEP_1)
	v_and_b32_e32 v4, 0x7f800000, v6
	v_cmpx_ne_u32_e32 0x7f800000, v4
	s_xor_b32 s0, exec_lo, s0
; %bb.1282:                             ;   in Loop: Header=BB413_1192 Depth=1
	v_bfe_u32 v4, v6, 16, 1
	s_delay_alu instid0(VALU_DEP_1)
	v_add3_u32 v71, v6, v4, 0x7fff
                                        ; implicit-def: $vgpr6
; %bb.1283:                             ;   in Loop: Header=BB413_1192 Depth=1
	s_and_not1_saveexec_b32 s0, s0
; %bb.1284:                             ;   in Loop: Header=BB413_1192 Depth=1
	v_and_b32_e32 v4, 0xffff, v6
	v_or_b32_e32 v5, 0x10000, v6
	s_delay_alu instid0(VALU_DEP_2) | instskip(NEXT) | instid1(VALU_DEP_2)
	v_cmp_eq_u32_e32 vcc_lo, 0, v4
	v_cndmask_b32_e32 v71, v5, v6, vcc_lo
; %bb.1285:                             ;   in Loop: Header=BB413_1192 Depth=1
	s_or_b32 exec_lo, exec_lo, s0
	v_lshrrev_b16 v7, 8, v9
	v_mov_b32_e32 v6, 0
	s_mov_b32 s0, exec_lo
	s_delay_alu instid0(VALU_DEP_2)
	v_cmpx_ne_u16_e32 0, v7
	s_cbranch_execz .LBB413_1293
; %bb.1286:                             ;   in Loop: Header=BB413_1192 Depth=1
	v_bfrev_b32_e32 v6, 1
	s_mov_b32 s12, exec_lo
	v_cmpx_ne_u16_e32 0x80, v7
	s_cbranch_execz .LBB413_1292
; %bb.1287:                             ;   in Loop: Header=BB413_1192 Depth=1
	v_and_b32_e32 v7, 0xffff, v7
	v_mov_b32_e32 v6, 0x7f800001
	s_mov_b32 s13, exec_lo
	s_delay_alu instid0(VALU_DEP_2) | instskip(NEXT) | instid1(VALU_DEP_1)
	v_and_b32_e32 v80, 0x7f, v7
	v_cmpx_ne_u32_e32 0x7f, v80
	s_cbranch_execz .LBB413_1291
; %bb.1288:                             ;   in Loop: Header=BB413_1192 Depth=1
	v_dual_mov_b32 v7, v10 :: v_dual_and_b32 v6, 7, v7
	v_lshrrev_b32_e32 v66, 3, v80
	s_mov_b32 s15, exec_lo
	v_cmpx_gt_u32_e32 8, v80
; %bb.1289:                             ;   in Loop: Header=BB413_1192 Depth=1
	s_delay_alu instid0(VALU_DEP_3) | instskip(NEXT) | instid1(VALU_DEP_1)
	v_clz_i32_u32_e32 v4, v6
	v_min_u32_e32 v4, 32, v4
	s_delay_alu instid0(VALU_DEP_1) | instskip(SKIP_1) | instid1(VALU_DEP_2)
	v_subrev_nc_u32_e32 v5, 28, v4
	v_sub_nc_u32_e32 v66, 29, v4
	v_lshlrev_b64 v[6:7], v5, v[6:7]
	s_delay_alu instid0(VALU_DEP_1)
	v_and_b32_e32 v6, 7, v6
; %bb.1290:                             ;   in Loop: Header=BB413_1192 Depth=1
	s_or_b32 exec_lo, exec_lo, s15
	v_lshlrev_b32_e32 v4, 16, v9
	s_delay_alu instid0(VALU_DEP_2) | instskip(SKIP_1) | instid1(VALU_DEP_3)
	v_lshlrev_b32_e32 v5, 20, v6
	v_lshl_add_u32 v6, v66, 23, 0x3c000000
	v_and_b32_e32 v4, 0x80000000, v4
	s_delay_alu instid0(VALU_DEP_1)
	v_or3_b32 v6, v5, v4, v6
.LBB413_1291:                           ;   in Loop: Header=BB413_1192 Depth=1
	s_or_b32 exec_lo, exec_lo, s13
.LBB413_1292:                           ;   in Loop: Header=BB413_1192 Depth=1
	s_delay_alu instid0(SALU_CYCLE_1)
	s_or_b32 exec_lo, exec_lo, s12
.LBB413_1293:                           ;   in Loop: Header=BB413_1192 Depth=1
	s_delay_alu instid0(SALU_CYCLE_1) | instskip(NEXT) | instid1(VALU_DEP_1)
	s_or_b32 exec_lo, exec_lo, s0
	v_mul_f32_e32 v7, v8, v6
	s_mov_b32 s0, exec_lo
                                        ; implicit-def: $vgpr6
	s_delay_alu instid0(VALU_DEP_1) | instskip(NEXT) | instid1(VALU_DEP_1)
	v_and_b32_e32 v4, 0x7f800000, v7
	v_cmpx_ne_u32_e32 0x7f800000, v4
	s_xor_b32 s0, exec_lo, s0
; %bb.1294:                             ;   in Loop: Header=BB413_1192 Depth=1
	v_bfe_u32 v4, v7, 16, 1
	s_delay_alu instid0(VALU_DEP_1)
	v_add3_u32 v6, v7, v4, 0x7fff
                                        ; implicit-def: $vgpr7
; %bb.1295:                             ;   in Loop: Header=BB413_1192 Depth=1
	s_and_not1_saveexec_b32 s0, s0
; %bb.1296:                             ;   in Loop: Header=BB413_1192 Depth=1
	v_and_b32_e32 v4, 0xffff, v7
	v_or_b32_e32 v5, 0x10000, v7
	s_delay_alu instid0(VALU_DEP_2) | instskip(NEXT) | instid1(VALU_DEP_2)
	v_cmp_eq_u32_e32 vcc_lo, 0, v4
	v_cndmask_b32_e32 v6, v5, v7, vcc_lo
; %bb.1297:                             ;   in Loop: Header=BB413_1192 Depth=1
	s_or_b32 exec_lo, exec_lo, s0
	v_lshrrev_b32_e32 v7, 16, v3
	s_mov_b32 s0, exec_lo
	s_delay_alu instid0(VALU_DEP_1) | instskip(NEXT) | instid1(VALU_DEP_1)
	v_dual_mov_b32 v9, 0 :: v_dual_and_b32 v66, 0xff, v7
	v_cmpx_ne_u16_e32 0, v66
	s_cbranch_execz .LBB413_1305
; %bb.1298:                             ;   in Loop: Header=BB413_1192 Depth=1
	v_bfrev_b32_e32 v9, 1
	s_mov_b32 s12, exec_lo
	v_cmpx_ne_u16_e32 0x80, v66
	s_cbranch_execz .LBB413_1304
; %bb.1299:                             ;   in Loop: Header=BB413_1192 Depth=1
	v_bfe_u32 v80, v3, 16, 7
	v_mov_b32_e32 v9, 0x7f800001
	s_mov_b32 s13, exec_lo
	s_delay_alu instid0(VALU_DEP_2)
	v_cmpx_ne_u32_e32 0x7f, v80
	s_cbranch_execz .LBB413_1303
; %bb.1300:                             ;   in Loop: Header=BB413_1192 Depth=1
	v_and_b32_e32 v9, 7, v7
	v_lshrrev_b32_e32 v66, 3, v80
	s_mov_b32 s15, exec_lo
	v_cmpx_gt_u32_e32 8, v80
; %bb.1301:                             ;   in Loop: Header=BB413_1192 Depth=1
	s_delay_alu instid0(VALU_DEP_3) | instskip(NEXT) | instid1(VALU_DEP_1)
	v_clz_i32_u32_e32 v4, v9
	v_min_u32_e32 v4, 32, v4
	s_delay_alu instid0(VALU_DEP_1) | instskip(SKIP_1) | instid1(VALU_DEP_2)
	v_subrev_nc_u32_e32 v5, 28, v4
	v_sub_nc_u32_e32 v66, 29, v4
	v_lshlrev_b64 v[80:81], v5, v[9:10]
	s_delay_alu instid0(VALU_DEP_1)
	v_and_b32_e32 v9, 7, v80
; %bb.1302:                             ;   in Loop: Header=BB413_1192 Depth=1
	s_or_b32 exec_lo, exec_lo, s15
	v_lshlrev_b32_e32 v4, 24, v7
	s_delay_alu instid0(VALU_DEP_2) | instskip(SKIP_1) | instid1(VALU_DEP_3)
	v_lshlrev_b32_e32 v5, 20, v9
	v_lshl_add_u32 v7, v66, 23, 0x3c000000
	v_and_b32_e32 v4, 0x80000000, v4
	s_delay_alu instid0(VALU_DEP_1)
	v_or3_b32 v9, v5, v4, v7
.LBB413_1303:                           ;   in Loop: Header=BB413_1192 Depth=1
	s_or_b32 exec_lo, exec_lo, s13
.LBB413_1304:                           ;   in Loop: Header=BB413_1192 Depth=1
	s_delay_alu instid0(SALU_CYCLE_1)
	s_or_b32 exec_lo, exec_lo, s12
.LBB413_1305:                           ;   in Loop: Header=BB413_1192 Depth=1
	s_delay_alu instid0(SALU_CYCLE_1) | instskip(NEXT) | instid1(VALU_DEP_1)
	s_or_b32 exec_lo, exec_lo, s0
	v_mul_f32_e32 v7, v8, v9
	s_mov_b32 s0, exec_lo
                                        ; implicit-def: $vgpr80
	s_delay_alu instid0(VALU_DEP_1) | instskip(NEXT) | instid1(VALU_DEP_1)
	v_and_b32_e32 v4, 0x7f800000, v7
	v_cmpx_ne_u32_e32 0x7f800000, v4
	s_xor_b32 s0, exec_lo, s0
; %bb.1306:                             ;   in Loop: Header=BB413_1192 Depth=1
	v_bfe_u32 v4, v7, 16, 1
	s_delay_alu instid0(VALU_DEP_1)
	v_add3_u32 v80, v7, v4, 0x7fff
                                        ; implicit-def: $vgpr7
; %bb.1307:                             ;   in Loop: Header=BB413_1192 Depth=1
	s_and_not1_saveexec_b32 s0, s0
; %bb.1308:                             ;   in Loop: Header=BB413_1192 Depth=1
	v_and_b32_e32 v4, 0xffff, v7
	v_or_b32_e32 v5, 0x10000, v7
	s_delay_alu instid0(VALU_DEP_2) | instskip(NEXT) | instid1(VALU_DEP_2)
	v_cmp_eq_u32_e32 vcc_lo, 0, v4
	v_cndmask_b32_e32 v80, v5, v7, vcc_lo
; %bb.1309:                             ;   in Loop: Header=BB413_1192 Depth=1
	s_or_b32 exec_lo, exec_lo, s0
	v_mov_b32_e32 v7, 0
	s_mov_b32 s0, exec_lo
	v_cmpx_lt_u64_e64 s[8:9], v[2:3]
	s_cbranch_execz .LBB413_1317
; %bb.1310:                             ;   in Loop: Header=BB413_1192 Depth=1
	v_lshrrev_b32_e32 v2, 24, v3
	v_bfrev_b32_e32 v7, 1
	s_mov_b32 s12, exec_lo
	s_delay_alu instid0(VALU_DEP_2)
	v_cmpx_ne_u32_e32 0x80, v2
	s_cbranch_execz .LBB413_1316
; %bb.1311:                             ;   in Loop: Header=BB413_1192 Depth=1
	v_bfe_u32 v66, v3, 24, 7
	v_mov_b32_e32 v7, 0x7f800001
	s_mov_b32 s13, exec_lo
	s_delay_alu instid0(VALU_DEP_2)
	v_cmpx_ne_u32_e32 0x7f, v66
	s_cbranch_execz .LBB413_1315
; %bb.1312:                             ;   in Loop: Header=BB413_1192 Depth=1
	v_and_b32_e32 v9, 7, v2
	v_lshrrev_b32_e32 v3, 3, v66
	s_mov_b32 s15, exec_lo
	v_cmpx_gt_u32_e32 8, v66
; %bb.1313:                             ;   in Loop: Header=BB413_1192 Depth=1
	s_delay_alu instid0(VALU_DEP_3) | instskip(NEXT) | instid1(VALU_DEP_1)
	v_clz_i32_u32_e32 v3, v9
	v_min_u32_e32 v3, 32, v3
	s_delay_alu instid0(VALU_DEP_1) | instskip(SKIP_1) | instid1(VALU_DEP_2)
	v_subrev_nc_u32_e32 v4, 28, v3
	v_sub_nc_u32_e32 v3, 29, v3
	v_lshlrev_b64 v[81:82], v4, v[9:10]
	s_delay_alu instid0(VALU_DEP_1)
	v_and_b32_e32 v9, 7, v81
; %bb.1314:                             ;   in Loop: Header=BB413_1192 Depth=1
	s_or_b32 exec_lo, exec_lo, s15
	v_lshlrev_b32_e32 v2, 24, v2
	s_delay_alu instid0(VALU_DEP_2) | instskip(SKIP_1) | instid1(VALU_DEP_3)
	v_lshlrev_b32_e32 v4, 20, v9
	v_lshl_add_u32 v3, v3, 23, 0x3c000000
	v_and_b32_e32 v2, 0x80000000, v2
	s_delay_alu instid0(VALU_DEP_1)
	v_or3_b32 v7, v4, v2, v3
.LBB413_1315:                           ;   in Loop: Header=BB413_1192 Depth=1
	s_or_b32 exec_lo, exec_lo, s13
.LBB413_1316:                           ;   in Loop: Header=BB413_1192 Depth=1
	s_delay_alu instid0(SALU_CYCLE_1)
	s_or_b32 exec_lo, exec_lo, s12
.LBB413_1317:                           ;   in Loop: Header=BB413_1192 Depth=1
	s_delay_alu instid0(SALU_CYCLE_1) | instskip(NEXT) | instid1(VALU_DEP_1)
	s_or_b32 exec_lo, exec_lo, s0
	v_mul_f32_e32 v3, v8, v7
	s_delay_alu instid0(VALU_DEP_1) | instskip(NEXT) | instid1(VALU_DEP_1)
	v_and_b32_e32 v2, 0x7f800000, v3
	v_cmp_ne_u32_e32 vcc_lo, 0x7f800000, v2
                                        ; implicit-def: $vgpr2
	s_and_saveexec_b32 s0, vcc_lo
	s_delay_alu instid0(SALU_CYCLE_1)
	s_xor_b32 s0, exec_lo, s0
; %bb.1318:                             ;   in Loop: Header=BB413_1192 Depth=1
	v_bfe_u32 v2, v3, 16, 1
	s_delay_alu instid0(VALU_DEP_1)
	v_add3_u32 v2, v3, v2, 0x7fff
                                        ; implicit-def: $vgpr3
; %bb.1319:                             ;   in Loop: Header=BB413_1192 Depth=1
	s_and_not1_saveexec_b32 s0, s0
; %bb.1320:                             ;   in Loop: Header=BB413_1192 Depth=1
	v_and_b32_e32 v2, 0xffff, v3
	v_or_b32_e32 v4, 0x10000, v3
	s_delay_alu instid0(VALU_DEP_2) | instskip(NEXT) | instid1(VALU_DEP_2)
	v_cmp_eq_u32_e32 vcc_lo, 0, v2
	v_cndmask_b32_e32 v2, v4, v3, vcc_lo
; %bb.1321:                             ;   in Loop: Header=BB413_1192 Depth=1
	s_or_b32 exec_lo, exec_lo, s0
	v_add_nc_u32_e32 v66, v37, v23
	v_cmp_eq_u32_e32 vcc_lo, v38, v64
	v_lshrrev_b32_e32 v6, 16, v6
	v_lshrrev_b32_e32 v7, 16, v71
	;; [unrolled: 1-line block ×8, first 2 shown]
	v_add_nc_u32_e32 v81, 1, v66
	v_add_nc_u32_e32 v80, 2, v66
	v_add_nc_u32_e32 v71, 3, v66
	v_add_nc_u32_e32 v70, 4, v66
	v_add_nc_u32_e32 v69, 5, v66
	v_add_nc_u32_e32 v68, 6, v66
	v_add_nc_u32_e32 v67, 7, v66
	s_and_saveexec_b32 s12, vcc_lo
	s_cbranch_execz .LBB413_1323
; %bb.1322:                             ;   in Loop: Header=BB413_1192 Depth=1
	v_cmp_lt_i32_e64 s0, v66, v85
	s_delay_alu instid0(VALU_DEP_1) | instskip(SKIP_1) | instid1(VALU_DEP_1)
	v_cndmask_b32_e64 v83, 0, v83, s0
	v_cmp_lt_i32_e64 s0, v81, v85
	v_cndmask_b32_e64 v100, 0, v100, s0
	v_cmp_lt_i32_e64 s0, v80, v85
	s_delay_alu instid0(VALU_DEP_1) | instskip(SKIP_1) | instid1(VALU_DEP_1)
	v_cndmask_b32_e64 v101, 0, v101, s0
	v_cmp_lt_i32_e64 s0, v71, v85
	v_cndmask_b32_e64 v9, 0, v9, s0
	;; [unrolled: 5-line block ×4, first 2 shown]
.LBB413_1323:                           ;   in Loop: Header=BB413_1192 Depth=1
	s_or_b32 exec_lo, exec_lo, s12
	v_and_b32_e32 v82, 0xffff0000, v49
	v_lshlrev_b32_e32 v4, 16, v83
                                        ; implicit-def: $vgpr49
	s_delay_alu instid0(VALU_DEP_1) | instskip(NEXT) | instid1(VALU_DEP_1)
	v_mul_f32_e32 v83, v82, v4
	v_and_b32_e32 v4, 0x7f800000, v83
	s_delay_alu instid0(VALU_DEP_1) | instskip(NEXT) | instid1(VALU_DEP_1)
	v_cmp_ne_u32_e64 s0, 0x7f800000, v4
	s_and_saveexec_b32 s12, s0
	s_delay_alu instid0(SALU_CYCLE_1)
	s_xor_b32 s0, exec_lo, s12
; %bb.1324:                             ;   in Loop: Header=BB413_1192 Depth=1
	v_bfe_u32 v4, v83, 16, 1
	s_delay_alu instid0(VALU_DEP_1)
	v_add3_u32 v49, v83, v4, 0x7fff
                                        ; implicit-def: $vgpr83
; %bb.1325:                             ;   in Loop: Header=BB413_1192 Depth=1
	s_and_not1_saveexec_b32 s12, s0
; %bb.1326:                             ;   in Loop: Header=BB413_1192 Depth=1
	v_and_b32_e32 v4, 0xffff, v83
	v_or_b32_e32 v5, 0x10000, v83
	s_delay_alu instid0(VALU_DEP_2) | instskip(NEXT) | instid1(VALU_DEP_1)
	v_cmp_eq_u32_e64 s0, 0, v4
	v_cndmask_b32_e64 v49, v5, v83, s0
; %bb.1327:                             ;   in Loop: Header=BB413_1192 Depth=1
	s_or_b32 exec_lo, exec_lo, s12
	v_and_b32_e32 v83, 0xffff0000, v50
	v_lshlrev_b32_e32 v4, 16, v100
                                        ; implicit-def: $vgpr50
	s_delay_alu instid0(VALU_DEP_1) | instskip(NEXT) | instid1(VALU_DEP_1)
	v_mul_f32_e32 v100, v83, v4
	v_and_b32_e32 v4, 0x7f800000, v100
	s_delay_alu instid0(VALU_DEP_1) | instskip(NEXT) | instid1(VALU_DEP_1)
	v_cmp_ne_u32_e64 s0, 0x7f800000, v4
	s_and_saveexec_b32 s12, s0
	s_delay_alu instid0(SALU_CYCLE_1)
	s_xor_b32 s0, exec_lo, s12
; %bb.1328:                             ;   in Loop: Header=BB413_1192 Depth=1
	v_bfe_u32 v4, v100, 16, 1
	s_delay_alu instid0(VALU_DEP_1)
	v_add3_u32 v50, v100, v4, 0x7fff
                                        ; implicit-def: $vgpr100
; %bb.1329:                             ;   in Loop: Header=BB413_1192 Depth=1
	s_and_not1_saveexec_b32 s12, s0
; %bb.1330:                             ;   in Loop: Header=BB413_1192 Depth=1
	v_and_b32_e32 v4, 0xffff, v100
	v_or_b32_e32 v5, 0x10000, v100
	s_delay_alu instid0(VALU_DEP_2) | instskip(NEXT) | instid1(VALU_DEP_1)
	v_cmp_eq_u32_e64 s0, 0, v4
	v_cndmask_b32_e64 v50, v5, v100, s0
; %bb.1331:                             ;   in Loop: Header=BB413_1192 Depth=1
	s_or_b32 exec_lo, exec_lo, s12
	v_and_b32_e32 v100, 0xffff0000, v51
	v_lshlrev_b32_e32 v4, 16, v101
                                        ; implicit-def: $vgpr51
	s_delay_alu instid0(VALU_DEP_1) | instskip(NEXT) | instid1(VALU_DEP_1)
	v_mul_f32_e32 v101, v100, v4
	v_and_b32_e32 v4, 0x7f800000, v101
	s_delay_alu instid0(VALU_DEP_1) | instskip(NEXT) | instid1(VALU_DEP_1)
	v_cmp_ne_u32_e64 s0, 0x7f800000, v4
	s_and_saveexec_b32 s12, s0
	s_delay_alu instid0(SALU_CYCLE_1)
	s_xor_b32 s0, exec_lo, s12
; %bb.1332:                             ;   in Loop: Header=BB413_1192 Depth=1
	v_bfe_u32 v4, v101, 16, 1
	s_delay_alu instid0(VALU_DEP_1)
	v_add3_u32 v51, v101, v4, 0x7fff
                                        ; implicit-def: $vgpr101
; %bb.1333:                             ;   in Loop: Header=BB413_1192 Depth=1
	s_and_not1_saveexec_b32 s12, s0
; %bb.1334:                             ;   in Loop: Header=BB413_1192 Depth=1
	v_and_b32_e32 v4, 0xffff, v101
	v_or_b32_e32 v5, 0x10000, v101
	s_delay_alu instid0(VALU_DEP_2) | instskip(NEXT) | instid1(VALU_DEP_1)
	v_cmp_eq_u32_e64 s0, 0, v4
	v_cndmask_b32_e64 v51, v5, v101, s0
; %bb.1335:                             ;   in Loop: Header=BB413_1192 Depth=1
	s_or_b32 exec_lo, exec_lo, s12
	v_and_b32_e32 v101, 0xffff0000, v52
	v_lshlrev_b32_e32 v4, 16, v9
                                        ; implicit-def: $vgpr52
	s_delay_alu instid0(VALU_DEP_1) | instskip(NEXT) | instid1(VALU_DEP_1)
	v_mul_f32_e32 v9, v101, v4
	v_and_b32_e32 v4, 0x7f800000, v9
	s_delay_alu instid0(VALU_DEP_1) | instskip(NEXT) | instid1(VALU_DEP_1)
	v_cmp_ne_u32_e64 s0, 0x7f800000, v4
	s_and_saveexec_b32 s12, s0
	s_delay_alu instid0(SALU_CYCLE_1)
	s_xor_b32 s0, exec_lo, s12
; %bb.1336:                             ;   in Loop: Header=BB413_1192 Depth=1
	v_bfe_u32 v4, v9, 16, 1
	s_delay_alu instid0(VALU_DEP_1)
	v_add3_u32 v52, v9, v4, 0x7fff
                                        ; implicit-def: $vgpr9
; %bb.1337:                             ;   in Loop: Header=BB413_1192 Depth=1
	s_and_not1_saveexec_b32 s12, s0
; %bb.1338:                             ;   in Loop: Header=BB413_1192 Depth=1
	v_and_b32_e32 v4, 0xffff, v9
	v_or_b32_e32 v5, 0x10000, v9
	s_delay_alu instid0(VALU_DEP_2) | instskip(NEXT) | instid1(VALU_DEP_1)
	v_cmp_eq_u32_e64 s0, 0, v4
	v_cndmask_b32_e64 v52, v5, v9, s0
; %bb.1339:                             ;   in Loop: Header=BB413_1192 Depth=1
	s_or_b32 exec_lo, exec_lo, s12
	v_and_b32_e32 v102, 0xffff0000, v53
	v_lshlrev_b32_e32 v4, 16, v7
                                        ; implicit-def: $vgpr53
	s_delay_alu instid0(VALU_DEP_1) | instskip(NEXT) | instid1(VALU_DEP_1)
	v_mul_f32_e32 v7, v102, v4
	v_and_b32_e32 v4, 0x7f800000, v7
	s_delay_alu instid0(VALU_DEP_1) | instskip(NEXT) | instid1(VALU_DEP_1)
	v_cmp_ne_u32_e64 s0, 0x7f800000, v4
	s_and_saveexec_b32 s12, s0
	s_delay_alu instid0(SALU_CYCLE_1)
	s_xor_b32 s0, exec_lo, s12
; %bb.1340:                             ;   in Loop: Header=BB413_1192 Depth=1
	v_bfe_u32 v4, v7, 16, 1
	s_delay_alu instid0(VALU_DEP_1)
	v_add3_u32 v53, v7, v4, 0x7fff
                                        ; implicit-def: $vgpr7
; %bb.1341:                             ;   in Loop: Header=BB413_1192 Depth=1
	s_and_not1_saveexec_b32 s12, s0
; %bb.1342:                             ;   in Loop: Header=BB413_1192 Depth=1
	v_and_b32_e32 v4, 0xffff, v7
	v_or_b32_e32 v5, 0x10000, v7
	s_delay_alu instid0(VALU_DEP_2) | instskip(NEXT) | instid1(VALU_DEP_1)
	v_cmp_eq_u32_e64 s0, 0, v4
	v_cndmask_b32_e64 v53, v5, v7, s0
; %bb.1343:                             ;   in Loop: Header=BB413_1192 Depth=1
	s_or_b32 exec_lo, exec_lo, s12
	v_and_b32_e32 v103, 0xffff0000, v54
	v_lshlrev_b32_e32 v4, 16, v6
                                        ; implicit-def: $vgpr54
	s_delay_alu instid0(VALU_DEP_1) | instskip(NEXT) | instid1(VALU_DEP_1)
	v_mul_f32_e32 v6, v103, v4
	v_and_b32_e32 v4, 0x7f800000, v6
	s_delay_alu instid0(VALU_DEP_1) | instskip(NEXT) | instid1(VALU_DEP_1)
	v_cmp_ne_u32_e64 s0, 0x7f800000, v4
	s_and_saveexec_b32 s12, s0
	s_delay_alu instid0(SALU_CYCLE_1)
	s_xor_b32 s0, exec_lo, s12
; %bb.1344:                             ;   in Loop: Header=BB413_1192 Depth=1
	v_bfe_u32 v4, v6, 16, 1
	s_delay_alu instid0(VALU_DEP_1)
	v_add3_u32 v54, v6, v4, 0x7fff
                                        ; implicit-def: $vgpr6
; %bb.1345:                             ;   in Loop: Header=BB413_1192 Depth=1
	s_and_not1_saveexec_b32 s12, s0
; %bb.1346:                             ;   in Loop: Header=BB413_1192 Depth=1
	v_and_b32_e32 v4, 0xffff, v6
	v_or_b32_e32 v5, 0x10000, v6
	s_delay_alu instid0(VALU_DEP_2) | instskip(NEXT) | instid1(VALU_DEP_1)
	v_cmp_eq_u32_e64 s0, 0, v4
	v_cndmask_b32_e64 v54, v5, v6, s0
; %bb.1347:                             ;   in Loop: Header=BB413_1192 Depth=1
	s_or_b32 exec_lo, exec_lo, s12
	v_and_b32_e32 v112, 0xffff0000, v55
	v_lshlrev_b32_e32 v3, 16, v3
                                        ; implicit-def: $vgpr55
	s_delay_alu instid0(VALU_DEP_1) | instskip(NEXT) | instid1(VALU_DEP_1)
	v_mul_f32_e32 v3, v112, v3
	v_and_b32_e32 v4, 0x7f800000, v3
	s_delay_alu instid0(VALU_DEP_1) | instskip(NEXT) | instid1(VALU_DEP_1)
	v_cmp_ne_u32_e64 s0, 0x7f800000, v4
	s_and_saveexec_b32 s12, s0
	s_delay_alu instid0(SALU_CYCLE_1)
	s_xor_b32 s0, exec_lo, s12
; %bb.1348:                             ;   in Loop: Header=BB413_1192 Depth=1
	v_bfe_u32 v4, v3, 16, 1
	s_delay_alu instid0(VALU_DEP_1)
	v_add3_u32 v55, v3, v4, 0x7fff
                                        ; implicit-def: $vgpr3
; %bb.1349:                             ;   in Loop: Header=BB413_1192 Depth=1
	s_and_not1_saveexec_b32 s12, s0
; %bb.1350:                             ;   in Loop: Header=BB413_1192 Depth=1
	v_and_b32_e32 v4, 0xffff, v3
	v_or_b32_e32 v5, 0x10000, v3
	s_delay_alu instid0(VALU_DEP_2) | instskip(NEXT) | instid1(VALU_DEP_1)
	v_cmp_eq_u32_e64 s0, 0, v4
	v_cndmask_b32_e64 v55, v5, v3, s0
; %bb.1351:                             ;   in Loop: Header=BB413_1192 Depth=1
	s_or_b32 exec_lo, exec_lo, s12
	v_and_b32_e32 v113, 0xffff0000, v65
	v_lshlrev_b32_e32 v2, 16, v2
                                        ; implicit-def: $vgpr65
	s_delay_alu instid0(VALU_DEP_1) | instskip(NEXT) | instid1(VALU_DEP_1)
	v_mul_f32_e32 v2, v113, v2
	v_and_b32_e32 v3, 0x7f800000, v2
	s_delay_alu instid0(VALU_DEP_1) | instskip(NEXT) | instid1(VALU_DEP_1)
	v_cmp_ne_u32_e64 s0, 0x7f800000, v3
	s_and_saveexec_b32 s12, s0
	s_delay_alu instid0(SALU_CYCLE_1)
	s_xor_b32 s0, exec_lo, s12
; %bb.1352:                             ;   in Loop: Header=BB413_1192 Depth=1
	v_bfe_u32 v3, v2, 16, 1
	s_delay_alu instid0(VALU_DEP_1)
	v_add3_u32 v65, v2, v3, 0x7fff
                                        ; implicit-def: $vgpr2
; %bb.1353:                             ;   in Loop: Header=BB413_1192 Depth=1
	s_and_not1_saveexec_b32 s12, s0
; %bb.1354:                             ;   in Loop: Header=BB413_1192 Depth=1
	v_and_b32_e32 v3, 0xffff, v2
	v_or_b32_e32 v4, 0x10000, v2
	s_delay_alu instid0(VALU_DEP_2) | instskip(NEXT) | instid1(VALU_DEP_1)
	v_cmp_eq_u32_e64 s0, 0, v3
	v_cndmask_b32_e64 v65, v4, v2, s0
; %bb.1355:                             ;   in Loop: Header=BB413_1192 Depth=1
	s_or_b32 exec_lo, exec_lo, s12
	flat_load_b64 v[2:3], v[0:1] offset:256
	s_mov_b32 s12, exec_lo
	s_waitcnt vmcnt(0) lgkmcnt(0)
	v_dual_mov_b32 v6, 0 :: v_dual_and_b32 v7, 0xff, v2
	s_delay_alu instid0(VALU_DEP_1)
	v_cmpx_ne_u16_e32 0, v7
	s_cbranch_execz .LBB413_1363
; %bb.1356:                             ;   in Loop: Header=BB413_1192 Depth=1
	v_bfrev_b32_e32 v6, 1
	s_mov_b32 s13, exec_lo
	v_cmpx_ne_u16_e32 0x80, v7
	s_cbranch_execz .LBB413_1362
; %bb.1357:                             ;   in Loop: Header=BB413_1192 Depth=1
	v_and_b32_e32 v7, 0x7f, v2
	v_mov_b32_e32 v6, 0x7f800001
	s_mov_b32 s15, exec_lo
	s_delay_alu instid0(VALU_DEP_2)
	v_cmpx_ne_u32_e32 0x7f, v7
	s_cbranch_execz .LBB413_1361
; %bb.1358:                             ;   in Loop: Header=BB413_1192 Depth=1
	v_lshrrev_b32_e32 v9, 3, v7
	v_cmp_gt_u32_e64 s0, 8, v7
	v_dual_mov_b32 v7, v3 :: v_dual_mov_b32 v6, v2
	s_delay_alu instid0(VALU_DEP_2)
	s_and_saveexec_b32 s17, s0
; %bb.1359:                             ;   in Loop: Header=BB413_1192 Depth=1
	v_and_b32_e32 v4, 7, v2
	s_delay_alu instid0(VALU_DEP_1) | instskip(NEXT) | instid1(VALU_DEP_1)
	v_clz_i32_u32_e32 v4, v4
	v_min_u32_e32 v4, 32, v4
	s_delay_alu instid0(VALU_DEP_1) | instskip(SKIP_1) | instid1(VALU_DEP_2)
	v_subrev_nc_u32_e32 v5, 28, v4
	v_sub_nc_u32_e32 v9, 29, v4
	v_lshlrev_b64 v[6:7], v5, v[2:3]
; %bb.1360:                             ;   in Loop: Header=BB413_1192 Depth=1
	s_or_b32 exec_lo, exec_lo, s17
	s_delay_alu instid0(VALU_DEP_1) | instskip(SKIP_2) | instid1(VALU_DEP_3)
	v_lshlrev_b32_e32 v4, 20, v6
	v_lshlrev_b32_e32 v5, 24, v2
	v_lshl_add_u32 v6, v9, 23, 0x3c000000
	v_and_b32_e32 v4, 0x700000, v4
	s_delay_alu instid0(VALU_DEP_3) | instskip(NEXT) | instid1(VALU_DEP_1)
	v_and_b32_e32 v5, 0x80000000, v5
	v_or3_b32 v6, v4, v5, v6
.LBB413_1361:                           ;   in Loop: Header=BB413_1192 Depth=1
	s_or_b32 exec_lo, exec_lo, s15
.LBB413_1362:                           ;   in Loop: Header=BB413_1192 Depth=1
	s_delay_alu instid0(SALU_CYCLE_1)
	s_or_b32 exec_lo, exec_lo, s13
.LBB413_1363:                           ;   in Loop: Header=BB413_1192 Depth=1
	s_delay_alu instid0(SALU_CYCLE_1) | instskip(NEXT) | instid1(VALU_DEP_1)
	s_or_b32 exec_lo, exec_lo, s12
	v_mul_f32_e32 v6, v8, v6
                                        ; implicit-def: $vgpr114
	s_delay_alu instid0(VALU_DEP_1) | instskip(NEXT) | instid1(VALU_DEP_1)
	v_and_b32_e32 v4, 0x7f800000, v6
	v_cmp_ne_u32_e64 s0, 0x7f800000, v4
	s_delay_alu instid0(VALU_DEP_1) | instskip(NEXT) | instid1(SALU_CYCLE_1)
	s_and_saveexec_b32 s12, s0
	s_xor_b32 s0, exec_lo, s12
; %bb.1364:                             ;   in Loop: Header=BB413_1192 Depth=1
	v_bfe_u32 v4, v6, 16, 1
	s_delay_alu instid0(VALU_DEP_1)
	v_add3_u32 v114, v6, v4, 0x7fff
                                        ; implicit-def: $vgpr6
; %bb.1365:                             ;   in Loop: Header=BB413_1192 Depth=1
	s_and_not1_saveexec_b32 s12, s0
; %bb.1366:                             ;   in Loop: Header=BB413_1192 Depth=1
	v_and_b32_e32 v4, 0xffff, v6
	v_or_b32_e32 v5, 0x10000, v6
	s_delay_alu instid0(VALU_DEP_2) | instskip(NEXT) | instid1(VALU_DEP_1)
	v_cmp_eq_u32_e64 s0, 0, v4
	v_cndmask_b32_e64 v114, v5, v6, s0
; %bb.1367:                             ;   in Loop: Header=BB413_1192 Depth=1
	s_or_b32 exec_lo, exec_lo, s12
	v_lshrrev_b16 v7, 8, v2
	v_mov_b32_e32 v6, 0
	s_mov_b32 s12, exec_lo
	s_delay_alu instid0(VALU_DEP_2)
	v_cmpx_ne_u16_e32 0, v7
	s_cbranch_execz .LBB413_1375
; %bb.1368:                             ;   in Loop: Header=BB413_1192 Depth=1
	v_bfrev_b32_e32 v6, 1
	s_mov_b32 s13, exec_lo
	v_cmpx_ne_u16_e32 0x80, v7
	s_cbranch_execz .LBB413_1374
; %bb.1369:                             ;   in Loop: Header=BB413_1192 Depth=1
	v_and_b32_e32 v9, 0xffff, v7
	v_mov_b32_e32 v6, 0x7f800001
	s_mov_b32 s15, exec_lo
	s_delay_alu instid0(VALU_DEP_2) | instskip(NEXT) | instid1(VALU_DEP_1)
	v_and_b32_e32 v7, 0x7f, v9
	v_cmpx_ne_u32_e32 0x7f, v7
	s_cbranch_execz .LBB413_1373
; %bb.1370:                             ;   in Loop: Header=BB413_1192 Depth=1
	v_and_b32_e32 v9, 7, v9
	v_lshrrev_b32_e32 v6, 3, v7
	s_mov_b32 s17, exec_lo
	v_cmpx_gt_u32_e32 8, v7
; %bb.1371:                             ;   in Loop: Header=BB413_1192 Depth=1
	s_delay_alu instid0(VALU_DEP_3) | instskip(NEXT) | instid1(VALU_DEP_1)
	v_clz_i32_u32_e32 v4, v9
	v_min_u32_e32 v4, 32, v4
	s_delay_alu instid0(VALU_DEP_1) | instskip(SKIP_1) | instid1(VALU_DEP_2)
	v_subrev_nc_u32_e32 v5, 28, v4
	v_sub_nc_u32_e32 v6, 29, v4
	v_lshlrev_b64 v[115:116], v5, v[9:10]
	s_delay_alu instid0(VALU_DEP_1)
	v_and_b32_e32 v9, 7, v115
; %bb.1372:                             ;   in Loop: Header=BB413_1192 Depth=1
	s_or_b32 exec_lo, exec_lo, s17
	v_lshlrev_b32_e32 v4, 16, v2
	s_delay_alu instid0(VALU_DEP_2) | instskip(SKIP_1) | instid1(VALU_DEP_3)
	v_lshlrev_b32_e32 v5, 20, v9
	v_lshl_add_u32 v6, v6, 23, 0x3c000000
	v_and_b32_e32 v4, 0x80000000, v4
	s_delay_alu instid0(VALU_DEP_1)
	v_or3_b32 v6, v5, v4, v6
.LBB413_1373:                           ;   in Loop: Header=BB413_1192 Depth=1
	s_or_b32 exec_lo, exec_lo, s15
.LBB413_1374:                           ;   in Loop: Header=BB413_1192 Depth=1
	s_delay_alu instid0(SALU_CYCLE_1)
	s_or_b32 exec_lo, exec_lo, s13
.LBB413_1375:                           ;   in Loop: Header=BB413_1192 Depth=1
	s_delay_alu instid0(SALU_CYCLE_1) | instskip(NEXT) | instid1(VALU_DEP_1)
	s_or_b32 exec_lo, exec_lo, s12
	v_mul_f32_e32 v6, v8, v6
                                        ; implicit-def: $vgpr115
	s_delay_alu instid0(VALU_DEP_1) | instskip(NEXT) | instid1(VALU_DEP_1)
	v_and_b32_e32 v4, 0x7f800000, v6
	v_cmp_ne_u32_e64 s0, 0x7f800000, v4
	s_delay_alu instid0(VALU_DEP_1) | instskip(NEXT) | instid1(SALU_CYCLE_1)
	s_and_saveexec_b32 s12, s0
	s_xor_b32 s0, exec_lo, s12
; %bb.1376:                             ;   in Loop: Header=BB413_1192 Depth=1
	v_bfe_u32 v4, v6, 16, 1
	s_delay_alu instid0(VALU_DEP_1)
	v_add3_u32 v115, v6, v4, 0x7fff
                                        ; implicit-def: $vgpr6
; %bb.1377:                             ;   in Loop: Header=BB413_1192 Depth=1
	s_and_not1_saveexec_b32 s12, s0
; %bb.1378:                             ;   in Loop: Header=BB413_1192 Depth=1
	v_and_b32_e32 v4, 0xffff, v6
	v_or_b32_e32 v5, 0x10000, v6
	s_delay_alu instid0(VALU_DEP_2) | instskip(NEXT) | instid1(VALU_DEP_1)
	v_cmp_eq_u32_e64 s0, 0, v4
	v_cndmask_b32_e64 v115, v5, v6, s0
; %bb.1379:                             ;   in Loop: Header=BB413_1192 Depth=1
	s_or_b32 exec_lo, exec_lo, s12
	v_lshrrev_b32_e32 v6, 16, v2
	v_mov_b32_e32 v7, 0
	s_mov_b32 s12, exec_lo
	s_delay_alu instid0(VALU_DEP_2) | instskip(NEXT) | instid1(VALU_DEP_1)
	v_and_b32_e32 v9, 0xff, v6
	v_cmpx_ne_u16_e32 0, v9
	s_cbranch_execz .LBB413_1387
; %bb.1380:                             ;   in Loop: Header=BB413_1192 Depth=1
	v_bfrev_b32_e32 v7, 1
	s_mov_b32 s13, exec_lo
	v_cmpx_ne_u16_e32 0x80, v9
	s_cbranch_execz .LBB413_1386
; %bb.1381:                             ;   in Loop: Header=BB413_1192 Depth=1
	v_bfe_u32 v116, v2, 16, 7
	v_mov_b32_e32 v7, 0x7f800001
	s_mov_b32 s15, exec_lo
	s_delay_alu instid0(VALU_DEP_2)
	v_cmpx_ne_u32_e32 0x7f, v116
	s_cbranch_execz .LBB413_1385
; %bb.1382:                             ;   in Loop: Header=BB413_1192 Depth=1
	v_and_b32_e32 v9, 7, v6
	v_lshrrev_b32_e32 v7, 3, v116
	s_mov_b32 s17, exec_lo
	v_cmpx_gt_u32_e32 8, v116
; %bb.1383:                             ;   in Loop: Header=BB413_1192 Depth=1
	s_delay_alu instid0(VALU_DEP_3) | instskip(NEXT) | instid1(VALU_DEP_1)
	v_clz_i32_u32_e32 v4, v9
	v_min_u32_e32 v4, 32, v4
	s_delay_alu instid0(VALU_DEP_1) | instskip(SKIP_1) | instid1(VALU_DEP_2)
	v_subrev_nc_u32_e32 v5, 28, v4
	v_sub_nc_u32_e32 v7, 29, v4
	v_lshlrev_b64 v[116:117], v5, v[9:10]
	s_delay_alu instid0(VALU_DEP_1)
	v_and_b32_e32 v9, 7, v116
; %bb.1384:                             ;   in Loop: Header=BB413_1192 Depth=1
	s_or_b32 exec_lo, exec_lo, s17
	v_lshlrev_b32_e32 v4, 24, v6
	s_delay_alu instid0(VALU_DEP_2) | instskip(SKIP_1) | instid1(VALU_DEP_3)
	v_lshlrev_b32_e32 v5, 20, v9
	v_lshl_add_u32 v6, v7, 23, 0x3c000000
	v_and_b32_e32 v4, 0x80000000, v4
	s_delay_alu instid0(VALU_DEP_1)
	v_or3_b32 v7, v5, v4, v6
.LBB413_1385:                           ;   in Loop: Header=BB413_1192 Depth=1
	s_or_b32 exec_lo, exec_lo, s15
.LBB413_1386:                           ;   in Loop: Header=BB413_1192 Depth=1
	s_delay_alu instid0(SALU_CYCLE_1)
	s_or_b32 exec_lo, exec_lo, s13
.LBB413_1387:                           ;   in Loop: Header=BB413_1192 Depth=1
	s_delay_alu instid0(SALU_CYCLE_1) | instskip(NEXT) | instid1(VALU_DEP_1)
	s_or_b32 exec_lo, exec_lo, s12
	v_mul_f32_e32 v6, v8, v7
                                        ; implicit-def: $vgpr116
	s_delay_alu instid0(VALU_DEP_1) | instskip(NEXT) | instid1(VALU_DEP_1)
	v_and_b32_e32 v4, 0x7f800000, v6
	v_cmp_ne_u32_e64 s0, 0x7f800000, v4
	s_delay_alu instid0(VALU_DEP_1) | instskip(NEXT) | instid1(SALU_CYCLE_1)
	s_and_saveexec_b32 s12, s0
	s_xor_b32 s0, exec_lo, s12
; %bb.1388:                             ;   in Loop: Header=BB413_1192 Depth=1
	v_bfe_u32 v4, v6, 16, 1
	s_delay_alu instid0(VALU_DEP_1)
	v_add3_u32 v116, v6, v4, 0x7fff
                                        ; implicit-def: $vgpr6
; %bb.1389:                             ;   in Loop: Header=BB413_1192 Depth=1
	s_and_not1_saveexec_b32 s12, s0
; %bb.1390:                             ;   in Loop: Header=BB413_1192 Depth=1
	v_and_b32_e32 v4, 0xffff, v6
	v_or_b32_e32 v5, 0x10000, v6
	s_delay_alu instid0(VALU_DEP_2) | instskip(NEXT) | instid1(VALU_DEP_1)
	v_cmp_eq_u32_e64 s0, 0, v4
	v_cndmask_b32_e64 v116, v5, v6, s0
; %bb.1391:                             ;   in Loop: Header=BB413_1192 Depth=1
	s_or_b32 exec_lo, exec_lo, s12
	v_mov_b32_e32 v7, 0
	s_mov_b32 s12, exec_lo
	v_cmpx_lt_u32_e32 0xffffff, v2
	s_cbranch_execz .LBB413_1399
; %bb.1392:                             ;   in Loop: Header=BB413_1192 Depth=1
	v_lshrrev_b32_e32 v6, 24, v2
	v_bfrev_b32_e32 v7, 1
	s_mov_b32 s13, exec_lo
	s_delay_alu instid0(VALU_DEP_2)
	v_cmpx_ne_u32_e32 0x80, v6
	s_cbranch_execz .LBB413_1398
; %bb.1393:                             ;   in Loop: Header=BB413_1192 Depth=1
	v_bfe_u32 v117, v2, 24, 7
	v_mov_b32_e32 v7, 0x7f800001
	s_mov_b32 s15, exec_lo
	s_delay_alu instid0(VALU_DEP_2)
	v_cmpx_ne_u32_e32 0x7f, v117
	s_cbranch_execz .LBB413_1397
; %bb.1394:                             ;   in Loop: Header=BB413_1192 Depth=1
	v_and_b32_e32 v9, 7, v6
	v_lshrrev_b32_e32 v7, 3, v117
	s_mov_b32 s17, exec_lo
	v_cmpx_gt_u32_e32 8, v117
; %bb.1395:                             ;   in Loop: Header=BB413_1192 Depth=1
	s_delay_alu instid0(VALU_DEP_3) | instskip(NEXT) | instid1(VALU_DEP_1)
	v_clz_i32_u32_e32 v4, v9
	v_min_u32_e32 v4, 32, v4
	s_delay_alu instid0(VALU_DEP_1) | instskip(SKIP_1) | instid1(VALU_DEP_2)
	v_subrev_nc_u32_e32 v5, 28, v4
	v_sub_nc_u32_e32 v7, 29, v4
	v_lshlrev_b64 v[117:118], v5, v[9:10]
	s_delay_alu instid0(VALU_DEP_1)
	v_and_b32_e32 v9, 7, v117
; %bb.1396:                             ;   in Loop: Header=BB413_1192 Depth=1
	s_or_b32 exec_lo, exec_lo, s17
	v_lshlrev_b32_e32 v4, 24, v6
	s_delay_alu instid0(VALU_DEP_2) | instskip(SKIP_1) | instid1(VALU_DEP_3)
	v_lshlrev_b32_e32 v5, 20, v9
	v_lshl_add_u32 v6, v7, 23, 0x3c000000
	v_and_b32_e32 v4, 0x80000000, v4
	s_delay_alu instid0(VALU_DEP_1)
	v_or3_b32 v7, v5, v4, v6
.LBB413_1397:                           ;   in Loop: Header=BB413_1192 Depth=1
	s_or_b32 exec_lo, exec_lo, s15
.LBB413_1398:                           ;   in Loop: Header=BB413_1192 Depth=1
	s_delay_alu instid0(SALU_CYCLE_1)
	s_or_b32 exec_lo, exec_lo, s13
.LBB413_1399:                           ;   in Loop: Header=BB413_1192 Depth=1
	s_delay_alu instid0(SALU_CYCLE_1) | instskip(NEXT) | instid1(VALU_DEP_1)
	s_or_b32 exec_lo, exec_lo, s12
	v_mul_f32_e32 v6, v8, v7
                                        ; implicit-def: $vgpr117
	s_delay_alu instid0(VALU_DEP_1) | instskip(NEXT) | instid1(VALU_DEP_1)
	v_and_b32_e32 v4, 0x7f800000, v6
	v_cmp_ne_u32_e64 s0, 0x7f800000, v4
	s_delay_alu instid0(VALU_DEP_1) | instskip(NEXT) | instid1(SALU_CYCLE_1)
	s_and_saveexec_b32 s12, s0
	s_xor_b32 s0, exec_lo, s12
; %bb.1400:                             ;   in Loop: Header=BB413_1192 Depth=1
	v_bfe_u32 v4, v6, 16, 1
	s_delay_alu instid0(VALU_DEP_1)
	v_add3_u32 v117, v6, v4, 0x7fff
                                        ; implicit-def: $vgpr6
; %bb.1401:                             ;   in Loop: Header=BB413_1192 Depth=1
	s_and_not1_saveexec_b32 s12, s0
; %bb.1402:                             ;   in Loop: Header=BB413_1192 Depth=1
	v_and_b32_e32 v4, 0xffff, v6
	v_or_b32_e32 v5, 0x10000, v6
	s_delay_alu instid0(VALU_DEP_2) | instskip(NEXT) | instid1(VALU_DEP_1)
	v_cmp_eq_u32_e64 s0, 0, v4
	v_cndmask_b32_e64 v117, v5, v6, s0
; %bb.1403:                             ;   in Loop: Header=BB413_1192 Depth=1
	s_or_b32 exec_lo, exec_lo, s12
	v_dual_mov_b32 v6, 0 :: v_dual_and_b32 v7, 0xff, v3
	v_mov_b32_e32 v9, v3
	s_mov_b32 s12, exec_lo
	s_delay_alu instid0(VALU_DEP_2)
	v_cmpx_ne_u16_e32 0, v7
	s_cbranch_execz .LBB413_1411
; %bb.1404:                             ;   in Loop: Header=BB413_1192 Depth=1
	v_bfrev_b32_e32 v6, 1
	s_mov_b32 s13, exec_lo
	v_cmpx_ne_u16_e32 0x80, v7
	s_cbranch_execz .LBB413_1410
; %bb.1405:                             ;   in Loop: Header=BB413_1192 Depth=1
	v_and_b32_e32 v7, 0x7f, v3
	v_mov_b32_e32 v6, 0x7f800001
	s_mov_b32 s15, exec_lo
	s_delay_alu instid0(VALU_DEP_2)
	v_cmpx_ne_u32_e32 0x7f, v7
	s_cbranch_execz .LBB413_1409
; %bb.1406:                             ;   in Loop: Header=BB413_1192 Depth=1
	v_lshrrev_b32_e32 v118, 3, v7
	v_cmp_gt_u32_e64 s0, 8, v7
	v_dual_mov_b32 v6, v9 :: v_dual_mov_b32 v7, v10
	s_delay_alu instid0(VALU_DEP_2)
	s_and_saveexec_b32 s17, s0
; %bb.1407:                             ;   in Loop: Header=BB413_1192 Depth=1
	v_and_b32_e32 v4, 7, v3
	s_delay_alu instid0(VALU_DEP_1) | instskip(NEXT) | instid1(VALU_DEP_1)
	v_clz_i32_u32_e32 v4, v4
	v_min_u32_e32 v4, 32, v4
	s_delay_alu instid0(VALU_DEP_1) | instskip(SKIP_1) | instid1(VALU_DEP_2)
	v_subrev_nc_u32_e32 v5, 28, v4
	v_sub_nc_u32_e32 v118, 29, v4
	v_lshlrev_b64 v[6:7], v5, v[9:10]
; %bb.1408:                             ;   in Loop: Header=BB413_1192 Depth=1
	s_or_b32 exec_lo, exec_lo, s17
	s_delay_alu instid0(VALU_DEP_1) | instskip(SKIP_2) | instid1(VALU_DEP_3)
	v_lshlrev_b32_e32 v4, 20, v6
	v_lshlrev_b32_e32 v5, 24, v9
	v_lshl_add_u32 v6, v118, 23, 0x3c000000
	v_and_b32_e32 v4, 0x700000, v4
	s_delay_alu instid0(VALU_DEP_3) | instskip(NEXT) | instid1(VALU_DEP_1)
	v_and_b32_e32 v5, 0x80000000, v5
	v_or3_b32 v6, v4, v5, v6
.LBB413_1409:                           ;   in Loop: Header=BB413_1192 Depth=1
	s_or_b32 exec_lo, exec_lo, s15
.LBB413_1410:                           ;   in Loop: Header=BB413_1192 Depth=1
	s_delay_alu instid0(SALU_CYCLE_1)
	s_or_b32 exec_lo, exec_lo, s13
.LBB413_1411:                           ;   in Loop: Header=BB413_1192 Depth=1
	s_delay_alu instid0(SALU_CYCLE_1) | instskip(NEXT) | instid1(VALU_DEP_1)
	s_or_b32 exec_lo, exec_lo, s12
	v_mul_f32_e32 v6, v8, v6
                                        ; implicit-def: $vgpr118
	s_delay_alu instid0(VALU_DEP_1) | instskip(NEXT) | instid1(VALU_DEP_1)
	v_and_b32_e32 v4, 0x7f800000, v6
	v_cmp_ne_u32_e64 s0, 0x7f800000, v4
	s_delay_alu instid0(VALU_DEP_1) | instskip(NEXT) | instid1(SALU_CYCLE_1)
	s_and_saveexec_b32 s12, s0
	s_xor_b32 s0, exec_lo, s12
; %bb.1412:                             ;   in Loop: Header=BB413_1192 Depth=1
	v_bfe_u32 v4, v6, 16, 1
	s_delay_alu instid0(VALU_DEP_1)
	v_add3_u32 v118, v6, v4, 0x7fff
                                        ; implicit-def: $vgpr6
; %bb.1413:                             ;   in Loop: Header=BB413_1192 Depth=1
	s_and_not1_saveexec_b32 s12, s0
; %bb.1414:                             ;   in Loop: Header=BB413_1192 Depth=1
	v_and_b32_e32 v4, 0xffff, v6
	v_or_b32_e32 v5, 0x10000, v6
	s_delay_alu instid0(VALU_DEP_2) | instskip(NEXT) | instid1(VALU_DEP_1)
	v_cmp_eq_u32_e64 s0, 0, v4
	v_cndmask_b32_e64 v118, v5, v6, s0
; %bb.1415:                             ;   in Loop: Header=BB413_1192 Depth=1
	s_or_b32 exec_lo, exec_lo, s12
	v_lshrrev_b16 v7, 8, v9
	v_mov_b32_e32 v6, 0
	s_mov_b32 s12, exec_lo
	s_delay_alu instid0(VALU_DEP_2)
	v_cmpx_ne_u16_e32 0, v7
	s_cbranch_execz .LBB413_1423
; %bb.1416:                             ;   in Loop: Header=BB413_1192 Depth=1
	v_bfrev_b32_e32 v6, 1
	s_mov_b32 s13, exec_lo
	v_cmpx_ne_u16_e32 0x80, v7
	s_cbranch_execz .LBB413_1422
; %bb.1417:                             ;   in Loop: Header=BB413_1192 Depth=1
	v_and_b32_e32 v7, 0xffff, v7
	v_mov_b32_e32 v6, 0x7f800001
	s_mov_b32 s15, exec_lo
	s_delay_alu instid0(VALU_DEP_2) | instskip(NEXT) | instid1(VALU_DEP_1)
	v_and_b32_e32 v128, 0x7f, v7
	v_cmpx_ne_u32_e32 0x7f, v128
	s_cbranch_execz .LBB413_1421
; %bb.1418:                             ;   in Loop: Header=BB413_1192 Depth=1
	v_dual_mov_b32 v7, v10 :: v_dual_and_b32 v6, 7, v7
	v_lshrrev_b32_e32 v119, 3, v128
	s_mov_b32 s17, exec_lo
	v_cmpx_gt_u32_e32 8, v128
; %bb.1419:                             ;   in Loop: Header=BB413_1192 Depth=1
	s_delay_alu instid0(VALU_DEP_3) | instskip(NEXT) | instid1(VALU_DEP_1)
	v_clz_i32_u32_e32 v4, v6
	v_min_u32_e32 v4, 32, v4
	s_delay_alu instid0(VALU_DEP_1) | instskip(SKIP_1) | instid1(VALU_DEP_2)
	v_subrev_nc_u32_e32 v5, 28, v4
	v_sub_nc_u32_e32 v119, 29, v4
	v_lshlrev_b64 v[6:7], v5, v[6:7]
	s_delay_alu instid0(VALU_DEP_1)
	v_and_b32_e32 v6, 7, v6
; %bb.1420:                             ;   in Loop: Header=BB413_1192 Depth=1
	s_or_b32 exec_lo, exec_lo, s17
	v_lshlrev_b32_e32 v4, 16, v9
	s_delay_alu instid0(VALU_DEP_2) | instskip(SKIP_1) | instid1(VALU_DEP_3)
	v_lshlrev_b32_e32 v5, 20, v6
	v_lshl_add_u32 v6, v119, 23, 0x3c000000
	v_and_b32_e32 v4, 0x80000000, v4
	s_delay_alu instid0(VALU_DEP_1)
	v_or3_b32 v6, v5, v4, v6
.LBB413_1421:                           ;   in Loop: Header=BB413_1192 Depth=1
	s_or_b32 exec_lo, exec_lo, s15
.LBB413_1422:                           ;   in Loop: Header=BB413_1192 Depth=1
	s_delay_alu instid0(SALU_CYCLE_1)
	s_or_b32 exec_lo, exec_lo, s13
.LBB413_1423:                           ;   in Loop: Header=BB413_1192 Depth=1
	s_delay_alu instid0(SALU_CYCLE_1) | instskip(NEXT) | instid1(VALU_DEP_1)
	s_or_b32 exec_lo, exec_lo, s12
	v_mul_f32_e32 v7, v8, v6
                                        ; implicit-def: $vgpr6
	s_delay_alu instid0(VALU_DEP_1) | instskip(NEXT) | instid1(VALU_DEP_1)
	v_and_b32_e32 v4, 0x7f800000, v7
	v_cmp_ne_u32_e64 s0, 0x7f800000, v4
	s_delay_alu instid0(VALU_DEP_1) | instskip(NEXT) | instid1(SALU_CYCLE_1)
	s_and_saveexec_b32 s12, s0
	s_xor_b32 s0, exec_lo, s12
; %bb.1424:                             ;   in Loop: Header=BB413_1192 Depth=1
	v_bfe_u32 v4, v7, 16, 1
	s_delay_alu instid0(VALU_DEP_1)
	v_add3_u32 v6, v7, v4, 0x7fff
                                        ; implicit-def: $vgpr7
; %bb.1425:                             ;   in Loop: Header=BB413_1192 Depth=1
	s_and_not1_saveexec_b32 s12, s0
; %bb.1426:                             ;   in Loop: Header=BB413_1192 Depth=1
	v_and_b32_e32 v4, 0xffff, v7
	v_or_b32_e32 v5, 0x10000, v7
	s_delay_alu instid0(VALU_DEP_2) | instskip(NEXT) | instid1(VALU_DEP_1)
	v_cmp_eq_u32_e64 s0, 0, v4
	v_cndmask_b32_e64 v6, v5, v7, s0
; %bb.1427:                             ;   in Loop: Header=BB413_1192 Depth=1
	s_or_b32 exec_lo, exec_lo, s12
	v_lshrrev_b32_e32 v7, 16, v3
	v_mov_b32_e32 v9, 0
	s_mov_b32 s12, exec_lo
	s_delay_alu instid0(VALU_DEP_2) | instskip(NEXT) | instid1(VALU_DEP_1)
	v_and_b32_e32 v119, 0xff, v7
	v_cmpx_ne_u16_e32 0, v119
	s_cbranch_execz .LBB413_1435
; %bb.1428:                             ;   in Loop: Header=BB413_1192 Depth=1
	v_bfrev_b32_e32 v9, 1
	s_mov_b32 s13, exec_lo
	v_cmpx_ne_u16_e32 0x80, v119
	s_cbranch_execz .LBB413_1434
; %bb.1429:                             ;   in Loop: Header=BB413_1192 Depth=1
	v_bfe_u32 v128, v3, 16, 7
	v_mov_b32_e32 v9, 0x7f800001
	s_mov_b32 s15, exec_lo
	s_delay_alu instid0(VALU_DEP_2)
	v_cmpx_ne_u32_e32 0x7f, v128
	s_cbranch_execz .LBB413_1433
; %bb.1430:                             ;   in Loop: Header=BB413_1192 Depth=1
	v_and_b32_e32 v9, 7, v7
	v_lshrrev_b32_e32 v119, 3, v128
	s_mov_b32 s17, exec_lo
	v_cmpx_gt_u32_e32 8, v128
; %bb.1431:                             ;   in Loop: Header=BB413_1192 Depth=1
	s_delay_alu instid0(VALU_DEP_3) | instskip(NEXT) | instid1(VALU_DEP_1)
	v_clz_i32_u32_e32 v4, v9
	v_min_u32_e32 v4, 32, v4
	s_delay_alu instid0(VALU_DEP_1) | instskip(SKIP_1) | instid1(VALU_DEP_2)
	v_subrev_nc_u32_e32 v5, 28, v4
	v_sub_nc_u32_e32 v119, 29, v4
	v_lshlrev_b64 v[128:129], v5, v[9:10]
	s_delay_alu instid0(VALU_DEP_1)
	v_and_b32_e32 v9, 7, v128
; %bb.1432:                             ;   in Loop: Header=BB413_1192 Depth=1
	s_or_b32 exec_lo, exec_lo, s17
	v_lshlrev_b32_e32 v4, 24, v7
	s_delay_alu instid0(VALU_DEP_2) | instskip(SKIP_1) | instid1(VALU_DEP_3)
	v_lshlrev_b32_e32 v5, 20, v9
	v_lshl_add_u32 v7, v119, 23, 0x3c000000
	v_and_b32_e32 v4, 0x80000000, v4
	s_delay_alu instid0(VALU_DEP_1)
	v_or3_b32 v9, v5, v4, v7
.LBB413_1433:                           ;   in Loop: Header=BB413_1192 Depth=1
	s_or_b32 exec_lo, exec_lo, s15
.LBB413_1434:                           ;   in Loop: Header=BB413_1192 Depth=1
	s_delay_alu instid0(SALU_CYCLE_1)
	s_or_b32 exec_lo, exec_lo, s13
.LBB413_1435:                           ;   in Loop: Header=BB413_1192 Depth=1
	s_delay_alu instid0(SALU_CYCLE_1) | instskip(NEXT) | instid1(VALU_DEP_1)
	s_or_b32 exec_lo, exec_lo, s12
	v_mul_f32_e32 v7, v8, v9
                                        ; implicit-def: $vgpr119
	s_delay_alu instid0(VALU_DEP_1) | instskip(NEXT) | instid1(VALU_DEP_1)
	v_and_b32_e32 v4, 0x7f800000, v7
	v_cmp_ne_u32_e64 s0, 0x7f800000, v4
	s_delay_alu instid0(VALU_DEP_1) | instskip(NEXT) | instid1(SALU_CYCLE_1)
	s_and_saveexec_b32 s12, s0
	s_xor_b32 s0, exec_lo, s12
; %bb.1436:                             ;   in Loop: Header=BB413_1192 Depth=1
	v_bfe_u32 v4, v7, 16, 1
	s_delay_alu instid0(VALU_DEP_1)
	v_add3_u32 v119, v7, v4, 0x7fff
                                        ; implicit-def: $vgpr7
; %bb.1437:                             ;   in Loop: Header=BB413_1192 Depth=1
	s_and_not1_saveexec_b32 s12, s0
; %bb.1438:                             ;   in Loop: Header=BB413_1192 Depth=1
	v_and_b32_e32 v4, 0xffff, v7
	v_or_b32_e32 v5, 0x10000, v7
	s_delay_alu instid0(VALU_DEP_2) | instskip(NEXT) | instid1(VALU_DEP_1)
	v_cmp_eq_u32_e64 s0, 0, v4
	v_cndmask_b32_e64 v119, v5, v7, s0
; %bb.1439:                             ;   in Loop: Header=BB413_1192 Depth=1
	s_or_b32 exec_lo, exec_lo, s12
	v_mov_b32_e32 v7, 0
	s_mov_b32 s12, exec_lo
	v_cmpx_lt_u64_e64 s[8:9], v[2:3]
	s_cbranch_execz .LBB413_1447
; %bb.1440:                             ;   in Loop: Header=BB413_1192 Depth=1
	v_lshrrev_b32_e32 v2, 24, v3
	v_bfrev_b32_e32 v7, 1
	s_mov_b32 s13, exec_lo
	s_delay_alu instid0(VALU_DEP_2)
	v_cmpx_ne_u32_e32 0x80, v2
	s_cbranch_execz .LBB413_1446
; %bb.1441:                             ;   in Loop: Header=BB413_1192 Depth=1
	v_bfe_u32 v128, v3, 24, 7
	v_mov_b32_e32 v7, 0x7f800001
	s_mov_b32 s15, exec_lo
	s_delay_alu instid0(VALU_DEP_2)
	v_cmpx_ne_u32_e32 0x7f, v128
	s_cbranch_execz .LBB413_1445
; %bb.1442:                             ;   in Loop: Header=BB413_1192 Depth=1
	v_and_b32_e32 v9, 7, v2
	v_lshrrev_b32_e32 v3, 3, v128
	s_mov_b32 s17, exec_lo
	v_cmpx_gt_u32_e32 8, v128
; %bb.1443:                             ;   in Loop: Header=BB413_1192 Depth=1
	s_delay_alu instid0(VALU_DEP_3) | instskip(NEXT) | instid1(VALU_DEP_1)
	v_clz_i32_u32_e32 v3, v9
	v_min_u32_e32 v3, 32, v3
	s_delay_alu instid0(VALU_DEP_1) | instskip(SKIP_1) | instid1(VALU_DEP_2)
	v_subrev_nc_u32_e32 v4, 28, v3
	v_sub_nc_u32_e32 v3, 29, v3
	v_lshlrev_b64 v[128:129], v4, v[9:10]
	s_delay_alu instid0(VALU_DEP_1)
	v_and_b32_e32 v9, 7, v128
; %bb.1444:                             ;   in Loop: Header=BB413_1192 Depth=1
	s_or_b32 exec_lo, exec_lo, s17
	v_lshlrev_b32_e32 v2, 24, v2
	s_delay_alu instid0(VALU_DEP_2) | instskip(SKIP_1) | instid1(VALU_DEP_3)
	v_lshlrev_b32_e32 v4, 20, v9
	v_lshl_add_u32 v3, v3, 23, 0x3c000000
	v_and_b32_e32 v2, 0x80000000, v2
	s_delay_alu instid0(VALU_DEP_1)
	v_or3_b32 v7, v4, v2, v3
.LBB413_1445:                           ;   in Loop: Header=BB413_1192 Depth=1
	s_or_b32 exec_lo, exec_lo, s15
.LBB413_1446:                           ;   in Loop: Header=BB413_1192 Depth=1
	s_delay_alu instid0(SALU_CYCLE_1)
	s_or_b32 exec_lo, exec_lo, s13
.LBB413_1447:                           ;   in Loop: Header=BB413_1192 Depth=1
	s_delay_alu instid0(SALU_CYCLE_1) | instskip(NEXT) | instid1(VALU_DEP_1)
	s_or_b32 exec_lo, exec_lo, s12
	v_mul_f32_e32 v3, v8, v7
	s_delay_alu instid0(VALU_DEP_1) | instskip(NEXT) | instid1(VALU_DEP_1)
	v_and_b32_e32 v2, 0x7f800000, v3
	v_cmp_ne_u32_e64 s0, 0x7f800000, v2
                                        ; implicit-def: $vgpr2
	s_delay_alu instid0(VALU_DEP_1) | instskip(NEXT) | instid1(SALU_CYCLE_1)
	s_and_saveexec_b32 s12, s0
	s_xor_b32 s0, exec_lo, s12
; %bb.1448:                             ;   in Loop: Header=BB413_1192 Depth=1
	v_bfe_u32 v2, v3, 16, 1
	s_delay_alu instid0(VALU_DEP_1)
	v_add3_u32 v2, v3, v2, 0x7fff
                                        ; implicit-def: $vgpr3
; %bb.1449:                             ;   in Loop: Header=BB413_1192 Depth=1
	s_and_not1_saveexec_b32 s12, s0
; %bb.1450:                             ;   in Loop: Header=BB413_1192 Depth=1
	v_and_b32_e32 v2, 0xffff, v3
	v_or_b32_e32 v4, 0x10000, v3
	s_delay_alu instid0(VALU_DEP_2) | instskip(NEXT) | instid1(VALU_DEP_1)
	v_cmp_eq_u32_e64 s0, 0, v2
	v_cndmask_b32_e64 v2, v4, v3, s0
; %bb.1451:                             ;   in Loop: Header=BB413_1192 Depth=1
	s_or_b32 exec_lo, exec_lo, s12
	v_lshrrev_b32_e32 v6, 16, v6
	v_lshrrev_b32_e32 v7, 16, v118
	;; [unrolled: 1-line block ×8, first 2 shown]
	s_and_saveexec_b32 s12, vcc_lo
	s_cbranch_execz .LBB413_1453
; %bb.1452:                             ;   in Loop: Header=BB413_1192 Depth=1
	v_cmp_lt_i32_e64 s0, v66, v85
	s_delay_alu instid0(VALU_DEP_1) | instskip(SKIP_1) | instid1(VALU_DEP_1)
	v_cndmask_b32_e64 v114, 0, v114, s0
	v_cmp_lt_i32_e64 s0, v81, v85
	v_cndmask_b32_e64 v115, 0, v115, s0
	v_cmp_lt_i32_e64 s0, v80, v85
	s_delay_alu instid0(VALU_DEP_1) | instskip(SKIP_1) | instid1(VALU_DEP_1)
	v_cndmask_b32_e64 v116, 0, v116, s0
	v_cmp_lt_i32_e64 s0, v71, v85
	v_cndmask_b32_e64 v9, 0, v9, s0
	;; [unrolled: 5-line block ×4, first 2 shown]
.LBB413_1453:                           ;   in Loop: Header=BB413_1192 Depth=1
	s_or_b32 exec_lo, exec_lo, s12
	v_lshlrev_b32_e32 v4, 16, v114
                                        ; implicit-def: $vgpr114
	s_delay_alu instid0(VALU_DEP_1) | instskip(NEXT) | instid1(VALU_DEP_1)
	v_mul_f32_e32 v117, v82, v4
	v_and_b32_e32 v4, 0x7f800000, v117
	s_delay_alu instid0(VALU_DEP_1) | instskip(NEXT) | instid1(VALU_DEP_1)
	v_cmp_ne_u32_e64 s0, 0x7f800000, v4
	s_and_saveexec_b32 s12, s0
	s_delay_alu instid0(SALU_CYCLE_1)
	s_xor_b32 s0, exec_lo, s12
; %bb.1454:                             ;   in Loop: Header=BB413_1192 Depth=1
	v_bfe_u32 v4, v117, 16, 1
	s_delay_alu instid0(VALU_DEP_1)
	v_add3_u32 v114, v117, v4, 0x7fff
                                        ; implicit-def: $vgpr117
; %bb.1455:                             ;   in Loop: Header=BB413_1192 Depth=1
	s_and_not1_saveexec_b32 s12, s0
; %bb.1456:                             ;   in Loop: Header=BB413_1192 Depth=1
	v_and_b32_e32 v4, 0xffff, v117
	v_or_b32_e32 v5, 0x10000, v117
	s_delay_alu instid0(VALU_DEP_2) | instskip(NEXT) | instid1(VALU_DEP_1)
	v_cmp_eq_u32_e64 s0, 0, v4
	v_cndmask_b32_e64 v114, v5, v117, s0
; %bb.1457:                             ;   in Loop: Header=BB413_1192 Depth=1
	s_or_b32 exec_lo, exec_lo, s12
	v_lshlrev_b32_e32 v4, 16, v115
                                        ; implicit-def: $vgpr115
	s_delay_alu instid0(VALU_DEP_1) | instskip(NEXT) | instid1(VALU_DEP_1)
	v_mul_f32_e32 v117, v83, v4
	v_and_b32_e32 v4, 0x7f800000, v117
	s_delay_alu instid0(VALU_DEP_1) | instskip(NEXT) | instid1(VALU_DEP_1)
	v_cmp_ne_u32_e64 s0, 0x7f800000, v4
	s_and_saveexec_b32 s12, s0
	s_delay_alu instid0(SALU_CYCLE_1)
	s_xor_b32 s0, exec_lo, s12
; %bb.1458:                             ;   in Loop: Header=BB413_1192 Depth=1
	v_bfe_u32 v4, v117, 16, 1
	s_delay_alu instid0(VALU_DEP_1)
	v_add3_u32 v115, v117, v4, 0x7fff
                                        ; implicit-def: $vgpr117
; %bb.1459:                             ;   in Loop: Header=BB413_1192 Depth=1
	s_and_not1_saveexec_b32 s12, s0
; %bb.1460:                             ;   in Loop: Header=BB413_1192 Depth=1
	v_and_b32_e32 v4, 0xffff, v117
	v_or_b32_e32 v5, 0x10000, v117
	s_delay_alu instid0(VALU_DEP_2) | instskip(NEXT) | instid1(VALU_DEP_1)
	v_cmp_eq_u32_e64 s0, 0, v4
	v_cndmask_b32_e64 v115, v5, v117, s0
; %bb.1461:                             ;   in Loop: Header=BB413_1192 Depth=1
	s_or_b32 exec_lo, exec_lo, s12
	v_lshlrev_b32_e32 v4, 16, v116
                                        ; implicit-def: $vgpr116
	s_delay_alu instid0(VALU_DEP_1) | instskip(NEXT) | instid1(VALU_DEP_1)
	v_mul_f32_e32 v117, v100, v4
	v_and_b32_e32 v4, 0x7f800000, v117
	s_delay_alu instid0(VALU_DEP_1) | instskip(NEXT) | instid1(VALU_DEP_1)
	v_cmp_ne_u32_e64 s0, 0x7f800000, v4
	s_and_saveexec_b32 s12, s0
	s_delay_alu instid0(SALU_CYCLE_1)
	s_xor_b32 s0, exec_lo, s12
; %bb.1462:                             ;   in Loop: Header=BB413_1192 Depth=1
	v_bfe_u32 v4, v117, 16, 1
	s_delay_alu instid0(VALU_DEP_1)
	v_add3_u32 v116, v117, v4, 0x7fff
                                        ; implicit-def: $vgpr117
; %bb.1463:                             ;   in Loop: Header=BB413_1192 Depth=1
	s_and_not1_saveexec_b32 s12, s0
; %bb.1464:                             ;   in Loop: Header=BB413_1192 Depth=1
	v_and_b32_e32 v4, 0xffff, v117
	v_or_b32_e32 v5, 0x10000, v117
	s_delay_alu instid0(VALU_DEP_2) | instskip(NEXT) | instid1(VALU_DEP_1)
	v_cmp_eq_u32_e64 s0, 0, v4
	v_cndmask_b32_e64 v116, v5, v117, s0
; %bb.1465:                             ;   in Loop: Header=BB413_1192 Depth=1
	s_or_b32 exec_lo, exec_lo, s12
	v_lshlrev_b32_e32 v4, 16, v9
                                        ; implicit-def: $vgpr117
	s_delay_alu instid0(VALU_DEP_1) | instskip(NEXT) | instid1(VALU_DEP_1)
	v_mul_f32_e32 v9, v101, v4
	v_and_b32_e32 v4, 0x7f800000, v9
	s_delay_alu instid0(VALU_DEP_1) | instskip(NEXT) | instid1(VALU_DEP_1)
	v_cmp_ne_u32_e64 s0, 0x7f800000, v4
	s_and_saveexec_b32 s12, s0
	s_delay_alu instid0(SALU_CYCLE_1)
	s_xor_b32 s0, exec_lo, s12
; %bb.1466:                             ;   in Loop: Header=BB413_1192 Depth=1
	v_bfe_u32 v4, v9, 16, 1
	s_delay_alu instid0(VALU_DEP_1)
	v_add3_u32 v117, v9, v4, 0x7fff
                                        ; implicit-def: $vgpr9
; %bb.1467:                             ;   in Loop: Header=BB413_1192 Depth=1
	s_and_not1_saveexec_b32 s12, s0
; %bb.1468:                             ;   in Loop: Header=BB413_1192 Depth=1
	v_and_b32_e32 v4, 0xffff, v9
	v_or_b32_e32 v5, 0x10000, v9
	s_delay_alu instid0(VALU_DEP_2) | instskip(NEXT) | instid1(VALU_DEP_1)
	v_cmp_eq_u32_e64 s0, 0, v4
	v_cndmask_b32_e64 v117, v5, v9, s0
; %bb.1469:                             ;   in Loop: Header=BB413_1192 Depth=1
	s_or_b32 exec_lo, exec_lo, s12
	v_lshlrev_b32_e32 v4, 16, v7
                                        ; implicit-def: $vgpr118
	s_delay_alu instid0(VALU_DEP_1) | instskip(NEXT) | instid1(VALU_DEP_1)
	v_mul_f32_e32 v7, v102, v4
	v_and_b32_e32 v4, 0x7f800000, v7
	s_delay_alu instid0(VALU_DEP_1) | instskip(NEXT) | instid1(VALU_DEP_1)
	v_cmp_ne_u32_e64 s0, 0x7f800000, v4
	s_and_saveexec_b32 s12, s0
	s_delay_alu instid0(SALU_CYCLE_1)
	s_xor_b32 s0, exec_lo, s12
; %bb.1470:                             ;   in Loop: Header=BB413_1192 Depth=1
	v_bfe_u32 v4, v7, 16, 1
	s_delay_alu instid0(VALU_DEP_1)
	v_add3_u32 v118, v7, v4, 0x7fff
                                        ; implicit-def: $vgpr7
; %bb.1471:                             ;   in Loop: Header=BB413_1192 Depth=1
	s_and_not1_saveexec_b32 s12, s0
; %bb.1472:                             ;   in Loop: Header=BB413_1192 Depth=1
	v_and_b32_e32 v4, 0xffff, v7
	v_or_b32_e32 v5, 0x10000, v7
	s_delay_alu instid0(VALU_DEP_2) | instskip(NEXT) | instid1(VALU_DEP_1)
	v_cmp_eq_u32_e64 s0, 0, v4
	v_cndmask_b32_e64 v118, v5, v7, s0
; %bb.1473:                             ;   in Loop: Header=BB413_1192 Depth=1
	s_or_b32 exec_lo, exec_lo, s12
	v_lshlrev_b32_e32 v4, 16, v6
                                        ; implicit-def: $vgpr119
	s_delay_alu instid0(VALU_DEP_1) | instskip(NEXT) | instid1(VALU_DEP_1)
	v_mul_f32_e32 v6, v103, v4
	v_and_b32_e32 v4, 0x7f800000, v6
	s_delay_alu instid0(VALU_DEP_1) | instskip(NEXT) | instid1(VALU_DEP_1)
	v_cmp_ne_u32_e64 s0, 0x7f800000, v4
	s_and_saveexec_b32 s12, s0
	s_delay_alu instid0(SALU_CYCLE_1)
	s_xor_b32 s0, exec_lo, s12
; %bb.1474:                             ;   in Loop: Header=BB413_1192 Depth=1
	v_bfe_u32 v4, v6, 16, 1
	s_delay_alu instid0(VALU_DEP_1)
	v_add3_u32 v119, v6, v4, 0x7fff
                                        ; implicit-def: $vgpr6
; %bb.1475:                             ;   in Loop: Header=BB413_1192 Depth=1
	s_and_not1_saveexec_b32 s12, s0
; %bb.1476:                             ;   in Loop: Header=BB413_1192 Depth=1
	v_and_b32_e32 v4, 0xffff, v6
	v_or_b32_e32 v5, 0x10000, v6
	s_delay_alu instid0(VALU_DEP_2) | instskip(NEXT) | instid1(VALU_DEP_1)
	v_cmp_eq_u32_e64 s0, 0, v4
	v_cndmask_b32_e64 v119, v5, v6, s0
; %bb.1477:                             ;   in Loop: Header=BB413_1192 Depth=1
	s_or_b32 exec_lo, exec_lo, s12
	v_lshlrev_b32_e32 v3, 16, v3
                                        ; implicit-def: $vgpr128
	s_delay_alu instid0(VALU_DEP_1) | instskip(NEXT) | instid1(VALU_DEP_1)
	v_mul_f32_e32 v3, v112, v3
	v_and_b32_e32 v4, 0x7f800000, v3
	s_delay_alu instid0(VALU_DEP_1) | instskip(NEXT) | instid1(VALU_DEP_1)
	v_cmp_ne_u32_e64 s0, 0x7f800000, v4
	s_and_saveexec_b32 s12, s0
	s_delay_alu instid0(SALU_CYCLE_1)
	s_xor_b32 s0, exec_lo, s12
; %bb.1478:                             ;   in Loop: Header=BB413_1192 Depth=1
	v_bfe_u32 v4, v3, 16, 1
	s_delay_alu instid0(VALU_DEP_1)
	v_add3_u32 v128, v3, v4, 0x7fff
                                        ; implicit-def: $vgpr3
; %bb.1479:                             ;   in Loop: Header=BB413_1192 Depth=1
	s_and_not1_saveexec_b32 s12, s0
; %bb.1480:                             ;   in Loop: Header=BB413_1192 Depth=1
	v_and_b32_e32 v4, 0xffff, v3
	v_or_b32_e32 v5, 0x10000, v3
	s_delay_alu instid0(VALU_DEP_2) | instskip(NEXT) | instid1(VALU_DEP_1)
	v_cmp_eq_u32_e64 s0, 0, v4
	v_cndmask_b32_e64 v128, v5, v3, s0
; %bb.1481:                             ;   in Loop: Header=BB413_1192 Depth=1
	s_or_b32 exec_lo, exec_lo, s12
	v_lshlrev_b32_e32 v2, 16, v2
                                        ; implicit-def: $vgpr129
	s_delay_alu instid0(VALU_DEP_1) | instskip(NEXT) | instid1(VALU_DEP_1)
	v_mul_f32_e32 v2, v113, v2
	v_and_b32_e32 v3, 0x7f800000, v2
	s_delay_alu instid0(VALU_DEP_1) | instskip(NEXT) | instid1(VALU_DEP_1)
	v_cmp_ne_u32_e64 s0, 0x7f800000, v3
	s_and_saveexec_b32 s12, s0
	s_delay_alu instid0(SALU_CYCLE_1)
	s_xor_b32 s0, exec_lo, s12
; %bb.1482:                             ;   in Loop: Header=BB413_1192 Depth=1
	v_bfe_u32 v3, v2, 16, 1
	s_delay_alu instid0(VALU_DEP_1)
	v_add3_u32 v129, v2, v3, 0x7fff
                                        ; implicit-def: $vgpr2
; %bb.1483:                             ;   in Loop: Header=BB413_1192 Depth=1
	s_and_not1_saveexec_b32 s12, s0
; %bb.1484:                             ;   in Loop: Header=BB413_1192 Depth=1
	v_and_b32_e32 v3, 0xffff, v2
	v_or_b32_e32 v4, 0x10000, v2
	s_delay_alu instid0(VALU_DEP_2) | instskip(NEXT) | instid1(VALU_DEP_1)
	v_cmp_eq_u32_e64 s0, 0, v3
	v_cndmask_b32_e64 v129, v4, v2, s0
; %bb.1485:                             ;   in Loop: Header=BB413_1192 Depth=1
	s_or_b32 exec_lo, exec_lo, s12
	flat_load_b64 v[2:3], v[0:1] offset:512
	s_mov_b32 s12, exec_lo
	s_waitcnt vmcnt(0) lgkmcnt(0)
	v_dual_mov_b32 v6, 0 :: v_dual_and_b32 v7, 0xff, v2
	s_delay_alu instid0(VALU_DEP_1)
	v_cmpx_ne_u16_e32 0, v7
	s_cbranch_execz .LBB413_1493
; %bb.1486:                             ;   in Loop: Header=BB413_1192 Depth=1
	v_bfrev_b32_e32 v6, 1
	s_mov_b32 s13, exec_lo
	v_cmpx_ne_u16_e32 0x80, v7
	s_cbranch_execz .LBB413_1492
; %bb.1487:                             ;   in Loop: Header=BB413_1192 Depth=1
	v_and_b32_e32 v7, 0x7f, v2
	v_mov_b32_e32 v6, 0x7f800001
	s_mov_b32 s15, exec_lo
	s_delay_alu instid0(VALU_DEP_2)
	v_cmpx_ne_u32_e32 0x7f, v7
	s_cbranch_execz .LBB413_1491
; %bb.1488:                             ;   in Loop: Header=BB413_1192 Depth=1
	v_lshrrev_b32_e32 v9, 3, v7
	v_cmp_gt_u32_e64 s0, 8, v7
	v_dual_mov_b32 v7, v3 :: v_dual_mov_b32 v6, v2
	s_delay_alu instid0(VALU_DEP_2)
	s_and_saveexec_b32 s17, s0
; %bb.1489:                             ;   in Loop: Header=BB413_1192 Depth=1
	v_and_b32_e32 v4, 7, v2
	s_delay_alu instid0(VALU_DEP_1) | instskip(NEXT) | instid1(VALU_DEP_1)
	v_clz_i32_u32_e32 v4, v4
	v_min_u32_e32 v4, 32, v4
	s_delay_alu instid0(VALU_DEP_1) | instskip(SKIP_1) | instid1(VALU_DEP_2)
	v_subrev_nc_u32_e32 v5, 28, v4
	v_sub_nc_u32_e32 v9, 29, v4
	v_lshlrev_b64 v[6:7], v5, v[2:3]
; %bb.1490:                             ;   in Loop: Header=BB413_1192 Depth=1
	s_or_b32 exec_lo, exec_lo, s17
	s_delay_alu instid0(VALU_DEP_1) | instskip(SKIP_2) | instid1(VALU_DEP_3)
	v_lshlrev_b32_e32 v4, 20, v6
	v_lshlrev_b32_e32 v5, 24, v2
	v_lshl_add_u32 v6, v9, 23, 0x3c000000
	v_and_b32_e32 v4, 0x700000, v4
	s_delay_alu instid0(VALU_DEP_3) | instskip(NEXT) | instid1(VALU_DEP_1)
	v_and_b32_e32 v5, 0x80000000, v5
	v_or3_b32 v6, v4, v5, v6
.LBB413_1491:                           ;   in Loop: Header=BB413_1192 Depth=1
	s_or_b32 exec_lo, exec_lo, s15
.LBB413_1492:                           ;   in Loop: Header=BB413_1192 Depth=1
	s_delay_alu instid0(SALU_CYCLE_1)
	s_or_b32 exec_lo, exec_lo, s13
.LBB413_1493:                           ;   in Loop: Header=BB413_1192 Depth=1
	s_delay_alu instid0(SALU_CYCLE_1) | instskip(NEXT) | instid1(VALU_DEP_1)
	s_or_b32 exec_lo, exec_lo, s12
	v_mul_f32_e32 v6, v8, v6
                                        ; implicit-def: $vgpr130
	s_delay_alu instid0(VALU_DEP_1) | instskip(NEXT) | instid1(VALU_DEP_1)
	v_and_b32_e32 v4, 0x7f800000, v6
	v_cmp_ne_u32_e64 s0, 0x7f800000, v4
	s_delay_alu instid0(VALU_DEP_1) | instskip(NEXT) | instid1(SALU_CYCLE_1)
	s_and_saveexec_b32 s12, s0
	s_xor_b32 s0, exec_lo, s12
; %bb.1494:                             ;   in Loop: Header=BB413_1192 Depth=1
	v_bfe_u32 v4, v6, 16, 1
	s_delay_alu instid0(VALU_DEP_1)
	v_add3_u32 v130, v6, v4, 0x7fff
                                        ; implicit-def: $vgpr6
; %bb.1495:                             ;   in Loop: Header=BB413_1192 Depth=1
	s_and_not1_saveexec_b32 s12, s0
; %bb.1496:                             ;   in Loop: Header=BB413_1192 Depth=1
	v_and_b32_e32 v4, 0xffff, v6
	v_or_b32_e32 v5, 0x10000, v6
	s_delay_alu instid0(VALU_DEP_2) | instskip(NEXT) | instid1(VALU_DEP_1)
	v_cmp_eq_u32_e64 s0, 0, v4
	v_cndmask_b32_e64 v130, v5, v6, s0
; %bb.1497:                             ;   in Loop: Header=BB413_1192 Depth=1
	s_or_b32 exec_lo, exec_lo, s12
	v_lshrrev_b16 v7, 8, v2
	v_mov_b32_e32 v6, 0
	s_mov_b32 s12, exec_lo
	s_delay_alu instid0(VALU_DEP_2)
	v_cmpx_ne_u16_e32 0, v7
	s_cbranch_execz .LBB413_1505
; %bb.1498:                             ;   in Loop: Header=BB413_1192 Depth=1
	v_bfrev_b32_e32 v6, 1
	s_mov_b32 s13, exec_lo
	v_cmpx_ne_u16_e32 0x80, v7
	s_cbranch_execz .LBB413_1504
; %bb.1499:                             ;   in Loop: Header=BB413_1192 Depth=1
	v_and_b32_e32 v9, 0xffff, v7
	v_mov_b32_e32 v6, 0x7f800001
	s_mov_b32 s15, exec_lo
	s_delay_alu instid0(VALU_DEP_2) | instskip(NEXT) | instid1(VALU_DEP_1)
	v_and_b32_e32 v7, 0x7f, v9
	v_cmpx_ne_u32_e32 0x7f, v7
	s_cbranch_execz .LBB413_1503
; %bb.1500:                             ;   in Loop: Header=BB413_1192 Depth=1
	v_and_b32_e32 v9, 7, v9
	v_lshrrev_b32_e32 v6, 3, v7
	s_mov_b32 s17, exec_lo
	v_cmpx_gt_u32_e32 8, v7
; %bb.1501:                             ;   in Loop: Header=BB413_1192 Depth=1
	s_delay_alu instid0(VALU_DEP_3) | instskip(NEXT) | instid1(VALU_DEP_1)
	v_clz_i32_u32_e32 v4, v9
	v_min_u32_e32 v4, 32, v4
	s_delay_alu instid0(VALU_DEP_1) | instskip(SKIP_1) | instid1(VALU_DEP_2)
	v_subrev_nc_u32_e32 v5, 28, v4
	v_sub_nc_u32_e32 v6, 29, v4
	v_lshlrev_b64 v[131:132], v5, v[9:10]
	s_delay_alu instid0(VALU_DEP_1)
	v_and_b32_e32 v9, 7, v131
; %bb.1502:                             ;   in Loop: Header=BB413_1192 Depth=1
	s_or_b32 exec_lo, exec_lo, s17
	v_lshlrev_b32_e32 v4, 16, v2
	s_delay_alu instid0(VALU_DEP_2) | instskip(SKIP_1) | instid1(VALU_DEP_3)
	v_lshlrev_b32_e32 v5, 20, v9
	v_lshl_add_u32 v6, v6, 23, 0x3c000000
	v_and_b32_e32 v4, 0x80000000, v4
	s_delay_alu instid0(VALU_DEP_1)
	v_or3_b32 v6, v5, v4, v6
.LBB413_1503:                           ;   in Loop: Header=BB413_1192 Depth=1
	s_or_b32 exec_lo, exec_lo, s15
.LBB413_1504:                           ;   in Loop: Header=BB413_1192 Depth=1
	s_delay_alu instid0(SALU_CYCLE_1)
	s_or_b32 exec_lo, exec_lo, s13
.LBB413_1505:                           ;   in Loop: Header=BB413_1192 Depth=1
	s_delay_alu instid0(SALU_CYCLE_1) | instskip(NEXT) | instid1(VALU_DEP_1)
	s_or_b32 exec_lo, exec_lo, s12
	v_mul_f32_e32 v6, v8, v6
                                        ; implicit-def: $vgpr131
	s_delay_alu instid0(VALU_DEP_1) | instskip(NEXT) | instid1(VALU_DEP_1)
	v_and_b32_e32 v4, 0x7f800000, v6
	v_cmp_ne_u32_e64 s0, 0x7f800000, v4
	s_delay_alu instid0(VALU_DEP_1) | instskip(NEXT) | instid1(SALU_CYCLE_1)
	s_and_saveexec_b32 s12, s0
	s_xor_b32 s0, exec_lo, s12
; %bb.1506:                             ;   in Loop: Header=BB413_1192 Depth=1
	v_bfe_u32 v4, v6, 16, 1
	s_delay_alu instid0(VALU_DEP_1)
	v_add3_u32 v131, v6, v4, 0x7fff
                                        ; implicit-def: $vgpr6
; %bb.1507:                             ;   in Loop: Header=BB413_1192 Depth=1
	s_and_not1_saveexec_b32 s12, s0
; %bb.1508:                             ;   in Loop: Header=BB413_1192 Depth=1
	v_and_b32_e32 v4, 0xffff, v6
	v_or_b32_e32 v5, 0x10000, v6
	s_delay_alu instid0(VALU_DEP_2) | instskip(NEXT) | instid1(VALU_DEP_1)
	v_cmp_eq_u32_e64 s0, 0, v4
	v_cndmask_b32_e64 v131, v5, v6, s0
; %bb.1509:                             ;   in Loop: Header=BB413_1192 Depth=1
	s_or_b32 exec_lo, exec_lo, s12
	v_lshrrev_b32_e32 v6, 16, v2
	v_mov_b32_e32 v7, 0
	s_mov_b32 s12, exec_lo
	s_delay_alu instid0(VALU_DEP_2) | instskip(NEXT) | instid1(VALU_DEP_1)
	v_and_b32_e32 v9, 0xff, v6
	v_cmpx_ne_u16_e32 0, v9
	s_cbranch_execz .LBB413_1517
; %bb.1510:                             ;   in Loop: Header=BB413_1192 Depth=1
	v_bfrev_b32_e32 v7, 1
	s_mov_b32 s13, exec_lo
	v_cmpx_ne_u16_e32 0x80, v9
	s_cbranch_execz .LBB413_1516
; %bb.1511:                             ;   in Loop: Header=BB413_1192 Depth=1
	v_bfe_u32 v132, v2, 16, 7
	v_mov_b32_e32 v7, 0x7f800001
	s_mov_b32 s15, exec_lo
	s_delay_alu instid0(VALU_DEP_2)
	v_cmpx_ne_u32_e32 0x7f, v132
	s_cbranch_execz .LBB413_1515
; %bb.1512:                             ;   in Loop: Header=BB413_1192 Depth=1
	v_and_b32_e32 v9, 7, v6
	v_lshrrev_b32_e32 v7, 3, v132
	s_mov_b32 s17, exec_lo
	v_cmpx_gt_u32_e32 8, v132
; %bb.1513:                             ;   in Loop: Header=BB413_1192 Depth=1
	s_delay_alu instid0(VALU_DEP_3) | instskip(NEXT) | instid1(VALU_DEP_1)
	v_clz_i32_u32_e32 v4, v9
	v_min_u32_e32 v4, 32, v4
	s_delay_alu instid0(VALU_DEP_1) | instskip(SKIP_1) | instid1(VALU_DEP_2)
	v_subrev_nc_u32_e32 v5, 28, v4
	v_sub_nc_u32_e32 v7, 29, v4
	v_lshlrev_b64 v[132:133], v5, v[9:10]
	s_delay_alu instid0(VALU_DEP_1)
	v_and_b32_e32 v9, 7, v132
; %bb.1514:                             ;   in Loop: Header=BB413_1192 Depth=1
	s_or_b32 exec_lo, exec_lo, s17
	v_lshlrev_b32_e32 v4, 24, v6
	s_delay_alu instid0(VALU_DEP_2) | instskip(SKIP_1) | instid1(VALU_DEP_3)
	v_lshlrev_b32_e32 v5, 20, v9
	v_lshl_add_u32 v6, v7, 23, 0x3c000000
	v_and_b32_e32 v4, 0x80000000, v4
	s_delay_alu instid0(VALU_DEP_1)
	v_or3_b32 v7, v5, v4, v6
.LBB413_1515:                           ;   in Loop: Header=BB413_1192 Depth=1
	s_or_b32 exec_lo, exec_lo, s15
.LBB413_1516:                           ;   in Loop: Header=BB413_1192 Depth=1
	s_delay_alu instid0(SALU_CYCLE_1)
	s_or_b32 exec_lo, exec_lo, s13
.LBB413_1517:                           ;   in Loop: Header=BB413_1192 Depth=1
	s_delay_alu instid0(SALU_CYCLE_1) | instskip(NEXT) | instid1(VALU_DEP_1)
	s_or_b32 exec_lo, exec_lo, s12
	v_mul_f32_e32 v6, v8, v7
                                        ; implicit-def: $vgpr132
	s_delay_alu instid0(VALU_DEP_1) | instskip(NEXT) | instid1(VALU_DEP_1)
	v_and_b32_e32 v4, 0x7f800000, v6
	v_cmp_ne_u32_e64 s0, 0x7f800000, v4
	s_delay_alu instid0(VALU_DEP_1) | instskip(NEXT) | instid1(SALU_CYCLE_1)
	s_and_saveexec_b32 s12, s0
	s_xor_b32 s0, exec_lo, s12
; %bb.1518:                             ;   in Loop: Header=BB413_1192 Depth=1
	v_bfe_u32 v4, v6, 16, 1
	s_delay_alu instid0(VALU_DEP_1)
	v_add3_u32 v132, v6, v4, 0x7fff
                                        ; implicit-def: $vgpr6
; %bb.1519:                             ;   in Loop: Header=BB413_1192 Depth=1
	s_and_not1_saveexec_b32 s12, s0
; %bb.1520:                             ;   in Loop: Header=BB413_1192 Depth=1
	v_and_b32_e32 v4, 0xffff, v6
	v_or_b32_e32 v5, 0x10000, v6
	s_delay_alu instid0(VALU_DEP_2) | instskip(NEXT) | instid1(VALU_DEP_1)
	v_cmp_eq_u32_e64 s0, 0, v4
	v_cndmask_b32_e64 v132, v5, v6, s0
; %bb.1521:                             ;   in Loop: Header=BB413_1192 Depth=1
	s_or_b32 exec_lo, exec_lo, s12
	v_mov_b32_e32 v7, 0
	s_mov_b32 s12, exec_lo
	v_cmpx_lt_u32_e32 0xffffff, v2
	s_cbranch_execz .LBB413_1529
; %bb.1522:                             ;   in Loop: Header=BB413_1192 Depth=1
	v_lshrrev_b32_e32 v6, 24, v2
	v_bfrev_b32_e32 v7, 1
	s_mov_b32 s13, exec_lo
	s_delay_alu instid0(VALU_DEP_2)
	v_cmpx_ne_u32_e32 0x80, v6
	s_cbranch_execz .LBB413_1528
; %bb.1523:                             ;   in Loop: Header=BB413_1192 Depth=1
	v_bfe_u32 v133, v2, 24, 7
	v_mov_b32_e32 v7, 0x7f800001
	s_mov_b32 s15, exec_lo
	s_delay_alu instid0(VALU_DEP_2)
	v_cmpx_ne_u32_e32 0x7f, v133
	s_cbranch_execz .LBB413_1527
; %bb.1524:                             ;   in Loop: Header=BB413_1192 Depth=1
	v_and_b32_e32 v9, 7, v6
	v_lshrrev_b32_e32 v7, 3, v133
	s_mov_b32 s17, exec_lo
	v_cmpx_gt_u32_e32 8, v133
; %bb.1525:                             ;   in Loop: Header=BB413_1192 Depth=1
	s_delay_alu instid0(VALU_DEP_3) | instskip(NEXT) | instid1(VALU_DEP_1)
	v_clz_i32_u32_e32 v4, v9
	v_min_u32_e32 v4, 32, v4
	s_delay_alu instid0(VALU_DEP_1) | instskip(SKIP_1) | instid1(VALU_DEP_2)
	v_subrev_nc_u32_e32 v5, 28, v4
	v_sub_nc_u32_e32 v7, 29, v4
	v_lshlrev_b64 v[133:134], v5, v[9:10]
	s_delay_alu instid0(VALU_DEP_1)
	v_and_b32_e32 v9, 7, v133
; %bb.1526:                             ;   in Loop: Header=BB413_1192 Depth=1
	s_or_b32 exec_lo, exec_lo, s17
	v_lshlrev_b32_e32 v4, 24, v6
	s_delay_alu instid0(VALU_DEP_2) | instskip(SKIP_1) | instid1(VALU_DEP_3)
	v_lshlrev_b32_e32 v5, 20, v9
	v_lshl_add_u32 v6, v7, 23, 0x3c000000
	v_and_b32_e32 v4, 0x80000000, v4
	s_delay_alu instid0(VALU_DEP_1)
	v_or3_b32 v7, v5, v4, v6
.LBB413_1527:                           ;   in Loop: Header=BB413_1192 Depth=1
	s_or_b32 exec_lo, exec_lo, s15
.LBB413_1528:                           ;   in Loop: Header=BB413_1192 Depth=1
	s_delay_alu instid0(SALU_CYCLE_1)
	s_or_b32 exec_lo, exec_lo, s13
.LBB413_1529:                           ;   in Loop: Header=BB413_1192 Depth=1
	s_delay_alu instid0(SALU_CYCLE_1) | instskip(NEXT) | instid1(VALU_DEP_1)
	s_or_b32 exec_lo, exec_lo, s12
	v_mul_f32_e32 v6, v8, v7
                                        ; implicit-def: $vgpr133
	s_delay_alu instid0(VALU_DEP_1) | instskip(NEXT) | instid1(VALU_DEP_1)
	v_and_b32_e32 v4, 0x7f800000, v6
	v_cmp_ne_u32_e64 s0, 0x7f800000, v4
	s_delay_alu instid0(VALU_DEP_1) | instskip(NEXT) | instid1(SALU_CYCLE_1)
	s_and_saveexec_b32 s12, s0
	s_xor_b32 s0, exec_lo, s12
; %bb.1530:                             ;   in Loop: Header=BB413_1192 Depth=1
	v_bfe_u32 v4, v6, 16, 1
	s_delay_alu instid0(VALU_DEP_1)
	v_add3_u32 v133, v6, v4, 0x7fff
                                        ; implicit-def: $vgpr6
; %bb.1531:                             ;   in Loop: Header=BB413_1192 Depth=1
	s_and_not1_saveexec_b32 s12, s0
; %bb.1532:                             ;   in Loop: Header=BB413_1192 Depth=1
	v_and_b32_e32 v4, 0xffff, v6
	v_or_b32_e32 v5, 0x10000, v6
	s_delay_alu instid0(VALU_DEP_2) | instskip(NEXT) | instid1(VALU_DEP_1)
	v_cmp_eq_u32_e64 s0, 0, v4
	v_cndmask_b32_e64 v133, v5, v6, s0
; %bb.1533:                             ;   in Loop: Header=BB413_1192 Depth=1
	s_or_b32 exec_lo, exec_lo, s12
	v_dual_mov_b32 v6, 0 :: v_dual_and_b32 v7, 0xff, v3
	v_mov_b32_e32 v9, v3
	s_mov_b32 s12, exec_lo
	s_delay_alu instid0(VALU_DEP_2)
	v_cmpx_ne_u16_e32 0, v7
	s_cbranch_execz .LBB413_1541
; %bb.1534:                             ;   in Loop: Header=BB413_1192 Depth=1
	v_bfrev_b32_e32 v6, 1
	s_mov_b32 s13, exec_lo
	v_cmpx_ne_u16_e32 0x80, v7
	s_cbranch_execz .LBB413_1540
; %bb.1535:                             ;   in Loop: Header=BB413_1192 Depth=1
	v_and_b32_e32 v7, 0x7f, v3
	v_mov_b32_e32 v6, 0x7f800001
	s_mov_b32 s15, exec_lo
	s_delay_alu instid0(VALU_DEP_2)
	v_cmpx_ne_u32_e32 0x7f, v7
	s_cbranch_execz .LBB413_1539
; %bb.1536:                             ;   in Loop: Header=BB413_1192 Depth=1
	v_lshrrev_b32_e32 v134, 3, v7
	v_cmp_gt_u32_e64 s0, 8, v7
	v_dual_mov_b32 v6, v9 :: v_dual_mov_b32 v7, v10
	s_delay_alu instid0(VALU_DEP_2)
	s_and_saveexec_b32 s17, s0
; %bb.1537:                             ;   in Loop: Header=BB413_1192 Depth=1
	v_and_b32_e32 v4, 7, v3
	s_delay_alu instid0(VALU_DEP_1) | instskip(NEXT) | instid1(VALU_DEP_1)
	v_clz_i32_u32_e32 v4, v4
	v_min_u32_e32 v4, 32, v4
	s_delay_alu instid0(VALU_DEP_1) | instskip(SKIP_1) | instid1(VALU_DEP_2)
	v_subrev_nc_u32_e32 v5, 28, v4
	v_sub_nc_u32_e32 v134, 29, v4
	v_lshlrev_b64 v[6:7], v5, v[9:10]
; %bb.1538:                             ;   in Loop: Header=BB413_1192 Depth=1
	s_or_b32 exec_lo, exec_lo, s17
	s_delay_alu instid0(VALU_DEP_1) | instskip(SKIP_2) | instid1(VALU_DEP_3)
	v_lshlrev_b32_e32 v4, 20, v6
	v_lshlrev_b32_e32 v5, 24, v9
	v_lshl_add_u32 v6, v134, 23, 0x3c000000
	v_and_b32_e32 v4, 0x700000, v4
	s_delay_alu instid0(VALU_DEP_3) | instskip(NEXT) | instid1(VALU_DEP_1)
	v_and_b32_e32 v5, 0x80000000, v5
	v_or3_b32 v6, v4, v5, v6
.LBB413_1539:                           ;   in Loop: Header=BB413_1192 Depth=1
	s_or_b32 exec_lo, exec_lo, s15
.LBB413_1540:                           ;   in Loop: Header=BB413_1192 Depth=1
	s_delay_alu instid0(SALU_CYCLE_1)
	s_or_b32 exec_lo, exec_lo, s13
.LBB413_1541:                           ;   in Loop: Header=BB413_1192 Depth=1
	s_delay_alu instid0(SALU_CYCLE_1) | instskip(NEXT) | instid1(VALU_DEP_1)
	s_or_b32 exec_lo, exec_lo, s12
	v_mul_f32_e32 v6, v8, v6
                                        ; implicit-def: $vgpr134
	s_delay_alu instid0(VALU_DEP_1) | instskip(NEXT) | instid1(VALU_DEP_1)
	v_and_b32_e32 v4, 0x7f800000, v6
	v_cmp_ne_u32_e64 s0, 0x7f800000, v4
	s_delay_alu instid0(VALU_DEP_1) | instskip(NEXT) | instid1(SALU_CYCLE_1)
	s_and_saveexec_b32 s12, s0
	s_xor_b32 s0, exec_lo, s12
; %bb.1542:                             ;   in Loop: Header=BB413_1192 Depth=1
	v_bfe_u32 v4, v6, 16, 1
	s_delay_alu instid0(VALU_DEP_1)
	v_add3_u32 v134, v6, v4, 0x7fff
                                        ; implicit-def: $vgpr6
; %bb.1543:                             ;   in Loop: Header=BB413_1192 Depth=1
	s_and_not1_saveexec_b32 s12, s0
; %bb.1544:                             ;   in Loop: Header=BB413_1192 Depth=1
	v_and_b32_e32 v4, 0xffff, v6
	v_or_b32_e32 v5, 0x10000, v6
	s_delay_alu instid0(VALU_DEP_2) | instskip(NEXT) | instid1(VALU_DEP_1)
	v_cmp_eq_u32_e64 s0, 0, v4
	v_cndmask_b32_e64 v134, v5, v6, s0
; %bb.1545:                             ;   in Loop: Header=BB413_1192 Depth=1
	s_or_b32 exec_lo, exec_lo, s12
	v_lshrrev_b16 v7, 8, v9
	v_mov_b32_e32 v6, 0
	s_mov_b32 s12, exec_lo
	s_delay_alu instid0(VALU_DEP_2)
	v_cmpx_ne_u16_e32 0, v7
	s_cbranch_execz .LBB413_1553
; %bb.1546:                             ;   in Loop: Header=BB413_1192 Depth=1
	v_bfrev_b32_e32 v6, 1
	s_mov_b32 s13, exec_lo
	v_cmpx_ne_u16_e32 0x80, v7
	s_cbranch_execz .LBB413_1552
; %bb.1547:                             ;   in Loop: Header=BB413_1192 Depth=1
	v_and_b32_e32 v7, 0xffff, v7
	v_mov_b32_e32 v6, 0x7f800001
	s_mov_b32 s15, exec_lo
	s_delay_alu instid0(VALU_DEP_2) | instskip(NEXT) | instid1(VALU_DEP_1)
	v_and_b32_e32 v144, 0x7f, v7
	v_cmpx_ne_u32_e32 0x7f, v144
	s_cbranch_execz .LBB413_1551
; %bb.1548:                             ;   in Loop: Header=BB413_1192 Depth=1
	v_dual_mov_b32 v7, v10 :: v_dual_and_b32 v6, 7, v7
	v_lshrrev_b32_e32 v135, 3, v144
	s_mov_b32 s17, exec_lo
	v_cmpx_gt_u32_e32 8, v144
; %bb.1549:                             ;   in Loop: Header=BB413_1192 Depth=1
	s_delay_alu instid0(VALU_DEP_3) | instskip(NEXT) | instid1(VALU_DEP_1)
	v_clz_i32_u32_e32 v4, v6
	v_min_u32_e32 v4, 32, v4
	s_delay_alu instid0(VALU_DEP_1) | instskip(SKIP_1) | instid1(VALU_DEP_2)
	v_subrev_nc_u32_e32 v5, 28, v4
	v_sub_nc_u32_e32 v135, 29, v4
	v_lshlrev_b64 v[6:7], v5, v[6:7]
	s_delay_alu instid0(VALU_DEP_1)
	v_and_b32_e32 v6, 7, v6
; %bb.1550:                             ;   in Loop: Header=BB413_1192 Depth=1
	s_or_b32 exec_lo, exec_lo, s17
	v_lshlrev_b32_e32 v4, 16, v9
	s_delay_alu instid0(VALU_DEP_2) | instskip(SKIP_1) | instid1(VALU_DEP_3)
	v_lshlrev_b32_e32 v5, 20, v6
	v_lshl_add_u32 v6, v135, 23, 0x3c000000
	v_and_b32_e32 v4, 0x80000000, v4
	s_delay_alu instid0(VALU_DEP_1)
	v_or3_b32 v6, v5, v4, v6
.LBB413_1551:                           ;   in Loop: Header=BB413_1192 Depth=1
	s_or_b32 exec_lo, exec_lo, s15
.LBB413_1552:                           ;   in Loop: Header=BB413_1192 Depth=1
	s_delay_alu instid0(SALU_CYCLE_1)
	s_or_b32 exec_lo, exec_lo, s13
.LBB413_1553:                           ;   in Loop: Header=BB413_1192 Depth=1
	s_delay_alu instid0(SALU_CYCLE_1) | instskip(NEXT) | instid1(VALU_DEP_1)
	s_or_b32 exec_lo, exec_lo, s12
	v_mul_f32_e32 v7, v8, v6
                                        ; implicit-def: $vgpr6
	s_delay_alu instid0(VALU_DEP_1) | instskip(NEXT) | instid1(VALU_DEP_1)
	v_and_b32_e32 v4, 0x7f800000, v7
	v_cmp_ne_u32_e64 s0, 0x7f800000, v4
	s_delay_alu instid0(VALU_DEP_1) | instskip(NEXT) | instid1(SALU_CYCLE_1)
	s_and_saveexec_b32 s12, s0
	s_xor_b32 s0, exec_lo, s12
; %bb.1554:                             ;   in Loop: Header=BB413_1192 Depth=1
	v_bfe_u32 v4, v7, 16, 1
	s_delay_alu instid0(VALU_DEP_1)
	v_add3_u32 v6, v7, v4, 0x7fff
                                        ; implicit-def: $vgpr7
; %bb.1555:                             ;   in Loop: Header=BB413_1192 Depth=1
	s_and_not1_saveexec_b32 s12, s0
; %bb.1556:                             ;   in Loop: Header=BB413_1192 Depth=1
	v_and_b32_e32 v4, 0xffff, v7
	v_or_b32_e32 v5, 0x10000, v7
	s_delay_alu instid0(VALU_DEP_2) | instskip(NEXT) | instid1(VALU_DEP_1)
	v_cmp_eq_u32_e64 s0, 0, v4
	v_cndmask_b32_e64 v6, v5, v7, s0
; %bb.1557:                             ;   in Loop: Header=BB413_1192 Depth=1
	s_or_b32 exec_lo, exec_lo, s12
	v_lshrrev_b32_e32 v7, 16, v3
	v_mov_b32_e32 v9, 0
	s_mov_b32 s12, exec_lo
	s_delay_alu instid0(VALU_DEP_2) | instskip(NEXT) | instid1(VALU_DEP_1)
	v_and_b32_e32 v135, 0xff, v7
	v_cmpx_ne_u16_e64 0, v135
	s_cbranch_execz .LBB413_1565
; %bb.1558:                             ;   in Loop: Header=BB413_1192 Depth=1
	v_bfrev_b32_e32 v9, 1
	s_mov_b32 s13, exec_lo
	v_cmpx_ne_u16_e64 0x80, v135
	s_cbranch_execz .LBB413_1564
; %bb.1559:                             ;   in Loop: Header=BB413_1192 Depth=1
	v_bfe_u32 v144, v3, 16, 7
	v_mov_b32_e32 v9, 0x7f800001
	s_mov_b32 s15, exec_lo
	s_delay_alu instid0(VALU_DEP_2)
	v_cmpx_ne_u32_e32 0x7f, v144
	s_cbranch_execz .LBB413_1563
; %bb.1560:                             ;   in Loop: Header=BB413_1192 Depth=1
	v_and_b32_e32 v9, 7, v7
	v_lshrrev_b32_e32 v135, 3, v144
	s_mov_b32 s17, exec_lo
	v_cmpx_gt_u32_e32 8, v144
; %bb.1561:                             ;   in Loop: Header=BB413_1192 Depth=1
	s_delay_alu instid0(VALU_DEP_3) | instskip(NEXT) | instid1(VALU_DEP_1)
	v_clz_i32_u32_e32 v4, v9
	v_min_u32_e32 v4, 32, v4
	s_delay_alu instid0(VALU_DEP_1) | instskip(SKIP_1) | instid1(VALU_DEP_2)
	v_subrev_nc_u32_e32 v5, 28, v4
	v_sub_nc_u32_e32 v135, 29, v4
	v_lshlrev_b64 v[144:145], v5, v[9:10]
	s_delay_alu instid0(VALU_DEP_1)
	v_and_b32_e32 v9, 7, v144
; %bb.1562:                             ;   in Loop: Header=BB413_1192 Depth=1
	s_or_b32 exec_lo, exec_lo, s17
	v_lshlrev_b32_e32 v4, 24, v7
	s_delay_alu instid0(VALU_DEP_2) | instskip(SKIP_1) | instid1(VALU_DEP_3)
	v_lshlrev_b32_e32 v5, 20, v9
	v_lshl_add_u32 v7, v135, 23, 0x3c000000
	v_and_b32_e32 v4, 0x80000000, v4
	s_delay_alu instid0(VALU_DEP_1)
	v_or3_b32 v9, v5, v4, v7
.LBB413_1563:                           ;   in Loop: Header=BB413_1192 Depth=1
	s_or_b32 exec_lo, exec_lo, s15
.LBB413_1564:                           ;   in Loop: Header=BB413_1192 Depth=1
	s_delay_alu instid0(SALU_CYCLE_1)
	s_or_b32 exec_lo, exec_lo, s13
.LBB413_1565:                           ;   in Loop: Header=BB413_1192 Depth=1
	s_delay_alu instid0(SALU_CYCLE_1) | instskip(NEXT) | instid1(VALU_DEP_1)
	s_or_b32 exec_lo, exec_lo, s12
	v_mul_f32_e32 v7, v8, v9
                                        ; implicit-def: $vgpr135
	s_delay_alu instid0(VALU_DEP_1) | instskip(NEXT) | instid1(VALU_DEP_1)
	v_and_b32_e32 v4, 0x7f800000, v7
	v_cmp_ne_u32_e64 s0, 0x7f800000, v4
	s_delay_alu instid0(VALU_DEP_1) | instskip(NEXT) | instid1(SALU_CYCLE_1)
	s_and_saveexec_b32 s12, s0
	s_xor_b32 s0, exec_lo, s12
; %bb.1566:                             ;   in Loop: Header=BB413_1192 Depth=1
	v_bfe_u32 v4, v7, 16, 1
	s_delay_alu instid0(VALU_DEP_1)
	v_add3_u32 v135, v7, v4, 0x7fff
                                        ; implicit-def: $vgpr7
; %bb.1567:                             ;   in Loop: Header=BB413_1192 Depth=1
	s_and_not1_saveexec_b32 s12, s0
; %bb.1568:                             ;   in Loop: Header=BB413_1192 Depth=1
	v_and_b32_e32 v4, 0xffff, v7
	v_or_b32_e32 v5, 0x10000, v7
	s_delay_alu instid0(VALU_DEP_2) | instskip(NEXT) | instid1(VALU_DEP_1)
	v_cmp_eq_u32_e64 s0, 0, v4
	v_cndmask_b32_e64 v135, v5, v7, s0
; %bb.1569:                             ;   in Loop: Header=BB413_1192 Depth=1
	s_or_b32 exec_lo, exec_lo, s12
	v_mov_b32_e32 v7, 0
	s_mov_b32 s12, exec_lo
	v_cmpx_lt_u64_e64 s[8:9], v[2:3]
	s_cbranch_execz .LBB413_1577
; %bb.1570:                             ;   in Loop: Header=BB413_1192 Depth=1
	v_lshrrev_b32_e32 v2, 24, v3
	v_bfrev_b32_e32 v7, 1
	s_mov_b32 s13, exec_lo
	s_delay_alu instid0(VALU_DEP_2)
	v_cmpx_ne_u32_e32 0x80, v2
	s_cbranch_execz .LBB413_1576
; %bb.1571:                             ;   in Loop: Header=BB413_1192 Depth=1
	v_bfe_u32 v144, v3, 24, 7
	v_mov_b32_e32 v7, 0x7f800001
	s_mov_b32 s15, exec_lo
	s_delay_alu instid0(VALU_DEP_2)
	v_cmpx_ne_u32_e32 0x7f, v144
	s_cbranch_execz .LBB413_1575
; %bb.1572:                             ;   in Loop: Header=BB413_1192 Depth=1
	v_and_b32_e32 v9, 7, v2
	v_lshrrev_b32_e32 v3, 3, v144
	s_mov_b32 s17, exec_lo
	v_cmpx_gt_u32_e32 8, v144
; %bb.1573:                             ;   in Loop: Header=BB413_1192 Depth=1
	s_delay_alu instid0(VALU_DEP_3) | instskip(NEXT) | instid1(VALU_DEP_1)
	v_clz_i32_u32_e32 v3, v9
	v_min_u32_e32 v3, 32, v3
	s_delay_alu instid0(VALU_DEP_1) | instskip(SKIP_1) | instid1(VALU_DEP_2)
	v_subrev_nc_u32_e32 v4, 28, v3
	v_sub_nc_u32_e32 v3, 29, v3
	v_lshlrev_b64 v[144:145], v4, v[9:10]
	s_delay_alu instid0(VALU_DEP_1)
	v_and_b32_e32 v9, 7, v144
; %bb.1574:                             ;   in Loop: Header=BB413_1192 Depth=1
	s_or_b32 exec_lo, exec_lo, s17
	v_lshlrev_b32_e32 v2, 24, v2
	s_delay_alu instid0(VALU_DEP_2) | instskip(SKIP_1) | instid1(VALU_DEP_3)
	v_lshlrev_b32_e32 v4, 20, v9
	v_lshl_add_u32 v3, v3, 23, 0x3c000000
	v_and_b32_e32 v2, 0x80000000, v2
	s_delay_alu instid0(VALU_DEP_1)
	v_or3_b32 v7, v4, v2, v3
.LBB413_1575:                           ;   in Loop: Header=BB413_1192 Depth=1
	s_or_b32 exec_lo, exec_lo, s15
.LBB413_1576:                           ;   in Loop: Header=BB413_1192 Depth=1
	s_delay_alu instid0(SALU_CYCLE_1)
	s_or_b32 exec_lo, exec_lo, s13
.LBB413_1577:                           ;   in Loop: Header=BB413_1192 Depth=1
	s_delay_alu instid0(SALU_CYCLE_1) | instskip(NEXT) | instid1(VALU_DEP_1)
	s_or_b32 exec_lo, exec_lo, s12
	v_mul_f32_e32 v3, v8, v7
	s_delay_alu instid0(VALU_DEP_1) | instskip(NEXT) | instid1(VALU_DEP_1)
	v_and_b32_e32 v2, 0x7f800000, v3
	v_cmp_ne_u32_e64 s0, 0x7f800000, v2
                                        ; implicit-def: $vgpr2
	s_delay_alu instid0(VALU_DEP_1) | instskip(NEXT) | instid1(SALU_CYCLE_1)
	s_and_saveexec_b32 s12, s0
	s_xor_b32 s0, exec_lo, s12
; %bb.1578:                             ;   in Loop: Header=BB413_1192 Depth=1
	v_bfe_u32 v2, v3, 16, 1
	s_delay_alu instid0(VALU_DEP_1)
	v_add3_u32 v2, v3, v2, 0x7fff
                                        ; implicit-def: $vgpr3
; %bb.1579:                             ;   in Loop: Header=BB413_1192 Depth=1
	s_and_not1_saveexec_b32 s12, s0
; %bb.1580:                             ;   in Loop: Header=BB413_1192 Depth=1
	v_and_b32_e32 v2, 0xffff, v3
	v_or_b32_e32 v4, 0x10000, v3
	s_delay_alu instid0(VALU_DEP_2) | instskip(NEXT) | instid1(VALU_DEP_1)
	v_cmp_eq_u32_e64 s0, 0, v2
	v_cndmask_b32_e64 v2, v4, v3, s0
; %bb.1581:                             ;   in Loop: Header=BB413_1192 Depth=1
	s_or_b32 exec_lo, exec_lo, s12
	v_lshrrev_b32_e32 v6, 16, v6
	v_lshrrev_b32_e32 v7, 16, v134
	;; [unrolled: 1-line block ×8, first 2 shown]
	s_and_saveexec_b32 s12, vcc_lo
	s_cbranch_execz .LBB413_1583
; %bb.1582:                             ;   in Loop: Header=BB413_1192 Depth=1
	v_cmp_lt_i32_e64 s0, v66, v85
	s_delay_alu instid0(VALU_DEP_1) | instskip(SKIP_1) | instid1(VALU_DEP_1)
	v_cndmask_b32_e64 v130, 0, v130, s0
	v_cmp_lt_i32_e64 s0, v81, v85
	v_cndmask_b32_e64 v131, 0, v131, s0
	v_cmp_lt_i32_e64 s0, v80, v85
	s_delay_alu instid0(VALU_DEP_1) | instskip(SKIP_1) | instid1(VALU_DEP_1)
	v_cndmask_b32_e64 v132, 0, v132, s0
	v_cmp_lt_i32_e64 s0, v71, v85
	v_cndmask_b32_e64 v9, 0, v9, s0
	;; [unrolled: 5-line block ×4, first 2 shown]
.LBB413_1583:                           ;   in Loop: Header=BB413_1192 Depth=1
	s_or_b32 exec_lo, exec_lo, s12
	v_lshlrev_b32_e32 v4, 16, v130
                                        ; implicit-def: $vgpr130
	s_delay_alu instid0(VALU_DEP_1) | instskip(NEXT) | instid1(VALU_DEP_1)
	v_mul_f32_e32 v133, v82, v4
	v_and_b32_e32 v4, 0x7f800000, v133
	s_delay_alu instid0(VALU_DEP_1) | instskip(NEXT) | instid1(VALU_DEP_1)
	v_cmp_ne_u32_e64 s0, 0x7f800000, v4
	s_and_saveexec_b32 s12, s0
	s_delay_alu instid0(SALU_CYCLE_1)
	s_xor_b32 s0, exec_lo, s12
; %bb.1584:                             ;   in Loop: Header=BB413_1192 Depth=1
	v_bfe_u32 v4, v133, 16, 1
	s_delay_alu instid0(VALU_DEP_1)
	v_add3_u32 v130, v133, v4, 0x7fff
                                        ; implicit-def: $vgpr133
; %bb.1585:                             ;   in Loop: Header=BB413_1192 Depth=1
	s_and_not1_saveexec_b32 s12, s0
; %bb.1586:                             ;   in Loop: Header=BB413_1192 Depth=1
	v_and_b32_e32 v4, 0xffff, v133
	v_or_b32_e32 v5, 0x10000, v133
	s_delay_alu instid0(VALU_DEP_2) | instskip(NEXT) | instid1(VALU_DEP_1)
	v_cmp_eq_u32_e64 s0, 0, v4
	v_cndmask_b32_e64 v130, v5, v133, s0
; %bb.1587:                             ;   in Loop: Header=BB413_1192 Depth=1
	s_or_b32 exec_lo, exec_lo, s12
	v_lshlrev_b32_e32 v4, 16, v131
                                        ; implicit-def: $vgpr131
	s_delay_alu instid0(VALU_DEP_1) | instskip(NEXT) | instid1(VALU_DEP_1)
	v_mul_f32_e32 v133, v83, v4
	v_and_b32_e32 v4, 0x7f800000, v133
	s_delay_alu instid0(VALU_DEP_1) | instskip(NEXT) | instid1(VALU_DEP_1)
	v_cmp_ne_u32_e64 s0, 0x7f800000, v4
	s_and_saveexec_b32 s12, s0
	s_delay_alu instid0(SALU_CYCLE_1)
	s_xor_b32 s0, exec_lo, s12
; %bb.1588:                             ;   in Loop: Header=BB413_1192 Depth=1
	v_bfe_u32 v4, v133, 16, 1
	s_delay_alu instid0(VALU_DEP_1)
	v_add3_u32 v131, v133, v4, 0x7fff
                                        ; implicit-def: $vgpr133
; %bb.1589:                             ;   in Loop: Header=BB413_1192 Depth=1
	s_and_not1_saveexec_b32 s12, s0
; %bb.1590:                             ;   in Loop: Header=BB413_1192 Depth=1
	v_and_b32_e32 v4, 0xffff, v133
	v_or_b32_e32 v5, 0x10000, v133
	s_delay_alu instid0(VALU_DEP_2) | instskip(NEXT) | instid1(VALU_DEP_1)
	v_cmp_eq_u32_e64 s0, 0, v4
	v_cndmask_b32_e64 v131, v5, v133, s0
; %bb.1591:                             ;   in Loop: Header=BB413_1192 Depth=1
	s_or_b32 exec_lo, exec_lo, s12
	v_lshlrev_b32_e32 v4, 16, v132
                                        ; implicit-def: $vgpr132
	s_delay_alu instid0(VALU_DEP_1) | instskip(NEXT) | instid1(VALU_DEP_1)
	v_mul_f32_e32 v133, v100, v4
	v_and_b32_e32 v4, 0x7f800000, v133
	s_delay_alu instid0(VALU_DEP_1) | instskip(NEXT) | instid1(VALU_DEP_1)
	v_cmp_ne_u32_e64 s0, 0x7f800000, v4
	s_and_saveexec_b32 s12, s0
	s_delay_alu instid0(SALU_CYCLE_1)
	s_xor_b32 s0, exec_lo, s12
; %bb.1592:                             ;   in Loop: Header=BB413_1192 Depth=1
	v_bfe_u32 v4, v133, 16, 1
	s_delay_alu instid0(VALU_DEP_1)
	v_add3_u32 v132, v133, v4, 0x7fff
                                        ; implicit-def: $vgpr133
; %bb.1593:                             ;   in Loop: Header=BB413_1192 Depth=1
	s_and_not1_saveexec_b32 s12, s0
; %bb.1594:                             ;   in Loop: Header=BB413_1192 Depth=1
	v_and_b32_e32 v4, 0xffff, v133
	v_or_b32_e32 v5, 0x10000, v133
	s_delay_alu instid0(VALU_DEP_2) | instskip(NEXT) | instid1(VALU_DEP_1)
	v_cmp_eq_u32_e64 s0, 0, v4
	v_cndmask_b32_e64 v132, v5, v133, s0
; %bb.1595:                             ;   in Loop: Header=BB413_1192 Depth=1
	s_or_b32 exec_lo, exec_lo, s12
	v_lshlrev_b32_e32 v4, 16, v9
                                        ; implicit-def: $vgpr133
	s_delay_alu instid0(VALU_DEP_1) | instskip(NEXT) | instid1(VALU_DEP_1)
	v_mul_f32_e32 v9, v101, v4
	v_and_b32_e32 v4, 0x7f800000, v9
	s_delay_alu instid0(VALU_DEP_1) | instskip(NEXT) | instid1(VALU_DEP_1)
	v_cmp_ne_u32_e64 s0, 0x7f800000, v4
	s_and_saveexec_b32 s12, s0
	s_delay_alu instid0(SALU_CYCLE_1)
	s_xor_b32 s0, exec_lo, s12
; %bb.1596:                             ;   in Loop: Header=BB413_1192 Depth=1
	v_bfe_u32 v4, v9, 16, 1
	s_delay_alu instid0(VALU_DEP_1)
	v_add3_u32 v133, v9, v4, 0x7fff
                                        ; implicit-def: $vgpr9
; %bb.1597:                             ;   in Loop: Header=BB413_1192 Depth=1
	s_and_not1_saveexec_b32 s12, s0
; %bb.1598:                             ;   in Loop: Header=BB413_1192 Depth=1
	v_and_b32_e32 v4, 0xffff, v9
	v_or_b32_e32 v5, 0x10000, v9
	s_delay_alu instid0(VALU_DEP_2) | instskip(NEXT) | instid1(VALU_DEP_1)
	v_cmp_eq_u32_e64 s0, 0, v4
	v_cndmask_b32_e64 v133, v5, v9, s0
; %bb.1599:                             ;   in Loop: Header=BB413_1192 Depth=1
	s_or_b32 exec_lo, exec_lo, s12
	v_lshlrev_b32_e32 v4, 16, v7
                                        ; implicit-def: $vgpr134
	s_delay_alu instid0(VALU_DEP_1) | instskip(NEXT) | instid1(VALU_DEP_1)
	v_mul_f32_e32 v7, v102, v4
	v_and_b32_e32 v4, 0x7f800000, v7
	s_delay_alu instid0(VALU_DEP_1) | instskip(NEXT) | instid1(VALU_DEP_1)
	v_cmp_ne_u32_e64 s0, 0x7f800000, v4
	s_and_saveexec_b32 s12, s0
	s_delay_alu instid0(SALU_CYCLE_1)
	s_xor_b32 s0, exec_lo, s12
; %bb.1600:                             ;   in Loop: Header=BB413_1192 Depth=1
	v_bfe_u32 v4, v7, 16, 1
	s_delay_alu instid0(VALU_DEP_1)
	v_add3_u32 v134, v7, v4, 0x7fff
                                        ; implicit-def: $vgpr7
; %bb.1601:                             ;   in Loop: Header=BB413_1192 Depth=1
	s_and_not1_saveexec_b32 s12, s0
; %bb.1602:                             ;   in Loop: Header=BB413_1192 Depth=1
	v_and_b32_e32 v4, 0xffff, v7
	v_or_b32_e32 v5, 0x10000, v7
	s_delay_alu instid0(VALU_DEP_2) | instskip(NEXT) | instid1(VALU_DEP_1)
	v_cmp_eq_u32_e64 s0, 0, v4
	v_cndmask_b32_e64 v134, v5, v7, s0
; %bb.1603:                             ;   in Loop: Header=BB413_1192 Depth=1
	s_or_b32 exec_lo, exec_lo, s12
	v_lshlrev_b32_e32 v4, 16, v6
                                        ; implicit-def: $vgpr135
	s_delay_alu instid0(VALU_DEP_1) | instskip(NEXT) | instid1(VALU_DEP_1)
	v_mul_f32_e32 v6, v103, v4
	v_and_b32_e32 v4, 0x7f800000, v6
	s_delay_alu instid0(VALU_DEP_1) | instskip(NEXT) | instid1(VALU_DEP_1)
	v_cmp_ne_u32_e64 s0, 0x7f800000, v4
	s_and_saveexec_b32 s12, s0
	s_delay_alu instid0(SALU_CYCLE_1)
	s_xor_b32 s0, exec_lo, s12
; %bb.1604:                             ;   in Loop: Header=BB413_1192 Depth=1
	v_bfe_u32 v4, v6, 16, 1
	s_delay_alu instid0(VALU_DEP_1)
	v_add3_u32 v135, v6, v4, 0x7fff
                                        ; implicit-def: $vgpr6
; %bb.1605:                             ;   in Loop: Header=BB413_1192 Depth=1
	s_and_not1_saveexec_b32 s12, s0
; %bb.1606:                             ;   in Loop: Header=BB413_1192 Depth=1
	v_and_b32_e32 v4, 0xffff, v6
	v_or_b32_e32 v5, 0x10000, v6
	s_delay_alu instid0(VALU_DEP_2) | instskip(NEXT) | instid1(VALU_DEP_1)
	v_cmp_eq_u32_e64 s0, 0, v4
	v_cndmask_b32_e64 v135, v5, v6, s0
; %bb.1607:                             ;   in Loop: Header=BB413_1192 Depth=1
	s_or_b32 exec_lo, exec_lo, s12
	v_lshlrev_b32_e32 v3, 16, v3
                                        ; implicit-def: $vgpr144
	s_delay_alu instid0(VALU_DEP_1) | instskip(NEXT) | instid1(VALU_DEP_1)
	v_mul_f32_e32 v3, v112, v3
	v_and_b32_e32 v4, 0x7f800000, v3
	s_delay_alu instid0(VALU_DEP_1) | instskip(NEXT) | instid1(VALU_DEP_1)
	v_cmp_ne_u32_e64 s0, 0x7f800000, v4
	s_and_saveexec_b32 s12, s0
	s_delay_alu instid0(SALU_CYCLE_1)
	s_xor_b32 s0, exec_lo, s12
; %bb.1608:                             ;   in Loop: Header=BB413_1192 Depth=1
	v_bfe_u32 v4, v3, 16, 1
	s_delay_alu instid0(VALU_DEP_1)
	v_add3_u32 v144, v3, v4, 0x7fff
                                        ; implicit-def: $vgpr3
; %bb.1609:                             ;   in Loop: Header=BB413_1192 Depth=1
	s_and_not1_saveexec_b32 s12, s0
; %bb.1610:                             ;   in Loop: Header=BB413_1192 Depth=1
	v_and_b32_e32 v4, 0xffff, v3
	v_or_b32_e32 v5, 0x10000, v3
	s_delay_alu instid0(VALU_DEP_2) | instskip(NEXT) | instid1(VALU_DEP_1)
	v_cmp_eq_u32_e64 s0, 0, v4
	v_cndmask_b32_e64 v144, v5, v3, s0
; %bb.1611:                             ;   in Loop: Header=BB413_1192 Depth=1
	s_or_b32 exec_lo, exec_lo, s12
	v_lshlrev_b32_e32 v2, 16, v2
                                        ; implicit-def: $vgpr145
	s_delay_alu instid0(VALU_DEP_1) | instskip(NEXT) | instid1(VALU_DEP_1)
	v_mul_f32_e32 v2, v113, v2
	v_and_b32_e32 v3, 0x7f800000, v2
	s_delay_alu instid0(VALU_DEP_1) | instskip(NEXT) | instid1(VALU_DEP_1)
	v_cmp_ne_u32_e64 s0, 0x7f800000, v3
	s_and_saveexec_b32 s12, s0
	s_delay_alu instid0(SALU_CYCLE_1)
	s_xor_b32 s0, exec_lo, s12
; %bb.1612:                             ;   in Loop: Header=BB413_1192 Depth=1
	v_bfe_u32 v3, v2, 16, 1
	s_delay_alu instid0(VALU_DEP_1)
	v_add3_u32 v145, v2, v3, 0x7fff
                                        ; implicit-def: $vgpr2
; %bb.1613:                             ;   in Loop: Header=BB413_1192 Depth=1
	s_and_not1_saveexec_b32 s12, s0
; %bb.1614:                             ;   in Loop: Header=BB413_1192 Depth=1
	v_and_b32_e32 v3, 0xffff, v2
	v_or_b32_e32 v4, 0x10000, v2
	s_delay_alu instid0(VALU_DEP_2) | instskip(NEXT) | instid1(VALU_DEP_1)
	v_cmp_eq_u32_e64 s0, 0, v3
	v_cndmask_b32_e64 v145, v4, v2, s0
; %bb.1615:                             ;   in Loop: Header=BB413_1192 Depth=1
	s_or_b32 exec_lo, exec_lo, s12
	flat_load_b64 v[2:3], v[0:1] offset:768
	s_mov_b32 s12, exec_lo
	s_waitcnt vmcnt(0) lgkmcnt(0)
	v_dual_mov_b32 v6, 0 :: v_dual_and_b32 v7, 0xff, v2
	s_delay_alu instid0(VALU_DEP_1)
	v_cmpx_ne_u16_e32 0, v7
	s_cbranch_execz .LBB413_1623
; %bb.1616:                             ;   in Loop: Header=BB413_1192 Depth=1
	v_bfrev_b32_e32 v6, 1
	s_mov_b32 s13, exec_lo
	v_cmpx_ne_u16_e32 0x80, v7
	s_cbranch_execz .LBB413_1622
; %bb.1617:                             ;   in Loop: Header=BB413_1192 Depth=1
	v_and_b32_e32 v7, 0x7f, v2
	v_mov_b32_e32 v6, 0x7f800001
	s_mov_b32 s15, exec_lo
	s_delay_alu instid0(VALU_DEP_2)
	v_cmpx_ne_u32_e32 0x7f, v7
	s_cbranch_execz .LBB413_1621
; %bb.1618:                             ;   in Loop: Header=BB413_1192 Depth=1
	v_lshrrev_b32_e32 v9, 3, v7
	v_cmp_gt_u32_e64 s0, 8, v7
	v_dual_mov_b32 v7, v3 :: v_dual_mov_b32 v6, v2
	s_delay_alu instid0(VALU_DEP_2)
	s_and_saveexec_b32 s17, s0
; %bb.1619:                             ;   in Loop: Header=BB413_1192 Depth=1
	v_and_b32_e32 v4, 7, v2
	s_delay_alu instid0(VALU_DEP_1) | instskip(NEXT) | instid1(VALU_DEP_1)
	v_clz_i32_u32_e32 v4, v4
	v_min_u32_e32 v4, 32, v4
	s_delay_alu instid0(VALU_DEP_1) | instskip(SKIP_1) | instid1(VALU_DEP_2)
	v_subrev_nc_u32_e32 v5, 28, v4
	v_sub_nc_u32_e32 v9, 29, v4
	v_lshlrev_b64 v[6:7], v5, v[2:3]
; %bb.1620:                             ;   in Loop: Header=BB413_1192 Depth=1
	s_or_b32 exec_lo, exec_lo, s17
	s_delay_alu instid0(VALU_DEP_1) | instskip(SKIP_2) | instid1(VALU_DEP_3)
	v_lshlrev_b32_e32 v4, 20, v6
	v_lshlrev_b32_e32 v5, 24, v2
	v_lshl_add_u32 v6, v9, 23, 0x3c000000
	v_and_b32_e32 v4, 0x700000, v4
	s_delay_alu instid0(VALU_DEP_3) | instskip(NEXT) | instid1(VALU_DEP_1)
	v_and_b32_e32 v5, 0x80000000, v5
	v_or3_b32 v6, v4, v5, v6
.LBB413_1621:                           ;   in Loop: Header=BB413_1192 Depth=1
	s_or_b32 exec_lo, exec_lo, s15
.LBB413_1622:                           ;   in Loop: Header=BB413_1192 Depth=1
	s_delay_alu instid0(SALU_CYCLE_1)
	s_or_b32 exec_lo, exec_lo, s13
.LBB413_1623:                           ;   in Loop: Header=BB413_1192 Depth=1
	s_delay_alu instid0(SALU_CYCLE_1) | instskip(NEXT) | instid1(VALU_DEP_1)
	s_or_b32 exec_lo, exec_lo, s12
	v_mul_f32_e32 v6, v8, v6
                                        ; implicit-def: $vgpr146
	s_delay_alu instid0(VALU_DEP_1) | instskip(NEXT) | instid1(VALU_DEP_1)
	v_and_b32_e32 v4, 0x7f800000, v6
	v_cmp_ne_u32_e64 s0, 0x7f800000, v4
	s_delay_alu instid0(VALU_DEP_1) | instskip(NEXT) | instid1(SALU_CYCLE_1)
	s_and_saveexec_b32 s12, s0
	s_xor_b32 s0, exec_lo, s12
; %bb.1624:                             ;   in Loop: Header=BB413_1192 Depth=1
	v_bfe_u32 v4, v6, 16, 1
	s_delay_alu instid0(VALU_DEP_1)
	v_add3_u32 v146, v6, v4, 0x7fff
                                        ; implicit-def: $vgpr6
; %bb.1625:                             ;   in Loop: Header=BB413_1192 Depth=1
	s_and_not1_saveexec_b32 s12, s0
; %bb.1626:                             ;   in Loop: Header=BB413_1192 Depth=1
	v_and_b32_e32 v4, 0xffff, v6
	v_or_b32_e32 v5, 0x10000, v6
	s_delay_alu instid0(VALU_DEP_2) | instskip(NEXT) | instid1(VALU_DEP_1)
	v_cmp_eq_u32_e64 s0, 0, v4
	v_cndmask_b32_e64 v146, v5, v6, s0
; %bb.1627:                             ;   in Loop: Header=BB413_1192 Depth=1
	s_or_b32 exec_lo, exec_lo, s12
	v_lshrrev_b16 v7, 8, v2
	v_mov_b32_e32 v6, 0
	s_mov_b32 s12, exec_lo
	s_delay_alu instid0(VALU_DEP_2)
	v_cmpx_ne_u16_e32 0, v7
	s_cbranch_execz .LBB413_1635
; %bb.1628:                             ;   in Loop: Header=BB413_1192 Depth=1
	v_bfrev_b32_e32 v6, 1
	s_mov_b32 s13, exec_lo
	v_cmpx_ne_u16_e32 0x80, v7
	s_cbranch_execz .LBB413_1634
; %bb.1629:                             ;   in Loop: Header=BB413_1192 Depth=1
	v_and_b32_e32 v9, 0xffff, v7
	v_mov_b32_e32 v6, 0x7f800001
	s_mov_b32 s15, exec_lo
	s_delay_alu instid0(VALU_DEP_2) | instskip(NEXT) | instid1(VALU_DEP_1)
	v_and_b32_e32 v7, 0x7f, v9
	v_cmpx_ne_u32_e32 0x7f, v7
	s_cbranch_execz .LBB413_1633
; %bb.1630:                             ;   in Loop: Header=BB413_1192 Depth=1
	v_and_b32_e32 v9, 7, v9
	v_lshrrev_b32_e32 v6, 3, v7
	s_mov_b32 s17, exec_lo
	v_cmpx_gt_u32_e32 8, v7
; %bb.1631:                             ;   in Loop: Header=BB413_1192 Depth=1
	s_delay_alu instid0(VALU_DEP_3) | instskip(NEXT) | instid1(VALU_DEP_1)
	v_clz_i32_u32_e32 v4, v9
	v_min_u32_e32 v4, 32, v4
	s_delay_alu instid0(VALU_DEP_1) | instskip(SKIP_1) | instid1(VALU_DEP_2)
	v_subrev_nc_u32_e32 v5, 28, v4
	v_sub_nc_u32_e32 v6, 29, v4
	v_lshlrev_b64 v[147:148], v5, v[9:10]
	s_delay_alu instid0(VALU_DEP_1)
	v_and_b32_e32 v9, 7, v147
; %bb.1632:                             ;   in Loop: Header=BB413_1192 Depth=1
	s_or_b32 exec_lo, exec_lo, s17
	v_lshlrev_b32_e32 v4, 16, v2
	s_delay_alu instid0(VALU_DEP_2) | instskip(SKIP_1) | instid1(VALU_DEP_3)
	v_lshlrev_b32_e32 v5, 20, v9
	v_lshl_add_u32 v6, v6, 23, 0x3c000000
	v_and_b32_e32 v4, 0x80000000, v4
	s_delay_alu instid0(VALU_DEP_1)
	v_or3_b32 v6, v5, v4, v6
.LBB413_1633:                           ;   in Loop: Header=BB413_1192 Depth=1
	s_or_b32 exec_lo, exec_lo, s15
.LBB413_1634:                           ;   in Loop: Header=BB413_1192 Depth=1
	s_delay_alu instid0(SALU_CYCLE_1)
	s_or_b32 exec_lo, exec_lo, s13
.LBB413_1635:                           ;   in Loop: Header=BB413_1192 Depth=1
	s_delay_alu instid0(SALU_CYCLE_1) | instskip(NEXT) | instid1(VALU_DEP_1)
	s_or_b32 exec_lo, exec_lo, s12
	v_mul_f32_e32 v6, v8, v6
                                        ; implicit-def: $vgpr147
	s_delay_alu instid0(VALU_DEP_1) | instskip(NEXT) | instid1(VALU_DEP_1)
	v_and_b32_e32 v4, 0x7f800000, v6
	v_cmp_ne_u32_e64 s0, 0x7f800000, v4
	s_delay_alu instid0(VALU_DEP_1) | instskip(NEXT) | instid1(SALU_CYCLE_1)
	s_and_saveexec_b32 s12, s0
	s_xor_b32 s0, exec_lo, s12
; %bb.1636:                             ;   in Loop: Header=BB413_1192 Depth=1
	v_bfe_u32 v4, v6, 16, 1
	s_delay_alu instid0(VALU_DEP_1)
	v_add3_u32 v147, v6, v4, 0x7fff
                                        ; implicit-def: $vgpr6
; %bb.1637:                             ;   in Loop: Header=BB413_1192 Depth=1
	s_and_not1_saveexec_b32 s12, s0
; %bb.1638:                             ;   in Loop: Header=BB413_1192 Depth=1
	v_and_b32_e32 v4, 0xffff, v6
	v_or_b32_e32 v5, 0x10000, v6
	s_delay_alu instid0(VALU_DEP_2) | instskip(NEXT) | instid1(VALU_DEP_1)
	v_cmp_eq_u32_e64 s0, 0, v4
	v_cndmask_b32_e64 v147, v5, v6, s0
; %bb.1639:                             ;   in Loop: Header=BB413_1192 Depth=1
	s_or_b32 exec_lo, exec_lo, s12
	v_lshrrev_b32_e32 v6, 16, v2
	v_mov_b32_e32 v7, 0
	s_mov_b32 s12, exec_lo
	s_delay_alu instid0(VALU_DEP_2) | instskip(NEXT) | instid1(VALU_DEP_1)
	v_and_b32_e32 v9, 0xff, v6
	v_cmpx_ne_u16_e32 0, v9
	s_cbranch_execz .LBB413_1647
; %bb.1640:                             ;   in Loop: Header=BB413_1192 Depth=1
	v_bfrev_b32_e32 v7, 1
	s_mov_b32 s13, exec_lo
	v_cmpx_ne_u16_e32 0x80, v9
	s_cbranch_execz .LBB413_1646
; %bb.1641:                             ;   in Loop: Header=BB413_1192 Depth=1
	v_bfe_u32 v148, v2, 16, 7
	v_mov_b32_e32 v7, 0x7f800001
	s_mov_b32 s15, exec_lo
	s_delay_alu instid0(VALU_DEP_2)
	v_cmpx_ne_u32_e32 0x7f, v148
	s_cbranch_execz .LBB413_1645
; %bb.1642:                             ;   in Loop: Header=BB413_1192 Depth=1
	v_and_b32_e32 v9, 7, v6
	v_lshrrev_b32_e32 v7, 3, v148
	s_mov_b32 s17, exec_lo
	v_cmpx_gt_u32_e32 8, v148
; %bb.1643:                             ;   in Loop: Header=BB413_1192 Depth=1
	s_delay_alu instid0(VALU_DEP_3) | instskip(NEXT) | instid1(VALU_DEP_1)
	v_clz_i32_u32_e32 v4, v9
	v_min_u32_e32 v4, 32, v4
	s_delay_alu instid0(VALU_DEP_1) | instskip(SKIP_1) | instid1(VALU_DEP_2)
	v_subrev_nc_u32_e32 v5, 28, v4
	v_sub_nc_u32_e32 v7, 29, v4
	v_lshlrev_b64 v[148:149], v5, v[9:10]
	s_delay_alu instid0(VALU_DEP_1)
	v_and_b32_e32 v9, 7, v148
; %bb.1644:                             ;   in Loop: Header=BB413_1192 Depth=1
	s_or_b32 exec_lo, exec_lo, s17
	v_lshlrev_b32_e32 v4, 24, v6
	s_delay_alu instid0(VALU_DEP_2) | instskip(SKIP_1) | instid1(VALU_DEP_3)
	v_lshlrev_b32_e32 v5, 20, v9
	v_lshl_add_u32 v6, v7, 23, 0x3c000000
	v_and_b32_e32 v4, 0x80000000, v4
	s_delay_alu instid0(VALU_DEP_1)
	v_or3_b32 v7, v5, v4, v6
.LBB413_1645:                           ;   in Loop: Header=BB413_1192 Depth=1
	s_or_b32 exec_lo, exec_lo, s15
.LBB413_1646:                           ;   in Loop: Header=BB413_1192 Depth=1
	s_delay_alu instid0(SALU_CYCLE_1)
	s_or_b32 exec_lo, exec_lo, s13
.LBB413_1647:                           ;   in Loop: Header=BB413_1192 Depth=1
	s_delay_alu instid0(SALU_CYCLE_1) | instskip(NEXT) | instid1(VALU_DEP_1)
	s_or_b32 exec_lo, exec_lo, s12
	v_mul_f32_e32 v6, v8, v7
                                        ; implicit-def: $vgpr148
	s_delay_alu instid0(VALU_DEP_1) | instskip(NEXT) | instid1(VALU_DEP_1)
	v_and_b32_e32 v4, 0x7f800000, v6
	v_cmp_ne_u32_e64 s0, 0x7f800000, v4
	s_delay_alu instid0(VALU_DEP_1) | instskip(NEXT) | instid1(SALU_CYCLE_1)
	s_and_saveexec_b32 s12, s0
	s_xor_b32 s0, exec_lo, s12
; %bb.1648:                             ;   in Loop: Header=BB413_1192 Depth=1
	v_bfe_u32 v4, v6, 16, 1
	s_delay_alu instid0(VALU_DEP_1)
	v_add3_u32 v148, v6, v4, 0x7fff
                                        ; implicit-def: $vgpr6
; %bb.1649:                             ;   in Loop: Header=BB413_1192 Depth=1
	s_and_not1_saveexec_b32 s12, s0
; %bb.1650:                             ;   in Loop: Header=BB413_1192 Depth=1
	v_and_b32_e32 v4, 0xffff, v6
	v_or_b32_e32 v5, 0x10000, v6
	s_delay_alu instid0(VALU_DEP_2) | instskip(NEXT) | instid1(VALU_DEP_1)
	v_cmp_eq_u32_e64 s0, 0, v4
	v_cndmask_b32_e64 v148, v5, v6, s0
; %bb.1651:                             ;   in Loop: Header=BB413_1192 Depth=1
	s_or_b32 exec_lo, exec_lo, s12
	v_mov_b32_e32 v7, 0
	s_mov_b32 s12, exec_lo
	v_cmpx_lt_u32_e32 0xffffff, v2
	s_cbranch_execz .LBB413_1659
; %bb.1652:                             ;   in Loop: Header=BB413_1192 Depth=1
	v_lshrrev_b32_e32 v6, 24, v2
	v_bfrev_b32_e32 v7, 1
	s_mov_b32 s13, exec_lo
	s_delay_alu instid0(VALU_DEP_2)
	v_cmpx_ne_u32_e32 0x80, v6
	s_cbranch_execz .LBB413_1658
; %bb.1653:                             ;   in Loop: Header=BB413_1192 Depth=1
	v_bfe_u32 v149, v2, 24, 7
	v_mov_b32_e32 v7, 0x7f800001
	s_mov_b32 s15, exec_lo
	s_delay_alu instid0(VALU_DEP_2)
	v_cmpx_ne_u32_e32 0x7f, v149
	s_cbranch_execz .LBB413_1657
; %bb.1654:                             ;   in Loop: Header=BB413_1192 Depth=1
	v_and_b32_e32 v9, 7, v6
	v_lshrrev_b32_e32 v7, 3, v149
	s_mov_b32 s17, exec_lo
	v_cmpx_gt_u32_e32 8, v149
; %bb.1655:                             ;   in Loop: Header=BB413_1192 Depth=1
	s_delay_alu instid0(VALU_DEP_3) | instskip(NEXT) | instid1(VALU_DEP_1)
	v_clz_i32_u32_e32 v4, v9
	v_min_u32_e32 v4, 32, v4
	s_delay_alu instid0(VALU_DEP_1) | instskip(SKIP_1) | instid1(VALU_DEP_2)
	v_subrev_nc_u32_e32 v5, 28, v4
	v_sub_nc_u32_e32 v7, 29, v4
	v_lshlrev_b64 v[149:150], v5, v[9:10]
	s_delay_alu instid0(VALU_DEP_1)
	v_and_b32_e32 v9, 7, v149
; %bb.1656:                             ;   in Loop: Header=BB413_1192 Depth=1
	s_or_b32 exec_lo, exec_lo, s17
	v_lshlrev_b32_e32 v4, 24, v6
	s_delay_alu instid0(VALU_DEP_2) | instskip(SKIP_1) | instid1(VALU_DEP_3)
	v_lshlrev_b32_e32 v5, 20, v9
	v_lshl_add_u32 v6, v7, 23, 0x3c000000
	v_and_b32_e32 v4, 0x80000000, v4
	s_delay_alu instid0(VALU_DEP_1)
	v_or3_b32 v7, v5, v4, v6
.LBB413_1657:                           ;   in Loop: Header=BB413_1192 Depth=1
	s_or_b32 exec_lo, exec_lo, s15
.LBB413_1658:                           ;   in Loop: Header=BB413_1192 Depth=1
	s_delay_alu instid0(SALU_CYCLE_1)
	s_or_b32 exec_lo, exec_lo, s13
.LBB413_1659:                           ;   in Loop: Header=BB413_1192 Depth=1
	s_delay_alu instid0(SALU_CYCLE_1) | instskip(NEXT) | instid1(VALU_DEP_1)
	s_or_b32 exec_lo, exec_lo, s12
	v_mul_f32_e32 v6, v8, v7
                                        ; implicit-def: $vgpr149
	s_delay_alu instid0(VALU_DEP_1) | instskip(NEXT) | instid1(VALU_DEP_1)
	v_and_b32_e32 v4, 0x7f800000, v6
	v_cmp_ne_u32_e64 s0, 0x7f800000, v4
	s_delay_alu instid0(VALU_DEP_1) | instskip(NEXT) | instid1(SALU_CYCLE_1)
	s_and_saveexec_b32 s12, s0
	s_xor_b32 s0, exec_lo, s12
; %bb.1660:                             ;   in Loop: Header=BB413_1192 Depth=1
	v_bfe_u32 v4, v6, 16, 1
	s_delay_alu instid0(VALU_DEP_1)
	v_add3_u32 v149, v6, v4, 0x7fff
                                        ; implicit-def: $vgpr6
; %bb.1661:                             ;   in Loop: Header=BB413_1192 Depth=1
	s_and_not1_saveexec_b32 s12, s0
; %bb.1662:                             ;   in Loop: Header=BB413_1192 Depth=1
	v_and_b32_e32 v4, 0xffff, v6
	v_or_b32_e32 v5, 0x10000, v6
	s_delay_alu instid0(VALU_DEP_2) | instskip(NEXT) | instid1(VALU_DEP_1)
	v_cmp_eq_u32_e64 s0, 0, v4
	v_cndmask_b32_e64 v149, v5, v6, s0
; %bb.1663:                             ;   in Loop: Header=BB413_1192 Depth=1
	s_or_b32 exec_lo, exec_lo, s12
	v_dual_mov_b32 v6, 0 :: v_dual_and_b32 v7, 0xff, v3
	v_mov_b32_e32 v9, v3
	s_mov_b32 s12, exec_lo
	s_delay_alu instid0(VALU_DEP_2)
	v_cmpx_ne_u16_e32 0, v7
	s_cbranch_execz .LBB413_1671
; %bb.1664:                             ;   in Loop: Header=BB413_1192 Depth=1
	v_bfrev_b32_e32 v6, 1
	s_mov_b32 s13, exec_lo
	v_cmpx_ne_u16_e32 0x80, v7
	s_cbranch_execz .LBB413_1670
; %bb.1665:                             ;   in Loop: Header=BB413_1192 Depth=1
	v_and_b32_e32 v7, 0x7f, v3
	v_mov_b32_e32 v6, 0x7f800001
	s_mov_b32 s15, exec_lo
	s_delay_alu instid0(VALU_DEP_2)
	v_cmpx_ne_u32_e32 0x7f, v7
	s_cbranch_execz .LBB413_1669
; %bb.1666:                             ;   in Loop: Header=BB413_1192 Depth=1
	v_lshrrev_b32_e32 v150, 3, v7
	v_cmp_gt_u32_e64 s0, 8, v7
	v_dual_mov_b32 v6, v9 :: v_dual_mov_b32 v7, v10
	s_delay_alu instid0(VALU_DEP_2)
	s_and_saveexec_b32 s17, s0
; %bb.1667:                             ;   in Loop: Header=BB413_1192 Depth=1
	v_and_b32_e32 v4, 7, v3
	s_delay_alu instid0(VALU_DEP_1) | instskip(NEXT) | instid1(VALU_DEP_1)
	v_clz_i32_u32_e32 v4, v4
	v_min_u32_e32 v4, 32, v4
	s_delay_alu instid0(VALU_DEP_1) | instskip(SKIP_1) | instid1(VALU_DEP_2)
	v_subrev_nc_u32_e32 v5, 28, v4
	v_sub_nc_u32_e32 v150, 29, v4
	v_lshlrev_b64 v[6:7], v5, v[9:10]
; %bb.1668:                             ;   in Loop: Header=BB413_1192 Depth=1
	s_or_b32 exec_lo, exec_lo, s17
	s_delay_alu instid0(VALU_DEP_1) | instskip(SKIP_2) | instid1(VALU_DEP_3)
	v_lshlrev_b32_e32 v4, 20, v6
	v_lshlrev_b32_e32 v5, 24, v9
	v_lshl_add_u32 v6, v150, 23, 0x3c000000
	v_and_b32_e32 v4, 0x700000, v4
	s_delay_alu instid0(VALU_DEP_3) | instskip(NEXT) | instid1(VALU_DEP_1)
	v_and_b32_e32 v5, 0x80000000, v5
	v_or3_b32 v6, v4, v5, v6
.LBB413_1669:                           ;   in Loop: Header=BB413_1192 Depth=1
	s_or_b32 exec_lo, exec_lo, s15
.LBB413_1670:                           ;   in Loop: Header=BB413_1192 Depth=1
	s_delay_alu instid0(SALU_CYCLE_1)
	s_or_b32 exec_lo, exec_lo, s13
.LBB413_1671:                           ;   in Loop: Header=BB413_1192 Depth=1
	s_delay_alu instid0(SALU_CYCLE_1) | instskip(NEXT) | instid1(VALU_DEP_1)
	s_or_b32 exec_lo, exec_lo, s12
	v_mul_f32_e32 v6, v8, v6
                                        ; implicit-def: $vgpr150
	s_delay_alu instid0(VALU_DEP_1) | instskip(NEXT) | instid1(VALU_DEP_1)
	v_and_b32_e32 v4, 0x7f800000, v6
	v_cmp_ne_u32_e64 s0, 0x7f800000, v4
	s_delay_alu instid0(VALU_DEP_1) | instskip(NEXT) | instid1(SALU_CYCLE_1)
	s_and_saveexec_b32 s12, s0
	s_xor_b32 s0, exec_lo, s12
; %bb.1672:                             ;   in Loop: Header=BB413_1192 Depth=1
	v_bfe_u32 v4, v6, 16, 1
	s_delay_alu instid0(VALU_DEP_1)
	v_add3_u32 v150, v6, v4, 0x7fff
                                        ; implicit-def: $vgpr6
; %bb.1673:                             ;   in Loop: Header=BB413_1192 Depth=1
	s_and_not1_saveexec_b32 s12, s0
; %bb.1674:                             ;   in Loop: Header=BB413_1192 Depth=1
	v_and_b32_e32 v4, 0xffff, v6
	v_or_b32_e32 v5, 0x10000, v6
	s_delay_alu instid0(VALU_DEP_2) | instskip(NEXT) | instid1(VALU_DEP_1)
	v_cmp_eq_u32_e64 s0, 0, v4
	v_cndmask_b32_e64 v150, v5, v6, s0
; %bb.1675:                             ;   in Loop: Header=BB413_1192 Depth=1
	s_or_b32 exec_lo, exec_lo, s12
	v_lshrrev_b16 v7, 8, v9
	v_mov_b32_e32 v6, 0
	s_mov_b32 s12, exec_lo
	s_delay_alu instid0(VALU_DEP_2)
	v_cmpx_ne_u16_e32 0, v7
	s_cbranch_execz .LBB413_1683
; %bb.1676:                             ;   in Loop: Header=BB413_1192 Depth=1
	v_bfrev_b32_e32 v6, 1
	s_mov_b32 s13, exec_lo
	v_cmpx_ne_u16_e32 0x80, v7
	s_cbranch_execz .LBB413_1682
; %bb.1677:                             ;   in Loop: Header=BB413_1192 Depth=1
	v_and_b32_e32 v7, 0xffff, v7
	v_mov_b32_e32 v6, 0x7f800001
	s_mov_b32 s15, exec_lo
	s_delay_alu instid0(VALU_DEP_2) | instskip(NEXT) | instid1(VALU_DEP_1)
	v_and_b32_e32 v160, 0x7f, v7
	v_cmpx_ne_u32_e32 0x7f, v160
	s_cbranch_execz .LBB413_1681
; %bb.1678:                             ;   in Loop: Header=BB413_1192 Depth=1
	v_dual_mov_b32 v7, v10 :: v_dual_and_b32 v6, 7, v7
	v_lshrrev_b32_e32 v151, 3, v160
	s_mov_b32 s17, exec_lo
	v_cmpx_gt_u32_e32 8, v160
; %bb.1679:                             ;   in Loop: Header=BB413_1192 Depth=1
	s_delay_alu instid0(VALU_DEP_3) | instskip(NEXT) | instid1(VALU_DEP_1)
	v_clz_i32_u32_e32 v4, v6
	v_min_u32_e32 v4, 32, v4
	s_delay_alu instid0(VALU_DEP_1) | instskip(SKIP_1) | instid1(VALU_DEP_2)
	v_subrev_nc_u32_e32 v5, 28, v4
	v_sub_nc_u32_e32 v151, 29, v4
	v_lshlrev_b64 v[6:7], v5, v[6:7]
	s_delay_alu instid0(VALU_DEP_1)
	v_and_b32_e32 v6, 7, v6
; %bb.1680:                             ;   in Loop: Header=BB413_1192 Depth=1
	s_or_b32 exec_lo, exec_lo, s17
	v_lshlrev_b32_e32 v4, 16, v9
	s_delay_alu instid0(VALU_DEP_2) | instskip(SKIP_1) | instid1(VALU_DEP_3)
	v_lshlrev_b32_e32 v5, 20, v6
	v_lshl_add_u32 v6, v151, 23, 0x3c000000
	v_and_b32_e32 v4, 0x80000000, v4
	s_delay_alu instid0(VALU_DEP_1)
	v_or3_b32 v6, v5, v4, v6
.LBB413_1681:                           ;   in Loop: Header=BB413_1192 Depth=1
	s_or_b32 exec_lo, exec_lo, s15
.LBB413_1682:                           ;   in Loop: Header=BB413_1192 Depth=1
	s_delay_alu instid0(SALU_CYCLE_1)
	s_or_b32 exec_lo, exec_lo, s13
.LBB413_1683:                           ;   in Loop: Header=BB413_1192 Depth=1
	s_delay_alu instid0(SALU_CYCLE_1) | instskip(NEXT) | instid1(VALU_DEP_1)
	s_or_b32 exec_lo, exec_lo, s12
	v_mul_f32_e32 v7, v8, v6
                                        ; implicit-def: $vgpr6
	s_delay_alu instid0(VALU_DEP_1) | instskip(NEXT) | instid1(VALU_DEP_1)
	v_and_b32_e32 v4, 0x7f800000, v7
	v_cmp_ne_u32_e64 s0, 0x7f800000, v4
	s_delay_alu instid0(VALU_DEP_1) | instskip(NEXT) | instid1(SALU_CYCLE_1)
	s_and_saveexec_b32 s12, s0
	s_xor_b32 s0, exec_lo, s12
; %bb.1684:                             ;   in Loop: Header=BB413_1192 Depth=1
	v_bfe_u32 v4, v7, 16, 1
	s_delay_alu instid0(VALU_DEP_1)
	v_add3_u32 v6, v7, v4, 0x7fff
                                        ; implicit-def: $vgpr7
; %bb.1685:                             ;   in Loop: Header=BB413_1192 Depth=1
	s_and_not1_saveexec_b32 s12, s0
; %bb.1686:                             ;   in Loop: Header=BB413_1192 Depth=1
	v_and_b32_e32 v4, 0xffff, v7
	v_or_b32_e32 v5, 0x10000, v7
	s_delay_alu instid0(VALU_DEP_2) | instskip(NEXT) | instid1(VALU_DEP_1)
	v_cmp_eq_u32_e64 s0, 0, v4
	v_cndmask_b32_e64 v6, v5, v7, s0
; %bb.1687:                             ;   in Loop: Header=BB413_1192 Depth=1
	s_or_b32 exec_lo, exec_lo, s12
	v_lshrrev_b32_e32 v7, 16, v3
	v_mov_b32_e32 v9, 0
	s_mov_b32 s12, exec_lo
	s_delay_alu instid0(VALU_DEP_2) | instskip(NEXT) | instid1(VALU_DEP_1)
	v_and_b32_e32 v151, 0xff, v7
	v_cmpx_ne_u16_e64 0, v151
	s_cbranch_execz .LBB413_1695
; %bb.1688:                             ;   in Loop: Header=BB413_1192 Depth=1
	v_bfrev_b32_e32 v9, 1
	s_mov_b32 s13, exec_lo
	v_cmpx_ne_u16_e64 0x80, v151
	s_cbranch_execz .LBB413_1694
; %bb.1689:                             ;   in Loop: Header=BB413_1192 Depth=1
	v_bfe_u32 v160, v3, 16, 7
	v_mov_b32_e32 v9, 0x7f800001
	s_mov_b32 s15, exec_lo
	s_delay_alu instid0(VALU_DEP_2)
	v_cmpx_ne_u32_e32 0x7f, v160
	s_cbranch_execz .LBB413_1693
; %bb.1690:                             ;   in Loop: Header=BB413_1192 Depth=1
	v_and_b32_e32 v9, 7, v7
	v_lshrrev_b32_e32 v151, 3, v160
	s_mov_b32 s17, exec_lo
	v_cmpx_gt_u32_e32 8, v160
; %bb.1691:                             ;   in Loop: Header=BB413_1192 Depth=1
	s_delay_alu instid0(VALU_DEP_3) | instskip(NEXT) | instid1(VALU_DEP_1)
	v_clz_i32_u32_e32 v4, v9
	v_min_u32_e32 v4, 32, v4
	s_delay_alu instid0(VALU_DEP_1) | instskip(SKIP_1) | instid1(VALU_DEP_2)
	v_subrev_nc_u32_e32 v5, 28, v4
	v_sub_nc_u32_e32 v151, 29, v4
	v_lshlrev_b64 v[160:161], v5, v[9:10]
	s_delay_alu instid0(VALU_DEP_1)
	v_and_b32_e32 v9, 7, v160
; %bb.1692:                             ;   in Loop: Header=BB413_1192 Depth=1
	s_or_b32 exec_lo, exec_lo, s17
	v_lshlrev_b32_e32 v4, 24, v7
	s_delay_alu instid0(VALU_DEP_2) | instskip(SKIP_1) | instid1(VALU_DEP_3)
	v_lshlrev_b32_e32 v5, 20, v9
	v_lshl_add_u32 v7, v151, 23, 0x3c000000
	v_and_b32_e32 v4, 0x80000000, v4
	s_delay_alu instid0(VALU_DEP_1)
	v_or3_b32 v9, v5, v4, v7
.LBB413_1693:                           ;   in Loop: Header=BB413_1192 Depth=1
	s_or_b32 exec_lo, exec_lo, s15
.LBB413_1694:                           ;   in Loop: Header=BB413_1192 Depth=1
	s_delay_alu instid0(SALU_CYCLE_1)
	s_or_b32 exec_lo, exec_lo, s13
.LBB413_1695:                           ;   in Loop: Header=BB413_1192 Depth=1
	s_delay_alu instid0(SALU_CYCLE_1) | instskip(NEXT) | instid1(VALU_DEP_1)
	s_or_b32 exec_lo, exec_lo, s12
	v_mul_f32_e32 v7, v8, v9
                                        ; implicit-def: $vgpr151
	s_delay_alu instid0(VALU_DEP_1) | instskip(NEXT) | instid1(VALU_DEP_1)
	v_and_b32_e32 v4, 0x7f800000, v7
	v_cmp_ne_u32_e64 s0, 0x7f800000, v4
	s_delay_alu instid0(VALU_DEP_1) | instskip(NEXT) | instid1(SALU_CYCLE_1)
	s_and_saveexec_b32 s12, s0
	s_xor_b32 s0, exec_lo, s12
; %bb.1696:                             ;   in Loop: Header=BB413_1192 Depth=1
	v_bfe_u32 v4, v7, 16, 1
	s_delay_alu instid0(VALU_DEP_1)
	v_add3_u32 v151, v7, v4, 0x7fff
                                        ; implicit-def: $vgpr7
; %bb.1697:                             ;   in Loop: Header=BB413_1192 Depth=1
	s_and_not1_saveexec_b32 s12, s0
; %bb.1698:                             ;   in Loop: Header=BB413_1192 Depth=1
	v_and_b32_e32 v4, 0xffff, v7
	v_or_b32_e32 v5, 0x10000, v7
	s_delay_alu instid0(VALU_DEP_2) | instskip(NEXT) | instid1(VALU_DEP_1)
	v_cmp_eq_u32_e64 s0, 0, v4
	v_cndmask_b32_e64 v151, v5, v7, s0
; %bb.1699:                             ;   in Loop: Header=BB413_1192 Depth=1
	s_or_b32 exec_lo, exec_lo, s12
	v_mov_b32_e32 v7, 0
	s_mov_b32 s12, exec_lo
	v_cmpx_lt_u64_e64 s[8:9], v[2:3]
	s_cbranch_execz .LBB413_1707
; %bb.1700:                             ;   in Loop: Header=BB413_1192 Depth=1
	v_lshrrev_b32_e32 v2, 24, v3
	v_bfrev_b32_e32 v7, 1
	s_mov_b32 s13, exec_lo
	s_delay_alu instid0(VALU_DEP_2)
	v_cmpx_ne_u32_e32 0x80, v2
	s_cbranch_execz .LBB413_1706
; %bb.1701:                             ;   in Loop: Header=BB413_1192 Depth=1
	v_bfe_u32 v160, v3, 24, 7
	v_mov_b32_e32 v7, 0x7f800001
	s_mov_b32 s15, exec_lo
	s_delay_alu instid0(VALU_DEP_2)
	v_cmpx_ne_u32_e32 0x7f, v160
	s_cbranch_execz .LBB413_1705
; %bb.1702:                             ;   in Loop: Header=BB413_1192 Depth=1
	v_and_b32_e32 v9, 7, v2
	v_lshrrev_b32_e32 v3, 3, v160
	s_mov_b32 s17, exec_lo
	v_cmpx_gt_u32_e32 8, v160
; %bb.1703:                             ;   in Loop: Header=BB413_1192 Depth=1
	s_delay_alu instid0(VALU_DEP_3) | instskip(NEXT) | instid1(VALU_DEP_1)
	v_clz_i32_u32_e32 v3, v9
	v_min_u32_e32 v3, 32, v3
	s_delay_alu instid0(VALU_DEP_1) | instskip(SKIP_1) | instid1(VALU_DEP_2)
	v_subrev_nc_u32_e32 v4, 28, v3
	v_sub_nc_u32_e32 v3, 29, v3
	v_lshlrev_b64 v[160:161], v4, v[9:10]
	s_delay_alu instid0(VALU_DEP_1)
	v_and_b32_e32 v9, 7, v160
; %bb.1704:                             ;   in Loop: Header=BB413_1192 Depth=1
	s_or_b32 exec_lo, exec_lo, s17
	v_lshlrev_b32_e32 v2, 24, v2
	s_delay_alu instid0(VALU_DEP_2) | instskip(SKIP_1) | instid1(VALU_DEP_3)
	v_lshlrev_b32_e32 v4, 20, v9
	v_lshl_add_u32 v3, v3, 23, 0x3c000000
	v_and_b32_e32 v2, 0x80000000, v2
	s_delay_alu instid0(VALU_DEP_1)
	v_or3_b32 v7, v4, v2, v3
.LBB413_1705:                           ;   in Loop: Header=BB413_1192 Depth=1
	s_or_b32 exec_lo, exec_lo, s15
.LBB413_1706:                           ;   in Loop: Header=BB413_1192 Depth=1
	s_delay_alu instid0(SALU_CYCLE_1)
	s_or_b32 exec_lo, exec_lo, s13
.LBB413_1707:                           ;   in Loop: Header=BB413_1192 Depth=1
	s_delay_alu instid0(SALU_CYCLE_1) | instskip(NEXT) | instid1(VALU_DEP_1)
	s_or_b32 exec_lo, exec_lo, s12
	v_mul_f32_e32 v3, v8, v7
	s_delay_alu instid0(VALU_DEP_1) | instskip(NEXT) | instid1(VALU_DEP_1)
	v_and_b32_e32 v2, 0x7f800000, v3
	v_cmp_ne_u32_e64 s0, 0x7f800000, v2
                                        ; implicit-def: $vgpr2
	s_delay_alu instid0(VALU_DEP_1) | instskip(NEXT) | instid1(SALU_CYCLE_1)
	s_and_saveexec_b32 s12, s0
	s_xor_b32 s0, exec_lo, s12
; %bb.1708:                             ;   in Loop: Header=BB413_1192 Depth=1
	v_bfe_u32 v2, v3, 16, 1
	s_delay_alu instid0(VALU_DEP_1)
	v_add3_u32 v2, v3, v2, 0x7fff
                                        ; implicit-def: $vgpr3
; %bb.1709:                             ;   in Loop: Header=BB413_1192 Depth=1
	s_and_not1_saveexec_b32 s12, s0
; %bb.1710:                             ;   in Loop: Header=BB413_1192 Depth=1
	v_and_b32_e32 v2, 0xffff, v3
	v_or_b32_e32 v4, 0x10000, v3
	s_delay_alu instid0(VALU_DEP_2) | instskip(NEXT) | instid1(VALU_DEP_1)
	v_cmp_eq_u32_e64 s0, 0, v2
	v_cndmask_b32_e64 v2, v4, v3, s0
; %bb.1711:                             ;   in Loop: Header=BB413_1192 Depth=1
	s_or_b32 exec_lo, exec_lo, s12
	v_lshrrev_b32_e32 v6, 16, v6
	v_lshrrev_b32_e32 v7, 16, v150
	;; [unrolled: 1-line block ×8, first 2 shown]
	s_and_saveexec_b32 s12, vcc_lo
	s_cbranch_execz .LBB413_1713
; %bb.1712:                             ;   in Loop: Header=BB413_1192 Depth=1
	v_cmp_lt_i32_e64 s0, v66, v85
	s_delay_alu instid0(VALU_DEP_1) | instskip(SKIP_1) | instid1(VALU_DEP_1)
	v_cndmask_b32_e64 v146, 0, v146, s0
	v_cmp_lt_i32_e64 s0, v81, v85
	v_cndmask_b32_e64 v147, 0, v147, s0
	v_cmp_lt_i32_e64 s0, v80, v85
	s_delay_alu instid0(VALU_DEP_1) | instskip(SKIP_1) | instid1(VALU_DEP_1)
	v_cndmask_b32_e64 v148, 0, v148, s0
	v_cmp_lt_i32_e64 s0, v71, v85
	v_cndmask_b32_e64 v9, 0, v9, s0
	;; [unrolled: 5-line block ×4, first 2 shown]
.LBB413_1713:                           ;   in Loop: Header=BB413_1192 Depth=1
	s_or_b32 exec_lo, exec_lo, s12
	v_lshlrev_b32_e32 v4, 16, v146
                                        ; implicit-def: $vgpr146
	s_delay_alu instid0(VALU_DEP_1) | instskip(NEXT) | instid1(VALU_DEP_1)
	v_mul_f32_e32 v149, v82, v4
	v_and_b32_e32 v4, 0x7f800000, v149
	s_delay_alu instid0(VALU_DEP_1) | instskip(NEXT) | instid1(VALU_DEP_1)
	v_cmp_ne_u32_e64 s0, 0x7f800000, v4
	s_and_saveexec_b32 s12, s0
	s_delay_alu instid0(SALU_CYCLE_1)
	s_xor_b32 s0, exec_lo, s12
; %bb.1714:                             ;   in Loop: Header=BB413_1192 Depth=1
	v_bfe_u32 v4, v149, 16, 1
	s_delay_alu instid0(VALU_DEP_1)
	v_add3_u32 v146, v149, v4, 0x7fff
                                        ; implicit-def: $vgpr149
; %bb.1715:                             ;   in Loop: Header=BB413_1192 Depth=1
	s_and_not1_saveexec_b32 s12, s0
; %bb.1716:                             ;   in Loop: Header=BB413_1192 Depth=1
	v_and_b32_e32 v4, 0xffff, v149
	v_or_b32_e32 v5, 0x10000, v149
	s_delay_alu instid0(VALU_DEP_2) | instskip(NEXT) | instid1(VALU_DEP_1)
	v_cmp_eq_u32_e64 s0, 0, v4
	v_cndmask_b32_e64 v146, v5, v149, s0
; %bb.1717:                             ;   in Loop: Header=BB413_1192 Depth=1
	s_or_b32 exec_lo, exec_lo, s12
	v_lshlrev_b32_e32 v4, 16, v147
                                        ; implicit-def: $vgpr147
	s_delay_alu instid0(VALU_DEP_1) | instskip(NEXT) | instid1(VALU_DEP_1)
	v_mul_f32_e32 v149, v83, v4
	v_and_b32_e32 v4, 0x7f800000, v149
	s_delay_alu instid0(VALU_DEP_1) | instskip(NEXT) | instid1(VALU_DEP_1)
	v_cmp_ne_u32_e64 s0, 0x7f800000, v4
	s_and_saveexec_b32 s12, s0
	s_delay_alu instid0(SALU_CYCLE_1)
	s_xor_b32 s0, exec_lo, s12
; %bb.1718:                             ;   in Loop: Header=BB413_1192 Depth=1
	v_bfe_u32 v4, v149, 16, 1
	s_delay_alu instid0(VALU_DEP_1)
	v_add3_u32 v147, v149, v4, 0x7fff
                                        ; implicit-def: $vgpr149
; %bb.1719:                             ;   in Loop: Header=BB413_1192 Depth=1
	s_and_not1_saveexec_b32 s12, s0
; %bb.1720:                             ;   in Loop: Header=BB413_1192 Depth=1
	v_and_b32_e32 v4, 0xffff, v149
	v_or_b32_e32 v5, 0x10000, v149
	s_delay_alu instid0(VALU_DEP_2) | instskip(NEXT) | instid1(VALU_DEP_1)
	v_cmp_eq_u32_e64 s0, 0, v4
	v_cndmask_b32_e64 v147, v5, v149, s0
; %bb.1721:                             ;   in Loop: Header=BB413_1192 Depth=1
	s_or_b32 exec_lo, exec_lo, s12
	v_lshlrev_b32_e32 v4, 16, v148
                                        ; implicit-def: $vgpr148
	s_delay_alu instid0(VALU_DEP_1) | instskip(NEXT) | instid1(VALU_DEP_1)
	v_mul_f32_e32 v149, v100, v4
	v_and_b32_e32 v4, 0x7f800000, v149
	s_delay_alu instid0(VALU_DEP_1) | instskip(NEXT) | instid1(VALU_DEP_1)
	v_cmp_ne_u32_e64 s0, 0x7f800000, v4
	s_and_saveexec_b32 s12, s0
	s_delay_alu instid0(SALU_CYCLE_1)
	s_xor_b32 s0, exec_lo, s12
; %bb.1722:                             ;   in Loop: Header=BB413_1192 Depth=1
	v_bfe_u32 v4, v149, 16, 1
	s_delay_alu instid0(VALU_DEP_1)
	v_add3_u32 v148, v149, v4, 0x7fff
                                        ; implicit-def: $vgpr149
; %bb.1723:                             ;   in Loop: Header=BB413_1192 Depth=1
	s_and_not1_saveexec_b32 s12, s0
; %bb.1724:                             ;   in Loop: Header=BB413_1192 Depth=1
	v_and_b32_e32 v4, 0xffff, v149
	v_or_b32_e32 v5, 0x10000, v149
	s_delay_alu instid0(VALU_DEP_2) | instskip(NEXT) | instid1(VALU_DEP_1)
	v_cmp_eq_u32_e64 s0, 0, v4
	v_cndmask_b32_e64 v148, v5, v149, s0
; %bb.1725:                             ;   in Loop: Header=BB413_1192 Depth=1
	s_or_b32 exec_lo, exec_lo, s12
	v_lshlrev_b32_e32 v4, 16, v9
                                        ; implicit-def: $vgpr149
	s_delay_alu instid0(VALU_DEP_1) | instskip(NEXT) | instid1(VALU_DEP_1)
	v_mul_f32_e32 v9, v101, v4
	v_and_b32_e32 v4, 0x7f800000, v9
	s_delay_alu instid0(VALU_DEP_1) | instskip(NEXT) | instid1(VALU_DEP_1)
	v_cmp_ne_u32_e64 s0, 0x7f800000, v4
	s_and_saveexec_b32 s12, s0
	s_delay_alu instid0(SALU_CYCLE_1)
	s_xor_b32 s0, exec_lo, s12
; %bb.1726:                             ;   in Loop: Header=BB413_1192 Depth=1
	v_bfe_u32 v4, v9, 16, 1
	s_delay_alu instid0(VALU_DEP_1)
	v_add3_u32 v149, v9, v4, 0x7fff
                                        ; implicit-def: $vgpr9
; %bb.1727:                             ;   in Loop: Header=BB413_1192 Depth=1
	s_and_not1_saveexec_b32 s12, s0
; %bb.1728:                             ;   in Loop: Header=BB413_1192 Depth=1
	v_and_b32_e32 v4, 0xffff, v9
	v_or_b32_e32 v5, 0x10000, v9
	s_delay_alu instid0(VALU_DEP_2) | instskip(NEXT) | instid1(VALU_DEP_1)
	v_cmp_eq_u32_e64 s0, 0, v4
	v_cndmask_b32_e64 v149, v5, v9, s0
; %bb.1729:                             ;   in Loop: Header=BB413_1192 Depth=1
	s_or_b32 exec_lo, exec_lo, s12
	v_lshlrev_b32_e32 v4, 16, v7
                                        ; implicit-def: $vgpr150
	s_delay_alu instid0(VALU_DEP_1) | instskip(NEXT) | instid1(VALU_DEP_1)
	v_mul_f32_e32 v7, v102, v4
	v_and_b32_e32 v4, 0x7f800000, v7
	s_delay_alu instid0(VALU_DEP_1) | instskip(NEXT) | instid1(VALU_DEP_1)
	v_cmp_ne_u32_e64 s0, 0x7f800000, v4
	s_and_saveexec_b32 s12, s0
	s_delay_alu instid0(SALU_CYCLE_1)
	s_xor_b32 s0, exec_lo, s12
; %bb.1730:                             ;   in Loop: Header=BB413_1192 Depth=1
	v_bfe_u32 v4, v7, 16, 1
	s_delay_alu instid0(VALU_DEP_1)
	v_add3_u32 v150, v7, v4, 0x7fff
                                        ; implicit-def: $vgpr7
; %bb.1731:                             ;   in Loop: Header=BB413_1192 Depth=1
	s_and_not1_saveexec_b32 s12, s0
; %bb.1732:                             ;   in Loop: Header=BB413_1192 Depth=1
	v_and_b32_e32 v4, 0xffff, v7
	v_or_b32_e32 v5, 0x10000, v7
	s_delay_alu instid0(VALU_DEP_2) | instskip(NEXT) | instid1(VALU_DEP_1)
	v_cmp_eq_u32_e64 s0, 0, v4
	v_cndmask_b32_e64 v150, v5, v7, s0
; %bb.1733:                             ;   in Loop: Header=BB413_1192 Depth=1
	s_or_b32 exec_lo, exec_lo, s12
	v_lshlrev_b32_e32 v4, 16, v6
                                        ; implicit-def: $vgpr151
	s_delay_alu instid0(VALU_DEP_1) | instskip(NEXT) | instid1(VALU_DEP_1)
	v_mul_f32_e32 v6, v103, v4
	v_and_b32_e32 v4, 0x7f800000, v6
	s_delay_alu instid0(VALU_DEP_1) | instskip(NEXT) | instid1(VALU_DEP_1)
	v_cmp_ne_u32_e64 s0, 0x7f800000, v4
	s_and_saveexec_b32 s12, s0
	s_delay_alu instid0(SALU_CYCLE_1)
	s_xor_b32 s0, exec_lo, s12
; %bb.1734:                             ;   in Loop: Header=BB413_1192 Depth=1
	v_bfe_u32 v4, v6, 16, 1
	s_delay_alu instid0(VALU_DEP_1)
	v_add3_u32 v151, v6, v4, 0x7fff
                                        ; implicit-def: $vgpr6
; %bb.1735:                             ;   in Loop: Header=BB413_1192 Depth=1
	s_and_not1_saveexec_b32 s12, s0
; %bb.1736:                             ;   in Loop: Header=BB413_1192 Depth=1
	v_and_b32_e32 v4, 0xffff, v6
	v_or_b32_e32 v5, 0x10000, v6
	s_delay_alu instid0(VALU_DEP_2) | instskip(NEXT) | instid1(VALU_DEP_1)
	v_cmp_eq_u32_e64 s0, 0, v4
	v_cndmask_b32_e64 v151, v5, v6, s0
; %bb.1737:                             ;   in Loop: Header=BB413_1192 Depth=1
	s_or_b32 exec_lo, exec_lo, s12
	v_lshlrev_b32_e32 v3, 16, v3
                                        ; implicit-def: $vgpr160
	s_delay_alu instid0(VALU_DEP_1) | instskip(NEXT) | instid1(VALU_DEP_1)
	v_mul_f32_e32 v3, v112, v3
	v_and_b32_e32 v4, 0x7f800000, v3
	s_delay_alu instid0(VALU_DEP_1) | instskip(NEXT) | instid1(VALU_DEP_1)
	v_cmp_ne_u32_e64 s0, 0x7f800000, v4
	s_and_saveexec_b32 s12, s0
	s_delay_alu instid0(SALU_CYCLE_1)
	s_xor_b32 s0, exec_lo, s12
; %bb.1738:                             ;   in Loop: Header=BB413_1192 Depth=1
	v_bfe_u32 v4, v3, 16, 1
	s_delay_alu instid0(VALU_DEP_1)
	v_add3_u32 v160, v3, v4, 0x7fff
                                        ; implicit-def: $vgpr3
; %bb.1739:                             ;   in Loop: Header=BB413_1192 Depth=1
	s_and_not1_saveexec_b32 s12, s0
; %bb.1740:                             ;   in Loop: Header=BB413_1192 Depth=1
	v_and_b32_e32 v4, 0xffff, v3
	v_or_b32_e32 v5, 0x10000, v3
	s_delay_alu instid0(VALU_DEP_2) | instskip(NEXT) | instid1(VALU_DEP_1)
	v_cmp_eq_u32_e64 s0, 0, v4
	v_cndmask_b32_e64 v160, v5, v3, s0
; %bb.1741:                             ;   in Loop: Header=BB413_1192 Depth=1
	s_or_b32 exec_lo, exec_lo, s12
	v_lshlrev_b32_e32 v2, 16, v2
                                        ; implicit-def: $vgpr161
	s_delay_alu instid0(VALU_DEP_1) | instskip(NEXT) | instid1(VALU_DEP_1)
	v_mul_f32_e32 v2, v113, v2
	v_and_b32_e32 v3, 0x7f800000, v2
	s_delay_alu instid0(VALU_DEP_1) | instskip(NEXT) | instid1(VALU_DEP_1)
	v_cmp_ne_u32_e64 s0, 0x7f800000, v3
	s_and_saveexec_b32 s12, s0
	s_delay_alu instid0(SALU_CYCLE_1)
	s_xor_b32 s0, exec_lo, s12
; %bb.1742:                             ;   in Loop: Header=BB413_1192 Depth=1
	v_bfe_u32 v3, v2, 16, 1
	s_delay_alu instid0(VALU_DEP_1)
	v_add3_u32 v161, v2, v3, 0x7fff
                                        ; implicit-def: $vgpr2
; %bb.1743:                             ;   in Loop: Header=BB413_1192 Depth=1
	s_and_not1_saveexec_b32 s12, s0
; %bb.1744:                             ;   in Loop: Header=BB413_1192 Depth=1
	v_and_b32_e32 v3, 0xffff, v2
	v_or_b32_e32 v4, 0x10000, v2
	s_delay_alu instid0(VALU_DEP_2) | instskip(NEXT) | instid1(VALU_DEP_1)
	v_cmp_eq_u32_e64 s0, 0, v3
	v_cndmask_b32_e64 v161, v4, v2, s0
; %bb.1745:                             ;   in Loop: Header=BB413_1192 Depth=1
	s_or_b32 exec_lo, exec_lo, s12
	flat_load_b64 v[2:3], v[0:1] offset:1024
	s_mov_b32 s12, exec_lo
	s_waitcnt vmcnt(0) lgkmcnt(0)
	v_dual_mov_b32 v6, 0 :: v_dual_and_b32 v7, 0xff, v2
	s_delay_alu instid0(VALU_DEP_1)
	v_cmpx_ne_u16_e32 0, v7
	s_cbranch_execz .LBB413_1753
; %bb.1746:                             ;   in Loop: Header=BB413_1192 Depth=1
	v_bfrev_b32_e32 v6, 1
	s_mov_b32 s13, exec_lo
	v_cmpx_ne_u16_e32 0x80, v7
	s_cbranch_execz .LBB413_1752
; %bb.1747:                             ;   in Loop: Header=BB413_1192 Depth=1
	v_and_b32_e32 v7, 0x7f, v2
	v_mov_b32_e32 v6, 0x7f800001
	s_mov_b32 s15, exec_lo
	s_delay_alu instid0(VALU_DEP_2)
	v_cmpx_ne_u32_e32 0x7f, v7
	s_cbranch_execz .LBB413_1751
; %bb.1748:                             ;   in Loop: Header=BB413_1192 Depth=1
	v_lshrrev_b32_e32 v9, 3, v7
	v_cmp_gt_u32_e64 s0, 8, v7
	v_dual_mov_b32 v7, v3 :: v_dual_mov_b32 v6, v2
	s_delay_alu instid0(VALU_DEP_2)
	s_and_saveexec_b32 s17, s0
; %bb.1749:                             ;   in Loop: Header=BB413_1192 Depth=1
	v_and_b32_e32 v4, 7, v2
	s_delay_alu instid0(VALU_DEP_1) | instskip(NEXT) | instid1(VALU_DEP_1)
	v_clz_i32_u32_e32 v4, v4
	v_min_u32_e32 v4, 32, v4
	s_delay_alu instid0(VALU_DEP_1) | instskip(SKIP_1) | instid1(VALU_DEP_2)
	v_subrev_nc_u32_e32 v5, 28, v4
	v_sub_nc_u32_e32 v9, 29, v4
	v_lshlrev_b64 v[6:7], v5, v[2:3]
; %bb.1750:                             ;   in Loop: Header=BB413_1192 Depth=1
	s_or_b32 exec_lo, exec_lo, s17
	s_delay_alu instid0(VALU_DEP_1) | instskip(SKIP_2) | instid1(VALU_DEP_3)
	v_lshlrev_b32_e32 v4, 20, v6
	v_lshlrev_b32_e32 v5, 24, v2
	v_lshl_add_u32 v6, v9, 23, 0x3c000000
	v_and_b32_e32 v4, 0x700000, v4
	s_delay_alu instid0(VALU_DEP_3) | instskip(NEXT) | instid1(VALU_DEP_1)
	v_and_b32_e32 v5, 0x80000000, v5
	v_or3_b32 v6, v4, v5, v6
.LBB413_1751:                           ;   in Loop: Header=BB413_1192 Depth=1
	s_or_b32 exec_lo, exec_lo, s15
.LBB413_1752:                           ;   in Loop: Header=BB413_1192 Depth=1
	s_delay_alu instid0(SALU_CYCLE_1)
	s_or_b32 exec_lo, exec_lo, s13
.LBB413_1753:                           ;   in Loop: Header=BB413_1192 Depth=1
	s_delay_alu instid0(SALU_CYCLE_1) | instskip(NEXT) | instid1(VALU_DEP_1)
	s_or_b32 exec_lo, exec_lo, s12
	v_mul_f32_e32 v6, v8, v6
                                        ; implicit-def: $vgpr162
	s_delay_alu instid0(VALU_DEP_1) | instskip(NEXT) | instid1(VALU_DEP_1)
	v_and_b32_e32 v4, 0x7f800000, v6
	v_cmp_ne_u32_e64 s0, 0x7f800000, v4
	s_delay_alu instid0(VALU_DEP_1) | instskip(NEXT) | instid1(SALU_CYCLE_1)
	s_and_saveexec_b32 s12, s0
	s_xor_b32 s0, exec_lo, s12
; %bb.1754:                             ;   in Loop: Header=BB413_1192 Depth=1
	v_bfe_u32 v4, v6, 16, 1
	s_delay_alu instid0(VALU_DEP_1)
	v_add3_u32 v162, v6, v4, 0x7fff
                                        ; implicit-def: $vgpr6
; %bb.1755:                             ;   in Loop: Header=BB413_1192 Depth=1
	s_and_not1_saveexec_b32 s12, s0
; %bb.1756:                             ;   in Loop: Header=BB413_1192 Depth=1
	v_and_b32_e32 v4, 0xffff, v6
	v_or_b32_e32 v5, 0x10000, v6
	s_delay_alu instid0(VALU_DEP_2) | instskip(NEXT) | instid1(VALU_DEP_1)
	v_cmp_eq_u32_e64 s0, 0, v4
	v_cndmask_b32_e64 v162, v5, v6, s0
; %bb.1757:                             ;   in Loop: Header=BB413_1192 Depth=1
	s_or_b32 exec_lo, exec_lo, s12
	v_lshrrev_b16 v7, 8, v2
	v_mov_b32_e32 v6, 0
	s_mov_b32 s12, exec_lo
	s_delay_alu instid0(VALU_DEP_2)
	v_cmpx_ne_u16_e32 0, v7
	s_cbranch_execz .LBB413_1765
; %bb.1758:                             ;   in Loop: Header=BB413_1192 Depth=1
	v_bfrev_b32_e32 v6, 1
	s_mov_b32 s13, exec_lo
	v_cmpx_ne_u16_e32 0x80, v7
	s_cbranch_execz .LBB413_1764
; %bb.1759:                             ;   in Loop: Header=BB413_1192 Depth=1
	v_and_b32_e32 v9, 0xffff, v7
	v_mov_b32_e32 v6, 0x7f800001
	s_mov_b32 s15, exec_lo
	s_delay_alu instid0(VALU_DEP_2) | instskip(NEXT) | instid1(VALU_DEP_1)
	v_and_b32_e32 v7, 0x7f, v9
	v_cmpx_ne_u32_e32 0x7f, v7
	s_cbranch_execz .LBB413_1763
; %bb.1760:                             ;   in Loop: Header=BB413_1192 Depth=1
	v_and_b32_e32 v9, 7, v9
	v_lshrrev_b32_e32 v6, 3, v7
	s_mov_b32 s17, exec_lo
	v_cmpx_gt_u32_e32 8, v7
; %bb.1761:                             ;   in Loop: Header=BB413_1192 Depth=1
	s_delay_alu instid0(VALU_DEP_3) | instskip(NEXT) | instid1(VALU_DEP_1)
	v_clz_i32_u32_e32 v4, v9
	v_min_u32_e32 v4, 32, v4
	s_delay_alu instid0(VALU_DEP_1) | instskip(SKIP_1) | instid1(VALU_DEP_2)
	v_subrev_nc_u32_e32 v5, 28, v4
	v_sub_nc_u32_e32 v6, 29, v4
	v_lshlrev_b64 v[163:164], v5, v[9:10]
	s_delay_alu instid0(VALU_DEP_1)
	v_and_b32_e32 v9, 7, v163
; %bb.1762:                             ;   in Loop: Header=BB413_1192 Depth=1
	s_or_b32 exec_lo, exec_lo, s17
	v_lshlrev_b32_e32 v4, 16, v2
	s_delay_alu instid0(VALU_DEP_2) | instskip(SKIP_1) | instid1(VALU_DEP_3)
	v_lshlrev_b32_e32 v5, 20, v9
	v_lshl_add_u32 v6, v6, 23, 0x3c000000
	v_and_b32_e32 v4, 0x80000000, v4
	s_delay_alu instid0(VALU_DEP_1)
	v_or3_b32 v6, v5, v4, v6
.LBB413_1763:                           ;   in Loop: Header=BB413_1192 Depth=1
	s_or_b32 exec_lo, exec_lo, s15
.LBB413_1764:                           ;   in Loop: Header=BB413_1192 Depth=1
	s_delay_alu instid0(SALU_CYCLE_1)
	s_or_b32 exec_lo, exec_lo, s13
.LBB413_1765:                           ;   in Loop: Header=BB413_1192 Depth=1
	s_delay_alu instid0(SALU_CYCLE_1) | instskip(NEXT) | instid1(VALU_DEP_1)
	s_or_b32 exec_lo, exec_lo, s12
	v_mul_f32_e32 v6, v8, v6
                                        ; implicit-def: $vgpr163
	s_delay_alu instid0(VALU_DEP_1) | instskip(NEXT) | instid1(VALU_DEP_1)
	v_and_b32_e32 v4, 0x7f800000, v6
	v_cmp_ne_u32_e64 s0, 0x7f800000, v4
	s_delay_alu instid0(VALU_DEP_1) | instskip(NEXT) | instid1(SALU_CYCLE_1)
	s_and_saveexec_b32 s12, s0
	s_xor_b32 s0, exec_lo, s12
; %bb.1766:                             ;   in Loop: Header=BB413_1192 Depth=1
	v_bfe_u32 v4, v6, 16, 1
	s_delay_alu instid0(VALU_DEP_1)
	v_add3_u32 v163, v6, v4, 0x7fff
                                        ; implicit-def: $vgpr6
; %bb.1767:                             ;   in Loop: Header=BB413_1192 Depth=1
	s_and_not1_saveexec_b32 s12, s0
; %bb.1768:                             ;   in Loop: Header=BB413_1192 Depth=1
	v_and_b32_e32 v4, 0xffff, v6
	v_or_b32_e32 v5, 0x10000, v6
	s_delay_alu instid0(VALU_DEP_2) | instskip(NEXT) | instid1(VALU_DEP_1)
	v_cmp_eq_u32_e64 s0, 0, v4
	v_cndmask_b32_e64 v163, v5, v6, s0
; %bb.1769:                             ;   in Loop: Header=BB413_1192 Depth=1
	s_or_b32 exec_lo, exec_lo, s12
	v_lshrrev_b32_e32 v6, 16, v2
	v_mov_b32_e32 v7, 0
	s_mov_b32 s12, exec_lo
	s_delay_alu instid0(VALU_DEP_2) | instskip(NEXT) | instid1(VALU_DEP_1)
	v_and_b32_e32 v9, 0xff, v6
	v_cmpx_ne_u16_e32 0, v9
	s_cbranch_execz .LBB413_1777
; %bb.1770:                             ;   in Loop: Header=BB413_1192 Depth=1
	v_bfrev_b32_e32 v7, 1
	s_mov_b32 s13, exec_lo
	v_cmpx_ne_u16_e32 0x80, v9
	s_cbranch_execz .LBB413_1776
; %bb.1771:                             ;   in Loop: Header=BB413_1192 Depth=1
	v_bfe_u32 v164, v2, 16, 7
	v_mov_b32_e32 v7, 0x7f800001
	s_mov_b32 s15, exec_lo
	s_delay_alu instid0(VALU_DEP_2)
	v_cmpx_ne_u32_e32 0x7f, v164
	s_cbranch_execz .LBB413_1775
; %bb.1772:                             ;   in Loop: Header=BB413_1192 Depth=1
	v_and_b32_e32 v9, 7, v6
	v_lshrrev_b32_e32 v7, 3, v164
	s_mov_b32 s17, exec_lo
	v_cmpx_gt_u32_e32 8, v164
; %bb.1773:                             ;   in Loop: Header=BB413_1192 Depth=1
	s_delay_alu instid0(VALU_DEP_3) | instskip(NEXT) | instid1(VALU_DEP_1)
	v_clz_i32_u32_e32 v4, v9
	v_min_u32_e32 v4, 32, v4
	s_delay_alu instid0(VALU_DEP_1) | instskip(SKIP_1) | instid1(VALU_DEP_2)
	v_subrev_nc_u32_e32 v5, 28, v4
	v_sub_nc_u32_e32 v7, 29, v4
	v_lshlrev_b64 v[164:165], v5, v[9:10]
	s_delay_alu instid0(VALU_DEP_1)
	v_and_b32_e32 v9, 7, v164
; %bb.1774:                             ;   in Loop: Header=BB413_1192 Depth=1
	s_or_b32 exec_lo, exec_lo, s17
	v_lshlrev_b32_e32 v4, 24, v6
	s_delay_alu instid0(VALU_DEP_2) | instskip(SKIP_1) | instid1(VALU_DEP_3)
	v_lshlrev_b32_e32 v5, 20, v9
	v_lshl_add_u32 v6, v7, 23, 0x3c000000
	v_and_b32_e32 v4, 0x80000000, v4
	s_delay_alu instid0(VALU_DEP_1)
	v_or3_b32 v7, v5, v4, v6
.LBB413_1775:                           ;   in Loop: Header=BB413_1192 Depth=1
	s_or_b32 exec_lo, exec_lo, s15
.LBB413_1776:                           ;   in Loop: Header=BB413_1192 Depth=1
	s_delay_alu instid0(SALU_CYCLE_1)
	s_or_b32 exec_lo, exec_lo, s13
.LBB413_1777:                           ;   in Loop: Header=BB413_1192 Depth=1
	s_delay_alu instid0(SALU_CYCLE_1) | instskip(NEXT) | instid1(VALU_DEP_1)
	s_or_b32 exec_lo, exec_lo, s12
	v_mul_f32_e32 v6, v8, v7
                                        ; implicit-def: $vgpr164
	s_delay_alu instid0(VALU_DEP_1) | instskip(NEXT) | instid1(VALU_DEP_1)
	v_and_b32_e32 v4, 0x7f800000, v6
	v_cmp_ne_u32_e64 s0, 0x7f800000, v4
	s_delay_alu instid0(VALU_DEP_1) | instskip(NEXT) | instid1(SALU_CYCLE_1)
	s_and_saveexec_b32 s12, s0
	s_xor_b32 s0, exec_lo, s12
; %bb.1778:                             ;   in Loop: Header=BB413_1192 Depth=1
	v_bfe_u32 v4, v6, 16, 1
	s_delay_alu instid0(VALU_DEP_1)
	v_add3_u32 v164, v6, v4, 0x7fff
                                        ; implicit-def: $vgpr6
; %bb.1779:                             ;   in Loop: Header=BB413_1192 Depth=1
	s_and_not1_saveexec_b32 s12, s0
; %bb.1780:                             ;   in Loop: Header=BB413_1192 Depth=1
	v_and_b32_e32 v4, 0xffff, v6
	v_or_b32_e32 v5, 0x10000, v6
	s_delay_alu instid0(VALU_DEP_2) | instskip(NEXT) | instid1(VALU_DEP_1)
	v_cmp_eq_u32_e64 s0, 0, v4
	v_cndmask_b32_e64 v164, v5, v6, s0
; %bb.1781:                             ;   in Loop: Header=BB413_1192 Depth=1
	s_or_b32 exec_lo, exec_lo, s12
	v_mov_b32_e32 v7, 0
	s_mov_b32 s12, exec_lo
	v_cmpx_lt_u32_e32 0xffffff, v2
	s_cbranch_execz .LBB413_1789
; %bb.1782:                             ;   in Loop: Header=BB413_1192 Depth=1
	v_lshrrev_b32_e32 v6, 24, v2
	v_bfrev_b32_e32 v7, 1
	s_mov_b32 s13, exec_lo
	s_delay_alu instid0(VALU_DEP_2)
	v_cmpx_ne_u32_e32 0x80, v6
	s_cbranch_execz .LBB413_1788
; %bb.1783:                             ;   in Loop: Header=BB413_1192 Depth=1
	v_bfe_u32 v165, v2, 24, 7
	v_mov_b32_e32 v7, 0x7f800001
	s_mov_b32 s15, exec_lo
	s_delay_alu instid0(VALU_DEP_2)
	v_cmpx_ne_u32_e32 0x7f, v165
	s_cbranch_execz .LBB413_1787
; %bb.1784:                             ;   in Loop: Header=BB413_1192 Depth=1
	v_and_b32_e32 v9, 7, v6
	v_lshrrev_b32_e32 v7, 3, v165
	s_mov_b32 s17, exec_lo
	v_cmpx_gt_u32_e32 8, v165
; %bb.1785:                             ;   in Loop: Header=BB413_1192 Depth=1
	s_delay_alu instid0(VALU_DEP_3) | instskip(NEXT) | instid1(VALU_DEP_1)
	v_clz_i32_u32_e32 v4, v9
	v_min_u32_e32 v4, 32, v4
	s_delay_alu instid0(VALU_DEP_1) | instskip(SKIP_1) | instid1(VALU_DEP_2)
	v_subrev_nc_u32_e32 v5, 28, v4
	v_sub_nc_u32_e32 v7, 29, v4
	v_lshlrev_b64 v[165:166], v5, v[9:10]
	s_delay_alu instid0(VALU_DEP_1)
	v_and_b32_e32 v9, 7, v165
; %bb.1786:                             ;   in Loop: Header=BB413_1192 Depth=1
	s_or_b32 exec_lo, exec_lo, s17
	v_lshlrev_b32_e32 v4, 24, v6
	s_delay_alu instid0(VALU_DEP_2) | instskip(SKIP_1) | instid1(VALU_DEP_3)
	v_lshlrev_b32_e32 v5, 20, v9
	v_lshl_add_u32 v6, v7, 23, 0x3c000000
	v_and_b32_e32 v4, 0x80000000, v4
	s_delay_alu instid0(VALU_DEP_1)
	v_or3_b32 v7, v5, v4, v6
.LBB413_1787:                           ;   in Loop: Header=BB413_1192 Depth=1
	s_or_b32 exec_lo, exec_lo, s15
.LBB413_1788:                           ;   in Loop: Header=BB413_1192 Depth=1
	s_delay_alu instid0(SALU_CYCLE_1)
	s_or_b32 exec_lo, exec_lo, s13
.LBB413_1789:                           ;   in Loop: Header=BB413_1192 Depth=1
	s_delay_alu instid0(SALU_CYCLE_1) | instskip(NEXT) | instid1(VALU_DEP_1)
	s_or_b32 exec_lo, exec_lo, s12
	v_mul_f32_e32 v6, v8, v7
                                        ; implicit-def: $vgpr165
	s_delay_alu instid0(VALU_DEP_1) | instskip(NEXT) | instid1(VALU_DEP_1)
	v_and_b32_e32 v4, 0x7f800000, v6
	v_cmp_ne_u32_e64 s0, 0x7f800000, v4
	s_delay_alu instid0(VALU_DEP_1) | instskip(NEXT) | instid1(SALU_CYCLE_1)
	s_and_saveexec_b32 s12, s0
	s_xor_b32 s0, exec_lo, s12
; %bb.1790:                             ;   in Loop: Header=BB413_1192 Depth=1
	v_bfe_u32 v4, v6, 16, 1
	s_delay_alu instid0(VALU_DEP_1)
	v_add3_u32 v165, v6, v4, 0x7fff
                                        ; implicit-def: $vgpr6
; %bb.1791:                             ;   in Loop: Header=BB413_1192 Depth=1
	s_and_not1_saveexec_b32 s12, s0
; %bb.1792:                             ;   in Loop: Header=BB413_1192 Depth=1
	v_and_b32_e32 v4, 0xffff, v6
	v_or_b32_e32 v5, 0x10000, v6
	s_delay_alu instid0(VALU_DEP_2) | instskip(NEXT) | instid1(VALU_DEP_1)
	v_cmp_eq_u32_e64 s0, 0, v4
	v_cndmask_b32_e64 v165, v5, v6, s0
; %bb.1793:                             ;   in Loop: Header=BB413_1192 Depth=1
	s_or_b32 exec_lo, exec_lo, s12
	v_dual_mov_b32 v6, 0 :: v_dual_and_b32 v7, 0xff, v3
	v_mov_b32_e32 v9, v3
	s_mov_b32 s12, exec_lo
	s_delay_alu instid0(VALU_DEP_2)
	v_cmpx_ne_u16_e32 0, v7
	s_cbranch_execz .LBB413_1801
; %bb.1794:                             ;   in Loop: Header=BB413_1192 Depth=1
	v_bfrev_b32_e32 v6, 1
	s_mov_b32 s13, exec_lo
	v_cmpx_ne_u16_e32 0x80, v7
	s_cbranch_execz .LBB413_1800
; %bb.1795:                             ;   in Loop: Header=BB413_1192 Depth=1
	v_and_b32_e32 v7, 0x7f, v3
	v_mov_b32_e32 v6, 0x7f800001
	s_mov_b32 s15, exec_lo
	s_delay_alu instid0(VALU_DEP_2)
	v_cmpx_ne_u32_e32 0x7f, v7
	s_cbranch_execz .LBB413_1799
; %bb.1796:                             ;   in Loop: Header=BB413_1192 Depth=1
	v_lshrrev_b32_e32 v166, 3, v7
	v_cmp_gt_u32_e64 s0, 8, v7
	v_dual_mov_b32 v6, v9 :: v_dual_mov_b32 v7, v10
	s_delay_alu instid0(VALU_DEP_2)
	s_and_saveexec_b32 s17, s0
; %bb.1797:                             ;   in Loop: Header=BB413_1192 Depth=1
	v_and_b32_e32 v4, 7, v3
	s_delay_alu instid0(VALU_DEP_1) | instskip(NEXT) | instid1(VALU_DEP_1)
	v_clz_i32_u32_e32 v4, v4
	v_min_u32_e32 v4, 32, v4
	s_delay_alu instid0(VALU_DEP_1) | instskip(SKIP_1) | instid1(VALU_DEP_2)
	v_subrev_nc_u32_e32 v5, 28, v4
	v_sub_nc_u32_e32 v166, 29, v4
	v_lshlrev_b64 v[6:7], v5, v[9:10]
; %bb.1798:                             ;   in Loop: Header=BB413_1192 Depth=1
	s_or_b32 exec_lo, exec_lo, s17
	s_delay_alu instid0(VALU_DEP_1) | instskip(SKIP_2) | instid1(VALU_DEP_3)
	v_lshlrev_b32_e32 v4, 20, v6
	v_lshlrev_b32_e32 v5, 24, v9
	v_lshl_add_u32 v6, v166, 23, 0x3c000000
	v_and_b32_e32 v4, 0x700000, v4
	s_delay_alu instid0(VALU_DEP_3) | instskip(NEXT) | instid1(VALU_DEP_1)
	v_and_b32_e32 v5, 0x80000000, v5
	v_or3_b32 v6, v4, v5, v6
.LBB413_1799:                           ;   in Loop: Header=BB413_1192 Depth=1
	s_or_b32 exec_lo, exec_lo, s15
.LBB413_1800:                           ;   in Loop: Header=BB413_1192 Depth=1
	s_delay_alu instid0(SALU_CYCLE_1)
	s_or_b32 exec_lo, exec_lo, s13
.LBB413_1801:                           ;   in Loop: Header=BB413_1192 Depth=1
	s_delay_alu instid0(SALU_CYCLE_1) | instskip(NEXT) | instid1(VALU_DEP_1)
	s_or_b32 exec_lo, exec_lo, s12
	v_mul_f32_e32 v6, v8, v6
                                        ; implicit-def: $vgpr166
	s_delay_alu instid0(VALU_DEP_1) | instskip(NEXT) | instid1(VALU_DEP_1)
	v_and_b32_e32 v4, 0x7f800000, v6
	v_cmp_ne_u32_e64 s0, 0x7f800000, v4
	s_delay_alu instid0(VALU_DEP_1) | instskip(NEXT) | instid1(SALU_CYCLE_1)
	s_and_saveexec_b32 s12, s0
	s_xor_b32 s0, exec_lo, s12
; %bb.1802:                             ;   in Loop: Header=BB413_1192 Depth=1
	v_bfe_u32 v4, v6, 16, 1
	s_delay_alu instid0(VALU_DEP_1)
	v_add3_u32 v166, v6, v4, 0x7fff
                                        ; implicit-def: $vgpr6
; %bb.1803:                             ;   in Loop: Header=BB413_1192 Depth=1
	s_and_not1_saveexec_b32 s12, s0
; %bb.1804:                             ;   in Loop: Header=BB413_1192 Depth=1
	v_and_b32_e32 v4, 0xffff, v6
	v_or_b32_e32 v5, 0x10000, v6
	s_delay_alu instid0(VALU_DEP_2) | instskip(NEXT) | instid1(VALU_DEP_1)
	v_cmp_eq_u32_e64 s0, 0, v4
	v_cndmask_b32_e64 v166, v5, v6, s0
; %bb.1805:                             ;   in Loop: Header=BB413_1192 Depth=1
	s_or_b32 exec_lo, exec_lo, s12
	v_lshrrev_b16 v7, 8, v9
	v_mov_b32_e32 v6, 0
	s_mov_b32 s12, exec_lo
	s_delay_alu instid0(VALU_DEP_2)
	v_cmpx_ne_u16_e32 0, v7
	s_cbranch_execz .LBB413_1813
; %bb.1806:                             ;   in Loop: Header=BB413_1192 Depth=1
	v_bfrev_b32_e32 v6, 1
	s_mov_b32 s13, exec_lo
	v_cmpx_ne_u16_e32 0x80, v7
	s_cbranch_execz .LBB413_1812
; %bb.1807:                             ;   in Loop: Header=BB413_1192 Depth=1
	v_and_b32_e32 v7, 0xffff, v7
	v_mov_b32_e32 v6, 0x7f800001
	s_mov_b32 s15, exec_lo
	s_delay_alu instid0(VALU_DEP_2) | instskip(NEXT) | instid1(VALU_DEP_1)
	v_and_b32_e32 v176, 0x7f, v7
	v_cmpx_ne_u32_e32 0x7f, v176
	s_cbranch_execz .LBB413_1811
; %bb.1808:                             ;   in Loop: Header=BB413_1192 Depth=1
	v_dual_mov_b32 v7, v10 :: v_dual_and_b32 v6, 7, v7
	v_lshrrev_b32_e32 v167, 3, v176
	s_mov_b32 s17, exec_lo
	v_cmpx_gt_u32_e32 8, v176
; %bb.1809:                             ;   in Loop: Header=BB413_1192 Depth=1
	s_delay_alu instid0(VALU_DEP_3) | instskip(NEXT) | instid1(VALU_DEP_1)
	v_clz_i32_u32_e32 v4, v6
	v_min_u32_e32 v4, 32, v4
	s_delay_alu instid0(VALU_DEP_1) | instskip(SKIP_1) | instid1(VALU_DEP_2)
	v_subrev_nc_u32_e32 v5, 28, v4
	v_sub_nc_u32_e32 v167, 29, v4
	v_lshlrev_b64 v[6:7], v5, v[6:7]
	s_delay_alu instid0(VALU_DEP_1)
	v_and_b32_e32 v6, 7, v6
; %bb.1810:                             ;   in Loop: Header=BB413_1192 Depth=1
	s_or_b32 exec_lo, exec_lo, s17
	v_lshlrev_b32_e32 v4, 16, v9
	s_delay_alu instid0(VALU_DEP_2) | instskip(SKIP_1) | instid1(VALU_DEP_3)
	v_lshlrev_b32_e32 v5, 20, v6
	v_lshl_add_u32 v6, v167, 23, 0x3c000000
	v_and_b32_e32 v4, 0x80000000, v4
	s_delay_alu instid0(VALU_DEP_1)
	v_or3_b32 v6, v5, v4, v6
.LBB413_1811:                           ;   in Loop: Header=BB413_1192 Depth=1
	s_or_b32 exec_lo, exec_lo, s15
.LBB413_1812:                           ;   in Loop: Header=BB413_1192 Depth=1
	s_delay_alu instid0(SALU_CYCLE_1)
	s_or_b32 exec_lo, exec_lo, s13
.LBB413_1813:                           ;   in Loop: Header=BB413_1192 Depth=1
	s_delay_alu instid0(SALU_CYCLE_1) | instskip(NEXT) | instid1(VALU_DEP_1)
	s_or_b32 exec_lo, exec_lo, s12
	v_mul_f32_e32 v6, v8, v6
                                        ; implicit-def: $vgpr167
	s_delay_alu instid0(VALU_DEP_1) | instskip(NEXT) | instid1(VALU_DEP_1)
	v_and_b32_e32 v4, 0x7f800000, v6
	v_cmp_ne_u32_e64 s0, 0x7f800000, v4
	s_delay_alu instid0(VALU_DEP_1) | instskip(NEXT) | instid1(SALU_CYCLE_1)
	s_and_saveexec_b32 s12, s0
	s_xor_b32 s0, exec_lo, s12
; %bb.1814:                             ;   in Loop: Header=BB413_1192 Depth=1
	v_bfe_u32 v4, v6, 16, 1
	s_delay_alu instid0(VALU_DEP_1)
	v_add3_u32 v167, v6, v4, 0x7fff
                                        ; implicit-def: $vgpr6
; %bb.1815:                             ;   in Loop: Header=BB413_1192 Depth=1
	s_and_not1_saveexec_b32 s12, s0
; %bb.1816:                             ;   in Loop: Header=BB413_1192 Depth=1
	v_and_b32_e32 v4, 0xffff, v6
	v_or_b32_e32 v5, 0x10000, v6
	s_delay_alu instid0(VALU_DEP_2) | instskip(NEXT) | instid1(VALU_DEP_1)
	v_cmp_eq_u32_e64 s0, 0, v4
	v_cndmask_b32_e64 v167, v5, v6, s0
; %bb.1817:                             ;   in Loop: Header=BB413_1192 Depth=1
	s_or_b32 exec_lo, exec_lo, s12
	v_lshrrev_b32_e32 v176, 16, v3
	s_mov_b32 s12, exec_lo
	s_delay_alu instid0(VALU_DEP_1) | instskip(NEXT) | instid1(VALU_DEP_1)
	v_dual_mov_b32 v6, 0 :: v_dual_and_b32 v7, 0xff, v176
	v_cmpx_ne_u16_e32 0, v7
	s_cbranch_execz .LBB413_1825
; %bb.1818:                             ;   in Loop: Header=BB413_1192 Depth=1
	v_bfrev_b32_e32 v6, 1
	s_mov_b32 s13, exec_lo
	v_cmpx_ne_u16_e32 0x80, v7
	s_cbranch_execz .LBB413_1824
; %bb.1819:                             ;   in Loop: Header=BB413_1192 Depth=1
	v_bfe_u32 v7, v3, 16, 7
	v_mov_b32_e32 v6, 0x7f800001
	s_mov_b32 s15, exec_lo
	s_delay_alu instid0(VALU_DEP_2)
	v_cmpx_ne_u32_e32 0x7f, v7
	s_cbranch_execz .LBB413_1823
; %bb.1820:                             ;   in Loop: Header=BB413_1192 Depth=1
	v_and_b32_e32 v9, 7, v176
	v_lshrrev_b32_e32 v177, 3, v7
	v_cmp_gt_u32_e64 s0, 8, v7
	s_delay_alu instid0(VALU_DEP_3) | instskip(NEXT) | instid1(VALU_DEP_2)
	v_dual_mov_b32 v6, v9 :: v_dual_mov_b32 v7, v10
	s_and_saveexec_b32 s17, s0
; %bb.1821:                             ;   in Loop: Header=BB413_1192 Depth=1
	v_clz_i32_u32_e32 v4, v9
	s_delay_alu instid0(VALU_DEP_1) | instskip(NEXT) | instid1(VALU_DEP_1)
	v_min_u32_e32 v4, 32, v4
	v_subrev_nc_u32_e32 v5, 28, v4
	v_sub_nc_u32_e32 v177, 29, v4
	s_delay_alu instid0(VALU_DEP_2) | instskip(NEXT) | instid1(VALU_DEP_1)
	v_lshlrev_b64 v[6:7], v5, v[9:10]
	v_and_b32_e32 v6, 7, v6
; %bb.1822:                             ;   in Loop: Header=BB413_1192 Depth=1
	s_or_b32 exec_lo, exec_lo, s17
	v_lshlrev_b32_e32 v4, 24, v176
	s_delay_alu instid0(VALU_DEP_2) | instskip(SKIP_1) | instid1(VALU_DEP_3)
	v_lshlrev_b32_e32 v5, 20, v6
	v_lshl_add_u32 v6, v177, 23, 0x3c000000
	v_and_b32_e32 v4, 0x80000000, v4
	s_delay_alu instid0(VALU_DEP_1)
	v_or3_b32 v6, v5, v4, v6
.LBB413_1823:                           ;   in Loop: Header=BB413_1192 Depth=1
	s_or_b32 exec_lo, exec_lo, s15
.LBB413_1824:                           ;   in Loop: Header=BB413_1192 Depth=1
	s_delay_alu instid0(SALU_CYCLE_1)
	s_or_b32 exec_lo, exec_lo, s13
.LBB413_1825:                           ;   in Loop: Header=BB413_1192 Depth=1
	s_delay_alu instid0(SALU_CYCLE_1) | instskip(NEXT) | instid1(VALU_DEP_1)
	s_or_b32 exec_lo, exec_lo, s12
	v_mul_f32_e32 v6, v8, v6
                                        ; implicit-def: $vgpr176
	s_delay_alu instid0(VALU_DEP_1) | instskip(NEXT) | instid1(VALU_DEP_1)
	v_and_b32_e32 v4, 0x7f800000, v6
	v_cmp_ne_u32_e64 s0, 0x7f800000, v4
	s_delay_alu instid0(VALU_DEP_1) | instskip(NEXT) | instid1(SALU_CYCLE_1)
	s_and_saveexec_b32 s12, s0
	s_xor_b32 s0, exec_lo, s12
; %bb.1826:                             ;   in Loop: Header=BB413_1192 Depth=1
	v_bfe_u32 v4, v6, 16, 1
	s_delay_alu instid0(VALU_DEP_1)
	v_add3_u32 v176, v6, v4, 0x7fff
                                        ; implicit-def: $vgpr6
; %bb.1827:                             ;   in Loop: Header=BB413_1192 Depth=1
	s_and_not1_saveexec_b32 s12, s0
; %bb.1828:                             ;   in Loop: Header=BB413_1192 Depth=1
	v_and_b32_e32 v4, 0xffff, v6
	v_or_b32_e32 v5, 0x10000, v6
	s_delay_alu instid0(VALU_DEP_2) | instskip(NEXT) | instid1(VALU_DEP_1)
	v_cmp_eq_u32_e64 s0, 0, v4
	v_cndmask_b32_e64 v176, v5, v6, s0
; %bb.1829:                             ;   in Loop: Header=BB413_1192 Depth=1
	s_or_b32 exec_lo, exec_lo, s12
	v_cmp_lt_u64_e64 s0, s[8:9], v[2:3]
	v_mov_b32_e32 v2, 0
	s_delay_alu instid0(VALU_DEP_2)
	s_and_saveexec_b32 s12, s0
	s_cbranch_execz .LBB413_1837
; %bb.1830:                             ;   in Loop: Header=BB413_1192 Depth=1
	v_lshrrev_b32_e32 v6, 24, v3
	v_bfrev_b32_e32 v2, 1
	s_mov_b32 s13, exec_lo
	s_delay_alu instid0(VALU_DEP_2)
	v_cmpx_ne_u32_e32 0x80, v6
	s_cbranch_execz .LBB413_1836
; %bb.1831:                             ;   in Loop: Header=BB413_1192 Depth=1
	v_bfe_u32 v3, v3, 24, 7
	v_mov_b32_e32 v2, 0x7f800001
	s_mov_b32 s15, exec_lo
	s_delay_alu instid0(VALU_DEP_2)
	v_cmpx_ne_u32_e32 0x7f, v3
	s_cbranch_execz .LBB413_1835
; %bb.1832:                             ;   in Loop: Header=BB413_1192 Depth=1
	v_and_b32_e32 v9, 7, v6
	v_lshrrev_b32_e32 v7, 3, v3
	v_cmp_gt_u32_e64 s0, 8, v3
	s_delay_alu instid0(VALU_DEP_3) | instskip(NEXT) | instid1(VALU_DEP_2)
	v_dual_mov_b32 v2, v9 :: v_dual_mov_b32 v3, v10
	s_and_saveexec_b32 s17, s0
; %bb.1833:                             ;   in Loop: Header=BB413_1192 Depth=1
	v_clz_i32_u32_e32 v2, v9
	s_delay_alu instid0(VALU_DEP_1) | instskip(NEXT) | instid1(VALU_DEP_1)
	v_min_u32_e32 v4, 32, v2
	v_subrev_nc_u32_e32 v2, 28, v4
	v_sub_nc_u32_e32 v7, 29, v4
	s_delay_alu instid0(VALU_DEP_2) | instskip(NEXT) | instid1(VALU_DEP_1)
	v_lshlrev_b64 v[2:3], v2, v[9:10]
	v_and_b32_e32 v2, 7, v2
; %bb.1834:                             ;   in Loop: Header=BB413_1192 Depth=1
	s_or_b32 exec_lo, exec_lo, s17
	v_lshlrev_b32_e32 v3, 24, v6
	s_delay_alu instid0(VALU_DEP_2) | instskip(SKIP_1) | instid1(VALU_DEP_3)
	v_lshlrev_b32_e32 v2, 20, v2
	v_lshl_add_u32 v4, v7, 23, 0x3c000000
	v_and_b32_e32 v3, 0x80000000, v3
	s_delay_alu instid0(VALU_DEP_1)
	v_or3_b32 v2, v2, v3, v4
.LBB413_1835:                           ;   in Loop: Header=BB413_1192 Depth=1
	s_or_b32 exec_lo, exec_lo, s15
.LBB413_1836:                           ;   in Loop: Header=BB413_1192 Depth=1
	s_delay_alu instid0(SALU_CYCLE_1)
	s_or_b32 exec_lo, exec_lo, s13
.LBB413_1837:                           ;   in Loop: Header=BB413_1192 Depth=1
	s_delay_alu instid0(SALU_CYCLE_1) | instskip(NEXT) | instid1(VALU_DEP_1)
	s_or_b32 exec_lo, exec_lo, s12
	v_mul_f32_e32 v3, v8, v2
	s_delay_alu instid0(VALU_DEP_1) | instskip(NEXT) | instid1(VALU_DEP_1)
	v_and_b32_e32 v2, 0x7f800000, v3
	v_cmp_ne_u32_e64 s0, 0x7f800000, v2
                                        ; implicit-def: $vgpr2
	s_delay_alu instid0(VALU_DEP_1) | instskip(NEXT) | instid1(SALU_CYCLE_1)
	s_and_saveexec_b32 s12, s0
	s_xor_b32 s0, exec_lo, s12
; %bb.1838:                             ;   in Loop: Header=BB413_1192 Depth=1
	v_bfe_u32 v2, v3, 16, 1
	s_delay_alu instid0(VALU_DEP_1)
	v_add3_u32 v2, v3, v2, 0x7fff
                                        ; implicit-def: $vgpr3
; %bb.1839:                             ;   in Loop: Header=BB413_1192 Depth=1
	s_and_not1_saveexec_b32 s12, s0
; %bb.1840:                             ;   in Loop: Header=BB413_1192 Depth=1
	v_and_b32_e32 v2, 0xffff, v3
	v_or_b32_e32 v4, 0x10000, v3
	s_delay_alu instid0(VALU_DEP_2) | instskip(NEXT) | instid1(VALU_DEP_1)
	v_cmp_eq_u32_e64 s0, 0, v2
	v_cndmask_b32_e64 v2, v4, v3, s0
; %bb.1841:                             ;   in Loop: Header=BB413_1192 Depth=1
	s_or_b32 exec_lo, exec_lo, s12
	v_lshrrev_b32_e32 v6, 16, v167
	v_lshrrev_b32_e32 v7, 16, v166
	;; [unrolled: 1-line block ×8, first 2 shown]
	s_and_saveexec_b32 s12, vcc_lo
	s_cbranch_execz .LBB413_1843
; %bb.1842:                             ;   in Loop: Header=BB413_1192 Depth=1
	v_cmp_lt_i32_e64 s0, v66, v85
	s_delay_alu instid0(VALU_DEP_1) | instskip(SKIP_1) | instid1(VALU_DEP_1)
	v_cndmask_b32_e64 v162, 0, v162, s0
	v_cmp_lt_i32_e64 s0, v81, v85
	v_cndmask_b32_e64 v163, 0, v163, s0
	v_cmp_lt_i32_e64 s0, v80, v85
	s_delay_alu instid0(VALU_DEP_1) | instskip(SKIP_1) | instid1(VALU_DEP_1)
	v_cndmask_b32_e64 v164, 0, v164, s0
	v_cmp_lt_i32_e64 s0, v71, v85
	v_cndmask_b32_e64 v9, 0, v9, s0
	;; [unrolled: 5-line block ×4, first 2 shown]
.LBB413_1843:                           ;   in Loop: Header=BB413_1192 Depth=1
	s_or_b32 exec_lo, exec_lo, s12
	v_lshlrev_b32_e32 v4, 16, v162
                                        ; implicit-def: $vgpr162
	s_delay_alu instid0(VALU_DEP_1) | instskip(NEXT) | instid1(VALU_DEP_1)
	v_mul_f32_e32 v165, v82, v4
	v_and_b32_e32 v4, 0x7f800000, v165
	s_delay_alu instid0(VALU_DEP_1) | instskip(NEXT) | instid1(VALU_DEP_1)
	v_cmp_ne_u32_e64 s0, 0x7f800000, v4
	s_and_saveexec_b32 s12, s0
	s_delay_alu instid0(SALU_CYCLE_1)
	s_xor_b32 s0, exec_lo, s12
; %bb.1844:                             ;   in Loop: Header=BB413_1192 Depth=1
	v_bfe_u32 v4, v165, 16, 1
	s_delay_alu instid0(VALU_DEP_1)
	v_add3_u32 v162, v165, v4, 0x7fff
                                        ; implicit-def: $vgpr165
; %bb.1845:                             ;   in Loop: Header=BB413_1192 Depth=1
	s_and_not1_saveexec_b32 s12, s0
; %bb.1846:                             ;   in Loop: Header=BB413_1192 Depth=1
	v_and_b32_e32 v4, 0xffff, v165
	v_or_b32_e32 v5, 0x10000, v165
	s_delay_alu instid0(VALU_DEP_2) | instskip(NEXT) | instid1(VALU_DEP_1)
	v_cmp_eq_u32_e64 s0, 0, v4
	v_cndmask_b32_e64 v162, v5, v165, s0
; %bb.1847:                             ;   in Loop: Header=BB413_1192 Depth=1
	s_or_b32 exec_lo, exec_lo, s12
	v_lshlrev_b32_e32 v4, 16, v163
                                        ; implicit-def: $vgpr163
	s_delay_alu instid0(VALU_DEP_1) | instskip(NEXT) | instid1(VALU_DEP_1)
	v_mul_f32_e32 v165, v83, v4
	v_and_b32_e32 v4, 0x7f800000, v165
	s_delay_alu instid0(VALU_DEP_1) | instskip(NEXT) | instid1(VALU_DEP_1)
	v_cmp_ne_u32_e64 s0, 0x7f800000, v4
	s_and_saveexec_b32 s12, s0
	s_delay_alu instid0(SALU_CYCLE_1)
	s_xor_b32 s0, exec_lo, s12
; %bb.1848:                             ;   in Loop: Header=BB413_1192 Depth=1
	v_bfe_u32 v4, v165, 16, 1
	s_delay_alu instid0(VALU_DEP_1)
	v_add3_u32 v163, v165, v4, 0x7fff
                                        ; implicit-def: $vgpr165
; %bb.1849:                             ;   in Loop: Header=BB413_1192 Depth=1
	s_and_not1_saveexec_b32 s12, s0
; %bb.1850:                             ;   in Loop: Header=BB413_1192 Depth=1
	v_and_b32_e32 v4, 0xffff, v165
	v_or_b32_e32 v5, 0x10000, v165
	s_delay_alu instid0(VALU_DEP_2) | instskip(NEXT) | instid1(VALU_DEP_1)
	v_cmp_eq_u32_e64 s0, 0, v4
	v_cndmask_b32_e64 v163, v5, v165, s0
; %bb.1851:                             ;   in Loop: Header=BB413_1192 Depth=1
	s_or_b32 exec_lo, exec_lo, s12
	v_lshlrev_b32_e32 v4, 16, v164
                                        ; implicit-def: $vgpr164
	s_delay_alu instid0(VALU_DEP_1) | instskip(NEXT) | instid1(VALU_DEP_1)
	v_mul_f32_e32 v165, v100, v4
	v_and_b32_e32 v4, 0x7f800000, v165
	s_delay_alu instid0(VALU_DEP_1) | instskip(NEXT) | instid1(VALU_DEP_1)
	v_cmp_ne_u32_e64 s0, 0x7f800000, v4
	s_and_saveexec_b32 s12, s0
	s_delay_alu instid0(SALU_CYCLE_1)
	s_xor_b32 s0, exec_lo, s12
; %bb.1852:                             ;   in Loop: Header=BB413_1192 Depth=1
	v_bfe_u32 v4, v165, 16, 1
	s_delay_alu instid0(VALU_DEP_1)
	v_add3_u32 v164, v165, v4, 0x7fff
                                        ; implicit-def: $vgpr165
; %bb.1853:                             ;   in Loop: Header=BB413_1192 Depth=1
	s_and_not1_saveexec_b32 s12, s0
; %bb.1854:                             ;   in Loop: Header=BB413_1192 Depth=1
	v_and_b32_e32 v4, 0xffff, v165
	v_or_b32_e32 v5, 0x10000, v165
	s_delay_alu instid0(VALU_DEP_2) | instskip(NEXT) | instid1(VALU_DEP_1)
	v_cmp_eq_u32_e64 s0, 0, v4
	v_cndmask_b32_e64 v164, v5, v165, s0
; %bb.1855:                             ;   in Loop: Header=BB413_1192 Depth=1
	s_or_b32 exec_lo, exec_lo, s12
	v_lshlrev_b32_e32 v4, 16, v9
                                        ; implicit-def: $vgpr165
	s_delay_alu instid0(VALU_DEP_1) | instskip(NEXT) | instid1(VALU_DEP_1)
	v_mul_f32_e32 v9, v101, v4
	v_and_b32_e32 v4, 0x7f800000, v9
	s_delay_alu instid0(VALU_DEP_1) | instskip(NEXT) | instid1(VALU_DEP_1)
	v_cmp_ne_u32_e64 s0, 0x7f800000, v4
	s_and_saveexec_b32 s12, s0
	s_delay_alu instid0(SALU_CYCLE_1)
	s_xor_b32 s0, exec_lo, s12
; %bb.1856:                             ;   in Loop: Header=BB413_1192 Depth=1
	v_bfe_u32 v4, v9, 16, 1
	s_delay_alu instid0(VALU_DEP_1)
	v_add3_u32 v165, v9, v4, 0x7fff
                                        ; implicit-def: $vgpr9
; %bb.1857:                             ;   in Loop: Header=BB413_1192 Depth=1
	s_and_not1_saveexec_b32 s12, s0
; %bb.1858:                             ;   in Loop: Header=BB413_1192 Depth=1
	v_and_b32_e32 v4, 0xffff, v9
	v_or_b32_e32 v5, 0x10000, v9
	s_delay_alu instid0(VALU_DEP_2) | instskip(NEXT) | instid1(VALU_DEP_1)
	v_cmp_eq_u32_e64 s0, 0, v4
	v_cndmask_b32_e64 v165, v5, v9, s0
; %bb.1859:                             ;   in Loop: Header=BB413_1192 Depth=1
	s_or_b32 exec_lo, exec_lo, s12
	v_lshlrev_b32_e32 v4, 16, v7
                                        ; implicit-def: $vgpr166
	s_delay_alu instid0(VALU_DEP_1) | instskip(NEXT) | instid1(VALU_DEP_1)
	v_mul_f32_e32 v7, v102, v4
	v_and_b32_e32 v4, 0x7f800000, v7
	s_delay_alu instid0(VALU_DEP_1) | instskip(NEXT) | instid1(VALU_DEP_1)
	v_cmp_ne_u32_e64 s0, 0x7f800000, v4
	s_and_saveexec_b32 s12, s0
	s_delay_alu instid0(SALU_CYCLE_1)
	s_xor_b32 s0, exec_lo, s12
; %bb.1860:                             ;   in Loop: Header=BB413_1192 Depth=1
	v_bfe_u32 v4, v7, 16, 1
	s_delay_alu instid0(VALU_DEP_1)
	v_add3_u32 v166, v7, v4, 0x7fff
                                        ; implicit-def: $vgpr7
; %bb.1861:                             ;   in Loop: Header=BB413_1192 Depth=1
	s_and_not1_saveexec_b32 s12, s0
; %bb.1862:                             ;   in Loop: Header=BB413_1192 Depth=1
	v_and_b32_e32 v4, 0xffff, v7
	v_or_b32_e32 v5, 0x10000, v7
	s_delay_alu instid0(VALU_DEP_2) | instskip(NEXT) | instid1(VALU_DEP_1)
	v_cmp_eq_u32_e64 s0, 0, v4
	v_cndmask_b32_e64 v166, v5, v7, s0
; %bb.1863:                             ;   in Loop: Header=BB413_1192 Depth=1
	s_or_b32 exec_lo, exec_lo, s12
	v_lshlrev_b32_e32 v4, 16, v6
                                        ; implicit-def: $vgpr167
	s_delay_alu instid0(VALU_DEP_1) | instskip(NEXT) | instid1(VALU_DEP_1)
	v_mul_f32_e32 v6, v103, v4
	v_and_b32_e32 v4, 0x7f800000, v6
	s_delay_alu instid0(VALU_DEP_1) | instskip(NEXT) | instid1(VALU_DEP_1)
	v_cmp_ne_u32_e64 s0, 0x7f800000, v4
	s_and_saveexec_b32 s12, s0
	s_delay_alu instid0(SALU_CYCLE_1)
	s_xor_b32 s0, exec_lo, s12
; %bb.1864:                             ;   in Loop: Header=BB413_1192 Depth=1
	v_bfe_u32 v4, v6, 16, 1
	s_delay_alu instid0(VALU_DEP_1)
	v_add3_u32 v167, v6, v4, 0x7fff
                                        ; implicit-def: $vgpr6
; %bb.1865:                             ;   in Loop: Header=BB413_1192 Depth=1
	s_and_not1_saveexec_b32 s12, s0
; %bb.1866:                             ;   in Loop: Header=BB413_1192 Depth=1
	v_and_b32_e32 v4, 0xffff, v6
	v_or_b32_e32 v5, 0x10000, v6
	s_delay_alu instid0(VALU_DEP_2) | instskip(NEXT) | instid1(VALU_DEP_1)
	v_cmp_eq_u32_e64 s0, 0, v4
	v_cndmask_b32_e64 v167, v5, v6, s0
; %bb.1867:                             ;   in Loop: Header=BB413_1192 Depth=1
	s_or_b32 exec_lo, exec_lo, s12
	v_lshlrev_b32_e32 v3, 16, v3
                                        ; implicit-def: $vgpr176
	s_delay_alu instid0(VALU_DEP_1) | instskip(NEXT) | instid1(VALU_DEP_1)
	v_mul_f32_e32 v3, v112, v3
	v_and_b32_e32 v4, 0x7f800000, v3
	s_delay_alu instid0(VALU_DEP_1) | instskip(NEXT) | instid1(VALU_DEP_1)
	v_cmp_ne_u32_e64 s0, 0x7f800000, v4
	s_and_saveexec_b32 s12, s0
	s_delay_alu instid0(SALU_CYCLE_1)
	s_xor_b32 s0, exec_lo, s12
; %bb.1868:                             ;   in Loop: Header=BB413_1192 Depth=1
	v_bfe_u32 v4, v3, 16, 1
	s_delay_alu instid0(VALU_DEP_1)
	v_add3_u32 v176, v3, v4, 0x7fff
                                        ; implicit-def: $vgpr3
; %bb.1869:                             ;   in Loop: Header=BB413_1192 Depth=1
	s_and_not1_saveexec_b32 s12, s0
; %bb.1870:                             ;   in Loop: Header=BB413_1192 Depth=1
	v_and_b32_e32 v4, 0xffff, v3
	v_or_b32_e32 v5, 0x10000, v3
	s_delay_alu instid0(VALU_DEP_2) | instskip(NEXT) | instid1(VALU_DEP_1)
	v_cmp_eq_u32_e64 s0, 0, v4
	v_cndmask_b32_e64 v176, v5, v3, s0
; %bb.1871:                             ;   in Loop: Header=BB413_1192 Depth=1
	s_or_b32 exec_lo, exec_lo, s12
	v_lshlrev_b32_e32 v2, 16, v2
                                        ; implicit-def: $vgpr177
	s_delay_alu instid0(VALU_DEP_1) | instskip(NEXT) | instid1(VALU_DEP_1)
	v_mul_f32_e32 v2, v113, v2
	v_and_b32_e32 v3, 0x7f800000, v2
	s_delay_alu instid0(VALU_DEP_1) | instskip(NEXT) | instid1(VALU_DEP_1)
	v_cmp_ne_u32_e64 s0, 0x7f800000, v3
	s_and_saveexec_b32 s12, s0
	s_delay_alu instid0(SALU_CYCLE_1)
	s_xor_b32 s0, exec_lo, s12
; %bb.1872:                             ;   in Loop: Header=BB413_1192 Depth=1
	v_bfe_u32 v3, v2, 16, 1
	s_delay_alu instid0(VALU_DEP_1)
	v_add3_u32 v177, v2, v3, 0x7fff
                                        ; implicit-def: $vgpr2
; %bb.1873:                             ;   in Loop: Header=BB413_1192 Depth=1
	s_and_not1_saveexec_b32 s12, s0
; %bb.1874:                             ;   in Loop: Header=BB413_1192 Depth=1
	v_and_b32_e32 v3, 0xffff, v2
	v_or_b32_e32 v4, 0x10000, v2
	s_delay_alu instid0(VALU_DEP_2) | instskip(NEXT) | instid1(VALU_DEP_1)
	v_cmp_eq_u32_e64 s0, 0, v3
	v_cndmask_b32_e64 v177, v4, v2, s0
; %bb.1875:                             ;   in Loop: Header=BB413_1192 Depth=1
	s_or_b32 exec_lo, exec_lo, s12
	flat_load_b64 v[2:3], v[0:1] offset:1280
	s_mov_b32 s12, exec_lo
	s_waitcnt vmcnt(0) lgkmcnt(0)
	v_dual_mov_b32 v6, 0 :: v_dual_and_b32 v7, 0xff, v2
	s_delay_alu instid0(VALU_DEP_1)
	v_cmpx_ne_u16_e32 0, v7
	s_cbranch_execz .LBB413_1883
; %bb.1876:                             ;   in Loop: Header=BB413_1192 Depth=1
	v_bfrev_b32_e32 v6, 1
	s_mov_b32 s13, exec_lo
	v_cmpx_ne_u16_e32 0x80, v7
	s_cbranch_execz .LBB413_1882
; %bb.1877:                             ;   in Loop: Header=BB413_1192 Depth=1
	v_and_b32_e32 v7, 0x7f, v2
	v_mov_b32_e32 v6, 0x7f800001
	s_mov_b32 s15, exec_lo
	s_delay_alu instid0(VALU_DEP_2)
	v_cmpx_ne_u32_e32 0x7f, v7
	s_cbranch_execz .LBB413_1881
; %bb.1878:                             ;   in Loop: Header=BB413_1192 Depth=1
	v_lshrrev_b32_e32 v9, 3, v7
	v_cmp_gt_u32_e64 s0, 8, v7
	v_dual_mov_b32 v7, v3 :: v_dual_mov_b32 v6, v2
	s_delay_alu instid0(VALU_DEP_2)
	s_and_saveexec_b32 s17, s0
; %bb.1879:                             ;   in Loop: Header=BB413_1192 Depth=1
	v_and_b32_e32 v4, 7, v2
	s_delay_alu instid0(VALU_DEP_1) | instskip(NEXT) | instid1(VALU_DEP_1)
	v_clz_i32_u32_e32 v4, v4
	v_min_u32_e32 v4, 32, v4
	s_delay_alu instid0(VALU_DEP_1) | instskip(SKIP_1) | instid1(VALU_DEP_2)
	v_subrev_nc_u32_e32 v5, 28, v4
	v_sub_nc_u32_e32 v9, 29, v4
	v_lshlrev_b64 v[6:7], v5, v[2:3]
; %bb.1880:                             ;   in Loop: Header=BB413_1192 Depth=1
	s_or_b32 exec_lo, exec_lo, s17
	s_delay_alu instid0(VALU_DEP_1) | instskip(SKIP_2) | instid1(VALU_DEP_3)
	v_lshlrev_b32_e32 v4, 20, v6
	v_lshlrev_b32_e32 v5, 24, v2
	v_lshl_add_u32 v6, v9, 23, 0x3c000000
	v_and_b32_e32 v4, 0x700000, v4
	s_delay_alu instid0(VALU_DEP_3) | instskip(NEXT) | instid1(VALU_DEP_1)
	v_and_b32_e32 v5, 0x80000000, v5
	v_or3_b32 v6, v4, v5, v6
.LBB413_1881:                           ;   in Loop: Header=BB413_1192 Depth=1
	s_or_b32 exec_lo, exec_lo, s15
.LBB413_1882:                           ;   in Loop: Header=BB413_1192 Depth=1
	s_delay_alu instid0(SALU_CYCLE_1)
	s_or_b32 exec_lo, exec_lo, s13
.LBB413_1883:                           ;   in Loop: Header=BB413_1192 Depth=1
	s_delay_alu instid0(SALU_CYCLE_1) | instskip(NEXT) | instid1(VALU_DEP_1)
	s_or_b32 exec_lo, exec_lo, s12
	v_mul_f32_e32 v6, v8, v6
                                        ; implicit-def: $vgpr178
	s_delay_alu instid0(VALU_DEP_1) | instskip(NEXT) | instid1(VALU_DEP_1)
	v_and_b32_e32 v4, 0x7f800000, v6
	v_cmp_ne_u32_e64 s0, 0x7f800000, v4
	s_delay_alu instid0(VALU_DEP_1) | instskip(NEXT) | instid1(SALU_CYCLE_1)
	s_and_saveexec_b32 s12, s0
	s_xor_b32 s0, exec_lo, s12
; %bb.1884:                             ;   in Loop: Header=BB413_1192 Depth=1
	v_bfe_u32 v4, v6, 16, 1
	s_delay_alu instid0(VALU_DEP_1)
	v_add3_u32 v178, v6, v4, 0x7fff
                                        ; implicit-def: $vgpr6
; %bb.1885:                             ;   in Loop: Header=BB413_1192 Depth=1
	s_and_not1_saveexec_b32 s12, s0
; %bb.1886:                             ;   in Loop: Header=BB413_1192 Depth=1
	v_and_b32_e32 v4, 0xffff, v6
	v_or_b32_e32 v5, 0x10000, v6
	s_delay_alu instid0(VALU_DEP_2) | instskip(NEXT) | instid1(VALU_DEP_1)
	v_cmp_eq_u32_e64 s0, 0, v4
	v_cndmask_b32_e64 v178, v5, v6, s0
; %bb.1887:                             ;   in Loop: Header=BB413_1192 Depth=1
	s_or_b32 exec_lo, exec_lo, s12
	v_lshrrev_b16 v7, 8, v2
	v_mov_b32_e32 v6, 0
	s_mov_b32 s12, exec_lo
	s_delay_alu instid0(VALU_DEP_2)
	v_cmpx_ne_u16_e32 0, v7
	s_cbranch_execz .LBB413_1895
; %bb.1888:                             ;   in Loop: Header=BB413_1192 Depth=1
	v_bfrev_b32_e32 v6, 1
	s_mov_b32 s13, exec_lo
	v_cmpx_ne_u16_e32 0x80, v7
	s_cbranch_execz .LBB413_1894
; %bb.1889:                             ;   in Loop: Header=BB413_1192 Depth=1
	v_and_b32_e32 v9, 0xffff, v7
	v_mov_b32_e32 v6, 0x7f800001
	s_mov_b32 s15, exec_lo
	s_delay_alu instid0(VALU_DEP_2) | instskip(NEXT) | instid1(VALU_DEP_1)
	v_and_b32_e32 v7, 0x7f, v9
	v_cmpx_ne_u32_e32 0x7f, v7
	s_cbranch_execz .LBB413_1893
; %bb.1890:                             ;   in Loop: Header=BB413_1192 Depth=1
	v_and_b32_e32 v9, 7, v9
	v_lshrrev_b32_e32 v179, 3, v7
	v_cmp_gt_u32_e64 s0, 8, v7
	s_delay_alu instid0(VALU_DEP_3) | instskip(NEXT) | instid1(VALU_DEP_2)
	v_dual_mov_b32 v6, v9 :: v_dual_mov_b32 v7, v10
	s_and_saveexec_b32 s17, s0
; %bb.1891:                             ;   in Loop: Header=BB413_1192 Depth=1
	v_clz_i32_u32_e32 v4, v9
	s_delay_alu instid0(VALU_DEP_1) | instskip(NEXT) | instid1(VALU_DEP_1)
	v_min_u32_e32 v4, 32, v4
	v_subrev_nc_u32_e32 v5, 28, v4
	v_sub_nc_u32_e32 v179, 29, v4
	s_delay_alu instid0(VALU_DEP_2) | instskip(NEXT) | instid1(VALU_DEP_1)
	v_lshlrev_b64 v[6:7], v5, v[9:10]
	v_and_b32_e32 v6, 7, v6
; %bb.1892:                             ;   in Loop: Header=BB413_1192 Depth=1
	s_or_b32 exec_lo, exec_lo, s17
	v_lshlrev_b32_e32 v4, 16, v2
	s_delay_alu instid0(VALU_DEP_2) | instskip(SKIP_1) | instid1(VALU_DEP_3)
	v_lshlrev_b32_e32 v5, 20, v6
	v_lshl_add_u32 v6, v179, 23, 0x3c000000
	v_and_b32_e32 v4, 0x80000000, v4
	s_delay_alu instid0(VALU_DEP_1)
	v_or3_b32 v6, v5, v4, v6
.LBB413_1893:                           ;   in Loop: Header=BB413_1192 Depth=1
	s_or_b32 exec_lo, exec_lo, s15
.LBB413_1894:                           ;   in Loop: Header=BB413_1192 Depth=1
	s_delay_alu instid0(SALU_CYCLE_1)
	s_or_b32 exec_lo, exec_lo, s13
.LBB413_1895:                           ;   in Loop: Header=BB413_1192 Depth=1
	s_delay_alu instid0(SALU_CYCLE_1) | instskip(NEXT) | instid1(VALU_DEP_1)
	s_or_b32 exec_lo, exec_lo, s12
	v_mul_f32_e32 v6, v8, v6
                                        ; implicit-def: $vgpr179
	s_delay_alu instid0(VALU_DEP_1) | instskip(NEXT) | instid1(VALU_DEP_1)
	v_and_b32_e32 v4, 0x7f800000, v6
	v_cmp_ne_u32_e64 s0, 0x7f800000, v4
	s_delay_alu instid0(VALU_DEP_1) | instskip(NEXT) | instid1(SALU_CYCLE_1)
	s_and_saveexec_b32 s12, s0
	s_xor_b32 s0, exec_lo, s12
; %bb.1896:                             ;   in Loop: Header=BB413_1192 Depth=1
	v_bfe_u32 v4, v6, 16, 1
	s_delay_alu instid0(VALU_DEP_1)
	v_add3_u32 v179, v6, v4, 0x7fff
                                        ; implicit-def: $vgpr6
; %bb.1897:                             ;   in Loop: Header=BB413_1192 Depth=1
	s_and_not1_saveexec_b32 s12, s0
; %bb.1898:                             ;   in Loop: Header=BB413_1192 Depth=1
	v_and_b32_e32 v4, 0xffff, v6
	v_or_b32_e32 v5, 0x10000, v6
	s_delay_alu instid0(VALU_DEP_2) | instskip(NEXT) | instid1(VALU_DEP_1)
	v_cmp_eq_u32_e64 s0, 0, v4
	v_cndmask_b32_e64 v179, v5, v6, s0
; %bb.1899:                             ;   in Loop: Header=BB413_1192 Depth=1
	s_or_b32 exec_lo, exec_lo, s12
	v_lshrrev_b32_e32 v180, 16, v2
	s_mov_b32 s12, exec_lo
	s_delay_alu instid0(VALU_DEP_1) | instskip(NEXT) | instid1(VALU_DEP_1)
	v_dual_mov_b32 v6, 0 :: v_dual_and_b32 v7, 0xff, v180
	v_cmpx_ne_u16_e32 0, v7
	s_cbranch_execz .LBB413_1907
; %bb.1900:                             ;   in Loop: Header=BB413_1192 Depth=1
	v_bfrev_b32_e32 v6, 1
	s_mov_b32 s13, exec_lo
	v_cmpx_ne_u16_e32 0x80, v7
	s_cbranch_execz .LBB413_1906
; %bb.1901:                             ;   in Loop: Header=BB413_1192 Depth=1
	v_bfe_u32 v7, v2, 16, 7
	v_mov_b32_e32 v6, 0x7f800001
	s_mov_b32 s15, exec_lo
	s_delay_alu instid0(VALU_DEP_2)
	v_cmpx_ne_u32_e32 0x7f, v7
	s_cbranch_execz .LBB413_1905
; %bb.1902:                             ;   in Loop: Header=BB413_1192 Depth=1
	v_and_b32_e32 v9, 7, v180
	v_lshrrev_b32_e32 v181, 3, v7
	v_cmp_gt_u32_e64 s0, 8, v7
	s_delay_alu instid0(VALU_DEP_3) | instskip(NEXT) | instid1(VALU_DEP_2)
	v_dual_mov_b32 v6, v9 :: v_dual_mov_b32 v7, v10
	s_and_saveexec_b32 s17, s0
; %bb.1903:                             ;   in Loop: Header=BB413_1192 Depth=1
	v_clz_i32_u32_e32 v4, v9
	s_delay_alu instid0(VALU_DEP_1) | instskip(NEXT) | instid1(VALU_DEP_1)
	v_min_u32_e32 v4, 32, v4
	v_subrev_nc_u32_e32 v5, 28, v4
	v_sub_nc_u32_e32 v181, 29, v4
	s_delay_alu instid0(VALU_DEP_2) | instskip(NEXT) | instid1(VALU_DEP_1)
	v_lshlrev_b64 v[6:7], v5, v[9:10]
	v_and_b32_e32 v6, 7, v6
; %bb.1904:                             ;   in Loop: Header=BB413_1192 Depth=1
	s_or_b32 exec_lo, exec_lo, s17
	v_lshlrev_b32_e32 v4, 24, v180
	s_delay_alu instid0(VALU_DEP_2) | instskip(SKIP_1) | instid1(VALU_DEP_3)
	v_lshlrev_b32_e32 v5, 20, v6
	v_lshl_add_u32 v6, v181, 23, 0x3c000000
	v_and_b32_e32 v4, 0x80000000, v4
	s_delay_alu instid0(VALU_DEP_1)
	v_or3_b32 v6, v5, v4, v6
.LBB413_1905:                           ;   in Loop: Header=BB413_1192 Depth=1
	s_or_b32 exec_lo, exec_lo, s15
.LBB413_1906:                           ;   in Loop: Header=BB413_1192 Depth=1
	s_delay_alu instid0(SALU_CYCLE_1)
	s_or_b32 exec_lo, exec_lo, s13
.LBB413_1907:                           ;   in Loop: Header=BB413_1192 Depth=1
	s_delay_alu instid0(SALU_CYCLE_1) | instskip(NEXT) | instid1(VALU_DEP_1)
	s_or_b32 exec_lo, exec_lo, s12
	v_mul_f32_e32 v6, v8, v6
                                        ; implicit-def: $vgpr180
	s_delay_alu instid0(VALU_DEP_1) | instskip(NEXT) | instid1(VALU_DEP_1)
	v_and_b32_e32 v4, 0x7f800000, v6
	v_cmp_ne_u32_e64 s0, 0x7f800000, v4
	s_delay_alu instid0(VALU_DEP_1) | instskip(NEXT) | instid1(SALU_CYCLE_1)
	s_and_saveexec_b32 s12, s0
	s_xor_b32 s0, exec_lo, s12
; %bb.1908:                             ;   in Loop: Header=BB413_1192 Depth=1
	v_bfe_u32 v4, v6, 16, 1
	s_delay_alu instid0(VALU_DEP_1)
	v_add3_u32 v180, v6, v4, 0x7fff
                                        ; implicit-def: $vgpr6
; %bb.1909:                             ;   in Loop: Header=BB413_1192 Depth=1
	s_and_not1_saveexec_b32 s12, s0
; %bb.1910:                             ;   in Loop: Header=BB413_1192 Depth=1
	v_and_b32_e32 v4, 0xffff, v6
	v_or_b32_e32 v5, 0x10000, v6
	s_delay_alu instid0(VALU_DEP_2) | instskip(NEXT) | instid1(VALU_DEP_1)
	v_cmp_eq_u32_e64 s0, 0, v4
	v_cndmask_b32_e64 v180, v5, v6, s0
; %bb.1911:                             ;   in Loop: Header=BB413_1192 Depth=1
	s_or_b32 exec_lo, exec_lo, s12
	v_mov_b32_e32 v6, 0
	s_mov_b32 s12, exec_lo
	v_cmpx_lt_u32_e32 0xffffff, v2
	s_cbranch_execz .LBB413_1919
; %bb.1912:                             ;   in Loop: Header=BB413_1192 Depth=1
	v_lshrrev_b32_e32 v181, 24, v2
	v_bfrev_b32_e32 v6, 1
	s_mov_b32 s13, exec_lo
	s_delay_alu instid0(VALU_DEP_2)
	v_cmpx_ne_u32_e32 0x80, v181
	s_cbranch_execz .LBB413_1918
; %bb.1913:                             ;   in Loop: Header=BB413_1192 Depth=1
	v_bfe_u32 v7, v2, 24, 7
	v_mov_b32_e32 v6, 0x7f800001
	s_mov_b32 s15, exec_lo
	s_delay_alu instid0(VALU_DEP_2)
	v_cmpx_ne_u32_e32 0x7f, v7
	s_cbranch_execz .LBB413_1917
; %bb.1914:                             ;   in Loop: Header=BB413_1192 Depth=1
	v_and_b32_e32 v9, 7, v181
	v_lshrrev_b32_e32 v182, 3, v7
	v_cmp_gt_u32_e64 s0, 8, v7
	s_delay_alu instid0(VALU_DEP_3) | instskip(NEXT) | instid1(VALU_DEP_2)
	v_dual_mov_b32 v6, v9 :: v_dual_mov_b32 v7, v10
	s_and_saveexec_b32 s17, s0
; %bb.1915:                             ;   in Loop: Header=BB413_1192 Depth=1
	v_clz_i32_u32_e32 v4, v9
	s_delay_alu instid0(VALU_DEP_1) | instskip(NEXT) | instid1(VALU_DEP_1)
	v_min_u32_e32 v4, 32, v4
	v_subrev_nc_u32_e32 v5, 28, v4
	v_sub_nc_u32_e32 v182, 29, v4
	s_delay_alu instid0(VALU_DEP_2) | instskip(NEXT) | instid1(VALU_DEP_1)
	v_lshlrev_b64 v[6:7], v5, v[9:10]
	v_and_b32_e32 v6, 7, v6
; %bb.1916:                             ;   in Loop: Header=BB413_1192 Depth=1
	s_or_b32 exec_lo, exec_lo, s17
	v_lshlrev_b32_e32 v4, 24, v181
	s_delay_alu instid0(VALU_DEP_2) | instskip(SKIP_1) | instid1(VALU_DEP_3)
	v_lshlrev_b32_e32 v5, 20, v6
	v_lshl_add_u32 v6, v182, 23, 0x3c000000
	v_and_b32_e32 v4, 0x80000000, v4
	s_delay_alu instid0(VALU_DEP_1)
	v_or3_b32 v6, v5, v4, v6
.LBB413_1917:                           ;   in Loop: Header=BB413_1192 Depth=1
	s_or_b32 exec_lo, exec_lo, s15
.LBB413_1918:                           ;   in Loop: Header=BB413_1192 Depth=1
	s_delay_alu instid0(SALU_CYCLE_1)
	s_or_b32 exec_lo, exec_lo, s13
.LBB413_1919:                           ;   in Loop: Header=BB413_1192 Depth=1
	s_delay_alu instid0(SALU_CYCLE_1) | instskip(NEXT) | instid1(VALU_DEP_1)
	s_or_b32 exec_lo, exec_lo, s12
	v_mul_f32_e32 v6, v8, v6
                                        ; implicit-def: $vgpr181
	s_delay_alu instid0(VALU_DEP_1) | instskip(NEXT) | instid1(VALU_DEP_1)
	v_and_b32_e32 v4, 0x7f800000, v6
	v_cmp_ne_u32_e64 s0, 0x7f800000, v4
	s_delay_alu instid0(VALU_DEP_1) | instskip(NEXT) | instid1(SALU_CYCLE_1)
	s_and_saveexec_b32 s12, s0
	s_xor_b32 s0, exec_lo, s12
; %bb.1920:                             ;   in Loop: Header=BB413_1192 Depth=1
	v_bfe_u32 v4, v6, 16, 1
	s_delay_alu instid0(VALU_DEP_1)
	v_add3_u32 v181, v6, v4, 0x7fff
                                        ; implicit-def: $vgpr6
; %bb.1921:                             ;   in Loop: Header=BB413_1192 Depth=1
	s_and_not1_saveexec_b32 s12, s0
; %bb.1922:                             ;   in Loop: Header=BB413_1192 Depth=1
	v_and_b32_e32 v4, 0xffff, v6
	v_or_b32_e32 v5, 0x10000, v6
	s_delay_alu instid0(VALU_DEP_2) | instskip(NEXT) | instid1(VALU_DEP_1)
	v_cmp_eq_u32_e64 s0, 0, v4
	v_cndmask_b32_e64 v181, v5, v6, s0
; %bb.1923:                             ;   in Loop: Header=BB413_1192 Depth=1
	s_or_b32 exec_lo, exec_lo, s12
	v_dual_mov_b32 v6, 0 :: v_dual_and_b32 v7, 0xff, v3
	v_mov_b32_e32 v9, v3
	s_mov_b32 s12, exec_lo
	s_delay_alu instid0(VALU_DEP_2)
	v_cmpx_ne_u16_e32 0, v7
	s_cbranch_execz .LBB413_1931
; %bb.1924:                             ;   in Loop: Header=BB413_1192 Depth=1
	v_bfrev_b32_e32 v6, 1
	s_mov_b32 s13, exec_lo
	v_cmpx_ne_u16_e32 0x80, v7
	s_cbranch_execz .LBB413_1930
; %bb.1925:                             ;   in Loop: Header=BB413_1192 Depth=1
	v_and_b32_e32 v7, 0x7f, v3
	v_mov_b32_e32 v6, 0x7f800001
	s_mov_b32 s15, exec_lo
	s_delay_alu instid0(VALU_DEP_2)
	v_cmpx_ne_u32_e32 0x7f, v7
	s_cbranch_execz .LBB413_1929
; %bb.1926:                             ;   in Loop: Header=BB413_1192 Depth=1
	v_lshrrev_b32_e32 v182, 3, v7
	v_cmp_gt_u32_e64 s0, 8, v7
	v_dual_mov_b32 v6, v9 :: v_dual_mov_b32 v7, v10
	s_delay_alu instid0(VALU_DEP_2)
	s_and_saveexec_b32 s17, s0
; %bb.1927:                             ;   in Loop: Header=BB413_1192 Depth=1
	v_and_b32_e32 v4, 7, v3
	s_delay_alu instid0(VALU_DEP_1) | instskip(NEXT) | instid1(VALU_DEP_1)
	v_clz_i32_u32_e32 v4, v4
	v_min_u32_e32 v4, 32, v4
	s_delay_alu instid0(VALU_DEP_1) | instskip(SKIP_1) | instid1(VALU_DEP_2)
	v_subrev_nc_u32_e32 v5, 28, v4
	v_sub_nc_u32_e32 v182, 29, v4
	v_lshlrev_b64 v[6:7], v5, v[9:10]
; %bb.1928:                             ;   in Loop: Header=BB413_1192 Depth=1
	s_or_b32 exec_lo, exec_lo, s17
	s_delay_alu instid0(VALU_DEP_1) | instskip(SKIP_2) | instid1(VALU_DEP_3)
	v_lshlrev_b32_e32 v4, 20, v6
	v_lshlrev_b32_e32 v5, 24, v9
	v_lshl_add_u32 v6, v182, 23, 0x3c000000
	v_and_b32_e32 v4, 0x700000, v4
	s_delay_alu instid0(VALU_DEP_3) | instskip(NEXT) | instid1(VALU_DEP_1)
	v_and_b32_e32 v5, 0x80000000, v5
	v_or3_b32 v6, v4, v5, v6
.LBB413_1929:                           ;   in Loop: Header=BB413_1192 Depth=1
	s_or_b32 exec_lo, exec_lo, s15
.LBB413_1930:                           ;   in Loop: Header=BB413_1192 Depth=1
	s_delay_alu instid0(SALU_CYCLE_1)
	s_or_b32 exec_lo, exec_lo, s13
.LBB413_1931:                           ;   in Loop: Header=BB413_1192 Depth=1
	s_delay_alu instid0(SALU_CYCLE_1) | instskip(NEXT) | instid1(VALU_DEP_1)
	s_or_b32 exec_lo, exec_lo, s12
	v_mul_f32_e32 v6, v8, v6
                                        ; implicit-def: $vgpr182
	s_delay_alu instid0(VALU_DEP_1) | instskip(NEXT) | instid1(VALU_DEP_1)
	v_and_b32_e32 v4, 0x7f800000, v6
	v_cmp_ne_u32_e64 s0, 0x7f800000, v4
	s_delay_alu instid0(VALU_DEP_1) | instskip(NEXT) | instid1(SALU_CYCLE_1)
	s_and_saveexec_b32 s12, s0
	s_xor_b32 s0, exec_lo, s12
; %bb.1932:                             ;   in Loop: Header=BB413_1192 Depth=1
	v_bfe_u32 v4, v6, 16, 1
	s_delay_alu instid0(VALU_DEP_1)
	v_add3_u32 v182, v6, v4, 0x7fff
                                        ; implicit-def: $vgpr6
; %bb.1933:                             ;   in Loop: Header=BB413_1192 Depth=1
	s_and_not1_saveexec_b32 s12, s0
; %bb.1934:                             ;   in Loop: Header=BB413_1192 Depth=1
	v_and_b32_e32 v4, 0xffff, v6
	v_or_b32_e32 v5, 0x10000, v6
	s_delay_alu instid0(VALU_DEP_2) | instskip(NEXT) | instid1(VALU_DEP_1)
	v_cmp_eq_u32_e64 s0, 0, v4
	v_cndmask_b32_e64 v182, v5, v6, s0
; %bb.1935:                             ;   in Loop: Header=BB413_1192 Depth=1
	s_or_b32 exec_lo, exec_lo, s12
	v_lshrrev_b16 v7, 8, v9
	v_mov_b32_e32 v6, 0
	s_mov_b32 s12, exec_lo
	s_delay_alu instid0(VALU_DEP_2)
	v_cmpx_ne_u16_e32 0, v7
	s_cbranch_execz .LBB413_1943
; %bb.1936:                             ;   in Loop: Header=BB413_1192 Depth=1
	v_bfrev_b32_e32 v6, 1
	s_mov_b32 s13, exec_lo
	v_cmpx_ne_u16_e32 0x80, v7
	s_cbranch_execz .LBB413_1942
; %bb.1937:                             ;   in Loop: Header=BB413_1192 Depth=1
	v_and_b32_e32 v7, 0xffff, v7
	v_mov_b32_e32 v6, 0x7f800001
	s_mov_b32 s15, exec_lo
	s_delay_alu instid0(VALU_DEP_2) | instskip(NEXT) | instid1(VALU_DEP_1)
	v_and_b32_e32 v40, 0x7f, v7
	v_cmpx_ne_u32_e32 0x7f, v40
	s_cbranch_execz .LBB413_1941
; %bb.1938:                             ;   in Loop: Header=BB413_1192 Depth=1
	v_dual_mov_b32 v7, v10 :: v_dual_and_b32 v6, 7, v7
	v_lshrrev_b32_e32 v183, 3, v40
	s_mov_b32 s17, exec_lo
	v_cmpx_gt_u32_e32 8, v40
; %bb.1939:                             ;   in Loop: Header=BB413_1192 Depth=1
	s_delay_alu instid0(VALU_DEP_3) | instskip(NEXT) | instid1(VALU_DEP_1)
	v_clz_i32_u32_e32 v4, v6
	v_min_u32_e32 v4, 32, v4
	s_delay_alu instid0(VALU_DEP_1) | instskip(SKIP_1) | instid1(VALU_DEP_2)
	v_subrev_nc_u32_e32 v5, 28, v4
	v_sub_nc_u32_e32 v183, 29, v4
	v_lshlrev_b64 v[6:7], v5, v[6:7]
	s_delay_alu instid0(VALU_DEP_1)
	v_and_b32_e32 v6, 7, v6
; %bb.1940:                             ;   in Loop: Header=BB413_1192 Depth=1
	s_or_b32 exec_lo, exec_lo, s17
	v_lshlrev_b32_e32 v4, 16, v9
	s_delay_alu instid0(VALU_DEP_2) | instskip(SKIP_1) | instid1(VALU_DEP_3)
	v_lshlrev_b32_e32 v5, 20, v6
	v_lshl_add_u32 v6, v183, 23, 0x3c000000
	v_and_b32_e32 v4, 0x80000000, v4
	s_delay_alu instid0(VALU_DEP_1)
	v_or3_b32 v6, v5, v4, v6
.LBB413_1941:                           ;   in Loop: Header=BB413_1192 Depth=1
	s_or_b32 exec_lo, exec_lo, s15
.LBB413_1942:                           ;   in Loop: Header=BB413_1192 Depth=1
	s_delay_alu instid0(SALU_CYCLE_1)
	s_or_b32 exec_lo, exec_lo, s13
.LBB413_1943:                           ;   in Loop: Header=BB413_1192 Depth=1
	s_delay_alu instid0(SALU_CYCLE_1) | instskip(NEXT) | instid1(VALU_DEP_1)
	s_or_b32 exec_lo, exec_lo, s12
	v_mul_f32_e32 v6, v8, v6
                                        ; implicit-def: $vgpr183
	s_delay_alu instid0(VALU_DEP_1) | instskip(NEXT) | instid1(VALU_DEP_1)
	v_and_b32_e32 v4, 0x7f800000, v6
	v_cmp_ne_u32_e64 s0, 0x7f800000, v4
	s_delay_alu instid0(VALU_DEP_1) | instskip(NEXT) | instid1(SALU_CYCLE_1)
	s_and_saveexec_b32 s12, s0
	s_xor_b32 s0, exec_lo, s12
; %bb.1944:                             ;   in Loop: Header=BB413_1192 Depth=1
	v_bfe_u32 v4, v6, 16, 1
	s_delay_alu instid0(VALU_DEP_1)
	v_add3_u32 v183, v6, v4, 0x7fff
                                        ; implicit-def: $vgpr6
; %bb.1945:                             ;   in Loop: Header=BB413_1192 Depth=1
	s_and_not1_saveexec_b32 s12, s0
; %bb.1946:                             ;   in Loop: Header=BB413_1192 Depth=1
	v_and_b32_e32 v4, 0xffff, v6
	v_or_b32_e32 v5, 0x10000, v6
	s_delay_alu instid0(VALU_DEP_2) | instskip(NEXT) | instid1(VALU_DEP_1)
	v_cmp_eq_u32_e64 s0, 0, v4
	v_cndmask_b32_e64 v183, v5, v6, s0
; %bb.1947:                             ;   in Loop: Header=BB413_1192 Depth=1
	s_or_b32 exec_lo, exec_lo, s12
	v_lshrrev_b32_e32 v40, 16, v3
	s_mov_b32 s12, exec_lo
	s_delay_alu instid0(VALU_DEP_1) | instskip(NEXT) | instid1(VALU_DEP_1)
	v_dual_mov_b32 v6, 0 :: v_dual_and_b32 v7, 0xff, v40
	v_cmpx_ne_u16_e32 0, v7
	s_cbranch_execz .LBB413_1955
; %bb.1948:                             ;   in Loop: Header=BB413_1192 Depth=1
	v_bfrev_b32_e32 v6, 1
	s_mov_b32 s13, exec_lo
	v_cmpx_ne_u16_e32 0x80, v7
	s_cbranch_execz .LBB413_1954
; %bb.1949:                             ;   in Loop: Header=BB413_1192 Depth=1
	v_bfe_u32 v7, v3, 16, 7
	v_mov_b32_e32 v6, 0x7f800001
	s_mov_b32 s15, exec_lo
	s_delay_alu instid0(VALU_DEP_2)
	v_cmpx_ne_u32_e32 0x7f, v7
	s_cbranch_execz .LBB413_1953
; %bb.1950:                             ;   in Loop: Header=BB413_1192 Depth=1
	v_and_b32_e32 v9, 7, v40
	v_lshrrev_b32_e32 v41, 3, v7
	v_cmp_gt_u32_e64 s0, 8, v7
	s_delay_alu instid0(VALU_DEP_3) | instskip(NEXT) | instid1(VALU_DEP_2)
	v_dual_mov_b32 v6, v9 :: v_dual_mov_b32 v7, v10
	s_and_saveexec_b32 s17, s0
; %bb.1951:                             ;   in Loop: Header=BB413_1192 Depth=1
	v_clz_i32_u32_e32 v4, v9
	s_delay_alu instid0(VALU_DEP_1) | instskip(NEXT) | instid1(VALU_DEP_1)
	v_min_u32_e32 v4, 32, v4
	v_subrev_nc_u32_e32 v5, 28, v4
	v_sub_nc_u32_e32 v41, 29, v4
	s_delay_alu instid0(VALU_DEP_2) | instskip(NEXT) | instid1(VALU_DEP_1)
	v_lshlrev_b64 v[6:7], v5, v[9:10]
	v_and_b32_e32 v6, 7, v6
; %bb.1952:                             ;   in Loop: Header=BB413_1192 Depth=1
	s_or_b32 exec_lo, exec_lo, s17
	v_lshlrev_b32_e32 v4, 24, v40
	s_delay_alu instid0(VALU_DEP_2) | instskip(SKIP_1) | instid1(VALU_DEP_3)
	v_lshlrev_b32_e32 v5, 20, v6
	v_lshl_add_u32 v6, v41, 23, 0x3c000000
	v_and_b32_e32 v4, 0x80000000, v4
	s_delay_alu instid0(VALU_DEP_1)
	v_or3_b32 v6, v5, v4, v6
.LBB413_1953:                           ;   in Loop: Header=BB413_1192 Depth=1
	s_or_b32 exec_lo, exec_lo, s15
.LBB413_1954:                           ;   in Loop: Header=BB413_1192 Depth=1
	s_delay_alu instid0(SALU_CYCLE_1)
	s_or_b32 exec_lo, exec_lo, s13
.LBB413_1955:                           ;   in Loop: Header=BB413_1192 Depth=1
	s_delay_alu instid0(SALU_CYCLE_1) | instskip(NEXT) | instid1(VALU_DEP_1)
	s_or_b32 exec_lo, exec_lo, s12
	v_mul_f32_e32 v6, v8, v6
                                        ; implicit-def: $vgpr40
	s_delay_alu instid0(VALU_DEP_1) | instskip(NEXT) | instid1(VALU_DEP_1)
	v_and_b32_e32 v4, 0x7f800000, v6
	v_cmp_ne_u32_e64 s0, 0x7f800000, v4
	s_delay_alu instid0(VALU_DEP_1) | instskip(NEXT) | instid1(SALU_CYCLE_1)
	s_and_saveexec_b32 s12, s0
	s_xor_b32 s0, exec_lo, s12
; %bb.1956:                             ;   in Loop: Header=BB413_1192 Depth=1
	v_bfe_u32 v4, v6, 16, 1
	s_delay_alu instid0(VALU_DEP_1)
	v_add3_u32 v40, v6, v4, 0x7fff
                                        ; implicit-def: $vgpr6
; %bb.1957:                             ;   in Loop: Header=BB413_1192 Depth=1
	s_and_not1_saveexec_b32 s12, s0
; %bb.1958:                             ;   in Loop: Header=BB413_1192 Depth=1
	v_and_b32_e32 v4, 0xffff, v6
	v_or_b32_e32 v5, 0x10000, v6
	s_delay_alu instid0(VALU_DEP_2) | instskip(NEXT) | instid1(VALU_DEP_1)
	v_cmp_eq_u32_e64 s0, 0, v4
	v_cndmask_b32_e64 v40, v5, v6, s0
; %bb.1959:                             ;   in Loop: Header=BB413_1192 Depth=1
	s_or_b32 exec_lo, exec_lo, s12
	v_cmp_lt_u64_e64 s0, s[8:9], v[2:3]
	v_mov_b32_e32 v2, 0
	s_delay_alu instid0(VALU_DEP_2)
	s_and_saveexec_b32 s12, s0
	s_cbranch_execz .LBB413_1967
; %bb.1960:                             ;   in Loop: Header=BB413_1192 Depth=1
	v_lshrrev_b32_e32 v6, 24, v3
	v_bfrev_b32_e32 v2, 1
	s_mov_b32 s13, exec_lo
	s_delay_alu instid0(VALU_DEP_2)
	v_cmpx_ne_u32_e32 0x80, v6
	s_cbranch_execz .LBB413_1966
; %bb.1961:                             ;   in Loop: Header=BB413_1192 Depth=1
	v_bfe_u32 v3, v3, 24, 7
	v_mov_b32_e32 v2, 0x7f800001
	s_mov_b32 s15, exec_lo
	s_delay_alu instid0(VALU_DEP_2)
	v_cmpx_ne_u32_e32 0x7f, v3
	s_cbranch_execz .LBB413_1965
; %bb.1962:                             ;   in Loop: Header=BB413_1192 Depth=1
	v_and_b32_e32 v9, 7, v6
	v_lshrrev_b32_e32 v7, 3, v3
	v_cmp_gt_u32_e64 s0, 8, v3
	s_delay_alu instid0(VALU_DEP_3) | instskip(NEXT) | instid1(VALU_DEP_2)
	v_dual_mov_b32 v2, v9 :: v_dual_mov_b32 v3, v10
	s_and_saveexec_b32 s17, s0
; %bb.1963:                             ;   in Loop: Header=BB413_1192 Depth=1
	v_clz_i32_u32_e32 v2, v9
	s_delay_alu instid0(VALU_DEP_1) | instskip(NEXT) | instid1(VALU_DEP_1)
	v_min_u32_e32 v4, 32, v2
	v_subrev_nc_u32_e32 v2, 28, v4
	v_sub_nc_u32_e32 v7, 29, v4
	s_delay_alu instid0(VALU_DEP_2) | instskip(NEXT) | instid1(VALU_DEP_1)
	v_lshlrev_b64 v[2:3], v2, v[9:10]
	v_and_b32_e32 v2, 7, v2
; %bb.1964:                             ;   in Loop: Header=BB413_1192 Depth=1
	s_or_b32 exec_lo, exec_lo, s17
	v_lshlrev_b32_e32 v3, 24, v6
	s_delay_alu instid0(VALU_DEP_2) | instskip(SKIP_1) | instid1(VALU_DEP_3)
	v_lshlrev_b32_e32 v2, 20, v2
	v_lshl_add_u32 v4, v7, 23, 0x3c000000
	v_and_b32_e32 v3, 0x80000000, v3
	s_delay_alu instid0(VALU_DEP_1)
	v_or3_b32 v2, v2, v3, v4
.LBB413_1965:                           ;   in Loop: Header=BB413_1192 Depth=1
	s_or_b32 exec_lo, exec_lo, s15
.LBB413_1966:                           ;   in Loop: Header=BB413_1192 Depth=1
	s_delay_alu instid0(SALU_CYCLE_1)
	s_or_b32 exec_lo, exec_lo, s13
.LBB413_1967:                           ;   in Loop: Header=BB413_1192 Depth=1
	s_delay_alu instid0(SALU_CYCLE_1) | instskip(NEXT) | instid1(VALU_DEP_1)
	s_or_b32 exec_lo, exec_lo, s12
	v_mul_f32_e32 v3, v8, v2
	s_delay_alu instid0(VALU_DEP_1) | instskip(NEXT) | instid1(VALU_DEP_1)
	v_and_b32_e32 v2, 0x7f800000, v3
	v_cmp_ne_u32_e64 s0, 0x7f800000, v2
                                        ; implicit-def: $vgpr2
	s_delay_alu instid0(VALU_DEP_1) | instskip(NEXT) | instid1(SALU_CYCLE_1)
	s_and_saveexec_b32 s12, s0
	s_xor_b32 s0, exec_lo, s12
; %bb.1968:                             ;   in Loop: Header=BB413_1192 Depth=1
	v_bfe_u32 v2, v3, 16, 1
	s_delay_alu instid0(VALU_DEP_1)
	v_add3_u32 v2, v3, v2, 0x7fff
                                        ; implicit-def: $vgpr3
; %bb.1969:                             ;   in Loop: Header=BB413_1192 Depth=1
	s_and_not1_saveexec_b32 s12, s0
; %bb.1970:                             ;   in Loop: Header=BB413_1192 Depth=1
	v_and_b32_e32 v2, 0xffff, v3
	v_or_b32_e32 v4, 0x10000, v3
	s_delay_alu instid0(VALU_DEP_2) | instskip(NEXT) | instid1(VALU_DEP_1)
	v_cmp_eq_u32_e64 s0, 0, v2
	v_cndmask_b32_e64 v2, v4, v3, s0
; %bb.1971:                             ;   in Loop: Header=BB413_1192 Depth=1
	s_or_b32 exec_lo, exec_lo, s12
	v_lshrrev_b32_e32 v6, 16, v183
	v_lshrrev_b32_e32 v7, 16, v182
	v_lshrrev_b32_e32 v9, 16, v181
	v_lshrrev_b32_e32 v180, 16, v180
	v_lshrrev_b32_e32 v179, 16, v179
	v_lshrrev_b32_e32 v178, 16, v178
	v_lshrrev_b32_e32 v3, 16, v40
	v_lshrrev_b32_e32 v2, 16, v2
	s_and_saveexec_b32 s12, vcc_lo
	s_cbranch_execz .LBB413_1973
; %bb.1972:                             ;   in Loop: Header=BB413_1192 Depth=1
	v_cmp_lt_i32_e64 s0, v66, v85
	s_delay_alu instid0(VALU_DEP_1) | instskip(SKIP_1) | instid1(VALU_DEP_1)
	v_cndmask_b32_e64 v178, 0, v178, s0
	v_cmp_lt_i32_e64 s0, v81, v85
	v_cndmask_b32_e64 v179, 0, v179, s0
	v_cmp_lt_i32_e64 s0, v80, v85
	s_delay_alu instid0(VALU_DEP_1) | instskip(SKIP_1) | instid1(VALU_DEP_1)
	v_cndmask_b32_e64 v180, 0, v180, s0
	v_cmp_lt_i32_e64 s0, v71, v85
	v_cndmask_b32_e64 v9, 0, v9, s0
	;; [unrolled: 5-line block ×4, first 2 shown]
.LBB413_1973:                           ;   in Loop: Header=BB413_1192 Depth=1
	s_or_b32 exec_lo, exec_lo, s12
	v_lshlrev_b32_e32 v4, 16, v178
                                        ; implicit-def: $vgpr178
	s_delay_alu instid0(VALU_DEP_1) | instskip(NEXT) | instid1(VALU_DEP_1)
	v_mul_f32_e32 v181, v82, v4
	v_and_b32_e32 v4, 0x7f800000, v181
	s_delay_alu instid0(VALU_DEP_1) | instskip(NEXT) | instid1(VALU_DEP_1)
	v_cmp_ne_u32_e64 s0, 0x7f800000, v4
	s_and_saveexec_b32 s12, s0
	s_delay_alu instid0(SALU_CYCLE_1)
	s_xor_b32 s0, exec_lo, s12
; %bb.1974:                             ;   in Loop: Header=BB413_1192 Depth=1
	v_bfe_u32 v4, v181, 16, 1
	s_delay_alu instid0(VALU_DEP_1)
	v_add3_u32 v178, v181, v4, 0x7fff
                                        ; implicit-def: $vgpr181
; %bb.1975:                             ;   in Loop: Header=BB413_1192 Depth=1
	s_and_not1_saveexec_b32 s12, s0
; %bb.1976:                             ;   in Loop: Header=BB413_1192 Depth=1
	v_and_b32_e32 v4, 0xffff, v181
	v_or_b32_e32 v5, 0x10000, v181
	s_delay_alu instid0(VALU_DEP_2) | instskip(NEXT) | instid1(VALU_DEP_1)
	v_cmp_eq_u32_e64 s0, 0, v4
	v_cndmask_b32_e64 v178, v5, v181, s0
; %bb.1977:                             ;   in Loop: Header=BB413_1192 Depth=1
	s_or_b32 exec_lo, exec_lo, s12
	v_lshlrev_b32_e32 v4, 16, v179
                                        ; implicit-def: $vgpr179
	s_delay_alu instid0(VALU_DEP_1) | instskip(NEXT) | instid1(VALU_DEP_1)
	v_mul_f32_e32 v181, v83, v4
	v_and_b32_e32 v4, 0x7f800000, v181
	s_delay_alu instid0(VALU_DEP_1) | instskip(NEXT) | instid1(VALU_DEP_1)
	v_cmp_ne_u32_e64 s0, 0x7f800000, v4
	s_and_saveexec_b32 s12, s0
	s_delay_alu instid0(SALU_CYCLE_1)
	s_xor_b32 s0, exec_lo, s12
; %bb.1978:                             ;   in Loop: Header=BB413_1192 Depth=1
	v_bfe_u32 v4, v181, 16, 1
	s_delay_alu instid0(VALU_DEP_1)
	v_add3_u32 v179, v181, v4, 0x7fff
                                        ; implicit-def: $vgpr181
; %bb.1979:                             ;   in Loop: Header=BB413_1192 Depth=1
	s_and_not1_saveexec_b32 s12, s0
; %bb.1980:                             ;   in Loop: Header=BB413_1192 Depth=1
	v_and_b32_e32 v4, 0xffff, v181
	v_or_b32_e32 v5, 0x10000, v181
	s_delay_alu instid0(VALU_DEP_2) | instskip(NEXT) | instid1(VALU_DEP_1)
	v_cmp_eq_u32_e64 s0, 0, v4
	v_cndmask_b32_e64 v179, v5, v181, s0
; %bb.1981:                             ;   in Loop: Header=BB413_1192 Depth=1
	s_or_b32 exec_lo, exec_lo, s12
	v_lshlrev_b32_e32 v4, 16, v180
                                        ; implicit-def: $vgpr180
	s_delay_alu instid0(VALU_DEP_1) | instskip(NEXT) | instid1(VALU_DEP_1)
	v_mul_f32_e32 v181, v100, v4
	v_and_b32_e32 v4, 0x7f800000, v181
	s_delay_alu instid0(VALU_DEP_1) | instskip(NEXT) | instid1(VALU_DEP_1)
	v_cmp_ne_u32_e64 s0, 0x7f800000, v4
	s_and_saveexec_b32 s12, s0
	s_delay_alu instid0(SALU_CYCLE_1)
	s_xor_b32 s0, exec_lo, s12
; %bb.1982:                             ;   in Loop: Header=BB413_1192 Depth=1
	v_bfe_u32 v4, v181, 16, 1
	s_delay_alu instid0(VALU_DEP_1)
	v_add3_u32 v180, v181, v4, 0x7fff
                                        ; implicit-def: $vgpr181
; %bb.1983:                             ;   in Loop: Header=BB413_1192 Depth=1
	s_and_not1_saveexec_b32 s12, s0
; %bb.1984:                             ;   in Loop: Header=BB413_1192 Depth=1
	v_and_b32_e32 v4, 0xffff, v181
	v_or_b32_e32 v5, 0x10000, v181
	s_delay_alu instid0(VALU_DEP_2) | instskip(NEXT) | instid1(VALU_DEP_1)
	v_cmp_eq_u32_e64 s0, 0, v4
	v_cndmask_b32_e64 v180, v5, v181, s0
; %bb.1985:                             ;   in Loop: Header=BB413_1192 Depth=1
	s_or_b32 exec_lo, exec_lo, s12
	v_lshlrev_b32_e32 v4, 16, v9
                                        ; implicit-def: $vgpr181
	s_delay_alu instid0(VALU_DEP_1) | instskip(NEXT) | instid1(VALU_DEP_1)
	v_mul_f32_e32 v9, v101, v4
	v_and_b32_e32 v4, 0x7f800000, v9
	s_delay_alu instid0(VALU_DEP_1) | instskip(NEXT) | instid1(VALU_DEP_1)
	v_cmp_ne_u32_e64 s0, 0x7f800000, v4
	s_and_saveexec_b32 s12, s0
	s_delay_alu instid0(SALU_CYCLE_1)
	s_xor_b32 s0, exec_lo, s12
; %bb.1986:                             ;   in Loop: Header=BB413_1192 Depth=1
	v_bfe_u32 v4, v9, 16, 1
	s_delay_alu instid0(VALU_DEP_1)
	v_add3_u32 v181, v9, v4, 0x7fff
                                        ; implicit-def: $vgpr9
; %bb.1987:                             ;   in Loop: Header=BB413_1192 Depth=1
	s_and_not1_saveexec_b32 s12, s0
; %bb.1988:                             ;   in Loop: Header=BB413_1192 Depth=1
	v_and_b32_e32 v4, 0xffff, v9
	v_or_b32_e32 v5, 0x10000, v9
	s_delay_alu instid0(VALU_DEP_2) | instskip(NEXT) | instid1(VALU_DEP_1)
	v_cmp_eq_u32_e64 s0, 0, v4
	v_cndmask_b32_e64 v181, v5, v9, s0
; %bb.1989:                             ;   in Loop: Header=BB413_1192 Depth=1
	s_or_b32 exec_lo, exec_lo, s12
	v_lshlrev_b32_e32 v4, 16, v7
                                        ; implicit-def: $vgpr182
	s_delay_alu instid0(VALU_DEP_1) | instskip(NEXT) | instid1(VALU_DEP_1)
	v_mul_f32_e32 v7, v102, v4
	v_and_b32_e32 v4, 0x7f800000, v7
	s_delay_alu instid0(VALU_DEP_1) | instskip(NEXT) | instid1(VALU_DEP_1)
	v_cmp_ne_u32_e64 s0, 0x7f800000, v4
	s_and_saveexec_b32 s12, s0
	s_delay_alu instid0(SALU_CYCLE_1)
	s_xor_b32 s0, exec_lo, s12
; %bb.1990:                             ;   in Loop: Header=BB413_1192 Depth=1
	v_bfe_u32 v4, v7, 16, 1
	s_delay_alu instid0(VALU_DEP_1)
	v_add3_u32 v182, v7, v4, 0x7fff
                                        ; implicit-def: $vgpr7
; %bb.1991:                             ;   in Loop: Header=BB413_1192 Depth=1
	s_and_not1_saveexec_b32 s12, s0
; %bb.1992:                             ;   in Loop: Header=BB413_1192 Depth=1
	v_and_b32_e32 v4, 0xffff, v7
	v_or_b32_e32 v5, 0x10000, v7
	s_delay_alu instid0(VALU_DEP_2) | instskip(NEXT) | instid1(VALU_DEP_1)
	v_cmp_eq_u32_e64 s0, 0, v4
	v_cndmask_b32_e64 v182, v5, v7, s0
; %bb.1993:                             ;   in Loop: Header=BB413_1192 Depth=1
	s_or_b32 exec_lo, exec_lo, s12
	v_lshlrev_b32_e32 v4, 16, v6
                                        ; implicit-def: $vgpr183
	s_delay_alu instid0(VALU_DEP_1) | instskip(NEXT) | instid1(VALU_DEP_1)
	v_mul_f32_e32 v6, v103, v4
	v_and_b32_e32 v4, 0x7f800000, v6
	s_delay_alu instid0(VALU_DEP_1) | instskip(NEXT) | instid1(VALU_DEP_1)
	v_cmp_ne_u32_e64 s0, 0x7f800000, v4
	s_and_saveexec_b32 s12, s0
	s_delay_alu instid0(SALU_CYCLE_1)
	s_xor_b32 s0, exec_lo, s12
; %bb.1994:                             ;   in Loop: Header=BB413_1192 Depth=1
	v_bfe_u32 v4, v6, 16, 1
	s_delay_alu instid0(VALU_DEP_1)
	v_add3_u32 v183, v6, v4, 0x7fff
                                        ; implicit-def: $vgpr6
; %bb.1995:                             ;   in Loop: Header=BB413_1192 Depth=1
	s_and_not1_saveexec_b32 s12, s0
; %bb.1996:                             ;   in Loop: Header=BB413_1192 Depth=1
	v_and_b32_e32 v4, 0xffff, v6
	v_or_b32_e32 v5, 0x10000, v6
	s_delay_alu instid0(VALU_DEP_2) | instskip(NEXT) | instid1(VALU_DEP_1)
	v_cmp_eq_u32_e64 s0, 0, v4
	v_cndmask_b32_e64 v183, v5, v6, s0
; %bb.1997:                             ;   in Loop: Header=BB413_1192 Depth=1
	s_or_b32 exec_lo, exec_lo, s12
	v_lshlrev_b32_e32 v3, 16, v3
                                        ; implicit-def: $vgpr40
	s_delay_alu instid0(VALU_DEP_1) | instskip(NEXT) | instid1(VALU_DEP_1)
	v_mul_f32_e32 v3, v112, v3
	v_and_b32_e32 v4, 0x7f800000, v3
	s_delay_alu instid0(VALU_DEP_1) | instskip(NEXT) | instid1(VALU_DEP_1)
	v_cmp_ne_u32_e64 s0, 0x7f800000, v4
	s_and_saveexec_b32 s12, s0
	s_delay_alu instid0(SALU_CYCLE_1)
	s_xor_b32 s0, exec_lo, s12
; %bb.1998:                             ;   in Loop: Header=BB413_1192 Depth=1
	v_bfe_u32 v4, v3, 16, 1
	s_delay_alu instid0(VALU_DEP_1)
	v_add3_u32 v40, v3, v4, 0x7fff
                                        ; implicit-def: $vgpr3
; %bb.1999:                             ;   in Loop: Header=BB413_1192 Depth=1
	s_and_not1_saveexec_b32 s12, s0
; %bb.2000:                             ;   in Loop: Header=BB413_1192 Depth=1
	v_and_b32_e32 v4, 0xffff, v3
	v_or_b32_e32 v5, 0x10000, v3
	s_delay_alu instid0(VALU_DEP_2) | instskip(NEXT) | instid1(VALU_DEP_1)
	v_cmp_eq_u32_e64 s0, 0, v4
	v_cndmask_b32_e64 v40, v5, v3, s0
; %bb.2001:                             ;   in Loop: Header=BB413_1192 Depth=1
	s_or_b32 exec_lo, exec_lo, s12
	v_lshlrev_b32_e32 v2, 16, v2
                                        ; implicit-def: $vgpr41
	s_delay_alu instid0(VALU_DEP_1) | instskip(NEXT) | instid1(VALU_DEP_1)
	v_mul_f32_e32 v2, v113, v2
	v_and_b32_e32 v3, 0x7f800000, v2
	s_delay_alu instid0(VALU_DEP_1) | instskip(NEXT) | instid1(VALU_DEP_1)
	v_cmp_ne_u32_e64 s0, 0x7f800000, v3
	s_and_saveexec_b32 s12, s0
	s_delay_alu instid0(SALU_CYCLE_1)
	s_xor_b32 s0, exec_lo, s12
; %bb.2002:                             ;   in Loop: Header=BB413_1192 Depth=1
	v_bfe_u32 v3, v2, 16, 1
	s_delay_alu instid0(VALU_DEP_1)
	v_add3_u32 v41, v2, v3, 0x7fff
                                        ; implicit-def: $vgpr2
; %bb.2003:                             ;   in Loop: Header=BB413_1192 Depth=1
	s_and_not1_saveexec_b32 s12, s0
; %bb.2004:                             ;   in Loop: Header=BB413_1192 Depth=1
	v_and_b32_e32 v3, 0xffff, v2
	v_or_b32_e32 v4, 0x10000, v2
	s_delay_alu instid0(VALU_DEP_2) | instskip(NEXT) | instid1(VALU_DEP_1)
	v_cmp_eq_u32_e64 s0, 0, v3
	v_cndmask_b32_e64 v41, v4, v2, s0
; %bb.2005:                             ;   in Loop: Header=BB413_1192 Depth=1
	s_or_b32 exec_lo, exec_lo, s12
	flat_load_b64 v[2:3], v[0:1] offset:1536
	s_mov_b32 s12, exec_lo
	s_waitcnt vmcnt(0) lgkmcnt(0)
	v_dual_mov_b32 v6, 0 :: v_dual_and_b32 v7, 0xff, v2
	s_delay_alu instid0(VALU_DEP_1)
	v_cmpx_ne_u16_e32 0, v7
	s_cbranch_execz .LBB413_2013
; %bb.2006:                             ;   in Loop: Header=BB413_1192 Depth=1
	v_bfrev_b32_e32 v6, 1
	s_mov_b32 s13, exec_lo
	v_cmpx_ne_u16_e32 0x80, v7
	s_cbranch_execz .LBB413_2012
; %bb.2007:                             ;   in Loop: Header=BB413_1192 Depth=1
	v_and_b32_e32 v7, 0x7f, v2
	v_mov_b32_e32 v6, 0x7f800001
	s_mov_b32 s15, exec_lo
	s_delay_alu instid0(VALU_DEP_2)
	v_cmpx_ne_u32_e32 0x7f, v7
	s_cbranch_execz .LBB413_2011
; %bb.2008:                             ;   in Loop: Header=BB413_1192 Depth=1
	v_lshrrev_b32_e32 v9, 3, v7
	v_cmp_gt_u32_e64 s0, 8, v7
	v_dual_mov_b32 v7, v3 :: v_dual_mov_b32 v6, v2
	s_delay_alu instid0(VALU_DEP_2)
	s_and_saveexec_b32 s17, s0
; %bb.2009:                             ;   in Loop: Header=BB413_1192 Depth=1
	v_and_b32_e32 v4, 7, v2
	s_delay_alu instid0(VALU_DEP_1) | instskip(NEXT) | instid1(VALU_DEP_1)
	v_clz_i32_u32_e32 v4, v4
	v_min_u32_e32 v4, 32, v4
	s_delay_alu instid0(VALU_DEP_1) | instskip(SKIP_1) | instid1(VALU_DEP_2)
	v_subrev_nc_u32_e32 v5, 28, v4
	v_sub_nc_u32_e32 v9, 29, v4
	v_lshlrev_b64 v[6:7], v5, v[2:3]
; %bb.2010:                             ;   in Loop: Header=BB413_1192 Depth=1
	s_or_b32 exec_lo, exec_lo, s17
	s_delay_alu instid0(VALU_DEP_1) | instskip(SKIP_2) | instid1(VALU_DEP_3)
	v_lshlrev_b32_e32 v4, 20, v6
	v_lshlrev_b32_e32 v5, 24, v2
	v_lshl_add_u32 v6, v9, 23, 0x3c000000
	v_and_b32_e32 v4, 0x700000, v4
	s_delay_alu instid0(VALU_DEP_3) | instskip(NEXT) | instid1(VALU_DEP_1)
	v_and_b32_e32 v5, 0x80000000, v5
	v_or3_b32 v6, v4, v5, v6
.LBB413_2011:                           ;   in Loop: Header=BB413_1192 Depth=1
	s_or_b32 exec_lo, exec_lo, s15
.LBB413_2012:                           ;   in Loop: Header=BB413_1192 Depth=1
	s_delay_alu instid0(SALU_CYCLE_1)
	s_or_b32 exec_lo, exec_lo, s13
.LBB413_2013:                           ;   in Loop: Header=BB413_1192 Depth=1
	s_delay_alu instid0(SALU_CYCLE_1) | instskip(NEXT) | instid1(VALU_DEP_1)
	s_or_b32 exec_lo, exec_lo, s12
	v_mul_f32_e32 v6, v8, v6
                                        ; implicit-def: $vgpr42
	s_delay_alu instid0(VALU_DEP_1) | instskip(NEXT) | instid1(VALU_DEP_1)
	v_and_b32_e32 v4, 0x7f800000, v6
	v_cmp_ne_u32_e64 s0, 0x7f800000, v4
	s_delay_alu instid0(VALU_DEP_1) | instskip(NEXT) | instid1(SALU_CYCLE_1)
	s_and_saveexec_b32 s12, s0
	s_xor_b32 s0, exec_lo, s12
; %bb.2014:                             ;   in Loop: Header=BB413_1192 Depth=1
	v_bfe_u32 v4, v6, 16, 1
	s_delay_alu instid0(VALU_DEP_1)
	v_add3_u32 v42, v6, v4, 0x7fff
                                        ; implicit-def: $vgpr6
; %bb.2015:                             ;   in Loop: Header=BB413_1192 Depth=1
	s_and_not1_saveexec_b32 s12, s0
; %bb.2016:                             ;   in Loop: Header=BB413_1192 Depth=1
	v_and_b32_e32 v4, 0xffff, v6
	v_or_b32_e32 v5, 0x10000, v6
	s_delay_alu instid0(VALU_DEP_2) | instskip(NEXT) | instid1(VALU_DEP_1)
	v_cmp_eq_u32_e64 s0, 0, v4
	v_cndmask_b32_e64 v42, v5, v6, s0
; %bb.2017:                             ;   in Loop: Header=BB413_1192 Depth=1
	s_or_b32 exec_lo, exec_lo, s12
	v_lshrrev_b16 v7, 8, v2
	v_mov_b32_e32 v6, 0
	s_mov_b32 s12, exec_lo
	s_delay_alu instid0(VALU_DEP_2)
	v_cmpx_ne_u16_e32 0, v7
	s_cbranch_execz .LBB413_2025
; %bb.2018:                             ;   in Loop: Header=BB413_1192 Depth=1
	v_bfrev_b32_e32 v6, 1
	s_mov_b32 s13, exec_lo
	v_cmpx_ne_u16_e32 0x80, v7
	s_cbranch_execz .LBB413_2024
; %bb.2019:                             ;   in Loop: Header=BB413_1192 Depth=1
	v_and_b32_e32 v9, 0xffff, v7
	v_mov_b32_e32 v6, 0x7f800001
	s_mov_b32 s15, exec_lo
	s_delay_alu instid0(VALU_DEP_2) | instskip(NEXT) | instid1(VALU_DEP_1)
	v_and_b32_e32 v7, 0x7f, v9
	v_cmpx_ne_u32_e32 0x7f, v7
	s_cbranch_execz .LBB413_2023
; %bb.2020:                             ;   in Loop: Header=BB413_1192 Depth=1
	v_and_b32_e32 v9, 7, v9
	v_lshrrev_b32_e32 v43, 3, v7
	v_cmp_gt_u32_e64 s0, 8, v7
	s_delay_alu instid0(VALU_DEP_3) | instskip(NEXT) | instid1(VALU_DEP_2)
	v_dual_mov_b32 v6, v9 :: v_dual_mov_b32 v7, v10
	s_and_saveexec_b32 s17, s0
; %bb.2021:                             ;   in Loop: Header=BB413_1192 Depth=1
	v_clz_i32_u32_e32 v4, v9
	s_delay_alu instid0(VALU_DEP_1) | instskip(NEXT) | instid1(VALU_DEP_1)
	v_min_u32_e32 v4, 32, v4
	v_subrev_nc_u32_e32 v5, 28, v4
	v_sub_nc_u32_e32 v43, 29, v4
	s_delay_alu instid0(VALU_DEP_2) | instskip(NEXT) | instid1(VALU_DEP_1)
	v_lshlrev_b64 v[6:7], v5, v[9:10]
	v_and_b32_e32 v6, 7, v6
; %bb.2022:                             ;   in Loop: Header=BB413_1192 Depth=1
	s_or_b32 exec_lo, exec_lo, s17
	v_lshlrev_b32_e32 v4, 16, v2
	s_delay_alu instid0(VALU_DEP_2) | instskip(SKIP_1) | instid1(VALU_DEP_3)
	v_lshlrev_b32_e32 v5, 20, v6
	v_lshl_add_u32 v6, v43, 23, 0x3c000000
	v_and_b32_e32 v4, 0x80000000, v4
	s_delay_alu instid0(VALU_DEP_1)
	v_or3_b32 v6, v5, v4, v6
.LBB413_2023:                           ;   in Loop: Header=BB413_1192 Depth=1
	s_or_b32 exec_lo, exec_lo, s15
.LBB413_2024:                           ;   in Loop: Header=BB413_1192 Depth=1
	s_delay_alu instid0(SALU_CYCLE_1)
	s_or_b32 exec_lo, exec_lo, s13
.LBB413_2025:                           ;   in Loop: Header=BB413_1192 Depth=1
	s_delay_alu instid0(SALU_CYCLE_1) | instskip(NEXT) | instid1(VALU_DEP_1)
	s_or_b32 exec_lo, exec_lo, s12
	v_mul_f32_e32 v6, v8, v6
                                        ; implicit-def: $vgpr43
	s_delay_alu instid0(VALU_DEP_1) | instskip(NEXT) | instid1(VALU_DEP_1)
	v_and_b32_e32 v4, 0x7f800000, v6
	v_cmp_ne_u32_e64 s0, 0x7f800000, v4
	s_delay_alu instid0(VALU_DEP_1) | instskip(NEXT) | instid1(SALU_CYCLE_1)
	s_and_saveexec_b32 s12, s0
	s_xor_b32 s0, exec_lo, s12
; %bb.2026:                             ;   in Loop: Header=BB413_1192 Depth=1
	v_bfe_u32 v4, v6, 16, 1
	s_delay_alu instid0(VALU_DEP_1)
	v_add3_u32 v43, v6, v4, 0x7fff
                                        ; implicit-def: $vgpr6
; %bb.2027:                             ;   in Loop: Header=BB413_1192 Depth=1
	s_and_not1_saveexec_b32 s12, s0
; %bb.2028:                             ;   in Loop: Header=BB413_1192 Depth=1
	v_and_b32_e32 v4, 0xffff, v6
	v_or_b32_e32 v5, 0x10000, v6
	s_delay_alu instid0(VALU_DEP_2) | instskip(NEXT) | instid1(VALU_DEP_1)
	v_cmp_eq_u32_e64 s0, 0, v4
	v_cndmask_b32_e64 v43, v5, v6, s0
; %bb.2029:                             ;   in Loop: Header=BB413_1192 Depth=1
	s_or_b32 exec_lo, exec_lo, s12
	v_lshrrev_b32_e32 v44, 16, v2
	s_mov_b32 s12, exec_lo
	s_delay_alu instid0(VALU_DEP_1) | instskip(NEXT) | instid1(VALU_DEP_1)
	v_dual_mov_b32 v6, 0 :: v_dual_and_b32 v7, 0xff, v44
	v_cmpx_ne_u16_e32 0, v7
	s_cbranch_execz .LBB413_2037
; %bb.2030:                             ;   in Loop: Header=BB413_1192 Depth=1
	v_bfrev_b32_e32 v6, 1
	s_mov_b32 s13, exec_lo
	v_cmpx_ne_u16_e32 0x80, v7
	s_cbranch_execz .LBB413_2036
; %bb.2031:                             ;   in Loop: Header=BB413_1192 Depth=1
	v_bfe_u32 v7, v2, 16, 7
	v_mov_b32_e32 v6, 0x7f800001
	s_mov_b32 s15, exec_lo
	s_delay_alu instid0(VALU_DEP_2)
	v_cmpx_ne_u32_e32 0x7f, v7
	s_cbranch_execz .LBB413_2035
; %bb.2032:                             ;   in Loop: Header=BB413_1192 Depth=1
	v_and_b32_e32 v9, 7, v44
	v_lshrrev_b32_e32 v45, 3, v7
	v_cmp_gt_u32_e64 s0, 8, v7
	s_delay_alu instid0(VALU_DEP_3) | instskip(NEXT) | instid1(VALU_DEP_2)
	v_dual_mov_b32 v6, v9 :: v_dual_mov_b32 v7, v10
	s_and_saveexec_b32 s17, s0
; %bb.2033:                             ;   in Loop: Header=BB413_1192 Depth=1
	v_clz_i32_u32_e32 v4, v9
	s_delay_alu instid0(VALU_DEP_1) | instskip(NEXT) | instid1(VALU_DEP_1)
	v_min_u32_e32 v4, 32, v4
	v_subrev_nc_u32_e32 v5, 28, v4
	v_sub_nc_u32_e32 v45, 29, v4
	s_delay_alu instid0(VALU_DEP_2) | instskip(NEXT) | instid1(VALU_DEP_1)
	v_lshlrev_b64 v[6:7], v5, v[9:10]
	v_and_b32_e32 v6, 7, v6
; %bb.2034:                             ;   in Loop: Header=BB413_1192 Depth=1
	s_or_b32 exec_lo, exec_lo, s17
	v_lshlrev_b32_e32 v4, 24, v44
	s_delay_alu instid0(VALU_DEP_2) | instskip(SKIP_1) | instid1(VALU_DEP_3)
	v_lshlrev_b32_e32 v5, 20, v6
	v_lshl_add_u32 v6, v45, 23, 0x3c000000
	v_and_b32_e32 v4, 0x80000000, v4
	s_delay_alu instid0(VALU_DEP_1)
	v_or3_b32 v6, v5, v4, v6
.LBB413_2035:                           ;   in Loop: Header=BB413_1192 Depth=1
	s_or_b32 exec_lo, exec_lo, s15
.LBB413_2036:                           ;   in Loop: Header=BB413_1192 Depth=1
	s_delay_alu instid0(SALU_CYCLE_1)
	s_or_b32 exec_lo, exec_lo, s13
.LBB413_2037:                           ;   in Loop: Header=BB413_1192 Depth=1
	s_delay_alu instid0(SALU_CYCLE_1) | instskip(NEXT) | instid1(VALU_DEP_1)
	s_or_b32 exec_lo, exec_lo, s12
	v_mul_f32_e32 v6, v8, v6
                                        ; implicit-def: $vgpr44
	s_delay_alu instid0(VALU_DEP_1) | instskip(NEXT) | instid1(VALU_DEP_1)
	v_and_b32_e32 v4, 0x7f800000, v6
	v_cmp_ne_u32_e64 s0, 0x7f800000, v4
	s_delay_alu instid0(VALU_DEP_1) | instskip(NEXT) | instid1(SALU_CYCLE_1)
	s_and_saveexec_b32 s12, s0
	s_xor_b32 s0, exec_lo, s12
; %bb.2038:                             ;   in Loop: Header=BB413_1192 Depth=1
	v_bfe_u32 v4, v6, 16, 1
	s_delay_alu instid0(VALU_DEP_1)
	v_add3_u32 v44, v6, v4, 0x7fff
                                        ; implicit-def: $vgpr6
; %bb.2039:                             ;   in Loop: Header=BB413_1192 Depth=1
	s_and_not1_saveexec_b32 s12, s0
; %bb.2040:                             ;   in Loop: Header=BB413_1192 Depth=1
	v_and_b32_e32 v4, 0xffff, v6
	v_or_b32_e32 v5, 0x10000, v6
	s_delay_alu instid0(VALU_DEP_2) | instskip(NEXT) | instid1(VALU_DEP_1)
	v_cmp_eq_u32_e64 s0, 0, v4
	v_cndmask_b32_e64 v44, v5, v6, s0
; %bb.2041:                             ;   in Loop: Header=BB413_1192 Depth=1
	s_or_b32 exec_lo, exec_lo, s12
	v_mov_b32_e32 v6, 0
	s_mov_b32 s12, exec_lo
	v_cmpx_lt_u32_e32 0xffffff, v2
	s_cbranch_execz .LBB413_2049
; %bb.2042:                             ;   in Loop: Header=BB413_1192 Depth=1
	v_lshrrev_b32_e32 v45, 24, v2
	v_bfrev_b32_e32 v6, 1
	s_mov_b32 s13, exec_lo
	s_delay_alu instid0(VALU_DEP_2)
	v_cmpx_ne_u32_e32 0x80, v45
	s_cbranch_execz .LBB413_2048
; %bb.2043:                             ;   in Loop: Header=BB413_1192 Depth=1
	v_bfe_u32 v7, v2, 24, 7
	v_mov_b32_e32 v6, 0x7f800001
	s_mov_b32 s15, exec_lo
	s_delay_alu instid0(VALU_DEP_2)
	v_cmpx_ne_u32_e32 0x7f, v7
	s_cbranch_execz .LBB413_2047
; %bb.2044:                             ;   in Loop: Header=BB413_1192 Depth=1
	v_and_b32_e32 v9, 7, v45
	v_lshrrev_b32_e32 v46, 3, v7
	v_cmp_gt_u32_e64 s0, 8, v7
	s_delay_alu instid0(VALU_DEP_3) | instskip(NEXT) | instid1(VALU_DEP_2)
	v_dual_mov_b32 v6, v9 :: v_dual_mov_b32 v7, v10
	s_and_saveexec_b32 s17, s0
; %bb.2045:                             ;   in Loop: Header=BB413_1192 Depth=1
	v_clz_i32_u32_e32 v4, v9
	s_delay_alu instid0(VALU_DEP_1) | instskip(NEXT) | instid1(VALU_DEP_1)
	v_min_u32_e32 v4, 32, v4
	v_subrev_nc_u32_e32 v5, 28, v4
	v_sub_nc_u32_e32 v46, 29, v4
	s_delay_alu instid0(VALU_DEP_2) | instskip(NEXT) | instid1(VALU_DEP_1)
	v_lshlrev_b64 v[6:7], v5, v[9:10]
	v_and_b32_e32 v6, 7, v6
; %bb.2046:                             ;   in Loop: Header=BB413_1192 Depth=1
	s_or_b32 exec_lo, exec_lo, s17
	v_lshlrev_b32_e32 v4, 24, v45
	s_delay_alu instid0(VALU_DEP_2) | instskip(SKIP_1) | instid1(VALU_DEP_3)
	v_lshlrev_b32_e32 v5, 20, v6
	v_lshl_add_u32 v6, v46, 23, 0x3c000000
	v_and_b32_e32 v4, 0x80000000, v4
	s_delay_alu instid0(VALU_DEP_1)
	v_or3_b32 v6, v5, v4, v6
.LBB413_2047:                           ;   in Loop: Header=BB413_1192 Depth=1
	s_or_b32 exec_lo, exec_lo, s15
.LBB413_2048:                           ;   in Loop: Header=BB413_1192 Depth=1
	s_delay_alu instid0(SALU_CYCLE_1)
	s_or_b32 exec_lo, exec_lo, s13
.LBB413_2049:                           ;   in Loop: Header=BB413_1192 Depth=1
	s_delay_alu instid0(SALU_CYCLE_1) | instskip(NEXT) | instid1(VALU_DEP_1)
	s_or_b32 exec_lo, exec_lo, s12
	v_mul_f32_e32 v6, v8, v6
                                        ; implicit-def: $vgpr45
	s_delay_alu instid0(VALU_DEP_1) | instskip(NEXT) | instid1(VALU_DEP_1)
	v_and_b32_e32 v4, 0x7f800000, v6
	v_cmp_ne_u32_e64 s0, 0x7f800000, v4
	s_delay_alu instid0(VALU_DEP_1) | instskip(NEXT) | instid1(SALU_CYCLE_1)
	s_and_saveexec_b32 s12, s0
	s_xor_b32 s0, exec_lo, s12
; %bb.2050:                             ;   in Loop: Header=BB413_1192 Depth=1
	v_bfe_u32 v4, v6, 16, 1
	s_delay_alu instid0(VALU_DEP_1)
	v_add3_u32 v45, v6, v4, 0x7fff
                                        ; implicit-def: $vgpr6
; %bb.2051:                             ;   in Loop: Header=BB413_1192 Depth=1
	s_and_not1_saveexec_b32 s12, s0
; %bb.2052:                             ;   in Loop: Header=BB413_1192 Depth=1
	v_and_b32_e32 v4, 0xffff, v6
	v_or_b32_e32 v5, 0x10000, v6
	s_delay_alu instid0(VALU_DEP_2) | instskip(NEXT) | instid1(VALU_DEP_1)
	v_cmp_eq_u32_e64 s0, 0, v4
	v_cndmask_b32_e64 v45, v5, v6, s0
; %bb.2053:                             ;   in Loop: Header=BB413_1192 Depth=1
	s_or_b32 exec_lo, exec_lo, s12
	v_dual_mov_b32 v6, 0 :: v_dual_and_b32 v7, 0xff, v3
	v_mov_b32_e32 v9, v3
	s_mov_b32 s12, exec_lo
	s_delay_alu instid0(VALU_DEP_2)
	v_cmpx_ne_u16_e32 0, v7
	s_cbranch_execz .LBB413_2061
; %bb.2054:                             ;   in Loop: Header=BB413_1192 Depth=1
	v_bfrev_b32_e32 v6, 1
	s_mov_b32 s13, exec_lo
	v_cmpx_ne_u16_e32 0x80, v7
	s_cbranch_execz .LBB413_2060
; %bb.2055:                             ;   in Loop: Header=BB413_1192 Depth=1
	v_and_b32_e32 v7, 0x7f, v3
	v_mov_b32_e32 v6, 0x7f800001
	s_mov_b32 s15, exec_lo
	s_delay_alu instid0(VALU_DEP_2)
	v_cmpx_ne_u32_e32 0x7f, v7
	s_cbranch_execz .LBB413_2059
; %bb.2056:                             ;   in Loop: Header=BB413_1192 Depth=1
	v_lshrrev_b32_e32 v46, 3, v7
	v_cmp_gt_u32_e64 s0, 8, v7
	v_dual_mov_b32 v6, v9 :: v_dual_mov_b32 v7, v10
	s_delay_alu instid0(VALU_DEP_2)
	s_and_saveexec_b32 s17, s0
; %bb.2057:                             ;   in Loop: Header=BB413_1192 Depth=1
	v_and_b32_e32 v4, 7, v3
	s_delay_alu instid0(VALU_DEP_1) | instskip(NEXT) | instid1(VALU_DEP_1)
	v_clz_i32_u32_e32 v4, v4
	v_min_u32_e32 v4, 32, v4
	s_delay_alu instid0(VALU_DEP_1) | instskip(SKIP_1) | instid1(VALU_DEP_2)
	v_subrev_nc_u32_e32 v5, 28, v4
	v_sub_nc_u32_e32 v46, 29, v4
	v_lshlrev_b64 v[6:7], v5, v[9:10]
; %bb.2058:                             ;   in Loop: Header=BB413_1192 Depth=1
	s_or_b32 exec_lo, exec_lo, s17
	s_delay_alu instid0(VALU_DEP_1) | instskip(SKIP_2) | instid1(VALU_DEP_3)
	v_lshlrev_b32_e32 v4, 20, v6
	v_lshlrev_b32_e32 v5, 24, v9
	v_lshl_add_u32 v6, v46, 23, 0x3c000000
	v_and_b32_e32 v4, 0x700000, v4
	s_delay_alu instid0(VALU_DEP_3) | instskip(NEXT) | instid1(VALU_DEP_1)
	v_and_b32_e32 v5, 0x80000000, v5
	v_or3_b32 v6, v4, v5, v6
.LBB413_2059:                           ;   in Loop: Header=BB413_1192 Depth=1
	s_or_b32 exec_lo, exec_lo, s15
.LBB413_2060:                           ;   in Loop: Header=BB413_1192 Depth=1
	s_delay_alu instid0(SALU_CYCLE_1)
	s_or_b32 exec_lo, exec_lo, s13
.LBB413_2061:                           ;   in Loop: Header=BB413_1192 Depth=1
	s_delay_alu instid0(SALU_CYCLE_1) | instskip(NEXT) | instid1(VALU_DEP_1)
	s_or_b32 exec_lo, exec_lo, s12
	v_mul_f32_e32 v6, v8, v6
                                        ; implicit-def: $vgpr46
	s_delay_alu instid0(VALU_DEP_1) | instskip(NEXT) | instid1(VALU_DEP_1)
	v_and_b32_e32 v4, 0x7f800000, v6
	v_cmp_ne_u32_e64 s0, 0x7f800000, v4
	s_delay_alu instid0(VALU_DEP_1) | instskip(NEXT) | instid1(SALU_CYCLE_1)
	s_and_saveexec_b32 s12, s0
	s_xor_b32 s0, exec_lo, s12
; %bb.2062:                             ;   in Loop: Header=BB413_1192 Depth=1
	v_bfe_u32 v4, v6, 16, 1
	s_delay_alu instid0(VALU_DEP_1)
	v_add3_u32 v46, v6, v4, 0x7fff
                                        ; implicit-def: $vgpr6
; %bb.2063:                             ;   in Loop: Header=BB413_1192 Depth=1
	s_and_not1_saveexec_b32 s12, s0
; %bb.2064:                             ;   in Loop: Header=BB413_1192 Depth=1
	v_and_b32_e32 v4, 0xffff, v6
	v_or_b32_e32 v5, 0x10000, v6
	s_delay_alu instid0(VALU_DEP_2) | instskip(NEXT) | instid1(VALU_DEP_1)
	v_cmp_eq_u32_e64 s0, 0, v4
	v_cndmask_b32_e64 v46, v5, v6, s0
; %bb.2065:                             ;   in Loop: Header=BB413_1192 Depth=1
	s_or_b32 exec_lo, exec_lo, s12
	v_lshrrev_b16 v7, 8, v9
	v_mov_b32_e32 v6, 0
	s_mov_b32 s12, exec_lo
	s_delay_alu instid0(VALU_DEP_2)
	v_cmpx_ne_u16_e32 0, v7
	s_cbranch_execz .LBB413_2073
; %bb.2066:                             ;   in Loop: Header=BB413_1192 Depth=1
	v_bfrev_b32_e32 v6, 1
	s_mov_b32 s13, exec_lo
	v_cmpx_ne_u16_e32 0x80, v7
	s_cbranch_execz .LBB413_2072
; %bb.2067:                             ;   in Loop: Header=BB413_1192 Depth=1
	v_and_b32_e32 v7, 0xffff, v7
	v_mov_b32_e32 v6, 0x7f800001
	s_mov_b32 s15, exec_lo
	s_delay_alu instid0(VALU_DEP_2) | instskip(NEXT) | instid1(VALU_DEP_1)
	v_and_b32_e32 v56, 0x7f, v7
	v_cmpx_ne_u32_e32 0x7f, v56
	s_cbranch_execz .LBB413_2071
; %bb.2068:                             ;   in Loop: Header=BB413_1192 Depth=1
	v_dual_mov_b32 v7, v10 :: v_dual_and_b32 v6, 7, v7
	v_lshrrev_b32_e32 v47, 3, v56
	s_mov_b32 s17, exec_lo
	v_cmpx_gt_u32_e32 8, v56
; %bb.2069:                             ;   in Loop: Header=BB413_1192 Depth=1
	s_delay_alu instid0(VALU_DEP_3) | instskip(NEXT) | instid1(VALU_DEP_1)
	v_clz_i32_u32_e32 v4, v6
	v_min_u32_e32 v4, 32, v4
	s_delay_alu instid0(VALU_DEP_1) | instskip(SKIP_1) | instid1(VALU_DEP_2)
	v_subrev_nc_u32_e32 v5, 28, v4
	v_sub_nc_u32_e32 v47, 29, v4
	v_lshlrev_b64 v[6:7], v5, v[6:7]
	s_delay_alu instid0(VALU_DEP_1)
	v_and_b32_e32 v6, 7, v6
; %bb.2070:                             ;   in Loop: Header=BB413_1192 Depth=1
	s_or_b32 exec_lo, exec_lo, s17
	v_lshlrev_b32_e32 v4, 16, v9
	s_delay_alu instid0(VALU_DEP_2) | instskip(SKIP_1) | instid1(VALU_DEP_3)
	v_lshlrev_b32_e32 v5, 20, v6
	v_lshl_add_u32 v6, v47, 23, 0x3c000000
	v_and_b32_e32 v4, 0x80000000, v4
	s_delay_alu instid0(VALU_DEP_1)
	v_or3_b32 v6, v5, v4, v6
.LBB413_2071:                           ;   in Loop: Header=BB413_1192 Depth=1
	s_or_b32 exec_lo, exec_lo, s15
.LBB413_2072:                           ;   in Loop: Header=BB413_1192 Depth=1
	s_delay_alu instid0(SALU_CYCLE_1)
	s_or_b32 exec_lo, exec_lo, s13
.LBB413_2073:                           ;   in Loop: Header=BB413_1192 Depth=1
	s_delay_alu instid0(SALU_CYCLE_1) | instskip(NEXT) | instid1(VALU_DEP_1)
	s_or_b32 exec_lo, exec_lo, s12
	v_mul_f32_e32 v6, v8, v6
                                        ; implicit-def: $vgpr47
	s_delay_alu instid0(VALU_DEP_1) | instskip(NEXT) | instid1(VALU_DEP_1)
	v_and_b32_e32 v4, 0x7f800000, v6
	v_cmp_ne_u32_e64 s0, 0x7f800000, v4
	s_delay_alu instid0(VALU_DEP_1) | instskip(NEXT) | instid1(SALU_CYCLE_1)
	s_and_saveexec_b32 s12, s0
	s_xor_b32 s0, exec_lo, s12
; %bb.2074:                             ;   in Loop: Header=BB413_1192 Depth=1
	v_bfe_u32 v4, v6, 16, 1
	s_delay_alu instid0(VALU_DEP_1)
	v_add3_u32 v47, v6, v4, 0x7fff
                                        ; implicit-def: $vgpr6
; %bb.2075:                             ;   in Loop: Header=BB413_1192 Depth=1
	s_and_not1_saveexec_b32 s12, s0
; %bb.2076:                             ;   in Loop: Header=BB413_1192 Depth=1
	v_and_b32_e32 v4, 0xffff, v6
	v_or_b32_e32 v5, 0x10000, v6
	s_delay_alu instid0(VALU_DEP_2) | instskip(NEXT) | instid1(VALU_DEP_1)
	v_cmp_eq_u32_e64 s0, 0, v4
	v_cndmask_b32_e64 v47, v5, v6, s0
; %bb.2077:                             ;   in Loop: Header=BB413_1192 Depth=1
	s_or_b32 exec_lo, exec_lo, s12
	v_lshrrev_b32_e32 v56, 16, v3
	s_mov_b32 s12, exec_lo
	s_delay_alu instid0(VALU_DEP_1) | instskip(NEXT) | instid1(VALU_DEP_1)
	v_dual_mov_b32 v6, 0 :: v_dual_and_b32 v7, 0xff, v56
	v_cmpx_ne_u16_e32 0, v7
	s_cbranch_execz .LBB413_2085
; %bb.2078:                             ;   in Loop: Header=BB413_1192 Depth=1
	v_bfrev_b32_e32 v6, 1
	s_mov_b32 s13, exec_lo
	v_cmpx_ne_u16_e32 0x80, v7
	s_cbranch_execz .LBB413_2084
; %bb.2079:                             ;   in Loop: Header=BB413_1192 Depth=1
	v_bfe_u32 v7, v3, 16, 7
	v_mov_b32_e32 v6, 0x7f800001
	s_mov_b32 s15, exec_lo
	s_delay_alu instid0(VALU_DEP_2)
	v_cmpx_ne_u32_e32 0x7f, v7
	s_cbranch_execz .LBB413_2083
; %bb.2080:                             ;   in Loop: Header=BB413_1192 Depth=1
	v_and_b32_e32 v9, 7, v56
	v_lshrrev_b32_e32 v57, 3, v7
	v_cmp_gt_u32_e64 s0, 8, v7
	s_delay_alu instid0(VALU_DEP_3) | instskip(NEXT) | instid1(VALU_DEP_2)
	v_dual_mov_b32 v6, v9 :: v_dual_mov_b32 v7, v10
	s_and_saveexec_b32 s17, s0
; %bb.2081:                             ;   in Loop: Header=BB413_1192 Depth=1
	v_clz_i32_u32_e32 v4, v9
	s_delay_alu instid0(VALU_DEP_1) | instskip(NEXT) | instid1(VALU_DEP_1)
	v_min_u32_e32 v4, 32, v4
	v_subrev_nc_u32_e32 v5, 28, v4
	v_sub_nc_u32_e32 v57, 29, v4
	s_delay_alu instid0(VALU_DEP_2) | instskip(NEXT) | instid1(VALU_DEP_1)
	v_lshlrev_b64 v[6:7], v5, v[9:10]
	v_and_b32_e32 v6, 7, v6
; %bb.2082:                             ;   in Loop: Header=BB413_1192 Depth=1
	s_or_b32 exec_lo, exec_lo, s17
	v_lshlrev_b32_e32 v4, 24, v56
	s_delay_alu instid0(VALU_DEP_2) | instskip(SKIP_1) | instid1(VALU_DEP_3)
	v_lshlrev_b32_e32 v5, 20, v6
	v_lshl_add_u32 v6, v57, 23, 0x3c000000
	v_and_b32_e32 v4, 0x80000000, v4
	s_delay_alu instid0(VALU_DEP_1)
	v_or3_b32 v6, v5, v4, v6
.LBB413_2083:                           ;   in Loop: Header=BB413_1192 Depth=1
	s_or_b32 exec_lo, exec_lo, s15
.LBB413_2084:                           ;   in Loop: Header=BB413_1192 Depth=1
	s_delay_alu instid0(SALU_CYCLE_1)
	s_or_b32 exec_lo, exec_lo, s13
.LBB413_2085:                           ;   in Loop: Header=BB413_1192 Depth=1
	s_delay_alu instid0(SALU_CYCLE_1) | instskip(NEXT) | instid1(VALU_DEP_1)
	s_or_b32 exec_lo, exec_lo, s12
	v_mul_f32_e32 v6, v8, v6
                                        ; implicit-def: $vgpr56
	s_delay_alu instid0(VALU_DEP_1) | instskip(NEXT) | instid1(VALU_DEP_1)
	v_and_b32_e32 v4, 0x7f800000, v6
	v_cmp_ne_u32_e64 s0, 0x7f800000, v4
	s_delay_alu instid0(VALU_DEP_1) | instskip(NEXT) | instid1(SALU_CYCLE_1)
	s_and_saveexec_b32 s12, s0
	s_xor_b32 s0, exec_lo, s12
; %bb.2086:                             ;   in Loop: Header=BB413_1192 Depth=1
	v_bfe_u32 v4, v6, 16, 1
	s_delay_alu instid0(VALU_DEP_1)
	v_add3_u32 v56, v6, v4, 0x7fff
                                        ; implicit-def: $vgpr6
; %bb.2087:                             ;   in Loop: Header=BB413_1192 Depth=1
	s_and_not1_saveexec_b32 s12, s0
; %bb.2088:                             ;   in Loop: Header=BB413_1192 Depth=1
	v_and_b32_e32 v4, 0xffff, v6
	v_or_b32_e32 v5, 0x10000, v6
	s_delay_alu instid0(VALU_DEP_2) | instskip(NEXT) | instid1(VALU_DEP_1)
	v_cmp_eq_u32_e64 s0, 0, v4
	v_cndmask_b32_e64 v56, v5, v6, s0
; %bb.2089:                             ;   in Loop: Header=BB413_1192 Depth=1
	s_or_b32 exec_lo, exec_lo, s12
	v_cmp_lt_u64_e64 s0, s[8:9], v[2:3]
	v_mov_b32_e32 v2, 0
	s_delay_alu instid0(VALU_DEP_2)
	s_and_saveexec_b32 s12, s0
	s_cbranch_execz .LBB413_2097
; %bb.2090:                             ;   in Loop: Header=BB413_1192 Depth=1
	v_lshrrev_b32_e32 v6, 24, v3
	v_bfrev_b32_e32 v2, 1
	s_mov_b32 s13, exec_lo
	s_delay_alu instid0(VALU_DEP_2)
	v_cmpx_ne_u32_e32 0x80, v6
	s_cbranch_execz .LBB413_2096
; %bb.2091:                             ;   in Loop: Header=BB413_1192 Depth=1
	v_bfe_u32 v3, v3, 24, 7
	v_mov_b32_e32 v2, 0x7f800001
	s_mov_b32 s15, exec_lo
	s_delay_alu instid0(VALU_DEP_2)
	v_cmpx_ne_u32_e32 0x7f, v3
	s_cbranch_execz .LBB413_2095
; %bb.2092:                             ;   in Loop: Header=BB413_1192 Depth=1
	v_and_b32_e32 v9, 7, v6
	v_lshrrev_b32_e32 v7, 3, v3
	v_cmp_gt_u32_e64 s0, 8, v3
	s_delay_alu instid0(VALU_DEP_3) | instskip(NEXT) | instid1(VALU_DEP_2)
	v_dual_mov_b32 v2, v9 :: v_dual_mov_b32 v3, v10
	s_and_saveexec_b32 s17, s0
; %bb.2093:                             ;   in Loop: Header=BB413_1192 Depth=1
	v_clz_i32_u32_e32 v2, v9
	s_delay_alu instid0(VALU_DEP_1) | instskip(NEXT) | instid1(VALU_DEP_1)
	v_min_u32_e32 v4, 32, v2
	v_subrev_nc_u32_e32 v2, 28, v4
	v_sub_nc_u32_e32 v7, 29, v4
	s_delay_alu instid0(VALU_DEP_2) | instskip(NEXT) | instid1(VALU_DEP_1)
	v_lshlrev_b64 v[2:3], v2, v[9:10]
	v_and_b32_e32 v2, 7, v2
; %bb.2094:                             ;   in Loop: Header=BB413_1192 Depth=1
	s_or_b32 exec_lo, exec_lo, s17
	v_lshlrev_b32_e32 v3, 24, v6
	s_delay_alu instid0(VALU_DEP_2) | instskip(SKIP_1) | instid1(VALU_DEP_3)
	v_lshlrev_b32_e32 v2, 20, v2
	v_lshl_add_u32 v4, v7, 23, 0x3c000000
	v_and_b32_e32 v3, 0x80000000, v3
	s_delay_alu instid0(VALU_DEP_1)
	v_or3_b32 v2, v2, v3, v4
.LBB413_2095:                           ;   in Loop: Header=BB413_1192 Depth=1
	s_or_b32 exec_lo, exec_lo, s15
.LBB413_2096:                           ;   in Loop: Header=BB413_1192 Depth=1
	s_delay_alu instid0(SALU_CYCLE_1)
	s_or_b32 exec_lo, exec_lo, s13
.LBB413_2097:                           ;   in Loop: Header=BB413_1192 Depth=1
	s_delay_alu instid0(SALU_CYCLE_1) | instskip(NEXT) | instid1(VALU_DEP_1)
	s_or_b32 exec_lo, exec_lo, s12
	v_mul_f32_e32 v3, v8, v2
	s_delay_alu instid0(VALU_DEP_1) | instskip(NEXT) | instid1(VALU_DEP_1)
	v_and_b32_e32 v2, 0x7f800000, v3
	v_cmp_ne_u32_e64 s0, 0x7f800000, v2
                                        ; implicit-def: $vgpr2
	s_delay_alu instid0(VALU_DEP_1) | instskip(NEXT) | instid1(SALU_CYCLE_1)
	s_and_saveexec_b32 s12, s0
	s_xor_b32 s0, exec_lo, s12
; %bb.2098:                             ;   in Loop: Header=BB413_1192 Depth=1
	v_bfe_u32 v2, v3, 16, 1
	s_delay_alu instid0(VALU_DEP_1)
	v_add3_u32 v2, v3, v2, 0x7fff
                                        ; implicit-def: $vgpr3
; %bb.2099:                             ;   in Loop: Header=BB413_1192 Depth=1
	s_and_not1_saveexec_b32 s12, s0
; %bb.2100:                             ;   in Loop: Header=BB413_1192 Depth=1
	v_and_b32_e32 v2, 0xffff, v3
	v_or_b32_e32 v4, 0x10000, v3
	s_delay_alu instid0(VALU_DEP_2) | instskip(NEXT) | instid1(VALU_DEP_1)
	v_cmp_eq_u32_e64 s0, 0, v2
	v_cndmask_b32_e64 v2, v4, v3, s0
; %bb.2101:                             ;   in Loop: Header=BB413_1192 Depth=1
	s_or_b32 exec_lo, exec_lo, s12
	v_lshrrev_b32_e32 v6, 16, v47
	v_lshrrev_b32_e32 v7, 16, v46
	;; [unrolled: 1-line block ×8, first 2 shown]
	s_and_saveexec_b32 s12, vcc_lo
	s_cbranch_execz .LBB413_2103
; %bb.2102:                             ;   in Loop: Header=BB413_1192 Depth=1
	v_cmp_lt_i32_e64 s0, v66, v85
	s_delay_alu instid0(VALU_DEP_1) | instskip(SKIP_1) | instid1(VALU_DEP_1)
	v_cndmask_b32_e64 v42, 0, v42, s0
	v_cmp_lt_i32_e64 s0, v81, v85
	v_cndmask_b32_e64 v43, 0, v43, s0
	v_cmp_lt_i32_e64 s0, v80, v85
	s_delay_alu instid0(VALU_DEP_1) | instskip(SKIP_1) | instid1(VALU_DEP_1)
	v_cndmask_b32_e64 v44, 0, v44, s0
	v_cmp_lt_i32_e64 s0, v71, v85
	v_cndmask_b32_e64 v9, 0, v9, s0
	;; [unrolled: 5-line block ×4, first 2 shown]
.LBB413_2103:                           ;   in Loop: Header=BB413_1192 Depth=1
	s_or_b32 exec_lo, exec_lo, s12
	v_lshlrev_b32_e32 v4, 16, v42
                                        ; implicit-def: $vgpr42
	s_delay_alu instid0(VALU_DEP_1) | instskip(NEXT) | instid1(VALU_DEP_1)
	v_mul_f32_e32 v45, v82, v4
	v_and_b32_e32 v4, 0x7f800000, v45
	s_delay_alu instid0(VALU_DEP_1) | instskip(NEXT) | instid1(VALU_DEP_1)
	v_cmp_ne_u32_e64 s0, 0x7f800000, v4
	s_and_saveexec_b32 s12, s0
	s_delay_alu instid0(SALU_CYCLE_1)
	s_xor_b32 s0, exec_lo, s12
; %bb.2104:                             ;   in Loop: Header=BB413_1192 Depth=1
	v_bfe_u32 v4, v45, 16, 1
	s_delay_alu instid0(VALU_DEP_1)
	v_add3_u32 v42, v45, v4, 0x7fff
                                        ; implicit-def: $vgpr45
; %bb.2105:                             ;   in Loop: Header=BB413_1192 Depth=1
	s_and_not1_saveexec_b32 s12, s0
; %bb.2106:                             ;   in Loop: Header=BB413_1192 Depth=1
	v_and_b32_e32 v4, 0xffff, v45
	v_or_b32_e32 v5, 0x10000, v45
	s_delay_alu instid0(VALU_DEP_2) | instskip(NEXT) | instid1(VALU_DEP_1)
	v_cmp_eq_u32_e64 s0, 0, v4
	v_cndmask_b32_e64 v42, v5, v45, s0
; %bb.2107:                             ;   in Loop: Header=BB413_1192 Depth=1
	s_or_b32 exec_lo, exec_lo, s12
	v_lshlrev_b32_e32 v4, 16, v43
                                        ; implicit-def: $vgpr43
	s_delay_alu instid0(VALU_DEP_1) | instskip(NEXT) | instid1(VALU_DEP_1)
	v_mul_f32_e32 v45, v83, v4
	v_and_b32_e32 v4, 0x7f800000, v45
	s_delay_alu instid0(VALU_DEP_1) | instskip(NEXT) | instid1(VALU_DEP_1)
	v_cmp_ne_u32_e64 s0, 0x7f800000, v4
	s_and_saveexec_b32 s12, s0
	s_delay_alu instid0(SALU_CYCLE_1)
	s_xor_b32 s0, exec_lo, s12
; %bb.2108:                             ;   in Loop: Header=BB413_1192 Depth=1
	v_bfe_u32 v4, v45, 16, 1
	s_delay_alu instid0(VALU_DEP_1)
	v_add3_u32 v43, v45, v4, 0x7fff
                                        ; implicit-def: $vgpr45
; %bb.2109:                             ;   in Loop: Header=BB413_1192 Depth=1
	s_and_not1_saveexec_b32 s12, s0
; %bb.2110:                             ;   in Loop: Header=BB413_1192 Depth=1
	v_and_b32_e32 v4, 0xffff, v45
	v_or_b32_e32 v5, 0x10000, v45
	s_delay_alu instid0(VALU_DEP_2) | instskip(NEXT) | instid1(VALU_DEP_1)
	v_cmp_eq_u32_e64 s0, 0, v4
	v_cndmask_b32_e64 v43, v5, v45, s0
; %bb.2111:                             ;   in Loop: Header=BB413_1192 Depth=1
	s_or_b32 exec_lo, exec_lo, s12
	v_lshlrev_b32_e32 v4, 16, v44
                                        ; implicit-def: $vgpr44
	s_delay_alu instid0(VALU_DEP_1) | instskip(NEXT) | instid1(VALU_DEP_1)
	v_mul_f32_e32 v45, v100, v4
	v_and_b32_e32 v4, 0x7f800000, v45
	s_delay_alu instid0(VALU_DEP_1) | instskip(NEXT) | instid1(VALU_DEP_1)
	v_cmp_ne_u32_e64 s0, 0x7f800000, v4
	s_and_saveexec_b32 s12, s0
	s_delay_alu instid0(SALU_CYCLE_1)
	s_xor_b32 s0, exec_lo, s12
; %bb.2112:                             ;   in Loop: Header=BB413_1192 Depth=1
	v_bfe_u32 v4, v45, 16, 1
	s_delay_alu instid0(VALU_DEP_1)
	v_add3_u32 v44, v45, v4, 0x7fff
                                        ; implicit-def: $vgpr45
; %bb.2113:                             ;   in Loop: Header=BB413_1192 Depth=1
	s_and_not1_saveexec_b32 s12, s0
; %bb.2114:                             ;   in Loop: Header=BB413_1192 Depth=1
	v_and_b32_e32 v4, 0xffff, v45
	v_or_b32_e32 v5, 0x10000, v45
	s_delay_alu instid0(VALU_DEP_2) | instskip(NEXT) | instid1(VALU_DEP_1)
	v_cmp_eq_u32_e64 s0, 0, v4
	v_cndmask_b32_e64 v44, v5, v45, s0
; %bb.2115:                             ;   in Loop: Header=BB413_1192 Depth=1
	s_or_b32 exec_lo, exec_lo, s12
	v_lshlrev_b32_e32 v4, 16, v9
                                        ; implicit-def: $vgpr45
	s_delay_alu instid0(VALU_DEP_1) | instskip(NEXT) | instid1(VALU_DEP_1)
	v_mul_f32_e32 v9, v101, v4
	v_and_b32_e32 v4, 0x7f800000, v9
	s_delay_alu instid0(VALU_DEP_1) | instskip(NEXT) | instid1(VALU_DEP_1)
	v_cmp_ne_u32_e64 s0, 0x7f800000, v4
	s_and_saveexec_b32 s12, s0
	s_delay_alu instid0(SALU_CYCLE_1)
	s_xor_b32 s0, exec_lo, s12
; %bb.2116:                             ;   in Loop: Header=BB413_1192 Depth=1
	v_bfe_u32 v4, v9, 16, 1
	s_delay_alu instid0(VALU_DEP_1)
	v_add3_u32 v45, v9, v4, 0x7fff
                                        ; implicit-def: $vgpr9
; %bb.2117:                             ;   in Loop: Header=BB413_1192 Depth=1
	s_and_not1_saveexec_b32 s12, s0
; %bb.2118:                             ;   in Loop: Header=BB413_1192 Depth=1
	v_and_b32_e32 v4, 0xffff, v9
	v_or_b32_e32 v5, 0x10000, v9
	s_delay_alu instid0(VALU_DEP_2) | instskip(NEXT) | instid1(VALU_DEP_1)
	v_cmp_eq_u32_e64 s0, 0, v4
	v_cndmask_b32_e64 v45, v5, v9, s0
; %bb.2119:                             ;   in Loop: Header=BB413_1192 Depth=1
	s_or_b32 exec_lo, exec_lo, s12
	v_lshlrev_b32_e32 v4, 16, v7
                                        ; implicit-def: $vgpr46
	s_delay_alu instid0(VALU_DEP_1) | instskip(NEXT) | instid1(VALU_DEP_1)
	v_mul_f32_e32 v7, v102, v4
	v_and_b32_e32 v4, 0x7f800000, v7
	s_delay_alu instid0(VALU_DEP_1) | instskip(NEXT) | instid1(VALU_DEP_1)
	v_cmp_ne_u32_e64 s0, 0x7f800000, v4
	s_and_saveexec_b32 s12, s0
	s_delay_alu instid0(SALU_CYCLE_1)
	s_xor_b32 s0, exec_lo, s12
; %bb.2120:                             ;   in Loop: Header=BB413_1192 Depth=1
	v_bfe_u32 v4, v7, 16, 1
	s_delay_alu instid0(VALU_DEP_1)
	v_add3_u32 v46, v7, v4, 0x7fff
                                        ; implicit-def: $vgpr7
; %bb.2121:                             ;   in Loop: Header=BB413_1192 Depth=1
	s_and_not1_saveexec_b32 s12, s0
; %bb.2122:                             ;   in Loop: Header=BB413_1192 Depth=1
	v_and_b32_e32 v4, 0xffff, v7
	v_or_b32_e32 v5, 0x10000, v7
	s_delay_alu instid0(VALU_DEP_2) | instskip(NEXT) | instid1(VALU_DEP_1)
	v_cmp_eq_u32_e64 s0, 0, v4
	v_cndmask_b32_e64 v46, v5, v7, s0
; %bb.2123:                             ;   in Loop: Header=BB413_1192 Depth=1
	s_or_b32 exec_lo, exec_lo, s12
	v_lshlrev_b32_e32 v4, 16, v6
                                        ; implicit-def: $vgpr47
	s_delay_alu instid0(VALU_DEP_1) | instskip(NEXT) | instid1(VALU_DEP_1)
	v_mul_f32_e32 v6, v103, v4
	v_and_b32_e32 v4, 0x7f800000, v6
	s_delay_alu instid0(VALU_DEP_1) | instskip(NEXT) | instid1(VALU_DEP_1)
	v_cmp_ne_u32_e64 s0, 0x7f800000, v4
	s_and_saveexec_b32 s12, s0
	s_delay_alu instid0(SALU_CYCLE_1)
	s_xor_b32 s0, exec_lo, s12
; %bb.2124:                             ;   in Loop: Header=BB413_1192 Depth=1
	v_bfe_u32 v4, v6, 16, 1
	s_delay_alu instid0(VALU_DEP_1)
	v_add3_u32 v47, v6, v4, 0x7fff
                                        ; implicit-def: $vgpr6
; %bb.2125:                             ;   in Loop: Header=BB413_1192 Depth=1
	s_and_not1_saveexec_b32 s12, s0
; %bb.2126:                             ;   in Loop: Header=BB413_1192 Depth=1
	v_and_b32_e32 v4, 0xffff, v6
	v_or_b32_e32 v5, 0x10000, v6
	s_delay_alu instid0(VALU_DEP_2) | instskip(NEXT) | instid1(VALU_DEP_1)
	v_cmp_eq_u32_e64 s0, 0, v4
	v_cndmask_b32_e64 v47, v5, v6, s0
; %bb.2127:                             ;   in Loop: Header=BB413_1192 Depth=1
	s_or_b32 exec_lo, exec_lo, s12
	v_lshlrev_b32_e32 v3, 16, v3
                                        ; implicit-def: $vgpr56
	s_delay_alu instid0(VALU_DEP_1) | instskip(NEXT) | instid1(VALU_DEP_1)
	v_mul_f32_e32 v3, v112, v3
	v_and_b32_e32 v4, 0x7f800000, v3
	s_delay_alu instid0(VALU_DEP_1) | instskip(NEXT) | instid1(VALU_DEP_1)
	v_cmp_ne_u32_e64 s0, 0x7f800000, v4
	s_and_saveexec_b32 s12, s0
	s_delay_alu instid0(SALU_CYCLE_1)
	s_xor_b32 s0, exec_lo, s12
; %bb.2128:                             ;   in Loop: Header=BB413_1192 Depth=1
	v_bfe_u32 v4, v3, 16, 1
	s_delay_alu instid0(VALU_DEP_1)
	v_add3_u32 v56, v3, v4, 0x7fff
                                        ; implicit-def: $vgpr3
; %bb.2129:                             ;   in Loop: Header=BB413_1192 Depth=1
	s_and_not1_saveexec_b32 s12, s0
; %bb.2130:                             ;   in Loop: Header=BB413_1192 Depth=1
	v_and_b32_e32 v4, 0xffff, v3
	v_or_b32_e32 v5, 0x10000, v3
	s_delay_alu instid0(VALU_DEP_2) | instskip(NEXT) | instid1(VALU_DEP_1)
	v_cmp_eq_u32_e64 s0, 0, v4
	v_cndmask_b32_e64 v56, v5, v3, s0
; %bb.2131:                             ;   in Loop: Header=BB413_1192 Depth=1
	s_or_b32 exec_lo, exec_lo, s12
	v_lshlrev_b32_e32 v2, 16, v2
                                        ; implicit-def: $vgpr57
	s_delay_alu instid0(VALU_DEP_1) | instskip(NEXT) | instid1(VALU_DEP_1)
	v_mul_f32_e32 v2, v113, v2
	v_and_b32_e32 v3, 0x7f800000, v2
	s_delay_alu instid0(VALU_DEP_1) | instskip(NEXT) | instid1(VALU_DEP_1)
	v_cmp_ne_u32_e64 s0, 0x7f800000, v3
	s_and_saveexec_b32 s12, s0
	s_delay_alu instid0(SALU_CYCLE_1)
	s_xor_b32 s0, exec_lo, s12
; %bb.2132:                             ;   in Loop: Header=BB413_1192 Depth=1
	v_bfe_u32 v3, v2, 16, 1
	s_delay_alu instid0(VALU_DEP_1)
	v_add3_u32 v57, v2, v3, 0x7fff
                                        ; implicit-def: $vgpr2
; %bb.2133:                             ;   in Loop: Header=BB413_1192 Depth=1
	s_and_not1_saveexec_b32 s12, s0
; %bb.2134:                             ;   in Loop: Header=BB413_1192 Depth=1
	v_and_b32_e32 v3, 0xffff, v2
	v_or_b32_e32 v4, 0x10000, v2
	s_delay_alu instid0(VALU_DEP_2) | instskip(NEXT) | instid1(VALU_DEP_1)
	v_cmp_eq_u32_e64 s0, 0, v3
	v_cndmask_b32_e64 v57, v4, v2, s0
; %bb.2135:                             ;   in Loop: Header=BB413_1192 Depth=1
	s_or_b32 exec_lo, exec_lo, s12
	flat_load_b64 v[2:3], v[0:1] offset:1792
	s_mov_b32 s12, exec_lo
	s_waitcnt vmcnt(0) lgkmcnt(0)
	v_dual_mov_b32 v6, 0 :: v_dual_and_b32 v7, 0xff, v2
	s_delay_alu instid0(VALU_DEP_1)
	v_cmpx_ne_u16_e32 0, v7
	s_cbranch_execz .LBB413_2143
; %bb.2136:                             ;   in Loop: Header=BB413_1192 Depth=1
	v_bfrev_b32_e32 v6, 1
	s_mov_b32 s13, exec_lo
	v_cmpx_ne_u16_e32 0x80, v7
	s_cbranch_execz .LBB413_2142
; %bb.2137:                             ;   in Loop: Header=BB413_1192 Depth=1
	v_and_b32_e32 v7, 0x7f, v2
	v_mov_b32_e32 v6, 0x7f800001
	s_mov_b32 s15, exec_lo
	s_delay_alu instid0(VALU_DEP_2)
	v_cmpx_ne_u32_e32 0x7f, v7
	s_cbranch_execz .LBB413_2141
; %bb.2138:                             ;   in Loop: Header=BB413_1192 Depth=1
	v_lshrrev_b32_e32 v9, 3, v7
	v_cmp_gt_u32_e64 s0, 8, v7
	v_dual_mov_b32 v7, v3 :: v_dual_mov_b32 v6, v2
	s_delay_alu instid0(VALU_DEP_2)
	s_and_saveexec_b32 s17, s0
; %bb.2139:                             ;   in Loop: Header=BB413_1192 Depth=1
	v_and_b32_e32 v4, 7, v2
	s_delay_alu instid0(VALU_DEP_1) | instskip(NEXT) | instid1(VALU_DEP_1)
	v_clz_i32_u32_e32 v4, v4
	v_min_u32_e32 v4, 32, v4
	s_delay_alu instid0(VALU_DEP_1) | instskip(SKIP_1) | instid1(VALU_DEP_2)
	v_subrev_nc_u32_e32 v5, 28, v4
	v_sub_nc_u32_e32 v9, 29, v4
	v_lshlrev_b64 v[6:7], v5, v[2:3]
; %bb.2140:                             ;   in Loop: Header=BB413_1192 Depth=1
	s_or_b32 exec_lo, exec_lo, s17
	s_delay_alu instid0(VALU_DEP_1) | instskip(SKIP_2) | instid1(VALU_DEP_3)
	v_lshlrev_b32_e32 v4, 20, v6
	v_lshlrev_b32_e32 v5, 24, v2
	v_lshl_add_u32 v6, v9, 23, 0x3c000000
	v_and_b32_e32 v4, 0x700000, v4
	s_delay_alu instid0(VALU_DEP_3) | instskip(NEXT) | instid1(VALU_DEP_1)
	v_and_b32_e32 v5, 0x80000000, v5
	v_or3_b32 v6, v4, v5, v6
.LBB413_2141:                           ;   in Loop: Header=BB413_1192 Depth=1
	s_or_b32 exec_lo, exec_lo, s15
.LBB413_2142:                           ;   in Loop: Header=BB413_1192 Depth=1
	s_delay_alu instid0(SALU_CYCLE_1)
	s_or_b32 exec_lo, exec_lo, s13
.LBB413_2143:                           ;   in Loop: Header=BB413_1192 Depth=1
	s_delay_alu instid0(SALU_CYCLE_1) | instskip(NEXT) | instid1(VALU_DEP_1)
	s_or_b32 exec_lo, exec_lo, s12
	v_mul_f32_e32 v6, v8, v6
                                        ; implicit-def: $vgpr58
	s_delay_alu instid0(VALU_DEP_1) | instskip(NEXT) | instid1(VALU_DEP_1)
	v_and_b32_e32 v4, 0x7f800000, v6
	v_cmp_ne_u32_e64 s0, 0x7f800000, v4
	s_delay_alu instid0(VALU_DEP_1) | instskip(NEXT) | instid1(SALU_CYCLE_1)
	s_and_saveexec_b32 s12, s0
	s_xor_b32 s0, exec_lo, s12
; %bb.2144:                             ;   in Loop: Header=BB413_1192 Depth=1
	v_bfe_u32 v4, v6, 16, 1
	s_delay_alu instid0(VALU_DEP_1)
	v_add3_u32 v58, v6, v4, 0x7fff
                                        ; implicit-def: $vgpr6
; %bb.2145:                             ;   in Loop: Header=BB413_1192 Depth=1
	s_and_not1_saveexec_b32 s12, s0
; %bb.2146:                             ;   in Loop: Header=BB413_1192 Depth=1
	v_and_b32_e32 v4, 0xffff, v6
	v_or_b32_e32 v5, 0x10000, v6
	s_delay_alu instid0(VALU_DEP_2) | instskip(NEXT) | instid1(VALU_DEP_1)
	v_cmp_eq_u32_e64 s0, 0, v4
	v_cndmask_b32_e64 v58, v5, v6, s0
; %bb.2147:                             ;   in Loop: Header=BB413_1192 Depth=1
	s_or_b32 exec_lo, exec_lo, s12
	v_lshrrev_b16 v7, 8, v2
	v_mov_b32_e32 v6, 0
	s_mov_b32 s12, exec_lo
	s_delay_alu instid0(VALU_DEP_2)
	v_cmpx_ne_u16_e32 0, v7
	s_cbranch_execz .LBB413_2155
; %bb.2148:                             ;   in Loop: Header=BB413_1192 Depth=1
	v_bfrev_b32_e32 v6, 1
	s_mov_b32 s13, exec_lo
	v_cmpx_ne_u16_e32 0x80, v7
	s_cbranch_execz .LBB413_2154
; %bb.2149:                             ;   in Loop: Header=BB413_1192 Depth=1
	v_and_b32_e32 v9, 0xffff, v7
	v_mov_b32_e32 v6, 0x7f800001
	s_mov_b32 s15, exec_lo
	s_delay_alu instid0(VALU_DEP_2) | instskip(NEXT) | instid1(VALU_DEP_1)
	v_and_b32_e32 v7, 0x7f, v9
	v_cmpx_ne_u32_e32 0x7f, v7
	s_cbranch_execz .LBB413_2153
; %bb.2150:                             ;   in Loop: Header=BB413_1192 Depth=1
	v_and_b32_e32 v9, 7, v9
	v_lshrrev_b32_e32 v59, 3, v7
	v_cmp_gt_u32_e64 s0, 8, v7
	s_delay_alu instid0(VALU_DEP_3) | instskip(NEXT) | instid1(VALU_DEP_2)
	v_dual_mov_b32 v6, v9 :: v_dual_mov_b32 v7, v10
	s_and_saveexec_b32 s17, s0
; %bb.2151:                             ;   in Loop: Header=BB413_1192 Depth=1
	v_clz_i32_u32_e32 v4, v9
	s_delay_alu instid0(VALU_DEP_1) | instskip(NEXT) | instid1(VALU_DEP_1)
	v_min_u32_e32 v4, 32, v4
	v_subrev_nc_u32_e32 v5, 28, v4
	v_sub_nc_u32_e32 v59, 29, v4
	s_delay_alu instid0(VALU_DEP_2) | instskip(NEXT) | instid1(VALU_DEP_1)
	v_lshlrev_b64 v[6:7], v5, v[9:10]
	v_and_b32_e32 v6, 7, v6
; %bb.2152:                             ;   in Loop: Header=BB413_1192 Depth=1
	s_or_b32 exec_lo, exec_lo, s17
	v_lshlrev_b32_e32 v4, 16, v2
	s_delay_alu instid0(VALU_DEP_2) | instskip(SKIP_1) | instid1(VALU_DEP_3)
	v_lshlrev_b32_e32 v5, 20, v6
	v_lshl_add_u32 v6, v59, 23, 0x3c000000
	v_and_b32_e32 v4, 0x80000000, v4
	s_delay_alu instid0(VALU_DEP_1)
	v_or3_b32 v6, v5, v4, v6
.LBB413_2153:                           ;   in Loop: Header=BB413_1192 Depth=1
	s_or_b32 exec_lo, exec_lo, s15
.LBB413_2154:                           ;   in Loop: Header=BB413_1192 Depth=1
	s_delay_alu instid0(SALU_CYCLE_1)
	s_or_b32 exec_lo, exec_lo, s13
.LBB413_2155:                           ;   in Loop: Header=BB413_1192 Depth=1
	s_delay_alu instid0(SALU_CYCLE_1) | instskip(NEXT) | instid1(VALU_DEP_1)
	s_or_b32 exec_lo, exec_lo, s12
	v_mul_f32_e32 v6, v8, v6
                                        ; implicit-def: $vgpr59
	s_delay_alu instid0(VALU_DEP_1) | instskip(NEXT) | instid1(VALU_DEP_1)
	v_and_b32_e32 v4, 0x7f800000, v6
	v_cmp_ne_u32_e64 s0, 0x7f800000, v4
	s_delay_alu instid0(VALU_DEP_1) | instskip(NEXT) | instid1(SALU_CYCLE_1)
	s_and_saveexec_b32 s12, s0
	s_xor_b32 s0, exec_lo, s12
; %bb.2156:                             ;   in Loop: Header=BB413_1192 Depth=1
	v_bfe_u32 v4, v6, 16, 1
	s_delay_alu instid0(VALU_DEP_1)
	v_add3_u32 v59, v6, v4, 0x7fff
                                        ; implicit-def: $vgpr6
; %bb.2157:                             ;   in Loop: Header=BB413_1192 Depth=1
	s_and_not1_saveexec_b32 s12, s0
; %bb.2158:                             ;   in Loop: Header=BB413_1192 Depth=1
	v_and_b32_e32 v4, 0xffff, v6
	v_or_b32_e32 v5, 0x10000, v6
	s_delay_alu instid0(VALU_DEP_2) | instskip(NEXT) | instid1(VALU_DEP_1)
	v_cmp_eq_u32_e64 s0, 0, v4
	v_cndmask_b32_e64 v59, v5, v6, s0
; %bb.2159:                             ;   in Loop: Header=BB413_1192 Depth=1
	s_or_b32 exec_lo, exec_lo, s12
	v_lshrrev_b32_e32 v60, 16, v2
	s_mov_b32 s12, exec_lo
	s_delay_alu instid0(VALU_DEP_1) | instskip(NEXT) | instid1(VALU_DEP_1)
	v_dual_mov_b32 v6, 0 :: v_dual_and_b32 v7, 0xff, v60
	v_cmpx_ne_u16_e32 0, v7
	s_cbranch_execz .LBB413_2167
; %bb.2160:                             ;   in Loop: Header=BB413_1192 Depth=1
	v_bfrev_b32_e32 v6, 1
	s_mov_b32 s13, exec_lo
	v_cmpx_ne_u16_e32 0x80, v7
	s_cbranch_execz .LBB413_2166
; %bb.2161:                             ;   in Loop: Header=BB413_1192 Depth=1
	v_bfe_u32 v7, v2, 16, 7
	v_mov_b32_e32 v6, 0x7f800001
	s_mov_b32 s15, exec_lo
	s_delay_alu instid0(VALU_DEP_2)
	v_cmpx_ne_u32_e32 0x7f, v7
	s_cbranch_execz .LBB413_2165
; %bb.2162:                             ;   in Loop: Header=BB413_1192 Depth=1
	v_and_b32_e32 v9, 7, v60
	v_lshrrev_b32_e32 v61, 3, v7
	v_cmp_gt_u32_e64 s0, 8, v7
	s_delay_alu instid0(VALU_DEP_3) | instskip(NEXT) | instid1(VALU_DEP_2)
	v_dual_mov_b32 v6, v9 :: v_dual_mov_b32 v7, v10
	s_and_saveexec_b32 s17, s0
; %bb.2163:                             ;   in Loop: Header=BB413_1192 Depth=1
	v_clz_i32_u32_e32 v4, v9
	s_delay_alu instid0(VALU_DEP_1) | instskip(NEXT) | instid1(VALU_DEP_1)
	v_min_u32_e32 v4, 32, v4
	v_subrev_nc_u32_e32 v5, 28, v4
	v_sub_nc_u32_e32 v61, 29, v4
	s_delay_alu instid0(VALU_DEP_2) | instskip(NEXT) | instid1(VALU_DEP_1)
	v_lshlrev_b64 v[6:7], v5, v[9:10]
	v_and_b32_e32 v6, 7, v6
; %bb.2164:                             ;   in Loop: Header=BB413_1192 Depth=1
	s_or_b32 exec_lo, exec_lo, s17
	v_lshlrev_b32_e32 v4, 24, v60
	s_delay_alu instid0(VALU_DEP_2) | instskip(SKIP_1) | instid1(VALU_DEP_3)
	v_lshlrev_b32_e32 v5, 20, v6
	v_lshl_add_u32 v6, v61, 23, 0x3c000000
	v_and_b32_e32 v4, 0x80000000, v4
	s_delay_alu instid0(VALU_DEP_1)
	v_or3_b32 v6, v5, v4, v6
.LBB413_2165:                           ;   in Loop: Header=BB413_1192 Depth=1
	s_or_b32 exec_lo, exec_lo, s15
.LBB413_2166:                           ;   in Loop: Header=BB413_1192 Depth=1
	s_delay_alu instid0(SALU_CYCLE_1)
	s_or_b32 exec_lo, exec_lo, s13
.LBB413_2167:                           ;   in Loop: Header=BB413_1192 Depth=1
	s_delay_alu instid0(SALU_CYCLE_1) | instskip(NEXT) | instid1(VALU_DEP_1)
	s_or_b32 exec_lo, exec_lo, s12
	v_mul_f32_e32 v6, v8, v6
                                        ; implicit-def: $vgpr60
	s_delay_alu instid0(VALU_DEP_1) | instskip(NEXT) | instid1(VALU_DEP_1)
	v_and_b32_e32 v4, 0x7f800000, v6
	v_cmp_ne_u32_e64 s0, 0x7f800000, v4
	s_delay_alu instid0(VALU_DEP_1) | instskip(NEXT) | instid1(SALU_CYCLE_1)
	s_and_saveexec_b32 s12, s0
	s_xor_b32 s0, exec_lo, s12
; %bb.2168:                             ;   in Loop: Header=BB413_1192 Depth=1
	v_bfe_u32 v4, v6, 16, 1
	s_delay_alu instid0(VALU_DEP_1)
	v_add3_u32 v60, v6, v4, 0x7fff
                                        ; implicit-def: $vgpr6
; %bb.2169:                             ;   in Loop: Header=BB413_1192 Depth=1
	s_and_not1_saveexec_b32 s12, s0
; %bb.2170:                             ;   in Loop: Header=BB413_1192 Depth=1
	v_and_b32_e32 v4, 0xffff, v6
	v_or_b32_e32 v5, 0x10000, v6
	s_delay_alu instid0(VALU_DEP_2) | instskip(NEXT) | instid1(VALU_DEP_1)
	v_cmp_eq_u32_e64 s0, 0, v4
	v_cndmask_b32_e64 v60, v5, v6, s0
; %bb.2171:                             ;   in Loop: Header=BB413_1192 Depth=1
	s_or_b32 exec_lo, exec_lo, s12
	v_mov_b32_e32 v6, 0
	s_mov_b32 s12, exec_lo
	v_cmpx_lt_u32_e32 0xffffff, v2
	s_cbranch_execz .LBB413_2179
; %bb.2172:                             ;   in Loop: Header=BB413_1192 Depth=1
	v_lshrrev_b32_e32 v61, 24, v2
	v_bfrev_b32_e32 v6, 1
	s_mov_b32 s13, exec_lo
	s_delay_alu instid0(VALU_DEP_2)
	v_cmpx_ne_u32_e32 0x80, v61
	s_cbranch_execz .LBB413_2178
; %bb.2173:                             ;   in Loop: Header=BB413_1192 Depth=1
	v_bfe_u32 v7, v2, 24, 7
	v_mov_b32_e32 v6, 0x7f800001
	s_mov_b32 s15, exec_lo
	s_delay_alu instid0(VALU_DEP_2)
	v_cmpx_ne_u32_e32 0x7f, v7
	s_cbranch_execz .LBB413_2177
; %bb.2174:                             ;   in Loop: Header=BB413_1192 Depth=1
	v_and_b32_e32 v9, 7, v61
	v_lshrrev_b32_e32 v62, 3, v7
	v_cmp_gt_u32_e64 s0, 8, v7
	s_delay_alu instid0(VALU_DEP_3) | instskip(NEXT) | instid1(VALU_DEP_2)
	v_dual_mov_b32 v6, v9 :: v_dual_mov_b32 v7, v10
	s_and_saveexec_b32 s17, s0
; %bb.2175:                             ;   in Loop: Header=BB413_1192 Depth=1
	v_clz_i32_u32_e32 v4, v9
	s_delay_alu instid0(VALU_DEP_1) | instskip(NEXT) | instid1(VALU_DEP_1)
	v_min_u32_e32 v4, 32, v4
	v_subrev_nc_u32_e32 v5, 28, v4
	v_sub_nc_u32_e32 v62, 29, v4
	s_delay_alu instid0(VALU_DEP_2) | instskip(NEXT) | instid1(VALU_DEP_1)
	v_lshlrev_b64 v[6:7], v5, v[9:10]
	v_and_b32_e32 v6, 7, v6
; %bb.2176:                             ;   in Loop: Header=BB413_1192 Depth=1
	s_or_b32 exec_lo, exec_lo, s17
	v_lshlrev_b32_e32 v4, 24, v61
	s_delay_alu instid0(VALU_DEP_2) | instskip(SKIP_1) | instid1(VALU_DEP_3)
	v_lshlrev_b32_e32 v5, 20, v6
	v_lshl_add_u32 v6, v62, 23, 0x3c000000
	v_and_b32_e32 v4, 0x80000000, v4
	s_delay_alu instid0(VALU_DEP_1)
	v_or3_b32 v6, v5, v4, v6
.LBB413_2177:                           ;   in Loop: Header=BB413_1192 Depth=1
	s_or_b32 exec_lo, exec_lo, s15
.LBB413_2178:                           ;   in Loop: Header=BB413_1192 Depth=1
	s_delay_alu instid0(SALU_CYCLE_1)
	s_or_b32 exec_lo, exec_lo, s13
.LBB413_2179:                           ;   in Loop: Header=BB413_1192 Depth=1
	s_delay_alu instid0(SALU_CYCLE_1) | instskip(NEXT) | instid1(VALU_DEP_1)
	s_or_b32 exec_lo, exec_lo, s12
	v_mul_f32_e32 v6, v8, v6
                                        ; implicit-def: $vgpr61
	s_delay_alu instid0(VALU_DEP_1) | instskip(NEXT) | instid1(VALU_DEP_1)
	v_and_b32_e32 v4, 0x7f800000, v6
	v_cmp_ne_u32_e64 s0, 0x7f800000, v4
	s_delay_alu instid0(VALU_DEP_1) | instskip(NEXT) | instid1(SALU_CYCLE_1)
	s_and_saveexec_b32 s12, s0
	s_xor_b32 s0, exec_lo, s12
; %bb.2180:                             ;   in Loop: Header=BB413_1192 Depth=1
	v_bfe_u32 v4, v6, 16, 1
	s_delay_alu instid0(VALU_DEP_1)
	v_add3_u32 v61, v6, v4, 0x7fff
                                        ; implicit-def: $vgpr6
; %bb.2181:                             ;   in Loop: Header=BB413_1192 Depth=1
	s_and_not1_saveexec_b32 s12, s0
; %bb.2182:                             ;   in Loop: Header=BB413_1192 Depth=1
	v_and_b32_e32 v4, 0xffff, v6
	v_or_b32_e32 v5, 0x10000, v6
	s_delay_alu instid0(VALU_DEP_2) | instskip(NEXT) | instid1(VALU_DEP_1)
	v_cmp_eq_u32_e64 s0, 0, v4
	v_cndmask_b32_e64 v61, v5, v6, s0
; %bb.2183:                             ;   in Loop: Header=BB413_1192 Depth=1
	s_or_b32 exec_lo, exec_lo, s12
	v_dual_mov_b32 v6, 0 :: v_dual_and_b32 v7, 0xff, v3
	v_mov_b32_e32 v9, v3
	s_mov_b32 s12, exec_lo
	s_delay_alu instid0(VALU_DEP_2)
	v_cmpx_ne_u16_e32 0, v7
	s_cbranch_execz .LBB413_2191
; %bb.2184:                             ;   in Loop: Header=BB413_1192 Depth=1
	v_bfrev_b32_e32 v6, 1
	s_mov_b32 s13, exec_lo
	v_cmpx_ne_u16_e32 0x80, v7
	s_cbranch_execz .LBB413_2190
; %bb.2185:                             ;   in Loop: Header=BB413_1192 Depth=1
	v_and_b32_e32 v7, 0x7f, v3
	v_mov_b32_e32 v6, 0x7f800001
	s_mov_b32 s15, exec_lo
	s_delay_alu instid0(VALU_DEP_2)
	v_cmpx_ne_u32_e32 0x7f, v7
	s_cbranch_execz .LBB413_2189
; %bb.2186:                             ;   in Loop: Header=BB413_1192 Depth=1
	v_lshrrev_b32_e32 v62, 3, v7
	v_cmp_gt_u32_e64 s0, 8, v7
	v_dual_mov_b32 v6, v9 :: v_dual_mov_b32 v7, v10
	s_delay_alu instid0(VALU_DEP_2)
	s_and_saveexec_b32 s17, s0
; %bb.2187:                             ;   in Loop: Header=BB413_1192 Depth=1
	v_and_b32_e32 v4, 7, v3
	s_delay_alu instid0(VALU_DEP_1) | instskip(NEXT) | instid1(VALU_DEP_1)
	v_clz_i32_u32_e32 v4, v4
	v_min_u32_e32 v4, 32, v4
	s_delay_alu instid0(VALU_DEP_1) | instskip(SKIP_1) | instid1(VALU_DEP_2)
	v_subrev_nc_u32_e32 v5, 28, v4
	v_sub_nc_u32_e32 v62, 29, v4
	v_lshlrev_b64 v[6:7], v5, v[9:10]
; %bb.2188:                             ;   in Loop: Header=BB413_1192 Depth=1
	s_or_b32 exec_lo, exec_lo, s17
	s_delay_alu instid0(VALU_DEP_1) | instskip(SKIP_2) | instid1(VALU_DEP_3)
	v_lshlrev_b32_e32 v4, 20, v6
	v_lshlrev_b32_e32 v5, 24, v9
	v_lshl_add_u32 v6, v62, 23, 0x3c000000
	v_and_b32_e32 v4, 0x700000, v4
	s_delay_alu instid0(VALU_DEP_3) | instskip(NEXT) | instid1(VALU_DEP_1)
	v_and_b32_e32 v5, 0x80000000, v5
	v_or3_b32 v6, v4, v5, v6
.LBB413_2189:                           ;   in Loop: Header=BB413_1192 Depth=1
	s_or_b32 exec_lo, exec_lo, s15
.LBB413_2190:                           ;   in Loop: Header=BB413_1192 Depth=1
	s_delay_alu instid0(SALU_CYCLE_1)
	s_or_b32 exec_lo, exec_lo, s13
.LBB413_2191:                           ;   in Loop: Header=BB413_1192 Depth=1
	s_delay_alu instid0(SALU_CYCLE_1) | instskip(NEXT) | instid1(VALU_DEP_1)
	s_or_b32 exec_lo, exec_lo, s12
	v_mul_f32_e32 v6, v8, v6
                                        ; implicit-def: $vgpr62
	s_delay_alu instid0(VALU_DEP_1) | instskip(NEXT) | instid1(VALU_DEP_1)
	v_and_b32_e32 v4, 0x7f800000, v6
	v_cmp_ne_u32_e64 s0, 0x7f800000, v4
	s_delay_alu instid0(VALU_DEP_1) | instskip(NEXT) | instid1(SALU_CYCLE_1)
	s_and_saveexec_b32 s12, s0
	s_xor_b32 s0, exec_lo, s12
; %bb.2192:                             ;   in Loop: Header=BB413_1192 Depth=1
	v_bfe_u32 v4, v6, 16, 1
	s_delay_alu instid0(VALU_DEP_1)
	v_add3_u32 v62, v6, v4, 0x7fff
                                        ; implicit-def: $vgpr6
; %bb.2193:                             ;   in Loop: Header=BB413_1192 Depth=1
	s_and_not1_saveexec_b32 s12, s0
; %bb.2194:                             ;   in Loop: Header=BB413_1192 Depth=1
	v_and_b32_e32 v4, 0xffff, v6
	v_or_b32_e32 v5, 0x10000, v6
	s_delay_alu instid0(VALU_DEP_2) | instskip(NEXT) | instid1(VALU_DEP_1)
	v_cmp_eq_u32_e64 s0, 0, v4
	v_cndmask_b32_e64 v62, v5, v6, s0
; %bb.2195:                             ;   in Loop: Header=BB413_1192 Depth=1
	s_or_b32 exec_lo, exec_lo, s12
	v_lshrrev_b16 v7, 8, v9
	v_mov_b32_e32 v6, 0
	s_mov_b32 s12, exec_lo
	s_delay_alu instid0(VALU_DEP_2)
	v_cmpx_ne_u16_e32 0, v7
	s_cbranch_execz .LBB413_2203
; %bb.2196:                             ;   in Loop: Header=BB413_1192 Depth=1
	v_bfrev_b32_e32 v6, 1
	s_mov_b32 s13, exec_lo
	v_cmpx_ne_u16_e32 0x80, v7
	s_cbranch_execz .LBB413_2202
; %bb.2197:                             ;   in Loop: Header=BB413_1192 Depth=1
	v_and_b32_e32 v7, 0xffff, v7
	v_mov_b32_e32 v6, 0x7f800001
	s_mov_b32 s15, exec_lo
	s_delay_alu instid0(VALU_DEP_2) | instskip(NEXT) | instid1(VALU_DEP_1)
	v_and_b32_e32 v72, 0x7f, v7
	v_cmpx_ne_u32_e32 0x7f, v72
	s_cbranch_execz .LBB413_2201
; %bb.2198:                             ;   in Loop: Header=BB413_1192 Depth=1
	v_dual_mov_b32 v7, v10 :: v_dual_and_b32 v6, 7, v7
	v_lshrrev_b32_e32 v63, 3, v72
	s_mov_b32 s17, exec_lo
	v_cmpx_gt_u32_e32 8, v72
; %bb.2199:                             ;   in Loop: Header=BB413_1192 Depth=1
	s_delay_alu instid0(VALU_DEP_3) | instskip(NEXT) | instid1(VALU_DEP_1)
	v_clz_i32_u32_e32 v4, v6
	v_min_u32_e32 v4, 32, v4
	s_delay_alu instid0(VALU_DEP_1) | instskip(SKIP_1) | instid1(VALU_DEP_2)
	v_subrev_nc_u32_e32 v5, 28, v4
	v_sub_nc_u32_e32 v63, 29, v4
	v_lshlrev_b64 v[6:7], v5, v[6:7]
	s_delay_alu instid0(VALU_DEP_1)
	v_and_b32_e32 v6, 7, v6
; %bb.2200:                             ;   in Loop: Header=BB413_1192 Depth=1
	s_or_b32 exec_lo, exec_lo, s17
	v_lshlrev_b32_e32 v4, 16, v9
	s_delay_alu instid0(VALU_DEP_2) | instskip(SKIP_1) | instid1(VALU_DEP_3)
	v_lshlrev_b32_e32 v5, 20, v6
	v_lshl_add_u32 v6, v63, 23, 0x3c000000
	v_and_b32_e32 v4, 0x80000000, v4
	s_delay_alu instid0(VALU_DEP_1)
	v_or3_b32 v6, v5, v4, v6
.LBB413_2201:                           ;   in Loop: Header=BB413_1192 Depth=1
	s_or_b32 exec_lo, exec_lo, s15
.LBB413_2202:                           ;   in Loop: Header=BB413_1192 Depth=1
	s_delay_alu instid0(SALU_CYCLE_1)
	s_or_b32 exec_lo, exec_lo, s13
.LBB413_2203:                           ;   in Loop: Header=BB413_1192 Depth=1
	s_delay_alu instid0(SALU_CYCLE_1) | instskip(NEXT) | instid1(VALU_DEP_1)
	s_or_b32 exec_lo, exec_lo, s12
	v_mul_f32_e32 v6, v8, v6
                                        ; implicit-def: $vgpr63
	s_delay_alu instid0(VALU_DEP_1) | instskip(NEXT) | instid1(VALU_DEP_1)
	v_and_b32_e32 v4, 0x7f800000, v6
	v_cmp_ne_u32_e64 s0, 0x7f800000, v4
	s_delay_alu instid0(VALU_DEP_1) | instskip(NEXT) | instid1(SALU_CYCLE_1)
	s_and_saveexec_b32 s12, s0
	s_xor_b32 s0, exec_lo, s12
; %bb.2204:                             ;   in Loop: Header=BB413_1192 Depth=1
	v_bfe_u32 v4, v6, 16, 1
	s_delay_alu instid0(VALU_DEP_1)
	v_add3_u32 v63, v6, v4, 0x7fff
                                        ; implicit-def: $vgpr6
; %bb.2205:                             ;   in Loop: Header=BB413_1192 Depth=1
	s_and_not1_saveexec_b32 s12, s0
; %bb.2206:                             ;   in Loop: Header=BB413_1192 Depth=1
	v_and_b32_e32 v4, 0xffff, v6
	v_or_b32_e32 v5, 0x10000, v6
	s_delay_alu instid0(VALU_DEP_2) | instskip(NEXT) | instid1(VALU_DEP_1)
	v_cmp_eq_u32_e64 s0, 0, v4
	v_cndmask_b32_e64 v63, v5, v6, s0
; %bb.2207:                             ;   in Loop: Header=BB413_1192 Depth=1
	s_or_b32 exec_lo, exec_lo, s12
	v_lshrrev_b32_e32 v72, 16, v3
	s_mov_b32 s12, exec_lo
	s_delay_alu instid0(VALU_DEP_1) | instskip(NEXT) | instid1(VALU_DEP_1)
	v_dual_mov_b32 v6, 0 :: v_dual_and_b32 v7, 0xff, v72
	v_cmpx_ne_u16_e32 0, v7
	s_cbranch_execz .LBB413_2215
; %bb.2208:                             ;   in Loop: Header=BB413_1192 Depth=1
	v_bfrev_b32_e32 v6, 1
	s_mov_b32 s13, exec_lo
	v_cmpx_ne_u16_e32 0x80, v7
	s_cbranch_execz .LBB413_2214
; %bb.2209:                             ;   in Loop: Header=BB413_1192 Depth=1
	v_bfe_u32 v7, v3, 16, 7
	v_mov_b32_e32 v6, 0x7f800001
	s_mov_b32 s15, exec_lo
	s_delay_alu instid0(VALU_DEP_2)
	v_cmpx_ne_u32_e32 0x7f, v7
	s_cbranch_execz .LBB413_2213
; %bb.2210:                             ;   in Loop: Header=BB413_1192 Depth=1
	v_and_b32_e32 v9, 7, v72
	v_lshrrev_b32_e32 v73, 3, v7
	v_cmp_gt_u32_e64 s0, 8, v7
	s_delay_alu instid0(VALU_DEP_3) | instskip(NEXT) | instid1(VALU_DEP_2)
	v_dual_mov_b32 v6, v9 :: v_dual_mov_b32 v7, v10
	s_and_saveexec_b32 s17, s0
; %bb.2211:                             ;   in Loop: Header=BB413_1192 Depth=1
	v_clz_i32_u32_e32 v4, v9
	s_delay_alu instid0(VALU_DEP_1) | instskip(NEXT) | instid1(VALU_DEP_1)
	v_min_u32_e32 v4, 32, v4
	v_subrev_nc_u32_e32 v5, 28, v4
	v_sub_nc_u32_e32 v73, 29, v4
	s_delay_alu instid0(VALU_DEP_2) | instskip(NEXT) | instid1(VALU_DEP_1)
	v_lshlrev_b64 v[6:7], v5, v[9:10]
	v_and_b32_e32 v6, 7, v6
; %bb.2212:                             ;   in Loop: Header=BB413_1192 Depth=1
	s_or_b32 exec_lo, exec_lo, s17
	v_lshlrev_b32_e32 v4, 24, v72
	s_delay_alu instid0(VALU_DEP_2) | instskip(SKIP_1) | instid1(VALU_DEP_3)
	v_lshlrev_b32_e32 v5, 20, v6
	v_lshl_add_u32 v6, v73, 23, 0x3c000000
	v_and_b32_e32 v4, 0x80000000, v4
	s_delay_alu instid0(VALU_DEP_1)
	v_or3_b32 v6, v5, v4, v6
.LBB413_2213:                           ;   in Loop: Header=BB413_1192 Depth=1
	s_or_b32 exec_lo, exec_lo, s15
.LBB413_2214:                           ;   in Loop: Header=BB413_1192 Depth=1
	s_delay_alu instid0(SALU_CYCLE_1)
	s_or_b32 exec_lo, exec_lo, s13
.LBB413_2215:                           ;   in Loop: Header=BB413_1192 Depth=1
	s_delay_alu instid0(SALU_CYCLE_1) | instskip(NEXT) | instid1(VALU_DEP_1)
	s_or_b32 exec_lo, exec_lo, s12
	v_mul_f32_e32 v6, v8, v6
                                        ; implicit-def: $vgpr72
	s_delay_alu instid0(VALU_DEP_1) | instskip(NEXT) | instid1(VALU_DEP_1)
	v_and_b32_e32 v4, 0x7f800000, v6
	v_cmp_ne_u32_e64 s0, 0x7f800000, v4
	s_delay_alu instid0(VALU_DEP_1) | instskip(NEXT) | instid1(SALU_CYCLE_1)
	s_and_saveexec_b32 s12, s0
	s_xor_b32 s0, exec_lo, s12
; %bb.2216:                             ;   in Loop: Header=BB413_1192 Depth=1
	v_bfe_u32 v4, v6, 16, 1
	s_delay_alu instid0(VALU_DEP_1)
	v_add3_u32 v72, v6, v4, 0x7fff
                                        ; implicit-def: $vgpr6
; %bb.2217:                             ;   in Loop: Header=BB413_1192 Depth=1
	s_and_not1_saveexec_b32 s12, s0
; %bb.2218:                             ;   in Loop: Header=BB413_1192 Depth=1
	v_and_b32_e32 v4, 0xffff, v6
	v_or_b32_e32 v5, 0x10000, v6
	s_delay_alu instid0(VALU_DEP_2) | instskip(NEXT) | instid1(VALU_DEP_1)
	v_cmp_eq_u32_e64 s0, 0, v4
	v_cndmask_b32_e64 v72, v5, v6, s0
; %bb.2219:                             ;   in Loop: Header=BB413_1192 Depth=1
	s_or_b32 exec_lo, exec_lo, s12
	v_cmp_lt_u64_e64 s0, s[8:9], v[2:3]
	v_mov_b32_e32 v2, 0
	s_delay_alu instid0(VALU_DEP_2)
	s_and_saveexec_b32 s12, s0
	s_cbranch_execz .LBB413_2227
; %bb.2220:                             ;   in Loop: Header=BB413_1192 Depth=1
	v_lshrrev_b32_e32 v6, 24, v3
	v_bfrev_b32_e32 v2, 1
	s_mov_b32 s13, exec_lo
	s_delay_alu instid0(VALU_DEP_2)
	v_cmpx_ne_u32_e32 0x80, v6
	s_cbranch_execz .LBB413_2226
; %bb.2221:                             ;   in Loop: Header=BB413_1192 Depth=1
	v_bfe_u32 v3, v3, 24, 7
	v_mov_b32_e32 v2, 0x7f800001
	s_mov_b32 s15, exec_lo
	s_delay_alu instid0(VALU_DEP_2)
	v_cmpx_ne_u32_e32 0x7f, v3
	s_cbranch_execz .LBB413_2225
; %bb.2222:                             ;   in Loop: Header=BB413_1192 Depth=1
	v_and_b32_e32 v9, 7, v6
	v_lshrrev_b32_e32 v7, 3, v3
	v_cmp_gt_u32_e64 s0, 8, v3
	s_delay_alu instid0(VALU_DEP_3) | instskip(NEXT) | instid1(VALU_DEP_2)
	v_dual_mov_b32 v2, v9 :: v_dual_mov_b32 v3, v10
	s_and_saveexec_b32 s17, s0
; %bb.2223:                             ;   in Loop: Header=BB413_1192 Depth=1
	v_clz_i32_u32_e32 v2, v9
	s_delay_alu instid0(VALU_DEP_1) | instskip(NEXT) | instid1(VALU_DEP_1)
	v_min_u32_e32 v4, 32, v2
	v_subrev_nc_u32_e32 v2, 28, v4
	v_sub_nc_u32_e32 v7, 29, v4
	s_delay_alu instid0(VALU_DEP_2) | instskip(NEXT) | instid1(VALU_DEP_1)
	v_lshlrev_b64 v[2:3], v2, v[9:10]
	v_and_b32_e32 v2, 7, v2
; %bb.2224:                             ;   in Loop: Header=BB413_1192 Depth=1
	s_or_b32 exec_lo, exec_lo, s17
	v_lshlrev_b32_e32 v3, 24, v6
	s_delay_alu instid0(VALU_DEP_2) | instskip(SKIP_1) | instid1(VALU_DEP_3)
	v_lshlrev_b32_e32 v2, 20, v2
	v_lshl_add_u32 v4, v7, 23, 0x3c000000
	v_and_b32_e32 v3, 0x80000000, v3
	s_delay_alu instid0(VALU_DEP_1)
	v_or3_b32 v2, v2, v3, v4
.LBB413_2225:                           ;   in Loop: Header=BB413_1192 Depth=1
	s_or_b32 exec_lo, exec_lo, s15
.LBB413_2226:                           ;   in Loop: Header=BB413_1192 Depth=1
	s_delay_alu instid0(SALU_CYCLE_1)
	s_or_b32 exec_lo, exec_lo, s13
.LBB413_2227:                           ;   in Loop: Header=BB413_1192 Depth=1
	s_delay_alu instid0(SALU_CYCLE_1) | instskip(NEXT) | instid1(VALU_DEP_1)
	s_or_b32 exec_lo, exec_lo, s12
	v_mul_f32_e32 v3, v8, v2
	s_delay_alu instid0(VALU_DEP_1) | instskip(NEXT) | instid1(VALU_DEP_1)
	v_and_b32_e32 v2, 0x7f800000, v3
	v_cmp_ne_u32_e64 s0, 0x7f800000, v2
                                        ; implicit-def: $vgpr2
	s_delay_alu instid0(VALU_DEP_1) | instskip(NEXT) | instid1(SALU_CYCLE_1)
	s_and_saveexec_b32 s12, s0
	s_xor_b32 s0, exec_lo, s12
; %bb.2228:                             ;   in Loop: Header=BB413_1192 Depth=1
	v_bfe_u32 v2, v3, 16, 1
	s_delay_alu instid0(VALU_DEP_1)
	v_add3_u32 v2, v3, v2, 0x7fff
                                        ; implicit-def: $vgpr3
; %bb.2229:                             ;   in Loop: Header=BB413_1192 Depth=1
	s_and_not1_saveexec_b32 s12, s0
; %bb.2230:                             ;   in Loop: Header=BB413_1192 Depth=1
	v_and_b32_e32 v2, 0xffff, v3
	v_or_b32_e32 v4, 0x10000, v3
	s_delay_alu instid0(VALU_DEP_2) | instskip(NEXT) | instid1(VALU_DEP_1)
	v_cmp_eq_u32_e64 s0, 0, v2
	v_cndmask_b32_e64 v2, v4, v3, s0
; %bb.2231:                             ;   in Loop: Header=BB413_1192 Depth=1
	s_or_b32 exec_lo, exec_lo, s12
	v_lshrrev_b32_e32 v6, 16, v63
	v_lshrrev_b32_e32 v7, 16, v62
	;; [unrolled: 1-line block ×8, first 2 shown]
	s_and_saveexec_b32 s12, vcc_lo
	s_cbranch_execz .LBB413_2233
; %bb.2232:                             ;   in Loop: Header=BB413_1192 Depth=1
	v_cmp_lt_i32_e64 s0, v66, v85
	s_delay_alu instid0(VALU_DEP_1) | instskip(SKIP_1) | instid1(VALU_DEP_1)
	v_cndmask_b32_e64 v58, 0, v58, s0
	v_cmp_lt_i32_e64 s0, v81, v85
	v_cndmask_b32_e64 v59, 0, v59, s0
	v_cmp_lt_i32_e64 s0, v80, v85
	s_delay_alu instid0(VALU_DEP_1) | instskip(SKIP_1) | instid1(VALU_DEP_1)
	v_cndmask_b32_e64 v60, 0, v60, s0
	v_cmp_lt_i32_e64 s0, v71, v85
	v_cndmask_b32_e64 v9, 0, v9, s0
	;; [unrolled: 5-line block ×4, first 2 shown]
.LBB413_2233:                           ;   in Loop: Header=BB413_1192 Depth=1
	s_or_b32 exec_lo, exec_lo, s12
	v_lshlrev_b32_e32 v4, 16, v58
                                        ; implicit-def: $vgpr58
	s_delay_alu instid0(VALU_DEP_1) | instskip(NEXT) | instid1(VALU_DEP_1)
	v_mul_f32_e32 v61, v82, v4
	v_and_b32_e32 v4, 0x7f800000, v61
	s_delay_alu instid0(VALU_DEP_1) | instskip(NEXT) | instid1(VALU_DEP_1)
	v_cmp_ne_u32_e64 s0, 0x7f800000, v4
	s_and_saveexec_b32 s12, s0
	s_delay_alu instid0(SALU_CYCLE_1)
	s_xor_b32 s0, exec_lo, s12
; %bb.2234:                             ;   in Loop: Header=BB413_1192 Depth=1
	v_bfe_u32 v4, v61, 16, 1
	s_delay_alu instid0(VALU_DEP_1)
	v_add3_u32 v58, v61, v4, 0x7fff
                                        ; implicit-def: $vgpr61
; %bb.2235:                             ;   in Loop: Header=BB413_1192 Depth=1
	s_and_not1_saveexec_b32 s12, s0
; %bb.2236:                             ;   in Loop: Header=BB413_1192 Depth=1
	v_and_b32_e32 v4, 0xffff, v61
	v_or_b32_e32 v5, 0x10000, v61
	s_delay_alu instid0(VALU_DEP_2) | instskip(NEXT) | instid1(VALU_DEP_1)
	v_cmp_eq_u32_e64 s0, 0, v4
	v_cndmask_b32_e64 v58, v5, v61, s0
; %bb.2237:                             ;   in Loop: Header=BB413_1192 Depth=1
	s_or_b32 exec_lo, exec_lo, s12
	v_lshlrev_b32_e32 v4, 16, v59
                                        ; implicit-def: $vgpr59
	s_delay_alu instid0(VALU_DEP_1) | instskip(NEXT) | instid1(VALU_DEP_1)
	v_mul_f32_e32 v61, v83, v4
	v_and_b32_e32 v4, 0x7f800000, v61
	s_delay_alu instid0(VALU_DEP_1) | instskip(NEXT) | instid1(VALU_DEP_1)
	v_cmp_ne_u32_e64 s0, 0x7f800000, v4
	s_and_saveexec_b32 s12, s0
	s_delay_alu instid0(SALU_CYCLE_1)
	s_xor_b32 s0, exec_lo, s12
; %bb.2238:                             ;   in Loop: Header=BB413_1192 Depth=1
	v_bfe_u32 v4, v61, 16, 1
	s_delay_alu instid0(VALU_DEP_1)
	v_add3_u32 v59, v61, v4, 0x7fff
                                        ; implicit-def: $vgpr61
; %bb.2239:                             ;   in Loop: Header=BB413_1192 Depth=1
	s_and_not1_saveexec_b32 s12, s0
; %bb.2240:                             ;   in Loop: Header=BB413_1192 Depth=1
	v_and_b32_e32 v4, 0xffff, v61
	v_or_b32_e32 v5, 0x10000, v61
	s_delay_alu instid0(VALU_DEP_2) | instskip(NEXT) | instid1(VALU_DEP_1)
	v_cmp_eq_u32_e64 s0, 0, v4
	v_cndmask_b32_e64 v59, v5, v61, s0
; %bb.2241:                             ;   in Loop: Header=BB413_1192 Depth=1
	s_or_b32 exec_lo, exec_lo, s12
	v_lshlrev_b32_e32 v4, 16, v60
                                        ; implicit-def: $vgpr60
	s_delay_alu instid0(VALU_DEP_1) | instskip(NEXT) | instid1(VALU_DEP_1)
	v_mul_f32_e32 v61, v100, v4
	v_and_b32_e32 v4, 0x7f800000, v61
	s_delay_alu instid0(VALU_DEP_1) | instskip(NEXT) | instid1(VALU_DEP_1)
	v_cmp_ne_u32_e64 s0, 0x7f800000, v4
	s_and_saveexec_b32 s12, s0
	s_delay_alu instid0(SALU_CYCLE_1)
	s_xor_b32 s0, exec_lo, s12
; %bb.2242:                             ;   in Loop: Header=BB413_1192 Depth=1
	v_bfe_u32 v4, v61, 16, 1
	s_delay_alu instid0(VALU_DEP_1)
	v_add3_u32 v60, v61, v4, 0x7fff
                                        ; implicit-def: $vgpr61
; %bb.2243:                             ;   in Loop: Header=BB413_1192 Depth=1
	s_and_not1_saveexec_b32 s12, s0
; %bb.2244:                             ;   in Loop: Header=BB413_1192 Depth=1
	v_and_b32_e32 v4, 0xffff, v61
	v_or_b32_e32 v5, 0x10000, v61
	s_delay_alu instid0(VALU_DEP_2) | instskip(NEXT) | instid1(VALU_DEP_1)
	v_cmp_eq_u32_e64 s0, 0, v4
	v_cndmask_b32_e64 v60, v5, v61, s0
; %bb.2245:                             ;   in Loop: Header=BB413_1192 Depth=1
	s_or_b32 exec_lo, exec_lo, s12
	v_lshlrev_b32_e32 v4, 16, v9
                                        ; implicit-def: $vgpr61
	s_delay_alu instid0(VALU_DEP_1) | instskip(NEXT) | instid1(VALU_DEP_1)
	v_mul_f32_e32 v9, v101, v4
	v_and_b32_e32 v4, 0x7f800000, v9
	s_delay_alu instid0(VALU_DEP_1) | instskip(NEXT) | instid1(VALU_DEP_1)
	v_cmp_ne_u32_e64 s0, 0x7f800000, v4
	s_and_saveexec_b32 s12, s0
	s_delay_alu instid0(SALU_CYCLE_1)
	s_xor_b32 s0, exec_lo, s12
; %bb.2246:                             ;   in Loop: Header=BB413_1192 Depth=1
	v_bfe_u32 v4, v9, 16, 1
	s_delay_alu instid0(VALU_DEP_1)
	v_add3_u32 v61, v9, v4, 0x7fff
                                        ; implicit-def: $vgpr9
; %bb.2247:                             ;   in Loop: Header=BB413_1192 Depth=1
	s_and_not1_saveexec_b32 s12, s0
; %bb.2248:                             ;   in Loop: Header=BB413_1192 Depth=1
	v_and_b32_e32 v4, 0xffff, v9
	v_or_b32_e32 v5, 0x10000, v9
	s_delay_alu instid0(VALU_DEP_2) | instskip(NEXT) | instid1(VALU_DEP_1)
	v_cmp_eq_u32_e64 s0, 0, v4
	v_cndmask_b32_e64 v61, v5, v9, s0
; %bb.2249:                             ;   in Loop: Header=BB413_1192 Depth=1
	s_or_b32 exec_lo, exec_lo, s12
	v_lshlrev_b32_e32 v4, 16, v7
                                        ; implicit-def: $vgpr62
	s_delay_alu instid0(VALU_DEP_1) | instskip(NEXT) | instid1(VALU_DEP_1)
	v_mul_f32_e32 v7, v102, v4
	v_and_b32_e32 v4, 0x7f800000, v7
	s_delay_alu instid0(VALU_DEP_1) | instskip(NEXT) | instid1(VALU_DEP_1)
	v_cmp_ne_u32_e64 s0, 0x7f800000, v4
	s_and_saveexec_b32 s12, s0
	s_delay_alu instid0(SALU_CYCLE_1)
	s_xor_b32 s0, exec_lo, s12
; %bb.2250:                             ;   in Loop: Header=BB413_1192 Depth=1
	v_bfe_u32 v4, v7, 16, 1
	s_delay_alu instid0(VALU_DEP_1)
	v_add3_u32 v62, v7, v4, 0x7fff
                                        ; implicit-def: $vgpr7
; %bb.2251:                             ;   in Loop: Header=BB413_1192 Depth=1
	s_and_not1_saveexec_b32 s12, s0
; %bb.2252:                             ;   in Loop: Header=BB413_1192 Depth=1
	v_and_b32_e32 v4, 0xffff, v7
	v_or_b32_e32 v5, 0x10000, v7
	s_delay_alu instid0(VALU_DEP_2) | instskip(NEXT) | instid1(VALU_DEP_1)
	v_cmp_eq_u32_e64 s0, 0, v4
	v_cndmask_b32_e64 v62, v5, v7, s0
; %bb.2253:                             ;   in Loop: Header=BB413_1192 Depth=1
	s_or_b32 exec_lo, exec_lo, s12
	v_lshlrev_b32_e32 v4, 16, v6
                                        ; implicit-def: $vgpr63
	s_delay_alu instid0(VALU_DEP_1) | instskip(NEXT) | instid1(VALU_DEP_1)
	v_mul_f32_e32 v6, v103, v4
	v_and_b32_e32 v4, 0x7f800000, v6
	s_delay_alu instid0(VALU_DEP_1) | instskip(NEXT) | instid1(VALU_DEP_1)
	v_cmp_ne_u32_e64 s0, 0x7f800000, v4
	s_and_saveexec_b32 s12, s0
	s_delay_alu instid0(SALU_CYCLE_1)
	s_xor_b32 s0, exec_lo, s12
; %bb.2254:                             ;   in Loop: Header=BB413_1192 Depth=1
	v_bfe_u32 v4, v6, 16, 1
	s_delay_alu instid0(VALU_DEP_1)
	v_add3_u32 v63, v6, v4, 0x7fff
                                        ; implicit-def: $vgpr6
; %bb.2255:                             ;   in Loop: Header=BB413_1192 Depth=1
	s_and_not1_saveexec_b32 s12, s0
; %bb.2256:                             ;   in Loop: Header=BB413_1192 Depth=1
	v_and_b32_e32 v4, 0xffff, v6
	v_or_b32_e32 v5, 0x10000, v6
	s_delay_alu instid0(VALU_DEP_2) | instskip(NEXT) | instid1(VALU_DEP_1)
	v_cmp_eq_u32_e64 s0, 0, v4
	v_cndmask_b32_e64 v63, v5, v6, s0
; %bb.2257:                             ;   in Loop: Header=BB413_1192 Depth=1
	s_or_b32 exec_lo, exec_lo, s12
	v_lshlrev_b32_e32 v3, 16, v3
                                        ; implicit-def: $vgpr72
	s_delay_alu instid0(VALU_DEP_1) | instskip(NEXT) | instid1(VALU_DEP_1)
	v_mul_f32_e32 v3, v112, v3
	v_and_b32_e32 v4, 0x7f800000, v3
	s_delay_alu instid0(VALU_DEP_1) | instskip(NEXT) | instid1(VALU_DEP_1)
	v_cmp_ne_u32_e64 s0, 0x7f800000, v4
	s_and_saveexec_b32 s12, s0
	s_delay_alu instid0(SALU_CYCLE_1)
	s_xor_b32 s0, exec_lo, s12
; %bb.2258:                             ;   in Loop: Header=BB413_1192 Depth=1
	v_bfe_u32 v4, v3, 16, 1
	s_delay_alu instid0(VALU_DEP_1)
	v_add3_u32 v72, v3, v4, 0x7fff
                                        ; implicit-def: $vgpr3
; %bb.2259:                             ;   in Loop: Header=BB413_1192 Depth=1
	s_and_not1_saveexec_b32 s12, s0
; %bb.2260:                             ;   in Loop: Header=BB413_1192 Depth=1
	v_and_b32_e32 v4, 0xffff, v3
	v_or_b32_e32 v5, 0x10000, v3
	s_delay_alu instid0(VALU_DEP_2) | instskip(NEXT) | instid1(VALU_DEP_1)
	v_cmp_eq_u32_e64 s0, 0, v4
	v_cndmask_b32_e64 v72, v5, v3, s0
; %bb.2261:                             ;   in Loop: Header=BB413_1192 Depth=1
	s_or_b32 exec_lo, exec_lo, s12
	v_lshlrev_b32_e32 v2, 16, v2
                                        ; implicit-def: $vgpr73
	s_delay_alu instid0(VALU_DEP_1) | instskip(NEXT) | instid1(VALU_DEP_1)
	v_mul_f32_e32 v2, v113, v2
	v_and_b32_e32 v3, 0x7f800000, v2
	s_delay_alu instid0(VALU_DEP_1) | instskip(NEXT) | instid1(VALU_DEP_1)
	v_cmp_ne_u32_e64 s0, 0x7f800000, v3
	s_and_saveexec_b32 s12, s0
	s_delay_alu instid0(SALU_CYCLE_1)
	s_xor_b32 s0, exec_lo, s12
; %bb.2262:                             ;   in Loop: Header=BB413_1192 Depth=1
	v_bfe_u32 v3, v2, 16, 1
	s_delay_alu instid0(VALU_DEP_1)
	v_add3_u32 v73, v2, v3, 0x7fff
                                        ; implicit-def: $vgpr2
; %bb.2263:                             ;   in Loop: Header=BB413_1192 Depth=1
	s_and_not1_saveexec_b32 s12, s0
; %bb.2264:                             ;   in Loop: Header=BB413_1192 Depth=1
	v_and_b32_e32 v3, 0xffff, v2
	v_or_b32_e32 v4, 0x10000, v2
	s_delay_alu instid0(VALU_DEP_2) | instskip(NEXT) | instid1(VALU_DEP_1)
	v_cmp_eq_u32_e64 s0, 0, v3
	v_cndmask_b32_e64 v73, v4, v2, s0
; %bb.2265:                             ;   in Loop: Header=BB413_1192 Depth=1
	s_or_b32 exec_lo, exec_lo, s12
	flat_load_b64 v[2:3], v[0:1] offset:2048
	s_mov_b32 s12, exec_lo
	s_waitcnt vmcnt(0) lgkmcnt(0)
	v_dual_mov_b32 v6, 0 :: v_dual_and_b32 v7, 0xff, v2
	s_delay_alu instid0(VALU_DEP_1)
	v_cmpx_ne_u16_e32 0, v7
	s_cbranch_execz .LBB413_2273
; %bb.2266:                             ;   in Loop: Header=BB413_1192 Depth=1
	v_bfrev_b32_e32 v6, 1
	s_mov_b32 s13, exec_lo
	v_cmpx_ne_u16_e32 0x80, v7
	s_cbranch_execz .LBB413_2272
; %bb.2267:                             ;   in Loop: Header=BB413_1192 Depth=1
	v_and_b32_e32 v7, 0x7f, v2
	v_mov_b32_e32 v6, 0x7f800001
	s_mov_b32 s15, exec_lo
	s_delay_alu instid0(VALU_DEP_2)
	v_cmpx_ne_u32_e32 0x7f, v7
	s_cbranch_execz .LBB413_2271
; %bb.2268:                             ;   in Loop: Header=BB413_1192 Depth=1
	v_lshrrev_b32_e32 v9, 3, v7
	v_cmp_gt_u32_e64 s0, 8, v7
	v_dual_mov_b32 v7, v3 :: v_dual_mov_b32 v6, v2
	s_delay_alu instid0(VALU_DEP_2)
	s_and_saveexec_b32 s17, s0
; %bb.2269:                             ;   in Loop: Header=BB413_1192 Depth=1
	v_and_b32_e32 v4, 7, v2
	s_delay_alu instid0(VALU_DEP_1) | instskip(NEXT) | instid1(VALU_DEP_1)
	v_clz_i32_u32_e32 v4, v4
	v_min_u32_e32 v4, 32, v4
	s_delay_alu instid0(VALU_DEP_1) | instskip(SKIP_1) | instid1(VALU_DEP_2)
	v_subrev_nc_u32_e32 v5, 28, v4
	v_sub_nc_u32_e32 v9, 29, v4
	v_lshlrev_b64 v[6:7], v5, v[2:3]
; %bb.2270:                             ;   in Loop: Header=BB413_1192 Depth=1
	s_or_b32 exec_lo, exec_lo, s17
	s_delay_alu instid0(VALU_DEP_1) | instskip(SKIP_2) | instid1(VALU_DEP_3)
	v_lshlrev_b32_e32 v4, 20, v6
	v_lshlrev_b32_e32 v5, 24, v2
	v_lshl_add_u32 v6, v9, 23, 0x3c000000
	v_and_b32_e32 v4, 0x700000, v4
	s_delay_alu instid0(VALU_DEP_3) | instskip(NEXT) | instid1(VALU_DEP_1)
	v_and_b32_e32 v5, 0x80000000, v5
	v_or3_b32 v6, v4, v5, v6
.LBB413_2271:                           ;   in Loop: Header=BB413_1192 Depth=1
	s_or_b32 exec_lo, exec_lo, s15
.LBB413_2272:                           ;   in Loop: Header=BB413_1192 Depth=1
	s_delay_alu instid0(SALU_CYCLE_1)
	s_or_b32 exec_lo, exec_lo, s13
.LBB413_2273:                           ;   in Loop: Header=BB413_1192 Depth=1
	s_delay_alu instid0(SALU_CYCLE_1) | instskip(NEXT) | instid1(VALU_DEP_1)
	s_or_b32 exec_lo, exec_lo, s12
	v_mul_f32_e32 v6, v8, v6
                                        ; implicit-def: $vgpr74
	s_delay_alu instid0(VALU_DEP_1) | instskip(NEXT) | instid1(VALU_DEP_1)
	v_and_b32_e32 v4, 0x7f800000, v6
	v_cmp_ne_u32_e64 s0, 0x7f800000, v4
	s_delay_alu instid0(VALU_DEP_1) | instskip(NEXT) | instid1(SALU_CYCLE_1)
	s_and_saveexec_b32 s12, s0
	s_xor_b32 s0, exec_lo, s12
; %bb.2274:                             ;   in Loop: Header=BB413_1192 Depth=1
	v_bfe_u32 v4, v6, 16, 1
	s_delay_alu instid0(VALU_DEP_1)
	v_add3_u32 v74, v6, v4, 0x7fff
                                        ; implicit-def: $vgpr6
; %bb.2275:                             ;   in Loop: Header=BB413_1192 Depth=1
	s_and_not1_saveexec_b32 s12, s0
; %bb.2276:                             ;   in Loop: Header=BB413_1192 Depth=1
	v_and_b32_e32 v4, 0xffff, v6
	v_or_b32_e32 v5, 0x10000, v6
	s_delay_alu instid0(VALU_DEP_2) | instskip(NEXT) | instid1(VALU_DEP_1)
	v_cmp_eq_u32_e64 s0, 0, v4
	v_cndmask_b32_e64 v74, v5, v6, s0
; %bb.2277:                             ;   in Loop: Header=BB413_1192 Depth=1
	s_or_b32 exec_lo, exec_lo, s12
	v_lshrrev_b16 v7, 8, v2
	v_mov_b32_e32 v6, 0
	s_mov_b32 s12, exec_lo
	s_delay_alu instid0(VALU_DEP_2)
	v_cmpx_ne_u16_e32 0, v7
	s_cbranch_execz .LBB413_2285
; %bb.2278:                             ;   in Loop: Header=BB413_1192 Depth=1
	v_bfrev_b32_e32 v6, 1
	s_mov_b32 s13, exec_lo
	v_cmpx_ne_u16_e32 0x80, v7
	s_cbranch_execz .LBB413_2284
; %bb.2279:                             ;   in Loop: Header=BB413_1192 Depth=1
	v_and_b32_e32 v9, 0xffff, v7
	v_mov_b32_e32 v6, 0x7f800001
	s_mov_b32 s15, exec_lo
	s_delay_alu instid0(VALU_DEP_2) | instskip(NEXT) | instid1(VALU_DEP_1)
	v_and_b32_e32 v7, 0x7f, v9
	v_cmpx_ne_u32_e32 0x7f, v7
	s_cbranch_execz .LBB413_2283
; %bb.2280:                             ;   in Loop: Header=BB413_1192 Depth=1
	v_and_b32_e32 v9, 7, v9
	v_lshrrev_b32_e32 v75, 3, v7
	v_cmp_gt_u32_e64 s0, 8, v7
	s_delay_alu instid0(VALU_DEP_3) | instskip(NEXT) | instid1(VALU_DEP_2)
	v_dual_mov_b32 v6, v9 :: v_dual_mov_b32 v7, v10
	s_and_saveexec_b32 s17, s0
; %bb.2281:                             ;   in Loop: Header=BB413_1192 Depth=1
	v_clz_i32_u32_e32 v4, v9
	s_delay_alu instid0(VALU_DEP_1) | instskip(NEXT) | instid1(VALU_DEP_1)
	v_min_u32_e32 v4, 32, v4
	v_subrev_nc_u32_e32 v5, 28, v4
	v_sub_nc_u32_e32 v75, 29, v4
	s_delay_alu instid0(VALU_DEP_2) | instskip(NEXT) | instid1(VALU_DEP_1)
	v_lshlrev_b64 v[6:7], v5, v[9:10]
	v_and_b32_e32 v6, 7, v6
; %bb.2282:                             ;   in Loop: Header=BB413_1192 Depth=1
	s_or_b32 exec_lo, exec_lo, s17
	v_lshlrev_b32_e32 v4, 16, v2
	s_delay_alu instid0(VALU_DEP_2) | instskip(SKIP_1) | instid1(VALU_DEP_3)
	v_lshlrev_b32_e32 v5, 20, v6
	v_lshl_add_u32 v6, v75, 23, 0x3c000000
	v_and_b32_e32 v4, 0x80000000, v4
	s_delay_alu instid0(VALU_DEP_1)
	v_or3_b32 v6, v5, v4, v6
.LBB413_2283:                           ;   in Loop: Header=BB413_1192 Depth=1
	s_or_b32 exec_lo, exec_lo, s15
.LBB413_2284:                           ;   in Loop: Header=BB413_1192 Depth=1
	s_delay_alu instid0(SALU_CYCLE_1)
	s_or_b32 exec_lo, exec_lo, s13
.LBB413_2285:                           ;   in Loop: Header=BB413_1192 Depth=1
	s_delay_alu instid0(SALU_CYCLE_1) | instskip(NEXT) | instid1(VALU_DEP_1)
	s_or_b32 exec_lo, exec_lo, s12
	v_mul_f32_e32 v6, v8, v6
                                        ; implicit-def: $vgpr75
	s_delay_alu instid0(VALU_DEP_1) | instskip(NEXT) | instid1(VALU_DEP_1)
	v_and_b32_e32 v4, 0x7f800000, v6
	v_cmp_ne_u32_e64 s0, 0x7f800000, v4
	s_delay_alu instid0(VALU_DEP_1) | instskip(NEXT) | instid1(SALU_CYCLE_1)
	s_and_saveexec_b32 s12, s0
	s_xor_b32 s0, exec_lo, s12
; %bb.2286:                             ;   in Loop: Header=BB413_1192 Depth=1
	v_bfe_u32 v4, v6, 16, 1
	s_delay_alu instid0(VALU_DEP_1)
	v_add3_u32 v75, v6, v4, 0x7fff
                                        ; implicit-def: $vgpr6
; %bb.2287:                             ;   in Loop: Header=BB413_1192 Depth=1
	s_and_not1_saveexec_b32 s12, s0
; %bb.2288:                             ;   in Loop: Header=BB413_1192 Depth=1
	v_and_b32_e32 v4, 0xffff, v6
	v_or_b32_e32 v5, 0x10000, v6
	s_delay_alu instid0(VALU_DEP_2) | instskip(NEXT) | instid1(VALU_DEP_1)
	v_cmp_eq_u32_e64 s0, 0, v4
	v_cndmask_b32_e64 v75, v5, v6, s0
; %bb.2289:                             ;   in Loop: Header=BB413_1192 Depth=1
	s_or_b32 exec_lo, exec_lo, s12
	v_lshrrev_b32_e32 v76, 16, v2
	s_mov_b32 s12, exec_lo
	s_delay_alu instid0(VALU_DEP_1) | instskip(NEXT) | instid1(VALU_DEP_1)
	v_dual_mov_b32 v6, 0 :: v_dual_and_b32 v7, 0xff, v76
	v_cmpx_ne_u16_e32 0, v7
	s_cbranch_execz .LBB413_2297
; %bb.2290:                             ;   in Loop: Header=BB413_1192 Depth=1
	v_bfrev_b32_e32 v6, 1
	s_mov_b32 s13, exec_lo
	v_cmpx_ne_u16_e32 0x80, v7
	s_cbranch_execz .LBB413_2296
; %bb.2291:                             ;   in Loop: Header=BB413_1192 Depth=1
	v_bfe_u32 v7, v2, 16, 7
	v_mov_b32_e32 v6, 0x7f800001
	s_mov_b32 s15, exec_lo
	s_delay_alu instid0(VALU_DEP_2)
	v_cmpx_ne_u32_e32 0x7f, v7
	s_cbranch_execz .LBB413_2295
; %bb.2292:                             ;   in Loop: Header=BB413_1192 Depth=1
	v_and_b32_e32 v9, 7, v76
	v_lshrrev_b32_e32 v77, 3, v7
	v_cmp_gt_u32_e64 s0, 8, v7
	s_delay_alu instid0(VALU_DEP_3) | instskip(NEXT) | instid1(VALU_DEP_2)
	v_dual_mov_b32 v6, v9 :: v_dual_mov_b32 v7, v10
	s_and_saveexec_b32 s17, s0
; %bb.2293:                             ;   in Loop: Header=BB413_1192 Depth=1
	v_clz_i32_u32_e32 v4, v9
	s_delay_alu instid0(VALU_DEP_1) | instskip(NEXT) | instid1(VALU_DEP_1)
	v_min_u32_e32 v4, 32, v4
	v_subrev_nc_u32_e32 v5, 28, v4
	v_sub_nc_u32_e32 v77, 29, v4
	s_delay_alu instid0(VALU_DEP_2) | instskip(NEXT) | instid1(VALU_DEP_1)
	v_lshlrev_b64 v[6:7], v5, v[9:10]
	v_and_b32_e32 v6, 7, v6
; %bb.2294:                             ;   in Loop: Header=BB413_1192 Depth=1
	s_or_b32 exec_lo, exec_lo, s17
	v_lshlrev_b32_e32 v4, 24, v76
	s_delay_alu instid0(VALU_DEP_2) | instskip(SKIP_1) | instid1(VALU_DEP_3)
	v_lshlrev_b32_e32 v5, 20, v6
	v_lshl_add_u32 v6, v77, 23, 0x3c000000
	v_and_b32_e32 v4, 0x80000000, v4
	s_delay_alu instid0(VALU_DEP_1)
	v_or3_b32 v6, v5, v4, v6
.LBB413_2295:                           ;   in Loop: Header=BB413_1192 Depth=1
	s_or_b32 exec_lo, exec_lo, s15
.LBB413_2296:                           ;   in Loop: Header=BB413_1192 Depth=1
	s_delay_alu instid0(SALU_CYCLE_1)
	s_or_b32 exec_lo, exec_lo, s13
.LBB413_2297:                           ;   in Loop: Header=BB413_1192 Depth=1
	s_delay_alu instid0(SALU_CYCLE_1) | instskip(NEXT) | instid1(VALU_DEP_1)
	s_or_b32 exec_lo, exec_lo, s12
	v_mul_f32_e32 v6, v8, v6
                                        ; implicit-def: $vgpr76
	s_delay_alu instid0(VALU_DEP_1) | instskip(NEXT) | instid1(VALU_DEP_1)
	v_and_b32_e32 v4, 0x7f800000, v6
	v_cmp_ne_u32_e64 s0, 0x7f800000, v4
	s_delay_alu instid0(VALU_DEP_1) | instskip(NEXT) | instid1(SALU_CYCLE_1)
	s_and_saveexec_b32 s12, s0
	s_xor_b32 s0, exec_lo, s12
; %bb.2298:                             ;   in Loop: Header=BB413_1192 Depth=1
	v_bfe_u32 v4, v6, 16, 1
	s_delay_alu instid0(VALU_DEP_1)
	v_add3_u32 v76, v6, v4, 0x7fff
                                        ; implicit-def: $vgpr6
; %bb.2299:                             ;   in Loop: Header=BB413_1192 Depth=1
	s_and_not1_saveexec_b32 s12, s0
; %bb.2300:                             ;   in Loop: Header=BB413_1192 Depth=1
	v_and_b32_e32 v4, 0xffff, v6
	v_or_b32_e32 v5, 0x10000, v6
	s_delay_alu instid0(VALU_DEP_2) | instskip(NEXT) | instid1(VALU_DEP_1)
	v_cmp_eq_u32_e64 s0, 0, v4
	v_cndmask_b32_e64 v76, v5, v6, s0
; %bb.2301:                             ;   in Loop: Header=BB413_1192 Depth=1
	s_or_b32 exec_lo, exec_lo, s12
	v_mov_b32_e32 v6, 0
	s_mov_b32 s12, exec_lo
	v_cmpx_lt_u32_e32 0xffffff, v2
	s_cbranch_execz .LBB413_2309
; %bb.2302:                             ;   in Loop: Header=BB413_1192 Depth=1
	v_lshrrev_b32_e32 v77, 24, v2
	v_bfrev_b32_e32 v6, 1
	s_mov_b32 s13, exec_lo
	s_delay_alu instid0(VALU_DEP_2)
	v_cmpx_ne_u32_e32 0x80, v77
	s_cbranch_execz .LBB413_2308
; %bb.2303:                             ;   in Loop: Header=BB413_1192 Depth=1
	v_bfe_u32 v7, v2, 24, 7
	v_mov_b32_e32 v6, 0x7f800001
	s_mov_b32 s15, exec_lo
	s_delay_alu instid0(VALU_DEP_2)
	v_cmpx_ne_u32_e32 0x7f, v7
	s_cbranch_execz .LBB413_2307
; %bb.2304:                             ;   in Loop: Header=BB413_1192 Depth=1
	v_and_b32_e32 v9, 7, v77
	v_lshrrev_b32_e32 v78, 3, v7
	v_cmp_gt_u32_e64 s0, 8, v7
	s_delay_alu instid0(VALU_DEP_3) | instskip(NEXT) | instid1(VALU_DEP_2)
	v_dual_mov_b32 v6, v9 :: v_dual_mov_b32 v7, v10
	s_and_saveexec_b32 s17, s0
; %bb.2305:                             ;   in Loop: Header=BB413_1192 Depth=1
	v_clz_i32_u32_e32 v4, v9
	s_delay_alu instid0(VALU_DEP_1) | instskip(NEXT) | instid1(VALU_DEP_1)
	v_min_u32_e32 v4, 32, v4
	v_subrev_nc_u32_e32 v5, 28, v4
	v_sub_nc_u32_e32 v78, 29, v4
	s_delay_alu instid0(VALU_DEP_2) | instskip(NEXT) | instid1(VALU_DEP_1)
	v_lshlrev_b64 v[6:7], v5, v[9:10]
	v_and_b32_e32 v6, 7, v6
; %bb.2306:                             ;   in Loop: Header=BB413_1192 Depth=1
	s_or_b32 exec_lo, exec_lo, s17
	v_lshlrev_b32_e32 v4, 24, v77
	s_delay_alu instid0(VALU_DEP_2) | instskip(SKIP_1) | instid1(VALU_DEP_3)
	v_lshlrev_b32_e32 v5, 20, v6
	v_lshl_add_u32 v6, v78, 23, 0x3c000000
	v_and_b32_e32 v4, 0x80000000, v4
	s_delay_alu instid0(VALU_DEP_1)
	v_or3_b32 v6, v5, v4, v6
.LBB413_2307:                           ;   in Loop: Header=BB413_1192 Depth=1
	s_or_b32 exec_lo, exec_lo, s15
.LBB413_2308:                           ;   in Loop: Header=BB413_1192 Depth=1
	s_delay_alu instid0(SALU_CYCLE_1)
	s_or_b32 exec_lo, exec_lo, s13
.LBB413_2309:                           ;   in Loop: Header=BB413_1192 Depth=1
	s_delay_alu instid0(SALU_CYCLE_1) | instskip(NEXT) | instid1(VALU_DEP_1)
	s_or_b32 exec_lo, exec_lo, s12
	v_mul_f32_e32 v6, v8, v6
                                        ; implicit-def: $vgpr77
	s_delay_alu instid0(VALU_DEP_1) | instskip(NEXT) | instid1(VALU_DEP_1)
	v_and_b32_e32 v4, 0x7f800000, v6
	v_cmp_ne_u32_e64 s0, 0x7f800000, v4
	s_delay_alu instid0(VALU_DEP_1) | instskip(NEXT) | instid1(SALU_CYCLE_1)
	s_and_saveexec_b32 s12, s0
	s_xor_b32 s0, exec_lo, s12
; %bb.2310:                             ;   in Loop: Header=BB413_1192 Depth=1
	v_bfe_u32 v4, v6, 16, 1
	s_delay_alu instid0(VALU_DEP_1)
	v_add3_u32 v77, v6, v4, 0x7fff
                                        ; implicit-def: $vgpr6
; %bb.2311:                             ;   in Loop: Header=BB413_1192 Depth=1
	s_and_not1_saveexec_b32 s12, s0
; %bb.2312:                             ;   in Loop: Header=BB413_1192 Depth=1
	v_and_b32_e32 v4, 0xffff, v6
	v_or_b32_e32 v5, 0x10000, v6
	s_delay_alu instid0(VALU_DEP_2) | instskip(NEXT) | instid1(VALU_DEP_1)
	v_cmp_eq_u32_e64 s0, 0, v4
	v_cndmask_b32_e64 v77, v5, v6, s0
; %bb.2313:                             ;   in Loop: Header=BB413_1192 Depth=1
	s_or_b32 exec_lo, exec_lo, s12
	v_dual_mov_b32 v6, 0 :: v_dual_and_b32 v7, 0xff, v3
	v_mov_b32_e32 v9, v3
	s_mov_b32 s12, exec_lo
	s_delay_alu instid0(VALU_DEP_2)
	v_cmpx_ne_u16_e32 0, v7
	s_cbranch_execz .LBB413_2321
; %bb.2314:                             ;   in Loop: Header=BB413_1192 Depth=1
	v_bfrev_b32_e32 v6, 1
	s_mov_b32 s13, exec_lo
	v_cmpx_ne_u16_e32 0x80, v7
	s_cbranch_execz .LBB413_2320
; %bb.2315:                             ;   in Loop: Header=BB413_1192 Depth=1
	v_and_b32_e32 v7, 0x7f, v3
	v_mov_b32_e32 v6, 0x7f800001
	s_mov_b32 s15, exec_lo
	s_delay_alu instid0(VALU_DEP_2)
	v_cmpx_ne_u32_e32 0x7f, v7
	s_cbranch_execz .LBB413_2319
; %bb.2316:                             ;   in Loop: Header=BB413_1192 Depth=1
	v_lshrrev_b32_e32 v78, 3, v7
	v_cmp_gt_u32_e64 s0, 8, v7
	v_dual_mov_b32 v6, v9 :: v_dual_mov_b32 v7, v10
	s_delay_alu instid0(VALU_DEP_2)
	s_and_saveexec_b32 s17, s0
; %bb.2317:                             ;   in Loop: Header=BB413_1192 Depth=1
	v_and_b32_e32 v4, 7, v3
	s_delay_alu instid0(VALU_DEP_1) | instskip(NEXT) | instid1(VALU_DEP_1)
	v_clz_i32_u32_e32 v4, v4
	v_min_u32_e32 v4, 32, v4
	s_delay_alu instid0(VALU_DEP_1) | instskip(SKIP_1) | instid1(VALU_DEP_2)
	v_subrev_nc_u32_e32 v5, 28, v4
	v_sub_nc_u32_e32 v78, 29, v4
	v_lshlrev_b64 v[6:7], v5, v[9:10]
; %bb.2318:                             ;   in Loop: Header=BB413_1192 Depth=1
	s_or_b32 exec_lo, exec_lo, s17
	s_delay_alu instid0(VALU_DEP_1) | instskip(SKIP_2) | instid1(VALU_DEP_3)
	v_lshlrev_b32_e32 v4, 20, v6
	v_lshlrev_b32_e32 v5, 24, v9
	v_lshl_add_u32 v6, v78, 23, 0x3c000000
	v_and_b32_e32 v4, 0x700000, v4
	s_delay_alu instid0(VALU_DEP_3) | instskip(NEXT) | instid1(VALU_DEP_1)
	v_and_b32_e32 v5, 0x80000000, v5
	v_or3_b32 v6, v4, v5, v6
.LBB413_2319:                           ;   in Loop: Header=BB413_1192 Depth=1
	s_or_b32 exec_lo, exec_lo, s15
.LBB413_2320:                           ;   in Loop: Header=BB413_1192 Depth=1
	s_delay_alu instid0(SALU_CYCLE_1)
	s_or_b32 exec_lo, exec_lo, s13
.LBB413_2321:                           ;   in Loop: Header=BB413_1192 Depth=1
	s_delay_alu instid0(SALU_CYCLE_1) | instskip(NEXT) | instid1(VALU_DEP_1)
	s_or_b32 exec_lo, exec_lo, s12
	v_mul_f32_e32 v6, v8, v6
                                        ; implicit-def: $vgpr78
	s_delay_alu instid0(VALU_DEP_1) | instskip(NEXT) | instid1(VALU_DEP_1)
	v_and_b32_e32 v4, 0x7f800000, v6
	v_cmp_ne_u32_e64 s0, 0x7f800000, v4
	s_delay_alu instid0(VALU_DEP_1) | instskip(NEXT) | instid1(SALU_CYCLE_1)
	s_and_saveexec_b32 s12, s0
	s_xor_b32 s0, exec_lo, s12
; %bb.2322:                             ;   in Loop: Header=BB413_1192 Depth=1
	v_bfe_u32 v4, v6, 16, 1
	s_delay_alu instid0(VALU_DEP_1)
	v_add3_u32 v78, v6, v4, 0x7fff
                                        ; implicit-def: $vgpr6
; %bb.2323:                             ;   in Loop: Header=BB413_1192 Depth=1
	s_and_not1_saveexec_b32 s12, s0
; %bb.2324:                             ;   in Loop: Header=BB413_1192 Depth=1
	v_and_b32_e32 v4, 0xffff, v6
	v_or_b32_e32 v5, 0x10000, v6
	s_delay_alu instid0(VALU_DEP_2) | instskip(NEXT) | instid1(VALU_DEP_1)
	v_cmp_eq_u32_e64 s0, 0, v4
	v_cndmask_b32_e64 v78, v5, v6, s0
; %bb.2325:                             ;   in Loop: Header=BB413_1192 Depth=1
	s_or_b32 exec_lo, exec_lo, s12
	v_lshrrev_b16 v7, 8, v9
	v_mov_b32_e32 v6, 0
	s_mov_b32 s12, exec_lo
	s_delay_alu instid0(VALU_DEP_2)
	v_cmpx_ne_u16_e32 0, v7
	s_cbranch_execz .LBB413_2333
; %bb.2326:                             ;   in Loop: Header=BB413_1192 Depth=1
	v_bfrev_b32_e32 v6, 1
	s_mov_b32 s13, exec_lo
	v_cmpx_ne_u16_e32 0x80, v7
	s_cbranch_execz .LBB413_2332
; %bb.2327:                             ;   in Loop: Header=BB413_1192 Depth=1
	v_and_b32_e32 v7, 0xffff, v7
	v_mov_b32_e32 v6, 0x7f800001
	s_mov_b32 s15, exec_lo
	s_delay_alu instid0(VALU_DEP_2) | instskip(NEXT) | instid1(VALU_DEP_1)
	v_and_b32_e32 v88, 0x7f, v7
	v_cmpx_ne_u32_e32 0x7f, v88
	s_cbranch_execz .LBB413_2331
; %bb.2328:                             ;   in Loop: Header=BB413_1192 Depth=1
	v_dual_mov_b32 v7, v10 :: v_dual_and_b32 v6, 7, v7
	v_lshrrev_b32_e32 v79, 3, v88
	s_mov_b32 s17, exec_lo
	v_cmpx_gt_u32_e32 8, v88
; %bb.2329:                             ;   in Loop: Header=BB413_1192 Depth=1
	s_delay_alu instid0(VALU_DEP_3) | instskip(NEXT) | instid1(VALU_DEP_1)
	v_clz_i32_u32_e32 v4, v6
	v_min_u32_e32 v4, 32, v4
	s_delay_alu instid0(VALU_DEP_1) | instskip(SKIP_1) | instid1(VALU_DEP_2)
	v_subrev_nc_u32_e32 v5, 28, v4
	v_sub_nc_u32_e32 v79, 29, v4
	v_lshlrev_b64 v[6:7], v5, v[6:7]
	s_delay_alu instid0(VALU_DEP_1)
	v_and_b32_e32 v6, 7, v6
; %bb.2330:                             ;   in Loop: Header=BB413_1192 Depth=1
	s_or_b32 exec_lo, exec_lo, s17
	v_lshlrev_b32_e32 v4, 16, v9
	s_delay_alu instid0(VALU_DEP_2) | instskip(SKIP_1) | instid1(VALU_DEP_3)
	v_lshlrev_b32_e32 v5, 20, v6
	v_lshl_add_u32 v6, v79, 23, 0x3c000000
	v_and_b32_e32 v4, 0x80000000, v4
	s_delay_alu instid0(VALU_DEP_1)
	v_or3_b32 v6, v5, v4, v6
.LBB413_2331:                           ;   in Loop: Header=BB413_1192 Depth=1
	s_or_b32 exec_lo, exec_lo, s15
.LBB413_2332:                           ;   in Loop: Header=BB413_1192 Depth=1
	s_delay_alu instid0(SALU_CYCLE_1)
	s_or_b32 exec_lo, exec_lo, s13
.LBB413_2333:                           ;   in Loop: Header=BB413_1192 Depth=1
	s_delay_alu instid0(SALU_CYCLE_1) | instskip(NEXT) | instid1(VALU_DEP_1)
	s_or_b32 exec_lo, exec_lo, s12
	v_mul_f32_e32 v6, v8, v6
                                        ; implicit-def: $vgpr79
	s_delay_alu instid0(VALU_DEP_1) | instskip(NEXT) | instid1(VALU_DEP_1)
	v_and_b32_e32 v4, 0x7f800000, v6
	v_cmp_ne_u32_e64 s0, 0x7f800000, v4
	s_delay_alu instid0(VALU_DEP_1) | instskip(NEXT) | instid1(SALU_CYCLE_1)
	s_and_saveexec_b32 s12, s0
	s_xor_b32 s0, exec_lo, s12
; %bb.2334:                             ;   in Loop: Header=BB413_1192 Depth=1
	v_bfe_u32 v4, v6, 16, 1
	s_delay_alu instid0(VALU_DEP_1)
	v_add3_u32 v79, v6, v4, 0x7fff
                                        ; implicit-def: $vgpr6
; %bb.2335:                             ;   in Loop: Header=BB413_1192 Depth=1
	s_and_not1_saveexec_b32 s12, s0
; %bb.2336:                             ;   in Loop: Header=BB413_1192 Depth=1
	v_and_b32_e32 v4, 0xffff, v6
	v_or_b32_e32 v5, 0x10000, v6
	s_delay_alu instid0(VALU_DEP_2) | instskip(NEXT) | instid1(VALU_DEP_1)
	v_cmp_eq_u32_e64 s0, 0, v4
	v_cndmask_b32_e64 v79, v5, v6, s0
; %bb.2337:                             ;   in Loop: Header=BB413_1192 Depth=1
	s_or_b32 exec_lo, exec_lo, s12
	v_lshrrev_b32_e32 v88, 16, v3
	s_mov_b32 s12, exec_lo
	s_delay_alu instid0(VALU_DEP_1) | instskip(NEXT) | instid1(VALU_DEP_1)
	v_dual_mov_b32 v6, 0 :: v_dual_and_b32 v7, 0xff, v88
	v_cmpx_ne_u16_e32 0, v7
	s_cbranch_execz .LBB413_2345
; %bb.2338:                             ;   in Loop: Header=BB413_1192 Depth=1
	v_bfrev_b32_e32 v6, 1
	s_mov_b32 s13, exec_lo
	v_cmpx_ne_u16_e32 0x80, v7
	s_cbranch_execz .LBB413_2344
; %bb.2339:                             ;   in Loop: Header=BB413_1192 Depth=1
	v_bfe_u32 v7, v3, 16, 7
	v_mov_b32_e32 v6, 0x7f800001
	s_mov_b32 s15, exec_lo
	s_delay_alu instid0(VALU_DEP_2)
	v_cmpx_ne_u32_e32 0x7f, v7
	s_cbranch_execz .LBB413_2343
; %bb.2340:                             ;   in Loop: Header=BB413_1192 Depth=1
	v_and_b32_e32 v9, 7, v88
	v_lshrrev_b32_e32 v89, 3, v7
	v_cmp_gt_u32_e64 s0, 8, v7
	s_delay_alu instid0(VALU_DEP_3) | instskip(NEXT) | instid1(VALU_DEP_2)
	v_dual_mov_b32 v6, v9 :: v_dual_mov_b32 v7, v10
	s_and_saveexec_b32 s17, s0
; %bb.2341:                             ;   in Loop: Header=BB413_1192 Depth=1
	v_clz_i32_u32_e32 v4, v9
	s_delay_alu instid0(VALU_DEP_1) | instskip(NEXT) | instid1(VALU_DEP_1)
	v_min_u32_e32 v4, 32, v4
	v_subrev_nc_u32_e32 v5, 28, v4
	v_sub_nc_u32_e32 v89, 29, v4
	s_delay_alu instid0(VALU_DEP_2) | instskip(NEXT) | instid1(VALU_DEP_1)
	v_lshlrev_b64 v[6:7], v5, v[9:10]
	v_and_b32_e32 v6, 7, v6
; %bb.2342:                             ;   in Loop: Header=BB413_1192 Depth=1
	s_or_b32 exec_lo, exec_lo, s17
	v_lshlrev_b32_e32 v4, 24, v88
	s_delay_alu instid0(VALU_DEP_2) | instskip(SKIP_1) | instid1(VALU_DEP_3)
	v_lshlrev_b32_e32 v5, 20, v6
	v_lshl_add_u32 v6, v89, 23, 0x3c000000
	v_and_b32_e32 v4, 0x80000000, v4
	s_delay_alu instid0(VALU_DEP_1)
	v_or3_b32 v6, v5, v4, v6
.LBB413_2343:                           ;   in Loop: Header=BB413_1192 Depth=1
	s_or_b32 exec_lo, exec_lo, s15
.LBB413_2344:                           ;   in Loop: Header=BB413_1192 Depth=1
	s_delay_alu instid0(SALU_CYCLE_1)
	s_or_b32 exec_lo, exec_lo, s13
.LBB413_2345:                           ;   in Loop: Header=BB413_1192 Depth=1
	s_delay_alu instid0(SALU_CYCLE_1) | instskip(NEXT) | instid1(VALU_DEP_1)
	s_or_b32 exec_lo, exec_lo, s12
	v_mul_f32_e32 v6, v8, v6
                                        ; implicit-def: $vgpr88
	s_delay_alu instid0(VALU_DEP_1) | instskip(NEXT) | instid1(VALU_DEP_1)
	v_and_b32_e32 v4, 0x7f800000, v6
	v_cmp_ne_u32_e64 s0, 0x7f800000, v4
	s_delay_alu instid0(VALU_DEP_1) | instskip(NEXT) | instid1(SALU_CYCLE_1)
	s_and_saveexec_b32 s12, s0
	s_xor_b32 s0, exec_lo, s12
; %bb.2346:                             ;   in Loop: Header=BB413_1192 Depth=1
	v_bfe_u32 v4, v6, 16, 1
	s_delay_alu instid0(VALU_DEP_1)
	v_add3_u32 v88, v6, v4, 0x7fff
                                        ; implicit-def: $vgpr6
; %bb.2347:                             ;   in Loop: Header=BB413_1192 Depth=1
	s_and_not1_saveexec_b32 s12, s0
; %bb.2348:                             ;   in Loop: Header=BB413_1192 Depth=1
	v_and_b32_e32 v4, 0xffff, v6
	v_or_b32_e32 v5, 0x10000, v6
	s_delay_alu instid0(VALU_DEP_2) | instskip(NEXT) | instid1(VALU_DEP_1)
	v_cmp_eq_u32_e64 s0, 0, v4
	v_cndmask_b32_e64 v88, v5, v6, s0
; %bb.2349:                             ;   in Loop: Header=BB413_1192 Depth=1
	s_or_b32 exec_lo, exec_lo, s12
	v_cmp_lt_u64_e64 s0, s[8:9], v[2:3]
	v_mov_b32_e32 v2, 0
	s_delay_alu instid0(VALU_DEP_2)
	s_and_saveexec_b32 s12, s0
	s_cbranch_execz .LBB413_2357
; %bb.2350:                             ;   in Loop: Header=BB413_1192 Depth=1
	v_lshrrev_b32_e32 v6, 24, v3
	v_bfrev_b32_e32 v2, 1
	s_mov_b32 s13, exec_lo
	s_delay_alu instid0(VALU_DEP_2)
	v_cmpx_ne_u32_e32 0x80, v6
	s_cbranch_execz .LBB413_2356
; %bb.2351:                             ;   in Loop: Header=BB413_1192 Depth=1
	v_bfe_u32 v3, v3, 24, 7
	v_mov_b32_e32 v2, 0x7f800001
	s_mov_b32 s15, exec_lo
	s_delay_alu instid0(VALU_DEP_2)
	v_cmpx_ne_u32_e32 0x7f, v3
	s_cbranch_execz .LBB413_2355
; %bb.2352:                             ;   in Loop: Header=BB413_1192 Depth=1
	v_and_b32_e32 v9, 7, v6
	v_lshrrev_b32_e32 v7, 3, v3
	v_cmp_gt_u32_e64 s0, 8, v3
	s_delay_alu instid0(VALU_DEP_3) | instskip(NEXT) | instid1(VALU_DEP_2)
	v_dual_mov_b32 v2, v9 :: v_dual_mov_b32 v3, v10
	s_and_saveexec_b32 s17, s0
; %bb.2353:                             ;   in Loop: Header=BB413_1192 Depth=1
	v_clz_i32_u32_e32 v2, v9
	s_delay_alu instid0(VALU_DEP_1) | instskip(NEXT) | instid1(VALU_DEP_1)
	v_min_u32_e32 v4, 32, v2
	v_subrev_nc_u32_e32 v2, 28, v4
	v_sub_nc_u32_e32 v7, 29, v4
	s_delay_alu instid0(VALU_DEP_2) | instskip(NEXT) | instid1(VALU_DEP_1)
	v_lshlrev_b64 v[2:3], v2, v[9:10]
	v_and_b32_e32 v2, 7, v2
; %bb.2354:                             ;   in Loop: Header=BB413_1192 Depth=1
	s_or_b32 exec_lo, exec_lo, s17
	v_lshlrev_b32_e32 v3, 24, v6
	s_delay_alu instid0(VALU_DEP_2) | instskip(SKIP_1) | instid1(VALU_DEP_3)
	v_lshlrev_b32_e32 v2, 20, v2
	v_lshl_add_u32 v4, v7, 23, 0x3c000000
	v_and_b32_e32 v3, 0x80000000, v3
	s_delay_alu instid0(VALU_DEP_1)
	v_or3_b32 v2, v2, v3, v4
.LBB413_2355:                           ;   in Loop: Header=BB413_1192 Depth=1
	s_or_b32 exec_lo, exec_lo, s15
.LBB413_2356:                           ;   in Loop: Header=BB413_1192 Depth=1
	s_delay_alu instid0(SALU_CYCLE_1)
	s_or_b32 exec_lo, exec_lo, s13
.LBB413_2357:                           ;   in Loop: Header=BB413_1192 Depth=1
	s_delay_alu instid0(SALU_CYCLE_1) | instskip(NEXT) | instid1(VALU_DEP_1)
	s_or_b32 exec_lo, exec_lo, s12
	v_mul_f32_e32 v3, v8, v2
	s_delay_alu instid0(VALU_DEP_1) | instskip(NEXT) | instid1(VALU_DEP_1)
	v_and_b32_e32 v2, 0x7f800000, v3
	v_cmp_ne_u32_e64 s0, 0x7f800000, v2
                                        ; implicit-def: $vgpr2
	s_delay_alu instid0(VALU_DEP_1) | instskip(NEXT) | instid1(SALU_CYCLE_1)
	s_and_saveexec_b32 s12, s0
	s_xor_b32 s0, exec_lo, s12
; %bb.2358:                             ;   in Loop: Header=BB413_1192 Depth=1
	v_bfe_u32 v2, v3, 16, 1
	s_delay_alu instid0(VALU_DEP_1)
	v_add3_u32 v2, v3, v2, 0x7fff
                                        ; implicit-def: $vgpr3
; %bb.2359:                             ;   in Loop: Header=BB413_1192 Depth=1
	s_and_not1_saveexec_b32 s12, s0
; %bb.2360:                             ;   in Loop: Header=BB413_1192 Depth=1
	v_and_b32_e32 v2, 0xffff, v3
	v_or_b32_e32 v4, 0x10000, v3
	s_delay_alu instid0(VALU_DEP_2) | instskip(NEXT) | instid1(VALU_DEP_1)
	v_cmp_eq_u32_e64 s0, 0, v2
	v_cndmask_b32_e64 v2, v4, v3, s0
; %bb.2361:                             ;   in Loop: Header=BB413_1192 Depth=1
	s_or_b32 exec_lo, exec_lo, s12
	v_lshrrev_b32_e32 v6, 16, v79
	v_lshrrev_b32_e32 v7, 16, v78
	;; [unrolled: 1-line block ×8, first 2 shown]
	s_and_saveexec_b32 s12, vcc_lo
	s_cbranch_execz .LBB413_2363
; %bb.2362:                             ;   in Loop: Header=BB413_1192 Depth=1
	v_cmp_lt_i32_e64 s0, v66, v85
	s_delay_alu instid0(VALU_DEP_1) | instskip(SKIP_1) | instid1(VALU_DEP_1)
	v_cndmask_b32_e64 v74, 0, v74, s0
	v_cmp_lt_i32_e64 s0, v81, v85
	v_cndmask_b32_e64 v75, 0, v75, s0
	v_cmp_lt_i32_e64 s0, v80, v85
	s_delay_alu instid0(VALU_DEP_1) | instskip(SKIP_1) | instid1(VALU_DEP_1)
	v_cndmask_b32_e64 v76, 0, v76, s0
	v_cmp_lt_i32_e64 s0, v71, v85
	v_cndmask_b32_e64 v9, 0, v9, s0
	;; [unrolled: 5-line block ×4, first 2 shown]
.LBB413_2363:                           ;   in Loop: Header=BB413_1192 Depth=1
	s_or_b32 exec_lo, exec_lo, s12
	v_lshlrev_b32_e32 v4, 16, v74
                                        ; implicit-def: $vgpr74
	s_delay_alu instid0(VALU_DEP_1) | instskip(NEXT) | instid1(VALU_DEP_1)
	v_mul_f32_e32 v77, v82, v4
	v_and_b32_e32 v4, 0x7f800000, v77
	s_delay_alu instid0(VALU_DEP_1) | instskip(NEXT) | instid1(VALU_DEP_1)
	v_cmp_ne_u32_e64 s0, 0x7f800000, v4
	s_and_saveexec_b32 s12, s0
	s_delay_alu instid0(SALU_CYCLE_1)
	s_xor_b32 s0, exec_lo, s12
; %bb.2364:                             ;   in Loop: Header=BB413_1192 Depth=1
	v_bfe_u32 v4, v77, 16, 1
	s_delay_alu instid0(VALU_DEP_1)
	v_add3_u32 v74, v77, v4, 0x7fff
                                        ; implicit-def: $vgpr77
; %bb.2365:                             ;   in Loop: Header=BB413_1192 Depth=1
	s_and_not1_saveexec_b32 s12, s0
; %bb.2366:                             ;   in Loop: Header=BB413_1192 Depth=1
	v_and_b32_e32 v4, 0xffff, v77
	v_or_b32_e32 v5, 0x10000, v77
	s_delay_alu instid0(VALU_DEP_2) | instskip(NEXT) | instid1(VALU_DEP_1)
	v_cmp_eq_u32_e64 s0, 0, v4
	v_cndmask_b32_e64 v74, v5, v77, s0
; %bb.2367:                             ;   in Loop: Header=BB413_1192 Depth=1
	s_or_b32 exec_lo, exec_lo, s12
	v_lshlrev_b32_e32 v4, 16, v75
                                        ; implicit-def: $vgpr75
	s_delay_alu instid0(VALU_DEP_1) | instskip(NEXT) | instid1(VALU_DEP_1)
	v_mul_f32_e32 v77, v83, v4
	v_and_b32_e32 v4, 0x7f800000, v77
	s_delay_alu instid0(VALU_DEP_1) | instskip(NEXT) | instid1(VALU_DEP_1)
	v_cmp_ne_u32_e64 s0, 0x7f800000, v4
	s_and_saveexec_b32 s12, s0
	s_delay_alu instid0(SALU_CYCLE_1)
	s_xor_b32 s0, exec_lo, s12
; %bb.2368:                             ;   in Loop: Header=BB413_1192 Depth=1
	v_bfe_u32 v4, v77, 16, 1
	s_delay_alu instid0(VALU_DEP_1)
	v_add3_u32 v75, v77, v4, 0x7fff
                                        ; implicit-def: $vgpr77
; %bb.2369:                             ;   in Loop: Header=BB413_1192 Depth=1
	s_and_not1_saveexec_b32 s12, s0
; %bb.2370:                             ;   in Loop: Header=BB413_1192 Depth=1
	v_and_b32_e32 v4, 0xffff, v77
	v_or_b32_e32 v5, 0x10000, v77
	s_delay_alu instid0(VALU_DEP_2) | instskip(NEXT) | instid1(VALU_DEP_1)
	v_cmp_eq_u32_e64 s0, 0, v4
	v_cndmask_b32_e64 v75, v5, v77, s0
; %bb.2371:                             ;   in Loop: Header=BB413_1192 Depth=1
	s_or_b32 exec_lo, exec_lo, s12
	v_lshlrev_b32_e32 v4, 16, v76
                                        ; implicit-def: $vgpr76
	s_delay_alu instid0(VALU_DEP_1) | instskip(NEXT) | instid1(VALU_DEP_1)
	v_mul_f32_e32 v77, v100, v4
	v_and_b32_e32 v4, 0x7f800000, v77
	s_delay_alu instid0(VALU_DEP_1) | instskip(NEXT) | instid1(VALU_DEP_1)
	v_cmp_ne_u32_e64 s0, 0x7f800000, v4
	s_and_saveexec_b32 s12, s0
	s_delay_alu instid0(SALU_CYCLE_1)
	s_xor_b32 s0, exec_lo, s12
; %bb.2372:                             ;   in Loop: Header=BB413_1192 Depth=1
	v_bfe_u32 v4, v77, 16, 1
	s_delay_alu instid0(VALU_DEP_1)
	v_add3_u32 v76, v77, v4, 0x7fff
                                        ; implicit-def: $vgpr77
; %bb.2373:                             ;   in Loop: Header=BB413_1192 Depth=1
	s_and_not1_saveexec_b32 s12, s0
; %bb.2374:                             ;   in Loop: Header=BB413_1192 Depth=1
	v_and_b32_e32 v4, 0xffff, v77
	v_or_b32_e32 v5, 0x10000, v77
	s_delay_alu instid0(VALU_DEP_2) | instskip(NEXT) | instid1(VALU_DEP_1)
	v_cmp_eq_u32_e64 s0, 0, v4
	v_cndmask_b32_e64 v76, v5, v77, s0
; %bb.2375:                             ;   in Loop: Header=BB413_1192 Depth=1
	s_or_b32 exec_lo, exec_lo, s12
	v_lshlrev_b32_e32 v4, 16, v9
                                        ; implicit-def: $vgpr77
	s_delay_alu instid0(VALU_DEP_1) | instskip(NEXT) | instid1(VALU_DEP_1)
	v_mul_f32_e32 v9, v101, v4
	v_and_b32_e32 v4, 0x7f800000, v9
	s_delay_alu instid0(VALU_DEP_1) | instskip(NEXT) | instid1(VALU_DEP_1)
	v_cmp_ne_u32_e64 s0, 0x7f800000, v4
	s_and_saveexec_b32 s12, s0
	s_delay_alu instid0(SALU_CYCLE_1)
	s_xor_b32 s0, exec_lo, s12
; %bb.2376:                             ;   in Loop: Header=BB413_1192 Depth=1
	v_bfe_u32 v4, v9, 16, 1
	s_delay_alu instid0(VALU_DEP_1)
	v_add3_u32 v77, v9, v4, 0x7fff
                                        ; implicit-def: $vgpr9
; %bb.2377:                             ;   in Loop: Header=BB413_1192 Depth=1
	s_and_not1_saveexec_b32 s12, s0
; %bb.2378:                             ;   in Loop: Header=BB413_1192 Depth=1
	v_and_b32_e32 v4, 0xffff, v9
	v_or_b32_e32 v5, 0x10000, v9
	s_delay_alu instid0(VALU_DEP_2) | instskip(NEXT) | instid1(VALU_DEP_1)
	v_cmp_eq_u32_e64 s0, 0, v4
	v_cndmask_b32_e64 v77, v5, v9, s0
; %bb.2379:                             ;   in Loop: Header=BB413_1192 Depth=1
	s_or_b32 exec_lo, exec_lo, s12
	v_lshlrev_b32_e32 v4, 16, v7
                                        ; implicit-def: $vgpr78
	s_delay_alu instid0(VALU_DEP_1) | instskip(NEXT) | instid1(VALU_DEP_1)
	v_mul_f32_e32 v7, v102, v4
	v_and_b32_e32 v4, 0x7f800000, v7
	s_delay_alu instid0(VALU_DEP_1) | instskip(NEXT) | instid1(VALU_DEP_1)
	v_cmp_ne_u32_e64 s0, 0x7f800000, v4
	s_and_saveexec_b32 s12, s0
	s_delay_alu instid0(SALU_CYCLE_1)
	s_xor_b32 s0, exec_lo, s12
; %bb.2380:                             ;   in Loop: Header=BB413_1192 Depth=1
	v_bfe_u32 v4, v7, 16, 1
	s_delay_alu instid0(VALU_DEP_1)
	v_add3_u32 v78, v7, v4, 0x7fff
                                        ; implicit-def: $vgpr7
; %bb.2381:                             ;   in Loop: Header=BB413_1192 Depth=1
	s_and_not1_saveexec_b32 s12, s0
; %bb.2382:                             ;   in Loop: Header=BB413_1192 Depth=1
	v_and_b32_e32 v4, 0xffff, v7
	v_or_b32_e32 v5, 0x10000, v7
	s_delay_alu instid0(VALU_DEP_2) | instskip(NEXT) | instid1(VALU_DEP_1)
	v_cmp_eq_u32_e64 s0, 0, v4
	v_cndmask_b32_e64 v78, v5, v7, s0
; %bb.2383:                             ;   in Loop: Header=BB413_1192 Depth=1
	s_or_b32 exec_lo, exec_lo, s12
	v_lshlrev_b32_e32 v4, 16, v6
                                        ; implicit-def: $vgpr79
	s_delay_alu instid0(VALU_DEP_1) | instskip(NEXT) | instid1(VALU_DEP_1)
	v_mul_f32_e32 v6, v103, v4
	v_and_b32_e32 v4, 0x7f800000, v6
	s_delay_alu instid0(VALU_DEP_1) | instskip(NEXT) | instid1(VALU_DEP_1)
	v_cmp_ne_u32_e64 s0, 0x7f800000, v4
	s_and_saveexec_b32 s12, s0
	s_delay_alu instid0(SALU_CYCLE_1)
	s_xor_b32 s0, exec_lo, s12
; %bb.2384:                             ;   in Loop: Header=BB413_1192 Depth=1
	v_bfe_u32 v4, v6, 16, 1
	s_delay_alu instid0(VALU_DEP_1)
	v_add3_u32 v79, v6, v4, 0x7fff
                                        ; implicit-def: $vgpr6
; %bb.2385:                             ;   in Loop: Header=BB413_1192 Depth=1
	s_and_not1_saveexec_b32 s12, s0
; %bb.2386:                             ;   in Loop: Header=BB413_1192 Depth=1
	v_and_b32_e32 v4, 0xffff, v6
	v_or_b32_e32 v5, 0x10000, v6
	s_delay_alu instid0(VALU_DEP_2) | instskip(NEXT) | instid1(VALU_DEP_1)
	v_cmp_eq_u32_e64 s0, 0, v4
	v_cndmask_b32_e64 v79, v5, v6, s0
; %bb.2387:                             ;   in Loop: Header=BB413_1192 Depth=1
	s_or_b32 exec_lo, exec_lo, s12
	v_lshlrev_b32_e32 v3, 16, v3
                                        ; implicit-def: $vgpr88
	s_delay_alu instid0(VALU_DEP_1) | instskip(NEXT) | instid1(VALU_DEP_1)
	v_mul_f32_e32 v3, v112, v3
	v_and_b32_e32 v4, 0x7f800000, v3
	s_delay_alu instid0(VALU_DEP_1) | instskip(NEXT) | instid1(VALU_DEP_1)
	v_cmp_ne_u32_e64 s0, 0x7f800000, v4
	s_and_saveexec_b32 s12, s0
	s_delay_alu instid0(SALU_CYCLE_1)
	s_xor_b32 s0, exec_lo, s12
; %bb.2388:                             ;   in Loop: Header=BB413_1192 Depth=1
	v_bfe_u32 v4, v3, 16, 1
	s_delay_alu instid0(VALU_DEP_1)
	v_add3_u32 v88, v3, v4, 0x7fff
                                        ; implicit-def: $vgpr3
; %bb.2389:                             ;   in Loop: Header=BB413_1192 Depth=1
	s_and_not1_saveexec_b32 s12, s0
; %bb.2390:                             ;   in Loop: Header=BB413_1192 Depth=1
	v_and_b32_e32 v4, 0xffff, v3
	v_or_b32_e32 v5, 0x10000, v3
	s_delay_alu instid0(VALU_DEP_2) | instskip(NEXT) | instid1(VALU_DEP_1)
	v_cmp_eq_u32_e64 s0, 0, v4
	v_cndmask_b32_e64 v88, v5, v3, s0
; %bb.2391:                             ;   in Loop: Header=BB413_1192 Depth=1
	s_or_b32 exec_lo, exec_lo, s12
	v_lshlrev_b32_e32 v2, 16, v2
                                        ; implicit-def: $vgpr89
	s_delay_alu instid0(VALU_DEP_1) | instskip(NEXT) | instid1(VALU_DEP_1)
	v_mul_f32_e32 v2, v113, v2
	v_and_b32_e32 v3, 0x7f800000, v2
	s_delay_alu instid0(VALU_DEP_1) | instskip(NEXT) | instid1(VALU_DEP_1)
	v_cmp_ne_u32_e64 s0, 0x7f800000, v3
	s_and_saveexec_b32 s12, s0
	s_delay_alu instid0(SALU_CYCLE_1)
	s_xor_b32 s0, exec_lo, s12
; %bb.2392:                             ;   in Loop: Header=BB413_1192 Depth=1
	v_bfe_u32 v3, v2, 16, 1
	s_delay_alu instid0(VALU_DEP_1)
	v_add3_u32 v89, v2, v3, 0x7fff
                                        ; implicit-def: $vgpr2
; %bb.2393:                             ;   in Loop: Header=BB413_1192 Depth=1
	s_and_not1_saveexec_b32 s12, s0
; %bb.2394:                             ;   in Loop: Header=BB413_1192 Depth=1
	v_and_b32_e32 v3, 0xffff, v2
	v_or_b32_e32 v4, 0x10000, v2
	s_delay_alu instid0(VALU_DEP_2) | instskip(NEXT) | instid1(VALU_DEP_1)
	v_cmp_eq_u32_e64 s0, 0, v3
	v_cndmask_b32_e64 v89, v4, v2, s0
; %bb.2395:                             ;   in Loop: Header=BB413_1192 Depth=1
	s_or_b32 exec_lo, exec_lo, s12
	flat_load_b64 v[2:3], v[0:1] offset:2304
	s_mov_b32 s12, exec_lo
	s_waitcnt vmcnt(0) lgkmcnt(0)
	v_dual_mov_b32 v6, 0 :: v_dual_and_b32 v7, 0xff, v2
	s_delay_alu instid0(VALU_DEP_1)
	v_cmpx_ne_u16_e32 0, v7
	s_cbranch_execz .LBB413_2403
; %bb.2396:                             ;   in Loop: Header=BB413_1192 Depth=1
	v_bfrev_b32_e32 v6, 1
	s_mov_b32 s13, exec_lo
	v_cmpx_ne_u16_e32 0x80, v7
	s_cbranch_execz .LBB413_2402
; %bb.2397:                             ;   in Loop: Header=BB413_1192 Depth=1
	v_and_b32_e32 v7, 0x7f, v2
	v_mov_b32_e32 v6, 0x7f800001
	s_mov_b32 s15, exec_lo
	s_delay_alu instid0(VALU_DEP_2)
	v_cmpx_ne_u32_e32 0x7f, v7
	s_cbranch_execz .LBB413_2401
; %bb.2398:                             ;   in Loop: Header=BB413_1192 Depth=1
	v_lshrrev_b32_e32 v9, 3, v7
	v_cmp_gt_u32_e64 s0, 8, v7
	v_dual_mov_b32 v7, v3 :: v_dual_mov_b32 v6, v2
	s_delay_alu instid0(VALU_DEP_2)
	s_and_saveexec_b32 s17, s0
; %bb.2399:                             ;   in Loop: Header=BB413_1192 Depth=1
	v_and_b32_e32 v4, 7, v2
	s_delay_alu instid0(VALU_DEP_1) | instskip(NEXT) | instid1(VALU_DEP_1)
	v_clz_i32_u32_e32 v4, v4
	v_min_u32_e32 v4, 32, v4
	s_delay_alu instid0(VALU_DEP_1) | instskip(SKIP_1) | instid1(VALU_DEP_2)
	v_subrev_nc_u32_e32 v5, 28, v4
	v_sub_nc_u32_e32 v9, 29, v4
	v_lshlrev_b64 v[6:7], v5, v[2:3]
; %bb.2400:                             ;   in Loop: Header=BB413_1192 Depth=1
	s_or_b32 exec_lo, exec_lo, s17
	s_delay_alu instid0(VALU_DEP_1) | instskip(SKIP_2) | instid1(VALU_DEP_3)
	v_lshlrev_b32_e32 v4, 20, v6
	v_lshlrev_b32_e32 v5, 24, v2
	v_lshl_add_u32 v6, v9, 23, 0x3c000000
	v_and_b32_e32 v4, 0x700000, v4
	s_delay_alu instid0(VALU_DEP_3) | instskip(NEXT) | instid1(VALU_DEP_1)
	v_and_b32_e32 v5, 0x80000000, v5
	v_or3_b32 v6, v4, v5, v6
.LBB413_2401:                           ;   in Loop: Header=BB413_1192 Depth=1
	s_or_b32 exec_lo, exec_lo, s15
.LBB413_2402:                           ;   in Loop: Header=BB413_1192 Depth=1
	s_delay_alu instid0(SALU_CYCLE_1)
	s_or_b32 exec_lo, exec_lo, s13
.LBB413_2403:                           ;   in Loop: Header=BB413_1192 Depth=1
	s_delay_alu instid0(SALU_CYCLE_1) | instskip(NEXT) | instid1(VALU_DEP_1)
	s_or_b32 exec_lo, exec_lo, s12
	v_mul_f32_e32 v6, v8, v6
                                        ; implicit-def: $vgpr90
	s_delay_alu instid0(VALU_DEP_1) | instskip(NEXT) | instid1(VALU_DEP_1)
	v_and_b32_e32 v4, 0x7f800000, v6
	v_cmp_ne_u32_e64 s0, 0x7f800000, v4
	s_delay_alu instid0(VALU_DEP_1) | instskip(NEXT) | instid1(SALU_CYCLE_1)
	s_and_saveexec_b32 s12, s0
	s_xor_b32 s0, exec_lo, s12
; %bb.2404:                             ;   in Loop: Header=BB413_1192 Depth=1
	v_bfe_u32 v4, v6, 16, 1
	s_delay_alu instid0(VALU_DEP_1)
	v_add3_u32 v90, v6, v4, 0x7fff
                                        ; implicit-def: $vgpr6
; %bb.2405:                             ;   in Loop: Header=BB413_1192 Depth=1
	s_and_not1_saveexec_b32 s12, s0
; %bb.2406:                             ;   in Loop: Header=BB413_1192 Depth=1
	v_and_b32_e32 v4, 0xffff, v6
	v_or_b32_e32 v5, 0x10000, v6
	s_delay_alu instid0(VALU_DEP_2) | instskip(NEXT) | instid1(VALU_DEP_1)
	v_cmp_eq_u32_e64 s0, 0, v4
	v_cndmask_b32_e64 v90, v5, v6, s0
; %bb.2407:                             ;   in Loop: Header=BB413_1192 Depth=1
	s_or_b32 exec_lo, exec_lo, s12
	v_lshrrev_b16 v7, 8, v2
	v_mov_b32_e32 v6, 0
	s_mov_b32 s12, exec_lo
	s_delay_alu instid0(VALU_DEP_2)
	v_cmpx_ne_u16_e32 0, v7
	s_cbranch_execz .LBB413_2415
; %bb.2408:                             ;   in Loop: Header=BB413_1192 Depth=1
	v_bfrev_b32_e32 v6, 1
	s_mov_b32 s13, exec_lo
	v_cmpx_ne_u16_e32 0x80, v7
	s_cbranch_execz .LBB413_2414
; %bb.2409:                             ;   in Loop: Header=BB413_1192 Depth=1
	v_and_b32_e32 v9, 0xffff, v7
	v_mov_b32_e32 v6, 0x7f800001
	s_mov_b32 s15, exec_lo
	s_delay_alu instid0(VALU_DEP_2) | instskip(NEXT) | instid1(VALU_DEP_1)
	v_and_b32_e32 v7, 0x7f, v9
	v_cmpx_ne_u32_e32 0x7f, v7
	s_cbranch_execz .LBB413_2413
; %bb.2410:                             ;   in Loop: Header=BB413_1192 Depth=1
	v_and_b32_e32 v9, 7, v9
	v_lshrrev_b32_e32 v91, 3, v7
	v_cmp_gt_u32_e64 s0, 8, v7
	s_delay_alu instid0(VALU_DEP_3) | instskip(NEXT) | instid1(VALU_DEP_2)
	v_dual_mov_b32 v6, v9 :: v_dual_mov_b32 v7, v10
	s_and_saveexec_b32 s17, s0
; %bb.2411:                             ;   in Loop: Header=BB413_1192 Depth=1
	v_clz_i32_u32_e32 v4, v9
	s_delay_alu instid0(VALU_DEP_1) | instskip(NEXT) | instid1(VALU_DEP_1)
	v_min_u32_e32 v4, 32, v4
	v_subrev_nc_u32_e32 v5, 28, v4
	v_sub_nc_u32_e32 v91, 29, v4
	s_delay_alu instid0(VALU_DEP_2) | instskip(NEXT) | instid1(VALU_DEP_1)
	v_lshlrev_b64 v[6:7], v5, v[9:10]
	v_and_b32_e32 v6, 7, v6
; %bb.2412:                             ;   in Loop: Header=BB413_1192 Depth=1
	s_or_b32 exec_lo, exec_lo, s17
	v_lshlrev_b32_e32 v4, 16, v2
	s_delay_alu instid0(VALU_DEP_2) | instskip(SKIP_1) | instid1(VALU_DEP_3)
	v_lshlrev_b32_e32 v5, 20, v6
	v_lshl_add_u32 v6, v91, 23, 0x3c000000
	v_and_b32_e32 v4, 0x80000000, v4
	s_delay_alu instid0(VALU_DEP_1)
	v_or3_b32 v6, v5, v4, v6
.LBB413_2413:                           ;   in Loop: Header=BB413_1192 Depth=1
	s_or_b32 exec_lo, exec_lo, s15
.LBB413_2414:                           ;   in Loop: Header=BB413_1192 Depth=1
	s_delay_alu instid0(SALU_CYCLE_1)
	s_or_b32 exec_lo, exec_lo, s13
.LBB413_2415:                           ;   in Loop: Header=BB413_1192 Depth=1
	s_delay_alu instid0(SALU_CYCLE_1) | instskip(NEXT) | instid1(VALU_DEP_1)
	s_or_b32 exec_lo, exec_lo, s12
	v_mul_f32_e32 v6, v8, v6
                                        ; implicit-def: $vgpr91
	s_delay_alu instid0(VALU_DEP_1) | instskip(NEXT) | instid1(VALU_DEP_1)
	v_and_b32_e32 v4, 0x7f800000, v6
	v_cmp_ne_u32_e64 s0, 0x7f800000, v4
	s_delay_alu instid0(VALU_DEP_1) | instskip(NEXT) | instid1(SALU_CYCLE_1)
	s_and_saveexec_b32 s12, s0
	s_xor_b32 s0, exec_lo, s12
; %bb.2416:                             ;   in Loop: Header=BB413_1192 Depth=1
	v_bfe_u32 v4, v6, 16, 1
	s_delay_alu instid0(VALU_DEP_1)
	v_add3_u32 v91, v6, v4, 0x7fff
                                        ; implicit-def: $vgpr6
; %bb.2417:                             ;   in Loop: Header=BB413_1192 Depth=1
	s_and_not1_saveexec_b32 s12, s0
; %bb.2418:                             ;   in Loop: Header=BB413_1192 Depth=1
	v_and_b32_e32 v4, 0xffff, v6
	v_or_b32_e32 v5, 0x10000, v6
	s_delay_alu instid0(VALU_DEP_2) | instskip(NEXT) | instid1(VALU_DEP_1)
	v_cmp_eq_u32_e64 s0, 0, v4
	v_cndmask_b32_e64 v91, v5, v6, s0
; %bb.2419:                             ;   in Loop: Header=BB413_1192 Depth=1
	s_or_b32 exec_lo, exec_lo, s12
	v_lshrrev_b32_e32 v92, 16, v2
	s_mov_b32 s12, exec_lo
	s_delay_alu instid0(VALU_DEP_1) | instskip(NEXT) | instid1(VALU_DEP_1)
	v_dual_mov_b32 v6, 0 :: v_dual_and_b32 v7, 0xff, v92
	v_cmpx_ne_u16_e32 0, v7
	s_cbranch_execz .LBB413_2427
; %bb.2420:                             ;   in Loop: Header=BB413_1192 Depth=1
	v_bfrev_b32_e32 v6, 1
	s_mov_b32 s13, exec_lo
	v_cmpx_ne_u16_e32 0x80, v7
	s_cbranch_execz .LBB413_2426
; %bb.2421:                             ;   in Loop: Header=BB413_1192 Depth=1
	v_bfe_u32 v7, v2, 16, 7
	v_mov_b32_e32 v6, 0x7f800001
	s_mov_b32 s15, exec_lo
	s_delay_alu instid0(VALU_DEP_2)
	v_cmpx_ne_u32_e32 0x7f, v7
	s_cbranch_execz .LBB413_2425
; %bb.2422:                             ;   in Loop: Header=BB413_1192 Depth=1
	v_and_b32_e32 v9, 7, v92
	v_lshrrev_b32_e32 v93, 3, v7
	v_cmp_gt_u32_e64 s0, 8, v7
	s_delay_alu instid0(VALU_DEP_3) | instskip(NEXT) | instid1(VALU_DEP_2)
	v_dual_mov_b32 v6, v9 :: v_dual_mov_b32 v7, v10
	s_and_saveexec_b32 s17, s0
; %bb.2423:                             ;   in Loop: Header=BB413_1192 Depth=1
	v_clz_i32_u32_e32 v4, v9
	s_delay_alu instid0(VALU_DEP_1) | instskip(NEXT) | instid1(VALU_DEP_1)
	v_min_u32_e32 v4, 32, v4
	v_subrev_nc_u32_e32 v5, 28, v4
	v_sub_nc_u32_e32 v93, 29, v4
	s_delay_alu instid0(VALU_DEP_2) | instskip(NEXT) | instid1(VALU_DEP_1)
	v_lshlrev_b64 v[6:7], v5, v[9:10]
	v_and_b32_e32 v6, 7, v6
; %bb.2424:                             ;   in Loop: Header=BB413_1192 Depth=1
	s_or_b32 exec_lo, exec_lo, s17
	v_lshlrev_b32_e32 v4, 24, v92
	s_delay_alu instid0(VALU_DEP_2) | instskip(SKIP_1) | instid1(VALU_DEP_3)
	v_lshlrev_b32_e32 v5, 20, v6
	v_lshl_add_u32 v6, v93, 23, 0x3c000000
	v_and_b32_e32 v4, 0x80000000, v4
	s_delay_alu instid0(VALU_DEP_1)
	v_or3_b32 v6, v5, v4, v6
.LBB413_2425:                           ;   in Loop: Header=BB413_1192 Depth=1
	s_or_b32 exec_lo, exec_lo, s15
.LBB413_2426:                           ;   in Loop: Header=BB413_1192 Depth=1
	s_delay_alu instid0(SALU_CYCLE_1)
	s_or_b32 exec_lo, exec_lo, s13
.LBB413_2427:                           ;   in Loop: Header=BB413_1192 Depth=1
	s_delay_alu instid0(SALU_CYCLE_1) | instskip(NEXT) | instid1(VALU_DEP_1)
	s_or_b32 exec_lo, exec_lo, s12
	v_mul_f32_e32 v6, v8, v6
                                        ; implicit-def: $vgpr92
	s_delay_alu instid0(VALU_DEP_1) | instskip(NEXT) | instid1(VALU_DEP_1)
	v_and_b32_e32 v4, 0x7f800000, v6
	v_cmp_ne_u32_e64 s0, 0x7f800000, v4
	s_delay_alu instid0(VALU_DEP_1) | instskip(NEXT) | instid1(SALU_CYCLE_1)
	s_and_saveexec_b32 s12, s0
	s_xor_b32 s0, exec_lo, s12
; %bb.2428:                             ;   in Loop: Header=BB413_1192 Depth=1
	v_bfe_u32 v4, v6, 16, 1
	s_delay_alu instid0(VALU_DEP_1)
	v_add3_u32 v92, v6, v4, 0x7fff
                                        ; implicit-def: $vgpr6
; %bb.2429:                             ;   in Loop: Header=BB413_1192 Depth=1
	s_and_not1_saveexec_b32 s12, s0
; %bb.2430:                             ;   in Loop: Header=BB413_1192 Depth=1
	v_and_b32_e32 v4, 0xffff, v6
	v_or_b32_e32 v5, 0x10000, v6
	s_delay_alu instid0(VALU_DEP_2) | instskip(NEXT) | instid1(VALU_DEP_1)
	v_cmp_eq_u32_e64 s0, 0, v4
	v_cndmask_b32_e64 v92, v5, v6, s0
; %bb.2431:                             ;   in Loop: Header=BB413_1192 Depth=1
	s_or_b32 exec_lo, exec_lo, s12
	v_mov_b32_e32 v6, 0
	s_mov_b32 s12, exec_lo
	v_cmpx_lt_u32_e32 0xffffff, v2
	s_cbranch_execz .LBB413_2439
; %bb.2432:                             ;   in Loop: Header=BB413_1192 Depth=1
	v_lshrrev_b32_e32 v93, 24, v2
	v_bfrev_b32_e32 v6, 1
	s_mov_b32 s13, exec_lo
	s_delay_alu instid0(VALU_DEP_2)
	v_cmpx_ne_u32_e32 0x80, v93
	s_cbranch_execz .LBB413_2438
; %bb.2433:                             ;   in Loop: Header=BB413_1192 Depth=1
	v_bfe_u32 v7, v2, 24, 7
	v_mov_b32_e32 v6, 0x7f800001
	s_mov_b32 s15, exec_lo
	s_delay_alu instid0(VALU_DEP_2)
	v_cmpx_ne_u32_e32 0x7f, v7
	s_cbranch_execz .LBB413_2437
; %bb.2434:                             ;   in Loop: Header=BB413_1192 Depth=1
	v_and_b32_e32 v9, 7, v93
	v_lshrrev_b32_e32 v94, 3, v7
	v_cmp_gt_u32_e64 s0, 8, v7
	s_delay_alu instid0(VALU_DEP_3) | instskip(NEXT) | instid1(VALU_DEP_2)
	v_dual_mov_b32 v6, v9 :: v_dual_mov_b32 v7, v10
	s_and_saveexec_b32 s17, s0
; %bb.2435:                             ;   in Loop: Header=BB413_1192 Depth=1
	v_clz_i32_u32_e32 v4, v9
	s_delay_alu instid0(VALU_DEP_1) | instskip(NEXT) | instid1(VALU_DEP_1)
	v_min_u32_e32 v4, 32, v4
	v_subrev_nc_u32_e32 v5, 28, v4
	v_sub_nc_u32_e32 v94, 29, v4
	s_delay_alu instid0(VALU_DEP_2) | instskip(NEXT) | instid1(VALU_DEP_1)
	v_lshlrev_b64 v[6:7], v5, v[9:10]
	v_and_b32_e32 v6, 7, v6
; %bb.2436:                             ;   in Loop: Header=BB413_1192 Depth=1
	s_or_b32 exec_lo, exec_lo, s17
	v_lshlrev_b32_e32 v4, 24, v93
	s_delay_alu instid0(VALU_DEP_2) | instskip(SKIP_1) | instid1(VALU_DEP_3)
	v_lshlrev_b32_e32 v5, 20, v6
	v_lshl_add_u32 v6, v94, 23, 0x3c000000
	v_and_b32_e32 v4, 0x80000000, v4
	s_delay_alu instid0(VALU_DEP_1)
	v_or3_b32 v6, v5, v4, v6
.LBB413_2437:                           ;   in Loop: Header=BB413_1192 Depth=1
	s_or_b32 exec_lo, exec_lo, s15
.LBB413_2438:                           ;   in Loop: Header=BB413_1192 Depth=1
	s_delay_alu instid0(SALU_CYCLE_1)
	s_or_b32 exec_lo, exec_lo, s13
.LBB413_2439:                           ;   in Loop: Header=BB413_1192 Depth=1
	s_delay_alu instid0(SALU_CYCLE_1) | instskip(NEXT) | instid1(VALU_DEP_1)
	s_or_b32 exec_lo, exec_lo, s12
	v_mul_f32_e32 v6, v8, v6
                                        ; implicit-def: $vgpr93
	s_delay_alu instid0(VALU_DEP_1) | instskip(NEXT) | instid1(VALU_DEP_1)
	v_and_b32_e32 v4, 0x7f800000, v6
	v_cmp_ne_u32_e64 s0, 0x7f800000, v4
	s_delay_alu instid0(VALU_DEP_1) | instskip(NEXT) | instid1(SALU_CYCLE_1)
	s_and_saveexec_b32 s12, s0
	s_xor_b32 s0, exec_lo, s12
; %bb.2440:                             ;   in Loop: Header=BB413_1192 Depth=1
	v_bfe_u32 v4, v6, 16, 1
	s_delay_alu instid0(VALU_DEP_1)
	v_add3_u32 v93, v6, v4, 0x7fff
                                        ; implicit-def: $vgpr6
; %bb.2441:                             ;   in Loop: Header=BB413_1192 Depth=1
	s_and_not1_saveexec_b32 s12, s0
; %bb.2442:                             ;   in Loop: Header=BB413_1192 Depth=1
	v_and_b32_e32 v4, 0xffff, v6
	v_or_b32_e32 v5, 0x10000, v6
	s_delay_alu instid0(VALU_DEP_2) | instskip(NEXT) | instid1(VALU_DEP_1)
	v_cmp_eq_u32_e64 s0, 0, v4
	v_cndmask_b32_e64 v93, v5, v6, s0
; %bb.2443:                             ;   in Loop: Header=BB413_1192 Depth=1
	s_or_b32 exec_lo, exec_lo, s12
	v_dual_mov_b32 v6, 0 :: v_dual_and_b32 v7, 0xff, v3
	v_mov_b32_e32 v9, v3
	s_mov_b32 s12, exec_lo
	s_delay_alu instid0(VALU_DEP_2)
	v_cmpx_ne_u16_e32 0, v7
	s_cbranch_execz .LBB413_2451
; %bb.2444:                             ;   in Loop: Header=BB413_1192 Depth=1
	v_bfrev_b32_e32 v6, 1
	s_mov_b32 s13, exec_lo
	v_cmpx_ne_u16_e32 0x80, v7
	s_cbranch_execz .LBB413_2450
; %bb.2445:                             ;   in Loop: Header=BB413_1192 Depth=1
	v_and_b32_e32 v7, 0x7f, v3
	v_mov_b32_e32 v6, 0x7f800001
	s_mov_b32 s15, exec_lo
	s_delay_alu instid0(VALU_DEP_2)
	v_cmpx_ne_u32_e32 0x7f, v7
	s_cbranch_execz .LBB413_2449
; %bb.2446:                             ;   in Loop: Header=BB413_1192 Depth=1
	v_lshrrev_b32_e32 v94, 3, v7
	v_cmp_gt_u32_e64 s0, 8, v7
	v_dual_mov_b32 v6, v9 :: v_dual_mov_b32 v7, v10
	s_delay_alu instid0(VALU_DEP_2)
	s_and_saveexec_b32 s17, s0
; %bb.2447:                             ;   in Loop: Header=BB413_1192 Depth=1
	v_and_b32_e32 v4, 7, v3
	s_delay_alu instid0(VALU_DEP_1) | instskip(NEXT) | instid1(VALU_DEP_1)
	v_clz_i32_u32_e32 v4, v4
	v_min_u32_e32 v4, 32, v4
	s_delay_alu instid0(VALU_DEP_1) | instskip(SKIP_1) | instid1(VALU_DEP_2)
	v_subrev_nc_u32_e32 v5, 28, v4
	v_sub_nc_u32_e32 v94, 29, v4
	v_lshlrev_b64 v[6:7], v5, v[9:10]
; %bb.2448:                             ;   in Loop: Header=BB413_1192 Depth=1
	s_or_b32 exec_lo, exec_lo, s17
	s_delay_alu instid0(VALU_DEP_1) | instskip(SKIP_2) | instid1(VALU_DEP_3)
	v_lshlrev_b32_e32 v4, 20, v6
	v_lshlrev_b32_e32 v5, 24, v9
	v_lshl_add_u32 v6, v94, 23, 0x3c000000
	v_and_b32_e32 v4, 0x700000, v4
	s_delay_alu instid0(VALU_DEP_3) | instskip(NEXT) | instid1(VALU_DEP_1)
	v_and_b32_e32 v5, 0x80000000, v5
	v_or3_b32 v6, v4, v5, v6
.LBB413_2449:                           ;   in Loop: Header=BB413_1192 Depth=1
	s_or_b32 exec_lo, exec_lo, s15
.LBB413_2450:                           ;   in Loop: Header=BB413_1192 Depth=1
	s_delay_alu instid0(SALU_CYCLE_1)
	s_or_b32 exec_lo, exec_lo, s13
.LBB413_2451:                           ;   in Loop: Header=BB413_1192 Depth=1
	s_delay_alu instid0(SALU_CYCLE_1) | instskip(NEXT) | instid1(VALU_DEP_1)
	s_or_b32 exec_lo, exec_lo, s12
	v_mul_f32_e32 v6, v8, v6
                                        ; implicit-def: $vgpr94
	s_delay_alu instid0(VALU_DEP_1) | instskip(NEXT) | instid1(VALU_DEP_1)
	v_and_b32_e32 v4, 0x7f800000, v6
	v_cmp_ne_u32_e64 s0, 0x7f800000, v4
	s_delay_alu instid0(VALU_DEP_1) | instskip(NEXT) | instid1(SALU_CYCLE_1)
	s_and_saveexec_b32 s12, s0
	s_xor_b32 s0, exec_lo, s12
; %bb.2452:                             ;   in Loop: Header=BB413_1192 Depth=1
	v_bfe_u32 v4, v6, 16, 1
	s_delay_alu instid0(VALU_DEP_1)
	v_add3_u32 v94, v6, v4, 0x7fff
                                        ; implicit-def: $vgpr6
; %bb.2453:                             ;   in Loop: Header=BB413_1192 Depth=1
	s_and_not1_saveexec_b32 s12, s0
; %bb.2454:                             ;   in Loop: Header=BB413_1192 Depth=1
	v_and_b32_e32 v4, 0xffff, v6
	v_or_b32_e32 v5, 0x10000, v6
	s_delay_alu instid0(VALU_DEP_2) | instskip(NEXT) | instid1(VALU_DEP_1)
	v_cmp_eq_u32_e64 s0, 0, v4
	v_cndmask_b32_e64 v94, v5, v6, s0
; %bb.2455:                             ;   in Loop: Header=BB413_1192 Depth=1
	s_or_b32 exec_lo, exec_lo, s12
	v_lshrrev_b16 v7, 8, v9
	v_mov_b32_e32 v6, 0
	s_mov_b32 s12, exec_lo
	s_delay_alu instid0(VALU_DEP_2)
	v_cmpx_ne_u16_e32 0, v7
	s_cbranch_execz .LBB413_2463
; %bb.2456:                             ;   in Loop: Header=BB413_1192 Depth=1
	v_bfrev_b32_e32 v6, 1
	s_mov_b32 s13, exec_lo
	v_cmpx_ne_u16_e32 0x80, v7
	s_cbranch_execz .LBB413_2462
; %bb.2457:                             ;   in Loop: Header=BB413_1192 Depth=1
	v_and_b32_e32 v7, 0xffff, v7
	v_mov_b32_e32 v6, 0x7f800001
	s_mov_b32 s15, exec_lo
	s_delay_alu instid0(VALU_DEP_2) | instskip(NEXT) | instid1(VALU_DEP_1)
	v_and_b32_e32 v104, 0x7f, v7
	v_cmpx_ne_u32_e32 0x7f, v104
	s_cbranch_execz .LBB413_2461
; %bb.2458:                             ;   in Loop: Header=BB413_1192 Depth=1
	v_dual_mov_b32 v7, v10 :: v_dual_and_b32 v6, 7, v7
	v_lshrrev_b32_e32 v95, 3, v104
	s_mov_b32 s17, exec_lo
	v_cmpx_gt_u32_e32 8, v104
; %bb.2459:                             ;   in Loop: Header=BB413_1192 Depth=1
	s_delay_alu instid0(VALU_DEP_3) | instskip(NEXT) | instid1(VALU_DEP_1)
	v_clz_i32_u32_e32 v4, v6
	v_min_u32_e32 v4, 32, v4
	s_delay_alu instid0(VALU_DEP_1) | instskip(SKIP_1) | instid1(VALU_DEP_2)
	v_subrev_nc_u32_e32 v5, 28, v4
	v_sub_nc_u32_e32 v95, 29, v4
	v_lshlrev_b64 v[6:7], v5, v[6:7]
	s_delay_alu instid0(VALU_DEP_1)
	v_and_b32_e32 v6, 7, v6
; %bb.2460:                             ;   in Loop: Header=BB413_1192 Depth=1
	s_or_b32 exec_lo, exec_lo, s17
	v_lshlrev_b32_e32 v4, 16, v9
	s_delay_alu instid0(VALU_DEP_2) | instskip(SKIP_1) | instid1(VALU_DEP_3)
	v_lshlrev_b32_e32 v5, 20, v6
	v_lshl_add_u32 v6, v95, 23, 0x3c000000
	v_and_b32_e32 v4, 0x80000000, v4
	s_delay_alu instid0(VALU_DEP_1)
	v_or3_b32 v6, v5, v4, v6
.LBB413_2461:                           ;   in Loop: Header=BB413_1192 Depth=1
	s_or_b32 exec_lo, exec_lo, s15
.LBB413_2462:                           ;   in Loop: Header=BB413_1192 Depth=1
	s_delay_alu instid0(SALU_CYCLE_1)
	s_or_b32 exec_lo, exec_lo, s13
.LBB413_2463:                           ;   in Loop: Header=BB413_1192 Depth=1
	s_delay_alu instid0(SALU_CYCLE_1) | instskip(NEXT) | instid1(VALU_DEP_1)
	s_or_b32 exec_lo, exec_lo, s12
	v_mul_f32_e32 v6, v8, v6
                                        ; implicit-def: $vgpr95
	s_delay_alu instid0(VALU_DEP_1) | instskip(NEXT) | instid1(VALU_DEP_1)
	v_and_b32_e32 v4, 0x7f800000, v6
	v_cmp_ne_u32_e64 s0, 0x7f800000, v4
	s_delay_alu instid0(VALU_DEP_1) | instskip(NEXT) | instid1(SALU_CYCLE_1)
	s_and_saveexec_b32 s12, s0
	s_xor_b32 s0, exec_lo, s12
; %bb.2464:                             ;   in Loop: Header=BB413_1192 Depth=1
	v_bfe_u32 v4, v6, 16, 1
	s_delay_alu instid0(VALU_DEP_1)
	v_add3_u32 v95, v6, v4, 0x7fff
                                        ; implicit-def: $vgpr6
; %bb.2465:                             ;   in Loop: Header=BB413_1192 Depth=1
	s_and_not1_saveexec_b32 s12, s0
; %bb.2466:                             ;   in Loop: Header=BB413_1192 Depth=1
	v_and_b32_e32 v4, 0xffff, v6
	v_or_b32_e32 v5, 0x10000, v6
	s_delay_alu instid0(VALU_DEP_2) | instskip(NEXT) | instid1(VALU_DEP_1)
	v_cmp_eq_u32_e64 s0, 0, v4
	v_cndmask_b32_e64 v95, v5, v6, s0
; %bb.2467:                             ;   in Loop: Header=BB413_1192 Depth=1
	s_or_b32 exec_lo, exec_lo, s12
	v_lshrrev_b32_e32 v104, 16, v3
	s_mov_b32 s12, exec_lo
	s_delay_alu instid0(VALU_DEP_1) | instskip(NEXT) | instid1(VALU_DEP_1)
	v_dual_mov_b32 v6, 0 :: v_dual_and_b32 v7, 0xff, v104
	v_cmpx_ne_u16_e32 0, v7
	s_cbranch_execz .LBB413_2475
; %bb.2468:                             ;   in Loop: Header=BB413_1192 Depth=1
	v_bfrev_b32_e32 v6, 1
	s_mov_b32 s13, exec_lo
	v_cmpx_ne_u16_e32 0x80, v7
	s_cbranch_execz .LBB413_2474
; %bb.2469:                             ;   in Loop: Header=BB413_1192 Depth=1
	v_bfe_u32 v7, v3, 16, 7
	v_mov_b32_e32 v6, 0x7f800001
	s_mov_b32 s15, exec_lo
	s_delay_alu instid0(VALU_DEP_2)
	v_cmpx_ne_u32_e32 0x7f, v7
	s_cbranch_execz .LBB413_2473
; %bb.2470:                             ;   in Loop: Header=BB413_1192 Depth=1
	v_and_b32_e32 v9, 7, v104
	v_lshrrev_b32_e32 v105, 3, v7
	v_cmp_gt_u32_e64 s0, 8, v7
	s_delay_alu instid0(VALU_DEP_3) | instskip(NEXT) | instid1(VALU_DEP_2)
	v_dual_mov_b32 v6, v9 :: v_dual_mov_b32 v7, v10
	s_and_saveexec_b32 s17, s0
; %bb.2471:                             ;   in Loop: Header=BB413_1192 Depth=1
	v_clz_i32_u32_e32 v4, v9
	s_delay_alu instid0(VALU_DEP_1) | instskip(NEXT) | instid1(VALU_DEP_1)
	v_min_u32_e32 v4, 32, v4
	v_subrev_nc_u32_e32 v5, 28, v4
	v_sub_nc_u32_e32 v105, 29, v4
	s_delay_alu instid0(VALU_DEP_2) | instskip(NEXT) | instid1(VALU_DEP_1)
	v_lshlrev_b64 v[6:7], v5, v[9:10]
	v_and_b32_e32 v6, 7, v6
; %bb.2472:                             ;   in Loop: Header=BB413_1192 Depth=1
	s_or_b32 exec_lo, exec_lo, s17
	v_lshlrev_b32_e32 v4, 24, v104
	s_delay_alu instid0(VALU_DEP_2) | instskip(SKIP_1) | instid1(VALU_DEP_3)
	v_lshlrev_b32_e32 v5, 20, v6
	v_lshl_add_u32 v6, v105, 23, 0x3c000000
	v_and_b32_e32 v4, 0x80000000, v4
	s_delay_alu instid0(VALU_DEP_1)
	v_or3_b32 v6, v5, v4, v6
.LBB413_2473:                           ;   in Loop: Header=BB413_1192 Depth=1
	s_or_b32 exec_lo, exec_lo, s15
.LBB413_2474:                           ;   in Loop: Header=BB413_1192 Depth=1
	s_delay_alu instid0(SALU_CYCLE_1)
	s_or_b32 exec_lo, exec_lo, s13
.LBB413_2475:                           ;   in Loop: Header=BB413_1192 Depth=1
	s_delay_alu instid0(SALU_CYCLE_1) | instskip(NEXT) | instid1(VALU_DEP_1)
	s_or_b32 exec_lo, exec_lo, s12
	v_mul_f32_e32 v6, v8, v6
                                        ; implicit-def: $vgpr104
	s_delay_alu instid0(VALU_DEP_1) | instskip(NEXT) | instid1(VALU_DEP_1)
	v_and_b32_e32 v4, 0x7f800000, v6
	v_cmp_ne_u32_e64 s0, 0x7f800000, v4
	s_delay_alu instid0(VALU_DEP_1) | instskip(NEXT) | instid1(SALU_CYCLE_1)
	s_and_saveexec_b32 s12, s0
	s_xor_b32 s0, exec_lo, s12
; %bb.2476:                             ;   in Loop: Header=BB413_1192 Depth=1
	v_bfe_u32 v4, v6, 16, 1
	s_delay_alu instid0(VALU_DEP_1)
	v_add3_u32 v104, v6, v4, 0x7fff
                                        ; implicit-def: $vgpr6
; %bb.2477:                             ;   in Loop: Header=BB413_1192 Depth=1
	s_and_not1_saveexec_b32 s12, s0
; %bb.2478:                             ;   in Loop: Header=BB413_1192 Depth=1
	v_and_b32_e32 v4, 0xffff, v6
	v_or_b32_e32 v5, 0x10000, v6
	s_delay_alu instid0(VALU_DEP_2) | instskip(NEXT) | instid1(VALU_DEP_1)
	v_cmp_eq_u32_e64 s0, 0, v4
	v_cndmask_b32_e64 v104, v5, v6, s0
; %bb.2479:                             ;   in Loop: Header=BB413_1192 Depth=1
	s_or_b32 exec_lo, exec_lo, s12
	v_cmp_lt_u64_e64 s0, s[8:9], v[2:3]
	v_mov_b32_e32 v2, 0
	s_delay_alu instid0(VALU_DEP_2)
	s_and_saveexec_b32 s12, s0
	s_cbranch_execz .LBB413_2487
; %bb.2480:                             ;   in Loop: Header=BB413_1192 Depth=1
	v_lshrrev_b32_e32 v6, 24, v3
	v_bfrev_b32_e32 v2, 1
	s_mov_b32 s13, exec_lo
	s_delay_alu instid0(VALU_DEP_2)
	v_cmpx_ne_u32_e32 0x80, v6
	s_cbranch_execz .LBB413_2486
; %bb.2481:                             ;   in Loop: Header=BB413_1192 Depth=1
	v_bfe_u32 v3, v3, 24, 7
	v_mov_b32_e32 v2, 0x7f800001
	s_mov_b32 s15, exec_lo
	s_delay_alu instid0(VALU_DEP_2)
	v_cmpx_ne_u32_e32 0x7f, v3
	s_cbranch_execz .LBB413_2485
; %bb.2482:                             ;   in Loop: Header=BB413_1192 Depth=1
	v_and_b32_e32 v9, 7, v6
	v_lshrrev_b32_e32 v7, 3, v3
	v_cmp_gt_u32_e64 s0, 8, v3
	s_delay_alu instid0(VALU_DEP_3) | instskip(NEXT) | instid1(VALU_DEP_2)
	v_dual_mov_b32 v2, v9 :: v_dual_mov_b32 v3, v10
	s_and_saveexec_b32 s17, s0
; %bb.2483:                             ;   in Loop: Header=BB413_1192 Depth=1
	v_clz_i32_u32_e32 v2, v9
	s_delay_alu instid0(VALU_DEP_1) | instskip(NEXT) | instid1(VALU_DEP_1)
	v_min_u32_e32 v4, 32, v2
	v_subrev_nc_u32_e32 v2, 28, v4
	v_sub_nc_u32_e32 v7, 29, v4
	s_delay_alu instid0(VALU_DEP_2) | instskip(NEXT) | instid1(VALU_DEP_1)
	v_lshlrev_b64 v[2:3], v2, v[9:10]
	v_and_b32_e32 v2, 7, v2
; %bb.2484:                             ;   in Loop: Header=BB413_1192 Depth=1
	s_or_b32 exec_lo, exec_lo, s17
	v_lshlrev_b32_e32 v3, 24, v6
	s_delay_alu instid0(VALU_DEP_2) | instskip(SKIP_1) | instid1(VALU_DEP_3)
	v_lshlrev_b32_e32 v2, 20, v2
	v_lshl_add_u32 v4, v7, 23, 0x3c000000
	v_and_b32_e32 v3, 0x80000000, v3
	s_delay_alu instid0(VALU_DEP_1)
	v_or3_b32 v2, v2, v3, v4
.LBB413_2485:                           ;   in Loop: Header=BB413_1192 Depth=1
	s_or_b32 exec_lo, exec_lo, s15
.LBB413_2486:                           ;   in Loop: Header=BB413_1192 Depth=1
	s_delay_alu instid0(SALU_CYCLE_1)
	s_or_b32 exec_lo, exec_lo, s13
.LBB413_2487:                           ;   in Loop: Header=BB413_1192 Depth=1
	s_delay_alu instid0(SALU_CYCLE_1) | instskip(NEXT) | instid1(VALU_DEP_1)
	s_or_b32 exec_lo, exec_lo, s12
	v_mul_f32_e32 v3, v8, v2
	s_delay_alu instid0(VALU_DEP_1) | instskip(NEXT) | instid1(VALU_DEP_1)
	v_and_b32_e32 v2, 0x7f800000, v3
	v_cmp_ne_u32_e64 s0, 0x7f800000, v2
                                        ; implicit-def: $vgpr2
	s_delay_alu instid0(VALU_DEP_1) | instskip(NEXT) | instid1(SALU_CYCLE_1)
	s_and_saveexec_b32 s12, s0
	s_xor_b32 s0, exec_lo, s12
; %bb.2488:                             ;   in Loop: Header=BB413_1192 Depth=1
	v_bfe_u32 v2, v3, 16, 1
	s_delay_alu instid0(VALU_DEP_1)
	v_add3_u32 v2, v3, v2, 0x7fff
                                        ; implicit-def: $vgpr3
; %bb.2489:                             ;   in Loop: Header=BB413_1192 Depth=1
	s_and_not1_saveexec_b32 s12, s0
; %bb.2490:                             ;   in Loop: Header=BB413_1192 Depth=1
	v_and_b32_e32 v2, 0xffff, v3
	v_or_b32_e32 v4, 0x10000, v3
	s_delay_alu instid0(VALU_DEP_2) | instskip(NEXT) | instid1(VALU_DEP_1)
	v_cmp_eq_u32_e64 s0, 0, v2
	v_cndmask_b32_e64 v2, v4, v3, s0
; %bb.2491:                             ;   in Loop: Header=BB413_1192 Depth=1
	s_or_b32 exec_lo, exec_lo, s12
	v_lshrrev_b32_e32 v6, 16, v95
	v_lshrrev_b32_e32 v7, 16, v94
	;; [unrolled: 1-line block ×8, first 2 shown]
	s_and_saveexec_b32 s12, vcc_lo
	s_cbranch_execz .LBB413_2493
; %bb.2492:                             ;   in Loop: Header=BB413_1192 Depth=1
	v_cmp_lt_i32_e64 s0, v66, v85
	s_delay_alu instid0(VALU_DEP_1) | instskip(SKIP_1) | instid1(VALU_DEP_1)
	v_cndmask_b32_e64 v90, 0, v90, s0
	v_cmp_lt_i32_e64 s0, v81, v85
	v_cndmask_b32_e64 v91, 0, v91, s0
	v_cmp_lt_i32_e64 s0, v80, v85
	s_delay_alu instid0(VALU_DEP_1) | instskip(SKIP_1) | instid1(VALU_DEP_1)
	v_cndmask_b32_e64 v92, 0, v92, s0
	v_cmp_lt_i32_e64 s0, v71, v85
	v_cndmask_b32_e64 v9, 0, v9, s0
	;; [unrolled: 5-line block ×4, first 2 shown]
.LBB413_2493:                           ;   in Loop: Header=BB413_1192 Depth=1
	s_or_b32 exec_lo, exec_lo, s12
	v_lshlrev_b32_e32 v4, 16, v90
                                        ; implicit-def: $vgpr90
	s_delay_alu instid0(VALU_DEP_1) | instskip(NEXT) | instid1(VALU_DEP_1)
	v_mul_f32_e32 v93, v82, v4
	v_and_b32_e32 v4, 0x7f800000, v93
	s_delay_alu instid0(VALU_DEP_1) | instskip(NEXT) | instid1(VALU_DEP_1)
	v_cmp_ne_u32_e64 s0, 0x7f800000, v4
	s_and_saveexec_b32 s12, s0
	s_delay_alu instid0(SALU_CYCLE_1)
	s_xor_b32 s0, exec_lo, s12
; %bb.2494:                             ;   in Loop: Header=BB413_1192 Depth=1
	v_bfe_u32 v4, v93, 16, 1
	s_delay_alu instid0(VALU_DEP_1)
	v_add3_u32 v90, v93, v4, 0x7fff
                                        ; implicit-def: $vgpr93
; %bb.2495:                             ;   in Loop: Header=BB413_1192 Depth=1
	s_and_not1_saveexec_b32 s12, s0
; %bb.2496:                             ;   in Loop: Header=BB413_1192 Depth=1
	v_and_b32_e32 v4, 0xffff, v93
	v_or_b32_e32 v5, 0x10000, v93
	s_delay_alu instid0(VALU_DEP_2) | instskip(NEXT) | instid1(VALU_DEP_1)
	v_cmp_eq_u32_e64 s0, 0, v4
	v_cndmask_b32_e64 v90, v5, v93, s0
; %bb.2497:                             ;   in Loop: Header=BB413_1192 Depth=1
	s_or_b32 exec_lo, exec_lo, s12
	v_lshlrev_b32_e32 v4, 16, v91
                                        ; implicit-def: $vgpr91
	s_delay_alu instid0(VALU_DEP_1) | instskip(NEXT) | instid1(VALU_DEP_1)
	v_mul_f32_e32 v93, v83, v4
	v_and_b32_e32 v4, 0x7f800000, v93
	s_delay_alu instid0(VALU_DEP_1) | instskip(NEXT) | instid1(VALU_DEP_1)
	v_cmp_ne_u32_e64 s0, 0x7f800000, v4
	s_and_saveexec_b32 s12, s0
	s_delay_alu instid0(SALU_CYCLE_1)
	s_xor_b32 s0, exec_lo, s12
; %bb.2498:                             ;   in Loop: Header=BB413_1192 Depth=1
	v_bfe_u32 v4, v93, 16, 1
	s_delay_alu instid0(VALU_DEP_1)
	v_add3_u32 v91, v93, v4, 0x7fff
                                        ; implicit-def: $vgpr93
; %bb.2499:                             ;   in Loop: Header=BB413_1192 Depth=1
	s_and_not1_saveexec_b32 s12, s0
; %bb.2500:                             ;   in Loop: Header=BB413_1192 Depth=1
	v_and_b32_e32 v4, 0xffff, v93
	v_or_b32_e32 v5, 0x10000, v93
	s_delay_alu instid0(VALU_DEP_2) | instskip(NEXT) | instid1(VALU_DEP_1)
	v_cmp_eq_u32_e64 s0, 0, v4
	v_cndmask_b32_e64 v91, v5, v93, s0
; %bb.2501:                             ;   in Loop: Header=BB413_1192 Depth=1
	s_or_b32 exec_lo, exec_lo, s12
	v_lshlrev_b32_e32 v4, 16, v92
                                        ; implicit-def: $vgpr92
	s_delay_alu instid0(VALU_DEP_1) | instskip(NEXT) | instid1(VALU_DEP_1)
	v_mul_f32_e32 v93, v100, v4
	v_and_b32_e32 v4, 0x7f800000, v93
	s_delay_alu instid0(VALU_DEP_1) | instskip(NEXT) | instid1(VALU_DEP_1)
	v_cmp_ne_u32_e64 s0, 0x7f800000, v4
	s_and_saveexec_b32 s12, s0
	s_delay_alu instid0(SALU_CYCLE_1)
	s_xor_b32 s0, exec_lo, s12
; %bb.2502:                             ;   in Loop: Header=BB413_1192 Depth=1
	v_bfe_u32 v4, v93, 16, 1
	s_delay_alu instid0(VALU_DEP_1)
	v_add3_u32 v92, v93, v4, 0x7fff
                                        ; implicit-def: $vgpr93
; %bb.2503:                             ;   in Loop: Header=BB413_1192 Depth=1
	s_and_not1_saveexec_b32 s12, s0
; %bb.2504:                             ;   in Loop: Header=BB413_1192 Depth=1
	v_and_b32_e32 v4, 0xffff, v93
	v_or_b32_e32 v5, 0x10000, v93
	s_delay_alu instid0(VALU_DEP_2) | instskip(NEXT) | instid1(VALU_DEP_1)
	v_cmp_eq_u32_e64 s0, 0, v4
	v_cndmask_b32_e64 v92, v5, v93, s0
; %bb.2505:                             ;   in Loop: Header=BB413_1192 Depth=1
	s_or_b32 exec_lo, exec_lo, s12
	v_lshlrev_b32_e32 v4, 16, v9
                                        ; implicit-def: $vgpr93
	s_delay_alu instid0(VALU_DEP_1) | instskip(NEXT) | instid1(VALU_DEP_1)
	v_mul_f32_e32 v9, v101, v4
	v_and_b32_e32 v4, 0x7f800000, v9
	s_delay_alu instid0(VALU_DEP_1) | instskip(NEXT) | instid1(VALU_DEP_1)
	v_cmp_ne_u32_e64 s0, 0x7f800000, v4
	s_and_saveexec_b32 s12, s0
	s_delay_alu instid0(SALU_CYCLE_1)
	s_xor_b32 s0, exec_lo, s12
; %bb.2506:                             ;   in Loop: Header=BB413_1192 Depth=1
	v_bfe_u32 v4, v9, 16, 1
	s_delay_alu instid0(VALU_DEP_1)
	v_add3_u32 v93, v9, v4, 0x7fff
                                        ; implicit-def: $vgpr9
; %bb.2507:                             ;   in Loop: Header=BB413_1192 Depth=1
	s_and_not1_saveexec_b32 s12, s0
; %bb.2508:                             ;   in Loop: Header=BB413_1192 Depth=1
	v_and_b32_e32 v4, 0xffff, v9
	v_or_b32_e32 v5, 0x10000, v9
	s_delay_alu instid0(VALU_DEP_2) | instskip(NEXT) | instid1(VALU_DEP_1)
	v_cmp_eq_u32_e64 s0, 0, v4
	v_cndmask_b32_e64 v93, v5, v9, s0
; %bb.2509:                             ;   in Loop: Header=BB413_1192 Depth=1
	s_or_b32 exec_lo, exec_lo, s12
	v_lshlrev_b32_e32 v4, 16, v7
                                        ; implicit-def: $vgpr94
	s_delay_alu instid0(VALU_DEP_1) | instskip(NEXT) | instid1(VALU_DEP_1)
	v_mul_f32_e32 v7, v102, v4
	v_and_b32_e32 v4, 0x7f800000, v7
	s_delay_alu instid0(VALU_DEP_1) | instskip(NEXT) | instid1(VALU_DEP_1)
	v_cmp_ne_u32_e64 s0, 0x7f800000, v4
	s_and_saveexec_b32 s12, s0
	s_delay_alu instid0(SALU_CYCLE_1)
	s_xor_b32 s0, exec_lo, s12
; %bb.2510:                             ;   in Loop: Header=BB413_1192 Depth=1
	v_bfe_u32 v4, v7, 16, 1
	s_delay_alu instid0(VALU_DEP_1)
	v_add3_u32 v94, v7, v4, 0x7fff
                                        ; implicit-def: $vgpr7
; %bb.2511:                             ;   in Loop: Header=BB413_1192 Depth=1
	s_and_not1_saveexec_b32 s12, s0
; %bb.2512:                             ;   in Loop: Header=BB413_1192 Depth=1
	v_and_b32_e32 v4, 0xffff, v7
	v_or_b32_e32 v5, 0x10000, v7
	s_delay_alu instid0(VALU_DEP_2) | instskip(NEXT) | instid1(VALU_DEP_1)
	v_cmp_eq_u32_e64 s0, 0, v4
	v_cndmask_b32_e64 v94, v5, v7, s0
; %bb.2513:                             ;   in Loop: Header=BB413_1192 Depth=1
	s_or_b32 exec_lo, exec_lo, s12
	v_lshlrev_b32_e32 v4, 16, v6
                                        ; implicit-def: $vgpr95
	s_delay_alu instid0(VALU_DEP_1) | instskip(NEXT) | instid1(VALU_DEP_1)
	v_mul_f32_e32 v6, v103, v4
	v_and_b32_e32 v4, 0x7f800000, v6
	s_delay_alu instid0(VALU_DEP_1) | instskip(NEXT) | instid1(VALU_DEP_1)
	v_cmp_ne_u32_e64 s0, 0x7f800000, v4
	s_and_saveexec_b32 s12, s0
	s_delay_alu instid0(SALU_CYCLE_1)
	s_xor_b32 s0, exec_lo, s12
; %bb.2514:                             ;   in Loop: Header=BB413_1192 Depth=1
	v_bfe_u32 v4, v6, 16, 1
	s_delay_alu instid0(VALU_DEP_1)
	v_add3_u32 v95, v6, v4, 0x7fff
                                        ; implicit-def: $vgpr6
; %bb.2515:                             ;   in Loop: Header=BB413_1192 Depth=1
	s_and_not1_saveexec_b32 s12, s0
; %bb.2516:                             ;   in Loop: Header=BB413_1192 Depth=1
	v_and_b32_e32 v4, 0xffff, v6
	v_or_b32_e32 v5, 0x10000, v6
	s_delay_alu instid0(VALU_DEP_2) | instskip(NEXT) | instid1(VALU_DEP_1)
	v_cmp_eq_u32_e64 s0, 0, v4
	v_cndmask_b32_e64 v95, v5, v6, s0
; %bb.2517:                             ;   in Loop: Header=BB413_1192 Depth=1
	s_or_b32 exec_lo, exec_lo, s12
	v_lshlrev_b32_e32 v3, 16, v3
                                        ; implicit-def: $vgpr104
	s_delay_alu instid0(VALU_DEP_1) | instskip(NEXT) | instid1(VALU_DEP_1)
	v_mul_f32_e32 v3, v112, v3
	v_and_b32_e32 v4, 0x7f800000, v3
	s_delay_alu instid0(VALU_DEP_1) | instskip(NEXT) | instid1(VALU_DEP_1)
	v_cmp_ne_u32_e64 s0, 0x7f800000, v4
	s_and_saveexec_b32 s12, s0
	s_delay_alu instid0(SALU_CYCLE_1)
	s_xor_b32 s0, exec_lo, s12
; %bb.2518:                             ;   in Loop: Header=BB413_1192 Depth=1
	v_bfe_u32 v4, v3, 16, 1
	s_delay_alu instid0(VALU_DEP_1)
	v_add3_u32 v104, v3, v4, 0x7fff
                                        ; implicit-def: $vgpr3
; %bb.2519:                             ;   in Loop: Header=BB413_1192 Depth=1
	s_and_not1_saveexec_b32 s12, s0
; %bb.2520:                             ;   in Loop: Header=BB413_1192 Depth=1
	v_and_b32_e32 v4, 0xffff, v3
	v_or_b32_e32 v5, 0x10000, v3
	s_delay_alu instid0(VALU_DEP_2) | instskip(NEXT) | instid1(VALU_DEP_1)
	v_cmp_eq_u32_e64 s0, 0, v4
	v_cndmask_b32_e64 v104, v5, v3, s0
; %bb.2521:                             ;   in Loop: Header=BB413_1192 Depth=1
	s_or_b32 exec_lo, exec_lo, s12
	v_lshlrev_b32_e32 v2, 16, v2
                                        ; implicit-def: $vgpr105
	s_delay_alu instid0(VALU_DEP_1) | instskip(NEXT) | instid1(VALU_DEP_1)
	v_mul_f32_e32 v2, v113, v2
	v_and_b32_e32 v3, 0x7f800000, v2
	s_delay_alu instid0(VALU_DEP_1) | instskip(NEXT) | instid1(VALU_DEP_1)
	v_cmp_ne_u32_e64 s0, 0x7f800000, v3
	s_and_saveexec_b32 s12, s0
	s_delay_alu instid0(SALU_CYCLE_1)
	s_xor_b32 s0, exec_lo, s12
; %bb.2522:                             ;   in Loop: Header=BB413_1192 Depth=1
	v_bfe_u32 v3, v2, 16, 1
	s_delay_alu instid0(VALU_DEP_1)
	v_add3_u32 v105, v2, v3, 0x7fff
                                        ; implicit-def: $vgpr2
; %bb.2523:                             ;   in Loop: Header=BB413_1192 Depth=1
	s_and_not1_saveexec_b32 s12, s0
; %bb.2524:                             ;   in Loop: Header=BB413_1192 Depth=1
	v_and_b32_e32 v3, 0xffff, v2
	v_or_b32_e32 v4, 0x10000, v2
	s_delay_alu instid0(VALU_DEP_2) | instskip(NEXT) | instid1(VALU_DEP_1)
	v_cmp_eq_u32_e64 s0, 0, v3
	v_cndmask_b32_e64 v105, v4, v2, s0
; %bb.2525:                             ;   in Loop: Header=BB413_1192 Depth=1
	s_or_b32 exec_lo, exec_lo, s12
	flat_load_b64 v[2:3], v[0:1] offset:2560
	s_mov_b32 s12, exec_lo
	s_waitcnt vmcnt(0) lgkmcnt(0)
	v_dual_mov_b32 v6, 0 :: v_dual_and_b32 v7, 0xff, v2
	s_delay_alu instid0(VALU_DEP_1)
	v_cmpx_ne_u16_e32 0, v7
	s_cbranch_execz .LBB413_2533
; %bb.2526:                             ;   in Loop: Header=BB413_1192 Depth=1
	v_bfrev_b32_e32 v6, 1
	s_mov_b32 s13, exec_lo
	v_cmpx_ne_u16_e32 0x80, v7
	s_cbranch_execz .LBB413_2532
; %bb.2527:                             ;   in Loop: Header=BB413_1192 Depth=1
	v_and_b32_e32 v7, 0x7f, v2
	v_mov_b32_e32 v6, 0x7f800001
	s_mov_b32 s15, exec_lo
	s_delay_alu instid0(VALU_DEP_2)
	v_cmpx_ne_u32_e32 0x7f, v7
	s_cbranch_execz .LBB413_2531
; %bb.2528:                             ;   in Loop: Header=BB413_1192 Depth=1
	v_lshrrev_b32_e32 v9, 3, v7
	v_cmp_gt_u32_e64 s0, 8, v7
	v_dual_mov_b32 v7, v3 :: v_dual_mov_b32 v6, v2
	s_delay_alu instid0(VALU_DEP_2)
	s_and_saveexec_b32 s17, s0
; %bb.2529:                             ;   in Loop: Header=BB413_1192 Depth=1
	v_and_b32_e32 v4, 7, v2
	s_delay_alu instid0(VALU_DEP_1) | instskip(NEXT) | instid1(VALU_DEP_1)
	v_clz_i32_u32_e32 v4, v4
	v_min_u32_e32 v4, 32, v4
	s_delay_alu instid0(VALU_DEP_1) | instskip(SKIP_1) | instid1(VALU_DEP_2)
	v_subrev_nc_u32_e32 v5, 28, v4
	v_sub_nc_u32_e32 v9, 29, v4
	v_lshlrev_b64 v[6:7], v5, v[2:3]
; %bb.2530:                             ;   in Loop: Header=BB413_1192 Depth=1
	s_or_b32 exec_lo, exec_lo, s17
	s_delay_alu instid0(VALU_DEP_1) | instskip(SKIP_2) | instid1(VALU_DEP_3)
	v_lshlrev_b32_e32 v4, 20, v6
	v_lshlrev_b32_e32 v5, 24, v2
	v_lshl_add_u32 v6, v9, 23, 0x3c000000
	v_and_b32_e32 v4, 0x700000, v4
	s_delay_alu instid0(VALU_DEP_3) | instskip(NEXT) | instid1(VALU_DEP_1)
	v_and_b32_e32 v5, 0x80000000, v5
	v_or3_b32 v6, v4, v5, v6
.LBB413_2531:                           ;   in Loop: Header=BB413_1192 Depth=1
	s_or_b32 exec_lo, exec_lo, s15
.LBB413_2532:                           ;   in Loop: Header=BB413_1192 Depth=1
	s_delay_alu instid0(SALU_CYCLE_1)
	s_or_b32 exec_lo, exec_lo, s13
.LBB413_2533:                           ;   in Loop: Header=BB413_1192 Depth=1
	s_delay_alu instid0(SALU_CYCLE_1) | instskip(NEXT) | instid1(VALU_DEP_1)
	s_or_b32 exec_lo, exec_lo, s12
	v_mul_f32_e32 v6, v8, v6
                                        ; implicit-def: $vgpr106
	s_delay_alu instid0(VALU_DEP_1) | instskip(NEXT) | instid1(VALU_DEP_1)
	v_and_b32_e32 v4, 0x7f800000, v6
	v_cmp_ne_u32_e64 s0, 0x7f800000, v4
	s_delay_alu instid0(VALU_DEP_1) | instskip(NEXT) | instid1(SALU_CYCLE_1)
	s_and_saveexec_b32 s12, s0
	s_xor_b32 s0, exec_lo, s12
; %bb.2534:                             ;   in Loop: Header=BB413_1192 Depth=1
	v_bfe_u32 v4, v6, 16, 1
	s_delay_alu instid0(VALU_DEP_1)
	v_add3_u32 v106, v6, v4, 0x7fff
                                        ; implicit-def: $vgpr6
; %bb.2535:                             ;   in Loop: Header=BB413_1192 Depth=1
	s_and_not1_saveexec_b32 s12, s0
; %bb.2536:                             ;   in Loop: Header=BB413_1192 Depth=1
	v_and_b32_e32 v4, 0xffff, v6
	v_or_b32_e32 v5, 0x10000, v6
	s_delay_alu instid0(VALU_DEP_2) | instskip(NEXT) | instid1(VALU_DEP_1)
	v_cmp_eq_u32_e64 s0, 0, v4
	v_cndmask_b32_e64 v106, v5, v6, s0
; %bb.2537:                             ;   in Loop: Header=BB413_1192 Depth=1
	s_or_b32 exec_lo, exec_lo, s12
	v_lshrrev_b16 v7, 8, v2
	v_mov_b32_e32 v6, 0
	s_mov_b32 s12, exec_lo
	s_delay_alu instid0(VALU_DEP_2)
	v_cmpx_ne_u16_e32 0, v7
	s_cbranch_execz .LBB413_2545
; %bb.2538:                             ;   in Loop: Header=BB413_1192 Depth=1
	v_bfrev_b32_e32 v6, 1
	s_mov_b32 s13, exec_lo
	v_cmpx_ne_u16_e32 0x80, v7
	s_cbranch_execz .LBB413_2544
; %bb.2539:                             ;   in Loop: Header=BB413_1192 Depth=1
	v_and_b32_e32 v9, 0xffff, v7
	v_mov_b32_e32 v6, 0x7f800001
	s_mov_b32 s15, exec_lo
	s_delay_alu instid0(VALU_DEP_2) | instskip(NEXT) | instid1(VALU_DEP_1)
	v_and_b32_e32 v7, 0x7f, v9
	v_cmpx_ne_u32_e32 0x7f, v7
	s_cbranch_execz .LBB413_2543
; %bb.2540:                             ;   in Loop: Header=BB413_1192 Depth=1
	v_and_b32_e32 v9, 7, v9
	v_lshrrev_b32_e32 v107, 3, v7
	v_cmp_gt_u32_e64 s0, 8, v7
	s_delay_alu instid0(VALU_DEP_3) | instskip(NEXT) | instid1(VALU_DEP_2)
	v_dual_mov_b32 v6, v9 :: v_dual_mov_b32 v7, v10
	s_and_saveexec_b32 s17, s0
; %bb.2541:                             ;   in Loop: Header=BB413_1192 Depth=1
	v_clz_i32_u32_e32 v4, v9
	s_delay_alu instid0(VALU_DEP_1) | instskip(NEXT) | instid1(VALU_DEP_1)
	v_min_u32_e32 v4, 32, v4
	v_subrev_nc_u32_e32 v5, 28, v4
	v_sub_nc_u32_e32 v107, 29, v4
	s_delay_alu instid0(VALU_DEP_2) | instskip(NEXT) | instid1(VALU_DEP_1)
	v_lshlrev_b64 v[6:7], v5, v[9:10]
	v_and_b32_e32 v6, 7, v6
; %bb.2542:                             ;   in Loop: Header=BB413_1192 Depth=1
	s_or_b32 exec_lo, exec_lo, s17
	v_lshlrev_b32_e32 v4, 16, v2
	s_delay_alu instid0(VALU_DEP_2) | instskip(SKIP_1) | instid1(VALU_DEP_3)
	v_lshlrev_b32_e32 v5, 20, v6
	v_lshl_add_u32 v6, v107, 23, 0x3c000000
	v_and_b32_e32 v4, 0x80000000, v4
	s_delay_alu instid0(VALU_DEP_1)
	v_or3_b32 v6, v5, v4, v6
.LBB413_2543:                           ;   in Loop: Header=BB413_1192 Depth=1
	s_or_b32 exec_lo, exec_lo, s15
.LBB413_2544:                           ;   in Loop: Header=BB413_1192 Depth=1
	s_delay_alu instid0(SALU_CYCLE_1)
	s_or_b32 exec_lo, exec_lo, s13
.LBB413_2545:                           ;   in Loop: Header=BB413_1192 Depth=1
	s_delay_alu instid0(SALU_CYCLE_1) | instskip(NEXT) | instid1(VALU_DEP_1)
	s_or_b32 exec_lo, exec_lo, s12
	v_mul_f32_e32 v6, v8, v6
                                        ; implicit-def: $vgpr107
	s_delay_alu instid0(VALU_DEP_1) | instskip(NEXT) | instid1(VALU_DEP_1)
	v_and_b32_e32 v4, 0x7f800000, v6
	v_cmp_ne_u32_e64 s0, 0x7f800000, v4
	s_delay_alu instid0(VALU_DEP_1) | instskip(NEXT) | instid1(SALU_CYCLE_1)
	s_and_saveexec_b32 s12, s0
	s_xor_b32 s0, exec_lo, s12
; %bb.2546:                             ;   in Loop: Header=BB413_1192 Depth=1
	v_bfe_u32 v4, v6, 16, 1
	s_delay_alu instid0(VALU_DEP_1)
	v_add3_u32 v107, v6, v4, 0x7fff
                                        ; implicit-def: $vgpr6
; %bb.2547:                             ;   in Loop: Header=BB413_1192 Depth=1
	s_and_not1_saveexec_b32 s12, s0
; %bb.2548:                             ;   in Loop: Header=BB413_1192 Depth=1
	v_and_b32_e32 v4, 0xffff, v6
	v_or_b32_e32 v5, 0x10000, v6
	s_delay_alu instid0(VALU_DEP_2) | instskip(NEXT) | instid1(VALU_DEP_1)
	v_cmp_eq_u32_e64 s0, 0, v4
	v_cndmask_b32_e64 v107, v5, v6, s0
; %bb.2549:                             ;   in Loop: Header=BB413_1192 Depth=1
	s_or_b32 exec_lo, exec_lo, s12
	v_lshrrev_b32_e32 v108, 16, v2
	s_mov_b32 s12, exec_lo
	s_delay_alu instid0(VALU_DEP_1) | instskip(NEXT) | instid1(VALU_DEP_1)
	v_dual_mov_b32 v6, 0 :: v_dual_and_b32 v7, 0xff, v108
	v_cmpx_ne_u16_e32 0, v7
	s_cbranch_execz .LBB413_2557
; %bb.2550:                             ;   in Loop: Header=BB413_1192 Depth=1
	v_bfrev_b32_e32 v6, 1
	s_mov_b32 s13, exec_lo
	v_cmpx_ne_u16_e32 0x80, v7
	s_cbranch_execz .LBB413_2556
; %bb.2551:                             ;   in Loop: Header=BB413_1192 Depth=1
	v_bfe_u32 v7, v2, 16, 7
	v_mov_b32_e32 v6, 0x7f800001
	s_mov_b32 s15, exec_lo
	s_delay_alu instid0(VALU_DEP_2)
	v_cmpx_ne_u32_e32 0x7f, v7
	s_cbranch_execz .LBB413_2555
; %bb.2552:                             ;   in Loop: Header=BB413_1192 Depth=1
	v_and_b32_e32 v9, 7, v108
	v_lshrrev_b32_e32 v109, 3, v7
	v_cmp_gt_u32_e64 s0, 8, v7
	s_delay_alu instid0(VALU_DEP_3) | instskip(NEXT) | instid1(VALU_DEP_2)
	v_dual_mov_b32 v6, v9 :: v_dual_mov_b32 v7, v10
	s_and_saveexec_b32 s17, s0
; %bb.2553:                             ;   in Loop: Header=BB413_1192 Depth=1
	v_clz_i32_u32_e32 v4, v9
	s_delay_alu instid0(VALU_DEP_1) | instskip(NEXT) | instid1(VALU_DEP_1)
	v_min_u32_e32 v4, 32, v4
	v_subrev_nc_u32_e32 v5, 28, v4
	v_sub_nc_u32_e32 v109, 29, v4
	s_delay_alu instid0(VALU_DEP_2) | instskip(NEXT) | instid1(VALU_DEP_1)
	v_lshlrev_b64 v[6:7], v5, v[9:10]
	v_and_b32_e32 v6, 7, v6
; %bb.2554:                             ;   in Loop: Header=BB413_1192 Depth=1
	s_or_b32 exec_lo, exec_lo, s17
	v_lshlrev_b32_e32 v4, 24, v108
	s_delay_alu instid0(VALU_DEP_2) | instskip(SKIP_1) | instid1(VALU_DEP_3)
	v_lshlrev_b32_e32 v5, 20, v6
	v_lshl_add_u32 v6, v109, 23, 0x3c000000
	v_and_b32_e32 v4, 0x80000000, v4
	s_delay_alu instid0(VALU_DEP_1)
	v_or3_b32 v6, v5, v4, v6
.LBB413_2555:                           ;   in Loop: Header=BB413_1192 Depth=1
	s_or_b32 exec_lo, exec_lo, s15
.LBB413_2556:                           ;   in Loop: Header=BB413_1192 Depth=1
	s_delay_alu instid0(SALU_CYCLE_1)
	s_or_b32 exec_lo, exec_lo, s13
.LBB413_2557:                           ;   in Loop: Header=BB413_1192 Depth=1
	s_delay_alu instid0(SALU_CYCLE_1) | instskip(NEXT) | instid1(VALU_DEP_1)
	s_or_b32 exec_lo, exec_lo, s12
	v_mul_f32_e32 v6, v8, v6
                                        ; implicit-def: $vgpr108
	s_delay_alu instid0(VALU_DEP_1) | instskip(NEXT) | instid1(VALU_DEP_1)
	v_and_b32_e32 v4, 0x7f800000, v6
	v_cmp_ne_u32_e64 s0, 0x7f800000, v4
	s_delay_alu instid0(VALU_DEP_1) | instskip(NEXT) | instid1(SALU_CYCLE_1)
	s_and_saveexec_b32 s12, s0
	s_xor_b32 s0, exec_lo, s12
; %bb.2558:                             ;   in Loop: Header=BB413_1192 Depth=1
	v_bfe_u32 v4, v6, 16, 1
	s_delay_alu instid0(VALU_DEP_1)
	v_add3_u32 v108, v6, v4, 0x7fff
                                        ; implicit-def: $vgpr6
; %bb.2559:                             ;   in Loop: Header=BB413_1192 Depth=1
	s_and_not1_saveexec_b32 s12, s0
; %bb.2560:                             ;   in Loop: Header=BB413_1192 Depth=1
	v_and_b32_e32 v4, 0xffff, v6
	v_or_b32_e32 v5, 0x10000, v6
	s_delay_alu instid0(VALU_DEP_2) | instskip(NEXT) | instid1(VALU_DEP_1)
	v_cmp_eq_u32_e64 s0, 0, v4
	v_cndmask_b32_e64 v108, v5, v6, s0
; %bb.2561:                             ;   in Loop: Header=BB413_1192 Depth=1
	s_or_b32 exec_lo, exec_lo, s12
	v_mov_b32_e32 v6, 0
	s_mov_b32 s12, exec_lo
	v_cmpx_lt_u32_e32 0xffffff, v2
	s_cbranch_execz .LBB413_2569
; %bb.2562:                             ;   in Loop: Header=BB413_1192 Depth=1
	v_lshrrev_b32_e32 v109, 24, v2
	v_bfrev_b32_e32 v6, 1
	s_mov_b32 s13, exec_lo
	s_delay_alu instid0(VALU_DEP_2)
	v_cmpx_ne_u32_e32 0x80, v109
	s_cbranch_execz .LBB413_2568
; %bb.2563:                             ;   in Loop: Header=BB413_1192 Depth=1
	v_bfe_u32 v7, v2, 24, 7
	v_mov_b32_e32 v6, 0x7f800001
	s_mov_b32 s15, exec_lo
	s_delay_alu instid0(VALU_DEP_2)
	v_cmpx_ne_u32_e32 0x7f, v7
	s_cbranch_execz .LBB413_2567
; %bb.2564:                             ;   in Loop: Header=BB413_1192 Depth=1
	v_and_b32_e32 v9, 7, v109
	v_lshrrev_b32_e32 v110, 3, v7
	v_cmp_gt_u32_e64 s0, 8, v7
	s_delay_alu instid0(VALU_DEP_3) | instskip(NEXT) | instid1(VALU_DEP_2)
	v_dual_mov_b32 v6, v9 :: v_dual_mov_b32 v7, v10
	s_and_saveexec_b32 s17, s0
; %bb.2565:                             ;   in Loop: Header=BB413_1192 Depth=1
	v_clz_i32_u32_e32 v4, v9
	s_delay_alu instid0(VALU_DEP_1) | instskip(NEXT) | instid1(VALU_DEP_1)
	v_min_u32_e32 v4, 32, v4
	v_subrev_nc_u32_e32 v5, 28, v4
	v_sub_nc_u32_e32 v110, 29, v4
	s_delay_alu instid0(VALU_DEP_2) | instskip(NEXT) | instid1(VALU_DEP_1)
	v_lshlrev_b64 v[6:7], v5, v[9:10]
	v_and_b32_e32 v6, 7, v6
; %bb.2566:                             ;   in Loop: Header=BB413_1192 Depth=1
	s_or_b32 exec_lo, exec_lo, s17
	v_lshlrev_b32_e32 v4, 24, v109
	s_delay_alu instid0(VALU_DEP_2) | instskip(SKIP_1) | instid1(VALU_DEP_3)
	v_lshlrev_b32_e32 v5, 20, v6
	v_lshl_add_u32 v6, v110, 23, 0x3c000000
	v_and_b32_e32 v4, 0x80000000, v4
	s_delay_alu instid0(VALU_DEP_1)
	v_or3_b32 v6, v5, v4, v6
.LBB413_2567:                           ;   in Loop: Header=BB413_1192 Depth=1
	s_or_b32 exec_lo, exec_lo, s15
.LBB413_2568:                           ;   in Loop: Header=BB413_1192 Depth=1
	s_delay_alu instid0(SALU_CYCLE_1)
	s_or_b32 exec_lo, exec_lo, s13
.LBB413_2569:                           ;   in Loop: Header=BB413_1192 Depth=1
	s_delay_alu instid0(SALU_CYCLE_1) | instskip(NEXT) | instid1(VALU_DEP_1)
	s_or_b32 exec_lo, exec_lo, s12
	v_mul_f32_e32 v6, v8, v6
                                        ; implicit-def: $vgpr109
	s_delay_alu instid0(VALU_DEP_1) | instskip(NEXT) | instid1(VALU_DEP_1)
	v_and_b32_e32 v4, 0x7f800000, v6
	v_cmp_ne_u32_e64 s0, 0x7f800000, v4
	s_delay_alu instid0(VALU_DEP_1) | instskip(NEXT) | instid1(SALU_CYCLE_1)
	s_and_saveexec_b32 s12, s0
	s_xor_b32 s0, exec_lo, s12
; %bb.2570:                             ;   in Loop: Header=BB413_1192 Depth=1
	v_bfe_u32 v4, v6, 16, 1
	s_delay_alu instid0(VALU_DEP_1)
	v_add3_u32 v109, v6, v4, 0x7fff
                                        ; implicit-def: $vgpr6
; %bb.2571:                             ;   in Loop: Header=BB413_1192 Depth=1
	s_and_not1_saveexec_b32 s12, s0
; %bb.2572:                             ;   in Loop: Header=BB413_1192 Depth=1
	v_and_b32_e32 v4, 0xffff, v6
	v_or_b32_e32 v5, 0x10000, v6
	s_delay_alu instid0(VALU_DEP_2) | instskip(NEXT) | instid1(VALU_DEP_1)
	v_cmp_eq_u32_e64 s0, 0, v4
	v_cndmask_b32_e64 v109, v5, v6, s0
; %bb.2573:                             ;   in Loop: Header=BB413_1192 Depth=1
	s_or_b32 exec_lo, exec_lo, s12
	v_dual_mov_b32 v6, 0 :: v_dual_and_b32 v7, 0xff, v3
	v_mov_b32_e32 v9, v3
	s_mov_b32 s12, exec_lo
	s_delay_alu instid0(VALU_DEP_2)
	v_cmpx_ne_u16_e32 0, v7
	s_cbranch_execz .LBB413_2581
; %bb.2574:                             ;   in Loop: Header=BB413_1192 Depth=1
	v_bfrev_b32_e32 v6, 1
	s_mov_b32 s13, exec_lo
	v_cmpx_ne_u16_e32 0x80, v7
	s_cbranch_execz .LBB413_2580
; %bb.2575:                             ;   in Loop: Header=BB413_1192 Depth=1
	v_and_b32_e32 v7, 0x7f, v3
	v_mov_b32_e32 v6, 0x7f800001
	s_mov_b32 s15, exec_lo
	s_delay_alu instid0(VALU_DEP_2)
	v_cmpx_ne_u32_e32 0x7f, v7
	s_cbranch_execz .LBB413_2579
; %bb.2576:                             ;   in Loop: Header=BB413_1192 Depth=1
	v_lshrrev_b32_e32 v110, 3, v7
	v_cmp_gt_u32_e64 s0, 8, v7
	v_dual_mov_b32 v6, v9 :: v_dual_mov_b32 v7, v10
	s_delay_alu instid0(VALU_DEP_2)
	s_and_saveexec_b32 s17, s0
; %bb.2577:                             ;   in Loop: Header=BB413_1192 Depth=1
	v_and_b32_e32 v4, 7, v3
	s_delay_alu instid0(VALU_DEP_1) | instskip(NEXT) | instid1(VALU_DEP_1)
	v_clz_i32_u32_e32 v4, v4
	v_min_u32_e32 v4, 32, v4
	s_delay_alu instid0(VALU_DEP_1) | instskip(SKIP_1) | instid1(VALU_DEP_2)
	v_subrev_nc_u32_e32 v5, 28, v4
	v_sub_nc_u32_e32 v110, 29, v4
	v_lshlrev_b64 v[6:7], v5, v[9:10]
; %bb.2578:                             ;   in Loop: Header=BB413_1192 Depth=1
	s_or_b32 exec_lo, exec_lo, s17
	s_delay_alu instid0(VALU_DEP_1) | instskip(SKIP_2) | instid1(VALU_DEP_3)
	v_lshlrev_b32_e32 v4, 20, v6
	v_lshlrev_b32_e32 v5, 24, v9
	v_lshl_add_u32 v6, v110, 23, 0x3c000000
	v_and_b32_e32 v4, 0x700000, v4
	s_delay_alu instid0(VALU_DEP_3) | instskip(NEXT) | instid1(VALU_DEP_1)
	v_and_b32_e32 v5, 0x80000000, v5
	v_or3_b32 v6, v4, v5, v6
.LBB413_2579:                           ;   in Loop: Header=BB413_1192 Depth=1
	s_or_b32 exec_lo, exec_lo, s15
.LBB413_2580:                           ;   in Loop: Header=BB413_1192 Depth=1
	s_delay_alu instid0(SALU_CYCLE_1)
	s_or_b32 exec_lo, exec_lo, s13
.LBB413_2581:                           ;   in Loop: Header=BB413_1192 Depth=1
	s_delay_alu instid0(SALU_CYCLE_1) | instskip(NEXT) | instid1(VALU_DEP_1)
	s_or_b32 exec_lo, exec_lo, s12
	v_mul_f32_e32 v6, v8, v6
                                        ; implicit-def: $vgpr110
	s_delay_alu instid0(VALU_DEP_1) | instskip(NEXT) | instid1(VALU_DEP_1)
	v_and_b32_e32 v4, 0x7f800000, v6
	v_cmp_ne_u32_e64 s0, 0x7f800000, v4
	s_delay_alu instid0(VALU_DEP_1) | instskip(NEXT) | instid1(SALU_CYCLE_1)
	s_and_saveexec_b32 s12, s0
	s_xor_b32 s0, exec_lo, s12
; %bb.2582:                             ;   in Loop: Header=BB413_1192 Depth=1
	v_bfe_u32 v4, v6, 16, 1
	s_delay_alu instid0(VALU_DEP_1)
	v_add3_u32 v110, v6, v4, 0x7fff
                                        ; implicit-def: $vgpr6
; %bb.2583:                             ;   in Loop: Header=BB413_1192 Depth=1
	s_and_not1_saveexec_b32 s12, s0
; %bb.2584:                             ;   in Loop: Header=BB413_1192 Depth=1
	v_and_b32_e32 v4, 0xffff, v6
	v_or_b32_e32 v5, 0x10000, v6
	s_delay_alu instid0(VALU_DEP_2) | instskip(NEXT) | instid1(VALU_DEP_1)
	v_cmp_eq_u32_e64 s0, 0, v4
	v_cndmask_b32_e64 v110, v5, v6, s0
; %bb.2585:                             ;   in Loop: Header=BB413_1192 Depth=1
	s_or_b32 exec_lo, exec_lo, s12
	v_lshrrev_b16 v7, 8, v9
	v_mov_b32_e32 v6, 0
	s_mov_b32 s12, exec_lo
	s_delay_alu instid0(VALU_DEP_2)
	v_cmpx_ne_u16_e32 0, v7
	s_cbranch_execz .LBB413_2593
; %bb.2586:                             ;   in Loop: Header=BB413_1192 Depth=1
	v_bfrev_b32_e32 v6, 1
	s_mov_b32 s13, exec_lo
	v_cmpx_ne_u16_e32 0x80, v7
	s_cbranch_execz .LBB413_2592
; %bb.2587:                             ;   in Loop: Header=BB413_1192 Depth=1
	v_and_b32_e32 v7, 0xffff, v7
	v_mov_b32_e32 v6, 0x7f800001
	s_mov_b32 s15, exec_lo
	s_delay_alu instid0(VALU_DEP_2) | instskip(NEXT) | instid1(VALU_DEP_1)
	v_and_b32_e32 v120, 0x7f, v7
	v_cmpx_ne_u32_e32 0x7f, v120
	s_cbranch_execz .LBB413_2591
; %bb.2588:                             ;   in Loop: Header=BB413_1192 Depth=1
	v_dual_mov_b32 v7, v10 :: v_dual_and_b32 v6, 7, v7
	v_lshrrev_b32_e32 v111, 3, v120
	s_mov_b32 s17, exec_lo
	v_cmpx_gt_u32_e32 8, v120
; %bb.2589:                             ;   in Loop: Header=BB413_1192 Depth=1
	s_delay_alu instid0(VALU_DEP_3) | instskip(NEXT) | instid1(VALU_DEP_1)
	v_clz_i32_u32_e32 v4, v6
	v_min_u32_e32 v4, 32, v4
	s_delay_alu instid0(VALU_DEP_1) | instskip(SKIP_1) | instid1(VALU_DEP_2)
	v_subrev_nc_u32_e32 v5, 28, v4
	v_sub_nc_u32_e32 v111, 29, v4
	v_lshlrev_b64 v[6:7], v5, v[6:7]
	s_delay_alu instid0(VALU_DEP_1)
	v_and_b32_e32 v6, 7, v6
; %bb.2590:                             ;   in Loop: Header=BB413_1192 Depth=1
	s_or_b32 exec_lo, exec_lo, s17
	v_lshlrev_b32_e32 v4, 16, v9
	s_delay_alu instid0(VALU_DEP_2) | instskip(SKIP_1) | instid1(VALU_DEP_3)
	v_lshlrev_b32_e32 v5, 20, v6
	v_lshl_add_u32 v6, v111, 23, 0x3c000000
	v_and_b32_e32 v4, 0x80000000, v4
	s_delay_alu instid0(VALU_DEP_1)
	v_or3_b32 v6, v5, v4, v6
.LBB413_2591:                           ;   in Loop: Header=BB413_1192 Depth=1
	s_or_b32 exec_lo, exec_lo, s15
.LBB413_2592:                           ;   in Loop: Header=BB413_1192 Depth=1
	s_delay_alu instid0(SALU_CYCLE_1)
	s_or_b32 exec_lo, exec_lo, s13
.LBB413_2593:                           ;   in Loop: Header=BB413_1192 Depth=1
	s_delay_alu instid0(SALU_CYCLE_1) | instskip(NEXT) | instid1(VALU_DEP_1)
	s_or_b32 exec_lo, exec_lo, s12
	v_mul_f32_e32 v6, v8, v6
                                        ; implicit-def: $vgpr111
	s_delay_alu instid0(VALU_DEP_1) | instskip(NEXT) | instid1(VALU_DEP_1)
	v_and_b32_e32 v4, 0x7f800000, v6
	v_cmp_ne_u32_e64 s0, 0x7f800000, v4
	s_delay_alu instid0(VALU_DEP_1) | instskip(NEXT) | instid1(SALU_CYCLE_1)
	s_and_saveexec_b32 s12, s0
	s_xor_b32 s0, exec_lo, s12
; %bb.2594:                             ;   in Loop: Header=BB413_1192 Depth=1
	v_bfe_u32 v4, v6, 16, 1
	s_delay_alu instid0(VALU_DEP_1)
	v_add3_u32 v111, v6, v4, 0x7fff
                                        ; implicit-def: $vgpr6
; %bb.2595:                             ;   in Loop: Header=BB413_1192 Depth=1
	s_and_not1_saveexec_b32 s12, s0
; %bb.2596:                             ;   in Loop: Header=BB413_1192 Depth=1
	v_and_b32_e32 v4, 0xffff, v6
	v_or_b32_e32 v5, 0x10000, v6
	s_delay_alu instid0(VALU_DEP_2) | instskip(NEXT) | instid1(VALU_DEP_1)
	v_cmp_eq_u32_e64 s0, 0, v4
	v_cndmask_b32_e64 v111, v5, v6, s0
; %bb.2597:                             ;   in Loop: Header=BB413_1192 Depth=1
	s_or_b32 exec_lo, exec_lo, s12
	v_lshrrev_b32_e32 v120, 16, v3
	s_mov_b32 s12, exec_lo
	s_delay_alu instid0(VALU_DEP_1) | instskip(NEXT) | instid1(VALU_DEP_1)
	v_dual_mov_b32 v6, 0 :: v_dual_and_b32 v7, 0xff, v120
	v_cmpx_ne_u16_e32 0, v7
	s_cbranch_execz .LBB413_2605
; %bb.2598:                             ;   in Loop: Header=BB413_1192 Depth=1
	v_bfrev_b32_e32 v6, 1
	s_mov_b32 s13, exec_lo
	v_cmpx_ne_u16_e32 0x80, v7
	s_cbranch_execz .LBB413_2604
; %bb.2599:                             ;   in Loop: Header=BB413_1192 Depth=1
	v_bfe_u32 v7, v3, 16, 7
	v_mov_b32_e32 v6, 0x7f800001
	s_mov_b32 s15, exec_lo
	s_delay_alu instid0(VALU_DEP_2)
	v_cmpx_ne_u32_e32 0x7f, v7
	s_cbranch_execz .LBB413_2603
; %bb.2600:                             ;   in Loop: Header=BB413_1192 Depth=1
	v_and_b32_e32 v9, 7, v120
	v_lshrrev_b32_e32 v121, 3, v7
	v_cmp_gt_u32_e64 s0, 8, v7
	s_delay_alu instid0(VALU_DEP_3) | instskip(NEXT) | instid1(VALU_DEP_2)
	v_dual_mov_b32 v6, v9 :: v_dual_mov_b32 v7, v10
	s_and_saveexec_b32 s17, s0
; %bb.2601:                             ;   in Loop: Header=BB413_1192 Depth=1
	v_clz_i32_u32_e32 v4, v9
	s_delay_alu instid0(VALU_DEP_1) | instskip(NEXT) | instid1(VALU_DEP_1)
	v_min_u32_e32 v4, 32, v4
	v_subrev_nc_u32_e32 v5, 28, v4
	v_sub_nc_u32_e32 v121, 29, v4
	s_delay_alu instid0(VALU_DEP_2) | instskip(NEXT) | instid1(VALU_DEP_1)
	v_lshlrev_b64 v[6:7], v5, v[9:10]
	v_and_b32_e32 v6, 7, v6
; %bb.2602:                             ;   in Loop: Header=BB413_1192 Depth=1
	s_or_b32 exec_lo, exec_lo, s17
	v_lshlrev_b32_e32 v4, 24, v120
	s_delay_alu instid0(VALU_DEP_2) | instskip(SKIP_1) | instid1(VALU_DEP_3)
	v_lshlrev_b32_e32 v5, 20, v6
	v_lshl_add_u32 v6, v121, 23, 0x3c000000
	v_and_b32_e32 v4, 0x80000000, v4
	s_delay_alu instid0(VALU_DEP_1)
	v_or3_b32 v6, v5, v4, v6
.LBB413_2603:                           ;   in Loop: Header=BB413_1192 Depth=1
	s_or_b32 exec_lo, exec_lo, s15
.LBB413_2604:                           ;   in Loop: Header=BB413_1192 Depth=1
	s_delay_alu instid0(SALU_CYCLE_1)
	s_or_b32 exec_lo, exec_lo, s13
.LBB413_2605:                           ;   in Loop: Header=BB413_1192 Depth=1
	s_delay_alu instid0(SALU_CYCLE_1) | instskip(NEXT) | instid1(VALU_DEP_1)
	s_or_b32 exec_lo, exec_lo, s12
	v_mul_f32_e32 v7, v8, v6
                                        ; implicit-def: $vgpr6
	s_delay_alu instid0(VALU_DEP_1) | instskip(NEXT) | instid1(VALU_DEP_1)
	v_and_b32_e32 v4, 0x7f800000, v7
	v_cmp_ne_u32_e64 s0, 0x7f800000, v4
	s_delay_alu instid0(VALU_DEP_1) | instskip(NEXT) | instid1(SALU_CYCLE_1)
	s_and_saveexec_b32 s12, s0
	s_xor_b32 s0, exec_lo, s12
; %bb.2606:                             ;   in Loop: Header=BB413_1192 Depth=1
	v_bfe_u32 v4, v7, 16, 1
	s_delay_alu instid0(VALU_DEP_1)
	v_add3_u32 v6, v7, v4, 0x7fff
                                        ; implicit-def: $vgpr7
; %bb.2607:                             ;   in Loop: Header=BB413_1192 Depth=1
	s_and_not1_saveexec_b32 s12, s0
; %bb.2608:                             ;   in Loop: Header=BB413_1192 Depth=1
	v_and_b32_e32 v4, 0xffff, v7
	v_or_b32_e32 v5, 0x10000, v7
	s_delay_alu instid0(VALU_DEP_2) | instskip(NEXT) | instid1(VALU_DEP_1)
	v_cmp_eq_u32_e64 s0, 0, v4
	v_cndmask_b32_e64 v6, v5, v7, s0
; %bb.2609:                             ;   in Loop: Header=BB413_1192 Depth=1
	s_or_b32 exec_lo, exec_lo, s12
	v_cmp_lt_u64_e64 s0, s[8:9], v[2:3]
	v_mov_b32_e32 v2, 0
	s_delay_alu instid0(VALU_DEP_2)
	s_and_saveexec_b32 s12, s0
	s_cbranch_execz .LBB413_2617
; %bb.2610:                             ;   in Loop: Header=BB413_1192 Depth=1
	v_lshrrev_b32_e32 v7, 24, v3
	v_bfrev_b32_e32 v2, 1
	s_mov_b32 s13, exec_lo
	s_delay_alu instid0(VALU_DEP_2)
	v_cmpx_ne_u32_e32 0x80, v7
	s_cbranch_execz .LBB413_2616
; %bb.2611:                             ;   in Loop: Header=BB413_1192 Depth=1
	v_bfe_u32 v3, v3, 24, 7
	v_mov_b32_e32 v2, 0x7f800001
	s_mov_b32 s15, exec_lo
	s_delay_alu instid0(VALU_DEP_2)
	v_cmpx_ne_u32_e32 0x7f, v3
	s_cbranch_execz .LBB413_2615
; %bb.2612:                             ;   in Loop: Header=BB413_1192 Depth=1
	v_and_b32_e32 v9, 7, v7
	v_lshrrev_b32_e32 v120, 3, v3
	v_cmp_gt_u32_e64 s0, 8, v3
	s_delay_alu instid0(VALU_DEP_3) | instskip(NEXT) | instid1(VALU_DEP_2)
	v_dual_mov_b32 v2, v9 :: v_dual_mov_b32 v3, v10
	s_and_saveexec_b32 s17, s0
; %bb.2613:                             ;   in Loop: Header=BB413_1192 Depth=1
	v_clz_i32_u32_e32 v2, v9
	s_delay_alu instid0(VALU_DEP_1) | instskip(NEXT) | instid1(VALU_DEP_1)
	v_min_u32_e32 v4, 32, v2
	v_subrev_nc_u32_e32 v2, 28, v4
	v_sub_nc_u32_e32 v120, 29, v4
	s_delay_alu instid0(VALU_DEP_2) | instskip(NEXT) | instid1(VALU_DEP_1)
	v_lshlrev_b64 v[2:3], v2, v[9:10]
	v_and_b32_e32 v2, 7, v2
; %bb.2614:                             ;   in Loop: Header=BB413_1192 Depth=1
	s_or_b32 exec_lo, exec_lo, s17
	v_lshlrev_b32_e32 v3, 24, v7
	s_delay_alu instid0(VALU_DEP_2) | instskip(SKIP_1) | instid1(VALU_DEP_3)
	v_lshlrev_b32_e32 v2, 20, v2
	v_lshl_add_u32 v4, v120, 23, 0x3c000000
	v_and_b32_e32 v3, 0x80000000, v3
	s_delay_alu instid0(VALU_DEP_1)
	v_or3_b32 v2, v2, v3, v4
.LBB413_2615:                           ;   in Loop: Header=BB413_1192 Depth=1
	s_or_b32 exec_lo, exec_lo, s15
.LBB413_2616:                           ;   in Loop: Header=BB413_1192 Depth=1
	s_delay_alu instid0(SALU_CYCLE_1)
	s_or_b32 exec_lo, exec_lo, s13
.LBB413_2617:                           ;   in Loop: Header=BB413_1192 Depth=1
	s_delay_alu instid0(SALU_CYCLE_1) | instskip(NEXT) | instid1(VALU_DEP_1)
	s_or_b32 exec_lo, exec_lo, s12
	v_mul_f32_e32 v3, v8, v2
	s_delay_alu instid0(VALU_DEP_1) | instskip(NEXT) | instid1(VALU_DEP_1)
	v_and_b32_e32 v2, 0x7f800000, v3
	v_cmp_ne_u32_e64 s0, 0x7f800000, v2
                                        ; implicit-def: $vgpr2
	s_delay_alu instid0(VALU_DEP_1) | instskip(NEXT) | instid1(SALU_CYCLE_1)
	s_and_saveexec_b32 s12, s0
	s_xor_b32 s0, exec_lo, s12
; %bb.2618:                             ;   in Loop: Header=BB413_1192 Depth=1
	v_bfe_u32 v2, v3, 16, 1
	s_delay_alu instid0(VALU_DEP_1)
	v_add3_u32 v2, v3, v2, 0x7fff
                                        ; implicit-def: $vgpr3
; %bb.2619:                             ;   in Loop: Header=BB413_1192 Depth=1
	s_and_not1_saveexec_b32 s12, s0
; %bb.2620:                             ;   in Loop: Header=BB413_1192 Depth=1
	v_and_b32_e32 v2, 0xffff, v3
	v_or_b32_e32 v4, 0x10000, v3
	s_delay_alu instid0(VALU_DEP_2) | instskip(NEXT) | instid1(VALU_DEP_1)
	v_cmp_eq_u32_e64 s0, 0, v2
	v_cndmask_b32_e64 v2, v4, v3, s0
; %bb.2621:                             ;   in Loop: Header=BB413_1192 Depth=1
	s_or_b32 exec_lo, exec_lo, s12
	v_lshrrev_b32_e32 v9, 16, v111
	v_lshrrev_b32_e32 v110, 16, v110
	v_lshrrev_b32_e32 v109, 16, v109
	v_lshrrev_b32_e32 v108, 16, v108
	v_lshrrev_b32_e32 v7, 16, v107
	v_lshrrev_b32_e32 v106, 16, v106
	v_lshrrev_b32_e32 v3, 16, v6
	v_lshrrev_b32_e32 v2, 16, v2
	s_and_saveexec_b32 s12, vcc_lo
	s_cbranch_execz .LBB413_2623
; %bb.2622:                             ;   in Loop: Header=BB413_1192 Depth=1
	v_cmp_lt_i32_e64 s0, v66, v85
	s_delay_alu instid0(VALU_DEP_1) | instskip(SKIP_1) | instid1(VALU_DEP_1)
	v_cndmask_b32_e64 v106, 0, v106, s0
	v_cmp_lt_i32_e64 s0, v81, v85
	v_cndmask_b32_e64 v7, 0, v7, s0
	v_cmp_lt_i32_e64 s0, v80, v85
	s_delay_alu instid0(VALU_DEP_1) | instskip(SKIP_1) | instid1(VALU_DEP_1)
	v_cndmask_b32_e64 v108, 0, v108, s0
	v_cmp_lt_i32_e64 s0, v71, v85
	v_cndmask_b32_e64 v109, 0, v109, s0
	;; [unrolled: 5-line block ×4, first 2 shown]
.LBB413_2623:                           ;   in Loop: Header=BB413_1192 Depth=1
	s_or_b32 exec_lo, exec_lo, s12
	v_lshlrev_b32_e32 v4, 16, v106
                                        ; implicit-def: $vgpr6
	s_delay_alu instid0(VALU_DEP_1) | instskip(NEXT) | instid1(VALU_DEP_1)
	v_mul_f32_e32 v106, v82, v4
	v_and_b32_e32 v4, 0x7f800000, v106
	s_delay_alu instid0(VALU_DEP_1) | instskip(NEXT) | instid1(VALU_DEP_1)
	v_cmp_ne_u32_e64 s0, 0x7f800000, v4
	s_and_saveexec_b32 s12, s0
	s_delay_alu instid0(SALU_CYCLE_1)
	s_xor_b32 s0, exec_lo, s12
; %bb.2624:                             ;   in Loop: Header=BB413_1192 Depth=1
	v_bfe_u32 v4, v106, 16, 1
	s_delay_alu instid0(VALU_DEP_1)
	v_add3_u32 v6, v106, v4, 0x7fff
                                        ; implicit-def: $vgpr106
; %bb.2625:                             ;   in Loop: Header=BB413_1192 Depth=1
	s_and_not1_saveexec_b32 s12, s0
; %bb.2626:                             ;   in Loop: Header=BB413_1192 Depth=1
	v_and_b32_e32 v4, 0xffff, v106
	v_or_b32_e32 v5, 0x10000, v106
	s_delay_alu instid0(VALU_DEP_2) | instskip(NEXT) | instid1(VALU_DEP_1)
	v_cmp_eq_u32_e64 s0, 0, v4
	v_cndmask_b32_e64 v6, v5, v106, s0
; %bb.2627:                             ;   in Loop: Header=BB413_1192 Depth=1
	s_or_b32 exec_lo, exec_lo, s12
	v_lshlrev_b32_e32 v4, 16, v7
                                        ; implicit-def: $vgpr7
	s_delay_alu instid0(VALU_DEP_1) | instskip(NEXT) | instid1(VALU_DEP_1)
	v_mul_f32_e32 v106, v83, v4
	v_and_b32_e32 v4, 0x7f800000, v106
	s_delay_alu instid0(VALU_DEP_1) | instskip(NEXT) | instid1(VALU_DEP_1)
	v_cmp_ne_u32_e64 s0, 0x7f800000, v4
	s_and_saveexec_b32 s12, s0
	s_delay_alu instid0(SALU_CYCLE_1)
	s_xor_b32 s0, exec_lo, s12
; %bb.2628:                             ;   in Loop: Header=BB413_1192 Depth=1
	v_bfe_u32 v4, v106, 16, 1
	s_delay_alu instid0(VALU_DEP_1)
	v_add3_u32 v7, v106, v4, 0x7fff
                                        ; implicit-def: $vgpr106
; %bb.2629:                             ;   in Loop: Header=BB413_1192 Depth=1
	s_and_not1_saveexec_b32 s12, s0
; %bb.2630:                             ;   in Loop: Header=BB413_1192 Depth=1
	v_and_b32_e32 v4, 0xffff, v106
	v_or_b32_e32 v5, 0x10000, v106
	s_delay_alu instid0(VALU_DEP_2) | instskip(NEXT) | instid1(VALU_DEP_1)
	v_cmp_eq_u32_e64 s0, 0, v4
	v_cndmask_b32_e64 v7, v5, v106, s0
; %bb.2631:                             ;   in Loop: Header=BB413_1192 Depth=1
	s_or_b32 exec_lo, exec_lo, s12
	v_lshlrev_b32_e32 v4, 16, v108
                                        ; implicit-def: $vgpr106
	s_delay_alu instid0(VALU_DEP_1) | instskip(NEXT) | instid1(VALU_DEP_1)
	v_mul_f32_e32 v107, v100, v4
	v_and_b32_e32 v4, 0x7f800000, v107
	s_delay_alu instid0(VALU_DEP_1) | instskip(NEXT) | instid1(VALU_DEP_1)
	v_cmp_ne_u32_e64 s0, 0x7f800000, v4
	s_and_saveexec_b32 s12, s0
	s_delay_alu instid0(SALU_CYCLE_1)
	s_xor_b32 s0, exec_lo, s12
; %bb.2632:                             ;   in Loop: Header=BB413_1192 Depth=1
	v_bfe_u32 v4, v107, 16, 1
	s_delay_alu instid0(VALU_DEP_1)
	v_add3_u32 v106, v107, v4, 0x7fff
                                        ; implicit-def: $vgpr107
; %bb.2633:                             ;   in Loop: Header=BB413_1192 Depth=1
	s_and_not1_saveexec_b32 s12, s0
; %bb.2634:                             ;   in Loop: Header=BB413_1192 Depth=1
	v_and_b32_e32 v4, 0xffff, v107
	v_or_b32_e32 v5, 0x10000, v107
	s_delay_alu instid0(VALU_DEP_2) | instskip(NEXT) | instid1(VALU_DEP_1)
	v_cmp_eq_u32_e64 s0, 0, v4
	v_cndmask_b32_e64 v106, v5, v107, s0
; %bb.2635:                             ;   in Loop: Header=BB413_1192 Depth=1
	s_or_b32 exec_lo, exec_lo, s12
	v_lshlrev_b32_e32 v4, 16, v109
                                        ; implicit-def: $vgpr107
	s_delay_alu instid0(VALU_DEP_1) | instskip(NEXT) | instid1(VALU_DEP_1)
	v_mul_f32_e32 v108, v101, v4
	v_and_b32_e32 v4, 0x7f800000, v108
	s_delay_alu instid0(VALU_DEP_1) | instskip(NEXT) | instid1(VALU_DEP_1)
	v_cmp_ne_u32_e64 s0, 0x7f800000, v4
	s_and_saveexec_b32 s12, s0
	s_delay_alu instid0(SALU_CYCLE_1)
	s_xor_b32 s0, exec_lo, s12
; %bb.2636:                             ;   in Loop: Header=BB413_1192 Depth=1
	v_bfe_u32 v4, v108, 16, 1
	s_delay_alu instid0(VALU_DEP_1)
	v_add3_u32 v107, v108, v4, 0x7fff
                                        ; implicit-def: $vgpr108
; %bb.2637:                             ;   in Loop: Header=BB413_1192 Depth=1
	s_and_not1_saveexec_b32 s12, s0
; %bb.2638:                             ;   in Loop: Header=BB413_1192 Depth=1
	v_and_b32_e32 v4, 0xffff, v108
	v_or_b32_e32 v5, 0x10000, v108
	s_delay_alu instid0(VALU_DEP_2) | instskip(NEXT) | instid1(VALU_DEP_1)
	v_cmp_eq_u32_e64 s0, 0, v4
	v_cndmask_b32_e64 v107, v5, v108, s0
; %bb.2639:                             ;   in Loop: Header=BB413_1192 Depth=1
	s_or_b32 exec_lo, exec_lo, s12
	v_lshlrev_b32_e32 v4, 16, v110
                                        ; implicit-def: $vgpr108
	s_delay_alu instid0(VALU_DEP_1) | instskip(NEXT) | instid1(VALU_DEP_1)
	v_mul_f32_e32 v109, v102, v4
	v_and_b32_e32 v4, 0x7f800000, v109
	s_delay_alu instid0(VALU_DEP_1) | instskip(NEXT) | instid1(VALU_DEP_1)
	v_cmp_ne_u32_e64 s0, 0x7f800000, v4
	s_and_saveexec_b32 s12, s0
	s_delay_alu instid0(SALU_CYCLE_1)
	s_xor_b32 s0, exec_lo, s12
; %bb.2640:                             ;   in Loop: Header=BB413_1192 Depth=1
	v_bfe_u32 v4, v109, 16, 1
	s_delay_alu instid0(VALU_DEP_1)
	v_add3_u32 v108, v109, v4, 0x7fff
                                        ; implicit-def: $vgpr109
; %bb.2641:                             ;   in Loop: Header=BB413_1192 Depth=1
	s_and_not1_saveexec_b32 s12, s0
; %bb.2642:                             ;   in Loop: Header=BB413_1192 Depth=1
	v_and_b32_e32 v4, 0xffff, v109
	v_or_b32_e32 v5, 0x10000, v109
	s_delay_alu instid0(VALU_DEP_2) | instskip(NEXT) | instid1(VALU_DEP_1)
	v_cmp_eq_u32_e64 s0, 0, v4
	v_cndmask_b32_e64 v108, v5, v109, s0
; %bb.2643:                             ;   in Loop: Header=BB413_1192 Depth=1
	s_or_b32 exec_lo, exec_lo, s12
	v_lshlrev_b32_e32 v4, 16, v9
                                        ; implicit-def: $vgpr109
	s_delay_alu instid0(VALU_DEP_1) | instskip(NEXT) | instid1(VALU_DEP_1)
	v_mul_f32_e32 v9, v103, v4
	v_and_b32_e32 v4, 0x7f800000, v9
	s_delay_alu instid0(VALU_DEP_1) | instskip(NEXT) | instid1(VALU_DEP_1)
	v_cmp_ne_u32_e64 s0, 0x7f800000, v4
	s_and_saveexec_b32 s12, s0
	s_delay_alu instid0(SALU_CYCLE_1)
	s_xor_b32 s0, exec_lo, s12
; %bb.2644:                             ;   in Loop: Header=BB413_1192 Depth=1
	v_bfe_u32 v4, v9, 16, 1
	s_delay_alu instid0(VALU_DEP_1)
	v_add3_u32 v109, v9, v4, 0x7fff
                                        ; implicit-def: $vgpr9
; %bb.2645:                             ;   in Loop: Header=BB413_1192 Depth=1
	s_and_not1_saveexec_b32 s12, s0
; %bb.2646:                             ;   in Loop: Header=BB413_1192 Depth=1
	v_and_b32_e32 v4, 0xffff, v9
	v_or_b32_e32 v5, 0x10000, v9
	s_delay_alu instid0(VALU_DEP_2) | instskip(NEXT) | instid1(VALU_DEP_1)
	v_cmp_eq_u32_e64 s0, 0, v4
	v_cndmask_b32_e64 v109, v5, v9, s0
; %bb.2647:                             ;   in Loop: Header=BB413_1192 Depth=1
	s_or_b32 exec_lo, exec_lo, s12
	v_lshlrev_b32_e32 v3, 16, v3
                                        ; implicit-def: $vgpr110
	s_delay_alu instid0(VALU_DEP_1) | instskip(NEXT) | instid1(VALU_DEP_1)
	v_mul_f32_e32 v3, v112, v3
	v_and_b32_e32 v4, 0x7f800000, v3
	s_delay_alu instid0(VALU_DEP_1) | instskip(NEXT) | instid1(VALU_DEP_1)
	v_cmp_ne_u32_e64 s0, 0x7f800000, v4
	s_and_saveexec_b32 s12, s0
	s_delay_alu instid0(SALU_CYCLE_1)
	s_xor_b32 s0, exec_lo, s12
; %bb.2648:                             ;   in Loop: Header=BB413_1192 Depth=1
	v_bfe_u32 v4, v3, 16, 1
	s_delay_alu instid0(VALU_DEP_1)
	v_add3_u32 v110, v3, v4, 0x7fff
                                        ; implicit-def: $vgpr3
; %bb.2649:                             ;   in Loop: Header=BB413_1192 Depth=1
	s_and_not1_saveexec_b32 s12, s0
; %bb.2650:                             ;   in Loop: Header=BB413_1192 Depth=1
	v_and_b32_e32 v4, 0xffff, v3
	v_or_b32_e32 v5, 0x10000, v3
	s_delay_alu instid0(VALU_DEP_2) | instskip(NEXT) | instid1(VALU_DEP_1)
	v_cmp_eq_u32_e64 s0, 0, v4
	v_cndmask_b32_e64 v110, v5, v3, s0
; %bb.2651:                             ;   in Loop: Header=BB413_1192 Depth=1
	s_or_b32 exec_lo, exec_lo, s12
	v_lshlrev_b32_e32 v2, 16, v2
                                        ; implicit-def: $vgpr111
	s_delay_alu instid0(VALU_DEP_1) | instskip(NEXT) | instid1(VALU_DEP_1)
	v_mul_f32_e32 v2, v113, v2
	v_and_b32_e32 v3, 0x7f800000, v2
	s_delay_alu instid0(VALU_DEP_1) | instskip(NEXT) | instid1(VALU_DEP_1)
	v_cmp_ne_u32_e64 s0, 0x7f800000, v3
	s_and_saveexec_b32 s12, s0
	s_delay_alu instid0(SALU_CYCLE_1)
	s_xor_b32 s0, exec_lo, s12
; %bb.2652:                             ;   in Loop: Header=BB413_1192 Depth=1
	v_bfe_u32 v3, v2, 16, 1
	s_delay_alu instid0(VALU_DEP_1)
	v_add3_u32 v111, v2, v3, 0x7fff
                                        ; implicit-def: $vgpr2
; %bb.2653:                             ;   in Loop: Header=BB413_1192 Depth=1
	s_and_not1_saveexec_b32 s12, s0
; %bb.2654:                             ;   in Loop: Header=BB413_1192 Depth=1
	v_and_b32_e32 v3, 0xffff, v2
	v_or_b32_e32 v4, 0x10000, v2
	s_delay_alu instid0(VALU_DEP_2) | instskip(NEXT) | instid1(VALU_DEP_1)
	v_cmp_eq_u32_e64 s0, 0, v3
	v_cndmask_b32_e64 v111, v4, v2, s0
; %bb.2655:                             ;   in Loop: Header=BB413_1192 Depth=1
	s_or_b32 exec_lo, exec_lo, s12
	flat_load_b64 v[0:1], v[0:1] offset:2816
	s_mov_b32 s12, exec_lo
	s_waitcnt vmcnt(0) lgkmcnt(0)
	v_dual_mov_b32 v2, 0 :: v_dual_and_b32 v3, 0xff, v0
	s_delay_alu instid0(VALU_DEP_1)
	v_cmpx_ne_u16_e32 0, v3
	s_cbranch_execz .LBB413_2663
; %bb.2656:                             ;   in Loop: Header=BB413_1192 Depth=1
	v_bfrev_b32_e32 v2, 1
	s_mov_b32 s13, exec_lo
	v_cmpx_ne_u16_e32 0x80, v3
	s_cbranch_execz .LBB413_2662
; %bb.2657:                             ;   in Loop: Header=BB413_1192 Depth=1
	v_and_b32_e32 v3, 0x7f, v0
	v_mov_b32_e32 v2, 0x7f800001
	s_mov_b32 s15, exec_lo
	s_delay_alu instid0(VALU_DEP_2)
	v_cmpx_ne_u32_e32 0x7f, v3
	s_cbranch_execz .LBB413_2661
; %bb.2658:                             ;   in Loop: Header=BB413_1192 Depth=1
	v_lshrrev_b32_e32 v9, 3, v3
	v_cmp_gt_u32_e64 s0, 8, v3
	v_dual_mov_b32 v3, v1 :: v_dual_mov_b32 v2, v0
	s_delay_alu instid0(VALU_DEP_2)
	s_and_saveexec_b32 s17, s0
; %bb.2659:                             ;   in Loop: Header=BB413_1192 Depth=1
	v_and_b32_e32 v2, 7, v0
	s_delay_alu instid0(VALU_DEP_1) | instskip(NEXT) | instid1(VALU_DEP_1)
	v_clz_i32_u32_e32 v2, v2
	v_min_u32_e32 v4, 32, v2
	s_delay_alu instid0(VALU_DEP_1) | instskip(SKIP_1) | instid1(VALU_DEP_2)
	v_subrev_nc_u32_e32 v2, 28, v4
	v_sub_nc_u32_e32 v9, 29, v4
	v_lshlrev_b64 v[2:3], v2, v[0:1]
; %bb.2660:                             ;   in Loop: Header=BB413_1192 Depth=1
	s_or_b32 exec_lo, exec_lo, s17
	s_delay_alu instid0(VALU_DEP_1) | instskip(SKIP_2) | instid1(VALU_DEP_3)
	v_lshlrev_b32_e32 v2, 20, v2
	v_lshlrev_b32_e32 v3, 24, v0
	v_lshl_add_u32 v4, v9, 23, 0x3c000000
	v_and_b32_e32 v2, 0x700000, v2
	s_delay_alu instid0(VALU_DEP_3) | instskip(NEXT) | instid1(VALU_DEP_1)
	v_and_b32_e32 v3, 0x80000000, v3
	v_or3_b32 v2, v2, v3, v4
.LBB413_2661:                           ;   in Loop: Header=BB413_1192 Depth=1
	s_or_b32 exec_lo, exec_lo, s15
.LBB413_2662:                           ;   in Loop: Header=BB413_1192 Depth=1
	s_delay_alu instid0(SALU_CYCLE_1)
	s_or_b32 exec_lo, exec_lo, s13
.LBB413_2663:                           ;   in Loop: Header=BB413_1192 Depth=1
	s_delay_alu instid0(SALU_CYCLE_1) | instskip(NEXT) | instid1(VALU_DEP_1)
	s_or_b32 exec_lo, exec_lo, s12
	v_mul_f32_e32 v2, v8, v2
                                        ; implicit-def: $vgpr120
	s_delay_alu instid0(VALU_DEP_1) | instskip(NEXT) | instid1(VALU_DEP_1)
	v_and_b32_e32 v3, 0x7f800000, v2
	v_cmp_ne_u32_e64 s0, 0x7f800000, v3
	s_delay_alu instid0(VALU_DEP_1) | instskip(NEXT) | instid1(SALU_CYCLE_1)
	s_and_saveexec_b32 s12, s0
	s_xor_b32 s0, exec_lo, s12
; %bb.2664:                             ;   in Loop: Header=BB413_1192 Depth=1
	v_bfe_u32 v3, v2, 16, 1
	s_delay_alu instid0(VALU_DEP_1)
	v_add3_u32 v120, v2, v3, 0x7fff
                                        ; implicit-def: $vgpr2
; %bb.2665:                             ;   in Loop: Header=BB413_1192 Depth=1
	s_and_not1_saveexec_b32 s12, s0
; %bb.2666:                             ;   in Loop: Header=BB413_1192 Depth=1
	v_and_b32_e32 v3, 0xffff, v2
	v_or_b32_e32 v4, 0x10000, v2
	s_delay_alu instid0(VALU_DEP_2) | instskip(NEXT) | instid1(VALU_DEP_1)
	v_cmp_eq_u32_e64 s0, 0, v3
	v_cndmask_b32_e64 v120, v4, v2, s0
; %bb.2667:                             ;   in Loop: Header=BB413_1192 Depth=1
	s_or_b32 exec_lo, exec_lo, s12
	v_lshrrev_b16 v3, 8, v0
	v_mov_b32_e32 v2, 0
	s_mov_b32 s12, exec_lo
	s_delay_alu instid0(VALU_DEP_2)
	v_cmpx_ne_u16_e32 0, v3
	s_cbranch_execz .LBB413_2675
; %bb.2668:                             ;   in Loop: Header=BB413_1192 Depth=1
	v_bfrev_b32_e32 v2, 1
	s_mov_b32 s13, exec_lo
	v_cmpx_ne_u16_e32 0x80, v3
	s_cbranch_execz .LBB413_2674
; %bb.2669:                             ;   in Loop: Header=BB413_1192 Depth=1
	v_and_b32_e32 v9, 0xffff, v3
	v_mov_b32_e32 v2, 0x7f800001
	s_mov_b32 s15, exec_lo
	s_delay_alu instid0(VALU_DEP_2) | instskip(NEXT) | instid1(VALU_DEP_1)
	v_and_b32_e32 v3, 0x7f, v9
	v_cmpx_ne_u32_e32 0x7f, v3
	s_cbranch_execz .LBB413_2673
; %bb.2670:                             ;   in Loop: Header=BB413_1192 Depth=1
	v_and_b32_e32 v9, 7, v9
	v_lshrrev_b32_e32 v121, 3, v3
	v_cmp_gt_u32_e64 s0, 8, v3
	s_delay_alu instid0(VALU_DEP_3) | instskip(NEXT) | instid1(VALU_DEP_2)
	v_dual_mov_b32 v2, v9 :: v_dual_mov_b32 v3, v10
	s_and_saveexec_b32 s17, s0
; %bb.2671:                             ;   in Loop: Header=BB413_1192 Depth=1
	v_clz_i32_u32_e32 v2, v9
	s_delay_alu instid0(VALU_DEP_1) | instskip(NEXT) | instid1(VALU_DEP_1)
	v_min_u32_e32 v4, 32, v2
	v_subrev_nc_u32_e32 v2, 28, v4
	v_sub_nc_u32_e32 v121, 29, v4
	s_delay_alu instid0(VALU_DEP_2) | instskip(NEXT) | instid1(VALU_DEP_1)
	v_lshlrev_b64 v[2:3], v2, v[9:10]
	v_and_b32_e32 v2, 7, v2
; %bb.2672:                             ;   in Loop: Header=BB413_1192 Depth=1
	s_or_b32 exec_lo, exec_lo, s17
	v_lshlrev_b32_e32 v3, 16, v0
	s_delay_alu instid0(VALU_DEP_2) | instskip(SKIP_1) | instid1(VALU_DEP_3)
	v_lshlrev_b32_e32 v2, 20, v2
	v_lshl_add_u32 v4, v121, 23, 0x3c000000
	v_and_b32_e32 v3, 0x80000000, v3
	s_delay_alu instid0(VALU_DEP_1)
	v_or3_b32 v2, v2, v3, v4
.LBB413_2673:                           ;   in Loop: Header=BB413_1192 Depth=1
	s_or_b32 exec_lo, exec_lo, s15
.LBB413_2674:                           ;   in Loop: Header=BB413_1192 Depth=1
	s_delay_alu instid0(SALU_CYCLE_1)
	s_or_b32 exec_lo, exec_lo, s13
.LBB413_2675:                           ;   in Loop: Header=BB413_1192 Depth=1
	s_delay_alu instid0(SALU_CYCLE_1) | instskip(NEXT) | instid1(VALU_DEP_1)
	s_or_b32 exec_lo, exec_lo, s12
	v_mul_f32_e32 v2, v8, v2
                                        ; implicit-def: $vgpr121
	s_delay_alu instid0(VALU_DEP_1) | instskip(NEXT) | instid1(VALU_DEP_1)
	v_and_b32_e32 v3, 0x7f800000, v2
	v_cmp_ne_u32_e64 s0, 0x7f800000, v3
	s_delay_alu instid0(VALU_DEP_1) | instskip(NEXT) | instid1(SALU_CYCLE_1)
	s_and_saveexec_b32 s12, s0
	s_xor_b32 s0, exec_lo, s12
; %bb.2676:                             ;   in Loop: Header=BB413_1192 Depth=1
	v_bfe_u32 v3, v2, 16, 1
	s_delay_alu instid0(VALU_DEP_1)
	v_add3_u32 v121, v2, v3, 0x7fff
                                        ; implicit-def: $vgpr2
; %bb.2677:                             ;   in Loop: Header=BB413_1192 Depth=1
	s_and_not1_saveexec_b32 s12, s0
; %bb.2678:                             ;   in Loop: Header=BB413_1192 Depth=1
	v_and_b32_e32 v3, 0xffff, v2
	v_or_b32_e32 v4, 0x10000, v2
	s_delay_alu instid0(VALU_DEP_2) | instskip(NEXT) | instid1(VALU_DEP_1)
	v_cmp_eq_u32_e64 s0, 0, v3
	v_cndmask_b32_e64 v121, v4, v2, s0
; %bb.2679:                             ;   in Loop: Header=BB413_1192 Depth=1
	s_or_b32 exec_lo, exec_lo, s12
	v_lshrrev_b32_e32 v122, 16, v0
	s_mov_b32 s12, exec_lo
	s_delay_alu instid0(VALU_DEP_1) | instskip(NEXT) | instid1(VALU_DEP_1)
	v_dual_mov_b32 v2, 0 :: v_dual_and_b32 v3, 0xff, v122
	v_cmpx_ne_u16_e32 0, v3
	s_cbranch_execz .LBB413_2687
; %bb.2680:                             ;   in Loop: Header=BB413_1192 Depth=1
	v_bfrev_b32_e32 v2, 1
	s_mov_b32 s13, exec_lo
	v_cmpx_ne_u16_e32 0x80, v3
	s_cbranch_execz .LBB413_2686
; %bb.2681:                             ;   in Loop: Header=BB413_1192 Depth=1
	v_bfe_u32 v3, v0, 16, 7
	v_mov_b32_e32 v2, 0x7f800001
	s_mov_b32 s15, exec_lo
	s_delay_alu instid0(VALU_DEP_2)
	v_cmpx_ne_u32_e32 0x7f, v3
	s_cbranch_execz .LBB413_2685
; %bb.2682:                             ;   in Loop: Header=BB413_1192 Depth=1
	v_and_b32_e32 v9, 7, v122
	v_lshrrev_b32_e32 v123, 3, v3
	v_cmp_gt_u32_e64 s0, 8, v3
	s_delay_alu instid0(VALU_DEP_3) | instskip(NEXT) | instid1(VALU_DEP_2)
	v_dual_mov_b32 v2, v9 :: v_dual_mov_b32 v3, v10
	s_and_saveexec_b32 s17, s0
; %bb.2683:                             ;   in Loop: Header=BB413_1192 Depth=1
	v_clz_i32_u32_e32 v2, v9
	s_delay_alu instid0(VALU_DEP_1) | instskip(NEXT) | instid1(VALU_DEP_1)
	v_min_u32_e32 v4, 32, v2
	v_subrev_nc_u32_e32 v2, 28, v4
	v_sub_nc_u32_e32 v123, 29, v4
	s_delay_alu instid0(VALU_DEP_2) | instskip(NEXT) | instid1(VALU_DEP_1)
	v_lshlrev_b64 v[2:3], v2, v[9:10]
	v_and_b32_e32 v2, 7, v2
; %bb.2684:                             ;   in Loop: Header=BB413_1192 Depth=1
	s_or_b32 exec_lo, exec_lo, s17
	v_lshlrev_b32_e32 v3, 24, v122
	s_delay_alu instid0(VALU_DEP_2) | instskip(SKIP_1) | instid1(VALU_DEP_3)
	v_lshlrev_b32_e32 v2, 20, v2
	v_lshl_add_u32 v4, v123, 23, 0x3c000000
	v_and_b32_e32 v3, 0x80000000, v3
	s_delay_alu instid0(VALU_DEP_1)
	v_or3_b32 v2, v2, v3, v4
.LBB413_2685:                           ;   in Loop: Header=BB413_1192 Depth=1
	s_or_b32 exec_lo, exec_lo, s15
.LBB413_2686:                           ;   in Loop: Header=BB413_1192 Depth=1
	s_delay_alu instid0(SALU_CYCLE_1)
	s_or_b32 exec_lo, exec_lo, s13
.LBB413_2687:                           ;   in Loop: Header=BB413_1192 Depth=1
	s_delay_alu instid0(SALU_CYCLE_1) | instskip(NEXT) | instid1(VALU_DEP_1)
	s_or_b32 exec_lo, exec_lo, s12
	v_mul_f32_e32 v2, v8, v2
                                        ; implicit-def: $vgpr122
	s_delay_alu instid0(VALU_DEP_1) | instskip(NEXT) | instid1(VALU_DEP_1)
	v_and_b32_e32 v3, 0x7f800000, v2
	v_cmp_ne_u32_e64 s0, 0x7f800000, v3
	s_delay_alu instid0(VALU_DEP_1) | instskip(NEXT) | instid1(SALU_CYCLE_1)
	s_and_saveexec_b32 s12, s0
	s_xor_b32 s0, exec_lo, s12
; %bb.2688:                             ;   in Loop: Header=BB413_1192 Depth=1
	v_bfe_u32 v3, v2, 16, 1
	s_delay_alu instid0(VALU_DEP_1)
	v_add3_u32 v122, v2, v3, 0x7fff
                                        ; implicit-def: $vgpr2
; %bb.2689:                             ;   in Loop: Header=BB413_1192 Depth=1
	s_and_not1_saveexec_b32 s12, s0
; %bb.2690:                             ;   in Loop: Header=BB413_1192 Depth=1
	v_and_b32_e32 v3, 0xffff, v2
	v_or_b32_e32 v4, 0x10000, v2
	s_delay_alu instid0(VALU_DEP_2) | instskip(NEXT) | instid1(VALU_DEP_1)
	v_cmp_eq_u32_e64 s0, 0, v3
	v_cndmask_b32_e64 v122, v4, v2, s0
; %bb.2691:                             ;   in Loop: Header=BB413_1192 Depth=1
	s_or_b32 exec_lo, exec_lo, s12
	v_mov_b32_e32 v2, 0
	s_mov_b32 s12, exec_lo
	v_cmpx_lt_u32_e32 0xffffff, v0
	s_cbranch_execz .LBB413_2699
; %bb.2692:                             ;   in Loop: Header=BB413_1192 Depth=1
	v_lshrrev_b32_e32 v123, 24, v0
	v_bfrev_b32_e32 v2, 1
	s_mov_b32 s13, exec_lo
	s_delay_alu instid0(VALU_DEP_2)
	v_cmpx_ne_u32_e32 0x80, v123
	s_cbranch_execz .LBB413_2698
; %bb.2693:                             ;   in Loop: Header=BB413_1192 Depth=1
	v_bfe_u32 v3, v0, 24, 7
	v_mov_b32_e32 v2, 0x7f800001
	s_mov_b32 s15, exec_lo
	s_delay_alu instid0(VALU_DEP_2)
	v_cmpx_ne_u32_e32 0x7f, v3
	s_cbranch_execz .LBB413_2697
; %bb.2694:                             ;   in Loop: Header=BB413_1192 Depth=1
	v_and_b32_e32 v9, 7, v123
	v_lshrrev_b32_e32 v124, 3, v3
	v_cmp_gt_u32_e64 s0, 8, v3
	s_delay_alu instid0(VALU_DEP_3) | instskip(NEXT) | instid1(VALU_DEP_2)
	v_dual_mov_b32 v2, v9 :: v_dual_mov_b32 v3, v10
	s_and_saveexec_b32 s17, s0
; %bb.2695:                             ;   in Loop: Header=BB413_1192 Depth=1
	v_clz_i32_u32_e32 v2, v9
	s_delay_alu instid0(VALU_DEP_1) | instskip(NEXT) | instid1(VALU_DEP_1)
	v_min_u32_e32 v4, 32, v2
	v_subrev_nc_u32_e32 v2, 28, v4
	v_sub_nc_u32_e32 v124, 29, v4
	s_delay_alu instid0(VALU_DEP_2) | instskip(NEXT) | instid1(VALU_DEP_1)
	v_lshlrev_b64 v[2:3], v2, v[9:10]
	v_and_b32_e32 v2, 7, v2
; %bb.2696:                             ;   in Loop: Header=BB413_1192 Depth=1
	s_or_b32 exec_lo, exec_lo, s17
	v_lshlrev_b32_e32 v3, 24, v123
	s_delay_alu instid0(VALU_DEP_2) | instskip(SKIP_1) | instid1(VALU_DEP_3)
	v_lshlrev_b32_e32 v2, 20, v2
	v_lshl_add_u32 v4, v124, 23, 0x3c000000
	v_and_b32_e32 v3, 0x80000000, v3
	s_delay_alu instid0(VALU_DEP_1)
	v_or3_b32 v2, v2, v3, v4
.LBB413_2697:                           ;   in Loop: Header=BB413_1192 Depth=1
	s_or_b32 exec_lo, exec_lo, s15
.LBB413_2698:                           ;   in Loop: Header=BB413_1192 Depth=1
	s_delay_alu instid0(SALU_CYCLE_1)
	s_or_b32 exec_lo, exec_lo, s13
.LBB413_2699:                           ;   in Loop: Header=BB413_1192 Depth=1
	s_delay_alu instid0(SALU_CYCLE_1) | instskip(NEXT) | instid1(VALU_DEP_1)
	s_or_b32 exec_lo, exec_lo, s12
	v_mul_f32_e32 v2, v8, v2
                                        ; implicit-def: $vgpr123
	s_delay_alu instid0(VALU_DEP_1) | instskip(NEXT) | instid1(VALU_DEP_1)
	v_and_b32_e32 v3, 0x7f800000, v2
	v_cmp_ne_u32_e64 s0, 0x7f800000, v3
	s_delay_alu instid0(VALU_DEP_1) | instskip(NEXT) | instid1(SALU_CYCLE_1)
	s_and_saveexec_b32 s12, s0
	s_xor_b32 s0, exec_lo, s12
; %bb.2700:                             ;   in Loop: Header=BB413_1192 Depth=1
	v_bfe_u32 v3, v2, 16, 1
	s_delay_alu instid0(VALU_DEP_1)
	v_add3_u32 v123, v2, v3, 0x7fff
                                        ; implicit-def: $vgpr2
; %bb.2701:                             ;   in Loop: Header=BB413_1192 Depth=1
	s_and_not1_saveexec_b32 s12, s0
; %bb.2702:                             ;   in Loop: Header=BB413_1192 Depth=1
	v_and_b32_e32 v3, 0xffff, v2
	v_or_b32_e32 v4, 0x10000, v2
	s_delay_alu instid0(VALU_DEP_2) | instskip(NEXT) | instid1(VALU_DEP_1)
	v_cmp_eq_u32_e64 s0, 0, v3
	v_cndmask_b32_e64 v123, v4, v2, s0
; %bb.2703:                             ;   in Loop: Header=BB413_1192 Depth=1
	s_or_b32 exec_lo, exec_lo, s12
	v_dual_mov_b32 v2, 0 :: v_dual_and_b32 v3, 0xff, v1
	v_mov_b32_e32 v9, v1
	s_mov_b32 s12, exec_lo
	s_delay_alu instid0(VALU_DEP_2)
	v_cmpx_ne_u16_e32 0, v3
	s_cbranch_execz .LBB413_2711
; %bb.2704:                             ;   in Loop: Header=BB413_1192 Depth=1
	v_bfrev_b32_e32 v2, 1
	s_mov_b32 s13, exec_lo
	v_cmpx_ne_u16_e32 0x80, v3
	s_cbranch_execz .LBB413_2710
; %bb.2705:                             ;   in Loop: Header=BB413_1192 Depth=1
	v_and_b32_e32 v3, 0x7f, v1
	v_mov_b32_e32 v2, 0x7f800001
	s_mov_b32 s15, exec_lo
	s_delay_alu instid0(VALU_DEP_2)
	v_cmpx_ne_u32_e32 0x7f, v3
	s_cbranch_execz .LBB413_2709
; %bb.2706:                             ;   in Loop: Header=BB413_1192 Depth=1
	v_lshrrev_b32_e32 v124, 3, v3
	v_cmp_gt_u32_e64 s0, 8, v3
	v_dual_mov_b32 v2, v9 :: v_dual_mov_b32 v3, v10
	s_delay_alu instid0(VALU_DEP_2)
	s_and_saveexec_b32 s17, s0
; %bb.2707:                             ;   in Loop: Header=BB413_1192 Depth=1
	v_and_b32_e32 v2, 7, v1
	s_delay_alu instid0(VALU_DEP_1) | instskip(NEXT) | instid1(VALU_DEP_1)
	v_clz_i32_u32_e32 v2, v2
	v_min_u32_e32 v4, 32, v2
	s_delay_alu instid0(VALU_DEP_1) | instskip(SKIP_1) | instid1(VALU_DEP_2)
	v_subrev_nc_u32_e32 v2, 28, v4
	v_sub_nc_u32_e32 v124, 29, v4
	v_lshlrev_b64 v[2:3], v2, v[9:10]
; %bb.2708:                             ;   in Loop: Header=BB413_1192 Depth=1
	s_or_b32 exec_lo, exec_lo, s17
	s_delay_alu instid0(VALU_DEP_1) | instskip(SKIP_2) | instid1(VALU_DEP_3)
	v_lshlrev_b32_e32 v2, 20, v2
	v_lshlrev_b32_e32 v3, 24, v9
	v_lshl_add_u32 v4, v124, 23, 0x3c000000
	v_and_b32_e32 v2, 0x700000, v2
	s_delay_alu instid0(VALU_DEP_3) | instskip(NEXT) | instid1(VALU_DEP_1)
	v_and_b32_e32 v3, 0x80000000, v3
	v_or3_b32 v2, v2, v3, v4
.LBB413_2709:                           ;   in Loop: Header=BB413_1192 Depth=1
	s_or_b32 exec_lo, exec_lo, s15
.LBB413_2710:                           ;   in Loop: Header=BB413_1192 Depth=1
	s_delay_alu instid0(SALU_CYCLE_1)
	s_or_b32 exec_lo, exec_lo, s13
.LBB413_2711:                           ;   in Loop: Header=BB413_1192 Depth=1
	s_delay_alu instid0(SALU_CYCLE_1) | instskip(NEXT) | instid1(VALU_DEP_1)
	s_or_b32 exec_lo, exec_lo, s12
	v_mul_f32_e32 v2, v8, v2
                                        ; implicit-def: $vgpr124
	s_delay_alu instid0(VALU_DEP_1) | instskip(NEXT) | instid1(VALU_DEP_1)
	v_and_b32_e32 v3, 0x7f800000, v2
	v_cmp_ne_u32_e64 s0, 0x7f800000, v3
	s_delay_alu instid0(VALU_DEP_1) | instskip(NEXT) | instid1(SALU_CYCLE_1)
	s_and_saveexec_b32 s12, s0
	s_xor_b32 s0, exec_lo, s12
; %bb.2712:                             ;   in Loop: Header=BB413_1192 Depth=1
	v_bfe_u32 v3, v2, 16, 1
	s_delay_alu instid0(VALU_DEP_1)
	v_add3_u32 v124, v2, v3, 0x7fff
                                        ; implicit-def: $vgpr2
; %bb.2713:                             ;   in Loop: Header=BB413_1192 Depth=1
	s_and_not1_saveexec_b32 s12, s0
; %bb.2714:                             ;   in Loop: Header=BB413_1192 Depth=1
	v_and_b32_e32 v3, 0xffff, v2
	v_or_b32_e32 v4, 0x10000, v2
	s_delay_alu instid0(VALU_DEP_2) | instskip(NEXT) | instid1(VALU_DEP_1)
	v_cmp_eq_u32_e64 s0, 0, v3
	v_cndmask_b32_e64 v124, v4, v2, s0
; %bb.2715:                             ;   in Loop: Header=BB413_1192 Depth=1
	s_or_b32 exec_lo, exec_lo, s12
	v_lshrrev_b16 v3, 8, v9
	v_mov_b32_e32 v2, 0
	s_mov_b32 s12, exec_lo
	s_delay_alu instid0(VALU_DEP_2)
	v_cmpx_ne_u16_e32 0, v3
	s_cbranch_execz .LBB413_2723
; %bb.2716:                             ;   in Loop: Header=BB413_1192 Depth=1
	v_bfrev_b32_e32 v2, 1
	s_mov_b32 s13, exec_lo
	v_cmpx_ne_u16_e32 0x80, v3
	s_cbranch_execz .LBB413_2722
; %bb.2717:                             ;   in Loop: Header=BB413_1192 Depth=1
	v_and_b32_e32 v3, 0xffff, v3
	v_mov_b32_e32 v2, 0x7f800001
	s_mov_b32 s15, exec_lo
	s_delay_alu instid0(VALU_DEP_2) | instskip(NEXT) | instid1(VALU_DEP_1)
	v_and_b32_e32 v126, 0x7f, v3
	v_cmpx_ne_u32_e32 0x7f, v126
	s_cbranch_execz .LBB413_2721
; %bb.2718:                             ;   in Loop: Header=BB413_1192 Depth=1
	v_dual_mov_b32 v3, v10 :: v_dual_and_b32 v2, 7, v3
	v_lshrrev_b32_e32 v125, 3, v126
	s_mov_b32 s17, exec_lo
	v_cmpx_gt_u32_e32 8, v126
; %bb.2719:                             ;   in Loop: Header=BB413_1192 Depth=1
	s_delay_alu instid0(VALU_DEP_3) | instskip(NEXT) | instid1(VALU_DEP_1)
	v_clz_i32_u32_e32 v4, v2
	v_min_u32_e32 v4, 32, v4
	s_delay_alu instid0(VALU_DEP_1) | instskip(SKIP_1) | instid1(VALU_DEP_2)
	v_subrev_nc_u32_e32 v5, 28, v4
	v_sub_nc_u32_e32 v125, 29, v4
	v_lshlrev_b64 v[2:3], v5, v[2:3]
	s_delay_alu instid0(VALU_DEP_1)
	v_and_b32_e32 v2, 7, v2
; %bb.2720:                             ;   in Loop: Header=BB413_1192 Depth=1
	s_or_b32 exec_lo, exec_lo, s17
	v_lshlrev_b32_e32 v3, 16, v9
	s_delay_alu instid0(VALU_DEP_2) | instskip(SKIP_1) | instid1(VALU_DEP_3)
	v_lshlrev_b32_e32 v2, 20, v2
	v_lshl_add_u32 v4, v125, 23, 0x3c000000
	v_and_b32_e32 v3, 0x80000000, v3
	s_delay_alu instid0(VALU_DEP_1)
	v_or3_b32 v2, v2, v3, v4
.LBB413_2721:                           ;   in Loop: Header=BB413_1192 Depth=1
	s_or_b32 exec_lo, exec_lo, s15
.LBB413_2722:                           ;   in Loop: Header=BB413_1192 Depth=1
	s_delay_alu instid0(SALU_CYCLE_1)
	s_or_b32 exec_lo, exec_lo, s13
.LBB413_2723:                           ;   in Loop: Header=BB413_1192 Depth=1
	s_delay_alu instid0(SALU_CYCLE_1) | instskip(NEXT) | instid1(VALU_DEP_1)
	s_or_b32 exec_lo, exec_lo, s12
	v_mul_f32_e32 v2, v8, v2
                                        ; implicit-def: $vgpr125
	s_delay_alu instid0(VALU_DEP_1) | instskip(NEXT) | instid1(VALU_DEP_1)
	v_and_b32_e32 v3, 0x7f800000, v2
	v_cmp_ne_u32_e64 s0, 0x7f800000, v3
	s_delay_alu instid0(VALU_DEP_1) | instskip(NEXT) | instid1(SALU_CYCLE_1)
	s_and_saveexec_b32 s12, s0
	s_xor_b32 s0, exec_lo, s12
; %bb.2724:                             ;   in Loop: Header=BB413_1192 Depth=1
	v_bfe_u32 v3, v2, 16, 1
	s_delay_alu instid0(VALU_DEP_1)
	v_add3_u32 v125, v2, v3, 0x7fff
                                        ; implicit-def: $vgpr2
; %bb.2725:                             ;   in Loop: Header=BB413_1192 Depth=1
	s_and_not1_saveexec_b32 s12, s0
; %bb.2726:                             ;   in Loop: Header=BB413_1192 Depth=1
	v_and_b32_e32 v3, 0xffff, v2
	v_or_b32_e32 v4, 0x10000, v2
	s_delay_alu instid0(VALU_DEP_2) | instskip(NEXT) | instid1(VALU_DEP_1)
	v_cmp_eq_u32_e64 s0, 0, v3
	v_cndmask_b32_e64 v125, v4, v2, s0
; %bb.2727:                             ;   in Loop: Header=BB413_1192 Depth=1
	s_or_b32 exec_lo, exec_lo, s12
	v_lshrrev_b32_e32 v126, 16, v1
	s_mov_b32 s12, exec_lo
	s_delay_alu instid0(VALU_DEP_1) | instskip(NEXT) | instid1(VALU_DEP_1)
	v_dual_mov_b32 v2, 0 :: v_dual_and_b32 v3, 0xff, v126
	v_cmpx_ne_u16_e32 0, v3
	s_cbranch_execz .LBB413_2735
; %bb.2728:                             ;   in Loop: Header=BB413_1192 Depth=1
	v_bfrev_b32_e32 v2, 1
	s_mov_b32 s13, exec_lo
	v_cmpx_ne_u16_e32 0x80, v3
	s_cbranch_execz .LBB413_2734
; %bb.2729:                             ;   in Loop: Header=BB413_1192 Depth=1
	v_bfe_u32 v3, v1, 16, 7
	v_mov_b32_e32 v2, 0x7f800001
	s_mov_b32 s15, exec_lo
	s_delay_alu instid0(VALU_DEP_2)
	v_cmpx_ne_u32_e32 0x7f, v3
	s_cbranch_execz .LBB413_2733
; %bb.2730:                             ;   in Loop: Header=BB413_1192 Depth=1
	v_and_b32_e32 v9, 7, v126
	v_lshrrev_b32_e32 v127, 3, v3
	v_cmp_gt_u32_e64 s0, 8, v3
	s_delay_alu instid0(VALU_DEP_3) | instskip(NEXT) | instid1(VALU_DEP_2)
	v_dual_mov_b32 v2, v9 :: v_dual_mov_b32 v3, v10
	s_and_saveexec_b32 s17, s0
; %bb.2731:                             ;   in Loop: Header=BB413_1192 Depth=1
	v_clz_i32_u32_e32 v2, v9
	s_delay_alu instid0(VALU_DEP_1) | instskip(NEXT) | instid1(VALU_DEP_1)
	v_min_u32_e32 v4, 32, v2
	v_subrev_nc_u32_e32 v2, 28, v4
	v_sub_nc_u32_e32 v127, 29, v4
	s_delay_alu instid0(VALU_DEP_2) | instskip(NEXT) | instid1(VALU_DEP_1)
	v_lshlrev_b64 v[2:3], v2, v[9:10]
	v_and_b32_e32 v2, 7, v2
; %bb.2732:                             ;   in Loop: Header=BB413_1192 Depth=1
	s_or_b32 exec_lo, exec_lo, s17
	v_lshlrev_b32_e32 v3, 24, v126
	s_delay_alu instid0(VALU_DEP_2) | instskip(SKIP_1) | instid1(VALU_DEP_3)
	v_lshlrev_b32_e32 v2, 20, v2
	v_lshl_add_u32 v4, v127, 23, 0x3c000000
	v_and_b32_e32 v3, 0x80000000, v3
	s_delay_alu instid0(VALU_DEP_1)
	v_or3_b32 v2, v2, v3, v4
.LBB413_2733:                           ;   in Loop: Header=BB413_1192 Depth=1
	s_or_b32 exec_lo, exec_lo, s15
.LBB413_2734:                           ;   in Loop: Header=BB413_1192 Depth=1
	s_delay_alu instid0(SALU_CYCLE_1)
	s_or_b32 exec_lo, exec_lo, s13
.LBB413_2735:                           ;   in Loop: Header=BB413_1192 Depth=1
	s_delay_alu instid0(SALU_CYCLE_1) | instskip(NEXT) | instid1(VALU_DEP_1)
	s_or_b32 exec_lo, exec_lo, s12
	v_mul_f32_e32 v3, v8, v2
	s_delay_alu instid0(VALU_DEP_1) | instskip(NEXT) | instid1(VALU_DEP_1)
	v_and_b32_e32 v2, 0x7f800000, v3
	v_cmp_ne_u32_e64 s0, 0x7f800000, v2
                                        ; implicit-def: $vgpr2
	s_delay_alu instid0(VALU_DEP_1) | instskip(NEXT) | instid1(SALU_CYCLE_1)
	s_and_saveexec_b32 s12, s0
	s_xor_b32 s0, exec_lo, s12
; %bb.2736:                             ;   in Loop: Header=BB413_1192 Depth=1
	v_bfe_u32 v2, v3, 16, 1
	s_delay_alu instid0(VALU_DEP_1)
	v_add3_u32 v2, v3, v2, 0x7fff
                                        ; implicit-def: $vgpr3
; %bb.2737:                             ;   in Loop: Header=BB413_1192 Depth=1
	s_and_not1_saveexec_b32 s12, s0
; %bb.2738:                             ;   in Loop: Header=BB413_1192 Depth=1
	v_and_b32_e32 v2, 0xffff, v3
	v_or_b32_e32 v4, 0x10000, v3
	s_delay_alu instid0(VALU_DEP_2) | instskip(NEXT) | instid1(VALU_DEP_1)
	v_cmp_eq_u32_e64 s0, 0, v2
	v_cndmask_b32_e64 v2, v4, v3, s0
; %bb.2739:                             ;   in Loop: Header=BB413_1192 Depth=1
	s_or_b32 exec_lo, exec_lo, s12
	v_cmp_lt_u64_e64 s0, s[8:9], v[0:1]
	v_mov_b32_e32 v0, 0
	s_delay_alu instid0(VALU_DEP_2)
	s_and_saveexec_b32 s12, s0
	s_cbranch_execz .LBB413_2747
; %bb.2740:                             ;   in Loop: Header=BB413_1192 Depth=1
	v_lshrrev_b32_e32 v3, 24, v1
	v_bfrev_b32_e32 v0, 1
	s_mov_b32 s13, exec_lo
	s_delay_alu instid0(VALU_DEP_2)
	v_cmpx_ne_u32_e32 0x80, v3
	s_cbranch_execz .LBB413_2746
; %bb.2741:                             ;   in Loop: Header=BB413_1192 Depth=1
	v_bfe_u32 v1, v1, 24, 7
	v_mov_b32_e32 v0, 0x7f800001
	s_mov_b32 s15, exec_lo
	s_delay_alu instid0(VALU_DEP_2)
	v_cmpx_ne_u32_e32 0x7f, v1
	s_cbranch_execz .LBB413_2745
; %bb.2742:                             ;   in Loop: Header=BB413_1192 Depth=1
	v_and_b32_e32 v9, 7, v3
	v_lshrrev_b32_e32 v126, 3, v1
	v_cmp_gt_u32_e64 s0, 8, v1
	s_delay_alu instid0(VALU_DEP_3) | instskip(NEXT) | instid1(VALU_DEP_2)
	v_dual_mov_b32 v0, v9 :: v_dual_mov_b32 v1, v10
	s_and_saveexec_b32 s17, s0
; %bb.2743:                             ;   in Loop: Header=BB413_1192 Depth=1
	v_clz_i32_u32_e32 v0, v9
	s_delay_alu instid0(VALU_DEP_1) | instskip(NEXT) | instid1(VALU_DEP_1)
	v_min_u32_e32 v4, 32, v0
	v_subrev_nc_u32_e32 v0, 28, v4
	v_sub_nc_u32_e32 v126, 29, v4
	s_delay_alu instid0(VALU_DEP_2) | instskip(NEXT) | instid1(VALU_DEP_1)
	v_lshlrev_b64 v[0:1], v0, v[9:10]
	v_and_b32_e32 v0, 7, v0
; %bb.2744:                             ;   in Loop: Header=BB413_1192 Depth=1
	s_or_b32 exec_lo, exec_lo, s17
	v_lshlrev_b32_e32 v1, 24, v3
	s_delay_alu instid0(VALU_DEP_2) | instskip(SKIP_1) | instid1(VALU_DEP_3)
	v_lshlrev_b32_e32 v0, 20, v0
	v_lshl_add_u32 v3, v126, 23, 0x3c000000
	v_and_b32_e32 v1, 0x80000000, v1
	s_delay_alu instid0(VALU_DEP_1)
	v_or3_b32 v0, v0, v1, v3
.LBB413_2745:                           ;   in Loop: Header=BB413_1192 Depth=1
	s_or_b32 exec_lo, exec_lo, s15
.LBB413_2746:                           ;   in Loop: Header=BB413_1192 Depth=1
	s_delay_alu instid0(SALU_CYCLE_1)
	s_or_b32 exec_lo, exec_lo, s13
.LBB413_2747:                           ;   in Loop: Header=BB413_1192 Depth=1
	s_delay_alu instid0(SALU_CYCLE_1) | instskip(NEXT) | instid1(VALU_DEP_1)
	s_or_b32 exec_lo, exec_lo, s12
	v_mul_f32_e32 v0, v8, v0
                                        ; implicit-def: $vgpr126
	s_delay_alu instid0(VALU_DEP_1) | instskip(NEXT) | instid1(VALU_DEP_1)
	v_and_b32_e32 v1, 0x7f800000, v0
	v_cmp_ne_u32_e64 s0, 0x7f800000, v1
	s_delay_alu instid0(VALU_DEP_1) | instskip(NEXT) | instid1(SALU_CYCLE_1)
	s_and_saveexec_b32 s12, s0
	s_xor_b32 s0, exec_lo, s12
; %bb.2748:                             ;   in Loop: Header=BB413_1192 Depth=1
	v_bfe_u32 v1, v0, 16, 1
	s_delay_alu instid0(VALU_DEP_1)
	v_add3_u32 v126, v0, v1, 0x7fff
                                        ; implicit-def: $vgpr0
; %bb.2749:                             ;   in Loop: Header=BB413_1192 Depth=1
	s_and_not1_saveexec_b32 s12, s0
; %bb.2750:                             ;   in Loop: Header=BB413_1192 Depth=1
	v_and_b32_e32 v1, 0xffff, v0
	v_or_b32_e32 v3, 0x10000, v0
	s_delay_alu instid0(VALU_DEP_2) | instskip(NEXT) | instid1(VALU_DEP_1)
	v_cmp_eq_u32_e64 s0, 0, v1
	v_cndmask_b32_e64 v126, v3, v0, s0
; %bb.2751:                             ;   in Loop: Header=BB413_1192 Depth=1
	s_or_b32 exec_lo, exec_lo, s12
	v_lshrrev_b32_e32 v9, 16, v125
	v_lshrrev_b32_e32 v8, 16, v124
	;; [unrolled: 1-line block ×8, first 2 shown]
	s_and_saveexec_b32 s0, vcc_lo
	s_cbranch_execz .LBB413_2753
; %bb.2752:                             ;   in Loop: Header=BB413_1192 Depth=1
	v_cmp_lt_i32_e32 vcc_lo, v66, v85
	v_cndmask_b32_e32 v0, 0, v0, vcc_lo
	v_cmp_lt_i32_e32 vcc_lo, v81, v85
	v_cndmask_b32_e32 v1, 0, v1, vcc_lo
	v_cmp_lt_i32_e32 vcc_lo, v80, v85
	v_cndmask_b32_e32 v122, 0, v122, vcc_lo
	v_cmp_lt_i32_e32 vcc_lo, v71, v85
	v_cndmask_b32_e32 v3, 0, v3, vcc_lo
	v_cmp_lt_i32_e32 vcc_lo, v70, v85
	v_cndmask_b32_e32 v8, 0, v8, vcc_lo
	v_cmp_lt_i32_e32 vcc_lo, v69, v85
	v_cndmask_b32_e32 v9, 0, v9, vcc_lo
	v_cmp_lt_i32_e32 vcc_lo, v68, v85
	v_cndmask_b32_e32 v121, 0, v121, vcc_lo
	v_cmp_lt_i32_e32 vcc_lo, v67, v85
	v_cndmask_b32_e32 v120, 0, v120, vcc_lo
.LBB413_2753:                           ;   in Loop: Header=BB413_1192 Depth=1
	s_or_b32 exec_lo, exec_lo, s0
	v_lshlrev_b32_e32 v0, 16, v0
	s_delay_alu instid0(VALU_DEP_1) | instskip(NEXT) | instid1(VALU_DEP_1)
	v_mul_f32_e32 v2, v82, v0
	v_and_b32_e32 v0, 0x7f800000, v2
	s_delay_alu instid0(VALU_DEP_1) | instskip(SKIP_1) | instid1(SALU_CYCLE_1)
	v_cmp_ne_u32_e32 vcc_lo, 0x7f800000, v0
                                        ; implicit-def: $vgpr0
	s_and_saveexec_b32 s0, vcc_lo
	s_xor_b32 s0, exec_lo, s0
; %bb.2754:                             ;   in Loop: Header=BB413_1192 Depth=1
	v_bfe_u32 v0, v2, 16, 1
	s_delay_alu instid0(VALU_DEP_1)
	v_add3_u32 v0, v2, v0, 0x7fff
                                        ; implicit-def: $vgpr2
; %bb.2755:                             ;   in Loop: Header=BB413_1192 Depth=1
	s_and_not1_saveexec_b32 s0, s0
; %bb.2756:                             ;   in Loop: Header=BB413_1192 Depth=1
	v_and_b32_e32 v0, 0xffff, v2
	v_or_b32_e32 v4, 0x10000, v2
	s_delay_alu instid0(VALU_DEP_2) | instskip(NEXT) | instid1(VALU_DEP_2)
	v_cmp_eq_u32_e32 vcc_lo, 0, v0
	v_cndmask_b32_e32 v0, v4, v2, vcc_lo
; %bb.2757:                             ;   in Loop: Header=BB413_1192 Depth=1
	s_or_b32 exec_lo, exec_lo, s0
	v_lshlrev_b32_e32 v1, 16, v1
	s_delay_alu instid0(VALU_DEP_1) | instskip(NEXT) | instid1(VALU_DEP_1)
	v_mul_f32_e32 v2, v83, v1
	v_and_b32_e32 v1, 0x7f800000, v2
	s_delay_alu instid0(VALU_DEP_1) | instskip(SKIP_1) | instid1(SALU_CYCLE_1)
	v_cmp_ne_u32_e32 vcc_lo, 0x7f800000, v1
                                        ; implicit-def: $vgpr1
	s_and_saveexec_b32 s0, vcc_lo
	s_xor_b32 s0, exec_lo, s0
; %bb.2758:                             ;   in Loop: Header=BB413_1192 Depth=1
	v_bfe_u32 v1, v2, 16, 1
	s_delay_alu instid0(VALU_DEP_1)
	v_add3_u32 v1, v2, v1, 0x7fff
                                        ; implicit-def: $vgpr2
; %bb.2759:                             ;   in Loop: Header=BB413_1192 Depth=1
	s_and_not1_saveexec_b32 s0, s0
; %bb.2760:                             ;   in Loop: Header=BB413_1192 Depth=1
	v_and_b32_e32 v1, 0xffff, v2
	v_or_b32_e32 v4, 0x10000, v2
	s_delay_alu instid0(VALU_DEP_2) | instskip(NEXT) | instid1(VALU_DEP_2)
	v_cmp_eq_u32_e32 vcc_lo, 0, v1
	v_cndmask_b32_e32 v1, v4, v2, vcc_lo
; %bb.2761:                             ;   in Loop: Header=BB413_1192 Depth=1
	s_or_b32 exec_lo, exec_lo, s0
	v_lshlrev_b32_e32 v2, 16, v122
	s_delay_alu instid0(VALU_DEP_1) | instskip(NEXT) | instid1(VALU_DEP_1)
	v_mul_f32_e32 v66, v100, v2
	v_and_b32_e32 v2, 0x7f800000, v66
	s_delay_alu instid0(VALU_DEP_1) | instskip(SKIP_1) | instid1(SALU_CYCLE_1)
	v_cmp_ne_u32_e32 vcc_lo, 0x7f800000, v2
                                        ; implicit-def: $vgpr2
	s_and_saveexec_b32 s0, vcc_lo
	s_xor_b32 s0, exec_lo, s0
; %bb.2762:                             ;   in Loop: Header=BB413_1192 Depth=1
	v_bfe_u32 v2, v66, 16, 1
	s_delay_alu instid0(VALU_DEP_1)
	v_add3_u32 v2, v66, v2, 0x7fff
                                        ; implicit-def: $vgpr66
; %bb.2763:                             ;   in Loop: Header=BB413_1192 Depth=1
	s_and_not1_saveexec_b32 s0, s0
; %bb.2764:                             ;   in Loop: Header=BB413_1192 Depth=1
	v_and_b32_e32 v2, 0xffff, v66
	v_or_b32_e32 v4, 0x10000, v66
	s_delay_alu instid0(VALU_DEP_2) | instskip(NEXT) | instid1(VALU_DEP_2)
	v_cmp_eq_u32_e32 vcc_lo, 0, v2
	v_cndmask_b32_e32 v2, v4, v66, vcc_lo
; %bb.2765:                             ;   in Loop: Header=BB413_1192 Depth=1
	s_or_b32 exec_lo, exec_lo, s0
	v_lshlrev_b32_e32 v3, 16, v3
	s_delay_alu instid0(VALU_DEP_1) | instskip(NEXT) | instid1(VALU_DEP_1)
	v_mul_f32_e32 v66, v101, v3
	v_and_b32_e32 v3, 0x7f800000, v66
	s_delay_alu instid0(VALU_DEP_1) | instskip(SKIP_1) | instid1(SALU_CYCLE_1)
	v_cmp_ne_u32_e32 vcc_lo, 0x7f800000, v3
                                        ; implicit-def: $vgpr3
	s_and_saveexec_b32 s0, vcc_lo
	s_xor_b32 s0, exec_lo, s0
; %bb.2766:                             ;   in Loop: Header=BB413_1192 Depth=1
	v_bfe_u32 v3, v66, 16, 1
	s_delay_alu instid0(VALU_DEP_1)
	v_add3_u32 v3, v66, v3, 0x7fff
                                        ; implicit-def: $vgpr66
; %bb.2767:                             ;   in Loop: Header=BB413_1192 Depth=1
	s_and_not1_saveexec_b32 s0, s0
; %bb.2768:                             ;   in Loop: Header=BB413_1192 Depth=1
	v_and_b32_e32 v3, 0xffff, v66
	v_or_b32_e32 v4, 0x10000, v66
	s_delay_alu instid0(VALU_DEP_2) | instskip(NEXT) | instid1(VALU_DEP_2)
	v_cmp_eq_u32_e32 vcc_lo, 0, v3
	v_cndmask_b32_e32 v3, v4, v66, vcc_lo
; %bb.2769:                             ;   in Loop: Header=BB413_1192 Depth=1
	s_or_b32 exec_lo, exec_lo, s0
	v_lshlrev_b32_e32 v4, 16, v8
	s_mov_b32 s0, exec_lo
                                        ; implicit-def: $vgpr8
	s_delay_alu instid0(VALU_DEP_1) | instskip(NEXT) | instid1(VALU_DEP_1)
	v_mul_f32_e32 v66, v102, v4
	v_and_b32_e32 v4, 0x7f800000, v66
	s_delay_alu instid0(VALU_DEP_1)
	v_cmpx_ne_u32_e32 0x7f800000, v4
	s_xor_b32 s0, exec_lo, s0
; %bb.2770:                             ;   in Loop: Header=BB413_1192 Depth=1
	v_bfe_u32 v4, v66, 16, 1
	s_delay_alu instid0(VALU_DEP_1)
	v_add3_u32 v8, v66, v4, 0x7fff
                                        ; implicit-def: $vgpr66
; %bb.2771:                             ;   in Loop: Header=BB413_1192 Depth=1
	s_and_not1_saveexec_b32 s0, s0
; %bb.2772:                             ;   in Loop: Header=BB413_1192 Depth=1
	v_and_b32_e32 v4, 0xffff, v66
	v_or_b32_e32 v5, 0x10000, v66
	s_delay_alu instid0(VALU_DEP_2) | instskip(NEXT) | instid1(VALU_DEP_2)
	v_cmp_eq_u32_e32 vcc_lo, 0, v4
	v_cndmask_b32_e32 v8, v5, v66, vcc_lo
; %bb.2773:                             ;   in Loop: Header=BB413_1192 Depth=1
	s_or_b32 exec_lo, exec_lo, s0
	v_lshlrev_b32_e32 v4, 16, v9
	s_mov_b32 s0, exec_lo
                                        ; implicit-def: $vgpr9
	s_delay_alu instid0(VALU_DEP_1) | instskip(NEXT) | instid1(VALU_DEP_1)
	v_mul_f32_e32 v66, v103, v4
	v_and_b32_e32 v4, 0x7f800000, v66
	s_delay_alu instid0(VALU_DEP_1)
	v_cmpx_ne_u32_e32 0x7f800000, v4
	s_xor_b32 s0, exec_lo, s0
; %bb.2774:                             ;   in Loop: Header=BB413_1192 Depth=1
	v_bfe_u32 v4, v66, 16, 1
	s_delay_alu instid0(VALU_DEP_1)
	v_add3_u32 v9, v66, v4, 0x7fff
                                        ; implicit-def: $vgpr66
; %bb.2775:                             ;   in Loop: Header=BB413_1192 Depth=1
	s_and_not1_saveexec_b32 s0, s0
; %bb.2776:                             ;   in Loop: Header=BB413_1192 Depth=1
	v_and_b32_e32 v4, 0xffff, v66
	v_or_b32_e32 v5, 0x10000, v66
	s_delay_alu instid0(VALU_DEP_2) | instskip(NEXT) | instid1(VALU_DEP_2)
	v_cmp_eq_u32_e32 vcc_lo, 0, v4
	v_cndmask_b32_e32 v9, v5, v66, vcc_lo
; %bb.2777:                             ;   in Loop: Header=BB413_1192 Depth=1
	s_or_b32 exec_lo, exec_lo, s0
	v_lshlrev_b32_e32 v4, 16, v121
	s_mov_b32 s0, exec_lo
                                        ; implicit-def: $vgpr66
	s_delay_alu instid0(VALU_DEP_1) | instskip(NEXT) | instid1(VALU_DEP_1)
	v_mul_f32_e32 v67, v112, v4
	v_and_b32_e32 v4, 0x7f800000, v67
	s_delay_alu instid0(VALU_DEP_1)
	v_cmpx_ne_u32_e32 0x7f800000, v4
	s_xor_b32 s0, exec_lo, s0
; %bb.2778:                             ;   in Loop: Header=BB413_1192 Depth=1
	v_bfe_u32 v4, v67, 16, 1
	s_delay_alu instid0(VALU_DEP_1)
	v_add3_u32 v66, v67, v4, 0x7fff
                                        ; implicit-def: $vgpr67
; %bb.2779:                             ;   in Loop: Header=BB413_1192 Depth=1
	s_and_not1_saveexec_b32 s0, s0
; %bb.2780:                             ;   in Loop: Header=BB413_1192 Depth=1
	v_and_b32_e32 v4, 0xffff, v67
	v_or_b32_e32 v5, 0x10000, v67
	s_delay_alu instid0(VALU_DEP_2) | instskip(NEXT) | instid1(VALU_DEP_2)
	v_cmp_eq_u32_e32 vcc_lo, 0, v4
	v_cndmask_b32_e32 v66, v5, v67, vcc_lo
; %bb.2781:                             ;   in Loop: Header=BB413_1192 Depth=1
	s_or_b32 exec_lo, exec_lo, s0
	v_lshlrev_b32_e32 v4, 16, v120
	s_mov_b32 s0, exec_lo
                                        ; implicit-def: $vgpr67
	s_delay_alu instid0(VALU_DEP_1) | instskip(NEXT) | instid1(VALU_DEP_1)
	v_mul_f32_e32 v68, v113, v4
	v_and_b32_e32 v4, 0x7f800000, v68
	s_delay_alu instid0(VALU_DEP_1)
	v_cmpx_ne_u32_e32 0x7f800000, v4
	s_xor_b32 s0, exec_lo, s0
; %bb.2782:                             ;   in Loop: Header=BB413_1192 Depth=1
	v_bfe_u32 v4, v68, 16, 1
	s_delay_alu instid0(VALU_DEP_1)
	v_add3_u32 v67, v68, v4, 0x7fff
                                        ; implicit-def: $vgpr68
; %bb.2783:                             ;   in Loop: Header=BB413_1192 Depth=1
	s_and_not1_saveexec_b32 s0, s0
	s_cbranch_execz .LBB413_1190
; %bb.2784:                             ;   in Loop: Header=BB413_1192 Depth=1
	v_and_b32_e32 v4, 0xffff, v68
	v_or_b32_e32 v5, 0x10000, v68
	s_delay_alu instid0(VALU_DEP_2) | instskip(NEXT) | instid1(VALU_DEP_2)
	v_cmp_eq_u32_e32 vcc_lo, 0, v4
	v_cndmask_b32_e32 v67, v5, v68, vcc_lo
	s_branch .LBB413_1190
.LBB413_2785:
	s_or_b32 exec_lo, exec_lo, s10
	s_load_b32 s0, s[2:3], 0x0
	s_waitcnt lgkmcnt(0)
	v_mov_b32_e32 v37, s0
.LBB413_2786:
	s_or_b32 exec_lo, exec_lo, s7
	ds_bpermute_b32 v1, v17, v35
	ds_bpermute_b32 v5, v17, v31
	;; [unrolled: 1-line block ×12, first 2 shown]
	s_mov_b32 s0, exec_lo
	s_waitcnt lgkmcnt(0)
	s_waitcnt_vscnt null, 0x0
	s_barrier
	buffer_gl0_inv
	v_add_f32_e32 v14, v35, v1
	v_add_f32_e32 v10, v31, v5
	v_lshrrev_b32_e32 v1, 1, v16
	v_lshrrev_b32_e32 v5, 5, v84
	v_dual_add_f32 v0, v36, v0 :: v_dual_add_f32 v13, v34, v2
	v_dual_add_f32 v12, v33, v3 :: v_dual_add_f32 v11, v32, v4
	;; [unrolled: 1-line block ×3, first 2 shown]
	v_add_f32_e32 v3, v19, v21
	v_dual_add_f32 v7, v25, v15 :: v_dual_add_f32 v6, v24, v20
	v_and_b32_e32 v4, 0x3c1, v84
	v_add_f32_e32 v2, v18, v17
	v_mad_u32_u24 v15, 0x300, v5, v37
	v_lshlrev_b32_e32 v16, 2, v1
	s_delay_alu instid0(VALU_DEP_4)
	v_cmpx_eq_u32_e32 64, v4
	s_cbranch_execz .LBB413_2788
; %bb.2787:
	s_delay_alu instid0(VALU_DEP_2)
	v_add3_u32 v4, v15, v16, 0xfffffa00
	ds_store_2addr_b32 v4, v0, v14 offset1:16
	ds_store_2addr_b32 v4, v13, v12 offset0:32 offset1:48
	ds_store_2addr_b32 v4, v11, v10 offset0:64 offset1:80
	;; [unrolled: 1-line block ×5, first 2 shown]
.LBB413_2788:
	s_or_b32 exec_lo, exec_lo, s0
	v_and_b32_e32 v4, 1, v84
	v_cmp_gt_u32_e64 s0, 64, v84
	s_waitcnt lgkmcnt(0)
	s_barrier
	buffer_gl0_inv
	v_cmp_eq_u32_e32 vcc_lo, 0, v4
	s_mov_b32 s2, exec_lo
	s_clause 0x1
	scratch_load_b32 v5, off, s32 offset:332
	scratch_load_b32 v17, off, s32 offset:336
	s_and_b32 s0, s2, s0
	s_delay_alu instid0(SALU_CYCLE_1)
	s_mov_b32 exec_lo, s0
	s_cbranch_execz .LBB413_2803
; %bb.2789:
	s_and_saveexec_b32 s0, vcc_lo
	s_cbranch_execnz .LBB413_2872
; %bb.2790:
	s_or_b32 exec_lo, exec_lo, s0
	s_and_saveexec_b32 s0, vcc_lo
	s_cbranch_execnz .LBB413_2873
.LBB413_2791:
	s_or_b32 exec_lo, exec_lo, s0
	s_and_saveexec_b32 s0, vcc_lo
	s_cbranch_execnz .LBB413_2874
.LBB413_2792:
	s_or_b32 exec_lo, exec_lo, s0
	s_and_saveexec_b32 s0, vcc_lo
	s_cbranch_execnz .LBB413_2875
.LBB413_2793:
	s_or_b32 exec_lo, exec_lo, s0
	s_and_saveexec_b32 s0, vcc_lo
	s_cbranch_execnz .LBB413_2876
.LBB413_2794:
	s_or_b32 exec_lo, exec_lo, s0
	s_and_saveexec_b32 s0, vcc_lo
	s_cbranch_execnz .LBB413_2877
.LBB413_2795:
	s_or_b32 exec_lo, exec_lo, s0
	s_and_saveexec_b32 s0, vcc_lo
	s_cbranch_execnz .LBB413_2878
.LBB413_2796:
	s_or_b32 exec_lo, exec_lo, s0
	s_and_saveexec_b32 s0, vcc_lo
	s_cbranch_execnz .LBB413_2879
.LBB413_2797:
	s_or_b32 exec_lo, exec_lo, s0
	s_and_saveexec_b32 s0, vcc_lo
	s_cbranch_execnz .LBB413_2880
.LBB413_2798:
	s_or_b32 exec_lo, exec_lo, s0
	s_and_saveexec_b32 s0, vcc_lo
	s_cbranch_execnz .LBB413_2881
.LBB413_2799:
	s_or_b32 exec_lo, exec_lo, s0
	s_and_saveexec_b32 s0, vcc_lo
	s_cbranch_execnz .LBB413_2882
.LBB413_2800:
	s_or_b32 exec_lo, exec_lo, s0
	s_and_saveexec_b32 s0, vcc_lo
	s_cbranch_execz .LBB413_2802
.LBB413_2801:
	v_lshl_add_u32 v4, v1, 2, v15
	ds_load_b32 v4, v4 offset:704
	s_waitcnt lgkmcnt(0)
	v_add_f32_e32 v2, v4, v2
.LBB413_2802:
	s_or_b32 exec_lo, exec_lo, s0
.LBB413_2803:
	s_delay_alu instid0(SALU_CYCLE_1)
	s_or_b32 exec_lo, exec_lo, s2
	v_and_b32_e32 v4, 0x3e1, v84
	s_mov_b32 s2, exec_lo
	s_waitcnt vmcnt(0)
	s_barrier
	buffer_gl0_inv
	v_cmpx_eq_u32_e32 32, v4
	s_cbranch_execz .LBB413_2805
; %bb.2804:
	v_add3_u32 v4, v15, v16, 0xfffffd00
	ds_store_2addr_b32 v4, v0, v14 offset1:16
	ds_store_2addr_b32 v4, v13, v12 offset0:32 offset1:48
	ds_store_2addr_b32 v4, v11, v10 offset0:64 offset1:80
	;; [unrolled: 1-line block ×5, first 2 shown]
.LBB413_2805:
	s_or_b32 exec_lo, exec_lo, s2
	v_cmp_gt_u32_e64 s0, 32, v84
	s_waitcnt lgkmcnt(0)
	s_barrier
	buffer_gl0_inv
	s_and_saveexec_b32 s2, s0
	s_cbranch_execz .LBB413_2820
; %bb.2806:
	v_lshl_add_u32 v1, v1, 2, v15
	s_and_saveexec_b32 s3, vcc_lo
	s_cbranch_execnz .LBB413_2883
; %bb.2807:
	s_or_b32 exec_lo, exec_lo, s3
	s_and_saveexec_b32 s3, vcc_lo
	s_cbranch_execnz .LBB413_2884
.LBB413_2808:
	s_or_b32 exec_lo, exec_lo, s3
	s_and_saveexec_b32 s3, vcc_lo
	s_cbranch_execnz .LBB413_2885
.LBB413_2809:
	s_or_b32 exec_lo, exec_lo, s3
	s_and_saveexec_b32 s3, vcc_lo
	s_cbranch_execnz .LBB413_2886
.LBB413_2810:
	s_or_b32 exec_lo, exec_lo, s3
	s_and_saveexec_b32 s3, vcc_lo
	s_cbranch_execnz .LBB413_2887
.LBB413_2811:
	s_or_b32 exec_lo, exec_lo, s3
	s_and_saveexec_b32 s3, vcc_lo
	s_cbranch_execnz .LBB413_2888
.LBB413_2812:
	s_or_b32 exec_lo, exec_lo, s3
	s_and_saveexec_b32 s3, vcc_lo
	s_cbranch_execnz .LBB413_2889
.LBB413_2813:
	s_or_b32 exec_lo, exec_lo, s3
	s_and_saveexec_b32 s3, vcc_lo
	s_cbranch_execnz .LBB413_2890
.LBB413_2814:
	s_or_b32 exec_lo, exec_lo, s3
	s_and_saveexec_b32 s3, vcc_lo
	s_cbranch_execnz .LBB413_2891
.LBB413_2815:
	s_or_b32 exec_lo, exec_lo, s3
	s_and_saveexec_b32 s3, vcc_lo
	s_cbranch_execnz .LBB413_2892
.LBB413_2816:
	s_or_b32 exec_lo, exec_lo, s3
	s_and_saveexec_b32 s3, vcc_lo
	s_cbranch_execnz .LBB413_2893
.LBB413_2817:
	s_or_b32 exec_lo, exec_lo, s3
	s_and_saveexec_b32 s3, vcc_lo
	s_cbranch_execz .LBB413_2819
.LBB413_2818:
	ds_load_b32 v1, v1 offset:704
	s_waitcnt lgkmcnt(0)
	v_add_f32_e32 v2, v1, v2
.LBB413_2819:
	s_or_b32 exec_lo, exec_lo, s3
.LBB413_2820:
	s_delay_alu instid0(SALU_CYCLE_1)
	s_or_b32 exec_lo, exec_lo, s2
	s_barrier
	buffer_gl0_inv
	s_and_b32 exec_lo, exec_lo, s0
	s_cbranch_execz .LBB413_2871
; %bb.2821:
	s_and_b32 exec_lo, exec_lo, vcc_lo
	s_cbranch_execz .LBB413_2871
; %bb.2822:
	v_and_b32_e32 v1, 0x7f800000, v0
	s_mov_b32 s0, exec_lo
                                        ; implicit-def: $vgpr15
	s_delay_alu instid0(VALU_DEP_1)
	v_cmpx_ne_u32_e32 0x7f800000, v1
	s_xor_b32 s0, exec_lo, s0
; %bb.2823:
	v_bfe_u32 v1, v0, 16, 1
	s_delay_alu instid0(VALU_DEP_1)
	v_add3_u32 v15, v0, v1, 0x7fff
                                        ; implicit-def: $vgpr0
; %bb.2824:
	s_and_not1_saveexec_b32 s0, s0
; %bb.2825:
	v_and_b32_e32 v1, 0xffff, v0
	v_or_b32_e32 v4, 0x10000, v0
	s_delay_alu instid0(VALU_DEP_2) | instskip(NEXT) | instid1(VALU_DEP_2)
	v_cmp_eq_u32_e32 vcc_lo, 0, v1
	v_cndmask_b32_e32 v15, v4, v0, vcc_lo
; %bb.2826:
	s_or_b32 exec_lo, exec_lo, s0
	scratch_load_b32 v0, off, s32 offset:340 ; 4-byte Folded Reload
	s_mul_i32 s2, s1, s4
	s_mul_i32 s0, s6, s1
	;; [unrolled: 1-line block ×5, first 2 shown]
	s_ashr_i32 s1, s0, 31
	s_ashr_i32 s3, s2, 31
	;; [unrolled: 1-line block ×3, first 2 shown]
	s_lshl_b64 s[0:1], s[0:1], 1
	s_lshl_b64 s[2:3], s[2:3], 1
	;; [unrolled: 1-line block ×3, first 2 shown]
	s_add_u32 s0, s2, s0
	s_addc_u32 s1, s3, s1
	s_add_u32 s0, s0, s6
	s_addc_u32 s1, s1, s7
	v_add_co_u32 v1, vcc_lo, s0, v17
	v_add_co_ci_u32_e32 v4, vcc_lo, s1, v5, vcc_lo
	v_and_b32_e32 v5, 0x7f800000, v14
	s_mov_b32 s0, exec_lo
	s_waitcnt vmcnt(0)
	v_lshlrev_b32_e32 v0, 1, v0
	s_delay_alu instid0(VALU_DEP_1)
	v_add_co_u32 v0, vcc_lo, v1, v0
	v_add_co_ci_u32_e32 v1, vcc_lo, 0, v4, vcc_lo
                                        ; implicit-def: $vgpr4
	flat_store_d16_hi_b16 v[0:1], v15
	v_cmpx_ne_u32_e32 0x7f800000, v5
	s_xor_b32 s0, exec_lo, s0
; %bb.2827:
	v_bfe_u32 v4, v14, 16, 1
	s_delay_alu instid0(VALU_DEP_1)
	v_add3_u32 v4, v14, v4, 0x7fff
                                        ; implicit-def: $vgpr14
; %bb.2828:
	s_and_not1_saveexec_b32 s0, s0
; %bb.2829:
	v_and_b32_e32 v4, 0xffff, v14
	v_or_b32_e32 v5, 0x10000, v14
	s_delay_alu instid0(VALU_DEP_2) | instskip(NEXT) | instid1(VALU_DEP_2)
	v_cmp_eq_u32_e32 vcc_lo, 0, v4
	v_cndmask_b32_e32 v4, v5, v14, vcc_lo
; %bb.2830:
	s_or_b32 exec_lo, exec_lo, s0
	v_and_b32_e32 v5, 0x7f800000, v13
	s_mov_b32 s0, exec_lo
	flat_store_d16_hi_b16 v[0:1], v4 offset:32
                                        ; implicit-def: $vgpr4
	v_cmpx_ne_u32_e32 0x7f800000, v5
	s_xor_b32 s0, exec_lo, s0
; %bb.2831:
	v_bfe_u32 v4, v13, 16, 1
	s_delay_alu instid0(VALU_DEP_1)
	v_add3_u32 v4, v13, v4, 0x7fff
                                        ; implicit-def: $vgpr13
; %bb.2832:
	s_and_not1_saveexec_b32 s0, s0
; %bb.2833:
	v_and_b32_e32 v4, 0xffff, v13
	v_or_b32_e32 v5, 0x10000, v13
	s_delay_alu instid0(VALU_DEP_2) | instskip(NEXT) | instid1(VALU_DEP_2)
	v_cmp_eq_u32_e32 vcc_lo, 0, v4
	v_cndmask_b32_e32 v4, v5, v13, vcc_lo
; %bb.2834:
	s_or_b32 exec_lo, exec_lo, s0
	v_and_b32_e32 v5, 0x7f800000, v12
	s_mov_b32 s0, exec_lo
	flat_store_d16_hi_b16 v[0:1], v4 offset:64
                                        ; implicit-def: $vgpr4
	v_cmpx_ne_u32_e32 0x7f800000, v5
	s_xor_b32 s0, exec_lo, s0
; %bb.2835:
	v_bfe_u32 v4, v12, 16, 1
	s_delay_alu instid0(VALU_DEP_1)
	v_add3_u32 v4, v12, v4, 0x7fff
                                        ; implicit-def: $vgpr12
; %bb.2836:
	s_and_not1_saveexec_b32 s0, s0
; %bb.2837:
	v_and_b32_e32 v4, 0xffff, v12
	v_or_b32_e32 v5, 0x10000, v12
	s_delay_alu instid0(VALU_DEP_2) | instskip(NEXT) | instid1(VALU_DEP_2)
	v_cmp_eq_u32_e32 vcc_lo, 0, v4
	v_cndmask_b32_e32 v4, v5, v12, vcc_lo
; %bb.2838:
	s_or_b32 exec_lo, exec_lo, s0
	v_and_b32_e32 v5, 0x7f800000, v11
	s_mov_b32 s0, exec_lo
	flat_store_d16_hi_b16 v[0:1], v4 offset:96
                                        ; implicit-def: $vgpr4
	v_cmpx_ne_u32_e32 0x7f800000, v5
	s_xor_b32 s0, exec_lo, s0
; %bb.2839:
	v_bfe_u32 v4, v11, 16, 1
	s_delay_alu instid0(VALU_DEP_1)
	v_add3_u32 v4, v11, v4, 0x7fff
                                        ; implicit-def: $vgpr11
; %bb.2840:
	s_and_not1_saveexec_b32 s0, s0
; %bb.2841:
	v_and_b32_e32 v4, 0xffff, v11
	v_or_b32_e32 v5, 0x10000, v11
	s_delay_alu instid0(VALU_DEP_2) | instskip(NEXT) | instid1(VALU_DEP_2)
	v_cmp_eq_u32_e32 vcc_lo, 0, v4
	v_cndmask_b32_e32 v4, v5, v11, vcc_lo
; %bb.2842:
	s_or_b32 exec_lo, exec_lo, s0
	v_and_b32_e32 v5, 0x7f800000, v10
	s_mov_b32 s0, exec_lo
	flat_store_d16_hi_b16 v[0:1], v4 offset:128
                                        ; implicit-def: $vgpr4
	v_cmpx_ne_u32_e32 0x7f800000, v5
	s_xor_b32 s0, exec_lo, s0
; %bb.2843:
	v_bfe_u32 v4, v10, 16, 1
	s_delay_alu instid0(VALU_DEP_1)
	v_add3_u32 v4, v10, v4, 0x7fff
                                        ; implicit-def: $vgpr10
; %bb.2844:
	s_and_not1_saveexec_b32 s0, s0
; %bb.2845:
	v_and_b32_e32 v4, 0xffff, v10
	v_or_b32_e32 v5, 0x10000, v10
	s_delay_alu instid0(VALU_DEP_2) | instskip(NEXT) | instid1(VALU_DEP_2)
	v_cmp_eq_u32_e32 vcc_lo, 0, v4
	v_cndmask_b32_e32 v4, v5, v10, vcc_lo
; %bb.2846:
	s_or_b32 exec_lo, exec_lo, s0
	v_and_b32_e32 v5, 0x7f800000, v9
	s_mov_b32 s0, exec_lo
	flat_store_d16_hi_b16 v[0:1], v4 offset:160
                                        ; implicit-def: $vgpr4
	v_cmpx_ne_u32_e32 0x7f800000, v5
	s_xor_b32 s0, exec_lo, s0
; %bb.2847:
	v_bfe_u32 v4, v9, 16, 1
	s_delay_alu instid0(VALU_DEP_1)
	v_add3_u32 v4, v9, v4, 0x7fff
                                        ; implicit-def: $vgpr9
; %bb.2848:
	s_and_not1_saveexec_b32 s0, s0
; %bb.2849:
	v_and_b32_e32 v4, 0xffff, v9
	v_or_b32_e32 v5, 0x10000, v9
	s_delay_alu instid0(VALU_DEP_2) | instskip(NEXT) | instid1(VALU_DEP_2)
	v_cmp_eq_u32_e32 vcc_lo, 0, v4
	v_cndmask_b32_e32 v4, v5, v9, vcc_lo
; %bb.2850:
	s_or_b32 exec_lo, exec_lo, s0
	v_and_b32_e32 v5, 0x7f800000, v8
	s_mov_b32 s0, exec_lo
	flat_store_d16_hi_b16 v[0:1], v4 offset:192
                                        ; implicit-def: $vgpr4
	v_cmpx_ne_u32_e32 0x7f800000, v5
	s_xor_b32 s0, exec_lo, s0
; %bb.2851:
	v_bfe_u32 v4, v8, 16, 1
	s_delay_alu instid0(VALU_DEP_1)
	v_add3_u32 v4, v8, v4, 0x7fff
                                        ; implicit-def: $vgpr8
; %bb.2852:
	s_and_not1_saveexec_b32 s0, s0
; %bb.2853:
	v_and_b32_e32 v4, 0xffff, v8
	v_or_b32_e32 v5, 0x10000, v8
	s_delay_alu instid0(VALU_DEP_2) | instskip(NEXT) | instid1(VALU_DEP_2)
	v_cmp_eq_u32_e32 vcc_lo, 0, v4
	v_cndmask_b32_e32 v4, v5, v8, vcc_lo
; %bb.2854:
	s_or_b32 exec_lo, exec_lo, s0
	v_and_b32_e32 v5, 0x7f800000, v7
	s_mov_b32 s0, exec_lo
	flat_store_d16_hi_b16 v[0:1], v4 offset:224
                                        ; implicit-def: $vgpr4
	v_cmpx_ne_u32_e32 0x7f800000, v5
	s_xor_b32 s0, exec_lo, s0
; %bb.2855:
	v_bfe_u32 v4, v7, 16, 1
	s_delay_alu instid0(VALU_DEP_1)
	v_add3_u32 v4, v7, v4, 0x7fff
                                        ; implicit-def: $vgpr7
; %bb.2856:
	s_and_not1_saveexec_b32 s0, s0
; %bb.2857:
	v_and_b32_e32 v4, 0xffff, v7
	v_or_b32_e32 v5, 0x10000, v7
	s_delay_alu instid0(VALU_DEP_2) | instskip(NEXT) | instid1(VALU_DEP_2)
	v_cmp_eq_u32_e32 vcc_lo, 0, v4
	v_cndmask_b32_e32 v4, v5, v7, vcc_lo
; %bb.2858:
	s_or_b32 exec_lo, exec_lo, s0
	v_and_b32_e32 v5, 0x7f800000, v6
	s_mov_b32 s0, exec_lo
	flat_store_d16_hi_b16 v[0:1], v4 offset:256
                                        ; implicit-def: $vgpr4
	v_cmpx_ne_u32_e32 0x7f800000, v5
	s_xor_b32 s0, exec_lo, s0
; %bb.2859:
	v_bfe_u32 v4, v6, 16, 1
	s_delay_alu instid0(VALU_DEP_1)
	v_add3_u32 v4, v6, v4, 0x7fff
                                        ; implicit-def: $vgpr6
; %bb.2860:
	s_and_not1_saveexec_b32 s0, s0
; %bb.2861:
	v_and_b32_e32 v4, 0xffff, v6
	v_or_b32_e32 v5, 0x10000, v6
	s_delay_alu instid0(VALU_DEP_2) | instskip(NEXT) | instid1(VALU_DEP_2)
	v_cmp_eq_u32_e32 vcc_lo, 0, v4
	v_cndmask_b32_e32 v4, v5, v6, vcc_lo
; %bb.2862:
	s_or_b32 exec_lo, exec_lo, s0
	v_and_b32_e32 v5, 0x7f800000, v3
	s_mov_b32 s0, exec_lo
	flat_store_d16_hi_b16 v[0:1], v4 offset:288
                                        ; implicit-def: $vgpr4
	v_cmpx_ne_u32_e32 0x7f800000, v5
	s_xor_b32 s0, exec_lo, s0
; %bb.2863:
	v_bfe_u32 v4, v3, 16, 1
	s_delay_alu instid0(VALU_DEP_1)
	v_add3_u32 v4, v3, v4, 0x7fff
                                        ; implicit-def: $vgpr3
; %bb.2864:
	s_and_not1_saveexec_b32 s0, s0
; %bb.2865:
	v_and_b32_e32 v4, 0xffff, v3
	v_or_b32_e32 v5, 0x10000, v3
	s_delay_alu instid0(VALU_DEP_2) | instskip(NEXT) | instid1(VALU_DEP_2)
	v_cmp_eq_u32_e32 vcc_lo, 0, v4
	v_cndmask_b32_e32 v4, v5, v3, vcc_lo
; %bb.2866:
	s_or_b32 exec_lo, exec_lo, s0
	v_and_b32_e32 v3, 0x7f800000, v2
	flat_store_d16_hi_b16 v[0:1], v4 offset:320
	v_cmp_ne_u32_e32 vcc_lo, 0x7f800000, v3
                                        ; implicit-def: $vgpr3
	s_and_saveexec_b32 s0, vcc_lo
	s_delay_alu instid0(SALU_CYCLE_1)
	s_xor_b32 s0, exec_lo, s0
; %bb.2867:
	v_bfe_u32 v3, v2, 16, 1
	s_delay_alu instid0(VALU_DEP_1)
	v_add3_u32 v3, v2, v3, 0x7fff
                                        ; implicit-def: $vgpr2
; %bb.2868:
	s_and_not1_saveexec_b32 s0, s0
; %bb.2869:
	v_and_b32_e32 v3, 0xffff, v2
	v_or_b32_e32 v4, 0x10000, v2
	s_delay_alu instid0(VALU_DEP_2) | instskip(NEXT) | instid1(VALU_DEP_2)
	v_cmp_eq_u32_e32 vcc_lo, 0, v3
	v_cndmask_b32_e32 v3, v4, v2, vcc_lo
; %bb.2870:
	s_or_b32 exec_lo, exec_lo, s0
	flat_store_d16_hi_b16 v[0:1], v3 offset:352
.LBB413_2871:
	s_or_b32 exec_lo, exec_lo, s5
	s_clause 0x1f
	scratch_load_b32 v191, off, s32 offset:8
	scratch_load_b32 v190, off, s32 offset:12
	;; [unrolled: 1-line block ×32, first 2 shown]
	s_clause 0x1f
	scratch_load_b32 v127, off, s32 offset:136
	scratch_load_b32 v126, off, s32 offset:140
	;; [unrolled: 1-line block ×32, first 2 shown]
	s_clause 0xf
	scratch_load_b32 v63, off, s32 offset:264
	scratch_load_b32 v62, off, s32 offset:268
	;; [unrolled: 1-line block ×16, first 2 shown]
	s_waitcnt vmcnt(0) lgkmcnt(0)
	s_setpc_b64 s[30:31]
.LBB413_2872:
	v_lshl_add_u32 v4, v1, 2, v15
	ds_load_b32 v4, v4
	s_waitcnt lgkmcnt(0)
	v_add_f32_e32 v0, v4, v0
	s_or_b32 exec_lo, exec_lo, s0
	s_and_saveexec_b32 s0, vcc_lo
	s_cbranch_execz .LBB413_2791
.LBB413_2873:
	v_lshl_add_u32 v4, v1, 2, v15
	ds_load_b32 v4, v4 offset:64
	s_waitcnt lgkmcnt(0)
	v_add_f32_e32 v14, v4, v14
	s_or_b32 exec_lo, exec_lo, s0
	s_and_saveexec_b32 s0, vcc_lo
	s_cbranch_execz .LBB413_2792
.LBB413_2874:
	v_lshl_add_u32 v4, v1, 2, v15
	ds_load_b32 v4, v4 offset:128
	s_waitcnt lgkmcnt(0)
	v_add_f32_e32 v13, v4, v13
	s_or_b32 exec_lo, exec_lo, s0
	s_and_saveexec_b32 s0, vcc_lo
	s_cbranch_execz .LBB413_2793
.LBB413_2875:
	v_lshl_add_u32 v4, v1, 2, v15
	ds_load_b32 v4, v4 offset:192
	s_waitcnt lgkmcnt(0)
	v_add_f32_e32 v12, v4, v12
	s_or_b32 exec_lo, exec_lo, s0
	s_and_saveexec_b32 s0, vcc_lo
	s_cbranch_execz .LBB413_2794
.LBB413_2876:
	v_lshl_add_u32 v4, v1, 2, v15
	ds_load_b32 v4, v4 offset:256
	s_waitcnt lgkmcnt(0)
	v_add_f32_e32 v11, v4, v11
	s_or_b32 exec_lo, exec_lo, s0
	s_and_saveexec_b32 s0, vcc_lo
	s_cbranch_execz .LBB413_2795
.LBB413_2877:
	v_lshl_add_u32 v4, v1, 2, v15
	ds_load_b32 v4, v4 offset:320
	s_waitcnt lgkmcnt(0)
	v_add_f32_e32 v10, v4, v10
	s_or_b32 exec_lo, exec_lo, s0
	s_and_saveexec_b32 s0, vcc_lo
	s_cbranch_execz .LBB413_2796
.LBB413_2878:
	v_lshl_add_u32 v4, v1, 2, v15
	ds_load_b32 v4, v4 offset:384
	s_waitcnt lgkmcnt(0)
	v_add_f32_e32 v9, v4, v9
	s_or_b32 exec_lo, exec_lo, s0
	s_and_saveexec_b32 s0, vcc_lo
	s_cbranch_execz .LBB413_2797
.LBB413_2879:
	v_lshl_add_u32 v4, v1, 2, v15
	ds_load_b32 v4, v4 offset:448
	s_waitcnt lgkmcnt(0)
	v_add_f32_e32 v8, v4, v8
	s_or_b32 exec_lo, exec_lo, s0
	s_and_saveexec_b32 s0, vcc_lo
	s_cbranch_execz .LBB413_2798
.LBB413_2880:
	v_lshl_add_u32 v4, v1, 2, v15
	ds_load_b32 v4, v4 offset:512
	s_waitcnt lgkmcnt(0)
	v_add_f32_e32 v7, v4, v7
	s_or_b32 exec_lo, exec_lo, s0
	s_and_saveexec_b32 s0, vcc_lo
	s_cbranch_execz .LBB413_2799
.LBB413_2881:
	v_lshl_add_u32 v4, v1, 2, v15
	ds_load_b32 v4, v4 offset:576
	s_waitcnt lgkmcnt(0)
	v_add_f32_e32 v6, v4, v6
	s_or_b32 exec_lo, exec_lo, s0
	s_and_saveexec_b32 s0, vcc_lo
	s_cbranch_execz .LBB413_2800
.LBB413_2882:
	v_lshl_add_u32 v4, v1, 2, v15
	ds_load_b32 v4, v4 offset:640
	s_waitcnt lgkmcnt(0)
	v_add_f32_e32 v3, v4, v3
	s_or_b32 exec_lo, exec_lo, s0
	s_and_saveexec_b32 s0, vcc_lo
	s_cbranch_execnz .LBB413_2801
	s_branch .LBB413_2802
.LBB413_2883:
	ds_load_b32 v4, v1
	s_waitcnt lgkmcnt(0)
	v_add_f32_e32 v0, v4, v0
	s_or_b32 exec_lo, exec_lo, s3
	s_and_saveexec_b32 s3, vcc_lo
	s_cbranch_execz .LBB413_2808
.LBB413_2884:
	ds_load_b32 v4, v1 offset:64
	s_waitcnt lgkmcnt(0)
	v_add_f32_e32 v14, v4, v14
	s_or_b32 exec_lo, exec_lo, s3
	s_and_saveexec_b32 s3, vcc_lo
	s_cbranch_execz .LBB413_2809
.LBB413_2885:
	ds_load_b32 v4, v1 offset:128
	s_waitcnt lgkmcnt(0)
	v_add_f32_e32 v13, v4, v13
	s_or_b32 exec_lo, exec_lo, s3
	s_and_saveexec_b32 s3, vcc_lo
	s_cbranch_execz .LBB413_2810
.LBB413_2886:
	ds_load_b32 v4, v1 offset:192
	s_waitcnt lgkmcnt(0)
	v_add_f32_e32 v12, v4, v12
	s_or_b32 exec_lo, exec_lo, s3
	s_and_saveexec_b32 s3, vcc_lo
	s_cbranch_execz .LBB413_2811
.LBB413_2887:
	ds_load_b32 v4, v1 offset:256
	s_waitcnt lgkmcnt(0)
	v_add_f32_e32 v11, v4, v11
	s_or_b32 exec_lo, exec_lo, s3
	s_and_saveexec_b32 s3, vcc_lo
	s_cbranch_execz .LBB413_2812
.LBB413_2888:
	ds_load_b32 v4, v1 offset:320
	s_waitcnt lgkmcnt(0)
	v_add_f32_e32 v10, v4, v10
	s_or_b32 exec_lo, exec_lo, s3
	s_and_saveexec_b32 s3, vcc_lo
	s_cbranch_execz .LBB413_2813
.LBB413_2889:
	ds_load_b32 v4, v1 offset:384
	s_waitcnt lgkmcnt(0)
	v_add_f32_e32 v9, v4, v9
	s_or_b32 exec_lo, exec_lo, s3
	s_and_saveexec_b32 s3, vcc_lo
	s_cbranch_execz .LBB413_2814
.LBB413_2890:
	ds_load_b32 v4, v1 offset:448
	s_waitcnt lgkmcnt(0)
	v_add_f32_e32 v8, v4, v8
	s_or_b32 exec_lo, exec_lo, s3
	s_and_saveexec_b32 s3, vcc_lo
	s_cbranch_execz .LBB413_2815
.LBB413_2891:
	ds_load_b32 v4, v1 offset:512
	s_waitcnt lgkmcnt(0)
	v_add_f32_e32 v7, v4, v7
	s_or_b32 exec_lo, exec_lo, s3
	s_and_saveexec_b32 s3, vcc_lo
	s_cbranch_execz .LBB413_2816
.LBB413_2892:
	ds_load_b32 v4, v1 offset:576
	s_waitcnt lgkmcnt(0)
	v_add_f32_e32 v6, v4, v6
	s_or_b32 exec_lo, exec_lo, s3
	s_and_saveexec_b32 s3, vcc_lo
	s_cbranch_execz .LBB413_2817
.LBB413_2893:
	ds_load_b32 v4, v1 offset:640
	s_waitcnt lgkmcnt(0)
	v_add_f32_e32 v3, v4, v3
	s_or_b32 exec_lo, exec_lo, s3
	s_and_saveexec_b32 s3, vcc_lo
	s_cbranch_execnz .LBB413_2818
	s_branch .LBB413_2819
.Lfunc_end413:
	.size	_ZN4vllm22paged_attention_kernelI14__hip_bfloat16hLi192ELi16ELi128ELNS_18Fp8KVCacheDataTypeE1ELb1ELi512EEEvPfS3_PT_PKS4_PKT0_SA_ifPKiSC_iPKfiiiSE_SE_iiiii, .Lfunc_end413-_ZN4vllm22paged_attention_kernelI14__hip_bfloat16hLi192ELi16ELi128ELNS_18Fp8KVCacheDataTypeE1ELb1ELi512EEEvPfS3_PT_PKS4_PKT0_SA_ifPKiSC_iPKfiiiSE_SE_iiiii
                                        ; -- End function
	.section	.AMDGPU.csdata,"",@progbits
; Function info:
; codeLenInByte = 88996
; NumSgprs: 35
; NumVgprs: 192
; ScratchSize: 380
; MemoryBound: 0
	.section	.text._ZN4vllm25paged_attention_v2_kernelI14__hip_bfloat16hLi192ELi16ELi128ELNS_18Fp8KVCacheDataTypeE1ELb1ELi512EEEvPfS3_PT_PKS4_PKT0_SA_ifPKiSC_iPKfiiiSE_SE_iiiii,"axG",@progbits,_ZN4vllm25paged_attention_v2_kernelI14__hip_bfloat16hLi192ELi16ELi128ELNS_18Fp8KVCacheDataTypeE1ELb1ELi512EEEvPfS3_PT_PKS4_PKT0_SA_ifPKiSC_iPKfiiiSE_SE_iiiii,comdat
	.protected	_ZN4vllm25paged_attention_v2_kernelI14__hip_bfloat16hLi192ELi16ELi128ELNS_18Fp8KVCacheDataTypeE1ELb1ELi512EEEvPfS3_PT_PKS4_PKT0_SA_ifPKiSC_iPKfiiiSE_SE_iiiii ; -- Begin function _ZN4vllm25paged_attention_v2_kernelI14__hip_bfloat16hLi192ELi16ELi128ELNS_18Fp8KVCacheDataTypeE1ELb1ELi512EEEvPfS3_PT_PKS4_PKT0_SA_ifPKiSC_iPKfiiiSE_SE_iiiii
	.globl	_ZN4vllm25paged_attention_v2_kernelI14__hip_bfloat16hLi192ELi16ELi128ELNS_18Fp8KVCacheDataTypeE1ELb1ELi512EEEvPfS3_PT_PKS4_PKT0_SA_ifPKiSC_iPKfiiiSE_SE_iiiii
	.p2align	8
	.type	_ZN4vllm25paged_attention_v2_kernelI14__hip_bfloat16hLi192ELi16ELi128ELNS_18Fp8KVCacheDataTypeE1ELb1ELi512EEEvPfS3_PT_PKS4_PKT0_SA_ifPKiSC_iPKfiiiSE_SE_iiiii,@function
_ZN4vllm25paged_attention_v2_kernelI14__hip_bfloat16hLi192ELi16ELi128ELNS_18Fp8KVCacheDataTypeE1ELb1ELi512EEEvPfS3_PT_PKS4_PKT0_SA_ifPKiSC_iPKfiiiSE_SE_iiiii: ; @_ZN4vllm25paged_attention_v2_kernelI14__hip_bfloat16hLi192ELi16ELi128ELNS_18Fp8KVCacheDataTypeE1ELb1ELi512EEEvPfS3_PT_PKS4_PKT0_SA_ifPKiSC_iPKfiiiSE_SE_iiiii
; %bb.0:
	s_mov_b32 s12, s13
	s_clause 0x7
	s_load_b128 s[4:7], s[0:1], 0x78
	s_load_b32 s8, s[0:1], 0x88
	s_load_b256 s[24:31], s[0:1], 0x0
	s_load_b256 s[36:43], s[0:1], 0x20
	s_load_b64 s[2:3], s[0:1], 0x40
	s_load_b64 s[10:11], s[0:1], 0x50
	s_load_b32 s13, s[0:1], 0x48
	s_load_b256 s[16:23], s[0:1], 0x58
	s_mov_b32 s32, 0
	v_mov_b32_e32 v31, v0
	s_waitcnt lgkmcnt(0)
	v_dual_mov_b32 v1, s7 :: v_dual_mov_b32 v2, s8
	v_dual_mov_b32 v0, s24 :: v_dual_mov_b32 v3, s27
	v_dual_mov_b32 v4, s28 :: v_dual_mov_b32 v5, s29
	v_mov_b32_e32 v6, s30
	scratch_store_b64 off, v[1:2], s32
	v_dual_mov_b32 v1, s25 :: v_dual_mov_b32 v2, s26
	v_dual_mov_b32 v7, s31 :: v_dual_mov_b32 v8, s36
	;; [unrolled: 1-line block ×13, first 2 shown]
	s_add_u32 s8, s0, 0x90
	s_addc_u32 s9, s1, 0
	s_mov_b32 s13, s14
	s_mov_b32 s14, s15
	;; [unrolled: 1-line block ×3, first 2 shown]
	s_getpc_b64 s[0:1]
	s_add_u32 s0, s0, _ZN4vllm22paged_attention_kernelI14__hip_bfloat16hLi192ELi16ELi128ELNS_18Fp8KVCacheDataTypeE1ELb1ELi512EEEvPfS3_PT_PKS4_PKT0_SA_ifPKiSC_iPKfiiiSE_SE_iiiii@rel32@lo+4
	s_addc_u32 s1, s1, _ZN4vllm22paged_attention_kernelI14__hip_bfloat16hLi192ELi16ELi128ELNS_18Fp8KVCacheDataTypeE1ELb1ELi512EEEvPfS3_PT_PKS4_PKT0_SA_ifPKiSC_iPKfiiiSE_SE_iiiii@rel32@hi+12
	s_delay_alu instid0(SALU_CYCLE_1)
	s_swappc_b64 s[30:31], s[0:1]
	s_endpgm
	.section	.rodata,"a",@progbits
	.p2align	6, 0x0
	.amdhsa_kernel _ZN4vllm25paged_attention_v2_kernelI14__hip_bfloat16hLi192ELi16ELi128ELNS_18Fp8KVCacheDataTypeE1ELb1ELi512EEEvPfS3_PT_PKS4_PKT0_SA_ifPKiSC_iPKfiiiSE_SE_iiiii
		.amdhsa_group_segment_fixed_size 416
		.amdhsa_private_segment_fixed_size 380
		.amdhsa_kernarg_size 400
		.amdhsa_user_sgpr_count 13
		.amdhsa_user_sgpr_dispatch_ptr 0
		.amdhsa_user_sgpr_queue_ptr 0
		.amdhsa_user_sgpr_kernarg_segment_ptr 1
		.amdhsa_user_sgpr_dispatch_id 0
		.amdhsa_user_sgpr_private_segment_size 0
		.amdhsa_wavefront_size32 1
		.amdhsa_uses_dynamic_stack 0
		.amdhsa_enable_private_segment 1
		.amdhsa_system_sgpr_workgroup_id_x 1
		.amdhsa_system_sgpr_workgroup_id_y 1
		.amdhsa_system_sgpr_workgroup_id_z 1
		.amdhsa_system_sgpr_workgroup_info 0
		.amdhsa_system_vgpr_workitem_id 0
		.amdhsa_next_free_vgpr 192
		.amdhsa_next_free_sgpr 44
		.amdhsa_reserve_vcc 1
		.amdhsa_float_round_mode_32 0
		.amdhsa_float_round_mode_16_64 0
		.amdhsa_float_denorm_mode_32 3
		.amdhsa_float_denorm_mode_16_64 3
		.amdhsa_dx10_clamp 1
		.amdhsa_ieee_mode 1
		.amdhsa_fp16_overflow 0
		.amdhsa_workgroup_processor_mode 1
		.amdhsa_memory_ordered 1
		.amdhsa_forward_progress 0
		.amdhsa_shared_vgpr_count 0
		.amdhsa_exception_fp_ieee_invalid_op 0
		.amdhsa_exception_fp_denorm_src 0
		.amdhsa_exception_fp_ieee_div_zero 0
		.amdhsa_exception_fp_ieee_overflow 0
		.amdhsa_exception_fp_ieee_underflow 0
		.amdhsa_exception_fp_ieee_inexact 0
		.amdhsa_exception_int_div_zero 0
	.end_amdhsa_kernel
	.section	.text._ZN4vllm25paged_attention_v2_kernelI14__hip_bfloat16hLi192ELi16ELi128ELNS_18Fp8KVCacheDataTypeE1ELb1ELi512EEEvPfS3_PT_PKS4_PKT0_SA_ifPKiSC_iPKfiiiSE_SE_iiiii,"axG",@progbits,_ZN4vllm25paged_attention_v2_kernelI14__hip_bfloat16hLi192ELi16ELi128ELNS_18Fp8KVCacheDataTypeE1ELb1ELi512EEEvPfS3_PT_PKS4_PKT0_SA_ifPKiSC_iPKfiiiSE_SE_iiiii,comdat
.Lfunc_end414:
	.size	_ZN4vllm25paged_attention_v2_kernelI14__hip_bfloat16hLi192ELi16ELi128ELNS_18Fp8KVCacheDataTypeE1ELb1ELi512EEEvPfS3_PT_PKS4_PKT0_SA_ifPKiSC_iPKfiiiSE_SE_iiiii, .Lfunc_end414-_ZN4vllm25paged_attention_v2_kernelI14__hip_bfloat16hLi192ELi16ELi128ELNS_18Fp8KVCacheDataTypeE1ELb1ELi512EEEvPfS3_PT_PKS4_PKT0_SA_ifPKiSC_iPKfiiiSE_SE_iiiii
                                        ; -- End function
	.section	.AMDGPU.csdata,"",@progbits
; Kernel info:
; codeLenInByte = 280
; NumSgprs: 46
; NumVgprs: 192
; ScratchSize: 380
; MemoryBound: 0
; FloatMode: 240
; IeeeMode: 1
; LDSByteSize: 416 bytes/workgroup (compile time only)
; SGPRBlocks: 5
; VGPRBlocks: 23
; NumSGPRsForWavesPerEU: 46
; NumVGPRsForWavesPerEU: 192
; Occupancy: 8
; WaveLimiterHint : 1
; COMPUTE_PGM_RSRC2:SCRATCH_EN: 1
; COMPUTE_PGM_RSRC2:USER_SGPR: 13
; COMPUTE_PGM_RSRC2:TRAP_HANDLER: 0
; COMPUTE_PGM_RSRC2:TGID_X_EN: 1
; COMPUTE_PGM_RSRC2:TGID_Y_EN: 1
; COMPUTE_PGM_RSRC2:TGID_Z_EN: 1
; COMPUTE_PGM_RSRC2:TIDIG_COMP_CNT: 0
	.text
	.p2align	2                               ; -- Begin function _ZN4vllm22paged_attention_kernelI14__hip_bfloat16hLi256ELi16ELi128ELNS_18Fp8KVCacheDataTypeE1ELb1ELi512EEEvPfS3_PT_PKS4_PKT0_SA_ifPKiSC_iPKfiiiSE_SE_iiiii
	.type	_ZN4vllm22paged_attention_kernelI14__hip_bfloat16hLi256ELi16ELi128ELNS_18Fp8KVCacheDataTypeE1ELb1ELi512EEEvPfS3_PT_PKS4_PKT0_SA_ifPKiSC_iPKfiiiSE_SE_iiiii,@function
_ZN4vllm22paged_attention_kernelI14__hip_bfloat16hLi256ELi16ELi128ELNS_18Fp8KVCacheDataTypeE1ELb1ELi512EEEvPfS3_PT_PKS4_PKT0_SA_ifPKiSC_iPKfiiiSE_SE_iiiii: ; @_ZN4vllm22paged_attention_kernelI14__hip_bfloat16hLi256ELi16ELi128ELNS_18Fp8KVCacheDataTypeE1ELb1ELi512EEEvPfS3_PT_PKS4_PKT0_SA_ifPKiSC_iPKfiiiSE_SE_iiiii
; %bb.0:
	s_waitcnt vmcnt(0) expcnt(0) lgkmcnt(0)
	s_clause 0x1f
	scratch_store_b32 off, v40, s32 offset:324
	; meta instruction
	scratch_store_b32 off, v41, s32 offset:320
	; meta instruction
	;; [unrolled: 2-line block ×31, first 2 shown]
	scratch_store_b32 off, v95, s32 offset:200
	s_clause 0x1f
	scratch_store_b32 off, v104, s32 offset:196
	; meta instruction
	scratch_store_b32 off, v105, s32 offset:192
	; meta instruction
	scratch_store_b32 off, v106, s32 offset:188
	; meta instruction
	scratch_store_b32 off, v107, s32 offset:184
	; meta instruction
	scratch_store_b32 off, v108, s32 offset:180
	; meta instruction
	scratch_store_b32 off, v109, s32 offset:176
	; meta instruction
	scratch_store_b32 off, v110, s32 offset:172
	; meta instruction
	scratch_store_b32 off, v111, s32 offset:168
	; meta instruction
	scratch_store_b32 off, v120, s32 offset:164
	; meta instruction
	scratch_store_b32 off, v121, s32 offset:160
	; meta instruction
	scratch_store_b32 off, v122, s32 offset:156
	; meta instruction
	scratch_store_b32 off, v123, s32 offset:152
	; meta instruction
	scratch_store_b32 off, v124, s32 offset:148
	; meta instruction
	scratch_store_b32 off, v125, s32 offset:144
	; meta instruction
	scratch_store_b32 off, v126, s32 offset:140
	; meta instruction
	scratch_store_b32 off, v127, s32 offset:136
	; meta instruction
	scratch_store_b32 off, v136, s32 offset:132
	; meta instruction
	scratch_store_b32 off, v137, s32 offset:128
	; meta instruction
	scratch_store_b32 off, v138, s32 offset:124
	; meta instruction
	scratch_store_b32 off, v139, s32 offset:120
	; meta instruction
	scratch_store_b32 off, v140, s32 offset:116
	; meta instruction
	scratch_store_b32 off, v141, s32 offset:112
	; meta instruction
	scratch_store_b32 off, v142, s32 offset:108
	; meta instruction
	scratch_store_b32 off, v143, s32 offset:104
	; meta instruction
	scratch_store_b32 off, v152, s32 offset:100
	; meta instruction
	scratch_store_b32 off, v153, s32 offset:96
	; meta instruction
	scratch_store_b32 off, v154, s32 offset:92
	; meta instruction
	scratch_store_b32 off, v155, s32 offset:88
	; meta instruction
	scratch_store_b32 off, v156, s32 offset:84
	; meta instruction
	scratch_store_b32 off, v157, s32 offset:80
	; meta instruction
	scratch_store_b32 off, v158, s32 offset:76
	; meta instruction
	scratch_store_b32 off, v159, s32 offset:72
	s_clause 0xf
	scratch_store_b32 off, v168, s32 offset:68
	; meta instruction
	scratch_store_b32 off, v169, s32 offset:64
	; meta instruction
	;; [unrolled: 2-line block ×15, first 2 shown]
	scratch_store_b32 off, v191, s32 offset:8
	s_mov_b32 s6, s13
	s_ashr_i32 s7, s13, 31
	s_clause 0x3
	scratch_store_b64 off, v[26:27], s32 offset:380
	scratch_store_b64 off, v[24:25], s32 offset:388
	scratch_store_b32 off, v22, s32 offset:364
	scratch_store_b32 off, v13, s32 offset:412
	s_lshl_b64 s[0:1], s[6:7], 2
	v_dual_mov_b32 v22, v11 :: v_dual_mov_b32 v25, v0
	v_add_co_u32 v0, vcc_lo, v16, s0
	v_mov_b32_e32 v24, v1
	v_add_co_ci_u32_e32 v1, vcc_lo, s1, v17, vcc_lo
	s_clause 0x1
	scratch_store_b32 off, v5, s32 offset:436
	scratch_store_b32 off, v4, s32 offset:440
	flat_load_b32 v86, v[0:1]
	s_clause 0x1
	scratch_load_b32 v0, off, s32 offset:4
	scratch_load_b32 v1, off, s32
	v_dual_mov_b32 v26, v10 :: v_dual_mov_b32 v27, v3
	v_mov_b32_e32 v32, v2
	s_lshl_b32 s5, s14, 9
	s_mov_b32 s7, exec_lo
	s_waitcnt vmcnt(2) lgkmcnt(0)
	v_cmpx_lt_i32_e64 s5, v86
	s_cbranch_execz .LBB415_3799
; %bb.1:
	v_sub_nc_u32_e32 v2, 0, v12
	s_clause 0x1
	s_load_b32 s0, s[8:9], 0x10
	s_load_b32 s1, s[8:9], 0x0
	s_mov_b32 s16, s15
	v_max_i32_e32 v2, v12, v2
	s_delay_alu instid0(VALU_DEP_1) | instskip(SKIP_1) | instid1(VALU_DEP_2)
	v_cvt_f32_u32_e32 v3, v2
	v_sub_nc_u32_e32 v4, 0, v2
	v_rcp_iflag_f32_e32 v3, v3
	s_waitcnt lgkmcnt(0)
	s_lshr_b32 s0, s0, 16
	s_delay_alu instid0(SALU_CYCLE_1)
	s_cmp_lg_u32 s0, 0
	s_cselect_b32 s0, -1, 0
	s_waitcnt_depctr 0xfff
	v_mul_f32_e32 v3, 0x4f7ffffe, v3
	s_cmp_lg_u32 s0, 0
	s_addc_u32 s18, s1, 0
	s_abs_i32 s1, s12
	s_delay_alu instid0(VALU_DEP_1) | instskip(SKIP_1) | instid1(VALU_DEP_1)
	v_cvt_u32_f32_e32 v3, v3
	s_abs_i32 s0, s18
	v_mul_lo_u32 v4, v4, v3
	s_delay_alu instid0(VALU_DEP_1) | instskip(NEXT) | instid1(VALU_DEP_1)
	v_mul_hi_u32 v4, v3, v4
	v_add_nc_u32_e32 v3, v3, v4
	s_delay_alu instid0(VALU_DEP_1) | instskip(NEXT) | instid1(VALU_DEP_1)
	v_mul_hi_u32 v3, s0, v3
	v_mul_lo_u32 v4, v3, v2
	v_add_nc_u32_e32 v5, 1, v3
	s_delay_alu instid0(VALU_DEP_2) | instskip(SKIP_1) | instid1(VALU_DEP_1)
	v_sub_nc_u32_e32 v4, s0, v4
	s_mov_b32 s0, exec_lo
	v_sub_nc_u32_e32 v10, v4, v2
	v_cmp_ge_u32_e32 vcc_lo, v4, v2
	s_delay_alu instid0(VALU_DEP_2) | instskip(SKIP_1) | instid1(VALU_DEP_2)
	v_dual_cndmask_b32 v3, v3, v5 :: v_dual_cndmask_b32 v4, v4, v10
	v_xor_b32_e32 v5, s18, v12
	v_add_nc_u32_e32 v10, 1, v3
	s_delay_alu instid0(VALU_DEP_3) | instskip(NEXT) | instid1(VALU_DEP_3)
	v_cmp_ge_u32_e32 vcc_lo, v4, v2
	v_ashrrev_i32_e32 v5, 31, v5
	s_delay_alu instid0(VALU_DEP_3) | instskip(NEXT) | instid1(VALU_DEP_1)
	v_cndmask_b32_e32 v2, v3, v10, vcc_lo
	v_xor_b32_e32 v2, v2, v5
	s_delay_alu instid0(VALU_DEP_1) | instskip(NEXT) | instid1(VALU_DEP_1)
	v_sub_nc_u32_e32 v3, v2, v5
	v_sub_nc_u32_e32 v2, 0, v3
	s_delay_alu instid0(VALU_DEP_1) | instskip(NEXT) | instid1(VALU_DEP_1)
	v_max_i32_e32 v2, v3, v2
	v_cvt_f32_u32_e32 v4, v2
	v_sub_nc_u32_e32 v5, 0, v2
	s_delay_alu instid0(VALU_DEP_2) | instskip(SKIP_2) | instid1(VALU_DEP_1)
	v_rcp_iflag_f32_e32 v4, v4
	s_waitcnt_depctr 0xfff
	v_mul_f32_e32 v4, 0x4f7ffffe, v4
	v_cvt_u32_f32_e32 v4, v4
	s_delay_alu instid0(VALU_DEP_1) | instskip(NEXT) | instid1(VALU_DEP_1)
	v_mul_lo_u32 v5, v5, v4
	v_mul_hi_u32 v5, v4, v5
	s_delay_alu instid0(VALU_DEP_1) | instskip(NEXT) | instid1(VALU_DEP_1)
	v_add_nc_u32_e32 v4, v4, v5
	v_mad_u64_u32 v[16:17], null, s1, v4, 0
	v_mov_b32_e32 v4, 0
	scratch_store_b32 off, v4, s32 offset:416 ; 4-byte Folded Spill
	v_cmpx_ne_u64_e32 0, v[19:20]
	s_cbranch_execz .LBB415_3
; %bb.2:
	s_ashr_i32 s13, s12, 31
	s_delay_alu instid0(SALU_CYCLE_1) | instskip(NEXT) | instid1(SALU_CYCLE_1)
	s_lshl_b64 s[2:3], s[12:13], 2
	v_add_co_u32 v4, vcc_lo, v19, s2
	v_add_co_ci_u32_e32 v5, vcc_lo, s3, v20, vcc_lo
	flat_load_b32 v4, v[4:5]
	s_waitcnt vmcnt(0) lgkmcnt(0)
	scratch_store_b32 off, v4, s32 offset:416 ; 4-byte Folded Spill
.LBB415_3:
	s_or_b32 exec_lo, exec_lo, s0
	v_and_b32_e32 v5, 0x3ff, v31
	v_ashrrev_i32_e32 v3, 31, v3
	s_ashr_i32 s2, s12, 31
	s_lshl_b32 s10, s12, 8
	s_delay_alu instid0(VALU_DEP_2)
	v_lshrrev_b32_e32 v4, 1, v5
	v_cmp_gt_u32_e64 s0, 64, v5
	v_lshlrev_b32_e32 v20, 3, v5
	s_clause 0x1
	scratch_store_b32 off, v5, s32 offset:376
	scratch_store_b32 off, v4, s32 offset:444
	v_and_b32_e32 v4, 1, v5
	scratch_store_b32 off, v4, s32 offset:432 ; 4-byte Folded Spill
	s_and_saveexec_b32 s3, s0
	s_cbranch_execz .LBB415_5
; %bb.4:
	v_mul_lo_u32 v4, s6, v21
	s_ashr_i32 s11, s10, 31
	s_delay_alu instid0(SALU_CYCLE_1) | instskip(NEXT) | instid1(VALU_DEP_1)
	s_lshl_b64 s[20:21], s[10:11], 1
	v_ashrrev_i32_e32 v5, 31, v4
	s_delay_alu instid0(VALU_DEP_1) | instskip(NEXT) | instid1(VALU_DEP_1)
	v_lshlrev_b64 v[4:5], 1, v[4:5]
	v_add_co_u32 v4, vcc_lo, v6, v4
	s_delay_alu instid0(VALU_DEP_2) | instskip(NEXT) | instid1(VALU_DEP_2)
	v_add_co_ci_u32_e32 v5, vcc_lo, v7, v5, vcc_lo
	v_add_co_u32 v4, vcc_lo, v4, s20
	s_delay_alu instid0(VALU_DEP_2) | instskip(NEXT) | instid1(VALU_DEP_2)
	v_add_co_ci_u32_e32 v5, vcc_lo, s21, v5, vcc_lo
	v_add_co_u32 v4, vcc_lo, v4, v20
	s_delay_alu instid0(VALU_DEP_2)
	v_add_co_ci_u32_e32 v5, vcc_lo, 0, v5, vcc_lo
	flat_load_b64 v[4:5], v[4:5]
	s_clause 0x1
	scratch_load_b32 v6, off, s32 offset:376
	scratch_load_b32 v7, off, s32 offset:432
	s_waitcnt vmcnt(1)
	v_lshrrev_b32_e32 v6, 1, v6
	s_delay_alu instid0(VALU_DEP_1) | instskip(SKIP_1) | instid1(VALU_DEP_1)
	v_lshlrev_b32_e32 v6, 3, v6
	s_waitcnt vmcnt(0)
	v_lshl_add_u32 v6, v7, 8, v6
	s_waitcnt lgkmcnt(0)
	ds_store_b64 v6, v[4:5]
.LBB415_5:
	s_or_b32 exec_lo, exec_lo, s3
	s_waitcnt vmcnt(0)
	v_sub_nc_u32_e32 v4, 0, v1
	v_mul_lo_u32 v5, v17, v2
	v_xor_b32_e32 v3, s2, v3
	s_delay_alu instid0(VALU_DEP_3) | instskip(NEXT) | instid1(VALU_DEP_3)
	v_max_i32_e32 v7, v1, v4
	v_sub_nc_u32_e32 v5, s1, v5
	s_delay_alu instid0(VALU_DEP_2)
	v_cvt_f32_u32_e32 v4, v7
	scratch_store_b32 off, v7, s32 offset:336 ; 4-byte Folded Spill
	s_mov_b32 s1, exec_lo
	v_sub_nc_u32_e32 v10, v5, v2
	v_rcp_iflag_f32_e32 v4, v4
	v_cmp_ge_u32_e32 vcc_lo, v5, v2
	s_waitcnt_depctr 0xfff
	v_mul_f32_e32 v4, 0x4f7ffffe, v4
	s_delay_alu instid0(VALU_DEP_1) | instskip(SKIP_2) | instid1(VALU_DEP_2)
	v_cvt_u32_f32_e32 v6, v4
	v_sub_nc_u32_e32 v4, 0, v7
	v_add_nc_u32_e32 v7, 1, v17
	v_mul_lo_u32 v11, v4, v6
	s_delay_alu instid0(VALU_DEP_2) | instskip(NEXT) | instid1(VALU_DEP_1)
	v_dual_cndmask_b32 v7, v17, v7 :: v_dual_add_nc_u32 v4, -1, v86
	v_dual_cndmask_b32 v5, v5, v10 :: v_dual_add_nc_u32 v10, 1, v7
	s_delay_alu instid0(VALU_DEP_2) | instskip(NEXT) | instid1(VALU_DEP_4)
	v_sub_nc_u32_e32 v13, 0, v4
	v_mul_hi_u32 v11, v6, v11
	s_delay_alu instid0(VALU_DEP_3) | instskip(NEXT) | instid1(VALU_DEP_3)
	v_cmp_ge_u32_e32 vcc_lo, v5, v2
	v_max_i32_e32 v2, v4, v13
	s_delay_alu instid0(VALU_DEP_3) | instskip(NEXT) | instid1(VALU_DEP_1)
	v_dual_cndmask_b32 v5, v7, v10 :: v_dual_add_nc_u32 v10, v6, v11
	v_xor_b32_e32 v5, v5, v3
	s_delay_alu instid0(VALU_DEP_2)
	v_mad_u64_u32 v[6:7], null, v2, v10, 0
	scratch_store_b32 off, v10, s32 offset:356 ; 4-byte Folded Spill
	v_sub_nc_u32_e32 v6, v5, v3
	s_waitcnt lgkmcnt(0)
	s_waitcnt_vscnt null, 0x0
	s_barrier
	buffer_gl0_inv
                                        ; implicit-def: $vgpr3
	scratch_store_b64 off, v[3:4], s32 offset:340 ; 8-byte Folded Spill
	v_cmpx_gt_i32_e32 0, v0
	s_xor_b32 s1, exec_lo, s1
	s_cbranch_execz .LBB415_7
; %bb.6:
	v_mad_u64_u32 v[10:11], null, v28, v12, v[6:7]
                                        ; implicit-def: $vgpr28
	s_delay_alu instid0(VALU_DEP_1) | instskip(NEXT) | instid1(VALU_DEP_1)
	v_mul_lo_u32 v0, v10, v0
	v_sub_nc_u32_e32 v0, 1, v0
	scratch_store_b64 off, v[0:1], s32 offset:340 ; 8-byte Folded Spill
                                        ; implicit-def: $vgpr0
.LBB415_7:
	s_or_saveexec_b32 s1, s1
	v_ashrrev_i32_e32 v3, 31, v4
	v_ashrrev_i32_e32 v1, 31, v1
	scratch_store_b32 off, v1, s32 offset:348 ; 4-byte Folded Spill
	s_xor_b32 exec_lo, exec_lo, s1
	s_cbranch_execz .LBB415_9
; %bb.8:
	v_mad_u64_u32 v[4:5], null, s18, v28, s[12:13]
	s_delay_alu instid0(VALU_DEP_1)
	v_mad_u64_u32 v[10:11], null, v4, v0, 1
	scratch_store_b64 off, v[10:11], s32 offset:340 ; 8-byte Folded Spill
.LBB415_9:
	s_or_b32 exec_lo, exec_lo, s1
	scratch_load_b32 v11, off, s32 offset:336 ; 4-byte Folded Reload
	v_add_nc_u32_e32 v4, 1, v7
	s_clause 0x1
	s_load_b32 s15, s[8:9], 0x14
	s_load_b32 s11, s[8:9], 0x8
	s_lshl_b32 s13, s14, 5
	v_mul_lo_u32 v12, v6, v23
	s_add_i32 s1, s13, 32
	v_sub_nc_u32_e32 v21, 0, v30
	s_delay_alu instid0(VALU_DEP_2) | instskip(SKIP_2) | instid1(VALU_DEP_1)
	v_ashrrev_i32_e32 v39, 31, v12
	s_waitcnt vmcnt(0)
	v_mul_lo_u32 v0, v7, v11
	v_sub_nc_u32_e32 v2, v2, v0
	v_mul_lo_u32 v0, s6, v18
	s_delay_alu instid0(VALU_DEP_2)
	v_cmp_ge_u32_e32 vcc_lo, v2, v11
	v_add_nc_u32_e32 v1, 15, v86
	v_sub_nc_u32_e32 v10, v2, v11
	v_cndmask_b32_e32 v4, v7, v4, vcc_lo
	scratch_load_b32 v7, off, s32 offset:348 ; 4-byte Folded Reload
	v_cndmask_b32_e32 v2, v2, v10, vcc_lo
	scratch_load_b32 v10, off, s32 offset:376 ; 4-byte Folded Reload
	v_ashrrev_i32_e32 v5, 31, v1
	s_delay_alu instid0(VALU_DEP_1) | instskip(NEXT) | instid1(VALU_DEP_1)
	v_lshrrev_b32_e32 v5, 28, v5
	v_dual_mov_b32 v16, 0xff7fffff :: v_dual_add_nc_u32 v1, v1, v5
	s_delay_alu instid0(VALU_DEP_1) | instskip(SKIP_1) | instid1(VALU_DEP_1)
	v_ashrrev_i32_e32 v13, 4, v1
	v_ashrrev_i32_e32 v1, 31, v0
	v_lshlrev_b64 v[52:53], 2, v[0:1]
	s_waitcnt vmcnt(1)
	v_xor_b32_e32 v3, v3, v7
	v_add_nc_u32_e32 v7, 1, v4
	v_cmp_ge_u32_e32 vcc_lo, v2, v11
	s_waitcnt vmcnt(0)
	v_lshrrev_b32_e32 v10, 5, v10
	s_delay_alu instid0(VALU_DEP_3) | instskip(NEXT) | instid1(VALU_DEP_2)
	v_cndmask_b32_e32 v2, v4, v7, vcc_lo
	v_or_b32_e32 v5, s13, v10
	v_min_i32_e32 v4, s1, v13
	v_lshl_add_u32 v23, v10, 4, s5
	scratch_store_b32 off, v10, s32 offset:428 ; 4-byte Folded Spill
	v_xor_b32_e32 v2, v2, v3
	v_ashrrev_i32_e32 v6, 31, v5
	v_cmp_lt_i32_e64 s1, v5, v4
	s_clause 0x1
	scratch_store_b32 off, v4, s32 offset:352
	scratch_store_b64 off, v[5:6], s32 offset:328
	v_sub_nc_u32_e32 v2, v2, v3
	s_delay_alu instid0(VALU_DEP_1)
	v_sub_nc_u32_e32 v0, v2, v29
	scratch_store_b32 off, v0, s32 offset:360 ; 4-byte Folded Spill
	s_and_saveexec_b32 s19, s1
	s_cbranch_execz .LBB415_1555
; %bb.10:
	s_clause 0x9
	scratch_store_b32 off, v13, s32 offset:500
	scratch_store_b32 off, v20, s32 offset:484
	;; [unrolled: 1-line block ×10, first 2 shown]
	scratch_load_b32 v5, off, s32 offset:432 ; 4-byte Folded Reload
	v_max_i32_e32 v6, v30, v21
	scratch_load_b32 v1, off, s32 offset:376 ; 4-byte Folded Reload
	v_mov_b32_e32 v29, 0
	v_add_co_u32 v3, s2, v8, v12
	v_cvt_f32_u32_e32 v0, v6
	v_add_co_ci_u32_e64 v4, s2, v9, v39, s2
	s_ashr_i32 s17, s16, 31
	s_getpc_b64 s[8:9]
	s_add_u32 s8, s8, llvm.amdgcn.dynlds.offset.table@rel32@lo+4
	s_addc_u32 s9, s9, llvm.amdgcn.dynlds.offset.table@rel32@hi+12
	v_rcp_iflag_f32_e32 v2, v0
	s_lshl_b64 s[20:21], s[16:17], 2
	scratch_store_b32 off, v39, s32 offset:508 ; 4-byte Folded Spill
	s_add_u32 s8, s20, s8
	s_addc_u32 s9, s21, s9
	s_mov_b32 s20, 0
	scratch_load_b32 v9, off, s32 offset:428 ; 4-byte Folded Reload
	s_waitcnt vmcnt(2)
	v_lshlrev_b32_e32 v0, 2, v5
	scratch_store_b32 off, v12, s32 offset:496 ; 4-byte Folded Spill
	v_cmp_eq_u32_e32 vcc_lo, 0, v5
	v_dual_mov_b32 v5, 0xff7fffff :: v_dual_lshlrev_b32 v118, 8, v5
	scratch_store_b32 off, v0, s32 offset:400 ; 4-byte Folded Spill
	s_clause 0x1
	scratch_load_b32 v0, off, s32 offset:416
	scratch_load_b64 v[10:11], off, s32 offset:328
	s_waitcnt vmcnt(3)
	v_bfe_u32 v13, v1, 1, 4
	v_mul_f32_e32 v2, 0x4f7ffffe, v2
	s_clause 0x1
	scratch_store_b32 off, v5, s32 offset:396
	scratch_store_b32 off, v6, s32 offset:368
	v_sub_nc_u32_e32 v5, 0, v6
	s_load_b32 s17, s[8:9], 0x0
	v_lshlrev_b32_e32 v7, 2, v13
	v_cvt_u32_f32_e32 v2, v2
	v_lshlrev_b32_e32 v6, 4, v13
	v_sub_nc_u32_e32 v8, v13, v86
	s_waitcnt vmcnt(2)
	v_lshl_add_u32 v119, v9, 4, s5
	v_lshl_or_b32 v129, v9, 6, v7
	v_mul_lo_u32 v5, v5, v2
	scratch_store_b64 off, v[52:53], s32 offset:488 ; 8-byte Folded Spill
	v_mul_hi_u32 v5, v2, v5
	s_waitcnt vmcnt(1)
	v_cmp_neq_f32_e64 s2, 0, v0
	s_waitcnt vmcnt(0)
	v_lshlrev_b64 v[0:1], 2, v[10:11]
	v_mov_b32_e32 v132, v10
	s_delay_alu instid0(VALU_DEP_2) | instskip(NEXT) | instid1(VALU_DEP_1)
	v_add_co_u32 v0, s3, v52, v0
	v_add_co_ci_u32_e64 v1, s3, v53, v1, s3
	v_add_co_u32 v3, s3, v3, v6
	s_delay_alu instid0(VALU_DEP_1) | instskip(NEXT) | instid1(VALU_DEP_4)
	v_add_co_ci_u32_e64 v4, s3, 0, v4, s3
	v_add_co_u32 v70, s3, v14, v0
	s_clause 0x1
	scratch_store_b32 off, v13, s32 offset:420
	scratch_store_b64 off, v[3:4], s32 offset:404
	v_add_nc_u32_e32 v3, 1, v8
	v_add_co_ci_u32_e64 v71, s3, v15, v1, s3
	v_add_nc_u32_e32 v0, v2, v5
	s_clause 0x3
	scratch_store_b32 off, v3, s32 offset:424
	scratch_store_b32 off, v14, s32 offset:452
	;; [unrolled: 1-line block ×4, first 2 shown]
	s_branch .LBB415_13
.LBB415_11:                             ;   in Loop: Header=BB415_13 Depth=1
	s_or_b32 exec_lo, exec_lo, s21
.LBB415_12:                             ;   in Loop: Header=BB415_13 Depth=1
	s_delay_alu instid0(SALU_CYCLE_1) | instskip(SKIP_3) | instid1(VALU_DEP_1)
	s_or_b32 exec_lo, exec_lo, s4
	scratch_load_b32 v0, off, s32 offset:352 ; 4-byte Folded Reload
	v_add_nc_u32_e32 v132, 4, v132
	v_add_co_u32 v70, s4, v70, 16
	v_add_co_ci_u32_e64 v71, s4, 0, v71, s4
	v_add_nc_u32_e32 v119, 64, v119
	v_add_nc_u32_e32 v129, 0x100, v129
	s_waitcnt vmcnt(0)
	v_cmp_ge_i32_e64 s3, v132, v0
	s_delay_alu instid0(VALU_DEP_1) | instskip(NEXT) | instid1(SALU_CYCLE_1)
	s_or_b32 s20, s3, s20
	s_and_not1_b32 exec_lo, exec_lo, s20
	s_cbranch_execz .LBB415_1554
.LBB415_13:                             ; =>This Inner Loop Header: Depth=1
	s_waitcnt lgkmcnt(0)
	s_clause 0x2
	scratch_load_b32 v1, off, s32 offset:356
	scratch_load_b32 v5, off, s32 offset:348
	;; [unrolled: 1-line block ×3, first 2 shown]
	v_sub_nc_u32_e32 v0, 0, v119
	s_delay_alu instid0(VALU_DEP_1) | instskip(SKIP_1) | instid1(VALU_DEP_1)
	v_max_i32_e32 v0, v119, v0
	s_waitcnt vmcnt(2)
	v_mul_hi_u32 v1, v0, v1
	s_waitcnt vmcnt(0)
	s_delay_alu instid0(VALU_DEP_1) | instskip(NEXT) | instid1(VALU_DEP_1)
	v_mul_lo_u32 v2, v1, v4
	v_sub_nc_u32_e32 v0, v0, v2
	v_add_nc_u32_e32 v2, 1, v1
	s_delay_alu instid0(VALU_DEP_2) | instskip(SKIP_1) | instid1(VALU_DEP_1)
	v_sub_nc_u32_e32 v3, v0, v4
	v_cmp_ge_u32_e64 s3, v0, v4
	v_cndmask_b32_e64 v1, v1, v2, s3
	s_delay_alu instid0(VALU_DEP_3) | instskip(SKIP_1) | instid1(VALU_DEP_3)
	v_cndmask_b32_e64 v0, v0, v3, s3
	v_ashrrev_i32_e32 v2, 31, v119
	v_add_nc_u32_e32 v3, 1, v1
	s_delay_alu instid0(VALU_DEP_3) | instskip(NEXT) | instid1(VALU_DEP_3)
	v_cmp_ge_u32_e64 s3, v0, v4
	v_xor_b32_e32 v2, v2, v5
	scratch_load_b32 v4, off, s32 offset:368 ; 4-byte Folded Reload
	v_cndmask_b32_e64 v0, v1, v3, s3
	scratch_load_b32 v3, off, s32 offset:372 ; 4-byte Folded Reload
	v_xor_b32_e32 v0, v0, v2
	s_delay_alu instid0(VALU_DEP_1) | instskip(SKIP_3) | instid1(VALU_DEP_1)
	v_sub_nc_u32_e32 v0, v0, v2
	scratch_load_b64 v[1:2], off, s32 offset:340 ; 8-byte Folded Reload
	s_waitcnt vmcnt(0)
	v_add_nc_u32_e32 v1, v0, v1
	v_sub_nc_u32_e32 v2, 0, v1
	s_delay_alu instid0(VALU_DEP_1) | instskip(SKIP_1) | instid1(VALU_DEP_2)
	v_max_i32_e32 v2, v1, v2
	v_ashrrev_i32_e32 v1, 31, v1
	v_mul_hi_u32 v3, v2, v3
	s_delay_alu instid0(VALU_DEP_1) | instskip(NEXT) | instid1(VALU_DEP_1)
	v_mul_lo_u32 v3, v3, v4
	v_sub_nc_u32_e32 v2, v2, v3
	s_delay_alu instid0(VALU_DEP_1) | instskip(SKIP_1) | instid1(VALU_DEP_1)
	v_sub_nc_u32_e32 v3, v2, v4
	v_cmp_ge_u32_e64 s3, v2, v4
	v_cndmask_b32_e64 v2, v2, v3, s3
	s_delay_alu instid0(VALU_DEP_1) | instskip(SKIP_1) | instid1(VALU_DEP_1)
	v_sub_nc_u32_e32 v3, v2, v4
	v_cmp_ge_u32_e64 s3, v2, v4
	v_cndmask_b32_e64 v2, v2, v3, s3
	s_delay_alu instid0(VALU_DEP_1) | instskip(NEXT) | instid1(VALU_DEP_1)
	v_xor_b32_e32 v2, v2, v1
	v_sub_nc_u32_e32 v1, v2, v1
	s_delay_alu instid0(VALU_DEP_1) | instskip(SKIP_3) | instid1(VALU_DEP_1)
	v_cmp_ne_u32_e64 s3, 0, v1
	scratch_load_b32 v1, off, s32 offset:360 ; 4-byte Folded Reload
	s_waitcnt vmcnt(0)
	v_cmp_le_i32_e64 s4, v0, v1
	s_and_b32 s3, s3, s4
	s_delay_alu instid0(SALU_CYCLE_1) | instskip(NEXT) | instid1(SALU_CYCLE_1)
	s_and_b32 s21, vcc_lo, s3
	s_and_saveexec_b32 s4, s21
	s_cbranch_execz .LBB415_15
; %bb.14:                               ;   in Loop: Header=BB415_13 Depth=1
	s_waitcnt lgkmcnt(0)
	v_dual_mov_b32 v1, 0xff7fffff :: v_dual_add_nc_u32 v0, s17, v129
	ds_store_b32 v0, v1
.LBB415_15:                             ;   in Loop: Header=BB415_13 Depth=1
	s_or_b32 exec_lo, exec_lo, s4
	s_xor_b32 s3, s3, -1
	s_delay_alu instid0(SALU_CYCLE_1)
	s_and_saveexec_b32 s4, s3
	s_cbranch_execz .LBB415_12
; %bb.16:                               ;   in Loop: Header=BB415_13 Depth=1
	flat_load_b32 v2, v[70:71]
	s_clause 0x1
	scratch_load_b32 v3, off, s32 offset:364
	scratch_load_b64 v[4:5], off, s32 offset:404
	s_mov_b32 s21, exec_lo
	s_waitcnt vmcnt(0) lgkmcnt(0)
	v_mad_i64_i32 v[0:1], null, v2, v3, v[4:5]
	scratch_load_b32 v2, off, s32 offset:400 ; 4-byte Folded Reload
	s_waitcnt vmcnt(0)
	v_add_co_u32 v80, s3, v0, v2
	s_delay_alu instid0(VALU_DEP_1)
	v_add_co_ci_u32_e64 v81, s3, 0, v1, s3
	flat_load_b32 v0, v[80:81]
	scratch_load_b64 v[1:2], off, s32 offset:388 ; 8-byte Folded Reload
	s_waitcnt vmcnt(0)
	flat_load_b32 v144, v[1:2]
	ds_load_b128 v[52:55], v118
	ds_load_b128 v[48:51], v118 offset:16
	ds_load_b128 v[35:38], v118 offset:32
	;; [unrolled: 1-line block ×5, first 2 shown]
	ds_load_b32 v64, v118 offset:96
	ds_load_u16 v65, v118 offset:100
	s_waitcnt lgkmcnt(9)
	v_dual_mov_b32 v1, 0 :: v_dual_and_b32 v2, 0xff, v0
	s_delay_alu instid0(VALU_DEP_1)
	v_cmpx_ne_u16_e32 0, v2
	s_cbranch_execz .LBB415_24
; %bb.17:                               ;   in Loop: Header=BB415_13 Depth=1
	v_bfrev_b32_e32 v1, 1
	s_mov_b32 s22, exec_lo
	v_cmpx_ne_u16_e32 0x80, v2
	s_cbranch_execz .LBB415_23
; %bb.18:                               ;   in Loop: Header=BB415_13 Depth=1
	v_and_b32_e32 v2, 0x7f, v0
	v_mov_b32_e32 v1, 0x7f800001
	s_mov_b32 s23, exec_lo
	s_delay_alu instid0(VALU_DEP_2)
	v_cmpx_ne_u32_e32 0x7f, v2
	s_cbranch_execz .LBB415_22
; %bb.19:                               ;   in Loop: Header=BB415_13 Depth=1
	v_and_b32_e32 v28, 7, v0
	v_lshrrev_b32_e32 v1, 3, v2
	v_mov_b32_e32 v83, v29
	s_mov_b32 s24, exec_lo
	s_delay_alu instid0(VALU_DEP_3)
	v_mov_b32_e32 v82, v28
	v_cmpx_gt_u32_e32 8, v2
; %bb.20:                               ;   in Loop: Header=BB415_13 Depth=1
	v_clz_i32_u32_e32 v1, v28
	s_delay_alu instid0(VALU_DEP_1) | instskip(NEXT) | instid1(VALU_DEP_1)
	v_min_u32_e32 v1, 32, v1
	v_subrev_nc_u32_e32 v2, 28, v1
	v_sub_nc_u32_e32 v1, 29, v1
	s_delay_alu instid0(VALU_DEP_2) | instskip(NEXT) | instid1(VALU_DEP_1)
	v_lshlrev_b64 v[2:3], v2, v[28:29]
	v_and_b32_e32 v82, 7, v2
; %bb.21:                               ;   in Loop: Header=BB415_13 Depth=1
	s_or_b32 exec_lo, exec_lo, s24
	v_lshlrev_b32_e32 v2, 24, v0
	s_delay_alu instid0(VALU_DEP_2) | instskip(SKIP_1) | instid1(VALU_DEP_3)
	v_lshlrev_b32_e32 v3, 20, v82
	v_lshl_add_u32 v1, v1, 23, 0x3c000000
	v_and_b32_e32 v2, 0x80000000, v2
	s_delay_alu instid0(VALU_DEP_1)
	v_or3_b32 v1, v3, v2, v1
.LBB415_22:                             ;   in Loop: Header=BB415_13 Depth=1
	s_or_b32 exec_lo, exec_lo, s23
.LBB415_23:                             ;   in Loop: Header=BB415_13 Depth=1
	s_delay_alu instid0(SALU_CYCLE_1)
	s_or_b32 exec_lo, exec_lo, s22
.LBB415_24:                             ;   in Loop: Header=BB415_13 Depth=1
	s_delay_alu instid0(SALU_CYCLE_1) | instskip(SKIP_2) | instid1(VALU_DEP_1)
	s_or_b32 exec_lo, exec_lo, s21
	s_waitcnt vmcnt(0) lgkmcnt(8)
	v_mul_f32_e32 v1, v144, v1
                                        ; implicit-def: $vgpr135
	v_and_b32_e32 v2, 0x7f800000, v1
	s_delay_alu instid0(VALU_DEP_1) | instskip(NEXT) | instid1(VALU_DEP_1)
	v_cmp_ne_u32_e64 s3, 0x7f800000, v2
	s_and_saveexec_b32 s21, s3
	s_delay_alu instid0(SALU_CYCLE_1)
	s_xor_b32 s3, exec_lo, s21
; %bb.25:                               ;   in Loop: Header=BB415_13 Depth=1
	v_bfe_u32 v2, v1, 16, 1
	s_delay_alu instid0(VALU_DEP_1)
	v_add3_u32 v135, v1, v2, 0x7fff
                                        ; implicit-def: $vgpr1
; %bb.26:                               ;   in Loop: Header=BB415_13 Depth=1
	s_and_not1_saveexec_b32 s21, s3
; %bb.27:                               ;   in Loop: Header=BB415_13 Depth=1
	v_and_b32_e32 v2, 0xffff, v1
	v_or_b32_e32 v3, 0x10000, v1
	s_delay_alu instid0(VALU_DEP_2) | instskip(NEXT) | instid1(VALU_DEP_1)
	v_cmp_eq_u32_e64 s3, 0, v2
	v_cndmask_b32_e64 v135, v3, v1, s3
; %bb.28:                               ;   in Loop: Header=BB415_13 Depth=1
	s_or_b32 exec_lo, exec_lo, s21
	v_lshrrev_b16 v2, 8, v0
	v_mov_b32_e32 v1, 0
	s_mov_b32 s21, exec_lo
	s_delay_alu instid0(VALU_DEP_2)
	v_cmpx_ne_u16_e32 0, v2
	s_cbranch_execz .LBB415_36
; %bb.29:                               ;   in Loop: Header=BB415_13 Depth=1
	v_bfrev_b32_e32 v1, 1
	s_mov_b32 s22, exec_lo
	v_cmpx_ne_u16_e32 0x80, v2
	s_cbranch_execz .LBB415_35
; %bb.30:                               ;   in Loop: Header=BB415_13 Depth=1
	v_and_b32_e32 v3, 0xffff, v2
	v_mov_b32_e32 v1, 0x7f800001
	s_mov_b32 s23, exec_lo
	s_delay_alu instid0(VALU_DEP_2) | instskip(NEXT) | instid1(VALU_DEP_1)
	v_and_b32_e32 v2, 0x7f, v3
	v_cmpx_ne_u32_e32 0x7f, v2
	s_cbranch_execz .LBB415_34
; %bb.31:                               ;   in Loop: Header=BB415_13 Depth=1
	v_and_b32_e32 v28, 7, v3
	v_lshrrev_b32_e32 v1, 3, v2
	v_mov_b32_e32 v83, v29
	s_mov_b32 s24, exec_lo
	s_delay_alu instid0(VALU_DEP_3)
	v_mov_b32_e32 v82, v28
	v_cmpx_gt_u32_e32 8, v2
; %bb.32:                               ;   in Loop: Header=BB415_13 Depth=1
	v_clz_i32_u32_e32 v1, v28
	s_delay_alu instid0(VALU_DEP_1) | instskip(NEXT) | instid1(VALU_DEP_1)
	v_min_u32_e32 v1, 32, v1
	v_subrev_nc_u32_e32 v2, 28, v1
	v_sub_nc_u32_e32 v1, 29, v1
	s_delay_alu instid0(VALU_DEP_2) | instskip(NEXT) | instid1(VALU_DEP_1)
	v_lshlrev_b64 v[2:3], v2, v[28:29]
	v_and_b32_e32 v82, 7, v2
; %bb.33:                               ;   in Loop: Header=BB415_13 Depth=1
	s_or_b32 exec_lo, exec_lo, s24
	v_lshlrev_b32_e32 v2, 16, v0
	s_delay_alu instid0(VALU_DEP_2) | instskip(SKIP_1) | instid1(VALU_DEP_3)
	v_lshlrev_b32_e32 v3, 20, v82
	v_lshl_add_u32 v1, v1, 23, 0x3c000000
	v_and_b32_e32 v2, 0x80000000, v2
	s_delay_alu instid0(VALU_DEP_1)
	v_or3_b32 v1, v3, v2, v1
.LBB415_34:                             ;   in Loop: Header=BB415_13 Depth=1
	s_or_b32 exec_lo, exec_lo, s23
.LBB415_35:                             ;   in Loop: Header=BB415_13 Depth=1
	s_delay_alu instid0(SALU_CYCLE_1)
	s_or_b32 exec_lo, exec_lo, s22
.LBB415_36:                             ;   in Loop: Header=BB415_13 Depth=1
	s_delay_alu instid0(SALU_CYCLE_1) | instskip(NEXT) | instid1(VALU_DEP_1)
	s_or_b32 exec_lo, exec_lo, s21
	v_mul_f32_e32 v1, v144, v1
                                        ; implicit-def: $vgpr145
	s_delay_alu instid0(VALU_DEP_1) | instskip(NEXT) | instid1(VALU_DEP_1)
	v_and_b32_e32 v2, 0x7f800000, v1
	v_cmp_ne_u32_e64 s3, 0x7f800000, v2
	s_delay_alu instid0(VALU_DEP_1) | instskip(NEXT) | instid1(SALU_CYCLE_1)
	s_and_saveexec_b32 s21, s3
	s_xor_b32 s3, exec_lo, s21
; %bb.37:                               ;   in Loop: Header=BB415_13 Depth=1
	v_bfe_u32 v2, v1, 16, 1
	s_delay_alu instid0(VALU_DEP_1)
	v_add3_u32 v145, v1, v2, 0x7fff
                                        ; implicit-def: $vgpr1
; %bb.38:                               ;   in Loop: Header=BB415_13 Depth=1
	s_and_not1_saveexec_b32 s21, s3
; %bb.39:                               ;   in Loop: Header=BB415_13 Depth=1
	v_and_b32_e32 v2, 0xffff, v1
	v_or_b32_e32 v3, 0x10000, v1
	s_delay_alu instid0(VALU_DEP_2) | instskip(NEXT) | instid1(VALU_DEP_1)
	v_cmp_eq_u32_e64 s3, 0, v2
	v_cndmask_b32_e64 v145, v3, v1, s3
; %bb.40:                               ;   in Loop: Header=BB415_13 Depth=1
	s_or_b32 exec_lo, exec_lo, s21
	v_lshrrev_b32_e32 v1, 16, v0
	s_mov_b32 s21, exec_lo
	s_delay_alu instid0(VALU_DEP_1) | instskip(NEXT) | instid1(VALU_DEP_1)
	v_dual_mov_b32 v2, 0 :: v_dual_and_b32 v3, 0xff, v1
	v_cmpx_ne_u16_e32 0, v3
	s_cbranch_execz .LBB415_48
; %bb.41:                               ;   in Loop: Header=BB415_13 Depth=1
	v_bfrev_b32_e32 v2, 1
	s_mov_b32 s22, exec_lo
	v_cmpx_ne_u16_e32 0x80, v3
	s_cbranch_execz .LBB415_47
; %bb.42:                               ;   in Loop: Header=BB415_13 Depth=1
	v_bfe_u32 v3, v0, 16, 7
	v_mov_b32_e32 v2, 0x7f800001
	s_mov_b32 s23, exec_lo
	s_delay_alu instid0(VALU_DEP_2)
	v_cmpx_ne_u32_e32 0x7f, v3
	s_cbranch_execz .LBB415_46
; %bb.43:                               ;   in Loop: Header=BB415_13 Depth=1
	v_and_b32_e32 v28, 7, v1
	v_lshrrev_b32_e32 v2, 3, v3
	v_mov_b32_e32 v83, v29
	s_mov_b32 s24, exec_lo
	s_delay_alu instid0(VALU_DEP_3)
	v_mov_b32_e32 v82, v28
	v_cmpx_gt_u32_e32 8, v3
; %bb.44:                               ;   in Loop: Header=BB415_13 Depth=1
	v_clz_i32_u32_e32 v2, v28
	s_delay_alu instid0(VALU_DEP_1) | instskip(NEXT) | instid1(VALU_DEP_1)
	v_min_u32_e32 v2, 32, v2
	v_subrev_nc_u32_e32 v3, 28, v2
	v_sub_nc_u32_e32 v2, 29, v2
	s_delay_alu instid0(VALU_DEP_2) | instskip(NEXT) | instid1(VALU_DEP_1)
	v_lshlrev_b64 v[3:4], v3, v[28:29]
	v_and_b32_e32 v82, 7, v3
; %bb.45:                               ;   in Loop: Header=BB415_13 Depth=1
	s_or_b32 exec_lo, exec_lo, s24
	v_lshlrev_b32_e32 v1, 24, v1
	s_delay_alu instid0(VALU_DEP_2) | instskip(SKIP_1) | instid1(VALU_DEP_3)
	v_lshlrev_b32_e32 v3, 20, v82
	v_lshl_add_u32 v2, v2, 23, 0x3c000000
	v_and_b32_e32 v1, 0x80000000, v1
	s_delay_alu instid0(VALU_DEP_1)
	v_or3_b32 v2, v3, v1, v2
.LBB415_46:                             ;   in Loop: Header=BB415_13 Depth=1
	s_or_b32 exec_lo, exec_lo, s23
.LBB415_47:                             ;   in Loop: Header=BB415_13 Depth=1
	s_delay_alu instid0(SALU_CYCLE_1)
	s_or_b32 exec_lo, exec_lo, s22
.LBB415_48:                             ;   in Loop: Header=BB415_13 Depth=1
	s_delay_alu instid0(SALU_CYCLE_1) | instskip(NEXT) | instid1(VALU_DEP_1)
	s_or_b32 exec_lo, exec_lo, s21
	v_mul_f32_e32 v1, v144, v2
                                        ; implicit-def: $vgpr146
	s_delay_alu instid0(VALU_DEP_1) | instskip(NEXT) | instid1(VALU_DEP_1)
	v_and_b32_e32 v2, 0x7f800000, v1
	v_cmp_ne_u32_e64 s3, 0x7f800000, v2
	s_delay_alu instid0(VALU_DEP_1) | instskip(NEXT) | instid1(SALU_CYCLE_1)
	s_and_saveexec_b32 s21, s3
	s_xor_b32 s3, exec_lo, s21
; %bb.49:                               ;   in Loop: Header=BB415_13 Depth=1
	v_bfe_u32 v2, v1, 16, 1
	s_delay_alu instid0(VALU_DEP_1)
	v_add3_u32 v146, v1, v2, 0x7fff
                                        ; implicit-def: $vgpr1
; %bb.50:                               ;   in Loop: Header=BB415_13 Depth=1
	s_and_not1_saveexec_b32 s21, s3
; %bb.51:                               ;   in Loop: Header=BB415_13 Depth=1
	v_and_b32_e32 v2, 0xffff, v1
	v_or_b32_e32 v3, 0x10000, v1
	s_delay_alu instid0(VALU_DEP_2) | instskip(NEXT) | instid1(VALU_DEP_1)
	v_cmp_eq_u32_e64 s3, 0, v2
	v_cndmask_b32_e64 v146, v3, v1, s3
; %bb.52:                               ;   in Loop: Header=BB415_13 Depth=1
	s_or_b32 exec_lo, exec_lo, s21
	v_mov_b32_e32 v2, 0
	s_mov_b32 s21, exec_lo
	v_cmpx_lt_u32_e32 0xffffff, v0
	s_cbranch_execz .LBB415_60
; %bb.53:                               ;   in Loop: Header=BB415_13 Depth=1
	v_lshrrev_b32_e32 v1, 24, v0
	v_bfrev_b32_e32 v2, 1
	s_mov_b32 s22, exec_lo
	s_delay_alu instid0(VALU_DEP_2)
	v_cmpx_ne_u32_e32 0x80, v1
	s_cbranch_execz .LBB415_59
; %bb.54:                               ;   in Loop: Header=BB415_13 Depth=1
	v_bfe_u32 v3, v0, 24, 7
	v_mov_b32_e32 v2, 0x7f800001
	s_mov_b32 s23, exec_lo
	s_delay_alu instid0(VALU_DEP_2)
	v_cmpx_ne_u32_e32 0x7f, v3
	s_cbranch_execz .LBB415_58
; %bb.55:                               ;   in Loop: Header=BB415_13 Depth=1
	v_and_b32_e32 v28, 7, v1
	v_lshrrev_b32_e32 v0, 3, v3
	v_mov_b32_e32 v83, v29
	s_mov_b32 s24, exec_lo
	s_delay_alu instid0(VALU_DEP_3)
	v_mov_b32_e32 v82, v28
	v_cmpx_gt_u32_e32 8, v3
; %bb.56:                               ;   in Loop: Header=BB415_13 Depth=1
	v_clz_i32_u32_e32 v0, v28
	s_delay_alu instid0(VALU_DEP_1) | instskip(NEXT) | instid1(VALU_DEP_1)
	v_min_u32_e32 v0, 32, v0
	v_subrev_nc_u32_e32 v2, 28, v0
	v_sub_nc_u32_e32 v0, 29, v0
	s_delay_alu instid0(VALU_DEP_2) | instskip(NEXT) | instid1(VALU_DEP_1)
	v_lshlrev_b64 v[2:3], v2, v[28:29]
	v_and_b32_e32 v82, 7, v2
; %bb.57:                               ;   in Loop: Header=BB415_13 Depth=1
	s_or_b32 exec_lo, exec_lo, s24
	v_lshlrev_b32_e32 v1, 24, v1
	s_delay_alu instid0(VALU_DEP_2) | instskip(SKIP_1) | instid1(VALU_DEP_3)
	v_lshlrev_b32_e32 v2, 20, v82
	v_lshl_add_u32 v0, v0, 23, 0x3c000000
	v_and_b32_e32 v1, 0x80000000, v1
	s_delay_alu instid0(VALU_DEP_1)
	v_or3_b32 v2, v2, v1, v0
.LBB415_58:                             ;   in Loop: Header=BB415_13 Depth=1
	s_or_b32 exec_lo, exec_lo, s23
.LBB415_59:                             ;   in Loop: Header=BB415_13 Depth=1
	s_delay_alu instid0(SALU_CYCLE_1)
	s_or_b32 exec_lo, exec_lo, s22
.LBB415_60:                             ;   in Loop: Header=BB415_13 Depth=1
	s_delay_alu instid0(SALU_CYCLE_1) | instskip(NEXT) | instid1(VALU_DEP_1)
	s_or_b32 exec_lo, exec_lo, s21
	v_mul_f32_e32 v0, v144, v2
                                        ; implicit-def: $vgpr147
	s_delay_alu instid0(VALU_DEP_1) | instskip(NEXT) | instid1(VALU_DEP_1)
	v_and_b32_e32 v1, 0x7f800000, v0
	v_cmp_ne_u32_e64 s3, 0x7f800000, v1
	s_delay_alu instid0(VALU_DEP_1) | instskip(NEXT) | instid1(SALU_CYCLE_1)
	s_and_saveexec_b32 s21, s3
	s_xor_b32 s3, exec_lo, s21
; %bb.61:                               ;   in Loop: Header=BB415_13 Depth=1
	v_bfe_u32 v1, v0, 16, 1
	s_delay_alu instid0(VALU_DEP_1)
	v_add3_u32 v147, v0, v1, 0x7fff
                                        ; implicit-def: $vgpr0
; %bb.62:                               ;   in Loop: Header=BB415_13 Depth=1
	s_and_not1_saveexec_b32 s21, s3
; %bb.63:                               ;   in Loop: Header=BB415_13 Depth=1
	v_and_b32_e32 v1, 0xffff, v0
	v_or_b32_e32 v2, 0x10000, v0
	s_delay_alu instid0(VALU_DEP_2) | instskip(NEXT) | instid1(VALU_DEP_1)
	v_cmp_eq_u32_e64 s3, 0, v1
	v_cndmask_b32_e64 v147, v2, v0, s3
; %bb.64:                               ;   in Loop: Header=BB415_13 Depth=1
	s_or_b32 exec_lo, exec_lo, s21
	flat_load_b32 v0, v[80:81] offset:8
	s_mov_b32 s21, exec_lo
	s_waitcnt vmcnt(0) lgkmcnt(0)
	v_dual_mov_b32 v1, 0 :: v_dual_and_b32 v2, 0xff, v0
	s_delay_alu instid0(VALU_DEP_1)
	v_cmpx_ne_u16_e32 0, v2
	s_cbranch_execz .LBB415_72
; %bb.65:                               ;   in Loop: Header=BB415_13 Depth=1
	v_bfrev_b32_e32 v1, 1
	s_mov_b32 s22, exec_lo
	v_cmpx_ne_u16_e32 0x80, v2
	s_cbranch_execz .LBB415_71
; %bb.66:                               ;   in Loop: Header=BB415_13 Depth=1
	v_and_b32_e32 v2, 0x7f, v0
	v_mov_b32_e32 v1, 0x7f800001
	s_mov_b32 s23, exec_lo
	s_delay_alu instid0(VALU_DEP_2)
	v_cmpx_ne_u32_e32 0x7f, v2
	s_cbranch_execz .LBB415_70
; %bb.67:                               ;   in Loop: Header=BB415_13 Depth=1
	v_and_b32_e32 v28, 7, v0
	v_lshrrev_b32_e32 v1, 3, v2
	v_mov_b32_e32 v83, v29
	s_mov_b32 s24, exec_lo
	s_delay_alu instid0(VALU_DEP_3)
	v_mov_b32_e32 v82, v28
	v_cmpx_gt_u32_e32 8, v2
; %bb.68:                               ;   in Loop: Header=BB415_13 Depth=1
	v_clz_i32_u32_e32 v1, v28
	s_delay_alu instid0(VALU_DEP_1) | instskip(NEXT) | instid1(VALU_DEP_1)
	v_min_u32_e32 v1, 32, v1
	v_subrev_nc_u32_e32 v2, 28, v1
	v_sub_nc_u32_e32 v1, 29, v1
	s_delay_alu instid0(VALU_DEP_2) | instskip(NEXT) | instid1(VALU_DEP_1)
	v_lshlrev_b64 v[2:3], v2, v[28:29]
	v_and_b32_e32 v82, 7, v2
; %bb.69:                               ;   in Loop: Header=BB415_13 Depth=1
	s_or_b32 exec_lo, exec_lo, s24
	v_lshlrev_b32_e32 v2, 24, v0
	s_delay_alu instid0(VALU_DEP_2) | instskip(SKIP_1) | instid1(VALU_DEP_3)
	v_lshlrev_b32_e32 v3, 20, v82
	v_lshl_add_u32 v1, v1, 23, 0x3c000000
	v_and_b32_e32 v2, 0x80000000, v2
	s_delay_alu instid0(VALU_DEP_1)
	v_or3_b32 v1, v3, v2, v1
.LBB415_70:                             ;   in Loop: Header=BB415_13 Depth=1
	s_or_b32 exec_lo, exec_lo, s23
.LBB415_71:                             ;   in Loop: Header=BB415_13 Depth=1
	s_delay_alu instid0(SALU_CYCLE_1)
	s_or_b32 exec_lo, exec_lo, s22
.LBB415_72:                             ;   in Loop: Header=BB415_13 Depth=1
	s_delay_alu instid0(SALU_CYCLE_1) | instskip(NEXT) | instid1(VALU_DEP_1)
	s_or_b32 exec_lo, exec_lo, s21
	v_mul_f32_e32 v1, v144, v1
                                        ; implicit-def: $vgpr148
	s_delay_alu instid0(VALU_DEP_1) | instskip(NEXT) | instid1(VALU_DEP_1)
	v_and_b32_e32 v2, 0x7f800000, v1
	v_cmp_ne_u32_e64 s3, 0x7f800000, v2
	s_delay_alu instid0(VALU_DEP_1) | instskip(NEXT) | instid1(SALU_CYCLE_1)
	s_and_saveexec_b32 s21, s3
	s_xor_b32 s3, exec_lo, s21
; %bb.73:                               ;   in Loop: Header=BB415_13 Depth=1
	v_bfe_u32 v2, v1, 16, 1
	s_delay_alu instid0(VALU_DEP_1)
	v_add3_u32 v148, v1, v2, 0x7fff
                                        ; implicit-def: $vgpr1
; %bb.74:                               ;   in Loop: Header=BB415_13 Depth=1
	s_and_not1_saveexec_b32 s21, s3
; %bb.75:                               ;   in Loop: Header=BB415_13 Depth=1
	v_and_b32_e32 v2, 0xffff, v1
	v_or_b32_e32 v3, 0x10000, v1
	s_delay_alu instid0(VALU_DEP_2) | instskip(NEXT) | instid1(VALU_DEP_1)
	v_cmp_eq_u32_e64 s3, 0, v2
	v_cndmask_b32_e64 v148, v3, v1, s3
; %bb.76:                               ;   in Loop: Header=BB415_13 Depth=1
	s_or_b32 exec_lo, exec_lo, s21
	v_lshrrev_b16 v2, 8, v0
	v_mov_b32_e32 v1, 0
	s_mov_b32 s21, exec_lo
	s_delay_alu instid0(VALU_DEP_2)
	v_cmpx_ne_u16_e32 0, v2
	s_cbranch_execz .LBB415_84
; %bb.77:                               ;   in Loop: Header=BB415_13 Depth=1
	v_bfrev_b32_e32 v1, 1
	s_mov_b32 s22, exec_lo
	v_cmpx_ne_u16_e32 0x80, v2
	s_cbranch_execz .LBB415_83
; %bb.78:                               ;   in Loop: Header=BB415_13 Depth=1
	v_and_b32_e32 v3, 0xffff, v2
	v_mov_b32_e32 v1, 0x7f800001
	s_mov_b32 s23, exec_lo
	s_delay_alu instid0(VALU_DEP_2) | instskip(NEXT) | instid1(VALU_DEP_1)
	v_and_b32_e32 v2, 0x7f, v3
	v_cmpx_ne_u32_e32 0x7f, v2
	s_cbranch_execz .LBB415_82
; %bb.79:                               ;   in Loop: Header=BB415_13 Depth=1
	v_and_b32_e32 v28, 7, v3
	v_lshrrev_b32_e32 v1, 3, v2
	v_mov_b32_e32 v83, v29
	s_mov_b32 s24, exec_lo
	s_delay_alu instid0(VALU_DEP_3)
	v_mov_b32_e32 v82, v28
	v_cmpx_gt_u32_e32 8, v2
; %bb.80:                               ;   in Loop: Header=BB415_13 Depth=1
	v_clz_i32_u32_e32 v1, v28
	s_delay_alu instid0(VALU_DEP_1) | instskip(NEXT) | instid1(VALU_DEP_1)
	v_min_u32_e32 v1, 32, v1
	v_subrev_nc_u32_e32 v2, 28, v1
	v_sub_nc_u32_e32 v1, 29, v1
	s_delay_alu instid0(VALU_DEP_2) | instskip(NEXT) | instid1(VALU_DEP_1)
	v_lshlrev_b64 v[2:3], v2, v[28:29]
	v_and_b32_e32 v82, 7, v2
; %bb.81:                               ;   in Loop: Header=BB415_13 Depth=1
	s_or_b32 exec_lo, exec_lo, s24
	v_lshlrev_b32_e32 v2, 16, v0
	s_delay_alu instid0(VALU_DEP_2) | instskip(SKIP_1) | instid1(VALU_DEP_3)
	v_lshlrev_b32_e32 v3, 20, v82
	v_lshl_add_u32 v1, v1, 23, 0x3c000000
	v_and_b32_e32 v2, 0x80000000, v2
	s_delay_alu instid0(VALU_DEP_1)
	v_or3_b32 v1, v3, v2, v1
.LBB415_82:                             ;   in Loop: Header=BB415_13 Depth=1
	s_or_b32 exec_lo, exec_lo, s23
.LBB415_83:                             ;   in Loop: Header=BB415_13 Depth=1
	s_delay_alu instid0(SALU_CYCLE_1)
	s_or_b32 exec_lo, exec_lo, s22
.LBB415_84:                             ;   in Loop: Header=BB415_13 Depth=1
	s_delay_alu instid0(SALU_CYCLE_1) | instskip(NEXT) | instid1(VALU_DEP_1)
	s_or_b32 exec_lo, exec_lo, s21
	v_mul_f32_e32 v1, v144, v1
                                        ; implicit-def: $vgpr149
	s_delay_alu instid0(VALU_DEP_1) | instskip(NEXT) | instid1(VALU_DEP_1)
	v_and_b32_e32 v2, 0x7f800000, v1
	v_cmp_ne_u32_e64 s3, 0x7f800000, v2
	s_delay_alu instid0(VALU_DEP_1) | instskip(NEXT) | instid1(SALU_CYCLE_1)
	s_and_saveexec_b32 s21, s3
	s_xor_b32 s3, exec_lo, s21
; %bb.85:                               ;   in Loop: Header=BB415_13 Depth=1
	v_bfe_u32 v2, v1, 16, 1
	s_delay_alu instid0(VALU_DEP_1)
	v_add3_u32 v149, v1, v2, 0x7fff
                                        ; implicit-def: $vgpr1
; %bb.86:                               ;   in Loop: Header=BB415_13 Depth=1
	s_and_not1_saveexec_b32 s21, s3
; %bb.87:                               ;   in Loop: Header=BB415_13 Depth=1
	v_and_b32_e32 v2, 0xffff, v1
	v_or_b32_e32 v3, 0x10000, v1
	s_delay_alu instid0(VALU_DEP_2) | instskip(NEXT) | instid1(VALU_DEP_1)
	v_cmp_eq_u32_e64 s3, 0, v2
	v_cndmask_b32_e64 v149, v3, v1, s3
; %bb.88:                               ;   in Loop: Header=BB415_13 Depth=1
	s_or_b32 exec_lo, exec_lo, s21
	v_lshrrev_b32_e32 v1, 16, v0
	s_mov_b32 s21, exec_lo
	s_delay_alu instid0(VALU_DEP_1) | instskip(NEXT) | instid1(VALU_DEP_1)
	v_dual_mov_b32 v2, 0 :: v_dual_and_b32 v3, 0xff, v1
	v_cmpx_ne_u16_e32 0, v3
	s_cbranch_execz .LBB415_96
; %bb.89:                               ;   in Loop: Header=BB415_13 Depth=1
	v_bfrev_b32_e32 v2, 1
	s_mov_b32 s22, exec_lo
	v_cmpx_ne_u16_e32 0x80, v3
	s_cbranch_execz .LBB415_95
; %bb.90:                               ;   in Loop: Header=BB415_13 Depth=1
	v_bfe_u32 v3, v0, 16, 7
	v_mov_b32_e32 v2, 0x7f800001
	s_mov_b32 s23, exec_lo
	s_delay_alu instid0(VALU_DEP_2)
	v_cmpx_ne_u32_e32 0x7f, v3
	s_cbranch_execz .LBB415_94
; %bb.91:                               ;   in Loop: Header=BB415_13 Depth=1
	v_and_b32_e32 v28, 7, v1
	v_lshrrev_b32_e32 v2, 3, v3
	v_mov_b32_e32 v83, v29
	s_mov_b32 s24, exec_lo
	s_delay_alu instid0(VALU_DEP_3)
	v_mov_b32_e32 v82, v28
	v_cmpx_gt_u32_e32 8, v3
; %bb.92:                               ;   in Loop: Header=BB415_13 Depth=1
	v_clz_i32_u32_e32 v2, v28
	s_delay_alu instid0(VALU_DEP_1) | instskip(NEXT) | instid1(VALU_DEP_1)
	v_min_u32_e32 v2, 32, v2
	v_subrev_nc_u32_e32 v3, 28, v2
	v_sub_nc_u32_e32 v2, 29, v2
	s_delay_alu instid0(VALU_DEP_2) | instskip(NEXT) | instid1(VALU_DEP_1)
	v_lshlrev_b64 v[3:4], v3, v[28:29]
	v_and_b32_e32 v82, 7, v3
; %bb.93:                               ;   in Loop: Header=BB415_13 Depth=1
	s_or_b32 exec_lo, exec_lo, s24
	v_lshlrev_b32_e32 v1, 24, v1
	s_delay_alu instid0(VALU_DEP_2) | instskip(SKIP_1) | instid1(VALU_DEP_3)
	v_lshlrev_b32_e32 v3, 20, v82
	v_lshl_add_u32 v2, v2, 23, 0x3c000000
	v_and_b32_e32 v1, 0x80000000, v1
	s_delay_alu instid0(VALU_DEP_1)
	v_or3_b32 v2, v3, v1, v2
.LBB415_94:                             ;   in Loop: Header=BB415_13 Depth=1
	s_or_b32 exec_lo, exec_lo, s23
.LBB415_95:                             ;   in Loop: Header=BB415_13 Depth=1
	s_delay_alu instid0(SALU_CYCLE_1)
	s_or_b32 exec_lo, exec_lo, s22
.LBB415_96:                             ;   in Loop: Header=BB415_13 Depth=1
	s_delay_alu instid0(SALU_CYCLE_1) | instskip(NEXT) | instid1(VALU_DEP_1)
	s_or_b32 exec_lo, exec_lo, s21
	v_mul_f32_e32 v1, v144, v2
                                        ; implicit-def: $vgpr150
	s_delay_alu instid0(VALU_DEP_1) | instskip(NEXT) | instid1(VALU_DEP_1)
	v_and_b32_e32 v2, 0x7f800000, v1
	v_cmp_ne_u32_e64 s3, 0x7f800000, v2
	s_delay_alu instid0(VALU_DEP_1) | instskip(NEXT) | instid1(SALU_CYCLE_1)
	s_and_saveexec_b32 s21, s3
	s_xor_b32 s3, exec_lo, s21
; %bb.97:                               ;   in Loop: Header=BB415_13 Depth=1
	v_bfe_u32 v2, v1, 16, 1
	s_delay_alu instid0(VALU_DEP_1)
	v_add3_u32 v150, v1, v2, 0x7fff
                                        ; implicit-def: $vgpr1
; %bb.98:                               ;   in Loop: Header=BB415_13 Depth=1
	s_and_not1_saveexec_b32 s21, s3
; %bb.99:                               ;   in Loop: Header=BB415_13 Depth=1
	v_and_b32_e32 v2, 0xffff, v1
	v_or_b32_e32 v3, 0x10000, v1
	s_delay_alu instid0(VALU_DEP_2) | instskip(NEXT) | instid1(VALU_DEP_1)
	v_cmp_eq_u32_e64 s3, 0, v2
	v_cndmask_b32_e64 v150, v3, v1, s3
; %bb.100:                              ;   in Loop: Header=BB415_13 Depth=1
	s_or_b32 exec_lo, exec_lo, s21
	v_mov_b32_e32 v2, 0
	s_mov_b32 s21, exec_lo
	v_cmpx_lt_u32_e32 0xffffff, v0
	s_cbranch_execz .LBB415_108
; %bb.101:                              ;   in Loop: Header=BB415_13 Depth=1
	v_lshrrev_b32_e32 v1, 24, v0
	v_bfrev_b32_e32 v2, 1
	s_mov_b32 s22, exec_lo
	s_delay_alu instid0(VALU_DEP_2)
	v_cmpx_ne_u32_e32 0x80, v1
	s_cbranch_execz .LBB415_107
; %bb.102:                              ;   in Loop: Header=BB415_13 Depth=1
	v_bfe_u32 v3, v0, 24, 7
	v_mov_b32_e32 v2, 0x7f800001
	s_mov_b32 s23, exec_lo
	s_delay_alu instid0(VALU_DEP_2)
	v_cmpx_ne_u32_e32 0x7f, v3
	s_cbranch_execz .LBB415_106
; %bb.103:                              ;   in Loop: Header=BB415_13 Depth=1
	v_and_b32_e32 v28, 7, v1
	v_lshrrev_b32_e32 v0, 3, v3
	v_mov_b32_e32 v83, v29
	s_mov_b32 s24, exec_lo
	s_delay_alu instid0(VALU_DEP_3)
	v_mov_b32_e32 v82, v28
	v_cmpx_gt_u32_e32 8, v3
; %bb.104:                              ;   in Loop: Header=BB415_13 Depth=1
	v_clz_i32_u32_e32 v0, v28
	s_delay_alu instid0(VALU_DEP_1) | instskip(NEXT) | instid1(VALU_DEP_1)
	v_min_u32_e32 v0, 32, v0
	v_subrev_nc_u32_e32 v2, 28, v0
	v_sub_nc_u32_e32 v0, 29, v0
	s_delay_alu instid0(VALU_DEP_2) | instskip(NEXT) | instid1(VALU_DEP_1)
	v_lshlrev_b64 v[2:3], v2, v[28:29]
	v_and_b32_e32 v82, 7, v2
; %bb.105:                              ;   in Loop: Header=BB415_13 Depth=1
	s_or_b32 exec_lo, exec_lo, s24
	v_lshlrev_b32_e32 v1, 24, v1
	s_delay_alu instid0(VALU_DEP_2) | instskip(SKIP_1) | instid1(VALU_DEP_3)
	v_lshlrev_b32_e32 v2, 20, v82
	v_lshl_add_u32 v0, v0, 23, 0x3c000000
	v_and_b32_e32 v1, 0x80000000, v1
	s_delay_alu instid0(VALU_DEP_1)
	v_or3_b32 v2, v2, v1, v0
.LBB415_106:                            ;   in Loop: Header=BB415_13 Depth=1
	s_or_b32 exec_lo, exec_lo, s23
.LBB415_107:                            ;   in Loop: Header=BB415_13 Depth=1
	s_delay_alu instid0(SALU_CYCLE_1)
	s_or_b32 exec_lo, exec_lo, s22
.LBB415_108:                            ;   in Loop: Header=BB415_13 Depth=1
	s_delay_alu instid0(SALU_CYCLE_1) | instskip(NEXT) | instid1(VALU_DEP_1)
	s_or_b32 exec_lo, exec_lo, s21
	v_mul_f32_e32 v0, v144, v2
                                        ; implicit-def: $vgpr151
	s_delay_alu instid0(VALU_DEP_1) | instskip(NEXT) | instid1(VALU_DEP_1)
	v_and_b32_e32 v1, 0x7f800000, v0
	v_cmp_ne_u32_e64 s3, 0x7f800000, v1
	s_delay_alu instid0(VALU_DEP_1) | instskip(NEXT) | instid1(SALU_CYCLE_1)
	s_and_saveexec_b32 s21, s3
	s_xor_b32 s3, exec_lo, s21
; %bb.109:                              ;   in Loop: Header=BB415_13 Depth=1
	v_bfe_u32 v1, v0, 16, 1
	s_delay_alu instid0(VALU_DEP_1)
	v_add3_u32 v151, v0, v1, 0x7fff
                                        ; implicit-def: $vgpr0
; %bb.110:                              ;   in Loop: Header=BB415_13 Depth=1
	s_and_not1_saveexec_b32 s21, s3
; %bb.111:                              ;   in Loop: Header=BB415_13 Depth=1
	v_and_b32_e32 v1, 0xffff, v0
	v_or_b32_e32 v2, 0x10000, v0
	s_delay_alu instid0(VALU_DEP_2) | instskip(NEXT) | instid1(VALU_DEP_1)
	v_cmp_eq_u32_e64 s3, 0, v1
	v_cndmask_b32_e64 v151, v2, v0, s3
; %bb.112:                              ;   in Loop: Header=BB415_13 Depth=1
	s_or_b32 exec_lo, exec_lo, s21
	flat_load_b32 v0, v[80:81] offset:256
	s_mov_b32 s21, exec_lo
	s_waitcnt vmcnt(0) lgkmcnt(0)
	v_dual_mov_b32 v1, 0 :: v_dual_and_b32 v2, 0xff, v0
	s_delay_alu instid0(VALU_DEP_1)
	v_cmpx_ne_u16_e32 0, v2
	s_cbranch_execz .LBB415_120
; %bb.113:                              ;   in Loop: Header=BB415_13 Depth=1
	v_bfrev_b32_e32 v1, 1
	s_mov_b32 s22, exec_lo
	v_cmpx_ne_u16_e32 0x80, v2
	s_cbranch_execz .LBB415_119
; %bb.114:                              ;   in Loop: Header=BB415_13 Depth=1
	v_and_b32_e32 v2, 0x7f, v0
	v_mov_b32_e32 v1, 0x7f800001
	s_mov_b32 s23, exec_lo
	s_delay_alu instid0(VALU_DEP_2)
	v_cmpx_ne_u32_e32 0x7f, v2
	s_cbranch_execz .LBB415_118
; %bb.115:                              ;   in Loop: Header=BB415_13 Depth=1
	v_and_b32_e32 v28, 7, v0
	v_lshrrev_b32_e32 v1, 3, v2
	v_mov_b32_e32 v83, v29
	s_mov_b32 s24, exec_lo
	s_delay_alu instid0(VALU_DEP_3)
	v_mov_b32_e32 v82, v28
	v_cmpx_gt_u32_e32 8, v2
; %bb.116:                              ;   in Loop: Header=BB415_13 Depth=1
	v_clz_i32_u32_e32 v1, v28
	s_delay_alu instid0(VALU_DEP_1) | instskip(NEXT) | instid1(VALU_DEP_1)
	v_min_u32_e32 v1, 32, v1
	v_subrev_nc_u32_e32 v2, 28, v1
	v_sub_nc_u32_e32 v1, 29, v1
	s_delay_alu instid0(VALU_DEP_2) | instskip(NEXT) | instid1(VALU_DEP_1)
	v_lshlrev_b64 v[2:3], v2, v[28:29]
	v_and_b32_e32 v82, 7, v2
; %bb.117:                              ;   in Loop: Header=BB415_13 Depth=1
	s_or_b32 exec_lo, exec_lo, s24
	v_lshlrev_b32_e32 v2, 24, v0
	s_delay_alu instid0(VALU_DEP_2) | instskip(SKIP_1) | instid1(VALU_DEP_3)
	v_lshlrev_b32_e32 v3, 20, v82
	v_lshl_add_u32 v1, v1, 23, 0x3c000000
	v_and_b32_e32 v2, 0x80000000, v2
	s_delay_alu instid0(VALU_DEP_1)
	v_or3_b32 v1, v3, v2, v1
.LBB415_118:                            ;   in Loop: Header=BB415_13 Depth=1
	s_or_b32 exec_lo, exec_lo, s23
.LBB415_119:                            ;   in Loop: Header=BB415_13 Depth=1
	s_delay_alu instid0(SALU_CYCLE_1)
	s_or_b32 exec_lo, exec_lo, s22
.LBB415_120:                            ;   in Loop: Header=BB415_13 Depth=1
	s_delay_alu instid0(SALU_CYCLE_1) | instskip(NEXT) | instid1(VALU_DEP_1)
	s_or_b32 exec_lo, exec_lo, s21
	v_mul_f32_e32 v1, v144, v1
                                        ; implicit-def: $vgpr160
	s_delay_alu instid0(VALU_DEP_1) | instskip(NEXT) | instid1(VALU_DEP_1)
	v_and_b32_e32 v2, 0x7f800000, v1
	v_cmp_ne_u32_e64 s3, 0x7f800000, v2
	s_delay_alu instid0(VALU_DEP_1) | instskip(NEXT) | instid1(SALU_CYCLE_1)
	s_and_saveexec_b32 s21, s3
	s_xor_b32 s3, exec_lo, s21
; %bb.121:                              ;   in Loop: Header=BB415_13 Depth=1
	v_bfe_u32 v2, v1, 16, 1
	s_delay_alu instid0(VALU_DEP_1)
	v_add3_u32 v160, v1, v2, 0x7fff
                                        ; implicit-def: $vgpr1
; %bb.122:                              ;   in Loop: Header=BB415_13 Depth=1
	s_and_not1_saveexec_b32 s21, s3
; %bb.123:                              ;   in Loop: Header=BB415_13 Depth=1
	v_and_b32_e32 v2, 0xffff, v1
	v_or_b32_e32 v3, 0x10000, v1
	s_delay_alu instid0(VALU_DEP_2) | instskip(NEXT) | instid1(VALU_DEP_1)
	v_cmp_eq_u32_e64 s3, 0, v2
	v_cndmask_b32_e64 v160, v3, v1, s3
; %bb.124:                              ;   in Loop: Header=BB415_13 Depth=1
	s_or_b32 exec_lo, exec_lo, s21
	v_lshrrev_b16 v2, 8, v0
	v_mov_b32_e32 v1, 0
	s_mov_b32 s21, exec_lo
	s_delay_alu instid0(VALU_DEP_2)
	v_cmpx_ne_u16_e32 0, v2
	s_cbranch_execz .LBB415_132
; %bb.125:                              ;   in Loop: Header=BB415_13 Depth=1
	v_bfrev_b32_e32 v1, 1
	s_mov_b32 s22, exec_lo
	v_cmpx_ne_u16_e32 0x80, v2
	s_cbranch_execz .LBB415_131
; %bb.126:                              ;   in Loop: Header=BB415_13 Depth=1
	v_and_b32_e32 v3, 0xffff, v2
	v_mov_b32_e32 v1, 0x7f800001
	s_mov_b32 s23, exec_lo
	s_delay_alu instid0(VALU_DEP_2) | instskip(NEXT) | instid1(VALU_DEP_1)
	v_and_b32_e32 v2, 0x7f, v3
	v_cmpx_ne_u32_e32 0x7f, v2
	s_cbranch_execz .LBB415_130
; %bb.127:                              ;   in Loop: Header=BB415_13 Depth=1
	v_and_b32_e32 v28, 7, v3
	v_lshrrev_b32_e32 v1, 3, v2
	v_mov_b32_e32 v83, v29
	s_mov_b32 s24, exec_lo
	s_delay_alu instid0(VALU_DEP_3)
	v_mov_b32_e32 v82, v28
	v_cmpx_gt_u32_e32 8, v2
; %bb.128:                              ;   in Loop: Header=BB415_13 Depth=1
	v_clz_i32_u32_e32 v1, v28
	s_delay_alu instid0(VALU_DEP_1) | instskip(NEXT) | instid1(VALU_DEP_1)
	v_min_u32_e32 v1, 32, v1
	v_subrev_nc_u32_e32 v2, 28, v1
	v_sub_nc_u32_e32 v1, 29, v1
	s_delay_alu instid0(VALU_DEP_2) | instskip(NEXT) | instid1(VALU_DEP_1)
	v_lshlrev_b64 v[2:3], v2, v[28:29]
	v_and_b32_e32 v82, 7, v2
; %bb.129:                              ;   in Loop: Header=BB415_13 Depth=1
	s_or_b32 exec_lo, exec_lo, s24
	v_lshlrev_b32_e32 v2, 16, v0
	s_delay_alu instid0(VALU_DEP_2) | instskip(SKIP_1) | instid1(VALU_DEP_3)
	v_lshlrev_b32_e32 v3, 20, v82
	v_lshl_add_u32 v1, v1, 23, 0x3c000000
	v_and_b32_e32 v2, 0x80000000, v2
	s_delay_alu instid0(VALU_DEP_1)
	v_or3_b32 v1, v3, v2, v1
.LBB415_130:                            ;   in Loop: Header=BB415_13 Depth=1
	s_or_b32 exec_lo, exec_lo, s23
.LBB415_131:                            ;   in Loop: Header=BB415_13 Depth=1
	s_delay_alu instid0(SALU_CYCLE_1)
	s_or_b32 exec_lo, exec_lo, s22
.LBB415_132:                            ;   in Loop: Header=BB415_13 Depth=1
	s_delay_alu instid0(SALU_CYCLE_1) | instskip(NEXT) | instid1(VALU_DEP_1)
	s_or_b32 exec_lo, exec_lo, s21
	v_mul_f32_e32 v1, v144, v1
                                        ; implicit-def: $vgpr161
	s_delay_alu instid0(VALU_DEP_1) | instskip(NEXT) | instid1(VALU_DEP_1)
	v_and_b32_e32 v2, 0x7f800000, v1
	v_cmp_ne_u32_e64 s3, 0x7f800000, v2
	s_delay_alu instid0(VALU_DEP_1) | instskip(NEXT) | instid1(SALU_CYCLE_1)
	s_and_saveexec_b32 s21, s3
	s_xor_b32 s3, exec_lo, s21
; %bb.133:                              ;   in Loop: Header=BB415_13 Depth=1
	v_bfe_u32 v2, v1, 16, 1
	s_delay_alu instid0(VALU_DEP_1)
	v_add3_u32 v161, v1, v2, 0x7fff
                                        ; implicit-def: $vgpr1
; %bb.134:                              ;   in Loop: Header=BB415_13 Depth=1
	s_and_not1_saveexec_b32 s21, s3
; %bb.135:                              ;   in Loop: Header=BB415_13 Depth=1
	v_and_b32_e32 v2, 0xffff, v1
	v_or_b32_e32 v3, 0x10000, v1
	s_delay_alu instid0(VALU_DEP_2) | instskip(NEXT) | instid1(VALU_DEP_1)
	v_cmp_eq_u32_e64 s3, 0, v2
	v_cndmask_b32_e64 v161, v3, v1, s3
; %bb.136:                              ;   in Loop: Header=BB415_13 Depth=1
	s_or_b32 exec_lo, exec_lo, s21
	v_lshrrev_b32_e32 v1, 16, v0
	s_mov_b32 s21, exec_lo
	s_delay_alu instid0(VALU_DEP_1) | instskip(NEXT) | instid1(VALU_DEP_1)
	v_dual_mov_b32 v2, 0 :: v_dual_and_b32 v3, 0xff, v1
	v_cmpx_ne_u16_e32 0, v3
	s_cbranch_execz .LBB415_144
; %bb.137:                              ;   in Loop: Header=BB415_13 Depth=1
	v_bfrev_b32_e32 v2, 1
	s_mov_b32 s22, exec_lo
	v_cmpx_ne_u16_e32 0x80, v3
	s_cbranch_execz .LBB415_143
; %bb.138:                              ;   in Loop: Header=BB415_13 Depth=1
	v_bfe_u32 v3, v0, 16, 7
	v_mov_b32_e32 v2, 0x7f800001
	s_mov_b32 s23, exec_lo
	s_delay_alu instid0(VALU_DEP_2)
	v_cmpx_ne_u32_e32 0x7f, v3
	s_cbranch_execz .LBB415_142
; %bb.139:                              ;   in Loop: Header=BB415_13 Depth=1
	v_and_b32_e32 v28, 7, v1
	v_lshrrev_b32_e32 v2, 3, v3
	v_mov_b32_e32 v83, v29
	s_mov_b32 s24, exec_lo
	s_delay_alu instid0(VALU_DEP_3)
	v_mov_b32_e32 v82, v28
	v_cmpx_gt_u32_e32 8, v3
; %bb.140:                              ;   in Loop: Header=BB415_13 Depth=1
	v_clz_i32_u32_e32 v2, v28
	s_delay_alu instid0(VALU_DEP_1) | instskip(NEXT) | instid1(VALU_DEP_1)
	v_min_u32_e32 v2, 32, v2
	v_subrev_nc_u32_e32 v3, 28, v2
	v_sub_nc_u32_e32 v2, 29, v2
	s_delay_alu instid0(VALU_DEP_2) | instskip(NEXT) | instid1(VALU_DEP_1)
	v_lshlrev_b64 v[3:4], v3, v[28:29]
	v_and_b32_e32 v82, 7, v3
; %bb.141:                              ;   in Loop: Header=BB415_13 Depth=1
	s_or_b32 exec_lo, exec_lo, s24
	v_lshlrev_b32_e32 v1, 24, v1
	s_delay_alu instid0(VALU_DEP_2) | instskip(SKIP_1) | instid1(VALU_DEP_3)
	v_lshlrev_b32_e32 v3, 20, v82
	v_lshl_add_u32 v2, v2, 23, 0x3c000000
	v_and_b32_e32 v1, 0x80000000, v1
	s_delay_alu instid0(VALU_DEP_1)
	v_or3_b32 v2, v3, v1, v2
.LBB415_142:                            ;   in Loop: Header=BB415_13 Depth=1
	s_or_b32 exec_lo, exec_lo, s23
.LBB415_143:                            ;   in Loop: Header=BB415_13 Depth=1
	s_delay_alu instid0(SALU_CYCLE_1)
	s_or_b32 exec_lo, exec_lo, s22
.LBB415_144:                            ;   in Loop: Header=BB415_13 Depth=1
	s_delay_alu instid0(SALU_CYCLE_1) | instskip(NEXT) | instid1(VALU_DEP_1)
	s_or_b32 exec_lo, exec_lo, s21
	v_mul_f32_e32 v1, v144, v2
                                        ; implicit-def: $vgpr162
	s_delay_alu instid0(VALU_DEP_1) | instskip(NEXT) | instid1(VALU_DEP_1)
	v_and_b32_e32 v2, 0x7f800000, v1
	v_cmp_ne_u32_e64 s3, 0x7f800000, v2
	s_delay_alu instid0(VALU_DEP_1) | instskip(NEXT) | instid1(SALU_CYCLE_1)
	s_and_saveexec_b32 s21, s3
	s_xor_b32 s3, exec_lo, s21
; %bb.145:                              ;   in Loop: Header=BB415_13 Depth=1
	v_bfe_u32 v2, v1, 16, 1
	s_delay_alu instid0(VALU_DEP_1)
	v_add3_u32 v162, v1, v2, 0x7fff
                                        ; implicit-def: $vgpr1
; %bb.146:                              ;   in Loop: Header=BB415_13 Depth=1
	s_and_not1_saveexec_b32 s21, s3
; %bb.147:                              ;   in Loop: Header=BB415_13 Depth=1
	v_and_b32_e32 v2, 0xffff, v1
	v_or_b32_e32 v3, 0x10000, v1
	s_delay_alu instid0(VALU_DEP_2) | instskip(NEXT) | instid1(VALU_DEP_1)
	v_cmp_eq_u32_e64 s3, 0, v2
	v_cndmask_b32_e64 v162, v3, v1, s3
; %bb.148:                              ;   in Loop: Header=BB415_13 Depth=1
	s_or_b32 exec_lo, exec_lo, s21
	v_mov_b32_e32 v2, 0
	s_mov_b32 s21, exec_lo
	v_cmpx_lt_u32_e32 0xffffff, v0
	s_cbranch_execz .LBB415_156
; %bb.149:                              ;   in Loop: Header=BB415_13 Depth=1
	v_lshrrev_b32_e32 v1, 24, v0
	v_bfrev_b32_e32 v2, 1
	s_mov_b32 s22, exec_lo
	s_delay_alu instid0(VALU_DEP_2)
	v_cmpx_ne_u32_e32 0x80, v1
	s_cbranch_execz .LBB415_155
; %bb.150:                              ;   in Loop: Header=BB415_13 Depth=1
	v_bfe_u32 v3, v0, 24, 7
	v_mov_b32_e32 v2, 0x7f800001
	s_mov_b32 s23, exec_lo
	s_delay_alu instid0(VALU_DEP_2)
	v_cmpx_ne_u32_e32 0x7f, v3
	s_cbranch_execz .LBB415_154
; %bb.151:                              ;   in Loop: Header=BB415_13 Depth=1
	v_and_b32_e32 v28, 7, v1
	v_lshrrev_b32_e32 v0, 3, v3
	v_mov_b32_e32 v83, v29
	s_mov_b32 s24, exec_lo
	s_delay_alu instid0(VALU_DEP_3)
	v_mov_b32_e32 v82, v28
	v_cmpx_gt_u32_e32 8, v3
; %bb.152:                              ;   in Loop: Header=BB415_13 Depth=1
	v_clz_i32_u32_e32 v0, v28
	s_delay_alu instid0(VALU_DEP_1) | instskip(NEXT) | instid1(VALU_DEP_1)
	v_min_u32_e32 v0, 32, v0
	v_subrev_nc_u32_e32 v2, 28, v0
	v_sub_nc_u32_e32 v0, 29, v0
	s_delay_alu instid0(VALU_DEP_2) | instskip(NEXT) | instid1(VALU_DEP_1)
	v_lshlrev_b64 v[2:3], v2, v[28:29]
	v_and_b32_e32 v82, 7, v2
; %bb.153:                              ;   in Loop: Header=BB415_13 Depth=1
	s_or_b32 exec_lo, exec_lo, s24
	v_lshlrev_b32_e32 v1, 24, v1
	s_delay_alu instid0(VALU_DEP_2) | instskip(SKIP_1) | instid1(VALU_DEP_3)
	v_lshlrev_b32_e32 v2, 20, v82
	v_lshl_add_u32 v0, v0, 23, 0x3c000000
	v_and_b32_e32 v1, 0x80000000, v1
	s_delay_alu instid0(VALU_DEP_1)
	v_or3_b32 v2, v2, v1, v0
.LBB415_154:                            ;   in Loop: Header=BB415_13 Depth=1
	s_or_b32 exec_lo, exec_lo, s23
.LBB415_155:                            ;   in Loop: Header=BB415_13 Depth=1
	s_delay_alu instid0(SALU_CYCLE_1)
	s_or_b32 exec_lo, exec_lo, s22
.LBB415_156:                            ;   in Loop: Header=BB415_13 Depth=1
	s_delay_alu instid0(SALU_CYCLE_1) | instskip(NEXT) | instid1(VALU_DEP_1)
	s_or_b32 exec_lo, exec_lo, s21
	v_mul_f32_e32 v0, v144, v2
                                        ; implicit-def: $vgpr163
	s_delay_alu instid0(VALU_DEP_1) | instskip(NEXT) | instid1(VALU_DEP_1)
	v_and_b32_e32 v1, 0x7f800000, v0
	v_cmp_ne_u32_e64 s3, 0x7f800000, v1
	s_delay_alu instid0(VALU_DEP_1) | instskip(NEXT) | instid1(SALU_CYCLE_1)
	s_and_saveexec_b32 s21, s3
	s_xor_b32 s3, exec_lo, s21
; %bb.157:                              ;   in Loop: Header=BB415_13 Depth=1
	v_bfe_u32 v1, v0, 16, 1
	s_delay_alu instid0(VALU_DEP_1)
	v_add3_u32 v163, v0, v1, 0x7fff
                                        ; implicit-def: $vgpr0
; %bb.158:                              ;   in Loop: Header=BB415_13 Depth=1
	s_and_not1_saveexec_b32 s21, s3
; %bb.159:                              ;   in Loop: Header=BB415_13 Depth=1
	v_and_b32_e32 v1, 0xffff, v0
	v_or_b32_e32 v2, 0x10000, v0
	s_delay_alu instid0(VALU_DEP_2) | instskip(NEXT) | instid1(VALU_DEP_1)
	v_cmp_eq_u32_e64 s3, 0, v1
	v_cndmask_b32_e64 v163, v2, v0, s3
; %bb.160:                              ;   in Loop: Header=BB415_13 Depth=1
	s_or_b32 exec_lo, exec_lo, s21
	flat_load_b32 v0, v[80:81] offset:264
	s_mov_b32 s21, exec_lo
	s_waitcnt vmcnt(0) lgkmcnt(0)
	v_dual_mov_b32 v1, 0 :: v_dual_and_b32 v2, 0xff, v0
	s_delay_alu instid0(VALU_DEP_1)
	v_cmpx_ne_u16_e32 0, v2
	s_cbranch_execz .LBB415_168
; %bb.161:                              ;   in Loop: Header=BB415_13 Depth=1
	v_bfrev_b32_e32 v1, 1
	s_mov_b32 s22, exec_lo
	v_cmpx_ne_u16_e32 0x80, v2
	s_cbranch_execz .LBB415_167
; %bb.162:                              ;   in Loop: Header=BB415_13 Depth=1
	v_and_b32_e32 v2, 0x7f, v0
	v_mov_b32_e32 v1, 0x7f800001
	s_mov_b32 s23, exec_lo
	s_delay_alu instid0(VALU_DEP_2)
	v_cmpx_ne_u32_e32 0x7f, v2
	s_cbranch_execz .LBB415_166
; %bb.163:                              ;   in Loop: Header=BB415_13 Depth=1
	v_and_b32_e32 v28, 7, v0
	v_lshrrev_b32_e32 v1, 3, v2
	v_mov_b32_e32 v83, v29
	s_mov_b32 s24, exec_lo
	s_delay_alu instid0(VALU_DEP_3)
	v_mov_b32_e32 v82, v28
	v_cmpx_gt_u32_e32 8, v2
; %bb.164:                              ;   in Loop: Header=BB415_13 Depth=1
	v_clz_i32_u32_e32 v1, v28
	s_delay_alu instid0(VALU_DEP_1) | instskip(NEXT) | instid1(VALU_DEP_1)
	v_min_u32_e32 v1, 32, v1
	v_subrev_nc_u32_e32 v2, 28, v1
	v_sub_nc_u32_e32 v1, 29, v1
	s_delay_alu instid0(VALU_DEP_2) | instskip(NEXT) | instid1(VALU_DEP_1)
	v_lshlrev_b64 v[2:3], v2, v[28:29]
	v_and_b32_e32 v82, 7, v2
; %bb.165:                              ;   in Loop: Header=BB415_13 Depth=1
	s_or_b32 exec_lo, exec_lo, s24
	v_lshlrev_b32_e32 v2, 24, v0
	s_delay_alu instid0(VALU_DEP_2) | instskip(SKIP_1) | instid1(VALU_DEP_3)
	v_lshlrev_b32_e32 v3, 20, v82
	v_lshl_add_u32 v1, v1, 23, 0x3c000000
	v_and_b32_e32 v2, 0x80000000, v2
	s_delay_alu instid0(VALU_DEP_1)
	v_or3_b32 v1, v3, v2, v1
.LBB415_166:                            ;   in Loop: Header=BB415_13 Depth=1
	s_or_b32 exec_lo, exec_lo, s23
.LBB415_167:                            ;   in Loop: Header=BB415_13 Depth=1
	s_delay_alu instid0(SALU_CYCLE_1)
	s_or_b32 exec_lo, exec_lo, s22
.LBB415_168:                            ;   in Loop: Header=BB415_13 Depth=1
	s_delay_alu instid0(SALU_CYCLE_1) | instskip(NEXT) | instid1(VALU_DEP_1)
	s_or_b32 exec_lo, exec_lo, s21
	v_mul_f32_e32 v1, v144, v1
                                        ; implicit-def: $vgpr164
	s_delay_alu instid0(VALU_DEP_1) | instskip(NEXT) | instid1(VALU_DEP_1)
	v_and_b32_e32 v2, 0x7f800000, v1
	v_cmp_ne_u32_e64 s3, 0x7f800000, v2
	s_delay_alu instid0(VALU_DEP_1) | instskip(NEXT) | instid1(SALU_CYCLE_1)
	s_and_saveexec_b32 s21, s3
	s_xor_b32 s3, exec_lo, s21
; %bb.169:                              ;   in Loop: Header=BB415_13 Depth=1
	v_bfe_u32 v2, v1, 16, 1
	s_delay_alu instid0(VALU_DEP_1)
	v_add3_u32 v164, v1, v2, 0x7fff
                                        ; implicit-def: $vgpr1
; %bb.170:                              ;   in Loop: Header=BB415_13 Depth=1
	s_and_not1_saveexec_b32 s21, s3
; %bb.171:                              ;   in Loop: Header=BB415_13 Depth=1
	v_and_b32_e32 v2, 0xffff, v1
	v_or_b32_e32 v3, 0x10000, v1
	s_delay_alu instid0(VALU_DEP_2) | instskip(NEXT) | instid1(VALU_DEP_1)
	v_cmp_eq_u32_e64 s3, 0, v2
	v_cndmask_b32_e64 v164, v3, v1, s3
; %bb.172:                              ;   in Loop: Header=BB415_13 Depth=1
	s_or_b32 exec_lo, exec_lo, s21
	v_lshrrev_b16 v2, 8, v0
	v_mov_b32_e32 v1, 0
	s_mov_b32 s21, exec_lo
	s_delay_alu instid0(VALU_DEP_2)
	v_cmpx_ne_u16_e32 0, v2
	s_cbranch_execz .LBB415_180
; %bb.173:                              ;   in Loop: Header=BB415_13 Depth=1
	v_bfrev_b32_e32 v1, 1
	s_mov_b32 s22, exec_lo
	v_cmpx_ne_u16_e32 0x80, v2
	s_cbranch_execz .LBB415_179
; %bb.174:                              ;   in Loop: Header=BB415_13 Depth=1
	v_and_b32_e32 v3, 0xffff, v2
	v_mov_b32_e32 v1, 0x7f800001
	s_mov_b32 s23, exec_lo
	s_delay_alu instid0(VALU_DEP_2) | instskip(NEXT) | instid1(VALU_DEP_1)
	v_and_b32_e32 v2, 0x7f, v3
	v_cmpx_ne_u32_e32 0x7f, v2
	s_cbranch_execz .LBB415_178
; %bb.175:                              ;   in Loop: Header=BB415_13 Depth=1
	v_and_b32_e32 v28, 7, v3
	v_lshrrev_b32_e32 v1, 3, v2
	v_mov_b32_e32 v83, v29
	s_mov_b32 s24, exec_lo
	s_delay_alu instid0(VALU_DEP_3)
	v_mov_b32_e32 v82, v28
	v_cmpx_gt_u32_e32 8, v2
; %bb.176:                              ;   in Loop: Header=BB415_13 Depth=1
	v_clz_i32_u32_e32 v1, v28
	s_delay_alu instid0(VALU_DEP_1) | instskip(NEXT) | instid1(VALU_DEP_1)
	v_min_u32_e32 v1, 32, v1
	v_subrev_nc_u32_e32 v2, 28, v1
	v_sub_nc_u32_e32 v1, 29, v1
	s_delay_alu instid0(VALU_DEP_2) | instskip(NEXT) | instid1(VALU_DEP_1)
	v_lshlrev_b64 v[2:3], v2, v[28:29]
	v_and_b32_e32 v82, 7, v2
; %bb.177:                              ;   in Loop: Header=BB415_13 Depth=1
	s_or_b32 exec_lo, exec_lo, s24
	v_lshlrev_b32_e32 v2, 16, v0
	s_delay_alu instid0(VALU_DEP_2) | instskip(SKIP_1) | instid1(VALU_DEP_3)
	v_lshlrev_b32_e32 v3, 20, v82
	v_lshl_add_u32 v1, v1, 23, 0x3c000000
	v_and_b32_e32 v2, 0x80000000, v2
	s_delay_alu instid0(VALU_DEP_1)
	v_or3_b32 v1, v3, v2, v1
.LBB415_178:                            ;   in Loop: Header=BB415_13 Depth=1
	s_or_b32 exec_lo, exec_lo, s23
.LBB415_179:                            ;   in Loop: Header=BB415_13 Depth=1
	s_delay_alu instid0(SALU_CYCLE_1)
	s_or_b32 exec_lo, exec_lo, s22
.LBB415_180:                            ;   in Loop: Header=BB415_13 Depth=1
	s_delay_alu instid0(SALU_CYCLE_1) | instskip(NEXT) | instid1(VALU_DEP_1)
	s_or_b32 exec_lo, exec_lo, s21
	v_mul_f32_e32 v1, v144, v1
                                        ; implicit-def: $vgpr165
	s_delay_alu instid0(VALU_DEP_1) | instskip(NEXT) | instid1(VALU_DEP_1)
	v_and_b32_e32 v2, 0x7f800000, v1
	v_cmp_ne_u32_e64 s3, 0x7f800000, v2
	s_delay_alu instid0(VALU_DEP_1) | instskip(NEXT) | instid1(SALU_CYCLE_1)
	s_and_saveexec_b32 s21, s3
	s_xor_b32 s3, exec_lo, s21
; %bb.181:                              ;   in Loop: Header=BB415_13 Depth=1
	v_bfe_u32 v2, v1, 16, 1
	s_delay_alu instid0(VALU_DEP_1)
	v_add3_u32 v165, v1, v2, 0x7fff
                                        ; implicit-def: $vgpr1
; %bb.182:                              ;   in Loop: Header=BB415_13 Depth=1
	s_and_not1_saveexec_b32 s21, s3
; %bb.183:                              ;   in Loop: Header=BB415_13 Depth=1
	v_and_b32_e32 v2, 0xffff, v1
	v_or_b32_e32 v3, 0x10000, v1
	s_delay_alu instid0(VALU_DEP_2) | instskip(NEXT) | instid1(VALU_DEP_1)
	v_cmp_eq_u32_e64 s3, 0, v2
	v_cndmask_b32_e64 v165, v3, v1, s3
; %bb.184:                              ;   in Loop: Header=BB415_13 Depth=1
	s_or_b32 exec_lo, exec_lo, s21
	v_lshrrev_b32_e32 v1, 16, v0
	s_mov_b32 s21, exec_lo
	s_delay_alu instid0(VALU_DEP_1) | instskip(NEXT) | instid1(VALU_DEP_1)
	v_dual_mov_b32 v2, 0 :: v_dual_and_b32 v3, 0xff, v1
	v_cmpx_ne_u16_e32 0, v3
	s_cbranch_execz .LBB415_192
; %bb.185:                              ;   in Loop: Header=BB415_13 Depth=1
	v_bfrev_b32_e32 v2, 1
	s_mov_b32 s22, exec_lo
	v_cmpx_ne_u16_e32 0x80, v3
	s_cbranch_execz .LBB415_191
; %bb.186:                              ;   in Loop: Header=BB415_13 Depth=1
	v_bfe_u32 v3, v0, 16, 7
	v_mov_b32_e32 v2, 0x7f800001
	s_mov_b32 s23, exec_lo
	s_delay_alu instid0(VALU_DEP_2)
	v_cmpx_ne_u32_e32 0x7f, v3
	s_cbranch_execz .LBB415_190
; %bb.187:                              ;   in Loop: Header=BB415_13 Depth=1
	v_and_b32_e32 v28, 7, v1
	v_lshrrev_b32_e32 v2, 3, v3
	v_mov_b32_e32 v83, v29
	s_mov_b32 s24, exec_lo
	s_delay_alu instid0(VALU_DEP_3)
	v_mov_b32_e32 v82, v28
	v_cmpx_gt_u32_e32 8, v3
; %bb.188:                              ;   in Loop: Header=BB415_13 Depth=1
	v_clz_i32_u32_e32 v2, v28
	s_delay_alu instid0(VALU_DEP_1) | instskip(NEXT) | instid1(VALU_DEP_1)
	v_min_u32_e32 v2, 32, v2
	v_subrev_nc_u32_e32 v3, 28, v2
	v_sub_nc_u32_e32 v2, 29, v2
	s_delay_alu instid0(VALU_DEP_2) | instskip(NEXT) | instid1(VALU_DEP_1)
	v_lshlrev_b64 v[3:4], v3, v[28:29]
	v_and_b32_e32 v82, 7, v3
; %bb.189:                              ;   in Loop: Header=BB415_13 Depth=1
	s_or_b32 exec_lo, exec_lo, s24
	v_lshlrev_b32_e32 v1, 24, v1
	s_delay_alu instid0(VALU_DEP_2) | instskip(SKIP_1) | instid1(VALU_DEP_3)
	v_lshlrev_b32_e32 v3, 20, v82
	v_lshl_add_u32 v2, v2, 23, 0x3c000000
	v_and_b32_e32 v1, 0x80000000, v1
	s_delay_alu instid0(VALU_DEP_1)
	v_or3_b32 v2, v3, v1, v2
.LBB415_190:                            ;   in Loop: Header=BB415_13 Depth=1
	s_or_b32 exec_lo, exec_lo, s23
.LBB415_191:                            ;   in Loop: Header=BB415_13 Depth=1
	s_delay_alu instid0(SALU_CYCLE_1)
	s_or_b32 exec_lo, exec_lo, s22
.LBB415_192:                            ;   in Loop: Header=BB415_13 Depth=1
	s_delay_alu instid0(SALU_CYCLE_1) | instskip(NEXT) | instid1(VALU_DEP_1)
	s_or_b32 exec_lo, exec_lo, s21
	v_mul_f32_e32 v1, v144, v2
                                        ; implicit-def: $vgpr166
	s_delay_alu instid0(VALU_DEP_1) | instskip(NEXT) | instid1(VALU_DEP_1)
	v_and_b32_e32 v2, 0x7f800000, v1
	v_cmp_ne_u32_e64 s3, 0x7f800000, v2
	s_delay_alu instid0(VALU_DEP_1) | instskip(NEXT) | instid1(SALU_CYCLE_1)
	s_and_saveexec_b32 s21, s3
	s_xor_b32 s3, exec_lo, s21
; %bb.193:                              ;   in Loop: Header=BB415_13 Depth=1
	v_bfe_u32 v2, v1, 16, 1
	s_delay_alu instid0(VALU_DEP_1)
	v_add3_u32 v166, v1, v2, 0x7fff
                                        ; implicit-def: $vgpr1
; %bb.194:                              ;   in Loop: Header=BB415_13 Depth=1
	s_and_not1_saveexec_b32 s21, s3
; %bb.195:                              ;   in Loop: Header=BB415_13 Depth=1
	v_and_b32_e32 v2, 0xffff, v1
	v_or_b32_e32 v3, 0x10000, v1
	s_delay_alu instid0(VALU_DEP_2) | instskip(NEXT) | instid1(VALU_DEP_1)
	v_cmp_eq_u32_e64 s3, 0, v2
	v_cndmask_b32_e64 v166, v3, v1, s3
; %bb.196:                              ;   in Loop: Header=BB415_13 Depth=1
	s_or_b32 exec_lo, exec_lo, s21
	v_mov_b32_e32 v2, 0
	s_mov_b32 s21, exec_lo
	v_cmpx_lt_u32_e32 0xffffff, v0
	s_cbranch_execz .LBB415_204
; %bb.197:                              ;   in Loop: Header=BB415_13 Depth=1
	v_lshrrev_b32_e32 v1, 24, v0
	v_bfrev_b32_e32 v2, 1
	s_mov_b32 s22, exec_lo
	s_delay_alu instid0(VALU_DEP_2)
	v_cmpx_ne_u32_e32 0x80, v1
	s_cbranch_execz .LBB415_203
; %bb.198:                              ;   in Loop: Header=BB415_13 Depth=1
	v_bfe_u32 v3, v0, 24, 7
	v_mov_b32_e32 v2, 0x7f800001
	s_mov_b32 s23, exec_lo
	s_delay_alu instid0(VALU_DEP_2)
	v_cmpx_ne_u32_e32 0x7f, v3
	s_cbranch_execz .LBB415_202
; %bb.199:                              ;   in Loop: Header=BB415_13 Depth=1
	v_and_b32_e32 v28, 7, v1
	v_lshrrev_b32_e32 v0, 3, v3
	v_mov_b32_e32 v83, v29
	s_mov_b32 s24, exec_lo
	s_delay_alu instid0(VALU_DEP_3)
	v_mov_b32_e32 v82, v28
	v_cmpx_gt_u32_e32 8, v3
; %bb.200:                              ;   in Loop: Header=BB415_13 Depth=1
	v_clz_i32_u32_e32 v0, v28
	s_delay_alu instid0(VALU_DEP_1) | instskip(NEXT) | instid1(VALU_DEP_1)
	v_min_u32_e32 v0, 32, v0
	v_subrev_nc_u32_e32 v2, 28, v0
	v_sub_nc_u32_e32 v0, 29, v0
	s_delay_alu instid0(VALU_DEP_2) | instskip(NEXT) | instid1(VALU_DEP_1)
	v_lshlrev_b64 v[2:3], v2, v[28:29]
	v_and_b32_e32 v82, 7, v2
; %bb.201:                              ;   in Loop: Header=BB415_13 Depth=1
	s_or_b32 exec_lo, exec_lo, s24
	v_lshlrev_b32_e32 v1, 24, v1
	s_delay_alu instid0(VALU_DEP_2) | instskip(SKIP_1) | instid1(VALU_DEP_3)
	v_lshlrev_b32_e32 v2, 20, v82
	v_lshl_add_u32 v0, v0, 23, 0x3c000000
	v_and_b32_e32 v1, 0x80000000, v1
	s_delay_alu instid0(VALU_DEP_1)
	v_or3_b32 v2, v2, v1, v0
.LBB415_202:                            ;   in Loop: Header=BB415_13 Depth=1
	s_or_b32 exec_lo, exec_lo, s23
.LBB415_203:                            ;   in Loop: Header=BB415_13 Depth=1
	s_delay_alu instid0(SALU_CYCLE_1)
	s_or_b32 exec_lo, exec_lo, s22
.LBB415_204:                            ;   in Loop: Header=BB415_13 Depth=1
	s_delay_alu instid0(SALU_CYCLE_1) | instskip(NEXT) | instid1(VALU_DEP_1)
	s_or_b32 exec_lo, exec_lo, s21
	v_mul_f32_e32 v0, v144, v2
                                        ; implicit-def: $vgpr167
	s_delay_alu instid0(VALU_DEP_1) | instskip(NEXT) | instid1(VALU_DEP_1)
	v_and_b32_e32 v1, 0x7f800000, v0
	v_cmp_ne_u32_e64 s3, 0x7f800000, v1
	s_delay_alu instid0(VALU_DEP_1) | instskip(NEXT) | instid1(SALU_CYCLE_1)
	s_and_saveexec_b32 s21, s3
	s_xor_b32 s3, exec_lo, s21
; %bb.205:                              ;   in Loop: Header=BB415_13 Depth=1
	v_bfe_u32 v1, v0, 16, 1
	s_delay_alu instid0(VALU_DEP_1)
	v_add3_u32 v167, v0, v1, 0x7fff
                                        ; implicit-def: $vgpr0
; %bb.206:                              ;   in Loop: Header=BB415_13 Depth=1
	s_and_not1_saveexec_b32 s21, s3
; %bb.207:                              ;   in Loop: Header=BB415_13 Depth=1
	v_and_b32_e32 v1, 0xffff, v0
	v_or_b32_e32 v2, 0x10000, v0
	s_delay_alu instid0(VALU_DEP_2) | instskip(NEXT) | instid1(VALU_DEP_1)
	v_cmp_eq_u32_e64 s3, 0, v1
	v_cndmask_b32_e64 v167, v2, v0, s3
; %bb.208:                              ;   in Loop: Header=BB415_13 Depth=1
	s_or_b32 exec_lo, exec_lo, s21
	flat_load_b32 v0, v[80:81] offset:512
	s_mov_b32 s21, exec_lo
	s_waitcnt vmcnt(0) lgkmcnt(0)
	v_dual_mov_b32 v1, 0 :: v_dual_and_b32 v2, 0xff, v0
	s_delay_alu instid0(VALU_DEP_1)
	v_cmpx_ne_u16_e32 0, v2
	s_cbranch_execz .LBB415_216
; %bb.209:                              ;   in Loop: Header=BB415_13 Depth=1
	v_bfrev_b32_e32 v1, 1
	s_mov_b32 s22, exec_lo
	v_cmpx_ne_u16_e32 0x80, v2
	s_cbranch_execz .LBB415_215
; %bb.210:                              ;   in Loop: Header=BB415_13 Depth=1
	v_and_b32_e32 v2, 0x7f, v0
	v_mov_b32_e32 v1, 0x7f800001
	s_mov_b32 s23, exec_lo
	s_delay_alu instid0(VALU_DEP_2)
	v_cmpx_ne_u32_e32 0x7f, v2
	s_cbranch_execz .LBB415_214
; %bb.211:                              ;   in Loop: Header=BB415_13 Depth=1
	v_and_b32_e32 v28, 7, v0
	v_lshrrev_b32_e32 v1, 3, v2
	v_mov_b32_e32 v83, v29
	s_mov_b32 s24, exec_lo
	s_delay_alu instid0(VALU_DEP_3)
	v_mov_b32_e32 v82, v28
	v_cmpx_gt_u32_e32 8, v2
; %bb.212:                              ;   in Loop: Header=BB415_13 Depth=1
	v_clz_i32_u32_e32 v1, v28
	s_delay_alu instid0(VALU_DEP_1) | instskip(NEXT) | instid1(VALU_DEP_1)
	v_min_u32_e32 v1, 32, v1
	v_subrev_nc_u32_e32 v2, 28, v1
	v_sub_nc_u32_e32 v1, 29, v1
	s_delay_alu instid0(VALU_DEP_2) | instskip(NEXT) | instid1(VALU_DEP_1)
	v_lshlrev_b64 v[2:3], v2, v[28:29]
	v_and_b32_e32 v82, 7, v2
; %bb.213:                              ;   in Loop: Header=BB415_13 Depth=1
	s_or_b32 exec_lo, exec_lo, s24
	v_lshlrev_b32_e32 v2, 24, v0
	s_delay_alu instid0(VALU_DEP_2) | instskip(SKIP_1) | instid1(VALU_DEP_3)
	v_lshlrev_b32_e32 v3, 20, v82
	v_lshl_add_u32 v1, v1, 23, 0x3c000000
	v_and_b32_e32 v2, 0x80000000, v2
	s_delay_alu instid0(VALU_DEP_1)
	v_or3_b32 v1, v3, v2, v1
.LBB415_214:                            ;   in Loop: Header=BB415_13 Depth=1
	s_or_b32 exec_lo, exec_lo, s23
.LBB415_215:                            ;   in Loop: Header=BB415_13 Depth=1
	s_delay_alu instid0(SALU_CYCLE_1)
	s_or_b32 exec_lo, exec_lo, s22
.LBB415_216:                            ;   in Loop: Header=BB415_13 Depth=1
	s_delay_alu instid0(SALU_CYCLE_1) | instskip(NEXT) | instid1(VALU_DEP_1)
	s_or_b32 exec_lo, exec_lo, s21
	v_mul_f32_e32 v1, v144, v1
                                        ; implicit-def: $vgpr176
	s_delay_alu instid0(VALU_DEP_1) | instskip(NEXT) | instid1(VALU_DEP_1)
	v_and_b32_e32 v2, 0x7f800000, v1
	v_cmp_ne_u32_e64 s3, 0x7f800000, v2
	s_delay_alu instid0(VALU_DEP_1) | instskip(NEXT) | instid1(SALU_CYCLE_1)
	s_and_saveexec_b32 s21, s3
	s_xor_b32 s3, exec_lo, s21
; %bb.217:                              ;   in Loop: Header=BB415_13 Depth=1
	v_bfe_u32 v2, v1, 16, 1
	s_delay_alu instid0(VALU_DEP_1)
	v_add3_u32 v176, v1, v2, 0x7fff
                                        ; implicit-def: $vgpr1
; %bb.218:                              ;   in Loop: Header=BB415_13 Depth=1
	s_and_not1_saveexec_b32 s21, s3
; %bb.219:                              ;   in Loop: Header=BB415_13 Depth=1
	v_and_b32_e32 v2, 0xffff, v1
	v_or_b32_e32 v3, 0x10000, v1
	s_delay_alu instid0(VALU_DEP_2) | instskip(NEXT) | instid1(VALU_DEP_1)
	v_cmp_eq_u32_e64 s3, 0, v2
	v_cndmask_b32_e64 v176, v3, v1, s3
; %bb.220:                              ;   in Loop: Header=BB415_13 Depth=1
	s_or_b32 exec_lo, exec_lo, s21
	v_lshrrev_b16 v2, 8, v0
	v_mov_b32_e32 v1, 0
	s_mov_b32 s21, exec_lo
	s_delay_alu instid0(VALU_DEP_2)
	v_cmpx_ne_u16_e32 0, v2
	s_cbranch_execz .LBB415_228
; %bb.221:                              ;   in Loop: Header=BB415_13 Depth=1
	v_bfrev_b32_e32 v1, 1
	s_mov_b32 s22, exec_lo
	v_cmpx_ne_u16_e32 0x80, v2
	s_cbranch_execz .LBB415_227
; %bb.222:                              ;   in Loop: Header=BB415_13 Depth=1
	v_and_b32_e32 v3, 0xffff, v2
	v_mov_b32_e32 v1, 0x7f800001
	s_mov_b32 s23, exec_lo
	s_delay_alu instid0(VALU_DEP_2) | instskip(NEXT) | instid1(VALU_DEP_1)
	v_and_b32_e32 v2, 0x7f, v3
	v_cmpx_ne_u32_e32 0x7f, v2
	s_cbranch_execz .LBB415_226
; %bb.223:                              ;   in Loop: Header=BB415_13 Depth=1
	v_and_b32_e32 v28, 7, v3
	v_lshrrev_b32_e32 v1, 3, v2
	v_mov_b32_e32 v83, v29
	s_mov_b32 s24, exec_lo
	s_delay_alu instid0(VALU_DEP_3)
	v_mov_b32_e32 v82, v28
	v_cmpx_gt_u32_e32 8, v2
; %bb.224:                              ;   in Loop: Header=BB415_13 Depth=1
	v_clz_i32_u32_e32 v1, v28
	s_delay_alu instid0(VALU_DEP_1) | instskip(NEXT) | instid1(VALU_DEP_1)
	v_min_u32_e32 v1, 32, v1
	v_subrev_nc_u32_e32 v2, 28, v1
	v_sub_nc_u32_e32 v1, 29, v1
	s_delay_alu instid0(VALU_DEP_2) | instskip(NEXT) | instid1(VALU_DEP_1)
	v_lshlrev_b64 v[2:3], v2, v[28:29]
	v_and_b32_e32 v82, 7, v2
; %bb.225:                              ;   in Loop: Header=BB415_13 Depth=1
	s_or_b32 exec_lo, exec_lo, s24
	v_lshlrev_b32_e32 v2, 16, v0
	s_delay_alu instid0(VALU_DEP_2) | instskip(SKIP_1) | instid1(VALU_DEP_3)
	v_lshlrev_b32_e32 v3, 20, v82
	v_lshl_add_u32 v1, v1, 23, 0x3c000000
	v_and_b32_e32 v2, 0x80000000, v2
	s_delay_alu instid0(VALU_DEP_1)
	v_or3_b32 v1, v3, v2, v1
.LBB415_226:                            ;   in Loop: Header=BB415_13 Depth=1
	s_or_b32 exec_lo, exec_lo, s23
.LBB415_227:                            ;   in Loop: Header=BB415_13 Depth=1
	s_delay_alu instid0(SALU_CYCLE_1)
	s_or_b32 exec_lo, exec_lo, s22
.LBB415_228:                            ;   in Loop: Header=BB415_13 Depth=1
	s_delay_alu instid0(SALU_CYCLE_1) | instskip(NEXT) | instid1(VALU_DEP_1)
	s_or_b32 exec_lo, exec_lo, s21
	v_mul_f32_e32 v1, v144, v1
                                        ; implicit-def: $vgpr177
	s_delay_alu instid0(VALU_DEP_1) | instskip(NEXT) | instid1(VALU_DEP_1)
	v_and_b32_e32 v2, 0x7f800000, v1
	v_cmp_ne_u32_e64 s3, 0x7f800000, v2
	s_delay_alu instid0(VALU_DEP_1) | instskip(NEXT) | instid1(SALU_CYCLE_1)
	s_and_saveexec_b32 s21, s3
	s_xor_b32 s3, exec_lo, s21
; %bb.229:                              ;   in Loop: Header=BB415_13 Depth=1
	v_bfe_u32 v2, v1, 16, 1
	s_delay_alu instid0(VALU_DEP_1)
	v_add3_u32 v177, v1, v2, 0x7fff
                                        ; implicit-def: $vgpr1
; %bb.230:                              ;   in Loop: Header=BB415_13 Depth=1
	s_and_not1_saveexec_b32 s21, s3
; %bb.231:                              ;   in Loop: Header=BB415_13 Depth=1
	v_and_b32_e32 v2, 0xffff, v1
	v_or_b32_e32 v3, 0x10000, v1
	s_delay_alu instid0(VALU_DEP_2) | instskip(NEXT) | instid1(VALU_DEP_1)
	v_cmp_eq_u32_e64 s3, 0, v2
	v_cndmask_b32_e64 v177, v3, v1, s3
; %bb.232:                              ;   in Loop: Header=BB415_13 Depth=1
	s_or_b32 exec_lo, exec_lo, s21
	v_lshrrev_b32_e32 v1, 16, v0
	s_mov_b32 s21, exec_lo
	s_delay_alu instid0(VALU_DEP_1) | instskip(NEXT) | instid1(VALU_DEP_1)
	v_dual_mov_b32 v2, 0 :: v_dual_and_b32 v3, 0xff, v1
	v_cmpx_ne_u16_e32 0, v3
	s_cbranch_execz .LBB415_240
; %bb.233:                              ;   in Loop: Header=BB415_13 Depth=1
	v_bfrev_b32_e32 v2, 1
	s_mov_b32 s22, exec_lo
	v_cmpx_ne_u16_e32 0x80, v3
	s_cbranch_execz .LBB415_239
; %bb.234:                              ;   in Loop: Header=BB415_13 Depth=1
	v_bfe_u32 v3, v0, 16, 7
	v_mov_b32_e32 v2, 0x7f800001
	s_mov_b32 s23, exec_lo
	s_delay_alu instid0(VALU_DEP_2)
	v_cmpx_ne_u32_e32 0x7f, v3
	s_cbranch_execz .LBB415_238
; %bb.235:                              ;   in Loop: Header=BB415_13 Depth=1
	v_and_b32_e32 v28, 7, v1
	v_lshrrev_b32_e32 v2, 3, v3
	v_mov_b32_e32 v83, v29
	s_mov_b32 s24, exec_lo
	s_delay_alu instid0(VALU_DEP_3)
	v_mov_b32_e32 v82, v28
	v_cmpx_gt_u32_e32 8, v3
; %bb.236:                              ;   in Loop: Header=BB415_13 Depth=1
	v_clz_i32_u32_e32 v2, v28
	s_delay_alu instid0(VALU_DEP_1) | instskip(NEXT) | instid1(VALU_DEP_1)
	v_min_u32_e32 v2, 32, v2
	v_subrev_nc_u32_e32 v3, 28, v2
	v_sub_nc_u32_e32 v2, 29, v2
	s_delay_alu instid0(VALU_DEP_2) | instskip(NEXT) | instid1(VALU_DEP_1)
	v_lshlrev_b64 v[3:4], v3, v[28:29]
	v_and_b32_e32 v82, 7, v3
; %bb.237:                              ;   in Loop: Header=BB415_13 Depth=1
	s_or_b32 exec_lo, exec_lo, s24
	v_lshlrev_b32_e32 v1, 24, v1
	s_delay_alu instid0(VALU_DEP_2) | instskip(SKIP_1) | instid1(VALU_DEP_3)
	v_lshlrev_b32_e32 v3, 20, v82
	v_lshl_add_u32 v2, v2, 23, 0x3c000000
	v_and_b32_e32 v1, 0x80000000, v1
	s_delay_alu instid0(VALU_DEP_1)
	v_or3_b32 v2, v3, v1, v2
.LBB415_238:                            ;   in Loop: Header=BB415_13 Depth=1
	s_or_b32 exec_lo, exec_lo, s23
.LBB415_239:                            ;   in Loop: Header=BB415_13 Depth=1
	s_delay_alu instid0(SALU_CYCLE_1)
	s_or_b32 exec_lo, exec_lo, s22
.LBB415_240:                            ;   in Loop: Header=BB415_13 Depth=1
	s_delay_alu instid0(SALU_CYCLE_1) | instskip(NEXT) | instid1(VALU_DEP_1)
	s_or_b32 exec_lo, exec_lo, s21
	v_mul_f32_e32 v1, v144, v2
                                        ; implicit-def: $vgpr178
	s_delay_alu instid0(VALU_DEP_1) | instskip(NEXT) | instid1(VALU_DEP_1)
	v_and_b32_e32 v2, 0x7f800000, v1
	v_cmp_ne_u32_e64 s3, 0x7f800000, v2
	s_delay_alu instid0(VALU_DEP_1) | instskip(NEXT) | instid1(SALU_CYCLE_1)
	s_and_saveexec_b32 s21, s3
	s_xor_b32 s3, exec_lo, s21
; %bb.241:                              ;   in Loop: Header=BB415_13 Depth=1
	v_bfe_u32 v2, v1, 16, 1
	s_delay_alu instid0(VALU_DEP_1)
	v_add3_u32 v178, v1, v2, 0x7fff
                                        ; implicit-def: $vgpr1
; %bb.242:                              ;   in Loop: Header=BB415_13 Depth=1
	s_and_not1_saveexec_b32 s21, s3
; %bb.243:                              ;   in Loop: Header=BB415_13 Depth=1
	v_and_b32_e32 v2, 0xffff, v1
	v_or_b32_e32 v3, 0x10000, v1
	s_delay_alu instid0(VALU_DEP_2) | instskip(NEXT) | instid1(VALU_DEP_1)
	v_cmp_eq_u32_e64 s3, 0, v2
	v_cndmask_b32_e64 v178, v3, v1, s3
; %bb.244:                              ;   in Loop: Header=BB415_13 Depth=1
	s_or_b32 exec_lo, exec_lo, s21
	v_mov_b32_e32 v2, 0
	s_mov_b32 s21, exec_lo
	v_cmpx_lt_u32_e32 0xffffff, v0
	s_cbranch_execz .LBB415_252
; %bb.245:                              ;   in Loop: Header=BB415_13 Depth=1
	v_lshrrev_b32_e32 v1, 24, v0
	v_bfrev_b32_e32 v2, 1
	s_mov_b32 s22, exec_lo
	s_delay_alu instid0(VALU_DEP_2)
	v_cmpx_ne_u32_e32 0x80, v1
	s_cbranch_execz .LBB415_251
; %bb.246:                              ;   in Loop: Header=BB415_13 Depth=1
	v_bfe_u32 v3, v0, 24, 7
	v_mov_b32_e32 v2, 0x7f800001
	s_mov_b32 s23, exec_lo
	s_delay_alu instid0(VALU_DEP_2)
	v_cmpx_ne_u32_e32 0x7f, v3
	s_cbranch_execz .LBB415_250
; %bb.247:                              ;   in Loop: Header=BB415_13 Depth=1
	v_and_b32_e32 v28, 7, v1
	v_lshrrev_b32_e32 v0, 3, v3
	v_mov_b32_e32 v83, v29
	s_mov_b32 s24, exec_lo
	s_delay_alu instid0(VALU_DEP_3)
	v_mov_b32_e32 v82, v28
	v_cmpx_gt_u32_e32 8, v3
; %bb.248:                              ;   in Loop: Header=BB415_13 Depth=1
	v_clz_i32_u32_e32 v0, v28
	s_delay_alu instid0(VALU_DEP_1) | instskip(NEXT) | instid1(VALU_DEP_1)
	v_min_u32_e32 v0, 32, v0
	v_subrev_nc_u32_e32 v2, 28, v0
	v_sub_nc_u32_e32 v0, 29, v0
	s_delay_alu instid0(VALU_DEP_2) | instskip(NEXT) | instid1(VALU_DEP_1)
	v_lshlrev_b64 v[2:3], v2, v[28:29]
	v_and_b32_e32 v82, 7, v2
; %bb.249:                              ;   in Loop: Header=BB415_13 Depth=1
	s_or_b32 exec_lo, exec_lo, s24
	v_lshlrev_b32_e32 v1, 24, v1
	s_delay_alu instid0(VALU_DEP_2) | instskip(SKIP_1) | instid1(VALU_DEP_3)
	v_lshlrev_b32_e32 v2, 20, v82
	v_lshl_add_u32 v0, v0, 23, 0x3c000000
	v_and_b32_e32 v1, 0x80000000, v1
	s_delay_alu instid0(VALU_DEP_1)
	v_or3_b32 v2, v2, v1, v0
.LBB415_250:                            ;   in Loop: Header=BB415_13 Depth=1
	s_or_b32 exec_lo, exec_lo, s23
.LBB415_251:                            ;   in Loop: Header=BB415_13 Depth=1
	s_delay_alu instid0(SALU_CYCLE_1)
	s_or_b32 exec_lo, exec_lo, s22
.LBB415_252:                            ;   in Loop: Header=BB415_13 Depth=1
	s_delay_alu instid0(SALU_CYCLE_1) | instskip(NEXT) | instid1(VALU_DEP_1)
	s_or_b32 exec_lo, exec_lo, s21
	v_mul_f32_e32 v0, v144, v2
                                        ; implicit-def: $vgpr179
	s_delay_alu instid0(VALU_DEP_1) | instskip(NEXT) | instid1(VALU_DEP_1)
	v_and_b32_e32 v1, 0x7f800000, v0
	v_cmp_ne_u32_e64 s3, 0x7f800000, v1
	s_delay_alu instid0(VALU_DEP_1) | instskip(NEXT) | instid1(SALU_CYCLE_1)
	s_and_saveexec_b32 s21, s3
	s_xor_b32 s3, exec_lo, s21
; %bb.253:                              ;   in Loop: Header=BB415_13 Depth=1
	v_bfe_u32 v1, v0, 16, 1
	s_delay_alu instid0(VALU_DEP_1)
	v_add3_u32 v179, v0, v1, 0x7fff
                                        ; implicit-def: $vgpr0
; %bb.254:                              ;   in Loop: Header=BB415_13 Depth=1
	s_and_not1_saveexec_b32 s21, s3
; %bb.255:                              ;   in Loop: Header=BB415_13 Depth=1
	v_and_b32_e32 v1, 0xffff, v0
	v_or_b32_e32 v2, 0x10000, v0
	s_delay_alu instid0(VALU_DEP_2) | instskip(NEXT) | instid1(VALU_DEP_1)
	v_cmp_eq_u32_e64 s3, 0, v1
	v_cndmask_b32_e64 v179, v2, v0, s3
; %bb.256:                              ;   in Loop: Header=BB415_13 Depth=1
	s_or_b32 exec_lo, exec_lo, s21
	flat_load_b32 v0, v[80:81] offset:520
	s_mov_b32 s21, exec_lo
	s_waitcnt vmcnt(0) lgkmcnt(0)
	v_dual_mov_b32 v1, 0 :: v_dual_and_b32 v2, 0xff, v0
	s_delay_alu instid0(VALU_DEP_1)
	v_cmpx_ne_u16_e32 0, v2
	s_cbranch_execz .LBB415_264
; %bb.257:                              ;   in Loop: Header=BB415_13 Depth=1
	v_bfrev_b32_e32 v1, 1
	s_mov_b32 s22, exec_lo
	v_cmpx_ne_u16_e32 0x80, v2
	s_cbranch_execz .LBB415_263
; %bb.258:                              ;   in Loop: Header=BB415_13 Depth=1
	v_and_b32_e32 v2, 0x7f, v0
	v_mov_b32_e32 v1, 0x7f800001
	s_mov_b32 s23, exec_lo
	s_delay_alu instid0(VALU_DEP_2)
	v_cmpx_ne_u32_e32 0x7f, v2
	s_cbranch_execz .LBB415_262
; %bb.259:                              ;   in Loop: Header=BB415_13 Depth=1
	v_and_b32_e32 v28, 7, v0
	v_lshrrev_b32_e32 v1, 3, v2
	v_mov_b32_e32 v83, v29
	s_mov_b32 s24, exec_lo
	s_delay_alu instid0(VALU_DEP_3)
	v_mov_b32_e32 v82, v28
	v_cmpx_gt_u32_e32 8, v2
; %bb.260:                              ;   in Loop: Header=BB415_13 Depth=1
	v_clz_i32_u32_e32 v1, v28
	s_delay_alu instid0(VALU_DEP_1) | instskip(NEXT) | instid1(VALU_DEP_1)
	v_min_u32_e32 v1, 32, v1
	v_subrev_nc_u32_e32 v2, 28, v1
	v_sub_nc_u32_e32 v1, 29, v1
	s_delay_alu instid0(VALU_DEP_2) | instskip(NEXT) | instid1(VALU_DEP_1)
	v_lshlrev_b64 v[2:3], v2, v[28:29]
	v_and_b32_e32 v82, 7, v2
; %bb.261:                              ;   in Loop: Header=BB415_13 Depth=1
	s_or_b32 exec_lo, exec_lo, s24
	v_lshlrev_b32_e32 v2, 24, v0
	s_delay_alu instid0(VALU_DEP_2) | instskip(SKIP_1) | instid1(VALU_DEP_3)
	v_lshlrev_b32_e32 v3, 20, v82
	v_lshl_add_u32 v1, v1, 23, 0x3c000000
	v_and_b32_e32 v2, 0x80000000, v2
	s_delay_alu instid0(VALU_DEP_1)
	v_or3_b32 v1, v3, v2, v1
.LBB415_262:                            ;   in Loop: Header=BB415_13 Depth=1
	s_or_b32 exec_lo, exec_lo, s23
.LBB415_263:                            ;   in Loop: Header=BB415_13 Depth=1
	s_delay_alu instid0(SALU_CYCLE_1)
	s_or_b32 exec_lo, exec_lo, s22
.LBB415_264:                            ;   in Loop: Header=BB415_13 Depth=1
	s_delay_alu instid0(SALU_CYCLE_1) | instskip(NEXT) | instid1(VALU_DEP_1)
	s_or_b32 exec_lo, exec_lo, s21
	v_mul_f32_e32 v1, v144, v1
                                        ; implicit-def: $vgpr180
	s_delay_alu instid0(VALU_DEP_1) | instskip(NEXT) | instid1(VALU_DEP_1)
	v_and_b32_e32 v2, 0x7f800000, v1
	v_cmp_ne_u32_e64 s3, 0x7f800000, v2
	s_delay_alu instid0(VALU_DEP_1) | instskip(NEXT) | instid1(SALU_CYCLE_1)
	s_and_saveexec_b32 s21, s3
	s_xor_b32 s3, exec_lo, s21
; %bb.265:                              ;   in Loop: Header=BB415_13 Depth=1
	v_bfe_u32 v2, v1, 16, 1
	s_delay_alu instid0(VALU_DEP_1)
	v_add3_u32 v180, v1, v2, 0x7fff
                                        ; implicit-def: $vgpr1
; %bb.266:                              ;   in Loop: Header=BB415_13 Depth=1
	s_and_not1_saveexec_b32 s21, s3
; %bb.267:                              ;   in Loop: Header=BB415_13 Depth=1
	v_and_b32_e32 v2, 0xffff, v1
	v_or_b32_e32 v3, 0x10000, v1
	s_delay_alu instid0(VALU_DEP_2) | instskip(NEXT) | instid1(VALU_DEP_1)
	v_cmp_eq_u32_e64 s3, 0, v2
	v_cndmask_b32_e64 v180, v3, v1, s3
; %bb.268:                              ;   in Loop: Header=BB415_13 Depth=1
	s_or_b32 exec_lo, exec_lo, s21
	v_lshrrev_b16 v2, 8, v0
	v_mov_b32_e32 v1, 0
	s_mov_b32 s21, exec_lo
	s_delay_alu instid0(VALU_DEP_2)
	v_cmpx_ne_u16_e32 0, v2
	s_cbranch_execz .LBB415_276
; %bb.269:                              ;   in Loop: Header=BB415_13 Depth=1
	v_bfrev_b32_e32 v1, 1
	s_mov_b32 s22, exec_lo
	v_cmpx_ne_u16_e32 0x80, v2
	s_cbranch_execz .LBB415_275
; %bb.270:                              ;   in Loop: Header=BB415_13 Depth=1
	v_and_b32_e32 v3, 0xffff, v2
	v_mov_b32_e32 v1, 0x7f800001
	s_mov_b32 s23, exec_lo
	s_delay_alu instid0(VALU_DEP_2) | instskip(NEXT) | instid1(VALU_DEP_1)
	v_and_b32_e32 v2, 0x7f, v3
	v_cmpx_ne_u32_e32 0x7f, v2
	s_cbranch_execz .LBB415_274
; %bb.271:                              ;   in Loop: Header=BB415_13 Depth=1
	v_and_b32_e32 v28, 7, v3
	v_lshrrev_b32_e32 v1, 3, v2
	v_mov_b32_e32 v83, v29
	s_mov_b32 s24, exec_lo
	s_delay_alu instid0(VALU_DEP_3)
	v_mov_b32_e32 v82, v28
	v_cmpx_gt_u32_e32 8, v2
; %bb.272:                              ;   in Loop: Header=BB415_13 Depth=1
	v_clz_i32_u32_e32 v1, v28
	s_delay_alu instid0(VALU_DEP_1) | instskip(NEXT) | instid1(VALU_DEP_1)
	v_min_u32_e32 v1, 32, v1
	v_subrev_nc_u32_e32 v2, 28, v1
	v_sub_nc_u32_e32 v1, 29, v1
	s_delay_alu instid0(VALU_DEP_2) | instskip(NEXT) | instid1(VALU_DEP_1)
	v_lshlrev_b64 v[2:3], v2, v[28:29]
	v_and_b32_e32 v82, 7, v2
; %bb.273:                              ;   in Loop: Header=BB415_13 Depth=1
	s_or_b32 exec_lo, exec_lo, s24
	v_lshlrev_b32_e32 v2, 16, v0
	s_delay_alu instid0(VALU_DEP_2) | instskip(SKIP_1) | instid1(VALU_DEP_3)
	v_lshlrev_b32_e32 v3, 20, v82
	v_lshl_add_u32 v1, v1, 23, 0x3c000000
	v_and_b32_e32 v2, 0x80000000, v2
	s_delay_alu instid0(VALU_DEP_1)
	v_or3_b32 v1, v3, v2, v1
.LBB415_274:                            ;   in Loop: Header=BB415_13 Depth=1
	s_or_b32 exec_lo, exec_lo, s23
.LBB415_275:                            ;   in Loop: Header=BB415_13 Depth=1
	s_delay_alu instid0(SALU_CYCLE_1)
	s_or_b32 exec_lo, exec_lo, s22
.LBB415_276:                            ;   in Loop: Header=BB415_13 Depth=1
	s_delay_alu instid0(SALU_CYCLE_1) | instskip(NEXT) | instid1(VALU_DEP_1)
	s_or_b32 exec_lo, exec_lo, s21
	v_mul_f32_e32 v1, v144, v1
                                        ; implicit-def: $vgpr181
	s_delay_alu instid0(VALU_DEP_1) | instskip(NEXT) | instid1(VALU_DEP_1)
	v_and_b32_e32 v2, 0x7f800000, v1
	v_cmp_ne_u32_e64 s3, 0x7f800000, v2
	s_delay_alu instid0(VALU_DEP_1) | instskip(NEXT) | instid1(SALU_CYCLE_1)
	s_and_saveexec_b32 s21, s3
	s_xor_b32 s3, exec_lo, s21
; %bb.277:                              ;   in Loop: Header=BB415_13 Depth=1
	v_bfe_u32 v2, v1, 16, 1
	s_delay_alu instid0(VALU_DEP_1)
	v_add3_u32 v181, v1, v2, 0x7fff
                                        ; implicit-def: $vgpr1
; %bb.278:                              ;   in Loop: Header=BB415_13 Depth=1
	s_and_not1_saveexec_b32 s21, s3
; %bb.279:                              ;   in Loop: Header=BB415_13 Depth=1
	v_and_b32_e32 v2, 0xffff, v1
	v_or_b32_e32 v3, 0x10000, v1
	s_delay_alu instid0(VALU_DEP_2) | instskip(NEXT) | instid1(VALU_DEP_1)
	v_cmp_eq_u32_e64 s3, 0, v2
	v_cndmask_b32_e64 v181, v3, v1, s3
; %bb.280:                              ;   in Loop: Header=BB415_13 Depth=1
	s_or_b32 exec_lo, exec_lo, s21
	v_lshrrev_b32_e32 v1, 16, v0
	s_mov_b32 s21, exec_lo
	s_delay_alu instid0(VALU_DEP_1) | instskip(NEXT) | instid1(VALU_DEP_1)
	v_dual_mov_b32 v2, 0 :: v_dual_and_b32 v3, 0xff, v1
	v_cmpx_ne_u16_e32 0, v3
	s_cbranch_execz .LBB415_288
; %bb.281:                              ;   in Loop: Header=BB415_13 Depth=1
	v_bfrev_b32_e32 v2, 1
	s_mov_b32 s22, exec_lo
	v_cmpx_ne_u16_e32 0x80, v3
	s_cbranch_execz .LBB415_287
; %bb.282:                              ;   in Loop: Header=BB415_13 Depth=1
	v_bfe_u32 v3, v0, 16, 7
	v_mov_b32_e32 v2, 0x7f800001
	s_mov_b32 s23, exec_lo
	s_delay_alu instid0(VALU_DEP_2)
	v_cmpx_ne_u32_e32 0x7f, v3
	s_cbranch_execz .LBB415_286
; %bb.283:                              ;   in Loop: Header=BB415_13 Depth=1
	v_and_b32_e32 v28, 7, v1
	v_lshrrev_b32_e32 v2, 3, v3
	v_mov_b32_e32 v83, v29
	s_mov_b32 s24, exec_lo
	s_delay_alu instid0(VALU_DEP_3)
	v_mov_b32_e32 v82, v28
	v_cmpx_gt_u32_e32 8, v3
; %bb.284:                              ;   in Loop: Header=BB415_13 Depth=1
	v_clz_i32_u32_e32 v2, v28
	s_delay_alu instid0(VALU_DEP_1) | instskip(NEXT) | instid1(VALU_DEP_1)
	v_min_u32_e32 v2, 32, v2
	v_subrev_nc_u32_e32 v3, 28, v2
	v_sub_nc_u32_e32 v2, 29, v2
	s_delay_alu instid0(VALU_DEP_2) | instskip(NEXT) | instid1(VALU_DEP_1)
	v_lshlrev_b64 v[3:4], v3, v[28:29]
	v_and_b32_e32 v82, 7, v3
; %bb.285:                              ;   in Loop: Header=BB415_13 Depth=1
	s_or_b32 exec_lo, exec_lo, s24
	v_lshlrev_b32_e32 v1, 24, v1
	s_delay_alu instid0(VALU_DEP_2) | instskip(SKIP_1) | instid1(VALU_DEP_3)
	v_lshlrev_b32_e32 v3, 20, v82
	v_lshl_add_u32 v2, v2, 23, 0x3c000000
	v_and_b32_e32 v1, 0x80000000, v1
	s_delay_alu instid0(VALU_DEP_1)
	v_or3_b32 v2, v3, v1, v2
.LBB415_286:                            ;   in Loop: Header=BB415_13 Depth=1
	s_or_b32 exec_lo, exec_lo, s23
.LBB415_287:                            ;   in Loop: Header=BB415_13 Depth=1
	s_delay_alu instid0(SALU_CYCLE_1)
	s_or_b32 exec_lo, exec_lo, s22
.LBB415_288:                            ;   in Loop: Header=BB415_13 Depth=1
	s_delay_alu instid0(SALU_CYCLE_1) | instskip(NEXT) | instid1(VALU_DEP_1)
	s_or_b32 exec_lo, exec_lo, s21
	v_mul_f32_e32 v1, v144, v2
                                        ; implicit-def: $vgpr182
	s_delay_alu instid0(VALU_DEP_1) | instskip(NEXT) | instid1(VALU_DEP_1)
	v_and_b32_e32 v2, 0x7f800000, v1
	v_cmp_ne_u32_e64 s3, 0x7f800000, v2
	s_delay_alu instid0(VALU_DEP_1) | instskip(NEXT) | instid1(SALU_CYCLE_1)
	s_and_saveexec_b32 s21, s3
	s_xor_b32 s3, exec_lo, s21
; %bb.289:                              ;   in Loop: Header=BB415_13 Depth=1
	v_bfe_u32 v2, v1, 16, 1
	s_delay_alu instid0(VALU_DEP_1)
	v_add3_u32 v182, v1, v2, 0x7fff
                                        ; implicit-def: $vgpr1
; %bb.290:                              ;   in Loop: Header=BB415_13 Depth=1
	s_and_not1_saveexec_b32 s21, s3
; %bb.291:                              ;   in Loop: Header=BB415_13 Depth=1
	v_and_b32_e32 v2, 0xffff, v1
	v_or_b32_e32 v3, 0x10000, v1
	s_delay_alu instid0(VALU_DEP_2) | instskip(NEXT) | instid1(VALU_DEP_1)
	v_cmp_eq_u32_e64 s3, 0, v2
	v_cndmask_b32_e64 v182, v3, v1, s3
; %bb.292:                              ;   in Loop: Header=BB415_13 Depth=1
	s_or_b32 exec_lo, exec_lo, s21
	v_mov_b32_e32 v2, 0
	s_mov_b32 s21, exec_lo
	v_cmpx_lt_u32_e32 0xffffff, v0
	s_cbranch_execz .LBB415_300
; %bb.293:                              ;   in Loop: Header=BB415_13 Depth=1
	v_lshrrev_b32_e32 v1, 24, v0
	v_bfrev_b32_e32 v2, 1
	s_mov_b32 s22, exec_lo
	s_delay_alu instid0(VALU_DEP_2)
	v_cmpx_ne_u32_e32 0x80, v1
	s_cbranch_execz .LBB415_299
; %bb.294:                              ;   in Loop: Header=BB415_13 Depth=1
	v_bfe_u32 v3, v0, 24, 7
	v_mov_b32_e32 v2, 0x7f800001
	s_mov_b32 s23, exec_lo
	s_delay_alu instid0(VALU_DEP_2)
	v_cmpx_ne_u32_e32 0x7f, v3
	s_cbranch_execz .LBB415_298
; %bb.295:                              ;   in Loop: Header=BB415_13 Depth=1
	v_and_b32_e32 v28, 7, v1
	v_lshrrev_b32_e32 v0, 3, v3
	v_mov_b32_e32 v83, v29
	s_mov_b32 s24, exec_lo
	s_delay_alu instid0(VALU_DEP_3)
	v_mov_b32_e32 v82, v28
	v_cmpx_gt_u32_e32 8, v3
; %bb.296:                              ;   in Loop: Header=BB415_13 Depth=1
	v_clz_i32_u32_e32 v0, v28
	s_delay_alu instid0(VALU_DEP_1) | instskip(NEXT) | instid1(VALU_DEP_1)
	v_min_u32_e32 v0, 32, v0
	v_subrev_nc_u32_e32 v2, 28, v0
	v_sub_nc_u32_e32 v0, 29, v0
	s_delay_alu instid0(VALU_DEP_2) | instskip(NEXT) | instid1(VALU_DEP_1)
	v_lshlrev_b64 v[2:3], v2, v[28:29]
	v_and_b32_e32 v82, 7, v2
; %bb.297:                              ;   in Loop: Header=BB415_13 Depth=1
	s_or_b32 exec_lo, exec_lo, s24
	v_lshlrev_b32_e32 v1, 24, v1
	s_delay_alu instid0(VALU_DEP_2) | instskip(SKIP_1) | instid1(VALU_DEP_3)
	v_lshlrev_b32_e32 v2, 20, v82
	v_lshl_add_u32 v0, v0, 23, 0x3c000000
	v_and_b32_e32 v1, 0x80000000, v1
	s_delay_alu instid0(VALU_DEP_1)
	v_or3_b32 v2, v2, v1, v0
.LBB415_298:                            ;   in Loop: Header=BB415_13 Depth=1
	s_or_b32 exec_lo, exec_lo, s23
.LBB415_299:                            ;   in Loop: Header=BB415_13 Depth=1
	s_delay_alu instid0(SALU_CYCLE_1)
	s_or_b32 exec_lo, exec_lo, s22
.LBB415_300:                            ;   in Loop: Header=BB415_13 Depth=1
	s_delay_alu instid0(SALU_CYCLE_1) | instskip(NEXT) | instid1(VALU_DEP_1)
	s_or_b32 exec_lo, exec_lo, s21
	v_mul_f32_e32 v0, v144, v2
                                        ; implicit-def: $vgpr183
	s_delay_alu instid0(VALU_DEP_1) | instskip(NEXT) | instid1(VALU_DEP_1)
	v_and_b32_e32 v1, 0x7f800000, v0
	v_cmp_ne_u32_e64 s3, 0x7f800000, v1
	s_delay_alu instid0(VALU_DEP_1) | instskip(NEXT) | instid1(SALU_CYCLE_1)
	s_and_saveexec_b32 s21, s3
	s_xor_b32 s3, exec_lo, s21
; %bb.301:                              ;   in Loop: Header=BB415_13 Depth=1
	v_bfe_u32 v1, v0, 16, 1
	s_delay_alu instid0(VALU_DEP_1)
	v_add3_u32 v183, v0, v1, 0x7fff
                                        ; implicit-def: $vgpr0
; %bb.302:                              ;   in Loop: Header=BB415_13 Depth=1
	s_and_not1_saveexec_b32 s21, s3
; %bb.303:                              ;   in Loop: Header=BB415_13 Depth=1
	v_and_b32_e32 v1, 0xffff, v0
	v_or_b32_e32 v2, 0x10000, v0
	s_delay_alu instid0(VALU_DEP_2) | instskip(NEXT) | instid1(VALU_DEP_1)
	v_cmp_eq_u32_e64 s3, 0, v1
	v_cndmask_b32_e64 v183, v2, v0, s3
; %bb.304:                              ;   in Loop: Header=BB415_13 Depth=1
	s_or_b32 exec_lo, exec_lo, s21
	flat_load_b32 v0, v[80:81] offset:768
	s_mov_b32 s21, exec_lo
	s_waitcnt vmcnt(0) lgkmcnt(0)
	v_dual_mov_b32 v1, 0 :: v_dual_and_b32 v2, 0xff, v0
	s_delay_alu instid0(VALU_DEP_1)
	v_cmpx_ne_u16_e32 0, v2
	s_cbranch_execz .LBB415_312
; %bb.305:                              ;   in Loop: Header=BB415_13 Depth=1
	v_bfrev_b32_e32 v1, 1
	s_mov_b32 s22, exec_lo
	v_cmpx_ne_u16_e32 0x80, v2
	s_cbranch_execz .LBB415_311
; %bb.306:                              ;   in Loop: Header=BB415_13 Depth=1
	v_and_b32_e32 v2, 0x7f, v0
	v_mov_b32_e32 v1, 0x7f800001
	s_mov_b32 s23, exec_lo
	s_delay_alu instid0(VALU_DEP_2)
	v_cmpx_ne_u32_e32 0x7f, v2
	s_cbranch_execz .LBB415_310
; %bb.307:                              ;   in Loop: Header=BB415_13 Depth=1
	v_and_b32_e32 v28, 7, v0
	v_lshrrev_b32_e32 v1, 3, v2
	v_mov_b32_e32 v83, v29
	s_mov_b32 s24, exec_lo
	s_delay_alu instid0(VALU_DEP_3)
	v_mov_b32_e32 v82, v28
	v_cmpx_gt_u32_e32 8, v2
; %bb.308:                              ;   in Loop: Header=BB415_13 Depth=1
	v_clz_i32_u32_e32 v1, v28
	s_delay_alu instid0(VALU_DEP_1) | instskip(NEXT) | instid1(VALU_DEP_1)
	v_min_u32_e32 v1, 32, v1
	v_subrev_nc_u32_e32 v2, 28, v1
	v_sub_nc_u32_e32 v1, 29, v1
	s_delay_alu instid0(VALU_DEP_2) | instskip(NEXT) | instid1(VALU_DEP_1)
	v_lshlrev_b64 v[2:3], v2, v[28:29]
	v_and_b32_e32 v82, 7, v2
; %bb.309:                              ;   in Loop: Header=BB415_13 Depth=1
	s_or_b32 exec_lo, exec_lo, s24
	v_lshlrev_b32_e32 v2, 24, v0
	s_delay_alu instid0(VALU_DEP_2) | instskip(SKIP_1) | instid1(VALU_DEP_3)
	v_lshlrev_b32_e32 v3, 20, v82
	v_lshl_add_u32 v1, v1, 23, 0x3c000000
	v_and_b32_e32 v2, 0x80000000, v2
	s_delay_alu instid0(VALU_DEP_1)
	v_or3_b32 v1, v3, v2, v1
.LBB415_310:                            ;   in Loop: Header=BB415_13 Depth=1
	s_or_b32 exec_lo, exec_lo, s23
.LBB415_311:                            ;   in Loop: Header=BB415_13 Depth=1
	s_delay_alu instid0(SALU_CYCLE_1)
	s_or_b32 exec_lo, exec_lo, s22
.LBB415_312:                            ;   in Loop: Header=BB415_13 Depth=1
	s_delay_alu instid0(SALU_CYCLE_1) | instskip(NEXT) | instid1(VALU_DEP_1)
	s_or_b32 exec_lo, exec_lo, s21
	v_mul_f32_e32 v1, v144, v1
                                        ; implicit-def: $vgpr40
	s_delay_alu instid0(VALU_DEP_1) | instskip(NEXT) | instid1(VALU_DEP_1)
	v_and_b32_e32 v2, 0x7f800000, v1
	v_cmp_ne_u32_e64 s3, 0x7f800000, v2
	s_delay_alu instid0(VALU_DEP_1) | instskip(NEXT) | instid1(SALU_CYCLE_1)
	s_and_saveexec_b32 s21, s3
	s_xor_b32 s3, exec_lo, s21
; %bb.313:                              ;   in Loop: Header=BB415_13 Depth=1
	v_bfe_u32 v2, v1, 16, 1
	s_delay_alu instid0(VALU_DEP_1)
	v_add3_u32 v40, v1, v2, 0x7fff
                                        ; implicit-def: $vgpr1
; %bb.314:                              ;   in Loop: Header=BB415_13 Depth=1
	s_and_not1_saveexec_b32 s21, s3
; %bb.315:                              ;   in Loop: Header=BB415_13 Depth=1
	v_and_b32_e32 v2, 0xffff, v1
	v_or_b32_e32 v3, 0x10000, v1
	s_delay_alu instid0(VALU_DEP_2) | instskip(NEXT) | instid1(VALU_DEP_1)
	v_cmp_eq_u32_e64 s3, 0, v2
	v_cndmask_b32_e64 v40, v3, v1, s3
; %bb.316:                              ;   in Loop: Header=BB415_13 Depth=1
	s_or_b32 exec_lo, exec_lo, s21
	v_lshrrev_b16 v2, 8, v0
	v_mov_b32_e32 v1, 0
	s_mov_b32 s21, exec_lo
	s_delay_alu instid0(VALU_DEP_2)
	v_cmpx_ne_u16_e32 0, v2
	s_cbranch_execz .LBB415_324
; %bb.317:                              ;   in Loop: Header=BB415_13 Depth=1
	v_bfrev_b32_e32 v1, 1
	s_mov_b32 s22, exec_lo
	v_cmpx_ne_u16_e32 0x80, v2
	s_cbranch_execz .LBB415_323
; %bb.318:                              ;   in Loop: Header=BB415_13 Depth=1
	v_and_b32_e32 v3, 0xffff, v2
	v_mov_b32_e32 v1, 0x7f800001
	s_mov_b32 s23, exec_lo
	s_delay_alu instid0(VALU_DEP_2) | instskip(NEXT) | instid1(VALU_DEP_1)
	v_and_b32_e32 v2, 0x7f, v3
	v_cmpx_ne_u32_e32 0x7f, v2
	s_cbranch_execz .LBB415_322
; %bb.319:                              ;   in Loop: Header=BB415_13 Depth=1
	v_and_b32_e32 v28, 7, v3
	v_lshrrev_b32_e32 v1, 3, v2
	v_mov_b32_e32 v83, v29
	s_mov_b32 s24, exec_lo
	s_delay_alu instid0(VALU_DEP_3)
	v_mov_b32_e32 v82, v28
	v_cmpx_gt_u32_e32 8, v2
; %bb.320:                              ;   in Loop: Header=BB415_13 Depth=1
	v_clz_i32_u32_e32 v1, v28
	s_delay_alu instid0(VALU_DEP_1) | instskip(NEXT) | instid1(VALU_DEP_1)
	v_min_u32_e32 v1, 32, v1
	v_subrev_nc_u32_e32 v2, 28, v1
	v_sub_nc_u32_e32 v1, 29, v1
	s_delay_alu instid0(VALU_DEP_2) | instskip(NEXT) | instid1(VALU_DEP_1)
	v_lshlrev_b64 v[2:3], v2, v[28:29]
	v_and_b32_e32 v82, 7, v2
; %bb.321:                              ;   in Loop: Header=BB415_13 Depth=1
	s_or_b32 exec_lo, exec_lo, s24
	v_lshlrev_b32_e32 v2, 16, v0
	s_delay_alu instid0(VALU_DEP_2) | instskip(SKIP_1) | instid1(VALU_DEP_3)
	v_lshlrev_b32_e32 v3, 20, v82
	v_lshl_add_u32 v1, v1, 23, 0x3c000000
	v_and_b32_e32 v2, 0x80000000, v2
	s_delay_alu instid0(VALU_DEP_1)
	v_or3_b32 v1, v3, v2, v1
.LBB415_322:                            ;   in Loop: Header=BB415_13 Depth=1
	s_or_b32 exec_lo, exec_lo, s23
.LBB415_323:                            ;   in Loop: Header=BB415_13 Depth=1
	s_delay_alu instid0(SALU_CYCLE_1)
	s_or_b32 exec_lo, exec_lo, s22
.LBB415_324:                            ;   in Loop: Header=BB415_13 Depth=1
	s_delay_alu instid0(SALU_CYCLE_1) | instskip(NEXT) | instid1(VALU_DEP_1)
	s_or_b32 exec_lo, exec_lo, s21
	v_mul_f32_e32 v1, v144, v1
                                        ; implicit-def: $vgpr41
	s_delay_alu instid0(VALU_DEP_1) | instskip(NEXT) | instid1(VALU_DEP_1)
	v_and_b32_e32 v2, 0x7f800000, v1
	v_cmp_ne_u32_e64 s3, 0x7f800000, v2
	s_delay_alu instid0(VALU_DEP_1) | instskip(NEXT) | instid1(SALU_CYCLE_1)
	s_and_saveexec_b32 s21, s3
	s_xor_b32 s3, exec_lo, s21
; %bb.325:                              ;   in Loop: Header=BB415_13 Depth=1
	v_bfe_u32 v2, v1, 16, 1
	s_delay_alu instid0(VALU_DEP_1)
	v_add3_u32 v41, v1, v2, 0x7fff
                                        ; implicit-def: $vgpr1
; %bb.326:                              ;   in Loop: Header=BB415_13 Depth=1
	s_and_not1_saveexec_b32 s21, s3
; %bb.327:                              ;   in Loop: Header=BB415_13 Depth=1
	v_and_b32_e32 v2, 0xffff, v1
	v_or_b32_e32 v3, 0x10000, v1
	s_delay_alu instid0(VALU_DEP_2) | instskip(NEXT) | instid1(VALU_DEP_1)
	v_cmp_eq_u32_e64 s3, 0, v2
	v_cndmask_b32_e64 v41, v3, v1, s3
; %bb.328:                              ;   in Loop: Header=BB415_13 Depth=1
	s_or_b32 exec_lo, exec_lo, s21
	v_lshrrev_b32_e32 v1, 16, v0
	s_mov_b32 s21, exec_lo
	s_delay_alu instid0(VALU_DEP_1) | instskip(NEXT) | instid1(VALU_DEP_1)
	v_dual_mov_b32 v2, 0 :: v_dual_and_b32 v3, 0xff, v1
	v_cmpx_ne_u16_e32 0, v3
	s_cbranch_execz .LBB415_336
; %bb.329:                              ;   in Loop: Header=BB415_13 Depth=1
	v_bfrev_b32_e32 v2, 1
	s_mov_b32 s22, exec_lo
	v_cmpx_ne_u16_e32 0x80, v3
	s_cbranch_execz .LBB415_335
; %bb.330:                              ;   in Loop: Header=BB415_13 Depth=1
	v_bfe_u32 v3, v0, 16, 7
	v_mov_b32_e32 v2, 0x7f800001
	s_mov_b32 s23, exec_lo
	s_delay_alu instid0(VALU_DEP_2)
	v_cmpx_ne_u32_e32 0x7f, v3
	s_cbranch_execz .LBB415_334
; %bb.331:                              ;   in Loop: Header=BB415_13 Depth=1
	v_and_b32_e32 v28, 7, v1
	v_lshrrev_b32_e32 v2, 3, v3
	v_mov_b32_e32 v83, v29
	s_mov_b32 s24, exec_lo
	s_delay_alu instid0(VALU_DEP_3)
	v_mov_b32_e32 v82, v28
	v_cmpx_gt_u32_e32 8, v3
; %bb.332:                              ;   in Loop: Header=BB415_13 Depth=1
	v_clz_i32_u32_e32 v2, v28
	s_delay_alu instid0(VALU_DEP_1) | instskip(NEXT) | instid1(VALU_DEP_1)
	v_min_u32_e32 v2, 32, v2
	v_subrev_nc_u32_e32 v3, 28, v2
	v_sub_nc_u32_e32 v2, 29, v2
	s_delay_alu instid0(VALU_DEP_2) | instskip(NEXT) | instid1(VALU_DEP_1)
	v_lshlrev_b64 v[3:4], v3, v[28:29]
	v_and_b32_e32 v82, 7, v3
; %bb.333:                              ;   in Loop: Header=BB415_13 Depth=1
	s_or_b32 exec_lo, exec_lo, s24
	v_lshlrev_b32_e32 v1, 24, v1
	s_delay_alu instid0(VALU_DEP_2) | instskip(SKIP_1) | instid1(VALU_DEP_3)
	v_lshlrev_b32_e32 v3, 20, v82
	v_lshl_add_u32 v2, v2, 23, 0x3c000000
	v_and_b32_e32 v1, 0x80000000, v1
	s_delay_alu instid0(VALU_DEP_1)
	v_or3_b32 v2, v3, v1, v2
.LBB415_334:                            ;   in Loop: Header=BB415_13 Depth=1
	s_or_b32 exec_lo, exec_lo, s23
.LBB415_335:                            ;   in Loop: Header=BB415_13 Depth=1
	s_delay_alu instid0(SALU_CYCLE_1)
	s_or_b32 exec_lo, exec_lo, s22
.LBB415_336:                            ;   in Loop: Header=BB415_13 Depth=1
	s_delay_alu instid0(SALU_CYCLE_1) | instskip(NEXT) | instid1(VALU_DEP_1)
	s_or_b32 exec_lo, exec_lo, s21
	v_mul_f32_e32 v1, v144, v2
                                        ; implicit-def: $vgpr42
	s_delay_alu instid0(VALU_DEP_1) | instskip(NEXT) | instid1(VALU_DEP_1)
	v_and_b32_e32 v2, 0x7f800000, v1
	v_cmp_ne_u32_e64 s3, 0x7f800000, v2
	s_delay_alu instid0(VALU_DEP_1) | instskip(NEXT) | instid1(SALU_CYCLE_1)
	s_and_saveexec_b32 s21, s3
	s_xor_b32 s3, exec_lo, s21
; %bb.337:                              ;   in Loop: Header=BB415_13 Depth=1
	v_bfe_u32 v2, v1, 16, 1
	s_delay_alu instid0(VALU_DEP_1)
	v_add3_u32 v42, v1, v2, 0x7fff
                                        ; implicit-def: $vgpr1
; %bb.338:                              ;   in Loop: Header=BB415_13 Depth=1
	s_and_not1_saveexec_b32 s21, s3
; %bb.339:                              ;   in Loop: Header=BB415_13 Depth=1
	v_and_b32_e32 v2, 0xffff, v1
	v_or_b32_e32 v3, 0x10000, v1
	s_delay_alu instid0(VALU_DEP_2) | instskip(NEXT) | instid1(VALU_DEP_1)
	v_cmp_eq_u32_e64 s3, 0, v2
	v_cndmask_b32_e64 v42, v3, v1, s3
; %bb.340:                              ;   in Loop: Header=BB415_13 Depth=1
	s_or_b32 exec_lo, exec_lo, s21
	v_mov_b32_e32 v2, 0
	s_mov_b32 s21, exec_lo
	v_cmpx_lt_u32_e32 0xffffff, v0
	s_cbranch_execz .LBB415_348
; %bb.341:                              ;   in Loop: Header=BB415_13 Depth=1
	v_lshrrev_b32_e32 v1, 24, v0
	v_bfrev_b32_e32 v2, 1
	s_mov_b32 s22, exec_lo
	s_delay_alu instid0(VALU_DEP_2)
	v_cmpx_ne_u32_e32 0x80, v1
	s_cbranch_execz .LBB415_347
; %bb.342:                              ;   in Loop: Header=BB415_13 Depth=1
	v_bfe_u32 v3, v0, 24, 7
	v_mov_b32_e32 v2, 0x7f800001
	s_mov_b32 s23, exec_lo
	s_delay_alu instid0(VALU_DEP_2)
	v_cmpx_ne_u32_e32 0x7f, v3
	s_cbranch_execz .LBB415_346
; %bb.343:                              ;   in Loop: Header=BB415_13 Depth=1
	v_and_b32_e32 v28, 7, v1
	v_lshrrev_b32_e32 v0, 3, v3
	v_mov_b32_e32 v83, v29
	s_mov_b32 s24, exec_lo
	s_delay_alu instid0(VALU_DEP_3)
	v_mov_b32_e32 v82, v28
	v_cmpx_gt_u32_e32 8, v3
; %bb.344:                              ;   in Loop: Header=BB415_13 Depth=1
	v_clz_i32_u32_e32 v0, v28
	s_delay_alu instid0(VALU_DEP_1) | instskip(NEXT) | instid1(VALU_DEP_1)
	v_min_u32_e32 v0, 32, v0
	v_subrev_nc_u32_e32 v2, 28, v0
	v_sub_nc_u32_e32 v0, 29, v0
	s_delay_alu instid0(VALU_DEP_2) | instskip(NEXT) | instid1(VALU_DEP_1)
	v_lshlrev_b64 v[2:3], v2, v[28:29]
	v_and_b32_e32 v82, 7, v2
; %bb.345:                              ;   in Loop: Header=BB415_13 Depth=1
	s_or_b32 exec_lo, exec_lo, s24
	v_lshlrev_b32_e32 v1, 24, v1
	s_delay_alu instid0(VALU_DEP_2) | instskip(SKIP_1) | instid1(VALU_DEP_3)
	v_lshlrev_b32_e32 v2, 20, v82
	v_lshl_add_u32 v0, v0, 23, 0x3c000000
	v_and_b32_e32 v1, 0x80000000, v1
	s_delay_alu instid0(VALU_DEP_1)
	v_or3_b32 v2, v2, v1, v0
.LBB415_346:                            ;   in Loop: Header=BB415_13 Depth=1
	s_or_b32 exec_lo, exec_lo, s23
.LBB415_347:                            ;   in Loop: Header=BB415_13 Depth=1
	s_delay_alu instid0(SALU_CYCLE_1)
	s_or_b32 exec_lo, exec_lo, s22
.LBB415_348:                            ;   in Loop: Header=BB415_13 Depth=1
	s_delay_alu instid0(SALU_CYCLE_1) | instskip(NEXT) | instid1(VALU_DEP_1)
	s_or_b32 exec_lo, exec_lo, s21
	v_mul_f32_e32 v0, v144, v2
                                        ; implicit-def: $vgpr43
	s_delay_alu instid0(VALU_DEP_1) | instskip(NEXT) | instid1(VALU_DEP_1)
	v_and_b32_e32 v1, 0x7f800000, v0
	v_cmp_ne_u32_e64 s3, 0x7f800000, v1
	s_delay_alu instid0(VALU_DEP_1) | instskip(NEXT) | instid1(SALU_CYCLE_1)
	s_and_saveexec_b32 s21, s3
	s_xor_b32 s3, exec_lo, s21
; %bb.349:                              ;   in Loop: Header=BB415_13 Depth=1
	v_bfe_u32 v1, v0, 16, 1
	s_delay_alu instid0(VALU_DEP_1)
	v_add3_u32 v43, v0, v1, 0x7fff
                                        ; implicit-def: $vgpr0
; %bb.350:                              ;   in Loop: Header=BB415_13 Depth=1
	s_and_not1_saveexec_b32 s21, s3
; %bb.351:                              ;   in Loop: Header=BB415_13 Depth=1
	v_and_b32_e32 v1, 0xffff, v0
	v_or_b32_e32 v2, 0x10000, v0
	s_delay_alu instid0(VALU_DEP_2) | instskip(NEXT) | instid1(VALU_DEP_1)
	v_cmp_eq_u32_e64 s3, 0, v1
	v_cndmask_b32_e64 v43, v2, v0, s3
; %bb.352:                              ;   in Loop: Header=BB415_13 Depth=1
	s_or_b32 exec_lo, exec_lo, s21
	flat_load_b32 v0, v[80:81] offset:776
	s_mov_b32 s21, exec_lo
	s_waitcnt vmcnt(0) lgkmcnt(0)
	v_dual_mov_b32 v1, 0 :: v_dual_and_b32 v2, 0xff, v0
	s_delay_alu instid0(VALU_DEP_1)
	v_cmpx_ne_u16_e32 0, v2
	s_cbranch_execz .LBB415_360
; %bb.353:                              ;   in Loop: Header=BB415_13 Depth=1
	v_bfrev_b32_e32 v1, 1
	s_mov_b32 s22, exec_lo
	v_cmpx_ne_u16_e32 0x80, v2
	s_cbranch_execz .LBB415_359
; %bb.354:                              ;   in Loop: Header=BB415_13 Depth=1
	v_and_b32_e32 v2, 0x7f, v0
	v_mov_b32_e32 v1, 0x7f800001
	s_mov_b32 s23, exec_lo
	s_delay_alu instid0(VALU_DEP_2)
	v_cmpx_ne_u32_e32 0x7f, v2
	s_cbranch_execz .LBB415_358
; %bb.355:                              ;   in Loop: Header=BB415_13 Depth=1
	v_and_b32_e32 v28, 7, v0
	v_lshrrev_b32_e32 v1, 3, v2
	v_mov_b32_e32 v83, v29
	s_mov_b32 s24, exec_lo
	s_delay_alu instid0(VALU_DEP_3)
	v_mov_b32_e32 v82, v28
	v_cmpx_gt_u32_e32 8, v2
; %bb.356:                              ;   in Loop: Header=BB415_13 Depth=1
	v_clz_i32_u32_e32 v1, v28
	s_delay_alu instid0(VALU_DEP_1) | instskip(NEXT) | instid1(VALU_DEP_1)
	v_min_u32_e32 v1, 32, v1
	v_subrev_nc_u32_e32 v2, 28, v1
	v_sub_nc_u32_e32 v1, 29, v1
	s_delay_alu instid0(VALU_DEP_2) | instskip(NEXT) | instid1(VALU_DEP_1)
	v_lshlrev_b64 v[2:3], v2, v[28:29]
	v_and_b32_e32 v82, 7, v2
; %bb.357:                              ;   in Loop: Header=BB415_13 Depth=1
	s_or_b32 exec_lo, exec_lo, s24
	v_lshlrev_b32_e32 v2, 24, v0
	s_delay_alu instid0(VALU_DEP_2) | instskip(SKIP_1) | instid1(VALU_DEP_3)
	v_lshlrev_b32_e32 v3, 20, v82
	v_lshl_add_u32 v1, v1, 23, 0x3c000000
	v_and_b32_e32 v2, 0x80000000, v2
	s_delay_alu instid0(VALU_DEP_1)
	v_or3_b32 v1, v3, v2, v1
.LBB415_358:                            ;   in Loop: Header=BB415_13 Depth=1
	s_or_b32 exec_lo, exec_lo, s23
.LBB415_359:                            ;   in Loop: Header=BB415_13 Depth=1
	s_delay_alu instid0(SALU_CYCLE_1)
	s_or_b32 exec_lo, exec_lo, s22
.LBB415_360:                            ;   in Loop: Header=BB415_13 Depth=1
	s_delay_alu instid0(SALU_CYCLE_1) | instskip(NEXT) | instid1(VALU_DEP_1)
	s_or_b32 exec_lo, exec_lo, s21
	v_mul_f32_e32 v1, v144, v1
                                        ; implicit-def: $vgpr44
	s_delay_alu instid0(VALU_DEP_1) | instskip(NEXT) | instid1(VALU_DEP_1)
	v_and_b32_e32 v2, 0x7f800000, v1
	v_cmp_ne_u32_e64 s3, 0x7f800000, v2
	s_delay_alu instid0(VALU_DEP_1) | instskip(NEXT) | instid1(SALU_CYCLE_1)
	s_and_saveexec_b32 s21, s3
	s_xor_b32 s3, exec_lo, s21
; %bb.361:                              ;   in Loop: Header=BB415_13 Depth=1
	v_bfe_u32 v2, v1, 16, 1
	s_delay_alu instid0(VALU_DEP_1)
	v_add3_u32 v44, v1, v2, 0x7fff
                                        ; implicit-def: $vgpr1
; %bb.362:                              ;   in Loop: Header=BB415_13 Depth=1
	s_and_not1_saveexec_b32 s21, s3
; %bb.363:                              ;   in Loop: Header=BB415_13 Depth=1
	v_and_b32_e32 v2, 0xffff, v1
	v_or_b32_e32 v3, 0x10000, v1
	s_delay_alu instid0(VALU_DEP_2) | instskip(NEXT) | instid1(VALU_DEP_1)
	v_cmp_eq_u32_e64 s3, 0, v2
	v_cndmask_b32_e64 v44, v3, v1, s3
; %bb.364:                              ;   in Loop: Header=BB415_13 Depth=1
	s_or_b32 exec_lo, exec_lo, s21
	v_lshrrev_b16 v2, 8, v0
	v_mov_b32_e32 v1, 0
	s_mov_b32 s21, exec_lo
	s_delay_alu instid0(VALU_DEP_2)
	v_cmpx_ne_u16_e32 0, v2
	s_cbranch_execz .LBB415_372
; %bb.365:                              ;   in Loop: Header=BB415_13 Depth=1
	v_bfrev_b32_e32 v1, 1
	s_mov_b32 s22, exec_lo
	v_cmpx_ne_u16_e32 0x80, v2
	s_cbranch_execz .LBB415_371
; %bb.366:                              ;   in Loop: Header=BB415_13 Depth=1
	v_and_b32_e32 v3, 0xffff, v2
	v_mov_b32_e32 v1, 0x7f800001
	s_mov_b32 s23, exec_lo
	s_delay_alu instid0(VALU_DEP_2) | instskip(NEXT) | instid1(VALU_DEP_1)
	v_and_b32_e32 v2, 0x7f, v3
	v_cmpx_ne_u32_e32 0x7f, v2
	s_cbranch_execz .LBB415_370
; %bb.367:                              ;   in Loop: Header=BB415_13 Depth=1
	v_and_b32_e32 v28, 7, v3
	v_lshrrev_b32_e32 v1, 3, v2
	v_mov_b32_e32 v83, v29
	s_mov_b32 s24, exec_lo
	s_delay_alu instid0(VALU_DEP_3)
	v_mov_b32_e32 v82, v28
	v_cmpx_gt_u32_e32 8, v2
; %bb.368:                              ;   in Loop: Header=BB415_13 Depth=1
	v_clz_i32_u32_e32 v1, v28
	s_delay_alu instid0(VALU_DEP_1) | instskip(NEXT) | instid1(VALU_DEP_1)
	v_min_u32_e32 v1, 32, v1
	v_subrev_nc_u32_e32 v2, 28, v1
	v_sub_nc_u32_e32 v1, 29, v1
	s_delay_alu instid0(VALU_DEP_2) | instskip(NEXT) | instid1(VALU_DEP_1)
	v_lshlrev_b64 v[2:3], v2, v[28:29]
	v_and_b32_e32 v82, 7, v2
; %bb.369:                              ;   in Loop: Header=BB415_13 Depth=1
	s_or_b32 exec_lo, exec_lo, s24
	v_lshlrev_b32_e32 v2, 16, v0
	s_delay_alu instid0(VALU_DEP_2) | instskip(SKIP_1) | instid1(VALU_DEP_3)
	v_lshlrev_b32_e32 v3, 20, v82
	v_lshl_add_u32 v1, v1, 23, 0x3c000000
	v_and_b32_e32 v2, 0x80000000, v2
	s_delay_alu instid0(VALU_DEP_1)
	v_or3_b32 v1, v3, v2, v1
.LBB415_370:                            ;   in Loop: Header=BB415_13 Depth=1
	s_or_b32 exec_lo, exec_lo, s23
.LBB415_371:                            ;   in Loop: Header=BB415_13 Depth=1
	s_delay_alu instid0(SALU_CYCLE_1)
	s_or_b32 exec_lo, exec_lo, s22
.LBB415_372:                            ;   in Loop: Header=BB415_13 Depth=1
	s_delay_alu instid0(SALU_CYCLE_1) | instskip(NEXT) | instid1(VALU_DEP_1)
	s_or_b32 exec_lo, exec_lo, s21
	v_mul_f32_e32 v1, v144, v1
                                        ; implicit-def: $vgpr45
	s_delay_alu instid0(VALU_DEP_1) | instskip(NEXT) | instid1(VALU_DEP_1)
	v_and_b32_e32 v2, 0x7f800000, v1
	v_cmp_ne_u32_e64 s3, 0x7f800000, v2
	s_delay_alu instid0(VALU_DEP_1) | instskip(NEXT) | instid1(SALU_CYCLE_1)
	s_and_saveexec_b32 s21, s3
	s_xor_b32 s3, exec_lo, s21
; %bb.373:                              ;   in Loop: Header=BB415_13 Depth=1
	v_bfe_u32 v2, v1, 16, 1
	s_delay_alu instid0(VALU_DEP_1)
	v_add3_u32 v45, v1, v2, 0x7fff
                                        ; implicit-def: $vgpr1
; %bb.374:                              ;   in Loop: Header=BB415_13 Depth=1
	s_and_not1_saveexec_b32 s21, s3
; %bb.375:                              ;   in Loop: Header=BB415_13 Depth=1
	v_and_b32_e32 v2, 0xffff, v1
	v_or_b32_e32 v3, 0x10000, v1
	s_delay_alu instid0(VALU_DEP_2) | instskip(NEXT) | instid1(VALU_DEP_1)
	v_cmp_eq_u32_e64 s3, 0, v2
	v_cndmask_b32_e64 v45, v3, v1, s3
; %bb.376:                              ;   in Loop: Header=BB415_13 Depth=1
	s_or_b32 exec_lo, exec_lo, s21
	v_lshrrev_b32_e32 v1, 16, v0
	s_mov_b32 s21, exec_lo
	s_delay_alu instid0(VALU_DEP_1) | instskip(NEXT) | instid1(VALU_DEP_1)
	v_dual_mov_b32 v2, 0 :: v_dual_and_b32 v3, 0xff, v1
	v_cmpx_ne_u16_e32 0, v3
	s_cbranch_execz .LBB415_384
; %bb.377:                              ;   in Loop: Header=BB415_13 Depth=1
	v_bfrev_b32_e32 v2, 1
	s_mov_b32 s22, exec_lo
	v_cmpx_ne_u16_e32 0x80, v3
	s_cbranch_execz .LBB415_383
; %bb.378:                              ;   in Loop: Header=BB415_13 Depth=1
	v_bfe_u32 v3, v0, 16, 7
	v_mov_b32_e32 v2, 0x7f800001
	s_mov_b32 s23, exec_lo
	s_delay_alu instid0(VALU_DEP_2)
	v_cmpx_ne_u32_e32 0x7f, v3
	s_cbranch_execz .LBB415_382
; %bb.379:                              ;   in Loop: Header=BB415_13 Depth=1
	v_and_b32_e32 v28, 7, v1
	v_lshrrev_b32_e32 v2, 3, v3
	v_mov_b32_e32 v83, v29
	s_mov_b32 s24, exec_lo
	s_delay_alu instid0(VALU_DEP_3)
	v_mov_b32_e32 v82, v28
	v_cmpx_gt_u32_e32 8, v3
; %bb.380:                              ;   in Loop: Header=BB415_13 Depth=1
	v_clz_i32_u32_e32 v2, v28
	s_delay_alu instid0(VALU_DEP_1) | instskip(NEXT) | instid1(VALU_DEP_1)
	v_min_u32_e32 v2, 32, v2
	v_subrev_nc_u32_e32 v3, 28, v2
	v_sub_nc_u32_e32 v2, 29, v2
	s_delay_alu instid0(VALU_DEP_2) | instskip(NEXT) | instid1(VALU_DEP_1)
	v_lshlrev_b64 v[3:4], v3, v[28:29]
	v_and_b32_e32 v82, 7, v3
; %bb.381:                              ;   in Loop: Header=BB415_13 Depth=1
	s_or_b32 exec_lo, exec_lo, s24
	v_lshlrev_b32_e32 v1, 24, v1
	s_delay_alu instid0(VALU_DEP_2) | instskip(SKIP_1) | instid1(VALU_DEP_3)
	v_lshlrev_b32_e32 v3, 20, v82
	v_lshl_add_u32 v2, v2, 23, 0x3c000000
	v_and_b32_e32 v1, 0x80000000, v1
	s_delay_alu instid0(VALU_DEP_1)
	v_or3_b32 v2, v3, v1, v2
.LBB415_382:                            ;   in Loop: Header=BB415_13 Depth=1
	s_or_b32 exec_lo, exec_lo, s23
.LBB415_383:                            ;   in Loop: Header=BB415_13 Depth=1
	s_delay_alu instid0(SALU_CYCLE_1)
	s_or_b32 exec_lo, exec_lo, s22
.LBB415_384:                            ;   in Loop: Header=BB415_13 Depth=1
	s_delay_alu instid0(SALU_CYCLE_1) | instskip(NEXT) | instid1(VALU_DEP_1)
	s_or_b32 exec_lo, exec_lo, s21
	v_mul_f32_e32 v1, v144, v2
                                        ; implicit-def: $vgpr46
	s_delay_alu instid0(VALU_DEP_1) | instskip(NEXT) | instid1(VALU_DEP_1)
	v_and_b32_e32 v2, 0x7f800000, v1
	v_cmp_ne_u32_e64 s3, 0x7f800000, v2
	s_delay_alu instid0(VALU_DEP_1) | instskip(NEXT) | instid1(SALU_CYCLE_1)
	s_and_saveexec_b32 s21, s3
	s_xor_b32 s3, exec_lo, s21
; %bb.385:                              ;   in Loop: Header=BB415_13 Depth=1
	v_bfe_u32 v2, v1, 16, 1
	s_delay_alu instid0(VALU_DEP_1)
	v_add3_u32 v46, v1, v2, 0x7fff
                                        ; implicit-def: $vgpr1
; %bb.386:                              ;   in Loop: Header=BB415_13 Depth=1
	s_and_not1_saveexec_b32 s21, s3
; %bb.387:                              ;   in Loop: Header=BB415_13 Depth=1
	v_and_b32_e32 v2, 0xffff, v1
	v_or_b32_e32 v3, 0x10000, v1
	s_delay_alu instid0(VALU_DEP_2) | instskip(NEXT) | instid1(VALU_DEP_1)
	v_cmp_eq_u32_e64 s3, 0, v2
	v_cndmask_b32_e64 v46, v3, v1, s3
; %bb.388:                              ;   in Loop: Header=BB415_13 Depth=1
	s_or_b32 exec_lo, exec_lo, s21
	v_mov_b32_e32 v2, 0
	s_mov_b32 s21, exec_lo
	v_cmpx_lt_u32_e32 0xffffff, v0
	s_cbranch_execz .LBB415_396
; %bb.389:                              ;   in Loop: Header=BB415_13 Depth=1
	v_lshrrev_b32_e32 v1, 24, v0
	v_bfrev_b32_e32 v2, 1
	s_mov_b32 s22, exec_lo
	s_delay_alu instid0(VALU_DEP_2)
	v_cmpx_ne_u32_e32 0x80, v1
	s_cbranch_execz .LBB415_395
; %bb.390:                              ;   in Loop: Header=BB415_13 Depth=1
	v_bfe_u32 v3, v0, 24, 7
	v_mov_b32_e32 v2, 0x7f800001
	s_mov_b32 s23, exec_lo
	s_delay_alu instid0(VALU_DEP_2)
	v_cmpx_ne_u32_e32 0x7f, v3
	s_cbranch_execz .LBB415_394
; %bb.391:                              ;   in Loop: Header=BB415_13 Depth=1
	v_and_b32_e32 v28, 7, v1
	v_lshrrev_b32_e32 v0, 3, v3
	v_mov_b32_e32 v83, v29
	s_mov_b32 s24, exec_lo
	s_delay_alu instid0(VALU_DEP_3)
	v_mov_b32_e32 v82, v28
	v_cmpx_gt_u32_e32 8, v3
; %bb.392:                              ;   in Loop: Header=BB415_13 Depth=1
	v_clz_i32_u32_e32 v0, v28
	s_delay_alu instid0(VALU_DEP_1) | instskip(NEXT) | instid1(VALU_DEP_1)
	v_min_u32_e32 v0, 32, v0
	v_subrev_nc_u32_e32 v2, 28, v0
	v_sub_nc_u32_e32 v0, 29, v0
	s_delay_alu instid0(VALU_DEP_2) | instskip(NEXT) | instid1(VALU_DEP_1)
	v_lshlrev_b64 v[2:3], v2, v[28:29]
	v_and_b32_e32 v82, 7, v2
; %bb.393:                              ;   in Loop: Header=BB415_13 Depth=1
	s_or_b32 exec_lo, exec_lo, s24
	v_lshlrev_b32_e32 v1, 24, v1
	s_delay_alu instid0(VALU_DEP_2) | instskip(SKIP_1) | instid1(VALU_DEP_3)
	v_lshlrev_b32_e32 v2, 20, v82
	v_lshl_add_u32 v0, v0, 23, 0x3c000000
	v_and_b32_e32 v1, 0x80000000, v1
	s_delay_alu instid0(VALU_DEP_1)
	v_or3_b32 v2, v2, v1, v0
.LBB415_394:                            ;   in Loop: Header=BB415_13 Depth=1
	s_or_b32 exec_lo, exec_lo, s23
.LBB415_395:                            ;   in Loop: Header=BB415_13 Depth=1
	s_delay_alu instid0(SALU_CYCLE_1)
	s_or_b32 exec_lo, exec_lo, s22
.LBB415_396:                            ;   in Loop: Header=BB415_13 Depth=1
	s_delay_alu instid0(SALU_CYCLE_1) | instskip(NEXT) | instid1(VALU_DEP_1)
	s_or_b32 exec_lo, exec_lo, s21
	v_mul_f32_e32 v0, v144, v2
                                        ; implicit-def: $vgpr47
	s_delay_alu instid0(VALU_DEP_1) | instskip(NEXT) | instid1(VALU_DEP_1)
	v_and_b32_e32 v1, 0x7f800000, v0
	v_cmp_ne_u32_e64 s3, 0x7f800000, v1
	s_delay_alu instid0(VALU_DEP_1) | instskip(NEXT) | instid1(SALU_CYCLE_1)
	s_and_saveexec_b32 s21, s3
	s_xor_b32 s3, exec_lo, s21
; %bb.397:                              ;   in Loop: Header=BB415_13 Depth=1
	v_bfe_u32 v1, v0, 16, 1
	s_delay_alu instid0(VALU_DEP_1)
	v_add3_u32 v47, v0, v1, 0x7fff
                                        ; implicit-def: $vgpr0
; %bb.398:                              ;   in Loop: Header=BB415_13 Depth=1
	s_and_not1_saveexec_b32 s21, s3
; %bb.399:                              ;   in Loop: Header=BB415_13 Depth=1
	v_and_b32_e32 v1, 0xffff, v0
	v_or_b32_e32 v2, 0x10000, v0
	s_delay_alu instid0(VALU_DEP_2) | instskip(NEXT) | instid1(VALU_DEP_1)
	v_cmp_eq_u32_e64 s3, 0, v1
	v_cndmask_b32_e64 v47, v2, v0, s3
; %bb.400:                              ;   in Loop: Header=BB415_13 Depth=1
	s_or_b32 exec_lo, exec_lo, s21
	flat_load_b32 v0, v[80:81] offset:1024
	s_mov_b32 s21, exec_lo
	s_waitcnt vmcnt(0) lgkmcnt(0)
	v_dual_mov_b32 v1, 0 :: v_dual_and_b32 v2, 0xff, v0
	s_delay_alu instid0(VALU_DEP_1)
	v_cmpx_ne_u16_e32 0, v2
	s_cbranch_execz .LBB415_408
; %bb.401:                              ;   in Loop: Header=BB415_13 Depth=1
	v_bfrev_b32_e32 v1, 1
	s_mov_b32 s22, exec_lo
	v_cmpx_ne_u16_e32 0x80, v2
	s_cbranch_execz .LBB415_407
; %bb.402:                              ;   in Loop: Header=BB415_13 Depth=1
	v_and_b32_e32 v2, 0x7f, v0
	v_mov_b32_e32 v1, 0x7f800001
	s_mov_b32 s23, exec_lo
	s_delay_alu instid0(VALU_DEP_2)
	v_cmpx_ne_u32_e32 0x7f, v2
	s_cbranch_execz .LBB415_406
; %bb.403:                              ;   in Loop: Header=BB415_13 Depth=1
	v_and_b32_e32 v28, 7, v0
	v_lshrrev_b32_e32 v1, 3, v2
	v_mov_b32_e32 v83, v29
	s_mov_b32 s24, exec_lo
	s_delay_alu instid0(VALU_DEP_3)
	v_mov_b32_e32 v82, v28
	v_cmpx_gt_u32_e32 8, v2
; %bb.404:                              ;   in Loop: Header=BB415_13 Depth=1
	v_clz_i32_u32_e32 v1, v28
	s_delay_alu instid0(VALU_DEP_1) | instskip(NEXT) | instid1(VALU_DEP_1)
	v_min_u32_e32 v1, 32, v1
	v_subrev_nc_u32_e32 v2, 28, v1
	v_sub_nc_u32_e32 v1, 29, v1
	s_delay_alu instid0(VALU_DEP_2) | instskip(NEXT) | instid1(VALU_DEP_1)
	v_lshlrev_b64 v[2:3], v2, v[28:29]
	v_and_b32_e32 v82, 7, v2
; %bb.405:                              ;   in Loop: Header=BB415_13 Depth=1
	s_or_b32 exec_lo, exec_lo, s24
	v_lshlrev_b32_e32 v2, 24, v0
	s_delay_alu instid0(VALU_DEP_2) | instskip(SKIP_1) | instid1(VALU_DEP_3)
	v_lshlrev_b32_e32 v3, 20, v82
	v_lshl_add_u32 v1, v1, 23, 0x3c000000
	v_and_b32_e32 v2, 0x80000000, v2
	s_delay_alu instid0(VALU_DEP_1)
	v_or3_b32 v1, v3, v2, v1
.LBB415_406:                            ;   in Loop: Header=BB415_13 Depth=1
	s_or_b32 exec_lo, exec_lo, s23
.LBB415_407:                            ;   in Loop: Header=BB415_13 Depth=1
	s_delay_alu instid0(SALU_CYCLE_1)
	s_or_b32 exec_lo, exec_lo, s22
.LBB415_408:                            ;   in Loop: Header=BB415_13 Depth=1
	s_delay_alu instid0(SALU_CYCLE_1) | instskip(NEXT) | instid1(VALU_DEP_1)
	s_or_b32 exec_lo, exec_lo, s21
	v_mul_f32_e32 v1, v144, v1
                                        ; implicit-def: $vgpr56
	s_delay_alu instid0(VALU_DEP_1) | instskip(NEXT) | instid1(VALU_DEP_1)
	v_and_b32_e32 v2, 0x7f800000, v1
	v_cmp_ne_u32_e64 s3, 0x7f800000, v2
	s_delay_alu instid0(VALU_DEP_1) | instskip(NEXT) | instid1(SALU_CYCLE_1)
	s_and_saveexec_b32 s21, s3
	s_xor_b32 s3, exec_lo, s21
; %bb.409:                              ;   in Loop: Header=BB415_13 Depth=1
	v_bfe_u32 v2, v1, 16, 1
	s_delay_alu instid0(VALU_DEP_1)
	v_add3_u32 v56, v1, v2, 0x7fff
                                        ; implicit-def: $vgpr1
; %bb.410:                              ;   in Loop: Header=BB415_13 Depth=1
	s_and_not1_saveexec_b32 s21, s3
; %bb.411:                              ;   in Loop: Header=BB415_13 Depth=1
	v_and_b32_e32 v2, 0xffff, v1
	v_or_b32_e32 v3, 0x10000, v1
	s_delay_alu instid0(VALU_DEP_2) | instskip(NEXT) | instid1(VALU_DEP_1)
	v_cmp_eq_u32_e64 s3, 0, v2
	v_cndmask_b32_e64 v56, v3, v1, s3
; %bb.412:                              ;   in Loop: Header=BB415_13 Depth=1
	s_or_b32 exec_lo, exec_lo, s21
	v_lshrrev_b16 v2, 8, v0
	v_mov_b32_e32 v1, 0
	s_mov_b32 s21, exec_lo
	s_delay_alu instid0(VALU_DEP_2)
	v_cmpx_ne_u16_e32 0, v2
	s_cbranch_execz .LBB415_420
; %bb.413:                              ;   in Loop: Header=BB415_13 Depth=1
	v_bfrev_b32_e32 v1, 1
	s_mov_b32 s22, exec_lo
	v_cmpx_ne_u16_e32 0x80, v2
	s_cbranch_execz .LBB415_419
; %bb.414:                              ;   in Loop: Header=BB415_13 Depth=1
	v_and_b32_e32 v3, 0xffff, v2
	v_mov_b32_e32 v1, 0x7f800001
	s_mov_b32 s23, exec_lo
	s_delay_alu instid0(VALU_DEP_2) | instskip(NEXT) | instid1(VALU_DEP_1)
	v_and_b32_e32 v2, 0x7f, v3
	v_cmpx_ne_u32_e32 0x7f, v2
	s_cbranch_execz .LBB415_418
; %bb.415:                              ;   in Loop: Header=BB415_13 Depth=1
	v_and_b32_e32 v28, 7, v3
	v_lshrrev_b32_e32 v1, 3, v2
	v_mov_b32_e32 v83, v29
	s_mov_b32 s24, exec_lo
	s_delay_alu instid0(VALU_DEP_3)
	v_mov_b32_e32 v82, v28
	v_cmpx_gt_u32_e32 8, v2
; %bb.416:                              ;   in Loop: Header=BB415_13 Depth=1
	v_clz_i32_u32_e32 v1, v28
	s_delay_alu instid0(VALU_DEP_1) | instskip(NEXT) | instid1(VALU_DEP_1)
	v_min_u32_e32 v1, 32, v1
	v_subrev_nc_u32_e32 v2, 28, v1
	v_sub_nc_u32_e32 v1, 29, v1
	s_delay_alu instid0(VALU_DEP_2) | instskip(NEXT) | instid1(VALU_DEP_1)
	v_lshlrev_b64 v[2:3], v2, v[28:29]
	v_and_b32_e32 v82, 7, v2
; %bb.417:                              ;   in Loop: Header=BB415_13 Depth=1
	s_or_b32 exec_lo, exec_lo, s24
	v_lshlrev_b32_e32 v2, 16, v0
	s_delay_alu instid0(VALU_DEP_2) | instskip(SKIP_1) | instid1(VALU_DEP_3)
	v_lshlrev_b32_e32 v3, 20, v82
	v_lshl_add_u32 v1, v1, 23, 0x3c000000
	v_and_b32_e32 v2, 0x80000000, v2
	s_delay_alu instid0(VALU_DEP_1)
	v_or3_b32 v1, v3, v2, v1
.LBB415_418:                            ;   in Loop: Header=BB415_13 Depth=1
	s_or_b32 exec_lo, exec_lo, s23
.LBB415_419:                            ;   in Loop: Header=BB415_13 Depth=1
	s_delay_alu instid0(SALU_CYCLE_1)
	s_or_b32 exec_lo, exec_lo, s22
.LBB415_420:                            ;   in Loop: Header=BB415_13 Depth=1
	s_delay_alu instid0(SALU_CYCLE_1) | instskip(NEXT) | instid1(VALU_DEP_1)
	s_or_b32 exec_lo, exec_lo, s21
	v_mul_f32_e32 v1, v144, v1
                                        ; implicit-def: $vgpr57
	s_delay_alu instid0(VALU_DEP_1) | instskip(NEXT) | instid1(VALU_DEP_1)
	v_and_b32_e32 v2, 0x7f800000, v1
	v_cmp_ne_u32_e64 s3, 0x7f800000, v2
	s_delay_alu instid0(VALU_DEP_1) | instskip(NEXT) | instid1(SALU_CYCLE_1)
	s_and_saveexec_b32 s21, s3
	s_xor_b32 s3, exec_lo, s21
; %bb.421:                              ;   in Loop: Header=BB415_13 Depth=1
	v_bfe_u32 v2, v1, 16, 1
	s_delay_alu instid0(VALU_DEP_1)
	v_add3_u32 v57, v1, v2, 0x7fff
                                        ; implicit-def: $vgpr1
; %bb.422:                              ;   in Loop: Header=BB415_13 Depth=1
	s_and_not1_saveexec_b32 s21, s3
; %bb.423:                              ;   in Loop: Header=BB415_13 Depth=1
	v_and_b32_e32 v2, 0xffff, v1
	v_or_b32_e32 v3, 0x10000, v1
	s_delay_alu instid0(VALU_DEP_2) | instskip(NEXT) | instid1(VALU_DEP_1)
	v_cmp_eq_u32_e64 s3, 0, v2
	v_cndmask_b32_e64 v57, v3, v1, s3
; %bb.424:                              ;   in Loop: Header=BB415_13 Depth=1
	s_or_b32 exec_lo, exec_lo, s21
	v_lshrrev_b32_e32 v1, 16, v0
	s_mov_b32 s21, exec_lo
	s_delay_alu instid0(VALU_DEP_1) | instskip(NEXT) | instid1(VALU_DEP_1)
	v_dual_mov_b32 v2, 0 :: v_dual_and_b32 v3, 0xff, v1
	v_cmpx_ne_u16_e32 0, v3
	s_cbranch_execz .LBB415_432
; %bb.425:                              ;   in Loop: Header=BB415_13 Depth=1
	v_bfrev_b32_e32 v2, 1
	s_mov_b32 s22, exec_lo
	v_cmpx_ne_u16_e32 0x80, v3
	s_cbranch_execz .LBB415_431
; %bb.426:                              ;   in Loop: Header=BB415_13 Depth=1
	v_bfe_u32 v3, v0, 16, 7
	v_mov_b32_e32 v2, 0x7f800001
	s_mov_b32 s23, exec_lo
	s_delay_alu instid0(VALU_DEP_2)
	v_cmpx_ne_u32_e32 0x7f, v3
	s_cbranch_execz .LBB415_430
; %bb.427:                              ;   in Loop: Header=BB415_13 Depth=1
	v_and_b32_e32 v28, 7, v1
	v_lshrrev_b32_e32 v2, 3, v3
	v_mov_b32_e32 v83, v29
	s_mov_b32 s24, exec_lo
	s_delay_alu instid0(VALU_DEP_3)
	v_mov_b32_e32 v82, v28
	v_cmpx_gt_u32_e32 8, v3
; %bb.428:                              ;   in Loop: Header=BB415_13 Depth=1
	v_clz_i32_u32_e32 v2, v28
	s_delay_alu instid0(VALU_DEP_1) | instskip(NEXT) | instid1(VALU_DEP_1)
	v_min_u32_e32 v2, 32, v2
	v_subrev_nc_u32_e32 v3, 28, v2
	v_sub_nc_u32_e32 v2, 29, v2
	s_delay_alu instid0(VALU_DEP_2) | instskip(NEXT) | instid1(VALU_DEP_1)
	v_lshlrev_b64 v[3:4], v3, v[28:29]
	v_and_b32_e32 v82, 7, v3
; %bb.429:                              ;   in Loop: Header=BB415_13 Depth=1
	s_or_b32 exec_lo, exec_lo, s24
	v_lshlrev_b32_e32 v1, 24, v1
	s_delay_alu instid0(VALU_DEP_2) | instskip(SKIP_1) | instid1(VALU_DEP_3)
	v_lshlrev_b32_e32 v3, 20, v82
	v_lshl_add_u32 v2, v2, 23, 0x3c000000
	v_and_b32_e32 v1, 0x80000000, v1
	s_delay_alu instid0(VALU_DEP_1)
	v_or3_b32 v2, v3, v1, v2
.LBB415_430:                            ;   in Loop: Header=BB415_13 Depth=1
	s_or_b32 exec_lo, exec_lo, s23
.LBB415_431:                            ;   in Loop: Header=BB415_13 Depth=1
	s_delay_alu instid0(SALU_CYCLE_1)
	s_or_b32 exec_lo, exec_lo, s22
.LBB415_432:                            ;   in Loop: Header=BB415_13 Depth=1
	s_delay_alu instid0(SALU_CYCLE_1) | instskip(NEXT) | instid1(VALU_DEP_1)
	s_or_b32 exec_lo, exec_lo, s21
	v_mul_f32_e32 v1, v144, v2
                                        ; implicit-def: $vgpr58
	s_delay_alu instid0(VALU_DEP_1) | instskip(NEXT) | instid1(VALU_DEP_1)
	v_and_b32_e32 v2, 0x7f800000, v1
	v_cmp_ne_u32_e64 s3, 0x7f800000, v2
	s_delay_alu instid0(VALU_DEP_1) | instskip(NEXT) | instid1(SALU_CYCLE_1)
	s_and_saveexec_b32 s21, s3
	s_xor_b32 s3, exec_lo, s21
; %bb.433:                              ;   in Loop: Header=BB415_13 Depth=1
	v_bfe_u32 v2, v1, 16, 1
	s_delay_alu instid0(VALU_DEP_1)
	v_add3_u32 v58, v1, v2, 0x7fff
                                        ; implicit-def: $vgpr1
; %bb.434:                              ;   in Loop: Header=BB415_13 Depth=1
	s_and_not1_saveexec_b32 s21, s3
; %bb.435:                              ;   in Loop: Header=BB415_13 Depth=1
	v_and_b32_e32 v2, 0xffff, v1
	v_or_b32_e32 v3, 0x10000, v1
	s_delay_alu instid0(VALU_DEP_2) | instskip(NEXT) | instid1(VALU_DEP_1)
	v_cmp_eq_u32_e64 s3, 0, v2
	v_cndmask_b32_e64 v58, v3, v1, s3
; %bb.436:                              ;   in Loop: Header=BB415_13 Depth=1
	s_or_b32 exec_lo, exec_lo, s21
	v_mov_b32_e32 v2, 0
	s_mov_b32 s21, exec_lo
	v_cmpx_lt_u32_e32 0xffffff, v0
	s_cbranch_execz .LBB415_444
; %bb.437:                              ;   in Loop: Header=BB415_13 Depth=1
	v_lshrrev_b32_e32 v1, 24, v0
	v_bfrev_b32_e32 v2, 1
	s_mov_b32 s22, exec_lo
	s_delay_alu instid0(VALU_DEP_2)
	v_cmpx_ne_u32_e32 0x80, v1
	s_cbranch_execz .LBB415_443
; %bb.438:                              ;   in Loop: Header=BB415_13 Depth=1
	v_bfe_u32 v3, v0, 24, 7
	v_mov_b32_e32 v2, 0x7f800001
	s_mov_b32 s23, exec_lo
	s_delay_alu instid0(VALU_DEP_2)
	v_cmpx_ne_u32_e32 0x7f, v3
	s_cbranch_execz .LBB415_442
; %bb.439:                              ;   in Loop: Header=BB415_13 Depth=1
	v_and_b32_e32 v28, 7, v1
	v_lshrrev_b32_e32 v0, 3, v3
	v_mov_b32_e32 v83, v29
	s_mov_b32 s24, exec_lo
	s_delay_alu instid0(VALU_DEP_3)
	v_mov_b32_e32 v82, v28
	v_cmpx_gt_u32_e32 8, v3
; %bb.440:                              ;   in Loop: Header=BB415_13 Depth=1
	v_clz_i32_u32_e32 v0, v28
	s_delay_alu instid0(VALU_DEP_1) | instskip(NEXT) | instid1(VALU_DEP_1)
	v_min_u32_e32 v0, 32, v0
	v_subrev_nc_u32_e32 v2, 28, v0
	v_sub_nc_u32_e32 v0, 29, v0
	s_delay_alu instid0(VALU_DEP_2) | instskip(NEXT) | instid1(VALU_DEP_1)
	v_lshlrev_b64 v[2:3], v2, v[28:29]
	v_and_b32_e32 v82, 7, v2
; %bb.441:                              ;   in Loop: Header=BB415_13 Depth=1
	s_or_b32 exec_lo, exec_lo, s24
	v_lshlrev_b32_e32 v1, 24, v1
	s_delay_alu instid0(VALU_DEP_2) | instskip(SKIP_1) | instid1(VALU_DEP_3)
	v_lshlrev_b32_e32 v2, 20, v82
	v_lshl_add_u32 v0, v0, 23, 0x3c000000
	v_and_b32_e32 v1, 0x80000000, v1
	s_delay_alu instid0(VALU_DEP_1)
	v_or3_b32 v2, v2, v1, v0
.LBB415_442:                            ;   in Loop: Header=BB415_13 Depth=1
	s_or_b32 exec_lo, exec_lo, s23
.LBB415_443:                            ;   in Loop: Header=BB415_13 Depth=1
	s_delay_alu instid0(SALU_CYCLE_1)
	s_or_b32 exec_lo, exec_lo, s22
.LBB415_444:                            ;   in Loop: Header=BB415_13 Depth=1
	s_delay_alu instid0(SALU_CYCLE_1) | instskip(NEXT) | instid1(VALU_DEP_1)
	s_or_b32 exec_lo, exec_lo, s21
	v_mul_f32_e32 v0, v144, v2
                                        ; implicit-def: $vgpr59
	s_delay_alu instid0(VALU_DEP_1) | instskip(NEXT) | instid1(VALU_DEP_1)
	v_and_b32_e32 v1, 0x7f800000, v0
	v_cmp_ne_u32_e64 s3, 0x7f800000, v1
	s_delay_alu instid0(VALU_DEP_1) | instskip(NEXT) | instid1(SALU_CYCLE_1)
	s_and_saveexec_b32 s21, s3
	s_xor_b32 s3, exec_lo, s21
; %bb.445:                              ;   in Loop: Header=BB415_13 Depth=1
	v_bfe_u32 v1, v0, 16, 1
	s_delay_alu instid0(VALU_DEP_1)
	v_add3_u32 v59, v0, v1, 0x7fff
                                        ; implicit-def: $vgpr0
; %bb.446:                              ;   in Loop: Header=BB415_13 Depth=1
	s_and_not1_saveexec_b32 s21, s3
; %bb.447:                              ;   in Loop: Header=BB415_13 Depth=1
	v_and_b32_e32 v1, 0xffff, v0
	v_or_b32_e32 v2, 0x10000, v0
	s_delay_alu instid0(VALU_DEP_2) | instskip(NEXT) | instid1(VALU_DEP_1)
	v_cmp_eq_u32_e64 s3, 0, v1
	v_cndmask_b32_e64 v59, v2, v0, s3
; %bb.448:                              ;   in Loop: Header=BB415_13 Depth=1
	s_or_b32 exec_lo, exec_lo, s21
	flat_load_b32 v0, v[80:81] offset:1032
	s_mov_b32 s21, exec_lo
	s_waitcnt vmcnt(0) lgkmcnt(0)
	v_dual_mov_b32 v1, 0 :: v_dual_and_b32 v2, 0xff, v0
	s_delay_alu instid0(VALU_DEP_1)
	v_cmpx_ne_u16_e32 0, v2
	s_cbranch_execz .LBB415_456
; %bb.449:                              ;   in Loop: Header=BB415_13 Depth=1
	v_bfrev_b32_e32 v1, 1
	s_mov_b32 s22, exec_lo
	v_cmpx_ne_u16_e32 0x80, v2
	s_cbranch_execz .LBB415_455
; %bb.450:                              ;   in Loop: Header=BB415_13 Depth=1
	v_and_b32_e32 v2, 0x7f, v0
	v_mov_b32_e32 v1, 0x7f800001
	s_mov_b32 s23, exec_lo
	s_delay_alu instid0(VALU_DEP_2)
	v_cmpx_ne_u32_e32 0x7f, v2
	s_cbranch_execz .LBB415_454
; %bb.451:                              ;   in Loop: Header=BB415_13 Depth=1
	v_and_b32_e32 v28, 7, v0
	v_lshrrev_b32_e32 v1, 3, v2
	v_mov_b32_e32 v83, v29
	s_mov_b32 s24, exec_lo
	s_delay_alu instid0(VALU_DEP_3)
	v_mov_b32_e32 v82, v28
	v_cmpx_gt_u32_e32 8, v2
; %bb.452:                              ;   in Loop: Header=BB415_13 Depth=1
	v_clz_i32_u32_e32 v1, v28
	s_delay_alu instid0(VALU_DEP_1) | instskip(NEXT) | instid1(VALU_DEP_1)
	v_min_u32_e32 v1, 32, v1
	v_subrev_nc_u32_e32 v2, 28, v1
	v_sub_nc_u32_e32 v1, 29, v1
	s_delay_alu instid0(VALU_DEP_2) | instskip(NEXT) | instid1(VALU_DEP_1)
	v_lshlrev_b64 v[2:3], v2, v[28:29]
	v_and_b32_e32 v82, 7, v2
; %bb.453:                              ;   in Loop: Header=BB415_13 Depth=1
	s_or_b32 exec_lo, exec_lo, s24
	v_lshlrev_b32_e32 v2, 24, v0
	s_delay_alu instid0(VALU_DEP_2) | instskip(SKIP_1) | instid1(VALU_DEP_3)
	v_lshlrev_b32_e32 v3, 20, v82
	v_lshl_add_u32 v1, v1, 23, 0x3c000000
	v_and_b32_e32 v2, 0x80000000, v2
	s_delay_alu instid0(VALU_DEP_1)
	v_or3_b32 v1, v3, v2, v1
.LBB415_454:                            ;   in Loop: Header=BB415_13 Depth=1
	s_or_b32 exec_lo, exec_lo, s23
.LBB415_455:                            ;   in Loop: Header=BB415_13 Depth=1
	s_delay_alu instid0(SALU_CYCLE_1)
	s_or_b32 exec_lo, exec_lo, s22
.LBB415_456:                            ;   in Loop: Header=BB415_13 Depth=1
	s_delay_alu instid0(SALU_CYCLE_1) | instskip(NEXT) | instid1(VALU_DEP_1)
	s_or_b32 exec_lo, exec_lo, s21
	v_mul_f32_e32 v1, v144, v1
                                        ; implicit-def: $vgpr60
	s_delay_alu instid0(VALU_DEP_1) | instskip(NEXT) | instid1(VALU_DEP_1)
	v_and_b32_e32 v2, 0x7f800000, v1
	v_cmp_ne_u32_e64 s3, 0x7f800000, v2
	s_delay_alu instid0(VALU_DEP_1) | instskip(NEXT) | instid1(SALU_CYCLE_1)
	s_and_saveexec_b32 s21, s3
	s_xor_b32 s3, exec_lo, s21
; %bb.457:                              ;   in Loop: Header=BB415_13 Depth=1
	v_bfe_u32 v2, v1, 16, 1
	s_delay_alu instid0(VALU_DEP_1)
	v_add3_u32 v60, v1, v2, 0x7fff
                                        ; implicit-def: $vgpr1
; %bb.458:                              ;   in Loop: Header=BB415_13 Depth=1
	s_and_not1_saveexec_b32 s21, s3
; %bb.459:                              ;   in Loop: Header=BB415_13 Depth=1
	v_and_b32_e32 v2, 0xffff, v1
	v_or_b32_e32 v3, 0x10000, v1
	s_delay_alu instid0(VALU_DEP_2) | instskip(NEXT) | instid1(VALU_DEP_1)
	v_cmp_eq_u32_e64 s3, 0, v2
	v_cndmask_b32_e64 v60, v3, v1, s3
; %bb.460:                              ;   in Loop: Header=BB415_13 Depth=1
	s_or_b32 exec_lo, exec_lo, s21
	v_lshrrev_b16 v2, 8, v0
	v_mov_b32_e32 v1, 0
	s_mov_b32 s21, exec_lo
	s_delay_alu instid0(VALU_DEP_2)
	v_cmpx_ne_u16_e32 0, v2
	s_cbranch_execz .LBB415_468
; %bb.461:                              ;   in Loop: Header=BB415_13 Depth=1
	v_bfrev_b32_e32 v1, 1
	s_mov_b32 s22, exec_lo
	v_cmpx_ne_u16_e32 0x80, v2
	s_cbranch_execz .LBB415_467
; %bb.462:                              ;   in Loop: Header=BB415_13 Depth=1
	v_and_b32_e32 v3, 0xffff, v2
	v_mov_b32_e32 v1, 0x7f800001
	s_mov_b32 s23, exec_lo
	s_delay_alu instid0(VALU_DEP_2) | instskip(NEXT) | instid1(VALU_DEP_1)
	v_and_b32_e32 v2, 0x7f, v3
	v_cmpx_ne_u32_e32 0x7f, v2
	s_cbranch_execz .LBB415_466
; %bb.463:                              ;   in Loop: Header=BB415_13 Depth=1
	v_and_b32_e32 v28, 7, v3
	v_lshrrev_b32_e32 v1, 3, v2
	v_mov_b32_e32 v83, v29
	s_mov_b32 s24, exec_lo
	s_delay_alu instid0(VALU_DEP_3)
	v_mov_b32_e32 v82, v28
	v_cmpx_gt_u32_e32 8, v2
; %bb.464:                              ;   in Loop: Header=BB415_13 Depth=1
	v_clz_i32_u32_e32 v1, v28
	s_delay_alu instid0(VALU_DEP_1) | instskip(NEXT) | instid1(VALU_DEP_1)
	v_min_u32_e32 v1, 32, v1
	v_subrev_nc_u32_e32 v2, 28, v1
	v_sub_nc_u32_e32 v1, 29, v1
	s_delay_alu instid0(VALU_DEP_2) | instskip(NEXT) | instid1(VALU_DEP_1)
	v_lshlrev_b64 v[2:3], v2, v[28:29]
	v_and_b32_e32 v82, 7, v2
; %bb.465:                              ;   in Loop: Header=BB415_13 Depth=1
	s_or_b32 exec_lo, exec_lo, s24
	v_lshlrev_b32_e32 v2, 16, v0
	s_delay_alu instid0(VALU_DEP_2) | instskip(SKIP_1) | instid1(VALU_DEP_3)
	v_lshlrev_b32_e32 v3, 20, v82
	v_lshl_add_u32 v1, v1, 23, 0x3c000000
	v_and_b32_e32 v2, 0x80000000, v2
	s_delay_alu instid0(VALU_DEP_1)
	v_or3_b32 v1, v3, v2, v1
.LBB415_466:                            ;   in Loop: Header=BB415_13 Depth=1
	s_or_b32 exec_lo, exec_lo, s23
.LBB415_467:                            ;   in Loop: Header=BB415_13 Depth=1
	s_delay_alu instid0(SALU_CYCLE_1)
	s_or_b32 exec_lo, exec_lo, s22
.LBB415_468:                            ;   in Loop: Header=BB415_13 Depth=1
	s_delay_alu instid0(SALU_CYCLE_1) | instskip(NEXT) | instid1(VALU_DEP_1)
	s_or_b32 exec_lo, exec_lo, s21
	v_mul_f32_e32 v1, v144, v1
                                        ; implicit-def: $vgpr61
	s_delay_alu instid0(VALU_DEP_1) | instskip(NEXT) | instid1(VALU_DEP_1)
	v_and_b32_e32 v2, 0x7f800000, v1
	v_cmp_ne_u32_e64 s3, 0x7f800000, v2
	s_delay_alu instid0(VALU_DEP_1) | instskip(NEXT) | instid1(SALU_CYCLE_1)
	s_and_saveexec_b32 s21, s3
	s_xor_b32 s3, exec_lo, s21
; %bb.469:                              ;   in Loop: Header=BB415_13 Depth=1
	v_bfe_u32 v2, v1, 16, 1
	s_delay_alu instid0(VALU_DEP_1)
	v_add3_u32 v61, v1, v2, 0x7fff
                                        ; implicit-def: $vgpr1
; %bb.470:                              ;   in Loop: Header=BB415_13 Depth=1
	s_and_not1_saveexec_b32 s21, s3
; %bb.471:                              ;   in Loop: Header=BB415_13 Depth=1
	v_and_b32_e32 v2, 0xffff, v1
	v_or_b32_e32 v3, 0x10000, v1
	s_delay_alu instid0(VALU_DEP_2) | instskip(NEXT) | instid1(VALU_DEP_1)
	v_cmp_eq_u32_e64 s3, 0, v2
	v_cndmask_b32_e64 v61, v3, v1, s3
; %bb.472:                              ;   in Loop: Header=BB415_13 Depth=1
	s_or_b32 exec_lo, exec_lo, s21
	v_lshrrev_b32_e32 v1, 16, v0
	s_mov_b32 s21, exec_lo
	s_delay_alu instid0(VALU_DEP_1) | instskip(NEXT) | instid1(VALU_DEP_1)
	v_dual_mov_b32 v2, 0 :: v_dual_and_b32 v3, 0xff, v1
	v_cmpx_ne_u16_e32 0, v3
	s_cbranch_execz .LBB415_480
; %bb.473:                              ;   in Loop: Header=BB415_13 Depth=1
	v_bfrev_b32_e32 v2, 1
	s_mov_b32 s22, exec_lo
	v_cmpx_ne_u16_e32 0x80, v3
	s_cbranch_execz .LBB415_479
; %bb.474:                              ;   in Loop: Header=BB415_13 Depth=1
	v_bfe_u32 v3, v0, 16, 7
	v_mov_b32_e32 v2, 0x7f800001
	s_mov_b32 s23, exec_lo
	s_delay_alu instid0(VALU_DEP_2)
	v_cmpx_ne_u32_e32 0x7f, v3
	s_cbranch_execz .LBB415_478
; %bb.475:                              ;   in Loop: Header=BB415_13 Depth=1
	v_and_b32_e32 v28, 7, v1
	v_lshrrev_b32_e32 v2, 3, v3
	v_mov_b32_e32 v83, v29
	s_mov_b32 s24, exec_lo
	s_delay_alu instid0(VALU_DEP_3)
	v_mov_b32_e32 v82, v28
	v_cmpx_gt_u32_e32 8, v3
; %bb.476:                              ;   in Loop: Header=BB415_13 Depth=1
	v_clz_i32_u32_e32 v2, v28
	s_delay_alu instid0(VALU_DEP_1) | instskip(NEXT) | instid1(VALU_DEP_1)
	v_min_u32_e32 v2, 32, v2
	v_subrev_nc_u32_e32 v3, 28, v2
	v_sub_nc_u32_e32 v2, 29, v2
	s_delay_alu instid0(VALU_DEP_2) | instskip(NEXT) | instid1(VALU_DEP_1)
	v_lshlrev_b64 v[3:4], v3, v[28:29]
	v_and_b32_e32 v82, 7, v3
; %bb.477:                              ;   in Loop: Header=BB415_13 Depth=1
	s_or_b32 exec_lo, exec_lo, s24
	v_lshlrev_b32_e32 v1, 24, v1
	s_delay_alu instid0(VALU_DEP_2) | instskip(SKIP_1) | instid1(VALU_DEP_3)
	v_lshlrev_b32_e32 v3, 20, v82
	v_lshl_add_u32 v2, v2, 23, 0x3c000000
	v_and_b32_e32 v1, 0x80000000, v1
	s_delay_alu instid0(VALU_DEP_1)
	v_or3_b32 v2, v3, v1, v2
.LBB415_478:                            ;   in Loop: Header=BB415_13 Depth=1
	s_or_b32 exec_lo, exec_lo, s23
.LBB415_479:                            ;   in Loop: Header=BB415_13 Depth=1
	s_delay_alu instid0(SALU_CYCLE_1)
	s_or_b32 exec_lo, exec_lo, s22
.LBB415_480:                            ;   in Loop: Header=BB415_13 Depth=1
	s_delay_alu instid0(SALU_CYCLE_1) | instskip(NEXT) | instid1(VALU_DEP_1)
	s_or_b32 exec_lo, exec_lo, s21
	v_mul_f32_e32 v1, v144, v2
                                        ; implicit-def: $vgpr62
	s_delay_alu instid0(VALU_DEP_1) | instskip(NEXT) | instid1(VALU_DEP_1)
	v_and_b32_e32 v2, 0x7f800000, v1
	v_cmp_ne_u32_e64 s3, 0x7f800000, v2
	s_delay_alu instid0(VALU_DEP_1) | instskip(NEXT) | instid1(SALU_CYCLE_1)
	s_and_saveexec_b32 s21, s3
	s_xor_b32 s3, exec_lo, s21
; %bb.481:                              ;   in Loop: Header=BB415_13 Depth=1
	v_bfe_u32 v2, v1, 16, 1
	s_delay_alu instid0(VALU_DEP_1)
	v_add3_u32 v62, v1, v2, 0x7fff
                                        ; implicit-def: $vgpr1
; %bb.482:                              ;   in Loop: Header=BB415_13 Depth=1
	s_and_not1_saveexec_b32 s21, s3
; %bb.483:                              ;   in Loop: Header=BB415_13 Depth=1
	v_and_b32_e32 v2, 0xffff, v1
	v_or_b32_e32 v3, 0x10000, v1
	s_delay_alu instid0(VALU_DEP_2) | instskip(NEXT) | instid1(VALU_DEP_1)
	v_cmp_eq_u32_e64 s3, 0, v2
	v_cndmask_b32_e64 v62, v3, v1, s3
; %bb.484:                              ;   in Loop: Header=BB415_13 Depth=1
	s_or_b32 exec_lo, exec_lo, s21
	v_mov_b32_e32 v2, 0
	s_mov_b32 s21, exec_lo
	v_cmpx_lt_u32_e32 0xffffff, v0
	s_cbranch_execz .LBB415_492
; %bb.485:                              ;   in Loop: Header=BB415_13 Depth=1
	v_lshrrev_b32_e32 v1, 24, v0
	v_bfrev_b32_e32 v2, 1
	s_mov_b32 s22, exec_lo
	s_delay_alu instid0(VALU_DEP_2)
	v_cmpx_ne_u32_e32 0x80, v1
	s_cbranch_execz .LBB415_491
; %bb.486:                              ;   in Loop: Header=BB415_13 Depth=1
	v_bfe_u32 v3, v0, 24, 7
	v_mov_b32_e32 v2, 0x7f800001
	s_mov_b32 s23, exec_lo
	s_delay_alu instid0(VALU_DEP_2)
	v_cmpx_ne_u32_e32 0x7f, v3
	s_cbranch_execz .LBB415_490
; %bb.487:                              ;   in Loop: Header=BB415_13 Depth=1
	v_and_b32_e32 v28, 7, v1
	v_lshrrev_b32_e32 v0, 3, v3
	v_mov_b32_e32 v83, v29
	s_mov_b32 s24, exec_lo
	s_delay_alu instid0(VALU_DEP_3)
	v_mov_b32_e32 v82, v28
	v_cmpx_gt_u32_e32 8, v3
; %bb.488:                              ;   in Loop: Header=BB415_13 Depth=1
	v_clz_i32_u32_e32 v0, v28
	s_delay_alu instid0(VALU_DEP_1) | instskip(NEXT) | instid1(VALU_DEP_1)
	v_min_u32_e32 v0, 32, v0
	v_subrev_nc_u32_e32 v2, 28, v0
	v_sub_nc_u32_e32 v0, 29, v0
	s_delay_alu instid0(VALU_DEP_2) | instskip(NEXT) | instid1(VALU_DEP_1)
	v_lshlrev_b64 v[2:3], v2, v[28:29]
	v_and_b32_e32 v82, 7, v2
; %bb.489:                              ;   in Loop: Header=BB415_13 Depth=1
	s_or_b32 exec_lo, exec_lo, s24
	v_lshlrev_b32_e32 v1, 24, v1
	s_delay_alu instid0(VALU_DEP_2) | instskip(SKIP_1) | instid1(VALU_DEP_3)
	v_lshlrev_b32_e32 v2, 20, v82
	v_lshl_add_u32 v0, v0, 23, 0x3c000000
	v_and_b32_e32 v1, 0x80000000, v1
	s_delay_alu instid0(VALU_DEP_1)
	v_or3_b32 v2, v2, v1, v0
.LBB415_490:                            ;   in Loop: Header=BB415_13 Depth=1
	s_or_b32 exec_lo, exec_lo, s23
.LBB415_491:                            ;   in Loop: Header=BB415_13 Depth=1
	s_delay_alu instid0(SALU_CYCLE_1)
	s_or_b32 exec_lo, exec_lo, s22
.LBB415_492:                            ;   in Loop: Header=BB415_13 Depth=1
	s_delay_alu instid0(SALU_CYCLE_1) | instskip(NEXT) | instid1(VALU_DEP_1)
	s_or_b32 exec_lo, exec_lo, s21
	v_mul_f32_e32 v0, v144, v2
                                        ; implicit-def: $vgpr63
	s_delay_alu instid0(VALU_DEP_1) | instskip(NEXT) | instid1(VALU_DEP_1)
	v_and_b32_e32 v1, 0x7f800000, v0
	v_cmp_ne_u32_e64 s3, 0x7f800000, v1
	s_delay_alu instid0(VALU_DEP_1) | instskip(NEXT) | instid1(SALU_CYCLE_1)
	s_and_saveexec_b32 s21, s3
	s_xor_b32 s3, exec_lo, s21
; %bb.493:                              ;   in Loop: Header=BB415_13 Depth=1
	v_bfe_u32 v1, v0, 16, 1
	s_delay_alu instid0(VALU_DEP_1)
	v_add3_u32 v63, v0, v1, 0x7fff
                                        ; implicit-def: $vgpr0
; %bb.494:                              ;   in Loop: Header=BB415_13 Depth=1
	s_and_not1_saveexec_b32 s21, s3
; %bb.495:                              ;   in Loop: Header=BB415_13 Depth=1
	v_and_b32_e32 v1, 0xffff, v0
	v_or_b32_e32 v2, 0x10000, v0
	s_delay_alu instid0(VALU_DEP_2) | instskip(NEXT) | instid1(VALU_DEP_1)
	v_cmp_eq_u32_e64 s3, 0, v1
	v_cndmask_b32_e64 v63, v2, v0, s3
; %bb.496:                              ;   in Loop: Header=BB415_13 Depth=1
	s_or_b32 exec_lo, exec_lo, s21
	flat_load_b32 v0, v[80:81] offset:1280
	s_mov_b32 s21, exec_lo
	s_waitcnt vmcnt(0) lgkmcnt(0)
	v_dual_mov_b32 v1, 0 :: v_dual_and_b32 v2, 0xff, v0
	s_delay_alu instid0(VALU_DEP_1)
	v_cmpx_ne_u16_e32 0, v2
	s_cbranch_execz .LBB415_504
; %bb.497:                              ;   in Loop: Header=BB415_13 Depth=1
	v_bfrev_b32_e32 v1, 1
	s_mov_b32 s22, exec_lo
	v_cmpx_ne_u16_e32 0x80, v2
	s_cbranch_execz .LBB415_503
; %bb.498:                              ;   in Loop: Header=BB415_13 Depth=1
	v_and_b32_e32 v2, 0x7f, v0
	v_mov_b32_e32 v1, 0x7f800001
	s_mov_b32 s23, exec_lo
	s_delay_alu instid0(VALU_DEP_2)
	v_cmpx_ne_u32_e32 0x7f, v2
	s_cbranch_execz .LBB415_502
; %bb.499:                              ;   in Loop: Header=BB415_13 Depth=1
	v_and_b32_e32 v28, 7, v0
	v_lshrrev_b32_e32 v1, 3, v2
	v_mov_b32_e32 v83, v29
	s_mov_b32 s24, exec_lo
	s_delay_alu instid0(VALU_DEP_3)
	v_mov_b32_e32 v82, v28
	v_cmpx_gt_u32_e32 8, v2
; %bb.500:                              ;   in Loop: Header=BB415_13 Depth=1
	v_clz_i32_u32_e32 v1, v28
	s_delay_alu instid0(VALU_DEP_1) | instskip(NEXT) | instid1(VALU_DEP_1)
	v_min_u32_e32 v1, 32, v1
	v_subrev_nc_u32_e32 v2, 28, v1
	v_sub_nc_u32_e32 v1, 29, v1
	s_delay_alu instid0(VALU_DEP_2) | instskip(NEXT) | instid1(VALU_DEP_1)
	v_lshlrev_b64 v[2:3], v2, v[28:29]
	v_and_b32_e32 v82, 7, v2
; %bb.501:                              ;   in Loop: Header=BB415_13 Depth=1
	s_or_b32 exec_lo, exec_lo, s24
	v_lshlrev_b32_e32 v2, 24, v0
	s_delay_alu instid0(VALU_DEP_2) | instskip(SKIP_1) | instid1(VALU_DEP_3)
	v_lshlrev_b32_e32 v3, 20, v82
	v_lshl_add_u32 v1, v1, 23, 0x3c000000
	v_and_b32_e32 v2, 0x80000000, v2
	s_delay_alu instid0(VALU_DEP_1)
	v_or3_b32 v1, v3, v2, v1
.LBB415_502:                            ;   in Loop: Header=BB415_13 Depth=1
	s_or_b32 exec_lo, exec_lo, s23
.LBB415_503:                            ;   in Loop: Header=BB415_13 Depth=1
	s_delay_alu instid0(SALU_CYCLE_1)
	s_or_b32 exec_lo, exec_lo, s22
.LBB415_504:                            ;   in Loop: Header=BB415_13 Depth=1
	s_delay_alu instid0(SALU_CYCLE_1) | instskip(NEXT) | instid1(VALU_DEP_1)
	s_or_b32 exec_lo, exec_lo, s21
	v_mul_f32_e32 v1, v144, v1
                                        ; implicit-def: $vgpr72
	s_delay_alu instid0(VALU_DEP_1) | instskip(NEXT) | instid1(VALU_DEP_1)
	v_and_b32_e32 v2, 0x7f800000, v1
	v_cmp_ne_u32_e64 s3, 0x7f800000, v2
	s_delay_alu instid0(VALU_DEP_1) | instskip(NEXT) | instid1(SALU_CYCLE_1)
	s_and_saveexec_b32 s21, s3
	s_xor_b32 s3, exec_lo, s21
; %bb.505:                              ;   in Loop: Header=BB415_13 Depth=1
	v_bfe_u32 v2, v1, 16, 1
	s_delay_alu instid0(VALU_DEP_1)
	v_add3_u32 v72, v1, v2, 0x7fff
                                        ; implicit-def: $vgpr1
; %bb.506:                              ;   in Loop: Header=BB415_13 Depth=1
	s_and_not1_saveexec_b32 s21, s3
; %bb.507:                              ;   in Loop: Header=BB415_13 Depth=1
	v_and_b32_e32 v2, 0xffff, v1
	v_or_b32_e32 v3, 0x10000, v1
	s_delay_alu instid0(VALU_DEP_2) | instskip(NEXT) | instid1(VALU_DEP_1)
	v_cmp_eq_u32_e64 s3, 0, v2
	v_cndmask_b32_e64 v72, v3, v1, s3
; %bb.508:                              ;   in Loop: Header=BB415_13 Depth=1
	s_or_b32 exec_lo, exec_lo, s21
	v_lshrrev_b16 v2, 8, v0
	v_mov_b32_e32 v1, 0
	s_mov_b32 s21, exec_lo
	s_delay_alu instid0(VALU_DEP_2)
	v_cmpx_ne_u16_e32 0, v2
	s_cbranch_execz .LBB415_516
; %bb.509:                              ;   in Loop: Header=BB415_13 Depth=1
	v_bfrev_b32_e32 v1, 1
	s_mov_b32 s22, exec_lo
	v_cmpx_ne_u16_e32 0x80, v2
	s_cbranch_execz .LBB415_515
; %bb.510:                              ;   in Loop: Header=BB415_13 Depth=1
	v_and_b32_e32 v3, 0xffff, v2
	v_mov_b32_e32 v1, 0x7f800001
	s_mov_b32 s23, exec_lo
	s_delay_alu instid0(VALU_DEP_2) | instskip(NEXT) | instid1(VALU_DEP_1)
	v_and_b32_e32 v2, 0x7f, v3
	v_cmpx_ne_u32_e32 0x7f, v2
	s_cbranch_execz .LBB415_514
; %bb.511:                              ;   in Loop: Header=BB415_13 Depth=1
	v_and_b32_e32 v28, 7, v3
	v_lshrrev_b32_e32 v1, 3, v2
	v_mov_b32_e32 v83, v29
	s_mov_b32 s24, exec_lo
	s_delay_alu instid0(VALU_DEP_3)
	v_mov_b32_e32 v82, v28
	v_cmpx_gt_u32_e32 8, v2
; %bb.512:                              ;   in Loop: Header=BB415_13 Depth=1
	v_clz_i32_u32_e32 v1, v28
	s_delay_alu instid0(VALU_DEP_1) | instskip(NEXT) | instid1(VALU_DEP_1)
	v_min_u32_e32 v1, 32, v1
	v_subrev_nc_u32_e32 v2, 28, v1
	v_sub_nc_u32_e32 v1, 29, v1
	s_delay_alu instid0(VALU_DEP_2) | instskip(NEXT) | instid1(VALU_DEP_1)
	v_lshlrev_b64 v[2:3], v2, v[28:29]
	v_and_b32_e32 v82, 7, v2
; %bb.513:                              ;   in Loop: Header=BB415_13 Depth=1
	s_or_b32 exec_lo, exec_lo, s24
	v_lshlrev_b32_e32 v2, 16, v0
	s_delay_alu instid0(VALU_DEP_2) | instskip(SKIP_1) | instid1(VALU_DEP_3)
	v_lshlrev_b32_e32 v3, 20, v82
	v_lshl_add_u32 v1, v1, 23, 0x3c000000
	v_and_b32_e32 v2, 0x80000000, v2
	s_delay_alu instid0(VALU_DEP_1)
	v_or3_b32 v1, v3, v2, v1
.LBB415_514:                            ;   in Loop: Header=BB415_13 Depth=1
	s_or_b32 exec_lo, exec_lo, s23
.LBB415_515:                            ;   in Loop: Header=BB415_13 Depth=1
	s_delay_alu instid0(SALU_CYCLE_1)
	s_or_b32 exec_lo, exec_lo, s22
.LBB415_516:                            ;   in Loop: Header=BB415_13 Depth=1
	s_delay_alu instid0(SALU_CYCLE_1) | instskip(NEXT) | instid1(VALU_DEP_1)
	s_or_b32 exec_lo, exec_lo, s21
	v_mul_f32_e32 v1, v144, v1
                                        ; implicit-def: $vgpr73
	s_delay_alu instid0(VALU_DEP_1) | instskip(NEXT) | instid1(VALU_DEP_1)
	v_and_b32_e32 v2, 0x7f800000, v1
	v_cmp_ne_u32_e64 s3, 0x7f800000, v2
	s_delay_alu instid0(VALU_DEP_1) | instskip(NEXT) | instid1(SALU_CYCLE_1)
	s_and_saveexec_b32 s21, s3
	s_xor_b32 s3, exec_lo, s21
; %bb.517:                              ;   in Loop: Header=BB415_13 Depth=1
	v_bfe_u32 v2, v1, 16, 1
	s_delay_alu instid0(VALU_DEP_1)
	v_add3_u32 v73, v1, v2, 0x7fff
                                        ; implicit-def: $vgpr1
; %bb.518:                              ;   in Loop: Header=BB415_13 Depth=1
	s_and_not1_saveexec_b32 s21, s3
; %bb.519:                              ;   in Loop: Header=BB415_13 Depth=1
	v_and_b32_e32 v2, 0xffff, v1
	v_or_b32_e32 v3, 0x10000, v1
	s_delay_alu instid0(VALU_DEP_2) | instskip(NEXT) | instid1(VALU_DEP_1)
	v_cmp_eq_u32_e64 s3, 0, v2
	v_cndmask_b32_e64 v73, v3, v1, s3
; %bb.520:                              ;   in Loop: Header=BB415_13 Depth=1
	s_or_b32 exec_lo, exec_lo, s21
	v_lshrrev_b32_e32 v1, 16, v0
	s_mov_b32 s21, exec_lo
	s_delay_alu instid0(VALU_DEP_1) | instskip(NEXT) | instid1(VALU_DEP_1)
	v_dual_mov_b32 v2, 0 :: v_dual_and_b32 v3, 0xff, v1
	v_cmpx_ne_u16_e32 0, v3
	s_cbranch_execz .LBB415_528
; %bb.521:                              ;   in Loop: Header=BB415_13 Depth=1
	v_bfrev_b32_e32 v2, 1
	s_mov_b32 s22, exec_lo
	v_cmpx_ne_u16_e32 0x80, v3
	s_cbranch_execz .LBB415_527
; %bb.522:                              ;   in Loop: Header=BB415_13 Depth=1
	v_bfe_u32 v3, v0, 16, 7
	v_mov_b32_e32 v2, 0x7f800001
	s_mov_b32 s23, exec_lo
	s_delay_alu instid0(VALU_DEP_2)
	v_cmpx_ne_u32_e32 0x7f, v3
	s_cbranch_execz .LBB415_526
; %bb.523:                              ;   in Loop: Header=BB415_13 Depth=1
	v_and_b32_e32 v28, 7, v1
	v_lshrrev_b32_e32 v2, 3, v3
	v_mov_b32_e32 v83, v29
	s_mov_b32 s24, exec_lo
	s_delay_alu instid0(VALU_DEP_3)
	v_mov_b32_e32 v82, v28
	v_cmpx_gt_u32_e32 8, v3
; %bb.524:                              ;   in Loop: Header=BB415_13 Depth=1
	v_clz_i32_u32_e32 v2, v28
	s_delay_alu instid0(VALU_DEP_1) | instskip(NEXT) | instid1(VALU_DEP_1)
	v_min_u32_e32 v2, 32, v2
	v_subrev_nc_u32_e32 v3, 28, v2
	v_sub_nc_u32_e32 v2, 29, v2
	s_delay_alu instid0(VALU_DEP_2) | instskip(NEXT) | instid1(VALU_DEP_1)
	v_lshlrev_b64 v[3:4], v3, v[28:29]
	v_and_b32_e32 v82, 7, v3
; %bb.525:                              ;   in Loop: Header=BB415_13 Depth=1
	s_or_b32 exec_lo, exec_lo, s24
	v_lshlrev_b32_e32 v1, 24, v1
	s_delay_alu instid0(VALU_DEP_2) | instskip(SKIP_1) | instid1(VALU_DEP_3)
	v_lshlrev_b32_e32 v3, 20, v82
	v_lshl_add_u32 v2, v2, 23, 0x3c000000
	v_and_b32_e32 v1, 0x80000000, v1
	s_delay_alu instid0(VALU_DEP_1)
	v_or3_b32 v2, v3, v1, v2
.LBB415_526:                            ;   in Loop: Header=BB415_13 Depth=1
	s_or_b32 exec_lo, exec_lo, s23
.LBB415_527:                            ;   in Loop: Header=BB415_13 Depth=1
	s_delay_alu instid0(SALU_CYCLE_1)
	s_or_b32 exec_lo, exec_lo, s22
.LBB415_528:                            ;   in Loop: Header=BB415_13 Depth=1
	s_delay_alu instid0(SALU_CYCLE_1) | instskip(NEXT) | instid1(VALU_DEP_1)
	s_or_b32 exec_lo, exec_lo, s21
	v_mul_f32_e32 v1, v144, v2
                                        ; implicit-def: $vgpr74
	s_delay_alu instid0(VALU_DEP_1) | instskip(NEXT) | instid1(VALU_DEP_1)
	v_and_b32_e32 v2, 0x7f800000, v1
	v_cmp_ne_u32_e64 s3, 0x7f800000, v2
	s_delay_alu instid0(VALU_DEP_1) | instskip(NEXT) | instid1(SALU_CYCLE_1)
	s_and_saveexec_b32 s21, s3
	s_xor_b32 s3, exec_lo, s21
; %bb.529:                              ;   in Loop: Header=BB415_13 Depth=1
	v_bfe_u32 v2, v1, 16, 1
	s_delay_alu instid0(VALU_DEP_1)
	v_add3_u32 v74, v1, v2, 0x7fff
                                        ; implicit-def: $vgpr1
; %bb.530:                              ;   in Loop: Header=BB415_13 Depth=1
	s_and_not1_saveexec_b32 s21, s3
; %bb.531:                              ;   in Loop: Header=BB415_13 Depth=1
	v_and_b32_e32 v2, 0xffff, v1
	v_or_b32_e32 v3, 0x10000, v1
	s_delay_alu instid0(VALU_DEP_2) | instskip(NEXT) | instid1(VALU_DEP_1)
	v_cmp_eq_u32_e64 s3, 0, v2
	v_cndmask_b32_e64 v74, v3, v1, s3
; %bb.532:                              ;   in Loop: Header=BB415_13 Depth=1
	s_or_b32 exec_lo, exec_lo, s21
	v_mov_b32_e32 v2, 0
	s_mov_b32 s21, exec_lo
	v_cmpx_lt_u32_e32 0xffffff, v0
	s_cbranch_execz .LBB415_540
; %bb.533:                              ;   in Loop: Header=BB415_13 Depth=1
	v_lshrrev_b32_e32 v1, 24, v0
	v_bfrev_b32_e32 v2, 1
	s_mov_b32 s22, exec_lo
	s_delay_alu instid0(VALU_DEP_2)
	v_cmpx_ne_u32_e32 0x80, v1
	s_cbranch_execz .LBB415_539
; %bb.534:                              ;   in Loop: Header=BB415_13 Depth=1
	v_bfe_u32 v3, v0, 24, 7
	v_mov_b32_e32 v2, 0x7f800001
	s_mov_b32 s23, exec_lo
	s_delay_alu instid0(VALU_DEP_2)
	v_cmpx_ne_u32_e32 0x7f, v3
	s_cbranch_execz .LBB415_538
; %bb.535:                              ;   in Loop: Header=BB415_13 Depth=1
	v_and_b32_e32 v28, 7, v1
	v_lshrrev_b32_e32 v0, 3, v3
	v_mov_b32_e32 v83, v29
	s_mov_b32 s24, exec_lo
	s_delay_alu instid0(VALU_DEP_3)
	v_mov_b32_e32 v82, v28
	v_cmpx_gt_u32_e32 8, v3
; %bb.536:                              ;   in Loop: Header=BB415_13 Depth=1
	v_clz_i32_u32_e32 v0, v28
	s_delay_alu instid0(VALU_DEP_1) | instskip(NEXT) | instid1(VALU_DEP_1)
	v_min_u32_e32 v0, 32, v0
	v_subrev_nc_u32_e32 v2, 28, v0
	v_sub_nc_u32_e32 v0, 29, v0
	s_delay_alu instid0(VALU_DEP_2) | instskip(NEXT) | instid1(VALU_DEP_1)
	v_lshlrev_b64 v[2:3], v2, v[28:29]
	v_and_b32_e32 v82, 7, v2
; %bb.537:                              ;   in Loop: Header=BB415_13 Depth=1
	s_or_b32 exec_lo, exec_lo, s24
	v_lshlrev_b32_e32 v1, 24, v1
	s_delay_alu instid0(VALU_DEP_2) | instskip(SKIP_1) | instid1(VALU_DEP_3)
	v_lshlrev_b32_e32 v2, 20, v82
	v_lshl_add_u32 v0, v0, 23, 0x3c000000
	v_and_b32_e32 v1, 0x80000000, v1
	s_delay_alu instid0(VALU_DEP_1)
	v_or3_b32 v2, v2, v1, v0
.LBB415_538:                            ;   in Loop: Header=BB415_13 Depth=1
	s_or_b32 exec_lo, exec_lo, s23
.LBB415_539:                            ;   in Loop: Header=BB415_13 Depth=1
	s_delay_alu instid0(SALU_CYCLE_1)
	s_or_b32 exec_lo, exec_lo, s22
.LBB415_540:                            ;   in Loop: Header=BB415_13 Depth=1
	s_delay_alu instid0(SALU_CYCLE_1) | instskip(NEXT) | instid1(VALU_DEP_1)
	s_or_b32 exec_lo, exec_lo, s21
	v_mul_f32_e32 v0, v144, v2
                                        ; implicit-def: $vgpr75
	s_delay_alu instid0(VALU_DEP_1) | instskip(NEXT) | instid1(VALU_DEP_1)
	v_and_b32_e32 v1, 0x7f800000, v0
	v_cmp_ne_u32_e64 s3, 0x7f800000, v1
	s_delay_alu instid0(VALU_DEP_1) | instskip(NEXT) | instid1(SALU_CYCLE_1)
	s_and_saveexec_b32 s21, s3
	s_xor_b32 s3, exec_lo, s21
; %bb.541:                              ;   in Loop: Header=BB415_13 Depth=1
	v_bfe_u32 v1, v0, 16, 1
	s_delay_alu instid0(VALU_DEP_1)
	v_add3_u32 v75, v0, v1, 0x7fff
                                        ; implicit-def: $vgpr0
; %bb.542:                              ;   in Loop: Header=BB415_13 Depth=1
	s_and_not1_saveexec_b32 s21, s3
; %bb.543:                              ;   in Loop: Header=BB415_13 Depth=1
	v_and_b32_e32 v1, 0xffff, v0
	v_or_b32_e32 v2, 0x10000, v0
	s_delay_alu instid0(VALU_DEP_2) | instskip(NEXT) | instid1(VALU_DEP_1)
	v_cmp_eq_u32_e64 s3, 0, v1
	v_cndmask_b32_e64 v75, v2, v0, s3
; %bb.544:                              ;   in Loop: Header=BB415_13 Depth=1
	s_or_b32 exec_lo, exec_lo, s21
	flat_load_b32 v0, v[80:81] offset:1288
	s_mov_b32 s21, exec_lo
	s_waitcnt vmcnt(0) lgkmcnt(0)
	v_dual_mov_b32 v1, 0 :: v_dual_and_b32 v2, 0xff, v0
	s_delay_alu instid0(VALU_DEP_1)
	v_cmpx_ne_u16_e32 0, v2
	s_cbranch_execz .LBB415_552
; %bb.545:                              ;   in Loop: Header=BB415_13 Depth=1
	v_bfrev_b32_e32 v1, 1
	s_mov_b32 s22, exec_lo
	v_cmpx_ne_u16_e32 0x80, v2
	s_cbranch_execz .LBB415_551
; %bb.546:                              ;   in Loop: Header=BB415_13 Depth=1
	v_and_b32_e32 v2, 0x7f, v0
	v_mov_b32_e32 v1, 0x7f800001
	s_mov_b32 s23, exec_lo
	s_delay_alu instid0(VALU_DEP_2)
	v_cmpx_ne_u32_e32 0x7f, v2
	s_cbranch_execz .LBB415_550
; %bb.547:                              ;   in Loop: Header=BB415_13 Depth=1
	v_and_b32_e32 v28, 7, v0
	v_lshrrev_b32_e32 v1, 3, v2
	v_mov_b32_e32 v83, v29
	s_mov_b32 s24, exec_lo
	s_delay_alu instid0(VALU_DEP_3)
	v_mov_b32_e32 v82, v28
	v_cmpx_gt_u32_e32 8, v2
; %bb.548:                              ;   in Loop: Header=BB415_13 Depth=1
	v_clz_i32_u32_e32 v1, v28
	s_delay_alu instid0(VALU_DEP_1) | instskip(NEXT) | instid1(VALU_DEP_1)
	v_min_u32_e32 v1, 32, v1
	v_subrev_nc_u32_e32 v2, 28, v1
	v_sub_nc_u32_e32 v1, 29, v1
	s_delay_alu instid0(VALU_DEP_2) | instskip(NEXT) | instid1(VALU_DEP_1)
	v_lshlrev_b64 v[2:3], v2, v[28:29]
	v_and_b32_e32 v82, 7, v2
; %bb.549:                              ;   in Loop: Header=BB415_13 Depth=1
	s_or_b32 exec_lo, exec_lo, s24
	v_lshlrev_b32_e32 v2, 24, v0
	s_delay_alu instid0(VALU_DEP_2) | instskip(SKIP_1) | instid1(VALU_DEP_3)
	v_lshlrev_b32_e32 v3, 20, v82
	v_lshl_add_u32 v1, v1, 23, 0x3c000000
	v_and_b32_e32 v2, 0x80000000, v2
	s_delay_alu instid0(VALU_DEP_1)
	v_or3_b32 v1, v3, v2, v1
.LBB415_550:                            ;   in Loop: Header=BB415_13 Depth=1
	s_or_b32 exec_lo, exec_lo, s23
.LBB415_551:                            ;   in Loop: Header=BB415_13 Depth=1
	s_delay_alu instid0(SALU_CYCLE_1)
	s_or_b32 exec_lo, exec_lo, s22
.LBB415_552:                            ;   in Loop: Header=BB415_13 Depth=1
	s_delay_alu instid0(SALU_CYCLE_1) | instskip(NEXT) | instid1(VALU_DEP_1)
	s_or_b32 exec_lo, exec_lo, s21
	v_mul_f32_e32 v1, v144, v1
                                        ; implicit-def: $vgpr76
	s_delay_alu instid0(VALU_DEP_1) | instskip(NEXT) | instid1(VALU_DEP_1)
	v_and_b32_e32 v2, 0x7f800000, v1
	v_cmp_ne_u32_e64 s3, 0x7f800000, v2
	s_delay_alu instid0(VALU_DEP_1) | instskip(NEXT) | instid1(SALU_CYCLE_1)
	s_and_saveexec_b32 s21, s3
	s_xor_b32 s3, exec_lo, s21
; %bb.553:                              ;   in Loop: Header=BB415_13 Depth=1
	v_bfe_u32 v2, v1, 16, 1
	s_delay_alu instid0(VALU_DEP_1)
	v_add3_u32 v76, v1, v2, 0x7fff
                                        ; implicit-def: $vgpr1
; %bb.554:                              ;   in Loop: Header=BB415_13 Depth=1
	s_and_not1_saveexec_b32 s21, s3
; %bb.555:                              ;   in Loop: Header=BB415_13 Depth=1
	v_and_b32_e32 v2, 0xffff, v1
	v_or_b32_e32 v3, 0x10000, v1
	s_delay_alu instid0(VALU_DEP_2) | instskip(NEXT) | instid1(VALU_DEP_1)
	v_cmp_eq_u32_e64 s3, 0, v2
	v_cndmask_b32_e64 v76, v3, v1, s3
; %bb.556:                              ;   in Loop: Header=BB415_13 Depth=1
	s_or_b32 exec_lo, exec_lo, s21
	v_lshrrev_b16 v2, 8, v0
	v_mov_b32_e32 v1, 0
	s_mov_b32 s21, exec_lo
	s_delay_alu instid0(VALU_DEP_2)
	v_cmpx_ne_u16_e32 0, v2
	s_cbranch_execz .LBB415_564
; %bb.557:                              ;   in Loop: Header=BB415_13 Depth=1
	v_bfrev_b32_e32 v1, 1
	s_mov_b32 s22, exec_lo
	v_cmpx_ne_u16_e32 0x80, v2
	s_cbranch_execz .LBB415_563
; %bb.558:                              ;   in Loop: Header=BB415_13 Depth=1
	v_and_b32_e32 v3, 0xffff, v2
	v_mov_b32_e32 v1, 0x7f800001
	s_mov_b32 s23, exec_lo
	s_delay_alu instid0(VALU_DEP_2) | instskip(NEXT) | instid1(VALU_DEP_1)
	v_and_b32_e32 v2, 0x7f, v3
	v_cmpx_ne_u32_e32 0x7f, v2
	s_cbranch_execz .LBB415_562
; %bb.559:                              ;   in Loop: Header=BB415_13 Depth=1
	v_and_b32_e32 v28, 7, v3
	v_lshrrev_b32_e32 v1, 3, v2
	v_mov_b32_e32 v83, v29
	s_mov_b32 s24, exec_lo
	s_delay_alu instid0(VALU_DEP_3)
	v_mov_b32_e32 v82, v28
	v_cmpx_gt_u32_e32 8, v2
; %bb.560:                              ;   in Loop: Header=BB415_13 Depth=1
	v_clz_i32_u32_e32 v1, v28
	s_delay_alu instid0(VALU_DEP_1) | instskip(NEXT) | instid1(VALU_DEP_1)
	v_min_u32_e32 v1, 32, v1
	v_subrev_nc_u32_e32 v2, 28, v1
	v_sub_nc_u32_e32 v1, 29, v1
	s_delay_alu instid0(VALU_DEP_2) | instskip(NEXT) | instid1(VALU_DEP_1)
	v_lshlrev_b64 v[2:3], v2, v[28:29]
	v_and_b32_e32 v82, 7, v2
; %bb.561:                              ;   in Loop: Header=BB415_13 Depth=1
	s_or_b32 exec_lo, exec_lo, s24
	v_lshlrev_b32_e32 v2, 16, v0
	s_delay_alu instid0(VALU_DEP_2) | instskip(SKIP_1) | instid1(VALU_DEP_3)
	v_lshlrev_b32_e32 v3, 20, v82
	v_lshl_add_u32 v1, v1, 23, 0x3c000000
	v_and_b32_e32 v2, 0x80000000, v2
	s_delay_alu instid0(VALU_DEP_1)
	v_or3_b32 v1, v3, v2, v1
.LBB415_562:                            ;   in Loop: Header=BB415_13 Depth=1
	s_or_b32 exec_lo, exec_lo, s23
.LBB415_563:                            ;   in Loop: Header=BB415_13 Depth=1
	s_delay_alu instid0(SALU_CYCLE_1)
	s_or_b32 exec_lo, exec_lo, s22
.LBB415_564:                            ;   in Loop: Header=BB415_13 Depth=1
	s_delay_alu instid0(SALU_CYCLE_1) | instskip(NEXT) | instid1(VALU_DEP_1)
	s_or_b32 exec_lo, exec_lo, s21
	v_mul_f32_e32 v1, v144, v1
                                        ; implicit-def: $vgpr77
	s_delay_alu instid0(VALU_DEP_1) | instskip(NEXT) | instid1(VALU_DEP_1)
	v_and_b32_e32 v2, 0x7f800000, v1
	v_cmp_ne_u32_e64 s3, 0x7f800000, v2
	s_delay_alu instid0(VALU_DEP_1) | instskip(NEXT) | instid1(SALU_CYCLE_1)
	s_and_saveexec_b32 s21, s3
	s_xor_b32 s3, exec_lo, s21
; %bb.565:                              ;   in Loop: Header=BB415_13 Depth=1
	v_bfe_u32 v2, v1, 16, 1
	s_delay_alu instid0(VALU_DEP_1)
	v_add3_u32 v77, v1, v2, 0x7fff
                                        ; implicit-def: $vgpr1
; %bb.566:                              ;   in Loop: Header=BB415_13 Depth=1
	s_and_not1_saveexec_b32 s21, s3
; %bb.567:                              ;   in Loop: Header=BB415_13 Depth=1
	v_and_b32_e32 v2, 0xffff, v1
	v_or_b32_e32 v3, 0x10000, v1
	s_delay_alu instid0(VALU_DEP_2) | instskip(NEXT) | instid1(VALU_DEP_1)
	v_cmp_eq_u32_e64 s3, 0, v2
	v_cndmask_b32_e64 v77, v3, v1, s3
; %bb.568:                              ;   in Loop: Header=BB415_13 Depth=1
	s_or_b32 exec_lo, exec_lo, s21
	v_lshrrev_b32_e32 v1, 16, v0
	s_mov_b32 s21, exec_lo
	s_delay_alu instid0(VALU_DEP_1) | instskip(NEXT) | instid1(VALU_DEP_1)
	v_dual_mov_b32 v2, 0 :: v_dual_and_b32 v3, 0xff, v1
	v_cmpx_ne_u16_e32 0, v3
	s_cbranch_execz .LBB415_576
; %bb.569:                              ;   in Loop: Header=BB415_13 Depth=1
	v_bfrev_b32_e32 v2, 1
	s_mov_b32 s22, exec_lo
	v_cmpx_ne_u16_e32 0x80, v3
	s_cbranch_execz .LBB415_575
; %bb.570:                              ;   in Loop: Header=BB415_13 Depth=1
	v_bfe_u32 v3, v0, 16, 7
	v_mov_b32_e32 v2, 0x7f800001
	s_mov_b32 s23, exec_lo
	s_delay_alu instid0(VALU_DEP_2)
	v_cmpx_ne_u32_e32 0x7f, v3
	s_cbranch_execz .LBB415_574
; %bb.571:                              ;   in Loop: Header=BB415_13 Depth=1
	v_and_b32_e32 v28, 7, v1
	v_lshrrev_b32_e32 v2, 3, v3
	v_mov_b32_e32 v83, v29
	s_mov_b32 s24, exec_lo
	s_delay_alu instid0(VALU_DEP_3)
	v_mov_b32_e32 v82, v28
	v_cmpx_gt_u32_e32 8, v3
; %bb.572:                              ;   in Loop: Header=BB415_13 Depth=1
	v_clz_i32_u32_e32 v2, v28
	s_delay_alu instid0(VALU_DEP_1) | instskip(NEXT) | instid1(VALU_DEP_1)
	v_min_u32_e32 v2, 32, v2
	v_subrev_nc_u32_e32 v3, 28, v2
	v_sub_nc_u32_e32 v2, 29, v2
	s_delay_alu instid0(VALU_DEP_2) | instskip(NEXT) | instid1(VALU_DEP_1)
	v_lshlrev_b64 v[3:4], v3, v[28:29]
	v_and_b32_e32 v82, 7, v3
; %bb.573:                              ;   in Loop: Header=BB415_13 Depth=1
	s_or_b32 exec_lo, exec_lo, s24
	v_lshlrev_b32_e32 v1, 24, v1
	s_delay_alu instid0(VALU_DEP_2) | instskip(SKIP_1) | instid1(VALU_DEP_3)
	v_lshlrev_b32_e32 v3, 20, v82
	v_lshl_add_u32 v2, v2, 23, 0x3c000000
	v_and_b32_e32 v1, 0x80000000, v1
	s_delay_alu instid0(VALU_DEP_1)
	v_or3_b32 v2, v3, v1, v2
.LBB415_574:                            ;   in Loop: Header=BB415_13 Depth=1
	s_or_b32 exec_lo, exec_lo, s23
.LBB415_575:                            ;   in Loop: Header=BB415_13 Depth=1
	s_delay_alu instid0(SALU_CYCLE_1)
	s_or_b32 exec_lo, exec_lo, s22
.LBB415_576:                            ;   in Loop: Header=BB415_13 Depth=1
	s_delay_alu instid0(SALU_CYCLE_1) | instskip(NEXT) | instid1(VALU_DEP_1)
	s_or_b32 exec_lo, exec_lo, s21
	v_mul_f32_e32 v1, v144, v2
                                        ; implicit-def: $vgpr78
	s_delay_alu instid0(VALU_DEP_1) | instskip(NEXT) | instid1(VALU_DEP_1)
	v_and_b32_e32 v2, 0x7f800000, v1
	v_cmp_ne_u32_e64 s3, 0x7f800000, v2
	s_delay_alu instid0(VALU_DEP_1) | instskip(NEXT) | instid1(SALU_CYCLE_1)
	s_and_saveexec_b32 s21, s3
	s_xor_b32 s3, exec_lo, s21
; %bb.577:                              ;   in Loop: Header=BB415_13 Depth=1
	v_bfe_u32 v2, v1, 16, 1
	s_delay_alu instid0(VALU_DEP_1)
	v_add3_u32 v78, v1, v2, 0x7fff
                                        ; implicit-def: $vgpr1
; %bb.578:                              ;   in Loop: Header=BB415_13 Depth=1
	s_and_not1_saveexec_b32 s21, s3
; %bb.579:                              ;   in Loop: Header=BB415_13 Depth=1
	v_and_b32_e32 v2, 0xffff, v1
	v_or_b32_e32 v3, 0x10000, v1
	s_delay_alu instid0(VALU_DEP_2) | instskip(NEXT) | instid1(VALU_DEP_1)
	v_cmp_eq_u32_e64 s3, 0, v2
	v_cndmask_b32_e64 v78, v3, v1, s3
; %bb.580:                              ;   in Loop: Header=BB415_13 Depth=1
	s_or_b32 exec_lo, exec_lo, s21
	v_mov_b32_e32 v2, 0
	s_mov_b32 s21, exec_lo
	v_cmpx_lt_u32_e32 0xffffff, v0
	s_cbranch_execz .LBB415_588
; %bb.581:                              ;   in Loop: Header=BB415_13 Depth=1
	v_lshrrev_b32_e32 v1, 24, v0
	v_bfrev_b32_e32 v2, 1
	s_mov_b32 s22, exec_lo
	s_delay_alu instid0(VALU_DEP_2)
	v_cmpx_ne_u32_e32 0x80, v1
	s_cbranch_execz .LBB415_587
; %bb.582:                              ;   in Loop: Header=BB415_13 Depth=1
	v_bfe_u32 v3, v0, 24, 7
	v_mov_b32_e32 v2, 0x7f800001
	s_mov_b32 s23, exec_lo
	s_delay_alu instid0(VALU_DEP_2)
	v_cmpx_ne_u32_e32 0x7f, v3
	s_cbranch_execz .LBB415_586
; %bb.583:                              ;   in Loop: Header=BB415_13 Depth=1
	v_and_b32_e32 v28, 7, v1
	v_lshrrev_b32_e32 v0, 3, v3
	v_mov_b32_e32 v83, v29
	s_mov_b32 s24, exec_lo
	s_delay_alu instid0(VALU_DEP_3)
	v_mov_b32_e32 v82, v28
	v_cmpx_gt_u32_e32 8, v3
; %bb.584:                              ;   in Loop: Header=BB415_13 Depth=1
	v_clz_i32_u32_e32 v0, v28
	s_delay_alu instid0(VALU_DEP_1) | instskip(NEXT) | instid1(VALU_DEP_1)
	v_min_u32_e32 v0, 32, v0
	v_subrev_nc_u32_e32 v2, 28, v0
	v_sub_nc_u32_e32 v0, 29, v0
	s_delay_alu instid0(VALU_DEP_2) | instskip(NEXT) | instid1(VALU_DEP_1)
	v_lshlrev_b64 v[2:3], v2, v[28:29]
	v_and_b32_e32 v82, 7, v2
; %bb.585:                              ;   in Loop: Header=BB415_13 Depth=1
	s_or_b32 exec_lo, exec_lo, s24
	v_lshlrev_b32_e32 v1, 24, v1
	s_delay_alu instid0(VALU_DEP_2) | instskip(SKIP_1) | instid1(VALU_DEP_3)
	v_lshlrev_b32_e32 v2, 20, v82
	v_lshl_add_u32 v0, v0, 23, 0x3c000000
	v_and_b32_e32 v1, 0x80000000, v1
	s_delay_alu instid0(VALU_DEP_1)
	v_or3_b32 v2, v2, v1, v0
.LBB415_586:                            ;   in Loop: Header=BB415_13 Depth=1
	s_or_b32 exec_lo, exec_lo, s23
.LBB415_587:                            ;   in Loop: Header=BB415_13 Depth=1
	s_delay_alu instid0(SALU_CYCLE_1)
	s_or_b32 exec_lo, exec_lo, s22
.LBB415_588:                            ;   in Loop: Header=BB415_13 Depth=1
	s_delay_alu instid0(SALU_CYCLE_1) | instskip(NEXT) | instid1(VALU_DEP_1)
	s_or_b32 exec_lo, exec_lo, s21
	v_mul_f32_e32 v0, v144, v2
                                        ; implicit-def: $vgpr79
	s_delay_alu instid0(VALU_DEP_1) | instskip(NEXT) | instid1(VALU_DEP_1)
	v_and_b32_e32 v1, 0x7f800000, v0
	v_cmp_ne_u32_e64 s3, 0x7f800000, v1
	s_delay_alu instid0(VALU_DEP_1) | instskip(NEXT) | instid1(SALU_CYCLE_1)
	s_and_saveexec_b32 s21, s3
	s_xor_b32 s3, exec_lo, s21
; %bb.589:                              ;   in Loop: Header=BB415_13 Depth=1
	v_bfe_u32 v1, v0, 16, 1
	s_delay_alu instid0(VALU_DEP_1)
	v_add3_u32 v79, v0, v1, 0x7fff
                                        ; implicit-def: $vgpr0
; %bb.590:                              ;   in Loop: Header=BB415_13 Depth=1
	s_and_not1_saveexec_b32 s21, s3
; %bb.591:                              ;   in Loop: Header=BB415_13 Depth=1
	v_and_b32_e32 v1, 0xffff, v0
	v_or_b32_e32 v2, 0x10000, v0
	s_delay_alu instid0(VALU_DEP_2) | instskip(NEXT) | instid1(VALU_DEP_1)
	v_cmp_eq_u32_e64 s3, 0, v1
	v_cndmask_b32_e64 v79, v2, v0, s3
; %bb.592:                              ;   in Loop: Header=BB415_13 Depth=1
	s_or_b32 exec_lo, exec_lo, s21
	flat_load_b32 v0, v[80:81] offset:1536
	s_mov_b32 s21, exec_lo
	s_waitcnt vmcnt(0) lgkmcnt(0)
	v_dual_mov_b32 v1, 0 :: v_dual_and_b32 v2, 0xff, v0
	s_delay_alu instid0(VALU_DEP_1)
	v_cmpx_ne_u16_e32 0, v2
	s_cbranch_execz .LBB415_600
; %bb.593:                              ;   in Loop: Header=BB415_13 Depth=1
	v_bfrev_b32_e32 v1, 1
	s_mov_b32 s22, exec_lo
	v_cmpx_ne_u16_e32 0x80, v2
	s_cbranch_execz .LBB415_599
; %bb.594:                              ;   in Loop: Header=BB415_13 Depth=1
	v_and_b32_e32 v2, 0x7f, v0
	v_mov_b32_e32 v1, 0x7f800001
	s_mov_b32 s23, exec_lo
	s_delay_alu instid0(VALU_DEP_2)
	v_cmpx_ne_u32_e32 0x7f, v2
	s_cbranch_execz .LBB415_598
; %bb.595:                              ;   in Loop: Header=BB415_13 Depth=1
	v_and_b32_e32 v28, 7, v0
	v_lshrrev_b32_e32 v1, 3, v2
	v_mov_b32_e32 v83, v29
	s_mov_b32 s24, exec_lo
	s_delay_alu instid0(VALU_DEP_3)
	v_mov_b32_e32 v82, v28
	v_cmpx_gt_u32_e32 8, v2
; %bb.596:                              ;   in Loop: Header=BB415_13 Depth=1
	v_clz_i32_u32_e32 v1, v28
	s_delay_alu instid0(VALU_DEP_1) | instskip(NEXT) | instid1(VALU_DEP_1)
	v_min_u32_e32 v1, 32, v1
	v_subrev_nc_u32_e32 v2, 28, v1
	v_sub_nc_u32_e32 v1, 29, v1
	s_delay_alu instid0(VALU_DEP_2) | instskip(NEXT) | instid1(VALU_DEP_1)
	v_lshlrev_b64 v[2:3], v2, v[28:29]
	v_and_b32_e32 v82, 7, v2
; %bb.597:                              ;   in Loop: Header=BB415_13 Depth=1
	s_or_b32 exec_lo, exec_lo, s24
	v_lshlrev_b32_e32 v2, 24, v0
	s_delay_alu instid0(VALU_DEP_2) | instskip(SKIP_1) | instid1(VALU_DEP_3)
	v_lshlrev_b32_e32 v3, 20, v82
	v_lshl_add_u32 v1, v1, 23, 0x3c000000
	v_and_b32_e32 v2, 0x80000000, v2
	s_delay_alu instid0(VALU_DEP_1)
	v_or3_b32 v1, v3, v2, v1
.LBB415_598:                            ;   in Loop: Header=BB415_13 Depth=1
	s_or_b32 exec_lo, exec_lo, s23
.LBB415_599:                            ;   in Loop: Header=BB415_13 Depth=1
	s_delay_alu instid0(SALU_CYCLE_1)
	s_or_b32 exec_lo, exec_lo, s22
.LBB415_600:                            ;   in Loop: Header=BB415_13 Depth=1
	s_delay_alu instid0(SALU_CYCLE_1) | instskip(NEXT) | instid1(VALU_DEP_1)
	s_or_b32 exec_lo, exec_lo, s21
	v_mul_f32_e32 v1, v144, v1
                                        ; implicit-def: $vgpr88
	s_delay_alu instid0(VALU_DEP_1) | instskip(NEXT) | instid1(VALU_DEP_1)
	v_and_b32_e32 v2, 0x7f800000, v1
	v_cmp_ne_u32_e64 s3, 0x7f800000, v2
	s_delay_alu instid0(VALU_DEP_1) | instskip(NEXT) | instid1(SALU_CYCLE_1)
	s_and_saveexec_b32 s21, s3
	s_xor_b32 s3, exec_lo, s21
; %bb.601:                              ;   in Loop: Header=BB415_13 Depth=1
	v_bfe_u32 v2, v1, 16, 1
	s_delay_alu instid0(VALU_DEP_1)
	v_add3_u32 v88, v1, v2, 0x7fff
                                        ; implicit-def: $vgpr1
; %bb.602:                              ;   in Loop: Header=BB415_13 Depth=1
	s_and_not1_saveexec_b32 s21, s3
; %bb.603:                              ;   in Loop: Header=BB415_13 Depth=1
	v_and_b32_e32 v2, 0xffff, v1
	v_or_b32_e32 v3, 0x10000, v1
	s_delay_alu instid0(VALU_DEP_2) | instskip(NEXT) | instid1(VALU_DEP_1)
	v_cmp_eq_u32_e64 s3, 0, v2
	v_cndmask_b32_e64 v88, v3, v1, s3
; %bb.604:                              ;   in Loop: Header=BB415_13 Depth=1
	s_or_b32 exec_lo, exec_lo, s21
	v_lshrrev_b16 v2, 8, v0
	v_mov_b32_e32 v1, 0
	s_mov_b32 s21, exec_lo
	s_delay_alu instid0(VALU_DEP_2)
	v_cmpx_ne_u16_e32 0, v2
	s_cbranch_execz .LBB415_612
; %bb.605:                              ;   in Loop: Header=BB415_13 Depth=1
	v_bfrev_b32_e32 v1, 1
	s_mov_b32 s22, exec_lo
	v_cmpx_ne_u16_e32 0x80, v2
	s_cbranch_execz .LBB415_611
; %bb.606:                              ;   in Loop: Header=BB415_13 Depth=1
	v_and_b32_e32 v3, 0xffff, v2
	v_mov_b32_e32 v1, 0x7f800001
	s_mov_b32 s23, exec_lo
	s_delay_alu instid0(VALU_DEP_2) | instskip(NEXT) | instid1(VALU_DEP_1)
	v_and_b32_e32 v2, 0x7f, v3
	v_cmpx_ne_u32_e32 0x7f, v2
	s_cbranch_execz .LBB415_610
; %bb.607:                              ;   in Loop: Header=BB415_13 Depth=1
	v_and_b32_e32 v28, 7, v3
	v_lshrrev_b32_e32 v1, 3, v2
	v_mov_b32_e32 v83, v29
	s_mov_b32 s24, exec_lo
	s_delay_alu instid0(VALU_DEP_3)
	v_mov_b32_e32 v82, v28
	v_cmpx_gt_u32_e32 8, v2
; %bb.608:                              ;   in Loop: Header=BB415_13 Depth=1
	v_clz_i32_u32_e32 v1, v28
	s_delay_alu instid0(VALU_DEP_1) | instskip(NEXT) | instid1(VALU_DEP_1)
	v_min_u32_e32 v1, 32, v1
	v_subrev_nc_u32_e32 v2, 28, v1
	v_sub_nc_u32_e32 v1, 29, v1
	s_delay_alu instid0(VALU_DEP_2) | instskip(NEXT) | instid1(VALU_DEP_1)
	v_lshlrev_b64 v[2:3], v2, v[28:29]
	v_and_b32_e32 v82, 7, v2
; %bb.609:                              ;   in Loop: Header=BB415_13 Depth=1
	s_or_b32 exec_lo, exec_lo, s24
	v_lshlrev_b32_e32 v2, 16, v0
	s_delay_alu instid0(VALU_DEP_2) | instskip(SKIP_1) | instid1(VALU_DEP_3)
	v_lshlrev_b32_e32 v3, 20, v82
	v_lshl_add_u32 v1, v1, 23, 0x3c000000
	v_and_b32_e32 v2, 0x80000000, v2
	s_delay_alu instid0(VALU_DEP_1)
	v_or3_b32 v1, v3, v2, v1
.LBB415_610:                            ;   in Loop: Header=BB415_13 Depth=1
	s_or_b32 exec_lo, exec_lo, s23
.LBB415_611:                            ;   in Loop: Header=BB415_13 Depth=1
	s_delay_alu instid0(SALU_CYCLE_1)
	s_or_b32 exec_lo, exec_lo, s22
.LBB415_612:                            ;   in Loop: Header=BB415_13 Depth=1
	s_delay_alu instid0(SALU_CYCLE_1) | instskip(NEXT) | instid1(VALU_DEP_1)
	s_or_b32 exec_lo, exec_lo, s21
	v_mul_f32_e32 v1, v144, v1
                                        ; implicit-def: $vgpr89
	s_delay_alu instid0(VALU_DEP_1) | instskip(NEXT) | instid1(VALU_DEP_1)
	v_and_b32_e32 v2, 0x7f800000, v1
	v_cmp_ne_u32_e64 s3, 0x7f800000, v2
	s_delay_alu instid0(VALU_DEP_1) | instskip(NEXT) | instid1(SALU_CYCLE_1)
	s_and_saveexec_b32 s21, s3
	s_xor_b32 s3, exec_lo, s21
; %bb.613:                              ;   in Loop: Header=BB415_13 Depth=1
	v_bfe_u32 v2, v1, 16, 1
	s_delay_alu instid0(VALU_DEP_1)
	v_add3_u32 v89, v1, v2, 0x7fff
                                        ; implicit-def: $vgpr1
; %bb.614:                              ;   in Loop: Header=BB415_13 Depth=1
	s_and_not1_saveexec_b32 s21, s3
; %bb.615:                              ;   in Loop: Header=BB415_13 Depth=1
	v_and_b32_e32 v2, 0xffff, v1
	v_or_b32_e32 v3, 0x10000, v1
	s_delay_alu instid0(VALU_DEP_2) | instskip(NEXT) | instid1(VALU_DEP_1)
	v_cmp_eq_u32_e64 s3, 0, v2
	v_cndmask_b32_e64 v89, v3, v1, s3
; %bb.616:                              ;   in Loop: Header=BB415_13 Depth=1
	s_or_b32 exec_lo, exec_lo, s21
	v_lshrrev_b32_e32 v1, 16, v0
	s_mov_b32 s21, exec_lo
	s_delay_alu instid0(VALU_DEP_1) | instskip(NEXT) | instid1(VALU_DEP_1)
	v_dual_mov_b32 v2, 0 :: v_dual_and_b32 v3, 0xff, v1
	v_cmpx_ne_u16_e32 0, v3
	s_cbranch_execz .LBB415_624
; %bb.617:                              ;   in Loop: Header=BB415_13 Depth=1
	v_bfrev_b32_e32 v2, 1
	s_mov_b32 s22, exec_lo
	v_cmpx_ne_u16_e32 0x80, v3
	s_cbranch_execz .LBB415_623
; %bb.618:                              ;   in Loop: Header=BB415_13 Depth=1
	v_bfe_u32 v3, v0, 16, 7
	v_mov_b32_e32 v2, 0x7f800001
	s_mov_b32 s23, exec_lo
	s_delay_alu instid0(VALU_DEP_2)
	v_cmpx_ne_u32_e32 0x7f, v3
	s_cbranch_execz .LBB415_622
; %bb.619:                              ;   in Loop: Header=BB415_13 Depth=1
	v_and_b32_e32 v28, 7, v1
	v_lshrrev_b32_e32 v2, 3, v3
	v_mov_b32_e32 v83, v29
	s_mov_b32 s24, exec_lo
	s_delay_alu instid0(VALU_DEP_3)
	v_mov_b32_e32 v82, v28
	v_cmpx_gt_u32_e32 8, v3
; %bb.620:                              ;   in Loop: Header=BB415_13 Depth=1
	v_clz_i32_u32_e32 v2, v28
	s_delay_alu instid0(VALU_DEP_1) | instskip(NEXT) | instid1(VALU_DEP_1)
	v_min_u32_e32 v2, 32, v2
	v_subrev_nc_u32_e32 v3, 28, v2
	v_sub_nc_u32_e32 v2, 29, v2
	s_delay_alu instid0(VALU_DEP_2) | instskip(NEXT) | instid1(VALU_DEP_1)
	v_lshlrev_b64 v[3:4], v3, v[28:29]
	v_and_b32_e32 v82, 7, v3
; %bb.621:                              ;   in Loop: Header=BB415_13 Depth=1
	s_or_b32 exec_lo, exec_lo, s24
	v_lshlrev_b32_e32 v1, 24, v1
	s_delay_alu instid0(VALU_DEP_2) | instskip(SKIP_1) | instid1(VALU_DEP_3)
	v_lshlrev_b32_e32 v3, 20, v82
	v_lshl_add_u32 v2, v2, 23, 0x3c000000
	v_and_b32_e32 v1, 0x80000000, v1
	s_delay_alu instid0(VALU_DEP_1)
	v_or3_b32 v2, v3, v1, v2
.LBB415_622:                            ;   in Loop: Header=BB415_13 Depth=1
	s_or_b32 exec_lo, exec_lo, s23
.LBB415_623:                            ;   in Loop: Header=BB415_13 Depth=1
	s_delay_alu instid0(SALU_CYCLE_1)
	s_or_b32 exec_lo, exec_lo, s22
.LBB415_624:                            ;   in Loop: Header=BB415_13 Depth=1
	s_delay_alu instid0(SALU_CYCLE_1) | instskip(NEXT) | instid1(VALU_DEP_1)
	s_or_b32 exec_lo, exec_lo, s21
	v_mul_f32_e32 v1, v144, v2
                                        ; implicit-def: $vgpr90
	s_delay_alu instid0(VALU_DEP_1) | instskip(NEXT) | instid1(VALU_DEP_1)
	v_and_b32_e32 v2, 0x7f800000, v1
	v_cmp_ne_u32_e64 s3, 0x7f800000, v2
	s_delay_alu instid0(VALU_DEP_1) | instskip(NEXT) | instid1(SALU_CYCLE_1)
	s_and_saveexec_b32 s21, s3
	s_xor_b32 s3, exec_lo, s21
; %bb.625:                              ;   in Loop: Header=BB415_13 Depth=1
	v_bfe_u32 v2, v1, 16, 1
	s_delay_alu instid0(VALU_DEP_1)
	v_add3_u32 v90, v1, v2, 0x7fff
                                        ; implicit-def: $vgpr1
; %bb.626:                              ;   in Loop: Header=BB415_13 Depth=1
	s_and_not1_saveexec_b32 s21, s3
; %bb.627:                              ;   in Loop: Header=BB415_13 Depth=1
	v_and_b32_e32 v2, 0xffff, v1
	v_or_b32_e32 v3, 0x10000, v1
	s_delay_alu instid0(VALU_DEP_2) | instskip(NEXT) | instid1(VALU_DEP_1)
	v_cmp_eq_u32_e64 s3, 0, v2
	v_cndmask_b32_e64 v90, v3, v1, s3
; %bb.628:                              ;   in Loop: Header=BB415_13 Depth=1
	s_or_b32 exec_lo, exec_lo, s21
	v_mov_b32_e32 v2, 0
	s_mov_b32 s21, exec_lo
	v_cmpx_lt_u32_e32 0xffffff, v0
	s_cbranch_execz .LBB415_636
; %bb.629:                              ;   in Loop: Header=BB415_13 Depth=1
	v_lshrrev_b32_e32 v1, 24, v0
	v_bfrev_b32_e32 v2, 1
	s_mov_b32 s22, exec_lo
	s_delay_alu instid0(VALU_DEP_2)
	v_cmpx_ne_u32_e32 0x80, v1
	s_cbranch_execz .LBB415_635
; %bb.630:                              ;   in Loop: Header=BB415_13 Depth=1
	v_bfe_u32 v3, v0, 24, 7
	v_mov_b32_e32 v2, 0x7f800001
	s_mov_b32 s23, exec_lo
	s_delay_alu instid0(VALU_DEP_2)
	v_cmpx_ne_u32_e32 0x7f, v3
	s_cbranch_execz .LBB415_634
; %bb.631:                              ;   in Loop: Header=BB415_13 Depth=1
	v_and_b32_e32 v28, 7, v1
	v_lshrrev_b32_e32 v0, 3, v3
	v_mov_b32_e32 v83, v29
	s_mov_b32 s24, exec_lo
	s_delay_alu instid0(VALU_DEP_3)
	v_mov_b32_e32 v82, v28
	v_cmpx_gt_u32_e32 8, v3
; %bb.632:                              ;   in Loop: Header=BB415_13 Depth=1
	v_clz_i32_u32_e32 v0, v28
	s_delay_alu instid0(VALU_DEP_1) | instskip(NEXT) | instid1(VALU_DEP_1)
	v_min_u32_e32 v0, 32, v0
	v_subrev_nc_u32_e32 v2, 28, v0
	v_sub_nc_u32_e32 v0, 29, v0
	s_delay_alu instid0(VALU_DEP_2) | instskip(NEXT) | instid1(VALU_DEP_1)
	v_lshlrev_b64 v[2:3], v2, v[28:29]
	v_and_b32_e32 v82, 7, v2
; %bb.633:                              ;   in Loop: Header=BB415_13 Depth=1
	s_or_b32 exec_lo, exec_lo, s24
	v_lshlrev_b32_e32 v1, 24, v1
	s_delay_alu instid0(VALU_DEP_2) | instskip(SKIP_1) | instid1(VALU_DEP_3)
	v_lshlrev_b32_e32 v2, 20, v82
	v_lshl_add_u32 v0, v0, 23, 0x3c000000
	v_and_b32_e32 v1, 0x80000000, v1
	s_delay_alu instid0(VALU_DEP_1)
	v_or3_b32 v2, v2, v1, v0
.LBB415_634:                            ;   in Loop: Header=BB415_13 Depth=1
	s_or_b32 exec_lo, exec_lo, s23
.LBB415_635:                            ;   in Loop: Header=BB415_13 Depth=1
	s_delay_alu instid0(SALU_CYCLE_1)
	s_or_b32 exec_lo, exec_lo, s22
.LBB415_636:                            ;   in Loop: Header=BB415_13 Depth=1
	s_delay_alu instid0(SALU_CYCLE_1) | instskip(NEXT) | instid1(VALU_DEP_1)
	s_or_b32 exec_lo, exec_lo, s21
	v_mul_f32_e32 v0, v144, v2
                                        ; implicit-def: $vgpr91
	s_delay_alu instid0(VALU_DEP_1) | instskip(NEXT) | instid1(VALU_DEP_1)
	v_and_b32_e32 v1, 0x7f800000, v0
	v_cmp_ne_u32_e64 s3, 0x7f800000, v1
	s_delay_alu instid0(VALU_DEP_1) | instskip(NEXT) | instid1(SALU_CYCLE_1)
	s_and_saveexec_b32 s21, s3
	s_xor_b32 s3, exec_lo, s21
; %bb.637:                              ;   in Loop: Header=BB415_13 Depth=1
	v_bfe_u32 v1, v0, 16, 1
	s_delay_alu instid0(VALU_DEP_1)
	v_add3_u32 v91, v0, v1, 0x7fff
                                        ; implicit-def: $vgpr0
; %bb.638:                              ;   in Loop: Header=BB415_13 Depth=1
	s_and_not1_saveexec_b32 s21, s3
; %bb.639:                              ;   in Loop: Header=BB415_13 Depth=1
	v_and_b32_e32 v1, 0xffff, v0
	v_or_b32_e32 v2, 0x10000, v0
	s_delay_alu instid0(VALU_DEP_2) | instskip(NEXT) | instid1(VALU_DEP_1)
	v_cmp_eq_u32_e64 s3, 0, v1
	v_cndmask_b32_e64 v91, v2, v0, s3
; %bb.640:                              ;   in Loop: Header=BB415_13 Depth=1
	s_or_b32 exec_lo, exec_lo, s21
	flat_load_b32 v0, v[80:81] offset:1544
	s_mov_b32 s21, exec_lo
	s_waitcnt vmcnt(0) lgkmcnt(0)
	v_dual_mov_b32 v1, 0 :: v_dual_and_b32 v2, 0xff, v0
	s_delay_alu instid0(VALU_DEP_1)
	v_cmpx_ne_u16_e32 0, v2
	s_cbranch_execz .LBB415_648
; %bb.641:                              ;   in Loop: Header=BB415_13 Depth=1
	v_bfrev_b32_e32 v1, 1
	s_mov_b32 s22, exec_lo
	v_cmpx_ne_u16_e32 0x80, v2
	s_cbranch_execz .LBB415_647
; %bb.642:                              ;   in Loop: Header=BB415_13 Depth=1
	v_and_b32_e32 v2, 0x7f, v0
	v_mov_b32_e32 v1, 0x7f800001
	s_mov_b32 s23, exec_lo
	s_delay_alu instid0(VALU_DEP_2)
	v_cmpx_ne_u32_e32 0x7f, v2
	s_cbranch_execz .LBB415_646
; %bb.643:                              ;   in Loop: Header=BB415_13 Depth=1
	v_and_b32_e32 v28, 7, v0
	v_lshrrev_b32_e32 v1, 3, v2
	v_mov_b32_e32 v83, v29
	s_mov_b32 s24, exec_lo
	s_delay_alu instid0(VALU_DEP_3)
	v_mov_b32_e32 v82, v28
	v_cmpx_gt_u32_e32 8, v2
; %bb.644:                              ;   in Loop: Header=BB415_13 Depth=1
	v_clz_i32_u32_e32 v1, v28
	s_delay_alu instid0(VALU_DEP_1) | instskip(NEXT) | instid1(VALU_DEP_1)
	v_min_u32_e32 v1, 32, v1
	v_subrev_nc_u32_e32 v2, 28, v1
	v_sub_nc_u32_e32 v1, 29, v1
	s_delay_alu instid0(VALU_DEP_2) | instskip(NEXT) | instid1(VALU_DEP_1)
	v_lshlrev_b64 v[2:3], v2, v[28:29]
	v_and_b32_e32 v82, 7, v2
; %bb.645:                              ;   in Loop: Header=BB415_13 Depth=1
	s_or_b32 exec_lo, exec_lo, s24
	v_lshlrev_b32_e32 v2, 24, v0
	s_delay_alu instid0(VALU_DEP_2) | instskip(SKIP_1) | instid1(VALU_DEP_3)
	v_lshlrev_b32_e32 v3, 20, v82
	v_lshl_add_u32 v1, v1, 23, 0x3c000000
	v_and_b32_e32 v2, 0x80000000, v2
	s_delay_alu instid0(VALU_DEP_1)
	v_or3_b32 v1, v3, v2, v1
.LBB415_646:                            ;   in Loop: Header=BB415_13 Depth=1
	s_or_b32 exec_lo, exec_lo, s23
.LBB415_647:                            ;   in Loop: Header=BB415_13 Depth=1
	s_delay_alu instid0(SALU_CYCLE_1)
	s_or_b32 exec_lo, exec_lo, s22
.LBB415_648:                            ;   in Loop: Header=BB415_13 Depth=1
	s_delay_alu instid0(SALU_CYCLE_1) | instskip(NEXT) | instid1(VALU_DEP_1)
	s_or_b32 exec_lo, exec_lo, s21
	v_mul_f32_e32 v1, v144, v1
                                        ; implicit-def: $vgpr92
	s_delay_alu instid0(VALU_DEP_1) | instskip(NEXT) | instid1(VALU_DEP_1)
	v_and_b32_e32 v2, 0x7f800000, v1
	v_cmp_ne_u32_e64 s3, 0x7f800000, v2
	s_delay_alu instid0(VALU_DEP_1) | instskip(NEXT) | instid1(SALU_CYCLE_1)
	s_and_saveexec_b32 s21, s3
	s_xor_b32 s3, exec_lo, s21
; %bb.649:                              ;   in Loop: Header=BB415_13 Depth=1
	v_bfe_u32 v2, v1, 16, 1
	s_delay_alu instid0(VALU_DEP_1)
	v_add3_u32 v92, v1, v2, 0x7fff
                                        ; implicit-def: $vgpr1
; %bb.650:                              ;   in Loop: Header=BB415_13 Depth=1
	s_and_not1_saveexec_b32 s21, s3
; %bb.651:                              ;   in Loop: Header=BB415_13 Depth=1
	v_and_b32_e32 v2, 0xffff, v1
	v_or_b32_e32 v3, 0x10000, v1
	s_delay_alu instid0(VALU_DEP_2) | instskip(NEXT) | instid1(VALU_DEP_1)
	v_cmp_eq_u32_e64 s3, 0, v2
	v_cndmask_b32_e64 v92, v3, v1, s3
; %bb.652:                              ;   in Loop: Header=BB415_13 Depth=1
	s_or_b32 exec_lo, exec_lo, s21
	v_lshrrev_b16 v2, 8, v0
	v_mov_b32_e32 v1, 0
	s_mov_b32 s21, exec_lo
	s_delay_alu instid0(VALU_DEP_2)
	v_cmpx_ne_u16_e32 0, v2
	s_cbranch_execz .LBB415_660
; %bb.653:                              ;   in Loop: Header=BB415_13 Depth=1
	v_bfrev_b32_e32 v1, 1
	s_mov_b32 s22, exec_lo
	v_cmpx_ne_u16_e32 0x80, v2
	s_cbranch_execz .LBB415_659
; %bb.654:                              ;   in Loop: Header=BB415_13 Depth=1
	v_and_b32_e32 v3, 0xffff, v2
	v_mov_b32_e32 v1, 0x7f800001
	s_mov_b32 s23, exec_lo
	s_delay_alu instid0(VALU_DEP_2) | instskip(NEXT) | instid1(VALU_DEP_1)
	v_and_b32_e32 v2, 0x7f, v3
	v_cmpx_ne_u32_e32 0x7f, v2
	s_cbranch_execz .LBB415_658
; %bb.655:                              ;   in Loop: Header=BB415_13 Depth=1
	v_and_b32_e32 v28, 7, v3
	v_lshrrev_b32_e32 v1, 3, v2
	v_mov_b32_e32 v83, v29
	s_mov_b32 s24, exec_lo
	s_delay_alu instid0(VALU_DEP_3)
	v_mov_b32_e32 v82, v28
	v_cmpx_gt_u32_e32 8, v2
; %bb.656:                              ;   in Loop: Header=BB415_13 Depth=1
	v_clz_i32_u32_e32 v1, v28
	s_delay_alu instid0(VALU_DEP_1) | instskip(NEXT) | instid1(VALU_DEP_1)
	v_min_u32_e32 v1, 32, v1
	v_subrev_nc_u32_e32 v2, 28, v1
	v_sub_nc_u32_e32 v1, 29, v1
	s_delay_alu instid0(VALU_DEP_2) | instskip(NEXT) | instid1(VALU_DEP_1)
	v_lshlrev_b64 v[2:3], v2, v[28:29]
	v_and_b32_e32 v82, 7, v2
; %bb.657:                              ;   in Loop: Header=BB415_13 Depth=1
	s_or_b32 exec_lo, exec_lo, s24
	v_lshlrev_b32_e32 v2, 16, v0
	s_delay_alu instid0(VALU_DEP_2) | instskip(SKIP_1) | instid1(VALU_DEP_3)
	v_lshlrev_b32_e32 v3, 20, v82
	v_lshl_add_u32 v1, v1, 23, 0x3c000000
	v_and_b32_e32 v2, 0x80000000, v2
	s_delay_alu instid0(VALU_DEP_1)
	v_or3_b32 v1, v3, v2, v1
.LBB415_658:                            ;   in Loop: Header=BB415_13 Depth=1
	s_or_b32 exec_lo, exec_lo, s23
.LBB415_659:                            ;   in Loop: Header=BB415_13 Depth=1
	s_delay_alu instid0(SALU_CYCLE_1)
	s_or_b32 exec_lo, exec_lo, s22
.LBB415_660:                            ;   in Loop: Header=BB415_13 Depth=1
	s_delay_alu instid0(SALU_CYCLE_1) | instskip(NEXT) | instid1(VALU_DEP_1)
	s_or_b32 exec_lo, exec_lo, s21
	v_mul_f32_e32 v1, v144, v1
                                        ; implicit-def: $vgpr93
	s_delay_alu instid0(VALU_DEP_1) | instskip(NEXT) | instid1(VALU_DEP_1)
	v_and_b32_e32 v2, 0x7f800000, v1
	v_cmp_ne_u32_e64 s3, 0x7f800000, v2
	s_delay_alu instid0(VALU_DEP_1) | instskip(NEXT) | instid1(SALU_CYCLE_1)
	s_and_saveexec_b32 s21, s3
	s_xor_b32 s3, exec_lo, s21
; %bb.661:                              ;   in Loop: Header=BB415_13 Depth=1
	v_bfe_u32 v2, v1, 16, 1
	s_delay_alu instid0(VALU_DEP_1)
	v_add3_u32 v93, v1, v2, 0x7fff
                                        ; implicit-def: $vgpr1
; %bb.662:                              ;   in Loop: Header=BB415_13 Depth=1
	s_and_not1_saveexec_b32 s21, s3
; %bb.663:                              ;   in Loop: Header=BB415_13 Depth=1
	v_and_b32_e32 v2, 0xffff, v1
	v_or_b32_e32 v3, 0x10000, v1
	s_delay_alu instid0(VALU_DEP_2) | instskip(NEXT) | instid1(VALU_DEP_1)
	v_cmp_eq_u32_e64 s3, 0, v2
	v_cndmask_b32_e64 v93, v3, v1, s3
; %bb.664:                              ;   in Loop: Header=BB415_13 Depth=1
	s_or_b32 exec_lo, exec_lo, s21
	v_lshrrev_b32_e32 v1, 16, v0
	s_mov_b32 s21, exec_lo
	s_delay_alu instid0(VALU_DEP_1) | instskip(NEXT) | instid1(VALU_DEP_1)
	v_dual_mov_b32 v2, 0 :: v_dual_and_b32 v3, 0xff, v1
	v_cmpx_ne_u16_e32 0, v3
	s_cbranch_execz .LBB415_672
; %bb.665:                              ;   in Loop: Header=BB415_13 Depth=1
	v_bfrev_b32_e32 v2, 1
	s_mov_b32 s22, exec_lo
	v_cmpx_ne_u16_e32 0x80, v3
	s_cbranch_execz .LBB415_671
; %bb.666:                              ;   in Loop: Header=BB415_13 Depth=1
	v_bfe_u32 v3, v0, 16, 7
	v_mov_b32_e32 v2, 0x7f800001
	s_mov_b32 s23, exec_lo
	s_delay_alu instid0(VALU_DEP_2)
	v_cmpx_ne_u32_e32 0x7f, v3
	s_cbranch_execz .LBB415_670
; %bb.667:                              ;   in Loop: Header=BB415_13 Depth=1
	v_and_b32_e32 v28, 7, v1
	v_lshrrev_b32_e32 v2, 3, v3
	v_mov_b32_e32 v83, v29
	s_mov_b32 s24, exec_lo
	s_delay_alu instid0(VALU_DEP_3)
	v_mov_b32_e32 v82, v28
	v_cmpx_gt_u32_e32 8, v3
; %bb.668:                              ;   in Loop: Header=BB415_13 Depth=1
	v_clz_i32_u32_e32 v2, v28
	s_delay_alu instid0(VALU_DEP_1) | instskip(NEXT) | instid1(VALU_DEP_1)
	v_min_u32_e32 v2, 32, v2
	v_subrev_nc_u32_e32 v3, 28, v2
	v_sub_nc_u32_e32 v2, 29, v2
	s_delay_alu instid0(VALU_DEP_2) | instskip(NEXT) | instid1(VALU_DEP_1)
	v_lshlrev_b64 v[3:4], v3, v[28:29]
	v_and_b32_e32 v82, 7, v3
; %bb.669:                              ;   in Loop: Header=BB415_13 Depth=1
	s_or_b32 exec_lo, exec_lo, s24
	v_lshlrev_b32_e32 v1, 24, v1
	s_delay_alu instid0(VALU_DEP_2) | instskip(SKIP_1) | instid1(VALU_DEP_3)
	v_lshlrev_b32_e32 v3, 20, v82
	v_lshl_add_u32 v2, v2, 23, 0x3c000000
	v_and_b32_e32 v1, 0x80000000, v1
	s_delay_alu instid0(VALU_DEP_1)
	v_or3_b32 v2, v3, v1, v2
.LBB415_670:                            ;   in Loop: Header=BB415_13 Depth=1
	s_or_b32 exec_lo, exec_lo, s23
.LBB415_671:                            ;   in Loop: Header=BB415_13 Depth=1
	s_delay_alu instid0(SALU_CYCLE_1)
	s_or_b32 exec_lo, exec_lo, s22
.LBB415_672:                            ;   in Loop: Header=BB415_13 Depth=1
	s_delay_alu instid0(SALU_CYCLE_1) | instskip(NEXT) | instid1(VALU_DEP_1)
	s_or_b32 exec_lo, exec_lo, s21
	v_mul_f32_e32 v1, v144, v2
                                        ; implicit-def: $vgpr94
	s_delay_alu instid0(VALU_DEP_1) | instskip(NEXT) | instid1(VALU_DEP_1)
	v_and_b32_e32 v2, 0x7f800000, v1
	v_cmp_ne_u32_e64 s3, 0x7f800000, v2
	s_delay_alu instid0(VALU_DEP_1) | instskip(NEXT) | instid1(SALU_CYCLE_1)
	s_and_saveexec_b32 s21, s3
	s_xor_b32 s3, exec_lo, s21
; %bb.673:                              ;   in Loop: Header=BB415_13 Depth=1
	v_bfe_u32 v2, v1, 16, 1
	s_delay_alu instid0(VALU_DEP_1)
	v_add3_u32 v94, v1, v2, 0x7fff
                                        ; implicit-def: $vgpr1
; %bb.674:                              ;   in Loop: Header=BB415_13 Depth=1
	s_and_not1_saveexec_b32 s21, s3
; %bb.675:                              ;   in Loop: Header=BB415_13 Depth=1
	v_and_b32_e32 v2, 0xffff, v1
	v_or_b32_e32 v3, 0x10000, v1
	s_delay_alu instid0(VALU_DEP_2) | instskip(NEXT) | instid1(VALU_DEP_1)
	v_cmp_eq_u32_e64 s3, 0, v2
	v_cndmask_b32_e64 v94, v3, v1, s3
; %bb.676:                              ;   in Loop: Header=BB415_13 Depth=1
	s_or_b32 exec_lo, exec_lo, s21
	v_mov_b32_e32 v2, 0
	s_mov_b32 s21, exec_lo
	v_cmpx_lt_u32_e32 0xffffff, v0
	s_cbranch_execz .LBB415_684
; %bb.677:                              ;   in Loop: Header=BB415_13 Depth=1
	v_lshrrev_b32_e32 v1, 24, v0
	v_bfrev_b32_e32 v2, 1
	s_mov_b32 s22, exec_lo
	s_delay_alu instid0(VALU_DEP_2)
	v_cmpx_ne_u32_e32 0x80, v1
	s_cbranch_execz .LBB415_683
; %bb.678:                              ;   in Loop: Header=BB415_13 Depth=1
	v_bfe_u32 v3, v0, 24, 7
	v_mov_b32_e32 v2, 0x7f800001
	s_mov_b32 s23, exec_lo
	s_delay_alu instid0(VALU_DEP_2)
	v_cmpx_ne_u32_e32 0x7f, v3
	s_cbranch_execz .LBB415_682
; %bb.679:                              ;   in Loop: Header=BB415_13 Depth=1
	v_and_b32_e32 v28, 7, v1
	v_lshrrev_b32_e32 v0, 3, v3
	v_mov_b32_e32 v83, v29
	s_mov_b32 s24, exec_lo
	s_delay_alu instid0(VALU_DEP_3)
	v_mov_b32_e32 v82, v28
	v_cmpx_gt_u32_e32 8, v3
; %bb.680:                              ;   in Loop: Header=BB415_13 Depth=1
	v_clz_i32_u32_e32 v0, v28
	s_delay_alu instid0(VALU_DEP_1) | instskip(NEXT) | instid1(VALU_DEP_1)
	v_min_u32_e32 v0, 32, v0
	v_subrev_nc_u32_e32 v2, 28, v0
	v_sub_nc_u32_e32 v0, 29, v0
	s_delay_alu instid0(VALU_DEP_2) | instskip(NEXT) | instid1(VALU_DEP_1)
	v_lshlrev_b64 v[2:3], v2, v[28:29]
	v_and_b32_e32 v82, 7, v2
; %bb.681:                              ;   in Loop: Header=BB415_13 Depth=1
	s_or_b32 exec_lo, exec_lo, s24
	v_lshlrev_b32_e32 v1, 24, v1
	s_delay_alu instid0(VALU_DEP_2) | instskip(SKIP_1) | instid1(VALU_DEP_3)
	v_lshlrev_b32_e32 v2, 20, v82
	v_lshl_add_u32 v0, v0, 23, 0x3c000000
	v_and_b32_e32 v1, 0x80000000, v1
	s_delay_alu instid0(VALU_DEP_1)
	v_or3_b32 v2, v2, v1, v0
.LBB415_682:                            ;   in Loop: Header=BB415_13 Depth=1
	s_or_b32 exec_lo, exec_lo, s23
.LBB415_683:                            ;   in Loop: Header=BB415_13 Depth=1
	s_delay_alu instid0(SALU_CYCLE_1)
	s_or_b32 exec_lo, exec_lo, s22
.LBB415_684:                            ;   in Loop: Header=BB415_13 Depth=1
	s_delay_alu instid0(SALU_CYCLE_1) | instskip(NEXT) | instid1(VALU_DEP_1)
	s_or_b32 exec_lo, exec_lo, s21
	v_mul_f32_e32 v0, v144, v2
                                        ; implicit-def: $vgpr95
	s_delay_alu instid0(VALU_DEP_1) | instskip(NEXT) | instid1(VALU_DEP_1)
	v_and_b32_e32 v1, 0x7f800000, v0
	v_cmp_ne_u32_e64 s3, 0x7f800000, v1
	s_delay_alu instid0(VALU_DEP_1) | instskip(NEXT) | instid1(SALU_CYCLE_1)
	s_and_saveexec_b32 s21, s3
	s_xor_b32 s3, exec_lo, s21
; %bb.685:                              ;   in Loop: Header=BB415_13 Depth=1
	v_bfe_u32 v1, v0, 16, 1
	s_delay_alu instid0(VALU_DEP_1)
	v_add3_u32 v95, v0, v1, 0x7fff
                                        ; implicit-def: $vgpr0
; %bb.686:                              ;   in Loop: Header=BB415_13 Depth=1
	s_and_not1_saveexec_b32 s21, s3
; %bb.687:                              ;   in Loop: Header=BB415_13 Depth=1
	v_and_b32_e32 v1, 0xffff, v0
	v_or_b32_e32 v2, 0x10000, v0
	s_delay_alu instid0(VALU_DEP_2) | instskip(NEXT) | instid1(VALU_DEP_1)
	v_cmp_eq_u32_e64 s3, 0, v1
	v_cndmask_b32_e64 v95, v2, v0, s3
; %bb.688:                              ;   in Loop: Header=BB415_13 Depth=1
	s_or_b32 exec_lo, exec_lo, s21
	flat_load_b32 v0, v[80:81] offset:1792
	s_mov_b32 s21, exec_lo
	s_waitcnt vmcnt(0) lgkmcnt(0)
	v_dual_mov_b32 v1, 0 :: v_dual_and_b32 v2, 0xff, v0
	s_delay_alu instid0(VALU_DEP_1)
	v_cmpx_ne_u16_e32 0, v2
	s_cbranch_execz .LBB415_696
; %bb.689:                              ;   in Loop: Header=BB415_13 Depth=1
	v_bfrev_b32_e32 v1, 1
	s_mov_b32 s22, exec_lo
	v_cmpx_ne_u16_e32 0x80, v2
	s_cbranch_execz .LBB415_695
; %bb.690:                              ;   in Loop: Header=BB415_13 Depth=1
	v_and_b32_e32 v2, 0x7f, v0
	v_mov_b32_e32 v1, 0x7f800001
	s_mov_b32 s23, exec_lo
	s_delay_alu instid0(VALU_DEP_2)
	v_cmpx_ne_u32_e32 0x7f, v2
	s_cbranch_execz .LBB415_694
; %bb.691:                              ;   in Loop: Header=BB415_13 Depth=1
	v_and_b32_e32 v28, 7, v0
	v_lshrrev_b32_e32 v1, 3, v2
	v_mov_b32_e32 v83, v29
	s_mov_b32 s24, exec_lo
	s_delay_alu instid0(VALU_DEP_3)
	v_mov_b32_e32 v82, v28
	v_cmpx_gt_u32_e32 8, v2
; %bb.692:                              ;   in Loop: Header=BB415_13 Depth=1
	v_clz_i32_u32_e32 v1, v28
	s_delay_alu instid0(VALU_DEP_1) | instskip(NEXT) | instid1(VALU_DEP_1)
	v_min_u32_e32 v1, 32, v1
	v_subrev_nc_u32_e32 v2, 28, v1
	v_sub_nc_u32_e32 v1, 29, v1
	s_delay_alu instid0(VALU_DEP_2) | instskip(NEXT) | instid1(VALU_DEP_1)
	v_lshlrev_b64 v[2:3], v2, v[28:29]
	v_and_b32_e32 v82, 7, v2
; %bb.693:                              ;   in Loop: Header=BB415_13 Depth=1
	s_or_b32 exec_lo, exec_lo, s24
	v_lshlrev_b32_e32 v2, 24, v0
	s_delay_alu instid0(VALU_DEP_2) | instskip(SKIP_1) | instid1(VALU_DEP_3)
	v_lshlrev_b32_e32 v3, 20, v82
	v_lshl_add_u32 v1, v1, 23, 0x3c000000
	v_and_b32_e32 v2, 0x80000000, v2
	s_delay_alu instid0(VALU_DEP_1)
	v_or3_b32 v1, v3, v2, v1
.LBB415_694:                            ;   in Loop: Header=BB415_13 Depth=1
	s_or_b32 exec_lo, exec_lo, s23
.LBB415_695:                            ;   in Loop: Header=BB415_13 Depth=1
	s_delay_alu instid0(SALU_CYCLE_1)
	s_or_b32 exec_lo, exec_lo, s22
.LBB415_696:                            ;   in Loop: Header=BB415_13 Depth=1
	s_delay_alu instid0(SALU_CYCLE_1) | instskip(NEXT) | instid1(VALU_DEP_1)
	s_or_b32 exec_lo, exec_lo, s21
	v_mul_f32_e32 v1, v144, v1
                                        ; implicit-def: $vgpr104
	s_delay_alu instid0(VALU_DEP_1) | instskip(NEXT) | instid1(VALU_DEP_1)
	v_and_b32_e32 v2, 0x7f800000, v1
	v_cmp_ne_u32_e64 s3, 0x7f800000, v2
	s_delay_alu instid0(VALU_DEP_1) | instskip(NEXT) | instid1(SALU_CYCLE_1)
	s_and_saveexec_b32 s21, s3
	s_xor_b32 s3, exec_lo, s21
; %bb.697:                              ;   in Loop: Header=BB415_13 Depth=1
	v_bfe_u32 v2, v1, 16, 1
	s_delay_alu instid0(VALU_DEP_1)
	v_add3_u32 v104, v1, v2, 0x7fff
                                        ; implicit-def: $vgpr1
; %bb.698:                              ;   in Loop: Header=BB415_13 Depth=1
	s_and_not1_saveexec_b32 s21, s3
; %bb.699:                              ;   in Loop: Header=BB415_13 Depth=1
	v_and_b32_e32 v2, 0xffff, v1
	v_or_b32_e32 v3, 0x10000, v1
	s_delay_alu instid0(VALU_DEP_2) | instskip(NEXT) | instid1(VALU_DEP_1)
	v_cmp_eq_u32_e64 s3, 0, v2
	v_cndmask_b32_e64 v104, v3, v1, s3
; %bb.700:                              ;   in Loop: Header=BB415_13 Depth=1
	s_or_b32 exec_lo, exec_lo, s21
	v_lshrrev_b16 v2, 8, v0
	v_mov_b32_e32 v1, 0
	s_mov_b32 s21, exec_lo
	s_delay_alu instid0(VALU_DEP_2)
	v_cmpx_ne_u16_e32 0, v2
	s_cbranch_execz .LBB415_708
; %bb.701:                              ;   in Loop: Header=BB415_13 Depth=1
	v_bfrev_b32_e32 v1, 1
	s_mov_b32 s22, exec_lo
	v_cmpx_ne_u16_e32 0x80, v2
	s_cbranch_execz .LBB415_707
; %bb.702:                              ;   in Loop: Header=BB415_13 Depth=1
	v_and_b32_e32 v3, 0xffff, v2
	v_mov_b32_e32 v1, 0x7f800001
	s_mov_b32 s23, exec_lo
	s_delay_alu instid0(VALU_DEP_2) | instskip(NEXT) | instid1(VALU_DEP_1)
	v_and_b32_e32 v2, 0x7f, v3
	v_cmpx_ne_u32_e32 0x7f, v2
	s_cbranch_execz .LBB415_706
; %bb.703:                              ;   in Loop: Header=BB415_13 Depth=1
	v_and_b32_e32 v28, 7, v3
	v_lshrrev_b32_e32 v1, 3, v2
	v_mov_b32_e32 v83, v29
	s_mov_b32 s24, exec_lo
	s_delay_alu instid0(VALU_DEP_3)
	v_mov_b32_e32 v82, v28
	v_cmpx_gt_u32_e32 8, v2
; %bb.704:                              ;   in Loop: Header=BB415_13 Depth=1
	v_clz_i32_u32_e32 v1, v28
	s_delay_alu instid0(VALU_DEP_1) | instskip(NEXT) | instid1(VALU_DEP_1)
	v_min_u32_e32 v1, 32, v1
	v_subrev_nc_u32_e32 v2, 28, v1
	v_sub_nc_u32_e32 v1, 29, v1
	s_delay_alu instid0(VALU_DEP_2) | instskip(NEXT) | instid1(VALU_DEP_1)
	v_lshlrev_b64 v[2:3], v2, v[28:29]
	v_and_b32_e32 v82, 7, v2
; %bb.705:                              ;   in Loop: Header=BB415_13 Depth=1
	s_or_b32 exec_lo, exec_lo, s24
	v_lshlrev_b32_e32 v2, 16, v0
	s_delay_alu instid0(VALU_DEP_2) | instskip(SKIP_1) | instid1(VALU_DEP_3)
	v_lshlrev_b32_e32 v3, 20, v82
	v_lshl_add_u32 v1, v1, 23, 0x3c000000
	v_and_b32_e32 v2, 0x80000000, v2
	s_delay_alu instid0(VALU_DEP_1)
	v_or3_b32 v1, v3, v2, v1
.LBB415_706:                            ;   in Loop: Header=BB415_13 Depth=1
	s_or_b32 exec_lo, exec_lo, s23
.LBB415_707:                            ;   in Loop: Header=BB415_13 Depth=1
	s_delay_alu instid0(SALU_CYCLE_1)
	s_or_b32 exec_lo, exec_lo, s22
.LBB415_708:                            ;   in Loop: Header=BB415_13 Depth=1
	s_delay_alu instid0(SALU_CYCLE_1) | instskip(NEXT) | instid1(VALU_DEP_1)
	s_or_b32 exec_lo, exec_lo, s21
	v_mul_f32_e32 v1, v144, v1
                                        ; implicit-def: $vgpr105
	s_delay_alu instid0(VALU_DEP_1) | instskip(NEXT) | instid1(VALU_DEP_1)
	v_and_b32_e32 v2, 0x7f800000, v1
	v_cmp_ne_u32_e64 s3, 0x7f800000, v2
	s_delay_alu instid0(VALU_DEP_1) | instskip(NEXT) | instid1(SALU_CYCLE_1)
	s_and_saveexec_b32 s21, s3
	s_xor_b32 s3, exec_lo, s21
; %bb.709:                              ;   in Loop: Header=BB415_13 Depth=1
	v_bfe_u32 v2, v1, 16, 1
	s_delay_alu instid0(VALU_DEP_1)
	v_add3_u32 v105, v1, v2, 0x7fff
                                        ; implicit-def: $vgpr1
; %bb.710:                              ;   in Loop: Header=BB415_13 Depth=1
	s_and_not1_saveexec_b32 s21, s3
; %bb.711:                              ;   in Loop: Header=BB415_13 Depth=1
	v_and_b32_e32 v2, 0xffff, v1
	v_or_b32_e32 v3, 0x10000, v1
	s_delay_alu instid0(VALU_DEP_2) | instskip(NEXT) | instid1(VALU_DEP_1)
	v_cmp_eq_u32_e64 s3, 0, v2
	v_cndmask_b32_e64 v105, v3, v1, s3
; %bb.712:                              ;   in Loop: Header=BB415_13 Depth=1
	s_or_b32 exec_lo, exec_lo, s21
	v_lshrrev_b32_e32 v1, 16, v0
	s_mov_b32 s21, exec_lo
	s_delay_alu instid0(VALU_DEP_1) | instskip(NEXT) | instid1(VALU_DEP_1)
	v_dual_mov_b32 v2, 0 :: v_dual_and_b32 v3, 0xff, v1
	v_cmpx_ne_u16_e32 0, v3
	s_cbranch_execz .LBB415_720
; %bb.713:                              ;   in Loop: Header=BB415_13 Depth=1
	v_bfrev_b32_e32 v2, 1
	s_mov_b32 s22, exec_lo
	v_cmpx_ne_u16_e32 0x80, v3
	s_cbranch_execz .LBB415_719
; %bb.714:                              ;   in Loop: Header=BB415_13 Depth=1
	v_bfe_u32 v3, v0, 16, 7
	v_mov_b32_e32 v2, 0x7f800001
	s_mov_b32 s23, exec_lo
	s_delay_alu instid0(VALU_DEP_2)
	v_cmpx_ne_u32_e32 0x7f, v3
	s_cbranch_execz .LBB415_718
; %bb.715:                              ;   in Loop: Header=BB415_13 Depth=1
	v_and_b32_e32 v28, 7, v1
	v_lshrrev_b32_e32 v2, 3, v3
	v_mov_b32_e32 v83, v29
	s_mov_b32 s24, exec_lo
	s_delay_alu instid0(VALU_DEP_3)
	v_mov_b32_e32 v82, v28
	v_cmpx_gt_u32_e32 8, v3
; %bb.716:                              ;   in Loop: Header=BB415_13 Depth=1
	v_clz_i32_u32_e32 v2, v28
	s_delay_alu instid0(VALU_DEP_1) | instskip(NEXT) | instid1(VALU_DEP_1)
	v_min_u32_e32 v2, 32, v2
	v_subrev_nc_u32_e32 v3, 28, v2
	v_sub_nc_u32_e32 v2, 29, v2
	s_delay_alu instid0(VALU_DEP_2) | instskip(NEXT) | instid1(VALU_DEP_1)
	v_lshlrev_b64 v[3:4], v3, v[28:29]
	v_and_b32_e32 v82, 7, v3
; %bb.717:                              ;   in Loop: Header=BB415_13 Depth=1
	s_or_b32 exec_lo, exec_lo, s24
	v_lshlrev_b32_e32 v1, 24, v1
	s_delay_alu instid0(VALU_DEP_2) | instskip(SKIP_1) | instid1(VALU_DEP_3)
	v_lshlrev_b32_e32 v3, 20, v82
	v_lshl_add_u32 v2, v2, 23, 0x3c000000
	v_and_b32_e32 v1, 0x80000000, v1
	s_delay_alu instid0(VALU_DEP_1)
	v_or3_b32 v2, v3, v1, v2
.LBB415_718:                            ;   in Loop: Header=BB415_13 Depth=1
	s_or_b32 exec_lo, exec_lo, s23
.LBB415_719:                            ;   in Loop: Header=BB415_13 Depth=1
	s_delay_alu instid0(SALU_CYCLE_1)
	s_or_b32 exec_lo, exec_lo, s22
.LBB415_720:                            ;   in Loop: Header=BB415_13 Depth=1
	s_delay_alu instid0(SALU_CYCLE_1) | instskip(NEXT) | instid1(VALU_DEP_1)
	s_or_b32 exec_lo, exec_lo, s21
	v_mul_f32_e32 v1, v144, v2
                                        ; implicit-def: $vgpr106
	s_delay_alu instid0(VALU_DEP_1) | instskip(NEXT) | instid1(VALU_DEP_1)
	v_and_b32_e32 v2, 0x7f800000, v1
	v_cmp_ne_u32_e64 s3, 0x7f800000, v2
	s_delay_alu instid0(VALU_DEP_1) | instskip(NEXT) | instid1(SALU_CYCLE_1)
	s_and_saveexec_b32 s21, s3
	s_xor_b32 s3, exec_lo, s21
; %bb.721:                              ;   in Loop: Header=BB415_13 Depth=1
	v_bfe_u32 v2, v1, 16, 1
	s_delay_alu instid0(VALU_DEP_1)
	v_add3_u32 v106, v1, v2, 0x7fff
                                        ; implicit-def: $vgpr1
; %bb.722:                              ;   in Loop: Header=BB415_13 Depth=1
	s_and_not1_saveexec_b32 s21, s3
; %bb.723:                              ;   in Loop: Header=BB415_13 Depth=1
	v_and_b32_e32 v2, 0xffff, v1
	v_or_b32_e32 v3, 0x10000, v1
	s_delay_alu instid0(VALU_DEP_2) | instskip(NEXT) | instid1(VALU_DEP_1)
	v_cmp_eq_u32_e64 s3, 0, v2
	v_cndmask_b32_e64 v106, v3, v1, s3
; %bb.724:                              ;   in Loop: Header=BB415_13 Depth=1
	s_or_b32 exec_lo, exec_lo, s21
	v_mov_b32_e32 v2, 0
	s_mov_b32 s21, exec_lo
	v_cmpx_lt_u32_e32 0xffffff, v0
	s_cbranch_execz .LBB415_732
; %bb.725:                              ;   in Loop: Header=BB415_13 Depth=1
	v_lshrrev_b32_e32 v1, 24, v0
	v_bfrev_b32_e32 v2, 1
	s_mov_b32 s22, exec_lo
	s_delay_alu instid0(VALU_DEP_2)
	v_cmpx_ne_u32_e32 0x80, v1
	s_cbranch_execz .LBB415_731
; %bb.726:                              ;   in Loop: Header=BB415_13 Depth=1
	v_bfe_u32 v3, v0, 24, 7
	v_mov_b32_e32 v2, 0x7f800001
	s_mov_b32 s23, exec_lo
	s_delay_alu instid0(VALU_DEP_2)
	v_cmpx_ne_u32_e32 0x7f, v3
	s_cbranch_execz .LBB415_730
; %bb.727:                              ;   in Loop: Header=BB415_13 Depth=1
	v_and_b32_e32 v28, 7, v1
	v_lshrrev_b32_e32 v0, 3, v3
	v_mov_b32_e32 v83, v29
	s_mov_b32 s24, exec_lo
	s_delay_alu instid0(VALU_DEP_3)
	v_mov_b32_e32 v82, v28
	v_cmpx_gt_u32_e32 8, v3
; %bb.728:                              ;   in Loop: Header=BB415_13 Depth=1
	v_clz_i32_u32_e32 v0, v28
	s_delay_alu instid0(VALU_DEP_1) | instskip(NEXT) | instid1(VALU_DEP_1)
	v_min_u32_e32 v0, 32, v0
	v_subrev_nc_u32_e32 v2, 28, v0
	v_sub_nc_u32_e32 v0, 29, v0
	s_delay_alu instid0(VALU_DEP_2) | instskip(NEXT) | instid1(VALU_DEP_1)
	v_lshlrev_b64 v[2:3], v2, v[28:29]
	v_and_b32_e32 v82, 7, v2
; %bb.729:                              ;   in Loop: Header=BB415_13 Depth=1
	s_or_b32 exec_lo, exec_lo, s24
	v_lshlrev_b32_e32 v1, 24, v1
	s_delay_alu instid0(VALU_DEP_2) | instskip(SKIP_1) | instid1(VALU_DEP_3)
	v_lshlrev_b32_e32 v2, 20, v82
	v_lshl_add_u32 v0, v0, 23, 0x3c000000
	v_and_b32_e32 v1, 0x80000000, v1
	s_delay_alu instid0(VALU_DEP_1)
	v_or3_b32 v2, v2, v1, v0
.LBB415_730:                            ;   in Loop: Header=BB415_13 Depth=1
	s_or_b32 exec_lo, exec_lo, s23
.LBB415_731:                            ;   in Loop: Header=BB415_13 Depth=1
	s_delay_alu instid0(SALU_CYCLE_1)
	s_or_b32 exec_lo, exec_lo, s22
.LBB415_732:                            ;   in Loop: Header=BB415_13 Depth=1
	s_delay_alu instid0(SALU_CYCLE_1) | instskip(NEXT) | instid1(VALU_DEP_1)
	s_or_b32 exec_lo, exec_lo, s21
	v_mul_f32_e32 v0, v144, v2
                                        ; implicit-def: $vgpr107
	s_delay_alu instid0(VALU_DEP_1) | instskip(NEXT) | instid1(VALU_DEP_1)
	v_and_b32_e32 v1, 0x7f800000, v0
	v_cmp_ne_u32_e64 s3, 0x7f800000, v1
	s_delay_alu instid0(VALU_DEP_1) | instskip(NEXT) | instid1(SALU_CYCLE_1)
	s_and_saveexec_b32 s21, s3
	s_xor_b32 s3, exec_lo, s21
; %bb.733:                              ;   in Loop: Header=BB415_13 Depth=1
	v_bfe_u32 v1, v0, 16, 1
	s_delay_alu instid0(VALU_DEP_1)
	v_add3_u32 v107, v0, v1, 0x7fff
                                        ; implicit-def: $vgpr0
; %bb.734:                              ;   in Loop: Header=BB415_13 Depth=1
	s_and_not1_saveexec_b32 s21, s3
; %bb.735:                              ;   in Loop: Header=BB415_13 Depth=1
	v_and_b32_e32 v1, 0xffff, v0
	v_or_b32_e32 v2, 0x10000, v0
	s_delay_alu instid0(VALU_DEP_2) | instskip(NEXT) | instid1(VALU_DEP_1)
	v_cmp_eq_u32_e64 s3, 0, v1
	v_cndmask_b32_e64 v107, v2, v0, s3
; %bb.736:                              ;   in Loop: Header=BB415_13 Depth=1
	s_or_b32 exec_lo, exec_lo, s21
	flat_load_b32 v0, v[80:81] offset:1800
	s_mov_b32 s21, exec_lo
	s_waitcnt vmcnt(0) lgkmcnt(0)
	v_dual_mov_b32 v1, 0 :: v_dual_and_b32 v2, 0xff, v0
	s_delay_alu instid0(VALU_DEP_1)
	v_cmpx_ne_u16_e32 0, v2
	s_cbranch_execz .LBB415_744
; %bb.737:                              ;   in Loop: Header=BB415_13 Depth=1
	v_bfrev_b32_e32 v1, 1
	s_mov_b32 s22, exec_lo
	v_cmpx_ne_u16_e32 0x80, v2
	s_cbranch_execz .LBB415_743
; %bb.738:                              ;   in Loop: Header=BB415_13 Depth=1
	v_and_b32_e32 v2, 0x7f, v0
	v_mov_b32_e32 v1, 0x7f800001
	s_mov_b32 s23, exec_lo
	s_delay_alu instid0(VALU_DEP_2)
	v_cmpx_ne_u32_e32 0x7f, v2
	s_cbranch_execz .LBB415_742
; %bb.739:                              ;   in Loop: Header=BB415_13 Depth=1
	v_and_b32_e32 v28, 7, v0
	v_lshrrev_b32_e32 v1, 3, v2
	v_mov_b32_e32 v83, v29
	s_mov_b32 s24, exec_lo
	s_delay_alu instid0(VALU_DEP_3)
	v_mov_b32_e32 v82, v28
	v_cmpx_gt_u32_e32 8, v2
; %bb.740:                              ;   in Loop: Header=BB415_13 Depth=1
	v_clz_i32_u32_e32 v1, v28
	s_delay_alu instid0(VALU_DEP_1) | instskip(NEXT) | instid1(VALU_DEP_1)
	v_min_u32_e32 v1, 32, v1
	v_subrev_nc_u32_e32 v2, 28, v1
	v_sub_nc_u32_e32 v1, 29, v1
	s_delay_alu instid0(VALU_DEP_2) | instskip(NEXT) | instid1(VALU_DEP_1)
	v_lshlrev_b64 v[2:3], v2, v[28:29]
	v_and_b32_e32 v82, 7, v2
; %bb.741:                              ;   in Loop: Header=BB415_13 Depth=1
	s_or_b32 exec_lo, exec_lo, s24
	v_lshlrev_b32_e32 v2, 24, v0
	s_delay_alu instid0(VALU_DEP_2) | instskip(SKIP_1) | instid1(VALU_DEP_3)
	v_lshlrev_b32_e32 v3, 20, v82
	v_lshl_add_u32 v1, v1, 23, 0x3c000000
	v_and_b32_e32 v2, 0x80000000, v2
	s_delay_alu instid0(VALU_DEP_1)
	v_or3_b32 v1, v3, v2, v1
.LBB415_742:                            ;   in Loop: Header=BB415_13 Depth=1
	s_or_b32 exec_lo, exec_lo, s23
.LBB415_743:                            ;   in Loop: Header=BB415_13 Depth=1
	s_delay_alu instid0(SALU_CYCLE_1)
	s_or_b32 exec_lo, exec_lo, s22
.LBB415_744:                            ;   in Loop: Header=BB415_13 Depth=1
	s_delay_alu instid0(SALU_CYCLE_1) | instskip(NEXT) | instid1(VALU_DEP_1)
	s_or_b32 exec_lo, exec_lo, s21
	v_mul_f32_e32 v1, v144, v1
                                        ; implicit-def: $vgpr108
	s_delay_alu instid0(VALU_DEP_1) | instskip(NEXT) | instid1(VALU_DEP_1)
	v_and_b32_e32 v2, 0x7f800000, v1
	v_cmp_ne_u32_e64 s3, 0x7f800000, v2
	s_delay_alu instid0(VALU_DEP_1) | instskip(NEXT) | instid1(SALU_CYCLE_1)
	s_and_saveexec_b32 s21, s3
	s_xor_b32 s3, exec_lo, s21
; %bb.745:                              ;   in Loop: Header=BB415_13 Depth=1
	v_bfe_u32 v2, v1, 16, 1
	s_delay_alu instid0(VALU_DEP_1)
	v_add3_u32 v108, v1, v2, 0x7fff
                                        ; implicit-def: $vgpr1
; %bb.746:                              ;   in Loop: Header=BB415_13 Depth=1
	s_and_not1_saveexec_b32 s21, s3
; %bb.747:                              ;   in Loop: Header=BB415_13 Depth=1
	v_and_b32_e32 v2, 0xffff, v1
	v_or_b32_e32 v3, 0x10000, v1
	s_delay_alu instid0(VALU_DEP_2) | instskip(NEXT) | instid1(VALU_DEP_1)
	v_cmp_eq_u32_e64 s3, 0, v2
	v_cndmask_b32_e64 v108, v3, v1, s3
; %bb.748:                              ;   in Loop: Header=BB415_13 Depth=1
	s_or_b32 exec_lo, exec_lo, s21
	v_lshrrev_b16 v2, 8, v0
	v_mov_b32_e32 v1, 0
	s_mov_b32 s21, exec_lo
	s_delay_alu instid0(VALU_DEP_2)
	v_cmpx_ne_u16_e32 0, v2
	s_cbranch_execz .LBB415_756
; %bb.749:                              ;   in Loop: Header=BB415_13 Depth=1
	v_bfrev_b32_e32 v1, 1
	s_mov_b32 s22, exec_lo
	v_cmpx_ne_u16_e32 0x80, v2
	s_cbranch_execz .LBB415_755
; %bb.750:                              ;   in Loop: Header=BB415_13 Depth=1
	v_and_b32_e32 v3, 0xffff, v2
	v_mov_b32_e32 v1, 0x7f800001
	s_mov_b32 s23, exec_lo
	s_delay_alu instid0(VALU_DEP_2) | instskip(NEXT) | instid1(VALU_DEP_1)
	v_and_b32_e32 v2, 0x7f, v3
	v_cmpx_ne_u32_e32 0x7f, v2
	s_cbranch_execz .LBB415_754
; %bb.751:                              ;   in Loop: Header=BB415_13 Depth=1
	v_and_b32_e32 v28, 7, v3
	v_lshrrev_b32_e32 v1, 3, v2
	v_mov_b32_e32 v83, v29
	s_mov_b32 s24, exec_lo
	s_delay_alu instid0(VALU_DEP_3)
	v_mov_b32_e32 v82, v28
	v_cmpx_gt_u32_e32 8, v2
; %bb.752:                              ;   in Loop: Header=BB415_13 Depth=1
	v_clz_i32_u32_e32 v1, v28
	s_delay_alu instid0(VALU_DEP_1) | instskip(NEXT) | instid1(VALU_DEP_1)
	v_min_u32_e32 v1, 32, v1
	v_subrev_nc_u32_e32 v2, 28, v1
	v_sub_nc_u32_e32 v1, 29, v1
	s_delay_alu instid0(VALU_DEP_2) | instskip(NEXT) | instid1(VALU_DEP_1)
	v_lshlrev_b64 v[2:3], v2, v[28:29]
	v_and_b32_e32 v82, 7, v2
; %bb.753:                              ;   in Loop: Header=BB415_13 Depth=1
	s_or_b32 exec_lo, exec_lo, s24
	v_lshlrev_b32_e32 v2, 16, v0
	s_delay_alu instid0(VALU_DEP_2) | instskip(SKIP_1) | instid1(VALU_DEP_3)
	v_lshlrev_b32_e32 v3, 20, v82
	v_lshl_add_u32 v1, v1, 23, 0x3c000000
	v_and_b32_e32 v2, 0x80000000, v2
	s_delay_alu instid0(VALU_DEP_1)
	v_or3_b32 v1, v3, v2, v1
.LBB415_754:                            ;   in Loop: Header=BB415_13 Depth=1
	s_or_b32 exec_lo, exec_lo, s23
.LBB415_755:                            ;   in Loop: Header=BB415_13 Depth=1
	s_delay_alu instid0(SALU_CYCLE_1)
	s_or_b32 exec_lo, exec_lo, s22
.LBB415_756:                            ;   in Loop: Header=BB415_13 Depth=1
	s_delay_alu instid0(SALU_CYCLE_1) | instskip(NEXT) | instid1(VALU_DEP_1)
	s_or_b32 exec_lo, exec_lo, s21
	v_mul_f32_e32 v1, v144, v1
                                        ; implicit-def: $vgpr109
	s_delay_alu instid0(VALU_DEP_1) | instskip(NEXT) | instid1(VALU_DEP_1)
	v_and_b32_e32 v2, 0x7f800000, v1
	v_cmp_ne_u32_e64 s3, 0x7f800000, v2
	s_delay_alu instid0(VALU_DEP_1) | instskip(NEXT) | instid1(SALU_CYCLE_1)
	s_and_saveexec_b32 s21, s3
	s_xor_b32 s3, exec_lo, s21
; %bb.757:                              ;   in Loop: Header=BB415_13 Depth=1
	v_bfe_u32 v2, v1, 16, 1
	s_delay_alu instid0(VALU_DEP_1)
	v_add3_u32 v109, v1, v2, 0x7fff
                                        ; implicit-def: $vgpr1
; %bb.758:                              ;   in Loop: Header=BB415_13 Depth=1
	s_and_not1_saveexec_b32 s21, s3
; %bb.759:                              ;   in Loop: Header=BB415_13 Depth=1
	v_and_b32_e32 v2, 0xffff, v1
	v_or_b32_e32 v3, 0x10000, v1
	s_delay_alu instid0(VALU_DEP_2) | instskip(NEXT) | instid1(VALU_DEP_1)
	v_cmp_eq_u32_e64 s3, 0, v2
	v_cndmask_b32_e64 v109, v3, v1, s3
; %bb.760:                              ;   in Loop: Header=BB415_13 Depth=1
	s_or_b32 exec_lo, exec_lo, s21
	v_lshrrev_b32_e32 v1, 16, v0
	s_mov_b32 s21, exec_lo
	s_delay_alu instid0(VALU_DEP_1) | instskip(NEXT) | instid1(VALU_DEP_1)
	v_dual_mov_b32 v2, 0 :: v_dual_and_b32 v3, 0xff, v1
	v_cmpx_ne_u16_e32 0, v3
	s_cbranch_execz .LBB415_768
; %bb.761:                              ;   in Loop: Header=BB415_13 Depth=1
	v_bfrev_b32_e32 v2, 1
	s_mov_b32 s22, exec_lo
	v_cmpx_ne_u16_e32 0x80, v3
	s_cbranch_execz .LBB415_767
; %bb.762:                              ;   in Loop: Header=BB415_13 Depth=1
	v_bfe_u32 v3, v0, 16, 7
	v_mov_b32_e32 v2, 0x7f800001
	s_mov_b32 s23, exec_lo
	s_delay_alu instid0(VALU_DEP_2)
	v_cmpx_ne_u32_e32 0x7f, v3
	s_cbranch_execz .LBB415_766
; %bb.763:                              ;   in Loop: Header=BB415_13 Depth=1
	v_and_b32_e32 v28, 7, v1
	v_lshrrev_b32_e32 v2, 3, v3
	v_mov_b32_e32 v83, v29
	s_mov_b32 s24, exec_lo
	s_delay_alu instid0(VALU_DEP_3)
	v_mov_b32_e32 v82, v28
	v_cmpx_gt_u32_e32 8, v3
; %bb.764:                              ;   in Loop: Header=BB415_13 Depth=1
	v_clz_i32_u32_e32 v2, v28
	s_delay_alu instid0(VALU_DEP_1) | instskip(NEXT) | instid1(VALU_DEP_1)
	v_min_u32_e32 v2, 32, v2
	v_subrev_nc_u32_e32 v3, 28, v2
	v_sub_nc_u32_e32 v2, 29, v2
	s_delay_alu instid0(VALU_DEP_2) | instskip(NEXT) | instid1(VALU_DEP_1)
	v_lshlrev_b64 v[3:4], v3, v[28:29]
	v_and_b32_e32 v82, 7, v3
; %bb.765:                              ;   in Loop: Header=BB415_13 Depth=1
	s_or_b32 exec_lo, exec_lo, s24
	v_lshlrev_b32_e32 v1, 24, v1
	s_delay_alu instid0(VALU_DEP_2) | instskip(SKIP_1) | instid1(VALU_DEP_3)
	v_lshlrev_b32_e32 v3, 20, v82
	v_lshl_add_u32 v2, v2, 23, 0x3c000000
	v_and_b32_e32 v1, 0x80000000, v1
	s_delay_alu instid0(VALU_DEP_1)
	v_or3_b32 v2, v3, v1, v2
.LBB415_766:                            ;   in Loop: Header=BB415_13 Depth=1
	s_or_b32 exec_lo, exec_lo, s23
.LBB415_767:                            ;   in Loop: Header=BB415_13 Depth=1
	s_delay_alu instid0(SALU_CYCLE_1)
	s_or_b32 exec_lo, exec_lo, s22
.LBB415_768:                            ;   in Loop: Header=BB415_13 Depth=1
	s_delay_alu instid0(SALU_CYCLE_1) | instskip(NEXT) | instid1(VALU_DEP_1)
	s_or_b32 exec_lo, exec_lo, s21
	v_mul_f32_e32 v1, v144, v2
                                        ; implicit-def: $vgpr110
	s_delay_alu instid0(VALU_DEP_1) | instskip(NEXT) | instid1(VALU_DEP_1)
	v_and_b32_e32 v2, 0x7f800000, v1
	v_cmp_ne_u32_e64 s3, 0x7f800000, v2
	s_delay_alu instid0(VALU_DEP_1) | instskip(NEXT) | instid1(SALU_CYCLE_1)
	s_and_saveexec_b32 s21, s3
	s_xor_b32 s3, exec_lo, s21
; %bb.769:                              ;   in Loop: Header=BB415_13 Depth=1
	v_bfe_u32 v2, v1, 16, 1
	s_delay_alu instid0(VALU_DEP_1)
	v_add3_u32 v110, v1, v2, 0x7fff
                                        ; implicit-def: $vgpr1
; %bb.770:                              ;   in Loop: Header=BB415_13 Depth=1
	s_and_not1_saveexec_b32 s21, s3
; %bb.771:                              ;   in Loop: Header=BB415_13 Depth=1
	v_and_b32_e32 v2, 0xffff, v1
	v_or_b32_e32 v3, 0x10000, v1
	s_delay_alu instid0(VALU_DEP_2) | instskip(NEXT) | instid1(VALU_DEP_1)
	v_cmp_eq_u32_e64 s3, 0, v2
	v_cndmask_b32_e64 v110, v3, v1, s3
; %bb.772:                              ;   in Loop: Header=BB415_13 Depth=1
	s_or_b32 exec_lo, exec_lo, s21
	v_mov_b32_e32 v2, 0
	s_mov_b32 s21, exec_lo
	v_cmpx_lt_u32_e32 0xffffff, v0
	s_cbranch_execz .LBB415_780
; %bb.773:                              ;   in Loop: Header=BB415_13 Depth=1
	v_lshrrev_b32_e32 v1, 24, v0
	v_bfrev_b32_e32 v2, 1
	s_mov_b32 s22, exec_lo
	s_delay_alu instid0(VALU_DEP_2)
	v_cmpx_ne_u32_e32 0x80, v1
	s_cbranch_execz .LBB415_779
; %bb.774:                              ;   in Loop: Header=BB415_13 Depth=1
	v_bfe_u32 v3, v0, 24, 7
	v_mov_b32_e32 v2, 0x7f800001
	s_mov_b32 s23, exec_lo
	s_delay_alu instid0(VALU_DEP_2)
	v_cmpx_ne_u32_e32 0x7f, v3
	s_cbranch_execz .LBB415_778
; %bb.775:                              ;   in Loop: Header=BB415_13 Depth=1
	v_and_b32_e32 v28, 7, v1
	v_lshrrev_b32_e32 v0, 3, v3
	v_mov_b32_e32 v83, v29
	s_mov_b32 s24, exec_lo
	s_delay_alu instid0(VALU_DEP_3)
	v_mov_b32_e32 v82, v28
	v_cmpx_gt_u32_e32 8, v3
; %bb.776:                              ;   in Loop: Header=BB415_13 Depth=1
	v_clz_i32_u32_e32 v0, v28
	s_delay_alu instid0(VALU_DEP_1) | instskip(NEXT) | instid1(VALU_DEP_1)
	v_min_u32_e32 v0, 32, v0
	v_subrev_nc_u32_e32 v2, 28, v0
	v_sub_nc_u32_e32 v0, 29, v0
	s_delay_alu instid0(VALU_DEP_2) | instskip(NEXT) | instid1(VALU_DEP_1)
	v_lshlrev_b64 v[2:3], v2, v[28:29]
	v_and_b32_e32 v82, 7, v2
; %bb.777:                              ;   in Loop: Header=BB415_13 Depth=1
	s_or_b32 exec_lo, exec_lo, s24
	v_lshlrev_b32_e32 v1, 24, v1
	s_delay_alu instid0(VALU_DEP_2) | instskip(SKIP_1) | instid1(VALU_DEP_3)
	v_lshlrev_b32_e32 v2, 20, v82
	v_lshl_add_u32 v0, v0, 23, 0x3c000000
	v_and_b32_e32 v1, 0x80000000, v1
	s_delay_alu instid0(VALU_DEP_1)
	v_or3_b32 v2, v2, v1, v0
.LBB415_778:                            ;   in Loop: Header=BB415_13 Depth=1
	s_or_b32 exec_lo, exec_lo, s23
.LBB415_779:                            ;   in Loop: Header=BB415_13 Depth=1
	s_delay_alu instid0(SALU_CYCLE_1)
	s_or_b32 exec_lo, exec_lo, s22
.LBB415_780:                            ;   in Loop: Header=BB415_13 Depth=1
	s_delay_alu instid0(SALU_CYCLE_1) | instskip(NEXT) | instid1(VALU_DEP_1)
	s_or_b32 exec_lo, exec_lo, s21
	v_mul_f32_e32 v0, v144, v2
                                        ; implicit-def: $vgpr111
	s_delay_alu instid0(VALU_DEP_1) | instskip(NEXT) | instid1(VALU_DEP_1)
	v_and_b32_e32 v1, 0x7f800000, v0
	v_cmp_ne_u32_e64 s3, 0x7f800000, v1
	s_delay_alu instid0(VALU_DEP_1) | instskip(NEXT) | instid1(SALU_CYCLE_1)
	s_and_saveexec_b32 s21, s3
	s_xor_b32 s3, exec_lo, s21
; %bb.781:                              ;   in Loop: Header=BB415_13 Depth=1
	v_bfe_u32 v1, v0, 16, 1
	s_delay_alu instid0(VALU_DEP_1)
	v_add3_u32 v111, v0, v1, 0x7fff
                                        ; implicit-def: $vgpr0
; %bb.782:                              ;   in Loop: Header=BB415_13 Depth=1
	s_and_not1_saveexec_b32 s21, s3
; %bb.783:                              ;   in Loop: Header=BB415_13 Depth=1
	v_and_b32_e32 v1, 0xffff, v0
	v_or_b32_e32 v2, 0x10000, v0
	s_delay_alu instid0(VALU_DEP_2) | instskip(NEXT) | instid1(VALU_DEP_1)
	v_cmp_eq_u32_e64 s3, 0, v1
	v_cndmask_b32_e64 v111, v2, v0, s3
; %bb.784:                              ;   in Loop: Header=BB415_13 Depth=1
	s_or_b32 exec_lo, exec_lo, s21
	flat_load_b32 v0, v[80:81] offset:2048
	s_mov_b32 s21, exec_lo
	s_waitcnt vmcnt(0) lgkmcnt(0)
	v_dual_mov_b32 v1, 0 :: v_dual_and_b32 v2, 0xff, v0
	s_delay_alu instid0(VALU_DEP_1)
	v_cmpx_ne_u16_e32 0, v2
	s_cbranch_execz .LBB415_792
; %bb.785:                              ;   in Loop: Header=BB415_13 Depth=1
	v_bfrev_b32_e32 v1, 1
	s_mov_b32 s22, exec_lo
	v_cmpx_ne_u16_e32 0x80, v2
	s_cbranch_execz .LBB415_791
; %bb.786:                              ;   in Loop: Header=BB415_13 Depth=1
	v_and_b32_e32 v2, 0x7f, v0
	v_mov_b32_e32 v1, 0x7f800001
	s_mov_b32 s23, exec_lo
	s_delay_alu instid0(VALU_DEP_2)
	v_cmpx_ne_u32_e32 0x7f, v2
	s_cbranch_execz .LBB415_790
; %bb.787:                              ;   in Loop: Header=BB415_13 Depth=1
	v_and_b32_e32 v28, 7, v0
	v_lshrrev_b32_e32 v1, 3, v2
	v_mov_b32_e32 v83, v29
	s_mov_b32 s24, exec_lo
	s_delay_alu instid0(VALU_DEP_3)
	v_mov_b32_e32 v82, v28
	v_cmpx_gt_u32_e32 8, v2
; %bb.788:                              ;   in Loop: Header=BB415_13 Depth=1
	v_clz_i32_u32_e32 v1, v28
	s_delay_alu instid0(VALU_DEP_1) | instskip(NEXT) | instid1(VALU_DEP_1)
	v_min_u32_e32 v1, 32, v1
	v_subrev_nc_u32_e32 v2, 28, v1
	v_sub_nc_u32_e32 v1, 29, v1
	s_delay_alu instid0(VALU_DEP_2) | instskip(NEXT) | instid1(VALU_DEP_1)
	v_lshlrev_b64 v[2:3], v2, v[28:29]
	v_and_b32_e32 v82, 7, v2
; %bb.789:                              ;   in Loop: Header=BB415_13 Depth=1
	s_or_b32 exec_lo, exec_lo, s24
	v_lshlrev_b32_e32 v2, 24, v0
	s_delay_alu instid0(VALU_DEP_2) | instskip(SKIP_1) | instid1(VALU_DEP_3)
	v_lshlrev_b32_e32 v3, 20, v82
	v_lshl_add_u32 v1, v1, 23, 0x3c000000
	v_and_b32_e32 v2, 0x80000000, v2
	s_delay_alu instid0(VALU_DEP_1)
	v_or3_b32 v1, v3, v2, v1
.LBB415_790:                            ;   in Loop: Header=BB415_13 Depth=1
	s_or_b32 exec_lo, exec_lo, s23
.LBB415_791:                            ;   in Loop: Header=BB415_13 Depth=1
	s_delay_alu instid0(SALU_CYCLE_1)
	s_or_b32 exec_lo, exec_lo, s22
.LBB415_792:                            ;   in Loop: Header=BB415_13 Depth=1
	s_delay_alu instid0(SALU_CYCLE_1) | instskip(NEXT) | instid1(VALU_DEP_1)
	s_or_b32 exec_lo, exec_lo, s21
	v_mul_f32_e32 v1, v144, v1
                                        ; implicit-def: $vgpr120
	s_delay_alu instid0(VALU_DEP_1) | instskip(NEXT) | instid1(VALU_DEP_1)
	v_and_b32_e32 v2, 0x7f800000, v1
	v_cmp_ne_u32_e64 s3, 0x7f800000, v2
	s_delay_alu instid0(VALU_DEP_1) | instskip(NEXT) | instid1(SALU_CYCLE_1)
	s_and_saveexec_b32 s21, s3
	s_xor_b32 s3, exec_lo, s21
; %bb.793:                              ;   in Loop: Header=BB415_13 Depth=1
	v_bfe_u32 v2, v1, 16, 1
	s_delay_alu instid0(VALU_DEP_1)
	v_add3_u32 v120, v1, v2, 0x7fff
                                        ; implicit-def: $vgpr1
; %bb.794:                              ;   in Loop: Header=BB415_13 Depth=1
	s_and_not1_saveexec_b32 s21, s3
; %bb.795:                              ;   in Loop: Header=BB415_13 Depth=1
	v_and_b32_e32 v2, 0xffff, v1
	v_or_b32_e32 v3, 0x10000, v1
	s_delay_alu instid0(VALU_DEP_2) | instskip(NEXT) | instid1(VALU_DEP_1)
	v_cmp_eq_u32_e64 s3, 0, v2
	v_cndmask_b32_e64 v120, v3, v1, s3
; %bb.796:                              ;   in Loop: Header=BB415_13 Depth=1
	s_or_b32 exec_lo, exec_lo, s21
	v_lshrrev_b16 v2, 8, v0
	v_mov_b32_e32 v1, 0
	s_mov_b32 s21, exec_lo
	s_delay_alu instid0(VALU_DEP_2)
	v_cmpx_ne_u16_e32 0, v2
	s_cbranch_execz .LBB415_804
; %bb.797:                              ;   in Loop: Header=BB415_13 Depth=1
	v_bfrev_b32_e32 v1, 1
	s_mov_b32 s22, exec_lo
	v_cmpx_ne_u16_e32 0x80, v2
	s_cbranch_execz .LBB415_803
; %bb.798:                              ;   in Loop: Header=BB415_13 Depth=1
	v_and_b32_e32 v3, 0xffff, v2
	v_mov_b32_e32 v1, 0x7f800001
	s_mov_b32 s23, exec_lo
	s_delay_alu instid0(VALU_DEP_2) | instskip(NEXT) | instid1(VALU_DEP_1)
	v_and_b32_e32 v2, 0x7f, v3
	v_cmpx_ne_u32_e32 0x7f, v2
	s_cbranch_execz .LBB415_802
; %bb.799:                              ;   in Loop: Header=BB415_13 Depth=1
	v_and_b32_e32 v28, 7, v3
	v_lshrrev_b32_e32 v1, 3, v2
	v_mov_b32_e32 v83, v29
	s_mov_b32 s24, exec_lo
	s_delay_alu instid0(VALU_DEP_3)
	v_mov_b32_e32 v82, v28
	v_cmpx_gt_u32_e32 8, v2
; %bb.800:                              ;   in Loop: Header=BB415_13 Depth=1
	v_clz_i32_u32_e32 v1, v28
	s_delay_alu instid0(VALU_DEP_1) | instskip(NEXT) | instid1(VALU_DEP_1)
	v_min_u32_e32 v1, 32, v1
	v_subrev_nc_u32_e32 v2, 28, v1
	v_sub_nc_u32_e32 v1, 29, v1
	s_delay_alu instid0(VALU_DEP_2) | instskip(NEXT) | instid1(VALU_DEP_1)
	v_lshlrev_b64 v[2:3], v2, v[28:29]
	v_and_b32_e32 v82, 7, v2
; %bb.801:                              ;   in Loop: Header=BB415_13 Depth=1
	s_or_b32 exec_lo, exec_lo, s24
	v_lshlrev_b32_e32 v2, 16, v0
	s_delay_alu instid0(VALU_DEP_2) | instskip(SKIP_1) | instid1(VALU_DEP_3)
	v_lshlrev_b32_e32 v3, 20, v82
	v_lshl_add_u32 v1, v1, 23, 0x3c000000
	v_and_b32_e32 v2, 0x80000000, v2
	s_delay_alu instid0(VALU_DEP_1)
	v_or3_b32 v1, v3, v2, v1
.LBB415_802:                            ;   in Loop: Header=BB415_13 Depth=1
	s_or_b32 exec_lo, exec_lo, s23
.LBB415_803:                            ;   in Loop: Header=BB415_13 Depth=1
	s_delay_alu instid0(SALU_CYCLE_1)
	s_or_b32 exec_lo, exec_lo, s22
.LBB415_804:                            ;   in Loop: Header=BB415_13 Depth=1
	s_delay_alu instid0(SALU_CYCLE_1) | instskip(NEXT) | instid1(VALU_DEP_1)
	s_or_b32 exec_lo, exec_lo, s21
	v_mul_f32_e32 v1, v144, v1
                                        ; implicit-def: $vgpr121
	s_delay_alu instid0(VALU_DEP_1) | instskip(NEXT) | instid1(VALU_DEP_1)
	v_and_b32_e32 v2, 0x7f800000, v1
	v_cmp_ne_u32_e64 s3, 0x7f800000, v2
	s_delay_alu instid0(VALU_DEP_1) | instskip(NEXT) | instid1(SALU_CYCLE_1)
	s_and_saveexec_b32 s21, s3
	s_xor_b32 s3, exec_lo, s21
; %bb.805:                              ;   in Loop: Header=BB415_13 Depth=1
	v_bfe_u32 v2, v1, 16, 1
	s_delay_alu instid0(VALU_DEP_1)
	v_add3_u32 v121, v1, v2, 0x7fff
                                        ; implicit-def: $vgpr1
; %bb.806:                              ;   in Loop: Header=BB415_13 Depth=1
	s_and_not1_saveexec_b32 s21, s3
; %bb.807:                              ;   in Loop: Header=BB415_13 Depth=1
	v_and_b32_e32 v2, 0xffff, v1
	v_or_b32_e32 v3, 0x10000, v1
	s_delay_alu instid0(VALU_DEP_2) | instskip(NEXT) | instid1(VALU_DEP_1)
	v_cmp_eq_u32_e64 s3, 0, v2
	v_cndmask_b32_e64 v121, v3, v1, s3
; %bb.808:                              ;   in Loop: Header=BB415_13 Depth=1
	s_or_b32 exec_lo, exec_lo, s21
	v_lshrrev_b32_e32 v1, 16, v0
	s_mov_b32 s21, exec_lo
	s_delay_alu instid0(VALU_DEP_1) | instskip(NEXT) | instid1(VALU_DEP_1)
	v_dual_mov_b32 v2, 0 :: v_dual_and_b32 v3, 0xff, v1
	v_cmpx_ne_u16_e32 0, v3
	s_cbranch_execz .LBB415_816
; %bb.809:                              ;   in Loop: Header=BB415_13 Depth=1
	v_bfrev_b32_e32 v2, 1
	s_mov_b32 s22, exec_lo
	v_cmpx_ne_u16_e32 0x80, v3
	s_cbranch_execz .LBB415_815
; %bb.810:                              ;   in Loop: Header=BB415_13 Depth=1
	v_bfe_u32 v3, v0, 16, 7
	v_mov_b32_e32 v2, 0x7f800001
	s_mov_b32 s23, exec_lo
	s_delay_alu instid0(VALU_DEP_2)
	v_cmpx_ne_u32_e32 0x7f, v3
	s_cbranch_execz .LBB415_814
; %bb.811:                              ;   in Loop: Header=BB415_13 Depth=1
	v_and_b32_e32 v28, 7, v1
	v_lshrrev_b32_e32 v2, 3, v3
	v_mov_b32_e32 v83, v29
	s_mov_b32 s24, exec_lo
	s_delay_alu instid0(VALU_DEP_3)
	v_mov_b32_e32 v82, v28
	v_cmpx_gt_u32_e32 8, v3
; %bb.812:                              ;   in Loop: Header=BB415_13 Depth=1
	v_clz_i32_u32_e32 v2, v28
	s_delay_alu instid0(VALU_DEP_1) | instskip(NEXT) | instid1(VALU_DEP_1)
	v_min_u32_e32 v2, 32, v2
	v_subrev_nc_u32_e32 v3, 28, v2
	v_sub_nc_u32_e32 v2, 29, v2
	s_delay_alu instid0(VALU_DEP_2) | instskip(NEXT) | instid1(VALU_DEP_1)
	v_lshlrev_b64 v[3:4], v3, v[28:29]
	v_and_b32_e32 v82, 7, v3
; %bb.813:                              ;   in Loop: Header=BB415_13 Depth=1
	s_or_b32 exec_lo, exec_lo, s24
	v_lshlrev_b32_e32 v1, 24, v1
	s_delay_alu instid0(VALU_DEP_2) | instskip(SKIP_1) | instid1(VALU_DEP_3)
	v_lshlrev_b32_e32 v3, 20, v82
	v_lshl_add_u32 v2, v2, 23, 0x3c000000
	v_and_b32_e32 v1, 0x80000000, v1
	s_delay_alu instid0(VALU_DEP_1)
	v_or3_b32 v2, v3, v1, v2
.LBB415_814:                            ;   in Loop: Header=BB415_13 Depth=1
	s_or_b32 exec_lo, exec_lo, s23
.LBB415_815:                            ;   in Loop: Header=BB415_13 Depth=1
	s_delay_alu instid0(SALU_CYCLE_1)
	s_or_b32 exec_lo, exec_lo, s22
.LBB415_816:                            ;   in Loop: Header=BB415_13 Depth=1
	s_delay_alu instid0(SALU_CYCLE_1) | instskip(NEXT) | instid1(VALU_DEP_1)
	s_or_b32 exec_lo, exec_lo, s21
	v_mul_f32_e32 v1, v144, v2
                                        ; implicit-def: $vgpr122
	s_delay_alu instid0(VALU_DEP_1) | instskip(NEXT) | instid1(VALU_DEP_1)
	v_and_b32_e32 v2, 0x7f800000, v1
	v_cmp_ne_u32_e64 s3, 0x7f800000, v2
	s_delay_alu instid0(VALU_DEP_1) | instskip(NEXT) | instid1(SALU_CYCLE_1)
	s_and_saveexec_b32 s21, s3
	s_xor_b32 s3, exec_lo, s21
; %bb.817:                              ;   in Loop: Header=BB415_13 Depth=1
	v_bfe_u32 v2, v1, 16, 1
	s_delay_alu instid0(VALU_DEP_1)
	v_add3_u32 v122, v1, v2, 0x7fff
                                        ; implicit-def: $vgpr1
; %bb.818:                              ;   in Loop: Header=BB415_13 Depth=1
	s_and_not1_saveexec_b32 s21, s3
; %bb.819:                              ;   in Loop: Header=BB415_13 Depth=1
	v_and_b32_e32 v2, 0xffff, v1
	v_or_b32_e32 v3, 0x10000, v1
	s_delay_alu instid0(VALU_DEP_2) | instskip(NEXT) | instid1(VALU_DEP_1)
	v_cmp_eq_u32_e64 s3, 0, v2
	v_cndmask_b32_e64 v122, v3, v1, s3
; %bb.820:                              ;   in Loop: Header=BB415_13 Depth=1
	s_or_b32 exec_lo, exec_lo, s21
	v_mov_b32_e32 v2, 0
	s_mov_b32 s21, exec_lo
	v_cmpx_lt_u32_e32 0xffffff, v0
	s_cbranch_execz .LBB415_828
; %bb.821:                              ;   in Loop: Header=BB415_13 Depth=1
	v_lshrrev_b32_e32 v1, 24, v0
	v_bfrev_b32_e32 v2, 1
	s_mov_b32 s22, exec_lo
	s_delay_alu instid0(VALU_DEP_2)
	v_cmpx_ne_u32_e32 0x80, v1
	s_cbranch_execz .LBB415_827
; %bb.822:                              ;   in Loop: Header=BB415_13 Depth=1
	v_bfe_u32 v3, v0, 24, 7
	v_mov_b32_e32 v2, 0x7f800001
	s_mov_b32 s23, exec_lo
	s_delay_alu instid0(VALU_DEP_2)
	v_cmpx_ne_u32_e32 0x7f, v3
	s_cbranch_execz .LBB415_826
; %bb.823:                              ;   in Loop: Header=BB415_13 Depth=1
	v_and_b32_e32 v28, 7, v1
	v_lshrrev_b32_e32 v0, 3, v3
	v_mov_b32_e32 v83, v29
	s_mov_b32 s24, exec_lo
	s_delay_alu instid0(VALU_DEP_3)
	v_mov_b32_e32 v82, v28
	v_cmpx_gt_u32_e32 8, v3
; %bb.824:                              ;   in Loop: Header=BB415_13 Depth=1
	v_clz_i32_u32_e32 v0, v28
	s_delay_alu instid0(VALU_DEP_1) | instskip(NEXT) | instid1(VALU_DEP_1)
	v_min_u32_e32 v0, 32, v0
	v_subrev_nc_u32_e32 v2, 28, v0
	v_sub_nc_u32_e32 v0, 29, v0
	s_delay_alu instid0(VALU_DEP_2) | instskip(NEXT) | instid1(VALU_DEP_1)
	v_lshlrev_b64 v[2:3], v2, v[28:29]
	v_and_b32_e32 v82, 7, v2
; %bb.825:                              ;   in Loop: Header=BB415_13 Depth=1
	s_or_b32 exec_lo, exec_lo, s24
	v_lshlrev_b32_e32 v1, 24, v1
	s_delay_alu instid0(VALU_DEP_2) | instskip(SKIP_1) | instid1(VALU_DEP_3)
	v_lshlrev_b32_e32 v2, 20, v82
	v_lshl_add_u32 v0, v0, 23, 0x3c000000
	v_and_b32_e32 v1, 0x80000000, v1
	s_delay_alu instid0(VALU_DEP_1)
	v_or3_b32 v2, v2, v1, v0
.LBB415_826:                            ;   in Loop: Header=BB415_13 Depth=1
	s_or_b32 exec_lo, exec_lo, s23
.LBB415_827:                            ;   in Loop: Header=BB415_13 Depth=1
	s_delay_alu instid0(SALU_CYCLE_1)
	s_or_b32 exec_lo, exec_lo, s22
.LBB415_828:                            ;   in Loop: Header=BB415_13 Depth=1
	s_delay_alu instid0(SALU_CYCLE_1) | instskip(NEXT) | instid1(VALU_DEP_1)
	s_or_b32 exec_lo, exec_lo, s21
	v_mul_f32_e32 v0, v144, v2
                                        ; implicit-def: $vgpr123
	s_delay_alu instid0(VALU_DEP_1) | instskip(NEXT) | instid1(VALU_DEP_1)
	v_and_b32_e32 v1, 0x7f800000, v0
	v_cmp_ne_u32_e64 s3, 0x7f800000, v1
	s_delay_alu instid0(VALU_DEP_1) | instskip(NEXT) | instid1(SALU_CYCLE_1)
	s_and_saveexec_b32 s21, s3
	s_xor_b32 s3, exec_lo, s21
; %bb.829:                              ;   in Loop: Header=BB415_13 Depth=1
	v_bfe_u32 v1, v0, 16, 1
	s_delay_alu instid0(VALU_DEP_1)
	v_add3_u32 v123, v0, v1, 0x7fff
                                        ; implicit-def: $vgpr0
; %bb.830:                              ;   in Loop: Header=BB415_13 Depth=1
	s_and_not1_saveexec_b32 s21, s3
; %bb.831:                              ;   in Loop: Header=BB415_13 Depth=1
	v_and_b32_e32 v1, 0xffff, v0
	v_or_b32_e32 v2, 0x10000, v0
	s_delay_alu instid0(VALU_DEP_2) | instskip(NEXT) | instid1(VALU_DEP_1)
	v_cmp_eq_u32_e64 s3, 0, v1
	v_cndmask_b32_e64 v123, v2, v0, s3
; %bb.832:                              ;   in Loop: Header=BB415_13 Depth=1
	s_or_b32 exec_lo, exec_lo, s21
	flat_load_b32 v0, v[80:81] offset:2056
	s_mov_b32 s21, exec_lo
	s_waitcnt vmcnt(0) lgkmcnt(0)
	v_dual_mov_b32 v1, 0 :: v_dual_and_b32 v2, 0xff, v0
	s_delay_alu instid0(VALU_DEP_1)
	v_cmpx_ne_u16_e32 0, v2
	s_cbranch_execz .LBB415_840
; %bb.833:                              ;   in Loop: Header=BB415_13 Depth=1
	v_bfrev_b32_e32 v1, 1
	s_mov_b32 s22, exec_lo
	v_cmpx_ne_u16_e32 0x80, v2
	s_cbranch_execz .LBB415_839
; %bb.834:                              ;   in Loop: Header=BB415_13 Depth=1
	v_and_b32_e32 v2, 0x7f, v0
	v_mov_b32_e32 v1, 0x7f800001
	s_mov_b32 s23, exec_lo
	s_delay_alu instid0(VALU_DEP_2)
	v_cmpx_ne_u32_e32 0x7f, v2
	s_cbranch_execz .LBB415_838
; %bb.835:                              ;   in Loop: Header=BB415_13 Depth=1
	v_and_b32_e32 v28, 7, v0
	v_lshrrev_b32_e32 v1, 3, v2
	v_mov_b32_e32 v83, v29
	s_mov_b32 s24, exec_lo
	s_delay_alu instid0(VALU_DEP_3)
	v_mov_b32_e32 v82, v28
	v_cmpx_gt_u32_e32 8, v2
; %bb.836:                              ;   in Loop: Header=BB415_13 Depth=1
	v_clz_i32_u32_e32 v1, v28
	s_delay_alu instid0(VALU_DEP_1) | instskip(NEXT) | instid1(VALU_DEP_1)
	v_min_u32_e32 v1, 32, v1
	v_subrev_nc_u32_e32 v2, 28, v1
	v_sub_nc_u32_e32 v1, 29, v1
	s_delay_alu instid0(VALU_DEP_2) | instskip(NEXT) | instid1(VALU_DEP_1)
	v_lshlrev_b64 v[2:3], v2, v[28:29]
	v_and_b32_e32 v82, 7, v2
; %bb.837:                              ;   in Loop: Header=BB415_13 Depth=1
	s_or_b32 exec_lo, exec_lo, s24
	v_lshlrev_b32_e32 v2, 24, v0
	s_delay_alu instid0(VALU_DEP_2) | instskip(SKIP_1) | instid1(VALU_DEP_3)
	v_lshlrev_b32_e32 v3, 20, v82
	v_lshl_add_u32 v1, v1, 23, 0x3c000000
	v_and_b32_e32 v2, 0x80000000, v2
	s_delay_alu instid0(VALU_DEP_1)
	v_or3_b32 v1, v3, v2, v1
.LBB415_838:                            ;   in Loop: Header=BB415_13 Depth=1
	s_or_b32 exec_lo, exec_lo, s23
.LBB415_839:                            ;   in Loop: Header=BB415_13 Depth=1
	s_delay_alu instid0(SALU_CYCLE_1)
	s_or_b32 exec_lo, exec_lo, s22
.LBB415_840:                            ;   in Loop: Header=BB415_13 Depth=1
	s_delay_alu instid0(SALU_CYCLE_1) | instskip(NEXT) | instid1(VALU_DEP_1)
	s_or_b32 exec_lo, exec_lo, s21
	v_mul_f32_e32 v1, v144, v1
                                        ; implicit-def: $vgpr124
	s_delay_alu instid0(VALU_DEP_1) | instskip(NEXT) | instid1(VALU_DEP_1)
	v_and_b32_e32 v2, 0x7f800000, v1
	v_cmp_ne_u32_e64 s3, 0x7f800000, v2
	s_delay_alu instid0(VALU_DEP_1) | instskip(NEXT) | instid1(SALU_CYCLE_1)
	s_and_saveexec_b32 s21, s3
	s_xor_b32 s3, exec_lo, s21
; %bb.841:                              ;   in Loop: Header=BB415_13 Depth=1
	v_bfe_u32 v2, v1, 16, 1
	s_delay_alu instid0(VALU_DEP_1)
	v_add3_u32 v124, v1, v2, 0x7fff
                                        ; implicit-def: $vgpr1
; %bb.842:                              ;   in Loop: Header=BB415_13 Depth=1
	s_and_not1_saveexec_b32 s21, s3
; %bb.843:                              ;   in Loop: Header=BB415_13 Depth=1
	v_and_b32_e32 v2, 0xffff, v1
	v_or_b32_e32 v3, 0x10000, v1
	s_delay_alu instid0(VALU_DEP_2) | instskip(NEXT) | instid1(VALU_DEP_1)
	v_cmp_eq_u32_e64 s3, 0, v2
	v_cndmask_b32_e64 v124, v3, v1, s3
; %bb.844:                              ;   in Loop: Header=BB415_13 Depth=1
	s_or_b32 exec_lo, exec_lo, s21
	v_lshrrev_b16 v2, 8, v0
	v_mov_b32_e32 v1, 0
	s_mov_b32 s21, exec_lo
	s_delay_alu instid0(VALU_DEP_2)
	v_cmpx_ne_u16_e32 0, v2
	s_cbranch_execz .LBB415_852
; %bb.845:                              ;   in Loop: Header=BB415_13 Depth=1
	v_bfrev_b32_e32 v1, 1
	s_mov_b32 s22, exec_lo
	v_cmpx_ne_u16_e32 0x80, v2
	s_cbranch_execz .LBB415_851
; %bb.846:                              ;   in Loop: Header=BB415_13 Depth=1
	v_and_b32_e32 v3, 0xffff, v2
	v_mov_b32_e32 v1, 0x7f800001
	s_mov_b32 s23, exec_lo
	s_delay_alu instid0(VALU_DEP_2) | instskip(NEXT) | instid1(VALU_DEP_1)
	v_and_b32_e32 v2, 0x7f, v3
	v_cmpx_ne_u32_e32 0x7f, v2
	s_cbranch_execz .LBB415_850
; %bb.847:                              ;   in Loop: Header=BB415_13 Depth=1
	v_and_b32_e32 v28, 7, v3
	v_lshrrev_b32_e32 v1, 3, v2
	v_mov_b32_e32 v83, v29
	s_mov_b32 s24, exec_lo
	s_delay_alu instid0(VALU_DEP_3)
	v_mov_b32_e32 v82, v28
	v_cmpx_gt_u32_e32 8, v2
; %bb.848:                              ;   in Loop: Header=BB415_13 Depth=1
	v_clz_i32_u32_e32 v1, v28
	s_delay_alu instid0(VALU_DEP_1) | instskip(NEXT) | instid1(VALU_DEP_1)
	v_min_u32_e32 v1, 32, v1
	v_subrev_nc_u32_e32 v2, 28, v1
	v_sub_nc_u32_e32 v1, 29, v1
	s_delay_alu instid0(VALU_DEP_2) | instskip(NEXT) | instid1(VALU_DEP_1)
	v_lshlrev_b64 v[2:3], v2, v[28:29]
	v_and_b32_e32 v82, 7, v2
; %bb.849:                              ;   in Loop: Header=BB415_13 Depth=1
	s_or_b32 exec_lo, exec_lo, s24
	v_lshlrev_b32_e32 v2, 16, v0
	s_delay_alu instid0(VALU_DEP_2) | instskip(SKIP_1) | instid1(VALU_DEP_3)
	v_lshlrev_b32_e32 v3, 20, v82
	v_lshl_add_u32 v1, v1, 23, 0x3c000000
	v_and_b32_e32 v2, 0x80000000, v2
	s_delay_alu instid0(VALU_DEP_1)
	v_or3_b32 v1, v3, v2, v1
.LBB415_850:                            ;   in Loop: Header=BB415_13 Depth=1
	s_or_b32 exec_lo, exec_lo, s23
.LBB415_851:                            ;   in Loop: Header=BB415_13 Depth=1
	s_delay_alu instid0(SALU_CYCLE_1)
	s_or_b32 exec_lo, exec_lo, s22
.LBB415_852:                            ;   in Loop: Header=BB415_13 Depth=1
	s_delay_alu instid0(SALU_CYCLE_1) | instskip(NEXT) | instid1(VALU_DEP_1)
	s_or_b32 exec_lo, exec_lo, s21
	v_mul_f32_e32 v1, v144, v1
                                        ; implicit-def: $vgpr125
	s_delay_alu instid0(VALU_DEP_1) | instskip(NEXT) | instid1(VALU_DEP_1)
	v_and_b32_e32 v2, 0x7f800000, v1
	v_cmp_ne_u32_e64 s3, 0x7f800000, v2
	s_delay_alu instid0(VALU_DEP_1) | instskip(NEXT) | instid1(SALU_CYCLE_1)
	s_and_saveexec_b32 s21, s3
	s_xor_b32 s3, exec_lo, s21
; %bb.853:                              ;   in Loop: Header=BB415_13 Depth=1
	v_bfe_u32 v2, v1, 16, 1
	s_delay_alu instid0(VALU_DEP_1)
	v_add3_u32 v125, v1, v2, 0x7fff
                                        ; implicit-def: $vgpr1
; %bb.854:                              ;   in Loop: Header=BB415_13 Depth=1
	s_and_not1_saveexec_b32 s21, s3
; %bb.855:                              ;   in Loop: Header=BB415_13 Depth=1
	v_and_b32_e32 v2, 0xffff, v1
	v_or_b32_e32 v3, 0x10000, v1
	s_delay_alu instid0(VALU_DEP_2) | instskip(NEXT) | instid1(VALU_DEP_1)
	v_cmp_eq_u32_e64 s3, 0, v2
	v_cndmask_b32_e64 v125, v3, v1, s3
; %bb.856:                              ;   in Loop: Header=BB415_13 Depth=1
	s_or_b32 exec_lo, exec_lo, s21
	v_lshrrev_b32_e32 v1, 16, v0
	s_mov_b32 s21, exec_lo
	s_delay_alu instid0(VALU_DEP_1) | instskip(NEXT) | instid1(VALU_DEP_1)
	v_dual_mov_b32 v2, 0 :: v_dual_and_b32 v3, 0xff, v1
	v_cmpx_ne_u16_e32 0, v3
	s_cbranch_execz .LBB415_864
; %bb.857:                              ;   in Loop: Header=BB415_13 Depth=1
	v_bfrev_b32_e32 v2, 1
	s_mov_b32 s22, exec_lo
	v_cmpx_ne_u16_e32 0x80, v3
	s_cbranch_execz .LBB415_863
; %bb.858:                              ;   in Loop: Header=BB415_13 Depth=1
	v_bfe_u32 v3, v0, 16, 7
	v_mov_b32_e32 v2, 0x7f800001
	s_mov_b32 s23, exec_lo
	s_delay_alu instid0(VALU_DEP_2)
	v_cmpx_ne_u32_e32 0x7f, v3
	s_cbranch_execz .LBB415_862
; %bb.859:                              ;   in Loop: Header=BB415_13 Depth=1
	v_and_b32_e32 v28, 7, v1
	v_lshrrev_b32_e32 v2, 3, v3
	v_mov_b32_e32 v83, v29
	s_mov_b32 s24, exec_lo
	s_delay_alu instid0(VALU_DEP_3)
	v_mov_b32_e32 v82, v28
	v_cmpx_gt_u32_e32 8, v3
; %bb.860:                              ;   in Loop: Header=BB415_13 Depth=1
	v_clz_i32_u32_e32 v2, v28
	s_delay_alu instid0(VALU_DEP_1) | instskip(NEXT) | instid1(VALU_DEP_1)
	v_min_u32_e32 v2, 32, v2
	v_subrev_nc_u32_e32 v3, 28, v2
	v_sub_nc_u32_e32 v2, 29, v2
	s_delay_alu instid0(VALU_DEP_2) | instskip(NEXT) | instid1(VALU_DEP_1)
	v_lshlrev_b64 v[3:4], v3, v[28:29]
	v_and_b32_e32 v82, 7, v3
; %bb.861:                              ;   in Loop: Header=BB415_13 Depth=1
	s_or_b32 exec_lo, exec_lo, s24
	v_lshlrev_b32_e32 v1, 24, v1
	s_delay_alu instid0(VALU_DEP_2) | instskip(SKIP_1) | instid1(VALU_DEP_3)
	v_lshlrev_b32_e32 v3, 20, v82
	v_lshl_add_u32 v2, v2, 23, 0x3c000000
	v_and_b32_e32 v1, 0x80000000, v1
	s_delay_alu instid0(VALU_DEP_1)
	v_or3_b32 v2, v3, v1, v2
.LBB415_862:                            ;   in Loop: Header=BB415_13 Depth=1
	s_or_b32 exec_lo, exec_lo, s23
.LBB415_863:                            ;   in Loop: Header=BB415_13 Depth=1
	s_delay_alu instid0(SALU_CYCLE_1)
	s_or_b32 exec_lo, exec_lo, s22
.LBB415_864:                            ;   in Loop: Header=BB415_13 Depth=1
	s_delay_alu instid0(SALU_CYCLE_1) | instskip(NEXT) | instid1(VALU_DEP_1)
	s_or_b32 exec_lo, exec_lo, s21
	v_mul_f32_e32 v1, v144, v2
                                        ; implicit-def: $vgpr126
	s_delay_alu instid0(VALU_DEP_1) | instskip(NEXT) | instid1(VALU_DEP_1)
	v_and_b32_e32 v2, 0x7f800000, v1
	v_cmp_ne_u32_e64 s3, 0x7f800000, v2
	s_delay_alu instid0(VALU_DEP_1) | instskip(NEXT) | instid1(SALU_CYCLE_1)
	s_and_saveexec_b32 s21, s3
	s_xor_b32 s3, exec_lo, s21
; %bb.865:                              ;   in Loop: Header=BB415_13 Depth=1
	v_bfe_u32 v2, v1, 16, 1
	s_delay_alu instid0(VALU_DEP_1)
	v_add3_u32 v126, v1, v2, 0x7fff
                                        ; implicit-def: $vgpr1
; %bb.866:                              ;   in Loop: Header=BB415_13 Depth=1
	s_and_not1_saveexec_b32 s21, s3
; %bb.867:                              ;   in Loop: Header=BB415_13 Depth=1
	v_and_b32_e32 v2, 0xffff, v1
	v_or_b32_e32 v3, 0x10000, v1
	s_delay_alu instid0(VALU_DEP_2) | instskip(NEXT) | instid1(VALU_DEP_1)
	v_cmp_eq_u32_e64 s3, 0, v2
	v_cndmask_b32_e64 v126, v3, v1, s3
; %bb.868:                              ;   in Loop: Header=BB415_13 Depth=1
	s_or_b32 exec_lo, exec_lo, s21
	v_mov_b32_e32 v2, 0
	s_mov_b32 s21, exec_lo
	v_cmpx_lt_u32_e32 0xffffff, v0
	s_cbranch_execz .LBB415_876
; %bb.869:                              ;   in Loop: Header=BB415_13 Depth=1
	v_lshrrev_b32_e32 v1, 24, v0
	v_bfrev_b32_e32 v2, 1
	s_mov_b32 s22, exec_lo
	s_delay_alu instid0(VALU_DEP_2)
	v_cmpx_ne_u32_e32 0x80, v1
	s_cbranch_execz .LBB415_875
; %bb.870:                              ;   in Loop: Header=BB415_13 Depth=1
	v_bfe_u32 v3, v0, 24, 7
	v_mov_b32_e32 v2, 0x7f800001
	s_mov_b32 s23, exec_lo
	s_delay_alu instid0(VALU_DEP_2)
	v_cmpx_ne_u32_e32 0x7f, v3
	s_cbranch_execz .LBB415_874
; %bb.871:                              ;   in Loop: Header=BB415_13 Depth=1
	v_and_b32_e32 v28, 7, v1
	v_lshrrev_b32_e32 v0, 3, v3
	v_mov_b32_e32 v83, v29
	s_mov_b32 s24, exec_lo
	s_delay_alu instid0(VALU_DEP_3)
	v_mov_b32_e32 v82, v28
	v_cmpx_gt_u32_e32 8, v3
; %bb.872:                              ;   in Loop: Header=BB415_13 Depth=1
	v_clz_i32_u32_e32 v0, v28
	s_delay_alu instid0(VALU_DEP_1) | instskip(NEXT) | instid1(VALU_DEP_1)
	v_min_u32_e32 v0, 32, v0
	v_subrev_nc_u32_e32 v2, 28, v0
	v_sub_nc_u32_e32 v0, 29, v0
	s_delay_alu instid0(VALU_DEP_2) | instskip(NEXT) | instid1(VALU_DEP_1)
	v_lshlrev_b64 v[2:3], v2, v[28:29]
	v_and_b32_e32 v82, 7, v2
; %bb.873:                              ;   in Loop: Header=BB415_13 Depth=1
	s_or_b32 exec_lo, exec_lo, s24
	v_lshlrev_b32_e32 v1, 24, v1
	s_delay_alu instid0(VALU_DEP_2) | instskip(SKIP_1) | instid1(VALU_DEP_3)
	v_lshlrev_b32_e32 v2, 20, v82
	v_lshl_add_u32 v0, v0, 23, 0x3c000000
	v_and_b32_e32 v1, 0x80000000, v1
	s_delay_alu instid0(VALU_DEP_1)
	v_or3_b32 v2, v2, v1, v0
.LBB415_874:                            ;   in Loop: Header=BB415_13 Depth=1
	s_or_b32 exec_lo, exec_lo, s23
.LBB415_875:                            ;   in Loop: Header=BB415_13 Depth=1
	s_delay_alu instid0(SALU_CYCLE_1)
	s_or_b32 exec_lo, exec_lo, s22
.LBB415_876:                            ;   in Loop: Header=BB415_13 Depth=1
	s_delay_alu instid0(SALU_CYCLE_1) | instskip(NEXT) | instid1(VALU_DEP_1)
	s_or_b32 exec_lo, exec_lo, s21
	v_mul_f32_e32 v0, v144, v2
                                        ; implicit-def: $vgpr127
	s_delay_alu instid0(VALU_DEP_1) | instskip(NEXT) | instid1(VALU_DEP_1)
	v_and_b32_e32 v1, 0x7f800000, v0
	v_cmp_ne_u32_e64 s3, 0x7f800000, v1
	s_delay_alu instid0(VALU_DEP_1) | instskip(NEXT) | instid1(SALU_CYCLE_1)
	s_and_saveexec_b32 s21, s3
	s_xor_b32 s3, exec_lo, s21
; %bb.877:                              ;   in Loop: Header=BB415_13 Depth=1
	v_bfe_u32 v1, v0, 16, 1
	s_delay_alu instid0(VALU_DEP_1)
	v_add3_u32 v127, v0, v1, 0x7fff
                                        ; implicit-def: $vgpr0
; %bb.878:                              ;   in Loop: Header=BB415_13 Depth=1
	s_and_not1_saveexec_b32 s21, s3
; %bb.879:                              ;   in Loop: Header=BB415_13 Depth=1
	v_and_b32_e32 v1, 0xffff, v0
	v_or_b32_e32 v2, 0x10000, v0
	s_delay_alu instid0(VALU_DEP_2) | instskip(NEXT) | instid1(VALU_DEP_1)
	v_cmp_eq_u32_e64 s3, 0, v1
	v_cndmask_b32_e64 v127, v2, v0, s3
; %bb.880:                              ;   in Loop: Header=BB415_13 Depth=1
	s_or_b32 exec_lo, exec_lo, s21
	flat_load_b32 v0, v[80:81] offset:2304
	s_mov_b32 s21, exec_lo
	s_waitcnt vmcnt(0) lgkmcnt(0)
	v_dual_mov_b32 v1, 0 :: v_dual_and_b32 v2, 0xff, v0
	s_delay_alu instid0(VALU_DEP_1)
	v_cmpx_ne_u16_e32 0, v2
	s_cbranch_execz .LBB415_888
; %bb.881:                              ;   in Loop: Header=BB415_13 Depth=1
	v_bfrev_b32_e32 v1, 1
	s_mov_b32 s22, exec_lo
	v_cmpx_ne_u16_e32 0x80, v2
	s_cbranch_execz .LBB415_887
; %bb.882:                              ;   in Loop: Header=BB415_13 Depth=1
	v_and_b32_e32 v2, 0x7f, v0
	v_mov_b32_e32 v1, 0x7f800001
	s_mov_b32 s23, exec_lo
	s_delay_alu instid0(VALU_DEP_2)
	v_cmpx_ne_u32_e32 0x7f, v2
	s_cbranch_execz .LBB415_886
; %bb.883:                              ;   in Loop: Header=BB415_13 Depth=1
	v_and_b32_e32 v28, 7, v0
	v_lshrrev_b32_e32 v1, 3, v2
	v_mov_b32_e32 v83, v29
	s_mov_b32 s24, exec_lo
	s_delay_alu instid0(VALU_DEP_3)
	v_mov_b32_e32 v82, v28
	v_cmpx_gt_u32_e32 8, v2
; %bb.884:                              ;   in Loop: Header=BB415_13 Depth=1
	v_clz_i32_u32_e32 v1, v28
	s_delay_alu instid0(VALU_DEP_1) | instskip(NEXT) | instid1(VALU_DEP_1)
	v_min_u32_e32 v1, 32, v1
	v_subrev_nc_u32_e32 v2, 28, v1
	v_sub_nc_u32_e32 v1, 29, v1
	s_delay_alu instid0(VALU_DEP_2) | instskip(NEXT) | instid1(VALU_DEP_1)
	v_lshlrev_b64 v[2:3], v2, v[28:29]
	v_and_b32_e32 v82, 7, v2
; %bb.885:                              ;   in Loop: Header=BB415_13 Depth=1
	s_or_b32 exec_lo, exec_lo, s24
	v_lshlrev_b32_e32 v2, 24, v0
	s_delay_alu instid0(VALU_DEP_2) | instskip(SKIP_1) | instid1(VALU_DEP_3)
	v_lshlrev_b32_e32 v3, 20, v82
	v_lshl_add_u32 v1, v1, 23, 0x3c000000
	v_and_b32_e32 v2, 0x80000000, v2
	s_delay_alu instid0(VALU_DEP_1)
	v_or3_b32 v1, v3, v2, v1
.LBB415_886:                            ;   in Loop: Header=BB415_13 Depth=1
	s_or_b32 exec_lo, exec_lo, s23
.LBB415_887:                            ;   in Loop: Header=BB415_13 Depth=1
	s_delay_alu instid0(SALU_CYCLE_1)
	s_or_b32 exec_lo, exec_lo, s22
.LBB415_888:                            ;   in Loop: Header=BB415_13 Depth=1
	s_delay_alu instid0(SALU_CYCLE_1) | instskip(NEXT) | instid1(VALU_DEP_1)
	s_or_b32 exec_lo, exec_lo, s21
	v_mul_f32_e32 v1, v144, v1
                                        ; implicit-def: $vgpr136
	s_delay_alu instid0(VALU_DEP_1) | instskip(NEXT) | instid1(VALU_DEP_1)
	v_and_b32_e32 v2, 0x7f800000, v1
	v_cmp_ne_u32_e64 s3, 0x7f800000, v2
	s_delay_alu instid0(VALU_DEP_1) | instskip(NEXT) | instid1(SALU_CYCLE_1)
	s_and_saveexec_b32 s21, s3
	s_xor_b32 s3, exec_lo, s21
; %bb.889:                              ;   in Loop: Header=BB415_13 Depth=1
	v_bfe_u32 v2, v1, 16, 1
	s_delay_alu instid0(VALU_DEP_1)
	v_add3_u32 v136, v1, v2, 0x7fff
                                        ; implicit-def: $vgpr1
; %bb.890:                              ;   in Loop: Header=BB415_13 Depth=1
	s_and_not1_saveexec_b32 s21, s3
; %bb.891:                              ;   in Loop: Header=BB415_13 Depth=1
	v_and_b32_e32 v2, 0xffff, v1
	v_or_b32_e32 v3, 0x10000, v1
	s_delay_alu instid0(VALU_DEP_2) | instskip(NEXT) | instid1(VALU_DEP_1)
	v_cmp_eq_u32_e64 s3, 0, v2
	v_cndmask_b32_e64 v136, v3, v1, s3
; %bb.892:                              ;   in Loop: Header=BB415_13 Depth=1
	s_or_b32 exec_lo, exec_lo, s21
	v_lshrrev_b16 v2, 8, v0
	v_mov_b32_e32 v1, 0
	s_mov_b32 s21, exec_lo
	s_delay_alu instid0(VALU_DEP_2)
	v_cmpx_ne_u16_e32 0, v2
	s_cbranch_execz .LBB415_900
; %bb.893:                              ;   in Loop: Header=BB415_13 Depth=1
	v_bfrev_b32_e32 v1, 1
	s_mov_b32 s22, exec_lo
	v_cmpx_ne_u16_e32 0x80, v2
	s_cbranch_execz .LBB415_899
; %bb.894:                              ;   in Loop: Header=BB415_13 Depth=1
	v_and_b32_e32 v3, 0xffff, v2
	v_mov_b32_e32 v1, 0x7f800001
	s_mov_b32 s23, exec_lo
	s_delay_alu instid0(VALU_DEP_2) | instskip(NEXT) | instid1(VALU_DEP_1)
	v_and_b32_e32 v2, 0x7f, v3
	v_cmpx_ne_u32_e32 0x7f, v2
	s_cbranch_execz .LBB415_898
; %bb.895:                              ;   in Loop: Header=BB415_13 Depth=1
	v_and_b32_e32 v28, 7, v3
	v_lshrrev_b32_e32 v1, 3, v2
	v_mov_b32_e32 v83, v29
	s_mov_b32 s24, exec_lo
	s_delay_alu instid0(VALU_DEP_3)
	v_mov_b32_e32 v82, v28
	v_cmpx_gt_u32_e32 8, v2
; %bb.896:                              ;   in Loop: Header=BB415_13 Depth=1
	v_clz_i32_u32_e32 v1, v28
	s_delay_alu instid0(VALU_DEP_1) | instskip(NEXT) | instid1(VALU_DEP_1)
	v_min_u32_e32 v1, 32, v1
	v_subrev_nc_u32_e32 v2, 28, v1
	v_sub_nc_u32_e32 v1, 29, v1
	s_delay_alu instid0(VALU_DEP_2) | instskip(NEXT) | instid1(VALU_DEP_1)
	v_lshlrev_b64 v[2:3], v2, v[28:29]
	v_and_b32_e32 v82, 7, v2
; %bb.897:                              ;   in Loop: Header=BB415_13 Depth=1
	s_or_b32 exec_lo, exec_lo, s24
	v_lshlrev_b32_e32 v2, 16, v0
	s_delay_alu instid0(VALU_DEP_2) | instskip(SKIP_1) | instid1(VALU_DEP_3)
	v_lshlrev_b32_e32 v3, 20, v82
	v_lshl_add_u32 v1, v1, 23, 0x3c000000
	v_and_b32_e32 v2, 0x80000000, v2
	s_delay_alu instid0(VALU_DEP_1)
	v_or3_b32 v1, v3, v2, v1
.LBB415_898:                            ;   in Loop: Header=BB415_13 Depth=1
	s_or_b32 exec_lo, exec_lo, s23
.LBB415_899:                            ;   in Loop: Header=BB415_13 Depth=1
	s_delay_alu instid0(SALU_CYCLE_1)
	s_or_b32 exec_lo, exec_lo, s22
.LBB415_900:                            ;   in Loop: Header=BB415_13 Depth=1
	s_delay_alu instid0(SALU_CYCLE_1) | instskip(NEXT) | instid1(VALU_DEP_1)
	s_or_b32 exec_lo, exec_lo, s21
	v_mul_f32_e32 v1, v144, v1
                                        ; implicit-def: $vgpr137
	s_delay_alu instid0(VALU_DEP_1) | instskip(NEXT) | instid1(VALU_DEP_1)
	v_and_b32_e32 v2, 0x7f800000, v1
	v_cmp_ne_u32_e64 s3, 0x7f800000, v2
	s_delay_alu instid0(VALU_DEP_1) | instskip(NEXT) | instid1(SALU_CYCLE_1)
	s_and_saveexec_b32 s21, s3
	s_xor_b32 s3, exec_lo, s21
; %bb.901:                              ;   in Loop: Header=BB415_13 Depth=1
	v_bfe_u32 v2, v1, 16, 1
	s_delay_alu instid0(VALU_DEP_1)
	v_add3_u32 v137, v1, v2, 0x7fff
                                        ; implicit-def: $vgpr1
; %bb.902:                              ;   in Loop: Header=BB415_13 Depth=1
	s_and_not1_saveexec_b32 s21, s3
; %bb.903:                              ;   in Loop: Header=BB415_13 Depth=1
	v_and_b32_e32 v2, 0xffff, v1
	v_or_b32_e32 v3, 0x10000, v1
	s_delay_alu instid0(VALU_DEP_2) | instskip(NEXT) | instid1(VALU_DEP_1)
	v_cmp_eq_u32_e64 s3, 0, v2
	v_cndmask_b32_e64 v137, v3, v1, s3
; %bb.904:                              ;   in Loop: Header=BB415_13 Depth=1
	s_or_b32 exec_lo, exec_lo, s21
	v_lshrrev_b32_e32 v1, 16, v0
	s_mov_b32 s21, exec_lo
	s_delay_alu instid0(VALU_DEP_1) | instskip(NEXT) | instid1(VALU_DEP_1)
	v_dual_mov_b32 v2, 0 :: v_dual_and_b32 v3, 0xff, v1
	v_cmpx_ne_u16_e32 0, v3
	s_cbranch_execz .LBB415_912
; %bb.905:                              ;   in Loop: Header=BB415_13 Depth=1
	v_bfrev_b32_e32 v2, 1
	s_mov_b32 s22, exec_lo
	v_cmpx_ne_u16_e32 0x80, v3
	s_cbranch_execz .LBB415_911
; %bb.906:                              ;   in Loop: Header=BB415_13 Depth=1
	v_bfe_u32 v3, v0, 16, 7
	v_mov_b32_e32 v2, 0x7f800001
	s_mov_b32 s23, exec_lo
	s_delay_alu instid0(VALU_DEP_2)
	v_cmpx_ne_u32_e32 0x7f, v3
	s_cbranch_execz .LBB415_910
; %bb.907:                              ;   in Loop: Header=BB415_13 Depth=1
	v_and_b32_e32 v28, 7, v1
	v_lshrrev_b32_e32 v2, 3, v3
	v_mov_b32_e32 v83, v29
	s_mov_b32 s24, exec_lo
	s_delay_alu instid0(VALU_DEP_3)
	v_mov_b32_e32 v82, v28
	v_cmpx_gt_u32_e32 8, v3
; %bb.908:                              ;   in Loop: Header=BB415_13 Depth=1
	v_clz_i32_u32_e32 v2, v28
	s_delay_alu instid0(VALU_DEP_1) | instskip(NEXT) | instid1(VALU_DEP_1)
	v_min_u32_e32 v2, 32, v2
	v_subrev_nc_u32_e32 v3, 28, v2
	v_sub_nc_u32_e32 v2, 29, v2
	s_delay_alu instid0(VALU_DEP_2) | instskip(NEXT) | instid1(VALU_DEP_1)
	v_lshlrev_b64 v[3:4], v3, v[28:29]
	v_and_b32_e32 v82, 7, v3
; %bb.909:                              ;   in Loop: Header=BB415_13 Depth=1
	s_or_b32 exec_lo, exec_lo, s24
	v_lshlrev_b32_e32 v1, 24, v1
	s_delay_alu instid0(VALU_DEP_2) | instskip(SKIP_1) | instid1(VALU_DEP_3)
	v_lshlrev_b32_e32 v3, 20, v82
	v_lshl_add_u32 v2, v2, 23, 0x3c000000
	v_and_b32_e32 v1, 0x80000000, v1
	s_delay_alu instid0(VALU_DEP_1)
	v_or3_b32 v2, v3, v1, v2
.LBB415_910:                            ;   in Loop: Header=BB415_13 Depth=1
	s_or_b32 exec_lo, exec_lo, s23
.LBB415_911:                            ;   in Loop: Header=BB415_13 Depth=1
	s_delay_alu instid0(SALU_CYCLE_1)
	s_or_b32 exec_lo, exec_lo, s22
.LBB415_912:                            ;   in Loop: Header=BB415_13 Depth=1
	s_delay_alu instid0(SALU_CYCLE_1) | instskip(NEXT) | instid1(VALU_DEP_1)
	s_or_b32 exec_lo, exec_lo, s21
	v_mul_f32_e32 v1, v144, v2
                                        ; implicit-def: $vgpr138
	s_delay_alu instid0(VALU_DEP_1) | instskip(NEXT) | instid1(VALU_DEP_1)
	v_and_b32_e32 v2, 0x7f800000, v1
	v_cmp_ne_u32_e64 s3, 0x7f800000, v2
	s_delay_alu instid0(VALU_DEP_1) | instskip(NEXT) | instid1(SALU_CYCLE_1)
	s_and_saveexec_b32 s21, s3
	s_xor_b32 s3, exec_lo, s21
; %bb.913:                              ;   in Loop: Header=BB415_13 Depth=1
	v_bfe_u32 v2, v1, 16, 1
	s_delay_alu instid0(VALU_DEP_1)
	v_add3_u32 v138, v1, v2, 0x7fff
                                        ; implicit-def: $vgpr1
; %bb.914:                              ;   in Loop: Header=BB415_13 Depth=1
	s_and_not1_saveexec_b32 s21, s3
; %bb.915:                              ;   in Loop: Header=BB415_13 Depth=1
	v_and_b32_e32 v2, 0xffff, v1
	v_or_b32_e32 v3, 0x10000, v1
	s_delay_alu instid0(VALU_DEP_2) | instskip(NEXT) | instid1(VALU_DEP_1)
	v_cmp_eq_u32_e64 s3, 0, v2
	v_cndmask_b32_e64 v138, v3, v1, s3
; %bb.916:                              ;   in Loop: Header=BB415_13 Depth=1
	s_or_b32 exec_lo, exec_lo, s21
	v_mov_b32_e32 v2, 0
	s_mov_b32 s21, exec_lo
	v_cmpx_lt_u32_e32 0xffffff, v0
	s_cbranch_execz .LBB415_924
; %bb.917:                              ;   in Loop: Header=BB415_13 Depth=1
	v_lshrrev_b32_e32 v1, 24, v0
	v_bfrev_b32_e32 v2, 1
	s_mov_b32 s22, exec_lo
	s_delay_alu instid0(VALU_DEP_2)
	v_cmpx_ne_u32_e32 0x80, v1
	s_cbranch_execz .LBB415_923
; %bb.918:                              ;   in Loop: Header=BB415_13 Depth=1
	v_bfe_u32 v3, v0, 24, 7
	v_mov_b32_e32 v2, 0x7f800001
	s_mov_b32 s23, exec_lo
	s_delay_alu instid0(VALU_DEP_2)
	v_cmpx_ne_u32_e32 0x7f, v3
	s_cbranch_execz .LBB415_922
; %bb.919:                              ;   in Loop: Header=BB415_13 Depth=1
	v_and_b32_e32 v28, 7, v1
	v_lshrrev_b32_e32 v0, 3, v3
	v_mov_b32_e32 v83, v29
	s_mov_b32 s24, exec_lo
	s_delay_alu instid0(VALU_DEP_3)
	v_mov_b32_e32 v82, v28
	v_cmpx_gt_u32_e32 8, v3
; %bb.920:                              ;   in Loop: Header=BB415_13 Depth=1
	v_clz_i32_u32_e32 v0, v28
	s_delay_alu instid0(VALU_DEP_1) | instskip(NEXT) | instid1(VALU_DEP_1)
	v_min_u32_e32 v0, 32, v0
	v_subrev_nc_u32_e32 v2, 28, v0
	v_sub_nc_u32_e32 v0, 29, v0
	s_delay_alu instid0(VALU_DEP_2) | instskip(NEXT) | instid1(VALU_DEP_1)
	v_lshlrev_b64 v[2:3], v2, v[28:29]
	v_and_b32_e32 v82, 7, v2
; %bb.921:                              ;   in Loop: Header=BB415_13 Depth=1
	s_or_b32 exec_lo, exec_lo, s24
	v_lshlrev_b32_e32 v1, 24, v1
	s_delay_alu instid0(VALU_DEP_2) | instskip(SKIP_1) | instid1(VALU_DEP_3)
	v_lshlrev_b32_e32 v2, 20, v82
	v_lshl_add_u32 v0, v0, 23, 0x3c000000
	v_and_b32_e32 v1, 0x80000000, v1
	s_delay_alu instid0(VALU_DEP_1)
	v_or3_b32 v2, v2, v1, v0
.LBB415_922:                            ;   in Loop: Header=BB415_13 Depth=1
	s_or_b32 exec_lo, exec_lo, s23
.LBB415_923:                            ;   in Loop: Header=BB415_13 Depth=1
	s_delay_alu instid0(SALU_CYCLE_1)
	s_or_b32 exec_lo, exec_lo, s22
.LBB415_924:                            ;   in Loop: Header=BB415_13 Depth=1
	s_delay_alu instid0(SALU_CYCLE_1) | instskip(NEXT) | instid1(VALU_DEP_1)
	s_or_b32 exec_lo, exec_lo, s21
	v_mul_f32_e32 v0, v144, v2
                                        ; implicit-def: $vgpr139
	s_delay_alu instid0(VALU_DEP_1) | instskip(NEXT) | instid1(VALU_DEP_1)
	v_and_b32_e32 v1, 0x7f800000, v0
	v_cmp_ne_u32_e64 s3, 0x7f800000, v1
	s_delay_alu instid0(VALU_DEP_1) | instskip(NEXT) | instid1(SALU_CYCLE_1)
	s_and_saveexec_b32 s21, s3
	s_xor_b32 s3, exec_lo, s21
; %bb.925:                              ;   in Loop: Header=BB415_13 Depth=1
	v_bfe_u32 v1, v0, 16, 1
	s_delay_alu instid0(VALU_DEP_1)
	v_add3_u32 v139, v0, v1, 0x7fff
                                        ; implicit-def: $vgpr0
; %bb.926:                              ;   in Loop: Header=BB415_13 Depth=1
	s_and_not1_saveexec_b32 s21, s3
; %bb.927:                              ;   in Loop: Header=BB415_13 Depth=1
	v_and_b32_e32 v1, 0xffff, v0
	v_or_b32_e32 v2, 0x10000, v0
	s_delay_alu instid0(VALU_DEP_2) | instskip(NEXT) | instid1(VALU_DEP_1)
	v_cmp_eq_u32_e64 s3, 0, v1
	v_cndmask_b32_e64 v139, v2, v0, s3
; %bb.928:                              ;   in Loop: Header=BB415_13 Depth=1
	s_or_b32 exec_lo, exec_lo, s21
	flat_load_b32 v0, v[80:81] offset:2312
	s_mov_b32 s21, exec_lo
	s_waitcnt vmcnt(0) lgkmcnt(0)
	v_dual_mov_b32 v1, 0 :: v_dual_and_b32 v2, 0xff, v0
	s_delay_alu instid0(VALU_DEP_1)
	v_cmpx_ne_u16_e32 0, v2
	s_cbranch_execz .LBB415_936
; %bb.929:                              ;   in Loop: Header=BB415_13 Depth=1
	v_bfrev_b32_e32 v1, 1
	s_mov_b32 s22, exec_lo
	v_cmpx_ne_u16_e32 0x80, v2
	s_cbranch_execz .LBB415_935
; %bb.930:                              ;   in Loop: Header=BB415_13 Depth=1
	v_and_b32_e32 v2, 0x7f, v0
	v_mov_b32_e32 v1, 0x7f800001
	s_mov_b32 s23, exec_lo
	s_delay_alu instid0(VALU_DEP_2)
	v_cmpx_ne_u32_e32 0x7f, v2
	s_cbranch_execz .LBB415_934
; %bb.931:                              ;   in Loop: Header=BB415_13 Depth=1
	v_and_b32_e32 v28, 7, v0
	v_lshrrev_b32_e32 v1, 3, v2
	v_mov_b32_e32 v83, v29
	s_mov_b32 s24, exec_lo
	s_delay_alu instid0(VALU_DEP_3)
	v_mov_b32_e32 v82, v28
	v_cmpx_gt_u32_e32 8, v2
; %bb.932:                              ;   in Loop: Header=BB415_13 Depth=1
	v_clz_i32_u32_e32 v1, v28
	s_delay_alu instid0(VALU_DEP_1) | instskip(NEXT) | instid1(VALU_DEP_1)
	v_min_u32_e32 v1, 32, v1
	v_subrev_nc_u32_e32 v2, 28, v1
	v_sub_nc_u32_e32 v1, 29, v1
	s_delay_alu instid0(VALU_DEP_2) | instskip(NEXT) | instid1(VALU_DEP_1)
	v_lshlrev_b64 v[2:3], v2, v[28:29]
	v_and_b32_e32 v82, 7, v2
; %bb.933:                              ;   in Loop: Header=BB415_13 Depth=1
	s_or_b32 exec_lo, exec_lo, s24
	v_lshlrev_b32_e32 v2, 24, v0
	s_delay_alu instid0(VALU_DEP_2) | instskip(SKIP_1) | instid1(VALU_DEP_3)
	v_lshlrev_b32_e32 v3, 20, v82
	v_lshl_add_u32 v1, v1, 23, 0x3c000000
	v_and_b32_e32 v2, 0x80000000, v2
	s_delay_alu instid0(VALU_DEP_1)
	v_or3_b32 v1, v3, v2, v1
.LBB415_934:                            ;   in Loop: Header=BB415_13 Depth=1
	s_or_b32 exec_lo, exec_lo, s23
.LBB415_935:                            ;   in Loop: Header=BB415_13 Depth=1
	s_delay_alu instid0(SALU_CYCLE_1)
	s_or_b32 exec_lo, exec_lo, s22
.LBB415_936:                            ;   in Loop: Header=BB415_13 Depth=1
	s_delay_alu instid0(SALU_CYCLE_1) | instskip(NEXT) | instid1(VALU_DEP_1)
	s_or_b32 exec_lo, exec_lo, s21
	v_mul_f32_e32 v1, v144, v1
                                        ; implicit-def: $vgpr140
	s_delay_alu instid0(VALU_DEP_1) | instskip(NEXT) | instid1(VALU_DEP_1)
	v_and_b32_e32 v2, 0x7f800000, v1
	v_cmp_ne_u32_e64 s3, 0x7f800000, v2
	s_delay_alu instid0(VALU_DEP_1) | instskip(NEXT) | instid1(SALU_CYCLE_1)
	s_and_saveexec_b32 s21, s3
	s_xor_b32 s3, exec_lo, s21
; %bb.937:                              ;   in Loop: Header=BB415_13 Depth=1
	v_bfe_u32 v2, v1, 16, 1
	s_delay_alu instid0(VALU_DEP_1)
	v_add3_u32 v140, v1, v2, 0x7fff
                                        ; implicit-def: $vgpr1
; %bb.938:                              ;   in Loop: Header=BB415_13 Depth=1
	s_and_not1_saveexec_b32 s21, s3
; %bb.939:                              ;   in Loop: Header=BB415_13 Depth=1
	v_and_b32_e32 v2, 0xffff, v1
	v_or_b32_e32 v3, 0x10000, v1
	s_delay_alu instid0(VALU_DEP_2) | instskip(NEXT) | instid1(VALU_DEP_1)
	v_cmp_eq_u32_e64 s3, 0, v2
	v_cndmask_b32_e64 v140, v3, v1, s3
; %bb.940:                              ;   in Loop: Header=BB415_13 Depth=1
	s_or_b32 exec_lo, exec_lo, s21
	v_lshrrev_b16 v2, 8, v0
	v_mov_b32_e32 v1, 0
	s_mov_b32 s21, exec_lo
	s_delay_alu instid0(VALU_DEP_2)
	v_cmpx_ne_u16_e32 0, v2
	s_cbranch_execz .LBB415_948
; %bb.941:                              ;   in Loop: Header=BB415_13 Depth=1
	v_bfrev_b32_e32 v1, 1
	s_mov_b32 s22, exec_lo
	v_cmpx_ne_u16_e32 0x80, v2
	s_cbranch_execz .LBB415_947
; %bb.942:                              ;   in Loop: Header=BB415_13 Depth=1
	v_and_b32_e32 v3, 0xffff, v2
	v_mov_b32_e32 v1, 0x7f800001
	s_mov_b32 s23, exec_lo
	s_delay_alu instid0(VALU_DEP_2) | instskip(NEXT) | instid1(VALU_DEP_1)
	v_and_b32_e32 v2, 0x7f, v3
	v_cmpx_ne_u32_e32 0x7f, v2
	s_cbranch_execz .LBB415_946
; %bb.943:                              ;   in Loop: Header=BB415_13 Depth=1
	v_and_b32_e32 v28, 7, v3
	v_lshrrev_b32_e32 v1, 3, v2
	v_mov_b32_e32 v83, v29
	s_mov_b32 s24, exec_lo
	s_delay_alu instid0(VALU_DEP_3)
	v_mov_b32_e32 v82, v28
	v_cmpx_gt_u32_e32 8, v2
; %bb.944:                              ;   in Loop: Header=BB415_13 Depth=1
	v_clz_i32_u32_e32 v1, v28
	s_delay_alu instid0(VALU_DEP_1) | instskip(NEXT) | instid1(VALU_DEP_1)
	v_min_u32_e32 v1, 32, v1
	v_subrev_nc_u32_e32 v2, 28, v1
	v_sub_nc_u32_e32 v1, 29, v1
	s_delay_alu instid0(VALU_DEP_2) | instskip(NEXT) | instid1(VALU_DEP_1)
	v_lshlrev_b64 v[2:3], v2, v[28:29]
	v_and_b32_e32 v82, 7, v2
; %bb.945:                              ;   in Loop: Header=BB415_13 Depth=1
	s_or_b32 exec_lo, exec_lo, s24
	v_lshlrev_b32_e32 v2, 16, v0
	s_delay_alu instid0(VALU_DEP_2) | instskip(SKIP_1) | instid1(VALU_DEP_3)
	v_lshlrev_b32_e32 v3, 20, v82
	v_lshl_add_u32 v1, v1, 23, 0x3c000000
	v_and_b32_e32 v2, 0x80000000, v2
	s_delay_alu instid0(VALU_DEP_1)
	v_or3_b32 v1, v3, v2, v1
.LBB415_946:                            ;   in Loop: Header=BB415_13 Depth=1
	s_or_b32 exec_lo, exec_lo, s23
.LBB415_947:                            ;   in Loop: Header=BB415_13 Depth=1
	s_delay_alu instid0(SALU_CYCLE_1)
	s_or_b32 exec_lo, exec_lo, s22
.LBB415_948:                            ;   in Loop: Header=BB415_13 Depth=1
	s_delay_alu instid0(SALU_CYCLE_1) | instskip(NEXT) | instid1(VALU_DEP_1)
	s_or_b32 exec_lo, exec_lo, s21
	v_mul_f32_e32 v1, v144, v1
                                        ; implicit-def: $vgpr141
	s_delay_alu instid0(VALU_DEP_1) | instskip(NEXT) | instid1(VALU_DEP_1)
	v_and_b32_e32 v2, 0x7f800000, v1
	v_cmp_ne_u32_e64 s3, 0x7f800000, v2
	s_delay_alu instid0(VALU_DEP_1) | instskip(NEXT) | instid1(SALU_CYCLE_1)
	s_and_saveexec_b32 s21, s3
	s_xor_b32 s3, exec_lo, s21
; %bb.949:                              ;   in Loop: Header=BB415_13 Depth=1
	v_bfe_u32 v2, v1, 16, 1
	s_delay_alu instid0(VALU_DEP_1)
	v_add3_u32 v141, v1, v2, 0x7fff
                                        ; implicit-def: $vgpr1
; %bb.950:                              ;   in Loop: Header=BB415_13 Depth=1
	s_and_not1_saveexec_b32 s21, s3
; %bb.951:                              ;   in Loop: Header=BB415_13 Depth=1
	v_and_b32_e32 v2, 0xffff, v1
	v_or_b32_e32 v3, 0x10000, v1
	s_delay_alu instid0(VALU_DEP_2) | instskip(NEXT) | instid1(VALU_DEP_1)
	v_cmp_eq_u32_e64 s3, 0, v2
	v_cndmask_b32_e64 v141, v3, v1, s3
; %bb.952:                              ;   in Loop: Header=BB415_13 Depth=1
	s_or_b32 exec_lo, exec_lo, s21
	v_lshrrev_b32_e32 v1, 16, v0
	s_mov_b32 s21, exec_lo
	s_delay_alu instid0(VALU_DEP_1) | instskip(NEXT) | instid1(VALU_DEP_1)
	v_dual_mov_b32 v2, 0 :: v_dual_and_b32 v3, 0xff, v1
	v_cmpx_ne_u16_e32 0, v3
	s_cbranch_execz .LBB415_960
; %bb.953:                              ;   in Loop: Header=BB415_13 Depth=1
	v_bfrev_b32_e32 v2, 1
	s_mov_b32 s22, exec_lo
	v_cmpx_ne_u16_e32 0x80, v3
	s_cbranch_execz .LBB415_959
; %bb.954:                              ;   in Loop: Header=BB415_13 Depth=1
	v_bfe_u32 v3, v0, 16, 7
	v_mov_b32_e32 v2, 0x7f800001
	s_mov_b32 s23, exec_lo
	s_delay_alu instid0(VALU_DEP_2)
	v_cmpx_ne_u32_e32 0x7f, v3
	s_cbranch_execz .LBB415_958
; %bb.955:                              ;   in Loop: Header=BB415_13 Depth=1
	v_and_b32_e32 v28, 7, v1
	v_lshrrev_b32_e32 v2, 3, v3
	v_mov_b32_e32 v83, v29
	s_mov_b32 s24, exec_lo
	s_delay_alu instid0(VALU_DEP_3)
	v_mov_b32_e32 v82, v28
	v_cmpx_gt_u32_e32 8, v3
; %bb.956:                              ;   in Loop: Header=BB415_13 Depth=1
	v_clz_i32_u32_e32 v2, v28
	s_delay_alu instid0(VALU_DEP_1) | instskip(NEXT) | instid1(VALU_DEP_1)
	v_min_u32_e32 v2, 32, v2
	v_subrev_nc_u32_e32 v3, 28, v2
	v_sub_nc_u32_e32 v2, 29, v2
	s_delay_alu instid0(VALU_DEP_2) | instskip(NEXT) | instid1(VALU_DEP_1)
	v_lshlrev_b64 v[3:4], v3, v[28:29]
	v_and_b32_e32 v82, 7, v3
; %bb.957:                              ;   in Loop: Header=BB415_13 Depth=1
	s_or_b32 exec_lo, exec_lo, s24
	v_lshlrev_b32_e32 v1, 24, v1
	s_delay_alu instid0(VALU_DEP_2) | instskip(SKIP_1) | instid1(VALU_DEP_3)
	v_lshlrev_b32_e32 v3, 20, v82
	v_lshl_add_u32 v2, v2, 23, 0x3c000000
	v_and_b32_e32 v1, 0x80000000, v1
	s_delay_alu instid0(VALU_DEP_1)
	v_or3_b32 v2, v3, v1, v2
.LBB415_958:                            ;   in Loop: Header=BB415_13 Depth=1
	s_or_b32 exec_lo, exec_lo, s23
.LBB415_959:                            ;   in Loop: Header=BB415_13 Depth=1
	s_delay_alu instid0(SALU_CYCLE_1)
	s_or_b32 exec_lo, exec_lo, s22
.LBB415_960:                            ;   in Loop: Header=BB415_13 Depth=1
	s_delay_alu instid0(SALU_CYCLE_1) | instskip(NEXT) | instid1(VALU_DEP_1)
	s_or_b32 exec_lo, exec_lo, s21
	v_mul_f32_e32 v1, v144, v2
                                        ; implicit-def: $vgpr142
	s_delay_alu instid0(VALU_DEP_1) | instskip(NEXT) | instid1(VALU_DEP_1)
	v_and_b32_e32 v2, 0x7f800000, v1
	v_cmp_ne_u32_e64 s3, 0x7f800000, v2
	s_delay_alu instid0(VALU_DEP_1) | instskip(NEXT) | instid1(SALU_CYCLE_1)
	s_and_saveexec_b32 s21, s3
	s_xor_b32 s3, exec_lo, s21
; %bb.961:                              ;   in Loop: Header=BB415_13 Depth=1
	v_bfe_u32 v2, v1, 16, 1
	s_delay_alu instid0(VALU_DEP_1)
	v_add3_u32 v142, v1, v2, 0x7fff
                                        ; implicit-def: $vgpr1
; %bb.962:                              ;   in Loop: Header=BB415_13 Depth=1
	s_and_not1_saveexec_b32 s21, s3
; %bb.963:                              ;   in Loop: Header=BB415_13 Depth=1
	v_and_b32_e32 v2, 0xffff, v1
	v_or_b32_e32 v3, 0x10000, v1
	s_delay_alu instid0(VALU_DEP_2) | instskip(NEXT) | instid1(VALU_DEP_1)
	v_cmp_eq_u32_e64 s3, 0, v2
	v_cndmask_b32_e64 v142, v3, v1, s3
; %bb.964:                              ;   in Loop: Header=BB415_13 Depth=1
	s_or_b32 exec_lo, exec_lo, s21
	v_mov_b32_e32 v2, 0
	s_mov_b32 s21, exec_lo
	v_cmpx_lt_u32_e32 0xffffff, v0
	s_cbranch_execz .LBB415_972
; %bb.965:                              ;   in Loop: Header=BB415_13 Depth=1
	v_lshrrev_b32_e32 v1, 24, v0
	v_bfrev_b32_e32 v2, 1
	s_mov_b32 s22, exec_lo
	s_delay_alu instid0(VALU_DEP_2)
	v_cmpx_ne_u32_e32 0x80, v1
	s_cbranch_execz .LBB415_971
; %bb.966:                              ;   in Loop: Header=BB415_13 Depth=1
	v_bfe_u32 v3, v0, 24, 7
	v_mov_b32_e32 v2, 0x7f800001
	s_mov_b32 s23, exec_lo
	s_delay_alu instid0(VALU_DEP_2)
	v_cmpx_ne_u32_e32 0x7f, v3
	s_cbranch_execz .LBB415_970
; %bb.967:                              ;   in Loop: Header=BB415_13 Depth=1
	v_and_b32_e32 v28, 7, v1
	v_lshrrev_b32_e32 v0, 3, v3
	v_mov_b32_e32 v83, v29
	s_mov_b32 s24, exec_lo
	s_delay_alu instid0(VALU_DEP_3)
	v_mov_b32_e32 v82, v28
	v_cmpx_gt_u32_e32 8, v3
; %bb.968:                              ;   in Loop: Header=BB415_13 Depth=1
	v_clz_i32_u32_e32 v0, v28
	s_delay_alu instid0(VALU_DEP_1) | instskip(NEXT) | instid1(VALU_DEP_1)
	v_min_u32_e32 v0, 32, v0
	v_subrev_nc_u32_e32 v2, 28, v0
	v_sub_nc_u32_e32 v0, 29, v0
	s_delay_alu instid0(VALU_DEP_2) | instskip(NEXT) | instid1(VALU_DEP_1)
	v_lshlrev_b64 v[2:3], v2, v[28:29]
	v_and_b32_e32 v82, 7, v2
; %bb.969:                              ;   in Loop: Header=BB415_13 Depth=1
	s_or_b32 exec_lo, exec_lo, s24
	v_lshlrev_b32_e32 v1, 24, v1
	s_delay_alu instid0(VALU_DEP_2) | instskip(SKIP_1) | instid1(VALU_DEP_3)
	v_lshlrev_b32_e32 v2, 20, v82
	v_lshl_add_u32 v0, v0, 23, 0x3c000000
	v_and_b32_e32 v1, 0x80000000, v1
	s_delay_alu instid0(VALU_DEP_1)
	v_or3_b32 v2, v2, v1, v0
.LBB415_970:                            ;   in Loop: Header=BB415_13 Depth=1
	s_or_b32 exec_lo, exec_lo, s23
.LBB415_971:                            ;   in Loop: Header=BB415_13 Depth=1
	s_delay_alu instid0(SALU_CYCLE_1)
	s_or_b32 exec_lo, exec_lo, s22
.LBB415_972:                            ;   in Loop: Header=BB415_13 Depth=1
	s_delay_alu instid0(SALU_CYCLE_1) | instskip(NEXT) | instid1(VALU_DEP_1)
	s_or_b32 exec_lo, exec_lo, s21
	v_mul_f32_e32 v0, v144, v2
                                        ; implicit-def: $vgpr143
	s_delay_alu instid0(VALU_DEP_1) | instskip(NEXT) | instid1(VALU_DEP_1)
	v_and_b32_e32 v1, 0x7f800000, v0
	v_cmp_ne_u32_e64 s3, 0x7f800000, v1
	s_delay_alu instid0(VALU_DEP_1) | instskip(NEXT) | instid1(SALU_CYCLE_1)
	s_and_saveexec_b32 s21, s3
	s_xor_b32 s3, exec_lo, s21
; %bb.973:                              ;   in Loop: Header=BB415_13 Depth=1
	v_bfe_u32 v1, v0, 16, 1
	s_delay_alu instid0(VALU_DEP_1)
	v_add3_u32 v143, v0, v1, 0x7fff
                                        ; implicit-def: $vgpr0
; %bb.974:                              ;   in Loop: Header=BB415_13 Depth=1
	s_and_not1_saveexec_b32 s21, s3
; %bb.975:                              ;   in Loop: Header=BB415_13 Depth=1
	v_and_b32_e32 v1, 0xffff, v0
	v_or_b32_e32 v2, 0x10000, v0
	s_delay_alu instid0(VALU_DEP_2) | instskip(NEXT) | instid1(VALU_DEP_1)
	v_cmp_eq_u32_e64 s3, 0, v1
	v_cndmask_b32_e64 v143, v2, v0, s3
; %bb.976:                              ;   in Loop: Header=BB415_13 Depth=1
	s_or_b32 exec_lo, exec_lo, s21
	flat_load_b32 v0, v[80:81] offset:2560
	s_mov_b32 s21, exec_lo
	s_waitcnt vmcnt(0) lgkmcnt(0)
	v_dual_mov_b32 v1, 0 :: v_dual_and_b32 v2, 0xff, v0
	s_delay_alu instid0(VALU_DEP_1)
	v_cmpx_ne_u16_e32 0, v2
	s_cbranch_execz .LBB415_984
; %bb.977:                              ;   in Loop: Header=BB415_13 Depth=1
	v_bfrev_b32_e32 v1, 1
	s_mov_b32 s22, exec_lo
	v_cmpx_ne_u16_e32 0x80, v2
	s_cbranch_execz .LBB415_983
; %bb.978:                              ;   in Loop: Header=BB415_13 Depth=1
	v_and_b32_e32 v2, 0x7f, v0
	v_mov_b32_e32 v1, 0x7f800001
	s_mov_b32 s23, exec_lo
	s_delay_alu instid0(VALU_DEP_2)
	v_cmpx_ne_u32_e32 0x7f, v2
	s_cbranch_execz .LBB415_982
; %bb.979:                              ;   in Loop: Header=BB415_13 Depth=1
	v_and_b32_e32 v28, 7, v0
	v_lshrrev_b32_e32 v1, 3, v2
	v_mov_b32_e32 v83, v29
	s_mov_b32 s24, exec_lo
	s_delay_alu instid0(VALU_DEP_3)
	v_mov_b32_e32 v82, v28
	v_cmpx_gt_u32_e32 8, v2
; %bb.980:                              ;   in Loop: Header=BB415_13 Depth=1
	v_clz_i32_u32_e32 v1, v28
	s_delay_alu instid0(VALU_DEP_1) | instskip(NEXT) | instid1(VALU_DEP_1)
	v_min_u32_e32 v1, 32, v1
	v_subrev_nc_u32_e32 v2, 28, v1
	v_sub_nc_u32_e32 v1, 29, v1
	s_delay_alu instid0(VALU_DEP_2) | instskip(NEXT) | instid1(VALU_DEP_1)
	v_lshlrev_b64 v[2:3], v2, v[28:29]
	v_and_b32_e32 v82, 7, v2
; %bb.981:                              ;   in Loop: Header=BB415_13 Depth=1
	s_or_b32 exec_lo, exec_lo, s24
	v_lshlrev_b32_e32 v2, 24, v0
	s_delay_alu instid0(VALU_DEP_2) | instskip(SKIP_1) | instid1(VALU_DEP_3)
	v_lshlrev_b32_e32 v3, 20, v82
	v_lshl_add_u32 v1, v1, 23, 0x3c000000
	v_and_b32_e32 v2, 0x80000000, v2
	s_delay_alu instid0(VALU_DEP_1)
	v_or3_b32 v1, v3, v2, v1
.LBB415_982:                            ;   in Loop: Header=BB415_13 Depth=1
	s_or_b32 exec_lo, exec_lo, s23
.LBB415_983:                            ;   in Loop: Header=BB415_13 Depth=1
	s_delay_alu instid0(SALU_CYCLE_1)
	s_or_b32 exec_lo, exec_lo, s22
.LBB415_984:                            ;   in Loop: Header=BB415_13 Depth=1
	s_delay_alu instid0(SALU_CYCLE_1) | instskip(NEXT) | instid1(VALU_DEP_1)
	s_or_b32 exec_lo, exec_lo, s21
	v_mul_f32_e32 v1, v144, v1
                                        ; implicit-def: $vgpr152
	s_delay_alu instid0(VALU_DEP_1) | instskip(NEXT) | instid1(VALU_DEP_1)
	v_and_b32_e32 v2, 0x7f800000, v1
	v_cmp_ne_u32_e64 s3, 0x7f800000, v2
	s_delay_alu instid0(VALU_DEP_1) | instskip(NEXT) | instid1(SALU_CYCLE_1)
	s_and_saveexec_b32 s21, s3
	s_xor_b32 s3, exec_lo, s21
; %bb.985:                              ;   in Loop: Header=BB415_13 Depth=1
	v_bfe_u32 v2, v1, 16, 1
	s_delay_alu instid0(VALU_DEP_1)
	v_add3_u32 v152, v1, v2, 0x7fff
                                        ; implicit-def: $vgpr1
; %bb.986:                              ;   in Loop: Header=BB415_13 Depth=1
	s_and_not1_saveexec_b32 s21, s3
; %bb.987:                              ;   in Loop: Header=BB415_13 Depth=1
	v_and_b32_e32 v2, 0xffff, v1
	v_or_b32_e32 v3, 0x10000, v1
	s_delay_alu instid0(VALU_DEP_2) | instskip(NEXT) | instid1(VALU_DEP_1)
	v_cmp_eq_u32_e64 s3, 0, v2
	v_cndmask_b32_e64 v152, v3, v1, s3
; %bb.988:                              ;   in Loop: Header=BB415_13 Depth=1
	s_or_b32 exec_lo, exec_lo, s21
	v_lshrrev_b16 v2, 8, v0
	v_mov_b32_e32 v1, 0
	s_mov_b32 s21, exec_lo
	s_delay_alu instid0(VALU_DEP_2)
	v_cmpx_ne_u16_e32 0, v2
	s_cbranch_execz .LBB415_996
; %bb.989:                              ;   in Loop: Header=BB415_13 Depth=1
	v_bfrev_b32_e32 v1, 1
	s_mov_b32 s22, exec_lo
	v_cmpx_ne_u16_e32 0x80, v2
	s_cbranch_execz .LBB415_995
; %bb.990:                              ;   in Loop: Header=BB415_13 Depth=1
	v_and_b32_e32 v3, 0xffff, v2
	v_mov_b32_e32 v1, 0x7f800001
	s_mov_b32 s23, exec_lo
	s_delay_alu instid0(VALU_DEP_2) | instskip(NEXT) | instid1(VALU_DEP_1)
	v_and_b32_e32 v2, 0x7f, v3
	v_cmpx_ne_u32_e32 0x7f, v2
	s_cbranch_execz .LBB415_994
; %bb.991:                              ;   in Loop: Header=BB415_13 Depth=1
	v_and_b32_e32 v28, 7, v3
	v_lshrrev_b32_e32 v1, 3, v2
	v_mov_b32_e32 v83, v29
	s_mov_b32 s24, exec_lo
	s_delay_alu instid0(VALU_DEP_3)
	v_mov_b32_e32 v82, v28
	v_cmpx_gt_u32_e32 8, v2
; %bb.992:                              ;   in Loop: Header=BB415_13 Depth=1
	v_clz_i32_u32_e32 v1, v28
	s_delay_alu instid0(VALU_DEP_1) | instskip(NEXT) | instid1(VALU_DEP_1)
	v_min_u32_e32 v1, 32, v1
	v_subrev_nc_u32_e32 v2, 28, v1
	v_sub_nc_u32_e32 v1, 29, v1
	s_delay_alu instid0(VALU_DEP_2) | instskip(NEXT) | instid1(VALU_DEP_1)
	v_lshlrev_b64 v[2:3], v2, v[28:29]
	v_and_b32_e32 v82, 7, v2
; %bb.993:                              ;   in Loop: Header=BB415_13 Depth=1
	s_or_b32 exec_lo, exec_lo, s24
	v_lshlrev_b32_e32 v2, 16, v0
	s_delay_alu instid0(VALU_DEP_2) | instskip(SKIP_1) | instid1(VALU_DEP_3)
	v_lshlrev_b32_e32 v3, 20, v82
	v_lshl_add_u32 v1, v1, 23, 0x3c000000
	v_and_b32_e32 v2, 0x80000000, v2
	s_delay_alu instid0(VALU_DEP_1)
	v_or3_b32 v1, v3, v2, v1
.LBB415_994:                            ;   in Loop: Header=BB415_13 Depth=1
	s_or_b32 exec_lo, exec_lo, s23
.LBB415_995:                            ;   in Loop: Header=BB415_13 Depth=1
	s_delay_alu instid0(SALU_CYCLE_1)
	s_or_b32 exec_lo, exec_lo, s22
.LBB415_996:                            ;   in Loop: Header=BB415_13 Depth=1
	s_delay_alu instid0(SALU_CYCLE_1) | instskip(NEXT) | instid1(VALU_DEP_1)
	s_or_b32 exec_lo, exec_lo, s21
	v_mul_f32_e32 v1, v144, v1
                                        ; implicit-def: $vgpr153
	s_delay_alu instid0(VALU_DEP_1) | instskip(NEXT) | instid1(VALU_DEP_1)
	v_and_b32_e32 v2, 0x7f800000, v1
	v_cmp_ne_u32_e64 s3, 0x7f800000, v2
	s_delay_alu instid0(VALU_DEP_1) | instskip(NEXT) | instid1(SALU_CYCLE_1)
	s_and_saveexec_b32 s21, s3
	s_xor_b32 s3, exec_lo, s21
; %bb.997:                              ;   in Loop: Header=BB415_13 Depth=1
	v_bfe_u32 v2, v1, 16, 1
	s_delay_alu instid0(VALU_DEP_1)
	v_add3_u32 v153, v1, v2, 0x7fff
                                        ; implicit-def: $vgpr1
; %bb.998:                              ;   in Loop: Header=BB415_13 Depth=1
	s_and_not1_saveexec_b32 s21, s3
; %bb.999:                              ;   in Loop: Header=BB415_13 Depth=1
	v_and_b32_e32 v2, 0xffff, v1
	v_or_b32_e32 v3, 0x10000, v1
	s_delay_alu instid0(VALU_DEP_2) | instskip(NEXT) | instid1(VALU_DEP_1)
	v_cmp_eq_u32_e64 s3, 0, v2
	v_cndmask_b32_e64 v153, v3, v1, s3
; %bb.1000:                             ;   in Loop: Header=BB415_13 Depth=1
	s_or_b32 exec_lo, exec_lo, s21
	v_lshrrev_b32_e32 v1, 16, v0
	s_mov_b32 s21, exec_lo
	s_delay_alu instid0(VALU_DEP_1) | instskip(NEXT) | instid1(VALU_DEP_1)
	v_dual_mov_b32 v2, 0 :: v_dual_and_b32 v3, 0xff, v1
	v_cmpx_ne_u16_e32 0, v3
	s_cbranch_execz .LBB415_1008
; %bb.1001:                             ;   in Loop: Header=BB415_13 Depth=1
	v_bfrev_b32_e32 v2, 1
	s_mov_b32 s22, exec_lo
	v_cmpx_ne_u16_e32 0x80, v3
	s_cbranch_execz .LBB415_1007
; %bb.1002:                             ;   in Loop: Header=BB415_13 Depth=1
	v_bfe_u32 v3, v0, 16, 7
	v_mov_b32_e32 v2, 0x7f800001
	s_mov_b32 s23, exec_lo
	s_delay_alu instid0(VALU_DEP_2)
	v_cmpx_ne_u32_e32 0x7f, v3
	s_cbranch_execz .LBB415_1006
; %bb.1003:                             ;   in Loop: Header=BB415_13 Depth=1
	v_and_b32_e32 v28, 7, v1
	v_lshrrev_b32_e32 v2, 3, v3
	v_mov_b32_e32 v83, v29
	s_mov_b32 s24, exec_lo
	s_delay_alu instid0(VALU_DEP_3)
	v_mov_b32_e32 v82, v28
	v_cmpx_gt_u32_e32 8, v3
; %bb.1004:                             ;   in Loop: Header=BB415_13 Depth=1
	v_clz_i32_u32_e32 v2, v28
	s_delay_alu instid0(VALU_DEP_1) | instskip(NEXT) | instid1(VALU_DEP_1)
	v_min_u32_e32 v2, 32, v2
	v_subrev_nc_u32_e32 v3, 28, v2
	v_sub_nc_u32_e32 v2, 29, v2
	s_delay_alu instid0(VALU_DEP_2) | instskip(NEXT) | instid1(VALU_DEP_1)
	v_lshlrev_b64 v[3:4], v3, v[28:29]
	v_and_b32_e32 v82, 7, v3
; %bb.1005:                             ;   in Loop: Header=BB415_13 Depth=1
	s_or_b32 exec_lo, exec_lo, s24
	v_lshlrev_b32_e32 v1, 24, v1
	s_delay_alu instid0(VALU_DEP_2) | instskip(SKIP_1) | instid1(VALU_DEP_3)
	v_lshlrev_b32_e32 v3, 20, v82
	v_lshl_add_u32 v2, v2, 23, 0x3c000000
	v_and_b32_e32 v1, 0x80000000, v1
	s_delay_alu instid0(VALU_DEP_1)
	v_or3_b32 v2, v3, v1, v2
.LBB415_1006:                           ;   in Loop: Header=BB415_13 Depth=1
	s_or_b32 exec_lo, exec_lo, s23
.LBB415_1007:                           ;   in Loop: Header=BB415_13 Depth=1
	s_delay_alu instid0(SALU_CYCLE_1)
	s_or_b32 exec_lo, exec_lo, s22
.LBB415_1008:                           ;   in Loop: Header=BB415_13 Depth=1
	s_delay_alu instid0(SALU_CYCLE_1) | instskip(NEXT) | instid1(VALU_DEP_1)
	s_or_b32 exec_lo, exec_lo, s21
	v_mul_f32_e32 v1, v144, v2
                                        ; implicit-def: $vgpr154
	s_delay_alu instid0(VALU_DEP_1) | instskip(NEXT) | instid1(VALU_DEP_1)
	v_and_b32_e32 v2, 0x7f800000, v1
	v_cmp_ne_u32_e64 s3, 0x7f800000, v2
	s_delay_alu instid0(VALU_DEP_1) | instskip(NEXT) | instid1(SALU_CYCLE_1)
	s_and_saveexec_b32 s21, s3
	s_xor_b32 s3, exec_lo, s21
; %bb.1009:                             ;   in Loop: Header=BB415_13 Depth=1
	v_bfe_u32 v2, v1, 16, 1
	s_delay_alu instid0(VALU_DEP_1)
	v_add3_u32 v154, v1, v2, 0x7fff
                                        ; implicit-def: $vgpr1
; %bb.1010:                             ;   in Loop: Header=BB415_13 Depth=1
	s_and_not1_saveexec_b32 s21, s3
; %bb.1011:                             ;   in Loop: Header=BB415_13 Depth=1
	v_and_b32_e32 v2, 0xffff, v1
	v_or_b32_e32 v3, 0x10000, v1
	s_delay_alu instid0(VALU_DEP_2) | instskip(NEXT) | instid1(VALU_DEP_1)
	v_cmp_eq_u32_e64 s3, 0, v2
	v_cndmask_b32_e64 v154, v3, v1, s3
; %bb.1012:                             ;   in Loop: Header=BB415_13 Depth=1
	s_or_b32 exec_lo, exec_lo, s21
	v_mov_b32_e32 v2, 0
	s_mov_b32 s21, exec_lo
	v_cmpx_lt_u32_e32 0xffffff, v0
	s_cbranch_execz .LBB415_1020
; %bb.1013:                             ;   in Loop: Header=BB415_13 Depth=1
	v_lshrrev_b32_e32 v1, 24, v0
	v_bfrev_b32_e32 v2, 1
	s_mov_b32 s22, exec_lo
	s_delay_alu instid0(VALU_DEP_2)
	v_cmpx_ne_u32_e32 0x80, v1
	s_cbranch_execz .LBB415_1019
; %bb.1014:                             ;   in Loop: Header=BB415_13 Depth=1
	v_bfe_u32 v3, v0, 24, 7
	v_mov_b32_e32 v2, 0x7f800001
	s_mov_b32 s23, exec_lo
	s_delay_alu instid0(VALU_DEP_2)
	v_cmpx_ne_u32_e32 0x7f, v3
	s_cbranch_execz .LBB415_1018
; %bb.1015:                             ;   in Loop: Header=BB415_13 Depth=1
	v_and_b32_e32 v28, 7, v1
	v_lshrrev_b32_e32 v0, 3, v3
	v_mov_b32_e32 v83, v29
	s_mov_b32 s24, exec_lo
	s_delay_alu instid0(VALU_DEP_3)
	v_mov_b32_e32 v82, v28
	v_cmpx_gt_u32_e32 8, v3
; %bb.1016:                             ;   in Loop: Header=BB415_13 Depth=1
	v_clz_i32_u32_e32 v0, v28
	s_delay_alu instid0(VALU_DEP_1) | instskip(NEXT) | instid1(VALU_DEP_1)
	v_min_u32_e32 v0, 32, v0
	v_subrev_nc_u32_e32 v2, 28, v0
	v_sub_nc_u32_e32 v0, 29, v0
	s_delay_alu instid0(VALU_DEP_2) | instskip(NEXT) | instid1(VALU_DEP_1)
	v_lshlrev_b64 v[2:3], v2, v[28:29]
	v_and_b32_e32 v82, 7, v2
; %bb.1017:                             ;   in Loop: Header=BB415_13 Depth=1
	s_or_b32 exec_lo, exec_lo, s24
	v_lshlrev_b32_e32 v1, 24, v1
	s_delay_alu instid0(VALU_DEP_2) | instskip(SKIP_1) | instid1(VALU_DEP_3)
	v_lshlrev_b32_e32 v2, 20, v82
	v_lshl_add_u32 v0, v0, 23, 0x3c000000
	v_and_b32_e32 v1, 0x80000000, v1
	s_delay_alu instid0(VALU_DEP_1)
	v_or3_b32 v2, v2, v1, v0
.LBB415_1018:                           ;   in Loop: Header=BB415_13 Depth=1
	s_or_b32 exec_lo, exec_lo, s23
.LBB415_1019:                           ;   in Loop: Header=BB415_13 Depth=1
	s_delay_alu instid0(SALU_CYCLE_1)
	s_or_b32 exec_lo, exec_lo, s22
.LBB415_1020:                           ;   in Loop: Header=BB415_13 Depth=1
	s_delay_alu instid0(SALU_CYCLE_1) | instskip(NEXT) | instid1(VALU_DEP_1)
	s_or_b32 exec_lo, exec_lo, s21
	v_mul_f32_e32 v0, v144, v2
                                        ; implicit-def: $vgpr155
	s_delay_alu instid0(VALU_DEP_1) | instskip(NEXT) | instid1(VALU_DEP_1)
	v_and_b32_e32 v1, 0x7f800000, v0
	v_cmp_ne_u32_e64 s3, 0x7f800000, v1
	s_delay_alu instid0(VALU_DEP_1) | instskip(NEXT) | instid1(SALU_CYCLE_1)
	s_and_saveexec_b32 s21, s3
	s_xor_b32 s3, exec_lo, s21
; %bb.1021:                             ;   in Loop: Header=BB415_13 Depth=1
	v_bfe_u32 v1, v0, 16, 1
	s_delay_alu instid0(VALU_DEP_1)
	v_add3_u32 v155, v0, v1, 0x7fff
                                        ; implicit-def: $vgpr0
; %bb.1022:                             ;   in Loop: Header=BB415_13 Depth=1
	s_and_not1_saveexec_b32 s21, s3
; %bb.1023:                             ;   in Loop: Header=BB415_13 Depth=1
	v_and_b32_e32 v1, 0xffff, v0
	v_or_b32_e32 v2, 0x10000, v0
	s_delay_alu instid0(VALU_DEP_2) | instskip(NEXT) | instid1(VALU_DEP_1)
	v_cmp_eq_u32_e64 s3, 0, v1
	v_cndmask_b32_e64 v155, v2, v0, s3
; %bb.1024:                             ;   in Loop: Header=BB415_13 Depth=1
	s_or_b32 exec_lo, exec_lo, s21
	flat_load_b32 v0, v[80:81] offset:2568
	s_mov_b32 s21, exec_lo
	s_waitcnt vmcnt(0) lgkmcnt(0)
	v_dual_mov_b32 v1, 0 :: v_dual_and_b32 v2, 0xff, v0
	s_delay_alu instid0(VALU_DEP_1)
	v_cmpx_ne_u16_e32 0, v2
	s_cbranch_execz .LBB415_1032
; %bb.1025:                             ;   in Loop: Header=BB415_13 Depth=1
	v_bfrev_b32_e32 v1, 1
	s_mov_b32 s22, exec_lo
	v_cmpx_ne_u16_e32 0x80, v2
	s_cbranch_execz .LBB415_1031
; %bb.1026:                             ;   in Loop: Header=BB415_13 Depth=1
	v_and_b32_e32 v2, 0x7f, v0
	v_mov_b32_e32 v1, 0x7f800001
	s_mov_b32 s23, exec_lo
	s_delay_alu instid0(VALU_DEP_2)
	v_cmpx_ne_u32_e32 0x7f, v2
	s_cbranch_execz .LBB415_1030
; %bb.1027:                             ;   in Loop: Header=BB415_13 Depth=1
	v_and_b32_e32 v28, 7, v0
	v_lshrrev_b32_e32 v1, 3, v2
	v_mov_b32_e32 v83, v29
	s_mov_b32 s24, exec_lo
	s_delay_alu instid0(VALU_DEP_3)
	v_mov_b32_e32 v82, v28
	v_cmpx_gt_u32_e32 8, v2
; %bb.1028:                             ;   in Loop: Header=BB415_13 Depth=1
	v_clz_i32_u32_e32 v1, v28
	s_delay_alu instid0(VALU_DEP_1) | instskip(NEXT) | instid1(VALU_DEP_1)
	v_min_u32_e32 v1, 32, v1
	v_subrev_nc_u32_e32 v2, 28, v1
	v_sub_nc_u32_e32 v1, 29, v1
	s_delay_alu instid0(VALU_DEP_2) | instskip(NEXT) | instid1(VALU_DEP_1)
	v_lshlrev_b64 v[2:3], v2, v[28:29]
	v_and_b32_e32 v82, 7, v2
; %bb.1029:                             ;   in Loop: Header=BB415_13 Depth=1
	s_or_b32 exec_lo, exec_lo, s24
	v_lshlrev_b32_e32 v2, 24, v0
	s_delay_alu instid0(VALU_DEP_2) | instskip(SKIP_1) | instid1(VALU_DEP_3)
	v_lshlrev_b32_e32 v3, 20, v82
	v_lshl_add_u32 v1, v1, 23, 0x3c000000
	v_and_b32_e32 v2, 0x80000000, v2
	s_delay_alu instid0(VALU_DEP_1)
	v_or3_b32 v1, v3, v2, v1
.LBB415_1030:                           ;   in Loop: Header=BB415_13 Depth=1
	s_or_b32 exec_lo, exec_lo, s23
.LBB415_1031:                           ;   in Loop: Header=BB415_13 Depth=1
	s_delay_alu instid0(SALU_CYCLE_1)
	s_or_b32 exec_lo, exec_lo, s22
.LBB415_1032:                           ;   in Loop: Header=BB415_13 Depth=1
	s_delay_alu instid0(SALU_CYCLE_1) | instskip(NEXT) | instid1(VALU_DEP_1)
	s_or_b32 exec_lo, exec_lo, s21
	v_mul_f32_e32 v1, v144, v1
                                        ; implicit-def: $vgpr156
	s_delay_alu instid0(VALU_DEP_1) | instskip(NEXT) | instid1(VALU_DEP_1)
	v_and_b32_e32 v2, 0x7f800000, v1
	v_cmp_ne_u32_e64 s3, 0x7f800000, v2
	s_delay_alu instid0(VALU_DEP_1) | instskip(NEXT) | instid1(SALU_CYCLE_1)
	s_and_saveexec_b32 s21, s3
	s_xor_b32 s3, exec_lo, s21
; %bb.1033:                             ;   in Loop: Header=BB415_13 Depth=1
	v_bfe_u32 v2, v1, 16, 1
	s_delay_alu instid0(VALU_DEP_1)
	v_add3_u32 v156, v1, v2, 0x7fff
                                        ; implicit-def: $vgpr1
; %bb.1034:                             ;   in Loop: Header=BB415_13 Depth=1
	s_and_not1_saveexec_b32 s21, s3
; %bb.1035:                             ;   in Loop: Header=BB415_13 Depth=1
	v_and_b32_e32 v2, 0xffff, v1
	v_or_b32_e32 v3, 0x10000, v1
	s_delay_alu instid0(VALU_DEP_2) | instskip(NEXT) | instid1(VALU_DEP_1)
	v_cmp_eq_u32_e64 s3, 0, v2
	v_cndmask_b32_e64 v156, v3, v1, s3
; %bb.1036:                             ;   in Loop: Header=BB415_13 Depth=1
	s_or_b32 exec_lo, exec_lo, s21
	v_lshrrev_b16 v2, 8, v0
	v_mov_b32_e32 v1, 0
	s_mov_b32 s21, exec_lo
	s_delay_alu instid0(VALU_DEP_2)
	v_cmpx_ne_u16_e32 0, v2
	s_cbranch_execz .LBB415_1044
; %bb.1037:                             ;   in Loop: Header=BB415_13 Depth=1
	v_bfrev_b32_e32 v1, 1
	s_mov_b32 s22, exec_lo
	v_cmpx_ne_u16_e32 0x80, v2
	s_cbranch_execz .LBB415_1043
; %bb.1038:                             ;   in Loop: Header=BB415_13 Depth=1
	v_and_b32_e32 v3, 0xffff, v2
	v_mov_b32_e32 v1, 0x7f800001
	s_mov_b32 s23, exec_lo
	s_delay_alu instid0(VALU_DEP_2) | instskip(NEXT) | instid1(VALU_DEP_1)
	v_and_b32_e32 v2, 0x7f, v3
	v_cmpx_ne_u32_e32 0x7f, v2
	s_cbranch_execz .LBB415_1042
; %bb.1039:                             ;   in Loop: Header=BB415_13 Depth=1
	v_and_b32_e32 v28, 7, v3
	v_lshrrev_b32_e32 v1, 3, v2
	v_mov_b32_e32 v83, v29
	s_mov_b32 s24, exec_lo
	s_delay_alu instid0(VALU_DEP_3)
	v_mov_b32_e32 v82, v28
	v_cmpx_gt_u32_e32 8, v2
; %bb.1040:                             ;   in Loop: Header=BB415_13 Depth=1
	v_clz_i32_u32_e32 v1, v28
	s_delay_alu instid0(VALU_DEP_1) | instskip(NEXT) | instid1(VALU_DEP_1)
	v_min_u32_e32 v1, 32, v1
	v_subrev_nc_u32_e32 v2, 28, v1
	v_sub_nc_u32_e32 v1, 29, v1
	s_delay_alu instid0(VALU_DEP_2) | instskip(NEXT) | instid1(VALU_DEP_1)
	v_lshlrev_b64 v[2:3], v2, v[28:29]
	v_and_b32_e32 v82, 7, v2
; %bb.1041:                             ;   in Loop: Header=BB415_13 Depth=1
	s_or_b32 exec_lo, exec_lo, s24
	v_lshlrev_b32_e32 v2, 16, v0
	s_delay_alu instid0(VALU_DEP_2) | instskip(SKIP_1) | instid1(VALU_DEP_3)
	v_lshlrev_b32_e32 v3, 20, v82
	v_lshl_add_u32 v1, v1, 23, 0x3c000000
	v_and_b32_e32 v2, 0x80000000, v2
	s_delay_alu instid0(VALU_DEP_1)
	v_or3_b32 v1, v3, v2, v1
.LBB415_1042:                           ;   in Loop: Header=BB415_13 Depth=1
	s_or_b32 exec_lo, exec_lo, s23
.LBB415_1043:                           ;   in Loop: Header=BB415_13 Depth=1
	s_delay_alu instid0(SALU_CYCLE_1)
	s_or_b32 exec_lo, exec_lo, s22
.LBB415_1044:                           ;   in Loop: Header=BB415_13 Depth=1
	s_delay_alu instid0(SALU_CYCLE_1) | instskip(NEXT) | instid1(VALU_DEP_1)
	s_or_b32 exec_lo, exec_lo, s21
	v_mul_f32_e32 v1, v144, v1
                                        ; implicit-def: $vgpr157
	s_delay_alu instid0(VALU_DEP_1) | instskip(NEXT) | instid1(VALU_DEP_1)
	v_and_b32_e32 v2, 0x7f800000, v1
	v_cmp_ne_u32_e64 s3, 0x7f800000, v2
	s_delay_alu instid0(VALU_DEP_1) | instskip(NEXT) | instid1(SALU_CYCLE_1)
	s_and_saveexec_b32 s21, s3
	s_xor_b32 s3, exec_lo, s21
; %bb.1045:                             ;   in Loop: Header=BB415_13 Depth=1
	v_bfe_u32 v2, v1, 16, 1
	s_delay_alu instid0(VALU_DEP_1)
	v_add3_u32 v157, v1, v2, 0x7fff
                                        ; implicit-def: $vgpr1
; %bb.1046:                             ;   in Loop: Header=BB415_13 Depth=1
	s_and_not1_saveexec_b32 s21, s3
; %bb.1047:                             ;   in Loop: Header=BB415_13 Depth=1
	v_and_b32_e32 v2, 0xffff, v1
	v_or_b32_e32 v3, 0x10000, v1
	s_delay_alu instid0(VALU_DEP_2) | instskip(NEXT) | instid1(VALU_DEP_1)
	v_cmp_eq_u32_e64 s3, 0, v2
	v_cndmask_b32_e64 v157, v3, v1, s3
; %bb.1048:                             ;   in Loop: Header=BB415_13 Depth=1
	s_or_b32 exec_lo, exec_lo, s21
	v_lshrrev_b32_e32 v1, 16, v0
	s_mov_b32 s21, exec_lo
	s_delay_alu instid0(VALU_DEP_1) | instskip(NEXT) | instid1(VALU_DEP_1)
	v_dual_mov_b32 v2, 0 :: v_dual_and_b32 v3, 0xff, v1
	v_cmpx_ne_u16_e32 0, v3
	s_cbranch_execz .LBB415_1056
; %bb.1049:                             ;   in Loop: Header=BB415_13 Depth=1
	v_bfrev_b32_e32 v2, 1
	s_mov_b32 s22, exec_lo
	v_cmpx_ne_u16_e32 0x80, v3
	s_cbranch_execz .LBB415_1055
; %bb.1050:                             ;   in Loop: Header=BB415_13 Depth=1
	v_bfe_u32 v3, v0, 16, 7
	v_mov_b32_e32 v2, 0x7f800001
	s_mov_b32 s23, exec_lo
	s_delay_alu instid0(VALU_DEP_2)
	v_cmpx_ne_u32_e32 0x7f, v3
	s_cbranch_execz .LBB415_1054
; %bb.1051:                             ;   in Loop: Header=BB415_13 Depth=1
	v_and_b32_e32 v28, 7, v1
	v_lshrrev_b32_e32 v2, 3, v3
	v_mov_b32_e32 v83, v29
	s_mov_b32 s24, exec_lo
	s_delay_alu instid0(VALU_DEP_3)
	v_mov_b32_e32 v82, v28
	v_cmpx_gt_u32_e32 8, v3
; %bb.1052:                             ;   in Loop: Header=BB415_13 Depth=1
	v_clz_i32_u32_e32 v2, v28
	s_delay_alu instid0(VALU_DEP_1) | instskip(NEXT) | instid1(VALU_DEP_1)
	v_min_u32_e32 v2, 32, v2
	v_subrev_nc_u32_e32 v3, 28, v2
	v_sub_nc_u32_e32 v2, 29, v2
	s_delay_alu instid0(VALU_DEP_2) | instskip(NEXT) | instid1(VALU_DEP_1)
	v_lshlrev_b64 v[3:4], v3, v[28:29]
	v_and_b32_e32 v82, 7, v3
; %bb.1053:                             ;   in Loop: Header=BB415_13 Depth=1
	s_or_b32 exec_lo, exec_lo, s24
	v_lshlrev_b32_e32 v1, 24, v1
	s_delay_alu instid0(VALU_DEP_2) | instskip(SKIP_1) | instid1(VALU_DEP_3)
	v_lshlrev_b32_e32 v3, 20, v82
	v_lshl_add_u32 v2, v2, 23, 0x3c000000
	v_and_b32_e32 v1, 0x80000000, v1
	s_delay_alu instid0(VALU_DEP_1)
	v_or3_b32 v2, v3, v1, v2
.LBB415_1054:                           ;   in Loop: Header=BB415_13 Depth=1
	s_or_b32 exec_lo, exec_lo, s23
.LBB415_1055:                           ;   in Loop: Header=BB415_13 Depth=1
	s_delay_alu instid0(SALU_CYCLE_1)
	s_or_b32 exec_lo, exec_lo, s22
.LBB415_1056:                           ;   in Loop: Header=BB415_13 Depth=1
	s_delay_alu instid0(SALU_CYCLE_1) | instskip(NEXT) | instid1(VALU_DEP_1)
	s_or_b32 exec_lo, exec_lo, s21
	v_mul_f32_e32 v1, v144, v2
                                        ; implicit-def: $vgpr158
	s_delay_alu instid0(VALU_DEP_1) | instskip(NEXT) | instid1(VALU_DEP_1)
	v_and_b32_e32 v2, 0x7f800000, v1
	v_cmp_ne_u32_e64 s3, 0x7f800000, v2
	s_delay_alu instid0(VALU_DEP_1) | instskip(NEXT) | instid1(SALU_CYCLE_1)
	s_and_saveexec_b32 s21, s3
	s_xor_b32 s3, exec_lo, s21
; %bb.1057:                             ;   in Loop: Header=BB415_13 Depth=1
	v_bfe_u32 v2, v1, 16, 1
	s_delay_alu instid0(VALU_DEP_1)
	v_add3_u32 v158, v1, v2, 0x7fff
                                        ; implicit-def: $vgpr1
; %bb.1058:                             ;   in Loop: Header=BB415_13 Depth=1
	s_and_not1_saveexec_b32 s21, s3
; %bb.1059:                             ;   in Loop: Header=BB415_13 Depth=1
	v_and_b32_e32 v2, 0xffff, v1
	v_or_b32_e32 v3, 0x10000, v1
	s_delay_alu instid0(VALU_DEP_2) | instskip(NEXT) | instid1(VALU_DEP_1)
	v_cmp_eq_u32_e64 s3, 0, v2
	v_cndmask_b32_e64 v158, v3, v1, s3
; %bb.1060:                             ;   in Loop: Header=BB415_13 Depth=1
	s_or_b32 exec_lo, exec_lo, s21
	v_mov_b32_e32 v2, 0
	s_mov_b32 s21, exec_lo
	v_cmpx_lt_u32_e32 0xffffff, v0
	s_cbranch_execz .LBB415_1068
; %bb.1061:                             ;   in Loop: Header=BB415_13 Depth=1
	v_lshrrev_b32_e32 v1, 24, v0
	v_bfrev_b32_e32 v2, 1
	s_mov_b32 s22, exec_lo
	s_delay_alu instid0(VALU_DEP_2)
	v_cmpx_ne_u32_e32 0x80, v1
	s_cbranch_execz .LBB415_1067
; %bb.1062:                             ;   in Loop: Header=BB415_13 Depth=1
	v_bfe_u32 v3, v0, 24, 7
	v_mov_b32_e32 v2, 0x7f800001
	s_mov_b32 s23, exec_lo
	s_delay_alu instid0(VALU_DEP_2)
	v_cmpx_ne_u32_e32 0x7f, v3
	s_cbranch_execz .LBB415_1066
; %bb.1063:                             ;   in Loop: Header=BB415_13 Depth=1
	v_and_b32_e32 v28, 7, v1
	v_lshrrev_b32_e32 v0, 3, v3
	v_mov_b32_e32 v83, v29
	s_mov_b32 s24, exec_lo
	s_delay_alu instid0(VALU_DEP_3)
	v_mov_b32_e32 v82, v28
	v_cmpx_gt_u32_e32 8, v3
; %bb.1064:                             ;   in Loop: Header=BB415_13 Depth=1
	v_clz_i32_u32_e32 v0, v28
	s_delay_alu instid0(VALU_DEP_1) | instskip(NEXT) | instid1(VALU_DEP_1)
	v_min_u32_e32 v0, 32, v0
	v_subrev_nc_u32_e32 v2, 28, v0
	v_sub_nc_u32_e32 v0, 29, v0
	s_delay_alu instid0(VALU_DEP_2) | instskip(NEXT) | instid1(VALU_DEP_1)
	v_lshlrev_b64 v[2:3], v2, v[28:29]
	v_and_b32_e32 v82, 7, v2
; %bb.1065:                             ;   in Loop: Header=BB415_13 Depth=1
	s_or_b32 exec_lo, exec_lo, s24
	v_lshlrev_b32_e32 v1, 24, v1
	s_delay_alu instid0(VALU_DEP_2) | instskip(SKIP_1) | instid1(VALU_DEP_3)
	v_lshlrev_b32_e32 v2, 20, v82
	v_lshl_add_u32 v0, v0, 23, 0x3c000000
	v_and_b32_e32 v1, 0x80000000, v1
	s_delay_alu instid0(VALU_DEP_1)
	v_or3_b32 v2, v2, v1, v0
.LBB415_1066:                           ;   in Loop: Header=BB415_13 Depth=1
	s_or_b32 exec_lo, exec_lo, s23
.LBB415_1067:                           ;   in Loop: Header=BB415_13 Depth=1
	s_delay_alu instid0(SALU_CYCLE_1)
	s_or_b32 exec_lo, exec_lo, s22
.LBB415_1068:                           ;   in Loop: Header=BB415_13 Depth=1
	s_delay_alu instid0(SALU_CYCLE_1) | instskip(NEXT) | instid1(VALU_DEP_1)
	s_or_b32 exec_lo, exec_lo, s21
	v_mul_f32_e32 v0, v144, v2
                                        ; implicit-def: $vgpr159
	s_delay_alu instid0(VALU_DEP_1) | instskip(NEXT) | instid1(VALU_DEP_1)
	v_and_b32_e32 v1, 0x7f800000, v0
	v_cmp_ne_u32_e64 s3, 0x7f800000, v1
	s_delay_alu instid0(VALU_DEP_1) | instskip(NEXT) | instid1(SALU_CYCLE_1)
	s_and_saveexec_b32 s21, s3
	s_xor_b32 s3, exec_lo, s21
; %bb.1069:                             ;   in Loop: Header=BB415_13 Depth=1
	v_bfe_u32 v1, v0, 16, 1
	s_delay_alu instid0(VALU_DEP_1)
	v_add3_u32 v159, v0, v1, 0x7fff
                                        ; implicit-def: $vgpr0
; %bb.1070:                             ;   in Loop: Header=BB415_13 Depth=1
	s_and_not1_saveexec_b32 s21, s3
; %bb.1071:                             ;   in Loop: Header=BB415_13 Depth=1
	v_and_b32_e32 v1, 0xffff, v0
	v_or_b32_e32 v2, 0x10000, v0
	s_delay_alu instid0(VALU_DEP_2) | instskip(NEXT) | instid1(VALU_DEP_1)
	v_cmp_eq_u32_e64 s3, 0, v1
	v_cndmask_b32_e64 v159, v2, v0, s3
; %bb.1072:                             ;   in Loop: Header=BB415_13 Depth=1
	s_or_b32 exec_lo, exec_lo, s21
	flat_load_b32 v0, v[80:81] offset:2816
	s_mov_b32 s21, exec_lo
	s_waitcnt vmcnt(0) lgkmcnt(0)
	v_dual_mov_b32 v1, 0 :: v_dual_and_b32 v2, 0xff, v0
	s_delay_alu instid0(VALU_DEP_1)
	v_cmpx_ne_u16_e32 0, v2
	s_cbranch_execz .LBB415_1080
; %bb.1073:                             ;   in Loop: Header=BB415_13 Depth=1
	v_bfrev_b32_e32 v1, 1
	s_mov_b32 s22, exec_lo
	v_cmpx_ne_u16_e32 0x80, v2
	s_cbranch_execz .LBB415_1079
; %bb.1074:                             ;   in Loop: Header=BB415_13 Depth=1
	v_and_b32_e32 v2, 0x7f, v0
	v_mov_b32_e32 v1, 0x7f800001
	s_mov_b32 s23, exec_lo
	s_delay_alu instid0(VALU_DEP_2)
	v_cmpx_ne_u32_e32 0x7f, v2
	s_cbranch_execz .LBB415_1078
; %bb.1075:                             ;   in Loop: Header=BB415_13 Depth=1
	v_and_b32_e32 v28, 7, v0
	v_lshrrev_b32_e32 v1, 3, v2
	v_mov_b32_e32 v83, v29
	s_mov_b32 s24, exec_lo
	s_delay_alu instid0(VALU_DEP_3)
	v_mov_b32_e32 v82, v28
	v_cmpx_gt_u32_e32 8, v2
; %bb.1076:                             ;   in Loop: Header=BB415_13 Depth=1
	v_clz_i32_u32_e32 v1, v28
	s_delay_alu instid0(VALU_DEP_1) | instskip(NEXT) | instid1(VALU_DEP_1)
	v_min_u32_e32 v1, 32, v1
	v_subrev_nc_u32_e32 v2, 28, v1
	v_sub_nc_u32_e32 v1, 29, v1
	s_delay_alu instid0(VALU_DEP_2) | instskip(NEXT) | instid1(VALU_DEP_1)
	v_lshlrev_b64 v[2:3], v2, v[28:29]
	v_and_b32_e32 v82, 7, v2
; %bb.1077:                             ;   in Loop: Header=BB415_13 Depth=1
	s_or_b32 exec_lo, exec_lo, s24
	v_lshlrev_b32_e32 v2, 24, v0
	s_delay_alu instid0(VALU_DEP_2) | instskip(SKIP_1) | instid1(VALU_DEP_3)
	v_lshlrev_b32_e32 v3, 20, v82
	v_lshl_add_u32 v1, v1, 23, 0x3c000000
	v_and_b32_e32 v2, 0x80000000, v2
	s_delay_alu instid0(VALU_DEP_1)
	v_or3_b32 v1, v3, v2, v1
.LBB415_1078:                           ;   in Loop: Header=BB415_13 Depth=1
	s_or_b32 exec_lo, exec_lo, s23
.LBB415_1079:                           ;   in Loop: Header=BB415_13 Depth=1
	s_delay_alu instid0(SALU_CYCLE_1)
	s_or_b32 exec_lo, exec_lo, s22
.LBB415_1080:                           ;   in Loop: Header=BB415_13 Depth=1
	s_delay_alu instid0(SALU_CYCLE_1) | instskip(NEXT) | instid1(VALU_DEP_1)
	s_or_b32 exec_lo, exec_lo, s21
	v_mul_f32_e32 v1, v144, v1
                                        ; implicit-def: $vgpr168
	s_delay_alu instid0(VALU_DEP_1) | instskip(NEXT) | instid1(VALU_DEP_1)
	v_and_b32_e32 v2, 0x7f800000, v1
	v_cmp_ne_u32_e64 s3, 0x7f800000, v2
	s_delay_alu instid0(VALU_DEP_1) | instskip(NEXT) | instid1(SALU_CYCLE_1)
	s_and_saveexec_b32 s21, s3
	s_xor_b32 s3, exec_lo, s21
; %bb.1081:                             ;   in Loop: Header=BB415_13 Depth=1
	v_bfe_u32 v2, v1, 16, 1
	s_delay_alu instid0(VALU_DEP_1)
	v_add3_u32 v168, v1, v2, 0x7fff
                                        ; implicit-def: $vgpr1
; %bb.1082:                             ;   in Loop: Header=BB415_13 Depth=1
	s_and_not1_saveexec_b32 s21, s3
; %bb.1083:                             ;   in Loop: Header=BB415_13 Depth=1
	v_and_b32_e32 v2, 0xffff, v1
	v_or_b32_e32 v3, 0x10000, v1
	s_delay_alu instid0(VALU_DEP_2) | instskip(NEXT) | instid1(VALU_DEP_1)
	v_cmp_eq_u32_e64 s3, 0, v2
	v_cndmask_b32_e64 v168, v3, v1, s3
; %bb.1084:                             ;   in Loop: Header=BB415_13 Depth=1
	s_or_b32 exec_lo, exec_lo, s21
	v_lshrrev_b16 v2, 8, v0
	v_mov_b32_e32 v1, 0
	s_mov_b32 s21, exec_lo
	s_delay_alu instid0(VALU_DEP_2)
	v_cmpx_ne_u16_e32 0, v2
	s_cbranch_execz .LBB415_1092
; %bb.1085:                             ;   in Loop: Header=BB415_13 Depth=1
	v_bfrev_b32_e32 v1, 1
	s_mov_b32 s22, exec_lo
	v_cmpx_ne_u16_e32 0x80, v2
	s_cbranch_execz .LBB415_1091
; %bb.1086:                             ;   in Loop: Header=BB415_13 Depth=1
	v_and_b32_e32 v3, 0xffff, v2
	v_mov_b32_e32 v1, 0x7f800001
	s_mov_b32 s23, exec_lo
	s_delay_alu instid0(VALU_DEP_2) | instskip(NEXT) | instid1(VALU_DEP_1)
	v_and_b32_e32 v2, 0x7f, v3
	v_cmpx_ne_u32_e32 0x7f, v2
	s_cbranch_execz .LBB415_1090
; %bb.1087:                             ;   in Loop: Header=BB415_13 Depth=1
	v_and_b32_e32 v28, 7, v3
	v_lshrrev_b32_e32 v1, 3, v2
	v_mov_b32_e32 v83, v29
	s_mov_b32 s24, exec_lo
	s_delay_alu instid0(VALU_DEP_3)
	v_mov_b32_e32 v82, v28
	v_cmpx_gt_u32_e32 8, v2
; %bb.1088:                             ;   in Loop: Header=BB415_13 Depth=1
	v_clz_i32_u32_e32 v1, v28
	s_delay_alu instid0(VALU_DEP_1) | instskip(NEXT) | instid1(VALU_DEP_1)
	v_min_u32_e32 v1, 32, v1
	v_subrev_nc_u32_e32 v2, 28, v1
	v_sub_nc_u32_e32 v1, 29, v1
	s_delay_alu instid0(VALU_DEP_2) | instskip(NEXT) | instid1(VALU_DEP_1)
	v_lshlrev_b64 v[2:3], v2, v[28:29]
	v_and_b32_e32 v82, 7, v2
; %bb.1089:                             ;   in Loop: Header=BB415_13 Depth=1
	s_or_b32 exec_lo, exec_lo, s24
	v_lshlrev_b32_e32 v2, 16, v0
	s_delay_alu instid0(VALU_DEP_2) | instskip(SKIP_1) | instid1(VALU_DEP_3)
	v_lshlrev_b32_e32 v3, 20, v82
	v_lshl_add_u32 v1, v1, 23, 0x3c000000
	v_and_b32_e32 v2, 0x80000000, v2
	s_delay_alu instid0(VALU_DEP_1)
	v_or3_b32 v1, v3, v2, v1
.LBB415_1090:                           ;   in Loop: Header=BB415_13 Depth=1
	s_or_b32 exec_lo, exec_lo, s23
.LBB415_1091:                           ;   in Loop: Header=BB415_13 Depth=1
	s_delay_alu instid0(SALU_CYCLE_1)
	s_or_b32 exec_lo, exec_lo, s22
.LBB415_1092:                           ;   in Loop: Header=BB415_13 Depth=1
	s_delay_alu instid0(SALU_CYCLE_1) | instskip(NEXT) | instid1(VALU_DEP_1)
	s_or_b32 exec_lo, exec_lo, s21
	v_mul_f32_e32 v1, v144, v1
                                        ; implicit-def: $vgpr169
	s_delay_alu instid0(VALU_DEP_1) | instskip(NEXT) | instid1(VALU_DEP_1)
	v_and_b32_e32 v2, 0x7f800000, v1
	v_cmp_ne_u32_e64 s3, 0x7f800000, v2
	s_delay_alu instid0(VALU_DEP_1) | instskip(NEXT) | instid1(SALU_CYCLE_1)
	s_and_saveexec_b32 s21, s3
	s_xor_b32 s3, exec_lo, s21
; %bb.1093:                             ;   in Loop: Header=BB415_13 Depth=1
	v_bfe_u32 v2, v1, 16, 1
	s_delay_alu instid0(VALU_DEP_1)
	v_add3_u32 v169, v1, v2, 0x7fff
                                        ; implicit-def: $vgpr1
; %bb.1094:                             ;   in Loop: Header=BB415_13 Depth=1
	s_and_not1_saveexec_b32 s21, s3
; %bb.1095:                             ;   in Loop: Header=BB415_13 Depth=1
	v_and_b32_e32 v2, 0xffff, v1
	v_or_b32_e32 v3, 0x10000, v1
	s_delay_alu instid0(VALU_DEP_2) | instskip(NEXT) | instid1(VALU_DEP_1)
	v_cmp_eq_u32_e64 s3, 0, v2
	v_cndmask_b32_e64 v169, v3, v1, s3
; %bb.1096:                             ;   in Loop: Header=BB415_13 Depth=1
	s_or_b32 exec_lo, exec_lo, s21
	v_lshrrev_b32_e32 v1, 16, v0
	s_mov_b32 s21, exec_lo
	s_delay_alu instid0(VALU_DEP_1) | instskip(NEXT) | instid1(VALU_DEP_1)
	v_dual_mov_b32 v2, 0 :: v_dual_and_b32 v3, 0xff, v1
	v_cmpx_ne_u16_e32 0, v3
	s_cbranch_execz .LBB415_1104
; %bb.1097:                             ;   in Loop: Header=BB415_13 Depth=1
	v_bfrev_b32_e32 v2, 1
	s_mov_b32 s22, exec_lo
	v_cmpx_ne_u16_e32 0x80, v3
	s_cbranch_execz .LBB415_1103
; %bb.1098:                             ;   in Loop: Header=BB415_13 Depth=1
	v_bfe_u32 v3, v0, 16, 7
	v_mov_b32_e32 v2, 0x7f800001
	s_mov_b32 s23, exec_lo
	s_delay_alu instid0(VALU_DEP_2)
	v_cmpx_ne_u32_e32 0x7f, v3
	s_cbranch_execz .LBB415_1102
; %bb.1099:                             ;   in Loop: Header=BB415_13 Depth=1
	v_and_b32_e32 v28, 7, v1
	v_lshrrev_b32_e32 v2, 3, v3
	v_mov_b32_e32 v83, v29
	s_mov_b32 s24, exec_lo
	s_delay_alu instid0(VALU_DEP_3)
	v_mov_b32_e32 v82, v28
	v_cmpx_gt_u32_e32 8, v3
; %bb.1100:                             ;   in Loop: Header=BB415_13 Depth=1
	v_clz_i32_u32_e32 v2, v28
	s_delay_alu instid0(VALU_DEP_1) | instskip(NEXT) | instid1(VALU_DEP_1)
	v_min_u32_e32 v2, 32, v2
	v_subrev_nc_u32_e32 v3, 28, v2
	v_sub_nc_u32_e32 v2, 29, v2
	s_delay_alu instid0(VALU_DEP_2) | instskip(NEXT) | instid1(VALU_DEP_1)
	v_lshlrev_b64 v[3:4], v3, v[28:29]
	v_and_b32_e32 v82, 7, v3
; %bb.1101:                             ;   in Loop: Header=BB415_13 Depth=1
	s_or_b32 exec_lo, exec_lo, s24
	v_lshlrev_b32_e32 v1, 24, v1
	s_delay_alu instid0(VALU_DEP_2) | instskip(SKIP_1) | instid1(VALU_DEP_3)
	v_lshlrev_b32_e32 v3, 20, v82
	v_lshl_add_u32 v2, v2, 23, 0x3c000000
	v_and_b32_e32 v1, 0x80000000, v1
	s_delay_alu instid0(VALU_DEP_1)
	v_or3_b32 v2, v3, v1, v2
.LBB415_1102:                           ;   in Loop: Header=BB415_13 Depth=1
	s_or_b32 exec_lo, exec_lo, s23
.LBB415_1103:                           ;   in Loop: Header=BB415_13 Depth=1
	s_delay_alu instid0(SALU_CYCLE_1)
	s_or_b32 exec_lo, exec_lo, s22
.LBB415_1104:                           ;   in Loop: Header=BB415_13 Depth=1
	s_delay_alu instid0(SALU_CYCLE_1) | instskip(NEXT) | instid1(VALU_DEP_1)
	s_or_b32 exec_lo, exec_lo, s21
	v_mul_f32_e32 v1, v144, v2
                                        ; implicit-def: $vgpr170
	s_delay_alu instid0(VALU_DEP_1) | instskip(NEXT) | instid1(VALU_DEP_1)
	v_and_b32_e32 v2, 0x7f800000, v1
	v_cmp_ne_u32_e64 s3, 0x7f800000, v2
	s_delay_alu instid0(VALU_DEP_1) | instskip(NEXT) | instid1(SALU_CYCLE_1)
	s_and_saveexec_b32 s21, s3
	s_xor_b32 s3, exec_lo, s21
; %bb.1105:                             ;   in Loop: Header=BB415_13 Depth=1
	v_bfe_u32 v2, v1, 16, 1
	s_delay_alu instid0(VALU_DEP_1)
	v_add3_u32 v170, v1, v2, 0x7fff
                                        ; implicit-def: $vgpr1
; %bb.1106:                             ;   in Loop: Header=BB415_13 Depth=1
	s_and_not1_saveexec_b32 s21, s3
; %bb.1107:                             ;   in Loop: Header=BB415_13 Depth=1
	v_and_b32_e32 v2, 0xffff, v1
	v_or_b32_e32 v3, 0x10000, v1
	s_delay_alu instid0(VALU_DEP_2) | instskip(NEXT) | instid1(VALU_DEP_1)
	v_cmp_eq_u32_e64 s3, 0, v2
	v_cndmask_b32_e64 v170, v3, v1, s3
; %bb.1108:                             ;   in Loop: Header=BB415_13 Depth=1
	s_or_b32 exec_lo, exec_lo, s21
	v_mov_b32_e32 v2, 0
	s_mov_b32 s21, exec_lo
	v_cmpx_lt_u32_e32 0xffffff, v0
	s_cbranch_execz .LBB415_1116
; %bb.1109:                             ;   in Loop: Header=BB415_13 Depth=1
	v_lshrrev_b32_e32 v1, 24, v0
	v_bfrev_b32_e32 v2, 1
	s_mov_b32 s22, exec_lo
	s_delay_alu instid0(VALU_DEP_2)
	v_cmpx_ne_u32_e32 0x80, v1
	s_cbranch_execz .LBB415_1115
; %bb.1110:                             ;   in Loop: Header=BB415_13 Depth=1
	v_bfe_u32 v3, v0, 24, 7
	v_mov_b32_e32 v2, 0x7f800001
	s_mov_b32 s23, exec_lo
	s_delay_alu instid0(VALU_DEP_2)
	v_cmpx_ne_u32_e32 0x7f, v3
	s_cbranch_execz .LBB415_1114
; %bb.1111:                             ;   in Loop: Header=BB415_13 Depth=1
	v_and_b32_e32 v28, 7, v1
	v_lshrrev_b32_e32 v0, 3, v3
	v_mov_b32_e32 v83, v29
	s_mov_b32 s24, exec_lo
	s_delay_alu instid0(VALU_DEP_3)
	v_mov_b32_e32 v82, v28
	v_cmpx_gt_u32_e32 8, v3
; %bb.1112:                             ;   in Loop: Header=BB415_13 Depth=1
	v_clz_i32_u32_e32 v0, v28
	s_delay_alu instid0(VALU_DEP_1) | instskip(NEXT) | instid1(VALU_DEP_1)
	v_min_u32_e32 v0, 32, v0
	v_subrev_nc_u32_e32 v2, 28, v0
	v_sub_nc_u32_e32 v0, 29, v0
	s_delay_alu instid0(VALU_DEP_2) | instskip(NEXT) | instid1(VALU_DEP_1)
	v_lshlrev_b64 v[2:3], v2, v[28:29]
	v_and_b32_e32 v82, 7, v2
; %bb.1113:                             ;   in Loop: Header=BB415_13 Depth=1
	s_or_b32 exec_lo, exec_lo, s24
	v_lshlrev_b32_e32 v1, 24, v1
	s_delay_alu instid0(VALU_DEP_2) | instskip(SKIP_1) | instid1(VALU_DEP_3)
	v_lshlrev_b32_e32 v2, 20, v82
	v_lshl_add_u32 v0, v0, 23, 0x3c000000
	v_and_b32_e32 v1, 0x80000000, v1
	s_delay_alu instid0(VALU_DEP_1)
	v_or3_b32 v2, v2, v1, v0
.LBB415_1114:                           ;   in Loop: Header=BB415_13 Depth=1
	s_or_b32 exec_lo, exec_lo, s23
.LBB415_1115:                           ;   in Loop: Header=BB415_13 Depth=1
	s_delay_alu instid0(SALU_CYCLE_1)
	s_or_b32 exec_lo, exec_lo, s22
.LBB415_1116:                           ;   in Loop: Header=BB415_13 Depth=1
	s_delay_alu instid0(SALU_CYCLE_1) | instskip(NEXT) | instid1(VALU_DEP_1)
	s_or_b32 exec_lo, exec_lo, s21
	v_mul_f32_e32 v0, v144, v2
                                        ; implicit-def: $vgpr171
	s_delay_alu instid0(VALU_DEP_1) | instskip(NEXT) | instid1(VALU_DEP_1)
	v_and_b32_e32 v1, 0x7f800000, v0
	v_cmp_ne_u32_e64 s3, 0x7f800000, v1
	s_delay_alu instid0(VALU_DEP_1) | instskip(NEXT) | instid1(SALU_CYCLE_1)
	s_and_saveexec_b32 s21, s3
	s_xor_b32 s3, exec_lo, s21
; %bb.1117:                             ;   in Loop: Header=BB415_13 Depth=1
	v_bfe_u32 v1, v0, 16, 1
	s_delay_alu instid0(VALU_DEP_1)
	v_add3_u32 v171, v0, v1, 0x7fff
                                        ; implicit-def: $vgpr0
; %bb.1118:                             ;   in Loop: Header=BB415_13 Depth=1
	s_and_not1_saveexec_b32 s21, s3
; %bb.1119:                             ;   in Loop: Header=BB415_13 Depth=1
	v_and_b32_e32 v1, 0xffff, v0
	v_or_b32_e32 v2, 0x10000, v0
	s_delay_alu instid0(VALU_DEP_2) | instskip(NEXT) | instid1(VALU_DEP_1)
	v_cmp_eq_u32_e64 s3, 0, v1
	v_cndmask_b32_e64 v171, v2, v0, s3
; %bb.1120:                             ;   in Loop: Header=BB415_13 Depth=1
	s_or_b32 exec_lo, exec_lo, s21
	flat_load_b32 v0, v[80:81] offset:2824
	s_mov_b32 s21, exec_lo
	s_waitcnt vmcnt(0) lgkmcnt(0)
	v_dual_mov_b32 v1, 0 :: v_dual_and_b32 v2, 0xff, v0
	s_delay_alu instid0(VALU_DEP_1)
	v_cmpx_ne_u16_e32 0, v2
	s_cbranch_execz .LBB415_1128
; %bb.1121:                             ;   in Loop: Header=BB415_13 Depth=1
	v_bfrev_b32_e32 v1, 1
	s_mov_b32 s22, exec_lo
	v_cmpx_ne_u16_e32 0x80, v2
	s_cbranch_execz .LBB415_1127
; %bb.1122:                             ;   in Loop: Header=BB415_13 Depth=1
	v_and_b32_e32 v2, 0x7f, v0
	v_mov_b32_e32 v1, 0x7f800001
	s_mov_b32 s23, exec_lo
	s_delay_alu instid0(VALU_DEP_2)
	v_cmpx_ne_u32_e32 0x7f, v2
	s_cbranch_execz .LBB415_1126
; %bb.1123:                             ;   in Loop: Header=BB415_13 Depth=1
	v_and_b32_e32 v28, 7, v0
	v_lshrrev_b32_e32 v1, 3, v2
	v_mov_b32_e32 v83, v29
	s_mov_b32 s24, exec_lo
	s_delay_alu instid0(VALU_DEP_3)
	v_mov_b32_e32 v82, v28
	v_cmpx_gt_u32_e32 8, v2
; %bb.1124:                             ;   in Loop: Header=BB415_13 Depth=1
	v_clz_i32_u32_e32 v1, v28
	s_delay_alu instid0(VALU_DEP_1) | instskip(NEXT) | instid1(VALU_DEP_1)
	v_min_u32_e32 v1, 32, v1
	v_subrev_nc_u32_e32 v2, 28, v1
	v_sub_nc_u32_e32 v1, 29, v1
	s_delay_alu instid0(VALU_DEP_2) | instskip(NEXT) | instid1(VALU_DEP_1)
	v_lshlrev_b64 v[2:3], v2, v[28:29]
	v_and_b32_e32 v82, 7, v2
; %bb.1125:                             ;   in Loop: Header=BB415_13 Depth=1
	s_or_b32 exec_lo, exec_lo, s24
	v_lshlrev_b32_e32 v2, 24, v0
	s_delay_alu instid0(VALU_DEP_2) | instskip(SKIP_1) | instid1(VALU_DEP_3)
	v_lshlrev_b32_e32 v3, 20, v82
	v_lshl_add_u32 v1, v1, 23, 0x3c000000
	v_and_b32_e32 v2, 0x80000000, v2
	s_delay_alu instid0(VALU_DEP_1)
	v_or3_b32 v1, v3, v2, v1
.LBB415_1126:                           ;   in Loop: Header=BB415_13 Depth=1
	s_or_b32 exec_lo, exec_lo, s23
.LBB415_1127:                           ;   in Loop: Header=BB415_13 Depth=1
	s_delay_alu instid0(SALU_CYCLE_1)
	s_or_b32 exec_lo, exec_lo, s22
.LBB415_1128:                           ;   in Loop: Header=BB415_13 Depth=1
	s_delay_alu instid0(SALU_CYCLE_1) | instskip(NEXT) | instid1(VALU_DEP_1)
	s_or_b32 exec_lo, exec_lo, s21
	v_mul_f32_e32 v1, v144, v1
                                        ; implicit-def: $vgpr172
	s_delay_alu instid0(VALU_DEP_1) | instskip(NEXT) | instid1(VALU_DEP_1)
	v_and_b32_e32 v2, 0x7f800000, v1
	v_cmp_ne_u32_e64 s3, 0x7f800000, v2
	s_delay_alu instid0(VALU_DEP_1) | instskip(NEXT) | instid1(SALU_CYCLE_1)
	s_and_saveexec_b32 s21, s3
	s_xor_b32 s3, exec_lo, s21
; %bb.1129:                             ;   in Loop: Header=BB415_13 Depth=1
	v_bfe_u32 v2, v1, 16, 1
	s_delay_alu instid0(VALU_DEP_1)
	v_add3_u32 v172, v1, v2, 0x7fff
                                        ; implicit-def: $vgpr1
; %bb.1130:                             ;   in Loop: Header=BB415_13 Depth=1
	s_and_not1_saveexec_b32 s21, s3
; %bb.1131:                             ;   in Loop: Header=BB415_13 Depth=1
	v_and_b32_e32 v2, 0xffff, v1
	v_or_b32_e32 v3, 0x10000, v1
	s_delay_alu instid0(VALU_DEP_2) | instskip(NEXT) | instid1(VALU_DEP_1)
	v_cmp_eq_u32_e64 s3, 0, v2
	v_cndmask_b32_e64 v172, v3, v1, s3
; %bb.1132:                             ;   in Loop: Header=BB415_13 Depth=1
	s_or_b32 exec_lo, exec_lo, s21
	v_lshrrev_b16 v2, 8, v0
	v_mov_b32_e32 v1, 0
	s_mov_b32 s21, exec_lo
	s_delay_alu instid0(VALU_DEP_2)
	v_cmpx_ne_u16_e32 0, v2
	s_cbranch_execz .LBB415_1140
; %bb.1133:                             ;   in Loop: Header=BB415_13 Depth=1
	v_bfrev_b32_e32 v1, 1
	s_mov_b32 s22, exec_lo
	v_cmpx_ne_u16_e32 0x80, v2
	s_cbranch_execz .LBB415_1139
; %bb.1134:                             ;   in Loop: Header=BB415_13 Depth=1
	v_and_b32_e32 v3, 0xffff, v2
	v_mov_b32_e32 v1, 0x7f800001
	s_mov_b32 s23, exec_lo
	s_delay_alu instid0(VALU_DEP_2) | instskip(NEXT) | instid1(VALU_DEP_1)
	v_and_b32_e32 v2, 0x7f, v3
	v_cmpx_ne_u32_e32 0x7f, v2
	s_cbranch_execz .LBB415_1138
; %bb.1135:                             ;   in Loop: Header=BB415_13 Depth=1
	v_and_b32_e32 v28, 7, v3
	v_lshrrev_b32_e32 v1, 3, v2
	v_mov_b32_e32 v83, v29
	s_mov_b32 s24, exec_lo
	s_delay_alu instid0(VALU_DEP_3)
	v_mov_b32_e32 v82, v28
	v_cmpx_gt_u32_e32 8, v2
; %bb.1136:                             ;   in Loop: Header=BB415_13 Depth=1
	v_clz_i32_u32_e32 v1, v28
	s_delay_alu instid0(VALU_DEP_1) | instskip(NEXT) | instid1(VALU_DEP_1)
	v_min_u32_e32 v1, 32, v1
	v_subrev_nc_u32_e32 v2, 28, v1
	v_sub_nc_u32_e32 v1, 29, v1
	s_delay_alu instid0(VALU_DEP_2) | instskip(NEXT) | instid1(VALU_DEP_1)
	v_lshlrev_b64 v[2:3], v2, v[28:29]
	v_and_b32_e32 v82, 7, v2
; %bb.1137:                             ;   in Loop: Header=BB415_13 Depth=1
	s_or_b32 exec_lo, exec_lo, s24
	v_lshlrev_b32_e32 v2, 16, v0
	s_delay_alu instid0(VALU_DEP_2) | instskip(SKIP_1) | instid1(VALU_DEP_3)
	v_lshlrev_b32_e32 v3, 20, v82
	v_lshl_add_u32 v1, v1, 23, 0x3c000000
	v_and_b32_e32 v2, 0x80000000, v2
	s_delay_alu instid0(VALU_DEP_1)
	v_or3_b32 v1, v3, v2, v1
.LBB415_1138:                           ;   in Loop: Header=BB415_13 Depth=1
	s_or_b32 exec_lo, exec_lo, s23
.LBB415_1139:                           ;   in Loop: Header=BB415_13 Depth=1
	s_delay_alu instid0(SALU_CYCLE_1)
	s_or_b32 exec_lo, exec_lo, s22
.LBB415_1140:                           ;   in Loop: Header=BB415_13 Depth=1
	s_delay_alu instid0(SALU_CYCLE_1) | instskip(NEXT) | instid1(VALU_DEP_1)
	s_or_b32 exec_lo, exec_lo, s21
	v_mul_f32_e32 v1, v144, v1
                                        ; implicit-def: $vgpr173
	s_delay_alu instid0(VALU_DEP_1) | instskip(NEXT) | instid1(VALU_DEP_1)
	v_and_b32_e32 v2, 0x7f800000, v1
	v_cmp_ne_u32_e64 s3, 0x7f800000, v2
	s_delay_alu instid0(VALU_DEP_1) | instskip(NEXT) | instid1(SALU_CYCLE_1)
	s_and_saveexec_b32 s21, s3
	s_xor_b32 s3, exec_lo, s21
; %bb.1141:                             ;   in Loop: Header=BB415_13 Depth=1
	v_bfe_u32 v2, v1, 16, 1
	s_delay_alu instid0(VALU_DEP_1)
	v_add3_u32 v173, v1, v2, 0x7fff
                                        ; implicit-def: $vgpr1
; %bb.1142:                             ;   in Loop: Header=BB415_13 Depth=1
	s_and_not1_saveexec_b32 s21, s3
; %bb.1143:                             ;   in Loop: Header=BB415_13 Depth=1
	v_and_b32_e32 v2, 0xffff, v1
	v_or_b32_e32 v3, 0x10000, v1
	s_delay_alu instid0(VALU_DEP_2) | instskip(NEXT) | instid1(VALU_DEP_1)
	v_cmp_eq_u32_e64 s3, 0, v2
	v_cndmask_b32_e64 v173, v3, v1, s3
; %bb.1144:                             ;   in Loop: Header=BB415_13 Depth=1
	s_or_b32 exec_lo, exec_lo, s21
	v_lshrrev_b32_e32 v1, 16, v0
	s_mov_b32 s21, exec_lo
	s_delay_alu instid0(VALU_DEP_1) | instskip(NEXT) | instid1(VALU_DEP_1)
	v_dual_mov_b32 v2, 0 :: v_dual_and_b32 v3, 0xff, v1
	v_cmpx_ne_u16_e32 0, v3
	s_cbranch_execz .LBB415_1152
; %bb.1145:                             ;   in Loop: Header=BB415_13 Depth=1
	v_bfrev_b32_e32 v2, 1
	s_mov_b32 s22, exec_lo
	v_cmpx_ne_u16_e32 0x80, v3
	s_cbranch_execz .LBB415_1151
; %bb.1146:                             ;   in Loop: Header=BB415_13 Depth=1
	v_bfe_u32 v3, v0, 16, 7
	v_mov_b32_e32 v2, 0x7f800001
	s_mov_b32 s23, exec_lo
	s_delay_alu instid0(VALU_DEP_2)
	v_cmpx_ne_u32_e32 0x7f, v3
	s_cbranch_execz .LBB415_1150
; %bb.1147:                             ;   in Loop: Header=BB415_13 Depth=1
	v_and_b32_e32 v28, 7, v1
	v_lshrrev_b32_e32 v2, 3, v3
	v_mov_b32_e32 v83, v29
	s_mov_b32 s24, exec_lo
	s_delay_alu instid0(VALU_DEP_3)
	v_mov_b32_e32 v82, v28
	v_cmpx_gt_u32_e32 8, v3
; %bb.1148:                             ;   in Loop: Header=BB415_13 Depth=1
	v_clz_i32_u32_e32 v2, v28
	s_delay_alu instid0(VALU_DEP_1) | instskip(NEXT) | instid1(VALU_DEP_1)
	v_min_u32_e32 v2, 32, v2
	v_subrev_nc_u32_e32 v3, 28, v2
	v_sub_nc_u32_e32 v2, 29, v2
	s_delay_alu instid0(VALU_DEP_2) | instskip(NEXT) | instid1(VALU_DEP_1)
	v_lshlrev_b64 v[3:4], v3, v[28:29]
	v_and_b32_e32 v82, 7, v3
; %bb.1149:                             ;   in Loop: Header=BB415_13 Depth=1
	s_or_b32 exec_lo, exec_lo, s24
	v_lshlrev_b32_e32 v1, 24, v1
	s_delay_alu instid0(VALU_DEP_2) | instskip(SKIP_1) | instid1(VALU_DEP_3)
	v_lshlrev_b32_e32 v3, 20, v82
	v_lshl_add_u32 v2, v2, 23, 0x3c000000
	v_and_b32_e32 v1, 0x80000000, v1
	s_delay_alu instid0(VALU_DEP_1)
	v_or3_b32 v2, v3, v1, v2
.LBB415_1150:                           ;   in Loop: Header=BB415_13 Depth=1
	s_or_b32 exec_lo, exec_lo, s23
.LBB415_1151:                           ;   in Loop: Header=BB415_13 Depth=1
	s_delay_alu instid0(SALU_CYCLE_1)
	s_or_b32 exec_lo, exec_lo, s22
.LBB415_1152:                           ;   in Loop: Header=BB415_13 Depth=1
	s_delay_alu instid0(SALU_CYCLE_1) | instskip(NEXT) | instid1(VALU_DEP_1)
	s_or_b32 exec_lo, exec_lo, s21
	v_mul_f32_e32 v1, v144, v2
                                        ; implicit-def: $vgpr174
	s_delay_alu instid0(VALU_DEP_1) | instskip(NEXT) | instid1(VALU_DEP_1)
	v_and_b32_e32 v2, 0x7f800000, v1
	v_cmp_ne_u32_e64 s3, 0x7f800000, v2
	s_delay_alu instid0(VALU_DEP_1) | instskip(NEXT) | instid1(SALU_CYCLE_1)
	s_and_saveexec_b32 s21, s3
	s_xor_b32 s3, exec_lo, s21
; %bb.1153:                             ;   in Loop: Header=BB415_13 Depth=1
	v_bfe_u32 v2, v1, 16, 1
	s_delay_alu instid0(VALU_DEP_1)
	v_add3_u32 v174, v1, v2, 0x7fff
                                        ; implicit-def: $vgpr1
; %bb.1154:                             ;   in Loop: Header=BB415_13 Depth=1
	s_and_not1_saveexec_b32 s21, s3
; %bb.1155:                             ;   in Loop: Header=BB415_13 Depth=1
	v_and_b32_e32 v2, 0xffff, v1
	v_or_b32_e32 v3, 0x10000, v1
	s_delay_alu instid0(VALU_DEP_2) | instskip(NEXT) | instid1(VALU_DEP_1)
	v_cmp_eq_u32_e64 s3, 0, v2
	v_cndmask_b32_e64 v174, v3, v1, s3
; %bb.1156:                             ;   in Loop: Header=BB415_13 Depth=1
	s_or_b32 exec_lo, exec_lo, s21
	v_mov_b32_e32 v2, 0
	s_mov_b32 s21, exec_lo
	v_cmpx_lt_u32_e32 0xffffff, v0
	s_cbranch_execz .LBB415_1164
; %bb.1157:                             ;   in Loop: Header=BB415_13 Depth=1
	v_lshrrev_b32_e32 v1, 24, v0
	v_bfrev_b32_e32 v2, 1
	s_mov_b32 s22, exec_lo
	s_delay_alu instid0(VALU_DEP_2)
	v_cmpx_ne_u32_e32 0x80, v1
	s_cbranch_execz .LBB415_1163
; %bb.1158:                             ;   in Loop: Header=BB415_13 Depth=1
	v_bfe_u32 v3, v0, 24, 7
	v_mov_b32_e32 v2, 0x7f800001
	s_mov_b32 s23, exec_lo
	s_delay_alu instid0(VALU_DEP_2)
	v_cmpx_ne_u32_e32 0x7f, v3
	s_cbranch_execz .LBB415_1162
; %bb.1159:                             ;   in Loop: Header=BB415_13 Depth=1
	v_and_b32_e32 v28, 7, v1
	v_lshrrev_b32_e32 v0, 3, v3
	v_mov_b32_e32 v83, v29
	s_mov_b32 s24, exec_lo
	s_delay_alu instid0(VALU_DEP_3)
	v_mov_b32_e32 v82, v28
	v_cmpx_gt_u32_e32 8, v3
; %bb.1160:                             ;   in Loop: Header=BB415_13 Depth=1
	v_clz_i32_u32_e32 v0, v28
	s_delay_alu instid0(VALU_DEP_1) | instskip(NEXT) | instid1(VALU_DEP_1)
	v_min_u32_e32 v0, 32, v0
	v_subrev_nc_u32_e32 v2, 28, v0
	v_sub_nc_u32_e32 v0, 29, v0
	s_delay_alu instid0(VALU_DEP_2) | instskip(NEXT) | instid1(VALU_DEP_1)
	v_lshlrev_b64 v[2:3], v2, v[28:29]
	v_and_b32_e32 v82, 7, v2
; %bb.1161:                             ;   in Loop: Header=BB415_13 Depth=1
	s_or_b32 exec_lo, exec_lo, s24
	v_lshlrev_b32_e32 v1, 24, v1
	s_delay_alu instid0(VALU_DEP_2) | instskip(SKIP_1) | instid1(VALU_DEP_3)
	v_lshlrev_b32_e32 v2, 20, v82
	v_lshl_add_u32 v0, v0, 23, 0x3c000000
	v_and_b32_e32 v1, 0x80000000, v1
	s_delay_alu instid0(VALU_DEP_1)
	v_or3_b32 v2, v2, v1, v0
.LBB415_1162:                           ;   in Loop: Header=BB415_13 Depth=1
	s_or_b32 exec_lo, exec_lo, s23
.LBB415_1163:                           ;   in Loop: Header=BB415_13 Depth=1
	s_delay_alu instid0(SALU_CYCLE_1)
	s_or_b32 exec_lo, exec_lo, s22
.LBB415_1164:                           ;   in Loop: Header=BB415_13 Depth=1
	s_delay_alu instid0(SALU_CYCLE_1) | instskip(NEXT) | instid1(VALU_DEP_1)
	s_or_b32 exec_lo, exec_lo, s21
	v_mul_f32_e32 v0, v144, v2
                                        ; implicit-def: $vgpr175
	s_delay_alu instid0(VALU_DEP_1) | instskip(NEXT) | instid1(VALU_DEP_1)
	v_and_b32_e32 v1, 0x7f800000, v0
	v_cmp_ne_u32_e64 s3, 0x7f800000, v1
	s_delay_alu instid0(VALU_DEP_1) | instskip(NEXT) | instid1(SALU_CYCLE_1)
	s_and_saveexec_b32 s21, s3
	s_xor_b32 s3, exec_lo, s21
; %bb.1165:                             ;   in Loop: Header=BB415_13 Depth=1
	v_bfe_u32 v1, v0, 16, 1
	s_delay_alu instid0(VALU_DEP_1)
	v_add3_u32 v175, v0, v1, 0x7fff
                                        ; implicit-def: $vgpr0
; %bb.1166:                             ;   in Loop: Header=BB415_13 Depth=1
	s_and_not1_saveexec_b32 s21, s3
; %bb.1167:                             ;   in Loop: Header=BB415_13 Depth=1
	v_and_b32_e32 v1, 0xffff, v0
	v_or_b32_e32 v2, 0x10000, v0
	s_delay_alu instid0(VALU_DEP_2) | instskip(NEXT) | instid1(VALU_DEP_1)
	v_cmp_eq_u32_e64 s3, 0, v1
	v_cndmask_b32_e64 v175, v2, v0, s3
; %bb.1168:                             ;   in Loop: Header=BB415_13 Depth=1
	s_or_b32 exec_lo, exec_lo, s21
	flat_load_b32 v0, v[80:81] offset:3072
	s_mov_b32 s21, exec_lo
	s_waitcnt vmcnt(0) lgkmcnt(0)
	v_dual_mov_b32 v1, 0 :: v_dual_and_b32 v2, 0xff, v0
	s_delay_alu instid0(VALU_DEP_1)
	v_cmpx_ne_u16_e32 0, v2
	s_cbranch_execz .LBB415_1176
; %bb.1169:                             ;   in Loop: Header=BB415_13 Depth=1
	v_bfrev_b32_e32 v1, 1
	s_mov_b32 s22, exec_lo
	v_cmpx_ne_u16_e32 0x80, v2
	s_cbranch_execz .LBB415_1175
; %bb.1170:                             ;   in Loop: Header=BB415_13 Depth=1
	v_and_b32_e32 v2, 0x7f, v0
	v_mov_b32_e32 v1, 0x7f800001
	s_mov_b32 s23, exec_lo
	s_delay_alu instid0(VALU_DEP_2)
	v_cmpx_ne_u32_e32 0x7f, v2
	s_cbranch_execz .LBB415_1174
; %bb.1171:                             ;   in Loop: Header=BB415_13 Depth=1
	v_and_b32_e32 v28, 7, v0
	v_lshrrev_b32_e32 v1, 3, v2
	v_mov_b32_e32 v83, v29
	s_mov_b32 s24, exec_lo
	s_delay_alu instid0(VALU_DEP_3)
	v_mov_b32_e32 v82, v28
	v_cmpx_gt_u32_e32 8, v2
; %bb.1172:                             ;   in Loop: Header=BB415_13 Depth=1
	v_clz_i32_u32_e32 v1, v28
	s_delay_alu instid0(VALU_DEP_1) | instskip(NEXT) | instid1(VALU_DEP_1)
	v_min_u32_e32 v1, 32, v1
	v_subrev_nc_u32_e32 v2, 28, v1
	v_sub_nc_u32_e32 v1, 29, v1
	s_delay_alu instid0(VALU_DEP_2) | instskip(NEXT) | instid1(VALU_DEP_1)
	v_lshlrev_b64 v[2:3], v2, v[28:29]
	v_and_b32_e32 v82, 7, v2
; %bb.1173:                             ;   in Loop: Header=BB415_13 Depth=1
	s_or_b32 exec_lo, exec_lo, s24
	v_lshlrev_b32_e32 v2, 24, v0
	s_delay_alu instid0(VALU_DEP_2) | instskip(SKIP_1) | instid1(VALU_DEP_3)
	v_lshlrev_b32_e32 v3, 20, v82
	v_lshl_add_u32 v1, v1, 23, 0x3c000000
	v_and_b32_e32 v2, 0x80000000, v2
	s_delay_alu instid0(VALU_DEP_1)
	v_or3_b32 v1, v3, v2, v1
.LBB415_1174:                           ;   in Loop: Header=BB415_13 Depth=1
	s_or_b32 exec_lo, exec_lo, s23
.LBB415_1175:                           ;   in Loop: Header=BB415_13 Depth=1
	s_delay_alu instid0(SALU_CYCLE_1)
	s_or_b32 exec_lo, exec_lo, s22
.LBB415_1176:                           ;   in Loop: Header=BB415_13 Depth=1
	s_delay_alu instid0(SALU_CYCLE_1) | instskip(NEXT) | instid1(VALU_DEP_1)
	s_or_b32 exec_lo, exec_lo, s21
	v_mul_f32_e32 v1, v144, v1
                                        ; implicit-def: $vgpr184
	s_delay_alu instid0(VALU_DEP_1) | instskip(NEXT) | instid1(VALU_DEP_1)
	v_and_b32_e32 v2, 0x7f800000, v1
	v_cmp_ne_u32_e64 s3, 0x7f800000, v2
	s_delay_alu instid0(VALU_DEP_1) | instskip(NEXT) | instid1(SALU_CYCLE_1)
	s_and_saveexec_b32 s21, s3
	s_xor_b32 s3, exec_lo, s21
; %bb.1177:                             ;   in Loop: Header=BB415_13 Depth=1
	v_bfe_u32 v2, v1, 16, 1
	s_delay_alu instid0(VALU_DEP_1)
	v_add3_u32 v184, v1, v2, 0x7fff
                                        ; implicit-def: $vgpr1
; %bb.1178:                             ;   in Loop: Header=BB415_13 Depth=1
	s_and_not1_saveexec_b32 s21, s3
; %bb.1179:                             ;   in Loop: Header=BB415_13 Depth=1
	v_and_b32_e32 v2, 0xffff, v1
	v_or_b32_e32 v3, 0x10000, v1
	s_delay_alu instid0(VALU_DEP_2) | instskip(NEXT) | instid1(VALU_DEP_1)
	v_cmp_eq_u32_e64 s3, 0, v2
	v_cndmask_b32_e64 v184, v3, v1, s3
; %bb.1180:                             ;   in Loop: Header=BB415_13 Depth=1
	s_or_b32 exec_lo, exec_lo, s21
	v_lshrrev_b16 v2, 8, v0
	v_mov_b32_e32 v1, 0
	s_mov_b32 s21, exec_lo
	s_delay_alu instid0(VALU_DEP_2)
	v_cmpx_ne_u16_e32 0, v2
	s_cbranch_execz .LBB415_1188
; %bb.1181:                             ;   in Loop: Header=BB415_13 Depth=1
	v_bfrev_b32_e32 v1, 1
	s_mov_b32 s22, exec_lo
	v_cmpx_ne_u16_e32 0x80, v2
	s_cbranch_execz .LBB415_1187
; %bb.1182:                             ;   in Loop: Header=BB415_13 Depth=1
	v_and_b32_e32 v3, 0xffff, v2
	v_mov_b32_e32 v1, 0x7f800001
	s_mov_b32 s23, exec_lo
	s_delay_alu instid0(VALU_DEP_2) | instskip(NEXT) | instid1(VALU_DEP_1)
	v_and_b32_e32 v2, 0x7f, v3
	v_cmpx_ne_u32_e32 0x7f, v2
	s_cbranch_execz .LBB415_1186
; %bb.1183:                             ;   in Loop: Header=BB415_13 Depth=1
	v_and_b32_e32 v28, 7, v3
	v_lshrrev_b32_e32 v1, 3, v2
	v_mov_b32_e32 v83, v29
	s_mov_b32 s24, exec_lo
	s_delay_alu instid0(VALU_DEP_3)
	v_mov_b32_e32 v82, v28
	v_cmpx_gt_u32_e32 8, v2
; %bb.1184:                             ;   in Loop: Header=BB415_13 Depth=1
	v_clz_i32_u32_e32 v1, v28
	s_delay_alu instid0(VALU_DEP_1) | instskip(NEXT) | instid1(VALU_DEP_1)
	v_min_u32_e32 v1, 32, v1
	v_subrev_nc_u32_e32 v2, 28, v1
	v_sub_nc_u32_e32 v1, 29, v1
	s_delay_alu instid0(VALU_DEP_2) | instskip(NEXT) | instid1(VALU_DEP_1)
	v_lshlrev_b64 v[2:3], v2, v[28:29]
	v_and_b32_e32 v82, 7, v2
; %bb.1185:                             ;   in Loop: Header=BB415_13 Depth=1
	s_or_b32 exec_lo, exec_lo, s24
	v_lshlrev_b32_e32 v2, 16, v0
	s_delay_alu instid0(VALU_DEP_2) | instskip(SKIP_1) | instid1(VALU_DEP_3)
	v_lshlrev_b32_e32 v3, 20, v82
	v_lshl_add_u32 v1, v1, 23, 0x3c000000
	v_and_b32_e32 v2, 0x80000000, v2
	s_delay_alu instid0(VALU_DEP_1)
	v_or3_b32 v1, v3, v2, v1
.LBB415_1186:                           ;   in Loop: Header=BB415_13 Depth=1
	s_or_b32 exec_lo, exec_lo, s23
.LBB415_1187:                           ;   in Loop: Header=BB415_13 Depth=1
	s_delay_alu instid0(SALU_CYCLE_1)
	s_or_b32 exec_lo, exec_lo, s22
.LBB415_1188:                           ;   in Loop: Header=BB415_13 Depth=1
	s_delay_alu instid0(SALU_CYCLE_1) | instskip(NEXT) | instid1(VALU_DEP_1)
	s_or_b32 exec_lo, exec_lo, s21
	v_mul_f32_e32 v1, v144, v1
                                        ; implicit-def: $vgpr185
	s_delay_alu instid0(VALU_DEP_1) | instskip(NEXT) | instid1(VALU_DEP_1)
	v_and_b32_e32 v2, 0x7f800000, v1
	v_cmp_ne_u32_e64 s3, 0x7f800000, v2
	s_delay_alu instid0(VALU_DEP_1) | instskip(NEXT) | instid1(SALU_CYCLE_1)
	s_and_saveexec_b32 s21, s3
	s_xor_b32 s3, exec_lo, s21
; %bb.1189:                             ;   in Loop: Header=BB415_13 Depth=1
	v_bfe_u32 v2, v1, 16, 1
	s_delay_alu instid0(VALU_DEP_1)
	v_add3_u32 v185, v1, v2, 0x7fff
                                        ; implicit-def: $vgpr1
; %bb.1190:                             ;   in Loop: Header=BB415_13 Depth=1
	s_and_not1_saveexec_b32 s21, s3
; %bb.1191:                             ;   in Loop: Header=BB415_13 Depth=1
	v_and_b32_e32 v2, 0xffff, v1
	v_or_b32_e32 v3, 0x10000, v1
	s_delay_alu instid0(VALU_DEP_2) | instskip(NEXT) | instid1(VALU_DEP_1)
	v_cmp_eq_u32_e64 s3, 0, v2
	v_cndmask_b32_e64 v185, v3, v1, s3
; %bb.1192:                             ;   in Loop: Header=BB415_13 Depth=1
	s_or_b32 exec_lo, exec_lo, s21
	v_lshrrev_b32_e32 v1, 16, v0
	s_mov_b32 s21, exec_lo
	s_delay_alu instid0(VALU_DEP_1) | instskip(NEXT) | instid1(VALU_DEP_1)
	v_dual_mov_b32 v2, 0 :: v_dual_and_b32 v3, 0xff, v1
	v_cmpx_ne_u16_e32 0, v3
	s_cbranch_execz .LBB415_1200
; %bb.1193:                             ;   in Loop: Header=BB415_13 Depth=1
	v_bfrev_b32_e32 v2, 1
	s_mov_b32 s22, exec_lo
	v_cmpx_ne_u16_e32 0x80, v3
	s_cbranch_execz .LBB415_1199
; %bb.1194:                             ;   in Loop: Header=BB415_13 Depth=1
	v_bfe_u32 v3, v0, 16, 7
	v_mov_b32_e32 v2, 0x7f800001
	s_mov_b32 s23, exec_lo
	s_delay_alu instid0(VALU_DEP_2)
	v_cmpx_ne_u32_e32 0x7f, v3
	s_cbranch_execz .LBB415_1198
; %bb.1195:                             ;   in Loop: Header=BB415_13 Depth=1
	v_and_b32_e32 v28, 7, v1
	v_lshrrev_b32_e32 v2, 3, v3
	v_mov_b32_e32 v83, v29
	s_mov_b32 s24, exec_lo
	s_delay_alu instid0(VALU_DEP_3)
	v_mov_b32_e32 v82, v28
	v_cmpx_gt_u32_e32 8, v3
; %bb.1196:                             ;   in Loop: Header=BB415_13 Depth=1
	v_clz_i32_u32_e32 v2, v28
	s_delay_alu instid0(VALU_DEP_1) | instskip(NEXT) | instid1(VALU_DEP_1)
	v_min_u32_e32 v2, 32, v2
	v_subrev_nc_u32_e32 v3, 28, v2
	v_sub_nc_u32_e32 v2, 29, v2
	s_delay_alu instid0(VALU_DEP_2) | instskip(NEXT) | instid1(VALU_DEP_1)
	v_lshlrev_b64 v[3:4], v3, v[28:29]
	v_and_b32_e32 v82, 7, v3
; %bb.1197:                             ;   in Loop: Header=BB415_13 Depth=1
	s_or_b32 exec_lo, exec_lo, s24
	v_lshlrev_b32_e32 v1, 24, v1
	s_delay_alu instid0(VALU_DEP_2) | instskip(SKIP_1) | instid1(VALU_DEP_3)
	v_lshlrev_b32_e32 v3, 20, v82
	v_lshl_add_u32 v2, v2, 23, 0x3c000000
	v_and_b32_e32 v1, 0x80000000, v1
	s_delay_alu instid0(VALU_DEP_1)
	v_or3_b32 v2, v3, v1, v2
.LBB415_1198:                           ;   in Loop: Header=BB415_13 Depth=1
	s_or_b32 exec_lo, exec_lo, s23
.LBB415_1199:                           ;   in Loop: Header=BB415_13 Depth=1
	s_delay_alu instid0(SALU_CYCLE_1)
	s_or_b32 exec_lo, exec_lo, s22
.LBB415_1200:                           ;   in Loop: Header=BB415_13 Depth=1
	s_delay_alu instid0(SALU_CYCLE_1) | instskip(NEXT) | instid1(VALU_DEP_1)
	s_or_b32 exec_lo, exec_lo, s21
	v_mul_f32_e32 v1, v144, v2
                                        ; implicit-def: $vgpr186
	s_delay_alu instid0(VALU_DEP_1) | instskip(NEXT) | instid1(VALU_DEP_1)
	v_and_b32_e32 v2, 0x7f800000, v1
	v_cmp_ne_u32_e64 s3, 0x7f800000, v2
	s_delay_alu instid0(VALU_DEP_1) | instskip(NEXT) | instid1(SALU_CYCLE_1)
	s_and_saveexec_b32 s21, s3
	s_xor_b32 s3, exec_lo, s21
; %bb.1201:                             ;   in Loop: Header=BB415_13 Depth=1
	v_bfe_u32 v2, v1, 16, 1
	s_delay_alu instid0(VALU_DEP_1)
	v_add3_u32 v186, v1, v2, 0x7fff
                                        ; implicit-def: $vgpr1
; %bb.1202:                             ;   in Loop: Header=BB415_13 Depth=1
	s_and_not1_saveexec_b32 s21, s3
; %bb.1203:                             ;   in Loop: Header=BB415_13 Depth=1
	v_and_b32_e32 v2, 0xffff, v1
	v_or_b32_e32 v3, 0x10000, v1
	s_delay_alu instid0(VALU_DEP_2) | instskip(NEXT) | instid1(VALU_DEP_1)
	v_cmp_eq_u32_e64 s3, 0, v2
	v_cndmask_b32_e64 v186, v3, v1, s3
; %bb.1204:                             ;   in Loop: Header=BB415_13 Depth=1
	s_or_b32 exec_lo, exec_lo, s21
	v_mov_b32_e32 v2, 0
	s_mov_b32 s21, exec_lo
	v_cmpx_lt_u32_e32 0xffffff, v0
	s_cbranch_execz .LBB415_1212
; %bb.1205:                             ;   in Loop: Header=BB415_13 Depth=1
	v_lshrrev_b32_e32 v1, 24, v0
	v_bfrev_b32_e32 v2, 1
	s_mov_b32 s22, exec_lo
	s_delay_alu instid0(VALU_DEP_2)
	v_cmpx_ne_u32_e32 0x80, v1
	s_cbranch_execz .LBB415_1211
; %bb.1206:                             ;   in Loop: Header=BB415_13 Depth=1
	v_bfe_u32 v3, v0, 24, 7
	v_mov_b32_e32 v2, 0x7f800001
	s_mov_b32 s23, exec_lo
	s_delay_alu instid0(VALU_DEP_2)
	v_cmpx_ne_u32_e32 0x7f, v3
	s_cbranch_execz .LBB415_1210
; %bb.1207:                             ;   in Loop: Header=BB415_13 Depth=1
	v_and_b32_e32 v28, 7, v1
	v_lshrrev_b32_e32 v0, 3, v3
	v_mov_b32_e32 v83, v29
	s_mov_b32 s24, exec_lo
	s_delay_alu instid0(VALU_DEP_3)
	v_mov_b32_e32 v82, v28
	v_cmpx_gt_u32_e32 8, v3
; %bb.1208:                             ;   in Loop: Header=BB415_13 Depth=1
	v_clz_i32_u32_e32 v0, v28
	s_delay_alu instid0(VALU_DEP_1) | instskip(NEXT) | instid1(VALU_DEP_1)
	v_min_u32_e32 v0, 32, v0
	v_subrev_nc_u32_e32 v2, 28, v0
	v_sub_nc_u32_e32 v0, 29, v0
	s_delay_alu instid0(VALU_DEP_2) | instskip(NEXT) | instid1(VALU_DEP_1)
	v_lshlrev_b64 v[2:3], v2, v[28:29]
	v_and_b32_e32 v82, 7, v2
; %bb.1209:                             ;   in Loop: Header=BB415_13 Depth=1
	s_or_b32 exec_lo, exec_lo, s24
	v_lshlrev_b32_e32 v1, 24, v1
	s_delay_alu instid0(VALU_DEP_2) | instskip(SKIP_1) | instid1(VALU_DEP_3)
	v_lshlrev_b32_e32 v2, 20, v82
	v_lshl_add_u32 v0, v0, 23, 0x3c000000
	v_and_b32_e32 v1, 0x80000000, v1
	s_delay_alu instid0(VALU_DEP_1)
	v_or3_b32 v2, v2, v1, v0
.LBB415_1210:                           ;   in Loop: Header=BB415_13 Depth=1
	s_or_b32 exec_lo, exec_lo, s23
.LBB415_1211:                           ;   in Loop: Header=BB415_13 Depth=1
	s_delay_alu instid0(SALU_CYCLE_1)
	s_or_b32 exec_lo, exec_lo, s22
.LBB415_1212:                           ;   in Loop: Header=BB415_13 Depth=1
	s_delay_alu instid0(SALU_CYCLE_1) | instskip(NEXT) | instid1(VALU_DEP_1)
	s_or_b32 exec_lo, exec_lo, s21
	v_mul_f32_e32 v0, v144, v2
                                        ; implicit-def: $vgpr187
	s_delay_alu instid0(VALU_DEP_1) | instskip(NEXT) | instid1(VALU_DEP_1)
	v_and_b32_e32 v1, 0x7f800000, v0
	v_cmp_ne_u32_e64 s3, 0x7f800000, v1
	s_delay_alu instid0(VALU_DEP_1) | instskip(NEXT) | instid1(SALU_CYCLE_1)
	s_and_saveexec_b32 s21, s3
	s_xor_b32 s3, exec_lo, s21
; %bb.1213:                             ;   in Loop: Header=BB415_13 Depth=1
	v_bfe_u32 v1, v0, 16, 1
	s_delay_alu instid0(VALU_DEP_1)
	v_add3_u32 v187, v0, v1, 0x7fff
                                        ; implicit-def: $vgpr0
; %bb.1214:                             ;   in Loop: Header=BB415_13 Depth=1
	s_and_not1_saveexec_b32 s21, s3
; %bb.1215:                             ;   in Loop: Header=BB415_13 Depth=1
	v_and_b32_e32 v1, 0xffff, v0
	v_or_b32_e32 v2, 0x10000, v0
	s_delay_alu instid0(VALU_DEP_2) | instskip(NEXT) | instid1(VALU_DEP_1)
	v_cmp_eq_u32_e64 s3, 0, v1
	v_cndmask_b32_e64 v187, v2, v0, s3
; %bb.1216:                             ;   in Loop: Header=BB415_13 Depth=1
	s_or_b32 exec_lo, exec_lo, s21
	flat_load_b32 v0, v[80:81] offset:3080
	s_mov_b32 s21, exec_lo
	s_waitcnt vmcnt(0) lgkmcnt(0)
	v_dual_mov_b32 v1, 0 :: v_dual_and_b32 v2, 0xff, v0
	s_delay_alu instid0(VALU_DEP_1)
	v_cmpx_ne_u16_e32 0, v2
	s_cbranch_execz .LBB415_1224
; %bb.1217:                             ;   in Loop: Header=BB415_13 Depth=1
	v_bfrev_b32_e32 v1, 1
	s_mov_b32 s22, exec_lo
	v_cmpx_ne_u16_e32 0x80, v2
	s_cbranch_execz .LBB415_1223
; %bb.1218:                             ;   in Loop: Header=BB415_13 Depth=1
	v_and_b32_e32 v2, 0x7f, v0
	v_mov_b32_e32 v1, 0x7f800001
	s_mov_b32 s23, exec_lo
	s_delay_alu instid0(VALU_DEP_2)
	v_cmpx_ne_u32_e32 0x7f, v2
	s_cbranch_execz .LBB415_1222
; %bb.1219:                             ;   in Loop: Header=BB415_13 Depth=1
	v_and_b32_e32 v28, 7, v0
	v_lshrrev_b32_e32 v1, 3, v2
	v_mov_b32_e32 v83, v29
	s_mov_b32 s24, exec_lo
	s_delay_alu instid0(VALU_DEP_3)
	v_mov_b32_e32 v82, v28
	v_cmpx_gt_u32_e32 8, v2
; %bb.1220:                             ;   in Loop: Header=BB415_13 Depth=1
	v_clz_i32_u32_e32 v1, v28
	s_delay_alu instid0(VALU_DEP_1) | instskip(NEXT) | instid1(VALU_DEP_1)
	v_min_u32_e32 v1, 32, v1
	v_subrev_nc_u32_e32 v2, 28, v1
	v_sub_nc_u32_e32 v1, 29, v1
	s_delay_alu instid0(VALU_DEP_2) | instskip(NEXT) | instid1(VALU_DEP_1)
	v_lshlrev_b64 v[2:3], v2, v[28:29]
	v_and_b32_e32 v82, 7, v2
; %bb.1221:                             ;   in Loop: Header=BB415_13 Depth=1
	s_or_b32 exec_lo, exec_lo, s24
	v_lshlrev_b32_e32 v2, 24, v0
	s_delay_alu instid0(VALU_DEP_2) | instskip(SKIP_1) | instid1(VALU_DEP_3)
	v_lshlrev_b32_e32 v3, 20, v82
	v_lshl_add_u32 v1, v1, 23, 0x3c000000
	v_and_b32_e32 v2, 0x80000000, v2
	s_delay_alu instid0(VALU_DEP_1)
	v_or3_b32 v1, v3, v2, v1
.LBB415_1222:                           ;   in Loop: Header=BB415_13 Depth=1
	s_or_b32 exec_lo, exec_lo, s23
.LBB415_1223:                           ;   in Loop: Header=BB415_13 Depth=1
	s_delay_alu instid0(SALU_CYCLE_1)
	s_or_b32 exec_lo, exec_lo, s22
.LBB415_1224:                           ;   in Loop: Header=BB415_13 Depth=1
	s_delay_alu instid0(SALU_CYCLE_1) | instskip(NEXT) | instid1(VALU_DEP_1)
	s_or_b32 exec_lo, exec_lo, s21
	v_mul_f32_e32 v1, v144, v1
                                        ; implicit-def: $vgpr188
	s_delay_alu instid0(VALU_DEP_1) | instskip(NEXT) | instid1(VALU_DEP_1)
	v_and_b32_e32 v2, 0x7f800000, v1
	v_cmp_ne_u32_e64 s3, 0x7f800000, v2
	s_delay_alu instid0(VALU_DEP_1) | instskip(NEXT) | instid1(SALU_CYCLE_1)
	s_and_saveexec_b32 s21, s3
	s_xor_b32 s3, exec_lo, s21
; %bb.1225:                             ;   in Loop: Header=BB415_13 Depth=1
	v_bfe_u32 v2, v1, 16, 1
	s_delay_alu instid0(VALU_DEP_1)
	v_add3_u32 v188, v1, v2, 0x7fff
                                        ; implicit-def: $vgpr1
; %bb.1226:                             ;   in Loop: Header=BB415_13 Depth=1
	s_and_not1_saveexec_b32 s21, s3
; %bb.1227:                             ;   in Loop: Header=BB415_13 Depth=1
	v_and_b32_e32 v2, 0xffff, v1
	v_or_b32_e32 v3, 0x10000, v1
	s_delay_alu instid0(VALU_DEP_2) | instskip(NEXT) | instid1(VALU_DEP_1)
	v_cmp_eq_u32_e64 s3, 0, v2
	v_cndmask_b32_e64 v188, v3, v1, s3
; %bb.1228:                             ;   in Loop: Header=BB415_13 Depth=1
	s_or_b32 exec_lo, exec_lo, s21
	v_lshrrev_b16 v2, 8, v0
	v_mov_b32_e32 v1, 0
	s_mov_b32 s21, exec_lo
	s_delay_alu instid0(VALU_DEP_2)
	v_cmpx_ne_u16_e32 0, v2
	s_cbranch_execz .LBB415_1236
; %bb.1229:                             ;   in Loop: Header=BB415_13 Depth=1
	v_bfrev_b32_e32 v1, 1
	s_mov_b32 s22, exec_lo
	v_cmpx_ne_u16_e32 0x80, v2
	s_cbranch_execz .LBB415_1235
; %bb.1230:                             ;   in Loop: Header=BB415_13 Depth=1
	v_and_b32_e32 v3, 0xffff, v2
	v_mov_b32_e32 v1, 0x7f800001
	s_mov_b32 s23, exec_lo
	s_delay_alu instid0(VALU_DEP_2) | instskip(NEXT) | instid1(VALU_DEP_1)
	v_and_b32_e32 v2, 0x7f, v3
	v_cmpx_ne_u32_e32 0x7f, v2
	s_cbranch_execz .LBB415_1234
; %bb.1231:                             ;   in Loop: Header=BB415_13 Depth=1
	v_and_b32_e32 v28, 7, v3
	v_lshrrev_b32_e32 v1, 3, v2
	v_mov_b32_e32 v83, v29
	s_mov_b32 s24, exec_lo
	s_delay_alu instid0(VALU_DEP_3)
	v_mov_b32_e32 v82, v28
	v_cmpx_gt_u32_e32 8, v2
; %bb.1232:                             ;   in Loop: Header=BB415_13 Depth=1
	v_clz_i32_u32_e32 v1, v28
	s_delay_alu instid0(VALU_DEP_1) | instskip(NEXT) | instid1(VALU_DEP_1)
	v_min_u32_e32 v1, 32, v1
	v_subrev_nc_u32_e32 v2, 28, v1
	v_sub_nc_u32_e32 v1, 29, v1
	s_delay_alu instid0(VALU_DEP_2) | instskip(NEXT) | instid1(VALU_DEP_1)
	v_lshlrev_b64 v[2:3], v2, v[28:29]
	v_and_b32_e32 v82, 7, v2
; %bb.1233:                             ;   in Loop: Header=BB415_13 Depth=1
	s_or_b32 exec_lo, exec_lo, s24
	v_lshlrev_b32_e32 v2, 16, v0
	s_delay_alu instid0(VALU_DEP_2) | instskip(SKIP_1) | instid1(VALU_DEP_3)
	v_lshlrev_b32_e32 v3, 20, v82
	v_lshl_add_u32 v1, v1, 23, 0x3c000000
	v_and_b32_e32 v2, 0x80000000, v2
	s_delay_alu instid0(VALU_DEP_1)
	v_or3_b32 v1, v3, v2, v1
.LBB415_1234:                           ;   in Loop: Header=BB415_13 Depth=1
	s_or_b32 exec_lo, exec_lo, s23
.LBB415_1235:                           ;   in Loop: Header=BB415_13 Depth=1
	s_delay_alu instid0(SALU_CYCLE_1)
	s_or_b32 exec_lo, exec_lo, s22
.LBB415_1236:                           ;   in Loop: Header=BB415_13 Depth=1
	s_delay_alu instid0(SALU_CYCLE_1) | instskip(NEXT) | instid1(VALU_DEP_1)
	s_or_b32 exec_lo, exec_lo, s21
	v_mul_f32_e32 v1, v144, v1
                                        ; implicit-def: $vgpr189
	s_delay_alu instid0(VALU_DEP_1) | instskip(NEXT) | instid1(VALU_DEP_1)
	v_and_b32_e32 v2, 0x7f800000, v1
	v_cmp_ne_u32_e64 s3, 0x7f800000, v2
	s_delay_alu instid0(VALU_DEP_1) | instskip(NEXT) | instid1(SALU_CYCLE_1)
	s_and_saveexec_b32 s21, s3
	s_xor_b32 s3, exec_lo, s21
; %bb.1237:                             ;   in Loop: Header=BB415_13 Depth=1
	v_bfe_u32 v2, v1, 16, 1
	s_delay_alu instid0(VALU_DEP_1)
	v_add3_u32 v189, v1, v2, 0x7fff
                                        ; implicit-def: $vgpr1
; %bb.1238:                             ;   in Loop: Header=BB415_13 Depth=1
	s_and_not1_saveexec_b32 s21, s3
; %bb.1239:                             ;   in Loop: Header=BB415_13 Depth=1
	v_and_b32_e32 v2, 0xffff, v1
	v_or_b32_e32 v3, 0x10000, v1
	s_delay_alu instid0(VALU_DEP_2) | instskip(NEXT) | instid1(VALU_DEP_1)
	v_cmp_eq_u32_e64 s3, 0, v2
	v_cndmask_b32_e64 v189, v3, v1, s3
; %bb.1240:                             ;   in Loop: Header=BB415_13 Depth=1
	s_or_b32 exec_lo, exec_lo, s21
	v_lshrrev_b32_e32 v1, 16, v0
	s_mov_b32 s21, exec_lo
	s_delay_alu instid0(VALU_DEP_1) | instskip(NEXT) | instid1(VALU_DEP_1)
	v_dual_mov_b32 v2, 0 :: v_dual_and_b32 v3, 0xff, v1
	v_cmpx_ne_u16_e32 0, v3
	s_cbranch_execz .LBB415_1248
; %bb.1241:                             ;   in Loop: Header=BB415_13 Depth=1
	v_bfrev_b32_e32 v2, 1
	s_mov_b32 s22, exec_lo
	v_cmpx_ne_u16_e32 0x80, v3
	s_cbranch_execz .LBB415_1247
; %bb.1242:                             ;   in Loop: Header=BB415_13 Depth=1
	v_bfe_u32 v3, v0, 16, 7
	v_mov_b32_e32 v2, 0x7f800001
	s_mov_b32 s23, exec_lo
	s_delay_alu instid0(VALU_DEP_2)
	v_cmpx_ne_u32_e32 0x7f, v3
	s_cbranch_execz .LBB415_1246
; %bb.1243:                             ;   in Loop: Header=BB415_13 Depth=1
	v_and_b32_e32 v28, 7, v1
	v_mov_b32_e32 v83, v29
	v_lshrrev_b32_e32 v2, 3, v3
	s_mov_b32 s24, exec_lo
	s_delay_alu instid0(VALU_DEP_3)
	v_mov_b32_e32 v82, v28
	v_cmpx_gt_u32_e32 8, v3
; %bb.1244:                             ;   in Loop: Header=BB415_13 Depth=1
	v_clz_i32_u32_e32 v2, v28
	s_delay_alu instid0(VALU_DEP_1) | instskip(NEXT) | instid1(VALU_DEP_1)
	v_min_u32_e32 v2, 32, v2
	v_subrev_nc_u32_e32 v3, 28, v2
	v_sub_nc_u32_e32 v2, 29, v2
	s_delay_alu instid0(VALU_DEP_2) | instskip(NEXT) | instid1(VALU_DEP_1)
	v_lshlrev_b64 v[3:4], v3, v[28:29]
	v_and_b32_e32 v82, 7, v3
; %bb.1245:                             ;   in Loop: Header=BB415_13 Depth=1
	s_or_b32 exec_lo, exec_lo, s24
	v_lshlrev_b32_e32 v1, 24, v1
	s_delay_alu instid0(VALU_DEP_2) | instskip(SKIP_1) | instid1(VALU_DEP_3)
	v_lshlrev_b32_e32 v3, 20, v82
	v_lshl_add_u32 v2, v2, 23, 0x3c000000
	v_and_b32_e32 v1, 0x80000000, v1
	s_delay_alu instid0(VALU_DEP_1)
	v_or3_b32 v2, v3, v1, v2
.LBB415_1246:                           ;   in Loop: Header=BB415_13 Depth=1
	s_or_b32 exec_lo, exec_lo, s23
.LBB415_1247:                           ;   in Loop: Header=BB415_13 Depth=1
	s_delay_alu instid0(SALU_CYCLE_1)
	s_or_b32 exec_lo, exec_lo, s22
.LBB415_1248:                           ;   in Loop: Header=BB415_13 Depth=1
	s_delay_alu instid0(SALU_CYCLE_1) | instskip(NEXT) | instid1(VALU_DEP_1)
	s_or_b32 exec_lo, exec_lo, s21
	v_mul_f32_e32 v1, v144, v2
                                        ; implicit-def: $vgpr190
	s_delay_alu instid0(VALU_DEP_1) | instskip(NEXT) | instid1(VALU_DEP_1)
	v_and_b32_e32 v2, 0x7f800000, v1
	v_cmp_ne_u32_e64 s3, 0x7f800000, v2
	s_delay_alu instid0(VALU_DEP_1) | instskip(NEXT) | instid1(SALU_CYCLE_1)
	s_and_saveexec_b32 s21, s3
	s_xor_b32 s3, exec_lo, s21
; %bb.1249:                             ;   in Loop: Header=BB415_13 Depth=1
	v_bfe_u32 v2, v1, 16, 1
	s_delay_alu instid0(VALU_DEP_1)
	v_add3_u32 v190, v1, v2, 0x7fff
                                        ; implicit-def: $vgpr1
; %bb.1250:                             ;   in Loop: Header=BB415_13 Depth=1
	s_and_not1_saveexec_b32 s21, s3
; %bb.1251:                             ;   in Loop: Header=BB415_13 Depth=1
	v_and_b32_e32 v2, 0xffff, v1
	v_or_b32_e32 v3, 0x10000, v1
	s_delay_alu instid0(VALU_DEP_2) | instskip(NEXT) | instid1(VALU_DEP_1)
	v_cmp_eq_u32_e64 s3, 0, v2
	v_cndmask_b32_e64 v190, v3, v1, s3
; %bb.1252:                             ;   in Loop: Header=BB415_13 Depth=1
	s_or_b32 exec_lo, exec_lo, s21
	v_mov_b32_e32 v2, 0
	s_mov_b32 s21, exec_lo
	v_cmpx_lt_u32_e32 0xffffff, v0
	s_cbranch_execz .LBB415_1260
; %bb.1253:                             ;   in Loop: Header=BB415_13 Depth=1
	v_lshrrev_b32_e32 v1, 24, v0
	v_bfrev_b32_e32 v2, 1
	s_mov_b32 s22, exec_lo
	s_delay_alu instid0(VALU_DEP_2)
	v_cmpx_ne_u32_e32 0x80, v1
	s_cbranch_execz .LBB415_1259
; %bb.1254:                             ;   in Loop: Header=BB415_13 Depth=1
	v_bfe_u32 v3, v0, 24, 7
	v_mov_b32_e32 v2, 0x7f800001
	s_mov_b32 s23, exec_lo
	s_delay_alu instid0(VALU_DEP_2)
	v_cmpx_ne_u32_e32 0x7f, v3
	s_cbranch_execz .LBB415_1258
; %bb.1255:                             ;   in Loop: Header=BB415_13 Depth=1
	v_and_b32_e32 v28, 7, v1
	v_mov_b32_e32 v83, v29
	v_lshrrev_b32_e32 v0, 3, v3
	s_mov_b32 s24, exec_lo
	s_delay_alu instid0(VALU_DEP_3)
	v_mov_b32_e32 v82, v28
	v_cmpx_gt_u32_e32 8, v3
; %bb.1256:                             ;   in Loop: Header=BB415_13 Depth=1
	v_clz_i32_u32_e32 v0, v28
	s_delay_alu instid0(VALU_DEP_1) | instskip(NEXT) | instid1(VALU_DEP_1)
	v_min_u32_e32 v0, 32, v0
	v_subrev_nc_u32_e32 v2, 28, v0
	v_sub_nc_u32_e32 v0, 29, v0
	s_delay_alu instid0(VALU_DEP_2) | instskip(NEXT) | instid1(VALU_DEP_1)
	v_lshlrev_b64 v[2:3], v2, v[28:29]
	v_and_b32_e32 v82, 7, v2
; %bb.1257:                             ;   in Loop: Header=BB415_13 Depth=1
	s_or_b32 exec_lo, exec_lo, s24
	v_lshlrev_b32_e32 v1, 24, v1
	s_delay_alu instid0(VALU_DEP_2) | instskip(SKIP_1) | instid1(VALU_DEP_3)
	v_lshlrev_b32_e32 v2, 20, v82
	v_lshl_add_u32 v0, v0, 23, 0x3c000000
	v_and_b32_e32 v1, 0x80000000, v1
	s_delay_alu instid0(VALU_DEP_1)
	v_or3_b32 v2, v2, v1, v0
.LBB415_1258:                           ;   in Loop: Header=BB415_13 Depth=1
	s_or_b32 exec_lo, exec_lo, s23
.LBB415_1259:                           ;   in Loop: Header=BB415_13 Depth=1
	s_delay_alu instid0(SALU_CYCLE_1)
	s_or_b32 exec_lo, exec_lo, s22
.LBB415_1260:                           ;   in Loop: Header=BB415_13 Depth=1
	s_delay_alu instid0(SALU_CYCLE_1) | instskip(NEXT) | instid1(VALU_DEP_1)
	s_or_b32 exec_lo, exec_lo, s21
	v_mul_f32_e32 v0, v144, v2
                                        ; implicit-def: $vgpr191
	s_delay_alu instid0(VALU_DEP_1) | instskip(NEXT) | instid1(VALU_DEP_1)
	v_and_b32_e32 v1, 0x7f800000, v0
	v_cmp_ne_u32_e64 s3, 0x7f800000, v1
	s_delay_alu instid0(VALU_DEP_1) | instskip(NEXT) | instid1(SALU_CYCLE_1)
	s_and_saveexec_b32 s21, s3
	s_xor_b32 s3, exec_lo, s21
; %bb.1261:                             ;   in Loop: Header=BB415_13 Depth=1
	v_bfe_u32 v1, v0, 16, 1
	s_delay_alu instid0(VALU_DEP_1)
	v_add3_u32 v191, v0, v1, 0x7fff
                                        ; implicit-def: $vgpr0
; %bb.1262:                             ;   in Loop: Header=BB415_13 Depth=1
	s_and_not1_saveexec_b32 s21, s3
; %bb.1263:                             ;   in Loop: Header=BB415_13 Depth=1
	v_and_b32_e32 v1, 0xffff, v0
	v_or_b32_e32 v2, 0x10000, v0
	s_delay_alu instid0(VALU_DEP_2) | instskip(NEXT) | instid1(VALU_DEP_1)
	v_cmp_eq_u32_e64 s3, 0, v1
	v_cndmask_b32_e64 v191, v2, v0, s3
; %bb.1264:                             ;   in Loop: Header=BB415_13 Depth=1
	s_or_b32 exec_lo, exec_lo, s21
	flat_load_b32 v0, v[80:81] offset:3328
	s_mov_b32 s21, exec_lo
	s_waitcnt vmcnt(0) lgkmcnt(0)
	v_dual_mov_b32 v1, 0 :: v_dual_and_b32 v2, 0xff, v0
	s_delay_alu instid0(VALU_DEP_1)
	v_cmpx_ne_u16_e32 0, v2
	s_cbranch_execz .LBB415_1272
; %bb.1265:                             ;   in Loop: Header=BB415_13 Depth=1
	v_bfrev_b32_e32 v1, 1
	s_mov_b32 s22, exec_lo
	v_cmpx_ne_u16_e32 0x80, v2
	s_cbranch_execz .LBB415_1271
; %bb.1266:                             ;   in Loop: Header=BB415_13 Depth=1
	v_and_b32_e32 v2, 0x7f, v0
	v_mov_b32_e32 v1, 0x7f800001
	s_mov_b32 s23, exec_lo
	s_delay_alu instid0(VALU_DEP_2)
	v_cmpx_ne_u32_e32 0x7f, v2
	s_cbranch_execz .LBB415_1270
; %bb.1267:                             ;   in Loop: Header=BB415_13 Depth=1
	v_and_b32_e32 v28, 7, v0
	v_mov_b32_e32 v83, v29
	v_lshrrev_b32_e32 v1, 3, v2
	s_mov_b32 s24, exec_lo
	s_delay_alu instid0(VALU_DEP_3)
	v_mov_b32_e32 v82, v28
	v_cmpx_gt_u32_e32 8, v2
; %bb.1268:                             ;   in Loop: Header=BB415_13 Depth=1
	v_clz_i32_u32_e32 v1, v28
	s_delay_alu instid0(VALU_DEP_1) | instskip(NEXT) | instid1(VALU_DEP_1)
	v_min_u32_e32 v1, 32, v1
	v_subrev_nc_u32_e32 v2, 28, v1
	v_sub_nc_u32_e32 v1, 29, v1
	s_delay_alu instid0(VALU_DEP_2) | instskip(NEXT) | instid1(VALU_DEP_1)
	v_lshlrev_b64 v[2:3], v2, v[28:29]
	v_and_b32_e32 v82, 7, v2
; %bb.1269:                             ;   in Loop: Header=BB415_13 Depth=1
	s_or_b32 exec_lo, exec_lo, s24
	v_lshlrev_b32_e32 v2, 24, v0
	s_delay_alu instid0(VALU_DEP_2) | instskip(SKIP_1) | instid1(VALU_DEP_3)
	v_lshlrev_b32_e32 v3, 20, v82
	v_lshl_add_u32 v1, v1, 23, 0x3c000000
	v_and_b32_e32 v2, 0x80000000, v2
	s_delay_alu instid0(VALU_DEP_1)
	v_or3_b32 v1, v3, v2, v1
.LBB415_1270:                           ;   in Loop: Header=BB415_13 Depth=1
	s_or_b32 exec_lo, exec_lo, s23
.LBB415_1271:                           ;   in Loop: Header=BB415_13 Depth=1
	s_delay_alu instid0(SALU_CYCLE_1)
	s_or_b32 exec_lo, exec_lo, s22
.LBB415_1272:                           ;   in Loop: Header=BB415_13 Depth=1
	s_delay_alu instid0(SALU_CYCLE_1) | instskip(NEXT) | instid1(VALU_DEP_1)
	s_or_b32 exec_lo, exec_lo, s21
	v_mul_f32_e32 v1, v144, v1
                                        ; implicit-def: $vgpr39
	s_delay_alu instid0(VALU_DEP_1) | instskip(NEXT) | instid1(VALU_DEP_1)
	v_and_b32_e32 v2, 0x7f800000, v1
	v_cmp_ne_u32_e64 s3, 0x7f800000, v2
	s_delay_alu instid0(VALU_DEP_1) | instskip(NEXT) | instid1(SALU_CYCLE_1)
	s_and_saveexec_b32 s21, s3
	s_xor_b32 s3, exec_lo, s21
; %bb.1273:                             ;   in Loop: Header=BB415_13 Depth=1
	v_bfe_u32 v2, v1, 16, 1
	s_delay_alu instid0(VALU_DEP_1)
	v_add3_u32 v39, v1, v2, 0x7fff
                                        ; implicit-def: $vgpr1
; %bb.1274:                             ;   in Loop: Header=BB415_13 Depth=1
	s_and_not1_saveexec_b32 s21, s3
; %bb.1275:                             ;   in Loop: Header=BB415_13 Depth=1
	v_and_b32_e32 v2, 0xffff, v1
	v_or_b32_e32 v3, 0x10000, v1
	s_delay_alu instid0(VALU_DEP_2) | instskip(NEXT) | instid1(VALU_DEP_1)
	v_cmp_eq_u32_e64 s3, 0, v2
	v_cndmask_b32_e64 v39, v3, v1, s3
; %bb.1276:                             ;   in Loop: Header=BB415_13 Depth=1
	s_or_b32 exec_lo, exec_lo, s21
	v_lshrrev_b16 v2, 8, v0
	v_mov_b32_e32 v1, 0
	s_mov_b32 s21, exec_lo
	s_delay_alu instid0(VALU_DEP_2)
	v_cmpx_ne_u16_e32 0, v2
	s_cbranch_execz .LBB415_1284
; %bb.1277:                             ;   in Loop: Header=BB415_13 Depth=1
	v_bfrev_b32_e32 v1, 1
	s_mov_b32 s22, exec_lo
	v_cmpx_ne_u16_e32 0x80, v2
	s_cbranch_execz .LBB415_1283
; %bb.1278:                             ;   in Loop: Header=BB415_13 Depth=1
	v_and_b32_e32 v3, 0xffff, v2
	v_mov_b32_e32 v1, 0x7f800001
	s_mov_b32 s23, exec_lo
	s_delay_alu instid0(VALU_DEP_2) | instskip(NEXT) | instid1(VALU_DEP_1)
	v_and_b32_e32 v2, 0x7f, v3
	v_cmpx_ne_u32_e32 0x7f, v2
	s_cbranch_execz .LBB415_1282
; %bb.1279:                             ;   in Loop: Header=BB415_13 Depth=1
	v_and_b32_e32 v28, 7, v3
	v_mov_b32_e32 v83, v29
	v_lshrrev_b32_e32 v1, 3, v2
	s_mov_b32 s24, exec_lo
	s_delay_alu instid0(VALU_DEP_3)
	v_mov_b32_e32 v82, v28
	v_cmpx_gt_u32_e32 8, v2
; %bb.1280:                             ;   in Loop: Header=BB415_13 Depth=1
	v_clz_i32_u32_e32 v1, v28
	s_delay_alu instid0(VALU_DEP_1) | instskip(NEXT) | instid1(VALU_DEP_1)
	v_min_u32_e32 v1, 32, v1
	v_subrev_nc_u32_e32 v2, 28, v1
	v_sub_nc_u32_e32 v1, 29, v1
	s_delay_alu instid0(VALU_DEP_2) | instskip(NEXT) | instid1(VALU_DEP_1)
	v_lshlrev_b64 v[2:3], v2, v[28:29]
	v_and_b32_e32 v82, 7, v2
; %bb.1281:                             ;   in Loop: Header=BB415_13 Depth=1
	s_or_b32 exec_lo, exec_lo, s24
	v_lshlrev_b32_e32 v2, 16, v0
	s_delay_alu instid0(VALU_DEP_2) | instskip(SKIP_1) | instid1(VALU_DEP_3)
	v_lshlrev_b32_e32 v3, 20, v82
	v_lshl_add_u32 v1, v1, 23, 0x3c000000
	v_and_b32_e32 v2, 0x80000000, v2
	s_delay_alu instid0(VALU_DEP_1)
	v_or3_b32 v1, v3, v2, v1
.LBB415_1282:                           ;   in Loop: Header=BB415_13 Depth=1
	s_or_b32 exec_lo, exec_lo, s23
.LBB415_1283:                           ;   in Loop: Header=BB415_13 Depth=1
	s_delay_alu instid0(SALU_CYCLE_1)
	s_or_b32 exec_lo, exec_lo, s22
.LBB415_1284:                           ;   in Loop: Header=BB415_13 Depth=1
	s_delay_alu instid0(SALU_CYCLE_1) | instskip(NEXT) | instid1(VALU_DEP_1)
	s_or_b32 exec_lo, exec_lo, s21
	v_mul_f32_e32 v1, v144, v1
                                        ; implicit-def: $vgpr102
	s_delay_alu instid0(VALU_DEP_1) | instskip(NEXT) | instid1(VALU_DEP_1)
	v_and_b32_e32 v2, 0x7f800000, v1
	v_cmp_ne_u32_e64 s3, 0x7f800000, v2
	s_delay_alu instid0(VALU_DEP_1) | instskip(NEXT) | instid1(SALU_CYCLE_1)
	s_and_saveexec_b32 s21, s3
	s_xor_b32 s3, exec_lo, s21
; %bb.1285:                             ;   in Loop: Header=BB415_13 Depth=1
	v_bfe_u32 v2, v1, 16, 1
	s_delay_alu instid0(VALU_DEP_1)
	v_add3_u32 v102, v1, v2, 0x7fff
                                        ; implicit-def: $vgpr1
; %bb.1286:                             ;   in Loop: Header=BB415_13 Depth=1
	s_and_not1_saveexec_b32 s21, s3
; %bb.1287:                             ;   in Loop: Header=BB415_13 Depth=1
	v_and_b32_e32 v2, 0xffff, v1
	v_or_b32_e32 v3, 0x10000, v1
	s_delay_alu instid0(VALU_DEP_2) | instskip(NEXT) | instid1(VALU_DEP_1)
	v_cmp_eq_u32_e64 s3, 0, v2
	v_cndmask_b32_e64 v102, v3, v1, s3
; %bb.1288:                             ;   in Loop: Header=BB415_13 Depth=1
	s_or_b32 exec_lo, exec_lo, s21
	v_lshrrev_b32_e32 v1, 16, v0
	s_mov_b32 s21, exec_lo
	s_delay_alu instid0(VALU_DEP_1) | instskip(NEXT) | instid1(VALU_DEP_1)
	v_dual_mov_b32 v2, 0 :: v_dual_and_b32 v3, 0xff, v1
	v_cmpx_ne_u16_e32 0, v3
	s_cbranch_execz .LBB415_1296
; %bb.1289:                             ;   in Loop: Header=BB415_13 Depth=1
	v_bfrev_b32_e32 v2, 1
	s_mov_b32 s22, exec_lo
	v_cmpx_ne_u16_e32 0x80, v3
	s_cbranch_execz .LBB415_1295
; %bb.1290:                             ;   in Loop: Header=BB415_13 Depth=1
	v_bfe_u32 v3, v0, 16, 7
	v_mov_b32_e32 v2, 0x7f800001
	s_mov_b32 s23, exec_lo
	s_delay_alu instid0(VALU_DEP_2)
	v_cmpx_ne_u32_e32 0x7f, v3
	s_cbranch_execz .LBB415_1294
; %bb.1291:                             ;   in Loop: Header=BB415_13 Depth=1
	v_and_b32_e32 v28, 7, v1
	v_mov_b32_e32 v83, v29
	v_lshrrev_b32_e32 v2, 3, v3
	s_mov_b32 s24, exec_lo
	s_delay_alu instid0(VALU_DEP_3)
	v_mov_b32_e32 v82, v28
	v_cmpx_gt_u32_e32 8, v3
; %bb.1292:                             ;   in Loop: Header=BB415_13 Depth=1
	v_clz_i32_u32_e32 v2, v28
	s_delay_alu instid0(VALU_DEP_1) | instskip(NEXT) | instid1(VALU_DEP_1)
	v_min_u32_e32 v2, 32, v2
	v_subrev_nc_u32_e32 v3, 28, v2
	v_sub_nc_u32_e32 v2, 29, v2
	s_delay_alu instid0(VALU_DEP_2) | instskip(NEXT) | instid1(VALU_DEP_1)
	v_lshlrev_b64 v[3:4], v3, v[28:29]
	v_and_b32_e32 v82, 7, v3
; %bb.1293:                             ;   in Loop: Header=BB415_13 Depth=1
	s_or_b32 exec_lo, exec_lo, s24
	v_lshlrev_b32_e32 v1, 24, v1
	s_delay_alu instid0(VALU_DEP_2) | instskip(SKIP_1) | instid1(VALU_DEP_3)
	v_lshlrev_b32_e32 v3, 20, v82
	v_lshl_add_u32 v2, v2, 23, 0x3c000000
	v_and_b32_e32 v1, 0x80000000, v1
	s_delay_alu instid0(VALU_DEP_1)
	v_or3_b32 v2, v3, v1, v2
.LBB415_1294:                           ;   in Loop: Header=BB415_13 Depth=1
	s_or_b32 exec_lo, exec_lo, s23
.LBB415_1295:                           ;   in Loop: Header=BB415_13 Depth=1
	s_delay_alu instid0(SALU_CYCLE_1)
	s_or_b32 exec_lo, exec_lo, s22
.LBB415_1296:                           ;   in Loop: Header=BB415_13 Depth=1
	s_delay_alu instid0(SALU_CYCLE_1) | instskip(NEXT) | instid1(VALU_DEP_1)
	s_or_b32 exec_lo, exec_lo, s21
	v_mul_f32_e32 v1, v144, v2
                                        ; implicit-def: $vgpr5
	s_delay_alu instid0(VALU_DEP_1) | instskip(NEXT) | instid1(VALU_DEP_1)
	v_and_b32_e32 v2, 0x7f800000, v1
	v_cmp_ne_u32_e64 s3, 0x7f800000, v2
	s_delay_alu instid0(VALU_DEP_1) | instskip(NEXT) | instid1(SALU_CYCLE_1)
	s_and_saveexec_b32 s21, s3
	s_xor_b32 s3, exec_lo, s21
; %bb.1297:                             ;   in Loop: Header=BB415_13 Depth=1
	v_bfe_u32 v2, v1, 16, 1
	s_delay_alu instid0(VALU_DEP_1)
	v_add3_u32 v5, v1, v2, 0x7fff
                                        ; implicit-def: $vgpr1
; %bb.1298:                             ;   in Loop: Header=BB415_13 Depth=1
	s_and_not1_saveexec_b32 s21, s3
; %bb.1299:                             ;   in Loop: Header=BB415_13 Depth=1
	v_and_b32_e32 v2, 0xffff, v1
	v_or_b32_e32 v3, 0x10000, v1
	s_delay_alu instid0(VALU_DEP_2) | instskip(NEXT) | instid1(VALU_DEP_1)
	v_cmp_eq_u32_e64 s3, 0, v2
	v_cndmask_b32_e64 v5, v3, v1, s3
; %bb.1300:                             ;   in Loop: Header=BB415_13 Depth=1
	s_or_b32 exec_lo, exec_lo, s21
	v_mov_b32_e32 v2, 0
	s_mov_b32 s21, exec_lo
	v_cmpx_lt_u32_e32 0xffffff, v0
	s_cbranch_execz .LBB415_1308
; %bb.1301:                             ;   in Loop: Header=BB415_13 Depth=1
	v_lshrrev_b32_e32 v1, 24, v0
	v_bfrev_b32_e32 v2, 1
	s_mov_b32 s22, exec_lo
	s_delay_alu instid0(VALU_DEP_2)
	v_cmpx_ne_u32_e32 0x80, v1
	s_cbranch_execz .LBB415_1307
; %bb.1302:                             ;   in Loop: Header=BB415_13 Depth=1
	v_bfe_u32 v3, v0, 24, 7
	v_mov_b32_e32 v2, 0x7f800001
	s_mov_b32 s23, exec_lo
	s_delay_alu instid0(VALU_DEP_2)
	v_cmpx_ne_u32_e32 0x7f, v3
	s_cbranch_execz .LBB415_1306
; %bb.1303:                             ;   in Loop: Header=BB415_13 Depth=1
	v_and_b32_e32 v28, 7, v1
	v_mov_b32_e32 v83, v29
	v_lshrrev_b32_e32 v0, 3, v3
	s_mov_b32 s24, exec_lo
	s_delay_alu instid0(VALU_DEP_3)
	v_mov_b32_e32 v82, v28
	v_cmpx_gt_u32_e32 8, v3
; %bb.1304:                             ;   in Loop: Header=BB415_13 Depth=1
	v_clz_i32_u32_e32 v0, v28
	s_delay_alu instid0(VALU_DEP_1) | instskip(NEXT) | instid1(VALU_DEP_1)
	v_min_u32_e32 v0, 32, v0
	v_subrev_nc_u32_e32 v2, 28, v0
	v_sub_nc_u32_e32 v0, 29, v0
	s_delay_alu instid0(VALU_DEP_2) | instskip(NEXT) | instid1(VALU_DEP_1)
	v_lshlrev_b64 v[2:3], v2, v[28:29]
	v_and_b32_e32 v82, 7, v2
; %bb.1305:                             ;   in Loop: Header=BB415_13 Depth=1
	s_or_b32 exec_lo, exec_lo, s24
	v_lshlrev_b32_e32 v1, 24, v1
	s_delay_alu instid0(VALU_DEP_2) | instskip(SKIP_1) | instid1(VALU_DEP_3)
	v_lshlrev_b32_e32 v2, 20, v82
	v_lshl_add_u32 v0, v0, 23, 0x3c000000
	v_and_b32_e32 v1, 0x80000000, v1
	s_delay_alu instid0(VALU_DEP_1)
	v_or3_b32 v2, v2, v1, v0
.LBB415_1306:                           ;   in Loop: Header=BB415_13 Depth=1
	s_or_b32 exec_lo, exec_lo, s23
.LBB415_1307:                           ;   in Loop: Header=BB415_13 Depth=1
	s_delay_alu instid0(SALU_CYCLE_1)
	s_or_b32 exec_lo, exec_lo, s22
.LBB415_1308:                           ;   in Loop: Header=BB415_13 Depth=1
	s_delay_alu instid0(SALU_CYCLE_1) | instskip(NEXT) | instid1(VALU_DEP_1)
	s_or_b32 exec_lo, exec_lo, s21
	v_mul_f32_e32 v0, v144, v2
                                        ; implicit-def: $vgpr4
	s_delay_alu instid0(VALU_DEP_1) | instskip(NEXT) | instid1(VALU_DEP_1)
	v_and_b32_e32 v1, 0x7f800000, v0
	v_cmp_ne_u32_e64 s3, 0x7f800000, v1
	s_delay_alu instid0(VALU_DEP_1) | instskip(NEXT) | instid1(SALU_CYCLE_1)
	s_and_saveexec_b32 s21, s3
	s_xor_b32 s3, exec_lo, s21
; %bb.1309:                             ;   in Loop: Header=BB415_13 Depth=1
	v_bfe_u32 v1, v0, 16, 1
	s_delay_alu instid0(VALU_DEP_1)
	v_add3_u32 v4, v0, v1, 0x7fff
                                        ; implicit-def: $vgpr0
; %bb.1310:                             ;   in Loop: Header=BB415_13 Depth=1
	s_and_not1_saveexec_b32 s21, s3
; %bb.1311:                             ;   in Loop: Header=BB415_13 Depth=1
	v_and_b32_e32 v1, 0xffff, v0
	v_or_b32_e32 v2, 0x10000, v0
	s_delay_alu instid0(VALU_DEP_2) | instskip(NEXT) | instid1(VALU_DEP_1)
	v_cmp_eq_u32_e64 s3, 0, v1
	v_cndmask_b32_e64 v4, v2, v0, s3
; %bb.1312:                             ;   in Loop: Header=BB415_13 Depth=1
	s_or_b32 exec_lo, exec_lo, s21
	flat_load_b32 v0, v[80:81] offset:3336
	s_mov_b32 s21, exec_lo
	s_waitcnt vmcnt(0) lgkmcnt(0)
	v_dual_mov_b32 v1, 0 :: v_dual_and_b32 v2, 0xff, v0
	s_delay_alu instid0(VALU_DEP_1)
	v_cmpx_ne_u16_e32 0, v2
	s_cbranch_execz .LBB415_1320
; %bb.1313:                             ;   in Loop: Header=BB415_13 Depth=1
	v_bfrev_b32_e32 v1, 1
	s_mov_b32 s22, exec_lo
	v_cmpx_ne_u16_e32 0x80, v2
	s_cbranch_execz .LBB415_1319
; %bb.1314:                             ;   in Loop: Header=BB415_13 Depth=1
	v_and_b32_e32 v2, 0x7f, v0
	v_mov_b32_e32 v1, 0x7f800001
	s_mov_b32 s23, exec_lo
	s_delay_alu instid0(VALU_DEP_2)
	v_cmpx_ne_u32_e32 0x7f, v2
	s_cbranch_execz .LBB415_1318
; %bb.1315:                             ;   in Loop: Header=BB415_13 Depth=1
	v_and_b32_e32 v28, 7, v0
	v_mov_b32_e32 v83, v29
	v_lshrrev_b32_e32 v1, 3, v2
	s_mov_b32 s24, exec_lo
	s_delay_alu instid0(VALU_DEP_3)
	v_mov_b32_e32 v82, v28
	v_cmpx_gt_u32_e32 8, v2
; %bb.1316:                             ;   in Loop: Header=BB415_13 Depth=1
	v_clz_i32_u32_e32 v1, v28
	s_delay_alu instid0(VALU_DEP_1) | instskip(NEXT) | instid1(VALU_DEP_1)
	v_min_u32_e32 v1, 32, v1
	v_subrev_nc_u32_e32 v2, 28, v1
	v_sub_nc_u32_e32 v1, 29, v1
	s_delay_alu instid0(VALU_DEP_2) | instskip(NEXT) | instid1(VALU_DEP_1)
	v_lshlrev_b64 v[2:3], v2, v[28:29]
	v_and_b32_e32 v82, 7, v2
; %bb.1317:                             ;   in Loop: Header=BB415_13 Depth=1
	s_or_b32 exec_lo, exec_lo, s24
	v_lshlrev_b32_e32 v2, 24, v0
	s_delay_alu instid0(VALU_DEP_2) | instskip(SKIP_1) | instid1(VALU_DEP_3)
	v_lshlrev_b32_e32 v3, 20, v82
	v_lshl_add_u32 v1, v1, 23, 0x3c000000
	v_and_b32_e32 v2, 0x80000000, v2
	s_delay_alu instid0(VALU_DEP_1)
	v_or3_b32 v1, v3, v2, v1
.LBB415_1318:                           ;   in Loop: Header=BB415_13 Depth=1
	s_or_b32 exec_lo, exec_lo, s23
.LBB415_1319:                           ;   in Loop: Header=BB415_13 Depth=1
	s_delay_alu instid0(SALU_CYCLE_1)
	s_or_b32 exec_lo, exec_lo, s22
.LBB415_1320:                           ;   in Loop: Header=BB415_13 Depth=1
	s_delay_alu instid0(SALU_CYCLE_1) | instskip(NEXT) | instid1(VALU_DEP_1)
	s_or_b32 exec_lo, exec_lo, s21
	v_mul_f32_e32 v1, v144, v1
                                        ; implicit-def: $vgpr103
	s_delay_alu instid0(VALU_DEP_1) | instskip(NEXT) | instid1(VALU_DEP_1)
	v_and_b32_e32 v2, 0x7f800000, v1
	v_cmp_ne_u32_e64 s3, 0x7f800000, v2
	s_delay_alu instid0(VALU_DEP_1) | instskip(NEXT) | instid1(SALU_CYCLE_1)
	s_and_saveexec_b32 s21, s3
	s_xor_b32 s3, exec_lo, s21
; %bb.1321:                             ;   in Loop: Header=BB415_13 Depth=1
	v_bfe_u32 v2, v1, 16, 1
	s_delay_alu instid0(VALU_DEP_1)
	v_add3_u32 v103, v1, v2, 0x7fff
                                        ; implicit-def: $vgpr1
; %bb.1322:                             ;   in Loop: Header=BB415_13 Depth=1
	s_and_not1_saveexec_b32 s21, s3
; %bb.1323:                             ;   in Loop: Header=BB415_13 Depth=1
	v_and_b32_e32 v2, 0xffff, v1
	v_or_b32_e32 v3, 0x10000, v1
	s_delay_alu instid0(VALU_DEP_2) | instskip(NEXT) | instid1(VALU_DEP_1)
	v_cmp_eq_u32_e64 s3, 0, v2
	v_cndmask_b32_e64 v103, v3, v1, s3
; %bb.1324:                             ;   in Loop: Header=BB415_13 Depth=1
	s_or_b32 exec_lo, exec_lo, s21
	v_lshrrev_b16 v2, 8, v0
	v_mov_b32_e32 v1, 0
	s_mov_b32 s21, exec_lo
	s_delay_alu instid0(VALU_DEP_2)
	v_cmpx_ne_u16_e32 0, v2
	s_cbranch_execz .LBB415_1332
; %bb.1325:                             ;   in Loop: Header=BB415_13 Depth=1
	v_bfrev_b32_e32 v1, 1
	s_mov_b32 s22, exec_lo
	v_cmpx_ne_u16_e32 0x80, v2
	s_cbranch_execz .LBB415_1331
; %bb.1326:                             ;   in Loop: Header=BB415_13 Depth=1
	v_and_b32_e32 v3, 0xffff, v2
	v_mov_b32_e32 v1, 0x7f800001
	s_mov_b32 s23, exec_lo
	s_delay_alu instid0(VALU_DEP_2) | instskip(NEXT) | instid1(VALU_DEP_1)
	v_and_b32_e32 v2, 0x7f, v3
	v_cmpx_ne_u32_e32 0x7f, v2
	s_cbranch_execz .LBB415_1330
; %bb.1327:                             ;   in Loop: Header=BB415_13 Depth=1
	v_and_b32_e32 v28, 7, v3
	v_mov_b32_e32 v83, v29
	v_lshrrev_b32_e32 v1, 3, v2
	s_mov_b32 s24, exec_lo
	s_delay_alu instid0(VALU_DEP_3)
	v_mov_b32_e32 v82, v28
	v_cmpx_gt_u32_e32 8, v2
; %bb.1328:                             ;   in Loop: Header=BB415_13 Depth=1
	v_clz_i32_u32_e32 v1, v28
	s_delay_alu instid0(VALU_DEP_1) | instskip(NEXT) | instid1(VALU_DEP_1)
	v_min_u32_e32 v1, 32, v1
	v_subrev_nc_u32_e32 v2, 28, v1
	v_sub_nc_u32_e32 v1, 29, v1
	s_delay_alu instid0(VALU_DEP_2) | instskip(NEXT) | instid1(VALU_DEP_1)
	v_lshlrev_b64 v[2:3], v2, v[28:29]
	v_and_b32_e32 v82, 7, v2
; %bb.1329:                             ;   in Loop: Header=BB415_13 Depth=1
	s_or_b32 exec_lo, exec_lo, s24
	v_lshlrev_b32_e32 v2, 16, v0
	s_delay_alu instid0(VALU_DEP_2) | instskip(SKIP_1) | instid1(VALU_DEP_3)
	v_lshlrev_b32_e32 v3, 20, v82
	v_lshl_add_u32 v1, v1, 23, 0x3c000000
	v_and_b32_e32 v2, 0x80000000, v2
	s_delay_alu instid0(VALU_DEP_1)
	v_or3_b32 v1, v3, v2, v1
.LBB415_1330:                           ;   in Loop: Header=BB415_13 Depth=1
	s_or_b32 exec_lo, exec_lo, s23
.LBB415_1331:                           ;   in Loop: Header=BB415_13 Depth=1
	s_delay_alu instid0(SALU_CYCLE_1)
	s_or_b32 exec_lo, exec_lo, s22
.LBB415_1332:                           ;   in Loop: Header=BB415_13 Depth=1
	s_delay_alu instid0(SALU_CYCLE_1) | instskip(NEXT) | instid1(VALU_DEP_1)
	s_or_b32 exec_lo, exec_lo, s21
	v_mul_f32_e32 v1, v144, v1
                                        ; implicit-def: $vgpr85
	s_delay_alu instid0(VALU_DEP_1) | instskip(NEXT) | instid1(VALU_DEP_1)
	v_and_b32_e32 v2, 0x7f800000, v1
	v_cmp_ne_u32_e64 s3, 0x7f800000, v2
	s_delay_alu instid0(VALU_DEP_1) | instskip(NEXT) | instid1(SALU_CYCLE_1)
	s_and_saveexec_b32 s21, s3
	s_xor_b32 s3, exec_lo, s21
; %bb.1333:                             ;   in Loop: Header=BB415_13 Depth=1
	v_bfe_u32 v2, v1, 16, 1
	s_delay_alu instid0(VALU_DEP_1)
	v_add3_u32 v85, v1, v2, 0x7fff
                                        ; implicit-def: $vgpr1
; %bb.1334:                             ;   in Loop: Header=BB415_13 Depth=1
	s_and_not1_saveexec_b32 s21, s3
; %bb.1335:                             ;   in Loop: Header=BB415_13 Depth=1
	v_and_b32_e32 v2, 0xffff, v1
	v_or_b32_e32 v3, 0x10000, v1
	s_delay_alu instid0(VALU_DEP_2) | instskip(NEXT) | instid1(VALU_DEP_1)
	v_cmp_eq_u32_e64 s3, 0, v2
	v_cndmask_b32_e64 v85, v3, v1, s3
; %bb.1336:                             ;   in Loop: Header=BB415_13 Depth=1
	s_or_b32 exec_lo, exec_lo, s21
	v_lshrrev_b32_e32 v1, 16, v0
	s_mov_b32 s21, exec_lo
	s_delay_alu instid0(VALU_DEP_1) | instskip(NEXT) | instid1(VALU_DEP_1)
	v_dual_mov_b32 v2, 0 :: v_dual_and_b32 v3, 0xff, v1
	v_cmpx_ne_u16_e32 0, v3
	s_cbranch_execz .LBB415_1344
; %bb.1337:                             ;   in Loop: Header=BB415_13 Depth=1
	v_bfrev_b32_e32 v2, 1
	s_mov_b32 s22, exec_lo
	v_cmpx_ne_u16_e32 0x80, v3
	s_cbranch_execz .LBB415_1343
; %bb.1338:                             ;   in Loop: Header=BB415_13 Depth=1
	v_bfe_u32 v3, v0, 16, 7
	v_mov_b32_e32 v2, 0x7f800001
	s_mov_b32 s23, exec_lo
	s_delay_alu instid0(VALU_DEP_2)
	v_cmpx_ne_u32_e32 0x7f, v3
	s_cbranch_execz .LBB415_1342
; %bb.1339:                             ;   in Loop: Header=BB415_13 Depth=1
	v_and_b32_e32 v28, 7, v1
	v_mov_b32_e32 v83, v29
	v_lshrrev_b32_e32 v2, 3, v3
	s_mov_b32 s24, exec_lo
	s_delay_alu instid0(VALU_DEP_3)
	v_mov_b32_e32 v82, v28
	v_cmpx_gt_u32_e32 8, v3
; %bb.1340:                             ;   in Loop: Header=BB415_13 Depth=1
	v_clz_i32_u32_e32 v2, v28
	s_delay_alu instid0(VALU_DEP_1) | instskip(NEXT) | instid1(VALU_DEP_1)
	v_min_u32_e32 v2, 32, v2
	v_subrev_nc_u32_e32 v3, 28, v2
	v_sub_nc_u32_e32 v2, 29, v2
	s_delay_alu instid0(VALU_DEP_2) | instskip(NEXT) | instid1(VALU_DEP_1)
	v_lshlrev_b64 v[10:11], v3, v[28:29]
	v_and_b32_e32 v82, 7, v10
; %bb.1341:                             ;   in Loop: Header=BB415_13 Depth=1
	s_or_b32 exec_lo, exec_lo, s24
	v_lshlrev_b32_e32 v1, 24, v1
	s_delay_alu instid0(VALU_DEP_2) | instskip(SKIP_1) | instid1(VALU_DEP_3)
	v_lshlrev_b32_e32 v3, 20, v82
	v_lshl_add_u32 v2, v2, 23, 0x3c000000
	v_and_b32_e32 v1, 0x80000000, v1
	s_delay_alu instid0(VALU_DEP_1)
	v_or3_b32 v2, v3, v1, v2
.LBB415_1342:                           ;   in Loop: Header=BB415_13 Depth=1
	s_or_b32 exec_lo, exec_lo, s23
.LBB415_1343:                           ;   in Loop: Header=BB415_13 Depth=1
	s_delay_alu instid0(SALU_CYCLE_1)
	s_or_b32 exec_lo, exec_lo, s22
.LBB415_1344:                           ;   in Loop: Header=BB415_13 Depth=1
	s_delay_alu instid0(SALU_CYCLE_1) | instskip(NEXT) | instid1(VALU_DEP_1)
	s_or_b32 exec_lo, exec_lo, s21
	v_mul_f32_e32 v1, v144, v2
                                        ; implicit-def: $vgpr100
	s_delay_alu instid0(VALU_DEP_1) | instskip(NEXT) | instid1(VALU_DEP_1)
	v_and_b32_e32 v2, 0x7f800000, v1
	v_cmp_ne_u32_e64 s3, 0x7f800000, v2
	s_delay_alu instid0(VALU_DEP_1) | instskip(NEXT) | instid1(SALU_CYCLE_1)
	s_and_saveexec_b32 s21, s3
	s_xor_b32 s3, exec_lo, s21
; %bb.1345:                             ;   in Loop: Header=BB415_13 Depth=1
	v_bfe_u32 v2, v1, 16, 1
	s_delay_alu instid0(VALU_DEP_1)
	v_add3_u32 v100, v1, v2, 0x7fff
                                        ; implicit-def: $vgpr1
; %bb.1346:                             ;   in Loop: Header=BB415_13 Depth=1
	s_and_not1_saveexec_b32 s21, s3
; %bb.1347:                             ;   in Loop: Header=BB415_13 Depth=1
	v_and_b32_e32 v2, 0xffff, v1
	v_or_b32_e32 v3, 0x10000, v1
	s_delay_alu instid0(VALU_DEP_2) | instskip(NEXT) | instid1(VALU_DEP_1)
	v_cmp_eq_u32_e64 s3, 0, v2
	v_cndmask_b32_e64 v100, v3, v1, s3
; %bb.1348:                             ;   in Loop: Header=BB415_13 Depth=1
	s_or_b32 exec_lo, exec_lo, s21
	v_mov_b32_e32 v2, 0
	s_mov_b32 s21, exec_lo
	v_cmpx_lt_u32_e32 0xffffff, v0
	s_cbranch_execz .LBB415_1356
; %bb.1349:                             ;   in Loop: Header=BB415_13 Depth=1
	v_lshrrev_b32_e32 v1, 24, v0
	v_bfrev_b32_e32 v2, 1
	s_mov_b32 s22, exec_lo
	s_delay_alu instid0(VALU_DEP_2)
	v_cmpx_ne_u32_e32 0x80, v1
	s_cbranch_execz .LBB415_1355
; %bb.1350:                             ;   in Loop: Header=BB415_13 Depth=1
	v_bfe_u32 v3, v0, 24, 7
	v_mov_b32_e32 v2, 0x7f800001
	s_mov_b32 s23, exec_lo
	s_delay_alu instid0(VALU_DEP_2)
	v_cmpx_ne_u32_e32 0x7f, v3
	s_cbranch_execz .LBB415_1354
; %bb.1351:                             ;   in Loop: Header=BB415_13 Depth=1
	v_and_b32_e32 v28, 7, v1
	v_mov_b32_e32 v83, v29
	v_lshrrev_b32_e32 v0, 3, v3
	s_mov_b32 s24, exec_lo
	s_delay_alu instid0(VALU_DEP_3)
	v_mov_b32_e32 v82, v28
	v_cmpx_gt_u32_e32 8, v3
; %bb.1352:                             ;   in Loop: Header=BB415_13 Depth=1
	v_clz_i32_u32_e32 v0, v28
	s_delay_alu instid0(VALU_DEP_1) | instskip(NEXT) | instid1(VALU_DEP_1)
	v_min_u32_e32 v0, 32, v0
	v_subrev_nc_u32_e32 v2, 28, v0
	v_sub_nc_u32_e32 v0, 29, v0
	s_delay_alu instid0(VALU_DEP_2) | instskip(NEXT) | instid1(VALU_DEP_1)
	v_lshlrev_b64 v[2:3], v2, v[28:29]
	v_and_b32_e32 v82, 7, v2
; %bb.1353:                             ;   in Loop: Header=BB415_13 Depth=1
	s_or_b32 exec_lo, exec_lo, s24
	v_lshlrev_b32_e32 v1, 24, v1
	s_delay_alu instid0(VALU_DEP_2) | instskip(SKIP_1) | instid1(VALU_DEP_3)
	v_lshlrev_b32_e32 v2, 20, v82
	v_lshl_add_u32 v0, v0, 23, 0x3c000000
	v_and_b32_e32 v1, 0x80000000, v1
	s_delay_alu instid0(VALU_DEP_1)
	v_or3_b32 v2, v2, v1, v0
.LBB415_1354:                           ;   in Loop: Header=BB415_13 Depth=1
	s_or_b32 exec_lo, exec_lo, s23
.LBB415_1355:                           ;   in Loop: Header=BB415_13 Depth=1
	s_delay_alu instid0(SALU_CYCLE_1)
	s_or_b32 exec_lo, exec_lo, s22
.LBB415_1356:                           ;   in Loop: Header=BB415_13 Depth=1
	s_delay_alu instid0(SALU_CYCLE_1) | instskip(NEXT) | instid1(VALU_DEP_1)
	s_or_b32 exec_lo, exec_lo, s21
	v_mul_f32_e32 v0, v144, v2
                                        ; implicit-def: $vgpr101
	s_delay_alu instid0(VALU_DEP_1) | instskip(NEXT) | instid1(VALU_DEP_1)
	v_and_b32_e32 v1, 0x7f800000, v0
	v_cmp_ne_u32_e64 s3, 0x7f800000, v1
	s_delay_alu instid0(VALU_DEP_1) | instskip(NEXT) | instid1(SALU_CYCLE_1)
	s_and_saveexec_b32 s21, s3
	s_xor_b32 s3, exec_lo, s21
; %bb.1357:                             ;   in Loop: Header=BB415_13 Depth=1
	v_bfe_u32 v1, v0, 16, 1
	s_delay_alu instid0(VALU_DEP_1)
	v_add3_u32 v101, v0, v1, 0x7fff
                                        ; implicit-def: $vgpr0
; %bb.1358:                             ;   in Loop: Header=BB415_13 Depth=1
	s_and_not1_saveexec_b32 s21, s3
; %bb.1359:                             ;   in Loop: Header=BB415_13 Depth=1
	v_and_b32_e32 v1, 0xffff, v0
	v_or_b32_e32 v2, 0x10000, v0
	s_delay_alu instid0(VALU_DEP_2) | instskip(NEXT) | instid1(VALU_DEP_1)
	v_cmp_eq_u32_e64 s3, 0, v1
	v_cndmask_b32_e64 v101, v2, v0, s3
; %bb.1360:                             ;   in Loop: Header=BB415_13 Depth=1
	s_or_b32 exec_lo, exec_lo, s21
	flat_load_b32 v0, v[80:81] offset:3584
	s_mov_b32 s21, exec_lo
	s_waitcnt vmcnt(0) lgkmcnt(0)
	v_dual_mov_b32 v1, 0 :: v_dual_and_b32 v2, 0xff, v0
	s_delay_alu instid0(VALU_DEP_1)
	v_cmpx_ne_u16_e32 0, v2
	s_cbranch_execz .LBB415_1368
; %bb.1361:                             ;   in Loop: Header=BB415_13 Depth=1
	v_bfrev_b32_e32 v1, 1
	s_mov_b32 s22, exec_lo
	v_cmpx_ne_u16_e32 0x80, v2
	s_cbranch_execz .LBB415_1367
; %bb.1362:                             ;   in Loop: Header=BB415_13 Depth=1
	v_and_b32_e32 v2, 0x7f, v0
	v_mov_b32_e32 v1, 0x7f800001
	s_mov_b32 s23, exec_lo
	s_delay_alu instid0(VALU_DEP_2)
	v_cmpx_ne_u32_e32 0x7f, v2
	s_cbranch_execz .LBB415_1366
; %bb.1363:                             ;   in Loop: Header=BB415_13 Depth=1
	v_and_b32_e32 v28, 7, v0
	v_mov_b32_e32 v83, v29
	v_lshrrev_b32_e32 v1, 3, v2
	s_mov_b32 s24, exec_lo
	s_delay_alu instid0(VALU_DEP_3)
	v_mov_b32_e32 v82, v28
	v_cmpx_gt_u32_e32 8, v2
; %bb.1364:                             ;   in Loop: Header=BB415_13 Depth=1
	v_clz_i32_u32_e32 v1, v28
	s_delay_alu instid0(VALU_DEP_1) | instskip(NEXT) | instid1(VALU_DEP_1)
	v_min_u32_e32 v1, 32, v1
	v_subrev_nc_u32_e32 v2, 28, v1
	v_sub_nc_u32_e32 v1, 29, v1
	s_delay_alu instid0(VALU_DEP_2) | instskip(NEXT) | instid1(VALU_DEP_1)
	v_lshlrev_b64 v[2:3], v2, v[28:29]
	v_and_b32_e32 v82, 7, v2
; %bb.1365:                             ;   in Loop: Header=BB415_13 Depth=1
	s_or_b32 exec_lo, exec_lo, s24
	v_lshlrev_b32_e32 v2, 24, v0
	s_delay_alu instid0(VALU_DEP_2) | instskip(SKIP_1) | instid1(VALU_DEP_3)
	v_lshlrev_b32_e32 v3, 20, v82
	v_lshl_add_u32 v1, v1, 23, 0x3c000000
	v_and_b32_e32 v2, 0x80000000, v2
	s_delay_alu instid0(VALU_DEP_1)
	v_or3_b32 v1, v3, v2, v1
.LBB415_1366:                           ;   in Loop: Header=BB415_13 Depth=1
	s_or_b32 exec_lo, exec_lo, s23
.LBB415_1367:                           ;   in Loop: Header=BB415_13 Depth=1
	s_delay_alu instid0(SALU_CYCLE_1)
	s_or_b32 exec_lo, exec_lo, s22
.LBB415_1368:                           ;   in Loop: Header=BB415_13 Depth=1
	s_delay_alu instid0(SALU_CYCLE_1) | instskip(NEXT) | instid1(VALU_DEP_1)
	s_or_b32 exec_lo, exec_lo, s21
	v_mul_f32_e32 v1, v144, v1
                                        ; implicit-def: $vgpr21
	s_delay_alu instid0(VALU_DEP_1) | instskip(NEXT) | instid1(VALU_DEP_1)
	v_and_b32_e32 v2, 0x7f800000, v1
	v_cmp_ne_u32_e64 s3, 0x7f800000, v2
	s_delay_alu instid0(VALU_DEP_1) | instskip(NEXT) | instid1(SALU_CYCLE_1)
	s_and_saveexec_b32 s21, s3
	s_xor_b32 s3, exec_lo, s21
; %bb.1369:                             ;   in Loop: Header=BB415_13 Depth=1
	v_bfe_u32 v2, v1, 16, 1
	s_delay_alu instid0(VALU_DEP_1)
	v_add3_u32 v21, v1, v2, 0x7fff
                                        ; implicit-def: $vgpr1
; %bb.1370:                             ;   in Loop: Header=BB415_13 Depth=1
	s_and_not1_saveexec_b32 s21, s3
; %bb.1371:                             ;   in Loop: Header=BB415_13 Depth=1
	v_and_b32_e32 v2, 0xffff, v1
	v_or_b32_e32 v3, 0x10000, v1
	s_delay_alu instid0(VALU_DEP_2) | instskip(NEXT) | instid1(VALU_DEP_1)
	v_cmp_eq_u32_e64 s3, 0, v2
	v_cndmask_b32_e64 v21, v3, v1, s3
; %bb.1372:                             ;   in Loop: Header=BB415_13 Depth=1
	s_or_b32 exec_lo, exec_lo, s21
	v_lshrrev_b16 v2, 8, v0
	v_mov_b32_e32 v1, 0
	s_mov_b32 s21, exec_lo
	s_delay_alu instid0(VALU_DEP_2)
	v_cmpx_ne_u16_e32 0, v2
	s_cbranch_execz .LBB415_1380
; %bb.1373:                             ;   in Loop: Header=BB415_13 Depth=1
	v_bfrev_b32_e32 v1, 1
	s_mov_b32 s22, exec_lo
	v_cmpx_ne_u16_e32 0x80, v2
	s_cbranch_execz .LBB415_1379
; %bb.1374:                             ;   in Loop: Header=BB415_13 Depth=1
	v_and_b32_e32 v3, 0xffff, v2
	v_mov_b32_e32 v1, 0x7f800001
	s_mov_b32 s23, exec_lo
	s_delay_alu instid0(VALU_DEP_2) | instskip(NEXT) | instid1(VALU_DEP_1)
	v_and_b32_e32 v2, 0x7f, v3
	v_cmpx_ne_u32_e32 0x7f, v2
	s_cbranch_execz .LBB415_1378
; %bb.1375:                             ;   in Loop: Header=BB415_13 Depth=1
	v_and_b32_e32 v28, 7, v3
	v_mov_b32_e32 v83, v29
	v_lshrrev_b32_e32 v1, 3, v2
	s_mov_b32 s24, exec_lo
	s_delay_alu instid0(VALU_DEP_3)
	v_mov_b32_e32 v82, v28
	v_cmpx_gt_u32_e32 8, v2
; %bb.1376:                             ;   in Loop: Header=BB415_13 Depth=1
	v_clz_i32_u32_e32 v1, v28
	s_delay_alu instid0(VALU_DEP_1) | instskip(NEXT) | instid1(VALU_DEP_1)
	v_min_u32_e32 v1, 32, v1
	v_subrev_nc_u32_e32 v2, 28, v1
	v_sub_nc_u32_e32 v1, 29, v1
	s_delay_alu instid0(VALU_DEP_2) | instskip(NEXT) | instid1(VALU_DEP_1)
	v_lshlrev_b64 v[2:3], v2, v[28:29]
	v_and_b32_e32 v82, 7, v2
; %bb.1377:                             ;   in Loop: Header=BB415_13 Depth=1
	s_or_b32 exec_lo, exec_lo, s24
	v_lshlrev_b32_e32 v2, 16, v0
	s_delay_alu instid0(VALU_DEP_2) | instskip(SKIP_1) | instid1(VALU_DEP_3)
	v_lshlrev_b32_e32 v3, 20, v82
	v_lshl_add_u32 v1, v1, 23, 0x3c000000
	v_and_b32_e32 v2, 0x80000000, v2
	s_delay_alu instid0(VALU_DEP_1)
	v_or3_b32 v1, v3, v2, v1
.LBB415_1378:                           ;   in Loop: Header=BB415_13 Depth=1
	s_or_b32 exec_lo, exec_lo, s23
.LBB415_1379:                           ;   in Loop: Header=BB415_13 Depth=1
	s_delay_alu instid0(SALU_CYCLE_1)
	s_or_b32 exec_lo, exec_lo, s22
.LBB415_1380:                           ;   in Loop: Header=BB415_13 Depth=1
	s_delay_alu instid0(SALU_CYCLE_1) | instskip(NEXT) | instid1(VALU_DEP_1)
	s_or_b32 exec_lo, exec_lo, s21
	v_mul_f32_e32 v1, v144, v1
                                        ; implicit-def: $vgpr66
	s_delay_alu instid0(VALU_DEP_1) | instskip(NEXT) | instid1(VALU_DEP_1)
	v_and_b32_e32 v2, 0x7f800000, v1
	v_cmp_ne_u32_e64 s3, 0x7f800000, v2
	s_delay_alu instid0(VALU_DEP_1) | instskip(NEXT) | instid1(SALU_CYCLE_1)
	s_and_saveexec_b32 s21, s3
	s_xor_b32 s3, exec_lo, s21
; %bb.1381:                             ;   in Loop: Header=BB415_13 Depth=1
	v_bfe_u32 v2, v1, 16, 1
	s_delay_alu instid0(VALU_DEP_1)
	v_add3_u32 v66, v1, v2, 0x7fff
                                        ; implicit-def: $vgpr1
; %bb.1382:                             ;   in Loop: Header=BB415_13 Depth=1
	s_and_not1_saveexec_b32 s21, s3
; %bb.1383:                             ;   in Loop: Header=BB415_13 Depth=1
	v_and_b32_e32 v2, 0xffff, v1
	v_or_b32_e32 v3, 0x10000, v1
	s_delay_alu instid0(VALU_DEP_2) | instskip(NEXT) | instid1(VALU_DEP_1)
	v_cmp_eq_u32_e64 s3, 0, v2
	v_cndmask_b32_e64 v66, v3, v1, s3
; %bb.1384:                             ;   in Loop: Header=BB415_13 Depth=1
	s_or_b32 exec_lo, exec_lo, s21
	v_lshrrev_b32_e32 v1, 16, v0
	s_mov_b32 s21, exec_lo
	s_delay_alu instid0(VALU_DEP_1) | instskip(NEXT) | instid1(VALU_DEP_1)
	v_dual_mov_b32 v2, 0 :: v_dual_and_b32 v3, 0xff, v1
	v_cmpx_ne_u16_e32 0, v3
	s_cbranch_execz .LBB415_1392
; %bb.1385:                             ;   in Loop: Header=BB415_13 Depth=1
	v_bfrev_b32_e32 v2, 1
	s_mov_b32 s22, exec_lo
	v_cmpx_ne_u16_e32 0x80, v3
	s_cbranch_execz .LBB415_1391
; %bb.1386:                             ;   in Loop: Header=BB415_13 Depth=1
	v_bfe_u32 v3, v0, 16, 7
	v_mov_b32_e32 v2, 0x7f800001
	s_mov_b32 s23, exec_lo
	s_delay_alu instid0(VALU_DEP_2)
	v_cmpx_ne_u32_e32 0x7f, v3
	s_cbranch_execz .LBB415_1390
; %bb.1387:                             ;   in Loop: Header=BB415_13 Depth=1
	v_and_b32_e32 v28, 7, v1
	v_mov_b32_e32 v83, v29
	v_lshrrev_b32_e32 v2, 3, v3
	s_mov_b32 s24, exec_lo
	s_delay_alu instid0(VALU_DEP_3)
	v_mov_b32_e32 v82, v28
	v_cmpx_gt_u32_e32 8, v3
; %bb.1388:                             ;   in Loop: Header=BB415_13 Depth=1
	v_clz_i32_u32_e32 v2, v28
	s_delay_alu instid0(VALU_DEP_1) | instskip(NEXT) | instid1(VALU_DEP_1)
	v_min_u32_e32 v2, 32, v2
	v_subrev_nc_u32_e32 v3, 28, v2
	v_sub_nc_u32_e32 v2, 29, v2
	s_delay_alu instid0(VALU_DEP_2) | instskip(NEXT) | instid1(VALU_DEP_1)
	v_lshlrev_b64 v[10:11], v3, v[28:29]
	v_and_b32_e32 v82, 7, v10
; %bb.1389:                             ;   in Loop: Header=BB415_13 Depth=1
	s_or_b32 exec_lo, exec_lo, s24
	v_lshlrev_b32_e32 v1, 24, v1
	s_delay_alu instid0(VALU_DEP_2) | instskip(SKIP_1) | instid1(VALU_DEP_3)
	v_lshlrev_b32_e32 v3, 20, v82
	v_lshl_add_u32 v2, v2, 23, 0x3c000000
	v_and_b32_e32 v1, 0x80000000, v1
	s_delay_alu instid0(VALU_DEP_1)
	v_or3_b32 v2, v3, v1, v2
.LBB415_1390:                           ;   in Loop: Header=BB415_13 Depth=1
	s_or_b32 exec_lo, exec_lo, s23
.LBB415_1391:                           ;   in Loop: Header=BB415_13 Depth=1
	s_delay_alu instid0(SALU_CYCLE_1)
	s_or_b32 exec_lo, exec_lo, s22
.LBB415_1392:                           ;   in Loop: Header=BB415_13 Depth=1
	s_delay_alu instid0(SALU_CYCLE_1) | instskip(NEXT) | instid1(VALU_DEP_1)
	s_or_b32 exec_lo, exec_lo, s21
	v_mul_f32_e32 v1, v144, v2
                                        ; implicit-def: $vgpr67
	s_delay_alu instid0(VALU_DEP_1) | instskip(NEXT) | instid1(VALU_DEP_1)
	v_and_b32_e32 v2, 0x7f800000, v1
	v_cmp_ne_u32_e64 s3, 0x7f800000, v2
	s_delay_alu instid0(VALU_DEP_1) | instskip(NEXT) | instid1(SALU_CYCLE_1)
	s_and_saveexec_b32 s21, s3
	s_xor_b32 s3, exec_lo, s21
; %bb.1393:                             ;   in Loop: Header=BB415_13 Depth=1
	v_bfe_u32 v2, v1, 16, 1
	s_delay_alu instid0(VALU_DEP_1)
	v_add3_u32 v67, v1, v2, 0x7fff
                                        ; implicit-def: $vgpr1
; %bb.1394:                             ;   in Loop: Header=BB415_13 Depth=1
	s_and_not1_saveexec_b32 s21, s3
; %bb.1395:                             ;   in Loop: Header=BB415_13 Depth=1
	v_and_b32_e32 v2, 0xffff, v1
	v_or_b32_e32 v3, 0x10000, v1
	s_delay_alu instid0(VALU_DEP_2) | instskip(NEXT) | instid1(VALU_DEP_1)
	v_cmp_eq_u32_e64 s3, 0, v2
	v_cndmask_b32_e64 v67, v3, v1, s3
; %bb.1396:                             ;   in Loop: Header=BB415_13 Depth=1
	s_or_b32 exec_lo, exec_lo, s21
	v_mov_b32_e32 v2, 0
	s_mov_b32 s21, exec_lo
	v_cmpx_lt_u32_e32 0xffffff, v0
	s_cbranch_execz .LBB415_1404
; %bb.1397:                             ;   in Loop: Header=BB415_13 Depth=1
	v_lshrrev_b32_e32 v1, 24, v0
	v_bfrev_b32_e32 v2, 1
	s_mov_b32 s22, exec_lo
	s_delay_alu instid0(VALU_DEP_2)
	v_cmpx_ne_u32_e32 0x80, v1
	s_cbranch_execz .LBB415_1403
; %bb.1398:                             ;   in Loop: Header=BB415_13 Depth=1
	v_bfe_u32 v3, v0, 24, 7
	v_mov_b32_e32 v2, 0x7f800001
	s_mov_b32 s23, exec_lo
	s_delay_alu instid0(VALU_DEP_2)
	v_cmpx_ne_u32_e32 0x7f, v3
	s_cbranch_execz .LBB415_1402
; %bb.1399:                             ;   in Loop: Header=BB415_13 Depth=1
	v_and_b32_e32 v28, 7, v1
	v_mov_b32_e32 v83, v29
	v_lshrrev_b32_e32 v0, 3, v3
	s_mov_b32 s24, exec_lo
	s_delay_alu instid0(VALU_DEP_3)
	v_mov_b32_e32 v82, v28
	v_cmpx_gt_u32_e32 8, v3
; %bb.1400:                             ;   in Loop: Header=BB415_13 Depth=1
	v_clz_i32_u32_e32 v0, v28
	s_delay_alu instid0(VALU_DEP_1) | instskip(NEXT) | instid1(VALU_DEP_1)
	v_min_u32_e32 v0, 32, v0
	v_subrev_nc_u32_e32 v2, 28, v0
	v_sub_nc_u32_e32 v0, 29, v0
	s_delay_alu instid0(VALU_DEP_2) | instskip(NEXT) | instid1(VALU_DEP_1)
	v_lshlrev_b64 v[2:3], v2, v[28:29]
	v_and_b32_e32 v82, 7, v2
; %bb.1401:                             ;   in Loop: Header=BB415_13 Depth=1
	s_or_b32 exec_lo, exec_lo, s24
	v_lshlrev_b32_e32 v1, 24, v1
	s_delay_alu instid0(VALU_DEP_2) | instskip(SKIP_1) | instid1(VALU_DEP_3)
	v_lshlrev_b32_e32 v2, 20, v82
	v_lshl_add_u32 v0, v0, 23, 0x3c000000
	v_and_b32_e32 v1, 0x80000000, v1
	s_delay_alu instid0(VALU_DEP_1)
	v_or3_b32 v2, v2, v1, v0
.LBB415_1402:                           ;   in Loop: Header=BB415_13 Depth=1
	s_or_b32 exec_lo, exec_lo, s23
.LBB415_1403:                           ;   in Loop: Header=BB415_13 Depth=1
	s_delay_alu instid0(SALU_CYCLE_1)
	s_or_b32 exec_lo, exec_lo, s22
.LBB415_1404:                           ;   in Loop: Header=BB415_13 Depth=1
	s_delay_alu instid0(SALU_CYCLE_1) | instskip(NEXT) | instid1(VALU_DEP_1)
	s_or_b32 exec_lo, exec_lo, s21
	v_mul_f32_e32 v0, v144, v2
                                        ; implicit-def: $vgpr12
	s_delay_alu instid0(VALU_DEP_1) | instskip(NEXT) | instid1(VALU_DEP_1)
	v_and_b32_e32 v1, 0x7f800000, v0
	v_cmp_ne_u32_e64 s3, 0x7f800000, v1
	s_delay_alu instid0(VALU_DEP_1) | instskip(NEXT) | instid1(SALU_CYCLE_1)
	s_and_saveexec_b32 s21, s3
	s_xor_b32 s3, exec_lo, s21
; %bb.1405:                             ;   in Loop: Header=BB415_13 Depth=1
	v_bfe_u32 v1, v0, 16, 1
	s_delay_alu instid0(VALU_DEP_1)
	v_add3_u32 v12, v0, v1, 0x7fff
                                        ; implicit-def: $vgpr0
; %bb.1406:                             ;   in Loop: Header=BB415_13 Depth=1
	s_and_not1_saveexec_b32 s21, s3
; %bb.1407:                             ;   in Loop: Header=BB415_13 Depth=1
	v_and_b32_e32 v1, 0xffff, v0
	v_or_b32_e32 v2, 0x10000, v0
	s_delay_alu instid0(VALU_DEP_2) | instskip(NEXT) | instid1(VALU_DEP_1)
	v_cmp_eq_u32_e64 s3, 0, v1
	v_cndmask_b32_e64 v12, v2, v0, s3
; %bb.1408:                             ;   in Loop: Header=BB415_13 Depth=1
	s_or_b32 exec_lo, exec_lo, s21
	flat_load_b32 v2, v[80:81] offset:3592
	s_mov_b32 s21, exec_lo
	s_waitcnt vmcnt(0) lgkmcnt(0)
	v_dual_mov_b32 v0, 0 :: v_dual_and_b32 v1, 0xff, v2
	s_delay_alu instid0(VALU_DEP_1)
	v_cmpx_ne_u16_e32 0, v1
	s_cbranch_execz .LBB415_1416
; %bb.1409:                             ;   in Loop: Header=BB415_13 Depth=1
	v_bfrev_b32_e32 v0, 1
	s_mov_b32 s22, exec_lo
	v_cmpx_ne_u16_e32 0x80, v1
	s_cbranch_execz .LBB415_1415
; %bb.1410:                             ;   in Loop: Header=BB415_13 Depth=1
	v_and_b32_e32 v1, 0x7f, v2
	v_mov_b32_e32 v0, 0x7f800001
	s_mov_b32 s23, exec_lo
	s_delay_alu instid0(VALU_DEP_2)
	v_cmpx_ne_u32_e32 0x7f, v1
	s_cbranch_execz .LBB415_1414
; %bb.1411:                             ;   in Loop: Header=BB415_13 Depth=1
	v_and_b32_e32 v28, 7, v2
	v_mov_b32_e32 v83, v29
	v_lshrrev_b32_e32 v0, 3, v1
	s_mov_b32 s24, exec_lo
	s_delay_alu instid0(VALU_DEP_3)
	v_mov_b32_e32 v82, v28
	v_cmpx_gt_u32_e32 8, v1
; %bb.1412:                             ;   in Loop: Header=BB415_13 Depth=1
	v_clz_i32_u32_e32 v0, v28
	s_delay_alu instid0(VALU_DEP_1) | instskip(NEXT) | instid1(VALU_DEP_1)
	v_min_u32_e32 v0, 32, v0
	v_subrev_nc_u32_e32 v1, 28, v0
	v_sub_nc_u32_e32 v0, 29, v0
	s_delay_alu instid0(VALU_DEP_2) | instskip(NEXT) | instid1(VALU_DEP_1)
	v_lshlrev_b64 v[10:11], v1, v[28:29]
	v_and_b32_e32 v82, 7, v10
; %bb.1413:                             ;   in Loop: Header=BB415_13 Depth=1
	s_or_b32 exec_lo, exec_lo, s24
	v_lshlrev_b32_e32 v1, 24, v2
	s_delay_alu instid0(VALU_DEP_2) | instskip(SKIP_1) | instid1(VALU_DEP_3)
	v_lshlrev_b32_e32 v3, 20, v82
	v_lshl_add_u32 v0, v0, 23, 0x3c000000
	v_and_b32_e32 v1, 0x80000000, v1
	s_delay_alu instid0(VALU_DEP_1)
	v_or3_b32 v0, v3, v1, v0
.LBB415_1414:                           ;   in Loop: Header=BB415_13 Depth=1
	s_or_b32 exec_lo, exec_lo, s23
.LBB415_1415:                           ;   in Loop: Header=BB415_13 Depth=1
	s_delay_alu instid0(SALU_CYCLE_1)
	s_or_b32 exec_lo, exec_lo, s22
.LBB415_1416:                           ;   in Loop: Header=BB415_13 Depth=1
	s_delay_alu instid0(SALU_CYCLE_1) | instskip(NEXT) | instid1(VALU_DEP_1)
	s_or_b32 exec_lo, exec_lo, s21
	v_mul_f32_e32 v0, v144, v0
                                        ; implicit-def: $vgpr130
	s_delay_alu instid0(VALU_DEP_1) | instskip(NEXT) | instid1(VALU_DEP_1)
	v_and_b32_e32 v1, 0x7f800000, v0
	v_cmp_ne_u32_e64 s3, 0x7f800000, v1
	s_delay_alu instid0(VALU_DEP_1) | instskip(NEXT) | instid1(SALU_CYCLE_1)
	s_and_saveexec_b32 s21, s3
	s_xor_b32 s3, exec_lo, s21
; %bb.1417:                             ;   in Loop: Header=BB415_13 Depth=1
	v_bfe_u32 v1, v0, 16, 1
	s_delay_alu instid0(VALU_DEP_1)
	v_add3_u32 v130, v0, v1, 0x7fff
                                        ; implicit-def: $vgpr0
; %bb.1418:                             ;   in Loop: Header=BB415_13 Depth=1
	s_and_not1_saveexec_b32 s21, s3
; %bb.1419:                             ;   in Loop: Header=BB415_13 Depth=1
	v_and_b32_e32 v1, 0xffff, v0
	v_or_b32_e32 v3, 0x10000, v0
	s_delay_alu instid0(VALU_DEP_2) | instskip(NEXT) | instid1(VALU_DEP_1)
	v_cmp_eq_u32_e64 s3, 0, v1
	v_cndmask_b32_e64 v130, v3, v0, s3
; %bb.1420:                             ;   in Loop: Header=BB415_13 Depth=1
	s_or_b32 exec_lo, exec_lo, s21
	v_lshrrev_b16 v1, 8, v2
	v_mov_b32_e32 v0, 0
	s_mov_b32 s21, exec_lo
	s_delay_alu instid0(VALU_DEP_2)
	v_cmpx_ne_u16_e32 0, v1
	s_cbranch_execz .LBB415_1428
; %bb.1421:                             ;   in Loop: Header=BB415_13 Depth=1
	v_bfrev_b32_e32 v0, 1
	s_mov_b32 s22, exec_lo
	v_cmpx_ne_u16_e32 0x80, v1
	s_cbranch_execz .LBB415_1427
; %bb.1422:                             ;   in Loop: Header=BB415_13 Depth=1
	v_and_b32_e32 v3, 0xffff, v1
	v_mov_b32_e32 v0, 0x7f800001
	s_mov_b32 s23, exec_lo
	s_delay_alu instid0(VALU_DEP_2) | instskip(NEXT) | instid1(VALU_DEP_1)
	v_and_b32_e32 v1, 0x7f, v3
	v_cmpx_ne_u32_e32 0x7f, v1
	s_cbranch_execz .LBB415_1426
; %bb.1423:                             ;   in Loop: Header=BB415_13 Depth=1
	v_and_b32_e32 v28, 7, v3
	v_mov_b32_e32 v83, v29
	v_lshrrev_b32_e32 v0, 3, v1
	s_mov_b32 s24, exec_lo
	s_delay_alu instid0(VALU_DEP_3)
	v_mov_b32_e32 v82, v28
	v_cmpx_gt_u32_e32 8, v1
; %bb.1424:                             ;   in Loop: Header=BB415_13 Depth=1
	v_clz_i32_u32_e32 v0, v28
	s_delay_alu instid0(VALU_DEP_1) | instskip(NEXT) | instid1(VALU_DEP_1)
	v_min_u32_e32 v0, 32, v0
	v_subrev_nc_u32_e32 v1, 28, v0
	v_sub_nc_u32_e32 v0, 29, v0
	s_delay_alu instid0(VALU_DEP_2) | instskip(NEXT) | instid1(VALU_DEP_1)
	v_lshlrev_b64 v[10:11], v1, v[28:29]
	v_and_b32_e32 v82, 7, v10
; %bb.1425:                             ;   in Loop: Header=BB415_13 Depth=1
	s_or_b32 exec_lo, exec_lo, s24
	v_lshlrev_b32_e32 v1, 16, v2
	s_delay_alu instid0(VALU_DEP_2) | instskip(SKIP_1) | instid1(VALU_DEP_3)
	v_lshlrev_b32_e32 v3, 20, v82
	v_lshl_add_u32 v0, v0, 23, 0x3c000000
	v_and_b32_e32 v1, 0x80000000, v1
	s_delay_alu instid0(VALU_DEP_1)
	v_or3_b32 v0, v3, v1, v0
.LBB415_1426:                           ;   in Loop: Header=BB415_13 Depth=1
	s_or_b32 exec_lo, exec_lo, s23
.LBB415_1427:                           ;   in Loop: Header=BB415_13 Depth=1
	s_delay_alu instid0(SALU_CYCLE_1)
	s_or_b32 exec_lo, exec_lo, s22
.LBB415_1428:                           ;   in Loop: Header=BB415_13 Depth=1
	s_delay_alu instid0(SALU_CYCLE_1) | instskip(NEXT) | instid1(VALU_DEP_1)
	s_or_b32 exec_lo, exec_lo, s21
	v_mul_f32_e32 v0, v144, v0
	s_delay_alu instid0(VALU_DEP_1) | instskip(NEXT) | instid1(VALU_DEP_1)
	v_and_b32_e32 v1, 0x7f800000, v0
	v_cmp_ne_u32_e64 s3, 0x7f800000, v1
                                        ; implicit-def: $vgpr1
	s_delay_alu instid0(VALU_DEP_1) | instskip(NEXT) | instid1(SALU_CYCLE_1)
	s_and_saveexec_b32 s21, s3
	s_xor_b32 s3, exec_lo, s21
; %bb.1429:                             ;   in Loop: Header=BB415_13 Depth=1
	v_bfe_u32 v1, v0, 16, 1
	s_delay_alu instid0(VALU_DEP_1)
	v_add3_u32 v1, v0, v1, 0x7fff
                                        ; implicit-def: $vgpr0
; %bb.1430:                             ;   in Loop: Header=BB415_13 Depth=1
	s_and_not1_saveexec_b32 s21, s3
; %bb.1431:                             ;   in Loop: Header=BB415_13 Depth=1
	v_and_b32_e32 v1, 0xffff, v0
	v_or_b32_e32 v3, 0x10000, v0
	s_delay_alu instid0(VALU_DEP_2) | instskip(NEXT) | instid1(VALU_DEP_1)
	v_cmp_eq_u32_e64 s3, 0, v1
	v_cndmask_b32_e64 v1, v3, v0, s3
; %bb.1432:                             ;   in Loop: Header=BB415_13 Depth=1
	s_or_b32 exec_lo, exec_lo, s21
	v_lshrrev_b32_e32 v0, 16, v2
	s_mov_b32 s21, exec_lo
	s_delay_alu instid0(VALU_DEP_1) | instskip(NEXT) | instid1(VALU_DEP_1)
	v_dual_mov_b32 v3, 0 :: v_dual_and_b32 v10, 0xff, v0
	v_cmpx_ne_u16_e32 0, v10
	s_cbranch_execz .LBB415_1440
; %bb.1433:                             ;   in Loop: Header=BB415_13 Depth=1
	v_bfrev_b32_e32 v3, 1
	s_mov_b32 s22, exec_lo
	v_cmpx_ne_u16_e32 0x80, v10
	s_cbranch_execz .LBB415_1439
; %bb.1434:                             ;   in Loop: Header=BB415_13 Depth=1
	v_bfe_u32 v10, v2, 16, 7
	v_mov_b32_e32 v3, 0x7f800001
	s_mov_b32 s23, exec_lo
	s_delay_alu instid0(VALU_DEP_2)
	v_cmpx_ne_u32_e32 0x7f, v10
	s_cbranch_execz .LBB415_1438
; %bb.1435:                             ;   in Loop: Header=BB415_13 Depth=1
	v_and_b32_e32 v28, 7, v0
	v_mov_b32_e32 v83, v29
	v_lshrrev_b32_e32 v3, 3, v10
	s_mov_b32 s24, exec_lo
	s_delay_alu instid0(VALU_DEP_3)
	v_mov_b32_e32 v82, v28
	v_cmpx_gt_u32_e32 8, v10
; %bb.1436:                             ;   in Loop: Header=BB415_13 Depth=1
	v_clz_i32_u32_e32 v3, v28
	s_delay_alu instid0(VALU_DEP_1) | instskip(NEXT) | instid1(VALU_DEP_1)
	v_min_u32_e32 v3, 32, v3
	v_subrev_nc_u32_e32 v10, 28, v3
	v_sub_nc_u32_e32 v3, 29, v3
	s_delay_alu instid0(VALU_DEP_2) | instskip(NEXT) | instid1(VALU_DEP_1)
	v_lshlrev_b64 v[10:11], v10, v[28:29]
	v_and_b32_e32 v82, 7, v10
; %bb.1437:                             ;   in Loop: Header=BB415_13 Depth=1
	s_or_b32 exec_lo, exec_lo, s24
	v_lshlrev_b32_e32 v0, 24, v0
	s_delay_alu instid0(VALU_DEP_2) | instskip(SKIP_1) | instid1(VALU_DEP_3)
	v_lshlrev_b32_e32 v10, 20, v82
	v_lshl_add_u32 v3, v3, 23, 0x3c000000
	v_and_b32_e32 v0, 0x80000000, v0
	s_delay_alu instid0(VALU_DEP_1)
	v_or3_b32 v3, v10, v0, v3
.LBB415_1438:                           ;   in Loop: Header=BB415_13 Depth=1
	s_or_b32 exec_lo, exec_lo, s23
.LBB415_1439:                           ;   in Loop: Header=BB415_13 Depth=1
	s_delay_alu instid0(SALU_CYCLE_1)
	s_or_b32 exec_lo, exec_lo, s22
.LBB415_1440:                           ;   in Loop: Header=BB415_13 Depth=1
	s_delay_alu instid0(SALU_CYCLE_1) | instskip(NEXT) | instid1(VALU_DEP_1)
	s_or_b32 exec_lo, exec_lo, s21
	v_mul_f32_e32 v3, v144, v3
	s_delay_alu instid0(VALU_DEP_1) | instskip(NEXT) | instid1(VALU_DEP_1)
	v_and_b32_e32 v0, 0x7f800000, v3
	v_cmp_ne_u32_e64 s3, 0x7f800000, v0
                                        ; implicit-def: $vgpr0
	s_delay_alu instid0(VALU_DEP_1) | instskip(NEXT) | instid1(SALU_CYCLE_1)
	s_and_saveexec_b32 s21, s3
	s_xor_b32 s3, exec_lo, s21
; %bb.1441:                             ;   in Loop: Header=BB415_13 Depth=1
	v_bfe_u32 v0, v3, 16, 1
	s_delay_alu instid0(VALU_DEP_1)
	v_add3_u32 v0, v3, v0, 0x7fff
                                        ; implicit-def: $vgpr3
; %bb.1442:                             ;   in Loop: Header=BB415_13 Depth=1
	s_and_not1_saveexec_b32 s21, s3
; %bb.1443:                             ;   in Loop: Header=BB415_13 Depth=1
	v_and_b32_e32 v0, 0xffff, v3
	v_or_b32_e32 v10, 0x10000, v3
	s_delay_alu instid0(VALU_DEP_2) | instskip(NEXT) | instid1(VALU_DEP_1)
	v_cmp_eq_u32_e64 s3, 0, v0
	v_cndmask_b32_e64 v0, v10, v3, s3
; %bb.1444:                             ;   in Loop: Header=BB415_13 Depth=1
	s_or_b32 exec_lo, exec_lo, s21
	v_mov_b32_e32 v10, 0
	s_mov_b32 s21, exec_lo
	v_cmpx_lt_u32_e32 0xffffff, v2
	s_cbranch_execz .LBB415_1452
; %bb.1445:                             ;   in Loop: Header=BB415_13 Depth=1
	v_lshrrev_b32_e32 v3, 24, v2
	v_bfrev_b32_e32 v10, 1
	s_mov_b32 s22, exec_lo
	s_delay_alu instid0(VALU_DEP_2)
	v_cmpx_ne_u32_e32 0x80, v3
	s_cbranch_execz .LBB415_1451
; %bb.1446:                             ;   in Loop: Header=BB415_13 Depth=1
	v_bfe_u32 v11, v2, 24, 7
	v_mov_b32_e32 v10, 0x7f800001
	s_mov_b32 s23, exec_lo
	s_delay_alu instid0(VALU_DEP_2)
	v_cmpx_ne_u32_e32 0x7f, v11
	s_cbranch_execz .LBB415_1450
; %bb.1447:                             ;   in Loop: Header=BB415_13 Depth=1
	v_and_b32_e32 v28, 7, v3
	v_mov_b32_e32 v83, v29
	v_lshrrev_b32_e32 v2, 3, v11
	s_mov_b32 s24, exec_lo
	s_delay_alu instid0(VALU_DEP_3)
	v_mov_b32_e32 v82, v28
	v_cmpx_gt_u32_e32 8, v11
; %bb.1448:                             ;   in Loop: Header=BB415_13 Depth=1
	v_clz_i32_u32_e32 v2, v28
	s_delay_alu instid0(VALU_DEP_1) | instskip(NEXT) | instid1(VALU_DEP_1)
	v_min_u32_e32 v2, 32, v2
	v_subrev_nc_u32_e32 v10, 28, v2
	v_sub_nc_u32_e32 v2, 29, v2
	s_delay_alu instid0(VALU_DEP_2) | instskip(NEXT) | instid1(VALU_DEP_1)
	v_lshlrev_b64 v[10:11], v10, v[28:29]
	v_and_b32_e32 v82, 7, v10
; %bb.1449:                             ;   in Loop: Header=BB415_13 Depth=1
	s_or_b32 exec_lo, exec_lo, s24
	v_lshlrev_b32_e32 v3, 24, v3
	s_delay_alu instid0(VALU_DEP_2) | instskip(SKIP_1) | instid1(VALU_DEP_3)
	v_lshlrev_b32_e32 v10, 20, v82
	v_lshl_add_u32 v2, v2, 23, 0x3c000000
	v_and_b32_e32 v3, 0x80000000, v3
	s_delay_alu instid0(VALU_DEP_1)
	v_or3_b32 v10, v10, v3, v2
.LBB415_1450:                           ;   in Loop: Header=BB415_13 Depth=1
	s_or_b32 exec_lo, exec_lo, s23
.LBB415_1451:                           ;   in Loop: Header=BB415_13 Depth=1
	s_delay_alu instid0(SALU_CYCLE_1)
	s_or_b32 exec_lo, exec_lo, s22
.LBB415_1452:                           ;   in Loop: Header=BB415_13 Depth=1
	s_delay_alu instid0(SALU_CYCLE_1) | instskip(NEXT) | instid1(VALU_DEP_1)
	s_or_b32 exec_lo, exec_lo, s21
	v_mul_f32_e32 v3, v144, v10
	s_delay_alu instid0(VALU_DEP_1) | instskip(NEXT) | instid1(VALU_DEP_1)
	v_and_b32_e32 v2, 0x7f800000, v3
	v_cmp_ne_u32_e64 s3, 0x7f800000, v2
                                        ; implicit-def: $vgpr2
	s_delay_alu instid0(VALU_DEP_1) | instskip(NEXT) | instid1(SALU_CYCLE_1)
	s_and_saveexec_b32 s21, s3
	s_xor_b32 s3, exec_lo, s21
; %bb.1453:                             ;   in Loop: Header=BB415_13 Depth=1
	v_bfe_u32 v2, v3, 16, 1
	s_delay_alu instid0(VALU_DEP_1)
	v_add3_u32 v2, v3, v2, 0x7fff
                                        ; implicit-def: $vgpr3
; %bb.1454:                             ;   in Loop: Header=BB415_13 Depth=1
	s_and_not1_saveexec_b32 s21, s3
; %bb.1455:                             ;   in Loop: Header=BB415_13 Depth=1
	v_and_b32_e32 v2, 0xffff, v3
	v_or_b32_e32 v10, 0x10000, v3
	s_delay_alu instid0(VALU_DEP_2) | instskip(NEXT) | instid1(VALU_DEP_1)
	v_cmp_eq_u32_e64 s3, 0, v2
	v_cndmask_b32_e64 v2, v10, v3, s3
; %bb.1456:                             ;   in Loop: Header=BB415_13 Depth=1
	s_or_b32 exec_lo, exec_lo, s21
	flat_load_b32 v14, v[80:81] offset:3840
	s_mov_b32 s21, exec_lo
	s_waitcnt vmcnt(0) lgkmcnt(0)
	v_dual_mov_b32 v3, 0 :: v_dual_and_b32 v10, 0xff, v14
	s_delay_alu instid0(VALU_DEP_1)
	v_cmpx_ne_u16_e32 0, v10
	s_cbranch_execz .LBB415_1464
; %bb.1457:                             ;   in Loop: Header=BB415_13 Depth=1
	v_bfrev_b32_e32 v3, 1
	s_mov_b32 s22, exec_lo
	v_cmpx_ne_u16_e32 0x80, v10
	s_cbranch_execz .LBB415_1463
; %bb.1458:                             ;   in Loop: Header=BB415_13 Depth=1
	v_and_b32_e32 v10, 0x7f, v14
	v_mov_b32_e32 v3, 0x7f800001
	s_mov_b32 s23, exec_lo
	s_delay_alu instid0(VALU_DEP_2)
	v_cmpx_ne_u32_e32 0x7f, v10
	s_cbranch_execz .LBB415_1462
; %bb.1459:                             ;   in Loop: Header=BB415_13 Depth=1
	v_and_b32_e32 v28, 7, v14
	v_mov_b32_e32 v83, v29
	v_lshrrev_b32_e32 v3, 3, v10
	s_mov_b32 s24, exec_lo
	s_delay_alu instid0(VALU_DEP_3)
	v_mov_b32_e32 v82, v28
	v_cmpx_gt_u32_e32 8, v10
; %bb.1460:                             ;   in Loop: Header=BB415_13 Depth=1
	v_clz_i32_u32_e32 v3, v28
	s_delay_alu instid0(VALU_DEP_1) | instskip(NEXT) | instid1(VALU_DEP_1)
	v_min_u32_e32 v3, 32, v3
	v_subrev_nc_u32_e32 v10, 28, v3
	v_sub_nc_u32_e32 v3, 29, v3
	s_delay_alu instid0(VALU_DEP_2) | instskip(NEXT) | instid1(VALU_DEP_1)
	v_lshlrev_b64 v[10:11], v10, v[28:29]
	v_and_b32_e32 v82, 7, v10
; %bb.1461:                             ;   in Loop: Header=BB415_13 Depth=1
	s_or_b32 exec_lo, exec_lo, s24
	v_lshlrev_b32_e32 v10, 24, v14
	s_delay_alu instid0(VALU_DEP_2) | instskip(SKIP_1) | instid1(VALU_DEP_3)
	v_lshlrev_b32_e32 v11, 20, v82
	v_lshl_add_u32 v3, v3, 23, 0x3c000000
	v_and_b32_e32 v10, 0x80000000, v10
	s_delay_alu instid0(VALU_DEP_1)
	v_or3_b32 v3, v11, v10, v3
.LBB415_1462:                           ;   in Loop: Header=BB415_13 Depth=1
	s_or_b32 exec_lo, exec_lo, s23
.LBB415_1463:                           ;   in Loop: Header=BB415_13 Depth=1
	s_delay_alu instid0(SALU_CYCLE_1)
	s_or_b32 exec_lo, exec_lo, s22
.LBB415_1464:                           ;   in Loop: Header=BB415_13 Depth=1
	s_delay_alu instid0(SALU_CYCLE_1) | instskip(NEXT) | instid1(VALU_DEP_1)
	s_or_b32 exec_lo, exec_lo, s21
	v_mul_f32_e32 v10, v144, v3
	s_delay_alu instid0(VALU_DEP_1) | instskip(NEXT) | instid1(VALU_DEP_1)
	v_and_b32_e32 v3, 0x7f800000, v10
	v_cmp_ne_u32_e64 s3, 0x7f800000, v3
                                        ; implicit-def: $vgpr3
	s_delay_alu instid0(VALU_DEP_1) | instskip(NEXT) | instid1(SALU_CYCLE_1)
	s_and_saveexec_b32 s21, s3
	s_xor_b32 s3, exec_lo, s21
; %bb.1465:                             ;   in Loop: Header=BB415_13 Depth=1
	v_bfe_u32 v3, v10, 16, 1
	s_delay_alu instid0(VALU_DEP_1)
	v_add3_u32 v3, v10, v3, 0x7fff
                                        ; implicit-def: $vgpr10
; %bb.1466:                             ;   in Loop: Header=BB415_13 Depth=1
	s_and_not1_saveexec_b32 s21, s3
; %bb.1467:                             ;   in Loop: Header=BB415_13 Depth=1
	v_and_b32_e32 v3, 0xffff, v10
	v_or_b32_e32 v11, 0x10000, v10
	s_delay_alu instid0(VALU_DEP_2) | instskip(NEXT) | instid1(VALU_DEP_1)
	v_cmp_eq_u32_e64 s3, 0, v3
	v_cndmask_b32_e64 v3, v11, v10, s3
; %bb.1468:                             ;   in Loop: Header=BB415_13 Depth=1
	s_or_b32 exec_lo, exec_lo, s21
	v_lshrrev_b16 v11, 8, v14
	v_mov_b32_e32 v10, 0
	s_mov_b32 s21, exec_lo
	s_delay_alu instid0(VALU_DEP_2)
	v_cmpx_ne_u16_e32 0, v11
	s_cbranch_execz .LBB415_1476
; %bb.1469:                             ;   in Loop: Header=BB415_13 Depth=1
	v_bfrev_b32_e32 v10, 1
	s_mov_b32 s22, exec_lo
	v_cmpx_ne_u16_e32 0x80, v11
	s_cbranch_execz .LBB415_1475
; %bb.1470:                             ;   in Loop: Header=BB415_13 Depth=1
	v_and_b32_e32 v15, 0xffff, v11
	v_mov_b32_e32 v10, 0x7f800001
	s_mov_b32 s23, exec_lo
	s_delay_alu instid0(VALU_DEP_2) | instskip(NEXT) | instid1(VALU_DEP_1)
	v_and_b32_e32 v11, 0x7f, v15
	v_cmpx_ne_u32_e32 0x7f, v11
	s_cbranch_execz .LBB415_1474
; %bb.1471:                             ;   in Loop: Header=BB415_13 Depth=1
	v_and_b32_e32 v28, 7, v15
	v_mov_b32_e32 v83, v29
	v_lshrrev_b32_e32 v10, 3, v11
	s_mov_b32 s24, exec_lo
	s_delay_alu instid0(VALU_DEP_3)
	v_mov_b32_e32 v82, v28
	v_cmpx_gt_u32_e32 8, v11
; %bb.1472:                             ;   in Loop: Header=BB415_13 Depth=1
	v_clz_i32_u32_e32 v10, v28
	s_delay_alu instid0(VALU_DEP_1) | instskip(NEXT) | instid1(VALU_DEP_1)
	v_min_u32_e32 v10, 32, v10
	v_subrev_nc_u32_e32 v11, 28, v10
	v_sub_nc_u32_e32 v10, 29, v10
	s_delay_alu instid0(VALU_DEP_2) | instskip(NEXT) | instid1(VALU_DEP_1)
	v_lshlrev_b64 v[82:83], v11, v[28:29]
	v_and_b32_e32 v82, 7, v82
; %bb.1473:                             ;   in Loop: Header=BB415_13 Depth=1
	s_or_b32 exec_lo, exec_lo, s24
	v_lshlrev_b32_e32 v11, 16, v14
	s_delay_alu instid0(VALU_DEP_2) | instskip(SKIP_1) | instid1(VALU_DEP_3)
	v_lshlrev_b32_e32 v15, 20, v82
	v_lshl_add_u32 v10, v10, 23, 0x3c000000
	v_and_b32_e32 v11, 0x80000000, v11
	s_delay_alu instid0(VALU_DEP_1)
	v_or3_b32 v10, v15, v11, v10
.LBB415_1474:                           ;   in Loop: Header=BB415_13 Depth=1
	s_or_b32 exec_lo, exec_lo, s23
.LBB415_1475:                           ;   in Loop: Header=BB415_13 Depth=1
	s_delay_alu instid0(SALU_CYCLE_1)
	s_or_b32 exec_lo, exec_lo, s22
.LBB415_1476:                           ;   in Loop: Header=BB415_13 Depth=1
	s_delay_alu instid0(SALU_CYCLE_1) | instskip(NEXT) | instid1(VALU_DEP_1)
	s_or_b32 exec_lo, exec_lo, s21
	v_mul_f32_e32 v11, v144, v10
	s_delay_alu instid0(VALU_DEP_1) | instskip(NEXT) | instid1(VALU_DEP_1)
	v_and_b32_e32 v10, 0x7f800000, v11
	v_cmp_ne_u32_e64 s3, 0x7f800000, v10
                                        ; implicit-def: $vgpr10
	s_delay_alu instid0(VALU_DEP_1) | instskip(NEXT) | instid1(SALU_CYCLE_1)
	s_and_saveexec_b32 s21, s3
	s_xor_b32 s3, exec_lo, s21
; %bb.1477:                             ;   in Loop: Header=BB415_13 Depth=1
	v_bfe_u32 v10, v11, 16, 1
	s_delay_alu instid0(VALU_DEP_1)
	v_add3_u32 v10, v11, v10, 0x7fff
                                        ; implicit-def: $vgpr11
; %bb.1478:                             ;   in Loop: Header=BB415_13 Depth=1
	s_and_not1_saveexec_b32 s21, s3
; %bb.1479:                             ;   in Loop: Header=BB415_13 Depth=1
	v_and_b32_e32 v10, 0xffff, v11
	v_or_b32_e32 v15, 0x10000, v11
	s_delay_alu instid0(VALU_DEP_2) | instskip(NEXT) | instid1(VALU_DEP_1)
	v_cmp_eq_u32_e64 s3, 0, v10
	v_cndmask_b32_e64 v10, v15, v11, s3
; %bb.1480:                             ;   in Loop: Header=BB415_13 Depth=1
	s_or_b32 exec_lo, exec_lo, s21
	v_lshrrev_b32_e32 v11, 16, v14
	s_mov_b32 s21, exec_lo
	s_delay_alu instid0(VALU_DEP_1) | instskip(NEXT) | instid1(VALU_DEP_1)
	v_dual_mov_b32 v15, 0 :: v_dual_and_b32 v28, 0xff, v11
	v_cmpx_ne_u16_e32 0, v28
	s_cbranch_execz .LBB415_1488
; %bb.1481:                             ;   in Loop: Header=BB415_13 Depth=1
	v_bfrev_b32_e32 v15, 1
	s_mov_b32 s22, exec_lo
	v_cmpx_ne_u16_e32 0x80, v28
	s_cbranch_execz .LBB415_1487
; %bb.1482:                             ;   in Loop: Header=BB415_13 Depth=1
	v_bfe_u32 v84, v14, 16, 7
	v_mov_b32_e32 v15, 0x7f800001
	s_mov_b32 s23, exec_lo
	s_delay_alu instid0(VALU_DEP_2)
	v_cmpx_ne_u32_e32 0x7f, v84
	s_cbranch_execz .LBB415_1486
; %bb.1483:                             ;   in Loop: Header=BB415_13 Depth=1
	v_and_b32_e32 v28, 7, v11
	v_mov_b32_e32 v83, v29
	v_lshrrev_b32_e32 v15, 3, v84
	s_mov_b32 s24, exec_lo
	s_delay_alu instid0(VALU_DEP_3)
	v_mov_b32_e32 v82, v28
	v_cmpx_gt_u32_e32 8, v84
; %bb.1484:                             ;   in Loop: Header=BB415_13 Depth=1
	v_clz_i32_u32_e32 v15, v28
	s_delay_alu instid0(VALU_DEP_1) | instskip(NEXT) | instid1(VALU_DEP_1)
	v_min_u32_e32 v15, 32, v15
	v_subrev_nc_u32_e32 v82, 28, v15
	v_sub_nc_u32_e32 v15, 29, v15
	s_delay_alu instid0(VALU_DEP_2) | instskip(NEXT) | instid1(VALU_DEP_1)
	v_lshlrev_b64 v[82:83], v82, v[28:29]
	v_and_b32_e32 v82, 7, v82
; %bb.1485:                             ;   in Loop: Header=BB415_13 Depth=1
	s_or_b32 exec_lo, exec_lo, s24
	v_lshlrev_b32_e32 v11, 24, v11
	s_delay_alu instid0(VALU_DEP_2) | instskip(SKIP_1) | instid1(VALU_DEP_3)
	v_lshlrev_b32_e32 v28, 20, v82
	v_lshl_add_u32 v15, v15, 23, 0x3c000000
	v_and_b32_e32 v11, 0x80000000, v11
	s_delay_alu instid0(VALU_DEP_1)
	v_or3_b32 v15, v28, v11, v15
.LBB415_1486:                           ;   in Loop: Header=BB415_13 Depth=1
	s_or_b32 exec_lo, exec_lo, s23
.LBB415_1487:                           ;   in Loop: Header=BB415_13 Depth=1
	s_delay_alu instid0(SALU_CYCLE_1)
	s_or_b32 exec_lo, exec_lo, s22
.LBB415_1488:                           ;   in Loop: Header=BB415_13 Depth=1
	s_delay_alu instid0(SALU_CYCLE_1) | instskip(NEXT) | instid1(VALU_DEP_1)
	s_or_b32 exec_lo, exec_lo, s21
	v_mul_f32_e32 v15, v144, v15
	s_delay_alu instid0(VALU_DEP_1) | instskip(NEXT) | instid1(VALU_DEP_1)
	v_and_b32_e32 v11, 0x7f800000, v15
	v_cmp_ne_u32_e64 s3, 0x7f800000, v11
                                        ; implicit-def: $vgpr11
	s_delay_alu instid0(VALU_DEP_1) | instskip(NEXT) | instid1(SALU_CYCLE_1)
	s_and_saveexec_b32 s21, s3
	s_xor_b32 s3, exec_lo, s21
; %bb.1489:                             ;   in Loop: Header=BB415_13 Depth=1
	v_bfe_u32 v11, v15, 16, 1
	s_delay_alu instid0(VALU_DEP_1)
	v_add3_u32 v11, v15, v11, 0x7fff
                                        ; implicit-def: $vgpr15
; %bb.1490:                             ;   in Loop: Header=BB415_13 Depth=1
	s_and_not1_saveexec_b32 s21, s3
; %bb.1491:                             ;   in Loop: Header=BB415_13 Depth=1
	v_and_b32_e32 v11, 0xffff, v15
	v_or_b32_e32 v28, 0x10000, v15
	s_delay_alu instid0(VALU_DEP_2) | instskip(NEXT) | instid1(VALU_DEP_1)
	v_cmp_eq_u32_e64 s3, 0, v11
	v_cndmask_b32_e64 v11, v28, v15, s3
; %bb.1492:                             ;   in Loop: Header=BB415_13 Depth=1
	s_or_b32 exec_lo, exec_lo, s21
	v_mov_b32_e32 v28, 0
	s_mov_b32 s21, exec_lo
	v_cmpx_lt_u32_e32 0xffffff, v14
	s_cbranch_execz .LBB415_1500
; %bb.1493:                             ;   in Loop: Header=BB415_13 Depth=1
	v_lshrrev_b32_e32 v15, 24, v14
	v_bfrev_b32_e32 v28, 1
	s_mov_b32 s22, exec_lo
	s_delay_alu instid0(VALU_DEP_2)
	v_cmpx_ne_u32_e32 0x80, v15
	s_cbranch_execz .LBB415_1499
; %bb.1494:                             ;   in Loop: Header=BB415_13 Depth=1
	v_bfe_u32 v84, v14, 24, 7
	v_mov_b32_e32 v28, 0x7f800001
	s_mov_b32 s23, exec_lo
	s_delay_alu instid0(VALU_DEP_2)
	v_cmpx_ne_u32_e32 0x7f, v84
	s_cbranch_execz .LBB415_1498
; %bb.1495:                             ;   in Loop: Header=BB415_13 Depth=1
	v_and_b32_e32 v28, 7, v15
	v_mov_b32_e32 v83, v29
	v_lshrrev_b32_e32 v14, 3, v84
	s_mov_b32 s24, exec_lo
	s_delay_alu instid0(VALU_DEP_3)
	v_mov_b32_e32 v82, v28
	v_cmpx_gt_u32_e32 8, v84
; %bb.1496:                             ;   in Loop: Header=BB415_13 Depth=1
	v_clz_i32_u32_e32 v14, v28
	s_delay_alu instid0(VALU_DEP_1) | instskip(NEXT) | instid1(VALU_DEP_1)
	v_min_u32_e32 v14, 32, v14
	v_subrev_nc_u32_e32 v82, 28, v14
	v_sub_nc_u32_e32 v14, 29, v14
	s_delay_alu instid0(VALU_DEP_2) | instskip(NEXT) | instid1(VALU_DEP_1)
	v_lshlrev_b64 v[82:83], v82, v[28:29]
	v_and_b32_e32 v82, 7, v82
; %bb.1497:                             ;   in Loop: Header=BB415_13 Depth=1
	s_or_b32 exec_lo, exec_lo, s24
	v_lshlrev_b32_e32 v15, 24, v15
	s_delay_alu instid0(VALU_DEP_2) | instskip(SKIP_1) | instid1(VALU_DEP_3)
	v_lshlrev_b32_e32 v28, 20, v82
	v_lshl_add_u32 v14, v14, 23, 0x3c000000
	v_and_b32_e32 v15, 0x80000000, v15
	s_delay_alu instid0(VALU_DEP_1)
	v_or3_b32 v28, v28, v15, v14
.LBB415_1498:                           ;   in Loop: Header=BB415_13 Depth=1
	s_or_b32 exec_lo, exec_lo, s23
.LBB415_1499:                           ;   in Loop: Header=BB415_13 Depth=1
	s_delay_alu instid0(SALU_CYCLE_1)
	s_or_b32 exec_lo, exec_lo, s22
.LBB415_1500:                           ;   in Loop: Header=BB415_13 Depth=1
	s_delay_alu instid0(SALU_CYCLE_1) | instskip(NEXT) | instid1(VALU_DEP_1)
	s_or_b32 exec_lo, exec_lo, s21
	v_mul_f32_e32 v15, v144, v28
	s_delay_alu instid0(VALU_DEP_1) | instskip(NEXT) | instid1(VALU_DEP_1)
	v_and_b32_e32 v14, 0x7f800000, v15
	v_cmp_ne_u32_e64 s3, 0x7f800000, v14
                                        ; implicit-def: $vgpr14
	s_delay_alu instid0(VALU_DEP_1) | instskip(NEXT) | instid1(SALU_CYCLE_1)
	s_and_saveexec_b32 s21, s3
	s_xor_b32 s3, exec_lo, s21
; %bb.1501:                             ;   in Loop: Header=BB415_13 Depth=1
	v_bfe_u32 v14, v15, 16, 1
	s_delay_alu instid0(VALU_DEP_1)
	v_add3_u32 v14, v15, v14, 0x7fff
                                        ; implicit-def: $vgpr15
; %bb.1502:                             ;   in Loop: Header=BB415_13 Depth=1
	s_and_not1_saveexec_b32 s21, s3
; %bb.1503:                             ;   in Loop: Header=BB415_13 Depth=1
	v_and_b32_e32 v14, 0xffff, v15
	v_or_b32_e32 v28, 0x10000, v15
	s_delay_alu instid0(VALU_DEP_2) | instskip(NEXT) | instid1(VALU_DEP_1)
	v_cmp_eq_u32_e64 s3, 0, v14
	v_cndmask_b32_e64 v14, v28, v15, s3
; %bb.1504:                             ;   in Loop: Header=BB415_13 Depth=1
	s_or_b32 exec_lo, exec_lo, s21
	flat_load_b32 v82, v[80:81] offset:3848
	s_mov_b32 s21, exec_lo
	s_waitcnt vmcnt(0) lgkmcnt(0)
	v_dual_mov_b32 v15, 0 :: v_dual_and_b32 v28, 0xff, v82
	s_delay_alu instid0(VALU_DEP_1)
	v_cmpx_ne_u16_e32 0, v28
	s_cbranch_execz .LBB415_1512
; %bb.1505:                             ;   in Loop: Header=BB415_13 Depth=1
	v_bfrev_b32_e32 v15, 1
	s_mov_b32 s22, exec_lo
	v_cmpx_ne_u16_e32 0x80, v28
	s_cbranch_execz .LBB415_1511
; %bb.1506:                             ;   in Loop: Header=BB415_13 Depth=1
	v_and_b32_e32 v83, 0x7f, v82
	v_mov_b32_e32 v15, 0x7f800001
	s_mov_b32 s23, exec_lo
	s_delay_alu instid0(VALU_DEP_2)
	v_cmpx_ne_u32_e32 0x7f, v83
	s_cbranch_execz .LBB415_1510
; %bb.1507:                             ;   in Loop: Header=BB415_13 Depth=1
	v_and_b32_e32 v28, 7, v82
	v_mov_b32_e32 v81, v29
	v_lshrrev_b32_e32 v15, 3, v83
	s_mov_b32 s24, exec_lo
	s_delay_alu instid0(VALU_DEP_3)
	v_mov_b32_e32 v80, v28
	v_cmpx_gt_u32_e32 8, v83
; %bb.1508:                             ;   in Loop: Header=BB415_13 Depth=1
	v_clz_i32_u32_e32 v15, v28
	s_delay_alu instid0(VALU_DEP_1) | instskip(NEXT) | instid1(VALU_DEP_1)
	v_min_u32_e32 v15, 32, v15
	v_subrev_nc_u32_e32 v80, 28, v15
	v_sub_nc_u32_e32 v15, 29, v15
	s_delay_alu instid0(VALU_DEP_2) | instskip(NEXT) | instid1(VALU_DEP_1)
	v_lshlrev_b64 v[80:81], v80, v[28:29]
	v_and_b32_e32 v80, 7, v80
; %bb.1509:                             ;   in Loop: Header=BB415_13 Depth=1
	s_or_b32 exec_lo, exec_lo, s24
	v_lshlrev_b32_e32 v28, 24, v82
	s_delay_alu instid0(VALU_DEP_2) | instskip(SKIP_1) | instid1(VALU_DEP_3)
	v_lshlrev_b32_e32 v80, 20, v80
	v_lshl_add_u32 v15, v15, 23, 0x3c000000
	v_and_b32_e32 v28, 0x80000000, v28
	s_delay_alu instid0(VALU_DEP_1)
	v_or3_b32 v15, v80, v28, v15
.LBB415_1510:                           ;   in Loop: Header=BB415_13 Depth=1
	s_or_b32 exec_lo, exec_lo, s23
.LBB415_1511:                           ;   in Loop: Header=BB415_13 Depth=1
	s_delay_alu instid0(SALU_CYCLE_1)
	s_or_b32 exec_lo, exec_lo, s22
.LBB415_1512:                           ;   in Loop: Header=BB415_13 Depth=1
	s_delay_alu instid0(SALU_CYCLE_1) | instskip(NEXT) | instid1(VALU_DEP_1)
	s_or_b32 exec_lo, exec_lo, s21
	v_mul_f32_e32 v28, v144, v15
	s_delay_alu instid0(VALU_DEP_1) | instskip(NEXT) | instid1(VALU_DEP_1)
	v_and_b32_e32 v15, 0x7f800000, v28
	v_cmp_ne_u32_e64 s3, 0x7f800000, v15
                                        ; implicit-def: $vgpr15
	s_delay_alu instid0(VALU_DEP_1) | instskip(NEXT) | instid1(SALU_CYCLE_1)
	s_and_saveexec_b32 s21, s3
	s_xor_b32 s3, exec_lo, s21
; %bb.1513:                             ;   in Loop: Header=BB415_13 Depth=1
	v_bfe_u32 v15, v28, 16, 1
	s_delay_alu instid0(VALU_DEP_1)
	v_add3_u32 v15, v28, v15, 0x7fff
                                        ; implicit-def: $vgpr28
; %bb.1514:                             ;   in Loop: Header=BB415_13 Depth=1
	s_and_not1_saveexec_b32 s21, s3
; %bb.1515:                             ;   in Loop: Header=BB415_13 Depth=1
	v_and_b32_e32 v15, 0xffff, v28
	v_or_b32_e32 v80, 0x10000, v28
	s_delay_alu instid0(VALU_DEP_2) | instskip(NEXT) | instid1(VALU_DEP_1)
	v_cmp_eq_u32_e64 s3, 0, v15
	v_cndmask_b32_e64 v15, v80, v28, s3
; %bb.1516:                             ;   in Loop: Header=BB415_13 Depth=1
	s_or_b32 exec_lo, exec_lo, s21
	v_lshrrev_b16 v80, 8, v82
	v_mov_b32_e32 v28, 0
	s_mov_b32 s21, exec_lo
	s_delay_alu instid0(VALU_DEP_2)
	v_cmpx_ne_u16_e32 0, v80
	s_cbranch_execz .LBB415_1524
; %bb.1517:                             ;   in Loop: Header=BB415_13 Depth=1
	v_bfrev_b32_e32 v28, 1
	s_mov_b32 s22, exec_lo
	v_cmpx_ne_u16_e32 0x80, v80
	s_cbranch_execz .LBB415_1523
; %bb.1518:                             ;   in Loop: Header=BB415_13 Depth=1
	v_and_b32_e32 v80, 0xffff, v80
	v_mov_b32_e32 v28, 0x7f800001
	s_mov_b32 s23, exec_lo
	s_delay_alu instid0(VALU_DEP_2) | instskip(NEXT) | instid1(VALU_DEP_1)
	v_and_b32_e32 v83, 0x7f, v80
	v_cmpx_ne_u32_e32 0x7f, v83
	s_cbranch_execz .LBB415_1522
; %bb.1519:                             ;   in Loop: Header=BB415_13 Depth=1
	v_and_b32_e32 v28, 7, v80
	v_mov_b32_e32 v81, v29
	v_lshrrev_b32_e32 v81, 3, v83
	s_mov_b32 s24, exec_lo
	s_delay_alu instid0(VALU_DEP_3)
	v_mov_b32_e32 v80, v28
	v_cmpx_gt_u32_e32 8, v83
; %bb.1520:                             ;   in Loop: Header=BB415_13 Depth=1
	v_clz_i32_u32_e32 v80, v28
	s_delay_alu instid0(VALU_DEP_1) | instskip(NEXT) | instid1(VALU_DEP_1)
	v_min_u32_e32 v83, 32, v80
	v_subrev_nc_u32_e32 v80, 28, v83
	s_delay_alu instid0(VALU_DEP_1) | instskip(SKIP_1) | instid1(VALU_DEP_2)
	v_lshlrev_b64 v[80:81], v80, v[28:29]
	v_sub_nc_u32_e32 v81, 29, v83
	v_and_b32_e32 v80, 7, v80
; %bb.1521:                             ;   in Loop: Header=BB415_13 Depth=1
	s_or_b32 exec_lo, exec_lo, s24
	v_lshlrev_b32_e32 v28, 16, v82
	s_delay_alu instid0(VALU_DEP_2) | instskip(SKIP_1) | instid1(VALU_DEP_3)
	v_lshlrev_b32_e32 v80, 20, v80
	v_lshl_add_u32 v81, v81, 23, 0x3c000000
	v_and_b32_e32 v28, 0x80000000, v28
	s_delay_alu instid0(VALU_DEP_1)
	v_or3_b32 v28, v80, v28, v81
.LBB415_1522:                           ;   in Loop: Header=BB415_13 Depth=1
	s_or_b32 exec_lo, exec_lo, s23
.LBB415_1523:                           ;   in Loop: Header=BB415_13 Depth=1
	s_delay_alu instid0(SALU_CYCLE_1)
	s_or_b32 exec_lo, exec_lo, s22
.LBB415_1524:                           ;   in Loop: Header=BB415_13 Depth=1
	s_delay_alu instid0(SALU_CYCLE_1) | instskip(NEXT) | instid1(VALU_DEP_1)
	s_or_b32 exec_lo, exec_lo, s21
	v_mul_f32_e32 v28, v144, v28
                                        ; implicit-def: $vgpr83
	s_delay_alu instid0(VALU_DEP_1) | instskip(NEXT) | instid1(VALU_DEP_1)
	v_and_b32_e32 v80, 0x7f800000, v28
	v_cmp_ne_u32_e64 s3, 0x7f800000, v80
	s_delay_alu instid0(VALU_DEP_1) | instskip(NEXT) | instid1(SALU_CYCLE_1)
	s_and_saveexec_b32 s21, s3
	s_xor_b32 s3, exec_lo, s21
; %bb.1525:                             ;   in Loop: Header=BB415_13 Depth=1
	v_bfe_u32 v80, v28, 16, 1
	s_delay_alu instid0(VALU_DEP_1)
	v_add3_u32 v83, v28, v80, 0x7fff
                                        ; implicit-def: $vgpr28
; %bb.1526:                             ;   in Loop: Header=BB415_13 Depth=1
	s_and_not1_saveexec_b32 s21, s3
; %bb.1527:                             ;   in Loop: Header=BB415_13 Depth=1
	v_and_b32_e32 v80, 0xffff, v28
	v_or_b32_e32 v81, 0x10000, v28
	s_delay_alu instid0(VALU_DEP_2) | instskip(NEXT) | instid1(VALU_DEP_1)
	v_cmp_eq_u32_e64 s3, 0, v80
	v_cndmask_b32_e64 v83, v81, v28, s3
; %bb.1528:                             ;   in Loop: Header=BB415_13 Depth=1
	s_or_b32 exec_lo, exec_lo, s21
	v_lshrrev_b32_e32 v84, 16, v82
	v_mov_b32_e32 v28, 0
	s_mov_b32 s21, exec_lo
	s_delay_alu instid0(VALU_DEP_2) | instskip(NEXT) | instid1(VALU_DEP_1)
	v_and_b32_e32 v80, 0xff, v84
	v_cmpx_ne_u16_e32 0, v80
	s_cbranch_execz .LBB415_1536
; %bb.1529:                             ;   in Loop: Header=BB415_13 Depth=1
	v_bfrev_b32_e32 v28, 1
	s_mov_b32 s22, exec_lo
	v_cmpx_ne_u16_e32 0x80, v80
	s_cbranch_execz .LBB415_1535
; %bb.1530:                             ;   in Loop: Header=BB415_13 Depth=1
	v_bfe_u32 v116, v82, 16, 7
	v_mov_b32_e32 v28, 0x7f800001
	s_mov_b32 s23, exec_lo
	s_delay_alu instid0(VALU_DEP_2)
	v_cmpx_ne_u32_e32 0x7f, v116
	s_cbranch_execz .LBB415_1534
; %bb.1531:                             ;   in Loop: Header=BB415_13 Depth=1
	v_and_b32_e32 v28, 7, v84
	v_mov_b32_e32 v81, v29
	v_lshrrev_b32_e32 v81, 3, v116
	s_mov_b32 s24, exec_lo
	s_delay_alu instid0(VALU_DEP_3)
	v_mov_b32_e32 v80, v28
	v_cmpx_gt_u32_e32 8, v116
; %bb.1532:                             ;   in Loop: Header=BB415_13 Depth=1
	v_clz_i32_u32_e32 v80, v28
	s_delay_alu instid0(VALU_DEP_1) | instskip(NEXT) | instid1(VALU_DEP_1)
	v_min_u32_e32 v116, 32, v80
	v_subrev_nc_u32_e32 v80, 28, v116
	s_delay_alu instid0(VALU_DEP_1) | instskip(SKIP_1) | instid1(VALU_DEP_2)
	v_lshlrev_b64 v[80:81], v80, v[28:29]
	v_sub_nc_u32_e32 v81, 29, v116
	v_and_b32_e32 v80, 7, v80
; %bb.1533:                             ;   in Loop: Header=BB415_13 Depth=1
	s_or_b32 exec_lo, exec_lo, s24
	v_lshlrev_b32_e32 v28, 24, v84
	s_delay_alu instid0(VALU_DEP_2) | instskip(SKIP_1) | instid1(VALU_DEP_3)
	v_lshlrev_b32_e32 v80, 20, v80
	v_lshl_add_u32 v81, v81, 23, 0x3c000000
	v_and_b32_e32 v28, 0x80000000, v28
	s_delay_alu instid0(VALU_DEP_1)
	v_or3_b32 v28, v80, v28, v81
.LBB415_1534:                           ;   in Loop: Header=BB415_13 Depth=1
	s_or_b32 exec_lo, exec_lo, s23
.LBB415_1535:                           ;   in Loop: Header=BB415_13 Depth=1
	s_delay_alu instid0(SALU_CYCLE_1)
	s_or_b32 exec_lo, exec_lo, s22
.LBB415_1536:                           ;   in Loop: Header=BB415_13 Depth=1
	s_delay_alu instid0(SALU_CYCLE_1) | instskip(NEXT) | instid1(VALU_DEP_1)
	s_or_b32 exec_lo, exec_lo, s21
	v_mul_f32_e32 v28, v144, v28
                                        ; implicit-def: $vgpr84
	s_delay_alu instid0(VALU_DEP_1) | instskip(NEXT) | instid1(VALU_DEP_1)
	v_and_b32_e32 v80, 0x7f800000, v28
	v_cmp_ne_u32_e64 s3, 0x7f800000, v80
	s_delay_alu instid0(VALU_DEP_1) | instskip(NEXT) | instid1(SALU_CYCLE_1)
	s_and_saveexec_b32 s21, s3
	s_xor_b32 s3, exec_lo, s21
; %bb.1537:                             ;   in Loop: Header=BB415_13 Depth=1
	v_bfe_u32 v80, v28, 16, 1
	s_delay_alu instid0(VALU_DEP_1)
	v_add3_u32 v84, v28, v80, 0x7fff
                                        ; implicit-def: $vgpr28
; %bb.1538:                             ;   in Loop: Header=BB415_13 Depth=1
	s_and_not1_saveexec_b32 s21, s3
; %bb.1539:                             ;   in Loop: Header=BB415_13 Depth=1
	v_and_b32_e32 v80, 0xffff, v28
	v_or_b32_e32 v81, 0x10000, v28
	s_delay_alu instid0(VALU_DEP_2) | instskip(NEXT) | instid1(VALU_DEP_1)
	v_cmp_eq_u32_e64 s3, 0, v80
	v_cndmask_b32_e64 v84, v81, v28, s3
; %bb.1540:                             ;   in Loop: Header=BB415_13 Depth=1
	s_or_b32 exec_lo, exec_lo, s21
	v_mov_b32_e32 v28, 0
	s_mov_b32 s21, exec_lo
	v_cmpx_lt_u32_e32 0xffffff, v82
	s_cbranch_execz .LBB415_1548
; %bb.1541:                             ;   in Loop: Header=BB415_13 Depth=1
	v_lshrrev_b32_e32 v116, 24, v82
	v_bfrev_b32_e32 v28, 1
	s_mov_b32 s22, exec_lo
	s_delay_alu instid0(VALU_DEP_2)
	v_cmpx_ne_u32_e32 0x80, v116
	s_cbranch_execz .LBB415_1547
; %bb.1542:                             ;   in Loop: Header=BB415_13 Depth=1
	v_bfe_u32 v82, v82, 24, 7
	v_mov_b32_e32 v28, 0x7f800001
	s_mov_b32 s23, exec_lo
	s_delay_alu instid0(VALU_DEP_2)
	v_cmpx_ne_u32_e32 0x7f, v82
	s_cbranch_execz .LBB415_1546
; %bb.1543:                             ;   in Loop: Header=BB415_13 Depth=1
	v_and_b32_e32 v28, 7, v116
	v_mov_b32_e32 v81, v29
	v_lshrrev_b32_e32 v81, 3, v82
	s_mov_b32 s24, exec_lo
	s_delay_alu instid0(VALU_DEP_3)
	v_mov_b32_e32 v80, v28
	v_cmpx_gt_u32_e32 8, v82
; %bb.1544:                             ;   in Loop: Header=BB415_13 Depth=1
	v_clz_i32_u32_e32 v80, v28
	s_delay_alu instid0(VALU_DEP_1) | instskip(NEXT) | instid1(VALU_DEP_1)
	v_min_u32_e32 v82, 32, v80
	v_subrev_nc_u32_e32 v80, 28, v82
	s_delay_alu instid0(VALU_DEP_1) | instskip(SKIP_1) | instid1(VALU_DEP_2)
	v_lshlrev_b64 v[80:81], v80, v[28:29]
	v_sub_nc_u32_e32 v81, 29, v82
	v_and_b32_e32 v80, 7, v80
; %bb.1545:                             ;   in Loop: Header=BB415_13 Depth=1
	s_or_b32 exec_lo, exec_lo, s24
	v_lshlrev_b32_e32 v28, 24, v116
	s_delay_alu instid0(VALU_DEP_2) | instskip(SKIP_1) | instid1(VALU_DEP_3)
	v_lshlrev_b32_e32 v80, 20, v80
	v_lshl_add_u32 v81, v81, 23, 0x3c000000
	v_and_b32_e32 v28, 0x80000000, v28
	s_delay_alu instid0(VALU_DEP_1)
	v_or3_b32 v28, v80, v28, v81
.LBB415_1546:                           ;   in Loop: Header=BB415_13 Depth=1
	s_or_b32 exec_lo, exec_lo, s23
.LBB415_1547:                           ;   in Loop: Header=BB415_13 Depth=1
	s_delay_alu instid0(SALU_CYCLE_1)
	s_or_b32 exec_lo, exec_lo, s22
.LBB415_1548:                           ;   in Loop: Header=BB415_13 Depth=1
	s_delay_alu instid0(SALU_CYCLE_1) | instskip(NEXT) | instid1(VALU_DEP_1)
	s_or_b32 exec_lo, exec_lo, s21
	v_mul_f32_e32 v80, v144, v28
	s_delay_alu instid0(VALU_DEP_1) | instskip(NEXT) | instid1(VALU_DEP_1)
	v_and_b32_e32 v28, 0x7f800000, v80
	v_cmp_ne_u32_e64 s3, 0x7f800000, v28
                                        ; implicit-def: $vgpr28
	s_delay_alu instid0(VALU_DEP_1) | instskip(NEXT) | instid1(SALU_CYCLE_1)
	s_and_saveexec_b32 s21, s3
	s_xor_b32 s3, exec_lo, s21
; %bb.1549:                             ;   in Loop: Header=BB415_13 Depth=1
	v_bfe_u32 v28, v80, 16, 1
	s_delay_alu instid0(VALU_DEP_1)
	v_add3_u32 v28, v80, v28, 0x7fff
                                        ; implicit-def: $vgpr80
; %bb.1550:                             ;   in Loop: Header=BB415_13 Depth=1
	s_and_not1_saveexec_b32 s21, s3
; %bb.1551:                             ;   in Loop: Header=BB415_13 Depth=1
	v_and_b32_e32 v28, 0xffff, v80
	v_or_b32_e32 v81, 0x10000, v80
	s_delay_alu instid0(VALU_DEP_2) | instskip(NEXT) | instid1(VALU_DEP_1)
	v_cmp_eq_u32_e64 s3, 0, v28
	v_cndmask_b32_e64 v28, v81, v80, s3
; %bb.1552:                             ;   in Loop: Header=BB415_13 Depth=1
	s_or_b32 exec_lo, exec_lo, s21
	v_and_b32_e32 v108, 0xffff0000, v108
	v_and_b32_e32 v104, 0xffff0000, v104
	;; [unrolled: 1-line block ×13, first 2 shown]
	v_lshlrev_b32_e32 v128, 16, v49
	v_lshlrev_b32_e32 v96, 16, v37
	;; [unrolled: 1-line block ×9, first 2 shown]
	v_and_b32_e32 v49, 0xffff0000, v49
	v_and_b32_e32 v3, 0xffff0000, v21
	;; [unrolled: 1-line block ×38, first 2 shown]
	v_lshlrev_b32_e32 v163, 16, v54
	v_and_b32_e32 v54, 0xffff0000, v54
	v_and_b32_e32 v82, 0xffff0000, v15
	;; [unrolled: 1-line block ×3, first 2 shown]
	v_lshlrev_b32_e32 v26, 16, v36
	v_and_b32_e32 v15, 0xffff0000, v5
	v_lshlrev_b32_e32 v98, 16, v31
	v_lshlrev_b32_e32 v87, 16, v65
	v_mov_b32_e32 v65, v64
	v_and_b32_e32 v5, 0xffff0000, v84
	v_dual_mul_f32 v31, v54, v149 :: v_dual_and_b32 v84, 0xffff0000, v31
	v_and_b32_e32 v148, 0xffff0000, v146
	v_and_b32_e32 v146, 0xffff0000, v147
	v_lshlrev_b32_e32 v147, 16, v52
	v_and_b32_e32 v52, 0xffff0000, v52
	v_and_b32_e32 v161, 0xffff0000, v161
	v_lshlrev_b32_e32 v117, 16, v55
	v_lshlrev_b32_e32 v30, 16, v48
	v_and_b32_e32 v55, 0xffff0000, v55
	v_dual_mul_f32 v21, v163, v21 :: v_dual_and_b32 v48, 0xffff0000, v48
	v_and_b32_e32 v135, 0xffff0000, v135
	v_dual_fmac_f32 v31, v52, v145 :: v_dual_and_b32 v10, 0xffff0000, v0
	v_and_b32_e32 v0, 0xffff0000, v67
	v_and_b32_e32 v67, 0xffff0000, v12
	;; [unrolled: 1-line block ×6, first 2 shown]
	v_lshlrev_b32_e32 v151, 16, v53
	v_lshlrev_b32_e32 v131, 16, v32
	v_and_b32_e32 v53, 0xffff0000, v53
	v_and_b32_e32 v115, 0xffff0000, v32
	v_mul_f32_e32 v12, v117, v12
	v_mul_f32_e32 v32, v55, v150
	v_and_b32_e32 v11, 0xffff0000, v2
	v_and_b32_e32 v1, 0xffff0000, v1
	v_dual_fmac_f32 v21, v147, v135 :: v_dual_and_b32 v160, 0xffff0000, v160
	v_fmac_f32_e32 v12, v151, v148
	v_fmac_f32_e32 v32, v53, v146
	v_and_b32_e32 v130, 0xffff0000, v130
	s_delay_alu instid0(VALU_DEP_4)
	v_dual_fmac_f32 v21, v30, v160 :: v_dual_lshlrev_b32 v112, 16, v50
	v_lshlrev_b32_e32 v99, 16, v51
	v_and_b32_e32 v51, 0xffff0000, v51
	v_fmac_f32_e32 v12, v128, v167
	v_fmac_f32_e32 v32, v49, v162
	v_and_b32_e32 v164, 0xffff0000, v164
	v_and_b32_e32 v66, 0xffff0000, v66
	s_delay_alu instid0(VALU_DEP_4)
	v_dual_fmac_f32 v12, v99, v179 :: v_dual_and_b32 v85, 0xffff0000, v85
	v_and_b32_e32 v176, 0xffff0000, v176
	v_and_b32_e32 v165, 0xffff0000, v165
	v_lshlrev_b32_e32 v27, 16, v35
	v_and_b32_e32 v50, 0xffff0000, v50
	v_dual_fmac_f32 v31, v48, v161 :: v_dual_and_b32 v36, 0xffff0000, v36
	v_and_b32_e32 v2, 0xffff0000, v100
	v_dual_fmac_f32 v21, v112, v164 :: v_dual_and_b32 v100, 0xffff0000, v101
	v_dual_fmac_f32 v32, v51, v166 :: v_dual_and_b32 v101, 0xffff0000, v103
	v_and_b32_e32 v103, 0xffff0000, v4
	v_and_b32_e32 v177, 0xffff0000, v177
	v_lshlrev_b32_e32 v97, 16, v38
	v_and_b32_e32 v35, 0xffff0000, v35
	v_dual_fmac_f32 v31, v50, v165 :: v_dual_and_b32 v38, 0xffff0000, v38
	v_dual_fmac_f32 v21, v27, v176 :: v_dual_fmac_f32 v12, v26, v183
	v_fmac_f32_e32 v32, v36, v178
	s_delay_alu instid0(VALU_DEP_3) | instskip(SKIP_1) | instid1(VALU_DEP_4)
	v_dual_fmac_f32 v31, v35, v177 :: v_dual_and_b32 v102, 0xffff0000, v102
	v_and_b32_e32 v39, 0xffff0000, v39
	v_dual_fmac_f32 v12, v97, v43 :: v_dual_and_b32 v189, 0xffff0000, v189
	v_and_b32_e32 v40, 0xffff0000, v40
	v_dual_fmac_f32 v21, v96, v180 :: v_dual_fmac_f32 v32, v38, v182
	v_and_b32_e32 v186, 0xffff0000, v186
	v_and_b32_e32 v187, 0xffff0000, v187
	v_dual_fmac_f32 v12, v131, v47 :: v_dual_and_b32 v185, 0xffff0000, v185
	v_and_b32_e32 v44, 0xffff0000, v44
	v_lshlrev_b32_e32 v13, 16, v33
	v_lshlrev_b32_e32 v22, 16, v34
	v_dual_fmac_f32 v31, v37, v181 :: v_dual_and_b32 v34, 0xffff0000, v34
	v_fmac_f32_e32 v21, v98, v40
	v_dual_fmac_f32 v32, v115, v42 :: v_dual_and_b32 v41, 0xffff0000, v41
	v_and_b32_e32 v188, 0xffff0000, v188
	s_delay_alu instid0(VALU_DEP_3) | instskip(NEXT) | instid1(VALU_DEP_3)
	v_dual_fmac_f32 v21, v13, v44 :: v_dual_and_b32 v174, 0xffff0000, v174
	v_dual_fmac_f32 v32, v34, v46 :: v_dual_and_b32 v175, 0xffff0000, v175
	v_and_b32_e32 v45, 0xffff0000, v45
	v_and_b32_e32 v33, 0xffff0000, v33
	;; [unrolled: 1-line block ×3, first 2 shown]
	v_dual_fmac_f32 v31, v84, v41 :: v_dual_and_b32 v184, 0xffff0000, v184
	v_and_b32_e32 v169, 0xffff0000, v169
	v_and_b32_e32 v16, 0xffff0000, v16
	s_delay_alu instid0(VALU_DEP_4) | instskip(NEXT) | instid1(VALU_DEP_4)
	v_dual_fmac_f32 v32, v30, v58 :: v_dual_and_b32 v27, 0xffff0000, v19
	v_fmac_f32_e32 v31, v33, v45
	v_fmac_f32_e32 v21, v68, v56
	v_and_b32_e32 v57, 0xffff0000, v57
	v_and_b32_e32 v172, 0xffff0000, v172
	;; [unrolled: 1-line block ×3, first 2 shown]
	v_dual_fmac_f32 v32, v27, v63 :: v_dual_and_b32 v61, 0xffff0000, v61
	s_delay_alu instid0(VALU_DEP_4) | instskip(SKIP_2) | instid1(VALU_DEP_3)
	v_fmac_f32_e32 v31, v16, v57
	v_dual_fmac_f32 v12, v22, v59 :: v_dual_and_b32 v173, 0xffff0000, v173
	v_and_b32_e32 v168, 0xffff0000, v168
	v_dual_fmac_f32 v31, v26, v61 :: v_dual_and_b32 v6, 0xffff0000, v6
	v_dual_fmac_f32 v32, v7, v75 :: v_dual_and_b32 v73, 0xffff0000, v73
	v_and_b32_e32 v156, 0xffff0000, v156
	v_lshlrev_b32_e32 v20, 16, v19
	v_fmac_f32_e32 v12, v69, v107
	ds_load_b128 v[16:19], v118 offset:102
	v_dual_fmac_f32 v31, v6, v73 :: v_dual_and_b32 v62, 0xffff0000, v62
	v_and_b32_e32 v8, 0xffff0000, v8
	v_dual_fmac_f32 v32, v9, v79 :: v_dual_and_b32 v77, 0xffff0000, v77
	s_delay_alu instid0(VALU_DEP_3)
	v_dual_fmac_f32 v12, v20, v62 :: v_dual_and_b32 v157, 0xffff0000, v157
	v_and_b32_e32 v152, 0xffff0000, v152
	v_and_b32_e32 v89, 0xffff0000, v89
	v_fmac_f32_e32 v21, v113, v60
	v_and_b32_e32 v13, 0xffff0000, v65
	v_dual_fmac_f32 v31, v8, v77 :: v_dual_and_b32 v74, 0xffff0000, v74
	v_and_b32_e32 v153, 0xffff0000, v153
	v_and_b32_e32 v140, 0xffff0000, v140
	v_fmac_f32_e32 v21, v114, v72
	s_delay_alu instid0(VALU_DEP_4) | instskip(SKIP_2) | instid1(VALU_DEP_4)
	v_dual_fmac_f32 v31, v13, v89 :: v_dual_and_b32 v78, 0xffff0000, v78
	v_dual_fmac_f32 v12, v25, v74 :: v_dual_and_b32 v141, 0xffff0000, v141
	v_lshlrev_b32_e32 v133, 16, v64
	v_fmac_f32_e32 v21, v24, v76
	s_waitcnt lgkmcnt(0)
	v_lshlrev_b32_e32 v20, 16, v16
	v_fmac_f32_e32 v12, v134, v78
	v_and_b32_e32 v88, 0xffff0000, v88
	v_and_b32_e32 v138, 0xffff0000, v138
	;; [unrolled: 1-line block ×3, first 2 shown]
	v_lshlrev_b32_e32 v13, 16, v17
	ds_load_b128 v[6:9], v118 offset:118
	ds_load_b128 v[33:36], v118 offset:134
	;; [unrolled: 1-line block ×3, first 2 shown]
	v_fmac_f32_e32 v21, v133, v88
	v_and_b32_e32 v91, 0xffff0000, v91
	v_and_b32_e32 v137, 0xffff0000, v137
	v_and_b32_e32 v105, 0xffff0000, v105
	v_mbcnt_lo_u32_b32 v64, -1, 0
	s_delay_alu instid0(VALU_DEP_4) | instskip(SKIP_2) | instid1(VALU_DEP_4)
	v_fmac_f32_e32 v32, v20, v91
	v_and_b32_e32 v92, 0xffff0000, v92
	v_and_b32_e32 v126, 0xffff0000, v126
	v_xor_b32_e32 v4, 1, v64
	s_delay_alu instid0(VALU_DEP_3) | instskip(SKIP_4) | instid1(VALU_DEP_4)
	v_fmac_f32_e32 v21, v16, v92
	v_and_b32_e32 v93, 0xffff0000, v93
	v_and_b32_e32 v136, 0xffff0000, v136
	;; [unrolled: 1-line block ×3, first 2 shown]
	v_lshlrev_b32_e32 v17, 16, v18
	v_dual_fmac_f32 v31, v13, v93 :: v_dual_and_b32 v18, 0xffff0000, v18
	v_and_b32_e32 v90, 0xffff0000, v90
	v_lshlrev_b32_e32 v13, 16, v19
	v_and_b32_e32 v139, 0xffff0000, v139
	v_and_b32_e32 v124, 0xffff0000, v124
	s_delay_alu instid0(VALU_DEP_4) | instskip(NEXT) | instid1(VALU_DEP_4)
	v_dual_fmac_f32 v21, v18, v104 :: v_dual_fmac_f32 v12, v87, v90
	v_dual_fmac_f32 v31, v13, v105 :: v_dual_and_b32 v94, 0xffff0000, v94
	v_and_b32_e32 v127, 0xffff0000, v127
	v_and_b32_e32 v95, 0xffff0000, v95
	v_and_b32_e32 v125, 0xffff0000, v125
	s_waitcnt lgkmcnt(2)
	v_lshlrev_b32_e32 v13, 16, v6
	v_fmac_f32_e32 v12, v16, v94
	v_and_b32_e32 v16, 0xffff0000, v19
	v_fmac_f32_e32 v32, v17, v95
	v_and_b32_e32 v6, 0xffff0000, v6
	v_lshlrev_b32_e32 v17, 16, v7
	v_and_b32_e32 v7, 0xffff0000, v7
	v_dual_fmac_f32 v12, v16, v111 :: v_dual_and_b32 v109, 0xffff0000, v109
	s_delay_alu instid0(VALU_DEP_4)
	v_fmac_f32_e32 v21, v6, v108
	v_lshlrev_b32_e32 v6, 16, v8
	s_waitcnt lgkmcnt(1)
	v_and_b32_e32 v16, 0xffff0000, v36
	v_fmac_f32_e32 v12, v7, v123
	v_dual_fmac_f32 v31, v17, v109 :: v_dual_and_b32 v120, 0xffff0000, v120
	v_and_b32_e32 v7, 0xffff0000, v8
	v_lshlrev_b32_e32 v8, 16, v9
	v_and_b32_e32 v9, 0xffff0000, v9
	s_waitcnt lgkmcnt(0)
	v_lshlrev_b32_e32 v17, 16, v48
	v_dual_fmac_f32 v21, v7, v120 :: v_dual_lshlrev_b32 v18, 16, v49
	v_dual_fmac_f32 v32, v13, v106 :: v_dual_and_b32 v121, 0xffff0000, v121
	v_dual_fmac_f32 v12, v9, v143 :: v_dual_and_b32 v7, 0xffff0000, v33
	v_lshlrev_b32_e32 v9, 16, v35
	s_delay_alu instid0(VALU_DEP_3) | instskip(SKIP_1) | instid1(VALU_DEP_4)
	v_dual_fmac_f32 v31, v8, v121 :: v_dual_fmac_f32 v32, v6, v110
	v_lshlrev_b32_e32 v6, 16, v33
	v_dual_fmac_f32 v21, v7, v124 :: v_dual_and_b32 v8, 0xffff0000, v34
	v_and_b32_e32 v7, 0xffff0000, v35
	s_delay_alu instid0(VALU_DEP_3) | instskip(SKIP_1) | instid1(VALU_DEP_3)
	v_dual_fmac_f32 v32, v6, v122 :: v_dual_lshlrev_b32 v13, 16, v36
	v_lshlrev_b32_e32 v6, 16, v34
	v_dual_fmac_f32 v12, v8, v126 :: v_dual_fmac_f32 v21, v7, v136
	v_and_b32_e32 v20, 0xffff0000, v50
	s_delay_alu instid0(VALU_DEP_3)
	v_dual_fmac_f32 v32, v9, v127 :: v_dual_fmac_f32 v31, v6, v125
	ds_load_b128 v[6:9], v118 offset:166
	v_fmac_f32_e32 v12, v16, v138
	v_and_b32_e32 v16, 0xffff0000, v49
	v_fmac_f32_e32 v32, v17, v139
	v_fmac_f32_e32 v31, v13, v137
	v_and_b32_e32 v13, 0xffff0000, v48
	v_lshlrev_b32_e32 v22, 16, v51
	v_fmac_f32_e32 v12, v16, v155
	ds_load_b128 v[33:36], v118 offset:214
	v_fmac_f32_e32 v31, v18, v141
	ds_load_b128 v[16:19], v118 offset:182
	v_fmac_f32_e32 v21, v13, v140
	v_lshlrev_b32_e32 v13, 16, v50
	v_cmp_gt_i32_e64 s3, 32, v4
	v_fmac_f32_e32 v31, v22, v153
	s_delay_alu instid0(VALU_DEP_3)
	v_dual_fmac_f32 v21, v20, v152 :: v_dual_fmac_f32 v32, v13, v142
	v_and_b32_e32 v13, 0xffff0000, v51
	s_waitcnt lgkmcnt(2)
	v_lshlrev_b32_e32 v20, 16, v6
	v_and_b32_e32 v6, 0xffff0000, v6
	v_lshlrev_b32_e32 v22, 16, v7
	v_fmac_f32_e32 v12, v13, v159
	s_delay_alu instid0(VALU_DEP_4) | instskip(NEXT) | instid1(VALU_DEP_4)
	v_dual_fmac_f32 v32, v20, v154 :: v_dual_and_b32 v7, 0xffff0000, v7
	v_fmac_f32_e32 v21, v6, v156
	s_delay_alu instid0(VALU_DEP_4) | instskip(NEXT) | instid1(VALU_DEP_3)
	v_fmac_f32_e32 v31, v22, v157
	v_dual_fmac_f32 v12, v7, v171 :: v_dual_lshlrev_b32 v13, 16, v8
	v_and_b32_e32 v20, 0xffff0000, v8
	v_lshlrev_b32_e32 v22, 16, v9
	v_and_b32_e32 v24, 0xffff0000, v9
	ds_load_b128 v[6:9], v118 offset:198
	s_waitcnt lgkmcnt(1)
	v_dual_fmac_f32 v32, v13, v158 :: v_dual_lshlrev_b32 v13, 16, v16
	v_fmac_f32_e32 v21, v20, v168
	v_dual_fmac_f32 v31, v22, v169 :: v_dual_and_b32 v16, 0xffff0000, v16
	v_fmac_f32_e32 v12, v24, v191
	s_delay_alu instid0(VALU_DEP_4) | instskip(SKIP_1) | instid1(VALU_DEP_4)
	v_dual_fmac_f32 v32, v13, v170 :: v_dual_lshlrev_b32 v13, 16, v17
	v_and_b32_e32 v17, 0xffff0000, v17
	v_dual_fmac_f32 v21, v16, v172 :: v_dual_lshlrev_b32 v20, 16, v18
	s_delay_alu instid0(VALU_DEP_3) | instskip(NEXT) | instid1(VALU_DEP_3)
	v_dual_fmac_f32 v31, v13, v173 :: v_dual_and_b32 v16, 0xffff0000, v18
	v_fmac_f32_e32 v12, v17, v174
	s_delay_alu instid0(VALU_DEP_3) | instskip(SKIP_1) | instid1(VALU_DEP_4)
	v_fmac_f32_e32 v32, v20, v175
	v_lshlrev_b32_e32 v13, 16, v19
	v_dual_fmac_f32 v21, v16, v184 :: v_dual_and_b32 v16, 0xffff0000, v19
	s_waitcnt lgkmcnt(0)
	v_lshlrev_b32_e32 v17, 16, v6
	s_delay_alu instid0(VALU_DEP_3) | instskip(NEXT) | instid1(VALU_DEP_3)
	v_dual_fmac_f32 v31, v13, v185 :: v_dual_and_b32 v6, 0xffff0000, v6
	v_dual_fmac_f32 v12, v16, v186 :: v_dual_lshlrev_b32 v13, 16, v7
	s_delay_alu instid0(VALU_DEP_3) | instskip(SKIP_1) | instid1(VALU_DEP_4)
	v_fmac_f32_e32 v32, v17, v187
	v_and_b32_e32 v7, 0xffff0000, v7
	v_fmac_f32_e32 v21, v6, v188
	s_delay_alu instid0(VALU_DEP_4)
	v_dual_fmac_f32 v31, v13, v189 :: v_dual_lshlrev_b32 v6, 16, v8
	ds_load_b128 v[16:19], v118 offset:230
	v_dual_fmac_f32 v12, v7, v14 :: v_dual_lshlrev_b32 v7, 16, v9
	v_fmac_f32_e32 v32, v6, v190
	v_and_b32_e32 v6, 0xffff0000, v9
	v_and_b32_e32 v8, 0xffff0000, v8
	v_lshlrev_b32_e32 v9, 16, v34
	v_fmac_f32_e32 v31, v7, v102
	s_delay_alu instid0(VALU_DEP_4) | instskip(NEXT) | instid1(VALU_DEP_4)
	v_dual_fmac_f32 v12, v6, v15 :: v_dual_lshlrev_b32 v7, 16, v33
	v_dual_fmac_f32 v21, v8, v39 :: v_dual_and_b32 v6, 0xffff0000, v34
	v_and_b32_e32 v8, 0xffff0000, v33
	s_delay_alu instid0(VALU_DEP_3) | instskip(NEXT) | instid1(VALU_DEP_3)
	v_dual_fmac_f32 v32, v7, v103 :: v_dual_fmac_f32 v31, v9, v85
	v_fmac_f32_e32 v12, v6, v2
	ds_load_b64 v[6:7], v118 offset:246
	v_dual_fmac_f32 v21, v8, v101 :: v_dual_lshlrev_b32 v8, 16, v35
	v_and_b32_e32 v2, 0xffff0000, v35
	v_lshlrev_b32_e32 v9, 16, v36
	v_and_b32_e32 v13, 0xffff0000, v36
	s_delay_alu instid0(VALU_DEP_4)
	v_fmac_f32_e32 v32, v8, v100
	s_waitcnt lgkmcnt(1)
	v_dual_fmac_f32 v21, v2, v3 :: v_dual_lshlrev_b32 v8, 16, v16
	v_fmac_f32_e32 v31, v9, v66
	v_fmac_f32_e32 v12, v13, v0
	v_and_b32_e32 v2, 0xffff0000, v16
	v_lshlrev_b32_e32 v3, 16, v17
	ds_load_u16 v0, v118 offset:254
	v_fmac_f32_e32 v32, v8, v67
	v_dual_fmac_f32 v21, v2, v130 :: v_dual_and_b32 v8, 0xffff0000, v17
	v_lshlrev_b32_e32 v2, 16, v18
	v_and_b32_e32 v9, 0xffff0000, v18
	v_fmac_f32_e32 v31, v3, v1
	s_delay_alu instid0(VALU_DEP_4) | instskip(NEXT) | instid1(VALU_DEP_3)
	v_dual_fmac_f32 v12, v8, v10 :: v_dual_lshlrev_b32 v1, 16, v19
	v_dual_fmac_f32 v32, v2, v11 :: v_dual_fmac_f32 v21, v9, v116
	v_and_b32_e32 v2, 0xffff0000, v19
	s_waitcnt lgkmcnt(1)
	v_and_b32_e32 v3, 0xffff0000, v6
	v_fmac_f32_e32 v31, v1, v144
	v_lshlrev_b32_e32 v1, 16, v7
	v_lshlrev_b32_e32 v6, 16, v6
	s_delay_alu instid0(VALU_DEP_4) | instskip(NEXT) | instid1(VALU_DEP_3)
	v_dual_fmac_f32 v12, v2, v83 :: v_dual_fmac_f32 v21, v3, v82
	v_dual_fmac_f32 v31, v1, v81 :: v_dual_and_b32 v2, 0xffff0000, v7
	v_and_b32_e32 v1, 0xffff0000, v28
	s_delay_alu instid0(VALU_DEP_4)
	v_fmac_f32_e32 v32, v6, v80
	s_waitcnt lgkmcnt(0)
	v_lshlrev_b32_e32 v0, 16, v0
	v_fmac_f32_e32 v12, v2, v5
	v_add_f32_e32 v2, v21, v31
	v_cndmask_b32_e64 v3, v64, v4, s3
	s_delay_alu instid0(VALU_DEP_4) | instskip(NEXT) | instid1(VALU_DEP_2)
	v_fmac_f32_e32 v32, v0, v1
	v_dual_add_f32 v0, v2, v12 :: v_dual_lshlrev_b32 v1, 2, v3
	s_delay_alu instid0(VALU_DEP_1)
	v_add_f32_e32 v0, v32, v0
	ds_bpermute_b32 v1, v1, v0
	s_and_saveexec_b32 s21, vcc_lo
	s_cbranch_execz .LBB415_11
; %bb.1553:                             ;   in Loop: Header=BB415_13 Depth=1
	s_clause 0x1
	scratch_load_b32 v2, off, s32 offset:424
	scratch_load_b32 v3, off, s32 offset:416
	s_waitcnt lgkmcnt(0)
	v_add_f32_e32 v0, v0, v1
	scratch_load_b32 v4, off, s32 offset:396 ; 4-byte Folded Reload
	s_load_b32 s22, s[8:9], 0x0
	s_waitcnt vmcnt(2)
	v_add_nc_u32_e32 v2, v2, v119
	s_delay_alu instid0(VALU_DEP_1) | instskip(SKIP_1) | instid1(VALU_DEP_1)
	v_cvt_f32_i32_e32 v2, v2
	s_waitcnt vmcnt(1)
	v_mul_f32_e32 v2, v3, v2
	scratch_load_b32 v3, off, s32 offset:412 ; 4-byte Folded Reload
	v_cndmask_b32_e64 v1, 0, v2, s2
	s_waitcnt vmcnt(1)
	v_max_f32_e32 v2, v4, v4
	s_waitcnt vmcnt(0)
	s_delay_alu instid0(VALU_DEP_2) | instskip(SKIP_4) | instid1(VALU_DEP_1)
	v_fmac_f32_e32 v1, v0, v3
	scratch_load_b32 v0, off, s32 offset:420 ; 4-byte Folded Reload
	v_max_f32_e32 v2, v2, v1
	s_waitcnt vmcnt(0)
	v_add_nc_u32_e32 v0, v0, v119
	v_cmp_lt_i32_e64 s3, v0, v86
	s_waitcnt lgkmcnt(0)
	v_add_nc_u32_e32 v0, s22, v129
	s_delay_alu instid0(VALU_DEP_2)
	v_cndmask_b32_e64 v1, 0, v1, s3
	v_cndmask_b32_e64 v4, v4, v2, s3
	ds_store_b32 v0, v1
	scratch_store_b32 off, v4, s32 offset:396 ; 4-byte Folded Spill
	s_branch .LBB415_11
.LBB415_1554:
	s_or_b32 exec_lo, exec_lo, s20
	s_clause 0xf
	scratch_load_b32 v15, off, s32 offset:448
	scratch_load_b32 v14, off, s32 offset:452
	;; [unrolled: 1-line block ×10, first 2 shown]
	scratch_load_b64 v[52:53], off, s32 offset:488
	scratch_load_b32 v12, off, s32 offset:496
	scratch_load_b32 v13, off, s32 offset:500
	;; [unrolled: 1-line block ×5, first 2 shown]
.LBB415_1555:
	s_or_b32 exec_lo, exec_lo, s19
	v_mbcnt_lo_u32_b32 v6, -1, 0
	s_waitcnt lgkmcnt(0)
	s_lshr_b32 s8, s15, 16
	s_delay_alu instid0(VALU_DEP_1) | instskip(SKIP_1) | instid1(VALU_DEP_2)
	v_xor_b32_e32 v0, 16, v6
	v_xor_b32_e32 v1, 8, v6
	v_cmp_gt_i32_e32 vcc_lo, 32, v0
	v_cndmask_b32_e32 v0, v6, v0, vcc_lo
	s_delay_alu instid0(VALU_DEP_3) | instskip(SKIP_2) | instid1(VALU_DEP_3)
	v_cmp_gt_i32_e32 vcc_lo, 32, v1
	s_waitcnt vmcnt(0)
	v_max_f32_e32 v2, v16, v16
	v_lshlrev_b32_e32 v3, 2, v0
	v_cndmask_b32_e32 v1, v6, v1, vcc_lo
	ds_bpermute_b32 v0, v3, v16
	v_lshlrev_b32_e32 v4, 2, v1
	s_waitcnt lgkmcnt(0)
	v_max_f32_e32 v0, v0, v0
	s_delay_alu instid0(VALU_DEP_1) | instskip(SKIP_4) | instid1(VALU_DEP_1)
	v_max_f32_e32 v0, v2, v0
	v_xor_b32_e32 v2, 4, v6
	ds_bpermute_b32 v1, v4, v0
	v_cmp_gt_i32_e32 vcc_lo, 32, v2
	v_cndmask_b32_e32 v2, v6, v2, vcc_lo
	v_lshlrev_b32_e32 v5, 2, v2
	v_xor_b32_e32 v2, 2, v6
	s_delay_alu instid0(VALU_DEP_1)
	v_cmp_gt_i32_e32 vcc_lo, 32, v2
	s_waitcnt lgkmcnt(0)
	v_dual_max_f32 v1, v1, v1 :: v_dual_cndmask_b32 v2, v6, v2
	scratch_load_b32 v6, off, s32 offset:376 ; 4-byte Folded Reload
	v_max_f32_e32 v0, v0, v1
	v_lshlrev_b32_e32 v2, 2, v2
	ds_bpermute_b32 v1, v5, v0
	s_waitcnt lgkmcnt(0)
	v_max_f32_e32 v1, v1, v1
	s_delay_alu instid0(VALU_DEP_1)
	v_max_f32_e32 v0, v0, v1
	ds_bpermute_b32 v1, v2, v0
	s_waitcnt vmcnt(0)
	v_and_b32_e32 v16, 31, v6
	scratch_load_b32 v6, off, s32 offset:428 ; 4-byte Folded Reload
	v_cmp_eq_u32_e32 vcc_lo, 0, v16
	s_waitcnt vmcnt(0)
	v_lshlrev_b32_e32 v6, 2, v6
	s_and_saveexec_b32 s2, vcc_lo
	s_cbranch_execz .LBB415_1557
; %bb.1556:
	s_waitcnt lgkmcnt(0)
	v_dual_max_f32 v1, v1, v1 :: v_dual_max_f32 v0, v0, v0
	s_delay_alu instid0(VALU_DEP_1)
	v_max_f32_e32 v0, v0, v1
	ds_store_b32 v6, v0 offset:512
.LBB415_1557:
	s_or_b32 exec_lo, exec_lo, s2
	v_cmp_gt_u32_e64 s2, 4, v16
	v_dual_mov_b32 v0, 0xff7fffff :: v_dual_lshlrev_b32 v7, 2, v16
	s_waitcnt lgkmcnt(0)
	s_waitcnt_vscnt null, 0x0
	s_barrier
	buffer_gl0_inv
	s_and_saveexec_b32 s3, s2
	s_cbranch_execz .LBB415_1559
; %bb.1558:
	ds_load_b32 v0, v7 offset:512
.LBB415_1559:
	s_or_b32 exec_lo, exec_lo, s3
	s_waitcnt lgkmcnt(0)
	ds_bpermute_b32 v1, v2, v0
	v_mbcnt_lo_u32_b32 v9, -1, 0
	v_max_f32_e32 v0, v0, v0
	s_delay_alu instid0(VALU_DEP_2) | instskip(NEXT) | instid1(VALU_DEP_1)
	v_xor_b32_e32 v8, 1, v9
	v_cmp_gt_i32_e64 s3, 32, v8
	s_delay_alu instid0(VALU_DEP_1) | instskip(SKIP_2) | instid1(VALU_DEP_2)
	v_cndmask_b32_e64 v8, v9, v8, s3
	s_waitcnt lgkmcnt(0)
	v_max_f32_e32 v1, v1, v1
	v_lshlrev_b32_e32 v17, 2, v8
	scratch_load_b32 v8, off, s32 offset:352 ; 4-byte Folded Reload
	v_max_f32_e32 v0, v0, v1
	ds_bpermute_b32 v1, v17, v0
	s_waitcnt lgkmcnt(0)
	v_max_f32_e32 v1, v1, v1
	s_waitcnt vmcnt(0)
	v_subrev_nc_u32_e32 v9, s13, v8
	v_mov_b32_e32 v8, 0
	s_delay_alu instid0(VALU_DEP_3) | instskip(NEXT) | instid1(VALU_DEP_3)
	v_max_f32_e32 v0, v0, v1
	v_lshl_add_u32 v1, v9, 4, s5
	scratch_load_b32 v9, off, s32 offset:376 ; 4-byte Folded Reload
	ds_bpermute_b32 v0, v8, v0
	v_min_i32_e32 v1, v1, v86
	s_delay_alu instid0(VALU_DEP_1) | instskip(SKIP_1) | instid1(VALU_DEP_1)
	v_subrev_nc_u32_e32 v1, s5, v1
	s_waitcnt vmcnt(0)
	v_cmp_lt_i32_e64 s3, v9, v1
	s_delay_alu instid0(VALU_DEP_1)
	s_and_saveexec_b32 s5, s3
	s_cbranch_execz .LBB415_1563
; %bb.1560:
	scratch_load_b32 v10, off, s32 offset:376 ; 4-byte Folded Reload
	s_getpc_b64 s[20:21]
	s_add_u32 s20, s20, llvm.amdgcn.dynlds.offset.table@rel32@lo+4
	s_addc_u32 s21, s21, llvm.amdgcn.dynlds.offset.table@rel32@hi+12
	s_ashr_i32 s17, s16, 31
	v_mov_b32_e32 v8, 0
	s_lshl_b64 s[22:23], s[16:17], 2
	s_mov_b32 s9, 0
	s_add_u32 s20, s22, s20
	s_addc_u32 s21, s23, s21
	s_load_b32 s4, s[20:21], 0x0
	s_waitcnt vmcnt(0) lgkmcnt(0)
	v_lshl_add_u32 v9, v10, 2, s4
	.p2align	6
.LBB415_1561:                           ; =>This Inner Loop Header: Depth=1
	ds_load_b32 v11, v9
	v_add_nc_u32_e32 v10, 0x80, v10
	s_delay_alu instid0(VALU_DEP_1) | instskip(NEXT) | instid1(VALU_DEP_1)
	v_cmp_ge_i32_e64 s4, v10, v1
	s_or_b32 s9, s4, s9
	s_waitcnt lgkmcnt(0)
	v_sub_f32_e32 v11, v11, v0
	s_delay_alu instid0(VALU_DEP_1) | instskip(NEXT) | instid1(VALU_DEP_1)
	v_mul_f32_e32 v11, 0x3fb8aa3b, v11
	v_exp_f32_e32 v11, v11
	ds_store_b32 v9, v11
	v_dual_add_f32 v8, v8, v11 :: v_dual_add_nc_u32 v9, 0x200, v9
	s_and_not1_b32 exec_lo, exec_lo, s9
	s_cbranch_execnz .LBB415_1561
; %bb.1562:
	s_or_b32 exec_lo, exec_lo, s9
.LBB415_1563:
	s_delay_alu instid0(SALU_CYCLE_1)
	s_or_b32 exec_lo, exec_lo, s5
	ds_bpermute_b32 v3, v3, v8
	s_waitcnt lgkmcnt(0)
	v_add_f32_e32 v3, v8, v3
	ds_bpermute_b32 v4, v4, v3
	s_waitcnt lgkmcnt(0)
	v_add_f32_e32 v3, v3, v4
	;; [unrolled: 3-line block ×5, first 2 shown]
	s_and_saveexec_b32 s4, vcc_lo
	s_cbranch_execz .LBB415_1565
; %bb.1564:
	ds_store_b32 v6, v3 offset:528
.LBB415_1565:
	s_or_b32 exec_lo, exec_lo, s4
	s_waitcnt lgkmcnt(0)
	s_barrier
	buffer_gl0_inv
	s_and_saveexec_b32 s4, s2
	s_cbranch_execz .LBB415_1567
; %bb.1566:
	ds_load_b32 v3, v7 offset:528
.LBB415_1567:
	s_or_b32 exec_lo, exec_lo, s4
	s_waitcnt lgkmcnt(0)
	ds_bpermute_b32 v2, v2, v3
	s_waitcnt lgkmcnt(0)
	v_add_f32_e32 v2, v3, v2
	ds_bpermute_b32 v3, v17, v2
	s_waitcnt lgkmcnt(0)
	v_dual_add_f32 v2, v2, v3 :: v_dual_mov_b32 v3, 0
	ds_bpermute_b32 v2, v3, v2
	s_and_saveexec_b32 s2, s3
	s_cbranch_execz .LBB415_1570
; %bb.1568:
	s_waitcnt lgkmcnt(0)
	v_add_f32_e32 v4, 0x358637bd, v2
	s_getpc_b64 s[4:5]
	s_add_u32 s4, s4, llvm.amdgcn.dynlds.offset.table@rel32@lo+4
	s_addc_u32 s5, s5, llvm.amdgcn.dynlds.offset.table@rel32@hi+12
	s_ashr_i32 s17, s16, 31
	s_delay_alu instid0(SALU_CYCLE_1) | instskip(SKIP_4) | instid1(VALU_DEP_1)
	s_lshl_b64 s[20:21], s[16:17], 2
	v_div_scale_f32 v3, null, v4, v4, 1.0
	s_add_u32 s4, s20, s4
	s_addc_u32 s5, s21, s5
	s_load_b32 s3, s[4:5], 0x0
	v_rcp_f32_e32 v5, v3
	s_waitcnt_depctr 0xfff
	v_fma_f32 v6, -v3, v5, 1.0
	s_delay_alu instid0(VALU_DEP_1) | instskip(SKIP_1) | instid1(VALU_DEP_1)
	v_fmac_f32_e32 v5, v6, v5
	v_div_scale_f32 v7, vcc_lo, 1.0, v4, 1.0
	v_mul_f32_e32 v6, v7, v5
	s_delay_alu instid0(VALU_DEP_1) | instskip(NEXT) | instid1(VALU_DEP_1)
	v_fma_f32 v8, -v3, v6, v7
	v_fmac_f32_e32 v6, v8, v5
	s_delay_alu instid0(VALU_DEP_1) | instskip(NEXT) | instid1(VALU_DEP_1)
	v_fma_f32 v3, -v3, v6, v7
	v_div_fmas_f32 v5, v3, v5, v6
	scratch_load_b32 v6, off, s32 offset:376 ; 4-byte Folded Reload
	v_div_fixup_f32 v4, v5, v4, 1.0
	s_waitcnt vmcnt(0) lgkmcnt(0)
	v_lshl_add_u32 v3, v6, 2, s3
	v_mov_b32_e32 v5, v6
	s_mov_b32 s3, 0
.LBB415_1569:                           ; =>This Inner Loop Header: Depth=1
	ds_load_b32 v6, v3
	s_waitcnt lgkmcnt(0)
	v_dual_mul_f32 v6, v4, v6 :: v_dual_add_nc_u32 v5, 0x80, v5
	s_delay_alu instid0(VALU_DEP_1) | instskip(SKIP_3) | instid1(SALU_CYCLE_1)
	v_cmp_ge_i32_e32 vcc_lo, v5, v1
	ds_store_b32 v3, v6
	v_add_nc_u32_e32 v3, 0x200, v3
	s_or_b32 s3, vcc_lo, s3
	s_and_not1_b32 exec_lo, exec_lo, s3
	s_cbranch_execnz .LBB415_1569
.LBB415_1570:
	s_or_b32 exec_lo, exec_lo, s2
	scratch_load_b32 v1, off, s32 offset:376 ; 4-byte Folded Reload
	v_cmp_ne_u16_e64 s2, s8, 0
	s_waitcnt vmcnt(0) lgkmcnt(0)
	s_barrier
	buffer_gl0_inv
	s_cmp_lg_u32 s2, 0
	s_mov_b32 s2, exec_lo
	s_addc_u32 s8, s11, 0
	v_cmpx_eq_u32_e32 0, v1
	s_cbranch_execz .LBB415_1572
; %bb.1571:
	s_mul_i32 s3, s8, s6
	s_mul_i32 s4, s8, s12
	;; [unrolled: 1-line block ×3, first 2 shown]
	s_ashr_i32 s5, s4, 31
	s_ashr_i32 s15, s14, 31
	;; [unrolled: 1-line block ×3, first 2 shown]
	s_lshl_b64 s[4:5], s[4:5], 2
	s_lshl_b64 s[20:21], s[14:15], 2
	s_lshl_b64 s[12:13], s[12:13], 2
	s_add_u32 s3, s20, s4
	s_addc_u32 s4, s21, s5
	s_add_u32 s3, s3, s12
	s_addc_u32 s4, s4, s13
	v_add_co_u32 v3, vcc_lo, s3, v32
	v_add_co_ci_u32_e32 v4, vcc_lo, s4, v27, vcc_lo
	v_add_co_u32 v5, vcc_lo, s3, v25
	v_add_co_ci_u32_e32 v6, vcc_lo, s4, v24, vcc_lo
	flat_store_b32 v[3:4], v0
	flat_store_b32 v[5:6], v2
.LBB415_1572:
	s_or_b32 exec_lo, exec_lo, s2
	s_ashr_i32 s17, s16, 31
	s_getpc_b64 s[2:3]
	s_add_u32 s2, s2, llvm.amdgcn.dynlds.offset.table@rel32@lo+4
	s_addc_u32 s3, s3, llvm.amdgcn.dynlds.offset.table@rel32@hi+12
	s_lshl_b64 s[4:5], s[16:17], 2
	v_dual_mov_b32 v49, 0 :: v_dual_mov_b32 v48, 0
	v_dual_mov_b32 v38, 0 :: v_dual_mov_b32 v37, 0
	;; [unrolled: 1-line block ×8, first 2 shown]
	s_add_u32 s2, s4, s2
	s_addc_u32 s3, s5, s3
	s_mov_b32 s11, 0
	s_and_saveexec_b32 s9, s1
	s_cbranch_execz .LBB415_3690
; %bb.1573:
	v_max_i32_e32 v30, v30, v21
	v_add_co_u32 v3, vcc_lo, v26, v12
	v_dual_mov_b32 v18, 0 :: v_dual_and_b32 v5, 0xf8, v20
	s_delay_alu instid0(VALU_DEP_3)
	v_cvt_f32_u32_e32 v0, v30
	v_add_co_ci_u32_e32 v4, vcc_lo, v22, v39, vcc_lo
	scratch_load_b32 v6, off, s32 offset:432 ; 4-byte Folded Reload
	v_add_co_u32 v11, vcc_lo, v3, v5
	v_rcp_iflag_f32_e32 v2, v0
	scratch_load_b64 v[0:1], off, s32 offset:328 ; 8-byte Folded Reload
	v_add_co_ci_u32_e32 v12, vcc_lo, 0, v4, vcc_lo
	scratch_load_b32 v4, off, s32 offset:428 ; 4-byte Folded Reload
	v_sub_nc_u32_e32 v7, 0, v30
	s_load_b32 s1, s[2:3], 0x0
	v_dual_mov_b32 v10, 0 :: v_dual_add_nc_u32 v51, -1, v13
	v_dual_mov_b32 v29, 0 :: v_dual_mul_f32 v2, 0x4f7ffffe, v2
	v_dual_mov_b32 v19, 0 :: v_dual_and_b32 v50, 8, v20
	v_dual_mov_b32 v24, 0 :: v_dual_mov_b32 v31, 0
	s_delay_alu instid0(VALU_DEP_3) | instskip(SKIP_2) | instid1(VALU_DEP_3)
	v_cvt_u32_f32_e32 v2, v2
	v_dual_mov_b32 v28, 0 :: v_dual_mov_b32 v33, 0
	v_dual_mov_b32 v32, 0 :: v_dual_mov_b32 v35, 0
	v_mul_lo_u32 v7, v7, v2
	v_dual_mov_b32 v36, 0 :: v_dual_mov_b32 v49, 0
	v_mov_b32_e32 v38, 0
	v_mov_b32_e32 v48, 0
	s_mov_b32 s4, -1
	s_mov_b32 s5, 0xffffff
	v_mov_b32_e32 v25, 0
	v_mul_hi_u32 v3, v2, v7
	s_waitcnt vmcnt(2)
	v_dual_mov_b32 v37, 0 :: v_dual_lshlrev_b32 v6, 5, v6
	s_waitcnt vmcnt(1)
	v_lshlrev_b64 v[0:1], 2, v[0:1]
	s_waitcnt vmcnt(0)
	s_delay_alu instid0(VALU_DEP_2) | instskip(SKIP_1) | instid1(VALU_DEP_3)
	v_lshl_or_b32 v4, v4, 6, v6
	v_mov_b32_e32 v34, 0
	v_add_co_u32 v0, vcc_lo, v52, v0
	s_delay_alu instid0(VALU_DEP_4) | instskip(SKIP_1) | instid1(VALU_DEP_3)
	v_add_co_ci_u32_e32 v1, vcc_lo, v53, v1, vcc_lo
	v_add_nc_u32_e32 v52, v2, v3
	v_add_co_u32 v13, vcc_lo, v14, v0
	s_delay_alu instid0(VALU_DEP_3)
	v_add_co_ci_u32_e32 v14, vcc_lo, v15, v1, vcc_lo
	s_waitcnt lgkmcnt(0)
	v_add_nc_u32_e32 v15, s1, v4
	s_branch .LBB415_1576
.LBB415_1574:                           ;   in Loop: Header=BB415_1576 Depth=1
	s_or_b32 exec_lo, exec_lo, s1
	v_and_b32_e32 v22, 0xffff0000, v85
	v_and_b32_e32 v26, 0xffff0000, v158
	v_and_b32_e32 v5, 0xffff0000, v5
	v_and_b32_e32 v20, 0xffff0000, v21
	v_and_b32_e32 v21, 0xffff0000, v172
	v_and_b32_e32 v6, 0xffff0000, v6
	v_and_b32_e32 v80, 0xffff0000, v153
	v_and_b32_e32 v82, 0xffff0000, v142
	v_and_b32_e32 v83, 0xffff0000, v152
	v_dual_add_f32 v21, v22, v21 :: v_dual_and_b32 v22, 0xffff0000, v39
	v_and_b32_e32 v81, 0xffff0000, v143
	v_and_b32_e32 v85, 0xffff0000, v56
	s_delay_alu instid0(VALU_DEP_4) | instskip(NEXT) | instid1(VALU_DEP_4)
	v_dual_add_f32 v80, v83, v80 :: v_dual_and_b32 v39, 0xffff0000, v171
	v_add_f32_e32 v22, v26, v22
	s_delay_alu instid0(VALU_DEP_4)
	v_dual_add_f32 v26, v82, v81 :: v_dual_and_b32 v81, 0xffff0000, v154
	v_and_b32_e32 v4, 0xffff0000, v4
	v_and_b32_e32 v7, 0xffff0000, v7
	;; [unrolled: 1-line block ×5, first 2 shown]
	v_add_f32_e32 v4, v4, v6
	v_dual_add_f32 v6, v7, v20 :: v_dual_and_b32 v7, 0xffff0000, v173
	v_and_b32_e32 v53, 0xffff0000, v53
	v_and_b32_e32 v1, 0xffff0000, v1
	;; [unrolled: 1-line block ×3, first 2 shown]
	s_delay_alu instid0(VALU_DEP_4) | instskip(SKIP_2) | instid1(VALU_DEP_4)
	v_dual_add_f32 v4, v4, v6 :: v_dual_and_b32 v55, 0xffff0000, v55
	v_and_b32_e32 v3, 0xffff0000, v3
	v_and_b32_e32 v2, 0xffff0000, v2
	v_add_f32_e32 v0, v0, v1
	s_delay_alu instid0(VALU_DEP_4)
	v_dual_add_f32 v4, v4, v21 :: v_dual_and_b32 v21, 0xffff0000, v159
	v_and_b32_e32 v27, 0xffff0000, v170
	v_and_b32_e32 v20, 0xffff0000, v174
	;; [unrolled: 1-line block ×4, first 2 shown]
	v_add_f32_e32 v53, v53, v54
	v_add_f32_e32 v1, v2, v3
	;; [unrolled: 1-line block ×3, first 2 shown]
	v_and_b32_e32 v20, 0xffff0000, v168
	v_and_b32_e32 v2, 0xffff0000, v8
	s_delay_alu instid0(VALU_DEP_4) | instskip(NEXT) | instid1(VALU_DEP_4)
	v_add_f32_e32 v0, v0, v1
	v_add_f32_e32 v4, v4, v7
	v_and_b32_e32 v6, 0xffff0000, v169
	v_dual_add_f32 v20, v21, v20 :: v_dual_and_b32 v21, 0xffff0000, v155
	v_add_f32_e32 v7, v27, v39
	s_delay_alu instid0(VALU_DEP_4) | instskip(NEXT) | instid1(VALU_DEP_3)
	v_add_f32_e32 v19, v19, v4
	v_dual_add_f32 v5, v5, v6 :: v_dual_add_f32 v20, v22, v20
	s_delay_alu instid0(VALU_DEP_4) | instskip(SKIP_2) | instid1(VALU_DEP_4)
	v_dual_add_f32 v22, v26, v80 :: v_dual_add_f32 v21, v81, v21
	v_and_b32_e32 v26, 0xffff0000, v157
	v_and_b32_e32 v27, 0xffff0000, v140
	v_dual_add_f32 v5, v20, v5 :: v_dual_and_b32 v80, 0xffff0000, v110
	s_delay_alu instid0(VALU_DEP_4) | instskip(SKIP_2) | instid1(VALU_DEP_4)
	v_dual_add_f32 v20, v22, v21 :: v_dual_and_b32 v21, 0xffff0000, v126
	v_and_b32_e32 v39, 0xffff0000, v141
	v_and_b32_e32 v6, 0xffff0000, v156
	v_dual_add_f32 v4, v5, v7 :: v_dual_and_b32 v7, 0xffff0000, v137
	v_dual_add_f32 v1, v2, v9 :: v_dual_and_b32 v22, 0xffff0000, v136
	s_delay_alu instid0(VALU_DEP_3) | instskip(SKIP_1) | instid1(VALU_DEP_3)
	v_add_f32_e32 v6, v6, v26
	v_and_b32_e32 v26, 0xffff0000, v138
	v_dual_add_f32 v24, v24, v4 :: v_dual_add_f32 v7, v22, v7
	s_delay_alu instid0(VALU_DEP_3) | instskip(SKIP_3) | instid1(VALU_DEP_4)
	v_dual_add_f32 v5, v20, v6 :: v_dual_and_b32 v22, 0xffff0000, v111
	v_and_b32_e32 v20, 0xffff0000, v127
	v_and_b32_e32 v81, 0xffff0000, v120
	;; [unrolled: 1-line block ×3, first 2 shown]
	v_dual_add_f32 v22, v80, v22 :: v_dual_add_f32 v25, v25, v5
	s_delay_alu instid0(VALU_DEP_4) | instskip(SKIP_2) | instid1(VALU_DEP_3)
	v_dual_add_f32 v20, v21, v20 :: v_dual_and_b32 v21, 0xffff0000, v121
	v_and_b32_e32 v80, 0xffff0000, v109
	v_add_f32_e32 v0, v0, v1
	v_add_f32_e32 v7, v20, v7
	s_delay_alu instid0(VALU_DEP_4) | instskip(SKIP_2) | instid1(VALU_DEP_3)
	v_dual_add_f32 v21, v81, v21 :: v_dual_and_b32 v6, 0xffff0000, v139
	v_and_b32_e32 v20, 0xffff0000, v123
	v_and_b32_e32 v81, 0xffff0000, v78
	v_add_f32_e32 v21, v22, v21
	s_delay_alu instid0(VALU_DEP_4) | instskip(SKIP_2) | instid1(VALU_DEP_3)
	v_add_f32_e32 v6, v26, v6
	v_and_b32_e32 v26, 0xffff0000, v122
	v_and_b32_e32 v22, 0xffff0000, v125
	v_add_f32_e32 v6, v7, v6
	v_add_f32_e32 v7, v27, v39
	v_and_b32_e32 v27, 0xffff0000, v124
	v_add_f32_e32 v20, v26, v20
	s_delay_alu instid0(VALU_DEP_3) | instskip(NEXT) | instid1(VALU_DEP_3)
	v_dual_add_f32 v4, v6, v7 :: v_dual_and_b32 v39, 0xffff0000, v108
	v_dual_add_f32 v6, v27, v22 :: v_dual_and_b32 v7, 0xffff0000, v107
	s_delay_alu instid0(VALU_DEP_3) | instskip(SKIP_3) | instid1(VALU_DEP_4)
	v_add_f32_e32 v5, v21, v20
	v_and_b32_e32 v21, 0xffff0000, v95
	v_and_b32_e32 v22, 0xffff0000, v94
	v_dual_add_f32 v28, v28, v4 :: v_dual_and_b32 v27, 0xffff0000, v106
	v_add_f32_e32 v4, v5, v6
	v_and_b32_e32 v20, 0xffff0000, v105
	s_delay_alu instid0(VALU_DEP_4) | instskip(NEXT) | instid1(VALU_DEP_4)
	v_add_f32_e32 v21, v22, v21
	v_dual_add_f32 v7, v27, v7 :: v_dual_and_b32 v22, 0xffff0000, v89
	s_delay_alu instid0(VALU_DEP_4) | instskip(SKIP_1) | instid1(VALU_DEP_3)
	v_add_f32_e32 v29, v29, v4
	v_and_b32_e32 v27, 0xffff0000, v90
	v_add_f32_e32 v22, v82, v22
	v_and_b32_e32 v82, 0xffff0000, v57
	s_delay_alu instid0(VALU_DEP_1) | instskip(SKIP_1) | instid1(VALU_DEP_1)
	v_add_f32_e32 v82, v85, v82
	v_and_b32_e32 v26, 0xffff0000, v104
	v_add_f32_e32 v20, v26, v20
	s_delay_alu instid0(VALU_DEP_1) | instskip(NEXT) | instid1(VALU_DEP_1)
	v_dual_add_f32 v20, v21, v20 :: v_dual_and_b32 v21, 0xffff0000, v91
	v_dual_add_f32 v7, v20, v7 :: v_dual_add_f32 v20, v39, v80
	v_and_b32_e32 v39, 0xffff0000, v92
	s_delay_alu instid0(VALU_DEP_3) | instskip(SKIP_3) | instid1(VALU_DEP_1)
	v_add_f32_e32 v21, v27, v21
	v_and_b32_e32 v27, 0xffff0000, v63
	v_and_b32_e32 v80, 0xffff0000, v76
	v_dual_add_f32 v5, v7, v20 :: v_dual_and_b32 v26, 0xffff0000, v79
	v_dual_add_f32 v31, v31, v5 :: v_dual_and_b32 v20, 0xffff0000, v75
	s_delay_alu instid0(VALU_DEP_2) | instskip(NEXT) | instid1(VALU_DEP_1)
	v_dual_add_f32 v26, v81, v26 :: v_dual_and_b32 v81, 0xffff0000, v77
	v_add_f32_e32 v22, v26, v22
	v_and_b32_e32 v26, 0xffff0000, v93
	s_delay_alu instid0(VALU_DEP_1) | instskip(SKIP_3) | instid1(VALU_DEP_4)
	v_dual_add_f32 v6, v22, v21 :: v_dual_add_f32 v7, v39, v26
	v_and_b32_e32 v39, 0xffff0000, v62
	v_and_b32_e32 v22, 0xffff0000, v73
	;; [unrolled: 1-line block ×3, first 2 shown]
	v_dual_add_f32 v6, v6, v7 :: v_dual_and_b32 v21, 0xffff0000, v74
	s_delay_alu instid0(VALU_DEP_4) | instskip(NEXT) | instid1(VALU_DEP_3)
	v_add_f32_e32 v27, v39, v27
	v_dual_add_f32 v39, v84, v83 :: v_dual_add_f32 v22, v26, v22
	v_and_b32_e32 v26, 0xffff0000, v59
	s_delay_alu instid0(VALU_DEP_4) | instskip(NEXT) | instid1(VALU_DEP_3)
	v_dual_add_f32 v20, v21, v20 :: v_dual_and_b32 v83, 0xffff0000, v58
	v_dual_add_f32 v22, v27, v22 :: v_dual_and_b32 v21, 0xffff0000, v60
	s_delay_alu instid0(VALU_DEP_4) | instskip(NEXT) | instid1(VALU_DEP_3)
	v_add_f32_e32 v27, v39, v82
	v_dual_add_f32 v26, v83, v26 :: v_dual_and_b32 v39, 0xffff0000, v61
	s_delay_alu instid0(VALU_DEP_3) | instskip(NEXT) | instid1(VALU_DEP_2)
	v_dual_add_f32 v7, v22, v20 :: v_dual_add_f32 v20, v80, v81
	v_add_f32_e32 v21, v21, v39
	v_and_b32_e32 v39, 0xffff0000, v45
	v_and_b32_e32 v80, 0xffff0000, v166
	s_delay_alu instid0(VALU_DEP_4)
	v_dual_add_f32 v4, v7, v20 :: v_dual_and_b32 v7, 0xffff0000, v41
	v_add_f32_e32 v22, v27, v26
	v_and_b32_e32 v20, 0xffff0000, v183
	v_and_b32_e32 v26, 0xffff0000, v42
	;; [unrolled: 1-line block ×3, first 2 shown]
	v_add_f32_e32 v33, v33, v4
	v_add_f32_e32 v5, v22, v21
	v_and_b32_e32 v21, 0xffff0000, v182
	v_and_b32_e32 v22, 0xffff0000, v40
	v_add_f32_e32 v32, v32, v6
	v_and_b32_e32 v6, 0xffff0000, v43
	v_and_b32_e32 v81, 0xffff0000, v176
	s_delay_alu instid0(VALU_DEP_4) | instskip(SKIP_3) | instid1(VALU_DEP_4)
	v_dual_add_f32 v20, v21, v20 :: v_dual_add_f32 v7, v22, v7
	v_and_b32_e32 v21, 0xffff0000, v177
	v_and_b32_e32 v22, 0xffff0000, v167
	v_add_f32_e32 v6, v26, v6
	v_dual_add_f32 v34, v34, v5 :: v_dual_add_f32 v7, v20, v7
	s_delay_alu instid0(VALU_DEP_3) | instskip(SKIP_1) | instid1(VALU_DEP_3)
	v_dual_add_f32 v21, v81, v21 :: v_dual_add_f32 v22, v80, v22
	v_and_b32_e32 v20, 0xffff0000, v179
	v_dual_add_f32 v6, v7, v6 :: v_dual_and_b32 v81, 0xffff0000, v148
	v_add_f32_e32 v7, v27, v39
	v_and_b32_e32 v27, 0xffff0000, v180
	v_add_f32_e32 v21, v22, v21
	v_and_b32_e32 v22, 0xffff0000, v181
	v_and_b32_e32 v26, 0xffff0000, v178
	v_dual_add_f32 v4, v6, v7 :: v_dual_and_b32 v7, 0xffff0000, v161
	v_and_b32_e32 v39, 0xffff0000, v118
	s_delay_alu instid0(VALU_DEP_4) | instskip(NEXT) | instid1(VALU_DEP_4)
	v_add_f32_e32 v6, v27, v22
	v_add_f32_e32 v20, v26, v20
	v_and_b32_e32 v22, 0xffff0000, v160
	v_add_f32_e32 v35, v35, v4
	v_and_b32_e32 v26, 0xffff0000, v144
	v_and_b32_e32 v27, 0xffff0000, v146
	v_dual_add_f32 v5, v21, v20 :: v_dual_and_b32 v20, 0xffff0000, v151
	v_and_b32_e32 v21, 0xffff0000, v150
	v_dual_add_f32 v7, v22, v7 :: v_dual_and_b32 v22, 0xffff0000, v134
	s_delay_alu instid0(VALU_DEP_3) | instskip(NEXT) | instid1(VALU_DEP_3)
	v_dual_add_f32 v4, v5, v6 :: v_dual_and_b32 v5, 0xffff0000, v163
	v_add_f32_e32 v6, v21, v20
	v_and_b32_e32 v20, 0xffff0000, v162
	v_and_b32_e32 v80, 0xffff0000, v128
	s_delay_alu instid0(VALU_DEP_3) | instskip(NEXT) | instid1(VALU_DEP_3)
	v_dual_add_f32 v6, v6, v7 :: v_dual_and_b32 v21, 0xffff0000, v165
	v_add_f32_e32 v5, v20, v5
	v_and_b32_e32 v7, 0xffff0000, v145
	s_delay_alu instid0(VALU_DEP_2) | instskip(SKIP_1) | instid1(VALU_DEP_2)
	v_dual_add_f32 v5, v6, v5 :: v_dual_and_b32 v20, 0xffff0000, v135
	v_and_b32_e32 v6, 0xffff0000, v147
	v_add_f32_e32 v20, v22, v20
	s_delay_alu instid0(VALU_DEP_4) | instskip(SKIP_1) | instid1(VALU_DEP_4)
	v_dual_add_f32 v7, v26, v7 :: v_dual_and_b32 v22, 0xffff0000, v129
	v_and_b32_e32 v26, 0xffff0000, v119
	v_dual_add_f32 v6, v27, v6 :: v_dual_and_b32 v27, 0xffff0000, v149
	v_add_f32_e32 v36, v36, v4
	s_delay_alu instid0(VALU_DEP_4) | instskip(SKIP_3) | instid1(VALU_DEP_4)
	v_dual_add_f32 v7, v20, v7 :: v_dual_and_b32 v4, 0xffff0000, v164
	v_and_b32_e32 v20, 0xffff0000, v131
	v_add_f32_e32 v26, v39, v26
	v_add_f32_e32 v22, v80, v22
	v_dual_add_f32 v4, v4, v21 :: v_dual_and_b32 v39, 0xffff0000, v130
	v_dual_add_f32 v6, v7, v6 :: v_dual_add_f32 v7, v81, v27
	s_delay_alu instid0(VALU_DEP_2) | instskip(SKIP_3) | instid1(VALU_DEP_3)
	v_dual_add_f32 v20, v39, v20 :: v_dual_and_b32 v27, 0xffff0000, v66
	v_and_b32_e32 v39, 0xffff0000, v65
	v_and_b32_e32 v65, 0xffff0000, v68
	v_dual_add_f32 v21, v26, v22 :: v_dual_and_b32 v22, 0xffff0000, v132
	v_dual_add_f32 v39, v55, v39 :: v_dual_and_b32 v26, 0xffff0000, v133
	v_and_b32_e32 v66, 0xffff0000, v69
	s_delay_alu instid0(VALU_DEP_3) | instskip(NEXT) | instid1(VALU_DEP_3)
	v_dual_add_f32 v20, v21, v20 :: v_dual_and_b32 v21, 0xffff0000, v67
	v_add_f32_e32 v9, v22, v26
	s_delay_alu instid0(VALU_DEP_2) | instskip(SKIP_1) | instid1(VALU_DEP_2)
	v_dual_add_f32 v3, v53, v39 :: v_dual_add_f32 v8, v27, v21
	v_and_b32_e32 v21, 0xffff0000, v70
	v_dual_add_f32 v3, v3, v8 :: v_dual_add_f32 v8, v65, v66
	s_delay_alu instid0(VALU_DEP_2) | instskip(SKIP_2) | instid1(VALU_DEP_3)
	v_add_f32_e32 v1, v21, v2
	v_add_f32_e32 v2, v5, v4
	v_dual_add_f32 v4, v6, v7 :: v_dual_add_f32 v5, v20, v9
	v_dual_add_f32 v3, v3, v8 :: v_dual_add_f32 v0, v0, v1
	s_delay_alu instid0(VALU_DEP_2) | instskip(NEXT) | instid1(VALU_DEP_2)
	v_dual_add_f32 v37, v37, v2 :: v_dual_add_f32 v38, v38, v4
	v_dual_add_f32 v48, v48, v5 :: v_dual_add_f32 v49, v49, v3
	s_delay_alu instid0(VALU_DEP_3)
	v_add_f32_e32 v18, v18, v0
.LBB415_1575:                           ;   in Loop: Header=BB415_1576 Depth=1
	s_or_b32 exec_lo, exec_lo, s12
	scratch_load_b64 v[0:1], off, s32 offset:328 ; 8-byte Folded Reload
	v_add_co_u32 v13, s1, v13, 16
	s_delay_alu instid0(VALU_DEP_1)
	v_add_co_ci_u32_e64 v14, s1, 0, v14, s1
	v_add_nc_u32_e32 v15, 0x100, v15
	s_waitcnt vmcnt(0)
	v_dual_mov_b32 v2, v0 :: v_dual_add_nc_u32 v23, 64, v23
	scratch_load_b32 v0, off, s32 offset:352 ; 4-byte Folded Reload
	v_add_nc_u32_e32 v2, 4, v2
	s_delay_alu instid0(VALU_DEP_1) | instskip(SKIP_4) | instid1(SALU_CYCLE_1)
	v_mov_b32_e32 v1, v2
	scratch_store_b64 off, v[1:2], s32 offset:328 ; 8-byte Folded Spill
	s_waitcnt vmcnt(0)
	v_cmp_ge_i32_e32 vcc_lo, v2, v0
	s_or_b32 s11, vcc_lo, s11
	s_and_not1_b32 exec_lo, exec_lo, s11
	s_cbranch_execz .LBB415_3689
.LBB415_1576:                           ; =>This Inner Loop Header: Depth=1
	s_clause 0x2
	scratch_load_b32 v1, off, s32 offset:356
	scratch_load_b32 v5, off, s32 offset:348
	;; [unrolled: 1-line block ×3, first 2 shown]
	v_sub_nc_u32_e32 v0, 0, v23
	s_delay_alu instid0(VALU_DEP_1) | instskip(SKIP_1) | instid1(VALU_DEP_1)
	v_max_i32_e32 v0, v23, v0
	s_waitcnt vmcnt(2)
	v_mul_hi_u32 v1, v0, v1
	s_waitcnt vmcnt(0)
	s_delay_alu instid0(VALU_DEP_1) | instskip(NEXT) | instid1(VALU_DEP_1)
	v_mul_lo_u32 v2, v1, v4
	v_sub_nc_u32_e32 v0, v0, v2
	v_add_nc_u32_e32 v2, 1, v1
	s_delay_alu instid0(VALU_DEP_2) | instskip(SKIP_1) | instid1(VALU_DEP_2)
	v_sub_nc_u32_e32 v3, v0, v4
	v_cmp_ge_u32_e32 vcc_lo, v0, v4
	v_dual_cndmask_b32 v1, v1, v2 :: v_dual_cndmask_b32 v0, v0, v3
	v_ashrrev_i32_e32 v2, 31, v23
	s_delay_alu instid0(VALU_DEP_2) | instskip(NEXT) | instid1(VALU_DEP_3)
	v_add_nc_u32_e32 v3, 1, v1
	v_cmp_ge_u32_e32 vcc_lo, v0, v4
	s_delay_alu instid0(VALU_DEP_3) | instskip(NEXT) | instid1(VALU_DEP_3)
	v_xor_b32_e32 v2, v2, v5
	v_cndmask_b32_e32 v0, v1, v3, vcc_lo
	s_delay_alu instid0(VALU_DEP_1) | instskip(NEXT) | instid1(VALU_DEP_1)
	v_xor_b32_e32 v0, v0, v2
	v_sub_nc_u32_e32 v0, v0, v2
	scratch_load_b64 v[1:2], off, s32 offset:340 ; 8-byte Folded Reload
	s_waitcnt vmcnt(0)
	v_add_nc_u32_e32 v1, v0, v1
	s_delay_alu instid0(VALU_DEP_1) | instskip(NEXT) | instid1(VALU_DEP_1)
	v_sub_nc_u32_e32 v2, 0, v1
	v_max_i32_e32 v2, v1, v2
	s_delay_alu instid0(VALU_DEP_1) | instskip(NEXT) | instid1(VALU_DEP_1)
	v_mul_hi_u32 v3, v2, v52
	v_mul_lo_u32 v3, v3, v30
	s_delay_alu instid0(VALU_DEP_1) | instskip(NEXT) | instid1(VALU_DEP_1)
	v_sub_nc_u32_e32 v2, v2, v3
	v_sub_nc_u32_e32 v3, v2, v30
	v_cmp_ge_u32_e32 vcc_lo, v2, v30
	s_delay_alu instid0(VALU_DEP_2) | instskip(SKIP_1) | instid1(VALU_DEP_2)
	v_cndmask_b32_e32 v2, v2, v3, vcc_lo
	v_ashrrev_i32_e32 v1, 31, v1
	v_sub_nc_u32_e32 v3, v2, v30
	v_cmp_ge_u32_e32 vcc_lo, v2, v30
	s_delay_alu instid0(VALU_DEP_2) | instskip(NEXT) | instid1(VALU_DEP_1)
	v_cndmask_b32_e32 v2, v2, v3, vcc_lo
	v_xor_b32_e32 v2, v2, v1
	s_delay_alu instid0(VALU_DEP_1) | instskip(NEXT) | instid1(VALU_DEP_1)
	v_sub_nc_u32_e32 v1, v2, v1
	v_cmp_eq_u32_e32 vcc_lo, 0, v1
	scratch_load_b32 v1, off, s32 offset:360 ; 4-byte Folded Reload
	s_waitcnt vmcnt(0)
	v_cmp_gt_i32_e64 s1, v0, v1
	s_delay_alu instid0(VALU_DEP_1) | instskip(NEXT) | instid1(SALU_CYCLE_1)
	s_or_b32 s1, vcc_lo, s1
	s_and_saveexec_b32 s12, s1
	s_cbranch_execz .LBB415_1575
; %bb.1577:                             ;   in Loop: Header=BB415_1576 Depth=1
	flat_load_b32 v66, v[13:14]
	ds_load_2addr_b64 v[6:9], v15 offset1:1
	ds_load_2addr_b64 v[0:3], v15 offset0:2 offset1:3
	s_mov_b32 s1, exec_lo
                                        ; implicit-def: $vgpr53
	s_waitcnt lgkmcnt(1)
	v_and_b32_e32 v4, 0x7f800000, v6
	s_delay_alu instid0(VALU_DEP_1)
	v_cmpx_ne_u32_e32 0x7f800000, v4
	s_xor_b32 s1, exec_lo, s1
; %bb.1578:                             ;   in Loop: Header=BB415_1576 Depth=1
	v_bfe_u32 v4, v6, 16, 1
	s_delay_alu instid0(VALU_DEP_1)
	v_add3_u32 v53, v6, v4, 0x7fff
; %bb.1579:                             ;   in Loop: Header=BB415_1576 Depth=1
	s_and_not1_saveexec_b32 s1, s1
; %bb.1580:                             ;   in Loop: Header=BB415_1576 Depth=1
	v_and_b32_e32 v4, 0xffff, v6
	v_or_b32_e32 v5, 0x10000, v6
	s_delay_alu instid0(VALU_DEP_2) | instskip(NEXT) | instid1(VALU_DEP_2)
	v_cmp_eq_u32_e32 vcc_lo, 0, v4
	v_cndmask_b32_e32 v53, v5, v6, vcc_lo
; %bb.1581:                             ;   in Loop: Header=BB415_1576 Depth=1
	s_or_b32 exec_lo, exec_lo, s1
	v_and_b32_e32 v4, 0x7f800000, v7
	s_mov_b32 s1, exec_lo
                                        ; implicit-def: $vgpr54
	s_delay_alu instid0(VALU_DEP_1)
	v_cmpx_ne_u32_e32 0x7f800000, v4
	s_xor_b32 s1, exec_lo, s1
; %bb.1582:                             ;   in Loop: Header=BB415_1576 Depth=1
	v_bfe_u32 v4, v7, 16, 1
	s_delay_alu instid0(VALU_DEP_1)
	v_add3_u32 v54, v7, v4, 0x7fff
; %bb.1583:                             ;   in Loop: Header=BB415_1576 Depth=1
	s_and_not1_saveexec_b32 s1, s1
; %bb.1584:                             ;   in Loop: Header=BB415_1576 Depth=1
	v_and_b32_e32 v4, 0xffff, v7
	v_or_b32_e32 v5, 0x10000, v7
	s_delay_alu instid0(VALU_DEP_2) | instskip(NEXT) | instid1(VALU_DEP_2)
	v_cmp_eq_u32_e32 vcc_lo, 0, v4
	v_cndmask_b32_e32 v54, v5, v7, vcc_lo
; %bb.1585:                             ;   in Loop: Header=BB415_1576 Depth=1
	s_or_b32 exec_lo, exec_lo, s1
	v_and_b32_e32 v4, 0x7f800000, v8
	s_mov_b32 s1, exec_lo
                                        ; implicit-def: $vgpr55
	s_delay_alu instid0(VALU_DEP_1)
	v_cmpx_ne_u32_e32 0x7f800000, v4
	s_xor_b32 s1, exec_lo, s1
; %bb.1586:                             ;   in Loop: Header=BB415_1576 Depth=1
	v_bfe_u32 v4, v8, 16, 1
	s_delay_alu instid0(VALU_DEP_1)
	v_add3_u32 v55, v8, v4, 0x7fff
; %bb.1587:                             ;   in Loop: Header=BB415_1576 Depth=1
	s_and_not1_saveexec_b32 s1, s1
; %bb.1588:                             ;   in Loop: Header=BB415_1576 Depth=1
	v_and_b32_e32 v4, 0xffff, v8
	v_or_b32_e32 v5, 0x10000, v8
	s_delay_alu instid0(VALU_DEP_2) | instskip(NEXT) | instid1(VALU_DEP_2)
	v_cmp_eq_u32_e32 vcc_lo, 0, v4
	v_cndmask_b32_e32 v55, v5, v8, vcc_lo
; %bb.1589:                             ;   in Loop: Header=BB415_1576 Depth=1
	s_or_b32 exec_lo, exec_lo, s1
	v_and_b32_e32 v4, 0x7f800000, v9
	s_mov_b32 s1, exec_lo
                                        ; implicit-def: $vgpr65
	s_delay_alu instid0(VALU_DEP_1)
	v_cmpx_ne_u32_e32 0x7f800000, v4
	s_xor_b32 s1, exec_lo, s1
; %bb.1590:                             ;   in Loop: Header=BB415_1576 Depth=1
	v_bfe_u32 v4, v9, 16, 1
	s_delay_alu instid0(VALU_DEP_1)
	v_add3_u32 v65, v9, v4, 0x7fff
                                        ; implicit-def: $vgpr6_vgpr7_vgpr8_vgpr9
; %bb.1591:                             ;   in Loop: Header=BB415_1576 Depth=1
	s_and_not1_saveexec_b32 s1, s1
; %bb.1592:                             ;   in Loop: Header=BB415_1576 Depth=1
	v_and_b32_e32 v4, 0xffff, v9
	v_or_b32_e32 v5, 0x10000, v9
	s_delay_alu instid0(VALU_DEP_2) | instskip(NEXT) | instid1(VALU_DEP_2)
	v_cmp_eq_u32_e32 vcc_lo, 0, v4
	v_cndmask_b32_e32 v65, v5, v9, vcc_lo
; %bb.1593:                             ;   in Loop: Header=BB415_1576 Depth=1
	s_or_b32 exec_lo, exec_lo, s1
	s_waitcnt lgkmcnt(0)
	v_and_b32_e32 v4, 0x7f800000, v0
	s_mov_b32 s1, exec_lo
                                        ; implicit-def: $vgpr39
	s_delay_alu instid0(VALU_DEP_1)
	v_cmpx_ne_u32_e32 0x7f800000, v4
	s_xor_b32 s1, exec_lo, s1
; %bb.1594:                             ;   in Loop: Header=BB415_1576 Depth=1
	v_bfe_u32 v4, v0, 16, 1
	s_delay_alu instid0(VALU_DEP_1)
	v_add3_u32 v39, v0, v4, 0x7fff
; %bb.1595:                             ;   in Loop: Header=BB415_1576 Depth=1
	s_and_not1_saveexec_b32 s1, s1
; %bb.1596:                             ;   in Loop: Header=BB415_1576 Depth=1
	v_and_b32_e32 v4, 0xffff, v0
	v_or_b32_e32 v5, 0x10000, v0
	s_delay_alu instid0(VALU_DEP_2) | instskip(NEXT) | instid1(VALU_DEP_2)
	v_cmp_eq_u32_e32 vcc_lo, 0, v4
	v_cndmask_b32_e32 v39, v5, v0, vcc_lo
; %bb.1597:                             ;   in Loop: Header=BB415_1576 Depth=1
	s_or_b32 exec_lo, exec_lo, s1
	v_and_b32_e32 v0, 0x7f800000, v1
	s_mov_b32 s1, exec_lo
                                        ; implicit-def: $vgpr21
	s_delay_alu instid0(VALU_DEP_1)
	v_cmpx_ne_u32_e32 0x7f800000, v0
	s_xor_b32 s1, exec_lo, s1
; %bb.1598:                             ;   in Loop: Header=BB415_1576 Depth=1
	v_bfe_u32 v0, v1, 16, 1
	s_delay_alu instid0(VALU_DEP_1)
	v_add3_u32 v21, v1, v0, 0x7fff
; %bb.1599:                             ;   in Loop: Header=BB415_1576 Depth=1
	s_and_not1_saveexec_b32 s1, s1
; %bb.1600:                             ;   in Loop: Header=BB415_1576 Depth=1
	v_and_b32_e32 v0, 0xffff, v1
	v_or_b32_e32 v4, 0x10000, v1
	s_delay_alu instid0(VALU_DEP_2) | instskip(NEXT) | instid1(VALU_DEP_2)
	v_cmp_eq_u32_e32 vcc_lo, 0, v0
	v_cndmask_b32_e32 v21, v4, v1, vcc_lo
; %bb.1601:                             ;   in Loop: Header=BB415_1576 Depth=1
	s_or_b32 exec_lo, exec_lo, s1
	v_and_b32_e32 v0, 0x7f800000, v2
	s_mov_b32 s1, exec_lo
                                        ; implicit-def: $vgpr5
	s_delay_alu instid0(VALU_DEP_1)
	v_cmpx_ne_u32_e32 0x7f800000, v0
	s_xor_b32 s1, exec_lo, s1
; %bb.1602:                             ;   in Loop: Header=BB415_1576 Depth=1
	v_bfe_u32 v0, v2, 16, 1
	s_delay_alu instid0(VALU_DEP_1)
	v_add3_u32 v5, v2, v0, 0x7fff
; %bb.1603:                             ;   in Loop: Header=BB415_1576 Depth=1
	s_and_not1_saveexec_b32 s1, s1
; %bb.1604:                             ;   in Loop: Header=BB415_1576 Depth=1
	v_and_b32_e32 v0, 0xffff, v2
	v_or_b32_e32 v1, 0x10000, v2
	s_delay_alu instid0(VALU_DEP_2) | instskip(NEXT) | instid1(VALU_DEP_2)
	v_cmp_eq_u32_e32 vcc_lo, 0, v0
	v_cndmask_b32_e32 v5, v1, v2, vcc_lo
; %bb.1605:                             ;   in Loop: Header=BB415_1576 Depth=1
	s_or_b32 exec_lo, exec_lo, s1
	v_and_b32_e32 v0, 0x7f800000, v3
	s_mov_b32 s1, exec_lo
                                        ; implicit-def: $vgpr4
	s_delay_alu instid0(VALU_DEP_1)
	v_cmpx_ne_u32_e32 0x7f800000, v0
	s_xor_b32 s1, exec_lo, s1
; %bb.1606:                             ;   in Loop: Header=BB415_1576 Depth=1
	v_bfe_u32 v0, v3, 16, 1
	s_delay_alu instid0(VALU_DEP_1)
	v_add3_u32 v4, v3, v0, 0x7fff
                                        ; implicit-def: $vgpr0_vgpr1_vgpr2_vgpr3
; %bb.1607:                             ;   in Loop: Header=BB415_1576 Depth=1
	s_and_not1_saveexec_b32 s1, s1
; %bb.1608:                             ;   in Loop: Header=BB415_1576 Depth=1
	v_and_b32_e32 v0, 0xffff, v3
	v_or_b32_e32 v1, 0x10000, v3
	s_delay_alu instid0(VALU_DEP_2) | instskip(NEXT) | instid1(VALU_DEP_2)
	v_cmp_eq_u32_e32 vcc_lo, 0, v0
	v_cndmask_b32_e32 v4, v1, v3, vcc_lo
; %bb.1609:                             ;   in Loop: Header=BB415_1576 Depth=1
	s_or_b32 exec_lo, exec_lo, s1
	scratch_load_b32 v2, off, s32 offset:364 ; 4-byte Folded Reload
	s_mov_b32 s1, exec_lo
	s_waitcnt vmcnt(0)
	v_mad_i64_i32 v[0:1], null, v66, v2, v[11:12]
	flat_load_b64 v[2:3], v[0:1]
	scratch_load_b64 v[6:7], off, s32 offset:380 ; 8-byte Folded Reload
	s_waitcnt vmcnt(0)
	flat_load_b32 v8, v[6:7]
	s_waitcnt lgkmcnt(1)
	v_dual_mov_b32 v6, 0 :: v_dual_and_b32 v7, 0xff, v2
	s_delay_alu instid0(VALU_DEP_1)
	v_cmpx_ne_u16_e32 0, v7
	s_cbranch_execz .LBB415_1617
; %bb.1610:                             ;   in Loop: Header=BB415_1576 Depth=1
	v_bfrev_b32_e32 v6, 1
	s_mov_b32 s13, exec_lo
	v_cmpx_ne_u16_e32 0x80, v7
	s_cbranch_execz .LBB415_1616
; %bb.1611:                             ;   in Loop: Header=BB415_1576 Depth=1
	v_and_b32_e32 v7, 0x7f, v2
	v_mov_b32_e32 v6, 0x7f800001
	s_mov_b32 s15, exec_lo
	s_delay_alu instid0(VALU_DEP_2)
	v_cmpx_ne_u32_e32 0x7f, v7
	s_cbranch_execz .LBB415_1615
; %bb.1612:                             ;   in Loop: Header=BB415_1576 Depth=1
	v_lshrrev_b32_e32 v9, 3, v7
	v_cmp_gt_u32_e32 vcc_lo, 8, v7
	v_dual_mov_b32 v7, v3 :: v_dual_mov_b32 v6, v2
	s_and_saveexec_b32 s16, vcc_lo
; %bb.1613:                             ;   in Loop: Header=BB415_1576 Depth=1
	v_and_b32_e32 v6, 7, v2
	s_delay_alu instid0(VALU_DEP_1) | instskip(NEXT) | instid1(VALU_DEP_1)
	v_clz_i32_u32_e32 v6, v6
	v_min_u32_e32 v9, 32, v6
	s_delay_alu instid0(VALU_DEP_1) | instskip(SKIP_1) | instid1(VALU_DEP_2)
	v_subrev_nc_u32_e32 v6, 28, v9
	v_sub_nc_u32_e32 v9, 29, v9
	v_lshlrev_b64 v[6:7], v6, v[2:3]
; %bb.1614:                             ;   in Loop: Header=BB415_1576 Depth=1
	s_or_b32 exec_lo, exec_lo, s16
	s_delay_alu instid0(VALU_DEP_1) | instskip(SKIP_2) | instid1(VALU_DEP_3)
	v_lshlrev_b32_e32 v6, 20, v6
	v_lshlrev_b32_e32 v7, 24, v2
	v_lshl_add_u32 v9, v9, 23, 0x3c000000
	v_and_b32_e32 v6, 0x700000, v6
	s_delay_alu instid0(VALU_DEP_3) | instskip(NEXT) | instid1(VALU_DEP_1)
	v_and_b32_e32 v7, 0x80000000, v7
	v_or3_b32 v6, v6, v7, v9
.LBB415_1615:                           ;   in Loop: Header=BB415_1576 Depth=1
	s_or_b32 exec_lo, exec_lo, s15
.LBB415_1616:                           ;   in Loop: Header=BB415_1576 Depth=1
	s_delay_alu instid0(SALU_CYCLE_1)
	s_or_b32 exec_lo, exec_lo, s13
.LBB415_1617:                           ;   in Loop: Header=BB415_1576 Depth=1
	s_delay_alu instid0(SALU_CYCLE_1) | instskip(SKIP_3) | instid1(VALU_DEP_1)
	s_or_b32 exec_lo, exec_lo, s1
	s_waitcnt vmcnt(0) lgkmcnt(0)
	v_mul_f32_e32 v6, v8, v6
	s_mov_b32 s1, exec_lo
                                        ; implicit-def: $vgpr66
	v_and_b32_e32 v7, 0x7f800000, v6
	s_delay_alu instid0(VALU_DEP_1)
	v_cmpx_ne_u32_e32 0x7f800000, v7
	s_xor_b32 s1, exec_lo, s1
; %bb.1618:                             ;   in Loop: Header=BB415_1576 Depth=1
	v_bfe_u32 v7, v6, 16, 1
	s_delay_alu instid0(VALU_DEP_1)
	v_add3_u32 v66, v6, v7, 0x7fff
                                        ; implicit-def: $vgpr6
; %bb.1619:                             ;   in Loop: Header=BB415_1576 Depth=1
	s_and_not1_saveexec_b32 s1, s1
; %bb.1620:                             ;   in Loop: Header=BB415_1576 Depth=1
	v_and_b32_e32 v7, 0xffff, v6
	v_or_b32_e32 v9, 0x10000, v6
	s_delay_alu instid0(VALU_DEP_2) | instskip(NEXT) | instid1(VALU_DEP_2)
	v_cmp_eq_u32_e32 vcc_lo, 0, v7
	v_cndmask_b32_e32 v66, v9, v6, vcc_lo
; %bb.1621:                             ;   in Loop: Header=BB415_1576 Depth=1
	s_or_b32 exec_lo, exec_lo, s1
	v_lshrrev_b16 v7, 8, v2
	v_mov_b32_e32 v6, 0
	s_mov_b32 s1, exec_lo
	s_delay_alu instid0(VALU_DEP_2)
	v_cmpx_ne_u16_e32 0, v7
	s_cbranch_execz .LBB415_1629
; %bb.1622:                             ;   in Loop: Header=BB415_1576 Depth=1
	v_bfrev_b32_e32 v6, 1
	s_mov_b32 s13, exec_lo
	v_cmpx_ne_u16_e32 0x80, v7
	s_cbranch_execz .LBB415_1628
; %bb.1623:                             ;   in Loop: Header=BB415_1576 Depth=1
	v_and_b32_e32 v9, 0xffff, v7
	v_mov_b32_e32 v6, 0x7f800001
	s_mov_b32 s15, exec_lo
	s_delay_alu instid0(VALU_DEP_2) | instskip(NEXT) | instid1(VALU_DEP_1)
	v_and_b32_e32 v7, 0x7f, v9
	v_cmpx_ne_u32_e32 0x7f, v7
	s_cbranch_execz .LBB415_1627
; %bb.1624:                             ;   in Loop: Header=BB415_1576 Depth=1
	v_and_b32_e32 v9, 7, v9
	v_lshrrev_b32_e32 v67, 3, v7
	v_cmp_gt_u32_e32 vcc_lo, 8, v7
	s_delay_alu instid0(VALU_DEP_3)
	v_dual_mov_b32 v6, v9 :: v_dual_mov_b32 v7, v10
	s_and_saveexec_b32 s16, vcc_lo
; %bb.1625:                             ;   in Loop: Header=BB415_1576 Depth=1
	v_clz_i32_u32_e32 v6, v9
	s_delay_alu instid0(VALU_DEP_1) | instskip(NEXT) | instid1(VALU_DEP_1)
	v_min_u32_e32 v20, 32, v6
	v_subrev_nc_u32_e32 v6, 28, v20
	v_sub_nc_u32_e32 v67, 29, v20
	s_delay_alu instid0(VALU_DEP_2) | instskip(NEXT) | instid1(VALU_DEP_1)
	v_lshlrev_b64 v[6:7], v6, v[9:10]
	v_and_b32_e32 v6, 7, v6
; %bb.1626:                             ;   in Loop: Header=BB415_1576 Depth=1
	s_or_b32 exec_lo, exec_lo, s16
	v_lshlrev_b32_e32 v7, 16, v2
	s_delay_alu instid0(VALU_DEP_2) | instskip(SKIP_1) | instid1(VALU_DEP_3)
	v_lshlrev_b32_e32 v6, 20, v6
	v_lshl_add_u32 v9, v67, 23, 0x3c000000
	v_and_b32_e32 v7, 0x80000000, v7
	s_delay_alu instid0(VALU_DEP_1)
	v_or3_b32 v6, v6, v7, v9
.LBB415_1627:                           ;   in Loop: Header=BB415_1576 Depth=1
	s_or_b32 exec_lo, exec_lo, s15
.LBB415_1628:                           ;   in Loop: Header=BB415_1576 Depth=1
	s_delay_alu instid0(SALU_CYCLE_1)
	s_or_b32 exec_lo, exec_lo, s13
.LBB415_1629:                           ;   in Loop: Header=BB415_1576 Depth=1
	s_delay_alu instid0(SALU_CYCLE_1) | instskip(NEXT) | instid1(VALU_DEP_1)
	s_or_b32 exec_lo, exec_lo, s1
	v_mul_f32_e32 v6, v8, v6
	s_mov_b32 s1, exec_lo
                                        ; implicit-def: $vgpr67
	s_delay_alu instid0(VALU_DEP_1) | instskip(NEXT) | instid1(VALU_DEP_1)
	v_and_b32_e32 v7, 0x7f800000, v6
	v_cmpx_ne_u32_e32 0x7f800000, v7
	s_xor_b32 s1, exec_lo, s1
; %bb.1630:                             ;   in Loop: Header=BB415_1576 Depth=1
	v_bfe_u32 v7, v6, 16, 1
	s_delay_alu instid0(VALU_DEP_1)
	v_add3_u32 v67, v6, v7, 0x7fff
                                        ; implicit-def: $vgpr6
; %bb.1631:                             ;   in Loop: Header=BB415_1576 Depth=1
	s_and_not1_saveexec_b32 s1, s1
; %bb.1632:                             ;   in Loop: Header=BB415_1576 Depth=1
	v_and_b32_e32 v7, 0xffff, v6
	v_or_b32_e32 v9, 0x10000, v6
	s_delay_alu instid0(VALU_DEP_2) | instskip(NEXT) | instid1(VALU_DEP_2)
	v_cmp_eq_u32_e32 vcc_lo, 0, v7
	v_cndmask_b32_e32 v67, v9, v6, vcc_lo
; %bb.1633:                             ;   in Loop: Header=BB415_1576 Depth=1
	s_or_b32 exec_lo, exec_lo, s1
	v_lshrrev_b32_e32 v68, 16, v2
	s_mov_b32 s1, exec_lo
	s_delay_alu instid0(VALU_DEP_1) | instskip(NEXT) | instid1(VALU_DEP_1)
	v_dual_mov_b32 v6, 0 :: v_dual_and_b32 v7, 0xff, v68
	v_cmpx_ne_u16_e32 0, v7
	s_cbranch_execz .LBB415_1641
; %bb.1634:                             ;   in Loop: Header=BB415_1576 Depth=1
	v_bfrev_b32_e32 v6, 1
	s_mov_b32 s13, exec_lo
	v_cmpx_ne_u16_e32 0x80, v7
	s_cbranch_execz .LBB415_1640
; %bb.1635:                             ;   in Loop: Header=BB415_1576 Depth=1
	v_bfe_u32 v7, v2, 16, 7
	v_mov_b32_e32 v6, 0x7f800001
	s_mov_b32 s15, exec_lo
	s_delay_alu instid0(VALU_DEP_2)
	v_cmpx_ne_u32_e32 0x7f, v7
	s_cbranch_execz .LBB415_1639
; %bb.1636:                             ;   in Loop: Header=BB415_1576 Depth=1
	v_and_b32_e32 v9, 7, v68
	v_lshrrev_b32_e32 v69, 3, v7
	v_cmp_gt_u32_e32 vcc_lo, 8, v7
	s_delay_alu instid0(VALU_DEP_3)
	v_dual_mov_b32 v6, v9 :: v_dual_mov_b32 v7, v10
	s_and_saveexec_b32 s16, vcc_lo
; %bb.1637:                             ;   in Loop: Header=BB415_1576 Depth=1
	v_clz_i32_u32_e32 v6, v9
	s_delay_alu instid0(VALU_DEP_1) | instskip(NEXT) | instid1(VALU_DEP_1)
	v_min_u32_e32 v20, 32, v6
	v_subrev_nc_u32_e32 v6, 28, v20
	v_sub_nc_u32_e32 v69, 29, v20
	s_delay_alu instid0(VALU_DEP_2) | instskip(NEXT) | instid1(VALU_DEP_1)
	v_lshlrev_b64 v[6:7], v6, v[9:10]
	v_and_b32_e32 v6, 7, v6
; %bb.1638:                             ;   in Loop: Header=BB415_1576 Depth=1
	s_or_b32 exec_lo, exec_lo, s16
	v_lshlrev_b32_e32 v7, 24, v68
	s_delay_alu instid0(VALU_DEP_2) | instskip(SKIP_1) | instid1(VALU_DEP_3)
	v_lshlrev_b32_e32 v6, 20, v6
	v_lshl_add_u32 v9, v69, 23, 0x3c000000
	v_and_b32_e32 v7, 0x80000000, v7
	s_delay_alu instid0(VALU_DEP_1)
	v_or3_b32 v6, v6, v7, v9
.LBB415_1639:                           ;   in Loop: Header=BB415_1576 Depth=1
	s_or_b32 exec_lo, exec_lo, s15
.LBB415_1640:                           ;   in Loop: Header=BB415_1576 Depth=1
	s_delay_alu instid0(SALU_CYCLE_1)
	s_or_b32 exec_lo, exec_lo, s13
.LBB415_1641:                           ;   in Loop: Header=BB415_1576 Depth=1
	s_delay_alu instid0(SALU_CYCLE_1) | instskip(NEXT) | instid1(VALU_DEP_1)
	s_or_b32 exec_lo, exec_lo, s1
	v_mul_f32_e32 v6, v8, v6
	s_mov_b32 s1, exec_lo
                                        ; implicit-def: $vgpr68
	s_delay_alu instid0(VALU_DEP_1) | instskip(NEXT) | instid1(VALU_DEP_1)
	v_and_b32_e32 v7, 0x7f800000, v6
	v_cmpx_ne_u32_e32 0x7f800000, v7
	s_xor_b32 s1, exec_lo, s1
; %bb.1642:                             ;   in Loop: Header=BB415_1576 Depth=1
	v_bfe_u32 v7, v6, 16, 1
	s_delay_alu instid0(VALU_DEP_1)
	v_add3_u32 v68, v6, v7, 0x7fff
                                        ; implicit-def: $vgpr6
; %bb.1643:                             ;   in Loop: Header=BB415_1576 Depth=1
	s_and_not1_saveexec_b32 s1, s1
; %bb.1644:                             ;   in Loop: Header=BB415_1576 Depth=1
	v_and_b32_e32 v7, 0xffff, v6
	v_or_b32_e32 v9, 0x10000, v6
	s_delay_alu instid0(VALU_DEP_2) | instskip(NEXT) | instid1(VALU_DEP_2)
	v_cmp_eq_u32_e32 vcc_lo, 0, v7
	v_cndmask_b32_e32 v68, v9, v6, vcc_lo
; %bb.1645:                             ;   in Loop: Header=BB415_1576 Depth=1
	s_or_b32 exec_lo, exec_lo, s1
	v_mov_b32_e32 v6, 0
	s_mov_b32 s1, exec_lo
	v_cmpx_lt_u32_e32 0xffffff, v2
	s_cbranch_execz .LBB415_1653
; %bb.1646:                             ;   in Loop: Header=BB415_1576 Depth=1
	v_lshrrev_b32_e32 v69, 24, v2
	v_bfrev_b32_e32 v6, 1
	s_mov_b32 s13, exec_lo
	s_delay_alu instid0(VALU_DEP_2)
	v_cmpx_ne_u32_e32 0x80, v69
	s_cbranch_execz .LBB415_1652
; %bb.1647:                             ;   in Loop: Header=BB415_1576 Depth=1
	v_bfe_u32 v7, v2, 24, 7
	v_mov_b32_e32 v6, 0x7f800001
	s_mov_b32 s15, exec_lo
	s_delay_alu instid0(VALU_DEP_2)
	v_cmpx_ne_u32_e32 0x7f, v7
	s_cbranch_execz .LBB415_1651
; %bb.1648:                             ;   in Loop: Header=BB415_1576 Depth=1
	v_and_b32_e32 v9, 7, v69
	v_lshrrev_b32_e32 v70, 3, v7
	v_cmp_gt_u32_e32 vcc_lo, 8, v7
	s_delay_alu instid0(VALU_DEP_3)
	v_dual_mov_b32 v6, v9 :: v_dual_mov_b32 v7, v10
	s_and_saveexec_b32 s16, vcc_lo
; %bb.1649:                             ;   in Loop: Header=BB415_1576 Depth=1
	v_clz_i32_u32_e32 v6, v9
	s_delay_alu instid0(VALU_DEP_1) | instskip(NEXT) | instid1(VALU_DEP_1)
	v_min_u32_e32 v20, 32, v6
	v_subrev_nc_u32_e32 v6, 28, v20
	v_sub_nc_u32_e32 v70, 29, v20
	s_delay_alu instid0(VALU_DEP_2) | instskip(NEXT) | instid1(VALU_DEP_1)
	v_lshlrev_b64 v[6:7], v6, v[9:10]
	v_and_b32_e32 v6, 7, v6
; %bb.1650:                             ;   in Loop: Header=BB415_1576 Depth=1
	s_or_b32 exec_lo, exec_lo, s16
	v_lshlrev_b32_e32 v7, 24, v69
	s_delay_alu instid0(VALU_DEP_2) | instskip(SKIP_1) | instid1(VALU_DEP_3)
	v_lshlrev_b32_e32 v6, 20, v6
	v_lshl_add_u32 v9, v70, 23, 0x3c000000
	v_and_b32_e32 v7, 0x80000000, v7
	s_delay_alu instid0(VALU_DEP_1)
	v_or3_b32 v6, v6, v7, v9
.LBB415_1651:                           ;   in Loop: Header=BB415_1576 Depth=1
	s_or_b32 exec_lo, exec_lo, s15
.LBB415_1652:                           ;   in Loop: Header=BB415_1576 Depth=1
	s_delay_alu instid0(SALU_CYCLE_1)
	s_or_b32 exec_lo, exec_lo, s13
.LBB415_1653:                           ;   in Loop: Header=BB415_1576 Depth=1
	s_delay_alu instid0(SALU_CYCLE_1) | instskip(NEXT) | instid1(VALU_DEP_1)
	s_or_b32 exec_lo, exec_lo, s1
	v_mul_f32_e32 v6, v8, v6
	s_mov_b32 s1, exec_lo
                                        ; implicit-def: $vgpr69
	s_delay_alu instid0(VALU_DEP_1) | instskip(NEXT) | instid1(VALU_DEP_1)
	v_and_b32_e32 v7, 0x7f800000, v6
	v_cmpx_ne_u32_e32 0x7f800000, v7
	s_xor_b32 s1, exec_lo, s1
; %bb.1654:                             ;   in Loop: Header=BB415_1576 Depth=1
	v_bfe_u32 v7, v6, 16, 1
	s_delay_alu instid0(VALU_DEP_1)
	v_add3_u32 v69, v6, v7, 0x7fff
                                        ; implicit-def: $vgpr6
; %bb.1655:                             ;   in Loop: Header=BB415_1576 Depth=1
	s_and_not1_saveexec_b32 s1, s1
; %bb.1656:                             ;   in Loop: Header=BB415_1576 Depth=1
	v_and_b32_e32 v7, 0xffff, v6
	v_or_b32_e32 v9, 0x10000, v6
	s_delay_alu instid0(VALU_DEP_2) | instskip(NEXT) | instid1(VALU_DEP_2)
	v_cmp_eq_u32_e32 vcc_lo, 0, v7
	v_cndmask_b32_e32 v69, v9, v6, vcc_lo
; %bb.1657:                             ;   in Loop: Header=BB415_1576 Depth=1
	s_or_b32 exec_lo, exec_lo, s1
	v_dual_mov_b32 v6, 0 :: v_dual_and_b32 v7, 0xff, v3
	v_mov_b32_e32 v9, v3
	s_mov_b32 s1, exec_lo
	s_delay_alu instid0(VALU_DEP_2)
	v_cmpx_ne_u16_e32 0, v7
	s_cbranch_execz .LBB415_1665
; %bb.1658:                             ;   in Loop: Header=BB415_1576 Depth=1
	v_bfrev_b32_e32 v6, 1
	s_mov_b32 s13, exec_lo
	v_cmpx_ne_u16_e32 0x80, v7
	s_cbranch_execz .LBB415_1664
; %bb.1659:                             ;   in Loop: Header=BB415_1576 Depth=1
	v_and_b32_e32 v7, 0x7f, v3
	v_mov_b32_e32 v6, 0x7f800001
	s_mov_b32 s15, exec_lo
	s_delay_alu instid0(VALU_DEP_2)
	v_cmpx_ne_u32_e32 0x7f, v7
	s_cbranch_execz .LBB415_1663
; %bb.1660:                             ;   in Loop: Header=BB415_1576 Depth=1
	v_lshrrev_b32_e32 v70, 3, v7
	v_cmp_gt_u32_e32 vcc_lo, 8, v7
	v_dual_mov_b32 v6, v9 :: v_dual_mov_b32 v7, v10
	s_and_saveexec_b32 s16, vcc_lo
; %bb.1661:                             ;   in Loop: Header=BB415_1576 Depth=1
	v_and_b32_e32 v6, 7, v3
	s_delay_alu instid0(VALU_DEP_1) | instskip(NEXT) | instid1(VALU_DEP_1)
	v_clz_i32_u32_e32 v6, v6
	v_min_u32_e32 v20, 32, v6
	s_delay_alu instid0(VALU_DEP_1) | instskip(SKIP_1) | instid1(VALU_DEP_2)
	v_subrev_nc_u32_e32 v6, 28, v20
	v_sub_nc_u32_e32 v70, 29, v20
	v_lshlrev_b64 v[6:7], v6, v[9:10]
; %bb.1662:                             ;   in Loop: Header=BB415_1576 Depth=1
	s_or_b32 exec_lo, exec_lo, s16
	s_delay_alu instid0(VALU_DEP_1) | instskip(SKIP_2) | instid1(VALU_DEP_3)
	v_lshlrev_b32_e32 v6, 20, v6
	v_lshlrev_b32_e32 v7, 24, v9
	v_lshl_add_u32 v20, v70, 23, 0x3c000000
	v_and_b32_e32 v6, 0x700000, v6
	s_delay_alu instid0(VALU_DEP_3) | instskip(NEXT) | instid1(VALU_DEP_1)
	v_and_b32_e32 v7, 0x80000000, v7
	v_or3_b32 v6, v6, v7, v20
.LBB415_1663:                           ;   in Loop: Header=BB415_1576 Depth=1
	s_or_b32 exec_lo, exec_lo, s15
.LBB415_1664:                           ;   in Loop: Header=BB415_1576 Depth=1
	s_delay_alu instid0(SALU_CYCLE_1)
	s_or_b32 exec_lo, exec_lo, s13
.LBB415_1665:                           ;   in Loop: Header=BB415_1576 Depth=1
	s_delay_alu instid0(SALU_CYCLE_1) | instskip(NEXT) | instid1(VALU_DEP_1)
	s_or_b32 exec_lo, exec_lo, s1
	v_mul_f32_e32 v6, v8, v6
	s_mov_b32 s1, exec_lo
                                        ; implicit-def: $vgpr71
	s_delay_alu instid0(VALU_DEP_1) | instskip(NEXT) | instid1(VALU_DEP_1)
	v_and_b32_e32 v7, 0x7f800000, v6
	v_cmpx_ne_u32_e32 0x7f800000, v7
	s_xor_b32 s1, exec_lo, s1
; %bb.1666:                             ;   in Loop: Header=BB415_1576 Depth=1
	v_bfe_u32 v7, v6, 16, 1
	s_delay_alu instid0(VALU_DEP_1)
	v_add3_u32 v71, v6, v7, 0x7fff
                                        ; implicit-def: $vgpr6
; %bb.1667:                             ;   in Loop: Header=BB415_1576 Depth=1
	s_and_not1_saveexec_b32 s1, s1
; %bb.1668:                             ;   in Loop: Header=BB415_1576 Depth=1
	v_and_b32_e32 v7, 0xffff, v6
	v_or_b32_e32 v20, 0x10000, v6
	s_delay_alu instid0(VALU_DEP_2) | instskip(NEXT) | instid1(VALU_DEP_2)
	v_cmp_eq_u32_e32 vcc_lo, 0, v7
	v_cndmask_b32_e32 v71, v20, v6, vcc_lo
; %bb.1669:                             ;   in Loop: Header=BB415_1576 Depth=1
	s_or_b32 exec_lo, exec_lo, s1
	v_lshrrev_b16 v7, 8, v9
	v_mov_b32_e32 v6, 0
	s_mov_b32 s1, exec_lo
	s_delay_alu instid0(VALU_DEP_2)
	v_cmpx_ne_u16_e32 0, v7
	s_cbranch_execz .LBB415_1677
; %bb.1670:                             ;   in Loop: Header=BB415_1576 Depth=1
	v_bfrev_b32_e32 v6, 1
	s_mov_b32 s13, exec_lo
	v_cmpx_ne_u16_e32 0x80, v7
	s_cbranch_execz .LBB415_1676
; %bb.1671:                             ;   in Loop: Header=BB415_1576 Depth=1
	v_and_b32_e32 v7, 0xffff, v7
	v_mov_b32_e32 v6, 0x7f800001
	s_mov_b32 s15, exec_lo
	s_delay_alu instid0(VALU_DEP_2) | instskip(NEXT) | instid1(VALU_DEP_1)
	v_and_b32_e32 v80, 0x7f, v7
	v_cmpx_ne_u32_e32 0x7f, v80
	s_cbranch_execz .LBB415_1675
; %bb.1672:                             ;   in Loop: Header=BB415_1576 Depth=1
	v_dual_mov_b32 v7, v10 :: v_dual_and_b32 v6, 7, v7
	v_lshrrev_b32_e32 v70, 3, v80
	s_mov_b32 s16, exec_lo
	v_cmpx_gt_u32_e32 8, v80
; %bb.1673:                             ;   in Loop: Header=BB415_1576 Depth=1
	s_delay_alu instid0(VALU_DEP_3) | instskip(NEXT) | instid1(VALU_DEP_1)
	v_clz_i32_u32_e32 v20, v6
	v_min_u32_e32 v20, 32, v20
	s_delay_alu instid0(VALU_DEP_1) | instskip(SKIP_1) | instid1(VALU_DEP_2)
	v_subrev_nc_u32_e32 v22, 28, v20
	v_sub_nc_u32_e32 v70, 29, v20
	v_lshlrev_b64 v[6:7], v22, v[6:7]
	s_delay_alu instid0(VALU_DEP_1)
	v_and_b32_e32 v6, 7, v6
; %bb.1674:                             ;   in Loop: Header=BB415_1576 Depth=1
	s_or_b32 exec_lo, exec_lo, s16
	v_lshlrev_b32_e32 v7, 16, v9
	s_delay_alu instid0(VALU_DEP_2) | instskip(SKIP_1) | instid1(VALU_DEP_3)
	v_lshlrev_b32_e32 v6, 20, v6
	v_lshl_add_u32 v9, v70, 23, 0x3c000000
	v_and_b32_e32 v7, 0x80000000, v7
	s_delay_alu instid0(VALU_DEP_1)
	v_or3_b32 v6, v6, v7, v9
.LBB415_1675:                           ;   in Loop: Header=BB415_1576 Depth=1
	s_or_b32 exec_lo, exec_lo, s15
.LBB415_1676:                           ;   in Loop: Header=BB415_1576 Depth=1
	s_delay_alu instid0(SALU_CYCLE_1)
	s_or_b32 exec_lo, exec_lo, s13
.LBB415_1677:                           ;   in Loop: Header=BB415_1576 Depth=1
	s_delay_alu instid0(SALU_CYCLE_1) | instskip(NEXT) | instid1(VALU_DEP_1)
	s_or_b32 exec_lo, exec_lo, s1
	v_mul_f32_e32 v6, v8, v6
	s_mov_b32 s1, exec_lo
                                        ; implicit-def: $vgpr80
	s_delay_alu instid0(VALU_DEP_1) | instskip(NEXT) | instid1(VALU_DEP_1)
	v_and_b32_e32 v7, 0x7f800000, v6
	v_cmpx_ne_u32_e32 0x7f800000, v7
	s_xor_b32 s1, exec_lo, s1
; %bb.1678:                             ;   in Loop: Header=BB415_1576 Depth=1
	v_bfe_u32 v7, v6, 16, 1
	s_delay_alu instid0(VALU_DEP_1)
	v_add3_u32 v80, v6, v7, 0x7fff
                                        ; implicit-def: $vgpr6
; %bb.1679:                             ;   in Loop: Header=BB415_1576 Depth=1
	s_and_not1_saveexec_b32 s1, s1
; %bb.1680:                             ;   in Loop: Header=BB415_1576 Depth=1
	v_and_b32_e32 v7, 0xffff, v6
	v_or_b32_e32 v9, 0x10000, v6
	s_delay_alu instid0(VALU_DEP_2) | instskip(NEXT) | instid1(VALU_DEP_2)
	v_cmp_eq_u32_e32 vcc_lo, 0, v7
	v_cndmask_b32_e32 v80, v9, v6, vcc_lo
; %bb.1681:                             ;   in Loop: Header=BB415_1576 Depth=1
	s_or_b32 exec_lo, exec_lo, s1
	v_lshrrev_b32_e32 v70, 16, v3
	s_mov_b32 s1, exec_lo
	s_delay_alu instid0(VALU_DEP_1) | instskip(NEXT) | instid1(VALU_DEP_1)
	v_dual_mov_b32 v6, 0 :: v_dual_and_b32 v7, 0xff, v70
	v_cmpx_ne_u16_e32 0, v7
	s_cbranch_execz .LBB415_1689
; %bb.1682:                             ;   in Loop: Header=BB415_1576 Depth=1
	v_bfrev_b32_e32 v6, 1
	s_mov_b32 s13, exec_lo
	v_cmpx_ne_u16_e32 0x80, v7
	s_cbranch_execz .LBB415_1688
; %bb.1683:                             ;   in Loop: Header=BB415_1576 Depth=1
	v_bfe_u32 v7, v3, 16, 7
	v_mov_b32_e32 v6, 0x7f800001
	s_mov_b32 s15, exec_lo
	s_delay_alu instid0(VALU_DEP_2)
	v_cmpx_ne_u32_e32 0x7f, v7
	s_cbranch_execz .LBB415_1687
; %bb.1684:                             ;   in Loop: Header=BB415_1576 Depth=1
	v_and_b32_e32 v9, 7, v70
	v_lshrrev_b32_e32 v81, 3, v7
	v_cmp_gt_u32_e32 vcc_lo, 8, v7
	s_delay_alu instid0(VALU_DEP_3)
	v_dual_mov_b32 v6, v9 :: v_dual_mov_b32 v7, v10
	s_and_saveexec_b32 s16, vcc_lo
; %bb.1685:                             ;   in Loop: Header=BB415_1576 Depth=1
	v_clz_i32_u32_e32 v6, v9
	s_delay_alu instid0(VALU_DEP_1) | instskip(NEXT) | instid1(VALU_DEP_1)
	v_min_u32_e32 v20, 32, v6
	v_subrev_nc_u32_e32 v6, 28, v20
	v_sub_nc_u32_e32 v81, 29, v20
	s_delay_alu instid0(VALU_DEP_2) | instskip(NEXT) | instid1(VALU_DEP_1)
	v_lshlrev_b64 v[6:7], v6, v[9:10]
	v_and_b32_e32 v6, 7, v6
; %bb.1686:                             ;   in Loop: Header=BB415_1576 Depth=1
	s_or_b32 exec_lo, exec_lo, s16
	v_lshlrev_b32_e32 v7, 24, v70
	s_delay_alu instid0(VALU_DEP_2) | instskip(SKIP_1) | instid1(VALU_DEP_3)
	v_lshlrev_b32_e32 v6, 20, v6
	v_lshl_add_u32 v9, v81, 23, 0x3c000000
	v_and_b32_e32 v7, 0x80000000, v7
	s_delay_alu instid0(VALU_DEP_1)
	v_or3_b32 v6, v6, v7, v9
.LBB415_1687:                           ;   in Loop: Header=BB415_1576 Depth=1
	s_or_b32 exec_lo, exec_lo, s15
.LBB415_1688:                           ;   in Loop: Header=BB415_1576 Depth=1
	s_delay_alu instid0(SALU_CYCLE_1)
	s_or_b32 exec_lo, exec_lo, s13
.LBB415_1689:                           ;   in Loop: Header=BB415_1576 Depth=1
	s_delay_alu instid0(SALU_CYCLE_1) | instskip(NEXT) | instid1(VALU_DEP_1)
	s_or_b32 exec_lo, exec_lo, s1
	v_mul_f32_e32 v6, v8, v6
	s_mov_b32 s1, exec_lo
                                        ; implicit-def: $vgpr81
	s_delay_alu instid0(VALU_DEP_1) | instskip(NEXT) | instid1(VALU_DEP_1)
	v_and_b32_e32 v7, 0x7f800000, v6
	v_cmpx_ne_u32_e32 0x7f800000, v7
	s_xor_b32 s1, exec_lo, s1
; %bb.1690:                             ;   in Loop: Header=BB415_1576 Depth=1
	v_bfe_u32 v7, v6, 16, 1
	s_delay_alu instid0(VALU_DEP_1)
	v_add3_u32 v81, v6, v7, 0x7fff
                                        ; implicit-def: $vgpr6
; %bb.1691:                             ;   in Loop: Header=BB415_1576 Depth=1
	s_and_not1_saveexec_b32 s1, s1
; %bb.1692:                             ;   in Loop: Header=BB415_1576 Depth=1
	v_and_b32_e32 v7, 0xffff, v6
	v_or_b32_e32 v9, 0x10000, v6
	s_delay_alu instid0(VALU_DEP_2) | instskip(NEXT) | instid1(VALU_DEP_2)
	v_cmp_eq_u32_e32 vcc_lo, 0, v7
	v_cndmask_b32_e32 v81, v9, v6, vcc_lo
; %bb.1693:                             ;   in Loop: Header=BB415_1576 Depth=1
	s_or_b32 exec_lo, exec_lo, s1
	v_cmp_lt_u64_e32 vcc_lo, s[4:5], v[2:3]
	v_mov_b32_e32 v2, 0
	s_and_saveexec_b32 s1, vcc_lo
	s_cbranch_execz .LBB415_1701
; %bb.1694:                             ;   in Loop: Header=BB415_1576 Depth=1
	v_lshrrev_b32_e32 v6, 24, v3
	v_bfrev_b32_e32 v2, 1
	s_mov_b32 s13, exec_lo
	s_delay_alu instid0(VALU_DEP_2)
	v_cmpx_ne_u32_e32 0x80, v6
	s_cbranch_execz .LBB415_1700
; %bb.1695:                             ;   in Loop: Header=BB415_1576 Depth=1
	v_bfe_u32 v3, v3, 24, 7
	v_mov_b32_e32 v2, 0x7f800001
	s_mov_b32 s15, exec_lo
	s_delay_alu instid0(VALU_DEP_2)
	v_cmpx_ne_u32_e32 0x7f, v3
	s_cbranch_execz .LBB415_1699
; %bb.1696:                             ;   in Loop: Header=BB415_1576 Depth=1
	v_and_b32_e32 v9, 7, v6
	v_lshrrev_b32_e32 v7, 3, v3
	v_cmp_gt_u32_e32 vcc_lo, 8, v3
	s_delay_alu instid0(VALU_DEP_3)
	v_dual_mov_b32 v2, v9 :: v_dual_mov_b32 v3, v10
	s_and_saveexec_b32 s16, vcc_lo
; %bb.1697:                             ;   in Loop: Header=BB415_1576 Depth=1
	v_clz_i32_u32_e32 v2, v9
	s_delay_alu instid0(VALU_DEP_1) | instskip(NEXT) | instid1(VALU_DEP_1)
	v_min_u32_e32 v7, 32, v2
	v_subrev_nc_u32_e32 v2, 28, v7
	v_sub_nc_u32_e32 v7, 29, v7
	s_delay_alu instid0(VALU_DEP_2) | instskip(NEXT) | instid1(VALU_DEP_1)
	v_lshlrev_b64 v[2:3], v2, v[9:10]
	v_and_b32_e32 v2, 7, v2
; %bb.1698:                             ;   in Loop: Header=BB415_1576 Depth=1
	s_or_b32 exec_lo, exec_lo, s16
	v_lshlrev_b32_e32 v3, 24, v6
	s_delay_alu instid0(VALU_DEP_2) | instskip(SKIP_1) | instid1(VALU_DEP_3)
	v_lshlrev_b32_e32 v2, 20, v2
	v_lshl_add_u32 v6, v7, 23, 0x3c000000
	v_and_b32_e32 v3, 0x80000000, v3
	s_delay_alu instid0(VALU_DEP_1)
	v_or3_b32 v2, v2, v3, v6
.LBB415_1699:                           ;   in Loop: Header=BB415_1576 Depth=1
	s_or_b32 exec_lo, exec_lo, s15
.LBB415_1700:                           ;   in Loop: Header=BB415_1576 Depth=1
	s_delay_alu instid0(SALU_CYCLE_1)
	s_or_b32 exec_lo, exec_lo, s13
.LBB415_1701:                           ;   in Loop: Header=BB415_1576 Depth=1
	s_delay_alu instid0(SALU_CYCLE_1) | instskip(NEXT) | instid1(VALU_DEP_1)
	s_or_b32 exec_lo, exec_lo, s1
	v_mul_f32_e32 v3, v8, v2
	s_delay_alu instid0(VALU_DEP_1) | instskip(NEXT) | instid1(VALU_DEP_1)
	v_and_b32_e32 v2, 0x7f800000, v3
	v_cmp_ne_u32_e32 vcc_lo, 0x7f800000, v2
                                        ; implicit-def: $vgpr2
	s_and_saveexec_b32 s1, vcc_lo
	s_delay_alu instid0(SALU_CYCLE_1)
	s_xor_b32 s1, exec_lo, s1
; %bb.1702:                             ;   in Loop: Header=BB415_1576 Depth=1
	v_bfe_u32 v2, v3, 16, 1
	s_delay_alu instid0(VALU_DEP_1)
	v_add3_u32 v2, v3, v2, 0x7fff
                                        ; implicit-def: $vgpr3
; %bb.1703:                             ;   in Loop: Header=BB415_1576 Depth=1
	s_and_not1_saveexec_b32 s1, s1
; %bb.1704:                             ;   in Loop: Header=BB415_1576 Depth=1
	v_and_b32_e32 v2, 0xffff, v3
	v_or_b32_e32 v6, 0x10000, v3
	s_delay_alu instid0(VALU_DEP_2) | instskip(NEXT) | instid1(VALU_DEP_2)
	v_cmp_eq_u32_e32 vcc_lo, 0, v2
	v_cndmask_b32_e32 v2, v6, v3, vcc_lo
; %bb.1705:                             ;   in Loop: Header=BB415_1576 Depth=1
	s_or_b32 exec_lo, exec_lo, s1
	scratch_load_b64 v[6:7], off, s32 offset:328 ; 8-byte Folded Reload
	v_add_nc_u32_e32 v70, v50, v23
	s_waitcnt vmcnt(0)
	v_lshrrev_b32_e32 v7, 16, v71
	v_lshrrev_b32_e32 v9, 16, v69
	;; [unrolled: 1-line block ×7, first 2 shown]
	v_add_nc_u32_e32 v101, 1, v70
	v_add_nc_u32_e32 v100, 2, v70
	;; [unrolled: 1-line block ×6, first 2 shown]
	v_cmp_eq_u32_e32 vcc_lo, v51, v6
	v_lshrrev_b32_e32 v6, 16, v80
	v_add_nc_u32_e32 v80, 6, v70
	s_and_saveexec_b32 s13, vcc_lo
	s_cbranch_execz .LBB415_1707
; %bb.1706:                             ;   in Loop: Header=BB415_1576 Depth=1
	v_cmp_lt_i32_e64 s1, v70, v86
	s_delay_alu instid0(VALU_DEP_1) | instskip(SKIP_1) | instid1(VALU_DEP_1)
	v_cndmask_b32_e64 v66, 0, v66, s1
	v_cmp_lt_i32_e64 s1, v101, v86
	v_cndmask_b32_e64 v67, 0, v67, s1
	v_cmp_lt_i32_e64 s1, v100, v86
	s_delay_alu instid0(VALU_DEP_1) | instskip(SKIP_1) | instid1(VALU_DEP_1)
	v_cndmask_b32_e64 v68, 0, v68, s1
	v_cmp_lt_i32_e64 s1, v83, v86
	v_cndmask_b32_e64 v9, 0, v9, s1
	;; [unrolled: 5-line block ×4, first 2 shown]
.LBB415_1707:                           ;   in Loop: Header=BB415_1576 Depth=1
	s_or_b32 exec_lo, exec_lo, s13
	v_and_b32_e32 v102, 0xffff0000, v53
	v_lshlrev_b32_e32 v20, 16, v66
                                        ; implicit-def: $vgpr53
	s_delay_alu instid0(VALU_DEP_1) | instskip(NEXT) | instid1(VALU_DEP_1)
	v_mul_f32_e32 v66, v102, v20
	v_and_b32_e32 v20, 0x7f800000, v66
	s_delay_alu instid0(VALU_DEP_1) | instskip(NEXT) | instid1(VALU_DEP_1)
	v_cmp_ne_u32_e64 s1, 0x7f800000, v20
	s_and_saveexec_b32 s13, s1
	s_delay_alu instid0(SALU_CYCLE_1)
	s_xor_b32 s1, exec_lo, s13
; %bb.1708:                             ;   in Loop: Header=BB415_1576 Depth=1
	v_bfe_u32 v20, v66, 16, 1
	s_delay_alu instid0(VALU_DEP_1)
	v_add3_u32 v53, v66, v20, 0x7fff
                                        ; implicit-def: $vgpr66
; %bb.1709:                             ;   in Loop: Header=BB415_1576 Depth=1
	s_and_not1_saveexec_b32 s13, s1
; %bb.1710:                             ;   in Loop: Header=BB415_1576 Depth=1
	v_and_b32_e32 v20, 0xffff, v66
	v_or_b32_e32 v22, 0x10000, v66
	s_delay_alu instid0(VALU_DEP_2) | instskip(NEXT) | instid1(VALU_DEP_1)
	v_cmp_eq_u32_e64 s1, 0, v20
	v_cndmask_b32_e64 v53, v22, v66, s1
; %bb.1711:                             ;   in Loop: Header=BB415_1576 Depth=1
	s_or_b32 exec_lo, exec_lo, s13
	v_and_b32_e32 v103, 0xffff0000, v54
	v_lshlrev_b32_e32 v20, 16, v67
                                        ; implicit-def: $vgpr54
	s_delay_alu instid0(VALU_DEP_1) | instskip(NEXT) | instid1(VALU_DEP_1)
	v_mul_f32_e32 v66, v103, v20
	v_and_b32_e32 v20, 0x7f800000, v66
	s_delay_alu instid0(VALU_DEP_1) | instskip(NEXT) | instid1(VALU_DEP_1)
	v_cmp_ne_u32_e64 s1, 0x7f800000, v20
	s_and_saveexec_b32 s13, s1
	s_delay_alu instid0(SALU_CYCLE_1)
	s_xor_b32 s1, exec_lo, s13
; %bb.1712:                             ;   in Loop: Header=BB415_1576 Depth=1
	v_bfe_u32 v20, v66, 16, 1
	s_delay_alu instid0(VALU_DEP_1)
	v_add3_u32 v54, v66, v20, 0x7fff
                                        ; implicit-def: $vgpr66
; %bb.1713:                             ;   in Loop: Header=BB415_1576 Depth=1
	s_and_not1_saveexec_b32 s13, s1
; %bb.1714:                             ;   in Loop: Header=BB415_1576 Depth=1
	v_and_b32_e32 v20, 0xffff, v66
	v_or_b32_e32 v22, 0x10000, v66
	s_delay_alu instid0(VALU_DEP_2) | instskip(NEXT) | instid1(VALU_DEP_1)
	v_cmp_eq_u32_e64 s1, 0, v20
	v_cndmask_b32_e64 v54, v22, v66, s1
; %bb.1715:                             ;   in Loop: Header=BB415_1576 Depth=1
	s_or_b32 exec_lo, exec_lo, s13
	v_and_b32_e32 v112, 0xffff0000, v55
	v_lshlrev_b32_e32 v20, 16, v68
                                        ; implicit-def: $vgpr55
	s_delay_alu instid0(VALU_DEP_1) | instskip(NEXT) | instid1(VALU_DEP_1)
	v_mul_f32_e32 v66, v112, v20
	v_and_b32_e32 v20, 0x7f800000, v66
	s_delay_alu instid0(VALU_DEP_1) | instskip(NEXT) | instid1(VALU_DEP_1)
	v_cmp_ne_u32_e64 s1, 0x7f800000, v20
	s_and_saveexec_b32 s13, s1
	s_delay_alu instid0(SALU_CYCLE_1)
	s_xor_b32 s1, exec_lo, s13
; %bb.1716:                             ;   in Loop: Header=BB415_1576 Depth=1
	v_bfe_u32 v20, v66, 16, 1
	s_delay_alu instid0(VALU_DEP_1)
	v_add3_u32 v55, v66, v20, 0x7fff
                                        ; implicit-def: $vgpr66
; %bb.1717:                             ;   in Loop: Header=BB415_1576 Depth=1
	s_and_not1_saveexec_b32 s13, s1
; %bb.1718:                             ;   in Loop: Header=BB415_1576 Depth=1
	v_and_b32_e32 v20, 0xffff, v66
	v_or_b32_e32 v22, 0x10000, v66
	s_delay_alu instid0(VALU_DEP_2) | instskip(NEXT) | instid1(VALU_DEP_1)
	v_cmp_eq_u32_e64 s1, 0, v20
	v_cndmask_b32_e64 v55, v22, v66, s1
; %bb.1719:                             ;   in Loop: Header=BB415_1576 Depth=1
	s_or_b32 exec_lo, exec_lo, s13
	v_and_b32_e32 v113, 0xffff0000, v65
	v_lshlrev_b32_e32 v9, 16, v9
                                        ; implicit-def: $vgpr65
	s_delay_alu instid0(VALU_DEP_1) | instskip(NEXT) | instid1(VALU_DEP_1)
	v_mul_f32_e32 v9, v113, v9
	v_and_b32_e32 v20, 0x7f800000, v9
	s_delay_alu instid0(VALU_DEP_1) | instskip(NEXT) | instid1(VALU_DEP_1)
	v_cmp_ne_u32_e64 s1, 0x7f800000, v20
	s_and_saveexec_b32 s13, s1
	s_delay_alu instid0(SALU_CYCLE_1)
	s_xor_b32 s1, exec_lo, s13
; %bb.1720:                             ;   in Loop: Header=BB415_1576 Depth=1
	v_bfe_u32 v20, v9, 16, 1
	s_delay_alu instid0(VALU_DEP_1)
	v_add3_u32 v65, v9, v20, 0x7fff
                                        ; implicit-def: $vgpr9
; %bb.1721:                             ;   in Loop: Header=BB415_1576 Depth=1
	s_and_not1_saveexec_b32 s13, s1
; %bb.1722:                             ;   in Loop: Header=BB415_1576 Depth=1
	v_and_b32_e32 v20, 0xffff, v9
	v_or_b32_e32 v22, 0x10000, v9
	s_delay_alu instid0(VALU_DEP_2) | instskip(NEXT) | instid1(VALU_DEP_1)
	v_cmp_eq_u32_e64 s1, 0, v20
	v_cndmask_b32_e64 v65, v22, v9, s1
; %bb.1723:                             ;   in Loop: Header=BB415_1576 Depth=1
	s_or_b32 exec_lo, exec_lo, s13
	v_and_b32_e32 v114, 0xffff0000, v39
	v_lshlrev_b32_e32 v7, 16, v7
                                        ; implicit-def: $vgpr66
	s_delay_alu instid0(VALU_DEP_1) | instskip(NEXT) | instid1(VALU_DEP_1)
	v_mul_f32_e32 v7, v114, v7
	v_and_b32_e32 v9, 0x7f800000, v7
	s_delay_alu instid0(VALU_DEP_1) | instskip(NEXT) | instid1(VALU_DEP_1)
	v_cmp_ne_u32_e64 s1, 0x7f800000, v9
	s_and_saveexec_b32 s13, s1
	s_delay_alu instid0(SALU_CYCLE_1)
	s_xor_b32 s1, exec_lo, s13
; %bb.1724:                             ;   in Loop: Header=BB415_1576 Depth=1
	v_bfe_u32 v9, v7, 16, 1
	s_delay_alu instid0(VALU_DEP_1)
	v_add3_u32 v66, v7, v9, 0x7fff
                                        ; implicit-def: $vgpr7
; %bb.1725:                             ;   in Loop: Header=BB415_1576 Depth=1
	s_and_not1_saveexec_b32 s13, s1
; %bb.1726:                             ;   in Loop: Header=BB415_1576 Depth=1
	v_and_b32_e32 v9, 0xffff, v7
	v_or_b32_e32 v20, 0x10000, v7
	s_delay_alu instid0(VALU_DEP_2) | instskip(NEXT) | instid1(VALU_DEP_1)
	v_cmp_eq_u32_e64 s1, 0, v9
	v_cndmask_b32_e64 v66, v20, v7, s1
; %bb.1727:                             ;   in Loop: Header=BB415_1576 Depth=1
	s_or_b32 exec_lo, exec_lo, s13
	v_and_b32_e32 v115, 0xffff0000, v21
	v_lshlrev_b32_e32 v6, 16, v6
                                        ; implicit-def: $vgpr67
	s_delay_alu instid0(VALU_DEP_1) | instskip(NEXT) | instid1(VALU_DEP_1)
	v_mul_f32_e32 v6, v115, v6
	v_and_b32_e32 v7, 0x7f800000, v6
	s_delay_alu instid0(VALU_DEP_1) | instskip(NEXT) | instid1(VALU_DEP_1)
	v_cmp_ne_u32_e64 s1, 0x7f800000, v7
	s_and_saveexec_b32 s13, s1
	s_delay_alu instid0(SALU_CYCLE_1)
	s_xor_b32 s1, exec_lo, s13
; %bb.1728:                             ;   in Loop: Header=BB415_1576 Depth=1
	v_bfe_u32 v7, v6, 16, 1
	s_delay_alu instid0(VALU_DEP_1)
	v_add3_u32 v67, v6, v7, 0x7fff
                                        ; implicit-def: $vgpr6
; %bb.1729:                             ;   in Loop: Header=BB415_1576 Depth=1
	s_and_not1_saveexec_b32 s13, s1
; %bb.1730:                             ;   in Loop: Header=BB415_1576 Depth=1
	v_and_b32_e32 v7, 0xffff, v6
	v_or_b32_e32 v9, 0x10000, v6
	s_delay_alu instid0(VALU_DEP_2) | instskip(NEXT) | instid1(VALU_DEP_1)
	v_cmp_eq_u32_e64 s1, 0, v7
	v_cndmask_b32_e64 v67, v9, v6, s1
; %bb.1731:                             ;   in Loop: Header=BB415_1576 Depth=1
	s_or_b32 exec_lo, exec_lo, s13
	v_and_b32_e32 v116, 0xffff0000, v5
	v_lshlrev_b32_e32 v3, 16, v3
                                        ; implicit-def: $vgpr68
	s_delay_alu instid0(VALU_DEP_1) | instskip(NEXT) | instid1(VALU_DEP_1)
	v_mul_f32_e32 v3, v116, v3
	v_and_b32_e32 v5, 0x7f800000, v3
	s_delay_alu instid0(VALU_DEP_1) | instskip(NEXT) | instid1(VALU_DEP_1)
	v_cmp_ne_u32_e64 s1, 0x7f800000, v5
	s_and_saveexec_b32 s13, s1
	s_delay_alu instid0(SALU_CYCLE_1)
	s_xor_b32 s1, exec_lo, s13
; %bb.1732:                             ;   in Loop: Header=BB415_1576 Depth=1
	v_bfe_u32 v5, v3, 16, 1
	s_delay_alu instid0(VALU_DEP_1)
	v_add3_u32 v68, v3, v5, 0x7fff
                                        ; implicit-def: $vgpr3
; %bb.1733:                             ;   in Loop: Header=BB415_1576 Depth=1
	s_and_not1_saveexec_b32 s13, s1
; %bb.1734:                             ;   in Loop: Header=BB415_1576 Depth=1
	v_and_b32_e32 v5, 0xffff, v3
	v_or_b32_e32 v6, 0x10000, v3
	s_delay_alu instid0(VALU_DEP_2) | instskip(NEXT) | instid1(VALU_DEP_1)
	v_cmp_eq_u32_e64 s1, 0, v5
	v_cndmask_b32_e64 v68, v6, v3, s1
; %bb.1735:                             ;   in Loop: Header=BB415_1576 Depth=1
	s_or_b32 exec_lo, exec_lo, s13
	v_and_b32_e32 v117, 0xffff0000, v4
	v_lshlrev_b32_e32 v2, 16, v2
                                        ; implicit-def: $vgpr69
	s_delay_alu instid0(VALU_DEP_1) | instskip(NEXT) | instid1(VALU_DEP_1)
	v_mul_f32_e32 v2, v117, v2
	v_and_b32_e32 v3, 0x7f800000, v2
	s_delay_alu instid0(VALU_DEP_1) | instskip(NEXT) | instid1(VALU_DEP_1)
	v_cmp_ne_u32_e64 s1, 0x7f800000, v3
	s_and_saveexec_b32 s13, s1
	s_delay_alu instid0(SALU_CYCLE_1)
	s_xor_b32 s1, exec_lo, s13
; %bb.1736:                             ;   in Loop: Header=BB415_1576 Depth=1
	v_bfe_u32 v3, v2, 16, 1
	s_delay_alu instid0(VALU_DEP_1)
	v_add3_u32 v69, v2, v3, 0x7fff
                                        ; implicit-def: $vgpr2
; %bb.1737:                             ;   in Loop: Header=BB415_1576 Depth=1
	s_and_not1_saveexec_b32 s13, s1
; %bb.1738:                             ;   in Loop: Header=BB415_1576 Depth=1
	v_and_b32_e32 v3, 0xffff, v2
	v_or_b32_e32 v4, 0x10000, v2
	s_delay_alu instid0(VALU_DEP_2) | instskip(NEXT) | instid1(VALU_DEP_1)
	v_cmp_eq_u32_e64 s1, 0, v3
	v_cndmask_b32_e64 v69, v4, v2, s1
; %bb.1739:                             ;   in Loop: Header=BB415_1576 Depth=1
	s_or_b32 exec_lo, exec_lo, s13
	flat_load_b64 v[2:3], v[0:1] offset:256
	s_mov_b32 s13, exec_lo
	s_waitcnt vmcnt(0) lgkmcnt(0)
	v_dual_mov_b32 v4, 0 :: v_dual_and_b32 v5, 0xff, v2
	s_delay_alu instid0(VALU_DEP_1)
	v_cmpx_ne_u16_e32 0, v5
	s_cbranch_execz .LBB415_1747
; %bb.1740:                             ;   in Loop: Header=BB415_1576 Depth=1
	v_bfrev_b32_e32 v4, 1
	s_mov_b32 s15, exec_lo
	v_cmpx_ne_u16_e32 0x80, v5
	s_cbranch_execz .LBB415_1746
; %bb.1741:                             ;   in Loop: Header=BB415_1576 Depth=1
	v_and_b32_e32 v5, 0x7f, v2
	v_mov_b32_e32 v4, 0x7f800001
	s_mov_b32 s16, exec_lo
	s_delay_alu instid0(VALU_DEP_2)
	v_cmpx_ne_u32_e32 0x7f, v5
	s_cbranch_execz .LBB415_1745
; %bb.1742:                             ;   in Loop: Header=BB415_1576 Depth=1
	v_lshrrev_b32_e32 v4, 3, v5
	v_dual_mov_b32 v7, v3 :: v_dual_mov_b32 v6, v2
	s_mov_b32 s17, exec_lo
	v_cmpx_gt_u32_e32 8, v5
; %bb.1743:                             ;   in Loop: Header=BB415_1576 Depth=1
	v_and_b32_e32 v4, 7, v2
	s_delay_alu instid0(VALU_DEP_1) | instskip(NEXT) | instid1(VALU_DEP_1)
	v_clz_i32_u32_e32 v4, v4
	v_min_u32_e32 v4, 32, v4
	s_delay_alu instid0(VALU_DEP_1) | instskip(SKIP_1) | instid1(VALU_DEP_2)
	v_subrev_nc_u32_e32 v5, 28, v4
	v_sub_nc_u32_e32 v4, 29, v4
	v_lshlrev_b64 v[6:7], v5, v[2:3]
; %bb.1744:                             ;   in Loop: Header=BB415_1576 Depth=1
	s_or_b32 exec_lo, exec_lo, s17
	s_delay_alu instid0(VALU_DEP_1) | instskip(SKIP_2) | instid1(VALU_DEP_3)
	v_lshlrev_b32_e32 v5, 20, v6
	v_lshlrev_b32_e32 v6, 24, v2
	v_lshl_add_u32 v4, v4, 23, 0x3c000000
	v_and_b32_e32 v5, 0x700000, v5
	s_delay_alu instid0(VALU_DEP_3) | instskip(NEXT) | instid1(VALU_DEP_1)
	v_and_b32_e32 v6, 0x80000000, v6
	v_or3_b32 v4, v5, v6, v4
.LBB415_1745:                           ;   in Loop: Header=BB415_1576 Depth=1
	s_or_b32 exec_lo, exec_lo, s16
.LBB415_1746:                           ;   in Loop: Header=BB415_1576 Depth=1
	s_delay_alu instid0(SALU_CYCLE_1)
	s_or_b32 exec_lo, exec_lo, s15
.LBB415_1747:                           ;   in Loop: Header=BB415_1576 Depth=1
	s_delay_alu instid0(SALU_CYCLE_1) | instskip(NEXT) | instid1(VALU_DEP_1)
	s_or_b32 exec_lo, exec_lo, s13
	v_mul_f32_e32 v5, v8, v4
	s_delay_alu instid0(VALU_DEP_1) | instskip(NEXT) | instid1(VALU_DEP_1)
	v_and_b32_e32 v4, 0x7f800000, v5
	v_cmp_ne_u32_e64 s1, 0x7f800000, v4
                                        ; implicit-def: $vgpr4
	s_delay_alu instid0(VALU_DEP_1) | instskip(NEXT) | instid1(SALU_CYCLE_1)
	s_and_saveexec_b32 s13, s1
	s_xor_b32 s1, exec_lo, s13
; %bb.1748:                             ;   in Loop: Header=BB415_1576 Depth=1
	v_bfe_u32 v4, v5, 16, 1
	s_delay_alu instid0(VALU_DEP_1)
	v_add3_u32 v4, v5, v4, 0x7fff
                                        ; implicit-def: $vgpr5
; %bb.1749:                             ;   in Loop: Header=BB415_1576 Depth=1
	s_and_not1_saveexec_b32 s13, s1
; %bb.1750:                             ;   in Loop: Header=BB415_1576 Depth=1
	v_and_b32_e32 v4, 0xffff, v5
	v_or_b32_e32 v6, 0x10000, v5
	s_delay_alu instid0(VALU_DEP_2) | instskip(NEXT) | instid1(VALU_DEP_1)
	v_cmp_eq_u32_e64 s1, 0, v4
	v_cndmask_b32_e64 v4, v6, v5, s1
; %bb.1751:                             ;   in Loop: Header=BB415_1576 Depth=1
	s_or_b32 exec_lo, exec_lo, s13
	v_lshrrev_b16 v6, 8, v2
	v_mov_b32_e32 v5, 0
	s_mov_b32 s13, exec_lo
	s_delay_alu instid0(VALU_DEP_2)
	v_cmpx_ne_u16_e32 0, v6
	s_cbranch_execz .LBB415_1759
; %bb.1752:                             ;   in Loop: Header=BB415_1576 Depth=1
	v_bfrev_b32_e32 v5, 1
	s_mov_b32 s15, exec_lo
	v_cmpx_ne_u16_e32 0x80, v6
	s_cbranch_execz .LBB415_1758
; %bb.1753:                             ;   in Loop: Header=BB415_1576 Depth=1
	v_and_b32_e32 v7, 0xffff, v6
	v_mov_b32_e32 v5, 0x7f800001
	s_mov_b32 s16, exec_lo
	s_delay_alu instid0(VALU_DEP_2) | instskip(NEXT) | instid1(VALU_DEP_1)
	v_and_b32_e32 v6, 0x7f, v7
	v_cmpx_ne_u32_e32 0x7f, v6
	s_cbranch_execz .LBB415_1757
; %bb.1754:                             ;   in Loop: Header=BB415_1576 Depth=1
	v_and_b32_e32 v9, 7, v7
	v_lshrrev_b32_e32 v5, 3, v6
	v_cmp_gt_u32_e64 s1, 8, v6
	s_delay_alu instid0(VALU_DEP_3) | instskip(NEXT) | instid1(VALU_DEP_2)
	v_dual_mov_b32 v6, v9 :: v_dual_mov_b32 v7, v10
	s_and_saveexec_b32 s17, s1
; %bb.1755:                             ;   in Loop: Header=BB415_1576 Depth=1
	v_clz_i32_u32_e32 v5, v9
	s_delay_alu instid0(VALU_DEP_1) | instskip(NEXT) | instid1(VALU_DEP_1)
	v_min_u32_e32 v5, 32, v5
	v_subrev_nc_u32_e32 v6, 28, v5
	v_sub_nc_u32_e32 v5, 29, v5
	s_delay_alu instid0(VALU_DEP_2) | instskip(NEXT) | instid1(VALU_DEP_1)
	v_lshlrev_b64 v[6:7], v6, v[9:10]
	v_and_b32_e32 v6, 7, v6
; %bb.1756:                             ;   in Loop: Header=BB415_1576 Depth=1
	s_or_b32 exec_lo, exec_lo, s17
	v_lshlrev_b32_e32 v7, 16, v2
	s_delay_alu instid0(VALU_DEP_2) | instskip(SKIP_1) | instid1(VALU_DEP_3)
	v_lshlrev_b32_e32 v6, 20, v6
	v_lshl_add_u32 v5, v5, 23, 0x3c000000
	v_and_b32_e32 v7, 0x80000000, v7
	s_delay_alu instid0(VALU_DEP_1)
	v_or3_b32 v5, v6, v7, v5
.LBB415_1757:                           ;   in Loop: Header=BB415_1576 Depth=1
	s_or_b32 exec_lo, exec_lo, s16
.LBB415_1758:                           ;   in Loop: Header=BB415_1576 Depth=1
	s_delay_alu instid0(SALU_CYCLE_1)
	s_or_b32 exec_lo, exec_lo, s15
.LBB415_1759:                           ;   in Loop: Header=BB415_1576 Depth=1
	s_delay_alu instid0(SALU_CYCLE_1) | instskip(NEXT) | instid1(VALU_DEP_1)
	s_or_b32 exec_lo, exec_lo, s13
	v_mul_f32_e32 v6, v8, v5
	s_delay_alu instid0(VALU_DEP_1) | instskip(NEXT) | instid1(VALU_DEP_1)
	v_and_b32_e32 v5, 0x7f800000, v6
	v_cmp_ne_u32_e64 s1, 0x7f800000, v5
                                        ; implicit-def: $vgpr5
	s_delay_alu instid0(VALU_DEP_1) | instskip(NEXT) | instid1(SALU_CYCLE_1)
	s_and_saveexec_b32 s13, s1
	s_xor_b32 s1, exec_lo, s13
; %bb.1760:                             ;   in Loop: Header=BB415_1576 Depth=1
	v_bfe_u32 v5, v6, 16, 1
	s_delay_alu instid0(VALU_DEP_1)
	v_add3_u32 v5, v6, v5, 0x7fff
                                        ; implicit-def: $vgpr6
; %bb.1761:                             ;   in Loop: Header=BB415_1576 Depth=1
	s_and_not1_saveexec_b32 s13, s1
; %bb.1762:                             ;   in Loop: Header=BB415_1576 Depth=1
	v_and_b32_e32 v5, 0xffff, v6
	v_or_b32_e32 v7, 0x10000, v6
	s_delay_alu instid0(VALU_DEP_2) | instskip(NEXT) | instid1(VALU_DEP_1)
	v_cmp_eq_u32_e64 s1, 0, v5
	v_cndmask_b32_e64 v5, v7, v6, s1
; %bb.1763:                             ;   in Loop: Header=BB415_1576 Depth=1
	s_or_b32 exec_lo, exec_lo, s13
	v_lshrrev_b32_e32 v21, 16, v2
	s_mov_b32 s13, exec_lo
	s_delay_alu instid0(VALU_DEP_1) | instskip(NEXT) | instid1(VALU_DEP_1)
	v_dual_mov_b32 v6, 0 :: v_dual_and_b32 v7, 0xff, v21
	v_cmpx_ne_u16_e32 0, v7
	s_cbranch_execz .LBB415_1771
; %bb.1764:                             ;   in Loop: Header=BB415_1576 Depth=1
	v_bfrev_b32_e32 v6, 1
	s_mov_b32 s15, exec_lo
	v_cmpx_ne_u16_e32 0x80, v7
	s_cbranch_execz .LBB415_1770
; %bb.1765:                             ;   in Loop: Header=BB415_1576 Depth=1
	v_bfe_u32 v7, v2, 16, 7
	v_mov_b32_e32 v6, 0x7f800001
	s_mov_b32 s16, exec_lo
	s_delay_alu instid0(VALU_DEP_2)
	v_cmpx_ne_u32_e32 0x7f, v7
	s_cbranch_execz .LBB415_1769
; %bb.1766:                             ;   in Loop: Header=BB415_1576 Depth=1
	v_and_b32_e32 v9, 7, v21
	v_lshrrev_b32_e32 v39, 3, v7
	v_cmp_gt_u32_e64 s1, 8, v7
	s_delay_alu instid0(VALU_DEP_3) | instskip(NEXT) | instid1(VALU_DEP_2)
	v_dual_mov_b32 v6, v9 :: v_dual_mov_b32 v7, v10
	s_and_saveexec_b32 s17, s1
; %bb.1767:                             ;   in Loop: Header=BB415_1576 Depth=1
	v_clz_i32_u32_e32 v6, v9
	s_delay_alu instid0(VALU_DEP_1) | instskip(NEXT) | instid1(VALU_DEP_1)
	v_min_u32_e32 v20, 32, v6
	v_subrev_nc_u32_e32 v6, 28, v20
	v_sub_nc_u32_e32 v39, 29, v20
	s_delay_alu instid0(VALU_DEP_2) | instskip(NEXT) | instid1(VALU_DEP_1)
	v_lshlrev_b64 v[6:7], v6, v[9:10]
	v_and_b32_e32 v6, 7, v6
; %bb.1768:                             ;   in Loop: Header=BB415_1576 Depth=1
	s_or_b32 exec_lo, exec_lo, s17
	v_lshlrev_b32_e32 v7, 24, v21
	s_delay_alu instid0(VALU_DEP_2) | instskip(SKIP_1) | instid1(VALU_DEP_3)
	v_lshlrev_b32_e32 v6, 20, v6
	v_lshl_add_u32 v9, v39, 23, 0x3c000000
	v_and_b32_e32 v7, 0x80000000, v7
	s_delay_alu instid0(VALU_DEP_1)
	v_or3_b32 v6, v6, v7, v9
.LBB415_1769:                           ;   in Loop: Header=BB415_1576 Depth=1
	s_or_b32 exec_lo, exec_lo, s16
.LBB415_1770:                           ;   in Loop: Header=BB415_1576 Depth=1
	s_delay_alu instid0(SALU_CYCLE_1)
	s_or_b32 exec_lo, exec_lo, s15
.LBB415_1771:                           ;   in Loop: Header=BB415_1576 Depth=1
	s_delay_alu instid0(SALU_CYCLE_1) | instskip(NEXT) | instid1(VALU_DEP_1)
	s_or_b32 exec_lo, exec_lo, s13
	v_mul_f32_e32 v6, v8, v6
                                        ; implicit-def: $vgpr21
	s_delay_alu instid0(VALU_DEP_1) | instskip(NEXT) | instid1(VALU_DEP_1)
	v_and_b32_e32 v7, 0x7f800000, v6
	v_cmp_ne_u32_e64 s1, 0x7f800000, v7
	s_delay_alu instid0(VALU_DEP_1) | instskip(NEXT) | instid1(SALU_CYCLE_1)
	s_and_saveexec_b32 s13, s1
	s_xor_b32 s1, exec_lo, s13
; %bb.1772:                             ;   in Loop: Header=BB415_1576 Depth=1
	v_bfe_u32 v7, v6, 16, 1
	s_delay_alu instid0(VALU_DEP_1)
	v_add3_u32 v21, v6, v7, 0x7fff
                                        ; implicit-def: $vgpr6
; %bb.1773:                             ;   in Loop: Header=BB415_1576 Depth=1
	s_and_not1_saveexec_b32 s13, s1
; %bb.1774:                             ;   in Loop: Header=BB415_1576 Depth=1
	v_and_b32_e32 v7, 0xffff, v6
	v_or_b32_e32 v9, 0x10000, v6
	s_delay_alu instid0(VALU_DEP_2) | instskip(NEXT) | instid1(VALU_DEP_1)
	v_cmp_eq_u32_e64 s1, 0, v7
	v_cndmask_b32_e64 v21, v9, v6, s1
; %bb.1775:                             ;   in Loop: Header=BB415_1576 Depth=1
	s_or_b32 exec_lo, exec_lo, s13
	v_mov_b32_e32 v6, 0
	s_mov_b32 s13, exec_lo
	v_cmpx_lt_u32_e32 0xffffff, v2
	s_cbranch_execz .LBB415_1783
; %bb.1776:                             ;   in Loop: Header=BB415_1576 Depth=1
	v_lshrrev_b32_e32 v39, 24, v2
	v_bfrev_b32_e32 v6, 1
	s_mov_b32 s15, exec_lo
	s_delay_alu instid0(VALU_DEP_2)
	v_cmpx_ne_u32_e32 0x80, v39
	s_cbranch_execz .LBB415_1782
; %bb.1777:                             ;   in Loop: Header=BB415_1576 Depth=1
	v_bfe_u32 v7, v2, 24, 7
	v_mov_b32_e32 v6, 0x7f800001
	s_mov_b32 s16, exec_lo
	s_delay_alu instid0(VALU_DEP_2)
	v_cmpx_ne_u32_e32 0x7f, v7
	s_cbranch_execz .LBB415_1781
; %bb.1778:                             ;   in Loop: Header=BB415_1576 Depth=1
	v_and_b32_e32 v9, 7, v39
	v_lshrrev_b32_e32 v84, 3, v7
	v_cmp_gt_u32_e64 s1, 8, v7
	s_delay_alu instid0(VALU_DEP_3) | instskip(NEXT) | instid1(VALU_DEP_2)
	v_dual_mov_b32 v6, v9 :: v_dual_mov_b32 v7, v10
	s_and_saveexec_b32 s17, s1
; %bb.1779:                             ;   in Loop: Header=BB415_1576 Depth=1
	v_clz_i32_u32_e32 v6, v9
	s_delay_alu instid0(VALU_DEP_1) | instskip(NEXT) | instid1(VALU_DEP_1)
	v_min_u32_e32 v20, 32, v6
	v_subrev_nc_u32_e32 v6, 28, v20
	v_sub_nc_u32_e32 v84, 29, v20
	s_delay_alu instid0(VALU_DEP_2) | instskip(NEXT) | instid1(VALU_DEP_1)
	v_lshlrev_b64 v[6:7], v6, v[9:10]
	v_and_b32_e32 v6, 7, v6
; %bb.1780:                             ;   in Loop: Header=BB415_1576 Depth=1
	s_or_b32 exec_lo, exec_lo, s17
	v_lshlrev_b32_e32 v7, 24, v39
	s_delay_alu instid0(VALU_DEP_2) | instskip(SKIP_1) | instid1(VALU_DEP_3)
	v_lshlrev_b32_e32 v6, 20, v6
	v_lshl_add_u32 v9, v84, 23, 0x3c000000
	v_and_b32_e32 v7, 0x80000000, v7
	s_delay_alu instid0(VALU_DEP_1)
	v_or3_b32 v6, v6, v7, v9
.LBB415_1781:                           ;   in Loop: Header=BB415_1576 Depth=1
	s_or_b32 exec_lo, exec_lo, s16
.LBB415_1782:                           ;   in Loop: Header=BB415_1576 Depth=1
	s_delay_alu instid0(SALU_CYCLE_1)
	s_or_b32 exec_lo, exec_lo, s15
.LBB415_1783:                           ;   in Loop: Header=BB415_1576 Depth=1
	s_delay_alu instid0(SALU_CYCLE_1) | instskip(NEXT) | instid1(VALU_DEP_1)
	s_or_b32 exec_lo, exec_lo, s13
	v_mul_f32_e32 v6, v8, v6
                                        ; implicit-def: $vgpr39
	s_delay_alu instid0(VALU_DEP_1) | instskip(NEXT) | instid1(VALU_DEP_1)
	v_and_b32_e32 v7, 0x7f800000, v6
	v_cmp_ne_u32_e64 s1, 0x7f800000, v7
	s_delay_alu instid0(VALU_DEP_1) | instskip(NEXT) | instid1(SALU_CYCLE_1)
	s_and_saveexec_b32 s13, s1
	s_xor_b32 s1, exec_lo, s13
; %bb.1784:                             ;   in Loop: Header=BB415_1576 Depth=1
	v_bfe_u32 v7, v6, 16, 1
	s_delay_alu instid0(VALU_DEP_1)
	v_add3_u32 v39, v6, v7, 0x7fff
                                        ; implicit-def: $vgpr6
; %bb.1785:                             ;   in Loop: Header=BB415_1576 Depth=1
	s_and_not1_saveexec_b32 s13, s1
; %bb.1786:                             ;   in Loop: Header=BB415_1576 Depth=1
	v_and_b32_e32 v7, 0xffff, v6
	v_or_b32_e32 v9, 0x10000, v6
	s_delay_alu instid0(VALU_DEP_2) | instskip(NEXT) | instid1(VALU_DEP_1)
	v_cmp_eq_u32_e64 s1, 0, v7
	v_cndmask_b32_e64 v39, v9, v6, s1
; %bb.1787:                             ;   in Loop: Header=BB415_1576 Depth=1
	s_or_b32 exec_lo, exec_lo, s13
	v_dual_mov_b32 v6, 0 :: v_dual_and_b32 v7, 0xff, v3
	v_mov_b32_e32 v9, v3
	s_mov_b32 s13, exec_lo
	s_delay_alu instid0(VALU_DEP_2)
	v_cmpx_ne_u16_e32 0, v7
	s_cbranch_execz .LBB415_1795
; %bb.1788:                             ;   in Loop: Header=BB415_1576 Depth=1
	v_bfrev_b32_e32 v6, 1
	s_mov_b32 s15, exec_lo
	v_cmpx_ne_u16_e32 0x80, v7
	s_cbranch_execz .LBB415_1794
; %bb.1789:                             ;   in Loop: Header=BB415_1576 Depth=1
	v_and_b32_e32 v7, 0x7f, v3
	v_mov_b32_e32 v6, 0x7f800001
	s_mov_b32 s16, exec_lo
	s_delay_alu instid0(VALU_DEP_2)
	v_cmpx_ne_u32_e32 0x7f, v7
	s_cbranch_execz .LBB415_1793
; %bb.1790:                             ;   in Loop: Header=BB415_1576 Depth=1
	v_lshrrev_b32_e32 v84, 3, v7
	v_cmp_gt_u32_e64 s1, 8, v7
	v_dual_mov_b32 v6, v9 :: v_dual_mov_b32 v7, v10
	s_delay_alu instid0(VALU_DEP_2)
	s_and_saveexec_b32 s17, s1
; %bb.1791:                             ;   in Loop: Header=BB415_1576 Depth=1
	v_and_b32_e32 v6, 7, v3
	s_delay_alu instid0(VALU_DEP_1) | instskip(NEXT) | instid1(VALU_DEP_1)
	v_clz_i32_u32_e32 v6, v6
	v_min_u32_e32 v20, 32, v6
	s_delay_alu instid0(VALU_DEP_1) | instskip(SKIP_1) | instid1(VALU_DEP_2)
	v_subrev_nc_u32_e32 v6, 28, v20
	v_sub_nc_u32_e32 v84, 29, v20
	v_lshlrev_b64 v[6:7], v6, v[9:10]
; %bb.1792:                             ;   in Loop: Header=BB415_1576 Depth=1
	s_or_b32 exec_lo, exec_lo, s17
	s_delay_alu instid0(VALU_DEP_1) | instskip(SKIP_2) | instid1(VALU_DEP_3)
	v_lshlrev_b32_e32 v6, 20, v6
	v_lshlrev_b32_e32 v7, 24, v9
	v_lshl_add_u32 v20, v84, 23, 0x3c000000
	v_and_b32_e32 v6, 0x700000, v6
	s_delay_alu instid0(VALU_DEP_3) | instskip(NEXT) | instid1(VALU_DEP_1)
	v_and_b32_e32 v7, 0x80000000, v7
	v_or3_b32 v6, v6, v7, v20
.LBB415_1793:                           ;   in Loop: Header=BB415_1576 Depth=1
	s_or_b32 exec_lo, exec_lo, s16
.LBB415_1794:                           ;   in Loop: Header=BB415_1576 Depth=1
	s_delay_alu instid0(SALU_CYCLE_1)
	s_or_b32 exec_lo, exec_lo, s15
.LBB415_1795:                           ;   in Loop: Header=BB415_1576 Depth=1
	s_delay_alu instid0(SALU_CYCLE_1) | instskip(NEXT) | instid1(VALU_DEP_1)
	s_or_b32 exec_lo, exec_lo, s13
	v_mul_f32_e32 v6, v8, v6
                                        ; implicit-def: $vgpr84
	s_delay_alu instid0(VALU_DEP_1) | instskip(NEXT) | instid1(VALU_DEP_1)
	v_and_b32_e32 v7, 0x7f800000, v6
	v_cmp_ne_u32_e64 s1, 0x7f800000, v7
	s_delay_alu instid0(VALU_DEP_1) | instskip(NEXT) | instid1(SALU_CYCLE_1)
	s_and_saveexec_b32 s13, s1
	s_xor_b32 s1, exec_lo, s13
; %bb.1796:                             ;   in Loop: Header=BB415_1576 Depth=1
	v_bfe_u32 v7, v6, 16, 1
	s_delay_alu instid0(VALU_DEP_1)
	v_add3_u32 v84, v6, v7, 0x7fff
                                        ; implicit-def: $vgpr6
; %bb.1797:                             ;   in Loop: Header=BB415_1576 Depth=1
	s_and_not1_saveexec_b32 s13, s1
; %bb.1798:                             ;   in Loop: Header=BB415_1576 Depth=1
	v_and_b32_e32 v7, 0xffff, v6
	v_or_b32_e32 v20, 0x10000, v6
	s_delay_alu instid0(VALU_DEP_2) | instskip(NEXT) | instid1(VALU_DEP_1)
	v_cmp_eq_u32_e64 s1, 0, v7
	v_cndmask_b32_e64 v84, v20, v6, s1
; %bb.1799:                             ;   in Loop: Header=BB415_1576 Depth=1
	s_or_b32 exec_lo, exec_lo, s13
	v_lshrrev_b16 v7, 8, v9
	v_mov_b32_e32 v6, 0
	s_mov_b32 s13, exec_lo
	s_delay_alu instid0(VALU_DEP_2)
	v_cmpx_ne_u16_e32 0, v7
	s_cbranch_execz .LBB415_1807
; %bb.1800:                             ;   in Loop: Header=BB415_1576 Depth=1
	v_bfrev_b32_e32 v6, 1
	s_mov_b32 s15, exec_lo
	v_cmpx_ne_u16_e32 0x80, v7
	s_cbranch_execz .LBB415_1806
; %bb.1801:                             ;   in Loop: Header=BB415_1576 Depth=1
	v_and_b32_e32 v7, 0xffff, v7
	v_mov_b32_e32 v6, 0x7f800001
	s_mov_b32 s16, exec_lo
	s_delay_alu instid0(VALU_DEP_2) | instskip(NEXT) | instid1(VALU_DEP_1)
	v_and_b32_e32 v118, 0x7f, v7
	v_cmpx_ne_u32_e32 0x7f, v118
	s_cbranch_execz .LBB415_1805
; %bb.1802:                             ;   in Loop: Header=BB415_1576 Depth=1
	v_dual_mov_b32 v7, v10 :: v_dual_and_b32 v6, 7, v7
	v_lshrrev_b32_e32 v85, 3, v118
	s_mov_b32 s17, exec_lo
	v_cmpx_gt_u32_e32 8, v118
; %bb.1803:                             ;   in Loop: Header=BB415_1576 Depth=1
	s_delay_alu instid0(VALU_DEP_3) | instskip(NEXT) | instid1(VALU_DEP_1)
	v_clz_i32_u32_e32 v20, v6
	v_min_u32_e32 v20, 32, v20
	s_delay_alu instid0(VALU_DEP_1) | instskip(SKIP_1) | instid1(VALU_DEP_2)
	v_subrev_nc_u32_e32 v22, 28, v20
	v_sub_nc_u32_e32 v85, 29, v20
	v_lshlrev_b64 v[6:7], v22, v[6:7]
	s_delay_alu instid0(VALU_DEP_1)
	v_and_b32_e32 v6, 7, v6
; %bb.1804:                             ;   in Loop: Header=BB415_1576 Depth=1
	s_or_b32 exec_lo, exec_lo, s17
	v_lshlrev_b32_e32 v7, 16, v9
	s_delay_alu instid0(VALU_DEP_2) | instskip(SKIP_1) | instid1(VALU_DEP_3)
	v_lshlrev_b32_e32 v6, 20, v6
	v_lshl_add_u32 v9, v85, 23, 0x3c000000
	v_and_b32_e32 v7, 0x80000000, v7
	s_delay_alu instid0(VALU_DEP_1)
	v_or3_b32 v6, v6, v7, v9
.LBB415_1805:                           ;   in Loop: Header=BB415_1576 Depth=1
	s_or_b32 exec_lo, exec_lo, s16
.LBB415_1806:                           ;   in Loop: Header=BB415_1576 Depth=1
	s_delay_alu instid0(SALU_CYCLE_1)
	s_or_b32 exec_lo, exec_lo, s15
.LBB415_1807:                           ;   in Loop: Header=BB415_1576 Depth=1
	s_delay_alu instid0(SALU_CYCLE_1) | instskip(NEXT) | instid1(VALU_DEP_1)
	s_or_b32 exec_lo, exec_lo, s13
	v_mul_f32_e32 v6, v8, v6
                                        ; implicit-def: $vgpr85
	s_delay_alu instid0(VALU_DEP_1) | instskip(NEXT) | instid1(VALU_DEP_1)
	v_and_b32_e32 v7, 0x7f800000, v6
	v_cmp_ne_u32_e64 s1, 0x7f800000, v7
	s_delay_alu instid0(VALU_DEP_1) | instskip(NEXT) | instid1(SALU_CYCLE_1)
	s_and_saveexec_b32 s13, s1
	s_xor_b32 s1, exec_lo, s13
; %bb.1808:                             ;   in Loop: Header=BB415_1576 Depth=1
	v_bfe_u32 v7, v6, 16, 1
	s_delay_alu instid0(VALU_DEP_1)
	v_add3_u32 v85, v6, v7, 0x7fff
                                        ; implicit-def: $vgpr6
; %bb.1809:                             ;   in Loop: Header=BB415_1576 Depth=1
	s_and_not1_saveexec_b32 s13, s1
; %bb.1810:                             ;   in Loop: Header=BB415_1576 Depth=1
	v_and_b32_e32 v7, 0xffff, v6
	v_or_b32_e32 v9, 0x10000, v6
	s_delay_alu instid0(VALU_DEP_2) | instskip(NEXT) | instid1(VALU_DEP_1)
	v_cmp_eq_u32_e64 s1, 0, v7
	v_cndmask_b32_e64 v85, v9, v6, s1
; %bb.1811:                             ;   in Loop: Header=BB415_1576 Depth=1
	s_or_b32 exec_lo, exec_lo, s13
	v_lshrrev_b32_e32 v118, 16, v3
	s_mov_b32 s13, exec_lo
	s_delay_alu instid0(VALU_DEP_1) | instskip(NEXT) | instid1(VALU_DEP_1)
	v_dual_mov_b32 v6, 0 :: v_dual_and_b32 v7, 0xff, v118
	v_cmpx_ne_u16_e32 0, v7
	s_cbranch_execz .LBB415_1819
; %bb.1812:                             ;   in Loop: Header=BB415_1576 Depth=1
	v_bfrev_b32_e32 v6, 1
	s_mov_b32 s15, exec_lo
	v_cmpx_ne_u16_e32 0x80, v7
	s_cbranch_execz .LBB415_1818
; %bb.1813:                             ;   in Loop: Header=BB415_1576 Depth=1
	v_bfe_u32 v7, v3, 16, 7
	v_mov_b32_e32 v6, 0x7f800001
	s_mov_b32 s16, exec_lo
	s_delay_alu instid0(VALU_DEP_2)
	v_cmpx_ne_u32_e32 0x7f, v7
	s_cbranch_execz .LBB415_1817
; %bb.1814:                             ;   in Loop: Header=BB415_1576 Depth=1
	v_and_b32_e32 v9, 7, v118
	v_lshrrev_b32_e32 v119, 3, v7
	v_cmp_gt_u32_e64 s1, 8, v7
	s_delay_alu instid0(VALU_DEP_3) | instskip(NEXT) | instid1(VALU_DEP_2)
	v_dual_mov_b32 v6, v9 :: v_dual_mov_b32 v7, v10
	s_and_saveexec_b32 s17, s1
; %bb.1815:                             ;   in Loop: Header=BB415_1576 Depth=1
	v_clz_i32_u32_e32 v6, v9
	s_delay_alu instid0(VALU_DEP_1) | instskip(NEXT) | instid1(VALU_DEP_1)
	v_min_u32_e32 v20, 32, v6
	v_subrev_nc_u32_e32 v6, 28, v20
	v_sub_nc_u32_e32 v119, 29, v20
	s_delay_alu instid0(VALU_DEP_2) | instskip(NEXT) | instid1(VALU_DEP_1)
	v_lshlrev_b64 v[6:7], v6, v[9:10]
	v_and_b32_e32 v6, 7, v6
; %bb.1816:                             ;   in Loop: Header=BB415_1576 Depth=1
	s_or_b32 exec_lo, exec_lo, s17
	v_lshlrev_b32_e32 v7, 24, v118
	s_delay_alu instid0(VALU_DEP_2) | instskip(SKIP_1) | instid1(VALU_DEP_3)
	v_lshlrev_b32_e32 v6, 20, v6
	v_lshl_add_u32 v9, v119, 23, 0x3c000000
	v_and_b32_e32 v7, 0x80000000, v7
	s_delay_alu instid0(VALU_DEP_1)
	v_or3_b32 v6, v6, v7, v9
.LBB415_1817:                           ;   in Loop: Header=BB415_1576 Depth=1
	s_or_b32 exec_lo, exec_lo, s16
.LBB415_1818:                           ;   in Loop: Header=BB415_1576 Depth=1
	s_delay_alu instid0(SALU_CYCLE_1)
	s_or_b32 exec_lo, exec_lo, s15
.LBB415_1819:                           ;   in Loop: Header=BB415_1576 Depth=1
	s_delay_alu instid0(SALU_CYCLE_1) | instskip(NEXT) | instid1(VALU_DEP_1)
	s_or_b32 exec_lo, exec_lo, s13
	v_mul_f32_e32 v6, v8, v6
                                        ; implicit-def: $vgpr118
	s_delay_alu instid0(VALU_DEP_1) | instskip(NEXT) | instid1(VALU_DEP_1)
	v_and_b32_e32 v7, 0x7f800000, v6
	v_cmp_ne_u32_e64 s1, 0x7f800000, v7
	s_delay_alu instid0(VALU_DEP_1) | instskip(NEXT) | instid1(SALU_CYCLE_1)
	s_and_saveexec_b32 s13, s1
	s_xor_b32 s1, exec_lo, s13
; %bb.1820:                             ;   in Loop: Header=BB415_1576 Depth=1
	v_bfe_u32 v7, v6, 16, 1
	s_delay_alu instid0(VALU_DEP_1)
	v_add3_u32 v118, v6, v7, 0x7fff
                                        ; implicit-def: $vgpr6
; %bb.1821:                             ;   in Loop: Header=BB415_1576 Depth=1
	s_and_not1_saveexec_b32 s13, s1
; %bb.1822:                             ;   in Loop: Header=BB415_1576 Depth=1
	v_and_b32_e32 v7, 0xffff, v6
	v_or_b32_e32 v9, 0x10000, v6
	s_delay_alu instid0(VALU_DEP_2) | instskip(NEXT) | instid1(VALU_DEP_1)
	v_cmp_eq_u32_e64 s1, 0, v7
	v_cndmask_b32_e64 v118, v9, v6, s1
; %bb.1823:                             ;   in Loop: Header=BB415_1576 Depth=1
	s_or_b32 exec_lo, exec_lo, s13
	v_cmp_lt_u64_e64 s1, s[4:5], v[2:3]
	v_mov_b32_e32 v2, 0
	s_delay_alu instid0(VALU_DEP_2)
	s_and_saveexec_b32 s13, s1
	s_cbranch_execz .LBB415_1831
; %bb.1824:                             ;   in Loop: Header=BB415_1576 Depth=1
	v_lshrrev_b32_e32 v6, 24, v3
	v_bfrev_b32_e32 v2, 1
	s_mov_b32 s15, exec_lo
	s_delay_alu instid0(VALU_DEP_2)
	v_cmpx_ne_u32_e32 0x80, v6
	s_cbranch_execz .LBB415_1830
; %bb.1825:                             ;   in Loop: Header=BB415_1576 Depth=1
	v_bfe_u32 v3, v3, 24, 7
	v_mov_b32_e32 v2, 0x7f800001
	s_mov_b32 s16, exec_lo
	s_delay_alu instid0(VALU_DEP_2)
	v_cmpx_ne_u32_e32 0x7f, v3
	s_cbranch_execz .LBB415_1829
; %bb.1826:                             ;   in Loop: Header=BB415_1576 Depth=1
	v_and_b32_e32 v9, 7, v6
	v_lshrrev_b32_e32 v7, 3, v3
	v_cmp_gt_u32_e64 s1, 8, v3
	s_delay_alu instid0(VALU_DEP_3) | instskip(NEXT) | instid1(VALU_DEP_2)
	v_dual_mov_b32 v2, v9 :: v_dual_mov_b32 v3, v10
	s_and_saveexec_b32 s17, s1
; %bb.1827:                             ;   in Loop: Header=BB415_1576 Depth=1
	v_clz_i32_u32_e32 v2, v9
	s_delay_alu instid0(VALU_DEP_1) | instskip(NEXT) | instid1(VALU_DEP_1)
	v_min_u32_e32 v7, 32, v2
	v_subrev_nc_u32_e32 v2, 28, v7
	v_sub_nc_u32_e32 v7, 29, v7
	s_delay_alu instid0(VALU_DEP_2) | instskip(NEXT) | instid1(VALU_DEP_1)
	v_lshlrev_b64 v[2:3], v2, v[9:10]
	v_and_b32_e32 v2, 7, v2
; %bb.1828:                             ;   in Loop: Header=BB415_1576 Depth=1
	s_or_b32 exec_lo, exec_lo, s17
	v_lshlrev_b32_e32 v3, 24, v6
	s_delay_alu instid0(VALU_DEP_2) | instskip(SKIP_1) | instid1(VALU_DEP_3)
	v_lshlrev_b32_e32 v2, 20, v2
	v_lshl_add_u32 v6, v7, 23, 0x3c000000
	v_and_b32_e32 v3, 0x80000000, v3
	s_delay_alu instid0(VALU_DEP_1)
	v_or3_b32 v2, v2, v3, v6
.LBB415_1829:                           ;   in Loop: Header=BB415_1576 Depth=1
	s_or_b32 exec_lo, exec_lo, s16
.LBB415_1830:                           ;   in Loop: Header=BB415_1576 Depth=1
	s_delay_alu instid0(SALU_CYCLE_1)
	s_or_b32 exec_lo, exec_lo, s15
.LBB415_1831:                           ;   in Loop: Header=BB415_1576 Depth=1
	s_delay_alu instid0(SALU_CYCLE_1) | instskip(NEXT) | instid1(VALU_DEP_1)
	s_or_b32 exec_lo, exec_lo, s13
	v_mul_f32_e32 v3, v8, v2
	s_delay_alu instid0(VALU_DEP_1) | instskip(NEXT) | instid1(VALU_DEP_1)
	v_and_b32_e32 v2, 0x7f800000, v3
	v_cmp_ne_u32_e64 s1, 0x7f800000, v2
                                        ; implicit-def: $vgpr2
	s_delay_alu instid0(VALU_DEP_1) | instskip(NEXT) | instid1(SALU_CYCLE_1)
	s_and_saveexec_b32 s13, s1
	s_xor_b32 s1, exec_lo, s13
; %bb.1832:                             ;   in Loop: Header=BB415_1576 Depth=1
	v_bfe_u32 v2, v3, 16, 1
	s_delay_alu instid0(VALU_DEP_1)
	v_add3_u32 v2, v3, v2, 0x7fff
                                        ; implicit-def: $vgpr3
; %bb.1833:                             ;   in Loop: Header=BB415_1576 Depth=1
	s_and_not1_saveexec_b32 s13, s1
; %bb.1834:                             ;   in Loop: Header=BB415_1576 Depth=1
	v_and_b32_e32 v2, 0xffff, v3
	v_or_b32_e32 v6, 0x10000, v3
	s_delay_alu instid0(VALU_DEP_2) | instskip(NEXT) | instid1(VALU_DEP_1)
	v_cmp_eq_u32_e64 s1, 0, v2
	v_cndmask_b32_e64 v2, v6, v3, s1
; %bb.1835:                             ;   in Loop: Header=BB415_1576 Depth=1
	s_or_b32 exec_lo, exec_lo, s13
	v_lshrrev_b32_e32 v6, 16, v85
	v_lshrrev_b32_e32 v7, 16, v84
	;; [unrolled: 1-line block ×8, first 2 shown]
	s_and_saveexec_b32 s13, vcc_lo
	s_cbranch_execz .LBB415_1837
; %bb.1836:                             ;   in Loop: Header=BB415_1576 Depth=1
	v_cmp_lt_i32_e64 s1, v70, v86
	s_delay_alu instid0(VALU_DEP_1) | instskip(SKIP_1) | instid1(VALU_DEP_1)
	v_cndmask_b32_e64 v4, 0, v4, s1
	v_cmp_lt_i32_e64 s1, v101, v86
	v_cndmask_b32_e64 v5, 0, v5, s1
	v_cmp_lt_i32_e64 s1, v100, v86
	s_delay_alu instid0(VALU_DEP_1) | instskip(SKIP_1) | instid1(VALU_DEP_1)
	v_cndmask_b32_e64 v21, 0, v21, s1
	v_cmp_lt_i32_e64 s1, v83, v86
	v_cndmask_b32_e64 v9, 0, v9, s1
	;; [unrolled: 5-line block ×4, first 2 shown]
.LBB415_1837:                           ;   in Loop: Header=BB415_1576 Depth=1
	s_or_b32 exec_lo, exec_lo, s13
	v_lshlrev_b32_e32 v4, 16, v4
                                        ; implicit-def: $vgpr118
	s_delay_alu instid0(VALU_DEP_1) | instskip(NEXT) | instid1(VALU_DEP_1)
	v_mul_f32_e32 v4, v102, v4
	v_and_b32_e32 v20, 0x7f800000, v4
	s_delay_alu instid0(VALU_DEP_1) | instskip(NEXT) | instid1(VALU_DEP_1)
	v_cmp_ne_u32_e64 s1, 0x7f800000, v20
	s_and_saveexec_b32 s13, s1
	s_delay_alu instid0(SALU_CYCLE_1)
	s_xor_b32 s1, exec_lo, s13
; %bb.1838:                             ;   in Loop: Header=BB415_1576 Depth=1
	v_bfe_u32 v20, v4, 16, 1
	s_delay_alu instid0(VALU_DEP_1)
	v_add3_u32 v118, v4, v20, 0x7fff
                                        ; implicit-def: $vgpr4
; %bb.1839:                             ;   in Loop: Header=BB415_1576 Depth=1
	s_and_not1_saveexec_b32 s13, s1
; %bb.1840:                             ;   in Loop: Header=BB415_1576 Depth=1
	v_and_b32_e32 v20, 0xffff, v4
	v_or_b32_e32 v22, 0x10000, v4
	s_delay_alu instid0(VALU_DEP_2) | instskip(NEXT) | instid1(VALU_DEP_1)
	v_cmp_eq_u32_e64 s1, 0, v20
	v_cndmask_b32_e64 v118, v22, v4, s1
; %bb.1841:                             ;   in Loop: Header=BB415_1576 Depth=1
	s_or_b32 exec_lo, exec_lo, s13
	v_lshlrev_b32_e32 v4, 16, v5
                                        ; implicit-def: $vgpr119
	s_delay_alu instid0(VALU_DEP_1) | instskip(NEXT) | instid1(VALU_DEP_1)
	v_mul_f32_e32 v4, v103, v4
	v_and_b32_e32 v5, 0x7f800000, v4
	s_delay_alu instid0(VALU_DEP_1) | instskip(NEXT) | instid1(VALU_DEP_1)
	v_cmp_ne_u32_e64 s1, 0x7f800000, v5
	s_and_saveexec_b32 s13, s1
	s_delay_alu instid0(SALU_CYCLE_1)
	s_xor_b32 s1, exec_lo, s13
; %bb.1842:                             ;   in Loop: Header=BB415_1576 Depth=1
	v_bfe_u32 v5, v4, 16, 1
	s_delay_alu instid0(VALU_DEP_1)
	v_add3_u32 v119, v4, v5, 0x7fff
                                        ; implicit-def: $vgpr4
; %bb.1843:                             ;   in Loop: Header=BB415_1576 Depth=1
	s_and_not1_saveexec_b32 s13, s1
; %bb.1844:                             ;   in Loop: Header=BB415_1576 Depth=1
	v_and_b32_e32 v5, 0xffff, v4
	v_or_b32_e32 v20, 0x10000, v4
	s_delay_alu instid0(VALU_DEP_2) | instskip(NEXT) | instid1(VALU_DEP_1)
	v_cmp_eq_u32_e64 s1, 0, v5
	v_cndmask_b32_e64 v119, v20, v4, s1
; %bb.1845:                             ;   in Loop: Header=BB415_1576 Depth=1
	s_or_b32 exec_lo, exec_lo, s13
	v_lshlrev_b32_e32 v4, 16, v21
                                        ; implicit-def: $vgpr128
	s_delay_alu instid0(VALU_DEP_1) | instskip(NEXT) | instid1(VALU_DEP_1)
	v_mul_f32_e32 v4, v112, v4
	v_and_b32_e32 v5, 0x7f800000, v4
	s_delay_alu instid0(VALU_DEP_1) | instskip(NEXT) | instid1(VALU_DEP_1)
	v_cmp_ne_u32_e64 s1, 0x7f800000, v5
	s_and_saveexec_b32 s13, s1
	s_delay_alu instid0(SALU_CYCLE_1)
	s_xor_b32 s1, exec_lo, s13
; %bb.1846:                             ;   in Loop: Header=BB415_1576 Depth=1
	v_bfe_u32 v5, v4, 16, 1
	s_delay_alu instid0(VALU_DEP_1)
	v_add3_u32 v128, v4, v5, 0x7fff
                                        ; implicit-def: $vgpr4
; %bb.1847:                             ;   in Loop: Header=BB415_1576 Depth=1
	s_and_not1_saveexec_b32 s13, s1
; %bb.1848:                             ;   in Loop: Header=BB415_1576 Depth=1
	v_and_b32_e32 v5, 0xffff, v4
	v_or_b32_e32 v20, 0x10000, v4
	s_delay_alu instid0(VALU_DEP_2) | instskip(NEXT) | instid1(VALU_DEP_1)
	v_cmp_eq_u32_e64 s1, 0, v5
	v_cndmask_b32_e64 v128, v20, v4, s1
; %bb.1849:                             ;   in Loop: Header=BB415_1576 Depth=1
	s_or_b32 exec_lo, exec_lo, s13
	v_lshlrev_b32_e32 v4, 16, v9
                                        ; implicit-def: $vgpr129
	s_delay_alu instid0(VALU_DEP_1) | instskip(NEXT) | instid1(VALU_DEP_1)
	v_mul_f32_e32 v4, v113, v4
	v_and_b32_e32 v5, 0x7f800000, v4
	s_delay_alu instid0(VALU_DEP_1) | instskip(NEXT) | instid1(VALU_DEP_1)
	v_cmp_ne_u32_e64 s1, 0x7f800000, v5
	s_and_saveexec_b32 s13, s1
	s_delay_alu instid0(SALU_CYCLE_1)
	s_xor_b32 s1, exec_lo, s13
; %bb.1850:                             ;   in Loop: Header=BB415_1576 Depth=1
	v_bfe_u32 v5, v4, 16, 1
	s_delay_alu instid0(VALU_DEP_1)
	v_add3_u32 v129, v4, v5, 0x7fff
                                        ; implicit-def: $vgpr4
; %bb.1851:                             ;   in Loop: Header=BB415_1576 Depth=1
	s_and_not1_saveexec_b32 s13, s1
; %bb.1852:                             ;   in Loop: Header=BB415_1576 Depth=1
	v_and_b32_e32 v5, 0xffff, v4
	v_or_b32_e32 v9, 0x10000, v4
	s_delay_alu instid0(VALU_DEP_2) | instskip(NEXT) | instid1(VALU_DEP_1)
	v_cmp_eq_u32_e64 s1, 0, v5
	v_cndmask_b32_e64 v129, v9, v4, s1
; %bb.1853:                             ;   in Loop: Header=BB415_1576 Depth=1
	s_or_b32 exec_lo, exec_lo, s13
	v_lshlrev_b32_e32 v4, 16, v7
                                        ; implicit-def: $vgpr130
	s_delay_alu instid0(VALU_DEP_1) | instskip(NEXT) | instid1(VALU_DEP_1)
	v_mul_f32_e32 v4, v114, v4
	v_and_b32_e32 v5, 0x7f800000, v4
	s_delay_alu instid0(VALU_DEP_1) | instskip(NEXT) | instid1(VALU_DEP_1)
	v_cmp_ne_u32_e64 s1, 0x7f800000, v5
	s_and_saveexec_b32 s13, s1
	s_delay_alu instid0(SALU_CYCLE_1)
	s_xor_b32 s1, exec_lo, s13
; %bb.1854:                             ;   in Loop: Header=BB415_1576 Depth=1
	v_bfe_u32 v5, v4, 16, 1
	s_delay_alu instid0(VALU_DEP_1)
	v_add3_u32 v130, v4, v5, 0x7fff
                                        ; implicit-def: $vgpr4
; %bb.1855:                             ;   in Loop: Header=BB415_1576 Depth=1
	s_and_not1_saveexec_b32 s13, s1
; %bb.1856:                             ;   in Loop: Header=BB415_1576 Depth=1
	v_and_b32_e32 v5, 0xffff, v4
	v_or_b32_e32 v7, 0x10000, v4
	s_delay_alu instid0(VALU_DEP_2) | instskip(NEXT) | instid1(VALU_DEP_1)
	v_cmp_eq_u32_e64 s1, 0, v5
	v_cndmask_b32_e64 v130, v7, v4, s1
; %bb.1857:                             ;   in Loop: Header=BB415_1576 Depth=1
	s_or_b32 exec_lo, exec_lo, s13
	v_lshlrev_b32_e32 v4, 16, v6
                                        ; implicit-def: $vgpr131
	s_delay_alu instid0(VALU_DEP_1) | instskip(NEXT) | instid1(VALU_DEP_1)
	v_mul_f32_e32 v4, v115, v4
	v_and_b32_e32 v5, 0x7f800000, v4
	s_delay_alu instid0(VALU_DEP_1) | instskip(NEXT) | instid1(VALU_DEP_1)
	v_cmp_ne_u32_e64 s1, 0x7f800000, v5
	s_and_saveexec_b32 s13, s1
	s_delay_alu instid0(SALU_CYCLE_1)
	s_xor_b32 s1, exec_lo, s13
; %bb.1858:                             ;   in Loop: Header=BB415_1576 Depth=1
	v_bfe_u32 v5, v4, 16, 1
	s_delay_alu instid0(VALU_DEP_1)
	v_add3_u32 v131, v4, v5, 0x7fff
                                        ; implicit-def: $vgpr4
; %bb.1859:                             ;   in Loop: Header=BB415_1576 Depth=1
	s_and_not1_saveexec_b32 s13, s1
; %bb.1860:                             ;   in Loop: Header=BB415_1576 Depth=1
	v_and_b32_e32 v5, 0xffff, v4
	v_or_b32_e32 v6, 0x10000, v4
	s_delay_alu instid0(VALU_DEP_2) | instskip(NEXT) | instid1(VALU_DEP_1)
	v_cmp_eq_u32_e64 s1, 0, v5
	v_cndmask_b32_e64 v131, v6, v4, s1
; %bb.1861:                             ;   in Loop: Header=BB415_1576 Depth=1
	s_or_b32 exec_lo, exec_lo, s13
	v_lshlrev_b32_e32 v3, 16, v3
                                        ; implicit-def: $vgpr132
	s_delay_alu instid0(VALU_DEP_1) | instskip(NEXT) | instid1(VALU_DEP_1)
	v_mul_f32_e32 v3, v116, v3
	v_and_b32_e32 v4, 0x7f800000, v3
	s_delay_alu instid0(VALU_DEP_1) | instskip(NEXT) | instid1(VALU_DEP_1)
	v_cmp_ne_u32_e64 s1, 0x7f800000, v4
	s_and_saveexec_b32 s13, s1
	s_delay_alu instid0(SALU_CYCLE_1)
	s_xor_b32 s1, exec_lo, s13
; %bb.1862:                             ;   in Loop: Header=BB415_1576 Depth=1
	v_bfe_u32 v4, v3, 16, 1
	s_delay_alu instid0(VALU_DEP_1)
	v_add3_u32 v132, v3, v4, 0x7fff
                                        ; implicit-def: $vgpr3
; %bb.1863:                             ;   in Loop: Header=BB415_1576 Depth=1
	s_and_not1_saveexec_b32 s13, s1
; %bb.1864:                             ;   in Loop: Header=BB415_1576 Depth=1
	v_and_b32_e32 v4, 0xffff, v3
	v_or_b32_e32 v5, 0x10000, v3
	s_delay_alu instid0(VALU_DEP_2) | instskip(NEXT) | instid1(VALU_DEP_1)
	v_cmp_eq_u32_e64 s1, 0, v4
	v_cndmask_b32_e64 v132, v5, v3, s1
; %bb.1865:                             ;   in Loop: Header=BB415_1576 Depth=1
	s_or_b32 exec_lo, exec_lo, s13
	v_lshlrev_b32_e32 v2, 16, v2
                                        ; implicit-def: $vgpr133
	s_delay_alu instid0(VALU_DEP_1) | instskip(NEXT) | instid1(VALU_DEP_1)
	v_mul_f32_e32 v2, v117, v2
	v_and_b32_e32 v3, 0x7f800000, v2
	s_delay_alu instid0(VALU_DEP_1) | instskip(NEXT) | instid1(VALU_DEP_1)
	v_cmp_ne_u32_e64 s1, 0x7f800000, v3
	s_and_saveexec_b32 s13, s1
	s_delay_alu instid0(SALU_CYCLE_1)
	s_xor_b32 s1, exec_lo, s13
; %bb.1866:                             ;   in Loop: Header=BB415_1576 Depth=1
	v_bfe_u32 v3, v2, 16, 1
	s_delay_alu instid0(VALU_DEP_1)
	v_add3_u32 v133, v2, v3, 0x7fff
                                        ; implicit-def: $vgpr2
; %bb.1867:                             ;   in Loop: Header=BB415_1576 Depth=1
	s_and_not1_saveexec_b32 s13, s1
; %bb.1868:                             ;   in Loop: Header=BB415_1576 Depth=1
	v_and_b32_e32 v3, 0xffff, v2
	v_or_b32_e32 v4, 0x10000, v2
	s_delay_alu instid0(VALU_DEP_2) | instskip(NEXT) | instid1(VALU_DEP_1)
	v_cmp_eq_u32_e64 s1, 0, v3
	v_cndmask_b32_e64 v133, v4, v2, s1
; %bb.1869:                             ;   in Loop: Header=BB415_1576 Depth=1
	s_or_b32 exec_lo, exec_lo, s13
	flat_load_b64 v[2:3], v[0:1] offset:512
	s_mov_b32 s13, exec_lo
	s_waitcnt vmcnt(0) lgkmcnt(0)
	v_dual_mov_b32 v4, 0 :: v_dual_and_b32 v5, 0xff, v2
	s_delay_alu instid0(VALU_DEP_1)
	v_cmpx_ne_u16_e32 0, v5
	s_cbranch_execz .LBB415_1877
; %bb.1870:                             ;   in Loop: Header=BB415_1576 Depth=1
	v_bfrev_b32_e32 v4, 1
	s_mov_b32 s15, exec_lo
	v_cmpx_ne_u16_e32 0x80, v5
	s_cbranch_execz .LBB415_1876
; %bb.1871:                             ;   in Loop: Header=BB415_1576 Depth=1
	v_and_b32_e32 v5, 0x7f, v2
	v_mov_b32_e32 v4, 0x7f800001
	s_mov_b32 s16, exec_lo
	s_delay_alu instid0(VALU_DEP_2)
	v_cmpx_ne_u32_e32 0x7f, v5
	s_cbranch_execz .LBB415_1875
; %bb.1872:                             ;   in Loop: Header=BB415_1576 Depth=1
	v_lshrrev_b32_e32 v4, 3, v5
	v_dual_mov_b32 v7, v3 :: v_dual_mov_b32 v6, v2
	s_mov_b32 s17, exec_lo
	v_cmpx_gt_u32_e32 8, v5
; %bb.1873:                             ;   in Loop: Header=BB415_1576 Depth=1
	v_and_b32_e32 v4, 7, v2
	s_delay_alu instid0(VALU_DEP_1) | instskip(NEXT) | instid1(VALU_DEP_1)
	v_clz_i32_u32_e32 v4, v4
	v_min_u32_e32 v4, 32, v4
	s_delay_alu instid0(VALU_DEP_1) | instskip(SKIP_1) | instid1(VALU_DEP_2)
	v_subrev_nc_u32_e32 v5, 28, v4
	v_sub_nc_u32_e32 v4, 29, v4
	v_lshlrev_b64 v[6:7], v5, v[2:3]
; %bb.1874:                             ;   in Loop: Header=BB415_1576 Depth=1
	s_or_b32 exec_lo, exec_lo, s17
	s_delay_alu instid0(VALU_DEP_1) | instskip(SKIP_2) | instid1(VALU_DEP_3)
	v_lshlrev_b32_e32 v5, 20, v6
	v_lshlrev_b32_e32 v6, 24, v2
	v_lshl_add_u32 v4, v4, 23, 0x3c000000
	v_and_b32_e32 v5, 0x700000, v5
	s_delay_alu instid0(VALU_DEP_3) | instskip(NEXT) | instid1(VALU_DEP_1)
	v_and_b32_e32 v6, 0x80000000, v6
	v_or3_b32 v4, v5, v6, v4
.LBB415_1875:                           ;   in Loop: Header=BB415_1576 Depth=1
	s_or_b32 exec_lo, exec_lo, s16
.LBB415_1876:                           ;   in Loop: Header=BB415_1576 Depth=1
	s_delay_alu instid0(SALU_CYCLE_1)
	s_or_b32 exec_lo, exec_lo, s15
.LBB415_1877:                           ;   in Loop: Header=BB415_1576 Depth=1
	s_delay_alu instid0(SALU_CYCLE_1) | instskip(NEXT) | instid1(VALU_DEP_1)
	s_or_b32 exec_lo, exec_lo, s13
	v_mul_f32_e32 v5, v8, v4
	s_delay_alu instid0(VALU_DEP_1) | instskip(NEXT) | instid1(VALU_DEP_1)
	v_and_b32_e32 v4, 0x7f800000, v5
	v_cmp_ne_u32_e64 s1, 0x7f800000, v4
                                        ; implicit-def: $vgpr4
	s_delay_alu instid0(VALU_DEP_1) | instskip(NEXT) | instid1(SALU_CYCLE_1)
	s_and_saveexec_b32 s13, s1
	s_xor_b32 s1, exec_lo, s13
; %bb.1878:                             ;   in Loop: Header=BB415_1576 Depth=1
	v_bfe_u32 v4, v5, 16, 1
	s_delay_alu instid0(VALU_DEP_1)
	v_add3_u32 v4, v5, v4, 0x7fff
                                        ; implicit-def: $vgpr5
; %bb.1879:                             ;   in Loop: Header=BB415_1576 Depth=1
	s_and_not1_saveexec_b32 s13, s1
; %bb.1880:                             ;   in Loop: Header=BB415_1576 Depth=1
	v_and_b32_e32 v4, 0xffff, v5
	v_or_b32_e32 v6, 0x10000, v5
	s_delay_alu instid0(VALU_DEP_2) | instskip(NEXT) | instid1(VALU_DEP_1)
	v_cmp_eq_u32_e64 s1, 0, v4
	v_cndmask_b32_e64 v4, v6, v5, s1
; %bb.1881:                             ;   in Loop: Header=BB415_1576 Depth=1
	s_or_b32 exec_lo, exec_lo, s13
	v_lshrrev_b16 v6, 8, v2
	v_mov_b32_e32 v5, 0
	s_mov_b32 s13, exec_lo
	s_delay_alu instid0(VALU_DEP_2)
	v_cmpx_ne_u16_e32 0, v6
	s_cbranch_execz .LBB415_1889
; %bb.1882:                             ;   in Loop: Header=BB415_1576 Depth=1
	v_bfrev_b32_e32 v5, 1
	s_mov_b32 s15, exec_lo
	v_cmpx_ne_u16_e32 0x80, v6
	s_cbranch_execz .LBB415_1888
; %bb.1883:                             ;   in Loop: Header=BB415_1576 Depth=1
	v_and_b32_e32 v7, 0xffff, v6
	v_mov_b32_e32 v5, 0x7f800001
	s_mov_b32 s16, exec_lo
	s_delay_alu instid0(VALU_DEP_2) | instskip(NEXT) | instid1(VALU_DEP_1)
	v_and_b32_e32 v6, 0x7f, v7
	v_cmpx_ne_u32_e32 0x7f, v6
	s_cbranch_execz .LBB415_1887
; %bb.1884:                             ;   in Loop: Header=BB415_1576 Depth=1
	v_and_b32_e32 v9, 7, v7
	v_lshrrev_b32_e32 v5, 3, v6
	v_cmp_gt_u32_e64 s1, 8, v6
	s_delay_alu instid0(VALU_DEP_3) | instskip(NEXT) | instid1(VALU_DEP_2)
	v_dual_mov_b32 v6, v9 :: v_dual_mov_b32 v7, v10
	s_and_saveexec_b32 s17, s1
; %bb.1885:                             ;   in Loop: Header=BB415_1576 Depth=1
	v_clz_i32_u32_e32 v5, v9
	s_delay_alu instid0(VALU_DEP_1) | instskip(NEXT) | instid1(VALU_DEP_1)
	v_min_u32_e32 v5, 32, v5
	v_subrev_nc_u32_e32 v6, 28, v5
	v_sub_nc_u32_e32 v5, 29, v5
	s_delay_alu instid0(VALU_DEP_2) | instskip(NEXT) | instid1(VALU_DEP_1)
	v_lshlrev_b64 v[6:7], v6, v[9:10]
	v_and_b32_e32 v6, 7, v6
; %bb.1886:                             ;   in Loop: Header=BB415_1576 Depth=1
	s_or_b32 exec_lo, exec_lo, s17
	v_lshlrev_b32_e32 v7, 16, v2
	s_delay_alu instid0(VALU_DEP_2) | instskip(SKIP_1) | instid1(VALU_DEP_3)
	v_lshlrev_b32_e32 v6, 20, v6
	v_lshl_add_u32 v5, v5, 23, 0x3c000000
	v_and_b32_e32 v7, 0x80000000, v7
	s_delay_alu instid0(VALU_DEP_1)
	v_or3_b32 v5, v6, v7, v5
.LBB415_1887:                           ;   in Loop: Header=BB415_1576 Depth=1
	s_or_b32 exec_lo, exec_lo, s16
.LBB415_1888:                           ;   in Loop: Header=BB415_1576 Depth=1
	s_delay_alu instid0(SALU_CYCLE_1)
	s_or_b32 exec_lo, exec_lo, s15
.LBB415_1889:                           ;   in Loop: Header=BB415_1576 Depth=1
	s_delay_alu instid0(SALU_CYCLE_1) | instskip(NEXT) | instid1(VALU_DEP_1)
	s_or_b32 exec_lo, exec_lo, s13
	v_mul_f32_e32 v6, v8, v5
	s_delay_alu instid0(VALU_DEP_1) | instskip(NEXT) | instid1(VALU_DEP_1)
	v_and_b32_e32 v5, 0x7f800000, v6
	v_cmp_ne_u32_e64 s1, 0x7f800000, v5
                                        ; implicit-def: $vgpr5
	s_delay_alu instid0(VALU_DEP_1) | instskip(NEXT) | instid1(SALU_CYCLE_1)
	s_and_saveexec_b32 s13, s1
	s_xor_b32 s1, exec_lo, s13
; %bb.1890:                             ;   in Loop: Header=BB415_1576 Depth=1
	v_bfe_u32 v5, v6, 16, 1
	s_delay_alu instid0(VALU_DEP_1)
	v_add3_u32 v5, v6, v5, 0x7fff
                                        ; implicit-def: $vgpr6
; %bb.1891:                             ;   in Loop: Header=BB415_1576 Depth=1
	s_and_not1_saveexec_b32 s13, s1
; %bb.1892:                             ;   in Loop: Header=BB415_1576 Depth=1
	v_and_b32_e32 v5, 0xffff, v6
	v_or_b32_e32 v7, 0x10000, v6
	s_delay_alu instid0(VALU_DEP_2) | instskip(NEXT) | instid1(VALU_DEP_1)
	v_cmp_eq_u32_e64 s1, 0, v5
	v_cndmask_b32_e64 v5, v7, v6, s1
; %bb.1893:                             ;   in Loop: Header=BB415_1576 Depth=1
	s_or_b32 exec_lo, exec_lo, s13
	v_lshrrev_b32_e32 v21, 16, v2
	s_mov_b32 s13, exec_lo
	s_delay_alu instid0(VALU_DEP_1) | instskip(NEXT) | instid1(VALU_DEP_1)
	v_dual_mov_b32 v6, 0 :: v_dual_and_b32 v7, 0xff, v21
	v_cmpx_ne_u16_e32 0, v7
	s_cbranch_execz .LBB415_1901
; %bb.1894:                             ;   in Loop: Header=BB415_1576 Depth=1
	v_bfrev_b32_e32 v6, 1
	s_mov_b32 s15, exec_lo
	v_cmpx_ne_u16_e32 0x80, v7
	s_cbranch_execz .LBB415_1900
; %bb.1895:                             ;   in Loop: Header=BB415_1576 Depth=1
	v_bfe_u32 v7, v2, 16, 7
	v_mov_b32_e32 v6, 0x7f800001
	s_mov_b32 s16, exec_lo
	s_delay_alu instid0(VALU_DEP_2)
	v_cmpx_ne_u32_e32 0x7f, v7
	s_cbranch_execz .LBB415_1899
; %bb.1896:                             ;   in Loop: Header=BB415_1576 Depth=1
	v_and_b32_e32 v9, 7, v21
	v_lshrrev_b32_e32 v39, 3, v7
	v_cmp_gt_u32_e64 s1, 8, v7
	s_delay_alu instid0(VALU_DEP_3) | instskip(NEXT) | instid1(VALU_DEP_2)
	v_dual_mov_b32 v6, v9 :: v_dual_mov_b32 v7, v10
	s_and_saveexec_b32 s17, s1
; %bb.1897:                             ;   in Loop: Header=BB415_1576 Depth=1
	v_clz_i32_u32_e32 v6, v9
	s_delay_alu instid0(VALU_DEP_1) | instskip(NEXT) | instid1(VALU_DEP_1)
	v_min_u32_e32 v20, 32, v6
	v_subrev_nc_u32_e32 v6, 28, v20
	v_sub_nc_u32_e32 v39, 29, v20
	s_delay_alu instid0(VALU_DEP_2) | instskip(NEXT) | instid1(VALU_DEP_1)
	v_lshlrev_b64 v[6:7], v6, v[9:10]
	v_and_b32_e32 v6, 7, v6
; %bb.1898:                             ;   in Loop: Header=BB415_1576 Depth=1
	s_or_b32 exec_lo, exec_lo, s17
	v_lshlrev_b32_e32 v7, 24, v21
	s_delay_alu instid0(VALU_DEP_2) | instskip(SKIP_1) | instid1(VALU_DEP_3)
	v_lshlrev_b32_e32 v6, 20, v6
	v_lshl_add_u32 v9, v39, 23, 0x3c000000
	v_and_b32_e32 v7, 0x80000000, v7
	s_delay_alu instid0(VALU_DEP_1)
	v_or3_b32 v6, v6, v7, v9
.LBB415_1899:                           ;   in Loop: Header=BB415_1576 Depth=1
	s_or_b32 exec_lo, exec_lo, s16
.LBB415_1900:                           ;   in Loop: Header=BB415_1576 Depth=1
	s_delay_alu instid0(SALU_CYCLE_1)
	s_or_b32 exec_lo, exec_lo, s15
.LBB415_1901:                           ;   in Loop: Header=BB415_1576 Depth=1
	s_delay_alu instid0(SALU_CYCLE_1) | instskip(NEXT) | instid1(VALU_DEP_1)
	s_or_b32 exec_lo, exec_lo, s13
	v_mul_f32_e32 v6, v8, v6
                                        ; implicit-def: $vgpr21
	s_delay_alu instid0(VALU_DEP_1) | instskip(NEXT) | instid1(VALU_DEP_1)
	v_and_b32_e32 v7, 0x7f800000, v6
	v_cmp_ne_u32_e64 s1, 0x7f800000, v7
	s_delay_alu instid0(VALU_DEP_1) | instskip(NEXT) | instid1(SALU_CYCLE_1)
	s_and_saveexec_b32 s13, s1
	s_xor_b32 s1, exec_lo, s13
; %bb.1902:                             ;   in Loop: Header=BB415_1576 Depth=1
	v_bfe_u32 v7, v6, 16, 1
	s_delay_alu instid0(VALU_DEP_1)
	v_add3_u32 v21, v6, v7, 0x7fff
                                        ; implicit-def: $vgpr6
; %bb.1903:                             ;   in Loop: Header=BB415_1576 Depth=1
	s_and_not1_saveexec_b32 s13, s1
; %bb.1904:                             ;   in Loop: Header=BB415_1576 Depth=1
	v_and_b32_e32 v7, 0xffff, v6
	v_or_b32_e32 v9, 0x10000, v6
	s_delay_alu instid0(VALU_DEP_2) | instskip(NEXT) | instid1(VALU_DEP_1)
	v_cmp_eq_u32_e64 s1, 0, v7
	v_cndmask_b32_e64 v21, v9, v6, s1
; %bb.1905:                             ;   in Loop: Header=BB415_1576 Depth=1
	s_or_b32 exec_lo, exec_lo, s13
	v_mov_b32_e32 v6, 0
	s_mov_b32 s13, exec_lo
	v_cmpx_lt_u32_e32 0xffffff, v2
	s_cbranch_execz .LBB415_1913
; %bb.1906:                             ;   in Loop: Header=BB415_1576 Depth=1
	v_lshrrev_b32_e32 v39, 24, v2
	v_bfrev_b32_e32 v6, 1
	s_mov_b32 s15, exec_lo
	s_delay_alu instid0(VALU_DEP_2)
	v_cmpx_ne_u32_e32 0x80, v39
	s_cbranch_execz .LBB415_1912
; %bb.1907:                             ;   in Loop: Header=BB415_1576 Depth=1
	v_bfe_u32 v7, v2, 24, 7
	v_mov_b32_e32 v6, 0x7f800001
	s_mov_b32 s16, exec_lo
	s_delay_alu instid0(VALU_DEP_2)
	v_cmpx_ne_u32_e32 0x7f, v7
	s_cbranch_execz .LBB415_1911
; %bb.1908:                             ;   in Loop: Header=BB415_1576 Depth=1
	v_and_b32_e32 v9, 7, v39
	v_lshrrev_b32_e32 v84, 3, v7
	v_cmp_gt_u32_e64 s1, 8, v7
	s_delay_alu instid0(VALU_DEP_3) | instskip(NEXT) | instid1(VALU_DEP_2)
	v_dual_mov_b32 v6, v9 :: v_dual_mov_b32 v7, v10
	s_and_saveexec_b32 s17, s1
; %bb.1909:                             ;   in Loop: Header=BB415_1576 Depth=1
	v_clz_i32_u32_e32 v6, v9
	s_delay_alu instid0(VALU_DEP_1) | instskip(NEXT) | instid1(VALU_DEP_1)
	v_min_u32_e32 v20, 32, v6
	v_subrev_nc_u32_e32 v6, 28, v20
	v_sub_nc_u32_e32 v84, 29, v20
	s_delay_alu instid0(VALU_DEP_2) | instskip(NEXT) | instid1(VALU_DEP_1)
	v_lshlrev_b64 v[6:7], v6, v[9:10]
	v_and_b32_e32 v6, 7, v6
; %bb.1910:                             ;   in Loop: Header=BB415_1576 Depth=1
	s_or_b32 exec_lo, exec_lo, s17
	v_lshlrev_b32_e32 v7, 24, v39
	s_delay_alu instid0(VALU_DEP_2) | instskip(SKIP_1) | instid1(VALU_DEP_3)
	v_lshlrev_b32_e32 v6, 20, v6
	v_lshl_add_u32 v9, v84, 23, 0x3c000000
	v_and_b32_e32 v7, 0x80000000, v7
	s_delay_alu instid0(VALU_DEP_1)
	v_or3_b32 v6, v6, v7, v9
.LBB415_1911:                           ;   in Loop: Header=BB415_1576 Depth=1
	s_or_b32 exec_lo, exec_lo, s16
.LBB415_1912:                           ;   in Loop: Header=BB415_1576 Depth=1
	s_delay_alu instid0(SALU_CYCLE_1)
	s_or_b32 exec_lo, exec_lo, s15
.LBB415_1913:                           ;   in Loop: Header=BB415_1576 Depth=1
	s_delay_alu instid0(SALU_CYCLE_1) | instskip(NEXT) | instid1(VALU_DEP_1)
	s_or_b32 exec_lo, exec_lo, s13
	v_mul_f32_e32 v6, v8, v6
                                        ; implicit-def: $vgpr39
	s_delay_alu instid0(VALU_DEP_1) | instskip(NEXT) | instid1(VALU_DEP_1)
	v_and_b32_e32 v7, 0x7f800000, v6
	v_cmp_ne_u32_e64 s1, 0x7f800000, v7
	s_delay_alu instid0(VALU_DEP_1) | instskip(NEXT) | instid1(SALU_CYCLE_1)
	s_and_saveexec_b32 s13, s1
	s_xor_b32 s1, exec_lo, s13
; %bb.1914:                             ;   in Loop: Header=BB415_1576 Depth=1
	v_bfe_u32 v7, v6, 16, 1
	s_delay_alu instid0(VALU_DEP_1)
	v_add3_u32 v39, v6, v7, 0x7fff
                                        ; implicit-def: $vgpr6
; %bb.1915:                             ;   in Loop: Header=BB415_1576 Depth=1
	s_and_not1_saveexec_b32 s13, s1
; %bb.1916:                             ;   in Loop: Header=BB415_1576 Depth=1
	v_and_b32_e32 v7, 0xffff, v6
	v_or_b32_e32 v9, 0x10000, v6
	s_delay_alu instid0(VALU_DEP_2) | instskip(NEXT) | instid1(VALU_DEP_1)
	v_cmp_eq_u32_e64 s1, 0, v7
	v_cndmask_b32_e64 v39, v9, v6, s1
; %bb.1917:                             ;   in Loop: Header=BB415_1576 Depth=1
	s_or_b32 exec_lo, exec_lo, s13
	v_dual_mov_b32 v6, 0 :: v_dual_and_b32 v7, 0xff, v3
	v_mov_b32_e32 v9, v3
	s_mov_b32 s13, exec_lo
	s_delay_alu instid0(VALU_DEP_2)
	v_cmpx_ne_u16_e32 0, v7
	s_cbranch_execz .LBB415_1925
; %bb.1918:                             ;   in Loop: Header=BB415_1576 Depth=1
	v_bfrev_b32_e32 v6, 1
	s_mov_b32 s15, exec_lo
	v_cmpx_ne_u16_e32 0x80, v7
	s_cbranch_execz .LBB415_1924
; %bb.1919:                             ;   in Loop: Header=BB415_1576 Depth=1
	v_and_b32_e32 v7, 0x7f, v3
	v_mov_b32_e32 v6, 0x7f800001
	s_mov_b32 s16, exec_lo
	s_delay_alu instid0(VALU_DEP_2)
	v_cmpx_ne_u32_e32 0x7f, v7
	s_cbranch_execz .LBB415_1923
; %bb.1920:                             ;   in Loop: Header=BB415_1576 Depth=1
	v_lshrrev_b32_e32 v84, 3, v7
	v_cmp_gt_u32_e64 s1, 8, v7
	v_dual_mov_b32 v6, v9 :: v_dual_mov_b32 v7, v10
	s_delay_alu instid0(VALU_DEP_2)
	s_and_saveexec_b32 s17, s1
; %bb.1921:                             ;   in Loop: Header=BB415_1576 Depth=1
	v_and_b32_e32 v6, 7, v3
	s_delay_alu instid0(VALU_DEP_1) | instskip(NEXT) | instid1(VALU_DEP_1)
	v_clz_i32_u32_e32 v6, v6
	v_min_u32_e32 v20, 32, v6
	s_delay_alu instid0(VALU_DEP_1) | instskip(SKIP_1) | instid1(VALU_DEP_2)
	v_subrev_nc_u32_e32 v6, 28, v20
	v_sub_nc_u32_e32 v84, 29, v20
	v_lshlrev_b64 v[6:7], v6, v[9:10]
; %bb.1922:                             ;   in Loop: Header=BB415_1576 Depth=1
	s_or_b32 exec_lo, exec_lo, s17
	s_delay_alu instid0(VALU_DEP_1) | instskip(SKIP_2) | instid1(VALU_DEP_3)
	v_lshlrev_b32_e32 v6, 20, v6
	v_lshlrev_b32_e32 v7, 24, v9
	v_lshl_add_u32 v20, v84, 23, 0x3c000000
	v_and_b32_e32 v6, 0x700000, v6
	s_delay_alu instid0(VALU_DEP_3) | instskip(NEXT) | instid1(VALU_DEP_1)
	v_and_b32_e32 v7, 0x80000000, v7
	v_or3_b32 v6, v6, v7, v20
.LBB415_1923:                           ;   in Loop: Header=BB415_1576 Depth=1
	s_or_b32 exec_lo, exec_lo, s16
.LBB415_1924:                           ;   in Loop: Header=BB415_1576 Depth=1
	s_delay_alu instid0(SALU_CYCLE_1)
	s_or_b32 exec_lo, exec_lo, s15
.LBB415_1925:                           ;   in Loop: Header=BB415_1576 Depth=1
	s_delay_alu instid0(SALU_CYCLE_1) | instskip(NEXT) | instid1(VALU_DEP_1)
	s_or_b32 exec_lo, exec_lo, s13
	v_mul_f32_e32 v6, v8, v6
                                        ; implicit-def: $vgpr84
	s_delay_alu instid0(VALU_DEP_1) | instskip(NEXT) | instid1(VALU_DEP_1)
	v_and_b32_e32 v7, 0x7f800000, v6
	v_cmp_ne_u32_e64 s1, 0x7f800000, v7
	s_delay_alu instid0(VALU_DEP_1) | instskip(NEXT) | instid1(SALU_CYCLE_1)
	s_and_saveexec_b32 s13, s1
	s_xor_b32 s1, exec_lo, s13
; %bb.1926:                             ;   in Loop: Header=BB415_1576 Depth=1
	v_bfe_u32 v7, v6, 16, 1
	s_delay_alu instid0(VALU_DEP_1)
	v_add3_u32 v84, v6, v7, 0x7fff
                                        ; implicit-def: $vgpr6
; %bb.1927:                             ;   in Loop: Header=BB415_1576 Depth=1
	s_and_not1_saveexec_b32 s13, s1
; %bb.1928:                             ;   in Loop: Header=BB415_1576 Depth=1
	v_and_b32_e32 v7, 0xffff, v6
	v_or_b32_e32 v20, 0x10000, v6
	s_delay_alu instid0(VALU_DEP_2) | instskip(NEXT) | instid1(VALU_DEP_1)
	v_cmp_eq_u32_e64 s1, 0, v7
	v_cndmask_b32_e64 v84, v20, v6, s1
; %bb.1929:                             ;   in Loop: Header=BB415_1576 Depth=1
	s_or_b32 exec_lo, exec_lo, s13
	v_lshrrev_b16 v7, 8, v9
	v_mov_b32_e32 v6, 0
	s_mov_b32 s13, exec_lo
	s_delay_alu instid0(VALU_DEP_2)
	v_cmpx_ne_u16_e32 0, v7
	s_cbranch_execz .LBB415_1937
; %bb.1930:                             ;   in Loop: Header=BB415_1576 Depth=1
	v_bfrev_b32_e32 v6, 1
	s_mov_b32 s15, exec_lo
	v_cmpx_ne_u16_e32 0x80, v7
	s_cbranch_execz .LBB415_1936
; %bb.1931:                             ;   in Loop: Header=BB415_1576 Depth=1
	v_and_b32_e32 v7, 0xffff, v7
	v_mov_b32_e32 v6, 0x7f800001
	s_mov_b32 s16, exec_lo
	s_delay_alu instid0(VALU_DEP_2) | instskip(NEXT) | instid1(VALU_DEP_1)
	v_and_b32_e32 v134, 0x7f, v7
	v_cmpx_ne_u32_e32 0x7f, v134
	s_cbranch_execz .LBB415_1935
; %bb.1932:                             ;   in Loop: Header=BB415_1576 Depth=1
	v_dual_mov_b32 v7, v10 :: v_dual_and_b32 v6, 7, v7
	v_lshrrev_b32_e32 v85, 3, v134
	s_mov_b32 s17, exec_lo
	v_cmpx_gt_u32_e32 8, v134
; %bb.1933:                             ;   in Loop: Header=BB415_1576 Depth=1
	s_delay_alu instid0(VALU_DEP_3) | instskip(NEXT) | instid1(VALU_DEP_1)
	v_clz_i32_u32_e32 v20, v6
	v_min_u32_e32 v20, 32, v20
	s_delay_alu instid0(VALU_DEP_1) | instskip(SKIP_1) | instid1(VALU_DEP_2)
	v_subrev_nc_u32_e32 v22, 28, v20
	v_sub_nc_u32_e32 v85, 29, v20
	v_lshlrev_b64 v[6:7], v22, v[6:7]
	s_delay_alu instid0(VALU_DEP_1)
	v_and_b32_e32 v6, 7, v6
; %bb.1934:                             ;   in Loop: Header=BB415_1576 Depth=1
	s_or_b32 exec_lo, exec_lo, s17
	v_lshlrev_b32_e32 v7, 16, v9
	s_delay_alu instid0(VALU_DEP_2) | instskip(SKIP_1) | instid1(VALU_DEP_3)
	v_lshlrev_b32_e32 v6, 20, v6
	v_lshl_add_u32 v9, v85, 23, 0x3c000000
	v_and_b32_e32 v7, 0x80000000, v7
	s_delay_alu instid0(VALU_DEP_1)
	v_or3_b32 v6, v6, v7, v9
.LBB415_1935:                           ;   in Loop: Header=BB415_1576 Depth=1
	s_or_b32 exec_lo, exec_lo, s16
.LBB415_1936:                           ;   in Loop: Header=BB415_1576 Depth=1
	s_delay_alu instid0(SALU_CYCLE_1)
	s_or_b32 exec_lo, exec_lo, s15
.LBB415_1937:                           ;   in Loop: Header=BB415_1576 Depth=1
	s_delay_alu instid0(SALU_CYCLE_1) | instskip(NEXT) | instid1(VALU_DEP_1)
	s_or_b32 exec_lo, exec_lo, s13
	v_mul_f32_e32 v6, v8, v6
                                        ; implicit-def: $vgpr85
	s_delay_alu instid0(VALU_DEP_1) | instskip(NEXT) | instid1(VALU_DEP_1)
	v_and_b32_e32 v7, 0x7f800000, v6
	v_cmp_ne_u32_e64 s1, 0x7f800000, v7
	s_delay_alu instid0(VALU_DEP_1) | instskip(NEXT) | instid1(SALU_CYCLE_1)
	s_and_saveexec_b32 s13, s1
	s_xor_b32 s1, exec_lo, s13
; %bb.1938:                             ;   in Loop: Header=BB415_1576 Depth=1
	v_bfe_u32 v7, v6, 16, 1
	s_delay_alu instid0(VALU_DEP_1)
	v_add3_u32 v85, v6, v7, 0x7fff
                                        ; implicit-def: $vgpr6
; %bb.1939:                             ;   in Loop: Header=BB415_1576 Depth=1
	s_and_not1_saveexec_b32 s13, s1
; %bb.1940:                             ;   in Loop: Header=BB415_1576 Depth=1
	v_and_b32_e32 v7, 0xffff, v6
	v_or_b32_e32 v9, 0x10000, v6
	s_delay_alu instid0(VALU_DEP_2) | instskip(NEXT) | instid1(VALU_DEP_1)
	v_cmp_eq_u32_e64 s1, 0, v7
	v_cndmask_b32_e64 v85, v9, v6, s1
; %bb.1941:                             ;   in Loop: Header=BB415_1576 Depth=1
	s_or_b32 exec_lo, exec_lo, s13
	v_lshrrev_b32_e32 v134, 16, v3
	s_mov_b32 s13, exec_lo
	s_delay_alu instid0(VALU_DEP_1) | instskip(NEXT) | instid1(VALU_DEP_1)
	v_dual_mov_b32 v6, 0 :: v_dual_and_b32 v7, 0xff, v134
	v_cmpx_ne_u16_e32 0, v7
	s_cbranch_execz .LBB415_1949
; %bb.1942:                             ;   in Loop: Header=BB415_1576 Depth=1
	v_bfrev_b32_e32 v6, 1
	s_mov_b32 s15, exec_lo
	v_cmpx_ne_u16_e32 0x80, v7
	s_cbranch_execz .LBB415_1948
; %bb.1943:                             ;   in Loop: Header=BB415_1576 Depth=1
	v_bfe_u32 v7, v3, 16, 7
	v_mov_b32_e32 v6, 0x7f800001
	s_mov_b32 s16, exec_lo
	s_delay_alu instid0(VALU_DEP_2)
	v_cmpx_ne_u32_e32 0x7f, v7
	s_cbranch_execz .LBB415_1947
; %bb.1944:                             ;   in Loop: Header=BB415_1576 Depth=1
	v_and_b32_e32 v9, 7, v134
	v_lshrrev_b32_e32 v135, 3, v7
	v_cmp_gt_u32_e64 s1, 8, v7
	s_delay_alu instid0(VALU_DEP_3) | instskip(NEXT) | instid1(VALU_DEP_2)
	v_dual_mov_b32 v6, v9 :: v_dual_mov_b32 v7, v10
	s_and_saveexec_b32 s17, s1
; %bb.1945:                             ;   in Loop: Header=BB415_1576 Depth=1
	v_clz_i32_u32_e32 v6, v9
	s_delay_alu instid0(VALU_DEP_1) | instskip(NEXT) | instid1(VALU_DEP_1)
	v_min_u32_e32 v20, 32, v6
	v_subrev_nc_u32_e32 v6, 28, v20
	v_sub_nc_u32_e32 v135, 29, v20
	s_delay_alu instid0(VALU_DEP_2) | instskip(NEXT) | instid1(VALU_DEP_1)
	v_lshlrev_b64 v[6:7], v6, v[9:10]
	v_and_b32_e32 v6, 7, v6
; %bb.1946:                             ;   in Loop: Header=BB415_1576 Depth=1
	s_or_b32 exec_lo, exec_lo, s17
	v_lshlrev_b32_e32 v7, 24, v134
	s_delay_alu instid0(VALU_DEP_2) | instskip(SKIP_1) | instid1(VALU_DEP_3)
	v_lshlrev_b32_e32 v6, 20, v6
	v_lshl_add_u32 v9, v135, 23, 0x3c000000
	v_and_b32_e32 v7, 0x80000000, v7
	s_delay_alu instid0(VALU_DEP_1)
	v_or3_b32 v6, v6, v7, v9
.LBB415_1947:                           ;   in Loop: Header=BB415_1576 Depth=1
	s_or_b32 exec_lo, exec_lo, s16
.LBB415_1948:                           ;   in Loop: Header=BB415_1576 Depth=1
	s_delay_alu instid0(SALU_CYCLE_1)
	s_or_b32 exec_lo, exec_lo, s15
.LBB415_1949:                           ;   in Loop: Header=BB415_1576 Depth=1
	s_delay_alu instid0(SALU_CYCLE_1) | instskip(NEXT) | instid1(VALU_DEP_1)
	s_or_b32 exec_lo, exec_lo, s13
	v_mul_f32_e32 v6, v8, v6
                                        ; implicit-def: $vgpr134
	s_delay_alu instid0(VALU_DEP_1) | instskip(NEXT) | instid1(VALU_DEP_1)
	v_and_b32_e32 v7, 0x7f800000, v6
	v_cmp_ne_u32_e64 s1, 0x7f800000, v7
	s_delay_alu instid0(VALU_DEP_1) | instskip(NEXT) | instid1(SALU_CYCLE_1)
	s_and_saveexec_b32 s13, s1
	s_xor_b32 s1, exec_lo, s13
; %bb.1950:                             ;   in Loop: Header=BB415_1576 Depth=1
	v_bfe_u32 v7, v6, 16, 1
	s_delay_alu instid0(VALU_DEP_1)
	v_add3_u32 v134, v6, v7, 0x7fff
                                        ; implicit-def: $vgpr6
; %bb.1951:                             ;   in Loop: Header=BB415_1576 Depth=1
	s_and_not1_saveexec_b32 s13, s1
; %bb.1952:                             ;   in Loop: Header=BB415_1576 Depth=1
	v_and_b32_e32 v7, 0xffff, v6
	v_or_b32_e32 v9, 0x10000, v6
	s_delay_alu instid0(VALU_DEP_2) | instskip(NEXT) | instid1(VALU_DEP_1)
	v_cmp_eq_u32_e64 s1, 0, v7
	v_cndmask_b32_e64 v134, v9, v6, s1
; %bb.1953:                             ;   in Loop: Header=BB415_1576 Depth=1
	s_or_b32 exec_lo, exec_lo, s13
	v_cmp_lt_u64_e64 s1, s[4:5], v[2:3]
	v_mov_b32_e32 v2, 0
	s_delay_alu instid0(VALU_DEP_2)
	s_and_saveexec_b32 s13, s1
	s_cbranch_execz .LBB415_1961
; %bb.1954:                             ;   in Loop: Header=BB415_1576 Depth=1
	v_lshrrev_b32_e32 v6, 24, v3
	v_bfrev_b32_e32 v2, 1
	s_mov_b32 s15, exec_lo
	s_delay_alu instid0(VALU_DEP_2)
	v_cmpx_ne_u32_e32 0x80, v6
	s_cbranch_execz .LBB415_1960
; %bb.1955:                             ;   in Loop: Header=BB415_1576 Depth=1
	v_bfe_u32 v3, v3, 24, 7
	v_mov_b32_e32 v2, 0x7f800001
	s_mov_b32 s16, exec_lo
	s_delay_alu instid0(VALU_DEP_2)
	v_cmpx_ne_u32_e32 0x7f, v3
	s_cbranch_execz .LBB415_1959
; %bb.1956:                             ;   in Loop: Header=BB415_1576 Depth=1
	v_and_b32_e32 v9, 7, v6
	v_lshrrev_b32_e32 v7, 3, v3
	v_cmp_gt_u32_e64 s1, 8, v3
	s_delay_alu instid0(VALU_DEP_3) | instskip(NEXT) | instid1(VALU_DEP_2)
	v_dual_mov_b32 v2, v9 :: v_dual_mov_b32 v3, v10
	s_and_saveexec_b32 s17, s1
; %bb.1957:                             ;   in Loop: Header=BB415_1576 Depth=1
	v_clz_i32_u32_e32 v2, v9
	s_delay_alu instid0(VALU_DEP_1) | instskip(NEXT) | instid1(VALU_DEP_1)
	v_min_u32_e32 v7, 32, v2
	v_subrev_nc_u32_e32 v2, 28, v7
	v_sub_nc_u32_e32 v7, 29, v7
	s_delay_alu instid0(VALU_DEP_2) | instskip(NEXT) | instid1(VALU_DEP_1)
	v_lshlrev_b64 v[2:3], v2, v[9:10]
	v_and_b32_e32 v2, 7, v2
; %bb.1958:                             ;   in Loop: Header=BB415_1576 Depth=1
	s_or_b32 exec_lo, exec_lo, s17
	v_lshlrev_b32_e32 v3, 24, v6
	s_delay_alu instid0(VALU_DEP_2) | instskip(SKIP_1) | instid1(VALU_DEP_3)
	v_lshlrev_b32_e32 v2, 20, v2
	v_lshl_add_u32 v6, v7, 23, 0x3c000000
	v_and_b32_e32 v3, 0x80000000, v3
	s_delay_alu instid0(VALU_DEP_1)
	v_or3_b32 v2, v2, v3, v6
.LBB415_1959:                           ;   in Loop: Header=BB415_1576 Depth=1
	s_or_b32 exec_lo, exec_lo, s16
.LBB415_1960:                           ;   in Loop: Header=BB415_1576 Depth=1
	s_delay_alu instid0(SALU_CYCLE_1)
	s_or_b32 exec_lo, exec_lo, s15
.LBB415_1961:                           ;   in Loop: Header=BB415_1576 Depth=1
	s_delay_alu instid0(SALU_CYCLE_1) | instskip(NEXT) | instid1(VALU_DEP_1)
	s_or_b32 exec_lo, exec_lo, s13
	v_mul_f32_e32 v3, v8, v2
	s_delay_alu instid0(VALU_DEP_1) | instskip(NEXT) | instid1(VALU_DEP_1)
	v_and_b32_e32 v2, 0x7f800000, v3
	v_cmp_ne_u32_e64 s1, 0x7f800000, v2
                                        ; implicit-def: $vgpr2
	s_delay_alu instid0(VALU_DEP_1) | instskip(NEXT) | instid1(SALU_CYCLE_1)
	s_and_saveexec_b32 s13, s1
	s_xor_b32 s1, exec_lo, s13
; %bb.1962:                             ;   in Loop: Header=BB415_1576 Depth=1
	v_bfe_u32 v2, v3, 16, 1
	s_delay_alu instid0(VALU_DEP_1)
	v_add3_u32 v2, v3, v2, 0x7fff
                                        ; implicit-def: $vgpr3
; %bb.1963:                             ;   in Loop: Header=BB415_1576 Depth=1
	s_and_not1_saveexec_b32 s13, s1
; %bb.1964:                             ;   in Loop: Header=BB415_1576 Depth=1
	v_and_b32_e32 v2, 0xffff, v3
	v_or_b32_e32 v6, 0x10000, v3
	s_delay_alu instid0(VALU_DEP_2) | instskip(NEXT) | instid1(VALU_DEP_1)
	v_cmp_eq_u32_e64 s1, 0, v2
	v_cndmask_b32_e64 v2, v6, v3, s1
; %bb.1965:                             ;   in Loop: Header=BB415_1576 Depth=1
	s_or_b32 exec_lo, exec_lo, s13
	v_lshrrev_b32_e32 v6, 16, v85
	v_lshrrev_b32_e32 v7, 16, v84
	;; [unrolled: 1-line block ×8, first 2 shown]
	s_and_saveexec_b32 s13, vcc_lo
	s_cbranch_execz .LBB415_1967
; %bb.1966:                             ;   in Loop: Header=BB415_1576 Depth=1
	v_cmp_lt_i32_e64 s1, v70, v86
	s_delay_alu instid0(VALU_DEP_1) | instskip(SKIP_1) | instid1(VALU_DEP_1)
	v_cndmask_b32_e64 v4, 0, v4, s1
	v_cmp_lt_i32_e64 s1, v101, v86
	v_cndmask_b32_e64 v5, 0, v5, s1
	v_cmp_lt_i32_e64 s1, v100, v86
	s_delay_alu instid0(VALU_DEP_1) | instskip(SKIP_1) | instid1(VALU_DEP_1)
	v_cndmask_b32_e64 v21, 0, v21, s1
	v_cmp_lt_i32_e64 s1, v83, v86
	v_cndmask_b32_e64 v9, 0, v9, s1
	;; [unrolled: 5-line block ×4, first 2 shown]
.LBB415_1967:                           ;   in Loop: Header=BB415_1576 Depth=1
	s_or_b32 exec_lo, exec_lo, s13
	v_lshlrev_b32_e32 v4, 16, v4
                                        ; implicit-def: $vgpr134
	s_delay_alu instid0(VALU_DEP_1) | instskip(NEXT) | instid1(VALU_DEP_1)
	v_mul_f32_e32 v4, v102, v4
	v_and_b32_e32 v20, 0x7f800000, v4
	s_delay_alu instid0(VALU_DEP_1) | instskip(NEXT) | instid1(VALU_DEP_1)
	v_cmp_ne_u32_e64 s1, 0x7f800000, v20
	s_and_saveexec_b32 s13, s1
	s_delay_alu instid0(SALU_CYCLE_1)
	s_xor_b32 s1, exec_lo, s13
; %bb.1968:                             ;   in Loop: Header=BB415_1576 Depth=1
	v_bfe_u32 v20, v4, 16, 1
	s_delay_alu instid0(VALU_DEP_1)
	v_add3_u32 v134, v4, v20, 0x7fff
                                        ; implicit-def: $vgpr4
; %bb.1969:                             ;   in Loop: Header=BB415_1576 Depth=1
	s_and_not1_saveexec_b32 s13, s1
; %bb.1970:                             ;   in Loop: Header=BB415_1576 Depth=1
	v_and_b32_e32 v20, 0xffff, v4
	v_or_b32_e32 v22, 0x10000, v4
	s_delay_alu instid0(VALU_DEP_2) | instskip(NEXT) | instid1(VALU_DEP_1)
	v_cmp_eq_u32_e64 s1, 0, v20
	v_cndmask_b32_e64 v134, v22, v4, s1
; %bb.1971:                             ;   in Loop: Header=BB415_1576 Depth=1
	s_or_b32 exec_lo, exec_lo, s13
	v_lshlrev_b32_e32 v4, 16, v5
                                        ; implicit-def: $vgpr135
	s_delay_alu instid0(VALU_DEP_1) | instskip(NEXT) | instid1(VALU_DEP_1)
	v_mul_f32_e32 v4, v103, v4
	v_and_b32_e32 v5, 0x7f800000, v4
	s_delay_alu instid0(VALU_DEP_1) | instskip(NEXT) | instid1(VALU_DEP_1)
	v_cmp_ne_u32_e64 s1, 0x7f800000, v5
	s_and_saveexec_b32 s13, s1
	s_delay_alu instid0(SALU_CYCLE_1)
	s_xor_b32 s1, exec_lo, s13
; %bb.1972:                             ;   in Loop: Header=BB415_1576 Depth=1
	v_bfe_u32 v5, v4, 16, 1
	s_delay_alu instid0(VALU_DEP_1)
	v_add3_u32 v135, v4, v5, 0x7fff
                                        ; implicit-def: $vgpr4
; %bb.1973:                             ;   in Loop: Header=BB415_1576 Depth=1
	s_and_not1_saveexec_b32 s13, s1
; %bb.1974:                             ;   in Loop: Header=BB415_1576 Depth=1
	v_and_b32_e32 v5, 0xffff, v4
	v_or_b32_e32 v20, 0x10000, v4
	s_delay_alu instid0(VALU_DEP_2) | instskip(NEXT) | instid1(VALU_DEP_1)
	v_cmp_eq_u32_e64 s1, 0, v5
	v_cndmask_b32_e64 v135, v20, v4, s1
; %bb.1975:                             ;   in Loop: Header=BB415_1576 Depth=1
	s_or_b32 exec_lo, exec_lo, s13
	v_lshlrev_b32_e32 v4, 16, v21
                                        ; implicit-def: $vgpr144
	s_delay_alu instid0(VALU_DEP_1) | instskip(NEXT) | instid1(VALU_DEP_1)
	v_mul_f32_e32 v4, v112, v4
	v_and_b32_e32 v5, 0x7f800000, v4
	s_delay_alu instid0(VALU_DEP_1) | instskip(NEXT) | instid1(VALU_DEP_1)
	v_cmp_ne_u32_e64 s1, 0x7f800000, v5
	s_and_saveexec_b32 s13, s1
	s_delay_alu instid0(SALU_CYCLE_1)
	s_xor_b32 s1, exec_lo, s13
; %bb.1976:                             ;   in Loop: Header=BB415_1576 Depth=1
	v_bfe_u32 v5, v4, 16, 1
	s_delay_alu instid0(VALU_DEP_1)
	v_add3_u32 v144, v4, v5, 0x7fff
                                        ; implicit-def: $vgpr4
; %bb.1977:                             ;   in Loop: Header=BB415_1576 Depth=1
	s_and_not1_saveexec_b32 s13, s1
; %bb.1978:                             ;   in Loop: Header=BB415_1576 Depth=1
	v_and_b32_e32 v5, 0xffff, v4
	v_or_b32_e32 v20, 0x10000, v4
	s_delay_alu instid0(VALU_DEP_2) | instskip(NEXT) | instid1(VALU_DEP_1)
	v_cmp_eq_u32_e64 s1, 0, v5
	v_cndmask_b32_e64 v144, v20, v4, s1
; %bb.1979:                             ;   in Loop: Header=BB415_1576 Depth=1
	s_or_b32 exec_lo, exec_lo, s13
	v_lshlrev_b32_e32 v4, 16, v9
                                        ; implicit-def: $vgpr145
	s_delay_alu instid0(VALU_DEP_1) | instskip(NEXT) | instid1(VALU_DEP_1)
	v_mul_f32_e32 v4, v113, v4
	v_and_b32_e32 v5, 0x7f800000, v4
	s_delay_alu instid0(VALU_DEP_1) | instskip(NEXT) | instid1(VALU_DEP_1)
	v_cmp_ne_u32_e64 s1, 0x7f800000, v5
	s_and_saveexec_b32 s13, s1
	s_delay_alu instid0(SALU_CYCLE_1)
	s_xor_b32 s1, exec_lo, s13
; %bb.1980:                             ;   in Loop: Header=BB415_1576 Depth=1
	v_bfe_u32 v5, v4, 16, 1
	s_delay_alu instid0(VALU_DEP_1)
	v_add3_u32 v145, v4, v5, 0x7fff
                                        ; implicit-def: $vgpr4
; %bb.1981:                             ;   in Loop: Header=BB415_1576 Depth=1
	s_and_not1_saveexec_b32 s13, s1
; %bb.1982:                             ;   in Loop: Header=BB415_1576 Depth=1
	v_and_b32_e32 v5, 0xffff, v4
	v_or_b32_e32 v9, 0x10000, v4
	s_delay_alu instid0(VALU_DEP_2) | instskip(NEXT) | instid1(VALU_DEP_1)
	v_cmp_eq_u32_e64 s1, 0, v5
	v_cndmask_b32_e64 v145, v9, v4, s1
; %bb.1983:                             ;   in Loop: Header=BB415_1576 Depth=1
	s_or_b32 exec_lo, exec_lo, s13
	v_lshlrev_b32_e32 v4, 16, v7
                                        ; implicit-def: $vgpr146
	s_delay_alu instid0(VALU_DEP_1) | instskip(NEXT) | instid1(VALU_DEP_1)
	v_mul_f32_e32 v4, v114, v4
	v_and_b32_e32 v5, 0x7f800000, v4
	s_delay_alu instid0(VALU_DEP_1) | instskip(NEXT) | instid1(VALU_DEP_1)
	v_cmp_ne_u32_e64 s1, 0x7f800000, v5
	s_and_saveexec_b32 s13, s1
	s_delay_alu instid0(SALU_CYCLE_1)
	s_xor_b32 s1, exec_lo, s13
; %bb.1984:                             ;   in Loop: Header=BB415_1576 Depth=1
	v_bfe_u32 v5, v4, 16, 1
	s_delay_alu instid0(VALU_DEP_1)
	v_add3_u32 v146, v4, v5, 0x7fff
                                        ; implicit-def: $vgpr4
; %bb.1985:                             ;   in Loop: Header=BB415_1576 Depth=1
	s_and_not1_saveexec_b32 s13, s1
; %bb.1986:                             ;   in Loop: Header=BB415_1576 Depth=1
	v_and_b32_e32 v5, 0xffff, v4
	v_or_b32_e32 v7, 0x10000, v4
	s_delay_alu instid0(VALU_DEP_2) | instskip(NEXT) | instid1(VALU_DEP_1)
	v_cmp_eq_u32_e64 s1, 0, v5
	v_cndmask_b32_e64 v146, v7, v4, s1
; %bb.1987:                             ;   in Loop: Header=BB415_1576 Depth=1
	s_or_b32 exec_lo, exec_lo, s13
	v_lshlrev_b32_e32 v4, 16, v6
                                        ; implicit-def: $vgpr147
	s_delay_alu instid0(VALU_DEP_1) | instskip(NEXT) | instid1(VALU_DEP_1)
	v_mul_f32_e32 v4, v115, v4
	v_and_b32_e32 v5, 0x7f800000, v4
	s_delay_alu instid0(VALU_DEP_1) | instskip(NEXT) | instid1(VALU_DEP_1)
	v_cmp_ne_u32_e64 s1, 0x7f800000, v5
	s_and_saveexec_b32 s13, s1
	s_delay_alu instid0(SALU_CYCLE_1)
	s_xor_b32 s1, exec_lo, s13
; %bb.1988:                             ;   in Loop: Header=BB415_1576 Depth=1
	v_bfe_u32 v5, v4, 16, 1
	s_delay_alu instid0(VALU_DEP_1)
	v_add3_u32 v147, v4, v5, 0x7fff
                                        ; implicit-def: $vgpr4
; %bb.1989:                             ;   in Loop: Header=BB415_1576 Depth=1
	s_and_not1_saveexec_b32 s13, s1
; %bb.1990:                             ;   in Loop: Header=BB415_1576 Depth=1
	v_and_b32_e32 v5, 0xffff, v4
	v_or_b32_e32 v6, 0x10000, v4
	s_delay_alu instid0(VALU_DEP_2) | instskip(NEXT) | instid1(VALU_DEP_1)
	v_cmp_eq_u32_e64 s1, 0, v5
	v_cndmask_b32_e64 v147, v6, v4, s1
; %bb.1991:                             ;   in Loop: Header=BB415_1576 Depth=1
	s_or_b32 exec_lo, exec_lo, s13
	v_lshlrev_b32_e32 v3, 16, v3
                                        ; implicit-def: $vgpr148
	s_delay_alu instid0(VALU_DEP_1) | instskip(NEXT) | instid1(VALU_DEP_1)
	v_mul_f32_e32 v3, v116, v3
	v_and_b32_e32 v4, 0x7f800000, v3
	s_delay_alu instid0(VALU_DEP_1) | instskip(NEXT) | instid1(VALU_DEP_1)
	v_cmp_ne_u32_e64 s1, 0x7f800000, v4
	s_and_saveexec_b32 s13, s1
	s_delay_alu instid0(SALU_CYCLE_1)
	s_xor_b32 s1, exec_lo, s13
; %bb.1992:                             ;   in Loop: Header=BB415_1576 Depth=1
	v_bfe_u32 v4, v3, 16, 1
	s_delay_alu instid0(VALU_DEP_1)
	v_add3_u32 v148, v3, v4, 0x7fff
                                        ; implicit-def: $vgpr3
; %bb.1993:                             ;   in Loop: Header=BB415_1576 Depth=1
	s_and_not1_saveexec_b32 s13, s1
; %bb.1994:                             ;   in Loop: Header=BB415_1576 Depth=1
	v_and_b32_e32 v4, 0xffff, v3
	v_or_b32_e32 v5, 0x10000, v3
	s_delay_alu instid0(VALU_DEP_2) | instskip(NEXT) | instid1(VALU_DEP_1)
	v_cmp_eq_u32_e64 s1, 0, v4
	v_cndmask_b32_e64 v148, v5, v3, s1
; %bb.1995:                             ;   in Loop: Header=BB415_1576 Depth=1
	s_or_b32 exec_lo, exec_lo, s13
	v_lshlrev_b32_e32 v2, 16, v2
                                        ; implicit-def: $vgpr149
	s_delay_alu instid0(VALU_DEP_1) | instskip(NEXT) | instid1(VALU_DEP_1)
	v_mul_f32_e32 v2, v117, v2
	v_and_b32_e32 v3, 0x7f800000, v2
	s_delay_alu instid0(VALU_DEP_1) | instskip(NEXT) | instid1(VALU_DEP_1)
	v_cmp_ne_u32_e64 s1, 0x7f800000, v3
	s_and_saveexec_b32 s13, s1
	s_delay_alu instid0(SALU_CYCLE_1)
	s_xor_b32 s1, exec_lo, s13
; %bb.1996:                             ;   in Loop: Header=BB415_1576 Depth=1
	v_bfe_u32 v3, v2, 16, 1
	s_delay_alu instid0(VALU_DEP_1)
	v_add3_u32 v149, v2, v3, 0x7fff
                                        ; implicit-def: $vgpr2
; %bb.1997:                             ;   in Loop: Header=BB415_1576 Depth=1
	s_and_not1_saveexec_b32 s13, s1
; %bb.1998:                             ;   in Loop: Header=BB415_1576 Depth=1
	v_and_b32_e32 v3, 0xffff, v2
	v_or_b32_e32 v4, 0x10000, v2
	s_delay_alu instid0(VALU_DEP_2) | instskip(NEXT) | instid1(VALU_DEP_1)
	v_cmp_eq_u32_e64 s1, 0, v3
	v_cndmask_b32_e64 v149, v4, v2, s1
; %bb.1999:                             ;   in Loop: Header=BB415_1576 Depth=1
	s_or_b32 exec_lo, exec_lo, s13
	flat_load_b64 v[2:3], v[0:1] offset:768
	s_mov_b32 s13, exec_lo
	s_waitcnt vmcnt(0) lgkmcnt(0)
	v_dual_mov_b32 v4, 0 :: v_dual_and_b32 v5, 0xff, v2
	s_delay_alu instid0(VALU_DEP_1)
	v_cmpx_ne_u16_e32 0, v5
	s_cbranch_execz .LBB415_2007
; %bb.2000:                             ;   in Loop: Header=BB415_1576 Depth=1
	v_bfrev_b32_e32 v4, 1
	s_mov_b32 s15, exec_lo
	v_cmpx_ne_u16_e32 0x80, v5
	s_cbranch_execz .LBB415_2006
; %bb.2001:                             ;   in Loop: Header=BB415_1576 Depth=1
	v_and_b32_e32 v5, 0x7f, v2
	v_mov_b32_e32 v4, 0x7f800001
	s_mov_b32 s16, exec_lo
	s_delay_alu instid0(VALU_DEP_2)
	v_cmpx_ne_u32_e32 0x7f, v5
	s_cbranch_execz .LBB415_2005
; %bb.2002:                             ;   in Loop: Header=BB415_1576 Depth=1
	v_lshrrev_b32_e32 v4, 3, v5
	v_dual_mov_b32 v7, v3 :: v_dual_mov_b32 v6, v2
	s_mov_b32 s17, exec_lo
	v_cmpx_gt_u32_e32 8, v5
; %bb.2003:                             ;   in Loop: Header=BB415_1576 Depth=1
	v_and_b32_e32 v4, 7, v2
	s_delay_alu instid0(VALU_DEP_1) | instskip(NEXT) | instid1(VALU_DEP_1)
	v_clz_i32_u32_e32 v4, v4
	v_min_u32_e32 v4, 32, v4
	s_delay_alu instid0(VALU_DEP_1) | instskip(SKIP_1) | instid1(VALU_DEP_2)
	v_subrev_nc_u32_e32 v5, 28, v4
	v_sub_nc_u32_e32 v4, 29, v4
	v_lshlrev_b64 v[6:7], v5, v[2:3]
; %bb.2004:                             ;   in Loop: Header=BB415_1576 Depth=1
	s_or_b32 exec_lo, exec_lo, s17
	s_delay_alu instid0(VALU_DEP_1) | instskip(SKIP_2) | instid1(VALU_DEP_3)
	v_lshlrev_b32_e32 v5, 20, v6
	v_lshlrev_b32_e32 v6, 24, v2
	v_lshl_add_u32 v4, v4, 23, 0x3c000000
	v_and_b32_e32 v5, 0x700000, v5
	s_delay_alu instid0(VALU_DEP_3) | instskip(NEXT) | instid1(VALU_DEP_1)
	v_and_b32_e32 v6, 0x80000000, v6
	v_or3_b32 v4, v5, v6, v4
.LBB415_2005:                           ;   in Loop: Header=BB415_1576 Depth=1
	s_or_b32 exec_lo, exec_lo, s16
.LBB415_2006:                           ;   in Loop: Header=BB415_1576 Depth=1
	s_delay_alu instid0(SALU_CYCLE_1)
	s_or_b32 exec_lo, exec_lo, s15
.LBB415_2007:                           ;   in Loop: Header=BB415_1576 Depth=1
	s_delay_alu instid0(SALU_CYCLE_1) | instskip(NEXT) | instid1(VALU_DEP_1)
	s_or_b32 exec_lo, exec_lo, s13
	v_mul_f32_e32 v5, v8, v4
	s_delay_alu instid0(VALU_DEP_1) | instskip(NEXT) | instid1(VALU_DEP_1)
	v_and_b32_e32 v4, 0x7f800000, v5
	v_cmp_ne_u32_e64 s1, 0x7f800000, v4
                                        ; implicit-def: $vgpr4
	s_delay_alu instid0(VALU_DEP_1) | instskip(NEXT) | instid1(SALU_CYCLE_1)
	s_and_saveexec_b32 s13, s1
	s_xor_b32 s1, exec_lo, s13
; %bb.2008:                             ;   in Loop: Header=BB415_1576 Depth=1
	v_bfe_u32 v4, v5, 16, 1
	s_delay_alu instid0(VALU_DEP_1)
	v_add3_u32 v4, v5, v4, 0x7fff
                                        ; implicit-def: $vgpr5
; %bb.2009:                             ;   in Loop: Header=BB415_1576 Depth=1
	s_and_not1_saveexec_b32 s13, s1
; %bb.2010:                             ;   in Loop: Header=BB415_1576 Depth=1
	v_and_b32_e32 v4, 0xffff, v5
	v_or_b32_e32 v6, 0x10000, v5
	s_delay_alu instid0(VALU_DEP_2) | instskip(NEXT) | instid1(VALU_DEP_1)
	v_cmp_eq_u32_e64 s1, 0, v4
	v_cndmask_b32_e64 v4, v6, v5, s1
; %bb.2011:                             ;   in Loop: Header=BB415_1576 Depth=1
	s_or_b32 exec_lo, exec_lo, s13
	v_lshrrev_b16 v6, 8, v2
	v_mov_b32_e32 v5, 0
	s_mov_b32 s13, exec_lo
	s_delay_alu instid0(VALU_DEP_2)
	v_cmpx_ne_u16_e32 0, v6
	s_cbranch_execz .LBB415_2019
; %bb.2012:                             ;   in Loop: Header=BB415_1576 Depth=1
	v_bfrev_b32_e32 v5, 1
	s_mov_b32 s15, exec_lo
	v_cmpx_ne_u16_e32 0x80, v6
	s_cbranch_execz .LBB415_2018
; %bb.2013:                             ;   in Loop: Header=BB415_1576 Depth=1
	v_and_b32_e32 v7, 0xffff, v6
	v_mov_b32_e32 v5, 0x7f800001
	s_mov_b32 s16, exec_lo
	s_delay_alu instid0(VALU_DEP_2) | instskip(NEXT) | instid1(VALU_DEP_1)
	v_and_b32_e32 v6, 0x7f, v7
	v_cmpx_ne_u32_e32 0x7f, v6
	s_cbranch_execz .LBB415_2017
; %bb.2014:                             ;   in Loop: Header=BB415_1576 Depth=1
	v_and_b32_e32 v9, 7, v7
	v_lshrrev_b32_e32 v5, 3, v6
	v_cmp_gt_u32_e64 s1, 8, v6
	s_delay_alu instid0(VALU_DEP_3) | instskip(NEXT) | instid1(VALU_DEP_2)
	v_dual_mov_b32 v6, v9 :: v_dual_mov_b32 v7, v10
	s_and_saveexec_b32 s17, s1
; %bb.2015:                             ;   in Loop: Header=BB415_1576 Depth=1
	v_clz_i32_u32_e32 v5, v9
	s_delay_alu instid0(VALU_DEP_1) | instskip(NEXT) | instid1(VALU_DEP_1)
	v_min_u32_e32 v5, 32, v5
	v_subrev_nc_u32_e32 v6, 28, v5
	v_sub_nc_u32_e32 v5, 29, v5
	s_delay_alu instid0(VALU_DEP_2) | instskip(NEXT) | instid1(VALU_DEP_1)
	v_lshlrev_b64 v[6:7], v6, v[9:10]
	v_and_b32_e32 v6, 7, v6
; %bb.2016:                             ;   in Loop: Header=BB415_1576 Depth=1
	s_or_b32 exec_lo, exec_lo, s17
	v_lshlrev_b32_e32 v7, 16, v2
	s_delay_alu instid0(VALU_DEP_2) | instskip(SKIP_1) | instid1(VALU_DEP_3)
	v_lshlrev_b32_e32 v6, 20, v6
	v_lshl_add_u32 v5, v5, 23, 0x3c000000
	v_and_b32_e32 v7, 0x80000000, v7
	s_delay_alu instid0(VALU_DEP_1)
	v_or3_b32 v5, v6, v7, v5
.LBB415_2017:                           ;   in Loop: Header=BB415_1576 Depth=1
	s_or_b32 exec_lo, exec_lo, s16
.LBB415_2018:                           ;   in Loop: Header=BB415_1576 Depth=1
	s_delay_alu instid0(SALU_CYCLE_1)
	s_or_b32 exec_lo, exec_lo, s15
.LBB415_2019:                           ;   in Loop: Header=BB415_1576 Depth=1
	s_delay_alu instid0(SALU_CYCLE_1) | instskip(NEXT) | instid1(VALU_DEP_1)
	s_or_b32 exec_lo, exec_lo, s13
	v_mul_f32_e32 v6, v8, v5
	s_delay_alu instid0(VALU_DEP_1) | instskip(NEXT) | instid1(VALU_DEP_1)
	v_and_b32_e32 v5, 0x7f800000, v6
	v_cmp_ne_u32_e64 s1, 0x7f800000, v5
                                        ; implicit-def: $vgpr5
	s_delay_alu instid0(VALU_DEP_1) | instskip(NEXT) | instid1(SALU_CYCLE_1)
	s_and_saveexec_b32 s13, s1
	s_xor_b32 s1, exec_lo, s13
; %bb.2020:                             ;   in Loop: Header=BB415_1576 Depth=1
	v_bfe_u32 v5, v6, 16, 1
	s_delay_alu instid0(VALU_DEP_1)
	v_add3_u32 v5, v6, v5, 0x7fff
                                        ; implicit-def: $vgpr6
; %bb.2021:                             ;   in Loop: Header=BB415_1576 Depth=1
	s_and_not1_saveexec_b32 s13, s1
; %bb.2022:                             ;   in Loop: Header=BB415_1576 Depth=1
	v_and_b32_e32 v5, 0xffff, v6
	v_or_b32_e32 v7, 0x10000, v6
	s_delay_alu instid0(VALU_DEP_2) | instskip(NEXT) | instid1(VALU_DEP_1)
	v_cmp_eq_u32_e64 s1, 0, v5
	v_cndmask_b32_e64 v5, v7, v6, s1
; %bb.2023:                             ;   in Loop: Header=BB415_1576 Depth=1
	s_or_b32 exec_lo, exec_lo, s13
	v_lshrrev_b32_e32 v21, 16, v2
	s_mov_b32 s13, exec_lo
	s_delay_alu instid0(VALU_DEP_1) | instskip(NEXT) | instid1(VALU_DEP_1)
	v_dual_mov_b32 v6, 0 :: v_dual_and_b32 v7, 0xff, v21
	v_cmpx_ne_u16_e32 0, v7
	s_cbranch_execz .LBB415_2031
; %bb.2024:                             ;   in Loop: Header=BB415_1576 Depth=1
	v_bfrev_b32_e32 v6, 1
	s_mov_b32 s15, exec_lo
	v_cmpx_ne_u16_e32 0x80, v7
	s_cbranch_execz .LBB415_2030
; %bb.2025:                             ;   in Loop: Header=BB415_1576 Depth=1
	v_bfe_u32 v7, v2, 16, 7
	v_mov_b32_e32 v6, 0x7f800001
	s_mov_b32 s16, exec_lo
	s_delay_alu instid0(VALU_DEP_2)
	v_cmpx_ne_u32_e32 0x7f, v7
	s_cbranch_execz .LBB415_2029
; %bb.2026:                             ;   in Loop: Header=BB415_1576 Depth=1
	v_and_b32_e32 v9, 7, v21
	v_lshrrev_b32_e32 v39, 3, v7
	v_cmp_gt_u32_e64 s1, 8, v7
	s_delay_alu instid0(VALU_DEP_3) | instskip(NEXT) | instid1(VALU_DEP_2)
	v_dual_mov_b32 v6, v9 :: v_dual_mov_b32 v7, v10
	s_and_saveexec_b32 s17, s1
; %bb.2027:                             ;   in Loop: Header=BB415_1576 Depth=1
	v_clz_i32_u32_e32 v6, v9
	s_delay_alu instid0(VALU_DEP_1) | instskip(NEXT) | instid1(VALU_DEP_1)
	v_min_u32_e32 v20, 32, v6
	v_subrev_nc_u32_e32 v6, 28, v20
	v_sub_nc_u32_e32 v39, 29, v20
	s_delay_alu instid0(VALU_DEP_2) | instskip(NEXT) | instid1(VALU_DEP_1)
	v_lshlrev_b64 v[6:7], v6, v[9:10]
	v_and_b32_e32 v6, 7, v6
; %bb.2028:                             ;   in Loop: Header=BB415_1576 Depth=1
	s_or_b32 exec_lo, exec_lo, s17
	v_lshlrev_b32_e32 v7, 24, v21
	s_delay_alu instid0(VALU_DEP_2) | instskip(SKIP_1) | instid1(VALU_DEP_3)
	v_lshlrev_b32_e32 v6, 20, v6
	v_lshl_add_u32 v9, v39, 23, 0x3c000000
	v_and_b32_e32 v7, 0x80000000, v7
	s_delay_alu instid0(VALU_DEP_1)
	v_or3_b32 v6, v6, v7, v9
.LBB415_2029:                           ;   in Loop: Header=BB415_1576 Depth=1
	s_or_b32 exec_lo, exec_lo, s16
.LBB415_2030:                           ;   in Loop: Header=BB415_1576 Depth=1
	s_delay_alu instid0(SALU_CYCLE_1)
	s_or_b32 exec_lo, exec_lo, s15
.LBB415_2031:                           ;   in Loop: Header=BB415_1576 Depth=1
	s_delay_alu instid0(SALU_CYCLE_1) | instskip(NEXT) | instid1(VALU_DEP_1)
	s_or_b32 exec_lo, exec_lo, s13
	v_mul_f32_e32 v6, v8, v6
                                        ; implicit-def: $vgpr21
	s_delay_alu instid0(VALU_DEP_1) | instskip(NEXT) | instid1(VALU_DEP_1)
	v_and_b32_e32 v7, 0x7f800000, v6
	v_cmp_ne_u32_e64 s1, 0x7f800000, v7
	s_delay_alu instid0(VALU_DEP_1) | instskip(NEXT) | instid1(SALU_CYCLE_1)
	s_and_saveexec_b32 s13, s1
	s_xor_b32 s1, exec_lo, s13
; %bb.2032:                             ;   in Loop: Header=BB415_1576 Depth=1
	v_bfe_u32 v7, v6, 16, 1
	s_delay_alu instid0(VALU_DEP_1)
	v_add3_u32 v21, v6, v7, 0x7fff
                                        ; implicit-def: $vgpr6
; %bb.2033:                             ;   in Loop: Header=BB415_1576 Depth=1
	s_and_not1_saveexec_b32 s13, s1
; %bb.2034:                             ;   in Loop: Header=BB415_1576 Depth=1
	v_and_b32_e32 v7, 0xffff, v6
	v_or_b32_e32 v9, 0x10000, v6
	s_delay_alu instid0(VALU_DEP_2) | instskip(NEXT) | instid1(VALU_DEP_1)
	v_cmp_eq_u32_e64 s1, 0, v7
	v_cndmask_b32_e64 v21, v9, v6, s1
; %bb.2035:                             ;   in Loop: Header=BB415_1576 Depth=1
	s_or_b32 exec_lo, exec_lo, s13
	v_mov_b32_e32 v6, 0
	s_mov_b32 s13, exec_lo
	v_cmpx_lt_u32_e32 0xffffff, v2
	s_cbranch_execz .LBB415_2043
; %bb.2036:                             ;   in Loop: Header=BB415_1576 Depth=1
	v_lshrrev_b32_e32 v39, 24, v2
	v_bfrev_b32_e32 v6, 1
	s_mov_b32 s15, exec_lo
	s_delay_alu instid0(VALU_DEP_2)
	v_cmpx_ne_u32_e32 0x80, v39
	s_cbranch_execz .LBB415_2042
; %bb.2037:                             ;   in Loop: Header=BB415_1576 Depth=1
	v_bfe_u32 v7, v2, 24, 7
	v_mov_b32_e32 v6, 0x7f800001
	s_mov_b32 s16, exec_lo
	s_delay_alu instid0(VALU_DEP_2)
	v_cmpx_ne_u32_e32 0x7f, v7
	s_cbranch_execz .LBB415_2041
; %bb.2038:                             ;   in Loop: Header=BB415_1576 Depth=1
	v_and_b32_e32 v9, 7, v39
	v_lshrrev_b32_e32 v84, 3, v7
	v_cmp_gt_u32_e64 s1, 8, v7
	s_delay_alu instid0(VALU_DEP_3) | instskip(NEXT) | instid1(VALU_DEP_2)
	v_dual_mov_b32 v6, v9 :: v_dual_mov_b32 v7, v10
	s_and_saveexec_b32 s17, s1
; %bb.2039:                             ;   in Loop: Header=BB415_1576 Depth=1
	v_clz_i32_u32_e32 v6, v9
	s_delay_alu instid0(VALU_DEP_1) | instskip(NEXT) | instid1(VALU_DEP_1)
	v_min_u32_e32 v20, 32, v6
	v_subrev_nc_u32_e32 v6, 28, v20
	v_sub_nc_u32_e32 v84, 29, v20
	s_delay_alu instid0(VALU_DEP_2) | instskip(NEXT) | instid1(VALU_DEP_1)
	v_lshlrev_b64 v[6:7], v6, v[9:10]
	v_and_b32_e32 v6, 7, v6
; %bb.2040:                             ;   in Loop: Header=BB415_1576 Depth=1
	s_or_b32 exec_lo, exec_lo, s17
	v_lshlrev_b32_e32 v7, 24, v39
	s_delay_alu instid0(VALU_DEP_2) | instskip(SKIP_1) | instid1(VALU_DEP_3)
	v_lshlrev_b32_e32 v6, 20, v6
	v_lshl_add_u32 v9, v84, 23, 0x3c000000
	v_and_b32_e32 v7, 0x80000000, v7
	s_delay_alu instid0(VALU_DEP_1)
	v_or3_b32 v6, v6, v7, v9
.LBB415_2041:                           ;   in Loop: Header=BB415_1576 Depth=1
	s_or_b32 exec_lo, exec_lo, s16
.LBB415_2042:                           ;   in Loop: Header=BB415_1576 Depth=1
	s_delay_alu instid0(SALU_CYCLE_1)
	s_or_b32 exec_lo, exec_lo, s15
.LBB415_2043:                           ;   in Loop: Header=BB415_1576 Depth=1
	s_delay_alu instid0(SALU_CYCLE_1) | instskip(NEXT) | instid1(VALU_DEP_1)
	s_or_b32 exec_lo, exec_lo, s13
	v_mul_f32_e32 v6, v8, v6
                                        ; implicit-def: $vgpr39
	s_delay_alu instid0(VALU_DEP_1) | instskip(NEXT) | instid1(VALU_DEP_1)
	v_and_b32_e32 v7, 0x7f800000, v6
	v_cmp_ne_u32_e64 s1, 0x7f800000, v7
	s_delay_alu instid0(VALU_DEP_1) | instskip(NEXT) | instid1(SALU_CYCLE_1)
	s_and_saveexec_b32 s13, s1
	s_xor_b32 s1, exec_lo, s13
; %bb.2044:                             ;   in Loop: Header=BB415_1576 Depth=1
	v_bfe_u32 v7, v6, 16, 1
	s_delay_alu instid0(VALU_DEP_1)
	v_add3_u32 v39, v6, v7, 0x7fff
                                        ; implicit-def: $vgpr6
; %bb.2045:                             ;   in Loop: Header=BB415_1576 Depth=1
	s_and_not1_saveexec_b32 s13, s1
; %bb.2046:                             ;   in Loop: Header=BB415_1576 Depth=1
	v_and_b32_e32 v7, 0xffff, v6
	v_or_b32_e32 v9, 0x10000, v6
	s_delay_alu instid0(VALU_DEP_2) | instskip(NEXT) | instid1(VALU_DEP_1)
	v_cmp_eq_u32_e64 s1, 0, v7
	v_cndmask_b32_e64 v39, v9, v6, s1
; %bb.2047:                             ;   in Loop: Header=BB415_1576 Depth=1
	s_or_b32 exec_lo, exec_lo, s13
	v_dual_mov_b32 v6, 0 :: v_dual_and_b32 v7, 0xff, v3
	v_mov_b32_e32 v9, v3
	s_mov_b32 s13, exec_lo
	s_delay_alu instid0(VALU_DEP_2)
	v_cmpx_ne_u16_e32 0, v7
	s_cbranch_execz .LBB415_2055
; %bb.2048:                             ;   in Loop: Header=BB415_1576 Depth=1
	v_bfrev_b32_e32 v6, 1
	s_mov_b32 s15, exec_lo
	v_cmpx_ne_u16_e32 0x80, v7
	s_cbranch_execz .LBB415_2054
; %bb.2049:                             ;   in Loop: Header=BB415_1576 Depth=1
	v_and_b32_e32 v7, 0x7f, v3
	v_mov_b32_e32 v6, 0x7f800001
	s_mov_b32 s16, exec_lo
	s_delay_alu instid0(VALU_DEP_2)
	v_cmpx_ne_u32_e32 0x7f, v7
	s_cbranch_execz .LBB415_2053
; %bb.2050:                             ;   in Loop: Header=BB415_1576 Depth=1
	v_lshrrev_b32_e32 v84, 3, v7
	v_cmp_gt_u32_e64 s1, 8, v7
	v_dual_mov_b32 v6, v9 :: v_dual_mov_b32 v7, v10
	s_delay_alu instid0(VALU_DEP_2)
	s_and_saveexec_b32 s17, s1
; %bb.2051:                             ;   in Loop: Header=BB415_1576 Depth=1
	v_and_b32_e32 v6, 7, v3
	s_delay_alu instid0(VALU_DEP_1) | instskip(NEXT) | instid1(VALU_DEP_1)
	v_clz_i32_u32_e32 v6, v6
	v_min_u32_e32 v20, 32, v6
	s_delay_alu instid0(VALU_DEP_1) | instskip(SKIP_1) | instid1(VALU_DEP_2)
	v_subrev_nc_u32_e32 v6, 28, v20
	v_sub_nc_u32_e32 v84, 29, v20
	v_lshlrev_b64 v[6:7], v6, v[9:10]
; %bb.2052:                             ;   in Loop: Header=BB415_1576 Depth=1
	s_or_b32 exec_lo, exec_lo, s17
	s_delay_alu instid0(VALU_DEP_1) | instskip(SKIP_2) | instid1(VALU_DEP_3)
	v_lshlrev_b32_e32 v6, 20, v6
	v_lshlrev_b32_e32 v7, 24, v9
	v_lshl_add_u32 v20, v84, 23, 0x3c000000
	v_and_b32_e32 v6, 0x700000, v6
	s_delay_alu instid0(VALU_DEP_3) | instskip(NEXT) | instid1(VALU_DEP_1)
	v_and_b32_e32 v7, 0x80000000, v7
	v_or3_b32 v6, v6, v7, v20
.LBB415_2053:                           ;   in Loop: Header=BB415_1576 Depth=1
	s_or_b32 exec_lo, exec_lo, s16
.LBB415_2054:                           ;   in Loop: Header=BB415_1576 Depth=1
	s_delay_alu instid0(SALU_CYCLE_1)
	s_or_b32 exec_lo, exec_lo, s15
.LBB415_2055:                           ;   in Loop: Header=BB415_1576 Depth=1
	s_delay_alu instid0(SALU_CYCLE_1) | instskip(NEXT) | instid1(VALU_DEP_1)
	s_or_b32 exec_lo, exec_lo, s13
	v_mul_f32_e32 v6, v8, v6
                                        ; implicit-def: $vgpr84
	s_delay_alu instid0(VALU_DEP_1) | instskip(NEXT) | instid1(VALU_DEP_1)
	v_and_b32_e32 v7, 0x7f800000, v6
	v_cmp_ne_u32_e64 s1, 0x7f800000, v7
	s_delay_alu instid0(VALU_DEP_1) | instskip(NEXT) | instid1(SALU_CYCLE_1)
	s_and_saveexec_b32 s13, s1
	s_xor_b32 s1, exec_lo, s13
; %bb.2056:                             ;   in Loop: Header=BB415_1576 Depth=1
	v_bfe_u32 v7, v6, 16, 1
	s_delay_alu instid0(VALU_DEP_1)
	v_add3_u32 v84, v6, v7, 0x7fff
                                        ; implicit-def: $vgpr6
; %bb.2057:                             ;   in Loop: Header=BB415_1576 Depth=1
	s_and_not1_saveexec_b32 s13, s1
; %bb.2058:                             ;   in Loop: Header=BB415_1576 Depth=1
	v_and_b32_e32 v7, 0xffff, v6
	v_or_b32_e32 v20, 0x10000, v6
	s_delay_alu instid0(VALU_DEP_2) | instskip(NEXT) | instid1(VALU_DEP_1)
	v_cmp_eq_u32_e64 s1, 0, v7
	v_cndmask_b32_e64 v84, v20, v6, s1
; %bb.2059:                             ;   in Loop: Header=BB415_1576 Depth=1
	s_or_b32 exec_lo, exec_lo, s13
	v_lshrrev_b16 v7, 8, v9
	v_mov_b32_e32 v6, 0
	s_mov_b32 s13, exec_lo
	s_delay_alu instid0(VALU_DEP_2)
	v_cmpx_ne_u16_e32 0, v7
	s_cbranch_execz .LBB415_2067
; %bb.2060:                             ;   in Loop: Header=BB415_1576 Depth=1
	v_bfrev_b32_e32 v6, 1
	s_mov_b32 s15, exec_lo
	v_cmpx_ne_u16_e32 0x80, v7
	s_cbranch_execz .LBB415_2066
; %bb.2061:                             ;   in Loop: Header=BB415_1576 Depth=1
	v_and_b32_e32 v7, 0xffff, v7
	v_mov_b32_e32 v6, 0x7f800001
	s_mov_b32 s16, exec_lo
	s_delay_alu instid0(VALU_DEP_2) | instskip(NEXT) | instid1(VALU_DEP_1)
	v_and_b32_e32 v150, 0x7f, v7
	v_cmpx_ne_u32_e32 0x7f, v150
	s_cbranch_execz .LBB415_2065
; %bb.2062:                             ;   in Loop: Header=BB415_1576 Depth=1
	v_dual_mov_b32 v7, v10 :: v_dual_and_b32 v6, 7, v7
	v_lshrrev_b32_e32 v85, 3, v150
	s_mov_b32 s17, exec_lo
	v_cmpx_gt_u32_e32 8, v150
; %bb.2063:                             ;   in Loop: Header=BB415_1576 Depth=1
	s_delay_alu instid0(VALU_DEP_3) | instskip(NEXT) | instid1(VALU_DEP_1)
	v_clz_i32_u32_e32 v20, v6
	v_min_u32_e32 v20, 32, v20
	s_delay_alu instid0(VALU_DEP_1) | instskip(SKIP_1) | instid1(VALU_DEP_2)
	v_subrev_nc_u32_e32 v22, 28, v20
	v_sub_nc_u32_e32 v85, 29, v20
	v_lshlrev_b64 v[6:7], v22, v[6:7]
	s_delay_alu instid0(VALU_DEP_1)
	v_and_b32_e32 v6, 7, v6
; %bb.2064:                             ;   in Loop: Header=BB415_1576 Depth=1
	s_or_b32 exec_lo, exec_lo, s17
	v_lshlrev_b32_e32 v7, 16, v9
	s_delay_alu instid0(VALU_DEP_2) | instskip(SKIP_1) | instid1(VALU_DEP_3)
	v_lshlrev_b32_e32 v6, 20, v6
	v_lshl_add_u32 v9, v85, 23, 0x3c000000
	v_and_b32_e32 v7, 0x80000000, v7
	s_delay_alu instid0(VALU_DEP_1)
	v_or3_b32 v6, v6, v7, v9
.LBB415_2065:                           ;   in Loop: Header=BB415_1576 Depth=1
	s_or_b32 exec_lo, exec_lo, s16
.LBB415_2066:                           ;   in Loop: Header=BB415_1576 Depth=1
	s_delay_alu instid0(SALU_CYCLE_1)
	s_or_b32 exec_lo, exec_lo, s15
.LBB415_2067:                           ;   in Loop: Header=BB415_1576 Depth=1
	s_delay_alu instid0(SALU_CYCLE_1) | instskip(NEXT) | instid1(VALU_DEP_1)
	s_or_b32 exec_lo, exec_lo, s13
	v_mul_f32_e32 v6, v8, v6
                                        ; implicit-def: $vgpr85
	s_delay_alu instid0(VALU_DEP_1) | instskip(NEXT) | instid1(VALU_DEP_1)
	v_and_b32_e32 v7, 0x7f800000, v6
	v_cmp_ne_u32_e64 s1, 0x7f800000, v7
	s_delay_alu instid0(VALU_DEP_1) | instskip(NEXT) | instid1(SALU_CYCLE_1)
	s_and_saveexec_b32 s13, s1
	s_xor_b32 s1, exec_lo, s13
; %bb.2068:                             ;   in Loop: Header=BB415_1576 Depth=1
	v_bfe_u32 v7, v6, 16, 1
	s_delay_alu instid0(VALU_DEP_1)
	v_add3_u32 v85, v6, v7, 0x7fff
                                        ; implicit-def: $vgpr6
; %bb.2069:                             ;   in Loop: Header=BB415_1576 Depth=1
	s_and_not1_saveexec_b32 s13, s1
; %bb.2070:                             ;   in Loop: Header=BB415_1576 Depth=1
	v_and_b32_e32 v7, 0xffff, v6
	v_or_b32_e32 v9, 0x10000, v6
	s_delay_alu instid0(VALU_DEP_2) | instskip(NEXT) | instid1(VALU_DEP_1)
	v_cmp_eq_u32_e64 s1, 0, v7
	v_cndmask_b32_e64 v85, v9, v6, s1
; %bb.2071:                             ;   in Loop: Header=BB415_1576 Depth=1
	s_or_b32 exec_lo, exec_lo, s13
	v_lshrrev_b32_e32 v150, 16, v3
	s_mov_b32 s13, exec_lo
	s_delay_alu instid0(VALU_DEP_1) | instskip(NEXT) | instid1(VALU_DEP_1)
	v_dual_mov_b32 v6, 0 :: v_dual_and_b32 v7, 0xff, v150
	v_cmpx_ne_u16_e32 0, v7
	s_cbranch_execz .LBB415_2079
; %bb.2072:                             ;   in Loop: Header=BB415_1576 Depth=1
	v_bfrev_b32_e32 v6, 1
	s_mov_b32 s15, exec_lo
	v_cmpx_ne_u16_e32 0x80, v7
	s_cbranch_execz .LBB415_2078
; %bb.2073:                             ;   in Loop: Header=BB415_1576 Depth=1
	v_bfe_u32 v7, v3, 16, 7
	v_mov_b32_e32 v6, 0x7f800001
	s_mov_b32 s16, exec_lo
	s_delay_alu instid0(VALU_DEP_2)
	v_cmpx_ne_u32_e32 0x7f, v7
	s_cbranch_execz .LBB415_2077
; %bb.2074:                             ;   in Loop: Header=BB415_1576 Depth=1
	v_and_b32_e32 v9, 7, v150
	v_lshrrev_b32_e32 v151, 3, v7
	v_cmp_gt_u32_e64 s1, 8, v7
	s_delay_alu instid0(VALU_DEP_3) | instskip(NEXT) | instid1(VALU_DEP_2)
	v_dual_mov_b32 v6, v9 :: v_dual_mov_b32 v7, v10
	s_and_saveexec_b32 s17, s1
; %bb.2075:                             ;   in Loop: Header=BB415_1576 Depth=1
	v_clz_i32_u32_e32 v6, v9
	s_delay_alu instid0(VALU_DEP_1) | instskip(NEXT) | instid1(VALU_DEP_1)
	v_min_u32_e32 v20, 32, v6
	v_subrev_nc_u32_e32 v6, 28, v20
	v_sub_nc_u32_e32 v151, 29, v20
	s_delay_alu instid0(VALU_DEP_2) | instskip(NEXT) | instid1(VALU_DEP_1)
	v_lshlrev_b64 v[6:7], v6, v[9:10]
	v_and_b32_e32 v6, 7, v6
; %bb.2076:                             ;   in Loop: Header=BB415_1576 Depth=1
	s_or_b32 exec_lo, exec_lo, s17
	v_lshlrev_b32_e32 v7, 24, v150
	s_delay_alu instid0(VALU_DEP_2) | instskip(SKIP_1) | instid1(VALU_DEP_3)
	v_lshlrev_b32_e32 v6, 20, v6
	v_lshl_add_u32 v9, v151, 23, 0x3c000000
	v_and_b32_e32 v7, 0x80000000, v7
	s_delay_alu instid0(VALU_DEP_1)
	v_or3_b32 v6, v6, v7, v9
.LBB415_2077:                           ;   in Loop: Header=BB415_1576 Depth=1
	s_or_b32 exec_lo, exec_lo, s16
.LBB415_2078:                           ;   in Loop: Header=BB415_1576 Depth=1
	s_delay_alu instid0(SALU_CYCLE_1)
	s_or_b32 exec_lo, exec_lo, s15
.LBB415_2079:                           ;   in Loop: Header=BB415_1576 Depth=1
	s_delay_alu instid0(SALU_CYCLE_1) | instskip(NEXT) | instid1(VALU_DEP_1)
	s_or_b32 exec_lo, exec_lo, s13
	v_mul_f32_e32 v6, v8, v6
                                        ; implicit-def: $vgpr150
	s_delay_alu instid0(VALU_DEP_1) | instskip(NEXT) | instid1(VALU_DEP_1)
	v_and_b32_e32 v7, 0x7f800000, v6
	v_cmp_ne_u32_e64 s1, 0x7f800000, v7
	s_delay_alu instid0(VALU_DEP_1) | instskip(NEXT) | instid1(SALU_CYCLE_1)
	s_and_saveexec_b32 s13, s1
	s_xor_b32 s1, exec_lo, s13
; %bb.2080:                             ;   in Loop: Header=BB415_1576 Depth=1
	v_bfe_u32 v7, v6, 16, 1
	s_delay_alu instid0(VALU_DEP_1)
	v_add3_u32 v150, v6, v7, 0x7fff
                                        ; implicit-def: $vgpr6
; %bb.2081:                             ;   in Loop: Header=BB415_1576 Depth=1
	s_and_not1_saveexec_b32 s13, s1
; %bb.2082:                             ;   in Loop: Header=BB415_1576 Depth=1
	v_and_b32_e32 v7, 0xffff, v6
	v_or_b32_e32 v9, 0x10000, v6
	s_delay_alu instid0(VALU_DEP_2) | instskip(NEXT) | instid1(VALU_DEP_1)
	v_cmp_eq_u32_e64 s1, 0, v7
	v_cndmask_b32_e64 v150, v9, v6, s1
; %bb.2083:                             ;   in Loop: Header=BB415_1576 Depth=1
	s_or_b32 exec_lo, exec_lo, s13
	v_cmp_lt_u64_e64 s1, s[4:5], v[2:3]
	v_mov_b32_e32 v2, 0
	s_delay_alu instid0(VALU_DEP_2)
	s_and_saveexec_b32 s13, s1
	s_cbranch_execz .LBB415_2091
; %bb.2084:                             ;   in Loop: Header=BB415_1576 Depth=1
	v_lshrrev_b32_e32 v6, 24, v3
	v_bfrev_b32_e32 v2, 1
	s_mov_b32 s15, exec_lo
	s_delay_alu instid0(VALU_DEP_2)
	v_cmpx_ne_u32_e32 0x80, v6
	s_cbranch_execz .LBB415_2090
; %bb.2085:                             ;   in Loop: Header=BB415_1576 Depth=1
	v_bfe_u32 v3, v3, 24, 7
	v_mov_b32_e32 v2, 0x7f800001
	s_mov_b32 s16, exec_lo
	s_delay_alu instid0(VALU_DEP_2)
	v_cmpx_ne_u32_e32 0x7f, v3
	s_cbranch_execz .LBB415_2089
; %bb.2086:                             ;   in Loop: Header=BB415_1576 Depth=1
	v_and_b32_e32 v9, 7, v6
	v_lshrrev_b32_e32 v7, 3, v3
	v_cmp_gt_u32_e64 s1, 8, v3
	s_delay_alu instid0(VALU_DEP_3) | instskip(NEXT) | instid1(VALU_DEP_2)
	v_dual_mov_b32 v2, v9 :: v_dual_mov_b32 v3, v10
	s_and_saveexec_b32 s17, s1
; %bb.2087:                             ;   in Loop: Header=BB415_1576 Depth=1
	v_clz_i32_u32_e32 v2, v9
	s_delay_alu instid0(VALU_DEP_1) | instskip(NEXT) | instid1(VALU_DEP_1)
	v_min_u32_e32 v7, 32, v2
	v_subrev_nc_u32_e32 v2, 28, v7
	v_sub_nc_u32_e32 v7, 29, v7
	s_delay_alu instid0(VALU_DEP_2) | instskip(NEXT) | instid1(VALU_DEP_1)
	v_lshlrev_b64 v[2:3], v2, v[9:10]
	v_and_b32_e32 v2, 7, v2
; %bb.2088:                             ;   in Loop: Header=BB415_1576 Depth=1
	s_or_b32 exec_lo, exec_lo, s17
	v_lshlrev_b32_e32 v3, 24, v6
	s_delay_alu instid0(VALU_DEP_2) | instskip(SKIP_1) | instid1(VALU_DEP_3)
	v_lshlrev_b32_e32 v2, 20, v2
	v_lshl_add_u32 v6, v7, 23, 0x3c000000
	v_and_b32_e32 v3, 0x80000000, v3
	s_delay_alu instid0(VALU_DEP_1)
	v_or3_b32 v2, v2, v3, v6
.LBB415_2089:                           ;   in Loop: Header=BB415_1576 Depth=1
	s_or_b32 exec_lo, exec_lo, s16
.LBB415_2090:                           ;   in Loop: Header=BB415_1576 Depth=1
	s_delay_alu instid0(SALU_CYCLE_1)
	s_or_b32 exec_lo, exec_lo, s15
.LBB415_2091:                           ;   in Loop: Header=BB415_1576 Depth=1
	s_delay_alu instid0(SALU_CYCLE_1) | instskip(NEXT) | instid1(VALU_DEP_1)
	s_or_b32 exec_lo, exec_lo, s13
	v_mul_f32_e32 v3, v8, v2
	s_delay_alu instid0(VALU_DEP_1) | instskip(NEXT) | instid1(VALU_DEP_1)
	v_and_b32_e32 v2, 0x7f800000, v3
	v_cmp_ne_u32_e64 s1, 0x7f800000, v2
                                        ; implicit-def: $vgpr2
	s_delay_alu instid0(VALU_DEP_1) | instskip(NEXT) | instid1(SALU_CYCLE_1)
	s_and_saveexec_b32 s13, s1
	s_xor_b32 s1, exec_lo, s13
; %bb.2092:                             ;   in Loop: Header=BB415_1576 Depth=1
	v_bfe_u32 v2, v3, 16, 1
	s_delay_alu instid0(VALU_DEP_1)
	v_add3_u32 v2, v3, v2, 0x7fff
                                        ; implicit-def: $vgpr3
; %bb.2093:                             ;   in Loop: Header=BB415_1576 Depth=1
	s_and_not1_saveexec_b32 s13, s1
; %bb.2094:                             ;   in Loop: Header=BB415_1576 Depth=1
	v_and_b32_e32 v2, 0xffff, v3
	v_or_b32_e32 v6, 0x10000, v3
	s_delay_alu instid0(VALU_DEP_2) | instskip(NEXT) | instid1(VALU_DEP_1)
	v_cmp_eq_u32_e64 s1, 0, v2
	v_cndmask_b32_e64 v2, v6, v3, s1
; %bb.2095:                             ;   in Loop: Header=BB415_1576 Depth=1
	s_or_b32 exec_lo, exec_lo, s13
	v_lshrrev_b32_e32 v6, 16, v85
	v_lshrrev_b32_e32 v7, 16, v84
	;; [unrolled: 1-line block ×8, first 2 shown]
	s_and_saveexec_b32 s13, vcc_lo
	s_cbranch_execz .LBB415_2097
; %bb.2096:                             ;   in Loop: Header=BB415_1576 Depth=1
	v_cmp_lt_i32_e64 s1, v70, v86
	s_delay_alu instid0(VALU_DEP_1) | instskip(SKIP_1) | instid1(VALU_DEP_1)
	v_cndmask_b32_e64 v4, 0, v4, s1
	v_cmp_lt_i32_e64 s1, v101, v86
	v_cndmask_b32_e64 v5, 0, v5, s1
	v_cmp_lt_i32_e64 s1, v100, v86
	s_delay_alu instid0(VALU_DEP_1) | instskip(SKIP_1) | instid1(VALU_DEP_1)
	v_cndmask_b32_e64 v21, 0, v21, s1
	v_cmp_lt_i32_e64 s1, v83, v86
	v_cndmask_b32_e64 v9, 0, v9, s1
	;; [unrolled: 5-line block ×4, first 2 shown]
.LBB415_2097:                           ;   in Loop: Header=BB415_1576 Depth=1
	s_or_b32 exec_lo, exec_lo, s13
	v_lshlrev_b32_e32 v4, 16, v4
                                        ; implicit-def: $vgpr150
	s_delay_alu instid0(VALU_DEP_1) | instskip(NEXT) | instid1(VALU_DEP_1)
	v_mul_f32_e32 v4, v102, v4
	v_and_b32_e32 v20, 0x7f800000, v4
	s_delay_alu instid0(VALU_DEP_1) | instskip(NEXT) | instid1(VALU_DEP_1)
	v_cmp_ne_u32_e64 s1, 0x7f800000, v20
	s_and_saveexec_b32 s13, s1
	s_delay_alu instid0(SALU_CYCLE_1)
	s_xor_b32 s1, exec_lo, s13
; %bb.2098:                             ;   in Loop: Header=BB415_1576 Depth=1
	v_bfe_u32 v20, v4, 16, 1
	s_delay_alu instid0(VALU_DEP_1)
	v_add3_u32 v150, v4, v20, 0x7fff
                                        ; implicit-def: $vgpr4
; %bb.2099:                             ;   in Loop: Header=BB415_1576 Depth=1
	s_and_not1_saveexec_b32 s13, s1
; %bb.2100:                             ;   in Loop: Header=BB415_1576 Depth=1
	v_and_b32_e32 v20, 0xffff, v4
	v_or_b32_e32 v22, 0x10000, v4
	s_delay_alu instid0(VALU_DEP_2) | instskip(NEXT) | instid1(VALU_DEP_1)
	v_cmp_eq_u32_e64 s1, 0, v20
	v_cndmask_b32_e64 v150, v22, v4, s1
; %bb.2101:                             ;   in Loop: Header=BB415_1576 Depth=1
	s_or_b32 exec_lo, exec_lo, s13
	v_lshlrev_b32_e32 v4, 16, v5
                                        ; implicit-def: $vgpr151
	s_delay_alu instid0(VALU_DEP_1) | instskip(NEXT) | instid1(VALU_DEP_1)
	v_mul_f32_e32 v4, v103, v4
	v_and_b32_e32 v5, 0x7f800000, v4
	s_delay_alu instid0(VALU_DEP_1) | instskip(NEXT) | instid1(VALU_DEP_1)
	v_cmp_ne_u32_e64 s1, 0x7f800000, v5
	s_and_saveexec_b32 s13, s1
	s_delay_alu instid0(SALU_CYCLE_1)
	s_xor_b32 s1, exec_lo, s13
; %bb.2102:                             ;   in Loop: Header=BB415_1576 Depth=1
	v_bfe_u32 v5, v4, 16, 1
	s_delay_alu instid0(VALU_DEP_1)
	v_add3_u32 v151, v4, v5, 0x7fff
                                        ; implicit-def: $vgpr4
; %bb.2103:                             ;   in Loop: Header=BB415_1576 Depth=1
	s_and_not1_saveexec_b32 s13, s1
; %bb.2104:                             ;   in Loop: Header=BB415_1576 Depth=1
	v_and_b32_e32 v5, 0xffff, v4
	v_or_b32_e32 v20, 0x10000, v4
	s_delay_alu instid0(VALU_DEP_2) | instskip(NEXT) | instid1(VALU_DEP_1)
	v_cmp_eq_u32_e64 s1, 0, v5
	v_cndmask_b32_e64 v151, v20, v4, s1
; %bb.2105:                             ;   in Loop: Header=BB415_1576 Depth=1
	s_or_b32 exec_lo, exec_lo, s13
	v_lshlrev_b32_e32 v4, 16, v21
                                        ; implicit-def: $vgpr160
	s_delay_alu instid0(VALU_DEP_1) | instskip(NEXT) | instid1(VALU_DEP_1)
	v_mul_f32_e32 v4, v112, v4
	v_and_b32_e32 v5, 0x7f800000, v4
	s_delay_alu instid0(VALU_DEP_1) | instskip(NEXT) | instid1(VALU_DEP_1)
	v_cmp_ne_u32_e64 s1, 0x7f800000, v5
	s_and_saveexec_b32 s13, s1
	s_delay_alu instid0(SALU_CYCLE_1)
	s_xor_b32 s1, exec_lo, s13
; %bb.2106:                             ;   in Loop: Header=BB415_1576 Depth=1
	v_bfe_u32 v5, v4, 16, 1
	s_delay_alu instid0(VALU_DEP_1)
	v_add3_u32 v160, v4, v5, 0x7fff
                                        ; implicit-def: $vgpr4
; %bb.2107:                             ;   in Loop: Header=BB415_1576 Depth=1
	s_and_not1_saveexec_b32 s13, s1
; %bb.2108:                             ;   in Loop: Header=BB415_1576 Depth=1
	v_and_b32_e32 v5, 0xffff, v4
	v_or_b32_e32 v20, 0x10000, v4
	s_delay_alu instid0(VALU_DEP_2) | instskip(NEXT) | instid1(VALU_DEP_1)
	v_cmp_eq_u32_e64 s1, 0, v5
	v_cndmask_b32_e64 v160, v20, v4, s1
; %bb.2109:                             ;   in Loop: Header=BB415_1576 Depth=1
	s_or_b32 exec_lo, exec_lo, s13
	v_lshlrev_b32_e32 v4, 16, v9
                                        ; implicit-def: $vgpr161
	s_delay_alu instid0(VALU_DEP_1) | instskip(NEXT) | instid1(VALU_DEP_1)
	v_mul_f32_e32 v4, v113, v4
	v_and_b32_e32 v5, 0x7f800000, v4
	s_delay_alu instid0(VALU_DEP_1) | instskip(NEXT) | instid1(VALU_DEP_1)
	v_cmp_ne_u32_e64 s1, 0x7f800000, v5
	s_and_saveexec_b32 s13, s1
	s_delay_alu instid0(SALU_CYCLE_1)
	s_xor_b32 s1, exec_lo, s13
; %bb.2110:                             ;   in Loop: Header=BB415_1576 Depth=1
	v_bfe_u32 v5, v4, 16, 1
	s_delay_alu instid0(VALU_DEP_1)
	v_add3_u32 v161, v4, v5, 0x7fff
                                        ; implicit-def: $vgpr4
; %bb.2111:                             ;   in Loop: Header=BB415_1576 Depth=1
	s_and_not1_saveexec_b32 s13, s1
; %bb.2112:                             ;   in Loop: Header=BB415_1576 Depth=1
	v_and_b32_e32 v5, 0xffff, v4
	v_or_b32_e32 v9, 0x10000, v4
	s_delay_alu instid0(VALU_DEP_2) | instskip(NEXT) | instid1(VALU_DEP_1)
	v_cmp_eq_u32_e64 s1, 0, v5
	v_cndmask_b32_e64 v161, v9, v4, s1
; %bb.2113:                             ;   in Loop: Header=BB415_1576 Depth=1
	s_or_b32 exec_lo, exec_lo, s13
	v_lshlrev_b32_e32 v4, 16, v7
                                        ; implicit-def: $vgpr162
	s_delay_alu instid0(VALU_DEP_1) | instskip(NEXT) | instid1(VALU_DEP_1)
	v_mul_f32_e32 v4, v114, v4
	v_and_b32_e32 v5, 0x7f800000, v4
	s_delay_alu instid0(VALU_DEP_1) | instskip(NEXT) | instid1(VALU_DEP_1)
	v_cmp_ne_u32_e64 s1, 0x7f800000, v5
	s_and_saveexec_b32 s13, s1
	s_delay_alu instid0(SALU_CYCLE_1)
	s_xor_b32 s1, exec_lo, s13
; %bb.2114:                             ;   in Loop: Header=BB415_1576 Depth=1
	v_bfe_u32 v5, v4, 16, 1
	s_delay_alu instid0(VALU_DEP_1)
	v_add3_u32 v162, v4, v5, 0x7fff
                                        ; implicit-def: $vgpr4
; %bb.2115:                             ;   in Loop: Header=BB415_1576 Depth=1
	s_and_not1_saveexec_b32 s13, s1
; %bb.2116:                             ;   in Loop: Header=BB415_1576 Depth=1
	v_and_b32_e32 v5, 0xffff, v4
	v_or_b32_e32 v7, 0x10000, v4
	s_delay_alu instid0(VALU_DEP_2) | instskip(NEXT) | instid1(VALU_DEP_1)
	v_cmp_eq_u32_e64 s1, 0, v5
	v_cndmask_b32_e64 v162, v7, v4, s1
; %bb.2117:                             ;   in Loop: Header=BB415_1576 Depth=1
	s_or_b32 exec_lo, exec_lo, s13
	v_lshlrev_b32_e32 v4, 16, v6
                                        ; implicit-def: $vgpr163
	s_delay_alu instid0(VALU_DEP_1) | instskip(NEXT) | instid1(VALU_DEP_1)
	v_mul_f32_e32 v4, v115, v4
	v_and_b32_e32 v5, 0x7f800000, v4
	s_delay_alu instid0(VALU_DEP_1) | instskip(NEXT) | instid1(VALU_DEP_1)
	v_cmp_ne_u32_e64 s1, 0x7f800000, v5
	s_and_saveexec_b32 s13, s1
	s_delay_alu instid0(SALU_CYCLE_1)
	s_xor_b32 s1, exec_lo, s13
; %bb.2118:                             ;   in Loop: Header=BB415_1576 Depth=1
	v_bfe_u32 v5, v4, 16, 1
	s_delay_alu instid0(VALU_DEP_1)
	v_add3_u32 v163, v4, v5, 0x7fff
                                        ; implicit-def: $vgpr4
; %bb.2119:                             ;   in Loop: Header=BB415_1576 Depth=1
	s_and_not1_saveexec_b32 s13, s1
; %bb.2120:                             ;   in Loop: Header=BB415_1576 Depth=1
	v_and_b32_e32 v5, 0xffff, v4
	v_or_b32_e32 v6, 0x10000, v4
	s_delay_alu instid0(VALU_DEP_2) | instskip(NEXT) | instid1(VALU_DEP_1)
	v_cmp_eq_u32_e64 s1, 0, v5
	v_cndmask_b32_e64 v163, v6, v4, s1
; %bb.2121:                             ;   in Loop: Header=BB415_1576 Depth=1
	s_or_b32 exec_lo, exec_lo, s13
	v_lshlrev_b32_e32 v3, 16, v3
                                        ; implicit-def: $vgpr164
	s_delay_alu instid0(VALU_DEP_1) | instskip(NEXT) | instid1(VALU_DEP_1)
	v_mul_f32_e32 v3, v116, v3
	v_and_b32_e32 v4, 0x7f800000, v3
	s_delay_alu instid0(VALU_DEP_1) | instskip(NEXT) | instid1(VALU_DEP_1)
	v_cmp_ne_u32_e64 s1, 0x7f800000, v4
	s_and_saveexec_b32 s13, s1
	s_delay_alu instid0(SALU_CYCLE_1)
	s_xor_b32 s1, exec_lo, s13
; %bb.2122:                             ;   in Loop: Header=BB415_1576 Depth=1
	v_bfe_u32 v4, v3, 16, 1
	s_delay_alu instid0(VALU_DEP_1)
	v_add3_u32 v164, v3, v4, 0x7fff
                                        ; implicit-def: $vgpr3
; %bb.2123:                             ;   in Loop: Header=BB415_1576 Depth=1
	s_and_not1_saveexec_b32 s13, s1
; %bb.2124:                             ;   in Loop: Header=BB415_1576 Depth=1
	v_and_b32_e32 v4, 0xffff, v3
	v_or_b32_e32 v5, 0x10000, v3
	s_delay_alu instid0(VALU_DEP_2) | instskip(NEXT) | instid1(VALU_DEP_1)
	v_cmp_eq_u32_e64 s1, 0, v4
	v_cndmask_b32_e64 v164, v5, v3, s1
; %bb.2125:                             ;   in Loop: Header=BB415_1576 Depth=1
	s_or_b32 exec_lo, exec_lo, s13
	v_lshlrev_b32_e32 v2, 16, v2
                                        ; implicit-def: $vgpr165
	s_delay_alu instid0(VALU_DEP_1) | instskip(NEXT) | instid1(VALU_DEP_1)
	v_mul_f32_e32 v2, v117, v2
	v_and_b32_e32 v3, 0x7f800000, v2
	s_delay_alu instid0(VALU_DEP_1) | instskip(NEXT) | instid1(VALU_DEP_1)
	v_cmp_ne_u32_e64 s1, 0x7f800000, v3
	s_and_saveexec_b32 s13, s1
	s_delay_alu instid0(SALU_CYCLE_1)
	s_xor_b32 s1, exec_lo, s13
; %bb.2126:                             ;   in Loop: Header=BB415_1576 Depth=1
	v_bfe_u32 v3, v2, 16, 1
	s_delay_alu instid0(VALU_DEP_1)
	v_add3_u32 v165, v2, v3, 0x7fff
                                        ; implicit-def: $vgpr2
; %bb.2127:                             ;   in Loop: Header=BB415_1576 Depth=1
	s_and_not1_saveexec_b32 s13, s1
; %bb.2128:                             ;   in Loop: Header=BB415_1576 Depth=1
	v_and_b32_e32 v3, 0xffff, v2
	v_or_b32_e32 v4, 0x10000, v2
	s_delay_alu instid0(VALU_DEP_2) | instskip(NEXT) | instid1(VALU_DEP_1)
	v_cmp_eq_u32_e64 s1, 0, v3
	v_cndmask_b32_e64 v165, v4, v2, s1
; %bb.2129:                             ;   in Loop: Header=BB415_1576 Depth=1
	s_or_b32 exec_lo, exec_lo, s13
	flat_load_b64 v[2:3], v[0:1] offset:1024
	s_mov_b32 s13, exec_lo
	s_waitcnt vmcnt(0) lgkmcnt(0)
	v_dual_mov_b32 v4, 0 :: v_dual_and_b32 v5, 0xff, v2
	s_delay_alu instid0(VALU_DEP_1)
	v_cmpx_ne_u16_e32 0, v5
	s_cbranch_execz .LBB415_2137
; %bb.2130:                             ;   in Loop: Header=BB415_1576 Depth=1
	v_bfrev_b32_e32 v4, 1
	s_mov_b32 s15, exec_lo
	v_cmpx_ne_u16_e32 0x80, v5
	s_cbranch_execz .LBB415_2136
; %bb.2131:                             ;   in Loop: Header=BB415_1576 Depth=1
	v_and_b32_e32 v5, 0x7f, v2
	v_mov_b32_e32 v4, 0x7f800001
	s_mov_b32 s16, exec_lo
	s_delay_alu instid0(VALU_DEP_2)
	v_cmpx_ne_u32_e32 0x7f, v5
	s_cbranch_execz .LBB415_2135
; %bb.2132:                             ;   in Loop: Header=BB415_1576 Depth=1
	v_lshrrev_b32_e32 v4, 3, v5
	v_dual_mov_b32 v7, v3 :: v_dual_mov_b32 v6, v2
	s_mov_b32 s17, exec_lo
	v_cmpx_gt_u32_e32 8, v5
; %bb.2133:                             ;   in Loop: Header=BB415_1576 Depth=1
	v_and_b32_e32 v4, 7, v2
	s_delay_alu instid0(VALU_DEP_1) | instskip(NEXT) | instid1(VALU_DEP_1)
	v_clz_i32_u32_e32 v4, v4
	v_min_u32_e32 v4, 32, v4
	s_delay_alu instid0(VALU_DEP_1) | instskip(SKIP_1) | instid1(VALU_DEP_2)
	v_subrev_nc_u32_e32 v5, 28, v4
	v_sub_nc_u32_e32 v4, 29, v4
	v_lshlrev_b64 v[6:7], v5, v[2:3]
; %bb.2134:                             ;   in Loop: Header=BB415_1576 Depth=1
	s_or_b32 exec_lo, exec_lo, s17
	s_delay_alu instid0(VALU_DEP_1) | instskip(SKIP_2) | instid1(VALU_DEP_3)
	v_lshlrev_b32_e32 v5, 20, v6
	v_lshlrev_b32_e32 v6, 24, v2
	v_lshl_add_u32 v4, v4, 23, 0x3c000000
	v_and_b32_e32 v5, 0x700000, v5
	s_delay_alu instid0(VALU_DEP_3) | instskip(NEXT) | instid1(VALU_DEP_1)
	v_and_b32_e32 v6, 0x80000000, v6
	v_or3_b32 v4, v5, v6, v4
.LBB415_2135:                           ;   in Loop: Header=BB415_1576 Depth=1
	s_or_b32 exec_lo, exec_lo, s16
.LBB415_2136:                           ;   in Loop: Header=BB415_1576 Depth=1
	s_delay_alu instid0(SALU_CYCLE_1)
	s_or_b32 exec_lo, exec_lo, s15
.LBB415_2137:                           ;   in Loop: Header=BB415_1576 Depth=1
	s_delay_alu instid0(SALU_CYCLE_1) | instskip(NEXT) | instid1(VALU_DEP_1)
	s_or_b32 exec_lo, exec_lo, s13
	v_mul_f32_e32 v5, v8, v4
	s_delay_alu instid0(VALU_DEP_1) | instskip(NEXT) | instid1(VALU_DEP_1)
	v_and_b32_e32 v4, 0x7f800000, v5
	v_cmp_ne_u32_e64 s1, 0x7f800000, v4
                                        ; implicit-def: $vgpr4
	s_delay_alu instid0(VALU_DEP_1) | instskip(NEXT) | instid1(SALU_CYCLE_1)
	s_and_saveexec_b32 s13, s1
	s_xor_b32 s1, exec_lo, s13
; %bb.2138:                             ;   in Loop: Header=BB415_1576 Depth=1
	v_bfe_u32 v4, v5, 16, 1
	s_delay_alu instid0(VALU_DEP_1)
	v_add3_u32 v4, v5, v4, 0x7fff
                                        ; implicit-def: $vgpr5
; %bb.2139:                             ;   in Loop: Header=BB415_1576 Depth=1
	s_and_not1_saveexec_b32 s13, s1
; %bb.2140:                             ;   in Loop: Header=BB415_1576 Depth=1
	v_and_b32_e32 v4, 0xffff, v5
	v_or_b32_e32 v6, 0x10000, v5
	s_delay_alu instid0(VALU_DEP_2) | instskip(NEXT) | instid1(VALU_DEP_1)
	v_cmp_eq_u32_e64 s1, 0, v4
	v_cndmask_b32_e64 v4, v6, v5, s1
; %bb.2141:                             ;   in Loop: Header=BB415_1576 Depth=1
	s_or_b32 exec_lo, exec_lo, s13
	v_lshrrev_b16 v6, 8, v2
	v_mov_b32_e32 v5, 0
	s_mov_b32 s13, exec_lo
	s_delay_alu instid0(VALU_DEP_2)
	v_cmpx_ne_u16_e32 0, v6
	s_cbranch_execz .LBB415_2149
; %bb.2142:                             ;   in Loop: Header=BB415_1576 Depth=1
	v_bfrev_b32_e32 v5, 1
	s_mov_b32 s15, exec_lo
	v_cmpx_ne_u16_e32 0x80, v6
	s_cbranch_execz .LBB415_2148
; %bb.2143:                             ;   in Loop: Header=BB415_1576 Depth=1
	v_and_b32_e32 v7, 0xffff, v6
	v_mov_b32_e32 v5, 0x7f800001
	s_mov_b32 s16, exec_lo
	s_delay_alu instid0(VALU_DEP_2) | instskip(NEXT) | instid1(VALU_DEP_1)
	v_and_b32_e32 v6, 0x7f, v7
	v_cmpx_ne_u32_e32 0x7f, v6
	s_cbranch_execz .LBB415_2147
; %bb.2144:                             ;   in Loop: Header=BB415_1576 Depth=1
	v_and_b32_e32 v9, 7, v7
	v_lshrrev_b32_e32 v5, 3, v6
	v_cmp_gt_u32_e64 s1, 8, v6
	s_delay_alu instid0(VALU_DEP_3) | instskip(NEXT) | instid1(VALU_DEP_2)
	v_dual_mov_b32 v6, v9 :: v_dual_mov_b32 v7, v10
	s_and_saveexec_b32 s17, s1
; %bb.2145:                             ;   in Loop: Header=BB415_1576 Depth=1
	v_clz_i32_u32_e32 v5, v9
	s_delay_alu instid0(VALU_DEP_1) | instskip(NEXT) | instid1(VALU_DEP_1)
	v_min_u32_e32 v5, 32, v5
	v_subrev_nc_u32_e32 v6, 28, v5
	v_sub_nc_u32_e32 v5, 29, v5
	s_delay_alu instid0(VALU_DEP_2) | instskip(NEXT) | instid1(VALU_DEP_1)
	v_lshlrev_b64 v[6:7], v6, v[9:10]
	v_and_b32_e32 v6, 7, v6
; %bb.2146:                             ;   in Loop: Header=BB415_1576 Depth=1
	s_or_b32 exec_lo, exec_lo, s17
	v_lshlrev_b32_e32 v7, 16, v2
	s_delay_alu instid0(VALU_DEP_2) | instskip(SKIP_1) | instid1(VALU_DEP_3)
	v_lshlrev_b32_e32 v6, 20, v6
	v_lshl_add_u32 v5, v5, 23, 0x3c000000
	v_and_b32_e32 v7, 0x80000000, v7
	s_delay_alu instid0(VALU_DEP_1)
	v_or3_b32 v5, v6, v7, v5
.LBB415_2147:                           ;   in Loop: Header=BB415_1576 Depth=1
	s_or_b32 exec_lo, exec_lo, s16
.LBB415_2148:                           ;   in Loop: Header=BB415_1576 Depth=1
	s_delay_alu instid0(SALU_CYCLE_1)
	s_or_b32 exec_lo, exec_lo, s15
.LBB415_2149:                           ;   in Loop: Header=BB415_1576 Depth=1
	s_delay_alu instid0(SALU_CYCLE_1) | instskip(NEXT) | instid1(VALU_DEP_1)
	s_or_b32 exec_lo, exec_lo, s13
	v_mul_f32_e32 v6, v8, v5
	s_delay_alu instid0(VALU_DEP_1) | instskip(NEXT) | instid1(VALU_DEP_1)
	v_and_b32_e32 v5, 0x7f800000, v6
	v_cmp_ne_u32_e64 s1, 0x7f800000, v5
                                        ; implicit-def: $vgpr5
	s_delay_alu instid0(VALU_DEP_1) | instskip(NEXT) | instid1(SALU_CYCLE_1)
	s_and_saveexec_b32 s13, s1
	s_xor_b32 s1, exec_lo, s13
; %bb.2150:                             ;   in Loop: Header=BB415_1576 Depth=1
	v_bfe_u32 v5, v6, 16, 1
	s_delay_alu instid0(VALU_DEP_1)
	v_add3_u32 v5, v6, v5, 0x7fff
                                        ; implicit-def: $vgpr6
; %bb.2151:                             ;   in Loop: Header=BB415_1576 Depth=1
	s_and_not1_saveexec_b32 s13, s1
; %bb.2152:                             ;   in Loop: Header=BB415_1576 Depth=1
	v_and_b32_e32 v5, 0xffff, v6
	v_or_b32_e32 v7, 0x10000, v6
	s_delay_alu instid0(VALU_DEP_2) | instskip(NEXT) | instid1(VALU_DEP_1)
	v_cmp_eq_u32_e64 s1, 0, v5
	v_cndmask_b32_e64 v5, v7, v6, s1
; %bb.2153:                             ;   in Loop: Header=BB415_1576 Depth=1
	s_or_b32 exec_lo, exec_lo, s13
	v_lshrrev_b32_e32 v21, 16, v2
	s_mov_b32 s13, exec_lo
	s_delay_alu instid0(VALU_DEP_1) | instskip(NEXT) | instid1(VALU_DEP_1)
	v_dual_mov_b32 v6, 0 :: v_dual_and_b32 v7, 0xff, v21
	v_cmpx_ne_u16_e32 0, v7
	s_cbranch_execz .LBB415_2161
; %bb.2154:                             ;   in Loop: Header=BB415_1576 Depth=1
	v_bfrev_b32_e32 v6, 1
	s_mov_b32 s15, exec_lo
	v_cmpx_ne_u16_e32 0x80, v7
	s_cbranch_execz .LBB415_2160
; %bb.2155:                             ;   in Loop: Header=BB415_1576 Depth=1
	v_bfe_u32 v7, v2, 16, 7
	v_mov_b32_e32 v6, 0x7f800001
	s_mov_b32 s16, exec_lo
	s_delay_alu instid0(VALU_DEP_2)
	v_cmpx_ne_u32_e32 0x7f, v7
	s_cbranch_execz .LBB415_2159
; %bb.2156:                             ;   in Loop: Header=BB415_1576 Depth=1
	v_and_b32_e32 v9, 7, v21
	v_lshrrev_b32_e32 v39, 3, v7
	v_cmp_gt_u32_e64 s1, 8, v7
	s_delay_alu instid0(VALU_DEP_3) | instskip(NEXT) | instid1(VALU_DEP_2)
	v_dual_mov_b32 v6, v9 :: v_dual_mov_b32 v7, v10
	s_and_saveexec_b32 s17, s1
; %bb.2157:                             ;   in Loop: Header=BB415_1576 Depth=1
	v_clz_i32_u32_e32 v6, v9
	s_delay_alu instid0(VALU_DEP_1) | instskip(NEXT) | instid1(VALU_DEP_1)
	v_min_u32_e32 v20, 32, v6
	v_subrev_nc_u32_e32 v6, 28, v20
	v_sub_nc_u32_e32 v39, 29, v20
	s_delay_alu instid0(VALU_DEP_2) | instskip(NEXT) | instid1(VALU_DEP_1)
	v_lshlrev_b64 v[6:7], v6, v[9:10]
	v_and_b32_e32 v6, 7, v6
; %bb.2158:                             ;   in Loop: Header=BB415_1576 Depth=1
	s_or_b32 exec_lo, exec_lo, s17
	v_lshlrev_b32_e32 v7, 24, v21
	s_delay_alu instid0(VALU_DEP_2) | instskip(SKIP_1) | instid1(VALU_DEP_3)
	v_lshlrev_b32_e32 v6, 20, v6
	v_lshl_add_u32 v9, v39, 23, 0x3c000000
	v_and_b32_e32 v7, 0x80000000, v7
	s_delay_alu instid0(VALU_DEP_1)
	v_or3_b32 v6, v6, v7, v9
.LBB415_2159:                           ;   in Loop: Header=BB415_1576 Depth=1
	s_or_b32 exec_lo, exec_lo, s16
.LBB415_2160:                           ;   in Loop: Header=BB415_1576 Depth=1
	s_delay_alu instid0(SALU_CYCLE_1)
	s_or_b32 exec_lo, exec_lo, s15
.LBB415_2161:                           ;   in Loop: Header=BB415_1576 Depth=1
	s_delay_alu instid0(SALU_CYCLE_1) | instskip(NEXT) | instid1(VALU_DEP_1)
	s_or_b32 exec_lo, exec_lo, s13
	v_mul_f32_e32 v6, v8, v6
                                        ; implicit-def: $vgpr21
	s_delay_alu instid0(VALU_DEP_1) | instskip(NEXT) | instid1(VALU_DEP_1)
	v_and_b32_e32 v7, 0x7f800000, v6
	v_cmp_ne_u32_e64 s1, 0x7f800000, v7
	s_delay_alu instid0(VALU_DEP_1) | instskip(NEXT) | instid1(SALU_CYCLE_1)
	s_and_saveexec_b32 s13, s1
	s_xor_b32 s1, exec_lo, s13
; %bb.2162:                             ;   in Loop: Header=BB415_1576 Depth=1
	v_bfe_u32 v7, v6, 16, 1
	s_delay_alu instid0(VALU_DEP_1)
	v_add3_u32 v21, v6, v7, 0x7fff
                                        ; implicit-def: $vgpr6
; %bb.2163:                             ;   in Loop: Header=BB415_1576 Depth=1
	s_and_not1_saveexec_b32 s13, s1
; %bb.2164:                             ;   in Loop: Header=BB415_1576 Depth=1
	v_and_b32_e32 v7, 0xffff, v6
	v_or_b32_e32 v9, 0x10000, v6
	s_delay_alu instid0(VALU_DEP_2) | instskip(NEXT) | instid1(VALU_DEP_1)
	v_cmp_eq_u32_e64 s1, 0, v7
	v_cndmask_b32_e64 v21, v9, v6, s1
; %bb.2165:                             ;   in Loop: Header=BB415_1576 Depth=1
	s_or_b32 exec_lo, exec_lo, s13
	v_mov_b32_e32 v6, 0
	s_mov_b32 s13, exec_lo
	v_cmpx_lt_u32_e32 0xffffff, v2
	s_cbranch_execz .LBB415_2173
; %bb.2166:                             ;   in Loop: Header=BB415_1576 Depth=1
	v_lshrrev_b32_e32 v39, 24, v2
	v_bfrev_b32_e32 v6, 1
	s_mov_b32 s15, exec_lo
	s_delay_alu instid0(VALU_DEP_2)
	v_cmpx_ne_u32_e32 0x80, v39
	s_cbranch_execz .LBB415_2172
; %bb.2167:                             ;   in Loop: Header=BB415_1576 Depth=1
	v_bfe_u32 v7, v2, 24, 7
	v_mov_b32_e32 v6, 0x7f800001
	s_mov_b32 s16, exec_lo
	s_delay_alu instid0(VALU_DEP_2)
	v_cmpx_ne_u32_e32 0x7f, v7
	s_cbranch_execz .LBB415_2171
; %bb.2168:                             ;   in Loop: Header=BB415_1576 Depth=1
	v_and_b32_e32 v9, 7, v39
	v_lshrrev_b32_e32 v84, 3, v7
	v_cmp_gt_u32_e64 s1, 8, v7
	s_delay_alu instid0(VALU_DEP_3) | instskip(NEXT) | instid1(VALU_DEP_2)
	v_dual_mov_b32 v6, v9 :: v_dual_mov_b32 v7, v10
	s_and_saveexec_b32 s17, s1
; %bb.2169:                             ;   in Loop: Header=BB415_1576 Depth=1
	v_clz_i32_u32_e32 v6, v9
	s_delay_alu instid0(VALU_DEP_1) | instskip(NEXT) | instid1(VALU_DEP_1)
	v_min_u32_e32 v20, 32, v6
	v_subrev_nc_u32_e32 v6, 28, v20
	v_sub_nc_u32_e32 v84, 29, v20
	s_delay_alu instid0(VALU_DEP_2) | instskip(NEXT) | instid1(VALU_DEP_1)
	v_lshlrev_b64 v[6:7], v6, v[9:10]
	v_and_b32_e32 v6, 7, v6
; %bb.2170:                             ;   in Loop: Header=BB415_1576 Depth=1
	s_or_b32 exec_lo, exec_lo, s17
	v_lshlrev_b32_e32 v7, 24, v39
	s_delay_alu instid0(VALU_DEP_2) | instskip(SKIP_1) | instid1(VALU_DEP_3)
	v_lshlrev_b32_e32 v6, 20, v6
	v_lshl_add_u32 v9, v84, 23, 0x3c000000
	v_and_b32_e32 v7, 0x80000000, v7
	s_delay_alu instid0(VALU_DEP_1)
	v_or3_b32 v6, v6, v7, v9
.LBB415_2171:                           ;   in Loop: Header=BB415_1576 Depth=1
	s_or_b32 exec_lo, exec_lo, s16
.LBB415_2172:                           ;   in Loop: Header=BB415_1576 Depth=1
	s_delay_alu instid0(SALU_CYCLE_1)
	s_or_b32 exec_lo, exec_lo, s15
.LBB415_2173:                           ;   in Loop: Header=BB415_1576 Depth=1
	s_delay_alu instid0(SALU_CYCLE_1) | instskip(NEXT) | instid1(VALU_DEP_1)
	s_or_b32 exec_lo, exec_lo, s13
	v_mul_f32_e32 v6, v8, v6
                                        ; implicit-def: $vgpr39
	s_delay_alu instid0(VALU_DEP_1) | instskip(NEXT) | instid1(VALU_DEP_1)
	v_and_b32_e32 v7, 0x7f800000, v6
	v_cmp_ne_u32_e64 s1, 0x7f800000, v7
	s_delay_alu instid0(VALU_DEP_1) | instskip(NEXT) | instid1(SALU_CYCLE_1)
	s_and_saveexec_b32 s13, s1
	s_xor_b32 s1, exec_lo, s13
; %bb.2174:                             ;   in Loop: Header=BB415_1576 Depth=1
	v_bfe_u32 v7, v6, 16, 1
	s_delay_alu instid0(VALU_DEP_1)
	v_add3_u32 v39, v6, v7, 0x7fff
                                        ; implicit-def: $vgpr6
; %bb.2175:                             ;   in Loop: Header=BB415_1576 Depth=1
	s_and_not1_saveexec_b32 s13, s1
; %bb.2176:                             ;   in Loop: Header=BB415_1576 Depth=1
	v_and_b32_e32 v7, 0xffff, v6
	v_or_b32_e32 v9, 0x10000, v6
	s_delay_alu instid0(VALU_DEP_2) | instskip(NEXT) | instid1(VALU_DEP_1)
	v_cmp_eq_u32_e64 s1, 0, v7
	v_cndmask_b32_e64 v39, v9, v6, s1
; %bb.2177:                             ;   in Loop: Header=BB415_1576 Depth=1
	s_or_b32 exec_lo, exec_lo, s13
	v_dual_mov_b32 v6, 0 :: v_dual_and_b32 v7, 0xff, v3
	v_mov_b32_e32 v9, v3
	s_mov_b32 s13, exec_lo
	s_delay_alu instid0(VALU_DEP_2)
	v_cmpx_ne_u16_e32 0, v7
	s_cbranch_execz .LBB415_2185
; %bb.2178:                             ;   in Loop: Header=BB415_1576 Depth=1
	v_bfrev_b32_e32 v6, 1
	s_mov_b32 s15, exec_lo
	v_cmpx_ne_u16_e32 0x80, v7
	s_cbranch_execz .LBB415_2184
; %bb.2179:                             ;   in Loop: Header=BB415_1576 Depth=1
	v_and_b32_e32 v7, 0x7f, v3
	v_mov_b32_e32 v6, 0x7f800001
	s_mov_b32 s16, exec_lo
	s_delay_alu instid0(VALU_DEP_2)
	v_cmpx_ne_u32_e32 0x7f, v7
	s_cbranch_execz .LBB415_2183
; %bb.2180:                             ;   in Loop: Header=BB415_1576 Depth=1
	v_lshrrev_b32_e32 v84, 3, v7
	v_cmp_gt_u32_e64 s1, 8, v7
	v_dual_mov_b32 v6, v9 :: v_dual_mov_b32 v7, v10
	s_delay_alu instid0(VALU_DEP_2)
	s_and_saveexec_b32 s17, s1
; %bb.2181:                             ;   in Loop: Header=BB415_1576 Depth=1
	v_and_b32_e32 v6, 7, v3
	s_delay_alu instid0(VALU_DEP_1) | instskip(NEXT) | instid1(VALU_DEP_1)
	v_clz_i32_u32_e32 v6, v6
	v_min_u32_e32 v20, 32, v6
	s_delay_alu instid0(VALU_DEP_1) | instskip(SKIP_1) | instid1(VALU_DEP_2)
	v_subrev_nc_u32_e32 v6, 28, v20
	v_sub_nc_u32_e32 v84, 29, v20
	v_lshlrev_b64 v[6:7], v6, v[9:10]
; %bb.2182:                             ;   in Loop: Header=BB415_1576 Depth=1
	s_or_b32 exec_lo, exec_lo, s17
	s_delay_alu instid0(VALU_DEP_1) | instskip(SKIP_2) | instid1(VALU_DEP_3)
	v_lshlrev_b32_e32 v6, 20, v6
	v_lshlrev_b32_e32 v7, 24, v9
	v_lshl_add_u32 v20, v84, 23, 0x3c000000
	v_and_b32_e32 v6, 0x700000, v6
	s_delay_alu instid0(VALU_DEP_3) | instskip(NEXT) | instid1(VALU_DEP_1)
	v_and_b32_e32 v7, 0x80000000, v7
	v_or3_b32 v6, v6, v7, v20
.LBB415_2183:                           ;   in Loop: Header=BB415_1576 Depth=1
	s_or_b32 exec_lo, exec_lo, s16
.LBB415_2184:                           ;   in Loop: Header=BB415_1576 Depth=1
	s_delay_alu instid0(SALU_CYCLE_1)
	s_or_b32 exec_lo, exec_lo, s15
.LBB415_2185:                           ;   in Loop: Header=BB415_1576 Depth=1
	s_delay_alu instid0(SALU_CYCLE_1) | instskip(NEXT) | instid1(VALU_DEP_1)
	s_or_b32 exec_lo, exec_lo, s13
	v_mul_f32_e32 v6, v8, v6
                                        ; implicit-def: $vgpr84
	s_delay_alu instid0(VALU_DEP_1) | instskip(NEXT) | instid1(VALU_DEP_1)
	v_and_b32_e32 v7, 0x7f800000, v6
	v_cmp_ne_u32_e64 s1, 0x7f800000, v7
	s_delay_alu instid0(VALU_DEP_1) | instskip(NEXT) | instid1(SALU_CYCLE_1)
	s_and_saveexec_b32 s13, s1
	s_xor_b32 s1, exec_lo, s13
; %bb.2186:                             ;   in Loop: Header=BB415_1576 Depth=1
	v_bfe_u32 v7, v6, 16, 1
	s_delay_alu instid0(VALU_DEP_1)
	v_add3_u32 v84, v6, v7, 0x7fff
                                        ; implicit-def: $vgpr6
; %bb.2187:                             ;   in Loop: Header=BB415_1576 Depth=1
	s_and_not1_saveexec_b32 s13, s1
; %bb.2188:                             ;   in Loop: Header=BB415_1576 Depth=1
	v_and_b32_e32 v7, 0xffff, v6
	v_or_b32_e32 v20, 0x10000, v6
	s_delay_alu instid0(VALU_DEP_2) | instskip(NEXT) | instid1(VALU_DEP_1)
	v_cmp_eq_u32_e64 s1, 0, v7
	v_cndmask_b32_e64 v84, v20, v6, s1
; %bb.2189:                             ;   in Loop: Header=BB415_1576 Depth=1
	s_or_b32 exec_lo, exec_lo, s13
	v_lshrrev_b16 v7, 8, v9
	v_mov_b32_e32 v6, 0
	s_mov_b32 s13, exec_lo
	s_delay_alu instid0(VALU_DEP_2)
	v_cmpx_ne_u16_e32 0, v7
	s_cbranch_execz .LBB415_2197
; %bb.2190:                             ;   in Loop: Header=BB415_1576 Depth=1
	v_bfrev_b32_e32 v6, 1
	s_mov_b32 s15, exec_lo
	v_cmpx_ne_u16_e32 0x80, v7
	s_cbranch_execz .LBB415_2196
; %bb.2191:                             ;   in Loop: Header=BB415_1576 Depth=1
	v_and_b32_e32 v7, 0xffff, v7
	v_mov_b32_e32 v6, 0x7f800001
	s_mov_b32 s16, exec_lo
	s_delay_alu instid0(VALU_DEP_2) | instskip(NEXT) | instid1(VALU_DEP_1)
	v_and_b32_e32 v166, 0x7f, v7
	v_cmpx_ne_u32_e32 0x7f, v166
	s_cbranch_execz .LBB415_2195
; %bb.2192:                             ;   in Loop: Header=BB415_1576 Depth=1
	v_dual_mov_b32 v7, v10 :: v_dual_and_b32 v6, 7, v7
	v_lshrrev_b32_e32 v85, 3, v166
	s_mov_b32 s17, exec_lo
	v_cmpx_gt_u32_e32 8, v166
; %bb.2193:                             ;   in Loop: Header=BB415_1576 Depth=1
	s_delay_alu instid0(VALU_DEP_3) | instskip(NEXT) | instid1(VALU_DEP_1)
	v_clz_i32_u32_e32 v20, v6
	v_min_u32_e32 v20, 32, v20
	s_delay_alu instid0(VALU_DEP_1) | instskip(SKIP_1) | instid1(VALU_DEP_2)
	v_subrev_nc_u32_e32 v22, 28, v20
	v_sub_nc_u32_e32 v85, 29, v20
	v_lshlrev_b64 v[6:7], v22, v[6:7]
	s_delay_alu instid0(VALU_DEP_1)
	v_and_b32_e32 v6, 7, v6
; %bb.2194:                             ;   in Loop: Header=BB415_1576 Depth=1
	s_or_b32 exec_lo, exec_lo, s17
	v_lshlrev_b32_e32 v7, 16, v9
	s_delay_alu instid0(VALU_DEP_2) | instskip(SKIP_1) | instid1(VALU_DEP_3)
	v_lshlrev_b32_e32 v6, 20, v6
	v_lshl_add_u32 v9, v85, 23, 0x3c000000
	v_and_b32_e32 v7, 0x80000000, v7
	s_delay_alu instid0(VALU_DEP_1)
	v_or3_b32 v6, v6, v7, v9
.LBB415_2195:                           ;   in Loop: Header=BB415_1576 Depth=1
	s_or_b32 exec_lo, exec_lo, s16
.LBB415_2196:                           ;   in Loop: Header=BB415_1576 Depth=1
	s_delay_alu instid0(SALU_CYCLE_1)
	s_or_b32 exec_lo, exec_lo, s15
.LBB415_2197:                           ;   in Loop: Header=BB415_1576 Depth=1
	s_delay_alu instid0(SALU_CYCLE_1) | instskip(NEXT) | instid1(VALU_DEP_1)
	s_or_b32 exec_lo, exec_lo, s13
	v_mul_f32_e32 v6, v8, v6
                                        ; implicit-def: $vgpr85
	s_delay_alu instid0(VALU_DEP_1) | instskip(NEXT) | instid1(VALU_DEP_1)
	v_and_b32_e32 v7, 0x7f800000, v6
	v_cmp_ne_u32_e64 s1, 0x7f800000, v7
	s_delay_alu instid0(VALU_DEP_1) | instskip(NEXT) | instid1(SALU_CYCLE_1)
	s_and_saveexec_b32 s13, s1
	s_xor_b32 s1, exec_lo, s13
; %bb.2198:                             ;   in Loop: Header=BB415_1576 Depth=1
	v_bfe_u32 v7, v6, 16, 1
	s_delay_alu instid0(VALU_DEP_1)
	v_add3_u32 v85, v6, v7, 0x7fff
                                        ; implicit-def: $vgpr6
; %bb.2199:                             ;   in Loop: Header=BB415_1576 Depth=1
	s_and_not1_saveexec_b32 s13, s1
; %bb.2200:                             ;   in Loop: Header=BB415_1576 Depth=1
	v_and_b32_e32 v7, 0xffff, v6
	v_or_b32_e32 v9, 0x10000, v6
	s_delay_alu instid0(VALU_DEP_2) | instskip(NEXT) | instid1(VALU_DEP_1)
	v_cmp_eq_u32_e64 s1, 0, v7
	v_cndmask_b32_e64 v85, v9, v6, s1
; %bb.2201:                             ;   in Loop: Header=BB415_1576 Depth=1
	s_or_b32 exec_lo, exec_lo, s13
	v_lshrrev_b32_e32 v166, 16, v3
	s_mov_b32 s13, exec_lo
	s_delay_alu instid0(VALU_DEP_1) | instskip(NEXT) | instid1(VALU_DEP_1)
	v_dual_mov_b32 v6, 0 :: v_dual_and_b32 v7, 0xff, v166
	v_cmpx_ne_u16_e32 0, v7
	s_cbranch_execz .LBB415_2209
; %bb.2202:                             ;   in Loop: Header=BB415_1576 Depth=1
	v_bfrev_b32_e32 v6, 1
	s_mov_b32 s15, exec_lo
	v_cmpx_ne_u16_e32 0x80, v7
	s_cbranch_execz .LBB415_2208
; %bb.2203:                             ;   in Loop: Header=BB415_1576 Depth=1
	v_bfe_u32 v7, v3, 16, 7
	v_mov_b32_e32 v6, 0x7f800001
	s_mov_b32 s16, exec_lo
	s_delay_alu instid0(VALU_DEP_2)
	v_cmpx_ne_u32_e32 0x7f, v7
	s_cbranch_execz .LBB415_2207
; %bb.2204:                             ;   in Loop: Header=BB415_1576 Depth=1
	v_and_b32_e32 v9, 7, v166
	v_lshrrev_b32_e32 v167, 3, v7
	v_cmp_gt_u32_e64 s1, 8, v7
	s_delay_alu instid0(VALU_DEP_3) | instskip(NEXT) | instid1(VALU_DEP_2)
	v_dual_mov_b32 v6, v9 :: v_dual_mov_b32 v7, v10
	s_and_saveexec_b32 s17, s1
; %bb.2205:                             ;   in Loop: Header=BB415_1576 Depth=1
	v_clz_i32_u32_e32 v6, v9
	s_delay_alu instid0(VALU_DEP_1) | instskip(NEXT) | instid1(VALU_DEP_1)
	v_min_u32_e32 v20, 32, v6
	v_subrev_nc_u32_e32 v6, 28, v20
	v_sub_nc_u32_e32 v167, 29, v20
	s_delay_alu instid0(VALU_DEP_2) | instskip(NEXT) | instid1(VALU_DEP_1)
	v_lshlrev_b64 v[6:7], v6, v[9:10]
	v_and_b32_e32 v6, 7, v6
; %bb.2206:                             ;   in Loop: Header=BB415_1576 Depth=1
	s_or_b32 exec_lo, exec_lo, s17
	v_lshlrev_b32_e32 v7, 24, v166
	s_delay_alu instid0(VALU_DEP_2) | instskip(SKIP_1) | instid1(VALU_DEP_3)
	v_lshlrev_b32_e32 v6, 20, v6
	v_lshl_add_u32 v9, v167, 23, 0x3c000000
	v_and_b32_e32 v7, 0x80000000, v7
	s_delay_alu instid0(VALU_DEP_1)
	v_or3_b32 v6, v6, v7, v9
.LBB415_2207:                           ;   in Loop: Header=BB415_1576 Depth=1
	s_or_b32 exec_lo, exec_lo, s16
.LBB415_2208:                           ;   in Loop: Header=BB415_1576 Depth=1
	s_delay_alu instid0(SALU_CYCLE_1)
	s_or_b32 exec_lo, exec_lo, s15
.LBB415_2209:                           ;   in Loop: Header=BB415_1576 Depth=1
	s_delay_alu instid0(SALU_CYCLE_1) | instskip(NEXT) | instid1(VALU_DEP_1)
	s_or_b32 exec_lo, exec_lo, s13
	v_mul_f32_e32 v6, v8, v6
                                        ; implicit-def: $vgpr166
	s_delay_alu instid0(VALU_DEP_1) | instskip(NEXT) | instid1(VALU_DEP_1)
	v_and_b32_e32 v7, 0x7f800000, v6
	v_cmp_ne_u32_e64 s1, 0x7f800000, v7
	s_delay_alu instid0(VALU_DEP_1) | instskip(NEXT) | instid1(SALU_CYCLE_1)
	s_and_saveexec_b32 s13, s1
	s_xor_b32 s1, exec_lo, s13
; %bb.2210:                             ;   in Loop: Header=BB415_1576 Depth=1
	v_bfe_u32 v7, v6, 16, 1
	s_delay_alu instid0(VALU_DEP_1)
	v_add3_u32 v166, v6, v7, 0x7fff
                                        ; implicit-def: $vgpr6
; %bb.2211:                             ;   in Loop: Header=BB415_1576 Depth=1
	s_and_not1_saveexec_b32 s13, s1
; %bb.2212:                             ;   in Loop: Header=BB415_1576 Depth=1
	v_and_b32_e32 v7, 0xffff, v6
	v_or_b32_e32 v9, 0x10000, v6
	s_delay_alu instid0(VALU_DEP_2) | instskip(NEXT) | instid1(VALU_DEP_1)
	v_cmp_eq_u32_e64 s1, 0, v7
	v_cndmask_b32_e64 v166, v9, v6, s1
; %bb.2213:                             ;   in Loop: Header=BB415_1576 Depth=1
	s_or_b32 exec_lo, exec_lo, s13
	v_cmp_lt_u64_e64 s1, s[4:5], v[2:3]
	v_mov_b32_e32 v2, 0
	s_delay_alu instid0(VALU_DEP_2)
	s_and_saveexec_b32 s13, s1
	s_cbranch_execz .LBB415_2221
; %bb.2214:                             ;   in Loop: Header=BB415_1576 Depth=1
	v_lshrrev_b32_e32 v6, 24, v3
	v_bfrev_b32_e32 v2, 1
	s_mov_b32 s15, exec_lo
	s_delay_alu instid0(VALU_DEP_2)
	v_cmpx_ne_u32_e32 0x80, v6
	s_cbranch_execz .LBB415_2220
; %bb.2215:                             ;   in Loop: Header=BB415_1576 Depth=1
	v_bfe_u32 v3, v3, 24, 7
	v_mov_b32_e32 v2, 0x7f800001
	s_mov_b32 s16, exec_lo
	s_delay_alu instid0(VALU_DEP_2)
	v_cmpx_ne_u32_e32 0x7f, v3
	s_cbranch_execz .LBB415_2219
; %bb.2216:                             ;   in Loop: Header=BB415_1576 Depth=1
	v_and_b32_e32 v9, 7, v6
	v_lshrrev_b32_e32 v7, 3, v3
	v_cmp_gt_u32_e64 s1, 8, v3
	s_delay_alu instid0(VALU_DEP_3) | instskip(NEXT) | instid1(VALU_DEP_2)
	v_dual_mov_b32 v2, v9 :: v_dual_mov_b32 v3, v10
	s_and_saveexec_b32 s17, s1
; %bb.2217:                             ;   in Loop: Header=BB415_1576 Depth=1
	v_clz_i32_u32_e32 v2, v9
	s_delay_alu instid0(VALU_DEP_1) | instskip(NEXT) | instid1(VALU_DEP_1)
	v_min_u32_e32 v7, 32, v2
	v_subrev_nc_u32_e32 v2, 28, v7
	v_sub_nc_u32_e32 v7, 29, v7
	s_delay_alu instid0(VALU_DEP_2) | instskip(NEXT) | instid1(VALU_DEP_1)
	v_lshlrev_b64 v[2:3], v2, v[9:10]
	v_and_b32_e32 v2, 7, v2
; %bb.2218:                             ;   in Loop: Header=BB415_1576 Depth=1
	s_or_b32 exec_lo, exec_lo, s17
	v_lshlrev_b32_e32 v3, 24, v6
	s_delay_alu instid0(VALU_DEP_2) | instskip(SKIP_1) | instid1(VALU_DEP_3)
	v_lshlrev_b32_e32 v2, 20, v2
	v_lshl_add_u32 v6, v7, 23, 0x3c000000
	v_and_b32_e32 v3, 0x80000000, v3
	s_delay_alu instid0(VALU_DEP_1)
	v_or3_b32 v2, v2, v3, v6
.LBB415_2219:                           ;   in Loop: Header=BB415_1576 Depth=1
	s_or_b32 exec_lo, exec_lo, s16
.LBB415_2220:                           ;   in Loop: Header=BB415_1576 Depth=1
	s_delay_alu instid0(SALU_CYCLE_1)
	s_or_b32 exec_lo, exec_lo, s15
.LBB415_2221:                           ;   in Loop: Header=BB415_1576 Depth=1
	s_delay_alu instid0(SALU_CYCLE_1) | instskip(NEXT) | instid1(VALU_DEP_1)
	s_or_b32 exec_lo, exec_lo, s13
	v_mul_f32_e32 v3, v8, v2
	s_delay_alu instid0(VALU_DEP_1) | instskip(NEXT) | instid1(VALU_DEP_1)
	v_and_b32_e32 v2, 0x7f800000, v3
	v_cmp_ne_u32_e64 s1, 0x7f800000, v2
                                        ; implicit-def: $vgpr2
	s_delay_alu instid0(VALU_DEP_1) | instskip(NEXT) | instid1(SALU_CYCLE_1)
	s_and_saveexec_b32 s13, s1
	s_xor_b32 s1, exec_lo, s13
; %bb.2222:                             ;   in Loop: Header=BB415_1576 Depth=1
	v_bfe_u32 v2, v3, 16, 1
	s_delay_alu instid0(VALU_DEP_1)
	v_add3_u32 v2, v3, v2, 0x7fff
                                        ; implicit-def: $vgpr3
; %bb.2223:                             ;   in Loop: Header=BB415_1576 Depth=1
	s_and_not1_saveexec_b32 s13, s1
; %bb.2224:                             ;   in Loop: Header=BB415_1576 Depth=1
	v_and_b32_e32 v2, 0xffff, v3
	v_or_b32_e32 v6, 0x10000, v3
	s_delay_alu instid0(VALU_DEP_2) | instskip(NEXT) | instid1(VALU_DEP_1)
	v_cmp_eq_u32_e64 s1, 0, v2
	v_cndmask_b32_e64 v2, v6, v3, s1
; %bb.2225:                             ;   in Loop: Header=BB415_1576 Depth=1
	s_or_b32 exec_lo, exec_lo, s13
	v_lshrrev_b32_e32 v6, 16, v85
	v_lshrrev_b32_e32 v7, 16, v84
	;; [unrolled: 1-line block ×8, first 2 shown]
	s_and_saveexec_b32 s13, vcc_lo
	s_cbranch_execz .LBB415_2227
; %bb.2226:                             ;   in Loop: Header=BB415_1576 Depth=1
	v_cmp_lt_i32_e64 s1, v70, v86
	s_delay_alu instid0(VALU_DEP_1) | instskip(SKIP_1) | instid1(VALU_DEP_1)
	v_cndmask_b32_e64 v4, 0, v4, s1
	v_cmp_lt_i32_e64 s1, v101, v86
	v_cndmask_b32_e64 v5, 0, v5, s1
	v_cmp_lt_i32_e64 s1, v100, v86
	s_delay_alu instid0(VALU_DEP_1) | instskip(SKIP_1) | instid1(VALU_DEP_1)
	v_cndmask_b32_e64 v21, 0, v21, s1
	v_cmp_lt_i32_e64 s1, v83, v86
	v_cndmask_b32_e64 v9, 0, v9, s1
	;; [unrolled: 5-line block ×4, first 2 shown]
.LBB415_2227:                           ;   in Loop: Header=BB415_1576 Depth=1
	s_or_b32 exec_lo, exec_lo, s13
	v_lshlrev_b32_e32 v4, 16, v4
                                        ; implicit-def: $vgpr166
	s_delay_alu instid0(VALU_DEP_1) | instskip(NEXT) | instid1(VALU_DEP_1)
	v_mul_f32_e32 v4, v102, v4
	v_and_b32_e32 v20, 0x7f800000, v4
	s_delay_alu instid0(VALU_DEP_1) | instskip(NEXT) | instid1(VALU_DEP_1)
	v_cmp_ne_u32_e64 s1, 0x7f800000, v20
	s_and_saveexec_b32 s13, s1
	s_delay_alu instid0(SALU_CYCLE_1)
	s_xor_b32 s1, exec_lo, s13
; %bb.2228:                             ;   in Loop: Header=BB415_1576 Depth=1
	v_bfe_u32 v20, v4, 16, 1
	s_delay_alu instid0(VALU_DEP_1)
	v_add3_u32 v166, v4, v20, 0x7fff
                                        ; implicit-def: $vgpr4
; %bb.2229:                             ;   in Loop: Header=BB415_1576 Depth=1
	s_and_not1_saveexec_b32 s13, s1
; %bb.2230:                             ;   in Loop: Header=BB415_1576 Depth=1
	v_and_b32_e32 v20, 0xffff, v4
	v_or_b32_e32 v22, 0x10000, v4
	s_delay_alu instid0(VALU_DEP_2) | instskip(NEXT) | instid1(VALU_DEP_1)
	v_cmp_eq_u32_e64 s1, 0, v20
	v_cndmask_b32_e64 v166, v22, v4, s1
; %bb.2231:                             ;   in Loop: Header=BB415_1576 Depth=1
	s_or_b32 exec_lo, exec_lo, s13
	v_lshlrev_b32_e32 v4, 16, v5
                                        ; implicit-def: $vgpr167
	s_delay_alu instid0(VALU_DEP_1) | instskip(NEXT) | instid1(VALU_DEP_1)
	v_mul_f32_e32 v4, v103, v4
	v_and_b32_e32 v5, 0x7f800000, v4
	s_delay_alu instid0(VALU_DEP_1) | instskip(NEXT) | instid1(VALU_DEP_1)
	v_cmp_ne_u32_e64 s1, 0x7f800000, v5
	s_and_saveexec_b32 s13, s1
	s_delay_alu instid0(SALU_CYCLE_1)
	s_xor_b32 s1, exec_lo, s13
; %bb.2232:                             ;   in Loop: Header=BB415_1576 Depth=1
	v_bfe_u32 v5, v4, 16, 1
	s_delay_alu instid0(VALU_DEP_1)
	v_add3_u32 v167, v4, v5, 0x7fff
                                        ; implicit-def: $vgpr4
; %bb.2233:                             ;   in Loop: Header=BB415_1576 Depth=1
	s_and_not1_saveexec_b32 s13, s1
; %bb.2234:                             ;   in Loop: Header=BB415_1576 Depth=1
	v_and_b32_e32 v5, 0xffff, v4
	v_or_b32_e32 v20, 0x10000, v4
	s_delay_alu instid0(VALU_DEP_2) | instskip(NEXT) | instid1(VALU_DEP_1)
	v_cmp_eq_u32_e64 s1, 0, v5
	v_cndmask_b32_e64 v167, v20, v4, s1
; %bb.2235:                             ;   in Loop: Header=BB415_1576 Depth=1
	s_or_b32 exec_lo, exec_lo, s13
	v_lshlrev_b32_e32 v4, 16, v21
                                        ; implicit-def: $vgpr176
	s_delay_alu instid0(VALU_DEP_1) | instskip(NEXT) | instid1(VALU_DEP_1)
	v_mul_f32_e32 v4, v112, v4
	v_and_b32_e32 v5, 0x7f800000, v4
	s_delay_alu instid0(VALU_DEP_1) | instskip(NEXT) | instid1(VALU_DEP_1)
	v_cmp_ne_u32_e64 s1, 0x7f800000, v5
	s_and_saveexec_b32 s13, s1
	s_delay_alu instid0(SALU_CYCLE_1)
	s_xor_b32 s1, exec_lo, s13
; %bb.2236:                             ;   in Loop: Header=BB415_1576 Depth=1
	v_bfe_u32 v5, v4, 16, 1
	s_delay_alu instid0(VALU_DEP_1)
	v_add3_u32 v176, v4, v5, 0x7fff
                                        ; implicit-def: $vgpr4
; %bb.2237:                             ;   in Loop: Header=BB415_1576 Depth=1
	s_and_not1_saveexec_b32 s13, s1
; %bb.2238:                             ;   in Loop: Header=BB415_1576 Depth=1
	v_and_b32_e32 v5, 0xffff, v4
	v_or_b32_e32 v20, 0x10000, v4
	s_delay_alu instid0(VALU_DEP_2) | instskip(NEXT) | instid1(VALU_DEP_1)
	v_cmp_eq_u32_e64 s1, 0, v5
	v_cndmask_b32_e64 v176, v20, v4, s1
; %bb.2239:                             ;   in Loop: Header=BB415_1576 Depth=1
	s_or_b32 exec_lo, exec_lo, s13
	v_lshlrev_b32_e32 v4, 16, v9
                                        ; implicit-def: $vgpr177
	s_delay_alu instid0(VALU_DEP_1) | instskip(NEXT) | instid1(VALU_DEP_1)
	v_mul_f32_e32 v4, v113, v4
	v_and_b32_e32 v5, 0x7f800000, v4
	s_delay_alu instid0(VALU_DEP_1) | instskip(NEXT) | instid1(VALU_DEP_1)
	v_cmp_ne_u32_e64 s1, 0x7f800000, v5
	s_and_saveexec_b32 s13, s1
	s_delay_alu instid0(SALU_CYCLE_1)
	s_xor_b32 s1, exec_lo, s13
; %bb.2240:                             ;   in Loop: Header=BB415_1576 Depth=1
	v_bfe_u32 v5, v4, 16, 1
	s_delay_alu instid0(VALU_DEP_1)
	v_add3_u32 v177, v4, v5, 0x7fff
                                        ; implicit-def: $vgpr4
; %bb.2241:                             ;   in Loop: Header=BB415_1576 Depth=1
	s_and_not1_saveexec_b32 s13, s1
; %bb.2242:                             ;   in Loop: Header=BB415_1576 Depth=1
	v_and_b32_e32 v5, 0xffff, v4
	v_or_b32_e32 v9, 0x10000, v4
	s_delay_alu instid0(VALU_DEP_2) | instskip(NEXT) | instid1(VALU_DEP_1)
	v_cmp_eq_u32_e64 s1, 0, v5
	v_cndmask_b32_e64 v177, v9, v4, s1
; %bb.2243:                             ;   in Loop: Header=BB415_1576 Depth=1
	s_or_b32 exec_lo, exec_lo, s13
	v_lshlrev_b32_e32 v4, 16, v7
                                        ; implicit-def: $vgpr178
	s_delay_alu instid0(VALU_DEP_1) | instskip(NEXT) | instid1(VALU_DEP_1)
	v_mul_f32_e32 v4, v114, v4
	v_and_b32_e32 v5, 0x7f800000, v4
	s_delay_alu instid0(VALU_DEP_1) | instskip(NEXT) | instid1(VALU_DEP_1)
	v_cmp_ne_u32_e64 s1, 0x7f800000, v5
	s_and_saveexec_b32 s13, s1
	s_delay_alu instid0(SALU_CYCLE_1)
	s_xor_b32 s1, exec_lo, s13
; %bb.2244:                             ;   in Loop: Header=BB415_1576 Depth=1
	v_bfe_u32 v5, v4, 16, 1
	s_delay_alu instid0(VALU_DEP_1)
	v_add3_u32 v178, v4, v5, 0x7fff
                                        ; implicit-def: $vgpr4
; %bb.2245:                             ;   in Loop: Header=BB415_1576 Depth=1
	s_and_not1_saveexec_b32 s13, s1
; %bb.2246:                             ;   in Loop: Header=BB415_1576 Depth=1
	v_and_b32_e32 v5, 0xffff, v4
	v_or_b32_e32 v7, 0x10000, v4
	s_delay_alu instid0(VALU_DEP_2) | instskip(NEXT) | instid1(VALU_DEP_1)
	v_cmp_eq_u32_e64 s1, 0, v5
	v_cndmask_b32_e64 v178, v7, v4, s1
; %bb.2247:                             ;   in Loop: Header=BB415_1576 Depth=1
	s_or_b32 exec_lo, exec_lo, s13
	v_lshlrev_b32_e32 v4, 16, v6
                                        ; implicit-def: $vgpr179
	s_delay_alu instid0(VALU_DEP_1) | instskip(NEXT) | instid1(VALU_DEP_1)
	v_mul_f32_e32 v4, v115, v4
	v_and_b32_e32 v5, 0x7f800000, v4
	s_delay_alu instid0(VALU_DEP_1) | instskip(NEXT) | instid1(VALU_DEP_1)
	v_cmp_ne_u32_e64 s1, 0x7f800000, v5
	s_and_saveexec_b32 s13, s1
	s_delay_alu instid0(SALU_CYCLE_1)
	s_xor_b32 s1, exec_lo, s13
; %bb.2248:                             ;   in Loop: Header=BB415_1576 Depth=1
	v_bfe_u32 v5, v4, 16, 1
	s_delay_alu instid0(VALU_DEP_1)
	v_add3_u32 v179, v4, v5, 0x7fff
                                        ; implicit-def: $vgpr4
; %bb.2249:                             ;   in Loop: Header=BB415_1576 Depth=1
	s_and_not1_saveexec_b32 s13, s1
; %bb.2250:                             ;   in Loop: Header=BB415_1576 Depth=1
	v_and_b32_e32 v5, 0xffff, v4
	v_or_b32_e32 v6, 0x10000, v4
	s_delay_alu instid0(VALU_DEP_2) | instskip(NEXT) | instid1(VALU_DEP_1)
	v_cmp_eq_u32_e64 s1, 0, v5
	v_cndmask_b32_e64 v179, v6, v4, s1
; %bb.2251:                             ;   in Loop: Header=BB415_1576 Depth=1
	s_or_b32 exec_lo, exec_lo, s13
	v_lshlrev_b32_e32 v3, 16, v3
                                        ; implicit-def: $vgpr180
	s_delay_alu instid0(VALU_DEP_1) | instskip(NEXT) | instid1(VALU_DEP_1)
	v_mul_f32_e32 v3, v116, v3
	v_and_b32_e32 v4, 0x7f800000, v3
	s_delay_alu instid0(VALU_DEP_1) | instskip(NEXT) | instid1(VALU_DEP_1)
	v_cmp_ne_u32_e64 s1, 0x7f800000, v4
	s_and_saveexec_b32 s13, s1
	s_delay_alu instid0(SALU_CYCLE_1)
	s_xor_b32 s1, exec_lo, s13
; %bb.2252:                             ;   in Loop: Header=BB415_1576 Depth=1
	v_bfe_u32 v4, v3, 16, 1
	s_delay_alu instid0(VALU_DEP_1)
	v_add3_u32 v180, v3, v4, 0x7fff
                                        ; implicit-def: $vgpr3
; %bb.2253:                             ;   in Loop: Header=BB415_1576 Depth=1
	s_and_not1_saveexec_b32 s13, s1
; %bb.2254:                             ;   in Loop: Header=BB415_1576 Depth=1
	v_and_b32_e32 v4, 0xffff, v3
	v_or_b32_e32 v5, 0x10000, v3
	s_delay_alu instid0(VALU_DEP_2) | instskip(NEXT) | instid1(VALU_DEP_1)
	v_cmp_eq_u32_e64 s1, 0, v4
	v_cndmask_b32_e64 v180, v5, v3, s1
; %bb.2255:                             ;   in Loop: Header=BB415_1576 Depth=1
	s_or_b32 exec_lo, exec_lo, s13
	v_lshlrev_b32_e32 v2, 16, v2
                                        ; implicit-def: $vgpr181
	s_delay_alu instid0(VALU_DEP_1) | instskip(NEXT) | instid1(VALU_DEP_1)
	v_mul_f32_e32 v2, v117, v2
	v_and_b32_e32 v3, 0x7f800000, v2
	s_delay_alu instid0(VALU_DEP_1) | instskip(NEXT) | instid1(VALU_DEP_1)
	v_cmp_ne_u32_e64 s1, 0x7f800000, v3
	s_and_saveexec_b32 s13, s1
	s_delay_alu instid0(SALU_CYCLE_1)
	s_xor_b32 s1, exec_lo, s13
; %bb.2256:                             ;   in Loop: Header=BB415_1576 Depth=1
	v_bfe_u32 v3, v2, 16, 1
	s_delay_alu instid0(VALU_DEP_1)
	v_add3_u32 v181, v2, v3, 0x7fff
                                        ; implicit-def: $vgpr2
; %bb.2257:                             ;   in Loop: Header=BB415_1576 Depth=1
	s_and_not1_saveexec_b32 s13, s1
; %bb.2258:                             ;   in Loop: Header=BB415_1576 Depth=1
	v_and_b32_e32 v3, 0xffff, v2
	v_or_b32_e32 v4, 0x10000, v2
	s_delay_alu instid0(VALU_DEP_2) | instskip(NEXT) | instid1(VALU_DEP_1)
	v_cmp_eq_u32_e64 s1, 0, v3
	v_cndmask_b32_e64 v181, v4, v2, s1
; %bb.2259:                             ;   in Loop: Header=BB415_1576 Depth=1
	s_or_b32 exec_lo, exec_lo, s13
	flat_load_b64 v[2:3], v[0:1] offset:1280
	s_mov_b32 s13, exec_lo
	s_waitcnt vmcnt(0) lgkmcnt(0)
	v_dual_mov_b32 v4, 0 :: v_dual_and_b32 v5, 0xff, v2
	s_delay_alu instid0(VALU_DEP_1)
	v_cmpx_ne_u16_e32 0, v5
	s_cbranch_execz .LBB415_2267
; %bb.2260:                             ;   in Loop: Header=BB415_1576 Depth=1
	v_bfrev_b32_e32 v4, 1
	s_mov_b32 s15, exec_lo
	v_cmpx_ne_u16_e32 0x80, v5
	s_cbranch_execz .LBB415_2266
; %bb.2261:                             ;   in Loop: Header=BB415_1576 Depth=1
	v_and_b32_e32 v5, 0x7f, v2
	v_mov_b32_e32 v4, 0x7f800001
	s_mov_b32 s16, exec_lo
	s_delay_alu instid0(VALU_DEP_2)
	v_cmpx_ne_u32_e32 0x7f, v5
	s_cbranch_execz .LBB415_2265
; %bb.2262:                             ;   in Loop: Header=BB415_1576 Depth=1
	v_lshrrev_b32_e32 v4, 3, v5
	v_dual_mov_b32 v7, v3 :: v_dual_mov_b32 v6, v2
	s_mov_b32 s17, exec_lo
	v_cmpx_gt_u32_e32 8, v5
; %bb.2263:                             ;   in Loop: Header=BB415_1576 Depth=1
	v_and_b32_e32 v4, 7, v2
	s_delay_alu instid0(VALU_DEP_1) | instskip(NEXT) | instid1(VALU_DEP_1)
	v_clz_i32_u32_e32 v4, v4
	v_min_u32_e32 v4, 32, v4
	s_delay_alu instid0(VALU_DEP_1) | instskip(SKIP_1) | instid1(VALU_DEP_2)
	v_subrev_nc_u32_e32 v5, 28, v4
	v_sub_nc_u32_e32 v4, 29, v4
	v_lshlrev_b64 v[6:7], v5, v[2:3]
; %bb.2264:                             ;   in Loop: Header=BB415_1576 Depth=1
	s_or_b32 exec_lo, exec_lo, s17
	s_delay_alu instid0(VALU_DEP_1) | instskip(SKIP_2) | instid1(VALU_DEP_3)
	v_lshlrev_b32_e32 v5, 20, v6
	v_lshlrev_b32_e32 v6, 24, v2
	v_lshl_add_u32 v4, v4, 23, 0x3c000000
	v_and_b32_e32 v5, 0x700000, v5
	s_delay_alu instid0(VALU_DEP_3) | instskip(NEXT) | instid1(VALU_DEP_1)
	v_and_b32_e32 v6, 0x80000000, v6
	v_or3_b32 v4, v5, v6, v4
.LBB415_2265:                           ;   in Loop: Header=BB415_1576 Depth=1
	s_or_b32 exec_lo, exec_lo, s16
.LBB415_2266:                           ;   in Loop: Header=BB415_1576 Depth=1
	s_delay_alu instid0(SALU_CYCLE_1)
	s_or_b32 exec_lo, exec_lo, s15
.LBB415_2267:                           ;   in Loop: Header=BB415_1576 Depth=1
	s_delay_alu instid0(SALU_CYCLE_1) | instskip(NEXT) | instid1(VALU_DEP_1)
	s_or_b32 exec_lo, exec_lo, s13
	v_mul_f32_e32 v5, v8, v4
	s_delay_alu instid0(VALU_DEP_1) | instskip(NEXT) | instid1(VALU_DEP_1)
	v_and_b32_e32 v4, 0x7f800000, v5
	v_cmp_ne_u32_e64 s1, 0x7f800000, v4
                                        ; implicit-def: $vgpr4
	s_delay_alu instid0(VALU_DEP_1) | instskip(NEXT) | instid1(SALU_CYCLE_1)
	s_and_saveexec_b32 s13, s1
	s_xor_b32 s1, exec_lo, s13
; %bb.2268:                             ;   in Loop: Header=BB415_1576 Depth=1
	v_bfe_u32 v4, v5, 16, 1
	s_delay_alu instid0(VALU_DEP_1)
	v_add3_u32 v4, v5, v4, 0x7fff
                                        ; implicit-def: $vgpr5
; %bb.2269:                             ;   in Loop: Header=BB415_1576 Depth=1
	s_and_not1_saveexec_b32 s13, s1
; %bb.2270:                             ;   in Loop: Header=BB415_1576 Depth=1
	v_and_b32_e32 v4, 0xffff, v5
	v_or_b32_e32 v6, 0x10000, v5
	s_delay_alu instid0(VALU_DEP_2) | instskip(NEXT) | instid1(VALU_DEP_1)
	v_cmp_eq_u32_e64 s1, 0, v4
	v_cndmask_b32_e64 v4, v6, v5, s1
; %bb.2271:                             ;   in Loop: Header=BB415_1576 Depth=1
	s_or_b32 exec_lo, exec_lo, s13
	v_lshrrev_b16 v6, 8, v2
	v_mov_b32_e32 v5, 0
	s_mov_b32 s13, exec_lo
	s_delay_alu instid0(VALU_DEP_2)
	v_cmpx_ne_u16_e32 0, v6
	s_cbranch_execz .LBB415_2279
; %bb.2272:                             ;   in Loop: Header=BB415_1576 Depth=1
	v_bfrev_b32_e32 v5, 1
	s_mov_b32 s15, exec_lo
	v_cmpx_ne_u16_e32 0x80, v6
	s_cbranch_execz .LBB415_2278
; %bb.2273:                             ;   in Loop: Header=BB415_1576 Depth=1
	v_and_b32_e32 v7, 0xffff, v6
	v_mov_b32_e32 v5, 0x7f800001
	s_mov_b32 s16, exec_lo
	s_delay_alu instid0(VALU_DEP_2) | instskip(NEXT) | instid1(VALU_DEP_1)
	v_and_b32_e32 v6, 0x7f, v7
	v_cmpx_ne_u32_e32 0x7f, v6
	s_cbranch_execz .LBB415_2277
; %bb.2274:                             ;   in Loop: Header=BB415_1576 Depth=1
	v_and_b32_e32 v9, 7, v7
	v_lshrrev_b32_e32 v5, 3, v6
	v_cmp_gt_u32_e64 s1, 8, v6
	s_delay_alu instid0(VALU_DEP_3) | instskip(NEXT) | instid1(VALU_DEP_2)
	v_dual_mov_b32 v6, v9 :: v_dual_mov_b32 v7, v10
	s_and_saveexec_b32 s17, s1
; %bb.2275:                             ;   in Loop: Header=BB415_1576 Depth=1
	v_clz_i32_u32_e32 v5, v9
	s_delay_alu instid0(VALU_DEP_1) | instskip(NEXT) | instid1(VALU_DEP_1)
	v_min_u32_e32 v5, 32, v5
	v_subrev_nc_u32_e32 v6, 28, v5
	v_sub_nc_u32_e32 v5, 29, v5
	s_delay_alu instid0(VALU_DEP_2) | instskip(NEXT) | instid1(VALU_DEP_1)
	v_lshlrev_b64 v[6:7], v6, v[9:10]
	v_and_b32_e32 v6, 7, v6
; %bb.2276:                             ;   in Loop: Header=BB415_1576 Depth=1
	s_or_b32 exec_lo, exec_lo, s17
	v_lshlrev_b32_e32 v7, 16, v2
	s_delay_alu instid0(VALU_DEP_2) | instskip(SKIP_1) | instid1(VALU_DEP_3)
	v_lshlrev_b32_e32 v6, 20, v6
	v_lshl_add_u32 v5, v5, 23, 0x3c000000
	v_and_b32_e32 v7, 0x80000000, v7
	s_delay_alu instid0(VALU_DEP_1)
	v_or3_b32 v5, v6, v7, v5
.LBB415_2277:                           ;   in Loop: Header=BB415_1576 Depth=1
	s_or_b32 exec_lo, exec_lo, s16
.LBB415_2278:                           ;   in Loop: Header=BB415_1576 Depth=1
	s_delay_alu instid0(SALU_CYCLE_1)
	s_or_b32 exec_lo, exec_lo, s15
.LBB415_2279:                           ;   in Loop: Header=BB415_1576 Depth=1
	s_delay_alu instid0(SALU_CYCLE_1) | instskip(NEXT) | instid1(VALU_DEP_1)
	s_or_b32 exec_lo, exec_lo, s13
	v_mul_f32_e32 v6, v8, v5
	s_delay_alu instid0(VALU_DEP_1) | instskip(NEXT) | instid1(VALU_DEP_1)
	v_and_b32_e32 v5, 0x7f800000, v6
	v_cmp_ne_u32_e64 s1, 0x7f800000, v5
                                        ; implicit-def: $vgpr5
	s_delay_alu instid0(VALU_DEP_1) | instskip(NEXT) | instid1(SALU_CYCLE_1)
	s_and_saveexec_b32 s13, s1
	s_xor_b32 s1, exec_lo, s13
; %bb.2280:                             ;   in Loop: Header=BB415_1576 Depth=1
	v_bfe_u32 v5, v6, 16, 1
	s_delay_alu instid0(VALU_DEP_1)
	v_add3_u32 v5, v6, v5, 0x7fff
                                        ; implicit-def: $vgpr6
; %bb.2281:                             ;   in Loop: Header=BB415_1576 Depth=1
	s_and_not1_saveexec_b32 s13, s1
; %bb.2282:                             ;   in Loop: Header=BB415_1576 Depth=1
	v_and_b32_e32 v5, 0xffff, v6
	v_or_b32_e32 v7, 0x10000, v6
	s_delay_alu instid0(VALU_DEP_2) | instskip(NEXT) | instid1(VALU_DEP_1)
	v_cmp_eq_u32_e64 s1, 0, v5
	v_cndmask_b32_e64 v5, v7, v6, s1
; %bb.2283:                             ;   in Loop: Header=BB415_1576 Depth=1
	s_or_b32 exec_lo, exec_lo, s13
	v_lshrrev_b32_e32 v21, 16, v2
	s_mov_b32 s13, exec_lo
	s_delay_alu instid0(VALU_DEP_1) | instskip(NEXT) | instid1(VALU_DEP_1)
	v_dual_mov_b32 v6, 0 :: v_dual_and_b32 v7, 0xff, v21
	v_cmpx_ne_u16_e32 0, v7
	s_cbranch_execz .LBB415_2291
; %bb.2284:                             ;   in Loop: Header=BB415_1576 Depth=1
	v_bfrev_b32_e32 v6, 1
	s_mov_b32 s15, exec_lo
	v_cmpx_ne_u16_e32 0x80, v7
	s_cbranch_execz .LBB415_2290
; %bb.2285:                             ;   in Loop: Header=BB415_1576 Depth=1
	v_bfe_u32 v7, v2, 16, 7
	v_mov_b32_e32 v6, 0x7f800001
	s_mov_b32 s16, exec_lo
	s_delay_alu instid0(VALU_DEP_2)
	v_cmpx_ne_u32_e32 0x7f, v7
	s_cbranch_execz .LBB415_2289
; %bb.2286:                             ;   in Loop: Header=BB415_1576 Depth=1
	v_and_b32_e32 v9, 7, v21
	v_lshrrev_b32_e32 v39, 3, v7
	v_cmp_gt_u32_e64 s1, 8, v7
	s_delay_alu instid0(VALU_DEP_3) | instskip(NEXT) | instid1(VALU_DEP_2)
	v_dual_mov_b32 v6, v9 :: v_dual_mov_b32 v7, v10
	s_and_saveexec_b32 s17, s1
; %bb.2287:                             ;   in Loop: Header=BB415_1576 Depth=1
	v_clz_i32_u32_e32 v6, v9
	s_delay_alu instid0(VALU_DEP_1) | instskip(NEXT) | instid1(VALU_DEP_1)
	v_min_u32_e32 v20, 32, v6
	v_subrev_nc_u32_e32 v6, 28, v20
	v_sub_nc_u32_e32 v39, 29, v20
	s_delay_alu instid0(VALU_DEP_2) | instskip(NEXT) | instid1(VALU_DEP_1)
	v_lshlrev_b64 v[6:7], v6, v[9:10]
	v_and_b32_e32 v6, 7, v6
; %bb.2288:                             ;   in Loop: Header=BB415_1576 Depth=1
	s_or_b32 exec_lo, exec_lo, s17
	v_lshlrev_b32_e32 v7, 24, v21
	s_delay_alu instid0(VALU_DEP_2) | instskip(SKIP_1) | instid1(VALU_DEP_3)
	v_lshlrev_b32_e32 v6, 20, v6
	v_lshl_add_u32 v9, v39, 23, 0x3c000000
	v_and_b32_e32 v7, 0x80000000, v7
	s_delay_alu instid0(VALU_DEP_1)
	v_or3_b32 v6, v6, v7, v9
.LBB415_2289:                           ;   in Loop: Header=BB415_1576 Depth=1
	s_or_b32 exec_lo, exec_lo, s16
.LBB415_2290:                           ;   in Loop: Header=BB415_1576 Depth=1
	s_delay_alu instid0(SALU_CYCLE_1)
	s_or_b32 exec_lo, exec_lo, s15
.LBB415_2291:                           ;   in Loop: Header=BB415_1576 Depth=1
	s_delay_alu instid0(SALU_CYCLE_1) | instskip(NEXT) | instid1(VALU_DEP_1)
	s_or_b32 exec_lo, exec_lo, s13
	v_mul_f32_e32 v6, v8, v6
                                        ; implicit-def: $vgpr21
	s_delay_alu instid0(VALU_DEP_1) | instskip(NEXT) | instid1(VALU_DEP_1)
	v_and_b32_e32 v7, 0x7f800000, v6
	v_cmp_ne_u32_e64 s1, 0x7f800000, v7
	s_delay_alu instid0(VALU_DEP_1) | instskip(NEXT) | instid1(SALU_CYCLE_1)
	s_and_saveexec_b32 s13, s1
	s_xor_b32 s1, exec_lo, s13
; %bb.2292:                             ;   in Loop: Header=BB415_1576 Depth=1
	v_bfe_u32 v7, v6, 16, 1
	s_delay_alu instid0(VALU_DEP_1)
	v_add3_u32 v21, v6, v7, 0x7fff
                                        ; implicit-def: $vgpr6
; %bb.2293:                             ;   in Loop: Header=BB415_1576 Depth=1
	s_and_not1_saveexec_b32 s13, s1
; %bb.2294:                             ;   in Loop: Header=BB415_1576 Depth=1
	v_and_b32_e32 v7, 0xffff, v6
	v_or_b32_e32 v9, 0x10000, v6
	s_delay_alu instid0(VALU_DEP_2) | instskip(NEXT) | instid1(VALU_DEP_1)
	v_cmp_eq_u32_e64 s1, 0, v7
	v_cndmask_b32_e64 v21, v9, v6, s1
; %bb.2295:                             ;   in Loop: Header=BB415_1576 Depth=1
	s_or_b32 exec_lo, exec_lo, s13
	v_mov_b32_e32 v6, 0
	s_mov_b32 s13, exec_lo
	v_cmpx_lt_u32_e32 0xffffff, v2
	s_cbranch_execz .LBB415_2303
; %bb.2296:                             ;   in Loop: Header=BB415_1576 Depth=1
	v_lshrrev_b32_e32 v39, 24, v2
	v_bfrev_b32_e32 v6, 1
	s_mov_b32 s15, exec_lo
	s_delay_alu instid0(VALU_DEP_2)
	v_cmpx_ne_u32_e32 0x80, v39
	s_cbranch_execz .LBB415_2302
; %bb.2297:                             ;   in Loop: Header=BB415_1576 Depth=1
	v_bfe_u32 v7, v2, 24, 7
	v_mov_b32_e32 v6, 0x7f800001
	s_mov_b32 s16, exec_lo
	s_delay_alu instid0(VALU_DEP_2)
	v_cmpx_ne_u32_e32 0x7f, v7
	s_cbranch_execz .LBB415_2301
; %bb.2298:                             ;   in Loop: Header=BB415_1576 Depth=1
	v_and_b32_e32 v9, 7, v39
	v_lshrrev_b32_e32 v84, 3, v7
	v_cmp_gt_u32_e64 s1, 8, v7
	s_delay_alu instid0(VALU_DEP_3) | instskip(NEXT) | instid1(VALU_DEP_2)
	v_dual_mov_b32 v6, v9 :: v_dual_mov_b32 v7, v10
	s_and_saveexec_b32 s17, s1
; %bb.2299:                             ;   in Loop: Header=BB415_1576 Depth=1
	v_clz_i32_u32_e32 v6, v9
	s_delay_alu instid0(VALU_DEP_1) | instskip(NEXT) | instid1(VALU_DEP_1)
	v_min_u32_e32 v20, 32, v6
	v_subrev_nc_u32_e32 v6, 28, v20
	v_sub_nc_u32_e32 v84, 29, v20
	s_delay_alu instid0(VALU_DEP_2) | instskip(NEXT) | instid1(VALU_DEP_1)
	v_lshlrev_b64 v[6:7], v6, v[9:10]
	v_and_b32_e32 v6, 7, v6
; %bb.2300:                             ;   in Loop: Header=BB415_1576 Depth=1
	s_or_b32 exec_lo, exec_lo, s17
	v_lshlrev_b32_e32 v7, 24, v39
	s_delay_alu instid0(VALU_DEP_2) | instskip(SKIP_1) | instid1(VALU_DEP_3)
	v_lshlrev_b32_e32 v6, 20, v6
	v_lshl_add_u32 v9, v84, 23, 0x3c000000
	v_and_b32_e32 v7, 0x80000000, v7
	s_delay_alu instid0(VALU_DEP_1)
	v_or3_b32 v6, v6, v7, v9
.LBB415_2301:                           ;   in Loop: Header=BB415_1576 Depth=1
	s_or_b32 exec_lo, exec_lo, s16
.LBB415_2302:                           ;   in Loop: Header=BB415_1576 Depth=1
	s_delay_alu instid0(SALU_CYCLE_1)
	s_or_b32 exec_lo, exec_lo, s15
.LBB415_2303:                           ;   in Loop: Header=BB415_1576 Depth=1
	s_delay_alu instid0(SALU_CYCLE_1) | instskip(NEXT) | instid1(VALU_DEP_1)
	s_or_b32 exec_lo, exec_lo, s13
	v_mul_f32_e32 v6, v8, v6
                                        ; implicit-def: $vgpr39
	s_delay_alu instid0(VALU_DEP_1) | instskip(NEXT) | instid1(VALU_DEP_1)
	v_and_b32_e32 v7, 0x7f800000, v6
	v_cmp_ne_u32_e64 s1, 0x7f800000, v7
	s_delay_alu instid0(VALU_DEP_1) | instskip(NEXT) | instid1(SALU_CYCLE_1)
	s_and_saveexec_b32 s13, s1
	s_xor_b32 s1, exec_lo, s13
; %bb.2304:                             ;   in Loop: Header=BB415_1576 Depth=1
	v_bfe_u32 v7, v6, 16, 1
	s_delay_alu instid0(VALU_DEP_1)
	v_add3_u32 v39, v6, v7, 0x7fff
                                        ; implicit-def: $vgpr6
; %bb.2305:                             ;   in Loop: Header=BB415_1576 Depth=1
	s_and_not1_saveexec_b32 s13, s1
; %bb.2306:                             ;   in Loop: Header=BB415_1576 Depth=1
	v_and_b32_e32 v7, 0xffff, v6
	v_or_b32_e32 v9, 0x10000, v6
	s_delay_alu instid0(VALU_DEP_2) | instskip(NEXT) | instid1(VALU_DEP_1)
	v_cmp_eq_u32_e64 s1, 0, v7
	v_cndmask_b32_e64 v39, v9, v6, s1
; %bb.2307:                             ;   in Loop: Header=BB415_1576 Depth=1
	s_or_b32 exec_lo, exec_lo, s13
	v_dual_mov_b32 v6, 0 :: v_dual_and_b32 v7, 0xff, v3
	v_mov_b32_e32 v9, v3
	s_mov_b32 s13, exec_lo
	s_delay_alu instid0(VALU_DEP_2)
	v_cmpx_ne_u16_e32 0, v7
	s_cbranch_execz .LBB415_2315
; %bb.2308:                             ;   in Loop: Header=BB415_1576 Depth=1
	v_bfrev_b32_e32 v6, 1
	s_mov_b32 s15, exec_lo
	v_cmpx_ne_u16_e32 0x80, v7
	s_cbranch_execz .LBB415_2314
; %bb.2309:                             ;   in Loop: Header=BB415_1576 Depth=1
	v_and_b32_e32 v7, 0x7f, v3
	v_mov_b32_e32 v6, 0x7f800001
	s_mov_b32 s16, exec_lo
	s_delay_alu instid0(VALU_DEP_2)
	v_cmpx_ne_u32_e32 0x7f, v7
	s_cbranch_execz .LBB415_2313
; %bb.2310:                             ;   in Loop: Header=BB415_1576 Depth=1
	v_lshrrev_b32_e32 v84, 3, v7
	v_cmp_gt_u32_e64 s1, 8, v7
	v_dual_mov_b32 v6, v9 :: v_dual_mov_b32 v7, v10
	s_delay_alu instid0(VALU_DEP_2)
	s_and_saveexec_b32 s17, s1
; %bb.2311:                             ;   in Loop: Header=BB415_1576 Depth=1
	v_and_b32_e32 v6, 7, v3
	s_delay_alu instid0(VALU_DEP_1) | instskip(NEXT) | instid1(VALU_DEP_1)
	v_clz_i32_u32_e32 v6, v6
	v_min_u32_e32 v20, 32, v6
	s_delay_alu instid0(VALU_DEP_1) | instskip(SKIP_1) | instid1(VALU_DEP_2)
	v_subrev_nc_u32_e32 v6, 28, v20
	v_sub_nc_u32_e32 v84, 29, v20
	v_lshlrev_b64 v[6:7], v6, v[9:10]
; %bb.2312:                             ;   in Loop: Header=BB415_1576 Depth=1
	s_or_b32 exec_lo, exec_lo, s17
	s_delay_alu instid0(VALU_DEP_1) | instskip(SKIP_2) | instid1(VALU_DEP_3)
	v_lshlrev_b32_e32 v6, 20, v6
	v_lshlrev_b32_e32 v7, 24, v9
	v_lshl_add_u32 v20, v84, 23, 0x3c000000
	v_and_b32_e32 v6, 0x700000, v6
	s_delay_alu instid0(VALU_DEP_3) | instskip(NEXT) | instid1(VALU_DEP_1)
	v_and_b32_e32 v7, 0x80000000, v7
	v_or3_b32 v6, v6, v7, v20
.LBB415_2313:                           ;   in Loop: Header=BB415_1576 Depth=1
	s_or_b32 exec_lo, exec_lo, s16
.LBB415_2314:                           ;   in Loop: Header=BB415_1576 Depth=1
	s_delay_alu instid0(SALU_CYCLE_1)
	s_or_b32 exec_lo, exec_lo, s15
.LBB415_2315:                           ;   in Loop: Header=BB415_1576 Depth=1
	s_delay_alu instid0(SALU_CYCLE_1) | instskip(NEXT) | instid1(VALU_DEP_1)
	s_or_b32 exec_lo, exec_lo, s13
	v_mul_f32_e32 v6, v8, v6
                                        ; implicit-def: $vgpr84
	s_delay_alu instid0(VALU_DEP_1) | instskip(NEXT) | instid1(VALU_DEP_1)
	v_and_b32_e32 v7, 0x7f800000, v6
	v_cmp_ne_u32_e64 s1, 0x7f800000, v7
	s_delay_alu instid0(VALU_DEP_1) | instskip(NEXT) | instid1(SALU_CYCLE_1)
	s_and_saveexec_b32 s13, s1
	s_xor_b32 s1, exec_lo, s13
; %bb.2316:                             ;   in Loop: Header=BB415_1576 Depth=1
	v_bfe_u32 v7, v6, 16, 1
	s_delay_alu instid0(VALU_DEP_1)
	v_add3_u32 v84, v6, v7, 0x7fff
                                        ; implicit-def: $vgpr6
; %bb.2317:                             ;   in Loop: Header=BB415_1576 Depth=1
	s_and_not1_saveexec_b32 s13, s1
; %bb.2318:                             ;   in Loop: Header=BB415_1576 Depth=1
	v_and_b32_e32 v7, 0xffff, v6
	v_or_b32_e32 v20, 0x10000, v6
	s_delay_alu instid0(VALU_DEP_2) | instskip(NEXT) | instid1(VALU_DEP_1)
	v_cmp_eq_u32_e64 s1, 0, v7
	v_cndmask_b32_e64 v84, v20, v6, s1
; %bb.2319:                             ;   in Loop: Header=BB415_1576 Depth=1
	s_or_b32 exec_lo, exec_lo, s13
	v_lshrrev_b16 v7, 8, v9
	v_mov_b32_e32 v6, 0
	s_mov_b32 s13, exec_lo
	s_delay_alu instid0(VALU_DEP_2)
	v_cmpx_ne_u16_e32 0, v7
	s_cbranch_execz .LBB415_2327
; %bb.2320:                             ;   in Loop: Header=BB415_1576 Depth=1
	v_bfrev_b32_e32 v6, 1
	s_mov_b32 s15, exec_lo
	v_cmpx_ne_u16_e32 0x80, v7
	s_cbranch_execz .LBB415_2326
; %bb.2321:                             ;   in Loop: Header=BB415_1576 Depth=1
	v_and_b32_e32 v7, 0xffff, v7
	v_mov_b32_e32 v6, 0x7f800001
	s_mov_b32 s16, exec_lo
	s_delay_alu instid0(VALU_DEP_2) | instskip(NEXT) | instid1(VALU_DEP_1)
	v_and_b32_e32 v182, 0x7f, v7
	v_cmpx_ne_u32_e32 0x7f, v182
	s_cbranch_execz .LBB415_2325
; %bb.2322:                             ;   in Loop: Header=BB415_1576 Depth=1
	v_dual_mov_b32 v7, v10 :: v_dual_and_b32 v6, 7, v7
	v_lshrrev_b32_e32 v85, 3, v182
	s_mov_b32 s17, exec_lo
	v_cmpx_gt_u32_e32 8, v182
; %bb.2323:                             ;   in Loop: Header=BB415_1576 Depth=1
	s_delay_alu instid0(VALU_DEP_3) | instskip(NEXT) | instid1(VALU_DEP_1)
	v_clz_i32_u32_e32 v20, v6
	v_min_u32_e32 v20, 32, v20
	s_delay_alu instid0(VALU_DEP_1) | instskip(SKIP_1) | instid1(VALU_DEP_2)
	v_subrev_nc_u32_e32 v22, 28, v20
	v_sub_nc_u32_e32 v85, 29, v20
	v_lshlrev_b64 v[6:7], v22, v[6:7]
	s_delay_alu instid0(VALU_DEP_1)
	v_and_b32_e32 v6, 7, v6
; %bb.2324:                             ;   in Loop: Header=BB415_1576 Depth=1
	s_or_b32 exec_lo, exec_lo, s17
	v_lshlrev_b32_e32 v7, 16, v9
	s_delay_alu instid0(VALU_DEP_2) | instskip(SKIP_1) | instid1(VALU_DEP_3)
	v_lshlrev_b32_e32 v6, 20, v6
	v_lshl_add_u32 v9, v85, 23, 0x3c000000
	v_and_b32_e32 v7, 0x80000000, v7
	s_delay_alu instid0(VALU_DEP_1)
	v_or3_b32 v6, v6, v7, v9
.LBB415_2325:                           ;   in Loop: Header=BB415_1576 Depth=1
	s_or_b32 exec_lo, exec_lo, s16
.LBB415_2326:                           ;   in Loop: Header=BB415_1576 Depth=1
	s_delay_alu instid0(SALU_CYCLE_1)
	s_or_b32 exec_lo, exec_lo, s15
.LBB415_2327:                           ;   in Loop: Header=BB415_1576 Depth=1
	s_delay_alu instid0(SALU_CYCLE_1) | instskip(NEXT) | instid1(VALU_DEP_1)
	s_or_b32 exec_lo, exec_lo, s13
	v_mul_f32_e32 v6, v8, v6
                                        ; implicit-def: $vgpr85
	s_delay_alu instid0(VALU_DEP_1) | instskip(NEXT) | instid1(VALU_DEP_1)
	v_and_b32_e32 v7, 0x7f800000, v6
	v_cmp_ne_u32_e64 s1, 0x7f800000, v7
	s_delay_alu instid0(VALU_DEP_1) | instskip(NEXT) | instid1(SALU_CYCLE_1)
	s_and_saveexec_b32 s13, s1
	s_xor_b32 s1, exec_lo, s13
; %bb.2328:                             ;   in Loop: Header=BB415_1576 Depth=1
	v_bfe_u32 v7, v6, 16, 1
	s_delay_alu instid0(VALU_DEP_1)
	v_add3_u32 v85, v6, v7, 0x7fff
                                        ; implicit-def: $vgpr6
; %bb.2329:                             ;   in Loop: Header=BB415_1576 Depth=1
	s_and_not1_saveexec_b32 s13, s1
; %bb.2330:                             ;   in Loop: Header=BB415_1576 Depth=1
	v_and_b32_e32 v7, 0xffff, v6
	v_or_b32_e32 v9, 0x10000, v6
	s_delay_alu instid0(VALU_DEP_2) | instskip(NEXT) | instid1(VALU_DEP_1)
	v_cmp_eq_u32_e64 s1, 0, v7
	v_cndmask_b32_e64 v85, v9, v6, s1
; %bb.2331:                             ;   in Loop: Header=BB415_1576 Depth=1
	s_or_b32 exec_lo, exec_lo, s13
	v_lshrrev_b32_e32 v182, 16, v3
	s_mov_b32 s13, exec_lo
	s_delay_alu instid0(VALU_DEP_1) | instskip(NEXT) | instid1(VALU_DEP_1)
	v_dual_mov_b32 v6, 0 :: v_dual_and_b32 v7, 0xff, v182
	v_cmpx_ne_u16_e32 0, v7
	s_cbranch_execz .LBB415_2339
; %bb.2332:                             ;   in Loop: Header=BB415_1576 Depth=1
	v_bfrev_b32_e32 v6, 1
	s_mov_b32 s15, exec_lo
	v_cmpx_ne_u16_e32 0x80, v7
	s_cbranch_execz .LBB415_2338
; %bb.2333:                             ;   in Loop: Header=BB415_1576 Depth=1
	v_bfe_u32 v7, v3, 16, 7
	v_mov_b32_e32 v6, 0x7f800001
	s_mov_b32 s16, exec_lo
	s_delay_alu instid0(VALU_DEP_2)
	v_cmpx_ne_u32_e32 0x7f, v7
	s_cbranch_execz .LBB415_2337
; %bb.2334:                             ;   in Loop: Header=BB415_1576 Depth=1
	v_and_b32_e32 v9, 7, v182
	v_lshrrev_b32_e32 v183, 3, v7
	v_cmp_gt_u32_e64 s1, 8, v7
	s_delay_alu instid0(VALU_DEP_3) | instskip(NEXT) | instid1(VALU_DEP_2)
	v_dual_mov_b32 v6, v9 :: v_dual_mov_b32 v7, v10
	s_and_saveexec_b32 s17, s1
; %bb.2335:                             ;   in Loop: Header=BB415_1576 Depth=1
	v_clz_i32_u32_e32 v6, v9
	s_delay_alu instid0(VALU_DEP_1) | instskip(NEXT) | instid1(VALU_DEP_1)
	v_min_u32_e32 v20, 32, v6
	v_subrev_nc_u32_e32 v6, 28, v20
	v_sub_nc_u32_e32 v183, 29, v20
	s_delay_alu instid0(VALU_DEP_2) | instskip(NEXT) | instid1(VALU_DEP_1)
	v_lshlrev_b64 v[6:7], v6, v[9:10]
	v_and_b32_e32 v6, 7, v6
; %bb.2336:                             ;   in Loop: Header=BB415_1576 Depth=1
	s_or_b32 exec_lo, exec_lo, s17
	v_lshlrev_b32_e32 v7, 24, v182
	s_delay_alu instid0(VALU_DEP_2) | instskip(SKIP_1) | instid1(VALU_DEP_3)
	v_lshlrev_b32_e32 v6, 20, v6
	v_lshl_add_u32 v9, v183, 23, 0x3c000000
	v_and_b32_e32 v7, 0x80000000, v7
	s_delay_alu instid0(VALU_DEP_1)
	v_or3_b32 v6, v6, v7, v9
.LBB415_2337:                           ;   in Loop: Header=BB415_1576 Depth=1
	s_or_b32 exec_lo, exec_lo, s16
.LBB415_2338:                           ;   in Loop: Header=BB415_1576 Depth=1
	s_delay_alu instid0(SALU_CYCLE_1)
	s_or_b32 exec_lo, exec_lo, s15
.LBB415_2339:                           ;   in Loop: Header=BB415_1576 Depth=1
	s_delay_alu instid0(SALU_CYCLE_1) | instskip(NEXT) | instid1(VALU_DEP_1)
	s_or_b32 exec_lo, exec_lo, s13
	v_mul_f32_e32 v6, v8, v6
                                        ; implicit-def: $vgpr182
	s_delay_alu instid0(VALU_DEP_1) | instskip(NEXT) | instid1(VALU_DEP_1)
	v_and_b32_e32 v7, 0x7f800000, v6
	v_cmp_ne_u32_e64 s1, 0x7f800000, v7
	s_delay_alu instid0(VALU_DEP_1) | instskip(NEXT) | instid1(SALU_CYCLE_1)
	s_and_saveexec_b32 s13, s1
	s_xor_b32 s1, exec_lo, s13
; %bb.2340:                             ;   in Loop: Header=BB415_1576 Depth=1
	v_bfe_u32 v7, v6, 16, 1
	s_delay_alu instid0(VALU_DEP_1)
	v_add3_u32 v182, v6, v7, 0x7fff
                                        ; implicit-def: $vgpr6
; %bb.2341:                             ;   in Loop: Header=BB415_1576 Depth=1
	s_and_not1_saveexec_b32 s13, s1
; %bb.2342:                             ;   in Loop: Header=BB415_1576 Depth=1
	v_and_b32_e32 v7, 0xffff, v6
	v_or_b32_e32 v9, 0x10000, v6
	s_delay_alu instid0(VALU_DEP_2) | instskip(NEXT) | instid1(VALU_DEP_1)
	v_cmp_eq_u32_e64 s1, 0, v7
	v_cndmask_b32_e64 v182, v9, v6, s1
; %bb.2343:                             ;   in Loop: Header=BB415_1576 Depth=1
	s_or_b32 exec_lo, exec_lo, s13
	v_cmp_lt_u64_e64 s1, s[4:5], v[2:3]
	v_mov_b32_e32 v2, 0
	s_delay_alu instid0(VALU_DEP_2)
	s_and_saveexec_b32 s13, s1
	s_cbranch_execz .LBB415_2351
; %bb.2344:                             ;   in Loop: Header=BB415_1576 Depth=1
	v_lshrrev_b32_e32 v6, 24, v3
	v_bfrev_b32_e32 v2, 1
	s_mov_b32 s15, exec_lo
	s_delay_alu instid0(VALU_DEP_2)
	v_cmpx_ne_u32_e32 0x80, v6
	s_cbranch_execz .LBB415_2350
; %bb.2345:                             ;   in Loop: Header=BB415_1576 Depth=1
	v_bfe_u32 v3, v3, 24, 7
	v_mov_b32_e32 v2, 0x7f800001
	s_mov_b32 s16, exec_lo
	s_delay_alu instid0(VALU_DEP_2)
	v_cmpx_ne_u32_e32 0x7f, v3
	s_cbranch_execz .LBB415_2349
; %bb.2346:                             ;   in Loop: Header=BB415_1576 Depth=1
	v_and_b32_e32 v9, 7, v6
	v_lshrrev_b32_e32 v7, 3, v3
	v_cmp_gt_u32_e64 s1, 8, v3
	s_delay_alu instid0(VALU_DEP_3) | instskip(NEXT) | instid1(VALU_DEP_2)
	v_dual_mov_b32 v2, v9 :: v_dual_mov_b32 v3, v10
	s_and_saveexec_b32 s17, s1
; %bb.2347:                             ;   in Loop: Header=BB415_1576 Depth=1
	v_clz_i32_u32_e32 v2, v9
	s_delay_alu instid0(VALU_DEP_1) | instskip(NEXT) | instid1(VALU_DEP_1)
	v_min_u32_e32 v7, 32, v2
	v_subrev_nc_u32_e32 v2, 28, v7
	v_sub_nc_u32_e32 v7, 29, v7
	s_delay_alu instid0(VALU_DEP_2) | instskip(NEXT) | instid1(VALU_DEP_1)
	v_lshlrev_b64 v[2:3], v2, v[9:10]
	v_and_b32_e32 v2, 7, v2
; %bb.2348:                             ;   in Loop: Header=BB415_1576 Depth=1
	s_or_b32 exec_lo, exec_lo, s17
	v_lshlrev_b32_e32 v3, 24, v6
	s_delay_alu instid0(VALU_DEP_2) | instskip(SKIP_1) | instid1(VALU_DEP_3)
	v_lshlrev_b32_e32 v2, 20, v2
	v_lshl_add_u32 v6, v7, 23, 0x3c000000
	v_and_b32_e32 v3, 0x80000000, v3
	s_delay_alu instid0(VALU_DEP_1)
	v_or3_b32 v2, v2, v3, v6
.LBB415_2349:                           ;   in Loop: Header=BB415_1576 Depth=1
	s_or_b32 exec_lo, exec_lo, s16
.LBB415_2350:                           ;   in Loop: Header=BB415_1576 Depth=1
	s_delay_alu instid0(SALU_CYCLE_1)
	s_or_b32 exec_lo, exec_lo, s15
.LBB415_2351:                           ;   in Loop: Header=BB415_1576 Depth=1
	s_delay_alu instid0(SALU_CYCLE_1) | instskip(NEXT) | instid1(VALU_DEP_1)
	s_or_b32 exec_lo, exec_lo, s13
	v_mul_f32_e32 v3, v8, v2
	s_delay_alu instid0(VALU_DEP_1) | instskip(NEXT) | instid1(VALU_DEP_1)
	v_and_b32_e32 v2, 0x7f800000, v3
	v_cmp_ne_u32_e64 s1, 0x7f800000, v2
                                        ; implicit-def: $vgpr2
	s_delay_alu instid0(VALU_DEP_1) | instskip(NEXT) | instid1(SALU_CYCLE_1)
	s_and_saveexec_b32 s13, s1
	s_xor_b32 s1, exec_lo, s13
; %bb.2352:                             ;   in Loop: Header=BB415_1576 Depth=1
	v_bfe_u32 v2, v3, 16, 1
	s_delay_alu instid0(VALU_DEP_1)
	v_add3_u32 v2, v3, v2, 0x7fff
                                        ; implicit-def: $vgpr3
; %bb.2353:                             ;   in Loop: Header=BB415_1576 Depth=1
	s_and_not1_saveexec_b32 s13, s1
; %bb.2354:                             ;   in Loop: Header=BB415_1576 Depth=1
	v_and_b32_e32 v2, 0xffff, v3
	v_or_b32_e32 v6, 0x10000, v3
	s_delay_alu instid0(VALU_DEP_2) | instskip(NEXT) | instid1(VALU_DEP_1)
	v_cmp_eq_u32_e64 s1, 0, v2
	v_cndmask_b32_e64 v2, v6, v3, s1
; %bb.2355:                             ;   in Loop: Header=BB415_1576 Depth=1
	s_or_b32 exec_lo, exec_lo, s13
	v_lshrrev_b32_e32 v6, 16, v85
	v_lshrrev_b32_e32 v7, 16, v84
	;; [unrolled: 1-line block ×8, first 2 shown]
	s_and_saveexec_b32 s13, vcc_lo
	s_cbranch_execz .LBB415_2357
; %bb.2356:                             ;   in Loop: Header=BB415_1576 Depth=1
	v_cmp_lt_i32_e64 s1, v70, v86
	s_delay_alu instid0(VALU_DEP_1) | instskip(SKIP_1) | instid1(VALU_DEP_1)
	v_cndmask_b32_e64 v4, 0, v4, s1
	v_cmp_lt_i32_e64 s1, v101, v86
	v_cndmask_b32_e64 v5, 0, v5, s1
	v_cmp_lt_i32_e64 s1, v100, v86
	s_delay_alu instid0(VALU_DEP_1) | instskip(SKIP_1) | instid1(VALU_DEP_1)
	v_cndmask_b32_e64 v21, 0, v21, s1
	v_cmp_lt_i32_e64 s1, v83, v86
	v_cndmask_b32_e64 v9, 0, v9, s1
	;; [unrolled: 5-line block ×4, first 2 shown]
.LBB415_2357:                           ;   in Loop: Header=BB415_1576 Depth=1
	s_or_b32 exec_lo, exec_lo, s13
	v_lshlrev_b32_e32 v4, 16, v4
                                        ; implicit-def: $vgpr182
	s_delay_alu instid0(VALU_DEP_1) | instskip(NEXT) | instid1(VALU_DEP_1)
	v_mul_f32_e32 v4, v102, v4
	v_and_b32_e32 v20, 0x7f800000, v4
	s_delay_alu instid0(VALU_DEP_1) | instskip(NEXT) | instid1(VALU_DEP_1)
	v_cmp_ne_u32_e64 s1, 0x7f800000, v20
	s_and_saveexec_b32 s13, s1
	s_delay_alu instid0(SALU_CYCLE_1)
	s_xor_b32 s1, exec_lo, s13
; %bb.2358:                             ;   in Loop: Header=BB415_1576 Depth=1
	v_bfe_u32 v20, v4, 16, 1
	s_delay_alu instid0(VALU_DEP_1)
	v_add3_u32 v182, v4, v20, 0x7fff
                                        ; implicit-def: $vgpr4
; %bb.2359:                             ;   in Loop: Header=BB415_1576 Depth=1
	s_and_not1_saveexec_b32 s13, s1
; %bb.2360:                             ;   in Loop: Header=BB415_1576 Depth=1
	v_and_b32_e32 v20, 0xffff, v4
	v_or_b32_e32 v22, 0x10000, v4
	s_delay_alu instid0(VALU_DEP_2) | instskip(NEXT) | instid1(VALU_DEP_1)
	v_cmp_eq_u32_e64 s1, 0, v20
	v_cndmask_b32_e64 v182, v22, v4, s1
; %bb.2361:                             ;   in Loop: Header=BB415_1576 Depth=1
	s_or_b32 exec_lo, exec_lo, s13
	v_lshlrev_b32_e32 v4, 16, v5
                                        ; implicit-def: $vgpr183
	s_delay_alu instid0(VALU_DEP_1) | instskip(NEXT) | instid1(VALU_DEP_1)
	v_mul_f32_e32 v4, v103, v4
	v_and_b32_e32 v5, 0x7f800000, v4
	s_delay_alu instid0(VALU_DEP_1) | instskip(NEXT) | instid1(VALU_DEP_1)
	v_cmp_ne_u32_e64 s1, 0x7f800000, v5
	s_and_saveexec_b32 s13, s1
	s_delay_alu instid0(SALU_CYCLE_1)
	s_xor_b32 s1, exec_lo, s13
; %bb.2362:                             ;   in Loop: Header=BB415_1576 Depth=1
	v_bfe_u32 v5, v4, 16, 1
	s_delay_alu instid0(VALU_DEP_1)
	v_add3_u32 v183, v4, v5, 0x7fff
                                        ; implicit-def: $vgpr4
; %bb.2363:                             ;   in Loop: Header=BB415_1576 Depth=1
	s_and_not1_saveexec_b32 s13, s1
; %bb.2364:                             ;   in Loop: Header=BB415_1576 Depth=1
	v_and_b32_e32 v5, 0xffff, v4
	v_or_b32_e32 v20, 0x10000, v4
	s_delay_alu instid0(VALU_DEP_2) | instskip(NEXT) | instid1(VALU_DEP_1)
	v_cmp_eq_u32_e64 s1, 0, v5
	v_cndmask_b32_e64 v183, v20, v4, s1
; %bb.2365:                             ;   in Loop: Header=BB415_1576 Depth=1
	s_or_b32 exec_lo, exec_lo, s13
	v_lshlrev_b32_e32 v4, 16, v21
                                        ; implicit-def: $vgpr40
	s_delay_alu instid0(VALU_DEP_1) | instskip(NEXT) | instid1(VALU_DEP_1)
	v_mul_f32_e32 v4, v112, v4
	v_and_b32_e32 v5, 0x7f800000, v4
	s_delay_alu instid0(VALU_DEP_1) | instskip(NEXT) | instid1(VALU_DEP_1)
	v_cmp_ne_u32_e64 s1, 0x7f800000, v5
	s_and_saveexec_b32 s13, s1
	s_delay_alu instid0(SALU_CYCLE_1)
	s_xor_b32 s1, exec_lo, s13
; %bb.2366:                             ;   in Loop: Header=BB415_1576 Depth=1
	v_bfe_u32 v5, v4, 16, 1
	s_delay_alu instid0(VALU_DEP_1)
	v_add3_u32 v40, v4, v5, 0x7fff
                                        ; implicit-def: $vgpr4
; %bb.2367:                             ;   in Loop: Header=BB415_1576 Depth=1
	s_and_not1_saveexec_b32 s13, s1
; %bb.2368:                             ;   in Loop: Header=BB415_1576 Depth=1
	v_and_b32_e32 v5, 0xffff, v4
	v_or_b32_e32 v20, 0x10000, v4
	s_delay_alu instid0(VALU_DEP_2) | instskip(NEXT) | instid1(VALU_DEP_1)
	v_cmp_eq_u32_e64 s1, 0, v5
	v_cndmask_b32_e64 v40, v20, v4, s1
; %bb.2369:                             ;   in Loop: Header=BB415_1576 Depth=1
	s_or_b32 exec_lo, exec_lo, s13
	v_lshlrev_b32_e32 v4, 16, v9
                                        ; implicit-def: $vgpr41
	s_delay_alu instid0(VALU_DEP_1) | instskip(NEXT) | instid1(VALU_DEP_1)
	v_mul_f32_e32 v4, v113, v4
	v_and_b32_e32 v5, 0x7f800000, v4
	s_delay_alu instid0(VALU_DEP_1) | instskip(NEXT) | instid1(VALU_DEP_1)
	v_cmp_ne_u32_e64 s1, 0x7f800000, v5
	s_and_saveexec_b32 s13, s1
	s_delay_alu instid0(SALU_CYCLE_1)
	s_xor_b32 s1, exec_lo, s13
; %bb.2370:                             ;   in Loop: Header=BB415_1576 Depth=1
	v_bfe_u32 v5, v4, 16, 1
	s_delay_alu instid0(VALU_DEP_1)
	v_add3_u32 v41, v4, v5, 0x7fff
                                        ; implicit-def: $vgpr4
; %bb.2371:                             ;   in Loop: Header=BB415_1576 Depth=1
	s_and_not1_saveexec_b32 s13, s1
; %bb.2372:                             ;   in Loop: Header=BB415_1576 Depth=1
	v_and_b32_e32 v5, 0xffff, v4
	v_or_b32_e32 v9, 0x10000, v4
	s_delay_alu instid0(VALU_DEP_2) | instskip(NEXT) | instid1(VALU_DEP_1)
	v_cmp_eq_u32_e64 s1, 0, v5
	v_cndmask_b32_e64 v41, v9, v4, s1
; %bb.2373:                             ;   in Loop: Header=BB415_1576 Depth=1
	s_or_b32 exec_lo, exec_lo, s13
	v_lshlrev_b32_e32 v4, 16, v7
                                        ; implicit-def: $vgpr42
	s_delay_alu instid0(VALU_DEP_1) | instskip(NEXT) | instid1(VALU_DEP_1)
	v_mul_f32_e32 v4, v114, v4
	v_and_b32_e32 v5, 0x7f800000, v4
	s_delay_alu instid0(VALU_DEP_1) | instskip(NEXT) | instid1(VALU_DEP_1)
	v_cmp_ne_u32_e64 s1, 0x7f800000, v5
	s_and_saveexec_b32 s13, s1
	s_delay_alu instid0(SALU_CYCLE_1)
	s_xor_b32 s1, exec_lo, s13
; %bb.2374:                             ;   in Loop: Header=BB415_1576 Depth=1
	v_bfe_u32 v5, v4, 16, 1
	s_delay_alu instid0(VALU_DEP_1)
	v_add3_u32 v42, v4, v5, 0x7fff
                                        ; implicit-def: $vgpr4
; %bb.2375:                             ;   in Loop: Header=BB415_1576 Depth=1
	s_and_not1_saveexec_b32 s13, s1
; %bb.2376:                             ;   in Loop: Header=BB415_1576 Depth=1
	v_and_b32_e32 v5, 0xffff, v4
	v_or_b32_e32 v7, 0x10000, v4
	s_delay_alu instid0(VALU_DEP_2) | instskip(NEXT) | instid1(VALU_DEP_1)
	v_cmp_eq_u32_e64 s1, 0, v5
	v_cndmask_b32_e64 v42, v7, v4, s1
; %bb.2377:                             ;   in Loop: Header=BB415_1576 Depth=1
	s_or_b32 exec_lo, exec_lo, s13
	v_lshlrev_b32_e32 v4, 16, v6
                                        ; implicit-def: $vgpr43
	s_delay_alu instid0(VALU_DEP_1) | instskip(NEXT) | instid1(VALU_DEP_1)
	v_mul_f32_e32 v4, v115, v4
	v_and_b32_e32 v5, 0x7f800000, v4
	s_delay_alu instid0(VALU_DEP_1) | instskip(NEXT) | instid1(VALU_DEP_1)
	v_cmp_ne_u32_e64 s1, 0x7f800000, v5
	s_and_saveexec_b32 s13, s1
	s_delay_alu instid0(SALU_CYCLE_1)
	s_xor_b32 s1, exec_lo, s13
; %bb.2378:                             ;   in Loop: Header=BB415_1576 Depth=1
	v_bfe_u32 v5, v4, 16, 1
	s_delay_alu instid0(VALU_DEP_1)
	v_add3_u32 v43, v4, v5, 0x7fff
                                        ; implicit-def: $vgpr4
; %bb.2379:                             ;   in Loop: Header=BB415_1576 Depth=1
	s_and_not1_saveexec_b32 s13, s1
; %bb.2380:                             ;   in Loop: Header=BB415_1576 Depth=1
	v_and_b32_e32 v5, 0xffff, v4
	v_or_b32_e32 v6, 0x10000, v4
	s_delay_alu instid0(VALU_DEP_2) | instskip(NEXT) | instid1(VALU_DEP_1)
	v_cmp_eq_u32_e64 s1, 0, v5
	v_cndmask_b32_e64 v43, v6, v4, s1
; %bb.2381:                             ;   in Loop: Header=BB415_1576 Depth=1
	s_or_b32 exec_lo, exec_lo, s13
	v_lshlrev_b32_e32 v3, 16, v3
                                        ; implicit-def: $vgpr44
	s_delay_alu instid0(VALU_DEP_1) | instskip(NEXT) | instid1(VALU_DEP_1)
	v_mul_f32_e32 v3, v116, v3
	v_and_b32_e32 v4, 0x7f800000, v3
	s_delay_alu instid0(VALU_DEP_1) | instskip(NEXT) | instid1(VALU_DEP_1)
	v_cmp_ne_u32_e64 s1, 0x7f800000, v4
	s_and_saveexec_b32 s13, s1
	s_delay_alu instid0(SALU_CYCLE_1)
	s_xor_b32 s1, exec_lo, s13
; %bb.2382:                             ;   in Loop: Header=BB415_1576 Depth=1
	v_bfe_u32 v4, v3, 16, 1
	s_delay_alu instid0(VALU_DEP_1)
	v_add3_u32 v44, v3, v4, 0x7fff
                                        ; implicit-def: $vgpr3
; %bb.2383:                             ;   in Loop: Header=BB415_1576 Depth=1
	s_and_not1_saveexec_b32 s13, s1
; %bb.2384:                             ;   in Loop: Header=BB415_1576 Depth=1
	v_and_b32_e32 v4, 0xffff, v3
	v_or_b32_e32 v5, 0x10000, v3
	s_delay_alu instid0(VALU_DEP_2) | instskip(NEXT) | instid1(VALU_DEP_1)
	v_cmp_eq_u32_e64 s1, 0, v4
	v_cndmask_b32_e64 v44, v5, v3, s1
; %bb.2385:                             ;   in Loop: Header=BB415_1576 Depth=1
	s_or_b32 exec_lo, exec_lo, s13
	v_lshlrev_b32_e32 v2, 16, v2
                                        ; implicit-def: $vgpr45
	s_delay_alu instid0(VALU_DEP_1) | instskip(NEXT) | instid1(VALU_DEP_1)
	v_mul_f32_e32 v2, v117, v2
	v_and_b32_e32 v3, 0x7f800000, v2
	s_delay_alu instid0(VALU_DEP_1) | instskip(NEXT) | instid1(VALU_DEP_1)
	v_cmp_ne_u32_e64 s1, 0x7f800000, v3
	s_and_saveexec_b32 s13, s1
	s_delay_alu instid0(SALU_CYCLE_1)
	s_xor_b32 s1, exec_lo, s13
; %bb.2386:                             ;   in Loop: Header=BB415_1576 Depth=1
	v_bfe_u32 v3, v2, 16, 1
	s_delay_alu instid0(VALU_DEP_1)
	v_add3_u32 v45, v2, v3, 0x7fff
                                        ; implicit-def: $vgpr2
; %bb.2387:                             ;   in Loop: Header=BB415_1576 Depth=1
	s_and_not1_saveexec_b32 s13, s1
; %bb.2388:                             ;   in Loop: Header=BB415_1576 Depth=1
	v_and_b32_e32 v3, 0xffff, v2
	v_or_b32_e32 v4, 0x10000, v2
	s_delay_alu instid0(VALU_DEP_2) | instskip(NEXT) | instid1(VALU_DEP_1)
	v_cmp_eq_u32_e64 s1, 0, v3
	v_cndmask_b32_e64 v45, v4, v2, s1
; %bb.2389:                             ;   in Loop: Header=BB415_1576 Depth=1
	s_or_b32 exec_lo, exec_lo, s13
	flat_load_b64 v[2:3], v[0:1] offset:1536
	s_mov_b32 s13, exec_lo
	s_waitcnt vmcnt(0) lgkmcnt(0)
	v_dual_mov_b32 v4, 0 :: v_dual_and_b32 v5, 0xff, v2
	s_delay_alu instid0(VALU_DEP_1)
	v_cmpx_ne_u16_e32 0, v5
	s_cbranch_execz .LBB415_2397
; %bb.2390:                             ;   in Loop: Header=BB415_1576 Depth=1
	v_bfrev_b32_e32 v4, 1
	s_mov_b32 s15, exec_lo
	v_cmpx_ne_u16_e32 0x80, v5
	s_cbranch_execz .LBB415_2396
; %bb.2391:                             ;   in Loop: Header=BB415_1576 Depth=1
	v_and_b32_e32 v5, 0x7f, v2
	v_mov_b32_e32 v4, 0x7f800001
	s_mov_b32 s16, exec_lo
	s_delay_alu instid0(VALU_DEP_2)
	v_cmpx_ne_u32_e32 0x7f, v5
	s_cbranch_execz .LBB415_2395
; %bb.2392:                             ;   in Loop: Header=BB415_1576 Depth=1
	v_lshrrev_b32_e32 v4, 3, v5
	v_dual_mov_b32 v7, v3 :: v_dual_mov_b32 v6, v2
	s_mov_b32 s17, exec_lo
	v_cmpx_gt_u32_e32 8, v5
; %bb.2393:                             ;   in Loop: Header=BB415_1576 Depth=1
	v_and_b32_e32 v4, 7, v2
	s_delay_alu instid0(VALU_DEP_1) | instskip(NEXT) | instid1(VALU_DEP_1)
	v_clz_i32_u32_e32 v4, v4
	v_min_u32_e32 v4, 32, v4
	s_delay_alu instid0(VALU_DEP_1) | instskip(SKIP_1) | instid1(VALU_DEP_2)
	v_subrev_nc_u32_e32 v5, 28, v4
	v_sub_nc_u32_e32 v4, 29, v4
	v_lshlrev_b64 v[6:7], v5, v[2:3]
; %bb.2394:                             ;   in Loop: Header=BB415_1576 Depth=1
	s_or_b32 exec_lo, exec_lo, s17
	s_delay_alu instid0(VALU_DEP_1) | instskip(SKIP_2) | instid1(VALU_DEP_3)
	v_lshlrev_b32_e32 v5, 20, v6
	v_lshlrev_b32_e32 v6, 24, v2
	v_lshl_add_u32 v4, v4, 23, 0x3c000000
	v_and_b32_e32 v5, 0x700000, v5
	s_delay_alu instid0(VALU_DEP_3) | instskip(NEXT) | instid1(VALU_DEP_1)
	v_and_b32_e32 v6, 0x80000000, v6
	v_or3_b32 v4, v5, v6, v4
.LBB415_2395:                           ;   in Loop: Header=BB415_1576 Depth=1
	s_or_b32 exec_lo, exec_lo, s16
.LBB415_2396:                           ;   in Loop: Header=BB415_1576 Depth=1
	s_delay_alu instid0(SALU_CYCLE_1)
	s_or_b32 exec_lo, exec_lo, s15
.LBB415_2397:                           ;   in Loop: Header=BB415_1576 Depth=1
	s_delay_alu instid0(SALU_CYCLE_1) | instskip(NEXT) | instid1(VALU_DEP_1)
	s_or_b32 exec_lo, exec_lo, s13
	v_mul_f32_e32 v5, v8, v4
	s_delay_alu instid0(VALU_DEP_1) | instskip(NEXT) | instid1(VALU_DEP_1)
	v_and_b32_e32 v4, 0x7f800000, v5
	v_cmp_ne_u32_e64 s1, 0x7f800000, v4
                                        ; implicit-def: $vgpr4
	s_delay_alu instid0(VALU_DEP_1) | instskip(NEXT) | instid1(SALU_CYCLE_1)
	s_and_saveexec_b32 s13, s1
	s_xor_b32 s1, exec_lo, s13
; %bb.2398:                             ;   in Loop: Header=BB415_1576 Depth=1
	v_bfe_u32 v4, v5, 16, 1
	s_delay_alu instid0(VALU_DEP_1)
	v_add3_u32 v4, v5, v4, 0x7fff
                                        ; implicit-def: $vgpr5
; %bb.2399:                             ;   in Loop: Header=BB415_1576 Depth=1
	s_and_not1_saveexec_b32 s13, s1
; %bb.2400:                             ;   in Loop: Header=BB415_1576 Depth=1
	v_and_b32_e32 v4, 0xffff, v5
	v_or_b32_e32 v6, 0x10000, v5
	s_delay_alu instid0(VALU_DEP_2) | instskip(NEXT) | instid1(VALU_DEP_1)
	v_cmp_eq_u32_e64 s1, 0, v4
	v_cndmask_b32_e64 v4, v6, v5, s1
; %bb.2401:                             ;   in Loop: Header=BB415_1576 Depth=1
	s_or_b32 exec_lo, exec_lo, s13
	v_lshrrev_b16 v6, 8, v2
	v_mov_b32_e32 v5, 0
	s_mov_b32 s13, exec_lo
	s_delay_alu instid0(VALU_DEP_2)
	v_cmpx_ne_u16_e32 0, v6
	s_cbranch_execz .LBB415_2409
; %bb.2402:                             ;   in Loop: Header=BB415_1576 Depth=1
	v_bfrev_b32_e32 v5, 1
	s_mov_b32 s15, exec_lo
	v_cmpx_ne_u16_e32 0x80, v6
	s_cbranch_execz .LBB415_2408
; %bb.2403:                             ;   in Loop: Header=BB415_1576 Depth=1
	v_and_b32_e32 v7, 0xffff, v6
	v_mov_b32_e32 v5, 0x7f800001
	s_mov_b32 s16, exec_lo
	s_delay_alu instid0(VALU_DEP_2) | instskip(NEXT) | instid1(VALU_DEP_1)
	v_and_b32_e32 v6, 0x7f, v7
	v_cmpx_ne_u32_e32 0x7f, v6
	s_cbranch_execz .LBB415_2407
; %bb.2404:                             ;   in Loop: Header=BB415_1576 Depth=1
	v_and_b32_e32 v9, 7, v7
	v_lshrrev_b32_e32 v5, 3, v6
	v_cmp_gt_u32_e64 s1, 8, v6
	s_delay_alu instid0(VALU_DEP_3) | instskip(NEXT) | instid1(VALU_DEP_2)
	v_dual_mov_b32 v6, v9 :: v_dual_mov_b32 v7, v10
	s_and_saveexec_b32 s17, s1
; %bb.2405:                             ;   in Loop: Header=BB415_1576 Depth=1
	v_clz_i32_u32_e32 v5, v9
	s_delay_alu instid0(VALU_DEP_1) | instskip(NEXT) | instid1(VALU_DEP_1)
	v_min_u32_e32 v5, 32, v5
	v_subrev_nc_u32_e32 v6, 28, v5
	v_sub_nc_u32_e32 v5, 29, v5
	s_delay_alu instid0(VALU_DEP_2) | instskip(NEXT) | instid1(VALU_DEP_1)
	v_lshlrev_b64 v[6:7], v6, v[9:10]
	v_and_b32_e32 v6, 7, v6
; %bb.2406:                             ;   in Loop: Header=BB415_1576 Depth=1
	s_or_b32 exec_lo, exec_lo, s17
	v_lshlrev_b32_e32 v7, 16, v2
	s_delay_alu instid0(VALU_DEP_2) | instskip(SKIP_1) | instid1(VALU_DEP_3)
	v_lshlrev_b32_e32 v6, 20, v6
	v_lshl_add_u32 v5, v5, 23, 0x3c000000
	v_and_b32_e32 v7, 0x80000000, v7
	s_delay_alu instid0(VALU_DEP_1)
	v_or3_b32 v5, v6, v7, v5
.LBB415_2407:                           ;   in Loop: Header=BB415_1576 Depth=1
	s_or_b32 exec_lo, exec_lo, s16
.LBB415_2408:                           ;   in Loop: Header=BB415_1576 Depth=1
	s_delay_alu instid0(SALU_CYCLE_1)
	s_or_b32 exec_lo, exec_lo, s15
.LBB415_2409:                           ;   in Loop: Header=BB415_1576 Depth=1
	s_delay_alu instid0(SALU_CYCLE_1) | instskip(NEXT) | instid1(VALU_DEP_1)
	s_or_b32 exec_lo, exec_lo, s13
	v_mul_f32_e32 v6, v8, v5
	s_delay_alu instid0(VALU_DEP_1) | instskip(NEXT) | instid1(VALU_DEP_1)
	v_and_b32_e32 v5, 0x7f800000, v6
	v_cmp_ne_u32_e64 s1, 0x7f800000, v5
                                        ; implicit-def: $vgpr5
	s_delay_alu instid0(VALU_DEP_1) | instskip(NEXT) | instid1(SALU_CYCLE_1)
	s_and_saveexec_b32 s13, s1
	s_xor_b32 s1, exec_lo, s13
; %bb.2410:                             ;   in Loop: Header=BB415_1576 Depth=1
	v_bfe_u32 v5, v6, 16, 1
	s_delay_alu instid0(VALU_DEP_1)
	v_add3_u32 v5, v6, v5, 0x7fff
                                        ; implicit-def: $vgpr6
; %bb.2411:                             ;   in Loop: Header=BB415_1576 Depth=1
	s_and_not1_saveexec_b32 s13, s1
; %bb.2412:                             ;   in Loop: Header=BB415_1576 Depth=1
	v_and_b32_e32 v5, 0xffff, v6
	v_or_b32_e32 v7, 0x10000, v6
	s_delay_alu instid0(VALU_DEP_2) | instskip(NEXT) | instid1(VALU_DEP_1)
	v_cmp_eq_u32_e64 s1, 0, v5
	v_cndmask_b32_e64 v5, v7, v6, s1
; %bb.2413:                             ;   in Loop: Header=BB415_1576 Depth=1
	s_or_b32 exec_lo, exec_lo, s13
	v_lshrrev_b32_e32 v21, 16, v2
	s_mov_b32 s13, exec_lo
	s_delay_alu instid0(VALU_DEP_1) | instskip(NEXT) | instid1(VALU_DEP_1)
	v_dual_mov_b32 v6, 0 :: v_dual_and_b32 v7, 0xff, v21
	v_cmpx_ne_u16_e32 0, v7
	s_cbranch_execz .LBB415_2421
; %bb.2414:                             ;   in Loop: Header=BB415_1576 Depth=1
	v_bfrev_b32_e32 v6, 1
	s_mov_b32 s15, exec_lo
	v_cmpx_ne_u16_e32 0x80, v7
	s_cbranch_execz .LBB415_2420
; %bb.2415:                             ;   in Loop: Header=BB415_1576 Depth=1
	v_bfe_u32 v7, v2, 16, 7
	v_mov_b32_e32 v6, 0x7f800001
	s_mov_b32 s16, exec_lo
	s_delay_alu instid0(VALU_DEP_2)
	v_cmpx_ne_u32_e32 0x7f, v7
	s_cbranch_execz .LBB415_2419
; %bb.2416:                             ;   in Loop: Header=BB415_1576 Depth=1
	v_and_b32_e32 v9, 7, v21
	v_lshrrev_b32_e32 v39, 3, v7
	v_cmp_gt_u32_e64 s1, 8, v7
	s_delay_alu instid0(VALU_DEP_3) | instskip(NEXT) | instid1(VALU_DEP_2)
	v_dual_mov_b32 v6, v9 :: v_dual_mov_b32 v7, v10
	s_and_saveexec_b32 s17, s1
; %bb.2417:                             ;   in Loop: Header=BB415_1576 Depth=1
	v_clz_i32_u32_e32 v6, v9
	s_delay_alu instid0(VALU_DEP_1) | instskip(NEXT) | instid1(VALU_DEP_1)
	v_min_u32_e32 v20, 32, v6
	v_subrev_nc_u32_e32 v6, 28, v20
	v_sub_nc_u32_e32 v39, 29, v20
	s_delay_alu instid0(VALU_DEP_2) | instskip(NEXT) | instid1(VALU_DEP_1)
	v_lshlrev_b64 v[6:7], v6, v[9:10]
	v_and_b32_e32 v6, 7, v6
; %bb.2418:                             ;   in Loop: Header=BB415_1576 Depth=1
	s_or_b32 exec_lo, exec_lo, s17
	v_lshlrev_b32_e32 v7, 24, v21
	s_delay_alu instid0(VALU_DEP_2) | instskip(SKIP_1) | instid1(VALU_DEP_3)
	v_lshlrev_b32_e32 v6, 20, v6
	v_lshl_add_u32 v9, v39, 23, 0x3c000000
	v_and_b32_e32 v7, 0x80000000, v7
	s_delay_alu instid0(VALU_DEP_1)
	v_or3_b32 v6, v6, v7, v9
.LBB415_2419:                           ;   in Loop: Header=BB415_1576 Depth=1
	s_or_b32 exec_lo, exec_lo, s16
.LBB415_2420:                           ;   in Loop: Header=BB415_1576 Depth=1
	s_delay_alu instid0(SALU_CYCLE_1)
	s_or_b32 exec_lo, exec_lo, s15
.LBB415_2421:                           ;   in Loop: Header=BB415_1576 Depth=1
	s_delay_alu instid0(SALU_CYCLE_1) | instskip(NEXT) | instid1(VALU_DEP_1)
	s_or_b32 exec_lo, exec_lo, s13
	v_mul_f32_e32 v6, v8, v6
                                        ; implicit-def: $vgpr21
	s_delay_alu instid0(VALU_DEP_1) | instskip(NEXT) | instid1(VALU_DEP_1)
	v_and_b32_e32 v7, 0x7f800000, v6
	v_cmp_ne_u32_e64 s1, 0x7f800000, v7
	s_delay_alu instid0(VALU_DEP_1) | instskip(NEXT) | instid1(SALU_CYCLE_1)
	s_and_saveexec_b32 s13, s1
	s_xor_b32 s1, exec_lo, s13
; %bb.2422:                             ;   in Loop: Header=BB415_1576 Depth=1
	v_bfe_u32 v7, v6, 16, 1
	s_delay_alu instid0(VALU_DEP_1)
	v_add3_u32 v21, v6, v7, 0x7fff
                                        ; implicit-def: $vgpr6
; %bb.2423:                             ;   in Loop: Header=BB415_1576 Depth=1
	s_and_not1_saveexec_b32 s13, s1
; %bb.2424:                             ;   in Loop: Header=BB415_1576 Depth=1
	v_and_b32_e32 v7, 0xffff, v6
	v_or_b32_e32 v9, 0x10000, v6
	s_delay_alu instid0(VALU_DEP_2) | instskip(NEXT) | instid1(VALU_DEP_1)
	v_cmp_eq_u32_e64 s1, 0, v7
	v_cndmask_b32_e64 v21, v9, v6, s1
; %bb.2425:                             ;   in Loop: Header=BB415_1576 Depth=1
	s_or_b32 exec_lo, exec_lo, s13
	v_mov_b32_e32 v6, 0
	s_mov_b32 s13, exec_lo
	v_cmpx_lt_u32_e32 0xffffff, v2
	s_cbranch_execz .LBB415_2433
; %bb.2426:                             ;   in Loop: Header=BB415_1576 Depth=1
	v_lshrrev_b32_e32 v39, 24, v2
	v_bfrev_b32_e32 v6, 1
	s_mov_b32 s15, exec_lo
	s_delay_alu instid0(VALU_DEP_2)
	v_cmpx_ne_u32_e32 0x80, v39
	s_cbranch_execz .LBB415_2432
; %bb.2427:                             ;   in Loop: Header=BB415_1576 Depth=1
	v_bfe_u32 v7, v2, 24, 7
	v_mov_b32_e32 v6, 0x7f800001
	s_mov_b32 s16, exec_lo
	s_delay_alu instid0(VALU_DEP_2)
	v_cmpx_ne_u32_e32 0x7f, v7
	s_cbranch_execz .LBB415_2431
; %bb.2428:                             ;   in Loop: Header=BB415_1576 Depth=1
	v_and_b32_e32 v9, 7, v39
	v_lshrrev_b32_e32 v84, 3, v7
	v_cmp_gt_u32_e64 s1, 8, v7
	s_delay_alu instid0(VALU_DEP_3) | instskip(NEXT) | instid1(VALU_DEP_2)
	v_dual_mov_b32 v6, v9 :: v_dual_mov_b32 v7, v10
	s_and_saveexec_b32 s17, s1
; %bb.2429:                             ;   in Loop: Header=BB415_1576 Depth=1
	v_clz_i32_u32_e32 v6, v9
	s_delay_alu instid0(VALU_DEP_1) | instskip(NEXT) | instid1(VALU_DEP_1)
	v_min_u32_e32 v20, 32, v6
	v_subrev_nc_u32_e32 v6, 28, v20
	v_sub_nc_u32_e32 v84, 29, v20
	s_delay_alu instid0(VALU_DEP_2) | instskip(NEXT) | instid1(VALU_DEP_1)
	v_lshlrev_b64 v[6:7], v6, v[9:10]
	v_and_b32_e32 v6, 7, v6
; %bb.2430:                             ;   in Loop: Header=BB415_1576 Depth=1
	s_or_b32 exec_lo, exec_lo, s17
	v_lshlrev_b32_e32 v7, 24, v39
	s_delay_alu instid0(VALU_DEP_2) | instskip(SKIP_1) | instid1(VALU_DEP_3)
	v_lshlrev_b32_e32 v6, 20, v6
	v_lshl_add_u32 v9, v84, 23, 0x3c000000
	v_and_b32_e32 v7, 0x80000000, v7
	s_delay_alu instid0(VALU_DEP_1)
	v_or3_b32 v6, v6, v7, v9
.LBB415_2431:                           ;   in Loop: Header=BB415_1576 Depth=1
	s_or_b32 exec_lo, exec_lo, s16
.LBB415_2432:                           ;   in Loop: Header=BB415_1576 Depth=1
	s_delay_alu instid0(SALU_CYCLE_1)
	s_or_b32 exec_lo, exec_lo, s15
.LBB415_2433:                           ;   in Loop: Header=BB415_1576 Depth=1
	s_delay_alu instid0(SALU_CYCLE_1) | instskip(NEXT) | instid1(VALU_DEP_1)
	s_or_b32 exec_lo, exec_lo, s13
	v_mul_f32_e32 v6, v8, v6
                                        ; implicit-def: $vgpr39
	s_delay_alu instid0(VALU_DEP_1) | instskip(NEXT) | instid1(VALU_DEP_1)
	v_and_b32_e32 v7, 0x7f800000, v6
	v_cmp_ne_u32_e64 s1, 0x7f800000, v7
	s_delay_alu instid0(VALU_DEP_1) | instskip(NEXT) | instid1(SALU_CYCLE_1)
	s_and_saveexec_b32 s13, s1
	s_xor_b32 s1, exec_lo, s13
; %bb.2434:                             ;   in Loop: Header=BB415_1576 Depth=1
	v_bfe_u32 v7, v6, 16, 1
	s_delay_alu instid0(VALU_DEP_1)
	v_add3_u32 v39, v6, v7, 0x7fff
                                        ; implicit-def: $vgpr6
; %bb.2435:                             ;   in Loop: Header=BB415_1576 Depth=1
	s_and_not1_saveexec_b32 s13, s1
; %bb.2436:                             ;   in Loop: Header=BB415_1576 Depth=1
	v_and_b32_e32 v7, 0xffff, v6
	v_or_b32_e32 v9, 0x10000, v6
	s_delay_alu instid0(VALU_DEP_2) | instskip(NEXT) | instid1(VALU_DEP_1)
	v_cmp_eq_u32_e64 s1, 0, v7
	v_cndmask_b32_e64 v39, v9, v6, s1
; %bb.2437:                             ;   in Loop: Header=BB415_1576 Depth=1
	s_or_b32 exec_lo, exec_lo, s13
	v_dual_mov_b32 v6, 0 :: v_dual_and_b32 v7, 0xff, v3
	v_mov_b32_e32 v9, v3
	s_mov_b32 s13, exec_lo
	s_delay_alu instid0(VALU_DEP_2)
	v_cmpx_ne_u16_e32 0, v7
	s_cbranch_execz .LBB415_2445
; %bb.2438:                             ;   in Loop: Header=BB415_1576 Depth=1
	v_bfrev_b32_e32 v6, 1
	s_mov_b32 s15, exec_lo
	v_cmpx_ne_u16_e32 0x80, v7
	s_cbranch_execz .LBB415_2444
; %bb.2439:                             ;   in Loop: Header=BB415_1576 Depth=1
	v_and_b32_e32 v7, 0x7f, v3
	v_mov_b32_e32 v6, 0x7f800001
	s_mov_b32 s16, exec_lo
	s_delay_alu instid0(VALU_DEP_2)
	v_cmpx_ne_u32_e32 0x7f, v7
	s_cbranch_execz .LBB415_2443
; %bb.2440:                             ;   in Loop: Header=BB415_1576 Depth=1
	v_lshrrev_b32_e32 v84, 3, v7
	v_cmp_gt_u32_e64 s1, 8, v7
	v_dual_mov_b32 v6, v9 :: v_dual_mov_b32 v7, v10
	s_delay_alu instid0(VALU_DEP_2)
	s_and_saveexec_b32 s17, s1
; %bb.2441:                             ;   in Loop: Header=BB415_1576 Depth=1
	v_and_b32_e32 v6, 7, v3
	s_delay_alu instid0(VALU_DEP_1) | instskip(NEXT) | instid1(VALU_DEP_1)
	v_clz_i32_u32_e32 v6, v6
	v_min_u32_e32 v20, 32, v6
	s_delay_alu instid0(VALU_DEP_1) | instskip(SKIP_1) | instid1(VALU_DEP_2)
	v_subrev_nc_u32_e32 v6, 28, v20
	v_sub_nc_u32_e32 v84, 29, v20
	v_lshlrev_b64 v[6:7], v6, v[9:10]
; %bb.2442:                             ;   in Loop: Header=BB415_1576 Depth=1
	s_or_b32 exec_lo, exec_lo, s17
	s_delay_alu instid0(VALU_DEP_1) | instskip(SKIP_2) | instid1(VALU_DEP_3)
	v_lshlrev_b32_e32 v6, 20, v6
	v_lshlrev_b32_e32 v7, 24, v9
	v_lshl_add_u32 v20, v84, 23, 0x3c000000
	v_and_b32_e32 v6, 0x700000, v6
	s_delay_alu instid0(VALU_DEP_3) | instskip(NEXT) | instid1(VALU_DEP_1)
	v_and_b32_e32 v7, 0x80000000, v7
	v_or3_b32 v6, v6, v7, v20
.LBB415_2443:                           ;   in Loop: Header=BB415_1576 Depth=1
	s_or_b32 exec_lo, exec_lo, s16
.LBB415_2444:                           ;   in Loop: Header=BB415_1576 Depth=1
	s_delay_alu instid0(SALU_CYCLE_1)
	s_or_b32 exec_lo, exec_lo, s15
.LBB415_2445:                           ;   in Loop: Header=BB415_1576 Depth=1
	s_delay_alu instid0(SALU_CYCLE_1) | instskip(NEXT) | instid1(VALU_DEP_1)
	s_or_b32 exec_lo, exec_lo, s13
	v_mul_f32_e32 v6, v8, v6
                                        ; implicit-def: $vgpr84
	s_delay_alu instid0(VALU_DEP_1) | instskip(NEXT) | instid1(VALU_DEP_1)
	v_and_b32_e32 v7, 0x7f800000, v6
	v_cmp_ne_u32_e64 s1, 0x7f800000, v7
	s_delay_alu instid0(VALU_DEP_1) | instskip(NEXT) | instid1(SALU_CYCLE_1)
	s_and_saveexec_b32 s13, s1
	s_xor_b32 s1, exec_lo, s13
; %bb.2446:                             ;   in Loop: Header=BB415_1576 Depth=1
	v_bfe_u32 v7, v6, 16, 1
	s_delay_alu instid0(VALU_DEP_1)
	v_add3_u32 v84, v6, v7, 0x7fff
                                        ; implicit-def: $vgpr6
; %bb.2447:                             ;   in Loop: Header=BB415_1576 Depth=1
	s_and_not1_saveexec_b32 s13, s1
; %bb.2448:                             ;   in Loop: Header=BB415_1576 Depth=1
	v_and_b32_e32 v7, 0xffff, v6
	v_or_b32_e32 v20, 0x10000, v6
	s_delay_alu instid0(VALU_DEP_2) | instskip(NEXT) | instid1(VALU_DEP_1)
	v_cmp_eq_u32_e64 s1, 0, v7
	v_cndmask_b32_e64 v84, v20, v6, s1
; %bb.2449:                             ;   in Loop: Header=BB415_1576 Depth=1
	s_or_b32 exec_lo, exec_lo, s13
	v_lshrrev_b16 v7, 8, v9
	v_mov_b32_e32 v6, 0
	s_mov_b32 s13, exec_lo
	s_delay_alu instid0(VALU_DEP_2)
	v_cmpx_ne_u16_e32 0, v7
	s_cbranch_execz .LBB415_2457
; %bb.2450:                             ;   in Loop: Header=BB415_1576 Depth=1
	v_bfrev_b32_e32 v6, 1
	s_mov_b32 s15, exec_lo
	v_cmpx_ne_u16_e32 0x80, v7
	s_cbranch_execz .LBB415_2456
; %bb.2451:                             ;   in Loop: Header=BB415_1576 Depth=1
	v_and_b32_e32 v7, 0xffff, v7
	v_mov_b32_e32 v6, 0x7f800001
	s_mov_b32 s16, exec_lo
	s_delay_alu instid0(VALU_DEP_2) | instskip(NEXT) | instid1(VALU_DEP_1)
	v_and_b32_e32 v46, 0x7f, v7
	v_cmpx_ne_u32_e32 0x7f, v46
	s_cbranch_execz .LBB415_2455
; %bb.2452:                             ;   in Loop: Header=BB415_1576 Depth=1
	v_dual_mov_b32 v7, v10 :: v_dual_and_b32 v6, 7, v7
	v_lshrrev_b32_e32 v85, 3, v46
	s_mov_b32 s17, exec_lo
	v_cmpx_gt_u32_e32 8, v46
; %bb.2453:                             ;   in Loop: Header=BB415_1576 Depth=1
	s_delay_alu instid0(VALU_DEP_3) | instskip(NEXT) | instid1(VALU_DEP_1)
	v_clz_i32_u32_e32 v20, v6
	v_min_u32_e32 v20, 32, v20
	s_delay_alu instid0(VALU_DEP_1) | instskip(SKIP_1) | instid1(VALU_DEP_2)
	v_subrev_nc_u32_e32 v22, 28, v20
	v_sub_nc_u32_e32 v85, 29, v20
	v_lshlrev_b64 v[6:7], v22, v[6:7]
	s_delay_alu instid0(VALU_DEP_1)
	v_and_b32_e32 v6, 7, v6
; %bb.2454:                             ;   in Loop: Header=BB415_1576 Depth=1
	s_or_b32 exec_lo, exec_lo, s17
	v_lshlrev_b32_e32 v7, 16, v9
	s_delay_alu instid0(VALU_DEP_2) | instskip(SKIP_1) | instid1(VALU_DEP_3)
	v_lshlrev_b32_e32 v6, 20, v6
	v_lshl_add_u32 v9, v85, 23, 0x3c000000
	v_and_b32_e32 v7, 0x80000000, v7
	s_delay_alu instid0(VALU_DEP_1)
	v_or3_b32 v6, v6, v7, v9
.LBB415_2455:                           ;   in Loop: Header=BB415_1576 Depth=1
	s_or_b32 exec_lo, exec_lo, s16
.LBB415_2456:                           ;   in Loop: Header=BB415_1576 Depth=1
	s_delay_alu instid0(SALU_CYCLE_1)
	s_or_b32 exec_lo, exec_lo, s15
.LBB415_2457:                           ;   in Loop: Header=BB415_1576 Depth=1
	s_delay_alu instid0(SALU_CYCLE_1) | instskip(NEXT) | instid1(VALU_DEP_1)
	s_or_b32 exec_lo, exec_lo, s13
	v_mul_f32_e32 v6, v8, v6
                                        ; implicit-def: $vgpr85
	s_delay_alu instid0(VALU_DEP_1) | instskip(NEXT) | instid1(VALU_DEP_1)
	v_and_b32_e32 v7, 0x7f800000, v6
	v_cmp_ne_u32_e64 s1, 0x7f800000, v7
	s_delay_alu instid0(VALU_DEP_1) | instskip(NEXT) | instid1(SALU_CYCLE_1)
	s_and_saveexec_b32 s13, s1
	s_xor_b32 s1, exec_lo, s13
; %bb.2458:                             ;   in Loop: Header=BB415_1576 Depth=1
	v_bfe_u32 v7, v6, 16, 1
	s_delay_alu instid0(VALU_DEP_1)
	v_add3_u32 v85, v6, v7, 0x7fff
                                        ; implicit-def: $vgpr6
; %bb.2459:                             ;   in Loop: Header=BB415_1576 Depth=1
	s_and_not1_saveexec_b32 s13, s1
; %bb.2460:                             ;   in Loop: Header=BB415_1576 Depth=1
	v_and_b32_e32 v7, 0xffff, v6
	v_or_b32_e32 v9, 0x10000, v6
	s_delay_alu instid0(VALU_DEP_2) | instskip(NEXT) | instid1(VALU_DEP_1)
	v_cmp_eq_u32_e64 s1, 0, v7
	v_cndmask_b32_e64 v85, v9, v6, s1
; %bb.2461:                             ;   in Loop: Header=BB415_1576 Depth=1
	s_or_b32 exec_lo, exec_lo, s13
	v_lshrrev_b32_e32 v46, 16, v3
	s_mov_b32 s13, exec_lo
	s_delay_alu instid0(VALU_DEP_1) | instskip(NEXT) | instid1(VALU_DEP_1)
	v_dual_mov_b32 v6, 0 :: v_dual_and_b32 v7, 0xff, v46
	v_cmpx_ne_u16_e32 0, v7
	s_cbranch_execz .LBB415_2469
; %bb.2462:                             ;   in Loop: Header=BB415_1576 Depth=1
	v_bfrev_b32_e32 v6, 1
	s_mov_b32 s15, exec_lo
	v_cmpx_ne_u16_e32 0x80, v7
	s_cbranch_execz .LBB415_2468
; %bb.2463:                             ;   in Loop: Header=BB415_1576 Depth=1
	v_bfe_u32 v7, v3, 16, 7
	v_mov_b32_e32 v6, 0x7f800001
	s_mov_b32 s16, exec_lo
	s_delay_alu instid0(VALU_DEP_2)
	v_cmpx_ne_u32_e32 0x7f, v7
	s_cbranch_execz .LBB415_2467
; %bb.2464:                             ;   in Loop: Header=BB415_1576 Depth=1
	v_and_b32_e32 v9, 7, v46
	v_lshrrev_b32_e32 v47, 3, v7
	v_cmp_gt_u32_e64 s1, 8, v7
	s_delay_alu instid0(VALU_DEP_3) | instskip(NEXT) | instid1(VALU_DEP_2)
	v_dual_mov_b32 v6, v9 :: v_dual_mov_b32 v7, v10
	s_and_saveexec_b32 s17, s1
; %bb.2465:                             ;   in Loop: Header=BB415_1576 Depth=1
	v_clz_i32_u32_e32 v6, v9
	s_delay_alu instid0(VALU_DEP_1) | instskip(NEXT) | instid1(VALU_DEP_1)
	v_min_u32_e32 v20, 32, v6
	v_subrev_nc_u32_e32 v6, 28, v20
	v_sub_nc_u32_e32 v47, 29, v20
	s_delay_alu instid0(VALU_DEP_2) | instskip(NEXT) | instid1(VALU_DEP_1)
	v_lshlrev_b64 v[6:7], v6, v[9:10]
	v_and_b32_e32 v6, 7, v6
; %bb.2466:                             ;   in Loop: Header=BB415_1576 Depth=1
	s_or_b32 exec_lo, exec_lo, s17
	v_lshlrev_b32_e32 v7, 24, v46
	s_delay_alu instid0(VALU_DEP_2) | instskip(SKIP_1) | instid1(VALU_DEP_3)
	v_lshlrev_b32_e32 v6, 20, v6
	v_lshl_add_u32 v9, v47, 23, 0x3c000000
	v_and_b32_e32 v7, 0x80000000, v7
	s_delay_alu instid0(VALU_DEP_1)
	v_or3_b32 v6, v6, v7, v9
.LBB415_2467:                           ;   in Loop: Header=BB415_1576 Depth=1
	s_or_b32 exec_lo, exec_lo, s16
.LBB415_2468:                           ;   in Loop: Header=BB415_1576 Depth=1
	s_delay_alu instid0(SALU_CYCLE_1)
	s_or_b32 exec_lo, exec_lo, s15
.LBB415_2469:                           ;   in Loop: Header=BB415_1576 Depth=1
	s_delay_alu instid0(SALU_CYCLE_1) | instskip(NEXT) | instid1(VALU_DEP_1)
	s_or_b32 exec_lo, exec_lo, s13
	v_mul_f32_e32 v6, v8, v6
                                        ; implicit-def: $vgpr46
	s_delay_alu instid0(VALU_DEP_1) | instskip(NEXT) | instid1(VALU_DEP_1)
	v_and_b32_e32 v7, 0x7f800000, v6
	v_cmp_ne_u32_e64 s1, 0x7f800000, v7
	s_delay_alu instid0(VALU_DEP_1) | instskip(NEXT) | instid1(SALU_CYCLE_1)
	s_and_saveexec_b32 s13, s1
	s_xor_b32 s1, exec_lo, s13
; %bb.2470:                             ;   in Loop: Header=BB415_1576 Depth=1
	v_bfe_u32 v7, v6, 16, 1
	s_delay_alu instid0(VALU_DEP_1)
	v_add3_u32 v46, v6, v7, 0x7fff
                                        ; implicit-def: $vgpr6
; %bb.2471:                             ;   in Loop: Header=BB415_1576 Depth=1
	s_and_not1_saveexec_b32 s13, s1
; %bb.2472:                             ;   in Loop: Header=BB415_1576 Depth=1
	v_and_b32_e32 v7, 0xffff, v6
	v_or_b32_e32 v9, 0x10000, v6
	s_delay_alu instid0(VALU_DEP_2) | instskip(NEXT) | instid1(VALU_DEP_1)
	v_cmp_eq_u32_e64 s1, 0, v7
	v_cndmask_b32_e64 v46, v9, v6, s1
; %bb.2473:                             ;   in Loop: Header=BB415_1576 Depth=1
	s_or_b32 exec_lo, exec_lo, s13
	v_cmp_lt_u64_e64 s1, s[4:5], v[2:3]
	v_mov_b32_e32 v2, 0
	s_delay_alu instid0(VALU_DEP_2)
	s_and_saveexec_b32 s13, s1
	s_cbranch_execz .LBB415_2481
; %bb.2474:                             ;   in Loop: Header=BB415_1576 Depth=1
	v_lshrrev_b32_e32 v6, 24, v3
	v_bfrev_b32_e32 v2, 1
	s_mov_b32 s15, exec_lo
	s_delay_alu instid0(VALU_DEP_2)
	v_cmpx_ne_u32_e32 0x80, v6
	s_cbranch_execz .LBB415_2480
; %bb.2475:                             ;   in Loop: Header=BB415_1576 Depth=1
	v_bfe_u32 v3, v3, 24, 7
	v_mov_b32_e32 v2, 0x7f800001
	s_mov_b32 s16, exec_lo
	s_delay_alu instid0(VALU_DEP_2)
	v_cmpx_ne_u32_e32 0x7f, v3
	s_cbranch_execz .LBB415_2479
; %bb.2476:                             ;   in Loop: Header=BB415_1576 Depth=1
	v_and_b32_e32 v9, 7, v6
	v_lshrrev_b32_e32 v7, 3, v3
	v_cmp_gt_u32_e64 s1, 8, v3
	s_delay_alu instid0(VALU_DEP_3) | instskip(NEXT) | instid1(VALU_DEP_2)
	v_dual_mov_b32 v2, v9 :: v_dual_mov_b32 v3, v10
	s_and_saveexec_b32 s17, s1
; %bb.2477:                             ;   in Loop: Header=BB415_1576 Depth=1
	v_clz_i32_u32_e32 v2, v9
	s_delay_alu instid0(VALU_DEP_1) | instskip(NEXT) | instid1(VALU_DEP_1)
	v_min_u32_e32 v7, 32, v2
	v_subrev_nc_u32_e32 v2, 28, v7
	v_sub_nc_u32_e32 v7, 29, v7
	s_delay_alu instid0(VALU_DEP_2) | instskip(NEXT) | instid1(VALU_DEP_1)
	v_lshlrev_b64 v[2:3], v2, v[9:10]
	v_and_b32_e32 v2, 7, v2
; %bb.2478:                             ;   in Loop: Header=BB415_1576 Depth=1
	s_or_b32 exec_lo, exec_lo, s17
	v_lshlrev_b32_e32 v3, 24, v6
	s_delay_alu instid0(VALU_DEP_2) | instskip(SKIP_1) | instid1(VALU_DEP_3)
	v_lshlrev_b32_e32 v2, 20, v2
	v_lshl_add_u32 v6, v7, 23, 0x3c000000
	v_and_b32_e32 v3, 0x80000000, v3
	s_delay_alu instid0(VALU_DEP_1)
	v_or3_b32 v2, v2, v3, v6
.LBB415_2479:                           ;   in Loop: Header=BB415_1576 Depth=1
	s_or_b32 exec_lo, exec_lo, s16
.LBB415_2480:                           ;   in Loop: Header=BB415_1576 Depth=1
	s_delay_alu instid0(SALU_CYCLE_1)
	s_or_b32 exec_lo, exec_lo, s15
.LBB415_2481:                           ;   in Loop: Header=BB415_1576 Depth=1
	s_delay_alu instid0(SALU_CYCLE_1) | instskip(NEXT) | instid1(VALU_DEP_1)
	s_or_b32 exec_lo, exec_lo, s13
	v_mul_f32_e32 v3, v8, v2
	s_delay_alu instid0(VALU_DEP_1) | instskip(NEXT) | instid1(VALU_DEP_1)
	v_and_b32_e32 v2, 0x7f800000, v3
	v_cmp_ne_u32_e64 s1, 0x7f800000, v2
                                        ; implicit-def: $vgpr2
	s_delay_alu instid0(VALU_DEP_1) | instskip(NEXT) | instid1(SALU_CYCLE_1)
	s_and_saveexec_b32 s13, s1
	s_xor_b32 s1, exec_lo, s13
; %bb.2482:                             ;   in Loop: Header=BB415_1576 Depth=1
	v_bfe_u32 v2, v3, 16, 1
	s_delay_alu instid0(VALU_DEP_1)
	v_add3_u32 v2, v3, v2, 0x7fff
                                        ; implicit-def: $vgpr3
; %bb.2483:                             ;   in Loop: Header=BB415_1576 Depth=1
	s_and_not1_saveexec_b32 s13, s1
; %bb.2484:                             ;   in Loop: Header=BB415_1576 Depth=1
	v_and_b32_e32 v2, 0xffff, v3
	v_or_b32_e32 v6, 0x10000, v3
	s_delay_alu instid0(VALU_DEP_2) | instskip(NEXT) | instid1(VALU_DEP_1)
	v_cmp_eq_u32_e64 s1, 0, v2
	v_cndmask_b32_e64 v2, v6, v3, s1
; %bb.2485:                             ;   in Loop: Header=BB415_1576 Depth=1
	s_or_b32 exec_lo, exec_lo, s13
	v_lshrrev_b32_e32 v6, 16, v85
	v_lshrrev_b32_e32 v7, 16, v84
	v_lshrrev_b32_e32 v9, 16, v39
	v_lshrrev_b32_e32 v21, 16, v21
	v_lshrrev_b32_e32 v5, 16, v5
	v_lshrrev_b32_e32 v4, 16, v4
	v_lshrrev_b32_e32 v3, 16, v46
	v_lshrrev_b32_e32 v2, 16, v2
	s_and_saveexec_b32 s13, vcc_lo
	s_cbranch_execz .LBB415_2487
; %bb.2486:                             ;   in Loop: Header=BB415_1576 Depth=1
	v_cmp_lt_i32_e64 s1, v70, v86
	s_delay_alu instid0(VALU_DEP_1) | instskip(SKIP_1) | instid1(VALU_DEP_1)
	v_cndmask_b32_e64 v4, 0, v4, s1
	v_cmp_lt_i32_e64 s1, v101, v86
	v_cndmask_b32_e64 v5, 0, v5, s1
	v_cmp_lt_i32_e64 s1, v100, v86
	s_delay_alu instid0(VALU_DEP_1) | instskip(SKIP_1) | instid1(VALU_DEP_1)
	v_cndmask_b32_e64 v21, 0, v21, s1
	v_cmp_lt_i32_e64 s1, v83, v86
	v_cndmask_b32_e64 v9, 0, v9, s1
	;; [unrolled: 5-line block ×4, first 2 shown]
.LBB415_2487:                           ;   in Loop: Header=BB415_1576 Depth=1
	s_or_b32 exec_lo, exec_lo, s13
	v_lshlrev_b32_e32 v4, 16, v4
                                        ; implicit-def: $vgpr46
	s_delay_alu instid0(VALU_DEP_1) | instskip(NEXT) | instid1(VALU_DEP_1)
	v_mul_f32_e32 v4, v102, v4
	v_and_b32_e32 v20, 0x7f800000, v4
	s_delay_alu instid0(VALU_DEP_1) | instskip(NEXT) | instid1(VALU_DEP_1)
	v_cmp_ne_u32_e64 s1, 0x7f800000, v20
	s_and_saveexec_b32 s13, s1
	s_delay_alu instid0(SALU_CYCLE_1)
	s_xor_b32 s1, exec_lo, s13
; %bb.2488:                             ;   in Loop: Header=BB415_1576 Depth=1
	v_bfe_u32 v20, v4, 16, 1
	s_delay_alu instid0(VALU_DEP_1)
	v_add3_u32 v46, v4, v20, 0x7fff
                                        ; implicit-def: $vgpr4
; %bb.2489:                             ;   in Loop: Header=BB415_1576 Depth=1
	s_and_not1_saveexec_b32 s13, s1
; %bb.2490:                             ;   in Loop: Header=BB415_1576 Depth=1
	v_and_b32_e32 v20, 0xffff, v4
	v_or_b32_e32 v22, 0x10000, v4
	s_delay_alu instid0(VALU_DEP_2) | instskip(NEXT) | instid1(VALU_DEP_1)
	v_cmp_eq_u32_e64 s1, 0, v20
	v_cndmask_b32_e64 v46, v22, v4, s1
; %bb.2491:                             ;   in Loop: Header=BB415_1576 Depth=1
	s_or_b32 exec_lo, exec_lo, s13
	v_lshlrev_b32_e32 v4, 16, v5
                                        ; implicit-def: $vgpr47
	s_delay_alu instid0(VALU_DEP_1) | instskip(NEXT) | instid1(VALU_DEP_1)
	v_mul_f32_e32 v4, v103, v4
	v_and_b32_e32 v5, 0x7f800000, v4
	s_delay_alu instid0(VALU_DEP_1) | instskip(NEXT) | instid1(VALU_DEP_1)
	v_cmp_ne_u32_e64 s1, 0x7f800000, v5
	s_and_saveexec_b32 s13, s1
	s_delay_alu instid0(SALU_CYCLE_1)
	s_xor_b32 s1, exec_lo, s13
; %bb.2492:                             ;   in Loop: Header=BB415_1576 Depth=1
	v_bfe_u32 v5, v4, 16, 1
	s_delay_alu instid0(VALU_DEP_1)
	v_add3_u32 v47, v4, v5, 0x7fff
                                        ; implicit-def: $vgpr4
; %bb.2493:                             ;   in Loop: Header=BB415_1576 Depth=1
	s_and_not1_saveexec_b32 s13, s1
; %bb.2494:                             ;   in Loop: Header=BB415_1576 Depth=1
	v_and_b32_e32 v5, 0xffff, v4
	v_or_b32_e32 v20, 0x10000, v4
	s_delay_alu instid0(VALU_DEP_2) | instskip(NEXT) | instid1(VALU_DEP_1)
	v_cmp_eq_u32_e64 s1, 0, v5
	v_cndmask_b32_e64 v47, v20, v4, s1
; %bb.2495:                             ;   in Loop: Header=BB415_1576 Depth=1
	s_or_b32 exec_lo, exec_lo, s13
	v_lshlrev_b32_e32 v4, 16, v21
                                        ; implicit-def: $vgpr56
	s_delay_alu instid0(VALU_DEP_1) | instskip(NEXT) | instid1(VALU_DEP_1)
	v_mul_f32_e32 v4, v112, v4
	v_and_b32_e32 v5, 0x7f800000, v4
	s_delay_alu instid0(VALU_DEP_1) | instskip(NEXT) | instid1(VALU_DEP_1)
	v_cmp_ne_u32_e64 s1, 0x7f800000, v5
	s_and_saveexec_b32 s13, s1
	s_delay_alu instid0(SALU_CYCLE_1)
	s_xor_b32 s1, exec_lo, s13
; %bb.2496:                             ;   in Loop: Header=BB415_1576 Depth=1
	v_bfe_u32 v5, v4, 16, 1
	s_delay_alu instid0(VALU_DEP_1)
	v_add3_u32 v56, v4, v5, 0x7fff
                                        ; implicit-def: $vgpr4
; %bb.2497:                             ;   in Loop: Header=BB415_1576 Depth=1
	s_and_not1_saveexec_b32 s13, s1
; %bb.2498:                             ;   in Loop: Header=BB415_1576 Depth=1
	v_and_b32_e32 v5, 0xffff, v4
	v_or_b32_e32 v20, 0x10000, v4
	s_delay_alu instid0(VALU_DEP_2) | instskip(NEXT) | instid1(VALU_DEP_1)
	v_cmp_eq_u32_e64 s1, 0, v5
	v_cndmask_b32_e64 v56, v20, v4, s1
; %bb.2499:                             ;   in Loop: Header=BB415_1576 Depth=1
	s_or_b32 exec_lo, exec_lo, s13
	v_lshlrev_b32_e32 v4, 16, v9
                                        ; implicit-def: $vgpr57
	s_delay_alu instid0(VALU_DEP_1) | instskip(NEXT) | instid1(VALU_DEP_1)
	v_mul_f32_e32 v4, v113, v4
	v_and_b32_e32 v5, 0x7f800000, v4
	s_delay_alu instid0(VALU_DEP_1) | instskip(NEXT) | instid1(VALU_DEP_1)
	v_cmp_ne_u32_e64 s1, 0x7f800000, v5
	s_and_saveexec_b32 s13, s1
	s_delay_alu instid0(SALU_CYCLE_1)
	s_xor_b32 s1, exec_lo, s13
; %bb.2500:                             ;   in Loop: Header=BB415_1576 Depth=1
	v_bfe_u32 v5, v4, 16, 1
	s_delay_alu instid0(VALU_DEP_1)
	v_add3_u32 v57, v4, v5, 0x7fff
                                        ; implicit-def: $vgpr4
; %bb.2501:                             ;   in Loop: Header=BB415_1576 Depth=1
	s_and_not1_saveexec_b32 s13, s1
; %bb.2502:                             ;   in Loop: Header=BB415_1576 Depth=1
	v_and_b32_e32 v5, 0xffff, v4
	v_or_b32_e32 v9, 0x10000, v4
	s_delay_alu instid0(VALU_DEP_2) | instskip(NEXT) | instid1(VALU_DEP_1)
	v_cmp_eq_u32_e64 s1, 0, v5
	v_cndmask_b32_e64 v57, v9, v4, s1
; %bb.2503:                             ;   in Loop: Header=BB415_1576 Depth=1
	s_or_b32 exec_lo, exec_lo, s13
	v_lshlrev_b32_e32 v4, 16, v7
                                        ; implicit-def: $vgpr58
	s_delay_alu instid0(VALU_DEP_1) | instskip(NEXT) | instid1(VALU_DEP_1)
	v_mul_f32_e32 v4, v114, v4
	v_and_b32_e32 v5, 0x7f800000, v4
	s_delay_alu instid0(VALU_DEP_1) | instskip(NEXT) | instid1(VALU_DEP_1)
	v_cmp_ne_u32_e64 s1, 0x7f800000, v5
	s_and_saveexec_b32 s13, s1
	s_delay_alu instid0(SALU_CYCLE_1)
	s_xor_b32 s1, exec_lo, s13
; %bb.2504:                             ;   in Loop: Header=BB415_1576 Depth=1
	v_bfe_u32 v5, v4, 16, 1
	s_delay_alu instid0(VALU_DEP_1)
	v_add3_u32 v58, v4, v5, 0x7fff
                                        ; implicit-def: $vgpr4
; %bb.2505:                             ;   in Loop: Header=BB415_1576 Depth=1
	s_and_not1_saveexec_b32 s13, s1
; %bb.2506:                             ;   in Loop: Header=BB415_1576 Depth=1
	v_and_b32_e32 v5, 0xffff, v4
	v_or_b32_e32 v7, 0x10000, v4
	s_delay_alu instid0(VALU_DEP_2) | instskip(NEXT) | instid1(VALU_DEP_1)
	v_cmp_eq_u32_e64 s1, 0, v5
	v_cndmask_b32_e64 v58, v7, v4, s1
; %bb.2507:                             ;   in Loop: Header=BB415_1576 Depth=1
	s_or_b32 exec_lo, exec_lo, s13
	v_lshlrev_b32_e32 v4, 16, v6
                                        ; implicit-def: $vgpr59
	s_delay_alu instid0(VALU_DEP_1) | instskip(NEXT) | instid1(VALU_DEP_1)
	v_mul_f32_e32 v4, v115, v4
	v_and_b32_e32 v5, 0x7f800000, v4
	s_delay_alu instid0(VALU_DEP_1) | instskip(NEXT) | instid1(VALU_DEP_1)
	v_cmp_ne_u32_e64 s1, 0x7f800000, v5
	s_and_saveexec_b32 s13, s1
	s_delay_alu instid0(SALU_CYCLE_1)
	s_xor_b32 s1, exec_lo, s13
; %bb.2508:                             ;   in Loop: Header=BB415_1576 Depth=1
	v_bfe_u32 v5, v4, 16, 1
	s_delay_alu instid0(VALU_DEP_1)
	v_add3_u32 v59, v4, v5, 0x7fff
                                        ; implicit-def: $vgpr4
; %bb.2509:                             ;   in Loop: Header=BB415_1576 Depth=1
	s_and_not1_saveexec_b32 s13, s1
; %bb.2510:                             ;   in Loop: Header=BB415_1576 Depth=1
	v_and_b32_e32 v5, 0xffff, v4
	v_or_b32_e32 v6, 0x10000, v4
	s_delay_alu instid0(VALU_DEP_2) | instskip(NEXT) | instid1(VALU_DEP_1)
	v_cmp_eq_u32_e64 s1, 0, v5
	v_cndmask_b32_e64 v59, v6, v4, s1
; %bb.2511:                             ;   in Loop: Header=BB415_1576 Depth=1
	s_or_b32 exec_lo, exec_lo, s13
	v_lshlrev_b32_e32 v3, 16, v3
                                        ; implicit-def: $vgpr60
	s_delay_alu instid0(VALU_DEP_1) | instskip(NEXT) | instid1(VALU_DEP_1)
	v_mul_f32_e32 v3, v116, v3
	v_and_b32_e32 v4, 0x7f800000, v3
	s_delay_alu instid0(VALU_DEP_1) | instskip(NEXT) | instid1(VALU_DEP_1)
	v_cmp_ne_u32_e64 s1, 0x7f800000, v4
	s_and_saveexec_b32 s13, s1
	s_delay_alu instid0(SALU_CYCLE_1)
	s_xor_b32 s1, exec_lo, s13
; %bb.2512:                             ;   in Loop: Header=BB415_1576 Depth=1
	v_bfe_u32 v4, v3, 16, 1
	s_delay_alu instid0(VALU_DEP_1)
	v_add3_u32 v60, v3, v4, 0x7fff
                                        ; implicit-def: $vgpr3
; %bb.2513:                             ;   in Loop: Header=BB415_1576 Depth=1
	s_and_not1_saveexec_b32 s13, s1
; %bb.2514:                             ;   in Loop: Header=BB415_1576 Depth=1
	v_and_b32_e32 v4, 0xffff, v3
	v_or_b32_e32 v5, 0x10000, v3
	s_delay_alu instid0(VALU_DEP_2) | instskip(NEXT) | instid1(VALU_DEP_1)
	v_cmp_eq_u32_e64 s1, 0, v4
	v_cndmask_b32_e64 v60, v5, v3, s1
; %bb.2515:                             ;   in Loop: Header=BB415_1576 Depth=1
	s_or_b32 exec_lo, exec_lo, s13
	v_lshlrev_b32_e32 v2, 16, v2
                                        ; implicit-def: $vgpr61
	s_delay_alu instid0(VALU_DEP_1) | instskip(NEXT) | instid1(VALU_DEP_1)
	v_mul_f32_e32 v2, v117, v2
	v_and_b32_e32 v3, 0x7f800000, v2
	s_delay_alu instid0(VALU_DEP_1) | instskip(NEXT) | instid1(VALU_DEP_1)
	v_cmp_ne_u32_e64 s1, 0x7f800000, v3
	s_and_saveexec_b32 s13, s1
	s_delay_alu instid0(SALU_CYCLE_1)
	s_xor_b32 s1, exec_lo, s13
; %bb.2516:                             ;   in Loop: Header=BB415_1576 Depth=1
	v_bfe_u32 v3, v2, 16, 1
	s_delay_alu instid0(VALU_DEP_1)
	v_add3_u32 v61, v2, v3, 0x7fff
                                        ; implicit-def: $vgpr2
; %bb.2517:                             ;   in Loop: Header=BB415_1576 Depth=1
	s_and_not1_saveexec_b32 s13, s1
; %bb.2518:                             ;   in Loop: Header=BB415_1576 Depth=1
	v_and_b32_e32 v3, 0xffff, v2
	v_or_b32_e32 v4, 0x10000, v2
	s_delay_alu instid0(VALU_DEP_2) | instskip(NEXT) | instid1(VALU_DEP_1)
	v_cmp_eq_u32_e64 s1, 0, v3
	v_cndmask_b32_e64 v61, v4, v2, s1
; %bb.2519:                             ;   in Loop: Header=BB415_1576 Depth=1
	s_or_b32 exec_lo, exec_lo, s13
	flat_load_b64 v[2:3], v[0:1] offset:1792
	s_mov_b32 s13, exec_lo
	s_waitcnt vmcnt(0) lgkmcnt(0)
	v_dual_mov_b32 v4, 0 :: v_dual_and_b32 v5, 0xff, v2
	s_delay_alu instid0(VALU_DEP_1)
	v_cmpx_ne_u16_e32 0, v5
	s_cbranch_execz .LBB415_2527
; %bb.2520:                             ;   in Loop: Header=BB415_1576 Depth=1
	v_bfrev_b32_e32 v4, 1
	s_mov_b32 s15, exec_lo
	v_cmpx_ne_u16_e32 0x80, v5
	s_cbranch_execz .LBB415_2526
; %bb.2521:                             ;   in Loop: Header=BB415_1576 Depth=1
	v_and_b32_e32 v5, 0x7f, v2
	v_mov_b32_e32 v4, 0x7f800001
	s_mov_b32 s16, exec_lo
	s_delay_alu instid0(VALU_DEP_2)
	v_cmpx_ne_u32_e32 0x7f, v5
	s_cbranch_execz .LBB415_2525
; %bb.2522:                             ;   in Loop: Header=BB415_1576 Depth=1
	v_lshrrev_b32_e32 v4, 3, v5
	v_dual_mov_b32 v7, v3 :: v_dual_mov_b32 v6, v2
	s_mov_b32 s17, exec_lo
	v_cmpx_gt_u32_e32 8, v5
; %bb.2523:                             ;   in Loop: Header=BB415_1576 Depth=1
	v_and_b32_e32 v4, 7, v2
	s_delay_alu instid0(VALU_DEP_1) | instskip(NEXT) | instid1(VALU_DEP_1)
	v_clz_i32_u32_e32 v4, v4
	v_min_u32_e32 v4, 32, v4
	s_delay_alu instid0(VALU_DEP_1) | instskip(SKIP_1) | instid1(VALU_DEP_2)
	v_subrev_nc_u32_e32 v5, 28, v4
	v_sub_nc_u32_e32 v4, 29, v4
	v_lshlrev_b64 v[6:7], v5, v[2:3]
; %bb.2524:                             ;   in Loop: Header=BB415_1576 Depth=1
	s_or_b32 exec_lo, exec_lo, s17
	s_delay_alu instid0(VALU_DEP_1) | instskip(SKIP_2) | instid1(VALU_DEP_3)
	v_lshlrev_b32_e32 v5, 20, v6
	v_lshlrev_b32_e32 v6, 24, v2
	v_lshl_add_u32 v4, v4, 23, 0x3c000000
	v_and_b32_e32 v5, 0x700000, v5
	s_delay_alu instid0(VALU_DEP_3) | instskip(NEXT) | instid1(VALU_DEP_1)
	v_and_b32_e32 v6, 0x80000000, v6
	v_or3_b32 v4, v5, v6, v4
.LBB415_2525:                           ;   in Loop: Header=BB415_1576 Depth=1
	s_or_b32 exec_lo, exec_lo, s16
.LBB415_2526:                           ;   in Loop: Header=BB415_1576 Depth=1
	s_delay_alu instid0(SALU_CYCLE_1)
	s_or_b32 exec_lo, exec_lo, s15
.LBB415_2527:                           ;   in Loop: Header=BB415_1576 Depth=1
	s_delay_alu instid0(SALU_CYCLE_1) | instskip(NEXT) | instid1(VALU_DEP_1)
	s_or_b32 exec_lo, exec_lo, s13
	v_mul_f32_e32 v5, v8, v4
	s_delay_alu instid0(VALU_DEP_1) | instskip(NEXT) | instid1(VALU_DEP_1)
	v_and_b32_e32 v4, 0x7f800000, v5
	v_cmp_ne_u32_e64 s1, 0x7f800000, v4
                                        ; implicit-def: $vgpr4
	s_delay_alu instid0(VALU_DEP_1) | instskip(NEXT) | instid1(SALU_CYCLE_1)
	s_and_saveexec_b32 s13, s1
	s_xor_b32 s1, exec_lo, s13
; %bb.2528:                             ;   in Loop: Header=BB415_1576 Depth=1
	v_bfe_u32 v4, v5, 16, 1
	s_delay_alu instid0(VALU_DEP_1)
	v_add3_u32 v4, v5, v4, 0x7fff
                                        ; implicit-def: $vgpr5
; %bb.2529:                             ;   in Loop: Header=BB415_1576 Depth=1
	s_and_not1_saveexec_b32 s13, s1
; %bb.2530:                             ;   in Loop: Header=BB415_1576 Depth=1
	v_and_b32_e32 v4, 0xffff, v5
	v_or_b32_e32 v6, 0x10000, v5
	s_delay_alu instid0(VALU_DEP_2) | instskip(NEXT) | instid1(VALU_DEP_1)
	v_cmp_eq_u32_e64 s1, 0, v4
	v_cndmask_b32_e64 v4, v6, v5, s1
; %bb.2531:                             ;   in Loop: Header=BB415_1576 Depth=1
	s_or_b32 exec_lo, exec_lo, s13
	v_lshrrev_b16 v6, 8, v2
	v_mov_b32_e32 v5, 0
	s_mov_b32 s13, exec_lo
	s_delay_alu instid0(VALU_DEP_2)
	v_cmpx_ne_u16_e32 0, v6
	s_cbranch_execz .LBB415_2539
; %bb.2532:                             ;   in Loop: Header=BB415_1576 Depth=1
	v_bfrev_b32_e32 v5, 1
	s_mov_b32 s15, exec_lo
	v_cmpx_ne_u16_e32 0x80, v6
	s_cbranch_execz .LBB415_2538
; %bb.2533:                             ;   in Loop: Header=BB415_1576 Depth=1
	v_and_b32_e32 v7, 0xffff, v6
	v_mov_b32_e32 v5, 0x7f800001
	s_mov_b32 s16, exec_lo
	s_delay_alu instid0(VALU_DEP_2) | instskip(NEXT) | instid1(VALU_DEP_1)
	v_and_b32_e32 v6, 0x7f, v7
	v_cmpx_ne_u32_e32 0x7f, v6
	s_cbranch_execz .LBB415_2537
; %bb.2534:                             ;   in Loop: Header=BB415_1576 Depth=1
	v_and_b32_e32 v9, 7, v7
	v_lshrrev_b32_e32 v5, 3, v6
	v_cmp_gt_u32_e64 s1, 8, v6
	s_delay_alu instid0(VALU_DEP_3) | instskip(NEXT) | instid1(VALU_DEP_2)
	v_dual_mov_b32 v6, v9 :: v_dual_mov_b32 v7, v10
	s_and_saveexec_b32 s17, s1
; %bb.2535:                             ;   in Loop: Header=BB415_1576 Depth=1
	v_clz_i32_u32_e32 v5, v9
	s_delay_alu instid0(VALU_DEP_1) | instskip(NEXT) | instid1(VALU_DEP_1)
	v_min_u32_e32 v5, 32, v5
	v_subrev_nc_u32_e32 v6, 28, v5
	v_sub_nc_u32_e32 v5, 29, v5
	s_delay_alu instid0(VALU_DEP_2) | instskip(NEXT) | instid1(VALU_DEP_1)
	v_lshlrev_b64 v[6:7], v6, v[9:10]
	v_and_b32_e32 v6, 7, v6
; %bb.2536:                             ;   in Loop: Header=BB415_1576 Depth=1
	s_or_b32 exec_lo, exec_lo, s17
	v_lshlrev_b32_e32 v7, 16, v2
	s_delay_alu instid0(VALU_DEP_2) | instskip(SKIP_1) | instid1(VALU_DEP_3)
	v_lshlrev_b32_e32 v6, 20, v6
	v_lshl_add_u32 v5, v5, 23, 0x3c000000
	v_and_b32_e32 v7, 0x80000000, v7
	s_delay_alu instid0(VALU_DEP_1)
	v_or3_b32 v5, v6, v7, v5
.LBB415_2537:                           ;   in Loop: Header=BB415_1576 Depth=1
	s_or_b32 exec_lo, exec_lo, s16
.LBB415_2538:                           ;   in Loop: Header=BB415_1576 Depth=1
	s_delay_alu instid0(SALU_CYCLE_1)
	s_or_b32 exec_lo, exec_lo, s15
.LBB415_2539:                           ;   in Loop: Header=BB415_1576 Depth=1
	s_delay_alu instid0(SALU_CYCLE_1) | instskip(NEXT) | instid1(VALU_DEP_1)
	s_or_b32 exec_lo, exec_lo, s13
	v_mul_f32_e32 v6, v8, v5
	s_delay_alu instid0(VALU_DEP_1) | instskip(NEXT) | instid1(VALU_DEP_1)
	v_and_b32_e32 v5, 0x7f800000, v6
	v_cmp_ne_u32_e64 s1, 0x7f800000, v5
                                        ; implicit-def: $vgpr5
	s_delay_alu instid0(VALU_DEP_1) | instskip(NEXT) | instid1(SALU_CYCLE_1)
	s_and_saveexec_b32 s13, s1
	s_xor_b32 s1, exec_lo, s13
; %bb.2540:                             ;   in Loop: Header=BB415_1576 Depth=1
	v_bfe_u32 v5, v6, 16, 1
	s_delay_alu instid0(VALU_DEP_1)
	v_add3_u32 v5, v6, v5, 0x7fff
                                        ; implicit-def: $vgpr6
; %bb.2541:                             ;   in Loop: Header=BB415_1576 Depth=1
	s_and_not1_saveexec_b32 s13, s1
; %bb.2542:                             ;   in Loop: Header=BB415_1576 Depth=1
	v_and_b32_e32 v5, 0xffff, v6
	v_or_b32_e32 v7, 0x10000, v6
	s_delay_alu instid0(VALU_DEP_2) | instskip(NEXT) | instid1(VALU_DEP_1)
	v_cmp_eq_u32_e64 s1, 0, v5
	v_cndmask_b32_e64 v5, v7, v6, s1
; %bb.2543:                             ;   in Loop: Header=BB415_1576 Depth=1
	s_or_b32 exec_lo, exec_lo, s13
	v_lshrrev_b32_e32 v21, 16, v2
	s_mov_b32 s13, exec_lo
	s_delay_alu instid0(VALU_DEP_1) | instskip(NEXT) | instid1(VALU_DEP_1)
	v_dual_mov_b32 v6, 0 :: v_dual_and_b32 v7, 0xff, v21
	v_cmpx_ne_u16_e32 0, v7
	s_cbranch_execz .LBB415_2551
; %bb.2544:                             ;   in Loop: Header=BB415_1576 Depth=1
	v_bfrev_b32_e32 v6, 1
	s_mov_b32 s15, exec_lo
	v_cmpx_ne_u16_e32 0x80, v7
	s_cbranch_execz .LBB415_2550
; %bb.2545:                             ;   in Loop: Header=BB415_1576 Depth=1
	v_bfe_u32 v7, v2, 16, 7
	v_mov_b32_e32 v6, 0x7f800001
	s_mov_b32 s16, exec_lo
	s_delay_alu instid0(VALU_DEP_2)
	v_cmpx_ne_u32_e32 0x7f, v7
	s_cbranch_execz .LBB415_2549
; %bb.2546:                             ;   in Loop: Header=BB415_1576 Depth=1
	v_and_b32_e32 v9, 7, v21
	v_lshrrev_b32_e32 v39, 3, v7
	v_cmp_gt_u32_e64 s1, 8, v7
	s_delay_alu instid0(VALU_DEP_3) | instskip(NEXT) | instid1(VALU_DEP_2)
	v_dual_mov_b32 v6, v9 :: v_dual_mov_b32 v7, v10
	s_and_saveexec_b32 s17, s1
; %bb.2547:                             ;   in Loop: Header=BB415_1576 Depth=1
	v_clz_i32_u32_e32 v6, v9
	s_delay_alu instid0(VALU_DEP_1) | instskip(NEXT) | instid1(VALU_DEP_1)
	v_min_u32_e32 v20, 32, v6
	v_subrev_nc_u32_e32 v6, 28, v20
	v_sub_nc_u32_e32 v39, 29, v20
	s_delay_alu instid0(VALU_DEP_2) | instskip(NEXT) | instid1(VALU_DEP_1)
	v_lshlrev_b64 v[6:7], v6, v[9:10]
	v_and_b32_e32 v6, 7, v6
; %bb.2548:                             ;   in Loop: Header=BB415_1576 Depth=1
	s_or_b32 exec_lo, exec_lo, s17
	v_lshlrev_b32_e32 v7, 24, v21
	s_delay_alu instid0(VALU_DEP_2) | instskip(SKIP_1) | instid1(VALU_DEP_3)
	v_lshlrev_b32_e32 v6, 20, v6
	v_lshl_add_u32 v9, v39, 23, 0x3c000000
	v_and_b32_e32 v7, 0x80000000, v7
	s_delay_alu instid0(VALU_DEP_1)
	v_or3_b32 v6, v6, v7, v9
.LBB415_2549:                           ;   in Loop: Header=BB415_1576 Depth=1
	s_or_b32 exec_lo, exec_lo, s16
.LBB415_2550:                           ;   in Loop: Header=BB415_1576 Depth=1
	s_delay_alu instid0(SALU_CYCLE_1)
	s_or_b32 exec_lo, exec_lo, s15
.LBB415_2551:                           ;   in Loop: Header=BB415_1576 Depth=1
	s_delay_alu instid0(SALU_CYCLE_1) | instskip(NEXT) | instid1(VALU_DEP_1)
	s_or_b32 exec_lo, exec_lo, s13
	v_mul_f32_e32 v6, v8, v6
                                        ; implicit-def: $vgpr21
	s_delay_alu instid0(VALU_DEP_1) | instskip(NEXT) | instid1(VALU_DEP_1)
	v_and_b32_e32 v7, 0x7f800000, v6
	v_cmp_ne_u32_e64 s1, 0x7f800000, v7
	s_delay_alu instid0(VALU_DEP_1) | instskip(NEXT) | instid1(SALU_CYCLE_1)
	s_and_saveexec_b32 s13, s1
	s_xor_b32 s1, exec_lo, s13
; %bb.2552:                             ;   in Loop: Header=BB415_1576 Depth=1
	v_bfe_u32 v7, v6, 16, 1
	s_delay_alu instid0(VALU_DEP_1)
	v_add3_u32 v21, v6, v7, 0x7fff
                                        ; implicit-def: $vgpr6
; %bb.2553:                             ;   in Loop: Header=BB415_1576 Depth=1
	s_and_not1_saveexec_b32 s13, s1
; %bb.2554:                             ;   in Loop: Header=BB415_1576 Depth=1
	v_and_b32_e32 v7, 0xffff, v6
	v_or_b32_e32 v9, 0x10000, v6
	s_delay_alu instid0(VALU_DEP_2) | instskip(NEXT) | instid1(VALU_DEP_1)
	v_cmp_eq_u32_e64 s1, 0, v7
	v_cndmask_b32_e64 v21, v9, v6, s1
; %bb.2555:                             ;   in Loop: Header=BB415_1576 Depth=1
	s_or_b32 exec_lo, exec_lo, s13
	v_mov_b32_e32 v6, 0
	s_mov_b32 s13, exec_lo
	v_cmpx_lt_u32_e32 0xffffff, v2
	s_cbranch_execz .LBB415_2563
; %bb.2556:                             ;   in Loop: Header=BB415_1576 Depth=1
	v_lshrrev_b32_e32 v39, 24, v2
	v_bfrev_b32_e32 v6, 1
	s_mov_b32 s15, exec_lo
	s_delay_alu instid0(VALU_DEP_2)
	v_cmpx_ne_u32_e32 0x80, v39
	s_cbranch_execz .LBB415_2562
; %bb.2557:                             ;   in Loop: Header=BB415_1576 Depth=1
	v_bfe_u32 v7, v2, 24, 7
	v_mov_b32_e32 v6, 0x7f800001
	s_mov_b32 s16, exec_lo
	s_delay_alu instid0(VALU_DEP_2)
	v_cmpx_ne_u32_e32 0x7f, v7
	s_cbranch_execz .LBB415_2561
; %bb.2558:                             ;   in Loop: Header=BB415_1576 Depth=1
	v_and_b32_e32 v9, 7, v39
	v_lshrrev_b32_e32 v84, 3, v7
	v_cmp_gt_u32_e64 s1, 8, v7
	s_delay_alu instid0(VALU_DEP_3) | instskip(NEXT) | instid1(VALU_DEP_2)
	v_dual_mov_b32 v6, v9 :: v_dual_mov_b32 v7, v10
	s_and_saveexec_b32 s17, s1
; %bb.2559:                             ;   in Loop: Header=BB415_1576 Depth=1
	v_clz_i32_u32_e32 v6, v9
	s_delay_alu instid0(VALU_DEP_1) | instskip(NEXT) | instid1(VALU_DEP_1)
	v_min_u32_e32 v20, 32, v6
	v_subrev_nc_u32_e32 v6, 28, v20
	v_sub_nc_u32_e32 v84, 29, v20
	s_delay_alu instid0(VALU_DEP_2) | instskip(NEXT) | instid1(VALU_DEP_1)
	v_lshlrev_b64 v[6:7], v6, v[9:10]
	v_and_b32_e32 v6, 7, v6
; %bb.2560:                             ;   in Loop: Header=BB415_1576 Depth=1
	s_or_b32 exec_lo, exec_lo, s17
	v_lshlrev_b32_e32 v7, 24, v39
	s_delay_alu instid0(VALU_DEP_2) | instskip(SKIP_1) | instid1(VALU_DEP_3)
	v_lshlrev_b32_e32 v6, 20, v6
	v_lshl_add_u32 v9, v84, 23, 0x3c000000
	v_and_b32_e32 v7, 0x80000000, v7
	s_delay_alu instid0(VALU_DEP_1)
	v_or3_b32 v6, v6, v7, v9
.LBB415_2561:                           ;   in Loop: Header=BB415_1576 Depth=1
	s_or_b32 exec_lo, exec_lo, s16
.LBB415_2562:                           ;   in Loop: Header=BB415_1576 Depth=1
	s_delay_alu instid0(SALU_CYCLE_1)
	s_or_b32 exec_lo, exec_lo, s15
.LBB415_2563:                           ;   in Loop: Header=BB415_1576 Depth=1
	s_delay_alu instid0(SALU_CYCLE_1) | instskip(NEXT) | instid1(VALU_DEP_1)
	s_or_b32 exec_lo, exec_lo, s13
	v_mul_f32_e32 v6, v8, v6
                                        ; implicit-def: $vgpr39
	s_delay_alu instid0(VALU_DEP_1) | instskip(NEXT) | instid1(VALU_DEP_1)
	v_and_b32_e32 v7, 0x7f800000, v6
	v_cmp_ne_u32_e64 s1, 0x7f800000, v7
	s_delay_alu instid0(VALU_DEP_1) | instskip(NEXT) | instid1(SALU_CYCLE_1)
	s_and_saveexec_b32 s13, s1
	s_xor_b32 s1, exec_lo, s13
; %bb.2564:                             ;   in Loop: Header=BB415_1576 Depth=1
	v_bfe_u32 v7, v6, 16, 1
	s_delay_alu instid0(VALU_DEP_1)
	v_add3_u32 v39, v6, v7, 0x7fff
                                        ; implicit-def: $vgpr6
; %bb.2565:                             ;   in Loop: Header=BB415_1576 Depth=1
	s_and_not1_saveexec_b32 s13, s1
; %bb.2566:                             ;   in Loop: Header=BB415_1576 Depth=1
	v_and_b32_e32 v7, 0xffff, v6
	v_or_b32_e32 v9, 0x10000, v6
	s_delay_alu instid0(VALU_DEP_2) | instskip(NEXT) | instid1(VALU_DEP_1)
	v_cmp_eq_u32_e64 s1, 0, v7
	v_cndmask_b32_e64 v39, v9, v6, s1
; %bb.2567:                             ;   in Loop: Header=BB415_1576 Depth=1
	s_or_b32 exec_lo, exec_lo, s13
	v_dual_mov_b32 v6, 0 :: v_dual_and_b32 v7, 0xff, v3
	v_mov_b32_e32 v9, v3
	s_mov_b32 s13, exec_lo
	s_delay_alu instid0(VALU_DEP_2)
	v_cmpx_ne_u16_e32 0, v7
	s_cbranch_execz .LBB415_2575
; %bb.2568:                             ;   in Loop: Header=BB415_1576 Depth=1
	v_bfrev_b32_e32 v6, 1
	s_mov_b32 s15, exec_lo
	v_cmpx_ne_u16_e32 0x80, v7
	s_cbranch_execz .LBB415_2574
; %bb.2569:                             ;   in Loop: Header=BB415_1576 Depth=1
	v_and_b32_e32 v7, 0x7f, v3
	v_mov_b32_e32 v6, 0x7f800001
	s_mov_b32 s16, exec_lo
	s_delay_alu instid0(VALU_DEP_2)
	v_cmpx_ne_u32_e32 0x7f, v7
	s_cbranch_execz .LBB415_2573
; %bb.2570:                             ;   in Loop: Header=BB415_1576 Depth=1
	v_lshrrev_b32_e32 v84, 3, v7
	v_cmp_gt_u32_e64 s1, 8, v7
	v_dual_mov_b32 v6, v9 :: v_dual_mov_b32 v7, v10
	s_delay_alu instid0(VALU_DEP_2)
	s_and_saveexec_b32 s17, s1
; %bb.2571:                             ;   in Loop: Header=BB415_1576 Depth=1
	v_and_b32_e32 v6, 7, v3
	s_delay_alu instid0(VALU_DEP_1) | instskip(NEXT) | instid1(VALU_DEP_1)
	v_clz_i32_u32_e32 v6, v6
	v_min_u32_e32 v20, 32, v6
	s_delay_alu instid0(VALU_DEP_1) | instskip(SKIP_1) | instid1(VALU_DEP_2)
	v_subrev_nc_u32_e32 v6, 28, v20
	v_sub_nc_u32_e32 v84, 29, v20
	v_lshlrev_b64 v[6:7], v6, v[9:10]
; %bb.2572:                             ;   in Loop: Header=BB415_1576 Depth=1
	s_or_b32 exec_lo, exec_lo, s17
	s_delay_alu instid0(VALU_DEP_1) | instskip(SKIP_2) | instid1(VALU_DEP_3)
	v_lshlrev_b32_e32 v6, 20, v6
	v_lshlrev_b32_e32 v7, 24, v9
	v_lshl_add_u32 v20, v84, 23, 0x3c000000
	v_and_b32_e32 v6, 0x700000, v6
	s_delay_alu instid0(VALU_DEP_3) | instskip(NEXT) | instid1(VALU_DEP_1)
	v_and_b32_e32 v7, 0x80000000, v7
	v_or3_b32 v6, v6, v7, v20
.LBB415_2573:                           ;   in Loop: Header=BB415_1576 Depth=1
	s_or_b32 exec_lo, exec_lo, s16
.LBB415_2574:                           ;   in Loop: Header=BB415_1576 Depth=1
	s_delay_alu instid0(SALU_CYCLE_1)
	s_or_b32 exec_lo, exec_lo, s15
.LBB415_2575:                           ;   in Loop: Header=BB415_1576 Depth=1
	s_delay_alu instid0(SALU_CYCLE_1) | instskip(NEXT) | instid1(VALU_DEP_1)
	s_or_b32 exec_lo, exec_lo, s13
	v_mul_f32_e32 v6, v8, v6
                                        ; implicit-def: $vgpr84
	s_delay_alu instid0(VALU_DEP_1) | instskip(NEXT) | instid1(VALU_DEP_1)
	v_and_b32_e32 v7, 0x7f800000, v6
	v_cmp_ne_u32_e64 s1, 0x7f800000, v7
	s_delay_alu instid0(VALU_DEP_1) | instskip(NEXT) | instid1(SALU_CYCLE_1)
	s_and_saveexec_b32 s13, s1
	s_xor_b32 s1, exec_lo, s13
; %bb.2576:                             ;   in Loop: Header=BB415_1576 Depth=1
	v_bfe_u32 v7, v6, 16, 1
	s_delay_alu instid0(VALU_DEP_1)
	v_add3_u32 v84, v6, v7, 0x7fff
                                        ; implicit-def: $vgpr6
; %bb.2577:                             ;   in Loop: Header=BB415_1576 Depth=1
	s_and_not1_saveexec_b32 s13, s1
; %bb.2578:                             ;   in Loop: Header=BB415_1576 Depth=1
	v_and_b32_e32 v7, 0xffff, v6
	v_or_b32_e32 v20, 0x10000, v6
	s_delay_alu instid0(VALU_DEP_2) | instskip(NEXT) | instid1(VALU_DEP_1)
	v_cmp_eq_u32_e64 s1, 0, v7
	v_cndmask_b32_e64 v84, v20, v6, s1
; %bb.2579:                             ;   in Loop: Header=BB415_1576 Depth=1
	s_or_b32 exec_lo, exec_lo, s13
	v_lshrrev_b16 v7, 8, v9
	v_mov_b32_e32 v6, 0
	s_mov_b32 s13, exec_lo
	s_delay_alu instid0(VALU_DEP_2)
	v_cmpx_ne_u16_e32 0, v7
	s_cbranch_execz .LBB415_2587
; %bb.2580:                             ;   in Loop: Header=BB415_1576 Depth=1
	v_bfrev_b32_e32 v6, 1
	s_mov_b32 s15, exec_lo
	v_cmpx_ne_u16_e32 0x80, v7
	s_cbranch_execz .LBB415_2586
; %bb.2581:                             ;   in Loop: Header=BB415_1576 Depth=1
	v_and_b32_e32 v7, 0xffff, v7
	v_mov_b32_e32 v6, 0x7f800001
	s_mov_b32 s16, exec_lo
	s_delay_alu instid0(VALU_DEP_2) | instskip(NEXT) | instid1(VALU_DEP_1)
	v_and_b32_e32 v62, 0x7f, v7
	v_cmpx_ne_u32_e32 0x7f, v62
	s_cbranch_execz .LBB415_2585
; %bb.2582:                             ;   in Loop: Header=BB415_1576 Depth=1
	v_dual_mov_b32 v7, v10 :: v_dual_and_b32 v6, 7, v7
	v_lshrrev_b32_e32 v85, 3, v62
	s_mov_b32 s17, exec_lo
	v_cmpx_gt_u32_e32 8, v62
; %bb.2583:                             ;   in Loop: Header=BB415_1576 Depth=1
	s_delay_alu instid0(VALU_DEP_3) | instskip(NEXT) | instid1(VALU_DEP_1)
	v_clz_i32_u32_e32 v20, v6
	v_min_u32_e32 v20, 32, v20
	s_delay_alu instid0(VALU_DEP_1) | instskip(SKIP_1) | instid1(VALU_DEP_2)
	v_subrev_nc_u32_e32 v22, 28, v20
	v_sub_nc_u32_e32 v85, 29, v20
	v_lshlrev_b64 v[6:7], v22, v[6:7]
	s_delay_alu instid0(VALU_DEP_1)
	v_and_b32_e32 v6, 7, v6
; %bb.2584:                             ;   in Loop: Header=BB415_1576 Depth=1
	s_or_b32 exec_lo, exec_lo, s17
	v_lshlrev_b32_e32 v7, 16, v9
	s_delay_alu instid0(VALU_DEP_2) | instskip(SKIP_1) | instid1(VALU_DEP_3)
	v_lshlrev_b32_e32 v6, 20, v6
	v_lshl_add_u32 v9, v85, 23, 0x3c000000
	v_and_b32_e32 v7, 0x80000000, v7
	s_delay_alu instid0(VALU_DEP_1)
	v_or3_b32 v6, v6, v7, v9
.LBB415_2585:                           ;   in Loop: Header=BB415_1576 Depth=1
	s_or_b32 exec_lo, exec_lo, s16
.LBB415_2586:                           ;   in Loop: Header=BB415_1576 Depth=1
	s_delay_alu instid0(SALU_CYCLE_1)
	s_or_b32 exec_lo, exec_lo, s15
.LBB415_2587:                           ;   in Loop: Header=BB415_1576 Depth=1
	s_delay_alu instid0(SALU_CYCLE_1) | instskip(NEXT) | instid1(VALU_DEP_1)
	s_or_b32 exec_lo, exec_lo, s13
	v_mul_f32_e32 v6, v8, v6
                                        ; implicit-def: $vgpr85
	s_delay_alu instid0(VALU_DEP_1) | instskip(NEXT) | instid1(VALU_DEP_1)
	v_and_b32_e32 v7, 0x7f800000, v6
	v_cmp_ne_u32_e64 s1, 0x7f800000, v7
	s_delay_alu instid0(VALU_DEP_1) | instskip(NEXT) | instid1(SALU_CYCLE_1)
	s_and_saveexec_b32 s13, s1
	s_xor_b32 s1, exec_lo, s13
; %bb.2588:                             ;   in Loop: Header=BB415_1576 Depth=1
	v_bfe_u32 v7, v6, 16, 1
	s_delay_alu instid0(VALU_DEP_1)
	v_add3_u32 v85, v6, v7, 0x7fff
                                        ; implicit-def: $vgpr6
; %bb.2589:                             ;   in Loop: Header=BB415_1576 Depth=1
	s_and_not1_saveexec_b32 s13, s1
; %bb.2590:                             ;   in Loop: Header=BB415_1576 Depth=1
	v_and_b32_e32 v7, 0xffff, v6
	v_or_b32_e32 v9, 0x10000, v6
	s_delay_alu instid0(VALU_DEP_2) | instskip(NEXT) | instid1(VALU_DEP_1)
	v_cmp_eq_u32_e64 s1, 0, v7
	v_cndmask_b32_e64 v85, v9, v6, s1
; %bb.2591:                             ;   in Loop: Header=BB415_1576 Depth=1
	s_or_b32 exec_lo, exec_lo, s13
	v_lshrrev_b32_e32 v62, 16, v3
	s_mov_b32 s13, exec_lo
	s_delay_alu instid0(VALU_DEP_1) | instskip(NEXT) | instid1(VALU_DEP_1)
	v_dual_mov_b32 v6, 0 :: v_dual_and_b32 v7, 0xff, v62
	v_cmpx_ne_u16_e32 0, v7
	s_cbranch_execz .LBB415_2599
; %bb.2592:                             ;   in Loop: Header=BB415_1576 Depth=1
	v_bfrev_b32_e32 v6, 1
	s_mov_b32 s15, exec_lo
	v_cmpx_ne_u16_e32 0x80, v7
	s_cbranch_execz .LBB415_2598
; %bb.2593:                             ;   in Loop: Header=BB415_1576 Depth=1
	v_bfe_u32 v7, v3, 16, 7
	v_mov_b32_e32 v6, 0x7f800001
	s_mov_b32 s16, exec_lo
	s_delay_alu instid0(VALU_DEP_2)
	v_cmpx_ne_u32_e32 0x7f, v7
	s_cbranch_execz .LBB415_2597
; %bb.2594:                             ;   in Loop: Header=BB415_1576 Depth=1
	v_and_b32_e32 v9, 7, v62
	v_lshrrev_b32_e32 v63, 3, v7
	v_cmp_gt_u32_e64 s1, 8, v7
	s_delay_alu instid0(VALU_DEP_3) | instskip(NEXT) | instid1(VALU_DEP_2)
	v_dual_mov_b32 v6, v9 :: v_dual_mov_b32 v7, v10
	s_and_saveexec_b32 s17, s1
; %bb.2595:                             ;   in Loop: Header=BB415_1576 Depth=1
	v_clz_i32_u32_e32 v6, v9
	s_delay_alu instid0(VALU_DEP_1) | instskip(NEXT) | instid1(VALU_DEP_1)
	v_min_u32_e32 v20, 32, v6
	v_subrev_nc_u32_e32 v6, 28, v20
	v_sub_nc_u32_e32 v63, 29, v20
	s_delay_alu instid0(VALU_DEP_2) | instskip(NEXT) | instid1(VALU_DEP_1)
	v_lshlrev_b64 v[6:7], v6, v[9:10]
	v_and_b32_e32 v6, 7, v6
; %bb.2596:                             ;   in Loop: Header=BB415_1576 Depth=1
	s_or_b32 exec_lo, exec_lo, s17
	v_lshlrev_b32_e32 v7, 24, v62
	s_delay_alu instid0(VALU_DEP_2) | instskip(SKIP_1) | instid1(VALU_DEP_3)
	v_lshlrev_b32_e32 v6, 20, v6
	v_lshl_add_u32 v9, v63, 23, 0x3c000000
	v_and_b32_e32 v7, 0x80000000, v7
	s_delay_alu instid0(VALU_DEP_1)
	v_or3_b32 v6, v6, v7, v9
.LBB415_2597:                           ;   in Loop: Header=BB415_1576 Depth=1
	s_or_b32 exec_lo, exec_lo, s16
.LBB415_2598:                           ;   in Loop: Header=BB415_1576 Depth=1
	s_delay_alu instid0(SALU_CYCLE_1)
	s_or_b32 exec_lo, exec_lo, s15
.LBB415_2599:                           ;   in Loop: Header=BB415_1576 Depth=1
	s_delay_alu instid0(SALU_CYCLE_1) | instskip(NEXT) | instid1(VALU_DEP_1)
	s_or_b32 exec_lo, exec_lo, s13
	v_mul_f32_e32 v6, v8, v6
                                        ; implicit-def: $vgpr62
	s_delay_alu instid0(VALU_DEP_1) | instskip(NEXT) | instid1(VALU_DEP_1)
	v_and_b32_e32 v7, 0x7f800000, v6
	v_cmp_ne_u32_e64 s1, 0x7f800000, v7
	s_delay_alu instid0(VALU_DEP_1) | instskip(NEXT) | instid1(SALU_CYCLE_1)
	s_and_saveexec_b32 s13, s1
	s_xor_b32 s1, exec_lo, s13
; %bb.2600:                             ;   in Loop: Header=BB415_1576 Depth=1
	v_bfe_u32 v7, v6, 16, 1
	s_delay_alu instid0(VALU_DEP_1)
	v_add3_u32 v62, v6, v7, 0x7fff
                                        ; implicit-def: $vgpr6
; %bb.2601:                             ;   in Loop: Header=BB415_1576 Depth=1
	s_and_not1_saveexec_b32 s13, s1
; %bb.2602:                             ;   in Loop: Header=BB415_1576 Depth=1
	v_and_b32_e32 v7, 0xffff, v6
	v_or_b32_e32 v9, 0x10000, v6
	s_delay_alu instid0(VALU_DEP_2) | instskip(NEXT) | instid1(VALU_DEP_1)
	v_cmp_eq_u32_e64 s1, 0, v7
	v_cndmask_b32_e64 v62, v9, v6, s1
; %bb.2603:                             ;   in Loop: Header=BB415_1576 Depth=1
	s_or_b32 exec_lo, exec_lo, s13
	v_cmp_lt_u64_e64 s1, s[4:5], v[2:3]
	v_mov_b32_e32 v2, 0
	s_delay_alu instid0(VALU_DEP_2)
	s_and_saveexec_b32 s13, s1
	s_cbranch_execz .LBB415_2611
; %bb.2604:                             ;   in Loop: Header=BB415_1576 Depth=1
	v_lshrrev_b32_e32 v6, 24, v3
	v_bfrev_b32_e32 v2, 1
	s_mov_b32 s15, exec_lo
	s_delay_alu instid0(VALU_DEP_2)
	v_cmpx_ne_u32_e32 0x80, v6
	s_cbranch_execz .LBB415_2610
; %bb.2605:                             ;   in Loop: Header=BB415_1576 Depth=1
	v_bfe_u32 v3, v3, 24, 7
	v_mov_b32_e32 v2, 0x7f800001
	s_mov_b32 s16, exec_lo
	s_delay_alu instid0(VALU_DEP_2)
	v_cmpx_ne_u32_e32 0x7f, v3
	s_cbranch_execz .LBB415_2609
; %bb.2606:                             ;   in Loop: Header=BB415_1576 Depth=1
	v_and_b32_e32 v9, 7, v6
	v_lshrrev_b32_e32 v7, 3, v3
	v_cmp_gt_u32_e64 s1, 8, v3
	s_delay_alu instid0(VALU_DEP_3) | instskip(NEXT) | instid1(VALU_DEP_2)
	v_dual_mov_b32 v2, v9 :: v_dual_mov_b32 v3, v10
	s_and_saveexec_b32 s17, s1
; %bb.2607:                             ;   in Loop: Header=BB415_1576 Depth=1
	v_clz_i32_u32_e32 v2, v9
	s_delay_alu instid0(VALU_DEP_1) | instskip(NEXT) | instid1(VALU_DEP_1)
	v_min_u32_e32 v7, 32, v2
	v_subrev_nc_u32_e32 v2, 28, v7
	v_sub_nc_u32_e32 v7, 29, v7
	s_delay_alu instid0(VALU_DEP_2) | instskip(NEXT) | instid1(VALU_DEP_1)
	v_lshlrev_b64 v[2:3], v2, v[9:10]
	v_and_b32_e32 v2, 7, v2
; %bb.2608:                             ;   in Loop: Header=BB415_1576 Depth=1
	s_or_b32 exec_lo, exec_lo, s17
	v_lshlrev_b32_e32 v3, 24, v6
	s_delay_alu instid0(VALU_DEP_2) | instskip(SKIP_1) | instid1(VALU_DEP_3)
	v_lshlrev_b32_e32 v2, 20, v2
	v_lshl_add_u32 v6, v7, 23, 0x3c000000
	v_and_b32_e32 v3, 0x80000000, v3
	s_delay_alu instid0(VALU_DEP_1)
	v_or3_b32 v2, v2, v3, v6
.LBB415_2609:                           ;   in Loop: Header=BB415_1576 Depth=1
	s_or_b32 exec_lo, exec_lo, s16
.LBB415_2610:                           ;   in Loop: Header=BB415_1576 Depth=1
	s_delay_alu instid0(SALU_CYCLE_1)
	s_or_b32 exec_lo, exec_lo, s15
.LBB415_2611:                           ;   in Loop: Header=BB415_1576 Depth=1
	s_delay_alu instid0(SALU_CYCLE_1) | instskip(NEXT) | instid1(VALU_DEP_1)
	s_or_b32 exec_lo, exec_lo, s13
	v_mul_f32_e32 v3, v8, v2
	s_delay_alu instid0(VALU_DEP_1) | instskip(NEXT) | instid1(VALU_DEP_1)
	v_and_b32_e32 v2, 0x7f800000, v3
	v_cmp_ne_u32_e64 s1, 0x7f800000, v2
                                        ; implicit-def: $vgpr2
	s_delay_alu instid0(VALU_DEP_1) | instskip(NEXT) | instid1(SALU_CYCLE_1)
	s_and_saveexec_b32 s13, s1
	s_xor_b32 s1, exec_lo, s13
; %bb.2612:                             ;   in Loop: Header=BB415_1576 Depth=1
	v_bfe_u32 v2, v3, 16, 1
	s_delay_alu instid0(VALU_DEP_1)
	v_add3_u32 v2, v3, v2, 0x7fff
                                        ; implicit-def: $vgpr3
; %bb.2613:                             ;   in Loop: Header=BB415_1576 Depth=1
	s_and_not1_saveexec_b32 s13, s1
; %bb.2614:                             ;   in Loop: Header=BB415_1576 Depth=1
	v_and_b32_e32 v2, 0xffff, v3
	v_or_b32_e32 v6, 0x10000, v3
	s_delay_alu instid0(VALU_DEP_2) | instskip(NEXT) | instid1(VALU_DEP_1)
	v_cmp_eq_u32_e64 s1, 0, v2
	v_cndmask_b32_e64 v2, v6, v3, s1
; %bb.2615:                             ;   in Loop: Header=BB415_1576 Depth=1
	s_or_b32 exec_lo, exec_lo, s13
	v_lshrrev_b32_e32 v6, 16, v85
	v_lshrrev_b32_e32 v7, 16, v84
	;; [unrolled: 1-line block ×8, first 2 shown]
	s_and_saveexec_b32 s13, vcc_lo
	s_cbranch_execz .LBB415_2617
; %bb.2616:                             ;   in Loop: Header=BB415_1576 Depth=1
	v_cmp_lt_i32_e64 s1, v70, v86
	s_delay_alu instid0(VALU_DEP_1) | instskip(SKIP_1) | instid1(VALU_DEP_1)
	v_cndmask_b32_e64 v4, 0, v4, s1
	v_cmp_lt_i32_e64 s1, v101, v86
	v_cndmask_b32_e64 v5, 0, v5, s1
	v_cmp_lt_i32_e64 s1, v100, v86
	s_delay_alu instid0(VALU_DEP_1) | instskip(SKIP_1) | instid1(VALU_DEP_1)
	v_cndmask_b32_e64 v21, 0, v21, s1
	v_cmp_lt_i32_e64 s1, v83, v86
	v_cndmask_b32_e64 v9, 0, v9, s1
	v_cmp_lt_i32_e64 s1, v82, v86
	s_delay_alu instid0(VALU_DEP_1) | instskip(SKIP_1) | instid1(VALU_DEP_1)
	v_cndmask_b32_e64 v7, 0, v7, s1
	v_cmp_lt_i32_e64 s1, v81, v86
	v_cndmask_b32_e64 v6, 0, v6, s1
	v_cmp_lt_i32_e64 s1, v80, v86
	s_delay_alu instid0(VALU_DEP_1) | instskip(SKIP_1) | instid1(VALU_DEP_1)
	v_cndmask_b32_e64 v3, 0, v3, s1
	v_cmp_lt_i32_e64 s1, v71, v86
	v_cndmask_b32_e64 v2, 0, v2, s1
.LBB415_2617:                           ;   in Loop: Header=BB415_1576 Depth=1
	s_or_b32 exec_lo, exec_lo, s13
	v_lshlrev_b32_e32 v4, 16, v4
                                        ; implicit-def: $vgpr62
	s_delay_alu instid0(VALU_DEP_1) | instskip(NEXT) | instid1(VALU_DEP_1)
	v_mul_f32_e32 v4, v102, v4
	v_and_b32_e32 v20, 0x7f800000, v4
	s_delay_alu instid0(VALU_DEP_1) | instskip(NEXT) | instid1(VALU_DEP_1)
	v_cmp_ne_u32_e64 s1, 0x7f800000, v20
	s_and_saveexec_b32 s13, s1
	s_delay_alu instid0(SALU_CYCLE_1)
	s_xor_b32 s1, exec_lo, s13
; %bb.2618:                             ;   in Loop: Header=BB415_1576 Depth=1
	v_bfe_u32 v20, v4, 16, 1
	s_delay_alu instid0(VALU_DEP_1)
	v_add3_u32 v62, v4, v20, 0x7fff
                                        ; implicit-def: $vgpr4
; %bb.2619:                             ;   in Loop: Header=BB415_1576 Depth=1
	s_and_not1_saveexec_b32 s13, s1
; %bb.2620:                             ;   in Loop: Header=BB415_1576 Depth=1
	v_and_b32_e32 v20, 0xffff, v4
	v_or_b32_e32 v22, 0x10000, v4
	s_delay_alu instid0(VALU_DEP_2) | instskip(NEXT) | instid1(VALU_DEP_1)
	v_cmp_eq_u32_e64 s1, 0, v20
	v_cndmask_b32_e64 v62, v22, v4, s1
; %bb.2621:                             ;   in Loop: Header=BB415_1576 Depth=1
	s_or_b32 exec_lo, exec_lo, s13
	v_lshlrev_b32_e32 v4, 16, v5
                                        ; implicit-def: $vgpr63
	s_delay_alu instid0(VALU_DEP_1) | instskip(NEXT) | instid1(VALU_DEP_1)
	v_mul_f32_e32 v4, v103, v4
	v_and_b32_e32 v5, 0x7f800000, v4
	s_delay_alu instid0(VALU_DEP_1) | instskip(NEXT) | instid1(VALU_DEP_1)
	v_cmp_ne_u32_e64 s1, 0x7f800000, v5
	s_and_saveexec_b32 s13, s1
	s_delay_alu instid0(SALU_CYCLE_1)
	s_xor_b32 s1, exec_lo, s13
; %bb.2622:                             ;   in Loop: Header=BB415_1576 Depth=1
	v_bfe_u32 v5, v4, 16, 1
	s_delay_alu instid0(VALU_DEP_1)
	v_add3_u32 v63, v4, v5, 0x7fff
                                        ; implicit-def: $vgpr4
; %bb.2623:                             ;   in Loop: Header=BB415_1576 Depth=1
	s_and_not1_saveexec_b32 s13, s1
; %bb.2624:                             ;   in Loop: Header=BB415_1576 Depth=1
	v_and_b32_e32 v5, 0xffff, v4
	v_or_b32_e32 v20, 0x10000, v4
	s_delay_alu instid0(VALU_DEP_2) | instskip(NEXT) | instid1(VALU_DEP_1)
	v_cmp_eq_u32_e64 s1, 0, v5
	v_cndmask_b32_e64 v63, v20, v4, s1
; %bb.2625:                             ;   in Loop: Header=BB415_1576 Depth=1
	s_or_b32 exec_lo, exec_lo, s13
	v_lshlrev_b32_e32 v4, 16, v21
                                        ; implicit-def: $vgpr72
	s_delay_alu instid0(VALU_DEP_1) | instskip(NEXT) | instid1(VALU_DEP_1)
	v_mul_f32_e32 v4, v112, v4
	v_and_b32_e32 v5, 0x7f800000, v4
	s_delay_alu instid0(VALU_DEP_1) | instskip(NEXT) | instid1(VALU_DEP_1)
	v_cmp_ne_u32_e64 s1, 0x7f800000, v5
	s_and_saveexec_b32 s13, s1
	s_delay_alu instid0(SALU_CYCLE_1)
	s_xor_b32 s1, exec_lo, s13
; %bb.2626:                             ;   in Loop: Header=BB415_1576 Depth=1
	v_bfe_u32 v5, v4, 16, 1
	s_delay_alu instid0(VALU_DEP_1)
	v_add3_u32 v72, v4, v5, 0x7fff
                                        ; implicit-def: $vgpr4
; %bb.2627:                             ;   in Loop: Header=BB415_1576 Depth=1
	s_and_not1_saveexec_b32 s13, s1
; %bb.2628:                             ;   in Loop: Header=BB415_1576 Depth=1
	v_and_b32_e32 v5, 0xffff, v4
	v_or_b32_e32 v20, 0x10000, v4
	s_delay_alu instid0(VALU_DEP_2) | instskip(NEXT) | instid1(VALU_DEP_1)
	v_cmp_eq_u32_e64 s1, 0, v5
	v_cndmask_b32_e64 v72, v20, v4, s1
; %bb.2629:                             ;   in Loop: Header=BB415_1576 Depth=1
	s_or_b32 exec_lo, exec_lo, s13
	v_lshlrev_b32_e32 v4, 16, v9
                                        ; implicit-def: $vgpr73
	s_delay_alu instid0(VALU_DEP_1) | instskip(NEXT) | instid1(VALU_DEP_1)
	v_mul_f32_e32 v4, v113, v4
	v_and_b32_e32 v5, 0x7f800000, v4
	s_delay_alu instid0(VALU_DEP_1) | instskip(NEXT) | instid1(VALU_DEP_1)
	v_cmp_ne_u32_e64 s1, 0x7f800000, v5
	s_and_saveexec_b32 s13, s1
	s_delay_alu instid0(SALU_CYCLE_1)
	s_xor_b32 s1, exec_lo, s13
; %bb.2630:                             ;   in Loop: Header=BB415_1576 Depth=1
	v_bfe_u32 v5, v4, 16, 1
	s_delay_alu instid0(VALU_DEP_1)
	v_add3_u32 v73, v4, v5, 0x7fff
                                        ; implicit-def: $vgpr4
; %bb.2631:                             ;   in Loop: Header=BB415_1576 Depth=1
	s_and_not1_saveexec_b32 s13, s1
; %bb.2632:                             ;   in Loop: Header=BB415_1576 Depth=1
	v_and_b32_e32 v5, 0xffff, v4
	v_or_b32_e32 v9, 0x10000, v4
	s_delay_alu instid0(VALU_DEP_2) | instskip(NEXT) | instid1(VALU_DEP_1)
	v_cmp_eq_u32_e64 s1, 0, v5
	v_cndmask_b32_e64 v73, v9, v4, s1
; %bb.2633:                             ;   in Loop: Header=BB415_1576 Depth=1
	s_or_b32 exec_lo, exec_lo, s13
	v_lshlrev_b32_e32 v4, 16, v7
                                        ; implicit-def: $vgpr74
	s_delay_alu instid0(VALU_DEP_1) | instskip(NEXT) | instid1(VALU_DEP_1)
	v_mul_f32_e32 v4, v114, v4
	v_and_b32_e32 v5, 0x7f800000, v4
	s_delay_alu instid0(VALU_DEP_1) | instskip(NEXT) | instid1(VALU_DEP_1)
	v_cmp_ne_u32_e64 s1, 0x7f800000, v5
	s_and_saveexec_b32 s13, s1
	s_delay_alu instid0(SALU_CYCLE_1)
	s_xor_b32 s1, exec_lo, s13
; %bb.2634:                             ;   in Loop: Header=BB415_1576 Depth=1
	v_bfe_u32 v5, v4, 16, 1
	s_delay_alu instid0(VALU_DEP_1)
	v_add3_u32 v74, v4, v5, 0x7fff
                                        ; implicit-def: $vgpr4
; %bb.2635:                             ;   in Loop: Header=BB415_1576 Depth=1
	s_and_not1_saveexec_b32 s13, s1
; %bb.2636:                             ;   in Loop: Header=BB415_1576 Depth=1
	v_and_b32_e32 v5, 0xffff, v4
	v_or_b32_e32 v7, 0x10000, v4
	s_delay_alu instid0(VALU_DEP_2) | instskip(NEXT) | instid1(VALU_DEP_1)
	v_cmp_eq_u32_e64 s1, 0, v5
	v_cndmask_b32_e64 v74, v7, v4, s1
; %bb.2637:                             ;   in Loop: Header=BB415_1576 Depth=1
	s_or_b32 exec_lo, exec_lo, s13
	v_lshlrev_b32_e32 v4, 16, v6
                                        ; implicit-def: $vgpr75
	s_delay_alu instid0(VALU_DEP_1) | instskip(NEXT) | instid1(VALU_DEP_1)
	v_mul_f32_e32 v4, v115, v4
	v_and_b32_e32 v5, 0x7f800000, v4
	s_delay_alu instid0(VALU_DEP_1) | instskip(NEXT) | instid1(VALU_DEP_1)
	v_cmp_ne_u32_e64 s1, 0x7f800000, v5
	s_and_saveexec_b32 s13, s1
	s_delay_alu instid0(SALU_CYCLE_1)
	s_xor_b32 s1, exec_lo, s13
; %bb.2638:                             ;   in Loop: Header=BB415_1576 Depth=1
	v_bfe_u32 v5, v4, 16, 1
	s_delay_alu instid0(VALU_DEP_1)
	v_add3_u32 v75, v4, v5, 0x7fff
                                        ; implicit-def: $vgpr4
; %bb.2639:                             ;   in Loop: Header=BB415_1576 Depth=1
	s_and_not1_saveexec_b32 s13, s1
; %bb.2640:                             ;   in Loop: Header=BB415_1576 Depth=1
	v_and_b32_e32 v5, 0xffff, v4
	v_or_b32_e32 v6, 0x10000, v4
	s_delay_alu instid0(VALU_DEP_2) | instskip(NEXT) | instid1(VALU_DEP_1)
	v_cmp_eq_u32_e64 s1, 0, v5
	v_cndmask_b32_e64 v75, v6, v4, s1
; %bb.2641:                             ;   in Loop: Header=BB415_1576 Depth=1
	s_or_b32 exec_lo, exec_lo, s13
	v_lshlrev_b32_e32 v3, 16, v3
                                        ; implicit-def: $vgpr76
	s_delay_alu instid0(VALU_DEP_1) | instskip(NEXT) | instid1(VALU_DEP_1)
	v_mul_f32_e32 v3, v116, v3
	v_and_b32_e32 v4, 0x7f800000, v3
	s_delay_alu instid0(VALU_DEP_1) | instskip(NEXT) | instid1(VALU_DEP_1)
	v_cmp_ne_u32_e64 s1, 0x7f800000, v4
	s_and_saveexec_b32 s13, s1
	s_delay_alu instid0(SALU_CYCLE_1)
	s_xor_b32 s1, exec_lo, s13
; %bb.2642:                             ;   in Loop: Header=BB415_1576 Depth=1
	v_bfe_u32 v4, v3, 16, 1
	s_delay_alu instid0(VALU_DEP_1)
	v_add3_u32 v76, v3, v4, 0x7fff
                                        ; implicit-def: $vgpr3
; %bb.2643:                             ;   in Loop: Header=BB415_1576 Depth=1
	s_and_not1_saveexec_b32 s13, s1
; %bb.2644:                             ;   in Loop: Header=BB415_1576 Depth=1
	v_and_b32_e32 v4, 0xffff, v3
	v_or_b32_e32 v5, 0x10000, v3
	s_delay_alu instid0(VALU_DEP_2) | instskip(NEXT) | instid1(VALU_DEP_1)
	v_cmp_eq_u32_e64 s1, 0, v4
	v_cndmask_b32_e64 v76, v5, v3, s1
; %bb.2645:                             ;   in Loop: Header=BB415_1576 Depth=1
	s_or_b32 exec_lo, exec_lo, s13
	v_lshlrev_b32_e32 v2, 16, v2
                                        ; implicit-def: $vgpr77
	s_delay_alu instid0(VALU_DEP_1) | instskip(NEXT) | instid1(VALU_DEP_1)
	v_mul_f32_e32 v2, v117, v2
	v_and_b32_e32 v3, 0x7f800000, v2
	s_delay_alu instid0(VALU_DEP_1) | instskip(NEXT) | instid1(VALU_DEP_1)
	v_cmp_ne_u32_e64 s1, 0x7f800000, v3
	s_and_saveexec_b32 s13, s1
	s_delay_alu instid0(SALU_CYCLE_1)
	s_xor_b32 s1, exec_lo, s13
; %bb.2646:                             ;   in Loop: Header=BB415_1576 Depth=1
	v_bfe_u32 v3, v2, 16, 1
	s_delay_alu instid0(VALU_DEP_1)
	v_add3_u32 v77, v2, v3, 0x7fff
                                        ; implicit-def: $vgpr2
; %bb.2647:                             ;   in Loop: Header=BB415_1576 Depth=1
	s_and_not1_saveexec_b32 s13, s1
; %bb.2648:                             ;   in Loop: Header=BB415_1576 Depth=1
	v_and_b32_e32 v3, 0xffff, v2
	v_or_b32_e32 v4, 0x10000, v2
	s_delay_alu instid0(VALU_DEP_2) | instskip(NEXT) | instid1(VALU_DEP_1)
	v_cmp_eq_u32_e64 s1, 0, v3
	v_cndmask_b32_e64 v77, v4, v2, s1
; %bb.2649:                             ;   in Loop: Header=BB415_1576 Depth=1
	s_or_b32 exec_lo, exec_lo, s13
	flat_load_b64 v[2:3], v[0:1] offset:2048
	s_mov_b32 s13, exec_lo
	s_waitcnt vmcnt(0) lgkmcnt(0)
	v_dual_mov_b32 v4, 0 :: v_dual_and_b32 v5, 0xff, v2
	s_delay_alu instid0(VALU_DEP_1)
	v_cmpx_ne_u16_e32 0, v5
	s_cbranch_execz .LBB415_2657
; %bb.2650:                             ;   in Loop: Header=BB415_1576 Depth=1
	v_bfrev_b32_e32 v4, 1
	s_mov_b32 s15, exec_lo
	v_cmpx_ne_u16_e32 0x80, v5
	s_cbranch_execz .LBB415_2656
; %bb.2651:                             ;   in Loop: Header=BB415_1576 Depth=1
	v_and_b32_e32 v5, 0x7f, v2
	v_mov_b32_e32 v4, 0x7f800001
	s_mov_b32 s16, exec_lo
	s_delay_alu instid0(VALU_DEP_2)
	v_cmpx_ne_u32_e32 0x7f, v5
	s_cbranch_execz .LBB415_2655
; %bb.2652:                             ;   in Loop: Header=BB415_1576 Depth=1
	v_lshrrev_b32_e32 v4, 3, v5
	v_dual_mov_b32 v7, v3 :: v_dual_mov_b32 v6, v2
	s_mov_b32 s17, exec_lo
	v_cmpx_gt_u32_e32 8, v5
; %bb.2653:                             ;   in Loop: Header=BB415_1576 Depth=1
	v_and_b32_e32 v4, 7, v2
	s_delay_alu instid0(VALU_DEP_1) | instskip(NEXT) | instid1(VALU_DEP_1)
	v_clz_i32_u32_e32 v4, v4
	v_min_u32_e32 v4, 32, v4
	s_delay_alu instid0(VALU_DEP_1) | instskip(SKIP_1) | instid1(VALU_DEP_2)
	v_subrev_nc_u32_e32 v5, 28, v4
	v_sub_nc_u32_e32 v4, 29, v4
	v_lshlrev_b64 v[6:7], v5, v[2:3]
; %bb.2654:                             ;   in Loop: Header=BB415_1576 Depth=1
	s_or_b32 exec_lo, exec_lo, s17
	s_delay_alu instid0(VALU_DEP_1) | instskip(SKIP_2) | instid1(VALU_DEP_3)
	v_lshlrev_b32_e32 v5, 20, v6
	v_lshlrev_b32_e32 v6, 24, v2
	v_lshl_add_u32 v4, v4, 23, 0x3c000000
	v_and_b32_e32 v5, 0x700000, v5
	s_delay_alu instid0(VALU_DEP_3) | instskip(NEXT) | instid1(VALU_DEP_1)
	v_and_b32_e32 v6, 0x80000000, v6
	v_or3_b32 v4, v5, v6, v4
.LBB415_2655:                           ;   in Loop: Header=BB415_1576 Depth=1
	s_or_b32 exec_lo, exec_lo, s16
.LBB415_2656:                           ;   in Loop: Header=BB415_1576 Depth=1
	s_delay_alu instid0(SALU_CYCLE_1)
	s_or_b32 exec_lo, exec_lo, s15
.LBB415_2657:                           ;   in Loop: Header=BB415_1576 Depth=1
	s_delay_alu instid0(SALU_CYCLE_1) | instskip(NEXT) | instid1(VALU_DEP_1)
	s_or_b32 exec_lo, exec_lo, s13
	v_mul_f32_e32 v5, v8, v4
	s_delay_alu instid0(VALU_DEP_1) | instskip(NEXT) | instid1(VALU_DEP_1)
	v_and_b32_e32 v4, 0x7f800000, v5
	v_cmp_ne_u32_e64 s1, 0x7f800000, v4
                                        ; implicit-def: $vgpr4
	s_delay_alu instid0(VALU_DEP_1) | instskip(NEXT) | instid1(SALU_CYCLE_1)
	s_and_saveexec_b32 s13, s1
	s_xor_b32 s1, exec_lo, s13
; %bb.2658:                             ;   in Loop: Header=BB415_1576 Depth=1
	v_bfe_u32 v4, v5, 16, 1
	s_delay_alu instid0(VALU_DEP_1)
	v_add3_u32 v4, v5, v4, 0x7fff
                                        ; implicit-def: $vgpr5
; %bb.2659:                             ;   in Loop: Header=BB415_1576 Depth=1
	s_and_not1_saveexec_b32 s13, s1
; %bb.2660:                             ;   in Loop: Header=BB415_1576 Depth=1
	v_and_b32_e32 v4, 0xffff, v5
	v_or_b32_e32 v6, 0x10000, v5
	s_delay_alu instid0(VALU_DEP_2) | instskip(NEXT) | instid1(VALU_DEP_1)
	v_cmp_eq_u32_e64 s1, 0, v4
	v_cndmask_b32_e64 v4, v6, v5, s1
; %bb.2661:                             ;   in Loop: Header=BB415_1576 Depth=1
	s_or_b32 exec_lo, exec_lo, s13
	v_lshrrev_b16 v6, 8, v2
	v_mov_b32_e32 v5, 0
	s_mov_b32 s13, exec_lo
	s_delay_alu instid0(VALU_DEP_2)
	v_cmpx_ne_u16_e32 0, v6
	s_cbranch_execz .LBB415_2669
; %bb.2662:                             ;   in Loop: Header=BB415_1576 Depth=1
	v_bfrev_b32_e32 v5, 1
	s_mov_b32 s15, exec_lo
	v_cmpx_ne_u16_e32 0x80, v6
	s_cbranch_execz .LBB415_2668
; %bb.2663:                             ;   in Loop: Header=BB415_1576 Depth=1
	v_and_b32_e32 v7, 0xffff, v6
	v_mov_b32_e32 v5, 0x7f800001
	s_mov_b32 s16, exec_lo
	s_delay_alu instid0(VALU_DEP_2) | instskip(NEXT) | instid1(VALU_DEP_1)
	v_and_b32_e32 v6, 0x7f, v7
	v_cmpx_ne_u32_e32 0x7f, v6
	s_cbranch_execz .LBB415_2667
; %bb.2664:                             ;   in Loop: Header=BB415_1576 Depth=1
	v_and_b32_e32 v9, 7, v7
	v_lshrrev_b32_e32 v5, 3, v6
	v_cmp_gt_u32_e64 s1, 8, v6
	s_delay_alu instid0(VALU_DEP_3) | instskip(NEXT) | instid1(VALU_DEP_2)
	v_dual_mov_b32 v6, v9 :: v_dual_mov_b32 v7, v10
	s_and_saveexec_b32 s17, s1
; %bb.2665:                             ;   in Loop: Header=BB415_1576 Depth=1
	v_clz_i32_u32_e32 v5, v9
	s_delay_alu instid0(VALU_DEP_1) | instskip(NEXT) | instid1(VALU_DEP_1)
	v_min_u32_e32 v5, 32, v5
	v_subrev_nc_u32_e32 v6, 28, v5
	v_sub_nc_u32_e32 v5, 29, v5
	s_delay_alu instid0(VALU_DEP_2) | instskip(NEXT) | instid1(VALU_DEP_1)
	v_lshlrev_b64 v[6:7], v6, v[9:10]
	v_and_b32_e32 v6, 7, v6
; %bb.2666:                             ;   in Loop: Header=BB415_1576 Depth=1
	s_or_b32 exec_lo, exec_lo, s17
	v_lshlrev_b32_e32 v7, 16, v2
	s_delay_alu instid0(VALU_DEP_2) | instskip(SKIP_1) | instid1(VALU_DEP_3)
	v_lshlrev_b32_e32 v6, 20, v6
	v_lshl_add_u32 v5, v5, 23, 0x3c000000
	v_and_b32_e32 v7, 0x80000000, v7
	s_delay_alu instid0(VALU_DEP_1)
	v_or3_b32 v5, v6, v7, v5
.LBB415_2667:                           ;   in Loop: Header=BB415_1576 Depth=1
	s_or_b32 exec_lo, exec_lo, s16
.LBB415_2668:                           ;   in Loop: Header=BB415_1576 Depth=1
	s_delay_alu instid0(SALU_CYCLE_1)
	s_or_b32 exec_lo, exec_lo, s15
.LBB415_2669:                           ;   in Loop: Header=BB415_1576 Depth=1
	s_delay_alu instid0(SALU_CYCLE_1) | instskip(NEXT) | instid1(VALU_DEP_1)
	s_or_b32 exec_lo, exec_lo, s13
	v_mul_f32_e32 v6, v8, v5
	s_delay_alu instid0(VALU_DEP_1) | instskip(NEXT) | instid1(VALU_DEP_1)
	v_and_b32_e32 v5, 0x7f800000, v6
	v_cmp_ne_u32_e64 s1, 0x7f800000, v5
                                        ; implicit-def: $vgpr5
	s_delay_alu instid0(VALU_DEP_1) | instskip(NEXT) | instid1(SALU_CYCLE_1)
	s_and_saveexec_b32 s13, s1
	s_xor_b32 s1, exec_lo, s13
; %bb.2670:                             ;   in Loop: Header=BB415_1576 Depth=1
	v_bfe_u32 v5, v6, 16, 1
	s_delay_alu instid0(VALU_DEP_1)
	v_add3_u32 v5, v6, v5, 0x7fff
                                        ; implicit-def: $vgpr6
; %bb.2671:                             ;   in Loop: Header=BB415_1576 Depth=1
	s_and_not1_saveexec_b32 s13, s1
; %bb.2672:                             ;   in Loop: Header=BB415_1576 Depth=1
	v_and_b32_e32 v5, 0xffff, v6
	v_or_b32_e32 v7, 0x10000, v6
	s_delay_alu instid0(VALU_DEP_2) | instskip(NEXT) | instid1(VALU_DEP_1)
	v_cmp_eq_u32_e64 s1, 0, v5
	v_cndmask_b32_e64 v5, v7, v6, s1
; %bb.2673:                             ;   in Loop: Header=BB415_1576 Depth=1
	s_or_b32 exec_lo, exec_lo, s13
	v_lshrrev_b32_e32 v21, 16, v2
	s_mov_b32 s13, exec_lo
	s_delay_alu instid0(VALU_DEP_1) | instskip(NEXT) | instid1(VALU_DEP_1)
	v_dual_mov_b32 v6, 0 :: v_dual_and_b32 v7, 0xff, v21
	v_cmpx_ne_u16_e32 0, v7
	s_cbranch_execz .LBB415_2681
; %bb.2674:                             ;   in Loop: Header=BB415_1576 Depth=1
	v_bfrev_b32_e32 v6, 1
	s_mov_b32 s15, exec_lo
	v_cmpx_ne_u16_e32 0x80, v7
	s_cbranch_execz .LBB415_2680
; %bb.2675:                             ;   in Loop: Header=BB415_1576 Depth=1
	v_bfe_u32 v7, v2, 16, 7
	v_mov_b32_e32 v6, 0x7f800001
	s_mov_b32 s16, exec_lo
	s_delay_alu instid0(VALU_DEP_2)
	v_cmpx_ne_u32_e32 0x7f, v7
	s_cbranch_execz .LBB415_2679
; %bb.2676:                             ;   in Loop: Header=BB415_1576 Depth=1
	v_and_b32_e32 v9, 7, v21
	v_lshrrev_b32_e32 v39, 3, v7
	v_cmp_gt_u32_e64 s1, 8, v7
	s_delay_alu instid0(VALU_DEP_3) | instskip(NEXT) | instid1(VALU_DEP_2)
	v_dual_mov_b32 v6, v9 :: v_dual_mov_b32 v7, v10
	s_and_saveexec_b32 s17, s1
; %bb.2677:                             ;   in Loop: Header=BB415_1576 Depth=1
	v_clz_i32_u32_e32 v6, v9
	s_delay_alu instid0(VALU_DEP_1) | instskip(NEXT) | instid1(VALU_DEP_1)
	v_min_u32_e32 v20, 32, v6
	v_subrev_nc_u32_e32 v6, 28, v20
	v_sub_nc_u32_e32 v39, 29, v20
	s_delay_alu instid0(VALU_DEP_2) | instskip(NEXT) | instid1(VALU_DEP_1)
	v_lshlrev_b64 v[6:7], v6, v[9:10]
	v_and_b32_e32 v6, 7, v6
; %bb.2678:                             ;   in Loop: Header=BB415_1576 Depth=1
	s_or_b32 exec_lo, exec_lo, s17
	v_lshlrev_b32_e32 v7, 24, v21
	s_delay_alu instid0(VALU_DEP_2) | instskip(SKIP_1) | instid1(VALU_DEP_3)
	v_lshlrev_b32_e32 v6, 20, v6
	v_lshl_add_u32 v9, v39, 23, 0x3c000000
	v_and_b32_e32 v7, 0x80000000, v7
	s_delay_alu instid0(VALU_DEP_1)
	v_or3_b32 v6, v6, v7, v9
.LBB415_2679:                           ;   in Loop: Header=BB415_1576 Depth=1
	s_or_b32 exec_lo, exec_lo, s16
.LBB415_2680:                           ;   in Loop: Header=BB415_1576 Depth=1
	s_delay_alu instid0(SALU_CYCLE_1)
	s_or_b32 exec_lo, exec_lo, s15
.LBB415_2681:                           ;   in Loop: Header=BB415_1576 Depth=1
	s_delay_alu instid0(SALU_CYCLE_1) | instskip(NEXT) | instid1(VALU_DEP_1)
	s_or_b32 exec_lo, exec_lo, s13
	v_mul_f32_e32 v6, v8, v6
                                        ; implicit-def: $vgpr21
	s_delay_alu instid0(VALU_DEP_1) | instskip(NEXT) | instid1(VALU_DEP_1)
	v_and_b32_e32 v7, 0x7f800000, v6
	v_cmp_ne_u32_e64 s1, 0x7f800000, v7
	s_delay_alu instid0(VALU_DEP_1) | instskip(NEXT) | instid1(SALU_CYCLE_1)
	s_and_saveexec_b32 s13, s1
	s_xor_b32 s1, exec_lo, s13
; %bb.2682:                             ;   in Loop: Header=BB415_1576 Depth=1
	v_bfe_u32 v7, v6, 16, 1
	s_delay_alu instid0(VALU_DEP_1)
	v_add3_u32 v21, v6, v7, 0x7fff
                                        ; implicit-def: $vgpr6
; %bb.2683:                             ;   in Loop: Header=BB415_1576 Depth=1
	s_and_not1_saveexec_b32 s13, s1
; %bb.2684:                             ;   in Loop: Header=BB415_1576 Depth=1
	v_and_b32_e32 v7, 0xffff, v6
	v_or_b32_e32 v9, 0x10000, v6
	s_delay_alu instid0(VALU_DEP_2) | instskip(NEXT) | instid1(VALU_DEP_1)
	v_cmp_eq_u32_e64 s1, 0, v7
	v_cndmask_b32_e64 v21, v9, v6, s1
; %bb.2685:                             ;   in Loop: Header=BB415_1576 Depth=1
	s_or_b32 exec_lo, exec_lo, s13
	v_mov_b32_e32 v6, 0
	s_mov_b32 s13, exec_lo
	v_cmpx_lt_u32_e32 0xffffff, v2
	s_cbranch_execz .LBB415_2693
; %bb.2686:                             ;   in Loop: Header=BB415_1576 Depth=1
	v_lshrrev_b32_e32 v39, 24, v2
	v_bfrev_b32_e32 v6, 1
	s_mov_b32 s15, exec_lo
	s_delay_alu instid0(VALU_DEP_2)
	v_cmpx_ne_u32_e32 0x80, v39
	s_cbranch_execz .LBB415_2692
; %bb.2687:                             ;   in Loop: Header=BB415_1576 Depth=1
	v_bfe_u32 v7, v2, 24, 7
	v_mov_b32_e32 v6, 0x7f800001
	s_mov_b32 s16, exec_lo
	s_delay_alu instid0(VALU_DEP_2)
	v_cmpx_ne_u32_e32 0x7f, v7
	s_cbranch_execz .LBB415_2691
; %bb.2688:                             ;   in Loop: Header=BB415_1576 Depth=1
	v_and_b32_e32 v9, 7, v39
	v_lshrrev_b32_e32 v84, 3, v7
	v_cmp_gt_u32_e64 s1, 8, v7
	s_delay_alu instid0(VALU_DEP_3) | instskip(NEXT) | instid1(VALU_DEP_2)
	v_dual_mov_b32 v6, v9 :: v_dual_mov_b32 v7, v10
	s_and_saveexec_b32 s17, s1
; %bb.2689:                             ;   in Loop: Header=BB415_1576 Depth=1
	v_clz_i32_u32_e32 v6, v9
	s_delay_alu instid0(VALU_DEP_1) | instskip(NEXT) | instid1(VALU_DEP_1)
	v_min_u32_e32 v20, 32, v6
	v_subrev_nc_u32_e32 v6, 28, v20
	v_sub_nc_u32_e32 v84, 29, v20
	s_delay_alu instid0(VALU_DEP_2) | instskip(NEXT) | instid1(VALU_DEP_1)
	v_lshlrev_b64 v[6:7], v6, v[9:10]
	v_and_b32_e32 v6, 7, v6
; %bb.2690:                             ;   in Loop: Header=BB415_1576 Depth=1
	s_or_b32 exec_lo, exec_lo, s17
	v_lshlrev_b32_e32 v7, 24, v39
	s_delay_alu instid0(VALU_DEP_2) | instskip(SKIP_1) | instid1(VALU_DEP_3)
	v_lshlrev_b32_e32 v6, 20, v6
	v_lshl_add_u32 v9, v84, 23, 0x3c000000
	v_and_b32_e32 v7, 0x80000000, v7
	s_delay_alu instid0(VALU_DEP_1)
	v_or3_b32 v6, v6, v7, v9
.LBB415_2691:                           ;   in Loop: Header=BB415_1576 Depth=1
	s_or_b32 exec_lo, exec_lo, s16
.LBB415_2692:                           ;   in Loop: Header=BB415_1576 Depth=1
	s_delay_alu instid0(SALU_CYCLE_1)
	s_or_b32 exec_lo, exec_lo, s15
.LBB415_2693:                           ;   in Loop: Header=BB415_1576 Depth=1
	s_delay_alu instid0(SALU_CYCLE_1) | instskip(NEXT) | instid1(VALU_DEP_1)
	s_or_b32 exec_lo, exec_lo, s13
	v_mul_f32_e32 v6, v8, v6
                                        ; implicit-def: $vgpr39
	s_delay_alu instid0(VALU_DEP_1) | instskip(NEXT) | instid1(VALU_DEP_1)
	v_and_b32_e32 v7, 0x7f800000, v6
	v_cmp_ne_u32_e64 s1, 0x7f800000, v7
	s_delay_alu instid0(VALU_DEP_1) | instskip(NEXT) | instid1(SALU_CYCLE_1)
	s_and_saveexec_b32 s13, s1
	s_xor_b32 s1, exec_lo, s13
; %bb.2694:                             ;   in Loop: Header=BB415_1576 Depth=1
	v_bfe_u32 v7, v6, 16, 1
	s_delay_alu instid0(VALU_DEP_1)
	v_add3_u32 v39, v6, v7, 0x7fff
                                        ; implicit-def: $vgpr6
; %bb.2695:                             ;   in Loop: Header=BB415_1576 Depth=1
	s_and_not1_saveexec_b32 s13, s1
; %bb.2696:                             ;   in Loop: Header=BB415_1576 Depth=1
	v_and_b32_e32 v7, 0xffff, v6
	v_or_b32_e32 v9, 0x10000, v6
	s_delay_alu instid0(VALU_DEP_2) | instskip(NEXT) | instid1(VALU_DEP_1)
	v_cmp_eq_u32_e64 s1, 0, v7
	v_cndmask_b32_e64 v39, v9, v6, s1
; %bb.2697:                             ;   in Loop: Header=BB415_1576 Depth=1
	s_or_b32 exec_lo, exec_lo, s13
	v_dual_mov_b32 v6, 0 :: v_dual_and_b32 v7, 0xff, v3
	v_mov_b32_e32 v9, v3
	s_mov_b32 s13, exec_lo
	s_delay_alu instid0(VALU_DEP_2)
	v_cmpx_ne_u16_e32 0, v7
	s_cbranch_execz .LBB415_2705
; %bb.2698:                             ;   in Loop: Header=BB415_1576 Depth=1
	v_bfrev_b32_e32 v6, 1
	s_mov_b32 s15, exec_lo
	v_cmpx_ne_u16_e32 0x80, v7
	s_cbranch_execz .LBB415_2704
; %bb.2699:                             ;   in Loop: Header=BB415_1576 Depth=1
	v_and_b32_e32 v7, 0x7f, v3
	v_mov_b32_e32 v6, 0x7f800001
	s_mov_b32 s16, exec_lo
	s_delay_alu instid0(VALU_DEP_2)
	v_cmpx_ne_u32_e32 0x7f, v7
	s_cbranch_execz .LBB415_2703
; %bb.2700:                             ;   in Loop: Header=BB415_1576 Depth=1
	v_lshrrev_b32_e32 v84, 3, v7
	v_cmp_gt_u32_e64 s1, 8, v7
	v_dual_mov_b32 v6, v9 :: v_dual_mov_b32 v7, v10
	s_delay_alu instid0(VALU_DEP_2)
	s_and_saveexec_b32 s17, s1
; %bb.2701:                             ;   in Loop: Header=BB415_1576 Depth=1
	v_and_b32_e32 v6, 7, v3
	s_delay_alu instid0(VALU_DEP_1) | instskip(NEXT) | instid1(VALU_DEP_1)
	v_clz_i32_u32_e32 v6, v6
	v_min_u32_e32 v20, 32, v6
	s_delay_alu instid0(VALU_DEP_1) | instskip(SKIP_1) | instid1(VALU_DEP_2)
	v_subrev_nc_u32_e32 v6, 28, v20
	v_sub_nc_u32_e32 v84, 29, v20
	v_lshlrev_b64 v[6:7], v6, v[9:10]
; %bb.2702:                             ;   in Loop: Header=BB415_1576 Depth=1
	s_or_b32 exec_lo, exec_lo, s17
	s_delay_alu instid0(VALU_DEP_1) | instskip(SKIP_2) | instid1(VALU_DEP_3)
	v_lshlrev_b32_e32 v6, 20, v6
	v_lshlrev_b32_e32 v7, 24, v9
	v_lshl_add_u32 v20, v84, 23, 0x3c000000
	v_and_b32_e32 v6, 0x700000, v6
	s_delay_alu instid0(VALU_DEP_3) | instskip(NEXT) | instid1(VALU_DEP_1)
	v_and_b32_e32 v7, 0x80000000, v7
	v_or3_b32 v6, v6, v7, v20
.LBB415_2703:                           ;   in Loop: Header=BB415_1576 Depth=1
	s_or_b32 exec_lo, exec_lo, s16
.LBB415_2704:                           ;   in Loop: Header=BB415_1576 Depth=1
	s_delay_alu instid0(SALU_CYCLE_1)
	s_or_b32 exec_lo, exec_lo, s15
.LBB415_2705:                           ;   in Loop: Header=BB415_1576 Depth=1
	s_delay_alu instid0(SALU_CYCLE_1) | instskip(NEXT) | instid1(VALU_DEP_1)
	s_or_b32 exec_lo, exec_lo, s13
	v_mul_f32_e32 v6, v8, v6
                                        ; implicit-def: $vgpr84
	s_delay_alu instid0(VALU_DEP_1) | instskip(NEXT) | instid1(VALU_DEP_1)
	v_and_b32_e32 v7, 0x7f800000, v6
	v_cmp_ne_u32_e64 s1, 0x7f800000, v7
	s_delay_alu instid0(VALU_DEP_1) | instskip(NEXT) | instid1(SALU_CYCLE_1)
	s_and_saveexec_b32 s13, s1
	s_xor_b32 s1, exec_lo, s13
; %bb.2706:                             ;   in Loop: Header=BB415_1576 Depth=1
	v_bfe_u32 v7, v6, 16, 1
	s_delay_alu instid0(VALU_DEP_1)
	v_add3_u32 v84, v6, v7, 0x7fff
                                        ; implicit-def: $vgpr6
; %bb.2707:                             ;   in Loop: Header=BB415_1576 Depth=1
	s_and_not1_saveexec_b32 s13, s1
; %bb.2708:                             ;   in Loop: Header=BB415_1576 Depth=1
	v_and_b32_e32 v7, 0xffff, v6
	v_or_b32_e32 v20, 0x10000, v6
	s_delay_alu instid0(VALU_DEP_2) | instskip(NEXT) | instid1(VALU_DEP_1)
	v_cmp_eq_u32_e64 s1, 0, v7
	v_cndmask_b32_e64 v84, v20, v6, s1
; %bb.2709:                             ;   in Loop: Header=BB415_1576 Depth=1
	s_or_b32 exec_lo, exec_lo, s13
	v_lshrrev_b16 v7, 8, v9
	v_mov_b32_e32 v6, 0
	s_mov_b32 s13, exec_lo
	s_delay_alu instid0(VALU_DEP_2)
	v_cmpx_ne_u16_e32 0, v7
	s_cbranch_execz .LBB415_2717
; %bb.2710:                             ;   in Loop: Header=BB415_1576 Depth=1
	v_bfrev_b32_e32 v6, 1
	s_mov_b32 s15, exec_lo
	v_cmpx_ne_u16_e32 0x80, v7
	s_cbranch_execz .LBB415_2716
; %bb.2711:                             ;   in Loop: Header=BB415_1576 Depth=1
	v_and_b32_e32 v7, 0xffff, v7
	v_mov_b32_e32 v6, 0x7f800001
	s_mov_b32 s16, exec_lo
	s_delay_alu instid0(VALU_DEP_2) | instskip(NEXT) | instid1(VALU_DEP_1)
	v_and_b32_e32 v78, 0x7f, v7
	v_cmpx_ne_u32_e32 0x7f, v78
	s_cbranch_execz .LBB415_2715
; %bb.2712:                             ;   in Loop: Header=BB415_1576 Depth=1
	v_dual_mov_b32 v7, v10 :: v_dual_and_b32 v6, 7, v7
	v_lshrrev_b32_e32 v85, 3, v78
	s_mov_b32 s17, exec_lo
	v_cmpx_gt_u32_e32 8, v78
; %bb.2713:                             ;   in Loop: Header=BB415_1576 Depth=1
	s_delay_alu instid0(VALU_DEP_3) | instskip(NEXT) | instid1(VALU_DEP_1)
	v_clz_i32_u32_e32 v20, v6
	v_min_u32_e32 v20, 32, v20
	s_delay_alu instid0(VALU_DEP_1) | instskip(SKIP_1) | instid1(VALU_DEP_2)
	v_subrev_nc_u32_e32 v22, 28, v20
	v_sub_nc_u32_e32 v85, 29, v20
	v_lshlrev_b64 v[6:7], v22, v[6:7]
	s_delay_alu instid0(VALU_DEP_1)
	v_and_b32_e32 v6, 7, v6
; %bb.2714:                             ;   in Loop: Header=BB415_1576 Depth=1
	s_or_b32 exec_lo, exec_lo, s17
	v_lshlrev_b32_e32 v7, 16, v9
	s_delay_alu instid0(VALU_DEP_2) | instskip(SKIP_1) | instid1(VALU_DEP_3)
	v_lshlrev_b32_e32 v6, 20, v6
	v_lshl_add_u32 v9, v85, 23, 0x3c000000
	v_and_b32_e32 v7, 0x80000000, v7
	s_delay_alu instid0(VALU_DEP_1)
	v_or3_b32 v6, v6, v7, v9
.LBB415_2715:                           ;   in Loop: Header=BB415_1576 Depth=1
	s_or_b32 exec_lo, exec_lo, s16
.LBB415_2716:                           ;   in Loop: Header=BB415_1576 Depth=1
	s_delay_alu instid0(SALU_CYCLE_1)
	s_or_b32 exec_lo, exec_lo, s15
.LBB415_2717:                           ;   in Loop: Header=BB415_1576 Depth=1
	s_delay_alu instid0(SALU_CYCLE_1) | instskip(NEXT) | instid1(VALU_DEP_1)
	s_or_b32 exec_lo, exec_lo, s13
	v_mul_f32_e32 v6, v8, v6
                                        ; implicit-def: $vgpr85
	s_delay_alu instid0(VALU_DEP_1) | instskip(NEXT) | instid1(VALU_DEP_1)
	v_and_b32_e32 v7, 0x7f800000, v6
	v_cmp_ne_u32_e64 s1, 0x7f800000, v7
	s_delay_alu instid0(VALU_DEP_1) | instskip(NEXT) | instid1(SALU_CYCLE_1)
	s_and_saveexec_b32 s13, s1
	s_xor_b32 s1, exec_lo, s13
; %bb.2718:                             ;   in Loop: Header=BB415_1576 Depth=1
	v_bfe_u32 v7, v6, 16, 1
	s_delay_alu instid0(VALU_DEP_1)
	v_add3_u32 v85, v6, v7, 0x7fff
                                        ; implicit-def: $vgpr6
; %bb.2719:                             ;   in Loop: Header=BB415_1576 Depth=1
	s_and_not1_saveexec_b32 s13, s1
; %bb.2720:                             ;   in Loop: Header=BB415_1576 Depth=1
	v_and_b32_e32 v7, 0xffff, v6
	v_or_b32_e32 v9, 0x10000, v6
	s_delay_alu instid0(VALU_DEP_2) | instskip(NEXT) | instid1(VALU_DEP_1)
	v_cmp_eq_u32_e64 s1, 0, v7
	v_cndmask_b32_e64 v85, v9, v6, s1
; %bb.2721:                             ;   in Loop: Header=BB415_1576 Depth=1
	s_or_b32 exec_lo, exec_lo, s13
	v_lshrrev_b32_e32 v78, 16, v3
	s_mov_b32 s13, exec_lo
	s_delay_alu instid0(VALU_DEP_1) | instskip(NEXT) | instid1(VALU_DEP_1)
	v_dual_mov_b32 v6, 0 :: v_dual_and_b32 v7, 0xff, v78
	v_cmpx_ne_u16_e32 0, v7
	s_cbranch_execz .LBB415_2729
; %bb.2722:                             ;   in Loop: Header=BB415_1576 Depth=1
	v_bfrev_b32_e32 v6, 1
	s_mov_b32 s15, exec_lo
	v_cmpx_ne_u16_e32 0x80, v7
	s_cbranch_execz .LBB415_2728
; %bb.2723:                             ;   in Loop: Header=BB415_1576 Depth=1
	v_bfe_u32 v7, v3, 16, 7
	v_mov_b32_e32 v6, 0x7f800001
	s_mov_b32 s16, exec_lo
	s_delay_alu instid0(VALU_DEP_2)
	v_cmpx_ne_u32_e32 0x7f, v7
	s_cbranch_execz .LBB415_2727
; %bb.2724:                             ;   in Loop: Header=BB415_1576 Depth=1
	v_and_b32_e32 v9, 7, v78
	v_lshrrev_b32_e32 v79, 3, v7
	v_cmp_gt_u32_e64 s1, 8, v7
	s_delay_alu instid0(VALU_DEP_3) | instskip(NEXT) | instid1(VALU_DEP_2)
	v_dual_mov_b32 v6, v9 :: v_dual_mov_b32 v7, v10
	s_and_saveexec_b32 s17, s1
; %bb.2725:                             ;   in Loop: Header=BB415_1576 Depth=1
	v_clz_i32_u32_e32 v6, v9
	s_delay_alu instid0(VALU_DEP_1) | instskip(NEXT) | instid1(VALU_DEP_1)
	v_min_u32_e32 v20, 32, v6
	v_subrev_nc_u32_e32 v6, 28, v20
	v_sub_nc_u32_e32 v79, 29, v20
	s_delay_alu instid0(VALU_DEP_2) | instskip(NEXT) | instid1(VALU_DEP_1)
	v_lshlrev_b64 v[6:7], v6, v[9:10]
	v_and_b32_e32 v6, 7, v6
; %bb.2726:                             ;   in Loop: Header=BB415_1576 Depth=1
	s_or_b32 exec_lo, exec_lo, s17
	v_lshlrev_b32_e32 v7, 24, v78
	s_delay_alu instid0(VALU_DEP_2) | instskip(SKIP_1) | instid1(VALU_DEP_3)
	v_lshlrev_b32_e32 v6, 20, v6
	v_lshl_add_u32 v9, v79, 23, 0x3c000000
	v_and_b32_e32 v7, 0x80000000, v7
	s_delay_alu instid0(VALU_DEP_1)
	v_or3_b32 v6, v6, v7, v9
.LBB415_2727:                           ;   in Loop: Header=BB415_1576 Depth=1
	s_or_b32 exec_lo, exec_lo, s16
.LBB415_2728:                           ;   in Loop: Header=BB415_1576 Depth=1
	s_delay_alu instid0(SALU_CYCLE_1)
	s_or_b32 exec_lo, exec_lo, s15
.LBB415_2729:                           ;   in Loop: Header=BB415_1576 Depth=1
	s_delay_alu instid0(SALU_CYCLE_1) | instskip(NEXT) | instid1(VALU_DEP_1)
	s_or_b32 exec_lo, exec_lo, s13
	v_mul_f32_e32 v6, v8, v6
                                        ; implicit-def: $vgpr78
	s_delay_alu instid0(VALU_DEP_1) | instskip(NEXT) | instid1(VALU_DEP_1)
	v_and_b32_e32 v7, 0x7f800000, v6
	v_cmp_ne_u32_e64 s1, 0x7f800000, v7
	s_delay_alu instid0(VALU_DEP_1) | instskip(NEXT) | instid1(SALU_CYCLE_1)
	s_and_saveexec_b32 s13, s1
	s_xor_b32 s1, exec_lo, s13
; %bb.2730:                             ;   in Loop: Header=BB415_1576 Depth=1
	v_bfe_u32 v7, v6, 16, 1
	s_delay_alu instid0(VALU_DEP_1)
	v_add3_u32 v78, v6, v7, 0x7fff
                                        ; implicit-def: $vgpr6
; %bb.2731:                             ;   in Loop: Header=BB415_1576 Depth=1
	s_and_not1_saveexec_b32 s13, s1
; %bb.2732:                             ;   in Loop: Header=BB415_1576 Depth=1
	v_and_b32_e32 v7, 0xffff, v6
	v_or_b32_e32 v9, 0x10000, v6
	s_delay_alu instid0(VALU_DEP_2) | instskip(NEXT) | instid1(VALU_DEP_1)
	v_cmp_eq_u32_e64 s1, 0, v7
	v_cndmask_b32_e64 v78, v9, v6, s1
; %bb.2733:                             ;   in Loop: Header=BB415_1576 Depth=1
	s_or_b32 exec_lo, exec_lo, s13
	v_cmp_lt_u64_e64 s1, s[4:5], v[2:3]
	v_mov_b32_e32 v2, 0
	s_delay_alu instid0(VALU_DEP_2)
	s_and_saveexec_b32 s13, s1
	s_cbranch_execz .LBB415_2741
; %bb.2734:                             ;   in Loop: Header=BB415_1576 Depth=1
	v_lshrrev_b32_e32 v6, 24, v3
	v_bfrev_b32_e32 v2, 1
	s_mov_b32 s15, exec_lo
	s_delay_alu instid0(VALU_DEP_2)
	v_cmpx_ne_u32_e32 0x80, v6
	s_cbranch_execz .LBB415_2740
; %bb.2735:                             ;   in Loop: Header=BB415_1576 Depth=1
	v_bfe_u32 v3, v3, 24, 7
	v_mov_b32_e32 v2, 0x7f800001
	s_mov_b32 s16, exec_lo
	s_delay_alu instid0(VALU_DEP_2)
	v_cmpx_ne_u32_e32 0x7f, v3
	s_cbranch_execz .LBB415_2739
; %bb.2736:                             ;   in Loop: Header=BB415_1576 Depth=1
	v_and_b32_e32 v9, 7, v6
	v_lshrrev_b32_e32 v7, 3, v3
	v_cmp_gt_u32_e64 s1, 8, v3
	s_delay_alu instid0(VALU_DEP_3) | instskip(NEXT) | instid1(VALU_DEP_2)
	v_dual_mov_b32 v2, v9 :: v_dual_mov_b32 v3, v10
	s_and_saveexec_b32 s17, s1
; %bb.2737:                             ;   in Loop: Header=BB415_1576 Depth=1
	v_clz_i32_u32_e32 v2, v9
	s_delay_alu instid0(VALU_DEP_1) | instskip(NEXT) | instid1(VALU_DEP_1)
	v_min_u32_e32 v7, 32, v2
	v_subrev_nc_u32_e32 v2, 28, v7
	v_sub_nc_u32_e32 v7, 29, v7
	s_delay_alu instid0(VALU_DEP_2) | instskip(NEXT) | instid1(VALU_DEP_1)
	v_lshlrev_b64 v[2:3], v2, v[9:10]
	v_and_b32_e32 v2, 7, v2
; %bb.2738:                             ;   in Loop: Header=BB415_1576 Depth=1
	s_or_b32 exec_lo, exec_lo, s17
	v_lshlrev_b32_e32 v3, 24, v6
	s_delay_alu instid0(VALU_DEP_2) | instskip(SKIP_1) | instid1(VALU_DEP_3)
	v_lshlrev_b32_e32 v2, 20, v2
	v_lshl_add_u32 v6, v7, 23, 0x3c000000
	v_and_b32_e32 v3, 0x80000000, v3
	s_delay_alu instid0(VALU_DEP_1)
	v_or3_b32 v2, v2, v3, v6
.LBB415_2739:                           ;   in Loop: Header=BB415_1576 Depth=1
	s_or_b32 exec_lo, exec_lo, s16
.LBB415_2740:                           ;   in Loop: Header=BB415_1576 Depth=1
	s_delay_alu instid0(SALU_CYCLE_1)
	s_or_b32 exec_lo, exec_lo, s15
.LBB415_2741:                           ;   in Loop: Header=BB415_1576 Depth=1
	s_delay_alu instid0(SALU_CYCLE_1) | instskip(NEXT) | instid1(VALU_DEP_1)
	s_or_b32 exec_lo, exec_lo, s13
	v_mul_f32_e32 v3, v8, v2
	s_delay_alu instid0(VALU_DEP_1) | instskip(NEXT) | instid1(VALU_DEP_1)
	v_and_b32_e32 v2, 0x7f800000, v3
	v_cmp_ne_u32_e64 s1, 0x7f800000, v2
                                        ; implicit-def: $vgpr2
	s_delay_alu instid0(VALU_DEP_1) | instskip(NEXT) | instid1(SALU_CYCLE_1)
	s_and_saveexec_b32 s13, s1
	s_xor_b32 s1, exec_lo, s13
; %bb.2742:                             ;   in Loop: Header=BB415_1576 Depth=1
	v_bfe_u32 v2, v3, 16, 1
	s_delay_alu instid0(VALU_DEP_1)
	v_add3_u32 v2, v3, v2, 0x7fff
                                        ; implicit-def: $vgpr3
; %bb.2743:                             ;   in Loop: Header=BB415_1576 Depth=1
	s_and_not1_saveexec_b32 s13, s1
; %bb.2744:                             ;   in Loop: Header=BB415_1576 Depth=1
	v_and_b32_e32 v2, 0xffff, v3
	v_or_b32_e32 v6, 0x10000, v3
	s_delay_alu instid0(VALU_DEP_2) | instskip(NEXT) | instid1(VALU_DEP_1)
	v_cmp_eq_u32_e64 s1, 0, v2
	v_cndmask_b32_e64 v2, v6, v3, s1
; %bb.2745:                             ;   in Loop: Header=BB415_1576 Depth=1
	s_or_b32 exec_lo, exec_lo, s13
	v_lshrrev_b32_e32 v6, 16, v85
	v_lshrrev_b32_e32 v7, 16, v84
	;; [unrolled: 1-line block ×8, first 2 shown]
	s_and_saveexec_b32 s13, vcc_lo
	s_cbranch_execz .LBB415_2747
; %bb.2746:                             ;   in Loop: Header=BB415_1576 Depth=1
	v_cmp_lt_i32_e64 s1, v70, v86
	s_delay_alu instid0(VALU_DEP_1) | instskip(SKIP_1) | instid1(VALU_DEP_1)
	v_cndmask_b32_e64 v4, 0, v4, s1
	v_cmp_lt_i32_e64 s1, v101, v86
	v_cndmask_b32_e64 v5, 0, v5, s1
	v_cmp_lt_i32_e64 s1, v100, v86
	s_delay_alu instid0(VALU_DEP_1) | instskip(SKIP_1) | instid1(VALU_DEP_1)
	v_cndmask_b32_e64 v21, 0, v21, s1
	v_cmp_lt_i32_e64 s1, v83, v86
	v_cndmask_b32_e64 v9, 0, v9, s1
	;; [unrolled: 5-line block ×4, first 2 shown]
.LBB415_2747:                           ;   in Loop: Header=BB415_1576 Depth=1
	s_or_b32 exec_lo, exec_lo, s13
	v_lshlrev_b32_e32 v4, 16, v4
                                        ; implicit-def: $vgpr78
	s_delay_alu instid0(VALU_DEP_1) | instskip(NEXT) | instid1(VALU_DEP_1)
	v_mul_f32_e32 v4, v102, v4
	v_and_b32_e32 v20, 0x7f800000, v4
	s_delay_alu instid0(VALU_DEP_1) | instskip(NEXT) | instid1(VALU_DEP_1)
	v_cmp_ne_u32_e64 s1, 0x7f800000, v20
	s_and_saveexec_b32 s13, s1
	s_delay_alu instid0(SALU_CYCLE_1)
	s_xor_b32 s1, exec_lo, s13
; %bb.2748:                             ;   in Loop: Header=BB415_1576 Depth=1
	v_bfe_u32 v20, v4, 16, 1
	s_delay_alu instid0(VALU_DEP_1)
	v_add3_u32 v78, v4, v20, 0x7fff
                                        ; implicit-def: $vgpr4
; %bb.2749:                             ;   in Loop: Header=BB415_1576 Depth=1
	s_and_not1_saveexec_b32 s13, s1
; %bb.2750:                             ;   in Loop: Header=BB415_1576 Depth=1
	v_and_b32_e32 v20, 0xffff, v4
	v_or_b32_e32 v22, 0x10000, v4
	s_delay_alu instid0(VALU_DEP_2) | instskip(NEXT) | instid1(VALU_DEP_1)
	v_cmp_eq_u32_e64 s1, 0, v20
	v_cndmask_b32_e64 v78, v22, v4, s1
; %bb.2751:                             ;   in Loop: Header=BB415_1576 Depth=1
	s_or_b32 exec_lo, exec_lo, s13
	v_lshlrev_b32_e32 v4, 16, v5
                                        ; implicit-def: $vgpr79
	s_delay_alu instid0(VALU_DEP_1) | instskip(NEXT) | instid1(VALU_DEP_1)
	v_mul_f32_e32 v4, v103, v4
	v_and_b32_e32 v5, 0x7f800000, v4
	s_delay_alu instid0(VALU_DEP_1) | instskip(NEXT) | instid1(VALU_DEP_1)
	v_cmp_ne_u32_e64 s1, 0x7f800000, v5
	s_and_saveexec_b32 s13, s1
	s_delay_alu instid0(SALU_CYCLE_1)
	s_xor_b32 s1, exec_lo, s13
; %bb.2752:                             ;   in Loop: Header=BB415_1576 Depth=1
	v_bfe_u32 v5, v4, 16, 1
	s_delay_alu instid0(VALU_DEP_1)
	v_add3_u32 v79, v4, v5, 0x7fff
                                        ; implicit-def: $vgpr4
; %bb.2753:                             ;   in Loop: Header=BB415_1576 Depth=1
	s_and_not1_saveexec_b32 s13, s1
; %bb.2754:                             ;   in Loop: Header=BB415_1576 Depth=1
	v_and_b32_e32 v5, 0xffff, v4
	v_or_b32_e32 v20, 0x10000, v4
	s_delay_alu instid0(VALU_DEP_2) | instskip(NEXT) | instid1(VALU_DEP_1)
	v_cmp_eq_u32_e64 s1, 0, v5
	v_cndmask_b32_e64 v79, v20, v4, s1
; %bb.2755:                             ;   in Loop: Header=BB415_1576 Depth=1
	s_or_b32 exec_lo, exec_lo, s13
	v_lshlrev_b32_e32 v4, 16, v21
                                        ; implicit-def: $vgpr88
	s_delay_alu instid0(VALU_DEP_1) | instskip(NEXT) | instid1(VALU_DEP_1)
	v_mul_f32_e32 v4, v112, v4
	v_and_b32_e32 v5, 0x7f800000, v4
	s_delay_alu instid0(VALU_DEP_1) | instskip(NEXT) | instid1(VALU_DEP_1)
	v_cmp_ne_u32_e64 s1, 0x7f800000, v5
	s_and_saveexec_b32 s13, s1
	s_delay_alu instid0(SALU_CYCLE_1)
	s_xor_b32 s1, exec_lo, s13
; %bb.2756:                             ;   in Loop: Header=BB415_1576 Depth=1
	v_bfe_u32 v5, v4, 16, 1
	s_delay_alu instid0(VALU_DEP_1)
	v_add3_u32 v88, v4, v5, 0x7fff
                                        ; implicit-def: $vgpr4
; %bb.2757:                             ;   in Loop: Header=BB415_1576 Depth=1
	s_and_not1_saveexec_b32 s13, s1
; %bb.2758:                             ;   in Loop: Header=BB415_1576 Depth=1
	v_and_b32_e32 v5, 0xffff, v4
	v_or_b32_e32 v20, 0x10000, v4
	s_delay_alu instid0(VALU_DEP_2) | instskip(NEXT) | instid1(VALU_DEP_1)
	v_cmp_eq_u32_e64 s1, 0, v5
	v_cndmask_b32_e64 v88, v20, v4, s1
; %bb.2759:                             ;   in Loop: Header=BB415_1576 Depth=1
	s_or_b32 exec_lo, exec_lo, s13
	v_lshlrev_b32_e32 v4, 16, v9
                                        ; implicit-def: $vgpr89
	s_delay_alu instid0(VALU_DEP_1) | instskip(NEXT) | instid1(VALU_DEP_1)
	v_mul_f32_e32 v4, v113, v4
	v_and_b32_e32 v5, 0x7f800000, v4
	s_delay_alu instid0(VALU_DEP_1) | instskip(NEXT) | instid1(VALU_DEP_1)
	v_cmp_ne_u32_e64 s1, 0x7f800000, v5
	s_and_saveexec_b32 s13, s1
	s_delay_alu instid0(SALU_CYCLE_1)
	s_xor_b32 s1, exec_lo, s13
; %bb.2760:                             ;   in Loop: Header=BB415_1576 Depth=1
	v_bfe_u32 v5, v4, 16, 1
	s_delay_alu instid0(VALU_DEP_1)
	v_add3_u32 v89, v4, v5, 0x7fff
                                        ; implicit-def: $vgpr4
; %bb.2761:                             ;   in Loop: Header=BB415_1576 Depth=1
	s_and_not1_saveexec_b32 s13, s1
; %bb.2762:                             ;   in Loop: Header=BB415_1576 Depth=1
	v_and_b32_e32 v5, 0xffff, v4
	v_or_b32_e32 v9, 0x10000, v4
	s_delay_alu instid0(VALU_DEP_2) | instskip(NEXT) | instid1(VALU_DEP_1)
	v_cmp_eq_u32_e64 s1, 0, v5
	v_cndmask_b32_e64 v89, v9, v4, s1
; %bb.2763:                             ;   in Loop: Header=BB415_1576 Depth=1
	s_or_b32 exec_lo, exec_lo, s13
	v_lshlrev_b32_e32 v4, 16, v7
                                        ; implicit-def: $vgpr90
	s_delay_alu instid0(VALU_DEP_1) | instskip(NEXT) | instid1(VALU_DEP_1)
	v_mul_f32_e32 v4, v114, v4
	v_and_b32_e32 v5, 0x7f800000, v4
	s_delay_alu instid0(VALU_DEP_1) | instskip(NEXT) | instid1(VALU_DEP_1)
	v_cmp_ne_u32_e64 s1, 0x7f800000, v5
	s_and_saveexec_b32 s13, s1
	s_delay_alu instid0(SALU_CYCLE_1)
	s_xor_b32 s1, exec_lo, s13
; %bb.2764:                             ;   in Loop: Header=BB415_1576 Depth=1
	v_bfe_u32 v5, v4, 16, 1
	s_delay_alu instid0(VALU_DEP_1)
	v_add3_u32 v90, v4, v5, 0x7fff
                                        ; implicit-def: $vgpr4
; %bb.2765:                             ;   in Loop: Header=BB415_1576 Depth=1
	s_and_not1_saveexec_b32 s13, s1
; %bb.2766:                             ;   in Loop: Header=BB415_1576 Depth=1
	v_and_b32_e32 v5, 0xffff, v4
	v_or_b32_e32 v7, 0x10000, v4
	s_delay_alu instid0(VALU_DEP_2) | instskip(NEXT) | instid1(VALU_DEP_1)
	v_cmp_eq_u32_e64 s1, 0, v5
	v_cndmask_b32_e64 v90, v7, v4, s1
; %bb.2767:                             ;   in Loop: Header=BB415_1576 Depth=1
	s_or_b32 exec_lo, exec_lo, s13
	v_lshlrev_b32_e32 v4, 16, v6
                                        ; implicit-def: $vgpr91
	s_delay_alu instid0(VALU_DEP_1) | instskip(NEXT) | instid1(VALU_DEP_1)
	v_mul_f32_e32 v4, v115, v4
	v_and_b32_e32 v5, 0x7f800000, v4
	s_delay_alu instid0(VALU_DEP_1) | instskip(NEXT) | instid1(VALU_DEP_1)
	v_cmp_ne_u32_e64 s1, 0x7f800000, v5
	s_and_saveexec_b32 s13, s1
	s_delay_alu instid0(SALU_CYCLE_1)
	s_xor_b32 s1, exec_lo, s13
; %bb.2768:                             ;   in Loop: Header=BB415_1576 Depth=1
	v_bfe_u32 v5, v4, 16, 1
	s_delay_alu instid0(VALU_DEP_1)
	v_add3_u32 v91, v4, v5, 0x7fff
                                        ; implicit-def: $vgpr4
; %bb.2769:                             ;   in Loop: Header=BB415_1576 Depth=1
	s_and_not1_saveexec_b32 s13, s1
; %bb.2770:                             ;   in Loop: Header=BB415_1576 Depth=1
	v_and_b32_e32 v5, 0xffff, v4
	v_or_b32_e32 v6, 0x10000, v4
	s_delay_alu instid0(VALU_DEP_2) | instskip(NEXT) | instid1(VALU_DEP_1)
	v_cmp_eq_u32_e64 s1, 0, v5
	v_cndmask_b32_e64 v91, v6, v4, s1
; %bb.2771:                             ;   in Loop: Header=BB415_1576 Depth=1
	s_or_b32 exec_lo, exec_lo, s13
	v_lshlrev_b32_e32 v3, 16, v3
                                        ; implicit-def: $vgpr92
	s_delay_alu instid0(VALU_DEP_1) | instskip(NEXT) | instid1(VALU_DEP_1)
	v_mul_f32_e32 v3, v116, v3
	v_and_b32_e32 v4, 0x7f800000, v3
	s_delay_alu instid0(VALU_DEP_1) | instskip(NEXT) | instid1(VALU_DEP_1)
	v_cmp_ne_u32_e64 s1, 0x7f800000, v4
	s_and_saveexec_b32 s13, s1
	s_delay_alu instid0(SALU_CYCLE_1)
	s_xor_b32 s1, exec_lo, s13
; %bb.2772:                             ;   in Loop: Header=BB415_1576 Depth=1
	v_bfe_u32 v4, v3, 16, 1
	s_delay_alu instid0(VALU_DEP_1)
	v_add3_u32 v92, v3, v4, 0x7fff
                                        ; implicit-def: $vgpr3
; %bb.2773:                             ;   in Loop: Header=BB415_1576 Depth=1
	s_and_not1_saveexec_b32 s13, s1
; %bb.2774:                             ;   in Loop: Header=BB415_1576 Depth=1
	v_and_b32_e32 v4, 0xffff, v3
	v_or_b32_e32 v5, 0x10000, v3
	s_delay_alu instid0(VALU_DEP_2) | instskip(NEXT) | instid1(VALU_DEP_1)
	v_cmp_eq_u32_e64 s1, 0, v4
	v_cndmask_b32_e64 v92, v5, v3, s1
; %bb.2775:                             ;   in Loop: Header=BB415_1576 Depth=1
	s_or_b32 exec_lo, exec_lo, s13
	v_lshlrev_b32_e32 v2, 16, v2
                                        ; implicit-def: $vgpr93
	s_delay_alu instid0(VALU_DEP_1) | instskip(NEXT) | instid1(VALU_DEP_1)
	v_mul_f32_e32 v2, v117, v2
	v_and_b32_e32 v3, 0x7f800000, v2
	s_delay_alu instid0(VALU_DEP_1) | instskip(NEXT) | instid1(VALU_DEP_1)
	v_cmp_ne_u32_e64 s1, 0x7f800000, v3
	s_and_saveexec_b32 s13, s1
	s_delay_alu instid0(SALU_CYCLE_1)
	s_xor_b32 s1, exec_lo, s13
; %bb.2776:                             ;   in Loop: Header=BB415_1576 Depth=1
	v_bfe_u32 v3, v2, 16, 1
	s_delay_alu instid0(VALU_DEP_1)
	v_add3_u32 v93, v2, v3, 0x7fff
                                        ; implicit-def: $vgpr2
; %bb.2777:                             ;   in Loop: Header=BB415_1576 Depth=1
	s_and_not1_saveexec_b32 s13, s1
; %bb.2778:                             ;   in Loop: Header=BB415_1576 Depth=1
	v_and_b32_e32 v3, 0xffff, v2
	v_or_b32_e32 v4, 0x10000, v2
	s_delay_alu instid0(VALU_DEP_2) | instskip(NEXT) | instid1(VALU_DEP_1)
	v_cmp_eq_u32_e64 s1, 0, v3
	v_cndmask_b32_e64 v93, v4, v2, s1
; %bb.2779:                             ;   in Loop: Header=BB415_1576 Depth=1
	s_or_b32 exec_lo, exec_lo, s13
	flat_load_b64 v[2:3], v[0:1] offset:2304
	s_mov_b32 s13, exec_lo
	s_waitcnt vmcnt(0) lgkmcnt(0)
	v_dual_mov_b32 v4, 0 :: v_dual_and_b32 v5, 0xff, v2
	s_delay_alu instid0(VALU_DEP_1)
	v_cmpx_ne_u16_e32 0, v5
	s_cbranch_execz .LBB415_2787
; %bb.2780:                             ;   in Loop: Header=BB415_1576 Depth=1
	v_bfrev_b32_e32 v4, 1
	s_mov_b32 s15, exec_lo
	v_cmpx_ne_u16_e32 0x80, v5
	s_cbranch_execz .LBB415_2786
; %bb.2781:                             ;   in Loop: Header=BB415_1576 Depth=1
	v_and_b32_e32 v5, 0x7f, v2
	v_mov_b32_e32 v4, 0x7f800001
	s_mov_b32 s16, exec_lo
	s_delay_alu instid0(VALU_DEP_2)
	v_cmpx_ne_u32_e32 0x7f, v5
	s_cbranch_execz .LBB415_2785
; %bb.2782:                             ;   in Loop: Header=BB415_1576 Depth=1
	v_lshrrev_b32_e32 v4, 3, v5
	v_dual_mov_b32 v7, v3 :: v_dual_mov_b32 v6, v2
	s_mov_b32 s17, exec_lo
	v_cmpx_gt_u32_e32 8, v5
; %bb.2783:                             ;   in Loop: Header=BB415_1576 Depth=1
	v_and_b32_e32 v4, 7, v2
	s_delay_alu instid0(VALU_DEP_1) | instskip(NEXT) | instid1(VALU_DEP_1)
	v_clz_i32_u32_e32 v4, v4
	v_min_u32_e32 v4, 32, v4
	s_delay_alu instid0(VALU_DEP_1) | instskip(SKIP_1) | instid1(VALU_DEP_2)
	v_subrev_nc_u32_e32 v5, 28, v4
	v_sub_nc_u32_e32 v4, 29, v4
	v_lshlrev_b64 v[6:7], v5, v[2:3]
; %bb.2784:                             ;   in Loop: Header=BB415_1576 Depth=1
	s_or_b32 exec_lo, exec_lo, s17
	s_delay_alu instid0(VALU_DEP_1) | instskip(SKIP_2) | instid1(VALU_DEP_3)
	v_lshlrev_b32_e32 v5, 20, v6
	v_lshlrev_b32_e32 v6, 24, v2
	v_lshl_add_u32 v4, v4, 23, 0x3c000000
	v_and_b32_e32 v5, 0x700000, v5
	s_delay_alu instid0(VALU_DEP_3) | instskip(NEXT) | instid1(VALU_DEP_1)
	v_and_b32_e32 v6, 0x80000000, v6
	v_or3_b32 v4, v5, v6, v4
.LBB415_2785:                           ;   in Loop: Header=BB415_1576 Depth=1
	s_or_b32 exec_lo, exec_lo, s16
.LBB415_2786:                           ;   in Loop: Header=BB415_1576 Depth=1
	s_delay_alu instid0(SALU_CYCLE_1)
	s_or_b32 exec_lo, exec_lo, s15
.LBB415_2787:                           ;   in Loop: Header=BB415_1576 Depth=1
	s_delay_alu instid0(SALU_CYCLE_1) | instskip(NEXT) | instid1(VALU_DEP_1)
	s_or_b32 exec_lo, exec_lo, s13
	v_mul_f32_e32 v5, v8, v4
	s_delay_alu instid0(VALU_DEP_1) | instskip(NEXT) | instid1(VALU_DEP_1)
	v_and_b32_e32 v4, 0x7f800000, v5
	v_cmp_ne_u32_e64 s1, 0x7f800000, v4
                                        ; implicit-def: $vgpr4
	s_delay_alu instid0(VALU_DEP_1) | instskip(NEXT) | instid1(SALU_CYCLE_1)
	s_and_saveexec_b32 s13, s1
	s_xor_b32 s1, exec_lo, s13
; %bb.2788:                             ;   in Loop: Header=BB415_1576 Depth=1
	v_bfe_u32 v4, v5, 16, 1
	s_delay_alu instid0(VALU_DEP_1)
	v_add3_u32 v4, v5, v4, 0x7fff
                                        ; implicit-def: $vgpr5
; %bb.2789:                             ;   in Loop: Header=BB415_1576 Depth=1
	s_and_not1_saveexec_b32 s13, s1
; %bb.2790:                             ;   in Loop: Header=BB415_1576 Depth=1
	v_and_b32_e32 v4, 0xffff, v5
	v_or_b32_e32 v6, 0x10000, v5
	s_delay_alu instid0(VALU_DEP_2) | instskip(NEXT) | instid1(VALU_DEP_1)
	v_cmp_eq_u32_e64 s1, 0, v4
	v_cndmask_b32_e64 v4, v6, v5, s1
; %bb.2791:                             ;   in Loop: Header=BB415_1576 Depth=1
	s_or_b32 exec_lo, exec_lo, s13
	v_lshrrev_b16 v6, 8, v2
	v_mov_b32_e32 v5, 0
	s_mov_b32 s13, exec_lo
	s_delay_alu instid0(VALU_DEP_2)
	v_cmpx_ne_u16_e32 0, v6
	s_cbranch_execz .LBB415_2799
; %bb.2792:                             ;   in Loop: Header=BB415_1576 Depth=1
	v_bfrev_b32_e32 v5, 1
	s_mov_b32 s15, exec_lo
	v_cmpx_ne_u16_e32 0x80, v6
	s_cbranch_execz .LBB415_2798
; %bb.2793:                             ;   in Loop: Header=BB415_1576 Depth=1
	v_and_b32_e32 v7, 0xffff, v6
	v_mov_b32_e32 v5, 0x7f800001
	s_mov_b32 s16, exec_lo
	s_delay_alu instid0(VALU_DEP_2) | instskip(NEXT) | instid1(VALU_DEP_1)
	v_and_b32_e32 v6, 0x7f, v7
	v_cmpx_ne_u32_e32 0x7f, v6
	s_cbranch_execz .LBB415_2797
; %bb.2794:                             ;   in Loop: Header=BB415_1576 Depth=1
	v_and_b32_e32 v9, 7, v7
	v_lshrrev_b32_e32 v5, 3, v6
	v_cmp_gt_u32_e64 s1, 8, v6
	s_delay_alu instid0(VALU_DEP_3) | instskip(NEXT) | instid1(VALU_DEP_2)
	v_dual_mov_b32 v6, v9 :: v_dual_mov_b32 v7, v10
	s_and_saveexec_b32 s17, s1
; %bb.2795:                             ;   in Loop: Header=BB415_1576 Depth=1
	v_clz_i32_u32_e32 v5, v9
	s_delay_alu instid0(VALU_DEP_1) | instskip(NEXT) | instid1(VALU_DEP_1)
	v_min_u32_e32 v5, 32, v5
	v_subrev_nc_u32_e32 v6, 28, v5
	v_sub_nc_u32_e32 v5, 29, v5
	s_delay_alu instid0(VALU_DEP_2) | instskip(NEXT) | instid1(VALU_DEP_1)
	v_lshlrev_b64 v[6:7], v6, v[9:10]
	v_and_b32_e32 v6, 7, v6
; %bb.2796:                             ;   in Loop: Header=BB415_1576 Depth=1
	s_or_b32 exec_lo, exec_lo, s17
	v_lshlrev_b32_e32 v7, 16, v2
	s_delay_alu instid0(VALU_DEP_2) | instskip(SKIP_1) | instid1(VALU_DEP_3)
	v_lshlrev_b32_e32 v6, 20, v6
	v_lshl_add_u32 v5, v5, 23, 0x3c000000
	v_and_b32_e32 v7, 0x80000000, v7
	s_delay_alu instid0(VALU_DEP_1)
	v_or3_b32 v5, v6, v7, v5
.LBB415_2797:                           ;   in Loop: Header=BB415_1576 Depth=1
	s_or_b32 exec_lo, exec_lo, s16
.LBB415_2798:                           ;   in Loop: Header=BB415_1576 Depth=1
	s_delay_alu instid0(SALU_CYCLE_1)
	s_or_b32 exec_lo, exec_lo, s15
.LBB415_2799:                           ;   in Loop: Header=BB415_1576 Depth=1
	s_delay_alu instid0(SALU_CYCLE_1) | instskip(NEXT) | instid1(VALU_DEP_1)
	s_or_b32 exec_lo, exec_lo, s13
	v_mul_f32_e32 v6, v8, v5
	s_delay_alu instid0(VALU_DEP_1) | instskip(NEXT) | instid1(VALU_DEP_1)
	v_and_b32_e32 v5, 0x7f800000, v6
	v_cmp_ne_u32_e64 s1, 0x7f800000, v5
                                        ; implicit-def: $vgpr5
	s_delay_alu instid0(VALU_DEP_1) | instskip(NEXT) | instid1(SALU_CYCLE_1)
	s_and_saveexec_b32 s13, s1
	s_xor_b32 s1, exec_lo, s13
; %bb.2800:                             ;   in Loop: Header=BB415_1576 Depth=1
	v_bfe_u32 v5, v6, 16, 1
	s_delay_alu instid0(VALU_DEP_1)
	v_add3_u32 v5, v6, v5, 0x7fff
                                        ; implicit-def: $vgpr6
; %bb.2801:                             ;   in Loop: Header=BB415_1576 Depth=1
	s_and_not1_saveexec_b32 s13, s1
; %bb.2802:                             ;   in Loop: Header=BB415_1576 Depth=1
	v_and_b32_e32 v5, 0xffff, v6
	v_or_b32_e32 v7, 0x10000, v6
	s_delay_alu instid0(VALU_DEP_2) | instskip(NEXT) | instid1(VALU_DEP_1)
	v_cmp_eq_u32_e64 s1, 0, v5
	v_cndmask_b32_e64 v5, v7, v6, s1
; %bb.2803:                             ;   in Loop: Header=BB415_1576 Depth=1
	s_or_b32 exec_lo, exec_lo, s13
	v_lshrrev_b32_e32 v21, 16, v2
	s_mov_b32 s13, exec_lo
	s_delay_alu instid0(VALU_DEP_1) | instskip(NEXT) | instid1(VALU_DEP_1)
	v_dual_mov_b32 v6, 0 :: v_dual_and_b32 v7, 0xff, v21
	v_cmpx_ne_u16_e32 0, v7
	s_cbranch_execz .LBB415_2811
; %bb.2804:                             ;   in Loop: Header=BB415_1576 Depth=1
	v_bfrev_b32_e32 v6, 1
	s_mov_b32 s15, exec_lo
	v_cmpx_ne_u16_e32 0x80, v7
	s_cbranch_execz .LBB415_2810
; %bb.2805:                             ;   in Loop: Header=BB415_1576 Depth=1
	v_bfe_u32 v7, v2, 16, 7
	v_mov_b32_e32 v6, 0x7f800001
	s_mov_b32 s16, exec_lo
	s_delay_alu instid0(VALU_DEP_2)
	v_cmpx_ne_u32_e32 0x7f, v7
	s_cbranch_execz .LBB415_2809
; %bb.2806:                             ;   in Loop: Header=BB415_1576 Depth=1
	v_and_b32_e32 v9, 7, v21
	v_lshrrev_b32_e32 v39, 3, v7
	v_cmp_gt_u32_e64 s1, 8, v7
	s_delay_alu instid0(VALU_DEP_3) | instskip(NEXT) | instid1(VALU_DEP_2)
	v_dual_mov_b32 v6, v9 :: v_dual_mov_b32 v7, v10
	s_and_saveexec_b32 s17, s1
; %bb.2807:                             ;   in Loop: Header=BB415_1576 Depth=1
	v_clz_i32_u32_e32 v6, v9
	s_delay_alu instid0(VALU_DEP_1) | instskip(NEXT) | instid1(VALU_DEP_1)
	v_min_u32_e32 v20, 32, v6
	v_subrev_nc_u32_e32 v6, 28, v20
	v_sub_nc_u32_e32 v39, 29, v20
	s_delay_alu instid0(VALU_DEP_2) | instskip(NEXT) | instid1(VALU_DEP_1)
	v_lshlrev_b64 v[6:7], v6, v[9:10]
	v_and_b32_e32 v6, 7, v6
; %bb.2808:                             ;   in Loop: Header=BB415_1576 Depth=1
	s_or_b32 exec_lo, exec_lo, s17
	v_lshlrev_b32_e32 v7, 24, v21
	s_delay_alu instid0(VALU_DEP_2) | instskip(SKIP_1) | instid1(VALU_DEP_3)
	v_lshlrev_b32_e32 v6, 20, v6
	v_lshl_add_u32 v9, v39, 23, 0x3c000000
	v_and_b32_e32 v7, 0x80000000, v7
	s_delay_alu instid0(VALU_DEP_1)
	v_or3_b32 v6, v6, v7, v9
.LBB415_2809:                           ;   in Loop: Header=BB415_1576 Depth=1
	s_or_b32 exec_lo, exec_lo, s16
.LBB415_2810:                           ;   in Loop: Header=BB415_1576 Depth=1
	s_delay_alu instid0(SALU_CYCLE_1)
	s_or_b32 exec_lo, exec_lo, s15
.LBB415_2811:                           ;   in Loop: Header=BB415_1576 Depth=1
	s_delay_alu instid0(SALU_CYCLE_1) | instskip(NEXT) | instid1(VALU_DEP_1)
	s_or_b32 exec_lo, exec_lo, s13
	v_mul_f32_e32 v6, v8, v6
                                        ; implicit-def: $vgpr21
	s_delay_alu instid0(VALU_DEP_1) | instskip(NEXT) | instid1(VALU_DEP_1)
	v_and_b32_e32 v7, 0x7f800000, v6
	v_cmp_ne_u32_e64 s1, 0x7f800000, v7
	s_delay_alu instid0(VALU_DEP_1) | instskip(NEXT) | instid1(SALU_CYCLE_1)
	s_and_saveexec_b32 s13, s1
	s_xor_b32 s1, exec_lo, s13
; %bb.2812:                             ;   in Loop: Header=BB415_1576 Depth=1
	v_bfe_u32 v7, v6, 16, 1
	s_delay_alu instid0(VALU_DEP_1)
	v_add3_u32 v21, v6, v7, 0x7fff
                                        ; implicit-def: $vgpr6
; %bb.2813:                             ;   in Loop: Header=BB415_1576 Depth=1
	s_and_not1_saveexec_b32 s13, s1
; %bb.2814:                             ;   in Loop: Header=BB415_1576 Depth=1
	v_and_b32_e32 v7, 0xffff, v6
	v_or_b32_e32 v9, 0x10000, v6
	s_delay_alu instid0(VALU_DEP_2) | instskip(NEXT) | instid1(VALU_DEP_1)
	v_cmp_eq_u32_e64 s1, 0, v7
	v_cndmask_b32_e64 v21, v9, v6, s1
; %bb.2815:                             ;   in Loop: Header=BB415_1576 Depth=1
	s_or_b32 exec_lo, exec_lo, s13
	v_mov_b32_e32 v6, 0
	s_mov_b32 s13, exec_lo
	v_cmpx_lt_u32_e32 0xffffff, v2
	s_cbranch_execz .LBB415_2823
; %bb.2816:                             ;   in Loop: Header=BB415_1576 Depth=1
	v_lshrrev_b32_e32 v39, 24, v2
	v_bfrev_b32_e32 v6, 1
	s_mov_b32 s15, exec_lo
	s_delay_alu instid0(VALU_DEP_2)
	v_cmpx_ne_u32_e32 0x80, v39
	s_cbranch_execz .LBB415_2822
; %bb.2817:                             ;   in Loop: Header=BB415_1576 Depth=1
	v_bfe_u32 v7, v2, 24, 7
	v_mov_b32_e32 v6, 0x7f800001
	s_mov_b32 s16, exec_lo
	s_delay_alu instid0(VALU_DEP_2)
	v_cmpx_ne_u32_e32 0x7f, v7
	s_cbranch_execz .LBB415_2821
; %bb.2818:                             ;   in Loop: Header=BB415_1576 Depth=1
	v_and_b32_e32 v9, 7, v39
	v_lshrrev_b32_e32 v84, 3, v7
	v_cmp_gt_u32_e64 s1, 8, v7
	s_delay_alu instid0(VALU_DEP_3) | instskip(NEXT) | instid1(VALU_DEP_2)
	v_dual_mov_b32 v6, v9 :: v_dual_mov_b32 v7, v10
	s_and_saveexec_b32 s17, s1
; %bb.2819:                             ;   in Loop: Header=BB415_1576 Depth=1
	v_clz_i32_u32_e32 v6, v9
	s_delay_alu instid0(VALU_DEP_1) | instskip(NEXT) | instid1(VALU_DEP_1)
	v_min_u32_e32 v20, 32, v6
	v_subrev_nc_u32_e32 v6, 28, v20
	v_sub_nc_u32_e32 v84, 29, v20
	s_delay_alu instid0(VALU_DEP_2) | instskip(NEXT) | instid1(VALU_DEP_1)
	v_lshlrev_b64 v[6:7], v6, v[9:10]
	v_and_b32_e32 v6, 7, v6
; %bb.2820:                             ;   in Loop: Header=BB415_1576 Depth=1
	s_or_b32 exec_lo, exec_lo, s17
	v_lshlrev_b32_e32 v7, 24, v39
	s_delay_alu instid0(VALU_DEP_2) | instskip(SKIP_1) | instid1(VALU_DEP_3)
	v_lshlrev_b32_e32 v6, 20, v6
	v_lshl_add_u32 v9, v84, 23, 0x3c000000
	v_and_b32_e32 v7, 0x80000000, v7
	s_delay_alu instid0(VALU_DEP_1)
	v_or3_b32 v6, v6, v7, v9
.LBB415_2821:                           ;   in Loop: Header=BB415_1576 Depth=1
	s_or_b32 exec_lo, exec_lo, s16
.LBB415_2822:                           ;   in Loop: Header=BB415_1576 Depth=1
	s_delay_alu instid0(SALU_CYCLE_1)
	s_or_b32 exec_lo, exec_lo, s15
.LBB415_2823:                           ;   in Loop: Header=BB415_1576 Depth=1
	s_delay_alu instid0(SALU_CYCLE_1) | instskip(NEXT) | instid1(VALU_DEP_1)
	s_or_b32 exec_lo, exec_lo, s13
	v_mul_f32_e32 v6, v8, v6
                                        ; implicit-def: $vgpr39
	s_delay_alu instid0(VALU_DEP_1) | instskip(NEXT) | instid1(VALU_DEP_1)
	v_and_b32_e32 v7, 0x7f800000, v6
	v_cmp_ne_u32_e64 s1, 0x7f800000, v7
	s_delay_alu instid0(VALU_DEP_1) | instskip(NEXT) | instid1(SALU_CYCLE_1)
	s_and_saveexec_b32 s13, s1
	s_xor_b32 s1, exec_lo, s13
; %bb.2824:                             ;   in Loop: Header=BB415_1576 Depth=1
	v_bfe_u32 v7, v6, 16, 1
	s_delay_alu instid0(VALU_DEP_1)
	v_add3_u32 v39, v6, v7, 0x7fff
                                        ; implicit-def: $vgpr6
; %bb.2825:                             ;   in Loop: Header=BB415_1576 Depth=1
	s_and_not1_saveexec_b32 s13, s1
; %bb.2826:                             ;   in Loop: Header=BB415_1576 Depth=1
	v_and_b32_e32 v7, 0xffff, v6
	v_or_b32_e32 v9, 0x10000, v6
	s_delay_alu instid0(VALU_DEP_2) | instskip(NEXT) | instid1(VALU_DEP_1)
	v_cmp_eq_u32_e64 s1, 0, v7
	v_cndmask_b32_e64 v39, v9, v6, s1
; %bb.2827:                             ;   in Loop: Header=BB415_1576 Depth=1
	s_or_b32 exec_lo, exec_lo, s13
	v_dual_mov_b32 v6, 0 :: v_dual_and_b32 v7, 0xff, v3
	v_mov_b32_e32 v9, v3
	s_mov_b32 s13, exec_lo
	s_delay_alu instid0(VALU_DEP_2)
	v_cmpx_ne_u16_e32 0, v7
	s_cbranch_execz .LBB415_2835
; %bb.2828:                             ;   in Loop: Header=BB415_1576 Depth=1
	v_bfrev_b32_e32 v6, 1
	s_mov_b32 s15, exec_lo
	v_cmpx_ne_u16_e32 0x80, v7
	s_cbranch_execz .LBB415_2834
; %bb.2829:                             ;   in Loop: Header=BB415_1576 Depth=1
	v_and_b32_e32 v7, 0x7f, v3
	v_mov_b32_e32 v6, 0x7f800001
	s_mov_b32 s16, exec_lo
	s_delay_alu instid0(VALU_DEP_2)
	v_cmpx_ne_u32_e32 0x7f, v7
	s_cbranch_execz .LBB415_2833
; %bb.2830:                             ;   in Loop: Header=BB415_1576 Depth=1
	v_lshrrev_b32_e32 v84, 3, v7
	v_cmp_gt_u32_e64 s1, 8, v7
	v_dual_mov_b32 v6, v9 :: v_dual_mov_b32 v7, v10
	s_delay_alu instid0(VALU_DEP_2)
	s_and_saveexec_b32 s17, s1
; %bb.2831:                             ;   in Loop: Header=BB415_1576 Depth=1
	v_and_b32_e32 v6, 7, v3
	s_delay_alu instid0(VALU_DEP_1) | instskip(NEXT) | instid1(VALU_DEP_1)
	v_clz_i32_u32_e32 v6, v6
	v_min_u32_e32 v20, 32, v6
	s_delay_alu instid0(VALU_DEP_1) | instskip(SKIP_1) | instid1(VALU_DEP_2)
	v_subrev_nc_u32_e32 v6, 28, v20
	v_sub_nc_u32_e32 v84, 29, v20
	v_lshlrev_b64 v[6:7], v6, v[9:10]
; %bb.2832:                             ;   in Loop: Header=BB415_1576 Depth=1
	s_or_b32 exec_lo, exec_lo, s17
	s_delay_alu instid0(VALU_DEP_1) | instskip(SKIP_2) | instid1(VALU_DEP_3)
	v_lshlrev_b32_e32 v6, 20, v6
	v_lshlrev_b32_e32 v7, 24, v9
	v_lshl_add_u32 v20, v84, 23, 0x3c000000
	v_and_b32_e32 v6, 0x700000, v6
	s_delay_alu instid0(VALU_DEP_3) | instskip(NEXT) | instid1(VALU_DEP_1)
	v_and_b32_e32 v7, 0x80000000, v7
	v_or3_b32 v6, v6, v7, v20
.LBB415_2833:                           ;   in Loop: Header=BB415_1576 Depth=1
	s_or_b32 exec_lo, exec_lo, s16
.LBB415_2834:                           ;   in Loop: Header=BB415_1576 Depth=1
	s_delay_alu instid0(SALU_CYCLE_1)
	s_or_b32 exec_lo, exec_lo, s15
.LBB415_2835:                           ;   in Loop: Header=BB415_1576 Depth=1
	s_delay_alu instid0(SALU_CYCLE_1) | instskip(NEXT) | instid1(VALU_DEP_1)
	s_or_b32 exec_lo, exec_lo, s13
	v_mul_f32_e32 v6, v8, v6
                                        ; implicit-def: $vgpr84
	s_delay_alu instid0(VALU_DEP_1) | instskip(NEXT) | instid1(VALU_DEP_1)
	v_and_b32_e32 v7, 0x7f800000, v6
	v_cmp_ne_u32_e64 s1, 0x7f800000, v7
	s_delay_alu instid0(VALU_DEP_1) | instskip(NEXT) | instid1(SALU_CYCLE_1)
	s_and_saveexec_b32 s13, s1
	s_xor_b32 s1, exec_lo, s13
; %bb.2836:                             ;   in Loop: Header=BB415_1576 Depth=1
	v_bfe_u32 v7, v6, 16, 1
	s_delay_alu instid0(VALU_DEP_1)
	v_add3_u32 v84, v6, v7, 0x7fff
                                        ; implicit-def: $vgpr6
; %bb.2837:                             ;   in Loop: Header=BB415_1576 Depth=1
	s_and_not1_saveexec_b32 s13, s1
; %bb.2838:                             ;   in Loop: Header=BB415_1576 Depth=1
	v_and_b32_e32 v7, 0xffff, v6
	v_or_b32_e32 v20, 0x10000, v6
	s_delay_alu instid0(VALU_DEP_2) | instskip(NEXT) | instid1(VALU_DEP_1)
	v_cmp_eq_u32_e64 s1, 0, v7
	v_cndmask_b32_e64 v84, v20, v6, s1
; %bb.2839:                             ;   in Loop: Header=BB415_1576 Depth=1
	s_or_b32 exec_lo, exec_lo, s13
	v_lshrrev_b16 v7, 8, v9
	v_mov_b32_e32 v6, 0
	s_mov_b32 s13, exec_lo
	s_delay_alu instid0(VALU_DEP_2)
	v_cmpx_ne_u16_e32 0, v7
	s_cbranch_execz .LBB415_2847
; %bb.2840:                             ;   in Loop: Header=BB415_1576 Depth=1
	v_bfrev_b32_e32 v6, 1
	s_mov_b32 s15, exec_lo
	v_cmpx_ne_u16_e32 0x80, v7
	s_cbranch_execz .LBB415_2846
; %bb.2841:                             ;   in Loop: Header=BB415_1576 Depth=1
	v_and_b32_e32 v7, 0xffff, v7
	v_mov_b32_e32 v6, 0x7f800001
	s_mov_b32 s16, exec_lo
	s_delay_alu instid0(VALU_DEP_2) | instskip(NEXT) | instid1(VALU_DEP_1)
	v_and_b32_e32 v94, 0x7f, v7
	v_cmpx_ne_u32_e32 0x7f, v94
	s_cbranch_execz .LBB415_2845
; %bb.2842:                             ;   in Loop: Header=BB415_1576 Depth=1
	v_dual_mov_b32 v7, v10 :: v_dual_and_b32 v6, 7, v7
	v_lshrrev_b32_e32 v85, 3, v94
	s_mov_b32 s17, exec_lo
	v_cmpx_gt_u32_e32 8, v94
; %bb.2843:                             ;   in Loop: Header=BB415_1576 Depth=1
	s_delay_alu instid0(VALU_DEP_3) | instskip(NEXT) | instid1(VALU_DEP_1)
	v_clz_i32_u32_e32 v20, v6
	v_min_u32_e32 v20, 32, v20
	s_delay_alu instid0(VALU_DEP_1) | instskip(SKIP_1) | instid1(VALU_DEP_2)
	v_subrev_nc_u32_e32 v22, 28, v20
	v_sub_nc_u32_e32 v85, 29, v20
	v_lshlrev_b64 v[6:7], v22, v[6:7]
	s_delay_alu instid0(VALU_DEP_1)
	v_and_b32_e32 v6, 7, v6
; %bb.2844:                             ;   in Loop: Header=BB415_1576 Depth=1
	s_or_b32 exec_lo, exec_lo, s17
	v_lshlrev_b32_e32 v7, 16, v9
	s_delay_alu instid0(VALU_DEP_2) | instskip(SKIP_1) | instid1(VALU_DEP_3)
	v_lshlrev_b32_e32 v6, 20, v6
	v_lshl_add_u32 v9, v85, 23, 0x3c000000
	v_and_b32_e32 v7, 0x80000000, v7
	s_delay_alu instid0(VALU_DEP_1)
	v_or3_b32 v6, v6, v7, v9
.LBB415_2845:                           ;   in Loop: Header=BB415_1576 Depth=1
	s_or_b32 exec_lo, exec_lo, s16
.LBB415_2846:                           ;   in Loop: Header=BB415_1576 Depth=1
	s_delay_alu instid0(SALU_CYCLE_1)
	s_or_b32 exec_lo, exec_lo, s15
.LBB415_2847:                           ;   in Loop: Header=BB415_1576 Depth=1
	s_delay_alu instid0(SALU_CYCLE_1) | instskip(NEXT) | instid1(VALU_DEP_1)
	s_or_b32 exec_lo, exec_lo, s13
	v_mul_f32_e32 v6, v8, v6
                                        ; implicit-def: $vgpr85
	s_delay_alu instid0(VALU_DEP_1) | instskip(NEXT) | instid1(VALU_DEP_1)
	v_and_b32_e32 v7, 0x7f800000, v6
	v_cmp_ne_u32_e64 s1, 0x7f800000, v7
	s_delay_alu instid0(VALU_DEP_1) | instskip(NEXT) | instid1(SALU_CYCLE_1)
	s_and_saveexec_b32 s13, s1
	s_xor_b32 s1, exec_lo, s13
; %bb.2848:                             ;   in Loop: Header=BB415_1576 Depth=1
	v_bfe_u32 v7, v6, 16, 1
	s_delay_alu instid0(VALU_DEP_1)
	v_add3_u32 v85, v6, v7, 0x7fff
                                        ; implicit-def: $vgpr6
; %bb.2849:                             ;   in Loop: Header=BB415_1576 Depth=1
	s_and_not1_saveexec_b32 s13, s1
; %bb.2850:                             ;   in Loop: Header=BB415_1576 Depth=1
	v_and_b32_e32 v7, 0xffff, v6
	v_or_b32_e32 v9, 0x10000, v6
	s_delay_alu instid0(VALU_DEP_2) | instskip(NEXT) | instid1(VALU_DEP_1)
	v_cmp_eq_u32_e64 s1, 0, v7
	v_cndmask_b32_e64 v85, v9, v6, s1
; %bb.2851:                             ;   in Loop: Header=BB415_1576 Depth=1
	s_or_b32 exec_lo, exec_lo, s13
	v_lshrrev_b32_e32 v94, 16, v3
	s_mov_b32 s13, exec_lo
	s_delay_alu instid0(VALU_DEP_1) | instskip(NEXT) | instid1(VALU_DEP_1)
	v_dual_mov_b32 v6, 0 :: v_dual_and_b32 v7, 0xff, v94
	v_cmpx_ne_u16_e32 0, v7
	s_cbranch_execz .LBB415_2859
; %bb.2852:                             ;   in Loop: Header=BB415_1576 Depth=1
	v_bfrev_b32_e32 v6, 1
	s_mov_b32 s15, exec_lo
	v_cmpx_ne_u16_e32 0x80, v7
	s_cbranch_execz .LBB415_2858
; %bb.2853:                             ;   in Loop: Header=BB415_1576 Depth=1
	v_bfe_u32 v7, v3, 16, 7
	v_mov_b32_e32 v6, 0x7f800001
	s_mov_b32 s16, exec_lo
	s_delay_alu instid0(VALU_DEP_2)
	v_cmpx_ne_u32_e32 0x7f, v7
	s_cbranch_execz .LBB415_2857
; %bb.2854:                             ;   in Loop: Header=BB415_1576 Depth=1
	v_and_b32_e32 v9, 7, v94
	v_lshrrev_b32_e32 v95, 3, v7
	v_cmp_gt_u32_e64 s1, 8, v7
	s_delay_alu instid0(VALU_DEP_3) | instskip(NEXT) | instid1(VALU_DEP_2)
	v_dual_mov_b32 v6, v9 :: v_dual_mov_b32 v7, v10
	s_and_saveexec_b32 s17, s1
; %bb.2855:                             ;   in Loop: Header=BB415_1576 Depth=1
	v_clz_i32_u32_e32 v6, v9
	s_delay_alu instid0(VALU_DEP_1) | instskip(NEXT) | instid1(VALU_DEP_1)
	v_min_u32_e32 v20, 32, v6
	v_subrev_nc_u32_e32 v6, 28, v20
	v_sub_nc_u32_e32 v95, 29, v20
	s_delay_alu instid0(VALU_DEP_2) | instskip(NEXT) | instid1(VALU_DEP_1)
	v_lshlrev_b64 v[6:7], v6, v[9:10]
	v_and_b32_e32 v6, 7, v6
; %bb.2856:                             ;   in Loop: Header=BB415_1576 Depth=1
	s_or_b32 exec_lo, exec_lo, s17
	v_lshlrev_b32_e32 v7, 24, v94
	s_delay_alu instid0(VALU_DEP_2) | instskip(SKIP_1) | instid1(VALU_DEP_3)
	v_lshlrev_b32_e32 v6, 20, v6
	v_lshl_add_u32 v9, v95, 23, 0x3c000000
	v_and_b32_e32 v7, 0x80000000, v7
	s_delay_alu instid0(VALU_DEP_1)
	v_or3_b32 v6, v6, v7, v9
.LBB415_2857:                           ;   in Loop: Header=BB415_1576 Depth=1
	s_or_b32 exec_lo, exec_lo, s16
.LBB415_2858:                           ;   in Loop: Header=BB415_1576 Depth=1
	s_delay_alu instid0(SALU_CYCLE_1)
	s_or_b32 exec_lo, exec_lo, s15
.LBB415_2859:                           ;   in Loop: Header=BB415_1576 Depth=1
	s_delay_alu instid0(SALU_CYCLE_1) | instskip(NEXT) | instid1(VALU_DEP_1)
	s_or_b32 exec_lo, exec_lo, s13
	v_mul_f32_e32 v6, v8, v6
                                        ; implicit-def: $vgpr94
	s_delay_alu instid0(VALU_DEP_1) | instskip(NEXT) | instid1(VALU_DEP_1)
	v_and_b32_e32 v7, 0x7f800000, v6
	v_cmp_ne_u32_e64 s1, 0x7f800000, v7
	s_delay_alu instid0(VALU_DEP_1) | instskip(NEXT) | instid1(SALU_CYCLE_1)
	s_and_saveexec_b32 s13, s1
	s_xor_b32 s1, exec_lo, s13
; %bb.2860:                             ;   in Loop: Header=BB415_1576 Depth=1
	v_bfe_u32 v7, v6, 16, 1
	s_delay_alu instid0(VALU_DEP_1)
	v_add3_u32 v94, v6, v7, 0x7fff
                                        ; implicit-def: $vgpr6
; %bb.2861:                             ;   in Loop: Header=BB415_1576 Depth=1
	s_and_not1_saveexec_b32 s13, s1
; %bb.2862:                             ;   in Loop: Header=BB415_1576 Depth=1
	v_and_b32_e32 v7, 0xffff, v6
	v_or_b32_e32 v9, 0x10000, v6
	s_delay_alu instid0(VALU_DEP_2) | instskip(NEXT) | instid1(VALU_DEP_1)
	v_cmp_eq_u32_e64 s1, 0, v7
	v_cndmask_b32_e64 v94, v9, v6, s1
; %bb.2863:                             ;   in Loop: Header=BB415_1576 Depth=1
	s_or_b32 exec_lo, exec_lo, s13
	v_cmp_lt_u64_e64 s1, s[4:5], v[2:3]
	v_mov_b32_e32 v2, 0
	s_delay_alu instid0(VALU_DEP_2)
	s_and_saveexec_b32 s13, s1
	s_cbranch_execz .LBB415_2871
; %bb.2864:                             ;   in Loop: Header=BB415_1576 Depth=1
	v_lshrrev_b32_e32 v6, 24, v3
	v_bfrev_b32_e32 v2, 1
	s_mov_b32 s15, exec_lo
	s_delay_alu instid0(VALU_DEP_2)
	v_cmpx_ne_u32_e32 0x80, v6
	s_cbranch_execz .LBB415_2870
; %bb.2865:                             ;   in Loop: Header=BB415_1576 Depth=1
	v_bfe_u32 v3, v3, 24, 7
	v_mov_b32_e32 v2, 0x7f800001
	s_mov_b32 s16, exec_lo
	s_delay_alu instid0(VALU_DEP_2)
	v_cmpx_ne_u32_e32 0x7f, v3
	s_cbranch_execz .LBB415_2869
; %bb.2866:                             ;   in Loop: Header=BB415_1576 Depth=1
	v_and_b32_e32 v9, 7, v6
	v_lshrrev_b32_e32 v7, 3, v3
	v_cmp_gt_u32_e64 s1, 8, v3
	s_delay_alu instid0(VALU_DEP_3) | instskip(NEXT) | instid1(VALU_DEP_2)
	v_dual_mov_b32 v2, v9 :: v_dual_mov_b32 v3, v10
	s_and_saveexec_b32 s17, s1
; %bb.2867:                             ;   in Loop: Header=BB415_1576 Depth=1
	v_clz_i32_u32_e32 v2, v9
	s_delay_alu instid0(VALU_DEP_1) | instskip(NEXT) | instid1(VALU_DEP_1)
	v_min_u32_e32 v7, 32, v2
	v_subrev_nc_u32_e32 v2, 28, v7
	v_sub_nc_u32_e32 v7, 29, v7
	s_delay_alu instid0(VALU_DEP_2) | instskip(NEXT) | instid1(VALU_DEP_1)
	v_lshlrev_b64 v[2:3], v2, v[9:10]
	v_and_b32_e32 v2, 7, v2
; %bb.2868:                             ;   in Loop: Header=BB415_1576 Depth=1
	s_or_b32 exec_lo, exec_lo, s17
	v_lshlrev_b32_e32 v3, 24, v6
	s_delay_alu instid0(VALU_DEP_2) | instskip(SKIP_1) | instid1(VALU_DEP_3)
	v_lshlrev_b32_e32 v2, 20, v2
	v_lshl_add_u32 v6, v7, 23, 0x3c000000
	v_and_b32_e32 v3, 0x80000000, v3
	s_delay_alu instid0(VALU_DEP_1)
	v_or3_b32 v2, v2, v3, v6
.LBB415_2869:                           ;   in Loop: Header=BB415_1576 Depth=1
	s_or_b32 exec_lo, exec_lo, s16
.LBB415_2870:                           ;   in Loop: Header=BB415_1576 Depth=1
	s_delay_alu instid0(SALU_CYCLE_1)
	s_or_b32 exec_lo, exec_lo, s15
.LBB415_2871:                           ;   in Loop: Header=BB415_1576 Depth=1
	s_delay_alu instid0(SALU_CYCLE_1) | instskip(NEXT) | instid1(VALU_DEP_1)
	s_or_b32 exec_lo, exec_lo, s13
	v_mul_f32_e32 v3, v8, v2
	s_delay_alu instid0(VALU_DEP_1) | instskip(NEXT) | instid1(VALU_DEP_1)
	v_and_b32_e32 v2, 0x7f800000, v3
	v_cmp_ne_u32_e64 s1, 0x7f800000, v2
                                        ; implicit-def: $vgpr2
	s_delay_alu instid0(VALU_DEP_1) | instskip(NEXT) | instid1(SALU_CYCLE_1)
	s_and_saveexec_b32 s13, s1
	s_xor_b32 s1, exec_lo, s13
; %bb.2872:                             ;   in Loop: Header=BB415_1576 Depth=1
	v_bfe_u32 v2, v3, 16, 1
	s_delay_alu instid0(VALU_DEP_1)
	v_add3_u32 v2, v3, v2, 0x7fff
                                        ; implicit-def: $vgpr3
; %bb.2873:                             ;   in Loop: Header=BB415_1576 Depth=1
	s_and_not1_saveexec_b32 s13, s1
; %bb.2874:                             ;   in Loop: Header=BB415_1576 Depth=1
	v_and_b32_e32 v2, 0xffff, v3
	v_or_b32_e32 v6, 0x10000, v3
	s_delay_alu instid0(VALU_DEP_2) | instskip(NEXT) | instid1(VALU_DEP_1)
	v_cmp_eq_u32_e64 s1, 0, v2
	v_cndmask_b32_e64 v2, v6, v3, s1
; %bb.2875:                             ;   in Loop: Header=BB415_1576 Depth=1
	s_or_b32 exec_lo, exec_lo, s13
	v_lshrrev_b32_e32 v6, 16, v85
	v_lshrrev_b32_e32 v7, 16, v84
	;; [unrolled: 1-line block ×8, first 2 shown]
	s_and_saveexec_b32 s13, vcc_lo
	s_cbranch_execz .LBB415_2877
; %bb.2876:                             ;   in Loop: Header=BB415_1576 Depth=1
	v_cmp_lt_i32_e64 s1, v70, v86
	s_delay_alu instid0(VALU_DEP_1) | instskip(SKIP_1) | instid1(VALU_DEP_1)
	v_cndmask_b32_e64 v4, 0, v4, s1
	v_cmp_lt_i32_e64 s1, v101, v86
	v_cndmask_b32_e64 v5, 0, v5, s1
	v_cmp_lt_i32_e64 s1, v100, v86
	s_delay_alu instid0(VALU_DEP_1) | instskip(SKIP_1) | instid1(VALU_DEP_1)
	v_cndmask_b32_e64 v21, 0, v21, s1
	v_cmp_lt_i32_e64 s1, v83, v86
	v_cndmask_b32_e64 v9, 0, v9, s1
	;; [unrolled: 5-line block ×4, first 2 shown]
.LBB415_2877:                           ;   in Loop: Header=BB415_1576 Depth=1
	s_or_b32 exec_lo, exec_lo, s13
	v_lshlrev_b32_e32 v4, 16, v4
                                        ; implicit-def: $vgpr94
	s_delay_alu instid0(VALU_DEP_1) | instskip(NEXT) | instid1(VALU_DEP_1)
	v_mul_f32_e32 v4, v102, v4
	v_and_b32_e32 v20, 0x7f800000, v4
	s_delay_alu instid0(VALU_DEP_1) | instskip(NEXT) | instid1(VALU_DEP_1)
	v_cmp_ne_u32_e64 s1, 0x7f800000, v20
	s_and_saveexec_b32 s13, s1
	s_delay_alu instid0(SALU_CYCLE_1)
	s_xor_b32 s1, exec_lo, s13
; %bb.2878:                             ;   in Loop: Header=BB415_1576 Depth=1
	v_bfe_u32 v20, v4, 16, 1
	s_delay_alu instid0(VALU_DEP_1)
	v_add3_u32 v94, v4, v20, 0x7fff
                                        ; implicit-def: $vgpr4
; %bb.2879:                             ;   in Loop: Header=BB415_1576 Depth=1
	s_and_not1_saveexec_b32 s13, s1
; %bb.2880:                             ;   in Loop: Header=BB415_1576 Depth=1
	v_and_b32_e32 v20, 0xffff, v4
	v_or_b32_e32 v22, 0x10000, v4
	s_delay_alu instid0(VALU_DEP_2) | instskip(NEXT) | instid1(VALU_DEP_1)
	v_cmp_eq_u32_e64 s1, 0, v20
	v_cndmask_b32_e64 v94, v22, v4, s1
; %bb.2881:                             ;   in Loop: Header=BB415_1576 Depth=1
	s_or_b32 exec_lo, exec_lo, s13
	v_lshlrev_b32_e32 v4, 16, v5
                                        ; implicit-def: $vgpr95
	s_delay_alu instid0(VALU_DEP_1) | instskip(NEXT) | instid1(VALU_DEP_1)
	v_mul_f32_e32 v4, v103, v4
	v_and_b32_e32 v5, 0x7f800000, v4
	s_delay_alu instid0(VALU_DEP_1) | instskip(NEXT) | instid1(VALU_DEP_1)
	v_cmp_ne_u32_e64 s1, 0x7f800000, v5
	s_and_saveexec_b32 s13, s1
	s_delay_alu instid0(SALU_CYCLE_1)
	s_xor_b32 s1, exec_lo, s13
; %bb.2882:                             ;   in Loop: Header=BB415_1576 Depth=1
	v_bfe_u32 v5, v4, 16, 1
	s_delay_alu instid0(VALU_DEP_1)
	v_add3_u32 v95, v4, v5, 0x7fff
                                        ; implicit-def: $vgpr4
; %bb.2883:                             ;   in Loop: Header=BB415_1576 Depth=1
	s_and_not1_saveexec_b32 s13, s1
; %bb.2884:                             ;   in Loop: Header=BB415_1576 Depth=1
	v_and_b32_e32 v5, 0xffff, v4
	v_or_b32_e32 v20, 0x10000, v4
	s_delay_alu instid0(VALU_DEP_2) | instskip(NEXT) | instid1(VALU_DEP_1)
	v_cmp_eq_u32_e64 s1, 0, v5
	v_cndmask_b32_e64 v95, v20, v4, s1
; %bb.2885:                             ;   in Loop: Header=BB415_1576 Depth=1
	s_or_b32 exec_lo, exec_lo, s13
	v_lshlrev_b32_e32 v4, 16, v21
                                        ; implicit-def: $vgpr104
	s_delay_alu instid0(VALU_DEP_1) | instskip(NEXT) | instid1(VALU_DEP_1)
	v_mul_f32_e32 v4, v112, v4
	v_and_b32_e32 v5, 0x7f800000, v4
	s_delay_alu instid0(VALU_DEP_1) | instskip(NEXT) | instid1(VALU_DEP_1)
	v_cmp_ne_u32_e64 s1, 0x7f800000, v5
	s_and_saveexec_b32 s13, s1
	s_delay_alu instid0(SALU_CYCLE_1)
	s_xor_b32 s1, exec_lo, s13
; %bb.2886:                             ;   in Loop: Header=BB415_1576 Depth=1
	v_bfe_u32 v5, v4, 16, 1
	s_delay_alu instid0(VALU_DEP_1)
	v_add3_u32 v104, v4, v5, 0x7fff
                                        ; implicit-def: $vgpr4
; %bb.2887:                             ;   in Loop: Header=BB415_1576 Depth=1
	s_and_not1_saveexec_b32 s13, s1
; %bb.2888:                             ;   in Loop: Header=BB415_1576 Depth=1
	v_and_b32_e32 v5, 0xffff, v4
	v_or_b32_e32 v20, 0x10000, v4
	s_delay_alu instid0(VALU_DEP_2) | instskip(NEXT) | instid1(VALU_DEP_1)
	v_cmp_eq_u32_e64 s1, 0, v5
	v_cndmask_b32_e64 v104, v20, v4, s1
; %bb.2889:                             ;   in Loop: Header=BB415_1576 Depth=1
	s_or_b32 exec_lo, exec_lo, s13
	v_lshlrev_b32_e32 v4, 16, v9
                                        ; implicit-def: $vgpr105
	s_delay_alu instid0(VALU_DEP_1) | instskip(NEXT) | instid1(VALU_DEP_1)
	v_mul_f32_e32 v4, v113, v4
	v_and_b32_e32 v5, 0x7f800000, v4
	s_delay_alu instid0(VALU_DEP_1) | instskip(NEXT) | instid1(VALU_DEP_1)
	v_cmp_ne_u32_e64 s1, 0x7f800000, v5
	s_and_saveexec_b32 s13, s1
	s_delay_alu instid0(SALU_CYCLE_1)
	s_xor_b32 s1, exec_lo, s13
; %bb.2890:                             ;   in Loop: Header=BB415_1576 Depth=1
	v_bfe_u32 v5, v4, 16, 1
	s_delay_alu instid0(VALU_DEP_1)
	v_add3_u32 v105, v4, v5, 0x7fff
                                        ; implicit-def: $vgpr4
; %bb.2891:                             ;   in Loop: Header=BB415_1576 Depth=1
	s_and_not1_saveexec_b32 s13, s1
; %bb.2892:                             ;   in Loop: Header=BB415_1576 Depth=1
	v_and_b32_e32 v5, 0xffff, v4
	v_or_b32_e32 v9, 0x10000, v4
	s_delay_alu instid0(VALU_DEP_2) | instskip(NEXT) | instid1(VALU_DEP_1)
	v_cmp_eq_u32_e64 s1, 0, v5
	v_cndmask_b32_e64 v105, v9, v4, s1
; %bb.2893:                             ;   in Loop: Header=BB415_1576 Depth=1
	s_or_b32 exec_lo, exec_lo, s13
	v_lshlrev_b32_e32 v4, 16, v7
                                        ; implicit-def: $vgpr106
	s_delay_alu instid0(VALU_DEP_1) | instskip(NEXT) | instid1(VALU_DEP_1)
	v_mul_f32_e32 v4, v114, v4
	v_and_b32_e32 v5, 0x7f800000, v4
	s_delay_alu instid0(VALU_DEP_1) | instskip(NEXT) | instid1(VALU_DEP_1)
	v_cmp_ne_u32_e64 s1, 0x7f800000, v5
	s_and_saveexec_b32 s13, s1
	s_delay_alu instid0(SALU_CYCLE_1)
	s_xor_b32 s1, exec_lo, s13
; %bb.2894:                             ;   in Loop: Header=BB415_1576 Depth=1
	v_bfe_u32 v5, v4, 16, 1
	s_delay_alu instid0(VALU_DEP_1)
	v_add3_u32 v106, v4, v5, 0x7fff
                                        ; implicit-def: $vgpr4
; %bb.2895:                             ;   in Loop: Header=BB415_1576 Depth=1
	s_and_not1_saveexec_b32 s13, s1
; %bb.2896:                             ;   in Loop: Header=BB415_1576 Depth=1
	v_and_b32_e32 v5, 0xffff, v4
	v_or_b32_e32 v7, 0x10000, v4
	s_delay_alu instid0(VALU_DEP_2) | instskip(NEXT) | instid1(VALU_DEP_1)
	v_cmp_eq_u32_e64 s1, 0, v5
	v_cndmask_b32_e64 v106, v7, v4, s1
; %bb.2897:                             ;   in Loop: Header=BB415_1576 Depth=1
	s_or_b32 exec_lo, exec_lo, s13
	v_lshlrev_b32_e32 v4, 16, v6
                                        ; implicit-def: $vgpr107
	s_delay_alu instid0(VALU_DEP_1) | instskip(NEXT) | instid1(VALU_DEP_1)
	v_mul_f32_e32 v4, v115, v4
	v_and_b32_e32 v5, 0x7f800000, v4
	s_delay_alu instid0(VALU_DEP_1) | instskip(NEXT) | instid1(VALU_DEP_1)
	v_cmp_ne_u32_e64 s1, 0x7f800000, v5
	s_and_saveexec_b32 s13, s1
	s_delay_alu instid0(SALU_CYCLE_1)
	s_xor_b32 s1, exec_lo, s13
; %bb.2898:                             ;   in Loop: Header=BB415_1576 Depth=1
	v_bfe_u32 v5, v4, 16, 1
	s_delay_alu instid0(VALU_DEP_1)
	v_add3_u32 v107, v4, v5, 0x7fff
                                        ; implicit-def: $vgpr4
; %bb.2899:                             ;   in Loop: Header=BB415_1576 Depth=1
	s_and_not1_saveexec_b32 s13, s1
; %bb.2900:                             ;   in Loop: Header=BB415_1576 Depth=1
	v_and_b32_e32 v5, 0xffff, v4
	v_or_b32_e32 v6, 0x10000, v4
	s_delay_alu instid0(VALU_DEP_2) | instskip(NEXT) | instid1(VALU_DEP_1)
	v_cmp_eq_u32_e64 s1, 0, v5
	v_cndmask_b32_e64 v107, v6, v4, s1
; %bb.2901:                             ;   in Loop: Header=BB415_1576 Depth=1
	s_or_b32 exec_lo, exec_lo, s13
	v_lshlrev_b32_e32 v3, 16, v3
                                        ; implicit-def: $vgpr108
	s_delay_alu instid0(VALU_DEP_1) | instskip(NEXT) | instid1(VALU_DEP_1)
	v_mul_f32_e32 v3, v116, v3
	v_and_b32_e32 v4, 0x7f800000, v3
	s_delay_alu instid0(VALU_DEP_1) | instskip(NEXT) | instid1(VALU_DEP_1)
	v_cmp_ne_u32_e64 s1, 0x7f800000, v4
	s_and_saveexec_b32 s13, s1
	s_delay_alu instid0(SALU_CYCLE_1)
	s_xor_b32 s1, exec_lo, s13
; %bb.2902:                             ;   in Loop: Header=BB415_1576 Depth=1
	v_bfe_u32 v4, v3, 16, 1
	s_delay_alu instid0(VALU_DEP_1)
	v_add3_u32 v108, v3, v4, 0x7fff
                                        ; implicit-def: $vgpr3
; %bb.2903:                             ;   in Loop: Header=BB415_1576 Depth=1
	s_and_not1_saveexec_b32 s13, s1
; %bb.2904:                             ;   in Loop: Header=BB415_1576 Depth=1
	v_and_b32_e32 v4, 0xffff, v3
	v_or_b32_e32 v5, 0x10000, v3
	s_delay_alu instid0(VALU_DEP_2) | instskip(NEXT) | instid1(VALU_DEP_1)
	v_cmp_eq_u32_e64 s1, 0, v4
	v_cndmask_b32_e64 v108, v5, v3, s1
; %bb.2905:                             ;   in Loop: Header=BB415_1576 Depth=1
	s_or_b32 exec_lo, exec_lo, s13
	v_lshlrev_b32_e32 v2, 16, v2
                                        ; implicit-def: $vgpr109
	s_delay_alu instid0(VALU_DEP_1) | instskip(NEXT) | instid1(VALU_DEP_1)
	v_mul_f32_e32 v2, v117, v2
	v_and_b32_e32 v3, 0x7f800000, v2
	s_delay_alu instid0(VALU_DEP_1) | instskip(NEXT) | instid1(VALU_DEP_1)
	v_cmp_ne_u32_e64 s1, 0x7f800000, v3
	s_and_saveexec_b32 s13, s1
	s_delay_alu instid0(SALU_CYCLE_1)
	s_xor_b32 s1, exec_lo, s13
; %bb.2906:                             ;   in Loop: Header=BB415_1576 Depth=1
	v_bfe_u32 v3, v2, 16, 1
	s_delay_alu instid0(VALU_DEP_1)
	v_add3_u32 v109, v2, v3, 0x7fff
                                        ; implicit-def: $vgpr2
; %bb.2907:                             ;   in Loop: Header=BB415_1576 Depth=1
	s_and_not1_saveexec_b32 s13, s1
; %bb.2908:                             ;   in Loop: Header=BB415_1576 Depth=1
	v_and_b32_e32 v3, 0xffff, v2
	v_or_b32_e32 v4, 0x10000, v2
	s_delay_alu instid0(VALU_DEP_2) | instskip(NEXT) | instid1(VALU_DEP_1)
	v_cmp_eq_u32_e64 s1, 0, v3
	v_cndmask_b32_e64 v109, v4, v2, s1
; %bb.2909:                             ;   in Loop: Header=BB415_1576 Depth=1
	s_or_b32 exec_lo, exec_lo, s13
	flat_load_b64 v[2:3], v[0:1] offset:2560
	s_mov_b32 s13, exec_lo
	s_waitcnt vmcnt(0) lgkmcnt(0)
	v_dual_mov_b32 v4, 0 :: v_dual_and_b32 v5, 0xff, v2
	s_delay_alu instid0(VALU_DEP_1)
	v_cmpx_ne_u16_e32 0, v5
	s_cbranch_execz .LBB415_2917
; %bb.2910:                             ;   in Loop: Header=BB415_1576 Depth=1
	v_bfrev_b32_e32 v4, 1
	s_mov_b32 s15, exec_lo
	v_cmpx_ne_u16_e32 0x80, v5
	s_cbranch_execz .LBB415_2916
; %bb.2911:                             ;   in Loop: Header=BB415_1576 Depth=1
	v_and_b32_e32 v5, 0x7f, v2
	v_mov_b32_e32 v4, 0x7f800001
	s_mov_b32 s16, exec_lo
	s_delay_alu instid0(VALU_DEP_2)
	v_cmpx_ne_u32_e32 0x7f, v5
	s_cbranch_execz .LBB415_2915
; %bb.2912:                             ;   in Loop: Header=BB415_1576 Depth=1
	v_lshrrev_b32_e32 v4, 3, v5
	v_dual_mov_b32 v7, v3 :: v_dual_mov_b32 v6, v2
	s_mov_b32 s17, exec_lo
	v_cmpx_gt_u32_e32 8, v5
; %bb.2913:                             ;   in Loop: Header=BB415_1576 Depth=1
	v_and_b32_e32 v4, 7, v2
	s_delay_alu instid0(VALU_DEP_1) | instskip(NEXT) | instid1(VALU_DEP_1)
	v_clz_i32_u32_e32 v4, v4
	v_min_u32_e32 v4, 32, v4
	s_delay_alu instid0(VALU_DEP_1) | instskip(SKIP_1) | instid1(VALU_DEP_2)
	v_subrev_nc_u32_e32 v5, 28, v4
	v_sub_nc_u32_e32 v4, 29, v4
	v_lshlrev_b64 v[6:7], v5, v[2:3]
; %bb.2914:                             ;   in Loop: Header=BB415_1576 Depth=1
	s_or_b32 exec_lo, exec_lo, s17
	s_delay_alu instid0(VALU_DEP_1) | instskip(SKIP_2) | instid1(VALU_DEP_3)
	v_lshlrev_b32_e32 v5, 20, v6
	v_lshlrev_b32_e32 v6, 24, v2
	v_lshl_add_u32 v4, v4, 23, 0x3c000000
	v_and_b32_e32 v5, 0x700000, v5
	s_delay_alu instid0(VALU_DEP_3) | instskip(NEXT) | instid1(VALU_DEP_1)
	v_and_b32_e32 v6, 0x80000000, v6
	v_or3_b32 v4, v5, v6, v4
.LBB415_2915:                           ;   in Loop: Header=BB415_1576 Depth=1
	s_or_b32 exec_lo, exec_lo, s16
.LBB415_2916:                           ;   in Loop: Header=BB415_1576 Depth=1
	s_delay_alu instid0(SALU_CYCLE_1)
	s_or_b32 exec_lo, exec_lo, s15
.LBB415_2917:                           ;   in Loop: Header=BB415_1576 Depth=1
	s_delay_alu instid0(SALU_CYCLE_1) | instskip(NEXT) | instid1(VALU_DEP_1)
	s_or_b32 exec_lo, exec_lo, s13
	v_mul_f32_e32 v5, v8, v4
	s_delay_alu instid0(VALU_DEP_1) | instskip(NEXT) | instid1(VALU_DEP_1)
	v_and_b32_e32 v4, 0x7f800000, v5
	v_cmp_ne_u32_e64 s1, 0x7f800000, v4
                                        ; implicit-def: $vgpr4
	s_delay_alu instid0(VALU_DEP_1) | instskip(NEXT) | instid1(SALU_CYCLE_1)
	s_and_saveexec_b32 s13, s1
	s_xor_b32 s1, exec_lo, s13
; %bb.2918:                             ;   in Loop: Header=BB415_1576 Depth=1
	v_bfe_u32 v4, v5, 16, 1
	s_delay_alu instid0(VALU_DEP_1)
	v_add3_u32 v4, v5, v4, 0x7fff
                                        ; implicit-def: $vgpr5
; %bb.2919:                             ;   in Loop: Header=BB415_1576 Depth=1
	s_and_not1_saveexec_b32 s13, s1
; %bb.2920:                             ;   in Loop: Header=BB415_1576 Depth=1
	v_and_b32_e32 v4, 0xffff, v5
	v_or_b32_e32 v6, 0x10000, v5
	s_delay_alu instid0(VALU_DEP_2) | instskip(NEXT) | instid1(VALU_DEP_1)
	v_cmp_eq_u32_e64 s1, 0, v4
	v_cndmask_b32_e64 v4, v6, v5, s1
; %bb.2921:                             ;   in Loop: Header=BB415_1576 Depth=1
	s_or_b32 exec_lo, exec_lo, s13
	v_lshrrev_b16 v6, 8, v2
	v_mov_b32_e32 v5, 0
	s_mov_b32 s13, exec_lo
	s_delay_alu instid0(VALU_DEP_2)
	v_cmpx_ne_u16_e32 0, v6
	s_cbranch_execz .LBB415_2929
; %bb.2922:                             ;   in Loop: Header=BB415_1576 Depth=1
	v_bfrev_b32_e32 v5, 1
	s_mov_b32 s15, exec_lo
	v_cmpx_ne_u16_e32 0x80, v6
	s_cbranch_execz .LBB415_2928
; %bb.2923:                             ;   in Loop: Header=BB415_1576 Depth=1
	v_and_b32_e32 v7, 0xffff, v6
	v_mov_b32_e32 v5, 0x7f800001
	s_mov_b32 s16, exec_lo
	s_delay_alu instid0(VALU_DEP_2) | instskip(NEXT) | instid1(VALU_DEP_1)
	v_and_b32_e32 v6, 0x7f, v7
	v_cmpx_ne_u32_e32 0x7f, v6
	s_cbranch_execz .LBB415_2927
; %bb.2924:                             ;   in Loop: Header=BB415_1576 Depth=1
	v_and_b32_e32 v9, 7, v7
	v_lshrrev_b32_e32 v5, 3, v6
	v_cmp_gt_u32_e64 s1, 8, v6
	s_delay_alu instid0(VALU_DEP_3) | instskip(NEXT) | instid1(VALU_DEP_2)
	v_dual_mov_b32 v6, v9 :: v_dual_mov_b32 v7, v10
	s_and_saveexec_b32 s17, s1
; %bb.2925:                             ;   in Loop: Header=BB415_1576 Depth=1
	v_clz_i32_u32_e32 v5, v9
	s_delay_alu instid0(VALU_DEP_1) | instskip(NEXT) | instid1(VALU_DEP_1)
	v_min_u32_e32 v5, 32, v5
	v_subrev_nc_u32_e32 v6, 28, v5
	v_sub_nc_u32_e32 v5, 29, v5
	s_delay_alu instid0(VALU_DEP_2) | instskip(NEXT) | instid1(VALU_DEP_1)
	v_lshlrev_b64 v[6:7], v6, v[9:10]
	v_and_b32_e32 v6, 7, v6
; %bb.2926:                             ;   in Loop: Header=BB415_1576 Depth=1
	s_or_b32 exec_lo, exec_lo, s17
	v_lshlrev_b32_e32 v7, 16, v2
	s_delay_alu instid0(VALU_DEP_2) | instskip(SKIP_1) | instid1(VALU_DEP_3)
	v_lshlrev_b32_e32 v6, 20, v6
	v_lshl_add_u32 v5, v5, 23, 0x3c000000
	v_and_b32_e32 v7, 0x80000000, v7
	s_delay_alu instid0(VALU_DEP_1)
	v_or3_b32 v5, v6, v7, v5
.LBB415_2927:                           ;   in Loop: Header=BB415_1576 Depth=1
	s_or_b32 exec_lo, exec_lo, s16
.LBB415_2928:                           ;   in Loop: Header=BB415_1576 Depth=1
	s_delay_alu instid0(SALU_CYCLE_1)
	s_or_b32 exec_lo, exec_lo, s15
.LBB415_2929:                           ;   in Loop: Header=BB415_1576 Depth=1
	s_delay_alu instid0(SALU_CYCLE_1) | instskip(NEXT) | instid1(VALU_DEP_1)
	s_or_b32 exec_lo, exec_lo, s13
	v_mul_f32_e32 v6, v8, v5
	s_delay_alu instid0(VALU_DEP_1) | instskip(NEXT) | instid1(VALU_DEP_1)
	v_and_b32_e32 v5, 0x7f800000, v6
	v_cmp_ne_u32_e64 s1, 0x7f800000, v5
                                        ; implicit-def: $vgpr5
	s_delay_alu instid0(VALU_DEP_1) | instskip(NEXT) | instid1(SALU_CYCLE_1)
	s_and_saveexec_b32 s13, s1
	s_xor_b32 s1, exec_lo, s13
; %bb.2930:                             ;   in Loop: Header=BB415_1576 Depth=1
	v_bfe_u32 v5, v6, 16, 1
	s_delay_alu instid0(VALU_DEP_1)
	v_add3_u32 v5, v6, v5, 0x7fff
                                        ; implicit-def: $vgpr6
; %bb.2931:                             ;   in Loop: Header=BB415_1576 Depth=1
	s_and_not1_saveexec_b32 s13, s1
; %bb.2932:                             ;   in Loop: Header=BB415_1576 Depth=1
	v_and_b32_e32 v5, 0xffff, v6
	v_or_b32_e32 v7, 0x10000, v6
	s_delay_alu instid0(VALU_DEP_2) | instskip(NEXT) | instid1(VALU_DEP_1)
	v_cmp_eq_u32_e64 s1, 0, v5
	v_cndmask_b32_e64 v5, v7, v6, s1
; %bb.2933:                             ;   in Loop: Header=BB415_1576 Depth=1
	s_or_b32 exec_lo, exec_lo, s13
	v_lshrrev_b32_e32 v21, 16, v2
	s_mov_b32 s13, exec_lo
	s_delay_alu instid0(VALU_DEP_1) | instskip(NEXT) | instid1(VALU_DEP_1)
	v_dual_mov_b32 v6, 0 :: v_dual_and_b32 v7, 0xff, v21
	v_cmpx_ne_u16_e32 0, v7
	s_cbranch_execz .LBB415_2941
; %bb.2934:                             ;   in Loop: Header=BB415_1576 Depth=1
	v_bfrev_b32_e32 v6, 1
	s_mov_b32 s15, exec_lo
	v_cmpx_ne_u16_e32 0x80, v7
	s_cbranch_execz .LBB415_2940
; %bb.2935:                             ;   in Loop: Header=BB415_1576 Depth=1
	v_bfe_u32 v7, v2, 16, 7
	v_mov_b32_e32 v6, 0x7f800001
	s_mov_b32 s16, exec_lo
	s_delay_alu instid0(VALU_DEP_2)
	v_cmpx_ne_u32_e32 0x7f, v7
	s_cbranch_execz .LBB415_2939
; %bb.2936:                             ;   in Loop: Header=BB415_1576 Depth=1
	v_and_b32_e32 v9, 7, v21
	v_lshrrev_b32_e32 v39, 3, v7
	v_cmp_gt_u32_e64 s1, 8, v7
	s_delay_alu instid0(VALU_DEP_3) | instskip(NEXT) | instid1(VALU_DEP_2)
	v_dual_mov_b32 v6, v9 :: v_dual_mov_b32 v7, v10
	s_and_saveexec_b32 s17, s1
; %bb.2937:                             ;   in Loop: Header=BB415_1576 Depth=1
	v_clz_i32_u32_e32 v6, v9
	s_delay_alu instid0(VALU_DEP_1) | instskip(NEXT) | instid1(VALU_DEP_1)
	v_min_u32_e32 v20, 32, v6
	v_subrev_nc_u32_e32 v6, 28, v20
	v_sub_nc_u32_e32 v39, 29, v20
	s_delay_alu instid0(VALU_DEP_2) | instskip(NEXT) | instid1(VALU_DEP_1)
	v_lshlrev_b64 v[6:7], v6, v[9:10]
	v_and_b32_e32 v6, 7, v6
; %bb.2938:                             ;   in Loop: Header=BB415_1576 Depth=1
	s_or_b32 exec_lo, exec_lo, s17
	v_lshlrev_b32_e32 v7, 24, v21
	s_delay_alu instid0(VALU_DEP_2) | instskip(SKIP_1) | instid1(VALU_DEP_3)
	v_lshlrev_b32_e32 v6, 20, v6
	v_lshl_add_u32 v9, v39, 23, 0x3c000000
	v_and_b32_e32 v7, 0x80000000, v7
	s_delay_alu instid0(VALU_DEP_1)
	v_or3_b32 v6, v6, v7, v9
.LBB415_2939:                           ;   in Loop: Header=BB415_1576 Depth=1
	s_or_b32 exec_lo, exec_lo, s16
.LBB415_2940:                           ;   in Loop: Header=BB415_1576 Depth=1
	s_delay_alu instid0(SALU_CYCLE_1)
	s_or_b32 exec_lo, exec_lo, s15
.LBB415_2941:                           ;   in Loop: Header=BB415_1576 Depth=1
	s_delay_alu instid0(SALU_CYCLE_1) | instskip(NEXT) | instid1(VALU_DEP_1)
	s_or_b32 exec_lo, exec_lo, s13
	v_mul_f32_e32 v6, v8, v6
                                        ; implicit-def: $vgpr21
	s_delay_alu instid0(VALU_DEP_1) | instskip(NEXT) | instid1(VALU_DEP_1)
	v_and_b32_e32 v7, 0x7f800000, v6
	v_cmp_ne_u32_e64 s1, 0x7f800000, v7
	s_delay_alu instid0(VALU_DEP_1) | instskip(NEXT) | instid1(SALU_CYCLE_1)
	s_and_saveexec_b32 s13, s1
	s_xor_b32 s1, exec_lo, s13
; %bb.2942:                             ;   in Loop: Header=BB415_1576 Depth=1
	v_bfe_u32 v7, v6, 16, 1
	s_delay_alu instid0(VALU_DEP_1)
	v_add3_u32 v21, v6, v7, 0x7fff
                                        ; implicit-def: $vgpr6
; %bb.2943:                             ;   in Loop: Header=BB415_1576 Depth=1
	s_and_not1_saveexec_b32 s13, s1
; %bb.2944:                             ;   in Loop: Header=BB415_1576 Depth=1
	v_and_b32_e32 v7, 0xffff, v6
	v_or_b32_e32 v9, 0x10000, v6
	s_delay_alu instid0(VALU_DEP_2) | instskip(NEXT) | instid1(VALU_DEP_1)
	v_cmp_eq_u32_e64 s1, 0, v7
	v_cndmask_b32_e64 v21, v9, v6, s1
; %bb.2945:                             ;   in Loop: Header=BB415_1576 Depth=1
	s_or_b32 exec_lo, exec_lo, s13
	v_mov_b32_e32 v6, 0
	s_mov_b32 s13, exec_lo
	v_cmpx_lt_u32_e32 0xffffff, v2
	s_cbranch_execz .LBB415_2953
; %bb.2946:                             ;   in Loop: Header=BB415_1576 Depth=1
	v_lshrrev_b32_e32 v39, 24, v2
	v_bfrev_b32_e32 v6, 1
	s_mov_b32 s15, exec_lo
	s_delay_alu instid0(VALU_DEP_2)
	v_cmpx_ne_u32_e32 0x80, v39
	s_cbranch_execz .LBB415_2952
; %bb.2947:                             ;   in Loop: Header=BB415_1576 Depth=1
	v_bfe_u32 v7, v2, 24, 7
	v_mov_b32_e32 v6, 0x7f800001
	s_mov_b32 s16, exec_lo
	s_delay_alu instid0(VALU_DEP_2)
	v_cmpx_ne_u32_e32 0x7f, v7
	s_cbranch_execz .LBB415_2951
; %bb.2948:                             ;   in Loop: Header=BB415_1576 Depth=1
	v_and_b32_e32 v9, 7, v39
	v_lshrrev_b32_e32 v84, 3, v7
	v_cmp_gt_u32_e64 s1, 8, v7
	s_delay_alu instid0(VALU_DEP_3) | instskip(NEXT) | instid1(VALU_DEP_2)
	v_dual_mov_b32 v6, v9 :: v_dual_mov_b32 v7, v10
	s_and_saveexec_b32 s17, s1
; %bb.2949:                             ;   in Loop: Header=BB415_1576 Depth=1
	v_clz_i32_u32_e32 v6, v9
	s_delay_alu instid0(VALU_DEP_1) | instskip(NEXT) | instid1(VALU_DEP_1)
	v_min_u32_e32 v20, 32, v6
	v_subrev_nc_u32_e32 v6, 28, v20
	v_sub_nc_u32_e32 v84, 29, v20
	s_delay_alu instid0(VALU_DEP_2) | instskip(NEXT) | instid1(VALU_DEP_1)
	v_lshlrev_b64 v[6:7], v6, v[9:10]
	v_and_b32_e32 v6, 7, v6
; %bb.2950:                             ;   in Loop: Header=BB415_1576 Depth=1
	s_or_b32 exec_lo, exec_lo, s17
	v_lshlrev_b32_e32 v7, 24, v39
	s_delay_alu instid0(VALU_DEP_2) | instskip(SKIP_1) | instid1(VALU_DEP_3)
	v_lshlrev_b32_e32 v6, 20, v6
	v_lshl_add_u32 v9, v84, 23, 0x3c000000
	v_and_b32_e32 v7, 0x80000000, v7
	s_delay_alu instid0(VALU_DEP_1)
	v_or3_b32 v6, v6, v7, v9
.LBB415_2951:                           ;   in Loop: Header=BB415_1576 Depth=1
	s_or_b32 exec_lo, exec_lo, s16
.LBB415_2952:                           ;   in Loop: Header=BB415_1576 Depth=1
	s_delay_alu instid0(SALU_CYCLE_1)
	s_or_b32 exec_lo, exec_lo, s15
.LBB415_2953:                           ;   in Loop: Header=BB415_1576 Depth=1
	s_delay_alu instid0(SALU_CYCLE_1) | instskip(NEXT) | instid1(VALU_DEP_1)
	s_or_b32 exec_lo, exec_lo, s13
	v_mul_f32_e32 v6, v8, v6
                                        ; implicit-def: $vgpr39
	s_delay_alu instid0(VALU_DEP_1) | instskip(NEXT) | instid1(VALU_DEP_1)
	v_and_b32_e32 v7, 0x7f800000, v6
	v_cmp_ne_u32_e64 s1, 0x7f800000, v7
	s_delay_alu instid0(VALU_DEP_1) | instskip(NEXT) | instid1(SALU_CYCLE_1)
	s_and_saveexec_b32 s13, s1
	s_xor_b32 s1, exec_lo, s13
; %bb.2954:                             ;   in Loop: Header=BB415_1576 Depth=1
	v_bfe_u32 v7, v6, 16, 1
	s_delay_alu instid0(VALU_DEP_1)
	v_add3_u32 v39, v6, v7, 0x7fff
                                        ; implicit-def: $vgpr6
; %bb.2955:                             ;   in Loop: Header=BB415_1576 Depth=1
	s_and_not1_saveexec_b32 s13, s1
; %bb.2956:                             ;   in Loop: Header=BB415_1576 Depth=1
	v_and_b32_e32 v7, 0xffff, v6
	v_or_b32_e32 v9, 0x10000, v6
	s_delay_alu instid0(VALU_DEP_2) | instskip(NEXT) | instid1(VALU_DEP_1)
	v_cmp_eq_u32_e64 s1, 0, v7
	v_cndmask_b32_e64 v39, v9, v6, s1
; %bb.2957:                             ;   in Loop: Header=BB415_1576 Depth=1
	s_or_b32 exec_lo, exec_lo, s13
	v_dual_mov_b32 v6, 0 :: v_dual_and_b32 v7, 0xff, v3
	v_mov_b32_e32 v9, v3
	s_mov_b32 s13, exec_lo
	s_delay_alu instid0(VALU_DEP_2)
	v_cmpx_ne_u16_e32 0, v7
	s_cbranch_execz .LBB415_2965
; %bb.2958:                             ;   in Loop: Header=BB415_1576 Depth=1
	v_bfrev_b32_e32 v6, 1
	s_mov_b32 s15, exec_lo
	v_cmpx_ne_u16_e32 0x80, v7
	s_cbranch_execz .LBB415_2964
; %bb.2959:                             ;   in Loop: Header=BB415_1576 Depth=1
	v_and_b32_e32 v7, 0x7f, v3
	v_mov_b32_e32 v6, 0x7f800001
	s_mov_b32 s16, exec_lo
	s_delay_alu instid0(VALU_DEP_2)
	v_cmpx_ne_u32_e32 0x7f, v7
	s_cbranch_execz .LBB415_2963
; %bb.2960:                             ;   in Loop: Header=BB415_1576 Depth=1
	v_lshrrev_b32_e32 v84, 3, v7
	v_cmp_gt_u32_e64 s1, 8, v7
	v_dual_mov_b32 v6, v9 :: v_dual_mov_b32 v7, v10
	s_delay_alu instid0(VALU_DEP_2)
	s_and_saveexec_b32 s17, s1
; %bb.2961:                             ;   in Loop: Header=BB415_1576 Depth=1
	v_and_b32_e32 v6, 7, v3
	s_delay_alu instid0(VALU_DEP_1) | instskip(NEXT) | instid1(VALU_DEP_1)
	v_clz_i32_u32_e32 v6, v6
	v_min_u32_e32 v20, 32, v6
	s_delay_alu instid0(VALU_DEP_1) | instskip(SKIP_1) | instid1(VALU_DEP_2)
	v_subrev_nc_u32_e32 v6, 28, v20
	v_sub_nc_u32_e32 v84, 29, v20
	v_lshlrev_b64 v[6:7], v6, v[9:10]
; %bb.2962:                             ;   in Loop: Header=BB415_1576 Depth=1
	s_or_b32 exec_lo, exec_lo, s17
	s_delay_alu instid0(VALU_DEP_1) | instskip(SKIP_2) | instid1(VALU_DEP_3)
	v_lshlrev_b32_e32 v6, 20, v6
	v_lshlrev_b32_e32 v7, 24, v9
	v_lshl_add_u32 v20, v84, 23, 0x3c000000
	v_and_b32_e32 v6, 0x700000, v6
	s_delay_alu instid0(VALU_DEP_3) | instskip(NEXT) | instid1(VALU_DEP_1)
	v_and_b32_e32 v7, 0x80000000, v7
	v_or3_b32 v6, v6, v7, v20
.LBB415_2963:                           ;   in Loop: Header=BB415_1576 Depth=1
	s_or_b32 exec_lo, exec_lo, s16
.LBB415_2964:                           ;   in Loop: Header=BB415_1576 Depth=1
	s_delay_alu instid0(SALU_CYCLE_1)
	s_or_b32 exec_lo, exec_lo, s15
.LBB415_2965:                           ;   in Loop: Header=BB415_1576 Depth=1
	s_delay_alu instid0(SALU_CYCLE_1) | instskip(NEXT) | instid1(VALU_DEP_1)
	s_or_b32 exec_lo, exec_lo, s13
	v_mul_f32_e32 v6, v8, v6
                                        ; implicit-def: $vgpr84
	s_delay_alu instid0(VALU_DEP_1) | instskip(NEXT) | instid1(VALU_DEP_1)
	v_and_b32_e32 v7, 0x7f800000, v6
	v_cmp_ne_u32_e64 s1, 0x7f800000, v7
	s_delay_alu instid0(VALU_DEP_1) | instskip(NEXT) | instid1(SALU_CYCLE_1)
	s_and_saveexec_b32 s13, s1
	s_xor_b32 s1, exec_lo, s13
; %bb.2966:                             ;   in Loop: Header=BB415_1576 Depth=1
	v_bfe_u32 v7, v6, 16, 1
	s_delay_alu instid0(VALU_DEP_1)
	v_add3_u32 v84, v6, v7, 0x7fff
                                        ; implicit-def: $vgpr6
; %bb.2967:                             ;   in Loop: Header=BB415_1576 Depth=1
	s_and_not1_saveexec_b32 s13, s1
; %bb.2968:                             ;   in Loop: Header=BB415_1576 Depth=1
	v_and_b32_e32 v7, 0xffff, v6
	v_or_b32_e32 v20, 0x10000, v6
	s_delay_alu instid0(VALU_DEP_2) | instskip(NEXT) | instid1(VALU_DEP_1)
	v_cmp_eq_u32_e64 s1, 0, v7
	v_cndmask_b32_e64 v84, v20, v6, s1
; %bb.2969:                             ;   in Loop: Header=BB415_1576 Depth=1
	s_or_b32 exec_lo, exec_lo, s13
	v_lshrrev_b16 v7, 8, v9
	v_mov_b32_e32 v6, 0
	s_mov_b32 s13, exec_lo
	s_delay_alu instid0(VALU_DEP_2)
	v_cmpx_ne_u16_e32 0, v7
	s_cbranch_execz .LBB415_2977
; %bb.2970:                             ;   in Loop: Header=BB415_1576 Depth=1
	v_bfrev_b32_e32 v6, 1
	s_mov_b32 s15, exec_lo
	v_cmpx_ne_u16_e32 0x80, v7
	s_cbranch_execz .LBB415_2976
; %bb.2971:                             ;   in Loop: Header=BB415_1576 Depth=1
	v_and_b32_e32 v7, 0xffff, v7
	v_mov_b32_e32 v6, 0x7f800001
	s_mov_b32 s16, exec_lo
	s_delay_alu instid0(VALU_DEP_2) | instskip(NEXT) | instid1(VALU_DEP_1)
	v_and_b32_e32 v110, 0x7f, v7
	v_cmpx_ne_u32_e32 0x7f, v110
	s_cbranch_execz .LBB415_2975
; %bb.2972:                             ;   in Loop: Header=BB415_1576 Depth=1
	v_dual_mov_b32 v7, v10 :: v_dual_and_b32 v6, 7, v7
	v_lshrrev_b32_e32 v85, 3, v110
	s_mov_b32 s17, exec_lo
	v_cmpx_gt_u32_e32 8, v110
; %bb.2973:                             ;   in Loop: Header=BB415_1576 Depth=1
	s_delay_alu instid0(VALU_DEP_3) | instskip(NEXT) | instid1(VALU_DEP_1)
	v_clz_i32_u32_e32 v20, v6
	v_min_u32_e32 v20, 32, v20
	s_delay_alu instid0(VALU_DEP_1) | instskip(SKIP_1) | instid1(VALU_DEP_2)
	v_subrev_nc_u32_e32 v22, 28, v20
	v_sub_nc_u32_e32 v85, 29, v20
	v_lshlrev_b64 v[6:7], v22, v[6:7]
	s_delay_alu instid0(VALU_DEP_1)
	v_and_b32_e32 v6, 7, v6
; %bb.2974:                             ;   in Loop: Header=BB415_1576 Depth=1
	s_or_b32 exec_lo, exec_lo, s17
	v_lshlrev_b32_e32 v7, 16, v9
	s_delay_alu instid0(VALU_DEP_2) | instskip(SKIP_1) | instid1(VALU_DEP_3)
	v_lshlrev_b32_e32 v6, 20, v6
	v_lshl_add_u32 v9, v85, 23, 0x3c000000
	v_and_b32_e32 v7, 0x80000000, v7
	s_delay_alu instid0(VALU_DEP_1)
	v_or3_b32 v6, v6, v7, v9
.LBB415_2975:                           ;   in Loop: Header=BB415_1576 Depth=1
	s_or_b32 exec_lo, exec_lo, s16
.LBB415_2976:                           ;   in Loop: Header=BB415_1576 Depth=1
	s_delay_alu instid0(SALU_CYCLE_1)
	s_or_b32 exec_lo, exec_lo, s15
.LBB415_2977:                           ;   in Loop: Header=BB415_1576 Depth=1
	s_delay_alu instid0(SALU_CYCLE_1) | instskip(NEXT) | instid1(VALU_DEP_1)
	s_or_b32 exec_lo, exec_lo, s13
	v_mul_f32_e32 v6, v8, v6
                                        ; implicit-def: $vgpr85
	s_delay_alu instid0(VALU_DEP_1) | instskip(NEXT) | instid1(VALU_DEP_1)
	v_and_b32_e32 v7, 0x7f800000, v6
	v_cmp_ne_u32_e64 s1, 0x7f800000, v7
	s_delay_alu instid0(VALU_DEP_1) | instskip(NEXT) | instid1(SALU_CYCLE_1)
	s_and_saveexec_b32 s13, s1
	s_xor_b32 s1, exec_lo, s13
; %bb.2978:                             ;   in Loop: Header=BB415_1576 Depth=1
	v_bfe_u32 v7, v6, 16, 1
	s_delay_alu instid0(VALU_DEP_1)
	v_add3_u32 v85, v6, v7, 0x7fff
                                        ; implicit-def: $vgpr6
; %bb.2979:                             ;   in Loop: Header=BB415_1576 Depth=1
	s_and_not1_saveexec_b32 s13, s1
; %bb.2980:                             ;   in Loop: Header=BB415_1576 Depth=1
	v_and_b32_e32 v7, 0xffff, v6
	v_or_b32_e32 v9, 0x10000, v6
	s_delay_alu instid0(VALU_DEP_2) | instskip(NEXT) | instid1(VALU_DEP_1)
	v_cmp_eq_u32_e64 s1, 0, v7
	v_cndmask_b32_e64 v85, v9, v6, s1
; %bb.2981:                             ;   in Loop: Header=BB415_1576 Depth=1
	s_or_b32 exec_lo, exec_lo, s13
	v_lshrrev_b32_e32 v110, 16, v3
	s_mov_b32 s13, exec_lo
	s_delay_alu instid0(VALU_DEP_1) | instskip(NEXT) | instid1(VALU_DEP_1)
	v_dual_mov_b32 v6, 0 :: v_dual_and_b32 v7, 0xff, v110
	v_cmpx_ne_u16_e32 0, v7
	s_cbranch_execz .LBB415_2989
; %bb.2982:                             ;   in Loop: Header=BB415_1576 Depth=1
	v_bfrev_b32_e32 v6, 1
	s_mov_b32 s15, exec_lo
	v_cmpx_ne_u16_e32 0x80, v7
	s_cbranch_execz .LBB415_2988
; %bb.2983:                             ;   in Loop: Header=BB415_1576 Depth=1
	v_bfe_u32 v7, v3, 16, 7
	v_mov_b32_e32 v6, 0x7f800001
	s_mov_b32 s16, exec_lo
	s_delay_alu instid0(VALU_DEP_2)
	v_cmpx_ne_u32_e32 0x7f, v7
	s_cbranch_execz .LBB415_2987
; %bb.2984:                             ;   in Loop: Header=BB415_1576 Depth=1
	v_and_b32_e32 v9, 7, v110
	v_lshrrev_b32_e32 v111, 3, v7
	v_cmp_gt_u32_e64 s1, 8, v7
	s_delay_alu instid0(VALU_DEP_3) | instskip(NEXT) | instid1(VALU_DEP_2)
	v_dual_mov_b32 v6, v9 :: v_dual_mov_b32 v7, v10
	s_and_saveexec_b32 s17, s1
; %bb.2985:                             ;   in Loop: Header=BB415_1576 Depth=1
	v_clz_i32_u32_e32 v6, v9
	s_delay_alu instid0(VALU_DEP_1) | instskip(NEXT) | instid1(VALU_DEP_1)
	v_min_u32_e32 v20, 32, v6
	v_subrev_nc_u32_e32 v6, 28, v20
	v_sub_nc_u32_e32 v111, 29, v20
	s_delay_alu instid0(VALU_DEP_2) | instskip(NEXT) | instid1(VALU_DEP_1)
	v_lshlrev_b64 v[6:7], v6, v[9:10]
	v_and_b32_e32 v6, 7, v6
; %bb.2986:                             ;   in Loop: Header=BB415_1576 Depth=1
	s_or_b32 exec_lo, exec_lo, s17
	v_lshlrev_b32_e32 v7, 24, v110
	s_delay_alu instid0(VALU_DEP_2) | instskip(SKIP_1) | instid1(VALU_DEP_3)
	v_lshlrev_b32_e32 v6, 20, v6
	v_lshl_add_u32 v9, v111, 23, 0x3c000000
	v_and_b32_e32 v7, 0x80000000, v7
	s_delay_alu instid0(VALU_DEP_1)
	v_or3_b32 v6, v6, v7, v9
.LBB415_2987:                           ;   in Loop: Header=BB415_1576 Depth=1
	s_or_b32 exec_lo, exec_lo, s16
.LBB415_2988:                           ;   in Loop: Header=BB415_1576 Depth=1
	s_delay_alu instid0(SALU_CYCLE_1)
	s_or_b32 exec_lo, exec_lo, s15
.LBB415_2989:                           ;   in Loop: Header=BB415_1576 Depth=1
	s_delay_alu instid0(SALU_CYCLE_1) | instskip(NEXT) | instid1(VALU_DEP_1)
	s_or_b32 exec_lo, exec_lo, s13
	v_mul_f32_e32 v6, v8, v6
                                        ; implicit-def: $vgpr110
	s_delay_alu instid0(VALU_DEP_1) | instskip(NEXT) | instid1(VALU_DEP_1)
	v_and_b32_e32 v7, 0x7f800000, v6
	v_cmp_ne_u32_e64 s1, 0x7f800000, v7
	s_delay_alu instid0(VALU_DEP_1) | instskip(NEXT) | instid1(SALU_CYCLE_1)
	s_and_saveexec_b32 s13, s1
	s_xor_b32 s1, exec_lo, s13
; %bb.2990:                             ;   in Loop: Header=BB415_1576 Depth=1
	v_bfe_u32 v7, v6, 16, 1
	s_delay_alu instid0(VALU_DEP_1)
	v_add3_u32 v110, v6, v7, 0x7fff
                                        ; implicit-def: $vgpr6
; %bb.2991:                             ;   in Loop: Header=BB415_1576 Depth=1
	s_and_not1_saveexec_b32 s13, s1
; %bb.2992:                             ;   in Loop: Header=BB415_1576 Depth=1
	v_and_b32_e32 v7, 0xffff, v6
	v_or_b32_e32 v9, 0x10000, v6
	s_delay_alu instid0(VALU_DEP_2) | instskip(NEXT) | instid1(VALU_DEP_1)
	v_cmp_eq_u32_e64 s1, 0, v7
	v_cndmask_b32_e64 v110, v9, v6, s1
; %bb.2993:                             ;   in Loop: Header=BB415_1576 Depth=1
	s_or_b32 exec_lo, exec_lo, s13
	v_cmp_lt_u64_e64 s1, s[4:5], v[2:3]
	v_mov_b32_e32 v2, 0
	s_delay_alu instid0(VALU_DEP_2)
	s_and_saveexec_b32 s13, s1
	s_cbranch_execz .LBB415_3001
; %bb.2994:                             ;   in Loop: Header=BB415_1576 Depth=1
	v_lshrrev_b32_e32 v6, 24, v3
	v_bfrev_b32_e32 v2, 1
	s_mov_b32 s15, exec_lo
	s_delay_alu instid0(VALU_DEP_2)
	v_cmpx_ne_u32_e32 0x80, v6
	s_cbranch_execz .LBB415_3000
; %bb.2995:                             ;   in Loop: Header=BB415_1576 Depth=1
	v_bfe_u32 v3, v3, 24, 7
	v_mov_b32_e32 v2, 0x7f800001
	s_mov_b32 s16, exec_lo
	s_delay_alu instid0(VALU_DEP_2)
	v_cmpx_ne_u32_e32 0x7f, v3
	s_cbranch_execz .LBB415_2999
; %bb.2996:                             ;   in Loop: Header=BB415_1576 Depth=1
	v_and_b32_e32 v9, 7, v6
	v_lshrrev_b32_e32 v7, 3, v3
	v_cmp_gt_u32_e64 s1, 8, v3
	s_delay_alu instid0(VALU_DEP_3) | instskip(NEXT) | instid1(VALU_DEP_2)
	v_dual_mov_b32 v2, v9 :: v_dual_mov_b32 v3, v10
	s_and_saveexec_b32 s17, s1
; %bb.2997:                             ;   in Loop: Header=BB415_1576 Depth=1
	v_clz_i32_u32_e32 v2, v9
	s_delay_alu instid0(VALU_DEP_1) | instskip(NEXT) | instid1(VALU_DEP_1)
	v_min_u32_e32 v7, 32, v2
	v_subrev_nc_u32_e32 v2, 28, v7
	v_sub_nc_u32_e32 v7, 29, v7
	s_delay_alu instid0(VALU_DEP_2) | instskip(NEXT) | instid1(VALU_DEP_1)
	v_lshlrev_b64 v[2:3], v2, v[9:10]
	v_and_b32_e32 v2, 7, v2
; %bb.2998:                             ;   in Loop: Header=BB415_1576 Depth=1
	s_or_b32 exec_lo, exec_lo, s17
	v_lshlrev_b32_e32 v3, 24, v6
	s_delay_alu instid0(VALU_DEP_2) | instskip(SKIP_1) | instid1(VALU_DEP_3)
	v_lshlrev_b32_e32 v2, 20, v2
	v_lshl_add_u32 v6, v7, 23, 0x3c000000
	v_and_b32_e32 v3, 0x80000000, v3
	s_delay_alu instid0(VALU_DEP_1)
	v_or3_b32 v2, v2, v3, v6
.LBB415_2999:                           ;   in Loop: Header=BB415_1576 Depth=1
	s_or_b32 exec_lo, exec_lo, s16
.LBB415_3000:                           ;   in Loop: Header=BB415_1576 Depth=1
	s_delay_alu instid0(SALU_CYCLE_1)
	s_or_b32 exec_lo, exec_lo, s15
.LBB415_3001:                           ;   in Loop: Header=BB415_1576 Depth=1
	s_delay_alu instid0(SALU_CYCLE_1) | instskip(NEXT) | instid1(VALU_DEP_1)
	s_or_b32 exec_lo, exec_lo, s13
	v_mul_f32_e32 v3, v8, v2
	s_delay_alu instid0(VALU_DEP_1) | instskip(NEXT) | instid1(VALU_DEP_1)
	v_and_b32_e32 v2, 0x7f800000, v3
	v_cmp_ne_u32_e64 s1, 0x7f800000, v2
                                        ; implicit-def: $vgpr2
	s_delay_alu instid0(VALU_DEP_1) | instskip(NEXT) | instid1(SALU_CYCLE_1)
	s_and_saveexec_b32 s13, s1
	s_xor_b32 s1, exec_lo, s13
; %bb.3002:                             ;   in Loop: Header=BB415_1576 Depth=1
	v_bfe_u32 v2, v3, 16, 1
	s_delay_alu instid0(VALU_DEP_1)
	v_add3_u32 v2, v3, v2, 0x7fff
                                        ; implicit-def: $vgpr3
; %bb.3003:                             ;   in Loop: Header=BB415_1576 Depth=1
	s_and_not1_saveexec_b32 s13, s1
; %bb.3004:                             ;   in Loop: Header=BB415_1576 Depth=1
	v_and_b32_e32 v2, 0xffff, v3
	v_or_b32_e32 v6, 0x10000, v3
	s_delay_alu instid0(VALU_DEP_2) | instskip(NEXT) | instid1(VALU_DEP_1)
	v_cmp_eq_u32_e64 s1, 0, v2
	v_cndmask_b32_e64 v2, v6, v3, s1
; %bb.3005:                             ;   in Loop: Header=BB415_1576 Depth=1
	s_or_b32 exec_lo, exec_lo, s13
	v_lshrrev_b32_e32 v6, 16, v85
	v_lshrrev_b32_e32 v7, 16, v84
	;; [unrolled: 1-line block ×8, first 2 shown]
	s_and_saveexec_b32 s13, vcc_lo
	s_cbranch_execz .LBB415_3007
; %bb.3006:                             ;   in Loop: Header=BB415_1576 Depth=1
	v_cmp_lt_i32_e64 s1, v70, v86
	s_delay_alu instid0(VALU_DEP_1) | instskip(SKIP_1) | instid1(VALU_DEP_1)
	v_cndmask_b32_e64 v4, 0, v4, s1
	v_cmp_lt_i32_e64 s1, v101, v86
	v_cndmask_b32_e64 v5, 0, v5, s1
	v_cmp_lt_i32_e64 s1, v100, v86
	s_delay_alu instid0(VALU_DEP_1) | instskip(SKIP_1) | instid1(VALU_DEP_1)
	v_cndmask_b32_e64 v21, 0, v21, s1
	v_cmp_lt_i32_e64 s1, v83, v86
	v_cndmask_b32_e64 v9, 0, v9, s1
	;; [unrolled: 5-line block ×4, first 2 shown]
.LBB415_3007:                           ;   in Loop: Header=BB415_1576 Depth=1
	s_or_b32 exec_lo, exec_lo, s13
	v_lshlrev_b32_e32 v4, 16, v4
                                        ; implicit-def: $vgpr110
	s_delay_alu instid0(VALU_DEP_1) | instskip(NEXT) | instid1(VALU_DEP_1)
	v_mul_f32_e32 v4, v102, v4
	v_and_b32_e32 v20, 0x7f800000, v4
	s_delay_alu instid0(VALU_DEP_1) | instskip(NEXT) | instid1(VALU_DEP_1)
	v_cmp_ne_u32_e64 s1, 0x7f800000, v20
	s_and_saveexec_b32 s13, s1
	s_delay_alu instid0(SALU_CYCLE_1)
	s_xor_b32 s1, exec_lo, s13
; %bb.3008:                             ;   in Loop: Header=BB415_1576 Depth=1
	v_bfe_u32 v20, v4, 16, 1
	s_delay_alu instid0(VALU_DEP_1)
	v_add3_u32 v110, v4, v20, 0x7fff
                                        ; implicit-def: $vgpr4
; %bb.3009:                             ;   in Loop: Header=BB415_1576 Depth=1
	s_and_not1_saveexec_b32 s13, s1
; %bb.3010:                             ;   in Loop: Header=BB415_1576 Depth=1
	v_and_b32_e32 v20, 0xffff, v4
	v_or_b32_e32 v22, 0x10000, v4
	s_delay_alu instid0(VALU_DEP_2) | instskip(NEXT) | instid1(VALU_DEP_1)
	v_cmp_eq_u32_e64 s1, 0, v20
	v_cndmask_b32_e64 v110, v22, v4, s1
; %bb.3011:                             ;   in Loop: Header=BB415_1576 Depth=1
	s_or_b32 exec_lo, exec_lo, s13
	v_lshlrev_b32_e32 v4, 16, v5
                                        ; implicit-def: $vgpr111
	s_delay_alu instid0(VALU_DEP_1) | instskip(NEXT) | instid1(VALU_DEP_1)
	v_mul_f32_e32 v4, v103, v4
	v_and_b32_e32 v5, 0x7f800000, v4
	s_delay_alu instid0(VALU_DEP_1) | instskip(NEXT) | instid1(VALU_DEP_1)
	v_cmp_ne_u32_e64 s1, 0x7f800000, v5
	s_and_saveexec_b32 s13, s1
	s_delay_alu instid0(SALU_CYCLE_1)
	s_xor_b32 s1, exec_lo, s13
; %bb.3012:                             ;   in Loop: Header=BB415_1576 Depth=1
	v_bfe_u32 v5, v4, 16, 1
	s_delay_alu instid0(VALU_DEP_1)
	v_add3_u32 v111, v4, v5, 0x7fff
                                        ; implicit-def: $vgpr4
; %bb.3013:                             ;   in Loop: Header=BB415_1576 Depth=1
	s_and_not1_saveexec_b32 s13, s1
; %bb.3014:                             ;   in Loop: Header=BB415_1576 Depth=1
	v_and_b32_e32 v5, 0xffff, v4
	v_or_b32_e32 v20, 0x10000, v4
	s_delay_alu instid0(VALU_DEP_2) | instskip(NEXT) | instid1(VALU_DEP_1)
	v_cmp_eq_u32_e64 s1, 0, v5
	v_cndmask_b32_e64 v111, v20, v4, s1
; %bb.3015:                             ;   in Loop: Header=BB415_1576 Depth=1
	s_or_b32 exec_lo, exec_lo, s13
	v_lshlrev_b32_e32 v4, 16, v21
                                        ; implicit-def: $vgpr120
	s_delay_alu instid0(VALU_DEP_1) | instskip(NEXT) | instid1(VALU_DEP_1)
	v_mul_f32_e32 v4, v112, v4
	v_and_b32_e32 v5, 0x7f800000, v4
	s_delay_alu instid0(VALU_DEP_1) | instskip(NEXT) | instid1(VALU_DEP_1)
	v_cmp_ne_u32_e64 s1, 0x7f800000, v5
	s_and_saveexec_b32 s13, s1
	s_delay_alu instid0(SALU_CYCLE_1)
	s_xor_b32 s1, exec_lo, s13
; %bb.3016:                             ;   in Loop: Header=BB415_1576 Depth=1
	v_bfe_u32 v5, v4, 16, 1
	s_delay_alu instid0(VALU_DEP_1)
	v_add3_u32 v120, v4, v5, 0x7fff
                                        ; implicit-def: $vgpr4
; %bb.3017:                             ;   in Loop: Header=BB415_1576 Depth=1
	s_and_not1_saveexec_b32 s13, s1
; %bb.3018:                             ;   in Loop: Header=BB415_1576 Depth=1
	v_and_b32_e32 v5, 0xffff, v4
	v_or_b32_e32 v20, 0x10000, v4
	s_delay_alu instid0(VALU_DEP_2) | instskip(NEXT) | instid1(VALU_DEP_1)
	v_cmp_eq_u32_e64 s1, 0, v5
	v_cndmask_b32_e64 v120, v20, v4, s1
; %bb.3019:                             ;   in Loop: Header=BB415_1576 Depth=1
	s_or_b32 exec_lo, exec_lo, s13
	v_lshlrev_b32_e32 v4, 16, v9
                                        ; implicit-def: $vgpr121
	s_delay_alu instid0(VALU_DEP_1) | instskip(NEXT) | instid1(VALU_DEP_1)
	v_mul_f32_e32 v4, v113, v4
	v_and_b32_e32 v5, 0x7f800000, v4
	s_delay_alu instid0(VALU_DEP_1) | instskip(NEXT) | instid1(VALU_DEP_1)
	v_cmp_ne_u32_e64 s1, 0x7f800000, v5
	s_and_saveexec_b32 s13, s1
	s_delay_alu instid0(SALU_CYCLE_1)
	s_xor_b32 s1, exec_lo, s13
; %bb.3020:                             ;   in Loop: Header=BB415_1576 Depth=1
	v_bfe_u32 v5, v4, 16, 1
	s_delay_alu instid0(VALU_DEP_1)
	v_add3_u32 v121, v4, v5, 0x7fff
                                        ; implicit-def: $vgpr4
; %bb.3021:                             ;   in Loop: Header=BB415_1576 Depth=1
	s_and_not1_saveexec_b32 s13, s1
; %bb.3022:                             ;   in Loop: Header=BB415_1576 Depth=1
	v_and_b32_e32 v5, 0xffff, v4
	v_or_b32_e32 v9, 0x10000, v4
	s_delay_alu instid0(VALU_DEP_2) | instskip(NEXT) | instid1(VALU_DEP_1)
	v_cmp_eq_u32_e64 s1, 0, v5
	v_cndmask_b32_e64 v121, v9, v4, s1
; %bb.3023:                             ;   in Loop: Header=BB415_1576 Depth=1
	s_or_b32 exec_lo, exec_lo, s13
	v_lshlrev_b32_e32 v4, 16, v7
                                        ; implicit-def: $vgpr122
	s_delay_alu instid0(VALU_DEP_1) | instskip(NEXT) | instid1(VALU_DEP_1)
	v_mul_f32_e32 v4, v114, v4
	v_and_b32_e32 v5, 0x7f800000, v4
	s_delay_alu instid0(VALU_DEP_1) | instskip(NEXT) | instid1(VALU_DEP_1)
	v_cmp_ne_u32_e64 s1, 0x7f800000, v5
	s_and_saveexec_b32 s13, s1
	s_delay_alu instid0(SALU_CYCLE_1)
	s_xor_b32 s1, exec_lo, s13
; %bb.3024:                             ;   in Loop: Header=BB415_1576 Depth=1
	v_bfe_u32 v5, v4, 16, 1
	s_delay_alu instid0(VALU_DEP_1)
	v_add3_u32 v122, v4, v5, 0x7fff
                                        ; implicit-def: $vgpr4
; %bb.3025:                             ;   in Loop: Header=BB415_1576 Depth=1
	s_and_not1_saveexec_b32 s13, s1
; %bb.3026:                             ;   in Loop: Header=BB415_1576 Depth=1
	v_and_b32_e32 v5, 0xffff, v4
	v_or_b32_e32 v7, 0x10000, v4
	s_delay_alu instid0(VALU_DEP_2) | instskip(NEXT) | instid1(VALU_DEP_1)
	v_cmp_eq_u32_e64 s1, 0, v5
	v_cndmask_b32_e64 v122, v7, v4, s1
; %bb.3027:                             ;   in Loop: Header=BB415_1576 Depth=1
	s_or_b32 exec_lo, exec_lo, s13
	v_lshlrev_b32_e32 v4, 16, v6
                                        ; implicit-def: $vgpr123
	s_delay_alu instid0(VALU_DEP_1) | instskip(NEXT) | instid1(VALU_DEP_1)
	v_mul_f32_e32 v4, v115, v4
	v_and_b32_e32 v5, 0x7f800000, v4
	s_delay_alu instid0(VALU_DEP_1) | instskip(NEXT) | instid1(VALU_DEP_1)
	v_cmp_ne_u32_e64 s1, 0x7f800000, v5
	s_and_saveexec_b32 s13, s1
	s_delay_alu instid0(SALU_CYCLE_1)
	s_xor_b32 s1, exec_lo, s13
; %bb.3028:                             ;   in Loop: Header=BB415_1576 Depth=1
	v_bfe_u32 v5, v4, 16, 1
	s_delay_alu instid0(VALU_DEP_1)
	v_add3_u32 v123, v4, v5, 0x7fff
                                        ; implicit-def: $vgpr4
; %bb.3029:                             ;   in Loop: Header=BB415_1576 Depth=1
	s_and_not1_saveexec_b32 s13, s1
; %bb.3030:                             ;   in Loop: Header=BB415_1576 Depth=1
	v_and_b32_e32 v5, 0xffff, v4
	v_or_b32_e32 v6, 0x10000, v4
	s_delay_alu instid0(VALU_DEP_2) | instskip(NEXT) | instid1(VALU_DEP_1)
	v_cmp_eq_u32_e64 s1, 0, v5
	v_cndmask_b32_e64 v123, v6, v4, s1
; %bb.3031:                             ;   in Loop: Header=BB415_1576 Depth=1
	s_or_b32 exec_lo, exec_lo, s13
	v_lshlrev_b32_e32 v3, 16, v3
                                        ; implicit-def: $vgpr124
	s_delay_alu instid0(VALU_DEP_1) | instskip(NEXT) | instid1(VALU_DEP_1)
	v_mul_f32_e32 v3, v116, v3
	v_and_b32_e32 v4, 0x7f800000, v3
	s_delay_alu instid0(VALU_DEP_1) | instskip(NEXT) | instid1(VALU_DEP_1)
	v_cmp_ne_u32_e64 s1, 0x7f800000, v4
	s_and_saveexec_b32 s13, s1
	s_delay_alu instid0(SALU_CYCLE_1)
	s_xor_b32 s1, exec_lo, s13
; %bb.3032:                             ;   in Loop: Header=BB415_1576 Depth=1
	v_bfe_u32 v4, v3, 16, 1
	s_delay_alu instid0(VALU_DEP_1)
	v_add3_u32 v124, v3, v4, 0x7fff
                                        ; implicit-def: $vgpr3
; %bb.3033:                             ;   in Loop: Header=BB415_1576 Depth=1
	s_and_not1_saveexec_b32 s13, s1
; %bb.3034:                             ;   in Loop: Header=BB415_1576 Depth=1
	v_and_b32_e32 v4, 0xffff, v3
	v_or_b32_e32 v5, 0x10000, v3
	s_delay_alu instid0(VALU_DEP_2) | instskip(NEXT) | instid1(VALU_DEP_1)
	v_cmp_eq_u32_e64 s1, 0, v4
	v_cndmask_b32_e64 v124, v5, v3, s1
; %bb.3035:                             ;   in Loop: Header=BB415_1576 Depth=1
	s_or_b32 exec_lo, exec_lo, s13
	v_lshlrev_b32_e32 v2, 16, v2
                                        ; implicit-def: $vgpr125
	s_delay_alu instid0(VALU_DEP_1) | instskip(NEXT) | instid1(VALU_DEP_1)
	v_mul_f32_e32 v2, v117, v2
	v_and_b32_e32 v3, 0x7f800000, v2
	s_delay_alu instid0(VALU_DEP_1) | instskip(NEXT) | instid1(VALU_DEP_1)
	v_cmp_ne_u32_e64 s1, 0x7f800000, v3
	s_and_saveexec_b32 s13, s1
	s_delay_alu instid0(SALU_CYCLE_1)
	s_xor_b32 s1, exec_lo, s13
; %bb.3036:                             ;   in Loop: Header=BB415_1576 Depth=1
	v_bfe_u32 v3, v2, 16, 1
	s_delay_alu instid0(VALU_DEP_1)
	v_add3_u32 v125, v2, v3, 0x7fff
                                        ; implicit-def: $vgpr2
; %bb.3037:                             ;   in Loop: Header=BB415_1576 Depth=1
	s_and_not1_saveexec_b32 s13, s1
; %bb.3038:                             ;   in Loop: Header=BB415_1576 Depth=1
	v_and_b32_e32 v3, 0xffff, v2
	v_or_b32_e32 v4, 0x10000, v2
	s_delay_alu instid0(VALU_DEP_2) | instskip(NEXT) | instid1(VALU_DEP_1)
	v_cmp_eq_u32_e64 s1, 0, v3
	v_cndmask_b32_e64 v125, v4, v2, s1
; %bb.3039:                             ;   in Loop: Header=BB415_1576 Depth=1
	s_or_b32 exec_lo, exec_lo, s13
	flat_load_b64 v[2:3], v[0:1] offset:2816
	s_mov_b32 s13, exec_lo
	s_waitcnt vmcnt(0) lgkmcnt(0)
	v_dual_mov_b32 v4, 0 :: v_dual_and_b32 v5, 0xff, v2
	s_delay_alu instid0(VALU_DEP_1)
	v_cmpx_ne_u16_e32 0, v5
	s_cbranch_execz .LBB415_3047
; %bb.3040:                             ;   in Loop: Header=BB415_1576 Depth=1
	v_bfrev_b32_e32 v4, 1
	s_mov_b32 s15, exec_lo
	v_cmpx_ne_u16_e32 0x80, v5
	s_cbranch_execz .LBB415_3046
; %bb.3041:                             ;   in Loop: Header=BB415_1576 Depth=1
	v_and_b32_e32 v5, 0x7f, v2
	v_mov_b32_e32 v4, 0x7f800001
	s_mov_b32 s16, exec_lo
	s_delay_alu instid0(VALU_DEP_2)
	v_cmpx_ne_u32_e32 0x7f, v5
	s_cbranch_execz .LBB415_3045
; %bb.3042:                             ;   in Loop: Header=BB415_1576 Depth=1
	v_lshrrev_b32_e32 v4, 3, v5
	v_dual_mov_b32 v7, v3 :: v_dual_mov_b32 v6, v2
	s_mov_b32 s17, exec_lo
	v_cmpx_gt_u32_e32 8, v5
; %bb.3043:                             ;   in Loop: Header=BB415_1576 Depth=1
	v_and_b32_e32 v4, 7, v2
	s_delay_alu instid0(VALU_DEP_1) | instskip(NEXT) | instid1(VALU_DEP_1)
	v_clz_i32_u32_e32 v4, v4
	v_min_u32_e32 v4, 32, v4
	s_delay_alu instid0(VALU_DEP_1) | instskip(SKIP_1) | instid1(VALU_DEP_2)
	v_subrev_nc_u32_e32 v5, 28, v4
	v_sub_nc_u32_e32 v4, 29, v4
	v_lshlrev_b64 v[6:7], v5, v[2:3]
; %bb.3044:                             ;   in Loop: Header=BB415_1576 Depth=1
	s_or_b32 exec_lo, exec_lo, s17
	s_delay_alu instid0(VALU_DEP_1) | instskip(SKIP_2) | instid1(VALU_DEP_3)
	v_lshlrev_b32_e32 v5, 20, v6
	v_lshlrev_b32_e32 v6, 24, v2
	v_lshl_add_u32 v4, v4, 23, 0x3c000000
	v_and_b32_e32 v5, 0x700000, v5
	s_delay_alu instid0(VALU_DEP_3) | instskip(NEXT) | instid1(VALU_DEP_1)
	v_and_b32_e32 v6, 0x80000000, v6
	v_or3_b32 v4, v5, v6, v4
.LBB415_3045:                           ;   in Loop: Header=BB415_1576 Depth=1
	s_or_b32 exec_lo, exec_lo, s16
.LBB415_3046:                           ;   in Loop: Header=BB415_1576 Depth=1
	s_delay_alu instid0(SALU_CYCLE_1)
	s_or_b32 exec_lo, exec_lo, s15
.LBB415_3047:                           ;   in Loop: Header=BB415_1576 Depth=1
	s_delay_alu instid0(SALU_CYCLE_1) | instskip(NEXT) | instid1(VALU_DEP_1)
	s_or_b32 exec_lo, exec_lo, s13
	v_mul_f32_e32 v5, v8, v4
	s_delay_alu instid0(VALU_DEP_1) | instskip(NEXT) | instid1(VALU_DEP_1)
	v_and_b32_e32 v4, 0x7f800000, v5
	v_cmp_ne_u32_e64 s1, 0x7f800000, v4
                                        ; implicit-def: $vgpr4
	s_delay_alu instid0(VALU_DEP_1) | instskip(NEXT) | instid1(SALU_CYCLE_1)
	s_and_saveexec_b32 s13, s1
	s_xor_b32 s1, exec_lo, s13
; %bb.3048:                             ;   in Loop: Header=BB415_1576 Depth=1
	v_bfe_u32 v4, v5, 16, 1
	s_delay_alu instid0(VALU_DEP_1)
	v_add3_u32 v4, v5, v4, 0x7fff
                                        ; implicit-def: $vgpr5
; %bb.3049:                             ;   in Loop: Header=BB415_1576 Depth=1
	s_and_not1_saveexec_b32 s13, s1
; %bb.3050:                             ;   in Loop: Header=BB415_1576 Depth=1
	v_and_b32_e32 v4, 0xffff, v5
	v_or_b32_e32 v6, 0x10000, v5
	s_delay_alu instid0(VALU_DEP_2) | instskip(NEXT) | instid1(VALU_DEP_1)
	v_cmp_eq_u32_e64 s1, 0, v4
	v_cndmask_b32_e64 v4, v6, v5, s1
; %bb.3051:                             ;   in Loop: Header=BB415_1576 Depth=1
	s_or_b32 exec_lo, exec_lo, s13
	v_lshrrev_b16 v6, 8, v2
	v_mov_b32_e32 v5, 0
	s_mov_b32 s13, exec_lo
	s_delay_alu instid0(VALU_DEP_2)
	v_cmpx_ne_u16_e32 0, v6
	s_cbranch_execz .LBB415_3059
; %bb.3052:                             ;   in Loop: Header=BB415_1576 Depth=1
	v_bfrev_b32_e32 v5, 1
	s_mov_b32 s15, exec_lo
	v_cmpx_ne_u16_e32 0x80, v6
	s_cbranch_execz .LBB415_3058
; %bb.3053:                             ;   in Loop: Header=BB415_1576 Depth=1
	v_and_b32_e32 v7, 0xffff, v6
	v_mov_b32_e32 v5, 0x7f800001
	s_mov_b32 s16, exec_lo
	s_delay_alu instid0(VALU_DEP_2) | instskip(NEXT) | instid1(VALU_DEP_1)
	v_and_b32_e32 v6, 0x7f, v7
	v_cmpx_ne_u32_e32 0x7f, v6
	s_cbranch_execz .LBB415_3057
; %bb.3054:                             ;   in Loop: Header=BB415_1576 Depth=1
	v_and_b32_e32 v9, 7, v7
	v_lshrrev_b32_e32 v5, 3, v6
	v_cmp_gt_u32_e64 s1, 8, v6
	s_delay_alu instid0(VALU_DEP_3) | instskip(NEXT) | instid1(VALU_DEP_2)
	v_dual_mov_b32 v6, v9 :: v_dual_mov_b32 v7, v10
	s_and_saveexec_b32 s17, s1
; %bb.3055:                             ;   in Loop: Header=BB415_1576 Depth=1
	v_clz_i32_u32_e32 v5, v9
	s_delay_alu instid0(VALU_DEP_1) | instskip(NEXT) | instid1(VALU_DEP_1)
	v_min_u32_e32 v5, 32, v5
	v_subrev_nc_u32_e32 v6, 28, v5
	v_sub_nc_u32_e32 v5, 29, v5
	s_delay_alu instid0(VALU_DEP_2) | instskip(NEXT) | instid1(VALU_DEP_1)
	v_lshlrev_b64 v[6:7], v6, v[9:10]
	v_and_b32_e32 v6, 7, v6
; %bb.3056:                             ;   in Loop: Header=BB415_1576 Depth=1
	s_or_b32 exec_lo, exec_lo, s17
	v_lshlrev_b32_e32 v7, 16, v2
	s_delay_alu instid0(VALU_DEP_2) | instskip(SKIP_1) | instid1(VALU_DEP_3)
	v_lshlrev_b32_e32 v6, 20, v6
	v_lshl_add_u32 v5, v5, 23, 0x3c000000
	v_and_b32_e32 v7, 0x80000000, v7
	s_delay_alu instid0(VALU_DEP_1)
	v_or3_b32 v5, v6, v7, v5
.LBB415_3057:                           ;   in Loop: Header=BB415_1576 Depth=1
	s_or_b32 exec_lo, exec_lo, s16
.LBB415_3058:                           ;   in Loop: Header=BB415_1576 Depth=1
	s_delay_alu instid0(SALU_CYCLE_1)
	s_or_b32 exec_lo, exec_lo, s15
.LBB415_3059:                           ;   in Loop: Header=BB415_1576 Depth=1
	s_delay_alu instid0(SALU_CYCLE_1) | instskip(NEXT) | instid1(VALU_DEP_1)
	s_or_b32 exec_lo, exec_lo, s13
	v_mul_f32_e32 v6, v8, v5
	s_delay_alu instid0(VALU_DEP_1) | instskip(NEXT) | instid1(VALU_DEP_1)
	v_and_b32_e32 v5, 0x7f800000, v6
	v_cmp_ne_u32_e64 s1, 0x7f800000, v5
                                        ; implicit-def: $vgpr5
	s_delay_alu instid0(VALU_DEP_1) | instskip(NEXT) | instid1(SALU_CYCLE_1)
	s_and_saveexec_b32 s13, s1
	s_xor_b32 s1, exec_lo, s13
; %bb.3060:                             ;   in Loop: Header=BB415_1576 Depth=1
	v_bfe_u32 v5, v6, 16, 1
	s_delay_alu instid0(VALU_DEP_1)
	v_add3_u32 v5, v6, v5, 0x7fff
                                        ; implicit-def: $vgpr6
; %bb.3061:                             ;   in Loop: Header=BB415_1576 Depth=1
	s_and_not1_saveexec_b32 s13, s1
; %bb.3062:                             ;   in Loop: Header=BB415_1576 Depth=1
	v_and_b32_e32 v5, 0xffff, v6
	v_or_b32_e32 v7, 0x10000, v6
	s_delay_alu instid0(VALU_DEP_2) | instskip(NEXT) | instid1(VALU_DEP_1)
	v_cmp_eq_u32_e64 s1, 0, v5
	v_cndmask_b32_e64 v5, v7, v6, s1
; %bb.3063:                             ;   in Loop: Header=BB415_1576 Depth=1
	s_or_b32 exec_lo, exec_lo, s13
	v_lshrrev_b32_e32 v21, 16, v2
	s_mov_b32 s13, exec_lo
	s_delay_alu instid0(VALU_DEP_1) | instskip(NEXT) | instid1(VALU_DEP_1)
	v_dual_mov_b32 v6, 0 :: v_dual_and_b32 v7, 0xff, v21
	v_cmpx_ne_u16_e32 0, v7
	s_cbranch_execz .LBB415_3071
; %bb.3064:                             ;   in Loop: Header=BB415_1576 Depth=1
	v_bfrev_b32_e32 v6, 1
	s_mov_b32 s15, exec_lo
	v_cmpx_ne_u16_e32 0x80, v7
	s_cbranch_execz .LBB415_3070
; %bb.3065:                             ;   in Loop: Header=BB415_1576 Depth=1
	v_bfe_u32 v7, v2, 16, 7
	v_mov_b32_e32 v6, 0x7f800001
	s_mov_b32 s16, exec_lo
	s_delay_alu instid0(VALU_DEP_2)
	v_cmpx_ne_u32_e32 0x7f, v7
	s_cbranch_execz .LBB415_3069
; %bb.3066:                             ;   in Loop: Header=BB415_1576 Depth=1
	v_and_b32_e32 v9, 7, v21
	v_lshrrev_b32_e32 v39, 3, v7
	v_cmp_gt_u32_e64 s1, 8, v7
	s_delay_alu instid0(VALU_DEP_3) | instskip(NEXT) | instid1(VALU_DEP_2)
	v_dual_mov_b32 v6, v9 :: v_dual_mov_b32 v7, v10
	s_and_saveexec_b32 s17, s1
; %bb.3067:                             ;   in Loop: Header=BB415_1576 Depth=1
	v_clz_i32_u32_e32 v6, v9
	s_delay_alu instid0(VALU_DEP_1) | instskip(NEXT) | instid1(VALU_DEP_1)
	v_min_u32_e32 v20, 32, v6
	v_subrev_nc_u32_e32 v6, 28, v20
	v_sub_nc_u32_e32 v39, 29, v20
	s_delay_alu instid0(VALU_DEP_2) | instskip(NEXT) | instid1(VALU_DEP_1)
	v_lshlrev_b64 v[6:7], v6, v[9:10]
	v_and_b32_e32 v6, 7, v6
; %bb.3068:                             ;   in Loop: Header=BB415_1576 Depth=1
	s_or_b32 exec_lo, exec_lo, s17
	v_lshlrev_b32_e32 v7, 24, v21
	s_delay_alu instid0(VALU_DEP_2) | instskip(SKIP_1) | instid1(VALU_DEP_3)
	v_lshlrev_b32_e32 v6, 20, v6
	v_lshl_add_u32 v9, v39, 23, 0x3c000000
	v_and_b32_e32 v7, 0x80000000, v7
	s_delay_alu instid0(VALU_DEP_1)
	v_or3_b32 v6, v6, v7, v9
.LBB415_3069:                           ;   in Loop: Header=BB415_1576 Depth=1
	s_or_b32 exec_lo, exec_lo, s16
.LBB415_3070:                           ;   in Loop: Header=BB415_1576 Depth=1
	s_delay_alu instid0(SALU_CYCLE_1)
	s_or_b32 exec_lo, exec_lo, s15
.LBB415_3071:                           ;   in Loop: Header=BB415_1576 Depth=1
	s_delay_alu instid0(SALU_CYCLE_1) | instskip(NEXT) | instid1(VALU_DEP_1)
	s_or_b32 exec_lo, exec_lo, s13
	v_mul_f32_e32 v6, v8, v6
                                        ; implicit-def: $vgpr21
	s_delay_alu instid0(VALU_DEP_1) | instskip(NEXT) | instid1(VALU_DEP_1)
	v_and_b32_e32 v7, 0x7f800000, v6
	v_cmp_ne_u32_e64 s1, 0x7f800000, v7
	s_delay_alu instid0(VALU_DEP_1) | instskip(NEXT) | instid1(SALU_CYCLE_1)
	s_and_saveexec_b32 s13, s1
	s_xor_b32 s1, exec_lo, s13
; %bb.3072:                             ;   in Loop: Header=BB415_1576 Depth=1
	v_bfe_u32 v7, v6, 16, 1
	s_delay_alu instid0(VALU_DEP_1)
	v_add3_u32 v21, v6, v7, 0x7fff
                                        ; implicit-def: $vgpr6
; %bb.3073:                             ;   in Loop: Header=BB415_1576 Depth=1
	s_and_not1_saveexec_b32 s13, s1
; %bb.3074:                             ;   in Loop: Header=BB415_1576 Depth=1
	v_and_b32_e32 v7, 0xffff, v6
	v_or_b32_e32 v9, 0x10000, v6
	s_delay_alu instid0(VALU_DEP_2) | instskip(NEXT) | instid1(VALU_DEP_1)
	v_cmp_eq_u32_e64 s1, 0, v7
	v_cndmask_b32_e64 v21, v9, v6, s1
; %bb.3075:                             ;   in Loop: Header=BB415_1576 Depth=1
	s_or_b32 exec_lo, exec_lo, s13
	v_mov_b32_e32 v6, 0
	s_mov_b32 s13, exec_lo
	v_cmpx_lt_u32_e32 0xffffff, v2
	s_cbranch_execz .LBB415_3083
; %bb.3076:                             ;   in Loop: Header=BB415_1576 Depth=1
	v_lshrrev_b32_e32 v39, 24, v2
	v_bfrev_b32_e32 v6, 1
	s_mov_b32 s15, exec_lo
	s_delay_alu instid0(VALU_DEP_2)
	v_cmpx_ne_u32_e32 0x80, v39
	s_cbranch_execz .LBB415_3082
; %bb.3077:                             ;   in Loop: Header=BB415_1576 Depth=1
	v_bfe_u32 v7, v2, 24, 7
	v_mov_b32_e32 v6, 0x7f800001
	s_mov_b32 s16, exec_lo
	s_delay_alu instid0(VALU_DEP_2)
	v_cmpx_ne_u32_e32 0x7f, v7
	s_cbranch_execz .LBB415_3081
; %bb.3078:                             ;   in Loop: Header=BB415_1576 Depth=1
	v_and_b32_e32 v9, 7, v39
	v_lshrrev_b32_e32 v84, 3, v7
	v_cmp_gt_u32_e64 s1, 8, v7
	s_delay_alu instid0(VALU_DEP_3) | instskip(NEXT) | instid1(VALU_DEP_2)
	v_dual_mov_b32 v6, v9 :: v_dual_mov_b32 v7, v10
	s_and_saveexec_b32 s17, s1
; %bb.3079:                             ;   in Loop: Header=BB415_1576 Depth=1
	v_clz_i32_u32_e32 v6, v9
	s_delay_alu instid0(VALU_DEP_1) | instskip(NEXT) | instid1(VALU_DEP_1)
	v_min_u32_e32 v20, 32, v6
	v_subrev_nc_u32_e32 v6, 28, v20
	v_sub_nc_u32_e32 v84, 29, v20
	s_delay_alu instid0(VALU_DEP_2) | instskip(NEXT) | instid1(VALU_DEP_1)
	v_lshlrev_b64 v[6:7], v6, v[9:10]
	v_and_b32_e32 v6, 7, v6
; %bb.3080:                             ;   in Loop: Header=BB415_1576 Depth=1
	s_or_b32 exec_lo, exec_lo, s17
	v_lshlrev_b32_e32 v7, 24, v39
	s_delay_alu instid0(VALU_DEP_2) | instskip(SKIP_1) | instid1(VALU_DEP_3)
	v_lshlrev_b32_e32 v6, 20, v6
	v_lshl_add_u32 v9, v84, 23, 0x3c000000
	v_and_b32_e32 v7, 0x80000000, v7
	s_delay_alu instid0(VALU_DEP_1)
	v_or3_b32 v6, v6, v7, v9
.LBB415_3081:                           ;   in Loop: Header=BB415_1576 Depth=1
	s_or_b32 exec_lo, exec_lo, s16
.LBB415_3082:                           ;   in Loop: Header=BB415_1576 Depth=1
	s_delay_alu instid0(SALU_CYCLE_1)
	s_or_b32 exec_lo, exec_lo, s15
.LBB415_3083:                           ;   in Loop: Header=BB415_1576 Depth=1
	s_delay_alu instid0(SALU_CYCLE_1) | instskip(NEXT) | instid1(VALU_DEP_1)
	s_or_b32 exec_lo, exec_lo, s13
	v_mul_f32_e32 v6, v8, v6
                                        ; implicit-def: $vgpr39
	s_delay_alu instid0(VALU_DEP_1) | instskip(NEXT) | instid1(VALU_DEP_1)
	v_and_b32_e32 v7, 0x7f800000, v6
	v_cmp_ne_u32_e64 s1, 0x7f800000, v7
	s_delay_alu instid0(VALU_DEP_1) | instskip(NEXT) | instid1(SALU_CYCLE_1)
	s_and_saveexec_b32 s13, s1
	s_xor_b32 s1, exec_lo, s13
; %bb.3084:                             ;   in Loop: Header=BB415_1576 Depth=1
	v_bfe_u32 v7, v6, 16, 1
	s_delay_alu instid0(VALU_DEP_1)
	v_add3_u32 v39, v6, v7, 0x7fff
                                        ; implicit-def: $vgpr6
; %bb.3085:                             ;   in Loop: Header=BB415_1576 Depth=1
	s_and_not1_saveexec_b32 s13, s1
; %bb.3086:                             ;   in Loop: Header=BB415_1576 Depth=1
	v_and_b32_e32 v7, 0xffff, v6
	v_or_b32_e32 v9, 0x10000, v6
	s_delay_alu instid0(VALU_DEP_2) | instskip(NEXT) | instid1(VALU_DEP_1)
	v_cmp_eq_u32_e64 s1, 0, v7
	v_cndmask_b32_e64 v39, v9, v6, s1
; %bb.3087:                             ;   in Loop: Header=BB415_1576 Depth=1
	s_or_b32 exec_lo, exec_lo, s13
	v_dual_mov_b32 v6, 0 :: v_dual_and_b32 v7, 0xff, v3
	v_mov_b32_e32 v9, v3
	s_mov_b32 s13, exec_lo
	s_delay_alu instid0(VALU_DEP_2)
	v_cmpx_ne_u16_e32 0, v7
	s_cbranch_execz .LBB415_3095
; %bb.3088:                             ;   in Loop: Header=BB415_1576 Depth=1
	v_bfrev_b32_e32 v6, 1
	s_mov_b32 s15, exec_lo
	v_cmpx_ne_u16_e32 0x80, v7
	s_cbranch_execz .LBB415_3094
; %bb.3089:                             ;   in Loop: Header=BB415_1576 Depth=1
	v_and_b32_e32 v7, 0x7f, v3
	v_mov_b32_e32 v6, 0x7f800001
	s_mov_b32 s16, exec_lo
	s_delay_alu instid0(VALU_DEP_2)
	v_cmpx_ne_u32_e32 0x7f, v7
	s_cbranch_execz .LBB415_3093
; %bb.3090:                             ;   in Loop: Header=BB415_1576 Depth=1
	v_lshrrev_b32_e32 v84, 3, v7
	v_cmp_gt_u32_e64 s1, 8, v7
	v_dual_mov_b32 v6, v9 :: v_dual_mov_b32 v7, v10
	s_delay_alu instid0(VALU_DEP_2)
	s_and_saveexec_b32 s17, s1
; %bb.3091:                             ;   in Loop: Header=BB415_1576 Depth=1
	v_and_b32_e32 v6, 7, v3
	s_delay_alu instid0(VALU_DEP_1) | instskip(NEXT) | instid1(VALU_DEP_1)
	v_clz_i32_u32_e32 v6, v6
	v_min_u32_e32 v20, 32, v6
	s_delay_alu instid0(VALU_DEP_1) | instskip(SKIP_1) | instid1(VALU_DEP_2)
	v_subrev_nc_u32_e32 v6, 28, v20
	v_sub_nc_u32_e32 v84, 29, v20
	v_lshlrev_b64 v[6:7], v6, v[9:10]
; %bb.3092:                             ;   in Loop: Header=BB415_1576 Depth=1
	s_or_b32 exec_lo, exec_lo, s17
	s_delay_alu instid0(VALU_DEP_1) | instskip(SKIP_2) | instid1(VALU_DEP_3)
	v_lshlrev_b32_e32 v6, 20, v6
	v_lshlrev_b32_e32 v7, 24, v9
	v_lshl_add_u32 v20, v84, 23, 0x3c000000
	v_and_b32_e32 v6, 0x700000, v6
	s_delay_alu instid0(VALU_DEP_3) | instskip(NEXT) | instid1(VALU_DEP_1)
	v_and_b32_e32 v7, 0x80000000, v7
	v_or3_b32 v6, v6, v7, v20
.LBB415_3093:                           ;   in Loop: Header=BB415_1576 Depth=1
	s_or_b32 exec_lo, exec_lo, s16
.LBB415_3094:                           ;   in Loop: Header=BB415_1576 Depth=1
	s_delay_alu instid0(SALU_CYCLE_1)
	s_or_b32 exec_lo, exec_lo, s15
.LBB415_3095:                           ;   in Loop: Header=BB415_1576 Depth=1
	s_delay_alu instid0(SALU_CYCLE_1) | instskip(NEXT) | instid1(VALU_DEP_1)
	s_or_b32 exec_lo, exec_lo, s13
	v_mul_f32_e32 v6, v8, v6
                                        ; implicit-def: $vgpr84
	s_delay_alu instid0(VALU_DEP_1) | instskip(NEXT) | instid1(VALU_DEP_1)
	v_and_b32_e32 v7, 0x7f800000, v6
	v_cmp_ne_u32_e64 s1, 0x7f800000, v7
	s_delay_alu instid0(VALU_DEP_1) | instskip(NEXT) | instid1(SALU_CYCLE_1)
	s_and_saveexec_b32 s13, s1
	s_xor_b32 s1, exec_lo, s13
; %bb.3096:                             ;   in Loop: Header=BB415_1576 Depth=1
	v_bfe_u32 v7, v6, 16, 1
	s_delay_alu instid0(VALU_DEP_1)
	v_add3_u32 v84, v6, v7, 0x7fff
                                        ; implicit-def: $vgpr6
; %bb.3097:                             ;   in Loop: Header=BB415_1576 Depth=1
	s_and_not1_saveexec_b32 s13, s1
; %bb.3098:                             ;   in Loop: Header=BB415_1576 Depth=1
	v_and_b32_e32 v7, 0xffff, v6
	v_or_b32_e32 v20, 0x10000, v6
	s_delay_alu instid0(VALU_DEP_2) | instskip(NEXT) | instid1(VALU_DEP_1)
	v_cmp_eq_u32_e64 s1, 0, v7
	v_cndmask_b32_e64 v84, v20, v6, s1
; %bb.3099:                             ;   in Loop: Header=BB415_1576 Depth=1
	s_or_b32 exec_lo, exec_lo, s13
	v_lshrrev_b16 v7, 8, v9
	v_mov_b32_e32 v6, 0
	s_mov_b32 s13, exec_lo
	s_delay_alu instid0(VALU_DEP_2)
	v_cmpx_ne_u16_e32 0, v7
	s_cbranch_execz .LBB415_3107
; %bb.3100:                             ;   in Loop: Header=BB415_1576 Depth=1
	v_bfrev_b32_e32 v6, 1
	s_mov_b32 s15, exec_lo
	v_cmpx_ne_u16_e32 0x80, v7
	s_cbranch_execz .LBB415_3106
; %bb.3101:                             ;   in Loop: Header=BB415_1576 Depth=1
	v_and_b32_e32 v7, 0xffff, v7
	v_mov_b32_e32 v6, 0x7f800001
	s_mov_b32 s16, exec_lo
	s_delay_alu instid0(VALU_DEP_2) | instskip(NEXT) | instid1(VALU_DEP_1)
	v_and_b32_e32 v126, 0x7f, v7
	v_cmpx_ne_u32_e32 0x7f, v126
	s_cbranch_execz .LBB415_3105
; %bb.3102:                             ;   in Loop: Header=BB415_1576 Depth=1
	v_dual_mov_b32 v7, v10 :: v_dual_and_b32 v6, 7, v7
	v_lshrrev_b32_e32 v85, 3, v126
	s_mov_b32 s17, exec_lo
	v_cmpx_gt_u32_e32 8, v126
; %bb.3103:                             ;   in Loop: Header=BB415_1576 Depth=1
	s_delay_alu instid0(VALU_DEP_3) | instskip(NEXT) | instid1(VALU_DEP_1)
	v_clz_i32_u32_e32 v20, v6
	v_min_u32_e32 v20, 32, v20
	s_delay_alu instid0(VALU_DEP_1) | instskip(SKIP_1) | instid1(VALU_DEP_2)
	v_subrev_nc_u32_e32 v22, 28, v20
	v_sub_nc_u32_e32 v85, 29, v20
	v_lshlrev_b64 v[6:7], v22, v[6:7]
	s_delay_alu instid0(VALU_DEP_1)
	v_and_b32_e32 v6, 7, v6
; %bb.3104:                             ;   in Loop: Header=BB415_1576 Depth=1
	s_or_b32 exec_lo, exec_lo, s17
	v_lshlrev_b32_e32 v7, 16, v9
	s_delay_alu instid0(VALU_DEP_2) | instskip(SKIP_1) | instid1(VALU_DEP_3)
	v_lshlrev_b32_e32 v6, 20, v6
	v_lshl_add_u32 v9, v85, 23, 0x3c000000
	v_and_b32_e32 v7, 0x80000000, v7
	s_delay_alu instid0(VALU_DEP_1)
	v_or3_b32 v6, v6, v7, v9
.LBB415_3105:                           ;   in Loop: Header=BB415_1576 Depth=1
	s_or_b32 exec_lo, exec_lo, s16
.LBB415_3106:                           ;   in Loop: Header=BB415_1576 Depth=1
	s_delay_alu instid0(SALU_CYCLE_1)
	s_or_b32 exec_lo, exec_lo, s15
.LBB415_3107:                           ;   in Loop: Header=BB415_1576 Depth=1
	s_delay_alu instid0(SALU_CYCLE_1) | instskip(NEXT) | instid1(VALU_DEP_1)
	s_or_b32 exec_lo, exec_lo, s13
	v_mul_f32_e32 v6, v8, v6
                                        ; implicit-def: $vgpr85
	s_delay_alu instid0(VALU_DEP_1) | instskip(NEXT) | instid1(VALU_DEP_1)
	v_and_b32_e32 v7, 0x7f800000, v6
	v_cmp_ne_u32_e64 s1, 0x7f800000, v7
	s_delay_alu instid0(VALU_DEP_1) | instskip(NEXT) | instid1(SALU_CYCLE_1)
	s_and_saveexec_b32 s13, s1
	s_xor_b32 s1, exec_lo, s13
; %bb.3108:                             ;   in Loop: Header=BB415_1576 Depth=1
	v_bfe_u32 v7, v6, 16, 1
	s_delay_alu instid0(VALU_DEP_1)
	v_add3_u32 v85, v6, v7, 0x7fff
                                        ; implicit-def: $vgpr6
; %bb.3109:                             ;   in Loop: Header=BB415_1576 Depth=1
	s_and_not1_saveexec_b32 s13, s1
; %bb.3110:                             ;   in Loop: Header=BB415_1576 Depth=1
	v_and_b32_e32 v7, 0xffff, v6
	v_or_b32_e32 v9, 0x10000, v6
	s_delay_alu instid0(VALU_DEP_2) | instskip(NEXT) | instid1(VALU_DEP_1)
	v_cmp_eq_u32_e64 s1, 0, v7
	v_cndmask_b32_e64 v85, v9, v6, s1
; %bb.3111:                             ;   in Loop: Header=BB415_1576 Depth=1
	s_or_b32 exec_lo, exec_lo, s13
	v_lshrrev_b32_e32 v126, 16, v3
	s_mov_b32 s13, exec_lo
	s_delay_alu instid0(VALU_DEP_1) | instskip(NEXT) | instid1(VALU_DEP_1)
	v_dual_mov_b32 v6, 0 :: v_dual_and_b32 v7, 0xff, v126
	v_cmpx_ne_u16_e32 0, v7
	s_cbranch_execz .LBB415_3119
; %bb.3112:                             ;   in Loop: Header=BB415_1576 Depth=1
	v_bfrev_b32_e32 v6, 1
	s_mov_b32 s15, exec_lo
	v_cmpx_ne_u16_e32 0x80, v7
	s_cbranch_execz .LBB415_3118
; %bb.3113:                             ;   in Loop: Header=BB415_1576 Depth=1
	v_bfe_u32 v7, v3, 16, 7
	v_mov_b32_e32 v6, 0x7f800001
	s_mov_b32 s16, exec_lo
	s_delay_alu instid0(VALU_DEP_2)
	v_cmpx_ne_u32_e32 0x7f, v7
	s_cbranch_execz .LBB415_3117
; %bb.3114:                             ;   in Loop: Header=BB415_1576 Depth=1
	v_and_b32_e32 v9, 7, v126
	v_lshrrev_b32_e32 v127, 3, v7
	v_cmp_gt_u32_e64 s1, 8, v7
	s_delay_alu instid0(VALU_DEP_3) | instskip(NEXT) | instid1(VALU_DEP_2)
	v_dual_mov_b32 v6, v9 :: v_dual_mov_b32 v7, v10
	s_and_saveexec_b32 s17, s1
; %bb.3115:                             ;   in Loop: Header=BB415_1576 Depth=1
	v_clz_i32_u32_e32 v6, v9
	s_delay_alu instid0(VALU_DEP_1) | instskip(NEXT) | instid1(VALU_DEP_1)
	v_min_u32_e32 v20, 32, v6
	v_subrev_nc_u32_e32 v6, 28, v20
	v_sub_nc_u32_e32 v127, 29, v20
	s_delay_alu instid0(VALU_DEP_2) | instskip(NEXT) | instid1(VALU_DEP_1)
	v_lshlrev_b64 v[6:7], v6, v[9:10]
	v_and_b32_e32 v6, 7, v6
; %bb.3116:                             ;   in Loop: Header=BB415_1576 Depth=1
	s_or_b32 exec_lo, exec_lo, s17
	v_lshlrev_b32_e32 v7, 24, v126
	s_delay_alu instid0(VALU_DEP_2) | instskip(SKIP_1) | instid1(VALU_DEP_3)
	v_lshlrev_b32_e32 v6, 20, v6
	v_lshl_add_u32 v9, v127, 23, 0x3c000000
	v_and_b32_e32 v7, 0x80000000, v7
	s_delay_alu instid0(VALU_DEP_1)
	v_or3_b32 v6, v6, v7, v9
.LBB415_3117:                           ;   in Loop: Header=BB415_1576 Depth=1
	s_or_b32 exec_lo, exec_lo, s16
.LBB415_3118:                           ;   in Loop: Header=BB415_1576 Depth=1
	s_delay_alu instid0(SALU_CYCLE_1)
	s_or_b32 exec_lo, exec_lo, s15
.LBB415_3119:                           ;   in Loop: Header=BB415_1576 Depth=1
	s_delay_alu instid0(SALU_CYCLE_1) | instskip(NEXT) | instid1(VALU_DEP_1)
	s_or_b32 exec_lo, exec_lo, s13
	v_mul_f32_e32 v6, v8, v6
                                        ; implicit-def: $vgpr126
	s_delay_alu instid0(VALU_DEP_1) | instskip(NEXT) | instid1(VALU_DEP_1)
	v_and_b32_e32 v7, 0x7f800000, v6
	v_cmp_ne_u32_e64 s1, 0x7f800000, v7
	s_delay_alu instid0(VALU_DEP_1) | instskip(NEXT) | instid1(SALU_CYCLE_1)
	s_and_saveexec_b32 s13, s1
	s_xor_b32 s1, exec_lo, s13
; %bb.3120:                             ;   in Loop: Header=BB415_1576 Depth=1
	v_bfe_u32 v7, v6, 16, 1
	s_delay_alu instid0(VALU_DEP_1)
	v_add3_u32 v126, v6, v7, 0x7fff
                                        ; implicit-def: $vgpr6
; %bb.3121:                             ;   in Loop: Header=BB415_1576 Depth=1
	s_and_not1_saveexec_b32 s13, s1
; %bb.3122:                             ;   in Loop: Header=BB415_1576 Depth=1
	v_and_b32_e32 v7, 0xffff, v6
	v_or_b32_e32 v9, 0x10000, v6
	s_delay_alu instid0(VALU_DEP_2) | instskip(NEXT) | instid1(VALU_DEP_1)
	v_cmp_eq_u32_e64 s1, 0, v7
	v_cndmask_b32_e64 v126, v9, v6, s1
; %bb.3123:                             ;   in Loop: Header=BB415_1576 Depth=1
	s_or_b32 exec_lo, exec_lo, s13
	v_cmp_lt_u64_e64 s1, s[4:5], v[2:3]
	v_mov_b32_e32 v2, 0
	s_delay_alu instid0(VALU_DEP_2)
	s_and_saveexec_b32 s13, s1
	s_cbranch_execz .LBB415_3131
; %bb.3124:                             ;   in Loop: Header=BB415_1576 Depth=1
	v_lshrrev_b32_e32 v6, 24, v3
	v_bfrev_b32_e32 v2, 1
	s_mov_b32 s15, exec_lo
	s_delay_alu instid0(VALU_DEP_2)
	v_cmpx_ne_u32_e32 0x80, v6
	s_cbranch_execz .LBB415_3130
; %bb.3125:                             ;   in Loop: Header=BB415_1576 Depth=1
	v_bfe_u32 v3, v3, 24, 7
	v_mov_b32_e32 v2, 0x7f800001
	s_mov_b32 s16, exec_lo
	s_delay_alu instid0(VALU_DEP_2)
	v_cmpx_ne_u32_e32 0x7f, v3
	s_cbranch_execz .LBB415_3129
; %bb.3126:                             ;   in Loop: Header=BB415_1576 Depth=1
	v_and_b32_e32 v9, 7, v6
	v_lshrrev_b32_e32 v7, 3, v3
	v_cmp_gt_u32_e64 s1, 8, v3
	s_delay_alu instid0(VALU_DEP_3) | instskip(NEXT) | instid1(VALU_DEP_2)
	v_dual_mov_b32 v2, v9 :: v_dual_mov_b32 v3, v10
	s_and_saveexec_b32 s17, s1
; %bb.3127:                             ;   in Loop: Header=BB415_1576 Depth=1
	v_clz_i32_u32_e32 v2, v9
	s_delay_alu instid0(VALU_DEP_1) | instskip(NEXT) | instid1(VALU_DEP_1)
	v_min_u32_e32 v7, 32, v2
	v_subrev_nc_u32_e32 v2, 28, v7
	v_sub_nc_u32_e32 v7, 29, v7
	s_delay_alu instid0(VALU_DEP_2) | instskip(NEXT) | instid1(VALU_DEP_1)
	v_lshlrev_b64 v[2:3], v2, v[9:10]
	v_and_b32_e32 v2, 7, v2
; %bb.3128:                             ;   in Loop: Header=BB415_1576 Depth=1
	s_or_b32 exec_lo, exec_lo, s17
	v_lshlrev_b32_e32 v3, 24, v6
	s_delay_alu instid0(VALU_DEP_2) | instskip(SKIP_1) | instid1(VALU_DEP_3)
	v_lshlrev_b32_e32 v2, 20, v2
	v_lshl_add_u32 v6, v7, 23, 0x3c000000
	v_and_b32_e32 v3, 0x80000000, v3
	s_delay_alu instid0(VALU_DEP_1)
	v_or3_b32 v2, v2, v3, v6
.LBB415_3129:                           ;   in Loop: Header=BB415_1576 Depth=1
	s_or_b32 exec_lo, exec_lo, s16
.LBB415_3130:                           ;   in Loop: Header=BB415_1576 Depth=1
	s_delay_alu instid0(SALU_CYCLE_1)
	s_or_b32 exec_lo, exec_lo, s15
.LBB415_3131:                           ;   in Loop: Header=BB415_1576 Depth=1
	s_delay_alu instid0(SALU_CYCLE_1) | instskip(NEXT) | instid1(VALU_DEP_1)
	s_or_b32 exec_lo, exec_lo, s13
	v_mul_f32_e32 v3, v8, v2
	s_delay_alu instid0(VALU_DEP_1) | instskip(NEXT) | instid1(VALU_DEP_1)
	v_and_b32_e32 v2, 0x7f800000, v3
	v_cmp_ne_u32_e64 s1, 0x7f800000, v2
                                        ; implicit-def: $vgpr2
	s_delay_alu instid0(VALU_DEP_1) | instskip(NEXT) | instid1(SALU_CYCLE_1)
	s_and_saveexec_b32 s13, s1
	s_xor_b32 s1, exec_lo, s13
; %bb.3132:                             ;   in Loop: Header=BB415_1576 Depth=1
	v_bfe_u32 v2, v3, 16, 1
	s_delay_alu instid0(VALU_DEP_1)
	v_add3_u32 v2, v3, v2, 0x7fff
                                        ; implicit-def: $vgpr3
; %bb.3133:                             ;   in Loop: Header=BB415_1576 Depth=1
	s_and_not1_saveexec_b32 s13, s1
; %bb.3134:                             ;   in Loop: Header=BB415_1576 Depth=1
	v_and_b32_e32 v2, 0xffff, v3
	v_or_b32_e32 v6, 0x10000, v3
	s_delay_alu instid0(VALU_DEP_2) | instskip(NEXT) | instid1(VALU_DEP_1)
	v_cmp_eq_u32_e64 s1, 0, v2
	v_cndmask_b32_e64 v2, v6, v3, s1
; %bb.3135:                             ;   in Loop: Header=BB415_1576 Depth=1
	s_or_b32 exec_lo, exec_lo, s13
	v_lshrrev_b32_e32 v6, 16, v85
	v_lshrrev_b32_e32 v7, 16, v84
	;; [unrolled: 1-line block ×8, first 2 shown]
	s_and_saveexec_b32 s13, vcc_lo
	s_cbranch_execz .LBB415_3137
; %bb.3136:                             ;   in Loop: Header=BB415_1576 Depth=1
	v_cmp_lt_i32_e64 s1, v70, v86
	s_delay_alu instid0(VALU_DEP_1) | instskip(SKIP_1) | instid1(VALU_DEP_1)
	v_cndmask_b32_e64 v4, 0, v4, s1
	v_cmp_lt_i32_e64 s1, v101, v86
	v_cndmask_b32_e64 v5, 0, v5, s1
	v_cmp_lt_i32_e64 s1, v100, v86
	s_delay_alu instid0(VALU_DEP_1) | instskip(SKIP_1) | instid1(VALU_DEP_1)
	v_cndmask_b32_e64 v21, 0, v21, s1
	v_cmp_lt_i32_e64 s1, v83, v86
	v_cndmask_b32_e64 v9, 0, v9, s1
	;; [unrolled: 5-line block ×4, first 2 shown]
.LBB415_3137:                           ;   in Loop: Header=BB415_1576 Depth=1
	s_or_b32 exec_lo, exec_lo, s13
	v_lshlrev_b32_e32 v4, 16, v4
                                        ; implicit-def: $vgpr126
	s_delay_alu instid0(VALU_DEP_1) | instskip(NEXT) | instid1(VALU_DEP_1)
	v_mul_f32_e32 v4, v102, v4
	v_and_b32_e32 v20, 0x7f800000, v4
	s_delay_alu instid0(VALU_DEP_1) | instskip(NEXT) | instid1(VALU_DEP_1)
	v_cmp_ne_u32_e64 s1, 0x7f800000, v20
	s_and_saveexec_b32 s13, s1
	s_delay_alu instid0(SALU_CYCLE_1)
	s_xor_b32 s1, exec_lo, s13
; %bb.3138:                             ;   in Loop: Header=BB415_1576 Depth=1
	v_bfe_u32 v20, v4, 16, 1
	s_delay_alu instid0(VALU_DEP_1)
	v_add3_u32 v126, v4, v20, 0x7fff
                                        ; implicit-def: $vgpr4
; %bb.3139:                             ;   in Loop: Header=BB415_1576 Depth=1
	s_and_not1_saveexec_b32 s13, s1
; %bb.3140:                             ;   in Loop: Header=BB415_1576 Depth=1
	v_and_b32_e32 v20, 0xffff, v4
	v_or_b32_e32 v22, 0x10000, v4
	s_delay_alu instid0(VALU_DEP_2) | instskip(NEXT) | instid1(VALU_DEP_1)
	v_cmp_eq_u32_e64 s1, 0, v20
	v_cndmask_b32_e64 v126, v22, v4, s1
; %bb.3141:                             ;   in Loop: Header=BB415_1576 Depth=1
	s_or_b32 exec_lo, exec_lo, s13
	v_lshlrev_b32_e32 v4, 16, v5
                                        ; implicit-def: $vgpr127
	s_delay_alu instid0(VALU_DEP_1) | instskip(NEXT) | instid1(VALU_DEP_1)
	v_mul_f32_e32 v4, v103, v4
	v_and_b32_e32 v5, 0x7f800000, v4
	s_delay_alu instid0(VALU_DEP_1) | instskip(NEXT) | instid1(VALU_DEP_1)
	v_cmp_ne_u32_e64 s1, 0x7f800000, v5
	s_and_saveexec_b32 s13, s1
	s_delay_alu instid0(SALU_CYCLE_1)
	s_xor_b32 s1, exec_lo, s13
; %bb.3142:                             ;   in Loop: Header=BB415_1576 Depth=1
	v_bfe_u32 v5, v4, 16, 1
	s_delay_alu instid0(VALU_DEP_1)
	v_add3_u32 v127, v4, v5, 0x7fff
                                        ; implicit-def: $vgpr4
; %bb.3143:                             ;   in Loop: Header=BB415_1576 Depth=1
	s_and_not1_saveexec_b32 s13, s1
; %bb.3144:                             ;   in Loop: Header=BB415_1576 Depth=1
	v_and_b32_e32 v5, 0xffff, v4
	v_or_b32_e32 v20, 0x10000, v4
	s_delay_alu instid0(VALU_DEP_2) | instskip(NEXT) | instid1(VALU_DEP_1)
	v_cmp_eq_u32_e64 s1, 0, v5
	v_cndmask_b32_e64 v127, v20, v4, s1
; %bb.3145:                             ;   in Loop: Header=BB415_1576 Depth=1
	s_or_b32 exec_lo, exec_lo, s13
	v_lshlrev_b32_e32 v4, 16, v21
                                        ; implicit-def: $vgpr136
	s_delay_alu instid0(VALU_DEP_1) | instskip(NEXT) | instid1(VALU_DEP_1)
	v_mul_f32_e32 v4, v112, v4
	v_and_b32_e32 v5, 0x7f800000, v4
	s_delay_alu instid0(VALU_DEP_1) | instskip(NEXT) | instid1(VALU_DEP_1)
	v_cmp_ne_u32_e64 s1, 0x7f800000, v5
	s_and_saveexec_b32 s13, s1
	s_delay_alu instid0(SALU_CYCLE_1)
	s_xor_b32 s1, exec_lo, s13
; %bb.3146:                             ;   in Loop: Header=BB415_1576 Depth=1
	v_bfe_u32 v5, v4, 16, 1
	s_delay_alu instid0(VALU_DEP_1)
	v_add3_u32 v136, v4, v5, 0x7fff
                                        ; implicit-def: $vgpr4
; %bb.3147:                             ;   in Loop: Header=BB415_1576 Depth=1
	s_and_not1_saveexec_b32 s13, s1
; %bb.3148:                             ;   in Loop: Header=BB415_1576 Depth=1
	v_and_b32_e32 v5, 0xffff, v4
	v_or_b32_e32 v20, 0x10000, v4
	s_delay_alu instid0(VALU_DEP_2) | instskip(NEXT) | instid1(VALU_DEP_1)
	v_cmp_eq_u32_e64 s1, 0, v5
	v_cndmask_b32_e64 v136, v20, v4, s1
; %bb.3149:                             ;   in Loop: Header=BB415_1576 Depth=1
	s_or_b32 exec_lo, exec_lo, s13
	v_lshlrev_b32_e32 v4, 16, v9
                                        ; implicit-def: $vgpr137
	s_delay_alu instid0(VALU_DEP_1) | instskip(NEXT) | instid1(VALU_DEP_1)
	v_mul_f32_e32 v4, v113, v4
	v_and_b32_e32 v5, 0x7f800000, v4
	s_delay_alu instid0(VALU_DEP_1) | instskip(NEXT) | instid1(VALU_DEP_1)
	v_cmp_ne_u32_e64 s1, 0x7f800000, v5
	s_and_saveexec_b32 s13, s1
	s_delay_alu instid0(SALU_CYCLE_1)
	s_xor_b32 s1, exec_lo, s13
; %bb.3150:                             ;   in Loop: Header=BB415_1576 Depth=1
	v_bfe_u32 v5, v4, 16, 1
	s_delay_alu instid0(VALU_DEP_1)
	v_add3_u32 v137, v4, v5, 0x7fff
                                        ; implicit-def: $vgpr4
; %bb.3151:                             ;   in Loop: Header=BB415_1576 Depth=1
	s_and_not1_saveexec_b32 s13, s1
; %bb.3152:                             ;   in Loop: Header=BB415_1576 Depth=1
	v_and_b32_e32 v5, 0xffff, v4
	v_or_b32_e32 v9, 0x10000, v4
	s_delay_alu instid0(VALU_DEP_2) | instskip(NEXT) | instid1(VALU_DEP_1)
	v_cmp_eq_u32_e64 s1, 0, v5
	v_cndmask_b32_e64 v137, v9, v4, s1
; %bb.3153:                             ;   in Loop: Header=BB415_1576 Depth=1
	s_or_b32 exec_lo, exec_lo, s13
	v_lshlrev_b32_e32 v4, 16, v7
                                        ; implicit-def: $vgpr138
	s_delay_alu instid0(VALU_DEP_1) | instskip(NEXT) | instid1(VALU_DEP_1)
	v_mul_f32_e32 v4, v114, v4
	v_and_b32_e32 v5, 0x7f800000, v4
	s_delay_alu instid0(VALU_DEP_1) | instskip(NEXT) | instid1(VALU_DEP_1)
	v_cmp_ne_u32_e64 s1, 0x7f800000, v5
	s_and_saveexec_b32 s13, s1
	s_delay_alu instid0(SALU_CYCLE_1)
	s_xor_b32 s1, exec_lo, s13
; %bb.3154:                             ;   in Loop: Header=BB415_1576 Depth=1
	v_bfe_u32 v5, v4, 16, 1
	s_delay_alu instid0(VALU_DEP_1)
	v_add3_u32 v138, v4, v5, 0x7fff
                                        ; implicit-def: $vgpr4
; %bb.3155:                             ;   in Loop: Header=BB415_1576 Depth=1
	s_and_not1_saveexec_b32 s13, s1
; %bb.3156:                             ;   in Loop: Header=BB415_1576 Depth=1
	v_and_b32_e32 v5, 0xffff, v4
	v_or_b32_e32 v7, 0x10000, v4
	s_delay_alu instid0(VALU_DEP_2) | instskip(NEXT) | instid1(VALU_DEP_1)
	v_cmp_eq_u32_e64 s1, 0, v5
	v_cndmask_b32_e64 v138, v7, v4, s1
; %bb.3157:                             ;   in Loop: Header=BB415_1576 Depth=1
	s_or_b32 exec_lo, exec_lo, s13
	v_lshlrev_b32_e32 v4, 16, v6
                                        ; implicit-def: $vgpr139
	s_delay_alu instid0(VALU_DEP_1) | instskip(NEXT) | instid1(VALU_DEP_1)
	v_mul_f32_e32 v4, v115, v4
	v_and_b32_e32 v5, 0x7f800000, v4
	s_delay_alu instid0(VALU_DEP_1) | instskip(NEXT) | instid1(VALU_DEP_1)
	v_cmp_ne_u32_e64 s1, 0x7f800000, v5
	s_and_saveexec_b32 s13, s1
	s_delay_alu instid0(SALU_CYCLE_1)
	s_xor_b32 s1, exec_lo, s13
; %bb.3158:                             ;   in Loop: Header=BB415_1576 Depth=1
	v_bfe_u32 v5, v4, 16, 1
	s_delay_alu instid0(VALU_DEP_1)
	v_add3_u32 v139, v4, v5, 0x7fff
                                        ; implicit-def: $vgpr4
; %bb.3159:                             ;   in Loop: Header=BB415_1576 Depth=1
	s_and_not1_saveexec_b32 s13, s1
; %bb.3160:                             ;   in Loop: Header=BB415_1576 Depth=1
	v_and_b32_e32 v5, 0xffff, v4
	v_or_b32_e32 v6, 0x10000, v4
	s_delay_alu instid0(VALU_DEP_2) | instskip(NEXT) | instid1(VALU_DEP_1)
	v_cmp_eq_u32_e64 s1, 0, v5
	v_cndmask_b32_e64 v139, v6, v4, s1
; %bb.3161:                             ;   in Loop: Header=BB415_1576 Depth=1
	s_or_b32 exec_lo, exec_lo, s13
	v_lshlrev_b32_e32 v3, 16, v3
                                        ; implicit-def: $vgpr140
	s_delay_alu instid0(VALU_DEP_1) | instskip(NEXT) | instid1(VALU_DEP_1)
	v_mul_f32_e32 v3, v116, v3
	v_and_b32_e32 v4, 0x7f800000, v3
	s_delay_alu instid0(VALU_DEP_1) | instskip(NEXT) | instid1(VALU_DEP_1)
	v_cmp_ne_u32_e64 s1, 0x7f800000, v4
	s_and_saveexec_b32 s13, s1
	s_delay_alu instid0(SALU_CYCLE_1)
	s_xor_b32 s1, exec_lo, s13
; %bb.3162:                             ;   in Loop: Header=BB415_1576 Depth=1
	v_bfe_u32 v4, v3, 16, 1
	s_delay_alu instid0(VALU_DEP_1)
	v_add3_u32 v140, v3, v4, 0x7fff
                                        ; implicit-def: $vgpr3
; %bb.3163:                             ;   in Loop: Header=BB415_1576 Depth=1
	s_and_not1_saveexec_b32 s13, s1
; %bb.3164:                             ;   in Loop: Header=BB415_1576 Depth=1
	v_and_b32_e32 v4, 0xffff, v3
	v_or_b32_e32 v5, 0x10000, v3
	s_delay_alu instid0(VALU_DEP_2) | instskip(NEXT) | instid1(VALU_DEP_1)
	v_cmp_eq_u32_e64 s1, 0, v4
	v_cndmask_b32_e64 v140, v5, v3, s1
; %bb.3165:                             ;   in Loop: Header=BB415_1576 Depth=1
	s_or_b32 exec_lo, exec_lo, s13
	v_lshlrev_b32_e32 v2, 16, v2
                                        ; implicit-def: $vgpr141
	s_delay_alu instid0(VALU_DEP_1) | instskip(NEXT) | instid1(VALU_DEP_1)
	v_mul_f32_e32 v2, v117, v2
	v_and_b32_e32 v3, 0x7f800000, v2
	s_delay_alu instid0(VALU_DEP_1) | instskip(NEXT) | instid1(VALU_DEP_1)
	v_cmp_ne_u32_e64 s1, 0x7f800000, v3
	s_and_saveexec_b32 s13, s1
	s_delay_alu instid0(SALU_CYCLE_1)
	s_xor_b32 s1, exec_lo, s13
; %bb.3166:                             ;   in Loop: Header=BB415_1576 Depth=1
	v_bfe_u32 v3, v2, 16, 1
	s_delay_alu instid0(VALU_DEP_1)
	v_add3_u32 v141, v2, v3, 0x7fff
                                        ; implicit-def: $vgpr2
; %bb.3167:                             ;   in Loop: Header=BB415_1576 Depth=1
	s_and_not1_saveexec_b32 s13, s1
; %bb.3168:                             ;   in Loop: Header=BB415_1576 Depth=1
	v_and_b32_e32 v3, 0xffff, v2
	v_or_b32_e32 v4, 0x10000, v2
	s_delay_alu instid0(VALU_DEP_2) | instskip(NEXT) | instid1(VALU_DEP_1)
	v_cmp_eq_u32_e64 s1, 0, v3
	v_cndmask_b32_e64 v141, v4, v2, s1
; %bb.3169:                             ;   in Loop: Header=BB415_1576 Depth=1
	s_or_b32 exec_lo, exec_lo, s13
	flat_load_b64 v[2:3], v[0:1] offset:3072
	s_mov_b32 s13, exec_lo
	s_waitcnt vmcnt(0) lgkmcnt(0)
	v_dual_mov_b32 v4, 0 :: v_dual_and_b32 v5, 0xff, v2
	s_delay_alu instid0(VALU_DEP_1)
	v_cmpx_ne_u16_e32 0, v5
	s_cbranch_execz .LBB415_3177
; %bb.3170:                             ;   in Loop: Header=BB415_1576 Depth=1
	v_bfrev_b32_e32 v4, 1
	s_mov_b32 s15, exec_lo
	v_cmpx_ne_u16_e32 0x80, v5
	s_cbranch_execz .LBB415_3176
; %bb.3171:                             ;   in Loop: Header=BB415_1576 Depth=1
	v_and_b32_e32 v5, 0x7f, v2
	v_mov_b32_e32 v4, 0x7f800001
	s_mov_b32 s16, exec_lo
	s_delay_alu instid0(VALU_DEP_2)
	v_cmpx_ne_u32_e32 0x7f, v5
	s_cbranch_execz .LBB415_3175
; %bb.3172:                             ;   in Loop: Header=BB415_1576 Depth=1
	v_lshrrev_b32_e32 v4, 3, v5
	v_dual_mov_b32 v7, v3 :: v_dual_mov_b32 v6, v2
	s_mov_b32 s17, exec_lo
	v_cmpx_gt_u32_e32 8, v5
; %bb.3173:                             ;   in Loop: Header=BB415_1576 Depth=1
	v_and_b32_e32 v4, 7, v2
	s_delay_alu instid0(VALU_DEP_1) | instskip(NEXT) | instid1(VALU_DEP_1)
	v_clz_i32_u32_e32 v4, v4
	v_min_u32_e32 v4, 32, v4
	s_delay_alu instid0(VALU_DEP_1) | instskip(SKIP_1) | instid1(VALU_DEP_2)
	v_subrev_nc_u32_e32 v5, 28, v4
	v_sub_nc_u32_e32 v4, 29, v4
	v_lshlrev_b64 v[6:7], v5, v[2:3]
; %bb.3174:                             ;   in Loop: Header=BB415_1576 Depth=1
	s_or_b32 exec_lo, exec_lo, s17
	s_delay_alu instid0(VALU_DEP_1) | instskip(SKIP_2) | instid1(VALU_DEP_3)
	v_lshlrev_b32_e32 v5, 20, v6
	v_lshlrev_b32_e32 v6, 24, v2
	v_lshl_add_u32 v4, v4, 23, 0x3c000000
	v_and_b32_e32 v5, 0x700000, v5
	s_delay_alu instid0(VALU_DEP_3) | instskip(NEXT) | instid1(VALU_DEP_1)
	v_and_b32_e32 v6, 0x80000000, v6
	v_or3_b32 v4, v5, v6, v4
.LBB415_3175:                           ;   in Loop: Header=BB415_1576 Depth=1
	s_or_b32 exec_lo, exec_lo, s16
.LBB415_3176:                           ;   in Loop: Header=BB415_1576 Depth=1
	s_delay_alu instid0(SALU_CYCLE_1)
	s_or_b32 exec_lo, exec_lo, s15
.LBB415_3177:                           ;   in Loop: Header=BB415_1576 Depth=1
	s_delay_alu instid0(SALU_CYCLE_1) | instskip(NEXT) | instid1(VALU_DEP_1)
	s_or_b32 exec_lo, exec_lo, s13
	v_mul_f32_e32 v5, v8, v4
	s_delay_alu instid0(VALU_DEP_1) | instskip(NEXT) | instid1(VALU_DEP_1)
	v_and_b32_e32 v4, 0x7f800000, v5
	v_cmp_ne_u32_e64 s1, 0x7f800000, v4
                                        ; implicit-def: $vgpr4
	s_delay_alu instid0(VALU_DEP_1) | instskip(NEXT) | instid1(SALU_CYCLE_1)
	s_and_saveexec_b32 s13, s1
	s_xor_b32 s1, exec_lo, s13
; %bb.3178:                             ;   in Loop: Header=BB415_1576 Depth=1
	v_bfe_u32 v4, v5, 16, 1
	s_delay_alu instid0(VALU_DEP_1)
	v_add3_u32 v4, v5, v4, 0x7fff
                                        ; implicit-def: $vgpr5
; %bb.3179:                             ;   in Loop: Header=BB415_1576 Depth=1
	s_and_not1_saveexec_b32 s13, s1
; %bb.3180:                             ;   in Loop: Header=BB415_1576 Depth=1
	v_and_b32_e32 v4, 0xffff, v5
	v_or_b32_e32 v6, 0x10000, v5
	s_delay_alu instid0(VALU_DEP_2) | instskip(NEXT) | instid1(VALU_DEP_1)
	v_cmp_eq_u32_e64 s1, 0, v4
	v_cndmask_b32_e64 v4, v6, v5, s1
; %bb.3181:                             ;   in Loop: Header=BB415_1576 Depth=1
	s_or_b32 exec_lo, exec_lo, s13
	v_lshrrev_b16 v6, 8, v2
	v_mov_b32_e32 v5, 0
	s_mov_b32 s13, exec_lo
	s_delay_alu instid0(VALU_DEP_2)
	v_cmpx_ne_u16_e32 0, v6
	s_cbranch_execz .LBB415_3189
; %bb.3182:                             ;   in Loop: Header=BB415_1576 Depth=1
	v_bfrev_b32_e32 v5, 1
	s_mov_b32 s15, exec_lo
	v_cmpx_ne_u16_e32 0x80, v6
	s_cbranch_execz .LBB415_3188
; %bb.3183:                             ;   in Loop: Header=BB415_1576 Depth=1
	v_and_b32_e32 v7, 0xffff, v6
	v_mov_b32_e32 v5, 0x7f800001
	s_mov_b32 s16, exec_lo
	s_delay_alu instid0(VALU_DEP_2) | instskip(NEXT) | instid1(VALU_DEP_1)
	v_and_b32_e32 v6, 0x7f, v7
	v_cmpx_ne_u32_e32 0x7f, v6
	s_cbranch_execz .LBB415_3187
; %bb.3184:                             ;   in Loop: Header=BB415_1576 Depth=1
	v_and_b32_e32 v9, 7, v7
	v_lshrrev_b32_e32 v5, 3, v6
	v_cmp_gt_u32_e64 s1, 8, v6
	s_delay_alu instid0(VALU_DEP_3) | instskip(NEXT) | instid1(VALU_DEP_2)
	v_dual_mov_b32 v6, v9 :: v_dual_mov_b32 v7, v10
	s_and_saveexec_b32 s17, s1
; %bb.3185:                             ;   in Loop: Header=BB415_1576 Depth=1
	v_clz_i32_u32_e32 v5, v9
	s_delay_alu instid0(VALU_DEP_1) | instskip(NEXT) | instid1(VALU_DEP_1)
	v_min_u32_e32 v5, 32, v5
	v_subrev_nc_u32_e32 v6, 28, v5
	v_sub_nc_u32_e32 v5, 29, v5
	s_delay_alu instid0(VALU_DEP_2) | instskip(NEXT) | instid1(VALU_DEP_1)
	v_lshlrev_b64 v[6:7], v6, v[9:10]
	v_and_b32_e32 v6, 7, v6
; %bb.3186:                             ;   in Loop: Header=BB415_1576 Depth=1
	s_or_b32 exec_lo, exec_lo, s17
	v_lshlrev_b32_e32 v7, 16, v2
	s_delay_alu instid0(VALU_DEP_2) | instskip(SKIP_1) | instid1(VALU_DEP_3)
	v_lshlrev_b32_e32 v6, 20, v6
	v_lshl_add_u32 v5, v5, 23, 0x3c000000
	v_and_b32_e32 v7, 0x80000000, v7
	s_delay_alu instid0(VALU_DEP_1)
	v_or3_b32 v5, v6, v7, v5
.LBB415_3187:                           ;   in Loop: Header=BB415_1576 Depth=1
	s_or_b32 exec_lo, exec_lo, s16
.LBB415_3188:                           ;   in Loop: Header=BB415_1576 Depth=1
	s_delay_alu instid0(SALU_CYCLE_1)
	s_or_b32 exec_lo, exec_lo, s15
.LBB415_3189:                           ;   in Loop: Header=BB415_1576 Depth=1
	s_delay_alu instid0(SALU_CYCLE_1) | instskip(NEXT) | instid1(VALU_DEP_1)
	s_or_b32 exec_lo, exec_lo, s13
	v_mul_f32_e32 v6, v8, v5
	s_delay_alu instid0(VALU_DEP_1) | instskip(NEXT) | instid1(VALU_DEP_1)
	v_and_b32_e32 v5, 0x7f800000, v6
	v_cmp_ne_u32_e64 s1, 0x7f800000, v5
                                        ; implicit-def: $vgpr5
	s_delay_alu instid0(VALU_DEP_1) | instskip(NEXT) | instid1(SALU_CYCLE_1)
	s_and_saveexec_b32 s13, s1
	s_xor_b32 s1, exec_lo, s13
; %bb.3190:                             ;   in Loop: Header=BB415_1576 Depth=1
	v_bfe_u32 v5, v6, 16, 1
	s_delay_alu instid0(VALU_DEP_1)
	v_add3_u32 v5, v6, v5, 0x7fff
                                        ; implicit-def: $vgpr6
; %bb.3191:                             ;   in Loop: Header=BB415_1576 Depth=1
	s_and_not1_saveexec_b32 s13, s1
; %bb.3192:                             ;   in Loop: Header=BB415_1576 Depth=1
	v_and_b32_e32 v5, 0xffff, v6
	v_or_b32_e32 v7, 0x10000, v6
	s_delay_alu instid0(VALU_DEP_2) | instskip(NEXT) | instid1(VALU_DEP_1)
	v_cmp_eq_u32_e64 s1, 0, v5
	v_cndmask_b32_e64 v5, v7, v6, s1
; %bb.3193:                             ;   in Loop: Header=BB415_1576 Depth=1
	s_or_b32 exec_lo, exec_lo, s13
	v_lshrrev_b32_e32 v21, 16, v2
	s_mov_b32 s13, exec_lo
	s_delay_alu instid0(VALU_DEP_1) | instskip(NEXT) | instid1(VALU_DEP_1)
	v_dual_mov_b32 v6, 0 :: v_dual_and_b32 v7, 0xff, v21
	v_cmpx_ne_u16_e32 0, v7
	s_cbranch_execz .LBB415_3201
; %bb.3194:                             ;   in Loop: Header=BB415_1576 Depth=1
	v_bfrev_b32_e32 v6, 1
	s_mov_b32 s15, exec_lo
	v_cmpx_ne_u16_e32 0x80, v7
	s_cbranch_execz .LBB415_3200
; %bb.3195:                             ;   in Loop: Header=BB415_1576 Depth=1
	v_bfe_u32 v7, v2, 16, 7
	v_mov_b32_e32 v6, 0x7f800001
	s_mov_b32 s16, exec_lo
	s_delay_alu instid0(VALU_DEP_2)
	v_cmpx_ne_u32_e32 0x7f, v7
	s_cbranch_execz .LBB415_3199
; %bb.3196:                             ;   in Loop: Header=BB415_1576 Depth=1
	v_and_b32_e32 v9, 7, v21
	v_lshrrev_b32_e32 v39, 3, v7
	v_cmp_gt_u32_e64 s1, 8, v7
	s_delay_alu instid0(VALU_DEP_3) | instskip(NEXT) | instid1(VALU_DEP_2)
	v_dual_mov_b32 v6, v9 :: v_dual_mov_b32 v7, v10
	s_and_saveexec_b32 s17, s1
; %bb.3197:                             ;   in Loop: Header=BB415_1576 Depth=1
	v_clz_i32_u32_e32 v6, v9
	s_delay_alu instid0(VALU_DEP_1) | instskip(NEXT) | instid1(VALU_DEP_1)
	v_min_u32_e32 v20, 32, v6
	v_subrev_nc_u32_e32 v6, 28, v20
	v_sub_nc_u32_e32 v39, 29, v20
	s_delay_alu instid0(VALU_DEP_2) | instskip(NEXT) | instid1(VALU_DEP_1)
	v_lshlrev_b64 v[6:7], v6, v[9:10]
	v_and_b32_e32 v6, 7, v6
; %bb.3198:                             ;   in Loop: Header=BB415_1576 Depth=1
	s_or_b32 exec_lo, exec_lo, s17
	v_lshlrev_b32_e32 v7, 24, v21
	s_delay_alu instid0(VALU_DEP_2) | instskip(SKIP_1) | instid1(VALU_DEP_3)
	v_lshlrev_b32_e32 v6, 20, v6
	v_lshl_add_u32 v9, v39, 23, 0x3c000000
	v_and_b32_e32 v7, 0x80000000, v7
	s_delay_alu instid0(VALU_DEP_1)
	v_or3_b32 v6, v6, v7, v9
.LBB415_3199:                           ;   in Loop: Header=BB415_1576 Depth=1
	s_or_b32 exec_lo, exec_lo, s16
.LBB415_3200:                           ;   in Loop: Header=BB415_1576 Depth=1
	s_delay_alu instid0(SALU_CYCLE_1)
	s_or_b32 exec_lo, exec_lo, s15
.LBB415_3201:                           ;   in Loop: Header=BB415_1576 Depth=1
	s_delay_alu instid0(SALU_CYCLE_1) | instskip(NEXT) | instid1(VALU_DEP_1)
	s_or_b32 exec_lo, exec_lo, s13
	v_mul_f32_e32 v6, v8, v6
                                        ; implicit-def: $vgpr21
	s_delay_alu instid0(VALU_DEP_1) | instskip(NEXT) | instid1(VALU_DEP_1)
	v_and_b32_e32 v7, 0x7f800000, v6
	v_cmp_ne_u32_e64 s1, 0x7f800000, v7
	s_delay_alu instid0(VALU_DEP_1) | instskip(NEXT) | instid1(SALU_CYCLE_1)
	s_and_saveexec_b32 s13, s1
	s_xor_b32 s1, exec_lo, s13
; %bb.3202:                             ;   in Loop: Header=BB415_1576 Depth=1
	v_bfe_u32 v7, v6, 16, 1
	s_delay_alu instid0(VALU_DEP_1)
	v_add3_u32 v21, v6, v7, 0x7fff
                                        ; implicit-def: $vgpr6
; %bb.3203:                             ;   in Loop: Header=BB415_1576 Depth=1
	s_and_not1_saveexec_b32 s13, s1
; %bb.3204:                             ;   in Loop: Header=BB415_1576 Depth=1
	v_and_b32_e32 v7, 0xffff, v6
	v_or_b32_e32 v9, 0x10000, v6
	s_delay_alu instid0(VALU_DEP_2) | instskip(NEXT) | instid1(VALU_DEP_1)
	v_cmp_eq_u32_e64 s1, 0, v7
	v_cndmask_b32_e64 v21, v9, v6, s1
; %bb.3205:                             ;   in Loop: Header=BB415_1576 Depth=1
	s_or_b32 exec_lo, exec_lo, s13
	v_mov_b32_e32 v6, 0
	s_mov_b32 s13, exec_lo
	v_cmpx_lt_u32_e32 0xffffff, v2
	s_cbranch_execz .LBB415_3213
; %bb.3206:                             ;   in Loop: Header=BB415_1576 Depth=1
	v_lshrrev_b32_e32 v39, 24, v2
	v_bfrev_b32_e32 v6, 1
	s_mov_b32 s15, exec_lo
	s_delay_alu instid0(VALU_DEP_2)
	v_cmpx_ne_u32_e32 0x80, v39
	s_cbranch_execz .LBB415_3212
; %bb.3207:                             ;   in Loop: Header=BB415_1576 Depth=1
	v_bfe_u32 v7, v2, 24, 7
	v_mov_b32_e32 v6, 0x7f800001
	s_mov_b32 s16, exec_lo
	s_delay_alu instid0(VALU_DEP_2)
	v_cmpx_ne_u32_e32 0x7f, v7
	s_cbranch_execz .LBB415_3211
; %bb.3208:                             ;   in Loop: Header=BB415_1576 Depth=1
	v_and_b32_e32 v9, 7, v39
	v_lshrrev_b32_e32 v84, 3, v7
	v_cmp_gt_u32_e64 s1, 8, v7
	s_delay_alu instid0(VALU_DEP_3) | instskip(NEXT) | instid1(VALU_DEP_2)
	v_dual_mov_b32 v6, v9 :: v_dual_mov_b32 v7, v10
	s_and_saveexec_b32 s17, s1
; %bb.3209:                             ;   in Loop: Header=BB415_1576 Depth=1
	v_clz_i32_u32_e32 v6, v9
	s_delay_alu instid0(VALU_DEP_1) | instskip(NEXT) | instid1(VALU_DEP_1)
	v_min_u32_e32 v20, 32, v6
	v_subrev_nc_u32_e32 v6, 28, v20
	v_sub_nc_u32_e32 v84, 29, v20
	s_delay_alu instid0(VALU_DEP_2) | instskip(NEXT) | instid1(VALU_DEP_1)
	v_lshlrev_b64 v[6:7], v6, v[9:10]
	v_and_b32_e32 v6, 7, v6
; %bb.3210:                             ;   in Loop: Header=BB415_1576 Depth=1
	s_or_b32 exec_lo, exec_lo, s17
	v_lshlrev_b32_e32 v7, 24, v39
	s_delay_alu instid0(VALU_DEP_2) | instskip(SKIP_1) | instid1(VALU_DEP_3)
	v_lshlrev_b32_e32 v6, 20, v6
	v_lshl_add_u32 v9, v84, 23, 0x3c000000
	v_and_b32_e32 v7, 0x80000000, v7
	s_delay_alu instid0(VALU_DEP_1)
	v_or3_b32 v6, v6, v7, v9
.LBB415_3211:                           ;   in Loop: Header=BB415_1576 Depth=1
	s_or_b32 exec_lo, exec_lo, s16
.LBB415_3212:                           ;   in Loop: Header=BB415_1576 Depth=1
	s_delay_alu instid0(SALU_CYCLE_1)
	s_or_b32 exec_lo, exec_lo, s15
.LBB415_3213:                           ;   in Loop: Header=BB415_1576 Depth=1
	s_delay_alu instid0(SALU_CYCLE_1) | instskip(NEXT) | instid1(VALU_DEP_1)
	s_or_b32 exec_lo, exec_lo, s13
	v_mul_f32_e32 v6, v8, v6
                                        ; implicit-def: $vgpr39
	s_delay_alu instid0(VALU_DEP_1) | instskip(NEXT) | instid1(VALU_DEP_1)
	v_and_b32_e32 v7, 0x7f800000, v6
	v_cmp_ne_u32_e64 s1, 0x7f800000, v7
	s_delay_alu instid0(VALU_DEP_1) | instskip(NEXT) | instid1(SALU_CYCLE_1)
	s_and_saveexec_b32 s13, s1
	s_xor_b32 s1, exec_lo, s13
; %bb.3214:                             ;   in Loop: Header=BB415_1576 Depth=1
	v_bfe_u32 v7, v6, 16, 1
	s_delay_alu instid0(VALU_DEP_1)
	v_add3_u32 v39, v6, v7, 0x7fff
                                        ; implicit-def: $vgpr6
; %bb.3215:                             ;   in Loop: Header=BB415_1576 Depth=1
	s_and_not1_saveexec_b32 s13, s1
; %bb.3216:                             ;   in Loop: Header=BB415_1576 Depth=1
	v_and_b32_e32 v7, 0xffff, v6
	v_or_b32_e32 v9, 0x10000, v6
	s_delay_alu instid0(VALU_DEP_2) | instskip(NEXT) | instid1(VALU_DEP_1)
	v_cmp_eq_u32_e64 s1, 0, v7
	v_cndmask_b32_e64 v39, v9, v6, s1
; %bb.3217:                             ;   in Loop: Header=BB415_1576 Depth=1
	s_or_b32 exec_lo, exec_lo, s13
	v_dual_mov_b32 v6, 0 :: v_dual_and_b32 v7, 0xff, v3
	v_mov_b32_e32 v9, v3
	s_mov_b32 s13, exec_lo
	s_delay_alu instid0(VALU_DEP_2)
	v_cmpx_ne_u16_e32 0, v7
	s_cbranch_execz .LBB415_3225
; %bb.3218:                             ;   in Loop: Header=BB415_1576 Depth=1
	v_bfrev_b32_e32 v6, 1
	s_mov_b32 s15, exec_lo
	v_cmpx_ne_u16_e32 0x80, v7
	s_cbranch_execz .LBB415_3224
; %bb.3219:                             ;   in Loop: Header=BB415_1576 Depth=1
	v_and_b32_e32 v7, 0x7f, v3
	v_mov_b32_e32 v6, 0x7f800001
	s_mov_b32 s16, exec_lo
	s_delay_alu instid0(VALU_DEP_2)
	v_cmpx_ne_u32_e32 0x7f, v7
	s_cbranch_execz .LBB415_3223
; %bb.3220:                             ;   in Loop: Header=BB415_1576 Depth=1
	v_lshrrev_b32_e32 v84, 3, v7
	v_cmp_gt_u32_e64 s1, 8, v7
	v_dual_mov_b32 v6, v9 :: v_dual_mov_b32 v7, v10
	s_delay_alu instid0(VALU_DEP_2)
	s_and_saveexec_b32 s17, s1
; %bb.3221:                             ;   in Loop: Header=BB415_1576 Depth=1
	v_and_b32_e32 v6, 7, v3
	s_delay_alu instid0(VALU_DEP_1) | instskip(NEXT) | instid1(VALU_DEP_1)
	v_clz_i32_u32_e32 v6, v6
	v_min_u32_e32 v20, 32, v6
	s_delay_alu instid0(VALU_DEP_1) | instskip(SKIP_1) | instid1(VALU_DEP_2)
	v_subrev_nc_u32_e32 v6, 28, v20
	v_sub_nc_u32_e32 v84, 29, v20
	v_lshlrev_b64 v[6:7], v6, v[9:10]
; %bb.3222:                             ;   in Loop: Header=BB415_1576 Depth=1
	s_or_b32 exec_lo, exec_lo, s17
	s_delay_alu instid0(VALU_DEP_1) | instskip(SKIP_2) | instid1(VALU_DEP_3)
	v_lshlrev_b32_e32 v6, 20, v6
	v_lshlrev_b32_e32 v7, 24, v9
	v_lshl_add_u32 v20, v84, 23, 0x3c000000
	v_and_b32_e32 v6, 0x700000, v6
	s_delay_alu instid0(VALU_DEP_3) | instskip(NEXT) | instid1(VALU_DEP_1)
	v_and_b32_e32 v7, 0x80000000, v7
	v_or3_b32 v6, v6, v7, v20
.LBB415_3223:                           ;   in Loop: Header=BB415_1576 Depth=1
	s_or_b32 exec_lo, exec_lo, s16
.LBB415_3224:                           ;   in Loop: Header=BB415_1576 Depth=1
	s_delay_alu instid0(SALU_CYCLE_1)
	s_or_b32 exec_lo, exec_lo, s15
.LBB415_3225:                           ;   in Loop: Header=BB415_1576 Depth=1
	s_delay_alu instid0(SALU_CYCLE_1) | instskip(NEXT) | instid1(VALU_DEP_1)
	s_or_b32 exec_lo, exec_lo, s13
	v_mul_f32_e32 v6, v8, v6
                                        ; implicit-def: $vgpr84
	s_delay_alu instid0(VALU_DEP_1) | instskip(NEXT) | instid1(VALU_DEP_1)
	v_and_b32_e32 v7, 0x7f800000, v6
	v_cmp_ne_u32_e64 s1, 0x7f800000, v7
	s_delay_alu instid0(VALU_DEP_1) | instskip(NEXT) | instid1(SALU_CYCLE_1)
	s_and_saveexec_b32 s13, s1
	s_xor_b32 s1, exec_lo, s13
; %bb.3226:                             ;   in Loop: Header=BB415_1576 Depth=1
	v_bfe_u32 v7, v6, 16, 1
	s_delay_alu instid0(VALU_DEP_1)
	v_add3_u32 v84, v6, v7, 0x7fff
                                        ; implicit-def: $vgpr6
; %bb.3227:                             ;   in Loop: Header=BB415_1576 Depth=1
	s_and_not1_saveexec_b32 s13, s1
; %bb.3228:                             ;   in Loop: Header=BB415_1576 Depth=1
	v_and_b32_e32 v7, 0xffff, v6
	v_or_b32_e32 v20, 0x10000, v6
	s_delay_alu instid0(VALU_DEP_2) | instskip(NEXT) | instid1(VALU_DEP_1)
	v_cmp_eq_u32_e64 s1, 0, v7
	v_cndmask_b32_e64 v84, v20, v6, s1
; %bb.3229:                             ;   in Loop: Header=BB415_1576 Depth=1
	s_or_b32 exec_lo, exec_lo, s13
	v_lshrrev_b16 v7, 8, v9
	v_mov_b32_e32 v6, 0
	s_mov_b32 s13, exec_lo
	s_delay_alu instid0(VALU_DEP_2)
	v_cmpx_ne_u16_e32 0, v7
	s_cbranch_execz .LBB415_3237
; %bb.3230:                             ;   in Loop: Header=BB415_1576 Depth=1
	v_bfrev_b32_e32 v6, 1
	s_mov_b32 s15, exec_lo
	v_cmpx_ne_u16_e32 0x80, v7
	s_cbranch_execz .LBB415_3236
; %bb.3231:                             ;   in Loop: Header=BB415_1576 Depth=1
	v_and_b32_e32 v7, 0xffff, v7
	v_mov_b32_e32 v6, 0x7f800001
	s_mov_b32 s16, exec_lo
	s_delay_alu instid0(VALU_DEP_2) | instskip(NEXT) | instid1(VALU_DEP_1)
	v_and_b32_e32 v142, 0x7f, v7
	v_cmpx_ne_u32_e32 0x7f, v142
	s_cbranch_execz .LBB415_3235
; %bb.3232:                             ;   in Loop: Header=BB415_1576 Depth=1
	v_dual_mov_b32 v7, v10 :: v_dual_and_b32 v6, 7, v7
	v_lshrrev_b32_e32 v85, 3, v142
	s_mov_b32 s17, exec_lo
	v_cmpx_gt_u32_e32 8, v142
; %bb.3233:                             ;   in Loop: Header=BB415_1576 Depth=1
	s_delay_alu instid0(VALU_DEP_3) | instskip(NEXT) | instid1(VALU_DEP_1)
	v_clz_i32_u32_e32 v20, v6
	v_min_u32_e32 v20, 32, v20
	s_delay_alu instid0(VALU_DEP_1) | instskip(SKIP_1) | instid1(VALU_DEP_2)
	v_subrev_nc_u32_e32 v22, 28, v20
	v_sub_nc_u32_e32 v85, 29, v20
	v_lshlrev_b64 v[6:7], v22, v[6:7]
	s_delay_alu instid0(VALU_DEP_1)
	v_and_b32_e32 v6, 7, v6
; %bb.3234:                             ;   in Loop: Header=BB415_1576 Depth=1
	s_or_b32 exec_lo, exec_lo, s17
	v_lshlrev_b32_e32 v7, 16, v9
	s_delay_alu instid0(VALU_DEP_2) | instskip(SKIP_1) | instid1(VALU_DEP_3)
	v_lshlrev_b32_e32 v6, 20, v6
	v_lshl_add_u32 v9, v85, 23, 0x3c000000
	v_and_b32_e32 v7, 0x80000000, v7
	s_delay_alu instid0(VALU_DEP_1)
	v_or3_b32 v6, v6, v7, v9
.LBB415_3235:                           ;   in Loop: Header=BB415_1576 Depth=1
	s_or_b32 exec_lo, exec_lo, s16
.LBB415_3236:                           ;   in Loop: Header=BB415_1576 Depth=1
	s_delay_alu instid0(SALU_CYCLE_1)
	s_or_b32 exec_lo, exec_lo, s15
.LBB415_3237:                           ;   in Loop: Header=BB415_1576 Depth=1
	s_delay_alu instid0(SALU_CYCLE_1) | instskip(NEXT) | instid1(VALU_DEP_1)
	s_or_b32 exec_lo, exec_lo, s13
	v_mul_f32_e32 v6, v8, v6
                                        ; implicit-def: $vgpr85
	s_delay_alu instid0(VALU_DEP_1) | instskip(NEXT) | instid1(VALU_DEP_1)
	v_and_b32_e32 v7, 0x7f800000, v6
	v_cmp_ne_u32_e64 s1, 0x7f800000, v7
	s_delay_alu instid0(VALU_DEP_1) | instskip(NEXT) | instid1(SALU_CYCLE_1)
	s_and_saveexec_b32 s13, s1
	s_xor_b32 s1, exec_lo, s13
; %bb.3238:                             ;   in Loop: Header=BB415_1576 Depth=1
	v_bfe_u32 v7, v6, 16, 1
	s_delay_alu instid0(VALU_DEP_1)
	v_add3_u32 v85, v6, v7, 0x7fff
                                        ; implicit-def: $vgpr6
; %bb.3239:                             ;   in Loop: Header=BB415_1576 Depth=1
	s_and_not1_saveexec_b32 s13, s1
; %bb.3240:                             ;   in Loop: Header=BB415_1576 Depth=1
	v_and_b32_e32 v7, 0xffff, v6
	v_or_b32_e32 v9, 0x10000, v6
	s_delay_alu instid0(VALU_DEP_2) | instskip(NEXT) | instid1(VALU_DEP_1)
	v_cmp_eq_u32_e64 s1, 0, v7
	v_cndmask_b32_e64 v85, v9, v6, s1
; %bb.3241:                             ;   in Loop: Header=BB415_1576 Depth=1
	s_or_b32 exec_lo, exec_lo, s13
	v_lshrrev_b32_e32 v142, 16, v3
	s_mov_b32 s13, exec_lo
	s_delay_alu instid0(VALU_DEP_1) | instskip(NEXT) | instid1(VALU_DEP_1)
	v_dual_mov_b32 v6, 0 :: v_dual_and_b32 v7, 0xff, v142
	v_cmpx_ne_u16_e32 0, v7
	s_cbranch_execz .LBB415_3249
; %bb.3242:                             ;   in Loop: Header=BB415_1576 Depth=1
	v_bfrev_b32_e32 v6, 1
	s_mov_b32 s15, exec_lo
	v_cmpx_ne_u16_e32 0x80, v7
	s_cbranch_execz .LBB415_3248
; %bb.3243:                             ;   in Loop: Header=BB415_1576 Depth=1
	v_bfe_u32 v7, v3, 16, 7
	v_mov_b32_e32 v6, 0x7f800001
	s_mov_b32 s16, exec_lo
	s_delay_alu instid0(VALU_DEP_2)
	v_cmpx_ne_u32_e32 0x7f, v7
	s_cbranch_execz .LBB415_3247
; %bb.3244:                             ;   in Loop: Header=BB415_1576 Depth=1
	v_and_b32_e32 v9, 7, v142
	v_lshrrev_b32_e32 v143, 3, v7
	v_cmp_gt_u32_e64 s1, 8, v7
	s_delay_alu instid0(VALU_DEP_3) | instskip(NEXT) | instid1(VALU_DEP_2)
	v_dual_mov_b32 v6, v9 :: v_dual_mov_b32 v7, v10
	s_and_saveexec_b32 s17, s1
; %bb.3245:                             ;   in Loop: Header=BB415_1576 Depth=1
	v_clz_i32_u32_e32 v6, v9
	s_delay_alu instid0(VALU_DEP_1) | instskip(NEXT) | instid1(VALU_DEP_1)
	v_min_u32_e32 v20, 32, v6
	v_subrev_nc_u32_e32 v6, 28, v20
	v_sub_nc_u32_e32 v143, 29, v20
	s_delay_alu instid0(VALU_DEP_2) | instskip(NEXT) | instid1(VALU_DEP_1)
	v_lshlrev_b64 v[6:7], v6, v[9:10]
	v_and_b32_e32 v6, 7, v6
; %bb.3246:                             ;   in Loop: Header=BB415_1576 Depth=1
	s_or_b32 exec_lo, exec_lo, s17
	v_lshlrev_b32_e32 v7, 24, v142
	s_delay_alu instid0(VALU_DEP_2) | instskip(SKIP_1) | instid1(VALU_DEP_3)
	v_lshlrev_b32_e32 v6, 20, v6
	v_lshl_add_u32 v9, v143, 23, 0x3c000000
	v_and_b32_e32 v7, 0x80000000, v7
	s_delay_alu instid0(VALU_DEP_1)
	v_or3_b32 v6, v6, v7, v9
.LBB415_3247:                           ;   in Loop: Header=BB415_1576 Depth=1
	s_or_b32 exec_lo, exec_lo, s16
.LBB415_3248:                           ;   in Loop: Header=BB415_1576 Depth=1
	s_delay_alu instid0(SALU_CYCLE_1)
	s_or_b32 exec_lo, exec_lo, s15
.LBB415_3249:                           ;   in Loop: Header=BB415_1576 Depth=1
	s_delay_alu instid0(SALU_CYCLE_1) | instskip(NEXT) | instid1(VALU_DEP_1)
	s_or_b32 exec_lo, exec_lo, s13
	v_mul_f32_e32 v6, v8, v6
                                        ; implicit-def: $vgpr142
	s_delay_alu instid0(VALU_DEP_1) | instskip(NEXT) | instid1(VALU_DEP_1)
	v_and_b32_e32 v7, 0x7f800000, v6
	v_cmp_ne_u32_e64 s1, 0x7f800000, v7
	s_delay_alu instid0(VALU_DEP_1) | instskip(NEXT) | instid1(SALU_CYCLE_1)
	s_and_saveexec_b32 s13, s1
	s_xor_b32 s1, exec_lo, s13
; %bb.3250:                             ;   in Loop: Header=BB415_1576 Depth=1
	v_bfe_u32 v7, v6, 16, 1
	s_delay_alu instid0(VALU_DEP_1)
	v_add3_u32 v142, v6, v7, 0x7fff
                                        ; implicit-def: $vgpr6
; %bb.3251:                             ;   in Loop: Header=BB415_1576 Depth=1
	s_and_not1_saveexec_b32 s13, s1
; %bb.3252:                             ;   in Loop: Header=BB415_1576 Depth=1
	v_and_b32_e32 v7, 0xffff, v6
	v_or_b32_e32 v9, 0x10000, v6
	s_delay_alu instid0(VALU_DEP_2) | instskip(NEXT) | instid1(VALU_DEP_1)
	v_cmp_eq_u32_e64 s1, 0, v7
	v_cndmask_b32_e64 v142, v9, v6, s1
; %bb.3253:                             ;   in Loop: Header=BB415_1576 Depth=1
	s_or_b32 exec_lo, exec_lo, s13
	v_cmp_lt_u64_e64 s1, s[4:5], v[2:3]
	v_mov_b32_e32 v2, 0
	s_delay_alu instid0(VALU_DEP_2)
	s_and_saveexec_b32 s13, s1
	s_cbranch_execz .LBB415_3261
; %bb.3254:                             ;   in Loop: Header=BB415_1576 Depth=1
	v_lshrrev_b32_e32 v6, 24, v3
	v_bfrev_b32_e32 v2, 1
	s_mov_b32 s15, exec_lo
	s_delay_alu instid0(VALU_DEP_2)
	v_cmpx_ne_u32_e32 0x80, v6
	s_cbranch_execz .LBB415_3260
; %bb.3255:                             ;   in Loop: Header=BB415_1576 Depth=1
	v_bfe_u32 v3, v3, 24, 7
	v_mov_b32_e32 v2, 0x7f800001
	s_mov_b32 s16, exec_lo
	s_delay_alu instid0(VALU_DEP_2)
	v_cmpx_ne_u32_e32 0x7f, v3
	s_cbranch_execz .LBB415_3259
; %bb.3256:                             ;   in Loop: Header=BB415_1576 Depth=1
	v_and_b32_e32 v9, 7, v6
	v_lshrrev_b32_e32 v7, 3, v3
	v_cmp_gt_u32_e64 s1, 8, v3
	s_delay_alu instid0(VALU_DEP_3) | instskip(NEXT) | instid1(VALU_DEP_2)
	v_dual_mov_b32 v2, v9 :: v_dual_mov_b32 v3, v10
	s_and_saveexec_b32 s17, s1
; %bb.3257:                             ;   in Loop: Header=BB415_1576 Depth=1
	v_clz_i32_u32_e32 v2, v9
	s_delay_alu instid0(VALU_DEP_1) | instskip(NEXT) | instid1(VALU_DEP_1)
	v_min_u32_e32 v7, 32, v2
	v_subrev_nc_u32_e32 v2, 28, v7
	v_sub_nc_u32_e32 v7, 29, v7
	s_delay_alu instid0(VALU_DEP_2) | instskip(NEXT) | instid1(VALU_DEP_1)
	v_lshlrev_b64 v[2:3], v2, v[9:10]
	v_and_b32_e32 v2, 7, v2
; %bb.3258:                             ;   in Loop: Header=BB415_1576 Depth=1
	s_or_b32 exec_lo, exec_lo, s17
	v_lshlrev_b32_e32 v3, 24, v6
	s_delay_alu instid0(VALU_DEP_2) | instskip(SKIP_1) | instid1(VALU_DEP_3)
	v_lshlrev_b32_e32 v2, 20, v2
	v_lshl_add_u32 v6, v7, 23, 0x3c000000
	v_and_b32_e32 v3, 0x80000000, v3
	s_delay_alu instid0(VALU_DEP_1)
	v_or3_b32 v2, v2, v3, v6
.LBB415_3259:                           ;   in Loop: Header=BB415_1576 Depth=1
	s_or_b32 exec_lo, exec_lo, s16
.LBB415_3260:                           ;   in Loop: Header=BB415_1576 Depth=1
	s_delay_alu instid0(SALU_CYCLE_1)
	s_or_b32 exec_lo, exec_lo, s15
.LBB415_3261:                           ;   in Loop: Header=BB415_1576 Depth=1
	s_delay_alu instid0(SALU_CYCLE_1) | instskip(NEXT) | instid1(VALU_DEP_1)
	s_or_b32 exec_lo, exec_lo, s13
	v_mul_f32_e32 v3, v8, v2
	s_delay_alu instid0(VALU_DEP_1) | instskip(NEXT) | instid1(VALU_DEP_1)
	v_and_b32_e32 v2, 0x7f800000, v3
	v_cmp_ne_u32_e64 s1, 0x7f800000, v2
                                        ; implicit-def: $vgpr2
	s_delay_alu instid0(VALU_DEP_1) | instskip(NEXT) | instid1(SALU_CYCLE_1)
	s_and_saveexec_b32 s13, s1
	s_xor_b32 s1, exec_lo, s13
; %bb.3262:                             ;   in Loop: Header=BB415_1576 Depth=1
	v_bfe_u32 v2, v3, 16, 1
	s_delay_alu instid0(VALU_DEP_1)
	v_add3_u32 v2, v3, v2, 0x7fff
                                        ; implicit-def: $vgpr3
; %bb.3263:                             ;   in Loop: Header=BB415_1576 Depth=1
	s_and_not1_saveexec_b32 s13, s1
; %bb.3264:                             ;   in Loop: Header=BB415_1576 Depth=1
	v_and_b32_e32 v2, 0xffff, v3
	v_or_b32_e32 v6, 0x10000, v3
	s_delay_alu instid0(VALU_DEP_2) | instskip(NEXT) | instid1(VALU_DEP_1)
	v_cmp_eq_u32_e64 s1, 0, v2
	v_cndmask_b32_e64 v2, v6, v3, s1
; %bb.3265:                             ;   in Loop: Header=BB415_1576 Depth=1
	s_or_b32 exec_lo, exec_lo, s13
	v_lshrrev_b32_e32 v6, 16, v85
	v_lshrrev_b32_e32 v7, 16, v84
	;; [unrolled: 1-line block ×8, first 2 shown]
	s_and_saveexec_b32 s13, vcc_lo
	s_cbranch_execz .LBB415_3267
; %bb.3266:                             ;   in Loop: Header=BB415_1576 Depth=1
	v_cmp_lt_i32_e64 s1, v70, v86
	s_delay_alu instid0(VALU_DEP_1) | instskip(SKIP_1) | instid1(VALU_DEP_1)
	v_cndmask_b32_e64 v4, 0, v4, s1
	v_cmp_lt_i32_e64 s1, v101, v86
	v_cndmask_b32_e64 v5, 0, v5, s1
	v_cmp_lt_i32_e64 s1, v100, v86
	s_delay_alu instid0(VALU_DEP_1) | instskip(SKIP_1) | instid1(VALU_DEP_1)
	v_cndmask_b32_e64 v21, 0, v21, s1
	v_cmp_lt_i32_e64 s1, v83, v86
	v_cndmask_b32_e64 v9, 0, v9, s1
	;; [unrolled: 5-line block ×4, first 2 shown]
.LBB415_3267:                           ;   in Loop: Header=BB415_1576 Depth=1
	s_or_b32 exec_lo, exec_lo, s13
	v_lshlrev_b32_e32 v4, 16, v4
                                        ; implicit-def: $vgpr142
	s_delay_alu instid0(VALU_DEP_1) | instskip(NEXT) | instid1(VALU_DEP_1)
	v_mul_f32_e32 v4, v102, v4
	v_and_b32_e32 v20, 0x7f800000, v4
	s_delay_alu instid0(VALU_DEP_1) | instskip(NEXT) | instid1(VALU_DEP_1)
	v_cmp_ne_u32_e64 s1, 0x7f800000, v20
	s_and_saveexec_b32 s13, s1
	s_delay_alu instid0(SALU_CYCLE_1)
	s_xor_b32 s1, exec_lo, s13
; %bb.3268:                             ;   in Loop: Header=BB415_1576 Depth=1
	v_bfe_u32 v20, v4, 16, 1
	s_delay_alu instid0(VALU_DEP_1)
	v_add3_u32 v142, v4, v20, 0x7fff
                                        ; implicit-def: $vgpr4
; %bb.3269:                             ;   in Loop: Header=BB415_1576 Depth=1
	s_and_not1_saveexec_b32 s13, s1
; %bb.3270:                             ;   in Loop: Header=BB415_1576 Depth=1
	v_and_b32_e32 v20, 0xffff, v4
	v_or_b32_e32 v22, 0x10000, v4
	s_delay_alu instid0(VALU_DEP_2) | instskip(NEXT) | instid1(VALU_DEP_1)
	v_cmp_eq_u32_e64 s1, 0, v20
	v_cndmask_b32_e64 v142, v22, v4, s1
; %bb.3271:                             ;   in Loop: Header=BB415_1576 Depth=1
	s_or_b32 exec_lo, exec_lo, s13
	v_lshlrev_b32_e32 v4, 16, v5
                                        ; implicit-def: $vgpr143
	s_delay_alu instid0(VALU_DEP_1) | instskip(NEXT) | instid1(VALU_DEP_1)
	v_mul_f32_e32 v4, v103, v4
	v_and_b32_e32 v5, 0x7f800000, v4
	s_delay_alu instid0(VALU_DEP_1) | instskip(NEXT) | instid1(VALU_DEP_1)
	v_cmp_ne_u32_e64 s1, 0x7f800000, v5
	s_and_saveexec_b32 s13, s1
	s_delay_alu instid0(SALU_CYCLE_1)
	s_xor_b32 s1, exec_lo, s13
; %bb.3272:                             ;   in Loop: Header=BB415_1576 Depth=1
	v_bfe_u32 v5, v4, 16, 1
	s_delay_alu instid0(VALU_DEP_1)
	v_add3_u32 v143, v4, v5, 0x7fff
                                        ; implicit-def: $vgpr4
; %bb.3273:                             ;   in Loop: Header=BB415_1576 Depth=1
	s_and_not1_saveexec_b32 s13, s1
; %bb.3274:                             ;   in Loop: Header=BB415_1576 Depth=1
	v_and_b32_e32 v5, 0xffff, v4
	v_or_b32_e32 v20, 0x10000, v4
	s_delay_alu instid0(VALU_DEP_2) | instskip(NEXT) | instid1(VALU_DEP_1)
	v_cmp_eq_u32_e64 s1, 0, v5
	v_cndmask_b32_e64 v143, v20, v4, s1
; %bb.3275:                             ;   in Loop: Header=BB415_1576 Depth=1
	s_or_b32 exec_lo, exec_lo, s13
	v_lshlrev_b32_e32 v4, 16, v21
                                        ; implicit-def: $vgpr152
	s_delay_alu instid0(VALU_DEP_1) | instskip(NEXT) | instid1(VALU_DEP_1)
	v_mul_f32_e32 v4, v112, v4
	v_and_b32_e32 v5, 0x7f800000, v4
	s_delay_alu instid0(VALU_DEP_1) | instskip(NEXT) | instid1(VALU_DEP_1)
	v_cmp_ne_u32_e64 s1, 0x7f800000, v5
	s_and_saveexec_b32 s13, s1
	s_delay_alu instid0(SALU_CYCLE_1)
	s_xor_b32 s1, exec_lo, s13
; %bb.3276:                             ;   in Loop: Header=BB415_1576 Depth=1
	v_bfe_u32 v5, v4, 16, 1
	s_delay_alu instid0(VALU_DEP_1)
	v_add3_u32 v152, v4, v5, 0x7fff
                                        ; implicit-def: $vgpr4
; %bb.3277:                             ;   in Loop: Header=BB415_1576 Depth=1
	s_and_not1_saveexec_b32 s13, s1
; %bb.3278:                             ;   in Loop: Header=BB415_1576 Depth=1
	v_and_b32_e32 v5, 0xffff, v4
	v_or_b32_e32 v20, 0x10000, v4
	s_delay_alu instid0(VALU_DEP_2) | instskip(NEXT) | instid1(VALU_DEP_1)
	v_cmp_eq_u32_e64 s1, 0, v5
	v_cndmask_b32_e64 v152, v20, v4, s1
; %bb.3279:                             ;   in Loop: Header=BB415_1576 Depth=1
	s_or_b32 exec_lo, exec_lo, s13
	v_lshlrev_b32_e32 v4, 16, v9
                                        ; implicit-def: $vgpr153
	s_delay_alu instid0(VALU_DEP_1) | instskip(NEXT) | instid1(VALU_DEP_1)
	v_mul_f32_e32 v4, v113, v4
	v_and_b32_e32 v5, 0x7f800000, v4
	s_delay_alu instid0(VALU_DEP_1) | instskip(NEXT) | instid1(VALU_DEP_1)
	v_cmp_ne_u32_e64 s1, 0x7f800000, v5
	s_and_saveexec_b32 s13, s1
	s_delay_alu instid0(SALU_CYCLE_1)
	s_xor_b32 s1, exec_lo, s13
; %bb.3280:                             ;   in Loop: Header=BB415_1576 Depth=1
	v_bfe_u32 v5, v4, 16, 1
	s_delay_alu instid0(VALU_DEP_1)
	v_add3_u32 v153, v4, v5, 0x7fff
                                        ; implicit-def: $vgpr4
; %bb.3281:                             ;   in Loop: Header=BB415_1576 Depth=1
	s_and_not1_saveexec_b32 s13, s1
; %bb.3282:                             ;   in Loop: Header=BB415_1576 Depth=1
	v_and_b32_e32 v5, 0xffff, v4
	v_or_b32_e32 v9, 0x10000, v4
	s_delay_alu instid0(VALU_DEP_2) | instskip(NEXT) | instid1(VALU_DEP_1)
	v_cmp_eq_u32_e64 s1, 0, v5
	v_cndmask_b32_e64 v153, v9, v4, s1
; %bb.3283:                             ;   in Loop: Header=BB415_1576 Depth=1
	s_or_b32 exec_lo, exec_lo, s13
	v_lshlrev_b32_e32 v4, 16, v7
                                        ; implicit-def: $vgpr154
	s_delay_alu instid0(VALU_DEP_1) | instskip(NEXT) | instid1(VALU_DEP_1)
	v_mul_f32_e32 v4, v114, v4
	v_and_b32_e32 v5, 0x7f800000, v4
	s_delay_alu instid0(VALU_DEP_1) | instskip(NEXT) | instid1(VALU_DEP_1)
	v_cmp_ne_u32_e64 s1, 0x7f800000, v5
	s_and_saveexec_b32 s13, s1
	s_delay_alu instid0(SALU_CYCLE_1)
	s_xor_b32 s1, exec_lo, s13
; %bb.3284:                             ;   in Loop: Header=BB415_1576 Depth=1
	v_bfe_u32 v5, v4, 16, 1
	s_delay_alu instid0(VALU_DEP_1)
	v_add3_u32 v154, v4, v5, 0x7fff
                                        ; implicit-def: $vgpr4
; %bb.3285:                             ;   in Loop: Header=BB415_1576 Depth=1
	s_and_not1_saveexec_b32 s13, s1
; %bb.3286:                             ;   in Loop: Header=BB415_1576 Depth=1
	v_and_b32_e32 v5, 0xffff, v4
	v_or_b32_e32 v7, 0x10000, v4
	s_delay_alu instid0(VALU_DEP_2) | instskip(NEXT) | instid1(VALU_DEP_1)
	v_cmp_eq_u32_e64 s1, 0, v5
	v_cndmask_b32_e64 v154, v7, v4, s1
; %bb.3287:                             ;   in Loop: Header=BB415_1576 Depth=1
	s_or_b32 exec_lo, exec_lo, s13
	v_lshlrev_b32_e32 v4, 16, v6
                                        ; implicit-def: $vgpr155
	s_delay_alu instid0(VALU_DEP_1) | instskip(NEXT) | instid1(VALU_DEP_1)
	v_mul_f32_e32 v4, v115, v4
	v_and_b32_e32 v5, 0x7f800000, v4
	s_delay_alu instid0(VALU_DEP_1) | instskip(NEXT) | instid1(VALU_DEP_1)
	v_cmp_ne_u32_e64 s1, 0x7f800000, v5
	s_and_saveexec_b32 s13, s1
	s_delay_alu instid0(SALU_CYCLE_1)
	s_xor_b32 s1, exec_lo, s13
; %bb.3288:                             ;   in Loop: Header=BB415_1576 Depth=1
	v_bfe_u32 v5, v4, 16, 1
	s_delay_alu instid0(VALU_DEP_1)
	v_add3_u32 v155, v4, v5, 0x7fff
                                        ; implicit-def: $vgpr4
; %bb.3289:                             ;   in Loop: Header=BB415_1576 Depth=1
	s_and_not1_saveexec_b32 s13, s1
; %bb.3290:                             ;   in Loop: Header=BB415_1576 Depth=1
	v_and_b32_e32 v5, 0xffff, v4
	v_or_b32_e32 v6, 0x10000, v4
	s_delay_alu instid0(VALU_DEP_2) | instskip(NEXT) | instid1(VALU_DEP_1)
	v_cmp_eq_u32_e64 s1, 0, v5
	v_cndmask_b32_e64 v155, v6, v4, s1
; %bb.3291:                             ;   in Loop: Header=BB415_1576 Depth=1
	s_or_b32 exec_lo, exec_lo, s13
	v_lshlrev_b32_e32 v3, 16, v3
                                        ; implicit-def: $vgpr156
	s_delay_alu instid0(VALU_DEP_1) | instskip(NEXT) | instid1(VALU_DEP_1)
	v_mul_f32_e32 v3, v116, v3
	v_and_b32_e32 v4, 0x7f800000, v3
	s_delay_alu instid0(VALU_DEP_1) | instskip(NEXT) | instid1(VALU_DEP_1)
	v_cmp_ne_u32_e64 s1, 0x7f800000, v4
	s_and_saveexec_b32 s13, s1
	s_delay_alu instid0(SALU_CYCLE_1)
	s_xor_b32 s1, exec_lo, s13
; %bb.3292:                             ;   in Loop: Header=BB415_1576 Depth=1
	v_bfe_u32 v4, v3, 16, 1
	s_delay_alu instid0(VALU_DEP_1)
	v_add3_u32 v156, v3, v4, 0x7fff
                                        ; implicit-def: $vgpr3
; %bb.3293:                             ;   in Loop: Header=BB415_1576 Depth=1
	s_and_not1_saveexec_b32 s13, s1
; %bb.3294:                             ;   in Loop: Header=BB415_1576 Depth=1
	v_and_b32_e32 v4, 0xffff, v3
	v_or_b32_e32 v5, 0x10000, v3
	s_delay_alu instid0(VALU_DEP_2) | instskip(NEXT) | instid1(VALU_DEP_1)
	v_cmp_eq_u32_e64 s1, 0, v4
	v_cndmask_b32_e64 v156, v5, v3, s1
; %bb.3295:                             ;   in Loop: Header=BB415_1576 Depth=1
	s_or_b32 exec_lo, exec_lo, s13
	v_lshlrev_b32_e32 v2, 16, v2
                                        ; implicit-def: $vgpr157
	s_delay_alu instid0(VALU_DEP_1) | instskip(NEXT) | instid1(VALU_DEP_1)
	v_mul_f32_e32 v2, v117, v2
	v_and_b32_e32 v3, 0x7f800000, v2
	s_delay_alu instid0(VALU_DEP_1) | instskip(NEXT) | instid1(VALU_DEP_1)
	v_cmp_ne_u32_e64 s1, 0x7f800000, v3
	s_and_saveexec_b32 s13, s1
	s_delay_alu instid0(SALU_CYCLE_1)
	s_xor_b32 s1, exec_lo, s13
; %bb.3296:                             ;   in Loop: Header=BB415_1576 Depth=1
	v_bfe_u32 v3, v2, 16, 1
	s_delay_alu instid0(VALU_DEP_1)
	v_add3_u32 v157, v2, v3, 0x7fff
                                        ; implicit-def: $vgpr2
; %bb.3297:                             ;   in Loop: Header=BB415_1576 Depth=1
	s_and_not1_saveexec_b32 s13, s1
; %bb.3298:                             ;   in Loop: Header=BB415_1576 Depth=1
	v_and_b32_e32 v3, 0xffff, v2
	v_or_b32_e32 v4, 0x10000, v2
	s_delay_alu instid0(VALU_DEP_2) | instskip(NEXT) | instid1(VALU_DEP_1)
	v_cmp_eq_u32_e64 s1, 0, v3
	v_cndmask_b32_e64 v157, v4, v2, s1
; %bb.3299:                             ;   in Loop: Header=BB415_1576 Depth=1
	s_or_b32 exec_lo, exec_lo, s13
	flat_load_b64 v[2:3], v[0:1] offset:3328
	s_mov_b32 s13, exec_lo
	s_waitcnt vmcnt(0) lgkmcnt(0)
	v_dual_mov_b32 v4, 0 :: v_dual_and_b32 v5, 0xff, v2
	s_delay_alu instid0(VALU_DEP_1)
	v_cmpx_ne_u16_e32 0, v5
	s_cbranch_execz .LBB415_3307
; %bb.3300:                             ;   in Loop: Header=BB415_1576 Depth=1
	v_bfrev_b32_e32 v4, 1
	s_mov_b32 s15, exec_lo
	v_cmpx_ne_u16_e32 0x80, v5
	s_cbranch_execz .LBB415_3306
; %bb.3301:                             ;   in Loop: Header=BB415_1576 Depth=1
	v_and_b32_e32 v5, 0x7f, v2
	v_mov_b32_e32 v4, 0x7f800001
	s_mov_b32 s16, exec_lo
	s_delay_alu instid0(VALU_DEP_2)
	v_cmpx_ne_u32_e32 0x7f, v5
	s_cbranch_execz .LBB415_3305
; %bb.3302:                             ;   in Loop: Header=BB415_1576 Depth=1
	v_lshrrev_b32_e32 v4, 3, v5
	v_dual_mov_b32 v7, v3 :: v_dual_mov_b32 v6, v2
	s_mov_b32 s17, exec_lo
	v_cmpx_gt_u32_e32 8, v5
; %bb.3303:                             ;   in Loop: Header=BB415_1576 Depth=1
	v_and_b32_e32 v4, 7, v2
	s_delay_alu instid0(VALU_DEP_1) | instskip(NEXT) | instid1(VALU_DEP_1)
	v_clz_i32_u32_e32 v4, v4
	v_min_u32_e32 v4, 32, v4
	s_delay_alu instid0(VALU_DEP_1) | instskip(SKIP_1) | instid1(VALU_DEP_2)
	v_subrev_nc_u32_e32 v5, 28, v4
	v_sub_nc_u32_e32 v4, 29, v4
	v_lshlrev_b64 v[6:7], v5, v[2:3]
; %bb.3304:                             ;   in Loop: Header=BB415_1576 Depth=1
	s_or_b32 exec_lo, exec_lo, s17
	s_delay_alu instid0(VALU_DEP_1) | instskip(SKIP_2) | instid1(VALU_DEP_3)
	v_lshlrev_b32_e32 v5, 20, v6
	v_lshlrev_b32_e32 v6, 24, v2
	v_lshl_add_u32 v4, v4, 23, 0x3c000000
	v_and_b32_e32 v5, 0x700000, v5
	s_delay_alu instid0(VALU_DEP_3) | instskip(NEXT) | instid1(VALU_DEP_1)
	v_and_b32_e32 v6, 0x80000000, v6
	v_or3_b32 v4, v5, v6, v4
.LBB415_3305:                           ;   in Loop: Header=BB415_1576 Depth=1
	s_or_b32 exec_lo, exec_lo, s16
.LBB415_3306:                           ;   in Loop: Header=BB415_1576 Depth=1
	s_delay_alu instid0(SALU_CYCLE_1)
	s_or_b32 exec_lo, exec_lo, s15
.LBB415_3307:                           ;   in Loop: Header=BB415_1576 Depth=1
	s_delay_alu instid0(SALU_CYCLE_1) | instskip(NEXT) | instid1(VALU_DEP_1)
	s_or_b32 exec_lo, exec_lo, s13
	v_mul_f32_e32 v5, v8, v4
	s_delay_alu instid0(VALU_DEP_1) | instskip(NEXT) | instid1(VALU_DEP_1)
	v_and_b32_e32 v4, 0x7f800000, v5
	v_cmp_ne_u32_e64 s1, 0x7f800000, v4
                                        ; implicit-def: $vgpr4
	s_delay_alu instid0(VALU_DEP_1) | instskip(NEXT) | instid1(SALU_CYCLE_1)
	s_and_saveexec_b32 s13, s1
	s_xor_b32 s1, exec_lo, s13
; %bb.3308:                             ;   in Loop: Header=BB415_1576 Depth=1
	v_bfe_u32 v4, v5, 16, 1
	s_delay_alu instid0(VALU_DEP_1)
	v_add3_u32 v4, v5, v4, 0x7fff
                                        ; implicit-def: $vgpr5
; %bb.3309:                             ;   in Loop: Header=BB415_1576 Depth=1
	s_and_not1_saveexec_b32 s13, s1
; %bb.3310:                             ;   in Loop: Header=BB415_1576 Depth=1
	v_and_b32_e32 v4, 0xffff, v5
	v_or_b32_e32 v6, 0x10000, v5
	s_delay_alu instid0(VALU_DEP_2) | instskip(NEXT) | instid1(VALU_DEP_1)
	v_cmp_eq_u32_e64 s1, 0, v4
	v_cndmask_b32_e64 v4, v6, v5, s1
; %bb.3311:                             ;   in Loop: Header=BB415_1576 Depth=1
	s_or_b32 exec_lo, exec_lo, s13
	v_lshrrev_b16 v6, 8, v2
	v_mov_b32_e32 v5, 0
	s_mov_b32 s13, exec_lo
	s_delay_alu instid0(VALU_DEP_2)
	v_cmpx_ne_u16_e32 0, v6
	s_cbranch_execz .LBB415_3319
; %bb.3312:                             ;   in Loop: Header=BB415_1576 Depth=1
	v_bfrev_b32_e32 v5, 1
	s_mov_b32 s15, exec_lo
	v_cmpx_ne_u16_e32 0x80, v6
	s_cbranch_execz .LBB415_3318
; %bb.3313:                             ;   in Loop: Header=BB415_1576 Depth=1
	v_and_b32_e32 v7, 0xffff, v6
	v_mov_b32_e32 v5, 0x7f800001
	s_mov_b32 s16, exec_lo
	s_delay_alu instid0(VALU_DEP_2) | instskip(NEXT) | instid1(VALU_DEP_1)
	v_and_b32_e32 v6, 0x7f, v7
	v_cmpx_ne_u32_e32 0x7f, v6
	s_cbranch_execz .LBB415_3317
; %bb.3314:                             ;   in Loop: Header=BB415_1576 Depth=1
	v_and_b32_e32 v9, 7, v7
	v_lshrrev_b32_e32 v5, 3, v6
	v_cmp_gt_u32_e64 s1, 8, v6
	s_delay_alu instid0(VALU_DEP_3) | instskip(NEXT) | instid1(VALU_DEP_2)
	v_dual_mov_b32 v6, v9 :: v_dual_mov_b32 v7, v10
	s_and_saveexec_b32 s17, s1
; %bb.3315:                             ;   in Loop: Header=BB415_1576 Depth=1
	v_clz_i32_u32_e32 v5, v9
	s_delay_alu instid0(VALU_DEP_1) | instskip(NEXT) | instid1(VALU_DEP_1)
	v_min_u32_e32 v5, 32, v5
	v_subrev_nc_u32_e32 v6, 28, v5
	v_sub_nc_u32_e32 v5, 29, v5
	s_delay_alu instid0(VALU_DEP_2) | instskip(NEXT) | instid1(VALU_DEP_1)
	v_lshlrev_b64 v[6:7], v6, v[9:10]
	v_and_b32_e32 v6, 7, v6
; %bb.3316:                             ;   in Loop: Header=BB415_1576 Depth=1
	s_or_b32 exec_lo, exec_lo, s17
	v_lshlrev_b32_e32 v7, 16, v2
	s_delay_alu instid0(VALU_DEP_2) | instskip(SKIP_1) | instid1(VALU_DEP_3)
	v_lshlrev_b32_e32 v6, 20, v6
	v_lshl_add_u32 v5, v5, 23, 0x3c000000
	v_and_b32_e32 v7, 0x80000000, v7
	s_delay_alu instid0(VALU_DEP_1)
	v_or3_b32 v5, v6, v7, v5
.LBB415_3317:                           ;   in Loop: Header=BB415_1576 Depth=1
	s_or_b32 exec_lo, exec_lo, s16
.LBB415_3318:                           ;   in Loop: Header=BB415_1576 Depth=1
	s_delay_alu instid0(SALU_CYCLE_1)
	s_or_b32 exec_lo, exec_lo, s15
.LBB415_3319:                           ;   in Loop: Header=BB415_1576 Depth=1
	s_delay_alu instid0(SALU_CYCLE_1) | instskip(NEXT) | instid1(VALU_DEP_1)
	s_or_b32 exec_lo, exec_lo, s13
	v_mul_f32_e32 v6, v8, v5
	s_delay_alu instid0(VALU_DEP_1) | instskip(NEXT) | instid1(VALU_DEP_1)
	v_and_b32_e32 v5, 0x7f800000, v6
	v_cmp_ne_u32_e64 s1, 0x7f800000, v5
                                        ; implicit-def: $vgpr5
	s_delay_alu instid0(VALU_DEP_1) | instskip(NEXT) | instid1(SALU_CYCLE_1)
	s_and_saveexec_b32 s13, s1
	s_xor_b32 s1, exec_lo, s13
; %bb.3320:                             ;   in Loop: Header=BB415_1576 Depth=1
	v_bfe_u32 v5, v6, 16, 1
	s_delay_alu instid0(VALU_DEP_1)
	v_add3_u32 v5, v6, v5, 0x7fff
                                        ; implicit-def: $vgpr6
; %bb.3321:                             ;   in Loop: Header=BB415_1576 Depth=1
	s_and_not1_saveexec_b32 s13, s1
; %bb.3322:                             ;   in Loop: Header=BB415_1576 Depth=1
	v_and_b32_e32 v5, 0xffff, v6
	v_or_b32_e32 v7, 0x10000, v6
	s_delay_alu instid0(VALU_DEP_2) | instskip(NEXT) | instid1(VALU_DEP_1)
	v_cmp_eq_u32_e64 s1, 0, v5
	v_cndmask_b32_e64 v5, v7, v6, s1
; %bb.3323:                             ;   in Loop: Header=BB415_1576 Depth=1
	s_or_b32 exec_lo, exec_lo, s13
	v_lshrrev_b32_e32 v21, 16, v2
	s_mov_b32 s13, exec_lo
	s_delay_alu instid0(VALU_DEP_1) | instskip(NEXT) | instid1(VALU_DEP_1)
	v_dual_mov_b32 v6, 0 :: v_dual_and_b32 v7, 0xff, v21
	v_cmpx_ne_u16_e32 0, v7
	s_cbranch_execz .LBB415_3331
; %bb.3324:                             ;   in Loop: Header=BB415_1576 Depth=1
	v_bfrev_b32_e32 v6, 1
	s_mov_b32 s15, exec_lo
	v_cmpx_ne_u16_e32 0x80, v7
	s_cbranch_execz .LBB415_3330
; %bb.3325:                             ;   in Loop: Header=BB415_1576 Depth=1
	v_bfe_u32 v7, v2, 16, 7
	v_mov_b32_e32 v6, 0x7f800001
	s_mov_b32 s16, exec_lo
	s_delay_alu instid0(VALU_DEP_2)
	v_cmpx_ne_u32_e32 0x7f, v7
	s_cbranch_execz .LBB415_3329
; %bb.3326:                             ;   in Loop: Header=BB415_1576 Depth=1
	v_and_b32_e32 v9, 7, v21
	v_lshrrev_b32_e32 v39, 3, v7
	v_cmp_gt_u32_e64 s1, 8, v7
	s_delay_alu instid0(VALU_DEP_3) | instskip(NEXT) | instid1(VALU_DEP_2)
	v_dual_mov_b32 v6, v9 :: v_dual_mov_b32 v7, v10
	s_and_saveexec_b32 s17, s1
; %bb.3327:                             ;   in Loop: Header=BB415_1576 Depth=1
	v_clz_i32_u32_e32 v6, v9
	s_delay_alu instid0(VALU_DEP_1) | instskip(NEXT) | instid1(VALU_DEP_1)
	v_min_u32_e32 v20, 32, v6
	v_subrev_nc_u32_e32 v6, 28, v20
	v_sub_nc_u32_e32 v39, 29, v20
	s_delay_alu instid0(VALU_DEP_2) | instskip(NEXT) | instid1(VALU_DEP_1)
	v_lshlrev_b64 v[6:7], v6, v[9:10]
	v_and_b32_e32 v6, 7, v6
; %bb.3328:                             ;   in Loop: Header=BB415_1576 Depth=1
	s_or_b32 exec_lo, exec_lo, s17
	v_lshlrev_b32_e32 v7, 24, v21
	s_delay_alu instid0(VALU_DEP_2) | instskip(SKIP_1) | instid1(VALU_DEP_3)
	v_lshlrev_b32_e32 v6, 20, v6
	v_lshl_add_u32 v9, v39, 23, 0x3c000000
	v_and_b32_e32 v7, 0x80000000, v7
	s_delay_alu instid0(VALU_DEP_1)
	v_or3_b32 v6, v6, v7, v9
.LBB415_3329:                           ;   in Loop: Header=BB415_1576 Depth=1
	s_or_b32 exec_lo, exec_lo, s16
.LBB415_3330:                           ;   in Loop: Header=BB415_1576 Depth=1
	s_delay_alu instid0(SALU_CYCLE_1)
	s_or_b32 exec_lo, exec_lo, s15
.LBB415_3331:                           ;   in Loop: Header=BB415_1576 Depth=1
	s_delay_alu instid0(SALU_CYCLE_1) | instskip(NEXT) | instid1(VALU_DEP_1)
	s_or_b32 exec_lo, exec_lo, s13
	v_mul_f32_e32 v6, v8, v6
                                        ; implicit-def: $vgpr21
	s_delay_alu instid0(VALU_DEP_1) | instskip(NEXT) | instid1(VALU_DEP_1)
	v_and_b32_e32 v7, 0x7f800000, v6
	v_cmp_ne_u32_e64 s1, 0x7f800000, v7
	s_delay_alu instid0(VALU_DEP_1) | instskip(NEXT) | instid1(SALU_CYCLE_1)
	s_and_saveexec_b32 s13, s1
	s_xor_b32 s1, exec_lo, s13
; %bb.3332:                             ;   in Loop: Header=BB415_1576 Depth=1
	v_bfe_u32 v7, v6, 16, 1
	s_delay_alu instid0(VALU_DEP_1)
	v_add3_u32 v21, v6, v7, 0x7fff
                                        ; implicit-def: $vgpr6
; %bb.3333:                             ;   in Loop: Header=BB415_1576 Depth=1
	s_and_not1_saveexec_b32 s13, s1
; %bb.3334:                             ;   in Loop: Header=BB415_1576 Depth=1
	v_and_b32_e32 v7, 0xffff, v6
	v_or_b32_e32 v9, 0x10000, v6
	s_delay_alu instid0(VALU_DEP_2) | instskip(NEXT) | instid1(VALU_DEP_1)
	v_cmp_eq_u32_e64 s1, 0, v7
	v_cndmask_b32_e64 v21, v9, v6, s1
; %bb.3335:                             ;   in Loop: Header=BB415_1576 Depth=1
	s_or_b32 exec_lo, exec_lo, s13
	v_mov_b32_e32 v6, 0
	s_mov_b32 s13, exec_lo
	v_cmpx_lt_u32_e32 0xffffff, v2
	s_cbranch_execz .LBB415_3343
; %bb.3336:                             ;   in Loop: Header=BB415_1576 Depth=1
	v_lshrrev_b32_e32 v39, 24, v2
	v_bfrev_b32_e32 v6, 1
	s_mov_b32 s15, exec_lo
	s_delay_alu instid0(VALU_DEP_2)
	v_cmpx_ne_u32_e32 0x80, v39
	s_cbranch_execz .LBB415_3342
; %bb.3337:                             ;   in Loop: Header=BB415_1576 Depth=1
	v_bfe_u32 v7, v2, 24, 7
	v_mov_b32_e32 v6, 0x7f800001
	s_mov_b32 s16, exec_lo
	s_delay_alu instid0(VALU_DEP_2)
	v_cmpx_ne_u32_e32 0x7f, v7
	s_cbranch_execz .LBB415_3341
; %bb.3338:                             ;   in Loop: Header=BB415_1576 Depth=1
	v_and_b32_e32 v9, 7, v39
	v_lshrrev_b32_e32 v84, 3, v7
	v_cmp_gt_u32_e64 s1, 8, v7
	s_delay_alu instid0(VALU_DEP_3) | instskip(NEXT) | instid1(VALU_DEP_2)
	v_dual_mov_b32 v6, v9 :: v_dual_mov_b32 v7, v10
	s_and_saveexec_b32 s17, s1
; %bb.3339:                             ;   in Loop: Header=BB415_1576 Depth=1
	v_clz_i32_u32_e32 v6, v9
	s_delay_alu instid0(VALU_DEP_1) | instskip(NEXT) | instid1(VALU_DEP_1)
	v_min_u32_e32 v20, 32, v6
	v_subrev_nc_u32_e32 v6, 28, v20
	v_sub_nc_u32_e32 v84, 29, v20
	s_delay_alu instid0(VALU_DEP_2) | instskip(NEXT) | instid1(VALU_DEP_1)
	v_lshlrev_b64 v[6:7], v6, v[9:10]
	v_and_b32_e32 v6, 7, v6
; %bb.3340:                             ;   in Loop: Header=BB415_1576 Depth=1
	s_or_b32 exec_lo, exec_lo, s17
	v_lshlrev_b32_e32 v7, 24, v39
	s_delay_alu instid0(VALU_DEP_2) | instskip(SKIP_1) | instid1(VALU_DEP_3)
	v_lshlrev_b32_e32 v6, 20, v6
	v_lshl_add_u32 v9, v84, 23, 0x3c000000
	v_and_b32_e32 v7, 0x80000000, v7
	s_delay_alu instid0(VALU_DEP_1)
	v_or3_b32 v6, v6, v7, v9
.LBB415_3341:                           ;   in Loop: Header=BB415_1576 Depth=1
	s_or_b32 exec_lo, exec_lo, s16
.LBB415_3342:                           ;   in Loop: Header=BB415_1576 Depth=1
	s_delay_alu instid0(SALU_CYCLE_1)
	s_or_b32 exec_lo, exec_lo, s15
.LBB415_3343:                           ;   in Loop: Header=BB415_1576 Depth=1
	s_delay_alu instid0(SALU_CYCLE_1) | instskip(NEXT) | instid1(VALU_DEP_1)
	s_or_b32 exec_lo, exec_lo, s13
	v_mul_f32_e32 v6, v8, v6
                                        ; implicit-def: $vgpr39
	s_delay_alu instid0(VALU_DEP_1) | instskip(NEXT) | instid1(VALU_DEP_1)
	v_and_b32_e32 v7, 0x7f800000, v6
	v_cmp_ne_u32_e64 s1, 0x7f800000, v7
	s_delay_alu instid0(VALU_DEP_1) | instskip(NEXT) | instid1(SALU_CYCLE_1)
	s_and_saveexec_b32 s13, s1
	s_xor_b32 s1, exec_lo, s13
; %bb.3344:                             ;   in Loop: Header=BB415_1576 Depth=1
	v_bfe_u32 v7, v6, 16, 1
	s_delay_alu instid0(VALU_DEP_1)
	v_add3_u32 v39, v6, v7, 0x7fff
                                        ; implicit-def: $vgpr6
; %bb.3345:                             ;   in Loop: Header=BB415_1576 Depth=1
	s_and_not1_saveexec_b32 s13, s1
; %bb.3346:                             ;   in Loop: Header=BB415_1576 Depth=1
	v_and_b32_e32 v7, 0xffff, v6
	v_or_b32_e32 v9, 0x10000, v6
	s_delay_alu instid0(VALU_DEP_2) | instskip(NEXT) | instid1(VALU_DEP_1)
	v_cmp_eq_u32_e64 s1, 0, v7
	v_cndmask_b32_e64 v39, v9, v6, s1
; %bb.3347:                             ;   in Loop: Header=BB415_1576 Depth=1
	s_or_b32 exec_lo, exec_lo, s13
	v_dual_mov_b32 v6, 0 :: v_dual_and_b32 v7, 0xff, v3
	v_mov_b32_e32 v9, v3
	s_mov_b32 s13, exec_lo
	s_delay_alu instid0(VALU_DEP_2)
	v_cmpx_ne_u16_e32 0, v7
	s_cbranch_execz .LBB415_3355
; %bb.3348:                             ;   in Loop: Header=BB415_1576 Depth=1
	v_bfrev_b32_e32 v6, 1
	s_mov_b32 s15, exec_lo
	v_cmpx_ne_u16_e32 0x80, v7
	s_cbranch_execz .LBB415_3354
; %bb.3349:                             ;   in Loop: Header=BB415_1576 Depth=1
	v_and_b32_e32 v7, 0x7f, v3
	v_mov_b32_e32 v6, 0x7f800001
	s_mov_b32 s16, exec_lo
	s_delay_alu instid0(VALU_DEP_2)
	v_cmpx_ne_u32_e32 0x7f, v7
	s_cbranch_execz .LBB415_3353
; %bb.3350:                             ;   in Loop: Header=BB415_1576 Depth=1
	v_lshrrev_b32_e32 v84, 3, v7
	v_cmp_gt_u32_e64 s1, 8, v7
	v_dual_mov_b32 v6, v9 :: v_dual_mov_b32 v7, v10
	s_delay_alu instid0(VALU_DEP_2)
	s_and_saveexec_b32 s17, s1
; %bb.3351:                             ;   in Loop: Header=BB415_1576 Depth=1
	v_and_b32_e32 v6, 7, v3
	s_delay_alu instid0(VALU_DEP_1) | instskip(NEXT) | instid1(VALU_DEP_1)
	v_clz_i32_u32_e32 v6, v6
	v_min_u32_e32 v20, 32, v6
	s_delay_alu instid0(VALU_DEP_1) | instskip(SKIP_1) | instid1(VALU_DEP_2)
	v_subrev_nc_u32_e32 v6, 28, v20
	v_sub_nc_u32_e32 v84, 29, v20
	v_lshlrev_b64 v[6:7], v6, v[9:10]
; %bb.3352:                             ;   in Loop: Header=BB415_1576 Depth=1
	s_or_b32 exec_lo, exec_lo, s17
	s_delay_alu instid0(VALU_DEP_1) | instskip(SKIP_2) | instid1(VALU_DEP_3)
	v_lshlrev_b32_e32 v6, 20, v6
	v_lshlrev_b32_e32 v7, 24, v9
	v_lshl_add_u32 v20, v84, 23, 0x3c000000
	v_and_b32_e32 v6, 0x700000, v6
	s_delay_alu instid0(VALU_DEP_3) | instskip(NEXT) | instid1(VALU_DEP_1)
	v_and_b32_e32 v7, 0x80000000, v7
	v_or3_b32 v6, v6, v7, v20
.LBB415_3353:                           ;   in Loop: Header=BB415_1576 Depth=1
	s_or_b32 exec_lo, exec_lo, s16
.LBB415_3354:                           ;   in Loop: Header=BB415_1576 Depth=1
	s_delay_alu instid0(SALU_CYCLE_1)
	s_or_b32 exec_lo, exec_lo, s15
.LBB415_3355:                           ;   in Loop: Header=BB415_1576 Depth=1
	s_delay_alu instid0(SALU_CYCLE_1) | instskip(NEXT) | instid1(VALU_DEP_1)
	s_or_b32 exec_lo, exec_lo, s13
	v_mul_f32_e32 v6, v8, v6
                                        ; implicit-def: $vgpr84
	s_delay_alu instid0(VALU_DEP_1) | instskip(NEXT) | instid1(VALU_DEP_1)
	v_and_b32_e32 v7, 0x7f800000, v6
	v_cmp_ne_u32_e64 s1, 0x7f800000, v7
	s_delay_alu instid0(VALU_DEP_1) | instskip(NEXT) | instid1(SALU_CYCLE_1)
	s_and_saveexec_b32 s13, s1
	s_xor_b32 s1, exec_lo, s13
; %bb.3356:                             ;   in Loop: Header=BB415_1576 Depth=1
	v_bfe_u32 v7, v6, 16, 1
	s_delay_alu instid0(VALU_DEP_1)
	v_add3_u32 v84, v6, v7, 0x7fff
                                        ; implicit-def: $vgpr6
; %bb.3357:                             ;   in Loop: Header=BB415_1576 Depth=1
	s_and_not1_saveexec_b32 s13, s1
; %bb.3358:                             ;   in Loop: Header=BB415_1576 Depth=1
	v_and_b32_e32 v7, 0xffff, v6
	v_or_b32_e32 v20, 0x10000, v6
	s_delay_alu instid0(VALU_DEP_2) | instskip(NEXT) | instid1(VALU_DEP_1)
	v_cmp_eq_u32_e64 s1, 0, v7
	v_cndmask_b32_e64 v84, v20, v6, s1
; %bb.3359:                             ;   in Loop: Header=BB415_1576 Depth=1
	s_or_b32 exec_lo, exec_lo, s13
	v_lshrrev_b16 v7, 8, v9
	v_mov_b32_e32 v6, 0
	s_mov_b32 s13, exec_lo
	s_delay_alu instid0(VALU_DEP_2)
	v_cmpx_ne_u16_e32 0, v7
	s_cbranch_execz .LBB415_3367
; %bb.3360:                             ;   in Loop: Header=BB415_1576 Depth=1
	v_bfrev_b32_e32 v6, 1
	s_mov_b32 s15, exec_lo
	v_cmpx_ne_u16_e32 0x80, v7
	s_cbranch_execz .LBB415_3366
; %bb.3361:                             ;   in Loop: Header=BB415_1576 Depth=1
	v_and_b32_e32 v7, 0xffff, v7
	v_mov_b32_e32 v6, 0x7f800001
	s_mov_b32 s16, exec_lo
	s_delay_alu instid0(VALU_DEP_2) | instskip(NEXT) | instid1(VALU_DEP_1)
	v_and_b32_e32 v158, 0x7f, v7
	v_cmpx_ne_u32_e32 0x7f, v158
	s_cbranch_execz .LBB415_3365
; %bb.3362:                             ;   in Loop: Header=BB415_1576 Depth=1
	v_dual_mov_b32 v7, v10 :: v_dual_and_b32 v6, 7, v7
	v_lshrrev_b32_e32 v85, 3, v158
	s_mov_b32 s17, exec_lo
	v_cmpx_gt_u32_e32 8, v158
; %bb.3363:                             ;   in Loop: Header=BB415_1576 Depth=1
	s_delay_alu instid0(VALU_DEP_3) | instskip(NEXT) | instid1(VALU_DEP_1)
	v_clz_i32_u32_e32 v20, v6
	v_min_u32_e32 v20, 32, v20
	s_delay_alu instid0(VALU_DEP_1) | instskip(SKIP_1) | instid1(VALU_DEP_2)
	v_subrev_nc_u32_e32 v22, 28, v20
	v_sub_nc_u32_e32 v85, 29, v20
	v_lshlrev_b64 v[6:7], v22, v[6:7]
	s_delay_alu instid0(VALU_DEP_1)
	v_and_b32_e32 v6, 7, v6
; %bb.3364:                             ;   in Loop: Header=BB415_1576 Depth=1
	s_or_b32 exec_lo, exec_lo, s17
	v_lshlrev_b32_e32 v7, 16, v9
	s_delay_alu instid0(VALU_DEP_2) | instskip(SKIP_1) | instid1(VALU_DEP_3)
	v_lshlrev_b32_e32 v6, 20, v6
	v_lshl_add_u32 v9, v85, 23, 0x3c000000
	v_and_b32_e32 v7, 0x80000000, v7
	s_delay_alu instid0(VALU_DEP_1)
	v_or3_b32 v6, v6, v7, v9
.LBB415_3365:                           ;   in Loop: Header=BB415_1576 Depth=1
	s_or_b32 exec_lo, exec_lo, s16
.LBB415_3366:                           ;   in Loop: Header=BB415_1576 Depth=1
	s_delay_alu instid0(SALU_CYCLE_1)
	s_or_b32 exec_lo, exec_lo, s15
.LBB415_3367:                           ;   in Loop: Header=BB415_1576 Depth=1
	s_delay_alu instid0(SALU_CYCLE_1) | instskip(NEXT) | instid1(VALU_DEP_1)
	s_or_b32 exec_lo, exec_lo, s13
	v_mul_f32_e32 v6, v8, v6
                                        ; implicit-def: $vgpr85
	s_delay_alu instid0(VALU_DEP_1) | instskip(NEXT) | instid1(VALU_DEP_1)
	v_and_b32_e32 v7, 0x7f800000, v6
	v_cmp_ne_u32_e64 s1, 0x7f800000, v7
	s_delay_alu instid0(VALU_DEP_1) | instskip(NEXT) | instid1(SALU_CYCLE_1)
	s_and_saveexec_b32 s13, s1
	s_xor_b32 s1, exec_lo, s13
; %bb.3368:                             ;   in Loop: Header=BB415_1576 Depth=1
	v_bfe_u32 v7, v6, 16, 1
	s_delay_alu instid0(VALU_DEP_1)
	v_add3_u32 v85, v6, v7, 0x7fff
                                        ; implicit-def: $vgpr6
; %bb.3369:                             ;   in Loop: Header=BB415_1576 Depth=1
	s_and_not1_saveexec_b32 s13, s1
; %bb.3370:                             ;   in Loop: Header=BB415_1576 Depth=1
	v_and_b32_e32 v7, 0xffff, v6
	v_or_b32_e32 v9, 0x10000, v6
	s_delay_alu instid0(VALU_DEP_2) | instskip(NEXT) | instid1(VALU_DEP_1)
	v_cmp_eq_u32_e64 s1, 0, v7
	v_cndmask_b32_e64 v85, v9, v6, s1
; %bb.3371:                             ;   in Loop: Header=BB415_1576 Depth=1
	s_or_b32 exec_lo, exec_lo, s13
	v_lshrrev_b32_e32 v158, 16, v3
	s_mov_b32 s13, exec_lo
	s_delay_alu instid0(VALU_DEP_1) | instskip(NEXT) | instid1(VALU_DEP_1)
	v_dual_mov_b32 v6, 0 :: v_dual_and_b32 v7, 0xff, v158
	v_cmpx_ne_u16_e32 0, v7
	s_cbranch_execz .LBB415_3379
; %bb.3372:                             ;   in Loop: Header=BB415_1576 Depth=1
	v_bfrev_b32_e32 v6, 1
	s_mov_b32 s15, exec_lo
	v_cmpx_ne_u16_e32 0x80, v7
	s_cbranch_execz .LBB415_3378
; %bb.3373:                             ;   in Loop: Header=BB415_1576 Depth=1
	v_bfe_u32 v7, v3, 16, 7
	v_mov_b32_e32 v6, 0x7f800001
	s_mov_b32 s16, exec_lo
	s_delay_alu instid0(VALU_DEP_2)
	v_cmpx_ne_u32_e32 0x7f, v7
	s_cbranch_execz .LBB415_3377
; %bb.3374:                             ;   in Loop: Header=BB415_1576 Depth=1
	v_and_b32_e32 v9, 7, v158
	v_lshrrev_b32_e32 v159, 3, v7
	v_cmp_gt_u32_e64 s1, 8, v7
	s_delay_alu instid0(VALU_DEP_3) | instskip(NEXT) | instid1(VALU_DEP_2)
	v_dual_mov_b32 v6, v9 :: v_dual_mov_b32 v7, v10
	s_and_saveexec_b32 s17, s1
; %bb.3375:                             ;   in Loop: Header=BB415_1576 Depth=1
	v_clz_i32_u32_e32 v6, v9
	s_delay_alu instid0(VALU_DEP_1) | instskip(NEXT) | instid1(VALU_DEP_1)
	v_min_u32_e32 v20, 32, v6
	v_subrev_nc_u32_e32 v6, 28, v20
	v_sub_nc_u32_e32 v159, 29, v20
	s_delay_alu instid0(VALU_DEP_2) | instskip(NEXT) | instid1(VALU_DEP_1)
	v_lshlrev_b64 v[6:7], v6, v[9:10]
	v_and_b32_e32 v6, 7, v6
; %bb.3376:                             ;   in Loop: Header=BB415_1576 Depth=1
	s_or_b32 exec_lo, exec_lo, s17
	v_lshlrev_b32_e32 v7, 24, v158
	s_delay_alu instid0(VALU_DEP_2) | instskip(SKIP_1) | instid1(VALU_DEP_3)
	v_lshlrev_b32_e32 v6, 20, v6
	v_lshl_add_u32 v9, v159, 23, 0x3c000000
	v_and_b32_e32 v7, 0x80000000, v7
	s_delay_alu instid0(VALU_DEP_1)
	v_or3_b32 v6, v6, v7, v9
.LBB415_3377:                           ;   in Loop: Header=BB415_1576 Depth=1
	s_or_b32 exec_lo, exec_lo, s16
.LBB415_3378:                           ;   in Loop: Header=BB415_1576 Depth=1
	s_delay_alu instid0(SALU_CYCLE_1)
	s_or_b32 exec_lo, exec_lo, s15
.LBB415_3379:                           ;   in Loop: Header=BB415_1576 Depth=1
	s_delay_alu instid0(SALU_CYCLE_1) | instskip(NEXT) | instid1(VALU_DEP_1)
	s_or_b32 exec_lo, exec_lo, s13
	v_mul_f32_e32 v6, v8, v6
                                        ; implicit-def: $vgpr158
	s_delay_alu instid0(VALU_DEP_1) | instskip(NEXT) | instid1(VALU_DEP_1)
	v_and_b32_e32 v7, 0x7f800000, v6
	v_cmp_ne_u32_e64 s1, 0x7f800000, v7
	s_delay_alu instid0(VALU_DEP_1) | instskip(NEXT) | instid1(SALU_CYCLE_1)
	s_and_saveexec_b32 s13, s1
	s_xor_b32 s1, exec_lo, s13
; %bb.3380:                             ;   in Loop: Header=BB415_1576 Depth=1
	v_bfe_u32 v7, v6, 16, 1
	s_delay_alu instid0(VALU_DEP_1)
	v_add3_u32 v158, v6, v7, 0x7fff
                                        ; implicit-def: $vgpr6
; %bb.3381:                             ;   in Loop: Header=BB415_1576 Depth=1
	s_and_not1_saveexec_b32 s13, s1
; %bb.3382:                             ;   in Loop: Header=BB415_1576 Depth=1
	v_and_b32_e32 v7, 0xffff, v6
	v_or_b32_e32 v9, 0x10000, v6
	s_delay_alu instid0(VALU_DEP_2) | instskip(NEXT) | instid1(VALU_DEP_1)
	v_cmp_eq_u32_e64 s1, 0, v7
	v_cndmask_b32_e64 v158, v9, v6, s1
; %bb.3383:                             ;   in Loop: Header=BB415_1576 Depth=1
	s_or_b32 exec_lo, exec_lo, s13
	v_cmp_lt_u64_e64 s1, s[4:5], v[2:3]
	v_mov_b32_e32 v2, 0
	s_delay_alu instid0(VALU_DEP_2)
	s_and_saveexec_b32 s13, s1
	s_cbranch_execz .LBB415_3391
; %bb.3384:                             ;   in Loop: Header=BB415_1576 Depth=1
	v_lshrrev_b32_e32 v6, 24, v3
	v_bfrev_b32_e32 v2, 1
	s_mov_b32 s15, exec_lo
	s_delay_alu instid0(VALU_DEP_2)
	v_cmpx_ne_u32_e32 0x80, v6
	s_cbranch_execz .LBB415_3390
; %bb.3385:                             ;   in Loop: Header=BB415_1576 Depth=1
	v_bfe_u32 v3, v3, 24, 7
	v_mov_b32_e32 v2, 0x7f800001
	s_mov_b32 s16, exec_lo
	s_delay_alu instid0(VALU_DEP_2)
	v_cmpx_ne_u32_e32 0x7f, v3
	s_cbranch_execz .LBB415_3389
; %bb.3386:                             ;   in Loop: Header=BB415_1576 Depth=1
	v_and_b32_e32 v9, 7, v6
	v_lshrrev_b32_e32 v7, 3, v3
	v_cmp_gt_u32_e64 s1, 8, v3
	s_delay_alu instid0(VALU_DEP_3) | instskip(NEXT) | instid1(VALU_DEP_2)
	v_dual_mov_b32 v2, v9 :: v_dual_mov_b32 v3, v10
	s_and_saveexec_b32 s17, s1
; %bb.3387:                             ;   in Loop: Header=BB415_1576 Depth=1
	v_clz_i32_u32_e32 v2, v9
	s_delay_alu instid0(VALU_DEP_1) | instskip(NEXT) | instid1(VALU_DEP_1)
	v_min_u32_e32 v7, 32, v2
	v_subrev_nc_u32_e32 v2, 28, v7
	v_sub_nc_u32_e32 v7, 29, v7
	s_delay_alu instid0(VALU_DEP_2) | instskip(NEXT) | instid1(VALU_DEP_1)
	v_lshlrev_b64 v[2:3], v2, v[9:10]
	v_and_b32_e32 v2, 7, v2
; %bb.3388:                             ;   in Loop: Header=BB415_1576 Depth=1
	s_or_b32 exec_lo, exec_lo, s17
	v_lshlrev_b32_e32 v3, 24, v6
	s_delay_alu instid0(VALU_DEP_2) | instskip(SKIP_1) | instid1(VALU_DEP_3)
	v_lshlrev_b32_e32 v2, 20, v2
	v_lshl_add_u32 v6, v7, 23, 0x3c000000
	v_and_b32_e32 v3, 0x80000000, v3
	s_delay_alu instid0(VALU_DEP_1)
	v_or3_b32 v2, v2, v3, v6
.LBB415_3389:                           ;   in Loop: Header=BB415_1576 Depth=1
	s_or_b32 exec_lo, exec_lo, s16
.LBB415_3390:                           ;   in Loop: Header=BB415_1576 Depth=1
	s_delay_alu instid0(SALU_CYCLE_1)
	s_or_b32 exec_lo, exec_lo, s15
.LBB415_3391:                           ;   in Loop: Header=BB415_1576 Depth=1
	s_delay_alu instid0(SALU_CYCLE_1) | instskip(NEXT) | instid1(VALU_DEP_1)
	s_or_b32 exec_lo, exec_lo, s13
	v_mul_f32_e32 v3, v8, v2
	s_delay_alu instid0(VALU_DEP_1) | instskip(NEXT) | instid1(VALU_DEP_1)
	v_and_b32_e32 v2, 0x7f800000, v3
	v_cmp_ne_u32_e64 s1, 0x7f800000, v2
                                        ; implicit-def: $vgpr2
	s_delay_alu instid0(VALU_DEP_1) | instskip(NEXT) | instid1(SALU_CYCLE_1)
	s_and_saveexec_b32 s13, s1
	s_xor_b32 s1, exec_lo, s13
; %bb.3392:                             ;   in Loop: Header=BB415_1576 Depth=1
	v_bfe_u32 v2, v3, 16, 1
	s_delay_alu instid0(VALU_DEP_1)
	v_add3_u32 v2, v3, v2, 0x7fff
                                        ; implicit-def: $vgpr3
; %bb.3393:                             ;   in Loop: Header=BB415_1576 Depth=1
	s_and_not1_saveexec_b32 s13, s1
; %bb.3394:                             ;   in Loop: Header=BB415_1576 Depth=1
	v_and_b32_e32 v2, 0xffff, v3
	v_or_b32_e32 v6, 0x10000, v3
	s_delay_alu instid0(VALU_DEP_2) | instskip(NEXT) | instid1(VALU_DEP_1)
	v_cmp_eq_u32_e64 s1, 0, v2
	v_cndmask_b32_e64 v2, v6, v3, s1
; %bb.3395:                             ;   in Loop: Header=BB415_1576 Depth=1
	s_or_b32 exec_lo, exec_lo, s13
	v_lshrrev_b32_e32 v6, 16, v85
	v_lshrrev_b32_e32 v7, 16, v84
	;; [unrolled: 1-line block ×8, first 2 shown]
	s_and_saveexec_b32 s13, vcc_lo
	s_cbranch_execz .LBB415_3397
; %bb.3396:                             ;   in Loop: Header=BB415_1576 Depth=1
	v_cmp_lt_i32_e64 s1, v70, v86
	s_delay_alu instid0(VALU_DEP_1) | instskip(SKIP_1) | instid1(VALU_DEP_1)
	v_cndmask_b32_e64 v4, 0, v4, s1
	v_cmp_lt_i32_e64 s1, v101, v86
	v_cndmask_b32_e64 v5, 0, v5, s1
	v_cmp_lt_i32_e64 s1, v100, v86
	s_delay_alu instid0(VALU_DEP_1) | instskip(SKIP_1) | instid1(VALU_DEP_1)
	v_cndmask_b32_e64 v21, 0, v21, s1
	v_cmp_lt_i32_e64 s1, v83, v86
	v_cndmask_b32_e64 v9, 0, v9, s1
	;; [unrolled: 5-line block ×4, first 2 shown]
.LBB415_3397:                           ;   in Loop: Header=BB415_1576 Depth=1
	s_or_b32 exec_lo, exec_lo, s13
	v_lshlrev_b32_e32 v4, 16, v4
                                        ; implicit-def: $vgpr158
	s_delay_alu instid0(VALU_DEP_1) | instskip(NEXT) | instid1(VALU_DEP_1)
	v_mul_f32_e32 v4, v102, v4
	v_and_b32_e32 v20, 0x7f800000, v4
	s_delay_alu instid0(VALU_DEP_1) | instskip(NEXT) | instid1(VALU_DEP_1)
	v_cmp_ne_u32_e64 s1, 0x7f800000, v20
	s_and_saveexec_b32 s13, s1
	s_delay_alu instid0(SALU_CYCLE_1)
	s_xor_b32 s1, exec_lo, s13
; %bb.3398:                             ;   in Loop: Header=BB415_1576 Depth=1
	v_bfe_u32 v20, v4, 16, 1
	s_delay_alu instid0(VALU_DEP_1)
	v_add3_u32 v158, v4, v20, 0x7fff
                                        ; implicit-def: $vgpr4
; %bb.3399:                             ;   in Loop: Header=BB415_1576 Depth=1
	s_and_not1_saveexec_b32 s13, s1
; %bb.3400:                             ;   in Loop: Header=BB415_1576 Depth=1
	v_and_b32_e32 v20, 0xffff, v4
	v_or_b32_e32 v22, 0x10000, v4
	s_delay_alu instid0(VALU_DEP_2) | instskip(NEXT) | instid1(VALU_DEP_1)
	v_cmp_eq_u32_e64 s1, 0, v20
	v_cndmask_b32_e64 v158, v22, v4, s1
; %bb.3401:                             ;   in Loop: Header=BB415_1576 Depth=1
	s_or_b32 exec_lo, exec_lo, s13
	v_lshlrev_b32_e32 v4, 16, v5
                                        ; implicit-def: $vgpr39
	s_delay_alu instid0(VALU_DEP_1) | instskip(NEXT) | instid1(VALU_DEP_1)
	v_mul_f32_e32 v4, v103, v4
	v_and_b32_e32 v5, 0x7f800000, v4
	s_delay_alu instid0(VALU_DEP_1) | instskip(NEXT) | instid1(VALU_DEP_1)
	v_cmp_ne_u32_e64 s1, 0x7f800000, v5
	s_and_saveexec_b32 s13, s1
	s_delay_alu instid0(SALU_CYCLE_1)
	s_xor_b32 s1, exec_lo, s13
; %bb.3402:                             ;   in Loop: Header=BB415_1576 Depth=1
	v_bfe_u32 v5, v4, 16, 1
	s_delay_alu instid0(VALU_DEP_1)
	v_add3_u32 v39, v4, v5, 0x7fff
                                        ; implicit-def: $vgpr4
; %bb.3403:                             ;   in Loop: Header=BB415_1576 Depth=1
	s_and_not1_saveexec_b32 s13, s1
; %bb.3404:                             ;   in Loop: Header=BB415_1576 Depth=1
	v_and_b32_e32 v5, 0xffff, v4
	v_or_b32_e32 v20, 0x10000, v4
	s_delay_alu instid0(VALU_DEP_2) | instskip(NEXT) | instid1(VALU_DEP_1)
	v_cmp_eq_u32_e64 s1, 0, v5
	v_cndmask_b32_e64 v39, v20, v4, s1
; %bb.3405:                             ;   in Loop: Header=BB415_1576 Depth=1
	s_or_b32 exec_lo, exec_lo, s13
	v_lshlrev_b32_e32 v4, 16, v21
                                        ; implicit-def: $vgpr159
	s_delay_alu instid0(VALU_DEP_1) | instskip(NEXT) | instid1(VALU_DEP_1)
	v_mul_f32_e32 v4, v112, v4
	v_and_b32_e32 v5, 0x7f800000, v4
	s_delay_alu instid0(VALU_DEP_1) | instskip(NEXT) | instid1(VALU_DEP_1)
	v_cmp_ne_u32_e64 s1, 0x7f800000, v5
	s_and_saveexec_b32 s13, s1
	s_delay_alu instid0(SALU_CYCLE_1)
	s_xor_b32 s1, exec_lo, s13
; %bb.3406:                             ;   in Loop: Header=BB415_1576 Depth=1
	v_bfe_u32 v5, v4, 16, 1
	s_delay_alu instid0(VALU_DEP_1)
	v_add3_u32 v159, v4, v5, 0x7fff
                                        ; implicit-def: $vgpr4
; %bb.3407:                             ;   in Loop: Header=BB415_1576 Depth=1
	s_and_not1_saveexec_b32 s13, s1
; %bb.3408:                             ;   in Loop: Header=BB415_1576 Depth=1
	v_and_b32_e32 v5, 0xffff, v4
	v_or_b32_e32 v20, 0x10000, v4
	s_delay_alu instid0(VALU_DEP_2) | instskip(NEXT) | instid1(VALU_DEP_1)
	v_cmp_eq_u32_e64 s1, 0, v5
	v_cndmask_b32_e64 v159, v20, v4, s1
; %bb.3409:                             ;   in Loop: Header=BB415_1576 Depth=1
	s_or_b32 exec_lo, exec_lo, s13
	v_lshlrev_b32_e32 v4, 16, v9
                                        ; implicit-def: $vgpr168
	s_delay_alu instid0(VALU_DEP_1) | instskip(NEXT) | instid1(VALU_DEP_1)
	v_mul_f32_e32 v4, v113, v4
	v_and_b32_e32 v5, 0x7f800000, v4
	s_delay_alu instid0(VALU_DEP_1) | instskip(NEXT) | instid1(VALU_DEP_1)
	v_cmp_ne_u32_e64 s1, 0x7f800000, v5
	s_and_saveexec_b32 s13, s1
	s_delay_alu instid0(SALU_CYCLE_1)
	s_xor_b32 s1, exec_lo, s13
; %bb.3410:                             ;   in Loop: Header=BB415_1576 Depth=1
	v_bfe_u32 v5, v4, 16, 1
	s_delay_alu instid0(VALU_DEP_1)
	v_add3_u32 v168, v4, v5, 0x7fff
                                        ; implicit-def: $vgpr4
; %bb.3411:                             ;   in Loop: Header=BB415_1576 Depth=1
	s_and_not1_saveexec_b32 s13, s1
; %bb.3412:                             ;   in Loop: Header=BB415_1576 Depth=1
	v_and_b32_e32 v5, 0xffff, v4
	v_or_b32_e32 v9, 0x10000, v4
	s_delay_alu instid0(VALU_DEP_2) | instskip(NEXT) | instid1(VALU_DEP_1)
	v_cmp_eq_u32_e64 s1, 0, v5
	v_cndmask_b32_e64 v168, v9, v4, s1
; %bb.3413:                             ;   in Loop: Header=BB415_1576 Depth=1
	s_or_b32 exec_lo, exec_lo, s13
	v_lshlrev_b32_e32 v4, 16, v7
	s_delay_alu instid0(VALU_DEP_1) | instskip(NEXT) | instid1(VALU_DEP_1)
	v_mul_f32_e32 v4, v114, v4
	v_and_b32_e32 v5, 0x7f800000, v4
	s_delay_alu instid0(VALU_DEP_1) | instskip(NEXT) | instid1(VALU_DEP_1)
	v_cmp_ne_u32_e64 s1, 0x7f800000, v5
                                        ; implicit-def: $vgpr5
	s_and_saveexec_b32 s13, s1
	s_delay_alu instid0(SALU_CYCLE_1)
	s_xor_b32 s1, exec_lo, s13
; %bb.3414:                             ;   in Loop: Header=BB415_1576 Depth=1
	v_bfe_u32 v5, v4, 16, 1
	s_delay_alu instid0(VALU_DEP_1)
	v_add3_u32 v5, v4, v5, 0x7fff
                                        ; implicit-def: $vgpr4
; %bb.3415:                             ;   in Loop: Header=BB415_1576 Depth=1
	s_and_not1_saveexec_b32 s13, s1
; %bb.3416:                             ;   in Loop: Header=BB415_1576 Depth=1
	v_and_b32_e32 v5, 0xffff, v4
	v_or_b32_e32 v7, 0x10000, v4
	s_delay_alu instid0(VALU_DEP_2) | instskip(NEXT) | instid1(VALU_DEP_1)
	v_cmp_eq_u32_e64 s1, 0, v5
	v_cndmask_b32_e64 v5, v7, v4, s1
; %bb.3417:                             ;   in Loop: Header=BB415_1576 Depth=1
	s_or_b32 exec_lo, exec_lo, s13
	v_lshlrev_b32_e32 v4, 16, v6
                                        ; implicit-def: $vgpr169
	s_delay_alu instid0(VALU_DEP_1) | instskip(NEXT) | instid1(VALU_DEP_1)
	v_mul_f32_e32 v4, v115, v4
	v_and_b32_e32 v6, 0x7f800000, v4
	s_delay_alu instid0(VALU_DEP_1) | instskip(NEXT) | instid1(VALU_DEP_1)
	v_cmp_ne_u32_e64 s1, 0x7f800000, v6
	s_and_saveexec_b32 s13, s1
	s_delay_alu instid0(SALU_CYCLE_1)
	s_xor_b32 s1, exec_lo, s13
; %bb.3418:                             ;   in Loop: Header=BB415_1576 Depth=1
	v_bfe_u32 v6, v4, 16, 1
	s_delay_alu instid0(VALU_DEP_1)
	v_add3_u32 v169, v4, v6, 0x7fff
                                        ; implicit-def: $vgpr4
; %bb.3419:                             ;   in Loop: Header=BB415_1576 Depth=1
	s_and_not1_saveexec_b32 s13, s1
; %bb.3420:                             ;   in Loop: Header=BB415_1576 Depth=1
	v_and_b32_e32 v6, 0xffff, v4
	v_or_b32_e32 v7, 0x10000, v4
	s_delay_alu instid0(VALU_DEP_2) | instskip(NEXT) | instid1(VALU_DEP_1)
	v_cmp_eq_u32_e64 s1, 0, v6
	v_cndmask_b32_e64 v169, v7, v4, s1
; %bb.3421:                             ;   in Loop: Header=BB415_1576 Depth=1
	s_or_b32 exec_lo, exec_lo, s13
	v_lshlrev_b32_e32 v3, 16, v3
                                        ; implicit-def: $vgpr170
	s_delay_alu instid0(VALU_DEP_1) | instskip(NEXT) | instid1(VALU_DEP_1)
	v_mul_f32_e32 v3, v116, v3
	v_and_b32_e32 v4, 0x7f800000, v3
	s_delay_alu instid0(VALU_DEP_1) | instskip(NEXT) | instid1(VALU_DEP_1)
	v_cmp_ne_u32_e64 s1, 0x7f800000, v4
	s_and_saveexec_b32 s13, s1
	s_delay_alu instid0(SALU_CYCLE_1)
	s_xor_b32 s1, exec_lo, s13
; %bb.3422:                             ;   in Loop: Header=BB415_1576 Depth=1
	v_bfe_u32 v4, v3, 16, 1
	s_delay_alu instid0(VALU_DEP_1)
	v_add3_u32 v170, v3, v4, 0x7fff
                                        ; implicit-def: $vgpr3
; %bb.3423:                             ;   in Loop: Header=BB415_1576 Depth=1
	s_and_not1_saveexec_b32 s13, s1
; %bb.3424:                             ;   in Loop: Header=BB415_1576 Depth=1
	v_and_b32_e32 v4, 0xffff, v3
	v_or_b32_e32 v6, 0x10000, v3
	s_delay_alu instid0(VALU_DEP_2) | instskip(NEXT) | instid1(VALU_DEP_1)
	v_cmp_eq_u32_e64 s1, 0, v4
	v_cndmask_b32_e64 v170, v6, v3, s1
; %bb.3425:                             ;   in Loop: Header=BB415_1576 Depth=1
	s_or_b32 exec_lo, exec_lo, s13
	v_lshlrev_b32_e32 v2, 16, v2
                                        ; implicit-def: $vgpr171
	s_delay_alu instid0(VALU_DEP_1) | instskip(NEXT) | instid1(VALU_DEP_1)
	v_mul_f32_e32 v2, v117, v2
	v_and_b32_e32 v3, 0x7f800000, v2
	s_delay_alu instid0(VALU_DEP_1) | instskip(NEXT) | instid1(VALU_DEP_1)
	v_cmp_ne_u32_e64 s1, 0x7f800000, v3
	s_and_saveexec_b32 s13, s1
	s_delay_alu instid0(SALU_CYCLE_1)
	s_xor_b32 s1, exec_lo, s13
; %bb.3426:                             ;   in Loop: Header=BB415_1576 Depth=1
	v_bfe_u32 v3, v2, 16, 1
	s_delay_alu instid0(VALU_DEP_1)
	v_add3_u32 v171, v2, v3, 0x7fff
                                        ; implicit-def: $vgpr2
; %bb.3427:                             ;   in Loop: Header=BB415_1576 Depth=1
	s_and_not1_saveexec_b32 s13, s1
; %bb.3428:                             ;   in Loop: Header=BB415_1576 Depth=1
	v_and_b32_e32 v3, 0xffff, v2
	v_or_b32_e32 v4, 0x10000, v2
	s_delay_alu instid0(VALU_DEP_2) | instskip(NEXT) | instid1(VALU_DEP_1)
	v_cmp_eq_u32_e64 s1, 0, v3
	v_cndmask_b32_e64 v171, v4, v2, s1
; %bb.3429:                             ;   in Loop: Header=BB415_1576 Depth=1
	s_or_b32 exec_lo, exec_lo, s13
	flat_load_b64 v[2:3], v[0:1] offset:3584
	v_mov_b32_e32 v4, 0
	s_mov_b32 s13, exec_lo
	s_waitcnt vmcnt(0) lgkmcnt(0)
	v_and_b32_e32 v6, 0xff, v2
	s_delay_alu instid0(VALU_DEP_1)
	v_cmpx_ne_u16_e32 0, v6
	s_cbranch_execz .LBB415_3437
; %bb.3430:                             ;   in Loop: Header=BB415_1576 Depth=1
	v_bfrev_b32_e32 v4, 1
	s_mov_b32 s15, exec_lo
	v_cmpx_ne_u16_e32 0x80, v6
	s_cbranch_execz .LBB415_3436
; %bb.3431:                             ;   in Loop: Header=BB415_1576 Depth=1
	v_and_b32_e32 v6, 0x7f, v2
	v_mov_b32_e32 v4, 0x7f800001
	s_mov_b32 s16, exec_lo
	s_delay_alu instid0(VALU_DEP_2)
	v_cmpx_ne_u32_e32 0x7f, v6
	s_cbranch_execz .LBB415_3435
; %bb.3432:                             ;   in Loop: Header=BB415_1576 Depth=1
	v_lshrrev_b32_e32 v4, 3, v6
	v_cmp_gt_u32_e64 s1, 8, v6
	v_dual_mov_b32 v7, v3 :: v_dual_mov_b32 v6, v2
	s_delay_alu instid0(VALU_DEP_2)
	s_and_saveexec_b32 s17, s1
; %bb.3433:                             ;   in Loop: Header=BB415_1576 Depth=1
	v_and_b32_e32 v4, 7, v2
	s_delay_alu instid0(VALU_DEP_1) | instskip(NEXT) | instid1(VALU_DEP_1)
	v_clz_i32_u32_e32 v4, v4
	v_min_u32_e32 v4, 32, v4
	s_delay_alu instid0(VALU_DEP_1) | instskip(SKIP_1) | instid1(VALU_DEP_2)
	v_subrev_nc_u32_e32 v6, 28, v4
	v_sub_nc_u32_e32 v4, 29, v4
	v_lshlrev_b64 v[6:7], v6, v[2:3]
; %bb.3434:                             ;   in Loop: Header=BB415_1576 Depth=1
	s_or_b32 exec_lo, exec_lo, s17
	s_delay_alu instid0(VALU_DEP_1) | instskip(SKIP_2) | instid1(VALU_DEP_3)
	v_lshlrev_b32_e32 v6, 20, v6
	v_lshlrev_b32_e32 v7, 24, v2
	v_lshl_add_u32 v4, v4, 23, 0x3c000000
	v_and_b32_e32 v6, 0x700000, v6
	s_delay_alu instid0(VALU_DEP_3) | instskip(NEXT) | instid1(VALU_DEP_1)
	v_and_b32_e32 v7, 0x80000000, v7
	v_or3_b32 v4, v6, v7, v4
.LBB415_3435:                           ;   in Loop: Header=BB415_1576 Depth=1
	s_or_b32 exec_lo, exec_lo, s16
.LBB415_3436:                           ;   in Loop: Header=BB415_1576 Depth=1
	s_delay_alu instid0(SALU_CYCLE_1)
	s_or_b32 exec_lo, exec_lo, s15
.LBB415_3437:                           ;   in Loop: Header=BB415_1576 Depth=1
	s_delay_alu instid0(SALU_CYCLE_1) | instskip(NEXT) | instid1(VALU_DEP_1)
	s_or_b32 exec_lo, exec_lo, s13
	v_mul_f32_e32 v6, v8, v4
	s_delay_alu instid0(VALU_DEP_1) | instskip(NEXT) | instid1(VALU_DEP_1)
	v_and_b32_e32 v4, 0x7f800000, v6
	v_cmp_ne_u32_e64 s1, 0x7f800000, v4
                                        ; implicit-def: $vgpr4
	s_delay_alu instid0(VALU_DEP_1) | instskip(NEXT) | instid1(SALU_CYCLE_1)
	s_and_saveexec_b32 s13, s1
	s_xor_b32 s1, exec_lo, s13
; %bb.3438:                             ;   in Loop: Header=BB415_1576 Depth=1
	v_bfe_u32 v4, v6, 16, 1
	s_delay_alu instid0(VALU_DEP_1)
	v_add3_u32 v4, v6, v4, 0x7fff
                                        ; implicit-def: $vgpr6
; %bb.3439:                             ;   in Loop: Header=BB415_1576 Depth=1
	s_and_not1_saveexec_b32 s13, s1
; %bb.3440:                             ;   in Loop: Header=BB415_1576 Depth=1
	v_and_b32_e32 v4, 0xffff, v6
	v_or_b32_e32 v7, 0x10000, v6
	s_delay_alu instid0(VALU_DEP_2) | instskip(NEXT) | instid1(VALU_DEP_1)
	v_cmp_eq_u32_e64 s1, 0, v4
	v_cndmask_b32_e64 v4, v7, v6, s1
; %bb.3441:                             ;   in Loop: Header=BB415_1576 Depth=1
	s_or_b32 exec_lo, exec_lo, s13
	v_lshrrev_b16 v7, 8, v2
	v_mov_b32_e32 v6, 0
	s_mov_b32 s13, exec_lo
	s_delay_alu instid0(VALU_DEP_2)
	v_cmpx_ne_u16_e32 0, v7
	s_cbranch_execz .LBB415_3449
; %bb.3442:                             ;   in Loop: Header=BB415_1576 Depth=1
	v_bfrev_b32_e32 v6, 1
	s_mov_b32 s15, exec_lo
	v_cmpx_ne_u16_e32 0x80, v7
	s_cbranch_execz .LBB415_3448
; %bb.3443:                             ;   in Loop: Header=BB415_1576 Depth=1
	v_and_b32_e32 v9, 0xffff, v7
	v_mov_b32_e32 v6, 0x7f800001
	s_mov_b32 s16, exec_lo
	s_delay_alu instid0(VALU_DEP_2) | instskip(NEXT) | instid1(VALU_DEP_1)
	v_and_b32_e32 v7, 0x7f, v9
	v_cmpx_ne_u32_e32 0x7f, v7
	s_cbranch_execz .LBB415_3447
; %bb.3444:                             ;   in Loop: Header=BB415_1576 Depth=1
	v_and_b32_e32 v9, 7, v9
	v_lshrrev_b32_e32 v21, 3, v7
	v_cmp_gt_u32_e64 s1, 8, v7
	s_delay_alu instid0(VALU_DEP_3) | instskip(NEXT) | instid1(VALU_DEP_2)
	v_dual_mov_b32 v6, v9 :: v_dual_mov_b32 v7, v10
	s_and_saveexec_b32 s17, s1
; %bb.3445:                             ;   in Loop: Header=BB415_1576 Depth=1
	v_clz_i32_u32_e32 v6, v9
	s_delay_alu instid0(VALU_DEP_1) | instskip(NEXT) | instid1(VALU_DEP_1)
	v_min_u32_e32 v20, 32, v6
	v_subrev_nc_u32_e32 v6, 28, v20
	v_sub_nc_u32_e32 v21, 29, v20
	s_delay_alu instid0(VALU_DEP_2) | instskip(NEXT) | instid1(VALU_DEP_1)
	v_lshlrev_b64 v[6:7], v6, v[9:10]
	v_and_b32_e32 v6, 7, v6
; %bb.3446:                             ;   in Loop: Header=BB415_1576 Depth=1
	s_or_b32 exec_lo, exec_lo, s17
	v_lshlrev_b32_e32 v7, 16, v2
	s_delay_alu instid0(VALU_DEP_2) | instskip(SKIP_1) | instid1(VALU_DEP_3)
	v_lshlrev_b32_e32 v6, 20, v6
	v_lshl_add_u32 v9, v21, 23, 0x3c000000
	v_and_b32_e32 v7, 0x80000000, v7
	s_delay_alu instid0(VALU_DEP_1)
	v_or3_b32 v6, v6, v7, v9
.LBB415_3447:                           ;   in Loop: Header=BB415_1576 Depth=1
	s_or_b32 exec_lo, exec_lo, s16
.LBB415_3448:                           ;   in Loop: Header=BB415_1576 Depth=1
	s_delay_alu instid0(SALU_CYCLE_1)
	s_or_b32 exec_lo, exec_lo, s15
.LBB415_3449:                           ;   in Loop: Header=BB415_1576 Depth=1
	s_delay_alu instid0(SALU_CYCLE_1) | instskip(NEXT) | instid1(VALU_DEP_1)
	s_or_b32 exec_lo, exec_lo, s13
	v_mul_f32_e32 v6, v8, v6
                                        ; implicit-def: $vgpr21
	s_delay_alu instid0(VALU_DEP_1) | instskip(NEXT) | instid1(VALU_DEP_1)
	v_and_b32_e32 v7, 0x7f800000, v6
	v_cmp_ne_u32_e64 s1, 0x7f800000, v7
	s_delay_alu instid0(VALU_DEP_1) | instskip(NEXT) | instid1(SALU_CYCLE_1)
	s_and_saveexec_b32 s13, s1
	s_xor_b32 s1, exec_lo, s13
; %bb.3450:                             ;   in Loop: Header=BB415_1576 Depth=1
	v_bfe_u32 v7, v6, 16, 1
	s_delay_alu instid0(VALU_DEP_1)
	v_add3_u32 v21, v6, v7, 0x7fff
                                        ; implicit-def: $vgpr6
; %bb.3451:                             ;   in Loop: Header=BB415_1576 Depth=1
	s_and_not1_saveexec_b32 s13, s1
; %bb.3452:                             ;   in Loop: Header=BB415_1576 Depth=1
	v_and_b32_e32 v7, 0xffff, v6
	v_or_b32_e32 v9, 0x10000, v6
	s_delay_alu instid0(VALU_DEP_2) | instskip(NEXT) | instid1(VALU_DEP_1)
	v_cmp_eq_u32_e64 s1, 0, v7
	v_cndmask_b32_e64 v21, v9, v6, s1
; %bb.3453:                             ;   in Loop: Header=BB415_1576 Depth=1
	s_or_b32 exec_lo, exec_lo, s13
	v_lshrrev_b32_e32 v84, 16, v2
	s_mov_b32 s13, exec_lo
	s_delay_alu instid0(VALU_DEP_1) | instskip(NEXT) | instid1(VALU_DEP_1)
	v_dual_mov_b32 v6, 0 :: v_dual_and_b32 v7, 0xff, v84
	v_cmpx_ne_u16_e32 0, v7
	s_cbranch_execz .LBB415_3461
; %bb.3454:                             ;   in Loop: Header=BB415_1576 Depth=1
	v_bfrev_b32_e32 v6, 1
	s_mov_b32 s15, exec_lo
	v_cmpx_ne_u16_e32 0x80, v7
	s_cbranch_execz .LBB415_3460
; %bb.3455:                             ;   in Loop: Header=BB415_1576 Depth=1
	v_bfe_u32 v7, v2, 16, 7
	v_mov_b32_e32 v6, 0x7f800001
	s_mov_b32 s16, exec_lo
	s_delay_alu instid0(VALU_DEP_2)
	v_cmpx_ne_u32_e32 0x7f, v7
	s_cbranch_execz .LBB415_3459
; %bb.3456:                             ;   in Loop: Header=BB415_1576 Depth=1
	v_and_b32_e32 v9, 7, v84
	v_lshrrev_b32_e32 v85, 3, v7
	v_cmp_gt_u32_e64 s1, 8, v7
	s_delay_alu instid0(VALU_DEP_3) | instskip(NEXT) | instid1(VALU_DEP_2)
	v_dual_mov_b32 v6, v9 :: v_dual_mov_b32 v7, v10
	s_and_saveexec_b32 s17, s1
; %bb.3457:                             ;   in Loop: Header=BB415_1576 Depth=1
	v_clz_i32_u32_e32 v6, v9
	s_delay_alu instid0(VALU_DEP_1) | instskip(NEXT) | instid1(VALU_DEP_1)
	v_min_u32_e32 v20, 32, v6
	v_subrev_nc_u32_e32 v6, 28, v20
	v_sub_nc_u32_e32 v85, 29, v20
	s_delay_alu instid0(VALU_DEP_2) | instskip(NEXT) | instid1(VALU_DEP_1)
	v_lshlrev_b64 v[6:7], v6, v[9:10]
	v_and_b32_e32 v6, 7, v6
; %bb.3458:                             ;   in Loop: Header=BB415_1576 Depth=1
	s_or_b32 exec_lo, exec_lo, s17
	v_lshlrev_b32_e32 v7, 24, v84
	s_delay_alu instid0(VALU_DEP_2) | instskip(SKIP_1) | instid1(VALU_DEP_3)
	v_lshlrev_b32_e32 v6, 20, v6
	v_lshl_add_u32 v9, v85, 23, 0x3c000000
	v_and_b32_e32 v7, 0x80000000, v7
	s_delay_alu instid0(VALU_DEP_1)
	v_or3_b32 v6, v6, v7, v9
.LBB415_3459:                           ;   in Loop: Header=BB415_1576 Depth=1
	s_or_b32 exec_lo, exec_lo, s16
.LBB415_3460:                           ;   in Loop: Header=BB415_1576 Depth=1
	s_delay_alu instid0(SALU_CYCLE_1)
	s_or_b32 exec_lo, exec_lo, s15
.LBB415_3461:                           ;   in Loop: Header=BB415_1576 Depth=1
	s_delay_alu instid0(SALU_CYCLE_1) | instskip(NEXT) | instid1(VALU_DEP_1)
	s_or_b32 exec_lo, exec_lo, s13
	v_mul_f32_e32 v6, v8, v6
                                        ; implicit-def: $vgpr85
	s_delay_alu instid0(VALU_DEP_1) | instskip(NEXT) | instid1(VALU_DEP_1)
	v_and_b32_e32 v7, 0x7f800000, v6
	v_cmp_ne_u32_e64 s1, 0x7f800000, v7
	s_delay_alu instid0(VALU_DEP_1) | instskip(NEXT) | instid1(SALU_CYCLE_1)
	s_and_saveexec_b32 s13, s1
	s_xor_b32 s1, exec_lo, s13
; %bb.3462:                             ;   in Loop: Header=BB415_1576 Depth=1
	v_bfe_u32 v7, v6, 16, 1
	s_delay_alu instid0(VALU_DEP_1)
	v_add3_u32 v85, v6, v7, 0x7fff
                                        ; implicit-def: $vgpr6
; %bb.3463:                             ;   in Loop: Header=BB415_1576 Depth=1
	s_and_not1_saveexec_b32 s13, s1
; %bb.3464:                             ;   in Loop: Header=BB415_1576 Depth=1
	v_and_b32_e32 v7, 0xffff, v6
	v_or_b32_e32 v9, 0x10000, v6
	s_delay_alu instid0(VALU_DEP_2) | instskip(NEXT) | instid1(VALU_DEP_1)
	v_cmp_eq_u32_e64 s1, 0, v7
	v_cndmask_b32_e64 v85, v9, v6, s1
; %bb.3465:                             ;   in Loop: Header=BB415_1576 Depth=1
	s_or_b32 exec_lo, exec_lo, s13
	v_mov_b32_e32 v6, 0
	s_mov_b32 s13, exec_lo
	v_cmpx_lt_u32_e32 0xffffff, v2
	s_cbranch_execz .LBB415_3473
; %bb.3466:                             ;   in Loop: Header=BB415_1576 Depth=1
	v_lshrrev_b32_e32 v84, 24, v2
	v_bfrev_b32_e32 v6, 1
	s_mov_b32 s15, exec_lo
	s_delay_alu instid0(VALU_DEP_2)
	v_cmpx_ne_u32_e32 0x80, v84
	s_cbranch_execz .LBB415_3472
; %bb.3467:                             ;   in Loop: Header=BB415_1576 Depth=1
	v_bfe_u32 v7, v2, 24, 7
	v_mov_b32_e32 v6, 0x7f800001
	s_mov_b32 s16, exec_lo
	s_delay_alu instid0(VALU_DEP_2)
	v_cmpx_ne_u32_e32 0x7f, v7
	s_cbranch_execz .LBB415_3471
; %bb.3468:                             ;   in Loop: Header=BB415_1576 Depth=1
	v_and_b32_e32 v9, 7, v84
	v_lshrrev_b32_e32 v172, 3, v7
	v_cmp_gt_u32_e64 s1, 8, v7
	s_delay_alu instid0(VALU_DEP_3) | instskip(NEXT) | instid1(VALU_DEP_2)
	v_dual_mov_b32 v6, v9 :: v_dual_mov_b32 v7, v10
	s_and_saveexec_b32 s17, s1
; %bb.3469:                             ;   in Loop: Header=BB415_1576 Depth=1
	v_clz_i32_u32_e32 v6, v9
	s_delay_alu instid0(VALU_DEP_1) | instskip(NEXT) | instid1(VALU_DEP_1)
	v_min_u32_e32 v20, 32, v6
	v_subrev_nc_u32_e32 v6, 28, v20
	v_sub_nc_u32_e32 v172, 29, v20
	s_delay_alu instid0(VALU_DEP_2) | instskip(NEXT) | instid1(VALU_DEP_1)
	v_lshlrev_b64 v[6:7], v6, v[9:10]
	v_and_b32_e32 v6, 7, v6
; %bb.3470:                             ;   in Loop: Header=BB415_1576 Depth=1
	s_or_b32 exec_lo, exec_lo, s17
	v_lshlrev_b32_e32 v7, 24, v84
	s_delay_alu instid0(VALU_DEP_2) | instskip(SKIP_1) | instid1(VALU_DEP_3)
	v_lshlrev_b32_e32 v6, 20, v6
	v_lshl_add_u32 v9, v172, 23, 0x3c000000
	v_and_b32_e32 v7, 0x80000000, v7
	s_delay_alu instid0(VALU_DEP_1)
	v_or3_b32 v6, v6, v7, v9
.LBB415_3471:                           ;   in Loop: Header=BB415_1576 Depth=1
	s_or_b32 exec_lo, exec_lo, s16
.LBB415_3472:                           ;   in Loop: Header=BB415_1576 Depth=1
	s_delay_alu instid0(SALU_CYCLE_1)
	s_or_b32 exec_lo, exec_lo, s15
.LBB415_3473:                           ;   in Loop: Header=BB415_1576 Depth=1
	s_delay_alu instid0(SALU_CYCLE_1) | instskip(NEXT) | instid1(VALU_DEP_1)
	s_or_b32 exec_lo, exec_lo, s13
	v_mul_f32_e32 v6, v8, v6
                                        ; implicit-def: $vgpr84
	s_delay_alu instid0(VALU_DEP_1) | instskip(NEXT) | instid1(VALU_DEP_1)
	v_and_b32_e32 v7, 0x7f800000, v6
	v_cmp_ne_u32_e64 s1, 0x7f800000, v7
	s_delay_alu instid0(VALU_DEP_1) | instskip(NEXT) | instid1(SALU_CYCLE_1)
	s_and_saveexec_b32 s13, s1
	s_xor_b32 s1, exec_lo, s13
; %bb.3474:                             ;   in Loop: Header=BB415_1576 Depth=1
	v_bfe_u32 v7, v6, 16, 1
	s_delay_alu instid0(VALU_DEP_1)
	v_add3_u32 v84, v6, v7, 0x7fff
                                        ; implicit-def: $vgpr6
; %bb.3475:                             ;   in Loop: Header=BB415_1576 Depth=1
	s_and_not1_saveexec_b32 s13, s1
; %bb.3476:                             ;   in Loop: Header=BB415_1576 Depth=1
	v_and_b32_e32 v7, 0xffff, v6
	v_or_b32_e32 v9, 0x10000, v6
	s_delay_alu instid0(VALU_DEP_2) | instskip(NEXT) | instid1(VALU_DEP_1)
	v_cmp_eq_u32_e64 s1, 0, v7
	v_cndmask_b32_e64 v84, v9, v6, s1
; %bb.3477:                             ;   in Loop: Header=BB415_1576 Depth=1
	s_or_b32 exec_lo, exec_lo, s13
	v_dual_mov_b32 v6, 0 :: v_dual_and_b32 v7, 0xff, v3
	v_mov_b32_e32 v9, v3
	s_mov_b32 s13, exec_lo
	s_delay_alu instid0(VALU_DEP_2)
	v_cmpx_ne_u16_e32 0, v7
	s_cbranch_execz .LBB415_3485
; %bb.3478:                             ;   in Loop: Header=BB415_1576 Depth=1
	v_bfrev_b32_e32 v6, 1
	s_mov_b32 s15, exec_lo
	v_cmpx_ne_u16_e32 0x80, v7
	s_cbranch_execz .LBB415_3484
; %bb.3479:                             ;   in Loop: Header=BB415_1576 Depth=1
	v_and_b32_e32 v7, 0x7f, v3
	v_mov_b32_e32 v6, 0x7f800001
	s_mov_b32 s16, exec_lo
	s_delay_alu instid0(VALU_DEP_2)
	v_cmpx_ne_u32_e32 0x7f, v7
	s_cbranch_execz .LBB415_3483
; %bb.3480:                             ;   in Loop: Header=BB415_1576 Depth=1
	v_lshrrev_b32_e32 v172, 3, v7
	v_cmp_gt_u32_e64 s1, 8, v7
	v_dual_mov_b32 v6, v9 :: v_dual_mov_b32 v7, v10
	s_delay_alu instid0(VALU_DEP_2)
	s_and_saveexec_b32 s17, s1
; %bb.3481:                             ;   in Loop: Header=BB415_1576 Depth=1
	v_and_b32_e32 v6, 7, v3
	s_delay_alu instid0(VALU_DEP_1) | instskip(NEXT) | instid1(VALU_DEP_1)
	v_clz_i32_u32_e32 v6, v6
	v_min_u32_e32 v20, 32, v6
	s_delay_alu instid0(VALU_DEP_1) | instskip(SKIP_1) | instid1(VALU_DEP_2)
	v_subrev_nc_u32_e32 v6, 28, v20
	v_sub_nc_u32_e32 v172, 29, v20
	v_lshlrev_b64 v[6:7], v6, v[9:10]
; %bb.3482:                             ;   in Loop: Header=BB415_1576 Depth=1
	s_or_b32 exec_lo, exec_lo, s17
	s_delay_alu instid0(VALU_DEP_1) | instskip(SKIP_2) | instid1(VALU_DEP_3)
	v_lshlrev_b32_e32 v6, 20, v6
	v_lshlrev_b32_e32 v7, 24, v9
	v_lshl_add_u32 v20, v172, 23, 0x3c000000
	v_and_b32_e32 v6, 0x700000, v6
	s_delay_alu instid0(VALU_DEP_3) | instskip(NEXT) | instid1(VALU_DEP_1)
	v_and_b32_e32 v7, 0x80000000, v7
	v_or3_b32 v6, v6, v7, v20
.LBB415_3483:                           ;   in Loop: Header=BB415_1576 Depth=1
	s_or_b32 exec_lo, exec_lo, s16
.LBB415_3484:                           ;   in Loop: Header=BB415_1576 Depth=1
	s_delay_alu instid0(SALU_CYCLE_1)
	s_or_b32 exec_lo, exec_lo, s15
.LBB415_3485:                           ;   in Loop: Header=BB415_1576 Depth=1
	s_delay_alu instid0(SALU_CYCLE_1) | instskip(NEXT) | instid1(VALU_DEP_1)
	s_or_b32 exec_lo, exec_lo, s13
	v_mul_f32_e32 v6, v8, v6
                                        ; implicit-def: $vgpr172
	s_delay_alu instid0(VALU_DEP_1) | instskip(NEXT) | instid1(VALU_DEP_1)
	v_and_b32_e32 v7, 0x7f800000, v6
	v_cmp_ne_u32_e64 s1, 0x7f800000, v7
	s_delay_alu instid0(VALU_DEP_1) | instskip(NEXT) | instid1(SALU_CYCLE_1)
	s_and_saveexec_b32 s13, s1
	s_xor_b32 s1, exec_lo, s13
; %bb.3486:                             ;   in Loop: Header=BB415_1576 Depth=1
	v_bfe_u32 v7, v6, 16, 1
	s_delay_alu instid0(VALU_DEP_1)
	v_add3_u32 v172, v6, v7, 0x7fff
                                        ; implicit-def: $vgpr6
; %bb.3487:                             ;   in Loop: Header=BB415_1576 Depth=1
	s_and_not1_saveexec_b32 s13, s1
; %bb.3488:                             ;   in Loop: Header=BB415_1576 Depth=1
	v_and_b32_e32 v7, 0xffff, v6
	v_or_b32_e32 v20, 0x10000, v6
	s_delay_alu instid0(VALU_DEP_2) | instskip(NEXT) | instid1(VALU_DEP_1)
	v_cmp_eq_u32_e64 s1, 0, v7
	v_cndmask_b32_e64 v172, v20, v6, s1
; %bb.3489:                             ;   in Loop: Header=BB415_1576 Depth=1
	s_or_b32 exec_lo, exec_lo, s13
	v_lshrrev_b16 v7, 8, v9
	v_mov_b32_e32 v6, 0
	s_mov_b32 s13, exec_lo
	s_delay_alu instid0(VALU_DEP_2)
	v_cmpx_ne_u16_e32 0, v7
	s_cbranch_execz .LBB415_3497
; %bb.3490:                             ;   in Loop: Header=BB415_1576 Depth=1
	v_bfrev_b32_e32 v6, 1
	s_mov_b32 s15, exec_lo
	v_cmpx_ne_u16_e32 0x80, v7
	s_cbranch_execz .LBB415_3496
; %bb.3491:                             ;   in Loop: Header=BB415_1576 Depth=1
	v_and_b32_e32 v7, 0xffff, v7
	v_mov_b32_e32 v6, 0x7f800001
	s_mov_b32 s16, exec_lo
	s_delay_alu instid0(VALU_DEP_2) | instskip(NEXT) | instid1(VALU_DEP_1)
	v_and_b32_e32 v174, 0x7f, v7
	v_cmpx_ne_u32_e32 0x7f, v174
	s_cbranch_execz .LBB415_3495
; %bb.3492:                             ;   in Loop: Header=BB415_1576 Depth=1
	v_dual_mov_b32 v7, v10 :: v_dual_and_b32 v6, 7, v7
	v_lshrrev_b32_e32 v173, 3, v174
	s_mov_b32 s17, exec_lo
	v_cmpx_gt_u32_e32 8, v174
; %bb.3493:                             ;   in Loop: Header=BB415_1576 Depth=1
	s_delay_alu instid0(VALU_DEP_3) | instskip(NEXT) | instid1(VALU_DEP_1)
	v_clz_i32_u32_e32 v20, v6
	v_min_u32_e32 v20, 32, v20
	s_delay_alu instid0(VALU_DEP_1) | instskip(SKIP_1) | instid1(VALU_DEP_2)
	v_subrev_nc_u32_e32 v22, 28, v20
	v_sub_nc_u32_e32 v173, 29, v20
	v_lshlrev_b64 v[6:7], v22, v[6:7]
	s_delay_alu instid0(VALU_DEP_1)
	v_and_b32_e32 v6, 7, v6
; %bb.3494:                             ;   in Loop: Header=BB415_1576 Depth=1
	s_or_b32 exec_lo, exec_lo, s17
	v_lshlrev_b32_e32 v7, 16, v9
	s_delay_alu instid0(VALU_DEP_2) | instskip(SKIP_1) | instid1(VALU_DEP_3)
	v_lshlrev_b32_e32 v6, 20, v6
	v_lshl_add_u32 v9, v173, 23, 0x3c000000
	v_and_b32_e32 v7, 0x80000000, v7
	s_delay_alu instid0(VALU_DEP_1)
	v_or3_b32 v6, v6, v7, v9
.LBB415_3495:                           ;   in Loop: Header=BB415_1576 Depth=1
	s_or_b32 exec_lo, exec_lo, s16
.LBB415_3496:                           ;   in Loop: Header=BB415_1576 Depth=1
	s_delay_alu instid0(SALU_CYCLE_1)
	s_or_b32 exec_lo, exec_lo, s15
.LBB415_3497:                           ;   in Loop: Header=BB415_1576 Depth=1
	s_delay_alu instid0(SALU_CYCLE_1) | instskip(NEXT) | instid1(VALU_DEP_1)
	s_or_b32 exec_lo, exec_lo, s13
	v_mul_f32_e32 v6, v8, v6
                                        ; implicit-def: $vgpr173
	s_delay_alu instid0(VALU_DEP_1) | instskip(NEXT) | instid1(VALU_DEP_1)
	v_and_b32_e32 v7, 0x7f800000, v6
	v_cmp_ne_u32_e64 s1, 0x7f800000, v7
	s_delay_alu instid0(VALU_DEP_1) | instskip(NEXT) | instid1(SALU_CYCLE_1)
	s_and_saveexec_b32 s13, s1
	s_xor_b32 s1, exec_lo, s13
; %bb.3498:                             ;   in Loop: Header=BB415_1576 Depth=1
	v_bfe_u32 v7, v6, 16, 1
	s_delay_alu instid0(VALU_DEP_1)
	v_add3_u32 v173, v6, v7, 0x7fff
                                        ; implicit-def: $vgpr6
; %bb.3499:                             ;   in Loop: Header=BB415_1576 Depth=1
	s_and_not1_saveexec_b32 s13, s1
; %bb.3500:                             ;   in Loop: Header=BB415_1576 Depth=1
	v_and_b32_e32 v7, 0xffff, v6
	v_or_b32_e32 v9, 0x10000, v6
	s_delay_alu instid0(VALU_DEP_2) | instskip(NEXT) | instid1(VALU_DEP_1)
	v_cmp_eq_u32_e64 s1, 0, v7
	v_cndmask_b32_e64 v173, v9, v6, s1
; %bb.3501:                             ;   in Loop: Header=BB415_1576 Depth=1
	s_or_b32 exec_lo, exec_lo, s13
	v_lshrrev_b32_e32 v174, 16, v3
	s_mov_b32 s13, exec_lo
	s_delay_alu instid0(VALU_DEP_1) | instskip(NEXT) | instid1(VALU_DEP_1)
	v_dual_mov_b32 v6, 0 :: v_dual_and_b32 v7, 0xff, v174
	v_cmpx_ne_u16_e32 0, v7
	s_cbranch_execz .LBB415_3509
; %bb.3502:                             ;   in Loop: Header=BB415_1576 Depth=1
	v_bfrev_b32_e32 v6, 1
	s_mov_b32 s15, exec_lo
	v_cmpx_ne_u16_e32 0x80, v7
	s_cbranch_execz .LBB415_3508
; %bb.3503:                             ;   in Loop: Header=BB415_1576 Depth=1
	v_bfe_u32 v7, v3, 16, 7
	v_mov_b32_e32 v6, 0x7f800001
	s_mov_b32 s16, exec_lo
	s_delay_alu instid0(VALU_DEP_2)
	v_cmpx_ne_u32_e32 0x7f, v7
	s_cbranch_execz .LBB415_3507
; %bb.3504:                             ;   in Loop: Header=BB415_1576 Depth=1
	v_and_b32_e32 v9, 7, v174
	v_lshrrev_b32_e32 v175, 3, v7
	v_cmp_gt_u32_e64 s1, 8, v7
	s_delay_alu instid0(VALU_DEP_3) | instskip(NEXT) | instid1(VALU_DEP_2)
	v_dual_mov_b32 v6, v9 :: v_dual_mov_b32 v7, v10
	s_and_saveexec_b32 s17, s1
; %bb.3505:                             ;   in Loop: Header=BB415_1576 Depth=1
	v_clz_i32_u32_e32 v6, v9
	s_delay_alu instid0(VALU_DEP_1) | instskip(NEXT) | instid1(VALU_DEP_1)
	v_min_u32_e32 v20, 32, v6
	v_subrev_nc_u32_e32 v6, 28, v20
	v_sub_nc_u32_e32 v175, 29, v20
	s_delay_alu instid0(VALU_DEP_2) | instskip(NEXT) | instid1(VALU_DEP_1)
	v_lshlrev_b64 v[6:7], v6, v[9:10]
	v_and_b32_e32 v6, 7, v6
; %bb.3506:                             ;   in Loop: Header=BB415_1576 Depth=1
	s_or_b32 exec_lo, exec_lo, s17
	v_lshlrev_b32_e32 v7, 24, v174
	s_delay_alu instid0(VALU_DEP_2) | instskip(SKIP_1) | instid1(VALU_DEP_3)
	v_lshlrev_b32_e32 v6, 20, v6
	v_lshl_add_u32 v9, v175, 23, 0x3c000000
	v_and_b32_e32 v7, 0x80000000, v7
	s_delay_alu instid0(VALU_DEP_1)
	v_or3_b32 v6, v6, v7, v9
.LBB415_3507:                           ;   in Loop: Header=BB415_1576 Depth=1
	s_or_b32 exec_lo, exec_lo, s16
.LBB415_3508:                           ;   in Loop: Header=BB415_1576 Depth=1
	s_delay_alu instid0(SALU_CYCLE_1)
	s_or_b32 exec_lo, exec_lo, s15
.LBB415_3509:                           ;   in Loop: Header=BB415_1576 Depth=1
	s_delay_alu instid0(SALU_CYCLE_1) | instskip(NEXT) | instid1(VALU_DEP_1)
	s_or_b32 exec_lo, exec_lo, s13
	v_mul_f32_e32 v7, v8, v6
	s_delay_alu instid0(VALU_DEP_1) | instskip(NEXT) | instid1(VALU_DEP_1)
	v_and_b32_e32 v6, 0x7f800000, v7
	v_cmp_ne_u32_e64 s1, 0x7f800000, v6
                                        ; implicit-def: $vgpr6
	s_delay_alu instid0(VALU_DEP_1) | instskip(NEXT) | instid1(SALU_CYCLE_1)
	s_and_saveexec_b32 s13, s1
	s_xor_b32 s1, exec_lo, s13
; %bb.3510:                             ;   in Loop: Header=BB415_1576 Depth=1
	v_bfe_u32 v6, v7, 16, 1
	s_delay_alu instid0(VALU_DEP_1)
	v_add3_u32 v6, v7, v6, 0x7fff
                                        ; implicit-def: $vgpr7
; %bb.3511:                             ;   in Loop: Header=BB415_1576 Depth=1
	s_and_not1_saveexec_b32 s13, s1
; %bb.3512:                             ;   in Loop: Header=BB415_1576 Depth=1
	v_and_b32_e32 v6, 0xffff, v7
	v_or_b32_e32 v9, 0x10000, v7
	s_delay_alu instid0(VALU_DEP_2) | instskip(NEXT) | instid1(VALU_DEP_1)
	v_cmp_eq_u32_e64 s1, 0, v6
	v_cndmask_b32_e64 v6, v9, v7, s1
; %bb.3513:                             ;   in Loop: Header=BB415_1576 Depth=1
	s_or_b32 exec_lo, exec_lo, s13
	v_cmp_lt_u64_e64 s1, s[4:5], v[2:3]
	v_mov_b32_e32 v2, 0
	s_delay_alu instid0(VALU_DEP_2)
	s_and_saveexec_b32 s13, s1
	s_cbranch_execz .LBB415_3521
; %bb.3514:                             ;   in Loop: Header=BB415_1576 Depth=1
	v_lshrrev_b32_e32 v7, 24, v3
	v_bfrev_b32_e32 v2, 1
	s_mov_b32 s15, exec_lo
	s_delay_alu instid0(VALU_DEP_2)
	v_cmpx_ne_u32_e32 0x80, v7
	s_cbranch_execz .LBB415_3520
; %bb.3515:                             ;   in Loop: Header=BB415_1576 Depth=1
	v_bfe_u32 v3, v3, 24, 7
	v_mov_b32_e32 v2, 0x7f800001
	s_mov_b32 s16, exec_lo
	s_delay_alu instid0(VALU_DEP_2)
	v_cmpx_ne_u32_e32 0x7f, v3
	s_cbranch_execz .LBB415_3519
; %bb.3516:                             ;   in Loop: Header=BB415_1576 Depth=1
	v_and_b32_e32 v9, 7, v7
	v_lshrrev_b32_e32 v174, 3, v3
	v_cmp_gt_u32_e64 s1, 8, v3
	s_delay_alu instid0(VALU_DEP_3) | instskip(NEXT) | instid1(VALU_DEP_2)
	v_dual_mov_b32 v2, v9 :: v_dual_mov_b32 v3, v10
	s_and_saveexec_b32 s17, s1
; %bb.3517:                             ;   in Loop: Header=BB415_1576 Depth=1
	v_clz_i32_u32_e32 v2, v9
	s_delay_alu instid0(VALU_DEP_1) | instskip(NEXT) | instid1(VALU_DEP_1)
	v_min_u32_e32 v20, 32, v2
	v_subrev_nc_u32_e32 v2, 28, v20
	v_sub_nc_u32_e32 v174, 29, v20
	s_delay_alu instid0(VALU_DEP_2) | instskip(NEXT) | instid1(VALU_DEP_1)
	v_lshlrev_b64 v[2:3], v2, v[9:10]
	v_and_b32_e32 v2, 7, v2
; %bb.3518:                             ;   in Loop: Header=BB415_1576 Depth=1
	s_or_b32 exec_lo, exec_lo, s17
	v_lshlrev_b32_e32 v3, 24, v7
	s_delay_alu instid0(VALU_DEP_2) | instskip(SKIP_1) | instid1(VALU_DEP_3)
	v_lshlrev_b32_e32 v2, 20, v2
	v_lshl_add_u32 v7, v174, 23, 0x3c000000
	v_and_b32_e32 v3, 0x80000000, v3
	s_delay_alu instid0(VALU_DEP_1)
	v_or3_b32 v2, v2, v3, v7
.LBB415_3519:                           ;   in Loop: Header=BB415_1576 Depth=1
	s_or_b32 exec_lo, exec_lo, s16
.LBB415_3520:                           ;   in Loop: Header=BB415_1576 Depth=1
	s_delay_alu instid0(SALU_CYCLE_1)
	s_or_b32 exec_lo, exec_lo, s15
.LBB415_3521:                           ;   in Loop: Header=BB415_1576 Depth=1
	s_delay_alu instid0(SALU_CYCLE_1) | instskip(NEXT) | instid1(VALU_DEP_1)
	s_or_b32 exec_lo, exec_lo, s13
	v_mul_f32_e32 v3, v8, v2
	s_delay_alu instid0(VALU_DEP_1) | instskip(NEXT) | instid1(VALU_DEP_1)
	v_and_b32_e32 v2, 0x7f800000, v3
	v_cmp_ne_u32_e64 s1, 0x7f800000, v2
                                        ; implicit-def: $vgpr2
	s_delay_alu instid0(VALU_DEP_1) | instskip(NEXT) | instid1(SALU_CYCLE_1)
	s_and_saveexec_b32 s13, s1
	s_xor_b32 s1, exec_lo, s13
; %bb.3522:                             ;   in Loop: Header=BB415_1576 Depth=1
	v_bfe_u32 v2, v3, 16, 1
	s_delay_alu instid0(VALU_DEP_1)
	v_add3_u32 v2, v3, v2, 0x7fff
                                        ; implicit-def: $vgpr3
; %bb.3523:                             ;   in Loop: Header=BB415_1576 Depth=1
	s_and_not1_saveexec_b32 s13, s1
; %bb.3524:                             ;   in Loop: Header=BB415_1576 Depth=1
	v_and_b32_e32 v2, 0xffff, v3
	v_or_b32_e32 v7, 0x10000, v3
	s_delay_alu instid0(VALU_DEP_2) | instskip(NEXT) | instid1(VALU_DEP_1)
	v_cmp_eq_u32_e64 s1, 0, v2
	v_cndmask_b32_e64 v2, v7, v3, s1
; %bb.3525:                             ;   in Loop: Header=BB415_1576 Depth=1
	s_or_b32 exec_lo, exec_lo, s13
	v_lshrrev_b32_e32 v9, 16, v173
	v_lshrrev_b32_e32 v172, 16, v172
	;; [unrolled: 1-line block ×8, first 2 shown]
	s_and_saveexec_b32 s13, vcc_lo
	s_cbranch_execz .LBB415_3527
; %bb.3526:                             ;   in Loop: Header=BB415_1576 Depth=1
	v_cmp_lt_i32_e64 s1, v70, v86
	s_delay_alu instid0(VALU_DEP_1) | instskip(SKIP_1) | instid1(VALU_DEP_1)
	v_cndmask_b32_e64 v4, 0, v4, s1
	v_cmp_lt_i32_e64 s1, v101, v86
	v_cndmask_b32_e64 v21, 0, v21, s1
	v_cmp_lt_i32_e64 s1, v100, v86
	s_delay_alu instid0(VALU_DEP_1) | instskip(SKIP_1) | instid1(VALU_DEP_1)
	v_cndmask_b32_e64 v7, 0, v7, s1
	v_cmp_lt_i32_e64 s1, v83, v86
	v_cndmask_b32_e64 v84, 0, v84, s1
	;; [unrolled: 5-line block ×4, first 2 shown]
.LBB415_3527:                           ;   in Loop: Header=BB415_1576 Depth=1
	s_or_b32 exec_lo, exec_lo, s13
	v_lshlrev_b32_e32 v4, 16, v4
	s_delay_alu instid0(VALU_DEP_1) | instskip(NEXT) | instid1(VALU_DEP_1)
	v_mul_f32_e32 v6, v102, v4
	v_and_b32_e32 v4, 0x7f800000, v6
	s_delay_alu instid0(VALU_DEP_1) | instskip(NEXT) | instid1(VALU_DEP_1)
	v_cmp_ne_u32_e64 s1, 0x7f800000, v4
                                        ; implicit-def: $vgpr4
	s_and_saveexec_b32 s13, s1
	s_delay_alu instid0(SALU_CYCLE_1)
	s_xor_b32 s1, exec_lo, s13
; %bb.3528:                             ;   in Loop: Header=BB415_1576 Depth=1
	v_bfe_u32 v4, v6, 16, 1
	s_delay_alu instid0(VALU_DEP_1)
	v_add3_u32 v4, v6, v4, 0x7fff
                                        ; implicit-def: $vgpr6
; %bb.3529:                             ;   in Loop: Header=BB415_1576 Depth=1
	s_and_not1_saveexec_b32 s13, s1
; %bb.3530:                             ;   in Loop: Header=BB415_1576 Depth=1
	v_and_b32_e32 v4, 0xffff, v6
	v_or_b32_e32 v20, 0x10000, v6
	s_delay_alu instid0(VALU_DEP_2) | instskip(NEXT) | instid1(VALU_DEP_1)
	v_cmp_eq_u32_e64 s1, 0, v4
	v_cndmask_b32_e64 v4, v20, v6, s1
; %bb.3531:                             ;   in Loop: Header=BB415_1576 Depth=1
	s_or_b32 exec_lo, exec_lo, s13
	v_lshlrev_b32_e32 v6, 16, v21
	s_delay_alu instid0(VALU_DEP_1) | instskip(NEXT) | instid1(VALU_DEP_1)
	v_mul_f32_e32 v21, v103, v6
	v_and_b32_e32 v6, 0x7f800000, v21
	s_delay_alu instid0(VALU_DEP_1) | instskip(NEXT) | instid1(VALU_DEP_1)
	v_cmp_ne_u32_e64 s1, 0x7f800000, v6
                                        ; implicit-def: $vgpr6
	s_and_saveexec_b32 s13, s1
	s_delay_alu instid0(SALU_CYCLE_1)
	s_xor_b32 s1, exec_lo, s13
; %bb.3532:                             ;   in Loop: Header=BB415_1576 Depth=1
	v_bfe_u32 v6, v21, 16, 1
	s_delay_alu instid0(VALU_DEP_1)
	v_add3_u32 v6, v21, v6, 0x7fff
                                        ; implicit-def: $vgpr21
; %bb.3533:                             ;   in Loop: Header=BB415_1576 Depth=1
	s_and_not1_saveexec_b32 s13, s1
; %bb.3534:                             ;   in Loop: Header=BB415_1576 Depth=1
	v_and_b32_e32 v6, 0xffff, v21
	v_or_b32_e32 v20, 0x10000, v21
	s_delay_alu instid0(VALU_DEP_2) | instskip(NEXT) | instid1(VALU_DEP_1)
	v_cmp_eq_u32_e64 s1, 0, v6
	v_cndmask_b32_e64 v6, v20, v21, s1
; %bb.3535:                             ;   in Loop: Header=BB415_1576 Depth=1
	s_or_b32 exec_lo, exec_lo, s13
	v_lshlrev_b32_e32 v7, 16, v7
	s_delay_alu instid0(VALU_DEP_1) | instskip(NEXT) | instid1(VALU_DEP_1)
	v_mul_f32_e32 v21, v112, v7
	v_and_b32_e32 v7, 0x7f800000, v21
	s_delay_alu instid0(VALU_DEP_1) | instskip(NEXT) | instid1(VALU_DEP_1)
	v_cmp_ne_u32_e64 s1, 0x7f800000, v7
                                        ; implicit-def: $vgpr7
	s_and_saveexec_b32 s13, s1
	s_delay_alu instid0(SALU_CYCLE_1)
	s_xor_b32 s1, exec_lo, s13
; %bb.3536:                             ;   in Loop: Header=BB415_1576 Depth=1
	v_bfe_u32 v7, v21, 16, 1
	s_delay_alu instid0(VALU_DEP_1)
	v_add3_u32 v7, v21, v7, 0x7fff
                                        ; implicit-def: $vgpr21
; %bb.3537:                             ;   in Loop: Header=BB415_1576 Depth=1
	s_and_not1_saveexec_b32 s13, s1
; %bb.3538:                             ;   in Loop: Header=BB415_1576 Depth=1
	v_and_b32_e32 v7, 0xffff, v21
	v_or_b32_e32 v20, 0x10000, v21
	s_delay_alu instid0(VALU_DEP_2) | instskip(NEXT) | instid1(VALU_DEP_1)
	v_cmp_eq_u32_e64 s1, 0, v7
	v_cndmask_b32_e64 v7, v20, v21, s1
; %bb.3539:                             ;   in Loop: Header=BB415_1576 Depth=1
	s_or_b32 exec_lo, exec_lo, s13
	v_lshlrev_b32_e32 v20, 16, v84
                                        ; implicit-def: $vgpr21
	s_delay_alu instid0(VALU_DEP_1) | instskip(NEXT) | instid1(VALU_DEP_1)
	v_mul_f32_e32 v84, v113, v20
	v_and_b32_e32 v20, 0x7f800000, v84
	s_delay_alu instid0(VALU_DEP_1) | instskip(NEXT) | instid1(VALU_DEP_1)
	v_cmp_ne_u32_e64 s1, 0x7f800000, v20
	s_and_saveexec_b32 s13, s1
	s_delay_alu instid0(SALU_CYCLE_1)
	s_xor_b32 s1, exec_lo, s13
; %bb.3540:                             ;   in Loop: Header=BB415_1576 Depth=1
	v_bfe_u32 v20, v84, 16, 1
	s_delay_alu instid0(VALU_DEP_1)
	v_add3_u32 v21, v84, v20, 0x7fff
                                        ; implicit-def: $vgpr84
; %bb.3541:                             ;   in Loop: Header=BB415_1576 Depth=1
	s_and_not1_saveexec_b32 s13, s1
; %bb.3542:                             ;   in Loop: Header=BB415_1576 Depth=1
	v_and_b32_e32 v20, 0xffff, v84
	v_or_b32_e32 v21, 0x10000, v84
	s_delay_alu instid0(VALU_DEP_2) | instskip(NEXT) | instid1(VALU_DEP_1)
	v_cmp_eq_u32_e64 s1, 0, v20
	v_cndmask_b32_e64 v21, v21, v84, s1
; %bb.3543:                             ;   in Loop: Header=BB415_1576 Depth=1
	s_or_b32 exec_lo, exec_lo, s13
	v_lshlrev_b32_e32 v20, 16, v172
                                        ; implicit-def: $vgpr85
	s_delay_alu instid0(VALU_DEP_1) | instskip(NEXT) | instid1(VALU_DEP_1)
	v_mul_f32_e32 v84, v114, v20
	v_and_b32_e32 v20, 0x7f800000, v84
	s_delay_alu instid0(VALU_DEP_1) | instskip(NEXT) | instid1(VALU_DEP_1)
	v_cmp_ne_u32_e64 s1, 0x7f800000, v20
	s_and_saveexec_b32 s13, s1
	s_delay_alu instid0(SALU_CYCLE_1)
	s_xor_b32 s1, exec_lo, s13
; %bb.3544:                             ;   in Loop: Header=BB415_1576 Depth=1
	v_bfe_u32 v20, v84, 16, 1
	s_delay_alu instid0(VALU_DEP_1)
	v_add3_u32 v85, v84, v20, 0x7fff
                                        ; implicit-def: $vgpr84
; %bb.3545:                             ;   in Loop: Header=BB415_1576 Depth=1
	s_and_not1_saveexec_b32 s13, s1
; %bb.3546:                             ;   in Loop: Header=BB415_1576 Depth=1
	v_and_b32_e32 v20, 0xffff, v84
	v_or_b32_e32 v22, 0x10000, v84
	s_delay_alu instid0(VALU_DEP_2) | instskip(NEXT) | instid1(VALU_DEP_1)
	v_cmp_eq_u32_e64 s1, 0, v20
	v_cndmask_b32_e64 v85, v22, v84, s1
; %bb.3547:                             ;   in Loop: Header=BB415_1576 Depth=1
	s_or_b32 exec_lo, exec_lo, s13
	v_lshlrev_b32_e32 v9, 16, v9
                                        ; implicit-def: $vgpr172
	s_delay_alu instid0(VALU_DEP_1) | instskip(NEXT) | instid1(VALU_DEP_1)
	v_mul_f32_e32 v9, v115, v9
	v_and_b32_e32 v20, 0x7f800000, v9
	s_delay_alu instid0(VALU_DEP_1) | instskip(NEXT) | instid1(VALU_DEP_1)
	v_cmp_ne_u32_e64 s1, 0x7f800000, v20
	s_and_saveexec_b32 s13, s1
	s_delay_alu instid0(SALU_CYCLE_1)
	s_xor_b32 s1, exec_lo, s13
; %bb.3548:                             ;   in Loop: Header=BB415_1576 Depth=1
	v_bfe_u32 v20, v9, 16, 1
	s_delay_alu instid0(VALU_DEP_1)
	v_add3_u32 v172, v9, v20, 0x7fff
                                        ; implicit-def: $vgpr9
; %bb.3549:                             ;   in Loop: Header=BB415_1576 Depth=1
	s_and_not1_saveexec_b32 s13, s1
; %bb.3550:                             ;   in Loop: Header=BB415_1576 Depth=1
	v_and_b32_e32 v20, 0xffff, v9
	v_or_b32_e32 v22, 0x10000, v9
	s_delay_alu instid0(VALU_DEP_2) | instskip(NEXT) | instid1(VALU_DEP_1)
	v_cmp_eq_u32_e64 s1, 0, v20
	v_cndmask_b32_e64 v172, v22, v9, s1
; %bb.3551:                             ;   in Loop: Header=BB415_1576 Depth=1
	s_or_b32 exec_lo, exec_lo, s13
	v_lshlrev_b32_e32 v3, 16, v3
                                        ; implicit-def: $vgpr173
	s_delay_alu instid0(VALU_DEP_1) | instskip(NEXT) | instid1(VALU_DEP_1)
	v_mul_f32_e32 v3, v116, v3
	v_and_b32_e32 v9, 0x7f800000, v3
	s_delay_alu instid0(VALU_DEP_1) | instskip(NEXT) | instid1(VALU_DEP_1)
	v_cmp_ne_u32_e64 s1, 0x7f800000, v9
	s_and_saveexec_b32 s13, s1
	s_delay_alu instid0(SALU_CYCLE_1)
	s_xor_b32 s1, exec_lo, s13
; %bb.3552:                             ;   in Loop: Header=BB415_1576 Depth=1
	v_bfe_u32 v9, v3, 16, 1
	s_delay_alu instid0(VALU_DEP_1)
	v_add3_u32 v173, v3, v9, 0x7fff
                                        ; implicit-def: $vgpr3
; %bb.3553:                             ;   in Loop: Header=BB415_1576 Depth=1
	s_and_not1_saveexec_b32 s13, s1
; %bb.3554:                             ;   in Loop: Header=BB415_1576 Depth=1
	v_and_b32_e32 v9, 0xffff, v3
	v_or_b32_e32 v20, 0x10000, v3
	s_delay_alu instid0(VALU_DEP_2) | instskip(NEXT) | instid1(VALU_DEP_1)
	v_cmp_eq_u32_e64 s1, 0, v9
	v_cndmask_b32_e64 v173, v20, v3, s1
; %bb.3555:                             ;   in Loop: Header=BB415_1576 Depth=1
	s_or_b32 exec_lo, exec_lo, s13
	v_lshlrev_b32_e32 v2, 16, v2
                                        ; implicit-def: $vgpr174
	s_delay_alu instid0(VALU_DEP_1) | instskip(NEXT) | instid1(VALU_DEP_1)
	v_mul_f32_e32 v2, v117, v2
	v_and_b32_e32 v3, 0x7f800000, v2
	s_delay_alu instid0(VALU_DEP_1) | instskip(NEXT) | instid1(VALU_DEP_1)
	v_cmp_ne_u32_e64 s1, 0x7f800000, v3
	s_and_saveexec_b32 s13, s1
	s_delay_alu instid0(SALU_CYCLE_1)
	s_xor_b32 s1, exec_lo, s13
; %bb.3556:                             ;   in Loop: Header=BB415_1576 Depth=1
	v_bfe_u32 v3, v2, 16, 1
	s_delay_alu instid0(VALU_DEP_1)
	v_add3_u32 v174, v2, v3, 0x7fff
                                        ; implicit-def: $vgpr2
; %bb.3557:                             ;   in Loop: Header=BB415_1576 Depth=1
	s_and_not1_saveexec_b32 s13, s1
; %bb.3558:                             ;   in Loop: Header=BB415_1576 Depth=1
	v_and_b32_e32 v3, 0xffff, v2
	v_or_b32_e32 v9, 0x10000, v2
	s_delay_alu instid0(VALU_DEP_2) | instskip(NEXT) | instid1(VALU_DEP_1)
	v_cmp_eq_u32_e64 s1, 0, v3
	v_cndmask_b32_e64 v174, v9, v2, s1
; %bb.3559:                             ;   in Loop: Header=BB415_1576 Depth=1
	s_or_b32 exec_lo, exec_lo, s13
	flat_load_b64 v[0:1], v[0:1] offset:3840
	s_mov_b32 s13, exec_lo
	s_waitcnt vmcnt(0) lgkmcnt(0)
	v_dual_mov_b32 v2, 0 :: v_dual_and_b32 v3, 0xff, v0
	s_delay_alu instid0(VALU_DEP_1)
	v_cmpx_ne_u16_e32 0, v3
	s_cbranch_execz .LBB415_3567
; %bb.3560:                             ;   in Loop: Header=BB415_1576 Depth=1
	v_bfrev_b32_e32 v2, 1
	s_mov_b32 s15, exec_lo
	v_cmpx_ne_u16_e32 0x80, v3
	s_cbranch_execz .LBB415_3566
; %bb.3561:                             ;   in Loop: Header=BB415_1576 Depth=1
	v_and_b32_e32 v3, 0x7f, v0
	v_mov_b32_e32 v2, 0x7f800001
	s_mov_b32 s16, exec_lo
	s_delay_alu instid0(VALU_DEP_2)
	v_cmpx_ne_u32_e32 0x7f, v3
	s_cbranch_execz .LBB415_3565
; %bb.3562:                             ;   in Loop: Header=BB415_1576 Depth=1
	v_lshrrev_b32_e32 v9, 3, v3
	v_cmp_gt_u32_e64 s1, 8, v3
	v_dual_mov_b32 v3, v1 :: v_dual_mov_b32 v2, v0
	s_delay_alu instid0(VALU_DEP_2)
	s_and_saveexec_b32 s17, s1
; %bb.3563:                             ;   in Loop: Header=BB415_1576 Depth=1
	v_and_b32_e32 v2, 7, v0
	s_delay_alu instid0(VALU_DEP_1) | instskip(NEXT) | instid1(VALU_DEP_1)
	v_clz_i32_u32_e32 v2, v2
	v_min_u32_e32 v9, 32, v2
	s_delay_alu instid0(VALU_DEP_1) | instskip(SKIP_1) | instid1(VALU_DEP_2)
	v_subrev_nc_u32_e32 v2, 28, v9
	v_sub_nc_u32_e32 v9, 29, v9
	v_lshlrev_b64 v[2:3], v2, v[0:1]
; %bb.3564:                             ;   in Loop: Header=BB415_1576 Depth=1
	s_or_b32 exec_lo, exec_lo, s17
	s_delay_alu instid0(VALU_DEP_1) | instskip(SKIP_2) | instid1(VALU_DEP_3)
	v_lshlrev_b32_e32 v2, 20, v2
	v_lshlrev_b32_e32 v3, 24, v0
	v_lshl_add_u32 v9, v9, 23, 0x3c000000
	v_and_b32_e32 v2, 0x700000, v2
	s_delay_alu instid0(VALU_DEP_3) | instskip(NEXT) | instid1(VALU_DEP_1)
	v_and_b32_e32 v3, 0x80000000, v3
	v_or3_b32 v2, v2, v3, v9
.LBB415_3565:                           ;   in Loop: Header=BB415_1576 Depth=1
	s_or_b32 exec_lo, exec_lo, s16
.LBB415_3566:                           ;   in Loop: Header=BB415_1576 Depth=1
	s_delay_alu instid0(SALU_CYCLE_1)
	s_or_b32 exec_lo, exec_lo, s15
.LBB415_3567:                           ;   in Loop: Header=BB415_1576 Depth=1
	s_delay_alu instid0(SALU_CYCLE_1) | instskip(NEXT) | instid1(VALU_DEP_1)
	s_or_b32 exec_lo, exec_lo, s13
	v_mul_f32_e32 v2, v8, v2
                                        ; implicit-def: $vgpr175
	s_delay_alu instid0(VALU_DEP_1) | instskip(NEXT) | instid1(VALU_DEP_1)
	v_and_b32_e32 v3, 0x7f800000, v2
	v_cmp_ne_u32_e64 s1, 0x7f800000, v3
	s_delay_alu instid0(VALU_DEP_1) | instskip(NEXT) | instid1(SALU_CYCLE_1)
	s_and_saveexec_b32 s13, s1
	s_xor_b32 s1, exec_lo, s13
; %bb.3568:                             ;   in Loop: Header=BB415_1576 Depth=1
	v_bfe_u32 v3, v2, 16, 1
	s_delay_alu instid0(VALU_DEP_1)
	v_add3_u32 v175, v2, v3, 0x7fff
                                        ; implicit-def: $vgpr2
; %bb.3569:                             ;   in Loop: Header=BB415_1576 Depth=1
	s_and_not1_saveexec_b32 s13, s1
; %bb.3570:                             ;   in Loop: Header=BB415_1576 Depth=1
	v_and_b32_e32 v3, 0xffff, v2
	v_or_b32_e32 v9, 0x10000, v2
	s_delay_alu instid0(VALU_DEP_2) | instskip(NEXT) | instid1(VALU_DEP_1)
	v_cmp_eq_u32_e64 s1, 0, v3
	v_cndmask_b32_e64 v175, v9, v2, s1
; %bb.3571:                             ;   in Loop: Header=BB415_1576 Depth=1
	s_or_b32 exec_lo, exec_lo, s13
	v_lshrrev_b16 v3, 8, v0
	v_mov_b32_e32 v2, 0
	s_mov_b32 s13, exec_lo
	s_delay_alu instid0(VALU_DEP_2)
	v_cmpx_ne_u16_e32 0, v3
	s_cbranch_execz .LBB415_3579
; %bb.3572:                             ;   in Loop: Header=BB415_1576 Depth=1
	v_bfrev_b32_e32 v2, 1
	s_mov_b32 s15, exec_lo
	v_cmpx_ne_u16_e32 0x80, v3
	s_cbranch_execz .LBB415_3578
; %bb.3573:                             ;   in Loop: Header=BB415_1576 Depth=1
	v_and_b32_e32 v3, 0xffff, v3
	v_mov_b32_e32 v2, 0x7f800001
	s_mov_b32 s16, exec_lo
	s_delay_alu instid0(VALU_DEP_2) | instskip(NEXT) | instid1(VALU_DEP_1)
	v_and_b32_e32 v184, 0x7f, v3
	v_cmpx_ne_u32_e32 0x7f, v184
	s_cbranch_execz .LBB415_3577
; %bb.3574:                             ;   in Loop: Header=BB415_1576 Depth=1
	v_and_b32_e32 v9, 7, v3
	v_lshrrev_b32_e32 v84, 3, v184
	s_mov_b32 s17, exec_lo
	s_delay_alu instid0(VALU_DEP_2)
	v_dual_mov_b32 v2, v9 :: v_dual_mov_b32 v3, v10
	v_cmpx_gt_u32_e32 8, v184
; %bb.3575:                             ;   in Loop: Header=BB415_1576 Depth=1
	v_clz_i32_u32_e32 v2, v9
	s_delay_alu instid0(VALU_DEP_1) | instskip(NEXT) | instid1(VALU_DEP_1)
	v_min_u32_e32 v20, 32, v2
	v_subrev_nc_u32_e32 v2, 28, v20
	v_sub_nc_u32_e32 v84, 29, v20
	s_delay_alu instid0(VALU_DEP_2) | instskip(NEXT) | instid1(VALU_DEP_1)
	v_lshlrev_b64 v[2:3], v2, v[9:10]
	v_and_b32_e32 v2, 7, v2
; %bb.3576:                             ;   in Loop: Header=BB415_1576 Depth=1
	s_or_b32 exec_lo, exec_lo, s17
	v_lshlrev_b32_e32 v3, 16, v0
	s_delay_alu instid0(VALU_DEP_2) | instskip(SKIP_1) | instid1(VALU_DEP_3)
	v_lshlrev_b32_e32 v2, 20, v2
	v_lshl_add_u32 v9, v84, 23, 0x3c000000
	v_and_b32_e32 v3, 0x80000000, v3
	s_delay_alu instid0(VALU_DEP_1)
	v_or3_b32 v2, v2, v3, v9
.LBB415_3577:                           ;   in Loop: Header=BB415_1576 Depth=1
	s_or_b32 exec_lo, exec_lo, s16
.LBB415_3578:                           ;   in Loop: Header=BB415_1576 Depth=1
	s_delay_alu instid0(SALU_CYCLE_1)
	s_or_b32 exec_lo, exec_lo, s15
.LBB415_3579:                           ;   in Loop: Header=BB415_1576 Depth=1
	s_delay_alu instid0(SALU_CYCLE_1) | instskip(NEXT) | instid1(VALU_DEP_1)
	s_or_b32 exec_lo, exec_lo, s13
	v_mul_f32_e32 v2, v8, v2
                                        ; implicit-def: $vgpr184
	s_delay_alu instid0(VALU_DEP_1) | instskip(NEXT) | instid1(VALU_DEP_1)
	v_and_b32_e32 v3, 0x7f800000, v2
	v_cmp_ne_u32_e64 s1, 0x7f800000, v3
	s_delay_alu instid0(VALU_DEP_1) | instskip(NEXT) | instid1(SALU_CYCLE_1)
	s_and_saveexec_b32 s13, s1
	s_xor_b32 s1, exec_lo, s13
; %bb.3580:                             ;   in Loop: Header=BB415_1576 Depth=1
	v_bfe_u32 v3, v2, 16, 1
	s_delay_alu instid0(VALU_DEP_1)
	v_add3_u32 v184, v2, v3, 0x7fff
                                        ; implicit-def: $vgpr2
; %bb.3581:                             ;   in Loop: Header=BB415_1576 Depth=1
	s_and_not1_saveexec_b32 s13, s1
; %bb.3582:                             ;   in Loop: Header=BB415_1576 Depth=1
	v_and_b32_e32 v3, 0xffff, v2
	v_or_b32_e32 v9, 0x10000, v2
	s_delay_alu instid0(VALU_DEP_2) | instskip(NEXT) | instid1(VALU_DEP_1)
	v_cmp_eq_u32_e64 s1, 0, v3
	v_cndmask_b32_e64 v184, v9, v2, s1
; %bb.3583:                             ;   in Loop: Header=BB415_1576 Depth=1
	s_or_b32 exec_lo, exec_lo, s13
	v_lshrrev_b32_e32 v84, 16, v0
	s_mov_b32 s13, exec_lo
	s_delay_alu instid0(VALU_DEP_1) | instskip(NEXT) | instid1(VALU_DEP_1)
	v_dual_mov_b32 v2, 0 :: v_dual_and_b32 v3, 0xff, v84
	v_cmpx_ne_u16_e32 0, v3
	s_cbranch_execz .LBB415_3591
; %bb.3584:                             ;   in Loop: Header=BB415_1576 Depth=1
	v_bfrev_b32_e32 v2, 1
	s_mov_b32 s15, exec_lo
	v_cmpx_ne_u16_e32 0x80, v3
	s_cbranch_execz .LBB415_3590
; %bb.3585:                             ;   in Loop: Header=BB415_1576 Depth=1
	v_bfe_u32 v185, v0, 16, 7
	v_mov_b32_e32 v2, 0x7f800001
	s_mov_b32 s16, exec_lo
	s_delay_alu instid0(VALU_DEP_2)
	v_cmpx_ne_u32_e32 0x7f, v185
	s_cbranch_execz .LBB415_3589
; %bb.3586:                             ;   in Loop: Header=BB415_1576 Depth=1
	v_and_b32_e32 v9, 7, v84
	s_mov_b32 s17, exec_lo
	s_delay_alu instid0(VALU_DEP_1)
	v_dual_mov_b32 v2, v9 :: v_dual_mov_b32 v3, v10
	v_lshrrev_b32_e32 v3, 3, v185
	v_cmpx_gt_u32_e32 8, v185
; %bb.3587:                             ;   in Loop: Header=BB415_1576 Depth=1
	v_clz_i32_u32_e32 v2, v9
	s_delay_alu instid0(VALU_DEP_1) | instskip(NEXT) | instid1(VALU_DEP_1)
	v_min_u32_e32 v20, 32, v2
	v_subrev_nc_u32_e32 v2, 28, v20
	s_delay_alu instid0(VALU_DEP_1) | instskip(SKIP_1) | instid1(VALU_DEP_2)
	v_lshlrev_b64 v[2:3], v2, v[9:10]
	v_sub_nc_u32_e32 v3, 29, v20
	v_and_b32_e32 v2, 7, v2
; %bb.3588:                             ;   in Loop: Header=BB415_1576 Depth=1
	s_or_b32 exec_lo, exec_lo, s17
	v_lshlrev_b32_e32 v9, 24, v84
	s_delay_alu instid0(VALU_DEP_2) | instskip(SKIP_1) | instid1(VALU_DEP_3)
	v_lshlrev_b32_e32 v2, 20, v2
	v_lshl_add_u32 v3, v3, 23, 0x3c000000
	v_and_b32_e32 v9, 0x80000000, v9
	s_delay_alu instid0(VALU_DEP_1)
	v_or3_b32 v2, v2, v9, v3
.LBB415_3589:                           ;   in Loop: Header=BB415_1576 Depth=1
	s_or_b32 exec_lo, exec_lo, s16
.LBB415_3590:                           ;   in Loop: Header=BB415_1576 Depth=1
	s_delay_alu instid0(SALU_CYCLE_1)
	s_or_b32 exec_lo, exec_lo, s15
.LBB415_3591:                           ;   in Loop: Header=BB415_1576 Depth=1
	s_delay_alu instid0(SALU_CYCLE_1) | instskip(NEXT) | instid1(VALU_DEP_1)
	s_or_b32 exec_lo, exec_lo, s13
	v_mul_f32_e32 v2, v8, v2
                                        ; implicit-def: $vgpr185
	s_delay_alu instid0(VALU_DEP_1) | instskip(NEXT) | instid1(VALU_DEP_1)
	v_and_b32_e32 v3, 0x7f800000, v2
	v_cmp_ne_u32_e64 s1, 0x7f800000, v3
	s_delay_alu instid0(VALU_DEP_1) | instskip(NEXT) | instid1(SALU_CYCLE_1)
	s_and_saveexec_b32 s13, s1
	s_xor_b32 s1, exec_lo, s13
; %bb.3592:                             ;   in Loop: Header=BB415_1576 Depth=1
	v_bfe_u32 v3, v2, 16, 1
	s_delay_alu instid0(VALU_DEP_1)
	v_add3_u32 v185, v2, v3, 0x7fff
                                        ; implicit-def: $vgpr2
; %bb.3593:                             ;   in Loop: Header=BB415_1576 Depth=1
	s_and_not1_saveexec_b32 s13, s1
; %bb.3594:                             ;   in Loop: Header=BB415_1576 Depth=1
	v_and_b32_e32 v3, 0xffff, v2
	v_or_b32_e32 v9, 0x10000, v2
	s_delay_alu instid0(VALU_DEP_2) | instskip(NEXT) | instid1(VALU_DEP_1)
	v_cmp_eq_u32_e64 s1, 0, v3
	v_cndmask_b32_e64 v185, v9, v2, s1
; %bb.3595:                             ;   in Loop: Header=BB415_1576 Depth=1
	s_or_b32 exec_lo, exec_lo, s13
	v_mov_b32_e32 v2, 0
	s_mov_b32 s13, exec_lo
	v_cmpx_lt_u32_e32 0xffffff, v0
	s_cbranch_execz .LBB415_3603
; %bb.3596:                             ;   in Loop: Header=BB415_1576 Depth=1
	v_lshrrev_b32_e32 v84, 24, v0
	v_bfrev_b32_e32 v2, 1
	s_mov_b32 s15, exec_lo
	s_delay_alu instid0(VALU_DEP_2)
	v_cmpx_ne_u32_e32 0x80, v84
	s_cbranch_execz .LBB415_3602
; %bb.3597:                             ;   in Loop: Header=BB415_1576 Depth=1
	v_bfe_u32 v186, v0, 24, 7
	v_mov_b32_e32 v2, 0x7f800001
	s_mov_b32 s16, exec_lo
	s_delay_alu instid0(VALU_DEP_2)
	v_cmpx_ne_u32_e32 0x7f, v186
	s_cbranch_execz .LBB415_3601
; %bb.3598:                             ;   in Loop: Header=BB415_1576 Depth=1
	v_and_b32_e32 v9, 7, v84
	s_mov_b32 s17, exec_lo
	s_delay_alu instid0(VALU_DEP_1)
	v_dual_mov_b32 v2, v9 :: v_dual_mov_b32 v3, v10
	v_lshrrev_b32_e32 v3, 3, v186
	v_cmpx_gt_u32_e32 8, v186
; %bb.3599:                             ;   in Loop: Header=BB415_1576 Depth=1
	v_clz_i32_u32_e32 v2, v9
	s_delay_alu instid0(VALU_DEP_1) | instskip(NEXT) | instid1(VALU_DEP_1)
	v_min_u32_e32 v20, 32, v2
	v_subrev_nc_u32_e32 v2, 28, v20
	s_delay_alu instid0(VALU_DEP_1) | instskip(SKIP_1) | instid1(VALU_DEP_2)
	v_lshlrev_b64 v[2:3], v2, v[9:10]
	v_sub_nc_u32_e32 v3, 29, v20
	v_and_b32_e32 v2, 7, v2
; %bb.3600:                             ;   in Loop: Header=BB415_1576 Depth=1
	s_or_b32 exec_lo, exec_lo, s17
	v_lshlrev_b32_e32 v9, 24, v84
	s_delay_alu instid0(VALU_DEP_2) | instskip(SKIP_1) | instid1(VALU_DEP_3)
	v_lshlrev_b32_e32 v2, 20, v2
	v_lshl_add_u32 v3, v3, 23, 0x3c000000
	v_and_b32_e32 v9, 0x80000000, v9
	s_delay_alu instid0(VALU_DEP_1)
	v_or3_b32 v2, v2, v9, v3
.LBB415_3601:                           ;   in Loop: Header=BB415_1576 Depth=1
	s_or_b32 exec_lo, exec_lo, s16
.LBB415_3602:                           ;   in Loop: Header=BB415_1576 Depth=1
	s_delay_alu instid0(SALU_CYCLE_1)
	s_or_b32 exec_lo, exec_lo, s15
.LBB415_3603:                           ;   in Loop: Header=BB415_1576 Depth=1
	s_delay_alu instid0(SALU_CYCLE_1) | instskip(NEXT) | instid1(VALU_DEP_1)
	s_or_b32 exec_lo, exec_lo, s13
	v_mul_f32_e32 v2, v8, v2
                                        ; implicit-def: $vgpr84
	s_delay_alu instid0(VALU_DEP_1) | instskip(NEXT) | instid1(VALU_DEP_1)
	v_and_b32_e32 v3, 0x7f800000, v2
	v_cmp_ne_u32_e64 s1, 0x7f800000, v3
	s_delay_alu instid0(VALU_DEP_1) | instskip(NEXT) | instid1(SALU_CYCLE_1)
	s_and_saveexec_b32 s13, s1
	s_xor_b32 s1, exec_lo, s13
; %bb.3604:                             ;   in Loop: Header=BB415_1576 Depth=1
	v_bfe_u32 v3, v2, 16, 1
	s_delay_alu instid0(VALU_DEP_1)
	v_add3_u32 v84, v2, v3, 0x7fff
                                        ; implicit-def: $vgpr2
; %bb.3605:                             ;   in Loop: Header=BB415_1576 Depth=1
	s_and_not1_saveexec_b32 s13, s1
; %bb.3606:                             ;   in Loop: Header=BB415_1576 Depth=1
	v_and_b32_e32 v3, 0xffff, v2
	v_or_b32_e32 v9, 0x10000, v2
	s_delay_alu instid0(VALU_DEP_2) | instskip(NEXT) | instid1(VALU_DEP_1)
	v_cmp_eq_u32_e64 s1, 0, v3
	v_cndmask_b32_e64 v84, v9, v2, s1
; %bb.3607:                             ;   in Loop: Header=BB415_1576 Depth=1
	s_or_b32 exec_lo, exec_lo, s13
	v_dual_mov_b32 v2, 0 :: v_dual_and_b32 v3, 0xff, v1
	v_mov_b32_e32 v9, v1
	s_mov_b32 s13, exec_lo
	s_delay_alu instid0(VALU_DEP_2)
	v_cmpx_ne_u16_e32 0, v3
	s_cbranch_execz .LBB415_3615
; %bb.3608:                             ;   in Loop: Header=BB415_1576 Depth=1
	v_bfrev_b32_e32 v2, 1
	s_mov_b32 s15, exec_lo
	v_cmpx_ne_u16_e32 0x80, v3
	s_cbranch_execz .LBB415_3614
; %bb.3609:                             ;   in Loop: Header=BB415_1576 Depth=1
	v_and_b32_e32 v186, 0x7f, v1
	v_mov_b32_e32 v2, 0x7f800001
	s_mov_b32 s16, exec_lo
	s_delay_alu instid0(VALU_DEP_2)
	v_cmpx_ne_u32_e32 0x7f, v186
	s_cbranch_execz .LBB415_3613
; %bb.3610:                             ;   in Loop: Header=BB415_1576 Depth=1
	v_dual_mov_b32 v2, v9 :: v_dual_mov_b32 v3, v10
	v_lshrrev_b32_e32 v3, 3, v186
	s_mov_b32 s17, exec_lo
	v_cmpx_gt_u32_e32 8, v186
; %bb.3611:                             ;   in Loop: Header=BB415_1576 Depth=1
	v_and_b32_e32 v2, 7, v1
	s_delay_alu instid0(VALU_DEP_1) | instskip(NEXT) | instid1(VALU_DEP_1)
	v_clz_i32_u32_e32 v2, v2
	v_min_u32_e32 v20, 32, v2
	s_delay_alu instid0(VALU_DEP_1) | instskip(NEXT) | instid1(VALU_DEP_1)
	v_subrev_nc_u32_e32 v2, 28, v20
	v_lshlrev_b64 v[2:3], v2, v[9:10]
	v_sub_nc_u32_e32 v3, 29, v20
; %bb.3612:                             ;   in Loop: Header=BB415_1576 Depth=1
	s_or_b32 exec_lo, exec_lo, s17
	s_delay_alu instid0(VALU_DEP_2) | instskip(SKIP_1) | instid1(VALU_DEP_3)
	v_lshlrev_b32_e32 v2, 20, v2
	v_lshlrev_b32_e32 v20, 24, v9
	v_lshl_add_u32 v3, v3, 23, 0x3c000000
	s_delay_alu instid0(VALU_DEP_3) | instskip(NEXT) | instid1(VALU_DEP_3)
	v_and_b32_e32 v2, 0x700000, v2
	v_and_b32_e32 v20, 0x80000000, v20
	s_delay_alu instid0(VALU_DEP_1)
	v_or3_b32 v2, v2, v20, v3
.LBB415_3613:                           ;   in Loop: Header=BB415_1576 Depth=1
	s_or_b32 exec_lo, exec_lo, s16
.LBB415_3614:                           ;   in Loop: Header=BB415_1576 Depth=1
	s_delay_alu instid0(SALU_CYCLE_1)
	s_or_b32 exec_lo, exec_lo, s15
.LBB415_3615:                           ;   in Loop: Header=BB415_1576 Depth=1
	s_delay_alu instid0(SALU_CYCLE_1) | instskip(NEXT) | instid1(VALU_DEP_1)
	s_or_b32 exec_lo, exec_lo, s13
	v_mul_f32_e32 v2, v8, v2
                                        ; implicit-def: $vgpr186
	s_delay_alu instid0(VALU_DEP_1) | instskip(NEXT) | instid1(VALU_DEP_1)
	v_and_b32_e32 v3, 0x7f800000, v2
	v_cmp_ne_u32_e64 s1, 0x7f800000, v3
	s_delay_alu instid0(VALU_DEP_1) | instskip(NEXT) | instid1(SALU_CYCLE_1)
	s_and_saveexec_b32 s13, s1
	s_xor_b32 s1, exec_lo, s13
; %bb.3616:                             ;   in Loop: Header=BB415_1576 Depth=1
	v_bfe_u32 v3, v2, 16, 1
	s_delay_alu instid0(VALU_DEP_1)
	v_add3_u32 v186, v2, v3, 0x7fff
                                        ; implicit-def: $vgpr2
; %bb.3617:                             ;   in Loop: Header=BB415_1576 Depth=1
	s_and_not1_saveexec_b32 s13, s1
; %bb.3618:                             ;   in Loop: Header=BB415_1576 Depth=1
	v_and_b32_e32 v3, 0xffff, v2
	v_or_b32_e32 v20, 0x10000, v2
	s_delay_alu instid0(VALU_DEP_2) | instskip(NEXT) | instid1(VALU_DEP_1)
	v_cmp_eq_u32_e64 s1, 0, v3
	v_cndmask_b32_e64 v186, v20, v2, s1
; %bb.3619:                             ;   in Loop: Header=BB415_1576 Depth=1
	s_or_b32 exec_lo, exec_lo, s13
	v_lshrrev_b16 v3, 8, v9
	v_mov_b32_e32 v2, 0
	s_mov_b32 s13, exec_lo
	s_delay_alu instid0(VALU_DEP_2)
	v_cmpx_ne_u16_e32 0, v3
	s_cbranch_execz .LBB415_3627
; %bb.3620:                             ;   in Loop: Header=BB415_1576 Depth=1
	v_bfrev_b32_e32 v2, 1
	s_mov_b32 s15, exec_lo
	v_cmpx_ne_u16_e32 0x80, v3
	s_cbranch_execz .LBB415_3626
; %bb.3621:                             ;   in Loop: Header=BB415_1576 Depth=1
	v_and_b32_e32 v3, 0xffff, v3
	v_mov_b32_e32 v2, 0x7f800001
	s_mov_b32 s16, exec_lo
	s_delay_alu instid0(VALU_DEP_2) | instskip(NEXT) | instid1(VALU_DEP_1)
	v_and_b32_e32 v188, 0x7f, v3
	v_cmpx_ne_u32_e32 0x7f, v188
	s_cbranch_execz .LBB415_3625
; %bb.3622:                             ;   in Loop: Header=BB415_1576 Depth=1
	v_dual_mov_b32 v3, v10 :: v_dual_and_b32 v2, 7, v3
	v_lshrrev_b32_e32 v187, 3, v188
	s_mov_b32 s17, exec_lo
	v_cmpx_gt_u32_e32 8, v188
; %bb.3623:                             ;   in Loop: Header=BB415_1576 Depth=1
	s_delay_alu instid0(VALU_DEP_3) | instskip(NEXT) | instid1(VALU_DEP_1)
	v_clz_i32_u32_e32 v20, v2
	v_min_u32_e32 v20, 32, v20
	s_delay_alu instid0(VALU_DEP_1) | instskip(SKIP_1) | instid1(VALU_DEP_2)
	v_subrev_nc_u32_e32 v22, 28, v20
	v_sub_nc_u32_e32 v187, 29, v20
	v_lshlrev_b64 v[2:3], v22, v[2:3]
	s_delay_alu instid0(VALU_DEP_1)
	v_and_b32_e32 v2, 7, v2
; %bb.3624:                             ;   in Loop: Header=BB415_1576 Depth=1
	s_or_b32 exec_lo, exec_lo, s17
	v_lshlrev_b32_e32 v3, 16, v9
	s_delay_alu instid0(VALU_DEP_2) | instskip(SKIP_1) | instid1(VALU_DEP_3)
	v_lshlrev_b32_e32 v2, 20, v2
	v_lshl_add_u32 v9, v187, 23, 0x3c000000
	v_and_b32_e32 v3, 0x80000000, v3
	s_delay_alu instid0(VALU_DEP_1)
	v_or3_b32 v2, v2, v3, v9
.LBB415_3625:                           ;   in Loop: Header=BB415_1576 Depth=1
	s_or_b32 exec_lo, exec_lo, s16
.LBB415_3626:                           ;   in Loop: Header=BB415_1576 Depth=1
	s_delay_alu instid0(SALU_CYCLE_1)
	s_or_b32 exec_lo, exec_lo, s15
.LBB415_3627:                           ;   in Loop: Header=BB415_1576 Depth=1
	s_delay_alu instid0(SALU_CYCLE_1) | instskip(NEXT) | instid1(VALU_DEP_1)
	s_or_b32 exec_lo, exec_lo, s13
	v_mul_f32_e32 v2, v8, v2
                                        ; implicit-def: $vgpr187
	s_delay_alu instid0(VALU_DEP_1) | instskip(NEXT) | instid1(VALU_DEP_1)
	v_and_b32_e32 v3, 0x7f800000, v2
	v_cmp_ne_u32_e64 s1, 0x7f800000, v3
	s_delay_alu instid0(VALU_DEP_1) | instskip(NEXT) | instid1(SALU_CYCLE_1)
	s_and_saveexec_b32 s13, s1
	s_xor_b32 s1, exec_lo, s13
; %bb.3628:                             ;   in Loop: Header=BB415_1576 Depth=1
	v_bfe_u32 v3, v2, 16, 1
	s_delay_alu instid0(VALU_DEP_1)
	v_add3_u32 v187, v2, v3, 0x7fff
                                        ; implicit-def: $vgpr2
; %bb.3629:                             ;   in Loop: Header=BB415_1576 Depth=1
	s_and_not1_saveexec_b32 s13, s1
; %bb.3630:                             ;   in Loop: Header=BB415_1576 Depth=1
	v_and_b32_e32 v3, 0xffff, v2
	v_or_b32_e32 v9, 0x10000, v2
	s_delay_alu instid0(VALU_DEP_2) | instskip(NEXT) | instid1(VALU_DEP_1)
	v_cmp_eq_u32_e64 s1, 0, v3
	v_cndmask_b32_e64 v187, v9, v2, s1
; %bb.3631:                             ;   in Loop: Header=BB415_1576 Depth=1
	s_or_b32 exec_lo, exec_lo, s13
	v_lshrrev_b32_e32 v188, 16, v1
	s_mov_b32 s13, exec_lo
	s_delay_alu instid0(VALU_DEP_1) | instskip(NEXT) | instid1(VALU_DEP_1)
	v_dual_mov_b32 v2, 0 :: v_dual_and_b32 v3, 0xff, v188
	v_cmpx_ne_u16_e32 0, v3
	s_cbranch_execz .LBB415_3639
; %bb.3632:                             ;   in Loop: Header=BB415_1576 Depth=1
	v_bfrev_b32_e32 v2, 1
	s_mov_b32 s15, exec_lo
	v_cmpx_ne_u16_e32 0x80, v3
	s_cbranch_execz .LBB415_3638
; %bb.3633:                             ;   in Loop: Header=BB415_1576 Depth=1
	v_bfe_u32 v189, v1, 16, 7
	v_mov_b32_e32 v2, 0x7f800001
	s_mov_b32 s16, exec_lo
	s_delay_alu instid0(VALU_DEP_2)
	v_cmpx_ne_u32_e32 0x7f, v189
	s_cbranch_execz .LBB415_3637
; %bb.3634:                             ;   in Loop: Header=BB415_1576 Depth=1
	v_and_b32_e32 v9, 7, v188
	s_mov_b32 s17, exec_lo
	s_delay_alu instid0(VALU_DEP_1)
	v_dual_mov_b32 v2, v9 :: v_dual_mov_b32 v3, v10
	v_lshrrev_b32_e32 v3, 3, v189
	v_cmpx_gt_u32_e32 8, v189
; %bb.3635:                             ;   in Loop: Header=BB415_1576 Depth=1
	v_clz_i32_u32_e32 v2, v9
	s_delay_alu instid0(VALU_DEP_1) | instskip(NEXT) | instid1(VALU_DEP_1)
	v_min_u32_e32 v20, 32, v2
	v_subrev_nc_u32_e32 v2, 28, v20
	s_delay_alu instid0(VALU_DEP_1) | instskip(SKIP_1) | instid1(VALU_DEP_2)
	v_lshlrev_b64 v[2:3], v2, v[9:10]
	v_sub_nc_u32_e32 v3, 29, v20
	v_and_b32_e32 v2, 7, v2
; %bb.3636:                             ;   in Loop: Header=BB415_1576 Depth=1
	s_or_b32 exec_lo, exec_lo, s17
	v_lshlrev_b32_e32 v9, 24, v188
	s_delay_alu instid0(VALU_DEP_2) | instskip(SKIP_1) | instid1(VALU_DEP_3)
	v_lshlrev_b32_e32 v2, 20, v2
	v_lshl_add_u32 v3, v3, 23, 0x3c000000
	v_and_b32_e32 v9, 0x80000000, v9
	s_delay_alu instid0(VALU_DEP_1)
	v_or3_b32 v2, v2, v9, v3
.LBB415_3637:                           ;   in Loop: Header=BB415_1576 Depth=1
	s_or_b32 exec_lo, exec_lo, s16
.LBB415_3638:                           ;   in Loop: Header=BB415_1576 Depth=1
	s_delay_alu instid0(SALU_CYCLE_1)
	s_or_b32 exec_lo, exec_lo, s15
.LBB415_3639:                           ;   in Loop: Header=BB415_1576 Depth=1
	s_delay_alu instid0(SALU_CYCLE_1) | instskip(NEXT) | instid1(VALU_DEP_1)
	s_or_b32 exec_lo, exec_lo, s13
	v_mul_f32_e32 v3, v8, v2
	s_delay_alu instid0(VALU_DEP_1) | instskip(NEXT) | instid1(VALU_DEP_1)
	v_and_b32_e32 v2, 0x7f800000, v3
	v_cmp_ne_u32_e64 s1, 0x7f800000, v2
                                        ; implicit-def: $vgpr2
	s_delay_alu instid0(VALU_DEP_1) | instskip(NEXT) | instid1(SALU_CYCLE_1)
	s_and_saveexec_b32 s13, s1
	s_xor_b32 s1, exec_lo, s13
; %bb.3640:                             ;   in Loop: Header=BB415_1576 Depth=1
	v_bfe_u32 v2, v3, 16, 1
	s_delay_alu instid0(VALU_DEP_1)
	v_add3_u32 v2, v3, v2, 0x7fff
                                        ; implicit-def: $vgpr3
; %bb.3641:                             ;   in Loop: Header=BB415_1576 Depth=1
	s_and_not1_saveexec_b32 s13, s1
; %bb.3642:                             ;   in Loop: Header=BB415_1576 Depth=1
	v_and_b32_e32 v2, 0xffff, v3
	v_or_b32_e32 v9, 0x10000, v3
	s_delay_alu instid0(VALU_DEP_2) | instskip(NEXT) | instid1(VALU_DEP_1)
	v_cmp_eq_u32_e64 s1, 0, v2
	v_cndmask_b32_e64 v2, v9, v3, s1
; %bb.3643:                             ;   in Loop: Header=BB415_1576 Depth=1
	s_or_b32 exec_lo, exec_lo, s13
	v_cmp_lt_u64_e64 s1, s[4:5], v[0:1]
	v_mov_b32_e32 v0, 0
	s_delay_alu instid0(VALU_DEP_2)
	s_and_saveexec_b32 s13, s1
	s_cbranch_execz .LBB415_3651
; %bb.3644:                             ;   in Loop: Header=BB415_1576 Depth=1
	v_lshrrev_b32_e32 v3, 24, v1
	v_bfrev_b32_e32 v0, 1
	s_mov_b32 s15, exec_lo
	s_delay_alu instid0(VALU_DEP_2)
	v_cmpx_ne_u32_e32 0x80, v3
	s_cbranch_execz .LBB415_3650
; %bb.3645:                             ;   in Loop: Header=BB415_1576 Depth=1
	v_bfe_u32 v188, v1, 24, 7
	v_mov_b32_e32 v0, 0x7f800001
	s_mov_b32 s16, exec_lo
	s_delay_alu instid0(VALU_DEP_2)
	v_cmpx_ne_u32_e32 0x7f, v188
	s_cbranch_execz .LBB415_3649
; %bb.3646:                             ;   in Loop: Header=BB415_1576 Depth=1
	v_and_b32_e32 v9, 7, v3
	s_mov_b32 s17, exec_lo
	s_delay_alu instid0(VALU_DEP_1)
	v_dual_mov_b32 v0, v9 :: v_dual_mov_b32 v1, v10
	v_lshrrev_b32_e32 v1, 3, v188
	v_cmpx_gt_u32_e32 8, v188
; %bb.3647:                             ;   in Loop: Header=BB415_1576 Depth=1
	v_clz_i32_u32_e32 v0, v9
	s_delay_alu instid0(VALU_DEP_1) | instskip(NEXT) | instid1(VALU_DEP_1)
	v_min_u32_e32 v20, 32, v0
	v_subrev_nc_u32_e32 v0, 28, v20
	s_delay_alu instid0(VALU_DEP_1) | instskip(SKIP_1) | instid1(VALU_DEP_2)
	v_lshlrev_b64 v[0:1], v0, v[9:10]
	v_sub_nc_u32_e32 v1, 29, v20
	v_and_b32_e32 v0, 7, v0
; %bb.3648:                             ;   in Loop: Header=BB415_1576 Depth=1
	s_or_b32 exec_lo, exec_lo, s17
	v_lshlrev_b32_e32 v3, 24, v3
	s_delay_alu instid0(VALU_DEP_2) | instskip(SKIP_1) | instid1(VALU_DEP_3)
	v_lshlrev_b32_e32 v0, 20, v0
	v_lshl_add_u32 v1, v1, 23, 0x3c000000
	v_and_b32_e32 v3, 0x80000000, v3
	s_delay_alu instid0(VALU_DEP_1)
	v_or3_b32 v0, v0, v3, v1
.LBB415_3649:                           ;   in Loop: Header=BB415_1576 Depth=1
	s_or_b32 exec_lo, exec_lo, s16
.LBB415_3650:                           ;   in Loop: Header=BB415_1576 Depth=1
	s_delay_alu instid0(SALU_CYCLE_1)
	s_or_b32 exec_lo, exec_lo, s15
.LBB415_3651:                           ;   in Loop: Header=BB415_1576 Depth=1
	s_delay_alu instid0(SALU_CYCLE_1) | instskip(NEXT) | instid1(VALU_DEP_1)
	s_or_b32 exec_lo, exec_lo, s13
	v_mul_f32_e32 v0, v8, v0
                                        ; implicit-def: $vgpr188
	s_delay_alu instid0(VALU_DEP_1) | instskip(NEXT) | instid1(VALU_DEP_1)
	v_and_b32_e32 v1, 0x7f800000, v0
	v_cmp_ne_u32_e64 s1, 0x7f800000, v1
	s_delay_alu instid0(VALU_DEP_1) | instskip(NEXT) | instid1(SALU_CYCLE_1)
	s_and_saveexec_b32 s13, s1
	s_xor_b32 s1, exec_lo, s13
; %bb.3652:                             ;   in Loop: Header=BB415_1576 Depth=1
	v_bfe_u32 v1, v0, 16, 1
	s_delay_alu instid0(VALU_DEP_1)
	v_add3_u32 v188, v0, v1, 0x7fff
                                        ; implicit-def: $vgpr0
; %bb.3653:                             ;   in Loop: Header=BB415_1576 Depth=1
	s_and_not1_saveexec_b32 s13, s1
; %bb.3654:                             ;   in Loop: Header=BB415_1576 Depth=1
	v_and_b32_e32 v1, 0xffff, v0
	v_or_b32_e32 v3, 0x10000, v0
	s_delay_alu instid0(VALU_DEP_2) | instskip(NEXT) | instid1(VALU_DEP_1)
	v_cmp_eq_u32_e64 s1, 0, v1
	v_cndmask_b32_e64 v188, v3, v0, s1
; %bb.3655:                             ;   in Loop: Header=BB415_1576 Depth=1
	s_or_b32 exec_lo, exec_lo, s13
	v_lshrrev_b32_e32 v9, 16, v187
	v_lshrrev_b32_e32 v8, 16, v186
	;; [unrolled: 1-line block ×8, first 2 shown]
	s_and_saveexec_b32 s1, vcc_lo
	s_cbranch_execz .LBB415_3657
; %bb.3656:                             ;   in Loop: Header=BB415_1576 Depth=1
	v_cmp_lt_i32_e32 vcc_lo, v70, v86
	v_cndmask_b32_e32 v0, 0, v0, vcc_lo
	v_cmp_lt_i32_e32 vcc_lo, v101, v86
	v_cndmask_b32_e32 v1, 0, v1, vcc_lo
	;; [unrolled: 2-line block ×8, first 2 shown]
.LBB415_3657:                           ;   in Loop: Header=BB415_1576 Depth=1
	s_or_b32 exec_lo, exec_lo, s1
	v_lshlrev_b32_e32 v0, 16, v0
	s_delay_alu instid0(VALU_DEP_1) | instskip(NEXT) | instid1(VALU_DEP_1)
	v_mul_f32_e32 v2, v102, v0
	v_and_b32_e32 v0, 0x7f800000, v2
	s_delay_alu instid0(VALU_DEP_1) | instskip(SKIP_1) | instid1(SALU_CYCLE_1)
	v_cmp_ne_u32_e32 vcc_lo, 0x7f800000, v0
                                        ; implicit-def: $vgpr0
	s_and_saveexec_b32 s1, vcc_lo
	s_xor_b32 s1, exec_lo, s1
; %bb.3658:                             ;   in Loop: Header=BB415_1576 Depth=1
	v_bfe_u32 v0, v2, 16, 1
	s_delay_alu instid0(VALU_DEP_1)
	v_add3_u32 v0, v2, v0, 0x7fff
                                        ; implicit-def: $vgpr2
; %bb.3659:                             ;   in Loop: Header=BB415_1576 Depth=1
	s_and_not1_saveexec_b32 s1, s1
; %bb.3660:                             ;   in Loop: Header=BB415_1576 Depth=1
	v_and_b32_e32 v0, 0xffff, v2
	v_or_b32_e32 v20, 0x10000, v2
	s_delay_alu instid0(VALU_DEP_2) | instskip(NEXT) | instid1(VALU_DEP_2)
	v_cmp_eq_u32_e32 vcc_lo, 0, v0
	v_cndmask_b32_e32 v0, v20, v2, vcc_lo
; %bb.3661:                             ;   in Loop: Header=BB415_1576 Depth=1
	s_or_b32 exec_lo, exec_lo, s1
	v_lshlrev_b32_e32 v1, 16, v1
	s_delay_alu instid0(VALU_DEP_1) | instskip(NEXT) | instid1(VALU_DEP_1)
	v_mul_f32_e32 v2, v103, v1
	v_and_b32_e32 v1, 0x7f800000, v2
	s_delay_alu instid0(VALU_DEP_1) | instskip(SKIP_1) | instid1(SALU_CYCLE_1)
	v_cmp_ne_u32_e32 vcc_lo, 0x7f800000, v1
                                        ; implicit-def: $vgpr1
	s_and_saveexec_b32 s1, vcc_lo
	s_xor_b32 s1, exec_lo, s1
; %bb.3662:                             ;   in Loop: Header=BB415_1576 Depth=1
	v_bfe_u32 v1, v2, 16, 1
	s_delay_alu instid0(VALU_DEP_1)
	v_add3_u32 v1, v2, v1, 0x7fff
                                        ; implicit-def: $vgpr2
; %bb.3663:                             ;   in Loop: Header=BB415_1576 Depth=1
	s_and_not1_saveexec_b32 s1, s1
; %bb.3664:                             ;   in Loop: Header=BB415_1576 Depth=1
	v_and_b32_e32 v1, 0xffff, v2
	v_or_b32_e32 v20, 0x10000, v2
	s_delay_alu instid0(VALU_DEP_2) | instskip(NEXT) | instid1(VALU_DEP_2)
	v_cmp_eq_u32_e32 vcc_lo, 0, v1
	v_cndmask_b32_e32 v1, v20, v2, vcc_lo
; %bb.3665:                             ;   in Loop: Header=BB415_1576 Depth=1
	s_or_b32 exec_lo, exec_lo, s1
	v_lshlrev_b32_e32 v2, 16, v185
	s_delay_alu instid0(VALU_DEP_1) | instskip(NEXT) | instid1(VALU_DEP_1)
	v_mul_f32_e32 v70, v112, v2
	v_and_b32_e32 v2, 0x7f800000, v70
	s_delay_alu instid0(VALU_DEP_1) | instskip(SKIP_1) | instid1(SALU_CYCLE_1)
	v_cmp_ne_u32_e32 vcc_lo, 0x7f800000, v2
                                        ; implicit-def: $vgpr2
	s_and_saveexec_b32 s1, vcc_lo
	s_xor_b32 s1, exec_lo, s1
; %bb.3666:                             ;   in Loop: Header=BB415_1576 Depth=1
	v_bfe_u32 v2, v70, 16, 1
	s_delay_alu instid0(VALU_DEP_1)
	v_add3_u32 v2, v70, v2, 0x7fff
                                        ; implicit-def: $vgpr70
; %bb.3667:                             ;   in Loop: Header=BB415_1576 Depth=1
	s_and_not1_saveexec_b32 s1, s1
; %bb.3668:                             ;   in Loop: Header=BB415_1576 Depth=1
	v_and_b32_e32 v2, 0xffff, v70
	v_or_b32_e32 v20, 0x10000, v70
	s_delay_alu instid0(VALU_DEP_2) | instskip(NEXT) | instid1(VALU_DEP_2)
	v_cmp_eq_u32_e32 vcc_lo, 0, v2
	v_cndmask_b32_e32 v2, v20, v70, vcc_lo
; %bb.3669:                             ;   in Loop: Header=BB415_1576 Depth=1
	s_or_b32 exec_lo, exec_lo, s1
	v_lshlrev_b32_e32 v3, 16, v3
	s_delay_alu instid0(VALU_DEP_1) | instskip(NEXT) | instid1(VALU_DEP_1)
	v_mul_f32_e32 v70, v113, v3
	v_and_b32_e32 v3, 0x7f800000, v70
	s_delay_alu instid0(VALU_DEP_1) | instskip(SKIP_1) | instid1(SALU_CYCLE_1)
	v_cmp_ne_u32_e32 vcc_lo, 0x7f800000, v3
                                        ; implicit-def: $vgpr3
	s_and_saveexec_b32 s1, vcc_lo
	s_xor_b32 s1, exec_lo, s1
; %bb.3670:                             ;   in Loop: Header=BB415_1576 Depth=1
	v_bfe_u32 v3, v70, 16, 1
	s_delay_alu instid0(VALU_DEP_1)
	v_add3_u32 v3, v70, v3, 0x7fff
                                        ; implicit-def: $vgpr70
; %bb.3671:                             ;   in Loop: Header=BB415_1576 Depth=1
	s_and_not1_saveexec_b32 s1, s1
; %bb.3672:                             ;   in Loop: Header=BB415_1576 Depth=1
	v_and_b32_e32 v3, 0xffff, v70
	v_or_b32_e32 v20, 0x10000, v70
	s_delay_alu instid0(VALU_DEP_2) | instskip(NEXT) | instid1(VALU_DEP_2)
	v_cmp_eq_u32_e32 vcc_lo, 0, v3
	v_cndmask_b32_e32 v3, v20, v70, vcc_lo
; %bb.3673:                             ;   in Loop: Header=BB415_1576 Depth=1
	s_or_b32 exec_lo, exec_lo, s1
	v_lshlrev_b32_e32 v8, 16, v8
	s_delay_alu instid0(VALU_DEP_1) | instskip(NEXT) | instid1(VALU_DEP_1)
	v_mul_f32_e32 v70, v114, v8
	v_and_b32_e32 v8, 0x7f800000, v70
	s_delay_alu instid0(VALU_DEP_1) | instskip(SKIP_1) | instid1(SALU_CYCLE_1)
	v_cmp_ne_u32_e32 vcc_lo, 0x7f800000, v8
                                        ; implicit-def: $vgpr8
	s_and_saveexec_b32 s1, vcc_lo
	s_xor_b32 s1, exec_lo, s1
; %bb.3674:                             ;   in Loop: Header=BB415_1576 Depth=1
	v_bfe_u32 v8, v70, 16, 1
	s_delay_alu instid0(VALU_DEP_1)
	v_add3_u32 v8, v70, v8, 0x7fff
                                        ; implicit-def: $vgpr70
; %bb.3675:                             ;   in Loop: Header=BB415_1576 Depth=1
	s_and_not1_saveexec_b32 s1, s1
; %bb.3676:                             ;   in Loop: Header=BB415_1576 Depth=1
	v_and_b32_e32 v8, 0xffff, v70
	v_or_b32_e32 v20, 0x10000, v70
	s_delay_alu instid0(VALU_DEP_2) | instskip(NEXT) | instid1(VALU_DEP_2)
	v_cmp_eq_u32_e32 vcc_lo, 0, v8
	v_cndmask_b32_e32 v8, v20, v70, vcc_lo
; %bb.3677:                             ;   in Loop: Header=BB415_1576 Depth=1
	s_or_b32 exec_lo, exec_lo, s1
	v_lshlrev_b32_e32 v9, 16, v9
	s_delay_alu instid0(VALU_DEP_1) | instskip(NEXT) | instid1(VALU_DEP_1)
	v_mul_f32_e32 v70, v115, v9
	v_and_b32_e32 v9, 0x7f800000, v70
	s_delay_alu instid0(VALU_DEP_1) | instskip(SKIP_1) | instid1(SALU_CYCLE_1)
	v_cmp_ne_u32_e32 vcc_lo, 0x7f800000, v9
                                        ; implicit-def: $vgpr9
	s_and_saveexec_b32 s1, vcc_lo
	s_xor_b32 s1, exec_lo, s1
; %bb.3678:                             ;   in Loop: Header=BB415_1576 Depth=1
	v_bfe_u32 v9, v70, 16, 1
	s_delay_alu instid0(VALU_DEP_1)
	v_add3_u32 v9, v70, v9, 0x7fff
                                        ; implicit-def: $vgpr70
; %bb.3679:                             ;   in Loop: Header=BB415_1576 Depth=1
	s_and_not1_saveexec_b32 s1, s1
; %bb.3680:                             ;   in Loop: Header=BB415_1576 Depth=1
	v_and_b32_e32 v9, 0xffff, v70
	v_or_b32_e32 v20, 0x10000, v70
	s_delay_alu instid0(VALU_DEP_2) | instskip(NEXT) | instid1(VALU_DEP_2)
	v_cmp_eq_u32_e32 vcc_lo, 0, v9
	v_cndmask_b32_e32 v9, v20, v70, vcc_lo
; %bb.3681:                             ;   in Loop: Header=BB415_1576 Depth=1
	s_or_b32 exec_lo, exec_lo, s1
	v_lshlrev_b32_e32 v20, 16, v175
	s_mov_b32 s1, exec_lo
                                        ; implicit-def: $vgpr70
	s_delay_alu instid0(VALU_DEP_1) | instskip(NEXT) | instid1(VALU_DEP_1)
	v_mul_f32_e32 v71, v116, v20
	v_and_b32_e32 v20, 0x7f800000, v71
	s_delay_alu instid0(VALU_DEP_1)
	v_cmpx_ne_u32_e32 0x7f800000, v20
	s_xor_b32 s1, exec_lo, s1
; %bb.3682:                             ;   in Loop: Header=BB415_1576 Depth=1
	v_bfe_u32 v20, v71, 16, 1
	s_delay_alu instid0(VALU_DEP_1)
	v_add3_u32 v70, v71, v20, 0x7fff
                                        ; implicit-def: $vgpr71
; %bb.3683:                             ;   in Loop: Header=BB415_1576 Depth=1
	s_and_not1_saveexec_b32 s1, s1
; %bb.3684:                             ;   in Loop: Header=BB415_1576 Depth=1
	v_and_b32_e32 v20, 0xffff, v71
	v_or_b32_e32 v22, 0x10000, v71
	s_delay_alu instid0(VALU_DEP_2) | instskip(NEXT) | instid1(VALU_DEP_2)
	v_cmp_eq_u32_e32 vcc_lo, 0, v20
	v_cndmask_b32_e32 v70, v22, v71, vcc_lo
; %bb.3685:                             ;   in Loop: Header=BB415_1576 Depth=1
	s_or_b32 exec_lo, exec_lo, s1
	v_lshlrev_b32_e32 v20, 16, v84
	s_mov_b32 s1, exec_lo
                                        ; implicit-def: $vgpr71
	s_delay_alu instid0(VALU_DEP_1) | instskip(NEXT) | instid1(VALU_DEP_1)
	v_mul_f32_e32 v80, v117, v20
	v_and_b32_e32 v20, 0x7f800000, v80
	s_delay_alu instid0(VALU_DEP_1)
	v_cmpx_ne_u32_e32 0x7f800000, v20
	s_xor_b32 s1, exec_lo, s1
; %bb.3686:                             ;   in Loop: Header=BB415_1576 Depth=1
	v_bfe_u32 v20, v80, 16, 1
	s_delay_alu instid0(VALU_DEP_1)
	v_add3_u32 v71, v80, v20, 0x7fff
                                        ; implicit-def: $vgpr80
; %bb.3687:                             ;   in Loop: Header=BB415_1576 Depth=1
	s_and_not1_saveexec_b32 s1, s1
	s_cbranch_execz .LBB415_1574
; %bb.3688:                             ;   in Loop: Header=BB415_1576 Depth=1
	v_and_b32_e32 v20, 0xffff, v80
	v_or_b32_e32 v22, 0x10000, v80
	s_delay_alu instid0(VALU_DEP_2) | instskip(NEXT) | instid1(VALU_DEP_2)
	v_cmp_eq_u32_e32 vcc_lo, 0, v20
	v_cndmask_b32_e32 v71, v22, v80, vcc_lo
	s_branch .LBB415_1574
.LBB415_3689:
	s_or_b32 exec_lo, exec_lo, s11
.LBB415_3690:
	s_delay_alu instid0(SALU_CYCLE_1)
	s_or_b32 exec_lo, exec_lo, s9
	ds_bpermute_b32 v0, v17, v49
	ds_bpermute_b32 v1, v17, v48
	;; [unrolled: 1-line block ×16, first 2 shown]
	s_waitcnt lgkmcnt(0)
	s_waitcnt_vscnt null, 0x0
	s_barrier
	buffer_gl0_inv
	s_load_b32 s1, s[2:3], 0x0
	v_dual_add_f32 v0, v49, v0 :: v_dual_add_f32 v17, v48, v1
	scratch_load_b32 v1, off, s32 offset:376 ; 4-byte Folded Reload
	v_dual_add_f32 v15, v38, v2 :: v_dual_add_f32 v14, v37, v3
	v_dual_add_f32 v13, v36, v4 :: v_dual_add_f32 v12, v35, v5
	;; [unrolled: 1-line block ×3, first 2 shown]
	v_add_f32_e32 v9, v32, v8
	v_dual_add_f32 v8, v31, v20 :: v_dual_add_f32 v7, v29, v21
	v_dual_add_f32 v6, v28, v22 :: v_dual_add_f32 v5, v25, v23
	;; [unrolled: 1-line block ×3, first 2 shown]
	v_add_f32_e32 v2, v18, v30
	s_mov_b32 s2, exec_lo
	s_waitcnt vmcnt(0)
	v_and_b32_e32 v20, 0x3c1, v1
	v_lshrrev_b32_e32 v1, 1, v16
	scratch_load_b32 v16, off, s32 offset:428 ; 4-byte Folded Reload
	s_waitcnt vmcnt(0) lgkmcnt(0)
	v_lshl_add_u32 v16, v16, 10, s1
	v_cmpx_eq_u32_e32 64, v20
	s_cbranch_execz .LBB415_3692
; %bb.3691:
	v_lshlrev_b32_e32 v18, 2, v1
	s_delay_alu instid0(VALU_DEP_1)
	v_add3_u32 v18, v16, v18, 0xfffff800
	ds_store_2addr_b32 v18, v0, v17 offset1:16
	ds_store_2addr_b32 v18, v15, v14 offset0:32 offset1:48
	ds_store_2addr_b32 v18, v13, v12 offset0:64 offset1:80
	;; [unrolled: 1-line block ×7, first 2 shown]
.LBB415_3692:
	s_or_b32 exec_lo, exec_lo, s2
	scratch_load_b32 v18, off, s32 offset:432 ; 4-byte Folded Reload
	s_waitcnt vmcnt(0) lgkmcnt(0)
	s_barrier
	buffer_gl0_inv
	v_cmp_eq_u32_e32 vcc_lo, 0, v18
	s_and_saveexec_b32 s2, s0
	s_cbranch_execz .LBB415_3711
; %bb.3693:
	s_and_saveexec_b32 s0, vcc_lo
	s_cbranch_execnz .LBB415_3800
; %bb.3694:
	s_or_b32 exec_lo, exec_lo, s0
	s_and_saveexec_b32 s0, vcc_lo
	s_cbranch_execnz .LBB415_3801
.LBB415_3695:
	s_or_b32 exec_lo, exec_lo, s0
	s_and_saveexec_b32 s0, vcc_lo
	s_cbranch_execnz .LBB415_3802
.LBB415_3696:
	s_or_b32 exec_lo, exec_lo, s0
	s_and_saveexec_b32 s0, vcc_lo
	s_cbranch_execnz .LBB415_3803
.LBB415_3697:
	s_or_b32 exec_lo, exec_lo, s0
	s_and_saveexec_b32 s0, vcc_lo
	s_cbranch_execnz .LBB415_3804
.LBB415_3698:
	s_or_b32 exec_lo, exec_lo, s0
	s_and_saveexec_b32 s0, vcc_lo
	s_cbranch_execnz .LBB415_3805
.LBB415_3699:
	s_or_b32 exec_lo, exec_lo, s0
	s_and_saveexec_b32 s0, vcc_lo
	s_cbranch_execnz .LBB415_3806
.LBB415_3700:
	s_or_b32 exec_lo, exec_lo, s0
	s_and_saveexec_b32 s0, vcc_lo
	s_cbranch_execnz .LBB415_3807
.LBB415_3701:
	s_or_b32 exec_lo, exec_lo, s0
	s_and_saveexec_b32 s0, vcc_lo
	s_cbranch_execnz .LBB415_3808
.LBB415_3702:
	s_or_b32 exec_lo, exec_lo, s0
	s_and_saveexec_b32 s0, vcc_lo
	s_cbranch_execnz .LBB415_3809
.LBB415_3703:
	s_or_b32 exec_lo, exec_lo, s0
	s_and_saveexec_b32 s0, vcc_lo
	s_cbranch_execnz .LBB415_3810
.LBB415_3704:
	s_or_b32 exec_lo, exec_lo, s0
	s_and_saveexec_b32 s0, vcc_lo
	s_cbranch_execnz .LBB415_3811
.LBB415_3705:
	s_or_b32 exec_lo, exec_lo, s0
	s_and_saveexec_b32 s0, vcc_lo
	s_cbranch_execnz .LBB415_3812
.LBB415_3706:
	s_or_b32 exec_lo, exec_lo, s0
	s_and_saveexec_b32 s0, vcc_lo
	s_cbranch_execnz .LBB415_3813
.LBB415_3707:
	s_or_b32 exec_lo, exec_lo, s0
	s_and_saveexec_b32 s0, vcc_lo
	s_cbranch_execnz .LBB415_3814
.LBB415_3708:
	s_or_b32 exec_lo, exec_lo, s0
	s_and_saveexec_b32 s0, vcc_lo
	s_cbranch_execz .LBB415_3710
.LBB415_3709:
	v_lshl_add_u32 v18, v1, 2, v16
	ds_load_b32 v18, v18 offset:960
	s_waitcnt lgkmcnt(0)
	v_add_f32_e32 v2, v18, v2
.LBB415_3710:
	s_or_b32 exec_lo, exec_lo, s0
.LBB415_3711:
	s_delay_alu instid0(SALU_CYCLE_1)
	s_or_b32 exec_lo, exec_lo, s2
	scratch_load_b32 v18, off, s32 offset:376 ; 4-byte Folded Reload
	s_mov_b32 s2, exec_lo
	s_waitcnt vmcnt(0)
	s_barrier
	buffer_gl0_inv
	v_and_b32_e32 v18, 0x3e1, v18
	s_delay_alu instid0(VALU_DEP_1)
	v_cmpx_eq_u32_e32 32, v18
	s_cbranch_execz .LBB415_3713
; %bb.3712:
	v_lshl_add_u32 v18, v1, 2, s1
	ds_store_2addr_b32 v18, v0, v17 offset1:16
	ds_store_2addr_b32 v18, v15, v14 offset0:32 offset1:48
	ds_store_2addr_b32 v18, v13, v12 offset0:64 offset1:80
	;; [unrolled: 1-line block ×7, first 2 shown]
.LBB415_3713:
	s_or_b32 exec_lo, exec_lo, s2
	scratch_load_b32 v18, off, s32 offset:376 ; 4-byte Folded Reload
	s_waitcnt vmcnt(0) lgkmcnt(0)
	s_barrier
	buffer_gl0_inv
	v_cmp_gt_u32_e64 s0, 32, v18
	s_delay_alu instid0(VALU_DEP_1)
	s_and_saveexec_b32 s1, s0
	s_cbranch_execz .LBB415_3732
; %bb.3714:
	v_lshl_add_u32 v1, v1, 2, v16
	s_and_saveexec_b32 s2, vcc_lo
	s_cbranch_execnz .LBB415_3815
; %bb.3715:
	s_or_b32 exec_lo, exec_lo, s2
	s_and_saveexec_b32 s2, vcc_lo
	s_cbranch_execnz .LBB415_3816
.LBB415_3716:
	s_or_b32 exec_lo, exec_lo, s2
	s_and_saveexec_b32 s2, vcc_lo
	s_cbranch_execnz .LBB415_3817
.LBB415_3717:
	s_or_b32 exec_lo, exec_lo, s2
	s_and_saveexec_b32 s2, vcc_lo
	s_cbranch_execnz .LBB415_3818
.LBB415_3718:
	s_or_b32 exec_lo, exec_lo, s2
	s_and_saveexec_b32 s2, vcc_lo
	s_cbranch_execnz .LBB415_3819
.LBB415_3719:
	s_or_b32 exec_lo, exec_lo, s2
	s_and_saveexec_b32 s2, vcc_lo
	s_cbranch_execnz .LBB415_3820
.LBB415_3720:
	s_or_b32 exec_lo, exec_lo, s2
	s_and_saveexec_b32 s2, vcc_lo
	s_cbranch_execnz .LBB415_3821
.LBB415_3721:
	s_or_b32 exec_lo, exec_lo, s2
	s_and_saveexec_b32 s2, vcc_lo
	s_cbranch_execnz .LBB415_3822
.LBB415_3722:
	s_or_b32 exec_lo, exec_lo, s2
	s_and_saveexec_b32 s2, vcc_lo
	s_cbranch_execnz .LBB415_3823
.LBB415_3723:
	s_or_b32 exec_lo, exec_lo, s2
	s_and_saveexec_b32 s2, vcc_lo
	s_cbranch_execnz .LBB415_3824
.LBB415_3724:
	s_or_b32 exec_lo, exec_lo, s2
	s_and_saveexec_b32 s2, vcc_lo
	s_cbranch_execnz .LBB415_3825
.LBB415_3725:
	s_or_b32 exec_lo, exec_lo, s2
	s_and_saveexec_b32 s2, vcc_lo
	s_cbranch_execnz .LBB415_3826
.LBB415_3726:
	s_or_b32 exec_lo, exec_lo, s2
	s_and_saveexec_b32 s2, vcc_lo
	s_cbranch_execnz .LBB415_3827
.LBB415_3727:
	s_or_b32 exec_lo, exec_lo, s2
	s_and_saveexec_b32 s2, vcc_lo
	s_cbranch_execnz .LBB415_3828
.LBB415_3728:
	s_or_b32 exec_lo, exec_lo, s2
	s_and_saveexec_b32 s2, vcc_lo
	s_cbranch_execnz .LBB415_3829
.LBB415_3729:
	s_or_b32 exec_lo, exec_lo, s2
	s_and_saveexec_b32 s2, vcc_lo
	s_cbranch_execz .LBB415_3731
.LBB415_3730:
	ds_load_b32 v1, v1 offset:960
	s_waitcnt lgkmcnt(0)
	v_add_f32_e32 v2, v1, v2
.LBB415_3731:
	s_or_b32 exec_lo, exec_lo, s2
.LBB415_3732:
	s_delay_alu instid0(SALU_CYCLE_1)
	s_or_b32 exec_lo, exec_lo, s1
	s_barrier
	buffer_gl0_inv
	s_and_b32 exec_lo, exec_lo, s0
	s_cbranch_execz .LBB415_3799
; %bb.3733:
	s_and_b32 exec_lo, exec_lo, vcc_lo
	s_cbranch_execz .LBB415_3799
; %bb.3734:
	v_and_b32_e32 v1, 0x7f800000, v0
	s_mov_b32 s0, exec_lo
                                        ; implicit-def: $vgpr16
	s_delay_alu instid0(VALU_DEP_1)
	v_cmpx_ne_u32_e32 0x7f800000, v1
	s_xor_b32 s0, exec_lo, s0
; %bb.3735:
	v_bfe_u32 v1, v0, 16, 1
	s_delay_alu instid0(VALU_DEP_1)
	v_add3_u32 v16, v0, v1, 0x7fff
                                        ; implicit-def: $vgpr0
; %bb.3736:
	s_and_not1_saveexec_b32 s0, s0
; %bb.3737:
	v_and_b32_e32 v1, 0xffff, v0
	v_or_b32_e32 v16, 0x10000, v0
	s_delay_alu instid0(VALU_DEP_2) | instskip(NEXT) | instid1(VALU_DEP_2)
	v_cmp_eq_u32_e32 vcc_lo, 0, v1
	v_cndmask_b32_e32 v16, v16, v0, vcc_lo
; %bb.3738:
	s_or_b32 exec_lo, exec_lo, s0
	s_clause 0x2
	scratch_load_b32 v0, off, s32 offset:444
	scratch_load_b32 v1, off, s32 offset:440
	;; [unrolled: 1-line block ×3, first 2 shown]
	s_mul_i32 s1, s8, s6
	s_mul_i32 s0, s10, s8
	;; [unrolled: 1-line block ×3, first 2 shown]
	s_lshl_b32 s2, s14, 8
	s_lshl_b32 s4, s1, 8
	s_ashr_i32 s1, s0, 31
	s_ashr_i32 s3, s2, 31
	;; [unrolled: 1-line block ×3, first 2 shown]
	s_lshl_b64 s[0:1], s[0:1], 1
	s_lshl_b64 s[2:3], s[2:3], 1
	;; [unrolled: 1-line block ×3, first 2 shown]
	s_add_u32 s0, s2, s0
	s_addc_u32 s1, s3, s1
	s_add_u32 s0, s0, s4
	s_addc_u32 s1, s1, s5
	v_and_b32_e32 v19, 0x7f800000, v17
	s_waitcnt vmcnt(2)
	v_lshlrev_b32_e32 v0, 1, v0
	s_waitcnt vmcnt(1)
	v_add_co_u32 v1, vcc_lo, s0, v1
	s_waitcnt vmcnt(0)
	v_add_co_ci_u32_e32 v18, vcc_lo, s1, v18, vcc_lo
	s_mov_b32 s0, exec_lo
	s_delay_alu instid0(VALU_DEP_2) | instskip(NEXT) | instid1(VALU_DEP_2)
	v_add_co_u32 v0, vcc_lo, v1, v0
	v_add_co_ci_u32_e32 v1, vcc_lo, 0, v18, vcc_lo
	flat_store_d16_hi_b16 v[0:1], v16
                                        ; implicit-def: $vgpr16
	v_cmpx_ne_u32_e32 0x7f800000, v19
	s_xor_b32 s0, exec_lo, s0
; %bb.3739:
	v_bfe_u32 v16, v17, 16, 1
	s_delay_alu instid0(VALU_DEP_1)
	v_add3_u32 v16, v17, v16, 0x7fff
                                        ; implicit-def: $vgpr17
; %bb.3740:
	s_and_not1_saveexec_b32 s0, s0
; %bb.3741:
	v_and_b32_e32 v16, 0xffff, v17
	v_or_b32_e32 v18, 0x10000, v17
	s_delay_alu instid0(VALU_DEP_2) | instskip(NEXT) | instid1(VALU_DEP_2)
	v_cmp_eq_u32_e32 vcc_lo, 0, v16
	v_cndmask_b32_e32 v16, v18, v17, vcc_lo
; %bb.3742:
	s_or_b32 exec_lo, exec_lo, s0
	v_and_b32_e32 v17, 0x7f800000, v15
	s_mov_b32 s0, exec_lo
	flat_store_d16_hi_b16 v[0:1], v16 offset:32
                                        ; implicit-def: $vgpr16
	v_cmpx_ne_u32_e32 0x7f800000, v17
	s_xor_b32 s0, exec_lo, s0
; %bb.3743:
	v_bfe_u32 v16, v15, 16, 1
	s_delay_alu instid0(VALU_DEP_1)
	v_add3_u32 v16, v15, v16, 0x7fff
                                        ; implicit-def: $vgpr15
; %bb.3744:
	s_and_not1_saveexec_b32 s0, s0
; %bb.3745:
	v_and_b32_e32 v16, 0xffff, v15
	v_or_b32_e32 v17, 0x10000, v15
	s_delay_alu instid0(VALU_DEP_2) | instskip(NEXT) | instid1(VALU_DEP_2)
	v_cmp_eq_u32_e32 vcc_lo, 0, v16
	v_cndmask_b32_e32 v16, v17, v15, vcc_lo
; %bb.3746:
	s_or_b32 exec_lo, exec_lo, s0
	v_and_b32_e32 v15, 0x7f800000, v14
	flat_store_d16_hi_b16 v[0:1], v16 offset:64
	v_cmp_ne_u32_e32 vcc_lo, 0x7f800000, v15
                                        ; implicit-def: $vgpr15
	s_and_saveexec_b32 s0, vcc_lo
	s_delay_alu instid0(SALU_CYCLE_1)
	s_xor_b32 s0, exec_lo, s0
; %bb.3747:
	v_bfe_u32 v15, v14, 16, 1
	s_delay_alu instid0(VALU_DEP_1)
	v_add3_u32 v15, v14, v15, 0x7fff
                                        ; implicit-def: $vgpr14
; %bb.3748:
	s_and_not1_saveexec_b32 s0, s0
; %bb.3749:
	v_and_b32_e32 v15, 0xffff, v14
	v_or_b32_e32 v16, 0x10000, v14
	s_delay_alu instid0(VALU_DEP_2) | instskip(NEXT) | instid1(VALU_DEP_2)
	v_cmp_eq_u32_e32 vcc_lo, 0, v15
	v_cndmask_b32_e32 v15, v16, v14, vcc_lo
; %bb.3750:
	s_or_b32 exec_lo, exec_lo, s0
	v_and_b32_e32 v14, 0x7f800000, v13
	flat_store_d16_hi_b16 v[0:1], v15 offset:96
	v_cmp_ne_u32_e32 vcc_lo, 0x7f800000, v14
                                        ; implicit-def: $vgpr14
	s_and_saveexec_b32 s0, vcc_lo
	s_delay_alu instid0(SALU_CYCLE_1)
	s_xor_b32 s0, exec_lo, s0
; %bb.3751:
	v_bfe_u32 v14, v13, 16, 1
	s_delay_alu instid0(VALU_DEP_1)
	v_add3_u32 v14, v13, v14, 0x7fff
                                        ; implicit-def: $vgpr13
; %bb.3752:
	s_and_not1_saveexec_b32 s0, s0
; %bb.3753:
	v_and_b32_e32 v14, 0xffff, v13
	v_or_b32_e32 v15, 0x10000, v13
	s_delay_alu instid0(VALU_DEP_2) | instskip(NEXT) | instid1(VALU_DEP_2)
	v_cmp_eq_u32_e32 vcc_lo, 0, v14
	v_cndmask_b32_e32 v14, v15, v13, vcc_lo
; %bb.3754:
	s_or_b32 exec_lo, exec_lo, s0
	v_and_b32_e32 v13, 0x7f800000, v12
	flat_store_d16_hi_b16 v[0:1], v14 offset:128
	v_cmp_ne_u32_e32 vcc_lo, 0x7f800000, v13
                                        ; implicit-def: $vgpr13
	s_and_saveexec_b32 s0, vcc_lo
	s_delay_alu instid0(SALU_CYCLE_1)
	s_xor_b32 s0, exec_lo, s0
; %bb.3755:
	v_bfe_u32 v13, v12, 16, 1
	s_delay_alu instid0(VALU_DEP_1)
	v_add3_u32 v13, v12, v13, 0x7fff
                                        ; implicit-def: $vgpr12
; %bb.3756:
	s_and_not1_saveexec_b32 s0, s0
; %bb.3757:
	v_and_b32_e32 v13, 0xffff, v12
	v_or_b32_e32 v14, 0x10000, v12
	s_delay_alu instid0(VALU_DEP_2) | instskip(NEXT) | instid1(VALU_DEP_2)
	v_cmp_eq_u32_e32 vcc_lo, 0, v13
	v_cndmask_b32_e32 v13, v14, v12, vcc_lo
; %bb.3758:
	s_or_b32 exec_lo, exec_lo, s0
	v_and_b32_e32 v12, 0x7f800000, v11
	flat_store_d16_hi_b16 v[0:1], v13 offset:160
	v_cmp_ne_u32_e32 vcc_lo, 0x7f800000, v12
                                        ; implicit-def: $vgpr12
	s_and_saveexec_b32 s0, vcc_lo
	s_delay_alu instid0(SALU_CYCLE_1)
	s_xor_b32 s0, exec_lo, s0
; %bb.3759:
	v_bfe_u32 v12, v11, 16, 1
	s_delay_alu instid0(VALU_DEP_1)
	v_add3_u32 v12, v11, v12, 0x7fff
                                        ; implicit-def: $vgpr11
; %bb.3760:
	s_and_not1_saveexec_b32 s0, s0
; %bb.3761:
	v_and_b32_e32 v12, 0xffff, v11
	v_or_b32_e32 v13, 0x10000, v11
	s_delay_alu instid0(VALU_DEP_2) | instskip(NEXT) | instid1(VALU_DEP_2)
	v_cmp_eq_u32_e32 vcc_lo, 0, v12
	v_cndmask_b32_e32 v12, v13, v11, vcc_lo
; %bb.3762:
	s_or_b32 exec_lo, exec_lo, s0
	v_and_b32_e32 v11, 0x7f800000, v10
	flat_store_d16_hi_b16 v[0:1], v12 offset:192
	v_cmp_ne_u32_e32 vcc_lo, 0x7f800000, v11
                                        ; implicit-def: $vgpr11
	s_and_saveexec_b32 s0, vcc_lo
	s_delay_alu instid0(SALU_CYCLE_1)
	s_xor_b32 s0, exec_lo, s0
; %bb.3763:
	v_bfe_u32 v11, v10, 16, 1
	s_delay_alu instid0(VALU_DEP_1)
	v_add3_u32 v11, v10, v11, 0x7fff
                                        ; implicit-def: $vgpr10
; %bb.3764:
	s_and_not1_saveexec_b32 s0, s0
; %bb.3765:
	v_and_b32_e32 v11, 0xffff, v10
	v_or_b32_e32 v12, 0x10000, v10
	s_delay_alu instid0(VALU_DEP_2) | instskip(NEXT) | instid1(VALU_DEP_2)
	v_cmp_eq_u32_e32 vcc_lo, 0, v11
	v_cndmask_b32_e32 v11, v12, v10, vcc_lo
; %bb.3766:
	s_or_b32 exec_lo, exec_lo, s0
	v_and_b32_e32 v10, 0x7f800000, v9
	flat_store_d16_hi_b16 v[0:1], v11 offset:224
	v_cmp_ne_u32_e32 vcc_lo, 0x7f800000, v10
                                        ; implicit-def: $vgpr10
	s_and_saveexec_b32 s0, vcc_lo
	s_delay_alu instid0(SALU_CYCLE_1)
	s_xor_b32 s0, exec_lo, s0
; %bb.3767:
	v_bfe_u32 v10, v9, 16, 1
	s_delay_alu instid0(VALU_DEP_1)
	v_add3_u32 v10, v9, v10, 0x7fff
                                        ; implicit-def: $vgpr9
; %bb.3768:
	s_and_not1_saveexec_b32 s0, s0
; %bb.3769:
	v_and_b32_e32 v10, 0xffff, v9
	v_or_b32_e32 v11, 0x10000, v9
	s_delay_alu instid0(VALU_DEP_2) | instskip(NEXT) | instid1(VALU_DEP_2)
	v_cmp_eq_u32_e32 vcc_lo, 0, v10
	v_cndmask_b32_e32 v10, v11, v9, vcc_lo
; %bb.3770:
	s_or_b32 exec_lo, exec_lo, s0
	v_and_b32_e32 v9, 0x7f800000, v8
	flat_store_d16_hi_b16 v[0:1], v10 offset:256
	v_cmp_ne_u32_e32 vcc_lo, 0x7f800000, v9
                                        ; implicit-def: $vgpr9
	s_and_saveexec_b32 s0, vcc_lo
	s_delay_alu instid0(SALU_CYCLE_1)
	s_xor_b32 s0, exec_lo, s0
; %bb.3771:
	v_bfe_u32 v9, v8, 16, 1
	s_delay_alu instid0(VALU_DEP_1)
	v_add3_u32 v9, v8, v9, 0x7fff
                                        ; implicit-def: $vgpr8
; %bb.3772:
	s_and_not1_saveexec_b32 s0, s0
; %bb.3773:
	v_and_b32_e32 v9, 0xffff, v8
	v_or_b32_e32 v10, 0x10000, v8
	s_delay_alu instid0(VALU_DEP_2) | instskip(NEXT) | instid1(VALU_DEP_2)
	v_cmp_eq_u32_e32 vcc_lo, 0, v9
	v_cndmask_b32_e32 v9, v10, v8, vcc_lo
; %bb.3774:
	s_or_b32 exec_lo, exec_lo, s0
	v_and_b32_e32 v8, 0x7f800000, v7
	flat_store_d16_hi_b16 v[0:1], v9 offset:288
	v_cmp_ne_u32_e32 vcc_lo, 0x7f800000, v8
                                        ; implicit-def: $vgpr8
	s_and_saveexec_b32 s0, vcc_lo
	s_delay_alu instid0(SALU_CYCLE_1)
	s_xor_b32 s0, exec_lo, s0
; %bb.3775:
	v_bfe_u32 v8, v7, 16, 1
	s_delay_alu instid0(VALU_DEP_1)
	v_add3_u32 v8, v7, v8, 0x7fff
                                        ; implicit-def: $vgpr7
; %bb.3776:
	s_and_not1_saveexec_b32 s0, s0
; %bb.3777:
	v_and_b32_e32 v8, 0xffff, v7
	v_or_b32_e32 v9, 0x10000, v7
	s_delay_alu instid0(VALU_DEP_2) | instskip(NEXT) | instid1(VALU_DEP_2)
	v_cmp_eq_u32_e32 vcc_lo, 0, v8
	v_cndmask_b32_e32 v8, v9, v7, vcc_lo
; %bb.3778:
	s_or_b32 exec_lo, exec_lo, s0
	v_and_b32_e32 v7, 0x7f800000, v6
	flat_store_d16_hi_b16 v[0:1], v8 offset:320
	v_cmp_ne_u32_e32 vcc_lo, 0x7f800000, v7
                                        ; implicit-def: $vgpr7
	s_and_saveexec_b32 s0, vcc_lo
	s_delay_alu instid0(SALU_CYCLE_1)
	s_xor_b32 s0, exec_lo, s0
; %bb.3779:
	v_bfe_u32 v7, v6, 16, 1
	s_delay_alu instid0(VALU_DEP_1)
	v_add3_u32 v7, v6, v7, 0x7fff
                                        ; implicit-def: $vgpr6
; %bb.3780:
	s_and_not1_saveexec_b32 s0, s0
; %bb.3781:
	v_and_b32_e32 v7, 0xffff, v6
	v_or_b32_e32 v8, 0x10000, v6
	s_delay_alu instid0(VALU_DEP_2) | instskip(NEXT) | instid1(VALU_DEP_2)
	v_cmp_eq_u32_e32 vcc_lo, 0, v7
	v_cndmask_b32_e32 v7, v8, v6, vcc_lo
; %bb.3782:
	s_or_b32 exec_lo, exec_lo, s0
	v_and_b32_e32 v6, 0x7f800000, v5
	flat_store_d16_hi_b16 v[0:1], v7 offset:352
	v_cmp_ne_u32_e32 vcc_lo, 0x7f800000, v6
                                        ; implicit-def: $vgpr6
	s_and_saveexec_b32 s0, vcc_lo
	s_delay_alu instid0(SALU_CYCLE_1)
	s_xor_b32 s0, exec_lo, s0
; %bb.3783:
	v_bfe_u32 v6, v5, 16, 1
	s_delay_alu instid0(VALU_DEP_1)
	v_add3_u32 v6, v5, v6, 0x7fff
                                        ; implicit-def: $vgpr5
; %bb.3784:
	s_and_not1_saveexec_b32 s0, s0
; %bb.3785:
	v_and_b32_e32 v6, 0xffff, v5
	v_or_b32_e32 v7, 0x10000, v5
	s_delay_alu instid0(VALU_DEP_2) | instskip(NEXT) | instid1(VALU_DEP_2)
	v_cmp_eq_u32_e32 vcc_lo, 0, v6
	v_cndmask_b32_e32 v6, v7, v5, vcc_lo
; %bb.3786:
	s_or_b32 exec_lo, exec_lo, s0
	v_and_b32_e32 v5, 0x7f800000, v4
	flat_store_d16_hi_b16 v[0:1], v6 offset:384
	v_cmp_ne_u32_e32 vcc_lo, 0x7f800000, v5
                                        ; implicit-def: $vgpr5
	s_and_saveexec_b32 s0, vcc_lo
	s_delay_alu instid0(SALU_CYCLE_1)
	s_xor_b32 s0, exec_lo, s0
; %bb.3787:
	v_bfe_u32 v5, v4, 16, 1
	s_delay_alu instid0(VALU_DEP_1)
	v_add3_u32 v5, v4, v5, 0x7fff
                                        ; implicit-def: $vgpr4
; %bb.3788:
	s_and_not1_saveexec_b32 s0, s0
; %bb.3789:
	v_and_b32_e32 v5, 0xffff, v4
	v_or_b32_e32 v6, 0x10000, v4
	s_delay_alu instid0(VALU_DEP_2) | instskip(NEXT) | instid1(VALU_DEP_2)
	v_cmp_eq_u32_e32 vcc_lo, 0, v5
	v_cndmask_b32_e32 v5, v6, v4, vcc_lo
; %bb.3790:
	s_or_b32 exec_lo, exec_lo, s0
	v_and_b32_e32 v4, 0x7f800000, v3
	flat_store_d16_hi_b16 v[0:1], v5 offset:416
	v_cmp_ne_u32_e32 vcc_lo, 0x7f800000, v4
                                        ; implicit-def: $vgpr4
	s_and_saveexec_b32 s0, vcc_lo
	s_delay_alu instid0(SALU_CYCLE_1)
	s_xor_b32 s0, exec_lo, s0
; %bb.3791:
	v_bfe_u32 v4, v3, 16, 1
	s_delay_alu instid0(VALU_DEP_1)
	v_add3_u32 v4, v3, v4, 0x7fff
                                        ; implicit-def: $vgpr3
; %bb.3792:
	s_and_not1_saveexec_b32 s0, s0
; %bb.3793:
	v_and_b32_e32 v4, 0xffff, v3
	v_or_b32_e32 v5, 0x10000, v3
	s_delay_alu instid0(VALU_DEP_2) | instskip(NEXT) | instid1(VALU_DEP_2)
	v_cmp_eq_u32_e32 vcc_lo, 0, v4
	v_cndmask_b32_e32 v4, v5, v3, vcc_lo
; %bb.3794:
	s_or_b32 exec_lo, exec_lo, s0
	v_and_b32_e32 v3, 0x7f800000, v2
	flat_store_d16_hi_b16 v[0:1], v4 offset:448
	v_cmp_ne_u32_e32 vcc_lo, 0x7f800000, v3
                                        ; implicit-def: $vgpr3
	s_and_saveexec_b32 s0, vcc_lo
	s_delay_alu instid0(SALU_CYCLE_1)
	s_xor_b32 s0, exec_lo, s0
; %bb.3795:
	v_bfe_u32 v3, v2, 16, 1
	s_delay_alu instid0(VALU_DEP_1)
	v_add3_u32 v3, v2, v3, 0x7fff
                                        ; implicit-def: $vgpr2
; %bb.3796:
	s_and_not1_saveexec_b32 s0, s0
; %bb.3797:
	v_and_b32_e32 v3, 0xffff, v2
	v_or_b32_e32 v4, 0x10000, v2
	s_delay_alu instid0(VALU_DEP_2) | instskip(NEXT) | instid1(VALU_DEP_2)
	v_cmp_eq_u32_e32 vcc_lo, 0, v3
	v_cndmask_b32_e32 v3, v4, v2, vcc_lo
; %bb.3798:
	s_or_b32 exec_lo, exec_lo, s0
	flat_store_d16_hi_b16 v[0:1], v3 offset:480
.LBB415_3799:
	s_or_b32 exec_lo, exec_lo, s7
	s_clause 0x1f
	scratch_load_b32 v191, off, s32 offset:8
	scratch_load_b32 v190, off, s32 offset:12
	;; [unrolled: 1-line block ×32, first 2 shown]
	s_clause 0x1f
	scratch_load_b32 v127, off, s32 offset:136
	scratch_load_b32 v126, off, s32 offset:140
	;; [unrolled: 1-line block ×32, first 2 shown]
	s_clause 0xf
	scratch_load_b32 v63, off, s32 offset:264
	scratch_load_b32 v62, off, s32 offset:268
	;; [unrolled: 1-line block ×16, first 2 shown]
	s_waitcnt vmcnt(0) lgkmcnt(0)
	s_setpc_b64 s[30:31]
.LBB415_3800:
	v_lshl_add_u32 v18, v1, 2, v16
	ds_load_b32 v18, v18
	s_waitcnt lgkmcnt(0)
	v_add_f32_e32 v0, v18, v0
	s_or_b32 exec_lo, exec_lo, s0
	s_and_saveexec_b32 s0, vcc_lo
	s_cbranch_execz .LBB415_3695
.LBB415_3801:
	v_lshl_add_u32 v18, v1, 2, v16
	ds_load_b32 v18, v18 offset:64
	s_waitcnt lgkmcnt(0)
	v_add_f32_e32 v17, v18, v17
	s_or_b32 exec_lo, exec_lo, s0
	s_and_saveexec_b32 s0, vcc_lo
	s_cbranch_execz .LBB415_3696
.LBB415_3802:
	v_lshl_add_u32 v18, v1, 2, v16
	ds_load_b32 v18, v18 offset:128
	s_waitcnt lgkmcnt(0)
	v_add_f32_e32 v15, v18, v15
	s_or_b32 exec_lo, exec_lo, s0
	s_and_saveexec_b32 s0, vcc_lo
	s_cbranch_execz .LBB415_3697
.LBB415_3803:
	v_lshl_add_u32 v18, v1, 2, v16
	ds_load_b32 v18, v18 offset:192
	s_waitcnt lgkmcnt(0)
	v_add_f32_e32 v14, v18, v14
	s_or_b32 exec_lo, exec_lo, s0
	s_and_saveexec_b32 s0, vcc_lo
	s_cbranch_execz .LBB415_3698
.LBB415_3804:
	v_lshl_add_u32 v18, v1, 2, v16
	ds_load_b32 v18, v18 offset:256
	s_waitcnt lgkmcnt(0)
	v_add_f32_e32 v13, v18, v13
	s_or_b32 exec_lo, exec_lo, s0
	s_and_saveexec_b32 s0, vcc_lo
	s_cbranch_execz .LBB415_3699
.LBB415_3805:
	v_lshl_add_u32 v18, v1, 2, v16
	ds_load_b32 v18, v18 offset:320
	s_waitcnt lgkmcnt(0)
	v_add_f32_e32 v12, v18, v12
	s_or_b32 exec_lo, exec_lo, s0
	s_and_saveexec_b32 s0, vcc_lo
	s_cbranch_execz .LBB415_3700
.LBB415_3806:
	v_lshl_add_u32 v18, v1, 2, v16
	ds_load_b32 v18, v18 offset:384
	s_waitcnt lgkmcnt(0)
	v_add_f32_e32 v11, v18, v11
	s_or_b32 exec_lo, exec_lo, s0
	s_and_saveexec_b32 s0, vcc_lo
	s_cbranch_execz .LBB415_3701
.LBB415_3807:
	v_lshl_add_u32 v18, v1, 2, v16
	ds_load_b32 v18, v18 offset:448
	s_waitcnt lgkmcnt(0)
	v_add_f32_e32 v10, v18, v10
	s_or_b32 exec_lo, exec_lo, s0
	s_and_saveexec_b32 s0, vcc_lo
	s_cbranch_execz .LBB415_3702
.LBB415_3808:
	v_lshl_add_u32 v18, v1, 2, v16
	ds_load_b32 v18, v18 offset:512
	s_waitcnt lgkmcnt(0)
	v_add_f32_e32 v9, v18, v9
	s_or_b32 exec_lo, exec_lo, s0
	s_and_saveexec_b32 s0, vcc_lo
	s_cbranch_execz .LBB415_3703
.LBB415_3809:
	v_lshl_add_u32 v18, v1, 2, v16
	ds_load_b32 v18, v18 offset:576
	s_waitcnt lgkmcnt(0)
	v_add_f32_e32 v8, v18, v8
	s_or_b32 exec_lo, exec_lo, s0
	s_and_saveexec_b32 s0, vcc_lo
	s_cbranch_execz .LBB415_3704
.LBB415_3810:
	v_lshl_add_u32 v18, v1, 2, v16
	ds_load_b32 v18, v18 offset:640
	s_waitcnt lgkmcnt(0)
	v_add_f32_e32 v7, v18, v7
	s_or_b32 exec_lo, exec_lo, s0
	s_and_saveexec_b32 s0, vcc_lo
	s_cbranch_execz .LBB415_3705
.LBB415_3811:
	v_lshl_add_u32 v18, v1, 2, v16
	ds_load_b32 v18, v18 offset:704
	s_waitcnt lgkmcnt(0)
	v_add_f32_e32 v6, v18, v6
	s_or_b32 exec_lo, exec_lo, s0
	s_and_saveexec_b32 s0, vcc_lo
	s_cbranch_execz .LBB415_3706
.LBB415_3812:
	v_lshl_add_u32 v18, v1, 2, v16
	ds_load_b32 v18, v18 offset:768
	s_waitcnt lgkmcnt(0)
	v_add_f32_e32 v5, v18, v5
	s_or_b32 exec_lo, exec_lo, s0
	s_and_saveexec_b32 s0, vcc_lo
	s_cbranch_execz .LBB415_3707
.LBB415_3813:
	v_lshl_add_u32 v18, v1, 2, v16
	ds_load_b32 v18, v18 offset:832
	s_waitcnt lgkmcnt(0)
	v_add_f32_e32 v4, v18, v4
	s_or_b32 exec_lo, exec_lo, s0
	s_and_saveexec_b32 s0, vcc_lo
	s_cbranch_execz .LBB415_3708
.LBB415_3814:
	v_lshl_add_u32 v18, v1, 2, v16
	ds_load_b32 v18, v18 offset:896
	s_waitcnt lgkmcnt(0)
	v_add_f32_e32 v3, v18, v3
	s_or_b32 exec_lo, exec_lo, s0
	s_and_saveexec_b32 s0, vcc_lo
	s_cbranch_execnz .LBB415_3709
	s_branch .LBB415_3710
.LBB415_3815:
	ds_load_b32 v16, v1
	s_waitcnt lgkmcnt(0)
	v_add_f32_e32 v0, v16, v0
	s_or_b32 exec_lo, exec_lo, s2
	s_and_saveexec_b32 s2, vcc_lo
	s_cbranch_execz .LBB415_3716
.LBB415_3816:
	ds_load_b32 v16, v1 offset:64
	s_waitcnt lgkmcnt(0)
	v_add_f32_e32 v17, v16, v17
	s_or_b32 exec_lo, exec_lo, s2
	s_and_saveexec_b32 s2, vcc_lo
	s_cbranch_execz .LBB415_3717
.LBB415_3817:
	ds_load_b32 v16, v1 offset:128
	s_waitcnt lgkmcnt(0)
	v_add_f32_e32 v15, v16, v15
	s_or_b32 exec_lo, exec_lo, s2
	s_and_saveexec_b32 s2, vcc_lo
	s_cbranch_execz .LBB415_3718
.LBB415_3818:
	ds_load_b32 v16, v1 offset:192
	s_waitcnt lgkmcnt(0)
	v_add_f32_e32 v14, v16, v14
	s_or_b32 exec_lo, exec_lo, s2
	s_and_saveexec_b32 s2, vcc_lo
	s_cbranch_execz .LBB415_3719
.LBB415_3819:
	ds_load_b32 v16, v1 offset:256
	s_waitcnt lgkmcnt(0)
	v_add_f32_e32 v13, v16, v13
	s_or_b32 exec_lo, exec_lo, s2
	s_and_saveexec_b32 s2, vcc_lo
	s_cbranch_execz .LBB415_3720
.LBB415_3820:
	ds_load_b32 v16, v1 offset:320
	s_waitcnt lgkmcnt(0)
	v_add_f32_e32 v12, v16, v12
	s_or_b32 exec_lo, exec_lo, s2
	s_and_saveexec_b32 s2, vcc_lo
	s_cbranch_execz .LBB415_3721
.LBB415_3821:
	ds_load_b32 v16, v1 offset:384
	s_waitcnt lgkmcnt(0)
	v_add_f32_e32 v11, v16, v11
	s_or_b32 exec_lo, exec_lo, s2
	s_and_saveexec_b32 s2, vcc_lo
	s_cbranch_execz .LBB415_3722
.LBB415_3822:
	ds_load_b32 v16, v1 offset:448
	s_waitcnt lgkmcnt(0)
	v_add_f32_e32 v10, v16, v10
	s_or_b32 exec_lo, exec_lo, s2
	s_and_saveexec_b32 s2, vcc_lo
	s_cbranch_execz .LBB415_3723
.LBB415_3823:
	ds_load_b32 v16, v1 offset:512
	s_waitcnt lgkmcnt(0)
	v_add_f32_e32 v9, v16, v9
	s_or_b32 exec_lo, exec_lo, s2
	s_and_saveexec_b32 s2, vcc_lo
	s_cbranch_execz .LBB415_3724
.LBB415_3824:
	ds_load_b32 v16, v1 offset:576
	s_waitcnt lgkmcnt(0)
	v_add_f32_e32 v8, v16, v8
	s_or_b32 exec_lo, exec_lo, s2
	s_and_saveexec_b32 s2, vcc_lo
	s_cbranch_execz .LBB415_3725
.LBB415_3825:
	ds_load_b32 v16, v1 offset:640
	s_waitcnt lgkmcnt(0)
	v_add_f32_e32 v7, v16, v7
	s_or_b32 exec_lo, exec_lo, s2
	s_and_saveexec_b32 s2, vcc_lo
	s_cbranch_execz .LBB415_3726
.LBB415_3826:
	ds_load_b32 v16, v1 offset:704
	s_waitcnt lgkmcnt(0)
	v_add_f32_e32 v6, v16, v6
	s_or_b32 exec_lo, exec_lo, s2
	s_and_saveexec_b32 s2, vcc_lo
	s_cbranch_execz .LBB415_3727
.LBB415_3827:
	ds_load_b32 v16, v1 offset:768
	s_waitcnt lgkmcnt(0)
	v_add_f32_e32 v5, v16, v5
	s_or_b32 exec_lo, exec_lo, s2
	s_and_saveexec_b32 s2, vcc_lo
	s_cbranch_execz .LBB415_3728
.LBB415_3828:
	ds_load_b32 v16, v1 offset:832
	s_waitcnt lgkmcnt(0)
	v_add_f32_e32 v4, v16, v4
	s_or_b32 exec_lo, exec_lo, s2
	s_and_saveexec_b32 s2, vcc_lo
	s_cbranch_execz .LBB415_3729
.LBB415_3829:
	ds_load_b32 v16, v1 offset:896
	s_waitcnt lgkmcnt(0)
	v_add_f32_e32 v3, v16, v3
	s_or_b32 exec_lo, exec_lo, s2
	s_and_saveexec_b32 s2, vcc_lo
	s_cbranch_execnz .LBB415_3730
	s_branch .LBB415_3731
.Lfunc_end415:
	.size	_ZN4vllm22paged_attention_kernelI14__hip_bfloat16hLi256ELi16ELi128ELNS_18Fp8KVCacheDataTypeE1ELb1ELi512EEEvPfS3_PT_PKS4_PKT0_SA_ifPKiSC_iPKfiiiSE_SE_iiiii, .Lfunc_end415-_ZN4vllm22paged_attention_kernelI14__hip_bfloat16hLi256ELi16ELi128ELNS_18Fp8KVCacheDataTypeE1ELb1ELi512EEEvPfS3_PT_PKS4_PKT0_SA_ifPKiSC_iPKfiiiSE_SE_iiiii
                                        ; -- End function
	.section	.AMDGPU.csdata,"",@progbits
; Function info:
; codeLenInByte = 117348
; NumSgprs: 35
; NumVgprs: 192
; ScratchSize: 516
; MemoryBound: 0
	.section	.text._ZN4vllm25paged_attention_v2_kernelI14__hip_bfloat16hLi256ELi16ELi128ELNS_18Fp8KVCacheDataTypeE1ELb1ELi512EEEvPfS3_PT_PKS4_PKT0_SA_ifPKiSC_iPKfiiiSE_SE_iiiii,"axG",@progbits,_ZN4vllm25paged_attention_v2_kernelI14__hip_bfloat16hLi256ELi16ELi128ELNS_18Fp8KVCacheDataTypeE1ELb1ELi512EEEvPfS3_PT_PKS4_PKT0_SA_ifPKiSC_iPKfiiiSE_SE_iiiii,comdat
	.protected	_ZN4vllm25paged_attention_v2_kernelI14__hip_bfloat16hLi256ELi16ELi128ELNS_18Fp8KVCacheDataTypeE1ELb1ELi512EEEvPfS3_PT_PKS4_PKT0_SA_ifPKiSC_iPKfiiiSE_SE_iiiii ; -- Begin function _ZN4vllm25paged_attention_v2_kernelI14__hip_bfloat16hLi256ELi16ELi128ELNS_18Fp8KVCacheDataTypeE1ELb1ELi512EEEvPfS3_PT_PKS4_PKT0_SA_ifPKiSC_iPKfiiiSE_SE_iiiii
	.globl	_ZN4vllm25paged_attention_v2_kernelI14__hip_bfloat16hLi256ELi16ELi128ELNS_18Fp8KVCacheDataTypeE1ELb1ELi512EEEvPfS3_PT_PKS4_PKT0_SA_ifPKiSC_iPKfiiiSE_SE_iiiii
	.p2align	8
	.type	_ZN4vllm25paged_attention_v2_kernelI14__hip_bfloat16hLi256ELi16ELi128ELNS_18Fp8KVCacheDataTypeE1ELb1ELi512EEEvPfS3_PT_PKS4_PKT0_SA_ifPKiSC_iPKfiiiSE_SE_iiiii,@function
_ZN4vllm25paged_attention_v2_kernelI14__hip_bfloat16hLi256ELi16ELi128ELNS_18Fp8KVCacheDataTypeE1ELb1ELi512EEEvPfS3_PT_PKS4_PKT0_SA_ifPKiSC_iPKfiiiSE_SE_iiiii: ; @_ZN4vllm25paged_attention_v2_kernelI14__hip_bfloat16hLi256ELi16ELi128ELNS_18Fp8KVCacheDataTypeE1ELb1ELi512EEEvPfS3_PT_PKS4_PKT0_SA_ifPKiSC_iPKfiiiSE_SE_iiiii
; %bb.0:
	s_mov_b32 s12, s13
	s_clause 0x7
	s_load_b128 s[4:7], s[0:1], 0x78
	s_load_b32 s8, s[0:1], 0x88
	s_load_b256 s[24:31], s[0:1], 0x0
	s_load_b256 s[36:43], s[0:1], 0x20
	s_load_b64 s[2:3], s[0:1], 0x40
	s_load_b64 s[10:11], s[0:1], 0x50
	s_load_b32 s13, s[0:1], 0x48
	s_load_b256 s[16:23], s[0:1], 0x58
	s_mov_b32 s32, 0
	v_mov_b32_e32 v31, v0
	s_waitcnt lgkmcnt(0)
	v_dual_mov_b32 v1, s7 :: v_dual_mov_b32 v2, s8
	v_dual_mov_b32 v0, s24 :: v_dual_mov_b32 v3, s27
	;; [unrolled: 1-line block ×3, first 2 shown]
	v_mov_b32_e32 v6, s30
	scratch_store_b64 off, v[1:2], s32
	v_dual_mov_b32 v1, s25 :: v_dual_mov_b32 v2, s26
	v_dual_mov_b32 v7, s31 :: v_dual_mov_b32 v8, s36
	v_dual_mov_b32 v9, s37 :: v_dual_mov_b32 v10, s38
	v_dual_mov_b32 v11, s39 :: v_dual_mov_b32 v12, s40
	v_dual_mov_b32 v13, s41 :: v_dual_mov_b32 v14, s42
	v_dual_mov_b32 v15, s43 :: v_dual_mov_b32 v16, s2
	v_dual_mov_b32 v17, s3 :: v_dual_mov_b32 v18, s13
	v_dual_mov_b32 v19, s10 :: v_dual_mov_b32 v20, s11
	v_dual_mov_b32 v21, s16 :: v_dual_mov_b32 v22, s17
	v_dual_mov_b32 v23, s18 :: v_dual_mov_b32 v24, s20
	v_dual_mov_b32 v25, s21 :: v_dual_mov_b32 v26, s22
	v_dual_mov_b32 v27, s23 :: v_dual_mov_b32 v28, s4
	v_dual_mov_b32 v29, s5 :: v_dual_mov_b32 v30, s6
	s_add_u32 s8, s0, 0x90
	s_addc_u32 s9, s1, 0
	s_mov_b32 s13, s14
	s_mov_b32 s14, s15
	;; [unrolled: 1-line block ×3, first 2 shown]
	s_getpc_b64 s[0:1]
	s_add_u32 s0, s0, _ZN4vllm22paged_attention_kernelI14__hip_bfloat16hLi256ELi16ELi128ELNS_18Fp8KVCacheDataTypeE1ELb1ELi512EEEvPfS3_PT_PKS4_PKT0_SA_ifPKiSC_iPKfiiiSE_SE_iiiii@rel32@lo+4
	s_addc_u32 s1, s1, _ZN4vllm22paged_attention_kernelI14__hip_bfloat16hLi256ELi16ELi128ELNS_18Fp8KVCacheDataTypeE1ELb1ELi512EEEvPfS3_PT_PKS4_PKT0_SA_ifPKiSC_iPKfiiiSE_SE_iiiii@rel32@hi+12
	s_delay_alu instid0(SALU_CYCLE_1)
	s_swappc_b64 s[30:31], s[0:1]
	s_endpgm
	.section	.rodata,"a",@progbits
	.p2align	6, 0x0
	.amdhsa_kernel _ZN4vllm25paged_attention_v2_kernelI14__hip_bfloat16hLi256ELi16ELi128ELNS_18Fp8KVCacheDataTypeE1ELb1ELi512EEEvPfS3_PT_PKS4_PKT0_SA_ifPKiSC_iPKfiiiSE_SE_iiiii
		.amdhsa_group_segment_fixed_size 544
		.amdhsa_private_segment_fixed_size 516
		.amdhsa_kernarg_size 400
		.amdhsa_user_sgpr_count 13
		.amdhsa_user_sgpr_dispatch_ptr 0
		.amdhsa_user_sgpr_queue_ptr 0
		.amdhsa_user_sgpr_kernarg_segment_ptr 1
		.amdhsa_user_sgpr_dispatch_id 0
		.amdhsa_user_sgpr_private_segment_size 0
		.amdhsa_wavefront_size32 1
		.amdhsa_uses_dynamic_stack 0
		.amdhsa_enable_private_segment 1
		.amdhsa_system_sgpr_workgroup_id_x 1
		.amdhsa_system_sgpr_workgroup_id_y 1
		.amdhsa_system_sgpr_workgroup_id_z 1
		.amdhsa_system_sgpr_workgroup_info 0
		.amdhsa_system_vgpr_workitem_id 0
		.amdhsa_next_free_vgpr 192
		.amdhsa_next_free_sgpr 44
		.amdhsa_reserve_vcc 1
		.amdhsa_float_round_mode_32 0
		.amdhsa_float_round_mode_16_64 0
		.amdhsa_float_denorm_mode_32 3
		.amdhsa_float_denorm_mode_16_64 3
		.amdhsa_dx10_clamp 1
		.amdhsa_ieee_mode 1
		.amdhsa_fp16_overflow 0
		.amdhsa_workgroup_processor_mode 1
		.amdhsa_memory_ordered 1
		.amdhsa_forward_progress 0
		.amdhsa_shared_vgpr_count 0
		.amdhsa_exception_fp_ieee_invalid_op 0
		.amdhsa_exception_fp_denorm_src 0
		.amdhsa_exception_fp_ieee_div_zero 0
		.amdhsa_exception_fp_ieee_overflow 0
		.amdhsa_exception_fp_ieee_underflow 0
		.amdhsa_exception_fp_ieee_inexact 0
		.amdhsa_exception_int_div_zero 0
	.end_amdhsa_kernel
	.section	.text._ZN4vllm25paged_attention_v2_kernelI14__hip_bfloat16hLi256ELi16ELi128ELNS_18Fp8KVCacheDataTypeE1ELb1ELi512EEEvPfS3_PT_PKS4_PKT0_SA_ifPKiSC_iPKfiiiSE_SE_iiiii,"axG",@progbits,_ZN4vllm25paged_attention_v2_kernelI14__hip_bfloat16hLi256ELi16ELi128ELNS_18Fp8KVCacheDataTypeE1ELb1ELi512EEEvPfS3_PT_PKS4_PKT0_SA_ifPKiSC_iPKfiiiSE_SE_iiiii,comdat
.Lfunc_end416:
	.size	_ZN4vllm25paged_attention_v2_kernelI14__hip_bfloat16hLi256ELi16ELi128ELNS_18Fp8KVCacheDataTypeE1ELb1ELi512EEEvPfS3_PT_PKS4_PKT0_SA_ifPKiSC_iPKfiiiSE_SE_iiiii, .Lfunc_end416-_ZN4vllm25paged_attention_v2_kernelI14__hip_bfloat16hLi256ELi16ELi128ELNS_18Fp8KVCacheDataTypeE1ELb1ELi512EEEvPfS3_PT_PKS4_PKT0_SA_ifPKiSC_iPKfiiiSE_SE_iiiii
                                        ; -- End function
	.section	.AMDGPU.csdata,"",@progbits
; Kernel info:
; codeLenInByte = 280
; NumSgprs: 46
; NumVgprs: 192
; ScratchSize: 516
; MemoryBound: 0
; FloatMode: 240
; IeeeMode: 1
; LDSByteSize: 544 bytes/workgroup (compile time only)
; SGPRBlocks: 5
; VGPRBlocks: 23
; NumSGPRsForWavesPerEU: 46
; NumVGPRsForWavesPerEU: 192
; Occupancy: 8
; WaveLimiterHint : 1
; COMPUTE_PGM_RSRC2:SCRATCH_EN: 1
; COMPUTE_PGM_RSRC2:USER_SGPR: 13
; COMPUTE_PGM_RSRC2:TRAP_HANDLER: 0
; COMPUTE_PGM_RSRC2:TGID_X_EN: 1
; COMPUTE_PGM_RSRC2:TGID_Y_EN: 1
; COMPUTE_PGM_RSRC2:TGID_Z_EN: 1
; COMPUTE_PGM_RSRC2:TIDIG_COMP_CNT: 0
	.section	.text._ZN4vllm25paged_attention_v2_kernelI14__hip_bfloat16hLi32ELi16ELi128ELNS_18Fp8KVCacheDataTypeE1ELb0ELi512EEEvPfS3_PT_PKS4_PKT0_SA_ifPKiSC_iPKfiiiSE_SE_iiiii,"axG",@progbits,_ZN4vllm25paged_attention_v2_kernelI14__hip_bfloat16hLi32ELi16ELi128ELNS_18Fp8KVCacheDataTypeE1ELb0ELi512EEEvPfS3_PT_PKS4_PKT0_SA_ifPKiSC_iPKfiiiSE_SE_iiiii,comdat
	.protected	_ZN4vllm25paged_attention_v2_kernelI14__hip_bfloat16hLi32ELi16ELi128ELNS_18Fp8KVCacheDataTypeE1ELb0ELi512EEEvPfS3_PT_PKS4_PKT0_SA_ifPKiSC_iPKfiiiSE_SE_iiiii ; -- Begin function _ZN4vllm25paged_attention_v2_kernelI14__hip_bfloat16hLi32ELi16ELi128ELNS_18Fp8KVCacheDataTypeE1ELb0ELi512EEEvPfS3_PT_PKS4_PKT0_SA_ifPKiSC_iPKfiiiSE_SE_iiiii
	.globl	_ZN4vllm25paged_attention_v2_kernelI14__hip_bfloat16hLi32ELi16ELi128ELNS_18Fp8KVCacheDataTypeE1ELb0ELi512EEEvPfS3_PT_PKS4_PKT0_SA_ifPKiSC_iPKfiiiSE_SE_iiiii
	.p2align	8
	.type	_ZN4vllm25paged_attention_v2_kernelI14__hip_bfloat16hLi32ELi16ELi128ELNS_18Fp8KVCacheDataTypeE1ELb0ELi512EEEvPfS3_PT_PKS4_PKT0_SA_ifPKiSC_iPKfiiiSE_SE_iiiii,@function
_ZN4vllm25paged_attention_v2_kernelI14__hip_bfloat16hLi32ELi16ELi128ELNS_18Fp8KVCacheDataTypeE1ELb0ELi512EEEvPfS3_PT_PKS4_PKT0_SA_ifPKiSC_iPKfiiiSE_SE_iiiii: ; @_ZN4vllm25paged_attention_v2_kernelI14__hip_bfloat16hLi32ELi16ELi128ELNS_18Fp8KVCacheDataTypeE1ELb0ELi512EEEvPfS3_PT_PKS4_PKT0_SA_ifPKiSC_iPKfiiiSE_SE_iiiii
; %bb.0:
	s_load_b64 s[2:3], s[0:1], 0x40
	s_mov_b32 s22, s15
	s_ashr_i32 s15, s14, 31
	s_delay_alu instid0(SALU_CYCLE_1)
	s_lshl_b64 s[4:5], s[14:15], 2
	s_waitcnt lgkmcnt(0)
	s_add_u32 s2, s2, s4
	s_addc_u32 s3, s3, s5
	s_lshl_b32 s36, s22, 9
	s_load_b32 s33, s[2:3], 0x0
	s_waitcnt lgkmcnt(0)
	s_cmp_ge_i32 s36, s33
	s_cbranch_scc1 .LBB417_537
; %bb.1:
	s_clause 0x1
	s_load_b32 s15, s[0:1], 0x90
	s_load_b64 s[34:35], s[0:1], 0x30
	s_mov_b32 s24, s13
	s_mov_b32 s23, 0
	s_waitcnt lgkmcnt(0)
	s_abs_i32 s5, s15
	s_abs_i32 s2, s34
	s_delay_alu instid0(SALU_CYCLE_1) | instskip(SKIP_1) | instid1(VALU_DEP_1)
	v_cvt_f32_u32_e32 v1, s2
	s_sub_i32 s4, 0, s2
	v_rcp_iflag_f32_e32 v1, v1
	s_waitcnt_depctr 0xfff
	v_mul_f32_e32 v1, 0x4f7ffffe, v1
	s_delay_alu instid0(VALU_DEP_1) | instskip(NEXT) | instid1(VALU_DEP_1)
	v_cvt_u32_f32_e32 v1, v1
	v_readfirstlane_b32 s3, v1
	s_delay_alu instid0(VALU_DEP_1) | instskip(NEXT) | instid1(SALU_CYCLE_1)
	s_mul_i32 s4, s4, s3
	s_mul_hi_u32 s4, s3, s4
	s_delay_alu instid0(SALU_CYCLE_1) | instskip(SKIP_4) | instid1(SALU_CYCLE_1)
	s_add_i32 s3, s3, s4
	s_xor_b32 s4, s15, s34
	s_mul_hi_u32 s3, s5, s3
	s_ashr_i32 s4, s4, 31
	s_mul_i32 s6, s3, s2
	s_sub_i32 s5, s5, s6
	s_add_i32 s6, s3, 1
	s_sub_i32 s7, s5, s2
	s_cmp_ge_u32 s5, s2
	s_cselect_b32 s3, s6, s3
	s_cselect_b32 s5, s7, s5
	s_add_i32 s6, s3, 1
	s_cmp_ge_u32 s5, s2
	s_cselect_b32 s2, s6, s3
	s_abs_i32 s10, s13
	s_xor_b32 s2, s2, s4
	s_delay_alu instid0(SALU_CYCLE_1) | instskip(SKIP_2) | instid1(SALU_CYCLE_1)
	s_sub_i32 s11, s2, s4
	s_load_b64 s[2:3], s[0:1], 0x50
	s_abs_i32 s8, s11
	v_cvt_f32_u32_e32 v1, s8
	s_sub_i32 s5, 0, s8
	s_delay_alu instid0(VALU_DEP_1) | instskip(SKIP_2) | instid1(VALU_DEP_1)
	v_rcp_iflag_f32_e32 v1, v1
	s_waitcnt_depctr 0xfff
	v_mul_f32_e32 v1, 0x4f7ffffe, v1
	v_cvt_u32_f32_e32 v1, v1
	s_delay_alu instid0(VALU_DEP_1) | instskip(NEXT) | instid1(VALU_DEP_1)
	v_readfirstlane_b32 s4, v1
	s_mul_i32 s5, s5, s4
	s_delay_alu instid0(SALU_CYCLE_1) | instskip(NEXT) | instid1(SALU_CYCLE_1)
	s_mul_hi_u32 s5, s4, s5
	s_add_i32 s4, s4, s5
	s_waitcnt lgkmcnt(0)
	s_cmp_eq_u64 s[2:3], 0
	s_mul_hi_u32 s9, s10, s4
	s_cbranch_scc1 .LBB417_3
; %bb.2:
	s_ashr_i32 s25, s24, 31
	s_delay_alu instid0(SALU_CYCLE_1) | instskip(NEXT) | instid1(SALU_CYCLE_1)
	s_lshl_b64 s[4:5], s[24:25], 2
	s_add_u32 s2, s2, s4
	s_addc_u32 s3, s3, s5
	s_load_b32 s23, s[2:3], 0x0
.LBB417_3:
	s_load_b128 s[4:7], s[0:1], 0x58
	v_lshrrev_b32_e32 v16, 1, v0
	v_and_b32_e32 v17, 1, v0
	v_lshlrev_b32_e32 v11, 3, v0
	s_ashr_i32 s2, s24, 31
	s_ashr_i32 s3, s11, 31
	s_lshl_b32 s12, s24, 5
	s_waitcnt lgkmcnt(0)
	s_mov_b32 s7, exec_lo
	v_cmpx_gt_u32_e32 8, v0
	s_cbranch_execz .LBB417_5
; %bb.4:
	s_load_b64 s[16:17], s[0:1], 0x18
	s_mul_i32 s18, s14, s4
	v_lshlrev_b32_e32 v3, 3, v16
	s_ashr_i32 s19, s18, 31
	s_delay_alu instid0(SALU_CYCLE_1) | instskip(NEXT) | instid1(VALU_DEP_1)
	s_lshl_b64 s[18:19], s[18:19], 1
	v_lshl_add_u32 v3, v17, 5, v3
	s_waitcnt lgkmcnt(0)
	s_add_u32 s4, s16, s18
	s_addc_u32 s11, s17, s19
	s_ashr_i32 s13, s12, 31
	s_delay_alu instid0(SALU_CYCLE_1) | instskip(NEXT) | instid1(SALU_CYCLE_1)
	s_lshl_b64 s[16:17], s[12:13], 1
	s_add_u32 s16, s4, s16
	s_addc_u32 s17, s11, s17
	global_load_b64 v[1:2], v11, s[16:17]
	s_waitcnt vmcnt(0)
	ds_store_b64 v3, v[1:2]
.LBB417_5:
	s_or_b32 exec_lo, exec_lo, s7
	s_add_i32 s7, s33, 15
	s_lshl_b32 s4, s22, 5
	s_ashr_i32 s11, s7, 31
	s_xor_b32 s2, s2, s3
	s_lshr_b32 s11, s11, 28
	s_add_i32 s3, s4, 32
	s_add_i32 s7, s7, s11
	v_lshrrev_b32_e32 v18, 5, v0
	s_ashr_i32 s25, s7, 4
	s_mul_i32 s7, s9, s8
	s_min_i32 s13, s3, s25
	s_clause 0x1
	s_load_b64 s[26:27], s[0:1], 0x38
	s_load_b32 s3, s[0:1], 0x48
	s_sub_i32 s7, s10, s7
	s_add_i32 s10, s9, 1
	s_sub_i32 s11, s7, s8
	s_cmp_ge_u32 s7, s8
	v_or_b32_e32 v9, s4, v18
	s_cselect_b32 s9, s10, s9
	s_cselect_b32 s7, s11, s7
	s_add_i32 s10, s9, 1
	s_cmp_ge_u32 s7, s8
	v_mbcnt_lo_u32_b32 v12, -1, 0
	s_cselect_b32 s7, s10, s9
	s_waitcnt lgkmcnt(0)
	s_xor_b32 s7, s7, s2
	s_barrier
	s_sub_i32 s34, s7, s2
	v_cmp_gt_i32_e64 s2, s13, v9
	s_mov_b32 s7, exec_lo
	buffer_gl0_inv
                                        ; implicit-def: $vgpr13
	s_mul_i32 s28, s14, s3
                                        ; implicit-def: $sgpr3
	s_delay_alu instid0(SALU_CYCLE_1)
	s_ashr_i32 s29, s28, 31
	v_cmpx_le_i32_e64 s13, v9
	s_xor_b32 s7, exec_lo, s7
; %bb.6:
	v_mbcnt_lo_u32_b32 v12, -1, 0
	v_mov_b32_e32 v13, 32
	s_mov_b32 s3, 0xff7fffff
; %bb.7:
	s_or_saveexec_b32 s37, s7
	s_clause 0x4
	s_load_b128 s[16:19], s[0:1], 0x0
	s_load_b64 s[20:21], s[0:1], 0x10
	s_load_b32 s7, s[0:1], 0x98
	s_load_b64 s[30:31], s[0:1], 0x28
	s_load_b128 s[8:11], s[0:1], 0x68
	v_mov_b32_e32 v31, s3
	v_ashrrev_i32_e32 v10, 31, v9
	s_mul_i32 s34, s34, s6
	s_xor_b32 exec_lo, exec_lo, s37
	s_cbranch_execz .LBB417_205
; %bb.8:
	v_dual_mov_b32 v2, 0 :: v_dual_lshlrev_b32 v1, 5, v17
	s_load_b64 s[0:1], s[0:1], 0x20
	v_bfe_u32 v36, v0, 1, 4
	v_xor_b32_e32 v13, 1, v12
	ds_load_b128 v[5:8], v1
	ds_load_b128 v[31:34], v1 offset:16
	s_ashr_i32 s3, s34, 31
	v_dual_mov_b32 v38, v9 :: v_dual_lshlrev_b32 v1, 4, v36
	v_cmp_gt_i32_e32 vcc_lo, 32, v13
	s_waitcnt lgkmcnt(0)
	s_load_b32 s6, s[8:9], 0x0
	v_lshlrev_b32_e32 v14, 2, v17
	s_mov_b32 s9, 0
	s_add_u32 s0, s0, s34
	s_addc_u32 s1, s1, s3
	v_add_co_u32 v3, s0, s0, v1
	v_dual_cndmask_b32 v1, v12, v13 :: v_dual_lshlrev_b32 v20, 16, v6
	v_lshlrev_b32_e32 v15, 16, v5
	v_and_b32_e32 v19, 0xffff0000, v5
	v_lshlrev_b32_e32 v5, 4, v18
	v_and_b32_e32 v21, 0xffff0000, v6
	v_lshlrev_b32_e32 v35, 2, v1
	v_lshlrev_b32_e32 v1, 2, v36
	s_lshl_b64 s[38:39], s[28:29], 2
	v_add3_u32 v36, s36, v5, v36
	v_lshlrev_b64 v[5:6], 2, v[9:10]
	s_sub_i32 s8, 1, s33
	v_lshl_or_b32 v1, v18, 6, v1
	v_add_co_ci_u32_e64 v4, null, s1, 0, s0
	s_add_u32 s1, s26, s38
	s_addc_u32 s3, s27, s39
	v_add_co_u32 v5, s1, s1, v5
	v_lshlrev_b32_e32 v22, 16, v7
	v_and_b32_e32 v23, 0xffff0000, v7
	v_lshlrev_b32_e32 v24, 16, v8
	v_and_b32_e32 v25, 0xffff0000, v8
	;; [unrolled: 2-line block ×3, first 2 shown]
	v_dual_mov_b32 v31, 0xff7fffff :: v_dual_lshlrev_b32 v28, 16, v32
	v_and_b32_e32 v29, 0xffff0000, v32
	v_lshlrev_b32_e32 v30, 16, v33
	v_and_b32_e32 v32, 0xffff0000, v33
	v_lshlrev_b32_e32 v33, 16, v34
	v_dual_mov_b32 v13, 32 :: v_dual_and_b32 v34, 0xffff0000, v34
	v_cmp_eq_u32_e32 vcc_lo, 0, v17
	v_cmp_neq_f32_e64 s0, s23, 0
	v_add_nc_u32_e32 v37, 0x60, v1
	v_add_co_ci_u32_e64 v6, s1, s3, v6, s1
	s_mov_b32 s38, s5
	s_branch .LBB417_10
.LBB417_9:                              ;   in Loop: Header=BB417_10 Depth=1
	s_or_b32 exec_lo, exec_lo, s3
	v_add_nc_u32_e32 v38, 4, v38
	v_add_co_u32 v5, s3, v5, 16
	v_add_nc_u32_e32 v36, 64, v36
	v_add_nc_u32_e32 v37, 0x100, v37
	s_delay_alu instid0(VALU_DEP_4) | instskip(SKIP_1) | instid1(VALU_DEP_2)
	v_cmp_le_i32_e64 s1, s13, v38
	v_add_co_ci_u32_e64 v6, s3, 0, v6, s3
	s_or_b32 s9, s1, s9
	s_delay_alu instid0(SALU_CYCLE_1)
	s_and_not1_b32 exec_lo, exec_lo, s9
	s_cbranch_execz .LBB417_204
.LBB417_10:                             ; =>This Inner Loop Header: Depth=1
	global_load_b32 v1, v[5:6], off
	s_mov_b32 s3, exec_lo
	s_waitcnt vmcnt(0) lgkmcnt(0)
	v_mad_i64_i32 v[7:8], null, v1, s38, v[3:4]
	v_mov_b32_e32 v1, 0
	s_delay_alu instid0(VALU_DEP_2) | instskip(NEXT) | instid1(VALU_DEP_1)
	v_add_co_u32 v7, s1, v7, v14
	v_add_co_ci_u32_e64 v8, s1, 0, v8, s1
	global_load_b32 v42, v[7:8], off
	s_waitcnt vmcnt(0)
	v_and_b32_e32 v39, 0xff, v42
	s_delay_alu instid0(VALU_DEP_1)
	v_cmpx_ne_u16_e32 0, v39
	s_cbranch_execz .LBB417_18
; %bb.11:                               ;   in Loop: Header=BB417_10 Depth=1
	v_bfrev_b32_e32 v1, 1
	s_mov_b32 s39, exec_lo
	v_cmpx_ne_u16_e32 0x80, v39
	s_cbranch_execz .LBB417_17
; %bb.12:                               ;   in Loop: Header=BB417_10 Depth=1
	v_and_b32_e32 v40, 0x7f, v42
	v_mov_b32_e32 v1, 0x7f800001
	s_mov_b32 s40, exec_lo
	s_delay_alu instid0(VALU_DEP_2)
	v_cmpx_ne_u32_e32 0x7f, v40
	s_cbranch_execz .LBB417_16
; %bb.13:                               ;   in Loop: Header=BB417_10 Depth=1
	v_and_b32_e32 v1, 7, v42
	v_lshrrev_b32_e32 v39, 3, v40
	s_mov_b32 s41, exec_lo
	v_cmpx_gt_u32_e32 8, v40
; %bb.14:                               ;   in Loop: Header=BB417_10 Depth=1
	s_delay_alu instid0(VALU_DEP_3) | instskip(NEXT) | instid1(VALU_DEP_1)
	v_clz_i32_u32_e32 v39, v1
	v_min_u32_e32 v39, 32, v39
	s_delay_alu instid0(VALU_DEP_1) | instskip(SKIP_1) | instid1(VALU_DEP_2)
	v_subrev_nc_u32_e32 v40, 28, v39
	v_sub_nc_u32_e32 v39, 29, v39
	v_lshlrev_b64 v[40:41], v40, v[1:2]
	s_delay_alu instid0(VALU_DEP_1)
	v_and_b32_e32 v1, 7, v40
; %bb.15:                               ;   in Loop: Header=BB417_10 Depth=1
	s_or_b32 exec_lo, exec_lo, s41
	v_lshlrev_b32_e32 v40, 24, v42
	s_delay_alu instid0(VALU_DEP_2) | instskip(SKIP_1) | instid1(VALU_DEP_3)
	v_lshlrev_b32_e32 v1, 20, v1
	v_lshl_add_u32 v39, v39, 23, 0x3c000000
	v_and_b32_e32 v40, 0x80000000, v40
	s_delay_alu instid0(VALU_DEP_1)
	v_or3_b32 v1, v1, v40, v39
.LBB417_16:                             ;   in Loop: Header=BB417_10 Depth=1
	s_or_b32 exec_lo, exec_lo, s40
.LBB417_17:                             ;   in Loop: Header=BB417_10 Depth=1
	s_delay_alu instid0(SALU_CYCLE_1)
	s_or_b32 exec_lo, exec_lo, s39
.LBB417_18:                             ;   in Loop: Header=BB417_10 Depth=1
	s_delay_alu instid0(SALU_CYCLE_1) | instskip(SKIP_2) | instid1(VALU_DEP_1)
	s_or_b32 exec_lo, exec_lo, s3
	s_waitcnt lgkmcnt(0)
	v_mul_f32_e32 v1, s6, v1
	v_and_b32_e32 v39, 0x7f800000, v1
	s_delay_alu instid0(VALU_DEP_1) | instskip(NEXT) | instid1(VALU_DEP_1)
	v_cmp_ne_u32_e64 s1, 0x7f800000, v39
                                        ; implicit-def: $vgpr39
	s_and_saveexec_b32 s3, s1
	s_delay_alu instid0(SALU_CYCLE_1)
	s_xor_b32 s1, exec_lo, s3
; %bb.19:                               ;   in Loop: Header=BB417_10 Depth=1
	v_bfe_u32 v39, v1, 16, 1
	s_delay_alu instid0(VALU_DEP_1)
	v_add3_u32 v39, v1, v39, 0x7fff
                                        ; implicit-def: $vgpr1
; %bb.20:                               ;   in Loop: Header=BB417_10 Depth=1
	s_and_not1_saveexec_b32 s3, s1
; %bb.21:                               ;   in Loop: Header=BB417_10 Depth=1
	v_and_b32_e32 v39, 0xffff, v1
	v_or_b32_e32 v40, 0x10000, v1
	s_delay_alu instid0(VALU_DEP_2) | instskip(NEXT) | instid1(VALU_DEP_1)
	v_cmp_eq_u32_e64 s1, 0, v39
	v_cndmask_b32_e64 v39, v40, v1, s1
; %bb.22:                               ;   in Loop: Header=BB417_10 Depth=1
	s_or_b32 exec_lo, exec_lo, s3
	v_lshrrev_b16 v40, 8, v42
	v_mov_b32_e32 v1, 0
	s_mov_b32 s3, exec_lo
	s_delay_alu instid0(VALU_DEP_2)
	v_cmpx_ne_u16_e32 0, v40
	s_cbranch_execz .LBB417_30
; %bb.23:                               ;   in Loop: Header=BB417_10 Depth=1
	v_bfrev_b32_e32 v1, 1
	s_mov_b32 s39, exec_lo
	v_cmpx_ne_u16_e32 0x80, v40
	s_cbranch_execz .LBB417_29
; %bb.24:                               ;   in Loop: Header=BB417_10 Depth=1
	v_and_b32_e32 v40, 0xffff, v40
	v_mov_b32_e32 v1, 0x7f800001
	s_mov_b32 s40, exec_lo
	s_delay_alu instid0(VALU_DEP_2) | instskip(NEXT) | instid1(VALU_DEP_1)
	v_and_b32_e32 v41, 0x7f, v40
	v_cmpx_ne_u32_e32 0x7f, v41
	s_cbranch_execz .LBB417_28
; %bb.25:                               ;   in Loop: Header=BB417_10 Depth=1
	v_and_b32_e32 v1, 7, v40
	v_lshrrev_b32_e32 v40, 3, v41
	s_mov_b32 s41, exec_lo
	v_cmpx_gt_u32_e32 8, v41
; %bb.26:                               ;   in Loop: Header=BB417_10 Depth=1
	s_delay_alu instid0(VALU_DEP_3) | instskip(NEXT) | instid1(VALU_DEP_1)
	v_clz_i32_u32_e32 v40, v1
	v_min_u32_e32 v40, 32, v40
	s_delay_alu instid0(VALU_DEP_1) | instskip(SKIP_1) | instid1(VALU_DEP_2)
	v_subrev_nc_u32_e32 v41, 28, v40
	v_sub_nc_u32_e32 v40, 29, v40
	v_lshlrev_b64 v[43:44], v41, v[1:2]
	s_delay_alu instid0(VALU_DEP_1)
	v_and_b32_e32 v1, 7, v43
; %bb.27:                               ;   in Loop: Header=BB417_10 Depth=1
	s_or_b32 exec_lo, exec_lo, s41
	v_lshlrev_b32_e32 v41, 16, v42
	s_delay_alu instid0(VALU_DEP_2) | instskip(SKIP_1) | instid1(VALU_DEP_3)
	v_lshlrev_b32_e32 v1, 20, v1
	v_lshl_add_u32 v40, v40, 23, 0x3c000000
	v_and_b32_e32 v41, 0x80000000, v41
	s_delay_alu instid0(VALU_DEP_1)
	v_or3_b32 v1, v1, v41, v40
.LBB417_28:                             ;   in Loop: Header=BB417_10 Depth=1
	s_or_b32 exec_lo, exec_lo, s40
.LBB417_29:                             ;   in Loop: Header=BB417_10 Depth=1
	s_delay_alu instid0(SALU_CYCLE_1)
	s_or_b32 exec_lo, exec_lo, s39
.LBB417_30:                             ;   in Loop: Header=BB417_10 Depth=1
	s_delay_alu instid0(SALU_CYCLE_1) | instskip(NEXT) | instid1(VALU_DEP_1)
	s_or_b32 exec_lo, exec_lo, s3
	v_mul_f32_e32 v1, s6, v1
	s_delay_alu instid0(VALU_DEP_1) | instskip(NEXT) | instid1(VALU_DEP_1)
	v_and_b32_e32 v40, 0x7f800000, v1
	v_cmp_ne_u32_e64 s1, 0x7f800000, v40
                                        ; implicit-def: $vgpr40
	s_delay_alu instid0(VALU_DEP_1) | instskip(NEXT) | instid1(SALU_CYCLE_1)
	s_and_saveexec_b32 s3, s1
	s_xor_b32 s1, exec_lo, s3
; %bb.31:                               ;   in Loop: Header=BB417_10 Depth=1
	v_bfe_u32 v40, v1, 16, 1
	s_delay_alu instid0(VALU_DEP_1)
	v_add3_u32 v40, v1, v40, 0x7fff
                                        ; implicit-def: $vgpr1
; %bb.32:                               ;   in Loop: Header=BB417_10 Depth=1
	s_and_not1_saveexec_b32 s3, s1
; %bb.33:                               ;   in Loop: Header=BB417_10 Depth=1
	v_and_b32_e32 v40, 0xffff, v1
	v_or_b32_e32 v41, 0x10000, v1
	s_delay_alu instid0(VALU_DEP_2) | instskip(NEXT) | instid1(VALU_DEP_1)
	v_cmp_eq_u32_e64 s1, 0, v40
	v_cndmask_b32_e64 v40, v41, v1, s1
; %bb.34:                               ;   in Loop: Header=BB417_10 Depth=1
	s_or_b32 exec_lo, exec_lo, s3
	v_lshrrev_b32_e32 v41, 16, v42
	v_mov_b32_e32 v1, 0
	s_mov_b32 s3, exec_lo
	s_delay_alu instid0(VALU_DEP_2) | instskip(NEXT) | instid1(VALU_DEP_1)
	v_and_b32_e32 v43, 0xff, v41
	v_cmpx_ne_u16_e32 0, v43
	s_cbranch_execz .LBB417_42
; %bb.35:                               ;   in Loop: Header=BB417_10 Depth=1
	v_bfrev_b32_e32 v1, 1
	s_mov_b32 s39, exec_lo
	v_cmpx_ne_u16_e32 0x80, v43
	s_cbranch_execz .LBB417_41
; %bb.36:                               ;   in Loop: Header=BB417_10 Depth=1
	v_bfe_u32 v44, v42, 16, 7
	v_mov_b32_e32 v1, 0x7f800001
	s_mov_b32 s40, exec_lo
	s_delay_alu instid0(VALU_DEP_2)
	v_cmpx_ne_u32_e32 0x7f, v44
	s_cbranch_execz .LBB417_40
; %bb.37:                               ;   in Loop: Header=BB417_10 Depth=1
	v_and_b32_e32 v1, 7, v41
	v_lshrrev_b32_e32 v43, 3, v44
	s_mov_b32 s41, exec_lo
	v_cmpx_gt_u32_e32 8, v44
; %bb.38:                               ;   in Loop: Header=BB417_10 Depth=1
	s_delay_alu instid0(VALU_DEP_3) | instskip(NEXT) | instid1(VALU_DEP_1)
	v_clz_i32_u32_e32 v43, v1
	v_min_u32_e32 v43, 32, v43
	s_delay_alu instid0(VALU_DEP_1) | instskip(SKIP_1) | instid1(VALU_DEP_2)
	v_subrev_nc_u32_e32 v44, 28, v43
	v_sub_nc_u32_e32 v43, 29, v43
	v_lshlrev_b64 v[44:45], v44, v[1:2]
	s_delay_alu instid0(VALU_DEP_1)
	v_and_b32_e32 v1, 7, v44
; %bb.39:                               ;   in Loop: Header=BB417_10 Depth=1
	s_or_b32 exec_lo, exec_lo, s41
	v_lshlrev_b32_e32 v41, 24, v41
	s_delay_alu instid0(VALU_DEP_2) | instskip(SKIP_1) | instid1(VALU_DEP_3)
	v_lshlrev_b32_e32 v1, 20, v1
	v_lshl_add_u32 v43, v43, 23, 0x3c000000
	v_and_b32_e32 v41, 0x80000000, v41
	s_delay_alu instid0(VALU_DEP_1)
	v_or3_b32 v1, v1, v41, v43
.LBB417_40:                             ;   in Loop: Header=BB417_10 Depth=1
	s_or_b32 exec_lo, exec_lo, s40
.LBB417_41:                             ;   in Loop: Header=BB417_10 Depth=1
	s_delay_alu instid0(SALU_CYCLE_1)
	s_or_b32 exec_lo, exec_lo, s39
.LBB417_42:                             ;   in Loop: Header=BB417_10 Depth=1
	s_delay_alu instid0(SALU_CYCLE_1) | instskip(NEXT) | instid1(VALU_DEP_1)
	s_or_b32 exec_lo, exec_lo, s3
	v_mul_f32_e32 v1, s6, v1
	s_delay_alu instid0(VALU_DEP_1) | instskip(NEXT) | instid1(VALU_DEP_1)
	v_and_b32_e32 v41, 0x7f800000, v1
	v_cmp_ne_u32_e64 s1, 0x7f800000, v41
                                        ; implicit-def: $vgpr41
	s_delay_alu instid0(VALU_DEP_1) | instskip(NEXT) | instid1(SALU_CYCLE_1)
	s_and_saveexec_b32 s3, s1
	s_xor_b32 s1, exec_lo, s3
; %bb.43:                               ;   in Loop: Header=BB417_10 Depth=1
	v_bfe_u32 v41, v1, 16, 1
	s_delay_alu instid0(VALU_DEP_1)
	v_add3_u32 v41, v1, v41, 0x7fff
                                        ; implicit-def: $vgpr1
; %bb.44:                               ;   in Loop: Header=BB417_10 Depth=1
	s_and_not1_saveexec_b32 s3, s1
; %bb.45:                               ;   in Loop: Header=BB417_10 Depth=1
	v_and_b32_e32 v41, 0xffff, v1
	v_or_b32_e32 v43, 0x10000, v1
	s_delay_alu instid0(VALU_DEP_2) | instskip(NEXT) | instid1(VALU_DEP_1)
	v_cmp_eq_u32_e64 s1, 0, v41
	v_cndmask_b32_e64 v41, v43, v1, s1
; %bb.46:                               ;   in Loop: Header=BB417_10 Depth=1
	s_or_b32 exec_lo, exec_lo, s3
	v_mov_b32_e32 v1, 0
	s_mov_b32 s3, exec_lo
	v_cmpx_lt_u32_e32 0xffffff, v42
	s_cbranch_execz .LBB417_54
; %bb.47:                               ;   in Loop: Header=BB417_10 Depth=1
	v_lshrrev_b32_e32 v43, 24, v42
	v_bfrev_b32_e32 v1, 1
	s_mov_b32 s39, exec_lo
	s_delay_alu instid0(VALU_DEP_2)
	v_cmpx_ne_u32_e32 0x80, v43
	s_cbranch_execz .LBB417_53
; %bb.48:                               ;   in Loop: Header=BB417_10 Depth=1
	v_bfe_u32 v44, v42, 24, 7
	v_mov_b32_e32 v1, 0x7f800001
	s_mov_b32 s40, exec_lo
	s_delay_alu instid0(VALU_DEP_2)
	v_cmpx_ne_u32_e32 0x7f, v44
	s_cbranch_execz .LBB417_52
; %bb.49:                               ;   in Loop: Header=BB417_10 Depth=1
	v_and_b32_e32 v1, 7, v43
	v_lshrrev_b32_e32 v42, 3, v44
	s_mov_b32 s41, exec_lo
	v_cmpx_gt_u32_e32 8, v44
; %bb.50:                               ;   in Loop: Header=BB417_10 Depth=1
	s_delay_alu instid0(VALU_DEP_3) | instskip(NEXT) | instid1(VALU_DEP_1)
	v_clz_i32_u32_e32 v42, v1
	v_min_u32_e32 v42, 32, v42
	s_delay_alu instid0(VALU_DEP_1) | instskip(SKIP_1) | instid1(VALU_DEP_2)
	v_subrev_nc_u32_e32 v44, 28, v42
	v_sub_nc_u32_e32 v42, 29, v42
	v_lshlrev_b64 v[44:45], v44, v[1:2]
	s_delay_alu instid0(VALU_DEP_1)
	v_and_b32_e32 v1, 7, v44
; %bb.51:                               ;   in Loop: Header=BB417_10 Depth=1
	s_or_b32 exec_lo, exec_lo, s41
	v_lshlrev_b32_e32 v43, 24, v43
	s_delay_alu instid0(VALU_DEP_2) | instskip(SKIP_1) | instid1(VALU_DEP_3)
	v_lshlrev_b32_e32 v1, 20, v1
	v_lshl_add_u32 v42, v42, 23, 0x3c000000
	v_and_b32_e32 v43, 0x80000000, v43
	s_delay_alu instid0(VALU_DEP_1)
	v_or3_b32 v1, v1, v43, v42
.LBB417_52:                             ;   in Loop: Header=BB417_10 Depth=1
	s_or_b32 exec_lo, exec_lo, s40
.LBB417_53:                             ;   in Loop: Header=BB417_10 Depth=1
	s_delay_alu instid0(SALU_CYCLE_1)
	s_or_b32 exec_lo, exec_lo, s39
.LBB417_54:                             ;   in Loop: Header=BB417_10 Depth=1
	s_delay_alu instid0(SALU_CYCLE_1) | instskip(NEXT) | instid1(VALU_DEP_1)
	s_or_b32 exec_lo, exec_lo, s3
	v_mul_f32_e32 v1, s6, v1
	s_delay_alu instid0(VALU_DEP_1) | instskip(NEXT) | instid1(VALU_DEP_1)
	v_and_b32_e32 v42, 0x7f800000, v1
	v_cmp_ne_u32_e64 s1, 0x7f800000, v42
                                        ; implicit-def: $vgpr42
	s_delay_alu instid0(VALU_DEP_1) | instskip(NEXT) | instid1(SALU_CYCLE_1)
	s_and_saveexec_b32 s3, s1
	s_xor_b32 s1, exec_lo, s3
; %bb.55:                               ;   in Loop: Header=BB417_10 Depth=1
	v_bfe_u32 v42, v1, 16, 1
	s_delay_alu instid0(VALU_DEP_1)
	v_add3_u32 v42, v1, v42, 0x7fff
                                        ; implicit-def: $vgpr1
; %bb.56:                               ;   in Loop: Header=BB417_10 Depth=1
	s_and_not1_saveexec_b32 s3, s1
; %bb.57:                               ;   in Loop: Header=BB417_10 Depth=1
	v_and_b32_e32 v42, 0xffff, v1
	v_or_b32_e32 v43, 0x10000, v1
	s_delay_alu instid0(VALU_DEP_2) | instskip(NEXT) | instid1(VALU_DEP_1)
	v_cmp_eq_u32_e64 s1, 0, v42
	v_cndmask_b32_e64 v42, v43, v1, s1
; %bb.58:                               ;   in Loop: Header=BB417_10 Depth=1
	s_or_b32 exec_lo, exec_lo, s3
	global_load_b32 v46, v[7:8], off offset:8
	v_mov_b32_e32 v1, 0
	s_mov_b32 s3, exec_lo
	s_waitcnt vmcnt(0)
	v_and_b32_e32 v43, 0xff, v46
	s_delay_alu instid0(VALU_DEP_1)
	v_cmpx_ne_u16_e32 0, v43
	s_cbranch_execz .LBB417_66
; %bb.59:                               ;   in Loop: Header=BB417_10 Depth=1
	v_bfrev_b32_e32 v1, 1
	s_mov_b32 s39, exec_lo
	v_cmpx_ne_u16_e32 0x80, v43
	s_cbranch_execz .LBB417_65
; %bb.60:                               ;   in Loop: Header=BB417_10 Depth=1
	v_and_b32_e32 v44, 0x7f, v46
	v_mov_b32_e32 v1, 0x7f800001
	s_mov_b32 s40, exec_lo
	s_delay_alu instid0(VALU_DEP_2)
	v_cmpx_ne_u32_e32 0x7f, v44
	s_cbranch_execz .LBB417_64
; %bb.61:                               ;   in Loop: Header=BB417_10 Depth=1
	v_and_b32_e32 v1, 7, v46
	v_lshrrev_b32_e32 v43, 3, v44
	s_mov_b32 s41, exec_lo
	v_cmpx_gt_u32_e32 8, v44
; %bb.62:                               ;   in Loop: Header=BB417_10 Depth=1
	s_delay_alu instid0(VALU_DEP_3) | instskip(NEXT) | instid1(VALU_DEP_1)
	v_clz_i32_u32_e32 v43, v1
	v_min_u32_e32 v43, 32, v43
	s_delay_alu instid0(VALU_DEP_1) | instskip(SKIP_1) | instid1(VALU_DEP_2)
	v_subrev_nc_u32_e32 v44, 28, v43
	v_sub_nc_u32_e32 v43, 29, v43
	v_lshlrev_b64 v[44:45], v44, v[1:2]
	s_delay_alu instid0(VALU_DEP_1)
	v_and_b32_e32 v1, 7, v44
; %bb.63:                               ;   in Loop: Header=BB417_10 Depth=1
	s_or_b32 exec_lo, exec_lo, s41
	v_lshlrev_b32_e32 v44, 24, v46
	s_delay_alu instid0(VALU_DEP_2) | instskip(SKIP_1) | instid1(VALU_DEP_3)
	v_lshlrev_b32_e32 v1, 20, v1
	v_lshl_add_u32 v43, v43, 23, 0x3c000000
	v_and_b32_e32 v44, 0x80000000, v44
	s_delay_alu instid0(VALU_DEP_1)
	v_or3_b32 v1, v1, v44, v43
.LBB417_64:                             ;   in Loop: Header=BB417_10 Depth=1
	s_or_b32 exec_lo, exec_lo, s40
.LBB417_65:                             ;   in Loop: Header=BB417_10 Depth=1
	s_delay_alu instid0(SALU_CYCLE_1)
	s_or_b32 exec_lo, exec_lo, s39
.LBB417_66:                             ;   in Loop: Header=BB417_10 Depth=1
	s_delay_alu instid0(SALU_CYCLE_1) | instskip(NEXT) | instid1(VALU_DEP_1)
	s_or_b32 exec_lo, exec_lo, s3
	v_mul_f32_e32 v1, s6, v1
	s_delay_alu instid0(VALU_DEP_1) | instskip(NEXT) | instid1(VALU_DEP_1)
	v_and_b32_e32 v43, 0x7f800000, v1
	v_cmp_ne_u32_e64 s1, 0x7f800000, v43
                                        ; implicit-def: $vgpr43
	s_delay_alu instid0(VALU_DEP_1) | instskip(NEXT) | instid1(SALU_CYCLE_1)
	s_and_saveexec_b32 s3, s1
	s_xor_b32 s1, exec_lo, s3
; %bb.67:                               ;   in Loop: Header=BB417_10 Depth=1
	v_bfe_u32 v43, v1, 16, 1
	s_delay_alu instid0(VALU_DEP_1)
	v_add3_u32 v43, v1, v43, 0x7fff
                                        ; implicit-def: $vgpr1
; %bb.68:                               ;   in Loop: Header=BB417_10 Depth=1
	s_and_not1_saveexec_b32 s3, s1
; %bb.69:                               ;   in Loop: Header=BB417_10 Depth=1
	v_and_b32_e32 v43, 0xffff, v1
	v_or_b32_e32 v44, 0x10000, v1
	s_delay_alu instid0(VALU_DEP_2) | instskip(NEXT) | instid1(VALU_DEP_1)
	v_cmp_eq_u32_e64 s1, 0, v43
	v_cndmask_b32_e64 v43, v44, v1, s1
; %bb.70:                               ;   in Loop: Header=BB417_10 Depth=1
	s_or_b32 exec_lo, exec_lo, s3
	v_lshrrev_b16 v44, 8, v46
	v_mov_b32_e32 v1, 0
	s_mov_b32 s3, exec_lo
	s_delay_alu instid0(VALU_DEP_2)
	v_cmpx_ne_u16_e32 0, v44
	s_cbranch_execz .LBB417_78
; %bb.71:                               ;   in Loop: Header=BB417_10 Depth=1
	v_bfrev_b32_e32 v1, 1
	s_mov_b32 s39, exec_lo
	v_cmpx_ne_u16_e32 0x80, v44
	s_cbranch_execz .LBB417_77
; %bb.72:                               ;   in Loop: Header=BB417_10 Depth=1
	v_and_b32_e32 v44, 0xffff, v44
	v_mov_b32_e32 v1, 0x7f800001
	s_mov_b32 s40, exec_lo
	s_delay_alu instid0(VALU_DEP_2) | instskip(NEXT) | instid1(VALU_DEP_1)
	v_and_b32_e32 v45, 0x7f, v44
	v_cmpx_ne_u32_e32 0x7f, v45
	s_cbranch_execz .LBB417_76
; %bb.73:                               ;   in Loop: Header=BB417_10 Depth=1
	v_and_b32_e32 v1, 7, v44
	v_lshrrev_b32_e32 v44, 3, v45
	s_mov_b32 s41, exec_lo
	v_cmpx_gt_u32_e32 8, v45
; %bb.74:                               ;   in Loop: Header=BB417_10 Depth=1
	s_delay_alu instid0(VALU_DEP_3) | instskip(NEXT) | instid1(VALU_DEP_1)
	v_clz_i32_u32_e32 v44, v1
	v_min_u32_e32 v44, 32, v44
	s_delay_alu instid0(VALU_DEP_1) | instskip(SKIP_1) | instid1(VALU_DEP_2)
	v_subrev_nc_u32_e32 v45, 28, v44
	v_sub_nc_u32_e32 v44, 29, v44
	v_lshlrev_b64 v[47:48], v45, v[1:2]
	s_delay_alu instid0(VALU_DEP_1)
	v_and_b32_e32 v1, 7, v47
; %bb.75:                               ;   in Loop: Header=BB417_10 Depth=1
	s_or_b32 exec_lo, exec_lo, s41
	v_lshlrev_b32_e32 v45, 16, v46
	s_delay_alu instid0(VALU_DEP_2) | instskip(SKIP_1) | instid1(VALU_DEP_3)
	v_lshlrev_b32_e32 v1, 20, v1
	v_lshl_add_u32 v44, v44, 23, 0x3c000000
	v_and_b32_e32 v45, 0x80000000, v45
	s_delay_alu instid0(VALU_DEP_1)
	v_or3_b32 v1, v1, v45, v44
.LBB417_76:                             ;   in Loop: Header=BB417_10 Depth=1
	s_or_b32 exec_lo, exec_lo, s40
.LBB417_77:                             ;   in Loop: Header=BB417_10 Depth=1
	s_delay_alu instid0(SALU_CYCLE_1)
	s_or_b32 exec_lo, exec_lo, s39
.LBB417_78:                             ;   in Loop: Header=BB417_10 Depth=1
	s_delay_alu instid0(SALU_CYCLE_1) | instskip(NEXT) | instid1(VALU_DEP_1)
	s_or_b32 exec_lo, exec_lo, s3
	v_mul_f32_e32 v1, s6, v1
	s_delay_alu instid0(VALU_DEP_1) | instskip(NEXT) | instid1(VALU_DEP_1)
	v_and_b32_e32 v44, 0x7f800000, v1
	v_cmp_ne_u32_e64 s1, 0x7f800000, v44
                                        ; implicit-def: $vgpr44
	s_delay_alu instid0(VALU_DEP_1) | instskip(NEXT) | instid1(SALU_CYCLE_1)
	s_and_saveexec_b32 s3, s1
	s_xor_b32 s1, exec_lo, s3
; %bb.79:                               ;   in Loop: Header=BB417_10 Depth=1
	v_bfe_u32 v44, v1, 16, 1
	s_delay_alu instid0(VALU_DEP_1)
	v_add3_u32 v44, v1, v44, 0x7fff
                                        ; implicit-def: $vgpr1
; %bb.80:                               ;   in Loop: Header=BB417_10 Depth=1
	s_and_not1_saveexec_b32 s3, s1
; %bb.81:                               ;   in Loop: Header=BB417_10 Depth=1
	v_and_b32_e32 v44, 0xffff, v1
	v_or_b32_e32 v45, 0x10000, v1
	s_delay_alu instid0(VALU_DEP_2) | instskip(NEXT) | instid1(VALU_DEP_1)
	v_cmp_eq_u32_e64 s1, 0, v44
	v_cndmask_b32_e64 v44, v45, v1, s1
; %bb.82:                               ;   in Loop: Header=BB417_10 Depth=1
	s_or_b32 exec_lo, exec_lo, s3
	v_lshrrev_b32_e32 v45, 16, v46
	v_mov_b32_e32 v1, 0
	s_mov_b32 s3, exec_lo
	s_delay_alu instid0(VALU_DEP_2) | instskip(NEXT) | instid1(VALU_DEP_1)
	v_and_b32_e32 v47, 0xff, v45
	v_cmpx_ne_u16_e32 0, v47
	s_cbranch_execz .LBB417_90
; %bb.83:                               ;   in Loop: Header=BB417_10 Depth=1
	v_bfrev_b32_e32 v1, 1
	s_mov_b32 s39, exec_lo
	v_cmpx_ne_u16_e32 0x80, v47
	s_cbranch_execz .LBB417_89
; %bb.84:                               ;   in Loop: Header=BB417_10 Depth=1
	v_bfe_u32 v48, v46, 16, 7
	v_mov_b32_e32 v1, 0x7f800001
	s_mov_b32 s40, exec_lo
	s_delay_alu instid0(VALU_DEP_2)
	v_cmpx_ne_u32_e32 0x7f, v48
	s_cbranch_execz .LBB417_88
; %bb.85:                               ;   in Loop: Header=BB417_10 Depth=1
	v_and_b32_e32 v1, 7, v45
	v_lshrrev_b32_e32 v47, 3, v48
	s_mov_b32 s41, exec_lo
	v_cmpx_gt_u32_e32 8, v48
; %bb.86:                               ;   in Loop: Header=BB417_10 Depth=1
	s_delay_alu instid0(VALU_DEP_3) | instskip(NEXT) | instid1(VALU_DEP_1)
	v_clz_i32_u32_e32 v47, v1
	v_min_u32_e32 v47, 32, v47
	s_delay_alu instid0(VALU_DEP_1) | instskip(SKIP_1) | instid1(VALU_DEP_2)
	v_subrev_nc_u32_e32 v48, 28, v47
	v_sub_nc_u32_e32 v47, 29, v47
	v_lshlrev_b64 v[48:49], v48, v[1:2]
	s_delay_alu instid0(VALU_DEP_1)
	v_and_b32_e32 v1, 7, v48
; %bb.87:                               ;   in Loop: Header=BB417_10 Depth=1
	s_or_b32 exec_lo, exec_lo, s41
	v_lshlrev_b32_e32 v45, 24, v45
	s_delay_alu instid0(VALU_DEP_2) | instskip(SKIP_1) | instid1(VALU_DEP_3)
	v_lshlrev_b32_e32 v1, 20, v1
	v_lshl_add_u32 v47, v47, 23, 0x3c000000
	v_and_b32_e32 v45, 0x80000000, v45
	s_delay_alu instid0(VALU_DEP_1)
	v_or3_b32 v1, v1, v45, v47
.LBB417_88:                             ;   in Loop: Header=BB417_10 Depth=1
	s_or_b32 exec_lo, exec_lo, s40
.LBB417_89:                             ;   in Loop: Header=BB417_10 Depth=1
	s_delay_alu instid0(SALU_CYCLE_1)
	s_or_b32 exec_lo, exec_lo, s39
.LBB417_90:                             ;   in Loop: Header=BB417_10 Depth=1
	s_delay_alu instid0(SALU_CYCLE_1) | instskip(NEXT) | instid1(VALU_DEP_1)
	s_or_b32 exec_lo, exec_lo, s3
	v_mul_f32_e32 v1, s6, v1
	s_delay_alu instid0(VALU_DEP_1) | instskip(NEXT) | instid1(VALU_DEP_1)
	v_and_b32_e32 v45, 0x7f800000, v1
	v_cmp_ne_u32_e64 s1, 0x7f800000, v45
                                        ; implicit-def: $vgpr45
	s_delay_alu instid0(VALU_DEP_1) | instskip(NEXT) | instid1(SALU_CYCLE_1)
	s_and_saveexec_b32 s3, s1
	s_xor_b32 s1, exec_lo, s3
; %bb.91:                               ;   in Loop: Header=BB417_10 Depth=1
	v_bfe_u32 v45, v1, 16, 1
	s_delay_alu instid0(VALU_DEP_1)
	v_add3_u32 v45, v1, v45, 0x7fff
                                        ; implicit-def: $vgpr1
; %bb.92:                               ;   in Loop: Header=BB417_10 Depth=1
	s_and_not1_saveexec_b32 s3, s1
; %bb.93:                               ;   in Loop: Header=BB417_10 Depth=1
	v_and_b32_e32 v45, 0xffff, v1
	v_or_b32_e32 v47, 0x10000, v1
	s_delay_alu instid0(VALU_DEP_2) | instskip(NEXT) | instid1(VALU_DEP_1)
	v_cmp_eq_u32_e64 s1, 0, v45
	v_cndmask_b32_e64 v45, v47, v1, s1
; %bb.94:                               ;   in Loop: Header=BB417_10 Depth=1
	s_or_b32 exec_lo, exec_lo, s3
	v_mov_b32_e32 v1, 0
	s_mov_b32 s3, exec_lo
	v_cmpx_lt_u32_e32 0xffffff, v46
	s_cbranch_execz .LBB417_102
; %bb.95:                               ;   in Loop: Header=BB417_10 Depth=1
	v_lshrrev_b32_e32 v47, 24, v46
	v_bfrev_b32_e32 v1, 1
	s_mov_b32 s39, exec_lo
	s_delay_alu instid0(VALU_DEP_2)
	v_cmpx_ne_u32_e32 0x80, v47
	s_cbranch_execz .LBB417_101
; %bb.96:                               ;   in Loop: Header=BB417_10 Depth=1
	v_bfe_u32 v48, v46, 24, 7
	v_mov_b32_e32 v1, 0x7f800001
	s_mov_b32 s40, exec_lo
	s_delay_alu instid0(VALU_DEP_2)
	v_cmpx_ne_u32_e32 0x7f, v48
	s_cbranch_execz .LBB417_100
; %bb.97:                               ;   in Loop: Header=BB417_10 Depth=1
	v_and_b32_e32 v1, 7, v47
	v_lshrrev_b32_e32 v46, 3, v48
	s_mov_b32 s41, exec_lo
	v_cmpx_gt_u32_e32 8, v48
; %bb.98:                               ;   in Loop: Header=BB417_10 Depth=1
	s_delay_alu instid0(VALU_DEP_3) | instskip(NEXT) | instid1(VALU_DEP_1)
	v_clz_i32_u32_e32 v46, v1
	v_min_u32_e32 v46, 32, v46
	s_delay_alu instid0(VALU_DEP_1) | instskip(SKIP_1) | instid1(VALU_DEP_2)
	v_subrev_nc_u32_e32 v48, 28, v46
	v_sub_nc_u32_e32 v46, 29, v46
	v_lshlrev_b64 v[48:49], v48, v[1:2]
	s_delay_alu instid0(VALU_DEP_1)
	v_and_b32_e32 v1, 7, v48
; %bb.99:                               ;   in Loop: Header=BB417_10 Depth=1
	s_or_b32 exec_lo, exec_lo, s41
	v_lshlrev_b32_e32 v47, 24, v47
	s_delay_alu instid0(VALU_DEP_2) | instskip(SKIP_1) | instid1(VALU_DEP_3)
	v_lshlrev_b32_e32 v1, 20, v1
	v_lshl_add_u32 v46, v46, 23, 0x3c000000
	v_and_b32_e32 v47, 0x80000000, v47
	s_delay_alu instid0(VALU_DEP_1)
	v_or3_b32 v1, v1, v47, v46
.LBB417_100:                            ;   in Loop: Header=BB417_10 Depth=1
	s_or_b32 exec_lo, exec_lo, s40
.LBB417_101:                            ;   in Loop: Header=BB417_10 Depth=1
	s_delay_alu instid0(SALU_CYCLE_1)
	s_or_b32 exec_lo, exec_lo, s39
.LBB417_102:                            ;   in Loop: Header=BB417_10 Depth=1
	s_delay_alu instid0(SALU_CYCLE_1) | instskip(NEXT) | instid1(VALU_DEP_1)
	s_or_b32 exec_lo, exec_lo, s3
	v_mul_f32_e32 v1, s6, v1
	s_delay_alu instid0(VALU_DEP_1) | instskip(NEXT) | instid1(VALU_DEP_1)
	v_and_b32_e32 v46, 0x7f800000, v1
	v_cmp_ne_u32_e64 s1, 0x7f800000, v46
                                        ; implicit-def: $vgpr46
	s_delay_alu instid0(VALU_DEP_1) | instskip(NEXT) | instid1(SALU_CYCLE_1)
	s_and_saveexec_b32 s3, s1
	s_xor_b32 s1, exec_lo, s3
; %bb.103:                              ;   in Loop: Header=BB417_10 Depth=1
	v_bfe_u32 v46, v1, 16, 1
	s_delay_alu instid0(VALU_DEP_1)
	v_add3_u32 v46, v1, v46, 0x7fff
                                        ; implicit-def: $vgpr1
; %bb.104:                              ;   in Loop: Header=BB417_10 Depth=1
	s_and_not1_saveexec_b32 s3, s1
; %bb.105:                              ;   in Loop: Header=BB417_10 Depth=1
	v_and_b32_e32 v46, 0xffff, v1
	v_or_b32_e32 v47, 0x10000, v1
	s_delay_alu instid0(VALU_DEP_2) | instskip(NEXT) | instid1(VALU_DEP_1)
	v_cmp_eq_u32_e64 s1, 0, v46
	v_cndmask_b32_e64 v46, v47, v1, s1
; %bb.106:                              ;   in Loop: Header=BB417_10 Depth=1
	s_or_b32 exec_lo, exec_lo, s3
	global_load_b32 v50, v[7:8], off offset:256
	v_mov_b32_e32 v1, 0
	s_mov_b32 s3, exec_lo
	s_waitcnt vmcnt(0)
	v_and_b32_e32 v47, 0xff, v50
	s_delay_alu instid0(VALU_DEP_1)
	v_cmpx_ne_u16_e32 0, v47
	s_cbranch_execz .LBB417_114
; %bb.107:                              ;   in Loop: Header=BB417_10 Depth=1
	v_bfrev_b32_e32 v1, 1
	s_mov_b32 s39, exec_lo
	v_cmpx_ne_u16_e32 0x80, v47
	s_cbranch_execz .LBB417_113
; %bb.108:                              ;   in Loop: Header=BB417_10 Depth=1
	v_and_b32_e32 v48, 0x7f, v50
	v_mov_b32_e32 v1, 0x7f800001
	s_mov_b32 s40, exec_lo
	s_delay_alu instid0(VALU_DEP_2)
	v_cmpx_ne_u32_e32 0x7f, v48
	s_cbranch_execz .LBB417_112
; %bb.109:                              ;   in Loop: Header=BB417_10 Depth=1
	v_and_b32_e32 v1, 7, v50
	v_lshrrev_b32_e32 v47, 3, v48
	s_mov_b32 s41, exec_lo
	v_cmpx_gt_u32_e32 8, v48
; %bb.110:                              ;   in Loop: Header=BB417_10 Depth=1
	s_delay_alu instid0(VALU_DEP_3) | instskip(NEXT) | instid1(VALU_DEP_1)
	v_clz_i32_u32_e32 v47, v1
	v_min_u32_e32 v47, 32, v47
	s_delay_alu instid0(VALU_DEP_1) | instskip(SKIP_1) | instid1(VALU_DEP_2)
	v_subrev_nc_u32_e32 v48, 28, v47
	v_sub_nc_u32_e32 v47, 29, v47
	v_lshlrev_b64 v[48:49], v48, v[1:2]
	s_delay_alu instid0(VALU_DEP_1)
	v_and_b32_e32 v1, 7, v48
; %bb.111:                              ;   in Loop: Header=BB417_10 Depth=1
	s_or_b32 exec_lo, exec_lo, s41
	v_lshlrev_b32_e32 v48, 24, v50
	s_delay_alu instid0(VALU_DEP_2) | instskip(SKIP_1) | instid1(VALU_DEP_3)
	v_lshlrev_b32_e32 v1, 20, v1
	v_lshl_add_u32 v47, v47, 23, 0x3c000000
	v_and_b32_e32 v48, 0x80000000, v48
	s_delay_alu instid0(VALU_DEP_1)
	v_or3_b32 v1, v1, v48, v47
.LBB417_112:                            ;   in Loop: Header=BB417_10 Depth=1
	s_or_b32 exec_lo, exec_lo, s40
.LBB417_113:                            ;   in Loop: Header=BB417_10 Depth=1
	s_delay_alu instid0(SALU_CYCLE_1)
	s_or_b32 exec_lo, exec_lo, s39
.LBB417_114:                            ;   in Loop: Header=BB417_10 Depth=1
	s_delay_alu instid0(SALU_CYCLE_1) | instskip(NEXT) | instid1(VALU_DEP_1)
	s_or_b32 exec_lo, exec_lo, s3
	v_mul_f32_e32 v1, s6, v1
	s_delay_alu instid0(VALU_DEP_1) | instskip(NEXT) | instid1(VALU_DEP_1)
	v_and_b32_e32 v47, 0x7f800000, v1
	v_cmp_ne_u32_e64 s1, 0x7f800000, v47
                                        ; implicit-def: $vgpr47
	s_delay_alu instid0(VALU_DEP_1) | instskip(NEXT) | instid1(SALU_CYCLE_1)
	s_and_saveexec_b32 s3, s1
	s_xor_b32 s1, exec_lo, s3
; %bb.115:                              ;   in Loop: Header=BB417_10 Depth=1
	v_bfe_u32 v47, v1, 16, 1
	s_delay_alu instid0(VALU_DEP_1)
	v_add3_u32 v47, v1, v47, 0x7fff
                                        ; implicit-def: $vgpr1
; %bb.116:                              ;   in Loop: Header=BB417_10 Depth=1
	s_and_not1_saveexec_b32 s3, s1
; %bb.117:                              ;   in Loop: Header=BB417_10 Depth=1
	v_and_b32_e32 v47, 0xffff, v1
	v_or_b32_e32 v48, 0x10000, v1
	s_delay_alu instid0(VALU_DEP_2) | instskip(NEXT) | instid1(VALU_DEP_1)
	v_cmp_eq_u32_e64 s1, 0, v47
	v_cndmask_b32_e64 v47, v48, v1, s1
; %bb.118:                              ;   in Loop: Header=BB417_10 Depth=1
	s_or_b32 exec_lo, exec_lo, s3
	v_lshrrev_b16 v48, 8, v50
	v_mov_b32_e32 v1, 0
	s_mov_b32 s3, exec_lo
	s_delay_alu instid0(VALU_DEP_2)
	v_cmpx_ne_u16_e32 0, v48
	s_cbranch_execz .LBB417_126
; %bb.119:                              ;   in Loop: Header=BB417_10 Depth=1
	v_bfrev_b32_e32 v1, 1
	s_mov_b32 s39, exec_lo
	v_cmpx_ne_u16_e32 0x80, v48
	s_cbranch_execz .LBB417_125
; %bb.120:                              ;   in Loop: Header=BB417_10 Depth=1
	v_and_b32_e32 v48, 0xffff, v48
	v_mov_b32_e32 v1, 0x7f800001
	s_mov_b32 s40, exec_lo
	s_delay_alu instid0(VALU_DEP_2) | instskip(NEXT) | instid1(VALU_DEP_1)
	v_and_b32_e32 v49, 0x7f, v48
	v_cmpx_ne_u32_e32 0x7f, v49
	s_cbranch_execz .LBB417_124
; %bb.121:                              ;   in Loop: Header=BB417_10 Depth=1
	v_and_b32_e32 v1, 7, v48
	v_lshrrev_b32_e32 v48, 3, v49
	s_mov_b32 s41, exec_lo
	v_cmpx_gt_u32_e32 8, v49
; %bb.122:                              ;   in Loop: Header=BB417_10 Depth=1
	s_delay_alu instid0(VALU_DEP_3) | instskip(NEXT) | instid1(VALU_DEP_1)
	v_clz_i32_u32_e32 v48, v1
	v_min_u32_e32 v48, 32, v48
	s_delay_alu instid0(VALU_DEP_1) | instskip(SKIP_1) | instid1(VALU_DEP_2)
	v_subrev_nc_u32_e32 v49, 28, v48
	v_sub_nc_u32_e32 v48, 29, v48
	v_lshlrev_b64 v[51:52], v49, v[1:2]
	s_delay_alu instid0(VALU_DEP_1)
	v_and_b32_e32 v1, 7, v51
; %bb.123:                              ;   in Loop: Header=BB417_10 Depth=1
	s_or_b32 exec_lo, exec_lo, s41
	v_lshlrev_b32_e32 v49, 16, v50
	s_delay_alu instid0(VALU_DEP_2) | instskip(SKIP_1) | instid1(VALU_DEP_3)
	v_lshlrev_b32_e32 v1, 20, v1
	v_lshl_add_u32 v48, v48, 23, 0x3c000000
	v_and_b32_e32 v49, 0x80000000, v49
	s_delay_alu instid0(VALU_DEP_1)
	v_or3_b32 v1, v1, v49, v48
.LBB417_124:                            ;   in Loop: Header=BB417_10 Depth=1
	s_or_b32 exec_lo, exec_lo, s40
.LBB417_125:                            ;   in Loop: Header=BB417_10 Depth=1
	s_delay_alu instid0(SALU_CYCLE_1)
	s_or_b32 exec_lo, exec_lo, s39
.LBB417_126:                            ;   in Loop: Header=BB417_10 Depth=1
	s_delay_alu instid0(SALU_CYCLE_1) | instskip(NEXT) | instid1(VALU_DEP_1)
	s_or_b32 exec_lo, exec_lo, s3
	v_mul_f32_e32 v1, s6, v1
	s_delay_alu instid0(VALU_DEP_1) | instskip(NEXT) | instid1(VALU_DEP_1)
	v_and_b32_e32 v48, 0x7f800000, v1
	v_cmp_ne_u32_e64 s1, 0x7f800000, v48
                                        ; implicit-def: $vgpr48
	s_delay_alu instid0(VALU_DEP_1) | instskip(NEXT) | instid1(SALU_CYCLE_1)
	s_and_saveexec_b32 s3, s1
	s_xor_b32 s1, exec_lo, s3
; %bb.127:                              ;   in Loop: Header=BB417_10 Depth=1
	v_bfe_u32 v48, v1, 16, 1
	s_delay_alu instid0(VALU_DEP_1)
	v_add3_u32 v48, v1, v48, 0x7fff
                                        ; implicit-def: $vgpr1
; %bb.128:                              ;   in Loop: Header=BB417_10 Depth=1
	s_and_not1_saveexec_b32 s3, s1
; %bb.129:                              ;   in Loop: Header=BB417_10 Depth=1
	v_and_b32_e32 v48, 0xffff, v1
	v_or_b32_e32 v49, 0x10000, v1
	s_delay_alu instid0(VALU_DEP_2) | instskip(NEXT) | instid1(VALU_DEP_1)
	v_cmp_eq_u32_e64 s1, 0, v48
	v_cndmask_b32_e64 v48, v49, v1, s1
; %bb.130:                              ;   in Loop: Header=BB417_10 Depth=1
	s_or_b32 exec_lo, exec_lo, s3
	v_lshrrev_b32_e32 v49, 16, v50
	v_mov_b32_e32 v1, 0
	s_mov_b32 s3, exec_lo
	s_delay_alu instid0(VALU_DEP_2) | instskip(NEXT) | instid1(VALU_DEP_1)
	v_and_b32_e32 v51, 0xff, v49
	v_cmpx_ne_u16_e32 0, v51
	s_cbranch_execz .LBB417_138
; %bb.131:                              ;   in Loop: Header=BB417_10 Depth=1
	v_bfrev_b32_e32 v1, 1
	s_mov_b32 s39, exec_lo
	v_cmpx_ne_u16_e32 0x80, v51
	s_cbranch_execz .LBB417_137
; %bb.132:                              ;   in Loop: Header=BB417_10 Depth=1
	v_bfe_u32 v52, v50, 16, 7
	v_mov_b32_e32 v1, 0x7f800001
	s_mov_b32 s40, exec_lo
	s_delay_alu instid0(VALU_DEP_2)
	v_cmpx_ne_u32_e32 0x7f, v52
	s_cbranch_execz .LBB417_136
; %bb.133:                              ;   in Loop: Header=BB417_10 Depth=1
	v_and_b32_e32 v1, 7, v49
	v_lshrrev_b32_e32 v51, 3, v52
	s_mov_b32 s41, exec_lo
	v_cmpx_gt_u32_e32 8, v52
; %bb.134:                              ;   in Loop: Header=BB417_10 Depth=1
	s_delay_alu instid0(VALU_DEP_3) | instskip(NEXT) | instid1(VALU_DEP_1)
	v_clz_i32_u32_e32 v51, v1
	v_min_u32_e32 v51, 32, v51
	s_delay_alu instid0(VALU_DEP_1) | instskip(SKIP_1) | instid1(VALU_DEP_2)
	v_subrev_nc_u32_e32 v52, 28, v51
	v_sub_nc_u32_e32 v51, 29, v51
	v_lshlrev_b64 v[52:53], v52, v[1:2]
	s_delay_alu instid0(VALU_DEP_1)
	v_and_b32_e32 v1, 7, v52
; %bb.135:                              ;   in Loop: Header=BB417_10 Depth=1
	s_or_b32 exec_lo, exec_lo, s41
	v_lshlrev_b32_e32 v49, 24, v49
	s_delay_alu instid0(VALU_DEP_2) | instskip(SKIP_1) | instid1(VALU_DEP_3)
	v_lshlrev_b32_e32 v1, 20, v1
	v_lshl_add_u32 v51, v51, 23, 0x3c000000
	v_and_b32_e32 v49, 0x80000000, v49
	s_delay_alu instid0(VALU_DEP_1)
	v_or3_b32 v1, v1, v49, v51
.LBB417_136:                            ;   in Loop: Header=BB417_10 Depth=1
	s_or_b32 exec_lo, exec_lo, s40
.LBB417_137:                            ;   in Loop: Header=BB417_10 Depth=1
	s_delay_alu instid0(SALU_CYCLE_1)
	s_or_b32 exec_lo, exec_lo, s39
.LBB417_138:                            ;   in Loop: Header=BB417_10 Depth=1
	s_delay_alu instid0(SALU_CYCLE_1) | instskip(NEXT) | instid1(VALU_DEP_1)
	s_or_b32 exec_lo, exec_lo, s3
	v_mul_f32_e32 v1, s6, v1
	s_delay_alu instid0(VALU_DEP_1) | instskip(NEXT) | instid1(VALU_DEP_1)
	v_and_b32_e32 v49, 0x7f800000, v1
	v_cmp_ne_u32_e64 s1, 0x7f800000, v49
                                        ; implicit-def: $vgpr49
	s_delay_alu instid0(VALU_DEP_1) | instskip(NEXT) | instid1(SALU_CYCLE_1)
	s_and_saveexec_b32 s3, s1
	s_xor_b32 s1, exec_lo, s3
; %bb.139:                              ;   in Loop: Header=BB417_10 Depth=1
	v_bfe_u32 v49, v1, 16, 1
	s_delay_alu instid0(VALU_DEP_1)
	v_add3_u32 v49, v1, v49, 0x7fff
                                        ; implicit-def: $vgpr1
; %bb.140:                              ;   in Loop: Header=BB417_10 Depth=1
	s_and_not1_saveexec_b32 s3, s1
; %bb.141:                              ;   in Loop: Header=BB417_10 Depth=1
	v_and_b32_e32 v49, 0xffff, v1
	v_or_b32_e32 v51, 0x10000, v1
	s_delay_alu instid0(VALU_DEP_2) | instskip(NEXT) | instid1(VALU_DEP_1)
	v_cmp_eq_u32_e64 s1, 0, v49
	v_cndmask_b32_e64 v49, v51, v1, s1
; %bb.142:                              ;   in Loop: Header=BB417_10 Depth=1
	s_or_b32 exec_lo, exec_lo, s3
	v_mov_b32_e32 v1, 0
	s_mov_b32 s3, exec_lo
	v_cmpx_lt_u32_e32 0xffffff, v50
	s_cbranch_execz .LBB417_150
; %bb.143:                              ;   in Loop: Header=BB417_10 Depth=1
	v_lshrrev_b32_e32 v51, 24, v50
	v_bfrev_b32_e32 v1, 1
	s_mov_b32 s39, exec_lo
	s_delay_alu instid0(VALU_DEP_2)
	v_cmpx_ne_u32_e32 0x80, v51
	s_cbranch_execz .LBB417_149
; %bb.144:                              ;   in Loop: Header=BB417_10 Depth=1
	v_bfe_u32 v52, v50, 24, 7
	v_mov_b32_e32 v1, 0x7f800001
	s_mov_b32 s40, exec_lo
	s_delay_alu instid0(VALU_DEP_2)
	v_cmpx_ne_u32_e32 0x7f, v52
	s_cbranch_execz .LBB417_148
; %bb.145:                              ;   in Loop: Header=BB417_10 Depth=1
	v_and_b32_e32 v1, 7, v51
	v_lshrrev_b32_e32 v50, 3, v52
	s_mov_b32 s41, exec_lo
	v_cmpx_gt_u32_e32 8, v52
; %bb.146:                              ;   in Loop: Header=BB417_10 Depth=1
	s_delay_alu instid0(VALU_DEP_3) | instskip(NEXT) | instid1(VALU_DEP_1)
	v_clz_i32_u32_e32 v50, v1
	v_min_u32_e32 v50, 32, v50
	s_delay_alu instid0(VALU_DEP_1) | instskip(SKIP_1) | instid1(VALU_DEP_2)
	v_subrev_nc_u32_e32 v52, 28, v50
	v_sub_nc_u32_e32 v50, 29, v50
	v_lshlrev_b64 v[52:53], v52, v[1:2]
	s_delay_alu instid0(VALU_DEP_1)
	v_and_b32_e32 v1, 7, v52
; %bb.147:                              ;   in Loop: Header=BB417_10 Depth=1
	s_or_b32 exec_lo, exec_lo, s41
	v_lshlrev_b32_e32 v51, 24, v51
	s_delay_alu instid0(VALU_DEP_2) | instskip(SKIP_1) | instid1(VALU_DEP_3)
	v_lshlrev_b32_e32 v1, 20, v1
	v_lshl_add_u32 v50, v50, 23, 0x3c000000
	v_and_b32_e32 v51, 0x80000000, v51
	s_delay_alu instid0(VALU_DEP_1)
	v_or3_b32 v1, v1, v51, v50
.LBB417_148:                            ;   in Loop: Header=BB417_10 Depth=1
	s_or_b32 exec_lo, exec_lo, s40
.LBB417_149:                            ;   in Loop: Header=BB417_10 Depth=1
	s_delay_alu instid0(SALU_CYCLE_1)
	s_or_b32 exec_lo, exec_lo, s39
.LBB417_150:                            ;   in Loop: Header=BB417_10 Depth=1
	s_delay_alu instid0(SALU_CYCLE_1) | instskip(NEXT) | instid1(VALU_DEP_1)
	s_or_b32 exec_lo, exec_lo, s3
	v_mul_f32_e32 v1, s6, v1
	s_delay_alu instid0(VALU_DEP_1) | instskip(NEXT) | instid1(VALU_DEP_1)
	v_and_b32_e32 v50, 0x7f800000, v1
	v_cmp_ne_u32_e64 s1, 0x7f800000, v50
                                        ; implicit-def: $vgpr50
	s_delay_alu instid0(VALU_DEP_1) | instskip(NEXT) | instid1(SALU_CYCLE_1)
	s_and_saveexec_b32 s3, s1
	s_xor_b32 s1, exec_lo, s3
; %bb.151:                              ;   in Loop: Header=BB417_10 Depth=1
	v_bfe_u32 v50, v1, 16, 1
	s_delay_alu instid0(VALU_DEP_1)
	v_add3_u32 v50, v1, v50, 0x7fff
                                        ; implicit-def: $vgpr1
; %bb.152:                              ;   in Loop: Header=BB417_10 Depth=1
	s_and_not1_saveexec_b32 s3, s1
; %bb.153:                              ;   in Loop: Header=BB417_10 Depth=1
	v_and_b32_e32 v50, 0xffff, v1
	v_or_b32_e32 v51, 0x10000, v1
	s_delay_alu instid0(VALU_DEP_2) | instskip(NEXT) | instid1(VALU_DEP_1)
	v_cmp_eq_u32_e64 s1, 0, v50
	v_cndmask_b32_e64 v50, v51, v1, s1
; %bb.154:                              ;   in Loop: Header=BB417_10 Depth=1
	s_or_b32 exec_lo, exec_lo, s3
	global_load_b32 v8, v[7:8], off offset:264
	v_mov_b32_e32 v1, 0
	s_mov_b32 s3, exec_lo
	s_waitcnt vmcnt(0)
	v_and_b32_e32 v7, 0xff, v8
	s_delay_alu instid0(VALU_DEP_1)
	v_cmpx_ne_u16_e32 0, v7
	s_cbranch_execz .LBB417_162
; %bb.155:                              ;   in Loop: Header=BB417_10 Depth=1
	v_bfrev_b32_e32 v1, 1
	s_mov_b32 s39, exec_lo
	v_cmpx_ne_u16_e32 0x80, v7
	s_cbranch_execz .LBB417_161
; %bb.156:                              ;   in Loop: Header=BB417_10 Depth=1
	v_and_b32_e32 v51, 0x7f, v8
	v_mov_b32_e32 v1, 0x7f800001
	s_mov_b32 s40, exec_lo
	s_delay_alu instid0(VALU_DEP_2)
	v_cmpx_ne_u32_e32 0x7f, v51
	s_cbranch_execz .LBB417_160
; %bb.157:                              ;   in Loop: Header=BB417_10 Depth=1
	v_and_b32_e32 v1, 7, v8
	v_lshrrev_b32_e32 v7, 3, v51
	s_mov_b32 s41, exec_lo
	v_cmpx_gt_u32_e32 8, v51
; %bb.158:                              ;   in Loop: Header=BB417_10 Depth=1
	s_delay_alu instid0(VALU_DEP_3) | instskip(NEXT) | instid1(VALU_DEP_1)
	v_clz_i32_u32_e32 v7, v1
	v_min_u32_e32 v7, 32, v7
	s_delay_alu instid0(VALU_DEP_1) | instskip(SKIP_1) | instid1(VALU_DEP_2)
	v_subrev_nc_u32_e32 v51, 28, v7
	v_sub_nc_u32_e32 v7, 29, v7
	v_lshlrev_b64 v[51:52], v51, v[1:2]
	s_delay_alu instid0(VALU_DEP_1)
	v_and_b32_e32 v1, 7, v51
; %bb.159:                              ;   in Loop: Header=BB417_10 Depth=1
	s_or_b32 exec_lo, exec_lo, s41
	v_lshlrev_b32_e32 v51, 24, v8
	s_delay_alu instid0(VALU_DEP_2) | instskip(SKIP_1) | instid1(VALU_DEP_3)
	v_lshlrev_b32_e32 v1, 20, v1
	v_lshl_add_u32 v7, v7, 23, 0x3c000000
	v_and_b32_e32 v51, 0x80000000, v51
	s_delay_alu instid0(VALU_DEP_1)
	v_or3_b32 v1, v1, v51, v7
.LBB417_160:                            ;   in Loop: Header=BB417_10 Depth=1
	s_or_b32 exec_lo, exec_lo, s40
.LBB417_161:                            ;   in Loop: Header=BB417_10 Depth=1
	s_delay_alu instid0(SALU_CYCLE_1)
	s_or_b32 exec_lo, exec_lo, s39
.LBB417_162:                            ;   in Loop: Header=BB417_10 Depth=1
	s_delay_alu instid0(SALU_CYCLE_1) | instskip(NEXT) | instid1(VALU_DEP_1)
	s_or_b32 exec_lo, exec_lo, s3
	v_mul_f32_e32 v1, s6, v1
	s_delay_alu instid0(VALU_DEP_1) | instskip(NEXT) | instid1(VALU_DEP_1)
	v_and_b32_e32 v7, 0x7f800000, v1
	v_cmp_ne_u32_e64 s1, 0x7f800000, v7
                                        ; implicit-def: $vgpr7
	s_delay_alu instid0(VALU_DEP_1) | instskip(NEXT) | instid1(SALU_CYCLE_1)
	s_and_saveexec_b32 s3, s1
	s_xor_b32 s1, exec_lo, s3
; %bb.163:                              ;   in Loop: Header=BB417_10 Depth=1
	v_bfe_u32 v7, v1, 16, 1
	s_delay_alu instid0(VALU_DEP_1)
	v_add3_u32 v7, v1, v7, 0x7fff
                                        ; implicit-def: $vgpr1
; %bb.164:                              ;   in Loop: Header=BB417_10 Depth=1
	s_and_not1_saveexec_b32 s3, s1
; %bb.165:                              ;   in Loop: Header=BB417_10 Depth=1
	v_and_b32_e32 v7, 0xffff, v1
	v_or_b32_e32 v51, 0x10000, v1
	s_delay_alu instid0(VALU_DEP_2) | instskip(NEXT) | instid1(VALU_DEP_1)
	v_cmp_eq_u32_e64 s1, 0, v7
	v_cndmask_b32_e64 v7, v51, v1, s1
; %bb.166:                              ;   in Loop: Header=BB417_10 Depth=1
	s_or_b32 exec_lo, exec_lo, s3
	v_lshrrev_b16 v51, 8, v8
	v_mov_b32_e32 v1, 0
	s_mov_b32 s3, exec_lo
	s_delay_alu instid0(VALU_DEP_2)
	v_cmpx_ne_u16_e32 0, v51
	s_cbranch_execz .LBB417_174
; %bb.167:                              ;   in Loop: Header=BB417_10 Depth=1
	v_bfrev_b32_e32 v1, 1
	s_mov_b32 s39, exec_lo
	v_cmpx_ne_u16_e32 0x80, v51
	s_cbranch_execz .LBB417_173
; %bb.168:                              ;   in Loop: Header=BB417_10 Depth=1
	v_and_b32_e32 v51, 0xffff, v51
	v_mov_b32_e32 v1, 0x7f800001
	s_mov_b32 s40, exec_lo
	s_delay_alu instid0(VALU_DEP_2) | instskip(NEXT) | instid1(VALU_DEP_1)
	v_and_b32_e32 v52, 0x7f, v51
	v_cmpx_ne_u32_e32 0x7f, v52
	s_cbranch_execz .LBB417_172
; %bb.169:                              ;   in Loop: Header=BB417_10 Depth=1
	v_and_b32_e32 v1, 7, v51
	v_lshrrev_b32_e32 v51, 3, v52
	s_mov_b32 s41, exec_lo
	v_cmpx_gt_u32_e32 8, v52
; %bb.170:                              ;   in Loop: Header=BB417_10 Depth=1
	s_delay_alu instid0(VALU_DEP_3) | instskip(NEXT) | instid1(VALU_DEP_1)
	v_clz_i32_u32_e32 v51, v1
	v_min_u32_e32 v51, 32, v51
	s_delay_alu instid0(VALU_DEP_1) | instskip(SKIP_1) | instid1(VALU_DEP_2)
	v_subrev_nc_u32_e32 v52, 28, v51
	v_sub_nc_u32_e32 v51, 29, v51
	v_lshlrev_b64 v[52:53], v52, v[1:2]
	s_delay_alu instid0(VALU_DEP_1)
	v_and_b32_e32 v1, 7, v52
; %bb.171:                              ;   in Loop: Header=BB417_10 Depth=1
	s_or_b32 exec_lo, exec_lo, s41
	v_lshlrev_b32_e32 v52, 16, v8
	s_delay_alu instid0(VALU_DEP_2) | instskip(SKIP_1) | instid1(VALU_DEP_3)
	v_lshlrev_b32_e32 v1, 20, v1
	v_lshl_add_u32 v51, v51, 23, 0x3c000000
	v_and_b32_e32 v52, 0x80000000, v52
	s_delay_alu instid0(VALU_DEP_1)
	v_or3_b32 v1, v1, v52, v51
.LBB417_172:                            ;   in Loop: Header=BB417_10 Depth=1
	s_or_b32 exec_lo, exec_lo, s40
.LBB417_173:                            ;   in Loop: Header=BB417_10 Depth=1
	s_delay_alu instid0(SALU_CYCLE_1)
	s_or_b32 exec_lo, exec_lo, s39
.LBB417_174:                            ;   in Loop: Header=BB417_10 Depth=1
	s_delay_alu instid0(SALU_CYCLE_1) | instskip(NEXT) | instid1(VALU_DEP_1)
	s_or_b32 exec_lo, exec_lo, s3
	v_mul_f32_e32 v1, s6, v1
	s_delay_alu instid0(VALU_DEP_1) | instskip(NEXT) | instid1(VALU_DEP_1)
	v_and_b32_e32 v51, 0x7f800000, v1
	v_cmp_ne_u32_e64 s1, 0x7f800000, v51
                                        ; implicit-def: $vgpr51
	s_delay_alu instid0(VALU_DEP_1) | instskip(NEXT) | instid1(SALU_CYCLE_1)
	s_and_saveexec_b32 s3, s1
	s_xor_b32 s1, exec_lo, s3
; %bb.175:                              ;   in Loop: Header=BB417_10 Depth=1
	v_bfe_u32 v51, v1, 16, 1
	s_delay_alu instid0(VALU_DEP_1)
	v_add3_u32 v51, v1, v51, 0x7fff
                                        ; implicit-def: $vgpr1
; %bb.176:                              ;   in Loop: Header=BB417_10 Depth=1
	s_and_not1_saveexec_b32 s3, s1
; %bb.177:                              ;   in Loop: Header=BB417_10 Depth=1
	v_and_b32_e32 v51, 0xffff, v1
	v_or_b32_e32 v52, 0x10000, v1
	s_delay_alu instid0(VALU_DEP_2) | instskip(NEXT) | instid1(VALU_DEP_1)
	v_cmp_eq_u32_e64 s1, 0, v51
	v_cndmask_b32_e64 v51, v52, v1, s1
; %bb.178:                              ;   in Loop: Header=BB417_10 Depth=1
	s_or_b32 exec_lo, exec_lo, s3
	v_lshrrev_b32_e32 v52, 16, v8
	v_mov_b32_e32 v1, 0
	s_mov_b32 s3, exec_lo
	s_delay_alu instid0(VALU_DEP_2) | instskip(NEXT) | instid1(VALU_DEP_1)
	v_and_b32_e32 v53, 0xff, v52
	v_cmpx_ne_u16_e32 0, v53
	s_cbranch_execz .LBB417_186
; %bb.179:                              ;   in Loop: Header=BB417_10 Depth=1
	v_bfrev_b32_e32 v1, 1
	s_mov_b32 s39, exec_lo
	v_cmpx_ne_u16_e32 0x80, v53
	s_cbranch_execz .LBB417_185
; %bb.180:                              ;   in Loop: Header=BB417_10 Depth=1
	v_bfe_u32 v54, v8, 16, 7
	v_mov_b32_e32 v1, 0x7f800001
	s_mov_b32 s40, exec_lo
	s_delay_alu instid0(VALU_DEP_2)
	v_cmpx_ne_u32_e32 0x7f, v54
	s_cbranch_execz .LBB417_184
; %bb.181:                              ;   in Loop: Header=BB417_10 Depth=1
	v_and_b32_e32 v1, 7, v52
	v_lshrrev_b32_e32 v53, 3, v54
	s_mov_b32 s41, exec_lo
	v_cmpx_gt_u32_e32 8, v54
; %bb.182:                              ;   in Loop: Header=BB417_10 Depth=1
	s_delay_alu instid0(VALU_DEP_3) | instskip(NEXT) | instid1(VALU_DEP_1)
	v_clz_i32_u32_e32 v53, v1
	v_min_u32_e32 v53, 32, v53
	s_delay_alu instid0(VALU_DEP_1) | instskip(SKIP_1) | instid1(VALU_DEP_2)
	v_subrev_nc_u32_e32 v54, 28, v53
	v_sub_nc_u32_e32 v53, 29, v53
	v_lshlrev_b64 v[54:55], v54, v[1:2]
	s_delay_alu instid0(VALU_DEP_1)
	v_and_b32_e32 v1, 7, v54
; %bb.183:                              ;   in Loop: Header=BB417_10 Depth=1
	s_or_b32 exec_lo, exec_lo, s41
	v_lshlrev_b32_e32 v52, 24, v52
	s_delay_alu instid0(VALU_DEP_2) | instskip(SKIP_1) | instid1(VALU_DEP_3)
	v_lshlrev_b32_e32 v1, 20, v1
	v_lshl_add_u32 v53, v53, 23, 0x3c000000
	v_and_b32_e32 v52, 0x80000000, v52
	s_delay_alu instid0(VALU_DEP_1)
	v_or3_b32 v1, v1, v52, v53
.LBB417_184:                            ;   in Loop: Header=BB417_10 Depth=1
	s_or_b32 exec_lo, exec_lo, s40
.LBB417_185:                            ;   in Loop: Header=BB417_10 Depth=1
	s_delay_alu instid0(SALU_CYCLE_1)
	s_or_b32 exec_lo, exec_lo, s39
.LBB417_186:                            ;   in Loop: Header=BB417_10 Depth=1
	s_delay_alu instid0(SALU_CYCLE_1) | instskip(NEXT) | instid1(VALU_DEP_1)
	s_or_b32 exec_lo, exec_lo, s3
	v_mul_f32_e32 v1, s6, v1
	s_delay_alu instid0(VALU_DEP_1) | instskip(NEXT) | instid1(VALU_DEP_1)
	v_and_b32_e32 v52, 0x7f800000, v1
	v_cmp_ne_u32_e64 s1, 0x7f800000, v52
                                        ; implicit-def: $vgpr52
	s_delay_alu instid0(VALU_DEP_1) | instskip(NEXT) | instid1(SALU_CYCLE_1)
	s_and_saveexec_b32 s3, s1
	s_xor_b32 s1, exec_lo, s3
; %bb.187:                              ;   in Loop: Header=BB417_10 Depth=1
	v_bfe_u32 v52, v1, 16, 1
	s_delay_alu instid0(VALU_DEP_1)
	v_add3_u32 v52, v1, v52, 0x7fff
                                        ; implicit-def: $vgpr1
; %bb.188:                              ;   in Loop: Header=BB417_10 Depth=1
	s_and_not1_saveexec_b32 s3, s1
; %bb.189:                              ;   in Loop: Header=BB417_10 Depth=1
	v_and_b32_e32 v52, 0xffff, v1
	v_or_b32_e32 v53, 0x10000, v1
	s_delay_alu instid0(VALU_DEP_2) | instskip(NEXT) | instid1(VALU_DEP_1)
	v_cmp_eq_u32_e64 s1, 0, v52
	v_cndmask_b32_e64 v52, v53, v1, s1
; %bb.190:                              ;   in Loop: Header=BB417_10 Depth=1
	s_or_b32 exec_lo, exec_lo, s3
	v_mov_b32_e32 v1, 0
	s_mov_b32 s3, exec_lo
	v_cmpx_lt_u32_e32 0xffffff, v8
	s_cbranch_execz .LBB417_198
; %bb.191:                              ;   in Loop: Header=BB417_10 Depth=1
	v_lshrrev_b32_e32 v53, 24, v8
	v_bfrev_b32_e32 v1, 1
	s_mov_b32 s39, exec_lo
	s_delay_alu instid0(VALU_DEP_2)
	v_cmpx_ne_u32_e32 0x80, v53
	s_cbranch_execz .LBB417_197
; %bb.192:                              ;   in Loop: Header=BB417_10 Depth=1
	v_bfe_u32 v54, v8, 24, 7
	v_mov_b32_e32 v1, 0x7f800001
	s_mov_b32 s40, exec_lo
	s_delay_alu instid0(VALU_DEP_2)
	v_cmpx_ne_u32_e32 0x7f, v54
	s_cbranch_execz .LBB417_196
; %bb.193:                              ;   in Loop: Header=BB417_10 Depth=1
	v_and_b32_e32 v1, 7, v53
	v_lshrrev_b32_e32 v8, 3, v54
	s_mov_b32 s41, exec_lo
	v_cmpx_gt_u32_e32 8, v54
; %bb.194:                              ;   in Loop: Header=BB417_10 Depth=1
	s_delay_alu instid0(VALU_DEP_3) | instskip(NEXT) | instid1(VALU_DEP_1)
	v_clz_i32_u32_e32 v8, v1
	v_min_u32_e32 v8, 32, v8
	s_delay_alu instid0(VALU_DEP_1) | instskip(SKIP_1) | instid1(VALU_DEP_2)
	v_subrev_nc_u32_e32 v54, 28, v8
	v_sub_nc_u32_e32 v8, 29, v8
	v_lshlrev_b64 v[54:55], v54, v[1:2]
	s_delay_alu instid0(VALU_DEP_1)
	v_and_b32_e32 v1, 7, v54
; %bb.195:                              ;   in Loop: Header=BB417_10 Depth=1
	s_or_b32 exec_lo, exec_lo, s41
	v_lshlrev_b32_e32 v53, 24, v53
	s_delay_alu instid0(VALU_DEP_2) | instskip(SKIP_1) | instid1(VALU_DEP_3)
	v_lshlrev_b32_e32 v1, 20, v1
	v_lshl_add_u32 v8, v8, 23, 0x3c000000
	v_and_b32_e32 v53, 0x80000000, v53
	s_delay_alu instid0(VALU_DEP_1)
	v_or3_b32 v1, v1, v53, v8
.LBB417_196:                            ;   in Loop: Header=BB417_10 Depth=1
	s_or_b32 exec_lo, exec_lo, s40
.LBB417_197:                            ;   in Loop: Header=BB417_10 Depth=1
	s_delay_alu instid0(SALU_CYCLE_1)
	s_or_b32 exec_lo, exec_lo, s39
.LBB417_198:                            ;   in Loop: Header=BB417_10 Depth=1
	s_delay_alu instid0(SALU_CYCLE_1) | instskip(NEXT) | instid1(VALU_DEP_1)
	s_or_b32 exec_lo, exec_lo, s3
	v_mul_f32_e32 v8, s6, v1
	s_delay_alu instid0(VALU_DEP_1) | instskip(NEXT) | instid1(VALU_DEP_1)
	v_and_b32_e32 v1, 0x7f800000, v8
	v_cmp_ne_u32_e64 s1, 0x7f800000, v1
                                        ; implicit-def: $vgpr1
	s_delay_alu instid0(VALU_DEP_1) | instskip(NEXT) | instid1(SALU_CYCLE_1)
	s_and_saveexec_b32 s3, s1
	s_xor_b32 s1, exec_lo, s3
; %bb.199:                              ;   in Loop: Header=BB417_10 Depth=1
	v_bfe_u32 v1, v8, 16, 1
	s_delay_alu instid0(VALU_DEP_1)
	v_add3_u32 v1, v8, v1, 0x7fff
                                        ; implicit-def: $vgpr8
; %bb.200:                              ;   in Loop: Header=BB417_10 Depth=1
	s_and_not1_saveexec_b32 s3, s1
; %bb.201:                              ;   in Loop: Header=BB417_10 Depth=1
	v_and_b32_e32 v1, 0xffff, v8
	v_or_b32_e32 v53, 0x10000, v8
	s_delay_alu instid0(VALU_DEP_2) | instskip(NEXT) | instid1(VALU_DEP_1)
	v_cmp_eq_u32_e64 s1, 0, v1
	v_cndmask_b32_e64 v1, v53, v8, s1
; %bb.202:                              ;   in Loop: Header=BB417_10 Depth=1
	s_or_b32 exec_lo, exec_lo, s3
	v_and_b32_e32 v45, 0xffff0000, v45
	v_and_b32_e32 v8, 0xffff0000, v51
	;; [unrolled: 1-line block ×4, first 2 shown]
	s_delay_alu instid0(VALU_DEP_4) | instskip(SKIP_1) | instid1(VALU_DEP_2)
	v_dual_mul_f32 v45, v24, v45 :: v_dual_and_b32 v44, 0xffff0000, v44
	v_and_b32_e32 v39, 0xffff0000, v39
	v_fmac_f32_e32 v45, v20, v41
	s_delay_alu instid0(VALU_DEP_3)
	v_dual_mul_f32 v44, v23, v44 :: v_dual_and_b32 v7, 0xffff0000, v7
	v_and_b32_e32 v46, 0xffff0000, v46
	v_and_b32_e32 v47, 0xffff0000, v47
	;; [unrolled: 1-line block ×5, first 2 shown]
	s_delay_alu instid0(VALU_DEP_3) | instskip(NEXT) | instid1(VALU_DEP_3)
	v_dual_fmac_f32 v44, v19, v40 :: v_dual_and_b32 v43, 0xffff0000, v43
	v_dual_fmac_f32 v45, v28, v49 :: v_dual_and_b32 v50, 0xffff0000, v50
	s_delay_alu instid0(VALU_DEP_2) | instskip(NEXT) | instid1(VALU_DEP_2)
	v_dual_mul_f32 v40, v25, v46 :: v_dual_mul_f32 v43, v22, v43
	v_dual_fmac_f32 v45, v33, v41 :: v_dual_and_b32 v48, 0xffff0000, v48
	s_delay_alu instid0(VALU_DEP_2) | instskip(NEXT) | instid1(VALU_DEP_2)
	v_fmac_f32_e32 v43, v15, v39
	v_dual_fmac_f32 v44, v27, v48 :: v_dual_and_b32 v39, 0xffff0000, v42
	s_delay_alu instid0(VALU_DEP_2) | instskip(NEXT) | instid1(VALU_DEP_2)
	v_fmac_f32_e32 v43, v26, v47
	v_fmac_f32_e32 v40, v21, v39
	s_delay_alu instid0(VALU_DEP_2) | instskip(NEXT) | instid1(VALU_DEP_1)
	v_dual_fmac_f32 v44, v32, v8 :: v_dual_fmac_f32 v43, v30, v7
	v_dual_fmac_f32 v40, v29, v50 :: v_dual_add_f32 v7, v43, v44
	s_delay_alu instid0(VALU_DEP_1) | instskip(NEXT) | instid1(VALU_DEP_2)
	v_fmac_f32_e32 v40, v34, v1
	v_add_f32_e32 v1, v7, v45
	s_delay_alu instid0(VALU_DEP_1)
	v_add_f32_e32 v1, v1, v40
	ds_bpermute_b32 v7, v35, v1
	s_and_saveexec_b32 s3, vcc_lo
	s_cbranch_execz .LBB417_9
; %bb.203:                              ;   in Loop: Header=BB417_10 Depth=1
	s_waitcnt lgkmcnt(0)
	v_dual_add_f32 v1, v1, v7 :: v_dual_add_nc_u32 v8, s8, v36
	v_cmp_gt_i32_e64 s1, s33, v36
	s_delay_alu instid0(VALU_DEP_2) | instskip(NEXT) | instid1(VALU_DEP_1)
	v_cvt_f32_i32_e32 v8, v8
	v_mul_f32_e32 v8, s23, v8
	s_delay_alu instid0(VALU_DEP_1) | instskip(NEXT) | instid1(VALU_DEP_1)
	v_cndmask_b32_e64 v7, 0, v8, s0
	v_dual_max_f32 v8, v31, v31 :: v_dual_fmac_f32 v7, s35, v1
	s_delay_alu instid0(VALU_DEP_1) | instskip(SKIP_1) | instid1(VALU_DEP_2)
	v_max_f32_e32 v1, v8, v7
	v_cndmask_b32_e64 v7, 0, v7, s1
	v_cndmask_b32_e64 v31, v31, v1, s1
	ds_store_b32 v37, v7
	s_branch .LBB417_9
.LBB417_204:
	s_or_b32 exec_lo, exec_lo, s9
.LBB417_205:
	s_delay_alu instid0(SALU_CYCLE_1)
	s_or_b32 exec_lo, exec_lo, s37
	v_xor_b32_e32 v1, 16, v12
	v_xor_b32_e32 v2, 8, v12
	v_and_b32_e32 v19, 31, v0
	s_waitcnt lgkmcnt(0)
	v_lshlrev_b32_e32 v7, 2, v18
	v_cmp_lt_i32_e32 vcc_lo, v1, v13
	v_cndmask_b32_e32 v1, v12, v1, vcc_lo
	v_cmp_lt_i32_e32 vcc_lo, v2, v13
	v_dual_max_f32 v5, v31, v31 :: v_dual_cndmask_b32 v2, v12, v2
	s_delay_alu instid0(VALU_DEP_1) | instskip(NEXT) | instid1(VALU_DEP_4)
	v_lshlrev_b32_e32 v4, 2, v2
	v_lshlrev_b32_e32 v3, 2, v1
	ds_bpermute_b32 v1, v3, v31
	s_waitcnt lgkmcnt(0)
	v_max_f32_e32 v1, v1, v1
	s_delay_alu instid0(VALU_DEP_1)
	v_max_f32_e32 v1, v5, v1
	v_xor_b32_e32 v5, 4, v12
	ds_bpermute_b32 v2, v4, v1
	v_cmp_lt_i32_e32 vcc_lo, v5, v13
	s_waitcnt lgkmcnt(0)
	v_dual_cndmask_b32 v5, v12, v5 :: v_dual_max_f32 v2, v2, v2
	s_delay_alu instid0(VALU_DEP_1) | instskip(SKIP_1) | instid1(VALU_DEP_3)
	v_lshlrev_b32_e32 v6, 2, v5
	v_xor_b32_e32 v5, 2, v12
	v_max_f32_e32 v1, v1, v2
	s_delay_alu instid0(VALU_DEP_2)
	v_cmp_lt_i32_e32 vcc_lo, v5, v13
	ds_bpermute_b32 v2, v6, v1
	v_cndmask_b32_e32 v5, v12, v5, vcc_lo
	v_cmp_eq_u32_e32 vcc_lo, 0, v19
	s_waitcnt lgkmcnt(0)
	v_max_f32_e32 v2, v2, v2
	s_delay_alu instid0(VALU_DEP_1)
	v_dual_max_f32 v1, v1, v2 :: v_dual_lshlrev_b32 v2, 2, v5
	ds_bpermute_b32 v5, v2, v1
	s_and_saveexec_b32 s0, vcc_lo
	s_cbranch_execz .LBB417_207
; %bb.206:
	s_waitcnt lgkmcnt(0)
	v_max_f32_e32 v5, v5, v5
	v_max_f32_e32 v1, v1, v1
	s_delay_alu instid0(VALU_DEP_1)
	v_max_f32_e32 v1, v1, v5
	ds_store_b32 v7, v1 offset:64
.LBB417_207:
	s_or_b32 exec_lo, exec_lo, s0
	v_cmp_gt_u32_e64 s0, 4, v19
	v_dual_mov_b32 v1, 0xff7fffff :: v_dual_lshlrev_b32 v8, 2, v19
	s_waitcnt lgkmcnt(0)
	s_barrier
	buffer_gl0_inv
	s_and_saveexec_b32 s1, s0
	s_cbranch_execz .LBB417_209
; %bb.208:
	ds_load_b32 v1, v8 offset:64
.LBB417_209:
	s_or_b32 exec_lo, exec_lo, s1
	s_waitcnt lgkmcnt(0)
	ds_bpermute_b32 v5, v2, v1
	v_xor_b32_e32 v14, 1, v12
	v_max_f32_e32 v1, v1, v1
	s_delay_alu instid0(VALU_DEP_2) | instskip(NEXT) | instid1(VALU_DEP_1)
	v_cmp_lt_i32_e64 s1, v14, v13
	v_cndmask_b32_e64 v13, v12, v14, s1
	v_lshlrev_b32_e32 v12, 2, v12
	s_sub_i32 s1, s13, s4
	s_delay_alu instid0(SALU_CYCLE_1) | instskip(NEXT) | instid1(VALU_DEP_2)
	s_lshl_b32 s1, s1, 4
	v_dual_mov_b32 v13, 0 :: v_dual_lshlrev_b32 v20, 2, v13
	s_add_i32 s1, s1, s36
	s_waitcnt lgkmcnt(0)
	v_dual_max_f32 v5, v5, v5 :: v_dual_and_b32 v12, 0xffffff80, v12
	s_min_i32 s1, s1, s33
	s_delay_alu instid0(SALU_CYCLE_1) | instskip(NEXT) | instid1(SALU_CYCLE_1)
	s_sub_i32 s6, s1, s36
	v_cmp_gt_i32_e64 s1, s6, v0
	s_delay_alu instid0(VALU_DEP_2) | instskip(SKIP_3) | instid1(VALU_DEP_1)
	v_max_f32_e32 v1, v1, v5
	ds_bpermute_b32 v5, v20, v1
	s_waitcnt lgkmcnt(0)
	v_max_f32_e32 v5, v5, v5
	v_max_f32_e32 v1, v1, v5
	v_lshl_add_u32 v5, v0, 2, 0x60
	ds_bpermute_b32 v1, v12, v1
	s_and_saveexec_b32 s8, s1
	s_cbranch_execz .LBB417_213
; %bb.210:
	v_lshl_add_u32 v14, v0, 2, 0x60
	v_mov_b32_e32 v13, 0
	v_mov_b32_e32 v15, v0
	s_mov_b32 s9, 0
	.p2align	6
.LBB417_211:                            ; =>This Inner Loop Header: Depth=1
	ds_load_b32 v21, v14
	v_add_nc_u32_e32 v15, 0x80, v15
	s_delay_alu instid0(VALU_DEP_1) | instskip(NEXT) | instid1(VALU_DEP_1)
	v_cmp_le_i32_e64 s3, s6, v15
	s_or_b32 s9, s3, s9
	s_waitcnt lgkmcnt(0)
	v_sub_f32_e32 v21, v21, v1
	s_delay_alu instid0(VALU_DEP_1) | instskip(NEXT) | instid1(VALU_DEP_1)
	v_mul_f32_e32 v21, 0x3fb8aa3b, v21
	v_exp_f32_e32 v21, v21
	ds_store_b32 v14, v21
	v_dual_add_f32 v13, v13, v21 :: v_dual_add_nc_u32 v14, 0x200, v14
	s_and_not1_b32 exec_lo, exec_lo, s9
	s_cbranch_execnz .LBB417_211
; %bb.212:
	s_or_b32 exec_lo, exec_lo, s9
.LBB417_213:
	s_delay_alu instid0(SALU_CYCLE_1)
	s_or_b32 exec_lo, exec_lo, s8
	ds_bpermute_b32 v3, v3, v13
	s_waitcnt lgkmcnt(0)
	v_add_f32_e32 v3, v13, v3
	ds_bpermute_b32 v4, v4, v3
	s_waitcnt lgkmcnt(0)
	v_add_f32_e32 v3, v3, v4
	;; [unrolled: 3-line block ×5, first 2 shown]
	s_and_saveexec_b32 s3, vcc_lo
	s_cbranch_execz .LBB417_215
; %bb.214:
	ds_store_b32 v7, v3 offset:80
.LBB417_215:
	s_or_b32 exec_lo, exec_lo, s3
	s_waitcnt lgkmcnt(0)
	s_barrier
	buffer_gl0_inv
	s_and_saveexec_b32 s3, s0
	s_cbranch_execz .LBB417_217
; %bb.216:
	ds_load_b32 v3, v8 offset:80
.LBB417_217:
	s_or_b32 exec_lo, exec_lo, s3
	s_waitcnt lgkmcnt(0)
	ds_bpermute_b32 v2, v2, v3
	s_waitcnt lgkmcnt(0)
	v_add_f32_e32 v2, v3, v2
	ds_bpermute_b32 v3, v20, v2
	s_waitcnt lgkmcnt(0)
	v_add_f32_e32 v2, v2, v3
	ds_bpermute_b32 v2, v12, v2
	s_and_saveexec_b32 s0, s1
	s_cbranch_execz .LBB417_220
; %bb.218:
	s_waitcnt lgkmcnt(0)
	v_add_f32_e32 v3, 0x358637bd, v2
	s_mov_b32 s1, 0
	s_delay_alu instid0(VALU_DEP_1) | instskip(SKIP_1) | instid1(VALU_DEP_2)
	v_div_scale_f32 v4, null, v3, v3, 1.0
	v_div_scale_f32 v8, vcc_lo, 1.0, v3, 1.0
	v_rcp_f32_e32 v6, v4
	s_waitcnt_depctr 0xfff
	v_fma_f32 v7, -v4, v6, 1.0
	s_delay_alu instid0(VALU_DEP_1) | instskip(NEXT) | instid1(VALU_DEP_1)
	v_fmac_f32_e32 v6, v7, v6
	v_mul_f32_e32 v7, v8, v6
	s_delay_alu instid0(VALU_DEP_1) | instskip(NEXT) | instid1(VALU_DEP_1)
	v_fma_f32 v12, -v4, v7, v8
	v_fmac_f32_e32 v7, v12, v6
	s_delay_alu instid0(VALU_DEP_1) | instskip(NEXT) | instid1(VALU_DEP_1)
	v_fma_f32 v4, -v4, v7, v8
	v_div_fmas_f32 v4, v4, v6, v7
	s_delay_alu instid0(VALU_DEP_1)
	v_div_fixup_f32 v3, v4, v3, 1.0
	v_mov_b32_e32 v4, v0
.LBB417_219:                            ; =>This Inner Loop Header: Depth=1
	ds_load_b32 v6, v5
	v_add_nc_u32_e32 v4, 0x80, v4
	s_delay_alu instid0(VALU_DEP_1)
	v_cmp_le_i32_e32 vcc_lo, s6, v4
	s_or_b32 s1, vcc_lo, s1
	s_waitcnt lgkmcnt(0)
	v_mul_f32_e32 v6, v3, v6
	ds_store_b32 v5, v6
	v_add_nc_u32_e32 v5, 0x200, v5
	s_and_not1_b32 exec_lo, exec_lo, s1
	s_cbranch_execnz .LBB417_219
.LBB417_220:
	s_or_b32 exec_lo, exec_lo, s0
	s_delay_alu instid0(SALU_CYCLE_1)
	s_mov_b32 s0, exec_lo
	s_waitcnt lgkmcnt(0)
	s_barrier
	buffer_gl0_inv
	v_cmpx_eq_u32_e32 0, v0
	s_cbranch_execz .LBB417_222
; %bb.221:
	s_mul_i32 s1, s7, s14
	s_mul_i32 s38, s7, s24
	;; [unrolled: 1-line block ×3, first 2 shown]
	v_mov_b32_e32 v3, 0
	s_ashr_i32 s9, s8, 31
	s_delay_alu instid0(SALU_CYCLE_1) | instskip(NEXT) | instid1(SALU_CYCLE_1)
	s_lshl_b64 s[8:9], s[8:9], 2
	s_add_u32 s1, s18, s8
	s_addc_u32 s3, s19, s9
	s_ashr_i32 s39, s38, 31
	s_delay_alu instid0(SALU_CYCLE_1) | instskip(NEXT) | instid1(SALU_CYCLE_1)
	s_lshl_b64 s[18:19], s[38:39], 2
	s_add_u32 s1, s1, s18
	s_addc_u32 s3, s3, s19
	s_ashr_i32 s23, s22, 31
	s_delay_alu instid0(SALU_CYCLE_1) | instskip(NEXT) | instid1(SALU_CYCLE_1)
	s_lshl_b64 s[22:23], s[22:23], 2
	s_add_u32 s38, s1, s22
	s_addc_u32 s39, s3, s23
	s_add_u32 s1, s16, s8
	s_addc_u32 s3, s17, s9
	s_add_u32 s1, s1, s18
	s_addc_u32 s3, s3, s19
	;; [unrolled: 2-line block ×3, first 2 shown]
	s_clause 0x1
	global_store_b32 v3, v1, s[38:39]
	global_store_b32 v3, v2, s[8:9]
.LBB417_222:
	s_or_b32 exec_lo, exec_lo, s0
	v_dual_mov_b32 v21, 0 :: v_dual_mov_b32 v22, 0
	s_mov_b32 s6, 0
	s_and_saveexec_b32 s1, s2
	s_cbranch_execz .LBB417_510
; %bb.223:
	s_load_b32 s8, s[10:11], 0x0
	v_dual_mov_b32 v22, 0 :: v_dual_and_b32 v1, 8, v11
	v_lshlrev_b32_e32 v2, 5, v17
	v_and_b32_e32 v3, 0xf8, v11
	v_mov_b32_e32 v11, 0
	v_lshl_add_u32 v4, v18, 4, s36
	s_ashr_i32 s0, s34, 31
	s_add_u32 s16, s30, s34
	s_addc_u32 s0, s31, s0
	v_lshl_or_b32 v5, v18, 6, v2
	v_add_co_u32 v12, s10, s16, v3
	v_add3_u32 v23, v4, v1, 7
	v_lshlrev_b64 v[1:2], 2, v[9:10]
	v_add_co_ci_u32_e64 v13, null, s0, 0, s10
	s_lshl_b64 s[10:11], s[28:29], 2
	s_add_i32 s9, s25, -1
	s_add_u32 s0, s26, s10
	s_addc_u32 s10, s27, s11
	v_add_co_u32 v14, vcc_lo, s0, v1
	v_dual_mov_b32 v21, 0 :: v_dual_add_nc_u32 v24, 0x60, v5
	v_add_co_ci_u32_e32 v15, vcc_lo, s10, v2, vcc_lo
	s_mov_b32 s2, -1
	s_mov_b32 s3, 0xffffff
	s_branch .LBB417_225
.LBB417_224:                            ;   in Loop: Header=BB417_225 Depth=1
	s_or_b32 exec_lo, exec_lo, s0
	v_and_b32_e32 v3, 0xffff0000, v3
	s_delay_alu instid0(VALU_DEP_2)
	v_and_b32_e32 v1, 0xffff0000, v1
	v_and_b32_e32 v26, 0xffff0000, v26
	;; [unrolled: 1-line block ×3, first 2 shown]
	v_add_nc_u32_e32 v9, 4, v9
	v_add_co_u32 v14, s0, v14, 16
	v_dual_add_f32 v1, v3, v1 :: v_dual_and_b32 v6, 0xffff0000, v6
	v_and_b32_e32 v5, 0xffff0000, v5
	v_and_b32_e32 v8, 0xffff0000, v8
	v_cmp_le_i32_e32 vcc_lo, s13, v9
	v_add_nc_u32_e32 v23, 64, v23
	v_add_co_ci_u32_e64 v15, s0, 0, v15, s0
	v_dual_add_f32 v5, v5, v6 :: v_dual_and_b32 v4, 0xffff0000, v4
	v_and_b32_e32 v7, 0xffff0000, v7
	s_or_b32 s6, vcc_lo, s6
	v_add_nc_u32_e32 v24, 0x100, v24
	s_delay_alu instid0(VALU_DEP_3) | instskip(NEXT) | instid1(VALU_DEP_3)
	v_dual_add_f32 v2, v2, v4 :: v_dual_and_b32 v25, 0xffff0000, v25
	v_dual_add_f32 v6, v7, v8 :: v_dual_and_b32 v7, 0xffff0000, v10
	v_and_b32_e32 v8, 0xffff0000, v30
	v_and_b32_e32 v29, 0xffff0000, v29
	s_delay_alu instid0(VALU_DEP_3) | instskip(SKIP_1) | instid1(VALU_DEP_1)
	v_add_f32_e32 v5, v5, v6
	v_add_f32_e32 v6, v25, v26
	v_dual_add_f32 v5, v5, v6 :: v_dual_and_b32 v28, 0xffff0000, v28
	s_delay_alu instid0(VALU_DEP_1) | instskip(NEXT) | instid1(VALU_DEP_1)
	v_dual_add_f32 v4, v28, v29 :: v_dual_and_b32 v27, 0xffff0000, v27
	v_dual_add_f32 v2, v2, v4 :: v_dual_and_b32 v31, 0xffff0000, v33
	s_delay_alu instid0(VALU_DEP_1) | instskip(NEXT) | instid1(VALU_DEP_1)
	v_add_f32_e32 v6, v27, v31
	v_dual_add_f32 v4, v8, v7 :: v_dual_add_f32 v3, v5, v6
	s_delay_alu instid0(VALU_DEP_1) | instskip(NEXT) | instid1(VALU_DEP_2)
	v_add_f32_e32 v2, v2, v4
	v_add_f32_e32 v22, v22, v3
	s_delay_alu instid0(VALU_DEP_2) | instskip(NEXT) | instid1(VALU_DEP_1)
	v_add_f32_e32 v1, v2, v1
	v_add_f32_e32 v21, v21, v1
	s_and_not1_b32 exec_lo, exec_lo, s6
	s_cbranch_execz .LBB417_509
.LBB417_225:                            ; =>This Inner Loop Header: Depth=1
	global_load_b32 v10, v[14:15], off
	ds_load_2addr_b64 v[5:8], v24 offset1:1
	ds_load_2addr_b64 v[1:4], v24 offset0:2 offset1:3
	s_mov_b32 s0, exec_lo
                                        ; implicit-def: $vgpr36
	s_waitcnt lgkmcnt(0)
	v_and_b32_e32 v25, 0x7f800000, v5
	s_delay_alu instid0(VALU_DEP_1)
	v_cmpx_ne_u32_e32 0x7f800000, v25
	s_xor_b32 s0, exec_lo, s0
; %bb.226:                              ;   in Loop: Header=BB417_225 Depth=1
	v_bfe_u32 v25, v5, 16, 1
	s_delay_alu instid0(VALU_DEP_1)
	v_add3_u32 v36, v5, v25, 0x7fff
; %bb.227:                              ;   in Loop: Header=BB417_225 Depth=1
	s_and_not1_saveexec_b32 s0, s0
; %bb.228:                              ;   in Loop: Header=BB417_225 Depth=1
	v_and_b32_e32 v25, 0xffff, v5
	v_or_b32_e32 v26, 0x10000, v5
	s_delay_alu instid0(VALU_DEP_2) | instskip(NEXT) | instid1(VALU_DEP_2)
	v_cmp_eq_u32_e32 vcc_lo, 0, v25
	v_cndmask_b32_e32 v36, v26, v5, vcc_lo
; %bb.229:                              ;   in Loop: Header=BB417_225 Depth=1
	s_or_b32 exec_lo, exec_lo, s0
	v_and_b32_e32 v5, 0x7f800000, v6
	s_mov_b32 s0, exec_lo
                                        ; implicit-def: $vgpr37
	s_delay_alu instid0(VALU_DEP_1)
	v_cmpx_ne_u32_e32 0x7f800000, v5
	s_xor_b32 s0, exec_lo, s0
; %bb.230:                              ;   in Loop: Header=BB417_225 Depth=1
	v_bfe_u32 v5, v6, 16, 1
	s_delay_alu instid0(VALU_DEP_1)
	v_add3_u32 v37, v6, v5, 0x7fff
; %bb.231:                              ;   in Loop: Header=BB417_225 Depth=1
	s_and_not1_saveexec_b32 s0, s0
; %bb.232:                              ;   in Loop: Header=BB417_225 Depth=1
	v_and_b32_e32 v5, 0xffff, v6
	v_or_b32_e32 v25, 0x10000, v6
	s_delay_alu instid0(VALU_DEP_2) | instskip(NEXT) | instid1(VALU_DEP_2)
	v_cmp_eq_u32_e32 vcc_lo, 0, v5
	v_cndmask_b32_e32 v37, v25, v6, vcc_lo
; %bb.233:                              ;   in Loop: Header=BB417_225 Depth=1
	s_or_b32 exec_lo, exec_lo, s0
	v_and_b32_e32 v5, 0x7f800000, v7
	s_mov_b32 s0, exec_lo
                                        ; implicit-def: $vgpr38
	s_delay_alu instid0(VALU_DEP_1)
	v_cmpx_ne_u32_e32 0x7f800000, v5
	s_xor_b32 s0, exec_lo, s0
; %bb.234:                              ;   in Loop: Header=BB417_225 Depth=1
	v_bfe_u32 v5, v7, 16, 1
	s_delay_alu instid0(VALU_DEP_1)
	v_add3_u32 v38, v7, v5, 0x7fff
; %bb.235:                              ;   in Loop: Header=BB417_225 Depth=1
	s_and_not1_saveexec_b32 s0, s0
; %bb.236:                              ;   in Loop: Header=BB417_225 Depth=1
	v_and_b32_e32 v5, 0xffff, v7
	v_or_b32_e32 v6, 0x10000, v7
	s_delay_alu instid0(VALU_DEP_2) | instskip(NEXT) | instid1(VALU_DEP_2)
	v_cmp_eq_u32_e32 vcc_lo, 0, v5
	v_cndmask_b32_e32 v38, v6, v7, vcc_lo
; %bb.237:                              ;   in Loop: Header=BB417_225 Depth=1
	s_or_b32 exec_lo, exec_lo, s0
	v_and_b32_e32 v5, 0x7f800000, v8
	s_mov_b32 s0, exec_lo
                                        ; implicit-def: $vgpr39
	s_delay_alu instid0(VALU_DEP_1)
	v_cmpx_ne_u32_e32 0x7f800000, v5
	s_xor_b32 s0, exec_lo, s0
; %bb.238:                              ;   in Loop: Header=BB417_225 Depth=1
	v_bfe_u32 v5, v8, 16, 1
	s_delay_alu instid0(VALU_DEP_1)
	v_add3_u32 v39, v8, v5, 0x7fff
                                        ; implicit-def: $vgpr5_vgpr6_vgpr7_vgpr8
; %bb.239:                              ;   in Loop: Header=BB417_225 Depth=1
	s_and_not1_saveexec_b32 s0, s0
; %bb.240:                              ;   in Loop: Header=BB417_225 Depth=1
	v_and_b32_e32 v5, 0xffff, v8
	v_or_b32_e32 v6, 0x10000, v8
	s_delay_alu instid0(VALU_DEP_2) | instskip(NEXT) | instid1(VALU_DEP_2)
	v_cmp_eq_u32_e32 vcc_lo, 0, v5
	v_cndmask_b32_e32 v39, v6, v8, vcc_lo
; %bb.241:                              ;   in Loop: Header=BB417_225 Depth=1
	s_or_b32 exec_lo, exec_lo, s0
	v_and_b32_e32 v5, 0x7f800000, v1
	s_mov_b32 s0, exec_lo
                                        ; implicit-def: $vgpr25
	s_delay_alu instid0(VALU_DEP_1)
	v_cmpx_ne_u32_e32 0x7f800000, v5
	s_xor_b32 s0, exec_lo, s0
; %bb.242:                              ;   in Loop: Header=BB417_225 Depth=1
	v_bfe_u32 v5, v1, 16, 1
	s_delay_alu instid0(VALU_DEP_1)
	v_add3_u32 v25, v1, v5, 0x7fff
; %bb.243:                              ;   in Loop: Header=BB417_225 Depth=1
	s_and_not1_saveexec_b32 s0, s0
; %bb.244:                              ;   in Loop: Header=BB417_225 Depth=1
	v_and_b32_e32 v5, 0xffff, v1
	v_or_b32_e32 v6, 0x10000, v1
	s_delay_alu instid0(VALU_DEP_2) | instskip(NEXT) | instid1(VALU_DEP_2)
	v_cmp_eq_u32_e32 vcc_lo, 0, v5
	v_cndmask_b32_e32 v25, v6, v1, vcc_lo
; %bb.245:                              ;   in Loop: Header=BB417_225 Depth=1
	s_or_b32 exec_lo, exec_lo, s0
	v_and_b32_e32 v1, 0x7f800000, v2
	s_mov_b32 s0, exec_lo
                                        ; implicit-def: $vgpr26
	s_delay_alu instid0(VALU_DEP_1)
	v_cmpx_ne_u32_e32 0x7f800000, v1
	s_xor_b32 s0, exec_lo, s0
; %bb.246:                              ;   in Loop: Header=BB417_225 Depth=1
	v_bfe_u32 v1, v2, 16, 1
	s_delay_alu instid0(VALU_DEP_1)
	v_add3_u32 v26, v2, v1, 0x7fff
; %bb.247:                              ;   in Loop: Header=BB417_225 Depth=1
	s_and_not1_saveexec_b32 s0, s0
; %bb.248:                              ;   in Loop: Header=BB417_225 Depth=1
	v_and_b32_e32 v1, 0xffff, v2
	v_or_b32_e32 v5, 0x10000, v2
	s_delay_alu instid0(VALU_DEP_2) | instskip(NEXT) | instid1(VALU_DEP_2)
	v_cmp_eq_u32_e32 vcc_lo, 0, v1
	v_cndmask_b32_e32 v26, v5, v2, vcc_lo
; %bb.249:                              ;   in Loop: Header=BB417_225 Depth=1
	s_or_b32 exec_lo, exec_lo, s0
	v_and_b32_e32 v1, 0x7f800000, v3
	s_mov_b32 s0, exec_lo
                                        ; implicit-def: $vgpr27
	s_delay_alu instid0(VALU_DEP_1)
	v_cmpx_ne_u32_e32 0x7f800000, v1
	s_xor_b32 s0, exec_lo, s0
; %bb.250:                              ;   in Loop: Header=BB417_225 Depth=1
	v_bfe_u32 v1, v3, 16, 1
	s_delay_alu instid0(VALU_DEP_1)
	v_add3_u32 v27, v3, v1, 0x7fff
; %bb.251:                              ;   in Loop: Header=BB417_225 Depth=1
	s_and_not1_saveexec_b32 s0, s0
; %bb.252:                              ;   in Loop: Header=BB417_225 Depth=1
	v_and_b32_e32 v1, 0xffff, v3
	v_or_b32_e32 v2, 0x10000, v3
	s_delay_alu instid0(VALU_DEP_2) | instskip(NEXT) | instid1(VALU_DEP_2)
	v_cmp_eq_u32_e32 vcc_lo, 0, v1
	v_cndmask_b32_e32 v27, v2, v3, vcc_lo
; %bb.253:                              ;   in Loop: Header=BB417_225 Depth=1
	s_or_b32 exec_lo, exec_lo, s0
	v_and_b32_e32 v1, 0x7f800000, v4
	s_mov_b32 s0, exec_lo
                                        ; implicit-def: $vgpr33
	s_delay_alu instid0(VALU_DEP_1)
	v_cmpx_ne_u32_e32 0x7f800000, v1
	s_xor_b32 s0, exec_lo, s0
; %bb.254:                              ;   in Loop: Header=BB417_225 Depth=1
	v_bfe_u32 v1, v4, 16, 1
	s_delay_alu instid0(VALU_DEP_1)
	v_add3_u32 v33, v4, v1, 0x7fff
                                        ; implicit-def: $vgpr1_vgpr2_vgpr3_vgpr4
; %bb.255:                              ;   in Loop: Header=BB417_225 Depth=1
	s_and_not1_saveexec_b32 s0, s0
; %bb.256:                              ;   in Loop: Header=BB417_225 Depth=1
	v_and_b32_e32 v1, 0xffff, v4
	v_or_b32_e32 v2, 0x10000, v4
	s_delay_alu instid0(VALU_DEP_2) | instskip(NEXT) | instid1(VALU_DEP_2)
	v_cmp_eq_u32_e32 vcc_lo, 0, v1
	v_cndmask_b32_e32 v33, v2, v4, vcc_lo
; %bb.257:                              ;   in Loop: Header=BB417_225 Depth=1
	s_or_b32 exec_lo, exec_lo, s0
	s_waitcnt vmcnt(0)
	v_mad_i64_i32 v[1:2], null, v10, s5, v[12:13]
	s_mov_b32 s0, exec_lo
	v_mov_b32_e32 v5, 0
	global_load_b64 v[3:4], v[1:2], off
	s_waitcnt vmcnt(0)
	v_and_b32_e32 v6, 0xff, v3
	s_delay_alu instid0(VALU_DEP_1)
	v_cmpx_ne_u16_e32 0, v6
	s_cbranch_execz .LBB417_263
; %bb.258:                              ;   in Loop: Header=BB417_225 Depth=1
	v_bfrev_b32_e32 v5, 1
	s_mov_b32 s10, exec_lo
	v_cmpx_ne_u16_e32 0x80, v6
	s_cbranch_execz .LBB417_262
; %bb.259:                              ;   in Loop: Header=BB417_225 Depth=1
	v_and_b32_e32 v6, 0x7f, v3
	v_mov_b32_e32 v5, 0x7f800001
	s_mov_b32 s11, exec_lo
	s_delay_alu instid0(VALU_DEP_2)
	v_cmpx_ne_u32_e32 0x7f, v6
	s_cbranch_execz .LBB417_261
; %bb.260:                              ;   in Loop: Header=BB417_225 Depth=1
	v_and_b32_e32 v5, 7, v3
	v_lshrrev_b32_e32 v7, 3, v6
	v_cmp_gt_u32_e32 vcc_lo, 8, v6
	s_delay_alu instid0(VALU_DEP_3) | instskip(NEXT) | instid1(VALU_DEP_1)
	v_clz_i32_u32_e32 v5, v5
	v_min_u32_e32 v5, 32, v5
	s_delay_alu instid0(VALU_DEP_1) | instskip(SKIP_1) | instid1(VALU_DEP_1)
	v_subrev_nc_u32_e32 v8, 28, v5
	v_sub_nc_u32_e32 v5, 29, v5
	v_cndmask_b32_e32 v7, v7, v5, vcc_lo
	s_delay_alu instid0(VALU_DEP_3) | instskip(NEXT) | instid1(VALU_DEP_1)
	v_cndmask_b32_e32 v5, 0, v8, vcc_lo
	v_lshlrev_b64 v[5:6], v5, v[3:4]
	v_lshlrev_b32_e32 v6, 24, v3
	s_delay_alu instid0(VALU_DEP_4) | instskip(NEXT) | instid1(VALU_DEP_2)
	v_lshl_add_u32 v7, v7, 23, 0x3c000000
	v_and_b32_e32 v6, 0x80000000, v6
	s_delay_alu instid0(VALU_DEP_4) | instskip(NEXT) | instid1(VALU_DEP_1)
	v_lshlrev_b32_e32 v5, 20, v5
	v_and_b32_e32 v5, 0x700000, v5
	s_delay_alu instid0(VALU_DEP_1)
	v_or3_b32 v5, v5, v6, v7
.LBB417_261:                            ;   in Loop: Header=BB417_225 Depth=1
	s_or_b32 exec_lo, exec_lo, s11
.LBB417_262:                            ;   in Loop: Header=BB417_225 Depth=1
	s_delay_alu instid0(SALU_CYCLE_1)
	s_or_b32 exec_lo, exec_lo, s10
.LBB417_263:                            ;   in Loop: Header=BB417_225 Depth=1
	s_delay_alu instid0(SALU_CYCLE_1) | instskip(NEXT) | instid1(VALU_DEP_1)
	s_or_b32 exec_lo, exec_lo, s0
	v_mul_f32_e32 v5, s8, v5
	s_mov_b32 s0, exec_lo
                                        ; implicit-def: $vgpr7
	s_delay_alu instid0(VALU_DEP_1) | instskip(NEXT) | instid1(VALU_DEP_1)
	v_and_b32_e32 v6, 0x7f800000, v5
	v_cmpx_ne_u32_e32 0x7f800000, v6
	s_xor_b32 s0, exec_lo, s0
; %bb.264:                              ;   in Loop: Header=BB417_225 Depth=1
	v_bfe_u32 v6, v5, 16, 1
	s_delay_alu instid0(VALU_DEP_1)
	v_add3_u32 v7, v5, v6, 0x7fff
                                        ; implicit-def: $vgpr5
; %bb.265:                              ;   in Loop: Header=BB417_225 Depth=1
	s_and_not1_saveexec_b32 s0, s0
; %bb.266:                              ;   in Loop: Header=BB417_225 Depth=1
	v_and_b32_e32 v6, 0xffff, v5
	v_or_b32_e32 v7, 0x10000, v5
	s_delay_alu instid0(VALU_DEP_2) | instskip(NEXT) | instid1(VALU_DEP_2)
	v_cmp_eq_u32_e32 vcc_lo, 0, v6
	v_cndmask_b32_e32 v7, v7, v5, vcc_lo
; %bb.267:                              ;   in Loop: Header=BB417_225 Depth=1
	s_or_b32 exec_lo, exec_lo, s0
	v_lshrrev_b16 v6, 8, v3
	v_mov_b32_e32 v5, 0
	s_mov_b32 s0, exec_lo
	s_delay_alu instid0(VALU_DEP_2)
	v_cmpx_ne_u16_e32 0, v6
	s_cbranch_execz .LBB417_275
; %bb.268:                              ;   in Loop: Header=BB417_225 Depth=1
	v_bfrev_b32_e32 v5, 1
	s_mov_b32 s10, exec_lo
	v_cmpx_ne_u16_e32 0x80, v6
	s_cbranch_execz .LBB417_274
; %bb.269:                              ;   in Loop: Header=BB417_225 Depth=1
	v_and_b32_e32 v8, 0xffff, v6
	v_mov_b32_e32 v5, 0x7f800001
	s_mov_b32 s11, exec_lo
	s_delay_alu instid0(VALU_DEP_2) | instskip(NEXT) | instid1(VALU_DEP_1)
	v_and_b32_e32 v6, 0x7f, v8
	v_cmpx_ne_u32_e32 0x7f, v6
	s_cbranch_execz .LBB417_273
; %bb.270:                              ;   in Loop: Header=BB417_225 Depth=1
	v_and_b32_e32 v10, 7, v8
	v_lshrrev_b32_e32 v5, 3, v6
	s_mov_b32 s16, exec_lo
	v_cmpx_gt_u32_e32 8, v6
; %bb.271:                              ;   in Loop: Header=BB417_225 Depth=1
	s_delay_alu instid0(VALU_DEP_3) | instskip(NEXT) | instid1(VALU_DEP_1)
	v_clz_i32_u32_e32 v5, v10
	v_min_u32_e32 v5, 32, v5
	s_delay_alu instid0(VALU_DEP_1) | instskip(SKIP_1) | instid1(VALU_DEP_2)
	v_subrev_nc_u32_e32 v6, 28, v5
	v_sub_nc_u32_e32 v5, 29, v5
	v_lshlrev_b64 v[28:29], v6, v[10:11]
	s_delay_alu instid0(VALU_DEP_1)
	v_and_b32_e32 v10, 7, v28
; %bb.272:                              ;   in Loop: Header=BB417_225 Depth=1
	s_or_b32 exec_lo, exec_lo, s16
	v_lshlrev_b32_e32 v6, 16, v3
	s_delay_alu instid0(VALU_DEP_2) | instskip(SKIP_1) | instid1(VALU_DEP_3)
	v_lshlrev_b32_e32 v8, 20, v10
	v_lshl_add_u32 v5, v5, 23, 0x3c000000
	v_and_b32_e32 v6, 0x80000000, v6
	s_delay_alu instid0(VALU_DEP_1)
	v_or3_b32 v5, v8, v6, v5
.LBB417_273:                            ;   in Loop: Header=BB417_225 Depth=1
	s_or_b32 exec_lo, exec_lo, s11
.LBB417_274:                            ;   in Loop: Header=BB417_225 Depth=1
	s_delay_alu instid0(SALU_CYCLE_1)
	s_or_b32 exec_lo, exec_lo, s10
.LBB417_275:                            ;   in Loop: Header=BB417_225 Depth=1
	s_delay_alu instid0(SALU_CYCLE_1) | instskip(NEXT) | instid1(VALU_DEP_1)
	s_or_b32 exec_lo, exec_lo, s0
	v_mul_f32_e32 v5, s8, v5
	s_mov_b32 s0, exec_lo
                                        ; implicit-def: $vgpr8
	s_delay_alu instid0(VALU_DEP_1) | instskip(NEXT) | instid1(VALU_DEP_1)
	v_and_b32_e32 v6, 0x7f800000, v5
	v_cmpx_ne_u32_e32 0x7f800000, v6
	s_xor_b32 s0, exec_lo, s0
; %bb.276:                              ;   in Loop: Header=BB417_225 Depth=1
	v_bfe_u32 v6, v5, 16, 1
	s_delay_alu instid0(VALU_DEP_1)
	v_add3_u32 v8, v5, v6, 0x7fff
                                        ; implicit-def: $vgpr5
; %bb.277:                              ;   in Loop: Header=BB417_225 Depth=1
	s_and_not1_saveexec_b32 s0, s0
; %bb.278:                              ;   in Loop: Header=BB417_225 Depth=1
	v_and_b32_e32 v6, 0xffff, v5
	v_or_b32_e32 v8, 0x10000, v5
	s_delay_alu instid0(VALU_DEP_2) | instskip(NEXT) | instid1(VALU_DEP_2)
	v_cmp_eq_u32_e32 vcc_lo, 0, v6
	v_cndmask_b32_e32 v8, v8, v5, vcc_lo
; %bb.279:                              ;   in Loop: Header=BB417_225 Depth=1
	s_or_b32 exec_lo, exec_lo, s0
	v_lshrrev_b32_e32 v5, 16, v3
	v_mov_b32_e32 v6, 0
	s_mov_b32 s0, exec_lo
	s_delay_alu instid0(VALU_DEP_2) | instskip(NEXT) | instid1(VALU_DEP_1)
	v_and_b32_e32 v10, 0xff, v5
	v_cmpx_ne_u16_e32 0, v10
	s_cbranch_execz .LBB417_287
; %bb.280:                              ;   in Loop: Header=BB417_225 Depth=1
	v_bfrev_b32_e32 v6, 1
	s_mov_b32 s10, exec_lo
	v_cmpx_ne_u16_e32 0x80, v10
	s_cbranch_execz .LBB417_286
; %bb.281:                              ;   in Loop: Header=BB417_225 Depth=1
	v_bfe_u32 v28, v3, 16, 7
	v_mov_b32_e32 v6, 0x7f800001
	s_mov_b32 s11, exec_lo
	s_delay_alu instid0(VALU_DEP_2)
	v_cmpx_ne_u32_e32 0x7f, v28
	s_cbranch_execz .LBB417_285
; %bb.282:                              ;   in Loop: Header=BB417_225 Depth=1
	v_and_b32_e32 v10, 7, v5
	v_lshrrev_b32_e32 v6, 3, v28
	s_mov_b32 s16, exec_lo
	v_cmpx_gt_u32_e32 8, v28
; %bb.283:                              ;   in Loop: Header=BB417_225 Depth=1
	s_delay_alu instid0(VALU_DEP_3) | instskip(NEXT) | instid1(VALU_DEP_1)
	v_clz_i32_u32_e32 v6, v10
	v_min_u32_e32 v6, 32, v6
	s_delay_alu instid0(VALU_DEP_1) | instskip(SKIP_1) | instid1(VALU_DEP_2)
	v_subrev_nc_u32_e32 v28, 28, v6
	v_sub_nc_u32_e32 v6, 29, v6
	v_lshlrev_b64 v[28:29], v28, v[10:11]
	s_delay_alu instid0(VALU_DEP_1)
	v_and_b32_e32 v10, 7, v28
; %bb.284:                              ;   in Loop: Header=BB417_225 Depth=1
	s_or_b32 exec_lo, exec_lo, s16
	v_lshlrev_b32_e32 v5, 24, v5
	s_delay_alu instid0(VALU_DEP_2) | instskip(SKIP_1) | instid1(VALU_DEP_3)
	v_lshlrev_b32_e32 v10, 20, v10
	v_lshl_add_u32 v6, v6, 23, 0x3c000000
	v_and_b32_e32 v5, 0x80000000, v5
	s_delay_alu instid0(VALU_DEP_1)
	v_or3_b32 v6, v10, v5, v6
.LBB417_285:                            ;   in Loop: Header=BB417_225 Depth=1
	s_or_b32 exec_lo, exec_lo, s11
.LBB417_286:                            ;   in Loop: Header=BB417_225 Depth=1
	s_delay_alu instid0(SALU_CYCLE_1)
	s_or_b32 exec_lo, exec_lo, s10
.LBB417_287:                            ;   in Loop: Header=BB417_225 Depth=1
	s_delay_alu instid0(SALU_CYCLE_1) | instskip(NEXT) | instid1(VALU_DEP_1)
	s_or_b32 exec_lo, exec_lo, s0
	v_mul_f32_e32 v5, s8, v6
	s_mov_b32 s0, exec_lo
                                        ; implicit-def: $vgpr29
	s_delay_alu instid0(VALU_DEP_1) | instskip(NEXT) | instid1(VALU_DEP_1)
	v_and_b32_e32 v6, 0x7f800000, v5
	v_cmpx_ne_u32_e32 0x7f800000, v6
	s_xor_b32 s0, exec_lo, s0
; %bb.288:                              ;   in Loop: Header=BB417_225 Depth=1
	v_bfe_u32 v6, v5, 16, 1
	s_delay_alu instid0(VALU_DEP_1)
	v_add3_u32 v29, v5, v6, 0x7fff
                                        ; implicit-def: $vgpr5
; %bb.289:                              ;   in Loop: Header=BB417_225 Depth=1
	s_and_not1_saveexec_b32 s0, s0
; %bb.290:                              ;   in Loop: Header=BB417_225 Depth=1
	v_and_b32_e32 v6, 0xffff, v5
	v_or_b32_e32 v10, 0x10000, v5
	s_delay_alu instid0(VALU_DEP_2) | instskip(NEXT) | instid1(VALU_DEP_2)
	v_cmp_eq_u32_e32 vcc_lo, 0, v6
	v_cndmask_b32_e32 v29, v10, v5, vcc_lo
; %bb.291:                              ;   in Loop: Header=BB417_225 Depth=1
	s_or_b32 exec_lo, exec_lo, s0
	v_mov_b32_e32 v6, 0
	s_mov_b32 s0, exec_lo
	v_cmpx_lt_u32_e32 0xffffff, v3
	s_cbranch_execz .LBB417_299
; %bb.292:                              ;   in Loop: Header=BB417_225 Depth=1
	v_lshrrev_b32_e32 v5, 24, v3
	v_bfrev_b32_e32 v6, 1
	s_mov_b32 s10, exec_lo
	s_delay_alu instid0(VALU_DEP_2)
	v_cmpx_ne_u32_e32 0x80, v5
	s_cbranch_execz .LBB417_298
; %bb.293:                              ;   in Loop: Header=BB417_225 Depth=1
	v_bfe_u32 v28, v3, 24, 7
	v_mov_b32_e32 v6, 0x7f800001
	s_mov_b32 s11, exec_lo
	s_delay_alu instid0(VALU_DEP_2)
	v_cmpx_ne_u32_e32 0x7f, v28
	s_cbranch_execz .LBB417_297
; %bb.294:                              ;   in Loop: Header=BB417_225 Depth=1
	v_and_b32_e32 v10, 7, v5
	v_lshrrev_b32_e32 v6, 3, v28
	s_mov_b32 s16, exec_lo
	v_cmpx_gt_u32_e32 8, v28
; %bb.295:                              ;   in Loop: Header=BB417_225 Depth=1
	s_delay_alu instid0(VALU_DEP_3) | instskip(NEXT) | instid1(VALU_DEP_1)
	v_clz_i32_u32_e32 v6, v10
	v_min_u32_e32 v6, 32, v6
	s_delay_alu instid0(VALU_DEP_1) | instskip(SKIP_1) | instid1(VALU_DEP_2)
	v_subrev_nc_u32_e32 v28, 28, v6
	v_sub_nc_u32_e32 v6, 29, v6
	v_lshlrev_b64 v[30:31], v28, v[10:11]
	s_delay_alu instid0(VALU_DEP_1)
	v_and_b32_e32 v10, 7, v30
; %bb.296:                              ;   in Loop: Header=BB417_225 Depth=1
	s_or_b32 exec_lo, exec_lo, s16
	v_lshlrev_b32_e32 v5, 24, v5
	s_delay_alu instid0(VALU_DEP_2) | instskip(SKIP_1) | instid1(VALU_DEP_3)
	v_lshlrev_b32_e32 v10, 20, v10
	v_lshl_add_u32 v6, v6, 23, 0x3c000000
	v_and_b32_e32 v5, 0x80000000, v5
	s_delay_alu instid0(VALU_DEP_1)
	v_or3_b32 v6, v10, v5, v6
.LBB417_297:                            ;   in Loop: Header=BB417_225 Depth=1
	s_or_b32 exec_lo, exec_lo, s11
.LBB417_298:                            ;   in Loop: Header=BB417_225 Depth=1
	s_delay_alu instid0(SALU_CYCLE_1)
	s_or_b32 exec_lo, exec_lo, s10
.LBB417_299:                            ;   in Loop: Header=BB417_225 Depth=1
	s_delay_alu instid0(SALU_CYCLE_1) | instskip(NEXT) | instid1(VALU_DEP_1)
	s_or_b32 exec_lo, exec_lo, s0
	v_mul_f32_e32 v5, s8, v6
	s_mov_b32 s0, exec_lo
                                        ; implicit-def: $vgpr30
	s_delay_alu instid0(VALU_DEP_1) | instskip(NEXT) | instid1(VALU_DEP_1)
	v_and_b32_e32 v6, 0x7f800000, v5
	v_cmpx_ne_u32_e32 0x7f800000, v6
	s_xor_b32 s0, exec_lo, s0
; %bb.300:                              ;   in Loop: Header=BB417_225 Depth=1
	v_bfe_u32 v6, v5, 16, 1
	s_delay_alu instid0(VALU_DEP_1)
	v_add3_u32 v30, v5, v6, 0x7fff
                                        ; implicit-def: $vgpr5
; %bb.301:                              ;   in Loop: Header=BB417_225 Depth=1
	s_and_not1_saveexec_b32 s0, s0
; %bb.302:                              ;   in Loop: Header=BB417_225 Depth=1
	v_and_b32_e32 v6, 0xffff, v5
	v_or_b32_e32 v10, 0x10000, v5
	s_delay_alu instid0(VALU_DEP_2) | instskip(NEXT) | instid1(VALU_DEP_2)
	v_cmp_eq_u32_e32 vcc_lo, 0, v6
	v_cndmask_b32_e32 v30, v10, v5, vcc_lo
; %bb.303:                              ;   in Loop: Header=BB417_225 Depth=1
	s_or_b32 exec_lo, exec_lo, s0
	v_dual_mov_b32 v5, 0 :: v_dual_and_b32 v6, 0xff, v4
	v_mov_b32_e32 v10, v4
	s_mov_b32 s0, exec_lo
	s_delay_alu instid0(VALU_DEP_2)
	v_cmpx_ne_u16_e32 0, v6
	s_cbranch_execz .LBB417_309
; %bb.304:                              ;   in Loop: Header=BB417_225 Depth=1
	v_bfrev_b32_e32 v5, 1
	s_mov_b32 s10, exec_lo
	v_cmpx_ne_u16_e32 0x80, v6
	s_cbranch_execz .LBB417_308
; %bb.305:                              ;   in Loop: Header=BB417_225 Depth=1
	v_and_b32_e32 v6, 0x7f, v4
	v_mov_b32_e32 v5, 0x7f800001
	s_mov_b32 s11, exec_lo
	s_delay_alu instid0(VALU_DEP_2)
	v_cmpx_ne_u32_e32 0x7f, v6
	s_cbranch_execz .LBB417_307
; %bb.306:                              ;   in Loop: Header=BB417_225 Depth=1
	v_and_b32_e32 v5, 7, v4
	v_lshrrev_b32_e32 v28, 3, v6
	v_cmp_gt_u32_e32 vcc_lo, 8, v6
	s_delay_alu instid0(VALU_DEP_3) | instskip(NEXT) | instid1(VALU_DEP_1)
	v_clz_i32_u32_e32 v5, v5
	v_min_u32_e32 v5, 32, v5
	s_delay_alu instid0(VALU_DEP_1) | instskip(SKIP_1) | instid1(VALU_DEP_1)
	v_subrev_nc_u32_e32 v31, 28, v5
	v_sub_nc_u32_e32 v5, 29, v5
	v_dual_cndmask_b32 v28, v28, v5 :: v_dual_cndmask_b32 v5, 0, v31
	s_delay_alu instid0(VALU_DEP_1) | instskip(NEXT) | instid1(VALU_DEP_2)
	v_lshl_add_u32 v28, v28, 23, 0x3c000000
	v_lshlrev_b64 v[5:6], v5, v[10:11]
	v_lshlrev_b32_e32 v6, 24, v10
	s_delay_alu instid0(VALU_DEP_2) | instskip(NEXT) | instid1(VALU_DEP_2)
	v_lshlrev_b32_e32 v5, 20, v5
	v_and_b32_e32 v6, 0x80000000, v6
	s_delay_alu instid0(VALU_DEP_2) | instskip(NEXT) | instid1(VALU_DEP_1)
	v_and_b32_e32 v5, 0x700000, v5
	v_or3_b32 v5, v5, v6, v28
.LBB417_307:                            ;   in Loop: Header=BB417_225 Depth=1
	s_or_b32 exec_lo, exec_lo, s11
.LBB417_308:                            ;   in Loop: Header=BB417_225 Depth=1
	s_delay_alu instid0(SALU_CYCLE_1)
	s_or_b32 exec_lo, exec_lo, s10
.LBB417_309:                            ;   in Loop: Header=BB417_225 Depth=1
	s_delay_alu instid0(SALU_CYCLE_1) | instskip(NEXT) | instid1(VALU_DEP_1)
	s_or_b32 exec_lo, exec_lo, s0
	v_mul_f32_e32 v5, s8, v5
	s_mov_b32 s0, exec_lo
                                        ; implicit-def: $vgpr31
	s_delay_alu instid0(VALU_DEP_1) | instskip(NEXT) | instid1(VALU_DEP_1)
	v_and_b32_e32 v6, 0x7f800000, v5
	v_cmpx_ne_u32_e32 0x7f800000, v6
	s_xor_b32 s0, exec_lo, s0
; %bb.310:                              ;   in Loop: Header=BB417_225 Depth=1
	v_bfe_u32 v6, v5, 16, 1
	s_delay_alu instid0(VALU_DEP_1)
	v_add3_u32 v31, v5, v6, 0x7fff
                                        ; implicit-def: $vgpr5
; %bb.311:                              ;   in Loop: Header=BB417_225 Depth=1
	s_and_not1_saveexec_b32 s0, s0
; %bb.312:                              ;   in Loop: Header=BB417_225 Depth=1
	v_and_b32_e32 v6, 0xffff, v5
	v_or_b32_e32 v28, 0x10000, v5
	s_delay_alu instid0(VALU_DEP_2) | instskip(NEXT) | instid1(VALU_DEP_2)
	v_cmp_eq_u32_e32 vcc_lo, 0, v6
	v_cndmask_b32_e32 v31, v28, v5, vcc_lo
; %bb.313:                              ;   in Loop: Header=BB417_225 Depth=1
	s_or_b32 exec_lo, exec_lo, s0
	v_lshrrev_b16 v6, 8, v10
	v_mov_b32_e32 v5, 0
	s_mov_b32 s0, exec_lo
	s_delay_alu instid0(VALU_DEP_2)
	v_cmpx_ne_u16_e32 0, v6
	s_cbranch_execz .LBB417_321
; %bb.314:                              ;   in Loop: Header=BB417_225 Depth=1
	v_bfrev_b32_e32 v5, 1
	s_mov_b32 s10, exec_lo
	v_cmpx_ne_u16_e32 0x80, v6
	s_cbranch_execz .LBB417_320
; %bb.315:                              ;   in Loop: Header=BB417_225 Depth=1
	v_and_b32_e32 v6, 0xffff, v6
	v_mov_b32_e32 v5, 0x7f800001
	s_mov_b32 s11, exec_lo
	s_delay_alu instid0(VALU_DEP_2) | instskip(NEXT) | instid1(VALU_DEP_1)
	v_and_b32_e32 v32, 0x7f, v6
	v_cmpx_ne_u32_e32 0x7f, v32
	s_cbranch_execz .LBB417_319
; %bb.316:                              ;   in Loop: Header=BB417_225 Depth=1
	v_dual_mov_b32 v6, v11 :: v_dual_and_b32 v5, 7, v6
	v_lshrrev_b32_e32 v28, 3, v32
	s_mov_b32 s16, exec_lo
	v_cmpx_gt_u32_e32 8, v32
; %bb.317:                              ;   in Loop: Header=BB417_225 Depth=1
	s_delay_alu instid0(VALU_DEP_3) | instskip(NEXT) | instid1(VALU_DEP_1)
	v_clz_i32_u32_e32 v28, v5
	v_min_u32_e32 v28, 32, v28
	s_delay_alu instid0(VALU_DEP_1) | instskip(SKIP_1) | instid1(VALU_DEP_2)
	v_subrev_nc_u32_e32 v32, 28, v28
	v_sub_nc_u32_e32 v28, 29, v28
	v_lshlrev_b64 v[5:6], v32, v[5:6]
	s_delay_alu instid0(VALU_DEP_1)
	v_and_b32_e32 v5, 7, v5
; %bb.318:                              ;   in Loop: Header=BB417_225 Depth=1
	s_or_b32 exec_lo, exec_lo, s16
	v_lshlrev_b32_e32 v6, 16, v10
	s_delay_alu instid0(VALU_DEP_2) | instskip(SKIP_1) | instid1(VALU_DEP_3)
	v_lshlrev_b32_e32 v5, 20, v5
	v_lshl_add_u32 v10, v28, 23, 0x3c000000
	v_and_b32_e32 v6, 0x80000000, v6
	s_delay_alu instid0(VALU_DEP_1)
	v_or3_b32 v5, v5, v6, v10
.LBB417_319:                            ;   in Loop: Header=BB417_225 Depth=1
	s_or_b32 exec_lo, exec_lo, s11
.LBB417_320:                            ;   in Loop: Header=BB417_225 Depth=1
	s_delay_alu instid0(SALU_CYCLE_1)
	s_or_b32 exec_lo, exec_lo, s10
.LBB417_321:                            ;   in Loop: Header=BB417_225 Depth=1
	s_delay_alu instid0(SALU_CYCLE_1) | instskip(NEXT) | instid1(VALU_DEP_1)
	s_or_b32 exec_lo, exec_lo, s0
	v_mul_f32_e32 v6, s8, v5
	s_delay_alu instid0(VALU_DEP_1) | instskip(NEXT) | instid1(VALU_DEP_1)
	v_and_b32_e32 v5, 0x7f800000, v6
	v_cmp_ne_u32_e32 vcc_lo, 0x7f800000, v5
                                        ; implicit-def: $vgpr5
	s_and_saveexec_b32 s0, vcc_lo
	s_delay_alu instid0(SALU_CYCLE_1)
	s_xor_b32 s0, exec_lo, s0
; %bb.322:                              ;   in Loop: Header=BB417_225 Depth=1
	v_bfe_u32 v5, v6, 16, 1
	s_delay_alu instid0(VALU_DEP_1)
	v_add3_u32 v5, v6, v5, 0x7fff
                                        ; implicit-def: $vgpr6
; %bb.323:                              ;   in Loop: Header=BB417_225 Depth=1
	s_and_not1_saveexec_b32 s0, s0
; %bb.324:                              ;   in Loop: Header=BB417_225 Depth=1
	v_and_b32_e32 v5, 0xffff, v6
	v_or_b32_e32 v10, 0x10000, v6
	s_delay_alu instid0(VALU_DEP_2) | instskip(NEXT) | instid1(VALU_DEP_2)
	v_cmp_eq_u32_e32 vcc_lo, 0, v5
	v_cndmask_b32_e32 v5, v10, v6, vcc_lo
; %bb.325:                              ;   in Loop: Header=BB417_225 Depth=1
	s_or_b32 exec_lo, exec_lo, s0
	v_lshrrev_b32_e32 v6, 16, v4
	v_mov_b32_e32 v10, 0
	s_mov_b32 s0, exec_lo
	s_delay_alu instid0(VALU_DEP_2) | instskip(NEXT) | instid1(VALU_DEP_1)
	v_and_b32_e32 v28, 0xff, v6
	v_cmpx_ne_u16_e32 0, v28
	s_cbranch_execz .LBB417_333
; %bb.326:                              ;   in Loop: Header=BB417_225 Depth=1
	v_bfrev_b32_e32 v10, 1
	s_mov_b32 s10, exec_lo
	v_cmpx_ne_u16_e32 0x80, v28
	s_cbranch_execz .LBB417_332
; %bb.327:                              ;   in Loop: Header=BB417_225 Depth=1
	v_bfe_u32 v32, v4, 16, 7
	v_mov_b32_e32 v10, 0x7f800001
	s_mov_b32 s11, exec_lo
	s_delay_alu instid0(VALU_DEP_2)
	v_cmpx_ne_u32_e32 0x7f, v32
	s_cbranch_execz .LBB417_331
; %bb.328:                              ;   in Loop: Header=BB417_225 Depth=1
	v_and_b32_e32 v10, 7, v6
	v_lshrrev_b32_e32 v28, 3, v32
	s_mov_b32 s16, exec_lo
	v_cmpx_gt_u32_e32 8, v32
; %bb.329:                              ;   in Loop: Header=BB417_225 Depth=1
	s_delay_alu instid0(VALU_DEP_3) | instskip(NEXT) | instid1(VALU_DEP_1)
	v_clz_i32_u32_e32 v28, v10
	v_min_u32_e32 v28, 32, v28
	s_delay_alu instid0(VALU_DEP_1) | instskip(SKIP_1) | instid1(VALU_DEP_2)
	v_subrev_nc_u32_e32 v32, 28, v28
	v_sub_nc_u32_e32 v28, 29, v28
	v_lshlrev_b64 v[34:35], v32, v[10:11]
	s_delay_alu instid0(VALU_DEP_1)
	v_and_b32_e32 v10, 7, v34
; %bb.330:                              ;   in Loop: Header=BB417_225 Depth=1
	s_or_b32 exec_lo, exec_lo, s16
	v_lshlrev_b32_e32 v6, 24, v6
	s_delay_alu instid0(VALU_DEP_2) | instskip(SKIP_1) | instid1(VALU_DEP_3)
	v_lshlrev_b32_e32 v10, 20, v10
	v_lshl_add_u32 v28, v28, 23, 0x3c000000
	v_and_b32_e32 v6, 0x80000000, v6
	s_delay_alu instid0(VALU_DEP_1)
	v_or3_b32 v10, v10, v6, v28
.LBB417_331:                            ;   in Loop: Header=BB417_225 Depth=1
	s_or_b32 exec_lo, exec_lo, s11
.LBB417_332:                            ;   in Loop: Header=BB417_225 Depth=1
	s_delay_alu instid0(SALU_CYCLE_1)
	s_or_b32 exec_lo, exec_lo, s10
.LBB417_333:                            ;   in Loop: Header=BB417_225 Depth=1
	s_delay_alu instid0(SALU_CYCLE_1) | instskip(NEXT) | instid1(VALU_DEP_1)
	s_or_b32 exec_lo, exec_lo, s0
	v_mul_f32_e32 v10, s8, v10
	s_delay_alu instid0(VALU_DEP_1) | instskip(NEXT) | instid1(VALU_DEP_1)
	v_and_b32_e32 v6, 0x7f800000, v10
	v_cmp_ne_u32_e32 vcc_lo, 0x7f800000, v6
                                        ; implicit-def: $vgpr6
	s_and_saveexec_b32 s0, vcc_lo
	s_delay_alu instid0(SALU_CYCLE_1)
	s_xor_b32 s0, exec_lo, s0
; %bb.334:                              ;   in Loop: Header=BB417_225 Depth=1
	v_bfe_u32 v6, v10, 16, 1
	s_delay_alu instid0(VALU_DEP_1)
	v_add3_u32 v6, v10, v6, 0x7fff
                                        ; implicit-def: $vgpr10
; %bb.335:                              ;   in Loop: Header=BB417_225 Depth=1
	s_and_not1_saveexec_b32 s0, s0
; %bb.336:                              ;   in Loop: Header=BB417_225 Depth=1
	v_and_b32_e32 v6, 0xffff, v10
	v_or_b32_e32 v28, 0x10000, v10
	s_delay_alu instid0(VALU_DEP_2) | instskip(NEXT) | instid1(VALU_DEP_2)
	v_cmp_eq_u32_e32 vcc_lo, 0, v6
	v_cndmask_b32_e32 v6, v28, v10, vcc_lo
; %bb.337:                              ;   in Loop: Header=BB417_225 Depth=1
	s_or_b32 exec_lo, exec_lo, s0
	v_mov_b32_e32 v10, 0
	s_mov_b32 s0, exec_lo
	v_cmpx_lt_u64_e64 s[2:3], v[3:4]
	s_cbranch_execz .LBB417_345
; %bb.338:                              ;   in Loop: Header=BB417_225 Depth=1
	v_lshrrev_b32_e32 v3, 24, v4
	v_bfrev_b32_e32 v10, 1
	s_mov_b32 s10, exec_lo
	s_delay_alu instid0(VALU_DEP_2)
	v_cmpx_ne_u32_e32 0x80, v3
	s_cbranch_execz .LBB417_344
; %bb.339:                              ;   in Loop: Header=BB417_225 Depth=1
	v_bfe_u32 v28, v4, 24, 7
	v_mov_b32_e32 v10, 0x7f800001
	s_mov_b32 s11, exec_lo
	s_delay_alu instid0(VALU_DEP_2)
	v_cmpx_ne_u32_e32 0x7f, v28
	s_cbranch_execz .LBB417_343
; %bb.340:                              ;   in Loop: Header=BB417_225 Depth=1
	v_and_b32_e32 v10, 7, v3
	v_lshrrev_b32_e32 v4, 3, v28
	s_mov_b32 s16, exec_lo
	v_cmpx_gt_u32_e32 8, v28
; %bb.341:                              ;   in Loop: Header=BB417_225 Depth=1
	s_delay_alu instid0(VALU_DEP_3) | instskip(NEXT) | instid1(VALU_DEP_1)
	v_clz_i32_u32_e32 v4, v10
	v_min_u32_e32 v4, 32, v4
	s_delay_alu instid0(VALU_DEP_1) | instskip(SKIP_1) | instid1(VALU_DEP_2)
	v_subrev_nc_u32_e32 v28, 28, v4
	v_sub_nc_u32_e32 v4, 29, v4
	v_lshlrev_b64 v[34:35], v28, v[10:11]
	s_delay_alu instid0(VALU_DEP_1)
	v_and_b32_e32 v10, 7, v34
; %bb.342:                              ;   in Loop: Header=BB417_225 Depth=1
	s_or_b32 exec_lo, exec_lo, s16
	v_lshlrev_b32_e32 v3, 24, v3
	s_delay_alu instid0(VALU_DEP_2) | instskip(SKIP_1) | instid1(VALU_DEP_3)
	v_lshlrev_b32_e32 v10, 20, v10
	v_lshl_add_u32 v4, v4, 23, 0x3c000000
	v_and_b32_e32 v3, 0x80000000, v3
	s_delay_alu instid0(VALU_DEP_1)
	v_or3_b32 v10, v10, v3, v4
.LBB417_343:                            ;   in Loop: Header=BB417_225 Depth=1
	s_or_b32 exec_lo, exec_lo, s11
.LBB417_344:                            ;   in Loop: Header=BB417_225 Depth=1
	s_delay_alu instid0(SALU_CYCLE_1)
	s_or_b32 exec_lo, exec_lo, s10
.LBB417_345:                            ;   in Loop: Header=BB417_225 Depth=1
	s_delay_alu instid0(SALU_CYCLE_1) | instskip(NEXT) | instid1(VALU_DEP_1)
	s_or_b32 exec_lo, exec_lo, s0
	v_mul_f32_e32 v4, s8, v10
	s_delay_alu instid0(VALU_DEP_1) | instskip(NEXT) | instid1(VALU_DEP_1)
	v_and_b32_e32 v3, 0x7f800000, v4
	v_cmp_ne_u32_e32 vcc_lo, 0x7f800000, v3
                                        ; implicit-def: $vgpr3
	s_and_saveexec_b32 s0, vcc_lo
	s_delay_alu instid0(SALU_CYCLE_1)
	s_xor_b32 s0, exec_lo, s0
; %bb.346:                              ;   in Loop: Header=BB417_225 Depth=1
	v_bfe_u32 v3, v4, 16, 1
	s_delay_alu instid0(VALU_DEP_1)
	v_add3_u32 v3, v4, v3, 0x7fff
                                        ; implicit-def: $vgpr4
; %bb.347:                              ;   in Loop: Header=BB417_225 Depth=1
	s_and_not1_saveexec_b32 s0, s0
; %bb.348:                              ;   in Loop: Header=BB417_225 Depth=1
	v_and_b32_e32 v3, 0xffff, v4
	v_or_b32_e32 v10, 0x10000, v4
	s_delay_alu instid0(VALU_DEP_2) | instskip(NEXT) | instid1(VALU_DEP_2)
	v_cmp_eq_u32_e32 vcc_lo, 0, v3
	v_cndmask_b32_e32 v3, v10, v4, vcc_lo
; %bb.349:                              ;   in Loop: Header=BB417_225 Depth=1
	s_or_b32 exec_lo, exec_lo, s0
	v_cmp_eq_u32_e32 vcc_lo, s9, v9
	v_add_nc_u32_e32 v28, -7, v23
	v_lshrrev_b32_e32 v10, 16, v5
	v_lshrrev_b32_e32 v41, 16, v31
	v_lshrrev_b32_e32 v40, 16, v30
	v_lshrrev_b32_e32 v42, 16, v29
	v_lshrrev_b32_e32 v8, 16, v8
	v_lshrrev_b32_e32 v5, 16, v7
	v_lshrrev_b32_e32 v4, 16, v6
	v_lshrrev_b32_e32 v3, 16, v3
	v_add_nc_u32_e32 v35, -6, v23
	v_add_nc_u32_e32 v34, -5, v23
	;; [unrolled: 1-line block ×6, first 2 shown]
	s_and_saveexec_b32 s10, vcc_lo
	s_cbranch_execz .LBB417_351
; %bb.350:                              ;   in Loop: Header=BB417_225 Depth=1
	v_cmp_gt_i32_e64 s0, s33, v28
	s_delay_alu instid0(VALU_DEP_1) | instskip(SKIP_1) | instid1(VALU_DEP_1)
	v_cndmask_b32_e64 v5, 0, v5, s0
	v_cmp_gt_i32_e64 s0, s33, v35
	v_cndmask_b32_e64 v8, 0, v8, s0
	v_cmp_gt_i32_e64 s0, s33, v34
	s_delay_alu instid0(VALU_DEP_1) | instskip(SKIP_1) | instid1(VALU_DEP_1)
	v_cndmask_b32_e64 v42, 0, v42, s0
	v_cmp_gt_i32_e64 s0, s33, v32
	v_cndmask_b32_e64 v40, 0, v40, s0
	;; [unrolled: 5-line block ×4, first 2 shown]
.LBB417_351:                            ;   in Loop: Header=BB417_225 Depth=1
	s_or_b32 exec_lo, exec_lo, s10
	v_and_b32_e32 v36, 0xffff0000, v36
	v_lshlrev_b32_e32 v5, 16, v5
	s_delay_alu instid0(VALU_DEP_1) | instskip(NEXT) | instid1(VALU_DEP_1)
	v_mul_f32_e32 v6, v36, v5
	v_and_b32_e32 v5, 0x7f800000, v6
	s_delay_alu instid0(VALU_DEP_1) | instskip(NEXT) | instid1(VALU_DEP_1)
	v_cmp_ne_u32_e64 s0, 0x7f800000, v5
                                        ; implicit-def: $vgpr5
	s_and_saveexec_b32 s10, s0
	s_delay_alu instid0(SALU_CYCLE_1)
	s_xor_b32 s0, exec_lo, s10
; %bb.352:                              ;   in Loop: Header=BB417_225 Depth=1
	v_bfe_u32 v5, v6, 16, 1
	s_delay_alu instid0(VALU_DEP_1)
	v_add3_u32 v5, v6, v5, 0x7fff
                                        ; implicit-def: $vgpr6
; %bb.353:                              ;   in Loop: Header=BB417_225 Depth=1
	s_and_not1_saveexec_b32 s10, s0
; %bb.354:                              ;   in Loop: Header=BB417_225 Depth=1
	v_and_b32_e32 v5, 0xffff, v6
	v_or_b32_e32 v7, 0x10000, v6
	s_delay_alu instid0(VALU_DEP_2) | instskip(NEXT) | instid1(VALU_DEP_1)
	v_cmp_eq_u32_e64 s0, 0, v5
	v_cndmask_b32_e64 v5, v7, v6, s0
; %bb.355:                              ;   in Loop: Header=BB417_225 Depth=1
	s_or_b32 exec_lo, exec_lo, s10
	v_and_b32_e32 v37, 0xffff0000, v37
	v_lshlrev_b32_e32 v6, 16, v8
	s_delay_alu instid0(VALU_DEP_1) | instskip(NEXT) | instid1(VALU_DEP_1)
	v_mul_f32_e32 v7, v37, v6
	v_and_b32_e32 v6, 0x7f800000, v7
	s_delay_alu instid0(VALU_DEP_1) | instskip(NEXT) | instid1(VALU_DEP_1)
	v_cmp_ne_u32_e64 s0, 0x7f800000, v6
                                        ; implicit-def: $vgpr6
	s_and_saveexec_b32 s10, s0
	s_delay_alu instid0(SALU_CYCLE_1)
	s_xor_b32 s0, exec_lo, s10
; %bb.356:                              ;   in Loop: Header=BB417_225 Depth=1
	v_bfe_u32 v6, v7, 16, 1
	s_delay_alu instid0(VALU_DEP_1)
	v_add3_u32 v6, v7, v6, 0x7fff
                                        ; implicit-def: $vgpr7
; %bb.357:                              ;   in Loop: Header=BB417_225 Depth=1
	s_and_not1_saveexec_b32 s10, s0
; %bb.358:                              ;   in Loop: Header=BB417_225 Depth=1
	v_and_b32_e32 v6, 0xffff, v7
	v_or_b32_e32 v8, 0x10000, v7
	s_delay_alu instid0(VALU_DEP_2) | instskip(NEXT) | instid1(VALU_DEP_1)
	v_cmp_eq_u32_e64 s0, 0, v6
	v_cndmask_b32_e64 v6, v8, v7, s0
; %bb.359:                              ;   in Loop: Header=BB417_225 Depth=1
	s_or_b32 exec_lo, exec_lo, s10
	v_and_b32_e32 v38, 0xffff0000, v38
	v_lshlrev_b32_e32 v7, 16, v42
	s_delay_alu instid0(VALU_DEP_1) | instskip(NEXT) | instid1(VALU_DEP_1)
	v_mul_f32_e32 v8, v38, v7
	v_and_b32_e32 v7, 0x7f800000, v8
	s_delay_alu instid0(VALU_DEP_1) | instskip(NEXT) | instid1(VALU_DEP_1)
	v_cmp_ne_u32_e64 s0, 0x7f800000, v7
                                        ; implicit-def: $vgpr7
	s_and_saveexec_b32 s10, s0
	s_delay_alu instid0(SALU_CYCLE_1)
	s_xor_b32 s0, exec_lo, s10
; %bb.360:                              ;   in Loop: Header=BB417_225 Depth=1
	v_bfe_u32 v7, v8, 16, 1
	s_delay_alu instid0(VALU_DEP_1)
	v_add3_u32 v7, v8, v7, 0x7fff
                                        ; implicit-def: $vgpr8
; %bb.361:                              ;   in Loop: Header=BB417_225 Depth=1
	s_and_not1_saveexec_b32 s10, s0
; %bb.362:                              ;   in Loop: Header=BB417_225 Depth=1
	v_and_b32_e32 v7, 0xffff, v8
	v_or_b32_e32 v42, 0x10000, v8
	s_delay_alu instid0(VALU_DEP_2) | instskip(NEXT) | instid1(VALU_DEP_1)
	v_cmp_eq_u32_e64 s0, 0, v7
	v_cndmask_b32_e64 v7, v42, v8, s0
; %bb.363:                              ;   in Loop: Header=BB417_225 Depth=1
	s_or_b32 exec_lo, exec_lo, s10
	v_and_b32_e32 v39, 0xffff0000, v39
	v_lshlrev_b32_e32 v8, 16, v40
	s_delay_alu instid0(VALU_DEP_1) | instskip(NEXT) | instid1(VALU_DEP_1)
	v_mul_f32_e32 v40, v39, v8
	v_and_b32_e32 v8, 0x7f800000, v40
	s_delay_alu instid0(VALU_DEP_1) | instskip(NEXT) | instid1(VALU_DEP_1)
	v_cmp_ne_u32_e64 s0, 0x7f800000, v8
                                        ; implicit-def: $vgpr8
	s_and_saveexec_b32 s10, s0
	s_delay_alu instid0(SALU_CYCLE_1)
	s_xor_b32 s0, exec_lo, s10
; %bb.364:                              ;   in Loop: Header=BB417_225 Depth=1
	v_bfe_u32 v8, v40, 16, 1
	s_delay_alu instid0(VALU_DEP_1)
	v_add3_u32 v8, v40, v8, 0x7fff
                                        ; implicit-def: $vgpr40
; %bb.365:                              ;   in Loop: Header=BB417_225 Depth=1
	s_and_not1_saveexec_b32 s10, s0
; %bb.366:                              ;   in Loop: Header=BB417_225 Depth=1
	v_and_b32_e32 v8, 0xffff, v40
	v_or_b32_e32 v42, 0x10000, v40
	s_delay_alu instid0(VALU_DEP_2) | instskip(NEXT) | instid1(VALU_DEP_1)
	v_cmp_eq_u32_e64 s0, 0, v8
	v_cndmask_b32_e64 v8, v42, v40, s0
; %bb.367:                              ;   in Loop: Header=BB417_225 Depth=1
	s_or_b32 exec_lo, exec_lo, s10
	v_and_b32_e32 v40, 0xffff0000, v25
	v_lshlrev_b32_e32 v25, 16, v41
	s_delay_alu instid0(VALU_DEP_1) | instskip(NEXT) | instid1(VALU_DEP_1)
	v_mul_f32_e32 v41, v40, v25
	v_and_b32_e32 v25, 0x7f800000, v41
	s_delay_alu instid0(VALU_DEP_1) | instskip(NEXT) | instid1(VALU_DEP_1)
	v_cmp_ne_u32_e64 s0, 0x7f800000, v25
                                        ; implicit-def: $vgpr25
	s_and_saveexec_b32 s10, s0
	s_delay_alu instid0(SALU_CYCLE_1)
	s_xor_b32 s0, exec_lo, s10
; %bb.368:                              ;   in Loop: Header=BB417_225 Depth=1
	v_bfe_u32 v25, v41, 16, 1
	s_delay_alu instid0(VALU_DEP_1)
	v_add3_u32 v25, v41, v25, 0x7fff
                                        ; implicit-def: $vgpr41
; %bb.369:                              ;   in Loop: Header=BB417_225 Depth=1
	s_and_not1_saveexec_b32 s10, s0
; %bb.370:                              ;   in Loop: Header=BB417_225 Depth=1
	v_and_b32_e32 v25, 0xffff, v41
	v_or_b32_e32 v42, 0x10000, v41
	s_delay_alu instid0(VALU_DEP_2) | instskip(NEXT) | instid1(VALU_DEP_1)
	v_cmp_eq_u32_e64 s0, 0, v25
	v_cndmask_b32_e64 v25, v42, v41, s0
; %bb.371:                              ;   in Loop: Header=BB417_225 Depth=1
	s_or_b32 exec_lo, exec_lo, s10
	v_and_b32_e32 v41, 0xffff0000, v26
	v_lshlrev_b32_e32 v10, 16, v10
	s_delay_alu instid0(VALU_DEP_1) | instskip(NEXT) | instid1(VALU_DEP_1)
	v_mul_f32_e32 v10, v41, v10
	v_and_b32_e32 v26, 0x7f800000, v10
	s_delay_alu instid0(VALU_DEP_1) | instskip(NEXT) | instid1(VALU_DEP_1)
	v_cmp_ne_u32_e64 s0, 0x7f800000, v26
                                        ; implicit-def: $vgpr26
	s_and_saveexec_b32 s10, s0
	s_delay_alu instid0(SALU_CYCLE_1)
	s_xor_b32 s0, exec_lo, s10
; %bb.372:                              ;   in Loop: Header=BB417_225 Depth=1
	v_bfe_u32 v26, v10, 16, 1
	s_delay_alu instid0(VALU_DEP_1)
	v_add3_u32 v26, v10, v26, 0x7fff
                                        ; implicit-def: $vgpr10
; %bb.373:                              ;   in Loop: Header=BB417_225 Depth=1
	s_and_not1_saveexec_b32 s10, s0
; %bb.374:                              ;   in Loop: Header=BB417_225 Depth=1
	v_and_b32_e32 v26, 0xffff, v10
	v_or_b32_e32 v42, 0x10000, v10
	s_delay_alu instid0(VALU_DEP_2) | instskip(NEXT) | instid1(VALU_DEP_1)
	v_cmp_eq_u32_e64 s0, 0, v26
	v_cndmask_b32_e64 v26, v42, v10, s0
; %bb.375:                              ;   in Loop: Header=BB417_225 Depth=1
	s_or_b32 exec_lo, exec_lo, s10
	v_and_b32_e32 v42, 0xffff0000, v27
	v_lshlrev_b32_e32 v4, 16, v4
                                        ; implicit-def: $vgpr27
	s_delay_alu instid0(VALU_DEP_1) | instskip(NEXT) | instid1(VALU_DEP_1)
	v_mul_f32_e32 v4, v42, v4
	v_and_b32_e32 v10, 0x7f800000, v4
	s_delay_alu instid0(VALU_DEP_1) | instskip(NEXT) | instid1(VALU_DEP_1)
	v_cmp_ne_u32_e64 s0, 0x7f800000, v10
	s_and_saveexec_b32 s10, s0
	s_delay_alu instid0(SALU_CYCLE_1)
	s_xor_b32 s0, exec_lo, s10
; %bb.376:                              ;   in Loop: Header=BB417_225 Depth=1
	v_bfe_u32 v10, v4, 16, 1
	s_delay_alu instid0(VALU_DEP_1)
	v_add3_u32 v27, v4, v10, 0x7fff
                                        ; implicit-def: $vgpr4
; %bb.377:                              ;   in Loop: Header=BB417_225 Depth=1
	s_and_not1_saveexec_b32 s10, s0
; %bb.378:                              ;   in Loop: Header=BB417_225 Depth=1
	v_and_b32_e32 v10, 0xffff, v4
	v_or_b32_e32 v27, 0x10000, v4
	s_delay_alu instid0(VALU_DEP_2) | instskip(NEXT) | instid1(VALU_DEP_1)
	v_cmp_eq_u32_e64 s0, 0, v10
	v_cndmask_b32_e64 v27, v27, v4, s0
; %bb.379:                              ;   in Loop: Header=BB417_225 Depth=1
	s_or_b32 exec_lo, exec_lo, s10
	v_and_b32_e32 v43, 0xffff0000, v33
	v_lshlrev_b32_e32 v3, 16, v3
                                        ; implicit-def: $vgpr33
	s_delay_alu instid0(VALU_DEP_1) | instskip(NEXT) | instid1(VALU_DEP_1)
	v_mul_f32_e32 v3, v43, v3
	v_and_b32_e32 v4, 0x7f800000, v3
	s_delay_alu instid0(VALU_DEP_1) | instskip(NEXT) | instid1(VALU_DEP_1)
	v_cmp_ne_u32_e64 s0, 0x7f800000, v4
	s_and_saveexec_b32 s10, s0
	s_delay_alu instid0(SALU_CYCLE_1)
	s_xor_b32 s0, exec_lo, s10
; %bb.380:                              ;   in Loop: Header=BB417_225 Depth=1
	v_bfe_u32 v4, v3, 16, 1
	s_delay_alu instid0(VALU_DEP_1)
	v_add3_u32 v33, v3, v4, 0x7fff
                                        ; implicit-def: $vgpr3
; %bb.381:                              ;   in Loop: Header=BB417_225 Depth=1
	s_and_not1_saveexec_b32 s10, s0
; %bb.382:                              ;   in Loop: Header=BB417_225 Depth=1
	v_and_b32_e32 v4, 0xffff, v3
	v_or_b32_e32 v10, 0x10000, v3
	s_delay_alu instid0(VALU_DEP_2) | instskip(NEXT) | instid1(VALU_DEP_1)
	v_cmp_eq_u32_e64 s0, 0, v4
	v_cndmask_b32_e64 v33, v10, v3, s0
; %bb.383:                              ;   in Loop: Header=BB417_225 Depth=1
	s_or_b32 exec_lo, exec_lo, s10
	global_load_b64 v[1:2], v[1:2], off offset:256
	s_mov_b32 s10, exec_lo
	s_waitcnt vmcnt(0)
	v_dual_mov_b32 v3, 0 :: v_dual_and_b32 v4, 0xff, v1
	s_delay_alu instid0(VALU_DEP_1)
	v_cmpx_ne_u16_e32 0, v4
	s_cbranch_execz .LBB417_389
; %bb.384:                              ;   in Loop: Header=BB417_225 Depth=1
	v_bfrev_b32_e32 v3, 1
	s_mov_b32 s11, exec_lo
	v_cmpx_ne_u16_e32 0x80, v4
	s_cbranch_execz .LBB417_388
; %bb.385:                              ;   in Loop: Header=BB417_225 Depth=1
	v_and_b32_e32 v4, 0x7f, v1
	v_mov_b32_e32 v3, 0x7f800001
	s_mov_b32 s16, exec_lo
	s_delay_alu instid0(VALU_DEP_2)
	v_cmpx_ne_u32_e32 0x7f, v4
	s_cbranch_execz .LBB417_387
; %bb.386:                              ;   in Loop: Header=BB417_225 Depth=1
	v_and_b32_e32 v3, 7, v1
	v_lshrrev_b32_e32 v10, 3, v4
	v_cmp_gt_u32_e64 s0, 8, v4
	s_delay_alu instid0(VALU_DEP_3) | instskip(NEXT) | instid1(VALU_DEP_1)
	v_clz_i32_u32_e32 v3, v3
	v_min_u32_e32 v3, 32, v3
	s_delay_alu instid0(VALU_DEP_1) | instskip(SKIP_1) | instid1(VALU_DEP_1)
	v_subrev_nc_u32_e32 v44, 28, v3
	v_sub_nc_u32_e32 v3, 29, v3
	v_cndmask_b32_e64 v10, v10, v3, s0
	s_delay_alu instid0(VALU_DEP_3) | instskip(NEXT) | instid1(VALU_DEP_2)
	v_cndmask_b32_e64 v3, 0, v44, s0
	v_lshl_add_u32 v10, v10, 23, 0x3c000000
	s_delay_alu instid0(VALU_DEP_2) | instskip(SKIP_1) | instid1(VALU_DEP_2)
	v_lshlrev_b64 v[3:4], v3, v[1:2]
	v_lshlrev_b32_e32 v4, 24, v1
	v_lshlrev_b32_e32 v3, 20, v3
	s_delay_alu instid0(VALU_DEP_2) | instskip(NEXT) | instid1(VALU_DEP_2)
	v_and_b32_e32 v4, 0x80000000, v4
	v_and_b32_e32 v3, 0x700000, v3
	s_delay_alu instid0(VALU_DEP_1)
	v_or3_b32 v3, v3, v4, v10
.LBB417_387:                            ;   in Loop: Header=BB417_225 Depth=1
	s_or_b32 exec_lo, exec_lo, s16
.LBB417_388:                            ;   in Loop: Header=BB417_225 Depth=1
	s_delay_alu instid0(SALU_CYCLE_1)
	s_or_b32 exec_lo, exec_lo, s11
.LBB417_389:                            ;   in Loop: Header=BB417_225 Depth=1
	s_delay_alu instid0(SALU_CYCLE_1) | instskip(NEXT) | instid1(VALU_DEP_1)
	s_or_b32 exec_lo, exec_lo, s10
	v_mul_f32_e32 v3, s8, v3
                                        ; implicit-def: $vgpr44
	s_delay_alu instid0(VALU_DEP_1) | instskip(NEXT) | instid1(VALU_DEP_1)
	v_and_b32_e32 v4, 0x7f800000, v3
	v_cmp_ne_u32_e64 s0, 0x7f800000, v4
	s_delay_alu instid0(VALU_DEP_1) | instskip(NEXT) | instid1(SALU_CYCLE_1)
	s_and_saveexec_b32 s10, s0
	s_xor_b32 s0, exec_lo, s10
; %bb.390:                              ;   in Loop: Header=BB417_225 Depth=1
	v_bfe_u32 v4, v3, 16, 1
	s_delay_alu instid0(VALU_DEP_1)
	v_add3_u32 v44, v3, v4, 0x7fff
                                        ; implicit-def: $vgpr3
; %bb.391:                              ;   in Loop: Header=BB417_225 Depth=1
	s_and_not1_saveexec_b32 s10, s0
; %bb.392:                              ;   in Loop: Header=BB417_225 Depth=1
	v_and_b32_e32 v4, 0xffff, v3
	v_or_b32_e32 v10, 0x10000, v3
	s_delay_alu instid0(VALU_DEP_2) | instskip(NEXT) | instid1(VALU_DEP_1)
	v_cmp_eq_u32_e64 s0, 0, v4
	v_cndmask_b32_e64 v44, v10, v3, s0
; %bb.393:                              ;   in Loop: Header=BB417_225 Depth=1
	s_or_b32 exec_lo, exec_lo, s10
	v_lshrrev_b16 v4, 8, v1
	v_mov_b32_e32 v3, 0
	s_mov_b32 s10, exec_lo
	s_delay_alu instid0(VALU_DEP_2)
	v_cmpx_ne_u16_e32 0, v4
	s_cbranch_execz .LBB417_401
; %bb.394:                              ;   in Loop: Header=BB417_225 Depth=1
	v_bfrev_b32_e32 v3, 1
	s_mov_b32 s11, exec_lo
	v_cmpx_ne_u16_e32 0x80, v4
	s_cbranch_execz .LBB417_400
; %bb.395:                              ;   in Loop: Header=BB417_225 Depth=1
	v_and_b32_e32 v10, 0xffff, v4
	v_mov_b32_e32 v3, 0x7f800001
	s_mov_b32 s16, exec_lo
	s_delay_alu instid0(VALU_DEP_2) | instskip(NEXT) | instid1(VALU_DEP_1)
	v_and_b32_e32 v4, 0x7f, v10
	v_cmpx_ne_u32_e32 0x7f, v4
	s_cbranch_execz .LBB417_399
; %bb.396:                              ;   in Loop: Header=BB417_225 Depth=1
	v_and_b32_e32 v10, 7, v10
	v_lshrrev_b32_e32 v3, 3, v4
	s_mov_b32 s17, exec_lo
	v_cmpx_gt_u32_e32 8, v4
; %bb.397:                              ;   in Loop: Header=BB417_225 Depth=1
	s_delay_alu instid0(VALU_DEP_3) | instskip(NEXT) | instid1(VALU_DEP_1)
	v_clz_i32_u32_e32 v3, v10
	v_min_u32_e32 v3, 32, v3
	s_delay_alu instid0(VALU_DEP_1) | instskip(SKIP_1) | instid1(VALU_DEP_2)
	v_subrev_nc_u32_e32 v4, 28, v3
	v_sub_nc_u32_e32 v3, 29, v3
	v_lshlrev_b64 v[45:46], v4, v[10:11]
	s_delay_alu instid0(VALU_DEP_1)
	v_and_b32_e32 v10, 7, v45
; %bb.398:                              ;   in Loop: Header=BB417_225 Depth=1
	s_or_b32 exec_lo, exec_lo, s17
	v_lshlrev_b32_e32 v4, 16, v1
	s_delay_alu instid0(VALU_DEP_2) | instskip(SKIP_1) | instid1(VALU_DEP_3)
	v_lshlrev_b32_e32 v10, 20, v10
	v_lshl_add_u32 v3, v3, 23, 0x3c000000
	v_and_b32_e32 v4, 0x80000000, v4
	s_delay_alu instid0(VALU_DEP_1)
	v_or3_b32 v3, v10, v4, v3
.LBB417_399:                            ;   in Loop: Header=BB417_225 Depth=1
	s_or_b32 exec_lo, exec_lo, s16
.LBB417_400:                            ;   in Loop: Header=BB417_225 Depth=1
	s_delay_alu instid0(SALU_CYCLE_1)
	s_or_b32 exec_lo, exec_lo, s11
.LBB417_401:                            ;   in Loop: Header=BB417_225 Depth=1
	s_delay_alu instid0(SALU_CYCLE_1) | instskip(NEXT) | instid1(VALU_DEP_1)
	s_or_b32 exec_lo, exec_lo, s10
	v_mul_f32_e32 v3, s8, v3
                                        ; implicit-def: $vgpr45
	s_delay_alu instid0(VALU_DEP_1) | instskip(NEXT) | instid1(VALU_DEP_1)
	v_and_b32_e32 v4, 0x7f800000, v3
	v_cmp_ne_u32_e64 s0, 0x7f800000, v4
	s_delay_alu instid0(VALU_DEP_1) | instskip(NEXT) | instid1(SALU_CYCLE_1)
	s_and_saveexec_b32 s10, s0
	s_xor_b32 s0, exec_lo, s10
; %bb.402:                              ;   in Loop: Header=BB417_225 Depth=1
	v_bfe_u32 v4, v3, 16, 1
	s_delay_alu instid0(VALU_DEP_1)
	v_add3_u32 v45, v3, v4, 0x7fff
                                        ; implicit-def: $vgpr3
; %bb.403:                              ;   in Loop: Header=BB417_225 Depth=1
	s_and_not1_saveexec_b32 s10, s0
; %bb.404:                              ;   in Loop: Header=BB417_225 Depth=1
	v_and_b32_e32 v4, 0xffff, v3
	v_or_b32_e32 v10, 0x10000, v3
	s_delay_alu instid0(VALU_DEP_2) | instskip(NEXT) | instid1(VALU_DEP_1)
	v_cmp_eq_u32_e64 s0, 0, v4
	v_cndmask_b32_e64 v45, v10, v3, s0
; %bb.405:                              ;   in Loop: Header=BB417_225 Depth=1
	s_or_b32 exec_lo, exec_lo, s10
	v_lshrrev_b32_e32 v3, 16, v1
	v_mov_b32_e32 v4, 0
	s_mov_b32 s10, exec_lo
	s_delay_alu instid0(VALU_DEP_2) | instskip(NEXT) | instid1(VALU_DEP_1)
	v_and_b32_e32 v10, 0xff, v3
	v_cmpx_ne_u16_e32 0, v10
	s_cbranch_execz .LBB417_413
; %bb.406:                              ;   in Loop: Header=BB417_225 Depth=1
	v_bfrev_b32_e32 v4, 1
	s_mov_b32 s11, exec_lo
	v_cmpx_ne_u16_e32 0x80, v10
	s_cbranch_execz .LBB417_412
; %bb.407:                              ;   in Loop: Header=BB417_225 Depth=1
	v_bfe_u32 v46, v1, 16, 7
	v_mov_b32_e32 v4, 0x7f800001
	s_mov_b32 s16, exec_lo
	s_delay_alu instid0(VALU_DEP_2)
	v_cmpx_ne_u32_e32 0x7f, v46
	s_cbranch_execz .LBB417_411
; %bb.408:                              ;   in Loop: Header=BB417_225 Depth=1
	v_and_b32_e32 v10, 7, v3
	v_lshrrev_b32_e32 v4, 3, v46
	s_mov_b32 s17, exec_lo
	v_cmpx_gt_u32_e32 8, v46
; %bb.409:                              ;   in Loop: Header=BB417_225 Depth=1
	s_delay_alu instid0(VALU_DEP_3) | instskip(NEXT) | instid1(VALU_DEP_1)
	v_clz_i32_u32_e32 v4, v10
	v_min_u32_e32 v4, 32, v4
	s_delay_alu instid0(VALU_DEP_1) | instskip(SKIP_1) | instid1(VALU_DEP_2)
	v_subrev_nc_u32_e32 v46, 28, v4
	v_sub_nc_u32_e32 v4, 29, v4
	v_lshlrev_b64 v[46:47], v46, v[10:11]
	s_delay_alu instid0(VALU_DEP_1)
	v_and_b32_e32 v10, 7, v46
; %bb.410:                              ;   in Loop: Header=BB417_225 Depth=1
	s_or_b32 exec_lo, exec_lo, s17
	v_lshlrev_b32_e32 v3, 24, v3
	s_delay_alu instid0(VALU_DEP_2) | instskip(SKIP_1) | instid1(VALU_DEP_3)
	v_lshlrev_b32_e32 v10, 20, v10
	v_lshl_add_u32 v4, v4, 23, 0x3c000000
	v_and_b32_e32 v3, 0x80000000, v3
	s_delay_alu instid0(VALU_DEP_1)
	v_or3_b32 v4, v10, v3, v4
.LBB417_411:                            ;   in Loop: Header=BB417_225 Depth=1
	s_or_b32 exec_lo, exec_lo, s16
.LBB417_412:                            ;   in Loop: Header=BB417_225 Depth=1
	s_delay_alu instid0(SALU_CYCLE_1)
	s_or_b32 exec_lo, exec_lo, s11
.LBB417_413:                            ;   in Loop: Header=BB417_225 Depth=1
	s_delay_alu instid0(SALU_CYCLE_1) | instskip(NEXT) | instid1(VALU_DEP_1)
	s_or_b32 exec_lo, exec_lo, s10
	v_mul_f32_e32 v3, s8, v4
                                        ; implicit-def: $vgpr46
	s_delay_alu instid0(VALU_DEP_1) | instskip(NEXT) | instid1(VALU_DEP_1)
	v_and_b32_e32 v4, 0x7f800000, v3
	v_cmp_ne_u32_e64 s0, 0x7f800000, v4
	s_delay_alu instid0(VALU_DEP_1) | instskip(NEXT) | instid1(SALU_CYCLE_1)
	s_and_saveexec_b32 s10, s0
	s_xor_b32 s0, exec_lo, s10
; %bb.414:                              ;   in Loop: Header=BB417_225 Depth=1
	v_bfe_u32 v4, v3, 16, 1
	s_delay_alu instid0(VALU_DEP_1)
	v_add3_u32 v46, v3, v4, 0x7fff
                                        ; implicit-def: $vgpr3
; %bb.415:                              ;   in Loop: Header=BB417_225 Depth=1
	s_and_not1_saveexec_b32 s10, s0
; %bb.416:                              ;   in Loop: Header=BB417_225 Depth=1
	v_and_b32_e32 v4, 0xffff, v3
	v_or_b32_e32 v10, 0x10000, v3
	s_delay_alu instid0(VALU_DEP_2) | instskip(NEXT) | instid1(VALU_DEP_1)
	v_cmp_eq_u32_e64 s0, 0, v4
	v_cndmask_b32_e64 v46, v10, v3, s0
; %bb.417:                              ;   in Loop: Header=BB417_225 Depth=1
	s_or_b32 exec_lo, exec_lo, s10
	v_mov_b32_e32 v4, 0
	s_mov_b32 s10, exec_lo
	v_cmpx_lt_u32_e32 0xffffff, v1
	s_cbranch_execz .LBB417_425
; %bb.418:                              ;   in Loop: Header=BB417_225 Depth=1
	v_lshrrev_b32_e32 v3, 24, v1
	v_bfrev_b32_e32 v4, 1
	s_mov_b32 s11, exec_lo
	s_delay_alu instid0(VALU_DEP_2)
	v_cmpx_ne_u32_e32 0x80, v3
	s_cbranch_execz .LBB417_424
; %bb.419:                              ;   in Loop: Header=BB417_225 Depth=1
	v_bfe_u32 v47, v1, 24, 7
	v_mov_b32_e32 v4, 0x7f800001
	s_mov_b32 s16, exec_lo
	s_delay_alu instid0(VALU_DEP_2)
	v_cmpx_ne_u32_e32 0x7f, v47
	s_cbranch_execz .LBB417_423
; %bb.420:                              ;   in Loop: Header=BB417_225 Depth=1
	v_and_b32_e32 v10, 7, v3
	v_lshrrev_b32_e32 v4, 3, v47
	s_mov_b32 s17, exec_lo
	v_cmpx_gt_u32_e32 8, v47
; %bb.421:                              ;   in Loop: Header=BB417_225 Depth=1
	s_delay_alu instid0(VALU_DEP_3) | instskip(NEXT) | instid1(VALU_DEP_1)
	v_clz_i32_u32_e32 v4, v10
	v_min_u32_e32 v4, 32, v4
	s_delay_alu instid0(VALU_DEP_1) | instskip(SKIP_1) | instid1(VALU_DEP_2)
	v_subrev_nc_u32_e32 v47, 28, v4
	v_sub_nc_u32_e32 v4, 29, v4
	v_lshlrev_b64 v[47:48], v47, v[10:11]
	s_delay_alu instid0(VALU_DEP_1)
	v_and_b32_e32 v10, 7, v47
; %bb.422:                              ;   in Loop: Header=BB417_225 Depth=1
	s_or_b32 exec_lo, exec_lo, s17
	v_lshlrev_b32_e32 v3, 24, v3
	s_delay_alu instid0(VALU_DEP_2) | instskip(SKIP_1) | instid1(VALU_DEP_3)
	v_lshlrev_b32_e32 v10, 20, v10
	v_lshl_add_u32 v4, v4, 23, 0x3c000000
	v_and_b32_e32 v3, 0x80000000, v3
	s_delay_alu instid0(VALU_DEP_1)
	v_or3_b32 v4, v10, v3, v4
.LBB417_423:                            ;   in Loop: Header=BB417_225 Depth=1
	s_or_b32 exec_lo, exec_lo, s16
.LBB417_424:                            ;   in Loop: Header=BB417_225 Depth=1
	s_delay_alu instid0(SALU_CYCLE_1)
	s_or_b32 exec_lo, exec_lo, s11
.LBB417_425:                            ;   in Loop: Header=BB417_225 Depth=1
	s_delay_alu instid0(SALU_CYCLE_1) | instskip(NEXT) | instid1(VALU_DEP_1)
	s_or_b32 exec_lo, exec_lo, s10
	v_mul_f32_e32 v3, s8, v4
                                        ; implicit-def: $vgpr47
	s_delay_alu instid0(VALU_DEP_1) | instskip(NEXT) | instid1(VALU_DEP_1)
	v_and_b32_e32 v4, 0x7f800000, v3
	v_cmp_ne_u32_e64 s0, 0x7f800000, v4
	s_delay_alu instid0(VALU_DEP_1) | instskip(NEXT) | instid1(SALU_CYCLE_1)
	s_and_saveexec_b32 s10, s0
	s_xor_b32 s0, exec_lo, s10
; %bb.426:                              ;   in Loop: Header=BB417_225 Depth=1
	v_bfe_u32 v4, v3, 16, 1
	s_delay_alu instid0(VALU_DEP_1)
	v_add3_u32 v47, v3, v4, 0x7fff
                                        ; implicit-def: $vgpr3
; %bb.427:                              ;   in Loop: Header=BB417_225 Depth=1
	s_and_not1_saveexec_b32 s10, s0
; %bb.428:                              ;   in Loop: Header=BB417_225 Depth=1
	v_and_b32_e32 v4, 0xffff, v3
	v_or_b32_e32 v10, 0x10000, v3
	s_delay_alu instid0(VALU_DEP_2) | instskip(NEXT) | instid1(VALU_DEP_1)
	v_cmp_eq_u32_e64 s0, 0, v4
	v_cndmask_b32_e64 v47, v10, v3, s0
; %bb.429:                              ;   in Loop: Header=BB417_225 Depth=1
	s_or_b32 exec_lo, exec_lo, s10
	v_dual_mov_b32 v3, 0 :: v_dual_and_b32 v4, 0xff, v2
	v_mov_b32_e32 v10, v2
	s_mov_b32 s10, exec_lo
	s_delay_alu instid0(VALU_DEP_2)
	v_cmpx_ne_u16_e32 0, v4
	s_cbranch_execz .LBB417_435
; %bb.430:                              ;   in Loop: Header=BB417_225 Depth=1
	v_bfrev_b32_e32 v3, 1
	s_mov_b32 s11, exec_lo
	v_cmpx_ne_u16_e32 0x80, v4
	s_cbranch_execz .LBB417_434
; %bb.431:                              ;   in Loop: Header=BB417_225 Depth=1
	v_and_b32_e32 v4, 0x7f, v2
	v_mov_b32_e32 v3, 0x7f800001
	s_mov_b32 s16, exec_lo
	s_delay_alu instid0(VALU_DEP_2)
	v_cmpx_ne_u32_e32 0x7f, v4
	s_cbranch_execz .LBB417_433
; %bb.432:                              ;   in Loop: Header=BB417_225 Depth=1
	v_and_b32_e32 v3, 7, v2
	v_lshrrev_b32_e32 v48, 3, v4
	v_cmp_gt_u32_e64 s0, 8, v4
	s_delay_alu instid0(VALU_DEP_3) | instskip(NEXT) | instid1(VALU_DEP_1)
	v_clz_i32_u32_e32 v3, v3
	v_min_u32_e32 v3, 32, v3
	s_delay_alu instid0(VALU_DEP_1) | instskip(SKIP_1) | instid1(VALU_DEP_1)
	v_subrev_nc_u32_e32 v49, 28, v3
	v_sub_nc_u32_e32 v3, 29, v3
	v_cndmask_b32_e64 v48, v48, v3, s0
	s_delay_alu instid0(VALU_DEP_3) | instskip(NEXT) | instid1(VALU_DEP_2)
	v_cndmask_b32_e64 v3, 0, v49, s0
	v_lshl_add_u32 v48, v48, 23, 0x3c000000
	s_delay_alu instid0(VALU_DEP_2) | instskip(SKIP_1) | instid1(VALU_DEP_2)
	v_lshlrev_b64 v[3:4], v3, v[10:11]
	v_lshlrev_b32_e32 v4, 24, v10
	v_lshlrev_b32_e32 v3, 20, v3
	s_delay_alu instid0(VALU_DEP_2) | instskip(NEXT) | instid1(VALU_DEP_2)
	v_and_b32_e32 v4, 0x80000000, v4
	v_and_b32_e32 v3, 0x700000, v3
	s_delay_alu instid0(VALU_DEP_1)
	v_or3_b32 v3, v3, v4, v48
.LBB417_433:                            ;   in Loop: Header=BB417_225 Depth=1
	s_or_b32 exec_lo, exec_lo, s16
.LBB417_434:                            ;   in Loop: Header=BB417_225 Depth=1
	s_delay_alu instid0(SALU_CYCLE_1)
	s_or_b32 exec_lo, exec_lo, s11
.LBB417_435:                            ;   in Loop: Header=BB417_225 Depth=1
	s_delay_alu instid0(SALU_CYCLE_1) | instskip(NEXT) | instid1(VALU_DEP_1)
	s_or_b32 exec_lo, exec_lo, s10
	v_mul_f32_e32 v3, s8, v3
                                        ; implicit-def: $vgpr48
	s_delay_alu instid0(VALU_DEP_1) | instskip(NEXT) | instid1(VALU_DEP_1)
	v_and_b32_e32 v4, 0x7f800000, v3
	v_cmp_ne_u32_e64 s0, 0x7f800000, v4
	s_delay_alu instid0(VALU_DEP_1) | instskip(NEXT) | instid1(SALU_CYCLE_1)
	s_and_saveexec_b32 s10, s0
	s_xor_b32 s0, exec_lo, s10
; %bb.436:                              ;   in Loop: Header=BB417_225 Depth=1
	v_bfe_u32 v4, v3, 16, 1
	s_delay_alu instid0(VALU_DEP_1)
	v_add3_u32 v48, v3, v4, 0x7fff
                                        ; implicit-def: $vgpr3
; %bb.437:                              ;   in Loop: Header=BB417_225 Depth=1
	s_and_not1_saveexec_b32 s10, s0
; %bb.438:                              ;   in Loop: Header=BB417_225 Depth=1
	v_and_b32_e32 v4, 0xffff, v3
	v_or_b32_e32 v48, 0x10000, v3
	s_delay_alu instid0(VALU_DEP_2) | instskip(NEXT) | instid1(VALU_DEP_1)
	v_cmp_eq_u32_e64 s0, 0, v4
	v_cndmask_b32_e64 v48, v48, v3, s0
; %bb.439:                              ;   in Loop: Header=BB417_225 Depth=1
	s_or_b32 exec_lo, exec_lo, s10
	v_lshrrev_b16 v4, 8, v10
	v_mov_b32_e32 v3, 0
	s_mov_b32 s10, exec_lo
	s_delay_alu instid0(VALU_DEP_2)
	v_cmpx_ne_u16_e32 0, v4
	s_cbranch_execz .LBB417_447
; %bb.440:                              ;   in Loop: Header=BB417_225 Depth=1
	v_bfrev_b32_e32 v3, 1
	s_mov_b32 s11, exec_lo
	v_cmpx_ne_u16_e32 0x80, v4
	s_cbranch_execz .LBB417_446
; %bb.441:                              ;   in Loop: Header=BB417_225 Depth=1
	v_and_b32_e32 v4, 0xffff, v4
	v_mov_b32_e32 v3, 0x7f800001
	s_mov_b32 s16, exec_lo
	s_delay_alu instid0(VALU_DEP_2) | instskip(NEXT) | instid1(VALU_DEP_1)
	v_and_b32_e32 v50, 0x7f, v4
	v_cmpx_ne_u32_e32 0x7f, v50
	s_cbranch_execz .LBB417_445
; %bb.442:                              ;   in Loop: Header=BB417_225 Depth=1
	v_dual_mov_b32 v4, v11 :: v_dual_and_b32 v3, 7, v4
	v_lshrrev_b32_e32 v49, 3, v50
	s_mov_b32 s17, exec_lo
	v_cmpx_gt_u32_e32 8, v50
; %bb.443:                              ;   in Loop: Header=BB417_225 Depth=1
	s_delay_alu instid0(VALU_DEP_3) | instskip(NEXT) | instid1(VALU_DEP_1)
	v_clz_i32_u32_e32 v49, v3
	v_min_u32_e32 v49, 32, v49
	s_delay_alu instid0(VALU_DEP_1) | instskip(SKIP_1) | instid1(VALU_DEP_2)
	v_subrev_nc_u32_e32 v50, 28, v49
	v_sub_nc_u32_e32 v49, 29, v49
	v_lshlrev_b64 v[3:4], v50, v[3:4]
	s_delay_alu instid0(VALU_DEP_1)
	v_and_b32_e32 v3, 7, v3
; %bb.444:                              ;   in Loop: Header=BB417_225 Depth=1
	s_or_b32 exec_lo, exec_lo, s17
	v_lshlrev_b32_e32 v4, 16, v10
	s_delay_alu instid0(VALU_DEP_2) | instskip(SKIP_1) | instid1(VALU_DEP_3)
	v_lshlrev_b32_e32 v3, 20, v3
	v_lshl_add_u32 v10, v49, 23, 0x3c000000
	v_and_b32_e32 v4, 0x80000000, v4
	s_delay_alu instid0(VALU_DEP_1)
	v_or3_b32 v3, v3, v4, v10
.LBB417_445:                            ;   in Loop: Header=BB417_225 Depth=1
	s_or_b32 exec_lo, exec_lo, s16
.LBB417_446:                            ;   in Loop: Header=BB417_225 Depth=1
	s_delay_alu instid0(SALU_CYCLE_1)
	s_or_b32 exec_lo, exec_lo, s11
.LBB417_447:                            ;   in Loop: Header=BB417_225 Depth=1
	s_delay_alu instid0(SALU_CYCLE_1) | instskip(NEXT) | instid1(VALU_DEP_1)
	s_or_b32 exec_lo, exec_lo, s10
	v_mul_f32_e32 v4, s8, v3
	s_delay_alu instid0(VALU_DEP_1) | instskip(NEXT) | instid1(VALU_DEP_1)
	v_and_b32_e32 v3, 0x7f800000, v4
	v_cmp_ne_u32_e64 s0, 0x7f800000, v3
                                        ; implicit-def: $vgpr3
	s_delay_alu instid0(VALU_DEP_1) | instskip(NEXT) | instid1(SALU_CYCLE_1)
	s_and_saveexec_b32 s10, s0
	s_xor_b32 s0, exec_lo, s10
; %bb.448:                              ;   in Loop: Header=BB417_225 Depth=1
	v_bfe_u32 v3, v4, 16, 1
	s_delay_alu instid0(VALU_DEP_1)
	v_add3_u32 v3, v4, v3, 0x7fff
                                        ; implicit-def: $vgpr4
; %bb.449:                              ;   in Loop: Header=BB417_225 Depth=1
	s_and_not1_saveexec_b32 s10, s0
; %bb.450:                              ;   in Loop: Header=BB417_225 Depth=1
	v_and_b32_e32 v3, 0xffff, v4
	v_or_b32_e32 v10, 0x10000, v4
	s_delay_alu instid0(VALU_DEP_2) | instskip(NEXT) | instid1(VALU_DEP_1)
	v_cmp_eq_u32_e64 s0, 0, v3
	v_cndmask_b32_e64 v3, v10, v4, s0
; %bb.451:                              ;   in Loop: Header=BB417_225 Depth=1
	s_or_b32 exec_lo, exec_lo, s10
	v_lshrrev_b32_e32 v4, 16, v2
	s_mov_b32 s10, exec_lo
	s_delay_alu instid0(VALU_DEP_1) | instskip(NEXT) | instid1(VALU_DEP_1)
	v_dual_mov_b32 v10, 0 :: v_dual_and_b32 v49, 0xff, v4
	v_cmpx_ne_u16_e32 0, v49
	s_cbranch_execz .LBB417_459
; %bb.452:                              ;   in Loop: Header=BB417_225 Depth=1
	v_bfrev_b32_e32 v10, 1
	s_mov_b32 s11, exec_lo
	v_cmpx_ne_u16_e32 0x80, v49
	s_cbranch_execz .LBB417_458
; %bb.453:                              ;   in Loop: Header=BB417_225 Depth=1
	v_bfe_u32 v50, v2, 16, 7
	v_mov_b32_e32 v10, 0x7f800001
	s_mov_b32 s16, exec_lo
	s_delay_alu instid0(VALU_DEP_2)
	v_cmpx_ne_u32_e32 0x7f, v50
	s_cbranch_execz .LBB417_457
; %bb.454:                              ;   in Loop: Header=BB417_225 Depth=1
	v_and_b32_e32 v10, 7, v4
	v_lshrrev_b32_e32 v49, 3, v50
	s_mov_b32 s17, exec_lo
	v_cmpx_gt_u32_e32 8, v50
; %bb.455:                              ;   in Loop: Header=BB417_225 Depth=1
	s_delay_alu instid0(VALU_DEP_3) | instskip(NEXT) | instid1(VALU_DEP_1)
	v_clz_i32_u32_e32 v49, v10
	v_min_u32_e32 v49, 32, v49
	s_delay_alu instid0(VALU_DEP_1) | instskip(SKIP_1) | instid1(VALU_DEP_2)
	v_subrev_nc_u32_e32 v50, 28, v49
	v_sub_nc_u32_e32 v49, 29, v49
	v_lshlrev_b64 v[50:51], v50, v[10:11]
	s_delay_alu instid0(VALU_DEP_1)
	v_and_b32_e32 v10, 7, v50
; %bb.456:                              ;   in Loop: Header=BB417_225 Depth=1
	s_or_b32 exec_lo, exec_lo, s17
	v_lshlrev_b32_e32 v4, 24, v4
	s_delay_alu instid0(VALU_DEP_2) | instskip(SKIP_1) | instid1(VALU_DEP_3)
	v_lshlrev_b32_e32 v10, 20, v10
	v_lshl_add_u32 v49, v49, 23, 0x3c000000
	v_and_b32_e32 v4, 0x80000000, v4
	s_delay_alu instid0(VALU_DEP_1)
	v_or3_b32 v10, v10, v4, v49
.LBB417_457:                            ;   in Loop: Header=BB417_225 Depth=1
	s_or_b32 exec_lo, exec_lo, s16
.LBB417_458:                            ;   in Loop: Header=BB417_225 Depth=1
	s_delay_alu instid0(SALU_CYCLE_1)
	s_or_b32 exec_lo, exec_lo, s11
.LBB417_459:                            ;   in Loop: Header=BB417_225 Depth=1
	s_delay_alu instid0(SALU_CYCLE_1) | instskip(NEXT) | instid1(VALU_DEP_1)
	s_or_b32 exec_lo, exec_lo, s10
	v_mul_f32_e32 v10, s8, v10
	s_delay_alu instid0(VALU_DEP_1) | instskip(NEXT) | instid1(VALU_DEP_1)
	v_and_b32_e32 v4, 0x7f800000, v10
	v_cmp_ne_u32_e64 s0, 0x7f800000, v4
                                        ; implicit-def: $vgpr4
	s_delay_alu instid0(VALU_DEP_1) | instskip(NEXT) | instid1(SALU_CYCLE_1)
	s_and_saveexec_b32 s10, s0
	s_xor_b32 s0, exec_lo, s10
; %bb.460:                              ;   in Loop: Header=BB417_225 Depth=1
	v_bfe_u32 v4, v10, 16, 1
	s_delay_alu instid0(VALU_DEP_1)
	v_add3_u32 v4, v10, v4, 0x7fff
                                        ; implicit-def: $vgpr10
; %bb.461:                              ;   in Loop: Header=BB417_225 Depth=1
	s_and_not1_saveexec_b32 s10, s0
; %bb.462:                              ;   in Loop: Header=BB417_225 Depth=1
	v_and_b32_e32 v4, 0xffff, v10
	v_or_b32_e32 v49, 0x10000, v10
	s_delay_alu instid0(VALU_DEP_2) | instskip(NEXT) | instid1(VALU_DEP_1)
	v_cmp_eq_u32_e64 s0, 0, v4
	v_cndmask_b32_e64 v4, v49, v10, s0
; %bb.463:                              ;   in Loop: Header=BB417_225 Depth=1
	s_or_b32 exec_lo, exec_lo, s10
	v_mov_b32_e32 v10, 0
	s_mov_b32 s10, exec_lo
	v_cmpx_lt_u64_e64 s[2:3], v[1:2]
	s_cbranch_execz .LBB417_471
; %bb.464:                              ;   in Loop: Header=BB417_225 Depth=1
	v_lshrrev_b32_e32 v1, 24, v2
	v_bfrev_b32_e32 v10, 1
	s_mov_b32 s11, exec_lo
	s_delay_alu instid0(VALU_DEP_2)
	v_cmpx_ne_u32_e32 0x80, v1
	s_cbranch_execz .LBB417_470
; %bb.465:                              ;   in Loop: Header=BB417_225 Depth=1
	v_bfe_u32 v49, v2, 24, 7
	v_mov_b32_e32 v10, 0x7f800001
	s_mov_b32 s16, exec_lo
	s_delay_alu instid0(VALU_DEP_2)
	v_cmpx_ne_u32_e32 0x7f, v49
	s_cbranch_execz .LBB417_469
; %bb.466:                              ;   in Loop: Header=BB417_225 Depth=1
	v_and_b32_e32 v10, 7, v1
	v_lshrrev_b32_e32 v2, 3, v49
	s_mov_b32 s17, exec_lo
	v_cmpx_gt_u32_e32 8, v49
; %bb.467:                              ;   in Loop: Header=BB417_225 Depth=1
	s_delay_alu instid0(VALU_DEP_3) | instskip(NEXT) | instid1(VALU_DEP_1)
	v_clz_i32_u32_e32 v2, v10
	v_min_u32_e32 v2, 32, v2
	s_delay_alu instid0(VALU_DEP_1) | instskip(SKIP_1) | instid1(VALU_DEP_2)
	v_subrev_nc_u32_e32 v49, 28, v2
	v_sub_nc_u32_e32 v2, 29, v2
	v_lshlrev_b64 v[49:50], v49, v[10:11]
	s_delay_alu instid0(VALU_DEP_1)
	v_and_b32_e32 v10, 7, v49
; %bb.468:                              ;   in Loop: Header=BB417_225 Depth=1
	s_or_b32 exec_lo, exec_lo, s17
	v_lshlrev_b32_e32 v1, 24, v1
	s_delay_alu instid0(VALU_DEP_2) | instskip(SKIP_1) | instid1(VALU_DEP_3)
	v_lshlrev_b32_e32 v10, 20, v10
	v_lshl_add_u32 v2, v2, 23, 0x3c000000
	v_and_b32_e32 v1, 0x80000000, v1
	s_delay_alu instid0(VALU_DEP_1)
	v_or3_b32 v10, v10, v1, v2
.LBB417_469:                            ;   in Loop: Header=BB417_225 Depth=1
	s_or_b32 exec_lo, exec_lo, s16
.LBB417_470:                            ;   in Loop: Header=BB417_225 Depth=1
	s_delay_alu instid0(SALU_CYCLE_1)
	s_or_b32 exec_lo, exec_lo, s11
.LBB417_471:                            ;   in Loop: Header=BB417_225 Depth=1
	s_delay_alu instid0(SALU_CYCLE_1) | instskip(NEXT) | instid1(VALU_DEP_1)
	s_or_b32 exec_lo, exec_lo, s10
	v_mul_f32_e32 v2, s8, v10
	s_delay_alu instid0(VALU_DEP_1) | instskip(NEXT) | instid1(VALU_DEP_1)
	v_and_b32_e32 v1, 0x7f800000, v2
	v_cmp_ne_u32_e64 s0, 0x7f800000, v1
                                        ; implicit-def: $vgpr1
	s_delay_alu instid0(VALU_DEP_1) | instskip(NEXT) | instid1(SALU_CYCLE_1)
	s_and_saveexec_b32 s10, s0
	s_xor_b32 s0, exec_lo, s10
; %bb.472:                              ;   in Loop: Header=BB417_225 Depth=1
	v_bfe_u32 v1, v2, 16, 1
	s_delay_alu instid0(VALU_DEP_1)
	v_add3_u32 v1, v2, v1, 0x7fff
                                        ; implicit-def: $vgpr2
; %bb.473:                              ;   in Loop: Header=BB417_225 Depth=1
	s_and_not1_saveexec_b32 s10, s0
; %bb.474:                              ;   in Loop: Header=BB417_225 Depth=1
	v_and_b32_e32 v1, 0xffff, v2
	v_or_b32_e32 v10, 0x10000, v2
	s_delay_alu instid0(VALU_DEP_2) | instskip(NEXT) | instid1(VALU_DEP_1)
	v_cmp_eq_u32_e64 s0, 0, v1
	v_cndmask_b32_e64 v1, v10, v2, s0
; %bb.475:                              ;   in Loop: Header=BB417_225 Depth=1
	s_or_b32 exec_lo, exec_lo, s10
	v_lshrrev_b32_e32 v10, 16, v3
	v_lshrrev_b32_e32 v48, 16, v48
	;; [unrolled: 1-line block ×8, first 2 shown]
	s_and_saveexec_b32 s0, vcc_lo
	s_cbranch_execz .LBB417_477
; %bb.476:                              ;   in Loop: Header=BB417_225 Depth=1
	v_cmp_gt_i32_e32 vcc_lo, s33, v28
	v_cndmask_b32_e32 v2, 0, v2, vcc_lo
	v_cmp_gt_i32_e32 vcc_lo, s33, v35
	v_cndmask_b32_e32 v45, 0, v45, vcc_lo
	;; [unrolled: 2-line block ×8, first 2 shown]
.LBB417_477:                            ;   in Loop: Header=BB417_225 Depth=1
	s_or_b32 exec_lo, exec_lo, s0
	v_lshlrev_b32_e32 v2, 16, v2
	s_delay_alu instid0(VALU_DEP_1) | instskip(NEXT) | instid1(VALU_DEP_1)
	v_mul_f32_e32 v4, v36, v2
	v_and_b32_e32 v2, 0x7f800000, v4
	s_delay_alu instid0(VALU_DEP_1) | instskip(SKIP_1) | instid1(SALU_CYCLE_1)
	v_cmp_ne_u32_e32 vcc_lo, 0x7f800000, v2
                                        ; implicit-def: $vgpr2
	s_and_saveexec_b32 s0, vcc_lo
	s_xor_b32 s0, exec_lo, s0
; %bb.478:                              ;   in Loop: Header=BB417_225 Depth=1
	v_bfe_u32 v2, v4, 16, 1
	s_delay_alu instid0(VALU_DEP_1)
	v_add3_u32 v2, v4, v2, 0x7fff
                                        ; implicit-def: $vgpr4
; %bb.479:                              ;   in Loop: Header=BB417_225 Depth=1
	s_and_not1_saveexec_b32 s0, s0
; %bb.480:                              ;   in Loop: Header=BB417_225 Depth=1
	v_and_b32_e32 v2, 0xffff, v4
	v_or_b32_e32 v28, 0x10000, v4
	s_delay_alu instid0(VALU_DEP_2) | instskip(NEXT) | instid1(VALU_DEP_2)
	v_cmp_eq_u32_e32 vcc_lo, 0, v2
	v_cndmask_b32_e32 v2, v28, v4, vcc_lo
; %bb.481:                              ;   in Loop: Header=BB417_225 Depth=1
	s_or_b32 exec_lo, exec_lo, s0
	v_lshlrev_b32_e32 v4, 16, v45
	s_delay_alu instid0(VALU_DEP_1) | instskip(NEXT) | instid1(VALU_DEP_1)
	v_mul_f32_e32 v28, v37, v4
	v_and_b32_e32 v4, 0x7f800000, v28
	s_delay_alu instid0(VALU_DEP_1) | instskip(SKIP_1) | instid1(SALU_CYCLE_1)
	v_cmp_ne_u32_e32 vcc_lo, 0x7f800000, v4
                                        ; implicit-def: $vgpr4
	s_and_saveexec_b32 s0, vcc_lo
	s_xor_b32 s0, exec_lo, s0
; %bb.482:                              ;   in Loop: Header=BB417_225 Depth=1
	v_bfe_u32 v4, v28, 16, 1
	s_delay_alu instid0(VALU_DEP_1)
	v_add3_u32 v4, v28, v4, 0x7fff
                                        ; implicit-def: $vgpr28
; %bb.483:                              ;   in Loop: Header=BB417_225 Depth=1
	s_and_not1_saveexec_b32 s0, s0
; %bb.484:                              ;   in Loop: Header=BB417_225 Depth=1
	v_and_b32_e32 v4, 0xffff, v28
	v_or_b32_e32 v29, 0x10000, v28
	s_delay_alu instid0(VALU_DEP_2) | instskip(NEXT) | instid1(VALU_DEP_2)
	v_cmp_eq_u32_e32 vcc_lo, 0, v4
	v_cndmask_b32_e32 v4, v29, v28, vcc_lo
; %bb.485:                              ;   in Loop: Header=BB417_225 Depth=1
	s_or_b32 exec_lo, exec_lo, s0
	v_lshlrev_b32_e32 v28, 16, v46
	s_delay_alu instid0(VALU_DEP_1) | instskip(NEXT) | instid1(VALU_DEP_1)
	v_mul_f32_e32 v29, v38, v28
	v_and_b32_e32 v28, 0x7f800000, v29
	s_delay_alu instid0(VALU_DEP_1) | instskip(SKIP_1) | instid1(SALU_CYCLE_1)
	v_cmp_ne_u32_e32 vcc_lo, 0x7f800000, v28
                                        ; implicit-def: $vgpr28
	s_and_saveexec_b32 s0, vcc_lo
	s_xor_b32 s0, exec_lo, s0
; %bb.486:                              ;   in Loop: Header=BB417_225 Depth=1
	v_bfe_u32 v28, v29, 16, 1
	s_delay_alu instid0(VALU_DEP_1)
	v_add3_u32 v28, v29, v28, 0x7fff
                                        ; implicit-def: $vgpr29
; %bb.487:                              ;   in Loop: Header=BB417_225 Depth=1
	s_and_not1_saveexec_b32 s0, s0
; %bb.488:                              ;   in Loop: Header=BB417_225 Depth=1
	v_and_b32_e32 v28, 0xffff, v29
	v_or_b32_e32 v30, 0x10000, v29
	s_delay_alu instid0(VALU_DEP_2) | instskip(NEXT) | instid1(VALU_DEP_2)
	v_cmp_eq_u32_e32 vcc_lo, 0, v28
	v_cndmask_b32_e32 v28, v30, v29, vcc_lo
; %bb.489:                              ;   in Loop: Header=BB417_225 Depth=1
	s_or_b32 exec_lo, exec_lo, s0
	v_lshlrev_b32_e32 v29, 16, v47
	s_delay_alu instid0(VALU_DEP_1) | instskip(NEXT) | instid1(VALU_DEP_1)
	v_mul_f32_e32 v30, v39, v29
	v_and_b32_e32 v29, 0x7f800000, v30
	s_delay_alu instid0(VALU_DEP_1) | instskip(SKIP_1) | instid1(SALU_CYCLE_1)
	v_cmp_ne_u32_e32 vcc_lo, 0x7f800000, v29
                                        ; implicit-def: $vgpr29
	s_and_saveexec_b32 s0, vcc_lo
	s_xor_b32 s0, exec_lo, s0
; %bb.490:                              ;   in Loop: Header=BB417_225 Depth=1
	v_bfe_u32 v29, v30, 16, 1
	s_delay_alu instid0(VALU_DEP_1)
	v_add3_u32 v29, v30, v29, 0x7fff
                                        ; implicit-def: $vgpr30
; %bb.491:                              ;   in Loop: Header=BB417_225 Depth=1
	s_and_not1_saveexec_b32 s0, s0
; %bb.492:                              ;   in Loop: Header=BB417_225 Depth=1
	v_and_b32_e32 v29, 0xffff, v30
	v_or_b32_e32 v31, 0x10000, v30
	s_delay_alu instid0(VALU_DEP_2) | instskip(NEXT) | instid1(VALU_DEP_2)
	v_cmp_eq_u32_e32 vcc_lo, 0, v29
	v_cndmask_b32_e32 v29, v31, v30, vcc_lo
; %bb.493:                              ;   in Loop: Header=BB417_225 Depth=1
	s_or_b32 exec_lo, exec_lo, s0
	v_lshlrev_b32_e32 v30, 16, v48
	s_delay_alu instid0(VALU_DEP_1) | instskip(NEXT) | instid1(VALU_DEP_1)
	v_mul_f32_e32 v31, v40, v30
	v_and_b32_e32 v30, 0x7f800000, v31
	s_delay_alu instid0(VALU_DEP_1) | instskip(SKIP_1) | instid1(SALU_CYCLE_1)
	v_cmp_ne_u32_e32 vcc_lo, 0x7f800000, v30
                                        ; implicit-def: $vgpr30
	s_and_saveexec_b32 s0, vcc_lo
	s_xor_b32 s0, exec_lo, s0
; %bb.494:                              ;   in Loop: Header=BB417_225 Depth=1
	v_bfe_u32 v30, v31, 16, 1
	s_delay_alu instid0(VALU_DEP_1)
	v_add3_u32 v30, v31, v30, 0x7fff
                                        ; implicit-def: $vgpr31
; %bb.495:                              ;   in Loop: Header=BB417_225 Depth=1
	s_and_not1_saveexec_b32 s0, s0
; %bb.496:                              ;   in Loop: Header=BB417_225 Depth=1
	v_and_b32_e32 v30, 0xffff, v31
	v_or_b32_e32 v32, 0x10000, v31
	s_delay_alu instid0(VALU_DEP_2) | instskip(NEXT) | instid1(VALU_DEP_2)
	v_cmp_eq_u32_e32 vcc_lo, 0, v30
	v_cndmask_b32_e32 v30, v32, v31, vcc_lo
; %bb.497:                              ;   in Loop: Header=BB417_225 Depth=1
	s_or_b32 exec_lo, exec_lo, s0
	v_lshlrev_b32_e32 v10, 16, v10
	s_delay_alu instid0(VALU_DEP_1) | instskip(NEXT) | instid1(VALU_DEP_1)
	v_mul_f32_e32 v31, v41, v10
	v_and_b32_e32 v10, 0x7f800000, v31
	s_delay_alu instid0(VALU_DEP_1) | instskip(SKIP_1) | instid1(SALU_CYCLE_1)
	v_cmp_ne_u32_e32 vcc_lo, 0x7f800000, v10
                                        ; implicit-def: $vgpr10
	s_and_saveexec_b32 s0, vcc_lo
	s_xor_b32 s0, exec_lo, s0
; %bb.498:                              ;   in Loop: Header=BB417_225 Depth=1
	v_bfe_u32 v10, v31, 16, 1
	s_delay_alu instid0(VALU_DEP_1)
	v_add3_u32 v10, v31, v10, 0x7fff
                                        ; implicit-def: $vgpr31
; %bb.499:                              ;   in Loop: Header=BB417_225 Depth=1
	s_and_not1_saveexec_b32 s0, s0
; %bb.500:                              ;   in Loop: Header=BB417_225 Depth=1
	v_and_b32_e32 v10, 0xffff, v31
	v_or_b32_e32 v32, 0x10000, v31
	s_delay_alu instid0(VALU_DEP_2) | instskip(NEXT) | instid1(VALU_DEP_2)
	v_cmp_eq_u32_e32 vcc_lo, 0, v10
	v_cndmask_b32_e32 v10, v32, v31, vcc_lo
; %bb.501:                              ;   in Loop: Header=BB417_225 Depth=1
	s_or_b32 exec_lo, exec_lo, s0
	v_lshlrev_b32_e32 v3, 16, v3
	s_delay_alu instid0(VALU_DEP_1) | instskip(NEXT) | instid1(VALU_DEP_1)
	v_mul_f32_e32 v31, v42, v3
	v_and_b32_e32 v3, 0x7f800000, v31
	s_delay_alu instid0(VALU_DEP_1) | instskip(SKIP_1) | instid1(SALU_CYCLE_1)
	v_cmp_ne_u32_e32 vcc_lo, 0x7f800000, v3
                                        ; implicit-def: $vgpr3
	s_and_saveexec_b32 s0, vcc_lo
	s_xor_b32 s0, exec_lo, s0
; %bb.502:                              ;   in Loop: Header=BB417_225 Depth=1
	v_bfe_u32 v3, v31, 16, 1
	s_delay_alu instid0(VALU_DEP_1)
	v_add3_u32 v3, v31, v3, 0x7fff
                                        ; implicit-def: $vgpr31
; %bb.503:                              ;   in Loop: Header=BB417_225 Depth=1
	s_and_not1_saveexec_b32 s0, s0
; %bb.504:                              ;   in Loop: Header=BB417_225 Depth=1
	v_and_b32_e32 v3, 0xffff, v31
	v_or_b32_e32 v32, 0x10000, v31
	s_delay_alu instid0(VALU_DEP_2) | instskip(NEXT) | instid1(VALU_DEP_2)
	v_cmp_eq_u32_e32 vcc_lo, 0, v3
	v_cndmask_b32_e32 v3, v32, v31, vcc_lo
; %bb.505:                              ;   in Loop: Header=BB417_225 Depth=1
	s_or_b32 exec_lo, exec_lo, s0
	v_lshlrev_b32_e32 v1, 16, v1
	s_delay_alu instid0(VALU_DEP_1) | instskip(NEXT) | instid1(VALU_DEP_1)
	v_mul_f32_e32 v31, v43, v1
	v_and_b32_e32 v1, 0x7f800000, v31
	s_delay_alu instid0(VALU_DEP_1) | instskip(SKIP_1) | instid1(SALU_CYCLE_1)
	v_cmp_ne_u32_e32 vcc_lo, 0x7f800000, v1
                                        ; implicit-def: $vgpr1
	s_and_saveexec_b32 s0, vcc_lo
	s_xor_b32 s0, exec_lo, s0
; %bb.506:                              ;   in Loop: Header=BB417_225 Depth=1
	v_bfe_u32 v1, v31, 16, 1
	s_delay_alu instid0(VALU_DEP_1)
	v_add3_u32 v1, v31, v1, 0x7fff
                                        ; implicit-def: $vgpr31
; %bb.507:                              ;   in Loop: Header=BB417_225 Depth=1
	s_and_not1_saveexec_b32 s0, s0
	s_cbranch_execz .LBB417_224
; %bb.508:                              ;   in Loop: Header=BB417_225 Depth=1
	v_and_b32_e32 v1, 0xffff, v31
	v_or_b32_e32 v32, 0x10000, v31
	s_delay_alu instid0(VALU_DEP_2) | instskip(NEXT) | instid1(VALU_DEP_2)
	v_cmp_eq_u32_e32 vcc_lo, 0, v1
	v_cndmask_b32_e32 v1, v32, v31, vcc_lo
	s_branch .LBB417_224
.LBB417_509:
	s_or_b32 exec_lo, exec_lo, s6
.LBB417_510:
	s_delay_alu instid0(SALU_CYCLE_1)
	s_or_b32 exec_lo, exec_lo, s1
	ds_bpermute_b32 v1, v20, v22
	ds_bpermute_b32 v4, v20, v21
	v_and_b32_e32 v5, 0x3c1, v0
	v_lshrrev_b32_e32 v3, 1, v19
	s_mov_b32 s0, exec_lo
	s_waitcnt lgkmcnt(0)
	s_waitcnt_vscnt null, 0x0
	s_barrier
	buffer_gl0_inv
	v_dual_add_f32 v2, v22, v1 :: v_dual_add_f32 v1, v21, v4
	v_cmpx_eq_u32_e32 64, v5
	s_cbranch_execz .LBB417_512
; %bb.511:
	v_lshl_add_u32 v4, v18, 7, 0x60
	v_lshlrev_b32_e32 v5, 2, v3
	s_delay_alu instid0(VALU_DEP_1)
	v_add3_u32 v4, v4, v5, 0xffffff00
	ds_store_2addr_b32 v4, v2, v1 offset1:16
.LBB417_512:
	s_or_b32 exec_lo, exec_lo, s0
	v_and_b32_e32 v4, 0x3e0, v0
	v_cmp_eq_u32_e32 vcc_lo, 0, v17
	s_mov_b32 s1, exec_lo
	s_waitcnt lgkmcnt(0)
	s_barrier
	v_lshl_add_u32 v4, v4, 2, 0x60
	buffer_gl0_inv
	v_cmpx_gt_u32_e32 64, v0
	s_cbranch_execz .LBB417_518
; %bb.513:
	s_and_saveexec_b32 s0, vcc_lo
	s_cbranch_execz .LBB417_515
; %bb.514:
	v_lshl_add_u32 v5, v3, 2, v4
	ds_load_b32 v5, v5
	s_waitcnt lgkmcnt(0)
	v_add_f32_e32 v2, v2, v5
.LBB417_515:
	s_or_b32 exec_lo, exec_lo, s0
	s_and_saveexec_b32 s0, vcc_lo
	s_cbranch_execz .LBB417_517
; %bb.516:
	v_lshl_add_u32 v5, v3, 2, v4
	ds_load_b32 v5, v5 offset:64
	s_waitcnt lgkmcnt(0)
	v_add_f32_e32 v1, v1, v5
.LBB417_517:
	s_or_b32 exec_lo, exec_lo, s0
.LBB417_518:
	s_delay_alu instid0(SALU_CYCLE_1)
	s_or_b32 exec_lo, exec_lo, s1
	v_and_b32_e32 v5, 0x3e1, v0
	s_mov_b32 s1, exec_lo
	s_barrier
	buffer_gl0_inv
	v_cmpx_eq_u32_e32 32, v5
	s_cbranch_execz .LBB417_520
; %bb.519:
	v_lshl_add_u32 v5, v3, 2, 0x60
	ds_store_2addr_b32 v5, v2, v1 offset1:16
.LBB417_520:
	s_or_b32 exec_lo, exec_lo, s1
	v_cmp_gt_u32_e64 s0, 32, v0
	s_waitcnt lgkmcnt(0)
	s_barrier
	buffer_gl0_inv
	s_and_saveexec_b32 s1, s0
	s_cbranch_execz .LBB417_526
; %bb.521:
	v_lshl_add_u32 v0, v3, 2, v4
	s_and_saveexec_b32 s2, vcc_lo
	s_cbranch_execz .LBB417_523
; %bb.522:
	ds_load_b32 v3, v0
	s_waitcnt lgkmcnt(0)
	v_add_f32_e32 v2, v2, v3
.LBB417_523:
	s_or_b32 exec_lo, exec_lo, s2
	s_and_saveexec_b32 s2, vcc_lo
	s_cbranch_execz .LBB417_525
; %bb.524:
	ds_load_b32 v0, v0 offset:64
	s_waitcnt lgkmcnt(0)
	v_add_f32_e32 v1, v1, v0
.LBB417_525:
	s_or_b32 exec_lo, exec_lo, s2
.LBB417_526:
	s_delay_alu instid0(SALU_CYCLE_1)
	s_or_b32 exec_lo, exec_lo, s1
	s_barrier
	buffer_gl0_inv
	s_and_saveexec_b32 s1, s0
	s_cbranch_execz .LBB417_537
; %bb.527:
	s_and_b32 exec_lo, exec_lo, vcc_lo
	s_cbranch_execz .LBB417_537
; %bb.528:
	v_and_b32_e32 v0, 0x7f800000, v2
	s_delay_alu instid0(VALU_DEP_1) | instskip(SKIP_1) | instid1(SALU_CYCLE_1)
	v_cmp_ne_u32_e32 vcc_lo, 0x7f800000, v0
                                        ; implicit-def: $vgpr0
	s_and_saveexec_b32 s0, vcc_lo
	s_xor_b32 s0, exec_lo, s0
; %bb.529:
	v_bfe_u32 v0, v2, 16, 1
	s_delay_alu instid0(VALU_DEP_1)
	v_add3_u32 v0, v2, v0, 0x7fff
; %bb.530:
	s_and_not1_saveexec_b32 s0, s0
; %bb.531:
	v_and_b32_e32 v0, 0xffff, v2
	v_or_b32_e32 v3, 0x10000, v2
	s_delay_alu instid0(VALU_DEP_2) | instskip(NEXT) | instid1(VALU_DEP_2)
	v_cmp_eq_u32_e32 vcc_lo, 0, v0
	v_cndmask_b32_e32 v0, v3, v2, vcc_lo
; %bb.532:
	s_or_b32 exec_lo, exec_lo, s0
	s_mul_i32 s0, s7, s14
	s_mul_i32 s2, s7, s12
	;; [unrolled: 1-line block ×3, first 2 shown]
	v_lshlrev_b32_e32 v4, 1, v16
	s_lshl_b32 s0, s0, 5
	v_and_b32_e32 v5, 0x7f800000, v1
	s_ashr_i32 s1, s0, 31
	s_delay_alu instid0(SALU_CYCLE_1) | instskip(NEXT) | instid1(SALU_CYCLE_1)
	s_lshl_b64 s[0:1], s[0:1], 1
	s_add_u32 s5, s20, s0
	s_addc_u32 s6, s21, s1
	s_ashr_i32 s3, s2, 31
	s_delay_alu instid0(SALU_CYCLE_1) | instskip(NEXT) | instid1(SALU_CYCLE_1)
	s_lshl_b64 s[0:1], s[2:3], 1
	s_add_u32 s2, s5, s0
	s_addc_u32 s3, s6, s1
	;; [unrolled: 5-line block ×3, first 2 shown]
	v_add_co_u32 v2, s2, s0, v4
	s_delay_alu instid0(VALU_DEP_1)
	v_add_co_ci_u32_e64 v3, null, s1, 0, s2
	global_store_d16_hi_b16 v4, v0, s[0:1]
	s_mov_b32 s0, exec_lo
                                        ; implicit-def: $vgpr4
	v_cmpx_ne_u32_e32 0x7f800000, v5
	s_xor_b32 s0, exec_lo, s0
; %bb.533:
	v_bfe_u32 v0, v1, 16, 1
	s_delay_alu instid0(VALU_DEP_1)
	v_add3_u32 v4, v1, v0, 0x7fff
                                        ; implicit-def: $vgpr0_vgpr1
; %bb.534:
	s_and_not1_saveexec_b32 s0, s0
; %bb.535:
	v_and_b32_e32 v0, 0xffff, v1
	v_or_b32_e32 v4, 0x10000, v1
	s_delay_alu instid0(VALU_DEP_2) | instskip(NEXT) | instid1(VALU_DEP_2)
	v_cmp_eq_u32_e32 vcc_lo, 0, v0
	v_cndmask_b32_e32 v4, v4, v1, vcc_lo
; %bb.536:
	s_or_b32 exec_lo, exec_lo, s0
	global_store_d16_hi_b16 v[2:3], v4, off offset:32
.LBB417_537:
	s_nop 0
	s_sendmsg sendmsg(MSG_DEALLOC_VGPRS)
	s_endpgm
	.section	.rodata,"a",@progbits
	.p2align	6, 0x0
	.amdhsa_kernel _ZN4vllm25paged_attention_v2_kernelI14__hip_bfloat16hLi32ELi16ELi128ELNS_18Fp8KVCacheDataTypeE1ELb0ELi512EEEvPfS3_PT_PKS4_PKT0_SA_ifPKiSC_iPKfiiiSE_SE_iiiii
		.amdhsa_group_segment_fixed_size 96
		.amdhsa_private_segment_fixed_size 0
		.amdhsa_kernarg_size 400
		.amdhsa_user_sgpr_count 13
		.amdhsa_user_sgpr_dispatch_ptr 0
		.amdhsa_user_sgpr_queue_ptr 0
		.amdhsa_user_sgpr_kernarg_segment_ptr 1
		.amdhsa_user_sgpr_dispatch_id 0
		.amdhsa_user_sgpr_private_segment_size 0
		.amdhsa_wavefront_size32 1
		.amdhsa_uses_dynamic_stack 0
		.amdhsa_enable_private_segment 0
		.amdhsa_system_sgpr_workgroup_id_x 1
		.amdhsa_system_sgpr_workgroup_id_y 1
		.amdhsa_system_sgpr_workgroup_id_z 1
		.amdhsa_system_sgpr_workgroup_info 0
		.amdhsa_system_vgpr_workitem_id 0
		.amdhsa_next_free_vgpr 56
		.amdhsa_next_free_sgpr 42
		.amdhsa_reserve_vcc 1
		.amdhsa_float_round_mode_32 0
		.amdhsa_float_round_mode_16_64 0
		.amdhsa_float_denorm_mode_32 3
		.amdhsa_float_denorm_mode_16_64 3
		.amdhsa_dx10_clamp 1
		.amdhsa_ieee_mode 1
		.amdhsa_fp16_overflow 0
		.amdhsa_workgroup_processor_mode 1
		.amdhsa_memory_ordered 1
		.amdhsa_forward_progress 0
		.amdhsa_shared_vgpr_count 0
		.amdhsa_exception_fp_ieee_invalid_op 0
		.amdhsa_exception_fp_denorm_src 0
		.amdhsa_exception_fp_ieee_div_zero 0
		.amdhsa_exception_fp_ieee_overflow 0
		.amdhsa_exception_fp_ieee_underflow 0
		.amdhsa_exception_fp_ieee_inexact 0
		.amdhsa_exception_int_div_zero 0
	.end_amdhsa_kernel
	.section	.text._ZN4vllm25paged_attention_v2_kernelI14__hip_bfloat16hLi32ELi16ELi128ELNS_18Fp8KVCacheDataTypeE1ELb0ELi512EEEvPfS3_PT_PKS4_PKT0_SA_ifPKiSC_iPKfiiiSE_SE_iiiii,"axG",@progbits,_ZN4vllm25paged_attention_v2_kernelI14__hip_bfloat16hLi32ELi16ELi128ELNS_18Fp8KVCacheDataTypeE1ELb0ELi512EEEvPfS3_PT_PKS4_PKT0_SA_ifPKiSC_iPKfiiiSE_SE_iiiii,comdat
.Lfunc_end417:
	.size	_ZN4vllm25paged_attention_v2_kernelI14__hip_bfloat16hLi32ELi16ELi128ELNS_18Fp8KVCacheDataTypeE1ELb0ELi512EEEvPfS3_PT_PKS4_PKT0_SA_ifPKiSC_iPKfiiiSE_SE_iiiii, .Lfunc_end417-_ZN4vllm25paged_attention_v2_kernelI14__hip_bfloat16hLi32ELi16ELi128ELNS_18Fp8KVCacheDataTypeE1ELb0ELi512EEEvPfS3_PT_PKS4_PKT0_SA_ifPKiSC_iPKfiiiSE_SE_iiiii
                                        ; -- End function
	.section	.AMDGPU.csdata,"",@progbits
; Kernel info:
; codeLenInByte = 16872
; NumSgprs: 44
; NumVgprs: 56
; ScratchSize: 0
; MemoryBound: 0
; FloatMode: 240
; IeeeMode: 1
; LDSByteSize: 96 bytes/workgroup (compile time only)
; SGPRBlocks: 5
; VGPRBlocks: 6
; NumSGPRsForWavesPerEU: 44
; NumVGPRsForWavesPerEU: 56
; Occupancy: 16
; WaveLimiterHint : 1
; COMPUTE_PGM_RSRC2:SCRATCH_EN: 0
; COMPUTE_PGM_RSRC2:USER_SGPR: 13
; COMPUTE_PGM_RSRC2:TRAP_HANDLER: 0
; COMPUTE_PGM_RSRC2:TGID_X_EN: 1
; COMPUTE_PGM_RSRC2:TGID_Y_EN: 1
; COMPUTE_PGM_RSRC2:TGID_Z_EN: 1
; COMPUTE_PGM_RSRC2:TIDIG_COMP_CNT: 0
	.text
	.p2align	2                               ; -- Begin function _ZN4vllm22paged_attention_kernelI14__hip_bfloat16hLi64ELi16ELi128ELNS_18Fp8KVCacheDataTypeE1ELb0ELi512EEEvPfS3_PT_PKS4_PKT0_SA_ifPKiSC_iPKfiiiSE_SE_iiiii
	.type	_ZN4vllm22paged_attention_kernelI14__hip_bfloat16hLi64ELi16ELi128ELNS_18Fp8KVCacheDataTypeE1ELb0ELi512EEEvPfS3_PT_PKS4_PKT0_SA_ifPKiSC_iPKfiiiSE_SE_iiiii,@function
_ZN4vllm22paged_attention_kernelI14__hip_bfloat16hLi64ELi16ELi128ELNS_18Fp8KVCacheDataTypeE1ELb0ELi512EEEvPfS3_PT_PKS4_PKT0_SA_ifPKiSC_iPKfiiiSE_SE_iiiii: ; @_ZN4vllm22paged_attention_kernelI14__hip_bfloat16hLi64ELi16ELi128ELNS_18Fp8KVCacheDataTypeE1ELb0ELi512EEEvPfS3_PT_PKS4_PKT0_SA_ifPKiSC_iPKfiiiSE_SE_iiiii
; %bb.0:
	s_waitcnt vmcnt(0) expcnt(0) lgkmcnt(0)
	s_clause 0x1
	scratch_store_b32 off, v40, s32 offset:4
	; meta instruction
	scratch_store_b32 off, v41, s32
	s_mov_b32 s4, s13
	s_ashr_i32 s5, s13, 31
	s_lshl_b32 s17, s14, 9
	s_lshl_b64 s[0:1], s[4:5], 2
	s_mov_b32 s5, exec_lo
	v_add_co_u32 v16, vcc_lo, v16, s0
	v_add_co_ci_u32_e32 v17, vcc_lo, s1, v17, vcc_lo
	flat_load_b32 v32, v[16:17]
	s_waitcnt vmcnt(0) lgkmcnt(0)
	v_cmpx_lt_i32_e64 s17, v32
	s_cbranch_execz .LBB418_1009
; %bb.1:
	v_sub_nc_u32_e32 v16, 0, v12
	s_clause 0x1
	s_load_b32 s0, s[8:9], 0x10
	s_load_b32 s1, s[8:9], 0x0
	s_mov_b32 s10, s15
	v_mov_b32_e32 v48, 0
	v_max_i32_e32 v16, v12, v16
	s_delay_alu instid0(VALU_DEP_1) | instskip(SKIP_1) | instid1(VALU_DEP_2)
	v_cvt_f32_u32_e32 v17, v16
	v_sub_nc_u32_e32 v28, 0, v16
	v_rcp_iflag_f32_e32 v17, v17
	s_waitcnt lgkmcnt(0)
	s_lshr_b32 s0, s0, 16
	s_delay_alu instid0(SALU_CYCLE_1) | instskip(SKIP_3) | instid1(SALU_CYCLE_1)
	s_cmp_lg_u32 s0, 0
	s_waitcnt_depctr 0xfff
	v_mul_f32_e32 v17, 0x4f7ffffe, v17
	s_cselect_b32 s0, -1, 0
	s_cmp_lg_u32 s0, 0
	s_delay_alu instid0(VALU_DEP_1)
	v_cvt_u32_f32_e32 v17, v17
	s_addc_u32 s16, s1, 0
	s_mov_b32 s1, exec_lo
	s_abs_i32 s0, s16
	v_xor_b32_e32 v12, s16, v12
	v_mul_lo_u32 v28, v28, v17
	s_delay_alu instid0(VALU_DEP_2) | instskip(NEXT) | instid1(VALU_DEP_2)
	v_ashrrev_i32_e32 v12, 31, v12
	v_mul_hi_u32 v28, v17, v28
	s_delay_alu instid0(VALU_DEP_1) | instskip(NEXT) | instid1(VALU_DEP_1)
	v_add_nc_u32_e32 v17, v17, v28
	v_mul_hi_u32 v17, s0, v17
	s_delay_alu instid0(VALU_DEP_1) | instskip(SKIP_1) | instid1(VALU_DEP_2)
	v_mul_lo_u32 v28, v17, v16
	v_add_nc_u32_e32 v29, 1, v17
	v_sub_nc_u32_e32 v28, s0, v28
	s_abs_i32 s0, s12
	s_delay_alu instid0(VALU_DEP_1) | instskip(SKIP_1) | instid1(VALU_DEP_2)
	v_sub_nc_u32_e32 v30, v28, v16
	v_cmp_ge_u32_e32 vcc_lo, v28, v16
	v_dual_cndmask_b32 v17, v17, v29 :: v_dual_cndmask_b32 v28, v28, v30
	s_delay_alu instid0(VALU_DEP_1) | instskip(NEXT) | instid1(VALU_DEP_2)
	v_add_nc_u32_e32 v29, 1, v17
	v_cmp_ge_u32_e32 vcc_lo, v28, v16
	s_delay_alu instid0(VALU_DEP_2) | instskip(NEXT) | instid1(VALU_DEP_1)
	v_cndmask_b32_e32 v16, v17, v29, vcc_lo
	v_xor_b32_e32 v16, v16, v12
	s_delay_alu instid0(VALU_DEP_1) | instskip(NEXT) | instid1(VALU_DEP_1)
	v_sub_nc_u32_e32 v12, v16, v12
	v_sub_nc_u32_e32 v16, 0, v12
	s_delay_alu instid0(VALU_DEP_1) | instskip(NEXT) | instid1(VALU_DEP_1)
	v_max_i32_e32 v28, v12, v16
	v_cvt_f32_u32_e32 v16, v28
	v_sub_nc_u32_e32 v17, 0, v28
	s_delay_alu instid0(VALU_DEP_2) | instskip(SKIP_2) | instid1(VALU_DEP_1)
	v_rcp_iflag_f32_e32 v16, v16
	s_waitcnt_depctr 0xfff
	v_mul_f32_e32 v16, 0x4f7ffffe, v16
	v_cvt_u32_f32_e32 v16, v16
	s_delay_alu instid0(VALU_DEP_1) | instskip(NEXT) | instid1(VALU_DEP_1)
	v_mul_lo_u32 v17, v17, v16
	v_mul_hi_u32 v17, v16, v17
	s_delay_alu instid0(VALU_DEP_1) | instskip(NEXT) | instid1(VALU_DEP_1)
	v_add_nc_u32_e32 v29, v16, v17
	v_mad_u64_u32 v[16:17], null, s0, v29, 0
	v_cmpx_ne_u64_e32 0, v[19:20]
	s_cbranch_execz .LBB418_3
; %bb.2:
	s_ashr_i32 s13, s12, 31
	s_delay_alu instid0(SALU_CYCLE_1) | instskip(NEXT) | instid1(SALU_CYCLE_1)
	s_lshl_b64 s[2:3], s[12:13], 2
	v_add_co_u32 v19, vcc_lo, v19, s2
	v_add_co_ci_u32_e32 v20, vcc_lo, s3, v20, vcc_lo
	flat_load_b32 v48, v[19:20]
.LBB418_3:
	s_or_b32 exec_lo, exec_lo, s1
	v_and_b32_e32 v31, 0x3ff, v31
	v_ashrrev_i32_e32 v16, 31, v12
	s_ashr_i32 s1, s12, 31
	s_lshl_b32 s6, s12, 6
	s_mov_b32 s2, exec_lo
	v_lshrrev_b32_e32 v30, 1, v31
	v_and_b32_e32 v33, 1, v31
	v_lshlrev_b32_e32 v12, 3, v31
	v_cmpx_gt_u32_e32 16, v31
	s_cbranch_execz .LBB418_5
; %bb.4:
	v_mul_lo_u32 v19, s4, v21
	s_ashr_i32 s7, s6, 31
	s_delay_alu instid0(SALU_CYCLE_1) | instskip(NEXT) | instid1(VALU_DEP_1)
	s_lshl_b64 s[18:19], s[6:7], 1
	v_ashrrev_i32_e32 v20, 31, v19
	s_delay_alu instid0(VALU_DEP_1) | instskip(NEXT) | instid1(VALU_DEP_1)
	v_lshlrev_b64 v[19:20], 1, v[19:20]
	v_add_co_u32 v6, vcc_lo, v6, v19
	s_delay_alu instid0(VALU_DEP_2) | instskip(SKIP_1) | instid1(VALU_DEP_3)
	v_add_co_ci_u32_e32 v7, vcc_lo, v7, v20, vcc_lo
	v_lshlrev_b32_e32 v19, 3, v30
	v_add_co_u32 v6, vcc_lo, v6, s18
	s_delay_alu instid0(VALU_DEP_3) | instskip(NEXT) | instid1(VALU_DEP_3)
	v_add_co_ci_u32_e32 v7, vcc_lo, s19, v7, vcc_lo
	v_lshl_add_u32 v19, v33, 6, v19
	s_delay_alu instid0(VALU_DEP_3) | instskip(NEXT) | instid1(VALU_DEP_3)
	v_add_co_u32 v6, vcc_lo, v6, v12
	v_add_co_ci_u32_e32 v7, vcc_lo, 0, v7, vcc_lo
	flat_load_b64 v[6:7], v[6:7]
	s_waitcnt vmcnt(0) lgkmcnt(0)
	ds_store_b64 v19, v[6:7]
.LBB418_5:
	s_or_b32 exec_lo, exec_lo, s2
	v_mul_lo_u32 v6, v17, v28
	v_add_nc_u32_e32 v7, 15, v32
	v_add_nc_u32_e32 v20, 1, v17
	v_lshrrev_b32_e32 v34, 5, v31
	s_lshl_b32 s13, s14, 5
	v_mbcnt_lo_u32_b32 v39, -1, 0
	v_ashrrev_i32_e32 v19, 31, v7
	s_waitcnt vmcnt(0) lgkmcnt(0)
	s_waitcnt_vscnt null, 0x0
	v_sub_nc_u32_e32 v6, s0, v6
	s_add_i32 s0, s13, 32
	s_barrier
	v_lshrrev_b32_e32 v19, 28, v19
	buffer_gl0_inv
	v_sub_nc_u32_e32 v21, v6, v28
	v_cmp_ge_u32_e32 vcc_lo, v6, v28
                                        ; implicit-def: $vgpr49
	v_add_nc_u32_e32 v7, v7, v19
	v_cndmask_b32_e32 v17, v17, v20, vcc_lo
	s_delay_alu instid0(VALU_DEP_4) | instskip(SKIP_1) | instid1(VALU_DEP_4)
	v_cndmask_b32_e32 v19, v6, v21, vcc_lo
	v_xor_b32_e32 v21, s1, v16
	v_ashrrev_i32_e32 v36, 4, v7
	v_mul_lo_u32 v6, s4, v18
	v_add_nc_u32_e32 v20, 1, v17
	v_cmp_ge_u32_e32 vcc_lo, v19, v28
	v_or_b32_e32 v16, s13, v34
	v_min_i32_e32 v35, s0, v36
                                        ; implicit-def: $sgpr1
	s_delay_alu instid0(VALU_DEP_4) | instskip(NEXT) | instid1(VALU_DEP_2)
	v_cndmask_b32_e32 v7, v17, v20, vcc_lo
	v_cmp_ge_i32_e64 s0, v16, v35
	s_delay_alu instid0(VALU_DEP_2) | instskip(SKIP_1) | instid1(VALU_DEP_2)
	v_xor_b32_e32 v17, v7, v21
	v_ashrrev_i32_e32 v7, 31, v6
	v_sub_nc_u32_e32 v17, v17, v21
	s_delay_alu instid0(VALU_DEP_4) | instskip(NEXT) | instid1(SALU_CYCLE_1)
	s_and_saveexec_b32 s2, s0
	s_xor_b32 s2, exec_lo, s2
; %bb.6:
	v_mbcnt_lo_u32_b32 v39, -1, 0
	v_mov_b32_e32 v49, 32
	s_mov_b32 s1, 0xff7fffff
                                        ; implicit-def: $vgpr48
                                        ; implicit-def: $vgpr13
                                        ; implicit-def: $vgpr24
                                        ; implicit-def: $vgpr8
                                        ; implicit-def: $vgpr9
; %bb.7:
	s_or_saveexec_b32 s15, s2
	s_clause 0x1
	s_load_b32 s18, s[8:9], 0x14
	s_load_b32 s7, s[8:9], 0x8
	v_mul_lo_u32 v37, v17, v23
	v_lshlrev_b64 v[6:7], 2, v[6:7]
	v_mov_b32_e32 v113, s1
	v_ashrrev_i32_e32 v17, 31, v16
	s_delay_alu instid0(VALU_DEP_4)
	v_ashrrev_i32_e32 v38, 31, v37
	s_xor_b32 exec_lo, exec_lo, s15
	s_cbranch_execz .LBB418_397
; %bb.8:
	v_lshlrev_b32_e32 v18, 6, v33
	v_bfe_u32 v28, v31, 1, 4
	v_add_co_u32 v8, vcc_lo, v8, v37
	v_add_co_ci_u32_e32 v19, vcc_lo, v9, v38, vcc_lo
	v_mov_b32_e32 v9, 0
	ds_load_b128 v[64:67], v18
	ds_load_b128 v[80:83], v18 offset:16
	v_dual_mov_b32 v49, 32 :: v_dual_lshlrev_b32 v20, 4, v28
	ds_load_b128 v[96:99], v18 offset:32
	ds_load_b128 v[112:115], v18 offset:48
	v_lshlrev_b32_e32 v29, 4, v34
	s_ashr_i32 s11, s10, 31
	v_add_co_u32 v18, vcc_lo, v8, v20
	v_xor_b32_e32 v8, 1, v39
	v_add_co_ci_u32_e32 v19, vcc_lo, 0, v19, vcc_lo
	v_lshlrev_b64 v[20:21], 2, v[16:17]
	v_cmp_neq_f32_e64 s1, 0, v48
	s_delay_alu instid0(VALU_DEP_4)
	v_cmp_gt_i32_e32 vcc_lo, 32, v8
	v_lshlrev_b32_e32 v23, 2, v33
	s_lshl_b64 s[8:9], s[10:11], 2
	v_sub_nc_u32_e32 v116, 1, v32
	v_add3_u32 v117, s17, v29, v28
	v_cndmask_b32_e32 v8, v39, v8, vcc_lo
	s_waitcnt lgkmcnt(0)
	v_lshlrev_b32_e32 v50, 16, v64
	v_and_b32_e32 v51, 0xffff0000, v64
	v_dual_mov_b32 v119, v16 :: v_dual_lshlrev_b32 v52, 16, v65
	v_and_b32_e32 v53, 0xffff0000, v65
	v_lshlrev_b32_e32 v54, 16, v66
	v_and_b32_e32 v55, 0xffff0000, v66
	v_lshlrev_b32_e32 v64, 16, v67
	;; [unrolled: 2-line block ×14, first 2 shown]
	v_add_co_u32 v8, s2, v6, v20
	v_lshlrev_b32_e32 v100, 16, v113
	v_and_b32_e32 v101, 0xffff0000, v113
	v_add_co_ci_u32_e64 v21, s2, v7, v21, s2
	v_lshlrev_b32_e32 v113, 2, v28
	v_add_co_u32 v20, s2, v14, v8
	v_cmp_eq_u32_e32 vcc_lo, 0, v33
	s_delay_alu instid0(VALU_DEP_4) | instskip(NEXT) | instid1(VALU_DEP_4)
	v_add_co_ci_u32_e64 v21, s2, v15, v21, s2
	v_lshl_or_b32 v118, v34, 6, v113
	v_mov_b32_e32 v113, 0xff7fffff
	s_getpc_b64 s[20:21]
	s_add_u32 s20, s20, llvm.amdgcn.dynlds.offset.table@rel32@lo+4
	s_addc_u32 s21, s21, llvm.amdgcn.dynlds.offset.table@rel32@hi+12
	s_add_u32 s8, s8, s20
	s_mov_b32 s11, 0
	s_addc_u32 s9, s9, s21
	s_branch .LBB418_10
.LBB418_9:                              ;   in Loop: Header=BB418_10 Depth=1
	s_or_b32 exec_lo, exec_lo, s3
	v_add_nc_u32_e32 v119, 4, v119
	v_add_co_u32 v20, s3, v20, 16
	s_delay_alu instid0(VALU_DEP_1) | instskip(NEXT) | instid1(VALU_DEP_3)
	v_add_co_ci_u32_e64 v21, s3, 0, v21, s3
	v_cmp_ge_i32_e64 s2, v119, v35
	v_add_nc_u32_e32 v117, 64, v117
	v_add_nc_u32_e32 v118, 0x100, v118
	s_delay_alu instid0(VALU_DEP_3) | instskip(NEXT) | instid1(SALU_CYCLE_1)
	s_or_b32 s11, s2, s11
	s_and_not1_b32 exec_lo, exec_lo, s11
	s_cbranch_execz .LBB418_396
.LBB418_10:                             ; =>This Inner Loop Header: Depth=1
	flat_load_b32 v8, v[20:21]
	s_mov_b32 s3, exec_lo
	s_waitcnt vmcnt(0) lgkmcnt(0)
	v_mad_i64_i32 v[28:29], null, v8, v22, v[18:19]
	v_mov_b32_e32 v8, 0
	s_delay_alu instid0(VALU_DEP_2) | instskip(NEXT) | instid1(VALU_DEP_1)
	v_add_co_u32 v28, s2, v28, v23
	v_add_co_ci_u32_e64 v29, s2, 0, v29, s2
	flat_load_b32 v132, v[28:29]
	flat_load_b32 v128, v[24:25]
	s_waitcnt vmcnt(1) lgkmcnt(1)
	v_and_b32_e32 v129, 0xff, v132
	s_delay_alu instid0(VALU_DEP_1)
	v_cmpx_ne_u16_e64 0, v129
	s_cbranch_execz .LBB418_18
; %bb.11:                               ;   in Loop: Header=BB418_10 Depth=1
	v_bfrev_b32_e32 v8, 1
	s_mov_b32 s19, exec_lo
	v_cmpx_ne_u16_e64 0x80, v129
	s_cbranch_execz .LBB418_17
; %bb.12:                               ;   in Loop: Header=BB418_10 Depth=1
	v_and_b32_e32 v130, 0x7f, v132
	v_mov_b32_e32 v8, 0x7f800001
	s_mov_b32 s20, exec_lo
	s_delay_alu instid0(VALU_DEP_2)
	v_cmpx_ne_u32_e32 0x7f, v130
	s_cbranch_execz .LBB418_16
; %bb.13:                               ;   in Loop: Header=BB418_10 Depth=1
	v_and_b32_e32 v8, 7, v132
	v_lshrrev_b32_e32 v129, 3, v130
	s_mov_b32 s21, exec_lo
	v_cmpx_gt_u32_e32 8, v130
; %bb.14:                               ;   in Loop: Header=BB418_10 Depth=1
	s_delay_alu instid0(VALU_DEP_3) | instskip(NEXT) | instid1(VALU_DEP_1)
	v_clz_i32_u32_e32 v129, v8
	v_min_u32_e32 v129, 32, v129
	s_delay_alu instid0(VALU_DEP_1) | instskip(SKIP_1) | instid1(VALU_DEP_2)
	v_subrev_nc_u32_e32 v130, 28, v129
	v_sub_nc_u32_e32 v129, 29, v129
	v_lshlrev_b64 v[130:131], v130, v[8:9]
	s_delay_alu instid0(VALU_DEP_1)
	v_and_b32_e32 v8, 7, v130
; %bb.15:                               ;   in Loop: Header=BB418_10 Depth=1
	s_or_b32 exec_lo, exec_lo, s21
	v_lshlrev_b32_e32 v130, 24, v132
	s_delay_alu instid0(VALU_DEP_2) | instskip(SKIP_1) | instid1(VALU_DEP_3)
	v_lshlrev_b32_e32 v8, 20, v8
	v_lshl_add_u32 v129, v129, 23, 0x3c000000
	v_and_b32_e32 v130, 0x80000000, v130
	s_delay_alu instid0(VALU_DEP_1)
	v_or3_b32 v8, v8, v130, v129
.LBB418_16:                             ;   in Loop: Header=BB418_10 Depth=1
	s_or_b32 exec_lo, exec_lo, s20
.LBB418_17:                             ;   in Loop: Header=BB418_10 Depth=1
	s_delay_alu instid0(SALU_CYCLE_1)
	s_or_b32 exec_lo, exec_lo, s19
.LBB418_18:                             ;   in Loop: Header=BB418_10 Depth=1
	s_delay_alu instid0(SALU_CYCLE_1) | instskip(SKIP_2) | instid1(VALU_DEP_1)
	s_or_b32 exec_lo, exec_lo, s3
	s_waitcnt vmcnt(0) lgkmcnt(0)
	v_mul_f32_e32 v8, v128, v8
	v_and_b32_e32 v129, 0x7f800000, v8
	s_delay_alu instid0(VALU_DEP_1) | instskip(NEXT) | instid1(VALU_DEP_1)
	v_cmp_ne_u32_e64 s2, 0x7f800000, v129
                                        ; implicit-def: $vgpr129
	s_and_saveexec_b32 s3, s2
	s_delay_alu instid0(SALU_CYCLE_1)
	s_xor_b32 s2, exec_lo, s3
; %bb.19:                               ;   in Loop: Header=BB418_10 Depth=1
	v_bfe_u32 v129, v8, 16, 1
	s_delay_alu instid0(VALU_DEP_1)
	v_add3_u32 v129, v8, v129, 0x7fff
                                        ; implicit-def: $vgpr8
; %bb.20:                               ;   in Loop: Header=BB418_10 Depth=1
	s_and_not1_saveexec_b32 s3, s2
; %bb.21:                               ;   in Loop: Header=BB418_10 Depth=1
	v_and_b32_e32 v129, 0xffff, v8
	v_or_b32_e32 v130, 0x10000, v8
	s_delay_alu instid0(VALU_DEP_2) | instskip(NEXT) | instid1(VALU_DEP_1)
	v_cmp_eq_u32_e64 s2, 0, v129
	v_cndmask_b32_e64 v129, v130, v8, s2
; %bb.22:                               ;   in Loop: Header=BB418_10 Depth=1
	s_or_b32 exec_lo, exec_lo, s3
	v_lshrrev_b16 v130, 8, v132
	v_mov_b32_e32 v8, 0
	s_mov_b32 s3, exec_lo
	s_delay_alu instid0(VALU_DEP_2)
	v_cmpx_ne_u16_e64 0, v130
	s_cbranch_execz .LBB418_30
; %bb.23:                               ;   in Loop: Header=BB418_10 Depth=1
	v_bfrev_b32_e32 v8, 1
	s_mov_b32 s19, exec_lo
	v_cmpx_ne_u16_e64 0x80, v130
	s_cbranch_execz .LBB418_29
; %bb.24:                               ;   in Loop: Header=BB418_10 Depth=1
	v_and_b32_e32 v130, 0xffff, v130
	v_mov_b32_e32 v8, 0x7f800001
	s_mov_b32 s20, exec_lo
	s_delay_alu instid0(VALU_DEP_2) | instskip(NEXT) | instid1(VALU_DEP_1)
	v_and_b32_e32 v131, 0x7f, v130
	v_cmpx_ne_u32_e32 0x7f, v131
	s_cbranch_execz .LBB418_28
; %bb.25:                               ;   in Loop: Header=BB418_10 Depth=1
	v_and_b32_e32 v8, 7, v130
	v_lshrrev_b32_e32 v130, 3, v131
	s_mov_b32 s21, exec_lo
	v_cmpx_gt_u32_e32 8, v131
; %bb.26:                               ;   in Loop: Header=BB418_10 Depth=1
	s_delay_alu instid0(VALU_DEP_3) | instskip(NEXT) | instid1(VALU_DEP_1)
	v_clz_i32_u32_e32 v130, v8
	v_min_u32_e32 v130, 32, v130
	s_delay_alu instid0(VALU_DEP_1) | instskip(SKIP_1) | instid1(VALU_DEP_2)
	v_subrev_nc_u32_e32 v131, 28, v130
	v_sub_nc_u32_e32 v130, 29, v130
	v_lshlrev_b64 v[133:134], v131, v[8:9]
	s_delay_alu instid0(VALU_DEP_1)
	v_and_b32_e32 v8, 7, v133
; %bb.27:                               ;   in Loop: Header=BB418_10 Depth=1
	s_or_b32 exec_lo, exec_lo, s21
	v_lshlrev_b32_e32 v131, 16, v132
	s_delay_alu instid0(VALU_DEP_2) | instskip(SKIP_1) | instid1(VALU_DEP_3)
	v_lshlrev_b32_e32 v8, 20, v8
	v_lshl_add_u32 v130, v130, 23, 0x3c000000
	v_and_b32_e32 v131, 0x80000000, v131
	s_delay_alu instid0(VALU_DEP_1)
	v_or3_b32 v8, v8, v131, v130
.LBB418_28:                             ;   in Loop: Header=BB418_10 Depth=1
	s_or_b32 exec_lo, exec_lo, s20
.LBB418_29:                             ;   in Loop: Header=BB418_10 Depth=1
	s_delay_alu instid0(SALU_CYCLE_1)
	s_or_b32 exec_lo, exec_lo, s19
.LBB418_30:                             ;   in Loop: Header=BB418_10 Depth=1
	s_delay_alu instid0(SALU_CYCLE_1) | instskip(NEXT) | instid1(VALU_DEP_1)
	s_or_b32 exec_lo, exec_lo, s3
	v_mul_f32_e32 v8, v128, v8
	s_delay_alu instid0(VALU_DEP_1) | instskip(NEXT) | instid1(VALU_DEP_1)
	v_and_b32_e32 v130, 0x7f800000, v8
	v_cmp_ne_u32_e64 s2, 0x7f800000, v130
                                        ; implicit-def: $vgpr130
	s_delay_alu instid0(VALU_DEP_1) | instskip(NEXT) | instid1(SALU_CYCLE_1)
	s_and_saveexec_b32 s3, s2
	s_xor_b32 s2, exec_lo, s3
; %bb.31:                               ;   in Loop: Header=BB418_10 Depth=1
	v_bfe_u32 v130, v8, 16, 1
	s_delay_alu instid0(VALU_DEP_1)
	v_add3_u32 v130, v8, v130, 0x7fff
                                        ; implicit-def: $vgpr8
; %bb.32:                               ;   in Loop: Header=BB418_10 Depth=1
	s_and_not1_saveexec_b32 s3, s2
; %bb.33:                               ;   in Loop: Header=BB418_10 Depth=1
	v_and_b32_e32 v130, 0xffff, v8
	v_or_b32_e32 v131, 0x10000, v8
	s_delay_alu instid0(VALU_DEP_2) | instskip(NEXT) | instid1(VALU_DEP_1)
	v_cmp_eq_u32_e64 s2, 0, v130
	v_cndmask_b32_e64 v130, v131, v8, s2
; %bb.34:                               ;   in Loop: Header=BB418_10 Depth=1
	s_or_b32 exec_lo, exec_lo, s3
	v_lshrrev_b32_e32 v131, 16, v132
	s_mov_b32 s3, exec_lo
	s_delay_alu instid0(VALU_DEP_1) | instskip(NEXT) | instid1(VALU_DEP_1)
	v_dual_mov_b32 v8, 0 :: v_dual_and_b32 v133, 0xff, v131
	v_cmpx_ne_u16_e64 0, v133
	s_cbranch_execz .LBB418_42
; %bb.35:                               ;   in Loop: Header=BB418_10 Depth=1
	v_bfrev_b32_e32 v8, 1
	s_mov_b32 s19, exec_lo
	v_cmpx_ne_u16_e64 0x80, v133
	s_cbranch_execz .LBB418_41
; %bb.36:                               ;   in Loop: Header=BB418_10 Depth=1
	v_bfe_u32 v134, v132, 16, 7
	v_mov_b32_e32 v8, 0x7f800001
	s_mov_b32 s20, exec_lo
	s_delay_alu instid0(VALU_DEP_2)
	v_cmpx_ne_u32_e32 0x7f, v134
	s_cbranch_execz .LBB418_40
; %bb.37:                               ;   in Loop: Header=BB418_10 Depth=1
	v_and_b32_e32 v8, 7, v131
	v_lshrrev_b32_e32 v133, 3, v134
	s_mov_b32 s21, exec_lo
	v_cmpx_gt_u32_e32 8, v134
; %bb.38:                               ;   in Loop: Header=BB418_10 Depth=1
	s_delay_alu instid0(VALU_DEP_3) | instskip(NEXT) | instid1(VALU_DEP_1)
	v_clz_i32_u32_e32 v133, v8
	v_min_u32_e32 v133, 32, v133
	s_delay_alu instid0(VALU_DEP_1) | instskip(SKIP_1) | instid1(VALU_DEP_2)
	v_subrev_nc_u32_e32 v134, 28, v133
	v_sub_nc_u32_e32 v133, 29, v133
	v_lshlrev_b64 v[134:135], v134, v[8:9]
	s_delay_alu instid0(VALU_DEP_1)
	v_and_b32_e32 v8, 7, v134
; %bb.39:                               ;   in Loop: Header=BB418_10 Depth=1
	s_or_b32 exec_lo, exec_lo, s21
	v_lshlrev_b32_e32 v131, 24, v131
	s_delay_alu instid0(VALU_DEP_2) | instskip(SKIP_1) | instid1(VALU_DEP_3)
	v_lshlrev_b32_e32 v8, 20, v8
	v_lshl_add_u32 v133, v133, 23, 0x3c000000
	v_and_b32_e32 v131, 0x80000000, v131
	s_delay_alu instid0(VALU_DEP_1)
	v_or3_b32 v8, v8, v131, v133
.LBB418_40:                             ;   in Loop: Header=BB418_10 Depth=1
	s_or_b32 exec_lo, exec_lo, s20
.LBB418_41:                             ;   in Loop: Header=BB418_10 Depth=1
	s_delay_alu instid0(SALU_CYCLE_1)
	s_or_b32 exec_lo, exec_lo, s19
.LBB418_42:                             ;   in Loop: Header=BB418_10 Depth=1
	s_delay_alu instid0(SALU_CYCLE_1) | instskip(NEXT) | instid1(VALU_DEP_1)
	s_or_b32 exec_lo, exec_lo, s3
	v_mul_f32_e32 v8, v128, v8
	s_delay_alu instid0(VALU_DEP_1) | instskip(NEXT) | instid1(VALU_DEP_1)
	v_and_b32_e32 v131, 0x7f800000, v8
	v_cmp_ne_u32_e64 s2, 0x7f800000, v131
                                        ; implicit-def: $vgpr131
	s_delay_alu instid0(VALU_DEP_1) | instskip(NEXT) | instid1(SALU_CYCLE_1)
	s_and_saveexec_b32 s3, s2
	s_xor_b32 s2, exec_lo, s3
; %bb.43:                               ;   in Loop: Header=BB418_10 Depth=1
	v_bfe_u32 v131, v8, 16, 1
	s_delay_alu instid0(VALU_DEP_1)
	v_add3_u32 v131, v8, v131, 0x7fff
                                        ; implicit-def: $vgpr8
; %bb.44:                               ;   in Loop: Header=BB418_10 Depth=1
	s_and_not1_saveexec_b32 s3, s2
; %bb.45:                               ;   in Loop: Header=BB418_10 Depth=1
	v_and_b32_e32 v131, 0xffff, v8
	v_or_b32_e32 v133, 0x10000, v8
	s_delay_alu instid0(VALU_DEP_2) | instskip(NEXT) | instid1(VALU_DEP_1)
	v_cmp_eq_u32_e64 s2, 0, v131
	v_cndmask_b32_e64 v131, v133, v8, s2
; %bb.46:                               ;   in Loop: Header=BB418_10 Depth=1
	s_or_b32 exec_lo, exec_lo, s3
	v_mov_b32_e32 v8, 0
	s_mov_b32 s3, exec_lo
	v_cmpx_lt_u32_e32 0xffffff, v132
	s_cbranch_execz .LBB418_54
; %bb.47:                               ;   in Loop: Header=BB418_10 Depth=1
	v_lshrrev_b32_e32 v133, 24, v132
	v_bfrev_b32_e32 v8, 1
	s_mov_b32 s19, exec_lo
	s_delay_alu instid0(VALU_DEP_2)
	v_cmpx_ne_u32_e32 0x80, v133
	s_cbranch_execz .LBB418_53
; %bb.48:                               ;   in Loop: Header=BB418_10 Depth=1
	v_bfe_u32 v134, v132, 24, 7
	v_mov_b32_e32 v8, 0x7f800001
	s_mov_b32 s20, exec_lo
	s_delay_alu instid0(VALU_DEP_2)
	v_cmpx_ne_u32_e32 0x7f, v134
	s_cbranch_execz .LBB418_52
; %bb.49:                               ;   in Loop: Header=BB418_10 Depth=1
	v_and_b32_e32 v8, 7, v133
	v_lshrrev_b32_e32 v132, 3, v134
	s_mov_b32 s21, exec_lo
	v_cmpx_gt_u32_e32 8, v134
; %bb.50:                               ;   in Loop: Header=BB418_10 Depth=1
	s_delay_alu instid0(VALU_DEP_3) | instskip(NEXT) | instid1(VALU_DEP_1)
	v_clz_i32_u32_e32 v132, v8
	v_min_u32_e32 v132, 32, v132
	s_delay_alu instid0(VALU_DEP_1) | instskip(SKIP_1) | instid1(VALU_DEP_2)
	v_subrev_nc_u32_e32 v134, 28, v132
	v_sub_nc_u32_e32 v132, 29, v132
	v_lshlrev_b64 v[134:135], v134, v[8:9]
	s_delay_alu instid0(VALU_DEP_1)
	v_and_b32_e32 v8, 7, v134
; %bb.51:                               ;   in Loop: Header=BB418_10 Depth=1
	s_or_b32 exec_lo, exec_lo, s21
	v_lshlrev_b32_e32 v133, 24, v133
	s_delay_alu instid0(VALU_DEP_2) | instskip(SKIP_1) | instid1(VALU_DEP_3)
	v_lshlrev_b32_e32 v8, 20, v8
	v_lshl_add_u32 v132, v132, 23, 0x3c000000
	v_and_b32_e32 v133, 0x80000000, v133
	s_delay_alu instid0(VALU_DEP_1)
	v_or3_b32 v8, v8, v133, v132
.LBB418_52:                             ;   in Loop: Header=BB418_10 Depth=1
	s_or_b32 exec_lo, exec_lo, s20
.LBB418_53:                             ;   in Loop: Header=BB418_10 Depth=1
	s_delay_alu instid0(SALU_CYCLE_1)
	s_or_b32 exec_lo, exec_lo, s19
.LBB418_54:                             ;   in Loop: Header=BB418_10 Depth=1
	s_delay_alu instid0(SALU_CYCLE_1) | instskip(NEXT) | instid1(VALU_DEP_1)
	s_or_b32 exec_lo, exec_lo, s3
	v_mul_f32_e32 v8, v128, v8
	s_delay_alu instid0(VALU_DEP_1) | instskip(NEXT) | instid1(VALU_DEP_1)
	v_and_b32_e32 v132, 0x7f800000, v8
	v_cmp_ne_u32_e64 s2, 0x7f800000, v132
                                        ; implicit-def: $vgpr132
	s_delay_alu instid0(VALU_DEP_1) | instskip(NEXT) | instid1(SALU_CYCLE_1)
	s_and_saveexec_b32 s3, s2
	s_xor_b32 s2, exec_lo, s3
; %bb.55:                               ;   in Loop: Header=BB418_10 Depth=1
	v_bfe_u32 v132, v8, 16, 1
	s_delay_alu instid0(VALU_DEP_1)
	v_add3_u32 v132, v8, v132, 0x7fff
                                        ; implicit-def: $vgpr8
; %bb.56:                               ;   in Loop: Header=BB418_10 Depth=1
	s_and_not1_saveexec_b32 s3, s2
; %bb.57:                               ;   in Loop: Header=BB418_10 Depth=1
	v_and_b32_e32 v132, 0xffff, v8
	v_or_b32_e32 v133, 0x10000, v8
	s_delay_alu instid0(VALU_DEP_2) | instskip(NEXT) | instid1(VALU_DEP_1)
	v_cmp_eq_u32_e64 s2, 0, v132
	v_cndmask_b32_e64 v132, v133, v8, s2
; %bb.58:                               ;   in Loop: Header=BB418_10 Depth=1
	s_or_b32 exec_lo, exec_lo, s3
	flat_load_b32 v144, v[28:29] offset:8
	s_mov_b32 s3, exec_lo
	s_waitcnt vmcnt(0) lgkmcnt(0)
	v_dual_mov_b32 v8, 0 :: v_dual_and_b32 v133, 0xff, v144
	s_delay_alu instid0(VALU_DEP_1)
	v_cmpx_ne_u16_e64 0, v133
	s_cbranch_execz .LBB418_66
; %bb.59:                               ;   in Loop: Header=BB418_10 Depth=1
	v_bfrev_b32_e32 v8, 1
	s_mov_b32 s19, exec_lo
	v_cmpx_ne_u16_e64 0x80, v133
	s_cbranch_execz .LBB418_65
; %bb.60:                               ;   in Loop: Header=BB418_10 Depth=1
	v_and_b32_e32 v134, 0x7f, v144
	v_mov_b32_e32 v8, 0x7f800001
	s_mov_b32 s20, exec_lo
	s_delay_alu instid0(VALU_DEP_2)
	v_cmpx_ne_u32_e32 0x7f, v134
	s_cbranch_execz .LBB418_64
; %bb.61:                               ;   in Loop: Header=BB418_10 Depth=1
	v_and_b32_e32 v8, 7, v144
	v_lshrrev_b32_e32 v133, 3, v134
	s_mov_b32 s21, exec_lo
	v_cmpx_gt_u32_e32 8, v134
; %bb.62:                               ;   in Loop: Header=BB418_10 Depth=1
	s_delay_alu instid0(VALU_DEP_3) | instskip(NEXT) | instid1(VALU_DEP_1)
	v_clz_i32_u32_e32 v133, v8
	v_min_u32_e32 v133, 32, v133
	s_delay_alu instid0(VALU_DEP_1) | instskip(SKIP_1) | instid1(VALU_DEP_2)
	v_subrev_nc_u32_e32 v134, 28, v133
	v_sub_nc_u32_e32 v133, 29, v133
	v_lshlrev_b64 v[134:135], v134, v[8:9]
	s_delay_alu instid0(VALU_DEP_1)
	v_and_b32_e32 v8, 7, v134
; %bb.63:                               ;   in Loop: Header=BB418_10 Depth=1
	s_or_b32 exec_lo, exec_lo, s21
	v_lshlrev_b32_e32 v134, 24, v144
	s_delay_alu instid0(VALU_DEP_2) | instskip(SKIP_1) | instid1(VALU_DEP_3)
	v_lshlrev_b32_e32 v8, 20, v8
	v_lshl_add_u32 v133, v133, 23, 0x3c000000
	v_and_b32_e32 v134, 0x80000000, v134
	s_delay_alu instid0(VALU_DEP_1)
	v_or3_b32 v8, v8, v134, v133
.LBB418_64:                             ;   in Loop: Header=BB418_10 Depth=1
	s_or_b32 exec_lo, exec_lo, s20
.LBB418_65:                             ;   in Loop: Header=BB418_10 Depth=1
	s_delay_alu instid0(SALU_CYCLE_1)
	s_or_b32 exec_lo, exec_lo, s19
.LBB418_66:                             ;   in Loop: Header=BB418_10 Depth=1
	s_delay_alu instid0(SALU_CYCLE_1) | instskip(NEXT) | instid1(VALU_DEP_1)
	s_or_b32 exec_lo, exec_lo, s3
	v_mul_f32_e32 v8, v128, v8
	s_delay_alu instid0(VALU_DEP_1) | instskip(NEXT) | instid1(VALU_DEP_1)
	v_and_b32_e32 v133, 0x7f800000, v8
	v_cmp_ne_u32_e64 s2, 0x7f800000, v133
                                        ; implicit-def: $vgpr133
	s_delay_alu instid0(VALU_DEP_1) | instskip(NEXT) | instid1(SALU_CYCLE_1)
	s_and_saveexec_b32 s3, s2
	s_xor_b32 s2, exec_lo, s3
; %bb.67:                               ;   in Loop: Header=BB418_10 Depth=1
	v_bfe_u32 v133, v8, 16, 1
	s_delay_alu instid0(VALU_DEP_1)
	v_add3_u32 v133, v8, v133, 0x7fff
                                        ; implicit-def: $vgpr8
; %bb.68:                               ;   in Loop: Header=BB418_10 Depth=1
	s_and_not1_saveexec_b32 s3, s2
; %bb.69:                               ;   in Loop: Header=BB418_10 Depth=1
	v_and_b32_e32 v133, 0xffff, v8
	v_or_b32_e32 v134, 0x10000, v8
	s_delay_alu instid0(VALU_DEP_2) | instskip(NEXT) | instid1(VALU_DEP_1)
	v_cmp_eq_u32_e64 s2, 0, v133
	v_cndmask_b32_e64 v133, v134, v8, s2
; %bb.70:                               ;   in Loop: Header=BB418_10 Depth=1
	s_or_b32 exec_lo, exec_lo, s3
	v_lshrrev_b16 v134, 8, v144
	v_mov_b32_e32 v8, 0
	s_mov_b32 s3, exec_lo
	s_delay_alu instid0(VALU_DEP_2)
	v_cmpx_ne_u16_e64 0, v134
	s_cbranch_execz .LBB418_78
; %bb.71:                               ;   in Loop: Header=BB418_10 Depth=1
	v_bfrev_b32_e32 v8, 1
	s_mov_b32 s19, exec_lo
	v_cmpx_ne_u16_e64 0x80, v134
	s_cbranch_execz .LBB418_77
; %bb.72:                               ;   in Loop: Header=BB418_10 Depth=1
	v_and_b32_e32 v134, 0xffff, v134
	v_mov_b32_e32 v8, 0x7f800001
	s_mov_b32 s20, exec_lo
	s_delay_alu instid0(VALU_DEP_2) | instskip(NEXT) | instid1(VALU_DEP_1)
	v_and_b32_e32 v135, 0x7f, v134
	v_cmpx_ne_u32_e32 0x7f, v135
	s_cbranch_execz .LBB418_76
; %bb.73:                               ;   in Loop: Header=BB418_10 Depth=1
	v_and_b32_e32 v8, 7, v134
	v_lshrrev_b32_e32 v134, 3, v135
	s_mov_b32 s21, exec_lo
	v_cmpx_gt_u32_e32 8, v135
; %bb.74:                               ;   in Loop: Header=BB418_10 Depth=1
	s_delay_alu instid0(VALU_DEP_3) | instskip(NEXT) | instid1(VALU_DEP_1)
	v_clz_i32_u32_e32 v134, v8
	v_min_u32_e32 v134, 32, v134
	s_delay_alu instid0(VALU_DEP_1) | instskip(SKIP_1) | instid1(VALU_DEP_2)
	v_subrev_nc_u32_e32 v135, 28, v134
	v_sub_nc_u32_e32 v134, 29, v134
	v_lshlrev_b64 v[145:146], v135, v[8:9]
	s_delay_alu instid0(VALU_DEP_1)
	v_and_b32_e32 v8, 7, v145
; %bb.75:                               ;   in Loop: Header=BB418_10 Depth=1
	s_or_b32 exec_lo, exec_lo, s21
	v_lshlrev_b32_e32 v135, 16, v144
	s_delay_alu instid0(VALU_DEP_2) | instskip(SKIP_1) | instid1(VALU_DEP_3)
	v_lshlrev_b32_e32 v8, 20, v8
	v_lshl_add_u32 v134, v134, 23, 0x3c000000
	v_and_b32_e32 v135, 0x80000000, v135
	s_delay_alu instid0(VALU_DEP_1)
	v_or3_b32 v8, v8, v135, v134
.LBB418_76:                             ;   in Loop: Header=BB418_10 Depth=1
	s_or_b32 exec_lo, exec_lo, s20
.LBB418_77:                             ;   in Loop: Header=BB418_10 Depth=1
	s_delay_alu instid0(SALU_CYCLE_1)
	s_or_b32 exec_lo, exec_lo, s19
.LBB418_78:                             ;   in Loop: Header=BB418_10 Depth=1
	s_delay_alu instid0(SALU_CYCLE_1) | instskip(NEXT) | instid1(VALU_DEP_1)
	s_or_b32 exec_lo, exec_lo, s3
	v_mul_f32_e32 v8, v128, v8
	s_delay_alu instid0(VALU_DEP_1) | instskip(NEXT) | instid1(VALU_DEP_1)
	v_and_b32_e32 v134, 0x7f800000, v8
	v_cmp_ne_u32_e64 s2, 0x7f800000, v134
                                        ; implicit-def: $vgpr134
	s_delay_alu instid0(VALU_DEP_1) | instskip(NEXT) | instid1(SALU_CYCLE_1)
	s_and_saveexec_b32 s3, s2
	s_xor_b32 s2, exec_lo, s3
; %bb.79:                               ;   in Loop: Header=BB418_10 Depth=1
	v_bfe_u32 v134, v8, 16, 1
	s_delay_alu instid0(VALU_DEP_1)
	v_add3_u32 v134, v8, v134, 0x7fff
                                        ; implicit-def: $vgpr8
; %bb.80:                               ;   in Loop: Header=BB418_10 Depth=1
	s_and_not1_saveexec_b32 s3, s2
; %bb.81:                               ;   in Loop: Header=BB418_10 Depth=1
	v_and_b32_e32 v134, 0xffff, v8
	v_or_b32_e32 v135, 0x10000, v8
	s_delay_alu instid0(VALU_DEP_2) | instskip(NEXT) | instid1(VALU_DEP_1)
	v_cmp_eq_u32_e64 s2, 0, v134
	v_cndmask_b32_e64 v134, v135, v8, s2
; %bb.82:                               ;   in Loop: Header=BB418_10 Depth=1
	s_or_b32 exec_lo, exec_lo, s3
	v_lshrrev_b32_e32 v135, 16, v144
	s_mov_b32 s3, exec_lo
	s_delay_alu instid0(VALU_DEP_1) | instskip(NEXT) | instid1(VALU_DEP_1)
	v_dual_mov_b32 v8, 0 :: v_dual_and_b32 v145, 0xff, v135
	v_cmpx_ne_u16_e64 0, v145
	s_cbranch_execz .LBB418_90
; %bb.83:                               ;   in Loop: Header=BB418_10 Depth=1
	v_bfrev_b32_e32 v8, 1
	s_mov_b32 s19, exec_lo
	v_cmpx_ne_u16_e64 0x80, v145
	s_cbranch_execz .LBB418_89
; %bb.84:                               ;   in Loop: Header=BB418_10 Depth=1
	v_bfe_u32 v146, v144, 16, 7
	v_mov_b32_e32 v8, 0x7f800001
	s_mov_b32 s20, exec_lo
	s_delay_alu instid0(VALU_DEP_2)
	v_cmpx_ne_u32_e32 0x7f, v146
	s_cbranch_execz .LBB418_88
; %bb.85:                               ;   in Loop: Header=BB418_10 Depth=1
	v_and_b32_e32 v8, 7, v135
	v_lshrrev_b32_e32 v145, 3, v146
	s_mov_b32 s21, exec_lo
	v_cmpx_gt_u32_e32 8, v146
; %bb.86:                               ;   in Loop: Header=BB418_10 Depth=1
	s_delay_alu instid0(VALU_DEP_3) | instskip(NEXT) | instid1(VALU_DEP_1)
	v_clz_i32_u32_e32 v145, v8
	v_min_u32_e32 v145, 32, v145
	s_delay_alu instid0(VALU_DEP_1) | instskip(SKIP_1) | instid1(VALU_DEP_2)
	v_subrev_nc_u32_e32 v146, 28, v145
	v_sub_nc_u32_e32 v145, 29, v145
	v_lshlrev_b64 v[146:147], v146, v[8:9]
	s_delay_alu instid0(VALU_DEP_1)
	v_and_b32_e32 v8, 7, v146
; %bb.87:                               ;   in Loop: Header=BB418_10 Depth=1
	s_or_b32 exec_lo, exec_lo, s21
	v_lshlrev_b32_e32 v135, 24, v135
	s_delay_alu instid0(VALU_DEP_2) | instskip(SKIP_1) | instid1(VALU_DEP_3)
	v_lshlrev_b32_e32 v8, 20, v8
	v_lshl_add_u32 v145, v145, 23, 0x3c000000
	v_and_b32_e32 v135, 0x80000000, v135
	s_delay_alu instid0(VALU_DEP_1)
	v_or3_b32 v8, v8, v135, v145
.LBB418_88:                             ;   in Loop: Header=BB418_10 Depth=1
	s_or_b32 exec_lo, exec_lo, s20
.LBB418_89:                             ;   in Loop: Header=BB418_10 Depth=1
	s_delay_alu instid0(SALU_CYCLE_1)
	s_or_b32 exec_lo, exec_lo, s19
.LBB418_90:                             ;   in Loop: Header=BB418_10 Depth=1
	s_delay_alu instid0(SALU_CYCLE_1) | instskip(NEXT) | instid1(VALU_DEP_1)
	s_or_b32 exec_lo, exec_lo, s3
	v_mul_f32_e32 v8, v128, v8
	s_delay_alu instid0(VALU_DEP_1) | instskip(NEXT) | instid1(VALU_DEP_1)
	v_and_b32_e32 v135, 0x7f800000, v8
	v_cmp_ne_u32_e64 s2, 0x7f800000, v135
                                        ; implicit-def: $vgpr135
	s_delay_alu instid0(VALU_DEP_1) | instskip(NEXT) | instid1(SALU_CYCLE_1)
	s_and_saveexec_b32 s3, s2
	s_xor_b32 s2, exec_lo, s3
; %bb.91:                               ;   in Loop: Header=BB418_10 Depth=1
	v_bfe_u32 v135, v8, 16, 1
	s_delay_alu instid0(VALU_DEP_1)
	v_add3_u32 v135, v8, v135, 0x7fff
                                        ; implicit-def: $vgpr8
; %bb.92:                               ;   in Loop: Header=BB418_10 Depth=1
	s_and_not1_saveexec_b32 s3, s2
; %bb.93:                               ;   in Loop: Header=BB418_10 Depth=1
	v_and_b32_e32 v135, 0xffff, v8
	v_or_b32_e32 v145, 0x10000, v8
	s_delay_alu instid0(VALU_DEP_2) | instskip(NEXT) | instid1(VALU_DEP_1)
	v_cmp_eq_u32_e64 s2, 0, v135
	v_cndmask_b32_e64 v135, v145, v8, s2
; %bb.94:                               ;   in Loop: Header=BB418_10 Depth=1
	s_or_b32 exec_lo, exec_lo, s3
	v_mov_b32_e32 v8, 0
	s_mov_b32 s3, exec_lo
	v_cmpx_lt_u32_e32 0xffffff, v144
	s_cbranch_execz .LBB418_102
; %bb.95:                               ;   in Loop: Header=BB418_10 Depth=1
	v_lshrrev_b32_e32 v145, 24, v144
	v_bfrev_b32_e32 v8, 1
	s_mov_b32 s19, exec_lo
	s_delay_alu instid0(VALU_DEP_2)
	v_cmpx_ne_u32_e32 0x80, v145
	s_cbranch_execz .LBB418_101
; %bb.96:                               ;   in Loop: Header=BB418_10 Depth=1
	v_bfe_u32 v146, v144, 24, 7
	v_mov_b32_e32 v8, 0x7f800001
	s_mov_b32 s20, exec_lo
	s_delay_alu instid0(VALU_DEP_2)
	v_cmpx_ne_u32_e32 0x7f, v146
	s_cbranch_execz .LBB418_100
; %bb.97:                               ;   in Loop: Header=BB418_10 Depth=1
	v_and_b32_e32 v8, 7, v145
	v_lshrrev_b32_e32 v144, 3, v146
	s_mov_b32 s21, exec_lo
	v_cmpx_gt_u32_e32 8, v146
; %bb.98:                               ;   in Loop: Header=BB418_10 Depth=1
	s_delay_alu instid0(VALU_DEP_3) | instskip(NEXT) | instid1(VALU_DEP_1)
	v_clz_i32_u32_e32 v144, v8
	v_min_u32_e32 v144, 32, v144
	s_delay_alu instid0(VALU_DEP_1) | instskip(SKIP_1) | instid1(VALU_DEP_2)
	v_subrev_nc_u32_e32 v146, 28, v144
	v_sub_nc_u32_e32 v144, 29, v144
	v_lshlrev_b64 v[146:147], v146, v[8:9]
	s_delay_alu instid0(VALU_DEP_1)
	v_and_b32_e32 v8, 7, v146
; %bb.99:                               ;   in Loop: Header=BB418_10 Depth=1
	s_or_b32 exec_lo, exec_lo, s21
	v_lshlrev_b32_e32 v145, 24, v145
	s_delay_alu instid0(VALU_DEP_2) | instskip(SKIP_1) | instid1(VALU_DEP_3)
	v_lshlrev_b32_e32 v8, 20, v8
	v_lshl_add_u32 v144, v144, 23, 0x3c000000
	v_and_b32_e32 v145, 0x80000000, v145
	s_delay_alu instid0(VALU_DEP_1)
	v_or3_b32 v8, v8, v145, v144
.LBB418_100:                            ;   in Loop: Header=BB418_10 Depth=1
	s_or_b32 exec_lo, exec_lo, s20
.LBB418_101:                            ;   in Loop: Header=BB418_10 Depth=1
	s_delay_alu instid0(SALU_CYCLE_1)
	s_or_b32 exec_lo, exec_lo, s19
.LBB418_102:                            ;   in Loop: Header=BB418_10 Depth=1
	s_delay_alu instid0(SALU_CYCLE_1) | instskip(NEXT) | instid1(VALU_DEP_1)
	s_or_b32 exec_lo, exec_lo, s3
	v_mul_f32_e32 v8, v128, v8
	s_delay_alu instid0(VALU_DEP_1) | instskip(NEXT) | instid1(VALU_DEP_1)
	v_and_b32_e32 v144, 0x7f800000, v8
	v_cmp_ne_u32_e64 s2, 0x7f800000, v144
                                        ; implicit-def: $vgpr144
	s_delay_alu instid0(VALU_DEP_1) | instskip(NEXT) | instid1(SALU_CYCLE_1)
	s_and_saveexec_b32 s3, s2
	s_xor_b32 s2, exec_lo, s3
; %bb.103:                              ;   in Loop: Header=BB418_10 Depth=1
	v_bfe_u32 v144, v8, 16, 1
	s_delay_alu instid0(VALU_DEP_1)
	v_add3_u32 v144, v8, v144, 0x7fff
                                        ; implicit-def: $vgpr8
; %bb.104:                              ;   in Loop: Header=BB418_10 Depth=1
	s_and_not1_saveexec_b32 s3, s2
; %bb.105:                              ;   in Loop: Header=BB418_10 Depth=1
	v_and_b32_e32 v144, 0xffff, v8
	v_or_b32_e32 v145, 0x10000, v8
	s_delay_alu instid0(VALU_DEP_2) | instskip(NEXT) | instid1(VALU_DEP_1)
	v_cmp_eq_u32_e64 s2, 0, v144
	v_cndmask_b32_e64 v144, v145, v8, s2
; %bb.106:                              ;   in Loop: Header=BB418_10 Depth=1
	s_or_b32 exec_lo, exec_lo, s3
	flat_load_b32 v148, v[28:29] offset:256
	s_mov_b32 s3, exec_lo
	s_waitcnt vmcnt(0) lgkmcnt(0)
	v_dual_mov_b32 v8, 0 :: v_dual_and_b32 v145, 0xff, v148
	s_delay_alu instid0(VALU_DEP_1)
	v_cmpx_ne_u16_e64 0, v145
	s_cbranch_execz .LBB418_114
; %bb.107:                              ;   in Loop: Header=BB418_10 Depth=1
	v_bfrev_b32_e32 v8, 1
	s_mov_b32 s19, exec_lo
	v_cmpx_ne_u16_e64 0x80, v145
	s_cbranch_execz .LBB418_113
; %bb.108:                              ;   in Loop: Header=BB418_10 Depth=1
	v_and_b32_e32 v146, 0x7f, v148
	v_mov_b32_e32 v8, 0x7f800001
	s_mov_b32 s20, exec_lo
	s_delay_alu instid0(VALU_DEP_2)
	v_cmpx_ne_u32_e32 0x7f, v146
	s_cbranch_execz .LBB418_112
; %bb.109:                              ;   in Loop: Header=BB418_10 Depth=1
	v_and_b32_e32 v8, 7, v148
	v_lshrrev_b32_e32 v145, 3, v146
	s_mov_b32 s21, exec_lo
	v_cmpx_gt_u32_e32 8, v146
; %bb.110:                              ;   in Loop: Header=BB418_10 Depth=1
	s_delay_alu instid0(VALU_DEP_3) | instskip(NEXT) | instid1(VALU_DEP_1)
	v_clz_i32_u32_e32 v145, v8
	v_min_u32_e32 v145, 32, v145
	s_delay_alu instid0(VALU_DEP_1) | instskip(SKIP_1) | instid1(VALU_DEP_2)
	v_subrev_nc_u32_e32 v146, 28, v145
	v_sub_nc_u32_e32 v145, 29, v145
	v_lshlrev_b64 v[146:147], v146, v[8:9]
	s_delay_alu instid0(VALU_DEP_1)
	v_and_b32_e32 v8, 7, v146
; %bb.111:                              ;   in Loop: Header=BB418_10 Depth=1
	s_or_b32 exec_lo, exec_lo, s21
	v_lshlrev_b32_e32 v146, 24, v148
	s_delay_alu instid0(VALU_DEP_2) | instskip(SKIP_1) | instid1(VALU_DEP_3)
	v_lshlrev_b32_e32 v8, 20, v8
	v_lshl_add_u32 v145, v145, 23, 0x3c000000
	v_and_b32_e32 v146, 0x80000000, v146
	s_delay_alu instid0(VALU_DEP_1)
	v_or3_b32 v8, v8, v146, v145
.LBB418_112:                            ;   in Loop: Header=BB418_10 Depth=1
	s_or_b32 exec_lo, exec_lo, s20
.LBB418_113:                            ;   in Loop: Header=BB418_10 Depth=1
	s_delay_alu instid0(SALU_CYCLE_1)
	s_or_b32 exec_lo, exec_lo, s19
.LBB418_114:                            ;   in Loop: Header=BB418_10 Depth=1
	s_delay_alu instid0(SALU_CYCLE_1) | instskip(NEXT) | instid1(VALU_DEP_1)
	s_or_b32 exec_lo, exec_lo, s3
	v_mul_f32_e32 v8, v128, v8
	s_delay_alu instid0(VALU_DEP_1) | instskip(NEXT) | instid1(VALU_DEP_1)
	v_and_b32_e32 v145, 0x7f800000, v8
	v_cmp_ne_u32_e64 s2, 0x7f800000, v145
                                        ; implicit-def: $vgpr145
	s_delay_alu instid0(VALU_DEP_1) | instskip(NEXT) | instid1(SALU_CYCLE_1)
	s_and_saveexec_b32 s3, s2
	s_xor_b32 s2, exec_lo, s3
; %bb.115:                              ;   in Loop: Header=BB418_10 Depth=1
	v_bfe_u32 v145, v8, 16, 1
	s_delay_alu instid0(VALU_DEP_1)
	v_add3_u32 v145, v8, v145, 0x7fff
                                        ; implicit-def: $vgpr8
; %bb.116:                              ;   in Loop: Header=BB418_10 Depth=1
	s_and_not1_saveexec_b32 s3, s2
; %bb.117:                              ;   in Loop: Header=BB418_10 Depth=1
	v_and_b32_e32 v145, 0xffff, v8
	v_or_b32_e32 v146, 0x10000, v8
	s_delay_alu instid0(VALU_DEP_2) | instskip(NEXT) | instid1(VALU_DEP_1)
	v_cmp_eq_u32_e64 s2, 0, v145
	v_cndmask_b32_e64 v145, v146, v8, s2
; %bb.118:                              ;   in Loop: Header=BB418_10 Depth=1
	s_or_b32 exec_lo, exec_lo, s3
	v_lshrrev_b16 v146, 8, v148
	v_mov_b32_e32 v8, 0
	s_mov_b32 s3, exec_lo
	s_delay_alu instid0(VALU_DEP_2)
	v_cmpx_ne_u16_e64 0, v146
	s_cbranch_execz .LBB418_126
; %bb.119:                              ;   in Loop: Header=BB418_10 Depth=1
	v_bfrev_b32_e32 v8, 1
	s_mov_b32 s19, exec_lo
	v_cmpx_ne_u16_e64 0x80, v146
	s_cbranch_execz .LBB418_125
; %bb.120:                              ;   in Loop: Header=BB418_10 Depth=1
	v_and_b32_e32 v146, 0xffff, v146
	v_mov_b32_e32 v8, 0x7f800001
	s_mov_b32 s20, exec_lo
	s_delay_alu instid0(VALU_DEP_2) | instskip(NEXT) | instid1(VALU_DEP_1)
	v_and_b32_e32 v147, 0x7f, v146
	v_cmpx_ne_u32_e32 0x7f, v147
	s_cbranch_execz .LBB418_124
; %bb.121:                              ;   in Loop: Header=BB418_10 Depth=1
	v_and_b32_e32 v8, 7, v146
	v_lshrrev_b32_e32 v146, 3, v147
	s_mov_b32 s21, exec_lo
	v_cmpx_gt_u32_e32 8, v147
; %bb.122:                              ;   in Loop: Header=BB418_10 Depth=1
	s_delay_alu instid0(VALU_DEP_3) | instskip(NEXT) | instid1(VALU_DEP_1)
	v_clz_i32_u32_e32 v146, v8
	v_min_u32_e32 v146, 32, v146
	s_delay_alu instid0(VALU_DEP_1) | instskip(SKIP_1) | instid1(VALU_DEP_2)
	v_subrev_nc_u32_e32 v147, 28, v146
	v_sub_nc_u32_e32 v146, 29, v146
	v_lshlrev_b64 v[149:150], v147, v[8:9]
	s_delay_alu instid0(VALU_DEP_1)
	v_and_b32_e32 v8, 7, v149
; %bb.123:                              ;   in Loop: Header=BB418_10 Depth=1
	s_or_b32 exec_lo, exec_lo, s21
	v_lshlrev_b32_e32 v147, 16, v148
	s_delay_alu instid0(VALU_DEP_2) | instskip(SKIP_1) | instid1(VALU_DEP_3)
	v_lshlrev_b32_e32 v8, 20, v8
	v_lshl_add_u32 v146, v146, 23, 0x3c000000
	v_and_b32_e32 v147, 0x80000000, v147
	s_delay_alu instid0(VALU_DEP_1)
	v_or3_b32 v8, v8, v147, v146
.LBB418_124:                            ;   in Loop: Header=BB418_10 Depth=1
	s_or_b32 exec_lo, exec_lo, s20
.LBB418_125:                            ;   in Loop: Header=BB418_10 Depth=1
	s_delay_alu instid0(SALU_CYCLE_1)
	s_or_b32 exec_lo, exec_lo, s19
.LBB418_126:                            ;   in Loop: Header=BB418_10 Depth=1
	s_delay_alu instid0(SALU_CYCLE_1) | instskip(NEXT) | instid1(VALU_DEP_1)
	s_or_b32 exec_lo, exec_lo, s3
	v_mul_f32_e32 v8, v128, v8
	s_delay_alu instid0(VALU_DEP_1) | instskip(NEXT) | instid1(VALU_DEP_1)
	v_and_b32_e32 v146, 0x7f800000, v8
	v_cmp_ne_u32_e64 s2, 0x7f800000, v146
                                        ; implicit-def: $vgpr146
	s_delay_alu instid0(VALU_DEP_1) | instskip(NEXT) | instid1(SALU_CYCLE_1)
	s_and_saveexec_b32 s3, s2
	s_xor_b32 s2, exec_lo, s3
; %bb.127:                              ;   in Loop: Header=BB418_10 Depth=1
	v_bfe_u32 v146, v8, 16, 1
	s_delay_alu instid0(VALU_DEP_1)
	v_add3_u32 v146, v8, v146, 0x7fff
                                        ; implicit-def: $vgpr8
; %bb.128:                              ;   in Loop: Header=BB418_10 Depth=1
	s_and_not1_saveexec_b32 s3, s2
; %bb.129:                              ;   in Loop: Header=BB418_10 Depth=1
	v_and_b32_e32 v146, 0xffff, v8
	v_or_b32_e32 v147, 0x10000, v8
	s_delay_alu instid0(VALU_DEP_2) | instskip(NEXT) | instid1(VALU_DEP_1)
	v_cmp_eq_u32_e64 s2, 0, v146
	v_cndmask_b32_e64 v146, v147, v8, s2
; %bb.130:                              ;   in Loop: Header=BB418_10 Depth=1
	s_or_b32 exec_lo, exec_lo, s3
	v_lshrrev_b32_e32 v147, 16, v148
	s_mov_b32 s3, exec_lo
	s_delay_alu instid0(VALU_DEP_1) | instskip(NEXT) | instid1(VALU_DEP_1)
	v_dual_mov_b32 v8, 0 :: v_dual_and_b32 v149, 0xff, v147
	v_cmpx_ne_u16_e64 0, v149
	s_cbranch_execz .LBB418_138
; %bb.131:                              ;   in Loop: Header=BB418_10 Depth=1
	v_bfrev_b32_e32 v8, 1
	s_mov_b32 s19, exec_lo
	v_cmpx_ne_u16_e64 0x80, v149
	s_cbranch_execz .LBB418_137
; %bb.132:                              ;   in Loop: Header=BB418_10 Depth=1
	v_bfe_u32 v150, v148, 16, 7
	v_mov_b32_e32 v8, 0x7f800001
	s_mov_b32 s20, exec_lo
	s_delay_alu instid0(VALU_DEP_2)
	v_cmpx_ne_u32_e32 0x7f, v150
	s_cbranch_execz .LBB418_136
; %bb.133:                              ;   in Loop: Header=BB418_10 Depth=1
	v_and_b32_e32 v8, 7, v147
	v_lshrrev_b32_e32 v149, 3, v150
	s_mov_b32 s21, exec_lo
	v_cmpx_gt_u32_e32 8, v150
; %bb.134:                              ;   in Loop: Header=BB418_10 Depth=1
	s_delay_alu instid0(VALU_DEP_3) | instskip(NEXT) | instid1(VALU_DEP_1)
	v_clz_i32_u32_e32 v149, v8
	v_min_u32_e32 v149, 32, v149
	s_delay_alu instid0(VALU_DEP_1) | instskip(SKIP_1) | instid1(VALU_DEP_2)
	v_subrev_nc_u32_e32 v150, 28, v149
	v_sub_nc_u32_e32 v149, 29, v149
	v_lshlrev_b64 v[150:151], v150, v[8:9]
	s_delay_alu instid0(VALU_DEP_1)
	v_and_b32_e32 v8, 7, v150
; %bb.135:                              ;   in Loop: Header=BB418_10 Depth=1
	s_or_b32 exec_lo, exec_lo, s21
	v_lshlrev_b32_e32 v147, 24, v147
	s_delay_alu instid0(VALU_DEP_2) | instskip(SKIP_1) | instid1(VALU_DEP_3)
	v_lshlrev_b32_e32 v8, 20, v8
	v_lshl_add_u32 v149, v149, 23, 0x3c000000
	v_and_b32_e32 v147, 0x80000000, v147
	s_delay_alu instid0(VALU_DEP_1)
	v_or3_b32 v8, v8, v147, v149
.LBB418_136:                            ;   in Loop: Header=BB418_10 Depth=1
	s_or_b32 exec_lo, exec_lo, s20
.LBB418_137:                            ;   in Loop: Header=BB418_10 Depth=1
	s_delay_alu instid0(SALU_CYCLE_1)
	s_or_b32 exec_lo, exec_lo, s19
.LBB418_138:                            ;   in Loop: Header=BB418_10 Depth=1
	s_delay_alu instid0(SALU_CYCLE_1) | instskip(NEXT) | instid1(VALU_DEP_1)
	s_or_b32 exec_lo, exec_lo, s3
	v_mul_f32_e32 v8, v128, v8
	s_delay_alu instid0(VALU_DEP_1) | instskip(NEXT) | instid1(VALU_DEP_1)
	v_and_b32_e32 v147, 0x7f800000, v8
	v_cmp_ne_u32_e64 s2, 0x7f800000, v147
                                        ; implicit-def: $vgpr147
	s_delay_alu instid0(VALU_DEP_1) | instskip(NEXT) | instid1(SALU_CYCLE_1)
	s_and_saveexec_b32 s3, s2
	s_xor_b32 s2, exec_lo, s3
; %bb.139:                              ;   in Loop: Header=BB418_10 Depth=1
	v_bfe_u32 v147, v8, 16, 1
	s_delay_alu instid0(VALU_DEP_1)
	v_add3_u32 v147, v8, v147, 0x7fff
                                        ; implicit-def: $vgpr8
; %bb.140:                              ;   in Loop: Header=BB418_10 Depth=1
	s_and_not1_saveexec_b32 s3, s2
; %bb.141:                              ;   in Loop: Header=BB418_10 Depth=1
	v_and_b32_e32 v147, 0xffff, v8
	v_or_b32_e32 v149, 0x10000, v8
	s_delay_alu instid0(VALU_DEP_2) | instskip(NEXT) | instid1(VALU_DEP_1)
	v_cmp_eq_u32_e64 s2, 0, v147
	v_cndmask_b32_e64 v147, v149, v8, s2
; %bb.142:                              ;   in Loop: Header=BB418_10 Depth=1
	s_or_b32 exec_lo, exec_lo, s3
	v_mov_b32_e32 v8, 0
	s_mov_b32 s3, exec_lo
	v_cmpx_lt_u32_e32 0xffffff, v148
	s_cbranch_execz .LBB418_150
; %bb.143:                              ;   in Loop: Header=BB418_10 Depth=1
	v_lshrrev_b32_e32 v149, 24, v148
	v_bfrev_b32_e32 v8, 1
	s_mov_b32 s19, exec_lo
	s_delay_alu instid0(VALU_DEP_2)
	v_cmpx_ne_u32_e32 0x80, v149
	s_cbranch_execz .LBB418_149
; %bb.144:                              ;   in Loop: Header=BB418_10 Depth=1
	v_bfe_u32 v150, v148, 24, 7
	v_mov_b32_e32 v8, 0x7f800001
	s_mov_b32 s20, exec_lo
	s_delay_alu instid0(VALU_DEP_2)
	v_cmpx_ne_u32_e32 0x7f, v150
	s_cbranch_execz .LBB418_148
; %bb.145:                              ;   in Loop: Header=BB418_10 Depth=1
	v_and_b32_e32 v8, 7, v149
	v_lshrrev_b32_e32 v148, 3, v150
	s_mov_b32 s21, exec_lo
	v_cmpx_gt_u32_e32 8, v150
; %bb.146:                              ;   in Loop: Header=BB418_10 Depth=1
	s_delay_alu instid0(VALU_DEP_3) | instskip(NEXT) | instid1(VALU_DEP_1)
	v_clz_i32_u32_e32 v148, v8
	v_min_u32_e32 v148, 32, v148
	s_delay_alu instid0(VALU_DEP_1) | instskip(SKIP_1) | instid1(VALU_DEP_2)
	v_subrev_nc_u32_e32 v150, 28, v148
	v_sub_nc_u32_e32 v148, 29, v148
	v_lshlrev_b64 v[150:151], v150, v[8:9]
	s_delay_alu instid0(VALU_DEP_1)
	v_and_b32_e32 v8, 7, v150
; %bb.147:                              ;   in Loop: Header=BB418_10 Depth=1
	s_or_b32 exec_lo, exec_lo, s21
	v_lshlrev_b32_e32 v149, 24, v149
	s_delay_alu instid0(VALU_DEP_2) | instskip(SKIP_1) | instid1(VALU_DEP_3)
	v_lshlrev_b32_e32 v8, 20, v8
	v_lshl_add_u32 v148, v148, 23, 0x3c000000
	v_and_b32_e32 v149, 0x80000000, v149
	s_delay_alu instid0(VALU_DEP_1)
	v_or3_b32 v8, v8, v149, v148
.LBB418_148:                            ;   in Loop: Header=BB418_10 Depth=1
	s_or_b32 exec_lo, exec_lo, s20
.LBB418_149:                            ;   in Loop: Header=BB418_10 Depth=1
	s_delay_alu instid0(SALU_CYCLE_1)
	s_or_b32 exec_lo, exec_lo, s19
.LBB418_150:                            ;   in Loop: Header=BB418_10 Depth=1
	s_delay_alu instid0(SALU_CYCLE_1) | instskip(NEXT) | instid1(VALU_DEP_1)
	s_or_b32 exec_lo, exec_lo, s3
	v_mul_f32_e32 v8, v128, v8
	s_delay_alu instid0(VALU_DEP_1) | instskip(NEXT) | instid1(VALU_DEP_1)
	v_and_b32_e32 v148, 0x7f800000, v8
	v_cmp_ne_u32_e64 s2, 0x7f800000, v148
                                        ; implicit-def: $vgpr148
	s_delay_alu instid0(VALU_DEP_1) | instskip(NEXT) | instid1(SALU_CYCLE_1)
	s_and_saveexec_b32 s3, s2
	s_xor_b32 s2, exec_lo, s3
; %bb.151:                              ;   in Loop: Header=BB418_10 Depth=1
	v_bfe_u32 v148, v8, 16, 1
	s_delay_alu instid0(VALU_DEP_1)
	v_add3_u32 v148, v8, v148, 0x7fff
                                        ; implicit-def: $vgpr8
; %bb.152:                              ;   in Loop: Header=BB418_10 Depth=1
	s_and_not1_saveexec_b32 s3, s2
; %bb.153:                              ;   in Loop: Header=BB418_10 Depth=1
	v_and_b32_e32 v148, 0xffff, v8
	v_or_b32_e32 v149, 0x10000, v8
	s_delay_alu instid0(VALU_DEP_2) | instskip(NEXT) | instid1(VALU_DEP_1)
	v_cmp_eq_u32_e64 s2, 0, v148
	v_cndmask_b32_e64 v148, v149, v8, s2
; %bb.154:                              ;   in Loop: Header=BB418_10 Depth=1
	s_or_b32 exec_lo, exec_lo, s3
	flat_load_b32 v160, v[28:29] offset:264
	s_mov_b32 s3, exec_lo
	s_waitcnt vmcnt(0) lgkmcnt(0)
	v_dual_mov_b32 v8, 0 :: v_dual_and_b32 v149, 0xff, v160
	s_delay_alu instid0(VALU_DEP_1)
	v_cmpx_ne_u16_e64 0, v149
	s_cbranch_execz .LBB418_162
; %bb.155:                              ;   in Loop: Header=BB418_10 Depth=1
	v_bfrev_b32_e32 v8, 1
	s_mov_b32 s19, exec_lo
	v_cmpx_ne_u16_e64 0x80, v149
	s_cbranch_execz .LBB418_161
; %bb.156:                              ;   in Loop: Header=BB418_10 Depth=1
	v_and_b32_e32 v150, 0x7f, v160
	v_mov_b32_e32 v8, 0x7f800001
	s_mov_b32 s20, exec_lo
	s_delay_alu instid0(VALU_DEP_2)
	v_cmpx_ne_u32_e32 0x7f, v150
	s_cbranch_execz .LBB418_160
; %bb.157:                              ;   in Loop: Header=BB418_10 Depth=1
	v_and_b32_e32 v8, 7, v160
	v_lshrrev_b32_e32 v149, 3, v150
	s_mov_b32 s21, exec_lo
	v_cmpx_gt_u32_e32 8, v150
; %bb.158:                              ;   in Loop: Header=BB418_10 Depth=1
	s_delay_alu instid0(VALU_DEP_3) | instskip(NEXT) | instid1(VALU_DEP_1)
	v_clz_i32_u32_e32 v149, v8
	v_min_u32_e32 v149, 32, v149
	s_delay_alu instid0(VALU_DEP_1) | instskip(SKIP_1) | instid1(VALU_DEP_2)
	v_subrev_nc_u32_e32 v150, 28, v149
	v_sub_nc_u32_e32 v149, 29, v149
	v_lshlrev_b64 v[150:151], v150, v[8:9]
	s_delay_alu instid0(VALU_DEP_1)
	v_and_b32_e32 v8, 7, v150
; %bb.159:                              ;   in Loop: Header=BB418_10 Depth=1
	s_or_b32 exec_lo, exec_lo, s21
	v_lshlrev_b32_e32 v150, 24, v160
	s_delay_alu instid0(VALU_DEP_2) | instskip(SKIP_1) | instid1(VALU_DEP_3)
	v_lshlrev_b32_e32 v8, 20, v8
	v_lshl_add_u32 v149, v149, 23, 0x3c000000
	v_and_b32_e32 v150, 0x80000000, v150
	s_delay_alu instid0(VALU_DEP_1)
	v_or3_b32 v8, v8, v150, v149
.LBB418_160:                            ;   in Loop: Header=BB418_10 Depth=1
	s_or_b32 exec_lo, exec_lo, s20
.LBB418_161:                            ;   in Loop: Header=BB418_10 Depth=1
	s_delay_alu instid0(SALU_CYCLE_1)
	s_or_b32 exec_lo, exec_lo, s19
.LBB418_162:                            ;   in Loop: Header=BB418_10 Depth=1
	s_delay_alu instid0(SALU_CYCLE_1) | instskip(NEXT) | instid1(VALU_DEP_1)
	s_or_b32 exec_lo, exec_lo, s3
	v_mul_f32_e32 v8, v128, v8
	s_delay_alu instid0(VALU_DEP_1) | instskip(NEXT) | instid1(VALU_DEP_1)
	v_and_b32_e32 v149, 0x7f800000, v8
	v_cmp_ne_u32_e64 s2, 0x7f800000, v149
                                        ; implicit-def: $vgpr149
	s_delay_alu instid0(VALU_DEP_1) | instskip(NEXT) | instid1(SALU_CYCLE_1)
	s_and_saveexec_b32 s3, s2
	s_xor_b32 s2, exec_lo, s3
; %bb.163:                              ;   in Loop: Header=BB418_10 Depth=1
	v_bfe_u32 v149, v8, 16, 1
	s_delay_alu instid0(VALU_DEP_1)
	v_add3_u32 v149, v8, v149, 0x7fff
                                        ; implicit-def: $vgpr8
; %bb.164:                              ;   in Loop: Header=BB418_10 Depth=1
	s_and_not1_saveexec_b32 s3, s2
; %bb.165:                              ;   in Loop: Header=BB418_10 Depth=1
	v_and_b32_e32 v149, 0xffff, v8
	v_or_b32_e32 v150, 0x10000, v8
	s_delay_alu instid0(VALU_DEP_2) | instskip(NEXT) | instid1(VALU_DEP_1)
	v_cmp_eq_u32_e64 s2, 0, v149
	v_cndmask_b32_e64 v149, v150, v8, s2
; %bb.166:                              ;   in Loop: Header=BB418_10 Depth=1
	s_or_b32 exec_lo, exec_lo, s3
	v_lshrrev_b16 v150, 8, v160
	v_mov_b32_e32 v8, 0
	s_mov_b32 s3, exec_lo
	s_delay_alu instid0(VALU_DEP_2)
	v_cmpx_ne_u16_e64 0, v150
	s_cbranch_execz .LBB418_174
; %bb.167:                              ;   in Loop: Header=BB418_10 Depth=1
	v_bfrev_b32_e32 v8, 1
	s_mov_b32 s19, exec_lo
	v_cmpx_ne_u16_e64 0x80, v150
	s_cbranch_execz .LBB418_173
; %bb.168:                              ;   in Loop: Header=BB418_10 Depth=1
	v_and_b32_e32 v150, 0xffff, v150
	v_mov_b32_e32 v8, 0x7f800001
	s_mov_b32 s20, exec_lo
	s_delay_alu instid0(VALU_DEP_2) | instskip(NEXT) | instid1(VALU_DEP_1)
	v_and_b32_e32 v151, 0x7f, v150
	v_cmpx_ne_u32_e32 0x7f, v151
	s_cbranch_execz .LBB418_172
; %bb.169:                              ;   in Loop: Header=BB418_10 Depth=1
	v_and_b32_e32 v8, 7, v150
	v_lshrrev_b32_e32 v150, 3, v151
	s_mov_b32 s21, exec_lo
	v_cmpx_gt_u32_e32 8, v151
; %bb.170:                              ;   in Loop: Header=BB418_10 Depth=1
	s_delay_alu instid0(VALU_DEP_3) | instskip(NEXT) | instid1(VALU_DEP_1)
	v_clz_i32_u32_e32 v150, v8
	v_min_u32_e32 v150, 32, v150
	s_delay_alu instid0(VALU_DEP_1) | instskip(SKIP_1) | instid1(VALU_DEP_2)
	v_subrev_nc_u32_e32 v151, 28, v150
	v_sub_nc_u32_e32 v150, 29, v150
	v_lshlrev_b64 v[161:162], v151, v[8:9]
	s_delay_alu instid0(VALU_DEP_1)
	v_and_b32_e32 v8, 7, v161
; %bb.171:                              ;   in Loop: Header=BB418_10 Depth=1
	s_or_b32 exec_lo, exec_lo, s21
	v_lshlrev_b32_e32 v151, 16, v160
	s_delay_alu instid0(VALU_DEP_2) | instskip(SKIP_1) | instid1(VALU_DEP_3)
	v_lshlrev_b32_e32 v8, 20, v8
	v_lshl_add_u32 v150, v150, 23, 0x3c000000
	v_and_b32_e32 v151, 0x80000000, v151
	s_delay_alu instid0(VALU_DEP_1)
	v_or3_b32 v8, v8, v151, v150
.LBB418_172:                            ;   in Loop: Header=BB418_10 Depth=1
	s_or_b32 exec_lo, exec_lo, s20
.LBB418_173:                            ;   in Loop: Header=BB418_10 Depth=1
	s_delay_alu instid0(SALU_CYCLE_1)
	s_or_b32 exec_lo, exec_lo, s19
.LBB418_174:                            ;   in Loop: Header=BB418_10 Depth=1
	s_delay_alu instid0(SALU_CYCLE_1) | instskip(NEXT) | instid1(VALU_DEP_1)
	s_or_b32 exec_lo, exec_lo, s3
	v_mul_f32_e32 v8, v128, v8
	s_delay_alu instid0(VALU_DEP_1) | instskip(NEXT) | instid1(VALU_DEP_1)
	v_and_b32_e32 v150, 0x7f800000, v8
	v_cmp_ne_u32_e64 s2, 0x7f800000, v150
                                        ; implicit-def: $vgpr150
	s_delay_alu instid0(VALU_DEP_1) | instskip(NEXT) | instid1(SALU_CYCLE_1)
	s_and_saveexec_b32 s3, s2
	s_xor_b32 s2, exec_lo, s3
; %bb.175:                              ;   in Loop: Header=BB418_10 Depth=1
	v_bfe_u32 v150, v8, 16, 1
	s_delay_alu instid0(VALU_DEP_1)
	v_add3_u32 v150, v8, v150, 0x7fff
                                        ; implicit-def: $vgpr8
; %bb.176:                              ;   in Loop: Header=BB418_10 Depth=1
	s_and_not1_saveexec_b32 s3, s2
; %bb.177:                              ;   in Loop: Header=BB418_10 Depth=1
	v_and_b32_e32 v150, 0xffff, v8
	v_or_b32_e32 v151, 0x10000, v8
	s_delay_alu instid0(VALU_DEP_2) | instskip(NEXT) | instid1(VALU_DEP_1)
	v_cmp_eq_u32_e64 s2, 0, v150
	v_cndmask_b32_e64 v150, v151, v8, s2
; %bb.178:                              ;   in Loop: Header=BB418_10 Depth=1
	s_or_b32 exec_lo, exec_lo, s3
	v_lshrrev_b32_e32 v151, 16, v160
	s_mov_b32 s3, exec_lo
	s_delay_alu instid0(VALU_DEP_1) | instskip(NEXT) | instid1(VALU_DEP_1)
	v_dual_mov_b32 v8, 0 :: v_dual_and_b32 v161, 0xff, v151
	v_cmpx_ne_u16_e64 0, v161
	s_cbranch_execz .LBB418_186
; %bb.179:                              ;   in Loop: Header=BB418_10 Depth=1
	v_bfrev_b32_e32 v8, 1
	s_mov_b32 s19, exec_lo
	v_cmpx_ne_u16_e64 0x80, v161
	s_cbranch_execz .LBB418_185
; %bb.180:                              ;   in Loop: Header=BB418_10 Depth=1
	v_bfe_u32 v162, v160, 16, 7
	v_mov_b32_e32 v8, 0x7f800001
	s_mov_b32 s20, exec_lo
	s_delay_alu instid0(VALU_DEP_2)
	v_cmpx_ne_u32_e32 0x7f, v162
	s_cbranch_execz .LBB418_184
; %bb.181:                              ;   in Loop: Header=BB418_10 Depth=1
	v_and_b32_e32 v8, 7, v151
	v_lshrrev_b32_e32 v161, 3, v162
	s_mov_b32 s21, exec_lo
	v_cmpx_gt_u32_e32 8, v162
; %bb.182:                              ;   in Loop: Header=BB418_10 Depth=1
	s_delay_alu instid0(VALU_DEP_3) | instskip(NEXT) | instid1(VALU_DEP_1)
	v_clz_i32_u32_e32 v161, v8
	v_min_u32_e32 v161, 32, v161
	s_delay_alu instid0(VALU_DEP_1) | instskip(SKIP_1) | instid1(VALU_DEP_2)
	v_subrev_nc_u32_e32 v162, 28, v161
	v_sub_nc_u32_e32 v161, 29, v161
	v_lshlrev_b64 v[162:163], v162, v[8:9]
	s_delay_alu instid0(VALU_DEP_1)
	v_and_b32_e32 v8, 7, v162
; %bb.183:                              ;   in Loop: Header=BB418_10 Depth=1
	s_or_b32 exec_lo, exec_lo, s21
	v_lshlrev_b32_e32 v151, 24, v151
	s_delay_alu instid0(VALU_DEP_2) | instskip(SKIP_1) | instid1(VALU_DEP_3)
	v_lshlrev_b32_e32 v8, 20, v8
	v_lshl_add_u32 v161, v161, 23, 0x3c000000
	v_and_b32_e32 v151, 0x80000000, v151
	s_delay_alu instid0(VALU_DEP_1)
	v_or3_b32 v8, v8, v151, v161
.LBB418_184:                            ;   in Loop: Header=BB418_10 Depth=1
	s_or_b32 exec_lo, exec_lo, s20
.LBB418_185:                            ;   in Loop: Header=BB418_10 Depth=1
	s_delay_alu instid0(SALU_CYCLE_1)
	s_or_b32 exec_lo, exec_lo, s19
.LBB418_186:                            ;   in Loop: Header=BB418_10 Depth=1
	s_delay_alu instid0(SALU_CYCLE_1) | instskip(NEXT) | instid1(VALU_DEP_1)
	s_or_b32 exec_lo, exec_lo, s3
	v_mul_f32_e32 v8, v128, v8
	s_delay_alu instid0(VALU_DEP_1) | instskip(NEXT) | instid1(VALU_DEP_1)
	v_and_b32_e32 v151, 0x7f800000, v8
	v_cmp_ne_u32_e64 s2, 0x7f800000, v151
                                        ; implicit-def: $vgpr151
	s_delay_alu instid0(VALU_DEP_1) | instskip(NEXT) | instid1(SALU_CYCLE_1)
	s_and_saveexec_b32 s3, s2
	s_xor_b32 s2, exec_lo, s3
; %bb.187:                              ;   in Loop: Header=BB418_10 Depth=1
	v_bfe_u32 v151, v8, 16, 1
	s_delay_alu instid0(VALU_DEP_1)
	v_add3_u32 v151, v8, v151, 0x7fff
                                        ; implicit-def: $vgpr8
; %bb.188:                              ;   in Loop: Header=BB418_10 Depth=1
	s_and_not1_saveexec_b32 s3, s2
; %bb.189:                              ;   in Loop: Header=BB418_10 Depth=1
	v_and_b32_e32 v151, 0xffff, v8
	v_or_b32_e32 v161, 0x10000, v8
	s_delay_alu instid0(VALU_DEP_2) | instskip(NEXT) | instid1(VALU_DEP_1)
	v_cmp_eq_u32_e64 s2, 0, v151
	v_cndmask_b32_e64 v151, v161, v8, s2
; %bb.190:                              ;   in Loop: Header=BB418_10 Depth=1
	s_or_b32 exec_lo, exec_lo, s3
	v_mov_b32_e32 v8, 0
	s_mov_b32 s3, exec_lo
	v_cmpx_lt_u32_e32 0xffffff, v160
	s_cbranch_execz .LBB418_198
; %bb.191:                              ;   in Loop: Header=BB418_10 Depth=1
	v_lshrrev_b32_e32 v161, 24, v160
	v_bfrev_b32_e32 v8, 1
	s_mov_b32 s19, exec_lo
	s_delay_alu instid0(VALU_DEP_2)
	v_cmpx_ne_u32_e32 0x80, v161
	s_cbranch_execz .LBB418_197
; %bb.192:                              ;   in Loop: Header=BB418_10 Depth=1
	v_bfe_u32 v162, v160, 24, 7
	v_mov_b32_e32 v8, 0x7f800001
	s_mov_b32 s20, exec_lo
	s_delay_alu instid0(VALU_DEP_2)
	v_cmpx_ne_u32_e32 0x7f, v162
	s_cbranch_execz .LBB418_196
; %bb.193:                              ;   in Loop: Header=BB418_10 Depth=1
	v_and_b32_e32 v8, 7, v161
	v_lshrrev_b32_e32 v160, 3, v162
	s_mov_b32 s21, exec_lo
	v_cmpx_gt_u32_e32 8, v162
; %bb.194:                              ;   in Loop: Header=BB418_10 Depth=1
	s_delay_alu instid0(VALU_DEP_3) | instskip(NEXT) | instid1(VALU_DEP_1)
	v_clz_i32_u32_e32 v160, v8
	v_min_u32_e32 v160, 32, v160
	s_delay_alu instid0(VALU_DEP_1) | instskip(SKIP_1) | instid1(VALU_DEP_2)
	v_subrev_nc_u32_e32 v162, 28, v160
	v_sub_nc_u32_e32 v160, 29, v160
	v_lshlrev_b64 v[162:163], v162, v[8:9]
	s_delay_alu instid0(VALU_DEP_1)
	v_and_b32_e32 v8, 7, v162
; %bb.195:                              ;   in Loop: Header=BB418_10 Depth=1
	s_or_b32 exec_lo, exec_lo, s21
	v_lshlrev_b32_e32 v161, 24, v161
	s_delay_alu instid0(VALU_DEP_2) | instskip(SKIP_1) | instid1(VALU_DEP_3)
	v_lshlrev_b32_e32 v8, 20, v8
	v_lshl_add_u32 v160, v160, 23, 0x3c000000
	v_and_b32_e32 v161, 0x80000000, v161
	s_delay_alu instid0(VALU_DEP_1)
	v_or3_b32 v8, v8, v161, v160
.LBB418_196:                            ;   in Loop: Header=BB418_10 Depth=1
	s_or_b32 exec_lo, exec_lo, s20
.LBB418_197:                            ;   in Loop: Header=BB418_10 Depth=1
	s_delay_alu instid0(SALU_CYCLE_1)
	s_or_b32 exec_lo, exec_lo, s19
.LBB418_198:                            ;   in Loop: Header=BB418_10 Depth=1
	s_delay_alu instid0(SALU_CYCLE_1) | instskip(NEXT) | instid1(VALU_DEP_1)
	s_or_b32 exec_lo, exec_lo, s3
	v_mul_f32_e32 v8, v128, v8
	s_delay_alu instid0(VALU_DEP_1) | instskip(NEXT) | instid1(VALU_DEP_1)
	v_and_b32_e32 v160, 0x7f800000, v8
	v_cmp_ne_u32_e64 s2, 0x7f800000, v160
                                        ; implicit-def: $vgpr160
	s_delay_alu instid0(VALU_DEP_1) | instskip(NEXT) | instid1(SALU_CYCLE_1)
	s_and_saveexec_b32 s3, s2
	s_xor_b32 s2, exec_lo, s3
; %bb.199:                              ;   in Loop: Header=BB418_10 Depth=1
	v_bfe_u32 v160, v8, 16, 1
	s_delay_alu instid0(VALU_DEP_1)
	v_add3_u32 v160, v8, v160, 0x7fff
                                        ; implicit-def: $vgpr8
; %bb.200:                              ;   in Loop: Header=BB418_10 Depth=1
	s_and_not1_saveexec_b32 s3, s2
; %bb.201:                              ;   in Loop: Header=BB418_10 Depth=1
	v_and_b32_e32 v160, 0xffff, v8
	v_or_b32_e32 v161, 0x10000, v8
	s_delay_alu instid0(VALU_DEP_2) | instskip(NEXT) | instid1(VALU_DEP_1)
	v_cmp_eq_u32_e64 s2, 0, v160
	v_cndmask_b32_e64 v160, v161, v8, s2
; %bb.202:                              ;   in Loop: Header=BB418_10 Depth=1
	s_or_b32 exec_lo, exec_lo, s3
	flat_load_b32 v164, v[28:29] offset:512
	s_mov_b32 s3, exec_lo
	s_waitcnt vmcnt(0) lgkmcnt(0)
	v_dual_mov_b32 v8, 0 :: v_dual_and_b32 v161, 0xff, v164
	s_delay_alu instid0(VALU_DEP_1)
	v_cmpx_ne_u16_e64 0, v161
	s_cbranch_execz .LBB418_210
; %bb.203:                              ;   in Loop: Header=BB418_10 Depth=1
	v_bfrev_b32_e32 v8, 1
	s_mov_b32 s19, exec_lo
	v_cmpx_ne_u16_e64 0x80, v161
	s_cbranch_execz .LBB418_209
; %bb.204:                              ;   in Loop: Header=BB418_10 Depth=1
	v_and_b32_e32 v162, 0x7f, v164
	v_mov_b32_e32 v8, 0x7f800001
	s_mov_b32 s20, exec_lo
	s_delay_alu instid0(VALU_DEP_2)
	v_cmpx_ne_u32_e32 0x7f, v162
	s_cbranch_execz .LBB418_208
; %bb.205:                              ;   in Loop: Header=BB418_10 Depth=1
	v_and_b32_e32 v8, 7, v164
	v_lshrrev_b32_e32 v161, 3, v162
	s_mov_b32 s21, exec_lo
	v_cmpx_gt_u32_e32 8, v162
; %bb.206:                              ;   in Loop: Header=BB418_10 Depth=1
	s_delay_alu instid0(VALU_DEP_3) | instskip(NEXT) | instid1(VALU_DEP_1)
	v_clz_i32_u32_e32 v161, v8
	v_min_u32_e32 v161, 32, v161
	s_delay_alu instid0(VALU_DEP_1) | instskip(SKIP_1) | instid1(VALU_DEP_2)
	v_subrev_nc_u32_e32 v162, 28, v161
	v_sub_nc_u32_e32 v161, 29, v161
	v_lshlrev_b64 v[162:163], v162, v[8:9]
	s_delay_alu instid0(VALU_DEP_1)
	v_and_b32_e32 v8, 7, v162
; %bb.207:                              ;   in Loop: Header=BB418_10 Depth=1
	s_or_b32 exec_lo, exec_lo, s21
	v_lshlrev_b32_e32 v162, 24, v164
	s_delay_alu instid0(VALU_DEP_2) | instskip(SKIP_1) | instid1(VALU_DEP_3)
	v_lshlrev_b32_e32 v8, 20, v8
	v_lshl_add_u32 v161, v161, 23, 0x3c000000
	v_and_b32_e32 v162, 0x80000000, v162
	s_delay_alu instid0(VALU_DEP_1)
	v_or3_b32 v8, v8, v162, v161
.LBB418_208:                            ;   in Loop: Header=BB418_10 Depth=1
	s_or_b32 exec_lo, exec_lo, s20
.LBB418_209:                            ;   in Loop: Header=BB418_10 Depth=1
	s_delay_alu instid0(SALU_CYCLE_1)
	s_or_b32 exec_lo, exec_lo, s19
.LBB418_210:                            ;   in Loop: Header=BB418_10 Depth=1
	s_delay_alu instid0(SALU_CYCLE_1) | instskip(NEXT) | instid1(VALU_DEP_1)
	s_or_b32 exec_lo, exec_lo, s3
	v_mul_f32_e32 v8, v128, v8
	s_delay_alu instid0(VALU_DEP_1) | instskip(NEXT) | instid1(VALU_DEP_1)
	v_and_b32_e32 v161, 0x7f800000, v8
	v_cmp_ne_u32_e64 s2, 0x7f800000, v161
                                        ; implicit-def: $vgpr161
	s_delay_alu instid0(VALU_DEP_1) | instskip(NEXT) | instid1(SALU_CYCLE_1)
	s_and_saveexec_b32 s3, s2
	s_xor_b32 s2, exec_lo, s3
; %bb.211:                              ;   in Loop: Header=BB418_10 Depth=1
	v_bfe_u32 v161, v8, 16, 1
	s_delay_alu instid0(VALU_DEP_1)
	v_add3_u32 v161, v8, v161, 0x7fff
                                        ; implicit-def: $vgpr8
; %bb.212:                              ;   in Loop: Header=BB418_10 Depth=1
	s_and_not1_saveexec_b32 s3, s2
; %bb.213:                              ;   in Loop: Header=BB418_10 Depth=1
	v_and_b32_e32 v161, 0xffff, v8
	v_or_b32_e32 v162, 0x10000, v8
	s_delay_alu instid0(VALU_DEP_2) | instskip(NEXT) | instid1(VALU_DEP_1)
	v_cmp_eq_u32_e64 s2, 0, v161
	v_cndmask_b32_e64 v161, v162, v8, s2
; %bb.214:                              ;   in Loop: Header=BB418_10 Depth=1
	s_or_b32 exec_lo, exec_lo, s3
	v_lshrrev_b16 v162, 8, v164
	v_mov_b32_e32 v8, 0
	s_mov_b32 s3, exec_lo
	s_delay_alu instid0(VALU_DEP_2)
	v_cmpx_ne_u16_e64 0, v162
	s_cbranch_execz .LBB418_222
; %bb.215:                              ;   in Loop: Header=BB418_10 Depth=1
	v_bfrev_b32_e32 v8, 1
	s_mov_b32 s19, exec_lo
	v_cmpx_ne_u16_e64 0x80, v162
	s_cbranch_execz .LBB418_221
; %bb.216:                              ;   in Loop: Header=BB418_10 Depth=1
	v_and_b32_e32 v162, 0xffff, v162
	v_mov_b32_e32 v8, 0x7f800001
	s_mov_b32 s20, exec_lo
	s_delay_alu instid0(VALU_DEP_2) | instskip(NEXT) | instid1(VALU_DEP_1)
	v_and_b32_e32 v163, 0x7f, v162
	v_cmpx_ne_u32_e32 0x7f, v163
	s_cbranch_execz .LBB418_220
; %bb.217:                              ;   in Loop: Header=BB418_10 Depth=1
	v_and_b32_e32 v8, 7, v162
	v_lshrrev_b32_e32 v162, 3, v163
	s_mov_b32 s21, exec_lo
	v_cmpx_gt_u32_e32 8, v163
; %bb.218:                              ;   in Loop: Header=BB418_10 Depth=1
	s_delay_alu instid0(VALU_DEP_3) | instskip(NEXT) | instid1(VALU_DEP_1)
	v_clz_i32_u32_e32 v162, v8
	v_min_u32_e32 v162, 32, v162
	s_delay_alu instid0(VALU_DEP_1) | instskip(SKIP_1) | instid1(VALU_DEP_2)
	v_subrev_nc_u32_e32 v163, 28, v162
	v_sub_nc_u32_e32 v162, 29, v162
	v_lshlrev_b64 v[165:166], v163, v[8:9]
	s_delay_alu instid0(VALU_DEP_1)
	v_and_b32_e32 v8, 7, v165
; %bb.219:                              ;   in Loop: Header=BB418_10 Depth=1
	s_or_b32 exec_lo, exec_lo, s21
	v_lshlrev_b32_e32 v163, 16, v164
	s_delay_alu instid0(VALU_DEP_2) | instskip(SKIP_1) | instid1(VALU_DEP_3)
	v_lshlrev_b32_e32 v8, 20, v8
	v_lshl_add_u32 v162, v162, 23, 0x3c000000
	v_and_b32_e32 v163, 0x80000000, v163
	s_delay_alu instid0(VALU_DEP_1)
	v_or3_b32 v8, v8, v163, v162
.LBB418_220:                            ;   in Loop: Header=BB418_10 Depth=1
	s_or_b32 exec_lo, exec_lo, s20
.LBB418_221:                            ;   in Loop: Header=BB418_10 Depth=1
	s_delay_alu instid0(SALU_CYCLE_1)
	s_or_b32 exec_lo, exec_lo, s19
.LBB418_222:                            ;   in Loop: Header=BB418_10 Depth=1
	s_delay_alu instid0(SALU_CYCLE_1) | instskip(NEXT) | instid1(VALU_DEP_1)
	s_or_b32 exec_lo, exec_lo, s3
	v_mul_f32_e32 v8, v128, v8
	s_delay_alu instid0(VALU_DEP_1) | instskip(NEXT) | instid1(VALU_DEP_1)
	v_and_b32_e32 v162, 0x7f800000, v8
	v_cmp_ne_u32_e64 s2, 0x7f800000, v162
                                        ; implicit-def: $vgpr162
	s_delay_alu instid0(VALU_DEP_1) | instskip(NEXT) | instid1(SALU_CYCLE_1)
	s_and_saveexec_b32 s3, s2
	s_xor_b32 s2, exec_lo, s3
; %bb.223:                              ;   in Loop: Header=BB418_10 Depth=1
	v_bfe_u32 v162, v8, 16, 1
	s_delay_alu instid0(VALU_DEP_1)
	v_add3_u32 v162, v8, v162, 0x7fff
                                        ; implicit-def: $vgpr8
; %bb.224:                              ;   in Loop: Header=BB418_10 Depth=1
	s_and_not1_saveexec_b32 s3, s2
; %bb.225:                              ;   in Loop: Header=BB418_10 Depth=1
	v_and_b32_e32 v162, 0xffff, v8
	v_or_b32_e32 v163, 0x10000, v8
	s_delay_alu instid0(VALU_DEP_2) | instskip(NEXT) | instid1(VALU_DEP_1)
	v_cmp_eq_u32_e64 s2, 0, v162
	v_cndmask_b32_e64 v162, v163, v8, s2
; %bb.226:                              ;   in Loop: Header=BB418_10 Depth=1
	s_or_b32 exec_lo, exec_lo, s3
	v_lshrrev_b32_e32 v163, 16, v164
	s_mov_b32 s3, exec_lo
	s_delay_alu instid0(VALU_DEP_1) | instskip(NEXT) | instid1(VALU_DEP_1)
	v_dual_mov_b32 v8, 0 :: v_dual_and_b32 v165, 0xff, v163
	v_cmpx_ne_u16_e64 0, v165
	s_cbranch_execz .LBB418_234
; %bb.227:                              ;   in Loop: Header=BB418_10 Depth=1
	v_bfrev_b32_e32 v8, 1
	s_mov_b32 s19, exec_lo
	v_cmpx_ne_u16_e64 0x80, v165
	s_cbranch_execz .LBB418_233
; %bb.228:                              ;   in Loop: Header=BB418_10 Depth=1
	v_bfe_u32 v166, v164, 16, 7
	v_mov_b32_e32 v8, 0x7f800001
	s_mov_b32 s20, exec_lo
	s_delay_alu instid0(VALU_DEP_2)
	v_cmpx_ne_u32_e32 0x7f, v166
	s_cbranch_execz .LBB418_232
; %bb.229:                              ;   in Loop: Header=BB418_10 Depth=1
	v_and_b32_e32 v8, 7, v163
	v_lshrrev_b32_e32 v165, 3, v166
	s_mov_b32 s21, exec_lo
	v_cmpx_gt_u32_e32 8, v166
; %bb.230:                              ;   in Loop: Header=BB418_10 Depth=1
	s_delay_alu instid0(VALU_DEP_3) | instskip(NEXT) | instid1(VALU_DEP_1)
	v_clz_i32_u32_e32 v165, v8
	v_min_u32_e32 v165, 32, v165
	s_delay_alu instid0(VALU_DEP_1) | instskip(SKIP_1) | instid1(VALU_DEP_2)
	v_subrev_nc_u32_e32 v166, 28, v165
	v_sub_nc_u32_e32 v165, 29, v165
	v_lshlrev_b64 v[166:167], v166, v[8:9]
	s_delay_alu instid0(VALU_DEP_1)
	v_and_b32_e32 v8, 7, v166
; %bb.231:                              ;   in Loop: Header=BB418_10 Depth=1
	s_or_b32 exec_lo, exec_lo, s21
	v_lshlrev_b32_e32 v163, 24, v163
	s_delay_alu instid0(VALU_DEP_2) | instskip(SKIP_1) | instid1(VALU_DEP_3)
	v_lshlrev_b32_e32 v8, 20, v8
	v_lshl_add_u32 v165, v165, 23, 0x3c000000
	v_and_b32_e32 v163, 0x80000000, v163
	s_delay_alu instid0(VALU_DEP_1)
	v_or3_b32 v8, v8, v163, v165
.LBB418_232:                            ;   in Loop: Header=BB418_10 Depth=1
	s_or_b32 exec_lo, exec_lo, s20
.LBB418_233:                            ;   in Loop: Header=BB418_10 Depth=1
	s_delay_alu instid0(SALU_CYCLE_1)
	s_or_b32 exec_lo, exec_lo, s19
.LBB418_234:                            ;   in Loop: Header=BB418_10 Depth=1
	s_delay_alu instid0(SALU_CYCLE_1) | instskip(NEXT) | instid1(VALU_DEP_1)
	s_or_b32 exec_lo, exec_lo, s3
	v_mul_f32_e32 v8, v128, v8
	s_delay_alu instid0(VALU_DEP_1) | instskip(NEXT) | instid1(VALU_DEP_1)
	v_and_b32_e32 v163, 0x7f800000, v8
	v_cmp_ne_u32_e64 s2, 0x7f800000, v163
                                        ; implicit-def: $vgpr163
	s_delay_alu instid0(VALU_DEP_1) | instskip(NEXT) | instid1(SALU_CYCLE_1)
	s_and_saveexec_b32 s3, s2
	s_xor_b32 s2, exec_lo, s3
; %bb.235:                              ;   in Loop: Header=BB418_10 Depth=1
	v_bfe_u32 v163, v8, 16, 1
	s_delay_alu instid0(VALU_DEP_1)
	v_add3_u32 v163, v8, v163, 0x7fff
                                        ; implicit-def: $vgpr8
; %bb.236:                              ;   in Loop: Header=BB418_10 Depth=1
	s_and_not1_saveexec_b32 s3, s2
; %bb.237:                              ;   in Loop: Header=BB418_10 Depth=1
	v_and_b32_e32 v163, 0xffff, v8
	v_or_b32_e32 v165, 0x10000, v8
	s_delay_alu instid0(VALU_DEP_2) | instskip(NEXT) | instid1(VALU_DEP_1)
	v_cmp_eq_u32_e64 s2, 0, v163
	v_cndmask_b32_e64 v163, v165, v8, s2
; %bb.238:                              ;   in Loop: Header=BB418_10 Depth=1
	s_or_b32 exec_lo, exec_lo, s3
	v_mov_b32_e32 v8, 0
	s_mov_b32 s3, exec_lo
	v_cmpx_lt_u32_e32 0xffffff, v164
	s_cbranch_execz .LBB418_246
; %bb.239:                              ;   in Loop: Header=BB418_10 Depth=1
	v_lshrrev_b32_e32 v165, 24, v164
	v_bfrev_b32_e32 v8, 1
	s_mov_b32 s19, exec_lo
	s_delay_alu instid0(VALU_DEP_2)
	v_cmpx_ne_u32_e32 0x80, v165
	s_cbranch_execz .LBB418_245
; %bb.240:                              ;   in Loop: Header=BB418_10 Depth=1
	v_bfe_u32 v166, v164, 24, 7
	v_mov_b32_e32 v8, 0x7f800001
	s_mov_b32 s20, exec_lo
	s_delay_alu instid0(VALU_DEP_2)
	v_cmpx_ne_u32_e32 0x7f, v166
	s_cbranch_execz .LBB418_244
; %bb.241:                              ;   in Loop: Header=BB418_10 Depth=1
	v_and_b32_e32 v8, 7, v165
	v_lshrrev_b32_e32 v164, 3, v166
	s_mov_b32 s21, exec_lo
	v_cmpx_gt_u32_e32 8, v166
; %bb.242:                              ;   in Loop: Header=BB418_10 Depth=1
	s_delay_alu instid0(VALU_DEP_3) | instskip(NEXT) | instid1(VALU_DEP_1)
	v_clz_i32_u32_e32 v164, v8
	v_min_u32_e32 v164, 32, v164
	s_delay_alu instid0(VALU_DEP_1) | instskip(SKIP_1) | instid1(VALU_DEP_2)
	v_subrev_nc_u32_e32 v166, 28, v164
	v_sub_nc_u32_e32 v164, 29, v164
	v_lshlrev_b64 v[166:167], v166, v[8:9]
	s_delay_alu instid0(VALU_DEP_1)
	v_and_b32_e32 v8, 7, v166
; %bb.243:                              ;   in Loop: Header=BB418_10 Depth=1
	s_or_b32 exec_lo, exec_lo, s21
	v_lshlrev_b32_e32 v165, 24, v165
	s_delay_alu instid0(VALU_DEP_2) | instskip(SKIP_1) | instid1(VALU_DEP_3)
	v_lshlrev_b32_e32 v8, 20, v8
	v_lshl_add_u32 v164, v164, 23, 0x3c000000
	v_and_b32_e32 v165, 0x80000000, v165
	s_delay_alu instid0(VALU_DEP_1)
	v_or3_b32 v8, v8, v165, v164
.LBB418_244:                            ;   in Loop: Header=BB418_10 Depth=1
	s_or_b32 exec_lo, exec_lo, s20
.LBB418_245:                            ;   in Loop: Header=BB418_10 Depth=1
	s_delay_alu instid0(SALU_CYCLE_1)
	s_or_b32 exec_lo, exec_lo, s19
.LBB418_246:                            ;   in Loop: Header=BB418_10 Depth=1
	s_delay_alu instid0(SALU_CYCLE_1) | instskip(NEXT) | instid1(VALU_DEP_1)
	s_or_b32 exec_lo, exec_lo, s3
	v_mul_f32_e32 v8, v128, v8
	s_delay_alu instid0(VALU_DEP_1) | instskip(NEXT) | instid1(VALU_DEP_1)
	v_and_b32_e32 v164, 0x7f800000, v8
	v_cmp_ne_u32_e64 s2, 0x7f800000, v164
                                        ; implicit-def: $vgpr164
	s_delay_alu instid0(VALU_DEP_1) | instskip(NEXT) | instid1(SALU_CYCLE_1)
	s_and_saveexec_b32 s3, s2
	s_xor_b32 s2, exec_lo, s3
; %bb.247:                              ;   in Loop: Header=BB418_10 Depth=1
	v_bfe_u32 v164, v8, 16, 1
	s_delay_alu instid0(VALU_DEP_1)
	v_add3_u32 v164, v8, v164, 0x7fff
                                        ; implicit-def: $vgpr8
; %bb.248:                              ;   in Loop: Header=BB418_10 Depth=1
	s_and_not1_saveexec_b32 s3, s2
; %bb.249:                              ;   in Loop: Header=BB418_10 Depth=1
	v_and_b32_e32 v164, 0xffff, v8
	v_or_b32_e32 v165, 0x10000, v8
	s_delay_alu instid0(VALU_DEP_2) | instskip(NEXT) | instid1(VALU_DEP_1)
	v_cmp_eq_u32_e64 s2, 0, v164
	v_cndmask_b32_e64 v164, v165, v8, s2
; %bb.250:                              ;   in Loop: Header=BB418_10 Depth=1
	s_or_b32 exec_lo, exec_lo, s3
	flat_load_b32 v176, v[28:29] offset:520
	s_mov_b32 s3, exec_lo
	s_waitcnt vmcnt(0) lgkmcnt(0)
	v_dual_mov_b32 v8, 0 :: v_dual_and_b32 v165, 0xff, v176
	s_delay_alu instid0(VALU_DEP_1)
	v_cmpx_ne_u16_e64 0, v165
	s_cbranch_execz .LBB418_258
; %bb.251:                              ;   in Loop: Header=BB418_10 Depth=1
	v_bfrev_b32_e32 v8, 1
	s_mov_b32 s19, exec_lo
	v_cmpx_ne_u16_e64 0x80, v165
	s_cbranch_execz .LBB418_257
; %bb.252:                              ;   in Loop: Header=BB418_10 Depth=1
	v_and_b32_e32 v166, 0x7f, v176
	v_mov_b32_e32 v8, 0x7f800001
	s_mov_b32 s20, exec_lo
	s_delay_alu instid0(VALU_DEP_2)
	v_cmpx_ne_u32_e32 0x7f, v166
	s_cbranch_execz .LBB418_256
; %bb.253:                              ;   in Loop: Header=BB418_10 Depth=1
	v_and_b32_e32 v8, 7, v176
	v_lshrrev_b32_e32 v165, 3, v166
	s_mov_b32 s21, exec_lo
	v_cmpx_gt_u32_e32 8, v166
; %bb.254:                              ;   in Loop: Header=BB418_10 Depth=1
	s_delay_alu instid0(VALU_DEP_3) | instskip(NEXT) | instid1(VALU_DEP_1)
	v_clz_i32_u32_e32 v165, v8
	v_min_u32_e32 v165, 32, v165
	s_delay_alu instid0(VALU_DEP_1) | instskip(SKIP_1) | instid1(VALU_DEP_2)
	v_subrev_nc_u32_e32 v166, 28, v165
	v_sub_nc_u32_e32 v165, 29, v165
	v_lshlrev_b64 v[166:167], v166, v[8:9]
	s_delay_alu instid0(VALU_DEP_1)
	v_and_b32_e32 v8, 7, v166
; %bb.255:                              ;   in Loop: Header=BB418_10 Depth=1
	s_or_b32 exec_lo, exec_lo, s21
	v_lshlrev_b32_e32 v166, 24, v176
	s_delay_alu instid0(VALU_DEP_2) | instskip(SKIP_1) | instid1(VALU_DEP_3)
	v_lshlrev_b32_e32 v8, 20, v8
	v_lshl_add_u32 v165, v165, 23, 0x3c000000
	v_and_b32_e32 v166, 0x80000000, v166
	s_delay_alu instid0(VALU_DEP_1)
	v_or3_b32 v8, v8, v166, v165
.LBB418_256:                            ;   in Loop: Header=BB418_10 Depth=1
	s_or_b32 exec_lo, exec_lo, s20
.LBB418_257:                            ;   in Loop: Header=BB418_10 Depth=1
	s_delay_alu instid0(SALU_CYCLE_1)
	s_or_b32 exec_lo, exec_lo, s19
.LBB418_258:                            ;   in Loop: Header=BB418_10 Depth=1
	s_delay_alu instid0(SALU_CYCLE_1) | instskip(NEXT) | instid1(VALU_DEP_1)
	s_or_b32 exec_lo, exec_lo, s3
	v_mul_f32_e32 v8, v128, v8
	s_delay_alu instid0(VALU_DEP_1) | instskip(NEXT) | instid1(VALU_DEP_1)
	v_and_b32_e32 v165, 0x7f800000, v8
	v_cmp_ne_u32_e64 s2, 0x7f800000, v165
                                        ; implicit-def: $vgpr165
	s_delay_alu instid0(VALU_DEP_1) | instskip(NEXT) | instid1(SALU_CYCLE_1)
	s_and_saveexec_b32 s3, s2
	s_xor_b32 s2, exec_lo, s3
; %bb.259:                              ;   in Loop: Header=BB418_10 Depth=1
	v_bfe_u32 v165, v8, 16, 1
	s_delay_alu instid0(VALU_DEP_1)
	v_add3_u32 v165, v8, v165, 0x7fff
                                        ; implicit-def: $vgpr8
; %bb.260:                              ;   in Loop: Header=BB418_10 Depth=1
	s_and_not1_saveexec_b32 s3, s2
; %bb.261:                              ;   in Loop: Header=BB418_10 Depth=1
	v_and_b32_e32 v165, 0xffff, v8
	v_or_b32_e32 v166, 0x10000, v8
	s_delay_alu instid0(VALU_DEP_2) | instskip(NEXT) | instid1(VALU_DEP_1)
	v_cmp_eq_u32_e64 s2, 0, v165
	v_cndmask_b32_e64 v165, v166, v8, s2
; %bb.262:                              ;   in Loop: Header=BB418_10 Depth=1
	s_or_b32 exec_lo, exec_lo, s3
	v_lshrrev_b16 v166, 8, v176
	v_mov_b32_e32 v8, 0
	s_mov_b32 s3, exec_lo
	s_delay_alu instid0(VALU_DEP_2)
	v_cmpx_ne_u16_e64 0, v166
	s_cbranch_execz .LBB418_270
; %bb.263:                              ;   in Loop: Header=BB418_10 Depth=1
	v_bfrev_b32_e32 v8, 1
	s_mov_b32 s19, exec_lo
	v_cmpx_ne_u16_e64 0x80, v166
	s_cbranch_execz .LBB418_269
; %bb.264:                              ;   in Loop: Header=BB418_10 Depth=1
	v_and_b32_e32 v166, 0xffff, v166
	v_mov_b32_e32 v8, 0x7f800001
	s_mov_b32 s20, exec_lo
	s_delay_alu instid0(VALU_DEP_2) | instskip(NEXT) | instid1(VALU_DEP_1)
	v_and_b32_e32 v167, 0x7f, v166
	v_cmpx_ne_u32_e32 0x7f, v167
	s_cbranch_execz .LBB418_268
; %bb.265:                              ;   in Loop: Header=BB418_10 Depth=1
	v_and_b32_e32 v8, 7, v166
	v_lshrrev_b32_e32 v166, 3, v167
	s_mov_b32 s21, exec_lo
	v_cmpx_gt_u32_e32 8, v167
; %bb.266:                              ;   in Loop: Header=BB418_10 Depth=1
	s_delay_alu instid0(VALU_DEP_3) | instskip(NEXT) | instid1(VALU_DEP_1)
	v_clz_i32_u32_e32 v166, v8
	v_min_u32_e32 v166, 32, v166
	s_delay_alu instid0(VALU_DEP_1) | instskip(SKIP_1) | instid1(VALU_DEP_2)
	v_subrev_nc_u32_e32 v167, 28, v166
	v_sub_nc_u32_e32 v166, 29, v166
	v_lshlrev_b64 v[177:178], v167, v[8:9]
	s_delay_alu instid0(VALU_DEP_1)
	v_and_b32_e32 v8, 7, v177
; %bb.267:                              ;   in Loop: Header=BB418_10 Depth=1
	s_or_b32 exec_lo, exec_lo, s21
	v_lshlrev_b32_e32 v167, 16, v176
	s_delay_alu instid0(VALU_DEP_2) | instskip(SKIP_1) | instid1(VALU_DEP_3)
	v_lshlrev_b32_e32 v8, 20, v8
	v_lshl_add_u32 v166, v166, 23, 0x3c000000
	v_and_b32_e32 v167, 0x80000000, v167
	s_delay_alu instid0(VALU_DEP_1)
	v_or3_b32 v8, v8, v167, v166
.LBB418_268:                            ;   in Loop: Header=BB418_10 Depth=1
	s_or_b32 exec_lo, exec_lo, s20
.LBB418_269:                            ;   in Loop: Header=BB418_10 Depth=1
	s_delay_alu instid0(SALU_CYCLE_1)
	s_or_b32 exec_lo, exec_lo, s19
.LBB418_270:                            ;   in Loop: Header=BB418_10 Depth=1
	s_delay_alu instid0(SALU_CYCLE_1) | instskip(NEXT) | instid1(VALU_DEP_1)
	s_or_b32 exec_lo, exec_lo, s3
	v_mul_f32_e32 v8, v128, v8
	s_delay_alu instid0(VALU_DEP_1) | instskip(NEXT) | instid1(VALU_DEP_1)
	v_and_b32_e32 v166, 0x7f800000, v8
	v_cmp_ne_u32_e64 s2, 0x7f800000, v166
                                        ; implicit-def: $vgpr166
	s_delay_alu instid0(VALU_DEP_1) | instskip(NEXT) | instid1(SALU_CYCLE_1)
	s_and_saveexec_b32 s3, s2
	s_xor_b32 s2, exec_lo, s3
; %bb.271:                              ;   in Loop: Header=BB418_10 Depth=1
	v_bfe_u32 v166, v8, 16, 1
	s_delay_alu instid0(VALU_DEP_1)
	v_add3_u32 v166, v8, v166, 0x7fff
                                        ; implicit-def: $vgpr8
; %bb.272:                              ;   in Loop: Header=BB418_10 Depth=1
	s_and_not1_saveexec_b32 s3, s2
; %bb.273:                              ;   in Loop: Header=BB418_10 Depth=1
	v_and_b32_e32 v166, 0xffff, v8
	v_or_b32_e32 v167, 0x10000, v8
	s_delay_alu instid0(VALU_DEP_2) | instskip(NEXT) | instid1(VALU_DEP_1)
	v_cmp_eq_u32_e64 s2, 0, v166
	v_cndmask_b32_e64 v166, v167, v8, s2
; %bb.274:                              ;   in Loop: Header=BB418_10 Depth=1
	s_or_b32 exec_lo, exec_lo, s3
	v_lshrrev_b32_e32 v167, 16, v176
	s_mov_b32 s3, exec_lo
	s_delay_alu instid0(VALU_DEP_1) | instskip(NEXT) | instid1(VALU_DEP_1)
	v_dual_mov_b32 v8, 0 :: v_dual_and_b32 v177, 0xff, v167
	v_cmpx_ne_u16_e64 0, v177
	s_cbranch_execz .LBB418_282
; %bb.275:                              ;   in Loop: Header=BB418_10 Depth=1
	v_bfrev_b32_e32 v8, 1
	s_mov_b32 s19, exec_lo
	v_cmpx_ne_u16_e64 0x80, v177
	s_cbranch_execz .LBB418_281
; %bb.276:                              ;   in Loop: Header=BB418_10 Depth=1
	v_bfe_u32 v178, v176, 16, 7
	v_mov_b32_e32 v8, 0x7f800001
	s_mov_b32 s20, exec_lo
	s_delay_alu instid0(VALU_DEP_2)
	v_cmpx_ne_u32_e32 0x7f, v178
	s_cbranch_execz .LBB418_280
; %bb.277:                              ;   in Loop: Header=BB418_10 Depth=1
	v_and_b32_e32 v8, 7, v167
	v_lshrrev_b32_e32 v177, 3, v178
	s_mov_b32 s21, exec_lo
	v_cmpx_gt_u32_e32 8, v178
; %bb.278:                              ;   in Loop: Header=BB418_10 Depth=1
	s_delay_alu instid0(VALU_DEP_3) | instskip(NEXT) | instid1(VALU_DEP_1)
	v_clz_i32_u32_e32 v177, v8
	v_min_u32_e32 v177, 32, v177
	s_delay_alu instid0(VALU_DEP_1) | instskip(SKIP_1) | instid1(VALU_DEP_2)
	v_subrev_nc_u32_e32 v178, 28, v177
	v_sub_nc_u32_e32 v177, 29, v177
	v_lshlrev_b64 v[178:179], v178, v[8:9]
	s_delay_alu instid0(VALU_DEP_1)
	v_and_b32_e32 v8, 7, v178
; %bb.279:                              ;   in Loop: Header=BB418_10 Depth=1
	s_or_b32 exec_lo, exec_lo, s21
	v_lshlrev_b32_e32 v167, 24, v167
	s_delay_alu instid0(VALU_DEP_2) | instskip(SKIP_1) | instid1(VALU_DEP_3)
	v_lshlrev_b32_e32 v8, 20, v8
	v_lshl_add_u32 v177, v177, 23, 0x3c000000
	v_and_b32_e32 v167, 0x80000000, v167
	s_delay_alu instid0(VALU_DEP_1)
	v_or3_b32 v8, v8, v167, v177
.LBB418_280:                            ;   in Loop: Header=BB418_10 Depth=1
	s_or_b32 exec_lo, exec_lo, s20
.LBB418_281:                            ;   in Loop: Header=BB418_10 Depth=1
	s_delay_alu instid0(SALU_CYCLE_1)
	s_or_b32 exec_lo, exec_lo, s19
.LBB418_282:                            ;   in Loop: Header=BB418_10 Depth=1
	s_delay_alu instid0(SALU_CYCLE_1) | instskip(NEXT) | instid1(VALU_DEP_1)
	s_or_b32 exec_lo, exec_lo, s3
	v_mul_f32_e32 v8, v128, v8
	s_delay_alu instid0(VALU_DEP_1) | instskip(NEXT) | instid1(VALU_DEP_1)
	v_and_b32_e32 v167, 0x7f800000, v8
	v_cmp_ne_u32_e64 s2, 0x7f800000, v167
                                        ; implicit-def: $vgpr167
	s_delay_alu instid0(VALU_DEP_1) | instskip(NEXT) | instid1(SALU_CYCLE_1)
	s_and_saveexec_b32 s3, s2
	s_xor_b32 s2, exec_lo, s3
; %bb.283:                              ;   in Loop: Header=BB418_10 Depth=1
	v_bfe_u32 v167, v8, 16, 1
	s_delay_alu instid0(VALU_DEP_1)
	v_add3_u32 v167, v8, v167, 0x7fff
                                        ; implicit-def: $vgpr8
; %bb.284:                              ;   in Loop: Header=BB418_10 Depth=1
	s_and_not1_saveexec_b32 s3, s2
; %bb.285:                              ;   in Loop: Header=BB418_10 Depth=1
	v_and_b32_e32 v167, 0xffff, v8
	v_or_b32_e32 v177, 0x10000, v8
	s_delay_alu instid0(VALU_DEP_2) | instskip(NEXT) | instid1(VALU_DEP_1)
	v_cmp_eq_u32_e64 s2, 0, v167
	v_cndmask_b32_e64 v167, v177, v8, s2
; %bb.286:                              ;   in Loop: Header=BB418_10 Depth=1
	s_or_b32 exec_lo, exec_lo, s3
	v_mov_b32_e32 v8, 0
	s_mov_b32 s3, exec_lo
	v_cmpx_lt_u32_e32 0xffffff, v176
	s_cbranch_execz .LBB418_294
; %bb.287:                              ;   in Loop: Header=BB418_10 Depth=1
	v_lshrrev_b32_e32 v177, 24, v176
	v_bfrev_b32_e32 v8, 1
	s_mov_b32 s19, exec_lo
	s_delay_alu instid0(VALU_DEP_2)
	v_cmpx_ne_u32_e32 0x80, v177
	s_cbranch_execz .LBB418_293
; %bb.288:                              ;   in Loop: Header=BB418_10 Depth=1
	v_bfe_u32 v178, v176, 24, 7
	v_mov_b32_e32 v8, 0x7f800001
	s_mov_b32 s20, exec_lo
	s_delay_alu instid0(VALU_DEP_2)
	v_cmpx_ne_u32_e32 0x7f, v178
	s_cbranch_execz .LBB418_292
; %bb.289:                              ;   in Loop: Header=BB418_10 Depth=1
	v_and_b32_e32 v8, 7, v177
	v_lshrrev_b32_e32 v176, 3, v178
	s_mov_b32 s21, exec_lo
	v_cmpx_gt_u32_e32 8, v178
; %bb.290:                              ;   in Loop: Header=BB418_10 Depth=1
	s_delay_alu instid0(VALU_DEP_3) | instskip(NEXT) | instid1(VALU_DEP_1)
	v_clz_i32_u32_e32 v176, v8
	v_min_u32_e32 v176, 32, v176
	s_delay_alu instid0(VALU_DEP_1) | instskip(SKIP_1) | instid1(VALU_DEP_2)
	v_subrev_nc_u32_e32 v178, 28, v176
	v_sub_nc_u32_e32 v176, 29, v176
	v_lshlrev_b64 v[178:179], v178, v[8:9]
	s_delay_alu instid0(VALU_DEP_1)
	v_and_b32_e32 v8, 7, v178
; %bb.291:                              ;   in Loop: Header=BB418_10 Depth=1
	s_or_b32 exec_lo, exec_lo, s21
	v_lshlrev_b32_e32 v177, 24, v177
	s_delay_alu instid0(VALU_DEP_2) | instskip(SKIP_1) | instid1(VALU_DEP_3)
	v_lshlrev_b32_e32 v8, 20, v8
	v_lshl_add_u32 v176, v176, 23, 0x3c000000
	v_and_b32_e32 v177, 0x80000000, v177
	s_delay_alu instid0(VALU_DEP_1)
	v_or3_b32 v8, v8, v177, v176
.LBB418_292:                            ;   in Loop: Header=BB418_10 Depth=1
	s_or_b32 exec_lo, exec_lo, s20
.LBB418_293:                            ;   in Loop: Header=BB418_10 Depth=1
	s_delay_alu instid0(SALU_CYCLE_1)
	s_or_b32 exec_lo, exec_lo, s19
.LBB418_294:                            ;   in Loop: Header=BB418_10 Depth=1
	s_delay_alu instid0(SALU_CYCLE_1) | instskip(NEXT) | instid1(VALU_DEP_1)
	s_or_b32 exec_lo, exec_lo, s3
	v_mul_f32_e32 v8, v128, v8
	s_delay_alu instid0(VALU_DEP_1) | instskip(NEXT) | instid1(VALU_DEP_1)
	v_and_b32_e32 v176, 0x7f800000, v8
	v_cmp_ne_u32_e64 s2, 0x7f800000, v176
                                        ; implicit-def: $vgpr176
	s_delay_alu instid0(VALU_DEP_1) | instskip(NEXT) | instid1(SALU_CYCLE_1)
	s_and_saveexec_b32 s3, s2
	s_xor_b32 s2, exec_lo, s3
; %bb.295:                              ;   in Loop: Header=BB418_10 Depth=1
	v_bfe_u32 v176, v8, 16, 1
	s_delay_alu instid0(VALU_DEP_1)
	v_add3_u32 v176, v8, v176, 0x7fff
                                        ; implicit-def: $vgpr8
; %bb.296:                              ;   in Loop: Header=BB418_10 Depth=1
	s_and_not1_saveexec_b32 s3, s2
; %bb.297:                              ;   in Loop: Header=BB418_10 Depth=1
	v_and_b32_e32 v176, 0xffff, v8
	v_or_b32_e32 v177, 0x10000, v8
	s_delay_alu instid0(VALU_DEP_2) | instskip(NEXT) | instid1(VALU_DEP_1)
	v_cmp_eq_u32_e64 s2, 0, v176
	v_cndmask_b32_e64 v176, v177, v8, s2
; %bb.298:                              ;   in Loop: Header=BB418_10 Depth=1
	s_or_b32 exec_lo, exec_lo, s3
	flat_load_b32 v180, v[28:29] offset:768
	s_mov_b32 s3, exec_lo
	s_waitcnt vmcnt(0) lgkmcnt(0)
	v_dual_mov_b32 v8, 0 :: v_dual_and_b32 v177, 0xff, v180
	s_delay_alu instid0(VALU_DEP_1)
	v_cmpx_ne_u16_e64 0, v177
	s_cbranch_execz .LBB418_306
; %bb.299:                              ;   in Loop: Header=BB418_10 Depth=1
	v_bfrev_b32_e32 v8, 1
	s_mov_b32 s19, exec_lo
	v_cmpx_ne_u16_e64 0x80, v177
	s_cbranch_execz .LBB418_305
; %bb.300:                              ;   in Loop: Header=BB418_10 Depth=1
	v_and_b32_e32 v178, 0x7f, v180
	v_mov_b32_e32 v8, 0x7f800001
	s_mov_b32 s20, exec_lo
	s_delay_alu instid0(VALU_DEP_2)
	v_cmpx_ne_u32_e32 0x7f, v178
	s_cbranch_execz .LBB418_304
; %bb.301:                              ;   in Loop: Header=BB418_10 Depth=1
	v_and_b32_e32 v8, 7, v180
	v_lshrrev_b32_e32 v177, 3, v178
	s_mov_b32 s21, exec_lo
	v_cmpx_gt_u32_e32 8, v178
; %bb.302:                              ;   in Loop: Header=BB418_10 Depth=1
	s_delay_alu instid0(VALU_DEP_3) | instskip(NEXT) | instid1(VALU_DEP_1)
	v_clz_i32_u32_e32 v177, v8
	v_min_u32_e32 v177, 32, v177
	s_delay_alu instid0(VALU_DEP_1) | instskip(SKIP_1) | instid1(VALU_DEP_2)
	v_subrev_nc_u32_e32 v178, 28, v177
	v_sub_nc_u32_e32 v177, 29, v177
	v_lshlrev_b64 v[178:179], v178, v[8:9]
	s_delay_alu instid0(VALU_DEP_1)
	v_and_b32_e32 v8, 7, v178
; %bb.303:                              ;   in Loop: Header=BB418_10 Depth=1
	s_or_b32 exec_lo, exec_lo, s21
	v_lshlrev_b32_e32 v178, 24, v180
	s_delay_alu instid0(VALU_DEP_2) | instskip(SKIP_1) | instid1(VALU_DEP_3)
	v_lshlrev_b32_e32 v8, 20, v8
	v_lshl_add_u32 v177, v177, 23, 0x3c000000
	v_and_b32_e32 v178, 0x80000000, v178
	s_delay_alu instid0(VALU_DEP_1)
	v_or3_b32 v8, v8, v178, v177
.LBB418_304:                            ;   in Loop: Header=BB418_10 Depth=1
	s_or_b32 exec_lo, exec_lo, s20
.LBB418_305:                            ;   in Loop: Header=BB418_10 Depth=1
	s_delay_alu instid0(SALU_CYCLE_1)
	s_or_b32 exec_lo, exec_lo, s19
.LBB418_306:                            ;   in Loop: Header=BB418_10 Depth=1
	s_delay_alu instid0(SALU_CYCLE_1) | instskip(NEXT) | instid1(VALU_DEP_1)
	s_or_b32 exec_lo, exec_lo, s3
	v_mul_f32_e32 v8, v128, v8
	s_delay_alu instid0(VALU_DEP_1) | instskip(NEXT) | instid1(VALU_DEP_1)
	v_and_b32_e32 v177, 0x7f800000, v8
	v_cmp_ne_u32_e64 s2, 0x7f800000, v177
                                        ; implicit-def: $vgpr177
	s_delay_alu instid0(VALU_DEP_1) | instskip(NEXT) | instid1(SALU_CYCLE_1)
	s_and_saveexec_b32 s3, s2
	s_xor_b32 s2, exec_lo, s3
; %bb.307:                              ;   in Loop: Header=BB418_10 Depth=1
	v_bfe_u32 v177, v8, 16, 1
	s_delay_alu instid0(VALU_DEP_1)
	v_add3_u32 v177, v8, v177, 0x7fff
                                        ; implicit-def: $vgpr8
; %bb.308:                              ;   in Loop: Header=BB418_10 Depth=1
	s_and_not1_saveexec_b32 s3, s2
; %bb.309:                              ;   in Loop: Header=BB418_10 Depth=1
	v_and_b32_e32 v177, 0xffff, v8
	v_or_b32_e32 v178, 0x10000, v8
	s_delay_alu instid0(VALU_DEP_2) | instskip(NEXT) | instid1(VALU_DEP_1)
	v_cmp_eq_u32_e64 s2, 0, v177
	v_cndmask_b32_e64 v177, v178, v8, s2
; %bb.310:                              ;   in Loop: Header=BB418_10 Depth=1
	s_or_b32 exec_lo, exec_lo, s3
	v_lshrrev_b16 v178, 8, v180
	v_mov_b32_e32 v8, 0
	s_mov_b32 s3, exec_lo
	s_delay_alu instid0(VALU_DEP_2)
	v_cmpx_ne_u16_e64 0, v178
	s_cbranch_execz .LBB418_318
; %bb.311:                              ;   in Loop: Header=BB418_10 Depth=1
	v_bfrev_b32_e32 v8, 1
	s_mov_b32 s19, exec_lo
	v_cmpx_ne_u16_e64 0x80, v178
	s_cbranch_execz .LBB418_317
; %bb.312:                              ;   in Loop: Header=BB418_10 Depth=1
	v_and_b32_e32 v178, 0xffff, v178
	v_mov_b32_e32 v8, 0x7f800001
	s_mov_b32 s20, exec_lo
	s_delay_alu instid0(VALU_DEP_2) | instskip(NEXT) | instid1(VALU_DEP_1)
	v_and_b32_e32 v179, 0x7f, v178
	v_cmpx_ne_u32_e32 0x7f, v179
	s_cbranch_execz .LBB418_316
; %bb.313:                              ;   in Loop: Header=BB418_10 Depth=1
	v_and_b32_e32 v8, 7, v178
	v_lshrrev_b32_e32 v178, 3, v179
	s_mov_b32 s21, exec_lo
	v_cmpx_gt_u32_e32 8, v179
; %bb.314:                              ;   in Loop: Header=BB418_10 Depth=1
	s_delay_alu instid0(VALU_DEP_3) | instskip(NEXT) | instid1(VALU_DEP_1)
	v_clz_i32_u32_e32 v178, v8
	v_min_u32_e32 v178, 32, v178
	s_delay_alu instid0(VALU_DEP_1) | instskip(SKIP_1) | instid1(VALU_DEP_2)
	v_subrev_nc_u32_e32 v179, 28, v178
	v_sub_nc_u32_e32 v178, 29, v178
	v_lshlrev_b64 v[181:182], v179, v[8:9]
	s_delay_alu instid0(VALU_DEP_1)
	v_and_b32_e32 v8, 7, v181
; %bb.315:                              ;   in Loop: Header=BB418_10 Depth=1
	s_or_b32 exec_lo, exec_lo, s21
	v_lshlrev_b32_e32 v179, 16, v180
	s_delay_alu instid0(VALU_DEP_2) | instskip(SKIP_1) | instid1(VALU_DEP_3)
	v_lshlrev_b32_e32 v8, 20, v8
	v_lshl_add_u32 v178, v178, 23, 0x3c000000
	v_and_b32_e32 v179, 0x80000000, v179
	s_delay_alu instid0(VALU_DEP_1)
	v_or3_b32 v8, v8, v179, v178
.LBB418_316:                            ;   in Loop: Header=BB418_10 Depth=1
	s_or_b32 exec_lo, exec_lo, s20
.LBB418_317:                            ;   in Loop: Header=BB418_10 Depth=1
	s_delay_alu instid0(SALU_CYCLE_1)
	s_or_b32 exec_lo, exec_lo, s19
.LBB418_318:                            ;   in Loop: Header=BB418_10 Depth=1
	s_delay_alu instid0(SALU_CYCLE_1) | instskip(NEXT) | instid1(VALU_DEP_1)
	s_or_b32 exec_lo, exec_lo, s3
	v_mul_f32_e32 v8, v128, v8
	s_delay_alu instid0(VALU_DEP_1) | instskip(NEXT) | instid1(VALU_DEP_1)
	v_and_b32_e32 v178, 0x7f800000, v8
	v_cmp_ne_u32_e64 s2, 0x7f800000, v178
                                        ; implicit-def: $vgpr178
	s_delay_alu instid0(VALU_DEP_1) | instskip(NEXT) | instid1(SALU_CYCLE_1)
	s_and_saveexec_b32 s3, s2
	s_xor_b32 s2, exec_lo, s3
; %bb.319:                              ;   in Loop: Header=BB418_10 Depth=1
	v_bfe_u32 v178, v8, 16, 1
	s_delay_alu instid0(VALU_DEP_1)
	v_add3_u32 v178, v8, v178, 0x7fff
                                        ; implicit-def: $vgpr8
; %bb.320:                              ;   in Loop: Header=BB418_10 Depth=1
	s_and_not1_saveexec_b32 s3, s2
; %bb.321:                              ;   in Loop: Header=BB418_10 Depth=1
	v_and_b32_e32 v178, 0xffff, v8
	v_or_b32_e32 v179, 0x10000, v8
	s_delay_alu instid0(VALU_DEP_2) | instskip(NEXT) | instid1(VALU_DEP_1)
	v_cmp_eq_u32_e64 s2, 0, v178
	v_cndmask_b32_e64 v178, v179, v8, s2
; %bb.322:                              ;   in Loop: Header=BB418_10 Depth=1
	s_or_b32 exec_lo, exec_lo, s3
	v_lshrrev_b32_e32 v179, 16, v180
	s_mov_b32 s3, exec_lo
	s_delay_alu instid0(VALU_DEP_1) | instskip(NEXT) | instid1(VALU_DEP_1)
	v_dual_mov_b32 v8, 0 :: v_dual_and_b32 v181, 0xff, v179
	v_cmpx_ne_u16_e64 0, v181
	s_cbranch_execz .LBB418_330
; %bb.323:                              ;   in Loop: Header=BB418_10 Depth=1
	v_bfrev_b32_e32 v8, 1
	s_mov_b32 s19, exec_lo
	v_cmpx_ne_u16_e64 0x80, v181
	s_cbranch_execz .LBB418_329
; %bb.324:                              ;   in Loop: Header=BB418_10 Depth=1
	v_bfe_u32 v182, v180, 16, 7
	v_mov_b32_e32 v8, 0x7f800001
	s_mov_b32 s20, exec_lo
	s_delay_alu instid0(VALU_DEP_2)
	v_cmpx_ne_u32_e32 0x7f, v182
	s_cbranch_execz .LBB418_328
; %bb.325:                              ;   in Loop: Header=BB418_10 Depth=1
	v_and_b32_e32 v8, 7, v179
	v_lshrrev_b32_e32 v181, 3, v182
	s_mov_b32 s21, exec_lo
	v_cmpx_gt_u32_e32 8, v182
; %bb.326:                              ;   in Loop: Header=BB418_10 Depth=1
	s_delay_alu instid0(VALU_DEP_3) | instskip(NEXT) | instid1(VALU_DEP_1)
	v_clz_i32_u32_e32 v181, v8
	v_min_u32_e32 v181, 32, v181
	s_delay_alu instid0(VALU_DEP_1) | instskip(SKIP_1) | instid1(VALU_DEP_2)
	v_subrev_nc_u32_e32 v182, 28, v181
	v_sub_nc_u32_e32 v181, 29, v181
	v_lshlrev_b64 v[182:183], v182, v[8:9]
	s_delay_alu instid0(VALU_DEP_1)
	v_and_b32_e32 v8, 7, v182
; %bb.327:                              ;   in Loop: Header=BB418_10 Depth=1
	s_or_b32 exec_lo, exec_lo, s21
	v_lshlrev_b32_e32 v179, 24, v179
	s_delay_alu instid0(VALU_DEP_2) | instskip(SKIP_1) | instid1(VALU_DEP_3)
	v_lshlrev_b32_e32 v8, 20, v8
	v_lshl_add_u32 v181, v181, 23, 0x3c000000
	v_and_b32_e32 v179, 0x80000000, v179
	s_delay_alu instid0(VALU_DEP_1)
	v_or3_b32 v8, v8, v179, v181
.LBB418_328:                            ;   in Loop: Header=BB418_10 Depth=1
	s_or_b32 exec_lo, exec_lo, s20
.LBB418_329:                            ;   in Loop: Header=BB418_10 Depth=1
	s_delay_alu instid0(SALU_CYCLE_1)
	s_or_b32 exec_lo, exec_lo, s19
.LBB418_330:                            ;   in Loop: Header=BB418_10 Depth=1
	s_delay_alu instid0(SALU_CYCLE_1) | instskip(NEXT) | instid1(VALU_DEP_1)
	s_or_b32 exec_lo, exec_lo, s3
	v_mul_f32_e32 v8, v128, v8
	s_delay_alu instid0(VALU_DEP_1) | instskip(NEXT) | instid1(VALU_DEP_1)
	v_and_b32_e32 v179, 0x7f800000, v8
	v_cmp_ne_u32_e64 s2, 0x7f800000, v179
                                        ; implicit-def: $vgpr179
	s_delay_alu instid0(VALU_DEP_1) | instskip(NEXT) | instid1(SALU_CYCLE_1)
	s_and_saveexec_b32 s3, s2
	s_xor_b32 s2, exec_lo, s3
; %bb.331:                              ;   in Loop: Header=BB418_10 Depth=1
	v_bfe_u32 v179, v8, 16, 1
	s_delay_alu instid0(VALU_DEP_1)
	v_add3_u32 v179, v8, v179, 0x7fff
                                        ; implicit-def: $vgpr8
; %bb.332:                              ;   in Loop: Header=BB418_10 Depth=1
	s_and_not1_saveexec_b32 s3, s2
; %bb.333:                              ;   in Loop: Header=BB418_10 Depth=1
	v_and_b32_e32 v179, 0xffff, v8
	v_or_b32_e32 v181, 0x10000, v8
	s_delay_alu instid0(VALU_DEP_2) | instskip(NEXT) | instid1(VALU_DEP_1)
	v_cmp_eq_u32_e64 s2, 0, v179
	v_cndmask_b32_e64 v179, v181, v8, s2
; %bb.334:                              ;   in Loop: Header=BB418_10 Depth=1
	s_or_b32 exec_lo, exec_lo, s3
	v_mov_b32_e32 v8, 0
	s_mov_b32 s3, exec_lo
	v_cmpx_lt_u32_e32 0xffffff, v180
	s_cbranch_execz .LBB418_342
; %bb.335:                              ;   in Loop: Header=BB418_10 Depth=1
	v_lshrrev_b32_e32 v181, 24, v180
	v_bfrev_b32_e32 v8, 1
	s_mov_b32 s19, exec_lo
	s_delay_alu instid0(VALU_DEP_2)
	v_cmpx_ne_u32_e32 0x80, v181
	s_cbranch_execz .LBB418_341
; %bb.336:                              ;   in Loop: Header=BB418_10 Depth=1
	v_bfe_u32 v182, v180, 24, 7
	v_mov_b32_e32 v8, 0x7f800001
	s_mov_b32 s20, exec_lo
	s_delay_alu instid0(VALU_DEP_2)
	v_cmpx_ne_u32_e32 0x7f, v182
	s_cbranch_execz .LBB418_340
; %bb.337:                              ;   in Loop: Header=BB418_10 Depth=1
	v_and_b32_e32 v8, 7, v181
	v_lshrrev_b32_e32 v180, 3, v182
	s_mov_b32 s21, exec_lo
	v_cmpx_gt_u32_e32 8, v182
; %bb.338:                              ;   in Loop: Header=BB418_10 Depth=1
	s_delay_alu instid0(VALU_DEP_3) | instskip(NEXT) | instid1(VALU_DEP_1)
	v_clz_i32_u32_e32 v180, v8
	v_min_u32_e32 v180, 32, v180
	s_delay_alu instid0(VALU_DEP_1) | instskip(SKIP_1) | instid1(VALU_DEP_2)
	v_subrev_nc_u32_e32 v182, 28, v180
	v_sub_nc_u32_e32 v180, 29, v180
	v_lshlrev_b64 v[182:183], v182, v[8:9]
	s_delay_alu instid0(VALU_DEP_1)
	v_and_b32_e32 v8, 7, v182
; %bb.339:                              ;   in Loop: Header=BB418_10 Depth=1
	s_or_b32 exec_lo, exec_lo, s21
	v_lshlrev_b32_e32 v181, 24, v181
	s_delay_alu instid0(VALU_DEP_2) | instskip(SKIP_1) | instid1(VALU_DEP_3)
	v_lshlrev_b32_e32 v8, 20, v8
	v_lshl_add_u32 v180, v180, 23, 0x3c000000
	v_and_b32_e32 v181, 0x80000000, v181
	s_delay_alu instid0(VALU_DEP_1)
	v_or3_b32 v8, v8, v181, v180
.LBB418_340:                            ;   in Loop: Header=BB418_10 Depth=1
	s_or_b32 exec_lo, exec_lo, s20
.LBB418_341:                            ;   in Loop: Header=BB418_10 Depth=1
	s_delay_alu instid0(SALU_CYCLE_1)
	s_or_b32 exec_lo, exec_lo, s19
.LBB418_342:                            ;   in Loop: Header=BB418_10 Depth=1
	s_delay_alu instid0(SALU_CYCLE_1) | instskip(NEXT) | instid1(VALU_DEP_1)
	s_or_b32 exec_lo, exec_lo, s3
	v_mul_f32_e32 v8, v128, v8
	s_delay_alu instid0(VALU_DEP_1) | instskip(NEXT) | instid1(VALU_DEP_1)
	v_and_b32_e32 v180, 0x7f800000, v8
	v_cmp_ne_u32_e64 s2, 0x7f800000, v180
                                        ; implicit-def: $vgpr180
	s_delay_alu instid0(VALU_DEP_1) | instskip(NEXT) | instid1(SALU_CYCLE_1)
	s_and_saveexec_b32 s3, s2
	s_xor_b32 s2, exec_lo, s3
; %bb.343:                              ;   in Loop: Header=BB418_10 Depth=1
	v_bfe_u32 v180, v8, 16, 1
	s_delay_alu instid0(VALU_DEP_1)
	v_add3_u32 v180, v8, v180, 0x7fff
                                        ; implicit-def: $vgpr8
; %bb.344:                              ;   in Loop: Header=BB418_10 Depth=1
	s_and_not1_saveexec_b32 s3, s2
; %bb.345:                              ;   in Loop: Header=BB418_10 Depth=1
	v_and_b32_e32 v180, 0xffff, v8
	v_or_b32_e32 v181, 0x10000, v8
	s_delay_alu instid0(VALU_DEP_2) | instskip(NEXT) | instid1(VALU_DEP_1)
	v_cmp_eq_u32_e64 s2, 0, v180
	v_cndmask_b32_e64 v180, v181, v8, s2
; %bb.346:                              ;   in Loop: Header=BB418_10 Depth=1
	s_or_b32 exec_lo, exec_lo, s3
	flat_load_b32 v29, v[28:29] offset:776
	v_mov_b32_e32 v8, 0
	s_mov_b32 s3, exec_lo
	s_waitcnt vmcnt(0) lgkmcnt(0)
	v_and_b32_e32 v28, 0xff, v29
	s_delay_alu instid0(VALU_DEP_1)
	v_cmpx_ne_u16_e32 0, v28
	s_cbranch_execz .LBB418_354
; %bb.347:                              ;   in Loop: Header=BB418_10 Depth=1
	v_bfrev_b32_e32 v8, 1
	s_mov_b32 s19, exec_lo
	v_cmpx_ne_u16_e32 0x80, v28
	s_cbranch_execz .LBB418_353
; %bb.348:                              ;   in Loop: Header=BB418_10 Depth=1
	v_and_b32_e32 v181, 0x7f, v29
	v_mov_b32_e32 v8, 0x7f800001
	s_mov_b32 s20, exec_lo
	s_delay_alu instid0(VALU_DEP_2)
	v_cmpx_ne_u32_e32 0x7f, v181
	s_cbranch_execz .LBB418_352
; %bb.349:                              ;   in Loop: Header=BB418_10 Depth=1
	v_and_b32_e32 v8, 7, v29
	v_lshrrev_b32_e32 v28, 3, v181
	s_mov_b32 s21, exec_lo
	v_cmpx_gt_u32_e32 8, v181
; %bb.350:                              ;   in Loop: Header=BB418_10 Depth=1
	s_delay_alu instid0(VALU_DEP_3) | instskip(NEXT) | instid1(VALU_DEP_1)
	v_clz_i32_u32_e32 v28, v8
	v_min_u32_e32 v28, 32, v28
	s_delay_alu instid0(VALU_DEP_1) | instskip(SKIP_1) | instid1(VALU_DEP_2)
	v_subrev_nc_u32_e32 v181, 28, v28
	v_sub_nc_u32_e32 v28, 29, v28
	v_lshlrev_b64 v[181:182], v181, v[8:9]
	s_delay_alu instid0(VALU_DEP_1)
	v_and_b32_e32 v8, 7, v181
; %bb.351:                              ;   in Loop: Header=BB418_10 Depth=1
	s_or_b32 exec_lo, exec_lo, s21
	v_lshlrev_b32_e32 v181, 24, v29
	s_delay_alu instid0(VALU_DEP_2) | instskip(SKIP_1) | instid1(VALU_DEP_3)
	v_lshlrev_b32_e32 v8, 20, v8
	v_lshl_add_u32 v28, v28, 23, 0x3c000000
	v_and_b32_e32 v181, 0x80000000, v181
	s_delay_alu instid0(VALU_DEP_1)
	v_or3_b32 v8, v8, v181, v28
.LBB418_352:                            ;   in Loop: Header=BB418_10 Depth=1
	s_or_b32 exec_lo, exec_lo, s20
.LBB418_353:                            ;   in Loop: Header=BB418_10 Depth=1
	s_delay_alu instid0(SALU_CYCLE_1)
	s_or_b32 exec_lo, exec_lo, s19
.LBB418_354:                            ;   in Loop: Header=BB418_10 Depth=1
	s_delay_alu instid0(SALU_CYCLE_1) | instskip(NEXT) | instid1(VALU_DEP_1)
	s_or_b32 exec_lo, exec_lo, s3
	v_mul_f32_e32 v8, v128, v8
	s_delay_alu instid0(VALU_DEP_1) | instskip(NEXT) | instid1(VALU_DEP_1)
	v_and_b32_e32 v28, 0x7f800000, v8
	v_cmp_ne_u32_e64 s2, 0x7f800000, v28
                                        ; implicit-def: $vgpr28
	s_delay_alu instid0(VALU_DEP_1) | instskip(NEXT) | instid1(SALU_CYCLE_1)
	s_and_saveexec_b32 s3, s2
	s_xor_b32 s2, exec_lo, s3
; %bb.355:                              ;   in Loop: Header=BB418_10 Depth=1
	v_bfe_u32 v28, v8, 16, 1
	s_delay_alu instid0(VALU_DEP_1)
	v_add3_u32 v28, v8, v28, 0x7fff
                                        ; implicit-def: $vgpr8
; %bb.356:                              ;   in Loop: Header=BB418_10 Depth=1
	s_and_not1_saveexec_b32 s3, s2
; %bb.357:                              ;   in Loop: Header=BB418_10 Depth=1
	v_and_b32_e32 v28, 0xffff, v8
	v_or_b32_e32 v181, 0x10000, v8
	s_delay_alu instid0(VALU_DEP_2) | instskip(NEXT) | instid1(VALU_DEP_1)
	v_cmp_eq_u32_e64 s2, 0, v28
	v_cndmask_b32_e64 v28, v181, v8, s2
; %bb.358:                              ;   in Loop: Header=BB418_10 Depth=1
	s_or_b32 exec_lo, exec_lo, s3
	v_lshrrev_b16 v181, 8, v29
	v_mov_b32_e32 v8, 0
	s_mov_b32 s3, exec_lo
	s_delay_alu instid0(VALU_DEP_2)
	v_cmpx_ne_u16_e64 0, v181
	s_cbranch_execz .LBB418_366
; %bb.359:                              ;   in Loop: Header=BB418_10 Depth=1
	v_bfrev_b32_e32 v8, 1
	s_mov_b32 s19, exec_lo
	v_cmpx_ne_u16_e64 0x80, v181
	s_cbranch_execz .LBB418_365
; %bb.360:                              ;   in Loop: Header=BB418_10 Depth=1
	v_and_b32_e32 v181, 0xffff, v181
	v_mov_b32_e32 v8, 0x7f800001
	s_mov_b32 s20, exec_lo
	s_delay_alu instid0(VALU_DEP_2) | instskip(NEXT) | instid1(VALU_DEP_1)
	v_and_b32_e32 v182, 0x7f, v181
	v_cmpx_ne_u32_e32 0x7f, v182
	s_cbranch_execz .LBB418_364
; %bb.361:                              ;   in Loop: Header=BB418_10 Depth=1
	v_and_b32_e32 v8, 7, v181
	v_lshrrev_b32_e32 v181, 3, v182
	s_mov_b32 s21, exec_lo
	v_cmpx_gt_u32_e32 8, v182
; %bb.362:                              ;   in Loop: Header=BB418_10 Depth=1
	s_delay_alu instid0(VALU_DEP_3) | instskip(NEXT) | instid1(VALU_DEP_1)
	v_clz_i32_u32_e32 v181, v8
	v_min_u32_e32 v181, 32, v181
	s_delay_alu instid0(VALU_DEP_1) | instskip(SKIP_1) | instid1(VALU_DEP_2)
	v_subrev_nc_u32_e32 v182, 28, v181
	v_sub_nc_u32_e32 v181, 29, v181
	v_lshlrev_b64 v[182:183], v182, v[8:9]
	s_delay_alu instid0(VALU_DEP_1)
	v_and_b32_e32 v8, 7, v182
; %bb.363:                              ;   in Loop: Header=BB418_10 Depth=1
	s_or_b32 exec_lo, exec_lo, s21
	v_lshlrev_b32_e32 v182, 16, v29
	s_delay_alu instid0(VALU_DEP_2) | instskip(SKIP_1) | instid1(VALU_DEP_3)
	v_lshlrev_b32_e32 v8, 20, v8
	v_lshl_add_u32 v181, v181, 23, 0x3c000000
	v_and_b32_e32 v182, 0x80000000, v182
	s_delay_alu instid0(VALU_DEP_1)
	v_or3_b32 v8, v8, v182, v181
.LBB418_364:                            ;   in Loop: Header=BB418_10 Depth=1
	s_or_b32 exec_lo, exec_lo, s20
.LBB418_365:                            ;   in Loop: Header=BB418_10 Depth=1
	s_delay_alu instid0(SALU_CYCLE_1)
	s_or_b32 exec_lo, exec_lo, s19
.LBB418_366:                            ;   in Loop: Header=BB418_10 Depth=1
	s_delay_alu instid0(SALU_CYCLE_1) | instskip(NEXT) | instid1(VALU_DEP_1)
	s_or_b32 exec_lo, exec_lo, s3
	v_mul_f32_e32 v8, v128, v8
	s_delay_alu instid0(VALU_DEP_1) | instskip(NEXT) | instid1(VALU_DEP_1)
	v_and_b32_e32 v181, 0x7f800000, v8
	v_cmp_ne_u32_e64 s2, 0x7f800000, v181
                                        ; implicit-def: $vgpr181
	s_delay_alu instid0(VALU_DEP_1) | instskip(NEXT) | instid1(SALU_CYCLE_1)
	s_and_saveexec_b32 s3, s2
	s_xor_b32 s2, exec_lo, s3
; %bb.367:                              ;   in Loop: Header=BB418_10 Depth=1
	v_bfe_u32 v181, v8, 16, 1
	s_delay_alu instid0(VALU_DEP_1)
	v_add3_u32 v181, v8, v181, 0x7fff
                                        ; implicit-def: $vgpr8
; %bb.368:                              ;   in Loop: Header=BB418_10 Depth=1
	s_and_not1_saveexec_b32 s3, s2
; %bb.369:                              ;   in Loop: Header=BB418_10 Depth=1
	v_and_b32_e32 v181, 0xffff, v8
	v_or_b32_e32 v182, 0x10000, v8
	s_delay_alu instid0(VALU_DEP_2) | instskip(NEXT) | instid1(VALU_DEP_1)
	v_cmp_eq_u32_e64 s2, 0, v181
	v_cndmask_b32_e64 v181, v182, v8, s2
; %bb.370:                              ;   in Loop: Header=BB418_10 Depth=1
	s_or_b32 exec_lo, exec_lo, s3
	v_lshrrev_b32_e32 v182, 16, v29
	s_mov_b32 s3, exec_lo
	s_delay_alu instid0(VALU_DEP_1) | instskip(NEXT) | instid1(VALU_DEP_1)
	v_dual_mov_b32 v8, 0 :: v_dual_and_b32 v183, 0xff, v182
	v_cmpx_ne_u16_e64 0, v183
	s_cbranch_execz .LBB418_378
; %bb.371:                              ;   in Loop: Header=BB418_10 Depth=1
	v_bfrev_b32_e32 v8, 1
	s_mov_b32 s19, exec_lo
	v_cmpx_ne_u16_e64 0x80, v183
	s_cbranch_execz .LBB418_377
; %bb.372:                              ;   in Loop: Header=BB418_10 Depth=1
	v_bfe_u32 v40, v29, 16, 7
	v_mov_b32_e32 v8, 0x7f800001
	s_mov_b32 s20, exec_lo
	s_delay_alu instid0(VALU_DEP_2)
	v_cmpx_ne_u32_e32 0x7f, v40
	s_cbranch_execz .LBB418_376
; %bb.373:                              ;   in Loop: Header=BB418_10 Depth=1
	v_and_b32_e32 v8, 7, v182
	v_lshrrev_b32_e32 v183, 3, v40
	s_mov_b32 s21, exec_lo
	v_cmpx_gt_u32_e32 8, v40
; %bb.374:                              ;   in Loop: Header=BB418_10 Depth=1
	s_delay_alu instid0(VALU_DEP_3) | instskip(NEXT) | instid1(VALU_DEP_1)
	v_clz_i32_u32_e32 v183, v8
	v_min_u32_e32 v183, 32, v183
	s_delay_alu instid0(VALU_DEP_1) | instskip(SKIP_1) | instid1(VALU_DEP_2)
	v_subrev_nc_u32_e32 v40, 28, v183
	v_sub_nc_u32_e32 v183, 29, v183
	v_lshlrev_b64 v[40:41], v40, v[8:9]
	s_delay_alu instid0(VALU_DEP_1)
	v_and_b32_e32 v8, 7, v40
; %bb.375:                              ;   in Loop: Header=BB418_10 Depth=1
	s_or_b32 exec_lo, exec_lo, s21
	v_lshlrev_b32_e32 v182, 24, v182
	s_delay_alu instid0(VALU_DEP_2) | instskip(SKIP_1) | instid1(VALU_DEP_3)
	v_lshlrev_b32_e32 v8, 20, v8
	v_lshl_add_u32 v183, v183, 23, 0x3c000000
	v_and_b32_e32 v182, 0x80000000, v182
	s_delay_alu instid0(VALU_DEP_1)
	v_or3_b32 v8, v8, v182, v183
.LBB418_376:                            ;   in Loop: Header=BB418_10 Depth=1
	s_or_b32 exec_lo, exec_lo, s20
.LBB418_377:                            ;   in Loop: Header=BB418_10 Depth=1
	s_delay_alu instid0(SALU_CYCLE_1)
	s_or_b32 exec_lo, exec_lo, s19
.LBB418_378:                            ;   in Loop: Header=BB418_10 Depth=1
	s_delay_alu instid0(SALU_CYCLE_1) | instskip(NEXT) | instid1(VALU_DEP_1)
	s_or_b32 exec_lo, exec_lo, s3
	v_mul_f32_e32 v8, v128, v8
	s_delay_alu instid0(VALU_DEP_1) | instskip(NEXT) | instid1(VALU_DEP_1)
	v_and_b32_e32 v182, 0x7f800000, v8
	v_cmp_ne_u32_e64 s2, 0x7f800000, v182
                                        ; implicit-def: $vgpr182
	s_delay_alu instid0(VALU_DEP_1) | instskip(NEXT) | instid1(SALU_CYCLE_1)
	s_and_saveexec_b32 s3, s2
	s_xor_b32 s2, exec_lo, s3
; %bb.379:                              ;   in Loop: Header=BB418_10 Depth=1
	v_bfe_u32 v182, v8, 16, 1
	s_delay_alu instid0(VALU_DEP_1)
	v_add3_u32 v182, v8, v182, 0x7fff
                                        ; implicit-def: $vgpr8
; %bb.380:                              ;   in Loop: Header=BB418_10 Depth=1
	s_and_not1_saveexec_b32 s3, s2
; %bb.381:                              ;   in Loop: Header=BB418_10 Depth=1
	v_and_b32_e32 v182, 0xffff, v8
	v_or_b32_e32 v183, 0x10000, v8
	s_delay_alu instid0(VALU_DEP_2) | instskip(NEXT) | instid1(VALU_DEP_1)
	v_cmp_eq_u32_e64 s2, 0, v182
	v_cndmask_b32_e64 v182, v183, v8, s2
; %bb.382:                              ;   in Loop: Header=BB418_10 Depth=1
	s_or_b32 exec_lo, exec_lo, s3
	v_mov_b32_e32 v8, 0
	s_mov_b32 s3, exec_lo
	v_cmpx_lt_u32_e32 0xffffff, v29
	s_cbranch_execz .LBB418_390
; %bb.383:                              ;   in Loop: Header=BB418_10 Depth=1
	v_lshrrev_b32_e32 v183, 24, v29
	v_bfrev_b32_e32 v8, 1
	s_mov_b32 s19, exec_lo
	s_delay_alu instid0(VALU_DEP_2)
	v_cmpx_ne_u32_e32 0x80, v183
	s_cbranch_execz .LBB418_389
; %bb.384:                              ;   in Loop: Header=BB418_10 Depth=1
	v_bfe_u32 v40, v29, 24, 7
	v_mov_b32_e32 v8, 0x7f800001
	s_mov_b32 s20, exec_lo
	s_delay_alu instid0(VALU_DEP_2)
	v_cmpx_ne_u32_e32 0x7f, v40
	s_cbranch_execz .LBB418_388
; %bb.385:                              ;   in Loop: Header=BB418_10 Depth=1
	v_and_b32_e32 v8, 7, v183
	v_lshrrev_b32_e32 v29, 3, v40
	s_mov_b32 s21, exec_lo
	v_cmpx_gt_u32_e32 8, v40
; %bb.386:                              ;   in Loop: Header=BB418_10 Depth=1
	s_delay_alu instid0(VALU_DEP_3) | instskip(NEXT) | instid1(VALU_DEP_1)
	v_clz_i32_u32_e32 v29, v8
	v_min_u32_e32 v29, 32, v29
	s_delay_alu instid0(VALU_DEP_1) | instskip(SKIP_1) | instid1(VALU_DEP_2)
	v_subrev_nc_u32_e32 v40, 28, v29
	v_sub_nc_u32_e32 v29, 29, v29
	v_lshlrev_b64 v[40:41], v40, v[8:9]
	s_delay_alu instid0(VALU_DEP_1)
	v_and_b32_e32 v8, 7, v40
; %bb.387:                              ;   in Loop: Header=BB418_10 Depth=1
	s_or_b32 exec_lo, exec_lo, s21
	v_lshlrev_b32_e32 v183, 24, v183
	s_delay_alu instid0(VALU_DEP_2) | instskip(SKIP_1) | instid1(VALU_DEP_3)
	v_lshlrev_b32_e32 v8, 20, v8
	v_lshl_add_u32 v29, v29, 23, 0x3c000000
	v_and_b32_e32 v183, 0x80000000, v183
	s_delay_alu instid0(VALU_DEP_1)
	v_or3_b32 v8, v8, v183, v29
.LBB418_388:                            ;   in Loop: Header=BB418_10 Depth=1
	s_or_b32 exec_lo, exec_lo, s20
.LBB418_389:                            ;   in Loop: Header=BB418_10 Depth=1
	s_delay_alu instid0(SALU_CYCLE_1)
	s_or_b32 exec_lo, exec_lo, s19
.LBB418_390:                            ;   in Loop: Header=BB418_10 Depth=1
	s_delay_alu instid0(SALU_CYCLE_1) | instskip(NEXT) | instid1(VALU_DEP_1)
	s_or_b32 exec_lo, exec_lo, s3
	v_mul_f32_e32 v29, v128, v8
	s_delay_alu instid0(VALU_DEP_1) | instskip(NEXT) | instid1(VALU_DEP_1)
	v_and_b32_e32 v8, 0x7f800000, v29
	v_cmp_ne_u32_e64 s2, 0x7f800000, v8
                                        ; implicit-def: $vgpr8
	s_delay_alu instid0(VALU_DEP_1) | instskip(NEXT) | instid1(SALU_CYCLE_1)
	s_and_saveexec_b32 s3, s2
	s_xor_b32 s2, exec_lo, s3
; %bb.391:                              ;   in Loop: Header=BB418_10 Depth=1
	v_bfe_u32 v8, v29, 16, 1
	s_delay_alu instid0(VALU_DEP_1)
	v_add3_u32 v8, v29, v8, 0x7fff
                                        ; implicit-def: $vgpr29
; %bb.392:                              ;   in Loop: Header=BB418_10 Depth=1
	s_and_not1_saveexec_b32 s3, s2
; %bb.393:                              ;   in Loop: Header=BB418_10 Depth=1
	v_and_b32_e32 v8, 0xffff, v29
	v_or_b32_e32 v128, 0x10000, v29
	s_delay_alu instid0(VALU_DEP_2) | instskip(NEXT) | instid1(VALU_DEP_1)
	v_cmp_eq_u32_e64 s2, 0, v8
	v_cndmask_b32_e64 v8, v128, v29, s2
; %bb.394:                              ;   in Loop: Header=BB418_10 Depth=1
	s_or_b32 exec_lo, exec_lo, s3
	v_and_b32_e32 v135, 0xffff0000, v135
	v_and_b32_e32 v178, 0xffff0000, v178
	;; [unrolled: 1-line block ×4, first 2 shown]
	s_delay_alu instid0(VALU_DEP_4) | instskip(SKIP_3) | instid1(VALU_DEP_3)
	v_dual_mul_f32 v135, v64, v135 :: v_dual_and_b32 v130, 0xffff0000, v130
	v_and_b32_e32 v133, 0xffff0000, v133
	v_and_b32_e32 v28, 0xffff0000, v28
	v_dual_mul_f32 v134, v55, v134 :: v_dual_and_b32 v129, 0xffff0000, v129
	v_dual_mul_f32 v133, v54, v133 :: v_dual_and_b32 v144, 0xffff0000, v144
	v_and_b32_e32 v128, 0xffff0000, v179
	s_delay_alu instid0(VALU_DEP_3) | instskip(NEXT) | instid1(VALU_DEP_3)
	v_dual_fmac_f32 v134, v51, v130 :: v_dual_and_b32 v179, 0xffff0000, v180
	v_dual_mul_f32 v130, v65, v144 :: v_dual_and_b32 v177, 0xffff0000, v177
	v_and_b32_e32 v131, 0xffff0000, v131
	v_fmac_f32_e32 v133, v50, v129
	v_and_b32_e32 v129, 0xffff0000, v132
	v_and_b32_e32 v166, 0xffff0000, v166
	;; [unrolled: 1-line block ×3, first 2 shown]
	v_fmac_f32_e32 v135, v52, v131
	s_delay_alu instid0(VALU_DEP_4) | instskip(SKIP_3) | instid1(VALU_DEP_4)
	v_dual_fmac_f32 v130, v53, v129 :: v_dual_and_b32 v131, 0xffff0000, v148
	v_and_b32_e32 v161, 0xffff0000, v161
	v_and_b32_e32 v129, 0xffff0000, v160
	;; [unrolled: 1-line block ×3, first 2 shown]
	v_fmac_f32_e32 v130, v69, v131
	v_and_b32_e32 v147, 0xffff0000, v147
	s_delay_alu instid0(VALU_DEP_2) | instskip(SKIP_1) | instid1(VALU_DEP_3)
	v_dual_fmac_f32 v130, v81, v129 :: v_dual_and_b32 v131, 0xffff0000, v164
	v_and_b32_e32 v145, 0xffff0000, v145
	v_dual_fmac_f32 v135, v68, v147 :: v_dual_and_b32 v150, 0xffff0000, v150
	s_delay_alu instid0(VALU_DEP_3) | instskip(NEXT) | instid1(VALU_DEP_3)
	v_dual_fmac_f32 v130, v85, v131 :: v_dual_and_b32 v129, 0xffff0000, v176
	v_dual_fmac_f32 v133, v66, v145 :: v_dual_and_b32 v162, 0xffff0000, v162
	v_and_b32_e32 v146, 0xffff0000, v146
	s_delay_alu instid0(VALU_DEP_3) | instskip(NEXT) | instid1(VALU_DEP_2)
	v_dual_fmac_f32 v130, v97, v129 :: v_dual_and_b32 v167, 0xffff0000, v167
	v_dual_fmac_f32 v134, v67, v146 :: v_dual_and_b32 v165, 0xffff0000, v165
	s_delay_alu instid0(VALU_DEP_2) | instskip(NEXT) | instid1(VALU_DEP_2)
	v_fmac_f32_e32 v130, v101, v179
	v_dual_fmac_f32 v134, v71, v150 :: v_dual_and_b32 v151, 0xffff0000, v151
	s_delay_alu instid0(VALU_DEP_2) | instskip(NEXT) | instid1(VALU_DEP_2)
	v_dual_fmac_f32 v130, v114, v8 :: v_dual_and_b32 v131, 0xffff0000, v182
	v_dual_fmac_f32 v134, v83, v162 :: v_dual_and_b32 v149, 0xffff0000, v149
	s_delay_alu instid0(VALU_DEP_1) | instskip(NEXT) | instid1(VALU_DEP_2)
	v_dual_fmac_f32 v135, v80, v151 :: v_dual_fmac_f32 v134, v87, v166
	v_fmac_f32_e32 v133, v70, v149
	s_delay_alu instid0(VALU_DEP_2) | instskip(NEXT) | instid1(VALU_DEP_2)
	v_dual_fmac_f32 v135, v84, v163 :: v_dual_fmac_f32 v134, v99, v178
	v_fmac_f32_e32 v133, v82, v161
	s_delay_alu instid0(VALU_DEP_2) | instskip(NEXT) | instid1(VALU_DEP_2)
	;; [unrolled: 3-line block ×3, first 2 shown]
	v_fmac_f32_e32 v135, v100, v128
	v_fmac_f32_e32 v133, v98, v177
	s_delay_alu instid0(VALU_DEP_2) | instskip(NEXT) | instid1(VALU_DEP_2)
	v_fmac_f32_e32 v135, v112, v131
	v_fmac_f32_e32 v133, v102, v28
	s_delay_alu instid0(VALU_DEP_1) | instskip(NEXT) | instid1(VALU_DEP_1)
	v_add_f32_e32 v28, v133, v134
	v_add_f32_e32 v8, v28, v135
	s_delay_alu instid0(VALU_DEP_1)
	v_add_f32_e32 v8, v130, v8
	ds_bpermute_b32 v28, v115, v8
	s_and_saveexec_b32 s3, vcc_lo
	s_cbranch_execz .LBB418_9
; %bb.395:                              ;   in Loop: Header=BB418_10 Depth=1
	v_add_nc_u32_e32 v29, v116, v117
	s_load_b32 s19, s[8:9], 0x0
	s_waitcnt lgkmcnt(0)
	v_add_f32_e32 v8, v8, v28
	v_cmp_lt_i32_e64 s2, v117, v32
	v_cvt_f32_i32_e32 v29, v29
	s_delay_alu instid0(VALU_DEP_1) | instskip(NEXT) | instid1(VALU_DEP_1)
	v_mul_f32_e32 v29, v48, v29
	v_cndmask_b32_e64 v28, 0, v29, s1
	v_max_f32_e32 v29, v113, v113
	s_delay_alu instid0(VALU_DEP_2) | instskip(NEXT) | instid1(VALU_DEP_1)
	v_fmac_f32_e32 v28, v8, v13
	v_dual_max_f32 v8, v29, v28 :: v_dual_add_nc_u32 v29, s19, v118
	v_cndmask_b32_e64 v28, 0, v28, s2
	s_delay_alu instid0(VALU_DEP_2)
	v_cndmask_b32_e64 v113, v113, v8, s2
	ds_store_b32 v29, v28
	s_branch .LBB418_9
.LBB418_396:
	s_or_b32 exec_lo, exec_lo, s11
.LBB418_397:
	s_delay_alu instid0(SALU_CYCLE_1)
	s_or_b32 exec_lo, exec_lo, s15
	v_xor_b32_e32 v8, 16, v39
	v_xor_b32_e32 v9, 8, v39
	s_waitcnt lgkmcnt(0)
	s_lshr_b32 s8, s18, 16
	v_dual_max_f32 v13, v113, v113 :: v_dual_and_b32 v18, 31, v31
	v_cmp_lt_i32_e32 vcc_lo, v8, v49
	v_lshlrev_b32_e32 v24, 2, v34
	v_cndmask_b32_e32 v8, v39, v8, vcc_lo
	v_cmp_lt_i32_e32 vcc_lo, v9, v49
	s_delay_alu instid0(VALU_DEP_2) | instskip(SKIP_3) | instid1(VALU_DEP_1)
	v_dual_cndmask_b32 v9, v39, v9 :: v_dual_lshlrev_b32 v20, 2, v8
	ds_bpermute_b32 v8, v20, v113
	s_waitcnt lgkmcnt(0)
	v_dual_max_f32 v8, v8, v8 :: v_dual_lshlrev_b32 v21, 2, v9
	v_max_f32_e32 v8, v13, v8
	v_xor_b32_e32 v13, 4, v39
	s_delay_alu instid0(VALU_DEP_1) | instskip(SKIP_4) | instid1(VALU_DEP_1)
	v_cmp_lt_i32_e32 vcc_lo, v13, v49
	v_cndmask_b32_e32 v13, v39, v13, vcc_lo
	ds_bpermute_b32 v9, v21, v8
	v_lshlrev_b32_e32 v23, 2, v13
	v_xor_b32_e32 v13, 2, v39
	v_cmp_lt_i32_e32 vcc_lo, v13, v49
	v_cndmask_b32_e32 v13, v39, v13, vcc_lo
	v_cmp_eq_u32_e32 vcc_lo, 0, v18
	s_waitcnt lgkmcnt(0)
	v_max_f32_e32 v9, v9, v9
	s_delay_alu instid0(VALU_DEP_3) | instskip(NEXT) | instid1(VALU_DEP_2)
	v_lshlrev_b32_e32 v13, 2, v13
	v_max_f32_e32 v8, v8, v9
	ds_bpermute_b32 v9, v23, v8
	s_waitcnt lgkmcnt(0)
	v_max_f32_e32 v9, v9, v9
	s_delay_alu instid0(VALU_DEP_1)
	v_max_f32_e32 v8, v8, v9
	ds_bpermute_b32 v9, v13, v8
	s_and_saveexec_b32 s1, vcc_lo
	s_cbranch_execz .LBB418_399
; %bb.398:
	s_waitcnt lgkmcnt(0)
	v_dual_max_f32 v9, v9, v9 :: v_dual_max_f32 v8, v8, v8
	s_delay_alu instid0(VALU_DEP_1)
	v_max_f32_e32 v8, v8, v9
	ds_store_b32 v24, v8 offset:128
.LBB418_399:
	s_or_b32 exec_lo, exec_lo, s1
	v_cmp_gt_u32_e64 s1, 4, v18
	v_dual_mov_b32 v8, 0xff7fffff :: v_dual_lshlrev_b32 v25, 2, v18
	s_waitcnt lgkmcnt(0)
	s_barrier
	buffer_gl0_inv
	s_and_saveexec_b32 s2, s1
	s_cbranch_execz .LBB418_401
; %bb.400:
	ds_load_b32 v8, v25 offset:128
.LBB418_401:
	s_or_b32 exec_lo, exec_lo, s2
	s_waitcnt lgkmcnt(0)
	ds_bpermute_b32 v9, v13, v8
	v_xor_b32_e32 v19, 1, v39
	v_max_f32_e32 v8, v8, v8
	v_subrev_nc_u32_e32 v29, s13, v35
	v_lshlrev_b32_e32 v28, 2, v39
	s_delay_alu instid0(VALU_DEP_4) | instskip(NEXT) | instid1(VALU_DEP_2)
	v_cmp_lt_i32_e64 s2, v19, v49
	v_and_b32_e32 v28, 0xffffff80, v28
	s_delay_alu instid0(VALU_DEP_2) | instskip(SKIP_2) | instid1(VALU_DEP_1)
	v_cndmask_b32_e64 v19, v39, v19, s2
	s_waitcnt lgkmcnt(0)
	v_max_f32_e32 v9, v9, v9
	v_dual_max_f32 v8, v8, v9 :: v_dual_lshlrev_b32 v19, 2, v19
	ds_bpermute_b32 v9, v19, v8
	s_waitcnt lgkmcnt(0)
	v_max_f32_e32 v9, v9, v9
	s_delay_alu instid0(VALU_DEP_1) | instskip(SKIP_4) | instid1(VALU_DEP_1)
	v_max_f32_e32 v8, v8, v9
	v_lshl_add_u32 v9, v29, 4, s17
	v_mov_b32_e32 v29, 0
	ds_bpermute_b32 v8, v28, v8
	v_min_i32_e32 v9, v9, v32
	v_subrev_nc_u32_e32 v9, s17, v9
	s_delay_alu instid0(VALU_DEP_1) | instskip(NEXT) | instid1(VALU_DEP_1)
	v_cmp_lt_i32_e64 s2, v31, v9
	s_and_saveexec_b32 s9, s2
	s_cbranch_execz .LBB418_405
; %bb.402:
	s_getpc_b64 s[18:19]
	s_add_u32 s18, s18, llvm.amdgcn.dynlds.offset.table@rel32@lo+4
	s_addc_u32 s19, s19, llvm.amdgcn.dynlds.offset.table@rel32@hi+12
	s_ashr_i32 s11, s10, 31
	v_dual_mov_b32 v29, 0 :: v_dual_mov_b32 v48, v31
	s_lshl_b64 s[20:21], s[10:11], 2
	s_mov_b32 s11, 0
	s_add_u32 s18, s20, s18
	s_addc_u32 s19, s21, s19
	s_load_b32 s3, s[18:19], 0x0
	s_waitcnt lgkmcnt(0)
	v_lshl_add_u32 v39, v31, 2, s3
	.p2align	6
.LBB418_403:                            ; =>This Inner Loop Header: Depth=1
	ds_load_b32 v49, v39
	s_waitcnt lgkmcnt(0)
	v_sub_f32_e32 v49, v49, v8
	s_delay_alu instid0(VALU_DEP_1) | instskip(NEXT) | instid1(VALU_DEP_1)
	v_mul_f32_e32 v49, 0x3fb8aa3b, v49
	v_exp_f32_e32 v49, v49
	s_waitcnt_depctr 0xfff
	v_dual_add_f32 v29, v29, v49 :: v_dual_add_nc_u32 v48, 0x80, v48
	s_delay_alu instid0(VALU_DEP_1) | instskip(SKIP_3) | instid1(SALU_CYCLE_1)
	v_cmp_ge_i32_e64 s3, v48, v9
	ds_store_b32 v39, v49
	v_add_nc_u32_e32 v39, 0x200, v39
	s_or_b32 s11, s3, s11
	s_and_not1_b32 exec_lo, exec_lo, s11
	s_cbranch_execnz .LBB418_403
; %bb.404:
	s_or_b32 exec_lo, exec_lo, s11
.LBB418_405:
	s_delay_alu instid0(SALU_CYCLE_1)
	s_or_b32 exec_lo, exec_lo, s9
	ds_bpermute_b32 v20, v20, v29
	s_waitcnt lgkmcnt(0)
	v_add_f32_e32 v20, v29, v20
	ds_bpermute_b32 v21, v21, v20
	s_waitcnt lgkmcnt(0)
	v_add_f32_e32 v20, v20, v21
	;; [unrolled: 3-line block ×5, first 2 shown]
	s_and_saveexec_b32 s3, vcc_lo
	s_cbranch_execz .LBB418_407
; %bb.406:
	ds_store_b32 v24, v20 offset:144
.LBB418_407:
	s_or_b32 exec_lo, exec_lo, s3
	s_waitcnt lgkmcnt(0)
	s_barrier
	buffer_gl0_inv
	s_and_saveexec_b32 s3, s1
	s_cbranch_execz .LBB418_409
; %bb.408:
	ds_load_b32 v20, v25 offset:144
.LBB418_409:
	s_or_b32 exec_lo, exec_lo, s3
	s_waitcnt lgkmcnt(0)
	ds_bpermute_b32 v13, v13, v20
	s_waitcnt lgkmcnt(0)
	v_add_f32_e32 v13, v20, v13
	ds_bpermute_b32 v20, v19, v13
	s_waitcnt lgkmcnt(0)
	v_add_f32_e32 v13, v13, v20
	ds_bpermute_b32 v13, v28, v13
	s_and_saveexec_b32 s1, s2
	s_cbranch_execz .LBB418_412
; %bb.410:
	s_waitcnt lgkmcnt(0)
	v_add_f32_e32 v21, 0x358637bd, v13
	s_getpc_b64 s[2:3]
	s_add_u32 s2, s2, llvm.amdgcn.dynlds.offset.table@rel32@lo+4
	s_addc_u32 s3, s3, llvm.amdgcn.dynlds.offset.table@rel32@hi+12
	s_ashr_i32 s11, s10, 31
	s_delay_alu instid0(SALU_CYCLE_1) | instskip(SKIP_3) | instid1(VALU_DEP_2)
	s_lshl_b64 s[18:19], s[10:11], 2
	v_div_scale_f32 v20, null, v21, v21, 1.0
	v_div_scale_f32 v25, vcc_lo, 1.0, v21, 1.0
	s_add_u32 s2, s18, s2
	v_rcp_f32_e32 v23, v20
	s_addc_u32 s3, s19, s3
	s_load_b32 s2, s[2:3], 0x0
	s_waitcnt_depctr 0xfff
	v_fma_f32 v24, -v20, v23, 1.0
	s_delay_alu instid0(VALU_DEP_1) | instskip(NEXT) | instid1(VALU_DEP_1)
	v_fmac_f32_e32 v23, v24, v23
	v_mul_f32_e32 v24, v25, v23
	s_delay_alu instid0(VALU_DEP_1) | instskip(NEXT) | instid1(VALU_DEP_1)
	v_fma_f32 v28, -v20, v24, v25
	v_fmac_f32_e32 v24, v28, v23
	s_delay_alu instid0(VALU_DEP_1) | instskip(NEXT) | instid1(VALU_DEP_1)
	v_fma_f32 v20, -v20, v24, v25
	v_div_fmas_f32 v23, v20, v23, v24
	s_waitcnt lgkmcnt(0)
	v_lshl_add_u32 v20, v31, 2, s2
	s_mov_b32 s2, 0
	s_delay_alu instid0(VALU_DEP_2)
	v_div_fixup_f32 v21, v23, v21, 1.0
	v_mov_b32_e32 v23, v31
.LBB418_411:                            ; =>This Inner Loop Header: Depth=1
	ds_load_b32 v24, v20
	s_waitcnt lgkmcnt(0)
	v_dual_mul_f32 v24, v21, v24 :: v_dual_add_nc_u32 v23, 0x80, v23
	s_delay_alu instid0(VALU_DEP_1) | instskip(SKIP_3) | instid1(SALU_CYCLE_1)
	v_cmp_ge_i32_e32 vcc_lo, v23, v9
	ds_store_b32 v20, v24
	v_add_nc_u32_e32 v20, 0x200, v20
	s_or_b32 s2, vcc_lo, s2
	s_and_not1_b32 exec_lo, exec_lo, s2
	s_cbranch_execnz .LBB418_411
.LBB418_412:
	s_or_b32 exec_lo, exec_lo, s1
	v_cmp_ne_u16_e64 s1, s8, 0
	s_mov_b32 s2, exec_lo
	s_waitcnt lgkmcnt(0)
	s_barrier
	buffer_gl0_inv
	s_cmp_lg_u32 s1, 0
	s_addc_u32 s1, s7, 0
	v_cmpx_eq_u32_e32 0, v31
	s_cbranch_execz .LBB418_414
; %bb.413:
	s_mul_i32 s3, s1, s4
	s_mul_i32 s8, s1, s12
	;; [unrolled: 1-line block ×3, first 2 shown]
	s_ashr_i32 s9, s8, 31
	s_ashr_i32 s15, s14, 31
	;; [unrolled: 1-line block ×3, first 2 shown]
	s_lshl_b64 s[8:9], s[8:9], 2
	s_lshl_b64 s[18:19], s[14:15], 2
	;; [unrolled: 1-line block ×3, first 2 shown]
	s_add_u32 s3, s18, s8
	s_addc_u32 s7, s19, s9
	s_add_u32 s3, s3, s12
	s_addc_u32 s7, s7, s13
	v_add_co_u32 v2, vcc_lo, s3, v2
	v_add_co_ci_u32_e32 v3, vcc_lo, s7, v3, vcc_lo
	v_add_co_u32 v0, vcc_lo, s3, v0
	v_add_co_ci_u32_e32 v1, vcc_lo, s7, v1, vcc_lo
	flat_store_b32 v[2:3], v8
	flat_store_b32 v[0:1], v13
.LBB418_414:
	s_or_b32 exec_lo, exec_lo, s2
                                        ; implicit-def: $sgpr2
	s_and_saveexec_b32 s3, s0
	s_delay_alu instid0(SALU_CYCLE_1)
	s_xor_b32 s0, exec_lo, s3
; %bb.415:
	s_ashr_i32 s11, s10, 31
	s_mov_b32 s2, 0
                                        ; implicit-def: $vgpr32
                                        ; implicit-def: $vgpr36
                                        ; implicit-def: $vgpr35
                                        ; implicit-def: $vgpr16
                                        ; implicit-def: $vgpr10
                                        ; implicit-def: $vgpr11
                                        ; implicit-def: $vgpr14
                                        ; implicit-def: $vgpr15
                                        ; implicit-def: $vgpr22
                                        ; implicit-def: $vgpr26_vgpr27
                                        ; implicit-def: $vgpr37
                                        ; implicit-def: $vgpr38
                                        ; implicit-def: $vgpr6_vgpr7
                                        ; implicit-def: $vgpr12
; %bb.416:
	s_or_saveexec_b32 s7, s0
	v_dual_mov_b32 v0, s10 :: v_dual_mov_b32 v21, s2
	v_dual_mov_b32 v20, s2 :: v_dual_mov_b32 v1, s11
	;; [unrolled: 1-line block ×3, first 2 shown]
	s_xor_b32 exec_lo, exec_lo, s7
	s_cbranch_execz .LBB418_972
; %bb.417:
	flat_load_b32 v25, v[26:27]
	s_getpc_b64 s[2:3]
	s_add_u32 s2, s2, llvm.amdgcn.dynlds.offset.table@rel32@lo+4
	s_addc_u32 s3, s3, llvm.amdgcn.dynlds.offset.table@rel32@hi+12
	s_ashr_i32 s11, s10, 31
	v_add_co_u32 v3, vcc_lo, v10, v37
	s_lshl_b64 s[8:9], s[10:11], 2
	v_dual_mov_b32 v10, 0 :: v_dual_and_b32 v9, 0xf8, v12
	s_add_u32 s2, s8, s2
	s_addc_u32 s3, s9, s3
	v_add_co_ci_u32_e32 v8, vcc_lo, v11, v38, vcc_lo
	s_load_b32 s0, s[2:3], 0x0
	v_lshlrev_b64 v[0:1], 2, v[16:17]
	v_add_co_u32 v11, vcc_lo, v3, v9
	v_dual_mov_b32 v24, 0 :: v_dual_lshlrev_b32 v3, 5, v33
	v_dual_mov_b32 v23, 0 :: v_dual_and_b32 v2, 8, v12
	v_add_co_ci_u32_e32 v12, vcc_lo, 0, v8, vcc_lo
	v_add_co_u32 v0, vcc_lo, v6, v0
	v_add_co_ci_u32_e32 v1, vcc_lo, v7, v1, vcc_lo
	v_lshl_add_u32 v6, v34, 4, s17
	v_lshl_or_b32 v3, v34, 6, v3
	s_delay_alu instid0(VALU_DEP_4)
	v_add_co_u32 v13, vcc_lo, v14, v0
	v_dual_mov_b32 v21, 0 :: v_dual_add_nc_u32 v26, -1, v36
	v_add_co_ci_u32_e32 v14, vcc_lo, v15, v1, vcc_lo
	v_add3_u32 v15, v6, v2, 7
	s_waitcnt lgkmcnt(0)
	v_dual_mov_b32 v20, 0 :: v_dual_add_nc_u32 v17, s0, v3
	s_mov_b32 s2, -1
	s_mov_b32 s3, 0xffffff
	s_mov_b32 s8, 0
	s_branch .LBB418_419
.LBB418_418:                            ;   in Loop: Header=BB418_419 Depth=1
	s_or_b32 exec_lo, exec_lo, s0
	v_and_b32_e32 v51, 0xffff0000, v71
	v_and_b32_e32 v28, 0xffff0000, v28
	;; [unrolled: 1-line block ×9, first 2 shown]
	v_add_f32_e32 v8, v8, v27
	v_add_f32_e32 v27, v28, v29
	s_delay_alu instid0(VALU_DEP_4) | instskip(SKIP_2) | instid1(VALU_DEP_4)
	v_dual_add_f32 v6, v6, v7 :: v_dual_and_b32 v37, 0xffff0000, v37
	v_and_b32_e32 v1, 0xffff0000, v1
	v_and_b32_e32 v0, 0xffff0000, v0
	v_dual_add_f32 v8, v8, v27 :: v_dual_and_b32 v29, 0xffff0000, v80
	v_and_b32_e32 v27, 0xffff0000, v84
	v_and_b32_e32 v3, 0xffff0000, v3
	;; [unrolled: 1-line block ×3, first 2 shown]
	v_add_f32_e32 v0, v0, v1
	v_add_f32_e32 v29, v51, v29
	v_and_b32_e32 v51, 0xffff0000, v83
	v_and_b32_e32 v36, 0xffff0000, v36
	v_add_co_u32 v13, s0, v13, 16
	v_add_f32_e32 v1, v3, v48
	s_delay_alu instid0(VALU_DEP_3) | instskip(SKIP_1) | instid1(VALU_DEP_3)
	v_dual_add_f32 v27, v51, v27 :: v_dual_add_f32 v36, v36, v37
	v_and_b32_e32 v37, 0xffff0000, v39
	v_dual_add_f32 v0, v0, v1 :: v_dual_and_b32 v39, 0xffff0000, v96
	s_delay_alu instid0(VALU_DEP_3) | instskip(SKIP_3) | instid1(VALU_DEP_4)
	v_dual_add_f32 v8, v8, v36 :: v_dual_and_b32 v51, 0xffff0000, v87
	v_and_b32_e32 v36, 0xffff0000, v85
	v_and_b32_e32 v38, 0xffff0000, v38
	;; [unrolled: 1-line block ×3, first 2 shown]
	v_dual_add_f32 v7, v51, v39 :: v_dual_and_b32 v28, 0xffff0000, v82
	v_and_b32_e32 v39, 0xffff0000, v50
	v_add_co_ci_u32_e64 v14, s0, 0, v14, s0
	s_delay_alu instid0(VALU_DEP_3) | instskip(NEXT) | instid1(VALU_DEP_4)
	v_dual_add_f32 v28, v52, v28 :: v_dual_add_nc_u32 v15, 64, v15
	v_dual_add_f32 v6, v6, v7 :: v_dual_add_nc_u32 v17, 0x100, v17
	s_delay_alu instid0(VALU_DEP_2) | instskip(SKIP_3) | instid1(VALU_DEP_4)
	v_dual_add_f32 v1, v3, v39 :: v_dual_add_f32 v28, v29, v28
	v_add_f32_e32 v29, v38, v37
	v_and_b32_e32 v37, 0xffff0000, v86
	v_and_b32_e32 v52, 0xffff0000, v99
	v_add_f32_e32 v0, v0, v1
	v_dual_add_f32 v27, v28, v27 :: v_dual_and_b32 v28, 0xffff0000, v98
	s_delay_alu instid0(VALU_DEP_4) | instskip(NEXT) | instid1(VALU_DEP_1)
	v_add_f32_e32 v3, v36, v37
	v_dual_add_f32 v3, v27, v3 :: v_dual_and_b32 v2, 0xffff0000, v2
	s_delay_alu instid0(VALU_DEP_1) | instskip(NEXT) | instid1(VALU_DEP_2)
	v_dual_add_f32 v23, v23, v3 :: v_dual_and_b32 v38, 0xffff0000, v97
	v_dual_add_f32 v1, v9, v2 :: v_dual_add_f32 v2, v8, v29
	s_delay_alu instid0(VALU_DEP_2) | instskip(NEXT) | instid1(VALU_DEP_2)
	v_add_f32_e32 v7, v38, v28
	v_dual_add_f32 v0, v0, v1 :: v_dual_and_b32 v53, 0xffff0000, v100
	s_delay_alu instid0(VALU_DEP_3) | instskip(NEXT) | instid1(VALU_DEP_2)
	v_add_f32_e32 v24, v24, v2
	v_dual_add_f32 v6, v6, v7 :: v_dual_add_f32 v7, v52, v53
	s_delay_alu instid0(VALU_DEP_3) | instskip(NEXT) | instid1(VALU_DEP_2)
	v_add_f32_e32 v20, v20, v0
	v_add_f32_e32 v6, v6, v7
	s_delay_alu instid0(VALU_DEP_1) | instskip(NEXT) | instid1(VALU_DEP_1)
	v_dual_add_f32 v21, v21, v6 :: v_dual_add_nc_u32 v16, 4, v16
	v_cmp_ge_i32_e32 vcc_lo, v16, v35
	s_or_b32 s8, vcc_lo, s8
	s_delay_alu instid0(SALU_CYCLE_1)
	s_and_not1_b32 exec_lo, exec_lo, s8
	s_cbranch_execz .LBB418_971
.LBB418_419:                            ; =>This Inner Loop Header: Depth=1
	flat_load_b32 v48, v[13:14]
	ds_load_2addr_b64 v[6:9], v17 offset1:1
	ds_load_2addr_b64 v[0:3], v17 offset0:2 offset1:3
	s_mov_b32 s0, exec_lo
                                        ; implicit-def: $vgpr55
	s_waitcnt lgkmcnt(1)
	v_and_b32_e32 v27, 0x7f800000, v6
	s_delay_alu instid0(VALU_DEP_1)
	v_cmpx_ne_u32_e32 0x7f800000, v27
	s_xor_b32 s0, exec_lo, s0
; %bb.420:                              ;   in Loop: Header=BB418_419 Depth=1
	v_bfe_u32 v27, v6, 16, 1
	s_delay_alu instid0(VALU_DEP_1)
	v_add3_u32 v55, v6, v27, 0x7fff
; %bb.421:                              ;   in Loop: Header=BB418_419 Depth=1
	s_and_not1_saveexec_b32 s0, s0
; %bb.422:                              ;   in Loop: Header=BB418_419 Depth=1
	v_and_b32_e32 v27, 0xffff, v6
	v_or_b32_e32 v28, 0x10000, v6
	s_delay_alu instid0(VALU_DEP_2) | instskip(NEXT) | instid1(VALU_DEP_2)
	v_cmp_eq_u32_e32 vcc_lo, 0, v27
	v_cndmask_b32_e32 v55, v28, v6, vcc_lo
; %bb.423:                              ;   in Loop: Header=BB418_419 Depth=1
	s_or_b32 exec_lo, exec_lo, s0
	v_and_b32_e32 v6, 0x7f800000, v7
	s_mov_b32 s0, exec_lo
                                        ; implicit-def: $vgpr27
	s_delay_alu instid0(VALU_DEP_1)
	v_cmpx_ne_u32_e32 0x7f800000, v6
	s_xor_b32 s0, exec_lo, s0
; %bb.424:                              ;   in Loop: Header=BB418_419 Depth=1
	v_bfe_u32 v6, v7, 16, 1
	s_delay_alu instid0(VALU_DEP_1)
	v_add3_u32 v27, v7, v6, 0x7fff
; %bb.425:                              ;   in Loop: Header=BB418_419 Depth=1
	s_and_not1_saveexec_b32 s0, s0
; %bb.426:                              ;   in Loop: Header=BB418_419 Depth=1
	v_and_b32_e32 v6, 0xffff, v7
	v_or_b32_e32 v27, 0x10000, v7
	s_delay_alu instid0(VALU_DEP_2) | instskip(NEXT) | instid1(VALU_DEP_2)
	v_cmp_eq_u32_e32 vcc_lo, 0, v6
	v_cndmask_b32_e32 v27, v27, v7, vcc_lo
; %bb.427:                              ;   in Loop: Header=BB418_419 Depth=1
	s_or_b32 exec_lo, exec_lo, s0
	v_and_b32_e32 v6, 0x7f800000, v8
	s_mov_b32 s0, exec_lo
                                        ; implicit-def: $vgpr28
	s_delay_alu instid0(VALU_DEP_1)
	v_cmpx_ne_u32_e32 0x7f800000, v6
	s_xor_b32 s0, exec_lo, s0
; %bb.428:                              ;   in Loop: Header=BB418_419 Depth=1
	v_bfe_u32 v6, v8, 16, 1
	s_delay_alu instid0(VALU_DEP_1)
	v_add3_u32 v28, v8, v6, 0x7fff
; %bb.429:                              ;   in Loop: Header=BB418_419 Depth=1
	s_and_not1_saveexec_b32 s0, s0
; %bb.430:                              ;   in Loop: Header=BB418_419 Depth=1
	v_and_b32_e32 v6, 0xffff, v8
	v_or_b32_e32 v7, 0x10000, v8
	s_delay_alu instid0(VALU_DEP_2) | instskip(NEXT) | instid1(VALU_DEP_2)
	v_cmp_eq_u32_e32 vcc_lo, 0, v6
	v_cndmask_b32_e32 v28, v7, v8, vcc_lo
; %bb.431:                              ;   in Loop: Header=BB418_419 Depth=1
	s_or_b32 exec_lo, exec_lo, s0
	v_and_b32_e32 v6, 0x7f800000, v9
	s_mov_b32 s0, exec_lo
                                        ; implicit-def: $vgpr29
	s_delay_alu instid0(VALU_DEP_1)
	v_cmpx_ne_u32_e32 0x7f800000, v6
	s_xor_b32 s0, exec_lo, s0
; %bb.432:                              ;   in Loop: Header=BB418_419 Depth=1
	v_bfe_u32 v6, v9, 16, 1
	s_delay_alu instid0(VALU_DEP_1)
	v_add3_u32 v29, v9, v6, 0x7fff
                                        ; implicit-def: $vgpr6_vgpr7_vgpr8_vgpr9
; %bb.433:                              ;   in Loop: Header=BB418_419 Depth=1
	s_and_not1_saveexec_b32 s0, s0
; %bb.434:                              ;   in Loop: Header=BB418_419 Depth=1
	v_and_b32_e32 v6, 0xffff, v9
	v_or_b32_e32 v7, 0x10000, v9
	s_delay_alu instid0(VALU_DEP_2) | instskip(NEXT) | instid1(VALU_DEP_2)
	v_cmp_eq_u32_e32 vcc_lo, 0, v6
	v_cndmask_b32_e32 v29, v7, v9, vcc_lo
; %bb.435:                              ;   in Loop: Header=BB418_419 Depth=1
	s_or_b32 exec_lo, exec_lo, s0
	s_waitcnt lgkmcnt(0)
	v_and_b32_e32 v6, 0x7f800000, v0
	s_mov_b32 s0, exec_lo
                                        ; implicit-def: $vgpr36
	s_delay_alu instid0(VALU_DEP_1)
	v_cmpx_ne_u32_e32 0x7f800000, v6
	s_xor_b32 s0, exec_lo, s0
; %bb.436:                              ;   in Loop: Header=BB418_419 Depth=1
	v_bfe_u32 v6, v0, 16, 1
	s_delay_alu instid0(VALU_DEP_1)
	v_add3_u32 v36, v0, v6, 0x7fff
; %bb.437:                              ;   in Loop: Header=BB418_419 Depth=1
	s_and_not1_saveexec_b32 s0, s0
; %bb.438:                              ;   in Loop: Header=BB418_419 Depth=1
	v_and_b32_e32 v6, 0xffff, v0
	v_or_b32_e32 v7, 0x10000, v0
	s_delay_alu instid0(VALU_DEP_2) | instskip(NEXT) | instid1(VALU_DEP_2)
	v_cmp_eq_u32_e32 vcc_lo, 0, v6
	v_cndmask_b32_e32 v36, v7, v0, vcc_lo
; %bb.439:                              ;   in Loop: Header=BB418_419 Depth=1
	s_or_b32 exec_lo, exec_lo, s0
	v_and_b32_e32 v0, 0x7f800000, v1
	s_mov_b32 s0, exec_lo
                                        ; implicit-def: $vgpr37
	s_delay_alu instid0(VALU_DEP_1)
	v_cmpx_ne_u32_e32 0x7f800000, v0
	s_xor_b32 s0, exec_lo, s0
; %bb.440:                              ;   in Loop: Header=BB418_419 Depth=1
	v_bfe_u32 v0, v1, 16, 1
	s_delay_alu instid0(VALU_DEP_1)
	v_add3_u32 v37, v1, v0, 0x7fff
; %bb.441:                              ;   in Loop: Header=BB418_419 Depth=1
	s_and_not1_saveexec_b32 s0, s0
; %bb.442:                              ;   in Loop: Header=BB418_419 Depth=1
	v_and_b32_e32 v0, 0xffff, v1
	v_or_b32_e32 v6, 0x10000, v1
	s_delay_alu instid0(VALU_DEP_2) | instskip(NEXT) | instid1(VALU_DEP_2)
	v_cmp_eq_u32_e32 vcc_lo, 0, v0
	v_cndmask_b32_e32 v37, v6, v1, vcc_lo
; %bb.443:                              ;   in Loop: Header=BB418_419 Depth=1
	s_or_b32 exec_lo, exec_lo, s0
	v_and_b32_e32 v0, 0x7f800000, v2
	s_mov_b32 s0, exec_lo
                                        ; implicit-def: $vgpr38
	s_delay_alu instid0(VALU_DEP_1)
	v_cmpx_ne_u32_e32 0x7f800000, v0
	s_xor_b32 s0, exec_lo, s0
; %bb.444:                              ;   in Loop: Header=BB418_419 Depth=1
	v_bfe_u32 v0, v2, 16, 1
	s_delay_alu instid0(VALU_DEP_1)
	v_add3_u32 v38, v2, v0, 0x7fff
; %bb.445:                              ;   in Loop: Header=BB418_419 Depth=1
	s_and_not1_saveexec_b32 s0, s0
; %bb.446:                              ;   in Loop: Header=BB418_419 Depth=1
	v_and_b32_e32 v0, 0xffff, v2
	v_or_b32_e32 v1, 0x10000, v2
	s_delay_alu instid0(VALU_DEP_2) | instskip(NEXT) | instid1(VALU_DEP_2)
	v_cmp_eq_u32_e32 vcc_lo, 0, v0
	v_cndmask_b32_e32 v38, v1, v2, vcc_lo
; %bb.447:                              ;   in Loop: Header=BB418_419 Depth=1
	s_or_b32 exec_lo, exec_lo, s0
	v_and_b32_e32 v0, 0x7f800000, v3
	s_mov_b32 s0, exec_lo
                                        ; implicit-def: $vgpr39
	s_delay_alu instid0(VALU_DEP_1)
	v_cmpx_ne_u32_e32 0x7f800000, v0
	s_xor_b32 s0, exec_lo, s0
; %bb.448:                              ;   in Loop: Header=BB418_419 Depth=1
	v_bfe_u32 v0, v3, 16, 1
	s_delay_alu instid0(VALU_DEP_1)
	v_add3_u32 v39, v3, v0, 0x7fff
                                        ; implicit-def: $vgpr0_vgpr1_vgpr2_vgpr3
; %bb.449:                              ;   in Loop: Header=BB418_419 Depth=1
	s_and_not1_saveexec_b32 s0, s0
; %bb.450:                              ;   in Loop: Header=BB418_419 Depth=1
	v_and_b32_e32 v0, 0xffff, v3
	v_or_b32_e32 v1, 0x10000, v3
	s_delay_alu instid0(VALU_DEP_2) | instskip(NEXT) | instid1(VALU_DEP_2)
	v_cmp_eq_u32_e32 vcc_lo, 0, v0
	v_cndmask_b32_e32 v39, v1, v3, vcc_lo
; %bb.451:                              ;   in Loop: Header=BB418_419 Depth=1
	s_or_b32 exec_lo, exec_lo, s0
	s_waitcnt vmcnt(0)
	v_mad_i64_i32 v[0:1], null, v48, v22, v[11:12]
	s_mov_b32 s0, exec_lo
	v_mov_b32_e32 v6, 0
	flat_load_b64 v[2:3], v[0:1]
	s_waitcnt vmcnt(0) lgkmcnt(0)
	v_and_b32_e32 v7, 0xff, v2
	s_delay_alu instid0(VALU_DEP_1)
	v_cmpx_ne_u16_e32 0, v7
	s_cbranch_execz .LBB418_459
; %bb.452:                              ;   in Loop: Header=BB418_419 Depth=1
	v_bfrev_b32_e32 v6, 1
	s_mov_b32 s9, exec_lo
	v_cmpx_ne_u16_e32 0x80, v7
	s_cbranch_execz .LBB418_458
; %bb.453:                              ;   in Loop: Header=BB418_419 Depth=1
	v_and_b32_e32 v7, 0x7f, v2
	v_mov_b32_e32 v6, 0x7f800001
	s_mov_b32 s12, exec_lo
	s_delay_alu instid0(VALU_DEP_2)
	v_cmpx_ne_u32_e32 0x7f, v7
	s_cbranch_execz .LBB418_457
; %bb.454:                              ;   in Loop: Header=BB418_419 Depth=1
	v_lshrrev_b32_e32 v8, 3, v7
	v_cmp_gt_u32_e32 vcc_lo, 8, v7
	v_dual_mov_b32 v7, v3 :: v_dual_mov_b32 v6, v2
	s_and_saveexec_b32 s13, vcc_lo
; %bb.455:                              ;   in Loop: Header=BB418_419 Depth=1
	v_and_b32_e32 v6, 7, v2
	s_delay_alu instid0(VALU_DEP_1) | instskip(NEXT) | instid1(VALU_DEP_1)
	v_clz_i32_u32_e32 v6, v6
	v_min_u32_e32 v8, 32, v6
	s_delay_alu instid0(VALU_DEP_1) | instskip(SKIP_1) | instid1(VALU_DEP_2)
	v_subrev_nc_u32_e32 v6, 28, v8
	v_sub_nc_u32_e32 v8, 29, v8
	v_lshlrev_b64 v[6:7], v6, v[2:3]
; %bb.456:                              ;   in Loop: Header=BB418_419 Depth=1
	s_or_b32 exec_lo, exec_lo, s13
	s_delay_alu instid0(VALU_DEP_1) | instskip(SKIP_2) | instid1(VALU_DEP_3)
	v_lshlrev_b32_e32 v6, 20, v6
	v_lshlrev_b32_e32 v7, 24, v2
	v_lshl_add_u32 v8, v8, 23, 0x3c000000
	v_and_b32_e32 v6, 0x700000, v6
	s_delay_alu instid0(VALU_DEP_3) | instskip(NEXT) | instid1(VALU_DEP_1)
	v_and_b32_e32 v7, 0x80000000, v7
	v_or3_b32 v6, v6, v7, v8
.LBB418_457:                            ;   in Loop: Header=BB418_419 Depth=1
	s_or_b32 exec_lo, exec_lo, s12
.LBB418_458:                            ;   in Loop: Header=BB418_419 Depth=1
	s_delay_alu instid0(SALU_CYCLE_1)
	s_or_b32 exec_lo, exec_lo, s9
.LBB418_459:                            ;   in Loop: Header=BB418_419 Depth=1
	s_delay_alu instid0(SALU_CYCLE_1) | instskip(NEXT) | instid1(VALU_DEP_1)
	s_or_b32 exec_lo, exec_lo, s0
	v_mul_f32_e32 v6, v25, v6
	s_mov_b32 s0, exec_lo
                                        ; implicit-def: $vgpr8
	s_delay_alu instid0(VALU_DEP_1) | instskip(NEXT) | instid1(VALU_DEP_1)
	v_and_b32_e32 v7, 0x7f800000, v6
	v_cmpx_ne_u32_e32 0x7f800000, v7
	s_xor_b32 s0, exec_lo, s0
; %bb.460:                              ;   in Loop: Header=BB418_419 Depth=1
	v_bfe_u32 v7, v6, 16, 1
	s_delay_alu instid0(VALU_DEP_1)
	v_add3_u32 v8, v6, v7, 0x7fff
                                        ; implicit-def: $vgpr6
; %bb.461:                              ;   in Loop: Header=BB418_419 Depth=1
	s_and_not1_saveexec_b32 s0, s0
; %bb.462:                              ;   in Loop: Header=BB418_419 Depth=1
	v_and_b32_e32 v7, 0xffff, v6
	v_or_b32_e32 v8, 0x10000, v6
	s_delay_alu instid0(VALU_DEP_2) | instskip(NEXT) | instid1(VALU_DEP_2)
	v_cmp_eq_u32_e32 vcc_lo, 0, v7
	v_cndmask_b32_e32 v8, v8, v6, vcc_lo
; %bb.463:                              ;   in Loop: Header=BB418_419 Depth=1
	s_or_b32 exec_lo, exec_lo, s0
	v_lshrrev_b16 v7, 8, v2
	v_mov_b32_e32 v6, 0
	s_mov_b32 s0, exec_lo
	s_delay_alu instid0(VALU_DEP_2)
	v_cmpx_ne_u16_e32 0, v7
	s_cbranch_execz .LBB418_471
; %bb.464:                              ;   in Loop: Header=BB418_419 Depth=1
	v_bfrev_b32_e32 v6, 1
	s_mov_b32 s9, exec_lo
	v_cmpx_ne_u16_e32 0x80, v7
	s_cbranch_execz .LBB418_470
; %bb.465:                              ;   in Loop: Header=BB418_419 Depth=1
	v_and_b32_e32 v9, 0xffff, v7
	v_mov_b32_e32 v6, 0x7f800001
	s_mov_b32 s12, exec_lo
	s_delay_alu instid0(VALU_DEP_2) | instskip(NEXT) | instid1(VALU_DEP_1)
	v_and_b32_e32 v7, 0x7f, v9
	v_cmpx_ne_u32_e32 0x7f, v7
	s_cbranch_execz .LBB418_469
; %bb.466:                              ;   in Loop: Header=BB418_419 Depth=1
	v_and_b32_e32 v9, 7, v9
	v_lshrrev_b32_e32 v6, 3, v7
	s_mov_b32 s13, exec_lo
	v_cmpx_gt_u32_e32 8, v7
; %bb.467:                              ;   in Loop: Header=BB418_419 Depth=1
	s_delay_alu instid0(VALU_DEP_3) | instskip(NEXT) | instid1(VALU_DEP_1)
	v_clz_i32_u32_e32 v6, v9
	v_min_u32_e32 v6, 32, v6
	s_delay_alu instid0(VALU_DEP_1) | instskip(SKIP_1) | instid1(VALU_DEP_2)
	v_subrev_nc_u32_e32 v7, 28, v6
	v_sub_nc_u32_e32 v6, 29, v6
	v_lshlrev_b64 v[48:49], v7, v[9:10]
	s_delay_alu instid0(VALU_DEP_1)
	v_and_b32_e32 v9, 7, v48
; %bb.468:                              ;   in Loop: Header=BB418_419 Depth=1
	s_or_b32 exec_lo, exec_lo, s13
	v_lshlrev_b32_e32 v7, 16, v2
	s_delay_alu instid0(VALU_DEP_2) | instskip(SKIP_1) | instid1(VALU_DEP_3)
	v_lshlrev_b32_e32 v9, 20, v9
	v_lshl_add_u32 v6, v6, 23, 0x3c000000
	v_and_b32_e32 v7, 0x80000000, v7
	s_delay_alu instid0(VALU_DEP_1)
	v_or3_b32 v6, v9, v7, v6
.LBB418_469:                            ;   in Loop: Header=BB418_419 Depth=1
	s_or_b32 exec_lo, exec_lo, s12
.LBB418_470:                            ;   in Loop: Header=BB418_419 Depth=1
	s_delay_alu instid0(SALU_CYCLE_1)
	s_or_b32 exec_lo, exec_lo, s9
.LBB418_471:                            ;   in Loop: Header=BB418_419 Depth=1
	s_delay_alu instid0(SALU_CYCLE_1) | instskip(NEXT) | instid1(VALU_DEP_1)
	s_or_b32 exec_lo, exec_lo, s0
	v_mul_f32_e32 v6, v25, v6
	s_mov_b32 s0, exec_lo
                                        ; implicit-def: $vgpr49
	s_delay_alu instid0(VALU_DEP_1) | instskip(NEXT) | instid1(VALU_DEP_1)
	v_and_b32_e32 v7, 0x7f800000, v6
	v_cmpx_ne_u32_e32 0x7f800000, v7
	s_xor_b32 s0, exec_lo, s0
; %bb.472:                              ;   in Loop: Header=BB418_419 Depth=1
	v_bfe_u32 v7, v6, 16, 1
	s_delay_alu instid0(VALU_DEP_1)
	v_add3_u32 v49, v6, v7, 0x7fff
                                        ; implicit-def: $vgpr6
; %bb.473:                              ;   in Loop: Header=BB418_419 Depth=1
	s_and_not1_saveexec_b32 s0, s0
; %bb.474:                              ;   in Loop: Header=BB418_419 Depth=1
	v_and_b32_e32 v7, 0xffff, v6
	v_or_b32_e32 v9, 0x10000, v6
	s_delay_alu instid0(VALU_DEP_2) | instskip(NEXT) | instid1(VALU_DEP_2)
	v_cmp_eq_u32_e32 vcc_lo, 0, v7
	v_cndmask_b32_e32 v49, v9, v6, vcc_lo
; %bb.475:                              ;   in Loop: Header=BB418_419 Depth=1
	s_or_b32 exec_lo, exec_lo, s0
	v_lshrrev_b32_e32 v6, 16, v2
	v_mov_b32_e32 v7, 0
	s_mov_b32 s0, exec_lo
	s_delay_alu instid0(VALU_DEP_2) | instskip(NEXT) | instid1(VALU_DEP_1)
	v_and_b32_e32 v9, 0xff, v6
	v_cmpx_ne_u16_e32 0, v9
	s_cbranch_execz .LBB418_483
; %bb.476:                              ;   in Loop: Header=BB418_419 Depth=1
	v_bfrev_b32_e32 v7, 1
	s_mov_b32 s9, exec_lo
	v_cmpx_ne_u16_e32 0x80, v9
	s_cbranch_execz .LBB418_482
; %bb.477:                              ;   in Loop: Header=BB418_419 Depth=1
	v_bfe_u32 v48, v2, 16, 7
	v_mov_b32_e32 v7, 0x7f800001
	s_mov_b32 s12, exec_lo
	s_delay_alu instid0(VALU_DEP_2)
	v_cmpx_ne_u32_e32 0x7f, v48
	s_cbranch_execz .LBB418_481
; %bb.478:                              ;   in Loop: Header=BB418_419 Depth=1
	v_and_b32_e32 v9, 7, v6
	v_lshrrev_b32_e32 v7, 3, v48
	s_mov_b32 s13, exec_lo
	v_cmpx_gt_u32_e32 8, v48
; %bb.479:                              ;   in Loop: Header=BB418_419 Depth=1
	s_delay_alu instid0(VALU_DEP_3) | instskip(NEXT) | instid1(VALU_DEP_1)
	v_clz_i32_u32_e32 v7, v9
	v_min_u32_e32 v7, 32, v7
	s_delay_alu instid0(VALU_DEP_1) | instskip(SKIP_1) | instid1(VALU_DEP_2)
	v_subrev_nc_u32_e32 v48, 28, v7
	v_sub_nc_u32_e32 v7, 29, v7
	v_lshlrev_b64 v[50:51], v48, v[9:10]
	s_delay_alu instid0(VALU_DEP_1)
	v_and_b32_e32 v9, 7, v50
; %bb.480:                              ;   in Loop: Header=BB418_419 Depth=1
	s_or_b32 exec_lo, exec_lo, s13
	v_lshlrev_b32_e32 v6, 24, v6
	s_delay_alu instid0(VALU_DEP_2) | instskip(SKIP_1) | instid1(VALU_DEP_3)
	v_lshlrev_b32_e32 v9, 20, v9
	v_lshl_add_u32 v7, v7, 23, 0x3c000000
	v_and_b32_e32 v6, 0x80000000, v6
	s_delay_alu instid0(VALU_DEP_1)
	v_or3_b32 v7, v9, v6, v7
.LBB418_481:                            ;   in Loop: Header=BB418_419 Depth=1
	s_or_b32 exec_lo, exec_lo, s12
.LBB418_482:                            ;   in Loop: Header=BB418_419 Depth=1
	s_delay_alu instid0(SALU_CYCLE_1)
	s_or_b32 exec_lo, exec_lo, s9
.LBB418_483:                            ;   in Loop: Header=BB418_419 Depth=1
	s_delay_alu instid0(SALU_CYCLE_1) | instskip(NEXT) | instid1(VALU_DEP_1)
	s_or_b32 exec_lo, exec_lo, s0
	v_mul_f32_e32 v6, v25, v7
	s_mov_b32 s0, exec_lo
                                        ; implicit-def: $vgpr50
	s_delay_alu instid0(VALU_DEP_1) | instskip(NEXT) | instid1(VALU_DEP_1)
	v_and_b32_e32 v7, 0x7f800000, v6
	v_cmpx_ne_u32_e32 0x7f800000, v7
	s_xor_b32 s0, exec_lo, s0
; %bb.484:                              ;   in Loop: Header=BB418_419 Depth=1
	v_bfe_u32 v7, v6, 16, 1
	s_delay_alu instid0(VALU_DEP_1)
	v_add3_u32 v50, v6, v7, 0x7fff
                                        ; implicit-def: $vgpr6
; %bb.485:                              ;   in Loop: Header=BB418_419 Depth=1
	s_and_not1_saveexec_b32 s0, s0
; %bb.486:                              ;   in Loop: Header=BB418_419 Depth=1
	v_and_b32_e32 v7, 0xffff, v6
	v_or_b32_e32 v9, 0x10000, v6
	s_delay_alu instid0(VALU_DEP_2) | instskip(NEXT) | instid1(VALU_DEP_2)
	v_cmp_eq_u32_e32 vcc_lo, 0, v7
	v_cndmask_b32_e32 v50, v9, v6, vcc_lo
; %bb.487:                              ;   in Loop: Header=BB418_419 Depth=1
	s_or_b32 exec_lo, exec_lo, s0
	v_mov_b32_e32 v7, 0
	s_mov_b32 s0, exec_lo
	v_cmpx_lt_u32_e32 0xffffff, v2
	s_cbranch_execz .LBB418_495
; %bb.488:                              ;   in Loop: Header=BB418_419 Depth=1
	v_lshrrev_b32_e32 v6, 24, v2
	v_bfrev_b32_e32 v7, 1
	s_mov_b32 s9, exec_lo
	s_delay_alu instid0(VALU_DEP_2)
	v_cmpx_ne_u32_e32 0x80, v6
	s_cbranch_execz .LBB418_494
; %bb.489:                              ;   in Loop: Header=BB418_419 Depth=1
	v_bfe_u32 v48, v2, 24, 7
	v_mov_b32_e32 v7, 0x7f800001
	s_mov_b32 s12, exec_lo
	s_delay_alu instid0(VALU_DEP_2)
	v_cmpx_ne_u32_e32 0x7f, v48
	s_cbranch_execz .LBB418_493
; %bb.490:                              ;   in Loop: Header=BB418_419 Depth=1
	v_and_b32_e32 v9, 7, v6
	v_lshrrev_b32_e32 v7, 3, v48
	s_mov_b32 s13, exec_lo
	v_cmpx_gt_u32_e32 8, v48
; %bb.491:                              ;   in Loop: Header=BB418_419 Depth=1
	s_delay_alu instid0(VALU_DEP_3) | instskip(NEXT) | instid1(VALU_DEP_1)
	v_clz_i32_u32_e32 v7, v9
	v_min_u32_e32 v7, 32, v7
	s_delay_alu instid0(VALU_DEP_1) | instskip(SKIP_1) | instid1(VALU_DEP_2)
	v_subrev_nc_u32_e32 v48, 28, v7
	v_sub_nc_u32_e32 v7, 29, v7
	v_lshlrev_b64 v[51:52], v48, v[9:10]
	s_delay_alu instid0(VALU_DEP_1)
	v_and_b32_e32 v9, 7, v51
; %bb.492:                              ;   in Loop: Header=BB418_419 Depth=1
	s_or_b32 exec_lo, exec_lo, s13
	v_lshlrev_b32_e32 v6, 24, v6
	s_delay_alu instid0(VALU_DEP_2) | instskip(SKIP_1) | instid1(VALU_DEP_3)
	v_lshlrev_b32_e32 v9, 20, v9
	v_lshl_add_u32 v7, v7, 23, 0x3c000000
	v_and_b32_e32 v6, 0x80000000, v6
	s_delay_alu instid0(VALU_DEP_1)
	v_or3_b32 v7, v9, v6, v7
.LBB418_493:                            ;   in Loop: Header=BB418_419 Depth=1
	s_or_b32 exec_lo, exec_lo, s12
.LBB418_494:                            ;   in Loop: Header=BB418_419 Depth=1
	s_delay_alu instid0(SALU_CYCLE_1)
	s_or_b32 exec_lo, exec_lo, s9
.LBB418_495:                            ;   in Loop: Header=BB418_419 Depth=1
	s_delay_alu instid0(SALU_CYCLE_1) | instskip(NEXT) | instid1(VALU_DEP_1)
	s_or_b32 exec_lo, exec_lo, s0
	v_mul_f32_e32 v6, v25, v7
	s_mov_b32 s0, exec_lo
                                        ; implicit-def: $vgpr51
	s_delay_alu instid0(VALU_DEP_1) | instskip(NEXT) | instid1(VALU_DEP_1)
	v_and_b32_e32 v7, 0x7f800000, v6
	v_cmpx_ne_u32_e32 0x7f800000, v7
	s_xor_b32 s0, exec_lo, s0
; %bb.496:                              ;   in Loop: Header=BB418_419 Depth=1
	v_bfe_u32 v7, v6, 16, 1
	s_delay_alu instid0(VALU_DEP_1)
	v_add3_u32 v51, v6, v7, 0x7fff
                                        ; implicit-def: $vgpr6
; %bb.497:                              ;   in Loop: Header=BB418_419 Depth=1
	s_and_not1_saveexec_b32 s0, s0
; %bb.498:                              ;   in Loop: Header=BB418_419 Depth=1
	v_and_b32_e32 v7, 0xffff, v6
	v_or_b32_e32 v9, 0x10000, v6
	s_delay_alu instid0(VALU_DEP_2) | instskip(NEXT) | instid1(VALU_DEP_2)
	v_cmp_eq_u32_e32 vcc_lo, 0, v7
	v_cndmask_b32_e32 v51, v9, v6, vcc_lo
; %bb.499:                              ;   in Loop: Header=BB418_419 Depth=1
	s_or_b32 exec_lo, exec_lo, s0
	v_dual_mov_b32 v6, 0 :: v_dual_and_b32 v7, 0xff, v3
	v_mov_b32_e32 v9, v3
	s_mov_b32 s0, exec_lo
	s_delay_alu instid0(VALU_DEP_2)
	v_cmpx_ne_u16_e32 0, v7
	s_cbranch_execz .LBB418_507
; %bb.500:                              ;   in Loop: Header=BB418_419 Depth=1
	v_bfrev_b32_e32 v6, 1
	s_mov_b32 s9, exec_lo
	v_cmpx_ne_u16_e32 0x80, v7
	s_cbranch_execz .LBB418_506
; %bb.501:                              ;   in Loop: Header=BB418_419 Depth=1
	v_and_b32_e32 v7, 0x7f, v3
	v_mov_b32_e32 v6, 0x7f800001
	s_mov_b32 s12, exec_lo
	s_delay_alu instid0(VALU_DEP_2)
	v_cmpx_ne_u32_e32 0x7f, v7
	s_cbranch_execz .LBB418_505
; %bb.502:                              ;   in Loop: Header=BB418_419 Depth=1
	v_lshrrev_b32_e32 v48, 3, v7
	v_cmp_gt_u32_e32 vcc_lo, 8, v7
	v_dual_mov_b32 v6, v9 :: v_dual_mov_b32 v7, v10
	s_and_saveexec_b32 s13, vcc_lo
; %bb.503:                              ;   in Loop: Header=BB418_419 Depth=1
	v_and_b32_e32 v6, 7, v3
	s_delay_alu instid0(VALU_DEP_1) | instskip(NEXT) | instid1(VALU_DEP_1)
	v_clz_i32_u32_e32 v6, v6
	v_min_u32_e32 v48, 32, v6
	s_delay_alu instid0(VALU_DEP_1) | instskip(SKIP_1) | instid1(VALU_DEP_2)
	v_subrev_nc_u32_e32 v6, 28, v48
	v_sub_nc_u32_e32 v48, 29, v48
	v_lshlrev_b64 v[6:7], v6, v[9:10]
; %bb.504:                              ;   in Loop: Header=BB418_419 Depth=1
	s_or_b32 exec_lo, exec_lo, s13
	s_delay_alu instid0(VALU_DEP_1) | instskip(SKIP_2) | instid1(VALU_DEP_3)
	v_lshlrev_b32_e32 v6, 20, v6
	v_lshlrev_b32_e32 v7, 24, v9
	v_lshl_add_u32 v48, v48, 23, 0x3c000000
	v_and_b32_e32 v6, 0x700000, v6
	s_delay_alu instid0(VALU_DEP_3) | instskip(NEXT) | instid1(VALU_DEP_1)
	v_and_b32_e32 v7, 0x80000000, v7
	v_or3_b32 v6, v6, v7, v48
.LBB418_505:                            ;   in Loop: Header=BB418_419 Depth=1
	s_or_b32 exec_lo, exec_lo, s12
.LBB418_506:                            ;   in Loop: Header=BB418_419 Depth=1
	s_delay_alu instid0(SALU_CYCLE_1)
	s_or_b32 exec_lo, exec_lo, s9
.LBB418_507:                            ;   in Loop: Header=BB418_419 Depth=1
	s_delay_alu instid0(SALU_CYCLE_1) | instskip(NEXT) | instid1(VALU_DEP_1)
	s_or_b32 exec_lo, exec_lo, s0
	v_mul_f32_e32 v6, v25, v6
	s_mov_b32 s0, exec_lo
                                        ; implicit-def: $vgpr52
	s_delay_alu instid0(VALU_DEP_1) | instskip(NEXT) | instid1(VALU_DEP_1)
	v_and_b32_e32 v7, 0x7f800000, v6
	v_cmpx_ne_u32_e32 0x7f800000, v7
	s_xor_b32 s0, exec_lo, s0
; %bb.508:                              ;   in Loop: Header=BB418_419 Depth=1
	v_bfe_u32 v7, v6, 16, 1
	s_delay_alu instid0(VALU_DEP_1)
	v_add3_u32 v52, v6, v7, 0x7fff
                                        ; implicit-def: $vgpr6
; %bb.509:                              ;   in Loop: Header=BB418_419 Depth=1
	s_and_not1_saveexec_b32 s0, s0
; %bb.510:                              ;   in Loop: Header=BB418_419 Depth=1
	v_and_b32_e32 v7, 0xffff, v6
	v_or_b32_e32 v48, 0x10000, v6
	s_delay_alu instid0(VALU_DEP_2) | instskip(NEXT) | instid1(VALU_DEP_2)
	v_cmp_eq_u32_e32 vcc_lo, 0, v7
	v_cndmask_b32_e32 v52, v48, v6, vcc_lo
; %bb.511:                              ;   in Loop: Header=BB418_419 Depth=1
	s_or_b32 exec_lo, exec_lo, s0
	v_lshrrev_b16 v7, 8, v9
	v_mov_b32_e32 v6, 0
	s_mov_b32 s0, exec_lo
	s_delay_alu instid0(VALU_DEP_2)
	v_cmpx_ne_u16_e32 0, v7
	s_cbranch_execz .LBB418_519
; %bb.512:                              ;   in Loop: Header=BB418_419 Depth=1
	v_bfrev_b32_e32 v6, 1
	s_mov_b32 s9, exec_lo
	v_cmpx_ne_u16_e32 0x80, v7
	s_cbranch_execz .LBB418_518
; %bb.513:                              ;   in Loop: Header=BB418_419 Depth=1
	v_and_b32_e32 v7, 0xffff, v7
	v_mov_b32_e32 v6, 0x7f800001
	s_mov_b32 s12, exec_lo
	s_delay_alu instid0(VALU_DEP_2) | instskip(NEXT) | instid1(VALU_DEP_1)
	v_and_b32_e32 v53, 0x7f, v7
	v_cmpx_ne_u32_e32 0x7f, v53
	s_cbranch_execz .LBB418_517
; %bb.514:                              ;   in Loop: Header=BB418_419 Depth=1
	v_dual_mov_b32 v7, v10 :: v_dual_and_b32 v6, 7, v7
	v_lshrrev_b32_e32 v48, 3, v53
	s_mov_b32 s13, exec_lo
	v_cmpx_gt_u32_e32 8, v53
; %bb.515:                              ;   in Loop: Header=BB418_419 Depth=1
	s_delay_alu instid0(VALU_DEP_3) | instskip(NEXT) | instid1(VALU_DEP_1)
	v_clz_i32_u32_e32 v48, v6
	v_min_u32_e32 v48, 32, v48
	s_delay_alu instid0(VALU_DEP_1) | instskip(SKIP_1) | instid1(VALU_DEP_2)
	v_subrev_nc_u32_e32 v53, 28, v48
	v_sub_nc_u32_e32 v48, 29, v48
	v_lshlrev_b64 v[6:7], v53, v[6:7]
	s_delay_alu instid0(VALU_DEP_1)
	v_and_b32_e32 v6, 7, v6
; %bb.516:                              ;   in Loop: Header=BB418_419 Depth=1
	s_or_b32 exec_lo, exec_lo, s13
	v_lshlrev_b32_e32 v7, 16, v9
	s_delay_alu instid0(VALU_DEP_2) | instskip(SKIP_1) | instid1(VALU_DEP_3)
	v_lshlrev_b32_e32 v6, 20, v6
	v_lshl_add_u32 v9, v48, 23, 0x3c000000
	v_and_b32_e32 v7, 0x80000000, v7
	s_delay_alu instid0(VALU_DEP_1)
	v_or3_b32 v6, v6, v7, v9
.LBB418_517:                            ;   in Loop: Header=BB418_419 Depth=1
	s_or_b32 exec_lo, exec_lo, s12
.LBB418_518:                            ;   in Loop: Header=BB418_419 Depth=1
	s_delay_alu instid0(SALU_CYCLE_1)
	s_or_b32 exec_lo, exec_lo, s9
.LBB418_519:                            ;   in Loop: Header=BB418_419 Depth=1
	s_delay_alu instid0(SALU_CYCLE_1) | instskip(NEXT) | instid1(VALU_DEP_1)
	s_or_b32 exec_lo, exec_lo, s0
	v_mul_f32_e32 v7, v25, v6
	s_delay_alu instid0(VALU_DEP_1) | instskip(NEXT) | instid1(VALU_DEP_1)
	v_and_b32_e32 v6, 0x7f800000, v7
	v_cmp_ne_u32_e32 vcc_lo, 0x7f800000, v6
                                        ; implicit-def: $vgpr6
	s_and_saveexec_b32 s0, vcc_lo
	s_delay_alu instid0(SALU_CYCLE_1)
	s_xor_b32 s0, exec_lo, s0
; %bb.520:                              ;   in Loop: Header=BB418_419 Depth=1
	v_bfe_u32 v6, v7, 16, 1
	s_delay_alu instid0(VALU_DEP_1)
	v_add3_u32 v6, v7, v6, 0x7fff
                                        ; implicit-def: $vgpr7
; %bb.521:                              ;   in Loop: Header=BB418_419 Depth=1
	s_and_not1_saveexec_b32 s0, s0
; %bb.522:                              ;   in Loop: Header=BB418_419 Depth=1
	v_and_b32_e32 v6, 0xffff, v7
	v_or_b32_e32 v9, 0x10000, v7
	s_delay_alu instid0(VALU_DEP_2) | instskip(NEXT) | instid1(VALU_DEP_2)
	v_cmp_eq_u32_e32 vcc_lo, 0, v6
	v_cndmask_b32_e32 v6, v9, v7, vcc_lo
; %bb.523:                              ;   in Loop: Header=BB418_419 Depth=1
	s_or_b32 exec_lo, exec_lo, s0
	v_lshrrev_b32_e32 v7, 16, v3
	s_mov_b32 s0, exec_lo
	s_delay_alu instid0(VALU_DEP_1) | instskip(NEXT) | instid1(VALU_DEP_1)
	v_dual_mov_b32 v9, 0 :: v_dual_and_b32 v48, 0xff, v7
	v_cmpx_ne_u16_e32 0, v48
	s_cbranch_execz .LBB418_531
; %bb.524:                              ;   in Loop: Header=BB418_419 Depth=1
	v_bfrev_b32_e32 v9, 1
	s_mov_b32 s9, exec_lo
	v_cmpx_ne_u16_e32 0x80, v48
	s_cbranch_execz .LBB418_530
; %bb.525:                              ;   in Loop: Header=BB418_419 Depth=1
	v_bfe_u32 v53, v3, 16, 7
	v_mov_b32_e32 v9, 0x7f800001
	s_mov_b32 s12, exec_lo
	s_delay_alu instid0(VALU_DEP_2)
	v_cmpx_ne_u32_e32 0x7f, v53
	s_cbranch_execz .LBB418_529
; %bb.526:                              ;   in Loop: Header=BB418_419 Depth=1
	v_and_b32_e32 v9, 7, v7
	v_lshrrev_b32_e32 v48, 3, v53
	s_mov_b32 s13, exec_lo
	v_cmpx_gt_u32_e32 8, v53
; %bb.527:                              ;   in Loop: Header=BB418_419 Depth=1
	s_delay_alu instid0(VALU_DEP_3) | instskip(NEXT) | instid1(VALU_DEP_1)
	v_clz_i32_u32_e32 v48, v9
	v_min_u32_e32 v48, 32, v48
	s_delay_alu instid0(VALU_DEP_1) | instskip(SKIP_1) | instid1(VALU_DEP_2)
	v_subrev_nc_u32_e32 v53, 28, v48
	v_sub_nc_u32_e32 v48, 29, v48
	v_lshlrev_b64 v[53:54], v53, v[9:10]
	s_delay_alu instid0(VALU_DEP_1)
	v_and_b32_e32 v9, 7, v53
; %bb.528:                              ;   in Loop: Header=BB418_419 Depth=1
	s_or_b32 exec_lo, exec_lo, s13
	v_lshlrev_b32_e32 v7, 24, v7
	s_delay_alu instid0(VALU_DEP_2) | instskip(SKIP_1) | instid1(VALU_DEP_3)
	v_lshlrev_b32_e32 v9, 20, v9
	v_lshl_add_u32 v48, v48, 23, 0x3c000000
	v_and_b32_e32 v7, 0x80000000, v7
	s_delay_alu instid0(VALU_DEP_1)
	v_or3_b32 v9, v9, v7, v48
.LBB418_529:                            ;   in Loop: Header=BB418_419 Depth=1
	s_or_b32 exec_lo, exec_lo, s12
.LBB418_530:                            ;   in Loop: Header=BB418_419 Depth=1
	s_delay_alu instid0(SALU_CYCLE_1)
	s_or_b32 exec_lo, exec_lo, s9
.LBB418_531:                            ;   in Loop: Header=BB418_419 Depth=1
	s_delay_alu instid0(SALU_CYCLE_1) | instskip(NEXT) | instid1(VALU_DEP_1)
	s_or_b32 exec_lo, exec_lo, s0
	v_mul_f32_e32 v7, v25, v9
	s_mov_b32 s0, exec_lo
                                        ; implicit-def: $vgpr53
	s_delay_alu instid0(VALU_DEP_1) | instskip(NEXT) | instid1(VALU_DEP_1)
	v_and_b32_e32 v9, 0x7f800000, v7
	v_cmpx_ne_u32_e32 0x7f800000, v9
	s_xor_b32 s0, exec_lo, s0
; %bb.532:                              ;   in Loop: Header=BB418_419 Depth=1
	v_bfe_u32 v9, v7, 16, 1
	s_delay_alu instid0(VALU_DEP_1)
	v_add3_u32 v53, v7, v9, 0x7fff
                                        ; implicit-def: $vgpr7
; %bb.533:                              ;   in Loop: Header=BB418_419 Depth=1
	s_and_not1_saveexec_b32 s0, s0
; %bb.534:                              ;   in Loop: Header=BB418_419 Depth=1
	v_and_b32_e32 v9, 0xffff, v7
	v_or_b32_e32 v48, 0x10000, v7
	s_delay_alu instid0(VALU_DEP_2) | instskip(NEXT) | instid1(VALU_DEP_2)
	v_cmp_eq_u32_e32 vcc_lo, 0, v9
	v_cndmask_b32_e32 v53, v48, v7, vcc_lo
; %bb.535:                              ;   in Loop: Header=BB418_419 Depth=1
	s_or_b32 exec_lo, exec_lo, s0
	v_mov_b32_e32 v7, 0
	s_mov_b32 s0, exec_lo
	v_cmpx_lt_u64_e64 s[2:3], v[2:3]
	s_cbranch_execz .LBB418_543
; %bb.536:                              ;   in Loop: Header=BB418_419 Depth=1
	v_lshrrev_b32_e32 v2, 24, v3
	v_bfrev_b32_e32 v7, 1
	s_mov_b32 s9, exec_lo
	s_delay_alu instid0(VALU_DEP_2)
	v_cmpx_ne_u32_e32 0x80, v2
	s_cbranch_execz .LBB418_542
; %bb.537:                              ;   in Loop: Header=BB418_419 Depth=1
	v_bfe_u32 v48, v3, 24, 7
	v_mov_b32_e32 v7, 0x7f800001
	s_mov_b32 s12, exec_lo
	s_delay_alu instid0(VALU_DEP_2)
	v_cmpx_ne_u32_e32 0x7f, v48
	s_cbranch_execz .LBB418_541
; %bb.538:                              ;   in Loop: Header=BB418_419 Depth=1
	v_and_b32_e32 v9, 7, v2
	v_lshrrev_b32_e32 v3, 3, v48
	s_mov_b32 s13, exec_lo
	v_cmpx_gt_u32_e32 8, v48
; %bb.539:                              ;   in Loop: Header=BB418_419 Depth=1
	s_delay_alu instid0(VALU_DEP_3) | instskip(NEXT) | instid1(VALU_DEP_1)
	v_clz_i32_u32_e32 v3, v9
	v_min_u32_e32 v3, 32, v3
	s_delay_alu instid0(VALU_DEP_1) | instskip(SKIP_1) | instid1(VALU_DEP_2)
	v_subrev_nc_u32_e32 v7, 28, v3
	v_sub_nc_u32_e32 v3, 29, v3
	v_lshlrev_b64 v[64:65], v7, v[9:10]
	s_delay_alu instid0(VALU_DEP_1)
	v_and_b32_e32 v9, 7, v64
; %bb.540:                              ;   in Loop: Header=BB418_419 Depth=1
	s_or_b32 exec_lo, exec_lo, s13
	v_lshlrev_b32_e32 v2, 24, v2
	s_delay_alu instid0(VALU_DEP_2) | instskip(SKIP_1) | instid1(VALU_DEP_3)
	v_lshlrev_b32_e32 v7, 20, v9
	v_lshl_add_u32 v3, v3, 23, 0x3c000000
	v_and_b32_e32 v2, 0x80000000, v2
	s_delay_alu instid0(VALU_DEP_1)
	v_or3_b32 v7, v7, v2, v3
.LBB418_541:                            ;   in Loop: Header=BB418_419 Depth=1
	s_or_b32 exec_lo, exec_lo, s12
.LBB418_542:                            ;   in Loop: Header=BB418_419 Depth=1
	s_delay_alu instid0(SALU_CYCLE_1)
	s_or_b32 exec_lo, exec_lo, s9
.LBB418_543:                            ;   in Loop: Header=BB418_419 Depth=1
	s_delay_alu instid0(SALU_CYCLE_1) | instskip(NEXT) | instid1(VALU_DEP_1)
	s_or_b32 exec_lo, exec_lo, s0
	v_mul_f32_e32 v3, v25, v7
	s_delay_alu instid0(VALU_DEP_1) | instskip(NEXT) | instid1(VALU_DEP_1)
	v_and_b32_e32 v2, 0x7f800000, v3
	v_cmp_ne_u32_e32 vcc_lo, 0x7f800000, v2
                                        ; implicit-def: $vgpr2
	s_and_saveexec_b32 s0, vcc_lo
	s_delay_alu instid0(SALU_CYCLE_1)
	s_xor_b32 s0, exec_lo, s0
; %bb.544:                              ;   in Loop: Header=BB418_419 Depth=1
	v_bfe_u32 v2, v3, 16, 1
	s_delay_alu instid0(VALU_DEP_1)
	v_add3_u32 v2, v3, v2, 0x7fff
                                        ; implicit-def: $vgpr3
; %bb.545:                              ;   in Loop: Header=BB418_419 Depth=1
	s_and_not1_saveexec_b32 s0, s0
; %bb.546:                              ;   in Loop: Header=BB418_419 Depth=1
	v_and_b32_e32 v2, 0xffff, v3
	v_or_b32_e32 v7, 0x10000, v3
	s_delay_alu instid0(VALU_DEP_2) | instskip(NEXT) | instid1(VALU_DEP_2)
	v_cmp_eq_u32_e32 vcc_lo, 0, v2
	v_cndmask_b32_e32 v2, v7, v3, vcc_lo
; %bb.547:                              ;   in Loop: Header=BB418_419 Depth=1
	s_or_b32 exec_lo, exec_lo, s0
	v_cmp_eq_u32_e32 vcc_lo, v26, v16
	v_add_nc_u32_e32 v48, -7, v15
	v_lshrrev_b32_e32 v6, 16, v6
	v_lshrrev_b32_e32 v7, 16, v52
	;; [unrolled: 1-line block ×8, first 2 shown]
	v_add_nc_u32_e32 v54, -6, v15
	v_add_nc_u32_e32 v53, -5, v15
	;; [unrolled: 1-line block ×6, first 2 shown]
	s_and_saveexec_b32 s9, vcc_lo
	s_cbranch_execz .LBB418_549
; %bb.548:                              ;   in Loop: Header=BB418_419 Depth=1
	v_cmp_lt_i32_e64 s0, v48, v32
	s_delay_alu instid0(VALU_DEP_1) | instskip(SKIP_1) | instid1(VALU_DEP_1)
	v_cndmask_b32_e64 v8, 0, v8, s0
	v_cmp_lt_i32_e64 s0, v54, v32
	v_cndmask_b32_e64 v65, 0, v65, s0
	v_cmp_lt_i32_e64 s0, v53, v32
	s_delay_alu instid0(VALU_DEP_1) | instskip(SKIP_1) | instid1(VALU_DEP_1)
	v_cndmask_b32_e64 v66, 0, v66, s0
	v_cmp_lt_i32_e64 s0, v52, v32
	v_cndmask_b32_e64 v9, 0, v9, s0
	v_cmp_lt_i32_e64 s0, v51, v32
	s_delay_alu instid0(VALU_DEP_1) | instskip(SKIP_1) | instid1(VALU_DEP_1)
	v_cndmask_b32_e64 v7, 0, v7, s0
	v_cmp_lt_i32_e64 s0, v50, v32
	v_cndmask_b32_e64 v6, 0, v6, s0
	v_cmp_lt_i32_e64 s0, v49, v32
	s_delay_alu instid0(VALU_DEP_1) | instskip(SKIP_1) | instid1(VALU_DEP_1)
	v_cndmask_b32_e64 v3, 0, v3, s0
	v_cmp_lt_i32_e64 s0, v15, v32
	v_cndmask_b32_e64 v2, 0, v2, s0
.LBB418_549:                            ;   in Loop: Header=BB418_419 Depth=1
	s_or_b32 exec_lo, exec_lo, s9
	v_and_b32_e32 v55, 0xffff0000, v55
	v_lshlrev_b32_e32 v8, 16, v8
	s_delay_alu instid0(VALU_DEP_1) | instskip(NEXT) | instid1(VALU_DEP_1)
	v_mul_f32_e32 v64, v55, v8
	v_and_b32_e32 v8, 0x7f800000, v64
	s_delay_alu instid0(VALU_DEP_1) | instskip(NEXT) | instid1(VALU_DEP_1)
	v_cmp_ne_u32_e64 s0, 0x7f800000, v8
                                        ; implicit-def: $vgpr8
	s_and_saveexec_b32 s9, s0
	s_delay_alu instid0(SALU_CYCLE_1)
	s_xor_b32 s0, exec_lo, s9
; %bb.550:                              ;   in Loop: Header=BB418_419 Depth=1
	v_bfe_u32 v8, v64, 16, 1
	s_delay_alu instid0(VALU_DEP_1)
	v_add3_u32 v8, v64, v8, 0x7fff
                                        ; implicit-def: $vgpr64
; %bb.551:                              ;   in Loop: Header=BB418_419 Depth=1
	s_and_not1_saveexec_b32 s9, s0
; %bb.552:                              ;   in Loop: Header=BB418_419 Depth=1
	v_and_b32_e32 v8, 0xffff, v64
	v_or_b32_e32 v67, 0x10000, v64
	s_delay_alu instid0(VALU_DEP_2) | instskip(NEXT) | instid1(VALU_DEP_1)
	v_cmp_eq_u32_e64 s0, 0, v8
	v_cndmask_b32_e64 v8, v67, v64, s0
; %bb.553:                              ;   in Loop: Header=BB418_419 Depth=1
	s_or_b32 exec_lo, exec_lo, s9
	v_and_b32_e32 v64, 0xffff0000, v27
	v_lshlrev_b32_e32 v27, 16, v65
	s_delay_alu instid0(VALU_DEP_1) | instskip(NEXT) | instid1(VALU_DEP_1)
	v_mul_f32_e32 v65, v64, v27
	v_and_b32_e32 v27, 0x7f800000, v65
	s_delay_alu instid0(VALU_DEP_1) | instskip(NEXT) | instid1(VALU_DEP_1)
	v_cmp_ne_u32_e64 s0, 0x7f800000, v27
                                        ; implicit-def: $vgpr27
	s_and_saveexec_b32 s9, s0
	s_delay_alu instid0(SALU_CYCLE_1)
	s_xor_b32 s0, exec_lo, s9
; %bb.554:                              ;   in Loop: Header=BB418_419 Depth=1
	v_bfe_u32 v27, v65, 16, 1
	s_delay_alu instid0(VALU_DEP_1)
	v_add3_u32 v27, v65, v27, 0x7fff
                                        ; implicit-def: $vgpr65
; %bb.555:                              ;   in Loop: Header=BB418_419 Depth=1
	s_and_not1_saveexec_b32 s9, s0
; %bb.556:                              ;   in Loop: Header=BB418_419 Depth=1
	v_and_b32_e32 v27, 0xffff, v65
	v_or_b32_e32 v67, 0x10000, v65
	s_delay_alu instid0(VALU_DEP_2) | instskip(NEXT) | instid1(VALU_DEP_1)
	v_cmp_eq_u32_e64 s0, 0, v27
	v_cndmask_b32_e64 v27, v67, v65, s0
; %bb.557:                              ;   in Loop: Header=BB418_419 Depth=1
	s_or_b32 exec_lo, exec_lo, s9
	v_and_b32_e32 v65, 0xffff0000, v28
	v_lshlrev_b32_e32 v28, 16, v66
	s_delay_alu instid0(VALU_DEP_1) | instskip(NEXT) | instid1(VALU_DEP_1)
	v_mul_f32_e32 v66, v65, v28
	v_and_b32_e32 v28, 0x7f800000, v66
	s_delay_alu instid0(VALU_DEP_1) | instskip(NEXT) | instid1(VALU_DEP_1)
	v_cmp_ne_u32_e64 s0, 0x7f800000, v28
                                        ; implicit-def: $vgpr28
	s_and_saveexec_b32 s9, s0
	s_delay_alu instid0(SALU_CYCLE_1)
	s_xor_b32 s0, exec_lo, s9
; %bb.558:                              ;   in Loop: Header=BB418_419 Depth=1
	v_bfe_u32 v28, v66, 16, 1
	s_delay_alu instid0(VALU_DEP_1)
	v_add3_u32 v28, v66, v28, 0x7fff
                                        ; implicit-def: $vgpr66
; %bb.559:                              ;   in Loop: Header=BB418_419 Depth=1
	s_and_not1_saveexec_b32 s9, s0
; %bb.560:                              ;   in Loop: Header=BB418_419 Depth=1
	v_and_b32_e32 v28, 0xffff, v66
	v_or_b32_e32 v67, 0x10000, v66
	s_delay_alu instid0(VALU_DEP_2) | instskip(NEXT) | instid1(VALU_DEP_1)
	v_cmp_eq_u32_e64 s0, 0, v28
	v_cndmask_b32_e64 v28, v67, v66, s0
; %bb.561:                              ;   in Loop: Header=BB418_419 Depth=1
	s_or_b32 exec_lo, exec_lo, s9
	v_and_b32_e32 v66, 0xffff0000, v29
	v_lshlrev_b32_e32 v9, 16, v9
	s_delay_alu instid0(VALU_DEP_1) | instskip(NEXT) | instid1(VALU_DEP_1)
	v_mul_f32_e32 v9, v66, v9
	v_and_b32_e32 v29, 0x7f800000, v9
	s_delay_alu instid0(VALU_DEP_1) | instskip(NEXT) | instid1(VALU_DEP_1)
	v_cmp_ne_u32_e64 s0, 0x7f800000, v29
                                        ; implicit-def: $vgpr29
	s_and_saveexec_b32 s9, s0
	s_delay_alu instid0(SALU_CYCLE_1)
	s_xor_b32 s0, exec_lo, s9
; %bb.562:                              ;   in Loop: Header=BB418_419 Depth=1
	v_bfe_u32 v29, v9, 16, 1
	s_delay_alu instid0(VALU_DEP_1)
	v_add3_u32 v29, v9, v29, 0x7fff
                                        ; implicit-def: $vgpr9
; %bb.563:                              ;   in Loop: Header=BB418_419 Depth=1
	s_and_not1_saveexec_b32 s9, s0
; %bb.564:                              ;   in Loop: Header=BB418_419 Depth=1
	v_and_b32_e32 v29, 0xffff, v9
	v_or_b32_e32 v67, 0x10000, v9
	s_delay_alu instid0(VALU_DEP_2) | instskip(NEXT) | instid1(VALU_DEP_1)
	v_cmp_eq_u32_e64 s0, 0, v29
	v_cndmask_b32_e64 v29, v67, v9, s0
; %bb.565:                              ;   in Loop: Header=BB418_419 Depth=1
	s_or_b32 exec_lo, exec_lo, s9
	v_and_b32_e32 v67, 0xffff0000, v36
	v_lshlrev_b32_e32 v7, 16, v7
                                        ; implicit-def: $vgpr36
	s_delay_alu instid0(VALU_DEP_1) | instskip(NEXT) | instid1(VALU_DEP_1)
	v_mul_f32_e32 v7, v67, v7
	v_and_b32_e32 v9, 0x7f800000, v7
	s_delay_alu instid0(VALU_DEP_1) | instskip(NEXT) | instid1(VALU_DEP_1)
	v_cmp_ne_u32_e64 s0, 0x7f800000, v9
	s_and_saveexec_b32 s9, s0
	s_delay_alu instid0(SALU_CYCLE_1)
	s_xor_b32 s0, exec_lo, s9
; %bb.566:                              ;   in Loop: Header=BB418_419 Depth=1
	v_bfe_u32 v9, v7, 16, 1
	s_delay_alu instid0(VALU_DEP_1)
	v_add3_u32 v36, v7, v9, 0x7fff
                                        ; implicit-def: $vgpr7
; %bb.567:                              ;   in Loop: Header=BB418_419 Depth=1
	s_and_not1_saveexec_b32 s9, s0
; %bb.568:                              ;   in Loop: Header=BB418_419 Depth=1
	v_and_b32_e32 v9, 0xffff, v7
	v_or_b32_e32 v36, 0x10000, v7
	s_delay_alu instid0(VALU_DEP_2) | instskip(NEXT) | instid1(VALU_DEP_1)
	v_cmp_eq_u32_e64 s0, 0, v9
	v_cndmask_b32_e64 v36, v36, v7, s0
; %bb.569:                              ;   in Loop: Header=BB418_419 Depth=1
	s_or_b32 exec_lo, exec_lo, s9
	v_and_b32_e32 v68, 0xffff0000, v37
	v_lshlrev_b32_e32 v6, 16, v6
                                        ; implicit-def: $vgpr37
	s_delay_alu instid0(VALU_DEP_1) | instskip(NEXT) | instid1(VALU_DEP_1)
	v_mul_f32_e32 v6, v68, v6
	v_and_b32_e32 v7, 0x7f800000, v6
	s_delay_alu instid0(VALU_DEP_1) | instskip(NEXT) | instid1(VALU_DEP_1)
	v_cmp_ne_u32_e64 s0, 0x7f800000, v7
	s_and_saveexec_b32 s9, s0
	s_delay_alu instid0(SALU_CYCLE_1)
	s_xor_b32 s0, exec_lo, s9
; %bb.570:                              ;   in Loop: Header=BB418_419 Depth=1
	v_bfe_u32 v7, v6, 16, 1
	s_delay_alu instid0(VALU_DEP_1)
	v_add3_u32 v37, v6, v7, 0x7fff
                                        ; implicit-def: $vgpr6
; %bb.571:                              ;   in Loop: Header=BB418_419 Depth=1
	s_and_not1_saveexec_b32 s9, s0
; %bb.572:                              ;   in Loop: Header=BB418_419 Depth=1
	v_and_b32_e32 v7, 0xffff, v6
	v_or_b32_e32 v9, 0x10000, v6
	s_delay_alu instid0(VALU_DEP_2) | instskip(NEXT) | instid1(VALU_DEP_1)
	v_cmp_eq_u32_e64 s0, 0, v7
	v_cndmask_b32_e64 v37, v9, v6, s0
; %bb.573:                              ;   in Loop: Header=BB418_419 Depth=1
	s_or_b32 exec_lo, exec_lo, s9
	v_and_b32_e32 v69, 0xffff0000, v38
	v_lshlrev_b32_e32 v3, 16, v3
                                        ; implicit-def: $vgpr38
	s_delay_alu instid0(VALU_DEP_1) | instskip(NEXT) | instid1(VALU_DEP_1)
	v_mul_f32_e32 v3, v69, v3
	v_and_b32_e32 v6, 0x7f800000, v3
	s_delay_alu instid0(VALU_DEP_1) | instskip(NEXT) | instid1(VALU_DEP_1)
	v_cmp_ne_u32_e64 s0, 0x7f800000, v6
	s_and_saveexec_b32 s9, s0
	s_delay_alu instid0(SALU_CYCLE_1)
	s_xor_b32 s0, exec_lo, s9
; %bb.574:                              ;   in Loop: Header=BB418_419 Depth=1
	v_bfe_u32 v6, v3, 16, 1
	s_delay_alu instid0(VALU_DEP_1)
	v_add3_u32 v38, v3, v6, 0x7fff
                                        ; implicit-def: $vgpr3
; %bb.575:                              ;   in Loop: Header=BB418_419 Depth=1
	s_and_not1_saveexec_b32 s9, s0
; %bb.576:                              ;   in Loop: Header=BB418_419 Depth=1
	v_and_b32_e32 v6, 0xffff, v3
	v_or_b32_e32 v7, 0x10000, v3
	s_delay_alu instid0(VALU_DEP_2) | instskip(NEXT) | instid1(VALU_DEP_1)
	v_cmp_eq_u32_e64 s0, 0, v6
	v_cndmask_b32_e64 v38, v7, v3, s0
; %bb.577:                              ;   in Loop: Header=BB418_419 Depth=1
	s_or_b32 exec_lo, exec_lo, s9
	v_and_b32_e32 v70, 0xffff0000, v39
	v_lshlrev_b32_e32 v2, 16, v2
                                        ; implicit-def: $vgpr39
	s_delay_alu instid0(VALU_DEP_1) | instskip(NEXT) | instid1(VALU_DEP_1)
	v_mul_f32_e32 v2, v70, v2
	v_and_b32_e32 v3, 0x7f800000, v2
	s_delay_alu instid0(VALU_DEP_1) | instskip(NEXT) | instid1(VALU_DEP_1)
	v_cmp_ne_u32_e64 s0, 0x7f800000, v3
	s_and_saveexec_b32 s9, s0
	s_delay_alu instid0(SALU_CYCLE_1)
	s_xor_b32 s0, exec_lo, s9
; %bb.578:                              ;   in Loop: Header=BB418_419 Depth=1
	v_bfe_u32 v3, v2, 16, 1
	s_delay_alu instid0(VALU_DEP_1)
	v_add3_u32 v39, v2, v3, 0x7fff
                                        ; implicit-def: $vgpr2
; %bb.579:                              ;   in Loop: Header=BB418_419 Depth=1
	s_and_not1_saveexec_b32 s9, s0
; %bb.580:                              ;   in Loop: Header=BB418_419 Depth=1
	v_and_b32_e32 v3, 0xffff, v2
	v_or_b32_e32 v6, 0x10000, v2
	s_delay_alu instid0(VALU_DEP_2) | instskip(NEXT) | instid1(VALU_DEP_1)
	v_cmp_eq_u32_e64 s0, 0, v3
	v_cndmask_b32_e64 v39, v6, v2, s0
; %bb.581:                              ;   in Loop: Header=BB418_419 Depth=1
	s_or_b32 exec_lo, exec_lo, s9
	flat_load_b64 v[2:3], v[0:1] offset:256
	s_mov_b32 s9, exec_lo
	s_waitcnt vmcnt(0) lgkmcnt(0)
	v_dual_mov_b32 v6, 0 :: v_dual_and_b32 v7, 0xff, v2
	s_delay_alu instid0(VALU_DEP_1)
	v_cmpx_ne_u16_e32 0, v7
	s_cbranch_execz .LBB418_589
; %bb.582:                              ;   in Loop: Header=BB418_419 Depth=1
	v_bfrev_b32_e32 v6, 1
	s_mov_b32 s12, exec_lo
	v_cmpx_ne_u16_e32 0x80, v7
	s_cbranch_execz .LBB418_588
; %bb.583:                              ;   in Loop: Header=BB418_419 Depth=1
	v_and_b32_e32 v7, 0x7f, v2
	v_mov_b32_e32 v6, 0x7f800001
	s_mov_b32 s13, exec_lo
	s_delay_alu instid0(VALU_DEP_2)
	v_cmpx_ne_u32_e32 0x7f, v7
	s_cbranch_execz .LBB418_587
; %bb.584:                              ;   in Loop: Header=BB418_419 Depth=1
	v_lshrrev_b32_e32 v9, 3, v7
	v_cmp_gt_u32_e64 s0, 8, v7
	v_dual_mov_b32 v7, v3 :: v_dual_mov_b32 v6, v2
	s_delay_alu instid0(VALU_DEP_2)
	s_and_saveexec_b32 s15, s0
; %bb.585:                              ;   in Loop: Header=BB418_419 Depth=1
	v_and_b32_e32 v6, 7, v2
	s_delay_alu instid0(VALU_DEP_1) | instskip(NEXT) | instid1(VALU_DEP_1)
	v_clz_i32_u32_e32 v6, v6
	v_min_u32_e32 v9, 32, v6
	s_delay_alu instid0(VALU_DEP_1) | instskip(SKIP_1) | instid1(VALU_DEP_2)
	v_subrev_nc_u32_e32 v6, 28, v9
	v_sub_nc_u32_e32 v9, 29, v9
	v_lshlrev_b64 v[6:7], v6, v[2:3]
; %bb.586:                              ;   in Loop: Header=BB418_419 Depth=1
	s_or_b32 exec_lo, exec_lo, s15
	s_delay_alu instid0(VALU_DEP_1) | instskip(SKIP_2) | instid1(VALU_DEP_3)
	v_lshlrev_b32_e32 v6, 20, v6
	v_lshlrev_b32_e32 v7, 24, v2
	v_lshl_add_u32 v9, v9, 23, 0x3c000000
	v_and_b32_e32 v6, 0x700000, v6
	s_delay_alu instid0(VALU_DEP_3) | instskip(NEXT) | instid1(VALU_DEP_1)
	v_and_b32_e32 v7, 0x80000000, v7
	v_or3_b32 v6, v6, v7, v9
.LBB418_587:                            ;   in Loop: Header=BB418_419 Depth=1
	s_or_b32 exec_lo, exec_lo, s13
.LBB418_588:                            ;   in Loop: Header=BB418_419 Depth=1
	s_delay_alu instid0(SALU_CYCLE_1)
	s_or_b32 exec_lo, exec_lo, s12
.LBB418_589:                            ;   in Loop: Header=BB418_419 Depth=1
	s_delay_alu instid0(SALU_CYCLE_1) | instskip(NEXT) | instid1(VALU_DEP_1)
	s_or_b32 exec_lo, exec_lo, s9
	v_mul_f32_e32 v6, v25, v6
                                        ; implicit-def: $vgpr71
	s_delay_alu instid0(VALU_DEP_1) | instskip(NEXT) | instid1(VALU_DEP_1)
	v_and_b32_e32 v7, 0x7f800000, v6
	v_cmp_ne_u32_e64 s0, 0x7f800000, v7
	s_delay_alu instid0(VALU_DEP_1) | instskip(NEXT) | instid1(SALU_CYCLE_1)
	s_and_saveexec_b32 s9, s0
	s_xor_b32 s0, exec_lo, s9
; %bb.590:                              ;   in Loop: Header=BB418_419 Depth=1
	v_bfe_u32 v7, v6, 16, 1
	s_delay_alu instid0(VALU_DEP_1)
	v_add3_u32 v71, v6, v7, 0x7fff
                                        ; implicit-def: $vgpr6
; %bb.591:                              ;   in Loop: Header=BB418_419 Depth=1
	s_and_not1_saveexec_b32 s9, s0
; %bb.592:                              ;   in Loop: Header=BB418_419 Depth=1
	v_and_b32_e32 v7, 0xffff, v6
	v_or_b32_e32 v9, 0x10000, v6
	s_delay_alu instid0(VALU_DEP_2) | instskip(NEXT) | instid1(VALU_DEP_1)
	v_cmp_eq_u32_e64 s0, 0, v7
	v_cndmask_b32_e64 v71, v9, v6, s0
; %bb.593:                              ;   in Loop: Header=BB418_419 Depth=1
	s_or_b32 exec_lo, exec_lo, s9
	v_lshrrev_b16 v7, 8, v2
	v_mov_b32_e32 v6, 0
	s_mov_b32 s9, exec_lo
	s_delay_alu instid0(VALU_DEP_2)
	v_cmpx_ne_u16_e32 0, v7
	s_cbranch_execz .LBB418_601
; %bb.594:                              ;   in Loop: Header=BB418_419 Depth=1
	v_bfrev_b32_e32 v6, 1
	s_mov_b32 s12, exec_lo
	v_cmpx_ne_u16_e32 0x80, v7
	s_cbranch_execz .LBB418_600
; %bb.595:                              ;   in Loop: Header=BB418_419 Depth=1
	v_and_b32_e32 v9, 0xffff, v7
	v_mov_b32_e32 v6, 0x7f800001
	s_mov_b32 s13, exec_lo
	s_delay_alu instid0(VALU_DEP_2) | instskip(NEXT) | instid1(VALU_DEP_1)
	v_and_b32_e32 v7, 0x7f, v9
	v_cmpx_ne_u32_e32 0x7f, v7
	s_cbranch_execz .LBB418_599
; %bb.596:                              ;   in Loop: Header=BB418_419 Depth=1
	v_and_b32_e32 v9, 7, v9
	v_lshrrev_b32_e32 v6, 3, v7
	s_mov_b32 s15, exec_lo
	v_cmpx_gt_u32_e32 8, v7
; %bb.597:                              ;   in Loop: Header=BB418_419 Depth=1
	s_delay_alu instid0(VALU_DEP_3) | instskip(NEXT) | instid1(VALU_DEP_1)
	v_clz_i32_u32_e32 v6, v9
	v_min_u32_e32 v6, 32, v6
	s_delay_alu instid0(VALU_DEP_1) | instskip(SKIP_1) | instid1(VALU_DEP_2)
	v_subrev_nc_u32_e32 v7, 28, v6
	v_sub_nc_u32_e32 v6, 29, v6
	v_lshlrev_b64 v[80:81], v7, v[9:10]
	s_delay_alu instid0(VALU_DEP_1)
	v_and_b32_e32 v9, 7, v80
; %bb.598:                              ;   in Loop: Header=BB418_419 Depth=1
	s_or_b32 exec_lo, exec_lo, s15
	v_lshlrev_b32_e32 v7, 16, v2
	s_delay_alu instid0(VALU_DEP_2) | instskip(SKIP_1) | instid1(VALU_DEP_3)
	v_lshlrev_b32_e32 v9, 20, v9
	v_lshl_add_u32 v6, v6, 23, 0x3c000000
	v_and_b32_e32 v7, 0x80000000, v7
	s_delay_alu instid0(VALU_DEP_1)
	v_or3_b32 v6, v9, v7, v6
.LBB418_599:                            ;   in Loop: Header=BB418_419 Depth=1
	s_or_b32 exec_lo, exec_lo, s13
.LBB418_600:                            ;   in Loop: Header=BB418_419 Depth=1
	s_delay_alu instid0(SALU_CYCLE_1)
	s_or_b32 exec_lo, exec_lo, s12
.LBB418_601:                            ;   in Loop: Header=BB418_419 Depth=1
	s_delay_alu instid0(SALU_CYCLE_1) | instskip(NEXT) | instid1(VALU_DEP_1)
	s_or_b32 exec_lo, exec_lo, s9
	v_mul_f32_e32 v6, v25, v6
                                        ; implicit-def: $vgpr80
	s_delay_alu instid0(VALU_DEP_1) | instskip(NEXT) | instid1(VALU_DEP_1)
	v_and_b32_e32 v7, 0x7f800000, v6
	v_cmp_ne_u32_e64 s0, 0x7f800000, v7
	s_delay_alu instid0(VALU_DEP_1) | instskip(NEXT) | instid1(SALU_CYCLE_1)
	s_and_saveexec_b32 s9, s0
	s_xor_b32 s0, exec_lo, s9
; %bb.602:                              ;   in Loop: Header=BB418_419 Depth=1
	v_bfe_u32 v7, v6, 16, 1
	s_delay_alu instid0(VALU_DEP_1)
	v_add3_u32 v80, v6, v7, 0x7fff
                                        ; implicit-def: $vgpr6
; %bb.603:                              ;   in Loop: Header=BB418_419 Depth=1
	s_and_not1_saveexec_b32 s9, s0
; %bb.604:                              ;   in Loop: Header=BB418_419 Depth=1
	v_and_b32_e32 v7, 0xffff, v6
	v_or_b32_e32 v9, 0x10000, v6
	s_delay_alu instid0(VALU_DEP_2) | instskip(NEXT) | instid1(VALU_DEP_1)
	v_cmp_eq_u32_e64 s0, 0, v7
	v_cndmask_b32_e64 v80, v9, v6, s0
; %bb.605:                              ;   in Loop: Header=BB418_419 Depth=1
	s_or_b32 exec_lo, exec_lo, s9
	v_lshrrev_b32_e32 v6, 16, v2
	v_mov_b32_e32 v7, 0
	s_mov_b32 s9, exec_lo
	s_delay_alu instid0(VALU_DEP_2) | instskip(NEXT) | instid1(VALU_DEP_1)
	v_and_b32_e32 v9, 0xff, v6
	v_cmpx_ne_u16_e32 0, v9
	s_cbranch_execz .LBB418_613
; %bb.606:                              ;   in Loop: Header=BB418_419 Depth=1
	v_bfrev_b32_e32 v7, 1
	s_mov_b32 s12, exec_lo
	v_cmpx_ne_u16_e32 0x80, v9
	s_cbranch_execz .LBB418_612
; %bb.607:                              ;   in Loop: Header=BB418_419 Depth=1
	v_bfe_u32 v81, v2, 16, 7
	v_mov_b32_e32 v7, 0x7f800001
	s_mov_b32 s13, exec_lo
	s_delay_alu instid0(VALU_DEP_2)
	v_cmpx_ne_u32_e32 0x7f, v81
	s_cbranch_execz .LBB418_611
; %bb.608:                              ;   in Loop: Header=BB418_419 Depth=1
	v_and_b32_e32 v9, 7, v6
	v_lshrrev_b32_e32 v7, 3, v81
	s_mov_b32 s15, exec_lo
	v_cmpx_gt_u32_e32 8, v81
; %bb.609:                              ;   in Loop: Header=BB418_419 Depth=1
	s_delay_alu instid0(VALU_DEP_3) | instskip(NEXT) | instid1(VALU_DEP_1)
	v_clz_i32_u32_e32 v7, v9
	v_min_u32_e32 v7, 32, v7
	s_delay_alu instid0(VALU_DEP_1) | instskip(SKIP_1) | instid1(VALU_DEP_2)
	v_subrev_nc_u32_e32 v81, 28, v7
	v_sub_nc_u32_e32 v7, 29, v7
	v_lshlrev_b64 v[81:82], v81, v[9:10]
	s_delay_alu instid0(VALU_DEP_1)
	v_and_b32_e32 v9, 7, v81
; %bb.610:                              ;   in Loop: Header=BB418_419 Depth=1
	s_or_b32 exec_lo, exec_lo, s15
	v_lshlrev_b32_e32 v6, 24, v6
	s_delay_alu instid0(VALU_DEP_2) | instskip(SKIP_1) | instid1(VALU_DEP_3)
	v_lshlrev_b32_e32 v9, 20, v9
	v_lshl_add_u32 v7, v7, 23, 0x3c000000
	v_and_b32_e32 v6, 0x80000000, v6
	s_delay_alu instid0(VALU_DEP_1)
	v_or3_b32 v7, v9, v6, v7
.LBB418_611:                            ;   in Loop: Header=BB418_419 Depth=1
	s_or_b32 exec_lo, exec_lo, s13
.LBB418_612:                            ;   in Loop: Header=BB418_419 Depth=1
	s_delay_alu instid0(SALU_CYCLE_1)
	s_or_b32 exec_lo, exec_lo, s12
.LBB418_613:                            ;   in Loop: Header=BB418_419 Depth=1
	s_delay_alu instid0(SALU_CYCLE_1) | instskip(NEXT) | instid1(VALU_DEP_1)
	s_or_b32 exec_lo, exec_lo, s9
	v_mul_f32_e32 v6, v25, v7
                                        ; implicit-def: $vgpr81
	s_delay_alu instid0(VALU_DEP_1) | instskip(NEXT) | instid1(VALU_DEP_1)
	v_and_b32_e32 v7, 0x7f800000, v6
	v_cmp_ne_u32_e64 s0, 0x7f800000, v7
	s_delay_alu instid0(VALU_DEP_1) | instskip(NEXT) | instid1(SALU_CYCLE_1)
	s_and_saveexec_b32 s9, s0
	s_xor_b32 s0, exec_lo, s9
; %bb.614:                              ;   in Loop: Header=BB418_419 Depth=1
	v_bfe_u32 v7, v6, 16, 1
	s_delay_alu instid0(VALU_DEP_1)
	v_add3_u32 v81, v6, v7, 0x7fff
                                        ; implicit-def: $vgpr6
; %bb.615:                              ;   in Loop: Header=BB418_419 Depth=1
	s_and_not1_saveexec_b32 s9, s0
; %bb.616:                              ;   in Loop: Header=BB418_419 Depth=1
	v_and_b32_e32 v7, 0xffff, v6
	v_or_b32_e32 v9, 0x10000, v6
	s_delay_alu instid0(VALU_DEP_2) | instskip(NEXT) | instid1(VALU_DEP_1)
	v_cmp_eq_u32_e64 s0, 0, v7
	v_cndmask_b32_e64 v81, v9, v6, s0
; %bb.617:                              ;   in Loop: Header=BB418_419 Depth=1
	s_or_b32 exec_lo, exec_lo, s9
	v_mov_b32_e32 v7, 0
	s_mov_b32 s9, exec_lo
	v_cmpx_lt_u32_e32 0xffffff, v2
	s_cbranch_execz .LBB418_625
; %bb.618:                              ;   in Loop: Header=BB418_419 Depth=1
	v_lshrrev_b32_e32 v6, 24, v2
	v_bfrev_b32_e32 v7, 1
	s_mov_b32 s12, exec_lo
	s_delay_alu instid0(VALU_DEP_2)
	v_cmpx_ne_u32_e32 0x80, v6
	s_cbranch_execz .LBB418_624
; %bb.619:                              ;   in Loop: Header=BB418_419 Depth=1
	v_bfe_u32 v82, v2, 24, 7
	v_mov_b32_e32 v7, 0x7f800001
	s_mov_b32 s13, exec_lo
	s_delay_alu instid0(VALU_DEP_2)
	v_cmpx_ne_u32_e32 0x7f, v82
	s_cbranch_execz .LBB418_623
; %bb.620:                              ;   in Loop: Header=BB418_419 Depth=1
	v_and_b32_e32 v9, 7, v6
	v_lshrrev_b32_e32 v7, 3, v82
	s_mov_b32 s15, exec_lo
	v_cmpx_gt_u32_e32 8, v82
; %bb.621:                              ;   in Loop: Header=BB418_419 Depth=1
	s_delay_alu instid0(VALU_DEP_3) | instskip(NEXT) | instid1(VALU_DEP_1)
	v_clz_i32_u32_e32 v7, v9
	v_min_u32_e32 v7, 32, v7
	s_delay_alu instid0(VALU_DEP_1) | instskip(SKIP_1) | instid1(VALU_DEP_2)
	v_subrev_nc_u32_e32 v82, 28, v7
	v_sub_nc_u32_e32 v7, 29, v7
	v_lshlrev_b64 v[82:83], v82, v[9:10]
	s_delay_alu instid0(VALU_DEP_1)
	v_and_b32_e32 v9, 7, v82
; %bb.622:                              ;   in Loop: Header=BB418_419 Depth=1
	s_or_b32 exec_lo, exec_lo, s15
	v_lshlrev_b32_e32 v6, 24, v6
	s_delay_alu instid0(VALU_DEP_2) | instskip(SKIP_1) | instid1(VALU_DEP_3)
	v_lshlrev_b32_e32 v9, 20, v9
	v_lshl_add_u32 v7, v7, 23, 0x3c000000
	v_and_b32_e32 v6, 0x80000000, v6
	s_delay_alu instid0(VALU_DEP_1)
	v_or3_b32 v7, v9, v6, v7
.LBB418_623:                            ;   in Loop: Header=BB418_419 Depth=1
	s_or_b32 exec_lo, exec_lo, s13
.LBB418_624:                            ;   in Loop: Header=BB418_419 Depth=1
	s_delay_alu instid0(SALU_CYCLE_1)
	s_or_b32 exec_lo, exec_lo, s12
.LBB418_625:                            ;   in Loop: Header=BB418_419 Depth=1
	s_delay_alu instid0(SALU_CYCLE_1) | instskip(NEXT) | instid1(VALU_DEP_1)
	s_or_b32 exec_lo, exec_lo, s9
	v_mul_f32_e32 v6, v25, v7
                                        ; implicit-def: $vgpr82
	s_delay_alu instid0(VALU_DEP_1) | instskip(NEXT) | instid1(VALU_DEP_1)
	v_and_b32_e32 v7, 0x7f800000, v6
	v_cmp_ne_u32_e64 s0, 0x7f800000, v7
	s_delay_alu instid0(VALU_DEP_1) | instskip(NEXT) | instid1(SALU_CYCLE_1)
	s_and_saveexec_b32 s9, s0
	s_xor_b32 s0, exec_lo, s9
; %bb.626:                              ;   in Loop: Header=BB418_419 Depth=1
	v_bfe_u32 v7, v6, 16, 1
	s_delay_alu instid0(VALU_DEP_1)
	v_add3_u32 v82, v6, v7, 0x7fff
                                        ; implicit-def: $vgpr6
; %bb.627:                              ;   in Loop: Header=BB418_419 Depth=1
	s_and_not1_saveexec_b32 s9, s0
; %bb.628:                              ;   in Loop: Header=BB418_419 Depth=1
	v_and_b32_e32 v7, 0xffff, v6
	v_or_b32_e32 v9, 0x10000, v6
	s_delay_alu instid0(VALU_DEP_2) | instskip(NEXT) | instid1(VALU_DEP_1)
	v_cmp_eq_u32_e64 s0, 0, v7
	v_cndmask_b32_e64 v82, v9, v6, s0
; %bb.629:                              ;   in Loop: Header=BB418_419 Depth=1
	s_or_b32 exec_lo, exec_lo, s9
	v_dual_mov_b32 v6, 0 :: v_dual_and_b32 v7, 0xff, v3
	v_mov_b32_e32 v9, v3
	s_mov_b32 s9, exec_lo
	s_delay_alu instid0(VALU_DEP_2)
	v_cmpx_ne_u16_e32 0, v7
	s_cbranch_execz .LBB418_637
; %bb.630:                              ;   in Loop: Header=BB418_419 Depth=1
	v_bfrev_b32_e32 v6, 1
	s_mov_b32 s12, exec_lo
	v_cmpx_ne_u16_e32 0x80, v7
	s_cbranch_execz .LBB418_636
; %bb.631:                              ;   in Loop: Header=BB418_419 Depth=1
	v_and_b32_e32 v7, 0x7f, v3
	v_mov_b32_e32 v6, 0x7f800001
	s_mov_b32 s13, exec_lo
	s_delay_alu instid0(VALU_DEP_2)
	v_cmpx_ne_u32_e32 0x7f, v7
	s_cbranch_execz .LBB418_635
; %bb.632:                              ;   in Loop: Header=BB418_419 Depth=1
	v_lshrrev_b32_e32 v83, 3, v7
	v_cmp_gt_u32_e64 s0, 8, v7
	v_dual_mov_b32 v6, v9 :: v_dual_mov_b32 v7, v10
	s_delay_alu instid0(VALU_DEP_2)
	s_and_saveexec_b32 s15, s0
; %bb.633:                              ;   in Loop: Header=BB418_419 Depth=1
	v_and_b32_e32 v6, 7, v3
	s_delay_alu instid0(VALU_DEP_1) | instskip(NEXT) | instid1(VALU_DEP_1)
	v_clz_i32_u32_e32 v6, v6
	v_min_u32_e32 v83, 32, v6
	s_delay_alu instid0(VALU_DEP_1) | instskip(SKIP_1) | instid1(VALU_DEP_2)
	v_subrev_nc_u32_e32 v6, 28, v83
	v_sub_nc_u32_e32 v83, 29, v83
	v_lshlrev_b64 v[6:7], v6, v[9:10]
; %bb.634:                              ;   in Loop: Header=BB418_419 Depth=1
	s_or_b32 exec_lo, exec_lo, s15
	s_delay_alu instid0(VALU_DEP_1) | instskip(SKIP_2) | instid1(VALU_DEP_3)
	v_lshlrev_b32_e32 v6, 20, v6
	v_lshlrev_b32_e32 v7, 24, v9
	v_lshl_add_u32 v83, v83, 23, 0x3c000000
	v_and_b32_e32 v6, 0x700000, v6
	s_delay_alu instid0(VALU_DEP_3) | instskip(NEXT) | instid1(VALU_DEP_1)
	v_and_b32_e32 v7, 0x80000000, v7
	v_or3_b32 v6, v6, v7, v83
.LBB418_635:                            ;   in Loop: Header=BB418_419 Depth=1
	s_or_b32 exec_lo, exec_lo, s13
.LBB418_636:                            ;   in Loop: Header=BB418_419 Depth=1
	s_delay_alu instid0(SALU_CYCLE_1)
	s_or_b32 exec_lo, exec_lo, s12
.LBB418_637:                            ;   in Loop: Header=BB418_419 Depth=1
	s_delay_alu instid0(SALU_CYCLE_1) | instskip(NEXT) | instid1(VALU_DEP_1)
	s_or_b32 exec_lo, exec_lo, s9
	v_mul_f32_e32 v6, v25, v6
                                        ; implicit-def: $vgpr83
	s_delay_alu instid0(VALU_DEP_1) | instskip(NEXT) | instid1(VALU_DEP_1)
	v_and_b32_e32 v7, 0x7f800000, v6
	v_cmp_ne_u32_e64 s0, 0x7f800000, v7
	s_delay_alu instid0(VALU_DEP_1) | instskip(NEXT) | instid1(SALU_CYCLE_1)
	s_and_saveexec_b32 s9, s0
	s_xor_b32 s0, exec_lo, s9
; %bb.638:                              ;   in Loop: Header=BB418_419 Depth=1
	v_bfe_u32 v7, v6, 16, 1
	s_delay_alu instid0(VALU_DEP_1)
	v_add3_u32 v83, v6, v7, 0x7fff
                                        ; implicit-def: $vgpr6
; %bb.639:                              ;   in Loop: Header=BB418_419 Depth=1
	s_and_not1_saveexec_b32 s9, s0
; %bb.640:                              ;   in Loop: Header=BB418_419 Depth=1
	v_and_b32_e32 v7, 0xffff, v6
	v_or_b32_e32 v83, 0x10000, v6
	s_delay_alu instid0(VALU_DEP_2) | instskip(NEXT) | instid1(VALU_DEP_1)
	v_cmp_eq_u32_e64 s0, 0, v7
	v_cndmask_b32_e64 v83, v83, v6, s0
; %bb.641:                              ;   in Loop: Header=BB418_419 Depth=1
	s_or_b32 exec_lo, exec_lo, s9
	v_lshrrev_b16 v7, 8, v9
	v_mov_b32_e32 v6, 0
	s_mov_b32 s9, exec_lo
	s_delay_alu instid0(VALU_DEP_2)
	v_cmpx_ne_u16_e32 0, v7
	s_cbranch_execz .LBB418_649
; %bb.642:                              ;   in Loop: Header=BB418_419 Depth=1
	v_bfrev_b32_e32 v6, 1
	s_mov_b32 s12, exec_lo
	v_cmpx_ne_u16_e32 0x80, v7
	s_cbranch_execz .LBB418_648
; %bb.643:                              ;   in Loop: Header=BB418_419 Depth=1
	v_and_b32_e32 v7, 0xffff, v7
	v_mov_b32_e32 v6, 0x7f800001
	s_mov_b32 s13, exec_lo
	s_delay_alu instid0(VALU_DEP_2) | instskip(NEXT) | instid1(VALU_DEP_1)
	v_and_b32_e32 v85, 0x7f, v7
	v_cmpx_ne_u32_e32 0x7f, v85
	s_cbranch_execz .LBB418_647
; %bb.644:                              ;   in Loop: Header=BB418_419 Depth=1
	v_dual_mov_b32 v7, v10 :: v_dual_and_b32 v6, 7, v7
	v_lshrrev_b32_e32 v84, 3, v85
	s_mov_b32 s15, exec_lo
	v_cmpx_gt_u32_e32 8, v85
; %bb.645:                              ;   in Loop: Header=BB418_419 Depth=1
	s_delay_alu instid0(VALU_DEP_3) | instskip(NEXT) | instid1(VALU_DEP_1)
	v_clz_i32_u32_e32 v84, v6
	v_min_u32_e32 v84, 32, v84
	s_delay_alu instid0(VALU_DEP_1) | instskip(SKIP_1) | instid1(VALU_DEP_2)
	v_subrev_nc_u32_e32 v85, 28, v84
	v_sub_nc_u32_e32 v84, 29, v84
	v_lshlrev_b64 v[6:7], v85, v[6:7]
	s_delay_alu instid0(VALU_DEP_1)
	v_and_b32_e32 v6, 7, v6
; %bb.646:                              ;   in Loop: Header=BB418_419 Depth=1
	s_or_b32 exec_lo, exec_lo, s15
	v_lshlrev_b32_e32 v7, 16, v9
	s_delay_alu instid0(VALU_DEP_2) | instskip(SKIP_1) | instid1(VALU_DEP_3)
	v_lshlrev_b32_e32 v6, 20, v6
	v_lshl_add_u32 v9, v84, 23, 0x3c000000
	v_and_b32_e32 v7, 0x80000000, v7
	s_delay_alu instid0(VALU_DEP_1)
	v_or3_b32 v6, v6, v7, v9
.LBB418_647:                            ;   in Loop: Header=BB418_419 Depth=1
	s_or_b32 exec_lo, exec_lo, s13
.LBB418_648:                            ;   in Loop: Header=BB418_419 Depth=1
	s_delay_alu instid0(SALU_CYCLE_1)
	s_or_b32 exec_lo, exec_lo, s12
.LBB418_649:                            ;   in Loop: Header=BB418_419 Depth=1
	s_delay_alu instid0(SALU_CYCLE_1) | instskip(NEXT) | instid1(VALU_DEP_1)
	s_or_b32 exec_lo, exec_lo, s9
	v_mul_f32_e32 v7, v25, v6
	s_delay_alu instid0(VALU_DEP_1) | instskip(NEXT) | instid1(VALU_DEP_1)
	v_and_b32_e32 v6, 0x7f800000, v7
	v_cmp_ne_u32_e64 s0, 0x7f800000, v6
                                        ; implicit-def: $vgpr6
	s_delay_alu instid0(VALU_DEP_1) | instskip(NEXT) | instid1(SALU_CYCLE_1)
	s_and_saveexec_b32 s9, s0
	s_xor_b32 s0, exec_lo, s9
; %bb.650:                              ;   in Loop: Header=BB418_419 Depth=1
	v_bfe_u32 v6, v7, 16, 1
	s_delay_alu instid0(VALU_DEP_1)
	v_add3_u32 v6, v7, v6, 0x7fff
                                        ; implicit-def: $vgpr7
; %bb.651:                              ;   in Loop: Header=BB418_419 Depth=1
	s_and_not1_saveexec_b32 s9, s0
; %bb.652:                              ;   in Loop: Header=BB418_419 Depth=1
	v_and_b32_e32 v6, 0xffff, v7
	v_or_b32_e32 v9, 0x10000, v7
	s_delay_alu instid0(VALU_DEP_2) | instskip(NEXT) | instid1(VALU_DEP_1)
	v_cmp_eq_u32_e64 s0, 0, v6
	v_cndmask_b32_e64 v6, v9, v7, s0
; %bb.653:                              ;   in Loop: Header=BB418_419 Depth=1
	s_or_b32 exec_lo, exec_lo, s9
	v_lshrrev_b32_e32 v7, 16, v3
	s_mov_b32 s9, exec_lo
	s_delay_alu instid0(VALU_DEP_1) | instskip(NEXT) | instid1(VALU_DEP_1)
	v_dual_mov_b32 v9, 0 :: v_dual_and_b32 v84, 0xff, v7
	v_cmpx_ne_u16_e32 0, v84
	s_cbranch_execz .LBB418_661
; %bb.654:                              ;   in Loop: Header=BB418_419 Depth=1
	v_bfrev_b32_e32 v9, 1
	s_mov_b32 s12, exec_lo
	v_cmpx_ne_u16_e32 0x80, v84
	s_cbranch_execz .LBB418_660
; %bb.655:                              ;   in Loop: Header=BB418_419 Depth=1
	v_bfe_u32 v85, v3, 16, 7
	v_mov_b32_e32 v9, 0x7f800001
	s_mov_b32 s13, exec_lo
	s_delay_alu instid0(VALU_DEP_2)
	v_cmpx_ne_u32_e32 0x7f, v85
	s_cbranch_execz .LBB418_659
; %bb.656:                              ;   in Loop: Header=BB418_419 Depth=1
	v_and_b32_e32 v9, 7, v7
	v_lshrrev_b32_e32 v84, 3, v85
	s_mov_b32 s15, exec_lo
	v_cmpx_gt_u32_e32 8, v85
; %bb.657:                              ;   in Loop: Header=BB418_419 Depth=1
	s_delay_alu instid0(VALU_DEP_3) | instskip(NEXT) | instid1(VALU_DEP_1)
	v_clz_i32_u32_e32 v84, v9
	v_min_u32_e32 v84, 32, v84
	s_delay_alu instid0(VALU_DEP_1) | instskip(SKIP_1) | instid1(VALU_DEP_2)
	v_subrev_nc_u32_e32 v85, 28, v84
	v_sub_nc_u32_e32 v84, 29, v84
	v_lshlrev_b64 v[85:86], v85, v[9:10]
	s_delay_alu instid0(VALU_DEP_1)
	v_and_b32_e32 v9, 7, v85
; %bb.658:                              ;   in Loop: Header=BB418_419 Depth=1
	s_or_b32 exec_lo, exec_lo, s15
	v_lshlrev_b32_e32 v7, 24, v7
	s_delay_alu instid0(VALU_DEP_2) | instskip(SKIP_1) | instid1(VALU_DEP_3)
	v_lshlrev_b32_e32 v9, 20, v9
	v_lshl_add_u32 v84, v84, 23, 0x3c000000
	v_and_b32_e32 v7, 0x80000000, v7
	s_delay_alu instid0(VALU_DEP_1)
	v_or3_b32 v9, v9, v7, v84
.LBB418_659:                            ;   in Loop: Header=BB418_419 Depth=1
	s_or_b32 exec_lo, exec_lo, s13
.LBB418_660:                            ;   in Loop: Header=BB418_419 Depth=1
	s_delay_alu instid0(SALU_CYCLE_1)
	s_or_b32 exec_lo, exec_lo, s12
.LBB418_661:                            ;   in Loop: Header=BB418_419 Depth=1
	s_delay_alu instid0(SALU_CYCLE_1) | instskip(NEXT) | instid1(VALU_DEP_1)
	s_or_b32 exec_lo, exec_lo, s9
	v_mul_f32_e32 v7, v25, v9
                                        ; implicit-def: $vgpr84
	s_delay_alu instid0(VALU_DEP_1) | instskip(NEXT) | instid1(VALU_DEP_1)
	v_and_b32_e32 v9, 0x7f800000, v7
	v_cmp_ne_u32_e64 s0, 0x7f800000, v9
	s_delay_alu instid0(VALU_DEP_1) | instskip(NEXT) | instid1(SALU_CYCLE_1)
	s_and_saveexec_b32 s9, s0
	s_xor_b32 s0, exec_lo, s9
; %bb.662:                              ;   in Loop: Header=BB418_419 Depth=1
	v_bfe_u32 v9, v7, 16, 1
	s_delay_alu instid0(VALU_DEP_1)
	v_add3_u32 v84, v7, v9, 0x7fff
                                        ; implicit-def: $vgpr7
; %bb.663:                              ;   in Loop: Header=BB418_419 Depth=1
	s_and_not1_saveexec_b32 s9, s0
; %bb.664:                              ;   in Loop: Header=BB418_419 Depth=1
	v_and_b32_e32 v9, 0xffff, v7
	v_or_b32_e32 v84, 0x10000, v7
	s_delay_alu instid0(VALU_DEP_2) | instskip(NEXT) | instid1(VALU_DEP_1)
	v_cmp_eq_u32_e64 s0, 0, v9
	v_cndmask_b32_e64 v84, v84, v7, s0
; %bb.665:                              ;   in Loop: Header=BB418_419 Depth=1
	s_or_b32 exec_lo, exec_lo, s9
	v_mov_b32_e32 v7, 0
	s_mov_b32 s9, exec_lo
	v_cmpx_lt_u64_e64 s[2:3], v[2:3]
	s_cbranch_execz .LBB418_673
; %bb.666:                              ;   in Loop: Header=BB418_419 Depth=1
	v_lshrrev_b32_e32 v2, 24, v3
	v_bfrev_b32_e32 v7, 1
	s_mov_b32 s12, exec_lo
	s_delay_alu instid0(VALU_DEP_2)
	v_cmpx_ne_u32_e32 0x80, v2
	s_cbranch_execz .LBB418_672
; %bb.667:                              ;   in Loop: Header=BB418_419 Depth=1
	v_bfe_u32 v85, v3, 24, 7
	v_mov_b32_e32 v7, 0x7f800001
	s_mov_b32 s13, exec_lo
	s_delay_alu instid0(VALU_DEP_2)
	v_cmpx_ne_u32_e32 0x7f, v85
	s_cbranch_execz .LBB418_671
; %bb.668:                              ;   in Loop: Header=BB418_419 Depth=1
	v_and_b32_e32 v9, 7, v2
	v_lshrrev_b32_e32 v3, 3, v85
	s_mov_b32 s15, exec_lo
	v_cmpx_gt_u32_e32 8, v85
; %bb.669:                              ;   in Loop: Header=BB418_419 Depth=1
	s_delay_alu instid0(VALU_DEP_3) | instskip(NEXT) | instid1(VALU_DEP_1)
	v_clz_i32_u32_e32 v3, v9
	v_min_u32_e32 v3, 32, v3
	s_delay_alu instid0(VALU_DEP_1) | instskip(SKIP_1) | instid1(VALU_DEP_2)
	v_subrev_nc_u32_e32 v7, 28, v3
	v_sub_nc_u32_e32 v3, 29, v3
	v_lshlrev_b64 v[85:86], v7, v[9:10]
	s_delay_alu instid0(VALU_DEP_1)
	v_and_b32_e32 v9, 7, v85
; %bb.670:                              ;   in Loop: Header=BB418_419 Depth=1
	s_or_b32 exec_lo, exec_lo, s15
	v_lshlrev_b32_e32 v2, 24, v2
	s_delay_alu instid0(VALU_DEP_2) | instskip(SKIP_1) | instid1(VALU_DEP_3)
	v_lshlrev_b32_e32 v7, 20, v9
	v_lshl_add_u32 v3, v3, 23, 0x3c000000
	v_and_b32_e32 v2, 0x80000000, v2
	s_delay_alu instid0(VALU_DEP_1)
	v_or3_b32 v7, v7, v2, v3
.LBB418_671:                            ;   in Loop: Header=BB418_419 Depth=1
	s_or_b32 exec_lo, exec_lo, s13
.LBB418_672:                            ;   in Loop: Header=BB418_419 Depth=1
	s_delay_alu instid0(SALU_CYCLE_1)
	s_or_b32 exec_lo, exec_lo, s12
.LBB418_673:                            ;   in Loop: Header=BB418_419 Depth=1
	s_delay_alu instid0(SALU_CYCLE_1) | instskip(NEXT) | instid1(VALU_DEP_1)
	s_or_b32 exec_lo, exec_lo, s9
	v_mul_f32_e32 v3, v25, v7
	s_delay_alu instid0(VALU_DEP_1) | instskip(NEXT) | instid1(VALU_DEP_1)
	v_and_b32_e32 v2, 0x7f800000, v3
	v_cmp_ne_u32_e64 s0, 0x7f800000, v2
                                        ; implicit-def: $vgpr2
	s_delay_alu instid0(VALU_DEP_1) | instskip(NEXT) | instid1(SALU_CYCLE_1)
	s_and_saveexec_b32 s9, s0
	s_xor_b32 s0, exec_lo, s9
; %bb.674:                              ;   in Loop: Header=BB418_419 Depth=1
	v_bfe_u32 v2, v3, 16, 1
	s_delay_alu instid0(VALU_DEP_1)
	v_add3_u32 v2, v3, v2, 0x7fff
                                        ; implicit-def: $vgpr3
; %bb.675:                              ;   in Loop: Header=BB418_419 Depth=1
	s_and_not1_saveexec_b32 s9, s0
; %bb.676:                              ;   in Loop: Header=BB418_419 Depth=1
	v_and_b32_e32 v2, 0xffff, v3
	v_or_b32_e32 v7, 0x10000, v3
	s_delay_alu instid0(VALU_DEP_2) | instskip(NEXT) | instid1(VALU_DEP_1)
	v_cmp_eq_u32_e64 s0, 0, v2
	v_cndmask_b32_e64 v2, v7, v3, s0
; %bb.677:                              ;   in Loop: Header=BB418_419 Depth=1
	s_or_b32 exec_lo, exec_lo, s9
	v_lshrrev_b32_e32 v6, 16, v6
	v_lshrrev_b32_e32 v7, 16, v83
	;; [unrolled: 1-line block ×8, first 2 shown]
	s_and_saveexec_b32 s9, vcc_lo
	s_cbranch_execz .LBB418_679
; %bb.678:                              ;   in Loop: Header=BB418_419 Depth=1
	v_cmp_lt_i32_e64 s0, v48, v32
	s_delay_alu instid0(VALU_DEP_1) | instskip(SKIP_1) | instid1(VALU_DEP_1)
	v_cndmask_b32_e64 v71, 0, v71, s0
	v_cmp_lt_i32_e64 s0, v54, v32
	v_cndmask_b32_e64 v80, 0, v80, s0
	v_cmp_lt_i32_e64 s0, v53, v32
	s_delay_alu instid0(VALU_DEP_1) | instskip(SKIP_1) | instid1(VALU_DEP_1)
	v_cndmask_b32_e64 v81, 0, v81, s0
	v_cmp_lt_i32_e64 s0, v52, v32
	v_cndmask_b32_e64 v9, 0, v9, s0
	;; [unrolled: 5-line block ×4, first 2 shown]
.LBB418_679:                            ;   in Loop: Header=BB418_419 Depth=1
	s_or_b32 exec_lo, exec_lo, s9
	v_lshlrev_b32_e32 v71, 16, v71
	s_delay_alu instid0(VALU_DEP_1) | instskip(NEXT) | instid1(VALU_DEP_1)
	v_mul_f32_e32 v82, v55, v71
	v_and_b32_e32 v71, 0x7f800000, v82
	s_delay_alu instid0(VALU_DEP_1) | instskip(NEXT) | instid1(VALU_DEP_1)
	v_cmp_ne_u32_e64 s0, 0x7f800000, v71
                                        ; implicit-def: $vgpr71
	s_and_saveexec_b32 s9, s0
	s_delay_alu instid0(SALU_CYCLE_1)
	s_xor_b32 s0, exec_lo, s9
; %bb.680:                              ;   in Loop: Header=BB418_419 Depth=1
	v_bfe_u32 v71, v82, 16, 1
	s_delay_alu instid0(VALU_DEP_1)
	v_add3_u32 v71, v82, v71, 0x7fff
                                        ; implicit-def: $vgpr82
; %bb.681:                              ;   in Loop: Header=BB418_419 Depth=1
	s_and_not1_saveexec_b32 s9, s0
; %bb.682:                              ;   in Loop: Header=BB418_419 Depth=1
	v_and_b32_e32 v71, 0xffff, v82
	v_or_b32_e32 v83, 0x10000, v82
	s_delay_alu instid0(VALU_DEP_2) | instskip(NEXT) | instid1(VALU_DEP_1)
	v_cmp_eq_u32_e64 s0, 0, v71
	v_cndmask_b32_e64 v71, v83, v82, s0
; %bb.683:                              ;   in Loop: Header=BB418_419 Depth=1
	s_or_b32 exec_lo, exec_lo, s9
	v_lshlrev_b32_e32 v80, 16, v80
	s_delay_alu instid0(VALU_DEP_1) | instskip(NEXT) | instid1(VALU_DEP_1)
	v_mul_f32_e32 v82, v64, v80
	v_and_b32_e32 v80, 0x7f800000, v82
	s_delay_alu instid0(VALU_DEP_1) | instskip(NEXT) | instid1(VALU_DEP_1)
	v_cmp_ne_u32_e64 s0, 0x7f800000, v80
                                        ; implicit-def: $vgpr80
	s_and_saveexec_b32 s9, s0
	s_delay_alu instid0(SALU_CYCLE_1)
	s_xor_b32 s0, exec_lo, s9
; %bb.684:                              ;   in Loop: Header=BB418_419 Depth=1
	v_bfe_u32 v80, v82, 16, 1
	s_delay_alu instid0(VALU_DEP_1)
	v_add3_u32 v80, v82, v80, 0x7fff
                                        ; implicit-def: $vgpr82
; %bb.685:                              ;   in Loop: Header=BB418_419 Depth=1
	s_and_not1_saveexec_b32 s9, s0
; %bb.686:                              ;   in Loop: Header=BB418_419 Depth=1
	v_and_b32_e32 v80, 0xffff, v82
	v_or_b32_e32 v83, 0x10000, v82
	s_delay_alu instid0(VALU_DEP_2) | instskip(NEXT) | instid1(VALU_DEP_1)
	v_cmp_eq_u32_e64 s0, 0, v80
	v_cndmask_b32_e64 v80, v83, v82, s0
; %bb.687:                              ;   in Loop: Header=BB418_419 Depth=1
	s_or_b32 exec_lo, exec_lo, s9
	v_lshlrev_b32_e32 v81, 16, v81
	s_delay_alu instid0(VALU_DEP_1) | instskip(NEXT) | instid1(VALU_DEP_1)
	v_mul_f32_e32 v82, v65, v81
	v_and_b32_e32 v81, 0x7f800000, v82
	s_delay_alu instid0(VALU_DEP_1) | instskip(NEXT) | instid1(VALU_DEP_1)
	v_cmp_ne_u32_e64 s0, 0x7f800000, v81
                                        ; implicit-def: $vgpr81
	s_and_saveexec_b32 s9, s0
	s_delay_alu instid0(SALU_CYCLE_1)
	s_xor_b32 s0, exec_lo, s9
; %bb.688:                              ;   in Loop: Header=BB418_419 Depth=1
	v_bfe_u32 v81, v82, 16, 1
	s_delay_alu instid0(VALU_DEP_1)
	v_add3_u32 v81, v82, v81, 0x7fff
                                        ; implicit-def: $vgpr82
; %bb.689:                              ;   in Loop: Header=BB418_419 Depth=1
	s_and_not1_saveexec_b32 s9, s0
; %bb.690:                              ;   in Loop: Header=BB418_419 Depth=1
	v_and_b32_e32 v81, 0xffff, v82
	v_or_b32_e32 v83, 0x10000, v82
	s_delay_alu instid0(VALU_DEP_2) | instskip(NEXT) | instid1(VALU_DEP_1)
	v_cmp_eq_u32_e64 s0, 0, v81
	v_cndmask_b32_e64 v81, v83, v82, s0
; %bb.691:                              ;   in Loop: Header=BB418_419 Depth=1
	s_or_b32 exec_lo, exec_lo, s9
	v_lshlrev_b32_e32 v9, 16, v9
	s_delay_alu instid0(VALU_DEP_1) | instskip(NEXT) | instid1(VALU_DEP_1)
	v_mul_f32_e32 v9, v66, v9
	v_and_b32_e32 v82, 0x7f800000, v9
	s_delay_alu instid0(VALU_DEP_1) | instskip(NEXT) | instid1(VALU_DEP_1)
	v_cmp_ne_u32_e64 s0, 0x7f800000, v82
                                        ; implicit-def: $vgpr82
	s_and_saveexec_b32 s9, s0
	s_delay_alu instid0(SALU_CYCLE_1)
	s_xor_b32 s0, exec_lo, s9
; %bb.692:                              ;   in Loop: Header=BB418_419 Depth=1
	v_bfe_u32 v82, v9, 16, 1
	s_delay_alu instid0(VALU_DEP_1)
	v_add3_u32 v82, v9, v82, 0x7fff
                                        ; implicit-def: $vgpr9
; %bb.693:                              ;   in Loop: Header=BB418_419 Depth=1
	s_and_not1_saveexec_b32 s9, s0
; %bb.694:                              ;   in Loop: Header=BB418_419 Depth=1
	v_and_b32_e32 v82, 0xffff, v9
	v_or_b32_e32 v83, 0x10000, v9
	s_delay_alu instid0(VALU_DEP_2) | instskip(NEXT) | instid1(VALU_DEP_1)
	v_cmp_eq_u32_e64 s0, 0, v82
	v_cndmask_b32_e64 v82, v83, v9, s0
; %bb.695:                              ;   in Loop: Header=BB418_419 Depth=1
	s_or_b32 exec_lo, exec_lo, s9
	v_lshlrev_b32_e32 v7, 16, v7
                                        ; implicit-def: $vgpr83
	s_delay_alu instid0(VALU_DEP_1) | instskip(NEXT) | instid1(VALU_DEP_1)
	v_mul_f32_e32 v7, v67, v7
	v_and_b32_e32 v9, 0x7f800000, v7
	s_delay_alu instid0(VALU_DEP_1) | instskip(NEXT) | instid1(VALU_DEP_1)
	v_cmp_ne_u32_e64 s0, 0x7f800000, v9
	s_and_saveexec_b32 s9, s0
	s_delay_alu instid0(SALU_CYCLE_1)
	s_xor_b32 s0, exec_lo, s9
; %bb.696:                              ;   in Loop: Header=BB418_419 Depth=1
	v_bfe_u32 v9, v7, 16, 1
	s_delay_alu instid0(VALU_DEP_1)
	v_add3_u32 v83, v7, v9, 0x7fff
                                        ; implicit-def: $vgpr7
; %bb.697:                              ;   in Loop: Header=BB418_419 Depth=1
	s_and_not1_saveexec_b32 s9, s0
; %bb.698:                              ;   in Loop: Header=BB418_419 Depth=1
	v_and_b32_e32 v9, 0xffff, v7
	v_or_b32_e32 v83, 0x10000, v7
	s_delay_alu instid0(VALU_DEP_2) | instskip(NEXT) | instid1(VALU_DEP_1)
	v_cmp_eq_u32_e64 s0, 0, v9
	v_cndmask_b32_e64 v83, v83, v7, s0
; %bb.699:                              ;   in Loop: Header=BB418_419 Depth=1
	s_or_b32 exec_lo, exec_lo, s9
	v_lshlrev_b32_e32 v6, 16, v6
                                        ; implicit-def: $vgpr84
	s_delay_alu instid0(VALU_DEP_1) | instskip(NEXT) | instid1(VALU_DEP_1)
	v_mul_f32_e32 v6, v68, v6
	v_and_b32_e32 v7, 0x7f800000, v6
	s_delay_alu instid0(VALU_DEP_1) | instskip(NEXT) | instid1(VALU_DEP_1)
	v_cmp_ne_u32_e64 s0, 0x7f800000, v7
	s_and_saveexec_b32 s9, s0
	s_delay_alu instid0(SALU_CYCLE_1)
	s_xor_b32 s0, exec_lo, s9
; %bb.700:                              ;   in Loop: Header=BB418_419 Depth=1
	v_bfe_u32 v7, v6, 16, 1
	s_delay_alu instid0(VALU_DEP_1)
	v_add3_u32 v84, v6, v7, 0x7fff
                                        ; implicit-def: $vgpr6
; %bb.701:                              ;   in Loop: Header=BB418_419 Depth=1
	s_and_not1_saveexec_b32 s9, s0
; %bb.702:                              ;   in Loop: Header=BB418_419 Depth=1
	v_and_b32_e32 v7, 0xffff, v6
	v_or_b32_e32 v9, 0x10000, v6
	s_delay_alu instid0(VALU_DEP_2) | instskip(NEXT) | instid1(VALU_DEP_1)
	v_cmp_eq_u32_e64 s0, 0, v7
	v_cndmask_b32_e64 v84, v9, v6, s0
; %bb.703:                              ;   in Loop: Header=BB418_419 Depth=1
	s_or_b32 exec_lo, exec_lo, s9
	v_lshlrev_b32_e32 v3, 16, v3
                                        ; implicit-def: $vgpr85
	s_delay_alu instid0(VALU_DEP_1) | instskip(NEXT) | instid1(VALU_DEP_1)
	v_mul_f32_e32 v3, v69, v3
	v_and_b32_e32 v6, 0x7f800000, v3
	s_delay_alu instid0(VALU_DEP_1) | instskip(NEXT) | instid1(VALU_DEP_1)
	v_cmp_ne_u32_e64 s0, 0x7f800000, v6
	s_and_saveexec_b32 s9, s0
	s_delay_alu instid0(SALU_CYCLE_1)
	s_xor_b32 s0, exec_lo, s9
; %bb.704:                              ;   in Loop: Header=BB418_419 Depth=1
	v_bfe_u32 v6, v3, 16, 1
	s_delay_alu instid0(VALU_DEP_1)
	v_add3_u32 v85, v3, v6, 0x7fff
                                        ; implicit-def: $vgpr3
; %bb.705:                              ;   in Loop: Header=BB418_419 Depth=1
	s_and_not1_saveexec_b32 s9, s0
; %bb.706:                              ;   in Loop: Header=BB418_419 Depth=1
	v_and_b32_e32 v6, 0xffff, v3
	v_or_b32_e32 v7, 0x10000, v3
	s_delay_alu instid0(VALU_DEP_2) | instskip(NEXT) | instid1(VALU_DEP_1)
	v_cmp_eq_u32_e64 s0, 0, v6
	v_cndmask_b32_e64 v85, v7, v3, s0
; %bb.707:                              ;   in Loop: Header=BB418_419 Depth=1
	s_or_b32 exec_lo, exec_lo, s9
	v_lshlrev_b32_e32 v2, 16, v2
                                        ; implicit-def: $vgpr86
	s_delay_alu instid0(VALU_DEP_1) | instskip(NEXT) | instid1(VALU_DEP_1)
	v_mul_f32_e32 v2, v70, v2
	v_and_b32_e32 v3, 0x7f800000, v2
	s_delay_alu instid0(VALU_DEP_1) | instskip(NEXT) | instid1(VALU_DEP_1)
	v_cmp_ne_u32_e64 s0, 0x7f800000, v3
	s_and_saveexec_b32 s9, s0
	s_delay_alu instid0(SALU_CYCLE_1)
	s_xor_b32 s0, exec_lo, s9
; %bb.708:                              ;   in Loop: Header=BB418_419 Depth=1
	v_bfe_u32 v3, v2, 16, 1
	s_delay_alu instid0(VALU_DEP_1)
	v_add3_u32 v86, v2, v3, 0x7fff
                                        ; implicit-def: $vgpr2
; %bb.709:                              ;   in Loop: Header=BB418_419 Depth=1
	s_and_not1_saveexec_b32 s9, s0
; %bb.710:                              ;   in Loop: Header=BB418_419 Depth=1
	v_and_b32_e32 v3, 0xffff, v2
	v_or_b32_e32 v6, 0x10000, v2
	s_delay_alu instid0(VALU_DEP_2) | instskip(NEXT) | instid1(VALU_DEP_1)
	v_cmp_eq_u32_e64 s0, 0, v3
	v_cndmask_b32_e64 v86, v6, v2, s0
; %bb.711:                              ;   in Loop: Header=BB418_419 Depth=1
	s_or_b32 exec_lo, exec_lo, s9
	flat_load_b64 v[2:3], v[0:1] offset:512
	s_mov_b32 s9, exec_lo
	s_waitcnt vmcnt(0) lgkmcnt(0)
	v_dual_mov_b32 v6, 0 :: v_dual_and_b32 v7, 0xff, v2
	s_delay_alu instid0(VALU_DEP_1)
	v_cmpx_ne_u16_e32 0, v7
	s_cbranch_execz .LBB418_719
; %bb.712:                              ;   in Loop: Header=BB418_419 Depth=1
	v_bfrev_b32_e32 v6, 1
	s_mov_b32 s12, exec_lo
	v_cmpx_ne_u16_e32 0x80, v7
	s_cbranch_execz .LBB418_718
; %bb.713:                              ;   in Loop: Header=BB418_419 Depth=1
	v_and_b32_e32 v7, 0x7f, v2
	v_mov_b32_e32 v6, 0x7f800001
	s_mov_b32 s13, exec_lo
	s_delay_alu instid0(VALU_DEP_2)
	v_cmpx_ne_u32_e32 0x7f, v7
	s_cbranch_execz .LBB418_717
; %bb.714:                              ;   in Loop: Header=BB418_419 Depth=1
	v_lshrrev_b32_e32 v9, 3, v7
	v_cmp_gt_u32_e64 s0, 8, v7
	v_dual_mov_b32 v7, v3 :: v_dual_mov_b32 v6, v2
	s_delay_alu instid0(VALU_DEP_2)
	s_and_saveexec_b32 s15, s0
; %bb.715:                              ;   in Loop: Header=BB418_419 Depth=1
	v_and_b32_e32 v6, 7, v2
	s_delay_alu instid0(VALU_DEP_1) | instskip(NEXT) | instid1(VALU_DEP_1)
	v_clz_i32_u32_e32 v6, v6
	v_min_u32_e32 v9, 32, v6
	s_delay_alu instid0(VALU_DEP_1) | instskip(SKIP_1) | instid1(VALU_DEP_2)
	v_subrev_nc_u32_e32 v6, 28, v9
	v_sub_nc_u32_e32 v9, 29, v9
	v_lshlrev_b64 v[6:7], v6, v[2:3]
; %bb.716:                              ;   in Loop: Header=BB418_419 Depth=1
	s_or_b32 exec_lo, exec_lo, s15
	s_delay_alu instid0(VALU_DEP_1) | instskip(SKIP_2) | instid1(VALU_DEP_3)
	v_lshlrev_b32_e32 v6, 20, v6
	v_lshlrev_b32_e32 v7, 24, v2
	v_lshl_add_u32 v9, v9, 23, 0x3c000000
	v_and_b32_e32 v6, 0x700000, v6
	s_delay_alu instid0(VALU_DEP_3) | instskip(NEXT) | instid1(VALU_DEP_1)
	v_and_b32_e32 v7, 0x80000000, v7
	v_or3_b32 v6, v6, v7, v9
.LBB418_717:                            ;   in Loop: Header=BB418_419 Depth=1
	s_or_b32 exec_lo, exec_lo, s13
.LBB418_718:                            ;   in Loop: Header=BB418_419 Depth=1
	s_delay_alu instid0(SALU_CYCLE_1)
	s_or_b32 exec_lo, exec_lo, s12
.LBB418_719:                            ;   in Loop: Header=BB418_419 Depth=1
	s_delay_alu instid0(SALU_CYCLE_1) | instskip(NEXT) | instid1(VALU_DEP_1)
	s_or_b32 exec_lo, exec_lo, s9
	v_mul_f32_e32 v6, v25, v6
                                        ; implicit-def: $vgpr87
	s_delay_alu instid0(VALU_DEP_1) | instskip(NEXT) | instid1(VALU_DEP_1)
	v_and_b32_e32 v7, 0x7f800000, v6
	v_cmp_ne_u32_e64 s0, 0x7f800000, v7
	s_delay_alu instid0(VALU_DEP_1) | instskip(NEXT) | instid1(SALU_CYCLE_1)
	s_and_saveexec_b32 s9, s0
	s_xor_b32 s0, exec_lo, s9
; %bb.720:                              ;   in Loop: Header=BB418_419 Depth=1
	v_bfe_u32 v7, v6, 16, 1
	s_delay_alu instid0(VALU_DEP_1)
	v_add3_u32 v87, v6, v7, 0x7fff
                                        ; implicit-def: $vgpr6
; %bb.721:                              ;   in Loop: Header=BB418_419 Depth=1
	s_and_not1_saveexec_b32 s9, s0
; %bb.722:                              ;   in Loop: Header=BB418_419 Depth=1
	v_and_b32_e32 v7, 0xffff, v6
	v_or_b32_e32 v9, 0x10000, v6
	s_delay_alu instid0(VALU_DEP_2) | instskip(NEXT) | instid1(VALU_DEP_1)
	v_cmp_eq_u32_e64 s0, 0, v7
	v_cndmask_b32_e64 v87, v9, v6, s0
; %bb.723:                              ;   in Loop: Header=BB418_419 Depth=1
	s_or_b32 exec_lo, exec_lo, s9
	v_lshrrev_b16 v7, 8, v2
	v_mov_b32_e32 v6, 0
	s_mov_b32 s9, exec_lo
	s_delay_alu instid0(VALU_DEP_2)
	v_cmpx_ne_u16_e32 0, v7
	s_cbranch_execz .LBB418_731
; %bb.724:                              ;   in Loop: Header=BB418_419 Depth=1
	v_bfrev_b32_e32 v6, 1
	s_mov_b32 s12, exec_lo
	v_cmpx_ne_u16_e32 0x80, v7
	s_cbranch_execz .LBB418_730
; %bb.725:                              ;   in Loop: Header=BB418_419 Depth=1
	v_and_b32_e32 v9, 0xffff, v7
	v_mov_b32_e32 v6, 0x7f800001
	s_mov_b32 s13, exec_lo
	s_delay_alu instid0(VALU_DEP_2) | instskip(NEXT) | instid1(VALU_DEP_1)
	v_and_b32_e32 v7, 0x7f, v9
	v_cmpx_ne_u32_e32 0x7f, v7
	s_cbranch_execz .LBB418_729
; %bb.726:                              ;   in Loop: Header=BB418_419 Depth=1
	v_and_b32_e32 v9, 7, v9
	v_lshrrev_b32_e32 v6, 3, v7
	s_mov_b32 s15, exec_lo
	v_cmpx_gt_u32_e32 8, v7
; %bb.727:                              ;   in Loop: Header=BB418_419 Depth=1
	s_delay_alu instid0(VALU_DEP_3) | instskip(NEXT) | instid1(VALU_DEP_1)
	v_clz_i32_u32_e32 v6, v9
	v_min_u32_e32 v6, 32, v6
	s_delay_alu instid0(VALU_DEP_1) | instskip(SKIP_1) | instid1(VALU_DEP_2)
	v_subrev_nc_u32_e32 v7, 28, v6
	v_sub_nc_u32_e32 v6, 29, v6
	v_lshlrev_b64 v[96:97], v7, v[9:10]
	s_delay_alu instid0(VALU_DEP_1)
	v_and_b32_e32 v9, 7, v96
; %bb.728:                              ;   in Loop: Header=BB418_419 Depth=1
	s_or_b32 exec_lo, exec_lo, s15
	v_lshlrev_b32_e32 v7, 16, v2
	s_delay_alu instid0(VALU_DEP_2) | instskip(SKIP_1) | instid1(VALU_DEP_3)
	v_lshlrev_b32_e32 v9, 20, v9
	v_lshl_add_u32 v6, v6, 23, 0x3c000000
	v_and_b32_e32 v7, 0x80000000, v7
	s_delay_alu instid0(VALU_DEP_1)
	v_or3_b32 v6, v9, v7, v6
.LBB418_729:                            ;   in Loop: Header=BB418_419 Depth=1
	s_or_b32 exec_lo, exec_lo, s13
.LBB418_730:                            ;   in Loop: Header=BB418_419 Depth=1
	s_delay_alu instid0(SALU_CYCLE_1)
	s_or_b32 exec_lo, exec_lo, s12
.LBB418_731:                            ;   in Loop: Header=BB418_419 Depth=1
	s_delay_alu instid0(SALU_CYCLE_1) | instskip(NEXT) | instid1(VALU_DEP_1)
	s_or_b32 exec_lo, exec_lo, s9
	v_mul_f32_e32 v6, v25, v6
                                        ; implicit-def: $vgpr96
	s_delay_alu instid0(VALU_DEP_1) | instskip(NEXT) | instid1(VALU_DEP_1)
	v_and_b32_e32 v7, 0x7f800000, v6
	v_cmp_ne_u32_e64 s0, 0x7f800000, v7
	s_delay_alu instid0(VALU_DEP_1) | instskip(NEXT) | instid1(SALU_CYCLE_1)
	s_and_saveexec_b32 s9, s0
	s_xor_b32 s0, exec_lo, s9
; %bb.732:                              ;   in Loop: Header=BB418_419 Depth=1
	v_bfe_u32 v7, v6, 16, 1
	s_delay_alu instid0(VALU_DEP_1)
	v_add3_u32 v96, v6, v7, 0x7fff
                                        ; implicit-def: $vgpr6
; %bb.733:                              ;   in Loop: Header=BB418_419 Depth=1
	s_and_not1_saveexec_b32 s9, s0
; %bb.734:                              ;   in Loop: Header=BB418_419 Depth=1
	v_and_b32_e32 v7, 0xffff, v6
	v_or_b32_e32 v9, 0x10000, v6
	s_delay_alu instid0(VALU_DEP_2) | instskip(NEXT) | instid1(VALU_DEP_1)
	v_cmp_eq_u32_e64 s0, 0, v7
	v_cndmask_b32_e64 v96, v9, v6, s0
; %bb.735:                              ;   in Loop: Header=BB418_419 Depth=1
	s_or_b32 exec_lo, exec_lo, s9
	v_lshrrev_b32_e32 v6, 16, v2
	v_mov_b32_e32 v7, 0
	s_mov_b32 s9, exec_lo
	s_delay_alu instid0(VALU_DEP_2) | instskip(NEXT) | instid1(VALU_DEP_1)
	v_and_b32_e32 v9, 0xff, v6
	v_cmpx_ne_u16_e32 0, v9
	s_cbranch_execz .LBB418_743
; %bb.736:                              ;   in Loop: Header=BB418_419 Depth=1
	v_bfrev_b32_e32 v7, 1
	s_mov_b32 s12, exec_lo
	v_cmpx_ne_u16_e32 0x80, v9
	s_cbranch_execz .LBB418_742
; %bb.737:                              ;   in Loop: Header=BB418_419 Depth=1
	v_bfe_u32 v97, v2, 16, 7
	v_mov_b32_e32 v7, 0x7f800001
	s_mov_b32 s13, exec_lo
	s_delay_alu instid0(VALU_DEP_2)
	v_cmpx_ne_u32_e32 0x7f, v97
	s_cbranch_execz .LBB418_741
; %bb.738:                              ;   in Loop: Header=BB418_419 Depth=1
	v_and_b32_e32 v9, 7, v6
	v_lshrrev_b32_e32 v7, 3, v97
	s_mov_b32 s15, exec_lo
	v_cmpx_gt_u32_e32 8, v97
; %bb.739:                              ;   in Loop: Header=BB418_419 Depth=1
	s_delay_alu instid0(VALU_DEP_3) | instskip(NEXT) | instid1(VALU_DEP_1)
	v_clz_i32_u32_e32 v7, v9
	v_min_u32_e32 v7, 32, v7
	s_delay_alu instid0(VALU_DEP_1) | instskip(SKIP_1) | instid1(VALU_DEP_2)
	v_subrev_nc_u32_e32 v97, 28, v7
	v_sub_nc_u32_e32 v7, 29, v7
	v_lshlrev_b64 v[97:98], v97, v[9:10]
	s_delay_alu instid0(VALU_DEP_1)
	v_and_b32_e32 v9, 7, v97
; %bb.740:                              ;   in Loop: Header=BB418_419 Depth=1
	s_or_b32 exec_lo, exec_lo, s15
	v_lshlrev_b32_e32 v6, 24, v6
	s_delay_alu instid0(VALU_DEP_2) | instskip(SKIP_1) | instid1(VALU_DEP_3)
	v_lshlrev_b32_e32 v9, 20, v9
	v_lshl_add_u32 v7, v7, 23, 0x3c000000
	v_and_b32_e32 v6, 0x80000000, v6
	s_delay_alu instid0(VALU_DEP_1)
	v_or3_b32 v7, v9, v6, v7
.LBB418_741:                            ;   in Loop: Header=BB418_419 Depth=1
	s_or_b32 exec_lo, exec_lo, s13
.LBB418_742:                            ;   in Loop: Header=BB418_419 Depth=1
	s_delay_alu instid0(SALU_CYCLE_1)
	s_or_b32 exec_lo, exec_lo, s12
.LBB418_743:                            ;   in Loop: Header=BB418_419 Depth=1
	s_delay_alu instid0(SALU_CYCLE_1) | instskip(NEXT) | instid1(VALU_DEP_1)
	s_or_b32 exec_lo, exec_lo, s9
	v_mul_f32_e32 v6, v25, v7
                                        ; implicit-def: $vgpr97
	s_delay_alu instid0(VALU_DEP_1) | instskip(NEXT) | instid1(VALU_DEP_1)
	v_and_b32_e32 v7, 0x7f800000, v6
	v_cmp_ne_u32_e64 s0, 0x7f800000, v7
	s_delay_alu instid0(VALU_DEP_1) | instskip(NEXT) | instid1(SALU_CYCLE_1)
	s_and_saveexec_b32 s9, s0
	s_xor_b32 s0, exec_lo, s9
; %bb.744:                              ;   in Loop: Header=BB418_419 Depth=1
	v_bfe_u32 v7, v6, 16, 1
	s_delay_alu instid0(VALU_DEP_1)
	v_add3_u32 v97, v6, v7, 0x7fff
                                        ; implicit-def: $vgpr6
; %bb.745:                              ;   in Loop: Header=BB418_419 Depth=1
	s_and_not1_saveexec_b32 s9, s0
; %bb.746:                              ;   in Loop: Header=BB418_419 Depth=1
	v_and_b32_e32 v7, 0xffff, v6
	v_or_b32_e32 v9, 0x10000, v6
	s_delay_alu instid0(VALU_DEP_2) | instskip(NEXT) | instid1(VALU_DEP_1)
	v_cmp_eq_u32_e64 s0, 0, v7
	v_cndmask_b32_e64 v97, v9, v6, s0
; %bb.747:                              ;   in Loop: Header=BB418_419 Depth=1
	s_or_b32 exec_lo, exec_lo, s9
	v_mov_b32_e32 v7, 0
	s_mov_b32 s9, exec_lo
	v_cmpx_lt_u32_e32 0xffffff, v2
	s_cbranch_execz .LBB418_755
; %bb.748:                              ;   in Loop: Header=BB418_419 Depth=1
	v_lshrrev_b32_e32 v6, 24, v2
	v_bfrev_b32_e32 v7, 1
	s_mov_b32 s12, exec_lo
	s_delay_alu instid0(VALU_DEP_2)
	v_cmpx_ne_u32_e32 0x80, v6
	s_cbranch_execz .LBB418_754
; %bb.749:                              ;   in Loop: Header=BB418_419 Depth=1
	v_bfe_u32 v98, v2, 24, 7
	v_mov_b32_e32 v7, 0x7f800001
	s_mov_b32 s13, exec_lo
	s_delay_alu instid0(VALU_DEP_2)
	v_cmpx_ne_u32_e32 0x7f, v98
	s_cbranch_execz .LBB418_753
; %bb.750:                              ;   in Loop: Header=BB418_419 Depth=1
	v_and_b32_e32 v9, 7, v6
	v_lshrrev_b32_e32 v7, 3, v98
	s_mov_b32 s15, exec_lo
	v_cmpx_gt_u32_e32 8, v98
; %bb.751:                              ;   in Loop: Header=BB418_419 Depth=1
	s_delay_alu instid0(VALU_DEP_3) | instskip(NEXT) | instid1(VALU_DEP_1)
	v_clz_i32_u32_e32 v7, v9
	v_min_u32_e32 v7, 32, v7
	s_delay_alu instid0(VALU_DEP_1) | instskip(SKIP_1) | instid1(VALU_DEP_2)
	v_subrev_nc_u32_e32 v98, 28, v7
	v_sub_nc_u32_e32 v7, 29, v7
	v_lshlrev_b64 v[98:99], v98, v[9:10]
	s_delay_alu instid0(VALU_DEP_1)
	v_and_b32_e32 v9, 7, v98
; %bb.752:                              ;   in Loop: Header=BB418_419 Depth=1
	s_or_b32 exec_lo, exec_lo, s15
	v_lshlrev_b32_e32 v6, 24, v6
	s_delay_alu instid0(VALU_DEP_2) | instskip(SKIP_1) | instid1(VALU_DEP_3)
	v_lshlrev_b32_e32 v9, 20, v9
	v_lshl_add_u32 v7, v7, 23, 0x3c000000
	v_and_b32_e32 v6, 0x80000000, v6
	s_delay_alu instid0(VALU_DEP_1)
	v_or3_b32 v7, v9, v6, v7
.LBB418_753:                            ;   in Loop: Header=BB418_419 Depth=1
	s_or_b32 exec_lo, exec_lo, s13
.LBB418_754:                            ;   in Loop: Header=BB418_419 Depth=1
	s_delay_alu instid0(SALU_CYCLE_1)
	s_or_b32 exec_lo, exec_lo, s12
.LBB418_755:                            ;   in Loop: Header=BB418_419 Depth=1
	s_delay_alu instid0(SALU_CYCLE_1) | instskip(NEXT) | instid1(VALU_DEP_1)
	s_or_b32 exec_lo, exec_lo, s9
	v_mul_f32_e32 v6, v25, v7
                                        ; implicit-def: $vgpr98
	s_delay_alu instid0(VALU_DEP_1) | instskip(NEXT) | instid1(VALU_DEP_1)
	v_and_b32_e32 v7, 0x7f800000, v6
	v_cmp_ne_u32_e64 s0, 0x7f800000, v7
	s_delay_alu instid0(VALU_DEP_1) | instskip(NEXT) | instid1(SALU_CYCLE_1)
	s_and_saveexec_b32 s9, s0
	s_xor_b32 s0, exec_lo, s9
; %bb.756:                              ;   in Loop: Header=BB418_419 Depth=1
	v_bfe_u32 v7, v6, 16, 1
	s_delay_alu instid0(VALU_DEP_1)
	v_add3_u32 v98, v6, v7, 0x7fff
                                        ; implicit-def: $vgpr6
; %bb.757:                              ;   in Loop: Header=BB418_419 Depth=1
	s_and_not1_saveexec_b32 s9, s0
; %bb.758:                              ;   in Loop: Header=BB418_419 Depth=1
	v_and_b32_e32 v7, 0xffff, v6
	v_or_b32_e32 v9, 0x10000, v6
	s_delay_alu instid0(VALU_DEP_2) | instskip(NEXT) | instid1(VALU_DEP_1)
	v_cmp_eq_u32_e64 s0, 0, v7
	v_cndmask_b32_e64 v98, v9, v6, s0
; %bb.759:                              ;   in Loop: Header=BB418_419 Depth=1
	s_or_b32 exec_lo, exec_lo, s9
	v_dual_mov_b32 v6, 0 :: v_dual_and_b32 v7, 0xff, v3
	v_mov_b32_e32 v9, v3
	s_mov_b32 s9, exec_lo
	s_delay_alu instid0(VALU_DEP_2)
	v_cmpx_ne_u16_e32 0, v7
	s_cbranch_execz .LBB418_767
; %bb.760:                              ;   in Loop: Header=BB418_419 Depth=1
	v_bfrev_b32_e32 v6, 1
	s_mov_b32 s12, exec_lo
	v_cmpx_ne_u16_e32 0x80, v7
	s_cbranch_execz .LBB418_766
; %bb.761:                              ;   in Loop: Header=BB418_419 Depth=1
	v_and_b32_e32 v7, 0x7f, v3
	v_mov_b32_e32 v6, 0x7f800001
	s_mov_b32 s13, exec_lo
	s_delay_alu instid0(VALU_DEP_2)
	v_cmpx_ne_u32_e32 0x7f, v7
	s_cbranch_execz .LBB418_765
; %bb.762:                              ;   in Loop: Header=BB418_419 Depth=1
	v_lshrrev_b32_e32 v99, 3, v7
	v_cmp_gt_u32_e64 s0, 8, v7
	v_dual_mov_b32 v6, v9 :: v_dual_mov_b32 v7, v10
	s_delay_alu instid0(VALU_DEP_2)
	s_and_saveexec_b32 s15, s0
; %bb.763:                              ;   in Loop: Header=BB418_419 Depth=1
	v_and_b32_e32 v6, 7, v3
	s_delay_alu instid0(VALU_DEP_1) | instskip(NEXT) | instid1(VALU_DEP_1)
	v_clz_i32_u32_e32 v6, v6
	v_min_u32_e32 v99, 32, v6
	s_delay_alu instid0(VALU_DEP_1) | instskip(SKIP_1) | instid1(VALU_DEP_2)
	v_subrev_nc_u32_e32 v6, 28, v99
	v_sub_nc_u32_e32 v99, 29, v99
	v_lshlrev_b64 v[6:7], v6, v[9:10]
; %bb.764:                              ;   in Loop: Header=BB418_419 Depth=1
	s_or_b32 exec_lo, exec_lo, s15
	s_delay_alu instid0(VALU_DEP_1) | instskip(SKIP_2) | instid1(VALU_DEP_3)
	v_lshlrev_b32_e32 v6, 20, v6
	v_lshlrev_b32_e32 v7, 24, v9
	v_lshl_add_u32 v99, v99, 23, 0x3c000000
	v_and_b32_e32 v6, 0x700000, v6
	s_delay_alu instid0(VALU_DEP_3) | instskip(NEXT) | instid1(VALU_DEP_1)
	v_and_b32_e32 v7, 0x80000000, v7
	v_or3_b32 v6, v6, v7, v99
.LBB418_765:                            ;   in Loop: Header=BB418_419 Depth=1
	s_or_b32 exec_lo, exec_lo, s13
.LBB418_766:                            ;   in Loop: Header=BB418_419 Depth=1
	s_delay_alu instid0(SALU_CYCLE_1)
	s_or_b32 exec_lo, exec_lo, s12
.LBB418_767:                            ;   in Loop: Header=BB418_419 Depth=1
	s_delay_alu instid0(SALU_CYCLE_1) | instskip(NEXT) | instid1(VALU_DEP_1)
	s_or_b32 exec_lo, exec_lo, s9
	v_mul_f32_e32 v6, v25, v6
                                        ; implicit-def: $vgpr99
	s_delay_alu instid0(VALU_DEP_1) | instskip(NEXT) | instid1(VALU_DEP_1)
	v_and_b32_e32 v7, 0x7f800000, v6
	v_cmp_ne_u32_e64 s0, 0x7f800000, v7
	s_delay_alu instid0(VALU_DEP_1) | instskip(NEXT) | instid1(SALU_CYCLE_1)
	s_and_saveexec_b32 s9, s0
	s_xor_b32 s0, exec_lo, s9
; %bb.768:                              ;   in Loop: Header=BB418_419 Depth=1
	v_bfe_u32 v7, v6, 16, 1
	s_delay_alu instid0(VALU_DEP_1)
	v_add3_u32 v99, v6, v7, 0x7fff
                                        ; implicit-def: $vgpr6
; %bb.769:                              ;   in Loop: Header=BB418_419 Depth=1
	s_and_not1_saveexec_b32 s9, s0
; %bb.770:                              ;   in Loop: Header=BB418_419 Depth=1
	v_and_b32_e32 v7, 0xffff, v6
	v_or_b32_e32 v99, 0x10000, v6
	s_delay_alu instid0(VALU_DEP_2) | instskip(NEXT) | instid1(VALU_DEP_1)
	v_cmp_eq_u32_e64 s0, 0, v7
	v_cndmask_b32_e64 v99, v99, v6, s0
; %bb.771:                              ;   in Loop: Header=BB418_419 Depth=1
	s_or_b32 exec_lo, exec_lo, s9
	v_lshrrev_b16 v7, 8, v9
	v_mov_b32_e32 v6, 0
	s_mov_b32 s9, exec_lo
	s_delay_alu instid0(VALU_DEP_2)
	v_cmpx_ne_u16_e32 0, v7
	s_cbranch_execz .LBB418_779
; %bb.772:                              ;   in Loop: Header=BB418_419 Depth=1
	v_bfrev_b32_e32 v6, 1
	s_mov_b32 s12, exec_lo
	v_cmpx_ne_u16_e32 0x80, v7
	s_cbranch_execz .LBB418_778
; %bb.773:                              ;   in Loop: Header=BB418_419 Depth=1
	v_and_b32_e32 v7, 0xffff, v7
	v_mov_b32_e32 v6, 0x7f800001
	s_mov_b32 s13, exec_lo
	s_delay_alu instid0(VALU_DEP_2) | instskip(NEXT) | instid1(VALU_DEP_1)
	v_and_b32_e32 v101, 0x7f, v7
	v_cmpx_ne_u32_e32 0x7f, v101
	s_cbranch_execz .LBB418_777
; %bb.774:                              ;   in Loop: Header=BB418_419 Depth=1
	v_dual_mov_b32 v7, v10 :: v_dual_and_b32 v6, 7, v7
	v_lshrrev_b32_e32 v100, 3, v101
	s_mov_b32 s15, exec_lo
	v_cmpx_gt_u32_e32 8, v101
; %bb.775:                              ;   in Loop: Header=BB418_419 Depth=1
	s_delay_alu instid0(VALU_DEP_3) | instskip(NEXT) | instid1(VALU_DEP_1)
	v_clz_i32_u32_e32 v100, v6
	v_min_u32_e32 v100, 32, v100
	s_delay_alu instid0(VALU_DEP_1) | instskip(SKIP_1) | instid1(VALU_DEP_2)
	v_subrev_nc_u32_e32 v101, 28, v100
	v_sub_nc_u32_e32 v100, 29, v100
	v_lshlrev_b64 v[6:7], v101, v[6:7]
	s_delay_alu instid0(VALU_DEP_1)
	v_and_b32_e32 v6, 7, v6
; %bb.776:                              ;   in Loop: Header=BB418_419 Depth=1
	s_or_b32 exec_lo, exec_lo, s15
	v_lshlrev_b32_e32 v7, 16, v9
	s_delay_alu instid0(VALU_DEP_2) | instskip(SKIP_1) | instid1(VALU_DEP_3)
	v_lshlrev_b32_e32 v6, 20, v6
	v_lshl_add_u32 v9, v100, 23, 0x3c000000
	v_and_b32_e32 v7, 0x80000000, v7
	s_delay_alu instid0(VALU_DEP_1)
	v_or3_b32 v6, v6, v7, v9
.LBB418_777:                            ;   in Loop: Header=BB418_419 Depth=1
	s_or_b32 exec_lo, exec_lo, s13
.LBB418_778:                            ;   in Loop: Header=BB418_419 Depth=1
	s_delay_alu instid0(SALU_CYCLE_1)
	s_or_b32 exec_lo, exec_lo, s12
.LBB418_779:                            ;   in Loop: Header=BB418_419 Depth=1
	s_delay_alu instid0(SALU_CYCLE_1) | instskip(NEXT) | instid1(VALU_DEP_1)
	s_or_b32 exec_lo, exec_lo, s9
	v_mul_f32_e32 v7, v25, v6
	s_delay_alu instid0(VALU_DEP_1) | instskip(NEXT) | instid1(VALU_DEP_1)
	v_and_b32_e32 v6, 0x7f800000, v7
	v_cmp_ne_u32_e64 s0, 0x7f800000, v6
                                        ; implicit-def: $vgpr6
	s_delay_alu instid0(VALU_DEP_1) | instskip(NEXT) | instid1(SALU_CYCLE_1)
	s_and_saveexec_b32 s9, s0
	s_xor_b32 s0, exec_lo, s9
; %bb.780:                              ;   in Loop: Header=BB418_419 Depth=1
	v_bfe_u32 v6, v7, 16, 1
	s_delay_alu instid0(VALU_DEP_1)
	v_add3_u32 v6, v7, v6, 0x7fff
                                        ; implicit-def: $vgpr7
; %bb.781:                              ;   in Loop: Header=BB418_419 Depth=1
	s_and_not1_saveexec_b32 s9, s0
; %bb.782:                              ;   in Loop: Header=BB418_419 Depth=1
	v_and_b32_e32 v6, 0xffff, v7
	v_or_b32_e32 v9, 0x10000, v7
	s_delay_alu instid0(VALU_DEP_2) | instskip(NEXT) | instid1(VALU_DEP_1)
	v_cmp_eq_u32_e64 s0, 0, v6
	v_cndmask_b32_e64 v6, v9, v7, s0
; %bb.783:                              ;   in Loop: Header=BB418_419 Depth=1
	s_or_b32 exec_lo, exec_lo, s9
	v_lshrrev_b32_e32 v7, 16, v3
	s_mov_b32 s9, exec_lo
	s_delay_alu instid0(VALU_DEP_1) | instskip(NEXT) | instid1(VALU_DEP_1)
	v_dual_mov_b32 v9, 0 :: v_dual_and_b32 v100, 0xff, v7
	v_cmpx_ne_u16_e32 0, v100
	s_cbranch_execz .LBB418_791
; %bb.784:                              ;   in Loop: Header=BB418_419 Depth=1
	v_bfrev_b32_e32 v9, 1
	s_mov_b32 s12, exec_lo
	v_cmpx_ne_u16_e32 0x80, v100
	s_cbranch_execz .LBB418_790
; %bb.785:                              ;   in Loop: Header=BB418_419 Depth=1
	v_bfe_u32 v101, v3, 16, 7
	v_mov_b32_e32 v9, 0x7f800001
	s_mov_b32 s13, exec_lo
	s_delay_alu instid0(VALU_DEP_2)
	v_cmpx_ne_u32_e32 0x7f, v101
	s_cbranch_execz .LBB418_789
; %bb.786:                              ;   in Loop: Header=BB418_419 Depth=1
	v_and_b32_e32 v9, 7, v7
	v_lshrrev_b32_e32 v100, 3, v101
	s_mov_b32 s15, exec_lo
	v_cmpx_gt_u32_e32 8, v101
; %bb.787:                              ;   in Loop: Header=BB418_419 Depth=1
	s_delay_alu instid0(VALU_DEP_3) | instskip(NEXT) | instid1(VALU_DEP_1)
	v_clz_i32_u32_e32 v100, v9
	v_min_u32_e32 v100, 32, v100
	s_delay_alu instid0(VALU_DEP_1) | instskip(SKIP_1) | instid1(VALU_DEP_2)
	v_subrev_nc_u32_e32 v101, 28, v100
	v_sub_nc_u32_e32 v100, 29, v100
	v_lshlrev_b64 v[101:102], v101, v[9:10]
	s_delay_alu instid0(VALU_DEP_1)
	v_and_b32_e32 v9, 7, v101
; %bb.788:                              ;   in Loop: Header=BB418_419 Depth=1
	s_or_b32 exec_lo, exec_lo, s15
	v_lshlrev_b32_e32 v7, 24, v7
	s_delay_alu instid0(VALU_DEP_2) | instskip(SKIP_1) | instid1(VALU_DEP_3)
	v_lshlrev_b32_e32 v9, 20, v9
	v_lshl_add_u32 v100, v100, 23, 0x3c000000
	v_and_b32_e32 v7, 0x80000000, v7
	s_delay_alu instid0(VALU_DEP_1)
	v_or3_b32 v9, v9, v7, v100
.LBB418_789:                            ;   in Loop: Header=BB418_419 Depth=1
	s_or_b32 exec_lo, exec_lo, s13
.LBB418_790:                            ;   in Loop: Header=BB418_419 Depth=1
	s_delay_alu instid0(SALU_CYCLE_1)
	s_or_b32 exec_lo, exec_lo, s12
.LBB418_791:                            ;   in Loop: Header=BB418_419 Depth=1
	s_delay_alu instid0(SALU_CYCLE_1) | instskip(NEXT) | instid1(VALU_DEP_1)
	s_or_b32 exec_lo, exec_lo, s9
	v_mul_f32_e32 v9, v25, v9
	s_delay_alu instid0(VALU_DEP_1) | instskip(NEXT) | instid1(VALU_DEP_1)
	v_and_b32_e32 v7, 0x7f800000, v9
	v_cmp_ne_u32_e64 s0, 0x7f800000, v7
                                        ; implicit-def: $vgpr7
	s_delay_alu instid0(VALU_DEP_1) | instskip(NEXT) | instid1(SALU_CYCLE_1)
	s_and_saveexec_b32 s9, s0
	s_xor_b32 s0, exec_lo, s9
; %bb.792:                              ;   in Loop: Header=BB418_419 Depth=1
	v_bfe_u32 v7, v9, 16, 1
	s_delay_alu instid0(VALU_DEP_1)
	v_add3_u32 v7, v9, v7, 0x7fff
                                        ; implicit-def: $vgpr9
; %bb.793:                              ;   in Loop: Header=BB418_419 Depth=1
	s_and_not1_saveexec_b32 s9, s0
; %bb.794:                              ;   in Loop: Header=BB418_419 Depth=1
	v_and_b32_e32 v7, 0xffff, v9
	v_or_b32_e32 v100, 0x10000, v9
	s_delay_alu instid0(VALU_DEP_2) | instskip(NEXT) | instid1(VALU_DEP_1)
	v_cmp_eq_u32_e64 s0, 0, v7
	v_cndmask_b32_e64 v7, v100, v9, s0
; %bb.795:                              ;   in Loop: Header=BB418_419 Depth=1
	s_or_b32 exec_lo, exec_lo, s9
	v_mov_b32_e32 v9, 0
	s_mov_b32 s9, exec_lo
	v_cmpx_lt_u64_e64 s[2:3], v[2:3]
	s_cbranch_execz .LBB418_803
; %bb.796:                              ;   in Loop: Header=BB418_419 Depth=1
	v_lshrrev_b32_e32 v2, 24, v3
	v_bfrev_b32_e32 v9, 1
	s_mov_b32 s12, exec_lo
	s_delay_alu instid0(VALU_DEP_2)
	v_cmpx_ne_u32_e32 0x80, v2
	s_cbranch_execz .LBB418_802
; %bb.797:                              ;   in Loop: Header=BB418_419 Depth=1
	v_bfe_u32 v100, v3, 24, 7
	v_mov_b32_e32 v9, 0x7f800001
	s_mov_b32 s13, exec_lo
	s_delay_alu instid0(VALU_DEP_2)
	v_cmpx_ne_u32_e32 0x7f, v100
	s_cbranch_execz .LBB418_801
; %bb.798:                              ;   in Loop: Header=BB418_419 Depth=1
	v_and_b32_e32 v9, 7, v2
	v_lshrrev_b32_e32 v3, 3, v100
	s_mov_b32 s15, exec_lo
	v_cmpx_gt_u32_e32 8, v100
; %bb.799:                              ;   in Loop: Header=BB418_419 Depth=1
	s_delay_alu instid0(VALU_DEP_3) | instskip(NEXT) | instid1(VALU_DEP_1)
	v_clz_i32_u32_e32 v3, v9
	v_min_u32_e32 v3, 32, v3
	s_delay_alu instid0(VALU_DEP_1) | instskip(SKIP_1) | instid1(VALU_DEP_2)
	v_subrev_nc_u32_e32 v100, 28, v3
	v_sub_nc_u32_e32 v3, 29, v3
	v_lshlrev_b64 v[100:101], v100, v[9:10]
	s_delay_alu instid0(VALU_DEP_1)
	v_and_b32_e32 v9, 7, v100
; %bb.800:                              ;   in Loop: Header=BB418_419 Depth=1
	s_or_b32 exec_lo, exec_lo, s15
	v_lshlrev_b32_e32 v2, 24, v2
	s_delay_alu instid0(VALU_DEP_2) | instskip(SKIP_1) | instid1(VALU_DEP_3)
	v_lshlrev_b32_e32 v9, 20, v9
	v_lshl_add_u32 v3, v3, 23, 0x3c000000
	v_and_b32_e32 v2, 0x80000000, v2
	s_delay_alu instid0(VALU_DEP_1)
	v_or3_b32 v9, v9, v2, v3
.LBB418_801:                            ;   in Loop: Header=BB418_419 Depth=1
	s_or_b32 exec_lo, exec_lo, s13
.LBB418_802:                            ;   in Loop: Header=BB418_419 Depth=1
	s_delay_alu instid0(SALU_CYCLE_1)
	s_or_b32 exec_lo, exec_lo, s12
.LBB418_803:                            ;   in Loop: Header=BB418_419 Depth=1
	s_delay_alu instid0(SALU_CYCLE_1) | instskip(NEXT) | instid1(VALU_DEP_1)
	s_or_b32 exec_lo, exec_lo, s9
	v_mul_f32_e32 v3, v25, v9
	s_delay_alu instid0(VALU_DEP_1) | instskip(NEXT) | instid1(VALU_DEP_1)
	v_and_b32_e32 v2, 0x7f800000, v3
	v_cmp_ne_u32_e64 s0, 0x7f800000, v2
                                        ; implicit-def: $vgpr2
	s_delay_alu instid0(VALU_DEP_1) | instskip(NEXT) | instid1(SALU_CYCLE_1)
	s_and_saveexec_b32 s9, s0
	s_xor_b32 s0, exec_lo, s9
; %bb.804:                              ;   in Loop: Header=BB418_419 Depth=1
	v_bfe_u32 v2, v3, 16, 1
	s_delay_alu instid0(VALU_DEP_1)
	v_add3_u32 v2, v3, v2, 0x7fff
                                        ; implicit-def: $vgpr3
; %bb.805:                              ;   in Loop: Header=BB418_419 Depth=1
	s_and_not1_saveexec_b32 s9, s0
; %bb.806:                              ;   in Loop: Header=BB418_419 Depth=1
	v_and_b32_e32 v2, 0xffff, v3
	v_or_b32_e32 v9, 0x10000, v3
	s_delay_alu instid0(VALU_DEP_2) | instskip(NEXT) | instid1(VALU_DEP_1)
	v_cmp_eq_u32_e64 s0, 0, v2
	v_cndmask_b32_e64 v2, v9, v3, s0
; %bb.807:                              ;   in Loop: Header=BB418_419 Depth=1
	s_or_b32 exec_lo, exec_lo, s9
	v_lshrrev_b32_e32 v9, 16, v6
	v_lshrrev_b32_e32 v99, 16, v99
	v_lshrrev_b32_e32 v98, 16, v98
	v_lshrrev_b32_e32 v97, 16, v97
	v_lshrrev_b32_e32 v96, 16, v96
	v_lshrrev_b32_e32 v6, 16, v87
	v_lshrrev_b32_e32 v3, 16, v7
	v_lshrrev_b32_e32 v2, 16, v2
	s_and_saveexec_b32 s9, vcc_lo
	s_cbranch_execz .LBB418_809
; %bb.808:                              ;   in Loop: Header=BB418_419 Depth=1
	v_cmp_lt_i32_e64 s0, v48, v32
	s_delay_alu instid0(VALU_DEP_1) | instskip(SKIP_1) | instid1(VALU_DEP_1)
	v_cndmask_b32_e64 v6, 0, v6, s0
	v_cmp_lt_i32_e64 s0, v54, v32
	v_cndmask_b32_e64 v96, 0, v96, s0
	v_cmp_lt_i32_e64 s0, v53, v32
	s_delay_alu instid0(VALU_DEP_1) | instskip(SKIP_1) | instid1(VALU_DEP_1)
	v_cndmask_b32_e64 v97, 0, v97, s0
	v_cmp_lt_i32_e64 s0, v52, v32
	v_cndmask_b32_e64 v98, 0, v98, s0
	;; [unrolled: 5-line block ×4, first 2 shown]
.LBB418_809:                            ;   in Loop: Header=BB418_419 Depth=1
	s_or_b32 exec_lo, exec_lo, s9
	v_lshlrev_b32_e32 v6, 16, v6
	s_delay_alu instid0(VALU_DEP_1) | instskip(NEXT) | instid1(VALU_DEP_1)
	v_mul_f32_e32 v7, v55, v6
	v_and_b32_e32 v6, 0x7f800000, v7
	s_delay_alu instid0(VALU_DEP_1) | instskip(NEXT) | instid1(VALU_DEP_1)
	v_cmp_ne_u32_e64 s0, 0x7f800000, v6
                                        ; implicit-def: $vgpr6
	s_and_saveexec_b32 s9, s0
	s_delay_alu instid0(SALU_CYCLE_1)
	s_xor_b32 s0, exec_lo, s9
; %bb.810:                              ;   in Loop: Header=BB418_419 Depth=1
	v_bfe_u32 v6, v7, 16, 1
	s_delay_alu instid0(VALU_DEP_1)
	v_add3_u32 v6, v7, v6, 0x7fff
                                        ; implicit-def: $vgpr7
; %bb.811:                              ;   in Loop: Header=BB418_419 Depth=1
	s_and_not1_saveexec_b32 s9, s0
; %bb.812:                              ;   in Loop: Header=BB418_419 Depth=1
	v_and_b32_e32 v6, 0xffff, v7
	v_or_b32_e32 v87, 0x10000, v7
	s_delay_alu instid0(VALU_DEP_2) | instskip(NEXT) | instid1(VALU_DEP_1)
	v_cmp_eq_u32_e64 s0, 0, v6
	v_cndmask_b32_e64 v6, v87, v7, s0
; %bb.813:                              ;   in Loop: Header=BB418_419 Depth=1
	s_or_b32 exec_lo, exec_lo, s9
	v_lshlrev_b32_e32 v7, 16, v96
	s_delay_alu instid0(VALU_DEP_1) | instskip(NEXT) | instid1(VALU_DEP_1)
	v_mul_f32_e32 v87, v64, v7
	v_and_b32_e32 v7, 0x7f800000, v87
	s_delay_alu instid0(VALU_DEP_1) | instskip(NEXT) | instid1(VALU_DEP_1)
	v_cmp_ne_u32_e64 s0, 0x7f800000, v7
                                        ; implicit-def: $vgpr7
	s_and_saveexec_b32 s9, s0
	s_delay_alu instid0(SALU_CYCLE_1)
	s_xor_b32 s0, exec_lo, s9
; %bb.814:                              ;   in Loop: Header=BB418_419 Depth=1
	v_bfe_u32 v7, v87, 16, 1
	s_delay_alu instid0(VALU_DEP_1)
	v_add3_u32 v7, v87, v7, 0x7fff
                                        ; implicit-def: $vgpr87
; %bb.815:                              ;   in Loop: Header=BB418_419 Depth=1
	s_and_not1_saveexec_b32 s9, s0
; %bb.816:                              ;   in Loop: Header=BB418_419 Depth=1
	v_and_b32_e32 v7, 0xffff, v87
	v_or_b32_e32 v96, 0x10000, v87
	s_delay_alu instid0(VALU_DEP_2) | instskip(NEXT) | instid1(VALU_DEP_1)
	v_cmp_eq_u32_e64 s0, 0, v7
	v_cndmask_b32_e64 v7, v96, v87, s0
; %bb.817:                              ;   in Loop: Header=BB418_419 Depth=1
	s_or_b32 exec_lo, exec_lo, s9
	v_lshlrev_b32_e32 v87, 16, v97
	s_delay_alu instid0(VALU_DEP_1) | instskip(NEXT) | instid1(VALU_DEP_1)
	v_mul_f32_e32 v96, v65, v87
	v_and_b32_e32 v87, 0x7f800000, v96
	s_delay_alu instid0(VALU_DEP_1) | instskip(NEXT) | instid1(VALU_DEP_1)
	v_cmp_ne_u32_e64 s0, 0x7f800000, v87
                                        ; implicit-def: $vgpr87
	s_and_saveexec_b32 s9, s0
	s_delay_alu instid0(SALU_CYCLE_1)
	s_xor_b32 s0, exec_lo, s9
; %bb.818:                              ;   in Loop: Header=BB418_419 Depth=1
	v_bfe_u32 v87, v96, 16, 1
	s_delay_alu instid0(VALU_DEP_1)
	v_add3_u32 v87, v96, v87, 0x7fff
                                        ; implicit-def: $vgpr96
; %bb.819:                              ;   in Loop: Header=BB418_419 Depth=1
	s_and_not1_saveexec_b32 s9, s0
; %bb.820:                              ;   in Loop: Header=BB418_419 Depth=1
	v_and_b32_e32 v87, 0xffff, v96
	v_or_b32_e32 v97, 0x10000, v96
	s_delay_alu instid0(VALU_DEP_2) | instskip(NEXT) | instid1(VALU_DEP_1)
	v_cmp_eq_u32_e64 s0, 0, v87
	v_cndmask_b32_e64 v87, v97, v96, s0
; %bb.821:                              ;   in Loop: Header=BB418_419 Depth=1
	s_or_b32 exec_lo, exec_lo, s9
	v_lshlrev_b32_e32 v96, 16, v98
	s_delay_alu instid0(VALU_DEP_1) | instskip(NEXT) | instid1(VALU_DEP_1)
	v_mul_f32_e32 v97, v66, v96
	v_and_b32_e32 v96, 0x7f800000, v97
	s_delay_alu instid0(VALU_DEP_1) | instskip(NEXT) | instid1(VALU_DEP_1)
	v_cmp_ne_u32_e64 s0, 0x7f800000, v96
                                        ; implicit-def: $vgpr96
	s_and_saveexec_b32 s9, s0
	s_delay_alu instid0(SALU_CYCLE_1)
	s_xor_b32 s0, exec_lo, s9
; %bb.822:                              ;   in Loop: Header=BB418_419 Depth=1
	v_bfe_u32 v96, v97, 16, 1
	s_delay_alu instid0(VALU_DEP_1)
	v_add3_u32 v96, v97, v96, 0x7fff
                                        ; implicit-def: $vgpr97
; %bb.823:                              ;   in Loop: Header=BB418_419 Depth=1
	s_and_not1_saveexec_b32 s9, s0
; %bb.824:                              ;   in Loop: Header=BB418_419 Depth=1
	v_and_b32_e32 v96, 0xffff, v97
	v_or_b32_e32 v98, 0x10000, v97
	s_delay_alu instid0(VALU_DEP_2) | instskip(NEXT) | instid1(VALU_DEP_1)
	v_cmp_eq_u32_e64 s0, 0, v96
	v_cndmask_b32_e64 v96, v98, v97, s0
; %bb.825:                              ;   in Loop: Header=BB418_419 Depth=1
	s_or_b32 exec_lo, exec_lo, s9
	v_lshlrev_b32_e32 v97, 16, v99
	s_delay_alu instid0(VALU_DEP_1) | instskip(NEXT) | instid1(VALU_DEP_1)
	v_mul_f32_e32 v98, v67, v97
	v_and_b32_e32 v97, 0x7f800000, v98
	s_delay_alu instid0(VALU_DEP_1) | instskip(NEXT) | instid1(VALU_DEP_1)
	v_cmp_ne_u32_e64 s0, 0x7f800000, v97
                                        ; implicit-def: $vgpr97
	s_and_saveexec_b32 s9, s0
	s_delay_alu instid0(SALU_CYCLE_1)
	s_xor_b32 s0, exec_lo, s9
; %bb.826:                              ;   in Loop: Header=BB418_419 Depth=1
	v_bfe_u32 v97, v98, 16, 1
	s_delay_alu instid0(VALU_DEP_1)
	v_add3_u32 v97, v98, v97, 0x7fff
                                        ; implicit-def: $vgpr98
; %bb.827:                              ;   in Loop: Header=BB418_419 Depth=1
	s_and_not1_saveexec_b32 s9, s0
; %bb.828:                              ;   in Loop: Header=BB418_419 Depth=1
	v_and_b32_e32 v97, 0xffff, v98
	v_or_b32_e32 v99, 0x10000, v98
	s_delay_alu instid0(VALU_DEP_2) | instskip(NEXT) | instid1(VALU_DEP_1)
	v_cmp_eq_u32_e64 s0, 0, v97
	v_cndmask_b32_e64 v97, v99, v98, s0
; %bb.829:                              ;   in Loop: Header=BB418_419 Depth=1
	s_or_b32 exec_lo, exec_lo, s9
	v_lshlrev_b32_e32 v9, 16, v9
	s_delay_alu instid0(VALU_DEP_1) | instskip(NEXT) | instid1(VALU_DEP_1)
	v_mul_f32_e32 v9, v68, v9
	v_and_b32_e32 v98, 0x7f800000, v9
	s_delay_alu instid0(VALU_DEP_1) | instskip(NEXT) | instid1(VALU_DEP_1)
	v_cmp_ne_u32_e64 s0, 0x7f800000, v98
                                        ; implicit-def: $vgpr98
	s_and_saveexec_b32 s9, s0
	s_delay_alu instid0(SALU_CYCLE_1)
	s_xor_b32 s0, exec_lo, s9
; %bb.830:                              ;   in Loop: Header=BB418_419 Depth=1
	v_bfe_u32 v98, v9, 16, 1
	s_delay_alu instid0(VALU_DEP_1)
	v_add3_u32 v98, v9, v98, 0x7fff
                                        ; implicit-def: $vgpr9
; %bb.831:                              ;   in Loop: Header=BB418_419 Depth=1
	s_and_not1_saveexec_b32 s9, s0
; %bb.832:                              ;   in Loop: Header=BB418_419 Depth=1
	v_and_b32_e32 v98, 0xffff, v9
	v_or_b32_e32 v99, 0x10000, v9
	s_delay_alu instid0(VALU_DEP_2) | instskip(NEXT) | instid1(VALU_DEP_1)
	v_cmp_eq_u32_e64 s0, 0, v98
	v_cndmask_b32_e64 v98, v99, v9, s0
; %bb.833:                              ;   in Loop: Header=BB418_419 Depth=1
	s_or_b32 exec_lo, exec_lo, s9
	v_lshlrev_b32_e32 v3, 16, v3
                                        ; implicit-def: $vgpr99
	s_delay_alu instid0(VALU_DEP_1) | instskip(NEXT) | instid1(VALU_DEP_1)
	v_mul_f32_e32 v3, v69, v3
	v_and_b32_e32 v9, 0x7f800000, v3
	s_delay_alu instid0(VALU_DEP_1) | instskip(NEXT) | instid1(VALU_DEP_1)
	v_cmp_ne_u32_e64 s0, 0x7f800000, v9
	s_and_saveexec_b32 s9, s0
	s_delay_alu instid0(SALU_CYCLE_1)
	s_xor_b32 s0, exec_lo, s9
; %bb.834:                              ;   in Loop: Header=BB418_419 Depth=1
	v_bfe_u32 v9, v3, 16, 1
	s_delay_alu instid0(VALU_DEP_1)
	v_add3_u32 v99, v3, v9, 0x7fff
                                        ; implicit-def: $vgpr3
; %bb.835:                              ;   in Loop: Header=BB418_419 Depth=1
	s_and_not1_saveexec_b32 s9, s0
; %bb.836:                              ;   in Loop: Header=BB418_419 Depth=1
	v_and_b32_e32 v9, 0xffff, v3
	v_or_b32_e32 v99, 0x10000, v3
	s_delay_alu instid0(VALU_DEP_2) | instskip(NEXT) | instid1(VALU_DEP_1)
	v_cmp_eq_u32_e64 s0, 0, v9
	v_cndmask_b32_e64 v99, v99, v3, s0
; %bb.837:                              ;   in Loop: Header=BB418_419 Depth=1
	s_or_b32 exec_lo, exec_lo, s9
	v_lshlrev_b32_e32 v2, 16, v2
                                        ; implicit-def: $vgpr100
	s_delay_alu instid0(VALU_DEP_1) | instskip(NEXT) | instid1(VALU_DEP_1)
	v_mul_f32_e32 v2, v70, v2
	v_and_b32_e32 v3, 0x7f800000, v2
	s_delay_alu instid0(VALU_DEP_1) | instskip(NEXT) | instid1(VALU_DEP_1)
	v_cmp_ne_u32_e64 s0, 0x7f800000, v3
	s_and_saveexec_b32 s9, s0
	s_delay_alu instid0(SALU_CYCLE_1)
	s_xor_b32 s0, exec_lo, s9
; %bb.838:                              ;   in Loop: Header=BB418_419 Depth=1
	v_bfe_u32 v3, v2, 16, 1
	s_delay_alu instid0(VALU_DEP_1)
	v_add3_u32 v100, v2, v3, 0x7fff
                                        ; implicit-def: $vgpr2
; %bb.839:                              ;   in Loop: Header=BB418_419 Depth=1
	s_and_not1_saveexec_b32 s9, s0
; %bb.840:                              ;   in Loop: Header=BB418_419 Depth=1
	v_and_b32_e32 v3, 0xffff, v2
	v_or_b32_e32 v9, 0x10000, v2
	s_delay_alu instid0(VALU_DEP_2) | instskip(NEXT) | instid1(VALU_DEP_1)
	v_cmp_eq_u32_e64 s0, 0, v3
	v_cndmask_b32_e64 v100, v9, v2, s0
; %bb.841:                              ;   in Loop: Header=BB418_419 Depth=1
	s_or_b32 exec_lo, exec_lo, s9
	flat_load_b64 v[0:1], v[0:1] offset:768
	s_mov_b32 s9, exec_lo
	s_waitcnt vmcnt(0) lgkmcnt(0)
	v_dual_mov_b32 v2, 0 :: v_dual_and_b32 v3, 0xff, v0
	s_delay_alu instid0(VALU_DEP_1)
	v_cmpx_ne_u16_e32 0, v3
	s_cbranch_execz .LBB418_849
; %bb.842:                              ;   in Loop: Header=BB418_419 Depth=1
	v_bfrev_b32_e32 v2, 1
	s_mov_b32 s12, exec_lo
	v_cmpx_ne_u16_e32 0x80, v3
	s_cbranch_execz .LBB418_848
; %bb.843:                              ;   in Loop: Header=BB418_419 Depth=1
	v_and_b32_e32 v3, 0x7f, v0
	v_mov_b32_e32 v2, 0x7f800001
	s_mov_b32 s13, exec_lo
	s_delay_alu instid0(VALU_DEP_2)
	v_cmpx_ne_u32_e32 0x7f, v3
	s_cbranch_execz .LBB418_847
; %bb.844:                              ;   in Loop: Header=BB418_419 Depth=1
	v_lshrrev_b32_e32 v9, 3, v3
	v_cmp_gt_u32_e64 s0, 8, v3
	v_dual_mov_b32 v3, v1 :: v_dual_mov_b32 v2, v0
	s_delay_alu instid0(VALU_DEP_2)
	s_and_saveexec_b32 s15, s0
; %bb.845:                              ;   in Loop: Header=BB418_419 Depth=1
	v_and_b32_e32 v2, 7, v0
	s_delay_alu instid0(VALU_DEP_1) | instskip(NEXT) | instid1(VALU_DEP_1)
	v_clz_i32_u32_e32 v2, v2
	v_min_u32_e32 v9, 32, v2
	s_delay_alu instid0(VALU_DEP_1) | instskip(SKIP_1) | instid1(VALU_DEP_2)
	v_subrev_nc_u32_e32 v2, 28, v9
	v_sub_nc_u32_e32 v9, 29, v9
	v_lshlrev_b64 v[2:3], v2, v[0:1]
; %bb.846:                              ;   in Loop: Header=BB418_419 Depth=1
	s_or_b32 exec_lo, exec_lo, s15
	s_delay_alu instid0(VALU_DEP_1) | instskip(SKIP_2) | instid1(VALU_DEP_3)
	v_lshlrev_b32_e32 v2, 20, v2
	v_lshlrev_b32_e32 v3, 24, v0
	v_lshl_add_u32 v9, v9, 23, 0x3c000000
	v_and_b32_e32 v2, 0x700000, v2
	s_delay_alu instid0(VALU_DEP_3) | instskip(NEXT) | instid1(VALU_DEP_1)
	v_and_b32_e32 v3, 0x80000000, v3
	v_or3_b32 v2, v2, v3, v9
.LBB418_847:                            ;   in Loop: Header=BB418_419 Depth=1
	s_or_b32 exec_lo, exec_lo, s13
.LBB418_848:                            ;   in Loop: Header=BB418_419 Depth=1
	s_delay_alu instid0(SALU_CYCLE_1)
	s_or_b32 exec_lo, exec_lo, s12
.LBB418_849:                            ;   in Loop: Header=BB418_419 Depth=1
	s_delay_alu instid0(SALU_CYCLE_1) | instskip(NEXT) | instid1(VALU_DEP_1)
	s_or_b32 exec_lo, exec_lo, s9
	v_mul_f32_e32 v2, v25, v2
                                        ; implicit-def: $vgpr101
	s_delay_alu instid0(VALU_DEP_1) | instskip(NEXT) | instid1(VALU_DEP_1)
	v_and_b32_e32 v3, 0x7f800000, v2
	v_cmp_ne_u32_e64 s0, 0x7f800000, v3
	s_delay_alu instid0(VALU_DEP_1) | instskip(NEXT) | instid1(SALU_CYCLE_1)
	s_and_saveexec_b32 s9, s0
	s_xor_b32 s0, exec_lo, s9
; %bb.850:                              ;   in Loop: Header=BB418_419 Depth=1
	v_bfe_u32 v3, v2, 16, 1
	s_delay_alu instid0(VALU_DEP_1)
	v_add3_u32 v101, v2, v3, 0x7fff
                                        ; implicit-def: $vgpr2
; %bb.851:                              ;   in Loop: Header=BB418_419 Depth=1
	s_and_not1_saveexec_b32 s9, s0
; %bb.852:                              ;   in Loop: Header=BB418_419 Depth=1
	v_and_b32_e32 v3, 0xffff, v2
	v_or_b32_e32 v9, 0x10000, v2
	s_delay_alu instid0(VALU_DEP_2) | instskip(NEXT) | instid1(VALU_DEP_1)
	v_cmp_eq_u32_e64 s0, 0, v3
	v_cndmask_b32_e64 v101, v9, v2, s0
; %bb.853:                              ;   in Loop: Header=BB418_419 Depth=1
	s_or_b32 exec_lo, exec_lo, s9
	v_lshrrev_b16 v3, 8, v0
	v_mov_b32_e32 v2, 0
	s_mov_b32 s9, exec_lo
	s_delay_alu instid0(VALU_DEP_2)
	v_cmpx_ne_u16_e32 0, v3
	s_cbranch_execz .LBB418_861
; %bb.854:                              ;   in Loop: Header=BB418_419 Depth=1
	v_bfrev_b32_e32 v2, 1
	s_mov_b32 s12, exec_lo
	v_cmpx_ne_u16_e32 0x80, v3
	s_cbranch_execz .LBB418_860
; %bb.855:                              ;   in Loop: Header=BB418_419 Depth=1
	v_and_b32_e32 v9, 0xffff, v3
	v_mov_b32_e32 v2, 0x7f800001
	s_mov_b32 s13, exec_lo
	s_delay_alu instid0(VALU_DEP_2) | instskip(NEXT) | instid1(VALU_DEP_1)
	v_and_b32_e32 v3, 0x7f, v9
	v_cmpx_ne_u32_e32 0x7f, v3
	s_cbranch_execz .LBB418_859
; %bb.856:                              ;   in Loop: Header=BB418_419 Depth=1
	v_and_b32_e32 v9, 7, v9
	v_lshrrev_b32_e32 v2, 3, v3
	s_mov_b32 s15, exec_lo
	v_cmpx_gt_u32_e32 8, v3
; %bb.857:                              ;   in Loop: Header=BB418_419 Depth=1
	s_delay_alu instid0(VALU_DEP_3) | instskip(NEXT) | instid1(VALU_DEP_1)
	v_clz_i32_u32_e32 v2, v9
	v_min_u32_e32 v2, 32, v2
	s_delay_alu instid0(VALU_DEP_1) | instskip(SKIP_1) | instid1(VALU_DEP_2)
	v_subrev_nc_u32_e32 v3, 28, v2
	v_sub_nc_u32_e32 v2, 29, v2
	v_lshlrev_b64 v[102:103], v3, v[9:10]
	s_delay_alu instid0(VALU_DEP_1)
	v_and_b32_e32 v9, 7, v102
; %bb.858:                              ;   in Loop: Header=BB418_419 Depth=1
	s_or_b32 exec_lo, exec_lo, s15
	v_lshlrev_b32_e32 v3, 16, v0
	s_delay_alu instid0(VALU_DEP_2) | instskip(SKIP_1) | instid1(VALU_DEP_3)
	v_lshlrev_b32_e32 v9, 20, v9
	v_lshl_add_u32 v2, v2, 23, 0x3c000000
	v_and_b32_e32 v3, 0x80000000, v3
	s_delay_alu instid0(VALU_DEP_1)
	v_or3_b32 v2, v9, v3, v2
.LBB418_859:                            ;   in Loop: Header=BB418_419 Depth=1
	s_or_b32 exec_lo, exec_lo, s13
.LBB418_860:                            ;   in Loop: Header=BB418_419 Depth=1
	s_delay_alu instid0(SALU_CYCLE_1)
	s_or_b32 exec_lo, exec_lo, s12
.LBB418_861:                            ;   in Loop: Header=BB418_419 Depth=1
	s_delay_alu instid0(SALU_CYCLE_1) | instskip(NEXT) | instid1(VALU_DEP_1)
	s_or_b32 exec_lo, exec_lo, s9
	v_mul_f32_e32 v2, v25, v2
                                        ; implicit-def: $vgpr102
	s_delay_alu instid0(VALU_DEP_1) | instskip(NEXT) | instid1(VALU_DEP_1)
	v_and_b32_e32 v3, 0x7f800000, v2
	v_cmp_ne_u32_e64 s0, 0x7f800000, v3
	s_delay_alu instid0(VALU_DEP_1) | instskip(NEXT) | instid1(SALU_CYCLE_1)
	s_and_saveexec_b32 s9, s0
	s_xor_b32 s0, exec_lo, s9
; %bb.862:                              ;   in Loop: Header=BB418_419 Depth=1
	v_bfe_u32 v3, v2, 16, 1
	s_delay_alu instid0(VALU_DEP_1)
	v_add3_u32 v102, v2, v3, 0x7fff
                                        ; implicit-def: $vgpr2
; %bb.863:                              ;   in Loop: Header=BB418_419 Depth=1
	s_and_not1_saveexec_b32 s9, s0
; %bb.864:                              ;   in Loop: Header=BB418_419 Depth=1
	v_and_b32_e32 v3, 0xffff, v2
	v_or_b32_e32 v9, 0x10000, v2
	s_delay_alu instid0(VALU_DEP_2) | instskip(NEXT) | instid1(VALU_DEP_1)
	v_cmp_eq_u32_e64 s0, 0, v3
	v_cndmask_b32_e64 v102, v9, v2, s0
; %bb.865:                              ;   in Loop: Header=BB418_419 Depth=1
	s_or_b32 exec_lo, exec_lo, s9
	v_lshrrev_b32_e32 v2, 16, v0
	v_mov_b32_e32 v3, 0
	s_mov_b32 s9, exec_lo
	s_delay_alu instid0(VALU_DEP_2) | instskip(NEXT) | instid1(VALU_DEP_1)
	v_and_b32_e32 v9, 0xff, v2
	v_cmpx_ne_u16_e32 0, v9
	s_cbranch_execz .LBB418_873
; %bb.866:                              ;   in Loop: Header=BB418_419 Depth=1
	v_bfrev_b32_e32 v3, 1
	s_mov_b32 s12, exec_lo
	v_cmpx_ne_u16_e32 0x80, v9
	s_cbranch_execz .LBB418_872
; %bb.867:                              ;   in Loop: Header=BB418_419 Depth=1
	v_bfe_u32 v103, v0, 16, 7
	v_mov_b32_e32 v3, 0x7f800001
	s_mov_b32 s13, exec_lo
	s_delay_alu instid0(VALU_DEP_2)
	v_cmpx_ne_u32_e32 0x7f, v103
	s_cbranch_execz .LBB418_871
; %bb.868:                              ;   in Loop: Header=BB418_419 Depth=1
	v_and_b32_e32 v9, 7, v2
	v_lshrrev_b32_e32 v3, 3, v103
	s_mov_b32 s15, exec_lo
	v_cmpx_gt_u32_e32 8, v103
; %bb.869:                              ;   in Loop: Header=BB418_419 Depth=1
	s_delay_alu instid0(VALU_DEP_3) | instskip(NEXT) | instid1(VALU_DEP_1)
	v_clz_i32_u32_e32 v3, v9
	v_min_u32_e32 v3, 32, v3
	s_delay_alu instid0(VALU_DEP_1) | instskip(SKIP_1) | instid1(VALU_DEP_2)
	v_subrev_nc_u32_e32 v103, 28, v3
	v_sub_nc_u32_e32 v3, 29, v3
	v_lshlrev_b64 v[112:113], v103, v[9:10]
	s_delay_alu instid0(VALU_DEP_1)
	v_and_b32_e32 v9, 7, v112
; %bb.870:                              ;   in Loop: Header=BB418_419 Depth=1
	s_or_b32 exec_lo, exec_lo, s15
	v_lshlrev_b32_e32 v2, 24, v2
	s_delay_alu instid0(VALU_DEP_2) | instskip(SKIP_1) | instid1(VALU_DEP_3)
	v_lshlrev_b32_e32 v9, 20, v9
	v_lshl_add_u32 v3, v3, 23, 0x3c000000
	v_and_b32_e32 v2, 0x80000000, v2
	s_delay_alu instid0(VALU_DEP_1)
	v_or3_b32 v3, v9, v2, v3
.LBB418_871:                            ;   in Loop: Header=BB418_419 Depth=1
	s_or_b32 exec_lo, exec_lo, s13
.LBB418_872:                            ;   in Loop: Header=BB418_419 Depth=1
	s_delay_alu instid0(SALU_CYCLE_1)
	s_or_b32 exec_lo, exec_lo, s12
.LBB418_873:                            ;   in Loop: Header=BB418_419 Depth=1
	s_delay_alu instid0(SALU_CYCLE_1) | instskip(NEXT) | instid1(VALU_DEP_1)
	s_or_b32 exec_lo, exec_lo, s9
	v_mul_f32_e32 v2, v25, v3
                                        ; implicit-def: $vgpr103
	s_delay_alu instid0(VALU_DEP_1) | instskip(NEXT) | instid1(VALU_DEP_1)
	v_and_b32_e32 v3, 0x7f800000, v2
	v_cmp_ne_u32_e64 s0, 0x7f800000, v3
	s_delay_alu instid0(VALU_DEP_1) | instskip(NEXT) | instid1(SALU_CYCLE_1)
	s_and_saveexec_b32 s9, s0
	s_xor_b32 s0, exec_lo, s9
; %bb.874:                              ;   in Loop: Header=BB418_419 Depth=1
	v_bfe_u32 v3, v2, 16, 1
	s_delay_alu instid0(VALU_DEP_1)
	v_add3_u32 v103, v2, v3, 0x7fff
                                        ; implicit-def: $vgpr2
; %bb.875:                              ;   in Loop: Header=BB418_419 Depth=1
	s_and_not1_saveexec_b32 s9, s0
; %bb.876:                              ;   in Loop: Header=BB418_419 Depth=1
	v_and_b32_e32 v3, 0xffff, v2
	v_or_b32_e32 v9, 0x10000, v2
	s_delay_alu instid0(VALU_DEP_2) | instskip(NEXT) | instid1(VALU_DEP_1)
	v_cmp_eq_u32_e64 s0, 0, v3
	v_cndmask_b32_e64 v103, v9, v2, s0
; %bb.877:                              ;   in Loop: Header=BB418_419 Depth=1
	s_or_b32 exec_lo, exec_lo, s9
	v_mov_b32_e32 v3, 0
	s_mov_b32 s9, exec_lo
	v_cmpx_lt_u32_e32 0xffffff, v0
	s_cbranch_execz .LBB418_885
; %bb.878:                              ;   in Loop: Header=BB418_419 Depth=1
	v_lshrrev_b32_e32 v2, 24, v0
	v_bfrev_b32_e32 v3, 1
	s_mov_b32 s12, exec_lo
	s_delay_alu instid0(VALU_DEP_2)
	v_cmpx_ne_u32_e32 0x80, v2
	s_cbranch_execz .LBB418_884
; %bb.879:                              ;   in Loop: Header=BB418_419 Depth=1
	v_bfe_u32 v112, v0, 24, 7
	v_mov_b32_e32 v3, 0x7f800001
	s_mov_b32 s13, exec_lo
	s_delay_alu instid0(VALU_DEP_2)
	v_cmpx_ne_u32_e32 0x7f, v112
	s_cbranch_execz .LBB418_883
; %bb.880:                              ;   in Loop: Header=BB418_419 Depth=1
	v_and_b32_e32 v9, 7, v2
	v_lshrrev_b32_e32 v3, 3, v112
	s_mov_b32 s15, exec_lo
	v_cmpx_gt_u32_e32 8, v112
; %bb.881:                              ;   in Loop: Header=BB418_419 Depth=1
	s_delay_alu instid0(VALU_DEP_3) | instskip(NEXT) | instid1(VALU_DEP_1)
	v_clz_i32_u32_e32 v3, v9
	v_min_u32_e32 v3, 32, v3
	s_delay_alu instid0(VALU_DEP_1) | instskip(SKIP_1) | instid1(VALU_DEP_2)
	v_subrev_nc_u32_e32 v112, 28, v3
	v_sub_nc_u32_e32 v3, 29, v3
	v_lshlrev_b64 v[112:113], v112, v[9:10]
	s_delay_alu instid0(VALU_DEP_1)
	v_and_b32_e32 v9, 7, v112
; %bb.882:                              ;   in Loop: Header=BB418_419 Depth=1
	s_or_b32 exec_lo, exec_lo, s15
	v_lshlrev_b32_e32 v2, 24, v2
	s_delay_alu instid0(VALU_DEP_2) | instskip(SKIP_1) | instid1(VALU_DEP_3)
	v_lshlrev_b32_e32 v9, 20, v9
	v_lshl_add_u32 v3, v3, 23, 0x3c000000
	v_and_b32_e32 v2, 0x80000000, v2
	s_delay_alu instid0(VALU_DEP_1)
	v_or3_b32 v3, v9, v2, v3
.LBB418_883:                            ;   in Loop: Header=BB418_419 Depth=1
	s_or_b32 exec_lo, exec_lo, s13
.LBB418_884:                            ;   in Loop: Header=BB418_419 Depth=1
	s_delay_alu instid0(SALU_CYCLE_1)
	s_or_b32 exec_lo, exec_lo, s12
.LBB418_885:                            ;   in Loop: Header=BB418_419 Depth=1
	s_delay_alu instid0(SALU_CYCLE_1) | instskip(NEXT) | instid1(VALU_DEP_1)
	s_or_b32 exec_lo, exec_lo, s9
	v_mul_f32_e32 v2, v25, v3
                                        ; implicit-def: $vgpr112
	s_delay_alu instid0(VALU_DEP_1) | instskip(NEXT) | instid1(VALU_DEP_1)
	v_and_b32_e32 v3, 0x7f800000, v2
	v_cmp_ne_u32_e64 s0, 0x7f800000, v3
	s_delay_alu instid0(VALU_DEP_1) | instskip(NEXT) | instid1(SALU_CYCLE_1)
	s_and_saveexec_b32 s9, s0
	s_xor_b32 s0, exec_lo, s9
; %bb.886:                              ;   in Loop: Header=BB418_419 Depth=1
	v_bfe_u32 v3, v2, 16, 1
	s_delay_alu instid0(VALU_DEP_1)
	v_add3_u32 v112, v2, v3, 0x7fff
                                        ; implicit-def: $vgpr2
; %bb.887:                              ;   in Loop: Header=BB418_419 Depth=1
	s_and_not1_saveexec_b32 s9, s0
; %bb.888:                              ;   in Loop: Header=BB418_419 Depth=1
	v_and_b32_e32 v3, 0xffff, v2
	v_or_b32_e32 v9, 0x10000, v2
	s_delay_alu instid0(VALU_DEP_2) | instskip(NEXT) | instid1(VALU_DEP_1)
	v_cmp_eq_u32_e64 s0, 0, v3
	v_cndmask_b32_e64 v112, v9, v2, s0
; %bb.889:                              ;   in Loop: Header=BB418_419 Depth=1
	s_or_b32 exec_lo, exec_lo, s9
	v_dual_mov_b32 v2, 0 :: v_dual_and_b32 v3, 0xff, v1
	v_mov_b32_e32 v9, v1
	s_mov_b32 s9, exec_lo
	s_delay_alu instid0(VALU_DEP_2)
	v_cmpx_ne_u16_e32 0, v3
	s_cbranch_execz .LBB418_897
; %bb.890:                              ;   in Loop: Header=BB418_419 Depth=1
	v_bfrev_b32_e32 v2, 1
	s_mov_b32 s12, exec_lo
	v_cmpx_ne_u16_e32 0x80, v3
	s_cbranch_execz .LBB418_896
; %bb.891:                              ;   in Loop: Header=BB418_419 Depth=1
	v_and_b32_e32 v3, 0x7f, v1
	v_mov_b32_e32 v2, 0x7f800001
	s_mov_b32 s13, exec_lo
	s_delay_alu instid0(VALU_DEP_2)
	v_cmpx_ne_u32_e32 0x7f, v3
	s_cbranch_execz .LBB418_895
; %bb.892:                              ;   in Loop: Header=BB418_419 Depth=1
	v_lshrrev_b32_e32 v113, 3, v3
	v_cmp_gt_u32_e64 s0, 8, v3
	v_dual_mov_b32 v2, v9 :: v_dual_mov_b32 v3, v10
	s_delay_alu instid0(VALU_DEP_2)
	s_and_saveexec_b32 s15, s0
; %bb.893:                              ;   in Loop: Header=BB418_419 Depth=1
	v_and_b32_e32 v2, 7, v1
	s_delay_alu instid0(VALU_DEP_1) | instskip(NEXT) | instid1(VALU_DEP_1)
	v_clz_i32_u32_e32 v2, v2
	v_min_u32_e32 v113, 32, v2
	s_delay_alu instid0(VALU_DEP_1) | instskip(SKIP_1) | instid1(VALU_DEP_2)
	v_subrev_nc_u32_e32 v2, 28, v113
	v_sub_nc_u32_e32 v113, 29, v113
	v_lshlrev_b64 v[2:3], v2, v[9:10]
; %bb.894:                              ;   in Loop: Header=BB418_419 Depth=1
	s_or_b32 exec_lo, exec_lo, s15
	s_delay_alu instid0(VALU_DEP_1) | instskip(SKIP_2) | instid1(VALU_DEP_3)
	v_lshlrev_b32_e32 v2, 20, v2
	v_lshlrev_b32_e32 v3, 24, v9
	v_lshl_add_u32 v113, v113, 23, 0x3c000000
	v_and_b32_e32 v2, 0x700000, v2
	s_delay_alu instid0(VALU_DEP_3) | instskip(NEXT) | instid1(VALU_DEP_1)
	v_and_b32_e32 v3, 0x80000000, v3
	v_or3_b32 v2, v2, v3, v113
.LBB418_895:                            ;   in Loop: Header=BB418_419 Depth=1
	s_or_b32 exec_lo, exec_lo, s13
.LBB418_896:                            ;   in Loop: Header=BB418_419 Depth=1
	s_delay_alu instid0(SALU_CYCLE_1)
	s_or_b32 exec_lo, exec_lo, s12
.LBB418_897:                            ;   in Loop: Header=BB418_419 Depth=1
	s_delay_alu instid0(SALU_CYCLE_1) | instskip(NEXT) | instid1(VALU_DEP_1)
	s_or_b32 exec_lo, exec_lo, s9
	v_mul_f32_e32 v2, v25, v2
                                        ; implicit-def: $vgpr113
	s_delay_alu instid0(VALU_DEP_1) | instskip(NEXT) | instid1(VALU_DEP_1)
	v_and_b32_e32 v3, 0x7f800000, v2
	v_cmp_ne_u32_e64 s0, 0x7f800000, v3
	s_delay_alu instid0(VALU_DEP_1) | instskip(NEXT) | instid1(SALU_CYCLE_1)
	s_and_saveexec_b32 s9, s0
	s_xor_b32 s0, exec_lo, s9
; %bb.898:                              ;   in Loop: Header=BB418_419 Depth=1
	v_bfe_u32 v3, v2, 16, 1
	s_delay_alu instid0(VALU_DEP_1)
	v_add3_u32 v113, v2, v3, 0x7fff
                                        ; implicit-def: $vgpr2
; %bb.899:                              ;   in Loop: Header=BB418_419 Depth=1
	s_and_not1_saveexec_b32 s9, s0
; %bb.900:                              ;   in Loop: Header=BB418_419 Depth=1
	v_and_b32_e32 v3, 0xffff, v2
	v_or_b32_e32 v113, 0x10000, v2
	s_delay_alu instid0(VALU_DEP_2) | instskip(NEXT) | instid1(VALU_DEP_1)
	v_cmp_eq_u32_e64 s0, 0, v3
	v_cndmask_b32_e64 v113, v113, v2, s0
; %bb.901:                              ;   in Loop: Header=BB418_419 Depth=1
	s_or_b32 exec_lo, exec_lo, s9
	v_lshrrev_b16 v3, 8, v9
	v_mov_b32_e32 v2, 0
	s_mov_b32 s9, exec_lo
	s_delay_alu instid0(VALU_DEP_2)
	v_cmpx_ne_u16_e32 0, v3
	s_cbranch_execz .LBB418_909
; %bb.902:                              ;   in Loop: Header=BB418_419 Depth=1
	v_bfrev_b32_e32 v2, 1
	s_mov_b32 s12, exec_lo
	v_cmpx_ne_u16_e32 0x80, v3
	s_cbranch_execz .LBB418_908
; %bb.903:                              ;   in Loop: Header=BB418_419 Depth=1
	v_and_b32_e32 v3, 0xffff, v3
	v_mov_b32_e32 v2, 0x7f800001
	s_mov_b32 s13, exec_lo
	s_delay_alu instid0(VALU_DEP_2) | instskip(NEXT) | instid1(VALU_DEP_1)
	v_and_b32_e32 v115, 0x7f, v3
	v_cmpx_ne_u32_e32 0x7f, v115
	s_cbranch_execz .LBB418_907
; %bb.904:                              ;   in Loop: Header=BB418_419 Depth=1
	v_dual_mov_b32 v3, v10 :: v_dual_and_b32 v2, 7, v3
	v_lshrrev_b32_e32 v114, 3, v115
	s_mov_b32 s15, exec_lo
	v_cmpx_gt_u32_e32 8, v115
; %bb.905:                              ;   in Loop: Header=BB418_419 Depth=1
	s_delay_alu instid0(VALU_DEP_3) | instskip(NEXT) | instid1(VALU_DEP_1)
	v_clz_i32_u32_e32 v114, v2
	v_min_u32_e32 v114, 32, v114
	s_delay_alu instid0(VALU_DEP_1) | instskip(SKIP_1) | instid1(VALU_DEP_2)
	v_subrev_nc_u32_e32 v115, 28, v114
	v_sub_nc_u32_e32 v114, 29, v114
	v_lshlrev_b64 v[2:3], v115, v[2:3]
	s_delay_alu instid0(VALU_DEP_1)
	v_and_b32_e32 v2, 7, v2
; %bb.906:                              ;   in Loop: Header=BB418_419 Depth=1
	s_or_b32 exec_lo, exec_lo, s15
	v_lshlrev_b32_e32 v3, 16, v9
	s_delay_alu instid0(VALU_DEP_2) | instskip(SKIP_1) | instid1(VALU_DEP_3)
	v_lshlrev_b32_e32 v2, 20, v2
	v_lshl_add_u32 v9, v114, 23, 0x3c000000
	v_and_b32_e32 v3, 0x80000000, v3
	s_delay_alu instid0(VALU_DEP_1)
	v_or3_b32 v2, v2, v3, v9
.LBB418_907:                            ;   in Loop: Header=BB418_419 Depth=1
	s_or_b32 exec_lo, exec_lo, s13
.LBB418_908:                            ;   in Loop: Header=BB418_419 Depth=1
	s_delay_alu instid0(SALU_CYCLE_1)
	s_or_b32 exec_lo, exec_lo, s12
.LBB418_909:                            ;   in Loop: Header=BB418_419 Depth=1
	s_delay_alu instid0(SALU_CYCLE_1) | instskip(NEXT) | instid1(VALU_DEP_1)
	s_or_b32 exec_lo, exec_lo, s9
	v_mul_f32_e32 v3, v25, v2
	s_delay_alu instid0(VALU_DEP_1) | instskip(NEXT) | instid1(VALU_DEP_1)
	v_and_b32_e32 v2, 0x7f800000, v3
	v_cmp_ne_u32_e64 s0, 0x7f800000, v2
                                        ; implicit-def: $vgpr2
	s_delay_alu instid0(VALU_DEP_1) | instskip(NEXT) | instid1(SALU_CYCLE_1)
	s_and_saveexec_b32 s9, s0
	s_xor_b32 s0, exec_lo, s9
; %bb.910:                              ;   in Loop: Header=BB418_419 Depth=1
	v_bfe_u32 v2, v3, 16, 1
	s_delay_alu instid0(VALU_DEP_1)
	v_add3_u32 v2, v3, v2, 0x7fff
                                        ; implicit-def: $vgpr3
; %bb.911:                              ;   in Loop: Header=BB418_419 Depth=1
	s_and_not1_saveexec_b32 s9, s0
; %bb.912:                              ;   in Loop: Header=BB418_419 Depth=1
	v_and_b32_e32 v2, 0xffff, v3
	v_or_b32_e32 v9, 0x10000, v3
	s_delay_alu instid0(VALU_DEP_2) | instskip(NEXT) | instid1(VALU_DEP_1)
	v_cmp_eq_u32_e64 s0, 0, v2
	v_cndmask_b32_e64 v2, v9, v3, s0
; %bb.913:                              ;   in Loop: Header=BB418_419 Depth=1
	s_or_b32 exec_lo, exec_lo, s9
	v_lshrrev_b32_e32 v3, 16, v1
	s_mov_b32 s9, exec_lo
	s_delay_alu instid0(VALU_DEP_1) | instskip(NEXT) | instid1(VALU_DEP_1)
	v_dual_mov_b32 v9, 0 :: v_dual_and_b32 v114, 0xff, v3
	v_cmpx_ne_u16_e32 0, v114
	s_cbranch_execz .LBB418_921
; %bb.914:                              ;   in Loop: Header=BB418_419 Depth=1
	v_bfrev_b32_e32 v9, 1
	s_mov_b32 s12, exec_lo
	v_cmpx_ne_u16_e32 0x80, v114
	s_cbranch_execz .LBB418_920
; %bb.915:                              ;   in Loop: Header=BB418_419 Depth=1
	v_bfe_u32 v115, v1, 16, 7
	v_mov_b32_e32 v9, 0x7f800001
	s_mov_b32 s13, exec_lo
	s_delay_alu instid0(VALU_DEP_2)
	v_cmpx_ne_u32_e32 0x7f, v115
	s_cbranch_execz .LBB418_919
; %bb.916:                              ;   in Loop: Header=BB418_419 Depth=1
	v_and_b32_e32 v9, 7, v3
	v_lshrrev_b32_e32 v114, 3, v115
	s_mov_b32 s15, exec_lo
	v_cmpx_gt_u32_e32 8, v115
; %bb.917:                              ;   in Loop: Header=BB418_419 Depth=1
	s_delay_alu instid0(VALU_DEP_3) | instskip(NEXT) | instid1(VALU_DEP_1)
	v_clz_i32_u32_e32 v114, v9
	v_min_u32_e32 v114, 32, v114
	s_delay_alu instid0(VALU_DEP_1) | instskip(SKIP_1) | instid1(VALU_DEP_2)
	v_subrev_nc_u32_e32 v115, 28, v114
	v_sub_nc_u32_e32 v114, 29, v114
	v_lshlrev_b64 v[115:116], v115, v[9:10]
	s_delay_alu instid0(VALU_DEP_1)
	v_and_b32_e32 v9, 7, v115
; %bb.918:                              ;   in Loop: Header=BB418_419 Depth=1
	s_or_b32 exec_lo, exec_lo, s15
	v_lshlrev_b32_e32 v3, 24, v3
	s_delay_alu instid0(VALU_DEP_2) | instskip(SKIP_1) | instid1(VALU_DEP_3)
	v_lshlrev_b32_e32 v9, 20, v9
	v_lshl_add_u32 v114, v114, 23, 0x3c000000
	v_and_b32_e32 v3, 0x80000000, v3
	s_delay_alu instid0(VALU_DEP_1)
	v_or3_b32 v9, v9, v3, v114
.LBB418_919:                            ;   in Loop: Header=BB418_419 Depth=1
	s_or_b32 exec_lo, exec_lo, s13
.LBB418_920:                            ;   in Loop: Header=BB418_419 Depth=1
	s_delay_alu instid0(SALU_CYCLE_1)
	s_or_b32 exec_lo, exec_lo, s12
.LBB418_921:                            ;   in Loop: Header=BB418_419 Depth=1
	s_delay_alu instid0(SALU_CYCLE_1) | instskip(NEXT) | instid1(VALU_DEP_1)
	s_or_b32 exec_lo, exec_lo, s9
	v_mul_f32_e32 v9, v25, v9
	s_delay_alu instid0(VALU_DEP_1) | instskip(NEXT) | instid1(VALU_DEP_1)
	v_and_b32_e32 v3, 0x7f800000, v9
	v_cmp_ne_u32_e64 s0, 0x7f800000, v3
                                        ; implicit-def: $vgpr3
	s_delay_alu instid0(VALU_DEP_1) | instskip(NEXT) | instid1(SALU_CYCLE_1)
	s_and_saveexec_b32 s9, s0
	s_xor_b32 s0, exec_lo, s9
; %bb.922:                              ;   in Loop: Header=BB418_419 Depth=1
	v_bfe_u32 v3, v9, 16, 1
	s_delay_alu instid0(VALU_DEP_1)
	v_add3_u32 v3, v9, v3, 0x7fff
                                        ; implicit-def: $vgpr9
; %bb.923:                              ;   in Loop: Header=BB418_419 Depth=1
	s_and_not1_saveexec_b32 s9, s0
; %bb.924:                              ;   in Loop: Header=BB418_419 Depth=1
	v_and_b32_e32 v3, 0xffff, v9
	v_or_b32_e32 v114, 0x10000, v9
	s_delay_alu instid0(VALU_DEP_2) | instskip(NEXT) | instid1(VALU_DEP_1)
	v_cmp_eq_u32_e64 s0, 0, v3
	v_cndmask_b32_e64 v3, v114, v9, s0
; %bb.925:                              ;   in Loop: Header=BB418_419 Depth=1
	s_or_b32 exec_lo, exec_lo, s9
	v_mov_b32_e32 v9, 0
	s_mov_b32 s9, exec_lo
	v_cmpx_lt_u64_e64 s[2:3], v[0:1]
	s_cbranch_execz .LBB418_933
; %bb.926:                              ;   in Loop: Header=BB418_419 Depth=1
	v_lshrrev_b32_e32 v0, 24, v1
	v_bfrev_b32_e32 v9, 1
	s_mov_b32 s12, exec_lo
	s_delay_alu instid0(VALU_DEP_2)
	v_cmpx_ne_u32_e32 0x80, v0
	s_cbranch_execz .LBB418_932
; %bb.927:                              ;   in Loop: Header=BB418_419 Depth=1
	v_bfe_u32 v114, v1, 24, 7
	v_mov_b32_e32 v9, 0x7f800001
	s_mov_b32 s13, exec_lo
	s_delay_alu instid0(VALU_DEP_2)
	v_cmpx_ne_u32_e32 0x7f, v114
	s_cbranch_execz .LBB418_931
; %bb.928:                              ;   in Loop: Header=BB418_419 Depth=1
	v_and_b32_e32 v9, 7, v0
	v_lshrrev_b32_e32 v1, 3, v114
	s_mov_b32 s15, exec_lo
	v_cmpx_gt_u32_e32 8, v114
; %bb.929:                              ;   in Loop: Header=BB418_419 Depth=1
	s_delay_alu instid0(VALU_DEP_3) | instskip(NEXT) | instid1(VALU_DEP_1)
	v_clz_i32_u32_e32 v1, v9
	v_min_u32_e32 v1, 32, v1
	s_delay_alu instid0(VALU_DEP_1) | instskip(SKIP_1) | instid1(VALU_DEP_2)
	v_subrev_nc_u32_e32 v114, 28, v1
	v_sub_nc_u32_e32 v1, 29, v1
	v_lshlrev_b64 v[114:115], v114, v[9:10]
	s_delay_alu instid0(VALU_DEP_1)
	v_and_b32_e32 v9, 7, v114
; %bb.930:                              ;   in Loop: Header=BB418_419 Depth=1
	s_or_b32 exec_lo, exec_lo, s15
	v_lshlrev_b32_e32 v0, 24, v0
	s_delay_alu instid0(VALU_DEP_2) | instskip(SKIP_1) | instid1(VALU_DEP_3)
	v_lshlrev_b32_e32 v9, 20, v9
	v_lshl_add_u32 v1, v1, 23, 0x3c000000
	v_and_b32_e32 v0, 0x80000000, v0
	s_delay_alu instid0(VALU_DEP_1)
	v_or3_b32 v9, v9, v0, v1
.LBB418_931:                            ;   in Loop: Header=BB418_419 Depth=1
	s_or_b32 exec_lo, exec_lo, s13
.LBB418_932:                            ;   in Loop: Header=BB418_419 Depth=1
	s_delay_alu instid0(SALU_CYCLE_1)
	s_or_b32 exec_lo, exec_lo, s12
.LBB418_933:                            ;   in Loop: Header=BB418_419 Depth=1
	s_delay_alu instid0(SALU_CYCLE_1) | instskip(NEXT) | instid1(VALU_DEP_1)
	s_or_b32 exec_lo, exec_lo, s9
	v_mul_f32_e32 v0, v25, v9
                                        ; implicit-def: $vgpr115
	s_delay_alu instid0(VALU_DEP_1) | instskip(NEXT) | instid1(VALU_DEP_1)
	v_and_b32_e32 v1, 0x7f800000, v0
	v_cmp_ne_u32_e64 s0, 0x7f800000, v1
	s_delay_alu instid0(VALU_DEP_1) | instskip(NEXT) | instid1(SALU_CYCLE_1)
	s_and_saveexec_b32 s9, s0
	s_xor_b32 s0, exec_lo, s9
; %bb.934:                              ;   in Loop: Header=BB418_419 Depth=1
	v_bfe_u32 v1, v0, 16, 1
	s_delay_alu instid0(VALU_DEP_1)
	v_add3_u32 v115, v0, v1, 0x7fff
                                        ; implicit-def: $vgpr0
; %bb.935:                              ;   in Loop: Header=BB418_419 Depth=1
	s_and_not1_saveexec_b32 s9, s0
; %bb.936:                              ;   in Loop: Header=BB418_419 Depth=1
	v_and_b32_e32 v1, 0xffff, v0
	v_or_b32_e32 v9, 0x10000, v0
	s_delay_alu instid0(VALU_DEP_2) | instskip(NEXT) | instid1(VALU_DEP_1)
	v_cmp_eq_u32_e64 s0, 0, v1
	v_cndmask_b32_e64 v115, v9, v0, s0
; %bb.937:                              ;   in Loop: Header=BB418_419 Depth=1
	s_or_b32 exec_lo, exec_lo, s9
	v_lshrrev_b32_e32 v114, 16, v2
	v_lshrrev_b32_e32 v113, 16, v113
	;; [unrolled: 1-line block ×8, first 2 shown]
	s_and_saveexec_b32 s0, vcc_lo
	s_cbranch_execz .LBB418_939
; %bb.938:                              ;   in Loop: Header=BB418_419 Depth=1
	v_cmp_lt_i32_e32 vcc_lo, v48, v32
	v_cndmask_b32_e32 v0, 0, v0, vcc_lo
	v_cmp_lt_i32_e32 vcc_lo, v54, v32
	v_cndmask_b32_e32 v1, 0, v1, vcc_lo
	;; [unrolled: 2-line block ×8, first 2 shown]
.LBB418_939:                            ;   in Loop: Header=BB418_419 Depth=1
	s_or_b32 exec_lo, exec_lo, s0
	v_lshlrev_b32_e32 v0, 16, v0
	s_delay_alu instid0(VALU_DEP_1) | instskip(NEXT) | instid1(VALU_DEP_1)
	v_mul_f32_e32 v3, v55, v0
	v_and_b32_e32 v0, 0x7f800000, v3
	s_delay_alu instid0(VALU_DEP_1) | instskip(SKIP_1) | instid1(SALU_CYCLE_1)
	v_cmp_ne_u32_e32 vcc_lo, 0x7f800000, v0
                                        ; implicit-def: $vgpr0
	s_and_saveexec_b32 s0, vcc_lo
	s_xor_b32 s0, exec_lo, s0
; %bb.940:                              ;   in Loop: Header=BB418_419 Depth=1
	v_bfe_u32 v0, v3, 16, 1
	s_delay_alu instid0(VALU_DEP_1)
	v_add3_u32 v0, v3, v0, 0x7fff
                                        ; implicit-def: $vgpr3
; %bb.941:                              ;   in Loop: Header=BB418_419 Depth=1
	s_and_not1_saveexec_b32 s0, s0
; %bb.942:                              ;   in Loop: Header=BB418_419 Depth=1
	v_and_b32_e32 v0, 0xffff, v3
	v_or_b32_e32 v48, 0x10000, v3
	s_delay_alu instid0(VALU_DEP_2) | instskip(NEXT) | instid1(VALU_DEP_2)
	v_cmp_eq_u32_e32 vcc_lo, 0, v0
	v_cndmask_b32_e32 v0, v48, v3, vcc_lo
; %bb.943:                              ;   in Loop: Header=BB418_419 Depth=1
	s_or_b32 exec_lo, exec_lo, s0
	v_lshlrev_b32_e32 v1, 16, v1
	s_delay_alu instid0(VALU_DEP_1) | instskip(NEXT) | instid1(VALU_DEP_1)
	v_mul_f32_e32 v3, v64, v1
	v_and_b32_e32 v1, 0x7f800000, v3
	s_delay_alu instid0(VALU_DEP_1) | instskip(SKIP_1) | instid1(SALU_CYCLE_1)
	v_cmp_ne_u32_e32 vcc_lo, 0x7f800000, v1
                                        ; implicit-def: $vgpr1
	s_and_saveexec_b32 s0, vcc_lo
	s_xor_b32 s0, exec_lo, s0
; %bb.944:                              ;   in Loop: Header=BB418_419 Depth=1
	v_bfe_u32 v1, v3, 16, 1
	s_delay_alu instid0(VALU_DEP_1)
	v_add3_u32 v1, v3, v1, 0x7fff
                                        ; implicit-def: $vgpr3
; %bb.945:                              ;   in Loop: Header=BB418_419 Depth=1
	s_and_not1_saveexec_b32 s0, s0
; %bb.946:                              ;   in Loop: Header=BB418_419 Depth=1
	v_and_b32_e32 v1, 0xffff, v3
	v_or_b32_e32 v48, 0x10000, v3
	s_delay_alu instid0(VALU_DEP_2) | instskip(NEXT) | instid1(VALU_DEP_2)
	v_cmp_eq_u32_e32 vcc_lo, 0, v1
	v_cndmask_b32_e32 v1, v48, v3, vcc_lo
; %bb.947:                              ;   in Loop: Header=BB418_419 Depth=1
	s_or_b32 exec_lo, exec_lo, s0
	v_lshlrev_b32_e32 v3, 16, v103
	s_delay_alu instid0(VALU_DEP_1) | instskip(NEXT) | instid1(VALU_DEP_1)
	v_mul_f32_e32 v48, v65, v3
	v_and_b32_e32 v3, 0x7f800000, v48
	s_delay_alu instid0(VALU_DEP_1) | instskip(SKIP_1) | instid1(SALU_CYCLE_1)
	v_cmp_ne_u32_e32 vcc_lo, 0x7f800000, v3
                                        ; implicit-def: $vgpr3
	s_and_saveexec_b32 s0, vcc_lo
	s_xor_b32 s0, exec_lo, s0
; %bb.948:                              ;   in Loop: Header=BB418_419 Depth=1
	v_bfe_u32 v3, v48, 16, 1
	s_delay_alu instid0(VALU_DEP_1)
	v_add3_u32 v3, v48, v3, 0x7fff
                                        ; implicit-def: $vgpr48
; %bb.949:                              ;   in Loop: Header=BB418_419 Depth=1
	s_and_not1_saveexec_b32 s0, s0
; %bb.950:                              ;   in Loop: Header=BB418_419 Depth=1
	v_and_b32_e32 v3, 0xffff, v48
	v_or_b32_e32 v49, 0x10000, v48
	s_delay_alu instid0(VALU_DEP_2) | instskip(NEXT) | instid1(VALU_DEP_2)
	v_cmp_eq_u32_e32 vcc_lo, 0, v3
	v_cndmask_b32_e32 v3, v49, v48, vcc_lo
; %bb.951:                              ;   in Loop: Header=BB418_419 Depth=1
	s_or_b32 exec_lo, exec_lo, s0
	v_lshlrev_b32_e32 v48, 16, v112
	s_delay_alu instid0(VALU_DEP_1) | instskip(NEXT) | instid1(VALU_DEP_1)
	v_mul_f32_e32 v49, v66, v48
	v_and_b32_e32 v48, 0x7f800000, v49
	s_delay_alu instid0(VALU_DEP_1) | instskip(SKIP_1) | instid1(SALU_CYCLE_1)
	v_cmp_ne_u32_e32 vcc_lo, 0x7f800000, v48
                                        ; implicit-def: $vgpr48
	s_and_saveexec_b32 s0, vcc_lo
	s_xor_b32 s0, exec_lo, s0
; %bb.952:                              ;   in Loop: Header=BB418_419 Depth=1
	v_bfe_u32 v48, v49, 16, 1
	s_delay_alu instid0(VALU_DEP_1)
	v_add3_u32 v48, v49, v48, 0x7fff
                                        ; implicit-def: $vgpr49
; %bb.953:                              ;   in Loop: Header=BB418_419 Depth=1
	s_and_not1_saveexec_b32 s0, s0
; %bb.954:                              ;   in Loop: Header=BB418_419 Depth=1
	v_and_b32_e32 v48, 0xffff, v49
	v_or_b32_e32 v50, 0x10000, v49
	s_delay_alu instid0(VALU_DEP_2) | instskip(NEXT) | instid1(VALU_DEP_2)
	v_cmp_eq_u32_e32 vcc_lo, 0, v48
	v_cndmask_b32_e32 v48, v50, v49, vcc_lo
; %bb.955:                              ;   in Loop: Header=BB418_419 Depth=1
	s_or_b32 exec_lo, exec_lo, s0
	v_lshlrev_b32_e32 v49, 16, v113
	s_delay_alu instid0(VALU_DEP_1) | instskip(NEXT) | instid1(VALU_DEP_1)
	v_mul_f32_e32 v50, v67, v49
	v_and_b32_e32 v49, 0x7f800000, v50
	s_delay_alu instid0(VALU_DEP_1) | instskip(SKIP_1) | instid1(SALU_CYCLE_1)
	v_cmp_ne_u32_e32 vcc_lo, 0x7f800000, v49
                                        ; implicit-def: $vgpr49
	s_and_saveexec_b32 s0, vcc_lo
	s_xor_b32 s0, exec_lo, s0
; %bb.956:                              ;   in Loop: Header=BB418_419 Depth=1
	v_bfe_u32 v49, v50, 16, 1
	s_delay_alu instid0(VALU_DEP_1)
	v_add3_u32 v49, v50, v49, 0x7fff
                                        ; implicit-def: $vgpr50
; %bb.957:                              ;   in Loop: Header=BB418_419 Depth=1
	s_and_not1_saveexec_b32 s0, s0
; %bb.958:                              ;   in Loop: Header=BB418_419 Depth=1
	v_and_b32_e32 v49, 0xffff, v50
	v_or_b32_e32 v51, 0x10000, v50
	s_delay_alu instid0(VALU_DEP_2) | instskip(NEXT) | instid1(VALU_DEP_2)
	v_cmp_eq_u32_e32 vcc_lo, 0, v49
	v_cndmask_b32_e32 v49, v51, v50, vcc_lo
; %bb.959:                              ;   in Loop: Header=BB418_419 Depth=1
	s_or_b32 exec_lo, exec_lo, s0
	v_lshlrev_b32_e32 v50, 16, v114
	s_delay_alu instid0(VALU_DEP_1) | instskip(NEXT) | instid1(VALU_DEP_1)
	v_mul_f32_e32 v51, v68, v50
	v_and_b32_e32 v50, 0x7f800000, v51
	s_delay_alu instid0(VALU_DEP_1) | instskip(SKIP_1) | instid1(SALU_CYCLE_1)
	v_cmp_ne_u32_e32 vcc_lo, 0x7f800000, v50
                                        ; implicit-def: $vgpr50
	s_and_saveexec_b32 s0, vcc_lo
	s_xor_b32 s0, exec_lo, s0
; %bb.960:                              ;   in Loop: Header=BB418_419 Depth=1
	v_bfe_u32 v50, v51, 16, 1
	s_delay_alu instid0(VALU_DEP_1)
	v_add3_u32 v50, v51, v50, 0x7fff
                                        ; implicit-def: $vgpr51
; %bb.961:                              ;   in Loop: Header=BB418_419 Depth=1
	s_and_not1_saveexec_b32 s0, s0
; %bb.962:                              ;   in Loop: Header=BB418_419 Depth=1
	v_and_b32_e32 v50, 0xffff, v51
	v_or_b32_e32 v52, 0x10000, v51
	s_delay_alu instid0(VALU_DEP_2) | instskip(NEXT) | instid1(VALU_DEP_2)
	v_cmp_eq_u32_e32 vcc_lo, 0, v50
	v_cndmask_b32_e32 v50, v52, v51, vcc_lo
; %bb.963:                              ;   in Loop: Header=BB418_419 Depth=1
	s_or_b32 exec_lo, exec_lo, s0
	v_lshlrev_b32_e32 v9, 16, v9
	s_delay_alu instid0(VALU_DEP_1) | instskip(NEXT) | instid1(VALU_DEP_1)
	v_mul_f32_e32 v51, v69, v9
	v_and_b32_e32 v9, 0x7f800000, v51
	s_delay_alu instid0(VALU_DEP_1) | instskip(SKIP_1) | instid1(SALU_CYCLE_1)
	v_cmp_ne_u32_e32 vcc_lo, 0x7f800000, v9
                                        ; implicit-def: $vgpr9
	s_and_saveexec_b32 s0, vcc_lo
	s_xor_b32 s0, exec_lo, s0
; %bb.964:                              ;   in Loop: Header=BB418_419 Depth=1
	v_bfe_u32 v9, v51, 16, 1
	s_delay_alu instid0(VALU_DEP_1)
	v_add3_u32 v9, v51, v9, 0x7fff
                                        ; implicit-def: $vgpr51
; %bb.965:                              ;   in Loop: Header=BB418_419 Depth=1
	s_and_not1_saveexec_b32 s0, s0
; %bb.966:                              ;   in Loop: Header=BB418_419 Depth=1
	v_and_b32_e32 v9, 0xffff, v51
	v_or_b32_e32 v52, 0x10000, v51
	s_delay_alu instid0(VALU_DEP_2) | instskip(NEXT) | instid1(VALU_DEP_2)
	v_cmp_eq_u32_e32 vcc_lo, 0, v9
	v_cndmask_b32_e32 v9, v52, v51, vcc_lo
; %bb.967:                              ;   in Loop: Header=BB418_419 Depth=1
	s_or_b32 exec_lo, exec_lo, s0
	v_lshlrev_b32_e32 v2, 16, v2
	s_delay_alu instid0(VALU_DEP_1) | instskip(NEXT) | instid1(VALU_DEP_1)
	v_mul_f32_e32 v51, v70, v2
	v_and_b32_e32 v2, 0x7f800000, v51
	s_delay_alu instid0(VALU_DEP_1) | instskip(SKIP_1) | instid1(SALU_CYCLE_1)
	v_cmp_ne_u32_e32 vcc_lo, 0x7f800000, v2
                                        ; implicit-def: $vgpr2
	s_and_saveexec_b32 s0, vcc_lo
	s_xor_b32 s0, exec_lo, s0
; %bb.968:                              ;   in Loop: Header=BB418_419 Depth=1
	v_bfe_u32 v2, v51, 16, 1
	s_delay_alu instid0(VALU_DEP_1)
	v_add3_u32 v2, v51, v2, 0x7fff
                                        ; implicit-def: $vgpr51
; %bb.969:                              ;   in Loop: Header=BB418_419 Depth=1
	s_and_not1_saveexec_b32 s0, s0
	s_cbranch_execz .LBB418_418
; %bb.970:                              ;   in Loop: Header=BB418_419 Depth=1
	v_and_b32_e32 v2, 0xffff, v51
	v_or_b32_e32 v52, 0x10000, v51
	s_delay_alu instid0(VALU_DEP_2) | instskip(NEXT) | instid1(VALU_DEP_2)
	v_cmp_eq_u32_e32 vcc_lo, 0, v2
	v_cndmask_b32_e32 v2, v52, v51, vcc_lo
	s_branch .LBB418_418
.LBB418_971:
	s_or_b32 exec_lo, exec_lo, s8
	v_dual_mov_b32 v0, s10 :: v_dual_mov_b32 v1, s11
.LBB418_972:
	s_or_b32 exec_lo, exec_lo, s7
	s_delay_alu instid0(VALU_DEP_1)
	v_lshlrev_b64 v[0:1], 2, v[0:1]
	s_getpc_b64 s[2:3]
	s_add_u32 s2, s2, llvm.amdgcn.dynlds.offset.table@rel32@lo+4
	s_addc_u32 s3, s3, llvm.amdgcn.dynlds.offset.table@rel32@hi+12
	s_waitcnt lgkmcnt(0)
	s_waitcnt_vscnt null, 0x0
	s_barrier
	buffer_gl0_inv
	ds_bpermute_b32 v3, v19, v21
	v_add_co_u32 v0, vcc_lo, v0, s2
	v_add_co_ci_u32_e32 v1, vcc_lo, s3, v1, vcc_lo
	ds_bpermute_b32 v7, v19, v20
	v_lshrrev_b32_e32 v6, 1, v18
	s_mov_b32 s0, exec_lo
	global_load_b32 v8, v[0:1], off
	ds_bpermute_b32 v0, v19, v24
	ds_bpermute_b32 v1, v19, v23
	s_waitcnt lgkmcnt(1)
	v_dual_add_f32 v2, v24, v0 :: v_dual_and_b32 v9, 0x3c1, v31
	s_waitcnt lgkmcnt(0)
	v_dual_add_f32 v1, v23, v1 :: v_dual_add_f32 v0, v21, v3
	v_add_f32_e32 v3, v20, v7
	s_waitcnt vmcnt(0)
	v_lshl_add_u32 v7, v34, 8, v8
	v_cmpx_eq_u32_e32 64, v9
	s_cbranch_execz .LBB418_974
; %bb.973:
	v_lshlrev_b32_e32 v9, 2, v6
	s_delay_alu instid0(VALU_DEP_1)
	v_add3_u32 v9, v7, v9, 0xfffffe00
	ds_store_2addr_b32 v9, v2, v1 offset1:16
	ds_store_2addr_b32 v9, v0, v3 offset0:32 offset1:48
.LBB418_974:
	s_or_b32 exec_lo, exec_lo, s0
	v_cmp_eq_u32_e32 vcc_lo, 0, v33
	s_mov_b32 s2, exec_lo
	s_waitcnt lgkmcnt(0)
	s_barrier
	buffer_gl0_inv
	v_cmpx_gt_u32_e32 64, v31
	s_cbranch_execz .LBB418_981
; %bb.975:
	s_and_saveexec_b32 s0, vcc_lo
	s_cbranch_execnz .LBB418_1010
; %bb.976:
	s_or_b32 exec_lo, exec_lo, s0
	s_and_saveexec_b32 s0, vcc_lo
	s_cbranch_execnz .LBB418_1011
.LBB418_977:
	s_or_b32 exec_lo, exec_lo, s0
	s_and_saveexec_b32 s0, vcc_lo
	s_cbranch_execnz .LBB418_1012
.LBB418_978:
	s_or_b32 exec_lo, exec_lo, s0
	s_and_saveexec_b32 s0, vcc_lo
	s_cbranch_execz .LBB418_980
.LBB418_979:
	v_lshl_add_u32 v9, v6, 2, v7
	ds_load_b32 v9, v9 offset:192
	s_waitcnt lgkmcnt(0)
	v_add_f32_e32 v3, v3, v9
.LBB418_980:
	s_or_b32 exec_lo, exec_lo, s0
.LBB418_981:
	s_delay_alu instid0(SALU_CYCLE_1)
	s_or_b32 exec_lo, exec_lo, s2
	v_and_b32_e32 v9, 0x3e1, v31
	s_mov_b32 s2, exec_lo
	s_barrier
	buffer_gl0_inv
	v_cmpx_eq_u32_e32 32, v9
	s_cbranch_execz .LBB418_983
; %bb.982:
	v_lshl_add_u32 v8, v6, 2, v8
	ds_store_2addr_b32 v8, v2, v1 offset1:16
	ds_store_2addr_b32 v8, v0, v3 offset0:32 offset1:48
.LBB418_983:
	s_or_b32 exec_lo, exec_lo, s2
	v_cmp_gt_u32_e64 s0, 32, v31
	s_waitcnt lgkmcnt(0)
	s_barrier
	buffer_gl0_inv
	s_and_saveexec_b32 s2, s0
	s_cbranch_execz .LBB418_990
; %bb.984:
	v_lshl_add_u32 v6, v6, 2, v7
	s_and_saveexec_b32 s3, vcc_lo
	s_cbranch_execnz .LBB418_1013
; %bb.985:
	s_or_b32 exec_lo, exec_lo, s3
	s_and_saveexec_b32 s3, vcc_lo
	s_cbranch_execnz .LBB418_1014
.LBB418_986:
	s_or_b32 exec_lo, exec_lo, s3
	s_and_saveexec_b32 s3, vcc_lo
	s_cbranch_execnz .LBB418_1015
.LBB418_987:
	s_or_b32 exec_lo, exec_lo, s3
	s_and_saveexec_b32 s3, vcc_lo
	s_cbranch_execz .LBB418_989
.LBB418_988:
	ds_load_b32 v6, v6 offset:192
	s_waitcnt lgkmcnt(0)
	v_add_f32_e32 v3, v3, v6
.LBB418_989:
	s_or_b32 exec_lo, exec_lo, s3
.LBB418_990:
	s_delay_alu instid0(SALU_CYCLE_1)
	s_or_b32 exec_lo, exec_lo, s2
	s_barrier
	buffer_gl0_inv
	s_and_b32 exec_lo, exec_lo, s0
	s_cbranch_execz .LBB418_1009
; %bb.991:
	s_and_b32 exec_lo, exec_lo, vcc_lo
	s_cbranch_execz .LBB418_1009
; %bb.992:
	v_and_b32_e32 v6, 0x7f800000, v2
	s_delay_alu instid0(VALU_DEP_1) | instskip(SKIP_1) | instid1(SALU_CYCLE_1)
	v_cmp_ne_u32_e32 vcc_lo, 0x7f800000, v6
                                        ; implicit-def: $vgpr6
	s_and_saveexec_b32 s0, vcc_lo
	s_xor_b32 s0, exec_lo, s0
; %bb.993:
	v_bfe_u32 v6, v2, 16, 1
	s_delay_alu instid0(VALU_DEP_1)
	v_add3_u32 v6, v2, v6, 0x7fff
; %bb.994:
	s_and_not1_saveexec_b32 s0, s0
; %bb.995:
	v_and_b32_e32 v6, 0xffff, v2
	v_or_b32_e32 v7, 0x10000, v2
	s_delay_alu instid0(VALU_DEP_2) | instskip(NEXT) | instid1(VALU_DEP_2)
	v_cmp_eq_u32_e32 vcc_lo, 0, v6
	v_cndmask_b32_e32 v6, v7, v2, vcc_lo
; %bb.996:
	s_or_b32 exec_lo, exec_lo, s0
	s_mul_i32 s2, s1, s4
	s_mul_i32 s0, s6, s1
	;; [unrolled: 1-line block ×3, first 2 shown]
	s_lshl_b32 s2, s14, 6
	s_lshl_b32 s6, s1, 6
	s_ashr_i32 s1, s0, 31
	s_ashr_i32 s3, s2, 31
	;; [unrolled: 1-line block ×3, first 2 shown]
	s_lshl_b64 s[0:1], s[0:1], 1
	s_lshl_b64 s[2:3], s[2:3], 1
	;; [unrolled: 1-line block ×3, first 2 shown]
	s_add_u32 s0, s2, s0
	s_addc_u32 s1, s3, s1
	s_add_u32 s0, s0, s6
	s_addc_u32 s1, s1, s7
	v_lshlrev_b32_e32 v2, 1, v30
	v_add_co_u32 v4, vcc_lo, s0, v4
	v_add_co_ci_u32_e32 v5, vcc_lo, s1, v5, vcc_lo
	v_and_b32_e32 v7, 0x7f800000, v1
	s_delay_alu instid0(VALU_DEP_3) | instskip(NEXT) | instid1(VALU_DEP_3)
	v_add_co_u32 v4, vcc_lo, v4, v2
	v_add_co_ci_u32_e32 v5, vcc_lo, 0, v5, vcc_lo
	s_mov_b32 s0, exec_lo
                                        ; implicit-def: $vgpr2
	flat_store_d16_hi_b16 v[4:5], v6
	v_cmpx_ne_u32_e32 0x7f800000, v7
	s_xor_b32 s0, exec_lo, s0
; %bb.997:
	v_bfe_u32 v2, v1, 16, 1
	s_delay_alu instid0(VALU_DEP_1)
	v_add3_u32 v2, v1, v2, 0x7fff
; %bb.998:
	s_and_not1_saveexec_b32 s0, s0
; %bb.999:
	v_and_b32_e32 v2, 0xffff, v1
	v_or_b32_e32 v6, 0x10000, v1
	s_delay_alu instid0(VALU_DEP_2) | instskip(NEXT) | instid1(VALU_DEP_2)
	v_cmp_eq_u32_e32 vcc_lo, 0, v2
	v_cndmask_b32_e32 v2, v6, v1, vcc_lo
; %bb.1000:
	s_or_b32 exec_lo, exec_lo, s0
	v_and_b32_e32 v1, 0x7f800000, v0
	flat_store_d16_hi_b16 v[4:5], v2 offset:32
	v_cmp_ne_u32_e32 vcc_lo, 0x7f800000, v1
                                        ; implicit-def: $vgpr1
	s_and_saveexec_b32 s0, vcc_lo
	s_delay_alu instid0(SALU_CYCLE_1)
	s_xor_b32 s0, exec_lo, s0
; %bb.1001:
	v_bfe_u32 v1, v0, 16, 1
	s_delay_alu instid0(VALU_DEP_1)
	v_add3_u32 v1, v0, v1, 0x7fff
; %bb.1002:
	s_and_not1_saveexec_b32 s0, s0
; %bb.1003:
	v_and_b32_e32 v1, 0xffff, v0
	v_or_b32_e32 v2, 0x10000, v0
	s_delay_alu instid0(VALU_DEP_2) | instskip(NEXT) | instid1(VALU_DEP_2)
	v_cmp_eq_u32_e32 vcc_lo, 0, v1
	v_cndmask_b32_e32 v1, v2, v0, vcc_lo
; %bb.1004:
	s_or_b32 exec_lo, exec_lo, s0
	v_and_b32_e32 v0, 0x7f800000, v3
	s_mov_b32 s0, exec_lo
	flat_store_d16_hi_b16 v[4:5], v1 offset:64
                                        ; implicit-def: $vgpr6
	v_cmpx_ne_u32_e32 0x7f800000, v0
	s_xor_b32 s0, exec_lo, s0
; %bb.1005:
	v_bfe_u32 v0, v3, 16, 1
	s_delay_alu instid0(VALU_DEP_1)
	v_add3_u32 v6, v3, v0, 0x7fff
                                        ; implicit-def: $vgpr0_vgpr1_vgpr2_vgpr3
; %bb.1006:
	s_and_not1_saveexec_b32 s0, s0
; %bb.1007:
	v_and_b32_e32 v0, 0xffff, v3
	v_or_b32_e32 v1, 0x10000, v3
	s_delay_alu instid0(VALU_DEP_2) | instskip(NEXT) | instid1(VALU_DEP_2)
	v_cmp_eq_u32_e32 vcc_lo, 0, v0
	v_cndmask_b32_e32 v6, v1, v3, vcc_lo
; %bb.1008:
	s_or_b32 exec_lo, exec_lo, s0
	flat_store_d16_hi_b16 v[4:5], v6 offset:96
.LBB418_1009:
	s_or_b32 exec_lo, exec_lo, s5
	s_clause 0x1
	scratch_load_b32 v41, off, s32
	scratch_load_b32 v40, off, s32 offset:4
	s_waitcnt vmcnt(0) lgkmcnt(0)
	s_setpc_b64 s[30:31]
.LBB418_1010:
	v_lshl_add_u32 v9, v6, 2, v7
	ds_load_b32 v9, v9
	s_waitcnt lgkmcnt(0)
	v_add_f32_e32 v2, v2, v9
	s_or_b32 exec_lo, exec_lo, s0
	s_and_saveexec_b32 s0, vcc_lo
	s_cbranch_execz .LBB418_977
.LBB418_1011:
	v_lshl_add_u32 v9, v6, 2, v7
	ds_load_b32 v9, v9 offset:64
	s_waitcnt lgkmcnt(0)
	v_add_f32_e32 v1, v1, v9
	s_or_b32 exec_lo, exec_lo, s0
	s_and_saveexec_b32 s0, vcc_lo
	s_cbranch_execz .LBB418_978
.LBB418_1012:
	v_lshl_add_u32 v9, v6, 2, v7
	ds_load_b32 v9, v9 offset:128
	s_waitcnt lgkmcnt(0)
	v_add_f32_e32 v0, v0, v9
	s_or_b32 exec_lo, exec_lo, s0
	s_and_saveexec_b32 s0, vcc_lo
	s_cbranch_execnz .LBB418_979
	s_branch .LBB418_980
.LBB418_1013:
	ds_load_b32 v7, v6
	s_waitcnt lgkmcnt(0)
	v_add_f32_e32 v2, v2, v7
	s_or_b32 exec_lo, exec_lo, s3
	s_and_saveexec_b32 s3, vcc_lo
	s_cbranch_execz .LBB418_986
.LBB418_1014:
	ds_load_b32 v7, v6 offset:64
	s_waitcnt lgkmcnt(0)
	v_add_f32_e32 v1, v1, v7
	s_or_b32 exec_lo, exec_lo, s3
	s_and_saveexec_b32 s3, vcc_lo
	s_cbranch_execz .LBB418_987
.LBB418_1015:
	ds_load_b32 v7, v6 offset:128
	s_waitcnt lgkmcnt(0)
	v_add_f32_e32 v0, v0, v7
	s_or_b32 exec_lo, exec_lo, s3
	s_and_saveexec_b32 s3, vcc_lo
	s_cbranch_execnz .LBB418_988
	s_branch .LBB418_989
.Lfunc_end418:
	.size	_ZN4vllm22paged_attention_kernelI14__hip_bfloat16hLi64ELi16ELi128ELNS_18Fp8KVCacheDataTypeE1ELb0ELi512EEEvPfS3_PT_PKS4_PKT0_SA_ifPKiSC_iPKfiiiSE_SE_iiiii, .Lfunc_end418-_ZN4vllm22paged_attention_kernelI14__hip_bfloat16hLi64ELi16ELi128ELNS_18Fp8KVCacheDataTypeE1ELb0ELi512EEEvPfS3_PT_PKS4_PKT0_SA_ifPKiSC_iPKfiiiSE_SE_iiiii
                                        ; -- End function
	.section	.AMDGPU.csdata,"",@progbits
; Function info:
; codeLenInByte = 30984
; NumSgprs: 35
; NumVgprs: 184
; ScratchSize: 12
; MemoryBound: 0
	.section	.text._ZN4vllm25paged_attention_v2_kernelI14__hip_bfloat16hLi64ELi16ELi128ELNS_18Fp8KVCacheDataTypeE1ELb0ELi512EEEvPfS3_PT_PKS4_PKT0_SA_ifPKiSC_iPKfiiiSE_SE_iiiii,"axG",@progbits,_ZN4vllm25paged_attention_v2_kernelI14__hip_bfloat16hLi64ELi16ELi128ELNS_18Fp8KVCacheDataTypeE1ELb0ELi512EEEvPfS3_PT_PKS4_PKT0_SA_ifPKiSC_iPKfiiiSE_SE_iiiii,comdat
	.protected	_ZN4vllm25paged_attention_v2_kernelI14__hip_bfloat16hLi64ELi16ELi128ELNS_18Fp8KVCacheDataTypeE1ELb0ELi512EEEvPfS3_PT_PKS4_PKT0_SA_ifPKiSC_iPKfiiiSE_SE_iiiii ; -- Begin function _ZN4vllm25paged_attention_v2_kernelI14__hip_bfloat16hLi64ELi16ELi128ELNS_18Fp8KVCacheDataTypeE1ELb0ELi512EEEvPfS3_PT_PKS4_PKT0_SA_ifPKiSC_iPKfiiiSE_SE_iiiii
	.globl	_ZN4vllm25paged_attention_v2_kernelI14__hip_bfloat16hLi64ELi16ELi128ELNS_18Fp8KVCacheDataTypeE1ELb0ELi512EEEvPfS3_PT_PKS4_PKT0_SA_ifPKiSC_iPKfiiiSE_SE_iiiii
	.p2align	8
	.type	_ZN4vllm25paged_attention_v2_kernelI14__hip_bfloat16hLi64ELi16ELi128ELNS_18Fp8KVCacheDataTypeE1ELb0ELi512EEEvPfS3_PT_PKS4_PKT0_SA_ifPKiSC_iPKfiiiSE_SE_iiiii,@function
_ZN4vllm25paged_attention_v2_kernelI14__hip_bfloat16hLi64ELi16ELi128ELNS_18Fp8KVCacheDataTypeE1ELb0ELi512EEEvPfS3_PT_PKS4_PKT0_SA_ifPKiSC_iPKfiiiSE_SE_iiiii: ; @_ZN4vllm25paged_attention_v2_kernelI14__hip_bfloat16hLi64ELi16ELi128ELNS_18Fp8KVCacheDataTypeE1ELb0ELi512EEEvPfS3_PT_PKS4_PKT0_SA_ifPKiSC_iPKfiiiSE_SE_iiiii
; %bb.0:
	s_clause 0x5
	s_load_b256 s[24:31], s[0:1], 0x0
	s_load_b256 s[16:23], s[0:1], 0x20
	s_load_b64 s[2:3], s[0:1], 0x40
	s_load_b64 s[4:5], s[0:1], 0x50
	s_load_b32 s6, s[0:1], 0x48
	s_load_b256 s[36:43], s[0:1], 0x58
	v_mov_b32_e32 v31, v0
	s_add_u32 s8, s0, 0x90
	s_mov_b32 s12, s13
	s_addc_u32 s9, s1, 0
	s_mov_b32 s13, s14
	s_mov_b32 s14, s15
	;; [unrolled: 1-line block ×4, first 2 shown]
	s_getpc_b64 s[0:1]
	s_add_u32 s0, s0, _ZN4vllm22paged_attention_kernelI14__hip_bfloat16hLi64ELi16ELi128ELNS_18Fp8KVCacheDataTypeE1ELb0ELi512EEEvPfS3_PT_PKS4_PKT0_SA_ifPKiSC_iPKfiiiSE_SE_iiiii@rel32@lo+4
	s_addc_u32 s1, s1, _ZN4vllm22paged_attention_kernelI14__hip_bfloat16hLi64ELi16ELi128ELNS_18Fp8KVCacheDataTypeE1ELb0ELi512EEEvPfS3_PT_PKS4_PKT0_SA_ifPKiSC_iPKfiiiSE_SE_iiiii@rel32@hi+12
	s_waitcnt lgkmcnt(0)
	v_dual_mov_b32 v0, s24 :: v_dual_mov_b32 v1, s25
	v_dual_mov_b32 v2, s26 :: v_dual_mov_b32 v3, s27
	;; [unrolled: 1-line block ×14, first 2 shown]
	s_swappc_b64 s[30:31], s[0:1]
	s_endpgm
	.section	.rodata,"a",@progbits
	.p2align	6, 0x0
	.amdhsa_kernel _ZN4vllm25paged_attention_v2_kernelI14__hip_bfloat16hLi64ELi16ELi128ELNS_18Fp8KVCacheDataTypeE1ELb0ELi512EEEvPfS3_PT_PKS4_PKT0_SA_ifPKiSC_iPKfiiiSE_SE_iiiii
		.amdhsa_group_segment_fixed_size 160
		.amdhsa_private_segment_fixed_size 12
		.amdhsa_kernarg_size 400
		.amdhsa_user_sgpr_count 13
		.amdhsa_user_sgpr_dispatch_ptr 0
		.amdhsa_user_sgpr_queue_ptr 0
		.amdhsa_user_sgpr_kernarg_segment_ptr 1
		.amdhsa_user_sgpr_dispatch_id 0
		.amdhsa_user_sgpr_private_segment_size 0
		.amdhsa_wavefront_size32 1
		.amdhsa_uses_dynamic_stack 0
		.amdhsa_enable_private_segment 1
		.amdhsa_system_sgpr_workgroup_id_x 1
		.amdhsa_system_sgpr_workgroup_id_y 1
		.amdhsa_system_sgpr_workgroup_id_z 1
		.amdhsa_system_sgpr_workgroup_info 0
		.amdhsa_system_vgpr_workitem_id 0
		.amdhsa_next_free_vgpr 184
		.amdhsa_next_free_sgpr 44
		.amdhsa_reserve_vcc 1
		.amdhsa_float_round_mode_32 0
		.amdhsa_float_round_mode_16_64 0
		.amdhsa_float_denorm_mode_32 3
		.amdhsa_float_denorm_mode_16_64 3
		.amdhsa_dx10_clamp 1
		.amdhsa_ieee_mode 1
		.amdhsa_fp16_overflow 0
		.amdhsa_workgroup_processor_mode 1
		.amdhsa_memory_ordered 1
		.amdhsa_forward_progress 0
		.amdhsa_shared_vgpr_count 0
		.amdhsa_exception_fp_ieee_invalid_op 0
		.amdhsa_exception_fp_denorm_src 0
		.amdhsa_exception_fp_ieee_div_zero 0
		.amdhsa_exception_fp_ieee_overflow 0
		.amdhsa_exception_fp_ieee_underflow 0
		.amdhsa_exception_fp_ieee_inexact 0
		.amdhsa_exception_int_div_zero 0
	.end_amdhsa_kernel
	.section	.text._ZN4vllm25paged_attention_v2_kernelI14__hip_bfloat16hLi64ELi16ELi128ELNS_18Fp8KVCacheDataTypeE1ELb0ELi512EEEvPfS3_PT_PKS4_PKT0_SA_ifPKiSC_iPKfiiiSE_SE_iiiii,"axG",@progbits,_ZN4vllm25paged_attention_v2_kernelI14__hip_bfloat16hLi64ELi16ELi128ELNS_18Fp8KVCacheDataTypeE1ELb0ELi512EEEvPfS3_PT_PKS4_PKT0_SA_ifPKiSC_iPKfiiiSE_SE_iiiii,comdat
.Lfunc_end419:
	.size	_ZN4vllm25paged_attention_v2_kernelI14__hip_bfloat16hLi64ELi16ELi128ELNS_18Fp8KVCacheDataTypeE1ELb0ELi512EEEvPfS3_PT_PKS4_PKT0_SA_ifPKiSC_iPKfiiiSE_SE_iiiii, .Lfunc_end419-_ZN4vllm25paged_attention_v2_kernelI14__hip_bfloat16hLi64ELi16ELi128ELNS_18Fp8KVCacheDataTypeE1ELb0ELi512EEEvPfS3_PT_PKS4_PKT0_SA_ifPKiSC_iPKfiiiSE_SE_iiiii
                                        ; -- End function
	.section	.AMDGPU.csdata,"",@progbits
; Kernel info:
; codeLenInByte = 232
; NumSgprs: 46
; NumVgprs: 184
; ScratchSize: 12
; MemoryBound: 0
; FloatMode: 240
; IeeeMode: 1
; LDSByteSize: 160 bytes/workgroup (compile time only)
; SGPRBlocks: 5
; VGPRBlocks: 22
; NumSGPRsForWavesPerEU: 46
; NumVGPRsForWavesPerEU: 184
; Occupancy: 8
; WaveLimiterHint : 1
; COMPUTE_PGM_RSRC2:SCRATCH_EN: 1
; COMPUTE_PGM_RSRC2:USER_SGPR: 13
; COMPUTE_PGM_RSRC2:TRAP_HANDLER: 0
; COMPUTE_PGM_RSRC2:TGID_X_EN: 1
; COMPUTE_PGM_RSRC2:TGID_Y_EN: 1
; COMPUTE_PGM_RSRC2:TGID_Z_EN: 1
; COMPUTE_PGM_RSRC2:TIDIG_COMP_CNT: 0
	.text
	.p2align	2                               ; -- Begin function _ZN4vllm22paged_attention_kernelI14__hip_bfloat16hLi80ELi16ELi128ELNS_18Fp8KVCacheDataTypeE1ELb0ELi512EEEvPfS3_PT_PKS4_PKT0_SA_ifPKiSC_iPKfiiiSE_SE_iiiii
	.type	_ZN4vllm22paged_attention_kernelI14__hip_bfloat16hLi80ELi16ELi128ELNS_18Fp8KVCacheDataTypeE1ELb0ELi512EEEvPfS3_PT_PKS4_PKT0_SA_ifPKiSC_iPKfiiiSE_SE_iiiii,@function
_ZN4vllm22paged_attention_kernelI14__hip_bfloat16hLi80ELi16ELi128ELNS_18Fp8KVCacheDataTypeE1ELb0ELi512EEEvPfS3_PT_PKS4_PKT0_SA_ifPKiSC_iPKfiiiSE_SE_iiiii: ; @_ZN4vllm22paged_attention_kernelI14__hip_bfloat16hLi80ELi16ELi128ELNS_18Fp8KVCacheDataTypeE1ELb0ELi512EEEvPfS3_PT_PKS4_PKT0_SA_ifPKiSC_iPKfiiiSE_SE_iiiii
; %bb.0:
	s_waitcnt vmcnt(0) expcnt(0) lgkmcnt(0)
	s_clause 0x11
	scratch_store_b32 off, v40, s32 offset:68
	; meta instruction
	scratch_store_b32 off, v41, s32 offset:64
	; meta instruction
	;; [unrolled: 2-line block ×17, first 2 shown]
	scratch_store_b32 off, v73, s32
	s_mov_b32 s4, s13
	s_ashr_i32 s5, s13, 31
	s_lshl_b32 s17, s14, 9
	s_lshl_b64 s[0:1], s[4:5], 2
	s_mov_b32 s5, exec_lo
	v_add_co_u32 v16, vcc_lo, v16, s0
	v_add_co_ci_u32_e32 v17, vcc_lo, s1, v17, vcc_lo
	flat_load_b32 v32, v[16:17]
	s_waitcnt vmcnt(0) lgkmcnt(0)
	v_cmpx_lt_i32_e64 s17, v32
	s_cbranch_execz .LBB420_1241
; %bb.1:
	v_sub_nc_u32_e32 v16, 0, v12
	s_clause 0x1
	s_load_b32 s0, s[8:9], 0x10
	s_load_b32 s1, s[8:9], 0x0
	s_mov_b32 s10, s15
	v_mov_b32_e32 v48, 0
	v_max_i32_e32 v16, v12, v16
	s_delay_alu instid0(VALU_DEP_1) | instskip(SKIP_1) | instid1(VALU_DEP_2)
	v_cvt_f32_u32_e32 v17, v16
	v_sub_nc_u32_e32 v28, 0, v16
	v_rcp_iflag_f32_e32 v17, v17
	s_waitcnt lgkmcnt(0)
	s_lshr_b32 s0, s0, 16
	s_delay_alu instid0(SALU_CYCLE_1) | instskip(SKIP_3) | instid1(SALU_CYCLE_1)
	s_cmp_lg_u32 s0, 0
	s_waitcnt_depctr 0xfff
	v_mul_f32_e32 v17, 0x4f7ffffe, v17
	s_cselect_b32 s0, -1, 0
	s_cmp_lg_u32 s0, 0
	s_delay_alu instid0(VALU_DEP_1)
	v_cvt_u32_f32_e32 v17, v17
	s_addc_u32 s16, s1, 0
	s_mov_b32 s1, exec_lo
	s_abs_i32 s0, s16
	v_xor_b32_e32 v12, s16, v12
	v_mul_lo_u32 v28, v28, v17
	s_delay_alu instid0(VALU_DEP_2) | instskip(NEXT) | instid1(VALU_DEP_2)
	v_ashrrev_i32_e32 v12, 31, v12
	v_mul_hi_u32 v28, v17, v28
	s_delay_alu instid0(VALU_DEP_1) | instskip(NEXT) | instid1(VALU_DEP_1)
	v_add_nc_u32_e32 v17, v17, v28
	v_mul_hi_u32 v17, s0, v17
	s_delay_alu instid0(VALU_DEP_1) | instskip(SKIP_1) | instid1(VALU_DEP_2)
	v_mul_lo_u32 v28, v17, v16
	v_add_nc_u32_e32 v29, 1, v17
	v_sub_nc_u32_e32 v28, s0, v28
	s_abs_i32 s0, s12
	s_delay_alu instid0(VALU_DEP_1) | instskip(SKIP_1) | instid1(VALU_DEP_2)
	v_sub_nc_u32_e32 v30, v28, v16
	v_cmp_ge_u32_e32 vcc_lo, v28, v16
	v_dual_cndmask_b32 v17, v17, v29 :: v_dual_cndmask_b32 v28, v28, v30
	s_delay_alu instid0(VALU_DEP_1) | instskip(NEXT) | instid1(VALU_DEP_2)
	v_add_nc_u32_e32 v29, 1, v17
	v_cmp_ge_u32_e32 vcc_lo, v28, v16
	s_delay_alu instid0(VALU_DEP_2) | instskip(NEXT) | instid1(VALU_DEP_1)
	v_cndmask_b32_e32 v16, v17, v29, vcc_lo
	v_xor_b32_e32 v16, v16, v12
	s_delay_alu instid0(VALU_DEP_1) | instskip(NEXT) | instid1(VALU_DEP_1)
	v_sub_nc_u32_e32 v12, v16, v12
	v_sub_nc_u32_e32 v16, 0, v12
	s_delay_alu instid0(VALU_DEP_1) | instskip(NEXT) | instid1(VALU_DEP_1)
	v_max_i32_e32 v28, v12, v16
	v_cvt_f32_u32_e32 v16, v28
	v_sub_nc_u32_e32 v17, 0, v28
	s_delay_alu instid0(VALU_DEP_2) | instskip(SKIP_2) | instid1(VALU_DEP_1)
	v_rcp_iflag_f32_e32 v16, v16
	s_waitcnt_depctr 0xfff
	v_mul_f32_e32 v16, 0x4f7ffffe, v16
	v_cvt_u32_f32_e32 v16, v16
	s_delay_alu instid0(VALU_DEP_1) | instskip(NEXT) | instid1(VALU_DEP_1)
	v_mul_lo_u32 v17, v17, v16
	v_mul_hi_u32 v17, v16, v17
	s_delay_alu instid0(VALU_DEP_1) | instskip(NEXT) | instid1(VALU_DEP_1)
	v_add_nc_u32_e32 v29, v16, v17
	v_mad_u64_u32 v[16:17], null, s0, v29, 0
	v_cmpx_ne_u64_e32 0, v[19:20]
	s_cbranch_execz .LBB420_3
; %bb.2:
	s_ashr_i32 s13, s12, 31
	s_delay_alu instid0(SALU_CYCLE_1) | instskip(NEXT) | instid1(SALU_CYCLE_1)
	s_lshl_b64 s[2:3], s[12:13], 2
	v_add_co_u32 v19, vcc_lo, v19, s2
	v_add_co_ci_u32_e32 v20, vcc_lo, s3, v20, vcc_lo
	flat_load_b32 v48, v[19:20]
.LBB420_3:
	s_or_b32 exec_lo, exec_lo, s1
	v_and_b32_e32 v31, 0x3ff, v31
	v_ashrrev_i32_e32 v16, 31, v12
	s_ashr_i32 s1, s12, 31
	s_mul_i32 s6, s12, 0x50
	s_mov_b32 s2, exec_lo
	v_lshrrev_b32_e32 v30, 1, v31
	v_and_b32_e32 v33, 1, v31
	v_lshlrev_b32_e32 v12, 3, v31
	v_cmpx_gt_u32_e32 20, v31
	s_cbranch_execz .LBB420_5
; %bb.4:
	v_mul_lo_u32 v19, s4, v21
	s_ashr_i32 s7, s6, 31
	s_delay_alu instid0(SALU_CYCLE_1) | instskip(NEXT) | instid1(VALU_DEP_1)
	s_lshl_b64 s[18:19], s[6:7], 1
	v_ashrrev_i32_e32 v20, 31, v19
	s_delay_alu instid0(VALU_DEP_1) | instskip(NEXT) | instid1(VALU_DEP_1)
	v_lshlrev_b64 v[19:20], 1, v[19:20]
	v_add_co_u32 v6, vcc_lo, v6, v19
	s_delay_alu instid0(VALU_DEP_2) | instskip(SKIP_1) | instid1(VALU_DEP_3)
	v_add_co_ci_u32_e32 v7, vcc_lo, v7, v20, vcc_lo
	v_lshlrev_b32_e32 v19, 3, v30
	v_add_co_u32 v6, vcc_lo, v6, s18
	s_delay_alu instid0(VALU_DEP_3) | instskip(NEXT) | instid1(VALU_DEP_3)
	v_add_co_ci_u32_e32 v7, vcc_lo, s19, v7, vcc_lo
	v_mad_u32_u24 v19, 0x50, v33, v19
	s_delay_alu instid0(VALU_DEP_3) | instskip(NEXT) | instid1(VALU_DEP_3)
	v_add_co_u32 v6, vcc_lo, v6, v12
	v_add_co_ci_u32_e32 v7, vcc_lo, 0, v7, vcc_lo
	flat_load_b64 v[6:7], v[6:7]
	s_waitcnt vmcnt(0) lgkmcnt(0)
	ds_store_b64 v19, v[6:7]
.LBB420_5:
	s_or_b32 exec_lo, exec_lo, s2
	v_mul_lo_u32 v6, v17, v28
	v_add_nc_u32_e32 v7, 15, v32
	v_add_nc_u32_e32 v20, 1, v17
	v_lshrrev_b32_e32 v34, 5, v31
	s_lshl_b32 s13, s14, 5
	v_mbcnt_lo_u32_b32 v39, -1, 0
	v_ashrrev_i32_e32 v19, 31, v7
	s_waitcnt vmcnt(0) lgkmcnt(0)
	s_waitcnt_vscnt null, 0x0
	v_sub_nc_u32_e32 v6, s0, v6
	s_add_i32 s0, s13, 32
	s_barrier
	v_lshrrev_b32_e32 v19, 28, v19
	buffer_gl0_inv
	v_sub_nc_u32_e32 v21, v6, v28
	v_cmp_ge_u32_e32 vcc_lo, v6, v28
                                        ; implicit-def: $vgpr49
	v_add_nc_u32_e32 v7, v7, v19
	v_cndmask_b32_e32 v17, v17, v20, vcc_lo
	s_delay_alu instid0(VALU_DEP_4) | instskip(SKIP_1) | instid1(VALU_DEP_4)
	v_cndmask_b32_e32 v19, v6, v21, vcc_lo
	v_xor_b32_e32 v21, s1, v16
	v_ashrrev_i32_e32 v36, 4, v7
	v_mul_lo_u32 v6, s4, v18
	v_add_nc_u32_e32 v20, 1, v17
	v_cmp_ge_u32_e32 vcc_lo, v19, v28
	v_or_b32_e32 v16, s13, v34
	v_min_i32_e32 v35, s0, v36
                                        ; implicit-def: $sgpr1
	s_delay_alu instid0(VALU_DEP_4) | instskip(NEXT) | instid1(VALU_DEP_2)
	v_cndmask_b32_e32 v7, v17, v20, vcc_lo
	v_cmp_ge_i32_e64 s0, v16, v35
	s_delay_alu instid0(VALU_DEP_2) | instskip(SKIP_1) | instid1(VALU_DEP_2)
	v_xor_b32_e32 v17, v7, v21
	v_ashrrev_i32_e32 v7, 31, v6
	v_sub_nc_u32_e32 v17, v17, v21
	s_delay_alu instid0(VALU_DEP_4) | instskip(NEXT) | instid1(SALU_CYCLE_1)
	s_and_saveexec_b32 s2, s0
	s_xor_b32 s2, exec_lo, s2
; %bb.6:
	v_mbcnt_lo_u32_b32 v39, -1, 0
	v_mov_b32_e32 v49, 32
	s_mov_b32 s1, 0xff7fffff
                                        ; implicit-def: $vgpr48
                                        ; implicit-def: $vgpr13
                                        ; implicit-def: $vgpr24
                                        ; implicit-def: $vgpr8
                                        ; implicit-def: $vgpr9
; %bb.7:
	s_or_saveexec_b32 s15, s2
	s_clause 0x1
	s_load_b32 s18, s[8:9], 0x14
	s_load_b32 s7, s[8:9], 0x8
	v_mul_lo_u32 v37, v17, v23
	v_lshlrev_b64 v[6:7], 2, v[6:7]
	v_mov_b32_e32 v129, s1
	v_ashrrev_i32_e32 v17, 31, v16
	s_delay_alu instid0(VALU_DEP_4)
	v_ashrrev_i32_e32 v38, 31, v37
	s_xor_b32 exec_lo, exec_lo, s15
	s_cbranch_execz .LBB420_493
; %bb.8:
	v_mul_u32_u24_e32 v20, 0x50, v33
	v_bfe_u32 v28, v31, 1, 4
	v_add_co_u32 v8, vcc_lo, v8, v37
	v_add_co_ci_u32_e32 v19, vcc_lo, v9, v38, vcc_lo
	ds_load_b128 v[64:67], v20
	ds_load_b128 v[80:83], v20 offset:16
	v_dual_mov_b32 v9, 0 :: v_dual_lshlrev_b32 v18, 4, v28
	ds_load_b128 v[96:99], v20 offset:32
	ds_load_b128 v[112:115], v20 offset:48
	;; [unrolled: 1-line block ×3, first 2 shown]
	v_lshlrev_b64 v[20:21], 2, v[16:17]
	v_lshlrev_b32_e32 v29, 4, v34
	v_add_co_u32 v18, vcc_lo, v8, v18
	v_xor_b32_e32 v8, 1, v39
	v_add_co_ci_u32_e32 v19, vcc_lo, 0, v19, vcc_lo
	s_ashr_i32 s11, s10, 31
	v_cmp_neq_f32_e64 s1, 0, v48
	s_delay_alu instid0(VALU_DEP_3)
	v_cmp_gt_i32_e32 vcc_lo, 32, v8
	v_lshlrev_b32_e32 v23, 2, v33
	s_lshl_b64 s[8:9], s[10:11], 2
	v_sub_nc_u32_e32 v132, 1, v32
	v_dual_mov_b32 v49, 32 :: v_dual_cndmask_b32 v8, v39, v8
	s_waitcnt lgkmcnt(0)
	v_lshlrev_b32_e32 v50, 16, v64
	v_and_b32_e32 v51, 0xffff0000, v64
	v_lshlrev_b32_e32 v52, 16, v65
	v_and_b32_e32 v53, 0xffff0000, v65
	v_dual_mov_b32 v135, v16 :: v_dual_lshlrev_b32 v54, 16, v66
	v_and_b32_e32 v55, 0xffff0000, v66
	v_lshlrev_b32_e32 v64, 16, v67
	v_and_b32_e32 v65, 0xffff0000, v67
	v_lshlrev_b32_e32 v66, 16, v80
	;; [unrolled: 2-line block ×17, first 2 shown]
	v_add_co_u32 v8, s2, v6, v20
	v_lshlrev_b32_e32 v116, 16, v129
	v_and_b32_e32 v117, 0xffff0000, v129
	v_add_co_ci_u32_e64 v21, s2, v7, v21, s2
	v_lshlrev_b32_e32 v129, 2, v28
	v_add_co_u32 v20, s2, v14, v8
	v_cmp_eq_u32_e32 vcc_lo, 0, v33
	s_delay_alu instid0(VALU_DEP_4)
	v_add_co_ci_u32_e64 v21, s2, v15, v21, s2
	v_add3_u32 v133, s17, v29, v28
	v_lshl_or_b32 v134, v34, 6, v129
	v_mov_b32_e32 v129, 0xff7fffff
	s_getpc_b64 s[20:21]
	s_add_u32 s20, s20, llvm.amdgcn.dynlds.offset.table@rel32@lo+4
	s_addc_u32 s21, s21, llvm.amdgcn.dynlds.offset.table@rel32@hi+12
	s_add_u32 s8, s8, s20
	s_mov_b32 s11, 0
	s_addc_u32 s9, s9, s21
	s_branch .LBB420_10
.LBB420_9:                              ;   in Loop: Header=BB420_10 Depth=1
	s_or_b32 exec_lo, exec_lo, s3
	v_add_nc_u32_e32 v135, 4, v135
	v_add_co_u32 v20, s3, v20, 16
	s_delay_alu instid0(VALU_DEP_1) | instskip(NEXT) | instid1(VALU_DEP_3)
	v_add_co_ci_u32_e64 v21, s3, 0, v21, s3
	v_cmp_ge_i32_e64 s2, v135, v35
	v_add_nc_u32_e32 v133, 64, v133
	v_add_nc_u32_e32 v134, 0x100, v134
	s_delay_alu instid0(VALU_DEP_3) | instskip(NEXT) | instid1(SALU_CYCLE_1)
	s_or_b32 s11, s2, s11
	s_and_not1_b32 exec_lo, exec_lo, s11
	s_cbranch_execz .LBB420_492
.LBB420_10:                             ; =>This Inner Loop Header: Depth=1
	flat_load_b32 v8, v[20:21]
	s_mov_b32 s3, exec_lo
	s_waitcnt vmcnt(0) lgkmcnt(0)
	v_mad_i64_i32 v[28:29], null, v8, v22, v[18:19]
	v_mov_b32_e32 v8, 0
	s_delay_alu instid0(VALU_DEP_2) | instskip(NEXT) | instid1(VALU_DEP_1)
	v_add_co_u32 v28, s2, v28, v23
	v_add_co_ci_u32_e64 v29, s2, 0, v29, s2
	flat_load_b32 v148, v[28:29]
	flat_load_b32 v144, v[24:25]
	s_waitcnt vmcnt(1) lgkmcnt(1)
	v_and_b32_e32 v145, 0xff, v148
	s_delay_alu instid0(VALU_DEP_1)
	v_cmpx_ne_u16_e64 0, v145
	s_cbranch_execz .LBB420_18
; %bb.11:                               ;   in Loop: Header=BB420_10 Depth=1
	v_bfrev_b32_e32 v8, 1
	s_mov_b32 s19, exec_lo
	v_cmpx_ne_u16_e64 0x80, v145
	s_cbranch_execz .LBB420_17
; %bb.12:                               ;   in Loop: Header=BB420_10 Depth=1
	v_and_b32_e32 v146, 0x7f, v148
	v_mov_b32_e32 v8, 0x7f800001
	s_mov_b32 s20, exec_lo
	s_delay_alu instid0(VALU_DEP_2)
	v_cmpx_ne_u32_e32 0x7f, v146
	s_cbranch_execz .LBB420_16
; %bb.13:                               ;   in Loop: Header=BB420_10 Depth=1
	v_and_b32_e32 v8, 7, v148
	v_lshrrev_b32_e32 v145, 3, v146
	s_mov_b32 s21, exec_lo
	v_cmpx_gt_u32_e32 8, v146
; %bb.14:                               ;   in Loop: Header=BB420_10 Depth=1
	s_delay_alu instid0(VALU_DEP_3) | instskip(NEXT) | instid1(VALU_DEP_1)
	v_clz_i32_u32_e32 v145, v8
	v_min_u32_e32 v145, 32, v145
	s_delay_alu instid0(VALU_DEP_1) | instskip(SKIP_1) | instid1(VALU_DEP_2)
	v_subrev_nc_u32_e32 v146, 28, v145
	v_sub_nc_u32_e32 v145, 29, v145
	v_lshlrev_b64 v[146:147], v146, v[8:9]
	s_delay_alu instid0(VALU_DEP_1)
	v_and_b32_e32 v8, 7, v146
; %bb.15:                               ;   in Loop: Header=BB420_10 Depth=1
	s_or_b32 exec_lo, exec_lo, s21
	v_lshlrev_b32_e32 v146, 24, v148
	s_delay_alu instid0(VALU_DEP_2) | instskip(SKIP_1) | instid1(VALU_DEP_3)
	v_lshlrev_b32_e32 v8, 20, v8
	v_lshl_add_u32 v145, v145, 23, 0x3c000000
	v_and_b32_e32 v146, 0x80000000, v146
	s_delay_alu instid0(VALU_DEP_1)
	v_or3_b32 v8, v8, v146, v145
.LBB420_16:                             ;   in Loop: Header=BB420_10 Depth=1
	s_or_b32 exec_lo, exec_lo, s20
.LBB420_17:                             ;   in Loop: Header=BB420_10 Depth=1
	s_delay_alu instid0(SALU_CYCLE_1)
	s_or_b32 exec_lo, exec_lo, s19
.LBB420_18:                             ;   in Loop: Header=BB420_10 Depth=1
	s_delay_alu instid0(SALU_CYCLE_1) | instskip(SKIP_2) | instid1(VALU_DEP_1)
	s_or_b32 exec_lo, exec_lo, s3
	s_waitcnt vmcnt(0) lgkmcnt(0)
	v_mul_f32_e32 v8, v144, v8
	v_and_b32_e32 v145, 0x7f800000, v8
	s_delay_alu instid0(VALU_DEP_1) | instskip(NEXT) | instid1(VALU_DEP_1)
	v_cmp_ne_u32_e64 s2, 0x7f800000, v145
                                        ; implicit-def: $vgpr145
	s_and_saveexec_b32 s3, s2
	s_delay_alu instid0(SALU_CYCLE_1)
	s_xor_b32 s2, exec_lo, s3
; %bb.19:                               ;   in Loop: Header=BB420_10 Depth=1
	v_bfe_u32 v145, v8, 16, 1
	s_delay_alu instid0(VALU_DEP_1)
	v_add3_u32 v145, v8, v145, 0x7fff
                                        ; implicit-def: $vgpr8
; %bb.20:                               ;   in Loop: Header=BB420_10 Depth=1
	s_and_not1_saveexec_b32 s3, s2
; %bb.21:                               ;   in Loop: Header=BB420_10 Depth=1
	v_and_b32_e32 v145, 0xffff, v8
	v_or_b32_e32 v146, 0x10000, v8
	s_delay_alu instid0(VALU_DEP_2) | instskip(NEXT) | instid1(VALU_DEP_1)
	v_cmp_eq_u32_e64 s2, 0, v145
	v_cndmask_b32_e64 v145, v146, v8, s2
; %bb.22:                               ;   in Loop: Header=BB420_10 Depth=1
	s_or_b32 exec_lo, exec_lo, s3
	v_lshrrev_b16 v146, 8, v148
	v_mov_b32_e32 v8, 0
	s_mov_b32 s3, exec_lo
	s_delay_alu instid0(VALU_DEP_2)
	v_cmpx_ne_u16_e64 0, v146
	s_cbranch_execz .LBB420_30
; %bb.23:                               ;   in Loop: Header=BB420_10 Depth=1
	v_bfrev_b32_e32 v8, 1
	s_mov_b32 s19, exec_lo
	v_cmpx_ne_u16_e64 0x80, v146
	s_cbranch_execz .LBB420_29
; %bb.24:                               ;   in Loop: Header=BB420_10 Depth=1
	v_and_b32_e32 v146, 0xffff, v146
	v_mov_b32_e32 v8, 0x7f800001
	s_mov_b32 s20, exec_lo
	s_delay_alu instid0(VALU_DEP_2) | instskip(NEXT) | instid1(VALU_DEP_1)
	v_and_b32_e32 v147, 0x7f, v146
	v_cmpx_ne_u32_e32 0x7f, v147
	s_cbranch_execz .LBB420_28
; %bb.25:                               ;   in Loop: Header=BB420_10 Depth=1
	v_and_b32_e32 v8, 7, v146
	v_lshrrev_b32_e32 v146, 3, v147
	s_mov_b32 s21, exec_lo
	v_cmpx_gt_u32_e32 8, v147
; %bb.26:                               ;   in Loop: Header=BB420_10 Depth=1
	s_delay_alu instid0(VALU_DEP_3) | instskip(NEXT) | instid1(VALU_DEP_1)
	v_clz_i32_u32_e32 v146, v8
	v_min_u32_e32 v146, 32, v146
	s_delay_alu instid0(VALU_DEP_1) | instskip(SKIP_1) | instid1(VALU_DEP_2)
	v_subrev_nc_u32_e32 v147, 28, v146
	v_sub_nc_u32_e32 v146, 29, v146
	v_lshlrev_b64 v[149:150], v147, v[8:9]
	s_delay_alu instid0(VALU_DEP_1)
	v_and_b32_e32 v8, 7, v149
; %bb.27:                               ;   in Loop: Header=BB420_10 Depth=1
	s_or_b32 exec_lo, exec_lo, s21
	v_lshlrev_b32_e32 v147, 16, v148
	s_delay_alu instid0(VALU_DEP_2) | instskip(SKIP_1) | instid1(VALU_DEP_3)
	v_lshlrev_b32_e32 v8, 20, v8
	v_lshl_add_u32 v146, v146, 23, 0x3c000000
	v_and_b32_e32 v147, 0x80000000, v147
	s_delay_alu instid0(VALU_DEP_1)
	v_or3_b32 v8, v8, v147, v146
.LBB420_28:                             ;   in Loop: Header=BB420_10 Depth=1
	s_or_b32 exec_lo, exec_lo, s20
.LBB420_29:                             ;   in Loop: Header=BB420_10 Depth=1
	s_delay_alu instid0(SALU_CYCLE_1)
	s_or_b32 exec_lo, exec_lo, s19
.LBB420_30:                             ;   in Loop: Header=BB420_10 Depth=1
	s_delay_alu instid0(SALU_CYCLE_1) | instskip(NEXT) | instid1(VALU_DEP_1)
	s_or_b32 exec_lo, exec_lo, s3
	v_mul_f32_e32 v8, v144, v8
	s_delay_alu instid0(VALU_DEP_1) | instskip(NEXT) | instid1(VALU_DEP_1)
	v_and_b32_e32 v146, 0x7f800000, v8
	v_cmp_ne_u32_e64 s2, 0x7f800000, v146
                                        ; implicit-def: $vgpr146
	s_delay_alu instid0(VALU_DEP_1) | instskip(NEXT) | instid1(SALU_CYCLE_1)
	s_and_saveexec_b32 s3, s2
	s_xor_b32 s2, exec_lo, s3
; %bb.31:                               ;   in Loop: Header=BB420_10 Depth=1
	v_bfe_u32 v146, v8, 16, 1
	s_delay_alu instid0(VALU_DEP_1)
	v_add3_u32 v146, v8, v146, 0x7fff
                                        ; implicit-def: $vgpr8
; %bb.32:                               ;   in Loop: Header=BB420_10 Depth=1
	s_and_not1_saveexec_b32 s3, s2
; %bb.33:                               ;   in Loop: Header=BB420_10 Depth=1
	v_and_b32_e32 v146, 0xffff, v8
	v_or_b32_e32 v147, 0x10000, v8
	s_delay_alu instid0(VALU_DEP_2) | instskip(NEXT) | instid1(VALU_DEP_1)
	v_cmp_eq_u32_e64 s2, 0, v146
	v_cndmask_b32_e64 v146, v147, v8, s2
; %bb.34:                               ;   in Loop: Header=BB420_10 Depth=1
	s_or_b32 exec_lo, exec_lo, s3
	v_lshrrev_b32_e32 v147, 16, v148
	s_mov_b32 s3, exec_lo
	s_delay_alu instid0(VALU_DEP_1) | instskip(NEXT) | instid1(VALU_DEP_1)
	v_dual_mov_b32 v8, 0 :: v_dual_and_b32 v149, 0xff, v147
	v_cmpx_ne_u16_e64 0, v149
	s_cbranch_execz .LBB420_42
; %bb.35:                               ;   in Loop: Header=BB420_10 Depth=1
	v_bfrev_b32_e32 v8, 1
	s_mov_b32 s19, exec_lo
	v_cmpx_ne_u16_e64 0x80, v149
	s_cbranch_execz .LBB420_41
; %bb.36:                               ;   in Loop: Header=BB420_10 Depth=1
	v_bfe_u32 v150, v148, 16, 7
	v_mov_b32_e32 v8, 0x7f800001
	s_mov_b32 s20, exec_lo
	s_delay_alu instid0(VALU_DEP_2)
	v_cmpx_ne_u32_e32 0x7f, v150
	s_cbranch_execz .LBB420_40
; %bb.37:                               ;   in Loop: Header=BB420_10 Depth=1
	v_and_b32_e32 v8, 7, v147
	v_lshrrev_b32_e32 v149, 3, v150
	s_mov_b32 s21, exec_lo
	v_cmpx_gt_u32_e32 8, v150
; %bb.38:                               ;   in Loop: Header=BB420_10 Depth=1
	s_delay_alu instid0(VALU_DEP_3) | instskip(NEXT) | instid1(VALU_DEP_1)
	v_clz_i32_u32_e32 v149, v8
	v_min_u32_e32 v149, 32, v149
	s_delay_alu instid0(VALU_DEP_1) | instskip(SKIP_1) | instid1(VALU_DEP_2)
	v_subrev_nc_u32_e32 v150, 28, v149
	v_sub_nc_u32_e32 v149, 29, v149
	v_lshlrev_b64 v[150:151], v150, v[8:9]
	s_delay_alu instid0(VALU_DEP_1)
	v_and_b32_e32 v8, 7, v150
; %bb.39:                               ;   in Loop: Header=BB420_10 Depth=1
	s_or_b32 exec_lo, exec_lo, s21
	v_lshlrev_b32_e32 v147, 24, v147
	s_delay_alu instid0(VALU_DEP_2) | instskip(SKIP_1) | instid1(VALU_DEP_3)
	v_lshlrev_b32_e32 v8, 20, v8
	v_lshl_add_u32 v149, v149, 23, 0x3c000000
	v_and_b32_e32 v147, 0x80000000, v147
	s_delay_alu instid0(VALU_DEP_1)
	v_or3_b32 v8, v8, v147, v149
.LBB420_40:                             ;   in Loop: Header=BB420_10 Depth=1
	s_or_b32 exec_lo, exec_lo, s20
.LBB420_41:                             ;   in Loop: Header=BB420_10 Depth=1
	s_delay_alu instid0(SALU_CYCLE_1)
	s_or_b32 exec_lo, exec_lo, s19
.LBB420_42:                             ;   in Loop: Header=BB420_10 Depth=1
	s_delay_alu instid0(SALU_CYCLE_1) | instskip(NEXT) | instid1(VALU_DEP_1)
	s_or_b32 exec_lo, exec_lo, s3
	v_mul_f32_e32 v8, v144, v8
	s_delay_alu instid0(VALU_DEP_1) | instskip(NEXT) | instid1(VALU_DEP_1)
	v_and_b32_e32 v147, 0x7f800000, v8
	v_cmp_ne_u32_e64 s2, 0x7f800000, v147
                                        ; implicit-def: $vgpr147
	s_delay_alu instid0(VALU_DEP_1) | instskip(NEXT) | instid1(SALU_CYCLE_1)
	s_and_saveexec_b32 s3, s2
	s_xor_b32 s2, exec_lo, s3
; %bb.43:                               ;   in Loop: Header=BB420_10 Depth=1
	v_bfe_u32 v147, v8, 16, 1
	s_delay_alu instid0(VALU_DEP_1)
	v_add3_u32 v147, v8, v147, 0x7fff
                                        ; implicit-def: $vgpr8
; %bb.44:                               ;   in Loop: Header=BB420_10 Depth=1
	s_and_not1_saveexec_b32 s3, s2
; %bb.45:                               ;   in Loop: Header=BB420_10 Depth=1
	v_and_b32_e32 v147, 0xffff, v8
	v_or_b32_e32 v149, 0x10000, v8
	s_delay_alu instid0(VALU_DEP_2) | instskip(NEXT) | instid1(VALU_DEP_1)
	v_cmp_eq_u32_e64 s2, 0, v147
	v_cndmask_b32_e64 v147, v149, v8, s2
; %bb.46:                               ;   in Loop: Header=BB420_10 Depth=1
	s_or_b32 exec_lo, exec_lo, s3
	v_mov_b32_e32 v8, 0
	s_mov_b32 s3, exec_lo
	v_cmpx_lt_u32_e32 0xffffff, v148
	s_cbranch_execz .LBB420_54
; %bb.47:                               ;   in Loop: Header=BB420_10 Depth=1
	v_lshrrev_b32_e32 v149, 24, v148
	v_bfrev_b32_e32 v8, 1
	s_mov_b32 s19, exec_lo
	s_delay_alu instid0(VALU_DEP_2)
	v_cmpx_ne_u32_e32 0x80, v149
	s_cbranch_execz .LBB420_53
; %bb.48:                               ;   in Loop: Header=BB420_10 Depth=1
	v_bfe_u32 v150, v148, 24, 7
	v_mov_b32_e32 v8, 0x7f800001
	s_mov_b32 s20, exec_lo
	s_delay_alu instid0(VALU_DEP_2)
	v_cmpx_ne_u32_e32 0x7f, v150
	s_cbranch_execz .LBB420_52
; %bb.49:                               ;   in Loop: Header=BB420_10 Depth=1
	v_and_b32_e32 v8, 7, v149
	v_lshrrev_b32_e32 v148, 3, v150
	s_mov_b32 s21, exec_lo
	v_cmpx_gt_u32_e32 8, v150
; %bb.50:                               ;   in Loop: Header=BB420_10 Depth=1
	s_delay_alu instid0(VALU_DEP_3) | instskip(NEXT) | instid1(VALU_DEP_1)
	v_clz_i32_u32_e32 v148, v8
	v_min_u32_e32 v148, 32, v148
	s_delay_alu instid0(VALU_DEP_1) | instskip(SKIP_1) | instid1(VALU_DEP_2)
	v_subrev_nc_u32_e32 v150, 28, v148
	v_sub_nc_u32_e32 v148, 29, v148
	v_lshlrev_b64 v[150:151], v150, v[8:9]
	s_delay_alu instid0(VALU_DEP_1)
	v_and_b32_e32 v8, 7, v150
; %bb.51:                               ;   in Loop: Header=BB420_10 Depth=1
	s_or_b32 exec_lo, exec_lo, s21
	v_lshlrev_b32_e32 v149, 24, v149
	s_delay_alu instid0(VALU_DEP_2) | instskip(SKIP_1) | instid1(VALU_DEP_3)
	v_lshlrev_b32_e32 v8, 20, v8
	v_lshl_add_u32 v148, v148, 23, 0x3c000000
	v_and_b32_e32 v149, 0x80000000, v149
	s_delay_alu instid0(VALU_DEP_1)
	v_or3_b32 v8, v8, v149, v148
.LBB420_52:                             ;   in Loop: Header=BB420_10 Depth=1
	s_or_b32 exec_lo, exec_lo, s20
.LBB420_53:                             ;   in Loop: Header=BB420_10 Depth=1
	s_delay_alu instid0(SALU_CYCLE_1)
	s_or_b32 exec_lo, exec_lo, s19
.LBB420_54:                             ;   in Loop: Header=BB420_10 Depth=1
	s_delay_alu instid0(SALU_CYCLE_1) | instskip(NEXT) | instid1(VALU_DEP_1)
	s_or_b32 exec_lo, exec_lo, s3
	v_mul_f32_e32 v8, v144, v8
	s_delay_alu instid0(VALU_DEP_1) | instskip(NEXT) | instid1(VALU_DEP_1)
	v_and_b32_e32 v148, 0x7f800000, v8
	v_cmp_ne_u32_e64 s2, 0x7f800000, v148
                                        ; implicit-def: $vgpr148
	s_delay_alu instid0(VALU_DEP_1) | instskip(NEXT) | instid1(SALU_CYCLE_1)
	s_and_saveexec_b32 s3, s2
	s_xor_b32 s2, exec_lo, s3
; %bb.55:                               ;   in Loop: Header=BB420_10 Depth=1
	v_bfe_u32 v148, v8, 16, 1
	s_delay_alu instid0(VALU_DEP_1)
	v_add3_u32 v148, v8, v148, 0x7fff
                                        ; implicit-def: $vgpr8
; %bb.56:                               ;   in Loop: Header=BB420_10 Depth=1
	s_and_not1_saveexec_b32 s3, s2
; %bb.57:                               ;   in Loop: Header=BB420_10 Depth=1
	v_and_b32_e32 v148, 0xffff, v8
	v_or_b32_e32 v149, 0x10000, v8
	s_delay_alu instid0(VALU_DEP_2) | instskip(NEXT) | instid1(VALU_DEP_1)
	v_cmp_eq_u32_e64 s2, 0, v148
	v_cndmask_b32_e64 v148, v149, v8, s2
; %bb.58:                               ;   in Loop: Header=BB420_10 Depth=1
	s_or_b32 exec_lo, exec_lo, s3
	flat_load_b32 v160, v[28:29] offset:8
	s_mov_b32 s3, exec_lo
	s_waitcnt vmcnt(0) lgkmcnt(0)
	v_dual_mov_b32 v8, 0 :: v_dual_and_b32 v149, 0xff, v160
	s_delay_alu instid0(VALU_DEP_1)
	v_cmpx_ne_u16_e64 0, v149
	s_cbranch_execz .LBB420_66
; %bb.59:                               ;   in Loop: Header=BB420_10 Depth=1
	v_bfrev_b32_e32 v8, 1
	s_mov_b32 s19, exec_lo
	v_cmpx_ne_u16_e64 0x80, v149
	s_cbranch_execz .LBB420_65
; %bb.60:                               ;   in Loop: Header=BB420_10 Depth=1
	v_and_b32_e32 v150, 0x7f, v160
	v_mov_b32_e32 v8, 0x7f800001
	s_mov_b32 s20, exec_lo
	s_delay_alu instid0(VALU_DEP_2)
	v_cmpx_ne_u32_e32 0x7f, v150
	s_cbranch_execz .LBB420_64
; %bb.61:                               ;   in Loop: Header=BB420_10 Depth=1
	v_and_b32_e32 v8, 7, v160
	v_lshrrev_b32_e32 v149, 3, v150
	s_mov_b32 s21, exec_lo
	v_cmpx_gt_u32_e32 8, v150
; %bb.62:                               ;   in Loop: Header=BB420_10 Depth=1
	s_delay_alu instid0(VALU_DEP_3) | instskip(NEXT) | instid1(VALU_DEP_1)
	v_clz_i32_u32_e32 v149, v8
	v_min_u32_e32 v149, 32, v149
	s_delay_alu instid0(VALU_DEP_1) | instskip(SKIP_1) | instid1(VALU_DEP_2)
	v_subrev_nc_u32_e32 v150, 28, v149
	v_sub_nc_u32_e32 v149, 29, v149
	v_lshlrev_b64 v[150:151], v150, v[8:9]
	s_delay_alu instid0(VALU_DEP_1)
	v_and_b32_e32 v8, 7, v150
; %bb.63:                               ;   in Loop: Header=BB420_10 Depth=1
	s_or_b32 exec_lo, exec_lo, s21
	v_lshlrev_b32_e32 v150, 24, v160
	s_delay_alu instid0(VALU_DEP_2) | instskip(SKIP_1) | instid1(VALU_DEP_3)
	v_lshlrev_b32_e32 v8, 20, v8
	v_lshl_add_u32 v149, v149, 23, 0x3c000000
	v_and_b32_e32 v150, 0x80000000, v150
	s_delay_alu instid0(VALU_DEP_1)
	v_or3_b32 v8, v8, v150, v149
.LBB420_64:                             ;   in Loop: Header=BB420_10 Depth=1
	s_or_b32 exec_lo, exec_lo, s20
.LBB420_65:                             ;   in Loop: Header=BB420_10 Depth=1
	s_delay_alu instid0(SALU_CYCLE_1)
	s_or_b32 exec_lo, exec_lo, s19
.LBB420_66:                             ;   in Loop: Header=BB420_10 Depth=1
	s_delay_alu instid0(SALU_CYCLE_1) | instskip(NEXT) | instid1(VALU_DEP_1)
	s_or_b32 exec_lo, exec_lo, s3
	v_mul_f32_e32 v8, v144, v8
	s_delay_alu instid0(VALU_DEP_1) | instskip(NEXT) | instid1(VALU_DEP_1)
	v_and_b32_e32 v149, 0x7f800000, v8
	v_cmp_ne_u32_e64 s2, 0x7f800000, v149
                                        ; implicit-def: $vgpr149
	s_delay_alu instid0(VALU_DEP_1) | instskip(NEXT) | instid1(SALU_CYCLE_1)
	s_and_saveexec_b32 s3, s2
	s_xor_b32 s2, exec_lo, s3
; %bb.67:                               ;   in Loop: Header=BB420_10 Depth=1
	v_bfe_u32 v149, v8, 16, 1
	s_delay_alu instid0(VALU_DEP_1)
	v_add3_u32 v149, v8, v149, 0x7fff
                                        ; implicit-def: $vgpr8
; %bb.68:                               ;   in Loop: Header=BB420_10 Depth=1
	s_and_not1_saveexec_b32 s3, s2
; %bb.69:                               ;   in Loop: Header=BB420_10 Depth=1
	v_and_b32_e32 v149, 0xffff, v8
	v_or_b32_e32 v150, 0x10000, v8
	s_delay_alu instid0(VALU_DEP_2) | instskip(NEXT) | instid1(VALU_DEP_1)
	v_cmp_eq_u32_e64 s2, 0, v149
	v_cndmask_b32_e64 v149, v150, v8, s2
; %bb.70:                               ;   in Loop: Header=BB420_10 Depth=1
	s_or_b32 exec_lo, exec_lo, s3
	v_lshrrev_b16 v150, 8, v160
	v_mov_b32_e32 v8, 0
	s_mov_b32 s3, exec_lo
	s_delay_alu instid0(VALU_DEP_2)
	v_cmpx_ne_u16_e64 0, v150
	s_cbranch_execz .LBB420_78
; %bb.71:                               ;   in Loop: Header=BB420_10 Depth=1
	v_bfrev_b32_e32 v8, 1
	s_mov_b32 s19, exec_lo
	v_cmpx_ne_u16_e64 0x80, v150
	s_cbranch_execz .LBB420_77
; %bb.72:                               ;   in Loop: Header=BB420_10 Depth=1
	v_and_b32_e32 v150, 0xffff, v150
	v_mov_b32_e32 v8, 0x7f800001
	s_mov_b32 s20, exec_lo
	s_delay_alu instid0(VALU_DEP_2) | instskip(NEXT) | instid1(VALU_DEP_1)
	v_and_b32_e32 v151, 0x7f, v150
	v_cmpx_ne_u32_e32 0x7f, v151
	s_cbranch_execz .LBB420_76
; %bb.73:                               ;   in Loop: Header=BB420_10 Depth=1
	v_and_b32_e32 v8, 7, v150
	v_lshrrev_b32_e32 v150, 3, v151
	s_mov_b32 s21, exec_lo
	v_cmpx_gt_u32_e32 8, v151
; %bb.74:                               ;   in Loop: Header=BB420_10 Depth=1
	s_delay_alu instid0(VALU_DEP_3) | instskip(NEXT) | instid1(VALU_DEP_1)
	v_clz_i32_u32_e32 v150, v8
	v_min_u32_e32 v150, 32, v150
	s_delay_alu instid0(VALU_DEP_1) | instskip(SKIP_1) | instid1(VALU_DEP_2)
	v_subrev_nc_u32_e32 v151, 28, v150
	v_sub_nc_u32_e32 v150, 29, v150
	v_lshlrev_b64 v[161:162], v151, v[8:9]
	s_delay_alu instid0(VALU_DEP_1)
	v_and_b32_e32 v8, 7, v161
; %bb.75:                               ;   in Loop: Header=BB420_10 Depth=1
	s_or_b32 exec_lo, exec_lo, s21
	v_lshlrev_b32_e32 v151, 16, v160
	s_delay_alu instid0(VALU_DEP_2) | instskip(SKIP_1) | instid1(VALU_DEP_3)
	v_lshlrev_b32_e32 v8, 20, v8
	v_lshl_add_u32 v150, v150, 23, 0x3c000000
	v_and_b32_e32 v151, 0x80000000, v151
	s_delay_alu instid0(VALU_DEP_1)
	v_or3_b32 v8, v8, v151, v150
.LBB420_76:                             ;   in Loop: Header=BB420_10 Depth=1
	s_or_b32 exec_lo, exec_lo, s20
.LBB420_77:                             ;   in Loop: Header=BB420_10 Depth=1
	s_delay_alu instid0(SALU_CYCLE_1)
	s_or_b32 exec_lo, exec_lo, s19
.LBB420_78:                             ;   in Loop: Header=BB420_10 Depth=1
	s_delay_alu instid0(SALU_CYCLE_1) | instskip(NEXT) | instid1(VALU_DEP_1)
	s_or_b32 exec_lo, exec_lo, s3
	v_mul_f32_e32 v8, v144, v8
	s_delay_alu instid0(VALU_DEP_1) | instskip(NEXT) | instid1(VALU_DEP_1)
	v_and_b32_e32 v150, 0x7f800000, v8
	v_cmp_ne_u32_e64 s2, 0x7f800000, v150
                                        ; implicit-def: $vgpr150
	s_delay_alu instid0(VALU_DEP_1) | instskip(NEXT) | instid1(SALU_CYCLE_1)
	s_and_saveexec_b32 s3, s2
	s_xor_b32 s2, exec_lo, s3
; %bb.79:                               ;   in Loop: Header=BB420_10 Depth=1
	v_bfe_u32 v150, v8, 16, 1
	s_delay_alu instid0(VALU_DEP_1)
	v_add3_u32 v150, v8, v150, 0x7fff
                                        ; implicit-def: $vgpr8
; %bb.80:                               ;   in Loop: Header=BB420_10 Depth=1
	s_and_not1_saveexec_b32 s3, s2
; %bb.81:                               ;   in Loop: Header=BB420_10 Depth=1
	v_and_b32_e32 v150, 0xffff, v8
	v_or_b32_e32 v151, 0x10000, v8
	s_delay_alu instid0(VALU_DEP_2) | instskip(NEXT) | instid1(VALU_DEP_1)
	v_cmp_eq_u32_e64 s2, 0, v150
	v_cndmask_b32_e64 v150, v151, v8, s2
; %bb.82:                               ;   in Loop: Header=BB420_10 Depth=1
	s_or_b32 exec_lo, exec_lo, s3
	v_lshrrev_b32_e32 v151, 16, v160
	s_mov_b32 s3, exec_lo
	s_delay_alu instid0(VALU_DEP_1) | instskip(NEXT) | instid1(VALU_DEP_1)
	v_dual_mov_b32 v8, 0 :: v_dual_and_b32 v161, 0xff, v151
	v_cmpx_ne_u16_e64 0, v161
	s_cbranch_execz .LBB420_90
; %bb.83:                               ;   in Loop: Header=BB420_10 Depth=1
	v_bfrev_b32_e32 v8, 1
	s_mov_b32 s19, exec_lo
	v_cmpx_ne_u16_e64 0x80, v161
	s_cbranch_execz .LBB420_89
; %bb.84:                               ;   in Loop: Header=BB420_10 Depth=1
	v_bfe_u32 v162, v160, 16, 7
	v_mov_b32_e32 v8, 0x7f800001
	s_mov_b32 s20, exec_lo
	s_delay_alu instid0(VALU_DEP_2)
	v_cmpx_ne_u32_e32 0x7f, v162
	s_cbranch_execz .LBB420_88
; %bb.85:                               ;   in Loop: Header=BB420_10 Depth=1
	v_and_b32_e32 v8, 7, v151
	v_lshrrev_b32_e32 v161, 3, v162
	s_mov_b32 s21, exec_lo
	v_cmpx_gt_u32_e32 8, v162
; %bb.86:                               ;   in Loop: Header=BB420_10 Depth=1
	s_delay_alu instid0(VALU_DEP_3) | instskip(NEXT) | instid1(VALU_DEP_1)
	v_clz_i32_u32_e32 v161, v8
	v_min_u32_e32 v161, 32, v161
	s_delay_alu instid0(VALU_DEP_1) | instskip(SKIP_1) | instid1(VALU_DEP_2)
	v_subrev_nc_u32_e32 v162, 28, v161
	v_sub_nc_u32_e32 v161, 29, v161
	v_lshlrev_b64 v[162:163], v162, v[8:9]
	s_delay_alu instid0(VALU_DEP_1)
	v_and_b32_e32 v8, 7, v162
; %bb.87:                               ;   in Loop: Header=BB420_10 Depth=1
	s_or_b32 exec_lo, exec_lo, s21
	v_lshlrev_b32_e32 v151, 24, v151
	s_delay_alu instid0(VALU_DEP_2) | instskip(SKIP_1) | instid1(VALU_DEP_3)
	v_lshlrev_b32_e32 v8, 20, v8
	v_lshl_add_u32 v161, v161, 23, 0x3c000000
	v_and_b32_e32 v151, 0x80000000, v151
	s_delay_alu instid0(VALU_DEP_1)
	v_or3_b32 v8, v8, v151, v161
.LBB420_88:                             ;   in Loop: Header=BB420_10 Depth=1
	s_or_b32 exec_lo, exec_lo, s20
.LBB420_89:                             ;   in Loop: Header=BB420_10 Depth=1
	s_delay_alu instid0(SALU_CYCLE_1)
	s_or_b32 exec_lo, exec_lo, s19
.LBB420_90:                             ;   in Loop: Header=BB420_10 Depth=1
	s_delay_alu instid0(SALU_CYCLE_1) | instskip(NEXT) | instid1(VALU_DEP_1)
	s_or_b32 exec_lo, exec_lo, s3
	v_mul_f32_e32 v8, v144, v8
	s_delay_alu instid0(VALU_DEP_1) | instskip(NEXT) | instid1(VALU_DEP_1)
	v_and_b32_e32 v151, 0x7f800000, v8
	v_cmp_ne_u32_e64 s2, 0x7f800000, v151
                                        ; implicit-def: $vgpr151
	s_delay_alu instid0(VALU_DEP_1) | instskip(NEXT) | instid1(SALU_CYCLE_1)
	s_and_saveexec_b32 s3, s2
	s_xor_b32 s2, exec_lo, s3
; %bb.91:                               ;   in Loop: Header=BB420_10 Depth=1
	v_bfe_u32 v151, v8, 16, 1
	s_delay_alu instid0(VALU_DEP_1)
	v_add3_u32 v151, v8, v151, 0x7fff
                                        ; implicit-def: $vgpr8
; %bb.92:                               ;   in Loop: Header=BB420_10 Depth=1
	s_and_not1_saveexec_b32 s3, s2
; %bb.93:                               ;   in Loop: Header=BB420_10 Depth=1
	v_and_b32_e32 v151, 0xffff, v8
	v_or_b32_e32 v161, 0x10000, v8
	s_delay_alu instid0(VALU_DEP_2) | instskip(NEXT) | instid1(VALU_DEP_1)
	v_cmp_eq_u32_e64 s2, 0, v151
	v_cndmask_b32_e64 v151, v161, v8, s2
; %bb.94:                               ;   in Loop: Header=BB420_10 Depth=1
	s_or_b32 exec_lo, exec_lo, s3
	v_mov_b32_e32 v8, 0
	s_mov_b32 s3, exec_lo
	v_cmpx_lt_u32_e32 0xffffff, v160
	s_cbranch_execz .LBB420_102
; %bb.95:                               ;   in Loop: Header=BB420_10 Depth=1
	v_lshrrev_b32_e32 v161, 24, v160
	v_bfrev_b32_e32 v8, 1
	s_mov_b32 s19, exec_lo
	s_delay_alu instid0(VALU_DEP_2)
	v_cmpx_ne_u32_e32 0x80, v161
	s_cbranch_execz .LBB420_101
; %bb.96:                               ;   in Loop: Header=BB420_10 Depth=1
	v_bfe_u32 v162, v160, 24, 7
	v_mov_b32_e32 v8, 0x7f800001
	s_mov_b32 s20, exec_lo
	s_delay_alu instid0(VALU_DEP_2)
	v_cmpx_ne_u32_e32 0x7f, v162
	s_cbranch_execz .LBB420_100
; %bb.97:                               ;   in Loop: Header=BB420_10 Depth=1
	v_and_b32_e32 v8, 7, v161
	v_lshrrev_b32_e32 v160, 3, v162
	s_mov_b32 s21, exec_lo
	v_cmpx_gt_u32_e32 8, v162
; %bb.98:                               ;   in Loop: Header=BB420_10 Depth=1
	s_delay_alu instid0(VALU_DEP_3) | instskip(NEXT) | instid1(VALU_DEP_1)
	v_clz_i32_u32_e32 v160, v8
	v_min_u32_e32 v160, 32, v160
	s_delay_alu instid0(VALU_DEP_1) | instskip(SKIP_1) | instid1(VALU_DEP_2)
	v_subrev_nc_u32_e32 v162, 28, v160
	v_sub_nc_u32_e32 v160, 29, v160
	v_lshlrev_b64 v[162:163], v162, v[8:9]
	s_delay_alu instid0(VALU_DEP_1)
	v_and_b32_e32 v8, 7, v162
; %bb.99:                               ;   in Loop: Header=BB420_10 Depth=1
	s_or_b32 exec_lo, exec_lo, s21
	v_lshlrev_b32_e32 v161, 24, v161
	s_delay_alu instid0(VALU_DEP_2) | instskip(SKIP_1) | instid1(VALU_DEP_3)
	v_lshlrev_b32_e32 v8, 20, v8
	v_lshl_add_u32 v160, v160, 23, 0x3c000000
	v_and_b32_e32 v161, 0x80000000, v161
	s_delay_alu instid0(VALU_DEP_1)
	v_or3_b32 v8, v8, v161, v160
.LBB420_100:                            ;   in Loop: Header=BB420_10 Depth=1
	s_or_b32 exec_lo, exec_lo, s20
.LBB420_101:                            ;   in Loop: Header=BB420_10 Depth=1
	s_delay_alu instid0(SALU_CYCLE_1)
	s_or_b32 exec_lo, exec_lo, s19
.LBB420_102:                            ;   in Loop: Header=BB420_10 Depth=1
	s_delay_alu instid0(SALU_CYCLE_1) | instskip(NEXT) | instid1(VALU_DEP_1)
	s_or_b32 exec_lo, exec_lo, s3
	v_mul_f32_e32 v8, v144, v8
	s_delay_alu instid0(VALU_DEP_1) | instskip(NEXT) | instid1(VALU_DEP_1)
	v_and_b32_e32 v160, 0x7f800000, v8
	v_cmp_ne_u32_e64 s2, 0x7f800000, v160
                                        ; implicit-def: $vgpr160
	s_delay_alu instid0(VALU_DEP_1) | instskip(NEXT) | instid1(SALU_CYCLE_1)
	s_and_saveexec_b32 s3, s2
	s_xor_b32 s2, exec_lo, s3
; %bb.103:                              ;   in Loop: Header=BB420_10 Depth=1
	v_bfe_u32 v160, v8, 16, 1
	s_delay_alu instid0(VALU_DEP_1)
	v_add3_u32 v160, v8, v160, 0x7fff
                                        ; implicit-def: $vgpr8
; %bb.104:                              ;   in Loop: Header=BB420_10 Depth=1
	s_and_not1_saveexec_b32 s3, s2
; %bb.105:                              ;   in Loop: Header=BB420_10 Depth=1
	v_and_b32_e32 v160, 0xffff, v8
	v_or_b32_e32 v161, 0x10000, v8
	s_delay_alu instid0(VALU_DEP_2) | instskip(NEXT) | instid1(VALU_DEP_1)
	v_cmp_eq_u32_e64 s2, 0, v160
	v_cndmask_b32_e64 v160, v161, v8, s2
; %bb.106:                              ;   in Loop: Header=BB420_10 Depth=1
	s_or_b32 exec_lo, exec_lo, s3
	flat_load_b32 v164, v[28:29] offset:256
	s_mov_b32 s3, exec_lo
	s_waitcnt vmcnt(0) lgkmcnt(0)
	v_dual_mov_b32 v8, 0 :: v_dual_and_b32 v161, 0xff, v164
	s_delay_alu instid0(VALU_DEP_1)
	v_cmpx_ne_u16_e64 0, v161
	s_cbranch_execz .LBB420_114
; %bb.107:                              ;   in Loop: Header=BB420_10 Depth=1
	v_bfrev_b32_e32 v8, 1
	s_mov_b32 s19, exec_lo
	v_cmpx_ne_u16_e64 0x80, v161
	s_cbranch_execz .LBB420_113
; %bb.108:                              ;   in Loop: Header=BB420_10 Depth=1
	v_and_b32_e32 v162, 0x7f, v164
	v_mov_b32_e32 v8, 0x7f800001
	s_mov_b32 s20, exec_lo
	s_delay_alu instid0(VALU_DEP_2)
	v_cmpx_ne_u32_e32 0x7f, v162
	s_cbranch_execz .LBB420_112
; %bb.109:                              ;   in Loop: Header=BB420_10 Depth=1
	v_and_b32_e32 v8, 7, v164
	v_lshrrev_b32_e32 v161, 3, v162
	s_mov_b32 s21, exec_lo
	v_cmpx_gt_u32_e32 8, v162
; %bb.110:                              ;   in Loop: Header=BB420_10 Depth=1
	s_delay_alu instid0(VALU_DEP_3) | instskip(NEXT) | instid1(VALU_DEP_1)
	v_clz_i32_u32_e32 v161, v8
	v_min_u32_e32 v161, 32, v161
	s_delay_alu instid0(VALU_DEP_1) | instskip(SKIP_1) | instid1(VALU_DEP_2)
	v_subrev_nc_u32_e32 v162, 28, v161
	v_sub_nc_u32_e32 v161, 29, v161
	v_lshlrev_b64 v[162:163], v162, v[8:9]
	s_delay_alu instid0(VALU_DEP_1)
	v_and_b32_e32 v8, 7, v162
; %bb.111:                              ;   in Loop: Header=BB420_10 Depth=1
	s_or_b32 exec_lo, exec_lo, s21
	v_lshlrev_b32_e32 v162, 24, v164
	s_delay_alu instid0(VALU_DEP_2) | instskip(SKIP_1) | instid1(VALU_DEP_3)
	v_lshlrev_b32_e32 v8, 20, v8
	v_lshl_add_u32 v161, v161, 23, 0x3c000000
	v_and_b32_e32 v162, 0x80000000, v162
	s_delay_alu instid0(VALU_DEP_1)
	v_or3_b32 v8, v8, v162, v161
.LBB420_112:                            ;   in Loop: Header=BB420_10 Depth=1
	s_or_b32 exec_lo, exec_lo, s20
.LBB420_113:                            ;   in Loop: Header=BB420_10 Depth=1
	s_delay_alu instid0(SALU_CYCLE_1)
	s_or_b32 exec_lo, exec_lo, s19
.LBB420_114:                            ;   in Loop: Header=BB420_10 Depth=1
	s_delay_alu instid0(SALU_CYCLE_1) | instskip(NEXT) | instid1(VALU_DEP_1)
	s_or_b32 exec_lo, exec_lo, s3
	v_mul_f32_e32 v8, v144, v8
	s_delay_alu instid0(VALU_DEP_1) | instskip(NEXT) | instid1(VALU_DEP_1)
	v_and_b32_e32 v161, 0x7f800000, v8
	v_cmp_ne_u32_e64 s2, 0x7f800000, v161
                                        ; implicit-def: $vgpr161
	s_delay_alu instid0(VALU_DEP_1) | instskip(NEXT) | instid1(SALU_CYCLE_1)
	s_and_saveexec_b32 s3, s2
	s_xor_b32 s2, exec_lo, s3
; %bb.115:                              ;   in Loop: Header=BB420_10 Depth=1
	v_bfe_u32 v161, v8, 16, 1
	s_delay_alu instid0(VALU_DEP_1)
	v_add3_u32 v161, v8, v161, 0x7fff
                                        ; implicit-def: $vgpr8
; %bb.116:                              ;   in Loop: Header=BB420_10 Depth=1
	s_and_not1_saveexec_b32 s3, s2
; %bb.117:                              ;   in Loop: Header=BB420_10 Depth=1
	v_and_b32_e32 v161, 0xffff, v8
	v_or_b32_e32 v162, 0x10000, v8
	s_delay_alu instid0(VALU_DEP_2) | instskip(NEXT) | instid1(VALU_DEP_1)
	v_cmp_eq_u32_e64 s2, 0, v161
	v_cndmask_b32_e64 v161, v162, v8, s2
; %bb.118:                              ;   in Loop: Header=BB420_10 Depth=1
	s_or_b32 exec_lo, exec_lo, s3
	v_lshrrev_b16 v162, 8, v164
	v_mov_b32_e32 v8, 0
	s_mov_b32 s3, exec_lo
	s_delay_alu instid0(VALU_DEP_2)
	v_cmpx_ne_u16_e64 0, v162
	s_cbranch_execz .LBB420_126
; %bb.119:                              ;   in Loop: Header=BB420_10 Depth=1
	v_bfrev_b32_e32 v8, 1
	s_mov_b32 s19, exec_lo
	v_cmpx_ne_u16_e64 0x80, v162
	s_cbranch_execz .LBB420_125
; %bb.120:                              ;   in Loop: Header=BB420_10 Depth=1
	v_and_b32_e32 v162, 0xffff, v162
	v_mov_b32_e32 v8, 0x7f800001
	s_mov_b32 s20, exec_lo
	s_delay_alu instid0(VALU_DEP_2) | instskip(NEXT) | instid1(VALU_DEP_1)
	v_and_b32_e32 v163, 0x7f, v162
	v_cmpx_ne_u32_e32 0x7f, v163
	s_cbranch_execz .LBB420_124
; %bb.121:                              ;   in Loop: Header=BB420_10 Depth=1
	v_and_b32_e32 v8, 7, v162
	v_lshrrev_b32_e32 v162, 3, v163
	s_mov_b32 s21, exec_lo
	v_cmpx_gt_u32_e32 8, v163
; %bb.122:                              ;   in Loop: Header=BB420_10 Depth=1
	s_delay_alu instid0(VALU_DEP_3) | instskip(NEXT) | instid1(VALU_DEP_1)
	v_clz_i32_u32_e32 v162, v8
	v_min_u32_e32 v162, 32, v162
	s_delay_alu instid0(VALU_DEP_1) | instskip(SKIP_1) | instid1(VALU_DEP_2)
	v_subrev_nc_u32_e32 v163, 28, v162
	v_sub_nc_u32_e32 v162, 29, v162
	v_lshlrev_b64 v[165:166], v163, v[8:9]
	s_delay_alu instid0(VALU_DEP_1)
	v_and_b32_e32 v8, 7, v165
; %bb.123:                              ;   in Loop: Header=BB420_10 Depth=1
	s_or_b32 exec_lo, exec_lo, s21
	v_lshlrev_b32_e32 v163, 16, v164
	s_delay_alu instid0(VALU_DEP_2) | instskip(SKIP_1) | instid1(VALU_DEP_3)
	v_lshlrev_b32_e32 v8, 20, v8
	v_lshl_add_u32 v162, v162, 23, 0x3c000000
	v_and_b32_e32 v163, 0x80000000, v163
	s_delay_alu instid0(VALU_DEP_1)
	v_or3_b32 v8, v8, v163, v162
.LBB420_124:                            ;   in Loop: Header=BB420_10 Depth=1
	s_or_b32 exec_lo, exec_lo, s20
.LBB420_125:                            ;   in Loop: Header=BB420_10 Depth=1
	s_delay_alu instid0(SALU_CYCLE_1)
	s_or_b32 exec_lo, exec_lo, s19
.LBB420_126:                            ;   in Loop: Header=BB420_10 Depth=1
	s_delay_alu instid0(SALU_CYCLE_1) | instskip(NEXT) | instid1(VALU_DEP_1)
	s_or_b32 exec_lo, exec_lo, s3
	v_mul_f32_e32 v8, v144, v8
	s_delay_alu instid0(VALU_DEP_1) | instskip(NEXT) | instid1(VALU_DEP_1)
	v_and_b32_e32 v162, 0x7f800000, v8
	v_cmp_ne_u32_e64 s2, 0x7f800000, v162
                                        ; implicit-def: $vgpr162
	s_delay_alu instid0(VALU_DEP_1) | instskip(NEXT) | instid1(SALU_CYCLE_1)
	s_and_saveexec_b32 s3, s2
	s_xor_b32 s2, exec_lo, s3
; %bb.127:                              ;   in Loop: Header=BB420_10 Depth=1
	v_bfe_u32 v162, v8, 16, 1
	s_delay_alu instid0(VALU_DEP_1)
	v_add3_u32 v162, v8, v162, 0x7fff
                                        ; implicit-def: $vgpr8
; %bb.128:                              ;   in Loop: Header=BB420_10 Depth=1
	s_and_not1_saveexec_b32 s3, s2
; %bb.129:                              ;   in Loop: Header=BB420_10 Depth=1
	v_and_b32_e32 v162, 0xffff, v8
	v_or_b32_e32 v163, 0x10000, v8
	s_delay_alu instid0(VALU_DEP_2) | instskip(NEXT) | instid1(VALU_DEP_1)
	v_cmp_eq_u32_e64 s2, 0, v162
	v_cndmask_b32_e64 v162, v163, v8, s2
; %bb.130:                              ;   in Loop: Header=BB420_10 Depth=1
	s_or_b32 exec_lo, exec_lo, s3
	v_lshrrev_b32_e32 v163, 16, v164
	s_mov_b32 s3, exec_lo
	s_delay_alu instid0(VALU_DEP_1) | instskip(NEXT) | instid1(VALU_DEP_1)
	v_dual_mov_b32 v8, 0 :: v_dual_and_b32 v165, 0xff, v163
	v_cmpx_ne_u16_e64 0, v165
	s_cbranch_execz .LBB420_138
; %bb.131:                              ;   in Loop: Header=BB420_10 Depth=1
	v_bfrev_b32_e32 v8, 1
	s_mov_b32 s19, exec_lo
	v_cmpx_ne_u16_e64 0x80, v165
	s_cbranch_execz .LBB420_137
; %bb.132:                              ;   in Loop: Header=BB420_10 Depth=1
	v_bfe_u32 v166, v164, 16, 7
	v_mov_b32_e32 v8, 0x7f800001
	s_mov_b32 s20, exec_lo
	s_delay_alu instid0(VALU_DEP_2)
	v_cmpx_ne_u32_e32 0x7f, v166
	s_cbranch_execz .LBB420_136
; %bb.133:                              ;   in Loop: Header=BB420_10 Depth=1
	v_and_b32_e32 v8, 7, v163
	v_lshrrev_b32_e32 v165, 3, v166
	s_mov_b32 s21, exec_lo
	v_cmpx_gt_u32_e32 8, v166
; %bb.134:                              ;   in Loop: Header=BB420_10 Depth=1
	s_delay_alu instid0(VALU_DEP_3) | instskip(NEXT) | instid1(VALU_DEP_1)
	v_clz_i32_u32_e32 v165, v8
	v_min_u32_e32 v165, 32, v165
	s_delay_alu instid0(VALU_DEP_1) | instskip(SKIP_1) | instid1(VALU_DEP_2)
	v_subrev_nc_u32_e32 v166, 28, v165
	v_sub_nc_u32_e32 v165, 29, v165
	v_lshlrev_b64 v[166:167], v166, v[8:9]
	s_delay_alu instid0(VALU_DEP_1)
	v_and_b32_e32 v8, 7, v166
; %bb.135:                              ;   in Loop: Header=BB420_10 Depth=1
	s_or_b32 exec_lo, exec_lo, s21
	v_lshlrev_b32_e32 v163, 24, v163
	s_delay_alu instid0(VALU_DEP_2) | instskip(SKIP_1) | instid1(VALU_DEP_3)
	v_lshlrev_b32_e32 v8, 20, v8
	v_lshl_add_u32 v165, v165, 23, 0x3c000000
	v_and_b32_e32 v163, 0x80000000, v163
	s_delay_alu instid0(VALU_DEP_1)
	v_or3_b32 v8, v8, v163, v165
.LBB420_136:                            ;   in Loop: Header=BB420_10 Depth=1
	s_or_b32 exec_lo, exec_lo, s20
.LBB420_137:                            ;   in Loop: Header=BB420_10 Depth=1
	s_delay_alu instid0(SALU_CYCLE_1)
	s_or_b32 exec_lo, exec_lo, s19
.LBB420_138:                            ;   in Loop: Header=BB420_10 Depth=1
	s_delay_alu instid0(SALU_CYCLE_1) | instskip(NEXT) | instid1(VALU_DEP_1)
	s_or_b32 exec_lo, exec_lo, s3
	v_mul_f32_e32 v8, v144, v8
	s_delay_alu instid0(VALU_DEP_1) | instskip(NEXT) | instid1(VALU_DEP_1)
	v_and_b32_e32 v163, 0x7f800000, v8
	v_cmp_ne_u32_e64 s2, 0x7f800000, v163
                                        ; implicit-def: $vgpr163
	s_delay_alu instid0(VALU_DEP_1) | instskip(NEXT) | instid1(SALU_CYCLE_1)
	s_and_saveexec_b32 s3, s2
	s_xor_b32 s2, exec_lo, s3
; %bb.139:                              ;   in Loop: Header=BB420_10 Depth=1
	v_bfe_u32 v163, v8, 16, 1
	s_delay_alu instid0(VALU_DEP_1)
	v_add3_u32 v163, v8, v163, 0x7fff
                                        ; implicit-def: $vgpr8
; %bb.140:                              ;   in Loop: Header=BB420_10 Depth=1
	s_and_not1_saveexec_b32 s3, s2
; %bb.141:                              ;   in Loop: Header=BB420_10 Depth=1
	v_and_b32_e32 v163, 0xffff, v8
	v_or_b32_e32 v165, 0x10000, v8
	s_delay_alu instid0(VALU_DEP_2) | instskip(NEXT) | instid1(VALU_DEP_1)
	v_cmp_eq_u32_e64 s2, 0, v163
	v_cndmask_b32_e64 v163, v165, v8, s2
; %bb.142:                              ;   in Loop: Header=BB420_10 Depth=1
	s_or_b32 exec_lo, exec_lo, s3
	v_mov_b32_e32 v8, 0
	s_mov_b32 s3, exec_lo
	v_cmpx_lt_u32_e32 0xffffff, v164
	s_cbranch_execz .LBB420_150
; %bb.143:                              ;   in Loop: Header=BB420_10 Depth=1
	v_lshrrev_b32_e32 v165, 24, v164
	v_bfrev_b32_e32 v8, 1
	s_mov_b32 s19, exec_lo
	s_delay_alu instid0(VALU_DEP_2)
	v_cmpx_ne_u32_e32 0x80, v165
	s_cbranch_execz .LBB420_149
; %bb.144:                              ;   in Loop: Header=BB420_10 Depth=1
	v_bfe_u32 v166, v164, 24, 7
	v_mov_b32_e32 v8, 0x7f800001
	s_mov_b32 s20, exec_lo
	s_delay_alu instid0(VALU_DEP_2)
	v_cmpx_ne_u32_e32 0x7f, v166
	s_cbranch_execz .LBB420_148
; %bb.145:                              ;   in Loop: Header=BB420_10 Depth=1
	v_and_b32_e32 v8, 7, v165
	v_lshrrev_b32_e32 v164, 3, v166
	s_mov_b32 s21, exec_lo
	v_cmpx_gt_u32_e32 8, v166
; %bb.146:                              ;   in Loop: Header=BB420_10 Depth=1
	s_delay_alu instid0(VALU_DEP_3) | instskip(NEXT) | instid1(VALU_DEP_1)
	v_clz_i32_u32_e32 v164, v8
	v_min_u32_e32 v164, 32, v164
	s_delay_alu instid0(VALU_DEP_1) | instskip(SKIP_1) | instid1(VALU_DEP_2)
	v_subrev_nc_u32_e32 v166, 28, v164
	v_sub_nc_u32_e32 v164, 29, v164
	v_lshlrev_b64 v[166:167], v166, v[8:9]
	s_delay_alu instid0(VALU_DEP_1)
	v_and_b32_e32 v8, 7, v166
; %bb.147:                              ;   in Loop: Header=BB420_10 Depth=1
	s_or_b32 exec_lo, exec_lo, s21
	v_lshlrev_b32_e32 v165, 24, v165
	s_delay_alu instid0(VALU_DEP_2) | instskip(SKIP_1) | instid1(VALU_DEP_3)
	v_lshlrev_b32_e32 v8, 20, v8
	v_lshl_add_u32 v164, v164, 23, 0x3c000000
	v_and_b32_e32 v165, 0x80000000, v165
	s_delay_alu instid0(VALU_DEP_1)
	v_or3_b32 v8, v8, v165, v164
.LBB420_148:                            ;   in Loop: Header=BB420_10 Depth=1
	s_or_b32 exec_lo, exec_lo, s20
.LBB420_149:                            ;   in Loop: Header=BB420_10 Depth=1
	s_delay_alu instid0(SALU_CYCLE_1)
	s_or_b32 exec_lo, exec_lo, s19
.LBB420_150:                            ;   in Loop: Header=BB420_10 Depth=1
	s_delay_alu instid0(SALU_CYCLE_1) | instskip(NEXT) | instid1(VALU_DEP_1)
	s_or_b32 exec_lo, exec_lo, s3
	v_mul_f32_e32 v8, v144, v8
	s_delay_alu instid0(VALU_DEP_1) | instskip(NEXT) | instid1(VALU_DEP_1)
	v_and_b32_e32 v164, 0x7f800000, v8
	v_cmp_ne_u32_e64 s2, 0x7f800000, v164
                                        ; implicit-def: $vgpr164
	s_delay_alu instid0(VALU_DEP_1) | instskip(NEXT) | instid1(SALU_CYCLE_1)
	s_and_saveexec_b32 s3, s2
	s_xor_b32 s2, exec_lo, s3
; %bb.151:                              ;   in Loop: Header=BB420_10 Depth=1
	v_bfe_u32 v164, v8, 16, 1
	s_delay_alu instid0(VALU_DEP_1)
	v_add3_u32 v164, v8, v164, 0x7fff
                                        ; implicit-def: $vgpr8
; %bb.152:                              ;   in Loop: Header=BB420_10 Depth=1
	s_and_not1_saveexec_b32 s3, s2
; %bb.153:                              ;   in Loop: Header=BB420_10 Depth=1
	v_and_b32_e32 v164, 0xffff, v8
	v_or_b32_e32 v165, 0x10000, v8
	s_delay_alu instid0(VALU_DEP_2) | instskip(NEXT) | instid1(VALU_DEP_1)
	v_cmp_eq_u32_e64 s2, 0, v164
	v_cndmask_b32_e64 v164, v165, v8, s2
; %bb.154:                              ;   in Loop: Header=BB420_10 Depth=1
	s_or_b32 exec_lo, exec_lo, s3
	flat_load_b32 v176, v[28:29] offset:264
	s_mov_b32 s3, exec_lo
	s_waitcnt vmcnt(0) lgkmcnt(0)
	v_dual_mov_b32 v8, 0 :: v_dual_and_b32 v165, 0xff, v176
	s_delay_alu instid0(VALU_DEP_1)
	v_cmpx_ne_u16_e64 0, v165
	s_cbranch_execz .LBB420_162
; %bb.155:                              ;   in Loop: Header=BB420_10 Depth=1
	v_bfrev_b32_e32 v8, 1
	s_mov_b32 s19, exec_lo
	v_cmpx_ne_u16_e64 0x80, v165
	s_cbranch_execz .LBB420_161
; %bb.156:                              ;   in Loop: Header=BB420_10 Depth=1
	v_and_b32_e32 v166, 0x7f, v176
	v_mov_b32_e32 v8, 0x7f800001
	s_mov_b32 s20, exec_lo
	s_delay_alu instid0(VALU_DEP_2)
	v_cmpx_ne_u32_e32 0x7f, v166
	s_cbranch_execz .LBB420_160
; %bb.157:                              ;   in Loop: Header=BB420_10 Depth=1
	v_and_b32_e32 v8, 7, v176
	v_lshrrev_b32_e32 v165, 3, v166
	s_mov_b32 s21, exec_lo
	v_cmpx_gt_u32_e32 8, v166
; %bb.158:                              ;   in Loop: Header=BB420_10 Depth=1
	s_delay_alu instid0(VALU_DEP_3) | instskip(NEXT) | instid1(VALU_DEP_1)
	v_clz_i32_u32_e32 v165, v8
	v_min_u32_e32 v165, 32, v165
	s_delay_alu instid0(VALU_DEP_1) | instskip(SKIP_1) | instid1(VALU_DEP_2)
	v_subrev_nc_u32_e32 v166, 28, v165
	v_sub_nc_u32_e32 v165, 29, v165
	v_lshlrev_b64 v[166:167], v166, v[8:9]
	s_delay_alu instid0(VALU_DEP_1)
	v_and_b32_e32 v8, 7, v166
; %bb.159:                              ;   in Loop: Header=BB420_10 Depth=1
	s_or_b32 exec_lo, exec_lo, s21
	v_lshlrev_b32_e32 v166, 24, v176
	s_delay_alu instid0(VALU_DEP_2) | instskip(SKIP_1) | instid1(VALU_DEP_3)
	v_lshlrev_b32_e32 v8, 20, v8
	v_lshl_add_u32 v165, v165, 23, 0x3c000000
	v_and_b32_e32 v166, 0x80000000, v166
	s_delay_alu instid0(VALU_DEP_1)
	v_or3_b32 v8, v8, v166, v165
.LBB420_160:                            ;   in Loop: Header=BB420_10 Depth=1
	s_or_b32 exec_lo, exec_lo, s20
.LBB420_161:                            ;   in Loop: Header=BB420_10 Depth=1
	s_delay_alu instid0(SALU_CYCLE_1)
	s_or_b32 exec_lo, exec_lo, s19
.LBB420_162:                            ;   in Loop: Header=BB420_10 Depth=1
	s_delay_alu instid0(SALU_CYCLE_1) | instskip(NEXT) | instid1(VALU_DEP_1)
	s_or_b32 exec_lo, exec_lo, s3
	v_mul_f32_e32 v8, v144, v8
	s_delay_alu instid0(VALU_DEP_1) | instskip(NEXT) | instid1(VALU_DEP_1)
	v_and_b32_e32 v165, 0x7f800000, v8
	v_cmp_ne_u32_e64 s2, 0x7f800000, v165
                                        ; implicit-def: $vgpr165
	s_delay_alu instid0(VALU_DEP_1) | instskip(NEXT) | instid1(SALU_CYCLE_1)
	s_and_saveexec_b32 s3, s2
	s_xor_b32 s2, exec_lo, s3
; %bb.163:                              ;   in Loop: Header=BB420_10 Depth=1
	v_bfe_u32 v165, v8, 16, 1
	s_delay_alu instid0(VALU_DEP_1)
	v_add3_u32 v165, v8, v165, 0x7fff
                                        ; implicit-def: $vgpr8
; %bb.164:                              ;   in Loop: Header=BB420_10 Depth=1
	s_and_not1_saveexec_b32 s3, s2
; %bb.165:                              ;   in Loop: Header=BB420_10 Depth=1
	v_and_b32_e32 v165, 0xffff, v8
	v_or_b32_e32 v166, 0x10000, v8
	s_delay_alu instid0(VALU_DEP_2) | instskip(NEXT) | instid1(VALU_DEP_1)
	v_cmp_eq_u32_e64 s2, 0, v165
	v_cndmask_b32_e64 v165, v166, v8, s2
; %bb.166:                              ;   in Loop: Header=BB420_10 Depth=1
	s_or_b32 exec_lo, exec_lo, s3
	v_lshrrev_b16 v166, 8, v176
	v_mov_b32_e32 v8, 0
	s_mov_b32 s3, exec_lo
	s_delay_alu instid0(VALU_DEP_2)
	v_cmpx_ne_u16_e64 0, v166
	s_cbranch_execz .LBB420_174
; %bb.167:                              ;   in Loop: Header=BB420_10 Depth=1
	v_bfrev_b32_e32 v8, 1
	s_mov_b32 s19, exec_lo
	v_cmpx_ne_u16_e64 0x80, v166
	s_cbranch_execz .LBB420_173
; %bb.168:                              ;   in Loop: Header=BB420_10 Depth=1
	v_and_b32_e32 v166, 0xffff, v166
	v_mov_b32_e32 v8, 0x7f800001
	s_mov_b32 s20, exec_lo
	s_delay_alu instid0(VALU_DEP_2) | instskip(NEXT) | instid1(VALU_DEP_1)
	v_and_b32_e32 v167, 0x7f, v166
	v_cmpx_ne_u32_e32 0x7f, v167
	s_cbranch_execz .LBB420_172
; %bb.169:                              ;   in Loop: Header=BB420_10 Depth=1
	v_and_b32_e32 v8, 7, v166
	v_lshrrev_b32_e32 v166, 3, v167
	s_mov_b32 s21, exec_lo
	v_cmpx_gt_u32_e32 8, v167
; %bb.170:                              ;   in Loop: Header=BB420_10 Depth=1
	s_delay_alu instid0(VALU_DEP_3) | instskip(NEXT) | instid1(VALU_DEP_1)
	v_clz_i32_u32_e32 v166, v8
	v_min_u32_e32 v166, 32, v166
	s_delay_alu instid0(VALU_DEP_1) | instskip(SKIP_1) | instid1(VALU_DEP_2)
	v_subrev_nc_u32_e32 v167, 28, v166
	v_sub_nc_u32_e32 v166, 29, v166
	v_lshlrev_b64 v[177:178], v167, v[8:9]
	s_delay_alu instid0(VALU_DEP_1)
	v_and_b32_e32 v8, 7, v177
; %bb.171:                              ;   in Loop: Header=BB420_10 Depth=1
	s_or_b32 exec_lo, exec_lo, s21
	v_lshlrev_b32_e32 v167, 16, v176
	s_delay_alu instid0(VALU_DEP_2) | instskip(SKIP_1) | instid1(VALU_DEP_3)
	v_lshlrev_b32_e32 v8, 20, v8
	v_lshl_add_u32 v166, v166, 23, 0x3c000000
	v_and_b32_e32 v167, 0x80000000, v167
	s_delay_alu instid0(VALU_DEP_1)
	v_or3_b32 v8, v8, v167, v166
.LBB420_172:                            ;   in Loop: Header=BB420_10 Depth=1
	s_or_b32 exec_lo, exec_lo, s20
.LBB420_173:                            ;   in Loop: Header=BB420_10 Depth=1
	s_delay_alu instid0(SALU_CYCLE_1)
	s_or_b32 exec_lo, exec_lo, s19
.LBB420_174:                            ;   in Loop: Header=BB420_10 Depth=1
	s_delay_alu instid0(SALU_CYCLE_1) | instskip(NEXT) | instid1(VALU_DEP_1)
	s_or_b32 exec_lo, exec_lo, s3
	v_mul_f32_e32 v8, v144, v8
	s_delay_alu instid0(VALU_DEP_1) | instskip(NEXT) | instid1(VALU_DEP_1)
	v_and_b32_e32 v166, 0x7f800000, v8
	v_cmp_ne_u32_e64 s2, 0x7f800000, v166
                                        ; implicit-def: $vgpr166
	s_delay_alu instid0(VALU_DEP_1) | instskip(NEXT) | instid1(SALU_CYCLE_1)
	s_and_saveexec_b32 s3, s2
	s_xor_b32 s2, exec_lo, s3
; %bb.175:                              ;   in Loop: Header=BB420_10 Depth=1
	v_bfe_u32 v166, v8, 16, 1
	s_delay_alu instid0(VALU_DEP_1)
	v_add3_u32 v166, v8, v166, 0x7fff
                                        ; implicit-def: $vgpr8
; %bb.176:                              ;   in Loop: Header=BB420_10 Depth=1
	s_and_not1_saveexec_b32 s3, s2
; %bb.177:                              ;   in Loop: Header=BB420_10 Depth=1
	v_and_b32_e32 v166, 0xffff, v8
	v_or_b32_e32 v167, 0x10000, v8
	s_delay_alu instid0(VALU_DEP_2) | instskip(NEXT) | instid1(VALU_DEP_1)
	v_cmp_eq_u32_e64 s2, 0, v166
	v_cndmask_b32_e64 v166, v167, v8, s2
; %bb.178:                              ;   in Loop: Header=BB420_10 Depth=1
	s_or_b32 exec_lo, exec_lo, s3
	v_lshrrev_b32_e32 v167, 16, v176
	s_mov_b32 s3, exec_lo
	s_delay_alu instid0(VALU_DEP_1) | instskip(NEXT) | instid1(VALU_DEP_1)
	v_dual_mov_b32 v8, 0 :: v_dual_and_b32 v177, 0xff, v167
	v_cmpx_ne_u16_e64 0, v177
	s_cbranch_execz .LBB420_186
; %bb.179:                              ;   in Loop: Header=BB420_10 Depth=1
	v_bfrev_b32_e32 v8, 1
	s_mov_b32 s19, exec_lo
	v_cmpx_ne_u16_e64 0x80, v177
	s_cbranch_execz .LBB420_185
; %bb.180:                              ;   in Loop: Header=BB420_10 Depth=1
	v_bfe_u32 v178, v176, 16, 7
	v_mov_b32_e32 v8, 0x7f800001
	s_mov_b32 s20, exec_lo
	s_delay_alu instid0(VALU_DEP_2)
	v_cmpx_ne_u32_e32 0x7f, v178
	s_cbranch_execz .LBB420_184
; %bb.181:                              ;   in Loop: Header=BB420_10 Depth=1
	v_and_b32_e32 v8, 7, v167
	v_lshrrev_b32_e32 v177, 3, v178
	s_mov_b32 s21, exec_lo
	v_cmpx_gt_u32_e32 8, v178
; %bb.182:                              ;   in Loop: Header=BB420_10 Depth=1
	s_delay_alu instid0(VALU_DEP_3) | instskip(NEXT) | instid1(VALU_DEP_1)
	v_clz_i32_u32_e32 v177, v8
	v_min_u32_e32 v177, 32, v177
	s_delay_alu instid0(VALU_DEP_1) | instskip(SKIP_1) | instid1(VALU_DEP_2)
	v_subrev_nc_u32_e32 v178, 28, v177
	v_sub_nc_u32_e32 v177, 29, v177
	v_lshlrev_b64 v[178:179], v178, v[8:9]
	s_delay_alu instid0(VALU_DEP_1)
	v_and_b32_e32 v8, 7, v178
; %bb.183:                              ;   in Loop: Header=BB420_10 Depth=1
	s_or_b32 exec_lo, exec_lo, s21
	v_lshlrev_b32_e32 v167, 24, v167
	s_delay_alu instid0(VALU_DEP_2) | instskip(SKIP_1) | instid1(VALU_DEP_3)
	v_lshlrev_b32_e32 v8, 20, v8
	v_lshl_add_u32 v177, v177, 23, 0x3c000000
	v_and_b32_e32 v167, 0x80000000, v167
	s_delay_alu instid0(VALU_DEP_1)
	v_or3_b32 v8, v8, v167, v177
.LBB420_184:                            ;   in Loop: Header=BB420_10 Depth=1
	s_or_b32 exec_lo, exec_lo, s20
.LBB420_185:                            ;   in Loop: Header=BB420_10 Depth=1
	s_delay_alu instid0(SALU_CYCLE_1)
	s_or_b32 exec_lo, exec_lo, s19
.LBB420_186:                            ;   in Loop: Header=BB420_10 Depth=1
	s_delay_alu instid0(SALU_CYCLE_1) | instskip(NEXT) | instid1(VALU_DEP_1)
	s_or_b32 exec_lo, exec_lo, s3
	v_mul_f32_e32 v8, v144, v8
	s_delay_alu instid0(VALU_DEP_1) | instskip(NEXT) | instid1(VALU_DEP_1)
	v_and_b32_e32 v167, 0x7f800000, v8
	v_cmp_ne_u32_e64 s2, 0x7f800000, v167
                                        ; implicit-def: $vgpr167
	s_delay_alu instid0(VALU_DEP_1) | instskip(NEXT) | instid1(SALU_CYCLE_1)
	s_and_saveexec_b32 s3, s2
	s_xor_b32 s2, exec_lo, s3
; %bb.187:                              ;   in Loop: Header=BB420_10 Depth=1
	v_bfe_u32 v167, v8, 16, 1
	s_delay_alu instid0(VALU_DEP_1)
	v_add3_u32 v167, v8, v167, 0x7fff
                                        ; implicit-def: $vgpr8
; %bb.188:                              ;   in Loop: Header=BB420_10 Depth=1
	s_and_not1_saveexec_b32 s3, s2
; %bb.189:                              ;   in Loop: Header=BB420_10 Depth=1
	v_and_b32_e32 v167, 0xffff, v8
	v_or_b32_e32 v177, 0x10000, v8
	s_delay_alu instid0(VALU_DEP_2) | instskip(NEXT) | instid1(VALU_DEP_1)
	v_cmp_eq_u32_e64 s2, 0, v167
	v_cndmask_b32_e64 v167, v177, v8, s2
; %bb.190:                              ;   in Loop: Header=BB420_10 Depth=1
	s_or_b32 exec_lo, exec_lo, s3
	v_mov_b32_e32 v8, 0
	s_mov_b32 s3, exec_lo
	v_cmpx_lt_u32_e32 0xffffff, v176
	s_cbranch_execz .LBB420_198
; %bb.191:                              ;   in Loop: Header=BB420_10 Depth=1
	v_lshrrev_b32_e32 v177, 24, v176
	v_bfrev_b32_e32 v8, 1
	s_mov_b32 s19, exec_lo
	s_delay_alu instid0(VALU_DEP_2)
	v_cmpx_ne_u32_e32 0x80, v177
	s_cbranch_execz .LBB420_197
; %bb.192:                              ;   in Loop: Header=BB420_10 Depth=1
	v_bfe_u32 v178, v176, 24, 7
	v_mov_b32_e32 v8, 0x7f800001
	s_mov_b32 s20, exec_lo
	s_delay_alu instid0(VALU_DEP_2)
	v_cmpx_ne_u32_e32 0x7f, v178
	s_cbranch_execz .LBB420_196
; %bb.193:                              ;   in Loop: Header=BB420_10 Depth=1
	v_and_b32_e32 v8, 7, v177
	v_lshrrev_b32_e32 v176, 3, v178
	s_mov_b32 s21, exec_lo
	v_cmpx_gt_u32_e32 8, v178
; %bb.194:                              ;   in Loop: Header=BB420_10 Depth=1
	s_delay_alu instid0(VALU_DEP_3) | instskip(NEXT) | instid1(VALU_DEP_1)
	v_clz_i32_u32_e32 v176, v8
	v_min_u32_e32 v176, 32, v176
	s_delay_alu instid0(VALU_DEP_1) | instskip(SKIP_1) | instid1(VALU_DEP_2)
	v_subrev_nc_u32_e32 v178, 28, v176
	v_sub_nc_u32_e32 v176, 29, v176
	v_lshlrev_b64 v[178:179], v178, v[8:9]
	s_delay_alu instid0(VALU_DEP_1)
	v_and_b32_e32 v8, 7, v178
; %bb.195:                              ;   in Loop: Header=BB420_10 Depth=1
	s_or_b32 exec_lo, exec_lo, s21
	v_lshlrev_b32_e32 v177, 24, v177
	s_delay_alu instid0(VALU_DEP_2) | instskip(SKIP_1) | instid1(VALU_DEP_3)
	v_lshlrev_b32_e32 v8, 20, v8
	v_lshl_add_u32 v176, v176, 23, 0x3c000000
	v_and_b32_e32 v177, 0x80000000, v177
	s_delay_alu instid0(VALU_DEP_1)
	v_or3_b32 v8, v8, v177, v176
.LBB420_196:                            ;   in Loop: Header=BB420_10 Depth=1
	s_or_b32 exec_lo, exec_lo, s20
.LBB420_197:                            ;   in Loop: Header=BB420_10 Depth=1
	s_delay_alu instid0(SALU_CYCLE_1)
	s_or_b32 exec_lo, exec_lo, s19
.LBB420_198:                            ;   in Loop: Header=BB420_10 Depth=1
	s_delay_alu instid0(SALU_CYCLE_1) | instskip(NEXT) | instid1(VALU_DEP_1)
	s_or_b32 exec_lo, exec_lo, s3
	v_mul_f32_e32 v8, v144, v8
	s_delay_alu instid0(VALU_DEP_1) | instskip(NEXT) | instid1(VALU_DEP_1)
	v_and_b32_e32 v176, 0x7f800000, v8
	v_cmp_ne_u32_e64 s2, 0x7f800000, v176
                                        ; implicit-def: $vgpr176
	s_delay_alu instid0(VALU_DEP_1) | instskip(NEXT) | instid1(SALU_CYCLE_1)
	s_and_saveexec_b32 s3, s2
	s_xor_b32 s2, exec_lo, s3
; %bb.199:                              ;   in Loop: Header=BB420_10 Depth=1
	v_bfe_u32 v176, v8, 16, 1
	s_delay_alu instid0(VALU_DEP_1)
	v_add3_u32 v176, v8, v176, 0x7fff
                                        ; implicit-def: $vgpr8
; %bb.200:                              ;   in Loop: Header=BB420_10 Depth=1
	s_and_not1_saveexec_b32 s3, s2
; %bb.201:                              ;   in Loop: Header=BB420_10 Depth=1
	v_and_b32_e32 v176, 0xffff, v8
	v_or_b32_e32 v177, 0x10000, v8
	s_delay_alu instid0(VALU_DEP_2) | instskip(NEXT) | instid1(VALU_DEP_1)
	v_cmp_eq_u32_e64 s2, 0, v176
	v_cndmask_b32_e64 v176, v177, v8, s2
; %bb.202:                              ;   in Loop: Header=BB420_10 Depth=1
	s_or_b32 exec_lo, exec_lo, s3
	flat_load_b32 v180, v[28:29] offset:512
	s_mov_b32 s3, exec_lo
	s_waitcnt vmcnt(0) lgkmcnt(0)
	v_dual_mov_b32 v8, 0 :: v_dual_and_b32 v177, 0xff, v180
	s_delay_alu instid0(VALU_DEP_1)
	v_cmpx_ne_u16_e64 0, v177
	s_cbranch_execz .LBB420_210
; %bb.203:                              ;   in Loop: Header=BB420_10 Depth=1
	v_bfrev_b32_e32 v8, 1
	s_mov_b32 s19, exec_lo
	v_cmpx_ne_u16_e64 0x80, v177
	s_cbranch_execz .LBB420_209
; %bb.204:                              ;   in Loop: Header=BB420_10 Depth=1
	v_and_b32_e32 v178, 0x7f, v180
	v_mov_b32_e32 v8, 0x7f800001
	s_mov_b32 s20, exec_lo
	s_delay_alu instid0(VALU_DEP_2)
	v_cmpx_ne_u32_e32 0x7f, v178
	s_cbranch_execz .LBB420_208
; %bb.205:                              ;   in Loop: Header=BB420_10 Depth=1
	v_and_b32_e32 v8, 7, v180
	v_lshrrev_b32_e32 v177, 3, v178
	s_mov_b32 s21, exec_lo
	v_cmpx_gt_u32_e32 8, v178
; %bb.206:                              ;   in Loop: Header=BB420_10 Depth=1
	s_delay_alu instid0(VALU_DEP_3) | instskip(NEXT) | instid1(VALU_DEP_1)
	v_clz_i32_u32_e32 v177, v8
	v_min_u32_e32 v177, 32, v177
	s_delay_alu instid0(VALU_DEP_1) | instskip(SKIP_1) | instid1(VALU_DEP_2)
	v_subrev_nc_u32_e32 v178, 28, v177
	v_sub_nc_u32_e32 v177, 29, v177
	v_lshlrev_b64 v[178:179], v178, v[8:9]
	s_delay_alu instid0(VALU_DEP_1)
	v_and_b32_e32 v8, 7, v178
; %bb.207:                              ;   in Loop: Header=BB420_10 Depth=1
	s_or_b32 exec_lo, exec_lo, s21
	v_lshlrev_b32_e32 v178, 24, v180
	s_delay_alu instid0(VALU_DEP_2) | instskip(SKIP_1) | instid1(VALU_DEP_3)
	v_lshlrev_b32_e32 v8, 20, v8
	v_lshl_add_u32 v177, v177, 23, 0x3c000000
	v_and_b32_e32 v178, 0x80000000, v178
	s_delay_alu instid0(VALU_DEP_1)
	v_or3_b32 v8, v8, v178, v177
.LBB420_208:                            ;   in Loop: Header=BB420_10 Depth=1
	s_or_b32 exec_lo, exec_lo, s20
.LBB420_209:                            ;   in Loop: Header=BB420_10 Depth=1
	s_delay_alu instid0(SALU_CYCLE_1)
	s_or_b32 exec_lo, exec_lo, s19
.LBB420_210:                            ;   in Loop: Header=BB420_10 Depth=1
	s_delay_alu instid0(SALU_CYCLE_1) | instskip(NEXT) | instid1(VALU_DEP_1)
	s_or_b32 exec_lo, exec_lo, s3
	v_mul_f32_e32 v8, v144, v8
	s_delay_alu instid0(VALU_DEP_1) | instskip(NEXT) | instid1(VALU_DEP_1)
	v_and_b32_e32 v177, 0x7f800000, v8
	v_cmp_ne_u32_e64 s2, 0x7f800000, v177
                                        ; implicit-def: $vgpr177
	s_delay_alu instid0(VALU_DEP_1) | instskip(NEXT) | instid1(SALU_CYCLE_1)
	s_and_saveexec_b32 s3, s2
	s_xor_b32 s2, exec_lo, s3
; %bb.211:                              ;   in Loop: Header=BB420_10 Depth=1
	v_bfe_u32 v177, v8, 16, 1
	s_delay_alu instid0(VALU_DEP_1)
	v_add3_u32 v177, v8, v177, 0x7fff
                                        ; implicit-def: $vgpr8
; %bb.212:                              ;   in Loop: Header=BB420_10 Depth=1
	s_and_not1_saveexec_b32 s3, s2
; %bb.213:                              ;   in Loop: Header=BB420_10 Depth=1
	v_and_b32_e32 v177, 0xffff, v8
	v_or_b32_e32 v178, 0x10000, v8
	s_delay_alu instid0(VALU_DEP_2) | instskip(NEXT) | instid1(VALU_DEP_1)
	v_cmp_eq_u32_e64 s2, 0, v177
	v_cndmask_b32_e64 v177, v178, v8, s2
; %bb.214:                              ;   in Loop: Header=BB420_10 Depth=1
	s_or_b32 exec_lo, exec_lo, s3
	v_lshrrev_b16 v178, 8, v180
	v_mov_b32_e32 v8, 0
	s_mov_b32 s3, exec_lo
	s_delay_alu instid0(VALU_DEP_2)
	v_cmpx_ne_u16_e64 0, v178
	s_cbranch_execz .LBB420_222
; %bb.215:                              ;   in Loop: Header=BB420_10 Depth=1
	v_bfrev_b32_e32 v8, 1
	s_mov_b32 s19, exec_lo
	v_cmpx_ne_u16_e64 0x80, v178
	s_cbranch_execz .LBB420_221
; %bb.216:                              ;   in Loop: Header=BB420_10 Depth=1
	v_and_b32_e32 v178, 0xffff, v178
	v_mov_b32_e32 v8, 0x7f800001
	s_mov_b32 s20, exec_lo
	s_delay_alu instid0(VALU_DEP_2) | instskip(NEXT) | instid1(VALU_DEP_1)
	v_and_b32_e32 v179, 0x7f, v178
	v_cmpx_ne_u32_e32 0x7f, v179
	s_cbranch_execz .LBB420_220
; %bb.217:                              ;   in Loop: Header=BB420_10 Depth=1
	v_and_b32_e32 v8, 7, v178
	v_lshrrev_b32_e32 v178, 3, v179
	s_mov_b32 s21, exec_lo
	v_cmpx_gt_u32_e32 8, v179
; %bb.218:                              ;   in Loop: Header=BB420_10 Depth=1
	s_delay_alu instid0(VALU_DEP_3) | instskip(NEXT) | instid1(VALU_DEP_1)
	v_clz_i32_u32_e32 v178, v8
	v_min_u32_e32 v178, 32, v178
	s_delay_alu instid0(VALU_DEP_1) | instskip(SKIP_1) | instid1(VALU_DEP_2)
	v_subrev_nc_u32_e32 v179, 28, v178
	v_sub_nc_u32_e32 v178, 29, v178
	v_lshlrev_b64 v[181:182], v179, v[8:9]
	s_delay_alu instid0(VALU_DEP_1)
	v_and_b32_e32 v8, 7, v181
; %bb.219:                              ;   in Loop: Header=BB420_10 Depth=1
	s_or_b32 exec_lo, exec_lo, s21
	v_lshlrev_b32_e32 v179, 16, v180
	s_delay_alu instid0(VALU_DEP_2) | instskip(SKIP_1) | instid1(VALU_DEP_3)
	v_lshlrev_b32_e32 v8, 20, v8
	v_lshl_add_u32 v178, v178, 23, 0x3c000000
	v_and_b32_e32 v179, 0x80000000, v179
	s_delay_alu instid0(VALU_DEP_1)
	v_or3_b32 v8, v8, v179, v178
.LBB420_220:                            ;   in Loop: Header=BB420_10 Depth=1
	s_or_b32 exec_lo, exec_lo, s20
.LBB420_221:                            ;   in Loop: Header=BB420_10 Depth=1
	s_delay_alu instid0(SALU_CYCLE_1)
	s_or_b32 exec_lo, exec_lo, s19
.LBB420_222:                            ;   in Loop: Header=BB420_10 Depth=1
	s_delay_alu instid0(SALU_CYCLE_1) | instskip(NEXT) | instid1(VALU_DEP_1)
	s_or_b32 exec_lo, exec_lo, s3
	v_mul_f32_e32 v8, v144, v8
	s_delay_alu instid0(VALU_DEP_1) | instskip(NEXT) | instid1(VALU_DEP_1)
	v_and_b32_e32 v178, 0x7f800000, v8
	v_cmp_ne_u32_e64 s2, 0x7f800000, v178
                                        ; implicit-def: $vgpr178
	s_delay_alu instid0(VALU_DEP_1) | instskip(NEXT) | instid1(SALU_CYCLE_1)
	s_and_saveexec_b32 s3, s2
	s_xor_b32 s2, exec_lo, s3
; %bb.223:                              ;   in Loop: Header=BB420_10 Depth=1
	v_bfe_u32 v178, v8, 16, 1
	s_delay_alu instid0(VALU_DEP_1)
	v_add3_u32 v178, v8, v178, 0x7fff
                                        ; implicit-def: $vgpr8
; %bb.224:                              ;   in Loop: Header=BB420_10 Depth=1
	s_and_not1_saveexec_b32 s3, s2
; %bb.225:                              ;   in Loop: Header=BB420_10 Depth=1
	v_and_b32_e32 v178, 0xffff, v8
	v_or_b32_e32 v179, 0x10000, v8
	s_delay_alu instid0(VALU_DEP_2) | instskip(NEXT) | instid1(VALU_DEP_1)
	v_cmp_eq_u32_e64 s2, 0, v178
	v_cndmask_b32_e64 v178, v179, v8, s2
; %bb.226:                              ;   in Loop: Header=BB420_10 Depth=1
	s_or_b32 exec_lo, exec_lo, s3
	v_lshrrev_b32_e32 v179, 16, v180
	s_mov_b32 s3, exec_lo
	s_delay_alu instid0(VALU_DEP_1) | instskip(NEXT) | instid1(VALU_DEP_1)
	v_dual_mov_b32 v8, 0 :: v_dual_and_b32 v181, 0xff, v179
	v_cmpx_ne_u16_e64 0, v181
	s_cbranch_execz .LBB420_234
; %bb.227:                              ;   in Loop: Header=BB420_10 Depth=1
	v_bfrev_b32_e32 v8, 1
	s_mov_b32 s19, exec_lo
	v_cmpx_ne_u16_e64 0x80, v181
	s_cbranch_execz .LBB420_233
; %bb.228:                              ;   in Loop: Header=BB420_10 Depth=1
	v_bfe_u32 v182, v180, 16, 7
	v_mov_b32_e32 v8, 0x7f800001
	s_mov_b32 s20, exec_lo
	s_delay_alu instid0(VALU_DEP_2)
	v_cmpx_ne_u32_e32 0x7f, v182
	s_cbranch_execz .LBB420_232
; %bb.229:                              ;   in Loop: Header=BB420_10 Depth=1
	v_and_b32_e32 v8, 7, v179
	v_lshrrev_b32_e32 v181, 3, v182
	s_mov_b32 s21, exec_lo
	v_cmpx_gt_u32_e32 8, v182
; %bb.230:                              ;   in Loop: Header=BB420_10 Depth=1
	s_delay_alu instid0(VALU_DEP_3) | instskip(NEXT) | instid1(VALU_DEP_1)
	v_clz_i32_u32_e32 v181, v8
	v_min_u32_e32 v181, 32, v181
	s_delay_alu instid0(VALU_DEP_1) | instskip(SKIP_1) | instid1(VALU_DEP_2)
	v_subrev_nc_u32_e32 v182, 28, v181
	v_sub_nc_u32_e32 v181, 29, v181
	v_lshlrev_b64 v[182:183], v182, v[8:9]
	s_delay_alu instid0(VALU_DEP_1)
	v_and_b32_e32 v8, 7, v182
; %bb.231:                              ;   in Loop: Header=BB420_10 Depth=1
	s_or_b32 exec_lo, exec_lo, s21
	v_lshlrev_b32_e32 v179, 24, v179
	s_delay_alu instid0(VALU_DEP_2) | instskip(SKIP_1) | instid1(VALU_DEP_3)
	v_lshlrev_b32_e32 v8, 20, v8
	v_lshl_add_u32 v181, v181, 23, 0x3c000000
	v_and_b32_e32 v179, 0x80000000, v179
	s_delay_alu instid0(VALU_DEP_1)
	v_or3_b32 v8, v8, v179, v181
.LBB420_232:                            ;   in Loop: Header=BB420_10 Depth=1
	s_or_b32 exec_lo, exec_lo, s20
.LBB420_233:                            ;   in Loop: Header=BB420_10 Depth=1
	s_delay_alu instid0(SALU_CYCLE_1)
	s_or_b32 exec_lo, exec_lo, s19
.LBB420_234:                            ;   in Loop: Header=BB420_10 Depth=1
	s_delay_alu instid0(SALU_CYCLE_1) | instskip(NEXT) | instid1(VALU_DEP_1)
	s_or_b32 exec_lo, exec_lo, s3
	v_mul_f32_e32 v8, v144, v8
	s_delay_alu instid0(VALU_DEP_1) | instskip(NEXT) | instid1(VALU_DEP_1)
	v_and_b32_e32 v179, 0x7f800000, v8
	v_cmp_ne_u32_e64 s2, 0x7f800000, v179
                                        ; implicit-def: $vgpr179
	s_delay_alu instid0(VALU_DEP_1) | instskip(NEXT) | instid1(SALU_CYCLE_1)
	s_and_saveexec_b32 s3, s2
	s_xor_b32 s2, exec_lo, s3
; %bb.235:                              ;   in Loop: Header=BB420_10 Depth=1
	v_bfe_u32 v179, v8, 16, 1
	s_delay_alu instid0(VALU_DEP_1)
	v_add3_u32 v179, v8, v179, 0x7fff
                                        ; implicit-def: $vgpr8
; %bb.236:                              ;   in Loop: Header=BB420_10 Depth=1
	s_and_not1_saveexec_b32 s3, s2
; %bb.237:                              ;   in Loop: Header=BB420_10 Depth=1
	v_and_b32_e32 v179, 0xffff, v8
	v_or_b32_e32 v181, 0x10000, v8
	s_delay_alu instid0(VALU_DEP_2) | instskip(NEXT) | instid1(VALU_DEP_1)
	v_cmp_eq_u32_e64 s2, 0, v179
	v_cndmask_b32_e64 v179, v181, v8, s2
; %bb.238:                              ;   in Loop: Header=BB420_10 Depth=1
	s_or_b32 exec_lo, exec_lo, s3
	v_mov_b32_e32 v8, 0
	s_mov_b32 s3, exec_lo
	v_cmpx_lt_u32_e32 0xffffff, v180
	s_cbranch_execz .LBB420_246
; %bb.239:                              ;   in Loop: Header=BB420_10 Depth=1
	v_lshrrev_b32_e32 v181, 24, v180
	v_bfrev_b32_e32 v8, 1
	s_mov_b32 s19, exec_lo
	s_delay_alu instid0(VALU_DEP_2)
	v_cmpx_ne_u32_e32 0x80, v181
	s_cbranch_execz .LBB420_245
; %bb.240:                              ;   in Loop: Header=BB420_10 Depth=1
	v_bfe_u32 v182, v180, 24, 7
	v_mov_b32_e32 v8, 0x7f800001
	s_mov_b32 s20, exec_lo
	s_delay_alu instid0(VALU_DEP_2)
	v_cmpx_ne_u32_e32 0x7f, v182
	s_cbranch_execz .LBB420_244
; %bb.241:                              ;   in Loop: Header=BB420_10 Depth=1
	v_and_b32_e32 v8, 7, v181
	v_lshrrev_b32_e32 v180, 3, v182
	s_mov_b32 s21, exec_lo
	v_cmpx_gt_u32_e32 8, v182
; %bb.242:                              ;   in Loop: Header=BB420_10 Depth=1
	s_delay_alu instid0(VALU_DEP_3) | instskip(NEXT) | instid1(VALU_DEP_1)
	v_clz_i32_u32_e32 v180, v8
	v_min_u32_e32 v180, 32, v180
	s_delay_alu instid0(VALU_DEP_1) | instskip(SKIP_1) | instid1(VALU_DEP_2)
	v_subrev_nc_u32_e32 v182, 28, v180
	v_sub_nc_u32_e32 v180, 29, v180
	v_lshlrev_b64 v[182:183], v182, v[8:9]
	s_delay_alu instid0(VALU_DEP_1)
	v_and_b32_e32 v8, 7, v182
; %bb.243:                              ;   in Loop: Header=BB420_10 Depth=1
	s_or_b32 exec_lo, exec_lo, s21
	v_lshlrev_b32_e32 v181, 24, v181
	s_delay_alu instid0(VALU_DEP_2) | instskip(SKIP_1) | instid1(VALU_DEP_3)
	v_lshlrev_b32_e32 v8, 20, v8
	v_lshl_add_u32 v180, v180, 23, 0x3c000000
	v_and_b32_e32 v181, 0x80000000, v181
	s_delay_alu instid0(VALU_DEP_1)
	v_or3_b32 v8, v8, v181, v180
.LBB420_244:                            ;   in Loop: Header=BB420_10 Depth=1
	s_or_b32 exec_lo, exec_lo, s20
.LBB420_245:                            ;   in Loop: Header=BB420_10 Depth=1
	s_delay_alu instid0(SALU_CYCLE_1)
	s_or_b32 exec_lo, exec_lo, s19
.LBB420_246:                            ;   in Loop: Header=BB420_10 Depth=1
	s_delay_alu instid0(SALU_CYCLE_1) | instskip(NEXT) | instid1(VALU_DEP_1)
	s_or_b32 exec_lo, exec_lo, s3
	v_mul_f32_e32 v8, v144, v8
	s_delay_alu instid0(VALU_DEP_1) | instskip(NEXT) | instid1(VALU_DEP_1)
	v_and_b32_e32 v180, 0x7f800000, v8
	v_cmp_ne_u32_e64 s2, 0x7f800000, v180
                                        ; implicit-def: $vgpr180
	s_delay_alu instid0(VALU_DEP_1) | instskip(NEXT) | instid1(SALU_CYCLE_1)
	s_and_saveexec_b32 s3, s2
	s_xor_b32 s2, exec_lo, s3
; %bb.247:                              ;   in Loop: Header=BB420_10 Depth=1
	v_bfe_u32 v180, v8, 16, 1
	s_delay_alu instid0(VALU_DEP_1)
	v_add3_u32 v180, v8, v180, 0x7fff
                                        ; implicit-def: $vgpr8
; %bb.248:                              ;   in Loop: Header=BB420_10 Depth=1
	s_and_not1_saveexec_b32 s3, s2
; %bb.249:                              ;   in Loop: Header=BB420_10 Depth=1
	v_and_b32_e32 v180, 0xffff, v8
	v_or_b32_e32 v181, 0x10000, v8
	s_delay_alu instid0(VALU_DEP_2) | instskip(NEXT) | instid1(VALU_DEP_1)
	v_cmp_eq_u32_e64 s2, 0, v180
	v_cndmask_b32_e64 v180, v181, v8, s2
; %bb.250:                              ;   in Loop: Header=BB420_10 Depth=1
	s_or_b32 exec_lo, exec_lo, s3
	flat_load_b32 v40, v[28:29] offset:520
	s_mov_b32 s3, exec_lo
	s_waitcnt vmcnt(0) lgkmcnt(0)
	v_dual_mov_b32 v8, 0 :: v_dual_and_b32 v181, 0xff, v40
	s_delay_alu instid0(VALU_DEP_1)
	v_cmpx_ne_u16_e64 0, v181
	s_cbranch_execz .LBB420_258
; %bb.251:                              ;   in Loop: Header=BB420_10 Depth=1
	v_bfrev_b32_e32 v8, 1
	s_mov_b32 s19, exec_lo
	v_cmpx_ne_u16_e64 0x80, v181
	s_cbranch_execz .LBB420_257
; %bb.252:                              ;   in Loop: Header=BB420_10 Depth=1
	v_and_b32_e32 v182, 0x7f, v40
	v_mov_b32_e32 v8, 0x7f800001
	s_mov_b32 s20, exec_lo
	s_delay_alu instid0(VALU_DEP_2)
	v_cmpx_ne_u32_e32 0x7f, v182
	s_cbranch_execz .LBB420_256
; %bb.253:                              ;   in Loop: Header=BB420_10 Depth=1
	v_and_b32_e32 v8, 7, v40
	v_lshrrev_b32_e32 v181, 3, v182
	s_mov_b32 s21, exec_lo
	v_cmpx_gt_u32_e32 8, v182
; %bb.254:                              ;   in Loop: Header=BB420_10 Depth=1
	s_delay_alu instid0(VALU_DEP_3) | instskip(NEXT) | instid1(VALU_DEP_1)
	v_clz_i32_u32_e32 v181, v8
	v_min_u32_e32 v181, 32, v181
	s_delay_alu instid0(VALU_DEP_1) | instskip(SKIP_1) | instid1(VALU_DEP_2)
	v_subrev_nc_u32_e32 v182, 28, v181
	v_sub_nc_u32_e32 v181, 29, v181
	v_lshlrev_b64 v[182:183], v182, v[8:9]
	s_delay_alu instid0(VALU_DEP_1)
	v_and_b32_e32 v8, 7, v182
; %bb.255:                              ;   in Loop: Header=BB420_10 Depth=1
	s_or_b32 exec_lo, exec_lo, s21
	v_lshlrev_b32_e32 v182, 24, v40
	s_delay_alu instid0(VALU_DEP_2) | instskip(SKIP_1) | instid1(VALU_DEP_3)
	v_lshlrev_b32_e32 v8, 20, v8
	v_lshl_add_u32 v181, v181, 23, 0x3c000000
	v_and_b32_e32 v182, 0x80000000, v182
	s_delay_alu instid0(VALU_DEP_1)
	v_or3_b32 v8, v8, v182, v181
.LBB420_256:                            ;   in Loop: Header=BB420_10 Depth=1
	s_or_b32 exec_lo, exec_lo, s20
.LBB420_257:                            ;   in Loop: Header=BB420_10 Depth=1
	s_delay_alu instid0(SALU_CYCLE_1)
	s_or_b32 exec_lo, exec_lo, s19
.LBB420_258:                            ;   in Loop: Header=BB420_10 Depth=1
	s_delay_alu instid0(SALU_CYCLE_1) | instskip(NEXT) | instid1(VALU_DEP_1)
	s_or_b32 exec_lo, exec_lo, s3
	v_mul_f32_e32 v8, v144, v8
	s_delay_alu instid0(VALU_DEP_1) | instskip(NEXT) | instid1(VALU_DEP_1)
	v_and_b32_e32 v181, 0x7f800000, v8
	v_cmp_ne_u32_e64 s2, 0x7f800000, v181
                                        ; implicit-def: $vgpr181
	s_delay_alu instid0(VALU_DEP_1) | instskip(NEXT) | instid1(SALU_CYCLE_1)
	s_and_saveexec_b32 s3, s2
	s_xor_b32 s2, exec_lo, s3
; %bb.259:                              ;   in Loop: Header=BB420_10 Depth=1
	v_bfe_u32 v181, v8, 16, 1
	s_delay_alu instid0(VALU_DEP_1)
	v_add3_u32 v181, v8, v181, 0x7fff
                                        ; implicit-def: $vgpr8
; %bb.260:                              ;   in Loop: Header=BB420_10 Depth=1
	s_and_not1_saveexec_b32 s3, s2
; %bb.261:                              ;   in Loop: Header=BB420_10 Depth=1
	v_and_b32_e32 v181, 0xffff, v8
	v_or_b32_e32 v182, 0x10000, v8
	s_delay_alu instid0(VALU_DEP_2) | instskip(NEXT) | instid1(VALU_DEP_1)
	v_cmp_eq_u32_e64 s2, 0, v181
	v_cndmask_b32_e64 v181, v182, v8, s2
; %bb.262:                              ;   in Loop: Header=BB420_10 Depth=1
	s_or_b32 exec_lo, exec_lo, s3
	v_lshrrev_b16 v182, 8, v40
	v_mov_b32_e32 v8, 0
	s_mov_b32 s3, exec_lo
	s_delay_alu instid0(VALU_DEP_2)
	v_cmpx_ne_u16_e64 0, v182
	s_cbranch_execz .LBB420_270
; %bb.263:                              ;   in Loop: Header=BB420_10 Depth=1
	v_bfrev_b32_e32 v8, 1
	s_mov_b32 s19, exec_lo
	v_cmpx_ne_u16_e64 0x80, v182
	s_cbranch_execz .LBB420_269
; %bb.264:                              ;   in Loop: Header=BB420_10 Depth=1
	v_and_b32_e32 v182, 0xffff, v182
	v_mov_b32_e32 v8, 0x7f800001
	s_mov_b32 s20, exec_lo
	s_delay_alu instid0(VALU_DEP_2) | instskip(NEXT) | instid1(VALU_DEP_1)
	v_and_b32_e32 v183, 0x7f, v182
	v_cmpx_ne_u32_e32 0x7f, v183
	s_cbranch_execz .LBB420_268
; %bb.265:                              ;   in Loop: Header=BB420_10 Depth=1
	v_and_b32_e32 v8, 7, v182
	v_lshrrev_b32_e32 v182, 3, v183
	s_mov_b32 s21, exec_lo
	v_cmpx_gt_u32_e32 8, v183
; %bb.266:                              ;   in Loop: Header=BB420_10 Depth=1
	s_delay_alu instid0(VALU_DEP_3) | instskip(NEXT) | instid1(VALU_DEP_1)
	v_clz_i32_u32_e32 v182, v8
	v_min_u32_e32 v182, 32, v182
	s_delay_alu instid0(VALU_DEP_1) | instskip(SKIP_1) | instid1(VALU_DEP_2)
	v_subrev_nc_u32_e32 v183, 28, v182
	v_sub_nc_u32_e32 v182, 29, v182
	v_lshlrev_b64 v[41:42], v183, v[8:9]
	s_delay_alu instid0(VALU_DEP_1)
	v_and_b32_e32 v8, 7, v41
; %bb.267:                              ;   in Loop: Header=BB420_10 Depth=1
	s_or_b32 exec_lo, exec_lo, s21
	v_lshlrev_b32_e32 v183, 16, v40
	s_delay_alu instid0(VALU_DEP_2) | instskip(SKIP_1) | instid1(VALU_DEP_3)
	v_lshlrev_b32_e32 v8, 20, v8
	v_lshl_add_u32 v182, v182, 23, 0x3c000000
	v_and_b32_e32 v183, 0x80000000, v183
	s_delay_alu instid0(VALU_DEP_1)
	v_or3_b32 v8, v8, v183, v182
.LBB420_268:                            ;   in Loop: Header=BB420_10 Depth=1
	s_or_b32 exec_lo, exec_lo, s20
.LBB420_269:                            ;   in Loop: Header=BB420_10 Depth=1
	s_delay_alu instid0(SALU_CYCLE_1)
	s_or_b32 exec_lo, exec_lo, s19
.LBB420_270:                            ;   in Loop: Header=BB420_10 Depth=1
	s_delay_alu instid0(SALU_CYCLE_1) | instskip(NEXT) | instid1(VALU_DEP_1)
	s_or_b32 exec_lo, exec_lo, s3
	v_mul_f32_e32 v8, v144, v8
	s_delay_alu instid0(VALU_DEP_1) | instskip(NEXT) | instid1(VALU_DEP_1)
	v_and_b32_e32 v182, 0x7f800000, v8
	v_cmp_ne_u32_e64 s2, 0x7f800000, v182
                                        ; implicit-def: $vgpr182
	s_delay_alu instid0(VALU_DEP_1) | instskip(NEXT) | instid1(SALU_CYCLE_1)
	s_and_saveexec_b32 s3, s2
	s_xor_b32 s2, exec_lo, s3
; %bb.271:                              ;   in Loop: Header=BB420_10 Depth=1
	v_bfe_u32 v182, v8, 16, 1
	s_delay_alu instid0(VALU_DEP_1)
	v_add3_u32 v182, v8, v182, 0x7fff
                                        ; implicit-def: $vgpr8
; %bb.272:                              ;   in Loop: Header=BB420_10 Depth=1
	s_and_not1_saveexec_b32 s3, s2
; %bb.273:                              ;   in Loop: Header=BB420_10 Depth=1
	v_and_b32_e32 v182, 0xffff, v8
	v_or_b32_e32 v183, 0x10000, v8
	s_delay_alu instid0(VALU_DEP_2) | instskip(NEXT) | instid1(VALU_DEP_1)
	v_cmp_eq_u32_e64 s2, 0, v182
	v_cndmask_b32_e64 v182, v183, v8, s2
; %bb.274:                              ;   in Loop: Header=BB420_10 Depth=1
	s_or_b32 exec_lo, exec_lo, s3
	v_lshrrev_b32_e32 v183, 16, v40
	s_mov_b32 s3, exec_lo
	s_delay_alu instid0(VALU_DEP_1) | instskip(NEXT) | instid1(VALU_DEP_1)
	v_dual_mov_b32 v8, 0 :: v_dual_and_b32 v41, 0xff, v183
	v_cmpx_ne_u16_e32 0, v41
	s_cbranch_execz .LBB420_282
; %bb.275:                              ;   in Loop: Header=BB420_10 Depth=1
	v_bfrev_b32_e32 v8, 1
	s_mov_b32 s19, exec_lo
	v_cmpx_ne_u16_e32 0x80, v41
	s_cbranch_execz .LBB420_281
; %bb.276:                              ;   in Loop: Header=BB420_10 Depth=1
	v_bfe_u32 v42, v40, 16, 7
	v_mov_b32_e32 v8, 0x7f800001
	s_mov_b32 s20, exec_lo
	s_delay_alu instid0(VALU_DEP_2)
	v_cmpx_ne_u32_e32 0x7f, v42
	s_cbranch_execz .LBB420_280
; %bb.277:                              ;   in Loop: Header=BB420_10 Depth=1
	v_and_b32_e32 v8, 7, v183
	v_lshrrev_b32_e32 v41, 3, v42
	s_mov_b32 s21, exec_lo
	v_cmpx_gt_u32_e32 8, v42
; %bb.278:                              ;   in Loop: Header=BB420_10 Depth=1
	s_delay_alu instid0(VALU_DEP_3) | instskip(NEXT) | instid1(VALU_DEP_1)
	v_clz_i32_u32_e32 v41, v8
	v_min_u32_e32 v41, 32, v41
	s_delay_alu instid0(VALU_DEP_1) | instskip(SKIP_1) | instid1(VALU_DEP_2)
	v_subrev_nc_u32_e32 v42, 28, v41
	v_sub_nc_u32_e32 v41, 29, v41
	v_lshlrev_b64 v[42:43], v42, v[8:9]
	s_delay_alu instid0(VALU_DEP_1)
	v_and_b32_e32 v8, 7, v42
; %bb.279:                              ;   in Loop: Header=BB420_10 Depth=1
	s_or_b32 exec_lo, exec_lo, s21
	v_lshlrev_b32_e32 v183, 24, v183
	s_delay_alu instid0(VALU_DEP_2) | instskip(SKIP_1) | instid1(VALU_DEP_3)
	v_lshlrev_b32_e32 v8, 20, v8
	v_lshl_add_u32 v41, v41, 23, 0x3c000000
	v_and_b32_e32 v183, 0x80000000, v183
	s_delay_alu instid0(VALU_DEP_1)
	v_or3_b32 v8, v8, v183, v41
.LBB420_280:                            ;   in Loop: Header=BB420_10 Depth=1
	s_or_b32 exec_lo, exec_lo, s20
.LBB420_281:                            ;   in Loop: Header=BB420_10 Depth=1
	s_delay_alu instid0(SALU_CYCLE_1)
	s_or_b32 exec_lo, exec_lo, s19
.LBB420_282:                            ;   in Loop: Header=BB420_10 Depth=1
	s_delay_alu instid0(SALU_CYCLE_1) | instskip(NEXT) | instid1(VALU_DEP_1)
	s_or_b32 exec_lo, exec_lo, s3
	v_mul_f32_e32 v8, v144, v8
	s_delay_alu instid0(VALU_DEP_1) | instskip(NEXT) | instid1(VALU_DEP_1)
	v_and_b32_e32 v183, 0x7f800000, v8
	v_cmp_ne_u32_e64 s2, 0x7f800000, v183
                                        ; implicit-def: $vgpr183
	s_delay_alu instid0(VALU_DEP_1) | instskip(NEXT) | instid1(SALU_CYCLE_1)
	s_and_saveexec_b32 s3, s2
	s_xor_b32 s2, exec_lo, s3
; %bb.283:                              ;   in Loop: Header=BB420_10 Depth=1
	v_bfe_u32 v183, v8, 16, 1
	s_delay_alu instid0(VALU_DEP_1)
	v_add3_u32 v183, v8, v183, 0x7fff
                                        ; implicit-def: $vgpr8
; %bb.284:                              ;   in Loop: Header=BB420_10 Depth=1
	s_and_not1_saveexec_b32 s3, s2
; %bb.285:                              ;   in Loop: Header=BB420_10 Depth=1
	v_and_b32_e32 v183, 0xffff, v8
	v_or_b32_e32 v41, 0x10000, v8
	s_delay_alu instid0(VALU_DEP_2) | instskip(NEXT) | instid1(VALU_DEP_1)
	v_cmp_eq_u32_e64 s2, 0, v183
	v_cndmask_b32_e64 v183, v41, v8, s2
; %bb.286:                              ;   in Loop: Header=BB420_10 Depth=1
	s_or_b32 exec_lo, exec_lo, s3
	v_mov_b32_e32 v8, 0
	s_mov_b32 s3, exec_lo
	v_cmpx_lt_u32_e32 0xffffff, v40
	s_cbranch_execz .LBB420_294
; %bb.287:                              ;   in Loop: Header=BB420_10 Depth=1
	v_lshrrev_b32_e32 v41, 24, v40
	v_bfrev_b32_e32 v8, 1
	s_mov_b32 s19, exec_lo
	s_delay_alu instid0(VALU_DEP_2)
	v_cmpx_ne_u32_e32 0x80, v41
	s_cbranch_execz .LBB420_293
; %bb.288:                              ;   in Loop: Header=BB420_10 Depth=1
	v_bfe_u32 v42, v40, 24, 7
	v_mov_b32_e32 v8, 0x7f800001
	s_mov_b32 s20, exec_lo
	s_delay_alu instid0(VALU_DEP_2)
	v_cmpx_ne_u32_e32 0x7f, v42
	s_cbranch_execz .LBB420_292
; %bb.289:                              ;   in Loop: Header=BB420_10 Depth=1
	v_and_b32_e32 v8, 7, v41
	v_lshrrev_b32_e32 v40, 3, v42
	s_mov_b32 s21, exec_lo
	v_cmpx_gt_u32_e32 8, v42
; %bb.290:                              ;   in Loop: Header=BB420_10 Depth=1
	s_delay_alu instid0(VALU_DEP_3) | instskip(NEXT) | instid1(VALU_DEP_1)
	v_clz_i32_u32_e32 v40, v8
	v_min_u32_e32 v40, 32, v40
	s_delay_alu instid0(VALU_DEP_1) | instskip(SKIP_1) | instid1(VALU_DEP_2)
	v_subrev_nc_u32_e32 v42, 28, v40
	v_sub_nc_u32_e32 v40, 29, v40
	v_lshlrev_b64 v[42:43], v42, v[8:9]
	s_delay_alu instid0(VALU_DEP_1)
	v_and_b32_e32 v8, 7, v42
; %bb.291:                              ;   in Loop: Header=BB420_10 Depth=1
	s_or_b32 exec_lo, exec_lo, s21
	v_lshlrev_b32_e32 v41, 24, v41
	s_delay_alu instid0(VALU_DEP_2) | instskip(SKIP_1) | instid1(VALU_DEP_3)
	v_lshlrev_b32_e32 v8, 20, v8
	v_lshl_add_u32 v40, v40, 23, 0x3c000000
	v_and_b32_e32 v41, 0x80000000, v41
	s_delay_alu instid0(VALU_DEP_1)
	v_or3_b32 v8, v8, v41, v40
.LBB420_292:                            ;   in Loop: Header=BB420_10 Depth=1
	s_or_b32 exec_lo, exec_lo, s20
.LBB420_293:                            ;   in Loop: Header=BB420_10 Depth=1
	s_delay_alu instid0(SALU_CYCLE_1)
	s_or_b32 exec_lo, exec_lo, s19
.LBB420_294:                            ;   in Loop: Header=BB420_10 Depth=1
	s_delay_alu instid0(SALU_CYCLE_1) | instskip(NEXT) | instid1(VALU_DEP_1)
	s_or_b32 exec_lo, exec_lo, s3
	v_mul_f32_e32 v8, v144, v8
	s_delay_alu instid0(VALU_DEP_1) | instskip(NEXT) | instid1(VALU_DEP_1)
	v_and_b32_e32 v40, 0x7f800000, v8
	v_cmp_ne_u32_e64 s2, 0x7f800000, v40
                                        ; implicit-def: $vgpr40
	s_delay_alu instid0(VALU_DEP_1) | instskip(NEXT) | instid1(SALU_CYCLE_1)
	s_and_saveexec_b32 s3, s2
	s_xor_b32 s2, exec_lo, s3
; %bb.295:                              ;   in Loop: Header=BB420_10 Depth=1
	v_bfe_u32 v40, v8, 16, 1
	s_delay_alu instid0(VALU_DEP_1)
	v_add3_u32 v40, v8, v40, 0x7fff
                                        ; implicit-def: $vgpr8
; %bb.296:                              ;   in Loop: Header=BB420_10 Depth=1
	s_and_not1_saveexec_b32 s3, s2
; %bb.297:                              ;   in Loop: Header=BB420_10 Depth=1
	v_and_b32_e32 v40, 0xffff, v8
	v_or_b32_e32 v41, 0x10000, v8
	s_delay_alu instid0(VALU_DEP_2) | instskip(NEXT) | instid1(VALU_DEP_1)
	v_cmp_eq_u32_e64 s2, 0, v40
	v_cndmask_b32_e64 v40, v41, v8, s2
; %bb.298:                              ;   in Loop: Header=BB420_10 Depth=1
	s_or_b32 exec_lo, exec_lo, s3
	flat_load_b32 v44, v[28:29] offset:768
	s_mov_b32 s3, exec_lo
	s_waitcnt vmcnt(0) lgkmcnt(0)
	v_dual_mov_b32 v8, 0 :: v_dual_and_b32 v41, 0xff, v44
	s_delay_alu instid0(VALU_DEP_1)
	v_cmpx_ne_u16_e32 0, v41
	s_cbranch_execz .LBB420_306
; %bb.299:                              ;   in Loop: Header=BB420_10 Depth=1
	v_bfrev_b32_e32 v8, 1
	s_mov_b32 s19, exec_lo
	v_cmpx_ne_u16_e32 0x80, v41
	s_cbranch_execz .LBB420_305
; %bb.300:                              ;   in Loop: Header=BB420_10 Depth=1
	v_and_b32_e32 v42, 0x7f, v44
	v_mov_b32_e32 v8, 0x7f800001
	s_mov_b32 s20, exec_lo
	s_delay_alu instid0(VALU_DEP_2)
	v_cmpx_ne_u32_e32 0x7f, v42
	s_cbranch_execz .LBB420_304
; %bb.301:                              ;   in Loop: Header=BB420_10 Depth=1
	v_and_b32_e32 v8, 7, v44
	v_lshrrev_b32_e32 v41, 3, v42
	s_mov_b32 s21, exec_lo
	v_cmpx_gt_u32_e32 8, v42
; %bb.302:                              ;   in Loop: Header=BB420_10 Depth=1
	s_delay_alu instid0(VALU_DEP_3) | instskip(NEXT) | instid1(VALU_DEP_1)
	v_clz_i32_u32_e32 v41, v8
	v_min_u32_e32 v41, 32, v41
	s_delay_alu instid0(VALU_DEP_1) | instskip(SKIP_1) | instid1(VALU_DEP_2)
	v_subrev_nc_u32_e32 v42, 28, v41
	v_sub_nc_u32_e32 v41, 29, v41
	v_lshlrev_b64 v[42:43], v42, v[8:9]
	s_delay_alu instid0(VALU_DEP_1)
	v_and_b32_e32 v8, 7, v42
; %bb.303:                              ;   in Loop: Header=BB420_10 Depth=1
	s_or_b32 exec_lo, exec_lo, s21
	v_lshlrev_b32_e32 v42, 24, v44
	s_delay_alu instid0(VALU_DEP_2) | instskip(SKIP_1) | instid1(VALU_DEP_3)
	v_lshlrev_b32_e32 v8, 20, v8
	v_lshl_add_u32 v41, v41, 23, 0x3c000000
	v_and_b32_e32 v42, 0x80000000, v42
	s_delay_alu instid0(VALU_DEP_1)
	v_or3_b32 v8, v8, v42, v41
.LBB420_304:                            ;   in Loop: Header=BB420_10 Depth=1
	s_or_b32 exec_lo, exec_lo, s20
.LBB420_305:                            ;   in Loop: Header=BB420_10 Depth=1
	s_delay_alu instid0(SALU_CYCLE_1)
	s_or_b32 exec_lo, exec_lo, s19
.LBB420_306:                            ;   in Loop: Header=BB420_10 Depth=1
	s_delay_alu instid0(SALU_CYCLE_1) | instskip(NEXT) | instid1(VALU_DEP_1)
	s_or_b32 exec_lo, exec_lo, s3
	v_mul_f32_e32 v8, v144, v8
	s_delay_alu instid0(VALU_DEP_1) | instskip(NEXT) | instid1(VALU_DEP_1)
	v_and_b32_e32 v41, 0x7f800000, v8
	v_cmp_ne_u32_e64 s2, 0x7f800000, v41
                                        ; implicit-def: $vgpr41
	s_delay_alu instid0(VALU_DEP_1) | instskip(NEXT) | instid1(SALU_CYCLE_1)
	s_and_saveexec_b32 s3, s2
	s_xor_b32 s2, exec_lo, s3
; %bb.307:                              ;   in Loop: Header=BB420_10 Depth=1
	v_bfe_u32 v41, v8, 16, 1
	s_delay_alu instid0(VALU_DEP_1)
	v_add3_u32 v41, v8, v41, 0x7fff
                                        ; implicit-def: $vgpr8
; %bb.308:                              ;   in Loop: Header=BB420_10 Depth=1
	s_and_not1_saveexec_b32 s3, s2
; %bb.309:                              ;   in Loop: Header=BB420_10 Depth=1
	v_and_b32_e32 v41, 0xffff, v8
	v_or_b32_e32 v42, 0x10000, v8
	s_delay_alu instid0(VALU_DEP_2) | instskip(NEXT) | instid1(VALU_DEP_1)
	v_cmp_eq_u32_e64 s2, 0, v41
	v_cndmask_b32_e64 v41, v42, v8, s2
; %bb.310:                              ;   in Loop: Header=BB420_10 Depth=1
	s_or_b32 exec_lo, exec_lo, s3
	v_lshrrev_b16 v42, 8, v44
	v_mov_b32_e32 v8, 0
	s_mov_b32 s3, exec_lo
	s_delay_alu instid0(VALU_DEP_2)
	v_cmpx_ne_u16_e32 0, v42
	s_cbranch_execz .LBB420_318
; %bb.311:                              ;   in Loop: Header=BB420_10 Depth=1
	v_bfrev_b32_e32 v8, 1
	s_mov_b32 s19, exec_lo
	v_cmpx_ne_u16_e32 0x80, v42
	s_cbranch_execz .LBB420_317
; %bb.312:                              ;   in Loop: Header=BB420_10 Depth=1
	v_and_b32_e32 v42, 0xffff, v42
	v_mov_b32_e32 v8, 0x7f800001
	s_mov_b32 s20, exec_lo
	s_delay_alu instid0(VALU_DEP_2) | instskip(NEXT) | instid1(VALU_DEP_1)
	v_and_b32_e32 v43, 0x7f, v42
	v_cmpx_ne_u32_e32 0x7f, v43
	s_cbranch_execz .LBB420_316
; %bb.313:                              ;   in Loop: Header=BB420_10 Depth=1
	v_and_b32_e32 v8, 7, v42
	v_lshrrev_b32_e32 v42, 3, v43
	s_mov_b32 s21, exec_lo
	v_cmpx_gt_u32_e32 8, v43
; %bb.314:                              ;   in Loop: Header=BB420_10 Depth=1
	s_delay_alu instid0(VALU_DEP_3) | instskip(NEXT) | instid1(VALU_DEP_1)
	v_clz_i32_u32_e32 v42, v8
	v_min_u32_e32 v42, 32, v42
	s_delay_alu instid0(VALU_DEP_1) | instskip(SKIP_1) | instid1(VALU_DEP_2)
	v_subrev_nc_u32_e32 v43, 28, v42
	v_sub_nc_u32_e32 v42, 29, v42
	v_lshlrev_b64 v[45:46], v43, v[8:9]
	s_delay_alu instid0(VALU_DEP_1)
	v_and_b32_e32 v8, 7, v45
; %bb.315:                              ;   in Loop: Header=BB420_10 Depth=1
	s_or_b32 exec_lo, exec_lo, s21
	v_lshlrev_b32_e32 v43, 16, v44
	s_delay_alu instid0(VALU_DEP_2) | instskip(SKIP_1) | instid1(VALU_DEP_3)
	v_lshlrev_b32_e32 v8, 20, v8
	v_lshl_add_u32 v42, v42, 23, 0x3c000000
	v_and_b32_e32 v43, 0x80000000, v43
	s_delay_alu instid0(VALU_DEP_1)
	v_or3_b32 v8, v8, v43, v42
.LBB420_316:                            ;   in Loop: Header=BB420_10 Depth=1
	s_or_b32 exec_lo, exec_lo, s20
.LBB420_317:                            ;   in Loop: Header=BB420_10 Depth=1
	s_delay_alu instid0(SALU_CYCLE_1)
	s_or_b32 exec_lo, exec_lo, s19
.LBB420_318:                            ;   in Loop: Header=BB420_10 Depth=1
	s_delay_alu instid0(SALU_CYCLE_1) | instskip(NEXT) | instid1(VALU_DEP_1)
	s_or_b32 exec_lo, exec_lo, s3
	v_mul_f32_e32 v8, v144, v8
	s_delay_alu instid0(VALU_DEP_1) | instskip(NEXT) | instid1(VALU_DEP_1)
	v_and_b32_e32 v42, 0x7f800000, v8
	v_cmp_ne_u32_e64 s2, 0x7f800000, v42
                                        ; implicit-def: $vgpr42
	s_delay_alu instid0(VALU_DEP_1) | instskip(NEXT) | instid1(SALU_CYCLE_1)
	s_and_saveexec_b32 s3, s2
	s_xor_b32 s2, exec_lo, s3
; %bb.319:                              ;   in Loop: Header=BB420_10 Depth=1
	v_bfe_u32 v42, v8, 16, 1
	s_delay_alu instid0(VALU_DEP_1)
	v_add3_u32 v42, v8, v42, 0x7fff
                                        ; implicit-def: $vgpr8
; %bb.320:                              ;   in Loop: Header=BB420_10 Depth=1
	s_and_not1_saveexec_b32 s3, s2
; %bb.321:                              ;   in Loop: Header=BB420_10 Depth=1
	v_and_b32_e32 v42, 0xffff, v8
	v_or_b32_e32 v43, 0x10000, v8
	s_delay_alu instid0(VALU_DEP_2) | instskip(NEXT) | instid1(VALU_DEP_1)
	v_cmp_eq_u32_e64 s2, 0, v42
	v_cndmask_b32_e64 v42, v43, v8, s2
; %bb.322:                              ;   in Loop: Header=BB420_10 Depth=1
	s_or_b32 exec_lo, exec_lo, s3
	v_lshrrev_b32_e32 v43, 16, v44
	s_mov_b32 s3, exec_lo
	s_delay_alu instid0(VALU_DEP_1) | instskip(NEXT) | instid1(VALU_DEP_1)
	v_dual_mov_b32 v8, 0 :: v_dual_and_b32 v45, 0xff, v43
	v_cmpx_ne_u16_e32 0, v45
	s_cbranch_execz .LBB420_330
; %bb.323:                              ;   in Loop: Header=BB420_10 Depth=1
	v_bfrev_b32_e32 v8, 1
	s_mov_b32 s19, exec_lo
	v_cmpx_ne_u16_e32 0x80, v45
	s_cbranch_execz .LBB420_329
; %bb.324:                              ;   in Loop: Header=BB420_10 Depth=1
	v_bfe_u32 v46, v44, 16, 7
	v_mov_b32_e32 v8, 0x7f800001
	s_mov_b32 s20, exec_lo
	s_delay_alu instid0(VALU_DEP_2)
	v_cmpx_ne_u32_e32 0x7f, v46
	s_cbranch_execz .LBB420_328
; %bb.325:                              ;   in Loop: Header=BB420_10 Depth=1
	v_and_b32_e32 v8, 7, v43
	v_lshrrev_b32_e32 v45, 3, v46
	s_mov_b32 s21, exec_lo
	v_cmpx_gt_u32_e32 8, v46
; %bb.326:                              ;   in Loop: Header=BB420_10 Depth=1
	s_delay_alu instid0(VALU_DEP_3) | instskip(NEXT) | instid1(VALU_DEP_1)
	v_clz_i32_u32_e32 v45, v8
	v_min_u32_e32 v45, 32, v45
	s_delay_alu instid0(VALU_DEP_1) | instskip(SKIP_1) | instid1(VALU_DEP_2)
	v_subrev_nc_u32_e32 v46, 28, v45
	v_sub_nc_u32_e32 v45, 29, v45
	v_lshlrev_b64 v[46:47], v46, v[8:9]
	s_delay_alu instid0(VALU_DEP_1)
	v_and_b32_e32 v8, 7, v46
; %bb.327:                              ;   in Loop: Header=BB420_10 Depth=1
	s_or_b32 exec_lo, exec_lo, s21
	v_lshlrev_b32_e32 v43, 24, v43
	s_delay_alu instid0(VALU_DEP_2) | instskip(SKIP_1) | instid1(VALU_DEP_3)
	v_lshlrev_b32_e32 v8, 20, v8
	v_lshl_add_u32 v45, v45, 23, 0x3c000000
	v_and_b32_e32 v43, 0x80000000, v43
	s_delay_alu instid0(VALU_DEP_1)
	v_or3_b32 v8, v8, v43, v45
.LBB420_328:                            ;   in Loop: Header=BB420_10 Depth=1
	s_or_b32 exec_lo, exec_lo, s20
.LBB420_329:                            ;   in Loop: Header=BB420_10 Depth=1
	s_delay_alu instid0(SALU_CYCLE_1)
	s_or_b32 exec_lo, exec_lo, s19
.LBB420_330:                            ;   in Loop: Header=BB420_10 Depth=1
	s_delay_alu instid0(SALU_CYCLE_1) | instskip(NEXT) | instid1(VALU_DEP_1)
	s_or_b32 exec_lo, exec_lo, s3
	v_mul_f32_e32 v8, v144, v8
	s_delay_alu instid0(VALU_DEP_1) | instskip(NEXT) | instid1(VALU_DEP_1)
	v_and_b32_e32 v43, 0x7f800000, v8
	v_cmp_ne_u32_e64 s2, 0x7f800000, v43
                                        ; implicit-def: $vgpr43
	s_delay_alu instid0(VALU_DEP_1) | instskip(NEXT) | instid1(SALU_CYCLE_1)
	s_and_saveexec_b32 s3, s2
	s_xor_b32 s2, exec_lo, s3
; %bb.331:                              ;   in Loop: Header=BB420_10 Depth=1
	v_bfe_u32 v43, v8, 16, 1
	s_delay_alu instid0(VALU_DEP_1)
	v_add3_u32 v43, v8, v43, 0x7fff
                                        ; implicit-def: $vgpr8
; %bb.332:                              ;   in Loop: Header=BB420_10 Depth=1
	s_and_not1_saveexec_b32 s3, s2
; %bb.333:                              ;   in Loop: Header=BB420_10 Depth=1
	v_and_b32_e32 v43, 0xffff, v8
	v_or_b32_e32 v45, 0x10000, v8
	s_delay_alu instid0(VALU_DEP_2) | instskip(NEXT) | instid1(VALU_DEP_1)
	v_cmp_eq_u32_e64 s2, 0, v43
	v_cndmask_b32_e64 v43, v45, v8, s2
; %bb.334:                              ;   in Loop: Header=BB420_10 Depth=1
	s_or_b32 exec_lo, exec_lo, s3
	v_mov_b32_e32 v8, 0
	s_mov_b32 s3, exec_lo
	v_cmpx_lt_u32_e32 0xffffff, v44
	s_cbranch_execz .LBB420_342
; %bb.335:                              ;   in Loop: Header=BB420_10 Depth=1
	v_lshrrev_b32_e32 v45, 24, v44
	v_bfrev_b32_e32 v8, 1
	s_mov_b32 s19, exec_lo
	s_delay_alu instid0(VALU_DEP_2)
	v_cmpx_ne_u32_e32 0x80, v45
	s_cbranch_execz .LBB420_341
; %bb.336:                              ;   in Loop: Header=BB420_10 Depth=1
	v_bfe_u32 v46, v44, 24, 7
	v_mov_b32_e32 v8, 0x7f800001
	s_mov_b32 s20, exec_lo
	s_delay_alu instid0(VALU_DEP_2)
	v_cmpx_ne_u32_e32 0x7f, v46
	s_cbranch_execz .LBB420_340
; %bb.337:                              ;   in Loop: Header=BB420_10 Depth=1
	v_and_b32_e32 v8, 7, v45
	v_lshrrev_b32_e32 v44, 3, v46
	s_mov_b32 s21, exec_lo
	v_cmpx_gt_u32_e32 8, v46
; %bb.338:                              ;   in Loop: Header=BB420_10 Depth=1
	s_delay_alu instid0(VALU_DEP_3) | instskip(NEXT) | instid1(VALU_DEP_1)
	v_clz_i32_u32_e32 v44, v8
	v_min_u32_e32 v44, 32, v44
	s_delay_alu instid0(VALU_DEP_1) | instskip(SKIP_1) | instid1(VALU_DEP_2)
	v_subrev_nc_u32_e32 v46, 28, v44
	v_sub_nc_u32_e32 v44, 29, v44
	v_lshlrev_b64 v[46:47], v46, v[8:9]
	s_delay_alu instid0(VALU_DEP_1)
	v_and_b32_e32 v8, 7, v46
; %bb.339:                              ;   in Loop: Header=BB420_10 Depth=1
	s_or_b32 exec_lo, exec_lo, s21
	v_lshlrev_b32_e32 v45, 24, v45
	s_delay_alu instid0(VALU_DEP_2) | instskip(SKIP_1) | instid1(VALU_DEP_3)
	v_lshlrev_b32_e32 v8, 20, v8
	v_lshl_add_u32 v44, v44, 23, 0x3c000000
	v_and_b32_e32 v45, 0x80000000, v45
	s_delay_alu instid0(VALU_DEP_1)
	v_or3_b32 v8, v8, v45, v44
.LBB420_340:                            ;   in Loop: Header=BB420_10 Depth=1
	s_or_b32 exec_lo, exec_lo, s20
.LBB420_341:                            ;   in Loop: Header=BB420_10 Depth=1
	s_delay_alu instid0(SALU_CYCLE_1)
	s_or_b32 exec_lo, exec_lo, s19
.LBB420_342:                            ;   in Loop: Header=BB420_10 Depth=1
	s_delay_alu instid0(SALU_CYCLE_1) | instskip(NEXT) | instid1(VALU_DEP_1)
	s_or_b32 exec_lo, exec_lo, s3
	v_mul_f32_e32 v8, v144, v8
	s_delay_alu instid0(VALU_DEP_1) | instskip(NEXT) | instid1(VALU_DEP_1)
	v_and_b32_e32 v44, 0x7f800000, v8
	v_cmp_ne_u32_e64 s2, 0x7f800000, v44
                                        ; implicit-def: $vgpr44
	s_delay_alu instid0(VALU_DEP_1) | instskip(NEXT) | instid1(SALU_CYCLE_1)
	s_and_saveexec_b32 s3, s2
	s_xor_b32 s2, exec_lo, s3
; %bb.343:                              ;   in Loop: Header=BB420_10 Depth=1
	v_bfe_u32 v44, v8, 16, 1
	s_delay_alu instid0(VALU_DEP_1)
	v_add3_u32 v44, v8, v44, 0x7fff
                                        ; implicit-def: $vgpr8
; %bb.344:                              ;   in Loop: Header=BB420_10 Depth=1
	s_and_not1_saveexec_b32 s3, s2
; %bb.345:                              ;   in Loop: Header=BB420_10 Depth=1
	v_and_b32_e32 v44, 0xffff, v8
	v_or_b32_e32 v45, 0x10000, v8
	s_delay_alu instid0(VALU_DEP_2) | instskip(NEXT) | instid1(VALU_DEP_1)
	v_cmp_eq_u32_e64 s2, 0, v44
	v_cndmask_b32_e64 v44, v45, v8, s2
; %bb.346:                              ;   in Loop: Header=BB420_10 Depth=1
	s_or_b32 exec_lo, exec_lo, s3
	flat_load_b32 v56, v[28:29] offset:776
	s_mov_b32 s3, exec_lo
	s_waitcnt vmcnt(0) lgkmcnt(0)
	v_dual_mov_b32 v8, 0 :: v_dual_and_b32 v45, 0xff, v56
	s_delay_alu instid0(VALU_DEP_1)
	v_cmpx_ne_u16_e32 0, v45
	s_cbranch_execz .LBB420_354
; %bb.347:                              ;   in Loop: Header=BB420_10 Depth=1
	v_bfrev_b32_e32 v8, 1
	s_mov_b32 s19, exec_lo
	v_cmpx_ne_u16_e32 0x80, v45
	s_cbranch_execz .LBB420_353
; %bb.348:                              ;   in Loop: Header=BB420_10 Depth=1
	v_and_b32_e32 v46, 0x7f, v56
	v_mov_b32_e32 v8, 0x7f800001
	s_mov_b32 s20, exec_lo
	s_delay_alu instid0(VALU_DEP_2)
	v_cmpx_ne_u32_e32 0x7f, v46
	s_cbranch_execz .LBB420_352
; %bb.349:                              ;   in Loop: Header=BB420_10 Depth=1
	v_and_b32_e32 v8, 7, v56
	v_lshrrev_b32_e32 v45, 3, v46
	s_mov_b32 s21, exec_lo
	v_cmpx_gt_u32_e32 8, v46
; %bb.350:                              ;   in Loop: Header=BB420_10 Depth=1
	s_delay_alu instid0(VALU_DEP_3) | instskip(NEXT) | instid1(VALU_DEP_1)
	v_clz_i32_u32_e32 v45, v8
	v_min_u32_e32 v45, 32, v45
	s_delay_alu instid0(VALU_DEP_1) | instskip(SKIP_1) | instid1(VALU_DEP_2)
	v_subrev_nc_u32_e32 v46, 28, v45
	v_sub_nc_u32_e32 v45, 29, v45
	v_lshlrev_b64 v[46:47], v46, v[8:9]
	s_delay_alu instid0(VALU_DEP_1)
	v_and_b32_e32 v8, 7, v46
; %bb.351:                              ;   in Loop: Header=BB420_10 Depth=1
	s_or_b32 exec_lo, exec_lo, s21
	v_lshlrev_b32_e32 v46, 24, v56
	s_delay_alu instid0(VALU_DEP_2) | instskip(SKIP_1) | instid1(VALU_DEP_3)
	v_lshlrev_b32_e32 v8, 20, v8
	v_lshl_add_u32 v45, v45, 23, 0x3c000000
	v_and_b32_e32 v46, 0x80000000, v46
	s_delay_alu instid0(VALU_DEP_1)
	v_or3_b32 v8, v8, v46, v45
.LBB420_352:                            ;   in Loop: Header=BB420_10 Depth=1
	s_or_b32 exec_lo, exec_lo, s20
.LBB420_353:                            ;   in Loop: Header=BB420_10 Depth=1
	s_delay_alu instid0(SALU_CYCLE_1)
	s_or_b32 exec_lo, exec_lo, s19
.LBB420_354:                            ;   in Loop: Header=BB420_10 Depth=1
	s_delay_alu instid0(SALU_CYCLE_1) | instskip(NEXT) | instid1(VALU_DEP_1)
	s_or_b32 exec_lo, exec_lo, s3
	v_mul_f32_e32 v8, v144, v8
	s_delay_alu instid0(VALU_DEP_1) | instskip(NEXT) | instid1(VALU_DEP_1)
	v_and_b32_e32 v45, 0x7f800000, v8
	v_cmp_ne_u32_e64 s2, 0x7f800000, v45
                                        ; implicit-def: $vgpr45
	s_delay_alu instid0(VALU_DEP_1) | instskip(NEXT) | instid1(SALU_CYCLE_1)
	s_and_saveexec_b32 s3, s2
	s_xor_b32 s2, exec_lo, s3
; %bb.355:                              ;   in Loop: Header=BB420_10 Depth=1
	v_bfe_u32 v45, v8, 16, 1
	s_delay_alu instid0(VALU_DEP_1)
	v_add3_u32 v45, v8, v45, 0x7fff
                                        ; implicit-def: $vgpr8
; %bb.356:                              ;   in Loop: Header=BB420_10 Depth=1
	s_and_not1_saveexec_b32 s3, s2
; %bb.357:                              ;   in Loop: Header=BB420_10 Depth=1
	v_and_b32_e32 v45, 0xffff, v8
	v_or_b32_e32 v46, 0x10000, v8
	s_delay_alu instid0(VALU_DEP_2) | instskip(NEXT) | instid1(VALU_DEP_1)
	v_cmp_eq_u32_e64 s2, 0, v45
	v_cndmask_b32_e64 v45, v46, v8, s2
; %bb.358:                              ;   in Loop: Header=BB420_10 Depth=1
	s_or_b32 exec_lo, exec_lo, s3
	v_lshrrev_b16 v46, 8, v56
	v_mov_b32_e32 v8, 0
	s_mov_b32 s3, exec_lo
	s_delay_alu instid0(VALU_DEP_2)
	v_cmpx_ne_u16_e32 0, v46
	s_cbranch_execz .LBB420_366
; %bb.359:                              ;   in Loop: Header=BB420_10 Depth=1
	v_bfrev_b32_e32 v8, 1
	s_mov_b32 s19, exec_lo
	v_cmpx_ne_u16_e32 0x80, v46
	s_cbranch_execz .LBB420_365
; %bb.360:                              ;   in Loop: Header=BB420_10 Depth=1
	v_and_b32_e32 v46, 0xffff, v46
	v_mov_b32_e32 v8, 0x7f800001
	s_mov_b32 s20, exec_lo
	s_delay_alu instid0(VALU_DEP_2) | instskip(NEXT) | instid1(VALU_DEP_1)
	v_and_b32_e32 v47, 0x7f, v46
	v_cmpx_ne_u32_e32 0x7f, v47
	s_cbranch_execz .LBB420_364
; %bb.361:                              ;   in Loop: Header=BB420_10 Depth=1
	v_and_b32_e32 v8, 7, v46
	v_lshrrev_b32_e32 v46, 3, v47
	s_mov_b32 s21, exec_lo
	v_cmpx_gt_u32_e32 8, v47
; %bb.362:                              ;   in Loop: Header=BB420_10 Depth=1
	s_delay_alu instid0(VALU_DEP_3) | instskip(NEXT) | instid1(VALU_DEP_1)
	v_clz_i32_u32_e32 v46, v8
	v_min_u32_e32 v46, 32, v46
	s_delay_alu instid0(VALU_DEP_1) | instskip(SKIP_1) | instid1(VALU_DEP_2)
	v_subrev_nc_u32_e32 v47, 28, v46
	v_sub_nc_u32_e32 v46, 29, v46
	v_lshlrev_b64 v[57:58], v47, v[8:9]
	s_delay_alu instid0(VALU_DEP_1)
	v_and_b32_e32 v8, 7, v57
; %bb.363:                              ;   in Loop: Header=BB420_10 Depth=1
	s_or_b32 exec_lo, exec_lo, s21
	v_lshlrev_b32_e32 v47, 16, v56
	s_delay_alu instid0(VALU_DEP_2) | instskip(SKIP_1) | instid1(VALU_DEP_3)
	v_lshlrev_b32_e32 v8, 20, v8
	v_lshl_add_u32 v46, v46, 23, 0x3c000000
	v_and_b32_e32 v47, 0x80000000, v47
	s_delay_alu instid0(VALU_DEP_1)
	v_or3_b32 v8, v8, v47, v46
.LBB420_364:                            ;   in Loop: Header=BB420_10 Depth=1
	s_or_b32 exec_lo, exec_lo, s20
.LBB420_365:                            ;   in Loop: Header=BB420_10 Depth=1
	s_delay_alu instid0(SALU_CYCLE_1)
	s_or_b32 exec_lo, exec_lo, s19
.LBB420_366:                            ;   in Loop: Header=BB420_10 Depth=1
	s_delay_alu instid0(SALU_CYCLE_1) | instskip(NEXT) | instid1(VALU_DEP_1)
	s_or_b32 exec_lo, exec_lo, s3
	v_mul_f32_e32 v8, v144, v8
	s_delay_alu instid0(VALU_DEP_1) | instskip(NEXT) | instid1(VALU_DEP_1)
	v_and_b32_e32 v46, 0x7f800000, v8
	v_cmp_ne_u32_e64 s2, 0x7f800000, v46
                                        ; implicit-def: $vgpr46
	s_delay_alu instid0(VALU_DEP_1) | instskip(NEXT) | instid1(SALU_CYCLE_1)
	s_and_saveexec_b32 s3, s2
	s_xor_b32 s2, exec_lo, s3
; %bb.367:                              ;   in Loop: Header=BB420_10 Depth=1
	v_bfe_u32 v46, v8, 16, 1
	s_delay_alu instid0(VALU_DEP_1)
	v_add3_u32 v46, v8, v46, 0x7fff
                                        ; implicit-def: $vgpr8
; %bb.368:                              ;   in Loop: Header=BB420_10 Depth=1
	s_and_not1_saveexec_b32 s3, s2
; %bb.369:                              ;   in Loop: Header=BB420_10 Depth=1
	v_and_b32_e32 v46, 0xffff, v8
	v_or_b32_e32 v47, 0x10000, v8
	s_delay_alu instid0(VALU_DEP_2) | instskip(NEXT) | instid1(VALU_DEP_1)
	v_cmp_eq_u32_e64 s2, 0, v46
	v_cndmask_b32_e64 v46, v47, v8, s2
; %bb.370:                              ;   in Loop: Header=BB420_10 Depth=1
	s_or_b32 exec_lo, exec_lo, s3
	v_lshrrev_b32_e32 v47, 16, v56
	s_mov_b32 s3, exec_lo
	s_delay_alu instid0(VALU_DEP_1) | instskip(NEXT) | instid1(VALU_DEP_1)
	v_dual_mov_b32 v8, 0 :: v_dual_and_b32 v57, 0xff, v47
	v_cmpx_ne_u16_e32 0, v57
	s_cbranch_execz .LBB420_378
; %bb.371:                              ;   in Loop: Header=BB420_10 Depth=1
	v_bfrev_b32_e32 v8, 1
	s_mov_b32 s19, exec_lo
	v_cmpx_ne_u16_e32 0x80, v57
	s_cbranch_execz .LBB420_377
; %bb.372:                              ;   in Loop: Header=BB420_10 Depth=1
	v_bfe_u32 v58, v56, 16, 7
	v_mov_b32_e32 v8, 0x7f800001
	s_mov_b32 s20, exec_lo
	s_delay_alu instid0(VALU_DEP_2)
	v_cmpx_ne_u32_e32 0x7f, v58
	s_cbranch_execz .LBB420_376
; %bb.373:                              ;   in Loop: Header=BB420_10 Depth=1
	v_and_b32_e32 v8, 7, v47
	v_lshrrev_b32_e32 v57, 3, v58
	s_mov_b32 s21, exec_lo
	v_cmpx_gt_u32_e32 8, v58
; %bb.374:                              ;   in Loop: Header=BB420_10 Depth=1
	s_delay_alu instid0(VALU_DEP_3) | instskip(NEXT) | instid1(VALU_DEP_1)
	v_clz_i32_u32_e32 v57, v8
	v_min_u32_e32 v57, 32, v57
	s_delay_alu instid0(VALU_DEP_1) | instskip(SKIP_1) | instid1(VALU_DEP_2)
	v_subrev_nc_u32_e32 v58, 28, v57
	v_sub_nc_u32_e32 v57, 29, v57
	v_lshlrev_b64 v[58:59], v58, v[8:9]
	s_delay_alu instid0(VALU_DEP_1)
	v_and_b32_e32 v8, 7, v58
; %bb.375:                              ;   in Loop: Header=BB420_10 Depth=1
	s_or_b32 exec_lo, exec_lo, s21
	v_lshlrev_b32_e32 v47, 24, v47
	s_delay_alu instid0(VALU_DEP_2) | instskip(SKIP_1) | instid1(VALU_DEP_3)
	v_lshlrev_b32_e32 v8, 20, v8
	v_lshl_add_u32 v57, v57, 23, 0x3c000000
	v_and_b32_e32 v47, 0x80000000, v47
	s_delay_alu instid0(VALU_DEP_1)
	v_or3_b32 v8, v8, v47, v57
.LBB420_376:                            ;   in Loop: Header=BB420_10 Depth=1
	s_or_b32 exec_lo, exec_lo, s20
.LBB420_377:                            ;   in Loop: Header=BB420_10 Depth=1
	s_delay_alu instid0(SALU_CYCLE_1)
	s_or_b32 exec_lo, exec_lo, s19
.LBB420_378:                            ;   in Loop: Header=BB420_10 Depth=1
	s_delay_alu instid0(SALU_CYCLE_1) | instskip(NEXT) | instid1(VALU_DEP_1)
	s_or_b32 exec_lo, exec_lo, s3
	v_mul_f32_e32 v8, v144, v8
	s_delay_alu instid0(VALU_DEP_1) | instskip(NEXT) | instid1(VALU_DEP_1)
	v_and_b32_e32 v47, 0x7f800000, v8
	v_cmp_ne_u32_e64 s2, 0x7f800000, v47
                                        ; implicit-def: $vgpr47
	s_delay_alu instid0(VALU_DEP_1) | instskip(NEXT) | instid1(SALU_CYCLE_1)
	s_and_saveexec_b32 s3, s2
	s_xor_b32 s2, exec_lo, s3
; %bb.379:                              ;   in Loop: Header=BB420_10 Depth=1
	v_bfe_u32 v47, v8, 16, 1
	s_delay_alu instid0(VALU_DEP_1)
	v_add3_u32 v47, v8, v47, 0x7fff
                                        ; implicit-def: $vgpr8
; %bb.380:                              ;   in Loop: Header=BB420_10 Depth=1
	s_and_not1_saveexec_b32 s3, s2
; %bb.381:                              ;   in Loop: Header=BB420_10 Depth=1
	v_and_b32_e32 v47, 0xffff, v8
	v_or_b32_e32 v57, 0x10000, v8
	s_delay_alu instid0(VALU_DEP_2) | instskip(NEXT) | instid1(VALU_DEP_1)
	v_cmp_eq_u32_e64 s2, 0, v47
	v_cndmask_b32_e64 v47, v57, v8, s2
; %bb.382:                              ;   in Loop: Header=BB420_10 Depth=1
	s_or_b32 exec_lo, exec_lo, s3
	v_mov_b32_e32 v8, 0
	s_mov_b32 s3, exec_lo
	v_cmpx_lt_u32_e32 0xffffff, v56
	s_cbranch_execz .LBB420_390
; %bb.383:                              ;   in Loop: Header=BB420_10 Depth=1
	v_lshrrev_b32_e32 v57, 24, v56
	v_bfrev_b32_e32 v8, 1
	s_mov_b32 s19, exec_lo
	s_delay_alu instid0(VALU_DEP_2)
	v_cmpx_ne_u32_e32 0x80, v57
	s_cbranch_execz .LBB420_389
; %bb.384:                              ;   in Loop: Header=BB420_10 Depth=1
	v_bfe_u32 v58, v56, 24, 7
	v_mov_b32_e32 v8, 0x7f800001
	s_mov_b32 s20, exec_lo
	s_delay_alu instid0(VALU_DEP_2)
	v_cmpx_ne_u32_e32 0x7f, v58
	s_cbranch_execz .LBB420_388
; %bb.385:                              ;   in Loop: Header=BB420_10 Depth=1
	v_and_b32_e32 v8, 7, v57
	v_lshrrev_b32_e32 v56, 3, v58
	s_mov_b32 s21, exec_lo
	v_cmpx_gt_u32_e32 8, v58
; %bb.386:                              ;   in Loop: Header=BB420_10 Depth=1
	s_delay_alu instid0(VALU_DEP_3) | instskip(NEXT) | instid1(VALU_DEP_1)
	v_clz_i32_u32_e32 v56, v8
	v_min_u32_e32 v56, 32, v56
	s_delay_alu instid0(VALU_DEP_1) | instskip(SKIP_1) | instid1(VALU_DEP_2)
	v_subrev_nc_u32_e32 v58, 28, v56
	v_sub_nc_u32_e32 v56, 29, v56
	v_lshlrev_b64 v[58:59], v58, v[8:9]
	s_delay_alu instid0(VALU_DEP_1)
	v_and_b32_e32 v8, 7, v58
; %bb.387:                              ;   in Loop: Header=BB420_10 Depth=1
	s_or_b32 exec_lo, exec_lo, s21
	v_lshlrev_b32_e32 v57, 24, v57
	s_delay_alu instid0(VALU_DEP_2) | instskip(SKIP_1) | instid1(VALU_DEP_3)
	v_lshlrev_b32_e32 v8, 20, v8
	v_lshl_add_u32 v56, v56, 23, 0x3c000000
	v_and_b32_e32 v57, 0x80000000, v57
	s_delay_alu instid0(VALU_DEP_1)
	v_or3_b32 v8, v8, v57, v56
.LBB420_388:                            ;   in Loop: Header=BB420_10 Depth=1
	s_or_b32 exec_lo, exec_lo, s20
.LBB420_389:                            ;   in Loop: Header=BB420_10 Depth=1
	s_delay_alu instid0(SALU_CYCLE_1)
	s_or_b32 exec_lo, exec_lo, s19
.LBB420_390:                            ;   in Loop: Header=BB420_10 Depth=1
	s_delay_alu instid0(SALU_CYCLE_1) | instskip(NEXT) | instid1(VALU_DEP_1)
	s_or_b32 exec_lo, exec_lo, s3
	v_mul_f32_e32 v8, v144, v8
	s_delay_alu instid0(VALU_DEP_1) | instskip(NEXT) | instid1(VALU_DEP_1)
	v_and_b32_e32 v56, 0x7f800000, v8
	v_cmp_ne_u32_e64 s2, 0x7f800000, v56
                                        ; implicit-def: $vgpr56
	s_delay_alu instid0(VALU_DEP_1) | instskip(NEXT) | instid1(SALU_CYCLE_1)
	s_and_saveexec_b32 s3, s2
	s_xor_b32 s2, exec_lo, s3
; %bb.391:                              ;   in Loop: Header=BB420_10 Depth=1
	v_bfe_u32 v56, v8, 16, 1
	s_delay_alu instid0(VALU_DEP_1)
	v_add3_u32 v56, v8, v56, 0x7fff
                                        ; implicit-def: $vgpr8
; %bb.392:                              ;   in Loop: Header=BB420_10 Depth=1
	s_and_not1_saveexec_b32 s3, s2
; %bb.393:                              ;   in Loop: Header=BB420_10 Depth=1
	v_and_b32_e32 v56, 0xffff, v8
	v_or_b32_e32 v57, 0x10000, v8
	s_delay_alu instid0(VALU_DEP_2) | instskip(NEXT) | instid1(VALU_DEP_1)
	v_cmp_eq_u32_e64 s2, 0, v56
	v_cndmask_b32_e64 v56, v57, v8, s2
; %bb.394:                              ;   in Loop: Header=BB420_10 Depth=1
	s_or_b32 exec_lo, exec_lo, s3
	flat_load_b32 v60, v[28:29] offset:1024
	s_mov_b32 s3, exec_lo
	s_waitcnt vmcnt(0) lgkmcnt(0)
	v_dual_mov_b32 v8, 0 :: v_dual_and_b32 v57, 0xff, v60
	s_delay_alu instid0(VALU_DEP_1)
	v_cmpx_ne_u16_e32 0, v57
	s_cbranch_execz .LBB420_402
; %bb.395:                              ;   in Loop: Header=BB420_10 Depth=1
	v_bfrev_b32_e32 v8, 1
	s_mov_b32 s19, exec_lo
	v_cmpx_ne_u16_e32 0x80, v57
	s_cbranch_execz .LBB420_401
; %bb.396:                              ;   in Loop: Header=BB420_10 Depth=1
	v_and_b32_e32 v58, 0x7f, v60
	v_mov_b32_e32 v8, 0x7f800001
	s_mov_b32 s20, exec_lo
	s_delay_alu instid0(VALU_DEP_2)
	v_cmpx_ne_u32_e32 0x7f, v58
	s_cbranch_execz .LBB420_400
; %bb.397:                              ;   in Loop: Header=BB420_10 Depth=1
	v_and_b32_e32 v8, 7, v60
	v_lshrrev_b32_e32 v57, 3, v58
	s_mov_b32 s21, exec_lo
	v_cmpx_gt_u32_e32 8, v58
; %bb.398:                              ;   in Loop: Header=BB420_10 Depth=1
	s_delay_alu instid0(VALU_DEP_3) | instskip(NEXT) | instid1(VALU_DEP_1)
	v_clz_i32_u32_e32 v57, v8
	v_min_u32_e32 v57, 32, v57
	s_delay_alu instid0(VALU_DEP_1) | instskip(SKIP_1) | instid1(VALU_DEP_2)
	v_subrev_nc_u32_e32 v58, 28, v57
	v_sub_nc_u32_e32 v57, 29, v57
	v_lshlrev_b64 v[58:59], v58, v[8:9]
	s_delay_alu instid0(VALU_DEP_1)
	v_and_b32_e32 v8, 7, v58
; %bb.399:                              ;   in Loop: Header=BB420_10 Depth=1
	s_or_b32 exec_lo, exec_lo, s21
	v_lshlrev_b32_e32 v58, 24, v60
	s_delay_alu instid0(VALU_DEP_2) | instskip(SKIP_1) | instid1(VALU_DEP_3)
	v_lshlrev_b32_e32 v8, 20, v8
	v_lshl_add_u32 v57, v57, 23, 0x3c000000
	v_and_b32_e32 v58, 0x80000000, v58
	s_delay_alu instid0(VALU_DEP_1)
	v_or3_b32 v8, v8, v58, v57
.LBB420_400:                            ;   in Loop: Header=BB420_10 Depth=1
	s_or_b32 exec_lo, exec_lo, s20
.LBB420_401:                            ;   in Loop: Header=BB420_10 Depth=1
	s_delay_alu instid0(SALU_CYCLE_1)
	s_or_b32 exec_lo, exec_lo, s19
.LBB420_402:                            ;   in Loop: Header=BB420_10 Depth=1
	s_delay_alu instid0(SALU_CYCLE_1) | instskip(NEXT) | instid1(VALU_DEP_1)
	s_or_b32 exec_lo, exec_lo, s3
	v_mul_f32_e32 v8, v144, v8
	s_delay_alu instid0(VALU_DEP_1) | instskip(NEXT) | instid1(VALU_DEP_1)
	v_and_b32_e32 v57, 0x7f800000, v8
	v_cmp_ne_u32_e64 s2, 0x7f800000, v57
                                        ; implicit-def: $vgpr57
	s_delay_alu instid0(VALU_DEP_1) | instskip(NEXT) | instid1(SALU_CYCLE_1)
	s_and_saveexec_b32 s3, s2
	s_xor_b32 s2, exec_lo, s3
; %bb.403:                              ;   in Loop: Header=BB420_10 Depth=1
	v_bfe_u32 v57, v8, 16, 1
	s_delay_alu instid0(VALU_DEP_1)
	v_add3_u32 v57, v8, v57, 0x7fff
                                        ; implicit-def: $vgpr8
; %bb.404:                              ;   in Loop: Header=BB420_10 Depth=1
	s_and_not1_saveexec_b32 s3, s2
; %bb.405:                              ;   in Loop: Header=BB420_10 Depth=1
	v_and_b32_e32 v57, 0xffff, v8
	v_or_b32_e32 v58, 0x10000, v8
	s_delay_alu instid0(VALU_DEP_2) | instskip(NEXT) | instid1(VALU_DEP_1)
	v_cmp_eq_u32_e64 s2, 0, v57
	v_cndmask_b32_e64 v57, v58, v8, s2
; %bb.406:                              ;   in Loop: Header=BB420_10 Depth=1
	s_or_b32 exec_lo, exec_lo, s3
	v_lshrrev_b16 v58, 8, v60
	v_mov_b32_e32 v8, 0
	s_mov_b32 s3, exec_lo
	s_delay_alu instid0(VALU_DEP_2)
	v_cmpx_ne_u16_e32 0, v58
	s_cbranch_execz .LBB420_414
; %bb.407:                              ;   in Loop: Header=BB420_10 Depth=1
	v_bfrev_b32_e32 v8, 1
	s_mov_b32 s19, exec_lo
	v_cmpx_ne_u16_e32 0x80, v58
	s_cbranch_execz .LBB420_413
; %bb.408:                              ;   in Loop: Header=BB420_10 Depth=1
	v_and_b32_e32 v58, 0xffff, v58
	v_mov_b32_e32 v8, 0x7f800001
	s_mov_b32 s20, exec_lo
	s_delay_alu instid0(VALU_DEP_2) | instskip(NEXT) | instid1(VALU_DEP_1)
	v_and_b32_e32 v59, 0x7f, v58
	v_cmpx_ne_u32_e32 0x7f, v59
	s_cbranch_execz .LBB420_412
; %bb.409:                              ;   in Loop: Header=BB420_10 Depth=1
	v_and_b32_e32 v8, 7, v58
	v_lshrrev_b32_e32 v58, 3, v59
	s_mov_b32 s21, exec_lo
	v_cmpx_gt_u32_e32 8, v59
; %bb.410:                              ;   in Loop: Header=BB420_10 Depth=1
	s_delay_alu instid0(VALU_DEP_3) | instskip(NEXT) | instid1(VALU_DEP_1)
	v_clz_i32_u32_e32 v58, v8
	v_min_u32_e32 v58, 32, v58
	s_delay_alu instid0(VALU_DEP_1) | instskip(SKIP_1) | instid1(VALU_DEP_2)
	v_subrev_nc_u32_e32 v59, 28, v58
	v_sub_nc_u32_e32 v58, 29, v58
	v_lshlrev_b64 v[61:62], v59, v[8:9]
	s_delay_alu instid0(VALU_DEP_1)
	v_and_b32_e32 v8, 7, v61
; %bb.411:                              ;   in Loop: Header=BB420_10 Depth=1
	s_or_b32 exec_lo, exec_lo, s21
	v_lshlrev_b32_e32 v59, 16, v60
	s_delay_alu instid0(VALU_DEP_2) | instskip(SKIP_1) | instid1(VALU_DEP_3)
	v_lshlrev_b32_e32 v8, 20, v8
	v_lshl_add_u32 v58, v58, 23, 0x3c000000
	v_and_b32_e32 v59, 0x80000000, v59
	s_delay_alu instid0(VALU_DEP_1)
	v_or3_b32 v8, v8, v59, v58
.LBB420_412:                            ;   in Loop: Header=BB420_10 Depth=1
	s_or_b32 exec_lo, exec_lo, s20
.LBB420_413:                            ;   in Loop: Header=BB420_10 Depth=1
	s_delay_alu instid0(SALU_CYCLE_1)
	s_or_b32 exec_lo, exec_lo, s19
.LBB420_414:                            ;   in Loop: Header=BB420_10 Depth=1
	s_delay_alu instid0(SALU_CYCLE_1) | instskip(NEXT) | instid1(VALU_DEP_1)
	s_or_b32 exec_lo, exec_lo, s3
	v_mul_f32_e32 v8, v144, v8
	s_delay_alu instid0(VALU_DEP_1) | instskip(NEXT) | instid1(VALU_DEP_1)
	v_and_b32_e32 v58, 0x7f800000, v8
	v_cmp_ne_u32_e64 s2, 0x7f800000, v58
                                        ; implicit-def: $vgpr58
	s_delay_alu instid0(VALU_DEP_1) | instskip(NEXT) | instid1(SALU_CYCLE_1)
	s_and_saveexec_b32 s3, s2
	s_xor_b32 s2, exec_lo, s3
; %bb.415:                              ;   in Loop: Header=BB420_10 Depth=1
	v_bfe_u32 v58, v8, 16, 1
	s_delay_alu instid0(VALU_DEP_1)
	v_add3_u32 v58, v8, v58, 0x7fff
                                        ; implicit-def: $vgpr8
; %bb.416:                              ;   in Loop: Header=BB420_10 Depth=1
	s_and_not1_saveexec_b32 s3, s2
; %bb.417:                              ;   in Loop: Header=BB420_10 Depth=1
	v_and_b32_e32 v58, 0xffff, v8
	v_or_b32_e32 v59, 0x10000, v8
	s_delay_alu instid0(VALU_DEP_2) | instskip(NEXT) | instid1(VALU_DEP_1)
	v_cmp_eq_u32_e64 s2, 0, v58
	v_cndmask_b32_e64 v58, v59, v8, s2
; %bb.418:                              ;   in Loop: Header=BB420_10 Depth=1
	s_or_b32 exec_lo, exec_lo, s3
	v_lshrrev_b32_e32 v59, 16, v60
	s_mov_b32 s3, exec_lo
	s_delay_alu instid0(VALU_DEP_1) | instskip(NEXT) | instid1(VALU_DEP_1)
	v_dual_mov_b32 v8, 0 :: v_dual_and_b32 v61, 0xff, v59
	v_cmpx_ne_u16_e32 0, v61
	s_cbranch_execz .LBB420_426
; %bb.419:                              ;   in Loop: Header=BB420_10 Depth=1
	v_bfrev_b32_e32 v8, 1
	s_mov_b32 s19, exec_lo
	v_cmpx_ne_u16_e32 0x80, v61
	s_cbranch_execz .LBB420_425
; %bb.420:                              ;   in Loop: Header=BB420_10 Depth=1
	v_bfe_u32 v62, v60, 16, 7
	v_mov_b32_e32 v8, 0x7f800001
	s_mov_b32 s20, exec_lo
	s_delay_alu instid0(VALU_DEP_2)
	v_cmpx_ne_u32_e32 0x7f, v62
	s_cbranch_execz .LBB420_424
; %bb.421:                              ;   in Loop: Header=BB420_10 Depth=1
	v_and_b32_e32 v8, 7, v59
	v_lshrrev_b32_e32 v61, 3, v62
	s_mov_b32 s21, exec_lo
	v_cmpx_gt_u32_e32 8, v62
; %bb.422:                              ;   in Loop: Header=BB420_10 Depth=1
	s_delay_alu instid0(VALU_DEP_3) | instskip(NEXT) | instid1(VALU_DEP_1)
	v_clz_i32_u32_e32 v61, v8
	v_min_u32_e32 v61, 32, v61
	s_delay_alu instid0(VALU_DEP_1) | instskip(SKIP_1) | instid1(VALU_DEP_2)
	v_subrev_nc_u32_e32 v62, 28, v61
	v_sub_nc_u32_e32 v61, 29, v61
	v_lshlrev_b64 v[62:63], v62, v[8:9]
	s_delay_alu instid0(VALU_DEP_1)
	v_and_b32_e32 v8, 7, v62
; %bb.423:                              ;   in Loop: Header=BB420_10 Depth=1
	s_or_b32 exec_lo, exec_lo, s21
	v_lshlrev_b32_e32 v59, 24, v59
	s_delay_alu instid0(VALU_DEP_2) | instskip(SKIP_1) | instid1(VALU_DEP_3)
	v_lshlrev_b32_e32 v8, 20, v8
	v_lshl_add_u32 v61, v61, 23, 0x3c000000
	v_and_b32_e32 v59, 0x80000000, v59
	s_delay_alu instid0(VALU_DEP_1)
	v_or3_b32 v8, v8, v59, v61
.LBB420_424:                            ;   in Loop: Header=BB420_10 Depth=1
	s_or_b32 exec_lo, exec_lo, s20
.LBB420_425:                            ;   in Loop: Header=BB420_10 Depth=1
	s_delay_alu instid0(SALU_CYCLE_1)
	s_or_b32 exec_lo, exec_lo, s19
.LBB420_426:                            ;   in Loop: Header=BB420_10 Depth=1
	s_delay_alu instid0(SALU_CYCLE_1) | instskip(NEXT) | instid1(VALU_DEP_1)
	s_or_b32 exec_lo, exec_lo, s3
	v_mul_f32_e32 v8, v144, v8
	s_delay_alu instid0(VALU_DEP_1) | instskip(NEXT) | instid1(VALU_DEP_1)
	v_and_b32_e32 v59, 0x7f800000, v8
	v_cmp_ne_u32_e64 s2, 0x7f800000, v59
                                        ; implicit-def: $vgpr59
	s_delay_alu instid0(VALU_DEP_1) | instskip(NEXT) | instid1(SALU_CYCLE_1)
	s_and_saveexec_b32 s3, s2
	s_xor_b32 s2, exec_lo, s3
; %bb.427:                              ;   in Loop: Header=BB420_10 Depth=1
	v_bfe_u32 v59, v8, 16, 1
	s_delay_alu instid0(VALU_DEP_1)
	v_add3_u32 v59, v8, v59, 0x7fff
                                        ; implicit-def: $vgpr8
; %bb.428:                              ;   in Loop: Header=BB420_10 Depth=1
	s_and_not1_saveexec_b32 s3, s2
; %bb.429:                              ;   in Loop: Header=BB420_10 Depth=1
	v_and_b32_e32 v59, 0xffff, v8
	v_or_b32_e32 v61, 0x10000, v8
	s_delay_alu instid0(VALU_DEP_2) | instskip(NEXT) | instid1(VALU_DEP_1)
	v_cmp_eq_u32_e64 s2, 0, v59
	v_cndmask_b32_e64 v59, v61, v8, s2
; %bb.430:                              ;   in Loop: Header=BB420_10 Depth=1
	s_or_b32 exec_lo, exec_lo, s3
	v_mov_b32_e32 v8, 0
	s_mov_b32 s3, exec_lo
	v_cmpx_lt_u32_e32 0xffffff, v60
	s_cbranch_execz .LBB420_438
; %bb.431:                              ;   in Loop: Header=BB420_10 Depth=1
	v_lshrrev_b32_e32 v61, 24, v60
	v_bfrev_b32_e32 v8, 1
	s_mov_b32 s19, exec_lo
	s_delay_alu instid0(VALU_DEP_2)
	v_cmpx_ne_u32_e32 0x80, v61
	s_cbranch_execz .LBB420_437
; %bb.432:                              ;   in Loop: Header=BB420_10 Depth=1
	v_bfe_u32 v62, v60, 24, 7
	v_mov_b32_e32 v8, 0x7f800001
	s_mov_b32 s20, exec_lo
	s_delay_alu instid0(VALU_DEP_2)
	v_cmpx_ne_u32_e32 0x7f, v62
	s_cbranch_execz .LBB420_436
; %bb.433:                              ;   in Loop: Header=BB420_10 Depth=1
	v_and_b32_e32 v8, 7, v61
	v_lshrrev_b32_e32 v60, 3, v62
	s_mov_b32 s21, exec_lo
	v_cmpx_gt_u32_e32 8, v62
; %bb.434:                              ;   in Loop: Header=BB420_10 Depth=1
	s_delay_alu instid0(VALU_DEP_3) | instskip(NEXT) | instid1(VALU_DEP_1)
	v_clz_i32_u32_e32 v60, v8
	v_min_u32_e32 v60, 32, v60
	s_delay_alu instid0(VALU_DEP_1) | instskip(SKIP_1) | instid1(VALU_DEP_2)
	v_subrev_nc_u32_e32 v62, 28, v60
	v_sub_nc_u32_e32 v60, 29, v60
	v_lshlrev_b64 v[62:63], v62, v[8:9]
	s_delay_alu instid0(VALU_DEP_1)
	v_and_b32_e32 v8, 7, v62
; %bb.435:                              ;   in Loop: Header=BB420_10 Depth=1
	s_or_b32 exec_lo, exec_lo, s21
	v_lshlrev_b32_e32 v61, 24, v61
	s_delay_alu instid0(VALU_DEP_2) | instskip(SKIP_1) | instid1(VALU_DEP_3)
	v_lshlrev_b32_e32 v8, 20, v8
	v_lshl_add_u32 v60, v60, 23, 0x3c000000
	v_and_b32_e32 v61, 0x80000000, v61
	s_delay_alu instid0(VALU_DEP_1)
	v_or3_b32 v8, v8, v61, v60
.LBB420_436:                            ;   in Loop: Header=BB420_10 Depth=1
	s_or_b32 exec_lo, exec_lo, s20
.LBB420_437:                            ;   in Loop: Header=BB420_10 Depth=1
	s_delay_alu instid0(SALU_CYCLE_1)
	s_or_b32 exec_lo, exec_lo, s19
.LBB420_438:                            ;   in Loop: Header=BB420_10 Depth=1
	s_delay_alu instid0(SALU_CYCLE_1) | instskip(NEXT) | instid1(VALU_DEP_1)
	s_or_b32 exec_lo, exec_lo, s3
	v_mul_f32_e32 v8, v144, v8
	s_delay_alu instid0(VALU_DEP_1) | instskip(NEXT) | instid1(VALU_DEP_1)
	v_and_b32_e32 v60, 0x7f800000, v8
	v_cmp_ne_u32_e64 s2, 0x7f800000, v60
                                        ; implicit-def: $vgpr60
	s_delay_alu instid0(VALU_DEP_1) | instskip(NEXT) | instid1(SALU_CYCLE_1)
	s_and_saveexec_b32 s3, s2
	s_xor_b32 s2, exec_lo, s3
; %bb.439:                              ;   in Loop: Header=BB420_10 Depth=1
	v_bfe_u32 v60, v8, 16, 1
	s_delay_alu instid0(VALU_DEP_1)
	v_add3_u32 v60, v8, v60, 0x7fff
                                        ; implicit-def: $vgpr8
; %bb.440:                              ;   in Loop: Header=BB420_10 Depth=1
	s_and_not1_saveexec_b32 s3, s2
; %bb.441:                              ;   in Loop: Header=BB420_10 Depth=1
	v_and_b32_e32 v60, 0xffff, v8
	v_or_b32_e32 v61, 0x10000, v8
	s_delay_alu instid0(VALU_DEP_2) | instskip(NEXT) | instid1(VALU_DEP_1)
	v_cmp_eq_u32_e64 s2, 0, v60
	v_cndmask_b32_e64 v60, v61, v8, s2
; %bb.442:                              ;   in Loop: Header=BB420_10 Depth=1
	s_or_b32 exec_lo, exec_lo, s3
	flat_load_b32 v29, v[28:29] offset:1032
	v_mov_b32_e32 v8, 0
	s_mov_b32 s3, exec_lo
	s_waitcnt vmcnt(0) lgkmcnt(0)
	v_and_b32_e32 v28, 0xff, v29
	s_delay_alu instid0(VALU_DEP_1)
	v_cmpx_ne_u16_e32 0, v28
	s_cbranch_execz .LBB420_450
; %bb.443:                              ;   in Loop: Header=BB420_10 Depth=1
	v_bfrev_b32_e32 v8, 1
	s_mov_b32 s19, exec_lo
	v_cmpx_ne_u16_e32 0x80, v28
	s_cbranch_execz .LBB420_449
; %bb.444:                              ;   in Loop: Header=BB420_10 Depth=1
	v_and_b32_e32 v61, 0x7f, v29
	v_mov_b32_e32 v8, 0x7f800001
	s_mov_b32 s20, exec_lo
	s_delay_alu instid0(VALU_DEP_2)
	v_cmpx_ne_u32_e32 0x7f, v61
	s_cbranch_execz .LBB420_448
; %bb.445:                              ;   in Loop: Header=BB420_10 Depth=1
	v_and_b32_e32 v8, 7, v29
	v_lshrrev_b32_e32 v28, 3, v61
	s_mov_b32 s21, exec_lo
	v_cmpx_gt_u32_e32 8, v61
; %bb.446:                              ;   in Loop: Header=BB420_10 Depth=1
	s_delay_alu instid0(VALU_DEP_3) | instskip(NEXT) | instid1(VALU_DEP_1)
	v_clz_i32_u32_e32 v28, v8
	v_min_u32_e32 v28, 32, v28
	s_delay_alu instid0(VALU_DEP_1) | instskip(SKIP_1) | instid1(VALU_DEP_2)
	v_subrev_nc_u32_e32 v61, 28, v28
	v_sub_nc_u32_e32 v28, 29, v28
	v_lshlrev_b64 v[61:62], v61, v[8:9]
	s_delay_alu instid0(VALU_DEP_1)
	v_and_b32_e32 v8, 7, v61
; %bb.447:                              ;   in Loop: Header=BB420_10 Depth=1
	s_or_b32 exec_lo, exec_lo, s21
	v_lshlrev_b32_e32 v61, 24, v29
	s_delay_alu instid0(VALU_DEP_2) | instskip(SKIP_1) | instid1(VALU_DEP_3)
	v_lshlrev_b32_e32 v8, 20, v8
	v_lshl_add_u32 v28, v28, 23, 0x3c000000
	v_and_b32_e32 v61, 0x80000000, v61
	s_delay_alu instid0(VALU_DEP_1)
	v_or3_b32 v8, v8, v61, v28
.LBB420_448:                            ;   in Loop: Header=BB420_10 Depth=1
	s_or_b32 exec_lo, exec_lo, s20
.LBB420_449:                            ;   in Loop: Header=BB420_10 Depth=1
	s_delay_alu instid0(SALU_CYCLE_1)
	s_or_b32 exec_lo, exec_lo, s19
.LBB420_450:                            ;   in Loop: Header=BB420_10 Depth=1
	s_delay_alu instid0(SALU_CYCLE_1) | instskip(NEXT) | instid1(VALU_DEP_1)
	s_or_b32 exec_lo, exec_lo, s3
	v_mul_f32_e32 v8, v144, v8
	s_delay_alu instid0(VALU_DEP_1) | instskip(NEXT) | instid1(VALU_DEP_1)
	v_and_b32_e32 v28, 0x7f800000, v8
	v_cmp_ne_u32_e64 s2, 0x7f800000, v28
                                        ; implicit-def: $vgpr28
	s_delay_alu instid0(VALU_DEP_1) | instskip(NEXT) | instid1(SALU_CYCLE_1)
	s_and_saveexec_b32 s3, s2
	s_xor_b32 s2, exec_lo, s3
; %bb.451:                              ;   in Loop: Header=BB420_10 Depth=1
	v_bfe_u32 v28, v8, 16, 1
	s_delay_alu instid0(VALU_DEP_1)
	v_add3_u32 v28, v8, v28, 0x7fff
                                        ; implicit-def: $vgpr8
; %bb.452:                              ;   in Loop: Header=BB420_10 Depth=1
	s_and_not1_saveexec_b32 s3, s2
; %bb.453:                              ;   in Loop: Header=BB420_10 Depth=1
	v_and_b32_e32 v28, 0xffff, v8
	v_or_b32_e32 v61, 0x10000, v8
	s_delay_alu instid0(VALU_DEP_2) | instskip(NEXT) | instid1(VALU_DEP_1)
	v_cmp_eq_u32_e64 s2, 0, v28
	v_cndmask_b32_e64 v28, v61, v8, s2
; %bb.454:                              ;   in Loop: Header=BB420_10 Depth=1
	s_or_b32 exec_lo, exec_lo, s3
	v_lshrrev_b16 v61, 8, v29
	v_mov_b32_e32 v8, 0
	s_mov_b32 s3, exec_lo
	s_delay_alu instid0(VALU_DEP_2)
	v_cmpx_ne_u16_e32 0, v61
	s_cbranch_execz .LBB420_462
; %bb.455:                              ;   in Loop: Header=BB420_10 Depth=1
	v_bfrev_b32_e32 v8, 1
	s_mov_b32 s19, exec_lo
	v_cmpx_ne_u16_e32 0x80, v61
	s_cbranch_execz .LBB420_461
; %bb.456:                              ;   in Loop: Header=BB420_10 Depth=1
	v_and_b32_e32 v61, 0xffff, v61
	v_mov_b32_e32 v8, 0x7f800001
	s_mov_b32 s20, exec_lo
	s_delay_alu instid0(VALU_DEP_2) | instskip(NEXT) | instid1(VALU_DEP_1)
	v_and_b32_e32 v62, 0x7f, v61
	v_cmpx_ne_u32_e32 0x7f, v62
	s_cbranch_execz .LBB420_460
; %bb.457:                              ;   in Loop: Header=BB420_10 Depth=1
	v_and_b32_e32 v8, 7, v61
	v_lshrrev_b32_e32 v61, 3, v62
	s_mov_b32 s21, exec_lo
	v_cmpx_gt_u32_e32 8, v62
; %bb.458:                              ;   in Loop: Header=BB420_10 Depth=1
	s_delay_alu instid0(VALU_DEP_3) | instskip(NEXT) | instid1(VALU_DEP_1)
	v_clz_i32_u32_e32 v61, v8
	v_min_u32_e32 v61, 32, v61
	s_delay_alu instid0(VALU_DEP_1) | instskip(SKIP_1) | instid1(VALU_DEP_2)
	v_subrev_nc_u32_e32 v62, 28, v61
	v_sub_nc_u32_e32 v61, 29, v61
	v_lshlrev_b64 v[62:63], v62, v[8:9]
	s_delay_alu instid0(VALU_DEP_1)
	v_and_b32_e32 v8, 7, v62
; %bb.459:                              ;   in Loop: Header=BB420_10 Depth=1
	s_or_b32 exec_lo, exec_lo, s21
	v_lshlrev_b32_e32 v62, 16, v29
	s_delay_alu instid0(VALU_DEP_2) | instskip(SKIP_1) | instid1(VALU_DEP_3)
	v_lshlrev_b32_e32 v8, 20, v8
	v_lshl_add_u32 v61, v61, 23, 0x3c000000
	v_and_b32_e32 v62, 0x80000000, v62
	s_delay_alu instid0(VALU_DEP_1)
	v_or3_b32 v8, v8, v62, v61
.LBB420_460:                            ;   in Loop: Header=BB420_10 Depth=1
	s_or_b32 exec_lo, exec_lo, s20
.LBB420_461:                            ;   in Loop: Header=BB420_10 Depth=1
	s_delay_alu instid0(SALU_CYCLE_1)
	s_or_b32 exec_lo, exec_lo, s19
.LBB420_462:                            ;   in Loop: Header=BB420_10 Depth=1
	s_delay_alu instid0(SALU_CYCLE_1) | instskip(NEXT) | instid1(VALU_DEP_1)
	s_or_b32 exec_lo, exec_lo, s3
	v_mul_f32_e32 v8, v144, v8
                                        ; implicit-def: $vgpr62
	s_delay_alu instid0(VALU_DEP_1) | instskip(NEXT) | instid1(VALU_DEP_1)
	v_and_b32_e32 v61, 0x7f800000, v8
	v_cmp_ne_u32_e64 s2, 0x7f800000, v61
	s_delay_alu instid0(VALU_DEP_1) | instskip(NEXT) | instid1(SALU_CYCLE_1)
	s_and_saveexec_b32 s3, s2
	s_xor_b32 s2, exec_lo, s3
; %bb.463:                              ;   in Loop: Header=BB420_10 Depth=1
	v_bfe_u32 v61, v8, 16, 1
	s_delay_alu instid0(VALU_DEP_1)
	v_add3_u32 v62, v8, v61, 0x7fff
                                        ; implicit-def: $vgpr8
; %bb.464:                              ;   in Loop: Header=BB420_10 Depth=1
	s_and_not1_saveexec_b32 s3, s2
; %bb.465:                              ;   in Loop: Header=BB420_10 Depth=1
	v_and_b32_e32 v61, 0xffff, v8
	v_or_b32_e32 v62, 0x10000, v8
	s_delay_alu instid0(VALU_DEP_2) | instskip(NEXT) | instid1(VALU_DEP_1)
	v_cmp_eq_u32_e64 s2, 0, v61
	v_cndmask_b32_e64 v62, v62, v8, s2
; %bb.466:                              ;   in Loop: Header=BB420_10 Depth=1
	s_or_b32 exec_lo, exec_lo, s3
	v_lshrrev_b32_e32 v61, 16, v29
	s_mov_b32 s3, exec_lo
	s_delay_alu instid0(VALU_DEP_1) | instskip(NEXT) | instid1(VALU_DEP_1)
	v_dual_mov_b32 v8, 0 :: v_dual_and_b32 v63, 0xff, v61
	v_cmpx_ne_u16_e32 0, v63
	s_cbranch_execz .LBB420_474
; %bb.467:                              ;   in Loop: Header=BB420_10 Depth=1
	v_bfrev_b32_e32 v8, 1
	s_mov_b32 s19, exec_lo
	v_cmpx_ne_u16_e32 0x80, v63
	s_cbranch_execz .LBB420_473
; %bb.468:                              ;   in Loop: Header=BB420_10 Depth=1
	v_bfe_u32 v72, v29, 16, 7
	v_mov_b32_e32 v8, 0x7f800001
	s_mov_b32 s20, exec_lo
	s_delay_alu instid0(VALU_DEP_2)
	v_cmpx_ne_u32_e32 0x7f, v72
	s_cbranch_execz .LBB420_472
; %bb.469:                              ;   in Loop: Header=BB420_10 Depth=1
	v_and_b32_e32 v8, 7, v61
	v_lshrrev_b32_e32 v63, 3, v72
	s_mov_b32 s21, exec_lo
	v_cmpx_gt_u32_e32 8, v72
; %bb.470:                              ;   in Loop: Header=BB420_10 Depth=1
	s_delay_alu instid0(VALU_DEP_3) | instskip(NEXT) | instid1(VALU_DEP_1)
	v_clz_i32_u32_e32 v63, v8
	v_min_u32_e32 v63, 32, v63
	s_delay_alu instid0(VALU_DEP_1) | instskip(SKIP_1) | instid1(VALU_DEP_2)
	v_subrev_nc_u32_e32 v72, 28, v63
	v_sub_nc_u32_e32 v63, 29, v63
	v_lshlrev_b64 v[72:73], v72, v[8:9]
	s_delay_alu instid0(VALU_DEP_1)
	v_and_b32_e32 v8, 7, v72
; %bb.471:                              ;   in Loop: Header=BB420_10 Depth=1
	s_or_b32 exec_lo, exec_lo, s21
	v_lshlrev_b32_e32 v61, 24, v61
	s_delay_alu instid0(VALU_DEP_2) | instskip(SKIP_1) | instid1(VALU_DEP_3)
	v_lshlrev_b32_e32 v8, 20, v8
	v_lshl_add_u32 v63, v63, 23, 0x3c000000
	v_and_b32_e32 v61, 0x80000000, v61
	s_delay_alu instid0(VALU_DEP_1)
	v_or3_b32 v8, v8, v61, v63
.LBB420_472:                            ;   in Loop: Header=BB420_10 Depth=1
	s_or_b32 exec_lo, exec_lo, s20
.LBB420_473:                            ;   in Loop: Header=BB420_10 Depth=1
	s_delay_alu instid0(SALU_CYCLE_1)
	s_or_b32 exec_lo, exec_lo, s19
.LBB420_474:                            ;   in Loop: Header=BB420_10 Depth=1
	s_delay_alu instid0(SALU_CYCLE_1) | instskip(NEXT) | instid1(VALU_DEP_1)
	s_or_b32 exec_lo, exec_lo, s3
	v_mul_f32_e32 v8, v144, v8
	s_delay_alu instid0(VALU_DEP_1) | instskip(NEXT) | instid1(VALU_DEP_1)
	v_and_b32_e32 v61, 0x7f800000, v8
	v_cmp_ne_u32_e64 s2, 0x7f800000, v61
                                        ; implicit-def: $vgpr61
	s_delay_alu instid0(VALU_DEP_1) | instskip(NEXT) | instid1(SALU_CYCLE_1)
	s_and_saveexec_b32 s3, s2
	s_xor_b32 s2, exec_lo, s3
; %bb.475:                              ;   in Loop: Header=BB420_10 Depth=1
	v_bfe_u32 v61, v8, 16, 1
	s_delay_alu instid0(VALU_DEP_1)
	v_add3_u32 v61, v8, v61, 0x7fff
                                        ; implicit-def: $vgpr8
; %bb.476:                              ;   in Loop: Header=BB420_10 Depth=1
	s_and_not1_saveexec_b32 s3, s2
; %bb.477:                              ;   in Loop: Header=BB420_10 Depth=1
	v_and_b32_e32 v61, 0xffff, v8
	v_or_b32_e32 v63, 0x10000, v8
	s_delay_alu instid0(VALU_DEP_2) | instskip(NEXT) | instid1(VALU_DEP_1)
	v_cmp_eq_u32_e64 s2, 0, v61
	v_cndmask_b32_e64 v61, v63, v8, s2
; %bb.478:                              ;   in Loop: Header=BB420_10 Depth=1
	s_or_b32 exec_lo, exec_lo, s3
	v_mov_b32_e32 v8, 0
	s_mov_b32 s3, exec_lo
	v_cmpx_lt_u32_e32 0xffffff, v29
	s_cbranch_execz .LBB420_486
; %bb.479:                              ;   in Loop: Header=BB420_10 Depth=1
	v_lshrrev_b32_e32 v63, 24, v29
	v_bfrev_b32_e32 v8, 1
	s_mov_b32 s19, exec_lo
	s_delay_alu instid0(VALU_DEP_2)
	v_cmpx_ne_u32_e32 0x80, v63
	s_cbranch_execz .LBB420_485
; %bb.480:                              ;   in Loop: Header=BB420_10 Depth=1
	v_bfe_u32 v72, v29, 24, 7
	v_mov_b32_e32 v8, 0x7f800001
	s_mov_b32 s20, exec_lo
	s_delay_alu instid0(VALU_DEP_2)
	v_cmpx_ne_u32_e32 0x7f, v72
	s_cbranch_execz .LBB420_484
; %bb.481:                              ;   in Loop: Header=BB420_10 Depth=1
	v_and_b32_e32 v8, 7, v63
	v_lshrrev_b32_e32 v29, 3, v72
	s_mov_b32 s21, exec_lo
	v_cmpx_gt_u32_e32 8, v72
; %bb.482:                              ;   in Loop: Header=BB420_10 Depth=1
	s_delay_alu instid0(VALU_DEP_3) | instskip(NEXT) | instid1(VALU_DEP_1)
	v_clz_i32_u32_e32 v29, v8
	v_min_u32_e32 v29, 32, v29
	s_delay_alu instid0(VALU_DEP_1) | instskip(SKIP_1) | instid1(VALU_DEP_2)
	v_subrev_nc_u32_e32 v72, 28, v29
	v_sub_nc_u32_e32 v29, 29, v29
	v_lshlrev_b64 v[72:73], v72, v[8:9]
	s_delay_alu instid0(VALU_DEP_1)
	v_and_b32_e32 v8, 7, v72
; %bb.483:                              ;   in Loop: Header=BB420_10 Depth=1
	s_or_b32 exec_lo, exec_lo, s21
	v_lshlrev_b32_e32 v63, 24, v63
	s_delay_alu instid0(VALU_DEP_2) | instskip(SKIP_1) | instid1(VALU_DEP_3)
	v_lshlrev_b32_e32 v8, 20, v8
	v_lshl_add_u32 v29, v29, 23, 0x3c000000
	v_and_b32_e32 v63, 0x80000000, v63
	s_delay_alu instid0(VALU_DEP_1)
	v_or3_b32 v8, v8, v63, v29
.LBB420_484:                            ;   in Loop: Header=BB420_10 Depth=1
	s_or_b32 exec_lo, exec_lo, s20
.LBB420_485:                            ;   in Loop: Header=BB420_10 Depth=1
	s_delay_alu instid0(SALU_CYCLE_1)
	s_or_b32 exec_lo, exec_lo, s19
.LBB420_486:                            ;   in Loop: Header=BB420_10 Depth=1
	s_delay_alu instid0(SALU_CYCLE_1) | instskip(NEXT) | instid1(VALU_DEP_1)
	s_or_b32 exec_lo, exec_lo, s3
	v_mul_f32_e32 v29, v144, v8
	s_delay_alu instid0(VALU_DEP_1) | instskip(NEXT) | instid1(VALU_DEP_1)
	v_and_b32_e32 v8, 0x7f800000, v29
	v_cmp_ne_u32_e64 s2, 0x7f800000, v8
                                        ; implicit-def: $vgpr8
	s_delay_alu instid0(VALU_DEP_1) | instskip(NEXT) | instid1(SALU_CYCLE_1)
	s_and_saveexec_b32 s3, s2
	s_xor_b32 s2, exec_lo, s3
; %bb.487:                              ;   in Loop: Header=BB420_10 Depth=1
	v_bfe_u32 v8, v29, 16, 1
	s_delay_alu instid0(VALU_DEP_1)
	v_add3_u32 v8, v29, v8, 0x7fff
                                        ; implicit-def: $vgpr29
; %bb.488:                              ;   in Loop: Header=BB420_10 Depth=1
	s_and_not1_saveexec_b32 s3, s2
; %bb.489:                              ;   in Loop: Header=BB420_10 Depth=1
	v_and_b32_e32 v8, 0xffff, v29
	v_or_b32_e32 v144, 0x10000, v29
	s_delay_alu instid0(VALU_DEP_2) | instskip(NEXT) | instid1(VALU_DEP_1)
	v_cmp_eq_u32_e64 s2, 0, v8
	v_cndmask_b32_e64 v8, v144, v29, s2
; %bb.490:                              ;   in Loop: Header=BB420_10 Depth=1
	s_or_b32 exec_lo, exec_lo, s3
	v_and_b32_e32 v151, 0xffff0000, v151
	v_and_b32_e32 v58, 0xffff0000, v58
	;; [unrolled: 1-line block ×5, first 2 shown]
	v_mul_f32_e32 v151, v64, v151
	v_and_b32_e32 v149, 0xffff0000, v149
	v_and_b32_e32 v28, 0xffff0000, v28
	;; [unrolled: 1-line block ×4, first 2 shown]
	s_delay_alu instid0(VALU_DEP_4) | instskip(SKIP_2) | instid1(VALU_DEP_3)
	v_dual_mul_f32 v150, v55, v150 :: v_dual_mul_f32 v149, v54, v149
	v_and_b32_e32 v144, 0xffff0000, v59
	v_and_b32_e32 v59, 0xffff0000, v60
	v_dual_fmac_f32 v150, v51, v146 :: v_dual_and_b32 v57, 0xffff0000, v57
	s_delay_alu instid0(VALU_DEP_4)
	v_fmac_f32_e32 v149, v50, v145
	v_and_b32_e32 v145, 0xffff0000, v148
	v_dual_mul_f32 v146, v65, v160 :: v_dual_and_b32 v147, 0xffff0000, v147
	v_and_b32_e32 v46, 0xffff0000, v46
	v_and_b32_e32 v43, 0xffff0000, v43
	v_and_b32_e32 v8, 0xffff0000, v8
	s_delay_alu instid0(VALU_DEP_4) | instskip(SKIP_3) | instid1(VALU_DEP_3)
	v_dual_fmac_f32 v146, v53, v145 :: v_dual_fmac_f32 v151, v52, v147
	v_and_b32_e32 v147, 0xffff0000, v164
	v_and_b32_e32 v41, 0xffff0000, v41
	;; [unrolled: 1-line block ×3, first 2 shown]
	v_dual_fmac_f32 v146, v69, v147 :: v_dual_and_b32 v165, 0xffff0000, v165
	v_and_b32_e32 v179, 0xffff0000, v179
	s_delay_alu instid0(VALU_DEP_2) | instskip(SKIP_1) | instid1(VALU_DEP_2)
	v_dual_fmac_f32 v146, v81, v145 :: v_dual_and_b32 v147, 0xffff0000, v180
	v_and_b32_e32 v177, 0xffff0000, v177
	v_dual_fmac_f32 v146, v85, v147 :: v_dual_and_b32 v145, 0xffff0000, v40
	v_and_b32_e32 v163, 0xffff0000, v163
	s_delay_alu instid0(VALU_DEP_2) | instskip(SKIP_1) | instid1(VALU_DEP_3)
	v_dual_fmac_f32 v146, v97, v145 :: v_dual_and_b32 v147, 0xffff0000, v44
	v_and_b32_e32 v161, 0xffff0000, v161
	v_dual_fmac_f32 v151, v68, v163 :: v_dual_and_b32 v182, 0xffff0000, v182
	v_and_b32_e32 v166, 0xffff0000, v166
	s_delay_alu instid0(VALU_DEP_4) | instskip(NEXT) | instid1(VALU_DEP_4)
	v_fmac_f32_e32 v146, v101, v147
	v_dual_fmac_f32 v149, v66, v161 :: v_dual_and_b32 v42, 0xffff0000, v42
	v_and_b32_e32 v178, 0xffff0000, v178
	v_and_b32_e32 v145, 0xffff0000, v56
	;; [unrolled: 1-line block ×3, first 2 shown]
	s_delay_alu instid0(VALU_DEP_4) | instskip(NEXT) | instid1(VALU_DEP_3)
	v_dual_fmac_f32 v149, v70, v165 :: v_dual_and_b32 v162, 0xffff0000, v162
	v_fmac_f32_e32 v146, v113, v145
	s_delay_alu instid0(VALU_DEP_2) | instskip(NEXT) | instid1(VALU_DEP_3)
	v_fmac_f32_e32 v149, v82, v177
	v_dual_fmac_f32 v150, v67, v162 :: v_dual_and_b32 v47, 0xffff0000, v47
	s_delay_alu instid0(VALU_DEP_3) | instskip(NEXT) | instid1(VALU_DEP_2)
	v_dual_fmac_f32 v146, v117, v59 :: v_dual_and_b32 v45, 0xffff0000, v45
	v_dual_fmac_f32 v150, v71, v166 :: v_dual_and_b32 v183, 0xffff0000, v183
	s_delay_alu instid0(VALU_DEP_2) | instskip(NEXT) | instid1(VALU_DEP_2)
	v_fmac_f32_e32 v146, v130, v8
	v_dual_fmac_f32 v150, v83, v178 :: v_dual_and_b32 v181, 0xffff0000, v181
	s_delay_alu instid0(VALU_DEP_1) | instskip(NEXT) | instid1(VALU_DEP_1)
	v_dual_fmac_f32 v150, v87, v182 :: v_dual_and_b32 v167, 0xffff0000, v167
	v_dual_fmac_f32 v149, v86, v181 :: v_dual_fmac_f32 v150, v99, v42
	s_delay_alu instid0(VALU_DEP_2) | instskip(NEXT) | instid1(VALU_DEP_2)
	v_fmac_f32_e32 v151, v80, v167
	v_dual_fmac_f32 v149, v98, v41 :: v_dual_fmac_f32 v150, v103, v46
	s_delay_alu instid0(VALU_DEP_2) | instskip(NEXT) | instid1(VALU_DEP_2)
	v_fmac_f32_e32 v151, v84, v179
	;; [unrolled: 3-line block ×3, first 2 shown]
	v_fmac_f32_e32 v149, v114, v57
	s_delay_alu instid0(VALU_DEP_2) | instskip(NEXT) | instid1(VALU_DEP_2)
	v_dual_fmac_f32 v150, v119, v29 :: v_dual_fmac_f32 v151, v100, v43
	v_fmac_f32_e32 v149, v118, v28
	s_delay_alu instid0(VALU_DEP_1) | instskip(NEXT) | instid1(VALU_DEP_1)
	v_dual_fmac_f32 v151, v112, v47 :: v_dual_add_f32 v28, v149, v150
	v_fmac_f32_e32 v151, v116, v144
	s_delay_alu instid0(VALU_DEP_1) | instskip(NEXT) | instid1(VALU_DEP_1)
	v_fmac_f32_e32 v151, v128, v147
	v_add_f32_e32 v8, v28, v151
	s_delay_alu instid0(VALU_DEP_1)
	v_add_f32_e32 v8, v146, v8
	ds_bpermute_b32 v28, v131, v8
	s_and_saveexec_b32 s3, vcc_lo
	s_cbranch_execz .LBB420_9
; %bb.491:                              ;   in Loop: Header=BB420_10 Depth=1
	v_add_nc_u32_e32 v29, v132, v133
	s_load_b32 s19, s[8:9], 0x0
	s_waitcnt lgkmcnt(0)
	v_add_f32_e32 v8, v8, v28
	v_cmp_lt_i32_e64 s2, v133, v32
	v_cvt_f32_i32_e32 v29, v29
	s_delay_alu instid0(VALU_DEP_1) | instskip(NEXT) | instid1(VALU_DEP_1)
	v_mul_f32_e32 v29, v48, v29
	v_cndmask_b32_e64 v28, 0, v29, s1
	v_max_f32_e32 v29, v129, v129
	s_delay_alu instid0(VALU_DEP_2) | instskip(NEXT) | instid1(VALU_DEP_1)
	v_fmac_f32_e32 v28, v8, v13
	v_dual_max_f32 v8, v29, v28 :: v_dual_add_nc_u32 v29, s19, v134
	v_cndmask_b32_e64 v28, 0, v28, s2
	s_delay_alu instid0(VALU_DEP_2)
	v_cndmask_b32_e64 v129, v129, v8, s2
	ds_store_b32 v29, v28
	s_branch .LBB420_9
.LBB420_492:
	s_or_b32 exec_lo, exec_lo, s11
.LBB420_493:
	s_delay_alu instid0(SALU_CYCLE_1)
	s_or_b32 exec_lo, exec_lo, s15
	v_xor_b32_e32 v8, 16, v39
	v_xor_b32_e32 v9, 8, v39
	s_waitcnt lgkmcnt(0)
	s_lshr_b32 s8, s18, 16
	v_dual_max_f32 v13, v129, v129 :: v_dual_and_b32 v18, 31, v31
	v_cmp_lt_i32_e32 vcc_lo, v8, v49
	v_lshlrev_b32_e32 v24, 2, v34
	v_cndmask_b32_e32 v8, v39, v8, vcc_lo
	v_cmp_lt_i32_e32 vcc_lo, v9, v49
	s_delay_alu instid0(VALU_DEP_2) | instskip(SKIP_3) | instid1(VALU_DEP_1)
	v_dual_cndmask_b32 v9, v39, v9 :: v_dual_lshlrev_b32 v20, 2, v8
	ds_bpermute_b32 v8, v20, v129
	s_waitcnt lgkmcnt(0)
	v_dual_max_f32 v8, v8, v8 :: v_dual_lshlrev_b32 v21, 2, v9
	v_max_f32_e32 v8, v13, v8
	v_xor_b32_e32 v13, 4, v39
	s_delay_alu instid0(VALU_DEP_1) | instskip(SKIP_4) | instid1(VALU_DEP_1)
	v_cmp_lt_i32_e32 vcc_lo, v13, v49
	v_cndmask_b32_e32 v13, v39, v13, vcc_lo
	ds_bpermute_b32 v9, v21, v8
	v_lshlrev_b32_e32 v23, 2, v13
	v_xor_b32_e32 v13, 2, v39
	v_cmp_lt_i32_e32 vcc_lo, v13, v49
	v_cndmask_b32_e32 v13, v39, v13, vcc_lo
	v_cmp_eq_u32_e32 vcc_lo, 0, v18
	s_waitcnt lgkmcnt(0)
	v_max_f32_e32 v9, v9, v9
	s_delay_alu instid0(VALU_DEP_3) | instskip(NEXT) | instid1(VALU_DEP_2)
	v_lshlrev_b32_e32 v13, 2, v13
	v_max_f32_e32 v8, v8, v9
	ds_bpermute_b32 v9, v23, v8
	s_waitcnt lgkmcnt(0)
	v_max_f32_e32 v9, v9, v9
	s_delay_alu instid0(VALU_DEP_1)
	v_max_f32_e32 v8, v8, v9
	ds_bpermute_b32 v9, v13, v8
	s_and_saveexec_b32 s1, vcc_lo
	s_cbranch_execz .LBB420_495
; %bb.494:
	s_waitcnt lgkmcnt(0)
	v_dual_max_f32 v9, v9, v9 :: v_dual_max_f32 v8, v8, v8
	s_delay_alu instid0(VALU_DEP_1)
	v_max_f32_e32 v8, v8, v9
	ds_store_b32 v24, v8 offset:160
.LBB420_495:
	s_or_b32 exec_lo, exec_lo, s1
	v_cmp_gt_u32_e64 s1, 4, v18
	v_dual_mov_b32 v8, 0xff7fffff :: v_dual_lshlrev_b32 v25, 2, v18
	s_waitcnt lgkmcnt(0)
	s_barrier
	buffer_gl0_inv
	s_and_saveexec_b32 s2, s1
	s_cbranch_execz .LBB420_497
; %bb.496:
	ds_load_b32 v8, v25 offset:160
.LBB420_497:
	s_or_b32 exec_lo, exec_lo, s2
	s_waitcnt lgkmcnt(0)
	ds_bpermute_b32 v9, v13, v8
	v_xor_b32_e32 v19, 1, v39
	v_max_f32_e32 v8, v8, v8
	v_subrev_nc_u32_e32 v29, s13, v35
	v_lshlrev_b32_e32 v28, 2, v39
	s_delay_alu instid0(VALU_DEP_4) | instskip(NEXT) | instid1(VALU_DEP_2)
	v_cmp_lt_i32_e64 s2, v19, v49
	v_and_b32_e32 v28, 0xffffff80, v28
	s_delay_alu instid0(VALU_DEP_2) | instskip(SKIP_2) | instid1(VALU_DEP_1)
	v_cndmask_b32_e64 v19, v39, v19, s2
	s_waitcnt lgkmcnt(0)
	v_max_f32_e32 v9, v9, v9
	v_dual_max_f32 v8, v8, v9 :: v_dual_lshlrev_b32 v19, 2, v19
	ds_bpermute_b32 v9, v19, v8
	s_waitcnt lgkmcnt(0)
	v_max_f32_e32 v9, v9, v9
	s_delay_alu instid0(VALU_DEP_1) | instskip(SKIP_4) | instid1(VALU_DEP_1)
	v_max_f32_e32 v8, v8, v9
	v_lshl_add_u32 v9, v29, 4, s17
	v_mov_b32_e32 v29, 0
	ds_bpermute_b32 v8, v28, v8
	v_min_i32_e32 v9, v9, v32
	v_subrev_nc_u32_e32 v9, s17, v9
	s_delay_alu instid0(VALU_DEP_1) | instskip(NEXT) | instid1(VALU_DEP_1)
	v_cmp_lt_i32_e64 s2, v31, v9
	s_and_saveexec_b32 s9, s2
	s_cbranch_execz .LBB420_501
; %bb.498:
	s_getpc_b64 s[18:19]
	s_add_u32 s18, s18, llvm.amdgcn.dynlds.offset.table@rel32@lo+4
	s_addc_u32 s19, s19, llvm.amdgcn.dynlds.offset.table@rel32@hi+12
	s_ashr_i32 s11, s10, 31
	v_dual_mov_b32 v29, 0 :: v_dual_mov_b32 v48, v31
	s_lshl_b64 s[20:21], s[10:11], 2
	s_mov_b32 s11, 0
	s_add_u32 s18, s20, s18
	s_addc_u32 s19, s21, s19
	s_load_b32 s3, s[18:19], 0x0
	s_waitcnt lgkmcnt(0)
	v_lshl_add_u32 v39, v31, 2, s3
	.p2align	6
.LBB420_499:                            ; =>This Inner Loop Header: Depth=1
	ds_load_b32 v49, v39
	s_waitcnt lgkmcnt(0)
	v_sub_f32_e32 v49, v49, v8
	s_delay_alu instid0(VALU_DEP_1) | instskip(NEXT) | instid1(VALU_DEP_1)
	v_mul_f32_e32 v49, 0x3fb8aa3b, v49
	v_exp_f32_e32 v49, v49
	s_waitcnt_depctr 0xfff
	v_dual_add_f32 v29, v29, v49 :: v_dual_add_nc_u32 v48, 0x80, v48
	s_delay_alu instid0(VALU_DEP_1) | instskip(SKIP_3) | instid1(SALU_CYCLE_1)
	v_cmp_ge_i32_e64 s3, v48, v9
	ds_store_b32 v39, v49
	v_add_nc_u32_e32 v39, 0x200, v39
	s_or_b32 s11, s3, s11
	s_and_not1_b32 exec_lo, exec_lo, s11
	s_cbranch_execnz .LBB420_499
; %bb.500:
	s_or_b32 exec_lo, exec_lo, s11
.LBB420_501:
	s_delay_alu instid0(SALU_CYCLE_1)
	s_or_b32 exec_lo, exec_lo, s9
	ds_bpermute_b32 v20, v20, v29
	s_waitcnt lgkmcnt(0)
	v_add_f32_e32 v20, v29, v20
	ds_bpermute_b32 v21, v21, v20
	s_waitcnt lgkmcnt(0)
	v_add_f32_e32 v20, v20, v21
	;; [unrolled: 3-line block ×5, first 2 shown]
	s_and_saveexec_b32 s3, vcc_lo
	s_cbranch_execz .LBB420_503
; %bb.502:
	ds_store_b32 v24, v20 offset:176
.LBB420_503:
	s_or_b32 exec_lo, exec_lo, s3
	s_waitcnt lgkmcnt(0)
	s_barrier
	buffer_gl0_inv
	s_and_saveexec_b32 s3, s1
	s_cbranch_execz .LBB420_505
; %bb.504:
	ds_load_b32 v20, v25 offset:176
.LBB420_505:
	s_or_b32 exec_lo, exec_lo, s3
	s_waitcnt lgkmcnt(0)
	ds_bpermute_b32 v13, v13, v20
	s_waitcnt lgkmcnt(0)
	v_add_f32_e32 v13, v20, v13
	ds_bpermute_b32 v20, v19, v13
	s_waitcnt lgkmcnt(0)
	v_add_f32_e32 v13, v13, v20
	ds_bpermute_b32 v13, v28, v13
	s_and_saveexec_b32 s1, s2
	s_cbranch_execz .LBB420_508
; %bb.506:
	s_waitcnt lgkmcnt(0)
	v_add_f32_e32 v21, 0x358637bd, v13
	s_getpc_b64 s[2:3]
	s_add_u32 s2, s2, llvm.amdgcn.dynlds.offset.table@rel32@lo+4
	s_addc_u32 s3, s3, llvm.amdgcn.dynlds.offset.table@rel32@hi+12
	s_ashr_i32 s11, s10, 31
	s_delay_alu instid0(SALU_CYCLE_1) | instskip(SKIP_3) | instid1(VALU_DEP_2)
	s_lshl_b64 s[18:19], s[10:11], 2
	v_div_scale_f32 v20, null, v21, v21, 1.0
	v_div_scale_f32 v25, vcc_lo, 1.0, v21, 1.0
	s_add_u32 s2, s18, s2
	v_rcp_f32_e32 v23, v20
	s_addc_u32 s3, s19, s3
	s_load_b32 s2, s[2:3], 0x0
	s_waitcnt_depctr 0xfff
	v_fma_f32 v24, -v20, v23, 1.0
	s_delay_alu instid0(VALU_DEP_1) | instskip(NEXT) | instid1(VALU_DEP_1)
	v_fmac_f32_e32 v23, v24, v23
	v_mul_f32_e32 v24, v25, v23
	s_delay_alu instid0(VALU_DEP_1) | instskip(NEXT) | instid1(VALU_DEP_1)
	v_fma_f32 v28, -v20, v24, v25
	v_fmac_f32_e32 v24, v28, v23
	s_delay_alu instid0(VALU_DEP_1) | instskip(NEXT) | instid1(VALU_DEP_1)
	v_fma_f32 v20, -v20, v24, v25
	v_div_fmas_f32 v23, v20, v23, v24
	s_waitcnt lgkmcnt(0)
	v_lshl_add_u32 v20, v31, 2, s2
	s_mov_b32 s2, 0
	s_delay_alu instid0(VALU_DEP_2)
	v_div_fixup_f32 v21, v23, v21, 1.0
	v_mov_b32_e32 v23, v31
.LBB420_507:                            ; =>This Inner Loop Header: Depth=1
	ds_load_b32 v24, v20
	s_waitcnt lgkmcnt(0)
	v_dual_mul_f32 v24, v21, v24 :: v_dual_add_nc_u32 v23, 0x80, v23
	s_delay_alu instid0(VALU_DEP_1) | instskip(SKIP_3) | instid1(SALU_CYCLE_1)
	v_cmp_ge_i32_e32 vcc_lo, v23, v9
	ds_store_b32 v20, v24
	v_add_nc_u32_e32 v20, 0x200, v20
	s_or_b32 s2, vcc_lo, s2
	s_and_not1_b32 exec_lo, exec_lo, s2
	s_cbranch_execnz .LBB420_507
.LBB420_508:
	s_or_b32 exec_lo, exec_lo, s1
	v_cmp_ne_u16_e64 s1, s8, 0
	s_mov_b32 s2, exec_lo
	s_waitcnt lgkmcnt(0)
	s_barrier
	buffer_gl0_inv
	s_cmp_lg_u32 s1, 0
	s_addc_u32 s1, s7, 0
	v_cmpx_eq_u32_e32 0, v31
	s_cbranch_execz .LBB420_510
; %bb.509:
	s_mul_i32 s3, s1, s4
	s_mul_i32 s8, s1, s12
	;; [unrolled: 1-line block ×3, first 2 shown]
	s_ashr_i32 s9, s8, 31
	s_ashr_i32 s15, s14, 31
	;; [unrolled: 1-line block ×3, first 2 shown]
	s_lshl_b64 s[8:9], s[8:9], 2
	s_lshl_b64 s[18:19], s[14:15], 2
	;; [unrolled: 1-line block ×3, first 2 shown]
	s_add_u32 s3, s18, s8
	s_addc_u32 s7, s19, s9
	s_add_u32 s3, s3, s12
	s_addc_u32 s7, s7, s13
	v_add_co_u32 v2, vcc_lo, s3, v2
	v_add_co_ci_u32_e32 v3, vcc_lo, s7, v3, vcc_lo
	v_add_co_u32 v0, vcc_lo, s3, v0
	v_add_co_ci_u32_e32 v1, vcc_lo, s7, v1, vcc_lo
	flat_store_b32 v[2:3], v8
	flat_store_b32 v[0:1], v13
.LBB420_510:
	s_or_b32 exec_lo, exec_lo, s2
                                        ; implicit-def: $sgpr2
	s_and_saveexec_b32 s3, s0
	s_delay_alu instid0(SALU_CYCLE_1)
	s_xor_b32 s0, exec_lo, s3
; %bb.511:
	s_ashr_i32 s11, s10, 31
	s_mov_b32 s2, 0
                                        ; implicit-def: $vgpr32
                                        ; implicit-def: $vgpr36
                                        ; implicit-def: $vgpr35
                                        ; implicit-def: $vgpr16
                                        ; implicit-def: $vgpr10
                                        ; implicit-def: $vgpr11
                                        ; implicit-def: $vgpr14
                                        ; implicit-def: $vgpr15
                                        ; implicit-def: $vgpr22
                                        ; implicit-def: $vgpr26_vgpr27
                                        ; implicit-def: $vgpr37
                                        ; implicit-def: $vgpr38
                                        ; implicit-def: $vgpr6_vgpr7
                                        ; implicit-def: $vgpr12
; %bb.512:
	s_or_saveexec_b32 s7, s0
	v_dual_mov_b32 v0, s10 :: v_dual_mov_b32 v21, s2
	v_dual_mov_b32 v20, s2 :: v_dual_mov_b32 v1, s11
	;; [unrolled: 1-line block ×3, first 2 shown]
	v_mov_b32_e32 v25, s2
	s_xor_b32 exec_lo, exec_lo, s7
	s_cbranch_execz .LBB420_1198
; %bb.513:
	flat_load_b32 v26, v[26:27]
	s_getpc_b64 s[2:3]
	s_add_u32 s2, s2, llvm.amdgcn.dynlds.offset.table@rel32@lo+4
	s_addc_u32 s3, s3, llvm.amdgcn.dynlds.offset.table@rel32@hi+12
	s_ashr_i32 s11, s10, 31
	v_add_co_u32 v3, vcc_lo, v10, v37
	s_lshl_b64 s[8:9], s[10:11], 2
	v_dual_mov_b32 v10, 0 :: v_dual_and_b32 v9, 0xf8, v12
	s_add_u32 s2, s8, s2
	s_addc_u32 s3, s9, s3
	v_add_co_ci_u32_e32 v8, vcc_lo, v11, v38, vcc_lo
	s_load_b32 s0, s[2:3], 0x0
	v_lshlrev_b64 v[0:1], 2, v[16:17]
	v_add_co_u32 v11, vcc_lo, v3, v9
	v_dual_mov_b32 v20, 0 :: v_dual_lshlrev_b32 v3, 5, v33
	v_dual_mov_b32 v25, 0 :: v_dual_and_b32 v2, 8, v12
	v_add_co_ci_u32_e32 v12, vcc_lo, 0, v8, vcc_lo
	v_add_co_u32 v0, vcc_lo, v6, v0
	v_add_co_ci_u32_e32 v1, vcc_lo, v7, v1, vcc_lo
	v_lshl_add_u32 v6, v34, 4, s17
	v_lshl_or_b32 v3, v34, 6, v3
	s_delay_alu instid0(VALU_DEP_4)
	v_add_co_u32 v13, vcc_lo, v14, v0
	v_dual_mov_b32 v24, 0 :: v_dual_add_nc_u32 v27, -1, v36
	v_add_co_ci_u32_e32 v14, vcc_lo, v15, v1, vcc_lo
	v_add3_u32 v15, v6, v2, 7
	s_waitcnt lgkmcnt(0)
	v_add_nc_u32_e32 v17, s0, v3
	v_mov_b32_e32 v23, 0
	v_mov_b32_e32 v21, 0
	s_mov_b32 s2, -1
	s_mov_b32 s3, 0xffffff
	s_mov_b32 s8, 0
	s_branch .LBB420_515
.LBB420_514:                            ;   in Loop: Header=BB420_515 Depth=1
	s_or_b32 exec_lo, exec_lo, s0
	v_and_b32_e32 v8, 0xffff0000, v8
	v_and_b32_e32 v52, 0xffff0000, v96
	;; [unrolled: 1-line block ×9, first 2 shown]
	v_add_f32_e32 v8, v8, v28
	v_dual_add_f32 v28, v29, v36 :: v_dual_and_b32 v29, 0xffff0000, v39
	s_delay_alu instid0(VALU_DEP_3) | instskip(NEXT) | instid1(VALU_DEP_2)
	v_dual_add_f32 v0, v0, v1 :: v_dual_and_b32 v3, 0xffff0000, v3
	v_dual_add_f32 v8, v8, v28 :: v_dual_and_b32 v51, 0xffff0000, v51
	v_and_b32_e32 v28, 0xffff0000, v48
	v_and_b32_e32 v48, 0xffff0000, v84
	;; [unrolled: 1-line block ×4, first 2 shown]
	s_delay_alu instid0(VALU_DEP_4)
	v_dual_add_f32 v28, v29, v28 :: v_dual_and_b32 v55, 0xffff0000, v117
	v_and_b32_e32 v29, 0xffff0000, v85
	v_and_b32_e32 v9, 0xffff0000, v9
	;; [unrolled: 1-line block ×3, first 2 shown]
	v_add_nc_u32_e32 v16, 4, v16
	v_add_co_u32 v13, s0, v13, 16
	v_dual_add_f32 v29, v48, v29 :: v_dual_and_b32 v38, 0xffff0000, v38
	v_add_f32_e32 v1, v3, v49
	s_delay_alu instid0(VALU_DEP_4) | instskip(SKIP_1) | instid1(VALU_DEP_4)
	v_cmp_ge_i32_e32 vcc_lo, v16, v35
	v_add_co_ci_u32_e64 v14, s0, 0, v14, s0
	v_dual_add_f32 v36, v37, v38 :: v_dual_and_b32 v37, 0xffff0000, v83
	s_delay_alu instid0(VALU_DEP_4) | instskip(SKIP_1) | instid1(VALU_DEP_2)
	v_dual_add_f32 v0, v0, v1 :: v_dual_and_b32 v3, 0xffff0000, v50
	s_or_b32 s8, vcc_lo, s8
	v_add_f32_e32 v8, v8, v36
	v_and_b32_e32 v36, 0xffff0000, v82
	v_and_b32_e32 v39, 0xffff0000, v80
	v_add_f32_e32 v1, v3, v51
	v_add_nc_u32_e32 v15, 64, v15
	s_delay_alu instid0(VALU_DEP_4) | instskip(SKIP_1) | instid1(VALU_DEP_4)
	v_dual_add_f32 v36, v36, v37 :: v_dual_and_b32 v7, 0xffff0000, v7
	v_dual_add_f32 v8, v8, v28 :: v_dual_and_b32 v37, 0xffff0000, v99
	v_dual_add_f32 v0, v0, v1 :: v_dual_add_f32 v1, v9, v2
	s_delay_alu instid0(VALU_DEP_2) | instskip(SKIP_2) | instid1(VALU_DEP_4)
	v_dual_add_f32 v6, v6, v7 :: v_dual_add_f32 v37, v53, v37
	v_and_b32_e32 v53, 0xffff0000, v112
	v_and_b32_e32 v38, 0xffff0000, v81
	v_add_f32_e32 v0, v0, v1
	s_delay_alu instid0(VALU_DEP_2) | instskip(NEXT) | instid1(VALU_DEP_2)
	v_dual_add_f32 v38, v39, v38 :: v_dual_add_nc_u32 v17, 0x100, v17
	v_dual_add_f32 v20, v20, v0 :: v_dual_and_b32 v39, 0xffff0000, v97
	s_delay_alu instid0(VALU_DEP_2) | instskip(NEXT) | instid1(VALU_DEP_2)
	v_add_f32_e32 v36, v38, v36
	v_dual_add_f32 v39, v52, v39 :: v_dual_and_b32 v38, 0xffff0000, v101
	s_delay_alu instid0(VALU_DEP_2) | instskip(NEXT) | instid1(VALU_DEP_1)
	v_dual_add_f32 v29, v36, v29 :: v_dual_and_b32 v52, 0xffff0000, v100
	v_dual_add_f32 v28, v39, v37 :: v_dual_add_f32 v37, v52, v38
	v_and_b32_e32 v39, 0xffff0000, v103
	v_dual_add_f32 v25, v25, v8 :: v_dual_and_b32 v48, 0xffff0000, v87
	v_and_b32_e32 v52, 0xffff0000, v113
	s_delay_alu instid0(VALU_DEP_4) | instskip(SKIP_4) | instid1(VALU_DEP_4)
	v_add_f32_e32 v28, v28, v37
	v_and_b32_e32 v38, 0xffff0000, v102
	v_and_b32_e32 v54, 0xffff0000, v86
	;; [unrolled: 1-line block ×3, first 2 shown]
	v_add_f32_e32 v7, v53, v52
	v_add_f32_e32 v3, v38, v39
	s_delay_alu instid0(VALU_DEP_4) | instskip(SKIP_3) | instid1(VALU_DEP_4)
	v_add_f32_e32 v36, v54, v48
	v_and_b32_e32 v48, 0xffff0000, v114
	v_and_b32_e32 v54, 0xffff0000, v116
	v_add_f32_e32 v6, v6, v7
	v_dual_add_f32 v3, v28, v3 :: v_dual_add_f32 v2, v29, v36
	s_delay_alu instid0(VALU_DEP_4) | instskip(NEXT) | instid1(VALU_DEP_2)
	v_add_f32_e32 v7, v48, v37
	v_dual_add_f32 v23, v23, v3 :: v_dual_add_f32 v24, v24, v2
	s_delay_alu instid0(VALU_DEP_2) | instskip(SKIP_1) | instid1(VALU_DEP_1)
	v_add_f32_e32 v6, v6, v7
	v_add_f32_e32 v7, v54, v55
	;; [unrolled: 1-line block ×3, first 2 shown]
	s_delay_alu instid0(VALU_DEP_1)
	v_add_f32_e32 v21, v21, v6
	s_and_not1_b32 exec_lo, exec_lo, s8
	s_cbranch_execz .LBB420_1197
.LBB420_515:                            ; =>This Inner Loop Header: Depth=1
	flat_load_b32 v49, v[13:14]
	ds_load_2addr_b64 v[6:9], v17 offset1:1
	ds_load_2addr_b64 v[0:3], v17 offset0:2 offset1:3
	s_mov_b32 s0, exec_lo
                                        ; implicit-def: $vgpr64
	s_waitcnt lgkmcnt(1)
	v_and_b32_e32 v28, 0x7f800000, v6
	s_delay_alu instid0(VALU_DEP_1)
	v_cmpx_ne_u32_e32 0x7f800000, v28
	s_xor_b32 s0, exec_lo, s0
; %bb.516:                              ;   in Loop: Header=BB420_515 Depth=1
	v_bfe_u32 v28, v6, 16, 1
	s_delay_alu instid0(VALU_DEP_1)
	v_add3_u32 v64, v6, v28, 0x7fff
; %bb.517:                              ;   in Loop: Header=BB420_515 Depth=1
	s_and_not1_saveexec_b32 s0, s0
; %bb.518:                              ;   in Loop: Header=BB420_515 Depth=1
	v_and_b32_e32 v28, 0xffff, v6
	v_or_b32_e32 v29, 0x10000, v6
	s_delay_alu instid0(VALU_DEP_2) | instskip(NEXT) | instid1(VALU_DEP_2)
	v_cmp_eq_u32_e32 vcc_lo, 0, v28
	v_cndmask_b32_e32 v64, v29, v6, vcc_lo
; %bb.519:                              ;   in Loop: Header=BB420_515 Depth=1
	s_or_b32 exec_lo, exec_lo, s0
	v_and_b32_e32 v6, 0x7f800000, v7
	s_mov_b32 s0, exec_lo
                                        ; implicit-def: $vgpr28
	s_delay_alu instid0(VALU_DEP_1)
	v_cmpx_ne_u32_e32 0x7f800000, v6
	s_xor_b32 s0, exec_lo, s0
; %bb.520:                              ;   in Loop: Header=BB420_515 Depth=1
	v_bfe_u32 v6, v7, 16, 1
	s_delay_alu instid0(VALU_DEP_1)
	v_add3_u32 v28, v7, v6, 0x7fff
; %bb.521:                              ;   in Loop: Header=BB420_515 Depth=1
	s_and_not1_saveexec_b32 s0, s0
; %bb.522:                              ;   in Loop: Header=BB420_515 Depth=1
	v_and_b32_e32 v6, 0xffff, v7
	v_or_b32_e32 v28, 0x10000, v7
	s_delay_alu instid0(VALU_DEP_2) | instskip(NEXT) | instid1(VALU_DEP_2)
	v_cmp_eq_u32_e32 vcc_lo, 0, v6
	v_cndmask_b32_e32 v28, v28, v7, vcc_lo
; %bb.523:                              ;   in Loop: Header=BB420_515 Depth=1
	s_or_b32 exec_lo, exec_lo, s0
	v_and_b32_e32 v6, 0x7f800000, v8
	s_mov_b32 s0, exec_lo
                                        ; implicit-def: $vgpr29
	s_delay_alu instid0(VALU_DEP_1)
	v_cmpx_ne_u32_e32 0x7f800000, v6
	s_xor_b32 s0, exec_lo, s0
; %bb.524:                              ;   in Loop: Header=BB420_515 Depth=1
	v_bfe_u32 v6, v8, 16, 1
	s_delay_alu instid0(VALU_DEP_1)
	v_add3_u32 v29, v8, v6, 0x7fff
; %bb.525:                              ;   in Loop: Header=BB420_515 Depth=1
	s_and_not1_saveexec_b32 s0, s0
; %bb.526:                              ;   in Loop: Header=BB420_515 Depth=1
	v_and_b32_e32 v6, 0xffff, v8
	v_or_b32_e32 v7, 0x10000, v8
	s_delay_alu instid0(VALU_DEP_2) | instskip(NEXT) | instid1(VALU_DEP_2)
	v_cmp_eq_u32_e32 vcc_lo, 0, v6
	v_cndmask_b32_e32 v29, v7, v8, vcc_lo
; %bb.527:                              ;   in Loop: Header=BB420_515 Depth=1
	s_or_b32 exec_lo, exec_lo, s0
	v_and_b32_e32 v6, 0x7f800000, v9
	s_mov_b32 s0, exec_lo
                                        ; implicit-def: $vgpr36
	s_delay_alu instid0(VALU_DEP_1)
	v_cmpx_ne_u32_e32 0x7f800000, v6
	s_xor_b32 s0, exec_lo, s0
; %bb.528:                              ;   in Loop: Header=BB420_515 Depth=1
	v_bfe_u32 v6, v9, 16, 1
	s_delay_alu instid0(VALU_DEP_1)
	v_add3_u32 v36, v9, v6, 0x7fff
                                        ; implicit-def: $vgpr6_vgpr7_vgpr8_vgpr9
; %bb.529:                              ;   in Loop: Header=BB420_515 Depth=1
	s_and_not1_saveexec_b32 s0, s0
; %bb.530:                              ;   in Loop: Header=BB420_515 Depth=1
	v_and_b32_e32 v6, 0xffff, v9
	v_or_b32_e32 v7, 0x10000, v9
	s_delay_alu instid0(VALU_DEP_2) | instskip(NEXT) | instid1(VALU_DEP_2)
	v_cmp_eq_u32_e32 vcc_lo, 0, v6
	v_cndmask_b32_e32 v36, v7, v9, vcc_lo
; %bb.531:                              ;   in Loop: Header=BB420_515 Depth=1
	s_or_b32 exec_lo, exec_lo, s0
	s_waitcnt lgkmcnt(0)
	v_and_b32_e32 v6, 0x7f800000, v0
	s_mov_b32 s0, exec_lo
                                        ; implicit-def: $vgpr37
	s_delay_alu instid0(VALU_DEP_1)
	v_cmpx_ne_u32_e32 0x7f800000, v6
	s_xor_b32 s0, exec_lo, s0
; %bb.532:                              ;   in Loop: Header=BB420_515 Depth=1
	v_bfe_u32 v6, v0, 16, 1
	s_delay_alu instid0(VALU_DEP_1)
	v_add3_u32 v37, v0, v6, 0x7fff
; %bb.533:                              ;   in Loop: Header=BB420_515 Depth=1
	s_and_not1_saveexec_b32 s0, s0
; %bb.534:                              ;   in Loop: Header=BB420_515 Depth=1
	v_and_b32_e32 v6, 0xffff, v0
	v_or_b32_e32 v7, 0x10000, v0
	s_delay_alu instid0(VALU_DEP_2) | instskip(NEXT) | instid1(VALU_DEP_2)
	v_cmp_eq_u32_e32 vcc_lo, 0, v6
	v_cndmask_b32_e32 v37, v7, v0, vcc_lo
; %bb.535:                              ;   in Loop: Header=BB420_515 Depth=1
	s_or_b32 exec_lo, exec_lo, s0
	v_and_b32_e32 v0, 0x7f800000, v1
	s_mov_b32 s0, exec_lo
                                        ; implicit-def: $vgpr38
	s_delay_alu instid0(VALU_DEP_1)
	v_cmpx_ne_u32_e32 0x7f800000, v0
	s_xor_b32 s0, exec_lo, s0
; %bb.536:                              ;   in Loop: Header=BB420_515 Depth=1
	v_bfe_u32 v0, v1, 16, 1
	s_delay_alu instid0(VALU_DEP_1)
	v_add3_u32 v38, v1, v0, 0x7fff
; %bb.537:                              ;   in Loop: Header=BB420_515 Depth=1
	s_and_not1_saveexec_b32 s0, s0
; %bb.538:                              ;   in Loop: Header=BB420_515 Depth=1
	v_and_b32_e32 v0, 0xffff, v1
	v_or_b32_e32 v6, 0x10000, v1
	s_delay_alu instid0(VALU_DEP_2) | instskip(NEXT) | instid1(VALU_DEP_2)
	v_cmp_eq_u32_e32 vcc_lo, 0, v0
	v_cndmask_b32_e32 v38, v6, v1, vcc_lo
; %bb.539:                              ;   in Loop: Header=BB420_515 Depth=1
	s_or_b32 exec_lo, exec_lo, s0
	v_and_b32_e32 v0, 0x7f800000, v2
	s_mov_b32 s0, exec_lo
                                        ; implicit-def: $vgpr39
	s_delay_alu instid0(VALU_DEP_1)
	v_cmpx_ne_u32_e32 0x7f800000, v0
	s_xor_b32 s0, exec_lo, s0
; %bb.540:                              ;   in Loop: Header=BB420_515 Depth=1
	v_bfe_u32 v0, v2, 16, 1
	s_delay_alu instid0(VALU_DEP_1)
	v_add3_u32 v39, v2, v0, 0x7fff
; %bb.541:                              ;   in Loop: Header=BB420_515 Depth=1
	s_and_not1_saveexec_b32 s0, s0
; %bb.542:                              ;   in Loop: Header=BB420_515 Depth=1
	v_and_b32_e32 v0, 0xffff, v2
	v_or_b32_e32 v1, 0x10000, v2
	s_delay_alu instid0(VALU_DEP_2) | instskip(NEXT) | instid1(VALU_DEP_2)
	v_cmp_eq_u32_e32 vcc_lo, 0, v0
	v_cndmask_b32_e32 v39, v1, v2, vcc_lo
; %bb.543:                              ;   in Loop: Header=BB420_515 Depth=1
	s_or_b32 exec_lo, exec_lo, s0
	v_and_b32_e32 v0, 0x7f800000, v3
	s_mov_b32 s0, exec_lo
                                        ; implicit-def: $vgpr48
	s_delay_alu instid0(VALU_DEP_1)
	v_cmpx_ne_u32_e32 0x7f800000, v0
	s_xor_b32 s0, exec_lo, s0
; %bb.544:                              ;   in Loop: Header=BB420_515 Depth=1
	v_bfe_u32 v0, v3, 16, 1
	s_delay_alu instid0(VALU_DEP_1)
	v_add3_u32 v48, v3, v0, 0x7fff
                                        ; implicit-def: $vgpr0_vgpr1_vgpr2_vgpr3
; %bb.545:                              ;   in Loop: Header=BB420_515 Depth=1
	s_and_not1_saveexec_b32 s0, s0
; %bb.546:                              ;   in Loop: Header=BB420_515 Depth=1
	v_and_b32_e32 v0, 0xffff, v3
	v_or_b32_e32 v1, 0x10000, v3
	s_delay_alu instid0(VALU_DEP_2) | instskip(NEXT) | instid1(VALU_DEP_2)
	v_cmp_eq_u32_e32 vcc_lo, 0, v0
	v_cndmask_b32_e32 v48, v1, v3, vcc_lo
; %bb.547:                              ;   in Loop: Header=BB420_515 Depth=1
	s_or_b32 exec_lo, exec_lo, s0
	s_waitcnt vmcnt(0)
	v_mad_i64_i32 v[0:1], null, v49, v22, v[11:12]
	s_mov_b32 s0, exec_lo
	v_mov_b32_e32 v6, 0
	flat_load_b64 v[2:3], v[0:1]
	s_waitcnt vmcnt(0) lgkmcnt(0)
	v_and_b32_e32 v7, 0xff, v2
	s_delay_alu instid0(VALU_DEP_1)
	v_cmpx_ne_u16_e32 0, v7
	s_cbranch_execz .LBB420_555
; %bb.548:                              ;   in Loop: Header=BB420_515 Depth=1
	v_bfrev_b32_e32 v6, 1
	s_mov_b32 s9, exec_lo
	v_cmpx_ne_u16_e32 0x80, v7
	s_cbranch_execz .LBB420_554
; %bb.549:                              ;   in Loop: Header=BB420_515 Depth=1
	v_and_b32_e32 v7, 0x7f, v2
	v_mov_b32_e32 v6, 0x7f800001
	s_mov_b32 s12, exec_lo
	s_delay_alu instid0(VALU_DEP_2)
	v_cmpx_ne_u32_e32 0x7f, v7
	s_cbranch_execz .LBB420_553
; %bb.550:                              ;   in Loop: Header=BB420_515 Depth=1
	v_lshrrev_b32_e32 v8, 3, v7
	v_cmp_gt_u32_e32 vcc_lo, 8, v7
	v_dual_mov_b32 v7, v3 :: v_dual_mov_b32 v6, v2
	s_and_saveexec_b32 s13, vcc_lo
; %bb.551:                              ;   in Loop: Header=BB420_515 Depth=1
	v_and_b32_e32 v6, 7, v2
	s_delay_alu instid0(VALU_DEP_1) | instskip(NEXT) | instid1(VALU_DEP_1)
	v_clz_i32_u32_e32 v6, v6
	v_min_u32_e32 v8, 32, v6
	s_delay_alu instid0(VALU_DEP_1) | instskip(SKIP_1) | instid1(VALU_DEP_2)
	v_subrev_nc_u32_e32 v6, 28, v8
	v_sub_nc_u32_e32 v8, 29, v8
	v_lshlrev_b64 v[6:7], v6, v[2:3]
; %bb.552:                              ;   in Loop: Header=BB420_515 Depth=1
	s_or_b32 exec_lo, exec_lo, s13
	s_delay_alu instid0(VALU_DEP_1) | instskip(SKIP_2) | instid1(VALU_DEP_3)
	v_lshlrev_b32_e32 v6, 20, v6
	v_lshlrev_b32_e32 v7, 24, v2
	v_lshl_add_u32 v8, v8, 23, 0x3c000000
	v_and_b32_e32 v6, 0x700000, v6
	s_delay_alu instid0(VALU_DEP_3) | instskip(NEXT) | instid1(VALU_DEP_1)
	v_and_b32_e32 v7, 0x80000000, v7
	v_or3_b32 v6, v6, v7, v8
.LBB420_553:                            ;   in Loop: Header=BB420_515 Depth=1
	s_or_b32 exec_lo, exec_lo, s12
.LBB420_554:                            ;   in Loop: Header=BB420_515 Depth=1
	s_delay_alu instid0(SALU_CYCLE_1)
	s_or_b32 exec_lo, exec_lo, s9
.LBB420_555:                            ;   in Loop: Header=BB420_515 Depth=1
	s_delay_alu instid0(SALU_CYCLE_1) | instskip(NEXT) | instid1(VALU_DEP_1)
	s_or_b32 exec_lo, exec_lo, s0
	v_mul_f32_e32 v6, v26, v6
	s_mov_b32 s0, exec_lo
                                        ; implicit-def: $vgpr8
	s_delay_alu instid0(VALU_DEP_1) | instskip(NEXT) | instid1(VALU_DEP_1)
	v_and_b32_e32 v7, 0x7f800000, v6
	v_cmpx_ne_u32_e32 0x7f800000, v7
	s_xor_b32 s0, exec_lo, s0
; %bb.556:                              ;   in Loop: Header=BB420_515 Depth=1
	v_bfe_u32 v7, v6, 16, 1
	s_delay_alu instid0(VALU_DEP_1)
	v_add3_u32 v8, v6, v7, 0x7fff
                                        ; implicit-def: $vgpr6
; %bb.557:                              ;   in Loop: Header=BB420_515 Depth=1
	s_and_not1_saveexec_b32 s0, s0
; %bb.558:                              ;   in Loop: Header=BB420_515 Depth=1
	v_and_b32_e32 v7, 0xffff, v6
	v_or_b32_e32 v8, 0x10000, v6
	s_delay_alu instid0(VALU_DEP_2) | instskip(NEXT) | instid1(VALU_DEP_2)
	v_cmp_eq_u32_e32 vcc_lo, 0, v7
	v_cndmask_b32_e32 v8, v8, v6, vcc_lo
; %bb.559:                              ;   in Loop: Header=BB420_515 Depth=1
	s_or_b32 exec_lo, exec_lo, s0
	v_lshrrev_b16 v7, 8, v2
	v_mov_b32_e32 v6, 0
	s_mov_b32 s0, exec_lo
	s_delay_alu instid0(VALU_DEP_2)
	v_cmpx_ne_u16_e32 0, v7
	s_cbranch_execz .LBB420_567
; %bb.560:                              ;   in Loop: Header=BB420_515 Depth=1
	v_bfrev_b32_e32 v6, 1
	s_mov_b32 s9, exec_lo
	v_cmpx_ne_u16_e32 0x80, v7
	s_cbranch_execz .LBB420_566
; %bb.561:                              ;   in Loop: Header=BB420_515 Depth=1
	v_and_b32_e32 v9, 0xffff, v7
	v_mov_b32_e32 v6, 0x7f800001
	s_mov_b32 s12, exec_lo
	s_delay_alu instid0(VALU_DEP_2) | instskip(NEXT) | instid1(VALU_DEP_1)
	v_and_b32_e32 v7, 0x7f, v9
	v_cmpx_ne_u32_e32 0x7f, v7
	s_cbranch_execz .LBB420_565
; %bb.562:                              ;   in Loop: Header=BB420_515 Depth=1
	v_and_b32_e32 v9, 7, v9
	v_lshrrev_b32_e32 v6, 3, v7
	s_mov_b32 s13, exec_lo
	v_cmpx_gt_u32_e32 8, v7
; %bb.563:                              ;   in Loop: Header=BB420_515 Depth=1
	s_delay_alu instid0(VALU_DEP_3) | instskip(NEXT) | instid1(VALU_DEP_1)
	v_clz_i32_u32_e32 v6, v9
	v_min_u32_e32 v6, 32, v6
	s_delay_alu instid0(VALU_DEP_1) | instskip(SKIP_1) | instid1(VALU_DEP_2)
	v_subrev_nc_u32_e32 v7, 28, v6
	v_sub_nc_u32_e32 v6, 29, v6
	v_lshlrev_b64 v[49:50], v7, v[9:10]
	s_delay_alu instid0(VALU_DEP_1)
	v_and_b32_e32 v9, 7, v49
; %bb.564:                              ;   in Loop: Header=BB420_515 Depth=1
	s_or_b32 exec_lo, exec_lo, s13
	v_lshlrev_b32_e32 v7, 16, v2
	s_delay_alu instid0(VALU_DEP_2) | instskip(SKIP_1) | instid1(VALU_DEP_3)
	v_lshlrev_b32_e32 v9, 20, v9
	v_lshl_add_u32 v6, v6, 23, 0x3c000000
	v_and_b32_e32 v7, 0x80000000, v7
	s_delay_alu instid0(VALU_DEP_1)
	v_or3_b32 v6, v9, v7, v6
.LBB420_565:                            ;   in Loop: Header=BB420_515 Depth=1
	s_or_b32 exec_lo, exec_lo, s12
.LBB420_566:                            ;   in Loop: Header=BB420_515 Depth=1
	s_delay_alu instid0(SALU_CYCLE_1)
	s_or_b32 exec_lo, exec_lo, s9
.LBB420_567:                            ;   in Loop: Header=BB420_515 Depth=1
	s_delay_alu instid0(SALU_CYCLE_1) | instskip(NEXT) | instid1(VALU_DEP_1)
	s_or_b32 exec_lo, exec_lo, s0
	v_mul_f32_e32 v6, v26, v6
	s_mov_b32 s0, exec_lo
                                        ; implicit-def: $vgpr50
	s_delay_alu instid0(VALU_DEP_1) | instskip(NEXT) | instid1(VALU_DEP_1)
	v_and_b32_e32 v7, 0x7f800000, v6
	v_cmpx_ne_u32_e32 0x7f800000, v7
	s_xor_b32 s0, exec_lo, s0
; %bb.568:                              ;   in Loop: Header=BB420_515 Depth=1
	v_bfe_u32 v7, v6, 16, 1
	s_delay_alu instid0(VALU_DEP_1)
	v_add3_u32 v50, v6, v7, 0x7fff
                                        ; implicit-def: $vgpr6
; %bb.569:                              ;   in Loop: Header=BB420_515 Depth=1
	s_and_not1_saveexec_b32 s0, s0
; %bb.570:                              ;   in Loop: Header=BB420_515 Depth=1
	v_and_b32_e32 v7, 0xffff, v6
	v_or_b32_e32 v9, 0x10000, v6
	s_delay_alu instid0(VALU_DEP_2) | instskip(NEXT) | instid1(VALU_DEP_2)
	v_cmp_eq_u32_e32 vcc_lo, 0, v7
	v_cndmask_b32_e32 v50, v9, v6, vcc_lo
; %bb.571:                              ;   in Loop: Header=BB420_515 Depth=1
	s_or_b32 exec_lo, exec_lo, s0
	v_lshrrev_b32_e32 v6, 16, v2
	v_mov_b32_e32 v7, 0
	s_mov_b32 s0, exec_lo
	s_delay_alu instid0(VALU_DEP_2) | instskip(NEXT) | instid1(VALU_DEP_1)
	v_and_b32_e32 v9, 0xff, v6
	v_cmpx_ne_u16_e32 0, v9
	s_cbranch_execz .LBB420_579
; %bb.572:                              ;   in Loop: Header=BB420_515 Depth=1
	v_bfrev_b32_e32 v7, 1
	s_mov_b32 s9, exec_lo
	v_cmpx_ne_u16_e32 0x80, v9
	s_cbranch_execz .LBB420_578
; %bb.573:                              ;   in Loop: Header=BB420_515 Depth=1
	v_bfe_u32 v49, v2, 16, 7
	v_mov_b32_e32 v7, 0x7f800001
	s_mov_b32 s12, exec_lo
	s_delay_alu instid0(VALU_DEP_2)
	v_cmpx_ne_u32_e32 0x7f, v49
	s_cbranch_execz .LBB420_577
; %bb.574:                              ;   in Loop: Header=BB420_515 Depth=1
	v_and_b32_e32 v9, 7, v6
	v_lshrrev_b32_e32 v7, 3, v49
	s_mov_b32 s13, exec_lo
	v_cmpx_gt_u32_e32 8, v49
; %bb.575:                              ;   in Loop: Header=BB420_515 Depth=1
	s_delay_alu instid0(VALU_DEP_3) | instskip(NEXT) | instid1(VALU_DEP_1)
	v_clz_i32_u32_e32 v7, v9
	v_min_u32_e32 v7, 32, v7
	s_delay_alu instid0(VALU_DEP_1) | instskip(SKIP_1) | instid1(VALU_DEP_2)
	v_subrev_nc_u32_e32 v49, 28, v7
	v_sub_nc_u32_e32 v7, 29, v7
	v_lshlrev_b64 v[51:52], v49, v[9:10]
	s_delay_alu instid0(VALU_DEP_1)
	v_and_b32_e32 v9, 7, v51
; %bb.576:                              ;   in Loop: Header=BB420_515 Depth=1
	s_or_b32 exec_lo, exec_lo, s13
	v_lshlrev_b32_e32 v6, 24, v6
	s_delay_alu instid0(VALU_DEP_2) | instskip(SKIP_1) | instid1(VALU_DEP_3)
	v_lshlrev_b32_e32 v9, 20, v9
	v_lshl_add_u32 v7, v7, 23, 0x3c000000
	v_and_b32_e32 v6, 0x80000000, v6
	s_delay_alu instid0(VALU_DEP_1)
	v_or3_b32 v7, v9, v6, v7
.LBB420_577:                            ;   in Loop: Header=BB420_515 Depth=1
	s_or_b32 exec_lo, exec_lo, s12
.LBB420_578:                            ;   in Loop: Header=BB420_515 Depth=1
	s_delay_alu instid0(SALU_CYCLE_1)
	s_or_b32 exec_lo, exec_lo, s9
.LBB420_579:                            ;   in Loop: Header=BB420_515 Depth=1
	s_delay_alu instid0(SALU_CYCLE_1) | instskip(NEXT) | instid1(VALU_DEP_1)
	s_or_b32 exec_lo, exec_lo, s0
	v_mul_f32_e32 v6, v26, v7
	s_mov_b32 s0, exec_lo
                                        ; implicit-def: $vgpr51
	s_delay_alu instid0(VALU_DEP_1) | instskip(NEXT) | instid1(VALU_DEP_1)
	v_and_b32_e32 v7, 0x7f800000, v6
	v_cmpx_ne_u32_e32 0x7f800000, v7
	s_xor_b32 s0, exec_lo, s0
; %bb.580:                              ;   in Loop: Header=BB420_515 Depth=1
	v_bfe_u32 v7, v6, 16, 1
	s_delay_alu instid0(VALU_DEP_1)
	v_add3_u32 v51, v6, v7, 0x7fff
                                        ; implicit-def: $vgpr6
; %bb.581:                              ;   in Loop: Header=BB420_515 Depth=1
	s_and_not1_saveexec_b32 s0, s0
; %bb.582:                              ;   in Loop: Header=BB420_515 Depth=1
	v_and_b32_e32 v7, 0xffff, v6
	v_or_b32_e32 v9, 0x10000, v6
	s_delay_alu instid0(VALU_DEP_2) | instskip(NEXT) | instid1(VALU_DEP_2)
	v_cmp_eq_u32_e32 vcc_lo, 0, v7
	v_cndmask_b32_e32 v51, v9, v6, vcc_lo
; %bb.583:                              ;   in Loop: Header=BB420_515 Depth=1
	s_or_b32 exec_lo, exec_lo, s0
	v_mov_b32_e32 v7, 0
	s_mov_b32 s0, exec_lo
	v_cmpx_lt_u32_e32 0xffffff, v2
	s_cbranch_execz .LBB420_591
; %bb.584:                              ;   in Loop: Header=BB420_515 Depth=1
	v_lshrrev_b32_e32 v6, 24, v2
	v_bfrev_b32_e32 v7, 1
	s_mov_b32 s9, exec_lo
	s_delay_alu instid0(VALU_DEP_2)
	v_cmpx_ne_u32_e32 0x80, v6
	s_cbranch_execz .LBB420_590
; %bb.585:                              ;   in Loop: Header=BB420_515 Depth=1
	v_bfe_u32 v49, v2, 24, 7
	v_mov_b32_e32 v7, 0x7f800001
	s_mov_b32 s12, exec_lo
	s_delay_alu instid0(VALU_DEP_2)
	v_cmpx_ne_u32_e32 0x7f, v49
	s_cbranch_execz .LBB420_589
; %bb.586:                              ;   in Loop: Header=BB420_515 Depth=1
	v_and_b32_e32 v9, 7, v6
	v_lshrrev_b32_e32 v7, 3, v49
	s_mov_b32 s13, exec_lo
	v_cmpx_gt_u32_e32 8, v49
; %bb.587:                              ;   in Loop: Header=BB420_515 Depth=1
	s_delay_alu instid0(VALU_DEP_3) | instskip(NEXT) | instid1(VALU_DEP_1)
	v_clz_i32_u32_e32 v7, v9
	v_min_u32_e32 v7, 32, v7
	s_delay_alu instid0(VALU_DEP_1) | instskip(SKIP_1) | instid1(VALU_DEP_2)
	v_subrev_nc_u32_e32 v49, 28, v7
	v_sub_nc_u32_e32 v7, 29, v7
	v_lshlrev_b64 v[52:53], v49, v[9:10]
	s_delay_alu instid0(VALU_DEP_1)
	v_and_b32_e32 v9, 7, v52
; %bb.588:                              ;   in Loop: Header=BB420_515 Depth=1
	s_or_b32 exec_lo, exec_lo, s13
	v_lshlrev_b32_e32 v6, 24, v6
	s_delay_alu instid0(VALU_DEP_2) | instskip(SKIP_1) | instid1(VALU_DEP_3)
	v_lshlrev_b32_e32 v9, 20, v9
	v_lshl_add_u32 v7, v7, 23, 0x3c000000
	v_and_b32_e32 v6, 0x80000000, v6
	s_delay_alu instid0(VALU_DEP_1)
	v_or3_b32 v7, v9, v6, v7
.LBB420_589:                            ;   in Loop: Header=BB420_515 Depth=1
	s_or_b32 exec_lo, exec_lo, s12
.LBB420_590:                            ;   in Loop: Header=BB420_515 Depth=1
	s_delay_alu instid0(SALU_CYCLE_1)
	s_or_b32 exec_lo, exec_lo, s9
.LBB420_591:                            ;   in Loop: Header=BB420_515 Depth=1
	s_delay_alu instid0(SALU_CYCLE_1) | instskip(NEXT) | instid1(VALU_DEP_1)
	s_or_b32 exec_lo, exec_lo, s0
	v_mul_f32_e32 v6, v26, v7
	s_mov_b32 s0, exec_lo
                                        ; implicit-def: $vgpr52
	s_delay_alu instid0(VALU_DEP_1) | instskip(NEXT) | instid1(VALU_DEP_1)
	v_and_b32_e32 v7, 0x7f800000, v6
	v_cmpx_ne_u32_e32 0x7f800000, v7
	s_xor_b32 s0, exec_lo, s0
; %bb.592:                              ;   in Loop: Header=BB420_515 Depth=1
	v_bfe_u32 v7, v6, 16, 1
	s_delay_alu instid0(VALU_DEP_1)
	v_add3_u32 v52, v6, v7, 0x7fff
                                        ; implicit-def: $vgpr6
; %bb.593:                              ;   in Loop: Header=BB420_515 Depth=1
	s_and_not1_saveexec_b32 s0, s0
; %bb.594:                              ;   in Loop: Header=BB420_515 Depth=1
	v_and_b32_e32 v7, 0xffff, v6
	v_or_b32_e32 v9, 0x10000, v6
	s_delay_alu instid0(VALU_DEP_2) | instskip(NEXT) | instid1(VALU_DEP_2)
	v_cmp_eq_u32_e32 vcc_lo, 0, v7
	v_cndmask_b32_e32 v52, v9, v6, vcc_lo
; %bb.595:                              ;   in Loop: Header=BB420_515 Depth=1
	s_or_b32 exec_lo, exec_lo, s0
	v_dual_mov_b32 v6, 0 :: v_dual_and_b32 v7, 0xff, v3
	v_mov_b32_e32 v9, v3
	s_mov_b32 s0, exec_lo
	s_delay_alu instid0(VALU_DEP_2)
	v_cmpx_ne_u16_e32 0, v7
	s_cbranch_execz .LBB420_603
; %bb.596:                              ;   in Loop: Header=BB420_515 Depth=1
	v_bfrev_b32_e32 v6, 1
	s_mov_b32 s9, exec_lo
	v_cmpx_ne_u16_e32 0x80, v7
	s_cbranch_execz .LBB420_602
; %bb.597:                              ;   in Loop: Header=BB420_515 Depth=1
	v_and_b32_e32 v7, 0x7f, v3
	v_mov_b32_e32 v6, 0x7f800001
	s_mov_b32 s12, exec_lo
	s_delay_alu instid0(VALU_DEP_2)
	v_cmpx_ne_u32_e32 0x7f, v7
	s_cbranch_execz .LBB420_601
; %bb.598:                              ;   in Loop: Header=BB420_515 Depth=1
	v_lshrrev_b32_e32 v49, 3, v7
	v_cmp_gt_u32_e32 vcc_lo, 8, v7
	v_dual_mov_b32 v6, v9 :: v_dual_mov_b32 v7, v10
	s_and_saveexec_b32 s13, vcc_lo
; %bb.599:                              ;   in Loop: Header=BB420_515 Depth=1
	v_and_b32_e32 v6, 7, v3
	s_delay_alu instid0(VALU_DEP_1) | instskip(NEXT) | instid1(VALU_DEP_1)
	v_clz_i32_u32_e32 v6, v6
	v_min_u32_e32 v49, 32, v6
	s_delay_alu instid0(VALU_DEP_1) | instskip(SKIP_1) | instid1(VALU_DEP_2)
	v_subrev_nc_u32_e32 v6, 28, v49
	v_sub_nc_u32_e32 v49, 29, v49
	v_lshlrev_b64 v[6:7], v6, v[9:10]
; %bb.600:                              ;   in Loop: Header=BB420_515 Depth=1
	s_or_b32 exec_lo, exec_lo, s13
	s_delay_alu instid0(VALU_DEP_1) | instskip(SKIP_2) | instid1(VALU_DEP_3)
	v_lshlrev_b32_e32 v6, 20, v6
	v_lshlrev_b32_e32 v7, 24, v9
	v_lshl_add_u32 v49, v49, 23, 0x3c000000
	v_and_b32_e32 v6, 0x700000, v6
	s_delay_alu instid0(VALU_DEP_3) | instskip(NEXT) | instid1(VALU_DEP_1)
	v_and_b32_e32 v7, 0x80000000, v7
	v_or3_b32 v6, v6, v7, v49
.LBB420_601:                            ;   in Loop: Header=BB420_515 Depth=1
	s_or_b32 exec_lo, exec_lo, s12
.LBB420_602:                            ;   in Loop: Header=BB420_515 Depth=1
	s_delay_alu instid0(SALU_CYCLE_1)
	s_or_b32 exec_lo, exec_lo, s9
.LBB420_603:                            ;   in Loop: Header=BB420_515 Depth=1
	s_delay_alu instid0(SALU_CYCLE_1) | instskip(NEXT) | instid1(VALU_DEP_1)
	s_or_b32 exec_lo, exec_lo, s0
	v_mul_f32_e32 v6, v26, v6
	s_mov_b32 s0, exec_lo
                                        ; implicit-def: $vgpr53
	s_delay_alu instid0(VALU_DEP_1) | instskip(NEXT) | instid1(VALU_DEP_1)
	v_and_b32_e32 v7, 0x7f800000, v6
	v_cmpx_ne_u32_e32 0x7f800000, v7
	s_xor_b32 s0, exec_lo, s0
; %bb.604:                              ;   in Loop: Header=BB420_515 Depth=1
	v_bfe_u32 v7, v6, 16, 1
	s_delay_alu instid0(VALU_DEP_1)
	v_add3_u32 v53, v6, v7, 0x7fff
                                        ; implicit-def: $vgpr6
; %bb.605:                              ;   in Loop: Header=BB420_515 Depth=1
	s_and_not1_saveexec_b32 s0, s0
; %bb.606:                              ;   in Loop: Header=BB420_515 Depth=1
	v_and_b32_e32 v7, 0xffff, v6
	v_or_b32_e32 v49, 0x10000, v6
	s_delay_alu instid0(VALU_DEP_2) | instskip(NEXT) | instid1(VALU_DEP_2)
	v_cmp_eq_u32_e32 vcc_lo, 0, v7
	v_cndmask_b32_e32 v53, v49, v6, vcc_lo
; %bb.607:                              ;   in Loop: Header=BB420_515 Depth=1
	s_or_b32 exec_lo, exec_lo, s0
	v_lshrrev_b16 v7, 8, v9
	v_mov_b32_e32 v6, 0
	s_mov_b32 s0, exec_lo
	s_delay_alu instid0(VALU_DEP_2)
	v_cmpx_ne_u16_e32 0, v7
	s_cbranch_execz .LBB420_615
; %bb.608:                              ;   in Loop: Header=BB420_515 Depth=1
	v_bfrev_b32_e32 v6, 1
	s_mov_b32 s9, exec_lo
	v_cmpx_ne_u16_e32 0x80, v7
	s_cbranch_execz .LBB420_614
; %bb.609:                              ;   in Loop: Header=BB420_515 Depth=1
	v_and_b32_e32 v7, 0xffff, v7
	v_mov_b32_e32 v6, 0x7f800001
	s_mov_b32 s12, exec_lo
	s_delay_alu instid0(VALU_DEP_2) | instskip(NEXT) | instid1(VALU_DEP_1)
	v_and_b32_e32 v54, 0x7f, v7
	v_cmpx_ne_u32_e32 0x7f, v54
	s_cbranch_execz .LBB420_613
; %bb.610:                              ;   in Loop: Header=BB420_515 Depth=1
	v_dual_mov_b32 v7, v10 :: v_dual_and_b32 v6, 7, v7
	v_lshrrev_b32_e32 v49, 3, v54
	s_mov_b32 s13, exec_lo
	v_cmpx_gt_u32_e32 8, v54
; %bb.611:                              ;   in Loop: Header=BB420_515 Depth=1
	s_delay_alu instid0(VALU_DEP_3) | instskip(NEXT) | instid1(VALU_DEP_1)
	v_clz_i32_u32_e32 v49, v6
	v_min_u32_e32 v49, 32, v49
	s_delay_alu instid0(VALU_DEP_1) | instskip(SKIP_1) | instid1(VALU_DEP_2)
	v_subrev_nc_u32_e32 v54, 28, v49
	v_sub_nc_u32_e32 v49, 29, v49
	v_lshlrev_b64 v[6:7], v54, v[6:7]
	s_delay_alu instid0(VALU_DEP_1)
	v_and_b32_e32 v6, 7, v6
; %bb.612:                              ;   in Loop: Header=BB420_515 Depth=1
	s_or_b32 exec_lo, exec_lo, s13
	v_lshlrev_b32_e32 v7, 16, v9
	s_delay_alu instid0(VALU_DEP_2) | instskip(SKIP_1) | instid1(VALU_DEP_3)
	v_lshlrev_b32_e32 v6, 20, v6
	v_lshl_add_u32 v9, v49, 23, 0x3c000000
	v_and_b32_e32 v7, 0x80000000, v7
	s_delay_alu instid0(VALU_DEP_1)
	v_or3_b32 v6, v6, v7, v9
.LBB420_613:                            ;   in Loop: Header=BB420_515 Depth=1
	s_or_b32 exec_lo, exec_lo, s12
.LBB420_614:                            ;   in Loop: Header=BB420_515 Depth=1
	s_delay_alu instid0(SALU_CYCLE_1)
	s_or_b32 exec_lo, exec_lo, s9
.LBB420_615:                            ;   in Loop: Header=BB420_515 Depth=1
	s_delay_alu instid0(SALU_CYCLE_1) | instskip(NEXT) | instid1(VALU_DEP_1)
	s_or_b32 exec_lo, exec_lo, s0
	v_mul_f32_e32 v7, v26, v6
	s_delay_alu instid0(VALU_DEP_1) | instskip(NEXT) | instid1(VALU_DEP_1)
	v_and_b32_e32 v6, 0x7f800000, v7
	v_cmp_ne_u32_e32 vcc_lo, 0x7f800000, v6
                                        ; implicit-def: $vgpr6
	s_and_saveexec_b32 s0, vcc_lo
	s_delay_alu instid0(SALU_CYCLE_1)
	s_xor_b32 s0, exec_lo, s0
; %bb.616:                              ;   in Loop: Header=BB420_515 Depth=1
	v_bfe_u32 v6, v7, 16, 1
	s_delay_alu instid0(VALU_DEP_1)
	v_add3_u32 v6, v7, v6, 0x7fff
                                        ; implicit-def: $vgpr7
; %bb.617:                              ;   in Loop: Header=BB420_515 Depth=1
	s_and_not1_saveexec_b32 s0, s0
; %bb.618:                              ;   in Loop: Header=BB420_515 Depth=1
	v_and_b32_e32 v6, 0xffff, v7
	v_or_b32_e32 v9, 0x10000, v7
	s_delay_alu instid0(VALU_DEP_2) | instskip(NEXT) | instid1(VALU_DEP_2)
	v_cmp_eq_u32_e32 vcc_lo, 0, v6
	v_cndmask_b32_e32 v6, v9, v7, vcc_lo
; %bb.619:                              ;   in Loop: Header=BB420_515 Depth=1
	s_or_b32 exec_lo, exec_lo, s0
	v_lshrrev_b32_e32 v7, 16, v3
	v_mov_b32_e32 v9, 0
	s_mov_b32 s0, exec_lo
	s_delay_alu instid0(VALU_DEP_2) | instskip(NEXT) | instid1(VALU_DEP_1)
	v_and_b32_e32 v49, 0xff, v7
	v_cmpx_ne_u16_e32 0, v49
	s_cbranch_execz .LBB420_627
; %bb.620:                              ;   in Loop: Header=BB420_515 Depth=1
	v_bfrev_b32_e32 v9, 1
	s_mov_b32 s9, exec_lo
	v_cmpx_ne_u16_e32 0x80, v49
	s_cbranch_execz .LBB420_626
; %bb.621:                              ;   in Loop: Header=BB420_515 Depth=1
	v_bfe_u32 v54, v3, 16, 7
	v_mov_b32_e32 v9, 0x7f800001
	s_mov_b32 s12, exec_lo
	s_delay_alu instid0(VALU_DEP_2)
	v_cmpx_ne_u32_e32 0x7f, v54
	s_cbranch_execz .LBB420_625
; %bb.622:                              ;   in Loop: Header=BB420_515 Depth=1
	v_and_b32_e32 v9, 7, v7
	v_lshrrev_b32_e32 v49, 3, v54
	s_mov_b32 s13, exec_lo
	v_cmpx_gt_u32_e32 8, v54
; %bb.623:                              ;   in Loop: Header=BB420_515 Depth=1
	s_delay_alu instid0(VALU_DEP_3) | instskip(NEXT) | instid1(VALU_DEP_1)
	v_clz_i32_u32_e32 v49, v9
	v_min_u32_e32 v49, 32, v49
	s_delay_alu instid0(VALU_DEP_1) | instskip(SKIP_1) | instid1(VALU_DEP_2)
	v_subrev_nc_u32_e32 v54, 28, v49
	v_sub_nc_u32_e32 v49, 29, v49
	v_lshlrev_b64 v[54:55], v54, v[9:10]
	s_delay_alu instid0(VALU_DEP_1)
	v_and_b32_e32 v9, 7, v54
; %bb.624:                              ;   in Loop: Header=BB420_515 Depth=1
	s_or_b32 exec_lo, exec_lo, s13
	v_lshlrev_b32_e32 v7, 24, v7
	s_delay_alu instid0(VALU_DEP_2) | instskip(SKIP_1) | instid1(VALU_DEP_3)
	v_lshlrev_b32_e32 v9, 20, v9
	v_lshl_add_u32 v49, v49, 23, 0x3c000000
	v_and_b32_e32 v7, 0x80000000, v7
	s_delay_alu instid0(VALU_DEP_1)
	v_or3_b32 v9, v9, v7, v49
.LBB420_625:                            ;   in Loop: Header=BB420_515 Depth=1
	s_or_b32 exec_lo, exec_lo, s12
.LBB420_626:                            ;   in Loop: Header=BB420_515 Depth=1
	s_delay_alu instid0(SALU_CYCLE_1)
	s_or_b32 exec_lo, exec_lo, s9
.LBB420_627:                            ;   in Loop: Header=BB420_515 Depth=1
	s_delay_alu instid0(SALU_CYCLE_1) | instskip(NEXT) | instid1(VALU_DEP_1)
	s_or_b32 exec_lo, exec_lo, s0
	v_mul_f32_e32 v7, v26, v9
	s_mov_b32 s0, exec_lo
                                        ; implicit-def: $vgpr54
	s_delay_alu instid0(VALU_DEP_1) | instskip(NEXT) | instid1(VALU_DEP_1)
	v_and_b32_e32 v9, 0x7f800000, v7
	v_cmpx_ne_u32_e32 0x7f800000, v9
	s_xor_b32 s0, exec_lo, s0
; %bb.628:                              ;   in Loop: Header=BB420_515 Depth=1
	v_bfe_u32 v9, v7, 16, 1
	s_delay_alu instid0(VALU_DEP_1)
	v_add3_u32 v54, v7, v9, 0x7fff
                                        ; implicit-def: $vgpr7
; %bb.629:                              ;   in Loop: Header=BB420_515 Depth=1
	s_and_not1_saveexec_b32 s0, s0
; %bb.630:                              ;   in Loop: Header=BB420_515 Depth=1
	v_and_b32_e32 v9, 0xffff, v7
	v_or_b32_e32 v49, 0x10000, v7
	s_delay_alu instid0(VALU_DEP_2) | instskip(NEXT) | instid1(VALU_DEP_2)
	v_cmp_eq_u32_e32 vcc_lo, 0, v9
	v_cndmask_b32_e32 v54, v49, v7, vcc_lo
; %bb.631:                              ;   in Loop: Header=BB420_515 Depth=1
	s_or_b32 exec_lo, exec_lo, s0
	v_mov_b32_e32 v7, 0
	s_mov_b32 s0, exec_lo
	v_cmpx_lt_u64_e64 s[2:3], v[2:3]
	s_cbranch_execz .LBB420_639
; %bb.632:                              ;   in Loop: Header=BB420_515 Depth=1
	v_lshrrev_b32_e32 v2, 24, v3
	v_bfrev_b32_e32 v7, 1
	s_mov_b32 s9, exec_lo
	s_delay_alu instid0(VALU_DEP_2)
	v_cmpx_ne_u32_e32 0x80, v2
	s_cbranch_execz .LBB420_638
; %bb.633:                              ;   in Loop: Header=BB420_515 Depth=1
	v_bfe_u32 v49, v3, 24, 7
	v_mov_b32_e32 v7, 0x7f800001
	s_mov_b32 s12, exec_lo
	s_delay_alu instid0(VALU_DEP_2)
	v_cmpx_ne_u32_e32 0x7f, v49
	s_cbranch_execz .LBB420_637
; %bb.634:                              ;   in Loop: Header=BB420_515 Depth=1
	v_and_b32_e32 v9, 7, v2
	v_lshrrev_b32_e32 v3, 3, v49
	s_mov_b32 s13, exec_lo
	v_cmpx_gt_u32_e32 8, v49
; %bb.635:                              ;   in Loop: Header=BB420_515 Depth=1
	s_delay_alu instid0(VALU_DEP_3) | instskip(NEXT) | instid1(VALU_DEP_1)
	v_clz_i32_u32_e32 v3, v9
	v_min_u32_e32 v3, 32, v3
	s_delay_alu instid0(VALU_DEP_1) | instskip(SKIP_1) | instid1(VALU_DEP_2)
	v_subrev_nc_u32_e32 v7, 28, v3
	v_sub_nc_u32_e32 v3, 29, v3
	v_lshlrev_b64 v[65:66], v7, v[9:10]
	s_delay_alu instid0(VALU_DEP_1)
	v_and_b32_e32 v9, 7, v65
; %bb.636:                              ;   in Loop: Header=BB420_515 Depth=1
	s_or_b32 exec_lo, exec_lo, s13
	v_lshlrev_b32_e32 v2, 24, v2
	s_delay_alu instid0(VALU_DEP_2) | instskip(SKIP_1) | instid1(VALU_DEP_3)
	v_lshlrev_b32_e32 v7, 20, v9
	v_lshl_add_u32 v3, v3, 23, 0x3c000000
	v_and_b32_e32 v2, 0x80000000, v2
	s_delay_alu instid0(VALU_DEP_1)
	v_or3_b32 v7, v7, v2, v3
.LBB420_637:                            ;   in Loop: Header=BB420_515 Depth=1
	s_or_b32 exec_lo, exec_lo, s12
.LBB420_638:                            ;   in Loop: Header=BB420_515 Depth=1
	s_delay_alu instid0(SALU_CYCLE_1)
	s_or_b32 exec_lo, exec_lo, s9
.LBB420_639:                            ;   in Loop: Header=BB420_515 Depth=1
	s_delay_alu instid0(SALU_CYCLE_1) | instskip(NEXT) | instid1(VALU_DEP_1)
	s_or_b32 exec_lo, exec_lo, s0
	v_mul_f32_e32 v3, v26, v7
	s_delay_alu instid0(VALU_DEP_1) | instskip(NEXT) | instid1(VALU_DEP_1)
	v_and_b32_e32 v2, 0x7f800000, v3
	v_cmp_ne_u32_e32 vcc_lo, 0x7f800000, v2
                                        ; implicit-def: $vgpr2
	s_and_saveexec_b32 s0, vcc_lo
	s_delay_alu instid0(SALU_CYCLE_1)
	s_xor_b32 s0, exec_lo, s0
; %bb.640:                              ;   in Loop: Header=BB420_515 Depth=1
	v_bfe_u32 v2, v3, 16, 1
	s_delay_alu instid0(VALU_DEP_1)
	v_add3_u32 v2, v3, v2, 0x7fff
                                        ; implicit-def: $vgpr3
; %bb.641:                              ;   in Loop: Header=BB420_515 Depth=1
	s_and_not1_saveexec_b32 s0, s0
; %bb.642:                              ;   in Loop: Header=BB420_515 Depth=1
	v_and_b32_e32 v2, 0xffff, v3
	v_or_b32_e32 v7, 0x10000, v3
	s_delay_alu instid0(VALU_DEP_2) | instskip(NEXT) | instid1(VALU_DEP_2)
	v_cmp_eq_u32_e32 vcc_lo, 0, v2
	v_cndmask_b32_e32 v2, v7, v3, vcc_lo
; %bb.643:                              ;   in Loop: Header=BB420_515 Depth=1
	s_or_b32 exec_lo, exec_lo, s0
	v_cmp_eq_u32_e32 vcc_lo, v27, v16
	v_add_nc_u32_e32 v49, -7, v15
	v_lshrrev_b32_e32 v6, 16, v6
	v_lshrrev_b32_e32 v7, 16, v53
	;; [unrolled: 1-line block ×8, first 2 shown]
	v_add_nc_u32_e32 v55, -6, v15
	v_add_nc_u32_e32 v54, -5, v15
	v_add_nc_u32_e32 v53, -4, v15
	v_add_nc_u32_e32 v52, -3, v15
	v_add_nc_u32_e32 v51, -2, v15
	v_add_nc_u32_e32 v50, -1, v15
	s_and_saveexec_b32 s9, vcc_lo
	s_cbranch_execz .LBB420_645
; %bb.644:                              ;   in Loop: Header=BB420_515 Depth=1
	v_cmp_lt_i32_e64 s0, v49, v32
	s_delay_alu instid0(VALU_DEP_1) | instskip(SKIP_1) | instid1(VALU_DEP_1)
	v_cndmask_b32_e64 v8, 0, v8, s0
	v_cmp_lt_i32_e64 s0, v55, v32
	v_cndmask_b32_e64 v66, 0, v66, s0
	v_cmp_lt_i32_e64 s0, v54, v32
	s_delay_alu instid0(VALU_DEP_1) | instskip(SKIP_1) | instid1(VALU_DEP_1)
	v_cndmask_b32_e64 v67, 0, v67, s0
	v_cmp_lt_i32_e64 s0, v53, v32
	v_cndmask_b32_e64 v9, 0, v9, s0
	;; [unrolled: 5-line block ×4, first 2 shown]
.LBB420_645:                            ;   in Loop: Header=BB420_515 Depth=1
	s_or_b32 exec_lo, exec_lo, s9
	v_and_b32_e32 v64, 0xffff0000, v64
	v_lshlrev_b32_e32 v8, 16, v8
	s_delay_alu instid0(VALU_DEP_1) | instskip(NEXT) | instid1(VALU_DEP_1)
	v_mul_f32_e32 v65, v64, v8
	v_and_b32_e32 v8, 0x7f800000, v65
	s_delay_alu instid0(VALU_DEP_1) | instskip(NEXT) | instid1(VALU_DEP_1)
	v_cmp_ne_u32_e64 s0, 0x7f800000, v8
                                        ; implicit-def: $vgpr8
	s_and_saveexec_b32 s9, s0
	s_delay_alu instid0(SALU_CYCLE_1)
	s_xor_b32 s0, exec_lo, s9
; %bb.646:                              ;   in Loop: Header=BB420_515 Depth=1
	v_bfe_u32 v8, v65, 16, 1
	s_delay_alu instid0(VALU_DEP_1)
	v_add3_u32 v8, v65, v8, 0x7fff
                                        ; implicit-def: $vgpr65
; %bb.647:                              ;   in Loop: Header=BB420_515 Depth=1
	s_and_not1_saveexec_b32 s9, s0
; %bb.648:                              ;   in Loop: Header=BB420_515 Depth=1
	v_and_b32_e32 v8, 0xffff, v65
	v_or_b32_e32 v68, 0x10000, v65
	s_delay_alu instid0(VALU_DEP_2) | instskip(NEXT) | instid1(VALU_DEP_1)
	v_cmp_eq_u32_e64 s0, 0, v8
	v_cndmask_b32_e64 v8, v68, v65, s0
; %bb.649:                              ;   in Loop: Header=BB420_515 Depth=1
	s_or_b32 exec_lo, exec_lo, s9
	v_and_b32_e32 v65, 0xffff0000, v28
	v_lshlrev_b32_e32 v28, 16, v66
	s_delay_alu instid0(VALU_DEP_1) | instskip(NEXT) | instid1(VALU_DEP_1)
	v_mul_f32_e32 v66, v65, v28
	v_and_b32_e32 v28, 0x7f800000, v66
	s_delay_alu instid0(VALU_DEP_1) | instskip(NEXT) | instid1(VALU_DEP_1)
	v_cmp_ne_u32_e64 s0, 0x7f800000, v28
                                        ; implicit-def: $vgpr28
	s_and_saveexec_b32 s9, s0
	s_delay_alu instid0(SALU_CYCLE_1)
	s_xor_b32 s0, exec_lo, s9
; %bb.650:                              ;   in Loop: Header=BB420_515 Depth=1
	v_bfe_u32 v28, v66, 16, 1
	s_delay_alu instid0(VALU_DEP_1)
	v_add3_u32 v28, v66, v28, 0x7fff
                                        ; implicit-def: $vgpr66
; %bb.651:                              ;   in Loop: Header=BB420_515 Depth=1
	s_and_not1_saveexec_b32 s9, s0
; %bb.652:                              ;   in Loop: Header=BB420_515 Depth=1
	v_and_b32_e32 v28, 0xffff, v66
	v_or_b32_e32 v68, 0x10000, v66
	s_delay_alu instid0(VALU_DEP_2) | instskip(NEXT) | instid1(VALU_DEP_1)
	v_cmp_eq_u32_e64 s0, 0, v28
	v_cndmask_b32_e64 v28, v68, v66, s0
; %bb.653:                              ;   in Loop: Header=BB420_515 Depth=1
	s_or_b32 exec_lo, exec_lo, s9
	v_and_b32_e32 v66, 0xffff0000, v29
	v_lshlrev_b32_e32 v29, 16, v67
	s_delay_alu instid0(VALU_DEP_1) | instskip(NEXT) | instid1(VALU_DEP_1)
	v_mul_f32_e32 v67, v66, v29
	v_and_b32_e32 v29, 0x7f800000, v67
	s_delay_alu instid0(VALU_DEP_1) | instskip(NEXT) | instid1(VALU_DEP_1)
	v_cmp_ne_u32_e64 s0, 0x7f800000, v29
                                        ; implicit-def: $vgpr29
	s_and_saveexec_b32 s9, s0
	s_delay_alu instid0(SALU_CYCLE_1)
	s_xor_b32 s0, exec_lo, s9
; %bb.654:                              ;   in Loop: Header=BB420_515 Depth=1
	v_bfe_u32 v29, v67, 16, 1
	s_delay_alu instid0(VALU_DEP_1)
	v_add3_u32 v29, v67, v29, 0x7fff
                                        ; implicit-def: $vgpr67
; %bb.655:                              ;   in Loop: Header=BB420_515 Depth=1
	s_and_not1_saveexec_b32 s9, s0
; %bb.656:                              ;   in Loop: Header=BB420_515 Depth=1
	v_and_b32_e32 v29, 0xffff, v67
	v_or_b32_e32 v68, 0x10000, v67
	s_delay_alu instid0(VALU_DEP_2) | instskip(NEXT) | instid1(VALU_DEP_1)
	v_cmp_eq_u32_e64 s0, 0, v29
	v_cndmask_b32_e64 v29, v68, v67, s0
; %bb.657:                              ;   in Loop: Header=BB420_515 Depth=1
	s_or_b32 exec_lo, exec_lo, s9
	v_and_b32_e32 v67, 0xffff0000, v36
	v_lshlrev_b32_e32 v9, 16, v9
	s_delay_alu instid0(VALU_DEP_1) | instskip(NEXT) | instid1(VALU_DEP_1)
	v_mul_f32_e32 v9, v67, v9
	v_and_b32_e32 v36, 0x7f800000, v9
	s_delay_alu instid0(VALU_DEP_1) | instskip(NEXT) | instid1(VALU_DEP_1)
	v_cmp_ne_u32_e64 s0, 0x7f800000, v36
                                        ; implicit-def: $vgpr36
	s_and_saveexec_b32 s9, s0
	s_delay_alu instid0(SALU_CYCLE_1)
	s_xor_b32 s0, exec_lo, s9
; %bb.658:                              ;   in Loop: Header=BB420_515 Depth=1
	v_bfe_u32 v36, v9, 16, 1
	s_delay_alu instid0(VALU_DEP_1)
	v_add3_u32 v36, v9, v36, 0x7fff
                                        ; implicit-def: $vgpr9
; %bb.659:                              ;   in Loop: Header=BB420_515 Depth=1
	s_and_not1_saveexec_b32 s9, s0
; %bb.660:                              ;   in Loop: Header=BB420_515 Depth=1
	v_and_b32_e32 v36, 0xffff, v9
	v_or_b32_e32 v68, 0x10000, v9
	s_delay_alu instid0(VALU_DEP_2) | instskip(NEXT) | instid1(VALU_DEP_1)
	v_cmp_eq_u32_e64 s0, 0, v36
	v_cndmask_b32_e64 v36, v68, v9, s0
; %bb.661:                              ;   in Loop: Header=BB420_515 Depth=1
	s_or_b32 exec_lo, exec_lo, s9
	v_and_b32_e32 v68, 0xffff0000, v37
	v_lshlrev_b32_e32 v7, 16, v7
                                        ; implicit-def: $vgpr37
	s_delay_alu instid0(VALU_DEP_1) | instskip(NEXT) | instid1(VALU_DEP_1)
	v_mul_f32_e32 v7, v68, v7
	v_and_b32_e32 v9, 0x7f800000, v7
	s_delay_alu instid0(VALU_DEP_1) | instskip(NEXT) | instid1(VALU_DEP_1)
	v_cmp_ne_u32_e64 s0, 0x7f800000, v9
	s_and_saveexec_b32 s9, s0
	s_delay_alu instid0(SALU_CYCLE_1)
	s_xor_b32 s0, exec_lo, s9
; %bb.662:                              ;   in Loop: Header=BB420_515 Depth=1
	v_bfe_u32 v9, v7, 16, 1
	s_delay_alu instid0(VALU_DEP_1)
	v_add3_u32 v37, v7, v9, 0x7fff
                                        ; implicit-def: $vgpr7
; %bb.663:                              ;   in Loop: Header=BB420_515 Depth=1
	s_and_not1_saveexec_b32 s9, s0
; %bb.664:                              ;   in Loop: Header=BB420_515 Depth=1
	v_and_b32_e32 v9, 0xffff, v7
	v_or_b32_e32 v37, 0x10000, v7
	s_delay_alu instid0(VALU_DEP_2) | instskip(NEXT) | instid1(VALU_DEP_1)
	v_cmp_eq_u32_e64 s0, 0, v9
	v_cndmask_b32_e64 v37, v37, v7, s0
; %bb.665:                              ;   in Loop: Header=BB420_515 Depth=1
	s_or_b32 exec_lo, exec_lo, s9
	v_and_b32_e32 v69, 0xffff0000, v38
	v_lshlrev_b32_e32 v6, 16, v6
                                        ; implicit-def: $vgpr38
	s_delay_alu instid0(VALU_DEP_1) | instskip(NEXT) | instid1(VALU_DEP_1)
	v_mul_f32_e32 v6, v69, v6
	v_and_b32_e32 v7, 0x7f800000, v6
	s_delay_alu instid0(VALU_DEP_1) | instskip(NEXT) | instid1(VALU_DEP_1)
	v_cmp_ne_u32_e64 s0, 0x7f800000, v7
	s_and_saveexec_b32 s9, s0
	s_delay_alu instid0(SALU_CYCLE_1)
	s_xor_b32 s0, exec_lo, s9
; %bb.666:                              ;   in Loop: Header=BB420_515 Depth=1
	v_bfe_u32 v7, v6, 16, 1
	s_delay_alu instid0(VALU_DEP_1)
	v_add3_u32 v38, v6, v7, 0x7fff
                                        ; implicit-def: $vgpr6
; %bb.667:                              ;   in Loop: Header=BB420_515 Depth=1
	s_and_not1_saveexec_b32 s9, s0
; %bb.668:                              ;   in Loop: Header=BB420_515 Depth=1
	v_and_b32_e32 v7, 0xffff, v6
	v_or_b32_e32 v9, 0x10000, v6
	s_delay_alu instid0(VALU_DEP_2) | instskip(NEXT) | instid1(VALU_DEP_1)
	v_cmp_eq_u32_e64 s0, 0, v7
	v_cndmask_b32_e64 v38, v9, v6, s0
; %bb.669:                              ;   in Loop: Header=BB420_515 Depth=1
	s_or_b32 exec_lo, exec_lo, s9
	v_and_b32_e32 v70, 0xffff0000, v39
	v_lshlrev_b32_e32 v3, 16, v3
                                        ; implicit-def: $vgpr39
	s_delay_alu instid0(VALU_DEP_1) | instskip(NEXT) | instid1(VALU_DEP_1)
	v_mul_f32_e32 v3, v70, v3
	v_and_b32_e32 v6, 0x7f800000, v3
	s_delay_alu instid0(VALU_DEP_1) | instskip(NEXT) | instid1(VALU_DEP_1)
	v_cmp_ne_u32_e64 s0, 0x7f800000, v6
	s_and_saveexec_b32 s9, s0
	s_delay_alu instid0(SALU_CYCLE_1)
	s_xor_b32 s0, exec_lo, s9
; %bb.670:                              ;   in Loop: Header=BB420_515 Depth=1
	v_bfe_u32 v6, v3, 16, 1
	s_delay_alu instid0(VALU_DEP_1)
	v_add3_u32 v39, v3, v6, 0x7fff
                                        ; implicit-def: $vgpr3
; %bb.671:                              ;   in Loop: Header=BB420_515 Depth=1
	s_and_not1_saveexec_b32 s9, s0
; %bb.672:                              ;   in Loop: Header=BB420_515 Depth=1
	v_and_b32_e32 v6, 0xffff, v3
	v_or_b32_e32 v7, 0x10000, v3
	s_delay_alu instid0(VALU_DEP_2) | instskip(NEXT) | instid1(VALU_DEP_1)
	v_cmp_eq_u32_e64 s0, 0, v6
	v_cndmask_b32_e64 v39, v7, v3, s0
; %bb.673:                              ;   in Loop: Header=BB420_515 Depth=1
	s_or_b32 exec_lo, exec_lo, s9
	v_and_b32_e32 v71, 0xffff0000, v48
	v_lshlrev_b32_e32 v2, 16, v2
                                        ; implicit-def: $vgpr48
	s_delay_alu instid0(VALU_DEP_1) | instskip(NEXT) | instid1(VALU_DEP_1)
	v_mul_f32_e32 v2, v71, v2
	v_and_b32_e32 v3, 0x7f800000, v2
	s_delay_alu instid0(VALU_DEP_1) | instskip(NEXT) | instid1(VALU_DEP_1)
	v_cmp_ne_u32_e64 s0, 0x7f800000, v3
	s_and_saveexec_b32 s9, s0
	s_delay_alu instid0(SALU_CYCLE_1)
	s_xor_b32 s0, exec_lo, s9
; %bb.674:                              ;   in Loop: Header=BB420_515 Depth=1
	v_bfe_u32 v3, v2, 16, 1
	s_delay_alu instid0(VALU_DEP_1)
	v_add3_u32 v48, v2, v3, 0x7fff
                                        ; implicit-def: $vgpr2
; %bb.675:                              ;   in Loop: Header=BB420_515 Depth=1
	s_and_not1_saveexec_b32 s9, s0
; %bb.676:                              ;   in Loop: Header=BB420_515 Depth=1
	v_and_b32_e32 v3, 0xffff, v2
	v_or_b32_e32 v6, 0x10000, v2
	s_delay_alu instid0(VALU_DEP_2) | instskip(NEXT) | instid1(VALU_DEP_1)
	v_cmp_eq_u32_e64 s0, 0, v3
	v_cndmask_b32_e64 v48, v6, v2, s0
; %bb.677:                              ;   in Loop: Header=BB420_515 Depth=1
	s_or_b32 exec_lo, exec_lo, s9
	flat_load_b64 v[2:3], v[0:1] offset:256
	s_mov_b32 s9, exec_lo
	s_waitcnt vmcnt(0) lgkmcnt(0)
	v_dual_mov_b32 v6, 0 :: v_dual_and_b32 v7, 0xff, v2
	s_delay_alu instid0(VALU_DEP_1)
	v_cmpx_ne_u16_e32 0, v7
	s_cbranch_execz .LBB420_685
; %bb.678:                              ;   in Loop: Header=BB420_515 Depth=1
	v_bfrev_b32_e32 v6, 1
	s_mov_b32 s12, exec_lo
	v_cmpx_ne_u16_e32 0x80, v7
	s_cbranch_execz .LBB420_684
; %bb.679:                              ;   in Loop: Header=BB420_515 Depth=1
	v_and_b32_e32 v7, 0x7f, v2
	v_mov_b32_e32 v6, 0x7f800001
	s_mov_b32 s13, exec_lo
	s_delay_alu instid0(VALU_DEP_2)
	v_cmpx_ne_u32_e32 0x7f, v7
	s_cbranch_execz .LBB420_683
; %bb.680:                              ;   in Loop: Header=BB420_515 Depth=1
	v_lshrrev_b32_e32 v9, 3, v7
	v_cmp_gt_u32_e64 s0, 8, v7
	v_dual_mov_b32 v7, v3 :: v_dual_mov_b32 v6, v2
	s_delay_alu instid0(VALU_DEP_2)
	s_and_saveexec_b32 s15, s0
; %bb.681:                              ;   in Loop: Header=BB420_515 Depth=1
	v_and_b32_e32 v6, 7, v2
	s_delay_alu instid0(VALU_DEP_1) | instskip(NEXT) | instid1(VALU_DEP_1)
	v_clz_i32_u32_e32 v6, v6
	v_min_u32_e32 v9, 32, v6
	s_delay_alu instid0(VALU_DEP_1) | instskip(SKIP_1) | instid1(VALU_DEP_2)
	v_subrev_nc_u32_e32 v6, 28, v9
	v_sub_nc_u32_e32 v9, 29, v9
	v_lshlrev_b64 v[6:7], v6, v[2:3]
; %bb.682:                              ;   in Loop: Header=BB420_515 Depth=1
	s_or_b32 exec_lo, exec_lo, s15
	s_delay_alu instid0(VALU_DEP_1) | instskip(SKIP_2) | instid1(VALU_DEP_3)
	v_lshlrev_b32_e32 v6, 20, v6
	v_lshlrev_b32_e32 v7, 24, v2
	v_lshl_add_u32 v9, v9, 23, 0x3c000000
	v_and_b32_e32 v6, 0x700000, v6
	s_delay_alu instid0(VALU_DEP_3) | instskip(NEXT) | instid1(VALU_DEP_1)
	v_and_b32_e32 v7, 0x80000000, v7
	v_or3_b32 v6, v6, v7, v9
.LBB420_683:                            ;   in Loop: Header=BB420_515 Depth=1
	s_or_b32 exec_lo, exec_lo, s13
.LBB420_684:                            ;   in Loop: Header=BB420_515 Depth=1
	s_delay_alu instid0(SALU_CYCLE_1)
	s_or_b32 exec_lo, exec_lo, s12
.LBB420_685:                            ;   in Loop: Header=BB420_515 Depth=1
	s_delay_alu instid0(SALU_CYCLE_1) | instskip(NEXT) | instid1(VALU_DEP_1)
	s_or_b32 exec_lo, exec_lo, s9
	v_mul_f32_e32 v6, v26, v6
                                        ; implicit-def: $vgpr80
	s_delay_alu instid0(VALU_DEP_1) | instskip(NEXT) | instid1(VALU_DEP_1)
	v_and_b32_e32 v7, 0x7f800000, v6
	v_cmp_ne_u32_e64 s0, 0x7f800000, v7
	s_delay_alu instid0(VALU_DEP_1) | instskip(NEXT) | instid1(SALU_CYCLE_1)
	s_and_saveexec_b32 s9, s0
	s_xor_b32 s0, exec_lo, s9
; %bb.686:                              ;   in Loop: Header=BB420_515 Depth=1
	v_bfe_u32 v7, v6, 16, 1
	s_delay_alu instid0(VALU_DEP_1)
	v_add3_u32 v80, v6, v7, 0x7fff
                                        ; implicit-def: $vgpr6
; %bb.687:                              ;   in Loop: Header=BB420_515 Depth=1
	s_and_not1_saveexec_b32 s9, s0
; %bb.688:                              ;   in Loop: Header=BB420_515 Depth=1
	v_and_b32_e32 v7, 0xffff, v6
	v_or_b32_e32 v9, 0x10000, v6
	s_delay_alu instid0(VALU_DEP_2) | instskip(NEXT) | instid1(VALU_DEP_1)
	v_cmp_eq_u32_e64 s0, 0, v7
	v_cndmask_b32_e64 v80, v9, v6, s0
; %bb.689:                              ;   in Loop: Header=BB420_515 Depth=1
	s_or_b32 exec_lo, exec_lo, s9
	v_lshrrev_b16 v7, 8, v2
	v_mov_b32_e32 v6, 0
	s_mov_b32 s9, exec_lo
	s_delay_alu instid0(VALU_DEP_2)
	v_cmpx_ne_u16_e32 0, v7
	s_cbranch_execz .LBB420_697
; %bb.690:                              ;   in Loop: Header=BB420_515 Depth=1
	v_bfrev_b32_e32 v6, 1
	s_mov_b32 s12, exec_lo
	v_cmpx_ne_u16_e32 0x80, v7
	s_cbranch_execz .LBB420_696
; %bb.691:                              ;   in Loop: Header=BB420_515 Depth=1
	v_and_b32_e32 v9, 0xffff, v7
	v_mov_b32_e32 v6, 0x7f800001
	s_mov_b32 s13, exec_lo
	s_delay_alu instid0(VALU_DEP_2) | instskip(NEXT) | instid1(VALU_DEP_1)
	v_and_b32_e32 v7, 0x7f, v9
	v_cmpx_ne_u32_e32 0x7f, v7
	s_cbranch_execz .LBB420_695
; %bb.692:                              ;   in Loop: Header=BB420_515 Depth=1
	v_and_b32_e32 v9, 7, v9
	v_lshrrev_b32_e32 v6, 3, v7
	s_mov_b32 s15, exec_lo
	v_cmpx_gt_u32_e32 8, v7
; %bb.693:                              ;   in Loop: Header=BB420_515 Depth=1
	s_delay_alu instid0(VALU_DEP_3) | instskip(NEXT) | instid1(VALU_DEP_1)
	v_clz_i32_u32_e32 v6, v9
	v_min_u32_e32 v6, 32, v6
	s_delay_alu instid0(VALU_DEP_1) | instskip(SKIP_1) | instid1(VALU_DEP_2)
	v_subrev_nc_u32_e32 v7, 28, v6
	v_sub_nc_u32_e32 v6, 29, v6
	v_lshlrev_b64 v[81:82], v7, v[9:10]
	s_delay_alu instid0(VALU_DEP_1)
	v_and_b32_e32 v9, 7, v81
; %bb.694:                              ;   in Loop: Header=BB420_515 Depth=1
	s_or_b32 exec_lo, exec_lo, s15
	v_lshlrev_b32_e32 v7, 16, v2
	s_delay_alu instid0(VALU_DEP_2) | instskip(SKIP_1) | instid1(VALU_DEP_3)
	v_lshlrev_b32_e32 v9, 20, v9
	v_lshl_add_u32 v6, v6, 23, 0x3c000000
	v_and_b32_e32 v7, 0x80000000, v7
	s_delay_alu instid0(VALU_DEP_1)
	v_or3_b32 v6, v9, v7, v6
.LBB420_695:                            ;   in Loop: Header=BB420_515 Depth=1
	s_or_b32 exec_lo, exec_lo, s13
.LBB420_696:                            ;   in Loop: Header=BB420_515 Depth=1
	s_delay_alu instid0(SALU_CYCLE_1)
	s_or_b32 exec_lo, exec_lo, s12
.LBB420_697:                            ;   in Loop: Header=BB420_515 Depth=1
	s_delay_alu instid0(SALU_CYCLE_1) | instskip(NEXT) | instid1(VALU_DEP_1)
	s_or_b32 exec_lo, exec_lo, s9
	v_mul_f32_e32 v6, v26, v6
                                        ; implicit-def: $vgpr81
	s_delay_alu instid0(VALU_DEP_1) | instskip(NEXT) | instid1(VALU_DEP_1)
	v_and_b32_e32 v7, 0x7f800000, v6
	v_cmp_ne_u32_e64 s0, 0x7f800000, v7
	s_delay_alu instid0(VALU_DEP_1) | instskip(NEXT) | instid1(SALU_CYCLE_1)
	s_and_saveexec_b32 s9, s0
	s_xor_b32 s0, exec_lo, s9
; %bb.698:                              ;   in Loop: Header=BB420_515 Depth=1
	v_bfe_u32 v7, v6, 16, 1
	s_delay_alu instid0(VALU_DEP_1)
	v_add3_u32 v81, v6, v7, 0x7fff
                                        ; implicit-def: $vgpr6
; %bb.699:                              ;   in Loop: Header=BB420_515 Depth=1
	s_and_not1_saveexec_b32 s9, s0
; %bb.700:                              ;   in Loop: Header=BB420_515 Depth=1
	v_and_b32_e32 v7, 0xffff, v6
	v_or_b32_e32 v9, 0x10000, v6
	s_delay_alu instid0(VALU_DEP_2) | instskip(NEXT) | instid1(VALU_DEP_1)
	v_cmp_eq_u32_e64 s0, 0, v7
	v_cndmask_b32_e64 v81, v9, v6, s0
; %bb.701:                              ;   in Loop: Header=BB420_515 Depth=1
	s_or_b32 exec_lo, exec_lo, s9
	v_lshrrev_b32_e32 v6, 16, v2
	v_mov_b32_e32 v7, 0
	s_mov_b32 s9, exec_lo
	s_delay_alu instid0(VALU_DEP_2) | instskip(NEXT) | instid1(VALU_DEP_1)
	v_and_b32_e32 v9, 0xff, v6
	v_cmpx_ne_u16_e32 0, v9
	s_cbranch_execz .LBB420_709
; %bb.702:                              ;   in Loop: Header=BB420_515 Depth=1
	v_bfrev_b32_e32 v7, 1
	s_mov_b32 s12, exec_lo
	v_cmpx_ne_u16_e32 0x80, v9
	s_cbranch_execz .LBB420_708
; %bb.703:                              ;   in Loop: Header=BB420_515 Depth=1
	v_bfe_u32 v82, v2, 16, 7
	v_mov_b32_e32 v7, 0x7f800001
	s_mov_b32 s13, exec_lo
	s_delay_alu instid0(VALU_DEP_2)
	v_cmpx_ne_u32_e32 0x7f, v82
	s_cbranch_execz .LBB420_707
; %bb.704:                              ;   in Loop: Header=BB420_515 Depth=1
	v_and_b32_e32 v9, 7, v6
	v_lshrrev_b32_e32 v7, 3, v82
	s_mov_b32 s15, exec_lo
	v_cmpx_gt_u32_e32 8, v82
; %bb.705:                              ;   in Loop: Header=BB420_515 Depth=1
	s_delay_alu instid0(VALU_DEP_3) | instskip(NEXT) | instid1(VALU_DEP_1)
	v_clz_i32_u32_e32 v7, v9
	v_min_u32_e32 v7, 32, v7
	s_delay_alu instid0(VALU_DEP_1) | instskip(SKIP_1) | instid1(VALU_DEP_2)
	v_subrev_nc_u32_e32 v82, 28, v7
	v_sub_nc_u32_e32 v7, 29, v7
	v_lshlrev_b64 v[82:83], v82, v[9:10]
	s_delay_alu instid0(VALU_DEP_1)
	v_and_b32_e32 v9, 7, v82
; %bb.706:                              ;   in Loop: Header=BB420_515 Depth=1
	s_or_b32 exec_lo, exec_lo, s15
	v_lshlrev_b32_e32 v6, 24, v6
	s_delay_alu instid0(VALU_DEP_2) | instskip(SKIP_1) | instid1(VALU_DEP_3)
	v_lshlrev_b32_e32 v9, 20, v9
	v_lshl_add_u32 v7, v7, 23, 0x3c000000
	v_and_b32_e32 v6, 0x80000000, v6
	s_delay_alu instid0(VALU_DEP_1)
	v_or3_b32 v7, v9, v6, v7
.LBB420_707:                            ;   in Loop: Header=BB420_515 Depth=1
	s_or_b32 exec_lo, exec_lo, s13
.LBB420_708:                            ;   in Loop: Header=BB420_515 Depth=1
	s_delay_alu instid0(SALU_CYCLE_1)
	s_or_b32 exec_lo, exec_lo, s12
.LBB420_709:                            ;   in Loop: Header=BB420_515 Depth=1
	s_delay_alu instid0(SALU_CYCLE_1) | instskip(NEXT) | instid1(VALU_DEP_1)
	s_or_b32 exec_lo, exec_lo, s9
	v_mul_f32_e32 v6, v26, v7
                                        ; implicit-def: $vgpr82
	s_delay_alu instid0(VALU_DEP_1) | instskip(NEXT) | instid1(VALU_DEP_1)
	v_and_b32_e32 v7, 0x7f800000, v6
	v_cmp_ne_u32_e64 s0, 0x7f800000, v7
	s_delay_alu instid0(VALU_DEP_1) | instskip(NEXT) | instid1(SALU_CYCLE_1)
	s_and_saveexec_b32 s9, s0
	s_xor_b32 s0, exec_lo, s9
; %bb.710:                              ;   in Loop: Header=BB420_515 Depth=1
	v_bfe_u32 v7, v6, 16, 1
	s_delay_alu instid0(VALU_DEP_1)
	v_add3_u32 v82, v6, v7, 0x7fff
                                        ; implicit-def: $vgpr6
; %bb.711:                              ;   in Loop: Header=BB420_515 Depth=1
	s_and_not1_saveexec_b32 s9, s0
; %bb.712:                              ;   in Loop: Header=BB420_515 Depth=1
	v_and_b32_e32 v7, 0xffff, v6
	v_or_b32_e32 v9, 0x10000, v6
	s_delay_alu instid0(VALU_DEP_2) | instskip(NEXT) | instid1(VALU_DEP_1)
	v_cmp_eq_u32_e64 s0, 0, v7
	v_cndmask_b32_e64 v82, v9, v6, s0
; %bb.713:                              ;   in Loop: Header=BB420_515 Depth=1
	s_or_b32 exec_lo, exec_lo, s9
	v_mov_b32_e32 v7, 0
	s_mov_b32 s9, exec_lo
	v_cmpx_lt_u32_e32 0xffffff, v2
	s_cbranch_execz .LBB420_721
; %bb.714:                              ;   in Loop: Header=BB420_515 Depth=1
	v_lshrrev_b32_e32 v6, 24, v2
	v_bfrev_b32_e32 v7, 1
	s_mov_b32 s12, exec_lo
	s_delay_alu instid0(VALU_DEP_2)
	v_cmpx_ne_u32_e32 0x80, v6
	s_cbranch_execz .LBB420_720
; %bb.715:                              ;   in Loop: Header=BB420_515 Depth=1
	v_bfe_u32 v83, v2, 24, 7
	v_mov_b32_e32 v7, 0x7f800001
	s_mov_b32 s13, exec_lo
	s_delay_alu instid0(VALU_DEP_2)
	v_cmpx_ne_u32_e32 0x7f, v83
	s_cbranch_execz .LBB420_719
; %bb.716:                              ;   in Loop: Header=BB420_515 Depth=1
	v_and_b32_e32 v9, 7, v6
	v_lshrrev_b32_e32 v7, 3, v83
	s_mov_b32 s15, exec_lo
	v_cmpx_gt_u32_e32 8, v83
; %bb.717:                              ;   in Loop: Header=BB420_515 Depth=1
	s_delay_alu instid0(VALU_DEP_3) | instskip(NEXT) | instid1(VALU_DEP_1)
	v_clz_i32_u32_e32 v7, v9
	v_min_u32_e32 v7, 32, v7
	s_delay_alu instid0(VALU_DEP_1) | instskip(SKIP_1) | instid1(VALU_DEP_2)
	v_subrev_nc_u32_e32 v83, 28, v7
	v_sub_nc_u32_e32 v7, 29, v7
	v_lshlrev_b64 v[83:84], v83, v[9:10]
	s_delay_alu instid0(VALU_DEP_1)
	v_and_b32_e32 v9, 7, v83
; %bb.718:                              ;   in Loop: Header=BB420_515 Depth=1
	s_or_b32 exec_lo, exec_lo, s15
	v_lshlrev_b32_e32 v6, 24, v6
	s_delay_alu instid0(VALU_DEP_2) | instskip(SKIP_1) | instid1(VALU_DEP_3)
	v_lshlrev_b32_e32 v9, 20, v9
	v_lshl_add_u32 v7, v7, 23, 0x3c000000
	v_and_b32_e32 v6, 0x80000000, v6
	s_delay_alu instid0(VALU_DEP_1)
	v_or3_b32 v7, v9, v6, v7
.LBB420_719:                            ;   in Loop: Header=BB420_515 Depth=1
	s_or_b32 exec_lo, exec_lo, s13
.LBB420_720:                            ;   in Loop: Header=BB420_515 Depth=1
	s_delay_alu instid0(SALU_CYCLE_1)
	s_or_b32 exec_lo, exec_lo, s12
.LBB420_721:                            ;   in Loop: Header=BB420_515 Depth=1
	s_delay_alu instid0(SALU_CYCLE_1) | instskip(NEXT) | instid1(VALU_DEP_1)
	s_or_b32 exec_lo, exec_lo, s9
	v_mul_f32_e32 v6, v26, v7
                                        ; implicit-def: $vgpr83
	s_delay_alu instid0(VALU_DEP_1) | instskip(NEXT) | instid1(VALU_DEP_1)
	v_and_b32_e32 v7, 0x7f800000, v6
	v_cmp_ne_u32_e64 s0, 0x7f800000, v7
	s_delay_alu instid0(VALU_DEP_1) | instskip(NEXT) | instid1(SALU_CYCLE_1)
	s_and_saveexec_b32 s9, s0
	s_xor_b32 s0, exec_lo, s9
; %bb.722:                              ;   in Loop: Header=BB420_515 Depth=1
	v_bfe_u32 v7, v6, 16, 1
	s_delay_alu instid0(VALU_DEP_1)
	v_add3_u32 v83, v6, v7, 0x7fff
                                        ; implicit-def: $vgpr6
; %bb.723:                              ;   in Loop: Header=BB420_515 Depth=1
	s_and_not1_saveexec_b32 s9, s0
; %bb.724:                              ;   in Loop: Header=BB420_515 Depth=1
	v_and_b32_e32 v7, 0xffff, v6
	v_or_b32_e32 v9, 0x10000, v6
	s_delay_alu instid0(VALU_DEP_2) | instskip(NEXT) | instid1(VALU_DEP_1)
	v_cmp_eq_u32_e64 s0, 0, v7
	v_cndmask_b32_e64 v83, v9, v6, s0
; %bb.725:                              ;   in Loop: Header=BB420_515 Depth=1
	s_or_b32 exec_lo, exec_lo, s9
	v_dual_mov_b32 v6, 0 :: v_dual_and_b32 v7, 0xff, v3
	v_mov_b32_e32 v9, v3
	s_mov_b32 s9, exec_lo
	s_delay_alu instid0(VALU_DEP_2)
	v_cmpx_ne_u16_e32 0, v7
	s_cbranch_execz .LBB420_733
; %bb.726:                              ;   in Loop: Header=BB420_515 Depth=1
	v_bfrev_b32_e32 v6, 1
	s_mov_b32 s12, exec_lo
	v_cmpx_ne_u16_e32 0x80, v7
	s_cbranch_execz .LBB420_732
; %bb.727:                              ;   in Loop: Header=BB420_515 Depth=1
	v_and_b32_e32 v7, 0x7f, v3
	v_mov_b32_e32 v6, 0x7f800001
	s_mov_b32 s13, exec_lo
	s_delay_alu instid0(VALU_DEP_2)
	v_cmpx_ne_u32_e32 0x7f, v7
	s_cbranch_execz .LBB420_731
; %bb.728:                              ;   in Loop: Header=BB420_515 Depth=1
	v_lshrrev_b32_e32 v84, 3, v7
	v_cmp_gt_u32_e64 s0, 8, v7
	v_dual_mov_b32 v6, v9 :: v_dual_mov_b32 v7, v10
	s_delay_alu instid0(VALU_DEP_2)
	s_and_saveexec_b32 s15, s0
; %bb.729:                              ;   in Loop: Header=BB420_515 Depth=1
	v_and_b32_e32 v6, 7, v3
	s_delay_alu instid0(VALU_DEP_1) | instskip(NEXT) | instid1(VALU_DEP_1)
	v_clz_i32_u32_e32 v6, v6
	v_min_u32_e32 v84, 32, v6
	s_delay_alu instid0(VALU_DEP_1) | instskip(SKIP_1) | instid1(VALU_DEP_2)
	v_subrev_nc_u32_e32 v6, 28, v84
	v_sub_nc_u32_e32 v84, 29, v84
	v_lshlrev_b64 v[6:7], v6, v[9:10]
; %bb.730:                              ;   in Loop: Header=BB420_515 Depth=1
	s_or_b32 exec_lo, exec_lo, s15
	s_delay_alu instid0(VALU_DEP_1) | instskip(SKIP_2) | instid1(VALU_DEP_3)
	v_lshlrev_b32_e32 v6, 20, v6
	v_lshlrev_b32_e32 v7, 24, v9
	v_lshl_add_u32 v84, v84, 23, 0x3c000000
	v_and_b32_e32 v6, 0x700000, v6
	s_delay_alu instid0(VALU_DEP_3) | instskip(NEXT) | instid1(VALU_DEP_1)
	v_and_b32_e32 v7, 0x80000000, v7
	v_or3_b32 v6, v6, v7, v84
.LBB420_731:                            ;   in Loop: Header=BB420_515 Depth=1
	s_or_b32 exec_lo, exec_lo, s13
.LBB420_732:                            ;   in Loop: Header=BB420_515 Depth=1
	s_delay_alu instid0(SALU_CYCLE_1)
	s_or_b32 exec_lo, exec_lo, s12
.LBB420_733:                            ;   in Loop: Header=BB420_515 Depth=1
	s_delay_alu instid0(SALU_CYCLE_1) | instskip(NEXT) | instid1(VALU_DEP_1)
	s_or_b32 exec_lo, exec_lo, s9
	v_mul_f32_e32 v6, v26, v6
                                        ; implicit-def: $vgpr84
	s_delay_alu instid0(VALU_DEP_1) | instskip(NEXT) | instid1(VALU_DEP_1)
	v_and_b32_e32 v7, 0x7f800000, v6
	v_cmp_ne_u32_e64 s0, 0x7f800000, v7
	s_delay_alu instid0(VALU_DEP_1) | instskip(NEXT) | instid1(SALU_CYCLE_1)
	s_and_saveexec_b32 s9, s0
	s_xor_b32 s0, exec_lo, s9
; %bb.734:                              ;   in Loop: Header=BB420_515 Depth=1
	v_bfe_u32 v7, v6, 16, 1
	s_delay_alu instid0(VALU_DEP_1)
	v_add3_u32 v84, v6, v7, 0x7fff
                                        ; implicit-def: $vgpr6
; %bb.735:                              ;   in Loop: Header=BB420_515 Depth=1
	s_and_not1_saveexec_b32 s9, s0
; %bb.736:                              ;   in Loop: Header=BB420_515 Depth=1
	v_and_b32_e32 v7, 0xffff, v6
	v_or_b32_e32 v84, 0x10000, v6
	s_delay_alu instid0(VALU_DEP_2) | instskip(NEXT) | instid1(VALU_DEP_1)
	v_cmp_eq_u32_e64 s0, 0, v7
	v_cndmask_b32_e64 v84, v84, v6, s0
; %bb.737:                              ;   in Loop: Header=BB420_515 Depth=1
	s_or_b32 exec_lo, exec_lo, s9
	v_lshrrev_b16 v7, 8, v9
	v_mov_b32_e32 v6, 0
	s_mov_b32 s9, exec_lo
	s_delay_alu instid0(VALU_DEP_2)
	v_cmpx_ne_u16_e32 0, v7
	s_cbranch_execz .LBB420_745
; %bb.738:                              ;   in Loop: Header=BB420_515 Depth=1
	v_bfrev_b32_e32 v6, 1
	s_mov_b32 s12, exec_lo
	v_cmpx_ne_u16_e32 0x80, v7
	s_cbranch_execz .LBB420_744
; %bb.739:                              ;   in Loop: Header=BB420_515 Depth=1
	v_and_b32_e32 v7, 0xffff, v7
	v_mov_b32_e32 v6, 0x7f800001
	s_mov_b32 s13, exec_lo
	s_delay_alu instid0(VALU_DEP_2) | instskip(NEXT) | instid1(VALU_DEP_1)
	v_and_b32_e32 v86, 0x7f, v7
	v_cmpx_ne_u32_e32 0x7f, v86
	s_cbranch_execz .LBB420_743
; %bb.740:                              ;   in Loop: Header=BB420_515 Depth=1
	v_dual_mov_b32 v7, v10 :: v_dual_and_b32 v6, 7, v7
	v_lshrrev_b32_e32 v85, 3, v86
	s_mov_b32 s15, exec_lo
	v_cmpx_gt_u32_e32 8, v86
; %bb.741:                              ;   in Loop: Header=BB420_515 Depth=1
	s_delay_alu instid0(VALU_DEP_3) | instskip(NEXT) | instid1(VALU_DEP_1)
	v_clz_i32_u32_e32 v85, v6
	v_min_u32_e32 v85, 32, v85
	s_delay_alu instid0(VALU_DEP_1) | instskip(SKIP_1) | instid1(VALU_DEP_2)
	v_subrev_nc_u32_e32 v86, 28, v85
	v_sub_nc_u32_e32 v85, 29, v85
	v_lshlrev_b64 v[6:7], v86, v[6:7]
	s_delay_alu instid0(VALU_DEP_1)
	v_and_b32_e32 v6, 7, v6
; %bb.742:                              ;   in Loop: Header=BB420_515 Depth=1
	s_or_b32 exec_lo, exec_lo, s15
	v_lshlrev_b32_e32 v7, 16, v9
	s_delay_alu instid0(VALU_DEP_2) | instskip(SKIP_1) | instid1(VALU_DEP_3)
	v_lshlrev_b32_e32 v6, 20, v6
	v_lshl_add_u32 v9, v85, 23, 0x3c000000
	v_and_b32_e32 v7, 0x80000000, v7
	s_delay_alu instid0(VALU_DEP_1)
	v_or3_b32 v6, v6, v7, v9
.LBB420_743:                            ;   in Loop: Header=BB420_515 Depth=1
	s_or_b32 exec_lo, exec_lo, s13
.LBB420_744:                            ;   in Loop: Header=BB420_515 Depth=1
	s_delay_alu instid0(SALU_CYCLE_1)
	s_or_b32 exec_lo, exec_lo, s12
.LBB420_745:                            ;   in Loop: Header=BB420_515 Depth=1
	s_delay_alu instid0(SALU_CYCLE_1) | instskip(NEXT) | instid1(VALU_DEP_1)
	s_or_b32 exec_lo, exec_lo, s9
	v_mul_f32_e32 v7, v26, v6
	s_delay_alu instid0(VALU_DEP_1) | instskip(NEXT) | instid1(VALU_DEP_1)
	v_and_b32_e32 v6, 0x7f800000, v7
	v_cmp_ne_u32_e64 s0, 0x7f800000, v6
                                        ; implicit-def: $vgpr6
	s_delay_alu instid0(VALU_DEP_1) | instskip(NEXT) | instid1(SALU_CYCLE_1)
	s_and_saveexec_b32 s9, s0
	s_xor_b32 s0, exec_lo, s9
; %bb.746:                              ;   in Loop: Header=BB420_515 Depth=1
	v_bfe_u32 v6, v7, 16, 1
	s_delay_alu instid0(VALU_DEP_1)
	v_add3_u32 v6, v7, v6, 0x7fff
                                        ; implicit-def: $vgpr7
; %bb.747:                              ;   in Loop: Header=BB420_515 Depth=1
	s_and_not1_saveexec_b32 s9, s0
; %bb.748:                              ;   in Loop: Header=BB420_515 Depth=1
	v_and_b32_e32 v6, 0xffff, v7
	v_or_b32_e32 v9, 0x10000, v7
	s_delay_alu instid0(VALU_DEP_2) | instskip(NEXT) | instid1(VALU_DEP_1)
	v_cmp_eq_u32_e64 s0, 0, v6
	v_cndmask_b32_e64 v6, v9, v7, s0
; %bb.749:                              ;   in Loop: Header=BB420_515 Depth=1
	s_or_b32 exec_lo, exec_lo, s9
	v_lshrrev_b32_e32 v7, 16, v3
	v_mov_b32_e32 v9, 0
	s_mov_b32 s9, exec_lo
	s_delay_alu instid0(VALU_DEP_2) | instskip(NEXT) | instid1(VALU_DEP_1)
	v_and_b32_e32 v85, 0xff, v7
	v_cmpx_ne_u16_e32 0, v85
	s_cbranch_execz .LBB420_757
; %bb.750:                              ;   in Loop: Header=BB420_515 Depth=1
	v_bfrev_b32_e32 v9, 1
	s_mov_b32 s12, exec_lo
	v_cmpx_ne_u16_e32 0x80, v85
	s_cbranch_execz .LBB420_756
; %bb.751:                              ;   in Loop: Header=BB420_515 Depth=1
	v_bfe_u32 v86, v3, 16, 7
	v_mov_b32_e32 v9, 0x7f800001
	s_mov_b32 s13, exec_lo
	s_delay_alu instid0(VALU_DEP_2)
	v_cmpx_ne_u32_e32 0x7f, v86
	s_cbranch_execz .LBB420_755
; %bb.752:                              ;   in Loop: Header=BB420_515 Depth=1
	v_and_b32_e32 v9, 7, v7
	v_lshrrev_b32_e32 v85, 3, v86
	s_mov_b32 s15, exec_lo
	v_cmpx_gt_u32_e32 8, v86
; %bb.753:                              ;   in Loop: Header=BB420_515 Depth=1
	s_delay_alu instid0(VALU_DEP_3) | instskip(NEXT) | instid1(VALU_DEP_1)
	v_clz_i32_u32_e32 v85, v9
	v_min_u32_e32 v85, 32, v85
	s_delay_alu instid0(VALU_DEP_1) | instskip(SKIP_1) | instid1(VALU_DEP_2)
	v_subrev_nc_u32_e32 v86, 28, v85
	v_sub_nc_u32_e32 v85, 29, v85
	v_lshlrev_b64 v[86:87], v86, v[9:10]
	s_delay_alu instid0(VALU_DEP_1)
	v_and_b32_e32 v9, 7, v86
; %bb.754:                              ;   in Loop: Header=BB420_515 Depth=1
	s_or_b32 exec_lo, exec_lo, s15
	v_lshlrev_b32_e32 v7, 24, v7
	s_delay_alu instid0(VALU_DEP_2) | instskip(SKIP_1) | instid1(VALU_DEP_3)
	v_lshlrev_b32_e32 v9, 20, v9
	v_lshl_add_u32 v85, v85, 23, 0x3c000000
	v_and_b32_e32 v7, 0x80000000, v7
	s_delay_alu instid0(VALU_DEP_1)
	v_or3_b32 v9, v9, v7, v85
.LBB420_755:                            ;   in Loop: Header=BB420_515 Depth=1
	s_or_b32 exec_lo, exec_lo, s13
.LBB420_756:                            ;   in Loop: Header=BB420_515 Depth=1
	s_delay_alu instid0(SALU_CYCLE_1)
	s_or_b32 exec_lo, exec_lo, s12
.LBB420_757:                            ;   in Loop: Header=BB420_515 Depth=1
	s_delay_alu instid0(SALU_CYCLE_1) | instskip(NEXT) | instid1(VALU_DEP_1)
	s_or_b32 exec_lo, exec_lo, s9
	v_mul_f32_e32 v7, v26, v9
                                        ; implicit-def: $vgpr85
	s_delay_alu instid0(VALU_DEP_1) | instskip(NEXT) | instid1(VALU_DEP_1)
	v_and_b32_e32 v9, 0x7f800000, v7
	v_cmp_ne_u32_e64 s0, 0x7f800000, v9
	s_delay_alu instid0(VALU_DEP_1) | instskip(NEXT) | instid1(SALU_CYCLE_1)
	s_and_saveexec_b32 s9, s0
	s_xor_b32 s0, exec_lo, s9
; %bb.758:                              ;   in Loop: Header=BB420_515 Depth=1
	v_bfe_u32 v9, v7, 16, 1
	s_delay_alu instid0(VALU_DEP_1)
	v_add3_u32 v85, v7, v9, 0x7fff
                                        ; implicit-def: $vgpr7
; %bb.759:                              ;   in Loop: Header=BB420_515 Depth=1
	s_and_not1_saveexec_b32 s9, s0
; %bb.760:                              ;   in Loop: Header=BB420_515 Depth=1
	v_and_b32_e32 v9, 0xffff, v7
	v_or_b32_e32 v85, 0x10000, v7
	s_delay_alu instid0(VALU_DEP_2) | instskip(NEXT) | instid1(VALU_DEP_1)
	v_cmp_eq_u32_e64 s0, 0, v9
	v_cndmask_b32_e64 v85, v85, v7, s0
; %bb.761:                              ;   in Loop: Header=BB420_515 Depth=1
	s_or_b32 exec_lo, exec_lo, s9
	v_mov_b32_e32 v7, 0
	s_mov_b32 s9, exec_lo
	v_cmpx_lt_u64_e64 s[2:3], v[2:3]
	s_cbranch_execz .LBB420_769
; %bb.762:                              ;   in Loop: Header=BB420_515 Depth=1
	v_lshrrev_b32_e32 v2, 24, v3
	v_bfrev_b32_e32 v7, 1
	s_mov_b32 s12, exec_lo
	s_delay_alu instid0(VALU_DEP_2)
	v_cmpx_ne_u32_e32 0x80, v2
	s_cbranch_execz .LBB420_768
; %bb.763:                              ;   in Loop: Header=BB420_515 Depth=1
	v_bfe_u32 v86, v3, 24, 7
	v_mov_b32_e32 v7, 0x7f800001
	s_mov_b32 s13, exec_lo
	s_delay_alu instid0(VALU_DEP_2)
	v_cmpx_ne_u32_e32 0x7f, v86
	s_cbranch_execz .LBB420_767
; %bb.764:                              ;   in Loop: Header=BB420_515 Depth=1
	v_and_b32_e32 v9, 7, v2
	v_lshrrev_b32_e32 v3, 3, v86
	s_mov_b32 s15, exec_lo
	v_cmpx_gt_u32_e32 8, v86
; %bb.765:                              ;   in Loop: Header=BB420_515 Depth=1
	s_delay_alu instid0(VALU_DEP_3) | instskip(NEXT) | instid1(VALU_DEP_1)
	v_clz_i32_u32_e32 v3, v9
	v_min_u32_e32 v3, 32, v3
	s_delay_alu instid0(VALU_DEP_1) | instskip(SKIP_1) | instid1(VALU_DEP_2)
	v_subrev_nc_u32_e32 v7, 28, v3
	v_sub_nc_u32_e32 v3, 29, v3
	v_lshlrev_b64 v[86:87], v7, v[9:10]
	s_delay_alu instid0(VALU_DEP_1)
	v_and_b32_e32 v9, 7, v86
; %bb.766:                              ;   in Loop: Header=BB420_515 Depth=1
	s_or_b32 exec_lo, exec_lo, s15
	v_lshlrev_b32_e32 v2, 24, v2
	s_delay_alu instid0(VALU_DEP_2) | instskip(SKIP_1) | instid1(VALU_DEP_3)
	v_lshlrev_b32_e32 v7, 20, v9
	v_lshl_add_u32 v3, v3, 23, 0x3c000000
	v_and_b32_e32 v2, 0x80000000, v2
	s_delay_alu instid0(VALU_DEP_1)
	v_or3_b32 v7, v7, v2, v3
.LBB420_767:                            ;   in Loop: Header=BB420_515 Depth=1
	s_or_b32 exec_lo, exec_lo, s13
.LBB420_768:                            ;   in Loop: Header=BB420_515 Depth=1
	s_delay_alu instid0(SALU_CYCLE_1)
	s_or_b32 exec_lo, exec_lo, s12
.LBB420_769:                            ;   in Loop: Header=BB420_515 Depth=1
	s_delay_alu instid0(SALU_CYCLE_1) | instskip(NEXT) | instid1(VALU_DEP_1)
	s_or_b32 exec_lo, exec_lo, s9
	v_mul_f32_e32 v3, v26, v7
	s_delay_alu instid0(VALU_DEP_1) | instskip(NEXT) | instid1(VALU_DEP_1)
	v_and_b32_e32 v2, 0x7f800000, v3
	v_cmp_ne_u32_e64 s0, 0x7f800000, v2
                                        ; implicit-def: $vgpr2
	s_delay_alu instid0(VALU_DEP_1) | instskip(NEXT) | instid1(SALU_CYCLE_1)
	s_and_saveexec_b32 s9, s0
	s_xor_b32 s0, exec_lo, s9
; %bb.770:                              ;   in Loop: Header=BB420_515 Depth=1
	v_bfe_u32 v2, v3, 16, 1
	s_delay_alu instid0(VALU_DEP_1)
	v_add3_u32 v2, v3, v2, 0x7fff
                                        ; implicit-def: $vgpr3
; %bb.771:                              ;   in Loop: Header=BB420_515 Depth=1
	s_and_not1_saveexec_b32 s9, s0
; %bb.772:                              ;   in Loop: Header=BB420_515 Depth=1
	v_and_b32_e32 v2, 0xffff, v3
	v_or_b32_e32 v7, 0x10000, v3
	s_delay_alu instid0(VALU_DEP_2) | instskip(NEXT) | instid1(VALU_DEP_1)
	v_cmp_eq_u32_e64 s0, 0, v2
	v_cndmask_b32_e64 v2, v7, v3, s0
; %bb.773:                              ;   in Loop: Header=BB420_515 Depth=1
	s_or_b32 exec_lo, exec_lo, s9
	v_lshrrev_b32_e32 v6, 16, v6
	v_lshrrev_b32_e32 v7, 16, v84
	;; [unrolled: 1-line block ×8, first 2 shown]
	s_and_saveexec_b32 s9, vcc_lo
	s_cbranch_execz .LBB420_775
; %bb.774:                              ;   in Loop: Header=BB420_515 Depth=1
	v_cmp_lt_i32_e64 s0, v49, v32
	s_delay_alu instid0(VALU_DEP_1) | instskip(SKIP_1) | instid1(VALU_DEP_1)
	v_cndmask_b32_e64 v80, 0, v80, s0
	v_cmp_lt_i32_e64 s0, v55, v32
	v_cndmask_b32_e64 v81, 0, v81, s0
	v_cmp_lt_i32_e64 s0, v54, v32
	s_delay_alu instid0(VALU_DEP_1) | instskip(SKIP_1) | instid1(VALU_DEP_1)
	v_cndmask_b32_e64 v82, 0, v82, s0
	v_cmp_lt_i32_e64 s0, v53, v32
	v_cndmask_b32_e64 v9, 0, v9, s0
	;; [unrolled: 5-line block ×4, first 2 shown]
.LBB420_775:                            ;   in Loop: Header=BB420_515 Depth=1
	s_or_b32 exec_lo, exec_lo, s9
	v_lshlrev_b32_e32 v80, 16, v80
	s_delay_alu instid0(VALU_DEP_1) | instskip(NEXT) | instid1(VALU_DEP_1)
	v_mul_f32_e32 v83, v64, v80
	v_and_b32_e32 v80, 0x7f800000, v83
	s_delay_alu instid0(VALU_DEP_1) | instskip(NEXT) | instid1(VALU_DEP_1)
	v_cmp_ne_u32_e64 s0, 0x7f800000, v80
                                        ; implicit-def: $vgpr80
	s_and_saveexec_b32 s9, s0
	s_delay_alu instid0(SALU_CYCLE_1)
	s_xor_b32 s0, exec_lo, s9
; %bb.776:                              ;   in Loop: Header=BB420_515 Depth=1
	v_bfe_u32 v80, v83, 16, 1
	s_delay_alu instid0(VALU_DEP_1)
	v_add3_u32 v80, v83, v80, 0x7fff
                                        ; implicit-def: $vgpr83
; %bb.777:                              ;   in Loop: Header=BB420_515 Depth=1
	s_and_not1_saveexec_b32 s9, s0
; %bb.778:                              ;   in Loop: Header=BB420_515 Depth=1
	v_and_b32_e32 v80, 0xffff, v83
	v_or_b32_e32 v84, 0x10000, v83
	s_delay_alu instid0(VALU_DEP_2) | instskip(NEXT) | instid1(VALU_DEP_1)
	v_cmp_eq_u32_e64 s0, 0, v80
	v_cndmask_b32_e64 v80, v84, v83, s0
; %bb.779:                              ;   in Loop: Header=BB420_515 Depth=1
	s_or_b32 exec_lo, exec_lo, s9
	v_lshlrev_b32_e32 v81, 16, v81
	s_delay_alu instid0(VALU_DEP_1) | instskip(NEXT) | instid1(VALU_DEP_1)
	v_mul_f32_e32 v83, v65, v81
	v_and_b32_e32 v81, 0x7f800000, v83
	s_delay_alu instid0(VALU_DEP_1) | instskip(NEXT) | instid1(VALU_DEP_1)
	v_cmp_ne_u32_e64 s0, 0x7f800000, v81
                                        ; implicit-def: $vgpr81
	s_and_saveexec_b32 s9, s0
	s_delay_alu instid0(SALU_CYCLE_1)
	s_xor_b32 s0, exec_lo, s9
; %bb.780:                              ;   in Loop: Header=BB420_515 Depth=1
	v_bfe_u32 v81, v83, 16, 1
	s_delay_alu instid0(VALU_DEP_1)
	v_add3_u32 v81, v83, v81, 0x7fff
                                        ; implicit-def: $vgpr83
; %bb.781:                              ;   in Loop: Header=BB420_515 Depth=1
	s_and_not1_saveexec_b32 s9, s0
; %bb.782:                              ;   in Loop: Header=BB420_515 Depth=1
	v_and_b32_e32 v81, 0xffff, v83
	v_or_b32_e32 v84, 0x10000, v83
	s_delay_alu instid0(VALU_DEP_2) | instskip(NEXT) | instid1(VALU_DEP_1)
	v_cmp_eq_u32_e64 s0, 0, v81
	v_cndmask_b32_e64 v81, v84, v83, s0
; %bb.783:                              ;   in Loop: Header=BB420_515 Depth=1
	s_or_b32 exec_lo, exec_lo, s9
	v_lshlrev_b32_e32 v82, 16, v82
	s_delay_alu instid0(VALU_DEP_1) | instskip(NEXT) | instid1(VALU_DEP_1)
	v_mul_f32_e32 v83, v66, v82
	v_and_b32_e32 v82, 0x7f800000, v83
	s_delay_alu instid0(VALU_DEP_1) | instskip(NEXT) | instid1(VALU_DEP_1)
	v_cmp_ne_u32_e64 s0, 0x7f800000, v82
                                        ; implicit-def: $vgpr82
	s_and_saveexec_b32 s9, s0
	s_delay_alu instid0(SALU_CYCLE_1)
	s_xor_b32 s0, exec_lo, s9
; %bb.784:                              ;   in Loop: Header=BB420_515 Depth=1
	v_bfe_u32 v82, v83, 16, 1
	s_delay_alu instid0(VALU_DEP_1)
	v_add3_u32 v82, v83, v82, 0x7fff
                                        ; implicit-def: $vgpr83
; %bb.785:                              ;   in Loop: Header=BB420_515 Depth=1
	s_and_not1_saveexec_b32 s9, s0
; %bb.786:                              ;   in Loop: Header=BB420_515 Depth=1
	v_and_b32_e32 v82, 0xffff, v83
	v_or_b32_e32 v84, 0x10000, v83
	s_delay_alu instid0(VALU_DEP_2) | instskip(NEXT) | instid1(VALU_DEP_1)
	v_cmp_eq_u32_e64 s0, 0, v82
	v_cndmask_b32_e64 v82, v84, v83, s0
; %bb.787:                              ;   in Loop: Header=BB420_515 Depth=1
	s_or_b32 exec_lo, exec_lo, s9
	v_lshlrev_b32_e32 v9, 16, v9
	s_delay_alu instid0(VALU_DEP_1) | instskip(NEXT) | instid1(VALU_DEP_1)
	v_mul_f32_e32 v9, v67, v9
	v_and_b32_e32 v83, 0x7f800000, v9
	s_delay_alu instid0(VALU_DEP_1) | instskip(NEXT) | instid1(VALU_DEP_1)
	v_cmp_ne_u32_e64 s0, 0x7f800000, v83
                                        ; implicit-def: $vgpr83
	s_and_saveexec_b32 s9, s0
	s_delay_alu instid0(SALU_CYCLE_1)
	s_xor_b32 s0, exec_lo, s9
; %bb.788:                              ;   in Loop: Header=BB420_515 Depth=1
	v_bfe_u32 v83, v9, 16, 1
	s_delay_alu instid0(VALU_DEP_1)
	v_add3_u32 v83, v9, v83, 0x7fff
                                        ; implicit-def: $vgpr9
; %bb.789:                              ;   in Loop: Header=BB420_515 Depth=1
	s_and_not1_saveexec_b32 s9, s0
; %bb.790:                              ;   in Loop: Header=BB420_515 Depth=1
	v_and_b32_e32 v83, 0xffff, v9
	v_or_b32_e32 v84, 0x10000, v9
	s_delay_alu instid0(VALU_DEP_2) | instskip(NEXT) | instid1(VALU_DEP_1)
	v_cmp_eq_u32_e64 s0, 0, v83
	v_cndmask_b32_e64 v83, v84, v9, s0
; %bb.791:                              ;   in Loop: Header=BB420_515 Depth=1
	s_or_b32 exec_lo, exec_lo, s9
	v_lshlrev_b32_e32 v7, 16, v7
                                        ; implicit-def: $vgpr84
	s_delay_alu instid0(VALU_DEP_1) | instskip(NEXT) | instid1(VALU_DEP_1)
	v_mul_f32_e32 v7, v68, v7
	v_and_b32_e32 v9, 0x7f800000, v7
	s_delay_alu instid0(VALU_DEP_1) | instskip(NEXT) | instid1(VALU_DEP_1)
	v_cmp_ne_u32_e64 s0, 0x7f800000, v9
	s_and_saveexec_b32 s9, s0
	s_delay_alu instid0(SALU_CYCLE_1)
	s_xor_b32 s0, exec_lo, s9
; %bb.792:                              ;   in Loop: Header=BB420_515 Depth=1
	v_bfe_u32 v9, v7, 16, 1
	s_delay_alu instid0(VALU_DEP_1)
	v_add3_u32 v84, v7, v9, 0x7fff
                                        ; implicit-def: $vgpr7
; %bb.793:                              ;   in Loop: Header=BB420_515 Depth=1
	s_and_not1_saveexec_b32 s9, s0
; %bb.794:                              ;   in Loop: Header=BB420_515 Depth=1
	v_and_b32_e32 v9, 0xffff, v7
	v_or_b32_e32 v84, 0x10000, v7
	s_delay_alu instid0(VALU_DEP_2) | instskip(NEXT) | instid1(VALU_DEP_1)
	v_cmp_eq_u32_e64 s0, 0, v9
	v_cndmask_b32_e64 v84, v84, v7, s0
; %bb.795:                              ;   in Loop: Header=BB420_515 Depth=1
	s_or_b32 exec_lo, exec_lo, s9
	v_lshlrev_b32_e32 v6, 16, v6
                                        ; implicit-def: $vgpr85
	s_delay_alu instid0(VALU_DEP_1) | instskip(NEXT) | instid1(VALU_DEP_1)
	v_mul_f32_e32 v6, v69, v6
	v_and_b32_e32 v7, 0x7f800000, v6
	s_delay_alu instid0(VALU_DEP_1) | instskip(NEXT) | instid1(VALU_DEP_1)
	v_cmp_ne_u32_e64 s0, 0x7f800000, v7
	s_and_saveexec_b32 s9, s0
	s_delay_alu instid0(SALU_CYCLE_1)
	s_xor_b32 s0, exec_lo, s9
; %bb.796:                              ;   in Loop: Header=BB420_515 Depth=1
	v_bfe_u32 v7, v6, 16, 1
	s_delay_alu instid0(VALU_DEP_1)
	v_add3_u32 v85, v6, v7, 0x7fff
                                        ; implicit-def: $vgpr6
; %bb.797:                              ;   in Loop: Header=BB420_515 Depth=1
	s_and_not1_saveexec_b32 s9, s0
; %bb.798:                              ;   in Loop: Header=BB420_515 Depth=1
	v_and_b32_e32 v7, 0xffff, v6
	v_or_b32_e32 v9, 0x10000, v6
	s_delay_alu instid0(VALU_DEP_2) | instskip(NEXT) | instid1(VALU_DEP_1)
	v_cmp_eq_u32_e64 s0, 0, v7
	v_cndmask_b32_e64 v85, v9, v6, s0
; %bb.799:                              ;   in Loop: Header=BB420_515 Depth=1
	s_or_b32 exec_lo, exec_lo, s9
	v_lshlrev_b32_e32 v3, 16, v3
                                        ; implicit-def: $vgpr86
	s_delay_alu instid0(VALU_DEP_1) | instskip(NEXT) | instid1(VALU_DEP_1)
	v_mul_f32_e32 v3, v70, v3
	v_and_b32_e32 v6, 0x7f800000, v3
	s_delay_alu instid0(VALU_DEP_1) | instskip(NEXT) | instid1(VALU_DEP_1)
	v_cmp_ne_u32_e64 s0, 0x7f800000, v6
	s_and_saveexec_b32 s9, s0
	s_delay_alu instid0(SALU_CYCLE_1)
	s_xor_b32 s0, exec_lo, s9
; %bb.800:                              ;   in Loop: Header=BB420_515 Depth=1
	v_bfe_u32 v6, v3, 16, 1
	s_delay_alu instid0(VALU_DEP_1)
	v_add3_u32 v86, v3, v6, 0x7fff
                                        ; implicit-def: $vgpr3
; %bb.801:                              ;   in Loop: Header=BB420_515 Depth=1
	s_and_not1_saveexec_b32 s9, s0
; %bb.802:                              ;   in Loop: Header=BB420_515 Depth=1
	v_and_b32_e32 v6, 0xffff, v3
	v_or_b32_e32 v7, 0x10000, v3
	s_delay_alu instid0(VALU_DEP_2) | instskip(NEXT) | instid1(VALU_DEP_1)
	v_cmp_eq_u32_e64 s0, 0, v6
	v_cndmask_b32_e64 v86, v7, v3, s0
; %bb.803:                              ;   in Loop: Header=BB420_515 Depth=1
	s_or_b32 exec_lo, exec_lo, s9
	v_lshlrev_b32_e32 v2, 16, v2
                                        ; implicit-def: $vgpr87
	s_delay_alu instid0(VALU_DEP_1) | instskip(NEXT) | instid1(VALU_DEP_1)
	v_mul_f32_e32 v2, v71, v2
	v_and_b32_e32 v3, 0x7f800000, v2
	s_delay_alu instid0(VALU_DEP_1) | instskip(NEXT) | instid1(VALU_DEP_1)
	v_cmp_ne_u32_e64 s0, 0x7f800000, v3
	s_and_saveexec_b32 s9, s0
	s_delay_alu instid0(SALU_CYCLE_1)
	s_xor_b32 s0, exec_lo, s9
; %bb.804:                              ;   in Loop: Header=BB420_515 Depth=1
	v_bfe_u32 v3, v2, 16, 1
	s_delay_alu instid0(VALU_DEP_1)
	v_add3_u32 v87, v2, v3, 0x7fff
                                        ; implicit-def: $vgpr2
; %bb.805:                              ;   in Loop: Header=BB420_515 Depth=1
	s_and_not1_saveexec_b32 s9, s0
; %bb.806:                              ;   in Loop: Header=BB420_515 Depth=1
	v_and_b32_e32 v3, 0xffff, v2
	v_or_b32_e32 v6, 0x10000, v2
	s_delay_alu instid0(VALU_DEP_2) | instskip(NEXT) | instid1(VALU_DEP_1)
	v_cmp_eq_u32_e64 s0, 0, v3
	v_cndmask_b32_e64 v87, v6, v2, s0
; %bb.807:                              ;   in Loop: Header=BB420_515 Depth=1
	s_or_b32 exec_lo, exec_lo, s9
	flat_load_b64 v[2:3], v[0:1] offset:512
	s_mov_b32 s9, exec_lo
	s_waitcnt vmcnt(0) lgkmcnt(0)
	v_dual_mov_b32 v6, 0 :: v_dual_and_b32 v7, 0xff, v2
	s_delay_alu instid0(VALU_DEP_1)
	v_cmpx_ne_u16_e32 0, v7
	s_cbranch_execz .LBB420_815
; %bb.808:                              ;   in Loop: Header=BB420_515 Depth=1
	v_bfrev_b32_e32 v6, 1
	s_mov_b32 s12, exec_lo
	v_cmpx_ne_u16_e32 0x80, v7
	s_cbranch_execz .LBB420_814
; %bb.809:                              ;   in Loop: Header=BB420_515 Depth=1
	v_and_b32_e32 v7, 0x7f, v2
	v_mov_b32_e32 v6, 0x7f800001
	s_mov_b32 s13, exec_lo
	s_delay_alu instid0(VALU_DEP_2)
	v_cmpx_ne_u32_e32 0x7f, v7
	s_cbranch_execz .LBB420_813
; %bb.810:                              ;   in Loop: Header=BB420_515 Depth=1
	v_lshrrev_b32_e32 v9, 3, v7
	v_cmp_gt_u32_e64 s0, 8, v7
	v_dual_mov_b32 v7, v3 :: v_dual_mov_b32 v6, v2
	s_delay_alu instid0(VALU_DEP_2)
	s_and_saveexec_b32 s15, s0
; %bb.811:                              ;   in Loop: Header=BB420_515 Depth=1
	v_and_b32_e32 v6, 7, v2
	s_delay_alu instid0(VALU_DEP_1) | instskip(NEXT) | instid1(VALU_DEP_1)
	v_clz_i32_u32_e32 v6, v6
	v_min_u32_e32 v9, 32, v6
	s_delay_alu instid0(VALU_DEP_1) | instskip(SKIP_1) | instid1(VALU_DEP_2)
	v_subrev_nc_u32_e32 v6, 28, v9
	v_sub_nc_u32_e32 v9, 29, v9
	v_lshlrev_b64 v[6:7], v6, v[2:3]
; %bb.812:                              ;   in Loop: Header=BB420_515 Depth=1
	s_or_b32 exec_lo, exec_lo, s15
	s_delay_alu instid0(VALU_DEP_1) | instskip(SKIP_2) | instid1(VALU_DEP_3)
	v_lshlrev_b32_e32 v6, 20, v6
	v_lshlrev_b32_e32 v7, 24, v2
	v_lshl_add_u32 v9, v9, 23, 0x3c000000
	v_and_b32_e32 v6, 0x700000, v6
	s_delay_alu instid0(VALU_DEP_3) | instskip(NEXT) | instid1(VALU_DEP_1)
	v_and_b32_e32 v7, 0x80000000, v7
	v_or3_b32 v6, v6, v7, v9
.LBB420_813:                            ;   in Loop: Header=BB420_515 Depth=1
	s_or_b32 exec_lo, exec_lo, s13
.LBB420_814:                            ;   in Loop: Header=BB420_515 Depth=1
	s_delay_alu instid0(SALU_CYCLE_1)
	s_or_b32 exec_lo, exec_lo, s12
.LBB420_815:                            ;   in Loop: Header=BB420_515 Depth=1
	s_delay_alu instid0(SALU_CYCLE_1) | instskip(NEXT) | instid1(VALU_DEP_1)
	s_or_b32 exec_lo, exec_lo, s9
	v_mul_f32_e32 v6, v26, v6
                                        ; implicit-def: $vgpr96
	s_delay_alu instid0(VALU_DEP_1) | instskip(NEXT) | instid1(VALU_DEP_1)
	v_and_b32_e32 v7, 0x7f800000, v6
	v_cmp_ne_u32_e64 s0, 0x7f800000, v7
	s_delay_alu instid0(VALU_DEP_1) | instskip(NEXT) | instid1(SALU_CYCLE_1)
	s_and_saveexec_b32 s9, s0
	s_xor_b32 s0, exec_lo, s9
; %bb.816:                              ;   in Loop: Header=BB420_515 Depth=1
	v_bfe_u32 v7, v6, 16, 1
	s_delay_alu instid0(VALU_DEP_1)
	v_add3_u32 v96, v6, v7, 0x7fff
                                        ; implicit-def: $vgpr6
; %bb.817:                              ;   in Loop: Header=BB420_515 Depth=1
	s_and_not1_saveexec_b32 s9, s0
; %bb.818:                              ;   in Loop: Header=BB420_515 Depth=1
	v_and_b32_e32 v7, 0xffff, v6
	v_or_b32_e32 v9, 0x10000, v6
	s_delay_alu instid0(VALU_DEP_2) | instskip(NEXT) | instid1(VALU_DEP_1)
	v_cmp_eq_u32_e64 s0, 0, v7
	v_cndmask_b32_e64 v96, v9, v6, s0
; %bb.819:                              ;   in Loop: Header=BB420_515 Depth=1
	s_or_b32 exec_lo, exec_lo, s9
	v_lshrrev_b16 v7, 8, v2
	v_mov_b32_e32 v6, 0
	s_mov_b32 s9, exec_lo
	s_delay_alu instid0(VALU_DEP_2)
	v_cmpx_ne_u16_e32 0, v7
	s_cbranch_execz .LBB420_827
; %bb.820:                              ;   in Loop: Header=BB420_515 Depth=1
	v_bfrev_b32_e32 v6, 1
	s_mov_b32 s12, exec_lo
	v_cmpx_ne_u16_e32 0x80, v7
	s_cbranch_execz .LBB420_826
; %bb.821:                              ;   in Loop: Header=BB420_515 Depth=1
	v_and_b32_e32 v9, 0xffff, v7
	v_mov_b32_e32 v6, 0x7f800001
	s_mov_b32 s13, exec_lo
	s_delay_alu instid0(VALU_DEP_2) | instskip(NEXT) | instid1(VALU_DEP_1)
	v_and_b32_e32 v7, 0x7f, v9
	v_cmpx_ne_u32_e32 0x7f, v7
	s_cbranch_execz .LBB420_825
; %bb.822:                              ;   in Loop: Header=BB420_515 Depth=1
	v_and_b32_e32 v9, 7, v9
	v_lshrrev_b32_e32 v6, 3, v7
	s_mov_b32 s15, exec_lo
	v_cmpx_gt_u32_e32 8, v7
; %bb.823:                              ;   in Loop: Header=BB420_515 Depth=1
	s_delay_alu instid0(VALU_DEP_3) | instskip(NEXT) | instid1(VALU_DEP_1)
	v_clz_i32_u32_e32 v6, v9
	v_min_u32_e32 v6, 32, v6
	s_delay_alu instid0(VALU_DEP_1) | instskip(SKIP_1) | instid1(VALU_DEP_2)
	v_subrev_nc_u32_e32 v7, 28, v6
	v_sub_nc_u32_e32 v6, 29, v6
	v_lshlrev_b64 v[97:98], v7, v[9:10]
	s_delay_alu instid0(VALU_DEP_1)
	v_and_b32_e32 v9, 7, v97
; %bb.824:                              ;   in Loop: Header=BB420_515 Depth=1
	s_or_b32 exec_lo, exec_lo, s15
	v_lshlrev_b32_e32 v7, 16, v2
	s_delay_alu instid0(VALU_DEP_2) | instskip(SKIP_1) | instid1(VALU_DEP_3)
	v_lshlrev_b32_e32 v9, 20, v9
	v_lshl_add_u32 v6, v6, 23, 0x3c000000
	v_and_b32_e32 v7, 0x80000000, v7
	s_delay_alu instid0(VALU_DEP_1)
	v_or3_b32 v6, v9, v7, v6
.LBB420_825:                            ;   in Loop: Header=BB420_515 Depth=1
	s_or_b32 exec_lo, exec_lo, s13
.LBB420_826:                            ;   in Loop: Header=BB420_515 Depth=1
	s_delay_alu instid0(SALU_CYCLE_1)
	s_or_b32 exec_lo, exec_lo, s12
.LBB420_827:                            ;   in Loop: Header=BB420_515 Depth=1
	s_delay_alu instid0(SALU_CYCLE_1) | instskip(NEXT) | instid1(VALU_DEP_1)
	s_or_b32 exec_lo, exec_lo, s9
	v_mul_f32_e32 v6, v26, v6
                                        ; implicit-def: $vgpr97
	s_delay_alu instid0(VALU_DEP_1) | instskip(NEXT) | instid1(VALU_DEP_1)
	v_and_b32_e32 v7, 0x7f800000, v6
	v_cmp_ne_u32_e64 s0, 0x7f800000, v7
	s_delay_alu instid0(VALU_DEP_1) | instskip(NEXT) | instid1(SALU_CYCLE_1)
	s_and_saveexec_b32 s9, s0
	s_xor_b32 s0, exec_lo, s9
; %bb.828:                              ;   in Loop: Header=BB420_515 Depth=1
	v_bfe_u32 v7, v6, 16, 1
	s_delay_alu instid0(VALU_DEP_1)
	v_add3_u32 v97, v6, v7, 0x7fff
                                        ; implicit-def: $vgpr6
; %bb.829:                              ;   in Loop: Header=BB420_515 Depth=1
	s_and_not1_saveexec_b32 s9, s0
; %bb.830:                              ;   in Loop: Header=BB420_515 Depth=1
	v_and_b32_e32 v7, 0xffff, v6
	v_or_b32_e32 v9, 0x10000, v6
	s_delay_alu instid0(VALU_DEP_2) | instskip(NEXT) | instid1(VALU_DEP_1)
	v_cmp_eq_u32_e64 s0, 0, v7
	v_cndmask_b32_e64 v97, v9, v6, s0
; %bb.831:                              ;   in Loop: Header=BB420_515 Depth=1
	s_or_b32 exec_lo, exec_lo, s9
	v_lshrrev_b32_e32 v6, 16, v2
	v_mov_b32_e32 v7, 0
	s_mov_b32 s9, exec_lo
	s_delay_alu instid0(VALU_DEP_2) | instskip(NEXT) | instid1(VALU_DEP_1)
	v_and_b32_e32 v9, 0xff, v6
	v_cmpx_ne_u16_e32 0, v9
	s_cbranch_execz .LBB420_839
; %bb.832:                              ;   in Loop: Header=BB420_515 Depth=1
	v_bfrev_b32_e32 v7, 1
	s_mov_b32 s12, exec_lo
	v_cmpx_ne_u16_e32 0x80, v9
	s_cbranch_execz .LBB420_838
; %bb.833:                              ;   in Loop: Header=BB420_515 Depth=1
	v_bfe_u32 v98, v2, 16, 7
	v_mov_b32_e32 v7, 0x7f800001
	s_mov_b32 s13, exec_lo
	s_delay_alu instid0(VALU_DEP_2)
	v_cmpx_ne_u32_e32 0x7f, v98
	s_cbranch_execz .LBB420_837
; %bb.834:                              ;   in Loop: Header=BB420_515 Depth=1
	v_and_b32_e32 v9, 7, v6
	v_lshrrev_b32_e32 v7, 3, v98
	s_mov_b32 s15, exec_lo
	v_cmpx_gt_u32_e32 8, v98
; %bb.835:                              ;   in Loop: Header=BB420_515 Depth=1
	s_delay_alu instid0(VALU_DEP_3) | instskip(NEXT) | instid1(VALU_DEP_1)
	v_clz_i32_u32_e32 v7, v9
	v_min_u32_e32 v7, 32, v7
	s_delay_alu instid0(VALU_DEP_1) | instskip(SKIP_1) | instid1(VALU_DEP_2)
	v_subrev_nc_u32_e32 v98, 28, v7
	v_sub_nc_u32_e32 v7, 29, v7
	v_lshlrev_b64 v[98:99], v98, v[9:10]
	s_delay_alu instid0(VALU_DEP_1)
	v_and_b32_e32 v9, 7, v98
; %bb.836:                              ;   in Loop: Header=BB420_515 Depth=1
	s_or_b32 exec_lo, exec_lo, s15
	v_lshlrev_b32_e32 v6, 24, v6
	s_delay_alu instid0(VALU_DEP_2) | instskip(SKIP_1) | instid1(VALU_DEP_3)
	v_lshlrev_b32_e32 v9, 20, v9
	v_lshl_add_u32 v7, v7, 23, 0x3c000000
	v_and_b32_e32 v6, 0x80000000, v6
	s_delay_alu instid0(VALU_DEP_1)
	v_or3_b32 v7, v9, v6, v7
.LBB420_837:                            ;   in Loop: Header=BB420_515 Depth=1
	s_or_b32 exec_lo, exec_lo, s13
.LBB420_838:                            ;   in Loop: Header=BB420_515 Depth=1
	s_delay_alu instid0(SALU_CYCLE_1)
	s_or_b32 exec_lo, exec_lo, s12
.LBB420_839:                            ;   in Loop: Header=BB420_515 Depth=1
	s_delay_alu instid0(SALU_CYCLE_1) | instskip(NEXT) | instid1(VALU_DEP_1)
	s_or_b32 exec_lo, exec_lo, s9
	v_mul_f32_e32 v6, v26, v7
                                        ; implicit-def: $vgpr98
	s_delay_alu instid0(VALU_DEP_1) | instskip(NEXT) | instid1(VALU_DEP_1)
	v_and_b32_e32 v7, 0x7f800000, v6
	v_cmp_ne_u32_e64 s0, 0x7f800000, v7
	s_delay_alu instid0(VALU_DEP_1) | instskip(NEXT) | instid1(SALU_CYCLE_1)
	s_and_saveexec_b32 s9, s0
	s_xor_b32 s0, exec_lo, s9
; %bb.840:                              ;   in Loop: Header=BB420_515 Depth=1
	v_bfe_u32 v7, v6, 16, 1
	s_delay_alu instid0(VALU_DEP_1)
	v_add3_u32 v98, v6, v7, 0x7fff
                                        ; implicit-def: $vgpr6
; %bb.841:                              ;   in Loop: Header=BB420_515 Depth=1
	s_and_not1_saveexec_b32 s9, s0
; %bb.842:                              ;   in Loop: Header=BB420_515 Depth=1
	v_and_b32_e32 v7, 0xffff, v6
	v_or_b32_e32 v9, 0x10000, v6
	s_delay_alu instid0(VALU_DEP_2) | instskip(NEXT) | instid1(VALU_DEP_1)
	v_cmp_eq_u32_e64 s0, 0, v7
	v_cndmask_b32_e64 v98, v9, v6, s0
; %bb.843:                              ;   in Loop: Header=BB420_515 Depth=1
	s_or_b32 exec_lo, exec_lo, s9
	v_mov_b32_e32 v7, 0
	s_mov_b32 s9, exec_lo
	v_cmpx_lt_u32_e32 0xffffff, v2
	s_cbranch_execz .LBB420_851
; %bb.844:                              ;   in Loop: Header=BB420_515 Depth=1
	v_lshrrev_b32_e32 v6, 24, v2
	v_bfrev_b32_e32 v7, 1
	s_mov_b32 s12, exec_lo
	s_delay_alu instid0(VALU_DEP_2)
	v_cmpx_ne_u32_e32 0x80, v6
	s_cbranch_execz .LBB420_850
; %bb.845:                              ;   in Loop: Header=BB420_515 Depth=1
	v_bfe_u32 v99, v2, 24, 7
	v_mov_b32_e32 v7, 0x7f800001
	s_mov_b32 s13, exec_lo
	s_delay_alu instid0(VALU_DEP_2)
	v_cmpx_ne_u32_e32 0x7f, v99
	s_cbranch_execz .LBB420_849
; %bb.846:                              ;   in Loop: Header=BB420_515 Depth=1
	v_and_b32_e32 v9, 7, v6
	v_lshrrev_b32_e32 v7, 3, v99
	s_mov_b32 s15, exec_lo
	v_cmpx_gt_u32_e32 8, v99
; %bb.847:                              ;   in Loop: Header=BB420_515 Depth=1
	s_delay_alu instid0(VALU_DEP_3) | instskip(NEXT) | instid1(VALU_DEP_1)
	v_clz_i32_u32_e32 v7, v9
	v_min_u32_e32 v7, 32, v7
	s_delay_alu instid0(VALU_DEP_1) | instskip(SKIP_1) | instid1(VALU_DEP_2)
	v_subrev_nc_u32_e32 v99, 28, v7
	v_sub_nc_u32_e32 v7, 29, v7
	v_lshlrev_b64 v[99:100], v99, v[9:10]
	s_delay_alu instid0(VALU_DEP_1)
	v_and_b32_e32 v9, 7, v99
; %bb.848:                              ;   in Loop: Header=BB420_515 Depth=1
	s_or_b32 exec_lo, exec_lo, s15
	v_lshlrev_b32_e32 v6, 24, v6
	s_delay_alu instid0(VALU_DEP_2) | instskip(SKIP_1) | instid1(VALU_DEP_3)
	v_lshlrev_b32_e32 v9, 20, v9
	v_lshl_add_u32 v7, v7, 23, 0x3c000000
	v_and_b32_e32 v6, 0x80000000, v6
	s_delay_alu instid0(VALU_DEP_1)
	v_or3_b32 v7, v9, v6, v7
.LBB420_849:                            ;   in Loop: Header=BB420_515 Depth=1
	s_or_b32 exec_lo, exec_lo, s13
.LBB420_850:                            ;   in Loop: Header=BB420_515 Depth=1
	s_delay_alu instid0(SALU_CYCLE_1)
	s_or_b32 exec_lo, exec_lo, s12
.LBB420_851:                            ;   in Loop: Header=BB420_515 Depth=1
	s_delay_alu instid0(SALU_CYCLE_1) | instskip(NEXT) | instid1(VALU_DEP_1)
	s_or_b32 exec_lo, exec_lo, s9
	v_mul_f32_e32 v6, v26, v7
                                        ; implicit-def: $vgpr99
	s_delay_alu instid0(VALU_DEP_1) | instskip(NEXT) | instid1(VALU_DEP_1)
	v_and_b32_e32 v7, 0x7f800000, v6
	v_cmp_ne_u32_e64 s0, 0x7f800000, v7
	s_delay_alu instid0(VALU_DEP_1) | instskip(NEXT) | instid1(SALU_CYCLE_1)
	s_and_saveexec_b32 s9, s0
	s_xor_b32 s0, exec_lo, s9
; %bb.852:                              ;   in Loop: Header=BB420_515 Depth=1
	v_bfe_u32 v7, v6, 16, 1
	s_delay_alu instid0(VALU_DEP_1)
	v_add3_u32 v99, v6, v7, 0x7fff
                                        ; implicit-def: $vgpr6
; %bb.853:                              ;   in Loop: Header=BB420_515 Depth=1
	s_and_not1_saveexec_b32 s9, s0
; %bb.854:                              ;   in Loop: Header=BB420_515 Depth=1
	v_and_b32_e32 v7, 0xffff, v6
	v_or_b32_e32 v9, 0x10000, v6
	s_delay_alu instid0(VALU_DEP_2) | instskip(NEXT) | instid1(VALU_DEP_1)
	v_cmp_eq_u32_e64 s0, 0, v7
	v_cndmask_b32_e64 v99, v9, v6, s0
; %bb.855:                              ;   in Loop: Header=BB420_515 Depth=1
	s_or_b32 exec_lo, exec_lo, s9
	v_dual_mov_b32 v6, 0 :: v_dual_and_b32 v7, 0xff, v3
	v_mov_b32_e32 v9, v3
	s_mov_b32 s9, exec_lo
	s_delay_alu instid0(VALU_DEP_2)
	v_cmpx_ne_u16_e32 0, v7
	s_cbranch_execz .LBB420_863
; %bb.856:                              ;   in Loop: Header=BB420_515 Depth=1
	v_bfrev_b32_e32 v6, 1
	s_mov_b32 s12, exec_lo
	v_cmpx_ne_u16_e32 0x80, v7
	s_cbranch_execz .LBB420_862
; %bb.857:                              ;   in Loop: Header=BB420_515 Depth=1
	v_and_b32_e32 v7, 0x7f, v3
	v_mov_b32_e32 v6, 0x7f800001
	s_mov_b32 s13, exec_lo
	s_delay_alu instid0(VALU_DEP_2)
	v_cmpx_ne_u32_e32 0x7f, v7
	s_cbranch_execz .LBB420_861
; %bb.858:                              ;   in Loop: Header=BB420_515 Depth=1
	v_lshrrev_b32_e32 v100, 3, v7
	v_cmp_gt_u32_e64 s0, 8, v7
	v_dual_mov_b32 v6, v9 :: v_dual_mov_b32 v7, v10
	s_delay_alu instid0(VALU_DEP_2)
	s_and_saveexec_b32 s15, s0
; %bb.859:                              ;   in Loop: Header=BB420_515 Depth=1
	v_and_b32_e32 v6, 7, v3
	s_delay_alu instid0(VALU_DEP_1) | instskip(NEXT) | instid1(VALU_DEP_1)
	v_clz_i32_u32_e32 v6, v6
	v_min_u32_e32 v100, 32, v6
	s_delay_alu instid0(VALU_DEP_1) | instskip(SKIP_1) | instid1(VALU_DEP_2)
	v_subrev_nc_u32_e32 v6, 28, v100
	v_sub_nc_u32_e32 v100, 29, v100
	v_lshlrev_b64 v[6:7], v6, v[9:10]
; %bb.860:                              ;   in Loop: Header=BB420_515 Depth=1
	s_or_b32 exec_lo, exec_lo, s15
	s_delay_alu instid0(VALU_DEP_1) | instskip(SKIP_2) | instid1(VALU_DEP_3)
	v_lshlrev_b32_e32 v6, 20, v6
	v_lshlrev_b32_e32 v7, 24, v9
	v_lshl_add_u32 v100, v100, 23, 0x3c000000
	v_and_b32_e32 v6, 0x700000, v6
	s_delay_alu instid0(VALU_DEP_3) | instskip(NEXT) | instid1(VALU_DEP_1)
	v_and_b32_e32 v7, 0x80000000, v7
	v_or3_b32 v6, v6, v7, v100
.LBB420_861:                            ;   in Loop: Header=BB420_515 Depth=1
	s_or_b32 exec_lo, exec_lo, s13
.LBB420_862:                            ;   in Loop: Header=BB420_515 Depth=1
	s_delay_alu instid0(SALU_CYCLE_1)
	s_or_b32 exec_lo, exec_lo, s12
.LBB420_863:                            ;   in Loop: Header=BB420_515 Depth=1
	s_delay_alu instid0(SALU_CYCLE_1) | instskip(NEXT) | instid1(VALU_DEP_1)
	s_or_b32 exec_lo, exec_lo, s9
	v_mul_f32_e32 v6, v26, v6
                                        ; implicit-def: $vgpr100
	s_delay_alu instid0(VALU_DEP_1) | instskip(NEXT) | instid1(VALU_DEP_1)
	v_and_b32_e32 v7, 0x7f800000, v6
	v_cmp_ne_u32_e64 s0, 0x7f800000, v7
	s_delay_alu instid0(VALU_DEP_1) | instskip(NEXT) | instid1(SALU_CYCLE_1)
	s_and_saveexec_b32 s9, s0
	s_xor_b32 s0, exec_lo, s9
; %bb.864:                              ;   in Loop: Header=BB420_515 Depth=1
	v_bfe_u32 v7, v6, 16, 1
	s_delay_alu instid0(VALU_DEP_1)
	v_add3_u32 v100, v6, v7, 0x7fff
                                        ; implicit-def: $vgpr6
; %bb.865:                              ;   in Loop: Header=BB420_515 Depth=1
	s_and_not1_saveexec_b32 s9, s0
; %bb.866:                              ;   in Loop: Header=BB420_515 Depth=1
	v_and_b32_e32 v7, 0xffff, v6
	v_or_b32_e32 v100, 0x10000, v6
	s_delay_alu instid0(VALU_DEP_2) | instskip(NEXT) | instid1(VALU_DEP_1)
	v_cmp_eq_u32_e64 s0, 0, v7
	v_cndmask_b32_e64 v100, v100, v6, s0
; %bb.867:                              ;   in Loop: Header=BB420_515 Depth=1
	s_or_b32 exec_lo, exec_lo, s9
	v_lshrrev_b16 v7, 8, v9
	v_mov_b32_e32 v6, 0
	s_mov_b32 s9, exec_lo
	s_delay_alu instid0(VALU_DEP_2)
	v_cmpx_ne_u16_e32 0, v7
	s_cbranch_execz .LBB420_875
; %bb.868:                              ;   in Loop: Header=BB420_515 Depth=1
	v_bfrev_b32_e32 v6, 1
	s_mov_b32 s12, exec_lo
	v_cmpx_ne_u16_e32 0x80, v7
	s_cbranch_execz .LBB420_874
; %bb.869:                              ;   in Loop: Header=BB420_515 Depth=1
	v_and_b32_e32 v7, 0xffff, v7
	v_mov_b32_e32 v6, 0x7f800001
	s_mov_b32 s13, exec_lo
	s_delay_alu instid0(VALU_DEP_2) | instskip(NEXT) | instid1(VALU_DEP_1)
	v_and_b32_e32 v102, 0x7f, v7
	v_cmpx_ne_u32_e32 0x7f, v102
	s_cbranch_execz .LBB420_873
; %bb.870:                              ;   in Loop: Header=BB420_515 Depth=1
	v_dual_mov_b32 v7, v10 :: v_dual_and_b32 v6, 7, v7
	v_lshrrev_b32_e32 v101, 3, v102
	s_mov_b32 s15, exec_lo
	v_cmpx_gt_u32_e32 8, v102
; %bb.871:                              ;   in Loop: Header=BB420_515 Depth=1
	s_delay_alu instid0(VALU_DEP_3) | instskip(NEXT) | instid1(VALU_DEP_1)
	v_clz_i32_u32_e32 v101, v6
	v_min_u32_e32 v101, 32, v101
	s_delay_alu instid0(VALU_DEP_1) | instskip(SKIP_1) | instid1(VALU_DEP_2)
	v_subrev_nc_u32_e32 v102, 28, v101
	v_sub_nc_u32_e32 v101, 29, v101
	v_lshlrev_b64 v[6:7], v102, v[6:7]
	s_delay_alu instid0(VALU_DEP_1)
	v_and_b32_e32 v6, 7, v6
; %bb.872:                              ;   in Loop: Header=BB420_515 Depth=1
	s_or_b32 exec_lo, exec_lo, s15
	v_lshlrev_b32_e32 v7, 16, v9
	s_delay_alu instid0(VALU_DEP_2) | instskip(SKIP_1) | instid1(VALU_DEP_3)
	v_lshlrev_b32_e32 v6, 20, v6
	v_lshl_add_u32 v9, v101, 23, 0x3c000000
	v_and_b32_e32 v7, 0x80000000, v7
	s_delay_alu instid0(VALU_DEP_1)
	v_or3_b32 v6, v6, v7, v9
.LBB420_873:                            ;   in Loop: Header=BB420_515 Depth=1
	s_or_b32 exec_lo, exec_lo, s13
.LBB420_874:                            ;   in Loop: Header=BB420_515 Depth=1
	s_delay_alu instid0(SALU_CYCLE_1)
	s_or_b32 exec_lo, exec_lo, s12
.LBB420_875:                            ;   in Loop: Header=BB420_515 Depth=1
	s_delay_alu instid0(SALU_CYCLE_1) | instskip(NEXT) | instid1(VALU_DEP_1)
	s_or_b32 exec_lo, exec_lo, s9
	v_mul_f32_e32 v7, v26, v6
	s_delay_alu instid0(VALU_DEP_1) | instskip(NEXT) | instid1(VALU_DEP_1)
	v_and_b32_e32 v6, 0x7f800000, v7
	v_cmp_ne_u32_e64 s0, 0x7f800000, v6
                                        ; implicit-def: $vgpr6
	s_delay_alu instid0(VALU_DEP_1) | instskip(NEXT) | instid1(SALU_CYCLE_1)
	s_and_saveexec_b32 s9, s0
	s_xor_b32 s0, exec_lo, s9
; %bb.876:                              ;   in Loop: Header=BB420_515 Depth=1
	v_bfe_u32 v6, v7, 16, 1
	s_delay_alu instid0(VALU_DEP_1)
	v_add3_u32 v6, v7, v6, 0x7fff
                                        ; implicit-def: $vgpr7
; %bb.877:                              ;   in Loop: Header=BB420_515 Depth=1
	s_and_not1_saveexec_b32 s9, s0
; %bb.878:                              ;   in Loop: Header=BB420_515 Depth=1
	v_and_b32_e32 v6, 0xffff, v7
	v_or_b32_e32 v9, 0x10000, v7
	s_delay_alu instid0(VALU_DEP_2) | instskip(NEXT) | instid1(VALU_DEP_1)
	v_cmp_eq_u32_e64 s0, 0, v6
	v_cndmask_b32_e64 v6, v9, v7, s0
; %bb.879:                              ;   in Loop: Header=BB420_515 Depth=1
	s_or_b32 exec_lo, exec_lo, s9
	v_lshrrev_b32_e32 v7, 16, v3
	v_mov_b32_e32 v9, 0
	s_mov_b32 s9, exec_lo
	s_delay_alu instid0(VALU_DEP_2) | instskip(NEXT) | instid1(VALU_DEP_1)
	v_and_b32_e32 v101, 0xff, v7
	v_cmpx_ne_u16_e32 0, v101
	s_cbranch_execz .LBB420_887
; %bb.880:                              ;   in Loop: Header=BB420_515 Depth=1
	v_bfrev_b32_e32 v9, 1
	s_mov_b32 s12, exec_lo
	v_cmpx_ne_u16_e32 0x80, v101
	s_cbranch_execz .LBB420_886
; %bb.881:                              ;   in Loop: Header=BB420_515 Depth=1
	v_bfe_u32 v102, v3, 16, 7
	v_mov_b32_e32 v9, 0x7f800001
	s_mov_b32 s13, exec_lo
	s_delay_alu instid0(VALU_DEP_2)
	v_cmpx_ne_u32_e32 0x7f, v102
	s_cbranch_execz .LBB420_885
; %bb.882:                              ;   in Loop: Header=BB420_515 Depth=1
	v_and_b32_e32 v9, 7, v7
	v_lshrrev_b32_e32 v101, 3, v102
	s_mov_b32 s15, exec_lo
	v_cmpx_gt_u32_e32 8, v102
; %bb.883:                              ;   in Loop: Header=BB420_515 Depth=1
	s_delay_alu instid0(VALU_DEP_3) | instskip(NEXT) | instid1(VALU_DEP_1)
	v_clz_i32_u32_e32 v101, v9
	v_min_u32_e32 v101, 32, v101
	s_delay_alu instid0(VALU_DEP_1) | instskip(SKIP_1) | instid1(VALU_DEP_2)
	v_subrev_nc_u32_e32 v102, 28, v101
	v_sub_nc_u32_e32 v101, 29, v101
	v_lshlrev_b64 v[102:103], v102, v[9:10]
	s_delay_alu instid0(VALU_DEP_1)
	v_and_b32_e32 v9, 7, v102
; %bb.884:                              ;   in Loop: Header=BB420_515 Depth=1
	s_or_b32 exec_lo, exec_lo, s15
	v_lshlrev_b32_e32 v7, 24, v7
	s_delay_alu instid0(VALU_DEP_2) | instskip(SKIP_1) | instid1(VALU_DEP_3)
	v_lshlrev_b32_e32 v9, 20, v9
	v_lshl_add_u32 v101, v101, 23, 0x3c000000
	v_and_b32_e32 v7, 0x80000000, v7
	s_delay_alu instid0(VALU_DEP_1)
	v_or3_b32 v9, v9, v7, v101
.LBB420_885:                            ;   in Loop: Header=BB420_515 Depth=1
	s_or_b32 exec_lo, exec_lo, s13
.LBB420_886:                            ;   in Loop: Header=BB420_515 Depth=1
	s_delay_alu instid0(SALU_CYCLE_1)
	s_or_b32 exec_lo, exec_lo, s12
.LBB420_887:                            ;   in Loop: Header=BB420_515 Depth=1
	s_delay_alu instid0(SALU_CYCLE_1) | instskip(NEXT) | instid1(VALU_DEP_1)
	s_or_b32 exec_lo, exec_lo, s9
	v_mul_f32_e32 v7, v26, v9
                                        ; implicit-def: $vgpr101
	s_delay_alu instid0(VALU_DEP_1) | instskip(NEXT) | instid1(VALU_DEP_1)
	v_and_b32_e32 v9, 0x7f800000, v7
	v_cmp_ne_u32_e64 s0, 0x7f800000, v9
	s_delay_alu instid0(VALU_DEP_1) | instskip(NEXT) | instid1(SALU_CYCLE_1)
	s_and_saveexec_b32 s9, s0
	s_xor_b32 s0, exec_lo, s9
; %bb.888:                              ;   in Loop: Header=BB420_515 Depth=1
	v_bfe_u32 v9, v7, 16, 1
	s_delay_alu instid0(VALU_DEP_1)
	v_add3_u32 v101, v7, v9, 0x7fff
                                        ; implicit-def: $vgpr7
; %bb.889:                              ;   in Loop: Header=BB420_515 Depth=1
	s_and_not1_saveexec_b32 s9, s0
; %bb.890:                              ;   in Loop: Header=BB420_515 Depth=1
	v_and_b32_e32 v9, 0xffff, v7
	v_or_b32_e32 v101, 0x10000, v7
	s_delay_alu instid0(VALU_DEP_2) | instskip(NEXT) | instid1(VALU_DEP_1)
	v_cmp_eq_u32_e64 s0, 0, v9
	v_cndmask_b32_e64 v101, v101, v7, s0
; %bb.891:                              ;   in Loop: Header=BB420_515 Depth=1
	s_or_b32 exec_lo, exec_lo, s9
	v_mov_b32_e32 v7, 0
	s_mov_b32 s9, exec_lo
	v_cmpx_lt_u64_e64 s[2:3], v[2:3]
	s_cbranch_execz .LBB420_899
; %bb.892:                              ;   in Loop: Header=BB420_515 Depth=1
	v_lshrrev_b32_e32 v2, 24, v3
	v_bfrev_b32_e32 v7, 1
	s_mov_b32 s12, exec_lo
	s_delay_alu instid0(VALU_DEP_2)
	v_cmpx_ne_u32_e32 0x80, v2
	s_cbranch_execz .LBB420_898
; %bb.893:                              ;   in Loop: Header=BB420_515 Depth=1
	v_bfe_u32 v102, v3, 24, 7
	v_mov_b32_e32 v7, 0x7f800001
	s_mov_b32 s13, exec_lo
	s_delay_alu instid0(VALU_DEP_2)
	v_cmpx_ne_u32_e32 0x7f, v102
	s_cbranch_execz .LBB420_897
; %bb.894:                              ;   in Loop: Header=BB420_515 Depth=1
	v_and_b32_e32 v9, 7, v2
	v_lshrrev_b32_e32 v3, 3, v102
	s_mov_b32 s15, exec_lo
	v_cmpx_gt_u32_e32 8, v102
; %bb.895:                              ;   in Loop: Header=BB420_515 Depth=1
	s_delay_alu instid0(VALU_DEP_3) | instskip(NEXT) | instid1(VALU_DEP_1)
	v_clz_i32_u32_e32 v3, v9
	v_min_u32_e32 v3, 32, v3
	s_delay_alu instid0(VALU_DEP_1) | instskip(SKIP_1) | instid1(VALU_DEP_2)
	v_subrev_nc_u32_e32 v7, 28, v3
	v_sub_nc_u32_e32 v3, 29, v3
	v_lshlrev_b64 v[102:103], v7, v[9:10]
	s_delay_alu instid0(VALU_DEP_1)
	v_and_b32_e32 v9, 7, v102
; %bb.896:                              ;   in Loop: Header=BB420_515 Depth=1
	s_or_b32 exec_lo, exec_lo, s15
	v_lshlrev_b32_e32 v2, 24, v2
	s_delay_alu instid0(VALU_DEP_2) | instskip(SKIP_1) | instid1(VALU_DEP_3)
	v_lshlrev_b32_e32 v7, 20, v9
	v_lshl_add_u32 v3, v3, 23, 0x3c000000
	v_and_b32_e32 v2, 0x80000000, v2
	s_delay_alu instid0(VALU_DEP_1)
	v_or3_b32 v7, v7, v2, v3
.LBB420_897:                            ;   in Loop: Header=BB420_515 Depth=1
	s_or_b32 exec_lo, exec_lo, s13
.LBB420_898:                            ;   in Loop: Header=BB420_515 Depth=1
	s_delay_alu instid0(SALU_CYCLE_1)
	s_or_b32 exec_lo, exec_lo, s12
.LBB420_899:                            ;   in Loop: Header=BB420_515 Depth=1
	s_delay_alu instid0(SALU_CYCLE_1) | instskip(NEXT) | instid1(VALU_DEP_1)
	s_or_b32 exec_lo, exec_lo, s9
	v_mul_f32_e32 v3, v26, v7
	s_delay_alu instid0(VALU_DEP_1) | instskip(NEXT) | instid1(VALU_DEP_1)
	v_and_b32_e32 v2, 0x7f800000, v3
	v_cmp_ne_u32_e64 s0, 0x7f800000, v2
                                        ; implicit-def: $vgpr2
	s_delay_alu instid0(VALU_DEP_1) | instskip(NEXT) | instid1(SALU_CYCLE_1)
	s_and_saveexec_b32 s9, s0
	s_xor_b32 s0, exec_lo, s9
; %bb.900:                              ;   in Loop: Header=BB420_515 Depth=1
	v_bfe_u32 v2, v3, 16, 1
	s_delay_alu instid0(VALU_DEP_1)
	v_add3_u32 v2, v3, v2, 0x7fff
                                        ; implicit-def: $vgpr3
; %bb.901:                              ;   in Loop: Header=BB420_515 Depth=1
	s_and_not1_saveexec_b32 s9, s0
; %bb.902:                              ;   in Loop: Header=BB420_515 Depth=1
	v_and_b32_e32 v2, 0xffff, v3
	v_or_b32_e32 v7, 0x10000, v3
	s_delay_alu instid0(VALU_DEP_2) | instskip(NEXT) | instid1(VALU_DEP_1)
	v_cmp_eq_u32_e64 s0, 0, v2
	v_cndmask_b32_e64 v2, v7, v3, s0
; %bb.903:                              ;   in Loop: Header=BB420_515 Depth=1
	s_or_b32 exec_lo, exec_lo, s9
	v_lshrrev_b32_e32 v6, 16, v6
	v_lshrrev_b32_e32 v7, 16, v100
	;; [unrolled: 1-line block ×8, first 2 shown]
	s_and_saveexec_b32 s9, vcc_lo
	s_cbranch_execz .LBB420_905
; %bb.904:                              ;   in Loop: Header=BB420_515 Depth=1
	v_cmp_lt_i32_e64 s0, v49, v32
	s_delay_alu instid0(VALU_DEP_1) | instskip(SKIP_1) | instid1(VALU_DEP_1)
	v_cndmask_b32_e64 v96, 0, v96, s0
	v_cmp_lt_i32_e64 s0, v55, v32
	v_cndmask_b32_e64 v97, 0, v97, s0
	v_cmp_lt_i32_e64 s0, v54, v32
	s_delay_alu instid0(VALU_DEP_1) | instskip(SKIP_1) | instid1(VALU_DEP_1)
	v_cndmask_b32_e64 v98, 0, v98, s0
	v_cmp_lt_i32_e64 s0, v53, v32
	v_cndmask_b32_e64 v9, 0, v9, s0
	v_cmp_lt_i32_e64 s0, v52, v32
	s_delay_alu instid0(VALU_DEP_1) | instskip(SKIP_1) | instid1(VALU_DEP_1)
	v_cndmask_b32_e64 v7, 0, v7, s0
	v_cmp_lt_i32_e64 s0, v51, v32
	v_cndmask_b32_e64 v6, 0, v6, s0
	v_cmp_lt_i32_e64 s0, v50, v32
	s_delay_alu instid0(VALU_DEP_1) | instskip(SKIP_1) | instid1(VALU_DEP_1)
	v_cndmask_b32_e64 v3, 0, v3, s0
	v_cmp_lt_i32_e64 s0, v15, v32
	v_cndmask_b32_e64 v2, 0, v2, s0
.LBB420_905:                            ;   in Loop: Header=BB420_515 Depth=1
	s_or_b32 exec_lo, exec_lo, s9
	v_lshlrev_b32_e32 v96, 16, v96
	s_delay_alu instid0(VALU_DEP_1) | instskip(NEXT) | instid1(VALU_DEP_1)
	v_mul_f32_e32 v99, v64, v96
	v_and_b32_e32 v96, 0x7f800000, v99
	s_delay_alu instid0(VALU_DEP_1) | instskip(NEXT) | instid1(VALU_DEP_1)
	v_cmp_ne_u32_e64 s0, 0x7f800000, v96
                                        ; implicit-def: $vgpr96
	s_and_saveexec_b32 s9, s0
	s_delay_alu instid0(SALU_CYCLE_1)
	s_xor_b32 s0, exec_lo, s9
; %bb.906:                              ;   in Loop: Header=BB420_515 Depth=1
	v_bfe_u32 v96, v99, 16, 1
	s_delay_alu instid0(VALU_DEP_1)
	v_add3_u32 v96, v99, v96, 0x7fff
                                        ; implicit-def: $vgpr99
; %bb.907:                              ;   in Loop: Header=BB420_515 Depth=1
	s_and_not1_saveexec_b32 s9, s0
; %bb.908:                              ;   in Loop: Header=BB420_515 Depth=1
	v_and_b32_e32 v96, 0xffff, v99
	v_or_b32_e32 v100, 0x10000, v99
	s_delay_alu instid0(VALU_DEP_2) | instskip(NEXT) | instid1(VALU_DEP_1)
	v_cmp_eq_u32_e64 s0, 0, v96
	v_cndmask_b32_e64 v96, v100, v99, s0
; %bb.909:                              ;   in Loop: Header=BB420_515 Depth=1
	s_or_b32 exec_lo, exec_lo, s9
	v_lshlrev_b32_e32 v97, 16, v97
	s_delay_alu instid0(VALU_DEP_1) | instskip(NEXT) | instid1(VALU_DEP_1)
	v_mul_f32_e32 v99, v65, v97
	v_and_b32_e32 v97, 0x7f800000, v99
	s_delay_alu instid0(VALU_DEP_1) | instskip(NEXT) | instid1(VALU_DEP_1)
	v_cmp_ne_u32_e64 s0, 0x7f800000, v97
                                        ; implicit-def: $vgpr97
	s_and_saveexec_b32 s9, s0
	s_delay_alu instid0(SALU_CYCLE_1)
	s_xor_b32 s0, exec_lo, s9
; %bb.910:                              ;   in Loop: Header=BB420_515 Depth=1
	v_bfe_u32 v97, v99, 16, 1
	s_delay_alu instid0(VALU_DEP_1)
	v_add3_u32 v97, v99, v97, 0x7fff
                                        ; implicit-def: $vgpr99
; %bb.911:                              ;   in Loop: Header=BB420_515 Depth=1
	s_and_not1_saveexec_b32 s9, s0
; %bb.912:                              ;   in Loop: Header=BB420_515 Depth=1
	v_and_b32_e32 v97, 0xffff, v99
	v_or_b32_e32 v100, 0x10000, v99
	s_delay_alu instid0(VALU_DEP_2) | instskip(NEXT) | instid1(VALU_DEP_1)
	v_cmp_eq_u32_e64 s0, 0, v97
	v_cndmask_b32_e64 v97, v100, v99, s0
; %bb.913:                              ;   in Loop: Header=BB420_515 Depth=1
	s_or_b32 exec_lo, exec_lo, s9
	v_lshlrev_b32_e32 v98, 16, v98
	s_delay_alu instid0(VALU_DEP_1) | instskip(NEXT) | instid1(VALU_DEP_1)
	v_mul_f32_e32 v99, v66, v98
	v_and_b32_e32 v98, 0x7f800000, v99
	s_delay_alu instid0(VALU_DEP_1) | instskip(NEXT) | instid1(VALU_DEP_1)
	v_cmp_ne_u32_e64 s0, 0x7f800000, v98
                                        ; implicit-def: $vgpr98
	s_and_saveexec_b32 s9, s0
	s_delay_alu instid0(SALU_CYCLE_1)
	s_xor_b32 s0, exec_lo, s9
; %bb.914:                              ;   in Loop: Header=BB420_515 Depth=1
	v_bfe_u32 v98, v99, 16, 1
	s_delay_alu instid0(VALU_DEP_1)
	v_add3_u32 v98, v99, v98, 0x7fff
                                        ; implicit-def: $vgpr99
; %bb.915:                              ;   in Loop: Header=BB420_515 Depth=1
	s_and_not1_saveexec_b32 s9, s0
; %bb.916:                              ;   in Loop: Header=BB420_515 Depth=1
	v_and_b32_e32 v98, 0xffff, v99
	v_or_b32_e32 v100, 0x10000, v99
	s_delay_alu instid0(VALU_DEP_2) | instskip(NEXT) | instid1(VALU_DEP_1)
	v_cmp_eq_u32_e64 s0, 0, v98
	v_cndmask_b32_e64 v98, v100, v99, s0
; %bb.917:                              ;   in Loop: Header=BB420_515 Depth=1
	s_or_b32 exec_lo, exec_lo, s9
	v_lshlrev_b32_e32 v9, 16, v9
	s_delay_alu instid0(VALU_DEP_1) | instskip(NEXT) | instid1(VALU_DEP_1)
	v_mul_f32_e32 v9, v67, v9
	v_and_b32_e32 v99, 0x7f800000, v9
	s_delay_alu instid0(VALU_DEP_1) | instskip(NEXT) | instid1(VALU_DEP_1)
	v_cmp_ne_u32_e64 s0, 0x7f800000, v99
                                        ; implicit-def: $vgpr99
	s_and_saveexec_b32 s9, s0
	s_delay_alu instid0(SALU_CYCLE_1)
	s_xor_b32 s0, exec_lo, s9
; %bb.918:                              ;   in Loop: Header=BB420_515 Depth=1
	v_bfe_u32 v99, v9, 16, 1
	s_delay_alu instid0(VALU_DEP_1)
	v_add3_u32 v99, v9, v99, 0x7fff
                                        ; implicit-def: $vgpr9
; %bb.919:                              ;   in Loop: Header=BB420_515 Depth=1
	s_and_not1_saveexec_b32 s9, s0
; %bb.920:                              ;   in Loop: Header=BB420_515 Depth=1
	v_and_b32_e32 v99, 0xffff, v9
	v_or_b32_e32 v100, 0x10000, v9
	s_delay_alu instid0(VALU_DEP_2) | instskip(NEXT) | instid1(VALU_DEP_1)
	v_cmp_eq_u32_e64 s0, 0, v99
	v_cndmask_b32_e64 v99, v100, v9, s0
; %bb.921:                              ;   in Loop: Header=BB420_515 Depth=1
	s_or_b32 exec_lo, exec_lo, s9
	v_lshlrev_b32_e32 v7, 16, v7
                                        ; implicit-def: $vgpr100
	s_delay_alu instid0(VALU_DEP_1) | instskip(NEXT) | instid1(VALU_DEP_1)
	v_mul_f32_e32 v7, v68, v7
	v_and_b32_e32 v9, 0x7f800000, v7
	s_delay_alu instid0(VALU_DEP_1) | instskip(NEXT) | instid1(VALU_DEP_1)
	v_cmp_ne_u32_e64 s0, 0x7f800000, v9
	s_and_saveexec_b32 s9, s0
	s_delay_alu instid0(SALU_CYCLE_1)
	s_xor_b32 s0, exec_lo, s9
; %bb.922:                              ;   in Loop: Header=BB420_515 Depth=1
	v_bfe_u32 v9, v7, 16, 1
	s_delay_alu instid0(VALU_DEP_1)
	v_add3_u32 v100, v7, v9, 0x7fff
                                        ; implicit-def: $vgpr7
; %bb.923:                              ;   in Loop: Header=BB420_515 Depth=1
	s_and_not1_saveexec_b32 s9, s0
; %bb.924:                              ;   in Loop: Header=BB420_515 Depth=1
	v_and_b32_e32 v9, 0xffff, v7
	v_or_b32_e32 v100, 0x10000, v7
	s_delay_alu instid0(VALU_DEP_2) | instskip(NEXT) | instid1(VALU_DEP_1)
	v_cmp_eq_u32_e64 s0, 0, v9
	v_cndmask_b32_e64 v100, v100, v7, s0
; %bb.925:                              ;   in Loop: Header=BB420_515 Depth=1
	s_or_b32 exec_lo, exec_lo, s9
	v_lshlrev_b32_e32 v6, 16, v6
                                        ; implicit-def: $vgpr101
	s_delay_alu instid0(VALU_DEP_1) | instskip(NEXT) | instid1(VALU_DEP_1)
	v_mul_f32_e32 v6, v69, v6
	v_and_b32_e32 v7, 0x7f800000, v6
	s_delay_alu instid0(VALU_DEP_1) | instskip(NEXT) | instid1(VALU_DEP_1)
	v_cmp_ne_u32_e64 s0, 0x7f800000, v7
	s_and_saveexec_b32 s9, s0
	s_delay_alu instid0(SALU_CYCLE_1)
	s_xor_b32 s0, exec_lo, s9
; %bb.926:                              ;   in Loop: Header=BB420_515 Depth=1
	v_bfe_u32 v7, v6, 16, 1
	s_delay_alu instid0(VALU_DEP_1)
	v_add3_u32 v101, v6, v7, 0x7fff
                                        ; implicit-def: $vgpr6
; %bb.927:                              ;   in Loop: Header=BB420_515 Depth=1
	s_and_not1_saveexec_b32 s9, s0
; %bb.928:                              ;   in Loop: Header=BB420_515 Depth=1
	v_and_b32_e32 v7, 0xffff, v6
	v_or_b32_e32 v9, 0x10000, v6
	s_delay_alu instid0(VALU_DEP_2) | instskip(NEXT) | instid1(VALU_DEP_1)
	v_cmp_eq_u32_e64 s0, 0, v7
	v_cndmask_b32_e64 v101, v9, v6, s0
; %bb.929:                              ;   in Loop: Header=BB420_515 Depth=1
	s_or_b32 exec_lo, exec_lo, s9
	v_lshlrev_b32_e32 v3, 16, v3
                                        ; implicit-def: $vgpr102
	s_delay_alu instid0(VALU_DEP_1) | instskip(NEXT) | instid1(VALU_DEP_1)
	v_mul_f32_e32 v3, v70, v3
	v_and_b32_e32 v6, 0x7f800000, v3
	s_delay_alu instid0(VALU_DEP_1) | instskip(NEXT) | instid1(VALU_DEP_1)
	v_cmp_ne_u32_e64 s0, 0x7f800000, v6
	s_and_saveexec_b32 s9, s0
	s_delay_alu instid0(SALU_CYCLE_1)
	s_xor_b32 s0, exec_lo, s9
; %bb.930:                              ;   in Loop: Header=BB420_515 Depth=1
	v_bfe_u32 v6, v3, 16, 1
	s_delay_alu instid0(VALU_DEP_1)
	v_add3_u32 v102, v3, v6, 0x7fff
                                        ; implicit-def: $vgpr3
; %bb.931:                              ;   in Loop: Header=BB420_515 Depth=1
	s_and_not1_saveexec_b32 s9, s0
; %bb.932:                              ;   in Loop: Header=BB420_515 Depth=1
	v_and_b32_e32 v6, 0xffff, v3
	v_or_b32_e32 v7, 0x10000, v3
	s_delay_alu instid0(VALU_DEP_2) | instskip(NEXT) | instid1(VALU_DEP_1)
	v_cmp_eq_u32_e64 s0, 0, v6
	v_cndmask_b32_e64 v102, v7, v3, s0
; %bb.933:                              ;   in Loop: Header=BB420_515 Depth=1
	s_or_b32 exec_lo, exec_lo, s9
	v_lshlrev_b32_e32 v2, 16, v2
                                        ; implicit-def: $vgpr103
	s_delay_alu instid0(VALU_DEP_1) | instskip(NEXT) | instid1(VALU_DEP_1)
	v_mul_f32_e32 v2, v71, v2
	v_and_b32_e32 v3, 0x7f800000, v2
	s_delay_alu instid0(VALU_DEP_1) | instskip(NEXT) | instid1(VALU_DEP_1)
	v_cmp_ne_u32_e64 s0, 0x7f800000, v3
	s_and_saveexec_b32 s9, s0
	s_delay_alu instid0(SALU_CYCLE_1)
	s_xor_b32 s0, exec_lo, s9
; %bb.934:                              ;   in Loop: Header=BB420_515 Depth=1
	v_bfe_u32 v3, v2, 16, 1
	s_delay_alu instid0(VALU_DEP_1)
	v_add3_u32 v103, v2, v3, 0x7fff
                                        ; implicit-def: $vgpr2
; %bb.935:                              ;   in Loop: Header=BB420_515 Depth=1
	s_and_not1_saveexec_b32 s9, s0
; %bb.936:                              ;   in Loop: Header=BB420_515 Depth=1
	v_and_b32_e32 v3, 0xffff, v2
	v_or_b32_e32 v6, 0x10000, v2
	s_delay_alu instid0(VALU_DEP_2) | instskip(NEXT) | instid1(VALU_DEP_1)
	v_cmp_eq_u32_e64 s0, 0, v3
	v_cndmask_b32_e64 v103, v6, v2, s0
; %bb.937:                              ;   in Loop: Header=BB420_515 Depth=1
	s_or_b32 exec_lo, exec_lo, s9
	flat_load_b64 v[2:3], v[0:1] offset:768
	s_mov_b32 s9, exec_lo
	s_waitcnt vmcnt(0) lgkmcnt(0)
	v_dual_mov_b32 v6, 0 :: v_dual_and_b32 v7, 0xff, v2
	s_delay_alu instid0(VALU_DEP_1)
	v_cmpx_ne_u16_e32 0, v7
	s_cbranch_execz .LBB420_945
; %bb.938:                              ;   in Loop: Header=BB420_515 Depth=1
	v_bfrev_b32_e32 v6, 1
	s_mov_b32 s12, exec_lo
	v_cmpx_ne_u16_e32 0x80, v7
	s_cbranch_execz .LBB420_944
; %bb.939:                              ;   in Loop: Header=BB420_515 Depth=1
	v_and_b32_e32 v7, 0x7f, v2
	v_mov_b32_e32 v6, 0x7f800001
	s_mov_b32 s13, exec_lo
	s_delay_alu instid0(VALU_DEP_2)
	v_cmpx_ne_u32_e32 0x7f, v7
	s_cbranch_execz .LBB420_943
; %bb.940:                              ;   in Loop: Header=BB420_515 Depth=1
	v_lshrrev_b32_e32 v9, 3, v7
	v_cmp_gt_u32_e64 s0, 8, v7
	v_dual_mov_b32 v7, v3 :: v_dual_mov_b32 v6, v2
	s_delay_alu instid0(VALU_DEP_2)
	s_and_saveexec_b32 s15, s0
; %bb.941:                              ;   in Loop: Header=BB420_515 Depth=1
	v_and_b32_e32 v6, 7, v2
	s_delay_alu instid0(VALU_DEP_1) | instskip(NEXT) | instid1(VALU_DEP_1)
	v_clz_i32_u32_e32 v6, v6
	v_min_u32_e32 v9, 32, v6
	s_delay_alu instid0(VALU_DEP_1) | instskip(SKIP_1) | instid1(VALU_DEP_2)
	v_subrev_nc_u32_e32 v6, 28, v9
	v_sub_nc_u32_e32 v9, 29, v9
	v_lshlrev_b64 v[6:7], v6, v[2:3]
; %bb.942:                              ;   in Loop: Header=BB420_515 Depth=1
	s_or_b32 exec_lo, exec_lo, s15
	s_delay_alu instid0(VALU_DEP_1) | instskip(SKIP_2) | instid1(VALU_DEP_3)
	v_lshlrev_b32_e32 v6, 20, v6
	v_lshlrev_b32_e32 v7, 24, v2
	v_lshl_add_u32 v9, v9, 23, 0x3c000000
	v_and_b32_e32 v6, 0x700000, v6
	s_delay_alu instid0(VALU_DEP_3) | instskip(NEXT) | instid1(VALU_DEP_1)
	v_and_b32_e32 v7, 0x80000000, v7
	v_or3_b32 v6, v6, v7, v9
.LBB420_943:                            ;   in Loop: Header=BB420_515 Depth=1
	s_or_b32 exec_lo, exec_lo, s13
.LBB420_944:                            ;   in Loop: Header=BB420_515 Depth=1
	s_delay_alu instid0(SALU_CYCLE_1)
	s_or_b32 exec_lo, exec_lo, s12
.LBB420_945:                            ;   in Loop: Header=BB420_515 Depth=1
	s_delay_alu instid0(SALU_CYCLE_1) | instskip(NEXT) | instid1(VALU_DEP_1)
	s_or_b32 exec_lo, exec_lo, s9
	v_mul_f32_e32 v6, v26, v6
                                        ; implicit-def: $vgpr112
	s_delay_alu instid0(VALU_DEP_1) | instskip(NEXT) | instid1(VALU_DEP_1)
	v_and_b32_e32 v7, 0x7f800000, v6
	v_cmp_ne_u32_e64 s0, 0x7f800000, v7
	s_delay_alu instid0(VALU_DEP_1) | instskip(NEXT) | instid1(SALU_CYCLE_1)
	s_and_saveexec_b32 s9, s0
	s_xor_b32 s0, exec_lo, s9
; %bb.946:                              ;   in Loop: Header=BB420_515 Depth=1
	v_bfe_u32 v7, v6, 16, 1
	s_delay_alu instid0(VALU_DEP_1)
	v_add3_u32 v112, v6, v7, 0x7fff
                                        ; implicit-def: $vgpr6
; %bb.947:                              ;   in Loop: Header=BB420_515 Depth=1
	s_and_not1_saveexec_b32 s9, s0
; %bb.948:                              ;   in Loop: Header=BB420_515 Depth=1
	v_and_b32_e32 v7, 0xffff, v6
	v_or_b32_e32 v9, 0x10000, v6
	s_delay_alu instid0(VALU_DEP_2) | instskip(NEXT) | instid1(VALU_DEP_1)
	v_cmp_eq_u32_e64 s0, 0, v7
	v_cndmask_b32_e64 v112, v9, v6, s0
; %bb.949:                              ;   in Loop: Header=BB420_515 Depth=1
	s_or_b32 exec_lo, exec_lo, s9
	v_lshrrev_b16 v7, 8, v2
	v_mov_b32_e32 v6, 0
	s_mov_b32 s9, exec_lo
	s_delay_alu instid0(VALU_DEP_2)
	v_cmpx_ne_u16_e32 0, v7
	s_cbranch_execz .LBB420_957
; %bb.950:                              ;   in Loop: Header=BB420_515 Depth=1
	v_bfrev_b32_e32 v6, 1
	s_mov_b32 s12, exec_lo
	v_cmpx_ne_u16_e32 0x80, v7
	s_cbranch_execz .LBB420_956
; %bb.951:                              ;   in Loop: Header=BB420_515 Depth=1
	v_and_b32_e32 v9, 0xffff, v7
	v_mov_b32_e32 v6, 0x7f800001
	s_mov_b32 s13, exec_lo
	s_delay_alu instid0(VALU_DEP_2) | instskip(NEXT) | instid1(VALU_DEP_1)
	v_and_b32_e32 v7, 0x7f, v9
	v_cmpx_ne_u32_e32 0x7f, v7
	s_cbranch_execz .LBB420_955
; %bb.952:                              ;   in Loop: Header=BB420_515 Depth=1
	v_and_b32_e32 v9, 7, v9
	v_lshrrev_b32_e32 v6, 3, v7
	s_mov_b32 s15, exec_lo
	v_cmpx_gt_u32_e32 8, v7
; %bb.953:                              ;   in Loop: Header=BB420_515 Depth=1
	s_delay_alu instid0(VALU_DEP_3) | instskip(NEXT) | instid1(VALU_DEP_1)
	v_clz_i32_u32_e32 v6, v9
	v_min_u32_e32 v6, 32, v6
	s_delay_alu instid0(VALU_DEP_1) | instskip(SKIP_1) | instid1(VALU_DEP_2)
	v_subrev_nc_u32_e32 v7, 28, v6
	v_sub_nc_u32_e32 v6, 29, v6
	v_lshlrev_b64 v[113:114], v7, v[9:10]
	s_delay_alu instid0(VALU_DEP_1)
	v_and_b32_e32 v9, 7, v113
; %bb.954:                              ;   in Loop: Header=BB420_515 Depth=1
	s_or_b32 exec_lo, exec_lo, s15
	v_lshlrev_b32_e32 v7, 16, v2
	s_delay_alu instid0(VALU_DEP_2) | instskip(SKIP_1) | instid1(VALU_DEP_3)
	v_lshlrev_b32_e32 v9, 20, v9
	v_lshl_add_u32 v6, v6, 23, 0x3c000000
	v_and_b32_e32 v7, 0x80000000, v7
	s_delay_alu instid0(VALU_DEP_1)
	v_or3_b32 v6, v9, v7, v6
.LBB420_955:                            ;   in Loop: Header=BB420_515 Depth=1
	s_or_b32 exec_lo, exec_lo, s13
.LBB420_956:                            ;   in Loop: Header=BB420_515 Depth=1
	s_delay_alu instid0(SALU_CYCLE_1)
	s_or_b32 exec_lo, exec_lo, s12
.LBB420_957:                            ;   in Loop: Header=BB420_515 Depth=1
	s_delay_alu instid0(SALU_CYCLE_1) | instskip(NEXT) | instid1(VALU_DEP_1)
	s_or_b32 exec_lo, exec_lo, s9
	v_mul_f32_e32 v6, v26, v6
                                        ; implicit-def: $vgpr113
	s_delay_alu instid0(VALU_DEP_1) | instskip(NEXT) | instid1(VALU_DEP_1)
	v_and_b32_e32 v7, 0x7f800000, v6
	v_cmp_ne_u32_e64 s0, 0x7f800000, v7
	s_delay_alu instid0(VALU_DEP_1) | instskip(NEXT) | instid1(SALU_CYCLE_1)
	s_and_saveexec_b32 s9, s0
	s_xor_b32 s0, exec_lo, s9
; %bb.958:                              ;   in Loop: Header=BB420_515 Depth=1
	v_bfe_u32 v7, v6, 16, 1
	s_delay_alu instid0(VALU_DEP_1)
	v_add3_u32 v113, v6, v7, 0x7fff
                                        ; implicit-def: $vgpr6
; %bb.959:                              ;   in Loop: Header=BB420_515 Depth=1
	s_and_not1_saveexec_b32 s9, s0
; %bb.960:                              ;   in Loop: Header=BB420_515 Depth=1
	v_and_b32_e32 v7, 0xffff, v6
	v_or_b32_e32 v9, 0x10000, v6
	s_delay_alu instid0(VALU_DEP_2) | instskip(NEXT) | instid1(VALU_DEP_1)
	v_cmp_eq_u32_e64 s0, 0, v7
	v_cndmask_b32_e64 v113, v9, v6, s0
; %bb.961:                              ;   in Loop: Header=BB420_515 Depth=1
	s_or_b32 exec_lo, exec_lo, s9
	v_lshrrev_b32_e32 v6, 16, v2
	v_mov_b32_e32 v7, 0
	s_mov_b32 s9, exec_lo
	s_delay_alu instid0(VALU_DEP_2) | instskip(NEXT) | instid1(VALU_DEP_1)
	v_and_b32_e32 v9, 0xff, v6
	v_cmpx_ne_u16_e32 0, v9
	s_cbranch_execz .LBB420_969
; %bb.962:                              ;   in Loop: Header=BB420_515 Depth=1
	v_bfrev_b32_e32 v7, 1
	s_mov_b32 s12, exec_lo
	v_cmpx_ne_u16_e32 0x80, v9
	s_cbranch_execz .LBB420_968
; %bb.963:                              ;   in Loop: Header=BB420_515 Depth=1
	v_bfe_u32 v114, v2, 16, 7
	v_mov_b32_e32 v7, 0x7f800001
	s_mov_b32 s13, exec_lo
	s_delay_alu instid0(VALU_DEP_2)
	v_cmpx_ne_u32_e32 0x7f, v114
	s_cbranch_execz .LBB420_967
; %bb.964:                              ;   in Loop: Header=BB420_515 Depth=1
	v_and_b32_e32 v9, 7, v6
	v_lshrrev_b32_e32 v7, 3, v114
	s_mov_b32 s15, exec_lo
	v_cmpx_gt_u32_e32 8, v114
; %bb.965:                              ;   in Loop: Header=BB420_515 Depth=1
	s_delay_alu instid0(VALU_DEP_3) | instskip(NEXT) | instid1(VALU_DEP_1)
	v_clz_i32_u32_e32 v7, v9
	v_min_u32_e32 v7, 32, v7
	s_delay_alu instid0(VALU_DEP_1) | instskip(SKIP_1) | instid1(VALU_DEP_2)
	v_subrev_nc_u32_e32 v114, 28, v7
	v_sub_nc_u32_e32 v7, 29, v7
	v_lshlrev_b64 v[114:115], v114, v[9:10]
	s_delay_alu instid0(VALU_DEP_1)
	v_and_b32_e32 v9, 7, v114
; %bb.966:                              ;   in Loop: Header=BB420_515 Depth=1
	s_or_b32 exec_lo, exec_lo, s15
	v_lshlrev_b32_e32 v6, 24, v6
	s_delay_alu instid0(VALU_DEP_2) | instskip(SKIP_1) | instid1(VALU_DEP_3)
	v_lshlrev_b32_e32 v9, 20, v9
	v_lshl_add_u32 v7, v7, 23, 0x3c000000
	v_and_b32_e32 v6, 0x80000000, v6
	s_delay_alu instid0(VALU_DEP_1)
	v_or3_b32 v7, v9, v6, v7
.LBB420_967:                            ;   in Loop: Header=BB420_515 Depth=1
	s_or_b32 exec_lo, exec_lo, s13
.LBB420_968:                            ;   in Loop: Header=BB420_515 Depth=1
	s_delay_alu instid0(SALU_CYCLE_1)
	s_or_b32 exec_lo, exec_lo, s12
.LBB420_969:                            ;   in Loop: Header=BB420_515 Depth=1
	s_delay_alu instid0(SALU_CYCLE_1) | instskip(NEXT) | instid1(VALU_DEP_1)
	s_or_b32 exec_lo, exec_lo, s9
	v_mul_f32_e32 v6, v26, v7
                                        ; implicit-def: $vgpr114
	s_delay_alu instid0(VALU_DEP_1) | instskip(NEXT) | instid1(VALU_DEP_1)
	v_and_b32_e32 v7, 0x7f800000, v6
	v_cmp_ne_u32_e64 s0, 0x7f800000, v7
	s_delay_alu instid0(VALU_DEP_1) | instskip(NEXT) | instid1(SALU_CYCLE_1)
	s_and_saveexec_b32 s9, s0
	s_xor_b32 s0, exec_lo, s9
; %bb.970:                              ;   in Loop: Header=BB420_515 Depth=1
	v_bfe_u32 v7, v6, 16, 1
	s_delay_alu instid0(VALU_DEP_1)
	v_add3_u32 v114, v6, v7, 0x7fff
                                        ; implicit-def: $vgpr6
; %bb.971:                              ;   in Loop: Header=BB420_515 Depth=1
	s_and_not1_saveexec_b32 s9, s0
; %bb.972:                              ;   in Loop: Header=BB420_515 Depth=1
	v_and_b32_e32 v7, 0xffff, v6
	v_or_b32_e32 v9, 0x10000, v6
	s_delay_alu instid0(VALU_DEP_2) | instskip(NEXT) | instid1(VALU_DEP_1)
	v_cmp_eq_u32_e64 s0, 0, v7
	v_cndmask_b32_e64 v114, v9, v6, s0
; %bb.973:                              ;   in Loop: Header=BB420_515 Depth=1
	s_or_b32 exec_lo, exec_lo, s9
	v_mov_b32_e32 v7, 0
	s_mov_b32 s9, exec_lo
	v_cmpx_lt_u32_e32 0xffffff, v2
	s_cbranch_execz .LBB420_981
; %bb.974:                              ;   in Loop: Header=BB420_515 Depth=1
	v_lshrrev_b32_e32 v6, 24, v2
	v_bfrev_b32_e32 v7, 1
	s_mov_b32 s12, exec_lo
	s_delay_alu instid0(VALU_DEP_2)
	v_cmpx_ne_u32_e32 0x80, v6
	s_cbranch_execz .LBB420_980
; %bb.975:                              ;   in Loop: Header=BB420_515 Depth=1
	v_bfe_u32 v115, v2, 24, 7
	v_mov_b32_e32 v7, 0x7f800001
	s_mov_b32 s13, exec_lo
	s_delay_alu instid0(VALU_DEP_2)
	v_cmpx_ne_u32_e32 0x7f, v115
	s_cbranch_execz .LBB420_979
; %bb.976:                              ;   in Loop: Header=BB420_515 Depth=1
	v_and_b32_e32 v9, 7, v6
	v_lshrrev_b32_e32 v7, 3, v115
	s_mov_b32 s15, exec_lo
	v_cmpx_gt_u32_e32 8, v115
; %bb.977:                              ;   in Loop: Header=BB420_515 Depth=1
	s_delay_alu instid0(VALU_DEP_3) | instskip(NEXT) | instid1(VALU_DEP_1)
	v_clz_i32_u32_e32 v7, v9
	v_min_u32_e32 v7, 32, v7
	s_delay_alu instid0(VALU_DEP_1) | instskip(SKIP_1) | instid1(VALU_DEP_2)
	v_subrev_nc_u32_e32 v115, 28, v7
	v_sub_nc_u32_e32 v7, 29, v7
	v_lshlrev_b64 v[115:116], v115, v[9:10]
	s_delay_alu instid0(VALU_DEP_1)
	v_and_b32_e32 v9, 7, v115
; %bb.978:                              ;   in Loop: Header=BB420_515 Depth=1
	s_or_b32 exec_lo, exec_lo, s15
	v_lshlrev_b32_e32 v6, 24, v6
	s_delay_alu instid0(VALU_DEP_2) | instskip(SKIP_1) | instid1(VALU_DEP_3)
	v_lshlrev_b32_e32 v9, 20, v9
	v_lshl_add_u32 v7, v7, 23, 0x3c000000
	v_and_b32_e32 v6, 0x80000000, v6
	s_delay_alu instid0(VALU_DEP_1)
	v_or3_b32 v7, v9, v6, v7
.LBB420_979:                            ;   in Loop: Header=BB420_515 Depth=1
	s_or_b32 exec_lo, exec_lo, s13
.LBB420_980:                            ;   in Loop: Header=BB420_515 Depth=1
	s_delay_alu instid0(SALU_CYCLE_1)
	s_or_b32 exec_lo, exec_lo, s12
.LBB420_981:                            ;   in Loop: Header=BB420_515 Depth=1
	s_delay_alu instid0(SALU_CYCLE_1) | instskip(NEXT) | instid1(VALU_DEP_1)
	s_or_b32 exec_lo, exec_lo, s9
	v_mul_f32_e32 v6, v26, v7
                                        ; implicit-def: $vgpr115
	s_delay_alu instid0(VALU_DEP_1) | instskip(NEXT) | instid1(VALU_DEP_1)
	v_and_b32_e32 v7, 0x7f800000, v6
	v_cmp_ne_u32_e64 s0, 0x7f800000, v7
	s_delay_alu instid0(VALU_DEP_1) | instskip(NEXT) | instid1(SALU_CYCLE_1)
	s_and_saveexec_b32 s9, s0
	s_xor_b32 s0, exec_lo, s9
; %bb.982:                              ;   in Loop: Header=BB420_515 Depth=1
	v_bfe_u32 v7, v6, 16, 1
	s_delay_alu instid0(VALU_DEP_1)
	v_add3_u32 v115, v6, v7, 0x7fff
                                        ; implicit-def: $vgpr6
; %bb.983:                              ;   in Loop: Header=BB420_515 Depth=1
	s_and_not1_saveexec_b32 s9, s0
; %bb.984:                              ;   in Loop: Header=BB420_515 Depth=1
	v_and_b32_e32 v7, 0xffff, v6
	v_or_b32_e32 v9, 0x10000, v6
	s_delay_alu instid0(VALU_DEP_2) | instskip(NEXT) | instid1(VALU_DEP_1)
	v_cmp_eq_u32_e64 s0, 0, v7
	v_cndmask_b32_e64 v115, v9, v6, s0
; %bb.985:                              ;   in Loop: Header=BB420_515 Depth=1
	s_or_b32 exec_lo, exec_lo, s9
	v_dual_mov_b32 v6, 0 :: v_dual_and_b32 v7, 0xff, v3
	v_mov_b32_e32 v9, v3
	s_mov_b32 s9, exec_lo
	s_delay_alu instid0(VALU_DEP_2)
	v_cmpx_ne_u16_e32 0, v7
	s_cbranch_execz .LBB420_993
; %bb.986:                              ;   in Loop: Header=BB420_515 Depth=1
	v_bfrev_b32_e32 v6, 1
	s_mov_b32 s12, exec_lo
	v_cmpx_ne_u16_e32 0x80, v7
	s_cbranch_execz .LBB420_992
; %bb.987:                              ;   in Loop: Header=BB420_515 Depth=1
	v_and_b32_e32 v7, 0x7f, v3
	v_mov_b32_e32 v6, 0x7f800001
	s_mov_b32 s13, exec_lo
	s_delay_alu instid0(VALU_DEP_2)
	v_cmpx_ne_u32_e32 0x7f, v7
	s_cbranch_execz .LBB420_991
; %bb.988:                              ;   in Loop: Header=BB420_515 Depth=1
	v_lshrrev_b32_e32 v116, 3, v7
	v_cmp_gt_u32_e64 s0, 8, v7
	v_dual_mov_b32 v6, v9 :: v_dual_mov_b32 v7, v10
	s_delay_alu instid0(VALU_DEP_2)
	s_and_saveexec_b32 s15, s0
; %bb.989:                              ;   in Loop: Header=BB420_515 Depth=1
	v_and_b32_e32 v6, 7, v3
	s_delay_alu instid0(VALU_DEP_1) | instskip(NEXT) | instid1(VALU_DEP_1)
	v_clz_i32_u32_e32 v6, v6
	v_min_u32_e32 v116, 32, v6
	s_delay_alu instid0(VALU_DEP_1) | instskip(SKIP_1) | instid1(VALU_DEP_2)
	v_subrev_nc_u32_e32 v6, 28, v116
	v_sub_nc_u32_e32 v116, 29, v116
	v_lshlrev_b64 v[6:7], v6, v[9:10]
; %bb.990:                              ;   in Loop: Header=BB420_515 Depth=1
	s_or_b32 exec_lo, exec_lo, s15
	s_delay_alu instid0(VALU_DEP_1) | instskip(SKIP_2) | instid1(VALU_DEP_3)
	v_lshlrev_b32_e32 v6, 20, v6
	v_lshlrev_b32_e32 v7, 24, v9
	v_lshl_add_u32 v116, v116, 23, 0x3c000000
	v_and_b32_e32 v6, 0x700000, v6
	s_delay_alu instid0(VALU_DEP_3) | instskip(NEXT) | instid1(VALU_DEP_1)
	v_and_b32_e32 v7, 0x80000000, v7
	v_or3_b32 v6, v6, v7, v116
.LBB420_991:                            ;   in Loop: Header=BB420_515 Depth=1
	s_or_b32 exec_lo, exec_lo, s13
.LBB420_992:                            ;   in Loop: Header=BB420_515 Depth=1
	s_delay_alu instid0(SALU_CYCLE_1)
	s_or_b32 exec_lo, exec_lo, s12
.LBB420_993:                            ;   in Loop: Header=BB420_515 Depth=1
	s_delay_alu instid0(SALU_CYCLE_1) | instskip(NEXT) | instid1(VALU_DEP_1)
	s_or_b32 exec_lo, exec_lo, s9
	v_mul_f32_e32 v6, v26, v6
                                        ; implicit-def: $vgpr116
	s_delay_alu instid0(VALU_DEP_1) | instskip(NEXT) | instid1(VALU_DEP_1)
	v_and_b32_e32 v7, 0x7f800000, v6
	v_cmp_ne_u32_e64 s0, 0x7f800000, v7
	s_delay_alu instid0(VALU_DEP_1) | instskip(NEXT) | instid1(SALU_CYCLE_1)
	s_and_saveexec_b32 s9, s0
	s_xor_b32 s0, exec_lo, s9
; %bb.994:                              ;   in Loop: Header=BB420_515 Depth=1
	v_bfe_u32 v7, v6, 16, 1
	s_delay_alu instid0(VALU_DEP_1)
	v_add3_u32 v116, v6, v7, 0x7fff
                                        ; implicit-def: $vgpr6
; %bb.995:                              ;   in Loop: Header=BB420_515 Depth=1
	s_and_not1_saveexec_b32 s9, s0
; %bb.996:                              ;   in Loop: Header=BB420_515 Depth=1
	v_and_b32_e32 v7, 0xffff, v6
	v_or_b32_e32 v116, 0x10000, v6
	s_delay_alu instid0(VALU_DEP_2) | instskip(NEXT) | instid1(VALU_DEP_1)
	v_cmp_eq_u32_e64 s0, 0, v7
	v_cndmask_b32_e64 v116, v116, v6, s0
; %bb.997:                              ;   in Loop: Header=BB420_515 Depth=1
	s_or_b32 exec_lo, exec_lo, s9
	v_lshrrev_b16 v7, 8, v9
	v_mov_b32_e32 v6, 0
	s_mov_b32 s9, exec_lo
	s_delay_alu instid0(VALU_DEP_2)
	v_cmpx_ne_u16_e32 0, v7
	s_cbranch_execz .LBB420_1005
; %bb.998:                              ;   in Loop: Header=BB420_515 Depth=1
	v_bfrev_b32_e32 v6, 1
	s_mov_b32 s12, exec_lo
	v_cmpx_ne_u16_e32 0x80, v7
	s_cbranch_execz .LBB420_1004
; %bb.999:                              ;   in Loop: Header=BB420_515 Depth=1
	v_and_b32_e32 v7, 0xffff, v7
	v_mov_b32_e32 v6, 0x7f800001
	s_mov_b32 s13, exec_lo
	s_delay_alu instid0(VALU_DEP_2) | instskip(NEXT) | instid1(VALU_DEP_1)
	v_and_b32_e32 v118, 0x7f, v7
	v_cmpx_ne_u32_e32 0x7f, v118
	s_cbranch_execz .LBB420_1003
; %bb.1000:                             ;   in Loop: Header=BB420_515 Depth=1
	v_dual_mov_b32 v7, v10 :: v_dual_and_b32 v6, 7, v7
	v_lshrrev_b32_e32 v117, 3, v118
	s_mov_b32 s15, exec_lo
	v_cmpx_gt_u32_e32 8, v118
; %bb.1001:                             ;   in Loop: Header=BB420_515 Depth=1
	s_delay_alu instid0(VALU_DEP_3) | instskip(NEXT) | instid1(VALU_DEP_1)
	v_clz_i32_u32_e32 v117, v6
	v_min_u32_e32 v117, 32, v117
	s_delay_alu instid0(VALU_DEP_1) | instskip(SKIP_1) | instid1(VALU_DEP_2)
	v_subrev_nc_u32_e32 v118, 28, v117
	v_sub_nc_u32_e32 v117, 29, v117
	v_lshlrev_b64 v[6:7], v118, v[6:7]
	s_delay_alu instid0(VALU_DEP_1)
	v_and_b32_e32 v6, 7, v6
; %bb.1002:                             ;   in Loop: Header=BB420_515 Depth=1
	s_or_b32 exec_lo, exec_lo, s15
	v_lshlrev_b32_e32 v7, 16, v9
	s_delay_alu instid0(VALU_DEP_2) | instskip(SKIP_1) | instid1(VALU_DEP_3)
	v_lshlrev_b32_e32 v6, 20, v6
	v_lshl_add_u32 v9, v117, 23, 0x3c000000
	v_and_b32_e32 v7, 0x80000000, v7
	s_delay_alu instid0(VALU_DEP_1)
	v_or3_b32 v6, v6, v7, v9
.LBB420_1003:                           ;   in Loop: Header=BB420_515 Depth=1
	s_or_b32 exec_lo, exec_lo, s13
.LBB420_1004:                           ;   in Loop: Header=BB420_515 Depth=1
	s_delay_alu instid0(SALU_CYCLE_1)
	s_or_b32 exec_lo, exec_lo, s12
.LBB420_1005:                           ;   in Loop: Header=BB420_515 Depth=1
	s_delay_alu instid0(SALU_CYCLE_1) | instskip(NEXT) | instid1(VALU_DEP_1)
	s_or_b32 exec_lo, exec_lo, s9
	v_mul_f32_e32 v7, v26, v6
	s_delay_alu instid0(VALU_DEP_1) | instskip(NEXT) | instid1(VALU_DEP_1)
	v_and_b32_e32 v6, 0x7f800000, v7
	v_cmp_ne_u32_e64 s0, 0x7f800000, v6
                                        ; implicit-def: $vgpr6
	s_delay_alu instid0(VALU_DEP_1) | instskip(NEXT) | instid1(SALU_CYCLE_1)
	s_and_saveexec_b32 s9, s0
	s_xor_b32 s0, exec_lo, s9
; %bb.1006:                             ;   in Loop: Header=BB420_515 Depth=1
	v_bfe_u32 v6, v7, 16, 1
	s_delay_alu instid0(VALU_DEP_1)
	v_add3_u32 v6, v7, v6, 0x7fff
                                        ; implicit-def: $vgpr7
; %bb.1007:                             ;   in Loop: Header=BB420_515 Depth=1
	s_and_not1_saveexec_b32 s9, s0
; %bb.1008:                             ;   in Loop: Header=BB420_515 Depth=1
	v_and_b32_e32 v6, 0xffff, v7
	v_or_b32_e32 v9, 0x10000, v7
	s_delay_alu instid0(VALU_DEP_2) | instskip(NEXT) | instid1(VALU_DEP_1)
	v_cmp_eq_u32_e64 s0, 0, v6
	v_cndmask_b32_e64 v6, v9, v7, s0
; %bb.1009:                             ;   in Loop: Header=BB420_515 Depth=1
	s_or_b32 exec_lo, exec_lo, s9
	v_lshrrev_b32_e32 v7, 16, v3
	v_mov_b32_e32 v9, 0
	s_mov_b32 s9, exec_lo
	s_delay_alu instid0(VALU_DEP_2) | instskip(NEXT) | instid1(VALU_DEP_1)
	v_and_b32_e32 v117, 0xff, v7
	v_cmpx_ne_u16_e32 0, v117
	s_cbranch_execz .LBB420_1017
; %bb.1010:                             ;   in Loop: Header=BB420_515 Depth=1
	v_bfrev_b32_e32 v9, 1
	s_mov_b32 s12, exec_lo
	v_cmpx_ne_u16_e32 0x80, v117
	s_cbranch_execz .LBB420_1016
; %bb.1011:                             ;   in Loop: Header=BB420_515 Depth=1
	v_bfe_u32 v118, v3, 16, 7
	v_mov_b32_e32 v9, 0x7f800001
	s_mov_b32 s13, exec_lo
	s_delay_alu instid0(VALU_DEP_2)
	v_cmpx_ne_u32_e32 0x7f, v118
	s_cbranch_execz .LBB420_1015
; %bb.1012:                             ;   in Loop: Header=BB420_515 Depth=1
	v_and_b32_e32 v9, 7, v7
	v_lshrrev_b32_e32 v117, 3, v118
	s_mov_b32 s15, exec_lo
	v_cmpx_gt_u32_e32 8, v118
; %bb.1013:                             ;   in Loop: Header=BB420_515 Depth=1
	s_delay_alu instid0(VALU_DEP_3) | instskip(NEXT) | instid1(VALU_DEP_1)
	v_clz_i32_u32_e32 v117, v9
	v_min_u32_e32 v117, 32, v117
	s_delay_alu instid0(VALU_DEP_1) | instskip(SKIP_1) | instid1(VALU_DEP_2)
	v_subrev_nc_u32_e32 v118, 28, v117
	v_sub_nc_u32_e32 v117, 29, v117
	v_lshlrev_b64 v[118:119], v118, v[9:10]
	s_delay_alu instid0(VALU_DEP_1)
	v_and_b32_e32 v9, 7, v118
; %bb.1014:                             ;   in Loop: Header=BB420_515 Depth=1
	s_or_b32 exec_lo, exec_lo, s15
	v_lshlrev_b32_e32 v7, 24, v7
	s_delay_alu instid0(VALU_DEP_2) | instskip(SKIP_1) | instid1(VALU_DEP_3)
	v_lshlrev_b32_e32 v9, 20, v9
	v_lshl_add_u32 v117, v117, 23, 0x3c000000
	v_and_b32_e32 v7, 0x80000000, v7
	s_delay_alu instid0(VALU_DEP_1)
	v_or3_b32 v9, v9, v7, v117
.LBB420_1015:                           ;   in Loop: Header=BB420_515 Depth=1
	s_or_b32 exec_lo, exec_lo, s13
.LBB420_1016:                           ;   in Loop: Header=BB420_515 Depth=1
	s_delay_alu instid0(SALU_CYCLE_1)
	s_or_b32 exec_lo, exec_lo, s12
.LBB420_1017:                           ;   in Loop: Header=BB420_515 Depth=1
	s_delay_alu instid0(SALU_CYCLE_1) | instskip(NEXT) | instid1(VALU_DEP_1)
	s_or_b32 exec_lo, exec_lo, s9
	v_mul_f32_e32 v9, v26, v9
	s_delay_alu instid0(VALU_DEP_1) | instskip(NEXT) | instid1(VALU_DEP_1)
	v_and_b32_e32 v7, 0x7f800000, v9
	v_cmp_ne_u32_e64 s0, 0x7f800000, v7
                                        ; implicit-def: $vgpr7
	s_delay_alu instid0(VALU_DEP_1) | instskip(NEXT) | instid1(SALU_CYCLE_1)
	s_and_saveexec_b32 s9, s0
	s_xor_b32 s0, exec_lo, s9
; %bb.1018:                             ;   in Loop: Header=BB420_515 Depth=1
	v_bfe_u32 v7, v9, 16, 1
	s_delay_alu instid0(VALU_DEP_1)
	v_add3_u32 v7, v9, v7, 0x7fff
                                        ; implicit-def: $vgpr9
; %bb.1019:                             ;   in Loop: Header=BB420_515 Depth=1
	s_and_not1_saveexec_b32 s9, s0
; %bb.1020:                             ;   in Loop: Header=BB420_515 Depth=1
	v_and_b32_e32 v7, 0xffff, v9
	v_or_b32_e32 v117, 0x10000, v9
	s_delay_alu instid0(VALU_DEP_2) | instskip(NEXT) | instid1(VALU_DEP_1)
	v_cmp_eq_u32_e64 s0, 0, v7
	v_cndmask_b32_e64 v7, v117, v9, s0
; %bb.1021:                             ;   in Loop: Header=BB420_515 Depth=1
	s_or_b32 exec_lo, exec_lo, s9
	v_mov_b32_e32 v9, 0
	s_mov_b32 s9, exec_lo
	v_cmpx_lt_u64_e64 s[2:3], v[2:3]
	s_cbranch_execz .LBB420_1029
; %bb.1022:                             ;   in Loop: Header=BB420_515 Depth=1
	v_lshrrev_b32_e32 v2, 24, v3
	v_bfrev_b32_e32 v9, 1
	s_mov_b32 s12, exec_lo
	s_delay_alu instid0(VALU_DEP_2)
	v_cmpx_ne_u32_e32 0x80, v2
	s_cbranch_execz .LBB420_1028
; %bb.1023:                             ;   in Loop: Header=BB420_515 Depth=1
	v_bfe_u32 v117, v3, 24, 7
	v_mov_b32_e32 v9, 0x7f800001
	s_mov_b32 s13, exec_lo
	s_delay_alu instid0(VALU_DEP_2)
	v_cmpx_ne_u32_e32 0x7f, v117
	s_cbranch_execz .LBB420_1027
; %bb.1024:                             ;   in Loop: Header=BB420_515 Depth=1
	v_and_b32_e32 v9, 7, v2
	v_lshrrev_b32_e32 v3, 3, v117
	s_mov_b32 s15, exec_lo
	v_cmpx_gt_u32_e32 8, v117
; %bb.1025:                             ;   in Loop: Header=BB420_515 Depth=1
	s_delay_alu instid0(VALU_DEP_3) | instskip(NEXT) | instid1(VALU_DEP_1)
	v_clz_i32_u32_e32 v3, v9
	v_min_u32_e32 v3, 32, v3
	s_delay_alu instid0(VALU_DEP_1) | instskip(SKIP_1) | instid1(VALU_DEP_2)
	v_subrev_nc_u32_e32 v117, 28, v3
	v_sub_nc_u32_e32 v3, 29, v3
	v_lshlrev_b64 v[117:118], v117, v[9:10]
	s_delay_alu instid0(VALU_DEP_1)
	v_and_b32_e32 v9, 7, v117
; %bb.1026:                             ;   in Loop: Header=BB420_515 Depth=1
	s_or_b32 exec_lo, exec_lo, s15
	v_lshlrev_b32_e32 v2, 24, v2
	s_delay_alu instid0(VALU_DEP_2) | instskip(SKIP_1) | instid1(VALU_DEP_3)
	v_lshlrev_b32_e32 v9, 20, v9
	v_lshl_add_u32 v3, v3, 23, 0x3c000000
	v_and_b32_e32 v2, 0x80000000, v2
	s_delay_alu instid0(VALU_DEP_1)
	v_or3_b32 v9, v9, v2, v3
.LBB420_1027:                           ;   in Loop: Header=BB420_515 Depth=1
	s_or_b32 exec_lo, exec_lo, s13
.LBB420_1028:                           ;   in Loop: Header=BB420_515 Depth=1
	s_delay_alu instid0(SALU_CYCLE_1)
	s_or_b32 exec_lo, exec_lo, s12
.LBB420_1029:                           ;   in Loop: Header=BB420_515 Depth=1
	s_delay_alu instid0(SALU_CYCLE_1) | instskip(NEXT) | instid1(VALU_DEP_1)
	s_or_b32 exec_lo, exec_lo, s9
	v_mul_f32_e32 v3, v26, v9
	s_delay_alu instid0(VALU_DEP_1) | instskip(NEXT) | instid1(VALU_DEP_1)
	v_and_b32_e32 v2, 0x7f800000, v3
	v_cmp_ne_u32_e64 s0, 0x7f800000, v2
                                        ; implicit-def: $vgpr2
	s_delay_alu instid0(VALU_DEP_1) | instskip(NEXT) | instid1(SALU_CYCLE_1)
	s_and_saveexec_b32 s9, s0
	s_xor_b32 s0, exec_lo, s9
; %bb.1030:                             ;   in Loop: Header=BB420_515 Depth=1
	v_bfe_u32 v2, v3, 16, 1
	s_delay_alu instid0(VALU_DEP_1)
	v_add3_u32 v2, v3, v2, 0x7fff
                                        ; implicit-def: $vgpr3
; %bb.1031:                             ;   in Loop: Header=BB420_515 Depth=1
	s_and_not1_saveexec_b32 s9, s0
; %bb.1032:                             ;   in Loop: Header=BB420_515 Depth=1
	v_and_b32_e32 v2, 0xffff, v3
	v_or_b32_e32 v9, 0x10000, v3
	s_delay_alu instid0(VALU_DEP_2) | instskip(NEXT) | instid1(VALU_DEP_1)
	v_cmp_eq_u32_e64 s0, 0, v2
	v_cndmask_b32_e64 v2, v9, v3, s0
; %bb.1033:                             ;   in Loop: Header=BB420_515 Depth=1
	s_or_b32 exec_lo, exec_lo, s9
	v_lshrrev_b32_e32 v9, 16, v6
	v_lshrrev_b32_e32 v116, 16, v116
	;; [unrolled: 1-line block ×8, first 2 shown]
	s_and_saveexec_b32 s9, vcc_lo
	s_cbranch_execz .LBB420_1035
; %bb.1034:                             ;   in Loop: Header=BB420_515 Depth=1
	v_cmp_lt_i32_e64 s0, v49, v32
	s_delay_alu instid0(VALU_DEP_1) | instskip(SKIP_1) | instid1(VALU_DEP_1)
	v_cndmask_b32_e64 v6, 0, v6, s0
	v_cmp_lt_i32_e64 s0, v55, v32
	v_cndmask_b32_e64 v113, 0, v113, s0
	v_cmp_lt_i32_e64 s0, v54, v32
	s_delay_alu instid0(VALU_DEP_1) | instskip(SKIP_1) | instid1(VALU_DEP_1)
	v_cndmask_b32_e64 v114, 0, v114, s0
	v_cmp_lt_i32_e64 s0, v53, v32
	v_cndmask_b32_e64 v115, 0, v115, s0
	;; [unrolled: 5-line block ×4, first 2 shown]
.LBB420_1035:                           ;   in Loop: Header=BB420_515 Depth=1
	s_or_b32 exec_lo, exec_lo, s9
	v_lshlrev_b32_e32 v6, 16, v6
	s_delay_alu instid0(VALU_DEP_1) | instskip(NEXT) | instid1(VALU_DEP_1)
	v_mul_f32_e32 v7, v64, v6
	v_and_b32_e32 v6, 0x7f800000, v7
	s_delay_alu instid0(VALU_DEP_1) | instskip(NEXT) | instid1(VALU_DEP_1)
	v_cmp_ne_u32_e64 s0, 0x7f800000, v6
                                        ; implicit-def: $vgpr6
	s_and_saveexec_b32 s9, s0
	s_delay_alu instid0(SALU_CYCLE_1)
	s_xor_b32 s0, exec_lo, s9
; %bb.1036:                             ;   in Loop: Header=BB420_515 Depth=1
	v_bfe_u32 v6, v7, 16, 1
	s_delay_alu instid0(VALU_DEP_1)
	v_add3_u32 v6, v7, v6, 0x7fff
                                        ; implicit-def: $vgpr7
; %bb.1037:                             ;   in Loop: Header=BB420_515 Depth=1
	s_and_not1_saveexec_b32 s9, s0
; %bb.1038:                             ;   in Loop: Header=BB420_515 Depth=1
	v_and_b32_e32 v6, 0xffff, v7
	v_or_b32_e32 v112, 0x10000, v7
	s_delay_alu instid0(VALU_DEP_2) | instskip(NEXT) | instid1(VALU_DEP_1)
	v_cmp_eq_u32_e64 s0, 0, v6
	v_cndmask_b32_e64 v6, v112, v7, s0
; %bb.1039:                             ;   in Loop: Header=BB420_515 Depth=1
	s_or_b32 exec_lo, exec_lo, s9
	v_lshlrev_b32_e32 v7, 16, v113
	s_delay_alu instid0(VALU_DEP_1) | instskip(NEXT) | instid1(VALU_DEP_1)
	v_mul_f32_e32 v112, v65, v7
	v_and_b32_e32 v7, 0x7f800000, v112
	s_delay_alu instid0(VALU_DEP_1) | instskip(NEXT) | instid1(VALU_DEP_1)
	v_cmp_ne_u32_e64 s0, 0x7f800000, v7
                                        ; implicit-def: $vgpr7
	s_and_saveexec_b32 s9, s0
	s_delay_alu instid0(SALU_CYCLE_1)
	s_xor_b32 s0, exec_lo, s9
; %bb.1040:                             ;   in Loop: Header=BB420_515 Depth=1
	v_bfe_u32 v7, v112, 16, 1
	s_delay_alu instid0(VALU_DEP_1)
	v_add3_u32 v7, v112, v7, 0x7fff
                                        ; implicit-def: $vgpr112
; %bb.1041:                             ;   in Loop: Header=BB420_515 Depth=1
	s_and_not1_saveexec_b32 s9, s0
; %bb.1042:                             ;   in Loop: Header=BB420_515 Depth=1
	v_and_b32_e32 v7, 0xffff, v112
	v_or_b32_e32 v113, 0x10000, v112
	s_delay_alu instid0(VALU_DEP_2) | instskip(NEXT) | instid1(VALU_DEP_1)
	v_cmp_eq_u32_e64 s0, 0, v7
	v_cndmask_b32_e64 v7, v113, v112, s0
; %bb.1043:                             ;   in Loop: Header=BB420_515 Depth=1
	s_or_b32 exec_lo, exec_lo, s9
	v_lshlrev_b32_e32 v112, 16, v114
	s_delay_alu instid0(VALU_DEP_1) | instskip(NEXT) | instid1(VALU_DEP_1)
	v_mul_f32_e32 v113, v66, v112
	v_and_b32_e32 v112, 0x7f800000, v113
	s_delay_alu instid0(VALU_DEP_1) | instskip(NEXT) | instid1(VALU_DEP_1)
	v_cmp_ne_u32_e64 s0, 0x7f800000, v112
                                        ; implicit-def: $vgpr112
	s_and_saveexec_b32 s9, s0
	s_delay_alu instid0(SALU_CYCLE_1)
	s_xor_b32 s0, exec_lo, s9
; %bb.1044:                             ;   in Loop: Header=BB420_515 Depth=1
	v_bfe_u32 v112, v113, 16, 1
	s_delay_alu instid0(VALU_DEP_1)
	v_add3_u32 v112, v113, v112, 0x7fff
                                        ; implicit-def: $vgpr113
; %bb.1045:                             ;   in Loop: Header=BB420_515 Depth=1
	s_and_not1_saveexec_b32 s9, s0
; %bb.1046:                             ;   in Loop: Header=BB420_515 Depth=1
	v_and_b32_e32 v112, 0xffff, v113
	v_or_b32_e32 v114, 0x10000, v113
	s_delay_alu instid0(VALU_DEP_2) | instskip(NEXT) | instid1(VALU_DEP_1)
	v_cmp_eq_u32_e64 s0, 0, v112
	v_cndmask_b32_e64 v112, v114, v113, s0
; %bb.1047:                             ;   in Loop: Header=BB420_515 Depth=1
	s_or_b32 exec_lo, exec_lo, s9
	v_lshlrev_b32_e32 v113, 16, v115
	s_delay_alu instid0(VALU_DEP_1) | instskip(NEXT) | instid1(VALU_DEP_1)
	v_mul_f32_e32 v114, v67, v113
	v_and_b32_e32 v113, 0x7f800000, v114
	s_delay_alu instid0(VALU_DEP_1) | instskip(NEXT) | instid1(VALU_DEP_1)
	v_cmp_ne_u32_e64 s0, 0x7f800000, v113
                                        ; implicit-def: $vgpr113
	s_and_saveexec_b32 s9, s0
	s_delay_alu instid0(SALU_CYCLE_1)
	s_xor_b32 s0, exec_lo, s9
; %bb.1048:                             ;   in Loop: Header=BB420_515 Depth=1
	v_bfe_u32 v113, v114, 16, 1
	s_delay_alu instid0(VALU_DEP_1)
	v_add3_u32 v113, v114, v113, 0x7fff
                                        ; implicit-def: $vgpr114
; %bb.1049:                             ;   in Loop: Header=BB420_515 Depth=1
	s_and_not1_saveexec_b32 s9, s0
; %bb.1050:                             ;   in Loop: Header=BB420_515 Depth=1
	v_and_b32_e32 v113, 0xffff, v114
	v_or_b32_e32 v115, 0x10000, v114
	s_delay_alu instid0(VALU_DEP_2) | instskip(NEXT) | instid1(VALU_DEP_1)
	v_cmp_eq_u32_e64 s0, 0, v113
	v_cndmask_b32_e64 v113, v115, v114, s0
; %bb.1051:                             ;   in Loop: Header=BB420_515 Depth=1
	s_or_b32 exec_lo, exec_lo, s9
	v_lshlrev_b32_e32 v114, 16, v116
	s_delay_alu instid0(VALU_DEP_1) | instskip(NEXT) | instid1(VALU_DEP_1)
	v_mul_f32_e32 v115, v68, v114
	v_and_b32_e32 v114, 0x7f800000, v115
	s_delay_alu instid0(VALU_DEP_1) | instskip(NEXT) | instid1(VALU_DEP_1)
	v_cmp_ne_u32_e64 s0, 0x7f800000, v114
                                        ; implicit-def: $vgpr114
	s_and_saveexec_b32 s9, s0
	s_delay_alu instid0(SALU_CYCLE_1)
	s_xor_b32 s0, exec_lo, s9
; %bb.1052:                             ;   in Loop: Header=BB420_515 Depth=1
	v_bfe_u32 v114, v115, 16, 1
	s_delay_alu instid0(VALU_DEP_1)
	v_add3_u32 v114, v115, v114, 0x7fff
                                        ; implicit-def: $vgpr115
; %bb.1053:                             ;   in Loop: Header=BB420_515 Depth=1
	s_and_not1_saveexec_b32 s9, s0
; %bb.1054:                             ;   in Loop: Header=BB420_515 Depth=1
	v_and_b32_e32 v114, 0xffff, v115
	v_or_b32_e32 v116, 0x10000, v115
	s_delay_alu instid0(VALU_DEP_2) | instskip(NEXT) | instid1(VALU_DEP_1)
	v_cmp_eq_u32_e64 s0, 0, v114
	v_cndmask_b32_e64 v114, v116, v115, s0
; %bb.1055:                             ;   in Loop: Header=BB420_515 Depth=1
	s_or_b32 exec_lo, exec_lo, s9
	v_lshlrev_b32_e32 v9, 16, v9
	s_delay_alu instid0(VALU_DEP_1) | instskip(NEXT) | instid1(VALU_DEP_1)
	v_mul_f32_e32 v9, v69, v9
	v_and_b32_e32 v115, 0x7f800000, v9
	s_delay_alu instid0(VALU_DEP_1) | instskip(NEXT) | instid1(VALU_DEP_1)
	v_cmp_ne_u32_e64 s0, 0x7f800000, v115
                                        ; implicit-def: $vgpr115
	s_and_saveexec_b32 s9, s0
	s_delay_alu instid0(SALU_CYCLE_1)
	s_xor_b32 s0, exec_lo, s9
; %bb.1056:                             ;   in Loop: Header=BB420_515 Depth=1
	v_bfe_u32 v115, v9, 16, 1
	s_delay_alu instid0(VALU_DEP_1)
	v_add3_u32 v115, v9, v115, 0x7fff
                                        ; implicit-def: $vgpr9
; %bb.1057:                             ;   in Loop: Header=BB420_515 Depth=1
	s_and_not1_saveexec_b32 s9, s0
; %bb.1058:                             ;   in Loop: Header=BB420_515 Depth=1
	v_and_b32_e32 v115, 0xffff, v9
	v_or_b32_e32 v116, 0x10000, v9
	s_delay_alu instid0(VALU_DEP_2) | instskip(NEXT) | instid1(VALU_DEP_1)
	v_cmp_eq_u32_e64 s0, 0, v115
	v_cndmask_b32_e64 v115, v116, v9, s0
; %bb.1059:                             ;   in Loop: Header=BB420_515 Depth=1
	s_or_b32 exec_lo, exec_lo, s9
	v_lshlrev_b32_e32 v3, 16, v3
                                        ; implicit-def: $vgpr116
	s_delay_alu instid0(VALU_DEP_1) | instskip(NEXT) | instid1(VALU_DEP_1)
	v_mul_f32_e32 v3, v70, v3
	v_and_b32_e32 v9, 0x7f800000, v3
	s_delay_alu instid0(VALU_DEP_1) | instskip(NEXT) | instid1(VALU_DEP_1)
	v_cmp_ne_u32_e64 s0, 0x7f800000, v9
	s_and_saveexec_b32 s9, s0
	s_delay_alu instid0(SALU_CYCLE_1)
	s_xor_b32 s0, exec_lo, s9
; %bb.1060:                             ;   in Loop: Header=BB420_515 Depth=1
	v_bfe_u32 v9, v3, 16, 1
	s_delay_alu instid0(VALU_DEP_1)
	v_add3_u32 v116, v3, v9, 0x7fff
                                        ; implicit-def: $vgpr3
; %bb.1061:                             ;   in Loop: Header=BB420_515 Depth=1
	s_and_not1_saveexec_b32 s9, s0
; %bb.1062:                             ;   in Loop: Header=BB420_515 Depth=1
	v_and_b32_e32 v9, 0xffff, v3
	v_or_b32_e32 v116, 0x10000, v3
	s_delay_alu instid0(VALU_DEP_2) | instskip(NEXT) | instid1(VALU_DEP_1)
	v_cmp_eq_u32_e64 s0, 0, v9
	v_cndmask_b32_e64 v116, v116, v3, s0
; %bb.1063:                             ;   in Loop: Header=BB420_515 Depth=1
	s_or_b32 exec_lo, exec_lo, s9
	v_lshlrev_b32_e32 v2, 16, v2
                                        ; implicit-def: $vgpr117
	s_delay_alu instid0(VALU_DEP_1) | instskip(NEXT) | instid1(VALU_DEP_1)
	v_mul_f32_e32 v2, v71, v2
	v_and_b32_e32 v3, 0x7f800000, v2
	s_delay_alu instid0(VALU_DEP_1) | instskip(NEXT) | instid1(VALU_DEP_1)
	v_cmp_ne_u32_e64 s0, 0x7f800000, v3
	s_and_saveexec_b32 s9, s0
	s_delay_alu instid0(SALU_CYCLE_1)
	s_xor_b32 s0, exec_lo, s9
; %bb.1064:                             ;   in Loop: Header=BB420_515 Depth=1
	v_bfe_u32 v3, v2, 16, 1
	s_delay_alu instid0(VALU_DEP_1)
	v_add3_u32 v117, v2, v3, 0x7fff
                                        ; implicit-def: $vgpr2
; %bb.1065:                             ;   in Loop: Header=BB420_515 Depth=1
	s_and_not1_saveexec_b32 s9, s0
; %bb.1066:                             ;   in Loop: Header=BB420_515 Depth=1
	v_and_b32_e32 v3, 0xffff, v2
	v_or_b32_e32 v9, 0x10000, v2
	s_delay_alu instid0(VALU_DEP_2) | instskip(NEXT) | instid1(VALU_DEP_1)
	v_cmp_eq_u32_e64 s0, 0, v3
	v_cndmask_b32_e64 v117, v9, v2, s0
; %bb.1067:                             ;   in Loop: Header=BB420_515 Depth=1
	s_or_b32 exec_lo, exec_lo, s9
	flat_load_b64 v[0:1], v[0:1] offset:1024
	s_mov_b32 s9, exec_lo
	s_waitcnt vmcnt(0) lgkmcnt(0)
	v_dual_mov_b32 v2, 0 :: v_dual_and_b32 v3, 0xff, v0
	s_delay_alu instid0(VALU_DEP_1)
	v_cmpx_ne_u16_e32 0, v3
	s_cbranch_execz .LBB420_1075
; %bb.1068:                             ;   in Loop: Header=BB420_515 Depth=1
	v_bfrev_b32_e32 v2, 1
	s_mov_b32 s12, exec_lo
	v_cmpx_ne_u16_e32 0x80, v3
	s_cbranch_execz .LBB420_1074
; %bb.1069:                             ;   in Loop: Header=BB420_515 Depth=1
	v_and_b32_e32 v3, 0x7f, v0
	v_mov_b32_e32 v2, 0x7f800001
	s_mov_b32 s13, exec_lo
	s_delay_alu instid0(VALU_DEP_2)
	v_cmpx_ne_u32_e32 0x7f, v3
	s_cbranch_execz .LBB420_1073
; %bb.1070:                             ;   in Loop: Header=BB420_515 Depth=1
	v_lshrrev_b32_e32 v9, 3, v3
	v_cmp_gt_u32_e64 s0, 8, v3
	v_dual_mov_b32 v3, v1 :: v_dual_mov_b32 v2, v0
	s_delay_alu instid0(VALU_DEP_2)
	s_and_saveexec_b32 s15, s0
; %bb.1071:                             ;   in Loop: Header=BB420_515 Depth=1
	v_and_b32_e32 v2, 7, v0
	s_delay_alu instid0(VALU_DEP_1) | instskip(NEXT) | instid1(VALU_DEP_1)
	v_clz_i32_u32_e32 v2, v2
	v_min_u32_e32 v9, 32, v2
	s_delay_alu instid0(VALU_DEP_1) | instskip(SKIP_1) | instid1(VALU_DEP_2)
	v_subrev_nc_u32_e32 v2, 28, v9
	v_sub_nc_u32_e32 v9, 29, v9
	v_lshlrev_b64 v[2:3], v2, v[0:1]
; %bb.1072:                             ;   in Loop: Header=BB420_515 Depth=1
	s_or_b32 exec_lo, exec_lo, s15
	s_delay_alu instid0(VALU_DEP_1) | instskip(SKIP_2) | instid1(VALU_DEP_3)
	v_lshlrev_b32_e32 v2, 20, v2
	v_lshlrev_b32_e32 v3, 24, v0
	v_lshl_add_u32 v9, v9, 23, 0x3c000000
	v_and_b32_e32 v2, 0x700000, v2
	s_delay_alu instid0(VALU_DEP_3) | instskip(NEXT) | instid1(VALU_DEP_1)
	v_and_b32_e32 v3, 0x80000000, v3
	v_or3_b32 v2, v2, v3, v9
.LBB420_1073:                           ;   in Loop: Header=BB420_515 Depth=1
	s_or_b32 exec_lo, exec_lo, s13
.LBB420_1074:                           ;   in Loop: Header=BB420_515 Depth=1
	s_delay_alu instid0(SALU_CYCLE_1)
	s_or_b32 exec_lo, exec_lo, s12
.LBB420_1075:                           ;   in Loop: Header=BB420_515 Depth=1
	s_delay_alu instid0(SALU_CYCLE_1) | instskip(NEXT) | instid1(VALU_DEP_1)
	s_or_b32 exec_lo, exec_lo, s9
	v_mul_f32_e32 v2, v26, v2
                                        ; implicit-def: $vgpr118
	s_delay_alu instid0(VALU_DEP_1) | instskip(NEXT) | instid1(VALU_DEP_1)
	v_and_b32_e32 v3, 0x7f800000, v2
	v_cmp_ne_u32_e64 s0, 0x7f800000, v3
	s_delay_alu instid0(VALU_DEP_1) | instskip(NEXT) | instid1(SALU_CYCLE_1)
	s_and_saveexec_b32 s9, s0
	s_xor_b32 s0, exec_lo, s9
; %bb.1076:                             ;   in Loop: Header=BB420_515 Depth=1
	v_bfe_u32 v3, v2, 16, 1
	s_delay_alu instid0(VALU_DEP_1)
	v_add3_u32 v118, v2, v3, 0x7fff
                                        ; implicit-def: $vgpr2
; %bb.1077:                             ;   in Loop: Header=BB420_515 Depth=1
	s_and_not1_saveexec_b32 s9, s0
; %bb.1078:                             ;   in Loop: Header=BB420_515 Depth=1
	v_and_b32_e32 v3, 0xffff, v2
	v_or_b32_e32 v9, 0x10000, v2
	s_delay_alu instid0(VALU_DEP_2) | instskip(NEXT) | instid1(VALU_DEP_1)
	v_cmp_eq_u32_e64 s0, 0, v3
	v_cndmask_b32_e64 v118, v9, v2, s0
; %bb.1079:                             ;   in Loop: Header=BB420_515 Depth=1
	s_or_b32 exec_lo, exec_lo, s9
	v_lshrrev_b16 v3, 8, v0
	v_mov_b32_e32 v2, 0
	s_mov_b32 s9, exec_lo
	s_delay_alu instid0(VALU_DEP_2)
	v_cmpx_ne_u16_e32 0, v3
	s_cbranch_execz .LBB420_1087
; %bb.1080:                             ;   in Loop: Header=BB420_515 Depth=1
	v_bfrev_b32_e32 v2, 1
	s_mov_b32 s12, exec_lo
	v_cmpx_ne_u16_e32 0x80, v3
	s_cbranch_execz .LBB420_1086
; %bb.1081:                             ;   in Loop: Header=BB420_515 Depth=1
	v_and_b32_e32 v9, 0xffff, v3
	v_mov_b32_e32 v2, 0x7f800001
	s_mov_b32 s13, exec_lo
	s_delay_alu instid0(VALU_DEP_2) | instskip(NEXT) | instid1(VALU_DEP_1)
	v_and_b32_e32 v3, 0x7f, v9
	v_cmpx_ne_u32_e32 0x7f, v3
	s_cbranch_execz .LBB420_1085
; %bb.1082:                             ;   in Loop: Header=BB420_515 Depth=1
	v_and_b32_e32 v9, 7, v9
	v_lshrrev_b32_e32 v2, 3, v3
	s_mov_b32 s15, exec_lo
	v_cmpx_gt_u32_e32 8, v3
; %bb.1083:                             ;   in Loop: Header=BB420_515 Depth=1
	s_delay_alu instid0(VALU_DEP_3) | instskip(NEXT) | instid1(VALU_DEP_1)
	v_clz_i32_u32_e32 v2, v9
	v_min_u32_e32 v2, 32, v2
	s_delay_alu instid0(VALU_DEP_1) | instskip(SKIP_1) | instid1(VALU_DEP_2)
	v_subrev_nc_u32_e32 v3, 28, v2
	v_sub_nc_u32_e32 v2, 29, v2
	v_lshlrev_b64 v[128:129], v3, v[9:10]
	s_delay_alu instid0(VALU_DEP_1)
	v_and_b32_e32 v9, 7, v128
; %bb.1084:                             ;   in Loop: Header=BB420_515 Depth=1
	s_or_b32 exec_lo, exec_lo, s15
	v_lshlrev_b32_e32 v3, 16, v0
	s_delay_alu instid0(VALU_DEP_2) | instskip(SKIP_1) | instid1(VALU_DEP_3)
	v_lshlrev_b32_e32 v9, 20, v9
	v_lshl_add_u32 v2, v2, 23, 0x3c000000
	v_and_b32_e32 v3, 0x80000000, v3
	s_delay_alu instid0(VALU_DEP_1)
	v_or3_b32 v2, v9, v3, v2
.LBB420_1085:                           ;   in Loop: Header=BB420_515 Depth=1
	s_or_b32 exec_lo, exec_lo, s13
.LBB420_1086:                           ;   in Loop: Header=BB420_515 Depth=1
	s_delay_alu instid0(SALU_CYCLE_1)
	s_or_b32 exec_lo, exec_lo, s12
.LBB420_1087:                           ;   in Loop: Header=BB420_515 Depth=1
	s_delay_alu instid0(SALU_CYCLE_1) | instskip(NEXT) | instid1(VALU_DEP_1)
	s_or_b32 exec_lo, exec_lo, s9
	v_mul_f32_e32 v2, v26, v2
                                        ; implicit-def: $vgpr119
	s_delay_alu instid0(VALU_DEP_1) | instskip(NEXT) | instid1(VALU_DEP_1)
	v_and_b32_e32 v3, 0x7f800000, v2
	v_cmp_ne_u32_e64 s0, 0x7f800000, v3
	s_delay_alu instid0(VALU_DEP_1) | instskip(NEXT) | instid1(SALU_CYCLE_1)
	s_and_saveexec_b32 s9, s0
	s_xor_b32 s0, exec_lo, s9
; %bb.1088:                             ;   in Loop: Header=BB420_515 Depth=1
	v_bfe_u32 v3, v2, 16, 1
	s_delay_alu instid0(VALU_DEP_1)
	v_add3_u32 v119, v2, v3, 0x7fff
                                        ; implicit-def: $vgpr2
; %bb.1089:                             ;   in Loop: Header=BB420_515 Depth=1
	s_and_not1_saveexec_b32 s9, s0
; %bb.1090:                             ;   in Loop: Header=BB420_515 Depth=1
	v_and_b32_e32 v3, 0xffff, v2
	v_or_b32_e32 v9, 0x10000, v2
	s_delay_alu instid0(VALU_DEP_2) | instskip(NEXT) | instid1(VALU_DEP_1)
	v_cmp_eq_u32_e64 s0, 0, v3
	v_cndmask_b32_e64 v119, v9, v2, s0
; %bb.1091:                             ;   in Loop: Header=BB420_515 Depth=1
	s_or_b32 exec_lo, exec_lo, s9
	v_lshrrev_b32_e32 v2, 16, v0
	v_mov_b32_e32 v3, 0
	s_mov_b32 s9, exec_lo
	s_delay_alu instid0(VALU_DEP_2) | instskip(NEXT) | instid1(VALU_DEP_1)
	v_and_b32_e32 v9, 0xff, v2
	v_cmpx_ne_u16_e32 0, v9
	s_cbranch_execz .LBB420_1099
; %bb.1092:                             ;   in Loop: Header=BB420_515 Depth=1
	v_bfrev_b32_e32 v3, 1
	s_mov_b32 s12, exec_lo
	v_cmpx_ne_u16_e32 0x80, v9
	s_cbranch_execz .LBB420_1098
; %bb.1093:                             ;   in Loop: Header=BB420_515 Depth=1
	v_bfe_u32 v128, v0, 16, 7
	v_mov_b32_e32 v3, 0x7f800001
	s_mov_b32 s13, exec_lo
	s_delay_alu instid0(VALU_DEP_2)
	v_cmpx_ne_u32_e32 0x7f, v128
	s_cbranch_execz .LBB420_1097
; %bb.1094:                             ;   in Loop: Header=BB420_515 Depth=1
	v_and_b32_e32 v9, 7, v2
	v_lshrrev_b32_e32 v3, 3, v128
	s_mov_b32 s15, exec_lo
	v_cmpx_gt_u32_e32 8, v128
; %bb.1095:                             ;   in Loop: Header=BB420_515 Depth=1
	s_delay_alu instid0(VALU_DEP_3) | instskip(NEXT) | instid1(VALU_DEP_1)
	v_clz_i32_u32_e32 v3, v9
	v_min_u32_e32 v3, 32, v3
	s_delay_alu instid0(VALU_DEP_1) | instskip(SKIP_1) | instid1(VALU_DEP_2)
	v_subrev_nc_u32_e32 v128, 28, v3
	v_sub_nc_u32_e32 v3, 29, v3
	v_lshlrev_b64 v[128:129], v128, v[9:10]
	s_delay_alu instid0(VALU_DEP_1)
	v_and_b32_e32 v9, 7, v128
; %bb.1096:                             ;   in Loop: Header=BB420_515 Depth=1
	s_or_b32 exec_lo, exec_lo, s15
	v_lshlrev_b32_e32 v2, 24, v2
	s_delay_alu instid0(VALU_DEP_2) | instskip(SKIP_1) | instid1(VALU_DEP_3)
	v_lshlrev_b32_e32 v9, 20, v9
	v_lshl_add_u32 v3, v3, 23, 0x3c000000
	v_and_b32_e32 v2, 0x80000000, v2
	s_delay_alu instid0(VALU_DEP_1)
	v_or3_b32 v3, v9, v2, v3
.LBB420_1097:                           ;   in Loop: Header=BB420_515 Depth=1
	s_or_b32 exec_lo, exec_lo, s13
.LBB420_1098:                           ;   in Loop: Header=BB420_515 Depth=1
	s_delay_alu instid0(SALU_CYCLE_1)
	s_or_b32 exec_lo, exec_lo, s12
.LBB420_1099:                           ;   in Loop: Header=BB420_515 Depth=1
	s_delay_alu instid0(SALU_CYCLE_1) | instskip(NEXT) | instid1(VALU_DEP_1)
	s_or_b32 exec_lo, exec_lo, s9
	v_mul_f32_e32 v2, v26, v3
                                        ; implicit-def: $vgpr128
	s_delay_alu instid0(VALU_DEP_1) | instskip(NEXT) | instid1(VALU_DEP_1)
	v_and_b32_e32 v3, 0x7f800000, v2
	v_cmp_ne_u32_e64 s0, 0x7f800000, v3
	s_delay_alu instid0(VALU_DEP_1) | instskip(NEXT) | instid1(SALU_CYCLE_1)
	s_and_saveexec_b32 s9, s0
	s_xor_b32 s0, exec_lo, s9
; %bb.1100:                             ;   in Loop: Header=BB420_515 Depth=1
	v_bfe_u32 v3, v2, 16, 1
	s_delay_alu instid0(VALU_DEP_1)
	v_add3_u32 v128, v2, v3, 0x7fff
                                        ; implicit-def: $vgpr2
; %bb.1101:                             ;   in Loop: Header=BB420_515 Depth=1
	s_and_not1_saveexec_b32 s9, s0
; %bb.1102:                             ;   in Loop: Header=BB420_515 Depth=1
	v_and_b32_e32 v3, 0xffff, v2
	v_or_b32_e32 v9, 0x10000, v2
	s_delay_alu instid0(VALU_DEP_2) | instskip(NEXT) | instid1(VALU_DEP_1)
	v_cmp_eq_u32_e64 s0, 0, v3
	v_cndmask_b32_e64 v128, v9, v2, s0
; %bb.1103:                             ;   in Loop: Header=BB420_515 Depth=1
	s_or_b32 exec_lo, exec_lo, s9
	v_mov_b32_e32 v3, 0
	s_mov_b32 s9, exec_lo
	v_cmpx_lt_u32_e32 0xffffff, v0
	s_cbranch_execz .LBB420_1111
; %bb.1104:                             ;   in Loop: Header=BB420_515 Depth=1
	v_lshrrev_b32_e32 v2, 24, v0
	v_bfrev_b32_e32 v3, 1
	s_mov_b32 s12, exec_lo
	s_delay_alu instid0(VALU_DEP_2)
	v_cmpx_ne_u32_e32 0x80, v2
	s_cbranch_execz .LBB420_1110
; %bb.1105:                             ;   in Loop: Header=BB420_515 Depth=1
	v_bfe_u32 v129, v0, 24, 7
	v_mov_b32_e32 v3, 0x7f800001
	s_mov_b32 s13, exec_lo
	s_delay_alu instid0(VALU_DEP_2)
	v_cmpx_ne_u32_e32 0x7f, v129
	s_cbranch_execz .LBB420_1109
; %bb.1106:                             ;   in Loop: Header=BB420_515 Depth=1
	v_and_b32_e32 v9, 7, v2
	v_lshrrev_b32_e32 v3, 3, v129
	s_mov_b32 s15, exec_lo
	v_cmpx_gt_u32_e32 8, v129
; %bb.1107:                             ;   in Loop: Header=BB420_515 Depth=1
	s_delay_alu instid0(VALU_DEP_3) | instskip(NEXT) | instid1(VALU_DEP_1)
	v_clz_i32_u32_e32 v3, v9
	v_min_u32_e32 v3, 32, v3
	s_delay_alu instid0(VALU_DEP_1) | instskip(SKIP_1) | instid1(VALU_DEP_2)
	v_subrev_nc_u32_e32 v129, 28, v3
	v_sub_nc_u32_e32 v3, 29, v3
	v_lshlrev_b64 v[129:130], v129, v[9:10]
	s_delay_alu instid0(VALU_DEP_1)
	v_and_b32_e32 v9, 7, v129
; %bb.1108:                             ;   in Loop: Header=BB420_515 Depth=1
	s_or_b32 exec_lo, exec_lo, s15
	v_lshlrev_b32_e32 v2, 24, v2
	s_delay_alu instid0(VALU_DEP_2) | instskip(SKIP_1) | instid1(VALU_DEP_3)
	v_lshlrev_b32_e32 v9, 20, v9
	v_lshl_add_u32 v3, v3, 23, 0x3c000000
	v_and_b32_e32 v2, 0x80000000, v2
	s_delay_alu instid0(VALU_DEP_1)
	v_or3_b32 v3, v9, v2, v3
.LBB420_1109:                           ;   in Loop: Header=BB420_515 Depth=1
	s_or_b32 exec_lo, exec_lo, s13
.LBB420_1110:                           ;   in Loop: Header=BB420_515 Depth=1
	s_delay_alu instid0(SALU_CYCLE_1)
	s_or_b32 exec_lo, exec_lo, s12
.LBB420_1111:                           ;   in Loop: Header=BB420_515 Depth=1
	s_delay_alu instid0(SALU_CYCLE_1) | instskip(NEXT) | instid1(VALU_DEP_1)
	s_or_b32 exec_lo, exec_lo, s9
	v_mul_f32_e32 v2, v26, v3
                                        ; implicit-def: $vgpr129
	s_delay_alu instid0(VALU_DEP_1) | instskip(NEXT) | instid1(VALU_DEP_1)
	v_and_b32_e32 v3, 0x7f800000, v2
	v_cmp_ne_u32_e64 s0, 0x7f800000, v3
	s_delay_alu instid0(VALU_DEP_1) | instskip(NEXT) | instid1(SALU_CYCLE_1)
	s_and_saveexec_b32 s9, s0
	s_xor_b32 s0, exec_lo, s9
; %bb.1112:                             ;   in Loop: Header=BB420_515 Depth=1
	v_bfe_u32 v3, v2, 16, 1
	s_delay_alu instid0(VALU_DEP_1)
	v_add3_u32 v129, v2, v3, 0x7fff
                                        ; implicit-def: $vgpr2
; %bb.1113:                             ;   in Loop: Header=BB420_515 Depth=1
	s_and_not1_saveexec_b32 s9, s0
; %bb.1114:                             ;   in Loop: Header=BB420_515 Depth=1
	v_and_b32_e32 v3, 0xffff, v2
	v_or_b32_e32 v9, 0x10000, v2
	s_delay_alu instid0(VALU_DEP_2) | instskip(NEXT) | instid1(VALU_DEP_1)
	v_cmp_eq_u32_e64 s0, 0, v3
	v_cndmask_b32_e64 v129, v9, v2, s0
; %bb.1115:                             ;   in Loop: Header=BB420_515 Depth=1
	s_or_b32 exec_lo, exec_lo, s9
	v_dual_mov_b32 v2, 0 :: v_dual_and_b32 v3, 0xff, v1
	v_mov_b32_e32 v9, v1
	s_mov_b32 s9, exec_lo
	s_delay_alu instid0(VALU_DEP_2)
	v_cmpx_ne_u16_e32 0, v3
	s_cbranch_execz .LBB420_1123
; %bb.1116:                             ;   in Loop: Header=BB420_515 Depth=1
	v_bfrev_b32_e32 v2, 1
	s_mov_b32 s12, exec_lo
	v_cmpx_ne_u16_e32 0x80, v3
	s_cbranch_execz .LBB420_1122
; %bb.1117:                             ;   in Loop: Header=BB420_515 Depth=1
	v_and_b32_e32 v3, 0x7f, v1
	v_mov_b32_e32 v2, 0x7f800001
	s_mov_b32 s13, exec_lo
	s_delay_alu instid0(VALU_DEP_2)
	v_cmpx_ne_u32_e32 0x7f, v3
	s_cbranch_execz .LBB420_1121
; %bb.1118:                             ;   in Loop: Header=BB420_515 Depth=1
	v_lshrrev_b32_e32 v130, 3, v3
	v_cmp_gt_u32_e64 s0, 8, v3
	v_dual_mov_b32 v2, v9 :: v_dual_mov_b32 v3, v10
	s_delay_alu instid0(VALU_DEP_2)
	s_and_saveexec_b32 s15, s0
; %bb.1119:                             ;   in Loop: Header=BB420_515 Depth=1
	v_and_b32_e32 v2, 7, v1
	s_delay_alu instid0(VALU_DEP_1) | instskip(NEXT) | instid1(VALU_DEP_1)
	v_clz_i32_u32_e32 v2, v2
	v_min_u32_e32 v130, 32, v2
	s_delay_alu instid0(VALU_DEP_1) | instskip(SKIP_1) | instid1(VALU_DEP_2)
	v_subrev_nc_u32_e32 v2, 28, v130
	v_sub_nc_u32_e32 v130, 29, v130
	v_lshlrev_b64 v[2:3], v2, v[9:10]
; %bb.1120:                             ;   in Loop: Header=BB420_515 Depth=1
	s_or_b32 exec_lo, exec_lo, s15
	s_delay_alu instid0(VALU_DEP_1) | instskip(SKIP_2) | instid1(VALU_DEP_3)
	v_lshlrev_b32_e32 v2, 20, v2
	v_lshlrev_b32_e32 v3, 24, v9
	v_lshl_add_u32 v130, v130, 23, 0x3c000000
	v_and_b32_e32 v2, 0x700000, v2
	s_delay_alu instid0(VALU_DEP_3) | instskip(NEXT) | instid1(VALU_DEP_1)
	v_and_b32_e32 v3, 0x80000000, v3
	v_or3_b32 v2, v2, v3, v130
.LBB420_1121:                           ;   in Loop: Header=BB420_515 Depth=1
	s_or_b32 exec_lo, exec_lo, s13
.LBB420_1122:                           ;   in Loop: Header=BB420_515 Depth=1
	s_delay_alu instid0(SALU_CYCLE_1)
	s_or_b32 exec_lo, exec_lo, s12
.LBB420_1123:                           ;   in Loop: Header=BB420_515 Depth=1
	s_delay_alu instid0(SALU_CYCLE_1) | instskip(NEXT) | instid1(VALU_DEP_1)
	s_or_b32 exec_lo, exec_lo, s9
	v_mul_f32_e32 v2, v26, v2
                                        ; implicit-def: $vgpr130
	s_delay_alu instid0(VALU_DEP_1) | instskip(NEXT) | instid1(VALU_DEP_1)
	v_and_b32_e32 v3, 0x7f800000, v2
	v_cmp_ne_u32_e64 s0, 0x7f800000, v3
	s_delay_alu instid0(VALU_DEP_1) | instskip(NEXT) | instid1(SALU_CYCLE_1)
	s_and_saveexec_b32 s9, s0
	s_xor_b32 s0, exec_lo, s9
; %bb.1124:                             ;   in Loop: Header=BB420_515 Depth=1
	v_bfe_u32 v3, v2, 16, 1
	s_delay_alu instid0(VALU_DEP_1)
	v_add3_u32 v130, v2, v3, 0x7fff
                                        ; implicit-def: $vgpr2
; %bb.1125:                             ;   in Loop: Header=BB420_515 Depth=1
	s_and_not1_saveexec_b32 s9, s0
; %bb.1126:                             ;   in Loop: Header=BB420_515 Depth=1
	v_and_b32_e32 v3, 0xffff, v2
	v_or_b32_e32 v130, 0x10000, v2
	s_delay_alu instid0(VALU_DEP_2) | instskip(NEXT) | instid1(VALU_DEP_1)
	v_cmp_eq_u32_e64 s0, 0, v3
	v_cndmask_b32_e64 v130, v130, v2, s0
; %bb.1127:                             ;   in Loop: Header=BB420_515 Depth=1
	s_or_b32 exec_lo, exec_lo, s9
	v_lshrrev_b16 v3, 8, v9
	v_mov_b32_e32 v2, 0
	s_mov_b32 s9, exec_lo
	s_delay_alu instid0(VALU_DEP_2)
	v_cmpx_ne_u16_e32 0, v3
	s_cbranch_execz .LBB420_1135
; %bb.1128:                             ;   in Loop: Header=BB420_515 Depth=1
	v_bfrev_b32_e32 v2, 1
	s_mov_b32 s12, exec_lo
	v_cmpx_ne_u16_e32 0x80, v3
	s_cbranch_execz .LBB420_1134
; %bb.1129:                             ;   in Loop: Header=BB420_515 Depth=1
	v_and_b32_e32 v3, 0xffff, v3
	v_mov_b32_e32 v2, 0x7f800001
	s_mov_b32 s13, exec_lo
	s_delay_alu instid0(VALU_DEP_2) | instskip(NEXT) | instid1(VALU_DEP_1)
	v_and_b32_e32 v132, 0x7f, v3
	v_cmpx_ne_u32_e32 0x7f, v132
	s_cbranch_execz .LBB420_1133
; %bb.1130:                             ;   in Loop: Header=BB420_515 Depth=1
	v_dual_mov_b32 v3, v10 :: v_dual_and_b32 v2, 7, v3
	v_lshrrev_b32_e32 v131, 3, v132
	s_mov_b32 s15, exec_lo
	v_cmpx_gt_u32_e32 8, v132
; %bb.1131:                             ;   in Loop: Header=BB420_515 Depth=1
	s_delay_alu instid0(VALU_DEP_3) | instskip(NEXT) | instid1(VALU_DEP_1)
	v_clz_i32_u32_e32 v131, v2
	v_min_u32_e32 v131, 32, v131
	s_delay_alu instid0(VALU_DEP_1) | instskip(SKIP_1) | instid1(VALU_DEP_2)
	v_subrev_nc_u32_e32 v132, 28, v131
	v_sub_nc_u32_e32 v131, 29, v131
	v_lshlrev_b64 v[2:3], v132, v[2:3]
	s_delay_alu instid0(VALU_DEP_1)
	v_and_b32_e32 v2, 7, v2
; %bb.1132:                             ;   in Loop: Header=BB420_515 Depth=1
	s_or_b32 exec_lo, exec_lo, s15
	v_lshlrev_b32_e32 v3, 16, v9
	s_delay_alu instid0(VALU_DEP_2) | instskip(SKIP_1) | instid1(VALU_DEP_3)
	v_lshlrev_b32_e32 v2, 20, v2
	v_lshl_add_u32 v9, v131, 23, 0x3c000000
	v_and_b32_e32 v3, 0x80000000, v3
	s_delay_alu instid0(VALU_DEP_1)
	v_or3_b32 v2, v2, v3, v9
.LBB420_1133:                           ;   in Loop: Header=BB420_515 Depth=1
	s_or_b32 exec_lo, exec_lo, s13
.LBB420_1134:                           ;   in Loop: Header=BB420_515 Depth=1
	s_delay_alu instid0(SALU_CYCLE_1)
	s_or_b32 exec_lo, exec_lo, s12
.LBB420_1135:                           ;   in Loop: Header=BB420_515 Depth=1
	s_delay_alu instid0(SALU_CYCLE_1) | instskip(NEXT) | instid1(VALU_DEP_1)
	s_or_b32 exec_lo, exec_lo, s9
	v_mul_f32_e32 v3, v26, v2
	s_delay_alu instid0(VALU_DEP_1) | instskip(NEXT) | instid1(VALU_DEP_1)
	v_and_b32_e32 v2, 0x7f800000, v3
	v_cmp_ne_u32_e64 s0, 0x7f800000, v2
                                        ; implicit-def: $vgpr2
	s_delay_alu instid0(VALU_DEP_1) | instskip(NEXT) | instid1(SALU_CYCLE_1)
	s_and_saveexec_b32 s9, s0
	s_xor_b32 s0, exec_lo, s9
; %bb.1136:                             ;   in Loop: Header=BB420_515 Depth=1
	v_bfe_u32 v2, v3, 16, 1
	s_delay_alu instid0(VALU_DEP_1)
	v_add3_u32 v2, v3, v2, 0x7fff
                                        ; implicit-def: $vgpr3
; %bb.1137:                             ;   in Loop: Header=BB420_515 Depth=1
	s_and_not1_saveexec_b32 s9, s0
; %bb.1138:                             ;   in Loop: Header=BB420_515 Depth=1
	v_and_b32_e32 v2, 0xffff, v3
	v_or_b32_e32 v9, 0x10000, v3
	s_delay_alu instid0(VALU_DEP_2) | instskip(NEXT) | instid1(VALU_DEP_1)
	v_cmp_eq_u32_e64 s0, 0, v2
	v_cndmask_b32_e64 v2, v9, v3, s0
; %bb.1139:                             ;   in Loop: Header=BB420_515 Depth=1
	s_or_b32 exec_lo, exec_lo, s9
	v_lshrrev_b32_e32 v3, 16, v1
	v_mov_b32_e32 v9, 0
	s_mov_b32 s9, exec_lo
	s_delay_alu instid0(VALU_DEP_2) | instskip(NEXT) | instid1(VALU_DEP_1)
	v_and_b32_e32 v131, 0xff, v3
	v_cmpx_ne_u16_e64 0, v131
	s_cbranch_execz .LBB420_1147
; %bb.1140:                             ;   in Loop: Header=BB420_515 Depth=1
	v_bfrev_b32_e32 v9, 1
	s_mov_b32 s12, exec_lo
	v_cmpx_ne_u16_e64 0x80, v131
	s_cbranch_execz .LBB420_1146
; %bb.1141:                             ;   in Loop: Header=BB420_515 Depth=1
	v_bfe_u32 v132, v1, 16, 7
	v_mov_b32_e32 v9, 0x7f800001
	s_mov_b32 s13, exec_lo
	s_delay_alu instid0(VALU_DEP_2)
	v_cmpx_ne_u32_e32 0x7f, v132
	s_cbranch_execz .LBB420_1145
; %bb.1142:                             ;   in Loop: Header=BB420_515 Depth=1
	v_and_b32_e32 v9, 7, v3
	v_lshrrev_b32_e32 v131, 3, v132
	s_mov_b32 s15, exec_lo
	v_cmpx_gt_u32_e32 8, v132
; %bb.1143:                             ;   in Loop: Header=BB420_515 Depth=1
	s_delay_alu instid0(VALU_DEP_3) | instskip(NEXT) | instid1(VALU_DEP_1)
	v_clz_i32_u32_e32 v131, v9
	v_min_u32_e32 v131, 32, v131
	s_delay_alu instid0(VALU_DEP_1) | instskip(SKIP_1) | instid1(VALU_DEP_2)
	v_subrev_nc_u32_e32 v132, 28, v131
	v_sub_nc_u32_e32 v131, 29, v131
	v_lshlrev_b64 v[132:133], v132, v[9:10]
	s_delay_alu instid0(VALU_DEP_1)
	v_and_b32_e32 v9, 7, v132
; %bb.1144:                             ;   in Loop: Header=BB420_515 Depth=1
	s_or_b32 exec_lo, exec_lo, s15
	v_lshlrev_b32_e32 v3, 24, v3
	s_delay_alu instid0(VALU_DEP_2) | instskip(SKIP_1) | instid1(VALU_DEP_3)
	v_lshlrev_b32_e32 v9, 20, v9
	v_lshl_add_u32 v131, v131, 23, 0x3c000000
	v_and_b32_e32 v3, 0x80000000, v3
	s_delay_alu instid0(VALU_DEP_1)
	v_or3_b32 v9, v9, v3, v131
.LBB420_1145:                           ;   in Loop: Header=BB420_515 Depth=1
	s_or_b32 exec_lo, exec_lo, s13
.LBB420_1146:                           ;   in Loop: Header=BB420_515 Depth=1
	s_delay_alu instid0(SALU_CYCLE_1)
	s_or_b32 exec_lo, exec_lo, s12
.LBB420_1147:                           ;   in Loop: Header=BB420_515 Depth=1
	s_delay_alu instid0(SALU_CYCLE_1) | instskip(NEXT) | instid1(VALU_DEP_1)
	s_or_b32 exec_lo, exec_lo, s9
	v_mul_f32_e32 v9, v26, v9
	s_delay_alu instid0(VALU_DEP_1) | instskip(NEXT) | instid1(VALU_DEP_1)
	v_and_b32_e32 v3, 0x7f800000, v9
	v_cmp_ne_u32_e64 s0, 0x7f800000, v3
                                        ; implicit-def: $vgpr3
	s_delay_alu instid0(VALU_DEP_1) | instskip(NEXT) | instid1(SALU_CYCLE_1)
	s_and_saveexec_b32 s9, s0
	s_xor_b32 s0, exec_lo, s9
; %bb.1148:                             ;   in Loop: Header=BB420_515 Depth=1
	v_bfe_u32 v3, v9, 16, 1
	s_delay_alu instid0(VALU_DEP_1)
	v_add3_u32 v3, v9, v3, 0x7fff
                                        ; implicit-def: $vgpr9
; %bb.1149:                             ;   in Loop: Header=BB420_515 Depth=1
	s_and_not1_saveexec_b32 s9, s0
; %bb.1150:                             ;   in Loop: Header=BB420_515 Depth=1
	v_and_b32_e32 v3, 0xffff, v9
	v_or_b32_e32 v131, 0x10000, v9
	s_delay_alu instid0(VALU_DEP_2) | instskip(NEXT) | instid1(VALU_DEP_1)
	v_cmp_eq_u32_e64 s0, 0, v3
	v_cndmask_b32_e64 v3, v131, v9, s0
; %bb.1151:                             ;   in Loop: Header=BB420_515 Depth=1
	s_or_b32 exec_lo, exec_lo, s9
	v_mov_b32_e32 v9, 0
	s_mov_b32 s9, exec_lo
	v_cmpx_lt_u64_e64 s[2:3], v[0:1]
	s_cbranch_execz .LBB420_1159
; %bb.1152:                             ;   in Loop: Header=BB420_515 Depth=1
	v_lshrrev_b32_e32 v0, 24, v1
	v_bfrev_b32_e32 v9, 1
	s_mov_b32 s12, exec_lo
	s_delay_alu instid0(VALU_DEP_2)
	v_cmpx_ne_u32_e32 0x80, v0
	s_cbranch_execz .LBB420_1158
; %bb.1153:                             ;   in Loop: Header=BB420_515 Depth=1
	v_bfe_u32 v131, v1, 24, 7
	v_mov_b32_e32 v9, 0x7f800001
	s_mov_b32 s13, exec_lo
	s_delay_alu instid0(VALU_DEP_2)
	v_cmpx_ne_u32_e32 0x7f, v131
	s_cbranch_execz .LBB420_1157
; %bb.1154:                             ;   in Loop: Header=BB420_515 Depth=1
	v_and_b32_e32 v9, 7, v0
	v_lshrrev_b32_e32 v1, 3, v131
	s_mov_b32 s15, exec_lo
	v_cmpx_gt_u32_e32 8, v131
; %bb.1155:                             ;   in Loop: Header=BB420_515 Depth=1
	s_delay_alu instid0(VALU_DEP_3) | instskip(NEXT) | instid1(VALU_DEP_1)
	v_clz_i32_u32_e32 v1, v9
	v_min_u32_e32 v1, 32, v1
	s_delay_alu instid0(VALU_DEP_1) | instskip(SKIP_1) | instid1(VALU_DEP_2)
	v_subrev_nc_u32_e32 v131, 28, v1
	v_sub_nc_u32_e32 v1, 29, v1
	v_lshlrev_b64 v[131:132], v131, v[9:10]
	s_delay_alu instid0(VALU_DEP_1)
	v_and_b32_e32 v9, 7, v131
; %bb.1156:                             ;   in Loop: Header=BB420_515 Depth=1
	s_or_b32 exec_lo, exec_lo, s15
	v_lshlrev_b32_e32 v0, 24, v0
	s_delay_alu instid0(VALU_DEP_2) | instskip(SKIP_1) | instid1(VALU_DEP_3)
	v_lshlrev_b32_e32 v9, 20, v9
	v_lshl_add_u32 v1, v1, 23, 0x3c000000
	v_and_b32_e32 v0, 0x80000000, v0
	s_delay_alu instid0(VALU_DEP_1)
	v_or3_b32 v9, v9, v0, v1
.LBB420_1157:                           ;   in Loop: Header=BB420_515 Depth=1
	s_or_b32 exec_lo, exec_lo, s13
.LBB420_1158:                           ;   in Loop: Header=BB420_515 Depth=1
	s_delay_alu instid0(SALU_CYCLE_1)
	s_or_b32 exec_lo, exec_lo, s12
.LBB420_1159:                           ;   in Loop: Header=BB420_515 Depth=1
	s_delay_alu instid0(SALU_CYCLE_1) | instskip(NEXT) | instid1(VALU_DEP_1)
	s_or_b32 exec_lo, exec_lo, s9
	v_mul_f32_e32 v0, v26, v9
                                        ; implicit-def: $vgpr132
	s_delay_alu instid0(VALU_DEP_1) | instskip(NEXT) | instid1(VALU_DEP_1)
	v_and_b32_e32 v1, 0x7f800000, v0
	v_cmp_ne_u32_e64 s0, 0x7f800000, v1
	s_delay_alu instid0(VALU_DEP_1) | instskip(NEXT) | instid1(SALU_CYCLE_1)
	s_and_saveexec_b32 s9, s0
	s_xor_b32 s0, exec_lo, s9
; %bb.1160:                             ;   in Loop: Header=BB420_515 Depth=1
	v_bfe_u32 v1, v0, 16, 1
	s_delay_alu instid0(VALU_DEP_1)
	v_add3_u32 v132, v0, v1, 0x7fff
                                        ; implicit-def: $vgpr0
; %bb.1161:                             ;   in Loop: Header=BB420_515 Depth=1
	s_and_not1_saveexec_b32 s9, s0
; %bb.1162:                             ;   in Loop: Header=BB420_515 Depth=1
	v_and_b32_e32 v1, 0xffff, v0
	v_or_b32_e32 v9, 0x10000, v0
	s_delay_alu instid0(VALU_DEP_2) | instskip(NEXT) | instid1(VALU_DEP_1)
	v_cmp_eq_u32_e64 s0, 0, v1
	v_cndmask_b32_e64 v132, v9, v0, s0
; %bb.1163:                             ;   in Loop: Header=BB420_515 Depth=1
	s_or_b32 exec_lo, exec_lo, s9
	v_lshrrev_b32_e32 v131, 16, v2
	v_lshrrev_b32_e32 v130, 16, v130
	;; [unrolled: 1-line block ×8, first 2 shown]
	s_and_saveexec_b32 s0, vcc_lo
	s_cbranch_execz .LBB420_1165
; %bb.1164:                             ;   in Loop: Header=BB420_515 Depth=1
	v_cmp_lt_i32_e32 vcc_lo, v49, v32
	v_cndmask_b32_e32 v0, 0, v0, vcc_lo
	v_cmp_lt_i32_e32 vcc_lo, v55, v32
	v_cndmask_b32_e32 v1, 0, v1, vcc_lo
	;; [unrolled: 2-line block ×8, first 2 shown]
.LBB420_1165:                           ;   in Loop: Header=BB420_515 Depth=1
	s_or_b32 exec_lo, exec_lo, s0
	v_lshlrev_b32_e32 v0, 16, v0
	s_delay_alu instid0(VALU_DEP_1) | instskip(NEXT) | instid1(VALU_DEP_1)
	v_mul_f32_e32 v3, v64, v0
	v_and_b32_e32 v0, 0x7f800000, v3
	s_delay_alu instid0(VALU_DEP_1) | instskip(SKIP_1) | instid1(SALU_CYCLE_1)
	v_cmp_ne_u32_e32 vcc_lo, 0x7f800000, v0
                                        ; implicit-def: $vgpr0
	s_and_saveexec_b32 s0, vcc_lo
	s_xor_b32 s0, exec_lo, s0
; %bb.1166:                             ;   in Loop: Header=BB420_515 Depth=1
	v_bfe_u32 v0, v3, 16, 1
	s_delay_alu instid0(VALU_DEP_1)
	v_add3_u32 v0, v3, v0, 0x7fff
                                        ; implicit-def: $vgpr3
; %bb.1167:                             ;   in Loop: Header=BB420_515 Depth=1
	s_and_not1_saveexec_b32 s0, s0
; %bb.1168:                             ;   in Loop: Header=BB420_515 Depth=1
	v_and_b32_e32 v0, 0xffff, v3
	v_or_b32_e32 v49, 0x10000, v3
	s_delay_alu instid0(VALU_DEP_2) | instskip(NEXT) | instid1(VALU_DEP_2)
	v_cmp_eq_u32_e32 vcc_lo, 0, v0
	v_cndmask_b32_e32 v0, v49, v3, vcc_lo
; %bb.1169:                             ;   in Loop: Header=BB420_515 Depth=1
	s_or_b32 exec_lo, exec_lo, s0
	v_lshlrev_b32_e32 v1, 16, v1
	s_delay_alu instid0(VALU_DEP_1) | instskip(NEXT) | instid1(VALU_DEP_1)
	v_mul_f32_e32 v3, v65, v1
	v_and_b32_e32 v1, 0x7f800000, v3
	s_delay_alu instid0(VALU_DEP_1) | instskip(SKIP_1) | instid1(SALU_CYCLE_1)
	v_cmp_ne_u32_e32 vcc_lo, 0x7f800000, v1
                                        ; implicit-def: $vgpr1
	s_and_saveexec_b32 s0, vcc_lo
	s_xor_b32 s0, exec_lo, s0
; %bb.1170:                             ;   in Loop: Header=BB420_515 Depth=1
	v_bfe_u32 v1, v3, 16, 1
	s_delay_alu instid0(VALU_DEP_1)
	v_add3_u32 v1, v3, v1, 0x7fff
                                        ; implicit-def: $vgpr3
; %bb.1171:                             ;   in Loop: Header=BB420_515 Depth=1
	s_and_not1_saveexec_b32 s0, s0
; %bb.1172:                             ;   in Loop: Header=BB420_515 Depth=1
	v_and_b32_e32 v1, 0xffff, v3
	v_or_b32_e32 v49, 0x10000, v3
	s_delay_alu instid0(VALU_DEP_2) | instskip(NEXT) | instid1(VALU_DEP_2)
	v_cmp_eq_u32_e32 vcc_lo, 0, v1
	v_cndmask_b32_e32 v1, v49, v3, vcc_lo
; %bb.1173:                             ;   in Loop: Header=BB420_515 Depth=1
	s_or_b32 exec_lo, exec_lo, s0
	v_lshlrev_b32_e32 v3, 16, v128
	s_delay_alu instid0(VALU_DEP_1) | instskip(NEXT) | instid1(VALU_DEP_1)
	v_mul_f32_e32 v49, v66, v3
	v_and_b32_e32 v3, 0x7f800000, v49
	s_delay_alu instid0(VALU_DEP_1) | instskip(SKIP_1) | instid1(SALU_CYCLE_1)
	v_cmp_ne_u32_e32 vcc_lo, 0x7f800000, v3
                                        ; implicit-def: $vgpr3
	s_and_saveexec_b32 s0, vcc_lo
	s_xor_b32 s0, exec_lo, s0
; %bb.1174:                             ;   in Loop: Header=BB420_515 Depth=1
	v_bfe_u32 v3, v49, 16, 1
	s_delay_alu instid0(VALU_DEP_1)
	v_add3_u32 v3, v49, v3, 0x7fff
                                        ; implicit-def: $vgpr49
; %bb.1175:                             ;   in Loop: Header=BB420_515 Depth=1
	s_and_not1_saveexec_b32 s0, s0
; %bb.1176:                             ;   in Loop: Header=BB420_515 Depth=1
	v_and_b32_e32 v3, 0xffff, v49
	v_or_b32_e32 v50, 0x10000, v49
	s_delay_alu instid0(VALU_DEP_2) | instskip(NEXT) | instid1(VALU_DEP_2)
	v_cmp_eq_u32_e32 vcc_lo, 0, v3
	v_cndmask_b32_e32 v3, v50, v49, vcc_lo
; %bb.1177:                             ;   in Loop: Header=BB420_515 Depth=1
	s_or_b32 exec_lo, exec_lo, s0
	v_lshlrev_b32_e32 v49, 16, v129
	s_delay_alu instid0(VALU_DEP_1) | instskip(NEXT) | instid1(VALU_DEP_1)
	v_mul_f32_e32 v50, v67, v49
	v_and_b32_e32 v49, 0x7f800000, v50
	s_delay_alu instid0(VALU_DEP_1) | instskip(SKIP_1) | instid1(SALU_CYCLE_1)
	v_cmp_ne_u32_e32 vcc_lo, 0x7f800000, v49
                                        ; implicit-def: $vgpr49
	s_and_saveexec_b32 s0, vcc_lo
	s_xor_b32 s0, exec_lo, s0
; %bb.1178:                             ;   in Loop: Header=BB420_515 Depth=1
	v_bfe_u32 v49, v50, 16, 1
	s_delay_alu instid0(VALU_DEP_1)
	v_add3_u32 v49, v50, v49, 0x7fff
                                        ; implicit-def: $vgpr50
; %bb.1179:                             ;   in Loop: Header=BB420_515 Depth=1
	s_and_not1_saveexec_b32 s0, s0
; %bb.1180:                             ;   in Loop: Header=BB420_515 Depth=1
	v_and_b32_e32 v49, 0xffff, v50
	v_or_b32_e32 v51, 0x10000, v50
	s_delay_alu instid0(VALU_DEP_2) | instskip(NEXT) | instid1(VALU_DEP_2)
	v_cmp_eq_u32_e32 vcc_lo, 0, v49
	v_cndmask_b32_e32 v49, v51, v50, vcc_lo
; %bb.1181:                             ;   in Loop: Header=BB420_515 Depth=1
	s_or_b32 exec_lo, exec_lo, s0
	v_lshlrev_b32_e32 v50, 16, v130
	s_delay_alu instid0(VALU_DEP_1) | instskip(NEXT) | instid1(VALU_DEP_1)
	v_mul_f32_e32 v51, v68, v50
	v_and_b32_e32 v50, 0x7f800000, v51
	s_delay_alu instid0(VALU_DEP_1) | instskip(SKIP_1) | instid1(SALU_CYCLE_1)
	v_cmp_ne_u32_e32 vcc_lo, 0x7f800000, v50
                                        ; implicit-def: $vgpr50
	s_and_saveexec_b32 s0, vcc_lo
	s_xor_b32 s0, exec_lo, s0
; %bb.1182:                             ;   in Loop: Header=BB420_515 Depth=1
	v_bfe_u32 v50, v51, 16, 1
	s_delay_alu instid0(VALU_DEP_1)
	v_add3_u32 v50, v51, v50, 0x7fff
                                        ; implicit-def: $vgpr51
; %bb.1183:                             ;   in Loop: Header=BB420_515 Depth=1
	s_and_not1_saveexec_b32 s0, s0
; %bb.1184:                             ;   in Loop: Header=BB420_515 Depth=1
	v_and_b32_e32 v50, 0xffff, v51
	v_or_b32_e32 v52, 0x10000, v51
	s_delay_alu instid0(VALU_DEP_2) | instskip(NEXT) | instid1(VALU_DEP_2)
	v_cmp_eq_u32_e32 vcc_lo, 0, v50
	v_cndmask_b32_e32 v50, v52, v51, vcc_lo
; %bb.1185:                             ;   in Loop: Header=BB420_515 Depth=1
	s_or_b32 exec_lo, exec_lo, s0
	v_lshlrev_b32_e32 v51, 16, v131
	s_delay_alu instid0(VALU_DEP_1) | instskip(NEXT) | instid1(VALU_DEP_1)
	v_mul_f32_e32 v52, v69, v51
	v_and_b32_e32 v51, 0x7f800000, v52
	s_delay_alu instid0(VALU_DEP_1) | instskip(SKIP_1) | instid1(SALU_CYCLE_1)
	v_cmp_ne_u32_e32 vcc_lo, 0x7f800000, v51
                                        ; implicit-def: $vgpr51
	s_and_saveexec_b32 s0, vcc_lo
	s_xor_b32 s0, exec_lo, s0
; %bb.1186:                             ;   in Loop: Header=BB420_515 Depth=1
	v_bfe_u32 v51, v52, 16, 1
	s_delay_alu instid0(VALU_DEP_1)
	v_add3_u32 v51, v52, v51, 0x7fff
                                        ; implicit-def: $vgpr52
; %bb.1187:                             ;   in Loop: Header=BB420_515 Depth=1
	s_and_not1_saveexec_b32 s0, s0
; %bb.1188:                             ;   in Loop: Header=BB420_515 Depth=1
	v_and_b32_e32 v51, 0xffff, v52
	v_or_b32_e32 v53, 0x10000, v52
	s_delay_alu instid0(VALU_DEP_2) | instskip(NEXT) | instid1(VALU_DEP_2)
	v_cmp_eq_u32_e32 vcc_lo, 0, v51
	v_cndmask_b32_e32 v51, v53, v52, vcc_lo
; %bb.1189:                             ;   in Loop: Header=BB420_515 Depth=1
	s_or_b32 exec_lo, exec_lo, s0
	v_lshlrev_b32_e32 v9, 16, v9
	s_delay_alu instid0(VALU_DEP_1) | instskip(NEXT) | instid1(VALU_DEP_1)
	v_mul_f32_e32 v52, v70, v9
	v_and_b32_e32 v9, 0x7f800000, v52
	s_delay_alu instid0(VALU_DEP_1) | instskip(SKIP_1) | instid1(SALU_CYCLE_1)
	v_cmp_ne_u32_e32 vcc_lo, 0x7f800000, v9
                                        ; implicit-def: $vgpr9
	s_and_saveexec_b32 s0, vcc_lo
	s_xor_b32 s0, exec_lo, s0
; %bb.1190:                             ;   in Loop: Header=BB420_515 Depth=1
	v_bfe_u32 v9, v52, 16, 1
	s_delay_alu instid0(VALU_DEP_1)
	v_add3_u32 v9, v52, v9, 0x7fff
                                        ; implicit-def: $vgpr52
; %bb.1191:                             ;   in Loop: Header=BB420_515 Depth=1
	s_and_not1_saveexec_b32 s0, s0
; %bb.1192:                             ;   in Loop: Header=BB420_515 Depth=1
	v_and_b32_e32 v9, 0xffff, v52
	v_or_b32_e32 v53, 0x10000, v52
	s_delay_alu instid0(VALU_DEP_2) | instskip(NEXT) | instid1(VALU_DEP_2)
	v_cmp_eq_u32_e32 vcc_lo, 0, v9
	v_cndmask_b32_e32 v9, v53, v52, vcc_lo
; %bb.1193:                             ;   in Loop: Header=BB420_515 Depth=1
	s_or_b32 exec_lo, exec_lo, s0
	v_lshlrev_b32_e32 v2, 16, v2
	s_delay_alu instid0(VALU_DEP_1) | instskip(NEXT) | instid1(VALU_DEP_1)
	v_mul_f32_e32 v52, v71, v2
	v_and_b32_e32 v2, 0x7f800000, v52
	s_delay_alu instid0(VALU_DEP_1) | instskip(SKIP_1) | instid1(SALU_CYCLE_1)
	v_cmp_ne_u32_e32 vcc_lo, 0x7f800000, v2
                                        ; implicit-def: $vgpr2
	s_and_saveexec_b32 s0, vcc_lo
	s_xor_b32 s0, exec_lo, s0
; %bb.1194:                             ;   in Loop: Header=BB420_515 Depth=1
	v_bfe_u32 v2, v52, 16, 1
	s_delay_alu instid0(VALU_DEP_1)
	v_add3_u32 v2, v52, v2, 0x7fff
                                        ; implicit-def: $vgpr52
; %bb.1195:                             ;   in Loop: Header=BB420_515 Depth=1
	s_and_not1_saveexec_b32 s0, s0
	s_cbranch_execz .LBB420_514
; %bb.1196:                             ;   in Loop: Header=BB420_515 Depth=1
	v_and_b32_e32 v2, 0xffff, v52
	v_or_b32_e32 v53, 0x10000, v52
	s_delay_alu instid0(VALU_DEP_2) | instskip(NEXT) | instid1(VALU_DEP_2)
	v_cmp_eq_u32_e32 vcc_lo, 0, v2
	v_cndmask_b32_e32 v2, v53, v52, vcc_lo
	s_branch .LBB420_514
.LBB420_1197:
	s_or_b32 exec_lo, exec_lo, s8
	v_dual_mov_b32 v0, s10 :: v_dual_mov_b32 v1, s11
.LBB420_1198:
	s_or_b32 exec_lo, exec_lo, s7
	s_delay_alu instid0(VALU_DEP_1)
	v_lshlrev_b64 v[0:1], 2, v[0:1]
	s_getpc_b64 s[2:3]
	s_add_u32 s2, s2, llvm.amdgcn.dynlds.offset.table@rel32@lo+4
	s_addc_u32 s3, s3, llvm.amdgcn.dynlds.offset.table@rel32@hi+12
	s_waitcnt lgkmcnt(0)
	s_waitcnt_vscnt null, 0x0
	s_barrier
	buffer_gl0_inv
	ds_bpermute_b32 v2, v19, v24
	v_add_co_u32 v0, vcc_lo, v0, s2
	v_add_co_ci_u32_e32 v1, vcc_lo, s3, v1, vcc_lo
	ds_bpermute_b32 v3, v19, v23
	ds_bpermute_b32 v6, v19, v21
	;; [unrolled: 1-line block ×3, first 2 shown]
	global_load_b32 v8, v[0:1], off
	ds_bpermute_b32 v0, v19, v25
	v_and_b32_e32 v7, 0x3c1, v31
	v_lshrrev_b32_e32 v1, 1, v18
	s_waitcnt lgkmcnt(0)
	v_dual_add_f32 v3, v23, v3 :: v_dual_add_f32 v0, v25, v0
	s_delay_alu instid0(VALU_DEP_3)
	v_cmp_eq_u32_e32 vcc_lo, 64, v7
	v_add_f32_e32 v7, v24, v2
	v_add_f32_e32 v2, v21, v6
	;; [unrolled: 1-line block ×3, first 2 shown]
	v_lshlrev_b32_e32 v9, 2, v1
	s_waitcnt vmcnt(0)
	v_mad_u32_u24 v8, 0x140, v34, v8
	s_and_saveexec_b32 s0, vcc_lo
	s_cbranch_execz .LBB420_1200
; %bb.1199:
	s_delay_alu instid0(VALU_DEP_1)
	v_add3_u32 v10, v8, v9, 0xfffffd80
	ds_store_2addr_b32 v10, v0, v7 offset1:16
	ds_store_2addr_b32 v10, v3, v2 offset0:32 offset1:48
	ds_store_b32 v10, v6 offset:256
.LBB420_1200:
	s_or_b32 exec_lo, exec_lo, s0
	v_cmp_eq_u32_e32 vcc_lo, 0, v33
	s_mov_b32 s2, exec_lo
	s_waitcnt lgkmcnt(0)
	s_barrier
	buffer_gl0_inv
	v_cmpx_gt_u32_e32 64, v31
	s_cbranch_execz .LBB420_1208
; %bb.1201:
	s_and_saveexec_b32 s0, vcc_lo
	s_cbranch_execnz .LBB420_1242
; %bb.1202:
	s_or_b32 exec_lo, exec_lo, s0
	s_and_saveexec_b32 s0, vcc_lo
	s_cbranch_execnz .LBB420_1243
.LBB420_1203:
	s_or_b32 exec_lo, exec_lo, s0
	s_and_saveexec_b32 s0, vcc_lo
	s_cbranch_execnz .LBB420_1244
.LBB420_1204:
	s_or_b32 exec_lo, exec_lo, s0
	s_and_saveexec_b32 s0, vcc_lo
	s_cbranch_execnz .LBB420_1245
.LBB420_1205:
	s_or_b32 exec_lo, exec_lo, s0
	s_and_saveexec_b32 s0, vcc_lo
	s_cbranch_execz .LBB420_1207
.LBB420_1206:
	v_lshl_add_u32 v10, v1, 2, v8
	ds_load_b32 v10, v10 offset:256
	s_waitcnt lgkmcnt(0)
	v_add_f32_e32 v6, v6, v10
.LBB420_1207:
	s_or_b32 exec_lo, exec_lo, s0
.LBB420_1208:
	s_delay_alu instid0(SALU_CYCLE_1)
	s_or_b32 exec_lo, exec_lo, s2
	v_and_b32_e32 v10, 0x3e1, v31
	s_mov_b32 s2, exec_lo
	s_barrier
	buffer_gl0_inv
	v_cmpx_eq_u32_e32 32, v10
	s_cbranch_execz .LBB420_1210
; %bb.1209:
	v_add3_u32 v9, v8, v9, 0xfffffec0
	ds_store_2addr_b32 v9, v0, v7 offset1:16
	ds_store_2addr_b32 v9, v3, v2 offset0:32 offset1:48
	ds_store_b32 v9, v6 offset:256
.LBB420_1210:
	s_or_b32 exec_lo, exec_lo, s2
	v_cmp_gt_u32_e64 s0, 32, v31
	s_waitcnt lgkmcnt(0)
	s_barrier
	buffer_gl0_inv
	s_and_saveexec_b32 s2, s0
	s_cbranch_execz .LBB420_1218
; %bb.1211:
	v_lshl_add_u32 v1, v1, 2, v8
	s_and_saveexec_b32 s3, vcc_lo
	s_cbranch_execnz .LBB420_1246
; %bb.1212:
	s_or_b32 exec_lo, exec_lo, s3
	s_and_saveexec_b32 s3, vcc_lo
	s_cbranch_execnz .LBB420_1247
.LBB420_1213:
	s_or_b32 exec_lo, exec_lo, s3
	s_and_saveexec_b32 s3, vcc_lo
	s_cbranch_execnz .LBB420_1248
.LBB420_1214:
	s_or_b32 exec_lo, exec_lo, s3
	s_and_saveexec_b32 s3, vcc_lo
	s_cbranch_execnz .LBB420_1249
.LBB420_1215:
	s_or_b32 exec_lo, exec_lo, s3
	s_and_saveexec_b32 s3, vcc_lo
	s_cbranch_execz .LBB420_1217
.LBB420_1216:
	ds_load_b32 v1, v1 offset:256
	s_waitcnt lgkmcnt(0)
	v_add_f32_e32 v6, v6, v1
.LBB420_1217:
	s_or_b32 exec_lo, exec_lo, s3
.LBB420_1218:
	s_delay_alu instid0(SALU_CYCLE_1)
	s_or_b32 exec_lo, exec_lo, s2
	s_barrier
	buffer_gl0_inv
	s_and_b32 exec_lo, exec_lo, s0
	s_cbranch_execz .LBB420_1241
; %bb.1219:
	s_and_b32 exec_lo, exec_lo, vcc_lo
	s_cbranch_execz .LBB420_1241
; %bb.1220:
	v_and_b32_e32 v1, 0x7f800000, v0
	s_mov_b32 s0, exec_lo
                                        ; implicit-def: $vgpr8
	s_delay_alu instid0(VALU_DEP_1)
	v_cmpx_ne_u32_e32 0x7f800000, v1
	s_xor_b32 s0, exec_lo, s0
; %bb.1221:
	v_bfe_u32 v1, v0, 16, 1
	s_delay_alu instid0(VALU_DEP_1)
	v_add3_u32 v8, v0, v1, 0x7fff
; %bb.1222:
	s_and_not1_saveexec_b32 s0, s0
; %bb.1223:
	v_and_b32_e32 v1, 0xffff, v0
	v_or_b32_e32 v8, 0x10000, v0
	s_delay_alu instid0(VALU_DEP_2) | instskip(NEXT) | instid1(VALU_DEP_2)
	v_cmp_eq_u32_e32 vcc_lo, 0, v1
	v_cndmask_b32_e32 v8, v8, v0, vcc_lo
; %bb.1224:
	s_or_b32 exec_lo, exec_lo, s0
	s_mul_i32 s2, s1, s4
	s_mul_i32 s0, s6, s1
	;; [unrolled: 1-line block ×5, first 2 shown]
	s_ashr_i32 s1, s0, 31
	s_ashr_i32 s3, s2, 31
	;; [unrolled: 1-line block ×3, first 2 shown]
	s_lshl_b64 s[0:1], s[0:1], 1
	s_lshl_b64 s[2:3], s[2:3], 1
	;; [unrolled: 1-line block ×3, first 2 shown]
	s_add_u32 s0, s2, s0
	s_addc_u32 s1, s3, s1
	s_add_u32 s0, s0, s6
	s_addc_u32 s1, s1, s7
	v_lshlrev_b32_e32 v0, 1, v30
	v_add_co_u32 v1, vcc_lo, s0, v4
	v_add_co_ci_u32_e32 v4, vcc_lo, s1, v5, vcc_lo
	v_and_b32_e32 v5, 0x7f800000, v7
	s_delay_alu instid0(VALU_DEP_3) | instskip(NEXT) | instid1(VALU_DEP_3)
	v_add_co_u32 v0, vcc_lo, v1, v0
	v_add_co_ci_u32_e32 v1, vcc_lo, 0, v4, vcc_lo
	s_mov_b32 s0, exec_lo
                                        ; implicit-def: $vgpr4
	flat_store_d16_hi_b16 v[0:1], v8
	v_cmpx_ne_u32_e32 0x7f800000, v5
	s_xor_b32 s0, exec_lo, s0
; %bb.1225:
	v_bfe_u32 v4, v7, 16, 1
	s_delay_alu instid0(VALU_DEP_1)
	v_add3_u32 v4, v7, v4, 0x7fff
; %bb.1226:
	s_and_not1_saveexec_b32 s0, s0
; %bb.1227:
	v_and_b32_e32 v4, 0xffff, v7
	v_or_b32_e32 v5, 0x10000, v7
	s_delay_alu instid0(VALU_DEP_2) | instskip(NEXT) | instid1(VALU_DEP_2)
	v_cmp_eq_u32_e32 vcc_lo, 0, v4
	v_cndmask_b32_e32 v4, v5, v7, vcc_lo
; %bb.1228:
	s_or_b32 exec_lo, exec_lo, s0
	v_and_b32_e32 v5, 0x7f800000, v3
	s_mov_b32 s0, exec_lo
	flat_store_d16_hi_b16 v[0:1], v4 offset:32
                                        ; implicit-def: $vgpr4
	v_cmpx_ne_u32_e32 0x7f800000, v5
	s_xor_b32 s0, exec_lo, s0
; %bb.1229:
	v_bfe_u32 v4, v3, 16, 1
	s_delay_alu instid0(VALU_DEP_1)
	v_add3_u32 v4, v3, v4, 0x7fff
; %bb.1230:
	s_and_not1_saveexec_b32 s0, s0
; %bb.1231:
	v_and_b32_e32 v4, 0xffff, v3
	v_or_b32_e32 v5, 0x10000, v3
	s_delay_alu instid0(VALU_DEP_2) | instskip(NEXT) | instid1(VALU_DEP_2)
	v_cmp_eq_u32_e32 vcc_lo, 0, v4
	v_cndmask_b32_e32 v4, v5, v3, vcc_lo
; %bb.1232:
	s_or_b32 exec_lo, exec_lo, s0
	v_and_b32_e32 v3, 0x7f800000, v2
	flat_store_d16_hi_b16 v[0:1], v4 offset:64
	v_cmp_ne_u32_e32 vcc_lo, 0x7f800000, v3
                                        ; implicit-def: $vgpr3
	s_and_saveexec_b32 s0, vcc_lo
	s_delay_alu instid0(SALU_CYCLE_1)
	s_xor_b32 s0, exec_lo, s0
; %bb.1233:
	v_bfe_u32 v3, v2, 16, 1
	s_delay_alu instid0(VALU_DEP_1)
	v_add3_u32 v3, v2, v3, 0x7fff
; %bb.1234:
	s_and_not1_saveexec_b32 s0, s0
; %bb.1235:
	v_and_b32_e32 v3, 0xffff, v2
	v_or_b32_e32 v4, 0x10000, v2
	s_delay_alu instid0(VALU_DEP_2) | instskip(NEXT) | instid1(VALU_DEP_2)
	v_cmp_eq_u32_e32 vcc_lo, 0, v3
	v_cndmask_b32_e32 v3, v4, v2, vcc_lo
; %bb.1236:
	s_or_b32 exec_lo, exec_lo, s0
	v_and_b32_e32 v2, 0x7f800000, v6
	s_mov_b32 s0, exec_lo
	flat_store_d16_hi_b16 v[0:1], v3 offset:96
                                        ; implicit-def: $vgpr7
	v_cmpx_ne_u32_e32 0x7f800000, v2
	s_xor_b32 s0, exec_lo, s0
; %bb.1237:
	v_bfe_u32 v2, v6, 16, 1
	s_delay_alu instid0(VALU_DEP_1)
	v_add3_u32 v7, v6, v2, 0x7fff
                                        ; implicit-def: $vgpr2_vgpr3_vgpr4_vgpr5_vgpr6
; %bb.1238:
	s_and_not1_saveexec_b32 s0, s0
; %bb.1239:
	v_and_b32_e32 v2, 0xffff, v6
	v_or_b32_e32 v3, 0x10000, v6
	s_delay_alu instid0(VALU_DEP_2) | instskip(NEXT) | instid1(VALU_DEP_2)
	v_cmp_eq_u32_e32 vcc_lo, 0, v2
	v_cndmask_b32_e32 v7, v3, v6, vcc_lo
; %bb.1240:
	s_or_b32 exec_lo, exec_lo, s0
	flat_store_d16_hi_b16 v[0:1], v7 offset:128
.LBB420_1241:
	s_or_b32 exec_lo, exec_lo, s5
	s_clause 0x11
	scratch_load_b32 v73, off, s32
	scratch_load_b32 v72, off, s32 offset:4
	scratch_load_b32 v63, off, s32 offset:8
	;; [unrolled: 1-line block ×17, first 2 shown]
	s_waitcnt vmcnt(0) lgkmcnt(0)
	s_setpc_b64 s[30:31]
.LBB420_1242:
	v_lshl_add_u32 v10, v1, 2, v8
	ds_load_b32 v10, v10
	s_waitcnt lgkmcnt(0)
	v_add_f32_e32 v0, v0, v10
	s_or_b32 exec_lo, exec_lo, s0
	s_and_saveexec_b32 s0, vcc_lo
	s_cbranch_execz .LBB420_1203
.LBB420_1243:
	v_lshl_add_u32 v10, v1, 2, v8
	ds_load_b32 v10, v10 offset:64
	s_waitcnt lgkmcnt(0)
	v_add_f32_e32 v7, v7, v10
	s_or_b32 exec_lo, exec_lo, s0
	s_and_saveexec_b32 s0, vcc_lo
	s_cbranch_execz .LBB420_1204
.LBB420_1244:
	v_lshl_add_u32 v10, v1, 2, v8
	ds_load_b32 v10, v10 offset:128
	s_waitcnt lgkmcnt(0)
	v_add_f32_e32 v3, v3, v10
	s_or_b32 exec_lo, exec_lo, s0
	s_and_saveexec_b32 s0, vcc_lo
	s_cbranch_execz .LBB420_1205
.LBB420_1245:
	v_lshl_add_u32 v10, v1, 2, v8
	ds_load_b32 v10, v10 offset:192
	s_waitcnt lgkmcnt(0)
	v_add_f32_e32 v2, v2, v10
	s_or_b32 exec_lo, exec_lo, s0
	s_and_saveexec_b32 s0, vcc_lo
	s_cbranch_execnz .LBB420_1206
	s_branch .LBB420_1207
.LBB420_1246:
	ds_load_b32 v8, v1
	s_waitcnt lgkmcnt(0)
	v_add_f32_e32 v0, v0, v8
	s_or_b32 exec_lo, exec_lo, s3
	s_and_saveexec_b32 s3, vcc_lo
	s_cbranch_execz .LBB420_1213
.LBB420_1247:
	ds_load_b32 v8, v1 offset:64
	s_waitcnt lgkmcnt(0)
	v_add_f32_e32 v7, v7, v8
	s_or_b32 exec_lo, exec_lo, s3
	s_and_saveexec_b32 s3, vcc_lo
	s_cbranch_execz .LBB420_1214
.LBB420_1248:
	ds_load_b32 v8, v1 offset:128
	s_waitcnt lgkmcnt(0)
	v_add_f32_e32 v3, v3, v8
	s_or_b32 exec_lo, exec_lo, s3
	s_and_saveexec_b32 s3, vcc_lo
	s_cbranch_execz .LBB420_1215
.LBB420_1249:
	ds_load_b32 v8, v1 offset:192
	s_waitcnt lgkmcnt(0)
	v_add_f32_e32 v2, v2, v8
	s_or_b32 exec_lo, exec_lo, s3
	s_and_saveexec_b32 s3, vcc_lo
	s_cbranch_execnz .LBB420_1216
	s_branch .LBB420_1217
.Lfunc_end420:
	.size	_ZN4vllm22paged_attention_kernelI14__hip_bfloat16hLi80ELi16ELi128ELNS_18Fp8KVCacheDataTypeE1ELb0ELi512EEEvPfS3_PT_PKS4_PKT0_SA_ifPKiSC_iPKfiiiSE_SE_iiiii, .Lfunc_end420-_ZN4vllm22paged_attention_kernelI14__hip_bfloat16hLi80ELi16ELi128ELNS_18Fp8KVCacheDataTypeE1ELb0ELi512EEEvPfS3_PT_PKS4_PKT0_SA_ifPKiSC_iPKfiiiSE_SE_iiiii
                                        ; -- End function
	.section	.AMDGPU.csdata,"",@progbits
; Function info:
; codeLenInByte = 38008
; NumSgprs: 35
; NumVgprs: 184
; ScratchSize: 76
; MemoryBound: 0
	.section	.text._ZN4vllm25paged_attention_v2_kernelI14__hip_bfloat16hLi80ELi16ELi128ELNS_18Fp8KVCacheDataTypeE1ELb0ELi512EEEvPfS3_PT_PKS4_PKT0_SA_ifPKiSC_iPKfiiiSE_SE_iiiii,"axG",@progbits,_ZN4vllm25paged_attention_v2_kernelI14__hip_bfloat16hLi80ELi16ELi128ELNS_18Fp8KVCacheDataTypeE1ELb0ELi512EEEvPfS3_PT_PKS4_PKT0_SA_ifPKiSC_iPKfiiiSE_SE_iiiii,comdat
	.protected	_ZN4vllm25paged_attention_v2_kernelI14__hip_bfloat16hLi80ELi16ELi128ELNS_18Fp8KVCacheDataTypeE1ELb0ELi512EEEvPfS3_PT_PKS4_PKT0_SA_ifPKiSC_iPKfiiiSE_SE_iiiii ; -- Begin function _ZN4vllm25paged_attention_v2_kernelI14__hip_bfloat16hLi80ELi16ELi128ELNS_18Fp8KVCacheDataTypeE1ELb0ELi512EEEvPfS3_PT_PKS4_PKT0_SA_ifPKiSC_iPKfiiiSE_SE_iiiii
	.globl	_ZN4vllm25paged_attention_v2_kernelI14__hip_bfloat16hLi80ELi16ELi128ELNS_18Fp8KVCacheDataTypeE1ELb0ELi512EEEvPfS3_PT_PKS4_PKT0_SA_ifPKiSC_iPKfiiiSE_SE_iiiii
	.p2align	8
	.type	_ZN4vllm25paged_attention_v2_kernelI14__hip_bfloat16hLi80ELi16ELi128ELNS_18Fp8KVCacheDataTypeE1ELb0ELi512EEEvPfS3_PT_PKS4_PKT0_SA_ifPKiSC_iPKfiiiSE_SE_iiiii,@function
_ZN4vllm25paged_attention_v2_kernelI14__hip_bfloat16hLi80ELi16ELi128ELNS_18Fp8KVCacheDataTypeE1ELb0ELi512EEEvPfS3_PT_PKS4_PKT0_SA_ifPKiSC_iPKfiiiSE_SE_iiiii: ; @_ZN4vllm25paged_attention_v2_kernelI14__hip_bfloat16hLi80ELi16ELi128ELNS_18Fp8KVCacheDataTypeE1ELb0ELi512EEEvPfS3_PT_PKS4_PKT0_SA_ifPKiSC_iPKfiiiSE_SE_iiiii
; %bb.0:
	s_clause 0x5
	s_load_b256 s[24:31], s[0:1], 0x0
	s_load_b256 s[16:23], s[0:1], 0x20
	s_load_b64 s[2:3], s[0:1], 0x40
	s_load_b64 s[4:5], s[0:1], 0x50
	s_load_b32 s6, s[0:1], 0x48
	s_load_b256 s[36:43], s[0:1], 0x58
	v_mov_b32_e32 v31, v0
	s_add_u32 s8, s0, 0x90
	s_mov_b32 s12, s13
	s_addc_u32 s9, s1, 0
	s_mov_b32 s13, s14
	s_mov_b32 s14, s15
	;; [unrolled: 1-line block ×4, first 2 shown]
	s_getpc_b64 s[0:1]
	s_add_u32 s0, s0, _ZN4vllm22paged_attention_kernelI14__hip_bfloat16hLi80ELi16ELi128ELNS_18Fp8KVCacheDataTypeE1ELb0ELi512EEEvPfS3_PT_PKS4_PKT0_SA_ifPKiSC_iPKfiiiSE_SE_iiiii@rel32@lo+4
	s_addc_u32 s1, s1, _ZN4vllm22paged_attention_kernelI14__hip_bfloat16hLi80ELi16ELi128ELNS_18Fp8KVCacheDataTypeE1ELb0ELi512EEEvPfS3_PT_PKS4_PKT0_SA_ifPKiSC_iPKfiiiSE_SE_iiiii@rel32@hi+12
	s_waitcnt lgkmcnt(0)
	v_dual_mov_b32 v0, s24 :: v_dual_mov_b32 v1, s25
	v_dual_mov_b32 v2, s26 :: v_dual_mov_b32 v3, s27
	;; [unrolled: 1-line block ×14, first 2 shown]
	s_swappc_b64 s[30:31], s[0:1]
	s_endpgm
	.section	.rodata,"a",@progbits
	.p2align	6, 0x0
	.amdhsa_kernel _ZN4vllm25paged_attention_v2_kernelI14__hip_bfloat16hLi80ELi16ELi128ELNS_18Fp8KVCacheDataTypeE1ELb0ELi512EEEvPfS3_PT_PKS4_PKT0_SA_ifPKiSC_iPKfiiiSE_SE_iiiii
		.amdhsa_group_segment_fixed_size 192
		.amdhsa_private_segment_fixed_size 76
		.amdhsa_kernarg_size 400
		.amdhsa_user_sgpr_count 13
		.amdhsa_user_sgpr_dispatch_ptr 0
		.amdhsa_user_sgpr_queue_ptr 0
		.amdhsa_user_sgpr_kernarg_segment_ptr 1
		.amdhsa_user_sgpr_dispatch_id 0
		.amdhsa_user_sgpr_private_segment_size 0
		.amdhsa_wavefront_size32 1
		.amdhsa_uses_dynamic_stack 0
		.amdhsa_enable_private_segment 1
		.amdhsa_system_sgpr_workgroup_id_x 1
		.amdhsa_system_sgpr_workgroup_id_y 1
		.amdhsa_system_sgpr_workgroup_id_z 1
		.amdhsa_system_sgpr_workgroup_info 0
		.amdhsa_system_vgpr_workitem_id 0
		.amdhsa_next_free_vgpr 184
		.amdhsa_next_free_sgpr 44
		.amdhsa_reserve_vcc 1
		.amdhsa_float_round_mode_32 0
		.amdhsa_float_round_mode_16_64 0
		.amdhsa_float_denorm_mode_32 3
		.amdhsa_float_denorm_mode_16_64 3
		.amdhsa_dx10_clamp 1
		.amdhsa_ieee_mode 1
		.amdhsa_fp16_overflow 0
		.amdhsa_workgroup_processor_mode 1
		.amdhsa_memory_ordered 1
		.amdhsa_forward_progress 0
		.amdhsa_shared_vgpr_count 0
		.amdhsa_exception_fp_ieee_invalid_op 0
		.amdhsa_exception_fp_denorm_src 0
		.amdhsa_exception_fp_ieee_div_zero 0
		.amdhsa_exception_fp_ieee_overflow 0
		.amdhsa_exception_fp_ieee_underflow 0
		.amdhsa_exception_fp_ieee_inexact 0
		.amdhsa_exception_int_div_zero 0
	.end_amdhsa_kernel
	.section	.text._ZN4vllm25paged_attention_v2_kernelI14__hip_bfloat16hLi80ELi16ELi128ELNS_18Fp8KVCacheDataTypeE1ELb0ELi512EEEvPfS3_PT_PKS4_PKT0_SA_ifPKiSC_iPKfiiiSE_SE_iiiii,"axG",@progbits,_ZN4vllm25paged_attention_v2_kernelI14__hip_bfloat16hLi80ELi16ELi128ELNS_18Fp8KVCacheDataTypeE1ELb0ELi512EEEvPfS3_PT_PKS4_PKT0_SA_ifPKiSC_iPKfiiiSE_SE_iiiii,comdat
.Lfunc_end421:
	.size	_ZN4vllm25paged_attention_v2_kernelI14__hip_bfloat16hLi80ELi16ELi128ELNS_18Fp8KVCacheDataTypeE1ELb0ELi512EEEvPfS3_PT_PKS4_PKT0_SA_ifPKiSC_iPKfiiiSE_SE_iiiii, .Lfunc_end421-_ZN4vllm25paged_attention_v2_kernelI14__hip_bfloat16hLi80ELi16ELi128ELNS_18Fp8KVCacheDataTypeE1ELb0ELi512EEEvPfS3_PT_PKS4_PKT0_SA_ifPKiSC_iPKfiiiSE_SE_iiiii
                                        ; -- End function
	.section	.AMDGPU.csdata,"",@progbits
; Kernel info:
; codeLenInByte = 232
; NumSgprs: 46
; NumVgprs: 184
; ScratchSize: 76
; MemoryBound: 0
; FloatMode: 240
; IeeeMode: 1
; LDSByteSize: 192 bytes/workgroup (compile time only)
; SGPRBlocks: 5
; VGPRBlocks: 22
; NumSGPRsForWavesPerEU: 46
; NumVGPRsForWavesPerEU: 184
; Occupancy: 8
; WaveLimiterHint : 1
; COMPUTE_PGM_RSRC2:SCRATCH_EN: 1
; COMPUTE_PGM_RSRC2:USER_SGPR: 13
; COMPUTE_PGM_RSRC2:TRAP_HANDLER: 0
; COMPUTE_PGM_RSRC2:TGID_X_EN: 1
; COMPUTE_PGM_RSRC2:TGID_Y_EN: 1
; COMPUTE_PGM_RSRC2:TGID_Z_EN: 1
; COMPUTE_PGM_RSRC2:TIDIG_COMP_CNT: 0
	.text
	.p2align	2                               ; -- Begin function _ZN4vllm22paged_attention_kernelI14__hip_bfloat16hLi96ELi16ELi128ELNS_18Fp8KVCacheDataTypeE1ELb0ELi512EEEvPfS3_PT_PKS4_PKT0_SA_ifPKiSC_iPKfiiiSE_SE_iiiii
	.type	_ZN4vllm22paged_attention_kernelI14__hip_bfloat16hLi96ELi16ELi128ELNS_18Fp8KVCacheDataTypeE1ELb0ELi512EEEvPfS3_PT_PKS4_PKT0_SA_ifPKiSC_iPKfiiiSE_SE_iiiii,@function
_ZN4vllm22paged_attention_kernelI14__hip_bfloat16hLi96ELi16ELi128ELNS_18Fp8KVCacheDataTypeE1ELb0ELi512EEEvPfS3_PT_PKS4_PKT0_SA_ifPKiSC_iPKfiiiSE_SE_iiiii: ; @_ZN4vllm22paged_attention_kernelI14__hip_bfloat16hLi96ELi16ELi128ELNS_18Fp8KVCacheDataTypeE1ELb0ELi512EEEvPfS3_PT_PKS4_PKT0_SA_ifPKiSC_iPKfiiiSE_SE_iiiii
; %bb.0:
	s_waitcnt vmcnt(0) expcnt(0) lgkmcnt(0)
	s_clause 0x1f
	scratch_store_b32 off, v40, s32 offset:132
	; meta instruction
	scratch_store_b32 off, v41, s32 offset:128
	; meta instruction
	;; [unrolled: 2-line block ×31, first 2 shown]
	scratch_store_b32 off, v95, s32 offset:8
	s_clause 0x1
	scratch_store_b32 off, v104, s32 offset:4
	; meta instruction
	scratch_store_b32 off, v105, s32
	s_mov_b32 s4, s13
	s_ashr_i32 s5, s13, 31
	s_lshl_b32 s17, s14, 9
	s_lshl_b64 s[0:1], s[4:5], 2
	s_mov_b32 s5, exec_lo
	v_add_co_u32 v16, vcc_lo, v16, s0
	v_add_co_ci_u32_e32 v17, vcc_lo, s1, v17, vcc_lo
	flat_load_b32 v32, v[16:17]
	s_waitcnt vmcnt(0) lgkmcnt(0)
	v_cmpx_lt_i32_e64 s17, v32
	s_cbranch_execz .LBB422_1473
; %bb.1:
	v_sub_nc_u32_e32 v16, 0, v12
	s_clause 0x1
	s_load_b32 s0, s[8:9], 0x10
	s_load_b32 s1, s[8:9], 0x0
	s_mov_b32 s10, s15
	v_mov_b32_e32 v48, 0
	v_max_i32_e32 v16, v12, v16
	s_delay_alu instid0(VALU_DEP_1) | instskip(SKIP_1) | instid1(VALU_DEP_2)
	v_cvt_f32_u32_e32 v17, v16
	v_sub_nc_u32_e32 v28, 0, v16
	v_rcp_iflag_f32_e32 v17, v17
	s_waitcnt lgkmcnt(0)
	s_lshr_b32 s0, s0, 16
	s_delay_alu instid0(SALU_CYCLE_1) | instskip(SKIP_3) | instid1(SALU_CYCLE_1)
	s_cmp_lg_u32 s0, 0
	s_waitcnt_depctr 0xfff
	v_mul_f32_e32 v17, 0x4f7ffffe, v17
	s_cselect_b32 s0, -1, 0
	s_cmp_lg_u32 s0, 0
	s_delay_alu instid0(VALU_DEP_1)
	v_cvt_u32_f32_e32 v17, v17
	s_addc_u32 s16, s1, 0
	s_mov_b32 s1, exec_lo
	s_abs_i32 s0, s16
	v_xor_b32_e32 v12, s16, v12
	v_mul_lo_u32 v28, v28, v17
	s_delay_alu instid0(VALU_DEP_2) | instskip(NEXT) | instid1(VALU_DEP_2)
	v_ashrrev_i32_e32 v12, 31, v12
	v_mul_hi_u32 v28, v17, v28
	s_delay_alu instid0(VALU_DEP_1) | instskip(NEXT) | instid1(VALU_DEP_1)
	v_add_nc_u32_e32 v17, v17, v28
	v_mul_hi_u32 v17, s0, v17
	s_delay_alu instid0(VALU_DEP_1) | instskip(SKIP_1) | instid1(VALU_DEP_2)
	v_mul_lo_u32 v28, v17, v16
	v_add_nc_u32_e32 v29, 1, v17
	v_sub_nc_u32_e32 v28, s0, v28
	s_abs_i32 s0, s12
	s_delay_alu instid0(VALU_DEP_1) | instskip(SKIP_1) | instid1(VALU_DEP_2)
	v_sub_nc_u32_e32 v30, v28, v16
	v_cmp_ge_u32_e32 vcc_lo, v28, v16
	v_dual_cndmask_b32 v17, v17, v29 :: v_dual_cndmask_b32 v28, v28, v30
	s_delay_alu instid0(VALU_DEP_1) | instskip(NEXT) | instid1(VALU_DEP_2)
	v_add_nc_u32_e32 v29, 1, v17
	v_cmp_ge_u32_e32 vcc_lo, v28, v16
	s_delay_alu instid0(VALU_DEP_2) | instskip(NEXT) | instid1(VALU_DEP_1)
	v_cndmask_b32_e32 v16, v17, v29, vcc_lo
	v_xor_b32_e32 v16, v16, v12
	s_delay_alu instid0(VALU_DEP_1) | instskip(NEXT) | instid1(VALU_DEP_1)
	v_sub_nc_u32_e32 v12, v16, v12
	v_sub_nc_u32_e32 v16, 0, v12
	s_delay_alu instid0(VALU_DEP_1) | instskip(NEXT) | instid1(VALU_DEP_1)
	v_max_i32_e32 v28, v12, v16
	v_cvt_f32_u32_e32 v16, v28
	v_sub_nc_u32_e32 v17, 0, v28
	s_delay_alu instid0(VALU_DEP_2) | instskip(SKIP_2) | instid1(VALU_DEP_1)
	v_rcp_iflag_f32_e32 v16, v16
	s_waitcnt_depctr 0xfff
	v_mul_f32_e32 v16, 0x4f7ffffe, v16
	v_cvt_u32_f32_e32 v16, v16
	s_delay_alu instid0(VALU_DEP_1) | instskip(NEXT) | instid1(VALU_DEP_1)
	v_mul_lo_u32 v17, v17, v16
	v_mul_hi_u32 v17, v16, v17
	s_delay_alu instid0(VALU_DEP_1) | instskip(NEXT) | instid1(VALU_DEP_1)
	v_add_nc_u32_e32 v29, v16, v17
	v_mad_u64_u32 v[16:17], null, s0, v29, 0
	v_cmpx_ne_u64_e32 0, v[19:20]
	s_cbranch_execz .LBB422_3
; %bb.2:
	s_ashr_i32 s13, s12, 31
	s_delay_alu instid0(SALU_CYCLE_1) | instskip(NEXT) | instid1(SALU_CYCLE_1)
	s_lshl_b64 s[2:3], s[12:13], 2
	v_add_co_u32 v19, vcc_lo, v19, s2
	v_add_co_ci_u32_e32 v20, vcc_lo, s3, v20, vcc_lo
	flat_load_b32 v48, v[19:20]
.LBB422_3:
	s_or_b32 exec_lo, exec_lo, s1
	v_and_b32_e32 v31, 0x3ff, v31
	v_ashrrev_i32_e32 v16, 31, v12
	s_ashr_i32 s1, s12, 31
	s_mul_i32 s6, s12, 0x60
	s_mov_b32 s2, exec_lo
	v_lshrrev_b32_e32 v30, 1, v31
	v_and_b32_e32 v33, 1, v31
	v_lshlrev_b32_e32 v12, 3, v31
	v_cmpx_gt_u32_e32 24, v31
	s_cbranch_execz .LBB422_5
; %bb.4:
	v_mul_lo_u32 v19, s4, v21
	s_ashr_i32 s7, s6, 31
	s_delay_alu instid0(SALU_CYCLE_1) | instskip(NEXT) | instid1(VALU_DEP_1)
	s_lshl_b64 s[18:19], s[6:7], 1
	v_ashrrev_i32_e32 v20, 31, v19
	s_delay_alu instid0(VALU_DEP_1) | instskip(NEXT) | instid1(VALU_DEP_1)
	v_lshlrev_b64 v[19:20], 1, v[19:20]
	v_add_co_u32 v6, vcc_lo, v6, v19
	s_delay_alu instid0(VALU_DEP_2) | instskip(SKIP_1) | instid1(VALU_DEP_3)
	v_add_co_ci_u32_e32 v7, vcc_lo, v7, v20, vcc_lo
	v_lshlrev_b32_e32 v19, 3, v30
	v_add_co_u32 v6, vcc_lo, v6, s18
	s_delay_alu instid0(VALU_DEP_3) | instskip(NEXT) | instid1(VALU_DEP_3)
	v_add_co_ci_u32_e32 v7, vcc_lo, s19, v7, vcc_lo
	v_mad_u32_u24 v19, 0x60, v33, v19
	s_delay_alu instid0(VALU_DEP_3) | instskip(NEXT) | instid1(VALU_DEP_3)
	v_add_co_u32 v6, vcc_lo, v6, v12
	v_add_co_ci_u32_e32 v7, vcc_lo, 0, v7, vcc_lo
	flat_load_b64 v[6:7], v[6:7]
	s_waitcnt vmcnt(0) lgkmcnt(0)
	ds_store_b64 v19, v[6:7]
.LBB422_5:
	s_or_b32 exec_lo, exec_lo, s2
	v_mul_lo_u32 v6, v17, v28
	v_add_nc_u32_e32 v7, 15, v32
	v_add_nc_u32_e32 v20, 1, v17
	v_lshrrev_b32_e32 v34, 5, v31
	s_lshl_b32 s13, s14, 5
	v_mbcnt_lo_u32_b32 v39, -1, 0
	v_ashrrev_i32_e32 v19, 31, v7
	s_waitcnt vmcnt(0) lgkmcnt(0)
	s_waitcnt_vscnt null, 0x0
	v_sub_nc_u32_e32 v6, s0, v6
	s_add_i32 s0, s13, 32
	s_barrier
	v_lshrrev_b32_e32 v19, 28, v19
	buffer_gl0_inv
	v_sub_nc_u32_e32 v21, v6, v28
	v_cmp_ge_u32_e32 vcc_lo, v6, v28
                                        ; implicit-def: $vgpr49
	v_add_nc_u32_e32 v7, v7, v19
	v_cndmask_b32_e32 v17, v17, v20, vcc_lo
	s_delay_alu instid0(VALU_DEP_4) | instskip(SKIP_1) | instid1(VALU_DEP_4)
	v_cndmask_b32_e32 v19, v6, v21, vcc_lo
	v_xor_b32_e32 v21, s1, v16
	v_ashrrev_i32_e32 v36, 4, v7
	v_mul_lo_u32 v6, s4, v18
	v_add_nc_u32_e32 v20, 1, v17
	v_cmp_ge_u32_e32 vcc_lo, v19, v28
	v_or_b32_e32 v16, s13, v34
	v_min_i32_e32 v35, s0, v36
                                        ; implicit-def: $sgpr1
	s_delay_alu instid0(VALU_DEP_4) | instskip(NEXT) | instid1(VALU_DEP_2)
	v_cndmask_b32_e32 v7, v17, v20, vcc_lo
	v_cmp_ge_i32_e64 s0, v16, v35
	s_delay_alu instid0(VALU_DEP_2) | instskip(SKIP_1) | instid1(VALU_DEP_2)
	v_xor_b32_e32 v17, v7, v21
	v_ashrrev_i32_e32 v7, 31, v6
	v_sub_nc_u32_e32 v17, v17, v21
	s_delay_alu instid0(VALU_DEP_4) | instskip(NEXT) | instid1(SALU_CYCLE_1)
	s_and_saveexec_b32 s2, s0
	s_xor_b32 s2, exec_lo, s2
; %bb.6:
	v_mbcnt_lo_u32_b32 v39, -1, 0
	v_mov_b32_e32 v49, 32
	s_mov_b32 s1, 0xff7fffff
                                        ; implicit-def: $vgpr48
                                        ; implicit-def: $vgpr13
                                        ; implicit-def: $vgpr24
                                        ; implicit-def: $vgpr8
                                        ; implicit-def: $vgpr9
; %bb.7:
	s_or_saveexec_b32 s15, s2
	s_clause 0x1
	s_load_b32 s18, s[8:9], 0x14
	s_load_b32 s7, s[8:9], 0x8
	v_mul_lo_u32 v37, v17, v23
	v_lshlrev_b64 v[6:7], 2, v[6:7]
	v_mov_b32_e32 v145, s1
	v_ashrrev_i32_e32 v17, 31, v16
	s_delay_alu instid0(VALU_DEP_4)
	v_ashrrev_i32_e32 v38, 31, v37
	s_xor_b32 exec_lo, exec_lo, s15
	s_cbranch_execz .LBB422_589
; %bb.8:
	v_mul_u32_u24_e32 v20, 0x60, v33
	v_bfe_u32 v28, v31, 1, 4
	v_add_co_u32 v8, vcc_lo, v8, v37
	v_add_co_ci_u32_e32 v19, vcc_lo, v9, v38, vcc_lo
	ds_load_b128 v[64:67], v20
	ds_load_b128 v[80:83], v20 offset:16
	v_dual_mov_b32 v9, 0 :: v_dual_lshlrev_b32 v18, 4, v28
	ds_load_b128 v[96:99], v20 offset:32
	ds_load_b128 v[112:115], v20 offset:48
	;; [unrolled: 1-line block ×4, first 2 shown]
	v_lshlrev_b64 v[20:21], 2, v[16:17]
	v_add_co_u32 v18, vcc_lo, v8, v18
	v_xor_b32_e32 v8, 1, v39
	v_add_co_ci_u32_e32 v19, vcc_lo, 0, v19, vcc_lo
	v_lshlrev_b32_e32 v29, 4, v34
	s_ashr_i32 s11, s10, 31
	s_delay_alu instid0(VALU_DEP_3)
	v_cmp_gt_i32_e32 vcc_lo, 32, v8
	v_lshlrev_b32_e32 v23, 2, v33
	v_cmp_neq_f32_e64 s1, 0, v48
	s_lshl_b64 s[8:9], s[10:11], 2
	v_dual_mov_b32 v49, 32 :: v_dual_cndmask_b32 v8, v39, v8
	s_waitcnt lgkmcnt(0)
	v_lshlrev_b32_e32 v50, 16, v64
	v_and_b32_e32 v51, 0xffff0000, v64
	v_lshlrev_b32_e32 v52, 16, v65
	v_and_b32_e32 v53, 0xffff0000, v65
	v_dual_mov_b32 v151, v16 :: v_dual_lshlrev_b32 v54, 16, v66
	v_and_b32_e32 v55, 0xffff0000, v66
	v_lshlrev_b32_e32 v64, 16, v67
	v_and_b32_e32 v65, 0xffff0000, v67
	v_lshlrev_b32_e32 v66, 16, v80
	v_and_b32_e32 v67, 0xffff0000, v80
	v_lshlrev_b32_e32 v68, 16, v81
	v_and_b32_e32 v69, 0xffff0000, v81
	v_lshlrev_b32_e32 v70, 16, v82
	v_and_b32_e32 v71, 0xffff0000, v82
	v_lshlrev_b32_e32 v80, 16, v83
	v_and_b32_e32 v81, 0xffff0000, v83
	v_lshlrev_b32_e32 v82, 16, v96
	v_and_b32_e32 v83, 0xffff0000, v96
	v_lshlrev_b32_e32 v84, 16, v97
	v_and_b32_e32 v85, 0xffff0000, v97
	v_lshlrev_b32_e32 v86, 16, v98
	v_and_b32_e32 v87, 0xffff0000, v98
	v_lshlrev_b32_e32 v96, 16, v99
	v_and_b32_e32 v97, 0xffff0000, v99
	v_lshlrev_b32_e32 v98, 16, v112
	v_and_b32_e32 v99, 0xffff0000, v112
	v_lshlrev_b32_e32 v100, 16, v113
	v_and_b32_e32 v101, 0xffff0000, v113
	v_lshlrev_b32_e32 v102, 16, v114
	v_and_b32_e32 v103, 0xffff0000, v114
	v_lshlrev_b32_e32 v112, 16, v115
	v_and_b32_e32 v113, 0xffff0000, v115
	v_lshlrev_b32_e32 v114, 16, v128
	v_and_b32_e32 v115, 0xffff0000, v128
	v_lshlrev_b32_e32 v116, 16, v129
	v_and_b32_e32 v117, 0xffff0000, v129
	v_lshlrev_b32_e32 v118, 16, v130
	v_and_b32_e32 v119, 0xffff0000, v130
	v_lshlrev_b32_e32 v128, 16, v131
	v_and_b32_e32 v129, 0xffff0000, v131
	v_lshlrev_b32_e32 v130, 16, v144
	v_and_b32_e32 v131, 0xffff0000, v144
	v_lshlrev_b32_e32 v134, 16, v146
	v_and_b32_e32 v135, 0xffff0000, v146
	v_lshlrev_b32_e32 v144, 16, v147
	v_and_b32_e32 v146, 0xffff0000, v147
	v_lshlrev_b32_e32 v147, 2, v8
	v_add_co_u32 v8, s2, v6, v20
	v_lshlrev_b32_e32 v132, 16, v145
	v_and_b32_e32 v133, 0xffff0000, v145
	v_add_co_ci_u32_e64 v21, s2, v7, v21, s2
	v_lshlrev_b32_e32 v145, 2, v28
	v_add_co_u32 v20, s2, v14, v8
	v_cmp_eq_u32_e32 vcc_lo, 0, v33
	s_delay_alu instid0(VALU_DEP_4)
	v_add_co_ci_u32_e64 v21, s2, v15, v21, s2
	v_sub_nc_u32_e32 v148, 1, v32
	v_add3_u32 v149, s17, v29, v28
	v_lshl_or_b32 v150, v34, 6, v145
	v_mov_b32_e32 v145, 0xff7fffff
	s_getpc_b64 s[20:21]
	s_add_u32 s20, s20, llvm.amdgcn.dynlds.offset.table@rel32@lo+4
	s_addc_u32 s21, s21, llvm.amdgcn.dynlds.offset.table@rel32@hi+12
	s_add_u32 s8, s8, s20
	s_mov_b32 s11, 0
	s_addc_u32 s9, s9, s21
	s_branch .LBB422_10
.LBB422_9:                              ;   in Loop: Header=BB422_10 Depth=1
	s_or_b32 exec_lo, exec_lo, s3
	v_add_nc_u32_e32 v151, 4, v151
	v_add_co_u32 v20, s3, v20, 16
	s_delay_alu instid0(VALU_DEP_1) | instskip(NEXT) | instid1(VALU_DEP_3)
	v_add_co_ci_u32_e64 v21, s3, 0, v21, s3
	v_cmp_ge_i32_e64 s2, v151, v35
	v_add_nc_u32_e32 v149, 64, v149
	v_add_nc_u32_e32 v150, 0x100, v150
	s_delay_alu instid0(VALU_DEP_3) | instskip(NEXT) | instid1(SALU_CYCLE_1)
	s_or_b32 s11, s2, s11
	s_and_not1_b32 exec_lo, exec_lo, s11
	s_cbranch_execz .LBB422_588
.LBB422_10:                             ; =>This Inner Loop Header: Depth=1
	flat_load_b32 v8, v[20:21]
	s_mov_b32 s3, exec_lo
	s_waitcnt vmcnt(0) lgkmcnt(0)
	v_mad_i64_i32 v[28:29], null, v8, v22, v[18:19]
	v_mov_b32_e32 v8, 0
	s_delay_alu instid0(VALU_DEP_2) | instskip(NEXT) | instid1(VALU_DEP_1)
	v_add_co_u32 v28, s2, v28, v23
	v_add_co_ci_u32_e64 v29, s2, 0, v29, s2
	flat_load_b32 v164, v[28:29]
	flat_load_b32 v160, v[24:25]
	s_waitcnt vmcnt(1) lgkmcnt(1)
	v_and_b32_e32 v161, 0xff, v164
	s_delay_alu instid0(VALU_DEP_1)
	v_cmpx_ne_u16_e64 0, v161
	s_cbranch_execz .LBB422_18
; %bb.11:                               ;   in Loop: Header=BB422_10 Depth=1
	v_bfrev_b32_e32 v8, 1
	s_mov_b32 s19, exec_lo
	v_cmpx_ne_u16_e64 0x80, v161
	s_cbranch_execz .LBB422_17
; %bb.12:                               ;   in Loop: Header=BB422_10 Depth=1
	v_and_b32_e32 v162, 0x7f, v164
	v_mov_b32_e32 v8, 0x7f800001
	s_mov_b32 s20, exec_lo
	s_delay_alu instid0(VALU_DEP_2)
	v_cmpx_ne_u32_e32 0x7f, v162
	s_cbranch_execz .LBB422_16
; %bb.13:                               ;   in Loop: Header=BB422_10 Depth=1
	v_and_b32_e32 v8, 7, v164
	v_lshrrev_b32_e32 v161, 3, v162
	s_mov_b32 s21, exec_lo
	v_cmpx_gt_u32_e32 8, v162
; %bb.14:                               ;   in Loop: Header=BB422_10 Depth=1
	s_delay_alu instid0(VALU_DEP_3) | instskip(NEXT) | instid1(VALU_DEP_1)
	v_clz_i32_u32_e32 v161, v8
	v_min_u32_e32 v161, 32, v161
	s_delay_alu instid0(VALU_DEP_1) | instskip(SKIP_1) | instid1(VALU_DEP_2)
	v_subrev_nc_u32_e32 v162, 28, v161
	v_sub_nc_u32_e32 v161, 29, v161
	v_lshlrev_b64 v[162:163], v162, v[8:9]
	s_delay_alu instid0(VALU_DEP_1)
	v_and_b32_e32 v8, 7, v162
; %bb.15:                               ;   in Loop: Header=BB422_10 Depth=1
	s_or_b32 exec_lo, exec_lo, s21
	v_lshlrev_b32_e32 v162, 24, v164
	s_delay_alu instid0(VALU_DEP_2) | instskip(SKIP_1) | instid1(VALU_DEP_3)
	v_lshlrev_b32_e32 v8, 20, v8
	v_lshl_add_u32 v161, v161, 23, 0x3c000000
	v_and_b32_e32 v162, 0x80000000, v162
	s_delay_alu instid0(VALU_DEP_1)
	v_or3_b32 v8, v8, v162, v161
.LBB422_16:                             ;   in Loop: Header=BB422_10 Depth=1
	s_or_b32 exec_lo, exec_lo, s20
.LBB422_17:                             ;   in Loop: Header=BB422_10 Depth=1
	s_delay_alu instid0(SALU_CYCLE_1)
	s_or_b32 exec_lo, exec_lo, s19
.LBB422_18:                             ;   in Loop: Header=BB422_10 Depth=1
	s_delay_alu instid0(SALU_CYCLE_1) | instskip(SKIP_2) | instid1(VALU_DEP_1)
	s_or_b32 exec_lo, exec_lo, s3
	s_waitcnt vmcnt(0) lgkmcnt(0)
	v_mul_f32_e32 v8, v160, v8
	v_and_b32_e32 v161, 0x7f800000, v8
	s_delay_alu instid0(VALU_DEP_1) | instskip(NEXT) | instid1(VALU_DEP_1)
	v_cmp_ne_u32_e64 s2, 0x7f800000, v161
                                        ; implicit-def: $vgpr161
	s_and_saveexec_b32 s3, s2
	s_delay_alu instid0(SALU_CYCLE_1)
	s_xor_b32 s2, exec_lo, s3
; %bb.19:                               ;   in Loop: Header=BB422_10 Depth=1
	v_bfe_u32 v161, v8, 16, 1
	s_delay_alu instid0(VALU_DEP_1)
	v_add3_u32 v161, v8, v161, 0x7fff
                                        ; implicit-def: $vgpr8
; %bb.20:                               ;   in Loop: Header=BB422_10 Depth=1
	s_and_not1_saveexec_b32 s3, s2
; %bb.21:                               ;   in Loop: Header=BB422_10 Depth=1
	v_and_b32_e32 v161, 0xffff, v8
	v_or_b32_e32 v162, 0x10000, v8
	s_delay_alu instid0(VALU_DEP_2) | instskip(NEXT) | instid1(VALU_DEP_1)
	v_cmp_eq_u32_e64 s2, 0, v161
	v_cndmask_b32_e64 v161, v162, v8, s2
; %bb.22:                               ;   in Loop: Header=BB422_10 Depth=1
	s_or_b32 exec_lo, exec_lo, s3
	v_lshrrev_b16 v162, 8, v164
	v_mov_b32_e32 v8, 0
	s_mov_b32 s3, exec_lo
	s_delay_alu instid0(VALU_DEP_2)
	v_cmpx_ne_u16_e64 0, v162
	s_cbranch_execz .LBB422_30
; %bb.23:                               ;   in Loop: Header=BB422_10 Depth=1
	v_bfrev_b32_e32 v8, 1
	s_mov_b32 s19, exec_lo
	v_cmpx_ne_u16_e64 0x80, v162
	s_cbranch_execz .LBB422_29
; %bb.24:                               ;   in Loop: Header=BB422_10 Depth=1
	v_and_b32_e32 v162, 0xffff, v162
	v_mov_b32_e32 v8, 0x7f800001
	s_mov_b32 s20, exec_lo
	s_delay_alu instid0(VALU_DEP_2) | instskip(NEXT) | instid1(VALU_DEP_1)
	v_and_b32_e32 v163, 0x7f, v162
	v_cmpx_ne_u32_e32 0x7f, v163
	s_cbranch_execz .LBB422_28
; %bb.25:                               ;   in Loop: Header=BB422_10 Depth=1
	v_and_b32_e32 v8, 7, v162
	v_lshrrev_b32_e32 v162, 3, v163
	s_mov_b32 s21, exec_lo
	v_cmpx_gt_u32_e32 8, v163
; %bb.26:                               ;   in Loop: Header=BB422_10 Depth=1
	s_delay_alu instid0(VALU_DEP_3) | instskip(NEXT) | instid1(VALU_DEP_1)
	v_clz_i32_u32_e32 v162, v8
	v_min_u32_e32 v162, 32, v162
	s_delay_alu instid0(VALU_DEP_1) | instskip(SKIP_1) | instid1(VALU_DEP_2)
	v_subrev_nc_u32_e32 v163, 28, v162
	v_sub_nc_u32_e32 v162, 29, v162
	v_lshlrev_b64 v[165:166], v163, v[8:9]
	s_delay_alu instid0(VALU_DEP_1)
	v_and_b32_e32 v8, 7, v165
; %bb.27:                               ;   in Loop: Header=BB422_10 Depth=1
	s_or_b32 exec_lo, exec_lo, s21
	v_lshlrev_b32_e32 v163, 16, v164
	s_delay_alu instid0(VALU_DEP_2) | instskip(SKIP_1) | instid1(VALU_DEP_3)
	v_lshlrev_b32_e32 v8, 20, v8
	v_lshl_add_u32 v162, v162, 23, 0x3c000000
	v_and_b32_e32 v163, 0x80000000, v163
	s_delay_alu instid0(VALU_DEP_1)
	v_or3_b32 v8, v8, v163, v162
.LBB422_28:                             ;   in Loop: Header=BB422_10 Depth=1
	s_or_b32 exec_lo, exec_lo, s20
.LBB422_29:                             ;   in Loop: Header=BB422_10 Depth=1
	s_delay_alu instid0(SALU_CYCLE_1)
	s_or_b32 exec_lo, exec_lo, s19
.LBB422_30:                             ;   in Loop: Header=BB422_10 Depth=1
	s_delay_alu instid0(SALU_CYCLE_1) | instskip(NEXT) | instid1(VALU_DEP_1)
	s_or_b32 exec_lo, exec_lo, s3
	v_mul_f32_e32 v8, v160, v8
	s_delay_alu instid0(VALU_DEP_1) | instskip(NEXT) | instid1(VALU_DEP_1)
	v_and_b32_e32 v162, 0x7f800000, v8
	v_cmp_ne_u32_e64 s2, 0x7f800000, v162
                                        ; implicit-def: $vgpr162
	s_delay_alu instid0(VALU_DEP_1) | instskip(NEXT) | instid1(SALU_CYCLE_1)
	s_and_saveexec_b32 s3, s2
	s_xor_b32 s2, exec_lo, s3
; %bb.31:                               ;   in Loop: Header=BB422_10 Depth=1
	v_bfe_u32 v162, v8, 16, 1
	s_delay_alu instid0(VALU_DEP_1)
	v_add3_u32 v162, v8, v162, 0x7fff
                                        ; implicit-def: $vgpr8
; %bb.32:                               ;   in Loop: Header=BB422_10 Depth=1
	s_and_not1_saveexec_b32 s3, s2
; %bb.33:                               ;   in Loop: Header=BB422_10 Depth=1
	v_and_b32_e32 v162, 0xffff, v8
	v_or_b32_e32 v163, 0x10000, v8
	s_delay_alu instid0(VALU_DEP_2) | instskip(NEXT) | instid1(VALU_DEP_1)
	v_cmp_eq_u32_e64 s2, 0, v162
	v_cndmask_b32_e64 v162, v163, v8, s2
; %bb.34:                               ;   in Loop: Header=BB422_10 Depth=1
	s_or_b32 exec_lo, exec_lo, s3
	v_lshrrev_b32_e32 v163, 16, v164
	s_mov_b32 s3, exec_lo
	s_delay_alu instid0(VALU_DEP_1) | instskip(NEXT) | instid1(VALU_DEP_1)
	v_dual_mov_b32 v8, 0 :: v_dual_and_b32 v165, 0xff, v163
	v_cmpx_ne_u16_e64 0, v165
	s_cbranch_execz .LBB422_42
; %bb.35:                               ;   in Loop: Header=BB422_10 Depth=1
	v_bfrev_b32_e32 v8, 1
	s_mov_b32 s19, exec_lo
	v_cmpx_ne_u16_e64 0x80, v165
	s_cbranch_execz .LBB422_41
; %bb.36:                               ;   in Loop: Header=BB422_10 Depth=1
	v_bfe_u32 v166, v164, 16, 7
	v_mov_b32_e32 v8, 0x7f800001
	s_mov_b32 s20, exec_lo
	s_delay_alu instid0(VALU_DEP_2)
	v_cmpx_ne_u32_e32 0x7f, v166
	s_cbranch_execz .LBB422_40
; %bb.37:                               ;   in Loop: Header=BB422_10 Depth=1
	v_and_b32_e32 v8, 7, v163
	v_lshrrev_b32_e32 v165, 3, v166
	s_mov_b32 s21, exec_lo
	v_cmpx_gt_u32_e32 8, v166
; %bb.38:                               ;   in Loop: Header=BB422_10 Depth=1
	s_delay_alu instid0(VALU_DEP_3) | instskip(NEXT) | instid1(VALU_DEP_1)
	v_clz_i32_u32_e32 v165, v8
	v_min_u32_e32 v165, 32, v165
	s_delay_alu instid0(VALU_DEP_1) | instskip(SKIP_1) | instid1(VALU_DEP_2)
	v_subrev_nc_u32_e32 v166, 28, v165
	v_sub_nc_u32_e32 v165, 29, v165
	v_lshlrev_b64 v[166:167], v166, v[8:9]
	s_delay_alu instid0(VALU_DEP_1)
	v_and_b32_e32 v8, 7, v166
; %bb.39:                               ;   in Loop: Header=BB422_10 Depth=1
	s_or_b32 exec_lo, exec_lo, s21
	v_lshlrev_b32_e32 v163, 24, v163
	s_delay_alu instid0(VALU_DEP_2) | instskip(SKIP_1) | instid1(VALU_DEP_3)
	v_lshlrev_b32_e32 v8, 20, v8
	v_lshl_add_u32 v165, v165, 23, 0x3c000000
	v_and_b32_e32 v163, 0x80000000, v163
	s_delay_alu instid0(VALU_DEP_1)
	v_or3_b32 v8, v8, v163, v165
.LBB422_40:                             ;   in Loop: Header=BB422_10 Depth=1
	s_or_b32 exec_lo, exec_lo, s20
.LBB422_41:                             ;   in Loop: Header=BB422_10 Depth=1
	s_delay_alu instid0(SALU_CYCLE_1)
	s_or_b32 exec_lo, exec_lo, s19
.LBB422_42:                             ;   in Loop: Header=BB422_10 Depth=1
	s_delay_alu instid0(SALU_CYCLE_1) | instskip(NEXT) | instid1(VALU_DEP_1)
	s_or_b32 exec_lo, exec_lo, s3
	v_mul_f32_e32 v8, v160, v8
	s_delay_alu instid0(VALU_DEP_1) | instskip(NEXT) | instid1(VALU_DEP_1)
	v_and_b32_e32 v163, 0x7f800000, v8
	v_cmp_ne_u32_e64 s2, 0x7f800000, v163
                                        ; implicit-def: $vgpr163
	s_delay_alu instid0(VALU_DEP_1) | instskip(NEXT) | instid1(SALU_CYCLE_1)
	s_and_saveexec_b32 s3, s2
	s_xor_b32 s2, exec_lo, s3
; %bb.43:                               ;   in Loop: Header=BB422_10 Depth=1
	v_bfe_u32 v163, v8, 16, 1
	s_delay_alu instid0(VALU_DEP_1)
	v_add3_u32 v163, v8, v163, 0x7fff
                                        ; implicit-def: $vgpr8
; %bb.44:                               ;   in Loop: Header=BB422_10 Depth=1
	s_and_not1_saveexec_b32 s3, s2
; %bb.45:                               ;   in Loop: Header=BB422_10 Depth=1
	v_and_b32_e32 v163, 0xffff, v8
	v_or_b32_e32 v165, 0x10000, v8
	s_delay_alu instid0(VALU_DEP_2) | instskip(NEXT) | instid1(VALU_DEP_1)
	v_cmp_eq_u32_e64 s2, 0, v163
	v_cndmask_b32_e64 v163, v165, v8, s2
; %bb.46:                               ;   in Loop: Header=BB422_10 Depth=1
	s_or_b32 exec_lo, exec_lo, s3
	v_mov_b32_e32 v8, 0
	s_mov_b32 s3, exec_lo
	v_cmpx_lt_u32_e32 0xffffff, v164
	s_cbranch_execz .LBB422_54
; %bb.47:                               ;   in Loop: Header=BB422_10 Depth=1
	v_lshrrev_b32_e32 v165, 24, v164
	v_bfrev_b32_e32 v8, 1
	s_mov_b32 s19, exec_lo
	s_delay_alu instid0(VALU_DEP_2)
	v_cmpx_ne_u32_e32 0x80, v165
	s_cbranch_execz .LBB422_53
; %bb.48:                               ;   in Loop: Header=BB422_10 Depth=1
	v_bfe_u32 v166, v164, 24, 7
	v_mov_b32_e32 v8, 0x7f800001
	s_mov_b32 s20, exec_lo
	s_delay_alu instid0(VALU_DEP_2)
	v_cmpx_ne_u32_e32 0x7f, v166
	s_cbranch_execz .LBB422_52
; %bb.49:                               ;   in Loop: Header=BB422_10 Depth=1
	v_and_b32_e32 v8, 7, v165
	v_lshrrev_b32_e32 v164, 3, v166
	s_mov_b32 s21, exec_lo
	v_cmpx_gt_u32_e32 8, v166
; %bb.50:                               ;   in Loop: Header=BB422_10 Depth=1
	s_delay_alu instid0(VALU_DEP_3) | instskip(NEXT) | instid1(VALU_DEP_1)
	v_clz_i32_u32_e32 v164, v8
	v_min_u32_e32 v164, 32, v164
	s_delay_alu instid0(VALU_DEP_1) | instskip(SKIP_1) | instid1(VALU_DEP_2)
	v_subrev_nc_u32_e32 v166, 28, v164
	v_sub_nc_u32_e32 v164, 29, v164
	v_lshlrev_b64 v[166:167], v166, v[8:9]
	s_delay_alu instid0(VALU_DEP_1)
	v_and_b32_e32 v8, 7, v166
; %bb.51:                               ;   in Loop: Header=BB422_10 Depth=1
	s_or_b32 exec_lo, exec_lo, s21
	v_lshlrev_b32_e32 v165, 24, v165
	s_delay_alu instid0(VALU_DEP_2) | instskip(SKIP_1) | instid1(VALU_DEP_3)
	v_lshlrev_b32_e32 v8, 20, v8
	v_lshl_add_u32 v164, v164, 23, 0x3c000000
	v_and_b32_e32 v165, 0x80000000, v165
	s_delay_alu instid0(VALU_DEP_1)
	v_or3_b32 v8, v8, v165, v164
.LBB422_52:                             ;   in Loop: Header=BB422_10 Depth=1
	s_or_b32 exec_lo, exec_lo, s20
.LBB422_53:                             ;   in Loop: Header=BB422_10 Depth=1
	s_delay_alu instid0(SALU_CYCLE_1)
	s_or_b32 exec_lo, exec_lo, s19
.LBB422_54:                             ;   in Loop: Header=BB422_10 Depth=1
	s_delay_alu instid0(SALU_CYCLE_1) | instskip(NEXT) | instid1(VALU_DEP_1)
	s_or_b32 exec_lo, exec_lo, s3
	v_mul_f32_e32 v8, v160, v8
	s_delay_alu instid0(VALU_DEP_1) | instskip(NEXT) | instid1(VALU_DEP_1)
	v_and_b32_e32 v164, 0x7f800000, v8
	v_cmp_ne_u32_e64 s2, 0x7f800000, v164
                                        ; implicit-def: $vgpr164
	s_delay_alu instid0(VALU_DEP_1) | instskip(NEXT) | instid1(SALU_CYCLE_1)
	s_and_saveexec_b32 s3, s2
	s_xor_b32 s2, exec_lo, s3
; %bb.55:                               ;   in Loop: Header=BB422_10 Depth=1
	v_bfe_u32 v164, v8, 16, 1
	s_delay_alu instid0(VALU_DEP_1)
	v_add3_u32 v164, v8, v164, 0x7fff
                                        ; implicit-def: $vgpr8
; %bb.56:                               ;   in Loop: Header=BB422_10 Depth=1
	s_and_not1_saveexec_b32 s3, s2
; %bb.57:                               ;   in Loop: Header=BB422_10 Depth=1
	v_and_b32_e32 v164, 0xffff, v8
	v_or_b32_e32 v165, 0x10000, v8
	s_delay_alu instid0(VALU_DEP_2) | instskip(NEXT) | instid1(VALU_DEP_1)
	v_cmp_eq_u32_e64 s2, 0, v164
	v_cndmask_b32_e64 v164, v165, v8, s2
; %bb.58:                               ;   in Loop: Header=BB422_10 Depth=1
	s_or_b32 exec_lo, exec_lo, s3
	flat_load_b32 v176, v[28:29] offset:8
	s_mov_b32 s3, exec_lo
	s_waitcnt vmcnt(0) lgkmcnt(0)
	v_dual_mov_b32 v8, 0 :: v_dual_and_b32 v165, 0xff, v176
	s_delay_alu instid0(VALU_DEP_1)
	v_cmpx_ne_u16_e64 0, v165
	s_cbranch_execz .LBB422_66
; %bb.59:                               ;   in Loop: Header=BB422_10 Depth=1
	v_bfrev_b32_e32 v8, 1
	s_mov_b32 s19, exec_lo
	v_cmpx_ne_u16_e64 0x80, v165
	s_cbranch_execz .LBB422_65
; %bb.60:                               ;   in Loop: Header=BB422_10 Depth=1
	v_and_b32_e32 v166, 0x7f, v176
	v_mov_b32_e32 v8, 0x7f800001
	s_mov_b32 s20, exec_lo
	s_delay_alu instid0(VALU_DEP_2)
	v_cmpx_ne_u32_e32 0x7f, v166
	s_cbranch_execz .LBB422_64
; %bb.61:                               ;   in Loop: Header=BB422_10 Depth=1
	v_and_b32_e32 v8, 7, v176
	v_lshrrev_b32_e32 v165, 3, v166
	s_mov_b32 s21, exec_lo
	v_cmpx_gt_u32_e32 8, v166
; %bb.62:                               ;   in Loop: Header=BB422_10 Depth=1
	s_delay_alu instid0(VALU_DEP_3) | instskip(NEXT) | instid1(VALU_DEP_1)
	v_clz_i32_u32_e32 v165, v8
	v_min_u32_e32 v165, 32, v165
	s_delay_alu instid0(VALU_DEP_1) | instskip(SKIP_1) | instid1(VALU_DEP_2)
	v_subrev_nc_u32_e32 v166, 28, v165
	v_sub_nc_u32_e32 v165, 29, v165
	v_lshlrev_b64 v[166:167], v166, v[8:9]
	s_delay_alu instid0(VALU_DEP_1)
	v_and_b32_e32 v8, 7, v166
; %bb.63:                               ;   in Loop: Header=BB422_10 Depth=1
	s_or_b32 exec_lo, exec_lo, s21
	v_lshlrev_b32_e32 v166, 24, v176
	s_delay_alu instid0(VALU_DEP_2) | instskip(SKIP_1) | instid1(VALU_DEP_3)
	v_lshlrev_b32_e32 v8, 20, v8
	v_lshl_add_u32 v165, v165, 23, 0x3c000000
	v_and_b32_e32 v166, 0x80000000, v166
	s_delay_alu instid0(VALU_DEP_1)
	v_or3_b32 v8, v8, v166, v165
.LBB422_64:                             ;   in Loop: Header=BB422_10 Depth=1
	s_or_b32 exec_lo, exec_lo, s20
.LBB422_65:                             ;   in Loop: Header=BB422_10 Depth=1
	s_delay_alu instid0(SALU_CYCLE_1)
	s_or_b32 exec_lo, exec_lo, s19
.LBB422_66:                             ;   in Loop: Header=BB422_10 Depth=1
	s_delay_alu instid0(SALU_CYCLE_1) | instskip(NEXT) | instid1(VALU_DEP_1)
	s_or_b32 exec_lo, exec_lo, s3
	v_mul_f32_e32 v8, v160, v8
	s_delay_alu instid0(VALU_DEP_1) | instskip(NEXT) | instid1(VALU_DEP_1)
	v_and_b32_e32 v165, 0x7f800000, v8
	v_cmp_ne_u32_e64 s2, 0x7f800000, v165
                                        ; implicit-def: $vgpr165
	s_delay_alu instid0(VALU_DEP_1) | instskip(NEXT) | instid1(SALU_CYCLE_1)
	s_and_saveexec_b32 s3, s2
	s_xor_b32 s2, exec_lo, s3
; %bb.67:                               ;   in Loop: Header=BB422_10 Depth=1
	v_bfe_u32 v165, v8, 16, 1
	s_delay_alu instid0(VALU_DEP_1)
	v_add3_u32 v165, v8, v165, 0x7fff
                                        ; implicit-def: $vgpr8
; %bb.68:                               ;   in Loop: Header=BB422_10 Depth=1
	s_and_not1_saveexec_b32 s3, s2
; %bb.69:                               ;   in Loop: Header=BB422_10 Depth=1
	v_and_b32_e32 v165, 0xffff, v8
	v_or_b32_e32 v166, 0x10000, v8
	s_delay_alu instid0(VALU_DEP_2) | instskip(NEXT) | instid1(VALU_DEP_1)
	v_cmp_eq_u32_e64 s2, 0, v165
	v_cndmask_b32_e64 v165, v166, v8, s2
; %bb.70:                               ;   in Loop: Header=BB422_10 Depth=1
	s_or_b32 exec_lo, exec_lo, s3
	v_lshrrev_b16 v166, 8, v176
	v_mov_b32_e32 v8, 0
	s_mov_b32 s3, exec_lo
	s_delay_alu instid0(VALU_DEP_2)
	v_cmpx_ne_u16_e64 0, v166
	s_cbranch_execz .LBB422_78
; %bb.71:                               ;   in Loop: Header=BB422_10 Depth=1
	v_bfrev_b32_e32 v8, 1
	s_mov_b32 s19, exec_lo
	v_cmpx_ne_u16_e64 0x80, v166
	s_cbranch_execz .LBB422_77
; %bb.72:                               ;   in Loop: Header=BB422_10 Depth=1
	v_and_b32_e32 v166, 0xffff, v166
	v_mov_b32_e32 v8, 0x7f800001
	s_mov_b32 s20, exec_lo
	s_delay_alu instid0(VALU_DEP_2) | instskip(NEXT) | instid1(VALU_DEP_1)
	v_and_b32_e32 v167, 0x7f, v166
	v_cmpx_ne_u32_e32 0x7f, v167
	s_cbranch_execz .LBB422_76
; %bb.73:                               ;   in Loop: Header=BB422_10 Depth=1
	v_and_b32_e32 v8, 7, v166
	v_lshrrev_b32_e32 v166, 3, v167
	s_mov_b32 s21, exec_lo
	v_cmpx_gt_u32_e32 8, v167
; %bb.74:                               ;   in Loop: Header=BB422_10 Depth=1
	s_delay_alu instid0(VALU_DEP_3) | instskip(NEXT) | instid1(VALU_DEP_1)
	v_clz_i32_u32_e32 v166, v8
	v_min_u32_e32 v166, 32, v166
	s_delay_alu instid0(VALU_DEP_1) | instskip(SKIP_1) | instid1(VALU_DEP_2)
	v_subrev_nc_u32_e32 v167, 28, v166
	v_sub_nc_u32_e32 v166, 29, v166
	v_lshlrev_b64 v[177:178], v167, v[8:9]
	s_delay_alu instid0(VALU_DEP_1)
	v_and_b32_e32 v8, 7, v177
; %bb.75:                               ;   in Loop: Header=BB422_10 Depth=1
	s_or_b32 exec_lo, exec_lo, s21
	v_lshlrev_b32_e32 v167, 16, v176
	s_delay_alu instid0(VALU_DEP_2) | instskip(SKIP_1) | instid1(VALU_DEP_3)
	v_lshlrev_b32_e32 v8, 20, v8
	v_lshl_add_u32 v166, v166, 23, 0x3c000000
	v_and_b32_e32 v167, 0x80000000, v167
	s_delay_alu instid0(VALU_DEP_1)
	v_or3_b32 v8, v8, v167, v166
.LBB422_76:                             ;   in Loop: Header=BB422_10 Depth=1
	s_or_b32 exec_lo, exec_lo, s20
.LBB422_77:                             ;   in Loop: Header=BB422_10 Depth=1
	s_delay_alu instid0(SALU_CYCLE_1)
	s_or_b32 exec_lo, exec_lo, s19
.LBB422_78:                             ;   in Loop: Header=BB422_10 Depth=1
	s_delay_alu instid0(SALU_CYCLE_1) | instskip(NEXT) | instid1(VALU_DEP_1)
	s_or_b32 exec_lo, exec_lo, s3
	v_mul_f32_e32 v8, v160, v8
	s_delay_alu instid0(VALU_DEP_1) | instskip(NEXT) | instid1(VALU_DEP_1)
	v_and_b32_e32 v166, 0x7f800000, v8
	v_cmp_ne_u32_e64 s2, 0x7f800000, v166
                                        ; implicit-def: $vgpr166
	s_delay_alu instid0(VALU_DEP_1) | instskip(NEXT) | instid1(SALU_CYCLE_1)
	s_and_saveexec_b32 s3, s2
	s_xor_b32 s2, exec_lo, s3
; %bb.79:                               ;   in Loop: Header=BB422_10 Depth=1
	v_bfe_u32 v166, v8, 16, 1
	s_delay_alu instid0(VALU_DEP_1)
	v_add3_u32 v166, v8, v166, 0x7fff
                                        ; implicit-def: $vgpr8
; %bb.80:                               ;   in Loop: Header=BB422_10 Depth=1
	s_and_not1_saveexec_b32 s3, s2
; %bb.81:                               ;   in Loop: Header=BB422_10 Depth=1
	v_and_b32_e32 v166, 0xffff, v8
	v_or_b32_e32 v167, 0x10000, v8
	s_delay_alu instid0(VALU_DEP_2) | instskip(NEXT) | instid1(VALU_DEP_1)
	v_cmp_eq_u32_e64 s2, 0, v166
	v_cndmask_b32_e64 v166, v167, v8, s2
; %bb.82:                               ;   in Loop: Header=BB422_10 Depth=1
	s_or_b32 exec_lo, exec_lo, s3
	v_lshrrev_b32_e32 v167, 16, v176
	s_mov_b32 s3, exec_lo
	s_delay_alu instid0(VALU_DEP_1) | instskip(NEXT) | instid1(VALU_DEP_1)
	v_dual_mov_b32 v8, 0 :: v_dual_and_b32 v177, 0xff, v167
	v_cmpx_ne_u16_e64 0, v177
	s_cbranch_execz .LBB422_90
; %bb.83:                               ;   in Loop: Header=BB422_10 Depth=1
	v_bfrev_b32_e32 v8, 1
	s_mov_b32 s19, exec_lo
	v_cmpx_ne_u16_e64 0x80, v177
	s_cbranch_execz .LBB422_89
; %bb.84:                               ;   in Loop: Header=BB422_10 Depth=1
	v_bfe_u32 v178, v176, 16, 7
	v_mov_b32_e32 v8, 0x7f800001
	s_mov_b32 s20, exec_lo
	s_delay_alu instid0(VALU_DEP_2)
	v_cmpx_ne_u32_e32 0x7f, v178
	s_cbranch_execz .LBB422_88
; %bb.85:                               ;   in Loop: Header=BB422_10 Depth=1
	v_and_b32_e32 v8, 7, v167
	v_lshrrev_b32_e32 v177, 3, v178
	s_mov_b32 s21, exec_lo
	v_cmpx_gt_u32_e32 8, v178
; %bb.86:                               ;   in Loop: Header=BB422_10 Depth=1
	s_delay_alu instid0(VALU_DEP_3) | instskip(NEXT) | instid1(VALU_DEP_1)
	v_clz_i32_u32_e32 v177, v8
	v_min_u32_e32 v177, 32, v177
	s_delay_alu instid0(VALU_DEP_1) | instskip(SKIP_1) | instid1(VALU_DEP_2)
	v_subrev_nc_u32_e32 v178, 28, v177
	v_sub_nc_u32_e32 v177, 29, v177
	v_lshlrev_b64 v[178:179], v178, v[8:9]
	s_delay_alu instid0(VALU_DEP_1)
	v_and_b32_e32 v8, 7, v178
; %bb.87:                               ;   in Loop: Header=BB422_10 Depth=1
	s_or_b32 exec_lo, exec_lo, s21
	v_lshlrev_b32_e32 v167, 24, v167
	s_delay_alu instid0(VALU_DEP_2) | instskip(SKIP_1) | instid1(VALU_DEP_3)
	v_lshlrev_b32_e32 v8, 20, v8
	v_lshl_add_u32 v177, v177, 23, 0x3c000000
	v_and_b32_e32 v167, 0x80000000, v167
	s_delay_alu instid0(VALU_DEP_1)
	v_or3_b32 v8, v8, v167, v177
.LBB422_88:                             ;   in Loop: Header=BB422_10 Depth=1
	s_or_b32 exec_lo, exec_lo, s20
.LBB422_89:                             ;   in Loop: Header=BB422_10 Depth=1
	s_delay_alu instid0(SALU_CYCLE_1)
	s_or_b32 exec_lo, exec_lo, s19
.LBB422_90:                             ;   in Loop: Header=BB422_10 Depth=1
	s_delay_alu instid0(SALU_CYCLE_1) | instskip(NEXT) | instid1(VALU_DEP_1)
	s_or_b32 exec_lo, exec_lo, s3
	v_mul_f32_e32 v8, v160, v8
	s_delay_alu instid0(VALU_DEP_1) | instskip(NEXT) | instid1(VALU_DEP_1)
	v_and_b32_e32 v167, 0x7f800000, v8
	v_cmp_ne_u32_e64 s2, 0x7f800000, v167
                                        ; implicit-def: $vgpr167
	s_delay_alu instid0(VALU_DEP_1) | instskip(NEXT) | instid1(SALU_CYCLE_1)
	s_and_saveexec_b32 s3, s2
	s_xor_b32 s2, exec_lo, s3
; %bb.91:                               ;   in Loop: Header=BB422_10 Depth=1
	v_bfe_u32 v167, v8, 16, 1
	s_delay_alu instid0(VALU_DEP_1)
	v_add3_u32 v167, v8, v167, 0x7fff
                                        ; implicit-def: $vgpr8
; %bb.92:                               ;   in Loop: Header=BB422_10 Depth=1
	s_and_not1_saveexec_b32 s3, s2
; %bb.93:                               ;   in Loop: Header=BB422_10 Depth=1
	v_and_b32_e32 v167, 0xffff, v8
	v_or_b32_e32 v177, 0x10000, v8
	s_delay_alu instid0(VALU_DEP_2) | instskip(NEXT) | instid1(VALU_DEP_1)
	v_cmp_eq_u32_e64 s2, 0, v167
	v_cndmask_b32_e64 v167, v177, v8, s2
; %bb.94:                               ;   in Loop: Header=BB422_10 Depth=1
	s_or_b32 exec_lo, exec_lo, s3
	v_mov_b32_e32 v8, 0
	s_mov_b32 s3, exec_lo
	v_cmpx_lt_u32_e32 0xffffff, v176
	s_cbranch_execz .LBB422_102
; %bb.95:                               ;   in Loop: Header=BB422_10 Depth=1
	v_lshrrev_b32_e32 v177, 24, v176
	v_bfrev_b32_e32 v8, 1
	s_mov_b32 s19, exec_lo
	s_delay_alu instid0(VALU_DEP_2)
	v_cmpx_ne_u32_e32 0x80, v177
	s_cbranch_execz .LBB422_101
; %bb.96:                               ;   in Loop: Header=BB422_10 Depth=1
	v_bfe_u32 v178, v176, 24, 7
	v_mov_b32_e32 v8, 0x7f800001
	s_mov_b32 s20, exec_lo
	s_delay_alu instid0(VALU_DEP_2)
	v_cmpx_ne_u32_e32 0x7f, v178
	s_cbranch_execz .LBB422_100
; %bb.97:                               ;   in Loop: Header=BB422_10 Depth=1
	v_and_b32_e32 v8, 7, v177
	v_lshrrev_b32_e32 v176, 3, v178
	s_mov_b32 s21, exec_lo
	v_cmpx_gt_u32_e32 8, v178
; %bb.98:                               ;   in Loop: Header=BB422_10 Depth=1
	s_delay_alu instid0(VALU_DEP_3) | instskip(NEXT) | instid1(VALU_DEP_1)
	v_clz_i32_u32_e32 v176, v8
	v_min_u32_e32 v176, 32, v176
	s_delay_alu instid0(VALU_DEP_1) | instskip(SKIP_1) | instid1(VALU_DEP_2)
	v_subrev_nc_u32_e32 v178, 28, v176
	v_sub_nc_u32_e32 v176, 29, v176
	v_lshlrev_b64 v[178:179], v178, v[8:9]
	s_delay_alu instid0(VALU_DEP_1)
	v_and_b32_e32 v8, 7, v178
; %bb.99:                               ;   in Loop: Header=BB422_10 Depth=1
	s_or_b32 exec_lo, exec_lo, s21
	v_lshlrev_b32_e32 v177, 24, v177
	s_delay_alu instid0(VALU_DEP_2) | instskip(SKIP_1) | instid1(VALU_DEP_3)
	v_lshlrev_b32_e32 v8, 20, v8
	v_lshl_add_u32 v176, v176, 23, 0x3c000000
	v_and_b32_e32 v177, 0x80000000, v177
	s_delay_alu instid0(VALU_DEP_1)
	v_or3_b32 v8, v8, v177, v176
.LBB422_100:                            ;   in Loop: Header=BB422_10 Depth=1
	s_or_b32 exec_lo, exec_lo, s20
.LBB422_101:                            ;   in Loop: Header=BB422_10 Depth=1
	s_delay_alu instid0(SALU_CYCLE_1)
	s_or_b32 exec_lo, exec_lo, s19
.LBB422_102:                            ;   in Loop: Header=BB422_10 Depth=1
	s_delay_alu instid0(SALU_CYCLE_1) | instskip(NEXT) | instid1(VALU_DEP_1)
	s_or_b32 exec_lo, exec_lo, s3
	v_mul_f32_e32 v8, v160, v8
	s_delay_alu instid0(VALU_DEP_1) | instskip(NEXT) | instid1(VALU_DEP_1)
	v_and_b32_e32 v176, 0x7f800000, v8
	v_cmp_ne_u32_e64 s2, 0x7f800000, v176
                                        ; implicit-def: $vgpr176
	s_delay_alu instid0(VALU_DEP_1) | instskip(NEXT) | instid1(SALU_CYCLE_1)
	s_and_saveexec_b32 s3, s2
	s_xor_b32 s2, exec_lo, s3
; %bb.103:                              ;   in Loop: Header=BB422_10 Depth=1
	v_bfe_u32 v176, v8, 16, 1
	s_delay_alu instid0(VALU_DEP_1)
	v_add3_u32 v176, v8, v176, 0x7fff
                                        ; implicit-def: $vgpr8
; %bb.104:                              ;   in Loop: Header=BB422_10 Depth=1
	s_and_not1_saveexec_b32 s3, s2
; %bb.105:                              ;   in Loop: Header=BB422_10 Depth=1
	v_and_b32_e32 v176, 0xffff, v8
	v_or_b32_e32 v177, 0x10000, v8
	s_delay_alu instid0(VALU_DEP_2) | instskip(NEXT) | instid1(VALU_DEP_1)
	v_cmp_eq_u32_e64 s2, 0, v176
	v_cndmask_b32_e64 v176, v177, v8, s2
; %bb.106:                              ;   in Loop: Header=BB422_10 Depth=1
	s_or_b32 exec_lo, exec_lo, s3
	flat_load_b32 v180, v[28:29] offset:256
	s_mov_b32 s3, exec_lo
	s_waitcnt vmcnt(0) lgkmcnt(0)
	v_dual_mov_b32 v8, 0 :: v_dual_and_b32 v177, 0xff, v180
	s_delay_alu instid0(VALU_DEP_1)
	v_cmpx_ne_u16_e64 0, v177
	s_cbranch_execz .LBB422_114
; %bb.107:                              ;   in Loop: Header=BB422_10 Depth=1
	v_bfrev_b32_e32 v8, 1
	s_mov_b32 s19, exec_lo
	v_cmpx_ne_u16_e64 0x80, v177
	s_cbranch_execz .LBB422_113
; %bb.108:                              ;   in Loop: Header=BB422_10 Depth=1
	v_and_b32_e32 v178, 0x7f, v180
	v_mov_b32_e32 v8, 0x7f800001
	s_mov_b32 s20, exec_lo
	s_delay_alu instid0(VALU_DEP_2)
	v_cmpx_ne_u32_e32 0x7f, v178
	s_cbranch_execz .LBB422_112
; %bb.109:                              ;   in Loop: Header=BB422_10 Depth=1
	v_and_b32_e32 v8, 7, v180
	v_lshrrev_b32_e32 v177, 3, v178
	s_mov_b32 s21, exec_lo
	v_cmpx_gt_u32_e32 8, v178
; %bb.110:                              ;   in Loop: Header=BB422_10 Depth=1
	s_delay_alu instid0(VALU_DEP_3) | instskip(NEXT) | instid1(VALU_DEP_1)
	v_clz_i32_u32_e32 v177, v8
	v_min_u32_e32 v177, 32, v177
	s_delay_alu instid0(VALU_DEP_1) | instskip(SKIP_1) | instid1(VALU_DEP_2)
	v_subrev_nc_u32_e32 v178, 28, v177
	v_sub_nc_u32_e32 v177, 29, v177
	v_lshlrev_b64 v[178:179], v178, v[8:9]
	s_delay_alu instid0(VALU_DEP_1)
	v_and_b32_e32 v8, 7, v178
; %bb.111:                              ;   in Loop: Header=BB422_10 Depth=1
	s_or_b32 exec_lo, exec_lo, s21
	v_lshlrev_b32_e32 v178, 24, v180
	s_delay_alu instid0(VALU_DEP_2) | instskip(SKIP_1) | instid1(VALU_DEP_3)
	v_lshlrev_b32_e32 v8, 20, v8
	v_lshl_add_u32 v177, v177, 23, 0x3c000000
	v_and_b32_e32 v178, 0x80000000, v178
	s_delay_alu instid0(VALU_DEP_1)
	v_or3_b32 v8, v8, v178, v177
.LBB422_112:                            ;   in Loop: Header=BB422_10 Depth=1
	s_or_b32 exec_lo, exec_lo, s20
.LBB422_113:                            ;   in Loop: Header=BB422_10 Depth=1
	s_delay_alu instid0(SALU_CYCLE_1)
	s_or_b32 exec_lo, exec_lo, s19
.LBB422_114:                            ;   in Loop: Header=BB422_10 Depth=1
	s_delay_alu instid0(SALU_CYCLE_1) | instskip(NEXT) | instid1(VALU_DEP_1)
	s_or_b32 exec_lo, exec_lo, s3
	v_mul_f32_e32 v8, v160, v8
	s_delay_alu instid0(VALU_DEP_1) | instskip(NEXT) | instid1(VALU_DEP_1)
	v_and_b32_e32 v177, 0x7f800000, v8
	v_cmp_ne_u32_e64 s2, 0x7f800000, v177
                                        ; implicit-def: $vgpr177
	s_delay_alu instid0(VALU_DEP_1) | instskip(NEXT) | instid1(SALU_CYCLE_1)
	s_and_saveexec_b32 s3, s2
	s_xor_b32 s2, exec_lo, s3
; %bb.115:                              ;   in Loop: Header=BB422_10 Depth=1
	v_bfe_u32 v177, v8, 16, 1
	s_delay_alu instid0(VALU_DEP_1)
	v_add3_u32 v177, v8, v177, 0x7fff
                                        ; implicit-def: $vgpr8
; %bb.116:                              ;   in Loop: Header=BB422_10 Depth=1
	s_and_not1_saveexec_b32 s3, s2
; %bb.117:                              ;   in Loop: Header=BB422_10 Depth=1
	v_and_b32_e32 v177, 0xffff, v8
	v_or_b32_e32 v178, 0x10000, v8
	s_delay_alu instid0(VALU_DEP_2) | instskip(NEXT) | instid1(VALU_DEP_1)
	v_cmp_eq_u32_e64 s2, 0, v177
	v_cndmask_b32_e64 v177, v178, v8, s2
; %bb.118:                              ;   in Loop: Header=BB422_10 Depth=1
	s_or_b32 exec_lo, exec_lo, s3
	v_lshrrev_b16 v178, 8, v180
	v_mov_b32_e32 v8, 0
	s_mov_b32 s3, exec_lo
	s_delay_alu instid0(VALU_DEP_2)
	v_cmpx_ne_u16_e64 0, v178
	s_cbranch_execz .LBB422_126
; %bb.119:                              ;   in Loop: Header=BB422_10 Depth=1
	v_bfrev_b32_e32 v8, 1
	s_mov_b32 s19, exec_lo
	v_cmpx_ne_u16_e64 0x80, v178
	s_cbranch_execz .LBB422_125
; %bb.120:                              ;   in Loop: Header=BB422_10 Depth=1
	v_and_b32_e32 v178, 0xffff, v178
	v_mov_b32_e32 v8, 0x7f800001
	s_mov_b32 s20, exec_lo
	s_delay_alu instid0(VALU_DEP_2) | instskip(NEXT) | instid1(VALU_DEP_1)
	v_and_b32_e32 v179, 0x7f, v178
	v_cmpx_ne_u32_e32 0x7f, v179
	s_cbranch_execz .LBB422_124
; %bb.121:                              ;   in Loop: Header=BB422_10 Depth=1
	v_and_b32_e32 v8, 7, v178
	v_lshrrev_b32_e32 v178, 3, v179
	s_mov_b32 s21, exec_lo
	v_cmpx_gt_u32_e32 8, v179
; %bb.122:                              ;   in Loop: Header=BB422_10 Depth=1
	s_delay_alu instid0(VALU_DEP_3) | instskip(NEXT) | instid1(VALU_DEP_1)
	v_clz_i32_u32_e32 v178, v8
	v_min_u32_e32 v178, 32, v178
	s_delay_alu instid0(VALU_DEP_1) | instskip(SKIP_1) | instid1(VALU_DEP_2)
	v_subrev_nc_u32_e32 v179, 28, v178
	v_sub_nc_u32_e32 v178, 29, v178
	v_lshlrev_b64 v[181:182], v179, v[8:9]
	s_delay_alu instid0(VALU_DEP_1)
	v_and_b32_e32 v8, 7, v181
; %bb.123:                              ;   in Loop: Header=BB422_10 Depth=1
	s_or_b32 exec_lo, exec_lo, s21
	v_lshlrev_b32_e32 v179, 16, v180
	s_delay_alu instid0(VALU_DEP_2) | instskip(SKIP_1) | instid1(VALU_DEP_3)
	v_lshlrev_b32_e32 v8, 20, v8
	v_lshl_add_u32 v178, v178, 23, 0x3c000000
	v_and_b32_e32 v179, 0x80000000, v179
	s_delay_alu instid0(VALU_DEP_1)
	v_or3_b32 v8, v8, v179, v178
.LBB422_124:                            ;   in Loop: Header=BB422_10 Depth=1
	s_or_b32 exec_lo, exec_lo, s20
.LBB422_125:                            ;   in Loop: Header=BB422_10 Depth=1
	s_delay_alu instid0(SALU_CYCLE_1)
	s_or_b32 exec_lo, exec_lo, s19
.LBB422_126:                            ;   in Loop: Header=BB422_10 Depth=1
	s_delay_alu instid0(SALU_CYCLE_1) | instskip(NEXT) | instid1(VALU_DEP_1)
	s_or_b32 exec_lo, exec_lo, s3
	v_mul_f32_e32 v8, v160, v8
	s_delay_alu instid0(VALU_DEP_1) | instskip(NEXT) | instid1(VALU_DEP_1)
	v_and_b32_e32 v178, 0x7f800000, v8
	v_cmp_ne_u32_e64 s2, 0x7f800000, v178
                                        ; implicit-def: $vgpr178
	s_delay_alu instid0(VALU_DEP_1) | instskip(NEXT) | instid1(SALU_CYCLE_1)
	s_and_saveexec_b32 s3, s2
	s_xor_b32 s2, exec_lo, s3
; %bb.127:                              ;   in Loop: Header=BB422_10 Depth=1
	v_bfe_u32 v178, v8, 16, 1
	s_delay_alu instid0(VALU_DEP_1)
	v_add3_u32 v178, v8, v178, 0x7fff
                                        ; implicit-def: $vgpr8
; %bb.128:                              ;   in Loop: Header=BB422_10 Depth=1
	s_and_not1_saveexec_b32 s3, s2
; %bb.129:                              ;   in Loop: Header=BB422_10 Depth=1
	v_and_b32_e32 v178, 0xffff, v8
	v_or_b32_e32 v179, 0x10000, v8
	s_delay_alu instid0(VALU_DEP_2) | instskip(NEXT) | instid1(VALU_DEP_1)
	v_cmp_eq_u32_e64 s2, 0, v178
	v_cndmask_b32_e64 v178, v179, v8, s2
; %bb.130:                              ;   in Loop: Header=BB422_10 Depth=1
	s_or_b32 exec_lo, exec_lo, s3
	v_lshrrev_b32_e32 v179, 16, v180
	s_mov_b32 s3, exec_lo
	s_delay_alu instid0(VALU_DEP_1) | instskip(NEXT) | instid1(VALU_DEP_1)
	v_dual_mov_b32 v8, 0 :: v_dual_and_b32 v181, 0xff, v179
	v_cmpx_ne_u16_e64 0, v181
	s_cbranch_execz .LBB422_138
; %bb.131:                              ;   in Loop: Header=BB422_10 Depth=1
	v_bfrev_b32_e32 v8, 1
	s_mov_b32 s19, exec_lo
	v_cmpx_ne_u16_e64 0x80, v181
	s_cbranch_execz .LBB422_137
; %bb.132:                              ;   in Loop: Header=BB422_10 Depth=1
	v_bfe_u32 v182, v180, 16, 7
	v_mov_b32_e32 v8, 0x7f800001
	s_mov_b32 s20, exec_lo
	s_delay_alu instid0(VALU_DEP_2)
	v_cmpx_ne_u32_e32 0x7f, v182
	s_cbranch_execz .LBB422_136
; %bb.133:                              ;   in Loop: Header=BB422_10 Depth=1
	v_and_b32_e32 v8, 7, v179
	v_lshrrev_b32_e32 v181, 3, v182
	s_mov_b32 s21, exec_lo
	v_cmpx_gt_u32_e32 8, v182
; %bb.134:                              ;   in Loop: Header=BB422_10 Depth=1
	s_delay_alu instid0(VALU_DEP_3) | instskip(NEXT) | instid1(VALU_DEP_1)
	v_clz_i32_u32_e32 v181, v8
	v_min_u32_e32 v181, 32, v181
	s_delay_alu instid0(VALU_DEP_1) | instskip(SKIP_1) | instid1(VALU_DEP_2)
	v_subrev_nc_u32_e32 v182, 28, v181
	v_sub_nc_u32_e32 v181, 29, v181
	v_lshlrev_b64 v[182:183], v182, v[8:9]
	s_delay_alu instid0(VALU_DEP_1)
	v_and_b32_e32 v8, 7, v182
; %bb.135:                              ;   in Loop: Header=BB422_10 Depth=1
	s_or_b32 exec_lo, exec_lo, s21
	v_lshlrev_b32_e32 v179, 24, v179
	s_delay_alu instid0(VALU_DEP_2) | instskip(SKIP_1) | instid1(VALU_DEP_3)
	v_lshlrev_b32_e32 v8, 20, v8
	v_lshl_add_u32 v181, v181, 23, 0x3c000000
	v_and_b32_e32 v179, 0x80000000, v179
	s_delay_alu instid0(VALU_DEP_1)
	v_or3_b32 v8, v8, v179, v181
.LBB422_136:                            ;   in Loop: Header=BB422_10 Depth=1
	s_or_b32 exec_lo, exec_lo, s20
.LBB422_137:                            ;   in Loop: Header=BB422_10 Depth=1
	s_delay_alu instid0(SALU_CYCLE_1)
	s_or_b32 exec_lo, exec_lo, s19
.LBB422_138:                            ;   in Loop: Header=BB422_10 Depth=1
	s_delay_alu instid0(SALU_CYCLE_1) | instskip(NEXT) | instid1(VALU_DEP_1)
	s_or_b32 exec_lo, exec_lo, s3
	v_mul_f32_e32 v8, v160, v8
	s_delay_alu instid0(VALU_DEP_1) | instskip(NEXT) | instid1(VALU_DEP_1)
	v_and_b32_e32 v179, 0x7f800000, v8
	v_cmp_ne_u32_e64 s2, 0x7f800000, v179
                                        ; implicit-def: $vgpr179
	s_delay_alu instid0(VALU_DEP_1) | instskip(NEXT) | instid1(SALU_CYCLE_1)
	s_and_saveexec_b32 s3, s2
	s_xor_b32 s2, exec_lo, s3
; %bb.139:                              ;   in Loop: Header=BB422_10 Depth=1
	v_bfe_u32 v179, v8, 16, 1
	s_delay_alu instid0(VALU_DEP_1)
	v_add3_u32 v179, v8, v179, 0x7fff
                                        ; implicit-def: $vgpr8
; %bb.140:                              ;   in Loop: Header=BB422_10 Depth=1
	s_and_not1_saveexec_b32 s3, s2
; %bb.141:                              ;   in Loop: Header=BB422_10 Depth=1
	v_and_b32_e32 v179, 0xffff, v8
	v_or_b32_e32 v181, 0x10000, v8
	s_delay_alu instid0(VALU_DEP_2) | instskip(NEXT) | instid1(VALU_DEP_1)
	v_cmp_eq_u32_e64 s2, 0, v179
	v_cndmask_b32_e64 v179, v181, v8, s2
; %bb.142:                              ;   in Loop: Header=BB422_10 Depth=1
	s_or_b32 exec_lo, exec_lo, s3
	v_mov_b32_e32 v8, 0
	s_mov_b32 s3, exec_lo
	v_cmpx_lt_u32_e32 0xffffff, v180
	s_cbranch_execz .LBB422_150
; %bb.143:                              ;   in Loop: Header=BB422_10 Depth=1
	v_lshrrev_b32_e32 v181, 24, v180
	v_bfrev_b32_e32 v8, 1
	s_mov_b32 s19, exec_lo
	s_delay_alu instid0(VALU_DEP_2)
	v_cmpx_ne_u32_e32 0x80, v181
	s_cbranch_execz .LBB422_149
; %bb.144:                              ;   in Loop: Header=BB422_10 Depth=1
	v_bfe_u32 v182, v180, 24, 7
	v_mov_b32_e32 v8, 0x7f800001
	s_mov_b32 s20, exec_lo
	s_delay_alu instid0(VALU_DEP_2)
	v_cmpx_ne_u32_e32 0x7f, v182
	s_cbranch_execz .LBB422_148
; %bb.145:                              ;   in Loop: Header=BB422_10 Depth=1
	v_and_b32_e32 v8, 7, v181
	v_lshrrev_b32_e32 v180, 3, v182
	s_mov_b32 s21, exec_lo
	v_cmpx_gt_u32_e32 8, v182
; %bb.146:                              ;   in Loop: Header=BB422_10 Depth=1
	s_delay_alu instid0(VALU_DEP_3) | instskip(NEXT) | instid1(VALU_DEP_1)
	v_clz_i32_u32_e32 v180, v8
	v_min_u32_e32 v180, 32, v180
	s_delay_alu instid0(VALU_DEP_1) | instskip(SKIP_1) | instid1(VALU_DEP_2)
	v_subrev_nc_u32_e32 v182, 28, v180
	v_sub_nc_u32_e32 v180, 29, v180
	v_lshlrev_b64 v[182:183], v182, v[8:9]
	s_delay_alu instid0(VALU_DEP_1)
	v_and_b32_e32 v8, 7, v182
; %bb.147:                              ;   in Loop: Header=BB422_10 Depth=1
	s_or_b32 exec_lo, exec_lo, s21
	v_lshlrev_b32_e32 v181, 24, v181
	s_delay_alu instid0(VALU_DEP_2) | instskip(SKIP_1) | instid1(VALU_DEP_3)
	v_lshlrev_b32_e32 v8, 20, v8
	v_lshl_add_u32 v180, v180, 23, 0x3c000000
	v_and_b32_e32 v181, 0x80000000, v181
	s_delay_alu instid0(VALU_DEP_1)
	v_or3_b32 v8, v8, v181, v180
.LBB422_148:                            ;   in Loop: Header=BB422_10 Depth=1
	s_or_b32 exec_lo, exec_lo, s20
.LBB422_149:                            ;   in Loop: Header=BB422_10 Depth=1
	s_delay_alu instid0(SALU_CYCLE_1)
	s_or_b32 exec_lo, exec_lo, s19
.LBB422_150:                            ;   in Loop: Header=BB422_10 Depth=1
	s_delay_alu instid0(SALU_CYCLE_1) | instskip(NEXT) | instid1(VALU_DEP_1)
	s_or_b32 exec_lo, exec_lo, s3
	v_mul_f32_e32 v8, v160, v8
	s_delay_alu instid0(VALU_DEP_1) | instskip(NEXT) | instid1(VALU_DEP_1)
	v_and_b32_e32 v180, 0x7f800000, v8
	v_cmp_ne_u32_e64 s2, 0x7f800000, v180
                                        ; implicit-def: $vgpr180
	s_delay_alu instid0(VALU_DEP_1) | instskip(NEXT) | instid1(SALU_CYCLE_1)
	s_and_saveexec_b32 s3, s2
	s_xor_b32 s2, exec_lo, s3
; %bb.151:                              ;   in Loop: Header=BB422_10 Depth=1
	v_bfe_u32 v180, v8, 16, 1
	s_delay_alu instid0(VALU_DEP_1)
	v_add3_u32 v180, v8, v180, 0x7fff
                                        ; implicit-def: $vgpr8
; %bb.152:                              ;   in Loop: Header=BB422_10 Depth=1
	s_and_not1_saveexec_b32 s3, s2
; %bb.153:                              ;   in Loop: Header=BB422_10 Depth=1
	v_and_b32_e32 v180, 0xffff, v8
	v_or_b32_e32 v181, 0x10000, v8
	s_delay_alu instid0(VALU_DEP_2) | instskip(NEXT) | instid1(VALU_DEP_1)
	v_cmp_eq_u32_e64 s2, 0, v180
	v_cndmask_b32_e64 v180, v181, v8, s2
; %bb.154:                              ;   in Loop: Header=BB422_10 Depth=1
	s_or_b32 exec_lo, exec_lo, s3
	flat_load_b32 v40, v[28:29] offset:264
	s_mov_b32 s3, exec_lo
	s_waitcnt vmcnt(0) lgkmcnt(0)
	v_dual_mov_b32 v8, 0 :: v_dual_and_b32 v181, 0xff, v40
	s_delay_alu instid0(VALU_DEP_1)
	v_cmpx_ne_u16_e64 0, v181
	s_cbranch_execz .LBB422_162
; %bb.155:                              ;   in Loop: Header=BB422_10 Depth=1
	v_bfrev_b32_e32 v8, 1
	s_mov_b32 s19, exec_lo
	v_cmpx_ne_u16_e64 0x80, v181
	s_cbranch_execz .LBB422_161
; %bb.156:                              ;   in Loop: Header=BB422_10 Depth=1
	v_and_b32_e32 v182, 0x7f, v40
	v_mov_b32_e32 v8, 0x7f800001
	s_mov_b32 s20, exec_lo
	s_delay_alu instid0(VALU_DEP_2)
	v_cmpx_ne_u32_e32 0x7f, v182
	s_cbranch_execz .LBB422_160
; %bb.157:                              ;   in Loop: Header=BB422_10 Depth=1
	v_and_b32_e32 v8, 7, v40
	v_lshrrev_b32_e32 v181, 3, v182
	s_mov_b32 s21, exec_lo
	v_cmpx_gt_u32_e32 8, v182
; %bb.158:                              ;   in Loop: Header=BB422_10 Depth=1
	s_delay_alu instid0(VALU_DEP_3) | instskip(NEXT) | instid1(VALU_DEP_1)
	v_clz_i32_u32_e32 v181, v8
	v_min_u32_e32 v181, 32, v181
	s_delay_alu instid0(VALU_DEP_1) | instskip(SKIP_1) | instid1(VALU_DEP_2)
	v_subrev_nc_u32_e32 v182, 28, v181
	v_sub_nc_u32_e32 v181, 29, v181
	v_lshlrev_b64 v[182:183], v182, v[8:9]
	s_delay_alu instid0(VALU_DEP_1)
	v_and_b32_e32 v8, 7, v182
; %bb.159:                              ;   in Loop: Header=BB422_10 Depth=1
	s_or_b32 exec_lo, exec_lo, s21
	v_lshlrev_b32_e32 v182, 24, v40
	s_delay_alu instid0(VALU_DEP_2) | instskip(SKIP_1) | instid1(VALU_DEP_3)
	v_lshlrev_b32_e32 v8, 20, v8
	v_lshl_add_u32 v181, v181, 23, 0x3c000000
	v_and_b32_e32 v182, 0x80000000, v182
	s_delay_alu instid0(VALU_DEP_1)
	v_or3_b32 v8, v8, v182, v181
.LBB422_160:                            ;   in Loop: Header=BB422_10 Depth=1
	s_or_b32 exec_lo, exec_lo, s20
.LBB422_161:                            ;   in Loop: Header=BB422_10 Depth=1
	s_delay_alu instid0(SALU_CYCLE_1)
	s_or_b32 exec_lo, exec_lo, s19
.LBB422_162:                            ;   in Loop: Header=BB422_10 Depth=1
	s_delay_alu instid0(SALU_CYCLE_1) | instskip(NEXT) | instid1(VALU_DEP_1)
	s_or_b32 exec_lo, exec_lo, s3
	v_mul_f32_e32 v8, v160, v8
	s_delay_alu instid0(VALU_DEP_1) | instskip(NEXT) | instid1(VALU_DEP_1)
	v_and_b32_e32 v181, 0x7f800000, v8
	v_cmp_ne_u32_e64 s2, 0x7f800000, v181
                                        ; implicit-def: $vgpr181
	s_delay_alu instid0(VALU_DEP_1) | instskip(NEXT) | instid1(SALU_CYCLE_1)
	s_and_saveexec_b32 s3, s2
	s_xor_b32 s2, exec_lo, s3
; %bb.163:                              ;   in Loop: Header=BB422_10 Depth=1
	v_bfe_u32 v181, v8, 16, 1
	s_delay_alu instid0(VALU_DEP_1)
	v_add3_u32 v181, v8, v181, 0x7fff
                                        ; implicit-def: $vgpr8
; %bb.164:                              ;   in Loop: Header=BB422_10 Depth=1
	s_and_not1_saveexec_b32 s3, s2
; %bb.165:                              ;   in Loop: Header=BB422_10 Depth=1
	v_and_b32_e32 v181, 0xffff, v8
	v_or_b32_e32 v182, 0x10000, v8
	s_delay_alu instid0(VALU_DEP_2) | instskip(NEXT) | instid1(VALU_DEP_1)
	v_cmp_eq_u32_e64 s2, 0, v181
	v_cndmask_b32_e64 v181, v182, v8, s2
; %bb.166:                              ;   in Loop: Header=BB422_10 Depth=1
	s_or_b32 exec_lo, exec_lo, s3
	v_lshrrev_b16 v182, 8, v40
	v_mov_b32_e32 v8, 0
	s_mov_b32 s3, exec_lo
	s_delay_alu instid0(VALU_DEP_2)
	v_cmpx_ne_u16_e64 0, v182
	s_cbranch_execz .LBB422_174
; %bb.167:                              ;   in Loop: Header=BB422_10 Depth=1
	v_bfrev_b32_e32 v8, 1
	s_mov_b32 s19, exec_lo
	v_cmpx_ne_u16_e64 0x80, v182
	s_cbranch_execz .LBB422_173
; %bb.168:                              ;   in Loop: Header=BB422_10 Depth=1
	v_and_b32_e32 v182, 0xffff, v182
	v_mov_b32_e32 v8, 0x7f800001
	s_mov_b32 s20, exec_lo
	s_delay_alu instid0(VALU_DEP_2) | instskip(NEXT) | instid1(VALU_DEP_1)
	v_and_b32_e32 v183, 0x7f, v182
	v_cmpx_ne_u32_e32 0x7f, v183
	s_cbranch_execz .LBB422_172
; %bb.169:                              ;   in Loop: Header=BB422_10 Depth=1
	v_and_b32_e32 v8, 7, v182
	v_lshrrev_b32_e32 v182, 3, v183
	s_mov_b32 s21, exec_lo
	v_cmpx_gt_u32_e32 8, v183
; %bb.170:                              ;   in Loop: Header=BB422_10 Depth=1
	s_delay_alu instid0(VALU_DEP_3) | instskip(NEXT) | instid1(VALU_DEP_1)
	v_clz_i32_u32_e32 v182, v8
	v_min_u32_e32 v182, 32, v182
	s_delay_alu instid0(VALU_DEP_1) | instskip(SKIP_1) | instid1(VALU_DEP_2)
	v_subrev_nc_u32_e32 v183, 28, v182
	v_sub_nc_u32_e32 v182, 29, v182
	v_lshlrev_b64 v[41:42], v183, v[8:9]
	s_delay_alu instid0(VALU_DEP_1)
	v_and_b32_e32 v8, 7, v41
; %bb.171:                              ;   in Loop: Header=BB422_10 Depth=1
	s_or_b32 exec_lo, exec_lo, s21
	v_lshlrev_b32_e32 v183, 16, v40
	s_delay_alu instid0(VALU_DEP_2) | instskip(SKIP_1) | instid1(VALU_DEP_3)
	v_lshlrev_b32_e32 v8, 20, v8
	v_lshl_add_u32 v182, v182, 23, 0x3c000000
	v_and_b32_e32 v183, 0x80000000, v183
	s_delay_alu instid0(VALU_DEP_1)
	v_or3_b32 v8, v8, v183, v182
.LBB422_172:                            ;   in Loop: Header=BB422_10 Depth=1
	s_or_b32 exec_lo, exec_lo, s20
.LBB422_173:                            ;   in Loop: Header=BB422_10 Depth=1
	s_delay_alu instid0(SALU_CYCLE_1)
	s_or_b32 exec_lo, exec_lo, s19
.LBB422_174:                            ;   in Loop: Header=BB422_10 Depth=1
	s_delay_alu instid0(SALU_CYCLE_1) | instskip(NEXT) | instid1(VALU_DEP_1)
	s_or_b32 exec_lo, exec_lo, s3
	v_mul_f32_e32 v8, v160, v8
	s_delay_alu instid0(VALU_DEP_1) | instskip(NEXT) | instid1(VALU_DEP_1)
	v_and_b32_e32 v182, 0x7f800000, v8
	v_cmp_ne_u32_e64 s2, 0x7f800000, v182
                                        ; implicit-def: $vgpr182
	s_delay_alu instid0(VALU_DEP_1) | instskip(NEXT) | instid1(SALU_CYCLE_1)
	s_and_saveexec_b32 s3, s2
	s_xor_b32 s2, exec_lo, s3
; %bb.175:                              ;   in Loop: Header=BB422_10 Depth=1
	v_bfe_u32 v182, v8, 16, 1
	s_delay_alu instid0(VALU_DEP_1)
	v_add3_u32 v182, v8, v182, 0x7fff
                                        ; implicit-def: $vgpr8
; %bb.176:                              ;   in Loop: Header=BB422_10 Depth=1
	s_and_not1_saveexec_b32 s3, s2
; %bb.177:                              ;   in Loop: Header=BB422_10 Depth=1
	v_and_b32_e32 v182, 0xffff, v8
	v_or_b32_e32 v183, 0x10000, v8
	s_delay_alu instid0(VALU_DEP_2) | instskip(NEXT) | instid1(VALU_DEP_1)
	v_cmp_eq_u32_e64 s2, 0, v182
	v_cndmask_b32_e64 v182, v183, v8, s2
; %bb.178:                              ;   in Loop: Header=BB422_10 Depth=1
	s_or_b32 exec_lo, exec_lo, s3
	v_lshrrev_b32_e32 v183, 16, v40
	s_mov_b32 s3, exec_lo
	s_delay_alu instid0(VALU_DEP_1) | instskip(NEXT) | instid1(VALU_DEP_1)
	v_dual_mov_b32 v8, 0 :: v_dual_and_b32 v41, 0xff, v183
	v_cmpx_ne_u16_e32 0, v41
	s_cbranch_execz .LBB422_186
; %bb.179:                              ;   in Loop: Header=BB422_10 Depth=1
	v_bfrev_b32_e32 v8, 1
	s_mov_b32 s19, exec_lo
	v_cmpx_ne_u16_e32 0x80, v41
	s_cbranch_execz .LBB422_185
; %bb.180:                              ;   in Loop: Header=BB422_10 Depth=1
	v_bfe_u32 v42, v40, 16, 7
	v_mov_b32_e32 v8, 0x7f800001
	s_mov_b32 s20, exec_lo
	s_delay_alu instid0(VALU_DEP_2)
	v_cmpx_ne_u32_e32 0x7f, v42
	s_cbranch_execz .LBB422_184
; %bb.181:                              ;   in Loop: Header=BB422_10 Depth=1
	v_and_b32_e32 v8, 7, v183
	v_lshrrev_b32_e32 v41, 3, v42
	s_mov_b32 s21, exec_lo
	v_cmpx_gt_u32_e32 8, v42
; %bb.182:                              ;   in Loop: Header=BB422_10 Depth=1
	s_delay_alu instid0(VALU_DEP_3) | instskip(NEXT) | instid1(VALU_DEP_1)
	v_clz_i32_u32_e32 v41, v8
	v_min_u32_e32 v41, 32, v41
	s_delay_alu instid0(VALU_DEP_1) | instskip(SKIP_1) | instid1(VALU_DEP_2)
	v_subrev_nc_u32_e32 v42, 28, v41
	v_sub_nc_u32_e32 v41, 29, v41
	v_lshlrev_b64 v[42:43], v42, v[8:9]
	s_delay_alu instid0(VALU_DEP_1)
	v_and_b32_e32 v8, 7, v42
; %bb.183:                              ;   in Loop: Header=BB422_10 Depth=1
	s_or_b32 exec_lo, exec_lo, s21
	v_lshlrev_b32_e32 v183, 24, v183
	s_delay_alu instid0(VALU_DEP_2) | instskip(SKIP_1) | instid1(VALU_DEP_3)
	v_lshlrev_b32_e32 v8, 20, v8
	v_lshl_add_u32 v41, v41, 23, 0x3c000000
	v_and_b32_e32 v183, 0x80000000, v183
	s_delay_alu instid0(VALU_DEP_1)
	v_or3_b32 v8, v8, v183, v41
.LBB422_184:                            ;   in Loop: Header=BB422_10 Depth=1
	s_or_b32 exec_lo, exec_lo, s20
.LBB422_185:                            ;   in Loop: Header=BB422_10 Depth=1
	s_delay_alu instid0(SALU_CYCLE_1)
	s_or_b32 exec_lo, exec_lo, s19
.LBB422_186:                            ;   in Loop: Header=BB422_10 Depth=1
	s_delay_alu instid0(SALU_CYCLE_1) | instskip(NEXT) | instid1(VALU_DEP_1)
	s_or_b32 exec_lo, exec_lo, s3
	v_mul_f32_e32 v8, v160, v8
	s_delay_alu instid0(VALU_DEP_1) | instskip(NEXT) | instid1(VALU_DEP_1)
	v_and_b32_e32 v183, 0x7f800000, v8
	v_cmp_ne_u32_e64 s2, 0x7f800000, v183
                                        ; implicit-def: $vgpr183
	s_delay_alu instid0(VALU_DEP_1) | instskip(NEXT) | instid1(SALU_CYCLE_1)
	s_and_saveexec_b32 s3, s2
	s_xor_b32 s2, exec_lo, s3
; %bb.187:                              ;   in Loop: Header=BB422_10 Depth=1
	v_bfe_u32 v183, v8, 16, 1
	s_delay_alu instid0(VALU_DEP_1)
	v_add3_u32 v183, v8, v183, 0x7fff
                                        ; implicit-def: $vgpr8
; %bb.188:                              ;   in Loop: Header=BB422_10 Depth=1
	s_and_not1_saveexec_b32 s3, s2
; %bb.189:                              ;   in Loop: Header=BB422_10 Depth=1
	v_and_b32_e32 v183, 0xffff, v8
	v_or_b32_e32 v41, 0x10000, v8
	s_delay_alu instid0(VALU_DEP_2) | instskip(NEXT) | instid1(VALU_DEP_1)
	v_cmp_eq_u32_e64 s2, 0, v183
	v_cndmask_b32_e64 v183, v41, v8, s2
; %bb.190:                              ;   in Loop: Header=BB422_10 Depth=1
	s_or_b32 exec_lo, exec_lo, s3
	v_mov_b32_e32 v8, 0
	s_mov_b32 s3, exec_lo
	v_cmpx_lt_u32_e32 0xffffff, v40
	s_cbranch_execz .LBB422_198
; %bb.191:                              ;   in Loop: Header=BB422_10 Depth=1
	v_lshrrev_b32_e32 v41, 24, v40
	v_bfrev_b32_e32 v8, 1
	s_mov_b32 s19, exec_lo
	s_delay_alu instid0(VALU_DEP_2)
	v_cmpx_ne_u32_e32 0x80, v41
	s_cbranch_execz .LBB422_197
; %bb.192:                              ;   in Loop: Header=BB422_10 Depth=1
	v_bfe_u32 v42, v40, 24, 7
	v_mov_b32_e32 v8, 0x7f800001
	s_mov_b32 s20, exec_lo
	s_delay_alu instid0(VALU_DEP_2)
	v_cmpx_ne_u32_e32 0x7f, v42
	s_cbranch_execz .LBB422_196
; %bb.193:                              ;   in Loop: Header=BB422_10 Depth=1
	v_and_b32_e32 v8, 7, v41
	v_lshrrev_b32_e32 v40, 3, v42
	s_mov_b32 s21, exec_lo
	v_cmpx_gt_u32_e32 8, v42
; %bb.194:                              ;   in Loop: Header=BB422_10 Depth=1
	s_delay_alu instid0(VALU_DEP_3) | instskip(NEXT) | instid1(VALU_DEP_1)
	v_clz_i32_u32_e32 v40, v8
	v_min_u32_e32 v40, 32, v40
	s_delay_alu instid0(VALU_DEP_1) | instskip(SKIP_1) | instid1(VALU_DEP_2)
	v_subrev_nc_u32_e32 v42, 28, v40
	v_sub_nc_u32_e32 v40, 29, v40
	v_lshlrev_b64 v[42:43], v42, v[8:9]
	s_delay_alu instid0(VALU_DEP_1)
	v_and_b32_e32 v8, 7, v42
; %bb.195:                              ;   in Loop: Header=BB422_10 Depth=1
	s_or_b32 exec_lo, exec_lo, s21
	v_lshlrev_b32_e32 v41, 24, v41
	s_delay_alu instid0(VALU_DEP_2) | instskip(SKIP_1) | instid1(VALU_DEP_3)
	v_lshlrev_b32_e32 v8, 20, v8
	v_lshl_add_u32 v40, v40, 23, 0x3c000000
	v_and_b32_e32 v41, 0x80000000, v41
	s_delay_alu instid0(VALU_DEP_1)
	v_or3_b32 v8, v8, v41, v40
.LBB422_196:                            ;   in Loop: Header=BB422_10 Depth=1
	s_or_b32 exec_lo, exec_lo, s20
.LBB422_197:                            ;   in Loop: Header=BB422_10 Depth=1
	s_delay_alu instid0(SALU_CYCLE_1)
	s_or_b32 exec_lo, exec_lo, s19
.LBB422_198:                            ;   in Loop: Header=BB422_10 Depth=1
	s_delay_alu instid0(SALU_CYCLE_1) | instskip(NEXT) | instid1(VALU_DEP_1)
	s_or_b32 exec_lo, exec_lo, s3
	v_mul_f32_e32 v8, v160, v8
	s_delay_alu instid0(VALU_DEP_1) | instskip(NEXT) | instid1(VALU_DEP_1)
	v_and_b32_e32 v40, 0x7f800000, v8
	v_cmp_ne_u32_e64 s2, 0x7f800000, v40
                                        ; implicit-def: $vgpr40
	s_delay_alu instid0(VALU_DEP_1) | instskip(NEXT) | instid1(SALU_CYCLE_1)
	s_and_saveexec_b32 s3, s2
	s_xor_b32 s2, exec_lo, s3
; %bb.199:                              ;   in Loop: Header=BB422_10 Depth=1
	v_bfe_u32 v40, v8, 16, 1
	s_delay_alu instid0(VALU_DEP_1)
	v_add3_u32 v40, v8, v40, 0x7fff
                                        ; implicit-def: $vgpr8
; %bb.200:                              ;   in Loop: Header=BB422_10 Depth=1
	s_and_not1_saveexec_b32 s3, s2
; %bb.201:                              ;   in Loop: Header=BB422_10 Depth=1
	v_and_b32_e32 v40, 0xffff, v8
	v_or_b32_e32 v41, 0x10000, v8
	s_delay_alu instid0(VALU_DEP_2) | instskip(NEXT) | instid1(VALU_DEP_1)
	v_cmp_eq_u32_e64 s2, 0, v40
	v_cndmask_b32_e64 v40, v41, v8, s2
; %bb.202:                              ;   in Loop: Header=BB422_10 Depth=1
	s_or_b32 exec_lo, exec_lo, s3
	flat_load_b32 v44, v[28:29] offset:512
	s_mov_b32 s3, exec_lo
	s_waitcnt vmcnt(0) lgkmcnt(0)
	v_dual_mov_b32 v8, 0 :: v_dual_and_b32 v41, 0xff, v44
	s_delay_alu instid0(VALU_DEP_1)
	v_cmpx_ne_u16_e32 0, v41
	s_cbranch_execz .LBB422_210
; %bb.203:                              ;   in Loop: Header=BB422_10 Depth=1
	v_bfrev_b32_e32 v8, 1
	s_mov_b32 s19, exec_lo
	v_cmpx_ne_u16_e32 0x80, v41
	s_cbranch_execz .LBB422_209
; %bb.204:                              ;   in Loop: Header=BB422_10 Depth=1
	v_and_b32_e32 v42, 0x7f, v44
	v_mov_b32_e32 v8, 0x7f800001
	s_mov_b32 s20, exec_lo
	s_delay_alu instid0(VALU_DEP_2)
	v_cmpx_ne_u32_e32 0x7f, v42
	s_cbranch_execz .LBB422_208
; %bb.205:                              ;   in Loop: Header=BB422_10 Depth=1
	v_and_b32_e32 v8, 7, v44
	v_lshrrev_b32_e32 v41, 3, v42
	s_mov_b32 s21, exec_lo
	v_cmpx_gt_u32_e32 8, v42
; %bb.206:                              ;   in Loop: Header=BB422_10 Depth=1
	s_delay_alu instid0(VALU_DEP_3) | instskip(NEXT) | instid1(VALU_DEP_1)
	v_clz_i32_u32_e32 v41, v8
	v_min_u32_e32 v41, 32, v41
	s_delay_alu instid0(VALU_DEP_1) | instskip(SKIP_1) | instid1(VALU_DEP_2)
	v_subrev_nc_u32_e32 v42, 28, v41
	v_sub_nc_u32_e32 v41, 29, v41
	v_lshlrev_b64 v[42:43], v42, v[8:9]
	s_delay_alu instid0(VALU_DEP_1)
	v_and_b32_e32 v8, 7, v42
; %bb.207:                              ;   in Loop: Header=BB422_10 Depth=1
	s_or_b32 exec_lo, exec_lo, s21
	v_lshlrev_b32_e32 v42, 24, v44
	s_delay_alu instid0(VALU_DEP_2) | instskip(SKIP_1) | instid1(VALU_DEP_3)
	v_lshlrev_b32_e32 v8, 20, v8
	v_lshl_add_u32 v41, v41, 23, 0x3c000000
	v_and_b32_e32 v42, 0x80000000, v42
	s_delay_alu instid0(VALU_DEP_1)
	v_or3_b32 v8, v8, v42, v41
.LBB422_208:                            ;   in Loop: Header=BB422_10 Depth=1
	s_or_b32 exec_lo, exec_lo, s20
.LBB422_209:                            ;   in Loop: Header=BB422_10 Depth=1
	s_delay_alu instid0(SALU_CYCLE_1)
	s_or_b32 exec_lo, exec_lo, s19
.LBB422_210:                            ;   in Loop: Header=BB422_10 Depth=1
	s_delay_alu instid0(SALU_CYCLE_1) | instskip(NEXT) | instid1(VALU_DEP_1)
	s_or_b32 exec_lo, exec_lo, s3
	v_mul_f32_e32 v8, v160, v8
	s_delay_alu instid0(VALU_DEP_1) | instskip(NEXT) | instid1(VALU_DEP_1)
	v_and_b32_e32 v41, 0x7f800000, v8
	v_cmp_ne_u32_e64 s2, 0x7f800000, v41
                                        ; implicit-def: $vgpr41
	s_delay_alu instid0(VALU_DEP_1) | instskip(NEXT) | instid1(SALU_CYCLE_1)
	s_and_saveexec_b32 s3, s2
	s_xor_b32 s2, exec_lo, s3
; %bb.211:                              ;   in Loop: Header=BB422_10 Depth=1
	v_bfe_u32 v41, v8, 16, 1
	s_delay_alu instid0(VALU_DEP_1)
	v_add3_u32 v41, v8, v41, 0x7fff
                                        ; implicit-def: $vgpr8
; %bb.212:                              ;   in Loop: Header=BB422_10 Depth=1
	s_and_not1_saveexec_b32 s3, s2
; %bb.213:                              ;   in Loop: Header=BB422_10 Depth=1
	v_and_b32_e32 v41, 0xffff, v8
	v_or_b32_e32 v42, 0x10000, v8
	s_delay_alu instid0(VALU_DEP_2) | instskip(NEXT) | instid1(VALU_DEP_1)
	v_cmp_eq_u32_e64 s2, 0, v41
	v_cndmask_b32_e64 v41, v42, v8, s2
; %bb.214:                              ;   in Loop: Header=BB422_10 Depth=1
	s_or_b32 exec_lo, exec_lo, s3
	v_lshrrev_b16 v42, 8, v44
	v_mov_b32_e32 v8, 0
	s_mov_b32 s3, exec_lo
	s_delay_alu instid0(VALU_DEP_2)
	v_cmpx_ne_u16_e32 0, v42
	s_cbranch_execz .LBB422_222
; %bb.215:                              ;   in Loop: Header=BB422_10 Depth=1
	v_bfrev_b32_e32 v8, 1
	s_mov_b32 s19, exec_lo
	v_cmpx_ne_u16_e32 0x80, v42
	s_cbranch_execz .LBB422_221
; %bb.216:                              ;   in Loop: Header=BB422_10 Depth=1
	v_and_b32_e32 v42, 0xffff, v42
	v_mov_b32_e32 v8, 0x7f800001
	s_mov_b32 s20, exec_lo
	s_delay_alu instid0(VALU_DEP_2) | instskip(NEXT) | instid1(VALU_DEP_1)
	v_and_b32_e32 v43, 0x7f, v42
	v_cmpx_ne_u32_e32 0x7f, v43
	s_cbranch_execz .LBB422_220
; %bb.217:                              ;   in Loop: Header=BB422_10 Depth=1
	v_and_b32_e32 v8, 7, v42
	v_lshrrev_b32_e32 v42, 3, v43
	s_mov_b32 s21, exec_lo
	v_cmpx_gt_u32_e32 8, v43
; %bb.218:                              ;   in Loop: Header=BB422_10 Depth=1
	s_delay_alu instid0(VALU_DEP_3) | instskip(NEXT) | instid1(VALU_DEP_1)
	v_clz_i32_u32_e32 v42, v8
	v_min_u32_e32 v42, 32, v42
	s_delay_alu instid0(VALU_DEP_1) | instskip(SKIP_1) | instid1(VALU_DEP_2)
	v_subrev_nc_u32_e32 v43, 28, v42
	v_sub_nc_u32_e32 v42, 29, v42
	v_lshlrev_b64 v[45:46], v43, v[8:9]
	s_delay_alu instid0(VALU_DEP_1)
	v_and_b32_e32 v8, 7, v45
; %bb.219:                              ;   in Loop: Header=BB422_10 Depth=1
	s_or_b32 exec_lo, exec_lo, s21
	v_lshlrev_b32_e32 v43, 16, v44
	s_delay_alu instid0(VALU_DEP_2) | instskip(SKIP_1) | instid1(VALU_DEP_3)
	v_lshlrev_b32_e32 v8, 20, v8
	v_lshl_add_u32 v42, v42, 23, 0x3c000000
	v_and_b32_e32 v43, 0x80000000, v43
	s_delay_alu instid0(VALU_DEP_1)
	v_or3_b32 v8, v8, v43, v42
.LBB422_220:                            ;   in Loop: Header=BB422_10 Depth=1
	s_or_b32 exec_lo, exec_lo, s20
.LBB422_221:                            ;   in Loop: Header=BB422_10 Depth=1
	s_delay_alu instid0(SALU_CYCLE_1)
	s_or_b32 exec_lo, exec_lo, s19
.LBB422_222:                            ;   in Loop: Header=BB422_10 Depth=1
	s_delay_alu instid0(SALU_CYCLE_1) | instskip(NEXT) | instid1(VALU_DEP_1)
	s_or_b32 exec_lo, exec_lo, s3
	v_mul_f32_e32 v8, v160, v8
	s_delay_alu instid0(VALU_DEP_1) | instskip(NEXT) | instid1(VALU_DEP_1)
	v_and_b32_e32 v42, 0x7f800000, v8
	v_cmp_ne_u32_e64 s2, 0x7f800000, v42
                                        ; implicit-def: $vgpr42
	s_delay_alu instid0(VALU_DEP_1) | instskip(NEXT) | instid1(SALU_CYCLE_1)
	s_and_saveexec_b32 s3, s2
	s_xor_b32 s2, exec_lo, s3
; %bb.223:                              ;   in Loop: Header=BB422_10 Depth=1
	v_bfe_u32 v42, v8, 16, 1
	s_delay_alu instid0(VALU_DEP_1)
	v_add3_u32 v42, v8, v42, 0x7fff
                                        ; implicit-def: $vgpr8
; %bb.224:                              ;   in Loop: Header=BB422_10 Depth=1
	s_and_not1_saveexec_b32 s3, s2
; %bb.225:                              ;   in Loop: Header=BB422_10 Depth=1
	v_and_b32_e32 v42, 0xffff, v8
	v_or_b32_e32 v43, 0x10000, v8
	s_delay_alu instid0(VALU_DEP_2) | instskip(NEXT) | instid1(VALU_DEP_1)
	v_cmp_eq_u32_e64 s2, 0, v42
	v_cndmask_b32_e64 v42, v43, v8, s2
; %bb.226:                              ;   in Loop: Header=BB422_10 Depth=1
	s_or_b32 exec_lo, exec_lo, s3
	v_lshrrev_b32_e32 v43, 16, v44
	s_mov_b32 s3, exec_lo
	s_delay_alu instid0(VALU_DEP_1) | instskip(NEXT) | instid1(VALU_DEP_1)
	v_dual_mov_b32 v8, 0 :: v_dual_and_b32 v45, 0xff, v43
	v_cmpx_ne_u16_e32 0, v45
	s_cbranch_execz .LBB422_234
; %bb.227:                              ;   in Loop: Header=BB422_10 Depth=1
	v_bfrev_b32_e32 v8, 1
	s_mov_b32 s19, exec_lo
	v_cmpx_ne_u16_e32 0x80, v45
	s_cbranch_execz .LBB422_233
; %bb.228:                              ;   in Loop: Header=BB422_10 Depth=1
	v_bfe_u32 v46, v44, 16, 7
	v_mov_b32_e32 v8, 0x7f800001
	s_mov_b32 s20, exec_lo
	s_delay_alu instid0(VALU_DEP_2)
	v_cmpx_ne_u32_e32 0x7f, v46
	s_cbranch_execz .LBB422_232
; %bb.229:                              ;   in Loop: Header=BB422_10 Depth=1
	v_and_b32_e32 v8, 7, v43
	v_lshrrev_b32_e32 v45, 3, v46
	s_mov_b32 s21, exec_lo
	v_cmpx_gt_u32_e32 8, v46
; %bb.230:                              ;   in Loop: Header=BB422_10 Depth=1
	s_delay_alu instid0(VALU_DEP_3) | instskip(NEXT) | instid1(VALU_DEP_1)
	v_clz_i32_u32_e32 v45, v8
	v_min_u32_e32 v45, 32, v45
	s_delay_alu instid0(VALU_DEP_1) | instskip(SKIP_1) | instid1(VALU_DEP_2)
	v_subrev_nc_u32_e32 v46, 28, v45
	v_sub_nc_u32_e32 v45, 29, v45
	v_lshlrev_b64 v[46:47], v46, v[8:9]
	s_delay_alu instid0(VALU_DEP_1)
	v_and_b32_e32 v8, 7, v46
; %bb.231:                              ;   in Loop: Header=BB422_10 Depth=1
	s_or_b32 exec_lo, exec_lo, s21
	v_lshlrev_b32_e32 v43, 24, v43
	s_delay_alu instid0(VALU_DEP_2) | instskip(SKIP_1) | instid1(VALU_DEP_3)
	v_lshlrev_b32_e32 v8, 20, v8
	v_lshl_add_u32 v45, v45, 23, 0x3c000000
	v_and_b32_e32 v43, 0x80000000, v43
	s_delay_alu instid0(VALU_DEP_1)
	v_or3_b32 v8, v8, v43, v45
.LBB422_232:                            ;   in Loop: Header=BB422_10 Depth=1
	s_or_b32 exec_lo, exec_lo, s20
.LBB422_233:                            ;   in Loop: Header=BB422_10 Depth=1
	s_delay_alu instid0(SALU_CYCLE_1)
	s_or_b32 exec_lo, exec_lo, s19
.LBB422_234:                            ;   in Loop: Header=BB422_10 Depth=1
	s_delay_alu instid0(SALU_CYCLE_1) | instskip(NEXT) | instid1(VALU_DEP_1)
	s_or_b32 exec_lo, exec_lo, s3
	v_mul_f32_e32 v8, v160, v8
	s_delay_alu instid0(VALU_DEP_1) | instskip(NEXT) | instid1(VALU_DEP_1)
	v_and_b32_e32 v43, 0x7f800000, v8
	v_cmp_ne_u32_e64 s2, 0x7f800000, v43
                                        ; implicit-def: $vgpr43
	s_delay_alu instid0(VALU_DEP_1) | instskip(NEXT) | instid1(SALU_CYCLE_1)
	s_and_saveexec_b32 s3, s2
	s_xor_b32 s2, exec_lo, s3
; %bb.235:                              ;   in Loop: Header=BB422_10 Depth=1
	v_bfe_u32 v43, v8, 16, 1
	s_delay_alu instid0(VALU_DEP_1)
	v_add3_u32 v43, v8, v43, 0x7fff
                                        ; implicit-def: $vgpr8
; %bb.236:                              ;   in Loop: Header=BB422_10 Depth=1
	s_and_not1_saveexec_b32 s3, s2
; %bb.237:                              ;   in Loop: Header=BB422_10 Depth=1
	v_and_b32_e32 v43, 0xffff, v8
	v_or_b32_e32 v45, 0x10000, v8
	s_delay_alu instid0(VALU_DEP_2) | instskip(NEXT) | instid1(VALU_DEP_1)
	v_cmp_eq_u32_e64 s2, 0, v43
	v_cndmask_b32_e64 v43, v45, v8, s2
; %bb.238:                              ;   in Loop: Header=BB422_10 Depth=1
	s_or_b32 exec_lo, exec_lo, s3
	v_mov_b32_e32 v8, 0
	s_mov_b32 s3, exec_lo
	v_cmpx_lt_u32_e32 0xffffff, v44
	s_cbranch_execz .LBB422_246
; %bb.239:                              ;   in Loop: Header=BB422_10 Depth=1
	v_lshrrev_b32_e32 v45, 24, v44
	v_bfrev_b32_e32 v8, 1
	s_mov_b32 s19, exec_lo
	s_delay_alu instid0(VALU_DEP_2)
	v_cmpx_ne_u32_e32 0x80, v45
	s_cbranch_execz .LBB422_245
; %bb.240:                              ;   in Loop: Header=BB422_10 Depth=1
	v_bfe_u32 v46, v44, 24, 7
	v_mov_b32_e32 v8, 0x7f800001
	s_mov_b32 s20, exec_lo
	s_delay_alu instid0(VALU_DEP_2)
	v_cmpx_ne_u32_e32 0x7f, v46
	s_cbranch_execz .LBB422_244
; %bb.241:                              ;   in Loop: Header=BB422_10 Depth=1
	v_and_b32_e32 v8, 7, v45
	v_lshrrev_b32_e32 v44, 3, v46
	s_mov_b32 s21, exec_lo
	v_cmpx_gt_u32_e32 8, v46
; %bb.242:                              ;   in Loop: Header=BB422_10 Depth=1
	s_delay_alu instid0(VALU_DEP_3) | instskip(NEXT) | instid1(VALU_DEP_1)
	v_clz_i32_u32_e32 v44, v8
	v_min_u32_e32 v44, 32, v44
	s_delay_alu instid0(VALU_DEP_1) | instskip(SKIP_1) | instid1(VALU_DEP_2)
	v_subrev_nc_u32_e32 v46, 28, v44
	v_sub_nc_u32_e32 v44, 29, v44
	v_lshlrev_b64 v[46:47], v46, v[8:9]
	s_delay_alu instid0(VALU_DEP_1)
	v_and_b32_e32 v8, 7, v46
; %bb.243:                              ;   in Loop: Header=BB422_10 Depth=1
	s_or_b32 exec_lo, exec_lo, s21
	v_lshlrev_b32_e32 v45, 24, v45
	s_delay_alu instid0(VALU_DEP_2) | instskip(SKIP_1) | instid1(VALU_DEP_3)
	v_lshlrev_b32_e32 v8, 20, v8
	v_lshl_add_u32 v44, v44, 23, 0x3c000000
	v_and_b32_e32 v45, 0x80000000, v45
	s_delay_alu instid0(VALU_DEP_1)
	v_or3_b32 v8, v8, v45, v44
.LBB422_244:                            ;   in Loop: Header=BB422_10 Depth=1
	s_or_b32 exec_lo, exec_lo, s20
.LBB422_245:                            ;   in Loop: Header=BB422_10 Depth=1
	s_delay_alu instid0(SALU_CYCLE_1)
	s_or_b32 exec_lo, exec_lo, s19
.LBB422_246:                            ;   in Loop: Header=BB422_10 Depth=1
	s_delay_alu instid0(SALU_CYCLE_1) | instskip(NEXT) | instid1(VALU_DEP_1)
	s_or_b32 exec_lo, exec_lo, s3
	v_mul_f32_e32 v8, v160, v8
	s_delay_alu instid0(VALU_DEP_1) | instskip(NEXT) | instid1(VALU_DEP_1)
	v_and_b32_e32 v44, 0x7f800000, v8
	v_cmp_ne_u32_e64 s2, 0x7f800000, v44
                                        ; implicit-def: $vgpr44
	s_delay_alu instid0(VALU_DEP_1) | instskip(NEXT) | instid1(SALU_CYCLE_1)
	s_and_saveexec_b32 s3, s2
	s_xor_b32 s2, exec_lo, s3
; %bb.247:                              ;   in Loop: Header=BB422_10 Depth=1
	v_bfe_u32 v44, v8, 16, 1
	s_delay_alu instid0(VALU_DEP_1)
	v_add3_u32 v44, v8, v44, 0x7fff
                                        ; implicit-def: $vgpr8
; %bb.248:                              ;   in Loop: Header=BB422_10 Depth=1
	s_and_not1_saveexec_b32 s3, s2
; %bb.249:                              ;   in Loop: Header=BB422_10 Depth=1
	v_and_b32_e32 v44, 0xffff, v8
	v_or_b32_e32 v45, 0x10000, v8
	s_delay_alu instid0(VALU_DEP_2) | instskip(NEXT) | instid1(VALU_DEP_1)
	v_cmp_eq_u32_e64 s2, 0, v44
	v_cndmask_b32_e64 v44, v45, v8, s2
; %bb.250:                              ;   in Loop: Header=BB422_10 Depth=1
	s_or_b32 exec_lo, exec_lo, s3
	flat_load_b32 v56, v[28:29] offset:520
	s_mov_b32 s3, exec_lo
	s_waitcnt vmcnt(0) lgkmcnt(0)
	v_dual_mov_b32 v8, 0 :: v_dual_and_b32 v45, 0xff, v56
	s_delay_alu instid0(VALU_DEP_1)
	v_cmpx_ne_u16_e32 0, v45
	s_cbranch_execz .LBB422_258
; %bb.251:                              ;   in Loop: Header=BB422_10 Depth=1
	v_bfrev_b32_e32 v8, 1
	s_mov_b32 s19, exec_lo
	v_cmpx_ne_u16_e32 0x80, v45
	s_cbranch_execz .LBB422_257
; %bb.252:                              ;   in Loop: Header=BB422_10 Depth=1
	v_and_b32_e32 v46, 0x7f, v56
	v_mov_b32_e32 v8, 0x7f800001
	s_mov_b32 s20, exec_lo
	s_delay_alu instid0(VALU_DEP_2)
	v_cmpx_ne_u32_e32 0x7f, v46
	s_cbranch_execz .LBB422_256
; %bb.253:                              ;   in Loop: Header=BB422_10 Depth=1
	v_and_b32_e32 v8, 7, v56
	v_lshrrev_b32_e32 v45, 3, v46
	s_mov_b32 s21, exec_lo
	v_cmpx_gt_u32_e32 8, v46
; %bb.254:                              ;   in Loop: Header=BB422_10 Depth=1
	s_delay_alu instid0(VALU_DEP_3) | instskip(NEXT) | instid1(VALU_DEP_1)
	v_clz_i32_u32_e32 v45, v8
	v_min_u32_e32 v45, 32, v45
	s_delay_alu instid0(VALU_DEP_1) | instskip(SKIP_1) | instid1(VALU_DEP_2)
	v_subrev_nc_u32_e32 v46, 28, v45
	v_sub_nc_u32_e32 v45, 29, v45
	v_lshlrev_b64 v[46:47], v46, v[8:9]
	s_delay_alu instid0(VALU_DEP_1)
	v_and_b32_e32 v8, 7, v46
; %bb.255:                              ;   in Loop: Header=BB422_10 Depth=1
	s_or_b32 exec_lo, exec_lo, s21
	v_lshlrev_b32_e32 v46, 24, v56
	s_delay_alu instid0(VALU_DEP_2) | instskip(SKIP_1) | instid1(VALU_DEP_3)
	v_lshlrev_b32_e32 v8, 20, v8
	v_lshl_add_u32 v45, v45, 23, 0x3c000000
	v_and_b32_e32 v46, 0x80000000, v46
	s_delay_alu instid0(VALU_DEP_1)
	v_or3_b32 v8, v8, v46, v45
.LBB422_256:                            ;   in Loop: Header=BB422_10 Depth=1
	s_or_b32 exec_lo, exec_lo, s20
.LBB422_257:                            ;   in Loop: Header=BB422_10 Depth=1
	s_delay_alu instid0(SALU_CYCLE_1)
	s_or_b32 exec_lo, exec_lo, s19
.LBB422_258:                            ;   in Loop: Header=BB422_10 Depth=1
	s_delay_alu instid0(SALU_CYCLE_1) | instskip(NEXT) | instid1(VALU_DEP_1)
	s_or_b32 exec_lo, exec_lo, s3
	v_mul_f32_e32 v8, v160, v8
	s_delay_alu instid0(VALU_DEP_1) | instskip(NEXT) | instid1(VALU_DEP_1)
	v_and_b32_e32 v45, 0x7f800000, v8
	v_cmp_ne_u32_e64 s2, 0x7f800000, v45
                                        ; implicit-def: $vgpr45
	s_delay_alu instid0(VALU_DEP_1) | instskip(NEXT) | instid1(SALU_CYCLE_1)
	s_and_saveexec_b32 s3, s2
	s_xor_b32 s2, exec_lo, s3
; %bb.259:                              ;   in Loop: Header=BB422_10 Depth=1
	v_bfe_u32 v45, v8, 16, 1
	s_delay_alu instid0(VALU_DEP_1)
	v_add3_u32 v45, v8, v45, 0x7fff
                                        ; implicit-def: $vgpr8
; %bb.260:                              ;   in Loop: Header=BB422_10 Depth=1
	s_and_not1_saveexec_b32 s3, s2
; %bb.261:                              ;   in Loop: Header=BB422_10 Depth=1
	v_and_b32_e32 v45, 0xffff, v8
	v_or_b32_e32 v46, 0x10000, v8
	s_delay_alu instid0(VALU_DEP_2) | instskip(NEXT) | instid1(VALU_DEP_1)
	v_cmp_eq_u32_e64 s2, 0, v45
	v_cndmask_b32_e64 v45, v46, v8, s2
; %bb.262:                              ;   in Loop: Header=BB422_10 Depth=1
	s_or_b32 exec_lo, exec_lo, s3
	v_lshrrev_b16 v46, 8, v56
	v_mov_b32_e32 v8, 0
	s_mov_b32 s3, exec_lo
	s_delay_alu instid0(VALU_DEP_2)
	v_cmpx_ne_u16_e32 0, v46
	s_cbranch_execz .LBB422_270
; %bb.263:                              ;   in Loop: Header=BB422_10 Depth=1
	v_bfrev_b32_e32 v8, 1
	s_mov_b32 s19, exec_lo
	v_cmpx_ne_u16_e32 0x80, v46
	s_cbranch_execz .LBB422_269
; %bb.264:                              ;   in Loop: Header=BB422_10 Depth=1
	v_and_b32_e32 v46, 0xffff, v46
	v_mov_b32_e32 v8, 0x7f800001
	s_mov_b32 s20, exec_lo
	s_delay_alu instid0(VALU_DEP_2) | instskip(NEXT) | instid1(VALU_DEP_1)
	v_and_b32_e32 v47, 0x7f, v46
	v_cmpx_ne_u32_e32 0x7f, v47
	s_cbranch_execz .LBB422_268
; %bb.265:                              ;   in Loop: Header=BB422_10 Depth=1
	v_and_b32_e32 v8, 7, v46
	v_lshrrev_b32_e32 v46, 3, v47
	s_mov_b32 s21, exec_lo
	v_cmpx_gt_u32_e32 8, v47
; %bb.266:                              ;   in Loop: Header=BB422_10 Depth=1
	s_delay_alu instid0(VALU_DEP_3) | instskip(NEXT) | instid1(VALU_DEP_1)
	v_clz_i32_u32_e32 v46, v8
	v_min_u32_e32 v46, 32, v46
	s_delay_alu instid0(VALU_DEP_1) | instskip(SKIP_1) | instid1(VALU_DEP_2)
	v_subrev_nc_u32_e32 v47, 28, v46
	v_sub_nc_u32_e32 v46, 29, v46
	v_lshlrev_b64 v[57:58], v47, v[8:9]
	s_delay_alu instid0(VALU_DEP_1)
	v_and_b32_e32 v8, 7, v57
; %bb.267:                              ;   in Loop: Header=BB422_10 Depth=1
	s_or_b32 exec_lo, exec_lo, s21
	v_lshlrev_b32_e32 v47, 16, v56
	s_delay_alu instid0(VALU_DEP_2) | instskip(SKIP_1) | instid1(VALU_DEP_3)
	v_lshlrev_b32_e32 v8, 20, v8
	v_lshl_add_u32 v46, v46, 23, 0x3c000000
	v_and_b32_e32 v47, 0x80000000, v47
	s_delay_alu instid0(VALU_DEP_1)
	v_or3_b32 v8, v8, v47, v46
.LBB422_268:                            ;   in Loop: Header=BB422_10 Depth=1
	s_or_b32 exec_lo, exec_lo, s20
.LBB422_269:                            ;   in Loop: Header=BB422_10 Depth=1
	s_delay_alu instid0(SALU_CYCLE_1)
	s_or_b32 exec_lo, exec_lo, s19
.LBB422_270:                            ;   in Loop: Header=BB422_10 Depth=1
	s_delay_alu instid0(SALU_CYCLE_1) | instskip(NEXT) | instid1(VALU_DEP_1)
	s_or_b32 exec_lo, exec_lo, s3
	v_mul_f32_e32 v8, v160, v8
	s_delay_alu instid0(VALU_DEP_1) | instskip(NEXT) | instid1(VALU_DEP_1)
	v_and_b32_e32 v46, 0x7f800000, v8
	v_cmp_ne_u32_e64 s2, 0x7f800000, v46
                                        ; implicit-def: $vgpr46
	s_delay_alu instid0(VALU_DEP_1) | instskip(NEXT) | instid1(SALU_CYCLE_1)
	s_and_saveexec_b32 s3, s2
	s_xor_b32 s2, exec_lo, s3
; %bb.271:                              ;   in Loop: Header=BB422_10 Depth=1
	v_bfe_u32 v46, v8, 16, 1
	s_delay_alu instid0(VALU_DEP_1)
	v_add3_u32 v46, v8, v46, 0x7fff
                                        ; implicit-def: $vgpr8
; %bb.272:                              ;   in Loop: Header=BB422_10 Depth=1
	s_and_not1_saveexec_b32 s3, s2
; %bb.273:                              ;   in Loop: Header=BB422_10 Depth=1
	v_and_b32_e32 v46, 0xffff, v8
	v_or_b32_e32 v47, 0x10000, v8
	s_delay_alu instid0(VALU_DEP_2) | instskip(NEXT) | instid1(VALU_DEP_1)
	v_cmp_eq_u32_e64 s2, 0, v46
	v_cndmask_b32_e64 v46, v47, v8, s2
; %bb.274:                              ;   in Loop: Header=BB422_10 Depth=1
	s_or_b32 exec_lo, exec_lo, s3
	v_lshrrev_b32_e32 v47, 16, v56
	s_mov_b32 s3, exec_lo
	s_delay_alu instid0(VALU_DEP_1) | instskip(NEXT) | instid1(VALU_DEP_1)
	v_dual_mov_b32 v8, 0 :: v_dual_and_b32 v57, 0xff, v47
	v_cmpx_ne_u16_e32 0, v57
	s_cbranch_execz .LBB422_282
; %bb.275:                              ;   in Loop: Header=BB422_10 Depth=1
	v_bfrev_b32_e32 v8, 1
	s_mov_b32 s19, exec_lo
	v_cmpx_ne_u16_e32 0x80, v57
	s_cbranch_execz .LBB422_281
; %bb.276:                              ;   in Loop: Header=BB422_10 Depth=1
	v_bfe_u32 v58, v56, 16, 7
	v_mov_b32_e32 v8, 0x7f800001
	s_mov_b32 s20, exec_lo
	s_delay_alu instid0(VALU_DEP_2)
	v_cmpx_ne_u32_e32 0x7f, v58
	s_cbranch_execz .LBB422_280
; %bb.277:                              ;   in Loop: Header=BB422_10 Depth=1
	v_and_b32_e32 v8, 7, v47
	v_lshrrev_b32_e32 v57, 3, v58
	s_mov_b32 s21, exec_lo
	v_cmpx_gt_u32_e32 8, v58
; %bb.278:                              ;   in Loop: Header=BB422_10 Depth=1
	s_delay_alu instid0(VALU_DEP_3) | instskip(NEXT) | instid1(VALU_DEP_1)
	v_clz_i32_u32_e32 v57, v8
	v_min_u32_e32 v57, 32, v57
	s_delay_alu instid0(VALU_DEP_1) | instskip(SKIP_1) | instid1(VALU_DEP_2)
	v_subrev_nc_u32_e32 v58, 28, v57
	v_sub_nc_u32_e32 v57, 29, v57
	v_lshlrev_b64 v[58:59], v58, v[8:9]
	s_delay_alu instid0(VALU_DEP_1)
	v_and_b32_e32 v8, 7, v58
; %bb.279:                              ;   in Loop: Header=BB422_10 Depth=1
	s_or_b32 exec_lo, exec_lo, s21
	v_lshlrev_b32_e32 v47, 24, v47
	s_delay_alu instid0(VALU_DEP_2) | instskip(SKIP_1) | instid1(VALU_DEP_3)
	v_lshlrev_b32_e32 v8, 20, v8
	v_lshl_add_u32 v57, v57, 23, 0x3c000000
	v_and_b32_e32 v47, 0x80000000, v47
	s_delay_alu instid0(VALU_DEP_1)
	v_or3_b32 v8, v8, v47, v57
.LBB422_280:                            ;   in Loop: Header=BB422_10 Depth=1
	s_or_b32 exec_lo, exec_lo, s20
.LBB422_281:                            ;   in Loop: Header=BB422_10 Depth=1
	s_delay_alu instid0(SALU_CYCLE_1)
	s_or_b32 exec_lo, exec_lo, s19
.LBB422_282:                            ;   in Loop: Header=BB422_10 Depth=1
	s_delay_alu instid0(SALU_CYCLE_1) | instskip(NEXT) | instid1(VALU_DEP_1)
	s_or_b32 exec_lo, exec_lo, s3
	v_mul_f32_e32 v8, v160, v8
	s_delay_alu instid0(VALU_DEP_1) | instskip(NEXT) | instid1(VALU_DEP_1)
	v_and_b32_e32 v47, 0x7f800000, v8
	v_cmp_ne_u32_e64 s2, 0x7f800000, v47
                                        ; implicit-def: $vgpr47
	s_delay_alu instid0(VALU_DEP_1) | instskip(NEXT) | instid1(SALU_CYCLE_1)
	s_and_saveexec_b32 s3, s2
	s_xor_b32 s2, exec_lo, s3
; %bb.283:                              ;   in Loop: Header=BB422_10 Depth=1
	v_bfe_u32 v47, v8, 16, 1
	s_delay_alu instid0(VALU_DEP_1)
	v_add3_u32 v47, v8, v47, 0x7fff
                                        ; implicit-def: $vgpr8
; %bb.284:                              ;   in Loop: Header=BB422_10 Depth=1
	s_and_not1_saveexec_b32 s3, s2
; %bb.285:                              ;   in Loop: Header=BB422_10 Depth=1
	v_and_b32_e32 v47, 0xffff, v8
	v_or_b32_e32 v57, 0x10000, v8
	s_delay_alu instid0(VALU_DEP_2) | instskip(NEXT) | instid1(VALU_DEP_1)
	v_cmp_eq_u32_e64 s2, 0, v47
	v_cndmask_b32_e64 v47, v57, v8, s2
; %bb.286:                              ;   in Loop: Header=BB422_10 Depth=1
	s_or_b32 exec_lo, exec_lo, s3
	v_mov_b32_e32 v8, 0
	s_mov_b32 s3, exec_lo
	v_cmpx_lt_u32_e32 0xffffff, v56
	s_cbranch_execz .LBB422_294
; %bb.287:                              ;   in Loop: Header=BB422_10 Depth=1
	v_lshrrev_b32_e32 v57, 24, v56
	v_bfrev_b32_e32 v8, 1
	s_mov_b32 s19, exec_lo
	s_delay_alu instid0(VALU_DEP_2)
	v_cmpx_ne_u32_e32 0x80, v57
	s_cbranch_execz .LBB422_293
; %bb.288:                              ;   in Loop: Header=BB422_10 Depth=1
	v_bfe_u32 v58, v56, 24, 7
	v_mov_b32_e32 v8, 0x7f800001
	s_mov_b32 s20, exec_lo
	s_delay_alu instid0(VALU_DEP_2)
	v_cmpx_ne_u32_e32 0x7f, v58
	s_cbranch_execz .LBB422_292
; %bb.289:                              ;   in Loop: Header=BB422_10 Depth=1
	v_and_b32_e32 v8, 7, v57
	v_lshrrev_b32_e32 v56, 3, v58
	s_mov_b32 s21, exec_lo
	v_cmpx_gt_u32_e32 8, v58
; %bb.290:                              ;   in Loop: Header=BB422_10 Depth=1
	s_delay_alu instid0(VALU_DEP_3) | instskip(NEXT) | instid1(VALU_DEP_1)
	v_clz_i32_u32_e32 v56, v8
	v_min_u32_e32 v56, 32, v56
	s_delay_alu instid0(VALU_DEP_1) | instskip(SKIP_1) | instid1(VALU_DEP_2)
	v_subrev_nc_u32_e32 v58, 28, v56
	v_sub_nc_u32_e32 v56, 29, v56
	v_lshlrev_b64 v[58:59], v58, v[8:9]
	s_delay_alu instid0(VALU_DEP_1)
	v_and_b32_e32 v8, 7, v58
; %bb.291:                              ;   in Loop: Header=BB422_10 Depth=1
	s_or_b32 exec_lo, exec_lo, s21
	v_lshlrev_b32_e32 v57, 24, v57
	s_delay_alu instid0(VALU_DEP_2) | instskip(SKIP_1) | instid1(VALU_DEP_3)
	v_lshlrev_b32_e32 v8, 20, v8
	v_lshl_add_u32 v56, v56, 23, 0x3c000000
	v_and_b32_e32 v57, 0x80000000, v57
	s_delay_alu instid0(VALU_DEP_1)
	v_or3_b32 v8, v8, v57, v56
.LBB422_292:                            ;   in Loop: Header=BB422_10 Depth=1
	s_or_b32 exec_lo, exec_lo, s20
.LBB422_293:                            ;   in Loop: Header=BB422_10 Depth=1
	s_delay_alu instid0(SALU_CYCLE_1)
	s_or_b32 exec_lo, exec_lo, s19
.LBB422_294:                            ;   in Loop: Header=BB422_10 Depth=1
	s_delay_alu instid0(SALU_CYCLE_1) | instskip(NEXT) | instid1(VALU_DEP_1)
	s_or_b32 exec_lo, exec_lo, s3
	v_mul_f32_e32 v8, v160, v8
	s_delay_alu instid0(VALU_DEP_1) | instskip(NEXT) | instid1(VALU_DEP_1)
	v_and_b32_e32 v56, 0x7f800000, v8
	v_cmp_ne_u32_e64 s2, 0x7f800000, v56
                                        ; implicit-def: $vgpr56
	s_delay_alu instid0(VALU_DEP_1) | instskip(NEXT) | instid1(SALU_CYCLE_1)
	s_and_saveexec_b32 s3, s2
	s_xor_b32 s2, exec_lo, s3
; %bb.295:                              ;   in Loop: Header=BB422_10 Depth=1
	v_bfe_u32 v56, v8, 16, 1
	s_delay_alu instid0(VALU_DEP_1)
	v_add3_u32 v56, v8, v56, 0x7fff
                                        ; implicit-def: $vgpr8
; %bb.296:                              ;   in Loop: Header=BB422_10 Depth=1
	s_and_not1_saveexec_b32 s3, s2
; %bb.297:                              ;   in Loop: Header=BB422_10 Depth=1
	v_and_b32_e32 v56, 0xffff, v8
	v_or_b32_e32 v57, 0x10000, v8
	s_delay_alu instid0(VALU_DEP_2) | instskip(NEXT) | instid1(VALU_DEP_1)
	v_cmp_eq_u32_e64 s2, 0, v56
	v_cndmask_b32_e64 v56, v57, v8, s2
; %bb.298:                              ;   in Loop: Header=BB422_10 Depth=1
	s_or_b32 exec_lo, exec_lo, s3
	flat_load_b32 v60, v[28:29] offset:768
	s_mov_b32 s3, exec_lo
	s_waitcnt vmcnt(0) lgkmcnt(0)
	v_dual_mov_b32 v8, 0 :: v_dual_and_b32 v57, 0xff, v60
	s_delay_alu instid0(VALU_DEP_1)
	v_cmpx_ne_u16_e32 0, v57
	s_cbranch_execz .LBB422_306
; %bb.299:                              ;   in Loop: Header=BB422_10 Depth=1
	v_bfrev_b32_e32 v8, 1
	s_mov_b32 s19, exec_lo
	v_cmpx_ne_u16_e32 0x80, v57
	s_cbranch_execz .LBB422_305
; %bb.300:                              ;   in Loop: Header=BB422_10 Depth=1
	v_and_b32_e32 v58, 0x7f, v60
	v_mov_b32_e32 v8, 0x7f800001
	s_mov_b32 s20, exec_lo
	s_delay_alu instid0(VALU_DEP_2)
	v_cmpx_ne_u32_e32 0x7f, v58
	s_cbranch_execz .LBB422_304
; %bb.301:                              ;   in Loop: Header=BB422_10 Depth=1
	v_and_b32_e32 v8, 7, v60
	v_lshrrev_b32_e32 v57, 3, v58
	s_mov_b32 s21, exec_lo
	v_cmpx_gt_u32_e32 8, v58
; %bb.302:                              ;   in Loop: Header=BB422_10 Depth=1
	s_delay_alu instid0(VALU_DEP_3) | instskip(NEXT) | instid1(VALU_DEP_1)
	v_clz_i32_u32_e32 v57, v8
	v_min_u32_e32 v57, 32, v57
	s_delay_alu instid0(VALU_DEP_1) | instskip(SKIP_1) | instid1(VALU_DEP_2)
	v_subrev_nc_u32_e32 v58, 28, v57
	v_sub_nc_u32_e32 v57, 29, v57
	v_lshlrev_b64 v[58:59], v58, v[8:9]
	s_delay_alu instid0(VALU_DEP_1)
	v_and_b32_e32 v8, 7, v58
; %bb.303:                              ;   in Loop: Header=BB422_10 Depth=1
	s_or_b32 exec_lo, exec_lo, s21
	v_lshlrev_b32_e32 v58, 24, v60
	s_delay_alu instid0(VALU_DEP_2) | instskip(SKIP_1) | instid1(VALU_DEP_3)
	v_lshlrev_b32_e32 v8, 20, v8
	v_lshl_add_u32 v57, v57, 23, 0x3c000000
	v_and_b32_e32 v58, 0x80000000, v58
	s_delay_alu instid0(VALU_DEP_1)
	v_or3_b32 v8, v8, v58, v57
.LBB422_304:                            ;   in Loop: Header=BB422_10 Depth=1
	s_or_b32 exec_lo, exec_lo, s20
.LBB422_305:                            ;   in Loop: Header=BB422_10 Depth=1
	s_delay_alu instid0(SALU_CYCLE_1)
	s_or_b32 exec_lo, exec_lo, s19
.LBB422_306:                            ;   in Loop: Header=BB422_10 Depth=1
	s_delay_alu instid0(SALU_CYCLE_1) | instskip(NEXT) | instid1(VALU_DEP_1)
	s_or_b32 exec_lo, exec_lo, s3
	v_mul_f32_e32 v8, v160, v8
	s_delay_alu instid0(VALU_DEP_1) | instskip(NEXT) | instid1(VALU_DEP_1)
	v_and_b32_e32 v57, 0x7f800000, v8
	v_cmp_ne_u32_e64 s2, 0x7f800000, v57
                                        ; implicit-def: $vgpr57
	s_delay_alu instid0(VALU_DEP_1) | instskip(NEXT) | instid1(SALU_CYCLE_1)
	s_and_saveexec_b32 s3, s2
	s_xor_b32 s2, exec_lo, s3
; %bb.307:                              ;   in Loop: Header=BB422_10 Depth=1
	v_bfe_u32 v57, v8, 16, 1
	s_delay_alu instid0(VALU_DEP_1)
	v_add3_u32 v57, v8, v57, 0x7fff
                                        ; implicit-def: $vgpr8
; %bb.308:                              ;   in Loop: Header=BB422_10 Depth=1
	s_and_not1_saveexec_b32 s3, s2
; %bb.309:                              ;   in Loop: Header=BB422_10 Depth=1
	v_and_b32_e32 v57, 0xffff, v8
	v_or_b32_e32 v58, 0x10000, v8
	s_delay_alu instid0(VALU_DEP_2) | instskip(NEXT) | instid1(VALU_DEP_1)
	v_cmp_eq_u32_e64 s2, 0, v57
	v_cndmask_b32_e64 v57, v58, v8, s2
; %bb.310:                              ;   in Loop: Header=BB422_10 Depth=1
	s_or_b32 exec_lo, exec_lo, s3
	v_lshrrev_b16 v58, 8, v60
	v_mov_b32_e32 v8, 0
	s_mov_b32 s3, exec_lo
	s_delay_alu instid0(VALU_DEP_2)
	v_cmpx_ne_u16_e32 0, v58
	s_cbranch_execz .LBB422_318
; %bb.311:                              ;   in Loop: Header=BB422_10 Depth=1
	v_bfrev_b32_e32 v8, 1
	s_mov_b32 s19, exec_lo
	v_cmpx_ne_u16_e32 0x80, v58
	s_cbranch_execz .LBB422_317
; %bb.312:                              ;   in Loop: Header=BB422_10 Depth=1
	v_and_b32_e32 v58, 0xffff, v58
	v_mov_b32_e32 v8, 0x7f800001
	s_mov_b32 s20, exec_lo
	s_delay_alu instid0(VALU_DEP_2) | instskip(NEXT) | instid1(VALU_DEP_1)
	v_and_b32_e32 v59, 0x7f, v58
	v_cmpx_ne_u32_e32 0x7f, v59
	s_cbranch_execz .LBB422_316
; %bb.313:                              ;   in Loop: Header=BB422_10 Depth=1
	v_and_b32_e32 v8, 7, v58
	v_lshrrev_b32_e32 v58, 3, v59
	s_mov_b32 s21, exec_lo
	v_cmpx_gt_u32_e32 8, v59
; %bb.314:                              ;   in Loop: Header=BB422_10 Depth=1
	s_delay_alu instid0(VALU_DEP_3) | instskip(NEXT) | instid1(VALU_DEP_1)
	v_clz_i32_u32_e32 v58, v8
	v_min_u32_e32 v58, 32, v58
	s_delay_alu instid0(VALU_DEP_1) | instskip(SKIP_1) | instid1(VALU_DEP_2)
	v_subrev_nc_u32_e32 v59, 28, v58
	v_sub_nc_u32_e32 v58, 29, v58
	v_lshlrev_b64 v[61:62], v59, v[8:9]
	s_delay_alu instid0(VALU_DEP_1)
	v_and_b32_e32 v8, 7, v61
; %bb.315:                              ;   in Loop: Header=BB422_10 Depth=1
	s_or_b32 exec_lo, exec_lo, s21
	v_lshlrev_b32_e32 v59, 16, v60
	s_delay_alu instid0(VALU_DEP_2) | instskip(SKIP_1) | instid1(VALU_DEP_3)
	v_lshlrev_b32_e32 v8, 20, v8
	v_lshl_add_u32 v58, v58, 23, 0x3c000000
	v_and_b32_e32 v59, 0x80000000, v59
	s_delay_alu instid0(VALU_DEP_1)
	v_or3_b32 v8, v8, v59, v58
.LBB422_316:                            ;   in Loop: Header=BB422_10 Depth=1
	s_or_b32 exec_lo, exec_lo, s20
.LBB422_317:                            ;   in Loop: Header=BB422_10 Depth=1
	s_delay_alu instid0(SALU_CYCLE_1)
	s_or_b32 exec_lo, exec_lo, s19
.LBB422_318:                            ;   in Loop: Header=BB422_10 Depth=1
	s_delay_alu instid0(SALU_CYCLE_1) | instskip(NEXT) | instid1(VALU_DEP_1)
	s_or_b32 exec_lo, exec_lo, s3
	v_mul_f32_e32 v8, v160, v8
	s_delay_alu instid0(VALU_DEP_1) | instskip(NEXT) | instid1(VALU_DEP_1)
	v_and_b32_e32 v58, 0x7f800000, v8
	v_cmp_ne_u32_e64 s2, 0x7f800000, v58
                                        ; implicit-def: $vgpr58
	s_delay_alu instid0(VALU_DEP_1) | instskip(NEXT) | instid1(SALU_CYCLE_1)
	s_and_saveexec_b32 s3, s2
	s_xor_b32 s2, exec_lo, s3
; %bb.319:                              ;   in Loop: Header=BB422_10 Depth=1
	v_bfe_u32 v58, v8, 16, 1
	s_delay_alu instid0(VALU_DEP_1)
	v_add3_u32 v58, v8, v58, 0x7fff
                                        ; implicit-def: $vgpr8
; %bb.320:                              ;   in Loop: Header=BB422_10 Depth=1
	s_and_not1_saveexec_b32 s3, s2
; %bb.321:                              ;   in Loop: Header=BB422_10 Depth=1
	v_and_b32_e32 v58, 0xffff, v8
	v_or_b32_e32 v59, 0x10000, v8
	s_delay_alu instid0(VALU_DEP_2) | instskip(NEXT) | instid1(VALU_DEP_1)
	v_cmp_eq_u32_e64 s2, 0, v58
	v_cndmask_b32_e64 v58, v59, v8, s2
; %bb.322:                              ;   in Loop: Header=BB422_10 Depth=1
	s_or_b32 exec_lo, exec_lo, s3
	v_lshrrev_b32_e32 v59, 16, v60
	s_mov_b32 s3, exec_lo
	s_delay_alu instid0(VALU_DEP_1) | instskip(NEXT) | instid1(VALU_DEP_1)
	v_dual_mov_b32 v8, 0 :: v_dual_and_b32 v61, 0xff, v59
	v_cmpx_ne_u16_e32 0, v61
	s_cbranch_execz .LBB422_330
; %bb.323:                              ;   in Loop: Header=BB422_10 Depth=1
	v_bfrev_b32_e32 v8, 1
	s_mov_b32 s19, exec_lo
	v_cmpx_ne_u16_e32 0x80, v61
	s_cbranch_execz .LBB422_329
; %bb.324:                              ;   in Loop: Header=BB422_10 Depth=1
	v_bfe_u32 v62, v60, 16, 7
	v_mov_b32_e32 v8, 0x7f800001
	s_mov_b32 s20, exec_lo
	s_delay_alu instid0(VALU_DEP_2)
	v_cmpx_ne_u32_e32 0x7f, v62
	s_cbranch_execz .LBB422_328
; %bb.325:                              ;   in Loop: Header=BB422_10 Depth=1
	v_and_b32_e32 v8, 7, v59
	v_lshrrev_b32_e32 v61, 3, v62
	s_mov_b32 s21, exec_lo
	v_cmpx_gt_u32_e32 8, v62
; %bb.326:                              ;   in Loop: Header=BB422_10 Depth=1
	s_delay_alu instid0(VALU_DEP_3) | instskip(NEXT) | instid1(VALU_DEP_1)
	v_clz_i32_u32_e32 v61, v8
	v_min_u32_e32 v61, 32, v61
	s_delay_alu instid0(VALU_DEP_1) | instskip(SKIP_1) | instid1(VALU_DEP_2)
	v_subrev_nc_u32_e32 v62, 28, v61
	v_sub_nc_u32_e32 v61, 29, v61
	v_lshlrev_b64 v[62:63], v62, v[8:9]
	s_delay_alu instid0(VALU_DEP_1)
	v_and_b32_e32 v8, 7, v62
; %bb.327:                              ;   in Loop: Header=BB422_10 Depth=1
	s_or_b32 exec_lo, exec_lo, s21
	v_lshlrev_b32_e32 v59, 24, v59
	s_delay_alu instid0(VALU_DEP_2) | instskip(SKIP_1) | instid1(VALU_DEP_3)
	v_lshlrev_b32_e32 v8, 20, v8
	v_lshl_add_u32 v61, v61, 23, 0x3c000000
	v_and_b32_e32 v59, 0x80000000, v59
	s_delay_alu instid0(VALU_DEP_1)
	v_or3_b32 v8, v8, v59, v61
.LBB422_328:                            ;   in Loop: Header=BB422_10 Depth=1
	s_or_b32 exec_lo, exec_lo, s20
.LBB422_329:                            ;   in Loop: Header=BB422_10 Depth=1
	s_delay_alu instid0(SALU_CYCLE_1)
	s_or_b32 exec_lo, exec_lo, s19
.LBB422_330:                            ;   in Loop: Header=BB422_10 Depth=1
	s_delay_alu instid0(SALU_CYCLE_1) | instskip(NEXT) | instid1(VALU_DEP_1)
	s_or_b32 exec_lo, exec_lo, s3
	v_mul_f32_e32 v8, v160, v8
	s_delay_alu instid0(VALU_DEP_1) | instskip(NEXT) | instid1(VALU_DEP_1)
	v_and_b32_e32 v59, 0x7f800000, v8
	v_cmp_ne_u32_e64 s2, 0x7f800000, v59
                                        ; implicit-def: $vgpr59
	s_delay_alu instid0(VALU_DEP_1) | instskip(NEXT) | instid1(SALU_CYCLE_1)
	s_and_saveexec_b32 s3, s2
	s_xor_b32 s2, exec_lo, s3
; %bb.331:                              ;   in Loop: Header=BB422_10 Depth=1
	v_bfe_u32 v59, v8, 16, 1
	s_delay_alu instid0(VALU_DEP_1)
	v_add3_u32 v59, v8, v59, 0x7fff
                                        ; implicit-def: $vgpr8
; %bb.332:                              ;   in Loop: Header=BB422_10 Depth=1
	s_and_not1_saveexec_b32 s3, s2
; %bb.333:                              ;   in Loop: Header=BB422_10 Depth=1
	v_and_b32_e32 v59, 0xffff, v8
	v_or_b32_e32 v61, 0x10000, v8
	s_delay_alu instid0(VALU_DEP_2) | instskip(NEXT) | instid1(VALU_DEP_1)
	v_cmp_eq_u32_e64 s2, 0, v59
	v_cndmask_b32_e64 v59, v61, v8, s2
; %bb.334:                              ;   in Loop: Header=BB422_10 Depth=1
	s_or_b32 exec_lo, exec_lo, s3
	v_mov_b32_e32 v8, 0
	s_mov_b32 s3, exec_lo
	v_cmpx_lt_u32_e32 0xffffff, v60
	s_cbranch_execz .LBB422_342
; %bb.335:                              ;   in Loop: Header=BB422_10 Depth=1
	v_lshrrev_b32_e32 v61, 24, v60
	v_bfrev_b32_e32 v8, 1
	s_mov_b32 s19, exec_lo
	s_delay_alu instid0(VALU_DEP_2)
	v_cmpx_ne_u32_e32 0x80, v61
	s_cbranch_execz .LBB422_341
; %bb.336:                              ;   in Loop: Header=BB422_10 Depth=1
	v_bfe_u32 v62, v60, 24, 7
	v_mov_b32_e32 v8, 0x7f800001
	s_mov_b32 s20, exec_lo
	s_delay_alu instid0(VALU_DEP_2)
	v_cmpx_ne_u32_e32 0x7f, v62
	s_cbranch_execz .LBB422_340
; %bb.337:                              ;   in Loop: Header=BB422_10 Depth=1
	v_and_b32_e32 v8, 7, v61
	v_lshrrev_b32_e32 v60, 3, v62
	s_mov_b32 s21, exec_lo
	v_cmpx_gt_u32_e32 8, v62
; %bb.338:                              ;   in Loop: Header=BB422_10 Depth=1
	s_delay_alu instid0(VALU_DEP_3) | instskip(NEXT) | instid1(VALU_DEP_1)
	v_clz_i32_u32_e32 v60, v8
	v_min_u32_e32 v60, 32, v60
	s_delay_alu instid0(VALU_DEP_1) | instskip(SKIP_1) | instid1(VALU_DEP_2)
	v_subrev_nc_u32_e32 v62, 28, v60
	v_sub_nc_u32_e32 v60, 29, v60
	v_lshlrev_b64 v[62:63], v62, v[8:9]
	s_delay_alu instid0(VALU_DEP_1)
	v_and_b32_e32 v8, 7, v62
; %bb.339:                              ;   in Loop: Header=BB422_10 Depth=1
	s_or_b32 exec_lo, exec_lo, s21
	v_lshlrev_b32_e32 v61, 24, v61
	s_delay_alu instid0(VALU_DEP_2) | instskip(SKIP_1) | instid1(VALU_DEP_3)
	v_lshlrev_b32_e32 v8, 20, v8
	v_lshl_add_u32 v60, v60, 23, 0x3c000000
	v_and_b32_e32 v61, 0x80000000, v61
	s_delay_alu instid0(VALU_DEP_1)
	v_or3_b32 v8, v8, v61, v60
.LBB422_340:                            ;   in Loop: Header=BB422_10 Depth=1
	s_or_b32 exec_lo, exec_lo, s20
.LBB422_341:                            ;   in Loop: Header=BB422_10 Depth=1
	s_delay_alu instid0(SALU_CYCLE_1)
	s_or_b32 exec_lo, exec_lo, s19
.LBB422_342:                            ;   in Loop: Header=BB422_10 Depth=1
	s_delay_alu instid0(SALU_CYCLE_1) | instskip(NEXT) | instid1(VALU_DEP_1)
	s_or_b32 exec_lo, exec_lo, s3
	v_mul_f32_e32 v8, v160, v8
	s_delay_alu instid0(VALU_DEP_1) | instskip(NEXT) | instid1(VALU_DEP_1)
	v_and_b32_e32 v60, 0x7f800000, v8
	v_cmp_ne_u32_e64 s2, 0x7f800000, v60
                                        ; implicit-def: $vgpr60
	s_delay_alu instid0(VALU_DEP_1) | instskip(NEXT) | instid1(SALU_CYCLE_1)
	s_and_saveexec_b32 s3, s2
	s_xor_b32 s2, exec_lo, s3
; %bb.343:                              ;   in Loop: Header=BB422_10 Depth=1
	v_bfe_u32 v60, v8, 16, 1
	s_delay_alu instid0(VALU_DEP_1)
	v_add3_u32 v60, v8, v60, 0x7fff
                                        ; implicit-def: $vgpr8
; %bb.344:                              ;   in Loop: Header=BB422_10 Depth=1
	s_and_not1_saveexec_b32 s3, s2
; %bb.345:                              ;   in Loop: Header=BB422_10 Depth=1
	v_and_b32_e32 v60, 0xffff, v8
	v_or_b32_e32 v61, 0x10000, v8
	s_delay_alu instid0(VALU_DEP_2) | instskip(NEXT) | instid1(VALU_DEP_1)
	v_cmp_eq_u32_e64 s2, 0, v60
	v_cndmask_b32_e64 v60, v61, v8, s2
; %bb.346:                              ;   in Loop: Header=BB422_10 Depth=1
	s_or_b32 exec_lo, exec_lo, s3
	flat_load_b32 v72, v[28:29] offset:776
	s_mov_b32 s3, exec_lo
	s_waitcnt vmcnt(0) lgkmcnt(0)
	v_dual_mov_b32 v8, 0 :: v_dual_and_b32 v61, 0xff, v72
	s_delay_alu instid0(VALU_DEP_1)
	v_cmpx_ne_u16_e32 0, v61
	s_cbranch_execz .LBB422_354
; %bb.347:                              ;   in Loop: Header=BB422_10 Depth=1
	v_bfrev_b32_e32 v8, 1
	s_mov_b32 s19, exec_lo
	v_cmpx_ne_u16_e32 0x80, v61
	s_cbranch_execz .LBB422_353
; %bb.348:                              ;   in Loop: Header=BB422_10 Depth=1
	v_and_b32_e32 v62, 0x7f, v72
	v_mov_b32_e32 v8, 0x7f800001
	s_mov_b32 s20, exec_lo
	s_delay_alu instid0(VALU_DEP_2)
	v_cmpx_ne_u32_e32 0x7f, v62
	s_cbranch_execz .LBB422_352
; %bb.349:                              ;   in Loop: Header=BB422_10 Depth=1
	v_and_b32_e32 v8, 7, v72
	v_lshrrev_b32_e32 v61, 3, v62
	s_mov_b32 s21, exec_lo
	v_cmpx_gt_u32_e32 8, v62
; %bb.350:                              ;   in Loop: Header=BB422_10 Depth=1
	s_delay_alu instid0(VALU_DEP_3) | instskip(NEXT) | instid1(VALU_DEP_1)
	v_clz_i32_u32_e32 v61, v8
	v_min_u32_e32 v61, 32, v61
	s_delay_alu instid0(VALU_DEP_1) | instskip(SKIP_1) | instid1(VALU_DEP_2)
	v_subrev_nc_u32_e32 v62, 28, v61
	v_sub_nc_u32_e32 v61, 29, v61
	v_lshlrev_b64 v[62:63], v62, v[8:9]
	s_delay_alu instid0(VALU_DEP_1)
	v_and_b32_e32 v8, 7, v62
; %bb.351:                              ;   in Loop: Header=BB422_10 Depth=1
	s_or_b32 exec_lo, exec_lo, s21
	v_lshlrev_b32_e32 v62, 24, v72
	s_delay_alu instid0(VALU_DEP_2) | instskip(SKIP_1) | instid1(VALU_DEP_3)
	v_lshlrev_b32_e32 v8, 20, v8
	v_lshl_add_u32 v61, v61, 23, 0x3c000000
	v_and_b32_e32 v62, 0x80000000, v62
	s_delay_alu instid0(VALU_DEP_1)
	v_or3_b32 v8, v8, v62, v61
.LBB422_352:                            ;   in Loop: Header=BB422_10 Depth=1
	s_or_b32 exec_lo, exec_lo, s20
.LBB422_353:                            ;   in Loop: Header=BB422_10 Depth=1
	s_delay_alu instid0(SALU_CYCLE_1)
	s_or_b32 exec_lo, exec_lo, s19
.LBB422_354:                            ;   in Loop: Header=BB422_10 Depth=1
	s_delay_alu instid0(SALU_CYCLE_1) | instskip(NEXT) | instid1(VALU_DEP_1)
	s_or_b32 exec_lo, exec_lo, s3
	v_mul_f32_e32 v8, v160, v8
	s_delay_alu instid0(VALU_DEP_1) | instskip(NEXT) | instid1(VALU_DEP_1)
	v_and_b32_e32 v61, 0x7f800000, v8
	v_cmp_ne_u32_e64 s2, 0x7f800000, v61
                                        ; implicit-def: $vgpr61
	s_delay_alu instid0(VALU_DEP_1) | instskip(NEXT) | instid1(SALU_CYCLE_1)
	s_and_saveexec_b32 s3, s2
	s_xor_b32 s2, exec_lo, s3
; %bb.355:                              ;   in Loop: Header=BB422_10 Depth=1
	v_bfe_u32 v61, v8, 16, 1
	s_delay_alu instid0(VALU_DEP_1)
	v_add3_u32 v61, v8, v61, 0x7fff
                                        ; implicit-def: $vgpr8
; %bb.356:                              ;   in Loop: Header=BB422_10 Depth=1
	s_and_not1_saveexec_b32 s3, s2
; %bb.357:                              ;   in Loop: Header=BB422_10 Depth=1
	v_and_b32_e32 v61, 0xffff, v8
	v_or_b32_e32 v62, 0x10000, v8
	s_delay_alu instid0(VALU_DEP_2) | instskip(NEXT) | instid1(VALU_DEP_1)
	v_cmp_eq_u32_e64 s2, 0, v61
	v_cndmask_b32_e64 v61, v62, v8, s2
; %bb.358:                              ;   in Loop: Header=BB422_10 Depth=1
	s_or_b32 exec_lo, exec_lo, s3
	v_lshrrev_b16 v62, 8, v72
	v_mov_b32_e32 v8, 0
	s_mov_b32 s3, exec_lo
	s_delay_alu instid0(VALU_DEP_2)
	v_cmpx_ne_u16_e32 0, v62
	s_cbranch_execz .LBB422_366
; %bb.359:                              ;   in Loop: Header=BB422_10 Depth=1
	v_bfrev_b32_e32 v8, 1
	s_mov_b32 s19, exec_lo
	v_cmpx_ne_u16_e32 0x80, v62
	s_cbranch_execz .LBB422_365
; %bb.360:                              ;   in Loop: Header=BB422_10 Depth=1
	v_and_b32_e32 v62, 0xffff, v62
	v_mov_b32_e32 v8, 0x7f800001
	s_mov_b32 s20, exec_lo
	s_delay_alu instid0(VALU_DEP_2) | instskip(NEXT) | instid1(VALU_DEP_1)
	v_and_b32_e32 v63, 0x7f, v62
	v_cmpx_ne_u32_e32 0x7f, v63
	s_cbranch_execz .LBB422_364
; %bb.361:                              ;   in Loop: Header=BB422_10 Depth=1
	v_and_b32_e32 v8, 7, v62
	v_lshrrev_b32_e32 v62, 3, v63
	s_mov_b32 s21, exec_lo
	v_cmpx_gt_u32_e32 8, v63
; %bb.362:                              ;   in Loop: Header=BB422_10 Depth=1
	s_delay_alu instid0(VALU_DEP_3) | instskip(NEXT) | instid1(VALU_DEP_1)
	v_clz_i32_u32_e32 v62, v8
	v_min_u32_e32 v62, 32, v62
	s_delay_alu instid0(VALU_DEP_1) | instskip(SKIP_1) | instid1(VALU_DEP_2)
	v_subrev_nc_u32_e32 v63, 28, v62
	v_sub_nc_u32_e32 v62, 29, v62
	v_lshlrev_b64 v[73:74], v63, v[8:9]
	s_delay_alu instid0(VALU_DEP_1)
	v_and_b32_e32 v8, 7, v73
; %bb.363:                              ;   in Loop: Header=BB422_10 Depth=1
	s_or_b32 exec_lo, exec_lo, s21
	v_lshlrev_b32_e32 v63, 16, v72
	s_delay_alu instid0(VALU_DEP_2) | instskip(SKIP_1) | instid1(VALU_DEP_3)
	v_lshlrev_b32_e32 v8, 20, v8
	v_lshl_add_u32 v62, v62, 23, 0x3c000000
	v_and_b32_e32 v63, 0x80000000, v63
	s_delay_alu instid0(VALU_DEP_1)
	v_or3_b32 v8, v8, v63, v62
.LBB422_364:                            ;   in Loop: Header=BB422_10 Depth=1
	s_or_b32 exec_lo, exec_lo, s20
.LBB422_365:                            ;   in Loop: Header=BB422_10 Depth=1
	s_delay_alu instid0(SALU_CYCLE_1)
	s_or_b32 exec_lo, exec_lo, s19
.LBB422_366:                            ;   in Loop: Header=BB422_10 Depth=1
	s_delay_alu instid0(SALU_CYCLE_1) | instskip(NEXT) | instid1(VALU_DEP_1)
	s_or_b32 exec_lo, exec_lo, s3
	v_mul_f32_e32 v8, v160, v8
	s_delay_alu instid0(VALU_DEP_1) | instskip(NEXT) | instid1(VALU_DEP_1)
	v_and_b32_e32 v62, 0x7f800000, v8
	v_cmp_ne_u32_e64 s2, 0x7f800000, v62
                                        ; implicit-def: $vgpr62
	s_delay_alu instid0(VALU_DEP_1) | instskip(NEXT) | instid1(SALU_CYCLE_1)
	s_and_saveexec_b32 s3, s2
	s_xor_b32 s2, exec_lo, s3
; %bb.367:                              ;   in Loop: Header=BB422_10 Depth=1
	v_bfe_u32 v62, v8, 16, 1
	s_delay_alu instid0(VALU_DEP_1)
	v_add3_u32 v62, v8, v62, 0x7fff
                                        ; implicit-def: $vgpr8
; %bb.368:                              ;   in Loop: Header=BB422_10 Depth=1
	s_and_not1_saveexec_b32 s3, s2
; %bb.369:                              ;   in Loop: Header=BB422_10 Depth=1
	v_and_b32_e32 v62, 0xffff, v8
	v_or_b32_e32 v63, 0x10000, v8
	s_delay_alu instid0(VALU_DEP_2) | instskip(NEXT) | instid1(VALU_DEP_1)
	v_cmp_eq_u32_e64 s2, 0, v62
	v_cndmask_b32_e64 v62, v63, v8, s2
; %bb.370:                              ;   in Loop: Header=BB422_10 Depth=1
	s_or_b32 exec_lo, exec_lo, s3
	v_lshrrev_b32_e32 v63, 16, v72
	s_mov_b32 s3, exec_lo
	s_delay_alu instid0(VALU_DEP_1) | instskip(NEXT) | instid1(VALU_DEP_1)
	v_dual_mov_b32 v8, 0 :: v_dual_and_b32 v73, 0xff, v63
	v_cmpx_ne_u16_e32 0, v73
	s_cbranch_execz .LBB422_378
; %bb.371:                              ;   in Loop: Header=BB422_10 Depth=1
	v_bfrev_b32_e32 v8, 1
	s_mov_b32 s19, exec_lo
	v_cmpx_ne_u16_e32 0x80, v73
	s_cbranch_execz .LBB422_377
; %bb.372:                              ;   in Loop: Header=BB422_10 Depth=1
	v_bfe_u32 v74, v72, 16, 7
	v_mov_b32_e32 v8, 0x7f800001
	s_mov_b32 s20, exec_lo
	s_delay_alu instid0(VALU_DEP_2)
	v_cmpx_ne_u32_e32 0x7f, v74
	s_cbranch_execz .LBB422_376
; %bb.373:                              ;   in Loop: Header=BB422_10 Depth=1
	v_and_b32_e32 v8, 7, v63
	v_lshrrev_b32_e32 v73, 3, v74
	s_mov_b32 s21, exec_lo
	v_cmpx_gt_u32_e32 8, v74
; %bb.374:                              ;   in Loop: Header=BB422_10 Depth=1
	s_delay_alu instid0(VALU_DEP_3) | instskip(NEXT) | instid1(VALU_DEP_1)
	v_clz_i32_u32_e32 v73, v8
	v_min_u32_e32 v73, 32, v73
	s_delay_alu instid0(VALU_DEP_1) | instskip(SKIP_1) | instid1(VALU_DEP_2)
	v_subrev_nc_u32_e32 v74, 28, v73
	v_sub_nc_u32_e32 v73, 29, v73
	v_lshlrev_b64 v[74:75], v74, v[8:9]
	s_delay_alu instid0(VALU_DEP_1)
	v_and_b32_e32 v8, 7, v74
; %bb.375:                              ;   in Loop: Header=BB422_10 Depth=1
	s_or_b32 exec_lo, exec_lo, s21
	v_lshlrev_b32_e32 v63, 24, v63
	s_delay_alu instid0(VALU_DEP_2) | instskip(SKIP_1) | instid1(VALU_DEP_3)
	v_lshlrev_b32_e32 v8, 20, v8
	v_lshl_add_u32 v73, v73, 23, 0x3c000000
	v_and_b32_e32 v63, 0x80000000, v63
	s_delay_alu instid0(VALU_DEP_1)
	v_or3_b32 v8, v8, v63, v73
.LBB422_376:                            ;   in Loop: Header=BB422_10 Depth=1
	s_or_b32 exec_lo, exec_lo, s20
.LBB422_377:                            ;   in Loop: Header=BB422_10 Depth=1
	s_delay_alu instid0(SALU_CYCLE_1)
	s_or_b32 exec_lo, exec_lo, s19
.LBB422_378:                            ;   in Loop: Header=BB422_10 Depth=1
	s_delay_alu instid0(SALU_CYCLE_1) | instskip(NEXT) | instid1(VALU_DEP_1)
	s_or_b32 exec_lo, exec_lo, s3
	v_mul_f32_e32 v8, v160, v8
	s_delay_alu instid0(VALU_DEP_1) | instskip(NEXT) | instid1(VALU_DEP_1)
	v_and_b32_e32 v63, 0x7f800000, v8
	v_cmp_ne_u32_e64 s2, 0x7f800000, v63
                                        ; implicit-def: $vgpr63
	s_delay_alu instid0(VALU_DEP_1) | instskip(NEXT) | instid1(SALU_CYCLE_1)
	s_and_saveexec_b32 s3, s2
	s_xor_b32 s2, exec_lo, s3
; %bb.379:                              ;   in Loop: Header=BB422_10 Depth=1
	v_bfe_u32 v63, v8, 16, 1
	s_delay_alu instid0(VALU_DEP_1)
	v_add3_u32 v63, v8, v63, 0x7fff
                                        ; implicit-def: $vgpr8
; %bb.380:                              ;   in Loop: Header=BB422_10 Depth=1
	s_and_not1_saveexec_b32 s3, s2
; %bb.381:                              ;   in Loop: Header=BB422_10 Depth=1
	v_and_b32_e32 v63, 0xffff, v8
	v_or_b32_e32 v73, 0x10000, v8
	s_delay_alu instid0(VALU_DEP_2) | instskip(NEXT) | instid1(VALU_DEP_1)
	v_cmp_eq_u32_e64 s2, 0, v63
	v_cndmask_b32_e64 v63, v73, v8, s2
; %bb.382:                              ;   in Loop: Header=BB422_10 Depth=1
	s_or_b32 exec_lo, exec_lo, s3
	v_mov_b32_e32 v8, 0
	s_mov_b32 s3, exec_lo
	v_cmpx_lt_u32_e32 0xffffff, v72
	s_cbranch_execz .LBB422_390
; %bb.383:                              ;   in Loop: Header=BB422_10 Depth=1
	v_lshrrev_b32_e32 v73, 24, v72
	v_bfrev_b32_e32 v8, 1
	s_mov_b32 s19, exec_lo
	s_delay_alu instid0(VALU_DEP_2)
	v_cmpx_ne_u32_e32 0x80, v73
	s_cbranch_execz .LBB422_389
; %bb.384:                              ;   in Loop: Header=BB422_10 Depth=1
	v_bfe_u32 v74, v72, 24, 7
	v_mov_b32_e32 v8, 0x7f800001
	s_mov_b32 s20, exec_lo
	s_delay_alu instid0(VALU_DEP_2)
	v_cmpx_ne_u32_e32 0x7f, v74
	s_cbranch_execz .LBB422_388
; %bb.385:                              ;   in Loop: Header=BB422_10 Depth=1
	v_and_b32_e32 v8, 7, v73
	v_lshrrev_b32_e32 v72, 3, v74
	s_mov_b32 s21, exec_lo
	v_cmpx_gt_u32_e32 8, v74
; %bb.386:                              ;   in Loop: Header=BB422_10 Depth=1
	s_delay_alu instid0(VALU_DEP_3) | instskip(NEXT) | instid1(VALU_DEP_1)
	v_clz_i32_u32_e32 v72, v8
	v_min_u32_e32 v72, 32, v72
	s_delay_alu instid0(VALU_DEP_1) | instskip(SKIP_1) | instid1(VALU_DEP_2)
	v_subrev_nc_u32_e32 v74, 28, v72
	v_sub_nc_u32_e32 v72, 29, v72
	v_lshlrev_b64 v[74:75], v74, v[8:9]
	s_delay_alu instid0(VALU_DEP_1)
	v_and_b32_e32 v8, 7, v74
; %bb.387:                              ;   in Loop: Header=BB422_10 Depth=1
	s_or_b32 exec_lo, exec_lo, s21
	v_lshlrev_b32_e32 v73, 24, v73
	s_delay_alu instid0(VALU_DEP_2) | instskip(SKIP_1) | instid1(VALU_DEP_3)
	v_lshlrev_b32_e32 v8, 20, v8
	v_lshl_add_u32 v72, v72, 23, 0x3c000000
	v_and_b32_e32 v73, 0x80000000, v73
	s_delay_alu instid0(VALU_DEP_1)
	v_or3_b32 v8, v8, v73, v72
.LBB422_388:                            ;   in Loop: Header=BB422_10 Depth=1
	s_or_b32 exec_lo, exec_lo, s20
.LBB422_389:                            ;   in Loop: Header=BB422_10 Depth=1
	s_delay_alu instid0(SALU_CYCLE_1)
	s_or_b32 exec_lo, exec_lo, s19
.LBB422_390:                            ;   in Loop: Header=BB422_10 Depth=1
	s_delay_alu instid0(SALU_CYCLE_1) | instskip(NEXT) | instid1(VALU_DEP_1)
	s_or_b32 exec_lo, exec_lo, s3
	v_mul_f32_e32 v8, v160, v8
	s_delay_alu instid0(VALU_DEP_1) | instskip(NEXT) | instid1(VALU_DEP_1)
	v_and_b32_e32 v72, 0x7f800000, v8
	v_cmp_ne_u32_e64 s2, 0x7f800000, v72
                                        ; implicit-def: $vgpr72
	s_delay_alu instid0(VALU_DEP_1) | instskip(NEXT) | instid1(SALU_CYCLE_1)
	s_and_saveexec_b32 s3, s2
	s_xor_b32 s2, exec_lo, s3
; %bb.391:                              ;   in Loop: Header=BB422_10 Depth=1
	v_bfe_u32 v72, v8, 16, 1
	s_delay_alu instid0(VALU_DEP_1)
	v_add3_u32 v72, v8, v72, 0x7fff
                                        ; implicit-def: $vgpr8
; %bb.392:                              ;   in Loop: Header=BB422_10 Depth=1
	s_and_not1_saveexec_b32 s3, s2
; %bb.393:                              ;   in Loop: Header=BB422_10 Depth=1
	v_and_b32_e32 v72, 0xffff, v8
	v_or_b32_e32 v73, 0x10000, v8
	s_delay_alu instid0(VALU_DEP_2) | instskip(NEXT) | instid1(VALU_DEP_1)
	v_cmp_eq_u32_e64 s2, 0, v72
	v_cndmask_b32_e64 v72, v73, v8, s2
; %bb.394:                              ;   in Loop: Header=BB422_10 Depth=1
	s_or_b32 exec_lo, exec_lo, s3
	flat_load_b32 v75, v[28:29] offset:1024
	s_mov_b32 s3, exec_lo
	s_waitcnt vmcnt(0) lgkmcnt(0)
	v_dual_mov_b32 v8, 0 :: v_dual_and_b32 v73, 0xff, v75
	s_delay_alu instid0(VALU_DEP_1)
	v_cmpx_ne_u16_e32 0, v73
	s_cbranch_execz .LBB422_402
; %bb.395:                              ;   in Loop: Header=BB422_10 Depth=1
	v_bfrev_b32_e32 v8, 1
	s_mov_b32 s19, exec_lo
	v_cmpx_ne_u16_e32 0x80, v73
	s_cbranch_execz .LBB422_401
; %bb.396:                              ;   in Loop: Header=BB422_10 Depth=1
	v_and_b32_e32 v74, 0x7f, v75
	v_mov_b32_e32 v8, 0x7f800001
	s_mov_b32 s20, exec_lo
	s_delay_alu instid0(VALU_DEP_2)
	v_cmpx_ne_u32_e32 0x7f, v74
	s_cbranch_execz .LBB422_400
; %bb.397:                              ;   in Loop: Header=BB422_10 Depth=1
	v_and_b32_e32 v8, 7, v75
	v_lshrrev_b32_e32 v73, 3, v74
	s_mov_b32 s21, exec_lo
	v_cmpx_gt_u32_e32 8, v74
; %bb.398:                              ;   in Loop: Header=BB422_10 Depth=1
	s_delay_alu instid0(VALU_DEP_3) | instskip(NEXT) | instid1(VALU_DEP_1)
	v_clz_i32_u32_e32 v73, v8
	v_min_u32_e32 v73, 32, v73
	s_delay_alu instid0(VALU_DEP_1) | instskip(SKIP_1) | instid1(VALU_DEP_2)
	v_subrev_nc_u32_e32 v74, 28, v73
	v_sub_nc_u32_e32 v73, 29, v73
	v_lshlrev_b64 v[76:77], v74, v[8:9]
	s_delay_alu instid0(VALU_DEP_1)
	v_and_b32_e32 v8, 7, v76
; %bb.399:                              ;   in Loop: Header=BB422_10 Depth=1
	s_or_b32 exec_lo, exec_lo, s21
	v_lshlrev_b32_e32 v74, 24, v75
	s_delay_alu instid0(VALU_DEP_2) | instskip(SKIP_1) | instid1(VALU_DEP_3)
	v_lshlrev_b32_e32 v8, 20, v8
	v_lshl_add_u32 v73, v73, 23, 0x3c000000
	v_and_b32_e32 v74, 0x80000000, v74
	s_delay_alu instid0(VALU_DEP_1)
	v_or3_b32 v8, v8, v74, v73
.LBB422_400:                            ;   in Loop: Header=BB422_10 Depth=1
	s_or_b32 exec_lo, exec_lo, s20
.LBB422_401:                            ;   in Loop: Header=BB422_10 Depth=1
	s_delay_alu instid0(SALU_CYCLE_1)
	s_or_b32 exec_lo, exec_lo, s19
.LBB422_402:                            ;   in Loop: Header=BB422_10 Depth=1
	s_delay_alu instid0(SALU_CYCLE_1) | instskip(NEXT) | instid1(VALU_DEP_1)
	s_or_b32 exec_lo, exec_lo, s3
	v_mul_f32_e32 v8, v160, v8
	s_delay_alu instid0(VALU_DEP_1) | instskip(NEXT) | instid1(VALU_DEP_1)
	v_and_b32_e32 v73, 0x7f800000, v8
	v_cmp_ne_u32_e64 s2, 0x7f800000, v73
                                        ; implicit-def: $vgpr73
	s_delay_alu instid0(VALU_DEP_1) | instskip(NEXT) | instid1(SALU_CYCLE_1)
	s_and_saveexec_b32 s3, s2
	s_xor_b32 s2, exec_lo, s3
; %bb.403:                              ;   in Loop: Header=BB422_10 Depth=1
	v_bfe_u32 v73, v8, 16, 1
	s_delay_alu instid0(VALU_DEP_1)
	v_add3_u32 v73, v8, v73, 0x7fff
                                        ; implicit-def: $vgpr8
; %bb.404:                              ;   in Loop: Header=BB422_10 Depth=1
	s_and_not1_saveexec_b32 s3, s2
; %bb.405:                              ;   in Loop: Header=BB422_10 Depth=1
	v_and_b32_e32 v73, 0xffff, v8
	v_or_b32_e32 v74, 0x10000, v8
	s_delay_alu instid0(VALU_DEP_2) | instskip(NEXT) | instid1(VALU_DEP_1)
	v_cmp_eq_u32_e64 s2, 0, v73
	v_cndmask_b32_e64 v73, v74, v8, s2
; %bb.406:                              ;   in Loop: Header=BB422_10 Depth=1
	s_or_b32 exec_lo, exec_lo, s3
	v_lshrrev_b16 v74, 8, v75
	v_mov_b32_e32 v8, 0
	s_mov_b32 s3, exec_lo
	s_delay_alu instid0(VALU_DEP_2)
	v_cmpx_ne_u16_e32 0, v74
	s_cbranch_execz .LBB422_414
; %bb.407:                              ;   in Loop: Header=BB422_10 Depth=1
	v_bfrev_b32_e32 v8, 1
	s_mov_b32 s19, exec_lo
	v_cmpx_ne_u16_e32 0x80, v74
	s_cbranch_execz .LBB422_413
; %bb.408:                              ;   in Loop: Header=BB422_10 Depth=1
	v_and_b32_e32 v74, 0xffff, v74
	v_mov_b32_e32 v8, 0x7f800001
	s_mov_b32 s20, exec_lo
	s_delay_alu instid0(VALU_DEP_2) | instskip(NEXT) | instid1(VALU_DEP_1)
	v_and_b32_e32 v76, 0x7f, v74
	v_cmpx_ne_u32_e32 0x7f, v76
	s_cbranch_execz .LBB422_412
; %bb.409:                              ;   in Loop: Header=BB422_10 Depth=1
	v_and_b32_e32 v8, 7, v74
	v_lshrrev_b32_e32 v74, 3, v76
	s_mov_b32 s21, exec_lo
	v_cmpx_gt_u32_e32 8, v76
; %bb.410:                              ;   in Loop: Header=BB422_10 Depth=1
	s_delay_alu instid0(VALU_DEP_3) | instskip(NEXT) | instid1(VALU_DEP_1)
	v_clz_i32_u32_e32 v74, v8
	v_min_u32_e32 v74, 32, v74
	s_delay_alu instid0(VALU_DEP_1) | instskip(SKIP_1) | instid1(VALU_DEP_2)
	v_subrev_nc_u32_e32 v76, 28, v74
	v_sub_nc_u32_e32 v74, 29, v74
	v_lshlrev_b64 v[76:77], v76, v[8:9]
	s_delay_alu instid0(VALU_DEP_1)
	v_and_b32_e32 v8, 7, v76
; %bb.411:                              ;   in Loop: Header=BB422_10 Depth=1
	s_or_b32 exec_lo, exec_lo, s21
	v_lshlrev_b32_e32 v76, 16, v75
	s_delay_alu instid0(VALU_DEP_2) | instskip(SKIP_1) | instid1(VALU_DEP_3)
	v_lshlrev_b32_e32 v8, 20, v8
	v_lshl_add_u32 v74, v74, 23, 0x3c000000
	v_and_b32_e32 v76, 0x80000000, v76
	s_delay_alu instid0(VALU_DEP_1)
	v_or3_b32 v8, v8, v76, v74
.LBB422_412:                            ;   in Loop: Header=BB422_10 Depth=1
	s_or_b32 exec_lo, exec_lo, s20
.LBB422_413:                            ;   in Loop: Header=BB422_10 Depth=1
	s_delay_alu instid0(SALU_CYCLE_1)
	s_or_b32 exec_lo, exec_lo, s19
.LBB422_414:                            ;   in Loop: Header=BB422_10 Depth=1
	s_delay_alu instid0(SALU_CYCLE_1) | instskip(NEXT) | instid1(VALU_DEP_1)
	s_or_b32 exec_lo, exec_lo, s3
	v_mul_f32_e32 v8, v160, v8
	s_delay_alu instid0(VALU_DEP_1) | instskip(NEXT) | instid1(VALU_DEP_1)
	v_and_b32_e32 v74, 0x7f800000, v8
	v_cmp_ne_u32_e64 s2, 0x7f800000, v74
                                        ; implicit-def: $vgpr74
	s_delay_alu instid0(VALU_DEP_1) | instskip(NEXT) | instid1(SALU_CYCLE_1)
	s_and_saveexec_b32 s3, s2
	s_xor_b32 s2, exec_lo, s3
; %bb.415:                              ;   in Loop: Header=BB422_10 Depth=1
	v_bfe_u32 v74, v8, 16, 1
	s_delay_alu instid0(VALU_DEP_1)
	v_add3_u32 v74, v8, v74, 0x7fff
                                        ; implicit-def: $vgpr8
; %bb.416:                              ;   in Loop: Header=BB422_10 Depth=1
	s_and_not1_saveexec_b32 s3, s2
; %bb.417:                              ;   in Loop: Header=BB422_10 Depth=1
	v_and_b32_e32 v74, 0xffff, v8
	v_or_b32_e32 v76, 0x10000, v8
	s_delay_alu instid0(VALU_DEP_2) | instskip(NEXT) | instid1(VALU_DEP_1)
	v_cmp_eq_u32_e64 s2, 0, v74
	v_cndmask_b32_e64 v74, v76, v8, s2
; %bb.418:                              ;   in Loop: Header=BB422_10 Depth=1
	s_or_b32 exec_lo, exec_lo, s3
	v_lshrrev_b32_e32 v76, 16, v75
	s_mov_b32 s3, exec_lo
	s_delay_alu instid0(VALU_DEP_1) | instskip(NEXT) | instid1(VALU_DEP_1)
	v_dual_mov_b32 v8, 0 :: v_dual_and_b32 v77, 0xff, v76
	v_cmpx_ne_u16_e32 0, v77
	s_cbranch_execz .LBB422_426
; %bb.419:                              ;   in Loop: Header=BB422_10 Depth=1
	v_bfrev_b32_e32 v8, 1
	s_mov_b32 s19, exec_lo
	v_cmpx_ne_u16_e32 0x80, v77
	s_cbranch_execz .LBB422_425
; %bb.420:                              ;   in Loop: Header=BB422_10 Depth=1
	v_bfe_u32 v78, v75, 16, 7
	v_mov_b32_e32 v8, 0x7f800001
	s_mov_b32 s20, exec_lo
	s_delay_alu instid0(VALU_DEP_2)
	v_cmpx_ne_u32_e32 0x7f, v78
	s_cbranch_execz .LBB422_424
; %bb.421:                              ;   in Loop: Header=BB422_10 Depth=1
	v_and_b32_e32 v8, 7, v76
	v_lshrrev_b32_e32 v77, 3, v78
	s_mov_b32 s21, exec_lo
	v_cmpx_gt_u32_e32 8, v78
; %bb.422:                              ;   in Loop: Header=BB422_10 Depth=1
	s_delay_alu instid0(VALU_DEP_3) | instskip(NEXT) | instid1(VALU_DEP_1)
	v_clz_i32_u32_e32 v77, v8
	v_min_u32_e32 v77, 32, v77
	s_delay_alu instid0(VALU_DEP_1) | instskip(SKIP_1) | instid1(VALU_DEP_2)
	v_subrev_nc_u32_e32 v78, 28, v77
	v_sub_nc_u32_e32 v77, 29, v77
	v_lshlrev_b64 v[78:79], v78, v[8:9]
	s_delay_alu instid0(VALU_DEP_1)
	v_and_b32_e32 v8, 7, v78
; %bb.423:                              ;   in Loop: Header=BB422_10 Depth=1
	s_or_b32 exec_lo, exec_lo, s21
	v_lshlrev_b32_e32 v76, 24, v76
	s_delay_alu instid0(VALU_DEP_2) | instskip(SKIP_1) | instid1(VALU_DEP_3)
	v_lshlrev_b32_e32 v8, 20, v8
	v_lshl_add_u32 v77, v77, 23, 0x3c000000
	v_and_b32_e32 v76, 0x80000000, v76
	s_delay_alu instid0(VALU_DEP_1)
	v_or3_b32 v8, v8, v76, v77
.LBB422_424:                            ;   in Loop: Header=BB422_10 Depth=1
	s_or_b32 exec_lo, exec_lo, s20
.LBB422_425:                            ;   in Loop: Header=BB422_10 Depth=1
	s_delay_alu instid0(SALU_CYCLE_1)
	s_or_b32 exec_lo, exec_lo, s19
.LBB422_426:                            ;   in Loop: Header=BB422_10 Depth=1
	s_delay_alu instid0(SALU_CYCLE_1) | instskip(NEXT) | instid1(VALU_DEP_1)
	s_or_b32 exec_lo, exec_lo, s3
	v_mul_f32_e32 v8, v160, v8
	s_delay_alu instid0(VALU_DEP_1) | instskip(NEXT) | instid1(VALU_DEP_1)
	v_and_b32_e32 v76, 0x7f800000, v8
	v_cmp_ne_u32_e64 s2, 0x7f800000, v76
                                        ; implicit-def: $vgpr76
	s_delay_alu instid0(VALU_DEP_1) | instskip(NEXT) | instid1(SALU_CYCLE_1)
	s_and_saveexec_b32 s3, s2
	s_xor_b32 s2, exec_lo, s3
; %bb.427:                              ;   in Loop: Header=BB422_10 Depth=1
	v_bfe_u32 v76, v8, 16, 1
	s_delay_alu instid0(VALU_DEP_1)
	v_add3_u32 v76, v8, v76, 0x7fff
                                        ; implicit-def: $vgpr8
; %bb.428:                              ;   in Loop: Header=BB422_10 Depth=1
	s_and_not1_saveexec_b32 s3, s2
; %bb.429:                              ;   in Loop: Header=BB422_10 Depth=1
	v_and_b32_e32 v76, 0xffff, v8
	v_or_b32_e32 v77, 0x10000, v8
	s_delay_alu instid0(VALU_DEP_2) | instskip(NEXT) | instid1(VALU_DEP_1)
	v_cmp_eq_u32_e64 s2, 0, v76
	v_cndmask_b32_e64 v76, v77, v8, s2
; %bb.430:                              ;   in Loop: Header=BB422_10 Depth=1
	s_or_b32 exec_lo, exec_lo, s3
	v_mov_b32_e32 v8, 0
	s_mov_b32 s3, exec_lo
	v_cmpx_lt_u32_e32 0xffffff, v75
	s_cbranch_execz .LBB422_438
; %bb.431:                              ;   in Loop: Header=BB422_10 Depth=1
	v_lshrrev_b32_e32 v77, 24, v75
	v_bfrev_b32_e32 v8, 1
	s_mov_b32 s19, exec_lo
	s_delay_alu instid0(VALU_DEP_2)
	v_cmpx_ne_u32_e32 0x80, v77
	s_cbranch_execz .LBB422_437
; %bb.432:                              ;   in Loop: Header=BB422_10 Depth=1
	v_bfe_u32 v78, v75, 24, 7
	v_mov_b32_e32 v8, 0x7f800001
	s_mov_b32 s20, exec_lo
	s_delay_alu instid0(VALU_DEP_2)
	v_cmpx_ne_u32_e32 0x7f, v78
	s_cbranch_execz .LBB422_436
; %bb.433:                              ;   in Loop: Header=BB422_10 Depth=1
	v_and_b32_e32 v8, 7, v77
	v_lshrrev_b32_e32 v75, 3, v78
	s_mov_b32 s21, exec_lo
	v_cmpx_gt_u32_e32 8, v78
; %bb.434:                              ;   in Loop: Header=BB422_10 Depth=1
	s_delay_alu instid0(VALU_DEP_3) | instskip(NEXT) | instid1(VALU_DEP_1)
	v_clz_i32_u32_e32 v75, v8
	v_min_u32_e32 v75, 32, v75
	s_delay_alu instid0(VALU_DEP_1) | instskip(SKIP_1) | instid1(VALU_DEP_2)
	v_subrev_nc_u32_e32 v78, 28, v75
	v_sub_nc_u32_e32 v75, 29, v75
	v_lshlrev_b64 v[78:79], v78, v[8:9]
	s_delay_alu instid0(VALU_DEP_1)
	v_and_b32_e32 v8, 7, v78
; %bb.435:                              ;   in Loop: Header=BB422_10 Depth=1
	s_or_b32 exec_lo, exec_lo, s21
	v_lshlrev_b32_e32 v77, 24, v77
	s_delay_alu instid0(VALU_DEP_2) | instskip(SKIP_1) | instid1(VALU_DEP_3)
	v_lshlrev_b32_e32 v8, 20, v8
	v_lshl_add_u32 v75, v75, 23, 0x3c000000
	v_and_b32_e32 v77, 0x80000000, v77
	s_delay_alu instid0(VALU_DEP_1)
	v_or3_b32 v8, v8, v77, v75
.LBB422_436:                            ;   in Loop: Header=BB422_10 Depth=1
	s_or_b32 exec_lo, exec_lo, s20
.LBB422_437:                            ;   in Loop: Header=BB422_10 Depth=1
	s_delay_alu instid0(SALU_CYCLE_1)
	s_or_b32 exec_lo, exec_lo, s19
.LBB422_438:                            ;   in Loop: Header=BB422_10 Depth=1
	s_delay_alu instid0(SALU_CYCLE_1) | instskip(NEXT) | instid1(VALU_DEP_1)
	s_or_b32 exec_lo, exec_lo, s3
	v_mul_f32_e32 v8, v160, v8
	s_delay_alu instid0(VALU_DEP_1) | instskip(NEXT) | instid1(VALU_DEP_1)
	v_and_b32_e32 v75, 0x7f800000, v8
	v_cmp_ne_u32_e64 s2, 0x7f800000, v75
                                        ; implicit-def: $vgpr75
	s_delay_alu instid0(VALU_DEP_1) | instskip(NEXT) | instid1(SALU_CYCLE_1)
	s_and_saveexec_b32 s3, s2
	s_xor_b32 s2, exec_lo, s3
; %bb.439:                              ;   in Loop: Header=BB422_10 Depth=1
	v_bfe_u32 v75, v8, 16, 1
	s_delay_alu instid0(VALU_DEP_1)
	v_add3_u32 v75, v8, v75, 0x7fff
                                        ; implicit-def: $vgpr8
; %bb.440:                              ;   in Loop: Header=BB422_10 Depth=1
	s_and_not1_saveexec_b32 s3, s2
; %bb.441:                              ;   in Loop: Header=BB422_10 Depth=1
	v_and_b32_e32 v75, 0xffff, v8
	v_or_b32_e32 v77, 0x10000, v8
	s_delay_alu instid0(VALU_DEP_2) | instskip(NEXT) | instid1(VALU_DEP_1)
	v_cmp_eq_u32_e64 s2, 0, v75
	v_cndmask_b32_e64 v75, v77, v8, s2
; %bb.442:                              ;   in Loop: Header=BB422_10 Depth=1
	s_or_b32 exec_lo, exec_lo, s3
	flat_load_b32 v79, v[28:29] offset:1032
	s_mov_b32 s3, exec_lo
	s_waitcnt vmcnt(0) lgkmcnt(0)
	v_dual_mov_b32 v8, 0 :: v_dual_and_b32 v77, 0xff, v79
	s_delay_alu instid0(VALU_DEP_1)
	v_cmpx_ne_u16_e32 0, v77
	s_cbranch_execz .LBB422_450
; %bb.443:                              ;   in Loop: Header=BB422_10 Depth=1
	v_bfrev_b32_e32 v8, 1
	s_mov_b32 s19, exec_lo
	v_cmpx_ne_u16_e32 0x80, v77
	s_cbranch_execz .LBB422_449
; %bb.444:                              ;   in Loop: Header=BB422_10 Depth=1
	v_and_b32_e32 v78, 0x7f, v79
	v_mov_b32_e32 v8, 0x7f800001
	s_mov_b32 s20, exec_lo
	s_delay_alu instid0(VALU_DEP_2)
	v_cmpx_ne_u32_e32 0x7f, v78
	s_cbranch_execz .LBB422_448
; %bb.445:                              ;   in Loop: Header=BB422_10 Depth=1
	v_and_b32_e32 v8, 7, v79
	v_lshrrev_b32_e32 v77, 3, v78
	s_mov_b32 s21, exec_lo
	v_cmpx_gt_u32_e32 8, v78
; %bb.446:                              ;   in Loop: Header=BB422_10 Depth=1
	s_delay_alu instid0(VALU_DEP_3) | instskip(NEXT) | instid1(VALU_DEP_1)
	v_clz_i32_u32_e32 v77, v8
	v_min_u32_e32 v77, 32, v77
	s_delay_alu instid0(VALU_DEP_1) | instskip(SKIP_1) | instid1(VALU_DEP_2)
	v_subrev_nc_u32_e32 v78, 28, v77
	v_sub_nc_u32_e32 v77, 29, v77
	v_lshlrev_b64 v[88:89], v78, v[8:9]
	s_delay_alu instid0(VALU_DEP_1)
	v_and_b32_e32 v8, 7, v88
; %bb.447:                              ;   in Loop: Header=BB422_10 Depth=1
	s_or_b32 exec_lo, exec_lo, s21
	v_lshlrev_b32_e32 v78, 24, v79
	s_delay_alu instid0(VALU_DEP_2) | instskip(SKIP_1) | instid1(VALU_DEP_3)
	v_lshlrev_b32_e32 v8, 20, v8
	v_lshl_add_u32 v77, v77, 23, 0x3c000000
	v_and_b32_e32 v78, 0x80000000, v78
	s_delay_alu instid0(VALU_DEP_1)
	v_or3_b32 v8, v8, v78, v77
.LBB422_448:                            ;   in Loop: Header=BB422_10 Depth=1
	s_or_b32 exec_lo, exec_lo, s20
.LBB422_449:                            ;   in Loop: Header=BB422_10 Depth=1
	s_delay_alu instid0(SALU_CYCLE_1)
	s_or_b32 exec_lo, exec_lo, s19
.LBB422_450:                            ;   in Loop: Header=BB422_10 Depth=1
	s_delay_alu instid0(SALU_CYCLE_1) | instskip(NEXT) | instid1(VALU_DEP_1)
	s_or_b32 exec_lo, exec_lo, s3
	v_mul_f32_e32 v8, v160, v8
	s_delay_alu instid0(VALU_DEP_1) | instskip(NEXT) | instid1(VALU_DEP_1)
	v_and_b32_e32 v77, 0x7f800000, v8
	v_cmp_ne_u32_e64 s2, 0x7f800000, v77
                                        ; implicit-def: $vgpr77
	s_delay_alu instid0(VALU_DEP_1) | instskip(NEXT) | instid1(SALU_CYCLE_1)
	s_and_saveexec_b32 s3, s2
	s_xor_b32 s2, exec_lo, s3
; %bb.451:                              ;   in Loop: Header=BB422_10 Depth=1
	v_bfe_u32 v77, v8, 16, 1
	s_delay_alu instid0(VALU_DEP_1)
	v_add3_u32 v77, v8, v77, 0x7fff
                                        ; implicit-def: $vgpr8
; %bb.452:                              ;   in Loop: Header=BB422_10 Depth=1
	s_and_not1_saveexec_b32 s3, s2
; %bb.453:                              ;   in Loop: Header=BB422_10 Depth=1
	v_and_b32_e32 v77, 0xffff, v8
	v_or_b32_e32 v78, 0x10000, v8
	s_delay_alu instid0(VALU_DEP_2) | instskip(NEXT) | instid1(VALU_DEP_1)
	v_cmp_eq_u32_e64 s2, 0, v77
	v_cndmask_b32_e64 v77, v78, v8, s2
; %bb.454:                              ;   in Loop: Header=BB422_10 Depth=1
	s_or_b32 exec_lo, exec_lo, s3
	v_lshrrev_b16 v78, 8, v79
	v_mov_b32_e32 v8, 0
	s_mov_b32 s3, exec_lo
	s_delay_alu instid0(VALU_DEP_2)
	v_cmpx_ne_u16_e32 0, v78
	s_cbranch_execz .LBB422_462
; %bb.455:                              ;   in Loop: Header=BB422_10 Depth=1
	v_bfrev_b32_e32 v8, 1
	s_mov_b32 s19, exec_lo
	v_cmpx_ne_u16_e32 0x80, v78
	s_cbranch_execz .LBB422_461
; %bb.456:                              ;   in Loop: Header=BB422_10 Depth=1
	v_and_b32_e32 v78, 0xffff, v78
	v_mov_b32_e32 v8, 0x7f800001
	s_mov_b32 s20, exec_lo
	s_delay_alu instid0(VALU_DEP_2) | instskip(NEXT) | instid1(VALU_DEP_1)
	v_and_b32_e32 v88, 0x7f, v78
	v_cmpx_ne_u32_e32 0x7f, v88
	s_cbranch_execz .LBB422_460
; %bb.457:                              ;   in Loop: Header=BB422_10 Depth=1
	v_and_b32_e32 v8, 7, v78
	v_lshrrev_b32_e32 v78, 3, v88
	s_mov_b32 s21, exec_lo
	v_cmpx_gt_u32_e32 8, v88
; %bb.458:                              ;   in Loop: Header=BB422_10 Depth=1
	s_delay_alu instid0(VALU_DEP_3) | instskip(NEXT) | instid1(VALU_DEP_1)
	v_clz_i32_u32_e32 v78, v8
	v_min_u32_e32 v78, 32, v78
	s_delay_alu instid0(VALU_DEP_1) | instskip(SKIP_1) | instid1(VALU_DEP_2)
	v_subrev_nc_u32_e32 v88, 28, v78
	v_sub_nc_u32_e32 v78, 29, v78
	v_lshlrev_b64 v[88:89], v88, v[8:9]
	s_delay_alu instid0(VALU_DEP_1)
	v_and_b32_e32 v8, 7, v88
; %bb.459:                              ;   in Loop: Header=BB422_10 Depth=1
	s_or_b32 exec_lo, exec_lo, s21
	v_lshlrev_b32_e32 v88, 16, v79
	s_delay_alu instid0(VALU_DEP_2) | instskip(SKIP_1) | instid1(VALU_DEP_3)
	v_lshlrev_b32_e32 v8, 20, v8
	v_lshl_add_u32 v78, v78, 23, 0x3c000000
	v_and_b32_e32 v88, 0x80000000, v88
	s_delay_alu instid0(VALU_DEP_1)
	v_or3_b32 v8, v8, v88, v78
.LBB422_460:                            ;   in Loop: Header=BB422_10 Depth=1
	s_or_b32 exec_lo, exec_lo, s20
.LBB422_461:                            ;   in Loop: Header=BB422_10 Depth=1
	s_delay_alu instid0(SALU_CYCLE_1)
	s_or_b32 exec_lo, exec_lo, s19
.LBB422_462:                            ;   in Loop: Header=BB422_10 Depth=1
	s_delay_alu instid0(SALU_CYCLE_1) | instskip(NEXT) | instid1(VALU_DEP_1)
	s_or_b32 exec_lo, exec_lo, s3
	v_mul_f32_e32 v8, v160, v8
	s_delay_alu instid0(VALU_DEP_1) | instskip(NEXT) | instid1(VALU_DEP_1)
	v_and_b32_e32 v78, 0x7f800000, v8
	v_cmp_ne_u32_e64 s2, 0x7f800000, v78
                                        ; implicit-def: $vgpr78
	s_delay_alu instid0(VALU_DEP_1) | instskip(NEXT) | instid1(SALU_CYCLE_1)
	s_and_saveexec_b32 s3, s2
	s_xor_b32 s2, exec_lo, s3
; %bb.463:                              ;   in Loop: Header=BB422_10 Depth=1
	v_bfe_u32 v78, v8, 16, 1
	s_delay_alu instid0(VALU_DEP_1)
	v_add3_u32 v78, v8, v78, 0x7fff
                                        ; implicit-def: $vgpr8
; %bb.464:                              ;   in Loop: Header=BB422_10 Depth=1
	s_and_not1_saveexec_b32 s3, s2
; %bb.465:                              ;   in Loop: Header=BB422_10 Depth=1
	v_and_b32_e32 v78, 0xffff, v8
	v_or_b32_e32 v88, 0x10000, v8
	s_delay_alu instid0(VALU_DEP_2) | instskip(NEXT) | instid1(VALU_DEP_1)
	v_cmp_eq_u32_e64 s2, 0, v78
	v_cndmask_b32_e64 v78, v88, v8, s2
; %bb.466:                              ;   in Loop: Header=BB422_10 Depth=1
	s_or_b32 exec_lo, exec_lo, s3
	v_lshrrev_b32_e32 v88, 16, v79
	s_mov_b32 s3, exec_lo
	s_delay_alu instid0(VALU_DEP_1) | instskip(NEXT) | instid1(VALU_DEP_1)
	v_dual_mov_b32 v8, 0 :: v_dual_and_b32 v89, 0xff, v88
	v_cmpx_ne_u16_e32 0, v89
	s_cbranch_execz .LBB422_474
; %bb.467:                              ;   in Loop: Header=BB422_10 Depth=1
	v_bfrev_b32_e32 v8, 1
	s_mov_b32 s19, exec_lo
	v_cmpx_ne_u16_e32 0x80, v89
	s_cbranch_execz .LBB422_473
; %bb.468:                              ;   in Loop: Header=BB422_10 Depth=1
	v_bfe_u32 v90, v79, 16, 7
	v_mov_b32_e32 v8, 0x7f800001
	s_mov_b32 s20, exec_lo
	s_delay_alu instid0(VALU_DEP_2)
	v_cmpx_ne_u32_e32 0x7f, v90
	s_cbranch_execz .LBB422_472
; %bb.469:                              ;   in Loop: Header=BB422_10 Depth=1
	v_and_b32_e32 v8, 7, v88
	v_lshrrev_b32_e32 v89, 3, v90
	s_mov_b32 s21, exec_lo
	v_cmpx_gt_u32_e32 8, v90
; %bb.470:                              ;   in Loop: Header=BB422_10 Depth=1
	s_delay_alu instid0(VALU_DEP_3) | instskip(NEXT) | instid1(VALU_DEP_1)
	v_clz_i32_u32_e32 v89, v8
	v_min_u32_e32 v89, 32, v89
	s_delay_alu instid0(VALU_DEP_1) | instskip(SKIP_1) | instid1(VALU_DEP_2)
	v_subrev_nc_u32_e32 v90, 28, v89
	v_sub_nc_u32_e32 v89, 29, v89
	v_lshlrev_b64 v[90:91], v90, v[8:9]
	s_delay_alu instid0(VALU_DEP_1)
	v_and_b32_e32 v8, 7, v90
; %bb.471:                              ;   in Loop: Header=BB422_10 Depth=1
	s_or_b32 exec_lo, exec_lo, s21
	v_lshlrev_b32_e32 v88, 24, v88
	s_delay_alu instid0(VALU_DEP_2) | instskip(SKIP_1) | instid1(VALU_DEP_3)
	v_lshlrev_b32_e32 v8, 20, v8
	v_lshl_add_u32 v89, v89, 23, 0x3c000000
	v_and_b32_e32 v88, 0x80000000, v88
	s_delay_alu instid0(VALU_DEP_1)
	v_or3_b32 v8, v8, v88, v89
.LBB422_472:                            ;   in Loop: Header=BB422_10 Depth=1
	s_or_b32 exec_lo, exec_lo, s20
.LBB422_473:                            ;   in Loop: Header=BB422_10 Depth=1
	s_delay_alu instid0(SALU_CYCLE_1)
	s_or_b32 exec_lo, exec_lo, s19
.LBB422_474:                            ;   in Loop: Header=BB422_10 Depth=1
	s_delay_alu instid0(SALU_CYCLE_1) | instskip(NEXT) | instid1(VALU_DEP_1)
	s_or_b32 exec_lo, exec_lo, s3
	v_mul_f32_e32 v8, v160, v8
	s_delay_alu instid0(VALU_DEP_1) | instskip(NEXT) | instid1(VALU_DEP_1)
	v_and_b32_e32 v88, 0x7f800000, v8
	v_cmp_ne_u32_e64 s2, 0x7f800000, v88
                                        ; implicit-def: $vgpr88
	s_delay_alu instid0(VALU_DEP_1) | instskip(NEXT) | instid1(SALU_CYCLE_1)
	s_and_saveexec_b32 s3, s2
	s_xor_b32 s2, exec_lo, s3
; %bb.475:                              ;   in Loop: Header=BB422_10 Depth=1
	v_bfe_u32 v88, v8, 16, 1
	s_delay_alu instid0(VALU_DEP_1)
	v_add3_u32 v88, v8, v88, 0x7fff
                                        ; implicit-def: $vgpr8
; %bb.476:                              ;   in Loop: Header=BB422_10 Depth=1
	s_and_not1_saveexec_b32 s3, s2
; %bb.477:                              ;   in Loop: Header=BB422_10 Depth=1
	v_and_b32_e32 v88, 0xffff, v8
	v_or_b32_e32 v89, 0x10000, v8
	s_delay_alu instid0(VALU_DEP_2) | instskip(NEXT) | instid1(VALU_DEP_1)
	v_cmp_eq_u32_e64 s2, 0, v88
	v_cndmask_b32_e64 v88, v89, v8, s2
; %bb.478:                              ;   in Loop: Header=BB422_10 Depth=1
	s_or_b32 exec_lo, exec_lo, s3
	v_mov_b32_e32 v8, 0
	s_mov_b32 s3, exec_lo
	v_cmpx_lt_u32_e32 0xffffff, v79
	s_cbranch_execz .LBB422_486
; %bb.479:                              ;   in Loop: Header=BB422_10 Depth=1
	v_lshrrev_b32_e32 v89, 24, v79
	v_bfrev_b32_e32 v8, 1
	s_mov_b32 s19, exec_lo
	s_delay_alu instid0(VALU_DEP_2)
	v_cmpx_ne_u32_e32 0x80, v89
	s_cbranch_execz .LBB422_485
; %bb.480:                              ;   in Loop: Header=BB422_10 Depth=1
	v_bfe_u32 v90, v79, 24, 7
	v_mov_b32_e32 v8, 0x7f800001
	s_mov_b32 s20, exec_lo
	s_delay_alu instid0(VALU_DEP_2)
	v_cmpx_ne_u32_e32 0x7f, v90
	s_cbranch_execz .LBB422_484
; %bb.481:                              ;   in Loop: Header=BB422_10 Depth=1
	v_and_b32_e32 v8, 7, v89
	v_lshrrev_b32_e32 v79, 3, v90
	s_mov_b32 s21, exec_lo
	v_cmpx_gt_u32_e32 8, v90
; %bb.482:                              ;   in Loop: Header=BB422_10 Depth=1
	s_delay_alu instid0(VALU_DEP_3) | instskip(NEXT) | instid1(VALU_DEP_1)
	v_clz_i32_u32_e32 v79, v8
	v_min_u32_e32 v79, 32, v79
	s_delay_alu instid0(VALU_DEP_1) | instskip(SKIP_1) | instid1(VALU_DEP_2)
	v_subrev_nc_u32_e32 v90, 28, v79
	v_sub_nc_u32_e32 v79, 29, v79
	v_lshlrev_b64 v[90:91], v90, v[8:9]
	s_delay_alu instid0(VALU_DEP_1)
	v_and_b32_e32 v8, 7, v90
; %bb.483:                              ;   in Loop: Header=BB422_10 Depth=1
	s_or_b32 exec_lo, exec_lo, s21
	v_lshlrev_b32_e32 v89, 24, v89
	s_delay_alu instid0(VALU_DEP_2) | instskip(SKIP_1) | instid1(VALU_DEP_3)
	v_lshlrev_b32_e32 v8, 20, v8
	v_lshl_add_u32 v79, v79, 23, 0x3c000000
	v_and_b32_e32 v89, 0x80000000, v89
	s_delay_alu instid0(VALU_DEP_1)
	v_or3_b32 v8, v8, v89, v79
.LBB422_484:                            ;   in Loop: Header=BB422_10 Depth=1
	s_or_b32 exec_lo, exec_lo, s20
.LBB422_485:                            ;   in Loop: Header=BB422_10 Depth=1
	s_delay_alu instid0(SALU_CYCLE_1)
	s_or_b32 exec_lo, exec_lo, s19
.LBB422_486:                            ;   in Loop: Header=BB422_10 Depth=1
	s_delay_alu instid0(SALU_CYCLE_1) | instskip(NEXT) | instid1(VALU_DEP_1)
	s_or_b32 exec_lo, exec_lo, s3
	v_mul_f32_e32 v8, v160, v8
	s_delay_alu instid0(VALU_DEP_1) | instskip(NEXT) | instid1(VALU_DEP_1)
	v_and_b32_e32 v79, 0x7f800000, v8
	v_cmp_ne_u32_e64 s2, 0x7f800000, v79
                                        ; implicit-def: $vgpr79
	s_delay_alu instid0(VALU_DEP_1) | instskip(NEXT) | instid1(SALU_CYCLE_1)
	s_and_saveexec_b32 s3, s2
	s_xor_b32 s2, exec_lo, s3
; %bb.487:                              ;   in Loop: Header=BB422_10 Depth=1
	v_bfe_u32 v79, v8, 16, 1
	s_delay_alu instid0(VALU_DEP_1)
	v_add3_u32 v79, v8, v79, 0x7fff
                                        ; implicit-def: $vgpr8
; %bb.488:                              ;   in Loop: Header=BB422_10 Depth=1
	s_and_not1_saveexec_b32 s3, s2
; %bb.489:                              ;   in Loop: Header=BB422_10 Depth=1
	v_and_b32_e32 v79, 0xffff, v8
	v_or_b32_e32 v89, 0x10000, v8
	s_delay_alu instid0(VALU_DEP_2) | instskip(NEXT) | instid1(VALU_DEP_1)
	v_cmp_eq_u32_e64 s2, 0, v79
	v_cndmask_b32_e64 v79, v89, v8, s2
; %bb.490:                              ;   in Loop: Header=BB422_10 Depth=1
	s_or_b32 exec_lo, exec_lo, s3
	flat_load_b32 v92, v[28:29] offset:1280
	s_mov_b32 s3, exec_lo
	s_waitcnt vmcnt(0) lgkmcnt(0)
	v_dual_mov_b32 v8, 0 :: v_dual_and_b32 v89, 0xff, v92
	s_delay_alu instid0(VALU_DEP_1)
	v_cmpx_ne_u16_e32 0, v89
	s_cbranch_execz .LBB422_498
; %bb.491:                              ;   in Loop: Header=BB422_10 Depth=1
	v_bfrev_b32_e32 v8, 1
	s_mov_b32 s19, exec_lo
	v_cmpx_ne_u16_e32 0x80, v89
	s_cbranch_execz .LBB422_497
; %bb.492:                              ;   in Loop: Header=BB422_10 Depth=1
	v_and_b32_e32 v90, 0x7f, v92
	v_mov_b32_e32 v8, 0x7f800001
	s_mov_b32 s20, exec_lo
	s_delay_alu instid0(VALU_DEP_2)
	v_cmpx_ne_u32_e32 0x7f, v90
	s_cbranch_execz .LBB422_496
; %bb.493:                              ;   in Loop: Header=BB422_10 Depth=1
	v_and_b32_e32 v8, 7, v92
	v_lshrrev_b32_e32 v89, 3, v90
	s_mov_b32 s21, exec_lo
	v_cmpx_gt_u32_e32 8, v90
; %bb.494:                              ;   in Loop: Header=BB422_10 Depth=1
	s_delay_alu instid0(VALU_DEP_3) | instskip(NEXT) | instid1(VALU_DEP_1)
	v_clz_i32_u32_e32 v89, v8
	v_min_u32_e32 v89, 32, v89
	s_delay_alu instid0(VALU_DEP_1) | instskip(SKIP_1) | instid1(VALU_DEP_2)
	v_subrev_nc_u32_e32 v90, 28, v89
	v_sub_nc_u32_e32 v89, 29, v89
	v_lshlrev_b64 v[90:91], v90, v[8:9]
	s_delay_alu instid0(VALU_DEP_1)
	v_and_b32_e32 v8, 7, v90
; %bb.495:                              ;   in Loop: Header=BB422_10 Depth=1
	s_or_b32 exec_lo, exec_lo, s21
	v_lshlrev_b32_e32 v90, 24, v92
	s_delay_alu instid0(VALU_DEP_2) | instskip(SKIP_1) | instid1(VALU_DEP_3)
	v_lshlrev_b32_e32 v8, 20, v8
	v_lshl_add_u32 v89, v89, 23, 0x3c000000
	v_and_b32_e32 v90, 0x80000000, v90
	s_delay_alu instid0(VALU_DEP_1)
	v_or3_b32 v8, v8, v90, v89
.LBB422_496:                            ;   in Loop: Header=BB422_10 Depth=1
	s_or_b32 exec_lo, exec_lo, s20
.LBB422_497:                            ;   in Loop: Header=BB422_10 Depth=1
	s_delay_alu instid0(SALU_CYCLE_1)
	s_or_b32 exec_lo, exec_lo, s19
.LBB422_498:                            ;   in Loop: Header=BB422_10 Depth=1
	s_delay_alu instid0(SALU_CYCLE_1) | instskip(NEXT) | instid1(VALU_DEP_1)
	s_or_b32 exec_lo, exec_lo, s3
	v_mul_f32_e32 v8, v160, v8
	s_delay_alu instid0(VALU_DEP_1) | instskip(NEXT) | instid1(VALU_DEP_1)
	v_and_b32_e32 v89, 0x7f800000, v8
	v_cmp_ne_u32_e64 s2, 0x7f800000, v89
                                        ; implicit-def: $vgpr89
	s_delay_alu instid0(VALU_DEP_1) | instskip(NEXT) | instid1(SALU_CYCLE_1)
	s_and_saveexec_b32 s3, s2
	s_xor_b32 s2, exec_lo, s3
; %bb.499:                              ;   in Loop: Header=BB422_10 Depth=1
	v_bfe_u32 v89, v8, 16, 1
	s_delay_alu instid0(VALU_DEP_1)
	v_add3_u32 v89, v8, v89, 0x7fff
                                        ; implicit-def: $vgpr8
; %bb.500:                              ;   in Loop: Header=BB422_10 Depth=1
	s_and_not1_saveexec_b32 s3, s2
; %bb.501:                              ;   in Loop: Header=BB422_10 Depth=1
	v_and_b32_e32 v89, 0xffff, v8
	v_or_b32_e32 v90, 0x10000, v8
	s_delay_alu instid0(VALU_DEP_2) | instskip(NEXT) | instid1(VALU_DEP_1)
	v_cmp_eq_u32_e64 s2, 0, v89
	v_cndmask_b32_e64 v89, v90, v8, s2
; %bb.502:                              ;   in Loop: Header=BB422_10 Depth=1
	s_or_b32 exec_lo, exec_lo, s3
	v_lshrrev_b16 v90, 8, v92
	v_mov_b32_e32 v8, 0
	s_mov_b32 s3, exec_lo
	s_delay_alu instid0(VALU_DEP_2)
	v_cmpx_ne_u16_e32 0, v90
	s_cbranch_execz .LBB422_510
; %bb.503:                              ;   in Loop: Header=BB422_10 Depth=1
	v_bfrev_b32_e32 v8, 1
	s_mov_b32 s19, exec_lo
	v_cmpx_ne_u16_e32 0x80, v90
	s_cbranch_execz .LBB422_509
; %bb.504:                              ;   in Loop: Header=BB422_10 Depth=1
	v_and_b32_e32 v90, 0xffff, v90
	v_mov_b32_e32 v8, 0x7f800001
	s_mov_b32 s20, exec_lo
	s_delay_alu instid0(VALU_DEP_2) | instskip(NEXT) | instid1(VALU_DEP_1)
	v_and_b32_e32 v91, 0x7f, v90
	v_cmpx_ne_u32_e32 0x7f, v91
	s_cbranch_execz .LBB422_508
; %bb.505:                              ;   in Loop: Header=BB422_10 Depth=1
	v_and_b32_e32 v8, 7, v90
	v_lshrrev_b32_e32 v90, 3, v91
	s_mov_b32 s21, exec_lo
	v_cmpx_gt_u32_e32 8, v91
; %bb.506:                              ;   in Loop: Header=BB422_10 Depth=1
	s_delay_alu instid0(VALU_DEP_3) | instskip(NEXT) | instid1(VALU_DEP_1)
	v_clz_i32_u32_e32 v90, v8
	v_min_u32_e32 v90, 32, v90
	s_delay_alu instid0(VALU_DEP_1) | instskip(SKIP_1) | instid1(VALU_DEP_2)
	v_subrev_nc_u32_e32 v91, 28, v90
	v_sub_nc_u32_e32 v90, 29, v90
	v_lshlrev_b64 v[93:94], v91, v[8:9]
	s_delay_alu instid0(VALU_DEP_1)
	v_and_b32_e32 v8, 7, v93
; %bb.507:                              ;   in Loop: Header=BB422_10 Depth=1
	s_or_b32 exec_lo, exec_lo, s21
	v_lshlrev_b32_e32 v91, 16, v92
	s_delay_alu instid0(VALU_DEP_2) | instskip(SKIP_1) | instid1(VALU_DEP_3)
	v_lshlrev_b32_e32 v8, 20, v8
	v_lshl_add_u32 v90, v90, 23, 0x3c000000
	v_and_b32_e32 v91, 0x80000000, v91
	s_delay_alu instid0(VALU_DEP_1)
	v_or3_b32 v8, v8, v91, v90
.LBB422_508:                            ;   in Loop: Header=BB422_10 Depth=1
	s_or_b32 exec_lo, exec_lo, s20
.LBB422_509:                            ;   in Loop: Header=BB422_10 Depth=1
	s_delay_alu instid0(SALU_CYCLE_1)
	s_or_b32 exec_lo, exec_lo, s19
.LBB422_510:                            ;   in Loop: Header=BB422_10 Depth=1
	s_delay_alu instid0(SALU_CYCLE_1) | instskip(NEXT) | instid1(VALU_DEP_1)
	s_or_b32 exec_lo, exec_lo, s3
	v_mul_f32_e32 v8, v160, v8
	s_delay_alu instid0(VALU_DEP_1) | instskip(NEXT) | instid1(VALU_DEP_1)
	v_and_b32_e32 v90, 0x7f800000, v8
	v_cmp_ne_u32_e64 s2, 0x7f800000, v90
                                        ; implicit-def: $vgpr90
	s_delay_alu instid0(VALU_DEP_1) | instskip(NEXT) | instid1(SALU_CYCLE_1)
	s_and_saveexec_b32 s3, s2
	s_xor_b32 s2, exec_lo, s3
; %bb.511:                              ;   in Loop: Header=BB422_10 Depth=1
	v_bfe_u32 v90, v8, 16, 1
	s_delay_alu instid0(VALU_DEP_1)
	v_add3_u32 v90, v8, v90, 0x7fff
                                        ; implicit-def: $vgpr8
; %bb.512:                              ;   in Loop: Header=BB422_10 Depth=1
	s_and_not1_saveexec_b32 s3, s2
; %bb.513:                              ;   in Loop: Header=BB422_10 Depth=1
	v_and_b32_e32 v90, 0xffff, v8
	v_or_b32_e32 v91, 0x10000, v8
	s_delay_alu instid0(VALU_DEP_2) | instskip(NEXT) | instid1(VALU_DEP_1)
	v_cmp_eq_u32_e64 s2, 0, v90
	v_cndmask_b32_e64 v90, v91, v8, s2
; %bb.514:                              ;   in Loop: Header=BB422_10 Depth=1
	s_or_b32 exec_lo, exec_lo, s3
	v_lshrrev_b32_e32 v91, 16, v92
	s_mov_b32 s3, exec_lo
	s_delay_alu instid0(VALU_DEP_1) | instskip(NEXT) | instid1(VALU_DEP_1)
	v_dual_mov_b32 v8, 0 :: v_dual_and_b32 v93, 0xff, v91
	v_cmpx_ne_u16_e32 0, v93
	s_cbranch_execz .LBB422_522
; %bb.515:                              ;   in Loop: Header=BB422_10 Depth=1
	v_bfrev_b32_e32 v8, 1
	s_mov_b32 s19, exec_lo
	v_cmpx_ne_u16_e32 0x80, v93
	s_cbranch_execz .LBB422_521
; %bb.516:                              ;   in Loop: Header=BB422_10 Depth=1
	v_bfe_u32 v94, v92, 16, 7
	v_mov_b32_e32 v8, 0x7f800001
	s_mov_b32 s20, exec_lo
	s_delay_alu instid0(VALU_DEP_2)
	v_cmpx_ne_u32_e32 0x7f, v94
	s_cbranch_execz .LBB422_520
; %bb.517:                              ;   in Loop: Header=BB422_10 Depth=1
	v_and_b32_e32 v8, 7, v91
	v_lshrrev_b32_e32 v93, 3, v94
	s_mov_b32 s21, exec_lo
	v_cmpx_gt_u32_e32 8, v94
; %bb.518:                              ;   in Loop: Header=BB422_10 Depth=1
	s_delay_alu instid0(VALU_DEP_3) | instskip(NEXT) | instid1(VALU_DEP_1)
	v_clz_i32_u32_e32 v93, v8
	v_min_u32_e32 v93, 32, v93
	s_delay_alu instid0(VALU_DEP_1) | instskip(SKIP_1) | instid1(VALU_DEP_2)
	v_subrev_nc_u32_e32 v94, 28, v93
	v_sub_nc_u32_e32 v93, 29, v93
	v_lshlrev_b64 v[94:95], v94, v[8:9]
	s_delay_alu instid0(VALU_DEP_1)
	v_and_b32_e32 v8, 7, v94
; %bb.519:                              ;   in Loop: Header=BB422_10 Depth=1
	s_or_b32 exec_lo, exec_lo, s21
	v_lshlrev_b32_e32 v91, 24, v91
	s_delay_alu instid0(VALU_DEP_2) | instskip(SKIP_1) | instid1(VALU_DEP_3)
	v_lshlrev_b32_e32 v8, 20, v8
	v_lshl_add_u32 v93, v93, 23, 0x3c000000
	v_and_b32_e32 v91, 0x80000000, v91
	s_delay_alu instid0(VALU_DEP_1)
	v_or3_b32 v8, v8, v91, v93
.LBB422_520:                            ;   in Loop: Header=BB422_10 Depth=1
	s_or_b32 exec_lo, exec_lo, s20
.LBB422_521:                            ;   in Loop: Header=BB422_10 Depth=1
	s_delay_alu instid0(SALU_CYCLE_1)
	s_or_b32 exec_lo, exec_lo, s19
.LBB422_522:                            ;   in Loop: Header=BB422_10 Depth=1
	s_delay_alu instid0(SALU_CYCLE_1) | instskip(NEXT) | instid1(VALU_DEP_1)
	s_or_b32 exec_lo, exec_lo, s3
	v_mul_f32_e32 v8, v160, v8
	s_delay_alu instid0(VALU_DEP_1) | instskip(NEXT) | instid1(VALU_DEP_1)
	v_and_b32_e32 v91, 0x7f800000, v8
	v_cmp_ne_u32_e64 s2, 0x7f800000, v91
                                        ; implicit-def: $vgpr91
	s_delay_alu instid0(VALU_DEP_1) | instskip(NEXT) | instid1(SALU_CYCLE_1)
	s_and_saveexec_b32 s3, s2
	s_xor_b32 s2, exec_lo, s3
; %bb.523:                              ;   in Loop: Header=BB422_10 Depth=1
	v_bfe_u32 v91, v8, 16, 1
	s_delay_alu instid0(VALU_DEP_1)
	v_add3_u32 v91, v8, v91, 0x7fff
                                        ; implicit-def: $vgpr8
; %bb.524:                              ;   in Loop: Header=BB422_10 Depth=1
	s_and_not1_saveexec_b32 s3, s2
; %bb.525:                              ;   in Loop: Header=BB422_10 Depth=1
	v_and_b32_e32 v91, 0xffff, v8
	v_or_b32_e32 v93, 0x10000, v8
	s_delay_alu instid0(VALU_DEP_2) | instskip(NEXT) | instid1(VALU_DEP_1)
	v_cmp_eq_u32_e64 s2, 0, v91
	v_cndmask_b32_e64 v91, v93, v8, s2
; %bb.526:                              ;   in Loop: Header=BB422_10 Depth=1
	s_or_b32 exec_lo, exec_lo, s3
	v_mov_b32_e32 v8, 0
	s_mov_b32 s3, exec_lo
	v_cmpx_lt_u32_e32 0xffffff, v92
	s_cbranch_execz .LBB422_534
; %bb.527:                              ;   in Loop: Header=BB422_10 Depth=1
	v_lshrrev_b32_e32 v93, 24, v92
	v_bfrev_b32_e32 v8, 1
	s_mov_b32 s19, exec_lo
	s_delay_alu instid0(VALU_DEP_2)
	v_cmpx_ne_u32_e32 0x80, v93
	s_cbranch_execz .LBB422_533
; %bb.528:                              ;   in Loop: Header=BB422_10 Depth=1
	v_bfe_u32 v94, v92, 24, 7
	v_mov_b32_e32 v8, 0x7f800001
	s_mov_b32 s20, exec_lo
	s_delay_alu instid0(VALU_DEP_2)
	v_cmpx_ne_u32_e32 0x7f, v94
	s_cbranch_execz .LBB422_532
; %bb.529:                              ;   in Loop: Header=BB422_10 Depth=1
	v_and_b32_e32 v8, 7, v93
	v_lshrrev_b32_e32 v92, 3, v94
	s_mov_b32 s21, exec_lo
	v_cmpx_gt_u32_e32 8, v94
; %bb.530:                              ;   in Loop: Header=BB422_10 Depth=1
	s_delay_alu instid0(VALU_DEP_3) | instskip(NEXT) | instid1(VALU_DEP_1)
	v_clz_i32_u32_e32 v92, v8
	v_min_u32_e32 v92, 32, v92
	s_delay_alu instid0(VALU_DEP_1) | instskip(SKIP_1) | instid1(VALU_DEP_2)
	v_subrev_nc_u32_e32 v94, 28, v92
	v_sub_nc_u32_e32 v92, 29, v92
	v_lshlrev_b64 v[94:95], v94, v[8:9]
	s_delay_alu instid0(VALU_DEP_1)
	v_and_b32_e32 v8, 7, v94
; %bb.531:                              ;   in Loop: Header=BB422_10 Depth=1
	s_or_b32 exec_lo, exec_lo, s21
	v_lshlrev_b32_e32 v93, 24, v93
	s_delay_alu instid0(VALU_DEP_2) | instskip(SKIP_1) | instid1(VALU_DEP_3)
	v_lshlrev_b32_e32 v8, 20, v8
	v_lshl_add_u32 v92, v92, 23, 0x3c000000
	v_and_b32_e32 v93, 0x80000000, v93
	s_delay_alu instid0(VALU_DEP_1)
	v_or3_b32 v8, v8, v93, v92
.LBB422_532:                            ;   in Loop: Header=BB422_10 Depth=1
	s_or_b32 exec_lo, exec_lo, s20
.LBB422_533:                            ;   in Loop: Header=BB422_10 Depth=1
	s_delay_alu instid0(SALU_CYCLE_1)
	s_or_b32 exec_lo, exec_lo, s19
.LBB422_534:                            ;   in Loop: Header=BB422_10 Depth=1
	s_delay_alu instid0(SALU_CYCLE_1) | instskip(NEXT) | instid1(VALU_DEP_1)
	s_or_b32 exec_lo, exec_lo, s3
	v_mul_f32_e32 v8, v160, v8
	s_delay_alu instid0(VALU_DEP_1) | instskip(NEXT) | instid1(VALU_DEP_1)
	v_and_b32_e32 v92, 0x7f800000, v8
	v_cmp_ne_u32_e64 s2, 0x7f800000, v92
                                        ; implicit-def: $vgpr92
	s_delay_alu instid0(VALU_DEP_1) | instskip(NEXT) | instid1(SALU_CYCLE_1)
	s_and_saveexec_b32 s3, s2
	s_xor_b32 s2, exec_lo, s3
; %bb.535:                              ;   in Loop: Header=BB422_10 Depth=1
	v_bfe_u32 v92, v8, 16, 1
	s_delay_alu instid0(VALU_DEP_1)
	v_add3_u32 v92, v8, v92, 0x7fff
                                        ; implicit-def: $vgpr8
; %bb.536:                              ;   in Loop: Header=BB422_10 Depth=1
	s_and_not1_saveexec_b32 s3, s2
; %bb.537:                              ;   in Loop: Header=BB422_10 Depth=1
	v_and_b32_e32 v92, 0xffff, v8
	v_or_b32_e32 v93, 0x10000, v8
	s_delay_alu instid0(VALU_DEP_2) | instskip(NEXT) | instid1(VALU_DEP_1)
	v_cmp_eq_u32_e64 s2, 0, v92
	v_cndmask_b32_e64 v92, v93, v8, s2
; %bb.538:                              ;   in Loop: Header=BB422_10 Depth=1
	s_or_b32 exec_lo, exec_lo, s3
	flat_load_b32 v29, v[28:29] offset:1288
	v_mov_b32_e32 v8, 0
	s_mov_b32 s3, exec_lo
	s_waitcnt vmcnt(0) lgkmcnt(0)
	v_and_b32_e32 v28, 0xff, v29
	s_delay_alu instid0(VALU_DEP_1)
	v_cmpx_ne_u16_e32 0, v28
	s_cbranch_execz .LBB422_546
; %bb.539:                              ;   in Loop: Header=BB422_10 Depth=1
	v_bfrev_b32_e32 v8, 1
	s_mov_b32 s19, exec_lo
	v_cmpx_ne_u16_e32 0x80, v28
	s_cbranch_execz .LBB422_545
; %bb.540:                              ;   in Loop: Header=BB422_10 Depth=1
	v_and_b32_e32 v93, 0x7f, v29
	v_mov_b32_e32 v8, 0x7f800001
	s_mov_b32 s20, exec_lo
	s_delay_alu instid0(VALU_DEP_2)
	v_cmpx_ne_u32_e32 0x7f, v93
	s_cbranch_execz .LBB422_544
; %bb.541:                              ;   in Loop: Header=BB422_10 Depth=1
	v_and_b32_e32 v8, 7, v29
	v_lshrrev_b32_e32 v28, 3, v93
	s_mov_b32 s21, exec_lo
	v_cmpx_gt_u32_e32 8, v93
; %bb.542:                              ;   in Loop: Header=BB422_10 Depth=1
	s_delay_alu instid0(VALU_DEP_3) | instskip(NEXT) | instid1(VALU_DEP_1)
	v_clz_i32_u32_e32 v28, v8
	v_min_u32_e32 v28, 32, v28
	s_delay_alu instid0(VALU_DEP_1) | instskip(SKIP_1) | instid1(VALU_DEP_2)
	v_subrev_nc_u32_e32 v93, 28, v28
	v_sub_nc_u32_e32 v28, 29, v28
	v_lshlrev_b64 v[93:94], v93, v[8:9]
	s_delay_alu instid0(VALU_DEP_1)
	v_and_b32_e32 v8, 7, v93
; %bb.543:                              ;   in Loop: Header=BB422_10 Depth=1
	s_or_b32 exec_lo, exec_lo, s21
	v_lshlrev_b32_e32 v93, 24, v29
	s_delay_alu instid0(VALU_DEP_2) | instskip(SKIP_1) | instid1(VALU_DEP_3)
	v_lshlrev_b32_e32 v8, 20, v8
	v_lshl_add_u32 v28, v28, 23, 0x3c000000
	v_and_b32_e32 v93, 0x80000000, v93
	s_delay_alu instid0(VALU_DEP_1)
	v_or3_b32 v8, v8, v93, v28
.LBB422_544:                            ;   in Loop: Header=BB422_10 Depth=1
	s_or_b32 exec_lo, exec_lo, s20
.LBB422_545:                            ;   in Loop: Header=BB422_10 Depth=1
	s_delay_alu instid0(SALU_CYCLE_1)
	s_or_b32 exec_lo, exec_lo, s19
.LBB422_546:                            ;   in Loop: Header=BB422_10 Depth=1
	s_delay_alu instid0(SALU_CYCLE_1) | instskip(NEXT) | instid1(VALU_DEP_1)
	s_or_b32 exec_lo, exec_lo, s3
	v_mul_f32_e32 v8, v160, v8
	s_delay_alu instid0(VALU_DEP_1) | instskip(NEXT) | instid1(VALU_DEP_1)
	v_and_b32_e32 v28, 0x7f800000, v8
	v_cmp_ne_u32_e64 s2, 0x7f800000, v28
                                        ; implicit-def: $vgpr28
	s_delay_alu instid0(VALU_DEP_1) | instskip(NEXT) | instid1(SALU_CYCLE_1)
	s_and_saveexec_b32 s3, s2
	s_xor_b32 s2, exec_lo, s3
; %bb.547:                              ;   in Loop: Header=BB422_10 Depth=1
	v_bfe_u32 v28, v8, 16, 1
	s_delay_alu instid0(VALU_DEP_1)
	v_add3_u32 v28, v8, v28, 0x7fff
                                        ; implicit-def: $vgpr8
; %bb.548:                              ;   in Loop: Header=BB422_10 Depth=1
	s_and_not1_saveexec_b32 s3, s2
; %bb.549:                              ;   in Loop: Header=BB422_10 Depth=1
	v_and_b32_e32 v28, 0xffff, v8
	v_or_b32_e32 v93, 0x10000, v8
	s_delay_alu instid0(VALU_DEP_2) | instskip(NEXT) | instid1(VALU_DEP_1)
	v_cmp_eq_u32_e64 s2, 0, v28
	v_cndmask_b32_e64 v28, v93, v8, s2
; %bb.550:                              ;   in Loop: Header=BB422_10 Depth=1
	s_or_b32 exec_lo, exec_lo, s3
	v_lshrrev_b16 v93, 8, v29
	v_mov_b32_e32 v8, 0
	s_mov_b32 s3, exec_lo
	s_delay_alu instid0(VALU_DEP_2)
	v_cmpx_ne_u16_e32 0, v93
	s_cbranch_execz .LBB422_558
; %bb.551:                              ;   in Loop: Header=BB422_10 Depth=1
	v_bfrev_b32_e32 v8, 1
	s_mov_b32 s19, exec_lo
	v_cmpx_ne_u16_e32 0x80, v93
	s_cbranch_execz .LBB422_557
; %bb.552:                              ;   in Loop: Header=BB422_10 Depth=1
	v_and_b32_e32 v93, 0xffff, v93
	v_mov_b32_e32 v8, 0x7f800001
	s_mov_b32 s20, exec_lo
	s_delay_alu instid0(VALU_DEP_2) | instskip(NEXT) | instid1(VALU_DEP_1)
	v_and_b32_e32 v94, 0x7f, v93
	v_cmpx_ne_u32_e32 0x7f, v94
	s_cbranch_execz .LBB422_556
; %bb.553:                              ;   in Loop: Header=BB422_10 Depth=1
	v_and_b32_e32 v8, 7, v93
	v_lshrrev_b32_e32 v93, 3, v94
	s_mov_b32 s21, exec_lo
	v_cmpx_gt_u32_e32 8, v94
; %bb.554:                              ;   in Loop: Header=BB422_10 Depth=1
	s_delay_alu instid0(VALU_DEP_3) | instskip(NEXT) | instid1(VALU_DEP_1)
	v_clz_i32_u32_e32 v93, v8
	v_min_u32_e32 v93, 32, v93
	s_delay_alu instid0(VALU_DEP_1) | instskip(SKIP_1) | instid1(VALU_DEP_2)
	v_subrev_nc_u32_e32 v94, 28, v93
	v_sub_nc_u32_e32 v93, 29, v93
	v_lshlrev_b64 v[94:95], v94, v[8:9]
	s_delay_alu instid0(VALU_DEP_1)
	v_and_b32_e32 v8, 7, v94
; %bb.555:                              ;   in Loop: Header=BB422_10 Depth=1
	s_or_b32 exec_lo, exec_lo, s21
	v_lshlrev_b32_e32 v94, 16, v29
	s_delay_alu instid0(VALU_DEP_2) | instskip(SKIP_1) | instid1(VALU_DEP_3)
	v_lshlrev_b32_e32 v8, 20, v8
	v_lshl_add_u32 v93, v93, 23, 0x3c000000
	v_and_b32_e32 v94, 0x80000000, v94
	s_delay_alu instid0(VALU_DEP_1)
	v_or3_b32 v8, v8, v94, v93
.LBB422_556:                            ;   in Loop: Header=BB422_10 Depth=1
	s_or_b32 exec_lo, exec_lo, s20
.LBB422_557:                            ;   in Loop: Header=BB422_10 Depth=1
	s_delay_alu instid0(SALU_CYCLE_1)
	s_or_b32 exec_lo, exec_lo, s19
.LBB422_558:                            ;   in Loop: Header=BB422_10 Depth=1
	s_delay_alu instid0(SALU_CYCLE_1) | instskip(NEXT) | instid1(VALU_DEP_1)
	s_or_b32 exec_lo, exec_lo, s3
	v_mul_f32_e32 v8, v160, v8
                                        ; implicit-def: $vgpr94
	s_delay_alu instid0(VALU_DEP_1) | instskip(NEXT) | instid1(VALU_DEP_1)
	v_and_b32_e32 v93, 0x7f800000, v8
	v_cmp_ne_u32_e64 s2, 0x7f800000, v93
	s_delay_alu instid0(VALU_DEP_1) | instskip(NEXT) | instid1(SALU_CYCLE_1)
	s_and_saveexec_b32 s3, s2
	s_xor_b32 s2, exec_lo, s3
; %bb.559:                              ;   in Loop: Header=BB422_10 Depth=1
	v_bfe_u32 v93, v8, 16, 1
	s_delay_alu instid0(VALU_DEP_1)
	v_add3_u32 v94, v8, v93, 0x7fff
                                        ; implicit-def: $vgpr8
; %bb.560:                              ;   in Loop: Header=BB422_10 Depth=1
	s_and_not1_saveexec_b32 s3, s2
; %bb.561:                              ;   in Loop: Header=BB422_10 Depth=1
	v_and_b32_e32 v93, 0xffff, v8
	v_or_b32_e32 v94, 0x10000, v8
	s_delay_alu instid0(VALU_DEP_2) | instskip(NEXT) | instid1(VALU_DEP_1)
	v_cmp_eq_u32_e64 s2, 0, v93
	v_cndmask_b32_e64 v94, v94, v8, s2
; %bb.562:                              ;   in Loop: Header=BB422_10 Depth=1
	s_or_b32 exec_lo, exec_lo, s3
	v_lshrrev_b32_e32 v93, 16, v29
	s_mov_b32 s3, exec_lo
	s_delay_alu instid0(VALU_DEP_1) | instskip(NEXT) | instid1(VALU_DEP_1)
	v_dual_mov_b32 v8, 0 :: v_dual_and_b32 v95, 0xff, v93
	v_cmpx_ne_u16_e32 0, v95
	s_cbranch_execz .LBB422_570
; %bb.563:                              ;   in Loop: Header=BB422_10 Depth=1
	v_bfrev_b32_e32 v8, 1
	s_mov_b32 s19, exec_lo
	v_cmpx_ne_u16_e32 0x80, v95
	s_cbranch_execz .LBB422_569
; %bb.564:                              ;   in Loop: Header=BB422_10 Depth=1
	v_bfe_u32 v104, v29, 16, 7
	v_mov_b32_e32 v8, 0x7f800001
	s_mov_b32 s20, exec_lo
	s_delay_alu instid0(VALU_DEP_2)
	v_cmpx_ne_u32_e32 0x7f, v104
	s_cbranch_execz .LBB422_568
; %bb.565:                              ;   in Loop: Header=BB422_10 Depth=1
	v_and_b32_e32 v8, 7, v93
	v_lshrrev_b32_e32 v95, 3, v104
	s_mov_b32 s21, exec_lo
	v_cmpx_gt_u32_e32 8, v104
; %bb.566:                              ;   in Loop: Header=BB422_10 Depth=1
	s_delay_alu instid0(VALU_DEP_3) | instskip(NEXT) | instid1(VALU_DEP_1)
	v_clz_i32_u32_e32 v95, v8
	v_min_u32_e32 v95, 32, v95
	s_delay_alu instid0(VALU_DEP_1) | instskip(SKIP_1) | instid1(VALU_DEP_2)
	v_subrev_nc_u32_e32 v104, 28, v95
	v_sub_nc_u32_e32 v95, 29, v95
	v_lshlrev_b64 v[104:105], v104, v[8:9]
	s_delay_alu instid0(VALU_DEP_1)
	v_and_b32_e32 v8, 7, v104
; %bb.567:                              ;   in Loop: Header=BB422_10 Depth=1
	s_or_b32 exec_lo, exec_lo, s21
	v_lshlrev_b32_e32 v93, 24, v93
	s_delay_alu instid0(VALU_DEP_2) | instskip(SKIP_1) | instid1(VALU_DEP_3)
	v_lshlrev_b32_e32 v8, 20, v8
	v_lshl_add_u32 v95, v95, 23, 0x3c000000
	v_and_b32_e32 v93, 0x80000000, v93
	s_delay_alu instid0(VALU_DEP_1)
	v_or3_b32 v8, v8, v93, v95
.LBB422_568:                            ;   in Loop: Header=BB422_10 Depth=1
	s_or_b32 exec_lo, exec_lo, s20
.LBB422_569:                            ;   in Loop: Header=BB422_10 Depth=1
	s_delay_alu instid0(SALU_CYCLE_1)
	s_or_b32 exec_lo, exec_lo, s19
.LBB422_570:                            ;   in Loop: Header=BB422_10 Depth=1
	s_delay_alu instid0(SALU_CYCLE_1) | instskip(NEXT) | instid1(VALU_DEP_1)
	s_or_b32 exec_lo, exec_lo, s3
	v_mul_f32_e32 v8, v160, v8
	s_delay_alu instid0(VALU_DEP_1) | instskip(NEXT) | instid1(VALU_DEP_1)
	v_and_b32_e32 v93, 0x7f800000, v8
	v_cmp_ne_u32_e64 s2, 0x7f800000, v93
                                        ; implicit-def: $vgpr93
	s_delay_alu instid0(VALU_DEP_1) | instskip(NEXT) | instid1(SALU_CYCLE_1)
	s_and_saveexec_b32 s3, s2
	s_xor_b32 s2, exec_lo, s3
; %bb.571:                              ;   in Loop: Header=BB422_10 Depth=1
	v_bfe_u32 v93, v8, 16, 1
	s_delay_alu instid0(VALU_DEP_1)
	v_add3_u32 v93, v8, v93, 0x7fff
                                        ; implicit-def: $vgpr8
; %bb.572:                              ;   in Loop: Header=BB422_10 Depth=1
	s_and_not1_saveexec_b32 s3, s2
; %bb.573:                              ;   in Loop: Header=BB422_10 Depth=1
	v_and_b32_e32 v93, 0xffff, v8
	v_or_b32_e32 v95, 0x10000, v8
	s_delay_alu instid0(VALU_DEP_2) | instskip(NEXT) | instid1(VALU_DEP_1)
	v_cmp_eq_u32_e64 s2, 0, v93
	v_cndmask_b32_e64 v93, v95, v8, s2
; %bb.574:                              ;   in Loop: Header=BB422_10 Depth=1
	s_or_b32 exec_lo, exec_lo, s3
	v_mov_b32_e32 v8, 0
	s_mov_b32 s3, exec_lo
	v_cmpx_lt_u32_e32 0xffffff, v29
	s_cbranch_execz .LBB422_582
; %bb.575:                              ;   in Loop: Header=BB422_10 Depth=1
	v_lshrrev_b32_e32 v95, 24, v29
	v_bfrev_b32_e32 v8, 1
	s_mov_b32 s19, exec_lo
	s_delay_alu instid0(VALU_DEP_2)
	v_cmpx_ne_u32_e32 0x80, v95
	s_cbranch_execz .LBB422_581
; %bb.576:                              ;   in Loop: Header=BB422_10 Depth=1
	v_bfe_u32 v104, v29, 24, 7
	v_mov_b32_e32 v8, 0x7f800001
	s_mov_b32 s20, exec_lo
	s_delay_alu instid0(VALU_DEP_2)
	v_cmpx_ne_u32_e32 0x7f, v104
	s_cbranch_execz .LBB422_580
; %bb.577:                              ;   in Loop: Header=BB422_10 Depth=1
	v_and_b32_e32 v8, 7, v95
	v_lshrrev_b32_e32 v29, 3, v104
	s_mov_b32 s21, exec_lo
	v_cmpx_gt_u32_e32 8, v104
; %bb.578:                              ;   in Loop: Header=BB422_10 Depth=1
	s_delay_alu instid0(VALU_DEP_3) | instskip(NEXT) | instid1(VALU_DEP_1)
	v_clz_i32_u32_e32 v29, v8
	v_min_u32_e32 v29, 32, v29
	s_delay_alu instid0(VALU_DEP_1) | instskip(SKIP_1) | instid1(VALU_DEP_2)
	v_subrev_nc_u32_e32 v104, 28, v29
	v_sub_nc_u32_e32 v29, 29, v29
	v_lshlrev_b64 v[104:105], v104, v[8:9]
	s_delay_alu instid0(VALU_DEP_1)
	v_and_b32_e32 v8, 7, v104
; %bb.579:                              ;   in Loop: Header=BB422_10 Depth=1
	s_or_b32 exec_lo, exec_lo, s21
	v_lshlrev_b32_e32 v95, 24, v95
	s_delay_alu instid0(VALU_DEP_2) | instskip(SKIP_1) | instid1(VALU_DEP_3)
	v_lshlrev_b32_e32 v8, 20, v8
	v_lshl_add_u32 v29, v29, 23, 0x3c000000
	v_and_b32_e32 v95, 0x80000000, v95
	s_delay_alu instid0(VALU_DEP_1)
	v_or3_b32 v8, v8, v95, v29
.LBB422_580:                            ;   in Loop: Header=BB422_10 Depth=1
	s_or_b32 exec_lo, exec_lo, s20
.LBB422_581:                            ;   in Loop: Header=BB422_10 Depth=1
	s_delay_alu instid0(SALU_CYCLE_1)
	s_or_b32 exec_lo, exec_lo, s19
.LBB422_582:                            ;   in Loop: Header=BB422_10 Depth=1
	s_delay_alu instid0(SALU_CYCLE_1) | instskip(NEXT) | instid1(VALU_DEP_1)
	s_or_b32 exec_lo, exec_lo, s3
	v_mul_f32_e32 v29, v160, v8
	s_delay_alu instid0(VALU_DEP_1) | instskip(NEXT) | instid1(VALU_DEP_1)
	v_and_b32_e32 v8, 0x7f800000, v29
	v_cmp_ne_u32_e64 s2, 0x7f800000, v8
                                        ; implicit-def: $vgpr8
	s_delay_alu instid0(VALU_DEP_1) | instskip(NEXT) | instid1(SALU_CYCLE_1)
	s_and_saveexec_b32 s3, s2
	s_xor_b32 s2, exec_lo, s3
; %bb.583:                              ;   in Loop: Header=BB422_10 Depth=1
	v_bfe_u32 v8, v29, 16, 1
	s_delay_alu instid0(VALU_DEP_1)
	v_add3_u32 v8, v29, v8, 0x7fff
                                        ; implicit-def: $vgpr29
; %bb.584:                              ;   in Loop: Header=BB422_10 Depth=1
	s_and_not1_saveexec_b32 s3, s2
; %bb.585:                              ;   in Loop: Header=BB422_10 Depth=1
	v_and_b32_e32 v8, 0xffff, v29
	v_or_b32_e32 v160, 0x10000, v29
	s_delay_alu instid0(VALU_DEP_2) | instskip(NEXT) | instid1(VALU_DEP_1)
	v_cmp_eq_u32_e64 s2, 0, v8
	v_cndmask_b32_e64 v8, v160, v29, s2
; %bb.586:                              ;   in Loop: Header=BB422_10 Depth=1
	s_or_b32 exec_lo, exec_lo, s3
	v_and_b32_e32 v165, 0xffff0000, v165
	v_and_b32_e32 v166, 0xffff0000, v166
	;; [unrolled: 1-line block ×5, first 2 shown]
	v_dual_mul_f32 v165, v54, v165 :: v_dual_and_b32 v162, 0xffff0000, v162
	v_mul_f32_e32 v166, v55, v166
	v_dual_mul_f32 v167, v64, v167 :: v_dual_and_b32 v176, 0xffff0000, v176
	v_and_b32_e32 v161, 0xffff0000, v161
	v_and_b32_e32 v160, 0xffff0000, v91
	;; [unrolled: 1-line block ×4, first 2 shown]
	v_dual_fmac_f32 v166, v51, v162 :: v_dual_and_b32 v89, 0xffff0000, v89
	v_and_b32_e32 v163, 0xffff0000, v163
	v_dual_fmac_f32 v165, v50, v161 :: v_dual_mul_f32 v162, v65, v176
	v_and_b32_e32 v161, 0xffff0000, v164
	s_delay_alu instid0(VALU_DEP_3) | instskip(SKIP_1) | instid1(VALU_DEP_3)
	v_dual_fmac_f32 v167, v52, v163 :: v_dual_and_b32 v88, 0xffff0000, v88
	v_and_b32_e32 v63, 0xffff0000, v63
	v_dual_fmac_f32 v162, v53, v161 :: v_dual_and_b32 v163, 0xffff0000, v180
	v_and_b32_e32 v61, 0xffff0000, v61
	v_and_b32_e32 v161, 0xffff0000, v40
	;; [unrolled: 1-line block ×4, first 2 shown]
	v_fmac_f32_e32 v162, v69, v163
	v_and_b32_e32 v47, 0xffff0000, v47
	v_and_b32_e32 v163, 0xffff0000, v44
	v_dual_fmac_f32 v165, v66, v177 :: v_dual_and_b32 v8, 0xffff0000, v8
	s_delay_alu instid0(VALU_DEP_4) | instskip(SKIP_1) | instid1(VALU_DEP_2)
	v_fmac_f32_e32 v162, v81, v161
	v_and_b32_e32 v45, 0xffff0000, v45
	v_dual_fmac_f32 v162, v85, v163 :: v_dual_and_b32 v161, 0xffff0000, v56
	v_and_b32_e32 v183, 0xffff0000, v183
	s_delay_alu instid0(VALU_DEP_2) | instskip(SKIP_1) | instid1(VALU_DEP_2)
	v_dual_fmac_f32 v162, v97, v161 :: v_dual_and_b32 v163, 0xffff0000, v60
	v_and_b32_e32 v181, 0xffff0000, v181
	v_dual_fmac_f32 v162, v101, v163 :: v_dual_and_b32 v161, 0xffff0000, v72
	s_delay_alu instid0(VALU_DEP_2) | instskip(SKIP_2) | instid1(VALU_DEP_4)
	v_dual_fmac_f32 v165, v70, v181 :: v_dual_and_b32 v74, 0xffff0000, v74
	v_and_b32_e32 v179, 0xffff0000, v179
	v_and_b32_e32 v76, 0xffff0000, v76
	v_dual_fmac_f32 v162, v113, v161 :: v_dual_and_b32 v163, 0xffff0000, v75
	v_and_b32_e32 v161, 0xffff0000, v79
	s_delay_alu instid0(VALU_DEP_4) | instskip(NEXT) | instid1(VALU_DEP_3)
	v_dual_fmac_f32 v167, v68, v179 :: v_dual_and_b32 v62, 0xffff0000, v62
	v_dual_fmac_f32 v162, v117, v163 :: v_dual_and_b32 v163, 0xffff0000, v93
	s_delay_alu instid0(VALU_DEP_2) | instskip(SKIP_2) | instid1(VALU_DEP_4)
	v_fmac_f32_e32 v167, v80, v183
	v_and_b32_e32 v41, 0xffff0000, v41
	v_and_b32_e32 v58, 0xffff0000, v58
	v_fmac_f32_e32 v162, v129, v161
	s_delay_alu instid0(VALU_DEP_3) | instskip(SKIP_3) | instid1(VALU_DEP_4)
	v_fmac_f32_e32 v165, v82, v41
	v_and_b32_e32 v43, 0xffff0000, v43
	v_and_b32_e32 v42, 0xffff0000, v42
	;; [unrolled: 1-line block ×3, first 2 shown]
	v_dual_fmac_f32 v162, v133, v91 :: v_dual_fmac_f32 v165, v86, v45
	s_delay_alu instid0(VALU_DEP_4) | instskip(SKIP_2) | instid1(VALU_DEP_3)
	v_dual_fmac_f32 v167, v84, v43 :: v_dual_and_b32 v178, 0xffff0000, v178
	v_and_b32_e32 v77, 0xffff0000, v77
	v_and_b32_e32 v182, 0xffff0000, v182
	v_dual_fmac_f32 v162, v146, v8 :: v_dual_fmac_f32 v167, v96, v47
	s_delay_alu instid0(VALU_DEP_4) | instskip(NEXT) | instid1(VALU_DEP_1)
	v_dual_fmac_f32 v166, v67, v178 :: v_dual_and_b32 v73, 0xffff0000, v73
	v_dual_fmac_f32 v166, v71, v182 :: v_dual_and_b32 v59, 0xffff0000, v59
	s_delay_alu instid0(VALU_DEP_1) | instskip(NEXT) | instid1(VALU_DEP_1)
	v_dual_fmac_f32 v166, v83, v42 :: v_dual_and_b32 v57, 0xffff0000, v57
	v_dual_fmac_f32 v167, v100, v59 :: v_dual_fmac_f32 v166, v87, v46
	s_delay_alu instid0(VALU_DEP_2) | instskip(NEXT) | instid1(VALU_DEP_2)
	v_fmac_f32_e32 v165, v98, v57
	v_dual_fmac_f32 v167, v112, v63 :: v_dual_fmac_f32 v166, v99, v58
	s_delay_alu instid0(VALU_DEP_2) | instskip(NEXT) | instid1(VALU_DEP_2)
	v_fmac_f32_e32 v165, v102, v61
	;; [unrolled: 3-line block ×5, first 2 shown]
	v_dual_fmac_f32 v167, v144, v163 :: v_dual_fmac_f32 v166, v131, v90
	s_delay_alu instid0(VALU_DEP_1) | instskip(NEXT) | instid1(VALU_DEP_1)
	v_dual_fmac_f32 v165, v134, v28 :: v_dual_fmac_f32 v166, v135, v29
	v_add_f32_e32 v28, v165, v166
	s_delay_alu instid0(VALU_DEP_1) | instskip(NEXT) | instid1(VALU_DEP_1)
	v_add_f32_e32 v8, v28, v167
	v_add_f32_e32 v8, v162, v8
	ds_bpermute_b32 v28, v147, v8
	s_and_saveexec_b32 s3, vcc_lo
	s_cbranch_execz .LBB422_9
; %bb.587:                              ;   in Loop: Header=BB422_10 Depth=1
	v_add_nc_u32_e32 v29, v148, v149
	s_load_b32 s19, s[8:9], 0x0
	s_waitcnt lgkmcnt(0)
	v_add_f32_e32 v8, v8, v28
	v_cmp_lt_i32_e64 s2, v149, v32
	v_cvt_f32_i32_e32 v29, v29
	s_delay_alu instid0(VALU_DEP_1) | instskip(NEXT) | instid1(VALU_DEP_1)
	v_mul_f32_e32 v29, v48, v29
	v_cndmask_b32_e64 v28, 0, v29, s1
	v_max_f32_e32 v29, v145, v145
	s_delay_alu instid0(VALU_DEP_2) | instskip(NEXT) | instid1(VALU_DEP_1)
	v_fmac_f32_e32 v28, v8, v13
	v_dual_max_f32 v8, v29, v28 :: v_dual_add_nc_u32 v29, s19, v150
	v_cndmask_b32_e64 v28, 0, v28, s2
	s_delay_alu instid0(VALU_DEP_2)
	v_cndmask_b32_e64 v145, v145, v8, s2
	ds_store_b32 v29, v28
	s_branch .LBB422_9
.LBB422_588:
	s_or_b32 exec_lo, exec_lo, s11
.LBB422_589:
	s_delay_alu instid0(SALU_CYCLE_1)
	s_or_b32 exec_lo, exec_lo, s15
	v_xor_b32_e32 v8, 16, v39
	v_xor_b32_e32 v9, 8, v39
	s_waitcnt lgkmcnt(0)
	s_lshr_b32 s8, s18, 16
	v_dual_max_f32 v13, v145, v145 :: v_dual_and_b32 v18, 31, v31
	v_cmp_lt_i32_e32 vcc_lo, v8, v49
	v_lshlrev_b32_e32 v24, 2, v34
	v_cndmask_b32_e32 v8, v39, v8, vcc_lo
	v_cmp_lt_i32_e32 vcc_lo, v9, v49
	s_delay_alu instid0(VALU_DEP_2) | instskip(SKIP_3) | instid1(VALU_DEP_1)
	v_dual_cndmask_b32 v9, v39, v9 :: v_dual_lshlrev_b32 v20, 2, v8
	ds_bpermute_b32 v8, v20, v145
	s_waitcnt lgkmcnt(0)
	v_dual_max_f32 v8, v8, v8 :: v_dual_lshlrev_b32 v21, 2, v9
	v_max_f32_e32 v8, v13, v8
	v_xor_b32_e32 v13, 4, v39
	s_delay_alu instid0(VALU_DEP_1) | instskip(SKIP_4) | instid1(VALU_DEP_1)
	v_cmp_lt_i32_e32 vcc_lo, v13, v49
	v_cndmask_b32_e32 v13, v39, v13, vcc_lo
	ds_bpermute_b32 v9, v21, v8
	v_lshlrev_b32_e32 v23, 2, v13
	v_xor_b32_e32 v13, 2, v39
	v_cmp_lt_i32_e32 vcc_lo, v13, v49
	v_cndmask_b32_e32 v13, v39, v13, vcc_lo
	v_cmp_eq_u32_e32 vcc_lo, 0, v18
	s_waitcnt lgkmcnt(0)
	v_max_f32_e32 v9, v9, v9
	s_delay_alu instid0(VALU_DEP_3) | instskip(NEXT) | instid1(VALU_DEP_2)
	v_lshlrev_b32_e32 v13, 2, v13
	v_max_f32_e32 v8, v8, v9
	ds_bpermute_b32 v9, v23, v8
	s_waitcnt lgkmcnt(0)
	v_max_f32_e32 v9, v9, v9
	s_delay_alu instid0(VALU_DEP_1)
	v_max_f32_e32 v8, v8, v9
	ds_bpermute_b32 v9, v13, v8
	s_and_saveexec_b32 s1, vcc_lo
	s_cbranch_execz .LBB422_591
; %bb.590:
	s_waitcnt lgkmcnt(0)
	v_dual_max_f32 v9, v9, v9 :: v_dual_max_f32 v8, v8, v8
	s_delay_alu instid0(VALU_DEP_1)
	v_max_f32_e32 v8, v8, v9
	ds_store_b32 v24, v8 offset:192
.LBB422_591:
	s_or_b32 exec_lo, exec_lo, s1
	v_cmp_gt_u32_e64 s1, 4, v18
	v_dual_mov_b32 v8, 0xff7fffff :: v_dual_lshlrev_b32 v25, 2, v18
	s_waitcnt lgkmcnt(0)
	s_barrier
	buffer_gl0_inv
	s_and_saveexec_b32 s2, s1
	s_cbranch_execz .LBB422_593
; %bb.592:
	ds_load_b32 v8, v25 offset:192
.LBB422_593:
	s_or_b32 exec_lo, exec_lo, s2
	s_waitcnt lgkmcnt(0)
	ds_bpermute_b32 v9, v13, v8
	v_xor_b32_e32 v19, 1, v39
	v_max_f32_e32 v8, v8, v8
	v_subrev_nc_u32_e32 v29, s13, v35
	v_lshlrev_b32_e32 v28, 2, v39
	s_delay_alu instid0(VALU_DEP_4) | instskip(NEXT) | instid1(VALU_DEP_2)
	v_cmp_lt_i32_e64 s2, v19, v49
	v_and_b32_e32 v28, 0xffffff80, v28
	s_delay_alu instid0(VALU_DEP_2) | instskip(SKIP_2) | instid1(VALU_DEP_1)
	v_cndmask_b32_e64 v19, v39, v19, s2
	s_waitcnt lgkmcnt(0)
	v_max_f32_e32 v9, v9, v9
	v_dual_max_f32 v8, v8, v9 :: v_dual_lshlrev_b32 v19, 2, v19
	ds_bpermute_b32 v9, v19, v8
	s_waitcnt lgkmcnt(0)
	v_max_f32_e32 v9, v9, v9
	s_delay_alu instid0(VALU_DEP_1) | instskip(SKIP_4) | instid1(VALU_DEP_1)
	v_max_f32_e32 v8, v8, v9
	v_lshl_add_u32 v9, v29, 4, s17
	v_mov_b32_e32 v29, 0
	ds_bpermute_b32 v8, v28, v8
	v_min_i32_e32 v9, v9, v32
	v_subrev_nc_u32_e32 v9, s17, v9
	s_delay_alu instid0(VALU_DEP_1) | instskip(NEXT) | instid1(VALU_DEP_1)
	v_cmp_lt_i32_e64 s2, v31, v9
	s_and_saveexec_b32 s9, s2
	s_cbranch_execz .LBB422_597
; %bb.594:
	s_getpc_b64 s[18:19]
	s_add_u32 s18, s18, llvm.amdgcn.dynlds.offset.table@rel32@lo+4
	s_addc_u32 s19, s19, llvm.amdgcn.dynlds.offset.table@rel32@hi+12
	s_ashr_i32 s11, s10, 31
	v_dual_mov_b32 v29, 0 :: v_dual_mov_b32 v48, v31
	s_lshl_b64 s[20:21], s[10:11], 2
	s_mov_b32 s11, 0
	s_add_u32 s18, s20, s18
	s_addc_u32 s19, s21, s19
	s_load_b32 s3, s[18:19], 0x0
	s_waitcnt lgkmcnt(0)
	v_lshl_add_u32 v39, v31, 2, s3
	.p2align	6
.LBB422_595:                            ; =>This Inner Loop Header: Depth=1
	ds_load_b32 v49, v39
	s_waitcnt lgkmcnt(0)
	v_sub_f32_e32 v49, v49, v8
	s_delay_alu instid0(VALU_DEP_1) | instskip(NEXT) | instid1(VALU_DEP_1)
	v_mul_f32_e32 v49, 0x3fb8aa3b, v49
	v_exp_f32_e32 v49, v49
	s_waitcnt_depctr 0xfff
	v_dual_add_f32 v29, v29, v49 :: v_dual_add_nc_u32 v48, 0x80, v48
	s_delay_alu instid0(VALU_DEP_1) | instskip(SKIP_3) | instid1(SALU_CYCLE_1)
	v_cmp_ge_i32_e64 s3, v48, v9
	ds_store_b32 v39, v49
	v_add_nc_u32_e32 v39, 0x200, v39
	s_or_b32 s11, s3, s11
	s_and_not1_b32 exec_lo, exec_lo, s11
	s_cbranch_execnz .LBB422_595
; %bb.596:
	s_or_b32 exec_lo, exec_lo, s11
.LBB422_597:
	s_delay_alu instid0(SALU_CYCLE_1)
	s_or_b32 exec_lo, exec_lo, s9
	ds_bpermute_b32 v20, v20, v29
	s_waitcnt lgkmcnt(0)
	v_add_f32_e32 v20, v29, v20
	ds_bpermute_b32 v21, v21, v20
	s_waitcnt lgkmcnt(0)
	v_add_f32_e32 v20, v20, v21
	;; [unrolled: 3-line block ×5, first 2 shown]
	s_and_saveexec_b32 s3, vcc_lo
	s_cbranch_execz .LBB422_599
; %bb.598:
	ds_store_b32 v24, v20 offset:208
.LBB422_599:
	s_or_b32 exec_lo, exec_lo, s3
	s_waitcnt lgkmcnt(0)
	s_barrier
	buffer_gl0_inv
	s_and_saveexec_b32 s3, s1
	s_cbranch_execz .LBB422_601
; %bb.600:
	ds_load_b32 v20, v25 offset:208
.LBB422_601:
	s_or_b32 exec_lo, exec_lo, s3
	s_waitcnt lgkmcnt(0)
	ds_bpermute_b32 v13, v13, v20
	s_waitcnt lgkmcnt(0)
	v_add_f32_e32 v13, v20, v13
	ds_bpermute_b32 v20, v19, v13
	s_waitcnt lgkmcnt(0)
	v_add_f32_e32 v13, v13, v20
	ds_bpermute_b32 v13, v28, v13
	s_and_saveexec_b32 s1, s2
	s_cbranch_execz .LBB422_604
; %bb.602:
	s_waitcnt lgkmcnt(0)
	v_add_f32_e32 v21, 0x358637bd, v13
	s_getpc_b64 s[2:3]
	s_add_u32 s2, s2, llvm.amdgcn.dynlds.offset.table@rel32@lo+4
	s_addc_u32 s3, s3, llvm.amdgcn.dynlds.offset.table@rel32@hi+12
	s_ashr_i32 s11, s10, 31
	s_delay_alu instid0(SALU_CYCLE_1) | instskip(SKIP_3) | instid1(VALU_DEP_2)
	s_lshl_b64 s[18:19], s[10:11], 2
	v_div_scale_f32 v20, null, v21, v21, 1.0
	v_div_scale_f32 v25, vcc_lo, 1.0, v21, 1.0
	s_add_u32 s2, s18, s2
	v_rcp_f32_e32 v23, v20
	s_addc_u32 s3, s19, s3
	s_load_b32 s2, s[2:3], 0x0
	s_waitcnt_depctr 0xfff
	v_fma_f32 v24, -v20, v23, 1.0
	s_delay_alu instid0(VALU_DEP_1) | instskip(NEXT) | instid1(VALU_DEP_1)
	v_fmac_f32_e32 v23, v24, v23
	v_mul_f32_e32 v24, v25, v23
	s_delay_alu instid0(VALU_DEP_1) | instskip(NEXT) | instid1(VALU_DEP_1)
	v_fma_f32 v28, -v20, v24, v25
	v_fmac_f32_e32 v24, v28, v23
	s_delay_alu instid0(VALU_DEP_1) | instskip(NEXT) | instid1(VALU_DEP_1)
	v_fma_f32 v20, -v20, v24, v25
	v_div_fmas_f32 v23, v20, v23, v24
	s_waitcnt lgkmcnt(0)
	v_lshl_add_u32 v20, v31, 2, s2
	s_mov_b32 s2, 0
	s_delay_alu instid0(VALU_DEP_2)
	v_div_fixup_f32 v21, v23, v21, 1.0
	v_mov_b32_e32 v23, v31
.LBB422_603:                            ; =>This Inner Loop Header: Depth=1
	ds_load_b32 v24, v20
	s_waitcnt lgkmcnt(0)
	v_dual_mul_f32 v24, v21, v24 :: v_dual_add_nc_u32 v23, 0x80, v23
	s_delay_alu instid0(VALU_DEP_1) | instskip(SKIP_3) | instid1(SALU_CYCLE_1)
	v_cmp_ge_i32_e32 vcc_lo, v23, v9
	ds_store_b32 v20, v24
	v_add_nc_u32_e32 v20, 0x200, v20
	s_or_b32 s2, vcc_lo, s2
	s_and_not1_b32 exec_lo, exec_lo, s2
	s_cbranch_execnz .LBB422_603
.LBB422_604:
	s_or_b32 exec_lo, exec_lo, s1
	v_cmp_ne_u16_e64 s1, s8, 0
	s_mov_b32 s2, exec_lo
	s_waitcnt lgkmcnt(0)
	s_barrier
	buffer_gl0_inv
	s_cmp_lg_u32 s1, 0
	s_addc_u32 s1, s7, 0
	v_cmpx_eq_u32_e32 0, v31
	s_cbranch_execz .LBB422_606
; %bb.605:
	s_mul_i32 s3, s1, s4
	s_mul_i32 s8, s1, s12
	s_mul_i32 s12, s3, s16
	s_ashr_i32 s9, s8, 31
	s_ashr_i32 s15, s14, 31
	;; [unrolled: 1-line block ×3, first 2 shown]
	s_lshl_b64 s[8:9], s[8:9], 2
	s_lshl_b64 s[18:19], s[14:15], 2
	;; [unrolled: 1-line block ×3, first 2 shown]
	s_add_u32 s3, s18, s8
	s_addc_u32 s7, s19, s9
	s_add_u32 s3, s3, s12
	s_addc_u32 s7, s7, s13
	v_add_co_u32 v2, vcc_lo, s3, v2
	v_add_co_ci_u32_e32 v3, vcc_lo, s7, v3, vcc_lo
	v_add_co_u32 v0, vcc_lo, s3, v0
	v_add_co_ci_u32_e32 v1, vcc_lo, s7, v1, vcc_lo
	flat_store_b32 v[2:3], v8
	flat_store_b32 v[0:1], v13
.LBB422_606:
	s_or_b32 exec_lo, exec_lo, s2
                                        ; implicit-def: $sgpr2
	s_and_saveexec_b32 s3, s0
	s_delay_alu instid0(SALU_CYCLE_1)
	s_xor_b32 s0, exec_lo, s3
; %bb.607:
	s_ashr_i32 s11, s10, 31
	s_mov_b32 s2, 0
                                        ; implicit-def: $vgpr32
                                        ; implicit-def: $vgpr36
                                        ; implicit-def: $vgpr35
                                        ; implicit-def: $vgpr16
                                        ; implicit-def: $vgpr10
                                        ; implicit-def: $vgpr11
                                        ; implicit-def: $vgpr14
                                        ; implicit-def: $vgpr15
                                        ; implicit-def: $vgpr22
                                        ; implicit-def: $vgpr26_vgpr27
                                        ; implicit-def: $vgpr37
                                        ; implicit-def: $vgpr38
                                        ; implicit-def: $vgpr6_vgpr7
                                        ; implicit-def: $vgpr12
; %bb.608:
	s_or_saveexec_b32 s7, s0
	v_dual_mov_b32 v0, s10 :: v_dual_mov_b32 v21, s2
	v_dual_mov_b32 v20, s2 :: v_dual_mov_b32 v1, s11
	;; [unrolled: 1-line block ×4, first 2 shown]
	s_xor_b32 exec_lo, exec_lo, s7
	s_cbranch_execz .LBB422_1424
; %bb.609:
	flat_load_b32 v26, v[26:27]
	s_getpc_b64 s[2:3]
	s_add_u32 s2, s2, llvm.amdgcn.dynlds.offset.table@rel32@lo+4
	s_addc_u32 s3, s3, llvm.amdgcn.dynlds.offset.table@rel32@hi+12
	s_ashr_i32 s11, s10, 31
	v_add_co_u32 v3, vcc_lo, v10, v37
	s_lshl_b64 s[8:9], s[10:11], 2
	v_dual_mov_b32 v10, 0 :: v_dual_and_b32 v9, 0xf8, v12
	s_add_u32 s2, s8, s2
	s_addc_u32 s3, s9, s3
	v_add_co_ci_u32_e32 v8, vcc_lo, v11, v38, vcc_lo
	s_load_b32 s0, s[2:3], 0x0
	v_lshlrev_b64 v[0:1], 2, v[16:17]
	v_add_co_u32 v11, vcc_lo, v3, v9
	v_dual_mov_b32 v24, 0 :: v_dual_lshlrev_b32 v3, 5, v33
	v_dual_mov_b32 v25, 0 :: v_dual_and_b32 v2, 8, v12
	v_add_co_ci_u32_e32 v12, vcc_lo, 0, v8, vcc_lo
	v_add_co_u32 v0, vcc_lo, v6, v0
	v_add_co_ci_u32_e32 v1, vcc_lo, v7, v1, vcc_lo
	v_lshl_add_u32 v6, v34, 4, s17
	v_lshl_or_b32 v3, v34, 6, v3
	s_delay_alu instid0(VALU_DEP_4)
	v_add_co_u32 v13, vcc_lo, v14, v0
	v_dual_mov_b32 v28, 0 :: v_dual_add_nc_u32 v27, -1, v36
	v_add_co_ci_u32_e32 v14, vcc_lo, v15, v1, vcc_lo
	v_add3_u32 v15, v6, v2, 7
	s_waitcnt lgkmcnt(0)
	v_dual_mov_b32 v20, 0 :: v_dual_add_nc_u32 v17, s0, v3
	v_mov_b32_e32 v23, 0
	v_mov_b32_e32 v21, 0
	s_mov_b32 s2, -1
	s_mov_b32 s3, 0xffffff
	s_mov_b32 s8, 0
	s_branch .LBB422_611
.LBB422_610:                            ;   in Loop: Header=BB422_611 Depth=1
	s_or_b32 exec_lo, exec_lo, s0
	v_and_b32_e32 v37, 0xffff0000, v37
	v_and_b32_e32 v29, 0xffff0000, v29
	v_and_b32_e32 v39, 0xffff0000, v39
	v_and_b32_e32 v38, 0xffff0000, v38
	v_and_b32_e32 v36, 0xffff0000, v36
	v_and_b32_e32 v8, 0xffff0000, v8
	v_and_b32_e32 v9, 0xffff0000, v9
	v_and_b32_e32 v1, 0xffff0000, v1
	v_and_b32_e32 v0, 0xffff0000, v0
	v_and_b32_e32 v2, 0xffff0000, v2
	v_add_f32_e32 v8, v8, v29
	v_dual_add_f32 v29, v36, v37 :: v_dual_and_b32 v36, 0xffff0000, v48
	v_and_b32_e32 v54, 0xffff0000, v115
	v_dual_add_f32 v0, v0, v1 :: v_dual_and_b32 v7, 0xffff0000, v7
	s_delay_alu instid0(VALU_DEP_3) | instskip(SKIP_4) | instid1(VALU_DEP_4)
	v_add_f32_e32 v8, v8, v29
	v_and_b32_e32 v29, 0xffff0000, v49
	v_and_b32_e32 v49, 0xffff0000, v85
	v_add_f32_e32 v1, v2, v9
	v_and_b32_e32 v51, 0xffff0000, v51
	v_dual_add_f32 v29, v36, v29 :: v_dual_and_b32 v2, 0xffff0000, v50
	v_add_f32_e32 v37, v38, v39
	v_and_b32_e32 v39, 0xffff0000, v82
	v_and_b32_e32 v36, 0xffff0000, v86
	;; [unrolled: 1-line block ×3, first 2 shown]
	v_add_nc_u32_e32 v16, 4, v16
	v_dual_add_f32 v8, v8, v37 :: v_dual_and_b32 v37, 0xffff0000, v83
	v_add_co_u32 v13, s0, v13, 16
	s_delay_alu instid0(VALU_DEP_3) | instskip(NEXT) | instid1(VALU_DEP_3)
	v_cmp_ge_i32_e32 vcc_lo, v16, v35
	v_dual_add_f32 v8, v8, v29 :: v_dual_add_f32 v29, v49, v36
	v_and_b32_e32 v38, 0xffff0000, v84
	v_and_b32_e32 v48, 0xffff0000, v81
	v_add_co_ci_u32_e64 v14, s0, 0, v14, s0
	s_delay_alu instid0(VALU_DEP_3) | instskip(NEXT) | instid1(VALU_DEP_3)
	v_dual_add_f32 v28, v28, v8 :: v_dual_add_f32 v37, v37, v38
	v_add_f32_e32 v39, v48, v39
	v_and_b32_e32 v48, 0xffff0000, v99
	v_add_nc_u32_e32 v15, 64, v15
	v_add_nc_u32_e32 v17, 0x100, v17
	s_or_b32 s8, vcc_lo, s8
	v_dual_add_f32 v36, v39, v37 :: v_dual_and_b32 v37, 0xffff0000, v96
	v_dual_add_f32 v0, v0, v1 :: v_dual_add_f32 v1, v2, v51
	s_delay_alu instid0(VALU_DEP_2) | instskip(SKIP_2) | instid1(VALU_DEP_3)
	v_dual_add_f32 v29, v36, v29 :: v_dual_and_b32 v2, 0xffff0000, v3
	v_and_b32_e32 v49, 0xffff0000, v101
	v_and_b32_e32 v8, 0xffff0000, v87
	v_dual_add_f32 v0, v0, v1 :: v_dual_add_f32 v1, v9, v2
	s_delay_alu instid0(VALU_DEP_2) | instskip(NEXT) | instid1(VALU_DEP_2)
	v_dual_add_f32 v8, v8, v37 :: v_dual_and_b32 v37, 0xffff0000, v102
	v_add_f32_e32 v0, v0, v1
	s_delay_alu instid0(VALU_DEP_2) | instskip(NEXT) | instid1(VALU_DEP_3)
	v_add_f32_e32 v8, v29, v8
	v_dual_add_f32 v37, v49, v37 :: v_dual_and_b32 v64, 0xffff0000, v134
	v_and_b32_e32 v55, 0xffff0000, v103
	v_and_b32_e32 v49, 0xffff0000, v112
	s_delay_alu instid0(VALU_DEP_4) | instskip(SKIP_2) | instid1(VALU_DEP_3)
	v_dual_add_f32 v25, v25, v8 :: v_dual_and_b32 v6, 0xffff0000, v6
	v_and_b32_e32 v38, 0xffff0000, v98
	v_dual_add_f32 v20, v20, v0 :: v_dual_and_b32 v53, 0xffff0000, v113
	v_dual_add_f32 v6, v6, v7 :: v_dual_and_b32 v39, 0xffff0000, v97
	s_delay_alu instid0(VALU_DEP_1) | instskip(NEXT) | instid1(VALU_DEP_1)
	v_dual_add_f32 v38, v39, v38 :: v_dual_and_b32 v39, 0xffff0000, v116
	v_dual_add_f32 v39, v54, v39 :: v_dual_and_b32 v36, 0xffff0000, v100
	v_and_b32_e32 v54, 0xffff0000, v129
	s_delay_alu instid0(VALU_DEP_2) | instskip(SKIP_1) | instid1(VALU_DEP_2)
	v_add_f32_e32 v36, v48, v36
	v_and_b32_e32 v48, 0xffff0000, v114
	v_add_f32_e32 v36, v38, v36
	v_and_b32_e32 v38, 0xffff0000, v118
	s_delay_alu instid0(VALU_DEP_3) | instskip(NEXT) | instid1(VALU_DEP_3)
	v_dual_add_f32 v48, v53, v48 :: v_dual_and_b32 v53, 0xffff0000, v117
	v_add_f32_e32 v36, v36, v37
	v_add_f32_e32 v37, v55, v49
	s_delay_alu instid0(VALU_DEP_3) | instskip(SKIP_1) | instid1(VALU_DEP_3)
	v_dual_add_f32 v29, v48, v39 :: v_dual_add_f32 v38, v53, v38
	v_and_b32_e32 v53, 0xffff0000, v130
	v_dual_add_f32 v2, v36, v37 :: v_dual_and_b32 v49, 0xffff0000, v131
	v_and_b32_e32 v39, 0xffff0000, v119
	s_delay_alu instid0(VALU_DEP_4) | instskip(NEXT) | instid1(VALU_DEP_4)
	v_dual_add_f32 v29, v29, v38 :: v_dual_and_b32 v38, 0xffff0000, v132
	v_dual_add_f32 v7, v54, v53 :: v_dual_and_b32 v48, 0xffff0000, v128
	s_delay_alu instid0(VALU_DEP_4) | instskip(NEXT) | instid1(VALU_DEP_2)
	v_add_f32_e32 v24, v24, v2
	v_dual_add_f32 v6, v6, v7 :: v_dual_add_f32 v7, v49, v38
	s_delay_alu instid0(VALU_DEP_1) | instskip(SKIP_1) | instid1(VALU_DEP_2)
	v_dual_add_f32 v3, v39, v48 :: v_dual_add_f32 v6, v6, v7
	v_and_b32_e32 v55, 0xffff0000, v133
	v_add_f32_e32 v3, v29, v3
	s_delay_alu instid0(VALU_DEP_2) | instskip(NEXT) | instid1(VALU_DEP_2)
	v_add_f32_e32 v7, v55, v64
	v_add_f32_e32 v23, v23, v3
	s_delay_alu instid0(VALU_DEP_2) | instskip(NEXT) | instid1(VALU_DEP_1)
	v_add_f32_e32 v6, v6, v7
	v_add_f32_e32 v21, v21, v6
	s_and_not1_b32 exec_lo, exec_lo, s8
	s_cbranch_execz .LBB422_1423
.LBB422_611:                            ; =>This Inner Loop Header: Depth=1
	flat_load_b32 v50, v[13:14]
	ds_load_2addr_b64 v[6:9], v17 offset1:1
	ds_load_2addr_b64 v[0:3], v17 offset0:2 offset1:3
	s_mov_b32 s0, exec_lo
                                        ; implicit-def: $vgpr65
	s_waitcnt lgkmcnt(1)
	v_and_b32_e32 v29, 0x7f800000, v6
	s_delay_alu instid0(VALU_DEP_1)
	v_cmpx_ne_u32_e32 0x7f800000, v29
	s_xor_b32 s0, exec_lo, s0
; %bb.612:                              ;   in Loop: Header=BB422_611 Depth=1
	v_bfe_u32 v29, v6, 16, 1
	s_delay_alu instid0(VALU_DEP_1)
	v_add3_u32 v65, v6, v29, 0x7fff
; %bb.613:                              ;   in Loop: Header=BB422_611 Depth=1
	s_and_not1_saveexec_b32 s0, s0
; %bb.614:                              ;   in Loop: Header=BB422_611 Depth=1
	v_and_b32_e32 v29, 0xffff, v6
	v_or_b32_e32 v36, 0x10000, v6
	s_delay_alu instid0(VALU_DEP_2) | instskip(NEXT) | instid1(VALU_DEP_2)
	v_cmp_eq_u32_e32 vcc_lo, 0, v29
	v_cndmask_b32_e32 v65, v36, v6, vcc_lo
; %bb.615:                              ;   in Loop: Header=BB422_611 Depth=1
	s_or_b32 exec_lo, exec_lo, s0
	v_and_b32_e32 v6, 0x7f800000, v7
	s_mov_b32 s0, exec_lo
                                        ; implicit-def: $vgpr29
	s_delay_alu instid0(VALU_DEP_1)
	v_cmpx_ne_u32_e32 0x7f800000, v6
	s_xor_b32 s0, exec_lo, s0
; %bb.616:                              ;   in Loop: Header=BB422_611 Depth=1
	v_bfe_u32 v6, v7, 16, 1
	s_delay_alu instid0(VALU_DEP_1)
	v_add3_u32 v29, v7, v6, 0x7fff
; %bb.617:                              ;   in Loop: Header=BB422_611 Depth=1
	s_and_not1_saveexec_b32 s0, s0
; %bb.618:                              ;   in Loop: Header=BB422_611 Depth=1
	v_and_b32_e32 v6, 0xffff, v7
	v_or_b32_e32 v29, 0x10000, v7
	s_delay_alu instid0(VALU_DEP_2) | instskip(NEXT) | instid1(VALU_DEP_2)
	v_cmp_eq_u32_e32 vcc_lo, 0, v6
	v_cndmask_b32_e32 v29, v29, v7, vcc_lo
; %bb.619:                              ;   in Loop: Header=BB422_611 Depth=1
	s_or_b32 exec_lo, exec_lo, s0
	v_and_b32_e32 v6, 0x7f800000, v8
	s_mov_b32 s0, exec_lo
                                        ; implicit-def: $vgpr36
	s_delay_alu instid0(VALU_DEP_1)
	v_cmpx_ne_u32_e32 0x7f800000, v6
	s_xor_b32 s0, exec_lo, s0
; %bb.620:                              ;   in Loop: Header=BB422_611 Depth=1
	v_bfe_u32 v6, v8, 16, 1
	s_delay_alu instid0(VALU_DEP_1)
	v_add3_u32 v36, v8, v6, 0x7fff
; %bb.621:                              ;   in Loop: Header=BB422_611 Depth=1
	s_and_not1_saveexec_b32 s0, s0
; %bb.622:                              ;   in Loop: Header=BB422_611 Depth=1
	v_and_b32_e32 v6, 0xffff, v8
	v_or_b32_e32 v7, 0x10000, v8
	s_delay_alu instid0(VALU_DEP_2) | instskip(NEXT) | instid1(VALU_DEP_2)
	v_cmp_eq_u32_e32 vcc_lo, 0, v6
	v_cndmask_b32_e32 v36, v7, v8, vcc_lo
; %bb.623:                              ;   in Loop: Header=BB422_611 Depth=1
	s_or_b32 exec_lo, exec_lo, s0
	v_and_b32_e32 v6, 0x7f800000, v9
	s_mov_b32 s0, exec_lo
                                        ; implicit-def: $vgpr37
	s_delay_alu instid0(VALU_DEP_1)
	v_cmpx_ne_u32_e32 0x7f800000, v6
	s_xor_b32 s0, exec_lo, s0
; %bb.624:                              ;   in Loop: Header=BB422_611 Depth=1
	v_bfe_u32 v6, v9, 16, 1
	s_delay_alu instid0(VALU_DEP_1)
	v_add3_u32 v37, v9, v6, 0x7fff
                                        ; implicit-def: $vgpr6_vgpr7_vgpr8_vgpr9
; %bb.625:                              ;   in Loop: Header=BB422_611 Depth=1
	s_and_not1_saveexec_b32 s0, s0
; %bb.626:                              ;   in Loop: Header=BB422_611 Depth=1
	v_and_b32_e32 v6, 0xffff, v9
	v_or_b32_e32 v7, 0x10000, v9
	s_delay_alu instid0(VALU_DEP_2) | instskip(NEXT) | instid1(VALU_DEP_2)
	v_cmp_eq_u32_e32 vcc_lo, 0, v6
	v_cndmask_b32_e32 v37, v7, v9, vcc_lo
; %bb.627:                              ;   in Loop: Header=BB422_611 Depth=1
	s_or_b32 exec_lo, exec_lo, s0
	s_waitcnt lgkmcnt(0)
	v_and_b32_e32 v6, 0x7f800000, v0
	s_mov_b32 s0, exec_lo
                                        ; implicit-def: $vgpr38
	s_delay_alu instid0(VALU_DEP_1)
	v_cmpx_ne_u32_e32 0x7f800000, v6
	s_xor_b32 s0, exec_lo, s0
; %bb.628:                              ;   in Loop: Header=BB422_611 Depth=1
	v_bfe_u32 v6, v0, 16, 1
	s_delay_alu instid0(VALU_DEP_1)
	v_add3_u32 v38, v0, v6, 0x7fff
; %bb.629:                              ;   in Loop: Header=BB422_611 Depth=1
	s_and_not1_saveexec_b32 s0, s0
; %bb.630:                              ;   in Loop: Header=BB422_611 Depth=1
	v_and_b32_e32 v6, 0xffff, v0
	v_or_b32_e32 v7, 0x10000, v0
	s_delay_alu instid0(VALU_DEP_2) | instskip(NEXT) | instid1(VALU_DEP_2)
	v_cmp_eq_u32_e32 vcc_lo, 0, v6
	v_cndmask_b32_e32 v38, v7, v0, vcc_lo
; %bb.631:                              ;   in Loop: Header=BB422_611 Depth=1
	s_or_b32 exec_lo, exec_lo, s0
	v_and_b32_e32 v0, 0x7f800000, v1
	s_mov_b32 s0, exec_lo
                                        ; implicit-def: $vgpr39
	s_delay_alu instid0(VALU_DEP_1)
	v_cmpx_ne_u32_e32 0x7f800000, v0
	s_xor_b32 s0, exec_lo, s0
; %bb.632:                              ;   in Loop: Header=BB422_611 Depth=1
	v_bfe_u32 v0, v1, 16, 1
	s_delay_alu instid0(VALU_DEP_1)
	v_add3_u32 v39, v1, v0, 0x7fff
; %bb.633:                              ;   in Loop: Header=BB422_611 Depth=1
	s_and_not1_saveexec_b32 s0, s0
; %bb.634:                              ;   in Loop: Header=BB422_611 Depth=1
	v_and_b32_e32 v0, 0xffff, v1
	v_or_b32_e32 v6, 0x10000, v1
	s_delay_alu instid0(VALU_DEP_2) | instskip(NEXT) | instid1(VALU_DEP_2)
	v_cmp_eq_u32_e32 vcc_lo, 0, v0
	v_cndmask_b32_e32 v39, v6, v1, vcc_lo
; %bb.635:                              ;   in Loop: Header=BB422_611 Depth=1
	s_or_b32 exec_lo, exec_lo, s0
	v_and_b32_e32 v0, 0x7f800000, v2
	s_mov_b32 s0, exec_lo
                                        ; implicit-def: $vgpr48
	s_delay_alu instid0(VALU_DEP_1)
	v_cmpx_ne_u32_e32 0x7f800000, v0
	s_xor_b32 s0, exec_lo, s0
; %bb.636:                              ;   in Loop: Header=BB422_611 Depth=1
	v_bfe_u32 v0, v2, 16, 1
	s_delay_alu instid0(VALU_DEP_1)
	v_add3_u32 v48, v2, v0, 0x7fff
; %bb.637:                              ;   in Loop: Header=BB422_611 Depth=1
	s_and_not1_saveexec_b32 s0, s0
; %bb.638:                              ;   in Loop: Header=BB422_611 Depth=1
	v_and_b32_e32 v0, 0xffff, v2
	v_or_b32_e32 v1, 0x10000, v2
	s_delay_alu instid0(VALU_DEP_2) | instskip(NEXT) | instid1(VALU_DEP_2)
	v_cmp_eq_u32_e32 vcc_lo, 0, v0
	v_cndmask_b32_e32 v48, v1, v2, vcc_lo
; %bb.639:                              ;   in Loop: Header=BB422_611 Depth=1
	s_or_b32 exec_lo, exec_lo, s0
	v_and_b32_e32 v0, 0x7f800000, v3
	s_mov_b32 s0, exec_lo
                                        ; implicit-def: $vgpr49
	s_delay_alu instid0(VALU_DEP_1)
	v_cmpx_ne_u32_e32 0x7f800000, v0
	s_xor_b32 s0, exec_lo, s0
; %bb.640:                              ;   in Loop: Header=BB422_611 Depth=1
	v_bfe_u32 v0, v3, 16, 1
	s_delay_alu instid0(VALU_DEP_1)
	v_add3_u32 v49, v3, v0, 0x7fff
                                        ; implicit-def: $vgpr0_vgpr1_vgpr2_vgpr3
; %bb.641:                              ;   in Loop: Header=BB422_611 Depth=1
	s_and_not1_saveexec_b32 s0, s0
; %bb.642:                              ;   in Loop: Header=BB422_611 Depth=1
	v_and_b32_e32 v0, 0xffff, v3
	v_or_b32_e32 v1, 0x10000, v3
	s_delay_alu instid0(VALU_DEP_2) | instskip(NEXT) | instid1(VALU_DEP_2)
	v_cmp_eq_u32_e32 vcc_lo, 0, v0
	v_cndmask_b32_e32 v49, v1, v3, vcc_lo
; %bb.643:                              ;   in Loop: Header=BB422_611 Depth=1
	s_or_b32 exec_lo, exec_lo, s0
	s_waitcnt vmcnt(0)
	v_mad_i64_i32 v[0:1], null, v50, v22, v[11:12]
	s_mov_b32 s0, exec_lo
	v_mov_b32_e32 v6, 0
	flat_load_b64 v[2:3], v[0:1]
	s_waitcnt vmcnt(0) lgkmcnt(0)
	v_and_b32_e32 v7, 0xff, v2
	s_delay_alu instid0(VALU_DEP_1)
	v_cmpx_ne_u16_e32 0, v7
	s_cbranch_execz .LBB422_651
; %bb.644:                              ;   in Loop: Header=BB422_611 Depth=1
	v_bfrev_b32_e32 v6, 1
	s_mov_b32 s9, exec_lo
	v_cmpx_ne_u16_e32 0x80, v7
	s_cbranch_execz .LBB422_650
; %bb.645:                              ;   in Loop: Header=BB422_611 Depth=1
	v_and_b32_e32 v7, 0x7f, v2
	v_mov_b32_e32 v6, 0x7f800001
	s_mov_b32 s12, exec_lo
	s_delay_alu instid0(VALU_DEP_2)
	v_cmpx_ne_u32_e32 0x7f, v7
	s_cbranch_execz .LBB422_649
; %bb.646:                              ;   in Loop: Header=BB422_611 Depth=1
	v_lshrrev_b32_e32 v8, 3, v7
	v_cmp_gt_u32_e32 vcc_lo, 8, v7
	v_dual_mov_b32 v7, v3 :: v_dual_mov_b32 v6, v2
	s_and_saveexec_b32 s13, vcc_lo
; %bb.647:                              ;   in Loop: Header=BB422_611 Depth=1
	v_and_b32_e32 v6, 7, v2
	s_delay_alu instid0(VALU_DEP_1) | instskip(NEXT) | instid1(VALU_DEP_1)
	v_clz_i32_u32_e32 v6, v6
	v_min_u32_e32 v8, 32, v6
	s_delay_alu instid0(VALU_DEP_1) | instskip(SKIP_1) | instid1(VALU_DEP_2)
	v_subrev_nc_u32_e32 v6, 28, v8
	v_sub_nc_u32_e32 v8, 29, v8
	v_lshlrev_b64 v[6:7], v6, v[2:3]
; %bb.648:                              ;   in Loop: Header=BB422_611 Depth=1
	s_or_b32 exec_lo, exec_lo, s13
	s_delay_alu instid0(VALU_DEP_1) | instskip(SKIP_2) | instid1(VALU_DEP_3)
	v_lshlrev_b32_e32 v6, 20, v6
	v_lshlrev_b32_e32 v7, 24, v2
	v_lshl_add_u32 v8, v8, 23, 0x3c000000
	v_and_b32_e32 v6, 0x700000, v6
	s_delay_alu instid0(VALU_DEP_3) | instskip(NEXT) | instid1(VALU_DEP_1)
	v_and_b32_e32 v7, 0x80000000, v7
	v_or3_b32 v6, v6, v7, v8
.LBB422_649:                            ;   in Loop: Header=BB422_611 Depth=1
	s_or_b32 exec_lo, exec_lo, s12
.LBB422_650:                            ;   in Loop: Header=BB422_611 Depth=1
	s_delay_alu instid0(SALU_CYCLE_1)
	s_or_b32 exec_lo, exec_lo, s9
.LBB422_651:                            ;   in Loop: Header=BB422_611 Depth=1
	s_delay_alu instid0(SALU_CYCLE_1) | instskip(NEXT) | instid1(VALU_DEP_1)
	s_or_b32 exec_lo, exec_lo, s0
	v_mul_f32_e32 v6, v26, v6
	s_mov_b32 s0, exec_lo
                                        ; implicit-def: $vgpr8
	s_delay_alu instid0(VALU_DEP_1) | instskip(NEXT) | instid1(VALU_DEP_1)
	v_and_b32_e32 v7, 0x7f800000, v6
	v_cmpx_ne_u32_e32 0x7f800000, v7
	s_xor_b32 s0, exec_lo, s0
; %bb.652:                              ;   in Loop: Header=BB422_611 Depth=1
	v_bfe_u32 v7, v6, 16, 1
	s_delay_alu instid0(VALU_DEP_1)
	v_add3_u32 v8, v6, v7, 0x7fff
                                        ; implicit-def: $vgpr6
; %bb.653:                              ;   in Loop: Header=BB422_611 Depth=1
	s_and_not1_saveexec_b32 s0, s0
; %bb.654:                              ;   in Loop: Header=BB422_611 Depth=1
	v_and_b32_e32 v7, 0xffff, v6
	v_or_b32_e32 v8, 0x10000, v6
	s_delay_alu instid0(VALU_DEP_2) | instskip(NEXT) | instid1(VALU_DEP_2)
	v_cmp_eq_u32_e32 vcc_lo, 0, v7
	v_cndmask_b32_e32 v8, v8, v6, vcc_lo
; %bb.655:                              ;   in Loop: Header=BB422_611 Depth=1
	s_or_b32 exec_lo, exec_lo, s0
	v_lshrrev_b16 v7, 8, v2
	v_mov_b32_e32 v6, 0
	s_mov_b32 s0, exec_lo
	s_delay_alu instid0(VALU_DEP_2)
	v_cmpx_ne_u16_e32 0, v7
	s_cbranch_execz .LBB422_663
; %bb.656:                              ;   in Loop: Header=BB422_611 Depth=1
	v_bfrev_b32_e32 v6, 1
	s_mov_b32 s9, exec_lo
	v_cmpx_ne_u16_e32 0x80, v7
	s_cbranch_execz .LBB422_662
; %bb.657:                              ;   in Loop: Header=BB422_611 Depth=1
	v_and_b32_e32 v9, 0xffff, v7
	v_mov_b32_e32 v6, 0x7f800001
	s_mov_b32 s12, exec_lo
	s_delay_alu instid0(VALU_DEP_2) | instskip(NEXT) | instid1(VALU_DEP_1)
	v_and_b32_e32 v7, 0x7f, v9
	v_cmpx_ne_u32_e32 0x7f, v7
	s_cbranch_execz .LBB422_661
; %bb.658:                              ;   in Loop: Header=BB422_611 Depth=1
	v_and_b32_e32 v9, 7, v9
	v_lshrrev_b32_e32 v6, 3, v7
	s_mov_b32 s13, exec_lo
	v_cmpx_gt_u32_e32 8, v7
; %bb.659:                              ;   in Loop: Header=BB422_611 Depth=1
	s_delay_alu instid0(VALU_DEP_3) | instskip(NEXT) | instid1(VALU_DEP_1)
	v_clz_i32_u32_e32 v6, v9
	v_min_u32_e32 v6, 32, v6
	s_delay_alu instid0(VALU_DEP_1) | instskip(SKIP_1) | instid1(VALU_DEP_2)
	v_subrev_nc_u32_e32 v7, 28, v6
	v_sub_nc_u32_e32 v6, 29, v6
	v_lshlrev_b64 v[50:51], v7, v[9:10]
	s_delay_alu instid0(VALU_DEP_1)
	v_and_b32_e32 v9, 7, v50
; %bb.660:                              ;   in Loop: Header=BB422_611 Depth=1
	s_or_b32 exec_lo, exec_lo, s13
	v_lshlrev_b32_e32 v7, 16, v2
	s_delay_alu instid0(VALU_DEP_2) | instskip(SKIP_1) | instid1(VALU_DEP_3)
	v_lshlrev_b32_e32 v9, 20, v9
	v_lshl_add_u32 v6, v6, 23, 0x3c000000
	v_and_b32_e32 v7, 0x80000000, v7
	s_delay_alu instid0(VALU_DEP_1)
	v_or3_b32 v6, v9, v7, v6
.LBB422_661:                            ;   in Loop: Header=BB422_611 Depth=1
	s_or_b32 exec_lo, exec_lo, s12
.LBB422_662:                            ;   in Loop: Header=BB422_611 Depth=1
	s_delay_alu instid0(SALU_CYCLE_1)
	s_or_b32 exec_lo, exec_lo, s9
.LBB422_663:                            ;   in Loop: Header=BB422_611 Depth=1
	s_delay_alu instid0(SALU_CYCLE_1) | instskip(NEXT) | instid1(VALU_DEP_1)
	s_or_b32 exec_lo, exec_lo, s0
	v_mul_f32_e32 v6, v26, v6
	s_mov_b32 s0, exec_lo
                                        ; implicit-def: $vgpr51
	s_delay_alu instid0(VALU_DEP_1) | instskip(NEXT) | instid1(VALU_DEP_1)
	v_and_b32_e32 v7, 0x7f800000, v6
	v_cmpx_ne_u32_e32 0x7f800000, v7
	s_xor_b32 s0, exec_lo, s0
; %bb.664:                              ;   in Loop: Header=BB422_611 Depth=1
	v_bfe_u32 v7, v6, 16, 1
	s_delay_alu instid0(VALU_DEP_1)
	v_add3_u32 v51, v6, v7, 0x7fff
                                        ; implicit-def: $vgpr6
; %bb.665:                              ;   in Loop: Header=BB422_611 Depth=1
	s_and_not1_saveexec_b32 s0, s0
; %bb.666:                              ;   in Loop: Header=BB422_611 Depth=1
	v_and_b32_e32 v7, 0xffff, v6
	v_or_b32_e32 v9, 0x10000, v6
	s_delay_alu instid0(VALU_DEP_2) | instskip(NEXT) | instid1(VALU_DEP_2)
	v_cmp_eq_u32_e32 vcc_lo, 0, v7
	v_cndmask_b32_e32 v51, v9, v6, vcc_lo
; %bb.667:                              ;   in Loop: Header=BB422_611 Depth=1
	s_or_b32 exec_lo, exec_lo, s0
	v_lshrrev_b32_e32 v6, 16, v2
	v_mov_b32_e32 v7, 0
	s_mov_b32 s0, exec_lo
	s_delay_alu instid0(VALU_DEP_2) | instskip(NEXT) | instid1(VALU_DEP_1)
	v_and_b32_e32 v9, 0xff, v6
	v_cmpx_ne_u16_e32 0, v9
	s_cbranch_execz .LBB422_675
; %bb.668:                              ;   in Loop: Header=BB422_611 Depth=1
	v_bfrev_b32_e32 v7, 1
	s_mov_b32 s9, exec_lo
	v_cmpx_ne_u16_e32 0x80, v9
	s_cbranch_execz .LBB422_674
; %bb.669:                              ;   in Loop: Header=BB422_611 Depth=1
	v_bfe_u32 v50, v2, 16, 7
	v_mov_b32_e32 v7, 0x7f800001
	s_mov_b32 s12, exec_lo
	s_delay_alu instid0(VALU_DEP_2)
	v_cmpx_ne_u32_e32 0x7f, v50
	s_cbranch_execz .LBB422_673
; %bb.670:                              ;   in Loop: Header=BB422_611 Depth=1
	v_and_b32_e32 v9, 7, v6
	v_lshrrev_b32_e32 v7, 3, v50
	s_mov_b32 s13, exec_lo
	v_cmpx_gt_u32_e32 8, v50
; %bb.671:                              ;   in Loop: Header=BB422_611 Depth=1
	s_delay_alu instid0(VALU_DEP_3) | instskip(NEXT) | instid1(VALU_DEP_1)
	v_clz_i32_u32_e32 v7, v9
	v_min_u32_e32 v7, 32, v7
	s_delay_alu instid0(VALU_DEP_1) | instskip(SKIP_1) | instid1(VALU_DEP_2)
	v_subrev_nc_u32_e32 v50, 28, v7
	v_sub_nc_u32_e32 v7, 29, v7
	v_lshlrev_b64 v[52:53], v50, v[9:10]
	s_delay_alu instid0(VALU_DEP_1)
	v_and_b32_e32 v9, 7, v52
; %bb.672:                              ;   in Loop: Header=BB422_611 Depth=1
	s_or_b32 exec_lo, exec_lo, s13
	v_lshlrev_b32_e32 v6, 24, v6
	s_delay_alu instid0(VALU_DEP_2) | instskip(SKIP_1) | instid1(VALU_DEP_3)
	v_lshlrev_b32_e32 v9, 20, v9
	v_lshl_add_u32 v7, v7, 23, 0x3c000000
	v_and_b32_e32 v6, 0x80000000, v6
	s_delay_alu instid0(VALU_DEP_1)
	v_or3_b32 v7, v9, v6, v7
.LBB422_673:                            ;   in Loop: Header=BB422_611 Depth=1
	s_or_b32 exec_lo, exec_lo, s12
.LBB422_674:                            ;   in Loop: Header=BB422_611 Depth=1
	s_delay_alu instid0(SALU_CYCLE_1)
	s_or_b32 exec_lo, exec_lo, s9
.LBB422_675:                            ;   in Loop: Header=BB422_611 Depth=1
	s_delay_alu instid0(SALU_CYCLE_1) | instskip(NEXT) | instid1(VALU_DEP_1)
	s_or_b32 exec_lo, exec_lo, s0
	v_mul_f32_e32 v6, v26, v7
	s_mov_b32 s0, exec_lo
                                        ; implicit-def: $vgpr52
	s_delay_alu instid0(VALU_DEP_1) | instskip(NEXT) | instid1(VALU_DEP_1)
	v_and_b32_e32 v7, 0x7f800000, v6
	v_cmpx_ne_u32_e32 0x7f800000, v7
	s_xor_b32 s0, exec_lo, s0
; %bb.676:                              ;   in Loop: Header=BB422_611 Depth=1
	v_bfe_u32 v7, v6, 16, 1
	s_delay_alu instid0(VALU_DEP_1)
	v_add3_u32 v52, v6, v7, 0x7fff
                                        ; implicit-def: $vgpr6
; %bb.677:                              ;   in Loop: Header=BB422_611 Depth=1
	s_and_not1_saveexec_b32 s0, s0
; %bb.678:                              ;   in Loop: Header=BB422_611 Depth=1
	v_and_b32_e32 v7, 0xffff, v6
	v_or_b32_e32 v9, 0x10000, v6
	s_delay_alu instid0(VALU_DEP_2) | instskip(NEXT) | instid1(VALU_DEP_2)
	v_cmp_eq_u32_e32 vcc_lo, 0, v7
	v_cndmask_b32_e32 v52, v9, v6, vcc_lo
; %bb.679:                              ;   in Loop: Header=BB422_611 Depth=1
	s_or_b32 exec_lo, exec_lo, s0
	v_mov_b32_e32 v7, 0
	s_mov_b32 s0, exec_lo
	v_cmpx_lt_u32_e32 0xffffff, v2
	s_cbranch_execz .LBB422_687
; %bb.680:                              ;   in Loop: Header=BB422_611 Depth=1
	v_lshrrev_b32_e32 v6, 24, v2
	v_bfrev_b32_e32 v7, 1
	s_mov_b32 s9, exec_lo
	s_delay_alu instid0(VALU_DEP_2)
	v_cmpx_ne_u32_e32 0x80, v6
	s_cbranch_execz .LBB422_686
; %bb.681:                              ;   in Loop: Header=BB422_611 Depth=1
	v_bfe_u32 v50, v2, 24, 7
	v_mov_b32_e32 v7, 0x7f800001
	s_mov_b32 s12, exec_lo
	s_delay_alu instid0(VALU_DEP_2)
	v_cmpx_ne_u32_e32 0x7f, v50
	s_cbranch_execz .LBB422_685
; %bb.682:                              ;   in Loop: Header=BB422_611 Depth=1
	v_and_b32_e32 v9, 7, v6
	v_lshrrev_b32_e32 v7, 3, v50
	s_mov_b32 s13, exec_lo
	v_cmpx_gt_u32_e32 8, v50
; %bb.683:                              ;   in Loop: Header=BB422_611 Depth=1
	s_delay_alu instid0(VALU_DEP_3) | instskip(NEXT) | instid1(VALU_DEP_1)
	v_clz_i32_u32_e32 v7, v9
	v_min_u32_e32 v7, 32, v7
	s_delay_alu instid0(VALU_DEP_1) | instskip(SKIP_1) | instid1(VALU_DEP_2)
	v_subrev_nc_u32_e32 v50, 28, v7
	v_sub_nc_u32_e32 v7, 29, v7
	v_lshlrev_b64 v[53:54], v50, v[9:10]
	s_delay_alu instid0(VALU_DEP_1)
	v_and_b32_e32 v9, 7, v53
; %bb.684:                              ;   in Loop: Header=BB422_611 Depth=1
	s_or_b32 exec_lo, exec_lo, s13
	v_lshlrev_b32_e32 v6, 24, v6
	s_delay_alu instid0(VALU_DEP_2) | instskip(SKIP_1) | instid1(VALU_DEP_3)
	v_lshlrev_b32_e32 v9, 20, v9
	v_lshl_add_u32 v7, v7, 23, 0x3c000000
	v_and_b32_e32 v6, 0x80000000, v6
	s_delay_alu instid0(VALU_DEP_1)
	v_or3_b32 v7, v9, v6, v7
.LBB422_685:                            ;   in Loop: Header=BB422_611 Depth=1
	s_or_b32 exec_lo, exec_lo, s12
.LBB422_686:                            ;   in Loop: Header=BB422_611 Depth=1
	s_delay_alu instid0(SALU_CYCLE_1)
	s_or_b32 exec_lo, exec_lo, s9
.LBB422_687:                            ;   in Loop: Header=BB422_611 Depth=1
	s_delay_alu instid0(SALU_CYCLE_1) | instskip(NEXT) | instid1(VALU_DEP_1)
	s_or_b32 exec_lo, exec_lo, s0
	v_mul_f32_e32 v6, v26, v7
	s_mov_b32 s0, exec_lo
                                        ; implicit-def: $vgpr53
	s_delay_alu instid0(VALU_DEP_1) | instskip(NEXT) | instid1(VALU_DEP_1)
	v_and_b32_e32 v7, 0x7f800000, v6
	v_cmpx_ne_u32_e32 0x7f800000, v7
	s_xor_b32 s0, exec_lo, s0
; %bb.688:                              ;   in Loop: Header=BB422_611 Depth=1
	v_bfe_u32 v7, v6, 16, 1
	s_delay_alu instid0(VALU_DEP_1)
	v_add3_u32 v53, v6, v7, 0x7fff
                                        ; implicit-def: $vgpr6
; %bb.689:                              ;   in Loop: Header=BB422_611 Depth=1
	s_and_not1_saveexec_b32 s0, s0
; %bb.690:                              ;   in Loop: Header=BB422_611 Depth=1
	v_and_b32_e32 v7, 0xffff, v6
	v_or_b32_e32 v9, 0x10000, v6
	s_delay_alu instid0(VALU_DEP_2) | instskip(NEXT) | instid1(VALU_DEP_2)
	v_cmp_eq_u32_e32 vcc_lo, 0, v7
	v_cndmask_b32_e32 v53, v9, v6, vcc_lo
; %bb.691:                              ;   in Loop: Header=BB422_611 Depth=1
	s_or_b32 exec_lo, exec_lo, s0
	v_dual_mov_b32 v6, 0 :: v_dual_and_b32 v7, 0xff, v3
	v_mov_b32_e32 v9, v3
	s_mov_b32 s0, exec_lo
	s_delay_alu instid0(VALU_DEP_2)
	v_cmpx_ne_u16_e32 0, v7
	s_cbranch_execz .LBB422_699
; %bb.692:                              ;   in Loop: Header=BB422_611 Depth=1
	v_bfrev_b32_e32 v6, 1
	s_mov_b32 s9, exec_lo
	v_cmpx_ne_u16_e32 0x80, v7
	s_cbranch_execz .LBB422_698
; %bb.693:                              ;   in Loop: Header=BB422_611 Depth=1
	v_and_b32_e32 v7, 0x7f, v3
	v_mov_b32_e32 v6, 0x7f800001
	s_mov_b32 s12, exec_lo
	s_delay_alu instid0(VALU_DEP_2)
	v_cmpx_ne_u32_e32 0x7f, v7
	s_cbranch_execz .LBB422_697
; %bb.694:                              ;   in Loop: Header=BB422_611 Depth=1
	v_lshrrev_b32_e32 v50, 3, v7
	v_cmp_gt_u32_e32 vcc_lo, 8, v7
	v_dual_mov_b32 v6, v9 :: v_dual_mov_b32 v7, v10
	s_and_saveexec_b32 s13, vcc_lo
; %bb.695:                              ;   in Loop: Header=BB422_611 Depth=1
	v_and_b32_e32 v6, 7, v3
	s_delay_alu instid0(VALU_DEP_1) | instskip(NEXT) | instid1(VALU_DEP_1)
	v_clz_i32_u32_e32 v6, v6
	v_min_u32_e32 v50, 32, v6
	s_delay_alu instid0(VALU_DEP_1) | instskip(SKIP_1) | instid1(VALU_DEP_2)
	v_subrev_nc_u32_e32 v6, 28, v50
	v_sub_nc_u32_e32 v50, 29, v50
	v_lshlrev_b64 v[6:7], v6, v[9:10]
; %bb.696:                              ;   in Loop: Header=BB422_611 Depth=1
	s_or_b32 exec_lo, exec_lo, s13
	s_delay_alu instid0(VALU_DEP_1) | instskip(SKIP_2) | instid1(VALU_DEP_3)
	v_lshlrev_b32_e32 v6, 20, v6
	v_lshlrev_b32_e32 v7, 24, v9
	v_lshl_add_u32 v50, v50, 23, 0x3c000000
	v_and_b32_e32 v6, 0x700000, v6
	s_delay_alu instid0(VALU_DEP_3) | instskip(NEXT) | instid1(VALU_DEP_1)
	v_and_b32_e32 v7, 0x80000000, v7
	v_or3_b32 v6, v6, v7, v50
.LBB422_697:                            ;   in Loop: Header=BB422_611 Depth=1
	s_or_b32 exec_lo, exec_lo, s12
.LBB422_698:                            ;   in Loop: Header=BB422_611 Depth=1
	s_delay_alu instid0(SALU_CYCLE_1)
	s_or_b32 exec_lo, exec_lo, s9
.LBB422_699:                            ;   in Loop: Header=BB422_611 Depth=1
	s_delay_alu instid0(SALU_CYCLE_1) | instskip(NEXT) | instid1(VALU_DEP_1)
	s_or_b32 exec_lo, exec_lo, s0
	v_mul_f32_e32 v6, v26, v6
	s_mov_b32 s0, exec_lo
                                        ; implicit-def: $vgpr54
	s_delay_alu instid0(VALU_DEP_1) | instskip(NEXT) | instid1(VALU_DEP_1)
	v_and_b32_e32 v7, 0x7f800000, v6
	v_cmpx_ne_u32_e32 0x7f800000, v7
	s_xor_b32 s0, exec_lo, s0
; %bb.700:                              ;   in Loop: Header=BB422_611 Depth=1
	v_bfe_u32 v7, v6, 16, 1
	s_delay_alu instid0(VALU_DEP_1)
	v_add3_u32 v54, v6, v7, 0x7fff
                                        ; implicit-def: $vgpr6
; %bb.701:                              ;   in Loop: Header=BB422_611 Depth=1
	s_and_not1_saveexec_b32 s0, s0
; %bb.702:                              ;   in Loop: Header=BB422_611 Depth=1
	v_and_b32_e32 v7, 0xffff, v6
	v_or_b32_e32 v50, 0x10000, v6
	s_delay_alu instid0(VALU_DEP_2) | instskip(NEXT) | instid1(VALU_DEP_2)
	v_cmp_eq_u32_e32 vcc_lo, 0, v7
	v_cndmask_b32_e32 v54, v50, v6, vcc_lo
; %bb.703:                              ;   in Loop: Header=BB422_611 Depth=1
	s_or_b32 exec_lo, exec_lo, s0
	v_lshrrev_b16 v7, 8, v9
	v_mov_b32_e32 v6, 0
	s_mov_b32 s0, exec_lo
	s_delay_alu instid0(VALU_DEP_2)
	v_cmpx_ne_u16_e32 0, v7
	s_cbranch_execz .LBB422_711
; %bb.704:                              ;   in Loop: Header=BB422_611 Depth=1
	v_bfrev_b32_e32 v6, 1
	s_mov_b32 s9, exec_lo
	v_cmpx_ne_u16_e32 0x80, v7
	s_cbranch_execz .LBB422_710
; %bb.705:                              ;   in Loop: Header=BB422_611 Depth=1
	v_and_b32_e32 v7, 0xffff, v7
	v_mov_b32_e32 v6, 0x7f800001
	s_mov_b32 s12, exec_lo
	s_delay_alu instid0(VALU_DEP_2) | instskip(NEXT) | instid1(VALU_DEP_1)
	v_and_b32_e32 v55, 0x7f, v7
	v_cmpx_ne_u32_e32 0x7f, v55
	s_cbranch_execz .LBB422_709
; %bb.706:                              ;   in Loop: Header=BB422_611 Depth=1
	v_dual_mov_b32 v7, v10 :: v_dual_and_b32 v6, 7, v7
	v_lshrrev_b32_e32 v50, 3, v55
	s_mov_b32 s13, exec_lo
	v_cmpx_gt_u32_e32 8, v55
; %bb.707:                              ;   in Loop: Header=BB422_611 Depth=1
	s_delay_alu instid0(VALU_DEP_3) | instskip(NEXT) | instid1(VALU_DEP_1)
	v_clz_i32_u32_e32 v50, v6
	v_min_u32_e32 v50, 32, v50
	s_delay_alu instid0(VALU_DEP_1) | instskip(SKIP_1) | instid1(VALU_DEP_2)
	v_subrev_nc_u32_e32 v55, 28, v50
	v_sub_nc_u32_e32 v50, 29, v50
	v_lshlrev_b64 v[6:7], v55, v[6:7]
	s_delay_alu instid0(VALU_DEP_1)
	v_and_b32_e32 v6, 7, v6
; %bb.708:                              ;   in Loop: Header=BB422_611 Depth=1
	s_or_b32 exec_lo, exec_lo, s13
	v_lshlrev_b32_e32 v7, 16, v9
	s_delay_alu instid0(VALU_DEP_2) | instskip(SKIP_1) | instid1(VALU_DEP_3)
	v_lshlrev_b32_e32 v6, 20, v6
	v_lshl_add_u32 v9, v50, 23, 0x3c000000
	v_and_b32_e32 v7, 0x80000000, v7
	s_delay_alu instid0(VALU_DEP_1)
	v_or3_b32 v6, v6, v7, v9
.LBB422_709:                            ;   in Loop: Header=BB422_611 Depth=1
	s_or_b32 exec_lo, exec_lo, s12
.LBB422_710:                            ;   in Loop: Header=BB422_611 Depth=1
	s_delay_alu instid0(SALU_CYCLE_1)
	s_or_b32 exec_lo, exec_lo, s9
.LBB422_711:                            ;   in Loop: Header=BB422_611 Depth=1
	s_delay_alu instid0(SALU_CYCLE_1) | instskip(NEXT) | instid1(VALU_DEP_1)
	s_or_b32 exec_lo, exec_lo, s0
	v_mul_f32_e32 v7, v26, v6
	s_delay_alu instid0(VALU_DEP_1) | instskip(NEXT) | instid1(VALU_DEP_1)
	v_and_b32_e32 v6, 0x7f800000, v7
	v_cmp_ne_u32_e32 vcc_lo, 0x7f800000, v6
                                        ; implicit-def: $vgpr6
	s_and_saveexec_b32 s0, vcc_lo
	s_delay_alu instid0(SALU_CYCLE_1)
	s_xor_b32 s0, exec_lo, s0
; %bb.712:                              ;   in Loop: Header=BB422_611 Depth=1
	v_bfe_u32 v6, v7, 16, 1
	s_delay_alu instid0(VALU_DEP_1)
	v_add3_u32 v6, v7, v6, 0x7fff
                                        ; implicit-def: $vgpr7
; %bb.713:                              ;   in Loop: Header=BB422_611 Depth=1
	s_and_not1_saveexec_b32 s0, s0
; %bb.714:                              ;   in Loop: Header=BB422_611 Depth=1
	v_and_b32_e32 v6, 0xffff, v7
	v_or_b32_e32 v9, 0x10000, v7
	s_delay_alu instid0(VALU_DEP_2) | instskip(NEXT) | instid1(VALU_DEP_2)
	v_cmp_eq_u32_e32 vcc_lo, 0, v6
	v_cndmask_b32_e32 v6, v9, v7, vcc_lo
; %bb.715:                              ;   in Loop: Header=BB422_611 Depth=1
	s_or_b32 exec_lo, exec_lo, s0
	v_lshrrev_b32_e32 v7, 16, v3
	s_mov_b32 s0, exec_lo
	s_delay_alu instid0(VALU_DEP_1) | instskip(NEXT) | instid1(VALU_DEP_1)
	v_dual_mov_b32 v9, 0 :: v_dual_and_b32 v50, 0xff, v7
	v_cmpx_ne_u16_e32 0, v50
	s_cbranch_execz .LBB422_723
; %bb.716:                              ;   in Loop: Header=BB422_611 Depth=1
	v_bfrev_b32_e32 v9, 1
	s_mov_b32 s9, exec_lo
	v_cmpx_ne_u16_e32 0x80, v50
	s_cbranch_execz .LBB422_722
; %bb.717:                              ;   in Loop: Header=BB422_611 Depth=1
	v_bfe_u32 v55, v3, 16, 7
	v_mov_b32_e32 v9, 0x7f800001
	s_mov_b32 s12, exec_lo
	s_delay_alu instid0(VALU_DEP_2)
	v_cmpx_ne_u32_e32 0x7f, v55
	s_cbranch_execz .LBB422_721
; %bb.718:                              ;   in Loop: Header=BB422_611 Depth=1
	v_and_b32_e32 v9, 7, v7
	v_lshrrev_b32_e32 v50, 3, v55
	s_mov_b32 s13, exec_lo
	v_cmpx_gt_u32_e32 8, v55
; %bb.719:                              ;   in Loop: Header=BB422_611 Depth=1
	s_delay_alu instid0(VALU_DEP_3) | instskip(NEXT) | instid1(VALU_DEP_1)
	v_clz_i32_u32_e32 v50, v9
	v_min_u32_e32 v50, 32, v50
	s_delay_alu instid0(VALU_DEP_1) | instskip(SKIP_1) | instid1(VALU_DEP_2)
	v_subrev_nc_u32_e32 v55, 28, v50
	v_sub_nc_u32_e32 v50, 29, v50
	v_lshlrev_b64 v[66:67], v55, v[9:10]
	s_delay_alu instid0(VALU_DEP_1)
	v_and_b32_e32 v9, 7, v66
; %bb.720:                              ;   in Loop: Header=BB422_611 Depth=1
	s_or_b32 exec_lo, exec_lo, s13
	v_lshlrev_b32_e32 v7, 24, v7
	s_delay_alu instid0(VALU_DEP_2) | instskip(SKIP_1) | instid1(VALU_DEP_3)
	v_lshlrev_b32_e32 v9, 20, v9
	v_lshl_add_u32 v50, v50, 23, 0x3c000000
	v_and_b32_e32 v7, 0x80000000, v7
	s_delay_alu instid0(VALU_DEP_1)
	v_or3_b32 v9, v9, v7, v50
.LBB422_721:                            ;   in Loop: Header=BB422_611 Depth=1
	s_or_b32 exec_lo, exec_lo, s12
.LBB422_722:                            ;   in Loop: Header=BB422_611 Depth=1
	s_delay_alu instid0(SALU_CYCLE_1)
	s_or_b32 exec_lo, exec_lo, s9
.LBB422_723:                            ;   in Loop: Header=BB422_611 Depth=1
	s_delay_alu instid0(SALU_CYCLE_1) | instskip(NEXT) | instid1(VALU_DEP_1)
	s_or_b32 exec_lo, exec_lo, s0
	v_mul_f32_e32 v7, v26, v9
	s_mov_b32 s0, exec_lo
                                        ; implicit-def: $vgpr55
	s_delay_alu instid0(VALU_DEP_1) | instskip(NEXT) | instid1(VALU_DEP_1)
	v_and_b32_e32 v9, 0x7f800000, v7
	v_cmpx_ne_u32_e32 0x7f800000, v9
	s_xor_b32 s0, exec_lo, s0
; %bb.724:                              ;   in Loop: Header=BB422_611 Depth=1
	v_bfe_u32 v9, v7, 16, 1
	s_delay_alu instid0(VALU_DEP_1)
	v_add3_u32 v55, v7, v9, 0x7fff
                                        ; implicit-def: $vgpr7
; %bb.725:                              ;   in Loop: Header=BB422_611 Depth=1
	s_and_not1_saveexec_b32 s0, s0
; %bb.726:                              ;   in Loop: Header=BB422_611 Depth=1
	v_and_b32_e32 v9, 0xffff, v7
	v_or_b32_e32 v50, 0x10000, v7
	s_delay_alu instid0(VALU_DEP_2) | instskip(NEXT) | instid1(VALU_DEP_2)
	v_cmp_eq_u32_e32 vcc_lo, 0, v9
	v_cndmask_b32_e32 v55, v50, v7, vcc_lo
; %bb.727:                              ;   in Loop: Header=BB422_611 Depth=1
	s_or_b32 exec_lo, exec_lo, s0
	v_mov_b32_e32 v7, 0
	s_mov_b32 s0, exec_lo
	v_cmpx_lt_u64_e64 s[2:3], v[2:3]
	s_cbranch_execz .LBB422_735
; %bb.728:                              ;   in Loop: Header=BB422_611 Depth=1
	v_lshrrev_b32_e32 v2, 24, v3
	v_bfrev_b32_e32 v7, 1
	s_mov_b32 s9, exec_lo
	s_delay_alu instid0(VALU_DEP_2)
	v_cmpx_ne_u32_e32 0x80, v2
	s_cbranch_execz .LBB422_734
; %bb.729:                              ;   in Loop: Header=BB422_611 Depth=1
	v_bfe_u32 v50, v3, 24, 7
	v_mov_b32_e32 v7, 0x7f800001
	s_mov_b32 s12, exec_lo
	s_delay_alu instid0(VALU_DEP_2)
	v_cmpx_ne_u32_e32 0x7f, v50
	s_cbranch_execz .LBB422_733
; %bb.730:                              ;   in Loop: Header=BB422_611 Depth=1
	v_and_b32_e32 v9, 7, v2
	v_lshrrev_b32_e32 v3, 3, v50
	s_mov_b32 s13, exec_lo
	v_cmpx_gt_u32_e32 8, v50
; %bb.731:                              ;   in Loop: Header=BB422_611 Depth=1
	s_delay_alu instid0(VALU_DEP_3) | instskip(NEXT) | instid1(VALU_DEP_1)
	v_clz_i32_u32_e32 v3, v9
	v_min_u32_e32 v3, 32, v3
	s_delay_alu instid0(VALU_DEP_1) | instskip(SKIP_1) | instid1(VALU_DEP_2)
	v_subrev_nc_u32_e32 v7, 28, v3
	v_sub_nc_u32_e32 v3, 29, v3
	v_lshlrev_b64 v[66:67], v7, v[9:10]
	s_delay_alu instid0(VALU_DEP_1)
	v_and_b32_e32 v9, 7, v66
; %bb.732:                              ;   in Loop: Header=BB422_611 Depth=1
	s_or_b32 exec_lo, exec_lo, s13
	v_lshlrev_b32_e32 v2, 24, v2
	s_delay_alu instid0(VALU_DEP_2) | instskip(SKIP_1) | instid1(VALU_DEP_3)
	v_lshlrev_b32_e32 v7, 20, v9
	v_lshl_add_u32 v3, v3, 23, 0x3c000000
	v_and_b32_e32 v2, 0x80000000, v2
	s_delay_alu instid0(VALU_DEP_1)
	v_or3_b32 v7, v7, v2, v3
.LBB422_733:                            ;   in Loop: Header=BB422_611 Depth=1
	s_or_b32 exec_lo, exec_lo, s12
.LBB422_734:                            ;   in Loop: Header=BB422_611 Depth=1
	s_delay_alu instid0(SALU_CYCLE_1)
	s_or_b32 exec_lo, exec_lo, s9
.LBB422_735:                            ;   in Loop: Header=BB422_611 Depth=1
	s_delay_alu instid0(SALU_CYCLE_1) | instskip(NEXT) | instid1(VALU_DEP_1)
	s_or_b32 exec_lo, exec_lo, s0
	v_mul_f32_e32 v3, v26, v7
	s_delay_alu instid0(VALU_DEP_1) | instskip(NEXT) | instid1(VALU_DEP_1)
	v_and_b32_e32 v2, 0x7f800000, v3
	v_cmp_ne_u32_e32 vcc_lo, 0x7f800000, v2
                                        ; implicit-def: $vgpr2
	s_and_saveexec_b32 s0, vcc_lo
	s_delay_alu instid0(SALU_CYCLE_1)
	s_xor_b32 s0, exec_lo, s0
; %bb.736:                              ;   in Loop: Header=BB422_611 Depth=1
	v_bfe_u32 v2, v3, 16, 1
	s_delay_alu instid0(VALU_DEP_1)
	v_add3_u32 v2, v3, v2, 0x7fff
                                        ; implicit-def: $vgpr3
; %bb.737:                              ;   in Loop: Header=BB422_611 Depth=1
	s_and_not1_saveexec_b32 s0, s0
; %bb.738:                              ;   in Loop: Header=BB422_611 Depth=1
	v_and_b32_e32 v2, 0xffff, v3
	v_or_b32_e32 v7, 0x10000, v3
	s_delay_alu instid0(VALU_DEP_2) | instskip(NEXT) | instid1(VALU_DEP_2)
	v_cmp_eq_u32_e32 vcc_lo, 0, v2
	v_cndmask_b32_e32 v2, v7, v3, vcc_lo
; %bb.739:                              ;   in Loop: Header=BB422_611 Depth=1
	s_or_b32 exec_lo, exec_lo, s0
	v_cmp_eq_u32_e32 vcc_lo, v27, v16
	v_add_nc_u32_e32 v50, -7, v15
	v_lshrrev_b32_e32 v6, 16, v6
	v_lshrrev_b32_e32 v7, 16, v54
	v_lshrrev_b32_e32 v9, 16, v53
	v_lshrrev_b32_e32 v68, 16, v52
	v_lshrrev_b32_e32 v67, 16, v51
	v_lshrrev_b32_e32 v8, 16, v8
	v_lshrrev_b32_e32 v3, 16, v55
	v_lshrrev_b32_e32 v2, 16, v2
	v_add_nc_u32_e32 v64, -6, v15
	v_add_nc_u32_e32 v55, -5, v15
	;; [unrolled: 1-line block ×6, first 2 shown]
	s_and_saveexec_b32 s9, vcc_lo
	s_cbranch_execz .LBB422_741
; %bb.740:                              ;   in Loop: Header=BB422_611 Depth=1
	v_cmp_lt_i32_e64 s0, v50, v32
	s_delay_alu instid0(VALU_DEP_1) | instskip(SKIP_1) | instid1(VALU_DEP_1)
	v_cndmask_b32_e64 v8, 0, v8, s0
	v_cmp_lt_i32_e64 s0, v64, v32
	v_cndmask_b32_e64 v67, 0, v67, s0
	v_cmp_lt_i32_e64 s0, v55, v32
	s_delay_alu instid0(VALU_DEP_1) | instskip(SKIP_1) | instid1(VALU_DEP_1)
	v_cndmask_b32_e64 v68, 0, v68, s0
	v_cmp_lt_i32_e64 s0, v54, v32
	v_cndmask_b32_e64 v9, 0, v9, s0
	;; [unrolled: 5-line block ×4, first 2 shown]
.LBB422_741:                            ;   in Loop: Header=BB422_611 Depth=1
	s_or_b32 exec_lo, exec_lo, s9
	v_and_b32_e32 v65, 0xffff0000, v65
	v_lshlrev_b32_e32 v8, 16, v8
	s_delay_alu instid0(VALU_DEP_1) | instskip(NEXT) | instid1(VALU_DEP_1)
	v_mul_f32_e32 v66, v65, v8
	v_and_b32_e32 v8, 0x7f800000, v66
	s_delay_alu instid0(VALU_DEP_1) | instskip(NEXT) | instid1(VALU_DEP_1)
	v_cmp_ne_u32_e64 s0, 0x7f800000, v8
                                        ; implicit-def: $vgpr8
	s_and_saveexec_b32 s9, s0
	s_delay_alu instid0(SALU_CYCLE_1)
	s_xor_b32 s0, exec_lo, s9
; %bb.742:                              ;   in Loop: Header=BB422_611 Depth=1
	v_bfe_u32 v8, v66, 16, 1
	s_delay_alu instid0(VALU_DEP_1)
	v_add3_u32 v8, v66, v8, 0x7fff
                                        ; implicit-def: $vgpr66
; %bb.743:                              ;   in Loop: Header=BB422_611 Depth=1
	s_and_not1_saveexec_b32 s9, s0
; %bb.744:                              ;   in Loop: Header=BB422_611 Depth=1
	v_and_b32_e32 v8, 0xffff, v66
	v_or_b32_e32 v69, 0x10000, v66
	s_delay_alu instid0(VALU_DEP_2) | instskip(NEXT) | instid1(VALU_DEP_1)
	v_cmp_eq_u32_e64 s0, 0, v8
	v_cndmask_b32_e64 v8, v69, v66, s0
; %bb.745:                              ;   in Loop: Header=BB422_611 Depth=1
	s_or_b32 exec_lo, exec_lo, s9
	v_and_b32_e32 v66, 0xffff0000, v29
	v_lshlrev_b32_e32 v29, 16, v67
	s_delay_alu instid0(VALU_DEP_1) | instskip(NEXT) | instid1(VALU_DEP_1)
	v_mul_f32_e32 v67, v66, v29
	v_and_b32_e32 v29, 0x7f800000, v67
	s_delay_alu instid0(VALU_DEP_1) | instskip(NEXT) | instid1(VALU_DEP_1)
	v_cmp_ne_u32_e64 s0, 0x7f800000, v29
                                        ; implicit-def: $vgpr29
	s_and_saveexec_b32 s9, s0
	s_delay_alu instid0(SALU_CYCLE_1)
	s_xor_b32 s0, exec_lo, s9
; %bb.746:                              ;   in Loop: Header=BB422_611 Depth=1
	v_bfe_u32 v29, v67, 16, 1
	s_delay_alu instid0(VALU_DEP_1)
	v_add3_u32 v29, v67, v29, 0x7fff
                                        ; implicit-def: $vgpr67
; %bb.747:                              ;   in Loop: Header=BB422_611 Depth=1
	s_and_not1_saveexec_b32 s9, s0
; %bb.748:                              ;   in Loop: Header=BB422_611 Depth=1
	v_and_b32_e32 v29, 0xffff, v67
	v_or_b32_e32 v69, 0x10000, v67
	s_delay_alu instid0(VALU_DEP_2) | instskip(NEXT) | instid1(VALU_DEP_1)
	v_cmp_eq_u32_e64 s0, 0, v29
	v_cndmask_b32_e64 v29, v69, v67, s0
; %bb.749:                              ;   in Loop: Header=BB422_611 Depth=1
	s_or_b32 exec_lo, exec_lo, s9
	v_and_b32_e32 v67, 0xffff0000, v36
	v_lshlrev_b32_e32 v36, 16, v68
	s_delay_alu instid0(VALU_DEP_1) | instskip(NEXT) | instid1(VALU_DEP_1)
	v_mul_f32_e32 v68, v67, v36
	v_and_b32_e32 v36, 0x7f800000, v68
	s_delay_alu instid0(VALU_DEP_1) | instskip(NEXT) | instid1(VALU_DEP_1)
	v_cmp_ne_u32_e64 s0, 0x7f800000, v36
                                        ; implicit-def: $vgpr36
	s_and_saveexec_b32 s9, s0
	s_delay_alu instid0(SALU_CYCLE_1)
	s_xor_b32 s0, exec_lo, s9
; %bb.750:                              ;   in Loop: Header=BB422_611 Depth=1
	v_bfe_u32 v36, v68, 16, 1
	s_delay_alu instid0(VALU_DEP_1)
	v_add3_u32 v36, v68, v36, 0x7fff
                                        ; implicit-def: $vgpr68
; %bb.751:                              ;   in Loop: Header=BB422_611 Depth=1
	s_and_not1_saveexec_b32 s9, s0
; %bb.752:                              ;   in Loop: Header=BB422_611 Depth=1
	v_and_b32_e32 v36, 0xffff, v68
	v_or_b32_e32 v69, 0x10000, v68
	s_delay_alu instid0(VALU_DEP_2) | instskip(NEXT) | instid1(VALU_DEP_1)
	v_cmp_eq_u32_e64 s0, 0, v36
	v_cndmask_b32_e64 v36, v69, v68, s0
; %bb.753:                              ;   in Loop: Header=BB422_611 Depth=1
	s_or_b32 exec_lo, exec_lo, s9
	v_and_b32_e32 v68, 0xffff0000, v37
	v_lshlrev_b32_e32 v9, 16, v9
	s_delay_alu instid0(VALU_DEP_1) | instskip(NEXT) | instid1(VALU_DEP_1)
	v_mul_f32_e32 v9, v68, v9
	v_and_b32_e32 v37, 0x7f800000, v9
	s_delay_alu instid0(VALU_DEP_1) | instskip(NEXT) | instid1(VALU_DEP_1)
	v_cmp_ne_u32_e64 s0, 0x7f800000, v37
                                        ; implicit-def: $vgpr37
	s_and_saveexec_b32 s9, s0
	s_delay_alu instid0(SALU_CYCLE_1)
	s_xor_b32 s0, exec_lo, s9
; %bb.754:                              ;   in Loop: Header=BB422_611 Depth=1
	v_bfe_u32 v37, v9, 16, 1
	s_delay_alu instid0(VALU_DEP_1)
	v_add3_u32 v37, v9, v37, 0x7fff
                                        ; implicit-def: $vgpr9
; %bb.755:                              ;   in Loop: Header=BB422_611 Depth=1
	s_and_not1_saveexec_b32 s9, s0
; %bb.756:                              ;   in Loop: Header=BB422_611 Depth=1
	v_and_b32_e32 v37, 0xffff, v9
	v_or_b32_e32 v69, 0x10000, v9
	s_delay_alu instid0(VALU_DEP_2) | instskip(NEXT) | instid1(VALU_DEP_1)
	v_cmp_eq_u32_e64 s0, 0, v37
	v_cndmask_b32_e64 v37, v69, v9, s0
; %bb.757:                              ;   in Loop: Header=BB422_611 Depth=1
	s_or_b32 exec_lo, exec_lo, s9
	v_and_b32_e32 v69, 0xffff0000, v38
	v_lshlrev_b32_e32 v7, 16, v7
                                        ; implicit-def: $vgpr38
	s_delay_alu instid0(VALU_DEP_1) | instskip(NEXT) | instid1(VALU_DEP_1)
	v_mul_f32_e32 v7, v69, v7
	v_and_b32_e32 v9, 0x7f800000, v7
	s_delay_alu instid0(VALU_DEP_1) | instskip(NEXT) | instid1(VALU_DEP_1)
	v_cmp_ne_u32_e64 s0, 0x7f800000, v9
	s_and_saveexec_b32 s9, s0
	s_delay_alu instid0(SALU_CYCLE_1)
	s_xor_b32 s0, exec_lo, s9
; %bb.758:                              ;   in Loop: Header=BB422_611 Depth=1
	v_bfe_u32 v9, v7, 16, 1
	s_delay_alu instid0(VALU_DEP_1)
	v_add3_u32 v38, v7, v9, 0x7fff
                                        ; implicit-def: $vgpr7
; %bb.759:                              ;   in Loop: Header=BB422_611 Depth=1
	s_and_not1_saveexec_b32 s9, s0
; %bb.760:                              ;   in Loop: Header=BB422_611 Depth=1
	v_and_b32_e32 v9, 0xffff, v7
	v_or_b32_e32 v38, 0x10000, v7
	s_delay_alu instid0(VALU_DEP_2) | instskip(NEXT) | instid1(VALU_DEP_1)
	v_cmp_eq_u32_e64 s0, 0, v9
	v_cndmask_b32_e64 v38, v38, v7, s0
; %bb.761:                              ;   in Loop: Header=BB422_611 Depth=1
	s_or_b32 exec_lo, exec_lo, s9
	v_and_b32_e32 v70, 0xffff0000, v39
	v_lshlrev_b32_e32 v6, 16, v6
                                        ; implicit-def: $vgpr39
	s_delay_alu instid0(VALU_DEP_1) | instskip(NEXT) | instid1(VALU_DEP_1)
	v_mul_f32_e32 v6, v70, v6
	v_and_b32_e32 v7, 0x7f800000, v6
	s_delay_alu instid0(VALU_DEP_1) | instskip(NEXT) | instid1(VALU_DEP_1)
	v_cmp_ne_u32_e64 s0, 0x7f800000, v7
	s_and_saveexec_b32 s9, s0
	s_delay_alu instid0(SALU_CYCLE_1)
	s_xor_b32 s0, exec_lo, s9
; %bb.762:                              ;   in Loop: Header=BB422_611 Depth=1
	v_bfe_u32 v7, v6, 16, 1
	s_delay_alu instid0(VALU_DEP_1)
	v_add3_u32 v39, v6, v7, 0x7fff
                                        ; implicit-def: $vgpr6
; %bb.763:                              ;   in Loop: Header=BB422_611 Depth=1
	s_and_not1_saveexec_b32 s9, s0
; %bb.764:                              ;   in Loop: Header=BB422_611 Depth=1
	v_and_b32_e32 v7, 0xffff, v6
	v_or_b32_e32 v9, 0x10000, v6
	s_delay_alu instid0(VALU_DEP_2) | instskip(NEXT) | instid1(VALU_DEP_1)
	v_cmp_eq_u32_e64 s0, 0, v7
	v_cndmask_b32_e64 v39, v9, v6, s0
; %bb.765:                              ;   in Loop: Header=BB422_611 Depth=1
	s_or_b32 exec_lo, exec_lo, s9
	v_and_b32_e32 v71, 0xffff0000, v48
	v_lshlrev_b32_e32 v3, 16, v3
                                        ; implicit-def: $vgpr48
	s_delay_alu instid0(VALU_DEP_1) | instskip(NEXT) | instid1(VALU_DEP_1)
	v_mul_f32_e32 v3, v71, v3
	v_and_b32_e32 v6, 0x7f800000, v3
	s_delay_alu instid0(VALU_DEP_1) | instskip(NEXT) | instid1(VALU_DEP_1)
	v_cmp_ne_u32_e64 s0, 0x7f800000, v6
	s_and_saveexec_b32 s9, s0
	s_delay_alu instid0(SALU_CYCLE_1)
	s_xor_b32 s0, exec_lo, s9
; %bb.766:                              ;   in Loop: Header=BB422_611 Depth=1
	v_bfe_u32 v6, v3, 16, 1
	s_delay_alu instid0(VALU_DEP_1)
	v_add3_u32 v48, v3, v6, 0x7fff
                                        ; implicit-def: $vgpr3
; %bb.767:                              ;   in Loop: Header=BB422_611 Depth=1
	s_and_not1_saveexec_b32 s9, s0
; %bb.768:                              ;   in Loop: Header=BB422_611 Depth=1
	v_and_b32_e32 v6, 0xffff, v3
	v_or_b32_e32 v7, 0x10000, v3
	s_delay_alu instid0(VALU_DEP_2) | instskip(NEXT) | instid1(VALU_DEP_1)
	v_cmp_eq_u32_e64 s0, 0, v6
	v_cndmask_b32_e64 v48, v7, v3, s0
; %bb.769:                              ;   in Loop: Header=BB422_611 Depth=1
	s_or_b32 exec_lo, exec_lo, s9
	v_and_b32_e32 v80, 0xffff0000, v49
	v_lshlrev_b32_e32 v2, 16, v2
                                        ; implicit-def: $vgpr49
	s_delay_alu instid0(VALU_DEP_1) | instskip(NEXT) | instid1(VALU_DEP_1)
	v_mul_f32_e32 v2, v80, v2
	v_and_b32_e32 v3, 0x7f800000, v2
	s_delay_alu instid0(VALU_DEP_1) | instskip(NEXT) | instid1(VALU_DEP_1)
	v_cmp_ne_u32_e64 s0, 0x7f800000, v3
	s_and_saveexec_b32 s9, s0
	s_delay_alu instid0(SALU_CYCLE_1)
	s_xor_b32 s0, exec_lo, s9
; %bb.770:                              ;   in Loop: Header=BB422_611 Depth=1
	v_bfe_u32 v3, v2, 16, 1
	s_delay_alu instid0(VALU_DEP_1)
	v_add3_u32 v49, v2, v3, 0x7fff
                                        ; implicit-def: $vgpr2
; %bb.771:                              ;   in Loop: Header=BB422_611 Depth=1
	s_and_not1_saveexec_b32 s9, s0
; %bb.772:                              ;   in Loop: Header=BB422_611 Depth=1
	v_and_b32_e32 v3, 0xffff, v2
	v_or_b32_e32 v6, 0x10000, v2
	s_delay_alu instid0(VALU_DEP_2) | instskip(NEXT) | instid1(VALU_DEP_1)
	v_cmp_eq_u32_e64 s0, 0, v3
	v_cndmask_b32_e64 v49, v6, v2, s0
; %bb.773:                              ;   in Loop: Header=BB422_611 Depth=1
	s_or_b32 exec_lo, exec_lo, s9
	flat_load_b64 v[2:3], v[0:1] offset:256
	s_mov_b32 s9, exec_lo
	s_waitcnt vmcnt(0) lgkmcnt(0)
	v_dual_mov_b32 v6, 0 :: v_dual_and_b32 v7, 0xff, v2
	s_delay_alu instid0(VALU_DEP_1)
	v_cmpx_ne_u16_e32 0, v7
	s_cbranch_execz .LBB422_781
; %bb.774:                              ;   in Loop: Header=BB422_611 Depth=1
	v_bfrev_b32_e32 v6, 1
	s_mov_b32 s12, exec_lo
	v_cmpx_ne_u16_e32 0x80, v7
	s_cbranch_execz .LBB422_780
; %bb.775:                              ;   in Loop: Header=BB422_611 Depth=1
	v_and_b32_e32 v7, 0x7f, v2
	v_mov_b32_e32 v6, 0x7f800001
	s_mov_b32 s13, exec_lo
	s_delay_alu instid0(VALU_DEP_2)
	v_cmpx_ne_u32_e32 0x7f, v7
	s_cbranch_execz .LBB422_779
; %bb.776:                              ;   in Loop: Header=BB422_611 Depth=1
	v_lshrrev_b32_e32 v9, 3, v7
	v_cmp_gt_u32_e64 s0, 8, v7
	v_dual_mov_b32 v7, v3 :: v_dual_mov_b32 v6, v2
	s_delay_alu instid0(VALU_DEP_2)
	s_and_saveexec_b32 s15, s0
; %bb.777:                              ;   in Loop: Header=BB422_611 Depth=1
	v_and_b32_e32 v6, 7, v2
	s_delay_alu instid0(VALU_DEP_1) | instskip(NEXT) | instid1(VALU_DEP_1)
	v_clz_i32_u32_e32 v6, v6
	v_min_u32_e32 v9, 32, v6
	s_delay_alu instid0(VALU_DEP_1) | instskip(SKIP_1) | instid1(VALU_DEP_2)
	v_subrev_nc_u32_e32 v6, 28, v9
	v_sub_nc_u32_e32 v9, 29, v9
	v_lshlrev_b64 v[6:7], v6, v[2:3]
; %bb.778:                              ;   in Loop: Header=BB422_611 Depth=1
	s_or_b32 exec_lo, exec_lo, s15
	s_delay_alu instid0(VALU_DEP_1) | instskip(SKIP_2) | instid1(VALU_DEP_3)
	v_lshlrev_b32_e32 v6, 20, v6
	v_lshlrev_b32_e32 v7, 24, v2
	v_lshl_add_u32 v9, v9, 23, 0x3c000000
	v_and_b32_e32 v6, 0x700000, v6
	s_delay_alu instid0(VALU_DEP_3) | instskip(NEXT) | instid1(VALU_DEP_1)
	v_and_b32_e32 v7, 0x80000000, v7
	v_or3_b32 v6, v6, v7, v9
.LBB422_779:                            ;   in Loop: Header=BB422_611 Depth=1
	s_or_b32 exec_lo, exec_lo, s13
.LBB422_780:                            ;   in Loop: Header=BB422_611 Depth=1
	s_delay_alu instid0(SALU_CYCLE_1)
	s_or_b32 exec_lo, exec_lo, s12
.LBB422_781:                            ;   in Loop: Header=BB422_611 Depth=1
	s_delay_alu instid0(SALU_CYCLE_1) | instskip(NEXT) | instid1(VALU_DEP_1)
	s_or_b32 exec_lo, exec_lo, s9
	v_mul_f32_e32 v6, v26, v6
                                        ; implicit-def: $vgpr81
	s_delay_alu instid0(VALU_DEP_1) | instskip(NEXT) | instid1(VALU_DEP_1)
	v_and_b32_e32 v7, 0x7f800000, v6
	v_cmp_ne_u32_e64 s0, 0x7f800000, v7
	s_delay_alu instid0(VALU_DEP_1) | instskip(NEXT) | instid1(SALU_CYCLE_1)
	s_and_saveexec_b32 s9, s0
	s_xor_b32 s0, exec_lo, s9
; %bb.782:                              ;   in Loop: Header=BB422_611 Depth=1
	v_bfe_u32 v7, v6, 16, 1
	s_delay_alu instid0(VALU_DEP_1)
	v_add3_u32 v81, v6, v7, 0x7fff
                                        ; implicit-def: $vgpr6
; %bb.783:                              ;   in Loop: Header=BB422_611 Depth=1
	s_and_not1_saveexec_b32 s9, s0
; %bb.784:                              ;   in Loop: Header=BB422_611 Depth=1
	v_and_b32_e32 v7, 0xffff, v6
	v_or_b32_e32 v9, 0x10000, v6
	s_delay_alu instid0(VALU_DEP_2) | instskip(NEXT) | instid1(VALU_DEP_1)
	v_cmp_eq_u32_e64 s0, 0, v7
	v_cndmask_b32_e64 v81, v9, v6, s0
; %bb.785:                              ;   in Loop: Header=BB422_611 Depth=1
	s_or_b32 exec_lo, exec_lo, s9
	v_lshrrev_b16 v7, 8, v2
	v_mov_b32_e32 v6, 0
	s_mov_b32 s9, exec_lo
	s_delay_alu instid0(VALU_DEP_2)
	v_cmpx_ne_u16_e32 0, v7
	s_cbranch_execz .LBB422_793
; %bb.786:                              ;   in Loop: Header=BB422_611 Depth=1
	v_bfrev_b32_e32 v6, 1
	s_mov_b32 s12, exec_lo
	v_cmpx_ne_u16_e32 0x80, v7
	s_cbranch_execz .LBB422_792
; %bb.787:                              ;   in Loop: Header=BB422_611 Depth=1
	v_and_b32_e32 v9, 0xffff, v7
	v_mov_b32_e32 v6, 0x7f800001
	s_mov_b32 s13, exec_lo
	s_delay_alu instid0(VALU_DEP_2) | instskip(NEXT) | instid1(VALU_DEP_1)
	v_and_b32_e32 v7, 0x7f, v9
	v_cmpx_ne_u32_e32 0x7f, v7
	s_cbranch_execz .LBB422_791
; %bb.788:                              ;   in Loop: Header=BB422_611 Depth=1
	v_and_b32_e32 v9, 7, v9
	v_lshrrev_b32_e32 v6, 3, v7
	s_mov_b32 s15, exec_lo
	v_cmpx_gt_u32_e32 8, v7
; %bb.789:                              ;   in Loop: Header=BB422_611 Depth=1
	s_delay_alu instid0(VALU_DEP_3) | instskip(NEXT) | instid1(VALU_DEP_1)
	v_clz_i32_u32_e32 v6, v9
	v_min_u32_e32 v6, 32, v6
	s_delay_alu instid0(VALU_DEP_1) | instskip(SKIP_1) | instid1(VALU_DEP_2)
	v_subrev_nc_u32_e32 v7, 28, v6
	v_sub_nc_u32_e32 v6, 29, v6
	v_lshlrev_b64 v[82:83], v7, v[9:10]
	s_delay_alu instid0(VALU_DEP_1)
	v_and_b32_e32 v9, 7, v82
; %bb.790:                              ;   in Loop: Header=BB422_611 Depth=1
	s_or_b32 exec_lo, exec_lo, s15
	v_lshlrev_b32_e32 v7, 16, v2
	s_delay_alu instid0(VALU_DEP_2) | instskip(SKIP_1) | instid1(VALU_DEP_3)
	v_lshlrev_b32_e32 v9, 20, v9
	v_lshl_add_u32 v6, v6, 23, 0x3c000000
	v_and_b32_e32 v7, 0x80000000, v7
	s_delay_alu instid0(VALU_DEP_1)
	v_or3_b32 v6, v9, v7, v6
.LBB422_791:                            ;   in Loop: Header=BB422_611 Depth=1
	s_or_b32 exec_lo, exec_lo, s13
.LBB422_792:                            ;   in Loop: Header=BB422_611 Depth=1
	s_delay_alu instid0(SALU_CYCLE_1)
	s_or_b32 exec_lo, exec_lo, s12
.LBB422_793:                            ;   in Loop: Header=BB422_611 Depth=1
	s_delay_alu instid0(SALU_CYCLE_1) | instskip(NEXT) | instid1(VALU_DEP_1)
	s_or_b32 exec_lo, exec_lo, s9
	v_mul_f32_e32 v6, v26, v6
                                        ; implicit-def: $vgpr82
	s_delay_alu instid0(VALU_DEP_1) | instskip(NEXT) | instid1(VALU_DEP_1)
	v_and_b32_e32 v7, 0x7f800000, v6
	v_cmp_ne_u32_e64 s0, 0x7f800000, v7
	s_delay_alu instid0(VALU_DEP_1) | instskip(NEXT) | instid1(SALU_CYCLE_1)
	s_and_saveexec_b32 s9, s0
	s_xor_b32 s0, exec_lo, s9
; %bb.794:                              ;   in Loop: Header=BB422_611 Depth=1
	v_bfe_u32 v7, v6, 16, 1
	s_delay_alu instid0(VALU_DEP_1)
	v_add3_u32 v82, v6, v7, 0x7fff
                                        ; implicit-def: $vgpr6
; %bb.795:                              ;   in Loop: Header=BB422_611 Depth=1
	s_and_not1_saveexec_b32 s9, s0
; %bb.796:                              ;   in Loop: Header=BB422_611 Depth=1
	v_and_b32_e32 v7, 0xffff, v6
	v_or_b32_e32 v9, 0x10000, v6
	s_delay_alu instid0(VALU_DEP_2) | instskip(NEXT) | instid1(VALU_DEP_1)
	v_cmp_eq_u32_e64 s0, 0, v7
	v_cndmask_b32_e64 v82, v9, v6, s0
; %bb.797:                              ;   in Loop: Header=BB422_611 Depth=1
	s_or_b32 exec_lo, exec_lo, s9
	v_lshrrev_b32_e32 v6, 16, v2
	v_mov_b32_e32 v7, 0
	s_mov_b32 s9, exec_lo
	s_delay_alu instid0(VALU_DEP_2) | instskip(NEXT) | instid1(VALU_DEP_1)
	v_and_b32_e32 v9, 0xff, v6
	v_cmpx_ne_u16_e32 0, v9
	s_cbranch_execz .LBB422_805
; %bb.798:                              ;   in Loop: Header=BB422_611 Depth=1
	v_bfrev_b32_e32 v7, 1
	s_mov_b32 s12, exec_lo
	v_cmpx_ne_u16_e32 0x80, v9
	s_cbranch_execz .LBB422_804
; %bb.799:                              ;   in Loop: Header=BB422_611 Depth=1
	v_bfe_u32 v83, v2, 16, 7
	v_mov_b32_e32 v7, 0x7f800001
	s_mov_b32 s13, exec_lo
	s_delay_alu instid0(VALU_DEP_2)
	v_cmpx_ne_u32_e32 0x7f, v83
	s_cbranch_execz .LBB422_803
; %bb.800:                              ;   in Loop: Header=BB422_611 Depth=1
	v_and_b32_e32 v9, 7, v6
	v_lshrrev_b32_e32 v7, 3, v83
	s_mov_b32 s15, exec_lo
	v_cmpx_gt_u32_e32 8, v83
; %bb.801:                              ;   in Loop: Header=BB422_611 Depth=1
	s_delay_alu instid0(VALU_DEP_3) | instskip(NEXT) | instid1(VALU_DEP_1)
	v_clz_i32_u32_e32 v7, v9
	v_min_u32_e32 v7, 32, v7
	s_delay_alu instid0(VALU_DEP_1) | instskip(SKIP_1) | instid1(VALU_DEP_2)
	v_subrev_nc_u32_e32 v83, 28, v7
	v_sub_nc_u32_e32 v7, 29, v7
	v_lshlrev_b64 v[83:84], v83, v[9:10]
	s_delay_alu instid0(VALU_DEP_1)
	v_and_b32_e32 v9, 7, v83
; %bb.802:                              ;   in Loop: Header=BB422_611 Depth=1
	s_or_b32 exec_lo, exec_lo, s15
	v_lshlrev_b32_e32 v6, 24, v6
	s_delay_alu instid0(VALU_DEP_2) | instskip(SKIP_1) | instid1(VALU_DEP_3)
	v_lshlrev_b32_e32 v9, 20, v9
	v_lshl_add_u32 v7, v7, 23, 0x3c000000
	v_and_b32_e32 v6, 0x80000000, v6
	s_delay_alu instid0(VALU_DEP_1)
	v_or3_b32 v7, v9, v6, v7
.LBB422_803:                            ;   in Loop: Header=BB422_611 Depth=1
	s_or_b32 exec_lo, exec_lo, s13
.LBB422_804:                            ;   in Loop: Header=BB422_611 Depth=1
	s_delay_alu instid0(SALU_CYCLE_1)
	s_or_b32 exec_lo, exec_lo, s12
.LBB422_805:                            ;   in Loop: Header=BB422_611 Depth=1
	s_delay_alu instid0(SALU_CYCLE_1) | instskip(NEXT) | instid1(VALU_DEP_1)
	s_or_b32 exec_lo, exec_lo, s9
	v_mul_f32_e32 v6, v26, v7
                                        ; implicit-def: $vgpr83
	s_delay_alu instid0(VALU_DEP_1) | instskip(NEXT) | instid1(VALU_DEP_1)
	v_and_b32_e32 v7, 0x7f800000, v6
	v_cmp_ne_u32_e64 s0, 0x7f800000, v7
	s_delay_alu instid0(VALU_DEP_1) | instskip(NEXT) | instid1(SALU_CYCLE_1)
	s_and_saveexec_b32 s9, s0
	s_xor_b32 s0, exec_lo, s9
; %bb.806:                              ;   in Loop: Header=BB422_611 Depth=1
	v_bfe_u32 v7, v6, 16, 1
	s_delay_alu instid0(VALU_DEP_1)
	v_add3_u32 v83, v6, v7, 0x7fff
                                        ; implicit-def: $vgpr6
; %bb.807:                              ;   in Loop: Header=BB422_611 Depth=1
	s_and_not1_saveexec_b32 s9, s0
; %bb.808:                              ;   in Loop: Header=BB422_611 Depth=1
	v_and_b32_e32 v7, 0xffff, v6
	v_or_b32_e32 v9, 0x10000, v6
	s_delay_alu instid0(VALU_DEP_2) | instskip(NEXT) | instid1(VALU_DEP_1)
	v_cmp_eq_u32_e64 s0, 0, v7
	v_cndmask_b32_e64 v83, v9, v6, s0
; %bb.809:                              ;   in Loop: Header=BB422_611 Depth=1
	s_or_b32 exec_lo, exec_lo, s9
	v_mov_b32_e32 v7, 0
	s_mov_b32 s9, exec_lo
	v_cmpx_lt_u32_e32 0xffffff, v2
	s_cbranch_execz .LBB422_817
; %bb.810:                              ;   in Loop: Header=BB422_611 Depth=1
	v_lshrrev_b32_e32 v6, 24, v2
	v_bfrev_b32_e32 v7, 1
	s_mov_b32 s12, exec_lo
	s_delay_alu instid0(VALU_DEP_2)
	v_cmpx_ne_u32_e32 0x80, v6
	s_cbranch_execz .LBB422_816
; %bb.811:                              ;   in Loop: Header=BB422_611 Depth=1
	v_bfe_u32 v84, v2, 24, 7
	v_mov_b32_e32 v7, 0x7f800001
	s_mov_b32 s13, exec_lo
	s_delay_alu instid0(VALU_DEP_2)
	v_cmpx_ne_u32_e32 0x7f, v84
	s_cbranch_execz .LBB422_815
; %bb.812:                              ;   in Loop: Header=BB422_611 Depth=1
	v_and_b32_e32 v9, 7, v6
	v_lshrrev_b32_e32 v7, 3, v84
	s_mov_b32 s15, exec_lo
	v_cmpx_gt_u32_e32 8, v84
; %bb.813:                              ;   in Loop: Header=BB422_611 Depth=1
	s_delay_alu instid0(VALU_DEP_3) | instskip(NEXT) | instid1(VALU_DEP_1)
	v_clz_i32_u32_e32 v7, v9
	v_min_u32_e32 v7, 32, v7
	s_delay_alu instid0(VALU_DEP_1) | instskip(SKIP_1) | instid1(VALU_DEP_2)
	v_subrev_nc_u32_e32 v84, 28, v7
	v_sub_nc_u32_e32 v7, 29, v7
	v_lshlrev_b64 v[84:85], v84, v[9:10]
	s_delay_alu instid0(VALU_DEP_1)
	v_and_b32_e32 v9, 7, v84
; %bb.814:                              ;   in Loop: Header=BB422_611 Depth=1
	s_or_b32 exec_lo, exec_lo, s15
	v_lshlrev_b32_e32 v6, 24, v6
	s_delay_alu instid0(VALU_DEP_2) | instskip(SKIP_1) | instid1(VALU_DEP_3)
	v_lshlrev_b32_e32 v9, 20, v9
	v_lshl_add_u32 v7, v7, 23, 0x3c000000
	v_and_b32_e32 v6, 0x80000000, v6
	s_delay_alu instid0(VALU_DEP_1)
	v_or3_b32 v7, v9, v6, v7
.LBB422_815:                            ;   in Loop: Header=BB422_611 Depth=1
	s_or_b32 exec_lo, exec_lo, s13
.LBB422_816:                            ;   in Loop: Header=BB422_611 Depth=1
	s_delay_alu instid0(SALU_CYCLE_1)
	s_or_b32 exec_lo, exec_lo, s12
.LBB422_817:                            ;   in Loop: Header=BB422_611 Depth=1
	s_delay_alu instid0(SALU_CYCLE_1) | instskip(NEXT) | instid1(VALU_DEP_1)
	s_or_b32 exec_lo, exec_lo, s9
	v_mul_f32_e32 v6, v26, v7
                                        ; implicit-def: $vgpr84
	s_delay_alu instid0(VALU_DEP_1) | instskip(NEXT) | instid1(VALU_DEP_1)
	v_and_b32_e32 v7, 0x7f800000, v6
	v_cmp_ne_u32_e64 s0, 0x7f800000, v7
	s_delay_alu instid0(VALU_DEP_1) | instskip(NEXT) | instid1(SALU_CYCLE_1)
	s_and_saveexec_b32 s9, s0
	s_xor_b32 s0, exec_lo, s9
; %bb.818:                              ;   in Loop: Header=BB422_611 Depth=1
	v_bfe_u32 v7, v6, 16, 1
	s_delay_alu instid0(VALU_DEP_1)
	v_add3_u32 v84, v6, v7, 0x7fff
                                        ; implicit-def: $vgpr6
; %bb.819:                              ;   in Loop: Header=BB422_611 Depth=1
	s_and_not1_saveexec_b32 s9, s0
; %bb.820:                              ;   in Loop: Header=BB422_611 Depth=1
	v_and_b32_e32 v7, 0xffff, v6
	v_or_b32_e32 v9, 0x10000, v6
	s_delay_alu instid0(VALU_DEP_2) | instskip(NEXT) | instid1(VALU_DEP_1)
	v_cmp_eq_u32_e64 s0, 0, v7
	v_cndmask_b32_e64 v84, v9, v6, s0
; %bb.821:                              ;   in Loop: Header=BB422_611 Depth=1
	s_or_b32 exec_lo, exec_lo, s9
	v_dual_mov_b32 v6, 0 :: v_dual_and_b32 v7, 0xff, v3
	v_mov_b32_e32 v9, v3
	s_mov_b32 s9, exec_lo
	s_delay_alu instid0(VALU_DEP_2)
	v_cmpx_ne_u16_e32 0, v7
	s_cbranch_execz .LBB422_829
; %bb.822:                              ;   in Loop: Header=BB422_611 Depth=1
	v_bfrev_b32_e32 v6, 1
	s_mov_b32 s12, exec_lo
	v_cmpx_ne_u16_e32 0x80, v7
	s_cbranch_execz .LBB422_828
; %bb.823:                              ;   in Loop: Header=BB422_611 Depth=1
	v_and_b32_e32 v7, 0x7f, v3
	v_mov_b32_e32 v6, 0x7f800001
	s_mov_b32 s13, exec_lo
	s_delay_alu instid0(VALU_DEP_2)
	v_cmpx_ne_u32_e32 0x7f, v7
	s_cbranch_execz .LBB422_827
; %bb.824:                              ;   in Loop: Header=BB422_611 Depth=1
	v_lshrrev_b32_e32 v85, 3, v7
	v_cmp_gt_u32_e64 s0, 8, v7
	v_dual_mov_b32 v6, v9 :: v_dual_mov_b32 v7, v10
	s_delay_alu instid0(VALU_DEP_2)
	s_and_saveexec_b32 s15, s0
; %bb.825:                              ;   in Loop: Header=BB422_611 Depth=1
	v_and_b32_e32 v6, 7, v3
	s_delay_alu instid0(VALU_DEP_1) | instskip(NEXT) | instid1(VALU_DEP_1)
	v_clz_i32_u32_e32 v6, v6
	v_min_u32_e32 v85, 32, v6
	s_delay_alu instid0(VALU_DEP_1) | instskip(SKIP_1) | instid1(VALU_DEP_2)
	v_subrev_nc_u32_e32 v6, 28, v85
	v_sub_nc_u32_e32 v85, 29, v85
	v_lshlrev_b64 v[6:7], v6, v[9:10]
; %bb.826:                              ;   in Loop: Header=BB422_611 Depth=1
	s_or_b32 exec_lo, exec_lo, s15
	s_delay_alu instid0(VALU_DEP_1) | instskip(SKIP_2) | instid1(VALU_DEP_3)
	v_lshlrev_b32_e32 v6, 20, v6
	v_lshlrev_b32_e32 v7, 24, v9
	v_lshl_add_u32 v85, v85, 23, 0x3c000000
	v_and_b32_e32 v6, 0x700000, v6
	s_delay_alu instid0(VALU_DEP_3) | instskip(NEXT) | instid1(VALU_DEP_1)
	v_and_b32_e32 v7, 0x80000000, v7
	v_or3_b32 v6, v6, v7, v85
.LBB422_827:                            ;   in Loop: Header=BB422_611 Depth=1
	s_or_b32 exec_lo, exec_lo, s13
.LBB422_828:                            ;   in Loop: Header=BB422_611 Depth=1
	s_delay_alu instid0(SALU_CYCLE_1)
	s_or_b32 exec_lo, exec_lo, s12
.LBB422_829:                            ;   in Loop: Header=BB422_611 Depth=1
	s_delay_alu instid0(SALU_CYCLE_1) | instskip(NEXT) | instid1(VALU_DEP_1)
	s_or_b32 exec_lo, exec_lo, s9
	v_mul_f32_e32 v6, v26, v6
                                        ; implicit-def: $vgpr85
	s_delay_alu instid0(VALU_DEP_1) | instskip(NEXT) | instid1(VALU_DEP_1)
	v_and_b32_e32 v7, 0x7f800000, v6
	v_cmp_ne_u32_e64 s0, 0x7f800000, v7
	s_delay_alu instid0(VALU_DEP_1) | instskip(NEXT) | instid1(SALU_CYCLE_1)
	s_and_saveexec_b32 s9, s0
	s_xor_b32 s0, exec_lo, s9
; %bb.830:                              ;   in Loop: Header=BB422_611 Depth=1
	v_bfe_u32 v7, v6, 16, 1
	s_delay_alu instid0(VALU_DEP_1)
	v_add3_u32 v85, v6, v7, 0x7fff
                                        ; implicit-def: $vgpr6
; %bb.831:                              ;   in Loop: Header=BB422_611 Depth=1
	s_and_not1_saveexec_b32 s9, s0
; %bb.832:                              ;   in Loop: Header=BB422_611 Depth=1
	v_and_b32_e32 v7, 0xffff, v6
	v_or_b32_e32 v85, 0x10000, v6
	s_delay_alu instid0(VALU_DEP_2) | instskip(NEXT) | instid1(VALU_DEP_1)
	v_cmp_eq_u32_e64 s0, 0, v7
	v_cndmask_b32_e64 v85, v85, v6, s0
; %bb.833:                              ;   in Loop: Header=BB422_611 Depth=1
	s_or_b32 exec_lo, exec_lo, s9
	v_lshrrev_b16 v7, 8, v9
	v_mov_b32_e32 v6, 0
	s_mov_b32 s9, exec_lo
	s_delay_alu instid0(VALU_DEP_2)
	v_cmpx_ne_u16_e32 0, v7
	s_cbranch_execz .LBB422_841
; %bb.834:                              ;   in Loop: Header=BB422_611 Depth=1
	v_bfrev_b32_e32 v6, 1
	s_mov_b32 s12, exec_lo
	v_cmpx_ne_u16_e32 0x80, v7
	s_cbranch_execz .LBB422_840
; %bb.835:                              ;   in Loop: Header=BB422_611 Depth=1
	v_and_b32_e32 v7, 0xffff, v7
	v_mov_b32_e32 v6, 0x7f800001
	s_mov_b32 s13, exec_lo
	s_delay_alu instid0(VALU_DEP_2) | instskip(NEXT) | instid1(VALU_DEP_1)
	v_and_b32_e32 v87, 0x7f, v7
	v_cmpx_ne_u32_e32 0x7f, v87
	s_cbranch_execz .LBB422_839
; %bb.836:                              ;   in Loop: Header=BB422_611 Depth=1
	v_dual_mov_b32 v7, v10 :: v_dual_and_b32 v6, 7, v7
	v_lshrrev_b32_e32 v86, 3, v87
	s_mov_b32 s15, exec_lo
	v_cmpx_gt_u32_e32 8, v87
; %bb.837:                              ;   in Loop: Header=BB422_611 Depth=1
	s_delay_alu instid0(VALU_DEP_3) | instskip(NEXT) | instid1(VALU_DEP_1)
	v_clz_i32_u32_e32 v86, v6
	v_min_u32_e32 v86, 32, v86
	s_delay_alu instid0(VALU_DEP_1) | instskip(SKIP_1) | instid1(VALU_DEP_2)
	v_subrev_nc_u32_e32 v87, 28, v86
	v_sub_nc_u32_e32 v86, 29, v86
	v_lshlrev_b64 v[6:7], v87, v[6:7]
	s_delay_alu instid0(VALU_DEP_1)
	v_and_b32_e32 v6, 7, v6
; %bb.838:                              ;   in Loop: Header=BB422_611 Depth=1
	s_or_b32 exec_lo, exec_lo, s15
	v_lshlrev_b32_e32 v7, 16, v9
	s_delay_alu instid0(VALU_DEP_2) | instskip(SKIP_1) | instid1(VALU_DEP_3)
	v_lshlrev_b32_e32 v6, 20, v6
	v_lshl_add_u32 v9, v86, 23, 0x3c000000
	v_and_b32_e32 v7, 0x80000000, v7
	s_delay_alu instid0(VALU_DEP_1)
	v_or3_b32 v6, v6, v7, v9
.LBB422_839:                            ;   in Loop: Header=BB422_611 Depth=1
	s_or_b32 exec_lo, exec_lo, s13
.LBB422_840:                            ;   in Loop: Header=BB422_611 Depth=1
	s_delay_alu instid0(SALU_CYCLE_1)
	s_or_b32 exec_lo, exec_lo, s12
.LBB422_841:                            ;   in Loop: Header=BB422_611 Depth=1
	s_delay_alu instid0(SALU_CYCLE_1) | instskip(NEXT) | instid1(VALU_DEP_1)
	s_or_b32 exec_lo, exec_lo, s9
	v_mul_f32_e32 v7, v26, v6
	s_delay_alu instid0(VALU_DEP_1) | instskip(NEXT) | instid1(VALU_DEP_1)
	v_and_b32_e32 v6, 0x7f800000, v7
	v_cmp_ne_u32_e64 s0, 0x7f800000, v6
                                        ; implicit-def: $vgpr6
	s_delay_alu instid0(VALU_DEP_1) | instskip(NEXT) | instid1(SALU_CYCLE_1)
	s_and_saveexec_b32 s9, s0
	s_xor_b32 s0, exec_lo, s9
; %bb.842:                              ;   in Loop: Header=BB422_611 Depth=1
	v_bfe_u32 v6, v7, 16, 1
	s_delay_alu instid0(VALU_DEP_1)
	v_add3_u32 v6, v7, v6, 0x7fff
                                        ; implicit-def: $vgpr7
; %bb.843:                              ;   in Loop: Header=BB422_611 Depth=1
	s_and_not1_saveexec_b32 s9, s0
; %bb.844:                              ;   in Loop: Header=BB422_611 Depth=1
	v_and_b32_e32 v6, 0xffff, v7
	v_or_b32_e32 v9, 0x10000, v7
	s_delay_alu instid0(VALU_DEP_2) | instskip(NEXT) | instid1(VALU_DEP_1)
	v_cmp_eq_u32_e64 s0, 0, v6
	v_cndmask_b32_e64 v6, v9, v7, s0
; %bb.845:                              ;   in Loop: Header=BB422_611 Depth=1
	s_or_b32 exec_lo, exec_lo, s9
	v_lshrrev_b32_e32 v7, 16, v3
	s_mov_b32 s9, exec_lo
	s_delay_alu instid0(VALU_DEP_1) | instskip(NEXT) | instid1(VALU_DEP_1)
	v_dual_mov_b32 v9, 0 :: v_dual_and_b32 v86, 0xff, v7
	v_cmpx_ne_u16_e32 0, v86
	s_cbranch_execz .LBB422_853
; %bb.846:                              ;   in Loop: Header=BB422_611 Depth=1
	v_bfrev_b32_e32 v9, 1
	s_mov_b32 s12, exec_lo
	v_cmpx_ne_u16_e32 0x80, v86
	s_cbranch_execz .LBB422_852
; %bb.847:                              ;   in Loop: Header=BB422_611 Depth=1
	v_bfe_u32 v87, v3, 16, 7
	v_mov_b32_e32 v9, 0x7f800001
	s_mov_b32 s13, exec_lo
	s_delay_alu instid0(VALU_DEP_2)
	v_cmpx_ne_u32_e32 0x7f, v87
	s_cbranch_execz .LBB422_851
; %bb.848:                              ;   in Loop: Header=BB422_611 Depth=1
	v_and_b32_e32 v9, 7, v7
	v_lshrrev_b32_e32 v86, 3, v87
	s_mov_b32 s15, exec_lo
	v_cmpx_gt_u32_e32 8, v87
; %bb.849:                              ;   in Loop: Header=BB422_611 Depth=1
	s_delay_alu instid0(VALU_DEP_3) | instskip(NEXT) | instid1(VALU_DEP_1)
	v_clz_i32_u32_e32 v86, v9
	v_min_u32_e32 v86, 32, v86
	s_delay_alu instid0(VALU_DEP_1) | instskip(SKIP_1) | instid1(VALU_DEP_2)
	v_subrev_nc_u32_e32 v87, 28, v86
	v_sub_nc_u32_e32 v86, 29, v86
	v_lshlrev_b64 v[96:97], v87, v[9:10]
	s_delay_alu instid0(VALU_DEP_1)
	v_and_b32_e32 v9, 7, v96
; %bb.850:                              ;   in Loop: Header=BB422_611 Depth=1
	s_or_b32 exec_lo, exec_lo, s15
	v_lshlrev_b32_e32 v7, 24, v7
	s_delay_alu instid0(VALU_DEP_2) | instskip(SKIP_1) | instid1(VALU_DEP_3)
	v_lshlrev_b32_e32 v9, 20, v9
	v_lshl_add_u32 v86, v86, 23, 0x3c000000
	v_and_b32_e32 v7, 0x80000000, v7
	s_delay_alu instid0(VALU_DEP_1)
	v_or3_b32 v9, v9, v7, v86
.LBB422_851:                            ;   in Loop: Header=BB422_611 Depth=1
	s_or_b32 exec_lo, exec_lo, s13
.LBB422_852:                            ;   in Loop: Header=BB422_611 Depth=1
	s_delay_alu instid0(SALU_CYCLE_1)
	s_or_b32 exec_lo, exec_lo, s12
.LBB422_853:                            ;   in Loop: Header=BB422_611 Depth=1
	s_delay_alu instid0(SALU_CYCLE_1) | instskip(NEXT) | instid1(VALU_DEP_1)
	s_or_b32 exec_lo, exec_lo, s9
	v_mul_f32_e32 v7, v26, v9
                                        ; implicit-def: $vgpr86
	s_delay_alu instid0(VALU_DEP_1) | instskip(NEXT) | instid1(VALU_DEP_1)
	v_and_b32_e32 v9, 0x7f800000, v7
	v_cmp_ne_u32_e64 s0, 0x7f800000, v9
	s_delay_alu instid0(VALU_DEP_1) | instskip(NEXT) | instid1(SALU_CYCLE_1)
	s_and_saveexec_b32 s9, s0
	s_xor_b32 s0, exec_lo, s9
; %bb.854:                              ;   in Loop: Header=BB422_611 Depth=1
	v_bfe_u32 v9, v7, 16, 1
	s_delay_alu instid0(VALU_DEP_1)
	v_add3_u32 v86, v7, v9, 0x7fff
                                        ; implicit-def: $vgpr7
; %bb.855:                              ;   in Loop: Header=BB422_611 Depth=1
	s_and_not1_saveexec_b32 s9, s0
; %bb.856:                              ;   in Loop: Header=BB422_611 Depth=1
	v_and_b32_e32 v9, 0xffff, v7
	v_or_b32_e32 v86, 0x10000, v7
	s_delay_alu instid0(VALU_DEP_2) | instskip(NEXT) | instid1(VALU_DEP_1)
	v_cmp_eq_u32_e64 s0, 0, v9
	v_cndmask_b32_e64 v86, v86, v7, s0
; %bb.857:                              ;   in Loop: Header=BB422_611 Depth=1
	s_or_b32 exec_lo, exec_lo, s9
	v_mov_b32_e32 v7, 0
	s_mov_b32 s9, exec_lo
	v_cmpx_lt_u64_e64 s[2:3], v[2:3]
	s_cbranch_execz .LBB422_865
; %bb.858:                              ;   in Loop: Header=BB422_611 Depth=1
	v_lshrrev_b32_e32 v2, 24, v3
	v_bfrev_b32_e32 v7, 1
	s_mov_b32 s12, exec_lo
	s_delay_alu instid0(VALU_DEP_2)
	v_cmpx_ne_u32_e32 0x80, v2
	s_cbranch_execz .LBB422_864
; %bb.859:                              ;   in Loop: Header=BB422_611 Depth=1
	v_bfe_u32 v87, v3, 24, 7
	v_mov_b32_e32 v7, 0x7f800001
	s_mov_b32 s13, exec_lo
	s_delay_alu instid0(VALU_DEP_2)
	v_cmpx_ne_u32_e32 0x7f, v87
	s_cbranch_execz .LBB422_863
; %bb.860:                              ;   in Loop: Header=BB422_611 Depth=1
	v_and_b32_e32 v9, 7, v2
	v_lshrrev_b32_e32 v3, 3, v87
	s_mov_b32 s15, exec_lo
	v_cmpx_gt_u32_e32 8, v87
; %bb.861:                              ;   in Loop: Header=BB422_611 Depth=1
	s_delay_alu instid0(VALU_DEP_3) | instskip(NEXT) | instid1(VALU_DEP_1)
	v_clz_i32_u32_e32 v3, v9
	v_min_u32_e32 v3, 32, v3
	s_delay_alu instid0(VALU_DEP_1) | instskip(SKIP_1) | instid1(VALU_DEP_2)
	v_subrev_nc_u32_e32 v7, 28, v3
	v_sub_nc_u32_e32 v3, 29, v3
	v_lshlrev_b64 v[96:97], v7, v[9:10]
	s_delay_alu instid0(VALU_DEP_1)
	v_and_b32_e32 v9, 7, v96
; %bb.862:                              ;   in Loop: Header=BB422_611 Depth=1
	s_or_b32 exec_lo, exec_lo, s15
	v_lshlrev_b32_e32 v2, 24, v2
	s_delay_alu instid0(VALU_DEP_2) | instskip(SKIP_1) | instid1(VALU_DEP_3)
	v_lshlrev_b32_e32 v7, 20, v9
	v_lshl_add_u32 v3, v3, 23, 0x3c000000
	v_and_b32_e32 v2, 0x80000000, v2
	s_delay_alu instid0(VALU_DEP_1)
	v_or3_b32 v7, v7, v2, v3
.LBB422_863:                            ;   in Loop: Header=BB422_611 Depth=1
	s_or_b32 exec_lo, exec_lo, s13
.LBB422_864:                            ;   in Loop: Header=BB422_611 Depth=1
	s_delay_alu instid0(SALU_CYCLE_1)
	s_or_b32 exec_lo, exec_lo, s12
.LBB422_865:                            ;   in Loop: Header=BB422_611 Depth=1
	s_delay_alu instid0(SALU_CYCLE_1) | instskip(NEXT) | instid1(VALU_DEP_1)
	s_or_b32 exec_lo, exec_lo, s9
	v_mul_f32_e32 v3, v26, v7
	s_delay_alu instid0(VALU_DEP_1) | instskip(NEXT) | instid1(VALU_DEP_1)
	v_and_b32_e32 v2, 0x7f800000, v3
	v_cmp_ne_u32_e64 s0, 0x7f800000, v2
                                        ; implicit-def: $vgpr2
	s_delay_alu instid0(VALU_DEP_1) | instskip(NEXT) | instid1(SALU_CYCLE_1)
	s_and_saveexec_b32 s9, s0
	s_xor_b32 s0, exec_lo, s9
; %bb.866:                              ;   in Loop: Header=BB422_611 Depth=1
	v_bfe_u32 v2, v3, 16, 1
	s_delay_alu instid0(VALU_DEP_1)
	v_add3_u32 v2, v3, v2, 0x7fff
                                        ; implicit-def: $vgpr3
; %bb.867:                              ;   in Loop: Header=BB422_611 Depth=1
	s_and_not1_saveexec_b32 s9, s0
; %bb.868:                              ;   in Loop: Header=BB422_611 Depth=1
	v_and_b32_e32 v2, 0xffff, v3
	v_or_b32_e32 v7, 0x10000, v3
	s_delay_alu instid0(VALU_DEP_2) | instskip(NEXT) | instid1(VALU_DEP_1)
	v_cmp_eq_u32_e64 s0, 0, v2
	v_cndmask_b32_e64 v2, v7, v3, s0
; %bb.869:                              ;   in Loop: Header=BB422_611 Depth=1
	s_or_b32 exec_lo, exec_lo, s9
	v_lshrrev_b32_e32 v6, 16, v6
	v_lshrrev_b32_e32 v7, 16, v85
	;; [unrolled: 1-line block ×8, first 2 shown]
	s_and_saveexec_b32 s9, vcc_lo
	s_cbranch_execz .LBB422_871
; %bb.870:                              ;   in Loop: Header=BB422_611 Depth=1
	v_cmp_lt_i32_e64 s0, v50, v32
	s_delay_alu instid0(VALU_DEP_1) | instskip(SKIP_1) | instid1(VALU_DEP_1)
	v_cndmask_b32_e64 v81, 0, v81, s0
	v_cmp_lt_i32_e64 s0, v64, v32
	v_cndmask_b32_e64 v82, 0, v82, s0
	v_cmp_lt_i32_e64 s0, v55, v32
	s_delay_alu instid0(VALU_DEP_1) | instskip(SKIP_1) | instid1(VALU_DEP_1)
	v_cndmask_b32_e64 v83, 0, v83, s0
	v_cmp_lt_i32_e64 s0, v54, v32
	v_cndmask_b32_e64 v9, 0, v9, s0
	;; [unrolled: 5-line block ×4, first 2 shown]
.LBB422_871:                            ;   in Loop: Header=BB422_611 Depth=1
	s_or_b32 exec_lo, exec_lo, s9
	v_lshlrev_b32_e32 v81, 16, v81
	s_delay_alu instid0(VALU_DEP_1) | instskip(NEXT) | instid1(VALU_DEP_1)
	v_mul_f32_e32 v84, v65, v81
	v_and_b32_e32 v81, 0x7f800000, v84
	s_delay_alu instid0(VALU_DEP_1) | instskip(NEXT) | instid1(VALU_DEP_1)
	v_cmp_ne_u32_e64 s0, 0x7f800000, v81
                                        ; implicit-def: $vgpr81
	s_and_saveexec_b32 s9, s0
	s_delay_alu instid0(SALU_CYCLE_1)
	s_xor_b32 s0, exec_lo, s9
; %bb.872:                              ;   in Loop: Header=BB422_611 Depth=1
	v_bfe_u32 v81, v84, 16, 1
	s_delay_alu instid0(VALU_DEP_1)
	v_add3_u32 v81, v84, v81, 0x7fff
                                        ; implicit-def: $vgpr84
; %bb.873:                              ;   in Loop: Header=BB422_611 Depth=1
	s_and_not1_saveexec_b32 s9, s0
; %bb.874:                              ;   in Loop: Header=BB422_611 Depth=1
	v_and_b32_e32 v81, 0xffff, v84
	v_or_b32_e32 v85, 0x10000, v84
	s_delay_alu instid0(VALU_DEP_2) | instskip(NEXT) | instid1(VALU_DEP_1)
	v_cmp_eq_u32_e64 s0, 0, v81
	v_cndmask_b32_e64 v81, v85, v84, s0
; %bb.875:                              ;   in Loop: Header=BB422_611 Depth=1
	s_or_b32 exec_lo, exec_lo, s9
	v_lshlrev_b32_e32 v82, 16, v82
	s_delay_alu instid0(VALU_DEP_1) | instskip(NEXT) | instid1(VALU_DEP_1)
	v_mul_f32_e32 v84, v66, v82
	v_and_b32_e32 v82, 0x7f800000, v84
	s_delay_alu instid0(VALU_DEP_1) | instskip(NEXT) | instid1(VALU_DEP_1)
	v_cmp_ne_u32_e64 s0, 0x7f800000, v82
                                        ; implicit-def: $vgpr82
	s_and_saveexec_b32 s9, s0
	s_delay_alu instid0(SALU_CYCLE_1)
	s_xor_b32 s0, exec_lo, s9
; %bb.876:                              ;   in Loop: Header=BB422_611 Depth=1
	v_bfe_u32 v82, v84, 16, 1
	s_delay_alu instid0(VALU_DEP_1)
	v_add3_u32 v82, v84, v82, 0x7fff
                                        ; implicit-def: $vgpr84
; %bb.877:                              ;   in Loop: Header=BB422_611 Depth=1
	s_and_not1_saveexec_b32 s9, s0
; %bb.878:                              ;   in Loop: Header=BB422_611 Depth=1
	v_and_b32_e32 v82, 0xffff, v84
	v_or_b32_e32 v85, 0x10000, v84
	s_delay_alu instid0(VALU_DEP_2) | instskip(NEXT) | instid1(VALU_DEP_1)
	v_cmp_eq_u32_e64 s0, 0, v82
	v_cndmask_b32_e64 v82, v85, v84, s0
; %bb.879:                              ;   in Loop: Header=BB422_611 Depth=1
	s_or_b32 exec_lo, exec_lo, s9
	v_lshlrev_b32_e32 v83, 16, v83
	s_delay_alu instid0(VALU_DEP_1) | instskip(NEXT) | instid1(VALU_DEP_1)
	v_mul_f32_e32 v84, v67, v83
	v_and_b32_e32 v83, 0x7f800000, v84
	s_delay_alu instid0(VALU_DEP_1) | instskip(NEXT) | instid1(VALU_DEP_1)
	v_cmp_ne_u32_e64 s0, 0x7f800000, v83
                                        ; implicit-def: $vgpr83
	s_and_saveexec_b32 s9, s0
	s_delay_alu instid0(SALU_CYCLE_1)
	s_xor_b32 s0, exec_lo, s9
; %bb.880:                              ;   in Loop: Header=BB422_611 Depth=1
	v_bfe_u32 v83, v84, 16, 1
	s_delay_alu instid0(VALU_DEP_1)
	v_add3_u32 v83, v84, v83, 0x7fff
                                        ; implicit-def: $vgpr84
; %bb.881:                              ;   in Loop: Header=BB422_611 Depth=1
	s_and_not1_saveexec_b32 s9, s0
; %bb.882:                              ;   in Loop: Header=BB422_611 Depth=1
	v_and_b32_e32 v83, 0xffff, v84
	v_or_b32_e32 v85, 0x10000, v84
	s_delay_alu instid0(VALU_DEP_2) | instskip(NEXT) | instid1(VALU_DEP_1)
	v_cmp_eq_u32_e64 s0, 0, v83
	v_cndmask_b32_e64 v83, v85, v84, s0
; %bb.883:                              ;   in Loop: Header=BB422_611 Depth=1
	s_or_b32 exec_lo, exec_lo, s9
	v_lshlrev_b32_e32 v9, 16, v9
	s_delay_alu instid0(VALU_DEP_1) | instskip(NEXT) | instid1(VALU_DEP_1)
	v_mul_f32_e32 v9, v68, v9
	v_and_b32_e32 v84, 0x7f800000, v9
	s_delay_alu instid0(VALU_DEP_1) | instskip(NEXT) | instid1(VALU_DEP_1)
	v_cmp_ne_u32_e64 s0, 0x7f800000, v84
                                        ; implicit-def: $vgpr84
	s_and_saveexec_b32 s9, s0
	s_delay_alu instid0(SALU_CYCLE_1)
	s_xor_b32 s0, exec_lo, s9
; %bb.884:                              ;   in Loop: Header=BB422_611 Depth=1
	v_bfe_u32 v84, v9, 16, 1
	s_delay_alu instid0(VALU_DEP_1)
	v_add3_u32 v84, v9, v84, 0x7fff
                                        ; implicit-def: $vgpr9
; %bb.885:                              ;   in Loop: Header=BB422_611 Depth=1
	s_and_not1_saveexec_b32 s9, s0
; %bb.886:                              ;   in Loop: Header=BB422_611 Depth=1
	v_and_b32_e32 v84, 0xffff, v9
	v_or_b32_e32 v85, 0x10000, v9
	s_delay_alu instid0(VALU_DEP_2) | instskip(NEXT) | instid1(VALU_DEP_1)
	v_cmp_eq_u32_e64 s0, 0, v84
	v_cndmask_b32_e64 v84, v85, v9, s0
; %bb.887:                              ;   in Loop: Header=BB422_611 Depth=1
	s_or_b32 exec_lo, exec_lo, s9
	v_lshlrev_b32_e32 v7, 16, v7
                                        ; implicit-def: $vgpr85
	s_delay_alu instid0(VALU_DEP_1) | instskip(NEXT) | instid1(VALU_DEP_1)
	v_mul_f32_e32 v7, v69, v7
	v_and_b32_e32 v9, 0x7f800000, v7
	s_delay_alu instid0(VALU_DEP_1) | instskip(NEXT) | instid1(VALU_DEP_1)
	v_cmp_ne_u32_e64 s0, 0x7f800000, v9
	s_and_saveexec_b32 s9, s0
	s_delay_alu instid0(SALU_CYCLE_1)
	s_xor_b32 s0, exec_lo, s9
; %bb.888:                              ;   in Loop: Header=BB422_611 Depth=1
	v_bfe_u32 v9, v7, 16, 1
	s_delay_alu instid0(VALU_DEP_1)
	v_add3_u32 v85, v7, v9, 0x7fff
                                        ; implicit-def: $vgpr7
; %bb.889:                              ;   in Loop: Header=BB422_611 Depth=1
	s_and_not1_saveexec_b32 s9, s0
; %bb.890:                              ;   in Loop: Header=BB422_611 Depth=1
	v_and_b32_e32 v9, 0xffff, v7
	v_or_b32_e32 v85, 0x10000, v7
	s_delay_alu instid0(VALU_DEP_2) | instskip(NEXT) | instid1(VALU_DEP_1)
	v_cmp_eq_u32_e64 s0, 0, v9
	v_cndmask_b32_e64 v85, v85, v7, s0
; %bb.891:                              ;   in Loop: Header=BB422_611 Depth=1
	s_or_b32 exec_lo, exec_lo, s9
	v_lshlrev_b32_e32 v6, 16, v6
                                        ; implicit-def: $vgpr86
	s_delay_alu instid0(VALU_DEP_1) | instskip(NEXT) | instid1(VALU_DEP_1)
	v_mul_f32_e32 v6, v70, v6
	v_and_b32_e32 v7, 0x7f800000, v6
	s_delay_alu instid0(VALU_DEP_1) | instskip(NEXT) | instid1(VALU_DEP_1)
	v_cmp_ne_u32_e64 s0, 0x7f800000, v7
	s_and_saveexec_b32 s9, s0
	s_delay_alu instid0(SALU_CYCLE_1)
	s_xor_b32 s0, exec_lo, s9
; %bb.892:                              ;   in Loop: Header=BB422_611 Depth=1
	v_bfe_u32 v7, v6, 16, 1
	s_delay_alu instid0(VALU_DEP_1)
	v_add3_u32 v86, v6, v7, 0x7fff
                                        ; implicit-def: $vgpr6
; %bb.893:                              ;   in Loop: Header=BB422_611 Depth=1
	s_and_not1_saveexec_b32 s9, s0
; %bb.894:                              ;   in Loop: Header=BB422_611 Depth=1
	v_and_b32_e32 v7, 0xffff, v6
	v_or_b32_e32 v9, 0x10000, v6
	s_delay_alu instid0(VALU_DEP_2) | instskip(NEXT) | instid1(VALU_DEP_1)
	v_cmp_eq_u32_e64 s0, 0, v7
	v_cndmask_b32_e64 v86, v9, v6, s0
; %bb.895:                              ;   in Loop: Header=BB422_611 Depth=1
	s_or_b32 exec_lo, exec_lo, s9
	v_lshlrev_b32_e32 v3, 16, v3
                                        ; implicit-def: $vgpr87
	s_delay_alu instid0(VALU_DEP_1) | instskip(NEXT) | instid1(VALU_DEP_1)
	v_mul_f32_e32 v3, v71, v3
	v_and_b32_e32 v6, 0x7f800000, v3
	s_delay_alu instid0(VALU_DEP_1) | instskip(NEXT) | instid1(VALU_DEP_1)
	v_cmp_ne_u32_e64 s0, 0x7f800000, v6
	s_and_saveexec_b32 s9, s0
	s_delay_alu instid0(SALU_CYCLE_1)
	s_xor_b32 s0, exec_lo, s9
; %bb.896:                              ;   in Loop: Header=BB422_611 Depth=1
	v_bfe_u32 v6, v3, 16, 1
	s_delay_alu instid0(VALU_DEP_1)
	v_add3_u32 v87, v3, v6, 0x7fff
                                        ; implicit-def: $vgpr3
; %bb.897:                              ;   in Loop: Header=BB422_611 Depth=1
	s_and_not1_saveexec_b32 s9, s0
; %bb.898:                              ;   in Loop: Header=BB422_611 Depth=1
	v_and_b32_e32 v6, 0xffff, v3
	v_or_b32_e32 v7, 0x10000, v3
	s_delay_alu instid0(VALU_DEP_2) | instskip(NEXT) | instid1(VALU_DEP_1)
	v_cmp_eq_u32_e64 s0, 0, v6
	v_cndmask_b32_e64 v87, v7, v3, s0
; %bb.899:                              ;   in Loop: Header=BB422_611 Depth=1
	s_or_b32 exec_lo, exec_lo, s9
	v_lshlrev_b32_e32 v2, 16, v2
                                        ; implicit-def: $vgpr96
	s_delay_alu instid0(VALU_DEP_1) | instskip(NEXT) | instid1(VALU_DEP_1)
	v_mul_f32_e32 v2, v80, v2
	v_and_b32_e32 v3, 0x7f800000, v2
	s_delay_alu instid0(VALU_DEP_1) | instskip(NEXT) | instid1(VALU_DEP_1)
	v_cmp_ne_u32_e64 s0, 0x7f800000, v3
	s_and_saveexec_b32 s9, s0
	s_delay_alu instid0(SALU_CYCLE_1)
	s_xor_b32 s0, exec_lo, s9
; %bb.900:                              ;   in Loop: Header=BB422_611 Depth=1
	v_bfe_u32 v3, v2, 16, 1
	s_delay_alu instid0(VALU_DEP_1)
	v_add3_u32 v96, v2, v3, 0x7fff
                                        ; implicit-def: $vgpr2
; %bb.901:                              ;   in Loop: Header=BB422_611 Depth=1
	s_and_not1_saveexec_b32 s9, s0
; %bb.902:                              ;   in Loop: Header=BB422_611 Depth=1
	v_and_b32_e32 v3, 0xffff, v2
	v_or_b32_e32 v6, 0x10000, v2
	s_delay_alu instid0(VALU_DEP_2) | instskip(NEXT) | instid1(VALU_DEP_1)
	v_cmp_eq_u32_e64 s0, 0, v3
	v_cndmask_b32_e64 v96, v6, v2, s0
; %bb.903:                              ;   in Loop: Header=BB422_611 Depth=1
	s_or_b32 exec_lo, exec_lo, s9
	flat_load_b64 v[2:3], v[0:1] offset:512
	s_mov_b32 s9, exec_lo
	s_waitcnt vmcnt(0) lgkmcnt(0)
	v_dual_mov_b32 v6, 0 :: v_dual_and_b32 v7, 0xff, v2
	s_delay_alu instid0(VALU_DEP_1)
	v_cmpx_ne_u16_e32 0, v7
	s_cbranch_execz .LBB422_911
; %bb.904:                              ;   in Loop: Header=BB422_611 Depth=1
	v_bfrev_b32_e32 v6, 1
	s_mov_b32 s12, exec_lo
	v_cmpx_ne_u16_e32 0x80, v7
	s_cbranch_execz .LBB422_910
; %bb.905:                              ;   in Loop: Header=BB422_611 Depth=1
	v_and_b32_e32 v7, 0x7f, v2
	v_mov_b32_e32 v6, 0x7f800001
	s_mov_b32 s13, exec_lo
	s_delay_alu instid0(VALU_DEP_2)
	v_cmpx_ne_u32_e32 0x7f, v7
	s_cbranch_execz .LBB422_909
; %bb.906:                              ;   in Loop: Header=BB422_611 Depth=1
	v_lshrrev_b32_e32 v9, 3, v7
	v_cmp_gt_u32_e64 s0, 8, v7
	v_dual_mov_b32 v7, v3 :: v_dual_mov_b32 v6, v2
	s_delay_alu instid0(VALU_DEP_2)
	s_and_saveexec_b32 s15, s0
; %bb.907:                              ;   in Loop: Header=BB422_611 Depth=1
	v_and_b32_e32 v6, 7, v2
	s_delay_alu instid0(VALU_DEP_1) | instskip(NEXT) | instid1(VALU_DEP_1)
	v_clz_i32_u32_e32 v6, v6
	v_min_u32_e32 v9, 32, v6
	s_delay_alu instid0(VALU_DEP_1) | instskip(SKIP_1) | instid1(VALU_DEP_2)
	v_subrev_nc_u32_e32 v6, 28, v9
	v_sub_nc_u32_e32 v9, 29, v9
	v_lshlrev_b64 v[6:7], v6, v[2:3]
; %bb.908:                              ;   in Loop: Header=BB422_611 Depth=1
	s_or_b32 exec_lo, exec_lo, s15
	s_delay_alu instid0(VALU_DEP_1) | instskip(SKIP_2) | instid1(VALU_DEP_3)
	v_lshlrev_b32_e32 v6, 20, v6
	v_lshlrev_b32_e32 v7, 24, v2
	v_lshl_add_u32 v9, v9, 23, 0x3c000000
	v_and_b32_e32 v6, 0x700000, v6
	s_delay_alu instid0(VALU_DEP_3) | instskip(NEXT) | instid1(VALU_DEP_1)
	v_and_b32_e32 v7, 0x80000000, v7
	v_or3_b32 v6, v6, v7, v9
.LBB422_909:                            ;   in Loop: Header=BB422_611 Depth=1
	s_or_b32 exec_lo, exec_lo, s13
.LBB422_910:                            ;   in Loop: Header=BB422_611 Depth=1
	s_delay_alu instid0(SALU_CYCLE_1)
	s_or_b32 exec_lo, exec_lo, s12
.LBB422_911:                            ;   in Loop: Header=BB422_611 Depth=1
	s_delay_alu instid0(SALU_CYCLE_1) | instskip(NEXT) | instid1(VALU_DEP_1)
	s_or_b32 exec_lo, exec_lo, s9
	v_mul_f32_e32 v6, v26, v6
                                        ; implicit-def: $vgpr97
	s_delay_alu instid0(VALU_DEP_1) | instskip(NEXT) | instid1(VALU_DEP_1)
	v_and_b32_e32 v7, 0x7f800000, v6
	v_cmp_ne_u32_e64 s0, 0x7f800000, v7
	s_delay_alu instid0(VALU_DEP_1) | instskip(NEXT) | instid1(SALU_CYCLE_1)
	s_and_saveexec_b32 s9, s0
	s_xor_b32 s0, exec_lo, s9
; %bb.912:                              ;   in Loop: Header=BB422_611 Depth=1
	v_bfe_u32 v7, v6, 16, 1
	s_delay_alu instid0(VALU_DEP_1)
	v_add3_u32 v97, v6, v7, 0x7fff
                                        ; implicit-def: $vgpr6
; %bb.913:                              ;   in Loop: Header=BB422_611 Depth=1
	s_and_not1_saveexec_b32 s9, s0
; %bb.914:                              ;   in Loop: Header=BB422_611 Depth=1
	v_and_b32_e32 v7, 0xffff, v6
	v_or_b32_e32 v9, 0x10000, v6
	s_delay_alu instid0(VALU_DEP_2) | instskip(NEXT) | instid1(VALU_DEP_1)
	v_cmp_eq_u32_e64 s0, 0, v7
	v_cndmask_b32_e64 v97, v9, v6, s0
; %bb.915:                              ;   in Loop: Header=BB422_611 Depth=1
	s_or_b32 exec_lo, exec_lo, s9
	v_lshrrev_b16 v7, 8, v2
	v_mov_b32_e32 v6, 0
	s_mov_b32 s9, exec_lo
	s_delay_alu instid0(VALU_DEP_2)
	v_cmpx_ne_u16_e32 0, v7
	s_cbranch_execz .LBB422_923
; %bb.916:                              ;   in Loop: Header=BB422_611 Depth=1
	v_bfrev_b32_e32 v6, 1
	s_mov_b32 s12, exec_lo
	v_cmpx_ne_u16_e32 0x80, v7
	s_cbranch_execz .LBB422_922
; %bb.917:                              ;   in Loop: Header=BB422_611 Depth=1
	v_and_b32_e32 v9, 0xffff, v7
	v_mov_b32_e32 v6, 0x7f800001
	s_mov_b32 s13, exec_lo
	s_delay_alu instid0(VALU_DEP_2) | instskip(NEXT) | instid1(VALU_DEP_1)
	v_and_b32_e32 v7, 0x7f, v9
	v_cmpx_ne_u32_e32 0x7f, v7
	s_cbranch_execz .LBB422_921
; %bb.918:                              ;   in Loop: Header=BB422_611 Depth=1
	v_and_b32_e32 v9, 7, v9
	v_lshrrev_b32_e32 v6, 3, v7
	s_mov_b32 s15, exec_lo
	v_cmpx_gt_u32_e32 8, v7
; %bb.919:                              ;   in Loop: Header=BB422_611 Depth=1
	s_delay_alu instid0(VALU_DEP_3) | instskip(NEXT) | instid1(VALU_DEP_1)
	v_clz_i32_u32_e32 v6, v9
	v_min_u32_e32 v6, 32, v6
	s_delay_alu instid0(VALU_DEP_1) | instskip(SKIP_1) | instid1(VALU_DEP_2)
	v_subrev_nc_u32_e32 v7, 28, v6
	v_sub_nc_u32_e32 v6, 29, v6
	v_lshlrev_b64 v[98:99], v7, v[9:10]
	s_delay_alu instid0(VALU_DEP_1)
	v_and_b32_e32 v9, 7, v98
; %bb.920:                              ;   in Loop: Header=BB422_611 Depth=1
	s_or_b32 exec_lo, exec_lo, s15
	v_lshlrev_b32_e32 v7, 16, v2
	s_delay_alu instid0(VALU_DEP_2) | instskip(SKIP_1) | instid1(VALU_DEP_3)
	v_lshlrev_b32_e32 v9, 20, v9
	v_lshl_add_u32 v6, v6, 23, 0x3c000000
	v_and_b32_e32 v7, 0x80000000, v7
	s_delay_alu instid0(VALU_DEP_1)
	v_or3_b32 v6, v9, v7, v6
.LBB422_921:                            ;   in Loop: Header=BB422_611 Depth=1
	s_or_b32 exec_lo, exec_lo, s13
.LBB422_922:                            ;   in Loop: Header=BB422_611 Depth=1
	s_delay_alu instid0(SALU_CYCLE_1)
	s_or_b32 exec_lo, exec_lo, s12
.LBB422_923:                            ;   in Loop: Header=BB422_611 Depth=1
	s_delay_alu instid0(SALU_CYCLE_1) | instskip(NEXT) | instid1(VALU_DEP_1)
	s_or_b32 exec_lo, exec_lo, s9
	v_mul_f32_e32 v6, v26, v6
                                        ; implicit-def: $vgpr98
	s_delay_alu instid0(VALU_DEP_1) | instskip(NEXT) | instid1(VALU_DEP_1)
	v_and_b32_e32 v7, 0x7f800000, v6
	v_cmp_ne_u32_e64 s0, 0x7f800000, v7
	s_delay_alu instid0(VALU_DEP_1) | instskip(NEXT) | instid1(SALU_CYCLE_1)
	s_and_saveexec_b32 s9, s0
	s_xor_b32 s0, exec_lo, s9
; %bb.924:                              ;   in Loop: Header=BB422_611 Depth=1
	v_bfe_u32 v7, v6, 16, 1
	s_delay_alu instid0(VALU_DEP_1)
	v_add3_u32 v98, v6, v7, 0x7fff
                                        ; implicit-def: $vgpr6
; %bb.925:                              ;   in Loop: Header=BB422_611 Depth=1
	s_and_not1_saveexec_b32 s9, s0
; %bb.926:                              ;   in Loop: Header=BB422_611 Depth=1
	v_and_b32_e32 v7, 0xffff, v6
	v_or_b32_e32 v9, 0x10000, v6
	s_delay_alu instid0(VALU_DEP_2) | instskip(NEXT) | instid1(VALU_DEP_1)
	v_cmp_eq_u32_e64 s0, 0, v7
	v_cndmask_b32_e64 v98, v9, v6, s0
; %bb.927:                              ;   in Loop: Header=BB422_611 Depth=1
	s_or_b32 exec_lo, exec_lo, s9
	v_lshrrev_b32_e32 v6, 16, v2
	v_mov_b32_e32 v7, 0
	s_mov_b32 s9, exec_lo
	s_delay_alu instid0(VALU_DEP_2) | instskip(NEXT) | instid1(VALU_DEP_1)
	v_and_b32_e32 v9, 0xff, v6
	v_cmpx_ne_u16_e32 0, v9
	s_cbranch_execz .LBB422_935
; %bb.928:                              ;   in Loop: Header=BB422_611 Depth=1
	v_bfrev_b32_e32 v7, 1
	s_mov_b32 s12, exec_lo
	v_cmpx_ne_u16_e32 0x80, v9
	s_cbranch_execz .LBB422_934
; %bb.929:                              ;   in Loop: Header=BB422_611 Depth=1
	v_bfe_u32 v99, v2, 16, 7
	v_mov_b32_e32 v7, 0x7f800001
	s_mov_b32 s13, exec_lo
	s_delay_alu instid0(VALU_DEP_2)
	v_cmpx_ne_u32_e32 0x7f, v99
	s_cbranch_execz .LBB422_933
; %bb.930:                              ;   in Loop: Header=BB422_611 Depth=1
	v_and_b32_e32 v9, 7, v6
	v_lshrrev_b32_e32 v7, 3, v99
	s_mov_b32 s15, exec_lo
	v_cmpx_gt_u32_e32 8, v99
; %bb.931:                              ;   in Loop: Header=BB422_611 Depth=1
	s_delay_alu instid0(VALU_DEP_3) | instskip(NEXT) | instid1(VALU_DEP_1)
	v_clz_i32_u32_e32 v7, v9
	v_min_u32_e32 v7, 32, v7
	s_delay_alu instid0(VALU_DEP_1) | instskip(SKIP_1) | instid1(VALU_DEP_2)
	v_subrev_nc_u32_e32 v99, 28, v7
	v_sub_nc_u32_e32 v7, 29, v7
	v_lshlrev_b64 v[99:100], v99, v[9:10]
	s_delay_alu instid0(VALU_DEP_1)
	v_and_b32_e32 v9, 7, v99
; %bb.932:                              ;   in Loop: Header=BB422_611 Depth=1
	s_or_b32 exec_lo, exec_lo, s15
	v_lshlrev_b32_e32 v6, 24, v6
	s_delay_alu instid0(VALU_DEP_2) | instskip(SKIP_1) | instid1(VALU_DEP_3)
	v_lshlrev_b32_e32 v9, 20, v9
	v_lshl_add_u32 v7, v7, 23, 0x3c000000
	v_and_b32_e32 v6, 0x80000000, v6
	s_delay_alu instid0(VALU_DEP_1)
	v_or3_b32 v7, v9, v6, v7
.LBB422_933:                            ;   in Loop: Header=BB422_611 Depth=1
	s_or_b32 exec_lo, exec_lo, s13
.LBB422_934:                            ;   in Loop: Header=BB422_611 Depth=1
	s_delay_alu instid0(SALU_CYCLE_1)
	s_or_b32 exec_lo, exec_lo, s12
.LBB422_935:                            ;   in Loop: Header=BB422_611 Depth=1
	s_delay_alu instid0(SALU_CYCLE_1) | instskip(NEXT) | instid1(VALU_DEP_1)
	s_or_b32 exec_lo, exec_lo, s9
	v_mul_f32_e32 v6, v26, v7
                                        ; implicit-def: $vgpr99
	s_delay_alu instid0(VALU_DEP_1) | instskip(NEXT) | instid1(VALU_DEP_1)
	v_and_b32_e32 v7, 0x7f800000, v6
	v_cmp_ne_u32_e64 s0, 0x7f800000, v7
	s_delay_alu instid0(VALU_DEP_1) | instskip(NEXT) | instid1(SALU_CYCLE_1)
	s_and_saveexec_b32 s9, s0
	s_xor_b32 s0, exec_lo, s9
; %bb.936:                              ;   in Loop: Header=BB422_611 Depth=1
	v_bfe_u32 v7, v6, 16, 1
	s_delay_alu instid0(VALU_DEP_1)
	v_add3_u32 v99, v6, v7, 0x7fff
                                        ; implicit-def: $vgpr6
; %bb.937:                              ;   in Loop: Header=BB422_611 Depth=1
	s_and_not1_saveexec_b32 s9, s0
; %bb.938:                              ;   in Loop: Header=BB422_611 Depth=1
	v_and_b32_e32 v7, 0xffff, v6
	v_or_b32_e32 v9, 0x10000, v6
	s_delay_alu instid0(VALU_DEP_2) | instskip(NEXT) | instid1(VALU_DEP_1)
	v_cmp_eq_u32_e64 s0, 0, v7
	v_cndmask_b32_e64 v99, v9, v6, s0
; %bb.939:                              ;   in Loop: Header=BB422_611 Depth=1
	s_or_b32 exec_lo, exec_lo, s9
	v_mov_b32_e32 v7, 0
	s_mov_b32 s9, exec_lo
	v_cmpx_lt_u32_e32 0xffffff, v2
	s_cbranch_execz .LBB422_947
; %bb.940:                              ;   in Loop: Header=BB422_611 Depth=1
	v_lshrrev_b32_e32 v6, 24, v2
	v_bfrev_b32_e32 v7, 1
	s_mov_b32 s12, exec_lo
	s_delay_alu instid0(VALU_DEP_2)
	v_cmpx_ne_u32_e32 0x80, v6
	s_cbranch_execz .LBB422_946
; %bb.941:                              ;   in Loop: Header=BB422_611 Depth=1
	v_bfe_u32 v100, v2, 24, 7
	v_mov_b32_e32 v7, 0x7f800001
	s_mov_b32 s13, exec_lo
	s_delay_alu instid0(VALU_DEP_2)
	v_cmpx_ne_u32_e32 0x7f, v100
	s_cbranch_execz .LBB422_945
; %bb.942:                              ;   in Loop: Header=BB422_611 Depth=1
	v_and_b32_e32 v9, 7, v6
	v_lshrrev_b32_e32 v7, 3, v100
	s_mov_b32 s15, exec_lo
	v_cmpx_gt_u32_e32 8, v100
; %bb.943:                              ;   in Loop: Header=BB422_611 Depth=1
	s_delay_alu instid0(VALU_DEP_3) | instskip(NEXT) | instid1(VALU_DEP_1)
	v_clz_i32_u32_e32 v7, v9
	v_min_u32_e32 v7, 32, v7
	s_delay_alu instid0(VALU_DEP_1) | instskip(SKIP_1) | instid1(VALU_DEP_2)
	v_subrev_nc_u32_e32 v100, 28, v7
	v_sub_nc_u32_e32 v7, 29, v7
	v_lshlrev_b64 v[100:101], v100, v[9:10]
	s_delay_alu instid0(VALU_DEP_1)
	v_and_b32_e32 v9, 7, v100
; %bb.944:                              ;   in Loop: Header=BB422_611 Depth=1
	s_or_b32 exec_lo, exec_lo, s15
	v_lshlrev_b32_e32 v6, 24, v6
	s_delay_alu instid0(VALU_DEP_2) | instskip(SKIP_1) | instid1(VALU_DEP_3)
	v_lshlrev_b32_e32 v9, 20, v9
	v_lshl_add_u32 v7, v7, 23, 0x3c000000
	v_and_b32_e32 v6, 0x80000000, v6
	s_delay_alu instid0(VALU_DEP_1)
	v_or3_b32 v7, v9, v6, v7
.LBB422_945:                            ;   in Loop: Header=BB422_611 Depth=1
	s_or_b32 exec_lo, exec_lo, s13
.LBB422_946:                            ;   in Loop: Header=BB422_611 Depth=1
	s_delay_alu instid0(SALU_CYCLE_1)
	s_or_b32 exec_lo, exec_lo, s12
.LBB422_947:                            ;   in Loop: Header=BB422_611 Depth=1
	s_delay_alu instid0(SALU_CYCLE_1) | instskip(NEXT) | instid1(VALU_DEP_1)
	s_or_b32 exec_lo, exec_lo, s9
	v_mul_f32_e32 v6, v26, v7
                                        ; implicit-def: $vgpr100
	s_delay_alu instid0(VALU_DEP_1) | instskip(NEXT) | instid1(VALU_DEP_1)
	v_and_b32_e32 v7, 0x7f800000, v6
	v_cmp_ne_u32_e64 s0, 0x7f800000, v7
	s_delay_alu instid0(VALU_DEP_1) | instskip(NEXT) | instid1(SALU_CYCLE_1)
	s_and_saveexec_b32 s9, s0
	s_xor_b32 s0, exec_lo, s9
; %bb.948:                              ;   in Loop: Header=BB422_611 Depth=1
	v_bfe_u32 v7, v6, 16, 1
	s_delay_alu instid0(VALU_DEP_1)
	v_add3_u32 v100, v6, v7, 0x7fff
                                        ; implicit-def: $vgpr6
; %bb.949:                              ;   in Loop: Header=BB422_611 Depth=1
	s_and_not1_saveexec_b32 s9, s0
; %bb.950:                              ;   in Loop: Header=BB422_611 Depth=1
	v_and_b32_e32 v7, 0xffff, v6
	v_or_b32_e32 v9, 0x10000, v6
	s_delay_alu instid0(VALU_DEP_2) | instskip(NEXT) | instid1(VALU_DEP_1)
	v_cmp_eq_u32_e64 s0, 0, v7
	v_cndmask_b32_e64 v100, v9, v6, s0
; %bb.951:                              ;   in Loop: Header=BB422_611 Depth=1
	s_or_b32 exec_lo, exec_lo, s9
	v_dual_mov_b32 v6, 0 :: v_dual_and_b32 v7, 0xff, v3
	v_mov_b32_e32 v9, v3
	s_mov_b32 s9, exec_lo
	s_delay_alu instid0(VALU_DEP_2)
	v_cmpx_ne_u16_e32 0, v7
	s_cbranch_execz .LBB422_959
; %bb.952:                              ;   in Loop: Header=BB422_611 Depth=1
	v_bfrev_b32_e32 v6, 1
	s_mov_b32 s12, exec_lo
	v_cmpx_ne_u16_e32 0x80, v7
	s_cbranch_execz .LBB422_958
; %bb.953:                              ;   in Loop: Header=BB422_611 Depth=1
	v_and_b32_e32 v7, 0x7f, v3
	v_mov_b32_e32 v6, 0x7f800001
	s_mov_b32 s13, exec_lo
	s_delay_alu instid0(VALU_DEP_2)
	v_cmpx_ne_u32_e32 0x7f, v7
	s_cbranch_execz .LBB422_957
; %bb.954:                              ;   in Loop: Header=BB422_611 Depth=1
	v_lshrrev_b32_e32 v101, 3, v7
	v_cmp_gt_u32_e64 s0, 8, v7
	v_dual_mov_b32 v6, v9 :: v_dual_mov_b32 v7, v10
	s_delay_alu instid0(VALU_DEP_2)
	s_and_saveexec_b32 s15, s0
; %bb.955:                              ;   in Loop: Header=BB422_611 Depth=1
	v_and_b32_e32 v6, 7, v3
	s_delay_alu instid0(VALU_DEP_1) | instskip(NEXT) | instid1(VALU_DEP_1)
	v_clz_i32_u32_e32 v6, v6
	v_min_u32_e32 v101, 32, v6
	s_delay_alu instid0(VALU_DEP_1) | instskip(SKIP_1) | instid1(VALU_DEP_2)
	v_subrev_nc_u32_e32 v6, 28, v101
	v_sub_nc_u32_e32 v101, 29, v101
	v_lshlrev_b64 v[6:7], v6, v[9:10]
; %bb.956:                              ;   in Loop: Header=BB422_611 Depth=1
	s_or_b32 exec_lo, exec_lo, s15
	s_delay_alu instid0(VALU_DEP_1) | instskip(SKIP_2) | instid1(VALU_DEP_3)
	v_lshlrev_b32_e32 v6, 20, v6
	v_lshlrev_b32_e32 v7, 24, v9
	v_lshl_add_u32 v101, v101, 23, 0x3c000000
	v_and_b32_e32 v6, 0x700000, v6
	s_delay_alu instid0(VALU_DEP_3) | instskip(NEXT) | instid1(VALU_DEP_1)
	v_and_b32_e32 v7, 0x80000000, v7
	v_or3_b32 v6, v6, v7, v101
.LBB422_957:                            ;   in Loop: Header=BB422_611 Depth=1
	s_or_b32 exec_lo, exec_lo, s13
.LBB422_958:                            ;   in Loop: Header=BB422_611 Depth=1
	s_delay_alu instid0(SALU_CYCLE_1)
	s_or_b32 exec_lo, exec_lo, s12
.LBB422_959:                            ;   in Loop: Header=BB422_611 Depth=1
	s_delay_alu instid0(SALU_CYCLE_1) | instskip(NEXT) | instid1(VALU_DEP_1)
	s_or_b32 exec_lo, exec_lo, s9
	v_mul_f32_e32 v6, v26, v6
                                        ; implicit-def: $vgpr101
	s_delay_alu instid0(VALU_DEP_1) | instskip(NEXT) | instid1(VALU_DEP_1)
	v_and_b32_e32 v7, 0x7f800000, v6
	v_cmp_ne_u32_e64 s0, 0x7f800000, v7
	s_delay_alu instid0(VALU_DEP_1) | instskip(NEXT) | instid1(SALU_CYCLE_1)
	s_and_saveexec_b32 s9, s0
	s_xor_b32 s0, exec_lo, s9
; %bb.960:                              ;   in Loop: Header=BB422_611 Depth=1
	v_bfe_u32 v7, v6, 16, 1
	s_delay_alu instid0(VALU_DEP_1)
	v_add3_u32 v101, v6, v7, 0x7fff
                                        ; implicit-def: $vgpr6
; %bb.961:                              ;   in Loop: Header=BB422_611 Depth=1
	s_and_not1_saveexec_b32 s9, s0
; %bb.962:                              ;   in Loop: Header=BB422_611 Depth=1
	v_and_b32_e32 v7, 0xffff, v6
	v_or_b32_e32 v101, 0x10000, v6
	s_delay_alu instid0(VALU_DEP_2) | instskip(NEXT) | instid1(VALU_DEP_1)
	v_cmp_eq_u32_e64 s0, 0, v7
	v_cndmask_b32_e64 v101, v101, v6, s0
; %bb.963:                              ;   in Loop: Header=BB422_611 Depth=1
	s_or_b32 exec_lo, exec_lo, s9
	v_lshrrev_b16 v7, 8, v9
	v_mov_b32_e32 v6, 0
	s_mov_b32 s9, exec_lo
	s_delay_alu instid0(VALU_DEP_2)
	v_cmpx_ne_u16_e32 0, v7
	s_cbranch_execz .LBB422_971
; %bb.964:                              ;   in Loop: Header=BB422_611 Depth=1
	v_bfrev_b32_e32 v6, 1
	s_mov_b32 s12, exec_lo
	v_cmpx_ne_u16_e32 0x80, v7
	s_cbranch_execz .LBB422_970
; %bb.965:                              ;   in Loop: Header=BB422_611 Depth=1
	v_and_b32_e32 v7, 0xffff, v7
	v_mov_b32_e32 v6, 0x7f800001
	s_mov_b32 s13, exec_lo
	s_delay_alu instid0(VALU_DEP_2) | instskip(NEXT) | instid1(VALU_DEP_1)
	v_and_b32_e32 v103, 0x7f, v7
	v_cmpx_ne_u32_e32 0x7f, v103
	s_cbranch_execz .LBB422_969
; %bb.966:                              ;   in Loop: Header=BB422_611 Depth=1
	v_dual_mov_b32 v7, v10 :: v_dual_and_b32 v6, 7, v7
	v_lshrrev_b32_e32 v102, 3, v103
	s_mov_b32 s15, exec_lo
	v_cmpx_gt_u32_e32 8, v103
; %bb.967:                              ;   in Loop: Header=BB422_611 Depth=1
	s_delay_alu instid0(VALU_DEP_3) | instskip(NEXT) | instid1(VALU_DEP_1)
	v_clz_i32_u32_e32 v102, v6
	v_min_u32_e32 v102, 32, v102
	s_delay_alu instid0(VALU_DEP_1) | instskip(SKIP_1) | instid1(VALU_DEP_2)
	v_subrev_nc_u32_e32 v103, 28, v102
	v_sub_nc_u32_e32 v102, 29, v102
	v_lshlrev_b64 v[6:7], v103, v[6:7]
	s_delay_alu instid0(VALU_DEP_1)
	v_and_b32_e32 v6, 7, v6
; %bb.968:                              ;   in Loop: Header=BB422_611 Depth=1
	s_or_b32 exec_lo, exec_lo, s15
	v_lshlrev_b32_e32 v7, 16, v9
	s_delay_alu instid0(VALU_DEP_2) | instskip(SKIP_1) | instid1(VALU_DEP_3)
	v_lshlrev_b32_e32 v6, 20, v6
	v_lshl_add_u32 v9, v102, 23, 0x3c000000
	v_and_b32_e32 v7, 0x80000000, v7
	s_delay_alu instid0(VALU_DEP_1)
	v_or3_b32 v6, v6, v7, v9
.LBB422_969:                            ;   in Loop: Header=BB422_611 Depth=1
	s_or_b32 exec_lo, exec_lo, s13
.LBB422_970:                            ;   in Loop: Header=BB422_611 Depth=1
	s_delay_alu instid0(SALU_CYCLE_1)
	s_or_b32 exec_lo, exec_lo, s12
.LBB422_971:                            ;   in Loop: Header=BB422_611 Depth=1
	s_delay_alu instid0(SALU_CYCLE_1) | instskip(NEXT) | instid1(VALU_DEP_1)
	s_or_b32 exec_lo, exec_lo, s9
	v_mul_f32_e32 v7, v26, v6
	s_delay_alu instid0(VALU_DEP_1) | instskip(NEXT) | instid1(VALU_DEP_1)
	v_and_b32_e32 v6, 0x7f800000, v7
	v_cmp_ne_u32_e64 s0, 0x7f800000, v6
                                        ; implicit-def: $vgpr6
	s_delay_alu instid0(VALU_DEP_1) | instskip(NEXT) | instid1(SALU_CYCLE_1)
	s_and_saveexec_b32 s9, s0
	s_xor_b32 s0, exec_lo, s9
; %bb.972:                              ;   in Loop: Header=BB422_611 Depth=1
	v_bfe_u32 v6, v7, 16, 1
	s_delay_alu instid0(VALU_DEP_1)
	v_add3_u32 v6, v7, v6, 0x7fff
                                        ; implicit-def: $vgpr7
; %bb.973:                              ;   in Loop: Header=BB422_611 Depth=1
	s_and_not1_saveexec_b32 s9, s0
; %bb.974:                              ;   in Loop: Header=BB422_611 Depth=1
	v_and_b32_e32 v6, 0xffff, v7
	v_or_b32_e32 v9, 0x10000, v7
	s_delay_alu instid0(VALU_DEP_2) | instskip(NEXT) | instid1(VALU_DEP_1)
	v_cmp_eq_u32_e64 s0, 0, v6
	v_cndmask_b32_e64 v6, v9, v7, s0
; %bb.975:                              ;   in Loop: Header=BB422_611 Depth=1
	s_or_b32 exec_lo, exec_lo, s9
	v_lshrrev_b32_e32 v7, 16, v3
	s_mov_b32 s9, exec_lo
	s_delay_alu instid0(VALU_DEP_1) | instskip(NEXT) | instid1(VALU_DEP_1)
	v_dual_mov_b32 v9, 0 :: v_dual_and_b32 v102, 0xff, v7
	v_cmpx_ne_u16_e32 0, v102
	s_cbranch_execz .LBB422_983
; %bb.976:                              ;   in Loop: Header=BB422_611 Depth=1
	v_bfrev_b32_e32 v9, 1
	s_mov_b32 s12, exec_lo
	v_cmpx_ne_u16_e32 0x80, v102
	s_cbranch_execz .LBB422_982
; %bb.977:                              ;   in Loop: Header=BB422_611 Depth=1
	v_bfe_u32 v103, v3, 16, 7
	v_mov_b32_e32 v9, 0x7f800001
	s_mov_b32 s13, exec_lo
	s_delay_alu instid0(VALU_DEP_2)
	v_cmpx_ne_u32_e32 0x7f, v103
	s_cbranch_execz .LBB422_981
; %bb.978:                              ;   in Loop: Header=BB422_611 Depth=1
	v_and_b32_e32 v9, 7, v7
	v_lshrrev_b32_e32 v102, 3, v103
	s_mov_b32 s15, exec_lo
	v_cmpx_gt_u32_e32 8, v103
; %bb.979:                              ;   in Loop: Header=BB422_611 Depth=1
	s_delay_alu instid0(VALU_DEP_3) | instskip(NEXT) | instid1(VALU_DEP_1)
	v_clz_i32_u32_e32 v102, v9
	v_min_u32_e32 v102, 32, v102
	s_delay_alu instid0(VALU_DEP_1) | instskip(SKIP_1) | instid1(VALU_DEP_2)
	v_subrev_nc_u32_e32 v103, 28, v102
	v_sub_nc_u32_e32 v102, 29, v102
	v_lshlrev_b64 v[112:113], v103, v[9:10]
	s_delay_alu instid0(VALU_DEP_1)
	v_and_b32_e32 v9, 7, v112
; %bb.980:                              ;   in Loop: Header=BB422_611 Depth=1
	s_or_b32 exec_lo, exec_lo, s15
	v_lshlrev_b32_e32 v7, 24, v7
	s_delay_alu instid0(VALU_DEP_2) | instskip(SKIP_1) | instid1(VALU_DEP_3)
	v_lshlrev_b32_e32 v9, 20, v9
	v_lshl_add_u32 v102, v102, 23, 0x3c000000
	v_and_b32_e32 v7, 0x80000000, v7
	s_delay_alu instid0(VALU_DEP_1)
	v_or3_b32 v9, v9, v7, v102
.LBB422_981:                            ;   in Loop: Header=BB422_611 Depth=1
	s_or_b32 exec_lo, exec_lo, s13
.LBB422_982:                            ;   in Loop: Header=BB422_611 Depth=1
	s_delay_alu instid0(SALU_CYCLE_1)
	s_or_b32 exec_lo, exec_lo, s12
.LBB422_983:                            ;   in Loop: Header=BB422_611 Depth=1
	s_delay_alu instid0(SALU_CYCLE_1) | instskip(NEXT) | instid1(VALU_DEP_1)
	s_or_b32 exec_lo, exec_lo, s9
	v_mul_f32_e32 v7, v26, v9
                                        ; implicit-def: $vgpr102
	s_delay_alu instid0(VALU_DEP_1) | instskip(NEXT) | instid1(VALU_DEP_1)
	v_and_b32_e32 v9, 0x7f800000, v7
	v_cmp_ne_u32_e64 s0, 0x7f800000, v9
	s_delay_alu instid0(VALU_DEP_1) | instskip(NEXT) | instid1(SALU_CYCLE_1)
	s_and_saveexec_b32 s9, s0
	s_xor_b32 s0, exec_lo, s9
; %bb.984:                              ;   in Loop: Header=BB422_611 Depth=1
	v_bfe_u32 v9, v7, 16, 1
	s_delay_alu instid0(VALU_DEP_1)
	v_add3_u32 v102, v7, v9, 0x7fff
                                        ; implicit-def: $vgpr7
; %bb.985:                              ;   in Loop: Header=BB422_611 Depth=1
	s_and_not1_saveexec_b32 s9, s0
; %bb.986:                              ;   in Loop: Header=BB422_611 Depth=1
	v_and_b32_e32 v9, 0xffff, v7
	v_or_b32_e32 v102, 0x10000, v7
	s_delay_alu instid0(VALU_DEP_2) | instskip(NEXT) | instid1(VALU_DEP_1)
	v_cmp_eq_u32_e64 s0, 0, v9
	v_cndmask_b32_e64 v102, v102, v7, s0
; %bb.987:                              ;   in Loop: Header=BB422_611 Depth=1
	s_or_b32 exec_lo, exec_lo, s9
	v_mov_b32_e32 v7, 0
	s_mov_b32 s9, exec_lo
	v_cmpx_lt_u64_e64 s[2:3], v[2:3]
	s_cbranch_execz .LBB422_995
; %bb.988:                              ;   in Loop: Header=BB422_611 Depth=1
	v_lshrrev_b32_e32 v2, 24, v3
	v_bfrev_b32_e32 v7, 1
	s_mov_b32 s12, exec_lo
	s_delay_alu instid0(VALU_DEP_2)
	v_cmpx_ne_u32_e32 0x80, v2
	s_cbranch_execz .LBB422_994
; %bb.989:                              ;   in Loop: Header=BB422_611 Depth=1
	v_bfe_u32 v103, v3, 24, 7
	v_mov_b32_e32 v7, 0x7f800001
	s_mov_b32 s13, exec_lo
	s_delay_alu instid0(VALU_DEP_2)
	v_cmpx_ne_u32_e32 0x7f, v103
	s_cbranch_execz .LBB422_993
; %bb.990:                              ;   in Loop: Header=BB422_611 Depth=1
	v_and_b32_e32 v9, 7, v2
	v_lshrrev_b32_e32 v3, 3, v103
	s_mov_b32 s15, exec_lo
	v_cmpx_gt_u32_e32 8, v103
; %bb.991:                              ;   in Loop: Header=BB422_611 Depth=1
	s_delay_alu instid0(VALU_DEP_3) | instskip(NEXT) | instid1(VALU_DEP_1)
	v_clz_i32_u32_e32 v3, v9
	v_min_u32_e32 v3, 32, v3
	s_delay_alu instid0(VALU_DEP_1) | instskip(SKIP_1) | instid1(VALU_DEP_2)
	v_subrev_nc_u32_e32 v7, 28, v3
	v_sub_nc_u32_e32 v3, 29, v3
	v_lshlrev_b64 v[112:113], v7, v[9:10]
	s_delay_alu instid0(VALU_DEP_1)
	v_and_b32_e32 v9, 7, v112
; %bb.992:                              ;   in Loop: Header=BB422_611 Depth=1
	s_or_b32 exec_lo, exec_lo, s15
	v_lshlrev_b32_e32 v2, 24, v2
	s_delay_alu instid0(VALU_DEP_2) | instskip(SKIP_1) | instid1(VALU_DEP_3)
	v_lshlrev_b32_e32 v7, 20, v9
	v_lshl_add_u32 v3, v3, 23, 0x3c000000
	v_and_b32_e32 v2, 0x80000000, v2
	s_delay_alu instid0(VALU_DEP_1)
	v_or3_b32 v7, v7, v2, v3
.LBB422_993:                            ;   in Loop: Header=BB422_611 Depth=1
	s_or_b32 exec_lo, exec_lo, s13
.LBB422_994:                            ;   in Loop: Header=BB422_611 Depth=1
	s_delay_alu instid0(SALU_CYCLE_1)
	s_or_b32 exec_lo, exec_lo, s12
.LBB422_995:                            ;   in Loop: Header=BB422_611 Depth=1
	s_delay_alu instid0(SALU_CYCLE_1) | instskip(NEXT) | instid1(VALU_DEP_1)
	s_or_b32 exec_lo, exec_lo, s9
	v_mul_f32_e32 v3, v26, v7
	s_delay_alu instid0(VALU_DEP_1) | instskip(NEXT) | instid1(VALU_DEP_1)
	v_and_b32_e32 v2, 0x7f800000, v3
	v_cmp_ne_u32_e64 s0, 0x7f800000, v2
                                        ; implicit-def: $vgpr2
	s_delay_alu instid0(VALU_DEP_1) | instskip(NEXT) | instid1(SALU_CYCLE_1)
	s_and_saveexec_b32 s9, s0
	s_xor_b32 s0, exec_lo, s9
; %bb.996:                              ;   in Loop: Header=BB422_611 Depth=1
	v_bfe_u32 v2, v3, 16, 1
	s_delay_alu instid0(VALU_DEP_1)
	v_add3_u32 v2, v3, v2, 0x7fff
                                        ; implicit-def: $vgpr3
; %bb.997:                              ;   in Loop: Header=BB422_611 Depth=1
	s_and_not1_saveexec_b32 s9, s0
; %bb.998:                              ;   in Loop: Header=BB422_611 Depth=1
	v_and_b32_e32 v2, 0xffff, v3
	v_or_b32_e32 v7, 0x10000, v3
	s_delay_alu instid0(VALU_DEP_2) | instskip(NEXT) | instid1(VALU_DEP_1)
	v_cmp_eq_u32_e64 s0, 0, v2
	v_cndmask_b32_e64 v2, v7, v3, s0
; %bb.999:                              ;   in Loop: Header=BB422_611 Depth=1
	s_or_b32 exec_lo, exec_lo, s9
	v_lshrrev_b32_e32 v6, 16, v6
	v_lshrrev_b32_e32 v7, 16, v101
	;; [unrolled: 1-line block ×8, first 2 shown]
	s_and_saveexec_b32 s9, vcc_lo
	s_cbranch_execz .LBB422_1001
; %bb.1000:                             ;   in Loop: Header=BB422_611 Depth=1
	v_cmp_lt_i32_e64 s0, v50, v32
	s_delay_alu instid0(VALU_DEP_1) | instskip(SKIP_1) | instid1(VALU_DEP_1)
	v_cndmask_b32_e64 v97, 0, v97, s0
	v_cmp_lt_i32_e64 s0, v64, v32
	v_cndmask_b32_e64 v98, 0, v98, s0
	v_cmp_lt_i32_e64 s0, v55, v32
	s_delay_alu instid0(VALU_DEP_1) | instskip(SKIP_1) | instid1(VALU_DEP_1)
	v_cndmask_b32_e64 v99, 0, v99, s0
	v_cmp_lt_i32_e64 s0, v54, v32
	v_cndmask_b32_e64 v9, 0, v9, s0
	;; [unrolled: 5-line block ×4, first 2 shown]
.LBB422_1001:                           ;   in Loop: Header=BB422_611 Depth=1
	s_or_b32 exec_lo, exec_lo, s9
	v_lshlrev_b32_e32 v97, 16, v97
	s_delay_alu instid0(VALU_DEP_1) | instskip(NEXT) | instid1(VALU_DEP_1)
	v_mul_f32_e32 v100, v65, v97
	v_and_b32_e32 v97, 0x7f800000, v100
	s_delay_alu instid0(VALU_DEP_1) | instskip(NEXT) | instid1(VALU_DEP_1)
	v_cmp_ne_u32_e64 s0, 0x7f800000, v97
                                        ; implicit-def: $vgpr97
	s_and_saveexec_b32 s9, s0
	s_delay_alu instid0(SALU_CYCLE_1)
	s_xor_b32 s0, exec_lo, s9
; %bb.1002:                             ;   in Loop: Header=BB422_611 Depth=1
	v_bfe_u32 v97, v100, 16, 1
	s_delay_alu instid0(VALU_DEP_1)
	v_add3_u32 v97, v100, v97, 0x7fff
                                        ; implicit-def: $vgpr100
; %bb.1003:                             ;   in Loop: Header=BB422_611 Depth=1
	s_and_not1_saveexec_b32 s9, s0
; %bb.1004:                             ;   in Loop: Header=BB422_611 Depth=1
	v_and_b32_e32 v97, 0xffff, v100
	v_or_b32_e32 v101, 0x10000, v100
	s_delay_alu instid0(VALU_DEP_2) | instskip(NEXT) | instid1(VALU_DEP_1)
	v_cmp_eq_u32_e64 s0, 0, v97
	v_cndmask_b32_e64 v97, v101, v100, s0
; %bb.1005:                             ;   in Loop: Header=BB422_611 Depth=1
	s_or_b32 exec_lo, exec_lo, s9
	v_lshlrev_b32_e32 v98, 16, v98
	s_delay_alu instid0(VALU_DEP_1) | instskip(NEXT) | instid1(VALU_DEP_1)
	v_mul_f32_e32 v100, v66, v98
	v_and_b32_e32 v98, 0x7f800000, v100
	s_delay_alu instid0(VALU_DEP_1) | instskip(NEXT) | instid1(VALU_DEP_1)
	v_cmp_ne_u32_e64 s0, 0x7f800000, v98
                                        ; implicit-def: $vgpr98
	s_and_saveexec_b32 s9, s0
	s_delay_alu instid0(SALU_CYCLE_1)
	s_xor_b32 s0, exec_lo, s9
; %bb.1006:                             ;   in Loop: Header=BB422_611 Depth=1
	v_bfe_u32 v98, v100, 16, 1
	s_delay_alu instid0(VALU_DEP_1)
	v_add3_u32 v98, v100, v98, 0x7fff
                                        ; implicit-def: $vgpr100
; %bb.1007:                             ;   in Loop: Header=BB422_611 Depth=1
	s_and_not1_saveexec_b32 s9, s0
; %bb.1008:                             ;   in Loop: Header=BB422_611 Depth=1
	v_and_b32_e32 v98, 0xffff, v100
	v_or_b32_e32 v101, 0x10000, v100
	s_delay_alu instid0(VALU_DEP_2) | instskip(NEXT) | instid1(VALU_DEP_1)
	v_cmp_eq_u32_e64 s0, 0, v98
	v_cndmask_b32_e64 v98, v101, v100, s0
; %bb.1009:                             ;   in Loop: Header=BB422_611 Depth=1
	s_or_b32 exec_lo, exec_lo, s9
	v_lshlrev_b32_e32 v99, 16, v99
	s_delay_alu instid0(VALU_DEP_1) | instskip(NEXT) | instid1(VALU_DEP_1)
	v_mul_f32_e32 v100, v67, v99
	v_and_b32_e32 v99, 0x7f800000, v100
	s_delay_alu instid0(VALU_DEP_1) | instskip(NEXT) | instid1(VALU_DEP_1)
	v_cmp_ne_u32_e64 s0, 0x7f800000, v99
                                        ; implicit-def: $vgpr99
	s_and_saveexec_b32 s9, s0
	s_delay_alu instid0(SALU_CYCLE_1)
	s_xor_b32 s0, exec_lo, s9
; %bb.1010:                             ;   in Loop: Header=BB422_611 Depth=1
	v_bfe_u32 v99, v100, 16, 1
	s_delay_alu instid0(VALU_DEP_1)
	v_add3_u32 v99, v100, v99, 0x7fff
                                        ; implicit-def: $vgpr100
; %bb.1011:                             ;   in Loop: Header=BB422_611 Depth=1
	s_and_not1_saveexec_b32 s9, s0
; %bb.1012:                             ;   in Loop: Header=BB422_611 Depth=1
	v_and_b32_e32 v99, 0xffff, v100
	v_or_b32_e32 v101, 0x10000, v100
	s_delay_alu instid0(VALU_DEP_2) | instskip(NEXT) | instid1(VALU_DEP_1)
	v_cmp_eq_u32_e64 s0, 0, v99
	v_cndmask_b32_e64 v99, v101, v100, s0
; %bb.1013:                             ;   in Loop: Header=BB422_611 Depth=1
	s_or_b32 exec_lo, exec_lo, s9
	v_lshlrev_b32_e32 v9, 16, v9
	s_delay_alu instid0(VALU_DEP_1) | instskip(NEXT) | instid1(VALU_DEP_1)
	v_mul_f32_e32 v9, v68, v9
	v_and_b32_e32 v100, 0x7f800000, v9
	s_delay_alu instid0(VALU_DEP_1) | instskip(NEXT) | instid1(VALU_DEP_1)
	v_cmp_ne_u32_e64 s0, 0x7f800000, v100
                                        ; implicit-def: $vgpr100
	s_and_saveexec_b32 s9, s0
	s_delay_alu instid0(SALU_CYCLE_1)
	s_xor_b32 s0, exec_lo, s9
; %bb.1014:                             ;   in Loop: Header=BB422_611 Depth=1
	v_bfe_u32 v100, v9, 16, 1
	s_delay_alu instid0(VALU_DEP_1)
	v_add3_u32 v100, v9, v100, 0x7fff
                                        ; implicit-def: $vgpr9
; %bb.1015:                             ;   in Loop: Header=BB422_611 Depth=1
	s_and_not1_saveexec_b32 s9, s0
; %bb.1016:                             ;   in Loop: Header=BB422_611 Depth=1
	v_and_b32_e32 v100, 0xffff, v9
	v_or_b32_e32 v101, 0x10000, v9
	s_delay_alu instid0(VALU_DEP_2) | instskip(NEXT) | instid1(VALU_DEP_1)
	v_cmp_eq_u32_e64 s0, 0, v100
	v_cndmask_b32_e64 v100, v101, v9, s0
; %bb.1017:                             ;   in Loop: Header=BB422_611 Depth=1
	s_or_b32 exec_lo, exec_lo, s9
	v_lshlrev_b32_e32 v7, 16, v7
                                        ; implicit-def: $vgpr101
	s_delay_alu instid0(VALU_DEP_1) | instskip(NEXT) | instid1(VALU_DEP_1)
	v_mul_f32_e32 v7, v69, v7
	v_and_b32_e32 v9, 0x7f800000, v7
	s_delay_alu instid0(VALU_DEP_1) | instskip(NEXT) | instid1(VALU_DEP_1)
	v_cmp_ne_u32_e64 s0, 0x7f800000, v9
	s_and_saveexec_b32 s9, s0
	s_delay_alu instid0(SALU_CYCLE_1)
	s_xor_b32 s0, exec_lo, s9
; %bb.1018:                             ;   in Loop: Header=BB422_611 Depth=1
	v_bfe_u32 v9, v7, 16, 1
	s_delay_alu instid0(VALU_DEP_1)
	v_add3_u32 v101, v7, v9, 0x7fff
                                        ; implicit-def: $vgpr7
; %bb.1019:                             ;   in Loop: Header=BB422_611 Depth=1
	s_and_not1_saveexec_b32 s9, s0
; %bb.1020:                             ;   in Loop: Header=BB422_611 Depth=1
	v_and_b32_e32 v9, 0xffff, v7
	v_or_b32_e32 v101, 0x10000, v7
	s_delay_alu instid0(VALU_DEP_2) | instskip(NEXT) | instid1(VALU_DEP_1)
	v_cmp_eq_u32_e64 s0, 0, v9
	v_cndmask_b32_e64 v101, v101, v7, s0
; %bb.1021:                             ;   in Loop: Header=BB422_611 Depth=1
	s_or_b32 exec_lo, exec_lo, s9
	v_lshlrev_b32_e32 v6, 16, v6
                                        ; implicit-def: $vgpr102
	s_delay_alu instid0(VALU_DEP_1) | instskip(NEXT) | instid1(VALU_DEP_1)
	v_mul_f32_e32 v6, v70, v6
	v_and_b32_e32 v7, 0x7f800000, v6
	s_delay_alu instid0(VALU_DEP_1) | instskip(NEXT) | instid1(VALU_DEP_1)
	v_cmp_ne_u32_e64 s0, 0x7f800000, v7
	s_and_saveexec_b32 s9, s0
	s_delay_alu instid0(SALU_CYCLE_1)
	s_xor_b32 s0, exec_lo, s9
; %bb.1022:                             ;   in Loop: Header=BB422_611 Depth=1
	v_bfe_u32 v7, v6, 16, 1
	s_delay_alu instid0(VALU_DEP_1)
	v_add3_u32 v102, v6, v7, 0x7fff
                                        ; implicit-def: $vgpr6
; %bb.1023:                             ;   in Loop: Header=BB422_611 Depth=1
	s_and_not1_saveexec_b32 s9, s0
; %bb.1024:                             ;   in Loop: Header=BB422_611 Depth=1
	v_and_b32_e32 v7, 0xffff, v6
	v_or_b32_e32 v9, 0x10000, v6
	s_delay_alu instid0(VALU_DEP_2) | instskip(NEXT) | instid1(VALU_DEP_1)
	v_cmp_eq_u32_e64 s0, 0, v7
	v_cndmask_b32_e64 v102, v9, v6, s0
; %bb.1025:                             ;   in Loop: Header=BB422_611 Depth=1
	s_or_b32 exec_lo, exec_lo, s9
	v_lshlrev_b32_e32 v3, 16, v3
                                        ; implicit-def: $vgpr103
	s_delay_alu instid0(VALU_DEP_1) | instskip(NEXT) | instid1(VALU_DEP_1)
	v_mul_f32_e32 v3, v71, v3
	v_and_b32_e32 v6, 0x7f800000, v3
	s_delay_alu instid0(VALU_DEP_1) | instskip(NEXT) | instid1(VALU_DEP_1)
	v_cmp_ne_u32_e64 s0, 0x7f800000, v6
	s_and_saveexec_b32 s9, s0
	s_delay_alu instid0(SALU_CYCLE_1)
	s_xor_b32 s0, exec_lo, s9
; %bb.1026:                             ;   in Loop: Header=BB422_611 Depth=1
	v_bfe_u32 v6, v3, 16, 1
	s_delay_alu instid0(VALU_DEP_1)
	v_add3_u32 v103, v3, v6, 0x7fff
                                        ; implicit-def: $vgpr3
; %bb.1027:                             ;   in Loop: Header=BB422_611 Depth=1
	s_and_not1_saveexec_b32 s9, s0
; %bb.1028:                             ;   in Loop: Header=BB422_611 Depth=1
	v_and_b32_e32 v6, 0xffff, v3
	v_or_b32_e32 v7, 0x10000, v3
	s_delay_alu instid0(VALU_DEP_2) | instskip(NEXT) | instid1(VALU_DEP_1)
	v_cmp_eq_u32_e64 s0, 0, v6
	v_cndmask_b32_e64 v103, v7, v3, s0
; %bb.1029:                             ;   in Loop: Header=BB422_611 Depth=1
	s_or_b32 exec_lo, exec_lo, s9
	v_lshlrev_b32_e32 v2, 16, v2
                                        ; implicit-def: $vgpr112
	s_delay_alu instid0(VALU_DEP_1) | instskip(NEXT) | instid1(VALU_DEP_1)
	v_mul_f32_e32 v2, v80, v2
	v_and_b32_e32 v3, 0x7f800000, v2
	s_delay_alu instid0(VALU_DEP_1) | instskip(NEXT) | instid1(VALU_DEP_1)
	v_cmp_ne_u32_e64 s0, 0x7f800000, v3
	s_and_saveexec_b32 s9, s0
	s_delay_alu instid0(SALU_CYCLE_1)
	s_xor_b32 s0, exec_lo, s9
; %bb.1030:                             ;   in Loop: Header=BB422_611 Depth=1
	v_bfe_u32 v3, v2, 16, 1
	s_delay_alu instid0(VALU_DEP_1)
	v_add3_u32 v112, v2, v3, 0x7fff
                                        ; implicit-def: $vgpr2
; %bb.1031:                             ;   in Loop: Header=BB422_611 Depth=1
	s_and_not1_saveexec_b32 s9, s0
; %bb.1032:                             ;   in Loop: Header=BB422_611 Depth=1
	v_and_b32_e32 v3, 0xffff, v2
	v_or_b32_e32 v6, 0x10000, v2
	s_delay_alu instid0(VALU_DEP_2) | instskip(NEXT) | instid1(VALU_DEP_1)
	v_cmp_eq_u32_e64 s0, 0, v3
	v_cndmask_b32_e64 v112, v6, v2, s0
; %bb.1033:                             ;   in Loop: Header=BB422_611 Depth=1
	s_or_b32 exec_lo, exec_lo, s9
	flat_load_b64 v[2:3], v[0:1] offset:768
	s_mov_b32 s9, exec_lo
	s_waitcnt vmcnt(0) lgkmcnt(0)
	v_dual_mov_b32 v6, 0 :: v_dual_and_b32 v7, 0xff, v2
	s_delay_alu instid0(VALU_DEP_1)
	v_cmpx_ne_u16_e32 0, v7
	s_cbranch_execz .LBB422_1041
; %bb.1034:                             ;   in Loop: Header=BB422_611 Depth=1
	v_bfrev_b32_e32 v6, 1
	s_mov_b32 s12, exec_lo
	v_cmpx_ne_u16_e32 0x80, v7
	s_cbranch_execz .LBB422_1040
; %bb.1035:                             ;   in Loop: Header=BB422_611 Depth=1
	v_and_b32_e32 v7, 0x7f, v2
	v_mov_b32_e32 v6, 0x7f800001
	s_mov_b32 s13, exec_lo
	s_delay_alu instid0(VALU_DEP_2)
	v_cmpx_ne_u32_e32 0x7f, v7
	s_cbranch_execz .LBB422_1039
; %bb.1036:                             ;   in Loop: Header=BB422_611 Depth=1
	v_lshrrev_b32_e32 v9, 3, v7
	v_cmp_gt_u32_e64 s0, 8, v7
	v_dual_mov_b32 v7, v3 :: v_dual_mov_b32 v6, v2
	s_delay_alu instid0(VALU_DEP_2)
	s_and_saveexec_b32 s15, s0
; %bb.1037:                             ;   in Loop: Header=BB422_611 Depth=1
	v_and_b32_e32 v6, 7, v2
	s_delay_alu instid0(VALU_DEP_1) | instskip(NEXT) | instid1(VALU_DEP_1)
	v_clz_i32_u32_e32 v6, v6
	v_min_u32_e32 v9, 32, v6
	s_delay_alu instid0(VALU_DEP_1) | instskip(SKIP_1) | instid1(VALU_DEP_2)
	v_subrev_nc_u32_e32 v6, 28, v9
	v_sub_nc_u32_e32 v9, 29, v9
	v_lshlrev_b64 v[6:7], v6, v[2:3]
; %bb.1038:                             ;   in Loop: Header=BB422_611 Depth=1
	s_or_b32 exec_lo, exec_lo, s15
	s_delay_alu instid0(VALU_DEP_1) | instskip(SKIP_2) | instid1(VALU_DEP_3)
	v_lshlrev_b32_e32 v6, 20, v6
	v_lshlrev_b32_e32 v7, 24, v2
	v_lshl_add_u32 v9, v9, 23, 0x3c000000
	v_and_b32_e32 v6, 0x700000, v6
	s_delay_alu instid0(VALU_DEP_3) | instskip(NEXT) | instid1(VALU_DEP_1)
	v_and_b32_e32 v7, 0x80000000, v7
	v_or3_b32 v6, v6, v7, v9
.LBB422_1039:                           ;   in Loop: Header=BB422_611 Depth=1
	s_or_b32 exec_lo, exec_lo, s13
.LBB422_1040:                           ;   in Loop: Header=BB422_611 Depth=1
	s_delay_alu instid0(SALU_CYCLE_1)
	s_or_b32 exec_lo, exec_lo, s12
.LBB422_1041:                           ;   in Loop: Header=BB422_611 Depth=1
	s_delay_alu instid0(SALU_CYCLE_1) | instskip(NEXT) | instid1(VALU_DEP_1)
	s_or_b32 exec_lo, exec_lo, s9
	v_mul_f32_e32 v6, v26, v6
                                        ; implicit-def: $vgpr113
	s_delay_alu instid0(VALU_DEP_1) | instskip(NEXT) | instid1(VALU_DEP_1)
	v_and_b32_e32 v7, 0x7f800000, v6
	v_cmp_ne_u32_e64 s0, 0x7f800000, v7
	s_delay_alu instid0(VALU_DEP_1) | instskip(NEXT) | instid1(SALU_CYCLE_1)
	s_and_saveexec_b32 s9, s0
	s_xor_b32 s0, exec_lo, s9
; %bb.1042:                             ;   in Loop: Header=BB422_611 Depth=1
	v_bfe_u32 v7, v6, 16, 1
	s_delay_alu instid0(VALU_DEP_1)
	v_add3_u32 v113, v6, v7, 0x7fff
                                        ; implicit-def: $vgpr6
; %bb.1043:                             ;   in Loop: Header=BB422_611 Depth=1
	s_and_not1_saveexec_b32 s9, s0
; %bb.1044:                             ;   in Loop: Header=BB422_611 Depth=1
	v_and_b32_e32 v7, 0xffff, v6
	v_or_b32_e32 v9, 0x10000, v6
	s_delay_alu instid0(VALU_DEP_2) | instskip(NEXT) | instid1(VALU_DEP_1)
	v_cmp_eq_u32_e64 s0, 0, v7
	v_cndmask_b32_e64 v113, v9, v6, s0
; %bb.1045:                             ;   in Loop: Header=BB422_611 Depth=1
	s_or_b32 exec_lo, exec_lo, s9
	v_lshrrev_b16 v7, 8, v2
	v_mov_b32_e32 v6, 0
	s_mov_b32 s9, exec_lo
	s_delay_alu instid0(VALU_DEP_2)
	v_cmpx_ne_u16_e32 0, v7
	s_cbranch_execz .LBB422_1053
; %bb.1046:                             ;   in Loop: Header=BB422_611 Depth=1
	v_bfrev_b32_e32 v6, 1
	s_mov_b32 s12, exec_lo
	v_cmpx_ne_u16_e32 0x80, v7
	s_cbranch_execz .LBB422_1052
; %bb.1047:                             ;   in Loop: Header=BB422_611 Depth=1
	v_and_b32_e32 v9, 0xffff, v7
	v_mov_b32_e32 v6, 0x7f800001
	s_mov_b32 s13, exec_lo
	s_delay_alu instid0(VALU_DEP_2) | instskip(NEXT) | instid1(VALU_DEP_1)
	v_and_b32_e32 v7, 0x7f, v9
	v_cmpx_ne_u32_e32 0x7f, v7
	s_cbranch_execz .LBB422_1051
; %bb.1048:                             ;   in Loop: Header=BB422_611 Depth=1
	v_and_b32_e32 v9, 7, v9
	v_lshrrev_b32_e32 v6, 3, v7
	s_mov_b32 s15, exec_lo
	v_cmpx_gt_u32_e32 8, v7
; %bb.1049:                             ;   in Loop: Header=BB422_611 Depth=1
	s_delay_alu instid0(VALU_DEP_3) | instskip(NEXT) | instid1(VALU_DEP_1)
	v_clz_i32_u32_e32 v6, v9
	v_min_u32_e32 v6, 32, v6
	s_delay_alu instid0(VALU_DEP_1) | instskip(SKIP_1) | instid1(VALU_DEP_2)
	v_subrev_nc_u32_e32 v7, 28, v6
	v_sub_nc_u32_e32 v6, 29, v6
	v_lshlrev_b64 v[114:115], v7, v[9:10]
	s_delay_alu instid0(VALU_DEP_1)
	v_and_b32_e32 v9, 7, v114
; %bb.1050:                             ;   in Loop: Header=BB422_611 Depth=1
	s_or_b32 exec_lo, exec_lo, s15
	v_lshlrev_b32_e32 v7, 16, v2
	s_delay_alu instid0(VALU_DEP_2) | instskip(SKIP_1) | instid1(VALU_DEP_3)
	v_lshlrev_b32_e32 v9, 20, v9
	v_lshl_add_u32 v6, v6, 23, 0x3c000000
	v_and_b32_e32 v7, 0x80000000, v7
	s_delay_alu instid0(VALU_DEP_1)
	v_or3_b32 v6, v9, v7, v6
.LBB422_1051:                           ;   in Loop: Header=BB422_611 Depth=1
	s_or_b32 exec_lo, exec_lo, s13
.LBB422_1052:                           ;   in Loop: Header=BB422_611 Depth=1
	s_delay_alu instid0(SALU_CYCLE_1)
	s_or_b32 exec_lo, exec_lo, s12
.LBB422_1053:                           ;   in Loop: Header=BB422_611 Depth=1
	s_delay_alu instid0(SALU_CYCLE_1) | instskip(NEXT) | instid1(VALU_DEP_1)
	s_or_b32 exec_lo, exec_lo, s9
	v_mul_f32_e32 v6, v26, v6
                                        ; implicit-def: $vgpr114
	s_delay_alu instid0(VALU_DEP_1) | instskip(NEXT) | instid1(VALU_DEP_1)
	v_and_b32_e32 v7, 0x7f800000, v6
	v_cmp_ne_u32_e64 s0, 0x7f800000, v7
	s_delay_alu instid0(VALU_DEP_1) | instskip(NEXT) | instid1(SALU_CYCLE_1)
	s_and_saveexec_b32 s9, s0
	s_xor_b32 s0, exec_lo, s9
; %bb.1054:                             ;   in Loop: Header=BB422_611 Depth=1
	v_bfe_u32 v7, v6, 16, 1
	s_delay_alu instid0(VALU_DEP_1)
	v_add3_u32 v114, v6, v7, 0x7fff
                                        ; implicit-def: $vgpr6
; %bb.1055:                             ;   in Loop: Header=BB422_611 Depth=1
	s_and_not1_saveexec_b32 s9, s0
; %bb.1056:                             ;   in Loop: Header=BB422_611 Depth=1
	v_and_b32_e32 v7, 0xffff, v6
	v_or_b32_e32 v9, 0x10000, v6
	s_delay_alu instid0(VALU_DEP_2) | instskip(NEXT) | instid1(VALU_DEP_1)
	v_cmp_eq_u32_e64 s0, 0, v7
	v_cndmask_b32_e64 v114, v9, v6, s0
; %bb.1057:                             ;   in Loop: Header=BB422_611 Depth=1
	s_or_b32 exec_lo, exec_lo, s9
	v_lshrrev_b32_e32 v6, 16, v2
	v_mov_b32_e32 v7, 0
	s_mov_b32 s9, exec_lo
	s_delay_alu instid0(VALU_DEP_2) | instskip(NEXT) | instid1(VALU_DEP_1)
	v_and_b32_e32 v9, 0xff, v6
	v_cmpx_ne_u16_e32 0, v9
	s_cbranch_execz .LBB422_1065
; %bb.1058:                             ;   in Loop: Header=BB422_611 Depth=1
	v_bfrev_b32_e32 v7, 1
	s_mov_b32 s12, exec_lo
	v_cmpx_ne_u16_e32 0x80, v9
	s_cbranch_execz .LBB422_1064
; %bb.1059:                             ;   in Loop: Header=BB422_611 Depth=1
	v_bfe_u32 v115, v2, 16, 7
	v_mov_b32_e32 v7, 0x7f800001
	s_mov_b32 s13, exec_lo
	s_delay_alu instid0(VALU_DEP_2)
	v_cmpx_ne_u32_e32 0x7f, v115
	s_cbranch_execz .LBB422_1063
; %bb.1060:                             ;   in Loop: Header=BB422_611 Depth=1
	v_and_b32_e32 v9, 7, v6
	v_lshrrev_b32_e32 v7, 3, v115
	s_mov_b32 s15, exec_lo
	v_cmpx_gt_u32_e32 8, v115
; %bb.1061:                             ;   in Loop: Header=BB422_611 Depth=1
	s_delay_alu instid0(VALU_DEP_3) | instskip(NEXT) | instid1(VALU_DEP_1)
	v_clz_i32_u32_e32 v7, v9
	v_min_u32_e32 v7, 32, v7
	s_delay_alu instid0(VALU_DEP_1) | instskip(SKIP_1) | instid1(VALU_DEP_2)
	v_subrev_nc_u32_e32 v115, 28, v7
	v_sub_nc_u32_e32 v7, 29, v7
	v_lshlrev_b64 v[115:116], v115, v[9:10]
	s_delay_alu instid0(VALU_DEP_1)
	v_and_b32_e32 v9, 7, v115
; %bb.1062:                             ;   in Loop: Header=BB422_611 Depth=1
	s_or_b32 exec_lo, exec_lo, s15
	v_lshlrev_b32_e32 v6, 24, v6
	s_delay_alu instid0(VALU_DEP_2) | instskip(SKIP_1) | instid1(VALU_DEP_3)
	v_lshlrev_b32_e32 v9, 20, v9
	v_lshl_add_u32 v7, v7, 23, 0x3c000000
	v_and_b32_e32 v6, 0x80000000, v6
	s_delay_alu instid0(VALU_DEP_1)
	v_or3_b32 v7, v9, v6, v7
.LBB422_1063:                           ;   in Loop: Header=BB422_611 Depth=1
	s_or_b32 exec_lo, exec_lo, s13
.LBB422_1064:                           ;   in Loop: Header=BB422_611 Depth=1
	s_delay_alu instid0(SALU_CYCLE_1)
	s_or_b32 exec_lo, exec_lo, s12
.LBB422_1065:                           ;   in Loop: Header=BB422_611 Depth=1
	s_delay_alu instid0(SALU_CYCLE_1) | instskip(NEXT) | instid1(VALU_DEP_1)
	s_or_b32 exec_lo, exec_lo, s9
	v_mul_f32_e32 v6, v26, v7
                                        ; implicit-def: $vgpr115
	s_delay_alu instid0(VALU_DEP_1) | instskip(NEXT) | instid1(VALU_DEP_1)
	v_and_b32_e32 v7, 0x7f800000, v6
	v_cmp_ne_u32_e64 s0, 0x7f800000, v7
	s_delay_alu instid0(VALU_DEP_1) | instskip(NEXT) | instid1(SALU_CYCLE_1)
	s_and_saveexec_b32 s9, s0
	s_xor_b32 s0, exec_lo, s9
; %bb.1066:                             ;   in Loop: Header=BB422_611 Depth=1
	v_bfe_u32 v7, v6, 16, 1
	s_delay_alu instid0(VALU_DEP_1)
	v_add3_u32 v115, v6, v7, 0x7fff
                                        ; implicit-def: $vgpr6
; %bb.1067:                             ;   in Loop: Header=BB422_611 Depth=1
	s_and_not1_saveexec_b32 s9, s0
; %bb.1068:                             ;   in Loop: Header=BB422_611 Depth=1
	v_and_b32_e32 v7, 0xffff, v6
	v_or_b32_e32 v9, 0x10000, v6
	s_delay_alu instid0(VALU_DEP_2) | instskip(NEXT) | instid1(VALU_DEP_1)
	v_cmp_eq_u32_e64 s0, 0, v7
	v_cndmask_b32_e64 v115, v9, v6, s0
; %bb.1069:                             ;   in Loop: Header=BB422_611 Depth=1
	s_or_b32 exec_lo, exec_lo, s9
	v_mov_b32_e32 v7, 0
	s_mov_b32 s9, exec_lo
	v_cmpx_lt_u32_e32 0xffffff, v2
	s_cbranch_execz .LBB422_1077
; %bb.1070:                             ;   in Loop: Header=BB422_611 Depth=1
	v_lshrrev_b32_e32 v6, 24, v2
	v_bfrev_b32_e32 v7, 1
	s_mov_b32 s12, exec_lo
	s_delay_alu instid0(VALU_DEP_2)
	v_cmpx_ne_u32_e32 0x80, v6
	s_cbranch_execz .LBB422_1076
; %bb.1071:                             ;   in Loop: Header=BB422_611 Depth=1
	v_bfe_u32 v116, v2, 24, 7
	v_mov_b32_e32 v7, 0x7f800001
	s_mov_b32 s13, exec_lo
	s_delay_alu instid0(VALU_DEP_2)
	v_cmpx_ne_u32_e32 0x7f, v116
	s_cbranch_execz .LBB422_1075
; %bb.1072:                             ;   in Loop: Header=BB422_611 Depth=1
	v_and_b32_e32 v9, 7, v6
	v_lshrrev_b32_e32 v7, 3, v116
	s_mov_b32 s15, exec_lo
	v_cmpx_gt_u32_e32 8, v116
; %bb.1073:                             ;   in Loop: Header=BB422_611 Depth=1
	s_delay_alu instid0(VALU_DEP_3) | instskip(NEXT) | instid1(VALU_DEP_1)
	v_clz_i32_u32_e32 v7, v9
	v_min_u32_e32 v7, 32, v7
	s_delay_alu instid0(VALU_DEP_1) | instskip(SKIP_1) | instid1(VALU_DEP_2)
	v_subrev_nc_u32_e32 v116, 28, v7
	v_sub_nc_u32_e32 v7, 29, v7
	v_lshlrev_b64 v[116:117], v116, v[9:10]
	s_delay_alu instid0(VALU_DEP_1)
	v_and_b32_e32 v9, 7, v116
; %bb.1074:                             ;   in Loop: Header=BB422_611 Depth=1
	s_or_b32 exec_lo, exec_lo, s15
	v_lshlrev_b32_e32 v6, 24, v6
	s_delay_alu instid0(VALU_DEP_2) | instskip(SKIP_1) | instid1(VALU_DEP_3)
	v_lshlrev_b32_e32 v9, 20, v9
	v_lshl_add_u32 v7, v7, 23, 0x3c000000
	v_and_b32_e32 v6, 0x80000000, v6
	s_delay_alu instid0(VALU_DEP_1)
	v_or3_b32 v7, v9, v6, v7
.LBB422_1075:                           ;   in Loop: Header=BB422_611 Depth=1
	s_or_b32 exec_lo, exec_lo, s13
.LBB422_1076:                           ;   in Loop: Header=BB422_611 Depth=1
	s_delay_alu instid0(SALU_CYCLE_1)
	s_or_b32 exec_lo, exec_lo, s12
.LBB422_1077:                           ;   in Loop: Header=BB422_611 Depth=1
	s_delay_alu instid0(SALU_CYCLE_1) | instskip(NEXT) | instid1(VALU_DEP_1)
	s_or_b32 exec_lo, exec_lo, s9
	v_mul_f32_e32 v6, v26, v7
                                        ; implicit-def: $vgpr116
	s_delay_alu instid0(VALU_DEP_1) | instskip(NEXT) | instid1(VALU_DEP_1)
	v_and_b32_e32 v7, 0x7f800000, v6
	v_cmp_ne_u32_e64 s0, 0x7f800000, v7
	s_delay_alu instid0(VALU_DEP_1) | instskip(NEXT) | instid1(SALU_CYCLE_1)
	s_and_saveexec_b32 s9, s0
	s_xor_b32 s0, exec_lo, s9
; %bb.1078:                             ;   in Loop: Header=BB422_611 Depth=1
	v_bfe_u32 v7, v6, 16, 1
	s_delay_alu instid0(VALU_DEP_1)
	v_add3_u32 v116, v6, v7, 0x7fff
                                        ; implicit-def: $vgpr6
; %bb.1079:                             ;   in Loop: Header=BB422_611 Depth=1
	s_and_not1_saveexec_b32 s9, s0
; %bb.1080:                             ;   in Loop: Header=BB422_611 Depth=1
	v_and_b32_e32 v7, 0xffff, v6
	v_or_b32_e32 v9, 0x10000, v6
	s_delay_alu instid0(VALU_DEP_2) | instskip(NEXT) | instid1(VALU_DEP_1)
	v_cmp_eq_u32_e64 s0, 0, v7
	v_cndmask_b32_e64 v116, v9, v6, s0
; %bb.1081:                             ;   in Loop: Header=BB422_611 Depth=1
	s_or_b32 exec_lo, exec_lo, s9
	v_dual_mov_b32 v6, 0 :: v_dual_and_b32 v7, 0xff, v3
	v_mov_b32_e32 v9, v3
	s_mov_b32 s9, exec_lo
	s_delay_alu instid0(VALU_DEP_2)
	v_cmpx_ne_u16_e32 0, v7
	s_cbranch_execz .LBB422_1089
; %bb.1082:                             ;   in Loop: Header=BB422_611 Depth=1
	v_bfrev_b32_e32 v6, 1
	s_mov_b32 s12, exec_lo
	v_cmpx_ne_u16_e32 0x80, v7
	s_cbranch_execz .LBB422_1088
; %bb.1083:                             ;   in Loop: Header=BB422_611 Depth=1
	v_and_b32_e32 v7, 0x7f, v3
	v_mov_b32_e32 v6, 0x7f800001
	s_mov_b32 s13, exec_lo
	s_delay_alu instid0(VALU_DEP_2)
	v_cmpx_ne_u32_e32 0x7f, v7
	s_cbranch_execz .LBB422_1087
; %bb.1084:                             ;   in Loop: Header=BB422_611 Depth=1
	v_lshrrev_b32_e32 v117, 3, v7
	v_cmp_gt_u32_e64 s0, 8, v7
	v_dual_mov_b32 v6, v9 :: v_dual_mov_b32 v7, v10
	s_delay_alu instid0(VALU_DEP_2)
	s_and_saveexec_b32 s15, s0
; %bb.1085:                             ;   in Loop: Header=BB422_611 Depth=1
	v_and_b32_e32 v6, 7, v3
	s_delay_alu instid0(VALU_DEP_1) | instskip(NEXT) | instid1(VALU_DEP_1)
	v_clz_i32_u32_e32 v6, v6
	v_min_u32_e32 v117, 32, v6
	s_delay_alu instid0(VALU_DEP_1) | instskip(SKIP_1) | instid1(VALU_DEP_2)
	v_subrev_nc_u32_e32 v6, 28, v117
	v_sub_nc_u32_e32 v117, 29, v117
	v_lshlrev_b64 v[6:7], v6, v[9:10]
; %bb.1086:                             ;   in Loop: Header=BB422_611 Depth=1
	s_or_b32 exec_lo, exec_lo, s15
	s_delay_alu instid0(VALU_DEP_1) | instskip(SKIP_2) | instid1(VALU_DEP_3)
	v_lshlrev_b32_e32 v6, 20, v6
	v_lshlrev_b32_e32 v7, 24, v9
	v_lshl_add_u32 v117, v117, 23, 0x3c000000
	v_and_b32_e32 v6, 0x700000, v6
	s_delay_alu instid0(VALU_DEP_3) | instskip(NEXT) | instid1(VALU_DEP_1)
	v_and_b32_e32 v7, 0x80000000, v7
	v_or3_b32 v6, v6, v7, v117
.LBB422_1087:                           ;   in Loop: Header=BB422_611 Depth=1
	s_or_b32 exec_lo, exec_lo, s13
.LBB422_1088:                           ;   in Loop: Header=BB422_611 Depth=1
	s_delay_alu instid0(SALU_CYCLE_1)
	s_or_b32 exec_lo, exec_lo, s12
.LBB422_1089:                           ;   in Loop: Header=BB422_611 Depth=1
	s_delay_alu instid0(SALU_CYCLE_1) | instskip(NEXT) | instid1(VALU_DEP_1)
	s_or_b32 exec_lo, exec_lo, s9
	v_mul_f32_e32 v6, v26, v6
                                        ; implicit-def: $vgpr117
	s_delay_alu instid0(VALU_DEP_1) | instskip(NEXT) | instid1(VALU_DEP_1)
	v_and_b32_e32 v7, 0x7f800000, v6
	v_cmp_ne_u32_e64 s0, 0x7f800000, v7
	s_delay_alu instid0(VALU_DEP_1) | instskip(NEXT) | instid1(SALU_CYCLE_1)
	s_and_saveexec_b32 s9, s0
	s_xor_b32 s0, exec_lo, s9
; %bb.1090:                             ;   in Loop: Header=BB422_611 Depth=1
	v_bfe_u32 v7, v6, 16, 1
	s_delay_alu instid0(VALU_DEP_1)
	v_add3_u32 v117, v6, v7, 0x7fff
                                        ; implicit-def: $vgpr6
; %bb.1091:                             ;   in Loop: Header=BB422_611 Depth=1
	s_and_not1_saveexec_b32 s9, s0
; %bb.1092:                             ;   in Loop: Header=BB422_611 Depth=1
	v_and_b32_e32 v7, 0xffff, v6
	v_or_b32_e32 v117, 0x10000, v6
	s_delay_alu instid0(VALU_DEP_2) | instskip(NEXT) | instid1(VALU_DEP_1)
	v_cmp_eq_u32_e64 s0, 0, v7
	v_cndmask_b32_e64 v117, v117, v6, s0
; %bb.1093:                             ;   in Loop: Header=BB422_611 Depth=1
	s_or_b32 exec_lo, exec_lo, s9
	v_lshrrev_b16 v7, 8, v9
	v_mov_b32_e32 v6, 0
	s_mov_b32 s9, exec_lo
	s_delay_alu instid0(VALU_DEP_2)
	v_cmpx_ne_u16_e32 0, v7
	s_cbranch_execz .LBB422_1101
; %bb.1094:                             ;   in Loop: Header=BB422_611 Depth=1
	v_bfrev_b32_e32 v6, 1
	s_mov_b32 s12, exec_lo
	v_cmpx_ne_u16_e32 0x80, v7
	s_cbranch_execz .LBB422_1100
; %bb.1095:                             ;   in Loop: Header=BB422_611 Depth=1
	v_and_b32_e32 v7, 0xffff, v7
	v_mov_b32_e32 v6, 0x7f800001
	s_mov_b32 s13, exec_lo
	s_delay_alu instid0(VALU_DEP_2) | instskip(NEXT) | instid1(VALU_DEP_1)
	v_and_b32_e32 v119, 0x7f, v7
	v_cmpx_ne_u32_e32 0x7f, v119
	s_cbranch_execz .LBB422_1099
; %bb.1096:                             ;   in Loop: Header=BB422_611 Depth=1
	v_dual_mov_b32 v7, v10 :: v_dual_and_b32 v6, 7, v7
	v_lshrrev_b32_e32 v118, 3, v119
	s_mov_b32 s15, exec_lo
	v_cmpx_gt_u32_e32 8, v119
; %bb.1097:                             ;   in Loop: Header=BB422_611 Depth=1
	s_delay_alu instid0(VALU_DEP_3) | instskip(NEXT) | instid1(VALU_DEP_1)
	v_clz_i32_u32_e32 v118, v6
	v_min_u32_e32 v118, 32, v118
	s_delay_alu instid0(VALU_DEP_1) | instskip(SKIP_1) | instid1(VALU_DEP_2)
	v_subrev_nc_u32_e32 v119, 28, v118
	v_sub_nc_u32_e32 v118, 29, v118
	v_lshlrev_b64 v[6:7], v119, v[6:7]
	s_delay_alu instid0(VALU_DEP_1)
	v_and_b32_e32 v6, 7, v6
; %bb.1098:                             ;   in Loop: Header=BB422_611 Depth=1
	s_or_b32 exec_lo, exec_lo, s15
	v_lshlrev_b32_e32 v7, 16, v9
	s_delay_alu instid0(VALU_DEP_2) | instskip(SKIP_1) | instid1(VALU_DEP_3)
	v_lshlrev_b32_e32 v6, 20, v6
	v_lshl_add_u32 v9, v118, 23, 0x3c000000
	v_and_b32_e32 v7, 0x80000000, v7
	s_delay_alu instid0(VALU_DEP_1)
	v_or3_b32 v6, v6, v7, v9
.LBB422_1099:                           ;   in Loop: Header=BB422_611 Depth=1
	s_or_b32 exec_lo, exec_lo, s13
.LBB422_1100:                           ;   in Loop: Header=BB422_611 Depth=1
	s_delay_alu instid0(SALU_CYCLE_1)
	s_or_b32 exec_lo, exec_lo, s12
.LBB422_1101:                           ;   in Loop: Header=BB422_611 Depth=1
	s_delay_alu instid0(SALU_CYCLE_1) | instskip(NEXT) | instid1(VALU_DEP_1)
	s_or_b32 exec_lo, exec_lo, s9
	v_mul_f32_e32 v7, v26, v6
	s_delay_alu instid0(VALU_DEP_1) | instskip(NEXT) | instid1(VALU_DEP_1)
	v_and_b32_e32 v6, 0x7f800000, v7
	v_cmp_ne_u32_e64 s0, 0x7f800000, v6
                                        ; implicit-def: $vgpr6
	s_delay_alu instid0(VALU_DEP_1) | instskip(NEXT) | instid1(SALU_CYCLE_1)
	s_and_saveexec_b32 s9, s0
	s_xor_b32 s0, exec_lo, s9
; %bb.1102:                             ;   in Loop: Header=BB422_611 Depth=1
	v_bfe_u32 v6, v7, 16, 1
	s_delay_alu instid0(VALU_DEP_1)
	v_add3_u32 v6, v7, v6, 0x7fff
                                        ; implicit-def: $vgpr7
; %bb.1103:                             ;   in Loop: Header=BB422_611 Depth=1
	s_and_not1_saveexec_b32 s9, s0
; %bb.1104:                             ;   in Loop: Header=BB422_611 Depth=1
	v_and_b32_e32 v6, 0xffff, v7
	v_or_b32_e32 v9, 0x10000, v7
	s_delay_alu instid0(VALU_DEP_2) | instskip(NEXT) | instid1(VALU_DEP_1)
	v_cmp_eq_u32_e64 s0, 0, v6
	v_cndmask_b32_e64 v6, v9, v7, s0
; %bb.1105:                             ;   in Loop: Header=BB422_611 Depth=1
	s_or_b32 exec_lo, exec_lo, s9
	v_lshrrev_b32_e32 v7, 16, v3
	s_mov_b32 s9, exec_lo
	s_delay_alu instid0(VALU_DEP_1) | instskip(NEXT) | instid1(VALU_DEP_1)
	v_dual_mov_b32 v9, 0 :: v_dual_and_b32 v118, 0xff, v7
	v_cmpx_ne_u16_e32 0, v118
	s_cbranch_execz .LBB422_1113
; %bb.1106:                             ;   in Loop: Header=BB422_611 Depth=1
	v_bfrev_b32_e32 v9, 1
	s_mov_b32 s12, exec_lo
	v_cmpx_ne_u16_e32 0x80, v118
	s_cbranch_execz .LBB422_1112
; %bb.1107:                             ;   in Loop: Header=BB422_611 Depth=1
	v_bfe_u32 v119, v3, 16, 7
	v_mov_b32_e32 v9, 0x7f800001
	s_mov_b32 s13, exec_lo
	s_delay_alu instid0(VALU_DEP_2)
	v_cmpx_ne_u32_e32 0x7f, v119
	s_cbranch_execz .LBB422_1111
; %bb.1108:                             ;   in Loop: Header=BB422_611 Depth=1
	v_and_b32_e32 v9, 7, v7
	v_lshrrev_b32_e32 v118, 3, v119
	s_mov_b32 s15, exec_lo
	v_cmpx_gt_u32_e32 8, v119
; %bb.1109:                             ;   in Loop: Header=BB422_611 Depth=1
	s_delay_alu instid0(VALU_DEP_3) | instskip(NEXT) | instid1(VALU_DEP_1)
	v_clz_i32_u32_e32 v118, v9
	v_min_u32_e32 v118, 32, v118
	s_delay_alu instid0(VALU_DEP_1) | instskip(SKIP_1) | instid1(VALU_DEP_2)
	v_subrev_nc_u32_e32 v119, 28, v118
	v_sub_nc_u32_e32 v118, 29, v118
	v_lshlrev_b64 v[128:129], v119, v[9:10]
	s_delay_alu instid0(VALU_DEP_1)
	v_and_b32_e32 v9, 7, v128
; %bb.1110:                             ;   in Loop: Header=BB422_611 Depth=1
	s_or_b32 exec_lo, exec_lo, s15
	v_lshlrev_b32_e32 v7, 24, v7
	s_delay_alu instid0(VALU_DEP_2) | instskip(SKIP_1) | instid1(VALU_DEP_3)
	v_lshlrev_b32_e32 v9, 20, v9
	v_lshl_add_u32 v118, v118, 23, 0x3c000000
	v_and_b32_e32 v7, 0x80000000, v7
	s_delay_alu instid0(VALU_DEP_1)
	v_or3_b32 v9, v9, v7, v118
.LBB422_1111:                           ;   in Loop: Header=BB422_611 Depth=1
	s_or_b32 exec_lo, exec_lo, s13
.LBB422_1112:                           ;   in Loop: Header=BB422_611 Depth=1
	s_delay_alu instid0(SALU_CYCLE_1)
	s_or_b32 exec_lo, exec_lo, s12
.LBB422_1113:                           ;   in Loop: Header=BB422_611 Depth=1
	s_delay_alu instid0(SALU_CYCLE_1) | instskip(NEXT) | instid1(VALU_DEP_1)
	s_or_b32 exec_lo, exec_lo, s9
	v_mul_f32_e32 v7, v26, v9
                                        ; implicit-def: $vgpr118
	s_delay_alu instid0(VALU_DEP_1) | instskip(NEXT) | instid1(VALU_DEP_1)
	v_and_b32_e32 v9, 0x7f800000, v7
	v_cmp_ne_u32_e64 s0, 0x7f800000, v9
	s_delay_alu instid0(VALU_DEP_1) | instskip(NEXT) | instid1(SALU_CYCLE_1)
	s_and_saveexec_b32 s9, s0
	s_xor_b32 s0, exec_lo, s9
; %bb.1114:                             ;   in Loop: Header=BB422_611 Depth=1
	v_bfe_u32 v9, v7, 16, 1
	s_delay_alu instid0(VALU_DEP_1)
	v_add3_u32 v118, v7, v9, 0x7fff
                                        ; implicit-def: $vgpr7
; %bb.1115:                             ;   in Loop: Header=BB422_611 Depth=1
	s_and_not1_saveexec_b32 s9, s0
; %bb.1116:                             ;   in Loop: Header=BB422_611 Depth=1
	v_and_b32_e32 v9, 0xffff, v7
	v_or_b32_e32 v118, 0x10000, v7
	s_delay_alu instid0(VALU_DEP_2) | instskip(NEXT) | instid1(VALU_DEP_1)
	v_cmp_eq_u32_e64 s0, 0, v9
	v_cndmask_b32_e64 v118, v118, v7, s0
; %bb.1117:                             ;   in Loop: Header=BB422_611 Depth=1
	s_or_b32 exec_lo, exec_lo, s9
	v_mov_b32_e32 v7, 0
	s_mov_b32 s9, exec_lo
	v_cmpx_lt_u64_e64 s[2:3], v[2:3]
	s_cbranch_execz .LBB422_1125
; %bb.1118:                             ;   in Loop: Header=BB422_611 Depth=1
	v_lshrrev_b32_e32 v2, 24, v3
	v_bfrev_b32_e32 v7, 1
	s_mov_b32 s12, exec_lo
	s_delay_alu instid0(VALU_DEP_2)
	v_cmpx_ne_u32_e32 0x80, v2
	s_cbranch_execz .LBB422_1124
; %bb.1119:                             ;   in Loop: Header=BB422_611 Depth=1
	v_bfe_u32 v119, v3, 24, 7
	v_mov_b32_e32 v7, 0x7f800001
	s_mov_b32 s13, exec_lo
	s_delay_alu instid0(VALU_DEP_2)
	v_cmpx_ne_u32_e32 0x7f, v119
	s_cbranch_execz .LBB422_1123
; %bb.1120:                             ;   in Loop: Header=BB422_611 Depth=1
	v_and_b32_e32 v9, 7, v2
	v_lshrrev_b32_e32 v3, 3, v119
	s_mov_b32 s15, exec_lo
	v_cmpx_gt_u32_e32 8, v119
; %bb.1121:                             ;   in Loop: Header=BB422_611 Depth=1
	s_delay_alu instid0(VALU_DEP_3) | instskip(NEXT) | instid1(VALU_DEP_1)
	v_clz_i32_u32_e32 v3, v9
	v_min_u32_e32 v3, 32, v3
	s_delay_alu instid0(VALU_DEP_1) | instskip(SKIP_1) | instid1(VALU_DEP_2)
	v_subrev_nc_u32_e32 v7, 28, v3
	v_sub_nc_u32_e32 v3, 29, v3
	v_lshlrev_b64 v[128:129], v7, v[9:10]
	s_delay_alu instid0(VALU_DEP_1)
	v_and_b32_e32 v9, 7, v128
; %bb.1122:                             ;   in Loop: Header=BB422_611 Depth=1
	s_or_b32 exec_lo, exec_lo, s15
	v_lshlrev_b32_e32 v2, 24, v2
	s_delay_alu instid0(VALU_DEP_2) | instskip(SKIP_1) | instid1(VALU_DEP_3)
	v_lshlrev_b32_e32 v7, 20, v9
	v_lshl_add_u32 v3, v3, 23, 0x3c000000
	v_and_b32_e32 v2, 0x80000000, v2
	s_delay_alu instid0(VALU_DEP_1)
	v_or3_b32 v7, v7, v2, v3
.LBB422_1123:                           ;   in Loop: Header=BB422_611 Depth=1
	s_or_b32 exec_lo, exec_lo, s13
.LBB422_1124:                           ;   in Loop: Header=BB422_611 Depth=1
	s_delay_alu instid0(SALU_CYCLE_1)
	s_or_b32 exec_lo, exec_lo, s12
.LBB422_1125:                           ;   in Loop: Header=BB422_611 Depth=1
	s_delay_alu instid0(SALU_CYCLE_1) | instskip(NEXT) | instid1(VALU_DEP_1)
	s_or_b32 exec_lo, exec_lo, s9
	v_mul_f32_e32 v3, v26, v7
	s_delay_alu instid0(VALU_DEP_1) | instskip(NEXT) | instid1(VALU_DEP_1)
	v_and_b32_e32 v2, 0x7f800000, v3
	v_cmp_ne_u32_e64 s0, 0x7f800000, v2
                                        ; implicit-def: $vgpr2
	s_delay_alu instid0(VALU_DEP_1) | instskip(NEXT) | instid1(SALU_CYCLE_1)
	s_and_saveexec_b32 s9, s0
	s_xor_b32 s0, exec_lo, s9
; %bb.1126:                             ;   in Loop: Header=BB422_611 Depth=1
	v_bfe_u32 v2, v3, 16, 1
	s_delay_alu instid0(VALU_DEP_1)
	v_add3_u32 v2, v3, v2, 0x7fff
                                        ; implicit-def: $vgpr3
; %bb.1127:                             ;   in Loop: Header=BB422_611 Depth=1
	s_and_not1_saveexec_b32 s9, s0
; %bb.1128:                             ;   in Loop: Header=BB422_611 Depth=1
	v_and_b32_e32 v2, 0xffff, v3
	v_or_b32_e32 v7, 0x10000, v3
	s_delay_alu instid0(VALU_DEP_2) | instskip(NEXT) | instid1(VALU_DEP_1)
	v_cmp_eq_u32_e64 s0, 0, v2
	v_cndmask_b32_e64 v2, v7, v3, s0
; %bb.1129:                             ;   in Loop: Header=BB422_611 Depth=1
	s_or_b32 exec_lo, exec_lo, s9
	v_lshrrev_b32_e32 v6, 16, v6
	v_lshrrev_b32_e32 v7, 16, v117
	v_lshrrev_b32_e32 v9, 16, v116
	v_lshrrev_b32_e32 v115, 16, v115
	v_lshrrev_b32_e32 v114, 16, v114
	v_lshrrev_b32_e32 v113, 16, v113
	v_lshrrev_b32_e32 v3, 16, v118
	v_lshrrev_b32_e32 v2, 16, v2
	s_and_saveexec_b32 s9, vcc_lo
	s_cbranch_execz .LBB422_1131
; %bb.1130:                             ;   in Loop: Header=BB422_611 Depth=1
	v_cmp_lt_i32_e64 s0, v50, v32
	s_delay_alu instid0(VALU_DEP_1) | instskip(SKIP_1) | instid1(VALU_DEP_1)
	v_cndmask_b32_e64 v113, 0, v113, s0
	v_cmp_lt_i32_e64 s0, v64, v32
	v_cndmask_b32_e64 v114, 0, v114, s0
	v_cmp_lt_i32_e64 s0, v55, v32
	s_delay_alu instid0(VALU_DEP_1) | instskip(SKIP_1) | instid1(VALU_DEP_1)
	v_cndmask_b32_e64 v115, 0, v115, s0
	v_cmp_lt_i32_e64 s0, v54, v32
	v_cndmask_b32_e64 v9, 0, v9, s0
	v_cmp_lt_i32_e64 s0, v53, v32
	s_delay_alu instid0(VALU_DEP_1) | instskip(SKIP_1) | instid1(VALU_DEP_1)
	v_cndmask_b32_e64 v7, 0, v7, s0
	v_cmp_lt_i32_e64 s0, v52, v32
	v_cndmask_b32_e64 v6, 0, v6, s0
	v_cmp_lt_i32_e64 s0, v51, v32
	s_delay_alu instid0(VALU_DEP_1) | instskip(SKIP_1) | instid1(VALU_DEP_1)
	v_cndmask_b32_e64 v3, 0, v3, s0
	v_cmp_lt_i32_e64 s0, v15, v32
	v_cndmask_b32_e64 v2, 0, v2, s0
.LBB422_1131:                           ;   in Loop: Header=BB422_611 Depth=1
	s_or_b32 exec_lo, exec_lo, s9
	v_lshlrev_b32_e32 v113, 16, v113
	s_delay_alu instid0(VALU_DEP_1) | instskip(NEXT) | instid1(VALU_DEP_1)
	v_mul_f32_e32 v116, v65, v113
	v_and_b32_e32 v113, 0x7f800000, v116
	s_delay_alu instid0(VALU_DEP_1) | instskip(NEXT) | instid1(VALU_DEP_1)
	v_cmp_ne_u32_e64 s0, 0x7f800000, v113
                                        ; implicit-def: $vgpr113
	s_and_saveexec_b32 s9, s0
	s_delay_alu instid0(SALU_CYCLE_1)
	s_xor_b32 s0, exec_lo, s9
; %bb.1132:                             ;   in Loop: Header=BB422_611 Depth=1
	v_bfe_u32 v113, v116, 16, 1
	s_delay_alu instid0(VALU_DEP_1)
	v_add3_u32 v113, v116, v113, 0x7fff
                                        ; implicit-def: $vgpr116
; %bb.1133:                             ;   in Loop: Header=BB422_611 Depth=1
	s_and_not1_saveexec_b32 s9, s0
; %bb.1134:                             ;   in Loop: Header=BB422_611 Depth=1
	v_and_b32_e32 v113, 0xffff, v116
	v_or_b32_e32 v117, 0x10000, v116
	s_delay_alu instid0(VALU_DEP_2) | instskip(NEXT) | instid1(VALU_DEP_1)
	v_cmp_eq_u32_e64 s0, 0, v113
	v_cndmask_b32_e64 v113, v117, v116, s0
; %bb.1135:                             ;   in Loop: Header=BB422_611 Depth=1
	s_or_b32 exec_lo, exec_lo, s9
	v_lshlrev_b32_e32 v114, 16, v114
	s_delay_alu instid0(VALU_DEP_1) | instskip(NEXT) | instid1(VALU_DEP_1)
	v_mul_f32_e32 v116, v66, v114
	v_and_b32_e32 v114, 0x7f800000, v116
	s_delay_alu instid0(VALU_DEP_1) | instskip(NEXT) | instid1(VALU_DEP_1)
	v_cmp_ne_u32_e64 s0, 0x7f800000, v114
                                        ; implicit-def: $vgpr114
	s_and_saveexec_b32 s9, s0
	s_delay_alu instid0(SALU_CYCLE_1)
	s_xor_b32 s0, exec_lo, s9
; %bb.1136:                             ;   in Loop: Header=BB422_611 Depth=1
	v_bfe_u32 v114, v116, 16, 1
	s_delay_alu instid0(VALU_DEP_1)
	v_add3_u32 v114, v116, v114, 0x7fff
                                        ; implicit-def: $vgpr116
; %bb.1137:                             ;   in Loop: Header=BB422_611 Depth=1
	s_and_not1_saveexec_b32 s9, s0
; %bb.1138:                             ;   in Loop: Header=BB422_611 Depth=1
	v_and_b32_e32 v114, 0xffff, v116
	v_or_b32_e32 v117, 0x10000, v116
	s_delay_alu instid0(VALU_DEP_2) | instskip(NEXT) | instid1(VALU_DEP_1)
	v_cmp_eq_u32_e64 s0, 0, v114
	v_cndmask_b32_e64 v114, v117, v116, s0
; %bb.1139:                             ;   in Loop: Header=BB422_611 Depth=1
	s_or_b32 exec_lo, exec_lo, s9
	v_lshlrev_b32_e32 v115, 16, v115
	s_delay_alu instid0(VALU_DEP_1) | instskip(NEXT) | instid1(VALU_DEP_1)
	v_mul_f32_e32 v116, v67, v115
	v_and_b32_e32 v115, 0x7f800000, v116
	s_delay_alu instid0(VALU_DEP_1) | instskip(NEXT) | instid1(VALU_DEP_1)
	v_cmp_ne_u32_e64 s0, 0x7f800000, v115
                                        ; implicit-def: $vgpr115
	s_and_saveexec_b32 s9, s0
	s_delay_alu instid0(SALU_CYCLE_1)
	s_xor_b32 s0, exec_lo, s9
; %bb.1140:                             ;   in Loop: Header=BB422_611 Depth=1
	v_bfe_u32 v115, v116, 16, 1
	s_delay_alu instid0(VALU_DEP_1)
	v_add3_u32 v115, v116, v115, 0x7fff
                                        ; implicit-def: $vgpr116
; %bb.1141:                             ;   in Loop: Header=BB422_611 Depth=1
	s_and_not1_saveexec_b32 s9, s0
; %bb.1142:                             ;   in Loop: Header=BB422_611 Depth=1
	v_and_b32_e32 v115, 0xffff, v116
	v_or_b32_e32 v117, 0x10000, v116
	s_delay_alu instid0(VALU_DEP_2) | instskip(NEXT) | instid1(VALU_DEP_1)
	v_cmp_eq_u32_e64 s0, 0, v115
	v_cndmask_b32_e64 v115, v117, v116, s0
; %bb.1143:                             ;   in Loop: Header=BB422_611 Depth=1
	s_or_b32 exec_lo, exec_lo, s9
	v_lshlrev_b32_e32 v9, 16, v9
	s_delay_alu instid0(VALU_DEP_1) | instskip(NEXT) | instid1(VALU_DEP_1)
	v_mul_f32_e32 v9, v68, v9
	v_and_b32_e32 v116, 0x7f800000, v9
	s_delay_alu instid0(VALU_DEP_1) | instskip(NEXT) | instid1(VALU_DEP_1)
	v_cmp_ne_u32_e64 s0, 0x7f800000, v116
                                        ; implicit-def: $vgpr116
	s_and_saveexec_b32 s9, s0
	s_delay_alu instid0(SALU_CYCLE_1)
	s_xor_b32 s0, exec_lo, s9
; %bb.1144:                             ;   in Loop: Header=BB422_611 Depth=1
	v_bfe_u32 v116, v9, 16, 1
	s_delay_alu instid0(VALU_DEP_1)
	v_add3_u32 v116, v9, v116, 0x7fff
                                        ; implicit-def: $vgpr9
; %bb.1145:                             ;   in Loop: Header=BB422_611 Depth=1
	s_and_not1_saveexec_b32 s9, s0
; %bb.1146:                             ;   in Loop: Header=BB422_611 Depth=1
	v_and_b32_e32 v116, 0xffff, v9
	v_or_b32_e32 v117, 0x10000, v9
	s_delay_alu instid0(VALU_DEP_2) | instskip(NEXT) | instid1(VALU_DEP_1)
	v_cmp_eq_u32_e64 s0, 0, v116
	v_cndmask_b32_e64 v116, v117, v9, s0
; %bb.1147:                             ;   in Loop: Header=BB422_611 Depth=1
	s_or_b32 exec_lo, exec_lo, s9
	v_lshlrev_b32_e32 v7, 16, v7
                                        ; implicit-def: $vgpr117
	s_delay_alu instid0(VALU_DEP_1) | instskip(NEXT) | instid1(VALU_DEP_1)
	v_mul_f32_e32 v7, v69, v7
	v_and_b32_e32 v9, 0x7f800000, v7
	s_delay_alu instid0(VALU_DEP_1) | instskip(NEXT) | instid1(VALU_DEP_1)
	v_cmp_ne_u32_e64 s0, 0x7f800000, v9
	s_and_saveexec_b32 s9, s0
	s_delay_alu instid0(SALU_CYCLE_1)
	s_xor_b32 s0, exec_lo, s9
; %bb.1148:                             ;   in Loop: Header=BB422_611 Depth=1
	v_bfe_u32 v9, v7, 16, 1
	s_delay_alu instid0(VALU_DEP_1)
	v_add3_u32 v117, v7, v9, 0x7fff
                                        ; implicit-def: $vgpr7
; %bb.1149:                             ;   in Loop: Header=BB422_611 Depth=1
	s_and_not1_saveexec_b32 s9, s0
; %bb.1150:                             ;   in Loop: Header=BB422_611 Depth=1
	v_and_b32_e32 v9, 0xffff, v7
	v_or_b32_e32 v117, 0x10000, v7
	s_delay_alu instid0(VALU_DEP_2) | instskip(NEXT) | instid1(VALU_DEP_1)
	v_cmp_eq_u32_e64 s0, 0, v9
	v_cndmask_b32_e64 v117, v117, v7, s0
; %bb.1151:                             ;   in Loop: Header=BB422_611 Depth=1
	s_or_b32 exec_lo, exec_lo, s9
	v_lshlrev_b32_e32 v6, 16, v6
                                        ; implicit-def: $vgpr118
	s_delay_alu instid0(VALU_DEP_1) | instskip(NEXT) | instid1(VALU_DEP_1)
	v_mul_f32_e32 v6, v70, v6
	v_and_b32_e32 v7, 0x7f800000, v6
	s_delay_alu instid0(VALU_DEP_1) | instskip(NEXT) | instid1(VALU_DEP_1)
	v_cmp_ne_u32_e64 s0, 0x7f800000, v7
	s_and_saveexec_b32 s9, s0
	s_delay_alu instid0(SALU_CYCLE_1)
	s_xor_b32 s0, exec_lo, s9
; %bb.1152:                             ;   in Loop: Header=BB422_611 Depth=1
	v_bfe_u32 v7, v6, 16, 1
	s_delay_alu instid0(VALU_DEP_1)
	v_add3_u32 v118, v6, v7, 0x7fff
                                        ; implicit-def: $vgpr6
; %bb.1153:                             ;   in Loop: Header=BB422_611 Depth=1
	s_and_not1_saveexec_b32 s9, s0
; %bb.1154:                             ;   in Loop: Header=BB422_611 Depth=1
	v_and_b32_e32 v7, 0xffff, v6
	v_or_b32_e32 v9, 0x10000, v6
	s_delay_alu instid0(VALU_DEP_2) | instskip(NEXT) | instid1(VALU_DEP_1)
	v_cmp_eq_u32_e64 s0, 0, v7
	v_cndmask_b32_e64 v118, v9, v6, s0
; %bb.1155:                             ;   in Loop: Header=BB422_611 Depth=1
	s_or_b32 exec_lo, exec_lo, s9
	v_lshlrev_b32_e32 v3, 16, v3
                                        ; implicit-def: $vgpr119
	s_delay_alu instid0(VALU_DEP_1) | instskip(NEXT) | instid1(VALU_DEP_1)
	v_mul_f32_e32 v3, v71, v3
	v_and_b32_e32 v6, 0x7f800000, v3
	s_delay_alu instid0(VALU_DEP_1) | instskip(NEXT) | instid1(VALU_DEP_1)
	v_cmp_ne_u32_e64 s0, 0x7f800000, v6
	s_and_saveexec_b32 s9, s0
	s_delay_alu instid0(SALU_CYCLE_1)
	s_xor_b32 s0, exec_lo, s9
; %bb.1156:                             ;   in Loop: Header=BB422_611 Depth=1
	v_bfe_u32 v6, v3, 16, 1
	s_delay_alu instid0(VALU_DEP_1)
	v_add3_u32 v119, v3, v6, 0x7fff
                                        ; implicit-def: $vgpr3
; %bb.1157:                             ;   in Loop: Header=BB422_611 Depth=1
	s_and_not1_saveexec_b32 s9, s0
; %bb.1158:                             ;   in Loop: Header=BB422_611 Depth=1
	v_and_b32_e32 v6, 0xffff, v3
	v_or_b32_e32 v7, 0x10000, v3
	s_delay_alu instid0(VALU_DEP_2) | instskip(NEXT) | instid1(VALU_DEP_1)
	v_cmp_eq_u32_e64 s0, 0, v6
	v_cndmask_b32_e64 v119, v7, v3, s0
; %bb.1159:                             ;   in Loop: Header=BB422_611 Depth=1
	s_or_b32 exec_lo, exec_lo, s9
	v_lshlrev_b32_e32 v2, 16, v2
                                        ; implicit-def: $vgpr128
	s_delay_alu instid0(VALU_DEP_1) | instskip(NEXT) | instid1(VALU_DEP_1)
	v_mul_f32_e32 v2, v80, v2
	v_and_b32_e32 v3, 0x7f800000, v2
	s_delay_alu instid0(VALU_DEP_1) | instskip(NEXT) | instid1(VALU_DEP_1)
	v_cmp_ne_u32_e64 s0, 0x7f800000, v3
	s_and_saveexec_b32 s9, s0
	s_delay_alu instid0(SALU_CYCLE_1)
	s_xor_b32 s0, exec_lo, s9
; %bb.1160:                             ;   in Loop: Header=BB422_611 Depth=1
	v_bfe_u32 v3, v2, 16, 1
	s_delay_alu instid0(VALU_DEP_1)
	v_add3_u32 v128, v2, v3, 0x7fff
                                        ; implicit-def: $vgpr2
; %bb.1161:                             ;   in Loop: Header=BB422_611 Depth=1
	s_and_not1_saveexec_b32 s9, s0
; %bb.1162:                             ;   in Loop: Header=BB422_611 Depth=1
	v_and_b32_e32 v3, 0xffff, v2
	v_or_b32_e32 v6, 0x10000, v2
	s_delay_alu instid0(VALU_DEP_2) | instskip(NEXT) | instid1(VALU_DEP_1)
	v_cmp_eq_u32_e64 s0, 0, v3
	v_cndmask_b32_e64 v128, v6, v2, s0
; %bb.1163:                             ;   in Loop: Header=BB422_611 Depth=1
	s_or_b32 exec_lo, exec_lo, s9
	flat_load_b64 v[2:3], v[0:1] offset:1024
	s_mov_b32 s9, exec_lo
	s_waitcnt vmcnt(0) lgkmcnt(0)
	v_dual_mov_b32 v6, 0 :: v_dual_and_b32 v7, 0xff, v2
	s_delay_alu instid0(VALU_DEP_1)
	v_cmpx_ne_u16_e32 0, v7
	s_cbranch_execz .LBB422_1171
; %bb.1164:                             ;   in Loop: Header=BB422_611 Depth=1
	v_bfrev_b32_e32 v6, 1
	s_mov_b32 s12, exec_lo
	v_cmpx_ne_u16_e32 0x80, v7
	s_cbranch_execz .LBB422_1170
; %bb.1165:                             ;   in Loop: Header=BB422_611 Depth=1
	v_and_b32_e32 v7, 0x7f, v2
	v_mov_b32_e32 v6, 0x7f800001
	s_mov_b32 s13, exec_lo
	s_delay_alu instid0(VALU_DEP_2)
	v_cmpx_ne_u32_e32 0x7f, v7
	s_cbranch_execz .LBB422_1169
; %bb.1166:                             ;   in Loop: Header=BB422_611 Depth=1
	v_lshrrev_b32_e32 v9, 3, v7
	v_cmp_gt_u32_e64 s0, 8, v7
	v_dual_mov_b32 v7, v3 :: v_dual_mov_b32 v6, v2
	s_delay_alu instid0(VALU_DEP_2)
	s_and_saveexec_b32 s15, s0
; %bb.1167:                             ;   in Loop: Header=BB422_611 Depth=1
	v_and_b32_e32 v6, 7, v2
	s_delay_alu instid0(VALU_DEP_1) | instskip(NEXT) | instid1(VALU_DEP_1)
	v_clz_i32_u32_e32 v6, v6
	v_min_u32_e32 v9, 32, v6
	s_delay_alu instid0(VALU_DEP_1) | instskip(SKIP_1) | instid1(VALU_DEP_2)
	v_subrev_nc_u32_e32 v6, 28, v9
	v_sub_nc_u32_e32 v9, 29, v9
	v_lshlrev_b64 v[6:7], v6, v[2:3]
; %bb.1168:                             ;   in Loop: Header=BB422_611 Depth=1
	s_or_b32 exec_lo, exec_lo, s15
	s_delay_alu instid0(VALU_DEP_1) | instskip(SKIP_2) | instid1(VALU_DEP_3)
	v_lshlrev_b32_e32 v6, 20, v6
	v_lshlrev_b32_e32 v7, 24, v2
	v_lshl_add_u32 v9, v9, 23, 0x3c000000
	v_and_b32_e32 v6, 0x700000, v6
	s_delay_alu instid0(VALU_DEP_3) | instskip(NEXT) | instid1(VALU_DEP_1)
	v_and_b32_e32 v7, 0x80000000, v7
	v_or3_b32 v6, v6, v7, v9
.LBB422_1169:                           ;   in Loop: Header=BB422_611 Depth=1
	s_or_b32 exec_lo, exec_lo, s13
.LBB422_1170:                           ;   in Loop: Header=BB422_611 Depth=1
	s_delay_alu instid0(SALU_CYCLE_1)
	s_or_b32 exec_lo, exec_lo, s12
.LBB422_1171:                           ;   in Loop: Header=BB422_611 Depth=1
	s_delay_alu instid0(SALU_CYCLE_1) | instskip(NEXT) | instid1(VALU_DEP_1)
	s_or_b32 exec_lo, exec_lo, s9
	v_mul_f32_e32 v6, v26, v6
                                        ; implicit-def: $vgpr129
	s_delay_alu instid0(VALU_DEP_1) | instskip(NEXT) | instid1(VALU_DEP_1)
	v_and_b32_e32 v7, 0x7f800000, v6
	v_cmp_ne_u32_e64 s0, 0x7f800000, v7
	s_delay_alu instid0(VALU_DEP_1) | instskip(NEXT) | instid1(SALU_CYCLE_1)
	s_and_saveexec_b32 s9, s0
	s_xor_b32 s0, exec_lo, s9
; %bb.1172:                             ;   in Loop: Header=BB422_611 Depth=1
	v_bfe_u32 v7, v6, 16, 1
	s_delay_alu instid0(VALU_DEP_1)
	v_add3_u32 v129, v6, v7, 0x7fff
                                        ; implicit-def: $vgpr6
; %bb.1173:                             ;   in Loop: Header=BB422_611 Depth=1
	s_and_not1_saveexec_b32 s9, s0
; %bb.1174:                             ;   in Loop: Header=BB422_611 Depth=1
	v_and_b32_e32 v7, 0xffff, v6
	v_or_b32_e32 v9, 0x10000, v6
	s_delay_alu instid0(VALU_DEP_2) | instskip(NEXT) | instid1(VALU_DEP_1)
	v_cmp_eq_u32_e64 s0, 0, v7
	v_cndmask_b32_e64 v129, v9, v6, s0
; %bb.1175:                             ;   in Loop: Header=BB422_611 Depth=1
	s_or_b32 exec_lo, exec_lo, s9
	v_lshrrev_b16 v7, 8, v2
	v_mov_b32_e32 v6, 0
	s_mov_b32 s9, exec_lo
	s_delay_alu instid0(VALU_DEP_2)
	v_cmpx_ne_u16_e32 0, v7
	s_cbranch_execz .LBB422_1183
; %bb.1176:                             ;   in Loop: Header=BB422_611 Depth=1
	v_bfrev_b32_e32 v6, 1
	s_mov_b32 s12, exec_lo
	v_cmpx_ne_u16_e32 0x80, v7
	s_cbranch_execz .LBB422_1182
; %bb.1177:                             ;   in Loop: Header=BB422_611 Depth=1
	v_and_b32_e32 v9, 0xffff, v7
	v_mov_b32_e32 v6, 0x7f800001
	s_mov_b32 s13, exec_lo
	s_delay_alu instid0(VALU_DEP_2) | instskip(NEXT) | instid1(VALU_DEP_1)
	v_and_b32_e32 v7, 0x7f, v9
	v_cmpx_ne_u32_e32 0x7f, v7
	s_cbranch_execz .LBB422_1181
; %bb.1178:                             ;   in Loop: Header=BB422_611 Depth=1
	v_and_b32_e32 v9, 7, v9
	v_lshrrev_b32_e32 v6, 3, v7
	s_mov_b32 s15, exec_lo
	v_cmpx_gt_u32_e32 8, v7
; %bb.1179:                             ;   in Loop: Header=BB422_611 Depth=1
	s_delay_alu instid0(VALU_DEP_3) | instskip(NEXT) | instid1(VALU_DEP_1)
	v_clz_i32_u32_e32 v6, v9
	v_min_u32_e32 v6, 32, v6
	s_delay_alu instid0(VALU_DEP_1) | instskip(SKIP_1) | instid1(VALU_DEP_2)
	v_subrev_nc_u32_e32 v7, 28, v6
	v_sub_nc_u32_e32 v6, 29, v6
	v_lshlrev_b64 v[130:131], v7, v[9:10]
	s_delay_alu instid0(VALU_DEP_1)
	v_and_b32_e32 v9, 7, v130
; %bb.1180:                             ;   in Loop: Header=BB422_611 Depth=1
	s_or_b32 exec_lo, exec_lo, s15
	v_lshlrev_b32_e32 v7, 16, v2
	s_delay_alu instid0(VALU_DEP_2) | instskip(SKIP_1) | instid1(VALU_DEP_3)
	v_lshlrev_b32_e32 v9, 20, v9
	v_lshl_add_u32 v6, v6, 23, 0x3c000000
	v_and_b32_e32 v7, 0x80000000, v7
	s_delay_alu instid0(VALU_DEP_1)
	v_or3_b32 v6, v9, v7, v6
.LBB422_1181:                           ;   in Loop: Header=BB422_611 Depth=1
	s_or_b32 exec_lo, exec_lo, s13
.LBB422_1182:                           ;   in Loop: Header=BB422_611 Depth=1
	s_delay_alu instid0(SALU_CYCLE_1)
	s_or_b32 exec_lo, exec_lo, s12
.LBB422_1183:                           ;   in Loop: Header=BB422_611 Depth=1
	s_delay_alu instid0(SALU_CYCLE_1) | instskip(NEXT) | instid1(VALU_DEP_1)
	s_or_b32 exec_lo, exec_lo, s9
	v_mul_f32_e32 v6, v26, v6
                                        ; implicit-def: $vgpr130
	s_delay_alu instid0(VALU_DEP_1) | instskip(NEXT) | instid1(VALU_DEP_1)
	v_and_b32_e32 v7, 0x7f800000, v6
	v_cmp_ne_u32_e64 s0, 0x7f800000, v7
	s_delay_alu instid0(VALU_DEP_1) | instskip(NEXT) | instid1(SALU_CYCLE_1)
	s_and_saveexec_b32 s9, s0
	s_xor_b32 s0, exec_lo, s9
; %bb.1184:                             ;   in Loop: Header=BB422_611 Depth=1
	v_bfe_u32 v7, v6, 16, 1
	s_delay_alu instid0(VALU_DEP_1)
	v_add3_u32 v130, v6, v7, 0x7fff
                                        ; implicit-def: $vgpr6
; %bb.1185:                             ;   in Loop: Header=BB422_611 Depth=1
	s_and_not1_saveexec_b32 s9, s0
; %bb.1186:                             ;   in Loop: Header=BB422_611 Depth=1
	v_and_b32_e32 v7, 0xffff, v6
	v_or_b32_e32 v9, 0x10000, v6
	s_delay_alu instid0(VALU_DEP_2) | instskip(NEXT) | instid1(VALU_DEP_1)
	v_cmp_eq_u32_e64 s0, 0, v7
	v_cndmask_b32_e64 v130, v9, v6, s0
; %bb.1187:                             ;   in Loop: Header=BB422_611 Depth=1
	s_or_b32 exec_lo, exec_lo, s9
	v_lshrrev_b32_e32 v6, 16, v2
	v_mov_b32_e32 v7, 0
	s_mov_b32 s9, exec_lo
	s_delay_alu instid0(VALU_DEP_2) | instskip(NEXT) | instid1(VALU_DEP_1)
	v_and_b32_e32 v9, 0xff, v6
	v_cmpx_ne_u16_e32 0, v9
	s_cbranch_execz .LBB422_1195
; %bb.1188:                             ;   in Loop: Header=BB422_611 Depth=1
	v_bfrev_b32_e32 v7, 1
	s_mov_b32 s12, exec_lo
	v_cmpx_ne_u16_e32 0x80, v9
	s_cbranch_execz .LBB422_1194
; %bb.1189:                             ;   in Loop: Header=BB422_611 Depth=1
	v_bfe_u32 v131, v2, 16, 7
	v_mov_b32_e32 v7, 0x7f800001
	s_mov_b32 s13, exec_lo
	s_delay_alu instid0(VALU_DEP_2)
	v_cmpx_ne_u32_e32 0x7f, v131
	s_cbranch_execz .LBB422_1193
; %bb.1190:                             ;   in Loop: Header=BB422_611 Depth=1
	v_and_b32_e32 v9, 7, v6
	v_lshrrev_b32_e32 v7, 3, v131
	s_mov_b32 s15, exec_lo
	v_cmpx_gt_u32_e32 8, v131
; %bb.1191:                             ;   in Loop: Header=BB422_611 Depth=1
	s_delay_alu instid0(VALU_DEP_3) | instskip(NEXT) | instid1(VALU_DEP_1)
	v_clz_i32_u32_e32 v7, v9
	v_min_u32_e32 v7, 32, v7
	s_delay_alu instid0(VALU_DEP_1) | instskip(SKIP_1) | instid1(VALU_DEP_2)
	v_subrev_nc_u32_e32 v131, 28, v7
	v_sub_nc_u32_e32 v7, 29, v7
	v_lshlrev_b64 v[131:132], v131, v[9:10]
	s_delay_alu instid0(VALU_DEP_1)
	v_and_b32_e32 v9, 7, v131
; %bb.1192:                             ;   in Loop: Header=BB422_611 Depth=1
	s_or_b32 exec_lo, exec_lo, s15
	v_lshlrev_b32_e32 v6, 24, v6
	s_delay_alu instid0(VALU_DEP_2) | instskip(SKIP_1) | instid1(VALU_DEP_3)
	v_lshlrev_b32_e32 v9, 20, v9
	v_lshl_add_u32 v7, v7, 23, 0x3c000000
	v_and_b32_e32 v6, 0x80000000, v6
	s_delay_alu instid0(VALU_DEP_1)
	v_or3_b32 v7, v9, v6, v7
.LBB422_1193:                           ;   in Loop: Header=BB422_611 Depth=1
	s_or_b32 exec_lo, exec_lo, s13
.LBB422_1194:                           ;   in Loop: Header=BB422_611 Depth=1
	s_delay_alu instid0(SALU_CYCLE_1)
	s_or_b32 exec_lo, exec_lo, s12
.LBB422_1195:                           ;   in Loop: Header=BB422_611 Depth=1
	s_delay_alu instid0(SALU_CYCLE_1) | instskip(NEXT) | instid1(VALU_DEP_1)
	s_or_b32 exec_lo, exec_lo, s9
	v_mul_f32_e32 v6, v26, v7
                                        ; implicit-def: $vgpr131
	s_delay_alu instid0(VALU_DEP_1) | instskip(NEXT) | instid1(VALU_DEP_1)
	v_and_b32_e32 v7, 0x7f800000, v6
	v_cmp_ne_u32_e64 s0, 0x7f800000, v7
	s_delay_alu instid0(VALU_DEP_1) | instskip(NEXT) | instid1(SALU_CYCLE_1)
	s_and_saveexec_b32 s9, s0
	s_xor_b32 s0, exec_lo, s9
; %bb.1196:                             ;   in Loop: Header=BB422_611 Depth=1
	v_bfe_u32 v7, v6, 16, 1
	s_delay_alu instid0(VALU_DEP_1)
	v_add3_u32 v131, v6, v7, 0x7fff
                                        ; implicit-def: $vgpr6
; %bb.1197:                             ;   in Loop: Header=BB422_611 Depth=1
	s_and_not1_saveexec_b32 s9, s0
; %bb.1198:                             ;   in Loop: Header=BB422_611 Depth=1
	v_and_b32_e32 v7, 0xffff, v6
	v_or_b32_e32 v9, 0x10000, v6
	s_delay_alu instid0(VALU_DEP_2) | instskip(NEXT) | instid1(VALU_DEP_1)
	v_cmp_eq_u32_e64 s0, 0, v7
	v_cndmask_b32_e64 v131, v9, v6, s0
; %bb.1199:                             ;   in Loop: Header=BB422_611 Depth=1
	s_or_b32 exec_lo, exec_lo, s9
	v_mov_b32_e32 v7, 0
	s_mov_b32 s9, exec_lo
	v_cmpx_lt_u32_e32 0xffffff, v2
	s_cbranch_execz .LBB422_1207
; %bb.1200:                             ;   in Loop: Header=BB422_611 Depth=1
	v_lshrrev_b32_e32 v6, 24, v2
	v_bfrev_b32_e32 v7, 1
	s_mov_b32 s12, exec_lo
	s_delay_alu instid0(VALU_DEP_2)
	v_cmpx_ne_u32_e32 0x80, v6
	s_cbranch_execz .LBB422_1206
; %bb.1201:                             ;   in Loop: Header=BB422_611 Depth=1
	v_bfe_u32 v132, v2, 24, 7
	v_mov_b32_e32 v7, 0x7f800001
	s_mov_b32 s13, exec_lo
	s_delay_alu instid0(VALU_DEP_2)
	v_cmpx_ne_u32_e32 0x7f, v132
	s_cbranch_execz .LBB422_1205
; %bb.1202:                             ;   in Loop: Header=BB422_611 Depth=1
	v_and_b32_e32 v9, 7, v6
	v_lshrrev_b32_e32 v7, 3, v132
	s_mov_b32 s15, exec_lo
	v_cmpx_gt_u32_e32 8, v132
; %bb.1203:                             ;   in Loop: Header=BB422_611 Depth=1
	s_delay_alu instid0(VALU_DEP_3) | instskip(NEXT) | instid1(VALU_DEP_1)
	v_clz_i32_u32_e32 v7, v9
	v_min_u32_e32 v7, 32, v7
	s_delay_alu instid0(VALU_DEP_1) | instskip(SKIP_1) | instid1(VALU_DEP_2)
	v_subrev_nc_u32_e32 v132, 28, v7
	v_sub_nc_u32_e32 v7, 29, v7
	v_lshlrev_b64 v[132:133], v132, v[9:10]
	s_delay_alu instid0(VALU_DEP_1)
	v_and_b32_e32 v9, 7, v132
; %bb.1204:                             ;   in Loop: Header=BB422_611 Depth=1
	s_or_b32 exec_lo, exec_lo, s15
	v_lshlrev_b32_e32 v6, 24, v6
	s_delay_alu instid0(VALU_DEP_2) | instskip(SKIP_1) | instid1(VALU_DEP_3)
	v_lshlrev_b32_e32 v9, 20, v9
	v_lshl_add_u32 v7, v7, 23, 0x3c000000
	v_and_b32_e32 v6, 0x80000000, v6
	s_delay_alu instid0(VALU_DEP_1)
	v_or3_b32 v7, v9, v6, v7
.LBB422_1205:                           ;   in Loop: Header=BB422_611 Depth=1
	s_or_b32 exec_lo, exec_lo, s13
.LBB422_1206:                           ;   in Loop: Header=BB422_611 Depth=1
	s_delay_alu instid0(SALU_CYCLE_1)
	s_or_b32 exec_lo, exec_lo, s12
.LBB422_1207:                           ;   in Loop: Header=BB422_611 Depth=1
	s_delay_alu instid0(SALU_CYCLE_1) | instskip(NEXT) | instid1(VALU_DEP_1)
	s_or_b32 exec_lo, exec_lo, s9
	v_mul_f32_e32 v6, v26, v7
                                        ; implicit-def: $vgpr132
	s_delay_alu instid0(VALU_DEP_1) | instskip(NEXT) | instid1(VALU_DEP_1)
	v_and_b32_e32 v7, 0x7f800000, v6
	v_cmp_ne_u32_e64 s0, 0x7f800000, v7
	s_delay_alu instid0(VALU_DEP_1) | instskip(NEXT) | instid1(SALU_CYCLE_1)
	s_and_saveexec_b32 s9, s0
	s_xor_b32 s0, exec_lo, s9
; %bb.1208:                             ;   in Loop: Header=BB422_611 Depth=1
	v_bfe_u32 v7, v6, 16, 1
	s_delay_alu instid0(VALU_DEP_1)
	v_add3_u32 v132, v6, v7, 0x7fff
                                        ; implicit-def: $vgpr6
; %bb.1209:                             ;   in Loop: Header=BB422_611 Depth=1
	s_and_not1_saveexec_b32 s9, s0
; %bb.1210:                             ;   in Loop: Header=BB422_611 Depth=1
	v_and_b32_e32 v7, 0xffff, v6
	v_or_b32_e32 v9, 0x10000, v6
	s_delay_alu instid0(VALU_DEP_2) | instskip(NEXT) | instid1(VALU_DEP_1)
	v_cmp_eq_u32_e64 s0, 0, v7
	v_cndmask_b32_e64 v132, v9, v6, s0
; %bb.1211:                             ;   in Loop: Header=BB422_611 Depth=1
	s_or_b32 exec_lo, exec_lo, s9
	v_dual_mov_b32 v6, 0 :: v_dual_and_b32 v7, 0xff, v3
	v_mov_b32_e32 v9, v3
	s_mov_b32 s9, exec_lo
	s_delay_alu instid0(VALU_DEP_2)
	v_cmpx_ne_u16_e32 0, v7
	s_cbranch_execz .LBB422_1219
; %bb.1212:                             ;   in Loop: Header=BB422_611 Depth=1
	v_bfrev_b32_e32 v6, 1
	s_mov_b32 s12, exec_lo
	v_cmpx_ne_u16_e32 0x80, v7
	s_cbranch_execz .LBB422_1218
; %bb.1213:                             ;   in Loop: Header=BB422_611 Depth=1
	v_and_b32_e32 v7, 0x7f, v3
	v_mov_b32_e32 v6, 0x7f800001
	s_mov_b32 s13, exec_lo
	s_delay_alu instid0(VALU_DEP_2)
	v_cmpx_ne_u32_e32 0x7f, v7
	s_cbranch_execz .LBB422_1217
; %bb.1214:                             ;   in Loop: Header=BB422_611 Depth=1
	v_lshrrev_b32_e32 v133, 3, v7
	v_cmp_gt_u32_e64 s0, 8, v7
	v_dual_mov_b32 v6, v9 :: v_dual_mov_b32 v7, v10
	s_delay_alu instid0(VALU_DEP_2)
	s_and_saveexec_b32 s15, s0
; %bb.1215:                             ;   in Loop: Header=BB422_611 Depth=1
	v_and_b32_e32 v6, 7, v3
	s_delay_alu instid0(VALU_DEP_1) | instskip(NEXT) | instid1(VALU_DEP_1)
	v_clz_i32_u32_e32 v6, v6
	v_min_u32_e32 v133, 32, v6
	s_delay_alu instid0(VALU_DEP_1) | instskip(SKIP_1) | instid1(VALU_DEP_2)
	v_subrev_nc_u32_e32 v6, 28, v133
	v_sub_nc_u32_e32 v133, 29, v133
	v_lshlrev_b64 v[6:7], v6, v[9:10]
; %bb.1216:                             ;   in Loop: Header=BB422_611 Depth=1
	s_or_b32 exec_lo, exec_lo, s15
	s_delay_alu instid0(VALU_DEP_1) | instskip(SKIP_2) | instid1(VALU_DEP_3)
	v_lshlrev_b32_e32 v6, 20, v6
	v_lshlrev_b32_e32 v7, 24, v9
	v_lshl_add_u32 v133, v133, 23, 0x3c000000
	v_and_b32_e32 v6, 0x700000, v6
	s_delay_alu instid0(VALU_DEP_3) | instskip(NEXT) | instid1(VALU_DEP_1)
	v_and_b32_e32 v7, 0x80000000, v7
	v_or3_b32 v6, v6, v7, v133
.LBB422_1217:                           ;   in Loop: Header=BB422_611 Depth=1
	s_or_b32 exec_lo, exec_lo, s13
.LBB422_1218:                           ;   in Loop: Header=BB422_611 Depth=1
	s_delay_alu instid0(SALU_CYCLE_1)
	s_or_b32 exec_lo, exec_lo, s12
.LBB422_1219:                           ;   in Loop: Header=BB422_611 Depth=1
	s_delay_alu instid0(SALU_CYCLE_1) | instskip(NEXT) | instid1(VALU_DEP_1)
	s_or_b32 exec_lo, exec_lo, s9
	v_mul_f32_e32 v6, v26, v6
                                        ; implicit-def: $vgpr133
	s_delay_alu instid0(VALU_DEP_1) | instskip(NEXT) | instid1(VALU_DEP_1)
	v_and_b32_e32 v7, 0x7f800000, v6
	v_cmp_ne_u32_e64 s0, 0x7f800000, v7
	s_delay_alu instid0(VALU_DEP_1) | instskip(NEXT) | instid1(SALU_CYCLE_1)
	s_and_saveexec_b32 s9, s0
	s_xor_b32 s0, exec_lo, s9
; %bb.1220:                             ;   in Loop: Header=BB422_611 Depth=1
	v_bfe_u32 v7, v6, 16, 1
	s_delay_alu instid0(VALU_DEP_1)
	v_add3_u32 v133, v6, v7, 0x7fff
                                        ; implicit-def: $vgpr6
; %bb.1221:                             ;   in Loop: Header=BB422_611 Depth=1
	s_and_not1_saveexec_b32 s9, s0
; %bb.1222:                             ;   in Loop: Header=BB422_611 Depth=1
	v_and_b32_e32 v7, 0xffff, v6
	v_or_b32_e32 v133, 0x10000, v6
	s_delay_alu instid0(VALU_DEP_2) | instskip(NEXT) | instid1(VALU_DEP_1)
	v_cmp_eq_u32_e64 s0, 0, v7
	v_cndmask_b32_e64 v133, v133, v6, s0
; %bb.1223:                             ;   in Loop: Header=BB422_611 Depth=1
	s_or_b32 exec_lo, exec_lo, s9
	v_lshrrev_b16 v7, 8, v9
	v_mov_b32_e32 v6, 0
	s_mov_b32 s9, exec_lo
	s_delay_alu instid0(VALU_DEP_2)
	v_cmpx_ne_u16_e32 0, v7
	s_cbranch_execz .LBB422_1231
; %bb.1224:                             ;   in Loop: Header=BB422_611 Depth=1
	v_bfrev_b32_e32 v6, 1
	s_mov_b32 s12, exec_lo
	v_cmpx_ne_u16_e32 0x80, v7
	s_cbranch_execz .LBB422_1230
; %bb.1225:                             ;   in Loop: Header=BB422_611 Depth=1
	v_and_b32_e32 v7, 0xffff, v7
	v_mov_b32_e32 v6, 0x7f800001
	s_mov_b32 s13, exec_lo
	s_delay_alu instid0(VALU_DEP_2) | instskip(NEXT) | instid1(VALU_DEP_1)
	v_and_b32_e32 v135, 0x7f, v7
	v_cmpx_ne_u32_e32 0x7f, v135
	s_cbranch_execz .LBB422_1229
; %bb.1226:                             ;   in Loop: Header=BB422_611 Depth=1
	v_dual_mov_b32 v7, v10 :: v_dual_and_b32 v6, 7, v7
	v_lshrrev_b32_e32 v134, 3, v135
	s_mov_b32 s15, exec_lo
	v_cmpx_gt_u32_e32 8, v135
; %bb.1227:                             ;   in Loop: Header=BB422_611 Depth=1
	s_delay_alu instid0(VALU_DEP_3) | instskip(NEXT) | instid1(VALU_DEP_1)
	v_clz_i32_u32_e32 v134, v6
	v_min_u32_e32 v134, 32, v134
	s_delay_alu instid0(VALU_DEP_1) | instskip(SKIP_1) | instid1(VALU_DEP_2)
	v_subrev_nc_u32_e32 v135, 28, v134
	v_sub_nc_u32_e32 v134, 29, v134
	v_lshlrev_b64 v[6:7], v135, v[6:7]
	s_delay_alu instid0(VALU_DEP_1)
	v_and_b32_e32 v6, 7, v6
; %bb.1228:                             ;   in Loop: Header=BB422_611 Depth=1
	s_or_b32 exec_lo, exec_lo, s15
	v_lshlrev_b32_e32 v7, 16, v9
	s_delay_alu instid0(VALU_DEP_2) | instskip(SKIP_1) | instid1(VALU_DEP_3)
	v_lshlrev_b32_e32 v6, 20, v6
	v_lshl_add_u32 v9, v134, 23, 0x3c000000
	v_and_b32_e32 v7, 0x80000000, v7
	s_delay_alu instid0(VALU_DEP_1)
	v_or3_b32 v6, v6, v7, v9
.LBB422_1229:                           ;   in Loop: Header=BB422_611 Depth=1
	s_or_b32 exec_lo, exec_lo, s13
.LBB422_1230:                           ;   in Loop: Header=BB422_611 Depth=1
	s_delay_alu instid0(SALU_CYCLE_1)
	s_or_b32 exec_lo, exec_lo, s12
.LBB422_1231:                           ;   in Loop: Header=BB422_611 Depth=1
	s_delay_alu instid0(SALU_CYCLE_1) | instskip(NEXT) | instid1(VALU_DEP_1)
	s_or_b32 exec_lo, exec_lo, s9
	v_mul_f32_e32 v7, v26, v6
	s_delay_alu instid0(VALU_DEP_1) | instskip(NEXT) | instid1(VALU_DEP_1)
	v_and_b32_e32 v6, 0x7f800000, v7
	v_cmp_ne_u32_e64 s0, 0x7f800000, v6
                                        ; implicit-def: $vgpr6
	s_delay_alu instid0(VALU_DEP_1) | instskip(NEXT) | instid1(SALU_CYCLE_1)
	s_and_saveexec_b32 s9, s0
	s_xor_b32 s0, exec_lo, s9
; %bb.1232:                             ;   in Loop: Header=BB422_611 Depth=1
	v_bfe_u32 v6, v7, 16, 1
	s_delay_alu instid0(VALU_DEP_1)
	v_add3_u32 v6, v7, v6, 0x7fff
                                        ; implicit-def: $vgpr7
; %bb.1233:                             ;   in Loop: Header=BB422_611 Depth=1
	s_and_not1_saveexec_b32 s9, s0
; %bb.1234:                             ;   in Loop: Header=BB422_611 Depth=1
	v_and_b32_e32 v6, 0xffff, v7
	v_or_b32_e32 v9, 0x10000, v7
	s_delay_alu instid0(VALU_DEP_2) | instskip(NEXT) | instid1(VALU_DEP_1)
	v_cmp_eq_u32_e64 s0, 0, v6
	v_cndmask_b32_e64 v6, v9, v7, s0
; %bb.1235:                             ;   in Loop: Header=BB422_611 Depth=1
	s_or_b32 exec_lo, exec_lo, s9
	v_lshrrev_b32_e32 v7, 16, v3
	s_mov_b32 s9, exec_lo
	s_delay_alu instid0(VALU_DEP_1) | instskip(NEXT) | instid1(VALU_DEP_1)
	v_dual_mov_b32 v9, 0 :: v_dual_and_b32 v134, 0xff, v7
	v_cmpx_ne_u16_e64 0, v134
	s_cbranch_execz .LBB422_1243
; %bb.1236:                             ;   in Loop: Header=BB422_611 Depth=1
	v_bfrev_b32_e32 v9, 1
	s_mov_b32 s12, exec_lo
	v_cmpx_ne_u16_e64 0x80, v134
	s_cbranch_execz .LBB422_1242
; %bb.1237:                             ;   in Loop: Header=BB422_611 Depth=1
	v_bfe_u32 v135, v3, 16, 7
	v_mov_b32_e32 v9, 0x7f800001
	s_mov_b32 s13, exec_lo
	s_delay_alu instid0(VALU_DEP_2)
	v_cmpx_ne_u32_e32 0x7f, v135
	s_cbranch_execz .LBB422_1241
; %bb.1238:                             ;   in Loop: Header=BB422_611 Depth=1
	v_and_b32_e32 v9, 7, v7
	v_lshrrev_b32_e32 v134, 3, v135
	s_mov_b32 s15, exec_lo
	v_cmpx_gt_u32_e32 8, v135
; %bb.1239:                             ;   in Loop: Header=BB422_611 Depth=1
	s_delay_alu instid0(VALU_DEP_3) | instskip(NEXT) | instid1(VALU_DEP_1)
	v_clz_i32_u32_e32 v134, v9
	v_min_u32_e32 v134, 32, v134
	s_delay_alu instid0(VALU_DEP_1) | instskip(SKIP_1) | instid1(VALU_DEP_2)
	v_subrev_nc_u32_e32 v135, 28, v134
	v_sub_nc_u32_e32 v134, 29, v134
	v_lshlrev_b64 v[144:145], v135, v[9:10]
	s_delay_alu instid0(VALU_DEP_1)
	v_and_b32_e32 v9, 7, v144
; %bb.1240:                             ;   in Loop: Header=BB422_611 Depth=1
	s_or_b32 exec_lo, exec_lo, s15
	v_lshlrev_b32_e32 v7, 24, v7
	s_delay_alu instid0(VALU_DEP_2) | instskip(SKIP_1) | instid1(VALU_DEP_3)
	v_lshlrev_b32_e32 v9, 20, v9
	v_lshl_add_u32 v134, v134, 23, 0x3c000000
	v_and_b32_e32 v7, 0x80000000, v7
	s_delay_alu instid0(VALU_DEP_1)
	v_or3_b32 v9, v9, v7, v134
.LBB422_1241:                           ;   in Loop: Header=BB422_611 Depth=1
	s_or_b32 exec_lo, exec_lo, s13
.LBB422_1242:                           ;   in Loop: Header=BB422_611 Depth=1
	s_delay_alu instid0(SALU_CYCLE_1)
	s_or_b32 exec_lo, exec_lo, s12
.LBB422_1243:                           ;   in Loop: Header=BB422_611 Depth=1
	s_delay_alu instid0(SALU_CYCLE_1) | instskip(NEXT) | instid1(VALU_DEP_1)
	s_or_b32 exec_lo, exec_lo, s9
	v_mul_f32_e32 v9, v26, v9
	s_delay_alu instid0(VALU_DEP_1) | instskip(NEXT) | instid1(VALU_DEP_1)
	v_and_b32_e32 v7, 0x7f800000, v9
	v_cmp_ne_u32_e64 s0, 0x7f800000, v7
                                        ; implicit-def: $vgpr7
	s_delay_alu instid0(VALU_DEP_1) | instskip(NEXT) | instid1(SALU_CYCLE_1)
	s_and_saveexec_b32 s9, s0
	s_xor_b32 s0, exec_lo, s9
; %bb.1244:                             ;   in Loop: Header=BB422_611 Depth=1
	v_bfe_u32 v7, v9, 16, 1
	s_delay_alu instid0(VALU_DEP_1)
	v_add3_u32 v7, v9, v7, 0x7fff
                                        ; implicit-def: $vgpr9
; %bb.1245:                             ;   in Loop: Header=BB422_611 Depth=1
	s_and_not1_saveexec_b32 s9, s0
; %bb.1246:                             ;   in Loop: Header=BB422_611 Depth=1
	v_and_b32_e32 v7, 0xffff, v9
	v_or_b32_e32 v134, 0x10000, v9
	s_delay_alu instid0(VALU_DEP_2) | instskip(NEXT) | instid1(VALU_DEP_1)
	v_cmp_eq_u32_e64 s0, 0, v7
	v_cndmask_b32_e64 v7, v134, v9, s0
; %bb.1247:                             ;   in Loop: Header=BB422_611 Depth=1
	s_or_b32 exec_lo, exec_lo, s9
	v_mov_b32_e32 v9, 0
	s_mov_b32 s9, exec_lo
	v_cmpx_lt_u64_e64 s[2:3], v[2:3]
	s_cbranch_execz .LBB422_1255
; %bb.1248:                             ;   in Loop: Header=BB422_611 Depth=1
	v_lshrrev_b32_e32 v2, 24, v3
	v_bfrev_b32_e32 v9, 1
	s_mov_b32 s12, exec_lo
	s_delay_alu instid0(VALU_DEP_2)
	v_cmpx_ne_u32_e32 0x80, v2
	s_cbranch_execz .LBB422_1254
; %bb.1249:                             ;   in Loop: Header=BB422_611 Depth=1
	v_bfe_u32 v134, v3, 24, 7
	v_mov_b32_e32 v9, 0x7f800001
	s_mov_b32 s13, exec_lo
	s_delay_alu instid0(VALU_DEP_2)
	v_cmpx_ne_u32_e32 0x7f, v134
	s_cbranch_execz .LBB422_1253
; %bb.1250:                             ;   in Loop: Header=BB422_611 Depth=1
	v_and_b32_e32 v9, 7, v2
	v_lshrrev_b32_e32 v3, 3, v134
	s_mov_b32 s15, exec_lo
	v_cmpx_gt_u32_e32 8, v134
; %bb.1251:                             ;   in Loop: Header=BB422_611 Depth=1
	s_delay_alu instid0(VALU_DEP_3) | instskip(NEXT) | instid1(VALU_DEP_1)
	v_clz_i32_u32_e32 v3, v9
	v_min_u32_e32 v3, 32, v3
	s_delay_alu instid0(VALU_DEP_1) | instskip(SKIP_1) | instid1(VALU_DEP_2)
	v_subrev_nc_u32_e32 v134, 28, v3
	v_sub_nc_u32_e32 v3, 29, v3
	v_lshlrev_b64 v[134:135], v134, v[9:10]
	s_delay_alu instid0(VALU_DEP_1)
	v_and_b32_e32 v9, 7, v134
; %bb.1252:                             ;   in Loop: Header=BB422_611 Depth=1
	s_or_b32 exec_lo, exec_lo, s15
	v_lshlrev_b32_e32 v2, 24, v2
	s_delay_alu instid0(VALU_DEP_2) | instskip(SKIP_1) | instid1(VALU_DEP_3)
	v_lshlrev_b32_e32 v9, 20, v9
	v_lshl_add_u32 v3, v3, 23, 0x3c000000
	v_and_b32_e32 v2, 0x80000000, v2
	s_delay_alu instid0(VALU_DEP_1)
	v_or3_b32 v9, v9, v2, v3
.LBB422_1253:                           ;   in Loop: Header=BB422_611 Depth=1
	s_or_b32 exec_lo, exec_lo, s13
.LBB422_1254:                           ;   in Loop: Header=BB422_611 Depth=1
	s_delay_alu instid0(SALU_CYCLE_1)
	s_or_b32 exec_lo, exec_lo, s12
.LBB422_1255:                           ;   in Loop: Header=BB422_611 Depth=1
	s_delay_alu instid0(SALU_CYCLE_1) | instskip(NEXT) | instid1(VALU_DEP_1)
	s_or_b32 exec_lo, exec_lo, s9
	v_mul_f32_e32 v3, v26, v9
	s_delay_alu instid0(VALU_DEP_1) | instskip(NEXT) | instid1(VALU_DEP_1)
	v_and_b32_e32 v2, 0x7f800000, v3
	v_cmp_ne_u32_e64 s0, 0x7f800000, v2
                                        ; implicit-def: $vgpr2
	s_delay_alu instid0(VALU_DEP_1) | instskip(NEXT) | instid1(SALU_CYCLE_1)
	s_and_saveexec_b32 s9, s0
	s_xor_b32 s0, exec_lo, s9
; %bb.1256:                             ;   in Loop: Header=BB422_611 Depth=1
	v_bfe_u32 v2, v3, 16, 1
	s_delay_alu instid0(VALU_DEP_1)
	v_add3_u32 v2, v3, v2, 0x7fff
                                        ; implicit-def: $vgpr3
; %bb.1257:                             ;   in Loop: Header=BB422_611 Depth=1
	s_and_not1_saveexec_b32 s9, s0
; %bb.1258:                             ;   in Loop: Header=BB422_611 Depth=1
	v_and_b32_e32 v2, 0xffff, v3
	v_or_b32_e32 v9, 0x10000, v3
	s_delay_alu instid0(VALU_DEP_2) | instskip(NEXT) | instid1(VALU_DEP_1)
	v_cmp_eq_u32_e64 s0, 0, v2
	v_cndmask_b32_e64 v2, v9, v3, s0
; %bb.1259:                             ;   in Loop: Header=BB422_611 Depth=1
	s_or_b32 exec_lo, exec_lo, s9
	v_lshrrev_b32_e32 v9, 16, v6
	v_lshrrev_b32_e32 v133, 16, v133
	;; [unrolled: 1-line block ×8, first 2 shown]
	s_and_saveexec_b32 s9, vcc_lo
	s_cbranch_execz .LBB422_1261
; %bb.1260:                             ;   in Loop: Header=BB422_611 Depth=1
	v_cmp_lt_i32_e64 s0, v50, v32
	s_delay_alu instid0(VALU_DEP_1) | instskip(SKIP_1) | instid1(VALU_DEP_1)
	v_cndmask_b32_e64 v6, 0, v6, s0
	v_cmp_lt_i32_e64 s0, v64, v32
	v_cndmask_b32_e64 v130, 0, v130, s0
	v_cmp_lt_i32_e64 s0, v55, v32
	s_delay_alu instid0(VALU_DEP_1) | instskip(SKIP_1) | instid1(VALU_DEP_1)
	v_cndmask_b32_e64 v131, 0, v131, s0
	v_cmp_lt_i32_e64 s0, v54, v32
	v_cndmask_b32_e64 v132, 0, v132, s0
	;; [unrolled: 5-line block ×4, first 2 shown]
.LBB422_1261:                           ;   in Loop: Header=BB422_611 Depth=1
	s_or_b32 exec_lo, exec_lo, s9
	v_lshlrev_b32_e32 v6, 16, v6
	s_delay_alu instid0(VALU_DEP_1) | instskip(NEXT) | instid1(VALU_DEP_1)
	v_mul_f32_e32 v7, v65, v6
	v_and_b32_e32 v6, 0x7f800000, v7
	s_delay_alu instid0(VALU_DEP_1) | instskip(NEXT) | instid1(VALU_DEP_1)
	v_cmp_ne_u32_e64 s0, 0x7f800000, v6
                                        ; implicit-def: $vgpr6
	s_and_saveexec_b32 s9, s0
	s_delay_alu instid0(SALU_CYCLE_1)
	s_xor_b32 s0, exec_lo, s9
; %bb.1262:                             ;   in Loop: Header=BB422_611 Depth=1
	v_bfe_u32 v6, v7, 16, 1
	s_delay_alu instid0(VALU_DEP_1)
	v_add3_u32 v6, v7, v6, 0x7fff
                                        ; implicit-def: $vgpr7
; %bb.1263:                             ;   in Loop: Header=BB422_611 Depth=1
	s_and_not1_saveexec_b32 s9, s0
; %bb.1264:                             ;   in Loop: Header=BB422_611 Depth=1
	v_and_b32_e32 v6, 0xffff, v7
	v_or_b32_e32 v129, 0x10000, v7
	s_delay_alu instid0(VALU_DEP_2) | instskip(NEXT) | instid1(VALU_DEP_1)
	v_cmp_eq_u32_e64 s0, 0, v6
	v_cndmask_b32_e64 v6, v129, v7, s0
; %bb.1265:                             ;   in Loop: Header=BB422_611 Depth=1
	s_or_b32 exec_lo, exec_lo, s9
	v_lshlrev_b32_e32 v7, 16, v130
	s_delay_alu instid0(VALU_DEP_1) | instskip(NEXT) | instid1(VALU_DEP_1)
	v_mul_f32_e32 v129, v66, v7
	v_and_b32_e32 v7, 0x7f800000, v129
	s_delay_alu instid0(VALU_DEP_1) | instskip(NEXT) | instid1(VALU_DEP_1)
	v_cmp_ne_u32_e64 s0, 0x7f800000, v7
                                        ; implicit-def: $vgpr7
	s_and_saveexec_b32 s9, s0
	s_delay_alu instid0(SALU_CYCLE_1)
	s_xor_b32 s0, exec_lo, s9
; %bb.1266:                             ;   in Loop: Header=BB422_611 Depth=1
	v_bfe_u32 v7, v129, 16, 1
	s_delay_alu instid0(VALU_DEP_1)
	v_add3_u32 v7, v129, v7, 0x7fff
                                        ; implicit-def: $vgpr129
; %bb.1267:                             ;   in Loop: Header=BB422_611 Depth=1
	s_and_not1_saveexec_b32 s9, s0
; %bb.1268:                             ;   in Loop: Header=BB422_611 Depth=1
	v_and_b32_e32 v7, 0xffff, v129
	v_or_b32_e32 v130, 0x10000, v129
	s_delay_alu instid0(VALU_DEP_2) | instskip(NEXT) | instid1(VALU_DEP_1)
	v_cmp_eq_u32_e64 s0, 0, v7
	v_cndmask_b32_e64 v7, v130, v129, s0
; %bb.1269:                             ;   in Loop: Header=BB422_611 Depth=1
	s_or_b32 exec_lo, exec_lo, s9
	v_lshlrev_b32_e32 v129, 16, v131
	s_delay_alu instid0(VALU_DEP_1) | instskip(NEXT) | instid1(VALU_DEP_1)
	v_mul_f32_e32 v130, v67, v129
	v_and_b32_e32 v129, 0x7f800000, v130
	s_delay_alu instid0(VALU_DEP_1) | instskip(NEXT) | instid1(VALU_DEP_1)
	v_cmp_ne_u32_e64 s0, 0x7f800000, v129
                                        ; implicit-def: $vgpr129
	s_and_saveexec_b32 s9, s0
	s_delay_alu instid0(SALU_CYCLE_1)
	s_xor_b32 s0, exec_lo, s9
; %bb.1270:                             ;   in Loop: Header=BB422_611 Depth=1
	v_bfe_u32 v129, v130, 16, 1
	s_delay_alu instid0(VALU_DEP_1)
	v_add3_u32 v129, v130, v129, 0x7fff
                                        ; implicit-def: $vgpr130
; %bb.1271:                             ;   in Loop: Header=BB422_611 Depth=1
	s_and_not1_saveexec_b32 s9, s0
; %bb.1272:                             ;   in Loop: Header=BB422_611 Depth=1
	v_and_b32_e32 v129, 0xffff, v130
	v_or_b32_e32 v131, 0x10000, v130
	s_delay_alu instid0(VALU_DEP_2) | instskip(NEXT) | instid1(VALU_DEP_1)
	v_cmp_eq_u32_e64 s0, 0, v129
	v_cndmask_b32_e64 v129, v131, v130, s0
; %bb.1273:                             ;   in Loop: Header=BB422_611 Depth=1
	s_or_b32 exec_lo, exec_lo, s9
	v_lshlrev_b32_e32 v130, 16, v132
	s_delay_alu instid0(VALU_DEP_1) | instskip(NEXT) | instid1(VALU_DEP_1)
	v_mul_f32_e32 v131, v68, v130
	v_and_b32_e32 v130, 0x7f800000, v131
	s_delay_alu instid0(VALU_DEP_1) | instskip(NEXT) | instid1(VALU_DEP_1)
	v_cmp_ne_u32_e64 s0, 0x7f800000, v130
                                        ; implicit-def: $vgpr130
	s_and_saveexec_b32 s9, s0
	s_delay_alu instid0(SALU_CYCLE_1)
	s_xor_b32 s0, exec_lo, s9
; %bb.1274:                             ;   in Loop: Header=BB422_611 Depth=1
	v_bfe_u32 v130, v131, 16, 1
	s_delay_alu instid0(VALU_DEP_1)
	v_add3_u32 v130, v131, v130, 0x7fff
                                        ; implicit-def: $vgpr131
; %bb.1275:                             ;   in Loop: Header=BB422_611 Depth=1
	s_and_not1_saveexec_b32 s9, s0
; %bb.1276:                             ;   in Loop: Header=BB422_611 Depth=1
	v_and_b32_e32 v130, 0xffff, v131
	v_or_b32_e32 v132, 0x10000, v131
	s_delay_alu instid0(VALU_DEP_2) | instskip(NEXT) | instid1(VALU_DEP_1)
	v_cmp_eq_u32_e64 s0, 0, v130
	v_cndmask_b32_e64 v130, v132, v131, s0
; %bb.1277:                             ;   in Loop: Header=BB422_611 Depth=1
	s_or_b32 exec_lo, exec_lo, s9
	v_lshlrev_b32_e32 v131, 16, v133
	s_delay_alu instid0(VALU_DEP_1) | instskip(NEXT) | instid1(VALU_DEP_1)
	v_mul_f32_e32 v132, v69, v131
	v_and_b32_e32 v131, 0x7f800000, v132
	s_delay_alu instid0(VALU_DEP_1) | instskip(NEXT) | instid1(VALU_DEP_1)
	v_cmp_ne_u32_e64 s0, 0x7f800000, v131
                                        ; implicit-def: $vgpr131
	s_and_saveexec_b32 s9, s0
	s_delay_alu instid0(SALU_CYCLE_1)
	s_xor_b32 s0, exec_lo, s9
; %bb.1278:                             ;   in Loop: Header=BB422_611 Depth=1
	v_bfe_u32 v131, v132, 16, 1
	s_delay_alu instid0(VALU_DEP_1)
	v_add3_u32 v131, v132, v131, 0x7fff
                                        ; implicit-def: $vgpr132
; %bb.1279:                             ;   in Loop: Header=BB422_611 Depth=1
	s_and_not1_saveexec_b32 s9, s0
; %bb.1280:                             ;   in Loop: Header=BB422_611 Depth=1
	v_and_b32_e32 v131, 0xffff, v132
	v_or_b32_e32 v133, 0x10000, v132
	s_delay_alu instid0(VALU_DEP_2) | instskip(NEXT) | instid1(VALU_DEP_1)
	v_cmp_eq_u32_e64 s0, 0, v131
	v_cndmask_b32_e64 v131, v133, v132, s0
; %bb.1281:                             ;   in Loop: Header=BB422_611 Depth=1
	s_or_b32 exec_lo, exec_lo, s9
	v_lshlrev_b32_e32 v9, 16, v9
	s_delay_alu instid0(VALU_DEP_1) | instskip(NEXT) | instid1(VALU_DEP_1)
	v_mul_f32_e32 v9, v70, v9
	v_and_b32_e32 v132, 0x7f800000, v9
	s_delay_alu instid0(VALU_DEP_1) | instskip(NEXT) | instid1(VALU_DEP_1)
	v_cmp_ne_u32_e64 s0, 0x7f800000, v132
                                        ; implicit-def: $vgpr132
	s_and_saveexec_b32 s9, s0
	s_delay_alu instid0(SALU_CYCLE_1)
	s_xor_b32 s0, exec_lo, s9
; %bb.1282:                             ;   in Loop: Header=BB422_611 Depth=1
	v_bfe_u32 v132, v9, 16, 1
	s_delay_alu instid0(VALU_DEP_1)
	v_add3_u32 v132, v9, v132, 0x7fff
                                        ; implicit-def: $vgpr9
; %bb.1283:                             ;   in Loop: Header=BB422_611 Depth=1
	s_and_not1_saveexec_b32 s9, s0
; %bb.1284:                             ;   in Loop: Header=BB422_611 Depth=1
	v_and_b32_e32 v132, 0xffff, v9
	v_or_b32_e32 v133, 0x10000, v9
	s_delay_alu instid0(VALU_DEP_2) | instskip(NEXT) | instid1(VALU_DEP_1)
	v_cmp_eq_u32_e64 s0, 0, v132
	v_cndmask_b32_e64 v132, v133, v9, s0
; %bb.1285:                             ;   in Loop: Header=BB422_611 Depth=1
	s_or_b32 exec_lo, exec_lo, s9
	v_lshlrev_b32_e32 v3, 16, v3
                                        ; implicit-def: $vgpr133
	s_delay_alu instid0(VALU_DEP_1) | instskip(NEXT) | instid1(VALU_DEP_1)
	v_mul_f32_e32 v3, v71, v3
	v_and_b32_e32 v9, 0x7f800000, v3
	s_delay_alu instid0(VALU_DEP_1) | instskip(NEXT) | instid1(VALU_DEP_1)
	v_cmp_ne_u32_e64 s0, 0x7f800000, v9
	s_and_saveexec_b32 s9, s0
	s_delay_alu instid0(SALU_CYCLE_1)
	s_xor_b32 s0, exec_lo, s9
; %bb.1286:                             ;   in Loop: Header=BB422_611 Depth=1
	v_bfe_u32 v9, v3, 16, 1
	s_delay_alu instid0(VALU_DEP_1)
	v_add3_u32 v133, v3, v9, 0x7fff
                                        ; implicit-def: $vgpr3
; %bb.1287:                             ;   in Loop: Header=BB422_611 Depth=1
	s_and_not1_saveexec_b32 s9, s0
; %bb.1288:                             ;   in Loop: Header=BB422_611 Depth=1
	v_and_b32_e32 v9, 0xffff, v3
	v_or_b32_e32 v133, 0x10000, v3
	s_delay_alu instid0(VALU_DEP_2) | instskip(NEXT) | instid1(VALU_DEP_1)
	v_cmp_eq_u32_e64 s0, 0, v9
	v_cndmask_b32_e64 v133, v133, v3, s0
; %bb.1289:                             ;   in Loop: Header=BB422_611 Depth=1
	s_or_b32 exec_lo, exec_lo, s9
	v_lshlrev_b32_e32 v2, 16, v2
                                        ; implicit-def: $vgpr134
	s_delay_alu instid0(VALU_DEP_1) | instskip(NEXT) | instid1(VALU_DEP_1)
	v_mul_f32_e32 v2, v80, v2
	v_and_b32_e32 v3, 0x7f800000, v2
	s_delay_alu instid0(VALU_DEP_1) | instskip(NEXT) | instid1(VALU_DEP_1)
	v_cmp_ne_u32_e64 s0, 0x7f800000, v3
	s_and_saveexec_b32 s9, s0
	s_delay_alu instid0(SALU_CYCLE_1)
	s_xor_b32 s0, exec_lo, s9
; %bb.1290:                             ;   in Loop: Header=BB422_611 Depth=1
	v_bfe_u32 v3, v2, 16, 1
	s_delay_alu instid0(VALU_DEP_1)
	v_add3_u32 v134, v2, v3, 0x7fff
                                        ; implicit-def: $vgpr2
; %bb.1291:                             ;   in Loop: Header=BB422_611 Depth=1
	s_and_not1_saveexec_b32 s9, s0
; %bb.1292:                             ;   in Loop: Header=BB422_611 Depth=1
	v_and_b32_e32 v3, 0xffff, v2
	v_or_b32_e32 v9, 0x10000, v2
	s_delay_alu instid0(VALU_DEP_2) | instskip(NEXT) | instid1(VALU_DEP_1)
	v_cmp_eq_u32_e64 s0, 0, v3
	v_cndmask_b32_e64 v134, v9, v2, s0
; %bb.1293:                             ;   in Loop: Header=BB422_611 Depth=1
	s_or_b32 exec_lo, exec_lo, s9
	flat_load_b64 v[0:1], v[0:1] offset:1280
	s_mov_b32 s9, exec_lo
	s_waitcnt vmcnt(0) lgkmcnt(0)
	v_dual_mov_b32 v2, 0 :: v_dual_and_b32 v3, 0xff, v0
	s_delay_alu instid0(VALU_DEP_1)
	v_cmpx_ne_u16_e32 0, v3
	s_cbranch_execz .LBB422_1301
; %bb.1294:                             ;   in Loop: Header=BB422_611 Depth=1
	v_bfrev_b32_e32 v2, 1
	s_mov_b32 s12, exec_lo
	v_cmpx_ne_u16_e32 0x80, v3
	s_cbranch_execz .LBB422_1300
; %bb.1295:                             ;   in Loop: Header=BB422_611 Depth=1
	v_and_b32_e32 v3, 0x7f, v0
	v_mov_b32_e32 v2, 0x7f800001
	s_mov_b32 s13, exec_lo
	s_delay_alu instid0(VALU_DEP_2)
	v_cmpx_ne_u32_e32 0x7f, v3
	s_cbranch_execz .LBB422_1299
; %bb.1296:                             ;   in Loop: Header=BB422_611 Depth=1
	v_lshrrev_b32_e32 v9, 3, v3
	v_cmp_gt_u32_e64 s0, 8, v3
	v_dual_mov_b32 v3, v1 :: v_dual_mov_b32 v2, v0
	s_delay_alu instid0(VALU_DEP_2)
	s_and_saveexec_b32 s15, s0
; %bb.1297:                             ;   in Loop: Header=BB422_611 Depth=1
	v_and_b32_e32 v2, 7, v0
	s_delay_alu instid0(VALU_DEP_1) | instskip(NEXT) | instid1(VALU_DEP_1)
	v_clz_i32_u32_e32 v2, v2
	v_min_u32_e32 v9, 32, v2
	s_delay_alu instid0(VALU_DEP_1) | instskip(SKIP_1) | instid1(VALU_DEP_2)
	v_subrev_nc_u32_e32 v2, 28, v9
	v_sub_nc_u32_e32 v9, 29, v9
	v_lshlrev_b64 v[2:3], v2, v[0:1]
; %bb.1298:                             ;   in Loop: Header=BB422_611 Depth=1
	s_or_b32 exec_lo, exec_lo, s15
	s_delay_alu instid0(VALU_DEP_1) | instskip(SKIP_2) | instid1(VALU_DEP_3)
	v_lshlrev_b32_e32 v2, 20, v2
	v_lshlrev_b32_e32 v3, 24, v0
	v_lshl_add_u32 v9, v9, 23, 0x3c000000
	v_and_b32_e32 v2, 0x700000, v2
	s_delay_alu instid0(VALU_DEP_3) | instskip(NEXT) | instid1(VALU_DEP_1)
	v_and_b32_e32 v3, 0x80000000, v3
	v_or3_b32 v2, v2, v3, v9
.LBB422_1299:                           ;   in Loop: Header=BB422_611 Depth=1
	s_or_b32 exec_lo, exec_lo, s13
.LBB422_1300:                           ;   in Loop: Header=BB422_611 Depth=1
	s_delay_alu instid0(SALU_CYCLE_1)
	s_or_b32 exec_lo, exec_lo, s12
.LBB422_1301:                           ;   in Loop: Header=BB422_611 Depth=1
	s_delay_alu instid0(SALU_CYCLE_1) | instskip(NEXT) | instid1(VALU_DEP_1)
	s_or_b32 exec_lo, exec_lo, s9
	v_mul_f32_e32 v2, v26, v2
                                        ; implicit-def: $vgpr135
	s_delay_alu instid0(VALU_DEP_1) | instskip(NEXT) | instid1(VALU_DEP_1)
	v_and_b32_e32 v3, 0x7f800000, v2
	v_cmp_ne_u32_e64 s0, 0x7f800000, v3
	s_delay_alu instid0(VALU_DEP_1) | instskip(NEXT) | instid1(SALU_CYCLE_1)
	s_and_saveexec_b32 s9, s0
	s_xor_b32 s0, exec_lo, s9
; %bb.1302:                             ;   in Loop: Header=BB422_611 Depth=1
	v_bfe_u32 v3, v2, 16, 1
	s_delay_alu instid0(VALU_DEP_1)
	v_add3_u32 v135, v2, v3, 0x7fff
                                        ; implicit-def: $vgpr2
; %bb.1303:                             ;   in Loop: Header=BB422_611 Depth=1
	s_and_not1_saveexec_b32 s9, s0
; %bb.1304:                             ;   in Loop: Header=BB422_611 Depth=1
	v_and_b32_e32 v3, 0xffff, v2
	v_or_b32_e32 v9, 0x10000, v2
	s_delay_alu instid0(VALU_DEP_2) | instskip(NEXT) | instid1(VALU_DEP_1)
	v_cmp_eq_u32_e64 s0, 0, v3
	v_cndmask_b32_e64 v135, v9, v2, s0
; %bb.1305:                             ;   in Loop: Header=BB422_611 Depth=1
	s_or_b32 exec_lo, exec_lo, s9
	v_lshrrev_b16 v3, 8, v0
	v_mov_b32_e32 v2, 0
	s_mov_b32 s9, exec_lo
	s_delay_alu instid0(VALU_DEP_2)
	v_cmpx_ne_u16_e32 0, v3
	s_cbranch_execz .LBB422_1313
; %bb.1306:                             ;   in Loop: Header=BB422_611 Depth=1
	v_bfrev_b32_e32 v2, 1
	s_mov_b32 s12, exec_lo
	v_cmpx_ne_u16_e32 0x80, v3
	s_cbranch_execz .LBB422_1312
; %bb.1307:                             ;   in Loop: Header=BB422_611 Depth=1
	v_and_b32_e32 v9, 0xffff, v3
	v_mov_b32_e32 v2, 0x7f800001
	s_mov_b32 s13, exec_lo
	s_delay_alu instid0(VALU_DEP_2) | instskip(NEXT) | instid1(VALU_DEP_1)
	v_and_b32_e32 v3, 0x7f, v9
	v_cmpx_ne_u32_e32 0x7f, v3
	s_cbranch_execz .LBB422_1311
; %bb.1308:                             ;   in Loop: Header=BB422_611 Depth=1
	v_and_b32_e32 v9, 7, v9
	v_lshrrev_b32_e32 v2, 3, v3
	s_mov_b32 s15, exec_lo
	v_cmpx_gt_u32_e32 8, v3
; %bb.1309:                             ;   in Loop: Header=BB422_611 Depth=1
	s_delay_alu instid0(VALU_DEP_3) | instskip(NEXT) | instid1(VALU_DEP_1)
	v_clz_i32_u32_e32 v2, v9
	v_min_u32_e32 v2, 32, v2
	s_delay_alu instid0(VALU_DEP_1) | instskip(SKIP_1) | instid1(VALU_DEP_2)
	v_subrev_nc_u32_e32 v3, 28, v2
	v_sub_nc_u32_e32 v2, 29, v2
	v_lshlrev_b64 v[144:145], v3, v[9:10]
	s_delay_alu instid0(VALU_DEP_1)
	v_and_b32_e32 v9, 7, v144
; %bb.1310:                             ;   in Loop: Header=BB422_611 Depth=1
	s_or_b32 exec_lo, exec_lo, s15
	v_lshlrev_b32_e32 v3, 16, v0
	s_delay_alu instid0(VALU_DEP_2) | instskip(SKIP_1) | instid1(VALU_DEP_3)
	v_lshlrev_b32_e32 v9, 20, v9
	v_lshl_add_u32 v2, v2, 23, 0x3c000000
	v_and_b32_e32 v3, 0x80000000, v3
	s_delay_alu instid0(VALU_DEP_1)
	v_or3_b32 v2, v9, v3, v2
.LBB422_1311:                           ;   in Loop: Header=BB422_611 Depth=1
	s_or_b32 exec_lo, exec_lo, s13
.LBB422_1312:                           ;   in Loop: Header=BB422_611 Depth=1
	s_delay_alu instid0(SALU_CYCLE_1)
	s_or_b32 exec_lo, exec_lo, s12
.LBB422_1313:                           ;   in Loop: Header=BB422_611 Depth=1
	s_delay_alu instid0(SALU_CYCLE_1) | instskip(NEXT) | instid1(VALU_DEP_1)
	s_or_b32 exec_lo, exec_lo, s9
	v_mul_f32_e32 v2, v26, v2
                                        ; implicit-def: $vgpr144
	s_delay_alu instid0(VALU_DEP_1) | instskip(NEXT) | instid1(VALU_DEP_1)
	v_and_b32_e32 v3, 0x7f800000, v2
	v_cmp_ne_u32_e64 s0, 0x7f800000, v3
	s_delay_alu instid0(VALU_DEP_1) | instskip(NEXT) | instid1(SALU_CYCLE_1)
	s_and_saveexec_b32 s9, s0
	s_xor_b32 s0, exec_lo, s9
; %bb.1314:                             ;   in Loop: Header=BB422_611 Depth=1
	v_bfe_u32 v3, v2, 16, 1
	s_delay_alu instid0(VALU_DEP_1)
	v_add3_u32 v144, v2, v3, 0x7fff
                                        ; implicit-def: $vgpr2
; %bb.1315:                             ;   in Loop: Header=BB422_611 Depth=1
	s_and_not1_saveexec_b32 s9, s0
; %bb.1316:                             ;   in Loop: Header=BB422_611 Depth=1
	v_and_b32_e32 v3, 0xffff, v2
	v_or_b32_e32 v9, 0x10000, v2
	s_delay_alu instid0(VALU_DEP_2) | instskip(NEXT) | instid1(VALU_DEP_1)
	v_cmp_eq_u32_e64 s0, 0, v3
	v_cndmask_b32_e64 v144, v9, v2, s0
; %bb.1317:                             ;   in Loop: Header=BB422_611 Depth=1
	s_or_b32 exec_lo, exec_lo, s9
	v_lshrrev_b32_e32 v2, 16, v0
	v_mov_b32_e32 v3, 0
	s_mov_b32 s9, exec_lo
	s_delay_alu instid0(VALU_DEP_2) | instskip(NEXT) | instid1(VALU_DEP_1)
	v_and_b32_e32 v9, 0xff, v2
	v_cmpx_ne_u16_e32 0, v9
	s_cbranch_execz .LBB422_1325
; %bb.1318:                             ;   in Loop: Header=BB422_611 Depth=1
	v_bfrev_b32_e32 v3, 1
	s_mov_b32 s12, exec_lo
	v_cmpx_ne_u16_e32 0x80, v9
	s_cbranch_execz .LBB422_1324
; %bb.1319:                             ;   in Loop: Header=BB422_611 Depth=1
	v_bfe_u32 v145, v0, 16, 7
	v_mov_b32_e32 v3, 0x7f800001
	s_mov_b32 s13, exec_lo
	s_delay_alu instid0(VALU_DEP_2)
	v_cmpx_ne_u32_e32 0x7f, v145
	s_cbranch_execz .LBB422_1323
; %bb.1320:                             ;   in Loop: Header=BB422_611 Depth=1
	v_and_b32_e32 v9, 7, v2
	v_lshrrev_b32_e32 v3, 3, v145
	s_mov_b32 s15, exec_lo
	v_cmpx_gt_u32_e32 8, v145
; %bb.1321:                             ;   in Loop: Header=BB422_611 Depth=1
	s_delay_alu instid0(VALU_DEP_3) | instskip(NEXT) | instid1(VALU_DEP_1)
	v_clz_i32_u32_e32 v3, v9
	v_min_u32_e32 v3, 32, v3
	s_delay_alu instid0(VALU_DEP_1) | instskip(SKIP_1) | instid1(VALU_DEP_2)
	v_subrev_nc_u32_e32 v145, 28, v3
	v_sub_nc_u32_e32 v3, 29, v3
	v_lshlrev_b64 v[145:146], v145, v[9:10]
	s_delay_alu instid0(VALU_DEP_1)
	v_and_b32_e32 v9, 7, v145
; %bb.1322:                             ;   in Loop: Header=BB422_611 Depth=1
	s_or_b32 exec_lo, exec_lo, s15
	v_lshlrev_b32_e32 v2, 24, v2
	s_delay_alu instid0(VALU_DEP_2) | instskip(SKIP_1) | instid1(VALU_DEP_3)
	v_lshlrev_b32_e32 v9, 20, v9
	v_lshl_add_u32 v3, v3, 23, 0x3c000000
	v_and_b32_e32 v2, 0x80000000, v2
	s_delay_alu instid0(VALU_DEP_1)
	v_or3_b32 v3, v9, v2, v3
.LBB422_1323:                           ;   in Loop: Header=BB422_611 Depth=1
	s_or_b32 exec_lo, exec_lo, s13
.LBB422_1324:                           ;   in Loop: Header=BB422_611 Depth=1
	s_delay_alu instid0(SALU_CYCLE_1)
	s_or_b32 exec_lo, exec_lo, s12
.LBB422_1325:                           ;   in Loop: Header=BB422_611 Depth=1
	s_delay_alu instid0(SALU_CYCLE_1) | instskip(NEXT) | instid1(VALU_DEP_1)
	s_or_b32 exec_lo, exec_lo, s9
	v_mul_f32_e32 v2, v26, v3
                                        ; implicit-def: $vgpr145
	s_delay_alu instid0(VALU_DEP_1) | instskip(NEXT) | instid1(VALU_DEP_1)
	v_and_b32_e32 v3, 0x7f800000, v2
	v_cmp_ne_u32_e64 s0, 0x7f800000, v3
	s_delay_alu instid0(VALU_DEP_1) | instskip(NEXT) | instid1(SALU_CYCLE_1)
	s_and_saveexec_b32 s9, s0
	s_xor_b32 s0, exec_lo, s9
; %bb.1326:                             ;   in Loop: Header=BB422_611 Depth=1
	v_bfe_u32 v3, v2, 16, 1
	s_delay_alu instid0(VALU_DEP_1)
	v_add3_u32 v145, v2, v3, 0x7fff
                                        ; implicit-def: $vgpr2
; %bb.1327:                             ;   in Loop: Header=BB422_611 Depth=1
	s_and_not1_saveexec_b32 s9, s0
; %bb.1328:                             ;   in Loop: Header=BB422_611 Depth=1
	v_and_b32_e32 v3, 0xffff, v2
	v_or_b32_e32 v9, 0x10000, v2
	s_delay_alu instid0(VALU_DEP_2) | instskip(NEXT) | instid1(VALU_DEP_1)
	v_cmp_eq_u32_e64 s0, 0, v3
	v_cndmask_b32_e64 v145, v9, v2, s0
; %bb.1329:                             ;   in Loop: Header=BB422_611 Depth=1
	s_or_b32 exec_lo, exec_lo, s9
	v_mov_b32_e32 v3, 0
	s_mov_b32 s9, exec_lo
	v_cmpx_lt_u32_e32 0xffffff, v0
	s_cbranch_execz .LBB422_1337
; %bb.1330:                             ;   in Loop: Header=BB422_611 Depth=1
	v_lshrrev_b32_e32 v2, 24, v0
	v_bfrev_b32_e32 v3, 1
	s_mov_b32 s12, exec_lo
	s_delay_alu instid0(VALU_DEP_2)
	v_cmpx_ne_u32_e32 0x80, v2
	s_cbranch_execz .LBB422_1336
; %bb.1331:                             ;   in Loop: Header=BB422_611 Depth=1
	v_bfe_u32 v146, v0, 24, 7
	v_mov_b32_e32 v3, 0x7f800001
	s_mov_b32 s13, exec_lo
	s_delay_alu instid0(VALU_DEP_2)
	v_cmpx_ne_u32_e32 0x7f, v146
	s_cbranch_execz .LBB422_1335
; %bb.1332:                             ;   in Loop: Header=BB422_611 Depth=1
	v_and_b32_e32 v9, 7, v2
	v_lshrrev_b32_e32 v3, 3, v146
	s_mov_b32 s15, exec_lo
	v_cmpx_gt_u32_e32 8, v146
; %bb.1333:                             ;   in Loop: Header=BB422_611 Depth=1
	s_delay_alu instid0(VALU_DEP_3) | instskip(NEXT) | instid1(VALU_DEP_1)
	v_clz_i32_u32_e32 v3, v9
	v_min_u32_e32 v3, 32, v3
	s_delay_alu instid0(VALU_DEP_1) | instskip(SKIP_1) | instid1(VALU_DEP_2)
	v_subrev_nc_u32_e32 v146, 28, v3
	v_sub_nc_u32_e32 v3, 29, v3
	v_lshlrev_b64 v[146:147], v146, v[9:10]
	s_delay_alu instid0(VALU_DEP_1)
	v_and_b32_e32 v9, 7, v146
; %bb.1334:                             ;   in Loop: Header=BB422_611 Depth=1
	s_or_b32 exec_lo, exec_lo, s15
	v_lshlrev_b32_e32 v2, 24, v2
	s_delay_alu instid0(VALU_DEP_2) | instskip(SKIP_1) | instid1(VALU_DEP_3)
	v_lshlrev_b32_e32 v9, 20, v9
	v_lshl_add_u32 v3, v3, 23, 0x3c000000
	v_and_b32_e32 v2, 0x80000000, v2
	s_delay_alu instid0(VALU_DEP_1)
	v_or3_b32 v3, v9, v2, v3
.LBB422_1335:                           ;   in Loop: Header=BB422_611 Depth=1
	s_or_b32 exec_lo, exec_lo, s13
.LBB422_1336:                           ;   in Loop: Header=BB422_611 Depth=1
	s_delay_alu instid0(SALU_CYCLE_1)
	s_or_b32 exec_lo, exec_lo, s12
.LBB422_1337:                           ;   in Loop: Header=BB422_611 Depth=1
	s_delay_alu instid0(SALU_CYCLE_1) | instskip(NEXT) | instid1(VALU_DEP_1)
	s_or_b32 exec_lo, exec_lo, s9
	v_mul_f32_e32 v2, v26, v3
                                        ; implicit-def: $vgpr146
	s_delay_alu instid0(VALU_DEP_1) | instskip(NEXT) | instid1(VALU_DEP_1)
	v_and_b32_e32 v3, 0x7f800000, v2
	v_cmp_ne_u32_e64 s0, 0x7f800000, v3
	s_delay_alu instid0(VALU_DEP_1) | instskip(NEXT) | instid1(SALU_CYCLE_1)
	s_and_saveexec_b32 s9, s0
	s_xor_b32 s0, exec_lo, s9
; %bb.1338:                             ;   in Loop: Header=BB422_611 Depth=1
	v_bfe_u32 v3, v2, 16, 1
	s_delay_alu instid0(VALU_DEP_1)
	v_add3_u32 v146, v2, v3, 0x7fff
                                        ; implicit-def: $vgpr2
; %bb.1339:                             ;   in Loop: Header=BB422_611 Depth=1
	s_and_not1_saveexec_b32 s9, s0
; %bb.1340:                             ;   in Loop: Header=BB422_611 Depth=1
	v_and_b32_e32 v3, 0xffff, v2
	v_or_b32_e32 v9, 0x10000, v2
	s_delay_alu instid0(VALU_DEP_2) | instskip(NEXT) | instid1(VALU_DEP_1)
	v_cmp_eq_u32_e64 s0, 0, v3
	v_cndmask_b32_e64 v146, v9, v2, s0
; %bb.1341:                             ;   in Loop: Header=BB422_611 Depth=1
	s_or_b32 exec_lo, exec_lo, s9
	v_dual_mov_b32 v2, 0 :: v_dual_and_b32 v3, 0xff, v1
	v_mov_b32_e32 v9, v1
	s_mov_b32 s9, exec_lo
	s_delay_alu instid0(VALU_DEP_2)
	v_cmpx_ne_u16_e32 0, v3
	s_cbranch_execz .LBB422_1349
; %bb.1342:                             ;   in Loop: Header=BB422_611 Depth=1
	v_bfrev_b32_e32 v2, 1
	s_mov_b32 s12, exec_lo
	v_cmpx_ne_u16_e32 0x80, v3
	s_cbranch_execz .LBB422_1348
; %bb.1343:                             ;   in Loop: Header=BB422_611 Depth=1
	v_and_b32_e32 v3, 0x7f, v1
	v_mov_b32_e32 v2, 0x7f800001
	s_mov_b32 s13, exec_lo
	s_delay_alu instid0(VALU_DEP_2)
	v_cmpx_ne_u32_e32 0x7f, v3
	s_cbranch_execz .LBB422_1347
; %bb.1344:                             ;   in Loop: Header=BB422_611 Depth=1
	v_lshrrev_b32_e32 v147, 3, v3
	v_cmp_gt_u32_e64 s0, 8, v3
	v_dual_mov_b32 v2, v9 :: v_dual_mov_b32 v3, v10
	s_delay_alu instid0(VALU_DEP_2)
	s_and_saveexec_b32 s15, s0
; %bb.1345:                             ;   in Loop: Header=BB422_611 Depth=1
	v_and_b32_e32 v2, 7, v1
	s_delay_alu instid0(VALU_DEP_1) | instskip(NEXT) | instid1(VALU_DEP_1)
	v_clz_i32_u32_e32 v2, v2
	v_min_u32_e32 v147, 32, v2
	s_delay_alu instid0(VALU_DEP_1) | instskip(SKIP_1) | instid1(VALU_DEP_2)
	v_subrev_nc_u32_e32 v2, 28, v147
	v_sub_nc_u32_e32 v147, 29, v147
	v_lshlrev_b64 v[2:3], v2, v[9:10]
; %bb.1346:                             ;   in Loop: Header=BB422_611 Depth=1
	s_or_b32 exec_lo, exec_lo, s15
	s_delay_alu instid0(VALU_DEP_1) | instskip(SKIP_2) | instid1(VALU_DEP_3)
	v_lshlrev_b32_e32 v2, 20, v2
	v_lshlrev_b32_e32 v3, 24, v9
	v_lshl_add_u32 v147, v147, 23, 0x3c000000
	v_and_b32_e32 v2, 0x700000, v2
	s_delay_alu instid0(VALU_DEP_3) | instskip(NEXT) | instid1(VALU_DEP_1)
	v_and_b32_e32 v3, 0x80000000, v3
	v_or3_b32 v2, v2, v3, v147
.LBB422_1347:                           ;   in Loop: Header=BB422_611 Depth=1
	s_or_b32 exec_lo, exec_lo, s13
.LBB422_1348:                           ;   in Loop: Header=BB422_611 Depth=1
	s_delay_alu instid0(SALU_CYCLE_1)
	s_or_b32 exec_lo, exec_lo, s12
.LBB422_1349:                           ;   in Loop: Header=BB422_611 Depth=1
	s_delay_alu instid0(SALU_CYCLE_1) | instskip(NEXT) | instid1(VALU_DEP_1)
	s_or_b32 exec_lo, exec_lo, s9
	v_mul_f32_e32 v2, v26, v2
                                        ; implicit-def: $vgpr147
	s_delay_alu instid0(VALU_DEP_1) | instskip(NEXT) | instid1(VALU_DEP_1)
	v_and_b32_e32 v3, 0x7f800000, v2
	v_cmp_ne_u32_e64 s0, 0x7f800000, v3
	s_delay_alu instid0(VALU_DEP_1) | instskip(NEXT) | instid1(SALU_CYCLE_1)
	s_and_saveexec_b32 s9, s0
	s_xor_b32 s0, exec_lo, s9
; %bb.1350:                             ;   in Loop: Header=BB422_611 Depth=1
	v_bfe_u32 v3, v2, 16, 1
	s_delay_alu instid0(VALU_DEP_1)
	v_add3_u32 v147, v2, v3, 0x7fff
                                        ; implicit-def: $vgpr2
; %bb.1351:                             ;   in Loop: Header=BB422_611 Depth=1
	s_and_not1_saveexec_b32 s9, s0
; %bb.1352:                             ;   in Loop: Header=BB422_611 Depth=1
	v_and_b32_e32 v3, 0xffff, v2
	v_or_b32_e32 v147, 0x10000, v2
	s_delay_alu instid0(VALU_DEP_2) | instskip(NEXT) | instid1(VALU_DEP_1)
	v_cmp_eq_u32_e64 s0, 0, v3
	v_cndmask_b32_e64 v147, v147, v2, s0
; %bb.1353:                             ;   in Loop: Header=BB422_611 Depth=1
	s_or_b32 exec_lo, exec_lo, s9
	v_lshrrev_b16 v3, 8, v9
	v_mov_b32_e32 v2, 0
	s_mov_b32 s9, exec_lo
	s_delay_alu instid0(VALU_DEP_2)
	v_cmpx_ne_u16_e32 0, v3
	s_cbranch_execz .LBB422_1361
; %bb.1354:                             ;   in Loop: Header=BB422_611 Depth=1
	v_bfrev_b32_e32 v2, 1
	s_mov_b32 s12, exec_lo
	v_cmpx_ne_u16_e32 0x80, v3
	s_cbranch_execz .LBB422_1360
; %bb.1355:                             ;   in Loop: Header=BB422_611 Depth=1
	v_and_b32_e32 v3, 0xffff, v3
	v_mov_b32_e32 v2, 0x7f800001
	s_mov_b32 s13, exec_lo
	s_delay_alu instid0(VALU_DEP_2) | instskip(NEXT) | instid1(VALU_DEP_1)
	v_and_b32_e32 v149, 0x7f, v3
	v_cmpx_ne_u32_e32 0x7f, v149
	s_cbranch_execz .LBB422_1359
; %bb.1356:                             ;   in Loop: Header=BB422_611 Depth=1
	v_dual_mov_b32 v3, v10 :: v_dual_and_b32 v2, 7, v3
	v_lshrrev_b32_e32 v148, 3, v149
	s_mov_b32 s15, exec_lo
	v_cmpx_gt_u32_e32 8, v149
; %bb.1357:                             ;   in Loop: Header=BB422_611 Depth=1
	s_delay_alu instid0(VALU_DEP_3) | instskip(NEXT) | instid1(VALU_DEP_1)
	v_clz_i32_u32_e32 v148, v2
	v_min_u32_e32 v148, 32, v148
	s_delay_alu instid0(VALU_DEP_1) | instskip(SKIP_1) | instid1(VALU_DEP_2)
	v_subrev_nc_u32_e32 v149, 28, v148
	v_sub_nc_u32_e32 v148, 29, v148
	v_lshlrev_b64 v[2:3], v149, v[2:3]
	s_delay_alu instid0(VALU_DEP_1)
	v_and_b32_e32 v2, 7, v2
; %bb.1358:                             ;   in Loop: Header=BB422_611 Depth=1
	s_or_b32 exec_lo, exec_lo, s15
	v_lshlrev_b32_e32 v3, 16, v9
	s_delay_alu instid0(VALU_DEP_2) | instskip(SKIP_1) | instid1(VALU_DEP_3)
	v_lshlrev_b32_e32 v2, 20, v2
	v_lshl_add_u32 v9, v148, 23, 0x3c000000
	v_and_b32_e32 v3, 0x80000000, v3
	s_delay_alu instid0(VALU_DEP_1)
	v_or3_b32 v2, v2, v3, v9
.LBB422_1359:                           ;   in Loop: Header=BB422_611 Depth=1
	s_or_b32 exec_lo, exec_lo, s13
.LBB422_1360:                           ;   in Loop: Header=BB422_611 Depth=1
	s_delay_alu instid0(SALU_CYCLE_1)
	s_or_b32 exec_lo, exec_lo, s12
.LBB422_1361:                           ;   in Loop: Header=BB422_611 Depth=1
	s_delay_alu instid0(SALU_CYCLE_1) | instskip(NEXT) | instid1(VALU_DEP_1)
	s_or_b32 exec_lo, exec_lo, s9
	v_mul_f32_e32 v3, v26, v2
	s_delay_alu instid0(VALU_DEP_1) | instskip(NEXT) | instid1(VALU_DEP_1)
	v_and_b32_e32 v2, 0x7f800000, v3
	v_cmp_ne_u32_e64 s0, 0x7f800000, v2
                                        ; implicit-def: $vgpr2
	s_delay_alu instid0(VALU_DEP_1) | instskip(NEXT) | instid1(SALU_CYCLE_1)
	s_and_saveexec_b32 s9, s0
	s_xor_b32 s0, exec_lo, s9
; %bb.1362:                             ;   in Loop: Header=BB422_611 Depth=1
	v_bfe_u32 v2, v3, 16, 1
	s_delay_alu instid0(VALU_DEP_1)
	v_add3_u32 v2, v3, v2, 0x7fff
                                        ; implicit-def: $vgpr3
; %bb.1363:                             ;   in Loop: Header=BB422_611 Depth=1
	s_and_not1_saveexec_b32 s9, s0
; %bb.1364:                             ;   in Loop: Header=BB422_611 Depth=1
	v_and_b32_e32 v2, 0xffff, v3
	v_or_b32_e32 v9, 0x10000, v3
	s_delay_alu instid0(VALU_DEP_2) | instskip(NEXT) | instid1(VALU_DEP_1)
	v_cmp_eq_u32_e64 s0, 0, v2
	v_cndmask_b32_e64 v2, v9, v3, s0
; %bb.1365:                             ;   in Loop: Header=BB422_611 Depth=1
	s_or_b32 exec_lo, exec_lo, s9
	v_lshrrev_b32_e32 v3, 16, v1
	s_mov_b32 s9, exec_lo
	s_delay_alu instid0(VALU_DEP_1) | instskip(NEXT) | instid1(VALU_DEP_1)
	v_dual_mov_b32 v9, 0 :: v_dual_and_b32 v148, 0xff, v3
	v_cmpx_ne_u16_e64 0, v148
	s_cbranch_execz .LBB422_1373
; %bb.1366:                             ;   in Loop: Header=BB422_611 Depth=1
	v_bfrev_b32_e32 v9, 1
	s_mov_b32 s12, exec_lo
	v_cmpx_ne_u16_e64 0x80, v148
	s_cbranch_execz .LBB422_1372
; %bb.1367:                             ;   in Loop: Header=BB422_611 Depth=1
	v_bfe_u32 v149, v1, 16, 7
	v_mov_b32_e32 v9, 0x7f800001
	s_mov_b32 s13, exec_lo
	s_delay_alu instid0(VALU_DEP_2)
	v_cmpx_ne_u32_e32 0x7f, v149
	s_cbranch_execz .LBB422_1371
; %bb.1368:                             ;   in Loop: Header=BB422_611 Depth=1
	v_and_b32_e32 v9, 7, v3
	v_lshrrev_b32_e32 v148, 3, v149
	s_mov_b32 s15, exec_lo
	v_cmpx_gt_u32_e32 8, v149
; %bb.1369:                             ;   in Loop: Header=BB422_611 Depth=1
	s_delay_alu instid0(VALU_DEP_3) | instskip(NEXT) | instid1(VALU_DEP_1)
	v_clz_i32_u32_e32 v148, v9
	v_min_u32_e32 v148, 32, v148
	s_delay_alu instid0(VALU_DEP_1) | instskip(SKIP_1) | instid1(VALU_DEP_2)
	v_subrev_nc_u32_e32 v149, 28, v148
	v_sub_nc_u32_e32 v148, 29, v148
	v_lshlrev_b64 v[149:150], v149, v[9:10]
	s_delay_alu instid0(VALU_DEP_1)
	v_and_b32_e32 v9, 7, v149
; %bb.1370:                             ;   in Loop: Header=BB422_611 Depth=1
	s_or_b32 exec_lo, exec_lo, s15
	v_lshlrev_b32_e32 v3, 24, v3
	s_delay_alu instid0(VALU_DEP_2) | instskip(SKIP_1) | instid1(VALU_DEP_3)
	v_lshlrev_b32_e32 v9, 20, v9
	v_lshl_add_u32 v148, v148, 23, 0x3c000000
	v_and_b32_e32 v3, 0x80000000, v3
	s_delay_alu instid0(VALU_DEP_1)
	v_or3_b32 v9, v9, v3, v148
.LBB422_1371:                           ;   in Loop: Header=BB422_611 Depth=1
	s_or_b32 exec_lo, exec_lo, s13
.LBB422_1372:                           ;   in Loop: Header=BB422_611 Depth=1
	s_delay_alu instid0(SALU_CYCLE_1)
	s_or_b32 exec_lo, exec_lo, s12
.LBB422_1373:                           ;   in Loop: Header=BB422_611 Depth=1
	s_delay_alu instid0(SALU_CYCLE_1) | instskip(NEXT) | instid1(VALU_DEP_1)
	s_or_b32 exec_lo, exec_lo, s9
	v_mul_f32_e32 v9, v26, v9
	s_delay_alu instid0(VALU_DEP_1) | instskip(NEXT) | instid1(VALU_DEP_1)
	v_and_b32_e32 v3, 0x7f800000, v9
	v_cmp_ne_u32_e64 s0, 0x7f800000, v3
                                        ; implicit-def: $vgpr3
	s_delay_alu instid0(VALU_DEP_1) | instskip(NEXT) | instid1(SALU_CYCLE_1)
	s_and_saveexec_b32 s9, s0
	s_xor_b32 s0, exec_lo, s9
; %bb.1374:                             ;   in Loop: Header=BB422_611 Depth=1
	v_bfe_u32 v3, v9, 16, 1
	s_delay_alu instid0(VALU_DEP_1)
	v_add3_u32 v3, v9, v3, 0x7fff
                                        ; implicit-def: $vgpr9
; %bb.1375:                             ;   in Loop: Header=BB422_611 Depth=1
	s_and_not1_saveexec_b32 s9, s0
; %bb.1376:                             ;   in Loop: Header=BB422_611 Depth=1
	v_and_b32_e32 v3, 0xffff, v9
	v_or_b32_e32 v148, 0x10000, v9
	s_delay_alu instid0(VALU_DEP_2) | instskip(NEXT) | instid1(VALU_DEP_1)
	v_cmp_eq_u32_e64 s0, 0, v3
	v_cndmask_b32_e64 v3, v148, v9, s0
; %bb.1377:                             ;   in Loop: Header=BB422_611 Depth=1
	s_or_b32 exec_lo, exec_lo, s9
	v_mov_b32_e32 v9, 0
	s_mov_b32 s9, exec_lo
	v_cmpx_lt_u64_e64 s[2:3], v[0:1]
	s_cbranch_execz .LBB422_1385
; %bb.1378:                             ;   in Loop: Header=BB422_611 Depth=1
	v_lshrrev_b32_e32 v0, 24, v1
	v_bfrev_b32_e32 v9, 1
	s_mov_b32 s12, exec_lo
	s_delay_alu instid0(VALU_DEP_2)
	v_cmpx_ne_u32_e32 0x80, v0
	s_cbranch_execz .LBB422_1384
; %bb.1379:                             ;   in Loop: Header=BB422_611 Depth=1
	v_bfe_u32 v148, v1, 24, 7
	v_mov_b32_e32 v9, 0x7f800001
	s_mov_b32 s13, exec_lo
	s_delay_alu instid0(VALU_DEP_2)
	v_cmpx_ne_u32_e32 0x7f, v148
	s_cbranch_execz .LBB422_1383
; %bb.1380:                             ;   in Loop: Header=BB422_611 Depth=1
	v_and_b32_e32 v9, 7, v0
	v_lshrrev_b32_e32 v1, 3, v148
	s_mov_b32 s15, exec_lo
	v_cmpx_gt_u32_e32 8, v148
; %bb.1381:                             ;   in Loop: Header=BB422_611 Depth=1
	s_delay_alu instid0(VALU_DEP_3) | instskip(NEXT) | instid1(VALU_DEP_1)
	v_clz_i32_u32_e32 v1, v9
	v_min_u32_e32 v1, 32, v1
	s_delay_alu instid0(VALU_DEP_1) | instskip(SKIP_1) | instid1(VALU_DEP_2)
	v_subrev_nc_u32_e32 v148, 28, v1
	v_sub_nc_u32_e32 v1, 29, v1
	v_lshlrev_b64 v[148:149], v148, v[9:10]
	s_delay_alu instid0(VALU_DEP_1)
	v_and_b32_e32 v9, 7, v148
; %bb.1382:                             ;   in Loop: Header=BB422_611 Depth=1
	s_or_b32 exec_lo, exec_lo, s15
	v_lshlrev_b32_e32 v0, 24, v0
	s_delay_alu instid0(VALU_DEP_2) | instskip(SKIP_1) | instid1(VALU_DEP_3)
	v_lshlrev_b32_e32 v9, 20, v9
	v_lshl_add_u32 v1, v1, 23, 0x3c000000
	v_and_b32_e32 v0, 0x80000000, v0
	s_delay_alu instid0(VALU_DEP_1)
	v_or3_b32 v9, v9, v0, v1
.LBB422_1383:                           ;   in Loop: Header=BB422_611 Depth=1
	s_or_b32 exec_lo, exec_lo, s13
.LBB422_1384:                           ;   in Loop: Header=BB422_611 Depth=1
	s_delay_alu instid0(SALU_CYCLE_1)
	s_or_b32 exec_lo, exec_lo, s12
.LBB422_1385:                           ;   in Loop: Header=BB422_611 Depth=1
	s_delay_alu instid0(SALU_CYCLE_1) | instskip(NEXT) | instid1(VALU_DEP_1)
	s_or_b32 exec_lo, exec_lo, s9
	v_mul_f32_e32 v0, v26, v9
                                        ; implicit-def: $vgpr149
	s_delay_alu instid0(VALU_DEP_1) | instskip(NEXT) | instid1(VALU_DEP_1)
	v_and_b32_e32 v1, 0x7f800000, v0
	v_cmp_ne_u32_e64 s0, 0x7f800000, v1
	s_delay_alu instid0(VALU_DEP_1) | instskip(NEXT) | instid1(SALU_CYCLE_1)
	s_and_saveexec_b32 s9, s0
	s_xor_b32 s0, exec_lo, s9
; %bb.1386:                             ;   in Loop: Header=BB422_611 Depth=1
	v_bfe_u32 v1, v0, 16, 1
	s_delay_alu instid0(VALU_DEP_1)
	v_add3_u32 v149, v0, v1, 0x7fff
                                        ; implicit-def: $vgpr0
; %bb.1387:                             ;   in Loop: Header=BB422_611 Depth=1
	s_and_not1_saveexec_b32 s9, s0
; %bb.1388:                             ;   in Loop: Header=BB422_611 Depth=1
	v_and_b32_e32 v1, 0xffff, v0
	v_or_b32_e32 v9, 0x10000, v0
	s_delay_alu instid0(VALU_DEP_2) | instskip(NEXT) | instid1(VALU_DEP_1)
	v_cmp_eq_u32_e64 s0, 0, v1
	v_cndmask_b32_e64 v149, v9, v0, s0
; %bb.1389:                             ;   in Loop: Header=BB422_611 Depth=1
	s_or_b32 exec_lo, exec_lo, s9
	v_lshrrev_b32_e32 v148, 16, v2
	v_lshrrev_b32_e32 v147, 16, v147
	v_lshrrev_b32_e32 v9, 16, v146
	v_lshrrev_b32_e32 v2, 16, v145
	v_lshrrev_b32_e32 v1, 16, v144
	v_lshrrev_b32_e32 v0, 16, v135
	v_lshrrev_b32_e32 v135, 16, v3
	v_lshrrev_b32_e32 v3, 16, v149
	s_and_saveexec_b32 s0, vcc_lo
	s_cbranch_execz .LBB422_1391
; %bb.1390:                             ;   in Loop: Header=BB422_611 Depth=1
	v_cmp_lt_i32_e32 vcc_lo, v50, v32
	v_cndmask_b32_e32 v0, 0, v0, vcc_lo
	v_cmp_lt_i32_e32 vcc_lo, v64, v32
	v_cndmask_b32_e32 v1, 0, v1, vcc_lo
	v_cmp_lt_i32_e32 vcc_lo, v55, v32
	v_cndmask_b32_e32 v2, 0, v2, vcc_lo
	v_cmp_lt_i32_e32 vcc_lo, v54, v32
	v_cndmask_b32_e32 v9, 0, v9, vcc_lo
	v_cmp_lt_i32_e32 vcc_lo, v53, v32
	v_cndmask_b32_e32 v147, 0, v147, vcc_lo
	v_cmp_lt_i32_e32 vcc_lo, v52, v32
	v_cndmask_b32_e32 v148, 0, v148, vcc_lo
	v_cmp_lt_i32_e32 vcc_lo, v51, v32
	v_cndmask_b32_e32 v135, 0, v135, vcc_lo
	v_cmp_lt_i32_e32 vcc_lo, v15, v32
	v_cndmask_b32_e32 v3, 0, v3, vcc_lo
.LBB422_1391:                           ;   in Loop: Header=BB422_611 Depth=1
	s_or_b32 exec_lo, exec_lo, s0
	v_lshlrev_b32_e32 v0, 16, v0
	s_delay_alu instid0(VALU_DEP_1) | instskip(NEXT) | instid1(VALU_DEP_1)
	v_mul_f32_e32 v50, v65, v0
	v_and_b32_e32 v0, 0x7f800000, v50
	s_delay_alu instid0(VALU_DEP_1) | instskip(SKIP_1) | instid1(SALU_CYCLE_1)
	v_cmp_ne_u32_e32 vcc_lo, 0x7f800000, v0
                                        ; implicit-def: $vgpr0
	s_and_saveexec_b32 s0, vcc_lo
	s_xor_b32 s0, exec_lo, s0
; %bb.1392:                             ;   in Loop: Header=BB422_611 Depth=1
	v_bfe_u32 v0, v50, 16, 1
	s_delay_alu instid0(VALU_DEP_1)
	v_add3_u32 v0, v50, v0, 0x7fff
                                        ; implicit-def: $vgpr50
; %bb.1393:                             ;   in Loop: Header=BB422_611 Depth=1
	s_and_not1_saveexec_b32 s0, s0
; %bb.1394:                             ;   in Loop: Header=BB422_611 Depth=1
	v_and_b32_e32 v0, 0xffff, v50
	v_or_b32_e32 v51, 0x10000, v50
	s_delay_alu instid0(VALU_DEP_2) | instskip(NEXT) | instid1(VALU_DEP_2)
	v_cmp_eq_u32_e32 vcc_lo, 0, v0
	v_cndmask_b32_e32 v0, v51, v50, vcc_lo
; %bb.1395:                             ;   in Loop: Header=BB422_611 Depth=1
	s_or_b32 exec_lo, exec_lo, s0
	v_lshlrev_b32_e32 v1, 16, v1
	s_delay_alu instid0(VALU_DEP_1) | instskip(NEXT) | instid1(VALU_DEP_1)
	v_mul_f32_e32 v50, v66, v1
	v_and_b32_e32 v1, 0x7f800000, v50
	s_delay_alu instid0(VALU_DEP_1) | instskip(SKIP_1) | instid1(SALU_CYCLE_1)
	v_cmp_ne_u32_e32 vcc_lo, 0x7f800000, v1
                                        ; implicit-def: $vgpr1
	s_and_saveexec_b32 s0, vcc_lo
	s_xor_b32 s0, exec_lo, s0
; %bb.1396:                             ;   in Loop: Header=BB422_611 Depth=1
	v_bfe_u32 v1, v50, 16, 1
	s_delay_alu instid0(VALU_DEP_1)
	v_add3_u32 v1, v50, v1, 0x7fff
                                        ; implicit-def: $vgpr50
; %bb.1397:                             ;   in Loop: Header=BB422_611 Depth=1
	s_and_not1_saveexec_b32 s0, s0
; %bb.1398:                             ;   in Loop: Header=BB422_611 Depth=1
	v_and_b32_e32 v1, 0xffff, v50
	v_or_b32_e32 v51, 0x10000, v50
	s_delay_alu instid0(VALU_DEP_2) | instskip(NEXT) | instid1(VALU_DEP_2)
	v_cmp_eq_u32_e32 vcc_lo, 0, v1
	v_cndmask_b32_e32 v1, v51, v50, vcc_lo
; %bb.1399:                             ;   in Loop: Header=BB422_611 Depth=1
	s_or_b32 exec_lo, exec_lo, s0
	v_lshlrev_b32_e32 v2, 16, v2
	s_delay_alu instid0(VALU_DEP_1) | instskip(NEXT) | instid1(VALU_DEP_1)
	v_mul_f32_e32 v50, v67, v2
	v_and_b32_e32 v2, 0x7f800000, v50
	s_delay_alu instid0(VALU_DEP_1) | instskip(SKIP_1) | instid1(SALU_CYCLE_1)
	v_cmp_ne_u32_e32 vcc_lo, 0x7f800000, v2
                                        ; implicit-def: $vgpr2
	s_and_saveexec_b32 s0, vcc_lo
	s_xor_b32 s0, exec_lo, s0
; %bb.1400:                             ;   in Loop: Header=BB422_611 Depth=1
	v_bfe_u32 v2, v50, 16, 1
	s_delay_alu instid0(VALU_DEP_1)
	v_add3_u32 v2, v50, v2, 0x7fff
                                        ; implicit-def: $vgpr50
; %bb.1401:                             ;   in Loop: Header=BB422_611 Depth=1
	s_and_not1_saveexec_b32 s0, s0
; %bb.1402:                             ;   in Loop: Header=BB422_611 Depth=1
	v_and_b32_e32 v2, 0xffff, v50
	v_or_b32_e32 v51, 0x10000, v50
	s_delay_alu instid0(VALU_DEP_2) | instskip(NEXT) | instid1(VALU_DEP_2)
	v_cmp_eq_u32_e32 vcc_lo, 0, v2
	v_cndmask_b32_e32 v2, v51, v50, vcc_lo
; %bb.1403:                             ;   in Loop: Header=BB422_611 Depth=1
	s_or_b32 exec_lo, exec_lo, s0
	v_lshlrev_b32_e32 v9, 16, v9
	s_delay_alu instid0(VALU_DEP_1) | instskip(NEXT) | instid1(VALU_DEP_1)
	v_mul_f32_e32 v50, v68, v9
	v_and_b32_e32 v9, 0x7f800000, v50
	s_delay_alu instid0(VALU_DEP_1) | instskip(SKIP_1) | instid1(SALU_CYCLE_1)
	v_cmp_ne_u32_e32 vcc_lo, 0x7f800000, v9
                                        ; implicit-def: $vgpr9
	s_and_saveexec_b32 s0, vcc_lo
	s_xor_b32 s0, exec_lo, s0
; %bb.1404:                             ;   in Loop: Header=BB422_611 Depth=1
	v_bfe_u32 v9, v50, 16, 1
	s_delay_alu instid0(VALU_DEP_1)
	v_add3_u32 v9, v50, v9, 0x7fff
                                        ; implicit-def: $vgpr50
; %bb.1405:                             ;   in Loop: Header=BB422_611 Depth=1
	s_and_not1_saveexec_b32 s0, s0
; %bb.1406:                             ;   in Loop: Header=BB422_611 Depth=1
	v_and_b32_e32 v9, 0xffff, v50
	v_or_b32_e32 v51, 0x10000, v50
	s_delay_alu instid0(VALU_DEP_2) | instskip(NEXT) | instid1(VALU_DEP_2)
	v_cmp_eq_u32_e32 vcc_lo, 0, v9
	v_cndmask_b32_e32 v9, v51, v50, vcc_lo
; %bb.1407:                             ;   in Loop: Header=BB422_611 Depth=1
	s_or_b32 exec_lo, exec_lo, s0
	v_lshlrev_b32_e32 v50, 16, v147
	s_delay_alu instid0(VALU_DEP_1) | instskip(NEXT) | instid1(VALU_DEP_1)
	v_mul_f32_e32 v51, v69, v50
	v_and_b32_e32 v50, 0x7f800000, v51
	s_delay_alu instid0(VALU_DEP_1) | instskip(SKIP_1) | instid1(SALU_CYCLE_1)
	v_cmp_ne_u32_e32 vcc_lo, 0x7f800000, v50
                                        ; implicit-def: $vgpr50
	s_and_saveexec_b32 s0, vcc_lo
	s_xor_b32 s0, exec_lo, s0
; %bb.1408:                             ;   in Loop: Header=BB422_611 Depth=1
	v_bfe_u32 v50, v51, 16, 1
	s_delay_alu instid0(VALU_DEP_1)
	v_add3_u32 v50, v51, v50, 0x7fff
                                        ; implicit-def: $vgpr51
; %bb.1409:                             ;   in Loop: Header=BB422_611 Depth=1
	s_and_not1_saveexec_b32 s0, s0
; %bb.1410:                             ;   in Loop: Header=BB422_611 Depth=1
	v_and_b32_e32 v50, 0xffff, v51
	v_or_b32_e32 v52, 0x10000, v51
	s_delay_alu instid0(VALU_DEP_2) | instskip(NEXT) | instid1(VALU_DEP_2)
	v_cmp_eq_u32_e32 vcc_lo, 0, v50
	v_cndmask_b32_e32 v50, v52, v51, vcc_lo
; %bb.1411:                             ;   in Loop: Header=BB422_611 Depth=1
	s_or_b32 exec_lo, exec_lo, s0
	v_lshlrev_b32_e32 v51, 16, v148
	s_delay_alu instid0(VALU_DEP_1) | instskip(NEXT) | instid1(VALU_DEP_1)
	v_mul_f32_e32 v52, v70, v51
	v_and_b32_e32 v51, 0x7f800000, v52
	s_delay_alu instid0(VALU_DEP_1) | instskip(SKIP_1) | instid1(SALU_CYCLE_1)
	v_cmp_ne_u32_e32 vcc_lo, 0x7f800000, v51
                                        ; implicit-def: $vgpr51
	s_and_saveexec_b32 s0, vcc_lo
	s_xor_b32 s0, exec_lo, s0
; %bb.1412:                             ;   in Loop: Header=BB422_611 Depth=1
	v_bfe_u32 v51, v52, 16, 1
	s_delay_alu instid0(VALU_DEP_1)
	v_add3_u32 v51, v52, v51, 0x7fff
                                        ; implicit-def: $vgpr52
; %bb.1413:                             ;   in Loop: Header=BB422_611 Depth=1
	s_and_not1_saveexec_b32 s0, s0
; %bb.1414:                             ;   in Loop: Header=BB422_611 Depth=1
	v_and_b32_e32 v51, 0xffff, v52
	v_or_b32_e32 v53, 0x10000, v52
	s_delay_alu instid0(VALU_DEP_2) | instskip(NEXT) | instid1(VALU_DEP_2)
	v_cmp_eq_u32_e32 vcc_lo, 0, v51
	v_cndmask_b32_e32 v51, v53, v52, vcc_lo
; %bb.1415:                             ;   in Loop: Header=BB422_611 Depth=1
	s_or_b32 exec_lo, exec_lo, s0
	v_lshlrev_b32_e32 v52, 16, v135
	s_delay_alu instid0(VALU_DEP_1) | instskip(NEXT) | instid1(VALU_DEP_1)
	v_mul_f32_e32 v53, v71, v52
	v_and_b32_e32 v52, 0x7f800000, v53
	s_delay_alu instid0(VALU_DEP_1) | instskip(SKIP_1) | instid1(SALU_CYCLE_1)
	v_cmp_ne_u32_e32 vcc_lo, 0x7f800000, v52
                                        ; implicit-def: $vgpr52
	s_and_saveexec_b32 s0, vcc_lo
	s_xor_b32 s0, exec_lo, s0
; %bb.1416:                             ;   in Loop: Header=BB422_611 Depth=1
	v_bfe_u32 v52, v53, 16, 1
	s_delay_alu instid0(VALU_DEP_1)
	v_add3_u32 v52, v53, v52, 0x7fff
                                        ; implicit-def: $vgpr53
; %bb.1417:                             ;   in Loop: Header=BB422_611 Depth=1
	s_and_not1_saveexec_b32 s0, s0
; %bb.1418:                             ;   in Loop: Header=BB422_611 Depth=1
	v_and_b32_e32 v52, 0xffff, v53
	v_or_b32_e32 v54, 0x10000, v53
	s_delay_alu instid0(VALU_DEP_2) | instskip(NEXT) | instid1(VALU_DEP_2)
	v_cmp_eq_u32_e32 vcc_lo, 0, v52
	v_cndmask_b32_e32 v52, v54, v53, vcc_lo
; %bb.1419:                             ;   in Loop: Header=BB422_611 Depth=1
	s_or_b32 exec_lo, exec_lo, s0
	v_lshlrev_b32_e32 v3, 16, v3
	s_delay_alu instid0(VALU_DEP_1) | instskip(NEXT) | instid1(VALU_DEP_1)
	v_mul_f32_e32 v53, v80, v3
	v_and_b32_e32 v3, 0x7f800000, v53
	s_delay_alu instid0(VALU_DEP_1) | instskip(SKIP_1) | instid1(SALU_CYCLE_1)
	v_cmp_ne_u32_e32 vcc_lo, 0x7f800000, v3
                                        ; implicit-def: $vgpr3
	s_and_saveexec_b32 s0, vcc_lo
	s_xor_b32 s0, exec_lo, s0
; %bb.1420:                             ;   in Loop: Header=BB422_611 Depth=1
	v_bfe_u32 v3, v53, 16, 1
	s_delay_alu instid0(VALU_DEP_1)
	v_add3_u32 v3, v53, v3, 0x7fff
                                        ; implicit-def: $vgpr53
; %bb.1421:                             ;   in Loop: Header=BB422_611 Depth=1
	s_and_not1_saveexec_b32 s0, s0
	s_cbranch_execz .LBB422_610
; %bb.1422:                             ;   in Loop: Header=BB422_611 Depth=1
	v_and_b32_e32 v3, 0xffff, v53
	v_or_b32_e32 v54, 0x10000, v53
	s_delay_alu instid0(VALU_DEP_2) | instskip(NEXT) | instid1(VALU_DEP_2)
	v_cmp_eq_u32_e32 vcc_lo, 0, v3
	v_cndmask_b32_e32 v3, v54, v53, vcc_lo
	s_branch .LBB422_610
.LBB422_1423:
	s_or_b32 exec_lo, exec_lo, s8
	v_dual_mov_b32 v0, s10 :: v_dual_mov_b32 v1, s11
.LBB422_1424:
	s_or_b32 exec_lo, exec_lo, s7
	s_delay_alu instid0(VALU_DEP_1)
	v_lshlrev_b64 v[0:1], 2, v[0:1]
	s_getpc_b64 s[2:3]
	s_add_u32 s2, s2, llvm.amdgcn.dynlds.offset.table@rel32@lo+4
	s_addc_u32 s3, s3, llvm.amdgcn.dynlds.offset.table@rel32@hi+12
	s_waitcnt lgkmcnt(0)
	s_waitcnt_vscnt null, 0x0
	s_barrier
	buffer_gl0_inv
	ds_bpermute_b32 v2, v19, v24
	v_add_co_u32 v0, vcc_lo, v0, s2
	v_add_co_ci_u32_e32 v1, vcc_lo, s3, v1, vcc_lo
	ds_bpermute_b32 v6, v19, v23
	ds_bpermute_b32 v10, v19, v21
	;; [unrolled: 1-line block ×3, first 2 shown]
	global_load_b32 v9, v[0:1], off
	ds_bpermute_b32 v0, v19, v28
	ds_bpermute_b32 v1, v19, v25
	v_and_b32_e32 v3, 0x3c1, v31
	v_lshrrev_b32_e32 v8, 1, v18
	s_waitcnt lgkmcnt(5)
	v_add_f32_e32 v2, v24, v2
	s_delay_alu instid0(VALU_DEP_3)
	v_cmp_eq_u32_e32 vcc_lo, 64, v3
	s_waitcnt lgkmcnt(1)
	v_dual_add_f32 v7, v28, v0 :: v_dual_add_f32 v0, v21, v10
	s_waitcnt lgkmcnt(0)
	v_add_f32_e32 v3, v25, v1
	v_dual_add_f32 v1, v23, v6 :: v_dual_lshlrev_b32 v10, 2, v8
	v_add_f32_e32 v6, v20, v11
	s_waitcnt vmcnt(0)
	v_mad_u32_u24 v9, 0x180, v34, v9
	s_and_saveexec_b32 s0, vcc_lo
	s_cbranch_execz .LBB422_1426
; %bb.1425:
	s_delay_alu instid0(VALU_DEP_1)
	v_add3_u32 v11, v9, v10, 0xfffffd00
	ds_store_2addr_b32 v11, v7, v3 offset1:16
	ds_store_2addr_b32 v11, v2, v1 offset0:32 offset1:48
	ds_store_2addr_b32 v11, v0, v6 offset0:64 offset1:80
.LBB422_1426:
	s_or_b32 exec_lo, exec_lo, s0
	v_cmp_eq_u32_e32 vcc_lo, 0, v33
	s_mov_b32 s2, exec_lo
	s_waitcnt lgkmcnt(0)
	s_barrier
	buffer_gl0_inv
	v_cmpx_gt_u32_e32 64, v31
	s_cbranch_execz .LBB422_1435
; %bb.1427:
	s_and_saveexec_b32 s0, vcc_lo
	s_cbranch_execnz .LBB422_1474
; %bb.1428:
	s_or_b32 exec_lo, exec_lo, s0
	s_and_saveexec_b32 s0, vcc_lo
	s_cbranch_execnz .LBB422_1475
.LBB422_1429:
	s_or_b32 exec_lo, exec_lo, s0
	s_and_saveexec_b32 s0, vcc_lo
	s_cbranch_execnz .LBB422_1476
.LBB422_1430:
	s_or_b32 exec_lo, exec_lo, s0
	s_and_saveexec_b32 s0, vcc_lo
	s_cbranch_execnz .LBB422_1477
.LBB422_1431:
	s_or_b32 exec_lo, exec_lo, s0
	s_and_saveexec_b32 s0, vcc_lo
	s_cbranch_execnz .LBB422_1478
.LBB422_1432:
	s_or_b32 exec_lo, exec_lo, s0
	s_and_saveexec_b32 s0, vcc_lo
	s_cbranch_execz .LBB422_1434
.LBB422_1433:
	v_lshl_add_u32 v11, v8, 2, v9
	ds_load_b32 v11, v11 offset:320
	s_waitcnt lgkmcnt(0)
	v_add_f32_e32 v6, v6, v11
.LBB422_1434:
	s_or_b32 exec_lo, exec_lo, s0
.LBB422_1435:
	s_delay_alu instid0(SALU_CYCLE_1)
	s_or_b32 exec_lo, exec_lo, s2
	v_and_b32_e32 v11, 0x3e1, v31
	s_mov_b32 s2, exec_lo
	s_barrier
	buffer_gl0_inv
	v_cmpx_eq_u32_e32 32, v11
	s_cbranch_execz .LBB422_1437
; %bb.1436:
	v_add3_u32 v10, v9, v10, 0xfffffe80
	ds_store_2addr_b32 v10, v7, v3 offset1:16
	ds_store_2addr_b32 v10, v2, v1 offset0:32 offset1:48
	ds_store_2addr_b32 v10, v0, v6 offset0:64 offset1:80
.LBB422_1437:
	s_or_b32 exec_lo, exec_lo, s2
	v_cmp_gt_u32_e64 s0, 32, v31
	s_waitcnt lgkmcnt(0)
	s_barrier
	buffer_gl0_inv
	s_and_saveexec_b32 s2, s0
	s_cbranch_execz .LBB422_1446
; %bb.1438:
	v_lshl_add_u32 v8, v8, 2, v9
	s_and_saveexec_b32 s3, vcc_lo
	s_cbranch_execnz .LBB422_1479
; %bb.1439:
	s_or_b32 exec_lo, exec_lo, s3
	s_and_saveexec_b32 s3, vcc_lo
	s_cbranch_execnz .LBB422_1480
.LBB422_1440:
	s_or_b32 exec_lo, exec_lo, s3
	s_and_saveexec_b32 s3, vcc_lo
	s_cbranch_execnz .LBB422_1481
.LBB422_1441:
	s_or_b32 exec_lo, exec_lo, s3
	s_and_saveexec_b32 s3, vcc_lo
	s_cbranch_execnz .LBB422_1482
.LBB422_1442:
	s_or_b32 exec_lo, exec_lo, s3
	s_and_saveexec_b32 s3, vcc_lo
	s_cbranch_execnz .LBB422_1483
.LBB422_1443:
	s_or_b32 exec_lo, exec_lo, s3
	s_and_saveexec_b32 s3, vcc_lo
	s_cbranch_execz .LBB422_1445
.LBB422_1444:
	ds_load_b32 v8, v8 offset:320
	s_waitcnt lgkmcnt(0)
	v_add_f32_e32 v6, v6, v8
.LBB422_1445:
	s_or_b32 exec_lo, exec_lo, s3
.LBB422_1446:
	s_delay_alu instid0(SALU_CYCLE_1)
	s_or_b32 exec_lo, exec_lo, s2
	s_barrier
	buffer_gl0_inv
	s_and_b32 exec_lo, exec_lo, s0
	s_cbranch_execz .LBB422_1473
; %bb.1447:
	s_and_b32 exec_lo, exec_lo, vcc_lo
	s_cbranch_execz .LBB422_1473
; %bb.1448:
	v_and_b32_e32 v8, 0x7f800000, v7
	s_mov_b32 s0, exec_lo
                                        ; implicit-def: $vgpr9
	s_delay_alu instid0(VALU_DEP_1)
	v_cmpx_ne_u32_e32 0x7f800000, v8
	s_xor_b32 s0, exec_lo, s0
; %bb.1449:
	v_bfe_u32 v8, v7, 16, 1
	s_delay_alu instid0(VALU_DEP_1)
	v_add3_u32 v9, v7, v8, 0x7fff
; %bb.1450:
	s_and_not1_saveexec_b32 s0, s0
; %bb.1451:
	v_and_b32_e32 v8, 0xffff, v7
	v_or_b32_e32 v9, 0x10000, v7
	s_delay_alu instid0(VALU_DEP_2) | instskip(NEXT) | instid1(VALU_DEP_2)
	v_cmp_eq_u32_e32 vcc_lo, 0, v8
	v_cndmask_b32_e32 v9, v9, v7, vcc_lo
; %bb.1452:
	s_or_b32 exec_lo, exec_lo, s0
	s_mul_i32 s2, s1, s4
	s_mul_i32 s0, s6, s1
	;; [unrolled: 1-line block ×5, first 2 shown]
	s_ashr_i32 s1, s0, 31
	s_ashr_i32 s3, s2, 31
	;; [unrolled: 1-line block ×3, first 2 shown]
	s_lshl_b64 s[0:1], s[0:1], 1
	s_lshl_b64 s[2:3], s[2:3], 1
	;; [unrolled: 1-line block ×3, first 2 shown]
	s_add_u32 s0, s2, s0
	s_addc_u32 s1, s3, s1
	s_add_u32 s0, s0, s6
	s_addc_u32 s1, s1, s7
	v_lshlrev_b32_e32 v7, 1, v30
	v_add_co_u32 v4, vcc_lo, s0, v4
	v_add_co_ci_u32_e32 v5, vcc_lo, s1, v5, vcc_lo
	v_and_b32_e32 v10, 0x7f800000, v3
	s_delay_alu instid0(VALU_DEP_3) | instskip(NEXT) | instid1(VALU_DEP_3)
	v_add_co_u32 v7, vcc_lo, v4, v7
	v_add_co_ci_u32_e32 v8, vcc_lo, 0, v5, vcc_lo
	s_mov_b32 s0, exec_lo
                                        ; implicit-def: $vgpr4
	flat_store_d16_hi_b16 v[7:8], v9
	v_cmpx_ne_u32_e32 0x7f800000, v10
	s_xor_b32 s0, exec_lo, s0
; %bb.1453:
	v_bfe_u32 v4, v3, 16, 1
	s_delay_alu instid0(VALU_DEP_1)
	v_add3_u32 v4, v3, v4, 0x7fff
; %bb.1454:
	s_and_not1_saveexec_b32 s0, s0
; %bb.1455:
	v_and_b32_e32 v4, 0xffff, v3
	v_or_b32_e32 v5, 0x10000, v3
	s_delay_alu instid0(VALU_DEP_2) | instskip(NEXT) | instid1(VALU_DEP_2)
	v_cmp_eq_u32_e32 vcc_lo, 0, v4
	v_cndmask_b32_e32 v4, v5, v3, vcc_lo
; %bb.1456:
	s_or_b32 exec_lo, exec_lo, s0
	v_and_b32_e32 v3, 0x7f800000, v2
	flat_store_d16_hi_b16 v[7:8], v4 offset:32
	v_cmp_ne_u32_e32 vcc_lo, 0x7f800000, v3
                                        ; implicit-def: $vgpr3
	s_and_saveexec_b32 s0, vcc_lo
	s_delay_alu instid0(SALU_CYCLE_1)
	s_xor_b32 s0, exec_lo, s0
; %bb.1457:
	v_bfe_u32 v3, v2, 16, 1
	s_delay_alu instid0(VALU_DEP_1)
	v_add3_u32 v3, v2, v3, 0x7fff
; %bb.1458:
	s_and_not1_saveexec_b32 s0, s0
; %bb.1459:
	v_and_b32_e32 v3, 0xffff, v2
	v_or_b32_e32 v4, 0x10000, v2
	s_delay_alu instid0(VALU_DEP_2) | instskip(NEXT) | instid1(VALU_DEP_2)
	v_cmp_eq_u32_e32 vcc_lo, 0, v3
	v_cndmask_b32_e32 v3, v4, v2, vcc_lo
; %bb.1460:
	s_or_b32 exec_lo, exec_lo, s0
	v_and_b32_e32 v2, 0x7f800000, v1
	flat_store_d16_hi_b16 v[7:8], v3 offset:64
	v_cmp_ne_u32_e32 vcc_lo, 0x7f800000, v2
                                        ; implicit-def: $vgpr2
	s_and_saveexec_b32 s0, vcc_lo
	s_delay_alu instid0(SALU_CYCLE_1)
	s_xor_b32 s0, exec_lo, s0
; %bb.1461:
	v_bfe_u32 v2, v1, 16, 1
	s_delay_alu instid0(VALU_DEP_1)
	v_add3_u32 v2, v1, v2, 0x7fff
; %bb.1462:
	s_and_not1_saveexec_b32 s0, s0
; %bb.1463:
	v_and_b32_e32 v2, 0xffff, v1
	v_or_b32_e32 v3, 0x10000, v1
	s_delay_alu instid0(VALU_DEP_2) | instskip(NEXT) | instid1(VALU_DEP_2)
	v_cmp_eq_u32_e32 vcc_lo, 0, v2
	v_cndmask_b32_e32 v2, v3, v1, vcc_lo
; %bb.1464:
	s_or_b32 exec_lo, exec_lo, s0
	v_and_b32_e32 v1, 0x7f800000, v0
	flat_store_d16_hi_b16 v[7:8], v2 offset:96
	v_cmp_ne_u32_e32 vcc_lo, 0x7f800000, v1
                                        ; implicit-def: $vgpr1
	s_and_saveexec_b32 s0, vcc_lo
	s_delay_alu instid0(SALU_CYCLE_1)
	s_xor_b32 s0, exec_lo, s0
; %bb.1465:
	v_bfe_u32 v1, v0, 16, 1
	s_delay_alu instid0(VALU_DEP_1)
	v_add3_u32 v1, v0, v1, 0x7fff
; %bb.1466:
	s_and_not1_saveexec_b32 s0, s0
; %bb.1467:
	v_and_b32_e32 v1, 0xffff, v0
	v_or_b32_e32 v2, 0x10000, v0
	s_delay_alu instid0(VALU_DEP_2) | instskip(NEXT) | instid1(VALU_DEP_2)
	v_cmp_eq_u32_e32 vcc_lo, 0, v1
	v_cndmask_b32_e32 v1, v2, v0, vcc_lo
; %bb.1468:
	s_or_b32 exec_lo, exec_lo, s0
	v_and_b32_e32 v0, 0x7f800000, v6
	flat_store_d16_hi_b16 v[7:8], v1 offset:128
	v_cmp_ne_u32_e32 vcc_lo, 0x7f800000, v0
                                        ; implicit-def: $vgpr0
	s_and_saveexec_b32 s0, vcc_lo
	s_delay_alu instid0(SALU_CYCLE_1)
	s_xor_b32 s0, exec_lo, s0
; %bb.1469:
	v_bfe_u32 v0, v6, 16, 1
	s_delay_alu instid0(VALU_DEP_1)
	v_add3_u32 v0, v6, v0, 0x7fff
                                        ; implicit-def: $vgpr1_vgpr2_vgpr3_vgpr4_vgpr5_vgpr6
; %bb.1470:
	s_and_not1_saveexec_b32 s0, s0
; %bb.1471:
	v_and_b32_e32 v0, 0xffff, v6
	v_or_b32_e32 v1, 0x10000, v6
	s_delay_alu instid0(VALU_DEP_2) | instskip(NEXT) | instid1(VALU_DEP_2)
	v_cmp_eq_u32_e32 vcc_lo, 0, v0
	v_cndmask_b32_e32 v0, v1, v6, vcc_lo
; %bb.1472:
	s_or_b32 exec_lo, exec_lo, s0
	flat_store_d16_hi_b16 v[7:8], v0 offset:160
.LBB422_1473:
	s_or_b32 exec_lo, exec_lo, s5
	s_clause 0x1f
	scratch_load_b32 v105, off, s32
	scratch_load_b32 v104, off, s32 offset:4
	scratch_load_b32 v95, off, s32 offset:8
	;; [unrolled: 1-line block ×31, first 2 shown]
	s_clause 0x1
	scratch_load_b32 v41, off, s32 offset:128
	scratch_load_b32 v40, off, s32 offset:132
	s_waitcnt vmcnt(0) lgkmcnt(0)
	s_setpc_b64 s[30:31]
.LBB422_1474:
	v_lshl_add_u32 v11, v8, 2, v9
	ds_load_b32 v11, v11
	s_waitcnt lgkmcnt(0)
	v_add_f32_e32 v7, v7, v11
	s_or_b32 exec_lo, exec_lo, s0
	s_and_saveexec_b32 s0, vcc_lo
	s_cbranch_execz .LBB422_1429
.LBB422_1475:
	v_lshl_add_u32 v11, v8, 2, v9
	ds_load_b32 v11, v11 offset:64
	s_waitcnt lgkmcnt(0)
	v_add_f32_e32 v3, v3, v11
	s_or_b32 exec_lo, exec_lo, s0
	s_and_saveexec_b32 s0, vcc_lo
	s_cbranch_execz .LBB422_1430
.LBB422_1476:
	v_lshl_add_u32 v11, v8, 2, v9
	ds_load_b32 v11, v11 offset:128
	s_waitcnt lgkmcnt(0)
	v_add_f32_e32 v2, v2, v11
	s_or_b32 exec_lo, exec_lo, s0
	s_and_saveexec_b32 s0, vcc_lo
	s_cbranch_execz .LBB422_1431
.LBB422_1477:
	v_lshl_add_u32 v11, v8, 2, v9
	ds_load_b32 v11, v11 offset:192
	s_waitcnt lgkmcnt(0)
	v_add_f32_e32 v1, v1, v11
	s_or_b32 exec_lo, exec_lo, s0
	s_and_saveexec_b32 s0, vcc_lo
	s_cbranch_execz .LBB422_1432
.LBB422_1478:
	v_lshl_add_u32 v11, v8, 2, v9
	ds_load_b32 v11, v11 offset:256
	s_waitcnt lgkmcnt(0)
	v_add_f32_e32 v0, v0, v11
	s_or_b32 exec_lo, exec_lo, s0
	s_and_saveexec_b32 s0, vcc_lo
	s_cbranch_execnz .LBB422_1433
	s_branch .LBB422_1434
.LBB422_1479:
	ds_load_b32 v9, v8
	s_waitcnt lgkmcnt(0)
	v_add_f32_e32 v7, v7, v9
	s_or_b32 exec_lo, exec_lo, s3
	s_and_saveexec_b32 s3, vcc_lo
	s_cbranch_execz .LBB422_1440
.LBB422_1480:
	ds_load_b32 v9, v8 offset:64
	s_waitcnt lgkmcnt(0)
	v_add_f32_e32 v3, v3, v9
	s_or_b32 exec_lo, exec_lo, s3
	s_and_saveexec_b32 s3, vcc_lo
	s_cbranch_execz .LBB422_1441
.LBB422_1481:
	ds_load_b32 v9, v8 offset:128
	s_waitcnt lgkmcnt(0)
	v_add_f32_e32 v2, v2, v9
	s_or_b32 exec_lo, exec_lo, s3
	s_and_saveexec_b32 s3, vcc_lo
	s_cbranch_execz .LBB422_1442
.LBB422_1482:
	ds_load_b32 v9, v8 offset:192
	s_waitcnt lgkmcnt(0)
	v_add_f32_e32 v1, v1, v9
	s_or_b32 exec_lo, exec_lo, s3
	s_and_saveexec_b32 s3, vcc_lo
	s_cbranch_execz .LBB422_1443
.LBB422_1483:
	ds_load_b32 v9, v8 offset:256
	s_waitcnt lgkmcnt(0)
	v_add_f32_e32 v0, v0, v9
	s_or_b32 exec_lo, exec_lo, s3
	s_and_saveexec_b32 s3, vcc_lo
	s_cbranch_execnz .LBB422_1444
	s_branch .LBB422_1445
.Lfunc_end422:
	.size	_ZN4vllm22paged_attention_kernelI14__hip_bfloat16hLi96ELi16ELi128ELNS_18Fp8KVCacheDataTypeE1ELb0ELi512EEEvPfS3_PT_PKS4_PKT0_SA_ifPKiSC_iPKfiiiSE_SE_iiiii, .Lfunc_end422-_ZN4vllm22paged_attention_kernelI14__hip_bfloat16hLi96ELi16ELi128ELNS_18Fp8KVCacheDataTypeE1ELb0ELi512EEEvPfS3_PT_PKS4_PKT0_SA_ifPKiSC_iPKfiiiSE_SE_iiiii
                                        ; -- End function
	.section	.AMDGPU.csdata,"",@progbits
; Function info:
; codeLenInByte = 45000
; NumSgprs: 35
; NumVgprs: 184
; ScratchSize: 140
; MemoryBound: 0
	.section	.text._ZN4vllm25paged_attention_v2_kernelI14__hip_bfloat16hLi96ELi16ELi128ELNS_18Fp8KVCacheDataTypeE1ELb0ELi512EEEvPfS3_PT_PKS4_PKT0_SA_ifPKiSC_iPKfiiiSE_SE_iiiii,"axG",@progbits,_ZN4vllm25paged_attention_v2_kernelI14__hip_bfloat16hLi96ELi16ELi128ELNS_18Fp8KVCacheDataTypeE1ELb0ELi512EEEvPfS3_PT_PKS4_PKT0_SA_ifPKiSC_iPKfiiiSE_SE_iiiii,comdat
	.protected	_ZN4vllm25paged_attention_v2_kernelI14__hip_bfloat16hLi96ELi16ELi128ELNS_18Fp8KVCacheDataTypeE1ELb0ELi512EEEvPfS3_PT_PKS4_PKT0_SA_ifPKiSC_iPKfiiiSE_SE_iiiii ; -- Begin function _ZN4vllm25paged_attention_v2_kernelI14__hip_bfloat16hLi96ELi16ELi128ELNS_18Fp8KVCacheDataTypeE1ELb0ELi512EEEvPfS3_PT_PKS4_PKT0_SA_ifPKiSC_iPKfiiiSE_SE_iiiii
	.globl	_ZN4vllm25paged_attention_v2_kernelI14__hip_bfloat16hLi96ELi16ELi128ELNS_18Fp8KVCacheDataTypeE1ELb0ELi512EEEvPfS3_PT_PKS4_PKT0_SA_ifPKiSC_iPKfiiiSE_SE_iiiii
	.p2align	8
	.type	_ZN4vllm25paged_attention_v2_kernelI14__hip_bfloat16hLi96ELi16ELi128ELNS_18Fp8KVCacheDataTypeE1ELb0ELi512EEEvPfS3_PT_PKS4_PKT0_SA_ifPKiSC_iPKfiiiSE_SE_iiiii,@function
_ZN4vllm25paged_attention_v2_kernelI14__hip_bfloat16hLi96ELi16ELi128ELNS_18Fp8KVCacheDataTypeE1ELb0ELi512EEEvPfS3_PT_PKS4_PKT0_SA_ifPKiSC_iPKfiiiSE_SE_iiiii: ; @_ZN4vllm25paged_attention_v2_kernelI14__hip_bfloat16hLi96ELi16ELi128ELNS_18Fp8KVCacheDataTypeE1ELb0ELi512EEEvPfS3_PT_PKS4_PKT0_SA_ifPKiSC_iPKfiiiSE_SE_iiiii
; %bb.0:
	s_clause 0x5
	s_load_b256 s[24:31], s[0:1], 0x0
	s_load_b256 s[16:23], s[0:1], 0x20
	s_load_b64 s[2:3], s[0:1], 0x40
	s_load_b64 s[4:5], s[0:1], 0x50
	s_load_b32 s6, s[0:1], 0x48
	s_load_b256 s[36:43], s[0:1], 0x58
	v_mov_b32_e32 v31, v0
	s_add_u32 s8, s0, 0x90
	s_mov_b32 s12, s13
	s_addc_u32 s9, s1, 0
	s_mov_b32 s13, s14
	s_mov_b32 s14, s15
	;; [unrolled: 1-line block ×4, first 2 shown]
	s_getpc_b64 s[0:1]
	s_add_u32 s0, s0, _ZN4vllm22paged_attention_kernelI14__hip_bfloat16hLi96ELi16ELi128ELNS_18Fp8KVCacheDataTypeE1ELb0ELi512EEEvPfS3_PT_PKS4_PKT0_SA_ifPKiSC_iPKfiiiSE_SE_iiiii@rel32@lo+4
	s_addc_u32 s1, s1, _ZN4vllm22paged_attention_kernelI14__hip_bfloat16hLi96ELi16ELi128ELNS_18Fp8KVCacheDataTypeE1ELb0ELi512EEEvPfS3_PT_PKS4_PKT0_SA_ifPKiSC_iPKfiiiSE_SE_iiiii@rel32@hi+12
	s_waitcnt lgkmcnt(0)
	v_dual_mov_b32 v0, s24 :: v_dual_mov_b32 v1, s25
	v_dual_mov_b32 v2, s26 :: v_dual_mov_b32 v3, s27
	v_dual_mov_b32 v4, s28 :: v_dual_mov_b32 v5, s29
	v_dual_mov_b32 v6, s30 :: v_dual_mov_b32 v7, s31
	v_dual_mov_b32 v8, s16 :: v_dual_mov_b32 v9, s17
	v_dual_mov_b32 v10, s18 :: v_dual_mov_b32 v11, s19
	v_dual_mov_b32 v12, s20 :: v_dual_mov_b32 v13, s21
	v_dual_mov_b32 v14, s22 :: v_dual_mov_b32 v15, s23
	v_dual_mov_b32 v16, s2 :: v_dual_mov_b32 v17, s3
	v_dual_mov_b32 v18, s6 :: v_dual_mov_b32 v19, s4
	v_dual_mov_b32 v20, s5 :: v_dual_mov_b32 v21, s36
	v_dual_mov_b32 v22, s37 :: v_dual_mov_b32 v23, s38
	v_dual_mov_b32 v24, s40 :: v_dual_mov_b32 v25, s41
	v_dual_mov_b32 v26, s42 :: v_dual_mov_b32 v27, s43
	s_swappc_b64 s[30:31], s[0:1]
	s_endpgm
	.section	.rodata,"a",@progbits
	.p2align	6, 0x0
	.amdhsa_kernel _ZN4vllm25paged_attention_v2_kernelI14__hip_bfloat16hLi96ELi16ELi128ELNS_18Fp8KVCacheDataTypeE1ELb0ELi512EEEvPfS3_PT_PKS4_PKT0_SA_ifPKiSC_iPKfiiiSE_SE_iiiii
		.amdhsa_group_segment_fixed_size 224
		.amdhsa_private_segment_fixed_size 140
		.amdhsa_kernarg_size 400
		.amdhsa_user_sgpr_count 13
		.amdhsa_user_sgpr_dispatch_ptr 0
		.amdhsa_user_sgpr_queue_ptr 0
		.amdhsa_user_sgpr_kernarg_segment_ptr 1
		.amdhsa_user_sgpr_dispatch_id 0
		.amdhsa_user_sgpr_private_segment_size 0
		.amdhsa_wavefront_size32 1
		.amdhsa_uses_dynamic_stack 0
		.amdhsa_enable_private_segment 1
		.amdhsa_system_sgpr_workgroup_id_x 1
		.amdhsa_system_sgpr_workgroup_id_y 1
		.amdhsa_system_sgpr_workgroup_id_z 1
		.amdhsa_system_sgpr_workgroup_info 0
		.amdhsa_system_vgpr_workitem_id 0
		.amdhsa_next_free_vgpr 184
		.amdhsa_next_free_sgpr 44
		.amdhsa_reserve_vcc 1
		.amdhsa_float_round_mode_32 0
		.amdhsa_float_round_mode_16_64 0
		.amdhsa_float_denorm_mode_32 3
		.amdhsa_float_denorm_mode_16_64 3
		.amdhsa_dx10_clamp 1
		.amdhsa_ieee_mode 1
		.amdhsa_fp16_overflow 0
		.amdhsa_workgroup_processor_mode 1
		.amdhsa_memory_ordered 1
		.amdhsa_forward_progress 0
		.amdhsa_shared_vgpr_count 0
		.amdhsa_exception_fp_ieee_invalid_op 0
		.amdhsa_exception_fp_denorm_src 0
		.amdhsa_exception_fp_ieee_div_zero 0
		.amdhsa_exception_fp_ieee_overflow 0
		.amdhsa_exception_fp_ieee_underflow 0
		.amdhsa_exception_fp_ieee_inexact 0
		.amdhsa_exception_int_div_zero 0
	.end_amdhsa_kernel
	.section	.text._ZN4vllm25paged_attention_v2_kernelI14__hip_bfloat16hLi96ELi16ELi128ELNS_18Fp8KVCacheDataTypeE1ELb0ELi512EEEvPfS3_PT_PKS4_PKT0_SA_ifPKiSC_iPKfiiiSE_SE_iiiii,"axG",@progbits,_ZN4vllm25paged_attention_v2_kernelI14__hip_bfloat16hLi96ELi16ELi128ELNS_18Fp8KVCacheDataTypeE1ELb0ELi512EEEvPfS3_PT_PKS4_PKT0_SA_ifPKiSC_iPKfiiiSE_SE_iiiii,comdat
.Lfunc_end423:
	.size	_ZN4vllm25paged_attention_v2_kernelI14__hip_bfloat16hLi96ELi16ELi128ELNS_18Fp8KVCacheDataTypeE1ELb0ELi512EEEvPfS3_PT_PKS4_PKT0_SA_ifPKiSC_iPKfiiiSE_SE_iiiii, .Lfunc_end423-_ZN4vllm25paged_attention_v2_kernelI14__hip_bfloat16hLi96ELi16ELi128ELNS_18Fp8KVCacheDataTypeE1ELb0ELi512EEEvPfS3_PT_PKS4_PKT0_SA_ifPKiSC_iPKfiiiSE_SE_iiiii
                                        ; -- End function
	.section	.AMDGPU.csdata,"",@progbits
; Kernel info:
; codeLenInByte = 232
; NumSgprs: 46
; NumVgprs: 184
; ScratchSize: 140
; MemoryBound: 0
; FloatMode: 240
; IeeeMode: 1
; LDSByteSize: 224 bytes/workgroup (compile time only)
; SGPRBlocks: 5
; VGPRBlocks: 22
; NumSGPRsForWavesPerEU: 46
; NumVGPRsForWavesPerEU: 184
; Occupancy: 8
; WaveLimiterHint : 1
; COMPUTE_PGM_RSRC2:SCRATCH_EN: 1
; COMPUTE_PGM_RSRC2:USER_SGPR: 13
; COMPUTE_PGM_RSRC2:TRAP_HANDLER: 0
; COMPUTE_PGM_RSRC2:TGID_X_EN: 1
; COMPUTE_PGM_RSRC2:TGID_Y_EN: 1
; COMPUTE_PGM_RSRC2:TGID_Z_EN: 1
; COMPUTE_PGM_RSRC2:TIDIG_COMP_CNT: 0
	.text
	.p2align	2                               ; -- Begin function _ZN4vllm22paged_attention_kernelI14__hip_bfloat16hLi112ELi16ELi128ELNS_18Fp8KVCacheDataTypeE1ELb0ELi512EEEvPfS3_PT_PKS4_PKT0_SA_ifPKiSC_iPKfiiiSE_SE_iiiii
	.type	_ZN4vllm22paged_attention_kernelI14__hip_bfloat16hLi112ELi16ELi128ELNS_18Fp8KVCacheDataTypeE1ELb0ELi512EEEvPfS3_PT_PKS4_PKT0_SA_ifPKiSC_iPKfiiiSE_SE_iiiii,@function
_ZN4vllm22paged_attention_kernelI14__hip_bfloat16hLi112ELi16ELi128ELNS_18Fp8KVCacheDataTypeE1ELb0ELi512EEEvPfS3_PT_PKS4_PKT0_SA_ifPKiSC_iPKfiiiSE_SE_iiiii: ; @_ZN4vllm22paged_attention_kernelI14__hip_bfloat16hLi112ELi16ELi128ELNS_18Fp8KVCacheDataTypeE1ELb0ELi512EEEvPfS3_PT_PKS4_PKT0_SA_ifPKiSC_iPKfiiiSE_SE_iiiii
; %bb.0:
	s_waitcnt vmcnt(0) expcnt(0) lgkmcnt(0)
	s_clause 0x1f
	scratch_store_b32 off, v40, s32 offset:196
	; meta instruction
	scratch_store_b32 off, v41, s32 offset:192
	; meta instruction
	;; [unrolled: 2-line block ×31, first 2 shown]
	scratch_store_b32 off, v95, s32 offset:72
	s_clause 0x11
	scratch_store_b32 off, v104, s32 offset:68
	; meta instruction
	scratch_store_b32 off, v105, s32 offset:64
	; meta instruction
	;; [unrolled: 2-line block ×17, first 2 shown]
	scratch_store_b32 off, v137, s32
	s_mov_b32 s4, s13
	s_ashr_i32 s5, s13, 31
	s_lshl_b32 s17, s14, 9
	s_lshl_b64 s[0:1], s[4:5], 2
	s_mov_b32 s5, exec_lo
	v_add_co_u32 v16, vcc_lo, v16, s0
	v_add_co_ci_u32_e32 v17, vcc_lo, s1, v17, vcc_lo
	flat_load_b32 v33, v[16:17]
	s_waitcnt vmcnt(0) lgkmcnt(0)
	v_cmpx_lt_i32_e64 s17, v33
	s_cbranch_execz .LBB424_1705
; %bb.1:
	v_sub_nc_u32_e32 v16, 0, v12
	s_clause 0x1
	s_load_b32 s0, s[8:9], 0x10
	s_load_b32 s1, s[8:9], 0x0
	s_mov_b32 s10, s15
	v_mov_b32_e32 v48, 0
	v_max_i32_e32 v16, v12, v16
	s_delay_alu instid0(VALU_DEP_1) | instskip(SKIP_1) | instid1(VALU_DEP_2)
	v_cvt_f32_u32_e32 v17, v16
	v_sub_nc_u32_e32 v28, 0, v16
	v_rcp_iflag_f32_e32 v17, v17
	s_waitcnt lgkmcnt(0)
	s_lshr_b32 s0, s0, 16
	s_delay_alu instid0(SALU_CYCLE_1) | instskip(SKIP_3) | instid1(SALU_CYCLE_1)
	s_cmp_lg_u32 s0, 0
	s_waitcnt_depctr 0xfff
	v_mul_f32_e32 v17, 0x4f7ffffe, v17
	s_cselect_b32 s0, -1, 0
	s_cmp_lg_u32 s0, 0
	s_delay_alu instid0(VALU_DEP_1)
	v_cvt_u32_f32_e32 v17, v17
	s_addc_u32 s16, s1, 0
	s_mov_b32 s1, exec_lo
	s_abs_i32 s0, s16
	v_xor_b32_e32 v12, s16, v12
	v_mul_lo_u32 v28, v28, v17
	s_delay_alu instid0(VALU_DEP_2) | instskip(NEXT) | instid1(VALU_DEP_2)
	v_ashrrev_i32_e32 v12, 31, v12
	v_mul_hi_u32 v28, v17, v28
	s_delay_alu instid0(VALU_DEP_1) | instskip(NEXT) | instid1(VALU_DEP_1)
	v_add_nc_u32_e32 v17, v17, v28
	v_mul_hi_u32 v17, s0, v17
	s_delay_alu instid0(VALU_DEP_1) | instskip(SKIP_1) | instid1(VALU_DEP_2)
	v_mul_lo_u32 v28, v17, v16
	v_add_nc_u32_e32 v29, 1, v17
	v_sub_nc_u32_e32 v28, s0, v28
	s_abs_i32 s0, s12
	s_delay_alu instid0(VALU_DEP_1) | instskip(SKIP_1) | instid1(VALU_DEP_2)
	v_sub_nc_u32_e32 v30, v28, v16
	v_cmp_ge_u32_e32 vcc_lo, v28, v16
	v_dual_cndmask_b32 v17, v17, v29 :: v_dual_cndmask_b32 v28, v28, v30
	s_delay_alu instid0(VALU_DEP_1) | instskip(NEXT) | instid1(VALU_DEP_2)
	v_add_nc_u32_e32 v29, 1, v17
	v_cmp_ge_u32_e32 vcc_lo, v28, v16
	s_delay_alu instid0(VALU_DEP_2) | instskip(NEXT) | instid1(VALU_DEP_1)
	v_cndmask_b32_e32 v16, v17, v29, vcc_lo
	v_xor_b32_e32 v16, v16, v12
	s_delay_alu instid0(VALU_DEP_1) | instskip(NEXT) | instid1(VALU_DEP_1)
	v_sub_nc_u32_e32 v12, v16, v12
	v_sub_nc_u32_e32 v16, 0, v12
	s_delay_alu instid0(VALU_DEP_1) | instskip(NEXT) | instid1(VALU_DEP_1)
	v_max_i32_e32 v28, v12, v16
	v_cvt_f32_u32_e32 v16, v28
	v_sub_nc_u32_e32 v17, 0, v28
	s_delay_alu instid0(VALU_DEP_2) | instskip(SKIP_2) | instid1(VALU_DEP_1)
	v_rcp_iflag_f32_e32 v16, v16
	s_waitcnt_depctr 0xfff
	v_mul_f32_e32 v16, 0x4f7ffffe, v16
	v_cvt_u32_f32_e32 v16, v16
	s_delay_alu instid0(VALU_DEP_1) | instskip(NEXT) | instid1(VALU_DEP_1)
	v_mul_lo_u32 v17, v17, v16
	v_mul_hi_u32 v17, v16, v17
	s_delay_alu instid0(VALU_DEP_1) | instskip(NEXT) | instid1(VALU_DEP_1)
	v_add_nc_u32_e32 v29, v16, v17
	v_mad_u64_u32 v[16:17], null, s0, v29, 0
	v_cmpx_ne_u64_e32 0, v[19:20]
	s_cbranch_execz .LBB424_3
; %bb.2:
	s_ashr_i32 s13, s12, 31
	s_delay_alu instid0(SALU_CYCLE_1) | instskip(NEXT) | instid1(SALU_CYCLE_1)
	s_lshl_b64 s[2:3], s[12:13], 2
	v_add_co_u32 v19, vcc_lo, v19, s2
	v_add_co_ci_u32_e32 v20, vcc_lo, s3, v20, vcc_lo
	flat_load_b32 v48, v[19:20]
.LBB424_3:
	s_or_b32 exec_lo, exec_lo, s1
	v_and_b32_e32 v31, 0x3ff, v31
	v_ashrrev_i32_e32 v16, 31, v12
	s_ashr_i32 s1, s12, 31
	s_mul_i32 s6, s12, 0x70
	s_mov_b32 s2, exec_lo
	v_lshrrev_b32_e32 v30, 1, v31
	v_and_b32_e32 v32, 1, v31
	v_lshlrev_b32_e32 v12, 3, v31
	v_cmpx_gt_u32_e32 28, v31
	s_cbranch_execz .LBB424_5
; %bb.4:
	v_mul_lo_u32 v19, s4, v21
	s_ashr_i32 s7, s6, 31
	s_delay_alu instid0(SALU_CYCLE_1) | instskip(NEXT) | instid1(VALU_DEP_1)
	s_lshl_b64 s[18:19], s[6:7], 1
	v_ashrrev_i32_e32 v20, 31, v19
	s_delay_alu instid0(VALU_DEP_1) | instskip(NEXT) | instid1(VALU_DEP_1)
	v_lshlrev_b64 v[19:20], 1, v[19:20]
	v_add_co_u32 v6, vcc_lo, v6, v19
	s_delay_alu instid0(VALU_DEP_2) | instskip(SKIP_1) | instid1(VALU_DEP_3)
	v_add_co_ci_u32_e32 v7, vcc_lo, v7, v20, vcc_lo
	v_lshlrev_b32_e32 v19, 3, v30
	v_add_co_u32 v6, vcc_lo, v6, s18
	s_delay_alu instid0(VALU_DEP_3) | instskip(NEXT) | instid1(VALU_DEP_3)
	v_add_co_ci_u32_e32 v7, vcc_lo, s19, v7, vcc_lo
	v_mad_u32_u24 v19, 0x70, v32, v19
	s_delay_alu instid0(VALU_DEP_3) | instskip(NEXT) | instid1(VALU_DEP_3)
	v_add_co_u32 v6, vcc_lo, v6, v12
	v_add_co_ci_u32_e32 v7, vcc_lo, 0, v7, vcc_lo
	flat_load_b64 v[6:7], v[6:7]
	s_waitcnt vmcnt(0) lgkmcnt(0)
	ds_store_b64 v19, v[6:7]
.LBB424_5:
	s_or_b32 exec_lo, exec_lo, s2
	v_mul_lo_u32 v6, v17, v28
	v_add_nc_u32_e32 v7, 15, v33
	v_add_nc_u32_e32 v20, 1, v17
	v_lshrrev_b32_e32 v34, 5, v31
	s_lshl_b32 s13, s14, 5
	v_mbcnt_lo_u32_b32 v39, -1, 0
	v_ashrrev_i32_e32 v19, 31, v7
	s_waitcnt vmcnt(0) lgkmcnt(0)
	s_waitcnt_vscnt null, 0x0
	v_sub_nc_u32_e32 v6, s0, v6
	s_add_i32 s0, s13, 32
	s_barrier
	v_lshrrev_b32_e32 v19, 28, v19
	buffer_gl0_inv
	v_sub_nc_u32_e32 v21, v6, v28
	v_cmp_ge_u32_e32 vcc_lo, v6, v28
                                        ; implicit-def: $vgpr49
	v_add_nc_u32_e32 v7, v7, v19
	v_cndmask_b32_e32 v17, v17, v20, vcc_lo
	s_delay_alu instid0(VALU_DEP_4) | instskip(SKIP_1) | instid1(VALU_DEP_4)
	v_cndmask_b32_e32 v19, v6, v21, vcc_lo
	v_xor_b32_e32 v21, s1, v16
	v_ashrrev_i32_e32 v36, 4, v7
	v_mul_lo_u32 v6, s4, v18
	v_add_nc_u32_e32 v20, 1, v17
	v_cmp_ge_u32_e32 vcc_lo, v19, v28
	v_or_b32_e32 v16, s13, v34
	v_min_i32_e32 v35, s0, v36
                                        ; implicit-def: $sgpr1
	s_delay_alu instid0(VALU_DEP_4) | instskip(NEXT) | instid1(VALU_DEP_2)
	v_cndmask_b32_e32 v7, v17, v20, vcc_lo
	v_cmp_ge_i32_e64 s0, v16, v35
	s_delay_alu instid0(VALU_DEP_2) | instskip(SKIP_1) | instid1(VALU_DEP_2)
	v_xor_b32_e32 v17, v7, v21
	v_ashrrev_i32_e32 v7, 31, v6
	v_sub_nc_u32_e32 v17, v17, v21
	s_delay_alu instid0(VALU_DEP_4) | instskip(NEXT) | instid1(SALU_CYCLE_1)
	s_and_saveexec_b32 s2, s0
	s_xor_b32 s2, exec_lo, s2
; %bb.6:
	v_mbcnt_lo_u32_b32 v39, -1, 0
	v_mov_b32_e32 v49, 32
	s_mov_b32 s1, 0xff7fffff
                                        ; implicit-def: $vgpr48
                                        ; implicit-def: $vgpr13
                                        ; implicit-def: $vgpr24
                                        ; implicit-def: $vgpr8
                                        ; implicit-def: $vgpr9
; %bb.7:
	s_or_saveexec_b32 s15, s2
	s_clause 0x1
	s_load_b32 s18, s[8:9], 0x14
	s_load_b32 s7, s[8:9], 0x8
	v_mul_lo_u32 v37, v17, v23
	v_lshlrev_b64 v[6:7], 2, v[6:7]
	v_mov_b32_e32 v150, s1
	v_ashrrev_i32_e32 v17, 31, v16
	s_delay_alu instid0(VALU_DEP_4)
	v_ashrrev_i32_e32 v38, 31, v37
	s_xor_b32 exec_lo, exec_lo, s15
	s_cbranch_execz .LBB424_685
; %bb.8:
	v_mul_u32_u24_e32 v20, 0x70, v32
	v_bfe_u32 v28, v31, 1, 4
	v_add_co_u32 v8, vcc_lo, v8, v37
	v_add_co_ci_u32_e32 v19, vcc_lo, v9, v38, vcc_lo
	ds_load_b128 v[64:67], v20
	ds_load_b128 v[80:83], v20 offset:16
	v_dual_mov_b32 v9, 0 :: v_dual_lshlrev_b32 v18, 4, v28
	ds_load_b128 v[96:99], v20 offset:32
	ds_load_b128 v[112:115], v20 offset:48
	;; [unrolled: 1-line block ×5, first 2 shown]
	v_add_co_u32 v18, vcc_lo, v8, v18
	v_xor_b32_e32 v8, 1, v39
	v_add_co_ci_u32_e32 v19, vcc_lo, 0, v19, vcc_lo
	v_lshlrev_b64 v[20:21], 2, v[16:17]
	v_lshlrev_b32_e32 v29, 4, v34
	s_delay_alu instid0(VALU_DEP_4)
	v_cmp_gt_i32_e32 vcc_lo, 32, v8
	v_lshlrev_b32_e32 v150, 2, v28
	s_ashr_i32 s11, s10, 31
	v_lshlrev_b32_e32 v23, 2, v32
	v_mov_b32_e32 v49, 32
	s_waitcnt lgkmcnt(0)
	v_dual_cndmask_b32 v8, v39, v8 :: v_dual_and_b32 v53, 0xffff0000, v65
	v_lshlrev_b32_e32 v50, 16, v64
	v_and_b32_e32 v51, 0xffff0000, v64
	v_dual_mov_b32 v167, v16 :: v_dual_lshlrev_b32 v52, 16, v65
	s_delay_alu instid0(VALU_DEP_4) | instskip(SKIP_1) | instid1(VALU_DEP_1)
	v_lshlrev_b32_e32 v149, 2, v8
	v_add_co_u32 v8, s2, v6, v20
	v_add_co_ci_u32_e64 v21, s2, v7, v21, s2
	v_lshlrev_b32_e32 v54, 16, v66
	s_delay_alu instid0(VALU_DEP_3)
	v_add_co_u32 v20, s2, v14, v8
	v_and_b32_e32 v55, 0xffff0000, v66
	v_lshlrev_b32_e32 v64, 16, v67
	v_and_b32_e32 v65, 0xffff0000, v67
	v_lshlrev_b32_e32 v66, 16, v80
	;; [unrolled: 2-line block ×23, first 2 shown]
	v_cmp_eq_u32_e32 vcc_lo, 0, v32
	v_cmp_neq_f32_e64 s1, 0, v48
	v_and_b32_e32 v151, 0xffff0000, v161
	v_lshlrev_b32_e32 v160, 16, v162
	v_and_b32_e32 v161, 0xffff0000, v162
	v_lshlrev_b32_e32 v162, 16, v163
	v_and_b32_e32 v163, 0xffff0000, v163
	s_lshl_b64 s[8:9], s[10:11], 2
	v_add_co_ci_u32_e64 v21, s2, v15, v21, s2
	v_sub_nc_u32_e32 v164, 1, v33
	v_add3_u32 v165, s17, v29, v28
	v_lshl_or_b32 v166, v34, 6, v150
	v_mov_b32_e32 v150, 0xff7fffff
	s_getpc_b64 s[20:21]
	s_add_u32 s20, s20, llvm.amdgcn.dynlds.offset.table@rel32@lo+4
	s_addc_u32 s21, s21, llvm.amdgcn.dynlds.offset.table@rel32@hi+12
	s_add_u32 s8, s8, s20
	s_mov_b32 s11, 0
	s_addc_u32 s9, s9, s21
	s_branch .LBB424_10
.LBB424_9:                              ;   in Loop: Header=BB424_10 Depth=1
	s_or_b32 exec_lo, exec_lo, s3
	v_add_nc_u32_e32 v167, 4, v167
	v_add_co_u32 v20, s3, v20, 16
	s_delay_alu instid0(VALU_DEP_1) | instskip(NEXT) | instid1(VALU_DEP_3)
	v_add_co_ci_u32_e64 v21, s3, 0, v21, s3
	v_cmp_ge_i32_e64 s2, v167, v35
	v_add_nc_u32_e32 v165, 64, v165
	v_add_nc_u32_e32 v166, 0x100, v166
	s_delay_alu instid0(VALU_DEP_3) | instskip(NEXT) | instid1(SALU_CYCLE_1)
	s_or_b32 s11, s2, s11
	s_and_not1_b32 exec_lo, exec_lo, s11
	s_cbranch_execz .LBB424_684
.LBB424_10:                             ; =>This Inner Loop Header: Depth=1
	flat_load_b32 v8, v[20:21]
	s_mov_b32 s3, exec_lo
	s_waitcnt vmcnt(0) lgkmcnt(0)
	v_mad_i64_i32 v[28:29], null, v8, v22, v[18:19]
	v_mov_b32_e32 v8, 0
	s_delay_alu instid0(VALU_DEP_2) | instskip(NEXT) | instid1(VALU_DEP_1)
	v_add_co_u32 v28, s2, v28, v23
	v_add_co_ci_u32_e64 v29, s2, 0, v29, s2
	flat_load_b32 v180, v[28:29]
	flat_load_b32 v177, v[24:25]
	s_waitcnt vmcnt(1) lgkmcnt(1)
	v_and_b32_e32 v176, 0xff, v180
	s_delay_alu instid0(VALU_DEP_1)
	v_cmpx_ne_u16_e64 0, v176
	s_cbranch_execz .LBB424_18
; %bb.11:                               ;   in Loop: Header=BB424_10 Depth=1
	v_bfrev_b32_e32 v8, 1
	s_mov_b32 s19, exec_lo
	v_cmpx_ne_u16_e64 0x80, v176
	s_cbranch_execz .LBB424_17
; %bb.12:                               ;   in Loop: Header=BB424_10 Depth=1
	v_and_b32_e32 v178, 0x7f, v180
	v_mov_b32_e32 v8, 0x7f800001
	s_mov_b32 s20, exec_lo
	s_delay_alu instid0(VALU_DEP_2)
	v_cmpx_ne_u32_e32 0x7f, v178
	s_cbranch_execz .LBB424_16
; %bb.13:                               ;   in Loop: Header=BB424_10 Depth=1
	v_and_b32_e32 v8, 7, v180
	v_lshrrev_b32_e32 v176, 3, v178
	s_mov_b32 s21, exec_lo
	v_cmpx_gt_u32_e32 8, v178
; %bb.14:                               ;   in Loop: Header=BB424_10 Depth=1
	s_delay_alu instid0(VALU_DEP_3) | instskip(NEXT) | instid1(VALU_DEP_1)
	v_clz_i32_u32_e32 v176, v8
	v_min_u32_e32 v176, 32, v176
	s_delay_alu instid0(VALU_DEP_1) | instskip(SKIP_1) | instid1(VALU_DEP_2)
	v_subrev_nc_u32_e32 v178, 28, v176
	v_sub_nc_u32_e32 v176, 29, v176
	v_lshlrev_b64 v[178:179], v178, v[8:9]
	s_delay_alu instid0(VALU_DEP_1)
	v_and_b32_e32 v8, 7, v178
; %bb.15:                               ;   in Loop: Header=BB424_10 Depth=1
	s_or_b32 exec_lo, exec_lo, s21
	v_lshlrev_b32_e32 v178, 24, v180
	s_delay_alu instid0(VALU_DEP_2) | instskip(SKIP_1) | instid1(VALU_DEP_3)
	v_lshlrev_b32_e32 v8, 20, v8
	v_lshl_add_u32 v176, v176, 23, 0x3c000000
	v_and_b32_e32 v178, 0x80000000, v178
	s_delay_alu instid0(VALU_DEP_1)
	v_or3_b32 v8, v8, v178, v176
.LBB424_16:                             ;   in Loop: Header=BB424_10 Depth=1
	s_or_b32 exec_lo, exec_lo, s20
.LBB424_17:                             ;   in Loop: Header=BB424_10 Depth=1
	s_delay_alu instid0(SALU_CYCLE_1)
	s_or_b32 exec_lo, exec_lo, s19
.LBB424_18:                             ;   in Loop: Header=BB424_10 Depth=1
	s_delay_alu instid0(SALU_CYCLE_1) | instskip(SKIP_2) | instid1(VALU_DEP_1)
	s_or_b32 exec_lo, exec_lo, s3
	s_waitcnt vmcnt(0) lgkmcnt(0)
	v_mul_f32_e32 v8, v177, v8
	v_and_b32_e32 v176, 0x7f800000, v8
	s_delay_alu instid0(VALU_DEP_1) | instskip(NEXT) | instid1(VALU_DEP_1)
	v_cmp_ne_u32_e64 s2, 0x7f800000, v176
                                        ; implicit-def: $vgpr176
	s_and_saveexec_b32 s3, s2
	s_delay_alu instid0(SALU_CYCLE_1)
	s_xor_b32 s2, exec_lo, s3
; %bb.19:                               ;   in Loop: Header=BB424_10 Depth=1
	v_bfe_u32 v176, v8, 16, 1
	s_delay_alu instid0(VALU_DEP_1)
	v_add3_u32 v176, v8, v176, 0x7fff
                                        ; implicit-def: $vgpr8
; %bb.20:                               ;   in Loop: Header=BB424_10 Depth=1
	s_and_not1_saveexec_b32 s3, s2
; %bb.21:                               ;   in Loop: Header=BB424_10 Depth=1
	v_and_b32_e32 v176, 0xffff, v8
	v_or_b32_e32 v178, 0x10000, v8
	s_delay_alu instid0(VALU_DEP_2) | instskip(NEXT) | instid1(VALU_DEP_1)
	v_cmp_eq_u32_e64 s2, 0, v176
	v_cndmask_b32_e64 v176, v178, v8, s2
; %bb.22:                               ;   in Loop: Header=BB424_10 Depth=1
	s_or_b32 exec_lo, exec_lo, s3
	v_lshrrev_b16 v178, 8, v180
	v_mov_b32_e32 v8, 0
	s_mov_b32 s3, exec_lo
	s_delay_alu instid0(VALU_DEP_2)
	v_cmpx_ne_u16_e64 0, v178
	s_cbranch_execz .LBB424_30
; %bb.23:                               ;   in Loop: Header=BB424_10 Depth=1
	v_bfrev_b32_e32 v8, 1
	s_mov_b32 s19, exec_lo
	v_cmpx_ne_u16_e64 0x80, v178
	s_cbranch_execz .LBB424_29
; %bb.24:                               ;   in Loop: Header=BB424_10 Depth=1
	v_and_b32_e32 v178, 0xffff, v178
	v_mov_b32_e32 v8, 0x7f800001
	s_mov_b32 s20, exec_lo
	s_delay_alu instid0(VALU_DEP_2) | instskip(NEXT) | instid1(VALU_DEP_1)
	v_and_b32_e32 v179, 0x7f, v178
	v_cmpx_ne_u32_e32 0x7f, v179
	s_cbranch_execz .LBB424_28
; %bb.25:                               ;   in Loop: Header=BB424_10 Depth=1
	v_and_b32_e32 v8, 7, v178
	v_lshrrev_b32_e32 v178, 3, v179
	s_mov_b32 s21, exec_lo
	v_cmpx_gt_u32_e32 8, v179
; %bb.26:                               ;   in Loop: Header=BB424_10 Depth=1
	s_delay_alu instid0(VALU_DEP_3) | instskip(NEXT) | instid1(VALU_DEP_1)
	v_clz_i32_u32_e32 v178, v8
	v_min_u32_e32 v178, 32, v178
	s_delay_alu instid0(VALU_DEP_1) | instskip(SKIP_1) | instid1(VALU_DEP_2)
	v_subrev_nc_u32_e32 v179, 28, v178
	v_sub_nc_u32_e32 v178, 29, v178
	v_lshlrev_b64 v[181:182], v179, v[8:9]
	s_delay_alu instid0(VALU_DEP_1)
	v_and_b32_e32 v8, 7, v181
; %bb.27:                               ;   in Loop: Header=BB424_10 Depth=1
	s_or_b32 exec_lo, exec_lo, s21
	v_lshlrev_b32_e32 v179, 16, v180
	s_delay_alu instid0(VALU_DEP_2) | instskip(SKIP_1) | instid1(VALU_DEP_3)
	v_lshlrev_b32_e32 v8, 20, v8
	v_lshl_add_u32 v178, v178, 23, 0x3c000000
	v_and_b32_e32 v179, 0x80000000, v179
	s_delay_alu instid0(VALU_DEP_1)
	v_or3_b32 v8, v8, v179, v178
.LBB424_28:                             ;   in Loop: Header=BB424_10 Depth=1
	s_or_b32 exec_lo, exec_lo, s20
.LBB424_29:                             ;   in Loop: Header=BB424_10 Depth=1
	s_delay_alu instid0(SALU_CYCLE_1)
	s_or_b32 exec_lo, exec_lo, s19
.LBB424_30:                             ;   in Loop: Header=BB424_10 Depth=1
	s_delay_alu instid0(SALU_CYCLE_1) | instskip(NEXT) | instid1(VALU_DEP_1)
	s_or_b32 exec_lo, exec_lo, s3
	v_mul_f32_e32 v8, v177, v8
	s_delay_alu instid0(VALU_DEP_1) | instskip(NEXT) | instid1(VALU_DEP_1)
	v_and_b32_e32 v178, 0x7f800000, v8
	v_cmp_ne_u32_e64 s2, 0x7f800000, v178
                                        ; implicit-def: $vgpr178
	s_delay_alu instid0(VALU_DEP_1) | instskip(NEXT) | instid1(SALU_CYCLE_1)
	s_and_saveexec_b32 s3, s2
	s_xor_b32 s2, exec_lo, s3
; %bb.31:                               ;   in Loop: Header=BB424_10 Depth=1
	v_bfe_u32 v178, v8, 16, 1
	s_delay_alu instid0(VALU_DEP_1)
	v_add3_u32 v178, v8, v178, 0x7fff
                                        ; implicit-def: $vgpr8
; %bb.32:                               ;   in Loop: Header=BB424_10 Depth=1
	s_and_not1_saveexec_b32 s3, s2
; %bb.33:                               ;   in Loop: Header=BB424_10 Depth=1
	v_and_b32_e32 v178, 0xffff, v8
	v_or_b32_e32 v179, 0x10000, v8
	s_delay_alu instid0(VALU_DEP_2) | instskip(NEXT) | instid1(VALU_DEP_1)
	v_cmp_eq_u32_e64 s2, 0, v178
	v_cndmask_b32_e64 v178, v179, v8, s2
; %bb.34:                               ;   in Loop: Header=BB424_10 Depth=1
	s_or_b32 exec_lo, exec_lo, s3
	v_lshrrev_b32_e32 v179, 16, v180
	s_mov_b32 s3, exec_lo
	s_delay_alu instid0(VALU_DEP_1) | instskip(NEXT) | instid1(VALU_DEP_1)
	v_dual_mov_b32 v8, 0 :: v_dual_and_b32 v181, 0xff, v179
	v_cmpx_ne_u16_e64 0, v181
	s_cbranch_execz .LBB424_42
; %bb.35:                               ;   in Loop: Header=BB424_10 Depth=1
	v_bfrev_b32_e32 v8, 1
	s_mov_b32 s19, exec_lo
	v_cmpx_ne_u16_e64 0x80, v181
	s_cbranch_execz .LBB424_41
; %bb.36:                               ;   in Loop: Header=BB424_10 Depth=1
	v_bfe_u32 v182, v180, 16, 7
	v_mov_b32_e32 v8, 0x7f800001
	s_mov_b32 s20, exec_lo
	s_delay_alu instid0(VALU_DEP_2)
	v_cmpx_ne_u32_e32 0x7f, v182
	s_cbranch_execz .LBB424_40
; %bb.37:                               ;   in Loop: Header=BB424_10 Depth=1
	v_and_b32_e32 v8, 7, v179
	v_lshrrev_b32_e32 v181, 3, v182
	s_mov_b32 s21, exec_lo
	v_cmpx_gt_u32_e32 8, v182
; %bb.38:                               ;   in Loop: Header=BB424_10 Depth=1
	s_delay_alu instid0(VALU_DEP_3) | instskip(NEXT) | instid1(VALU_DEP_1)
	v_clz_i32_u32_e32 v181, v8
	v_min_u32_e32 v181, 32, v181
	s_delay_alu instid0(VALU_DEP_1) | instskip(SKIP_1) | instid1(VALU_DEP_2)
	v_subrev_nc_u32_e32 v182, 28, v181
	v_sub_nc_u32_e32 v181, 29, v181
	v_lshlrev_b64 v[182:183], v182, v[8:9]
	s_delay_alu instid0(VALU_DEP_1)
	v_and_b32_e32 v8, 7, v182
; %bb.39:                               ;   in Loop: Header=BB424_10 Depth=1
	s_or_b32 exec_lo, exec_lo, s21
	v_lshlrev_b32_e32 v179, 24, v179
	s_delay_alu instid0(VALU_DEP_2) | instskip(SKIP_1) | instid1(VALU_DEP_3)
	v_lshlrev_b32_e32 v8, 20, v8
	v_lshl_add_u32 v181, v181, 23, 0x3c000000
	v_and_b32_e32 v179, 0x80000000, v179
	s_delay_alu instid0(VALU_DEP_1)
	v_or3_b32 v8, v8, v179, v181
.LBB424_40:                             ;   in Loop: Header=BB424_10 Depth=1
	s_or_b32 exec_lo, exec_lo, s20
.LBB424_41:                             ;   in Loop: Header=BB424_10 Depth=1
	s_delay_alu instid0(SALU_CYCLE_1)
	s_or_b32 exec_lo, exec_lo, s19
.LBB424_42:                             ;   in Loop: Header=BB424_10 Depth=1
	s_delay_alu instid0(SALU_CYCLE_1) | instskip(NEXT) | instid1(VALU_DEP_1)
	s_or_b32 exec_lo, exec_lo, s3
	v_mul_f32_e32 v8, v177, v8
	s_delay_alu instid0(VALU_DEP_1) | instskip(NEXT) | instid1(VALU_DEP_1)
	v_and_b32_e32 v179, 0x7f800000, v8
	v_cmp_ne_u32_e64 s2, 0x7f800000, v179
                                        ; implicit-def: $vgpr179
	s_delay_alu instid0(VALU_DEP_1) | instskip(NEXT) | instid1(SALU_CYCLE_1)
	s_and_saveexec_b32 s3, s2
	s_xor_b32 s2, exec_lo, s3
; %bb.43:                               ;   in Loop: Header=BB424_10 Depth=1
	v_bfe_u32 v179, v8, 16, 1
	s_delay_alu instid0(VALU_DEP_1)
	v_add3_u32 v179, v8, v179, 0x7fff
                                        ; implicit-def: $vgpr8
; %bb.44:                               ;   in Loop: Header=BB424_10 Depth=1
	s_and_not1_saveexec_b32 s3, s2
; %bb.45:                               ;   in Loop: Header=BB424_10 Depth=1
	v_and_b32_e32 v179, 0xffff, v8
	v_or_b32_e32 v181, 0x10000, v8
	s_delay_alu instid0(VALU_DEP_2) | instskip(NEXT) | instid1(VALU_DEP_1)
	v_cmp_eq_u32_e64 s2, 0, v179
	v_cndmask_b32_e64 v179, v181, v8, s2
; %bb.46:                               ;   in Loop: Header=BB424_10 Depth=1
	s_or_b32 exec_lo, exec_lo, s3
	v_mov_b32_e32 v8, 0
	s_mov_b32 s3, exec_lo
	v_cmpx_lt_u32_e32 0xffffff, v180
	s_cbranch_execz .LBB424_54
; %bb.47:                               ;   in Loop: Header=BB424_10 Depth=1
	v_lshrrev_b32_e32 v181, 24, v180
	v_bfrev_b32_e32 v8, 1
	s_mov_b32 s19, exec_lo
	s_delay_alu instid0(VALU_DEP_2)
	v_cmpx_ne_u32_e32 0x80, v181
	s_cbranch_execz .LBB424_53
; %bb.48:                               ;   in Loop: Header=BB424_10 Depth=1
	v_bfe_u32 v182, v180, 24, 7
	v_mov_b32_e32 v8, 0x7f800001
	s_mov_b32 s20, exec_lo
	s_delay_alu instid0(VALU_DEP_2)
	v_cmpx_ne_u32_e32 0x7f, v182
	s_cbranch_execz .LBB424_52
; %bb.49:                               ;   in Loop: Header=BB424_10 Depth=1
	v_and_b32_e32 v8, 7, v181
	v_lshrrev_b32_e32 v180, 3, v182
	s_mov_b32 s21, exec_lo
	v_cmpx_gt_u32_e32 8, v182
; %bb.50:                               ;   in Loop: Header=BB424_10 Depth=1
	s_delay_alu instid0(VALU_DEP_3) | instskip(NEXT) | instid1(VALU_DEP_1)
	v_clz_i32_u32_e32 v180, v8
	v_min_u32_e32 v180, 32, v180
	s_delay_alu instid0(VALU_DEP_1) | instskip(SKIP_1) | instid1(VALU_DEP_2)
	v_subrev_nc_u32_e32 v182, 28, v180
	v_sub_nc_u32_e32 v180, 29, v180
	v_lshlrev_b64 v[182:183], v182, v[8:9]
	s_delay_alu instid0(VALU_DEP_1)
	v_and_b32_e32 v8, 7, v182
; %bb.51:                               ;   in Loop: Header=BB424_10 Depth=1
	s_or_b32 exec_lo, exec_lo, s21
	v_lshlrev_b32_e32 v181, 24, v181
	s_delay_alu instid0(VALU_DEP_2) | instskip(SKIP_1) | instid1(VALU_DEP_3)
	v_lshlrev_b32_e32 v8, 20, v8
	v_lshl_add_u32 v180, v180, 23, 0x3c000000
	v_and_b32_e32 v181, 0x80000000, v181
	s_delay_alu instid0(VALU_DEP_1)
	v_or3_b32 v8, v8, v181, v180
.LBB424_52:                             ;   in Loop: Header=BB424_10 Depth=1
	s_or_b32 exec_lo, exec_lo, s20
.LBB424_53:                             ;   in Loop: Header=BB424_10 Depth=1
	s_delay_alu instid0(SALU_CYCLE_1)
	s_or_b32 exec_lo, exec_lo, s19
.LBB424_54:                             ;   in Loop: Header=BB424_10 Depth=1
	s_delay_alu instid0(SALU_CYCLE_1) | instskip(NEXT) | instid1(VALU_DEP_1)
	s_or_b32 exec_lo, exec_lo, s3
	v_mul_f32_e32 v8, v177, v8
	s_delay_alu instid0(VALU_DEP_1) | instskip(NEXT) | instid1(VALU_DEP_1)
	v_and_b32_e32 v180, 0x7f800000, v8
	v_cmp_ne_u32_e64 s2, 0x7f800000, v180
                                        ; implicit-def: $vgpr180
	s_delay_alu instid0(VALU_DEP_1) | instskip(NEXT) | instid1(SALU_CYCLE_1)
	s_and_saveexec_b32 s3, s2
	s_xor_b32 s2, exec_lo, s3
; %bb.55:                               ;   in Loop: Header=BB424_10 Depth=1
	v_bfe_u32 v180, v8, 16, 1
	s_delay_alu instid0(VALU_DEP_1)
	v_add3_u32 v180, v8, v180, 0x7fff
                                        ; implicit-def: $vgpr8
; %bb.56:                               ;   in Loop: Header=BB424_10 Depth=1
	s_and_not1_saveexec_b32 s3, s2
; %bb.57:                               ;   in Loop: Header=BB424_10 Depth=1
	v_and_b32_e32 v180, 0xffff, v8
	v_or_b32_e32 v181, 0x10000, v8
	s_delay_alu instid0(VALU_DEP_2) | instskip(NEXT) | instid1(VALU_DEP_1)
	v_cmp_eq_u32_e64 s2, 0, v180
	v_cndmask_b32_e64 v180, v181, v8, s2
; %bb.58:                               ;   in Loop: Header=BB424_10 Depth=1
	s_or_b32 exec_lo, exec_lo, s3
	flat_load_b32 v40, v[28:29] offset:8
	s_mov_b32 s3, exec_lo
	s_waitcnt vmcnt(0) lgkmcnt(0)
	v_dual_mov_b32 v8, 0 :: v_dual_and_b32 v181, 0xff, v40
	s_delay_alu instid0(VALU_DEP_1)
	v_cmpx_ne_u16_e64 0, v181
	s_cbranch_execz .LBB424_66
; %bb.59:                               ;   in Loop: Header=BB424_10 Depth=1
	v_bfrev_b32_e32 v8, 1
	s_mov_b32 s19, exec_lo
	v_cmpx_ne_u16_e64 0x80, v181
	s_cbranch_execz .LBB424_65
; %bb.60:                               ;   in Loop: Header=BB424_10 Depth=1
	v_and_b32_e32 v182, 0x7f, v40
	v_mov_b32_e32 v8, 0x7f800001
	s_mov_b32 s20, exec_lo
	s_delay_alu instid0(VALU_DEP_2)
	v_cmpx_ne_u32_e32 0x7f, v182
	s_cbranch_execz .LBB424_64
; %bb.61:                               ;   in Loop: Header=BB424_10 Depth=1
	v_and_b32_e32 v8, 7, v40
	v_lshrrev_b32_e32 v181, 3, v182
	s_mov_b32 s21, exec_lo
	v_cmpx_gt_u32_e32 8, v182
; %bb.62:                               ;   in Loop: Header=BB424_10 Depth=1
	s_delay_alu instid0(VALU_DEP_3) | instskip(NEXT) | instid1(VALU_DEP_1)
	v_clz_i32_u32_e32 v181, v8
	v_min_u32_e32 v181, 32, v181
	s_delay_alu instid0(VALU_DEP_1) | instskip(SKIP_1) | instid1(VALU_DEP_2)
	v_subrev_nc_u32_e32 v182, 28, v181
	v_sub_nc_u32_e32 v181, 29, v181
	v_lshlrev_b64 v[182:183], v182, v[8:9]
	s_delay_alu instid0(VALU_DEP_1)
	v_and_b32_e32 v8, 7, v182
; %bb.63:                               ;   in Loop: Header=BB424_10 Depth=1
	s_or_b32 exec_lo, exec_lo, s21
	v_lshlrev_b32_e32 v182, 24, v40
	s_delay_alu instid0(VALU_DEP_2) | instskip(SKIP_1) | instid1(VALU_DEP_3)
	v_lshlrev_b32_e32 v8, 20, v8
	v_lshl_add_u32 v181, v181, 23, 0x3c000000
	v_and_b32_e32 v182, 0x80000000, v182
	s_delay_alu instid0(VALU_DEP_1)
	v_or3_b32 v8, v8, v182, v181
.LBB424_64:                             ;   in Loop: Header=BB424_10 Depth=1
	s_or_b32 exec_lo, exec_lo, s20
.LBB424_65:                             ;   in Loop: Header=BB424_10 Depth=1
	s_delay_alu instid0(SALU_CYCLE_1)
	s_or_b32 exec_lo, exec_lo, s19
.LBB424_66:                             ;   in Loop: Header=BB424_10 Depth=1
	s_delay_alu instid0(SALU_CYCLE_1) | instskip(NEXT) | instid1(VALU_DEP_1)
	s_or_b32 exec_lo, exec_lo, s3
	v_mul_f32_e32 v8, v177, v8
	s_delay_alu instid0(VALU_DEP_1) | instskip(NEXT) | instid1(VALU_DEP_1)
	v_and_b32_e32 v181, 0x7f800000, v8
	v_cmp_ne_u32_e64 s2, 0x7f800000, v181
                                        ; implicit-def: $vgpr181
	s_delay_alu instid0(VALU_DEP_1) | instskip(NEXT) | instid1(SALU_CYCLE_1)
	s_and_saveexec_b32 s3, s2
	s_xor_b32 s2, exec_lo, s3
; %bb.67:                               ;   in Loop: Header=BB424_10 Depth=1
	v_bfe_u32 v181, v8, 16, 1
	s_delay_alu instid0(VALU_DEP_1)
	v_add3_u32 v181, v8, v181, 0x7fff
                                        ; implicit-def: $vgpr8
; %bb.68:                               ;   in Loop: Header=BB424_10 Depth=1
	s_and_not1_saveexec_b32 s3, s2
; %bb.69:                               ;   in Loop: Header=BB424_10 Depth=1
	v_and_b32_e32 v181, 0xffff, v8
	v_or_b32_e32 v182, 0x10000, v8
	s_delay_alu instid0(VALU_DEP_2) | instskip(NEXT) | instid1(VALU_DEP_1)
	v_cmp_eq_u32_e64 s2, 0, v181
	v_cndmask_b32_e64 v181, v182, v8, s2
; %bb.70:                               ;   in Loop: Header=BB424_10 Depth=1
	s_or_b32 exec_lo, exec_lo, s3
	v_lshrrev_b16 v182, 8, v40
	v_mov_b32_e32 v8, 0
	s_mov_b32 s3, exec_lo
	s_delay_alu instid0(VALU_DEP_2)
	v_cmpx_ne_u16_e64 0, v182
	s_cbranch_execz .LBB424_78
; %bb.71:                               ;   in Loop: Header=BB424_10 Depth=1
	v_bfrev_b32_e32 v8, 1
	s_mov_b32 s19, exec_lo
	v_cmpx_ne_u16_e64 0x80, v182
	s_cbranch_execz .LBB424_77
; %bb.72:                               ;   in Loop: Header=BB424_10 Depth=1
	v_and_b32_e32 v182, 0xffff, v182
	v_mov_b32_e32 v8, 0x7f800001
	s_mov_b32 s20, exec_lo
	s_delay_alu instid0(VALU_DEP_2) | instskip(NEXT) | instid1(VALU_DEP_1)
	v_and_b32_e32 v183, 0x7f, v182
	v_cmpx_ne_u32_e32 0x7f, v183
	s_cbranch_execz .LBB424_76
; %bb.73:                               ;   in Loop: Header=BB424_10 Depth=1
	v_and_b32_e32 v8, 7, v182
	v_lshrrev_b32_e32 v182, 3, v183
	s_mov_b32 s21, exec_lo
	v_cmpx_gt_u32_e32 8, v183
; %bb.74:                               ;   in Loop: Header=BB424_10 Depth=1
	s_delay_alu instid0(VALU_DEP_3) | instskip(NEXT) | instid1(VALU_DEP_1)
	v_clz_i32_u32_e32 v182, v8
	v_min_u32_e32 v182, 32, v182
	s_delay_alu instid0(VALU_DEP_1) | instskip(SKIP_1) | instid1(VALU_DEP_2)
	v_subrev_nc_u32_e32 v183, 28, v182
	v_sub_nc_u32_e32 v182, 29, v182
	v_lshlrev_b64 v[41:42], v183, v[8:9]
	s_delay_alu instid0(VALU_DEP_1)
	v_and_b32_e32 v8, 7, v41
; %bb.75:                               ;   in Loop: Header=BB424_10 Depth=1
	s_or_b32 exec_lo, exec_lo, s21
	v_lshlrev_b32_e32 v183, 16, v40
	s_delay_alu instid0(VALU_DEP_2) | instskip(SKIP_1) | instid1(VALU_DEP_3)
	v_lshlrev_b32_e32 v8, 20, v8
	v_lshl_add_u32 v182, v182, 23, 0x3c000000
	v_and_b32_e32 v183, 0x80000000, v183
	s_delay_alu instid0(VALU_DEP_1)
	v_or3_b32 v8, v8, v183, v182
.LBB424_76:                             ;   in Loop: Header=BB424_10 Depth=1
	s_or_b32 exec_lo, exec_lo, s20
.LBB424_77:                             ;   in Loop: Header=BB424_10 Depth=1
	s_delay_alu instid0(SALU_CYCLE_1)
	s_or_b32 exec_lo, exec_lo, s19
.LBB424_78:                             ;   in Loop: Header=BB424_10 Depth=1
	s_delay_alu instid0(SALU_CYCLE_1) | instskip(NEXT) | instid1(VALU_DEP_1)
	s_or_b32 exec_lo, exec_lo, s3
	v_mul_f32_e32 v8, v177, v8
	s_delay_alu instid0(VALU_DEP_1) | instskip(NEXT) | instid1(VALU_DEP_1)
	v_and_b32_e32 v182, 0x7f800000, v8
	v_cmp_ne_u32_e64 s2, 0x7f800000, v182
                                        ; implicit-def: $vgpr182
	s_delay_alu instid0(VALU_DEP_1) | instskip(NEXT) | instid1(SALU_CYCLE_1)
	s_and_saveexec_b32 s3, s2
	s_xor_b32 s2, exec_lo, s3
; %bb.79:                               ;   in Loop: Header=BB424_10 Depth=1
	v_bfe_u32 v182, v8, 16, 1
	s_delay_alu instid0(VALU_DEP_1)
	v_add3_u32 v182, v8, v182, 0x7fff
                                        ; implicit-def: $vgpr8
; %bb.80:                               ;   in Loop: Header=BB424_10 Depth=1
	s_and_not1_saveexec_b32 s3, s2
; %bb.81:                               ;   in Loop: Header=BB424_10 Depth=1
	v_and_b32_e32 v182, 0xffff, v8
	v_or_b32_e32 v183, 0x10000, v8
	s_delay_alu instid0(VALU_DEP_2) | instskip(NEXT) | instid1(VALU_DEP_1)
	v_cmp_eq_u32_e64 s2, 0, v182
	v_cndmask_b32_e64 v182, v183, v8, s2
; %bb.82:                               ;   in Loop: Header=BB424_10 Depth=1
	s_or_b32 exec_lo, exec_lo, s3
	v_lshrrev_b32_e32 v183, 16, v40
	s_mov_b32 s3, exec_lo
	s_delay_alu instid0(VALU_DEP_1) | instskip(NEXT) | instid1(VALU_DEP_1)
	v_dual_mov_b32 v8, 0 :: v_dual_and_b32 v41, 0xff, v183
	v_cmpx_ne_u16_e32 0, v41
	s_cbranch_execz .LBB424_90
; %bb.83:                               ;   in Loop: Header=BB424_10 Depth=1
	v_bfrev_b32_e32 v8, 1
	s_mov_b32 s19, exec_lo
	v_cmpx_ne_u16_e32 0x80, v41
	s_cbranch_execz .LBB424_89
; %bb.84:                               ;   in Loop: Header=BB424_10 Depth=1
	v_bfe_u32 v42, v40, 16, 7
	v_mov_b32_e32 v8, 0x7f800001
	s_mov_b32 s20, exec_lo
	s_delay_alu instid0(VALU_DEP_2)
	v_cmpx_ne_u32_e32 0x7f, v42
	s_cbranch_execz .LBB424_88
; %bb.85:                               ;   in Loop: Header=BB424_10 Depth=1
	v_and_b32_e32 v8, 7, v183
	v_lshrrev_b32_e32 v41, 3, v42
	s_mov_b32 s21, exec_lo
	v_cmpx_gt_u32_e32 8, v42
; %bb.86:                               ;   in Loop: Header=BB424_10 Depth=1
	s_delay_alu instid0(VALU_DEP_3) | instskip(NEXT) | instid1(VALU_DEP_1)
	v_clz_i32_u32_e32 v41, v8
	v_min_u32_e32 v41, 32, v41
	s_delay_alu instid0(VALU_DEP_1) | instskip(SKIP_1) | instid1(VALU_DEP_2)
	v_subrev_nc_u32_e32 v42, 28, v41
	v_sub_nc_u32_e32 v41, 29, v41
	v_lshlrev_b64 v[42:43], v42, v[8:9]
	s_delay_alu instid0(VALU_DEP_1)
	v_and_b32_e32 v8, 7, v42
; %bb.87:                               ;   in Loop: Header=BB424_10 Depth=1
	s_or_b32 exec_lo, exec_lo, s21
	v_lshlrev_b32_e32 v183, 24, v183
	s_delay_alu instid0(VALU_DEP_2) | instskip(SKIP_1) | instid1(VALU_DEP_3)
	v_lshlrev_b32_e32 v8, 20, v8
	v_lshl_add_u32 v41, v41, 23, 0x3c000000
	v_and_b32_e32 v183, 0x80000000, v183
	s_delay_alu instid0(VALU_DEP_1)
	v_or3_b32 v8, v8, v183, v41
.LBB424_88:                             ;   in Loop: Header=BB424_10 Depth=1
	s_or_b32 exec_lo, exec_lo, s20
.LBB424_89:                             ;   in Loop: Header=BB424_10 Depth=1
	s_delay_alu instid0(SALU_CYCLE_1)
	s_or_b32 exec_lo, exec_lo, s19
.LBB424_90:                             ;   in Loop: Header=BB424_10 Depth=1
	s_delay_alu instid0(SALU_CYCLE_1) | instskip(NEXT) | instid1(VALU_DEP_1)
	s_or_b32 exec_lo, exec_lo, s3
	v_mul_f32_e32 v8, v177, v8
	s_delay_alu instid0(VALU_DEP_1) | instskip(NEXT) | instid1(VALU_DEP_1)
	v_and_b32_e32 v183, 0x7f800000, v8
	v_cmp_ne_u32_e64 s2, 0x7f800000, v183
                                        ; implicit-def: $vgpr183
	s_delay_alu instid0(VALU_DEP_1) | instskip(NEXT) | instid1(SALU_CYCLE_1)
	s_and_saveexec_b32 s3, s2
	s_xor_b32 s2, exec_lo, s3
; %bb.91:                               ;   in Loop: Header=BB424_10 Depth=1
	v_bfe_u32 v183, v8, 16, 1
	s_delay_alu instid0(VALU_DEP_1)
	v_add3_u32 v183, v8, v183, 0x7fff
                                        ; implicit-def: $vgpr8
; %bb.92:                               ;   in Loop: Header=BB424_10 Depth=1
	s_and_not1_saveexec_b32 s3, s2
; %bb.93:                               ;   in Loop: Header=BB424_10 Depth=1
	v_and_b32_e32 v183, 0xffff, v8
	v_or_b32_e32 v41, 0x10000, v8
	s_delay_alu instid0(VALU_DEP_2) | instskip(NEXT) | instid1(VALU_DEP_1)
	v_cmp_eq_u32_e64 s2, 0, v183
	v_cndmask_b32_e64 v183, v41, v8, s2
; %bb.94:                               ;   in Loop: Header=BB424_10 Depth=1
	s_or_b32 exec_lo, exec_lo, s3
	v_mov_b32_e32 v8, 0
	s_mov_b32 s3, exec_lo
	v_cmpx_lt_u32_e32 0xffffff, v40
	s_cbranch_execz .LBB424_102
; %bb.95:                               ;   in Loop: Header=BB424_10 Depth=1
	v_lshrrev_b32_e32 v41, 24, v40
	v_bfrev_b32_e32 v8, 1
	s_mov_b32 s19, exec_lo
	s_delay_alu instid0(VALU_DEP_2)
	v_cmpx_ne_u32_e32 0x80, v41
	s_cbranch_execz .LBB424_101
; %bb.96:                               ;   in Loop: Header=BB424_10 Depth=1
	v_bfe_u32 v42, v40, 24, 7
	v_mov_b32_e32 v8, 0x7f800001
	s_mov_b32 s20, exec_lo
	s_delay_alu instid0(VALU_DEP_2)
	v_cmpx_ne_u32_e32 0x7f, v42
	s_cbranch_execz .LBB424_100
; %bb.97:                               ;   in Loop: Header=BB424_10 Depth=1
	v_and_b32_e32 v8, 7, v41
	v_lshrrev_b32_e32 v40, 3, v42
	s_mov_b32 s21, exec_lo
	v_cmpx_gt_u32_e32 8, v42
; %bb.98:                               ;   in Loop: Header=BB424_10 Depth=1
	s_delay_alu instid0(VALU_DEP_3) | instskip(NEXT) | instid1(VALU_DEP_1)
	v_clz_i32_u32_e32 v40, v8
	v_min_u32_e32 v40, 32, v40
	s_delay_alu instid0(VALU_DEP_1) | instskip(SKIP_1) | instid1(VALU_DEP_2)
	v_subrev_nc_u32_e32 v42, 28, v40
	v_sub_nc_u32_e32 v40, 29, v40
	v_lshlrev_b64 v[42:43], v42, v[8:9]
	s_delay_alu instid0(VALU_DEP_1)
	v_and_b32_e32 v8, 7, v42
; %bb.99:                               ;   in Loop: Header=BB424_10 Depth=1
	s_or_b32 exec_lo, exec_lo, s21
	v_lshlrev_b32_e32 v41, 24, v41
	s_delay_alu instid0(VALU_DEP_2) | instskip(SKIP_1) | instid1(VALU_DEP_3)
	v_lshlrev_b32_e32 v8, 20, v8
	v_lshl_add_u32 v40, v40, 23, 0x3c000000
	v_and_b32_e32 v41, 0x80000000, v41
	s_delay_alu instid0(VALU_DEP_1)
	v_or3_b32 v8, v8, v41, v40
.LBB424_100:                            ;   in Loop: Header=BB424_10 Depth=1
	s_or_b32 exec_lo, exec_lo, s20
.LBB424_101:                            ;   in Loop: Header=BB424_10 Depth=1
	s_delay_alu instid0(SALU_CYCLE_1)
	s_or_b32 exec_lo, exec_lo, s19
.LBB424_102:                            ;   in Loop: Header=BB424_10 Depth=1
	s_delay_alu instid0(SALU_CYCLE_1) | instskip(NEXT) | instid1(VALU_DEP_1)
	s_or_b32 exec_lo, exec_lo, s3
	v_mul_f32_e32 v8, v177, v8
	s_delay_alu instid0(VALU_DEP_1) | instskip(NEXT) | instid1(VALU_DEP_1)
	v_and_b32_e32 v40, 0x7f800000, v8
	v_cmp_ne_u32_e64 s2, 0x7f800000, v40
                                        ; implicit-def: $vgpr40
	s_delay_alu instid0(VALU_DEP_1) | instskip(NEXT) | instid1(SALU_CYCLE_1)
	s_and_saveexec_b32 s3, s2
	s_xor_b32 s2, exec_lo, s3
; %bb.103:                              ;   in Loop: Header=BB424_10 Depth=1
	v_bfe_u32 v40, v8, 16, 1
	s_delay_alu instid0(VALU_DEP_1)
	v_add3_u32 v40, v8, v40, 0x7fff
                                        ; implicit-def: $vgpr8
; %bb.104:                              ;   in Loop: Header=BB424_10 Depth=1
	s_and_not1_saveexec_b32 s3, s2
; %bb.105:                              ;   in Loop: Header=BB424_10 Depth=1
	v_and_b32_e32 v40, 0xffff, v8
	v_or_b32_e32 v41, 0x10000, v8
	s_delay_alu instid0(VALU_DEP_2) | instskip(NEXT) | instid1(VALU_DEP_1)
	v_cmp_eq_u32_e64 s2, 0, v40
	v_cndmask_b32_e64 v40, v41, v8, s2
; %bb.106:                              ;   in Loop: Header=BB424_10 Depth=1
	s_or_b32 exec_lo, exec_lo, s3
	flat_load_b32 v44, v[28:29] offset:256
	s_mov_b32 s3, exec_lo
	s_waitcnt vmcnt(0) lgkmcnt(0)
	v_dual_mov_b32 v8, 0 :: v_dual_and_b32 v41, 0xff, v44
	s_delay_alu instid0(VALU_DEP_1)
	v_cmpx_ne_u16_e32 0, v41
	s_cbranch_execz .LBB424_114
; %bb.107:                              ;   in Loop: Header=BB424_10 Depth=1
	v_bfrev_b32_e32 v8, 1
	s_mov_b32 s19, exec_lo
	v_cmpx_ne_u16_e32 0x80, v41
	s_cbranch_execz .LBB424_113
; %bb.108:                              ;   in Loop: Header=BB424_10 Depth=1
	v_and_b32_e32 v42, 0x7f, v44
	v_mov_b32_e32 v8, 0x7f800001
	s_mov_b32 s20, exec_lo
	s_delay_alu instid0(VALU_DEP_2)
	v_cmpx_ne_u32_e32 0x7f, v42
	s_cbranch_execz .LBB424_112
; %bb.109:                              ;   in Loop: Header=BB424_10 Depth=1
	v_and_b32_e32 v8, 7, v44
	v_lshrrev_b32_e32 v41, 3, v42
	s_mov_b32 s21, exec_lo
	v_cmpx_gt_u32_e32 8, v42
; %bb.110:                              ;   in Loop: Header=BB424_10 Depth=1
	s_delay_alu instid0(VALU_DEP_3) | instskip(NEXT) | instid1(VALU_DEP_1)
	v_clz_i32_u32_e32 v41, v8
	v_min_u32_e32 v41, 32, v41
	s_delay_alu instid0(VALU_DEP_1) | instskip(SKIP_1) | instid1(VALU_DEP_2)
	v_subrev_nc_u32_e32 v42, 28, v41
	v_sub_nc_u32_e32 v41, 29, v41
	v_lshlrev_b64 v[42:43], v42, v[8:9]
	s_delay_alu instid0(VALU_DEP_1)
	v_and_b32_e32 v8, 7, v42
; %bb.111:                              ;   in Loop: Header=BB424_10 Depth=1
	s_or_b32 exec_lo, exec_lo, s21
	v_lshlrev_b32_e32 v42, 24, v44
	s_delay_alu instid0(VALU_DEP_2) | instskip(SKIP_1) | instid1(VALU_DEP_3)
	v_lshlrev_b32_e32 v8, 20, v8
	v_lshl_add_u32 v41, v41, 23, 0x3c000000
	v_and_b32_e32 v42, 0x80000000, v42
	s_delay_alu instid0(VALU_DEP_1)
	v_or3_b32 v8, v8, v42, v41
.LBB424_112:                            ;   in Loop: Header=BB424_10 Depth=1
	s_or_b32 exec_lo, exec_lo, s20
.LBB424_113:                            ;   in Loop: Header=BB424_10 Depth=1
	s_delay_alu instid0(SALU_CYCLE_1)
	s_or_b32 exec_lo, exec_lo, s19
.LBB424_114:                            ;   in Loop: Header=BB424_10 Depth=1
	s_delay_alu instid0(SALU_CYCLE_1) | instskip(NEXT) | instid1(VALU_DEP_1)
	s_or_b32 exec_lo, exec_lo, s3
	v_mul_f32_e32 v8, v177, v8
	s_delay_alu instid0(VALU_DEP_1) | instskip(NEXT) | instid1(VALU_DEP_1)
	v_and_b32_e32 v41, 0x7f800000, v8
	v_cmp_ne_u32_e64 s2, 0x7f800000, v41
                                        ; implicit-def: $vgpr41
	s_delay_alu instid0(VALU_DEP_1) | instskip(NEXT) | instid1(SALU_CYCLE_1)
	s_and_saveexec_b32 s3, s2
	s_xor_b32 s2, exec_lo, s3
; %bb.115:                              ;   in Loop: Header=BB424_10 Depth=1
	v_bfe_u32 v41, v8, 16, 1
	s_delay_alu instid0(VALU_DEP_1)
	v_add3_u32 v41, v8, v41, 0x7fff
                                        ; implicit-def: $vgpr8
; %bb.116:                              ;   in Loop: Header=BB424_10 Depth=1
	s_and_not1_saveexec_b32 s3, s2
; %bb.117:                              ;   in Loop: Header=BB424_10 Depth=1
	v_and_b32_e32 v41, 0xffff, v8
	v_or_b32_e32 v42, 0x10000, v8
	s_delay_alu instid0(VALU_DEP_2) | instskip(NEXT) | instid1(VALU_DEP_1)
	v_cmp_eq_u32_e64 s2, 0, v41
	v_cndmask_b32_e64 v41, v42, v8, s2
; %bb.118:                              ;   in Loop: Header=BB424_10 Depth=1
	s_or_b32 exec_lo, exec_lo, s3
	v_lshrrev_b16 v42, 8, v44
	v_mov_b32_e32 v8, 0
	s_mov_b32 s3, exec_lo
	s_delay_alu instid0(VALU_DEP_2)
	v_cmpx_ne_u16_e32 0, v42
	s_cbranch_execz .LBB424_126
; %bb.119:                              ;   in Loop: Header=BB424_10 Depth=1
	v_bfrev_b32_e32 v8, 1
	s_mov_b32 s19, exec_lo
	v_cmpx_ne_u16_e32 0x80, v42
	s_cbranch_execz .LBB424_125
; %bb.120:                              ;   in Loop: Header=BB424_10 Depth=1
	v_and_b32_e32 v42, 0xffff, v42
	v_mov_b32_e32 v8, 0x7f800001
	s_mov_b32 s20, exec_lo
	s_delay_alu instid0(VALU_DEP_2) | instskip(NEXT) | instid1(VALU_DEP_1)
	v_and_b32_e32 v43, 0x7f, v42
	v_cmpx_ne_u32_e32 0x7f, v43
	s_cbranch_execz .LBB424_124
; %bb.121:                              ;   in Loop: Header=BB424_10 Depth=1
	v_and_b32_e32 v8, 7, v42
	v_lshrrev_b32_e32 v42, 3, v43
	s_mov_b32 s21, exec_lo
	v_cmpx_gt_u32_e32 8, v43
; %bb.122:                              ;   in Loop: Header=BB424_10 Depth=1
	s_delay_alu instid0(VALU_DEP_3) | instskip(NEXT) | instid1(VALU_DEP_1)
	v_clz_i32_u32_e32 v42, v8
	v_min_u32_e32 v42, 32, v42
	s_delay_alu instid0(VALU_DEP_1) | instskip(SKIP_1) | instid1(VALU_DEP_2)
	v_subrev_nc_u32_e32 v43, 28, v42
	v_sub_nc_u32_e32 v42, 29, v42
	v_lshlrev_b64 v[45:46], v43, v[8:9]
	s_delay_alu instid0(VALU_DEP_1)
	v_and_b32_e32 v8, 7, v45
; %bb.123:                              ;   in Loop: Header=BB424_10 Depth=1
	s_or_b32 exec_lo, exec_lo, s21
	v_lshlrev_b32_e32 v43, 16, v44
	s_delay_alu instid0(VALU_DEP_2) | instskip(SKIP_1) | instid1(VALU_DEP_3)
	v_lshlrev_b32_e32 v8, 20, v8
	v_lshl_add_u32 v42, v42, 23, 0x3c000000
	v_and_b32_e32 v43, 0x80000000, v43
	s_delay_alu instid0(VALU_DEP_1)
	v_or3_b32 v8, v8, v43, v42
.LBB424_124:                            ;   in Loop: Header=BB424_10 Depth=1
	s_or_b32 exec_lo, exec_lo, s20
.LBB424_125:                            ;   in Loop: Header=BB424_10 Depth=1
	s_delay_alu instid0(SALU_CYCLE_1)
	s_or_b32 exec_lo, exec_lo, s19
.LBB424_126:                            ;   in Loop: Header=BB424_10 Depth=1
	s_delay_alu instid0(SALU_CYCLE_1) | instskip(NEXT) | instid1(VALU_DEP_1)
	s_or_b32 exec_lo, exec_lo, s3
	v_mul_f32_e32 v8, v177, v8
	s_delay_alu instid0(VALU_DEP_1) | instskip(NEXT) | instid1(VALU_DEP_1)
	v_and_b32_e32 v42, 0x7f800000, v8
	v_cmp_ne_u32_e64 s2, 0x7f800000, v42
                                        ; implicit-def: $vgpr42
	s_delay_alu instid0(VALU_DEP_1) | instskip(NEXT) | instid1(SALU_CYCLE_1)
	s_and_saveexec_b32 s3, s2
	s_xor_b32 s2, exec_lo, s3
; %bb.127:                              ;   in Loop: Header=BB424_10 Depth=1
	v_bfe_u32 v42, v8, 16, 1
	s_delay_alu instid0(VALU_DEP_1)
	v_add3_u32 v42, v8, v42, 0x7fff
                                        ; implicit-def: $vgpr8
; %bb.128:                              ;   in Loop: Header=BB424_10 Depth=1
	s_and_not1_saveexec_b32 s3, s2
; %bb.129:                              ;   in Loop: Header=BB424_10 Depth=1
	v_and_b32_e32 v42, 0xffff, v8
	v_or_b32_e32 v43, 0x10000, v8
	s_delay_alu instid0(VALU_DEP_2) | instskip(NEXT) | instid1(VALU_DEP_1)
	v_cmp_eq_u32_e64 s2, 0, v42
	v_cndmask_b32_e64 v42, v43, v8, s2
; %bb.130:                              ;   in Loop: Header=BB424_10 Depth=1
	s_or_b32 exec_lo, exec_lo, s3
	v_lshrrev_b32_e32 v43, 16, v44
	s_mov_b32 s3, exec_lo
	s_delay_alu instid0(VALU_DEP_1) | instskip(NEXT) | instid1(VALU_DEP_1)
	v_dual_mov_b32 v8, 0 :: v_dual_and_b32 v45, 0xff, v43
	v_cmpx_ne_u16_e32 0, v45
	s_cbranch_execz .LBB424_138
; %bb.131:                              ;   in Loop: Header=BB424_10 Depth=1
	v_bfrev_b32_e32 v8, 1
	s_mov_b32 s19, exec_lo
	v_cmpx_ne_u16_e32 0x80, v45
	s_cbranch_execz .LBB424_137
; %bb.132:                              ;   in Loop: Header=BB424_10 Depth=1
	v_bfe_u32 v46, v44, 16, 7
	v_mov_b32_e32 v8, 0x7f800001
	s_mov_b32 s20, exec_lo
	s_delay_alu instid0(VALU_DEP_2)
	v_cmpx_ne_u32_e32 0x7f, v46
	s_cbranch_execz .LBB424_136
; %bb.133:                              ;   in Loop: Header=BB424_10 Depth=1
	v_and_b32_e32 v8, 7, v43
	v_lshrrev_b32_e32 v45, 3, v46
	s_mov_b32 s21, exec_lo
	v_cmpx_gt_u32_e32 8, v46
; %bb.134:                              ;   in Loop: Header=BB424_10 Depth=1
	s_delay_alu instid0(VALU_DEP_3) | instskip(NEXT) | instid1(VALU_DEP_1)
	v_clz_i32_u32_e32 v45, v8
	v_min_u32_e32 v45, 32, v45
	s_delay_alu instid0(VALU_DEP_1) | instskip(SKIP_1) | instid1(VALU_DEP_2)
	v_subrev_nc_u32_e32 v46, 28, v45
	v_sub_nc_u32_e32 v45, 29, v45
	v_lshlrev_b64 v[46:47], v46, v[8:9]
	s_delay_alu instid0(VALU_DEP_1)
	v_and_b32_e32 v8, 7, v46
; %bb.135:                              ;   in Loop: Header=BB424_10 Depth=1
	s_or_b32 exec_lo, exec_lo, s21
	v_lshlrev_b32_e32 v43, 24, v43
	s_delay_alu instid0(VALU_DEP_2) | instskip(SKIP_1) | instid1(VALU_DEP_3)
	v_lshlrev_b32_e32 v8, 20, v8
	v_lshl_add_u32 v45, v45, 23, 0x3c000000
	v_and_b32_e32 v43, 0x80000000, v43
	s_delay_alu instid0(VALU_DEP_1)
	v_or3_b32 v8, v8, v43, v45
.LBB424_136:                            ;   in Loop: Header=BB424_10 Depth=1
	s_or_b32 exec_lo, exec_lo, s20
.LBB424_137:                            ;   in Loop: Header=BB424_10 Depth=1
	s_delay_alu instid0(SALU_CYCLE_1)
	s_or_b32 exec_lo, exec_lo, s19
.LBB424_138:                            ;   in Loop: Header=BB424_10 Depth=1
	s_delay_alu instid0(SALU_CYCLE_1) | instskip(NEXT) | instid1(VALU_DEP_1)
	s_or_b32 exec_lo, exec_lo, s3
	v_mul_f32_e32 v8, v177, v8
	s_delay_alu instid0(VALU_DEP_1) | instskip(NEXT) | instid1(VALU_DEP_1)
	v_and_b32_e32 v43, 0x7f800000, v8
	v_cmp_ne_u32_e64 s2, 0x7f800000, v43
                                        ; implicit-def: $vgpr43
	s_delay_alu instid0(VALU_DEP_1) | instskip(NEXT) | instid1(SALU_CYCLE_1)
	s_and_saveexec_b32 s3, s2
	s_xor_b32 s2, exec_lo, s3
; %bb.139:                              ;   in Loop: Header=BB424_10 Depth=1
	v_bfe_u32 v43, v8, 16, 1
	s_delay_alu instid0(VALU_DEP_1)
	v_add3_u32 v43, v8, v43, 0x7fff
                                        ; implicit-def: $vgpr8
; %bb.140:                              ;   in Loop: Header=BB424_10 Depth=1
	s_and_not1_saveexec_b32 s3, s2
; %bb.141:                              ;   in Loop: Header=BB424_10 Depth=1
	v_and_b32_e32 v43, 0xffff, v8
	v_or_b32_e32 v45, 0x10000, v8
	s_delay_alu instid0(VALU_DEP_2) | instskip(NEXT) | instid1(VALU_DEP_1)
	v_cmp_eq_u32_e64 s2, 0, v43
	v_cndmask_b32_e64 v43, v45, v8, s2
; %bb.142:                              ;   in Loop: Header=BB424_10 Depth=1
	s_or_b32 exec_lo, exec_lo, s3
	v_mov_b32_e32 v8, 0
	s_mov_b32 s3, exec_lo
	v_cmpx_lt_u32_e32 0xffffff, v44
	s_cbranch_execz .LBB424_150
; %bb.143:                              ;   in Loop: Header=BB424_10 Depth=1
	v_lshrrev_b32_e32 v45, 24, v44
	v_bfrev_b32_e32 v8, 1
	s_mov_b32 s19, exec_lo
	s_delay_alu instid0(VALU_DEP_2)
	v_cmpx_ne_u32_e32 0x80, v45
	s_cbranch_execz .LBB424_149
; %bb.144:                              ;   in Loop: Header=BB424_10 Depth=1
	v_bfe_u32 v46, v44, 24, 7
	v_mov_b32_e32 v8, 0x7f800001
	s_mov_b32 s20, exec_lo
	s_delay_alu instid0(VALU_DEP_2)
	v_cmpx_ne_u32_e32 0x7f, v46
	s_cbranch_execz .LBB424_148
; %bb.145:                              ;   in Loop: Header=BB424_10 Depth=1
	v_and_b32_e32 v8, 7, v45
	v_lshrrev_b32_e32 v44, 3, v46
	s_mov_b32 s21, exec_lo
	v_cmpx_gt_u32_e32 8, v46
; %bb.146:                              ;   in Loop: Header=BB424_10 Depth=1
	s_delay_alu instid0(VALU_DEP_3) | instskip(NEXT) | instid1(VALU_DEP_1)
	v_clz_i32_u32_e32 v44, v8
	v_min_u32_e32 v44, 32, v44
	s_delay_alu instid0(VALU_DEP_1) | instskip(SKIP_1) | instid1(VALU_DEP_2)
	v_subrev_nc_u32_e32 v46, 28, v44
	v_sub_nc_u32_e32 v44, 29, v44
	v_lshlrev_b64 v[46:47], v46, v[8:9]
	s_delay_alu instid0(VALU_DEP_1)
	v_and_b32_e32 v8, 7, v46
; %bb.147:                              ;   in Loop: Header=BB424_10 Depth=1
	s_or_b32 exec_lo, exec_lo, s21
	v_lshlrev_b32_e32 v45, 24, v45
	s_delay_alu instid0(VALU_DEP_2) | instskip(SKIP_1) | instid1(VALU_DEP_3)
	v_lshlrev_b32_e32 v8, 20, v8
	v_lshl_add_u32 v44, v44, 23, 0x3c000000
	v_and_b32_e32 v45, 0x80000000, v45
	s_delay_alu instid0(VALU_DEP_1)
	v_or3_b32 v8, v8, v45, v44
.LBB424_148:                            ;   in Loop: Header=BB424_10 Depth=1
	s_or_b32 exec_lo, exec_lo, s20
.LBB424_149:                            ;   in Loop: Header=BB424_10 Depth=1
	s_delay_alu instid0(SALU_CYCLE_1)
	s_or_b32 exec_lo, exec_lo, s19
.LBB424_150:                            ;   in Loop: Header=BB424_10 Depth=1
	s_delay_alu instid0(SALU_CYCLE_1) | instskip(NEXT) | instid1(VALU_DEP_1)
	s_or_b32 exec_lo, exec_lo, s3
	v_mul_f32_e32 v8, v177, v8
	s_delay_alu instid0(VALU_DEP_1) | instskip(NEXT) | instid1(VALU_DEP_1)
	v_and_b32_e32 v44, 0x7f800000, v8
	v_cmp_ne_u32_e64 s2, 0x7f800000, v44
                                        ; implicit-def: $vgpr44
	s_delay_alu instid0(VALU_DEP_1) | instskip(NEXT) | instid1(SALU_CYCLE_1)
	s_and_saveexec_b32 s3, s2
	s_xor_b32 s2, exec_lo, s3
; %bb.151:                              ;   in Loop: Header=BB424_10 Depth=1
	v_bfe_u32 v44, v8, 16, 1
	s_delay_alu instid0(VALU_DEP_1)
	v_add3_u32 v44, v8, v44, 0x7fff
                                        ; implicit-def: $vgpr8
; %bb.152:                              ;   in Loop: Header=BB424_10 Depth=1
	s_and_not1_saveexec_b32 s3, s2
; %bb.153:                              ;   in Loop: Header=BB424_10 Depth=1
	v_and_b32_e32 v44, 0xffff, v8
	v_or_b32_e32 v45, 0x10000, v8
	s_delay_alu instid0(VALU_DEP_2) | instskip(NEXT) | instid1(VALU_DEP_1)
	v_cmp_eq_u32_e64 s2, 0, v44
	v_cndmask_b32_e64 v44, v45, v8, s2
; %bb.154:                              ;   in Loop: Header=BB424_10 Depth=1
	s_or_b32 exec_lo, exec_lo, s3
	flat_load_b32 v56, v[28:29] offset:264
	s_mov_b32 s3, exec_lo
	s_waitcnt vmcnt(0) lgkmcnt(0)
	v_dual_mov_b32 v8, 0 :: v_dual_and_b32 v45, 0xff, v56
	s_delay_alu instid0(VALU_DEP_1)
	v_cmpx_ne_u16_e32 0, v45
	s_cbranch_execz .LBB424_162
; %bb.155:                              ;   in Loop: Header=BB424_10 Depth=1
	v_bfrev_b32_e32 v8, 1
	s_mov_b32 s19, exec_lo
	v_cmpx_ne_u16_e32 0x80, v45
	s_cbranch_execz .LBB424_161
; %bb.156:                              ;   in Loop: Header=BB424_10 Depth=1
	v_and_b32_e32 v46, 0x7f, v56
	v_mov_b32_e32 v8, 0x7f800001
	s_mov_b32 s20, exec_lo
	s_delay_alu instid0(VALU_DEP_2)
	v_cmpx_ne_u32_e32 0x7f, v46
	s_cbranch_execz .LBB424_160
; %bb.157:                              ;   in Loop: Header=BB424_10 Depth=1
	v_and_b32_e32 v8, 7, v56
	v_lshrrev_b32_e32 v45, 3, v46
	s_mov_b32 s21, exec_lo
	v_cmpx_gt_u32_e32 8, v46
; %bb.158:                              ;   in Loop: Header=BB424_10 Depth=1
	s_delay_alu instid0(VALU_DEP_3) | instskip(NEXT) | instid1(VALU_DEP_1)
	v_clz_i32_u32_e32 v45, v8
	v_min_u32_e32 v45, 32, v45
	s_delay_alu instid0(VALU_DEP_1) | instskip(SKIP_1) | instid1(VALU_DEP_2)
	v_subrev_nc_u32_e32 v46, 28, v45
	v_sub_nc_u32_e32 v45, 29, v45
	v_lshlrev_b64 v[46:47], v46, v[8:9]
	s_delay_alu instid0(VALU_DEP_1)
	v_and_b32_e32 v8, 7, v46
; %bb.159:                              ;   in Loop: Header=BB424_10 Depth=1
	s_or_b32 exec_lo, exec_lo, s21
	v_lshlrev_b32_e32 v46, 24, v56
	s_delay_alu instid0(VALU_DEP_2) | instskip(SKIP_1) | instid1(VALU_DEP_3)
	v_lshlrev_b32_e32 v8, 20, v8
	v_lshl_add_u32 v45, v45, 23, 0x3c000000
	v_and_b32_e32 v46, 0x80000000, v46
	s_delay_alu instid0(VALU_DEP_1)
	v_or3_b32 v8, v8, v46, v45
.LBB424_160:                            ;   in Loop: Header=BB424_10 Depth=1
	s_or_b32 exec_lo, exec_lo, s20
.LBB424_161:                            ;   in Loop: Header=BB424_10 Depth=1
	s_delay_alu instid0(SALU_CYCLE_1)
	s_or_b32 exec_lo, exec_lo, s19
.LBB424_162:                            ;   in Loop: Header=BB424_10 Depth=1
	s_delay_alu instid0(SALU_CYCLE_1) | instskip(NEXT) | instid1(VALU_DEP_1)
	s_or_b32 exec_lo, exec_lo, s3
	v_mul_f32_e32 v8, v177, v8
	s_delay_alu instid0(VALU_DEP_1) | instskip(NEXT) | instid1(VALU_DEP_1)
	v_and_b32_e32 v45, 0x7f800000, v8
	v_cmp_ne_u32_e64 s2, 0x7f800000, v45
                                        ; implicit-def: $vgpr45
	s_delay_alu instid0(VALU_DEP_1) | instskip(NEXT) | instid1(SALU_CYCLE_1)
	s_and_saveexec_b32 s3, s2
	s_xor_b32 s2, exec_lo, s3
; %bb.163:                              ;   in Loop: Header=BB424_10 Depth=1
	v_bfe_u32 v45, v8, 16, 1
	s_delay_alu instid0(VALU_DEP_1)
	v_add3_u32 v45, v8, v45, 0x7fff
                                        ; implicit-def: $vgpr8
; %bb.164:                              ;   in Loop: Header=BB424_10 Depth=1
	s_and_not1_saveexec_b32 s3, s2
; %bb.165:                              ;   in Loop: Header=BB424_10 Depth=1
	v_and_b32_e32 v45, 0xffff, v8
	v_or_b32_e32 v46, 0x10000, v8
	s_delay_alu instid0(VALU_DEP_2) | instskip(NEXT) | instid1(VALU_DEP_1)
	v_cmp_eq_u32_e64 s2, 0, v45
	v_cndmask_b32_e64 v45, v46, v8, s2
; %bb.166:                              ;   in Loop: Header=BB424_10 Depth=1
	s_or_b32 exec_lo, exec_lo, s3
	v_lshrrev_b16 v46, 8, v56
	v_mov_b32_e32 v8, 0
	s_mov_b32 s3, exec_lo
	s_delay_alu instid0(VALU_DEP_2)
	v_cmpx_ne_u16_e32 0, v46
	s_cbranch_execz .LBB424_174
; %bb.167:                              ;   in Loop: Header=BB424_10 Depth=1
	v_bfrev_b32_e32 v8, 1
	s_mov_b32 s19, exec_lo
	v_cmpx_ne_u16_e32 0x80, v46
	s_cbranch_execz .LBB424_173
; %bb.168:                              ;   in Loop: Header=BB424_10 Depth=1
	v_and_b32_e32 v46, 0xffff, v46
	v_mov_b32_e32 v8, 0x7f800001
	s_mov_b32 s20, exec_lo
	s_delay_alu instid0(VALU_DEP_2) | instskip(NEXT) | instid1(VALU_DEP_1)
	v_and_b32_e32 v47, 0x7f, v46
	v_cmpx_ne_u32_e32 0x7f, v47
	s_cbranch_execz .LBB424_172
; %bb.169:                              ;   in Loop: Header=BB424_10 Depth=1
	v_and_b32_e32 v8, 7, v46
	v_lshrrev_b32_e32 v46, 3, v47
	s_mov_b32 s21, exec_lo
	v_cmpx_gt_u32_e32 8, v47
; %bb.170:                              ;   in Loop: Header=BB424_10 Depth=1
	s_delay_alu instid0(VALU_DEP_3) | instskip(NEXT) | instid1(VALU_DEP_1)
	v_clz_i32_u32_e32 v46, v8
	v_min_u32_e32 v46, 32, v46
	s_delay_alu instid0(VALU_DEP_1) | instskip(SKIP_1) | instid1(VALU_DEP_2)
	v_subrev_nc_u32_e32 v47, 28, v46
	v_sub_nc_u32_e32 v46, 29, v46
	v_lshlrev_b64 v[57:58], v47, v[8:9]
	s_delay_alu instid0(VALU_DEP_1)
	v_and_b32_e32 v8, 7, v57
; %bb.171:                              ;   in Loop: Header=BB424_10 Depth=1
	s_or_b32 exec_lo, exec_lo, s21
	v_lshlrev_b32_e32 v47, 16, v56
	s_delay_alu instid0(VALU_DEP_2) | instskip(SKIP_1) | instid1(VALU_DEP_3)
	v_lshlrev_b32_e32 v8, 20, v8
	v_lshl_add_u32 v46, v46, 23, 0x3c000000
	v_and_b32_e32 v47, 0x80000000, v47
	s_delay_alu instid0(VALU_DEP_1)
	v_or3_b32 v8, v8, v47, v46
.LBB424_172:                            ;   in Loop: Header=BB424_10 Depth=1
	s_or_b32 exec_lo, exec_lo, s20
.LBB424_173:                            ;   in Loop: Header=BB424_10 Depth=1
	s_delay_alu instid0(SALU_CYCLE_1)
	s_or_b32 exec_lo, exec_lo, s19
.LBB424_174:                            ;   in Loop: Header=BB424_10 Depth=1
	s_delay_alu instid0(SALU_CYCLE_1) | instskip(NEXT) | instid1(VALU_DEP_1)
	s_or_b32 exec_lo, exec_lo, s3
	v_mul_f32_e32 v8, v177, v8
	s_delay_alu instid0(VALU_DEP_1) | instskip(NEXT) | instid1(VALU_DEP_1)
	v_and_b32_e32 v46, 0x7f800000, v8
	v_cmp_ne_u32_e64 s2, 0x7f800000, v46
                                        ; implicit-def: $vgpr46
	s_delay_alu instid0(VALU_DEP_1) | instskip(NEXT) | instid1(SALU_CYCLE_1)
	s_and_saveexec_b32 s3, s2
	s_xor_b32 s2, exec_lo, s3
; %bb.175:                              ;   in Loop: Header=BB424_10 Depth=1
	v_bfe_u32 v46, v8, 16, 1
	s_delay_alu instid0(VALU_DEP_1)
	v_add3_u32 v46, v8, v46, 0x7fff
                                        ; implicit-def: $vgpr8
; %bb.176:                              ;   in Loop: Header=BB424_10 Depth=1
	s_and_not1_saveexec_b32 s3, s2
; %bb.177:                              ;   in Loop: Header=BB424_10 Depth=1
	v_and_b32_e32 v46, 0xffff, v8
	v_or_b32_e32 v47, 0x10000, v8
	s_delay_alu instid0(VALU_DEP_2) | instskip(NEXT) | instid1(VALU_DEP_1)
	v_cmp_eq_u32_e64 s2, 0, v46
	v_cndmask_b32_e64 v46, v47, v8, s2
; %bb.178:                              ;   in Loop: Header=BB424_10 Depth=1
	s_or_b32 exec_lo, exec_lo, s3
	v_lshrrev_b32_e32 v47, 16, v56
	s_mov_b32 s3, exec_lo
	s_delay_alu instid0(VALU_DEP_1) | instskip(NEXT) | instid1(VALU_DEP_1)
	v_dual_mov_b32 v8, 0 :: v_dual_and_b32 v57, 0xff, v47
	v_cmpx_ne_u16_e32 0, v57
	s_cbranch_execz .LBB424_186
; %bb.179:                              ;   in Loop: Header=BB424_10 Depth=1
	v_bfrev_b32_e32 v8, 1
	s_mov_b32 s19, exec_lo
	v_cmpx_ne_u16_e32 0x80, v57
	s_cbranch_execz .LBB424_185
; %bb.180:                              ;   in Loop: Header=BB424_10 Depth=1
	v_bfe_u32 v58, v56, 16, 7
	v_mov_b32_e32 v8, 0x7f800001
	s_mov_b32 s20, exec_lo
	s_delay_alu instid0(VALU_DEP_2)
	v_cmpx_ne_u32_e32 0x7f, v58
	s_cbranch_execz .LBB424_184
; %bb.181:                              ;   in Loop: Header=BB424_10 Depth=1
	v_and_b32_e32 v8, 7, v47
	v_lshrrev_b32_e32 v57, 3, v58
	s_mov_b32 s21, exec_lo
	v_cmpx_gt_u32_e32 8, v58
; %bb.182:                              ;   in Loop: Header=BB424_10 Depth=1
	s_delay_alu instid0(VALU_DEP_3) | instskip(NEXT) | instid1(VALU_DEP_1)
	v_clz_i32_u32_e32 v57, v8
	v_min_u32_e32 v57, 32, v57
	s_delay_alu instid0(VALU_DEP_1) | instskip(SKIP_1) | instid1(VALU_DEP_2)
	v_subrev_nc_u32_e32 v58, 28, v57
	v_sub_nc_u32_e32 v57, 29, v57
	v_lshlrev_b64 v[58:59], v58, v[8:9]
	s_delay_alu instid0(VALU_DEP_1)
	v_and_b32_e32 v8, 7, v58
; %bb.183:                              ;   in Loop: Header=BB424_10 Depth=1
	s_or_b32 exec_lo, exec_lo, s21
	v_lshlrev_b32_e32 v47, 24, v47
	s_delay_alu instid0(VALU_DEP_2) | instskip(SKIP_1) | instid1(VALU_DEP_3)
	v_lshlrev_b32_e32 v8, 20, v8
	v_lshl_add_u32 v57, v57, 23, 0x3c000000
	v_and_b32_e32 v47, 0x80000000, v47
	s_delay_alu instid0(VALU_DEP_1)
	v_or3_b32 v8, v8, v47, v57
.LBB424_184:                            ;   in Loop: Header=BB424_10 Depth=1
	s_or_b32 exec_lo, exec_lo, s20
.LBB424_185:                            ;   in Loop: Header=BB424_10 Depth=1
	s_delay_alu instid0(SALU_CYCLE_1)
	s_or_b32 exec_lo, exec_lo, s19
.LBB424_186:                            ;   in Loop: Header=BB424_10 Depth=1
	s_delay_alu instid0(SALU_CYCLE_1) | instskip(NEXT) | instid1(VALU_DEP_1)
	s_or_b32 exec_lo, exec_lo, s3
	v_mul_f32_e32 v8, v177, v8
	s_delay_alu instid0(VALU_DEP_1) | instskip(NEXT) | instid1(VALU_DEP_1)
	v_and_b32_e32 v47, 0x7f800000, v8
	v_cmp_ne_u32_e64 s2, 0x7f800000, v47
                                        ; implicit-def: $vgpr47
	s_delay_alu instid0(VALU_DEP_1) | instskip(NEXT) | instid1(SALU_CYCLE_1)
	s_and_saveexec_b32 s3, s2
	s_xor_b32 s2, exec_lo, s3
; %bb.187:                              ;   in Loop: Header=BB424_10 Depth=1
	v_bfe_u32 v47, v8, 16, 1
	s_delay_alu instid0(VALU_DEP_1)
	v_add3_u32 v47, v8, v47, 0x7fff
                                        ; implicit-def: $vgpr8
; %bb.188:                              ;   in Loop: Header=BB424_10 Depth=1
	s_and_not1_saveexec_b32 s3, s2
; %bb.189:                              ;   in Loop: Header=BB424_10 Depth=1
	v_and_b32_e32 v47, 0xffff, v8
	v_or_b32_e32 v57, 0x10000, v8
	s_delay_alu instid0(VALU_DEP_2) | instskip(NEXT) | instid1(VALU_DEP_1)
	v_cmp_eq_u32_e64 s2, 0, v47
	v_cndmask_b32_e64 v47, v57, v8, s2
; %bb.190:                              ;   in Loop: Header=BB424_10 Depth=1
	s_or_b32 exec_lo, exec_lo, s3
	v_mov_b32_e32 v8, 0
	s_mov_b32 s3, exec_lo
	v_cmpx_lt_u32_e32 0xffffff, v56
	s_cbranch_execz .LBB424_198
; %bb.191:                              ;   in Loop: Header=BB424_10 Depth=1
	v_lshrrev_b32_e32 v57, 24, v56
	v_bfrev_b32_e32 v8, 1
	s_mov_b32 s19, exec_lo
	s_delay_alu instid0(VALU_DEP_2)
	v_cmpx_ne_u32_e32 0x80, v57
	s_cbranch_execz .LBB424_197
; %bb.192:                              ;   in Loop: Header=BB424_10 Depth=1
	v_bfe_u32 v58, v56, 24, 7
	v_mov_b32_e32 v8, 0x7f800001
	s_mov_b32 s20, exec_lo
	s_delay_alu instid0(VALU_DEP_2)
	v_cmpx_ne_u32_e32 0x7f, v58
	s_cbranch_execz .LBB424_196
; %bb.193:                              ;   in Loop: Header=BB424_10 Depth=1
	v_and_b32_e32 v8, 7, v57
	v_lshrrev_b32_e32 v56, 3, v58
	s_mov_b32 s21, exec_lo
	v_cmpx_gt_u32_e32 8, v58
; %bb.194:                              ;   in Loop: Header=BB424_10 Depth=1
	s_delay_alu instid0(VALU_DEP_3) | instskip(NEXT) | instid1(VALU_DEP_1)
	v_clz_i32_u32_e32 v56, v8
	v_min_u32_e32 v56, 32, v56
	s_delay_alu instid0(VALU_DEP_1) | instskip(SKIP_1) | instid1(VALU_DEP_2)
	v_subrev_nc_u32_e32 v58, 28, v56
	v_sub_nc_u32_e32 v56, 29, v56
	v_lshlrev_b64 v[58:59], v58, v[8:9]
	s_delay_alu instid0(VALU_DEP_1)
	v_and_b32_e32 v8, 7, v58
; %bb.195:                              ;   in Loop: Header=BB424_10 Depth=1
	s_or_b32 exec_lo, exec_lo, s21
	v_lshlrev_b32_e32 v57, 24, v57
	s_delay_alu instid0(VALU_DEP_2) | instskip(SKIP_1) | instid1(VALU_DEP_3)
	v_lshlrev_b32_e32 v8, 20, v8
	v_lshl_add_u32 v56, v56, 23, 0x3c000000
	v_and_b32_e32 v57, 0x80000000, v57
	s_delay_alu instid0(VALU_DEP_1)
	v_or3_b32 v8, v8, v57, v56
.LBB424_196:                            ;   in Loop: Header=BB424_10 Depth=1
	s_or_b32 exec_lo, exec_lo, s20
.LBB424_197:                            ;   in Loop: Header=BB424_10 Depth=1
	s_delay_alu instid0(SALU_CYCLE_1)
	s_or_b32 exec_lo, exec_lo, s19
.LBB424_198:                            ;   in Loop: Header=BB424_10 Depth=1
	s_delay_alu instid0(SALU_CYCLE_1) | instskip(NEXT) | instid1(VALU_DEP_1)
	s_or_b32 exec_lo, exec_lo, s3
	v_mul_f32_e32 v8, v177, v8
	s_delay_alu instid0(VALU_DEP_1) | instskip(NEXT) | instid1(VALU_DEP_1)
	v_and_b32_e32 v56, 0x7f800000, v8
	v_cmp_ne_u32_e64 s2, 0x7f800000, v56
                                        ; implicit-def: $vgpr56
	s_delay_alu instid0(VALU_DEP_1) | instskip(NEXT) | instid1(SALU_CYCLE_1)
	s_and_saveexec_b32 s3, s2
	s_xor_b32 s2, exec_lo, s3
; %bb.199:                              ;   in Loop: Header=BB424_10 Depth=1
	v_bfe_u32 v56, v8, 16, 1
	s_delay_alu instid0(VALU_DEP_1)
	v_add3_u32 v56, v8, v56, 0x7fff
                                        ; implicit-def: $vgpr8
; %bb.200:                              ;   in Loop: Header=BB424_10 Depth=1
	s_and_not1_saveexec_b32 s3, s2
; %bb.201:                              ;   in Loop: Header=BB424_10 Depth=1
	v_and_b32_e32 v56, 0xffff, v8
	v_or_b32_e32 v57, 0x10000, v8
	s_delay_alu instid0(VALU_DEP_2) | instskip(NEXT) | instid1(VALU_DEP_1)
	v_cmp_eq_u32_e64 s2, 0, v56
	v_cndmask_b32_e64 v56, v57, v8, s2
; %bb.202:                              ;   in Loop: Header=BB424_10 Depth=1
	s_or_b32 exec_lo, exec_lo, s3
	flat_load_b32 v60, v[28:29] offset:512
	s_mov_b32 s3, exec_lo
	s_waitcnt vmcnt(0) lgkmcnt(0)
	v_dual_mov_b32 v8, 0 :: v_dual_and_b32 v57, 0xff, v60
	s_delay_alu instid0(VALU_DEP_1)
	v_cmpx_ne_u16_e32 0, v57
	s_cbranch_execz .LBB424_210
; %bb.203:                              ;   in Loop: Header=BB424_10 Depth=1
	v_bfrev_b32_e32 v8, 1
	s_mov_b32 s19, exec_lo
	v_cmpx_ne_u16_e32 0x80, v57
	s_cbranch_execz .LBB424_209
; %bb.204:                              ;   in Loop: Header=BB424_10 Depth=1
	v_and_b32_e32 v58, 0x7f, v60
	v_mov_b32_e32 v8, 0x7f800001
	s_mov_b32 s20, exec_lo
	s_delay_alu instid0(VALU_DEP_2)
	v_cmpx_ne_u32_e32 0x7f, v58
	s_cbranch_execz .LBB424_208
; %bb.205:                              ;   in Loop: Header=BB424_10 Depth=1
	v_and_b32_e32 v8, 7, v60
	v_lshrrev_b32_e32 v57, 3, v58
	s_mov_b32 s21, exec_lo
	v_cmpx_gt_u32_e32 8, v58
; %bb.206:                              ;   in Loop: Header=BB424_10 Depth=1
	s_delay_alu instid0(VALU_DEP_3) | instskip(NEXT) | instid1(VALU_DEP_1)
	v_clz_i32_u32_e32 v57, v8
	v_min_u32_e32 v57, 32, v57
	s_delay_alu instid0(VALU_DEP_1) | instskip(SKIP_1) | instid1(VALU_DEP_2)
	v_subrev_nc_u32_e32 v58, 28, v57
	v_sub_nc_u32_e32 v57, 29, v57
	v_lshlrev_b64 v[58:59], v58, v[8:9]
	s_delay_alu instid0(VALU_DEP_1)
	v_and_b32_e32 v8, 7, v58
; %bb.207:                              ;   in Loop: Header=BB424_10 Depth=1
	s_or_b32 exec_lo, exec_lo, s21
	v_lshlrev_b32_e32 v58, 24, v60
	s_delay_alu instid0(VALU_DEP_2) | instskip(SKIP_1) | instid1(VALU_DEP_3)
	v_lshlrev_b32_e32 v8, 20, v8
	v_lshl_add_u32 v57, v57, 23, 0x3c000000
	v_and_b32_e32 v58, 0x80000000, v58
	s_delay_alu instid0(VALU_DEP_1)
	v_or3_b32 v8, v8, v58, v57
.LBB424_208:                            ;   in Loop: Header=BB424_10 Depth=1
	s_or_b32 exec_lo, exec_lo, s20
.LBB424_209:                            ;   in Loop: Header=BB424_10 Depth=1
	s_delay_alu instid0(SALU_CYCLE_1)
	s_or_b32 exec_lo, exec_lo, s19
.LBB424_210:                            ;   in Loop: Header=BB424_10 Depth=1
	s_delay_alu instid0(SALU_CYCLE_1) | instskip(NEXT) | instid1(VALU_DEP_1)
	s_or_b32 exec_lo, exec_lo, s3
	v_mul_f32_e32 v8, v177, v8
	s_delay_alu instid0(VALU_DEP_1) | instskip(NEXT) | instid1(VALU_DEP_1)
	v_and_b32_e32 v57, 0x7f800000, v8
	v_cmp_ne_u32_e64 s2, 0x7f800000, v57
                                        ; implicit-def: $vgpr57
	s_delay_alu instid0(VALU_DEP_1) | instskip(NEXT) | instid1(SALU_CYCLE_1)
	s_and_saveexec_b32 s3, s2
	s_xor_b32 s2, exec_lo, s3
; %bb.211:                              ;   in Loop: Header=BB424_10 Depth=1
	v_bfe_u32 v57, v8, 16, 1
	s_delay_alu instid0(VALU_DEP_1)
	v_add3_u32 v57, v8, v57, 0x7fff
                                        ; implicit-def: $vgpr8
; %bb.212:                              ;   in Loop: Header=BB424_10 Depth=1
	s_and_not1_saveexec_b32 s3, s2
; %bb.213:                              ;   in Loop: Header=BB424_10 Depth=1
	v_and_b32_e32 v57, 0xffff, v8
	v_or_b32_e32 v58, 0x10000, v8
	s_delay_alu instid0(VALU_DEP_2) | instskip(NEXT) | instid1(VALU_DEP_1)
	v_cmp_eq_u32_e64 s2, 0, v57
	v_cndmask_b32_e64 v57, v58, v8, s2
; %bb.214:                              ;   in Loop: Header=BB424_10 Depth=1
	s_or_b32 exec_lo, exec_lo, s3
	v_lshrrev_b16 v58, 8, v60
	v_mov_b32_e32 v8, 0
	s_mov_b32 s3, exec_lo
	s_delay_alu instid0(VALU_DEP_2)
	v_cmpx_ne_u16_e32 0, v58
	s_cbranch_execz .LBB424_222
; %bb.215:                              ;   in Loop: Header=BB424_10 Depth=1
	v_bfrev_b32_e32 v8, 1
	s_mov_b32 s19, exec_lo
	v_cmpx_ne_u16_e32 0x80, v58
	s_cbranch_execz .LBB424_221
; %bb.216:                              ;   in Loop: Header=BB424_10 Depth=1
	v_and_b32_e32 v58, 0xffff, v58
	v_mov_b32_e32 v8, 0x7f800001
	s_mov_b32 s20, exec_lo
	s_delay_alu instid0(VALU_DEP_2) | instskip(NEXT) | instid1(VALU_DEP_1)
	v_and_b32_e32 v59, 0x7f, v58
	v_cmpx_ne_u32_e32 0x7f, v59
	s_cbranch_execz .LBB424_220
; %bb.217:                              ;   in Loop: Header=BB424_10 Depth=1
	v_and_b32_e32 v8, 7, v58
	v_lshrrev_b32_e32 v58, 3, v59
	s_mov_b32 s21, exec_lo
	v_cmpx_gt_u32_e32 8, v59
; %bb.218:                              ;   in Loop: Header=BB424_10 Depth=1
	s_delay_alu instid0(VALU_DEP_3) | instskip(NEXT) | instid1(VALU_DEP_1)
	v_clz_i32_u32_e32 v58, v8
	v_min_u32_e32 v58, 32, v58
	s_delay_alu instid0(VALU_DEP_1) | instskip(SKIP_1) | instid1(VALU_DEP_2)
	v_subrev_nc_u32_e32 v59, 28, v58
	v_sub_nc_u32_e32 v58, 29, v58
	v_lshlrev_b64 v[61:62], v59, v[8:9]
	s_delay_alu instid0(VALU_DEP_1)
	v_and_b32_e32 v8, 7, v61
; %bb.219:                              ;   in Loop: Header=BB424_10 Depth=1
	s_or_b32 exec_lo, exec_lo, s21
	v_lshlrev_b32_e32 v59, 16, v60
	s_delay_alu instid0(VALU_DEP_2) | instskip(SKIP_1) | instid1(VALU_DEP_3)
	v_lshlrev_b32_e32 v8, 20, v8
	v_lshl_add_u32 v58, v58, 23, 0x3c000000
	v_and_b32_e32 v59, 0x80000000, v59
	s_delay_alu instid0(VALU_DEP_1)
	v_or3_b32 v8, v8, v59, v58
.LBB424_220:                            ;   in Loop: Header=BB424_10 Depth=1
	s_or_b32 exec_lo, exec_lo, s20
.LBB424_221:                            ;   in Loop: Header=BB424_10 Depth=1
	s_delay_alu instid0(SALU_CYCLE_1)
	s_or_b32 exec_lo, exec_lo, s19
.LBB424_222:                            ;   in Loop: Header=BB424_10 Depth=1
	s_delay_alu instid0(SALU_CYCLE_1) | instskip(NEXT) | instid1(VALU_DEP_1)
	s_or_b32 exec_lo, exec_lo, s3
	v_mul_f32_e32 v8, v177, v8
	s_delay_alu instid0(VALU_DEP_1) | instskip(NEXT) | instid1(VALU_DEP_1)
	v_and_b32_e32 v58, 0x7f800000, v8
	v_cmp_ne_u32_e64 s2, 0x7f800000, v58
                                        ; implicit-def: $vgpr58
	s_delay_alu instid0(VALU_DEP_1) | instskip(NEXT) | instid1(SALU_CYCLE_1)
	s_and_saveexec_b32 s3, s2
	s_xor_b32 s2, exec_lo, s3
; %bb.223:                              ;   in Loop: Header=BB424_10 Depth=1
	v_bfe_u32 v58, v8, 16, 1
	s_delay_alu instid0(VALU_DEP_1)
	v_add3_u32 v58, v8, v58, 0x7fff
                                        ; implicit-def: $vgpr8
; %bb.224:                              ;   in Loop: Header=BB424_10 Depth=1
	s_and_not1_saveexec_b32 s3, s2
; %bb.225:                              ;   in Loop: Header=BB424_10 Depth=1
	v_and_b32_e32 v58, 0xffff, v8
	v_or_b32_e32 v59, 0x10000, v8
	s_delay_alu instid0(VALU_DEP_2) | instskip(NEXT) | instid1(VALU_DEP_1)
	v_cmp_eq_u32_e64 s2, 0, v58
	v_cndmask_b32_e64 v58, v59, v8, s2
; %bb.226:                              ;   in Loop: Header=BB424_10 Depth=1
	s_or_b32 exec_lo, exec_lo, s3
	v_lshrrev_b32_e32 v59, 16, v60
	s_mov_b32 s3, exec_lo
	s_delay_alu instid0(VALU_DEP_1) | instskip(NEXT) | instid1(VALU_DEP_1)
	v_dual_mov_b32 v8, 0 :: v_dual_and_b32 v61, 0xff, v59
	v_cmpx_ne_u16_e32 0, v61
	s_cbranch_execz .LBB424_234
; %bb.227:                              ;   in Loop: Header=BB424_10 Depth=1
	v_bfrev_b32_e32 v8, 1
	s_mov_b32 s19, exec_lo
	v_cmpx_ne_u16_e32 0x80, v61
	s_cbranch_execz .LBB424_233
; %bb.228:                              ;   in Loop: Header=BB424_10 Depth=1
	v_bfe_u32 v62, v60, 16, 7
	v_mov_b32_e32 v8, 0x7f800001
	s_mov_b32 s20, exec_lo
	s_delay_alu instid0(VALU_DEP_2)
	v_cmpx_ne_u32_e32 0x7f, v62
	s_cbranch_execz .LBB424_232
; %bb.229:                              ;   in Loop: Header=BB424_10 Depth=1
	v_and_b32_e32 v8, 7, v59
	v_lshrrev_b32_e32 v61, 3, v62
	s_mov_b32 s21, exec_lo
	v_cmpx_gt_u32_e32 8, v62
; %bb.230:                              ;   in Loop: Header=BB424_10 Depth=1
	s_delay_alu instid0(VALU_DEP_3) | instskip(NEXT) | instid1(VALU_DEP_1)
	v_clz_i32_u32_e32 v61, v8
	v_min_u32_e32 v61, 32, v61
	s_delay_alu instid0(VALU_DEP_1) | instskip(SKIP_1) | instid1(VALU_DEP_2)
	v_subrev_nc_u32_e32 v62, 28, v61
	v_sub_nc_u32_e32 v61, 29, v61
	v_lshlrev_b64 v[62:63], v62, v[8:9]
	s_delay_alu instid0(VALU_DEP_1)
	v_and_b32_e32 v8, 7, v62
; %bb.231:                              ;   in Loop: Header=BB424_10 Depth=1
	s_or_b32 exec_lo, exec_lo, s21
	v_lshlrev_b32_e32 v59, 24, v59
	s_delay_alu instid0(VALU_DEP_2) | instskip(SKIP_1) | instid1(VALU_DEP_3)
	v_lshlrev_b32_e32 v8, 20, v8
	v_lshl_add_u32 v61, v61, 23, 0x3c000000
	v_and_b32_e32 v59, 0x80000000, v59
	s_delay_alu instid0(VALU_DEP_1)
	v_or3_b32 v8, v8, v59, v61
.LBB424_232:                            ;   in Loop: Header=BB424_10 Depth=1
	s_or_b32 exec_lo, exec_lo, s20
.LBB424_233:                            ;   in Loop: Header=BB424_10 Depth=1
	s_delay_alu instid0(SALU_CYCLE_1)
	s_or_b32 exec_lo, exec_lo, s19
.LBB424_234:                            ;   in Loop: Header=BB424_10 Depth=1
	s_delay_alu instid0(SALU_CYCLE_1) | instskip(NEXT) | instid1(VALU_DEP_1)
	s_or_b32 exec_lo, exec_lo, s3
	v_mul_f32_e32 v8, v177, v8
	s_delay_alu instid0(VALU_DEP_1) | instskip(NEXT) | instid1(VALU_DEP_1)
	v_and_b32_e32 v59, 0x7f800000, v8
	v_cmp_ne_u32_e64 s2, 0x7f800000, v59
                                        ; implicit-def: $vgpr59
	s_delay_alu instid0(VALU_DEP_1) | instskip(NEXT) | instid1(SALU_CYCLE_1)
	s_and_saveexec_b32 s3, s2
	s_xor_b32 s2, exec_lo, s3
; %bb.235:                              ;   in Loop: Header=BB424_10 Depth=1
	v_bfe_u32 v59, v8, 16, 1
	s_delay_alu instid0(VALU_DEP_1)
	v_add3_u32 v59, v8, v59, 0x7fff
                                        ; implicit-def: $vgpr8
; %bb.236:                              ;   in Loop: Header=BB424_10 Depth=1
	s_and_not1_saveexec_b32 s3, s2
; %bb.237:                              ;   in Loop: Header=BB424_10 Depth=1
	v_and_b32_e32 v59, 0xffff, v8
	v_or_b32_e32 v61, 0x10000, v8
	s_delay_alu instid0(VALU_DEP_2) | instskip(NEXT) | instid1(VALU_DEP_1)
	v_cmp_eq_u32_e64 s2, 0, v59
	v_cndmask_b32_e64 v59, v61, v8, s2
; %bb.238:                              ;   in Loop: Header=BB424_10 Depth=1
	s_or_b32 exec_lo, exec_lo, s3
	v_mov_b32_e32 v8, 0
	s_mov_b32 s3, exec_lo
	v_cmpx_lt_u32_e32 0xffffff, v60
	s_cbranch_execz .LBB424_246
; %bb.239:                              ;   in Loop: Header=BB424_10 Depth=1
	v_lshrrev_b32_e32 v61, 24, v60
	v_bfrev_b32_e32 v8, 1
	s_mov_b32 s19, exec_lo
	s_delay_alu instid0(VALU_DEP_2)
	v_cmpx_ne_u32_e32 0x80, v61
	s_cbranch_execz .LBB424_245
; %bb.240:                              ;   in Loop: Header=BB424_10 Depth=1
	v_bfe_u32 v62, v60, 24, 7
	v_mov_b32_e32 v8, 0x7f800001
	s_mov_b32 s20, exec_lo
	s_delay_alu instid0(VALU_DEP_2)
	v_cmpx_ne_u32_e32 0x7f, v62
	s_cbranch_execz .LBB424_244
; %bb.241:                              ;   in Loop: Header=BB424_10 Depth=1
	v_and_b32_e32 v8, 7, v61
	v_lshrrev_b32_e32 v60, 3, v62
	s_mov_b32 s21, exec_lo
	v_cmpx_gt_u32_e32 8, v62
; %bb.242:                              ;   in Loop: Header=BB424_10 Depth=1
	s_delay_alu instid0(VALU_DEP_3) | instskip(NEXT) | instid1(VALU_DEP_1)
	v_clz_i32_u32_e32 v60, v8
	v_min_u32_e32 v60, 32, v60
	s_delay_alu instid0(VALU_DEP_1) | instskip(SKIP_1) | instid1(VALU_DEP_2)
	v_subrev_nc_u32_e32 v62, 28, v60
	v_sub_nc_u32_e32 v60, 29, v60
	v_lshlrev_b64 v[62:63], v62, v[8:9]
	s_delay_alu instid0(VALU_DEP_1)
	v_and_b32_e32 v8, 7, v62
; %bb.243:                              ;   in Loop: Header=BB424_10 Depth=1
	s_or_b32 exec_lo, exec_lo, s21
	v_lshlrev_b32_e32 v61, 24, v61
	s_delay_alu instid0(VALU_DEP_2) | instskip(SKIP_1) | instid1(VALU_DEP_3)
	v_lshlrev_b32_e32 v8, 20, v8
	v_lshl_add_u32 v60, v60, 23, 0x3c000000
	v_and_b32_e32 v61, 0x80000000, v61
	s_delay_alu instid0(VALU_DEP_1)
	v_or3_b32 v8, v8, v61, v60
.LBB424_244:                            ;   in Loop: Header=BB424_10 Depth=1
	s_or_b32 exec_lo, exec_lo, s20
.LBB424_245:                            ;   in Loop: Header=BB424_10 Depth=1
	s_delay_alu instid0(SALU_CYCLE_1)
	s_or_b32 exec_lo, exec_lo, s19
.LBB424_246:                            ;   in Loop: Header=BB424_10 Depth=1
	s_delay_alu instid0(SALU_CYCLE_1) | instskip(NEXT) | instid1(VALU_DEP_1)
	s_or_b32 exec_lo, exec_lo, s3
	v_mul_f32_e32 v8, v177, v8
	s_delay_alu instid0(VALU_DEP_1) | instskip(NEXT) | instid1(VALU_DEP_1)
	v_and_b32_e32 v60, 0x7f800000, v8
	v_cmp_ne_u32_e64 s2, 0x7f800000, v60
                                        ; implicit-def: $vgpr60
	s_delay_alu instid0(VALU_DEP_1) | instskip(NEXT) | instid1(SALU_CYCLE_1)
	s_and_saveexec_b32 s3, s2
	s_xor_b32 s2, exec_lo, s3
; %bb.247:                              ;   in Loop: Header=BB424_10 Depth=1
	v_bfe_u32 v60, v8, 16, 1
	s_delay_alu instid0(VALU_DEP_1)
	v_add3_u32 v60, v8, v60, 0x7fff
                                        ; implicit-def: $vgpr8
; %bb.248:                              ;   in Loop: Header=BB424_10 Depth=1
	s_and_not1_saveexec_b32 s3, s2
; %bb.249:                              ;   in Loop: Header=BB424_10 Depth=1
	v_and_b32_e32 v60, 0xffff, v8
	v_or_b32_e32 v61, 0x10000, v8
	s_delay_alu instid0(VALU_DEP_2) | instskip(NEXT) | instid1(VALU_DEP_1)
	v_cmp_eq_u32_e64 s2, 0, v60
	v_cndmask_b32_e64 v60, v61, v8, s2
; %bb.250:                              ;   in Loop: Header=BB424_10 Depth=1
	s_or_b32 exec_lo, exec_lo, s3
	flat_load_b32 v72, v[28:29] offset:520
	s_mov_b32 s3, exec_lo
	s_waitcnt vmcnt(0) lgkmcnt(0)
	v_dual_mov_b32 v8, 0 :: v_dual_and_b32 v61, 0xff, v72
	s_delay_alu instid0(VALU_DEP_1)
	v_cmpx_ne_u16_e32 0, v61
	s_cbranch_execz .LBB424_258
; %bb.251:                              ;   in Loop: Header=BB424_10 Depth=1
	v_bfrev_b32_e32 v8, 1
	s_mov_b32 s19, exec_lo
	v_cmpx_ne_u16_e32 0x80, v61
	s_cbranch_execz .LBB424_257
; %bb.252:                              ;   in Loop: Header=BB424_10 Depth=1
	v_and_b32_e32 v62, 0x7f, v72
	v_mov_b32_e32 v8, 0x7f800001
	s_mov_b32 s20, exec_lo
	s_delay_alu instid0(VALU_DEP_2)
	v_cmpx_ne_u32_e32 0x7f, v62
	s_cbranch_execz .LBB424_256
; %bb.253:                              ;   in Loop: Header=BB424_10 Depth=1
	v_and_b32_e32 v8, 7, v72
	v_lshrrev_b32_e32 v61, 3, v62
	s_mov_b32 s21, exec_lo
	v_cmpx_gt_u32_e32 8, v62
; %bb.254:                              ;   in Loop: Header=BB424_10 Depth=1
	s_delay_alu instid0(VALU_DEP_3) | instskip(NEXT) | instid1(VALU_DEP_1)
	v_clz_i32_u32_e32 v61, v8
	v_min_u32_e32 v61, 32, v61
	s_delay_alu instid0(VALU_DEP_1) | instskip(SKIP_1) | instid1(VALU_DEP_2)
	v_subrev_nc_u32_e32 v62, 28, v61
	v_sub_nc_u32_e32 v61, 29, v61
	v_lshlrev_b64 v[62:63], v62, v[8:9]
	s_delay_alu instid0(VALU_DEP_1)
	v_and_b32_e32 v8, 7, v62
; %bb.255:                              ;   in Loop: Header=BB424_10 Depth=1
	s_or_b32 exec_lo, exec_lo, s21
	v_lshlrev_b32_e32 v62, 24, v72
	s_delay_alu instid0(VALU_DEP_2) | instskip(SKIP_1) | instid1(VALU_DEP_3)
	v_lshlrev_b32_e32 v8, 20, v8
	v_lshl_add_u32 v61, v61, 23, 0x3c000000
	v_and_b32_e32 v62, 0x80000000, v62
	s_delay_alu instid0(VALU_DEP_1)
	v_or3_b32 v8, v8, v62, v61
.LBB424_256:                            ;   in Loop: Header=BB424_10 Depth=1
	s_or_b32 exec_lo, exec_lo, s20
.LBB424_257:                            ;   in Loop: Header=BB424_10 Depth=1
	s_delay_alu instid0(SALU_CYCLE_1)
	s_or_b32 exec_lo, exec_lo, s19
.LBB424_258:                            ;   in Loop: Header=BB424_10 Depth=1
	s_delay_alu instid0(SALU_CYCLE_1) | instskip(NEXT) | instid1(VALU_DEP_1)
	s_or_b32 exec_lo, exec_lo, s3
	v_mul_f32_e32 v8, v177, v8
	s_delay_alu instid0(VALU_DEP_1) | instskip(NEXT) | instid1(VALU_DEP_1)
	v_and_b32_e32 v61, 0x7f800000, v8
	v_cmp_ne_u32_e64 s2, 0x7f800000, v61
                                        ; implicit-def: $vgpr61
	s_delay_alu instid0(VALU_DEP_1) | instskip(NEXT) | instid1(SALU_CYCLE_1)
	s_and_saveexec_b32 s3, s2
	s_xor_b32 s2, exec_lo, s3
; %bb.259:                              ;   in Loop: Header=BB424_10 Depth=1
	v_bfe_u32 v61, v8, 16, 1
	s_delay_alu instid0(VALU_DEP_1)
	v_add3_u32 v61, v8, v61, 0x7fff
                                        ; implicit-def: $vgpr8
; %bb.260:                              ;   in Loop: Header=BB424_10 Depth=1
	s_and_not1_saveexec_b32 s3, s2
; %bb.261:                              ;   in Loop: Header=BB424_10 Depth=1
	v_and_b32_e32 v61, 0xffff, v8
	v_or_b32_e32 v62, 0x10000, v8
	s_delay_alu instid0(VALU_DEP_2) | instskip(NEXT) | instid1(VALU_DEP_1)
	v_cmp_eq_u32_e64 s2, 0, v61
	v_cndmask_b32_e64 v61, v62, v8, s2
; %bb.262:                              ;   in Loop: Header=BB424_10 Depth=1
	s_or_b32 exec_lo, exec_lo, s3
	v_lshrrev_b16 v62, 8, v72
	v_mov_b32_e32 v8, 0
	s_mov_b32 s3, exec_lo
	s_delay_alu instid0(VALU_DEP_2)
	v_cmpx_ne_u16_e32 0, v62
	s_cbranch_execz .LBB424_270
; %bb.263:                              ;   in Loop: Header=BB424_10 Depth=1
	v_bfrev_b32_e32 v8, 1
	s_mov_b32 s19, exec_lo
	v_cmpx_ne_u16_e32 0x80, v62
	s_cbranch_execz .LBB424_269
; %bb.264:                              ;   in Loop: Header=BB424_10 Depth=1
	v_and_b32_e32 v62, 0xffff, v62
	v_mov_b32_e32 v8, 0x7f800001
	s_mov_b32 s20, exec_lo
	s_delay_alu instid0(VALU_DEP_2) | instskip(NEXT) | instid1(VALU_DEP_1)
	v_and_b32_e32 v63, 0x7f, v62
	v_cmpx_ne_u32_e32 0x7f, v63
	s_cbranch_execz .LBB424_268
; %bb.265:                              ;   in Loop: Header=BB424_10 Depth=1
	v_and_b32_e32 v8, 7, v62
	v_lshrrev_b32_e32 v62, 3, v63
	s_mov_b32 s21, exec_lo
	v_cmpx_gt_u32_e32 8, v63
; %bb.266:                              ;   in Loop: Header=BB424_10 Depth=1
	s_delay_alu instid0(VALU_DEP_3) | instskip(NEXT) | instid1(VALU_DEP_1)
	v_clz_i32_u32_e32 v62, v8
	v_min_u32_e32 v62, 32, v62
	s_delay_alu instid0(VALU_DEP_1) | instskip(SKIP_1) | instid1(VALU_DEP_2)
	v_subrev_nc_u32_e32 v63, 28, v62
	v_sub_nc_u32_e32 v62, 29, v62
	v_lshlrev_b64 v[73:74], v63, v[8:9]
	s_delay_alu instid0(VALU_DEP_1)
	v_and_b32_e32 v8, 7, v73
; %bb.267:                              ;   in Loop: Header=BB424_10 Depth=1
	s_or_b32 exec_lo, exec_lo, s21
	v_lshlrev_b32_e32 v63, 16, v72
	s_delay_alu instid0(VALU_DEP_2) | instskip(SKIP_1) | instid1(VALU_DEP_3)
	v_lshlrev_b32_e32 v8, 20, v8
	v_lshl_add_u32 v62, v62, 23, 0x3c000000
	v_and_b32_e32 v63, 0x80000000, v63
	s_delay_alu instid0(VALU_DEP_1)
	v_or3_b32 v8, v8, v63, v62
.LBB424_268:                            ;   in Loop: Header=BB424_10 Depth=1
	s_or_b32 exec_lo, exec_lo, s20
.LBB424_269:                            ;   in Loop: Header=BB424_10 Depth=1
	s_delay_alu instid0(SALU_CYCLE_1)
	s_or_b32 exec_lo, exec_lo, s19
.LBB424_270:                            ;   in Loop: Header=BB424_10 Depth=1
	s_delay_alu instid0(SALU_CYCLE_1) | instskip(NEXT) | instid1(VALU_DEP_1)
	s_or_b32 exec_lo, exec_lo, s3
	v_mul_f32_e32 v8, v177, v8
	s_delay_alu instid0(VALU_DEP_1) | instskip(NEXT) | instid1(VALU_DEP_1)
	v_and_b32_e32 v62, 0x7f800000, v8
	v_cmp_ne_u32_e64 s2, 0x7f800000, v62
                                        ; implicit-def: $vgpr62
	s_delay_alu instid0(VALU_DEP_1) | instskip(NEXT) | instid1(SALU_CYCLE_1)
	s_and_saveexec_b32 s3, s2
	s_xor_b32 s2, exec_lo, s3
; %bb.271:                              ;   in Loop: Header=BB424_10 Depth=1
	v_bfe_u32 v62, v8, 16, 1
	s_delay_alu instid0(VALU_DEP_1)
	v_add3_u32 v62, v8, v62, 0x7fff
                                        ; implicit-def: $vgpr8
; %bb.272:                              ;   in Loop: Header=BB424_10 Depth=1
	s_and_not1_saveexec_b32 s3, s2
; %bb.273:                              ;   in Loop: Header=BB424_10 Depth=1
	v_and_b32_e32 v62, 0xffff, v8
	v_or_b32_e32 v63, 0x10000, v8
	s_delay_alu instid0(VALU_DEP_2) | instskip(NEXT) | instid1(VALU_DEP_1)
	v_cmp_eq_u32_e64 s2, 0, v62
	v_cndmask_b32_e64 v62, v63, v8, s2
; %bb.274:                              ;   in Loop: Header=BB424_10 Depth=1
	s_or_b32 exec_lo, exec_lo, s3
	v_lshrrev_b32_e32 v63, 16, v72
	s_mov_b32 s3, exec_lo
	s_delay_alu instid0(VALU_DEP_1) | instskip(NEXT) | instid1(VALU_DEP_1)
	v_dual_mov_b32 v8, 0 :: v_dual_and_b32 v73, 0xff, v63
	v_cmpx_ne_u16_e32 0, v73
	s_cbranch_execz .LBB424_282
; %bb.275:                              ;   in Loop: Header=BB424_10 Depth=1
	v_bfrev_b32_e32 v8, 1
	s_mov_b32 s19, exec_lo
	v_cmpx_ne_u16_e32 0x80, v73
	s_cbranch_execz .LBB424_281
; %bb.276:                              ;   in Loop: Header=BB424_10 Depth=1
	v_bfe_u32 v74, v72, 16, 7
	v_mov_b32_e32 v8, 0x7f800001
	s_mov_b32 s20, exec_lo
	s_delay_alu instid0(VALU_DEP_2)
	v_cmpx_ne_u32_e32 0x7f, v74
	s_cbranch_execz .LBB424_280
; %bb.277:                              ;   in Loop: Header=BB424_10 Depth=1
	v_and_b32_e32 v8, 7, v63
	v_lshrrev_b32_e32 v73, 3, v74
	s_mov_b32 s21, exec_lo
	v_cmpx_gt_u32_e32 8, v74
; %bb.278:                              ;   in Loop: Header=BB424_10 Depth=1
	s_delay_alu instid0(VALU_DEP_3) | instskip(NEXT) | instid1(VALU_DEP_1)
	v_clz_i32_u32_e32 v73, v8
	v_min_u32_e32 v73, 32, v73
	s_delay_alu instid0(VALU_DEP_1) | instskip(SKIP_1) | instid1(VALU_DEP_2)
	v_subrev_nc_u32_e32 v74, 28, v73
	v_sub_nc_u32_e32 v73, 29, v73
	v_lshlrev_b64 v[74:75], v74, v[8:9]
	s_delay_alu instid0(VALU_DEP_1)
	v_and_b32_e32 v8, 7, v74
; %bb.279:                              ;   in Loop: Header=BB424_10 Depth=1
	s_or_b32 exec_lo, exec_lo, s21
	v_lshlrev_b32_e32 v63, 24, v63
	s_delay_alu instid0(VALU_DEP_2) | instskip(SKIP_1) | instid1(VALU_DEP_3)
	v_lshlrev_b32_e32 v8, 20, v8
	v_lshl_add_u32 v73, v73, 23, 0x3c000000
	v_and_b32_e32 v63, 0x80000000, v63
	s_delay_alu instid0(VALU_DEP_1)
	v_or3_b32 v8, v8, v63, v73
.LBB424_280:                            ;   in Loop: Header=BB424_10 Depth=1
	s_or_b32 exec_lo, exec_lo, s20
.LBB424_281:                            ;   in Loop: Header=BB424_10 Depth=1
	s_delay_alu instid0(SALU_CYCLE_1)
	s_or_b32 exec_lo, exec_lo, s19
.LBB424_282:                            ;   in Loop: Header=BB424_10 Depth=1
	s_delay_alu instid0(SALU_CYCLE_1) | instskip(NEXT) | instid1(VALU_DEP_1)
	s_or_b32 exec_lo, exec_lo, s3
	v_mul_f32_e32 v8, v177, v8
	s_delay_alu instid0(VALU_DEP_1) | instskip(NEXT) | instid1(VALU_DEP_1)
	v_and_b32_e32 v63, 0x7f800000, v8
	v_cmp_ne_u32_e64 s2, 0x7f800000, v63
                                        ; implicit-def: $vgpr63
	s_delay_alu instid0(VALU_DEP_1) | instskip(NEXT) | instid1(SALU_CYCLE_1)
	s_and_saveexec_b32 s3, s2
	s_xor_b32 s2, exec_lo, s3
; %bb.283:                              ;   in Loop: Header=BB424_10 Depth=1
	v_bfe_u32 v63, v8, 16, 1
	s_delay_alu instid0(VALU_DEP_1)
	v_add3_u32 v63, v8, v63, 0x7fff
                                        ; implicit-def: $vgpr8
; %bb.284:                              ;   in Loop: Header=BB424_10 Depth=1
	s_and_not1_saveexec_b32 s3, s2
; %bb.285:                              ;   in Loop: Header=BB424_10 Depth=1
	v_and_b32_e32 v63, 0xffff, v8
	v_or_b32_e32 v73, 0x10000, v8
	s_delay_alu instid0(VALU_DEP_2) | instskip(NEXT) | instid1(VALU_DEP_1)
	v_cmp_eq_u32_e64 s2, 0, v63
	v_cndmask_b32_e64 v63, v73, v8, s2
; %bb.286:                              ;   in Loop: Header=BB424_10 Depth=1
	s_or_b32 exec_lo, exec_lo, s3
	v_mov_b32_e32 v8, 0
	s_mov_b32 s3, exec_lo
	v_cmpx_lt_u32_e32 0xffffff, v72
	s_cbranch_execz .LBB424_294
; %bb.287:                              ;   in Loop: Header=BB424_10 Depth=1
	v_lshrrev_b32_e32 v73, 24, v72
	v_bfrev_b32_e32 v8, 1
	s_mov_b32 s19, exec_lo
	s_delay_alu instid0(VALU_DEP_2)
	v_cmpx_ne_u32_e32 0x80, v73
	s_cbranch_execz .LBB424_293
; %bb.288:                              ;   in Loop: Header=BB424_10 Depth=1
	v_bfe_u32 v74, v72, 24, 7
	v_mov_b32_e32 v8, 0x7f800001
	s_mov_b32 s20, exec_lo
	s_delay_alu instid0(VALU_DEP_2)
	v_cmpx_ne_u32_e32 0x7f, v74
	s_cbranch_execz .LBB424_292
; %bb.289:                              ;   in Loop: Header=BB424_10 Depth=1
	v_and_b32_e32 v8, 7, v73
	v_lshrrev_b32_e32 v72, 3, v74
	s_mov_b32 s21, exec_lo
	v_cmpx_gt_u32_e32 8, v74
; %bb.290:                              ;   in Loop: Header=BB424_10 Depth=1
	s_delay_alu instid0(VALU_DEP_3) | instskip(NEXT) | instid1(VALU_DEP_1)
	v_clz_i32_u32_e32 v72, v8
	v_min_u32_e32 v72, 32, v72
	s_delay_alu instid0(VALU_DEP_1) | instskip(SKIP_1) | instid1(VALU_DEP_2)
	v_subrev_nc_u32_e32 v74, 28, v72
	v_sub_nc_u32_e32 v72, 29, v72
	v_lshlrev_b64 v[74:75], v74, v[8:9]
	s_delay_alu instid0(VALU_DEP_1)
	v_and_b32_e32 v8, 7, v74
; %bb.291:                              ;   in Loop: Header=BB424_10 Depth=1
	s_or_b32 exec_lo, exec_lo, s21
	v_lshlrev_b32_e32 v73, 24, v73
	s_delay_alu instid0(VALU_DEP_2) | instskip(SKIP_1) | instid1(VALU_DEP_3)
	v_lshlrev_b32_e32 v8, 20, v8
	v_lshl_add_u32 v72, v72, 23, 0x3c000000
	v_and_b32_e32 v73, 0x80000000, v73
	s_delay_alu instid0(VALU_DEP_1)
	v_or3_b32 v8, v8, v73, v72
.LBB424_292:                            ;   in Loop: Header=BB424_10 Depth=1
	s_or_b32 exec_lo, exec_lo, s20
.LBB424_293:                            ;   in Loop: Header=BB424_10 Depth=1
	s_delay_alu instid0(SALU_CYCLE_1)
	s_or_b32 exec_lo, exec_lo, s19
.LBB424_294:                            ;   in Loop: Header=BB424_10 Depth=1
	s_delay_alu instid0(SALU_CYCLE_1) | instskip(NEXT) | instid1(VALU_DEP_1)
	s_or_b32 exec_lo, exec_lo, s3
	v_mul_f32_e32 v8, v177, v8
	s_delay_alu instid0(VALU_DEP_1) | instskip(NEXT) | instid1(VALU_DEP_1)
	v_and_b32_e32 v72, 0x7f800000, v8
	v_cmp_ne_u32_e64 s2, 0x7f800000, v72
                                        ; implicit-def: $vgpr72
	s_delay_alu instid0(VALU_DEP_1) | instskip(NEXT) | instid1(SALU_CYCLE_1)
	s_and_saveexec_b32 s3, s2
	s_xor_b32 s2, exec_lo, s3
; %bb.295:                              ;   in Loop: Header=BB424_10 Depth=1
	v_bfe_u32 v72, v8, 16, 1
	s_delay_alu instid0(VALU_DEP_1)
	v_add3_u32 v72, v8, v72, 0x7fff
                                        ; implicit-def: $vgpr8
; %bb.296:                              ;   in Loop: Header=BB424_10 Depth=1
	s_and_not1_saveexec_b32 s3, s2
; %bb.297:                              ;   in Loop: Header=BB424_10 Depth=1
	v_and_b32_e32 v72, 0xffff, v8
	v_or_b32_e32 v73, 0x10000, v8
	s_delay_alu instid0(VALU_DEP_2) | instskip(NEXT) | instid1(VALU_DEP_1)
	v_cmp_eq_u32_e64 s2, 0, v72
	v_cndmask_b32_e64 v72, v73, v8, s2
; %bb.298:                              ;   in Loop: Header=BB424_10 Depth=1
	s_or_b32 exec_lo, exec_lo, s3
	flat_load_b32 v76, v[28:29] offset:768
	s_mov_b32 s3, exec_lo
	s_waitcnt vmcnt(0) lgkmcnt(0)
	v_dual_mov_b32 v8, 0 :: v_dual_and_b32 v73, 0xff, v76
	s_delay_alu instid0(VALU_DEP_1)
	v_cmpx_ne_u16_e32 0, v73
	s_cbranch_execz .LBB424_306
; %bb.299:                              ;   in Loop: Header=BB424_10 Depth=1
	v_bfrev_b32_e32 v8, 1
	s_mov_b32 s19, exec_lo
	v_cmpx_ne_u16_e32 0x80, v73
	s_cbranch_execz .LBB424_305
; %bb.300:                              ;   in Loop: Header=BB424_10 Depth=1
	v_and_b32_e32 v74, 0x7f, v76
	v_mov_b32_e32 v8, 0x7f800001
	s_mov_b32 s20, exec_lo
	s_delay_alu instid0(VALU_DEP_2)
	v_cmpx_ne_u32_e32 0x7f, v74
	s_cbranch_execz .LBB424_304
; %bb.301:                              ;   in Loop: Header=BB424_10 Depth=1
	v_and_b32_e32 v8, 7, v76
	v_lshrrev_b32_e32 v73, 3, v74
	s_mov_b32 s21, exec_lo
	v_cmpx_gt_u32_e32 8, v74
; %bb.302:                              ;   in Loop: Header=BB424_10 Depth=1
	s_delay_alu instid0(VALU_DEP_3) | instskip(NEXT) | instid1(VALU_DEP_1)
	v_clz_i32_u32_e32 v73, v8
	v_min_u32_e32 v73, 32, v73
	s_delay_alu instid0(VALU_DEP_1) | instskip(SKIP_1) | instid1(VALU_DEP_2)
	v_subrev_nc_u32_e32 v74, 28, v73
	v_sub_nc_u32_e32 v73, 29, v73
	v_lshlrev_b64 v[74:75], v74, v[8:9]
	s_delay_alu instid0(VALU_DEP_1)
	v_and_b32_e32 v8, 7, v74
; %bb.303:                              ;   in Loop: Header=BB424_10 Depth=1
	s_or_b32 exec_lo, exec_lo, s21
	v_lshlrev_b32_e32 v74, 24, v76
	s_delay_alu instid0(VALU_DEP_2) | instskip(SKIP_1) | instid1(VALU_DEP_3)
	v_lshlrev_b32_e32 v8, 20, v8
	v_lshl_add_u32 v73, v73, 23, 0x3c000000
	v_and_b32_e32 v74, 0x80000000, v74
	s_delay_alu instid0(VALU_DEP_1)
	v_or3_b32 v8, v8, v74, v73
.LBB424_304:                            ;   in Loop: Header=BB424_10 Depth=1
	s_or_b32 exec_lo, exec_lo, s20
.LBB424_305:                            ;   in Loop: Header=BB424_10 Depth=1
	s_delay_alu instid0(SALU_CYCLE_1)
	s_or_b32 exec_lo, exec_lo, s19
.LBB424_306:                            ;   in Loop: Header=BB424_10 Depth=1
	s_delay_alu instid0(SALU_CYCLE_1) | instskip(NEXT) | instid1(VALU_DEP_1)
	s_or_b32 exec_lo, exec_lo, s3
	v_mul_f32_e32 v8, v177, v8
	s_delay_alu instid0(VALU_DEP_1) | instskip(NEXT) | instid1(VALU_DEP_1)
	v_and_b32_e32 v73, 0x7f800000, v8
	v_cmp_ne_u32_e64 s2, 0x7f800000, v73
                                        ; implicit-def: $vgpr73
	s_delay_alu instid0(VALU_DEP_1) | instskip(NEXT) | instid1(SALU_CYCLE_1)
	s_and_saveexec_b32 s3, s2
	s_xor_b32 s2, exec_lo, s3
; %bb.307:                              ;   in Loop: Header=BB424_10 Depth=1
	v_bfe_u32 v73, v8, 16, 1
	s_delay_alu instid0(VALU_DEP_1)
	v_add3_u32 v73, v8, v73, 0x7fff
                                        ; implicit-def: $vgpr8
; %bb.308:                              ;   in Loop: Header=BB424_10 Depth=1
	s_and_not1_saveexec_b32 s3, s2
; %bb.309:                              ;   in Loop: Header=BB424_10 Depth=1
	v_and_b32_e32 v73, 0xffff, v8
	v_or_b32_e32 v74, 0x10000, v8
	s_delay_alu instid0(VALU_DEP_2) | instskip(NEXT) | instid1(VALU_DEP_1)
	v_cmp_eq_u32_e64 s2, 0, v73
	v_cndmask_b32_e64 v73, v74, v8, s2
; %bb.310:                              ;   in Loop: Header=BB424_10 Depth=1
	s_or_b32 exec_lo, exec_lo, s3
	v_lshrrev_b16 v74, 8, v76
	v_mov_b32_e32 v8, 0
	s_mov_b32 s3, exec_lo
	s_delay_alu instid0(VALU_DEP_2)
	v_cmpx_ne_u16_e32 0, v74
	s_cbranch_execz .LBB424_318
; %bb.311:                              ;   in Loop: Header=BB424_10 Depth=1
	v_bfrev_b32_e32 v8, 1
	s_mov_b32 s19, exec_lo
	v_cmpx_ne_u16_e32 0x80, v74
	s_cbranch_execz .LBB424_317
; %bb.312:                              ;   in Loop: Header=BB424_10 Depth=1
	v_and_b32_e32 v74, 0xffff, v74
	v_mov_b32_e32 v8, 0x7f800001
	s_mov_b32 s20, exec_lo
	s_delay_alu instid0(VALU_DEP_2) | instskip(NEXT) | instid1(VALU_DEP_1)
	v_and_b32_e32 v75, 0x7f, v74
	v_cmpx_ne_u32_e32 0x7f, v75
	s_cbranch_execz .LBB424_316
; %bb.313:                              ;   in Loop: Header=BB424_10 Depth=1
	v_and_b32_e32 v8, 7, v74
	v_lshrrev_b32_e32 v74, 3, v75
	s_mov_b32 s21, exec_lo
	v_cmpx_gt_u32_e32 8, v75
; %bb.314:                              ;   in Loop: Header=BB424_10 Depth=1
	s_delay_alu instid0(VALU_DEP_3) | instskip(NEXT) | instid1(VALU_DEP_1)
	v_clz_i32_u32_e32 v74, v8
	v_min_u32_e32 v74, 32, v74
	s_delay_alu instid0(VALU_DEP_1) | instskip(SKIP_1) | instid1(VALU_DEP_2)
	v_subrev_nc_u32_e32 v75, 28, v74
	v_sub_nc_u32_e32 v74, 29, v74
	v_lshlrev_b64 v[77:78], v75, v[8:9]
	s_delay_alu instid0(VALU_DEP_1)
	v_and_b32_e32 v8, 7, v77
; %bb.315:                              ;   in Loop: Header=BB424_10 Depth=1
	s_or_b32 exec_lo, exec_lo, s21
	v_lshlrev_b32_e32 v75, 16, v76
	s_delay_alu instid0(VALU_DEP_2) | instskip(SKIP_1) | instid1(VALU_DEP_3)
	v_lshlrev_b32_e32 v8, 20, v8
	v_lshl_add_u32 v74, v74, 23, 0x3c000000
	v_and_b32_e32 v75, 0x80000000, v75
	s_delay_alu instid0(VALU_DEP_1)
	v_or3_b32 v8, v8, v75, v74
.LBB424_316:                            ;   in Loop: Header=BB424_10 Depth=1
	s_or_b32 exec_lo, exec_lo, s20
.LBB424_317:                            ;   in Loop: Header=BB424_10 Depth=1
	s_delay_alu instid0(SALU_CYCLE_1)
	s_or_b32 exec_lo, exec_lo, s19
.LBB424_318:                            ;   in Loop: Header=BB424_10 Depth=1
	s_delay_alu instid0(SALU_CYCLE_1) | instskip(NEXT) | instid1(VALU_DEP_1)
	s_or_b32 exec_lo, exec_lo, s3
	v_mul_f32_e32 v8, v177, v8
	s_delay_alu instid0(VALU_DEP_1) | instskip(NEXT) | instid1(VALU_DEP_1)
	v_and_b32_e32 v74, 0x7f800000, v8
	v_cmp_ne_u32_e64 s2, 0x7f800000, v74
                                        ; implicit-def: $vgpr74
	s_delay_alu instid0(VALU_DEP_1) | instskip(NEXT) | instid1(SALU_CYCLE_1)
	s_and_saveexec_b32 s3, s2
	s_xor_b32 s2, exec_lo, s3
; %bb.319:                              ;   in Loop: Header=BB424_10 Depth=1
	v_bfe_u32 v74, v8, 16, 1
	s_delay_alu instid0(VALU_DEP_1)
	v_add3_u32 v74, v8, v74, 0x7fff
                                        ; implicit-def: $vgpr8
; %bb.320:                              ;   in Loop: Header=BB424_10 Depth=1
	s_and_not1_saveexec_b32 s3, s2
; %bb.321:                              ;   in Loop: Header=BB424_10 Depth=1
	v_and_b32_e32 v74, 0xffff, v8
	v_or_b32_e32 v75, 0x10000, v8
	s_delay_alu instid0(VALU_DEP_2) | instskip(NEXT) | instid1(VALU_DEP_1)
	v_cmp_eq_u32_e64 s2, 0, v74
	v_cndmask_b32_e64 v74, v75, v8, s2
; %bb.322:                              ;   in Loop: Header=BB424_10 Depth=1
	s_or_b32 exec_lo, exec_lo, s3
	v_lshrrev_b32_e32 v75, 16, v76
	s_mov_b32 s3, exec_lo
	s_delay_alu instid0(VALU_DEP_1) | instskip(NEXT) | instid1(VALU_DEP_1)
	v_dual_mov_b32 v8, 0 :: v_dual_and_b32 v77, 0xff, v75
	v_cmpx_ne_u16_e32 0, v77
	s_cbranch_execz .LBB424_330
; %bb.323:                              ;   in Loop: Header=BB424_10 Depth=1
	v_bfrev_b32_e32 v8, 1
	s_mov_b32 s19, exec_lo
	v_cmpx_ne_u16_e32 0x80, v77
	s_cbranch_execz .LBB424_329
; %bb.324:                              ;   in Loop: Header=BB424_10 Depth=1
	v_bfe_u32 v78, v76, 16, 7
	v_mov_b32_e32 v8, 0x7f800001
	s_mov_b32 s20, exec_lo
	s_delay_alu instid0(VALU_DEP_2)
	v_cmpx_ne_u32_e32 0x7f, v78
	s_cbranch_execz .LBB424_328
; %bb.325:                              ;   in Loop: Header=BB424_10 Depth=1
	v_and_b32_e32 v8, 7, v75
	v_lshrrev_b32_e32 v77, 3, v78
	s_mov_b32 s21, exec_lo
	v_cmpx_gt_u32_e32 8, v78
; %bb.326:                              ;   in Loop: Header=BB424_10 Depth=1
	s_delay_alu instid0(VALU_DEP_3) | instskip(NEXT) | instid1(VALU_DEP_1)
	v_clz_i32_u32_e32 v77, v8
	v_min_u32_e32 v77, 32, v77
	s_delay_alu instid0(VALU_DEP_1) | instskip(SKIP_1) | instid1(VALU_DEP_2)
	v_subrev_nc_u32_e32 v78, 28, v77
	v_sub_nc_u32_e32 v77, 29, v77
	v_lshlrev_b64 v[78:79], v78, v[8:9]
	s_delay_alu instid0(VALU_DEP_1)
	v_and_b32_e32 v8, 7, v78
; %bb.327:                              ;   in Loop: Header=BB424_10 Depth=1
	s_or_b32 exec_lo, exec_lo, s21
	v_lshlrev_b32_e32 v75, 24, v75
	s_delay_alu instid0(VALU_DEP_2) | instskip(SKIP_1) | instid1(VALU_DEP_3)
	v_lshlrev_b32_e32 v8, 20, v8
	v_lshl_add_u32 v77, v77, 23, 0x3c000000
	v_and_b32_e32 v75, 0x80000000, v75
	s_delay_alu instid0(VALU_DEP_1)
	v_or3_b32 v8, v8, v75, v77
.LBB424_328:                            ;   in Loop: Header=BB424_10 Depth=1
	s_or_b32 exec_lo, exec_lo, s20
.LBB424_329:                            ;   in Loop: Header=BB424_10 Depth=1
	s_delay_alu instid0(SALU_CYCLE_1)
	s_or_b32 exec_lo, exec_lo, s19
.LBB424_330:                            ;   in Loop: Header=BB424_10 Depth=1
	s_delay_alu instid0(SALU_CYCLE_1) | instskip(NEXT) | instid1(VALU_DEP_1)
	s_or_b32 exec_lo, exec_lo, s3
	v_mul_f32_e32 v8, v177, v8
	s_delay_alu instid0(VALU_DEP_1) | instskip(NEXT) | instid1(VALU_DEP_1)
	v_and_b32_e32 v75, 0x7f800000, v8
	v_cmp_ne_u32_e64 s2, 0x7f800000, v75
                                        ; implicit-def: $vgpr75
	s_delay_alu instid0(VALU_DEP_1) | instskip(NEXT) | instid1(SALU_CYCLE_1)
	s_and_saveexec_b32 s3, s2
	s_xor_b32 s2, exec_lo, s3
; %bb.331:                              ;   in Loop: Header=BB424_10 Depth=1
	v_bfe_u32 v75, v8, 16, 1
	s_delay_alu instid0(VALU_DEP_1)
	v_add3_u32 v75, v8, v75, 0x7fff
                                        ; implicit-def: $vgpr8
; %bb.332:                              ;   in Loop: Header=BB424_10 Depth=1
	s_and_not1_saveexec_b32 s3, s2
; %bb.333:                              ;   in Loop: Header=BB424_10 Depth=1
	v_and_b32_e32 v75, 0xffff, v8
	v_or_b32_e32 v77, 0x10000, v8
	s_delay_alu instid0(VALU_DEP_2) | instskip(NEXT) | instid1(VALU_DEP_1)
	v_cmp_eq_u32_e64 s2, 0, v75
	v_cndmask_b32_e64 v75, v77, v8, s2
; %bb.334:                              ;   in Loop: Header=BB424_10 Depth=1
	s_or_b32 exec_lo, exec_lo, s3
	v_mov_b32_e32 v8, 0
	s_mov_b32 s3, exec_lo
	v_cmpx_lt_u32_e32 0xffffff, v76
	s_cbranch_execz .LBB424_342
; %bb.335:                              ;   in Loop: Header=BB424_10 Depth=1
	v_lshrrev_b32_e32 v77, 24, v76
	v_bfrev_b32_e32 v8, 1
	s_mov_b32 s19, exec_lo
	s_delay_alu instid0(VALU_DEP_2)
	v_cmpx_ne_u32_e32 0x80, v77
	s_cbranch_execz .LBB424_341
; %bb.336:                              ;   in Loop: Header=BB424_10 Depth=1
	v_bfe_u32 v78, v76, 24, 7
	v_mov_b32_e32 v8, 0x7f800001
	s_mov_b32 s20, exec_lo
	s_delay_alu instid0(VALU_DEP_2)
	v_cmpx_ne_u32_e32 0x7f, v78
	s_cbranch_execz .LBB424_340
; %bb.337:                              ;   in Loop: Header=BB424_10 Depth=1
	v_and_b32_e32 v8, 7, v77
	v_lshrrev_b32_e32 v76, 3, v78
	s_mov_b32 s21, exec_lo
	v_cmpx_gt_u32_e32 8, v78
; %bb.338:                              ;   in Loop: Header=BB424_10 Depth=1
	s_delay_alu instid0(VALU_DEP_3) | instskip(NEXT) | instid1(VALU_DEP_1)
	v_clz_i32_u32_e32 v76, v8
	v_min_u32_e32 v76, 32, v76
	s_delay_alu instid0(VALU_DEP_1) | instskip(SKIP_1) | instid1(VALU_DEP_2)
	v_subrev_nc_u32_e32 v78, 28, v76
	v_sub_nc_u32_e32 v76, 29, v76
	v_lshlrev_b64 v[78:79], v78, v[8:9]
	s_delay_alu instid0(VALU_DEP_1)
	v_and_b32_e32 v8, 7, v78
; %bb.339:                              ;   in Loop: Header=BB424_10 Depth=1
	s_or_b32 exec_lo, exec_lo, s21
	v_lshlrev_b32_e32 v77, 24, v77
	s_delay_alu instid0(VALU_DEP_2) | instskip(SKIP_1) | instid1(VALU_DEP_3)
	v_lshlrev_b32_e32 v8, 20, v8
	v_lshl_add_u32 v76, v76, 23, 0x3c000000
	v_and_b32_e32 v77, 0x80000000, v77
	s_delay_alu instid0(VALU_DEP_1)
	v_or3_b32 v8, v8, v77, v76
.LBB424_340:                            ;   in Loop: Header=BB424_10 Depth=1
	s_or_b32 exec_lo, exec_lo, s20
.LBB424_341:                            ;   in Loop: Header=BB424_10 Depth=1
	s_delay_alu instid0(SALU_CYCLE_1)
	s_or_b32 exec_lo, exec_lo, s19
.LBB424_342:                            ;   in Loop: Header=BB424_10 Depth=1
	s_delay_alu instid0(SALU_CYCLE_1) | instskip(NEXT) | instid1(VALU_DEP_1)
	s_or_b32 exec_lo, exec_lo, s3
	v_mul_f32_e32 v8, v177, v8
	s_delay_alu instid0(VALU_DEP_1) | instskip(NEXT) | instid1(VALU_DEP_1)
	v_and_b32_e32 v76, 0x7f800000, v8
	v_cmp_ne_u32_e64 s2, 0x7f800000, v76
                                        ; implicit-def: $vgpr76
	s_delay_alu instid0(VALU_DEP_1) | instskip(NEXT) | instid1(SALU_CYCLE_1)
	s_and_saveexec_b32 s3, s2
	s_xor_b32 s2, exec_lo, s3
; %bb.343:                              ;   in Loop: Header=BB424_10 Depth=1
	v_bfe_u32 v76, v8, 16, 1
	s_delay_alu instid0(VALU_DEP_1)
	v_add3_u32 v76, v8, v76, 0x7fff
                                        ; implicit-def: $vgpr8
; %bb.344:                              ;   in Loop: Header=BB424_10 Depth=1
	s_and_not1_saveexec_b32 s3, s2
; %bb.345:                              ;   in Loop: Header=BB424_10 Depth=1
	v_and_b32_e32 v76, 0xffff, v8
	v_or_b32_e32 v77, 0x10000, v8
	s_delay_alu instid0(VALU_DEP_2) | instskip(NEXT) | instid1(VALU_DEP_1)
	v_cmp_eq_u32_e64 s2, 0, v76
	v_cndmask_b32_e64 v76, v77, v8, s2
; %bb.346:                              ;   in Loop: Header=BB424_10 Depth=1
	s_or_b32 exec_lo, exec_lo, s3
	flat_load_b32 v88, v[28:29] offset:776
	s_mov_b32 s3, exec_lo
	s_waitcnt vmcnt(0) lgkmcnt(0)
	v_dual_mov_b32 v8, 0 :: v_dual_and_b32 v77, 0xff, v88
	s_delay_alu instid0(VALU_DEP_1)
	v_cmpx_ne_u16_e32 0, v77
	s_cbranch_execz .LBB424_354
; %bb.347:                              ;   in Loop: Header=BB424_10 Depth=1
	v_bfrev_b32_e32 v8, 1
	s_mov_b32 s19, exec_lo
	v_cmpx_ne_u16_e32 0x80, v77
	s_cbranch_execz .LBB424_353
; %bb.348:                              ;   in Loop: Header=BB424_10 Depth=1
	v_and_b32_e32 v78, 0x7f, v88
	v_mov_b32_e32 v8, 0x7f800001
	s_mov_b32 s20, exec_lo
	s_delay_alu instid0(VALU_DEP_2)
	v_cmpx_ne_u32_e32 0x7f, v78
	s_cbranch_execz .LBB424_352
; %bb.349:                              ;   in Loop: Header=BB424_10 Depth=1
	v_and_b32_e32 v8, 7, v88
	v_lshrrev_b32_e32 v77, 3, v78
	s_mov_b32 s21, exec_lo
	v_cmpx_gt_u32_e32 8, v78
; %bb.350:                              ;   in Loop: Header=BB424_10 Depth=1
	s_delay_alu instid0(VALU_DEP_3) | instskip(NEXT) | instid1(VALU_DEP_1)
	v_clz_i32_u32_e32 v77, v8
	v_min_u32_e32 v77, 32, v77
	s_delay_alu instid0(VALU_DEP_1) | instskip(SKIP_1) | instid1(VALU_DEP_2)
	v_subrev_nc_u32_e32 v78, 28, v77
	v_sub_nc_u32_e32 v77, 29, v77
	v_lshlrev_b64 v[78:79], v78, v[8:9]
	s_delay_alu instid0(VALU_DEP_1)
	v_and_b32_e32 v8, 7, v78
; %bb.351:                              ;   in Loop: Header=BB424_10 Depth=1
	s_or_b32 exec_lo, exec_lo, s21
	v_lshlrev_b32_e32 v78, 24, v88
	s_delay_alu instid0(VALU_DEP_2) | instskip(SKIP_1) | instid1(VALU_DEP_3)
	v_lshlrev_b32_e32 v8, 20, v8
	v_lshl_add_u32 v77, v77, 23, 0x3c000000
	v_and_b32_e32 v78, 0x80000000, v78
	s_delay_alu instid0(VALU_DEP_1)
	v_or3_b32 v8, v8, v78, v77
.LBB424_352:                            ;   in Loop: Header=BB424_10 Depth=1
	s_or_b32 exec_lo, exec_lo, s20
.LBB424_353:                            ;   in Loop: Header=BB424_10 Depth=1
	s_delay_alu instid0(SALU_CYCLE_1)
	s_or_b32 exec_lo, exec_lo, s19
.LBB424_354:                            ;   in Loop: Header=BB424_10 Depth=1
	s_delay_alu instid0(SALU_CYCLE_1) | instskip(NEXT) | instid1(VALU_DEP_1)
	s_or_b32 exec_lo, exec_lo, s3
	v_mul_f32_e32 v8, v177, v8
	s_delay_alu instid0(VALU_DEP_1) | instskip(NEXT) | instid1(VALU_DEP_1)
	v_and_b32_e32 v77, 0x7f800000, v8
	v_cmp_ne_u32_e64 s2, 0x7f800000, v77
                                        ; implicit-def: $vgpr77
	s_delay_alu instid0(VALU_DEP_1) | instskip(NEXT) | instid1(SALU_CYCLE_1)
	s_and_saveexec_b32 s3, s2
	s_xor_b32 s2, exec_lo, s3
; %bb.355:                              ;   in Loop: Header=BB424_10 Depth=1
	v_bfe_u32 v77, v8, 16, 1
	s_delay_alu instid0(VALU_DEP_1)
	v_add3_u32 v77, v8, v77, 0x7fff
                                        ; implicit-def: $vgpr8
; %bb.356:                              ;   in Loop: Header=BB424_10 Depth=1
	s_and_not1_saveexec_b32 s3, s2
; %bb.357:                              ;   in Loop: Header=BB424_10 Depth=1
	v_and_b32_e32 v77, 0xffff, v8
	v_or_b32_e32 v78, 0x10000, v8
	s_delay_alu instid0(VALU_DEP_2) | instskip(NEXT) | instid1(VALU_DEP_1)
	v_cmp_eq_u32_e64 s2, 0, v77
	v_cndmask_b32_e64 v77, v78, v8, s2
; %bb.358:                              ;   in Loop: Header=BB424_10 Depth=1
	s_or_b32 exec_lo, exec_lo, s3
	v_lshrrev_b16 v78, 8, v88
	v_mov_b32_e32 v8, 0
	s_mov_b32 s3, exec_lo
	s_delay_alu instid0(VALU_DEP_2)
	v_cmpx_ne_u16_e32 0, v78
	s_cbranch_execz .LBB424_366
; %bb.359:                              ;   in Loop: Header=BB424_10 Depth=1
	v_bfrev_b32_e32 v8, 1
	s_mov_b32 s19, exec_lo
	v_cmpx_ne_u16_e32 0x80, v78
	s_cbranch_execz .LBB424_365
; %bb.360:                              ;   in Loop: Header=BB424_10 Depth=1
	v_and_b32_e32 v78, 0xffff, v78
	v_mov_b32_e32 v8, 0x7f800001
	s_mov_b32 s20, exec_lo
	s_delay_alu instid0(VALU_DEP_2) | instskip(NEXT) | instid1(VALU_DEP_1)
	v_and_b32_e32 v79, 0x7f, v78
	v_cmpx_ne_u32_e32 0x7f, v79
	s_cbranch_execz .LBB424_364
; %bb.361:                              ;   in Loop: Header=BB424_10 Depth=1
	v_and_b32_e32 v8, 7, v78
	v_lshrrev_b32_e32 v78, 3, v79
	s_mov_b32 s21, exec_lo
	v_cmpx_gt_u32_e32 8, v79
; %bb.362:                              ;   in Loop: Header=BB424_10 Depth=1
	s_delay_alu instid0(VALU_DEP_3) | instskip(NEXT) | instid1(VALU_DEP_1)
	v_clz_i32_u32_e32 v78, v8
	v_min_u32_e32 v78, 32, v78
	s_delay_alu instid0(VALU_DEP_1) | instskip(SKIP_1) | instid1(VALU_DEP_2)
	v_subrev_nc_u32_e32 v79, 28, v78
	v_sub_nc_u32_e32 v78, 29, v78
	v_lshlrev_b64 v[89:90], v79, v[8:9]
	s_delay_alu instid0(VALU_DEP_1)
	v_and_b32_e32 v8, 7, v89
; %bb.363:                              ;   in Loop: Header=BB424_10 Depth=1
	s_or_b32 exec_lo, exec_lo, s21
	v_lshlrev_b32_e32 v79, 16, v88
	s_delay_alu instid0(VALU_DEP_2) | instskip(SKIP_1) | instid1(VALU_DEP_3)
	v_lshlrev_b32_e32 v8, 20, v8
	v_lshl_add_u32 v78, v78, 23, 0x3c000000
	v_and_b32_e32 v79, 0x80000000, v79
	s_delay_alu instid0(VALU_DEP_1)
	v_or3_b32 v8, v8, v79, v78
.LBB424_364:                            ;   in Loop: Header=BB424_10 Depth=1
	s_or_b32 exec_lo, exec_lo, s20
.LBB424_365:                            ;   in Loop: Header=BB424_10 Depth=1
	s_delay_alu instid0(SALU_CYCLE_1)
	s_or_b32 exec_lo, exec_lo, s19
.LBB424_366:                            ;   in Loop: Header=BB424_10 Depth=1
	s_delay_alu instid0(SALU_CYCLE_1) | instskip(NEXT) | instid1(VALU_DEP_1)
	s_or_b32 exec_lo, exec_lo, s3
	v_mul_f32_e32 v8, v177, v8
	s_delay_alu instid0(VALU_DEP_1) | instskip(NEXT) | instid1(VALU_DEP_1)
	v_and_b32_e32 v78, 0x7f800000, v8
	v_cmp_ne_u32_e64 s2, 0x7f800000, v78
                                        ; implicit-def: $vgpr78
	s_delay_alu instid0(VALU_DEP_1) | instskip(NEXT) | instid1(SALU_CYCLE_1)
	s_and_saveexec_b32 s3, s2
	s_xor_b32 s2, exec_lo, s3
; %bb.367:                              ;   in Loop: Header=BB424_10 Depth=1
	v_bfe_u32 v78, v8, 16, 1
	s_delay_alu instid0(VALU_DEP_1)
	v_add3_u32 v78, v8, v78, 0x7fff
                                        ; implicit-def: $vgpr8
; %bb.368:                              ;   in Loop: Header=BB424_10 Depth=1
	s_and_not1_saveexec_b32 s3, s2
; %bb.369:                              ;   in Loop: Header=BB424_10 Depth=1
	v_and_b32_e32 v78, 0xffff, v8
	v_or_b32_e32 v79, 0x10000, v8
	s_delay_alu instid0(VALU_DEP_2) | instskip(NEXT) | instid1(VALU_DEP_1)
	v_cmp_eq_u32_e64 s2, 0, v78
	v_cndmask_b32_e64 v78, v79, v8, s2
; %bb.370:                              ;   in Loop: Header=BB424_10 Depth=1
	s_or_b32 exec_lo, exec_lo, s3
	v_lshrrev_b32_e32 v79, 16, v88
	s_mov_b32 s3, exec_lo
	s_delay_alu instid0(VALU_DEP_1) | instskip(NEXT) | instid1(VALU_DEP_1)
	v_dual_mov_b32 v8, 0 :: v_dual_and_b32 v89, 0xff, v79
	v_cmpx_ne_u16_e32 0, v89
	s_cbranch_execz .LBB424_378
; %bb.371:                              ;   in Loop: Header=BB424_10 Depth=1
	v_bfrev_b32_e32 v8, 1
	s_mov_b32 s19, exec_lo
	v_cmpx_ne_u16_e32 0x80, v89
	s_cbranch_execz .LBB424_377
; %bb.372:                              ;   in Loop: Header=BB424_10 Depth=1
	v_bfe_u32 v90, v88, 16, 7
	v_mov_b32_e32 v8, 0x7f800001
	s_mov_b32 s20, exec_lo
	s_delay_alu instid0(VALU_DEP_2)
	v_cmpx_ne_u32_e32 0x7f, v90
	s_cbranch_execz .LBB424_376
; %bb.373:                              ;   in Loop: Header=BB424_10 Depth=1
	v_and_b32_e32 v8, 7, v79
	v_lshrrev_b32_e32 v89, 3, v90
	s_mov_b32 s21, exec_lo
	v_cmpx_gt_u32_e32 8, v90
; %bb.374:                              ;   in Loop: Header=BB424_10 Depth=1
	s_delay_alu instid0(VALU_DEP_3) | instskip(NEXT) | instid1(VALU_DEP_1)
	v_clz_i32_u32_e32 v89, v8
	v_min_u32_e32 v89, 32, v89
	s_delay_alu instid0(VALU_DEP_1) | instskip(SKIP_1) | instid1(VALU_DEP_2)
	v_subrev_nc_u32_e32 v90, 28, v89
	v_sub_nc_u32_e32 v89, 29, v89
	v_lshlrev_b64 v[90:91], v90, v[8:9]
	s_delay_alu instid0(VALU_DEP_1)
	v_and_b32_e32 v8, 7, v90
; %bb.375:                              ;   in Loop: Header=BB424_10 Depth=1
	s_or_b32 exec_lo, exec_lo, s21
	v_lshlrev_b32_e32 v79, 24, v79
	s_delay_alu instid0(VALU_DEP_2) | instskip(SKIP_1) | instid1(VALU_DEP_3)
	v_lshlrev_b32_e32 v8, 20, v8
	v_lshl_add_u32 v89, v89, 23, 0x3c000000
	v_and_b32_e32 v79, 0x80000000, v79
	s_delay_alu instid0(VALU_DEP_1)
	v_or3_b32 v8, v8, v79, v89
.LBB424_376:                            ;   in Loop: Header=BB424_10 Depth=1
	s_or_b32 exec_lo, exec_lo, s20
.LBB424_377:                            ;   in Loop: Header=BB424_10 Depth=1
	s_delay_alu instid0(SALU_CYCLE_1)
	s_or_b32 exec_lo, exec_lo, s19
.LBB424_378:                            ;   in Loop: Header=BB424_10 Depth=1
	s_delay_alu instid0(SALU_CYCLE_1) | instskip(NEXT) | instid1(VALU_DEP_1)
	s_or_b32 exec_lo, exec_lo, s3
	v_mul_f32_e32 v8, v177, v8
	s_delay_alu instid0(VALU_DEP_1) | instskip(NEXT) | instid1(VALU_DEP_1)
	v_and_b32_e32 v79, 0x7f800000, v8
	v_cmp_ne_u32_e64 s2, 0x7f800000, v79
                                        ; implicit-def: $vgpr79
	s_delay_alu instid0(VALU_DEP_1) | instskip(NEXT) | instid1(SALU_CYCLE_1)
	s_and_saveexec_b32 s3, s2
	s_xor_b32 s2, exec_lo, s3
; %bb.379:                              ;   in Loop: Header=BB424_10 Depth=1
	v_bfe_u32 v79, v8, 16, 1
	s_delay_alu instid0(VALU_DEP_1)
	v_add3_u32 v79, v8, v79, 0x7fff
                                        ; implicit-def: $vgpr8
; %bb.380:                              ;   in Loop: Header=BB424_10 Depth=1
	s_and_not1_saveexec_b32 s3, s2
; %bb.381:                              ;   in Loop: Header=BB424_10 Depth=1
	v_and_b32_e32 v79, 0xffff, v8
	v_or_b32_e32 v89, 0x10000, v8
	s_delay_alu instid0(VALU_DEP_2) | instskip(NEXT) | instid1(VALU_DEP_1)
	v_cmp_eq_u32_e64 s2, 0, v79
	v_cndmask_b32_e64 v79, v89, v8, s2
; %bb.382:                              ;   in Loop: Header=BB424_10 Depth=1
	s_or_b32 exec_lo, exec_lo, s3
	v_mov_b32_e32 v8, 0
	s_mov_b32 s3, exec_lo
	v_cmpx_lt_u32_e32 0xffffff, v88
	s_cbranch_execz .LBB424_390
; %bb.383:                              ;   in Loop: Header=BB424_10 Depth=1
	v_lshrrev_b32_e32 v89, 24, v88
	v_bfrev_b32_e32 v8, 1
	s_mov_b32 s19, exec_lo
	s_delay_alu instid0(VALU_DEP_2)
	v_cmpx_ne_u32_e32 0x80, v89
	s_cbranch_execz .LBB424_389
; %bb.384:                              ;   in Loop: Header=BB424_10 Depth=1
	v_bfe_u32 v90, v88, 24, 7
	v_mov_b32_e32 v8, 0x7f800001
	s_mov_b32 s20, exec_lo
	s_delay_alu instid0(VALU_DEP_2)
	v_cmpx_ne_u32_e32 0x7f, v90
	s_cbranch_execz .LBB424_388
; %bb.385:                              ;   in Loop: Header=BB424_10 Depth=1
	v_and_b32_e32 v8, 7, v89
	v_lshrrev_b32_e32 v88, 3, v90
	s_mov_b32 s21, exec_lo
	v_cmpx_gt_u32_e32 8, v90
; %bb.386:                              ;   in Loop: Header=BB424_10 Depth=1
	s_delay_alu instid0(VALU_DEP_3) | instskip(NEXT) | instid1(VALU_DEP_1)
	v_clz_i32_u32_e32 v88, v8
	v_min_u32_e32 v88, 32, v88
	s_delay_alu instid0(VALU_DEP_1) | instskip(SKIP_1) | instid1(VALU_DEP_2)
	v_subrev_nc_u32_e32 v90, 28, v88
	v_sub_nc_u32_e32 v88, 29, v88
	v_lshlrev_b64 v[90:91], v90, v[8:9]
	s_delay_alu instid0(VALU_DEP_1)
	v_and_b32_e32 v8, 7, v90
; %bb.387:                              ;   in Loop: Header=BB424_10 Depth=1
	s_or_b32 exec_lo, exec_lo, s21
	v_lshlrev_b32_e32 v89, 24, v89
	s_delay_alu instid0(VALU_DEP_2) | instskip(SKIP_1) | instid1(VALU_DEP_3)
	v_lshlrev_b32_e32 v8, 20, v8
	v_lshl_add_u32 v88, v88, 23, 0x3c000000
	v_and_b32_e32 v89, 0x80000000, v89
	s_delay_alu instid0(VALU_DEP_1)
	v_or3_b32 v8, v8, v89, v88
.LBB424_388:                            ;   in Loop: Header=BB424_10 Depth=1
	s_or_b32 exec_lo, exec_lo, s20
.LBB424_389:                            ;   in Loop: Header=BB424_10 Depth=1
	s_delay_alu instid0(SALU_CYCLE_1)
	s_or_b32 exec_lo, exec_lo, s19
.LBB424_390:                            ;   in Loop: Header=BB424_10 Depth=1
	s_delay_alu instid0(SALU_CYCLE_1) | instskip(NEXT) | instid1(VALU_DEP_1)
	s_or_b32 exec_lo, exec_lo, s3
	v_mul_f32_e32 v8, v177, v8
	s_delay_alu instid0(VALU_DEP_1) | instskip(NEXT) | instid1(VALU_DEP_1)
	v_and_b32_e32 v88, 0x7f800000, v8
	v_cmp_ne_u32_e64 s2, 0x7f800000, v88
                                        ; implicit-def: $vgpr88
	s_delay_alu instid0(VALU_DEP_1) | instskip(NEXT) | instid1(SALU_CYCLE_1)
	s_and_saveexec_b32 s3, s2
	s_xor_b32 s2, exec_lo, s3
; %bb.391:                              ;   in Loop: Header=BB424_10 Depth=1
	v_bfe_u32 v88, v8, 16, 1
	s_delay_alu instid0(VALU_DEP_1)
	v_add3_u32 v88, v8, v88, 0x7fff
                                        ; implicit-def: $vgpr8
; %bb.392:                              ;   in Loop: Header=BB424_10 Depth=1
	s_and_not1_saveexec_b32 s3, s2
; %bb.393:                              ;   in Loop: Header=BB424_10 Depth=1
	v_and_b32_e32 v88, 0xffff, v8
	v_or_b32_e32 v89, 0x10000, v8
	s_delay_alu instid0(VALU_DEP_2) | instskip(NEXT) | instid1(VALU_DEP_1)
	v_cmp_eq_u32_e64 s2, 0, v88
	v_cndmask_b32_e64 v88, v89, v8, s2
; %bb.394:                              ;   in Loop: Header=BB424_10 Depth=1
	s_or_b32 exec_lo, exec_lo, s3
	flat_load_b32 v91, v[28:29] offset:1024
	s_mov_b32 s3, exec_lo
	s_waitcnt vmcnt(0) lgkmcnt(0)
	v_dual_mov_b32 v8, 0 :: v_dual_and_b32 v89, 0xff, v91
	s_delay_alu instid0(VALU_DEP_1)
	v_cmpx_ne_u16_e32 0, v89
	s_cbranch_execz .LBB424_402
; %bb.395:                              ;   in Loop: Header=BB424_10 Depth=1
	v_bfrev_b32_e32 v8, 1
	s_mov_b32 s19, exec_lo
	v_cmpx_ne_u16_e32 0x80, v89
	s_cbranch_execz .LBB424_401
; %bb.396:                              ;   in Loop: Header=BB424_10 Depth=1
	v_and_b32_e32 v90, 0x7f, v91
	v_mov_b32_e32 v8, 0x7f800001
	s_mov_b32 s20, exec_lo
	s_delay_alu instid0(VALU_DEP_2)
	v_cmpx_ne_u32_e32 0x7f, v90
	s_cbranch_execz .LBB424_400
; %bb.397:                              ;   in Loop: Header=BB424_10 Depth=1
	v_and_b32_e32 v8, 7, v91
	v_lshrrev_b32_e32 v89, 3, v90
	s_mov_b32 s21, exec_lo
	v_cmpx_gt_u32_e32 8, v90
; %bb.398:                              ;   in Loop: Header=BB424_10 Depth=1
	s_delay_alu instid0(VALU_DEP_3) | instskip(NEXT) | instid1(VALU_DEP_1)
	v_clz_i32_u32_e32 v89, v8
	v_min_u32_e32 v89, 32, v89
	s_delay_alu instid0(VALU_DEP_1) | instskip(SKIP_1) | instid1(VALU_DEP_2)
	v_subrev_nc_u32_e32 v90, 28, v89
	v_sub_nc_u32_e32 v89, 29, v89
	v_lshlrev_b64 v[92:93], v90, v[8:9]
	s_delay_alu instid0(VALU_DEP_1)
	v_and_b32_e32 v8, 7, v92
; %bb.399:                              ;   in Loop: Header=BB424_10 Depth=1
	s_or_b32 exec_lo, exec_lo, s21
	v_lshlrev_b32_e32 v90, 24, v91
	s_delay_alu instid0(VALU_DEP_2) | instskip(SKIP_1) | instid1(VALU_DEP_3)
	v_lshlrev_b32_e32 v8, 20, v8
	v_lshl_add_u32 v89, v89, 23, 0x3c000000
	v_and_b32_e32 v90, 0x80000000, v90
	s_delay_alu instid0(VALU_DEP_1)
	v_or3_b32 v8, v8, v90, v89
.LBB424_400:                            ;   in Loop: Header=BB424_10 Depth=1
	s_or_b32 exec_lo, exec_lo, s20
.LBB424_401:                            ;   in Loop: Header=BB424_10 Depth=1
	s_delay_alu instid0(SALU_CYCLE_1)
	s_or_b32 exec_lo, exec_lo, s19
.LBB424_402:                            ;   in Loop: Header=BB424_10 Depth=1
	s_delay_alu instid0(SALU_CYCLE_1) | instskip(NEXT) | instid1(VALU_DEP_1)
	s_or_b32 exec_lo, exec_lo, s3
	v_mul_f32_e32 v8, v177, v8
	s_delay_alu instid0(VALU_DEP_1) | instskip(NEXT) | instid1(VALU_DEP_1)
	v_and_b32_e32 v89, 0x7f800000, v8
	v_cmp_ne_u32_e64 s2, 0x7f800000, v89
                                        ; implicit-def: $vgpr89
	s_delay_alu instid0(VALU_DEP_1) | instskip(NEXT) | instid1(SALU_CYCLE_1)
	s_and_saveexec_b32 s3, s2
	s_xor_b32 s2, exec_lo, s3
; %bb.403:                              ;   in Loop: Header=BB424_10 Depth=1
	v_bfe_u32 v89, v8, 16, 1
	s_delay_alu instid0(VALU_DEP_1)
	v_add3_u32 v89, v8, v89, 0x7fff
                                        ; implicit-def: $vgpr8
; %bb.404:                              ;   in Loop: Header=BB424_10 Depth=1
	s_and_not1_saveexec_b32 s3, s2
; %bb.405:                              ;   in Loop: Header=BB424_10 Depth=1
	v_and_b32_e32 v89, 0xffff, v8
	v_or_b32_e32 v90, 0x10000, v8
	s_delay_alu instid0(VALU_DEP_2) | instskip(NEXT) | instid1(VALU_DEP_1)
	v_cmp_eq_u32_e64 s2, 0, v89
	v_cndmask_b32_e64 v89, v90, v8, s2
; %bb.406:                              ;   in Loop: Header=BB424_10 Depth=1
	s_or_b32 exec_lo, exec_lo, s3
	v_lshrrev_b16 v90, 8, v91
	v_mov_b32_e32 v8, 0
	s_mov_b32 s3, exec_lo
	s_delay_alu instid0(VALU_DEP_2)
	v_cmpx_ne_u16_e32 0, v90
	s_cbranch_execz .LBB424_414
; %bb.407:                              ;   in Loop: Header=BB424_10 Depth=1
	v_bfrev_b32_e32 v8, 1
	s_mov_b32 s19, exec_lo
	v_cmpx_ne_u16_e32 0x80, v90
	s_cbranch_execz .LBB424_413
; %bb.408:                              ;   in Loop: Header=BB424_10 Depth=1
	v_and_b32_e32 v90, 0xffff, v90
	v_mov_b32_e32 v8, 0x7f800001
	s_mov_b32 s20, exec_lo
	s_delay_alu instid0(VALU_DEP_2) | instskip(NEXT) | instid1(VALU_DEP_1)
	v_and_b32_e32 v92, 0x7f, v90
	v_cmpx_ne_u32_e32 0x7f, v92
	s_cbranch_execz .LBB424_412
; %bb.409:                              ;   in Loop: Header=BB424_10 Depth=1
	v_and_b32_e32 v8, 7, v90
	v_lshrrev_b32_e32 v90, 3, v92
	s_mov_b32 s21, exec_lo
	v_cmpx_gt_u32_e32 8, v92
; %bb.410:                              ;   in Loop: Header=BB424_10 Depth=1
	s_delay_alu instid0(VALU_DEP_3) | instskip(NEXT) | instid1(VALU_DEP_1)
	v_clz_i32_u32_e32 v90, v8
	v_min_u32_e32 v90, 32, v90
	s_delay_alu instid0(VALU_DEP_1) | instskip(SKIP_1) | instid1(VALU_DEP_2)
	v_subrev_nc_u32_e32 v92, 28, v90
	v_sub_nc_u32_e32 v90, 29, v90
	v_lshlrev_b64 v[92:93], v92, v[8:9]
	s_delay_alu instid0(VALU_DEP_1)
	v_and_b32_e32 v8, 7, v92
; %bb.411:                              ;   in Loop: Header=BB424_10 Depth=1
	s_or_b32 exec_lo, exec_lo, s21
	v_lshlrev_b32_e32 v92, 16, v91
	s_delay_alu instid0(VALU_DEP_2) | instskip(SKIP_1) | instid1(VALU_DEP_3)
	v_lshlrev_b32_e32 v8, 20, v8
	v_lshl_add_u32 v90, v90, 23, 0x3c000000
	v_and_b32_e32 v92, 0x80000000, v92
	s_delay_alu instid0(VALU_DEP_1)
	v_or3_b32 v8, v8, v92, v90
.LBB424_412:                            ;   in Loop: Header=BB424_10 Depth=1
	s_or_b32 exec_lo, exec_lo, s20
.LBB424_413:                            ;   in Loop: Header=BB424_10 Depth=1
	s_delay_alu instid0(SALU_CYCLE_1)
	s_or_b32 exec_lo, exec_lo, s19
.LBB424_414:                            ;   in Loop: Header=BB424_10 Depth=1
	s_delay_alu instid0(SALU_CYCLE_1) | instskip(NEXT) | instid1(VALU_DEP_1)
	s_or_b32 exec_lo, exec_lo, s3
	v_mul_f32_e32 v8, v177, v8
	s_delay_alu instid0(VALU_DEP_1) | instskip(NEXT) | instid1(VALU_DEP_1)
	v_and_b32_e32 v90, 0x7f800000, v8
	v_cmp_ne_u32_e64 s2, 0x7f800000, v90
                                        ; implicit-def: $vgpr90
	s_delay_alu instid0(VALU_DEP_1) | instskip(NEXT) | instid1(SALU_CYCLE_1)
	s_and_saveexec_b32 s3, s2
	s_xor_b32 s2, exec_lo, s3
; %bb.415:                              ;   in Loop: Header=BB424_10 Depth=1
	v_bfe_u32 v90, v8, 16, 1
	s_delay_alu instid0(VALU_DEP_1)
	v_add3_u32 v90, v8, v90, 0x7fff
                                        ; implicit-def: $vgpr8
; %bb.416:                              ;   in Loop: Header=BB424_10 Depth=1
	s_and_not1_saveexec_b32 s3, s2
; %bb.417:                              ;   in Loop: Header=BB424_10 Depth=1
	v_and_b32_e32 v90, 0xffff, v8
	v_or_b32_e32 v92, 0x10000, v8
	s_delay_alu instid0(VALU_DEP_2) | instskip(NEXT) | instid1(VALU_DEP_1)
	v_cmp_eq_u32_e64 s2, 0, v90
	v_cndmask_b32_e64 v90, v92, v8, s2
; %bb.418:                              ;   in Loop: Header=BB424_10 Depth=1
	s_or_b32 exec_lo, exec_lo, s3
	v_lshrrev_b32_e32 v92, 16, v91
	s_mov_b32 s3, exec_lo
	s_delay_alu instid0(VALU_DEP_1) | instskip(NEXT) | instid1(VALU_DEP_1)
	v_dual_mov_b32 v8, 0 :: v_dual_and_b32 v93, 0xff, v92
	v_cmpx_ne_u16_e32 0, v93
	s_cbranch_execz .LBB424_426
; %bb.419:                              ;   in Loop: Header=BB424_10 Depth=1
	v_bfrev_b32_e32 v8, 1
	s_mov_b32 s19, exec_lo
	v_cmpx_ne_u16_e32 0x80, v93
	s_cbranch_execz .LBB424_425
; %bb.420:                              ;   in Loop: Header=BB424_10 Depth=1
	v_bfe_u32 v94, v91, 16, 7
	v_mov_b32_e32 v8, 0x7f800001
	s_mov_b32 s20, exec_lo
	s_delay_alu instid0(VALU_DEP_2)
	v_cmpx_ne_u32_e32 0x7f, v94
	s_cbranch_execz .LBB424_424
; %bb.421:                              ;   in Loop: Header=BB424_10 Depth=1
	v_and_b32_e32 v8, 7, v92
	v_lshrrev_b32_e32 v93, 3, v94
	s_mov_b32 s21, exec_lo
	v_cmpx_gt_u32_e32 8, v94
; %bb.422:                              ;   in Loop: Header=BB424_10 Depth=1
	s_delay_alu instid0(VALU_DEP_3) | instskip(NEXT) | instid1(VALU_DEP_1)
	v_clz_i32_u32_e32 v93, v8
	v_min_u32_e32 v93, 32, v93
	s_delay_alu instid0(VALU_DEP_1) | instskip(SKIP_1) | instid1(VALU_DEP_2)
	v_subrev_nc_u32_e32 v94, 28, v93
	v_sub_nc_u32_e32 v93, 29, v93
	v_lshlrev_b64 v[94:95], v94, v[8:9]
	s_delay_alu instid0(VALU_DEP_1)
	v_and_b32_e32 v8, 7, v94
; %bb.423:                              ;   in Loop: Header=BB424_10 Depth=1
	s_or_b32 exec_lo, exec_lo, s21
	v_lshlrev_b32_e32 v92, 24, v92
	s_delay_alu instid0(VALU_DEP_2) | instskip(SKIP_1) | instid1(VALU_DEP_3)
	v_lshlrev_b32_e32 v8, 20, v8
	v_lshl_add_u32 v93, v93, 23, 0x3c000000
	v_and_b32_e32 v92, 0x80000000, v92
	s_delay_alu instid0(VALU_DEP_1)
	v_or3_b32 v8, v8, v92, v93
.LBB424_424:                            ;   in Loop: Header=BB424_10 Depth=1
	s_or_b32 exec_lo, exec_lo, s20
.LBB424_425:                            ;   in Loop: Header=BB424_10 Depth=1
	s_delay_alu instid0(SALU_CYCLE_1)
	s_or_b32 exec_lo, exec_lo, s19
.LBB424_426:                            ;   in Loop: Header=BB424_10 Depth=1
	s_delay_alu instid0(SALU_CYCLE_1) | instskip(NEXT) | instid1(VALU_DEP_1)
	s_or_b32 exec_lo, exec_lo, s3
	v_mul_f32_e32 v8, v177, v8
	s_delay_alu instid0(VALU_DEP_1) | instskip(NEXT) | instid1(VALU_DEP_1)
	v_and_b32_e32 v92, 0x7f800000, v8
	v_cmp_ne_u32_e64 s2, 0x7f800000, v92
                                        ; implicit-def: $vgpr92
	s_delay_alu instid0(VALU_DEP_1) | instskip(NEXT) | instid1(SALU_CYCLE_1)
	s_and_saveexec_b32 s3, s2
	s_xor_b32 s2, exec_lo, s3
; %bb.427:                              ;   in Loop: Header=BB424_10 Depth=1
	v_bfe_u32 v92, v8, 16, 1
	s_delay_alu instid0(VALU_DEP_1)
	v_add3_u32 v92, v8, v92, 0x7fff
                                        ; implicit-def: $vgpr8
; %bb.428:                              ;   in Loop: Header=BB424_10 Depth=1
	s_and_not1_saveexec_b32 s3, s2
; %bb.429:                              ;   in Loop: Header=BB424_10 Depth=1
	v_and_b32_e32 v92, 0xffff, v8
	v_or_b32_e32 v93, 0x10000, v8
	s_delay_alu instid0(VALU_DEP_2) | instskip(NEXT) | instid1(VALU_DEP_1)
	v_cmp_eq_u32_e64 s2, 0, v92
	v_cndmask_b32_e64 v92, v93, v8, s2
; %bb.430:                              ;   in Loop: Header=BB424_10 Depth=1
	s_or_b32 exec_lo, exec_lo, s3
	v_mov_b32_e32 v8, 0
	s_mov_b32 s3, exec_lo
	v_cmpx_lt_u32_e32 0xffffff, v91
	s_cbranch_execz .LBB424_438
; %bb.431:                              ;   in Loop: Header=BB424_10 Depth=1
	v_lshrrev_b32_e32 v93, 24, v91
	v_bfrev_b32_e32 v8, 1
	s_mov_b32 s19, exec_lo
	s_delay_alu instid0(VALU_DEP_2)
	v_cmpx_ne_u32_e32 0x80, v93
	s_cbranch_execz .LBB424_437
; %bb.432:                              ;   in Loop: Header=BB424_10 Depth=1
	v_bfe_u32 v94, v91, 24, 7
	v_mov_b32_e32 v8, 0x7f800001
	s_mov_b32 s20, exec_lo
	s_delay_alu instid0(VALU_DEP_2)
	v_cmpx_ne_u32_e32 0x7f, v94
	s_cbranch_execz .LBB424_436
; %bb.433:                              ;   in Loop: Header=BB424_10 Depth=1
	v_and_b32_e32 v8, 7, v93
	v_lshrrev_b32_e32 v91, 3, v94
	s_mov_b32 s21, exec_lo
	v_cmpx_gt_u32_e32 8, v94
; %bb.434:                              ;   in Loop: Header=BB424_10 Depth=1
	s_delay_alu instid0(VALU_DEP_3) | instskip(NEXT) | instid1(VALU_DEP_1)
	v_clz_i32_u32_e32 v91, v8
	v_min_u32_e32 v91, 32, v91
	s_delay_alu instid0(VALU_DEP_1) | instskip(SKIP_1) | instid1(VALU_DEP_2)
	v_subrev_nc_u32_e32 v94, 28, v91
	v_sub_nc_u32_e32 v91, 29, v91
	v_lshlrev_b64 v[94:95], v94, v[8:9]
	s_delay_alu instid0(VALU_DEP_1)
	v_and_b32_e32 v8, 7, v94
; %bb.435:                              ;   in Loop: Header=BB424_10 Depth=1
	s_or_b32 exec_lo, exec_lo, s21
	v_lshlrev_b32_e32 v93, 24, v93
	s_delay_alu instid0(VALU_DEP_2) | instskip(SKIP_1) | instid1(VALU_DEP_3)
	v_lshlrev_b32_e32 v8, 20, v8
	v_lshl_add_u32 v91, v91, 23, 0x3c000000
	v_and_b32_e32 v93, 0x80000000, v93
	s_delay_alu instid0(VALU_DEP_1)
	v_or3_b32 v8, v8, v93, v91
.LBB424_436:                            ;   in Loop: Header=BB424_10 Depth=1
	s_or_b32 exec_lo, exec_lo, s20
.LBB424_437:                            ;   in Loop: Header=BB424_10 Depth=1
	s_delay_alu instid0(SALU_CYCLE_1)
	s_or_b32 exec_lo, exec_lo, s19
.LBB424_438:                            ;   in Loop: Header=BB424_10 Depth=1
	s_delay_alu instid0(SALU_CYCLE_1) | instskip(NEXT) | instid1(VALU_DEP_1)
	s_or_b32 exec_lo, exec_lo, s3
	v_mul_f32_e32 v8, v177, v8
	s_delay_alu instid0(VALU_DEP_1) | instskip(NEXT) | instid1(VALU_DEP_1)
	v_and_b32_e32 v91, 0x7f800000, v8
	v_cmp_ne_u32_e64 s2, 0x7f800000, v91
                                        ; implicit-def: $vgpr91
	s_delay_alu instid0(VALU_DEP_1) | instskip(NEXT) | instid1(SALU_CYCLE_1)
	s_and_saveexec_b32 s3, s2
	s_xor_b32 s2, exec_lo, s3
; %bb.439:                              ;   in Loop: Header=BB424_10 Depth=1
	v_bfe_u32 v91, v8, 16, 1
	s_delay_alu instid0(VALU_DEP_1)
	v_add3_u32 v91, v8, v91, 0x7fff
                                        ; implicit-def: $vgpr8
; %bb.440:                              ;   in Loop: Header=BB424_10 Depth=1
	s_and_not1_saveexec_b32 s3, s2
; %bb.441:                              ;   in Loop: Header=BB424_10 Depth=1
	v_and_b32_e32 v91, 0xffff, v8
	v_or_b32_e32 v93, 0x10000, v8
	s_delay_alu instid0(VALU_DEP_2) | instskip(NEXT) | instid1(VALU_DEP_1)
	v_cmp_eq_u32_e64 s2, 0, v91
	v_cndmask_b32_e64 v91, v93, v8, s2
; %bb.442:                              ;   in Loop: Header=BB424_10 Depth=1
	s_or_b32 exec_lo, exec_lo, s3
	flat_load_b32 v95, v[28:29] offset:1032
	s_mov_b32 s3, exec_lo
	s_waitcnt vmcnt(0) lgkmcnt(0)
	v_dual_mov_b32 v8, 0 :: v_dual_and_b32 v93, 0xff, v95
	s_delay_alu instid0(VALU_DEP_1)
	v_cmpx_ne_u16_e32 0, v93
	s_cbranch_execz .LBB424_450
; %bb.443:                              ;   in Loop: Header=BB424_10 Depth=1
	v_bfrev_b32_e32 v8, 1
	s_mov_b32 s19, exec_lo
	v_cmpx_ne_u16_e32 0x80, v93
	s_cbranch_execz .LBB424_449
; %bb.444:                              ;   in Loop: Header=BB424_10 Depth=1
	v_and_b32_e32 v94, 0x7f, v95
	v_mov_b32_e32 v8, 0x7f800001
	s_mov_b32 s20, exec_lo
	s_delay_alu instid0(VALU_DEP_2)
	v_cmpx_ne_u32_e32 0x7f, v94
	s_cbranch_execz .LBB424_448
; %bb.445:                              ;   in Loop: Header=BB424_10 Depth=1
	v_and_b32_e32 v8, 7, v95
	v_lshrrev_b32_e32 v93, 3, v94
	s_mov_b32 s21, exec_lo
	v_cmpx_gt_u32_e32 8, v94
; %bb.446:                              ;   in Loop: Header=BB424_10 Depth=1
	s_delay_alu instid0(VALU_DEP_3) | instskip(NEXT) | instid1(VALU_DEP_1)
	v_clz_i32_u32_e32 v93, v8
	v_min_u32_e32 v93, 32, v93
	s_delay_alu instid0(VALU_DEP_1) | instskip(SKIP_1) | instid1(VALU_DEP_2)
	v_subrev_nc_u32_e32 v94, 28, v93
	v_sub_nc_u32_e32 v93, 29, v93
	v_lshlrev_b64 v[104:105], v94, v[8:9]
	s_delay_alu instid0(VALU_DEP_1)
	v_and_b32_e32 v8, 7, v104
; %bb.447:                              ;   in Loop: Header=BB424_10 Depth=1
	s_or_b32 exec_lo, exec_lo, s21
	v_lshlrev_b32_e32 v94, 24, v95
	s_delay_alu instid0(VALU_DEP_2) | instskip(SKIP_1) | instid1(VALU_DEP_3)
	v_lshlrev_b32_e32 v8, 20, v8
	v_lshl_add_u32 v93, v93, 23, 0x3c000000
	v_and_b32_e32 v94, 0x80000000, v94
	s_delay_alu instid0(VALU_DEP_1)
	v_or3_b32 v8, v8, v94, v93
.LBB424_448:                            ;   in Loop: Header=BB424_10 Depth=1
	s_or_b32 exec_lo, exec_lo, s20
.LBB424_449:                            ;   in Loop: Header=BB424_10 Depth=1
	s_delay_alu instid0(SALU_CYCLE_1)
	s_or_b32 exec_lo, exec_lo, s19
.LBB424_450:                            ;   in Loop: Header=BB424_10 Depth=1
	s_delay_alu instid0(SALU_CYCLE_1) | instskip(NEXT) | instid1(VALU_DEP_1)
	s_or_b32 exec_lo, exec_lo, s3
	v_mul_f32_e32 v8, v177, v8
	s_delay_alu instid0(VALU_DEP_1) | instskip(NEXT) | instid1(VALU_DEP_1)
	v_and_b32_e32 v93, 0x7f800000, v8
	v_cmp_ne_u32_e64 s2, 0x7f800000, v93
                                        ; implicit-def: $vgpr93
	s_delay_alu instid0(VALU_DEP_1) | instskip(NEXT) | instid1(SALU_CYCLE_1)
	s_and_saveexec_b32 s3, s2
	s_xor_b32 s2, exec_lo, s3
; %bb.451:                              ;   in Loop: Header=BB424_10 Depth=1
	v_bfe_u32 v93, v8, 16, 1
	s_delay_alu instid0(VALU_DEP_1)
	v_add3_u32 v93, v8, v93, 0x7fff
                                        ; implicit-def: $vgpr8
; %bb.452:                              ;   in Loop: Header=BB424_10 Depth=1
	s_and_not1_saveexec_b32 s3, s2
; %bb.453:                              ;   in Loop: Header=BB424_10 Depth=1
	v_and_b32_e32 v93, 0xffff, v8
	v_or_b32_e32 v94, 0x10000, v8
	s_delay_alu instid0(VALU_DEP_2) | instskip(NEXT) | instid1(VALU_DEP_1)
	v_cmp_eq_u32_e64 s2, 0, v93
	v_cndmask_b32_e64 v93, v94, v8, s2
; %bb.454:                              ;   in Loop: Header=BB424_10 Depth=1
	s_or_b32 exec_lo, exec_lo, s3
	v_lshrrev_b16 v94, 8, v95
	v_mov_b32_e32 v8, 0
	s_mov_b32 s3, exec_lo
	s_delay_alu instid0(VALU_DEP_2)
	v_cmpx_ne_u16_e32 0, v94
	s_cbranch_execz .LBB424_462
; %bb.455:                              ;   in Loop: Header=BB424_10 Depth=1
	v_bfrev_b32_e32 v8, 1
	s_mov_b32 s19, exec_lo
	v_cmpx_ne_u16_e32 0x80, v94
	s_cbranch_execz .LBB424_461
; %bb.456:                              ;   in Loop: Header=BB424_10 Depth=1
	v_and_b32_e32 v94, 0xffff, v94
	v_mov_b32_e32 v8, 0x7f800001
	s_mov_b32 s20, exec_lo
	s_delay_alu instid0(VALU_DEP_2) | instskip(NEXT) | instid1(VALU_DEP_1)
	v_and_b32_e32 v104, 0x7f, v94
	v_cmpx_ne_u32_e32 0x7f, v104
	s_cbranch_execz .LBB424_460
; %bb.457:                              ;   in Loop: Header=BB424_10 Depth=1
	v_and_b32_e32 v8, 7, v94
	v_lshrrev_b32_e32 v94, 3, v104
	s_mov_b32 s21, exec_lo
	v_cmpx_gt_u32_e32 8, v104
; %bb.458:                              ;   in Loop: Header=BB424_10 Depth=1
	s_delay_alu instid0(VALU_DEP_3) | instskip(NEXT) | instid1(VALU_DEP_1)
	v_clz_i32_u32_e32 v94, v8
	v_min_u32_e32 v94, 32, v94
	s_delay_alu instid0(VALU_DEP_1) | instskip(SKIP_1) | instid1(VALU_DEP_2)
	v_subrev_nc_u32_e32 v104, 28, v94
	v_sub_nc_u32_e32 v94, 29, v94
	v_lshlrev_b64 v[104:105], v104, v[8:9]
	s_delay_alu instid0(VALU_DEP_1)
	v_and_b32_e32 v8, 7, v104
; %bb.459:                              ;   in Loop: Header=BB424_10 Depth=1
	s_or_b32 exec_lo, exec_lo, s21
	v_lshlrev_b32_e32 v104, 16, v95
	s_delay_alu instid0(VALU_DEP_2) | instskip(SKIP_1) | instid1(VALU_DEP_3)
	v_lshlrev_b32_e32 v8, 20, v8
	v_lshl_add_u32 v94, v94, 23, 0x3c000000
	v_and_b32_e32 v104, 0x80000000, v104
	s_delay_alu instid0(VALU_DEP_1)
	v_or3_b32 v8, v8, v104, v94
.LBB424_460:                            ;   in Loop: Header=BB424_10 Depth=1
	s_or_b32 exec_lo, exec_lo, s20
.LBB424_461:                            ;   in Loop: Header=BB424_10 Depth=1
	s_delay_alu instid0(SALU_CYCLE_1)
	s_or_b32 exec_lo, exec_lo, s19
.LBB424_462:                            ;   in Loop: Header=BB424_10 Depth=1
	s_delay_alu instid0(SALU_CYCLE_1) | instskip(NEXT) | instid1(VALU_DEP_1)
	s_or_b32 exec_lo, exec_lo, s3
	v_mul_f32_e32 v8, v177, v8
	s_delay_alu instid0(VALU_DEP_1) | instskip(NEXT) | instid1(VALU_DEP_1)
	v_and_b32_e32 v94, 0x7f800000, v8
	v_cmp_ne_u32_e64 s2, 0x7f800000, v94
                                        ; implicit-def: $vgpr94
	s_delay_alu instid0(VALU_DEP_1) | instskip(NEXT) | instid1(SALU_CYCLE_1)
	s_and_saveexec_b32 s3, s2
	s_xor_b32 s2, exec_lo, s3
; %bb.463:                              ;   in Loop: Header=BB424_10 Depth=1
	v_bfe_u32 v94, v8, 16, 1
	s_delay_alu instid0(VALU_DEP_1)
	v_add3_u32 v94, v8, v94, 0x7fff
                                        ; implicit-def: $vgpr8
; %bb.464:                              ;   in Loop: Header=BB424_10 Depth=1
	s_and_not1_saveexec_b32 s3, s2
; %bb.465:                              ;   in Loop: Header=BB424_10 Depth=1
	v_and_b32_e32 v94, 0xffff, v8
	v_or_b32_e32 v104, 0x10000, v8
	s_delay_alu instid0(VALU_DEP_2) | instskip(NEXT) | instid1(VALU_DEP_1)
	v_cmp_eq_u32_e64 s2, 0, v94
	v_cndmask_b32_e64 v94, v104, v8, s2
; %bb.466:                              ;   in Loop: Header=BB424_10 Depth=1
	s_or_b32 exec_lo, exec_lo, s3
	v_lshrrev_b32_e32 v104, 16, v95
	s_mov_b32 s3, exec_lo
	s_delay_alu instid0(VALU_DEP_1) | instskip(NEXT) | instid1(VALU_DEP_1)
	v_dual_mov_b32 v8, 0 :: v_dual_and_b32 v105, 0xff, v104
	v_cmpx_ne_u16_e32 0, v105
	s_cbranch_execz .LBB424_474
; %bb.467:                              ;   in Loop: Header=BB424_10 Depth=1
	v_bfrev_b32_e32 v8, 1
	s_mov_b32 s19, exec_lo
	v_cmpx_ne_u16_e32 0x80, v105
	s_cbranch_execz .LBB424_473
; %bb.468:                              ;   in Loop: Header=BB424_10 Depth=1
	v_bfe_u32 v106, v95, 16, 7
	v_mov_b32_e32 v8, 0x7f800001
	s_mov_b32 s20, exec_lo
	s_delay_alu instid0(VALU_DEP_2)
	v_cmpx_ne_u32_e32 0x7f, v106
	s_cbranch_execz .LBB424_472
; %bb.469:                              ;   in Loop: Header=BB424_10 Depth=1
	v_and_b32_e32 v8, 7, v104
	v_lshrrev_b32_e32 v105, 3, v106
	s_mov_b32 s21, exec_lo
	v_cmpx_gt_u32_e32 8, v106
; %bb.470:                              ;   in Loop: Header=BB424_10 Depth=1
	s_delay_alu instid0(VALU_DEP_3) | instskip(NEXT) | instid1(VALU_DEP_1)
	v_clz_i32_u32_e32 v105, v8
	v_min_u32_e32 v105, 32, v105
	s_delay_alu instid0(VALU_DEP_1) | instskip(SKIP_1) | instid1(VALU_DEP_2)
	v_subrev_nc_u32_e32 v106, 28, v105
	v_sub_nc_u32_e32 v105, 29, v105
	v_lshlrev_b64 v[106:107], v106, v[8:9]
	s_delay_alu instid0(VALU_DEP_1)
	v_and_b32_e32 v8, 7, v106
; %bb.471:                              ;   in Loop: Header=BB424_10 Depth=1
	s_or_b32 exec_lo, exec_lo, s21
	v_lshlrev_b32_e32 v104, 24, v104
	s_delay_alu instid0(VALU_DEP_2) | instskip(SKIP_1) | instid1(VALU_DEP_3)
	v_lshlrev_b32_e32 v8, 20, v8
	v_lshl_add_u32 v105, v105, 23, 0x3c000000
	v_and_b32_e32 v104, 0x80000000, v104
	s_delay_alu instid0(VALU_DEP_1)
	v_or3_b32 v8, v8, v104, v105
.LBB424_472:                            ;   in Loop: Header=BB424_10 Depth=1
	s_or_b32 exec_lo, exec_lo, s20
.LBB424_473:                            ;   in Loop: Header=BB424_10 Depth=1
	s_delay_alu instid0(SALU_CYCLE_1)
	s_or_b32 exec_lo, exec_lo, s19
.LBB424_474:                            ;   in Loop: Header=BB424_10 Depth=1
	s_delay_alu instid0(SALU_CYCLE_1) | instskip(NEXT) | instid1(VALU_DEP_1)
	s_or_b32 exec_lo, exec_lo, s3
	v_mul_f32_e32 v8, v177, v8
	s_delay_alu instid0(VALU_DEP_1) | instskip(NEXT) | instid1(VALU_DEP_1)
	v_and_b32_e32 v104, 0x7f800000, v8
	v_cmp_ne_u32_e64 s2, 0x7f800000, v104
                                        ; implicit-def: $vgpr104
	s_delay_alu instid0(VALU_DEP_1) | instskip(NEXT) | instid1(SALU_CYCLE_1)
	s_and_saveexec_b32 s3, s2
	s_xor_b32 s2, exec_lo, s3
; %bb.475:                              ;   in Loop: Header=BB424_10 Depth=1
	v_bfe_u32 v104, v8, 16, 1
	s_delay_alu instid0(VALU_DEP_1)
	v_add3_u32 v104, v8, v104, 0x7fff
                                        ; implicit-def: $vgpr8
; %bb.476:                              ;   in Loop: Header=BB424_10 Depth=1
	s_and_not1_saveexec_b32 s3, s2
; %bb.477:                              ;   in Loop: Header=BB424_10 Depth=1
	v_and_b32_e32 v104, 0xffff, v8
	v_or_b32_e32 v105, 0x10000, v8
	s_delay_alu instid0(VALU_DEP_2) | instskip(NEXT) | instid1(VALU_DEP_1)
	v_cmp_eq_u32_e64 s2, 0, v104
	v_cndmask_b32_e64 v104, v105, v8, s2
; %bb.478:                              ;   in Loop: Header=BB424_10 Depth=1
	s_or_b32 exec_lo, exec_lo, s3
	v_mov_b32_e32 v8, 0
	s_mov_b32 s3, exec_lo
	v_cmpx_lt_u32_e32 0xffffff, v95
	s_cbranch_execz .LBB424_486
; %bb.479:                              ;   in Loop: Header=BB424_10 Depth=1
	v_lshrrev_b32_e32 v105, 24, v95
	v_bfrev_b32_e32 v8, 1
	s_mov_b32 s19, exec_lo
	s_delay_alu instid0(VALU_DEP_2)
	v_cmpx_ne_u32_e32 0x80, v105
	s_cbranch_execz .LBB424_485
; %bb.480:                              ;   in Loop: Header=BB424_10 Depth=1
	v_bfe_u32 v106, v95, 24, 7
	v_mov_b32_e32 v8, 0x7f800001
	s_mov_b32 s20, exec_lo
	s_delay_alu instid0(VALU_DEP_2)
	v_cmpx_ne_u32_e32 0x7f, v106
	s_cbranch_execz .LBB424_484
; %bb.481:                              ;   in Loop: Header=BB424_10 Depth=1
	v_and_b32_e32 v8, 7, v105
	v_lshrrev_b32_e32 v95, 3, v106
	s_mov_b32 s21, exec_lo
	v_cmpx_gt_u32_e32 8, v106
; %bb.482:                              ;   in Loop: Header=BB424_10 Depth=1
	s_delay_alu instid0(VALU_DEP_3) | instskip(NEXT) | instid1(VALU_DEP_1)
	v_clz_i32_u32_e32 v95, v8
	v_min_u32_e32 v95, 32, v95
	s_delay_alu instid0(VALU_DEP_1) | instskip(SKIP_1) | instid1(VALU_DEP_2)
	v_subrev_nc_u32_e32 v106, 28, v95
	v_sub_nc_u32_e32 v95, 29, v95
	v_lshlrev_b64 v[106:107], v106, v[8:9]
	s_delay_alu instid0(VALU_DEP_1)
	v_and_b32_e32 v8, 7, v106
; %bb.483:                              ;   in Loop: Header=BB424_10 Depth=1
	s_or_b32 exec_lo, exec_lo, s21
	v_lshlrev_b32_e32 v105, 24, v105
	s_delay_alu instid0(VALU_DEP_2) | instskip(SKIP_1) | instid1(VALU_DEP_3)
	v_lshlrev_b32_e32 v8, 20, v8
	v_lshl_add_u32 v95, v95, 23, 0x3c000000
	v_and_b32_e32 v105, 0x80000000, v105
	s_delay_alu instid0(VALU_DEP_1)
	v_or3_b32 v8, v8, v105, v95
.LBB424_484:                            ;   in Loop: Header=BB424_10 Depth=1
	s_or_b32 exec_lo, exec_lo, s20
.LBB424_485:                            ;   in Loop: Header=BB424_10 Depth=1
	s_delay_alu instid0(SALU_CYCLE_1)
	s_or_b32 exec_lo, exec_lo, s19
.LBB424_486:                            ;   in Loop: Header=BB424_10 Depth=1
	s_delay_alu instid0(SALU_CYCLE_1) | instskip(NEXT) | instid1(VALU_DEP_1)
	s_or_b32 exec_lo, exec_lo, s3
	v_mul_f32_e32 v8, v177, v8
	s_delay_alu instid0(VALU_DEP_1) | instskip(NEXT) | instid1(VALU_DEP_1)
	v_and_b32_e32 v95, 0x7f800000, v8
	v_cmp_ne_u32_e64 s2, 0x7f800000, v95
                                        ; implicit-def: $vgpr95
	s_delay_alu instid0(VALU_DEP_1) | instskip(NEXT) | instid1(SALU_CYCLE_1)
	s_and_saveexec_b32 s3, s2
	s_xor_b32 s2, exec_lo, s3
; %bb.487:                              ;   in Loop: Header=BB424_10 Depth=1
	v_bfe_u32 v95, v8, 16, 1
	s_delay_alu instid0(VALU_DEP_1)
	v_add3_u32 v95, v8, v95, 0x7fff
                                        ; implicit-def: $vgpr8
; %bb.488:                              ;   in Loop: Header=BB424_10 Depth=1
	s_and_not1_saveexec_b32 s3, s2
; %bb.489:                              ;   in Loop: Header=BB424_10 Depth=1
	v_and_b32_e32 v95, 0xffff, v8
	v_or_b32_e32 v105, 0x10000, v8
	s_delay_alu instid0(VALU_DEP_2) | instskip(NEXT) | instid1(VALU_DEP_1)
	v_cmp_eq_u32_e64 s2, 0, v95
	v_cndmask_b32_e64 v95, v105, v8, s2
; %bb.490:                              ;   in Loop: Header=BB424_10 Depth=1
	s_or_b32 exec_lo, exec_lo, s3
	flat_load_b32 v107, v[28:29] offset:1280
	s_mov_b32 s3, exec_lo
	s_waitcnt vmcnt(0) lgkmcnt(0)
	v_dual_mov_b32 v8, 0 :: v_dual_and_b32 v105, 0xff, v107
	s_delay_alu instid0(VALU_DEP_1)
	v_cmpx_ne_u16_e32 0, v105
	s_cbranch_execz .LBB424_498
; %bb.491:                              ;   in Loop: Header=BB424_10 Depth=1
	v_bfrev_b32_e32 v8, 1
	s_mov_b32 s19, exec_lo
	v_cmpx_ne_u16_e32 0x80, v105
	s_cbranch_execz .LBB424_497
; %bb.492:                              ;   in Loop: Header=BB424_10 Depth=1
	v_and_b32_e32 v106, 0x7f, v107
	v_mov_b32_e32 v8, 0x7f800001
	s_mov_b32 s20, exec_lo
	s_delay_alu instid0(VALU_DEP_2)
	v_cmpx_ne_u32_e32 0x7f, v106
	s_cbranch_execz .LBB424_496
; %bb.493:                              ;   in Loop: Header=BB424_10 Depth=1
	v_and_b32_e32 v8, 7, v107
	v_lshrrev_b32_e32 v105, 3, v106
	s_mov_b32 s21, exec_lo
	v_cmpx_gt_u32_e32 8, v106
; %bb.494:                              ;   in Loop: Header=BB424_10 Depth=1
	s_delay_alu instid0(VALU_DEP_3) | instskip(NEXT) | instid1(VALU_DEP_1)
	v_clz_i32_u32_e32 v105, v8
	v_min_u32_e32 v105, 32, v105
	s_delay_alu instid0(VALU_DEP_1) | instskip(SKIP_1) | instid1(VALU_DEP_2)
	v_subrev_nc_u32_e32 v106, 28, v105
	v_sub_nc_u32_e32 v105, 29, v105
	v_lshlrev_b64 v[108:109], v106, v[8:9]
	s_delay_alu instid0(VALU_DEP_1)
	v_and_b32_e32 v8, 7, v108
; %bb.495:                              ;   in Loop: Header=BB424_10 Depth=1
	s_or_b32 exec_lo, exec_lo, s21
	v_lshlrev_b32_e32 v106, 24, v107
	s_delay_alu instid0(VALU_DEP_2) | instskip(SKIP_1) | instid1(VALU_DEP_3)
	v_lshlrev_b32_e32 v8, 20, v8
	v_lshl_add_u32 v105, v105, 23, 0x3c000000
	v_and_b32_e32 v106, 0x80000000, v106
	s_delay_alu instid0(VALU_DEP_1)
	v_or3_b32 v8, v8, v106, v105
.LBB424_496:                            ;   in Loop: Header=BB424_10 Depth=1
	s_or_b32 exec_lo, exec_lo, s20
.LBB424_497:                            ;   in Loop: Header=BB424_10 Depth=1
	s_delay_alu instid0(SALU_CYCLE_1)
	s_or_b32 exec_lo, exec_lo, s19
.LBB424_498:                            ;   in Loop: Header=BB424_10 Depth=1
	s_delay_alu instid0(SALU_CYCLE_1) | instskip(NEXT) | instid1(VALU_DEP_1)
	s_or_b32 exec_lo, exec_lo, s3
	v_mul_f32_e32 v8, v177, v8
	s_delay_alu instid0(VALU_DEP_1) | instskip(NEXT) | instid1(VALU_DEP_1)
	v_and_b32_e32 v105, 0x7f800000, v8
	v_cmp_ne_u32_e64 s2, 0x7f800000, v105
                                        ; implicit-def: $vgpr105
	s_delay_alu instid0(VALU_DEP_1) | instskip(NEXT) | instid1(SALU_CYCLE_1)
	s_and_saveexec_b32 s3, s2
	s_xor_b32 s2, exec_lo, s3
; %bb.499:                              ;   in Loop: Header=BB424_10 Depth=1
	v_bfe_u32 v105, v8, 16, 1
	s_delay_alu instid0(VALU_DEP_1)
	v_add3_u32 v105, v8, v105, 0x7fff
                                        ; implicit-def: $vgpr8
; %bb.500:                              ;   in Loop: Header=BB424_10 Depth=1
	s_and_not1_saveexec_b32 s3, s2
; %bb.501:                              ;   in Loop: Header=BB424_10 Depth=1
	v_and_b32_e32 v105, 0xffff, v8
	v_or_b32_e32 v106, 0x10000, v8
	s_delay_alu instid0(VALU_DEP_2) | instskip(NEXT) | instid1(VALU_DEP_1)
	v_cmp_eq_u32_e64 s2, 0, v105
	v_cndmask_b32_e64 v105, v106, v8, s2
; %bb.502:                              ;   in Loop: Header=BB424_10 Depth=1
	s_or_b32 exec_lo, exec_lo, s3
	v_lshrrev_b16 v106, 8, v107
	v_mov_b32_e32 v8, 0
	s_mov_b32 s3, exec_lo
	s_delay_alu instid0(VALU_DEP_2)
	v_cmpx_ne_u16_e32 0, v106
	s_cbranch_execz .LBB424_510
; %bb.503:                              ;   in Loop: Header=BB424_10 Depth=1
	v_bfrev_b32_e32 v8, 1
	s_mov_b32 s19, exec_lo
	v_cmpx_ne_u16_e32 0x80, v106
	s_cbranch_execz .LBB424_509
; %bb.504:                              ;   in Loop: Header=BB424_10 Depth=1
	v_and_b32_e32 v106, 0xffff, v106
	v_mov_b32_e32 v8, 0x7f800001
	s_mov_b32 s20, exec_lo
	s_delay_alu instid0(VALU_DEP_2) | instskip(NEXT) | instid1(VALU_DEP_1)
	v_and_b32_e32 v108, 0x7f, v106
	v_cmpx_ne_u32_e32 0x7f, v108
	s_cbranch_execz .LBB424_508
; %bb.505:                              ;   in Loop: Header=BB424_10 Depth=1
	v_and_b32_e32 v8, 7, v106
	v_lshrrev_b32_e32 v106, 3, v108
	s_mov_b32 s21, exec_lo
	v_cmpx_gt_u32_e32 8, v108
; %bb.506:                              ;   in Loop: Header=BB424_10 Depth=1
	s_delay_alu instid0(VALU_DEP_3) | instskip(NEXT) | instid1(VALU_DEP_1)
	v_clz_i32_u32_e32 v106, v8
	v_min_u32_e32 v106, 32, v106
	s_delay_alu instid0(VALU_DEP_1) | instskip(SKIP_1) | instid1(VALU_DEP_2)
	v_subrev_nc_u32_e32 v108, 28, v106
	v_sub_nc_u32_e32 v106, 29, v106
	v_lshlrev_b64 v[108:109], v108, v[8:9]
	s_delay_alu instid0(VALU_DEP_1)
	v_and_b32_e32 v8, 7, v108
; %bb.507:                              ;   in Loop: Header=BB424_10 Depth=1
	s_or_b32 exec_lo, exec_lo, s21
	v_lshlrev_b32_e32 v108, 16, v107
	s_delay_alu instid0(VALU_DEP_2) | instskip(SKIP_1) | instid1(VALU_DEP_3)
	v_lshlrev_b32_e32 v8, 20, v8
	v_lshl_add_u32 v106, v106, 23, 0x3c000000
	v_and_b32_e32 v108, 0x80000000, v108
	s_delay_alu instid0(VALU_DEP_1)
	v_or3_b32 v8, v8, v108, v106
.LBB424_508:                            ;   in Loop: Header=BB424_10 Depth=1
	s_or_b32 exec_lo, exec_lo, s20
.LBB424_509:                            ;   in Loop: Header=BB424_10 Depth=1
	s_delay_alu instid0(SALU_CYCLE_1)
	s_or_b32 exec_lo, exec_lo, s19
.LBB424_510:                            ;   in Loop: Header=BB424_10 Depth=1
	s_delay_alu instid0(SALU_CYCLE_1) | instskip(NEXT) | instid1(VALU_DEP_1)
	s_or_b32 exec_lo, exec_lo, s3
	v_mul_f32_e32 v8, v177, v8
	s_delay_alu instid0(VALU_DEP_1) | instskip(NEXT) | instid1(VALU_DEP_1)
	v_and_b32_e32 v106, 0x7f800000, v8
	v_cmp_ne_u32_e64 s2, 0x7f800000, v106
                                        ; implicit-def: $vgpr106
	s_delay_alu instid0(VALU_DEP_1) | instskip(NEXT) | instid1(SALU_CYCLE_1)
	s_and_saveexec_b32 s3, s2
	s_xor_b32 s2, exec_lo, s3
; %bb.511:                              ;   in Loop: Header=BB424_10 Depth=1
	v_bfe_u32 v106, v8, 16, 1
	s_delay_alu instid0(VALU_DEP_1)
	v_add3_u32 v106, v8, v106, 0x7fff
                                        ; implicit-def: $vgpr8
; %bb.512:                              ;   in Loop: Header=BB424_10 Depth=1
	s_and_not1_saveexec_b32 s3, s2
; %bb.513:                              ;   in Loop: Header=BB424_10 Depth=1
	v_and_b32_e32 v106, 0xffff, v8
	v_or_b32_e32 v108, 0x10000, v8
	s_delay_alu instid0(VALU_DEP_2) | instskip(NEXT) | instid1(VALU_DEP_1)
	v_cmp_eq_u32_e64 s2, 0, v106
	v_cndmask_b32_e64 v106, v108, v8, s2
; %bb.514:                              ;   in Loop: Header=BB424_10 Depth=1
	s_or_b32 exec_lo, exec_lo, s3
	v_lshrrev_b32_e32 v108, 16, v107
	s_mov_b32 s3, exec_lo
	s_delay_alu instid0(VALU_DEP_1) | instskip(NEXT) | instid1(VALU_DEP_1)
	v_dual_mov_b32 v8, 0 :: v_dual_and_b32 v109, 0xff, v108
	v_cmpx_ne_u16_e32 0, v109
	s_cbranch_execz .LBB424_522
; %bb.515:                              ;   in Loop: Header=BB424_10 Depth=1
	v_bfrev_b32_e32 v8, 1
	s_mov_b32 s19, exec_lo
	v_cmpx_ne_u16_e32 0x80, v109
	s_cbranch_execz .LBB424_521
; %bb.516:                              ;   in Loop: Header=BB424_10 Depth=1
	v_bfe_u32 v110, v107, 16, 7
	v_mov_b32_e32 v8, 0x7f800001
	s_mov_b32 s20, exec_lo
	s_delay_alu instid0(VALU_DEP_2)
	v_cmpx_ne_u32_e32 0x7f, v110
	s_cbranch_execz .LBB424_520
; %bb.517:                              ;   in Loop: Header=BB424_10 Depth=1
	v_and_b32_e32 v8, 7, v108
	v_lshrrev_b32_e32 v109, 3, v110
	s_mov_b32 s21, exec_lo
	v_cmpx_gt_u32_e32 8, v110
; %bb.518:                              ;   in Loop: Header=BB424_10 Depth=1
	s_delay_alu instid0(VALU_DEP_3) | instskip(NEXT) | instid1(VALU_DEP_1)
	v_clz_i32_u32_e32 v109, v8
	v_min_u32_e32 v109, 32, v109
	s_delay_alu instid0(VALU_DEP_1) | instskip(SKIP_1) | instid1(VALU_DEP_2)
	v_subrev_nc_u32_e32 v110, 28, v109
	v_sub_nc_u32_e32 v109, 29, v109
	v_lshlrev_b64 v[110:111], v110, v[8:9]
	s_delay_alu instid0(VALU_DEP_1)
	v_and_b32_e32 v8, 7, v110
; %bb.519:                              ;   in Loop: Header=BB424_10 Depth=1
	s_or_b32 exec_lo, exec_lo, s21
	v_lshlrev_b32_e32 v108, 24, v108
	s_delay_alu instid0(VALU_DEP_2) | instskip(SKIP_1) | instid1(VALU_DEP_3)
	v_lshlrev_b32_e32 v8, 20, v8
	v_lshl_add_u32 v109, v109, 23, 0x3c000000
	v_and_b32_e32 v108, 0x80000000, v108
	s_delay_alu instid0(VALU_DEP_1)
	v_or3_b32 v8, v8, v108, v109
.LBB424_520:                            ;   in Loop: Header=BB424_10 Depth=1
	s_or_b32 exec_lo, exec_lo, s20
.LBB424_521:                            ;   in Loop: Header=BB424_10 Depth=1
	s_delay_alu instid0(SALU_CYCLE_1)
	s_or_b32 exec_lo, exec_lo, s19
.LBB424_522:                            ;   in Loop: Header=BB424_10 Depth=1
	s_delay_alu instid0(SALU_CYCLE_1) | instskip(NEXT) | instid1(VALU_DEP_1)
	s_or_b32 exec_lo, exec_lo, s3
	v_mul_f32_e32 v8, v177, v8
	s_delay_alu instid0(VALU_DEP_1) | instskip(NEXT) | instid1(VALU_DEP_1)
	v_and_b32_e32 v108, 0x7f800000, v8
	v_cmp_ne_u32_e64 s2, 0x7f800000, v108
                                        ; implicit-def: $vgpr108
	s_delay_alu instid0(VALU_DEP_1) | instskip(NEXT) | instid1(SALU_CYCLE_1)
	s_and_saveexec_b32 s3, s2
	s_xor_b32 s2, exec_lo, s3
; %bb.523:                              ;   in Loop: Header=BB424_10 Depth=1
	v_bfe_u32 v108, v8, 16, 1
	s_delay_alu instid0(VALU_DEP_1)
	v_add3_u32 v108, v8, v108, 0x7fff
                                        ; implicit-def: $vgpr8
; %bb.524:                              ;   in Loop: Header=BB424_10 Depth=1
	s_and_not1_saveexec_b32 s3, s2
; %bb.525:                              ;   in Loop: Header=BB424_10 Depth=1
	v_and_b32_e32 v108, 0xffff, v8
	v_or_b32_e32 v109, 0x10000, v8
	s_delay_alu instid0(VALU_DEP_2) | instskip(NEXT) | instid1(VALU_DEP_1)
	v_cmp_eq_u32_e64 s2, 0, v108
	v_cndmask_b32_e64 v108, v109, v8, s2
; %bb.526:                              ;   in Loop: Header=BB424_10 Depth=1
	s_or_b32 exec_lo, exec_lo, s3
	v_mov_b32_e32 v8, 0
	s_mov_b32 s3, exec_lo
	v_cmpx_lt_u32_e32 0xffffff, v107
	s_cbranch_execz .LBB424_534
; %bb.527:                              ;   in Loop: Header=BB424_10 Depth=1
	v_lshrrev_b32_e32 v109, 24, v107
	v_bfrev_b32_e32 v8, 1
	s_mov_b32 s19, exec_lo
	s_delay_alu instid0(VALU_DEP_2)
	v_cmpx_ne_u32_e32 0x80, v109
	s_cbranch_execz .LBB424_533
; %bb.528:                              ;   in Loop: Header=BB424_10 Depth=1
	v_bfe_u32 v110, v107, 24, 7
	v_mov_b32_e32 v8, 0x7f800001
	s_mov_b32 s20, exec_lo
	s_delay_alu instid0(VALU_DEP_2)
	v_cmpx_ne_u32_e32 0x7f, v110
	s_cbranch_execz .LBB424_532
; %bb.529:                              ;   in Loop: Header=BB424_10 Depth=1
	v_and_b32_e32 v8, 7, v109
	v_lshrrev_b32_e32 v107, 3, v110
	s_mov_b32 s21, exec_lo
	v_cmpx_gt_u32_e32 8, v110
; %bb.530:                              ;   in Loop: Header=BB424_10 Depth=1
	s_delay_alu instid0(VALU_DEP_3) | instskip(NEXT) | instid1(VALU_DEP_1)
	v_clz_i32_u32_e32 v107, v8
	v_min_u32_e32 v107, 32, v107
	s_delay_alu instid0(VALU_DEP_1) | instskip(SKIP_1) | instid1(VALU_DEP_2)
	v_subrev_nc_u32_e32 v110, 28, v107
	v_sub_nc_u32_e32 v107, 29, v107
	v_lshlrev_b64 v[110:111], v110, v[8:9]
	s_delay_alu instid0(VALU_DEP_1)
	v_and_b32_e32 v8, 7, v110
; %bb.531:                              ;   in Loop: Header=BB424_10 Depth=1
	s_or_b32 exec_lo, exec_lo, s21
	v_lshlrev_b32_e32 v109, 24, v109
	s_delay_alu instid0(VALU_DEP_2) | instskip(SKIP_1) | instid1(VALU_DEP_3)
	v_lshlrev_b32_e32 v8, 20, v8
	v_lshl_add_u32 v107, v107, 23, 0x3c000000
	v_and_b32_e32 v109, 0x80000000, v109
	s_delay_alu instid0(VALU_DEP_1)
	v_or3_b32 v8, v8, v109, v107
.LBB424_532:                            ;   in Loop: Header=BB424_10 Depth=1
	s_or_b32 exec_lo, exec_lo, s20
.LBB424_533:                            ;   in Loop: Header=BB424_10 Depth=1
	s_delay_alu instid0(SALU_CYCLE_1)
	s_or_b32 exec_lo, exec_lo, s19
.LBB424_534:                            ;   in Loop: Header=BB424_10 Depth=1
	s_delay_alu instid0(SALU_CYCLE_1) | instskip(NEXT) | instid1(VALU_DEP_1)
	s_or_b32 exec_lo, exec_lo, s3
	v_mul_f32_e32 v8, v177, v8
	s_delay_alu instid0(VALU_DEP_1) | instskip(NEXT) | instid1(VALU_DEP_1)
	v_and_b32_e32 v107, 0x7f800000, v8
	v_cmp_ne_u32_e64 s2, 0x7f800000, v107
                                        ; implicit-def: $vgpr107
	s_delay_alu instid0(VALU_DEP_1) | instskip(NEXT) | instid1(SALU_CYCLE_1)
	s_and_saveexec_b32 s3, s2
	s_xor_b32 s2, exec_lo, s3
; %bb.535:                              ;   in Loop: Header=BB424_10 Depth=1
	v_bfe_u32 v107, v8, 16, 1
	s_delay_alu instid0(VALU_DEP_1)
	v_add3_u32 v107, v8, v107, 0x7fff
                                        ; implicit-def: $vgpr8
; %bb.536:                              ;   in Loop: Header=BB424_10 Depth=1
	s_and_not1_saveexec_b32 s3, s2
; %bb.537:                              ;   in Loop: Header=BB424_10 Depth=1
	v_and_b32_e32 v107, 0xffff, v8
	v_or_b32_e32 v109, 0x10000, v8
	s_delay_alu instid0(VALU_DEP_2) | instskip(NEXT) | instid1(VALU_DEP_1)
	v_cmp_eq_u32_e64 s2, 0, v107
	v_cndmask_b32_e64 v107, v109, v8, s2
; %bb.538:                              ;   in Loop: Header=BB424_10 Depth=1
	s_or_b32 exec_lo, exec_lo, s3
	flat_load_b32 v111, v[28:29] offset:1288
	s_mov_b32 s3, exec_lo
	s_waitcnt vmcnt(0) lgkmcnt(0)
	v_dual_mov_b32 v8, 0 :: v_dual_and_b32 v109, 0xff, v111
	s_delay_alu instid0(VALU_DEP_1)
	v_cmpx_ne_u16_e32 0, v109
	s_cbranch_execz .LBB424_546
; %bb.539:                              ;   in Loop: Header=BB424_10 Depth=1
	v_bfrev_b32_e32 v8, 1
	s_mov_b32 s19, exec_lo
	v_cmpx_ne_u16_e32 0x80, v109
	s_cbranch_execz .LBB424_545
; %bb.540:                              ;   in Loop: Header=BB424_10 Depth=1
	v_and_b32_e32 v110, 0x7f, v111
	v_mov_b32_e32 v8, 0x7f800001
	s_mov_b32 s20, exec_lo
	s_delay_alu instid0(VALU_DEP_2)
	v_cmpx_ne_u32_e32 0x7f, v110
	s_cbranch_execz .LBB424_544
; %bb.541:                              ;   in Loop: Header=BB424_10 Depth=1
	v_and_b32_e32 v8, 7, v111
	v_lshrrev_b32_e32 v109, 3, v110
	s_mov_b32 s21, exec_lo
	v_cmpx_gt_u32_e32 8, v110
; %bb.542:                              ;   in Loop: Header=BB424_10 Depth=1
	s_delay_alu instid0(VALU_DEP_3) | instskip(NEXT) | instid1(VALU_DEP_1)
	v_clz_i32_u32_e32 v109, v8
	v_min_u32_e32 v109, 32, v109
	s_delay_alu instid0(VALU_DEP_1) | instskip(SKIP_1) | instid1(VALU_DEP_2)
	v_subrev_nc_u32_e32 v110, 28, v109
	v_sub_nc_u32_e32 v109, 29, v109
	v_lshlrev_b64 v[120:121], v110, v[8:9]
	s_delay_alu instid0(VALU_DEP_1)
	v_and_b32_e32 v8, 7, v120
; %bb.543:                              ;   in Loop: Header=BB424_10 Depth=1
	s_or_b32 exec_lo, exec_lo, s21
	v_lshlrev_b32_e32 v110, 24, v111
	s_delay_alu instid0(VALU_DEP_2) | instskip(SKIP_1) | instid1(VALU_DEP_3)
	v_lshlrev_b32_e32 v8, 20, v8
	v_lshl_add_u32 v109, v109, 23, 0x3c000000
	v_and_b32_e32 v110, 0x80000000, v110
	s_delay_alu instid0(VALU_DEP_1)
	v_or3_b32 v8, v8, v110, v109
.LBB424_544:                            ;   in Loop: Header=BB424_10 Depth=1
	s_or_b32 exec_lo, exec_lo, s20
.LBB424_545:                            ;   in Loop: Header=BB424_10 Depth=1
	s_delay_alu instid0(SALU_CYCLE_1)
	s_or_b32 exec_lo, exec_lo, s19
.LBB424_546:                            ;   in Loop: Header=BB424_10 Depth=1
	s_delay_alu instid0(SALU_CYCLE_1) | instskip(NEXT) | instid1(VALU_DEP_1)
	s_or_b32 exec_lo, exec_lo, s3
	v_mul_f32_e32 v8, v177, v8
	s_delay_alu instid0(VALU_DEP_1) | instskip(NEXT) | instid1(VALU_DEP_1)
	v_and_b32_e32 v109, 0x7f800000, v8
	v_cmp_ne_u32_e64 s2, 0x7f800000, v109
                                        ; implicit-def: $vgpr109
	s_delay_alu instid0(VALU_DEP_1) | instskip(NEXT) | instid1(SALU_CYCLE_1)
	s_and_saveexec_b32 s3, s2
	s_xor_b32 s2, exec_lo, s3
; %bb.547:                              ;   in Loop: Header=BB424_10 Depth=1
	v_bfe_u32 v109, v8, 16, 1
	s_delay_alu instid0(VALU_DEP_1)
	v_add3_u32 v109, v8, v109, 0x7fff
                                        ; implicit-def: $vgpr8
; %bb.548:                              ;   in Loop: Header=BB424_10 Depth=1
	s_and_not1_saveexec_b32 s3, s2
; %bb.549:                              ;   in Loop: Header=BB424_10 Depth=1
	v_and_b32_e32 v109, 0xffff, v8
	v_or_b32_e32 v110, 0x10000, v8
	s_delay_alu instid0(VALU_DEP_2) | instskip(NEXT) | instid1(VALU_DEP_1)
	v_cmp_eq_u32_e64 s2, 0, v109
	v_cndmask_b32_e64 v109, v110, v8, s2
; %bb.550:                              ;   in Loop: Header=BB424_10 Depth=1
	s_or_b32 exec_lo, exec_lo, s3
	v_lshrrev_b16 v110, 8, v111
	v_mov_b32_e32 v8, 0
	s_mov_b32 s3, exec_lo
	s_delay_alu instid0(VALU_DEP_2)
	v_cmpx_ne_u16_e32 0, v110
	s_cbranch_execz .LBB424_558
; %bb.551:                              ;   in Loop: Header=BB424_10 Depth=1
	v_bfrev_b32_e32 v8, 1
	s_mov_b32 s19, exec_lo
	v_cmpx_ne_u16_e32 0x80, v110
	s_cbranch_execz .LBB424_557
; %bb.552:                              ;   in Loop: Header=BB424_10 Depth=1
	v_and_b32_e32 v110, 0xffff, v110
	v_mov_b32_e32 v8, 0x7f800001
	s_mov_b32 s20, exec_lo
	s_delay_alu instid0(VALU_DEP_2) | instskip(NEXT) | instid1(VALU_DEP_1)
	v_and_b32_e32 v120, 0x7f, v110
	v_cmpx_ne_u32_e32 0x7f, v120
	s_cbranch_execz .LBB424_556
; %bb.553:                              ;   in Loop: Header=BB424_10 Depth=1
	v_and_b32_e32 v8, 7, v110
	v_lshrrev_b32_e32 v110, 3, v120
	s_mov_b32 s21, exec_lo
	v_cmpx_gt_u32_e32 8, v120
; %bb.554:                              ;   in Loop: Header=BB424_10 Depth=1
	s_delay_alu instid0(VALU_DEP_3) | instskip(NEXT) | instid1(VALU_DEP_1)
	v_clz_i32_u32_e32 v110, v8
	v_min_u32_e32 v110, 32, v110
	s_delay_alu instid0(VALU_DEP_1) | instskip(SKIP_1) | instid1(VALU_DEP_2)
	v_subrev_nc_u32_e32 v120, 28, v110
	v_sub_nc_u32_e32 v110, 29, v110
	v_lshlrev_b64 v[120:121], v120, v[8:9]
	s_delay_alu instid0(VALU_DEP_1)
	v_and_b32_e32 v8, 7, v120
; %bb.555:                              ;   in Loop: Header=BB424_10 Depth=1
	s_or_b32 exec_lo, exec_lo, s21
	v_lshlrev_b32_e32 v120, 16, v111
	s_delay_alu instid0(VALU_DEP_2) | instskip(SKIP_1) | instid1(VALU_DEP_3)
	v_lshlrev_b32_e32 v8, 20, v8
	v_lshl_add_u32 v110, v110, 23, 0x3c000000
	v_and_b32_e32 v120, 0x80000000, v120
	s_delay_alu instid0(VALU_DEP_1)
	v_or3_b32 v8, v8, v120, v110
.LBB424_556:                            ;   in Loop: Header=BB424_10 Depth=1
	s_or_b32 exec_lo, exec_lo, s20
.LBB424_557:                            ;   in Loop: Header=BB424_10 Depth=1
	s_delay_alu instid0(SALU_CYCLE_1)
	s_or_b32 exec_lo, exec_lo, s19
.LBB424_558:                            ;   in Loop: Header=BB424_10 Depth=1
	s_delay_alu instid0(SALU_CYCLE_1) | instskip(NEXT) | instid1(VALU_DEP_1)
	s_or_b32 exec_lo, exec_lo, s3
	v_mul_f32_e32 v8, v177, v8
	s_delay_alu instid0(VALU_DEP_1) | instskip(NEXT) | instid1(VALU_DEP_1)
	v_and_b32_e32 v110, 0x7f800000, v8
	v_cmp_ne_u32_e64 s2, 0x7f800000, v110
                                        ; implicit-def: $vgpr110
	s_delay_alu instid0(VALU_DEP_1) | instskip(NEXT) | instid1(SALU_CYCLE_1)
	s_and_saveexec_b32 s3, s2
	s_xor_b32 s2, exec_lo, s3
; %bb.559:                              ;   in Loop: Header=BB424_10 Depth=1
	v_bfe_u32 v110, v8, 16, 1
	s_delay_alu instid0(VALU_DEP_1)
	v_add3_u32 v110, v8, v110, 0x7fff
                                        ; implicit-def: $vgpr8
; %bb.560:                              ;   in Loop: Header=BB424_10 Depth=1
	s_and_not1_saveexec_b32 s3, s2
; %bb.561:                              ;   in Loop: Header=BB424_10 Depth=1
	v_and_b32_e32 v110, 0xffff, v8
	v_or_b32_e32 v120, 0x10000, v8
	s_delay_alu instid0(VALU_DEP_2) | instskip(NEXT) | instid1(VALU_DEP_1)
	v_cmp_eq_u32_e64 s2, 0, v110
	v_cndmask_b32_e64 v110, v120, v8, s2
; %bb.562:                              ;   in Loop: Header=BB424_10 Depth=1
	s_or_b32 exec_lo, exec_lo, s3
	v_lshrrev_b32_e32 v120, 16, v111
	s_mov_b32 s3, exec_lo
	s_delay_alu instid0(VALU_DEP_1) | instskip(NEXT) | instid1(VALU_DEP_1)
	v_dual_mov_b32 v8, 0 :: v_dual_and_b32 v121, 0xff, v120
	v_cmpx_ne_u16_e32 0, v121
	s_cbranch_execz .LBB424_570
; %bb.563:                              ;   in Loop: Header=BB424_10 Depth=1
	v_bfrev_b32_e32 v8, 1
	s_mov_b32 s19, exec_lo
	v_cmpx_ne_u16_e32 0x80, v121
	s_cbranch_execz .LBB424_569
; %bb.564:                              ;   in Loop: Header=BB424_10 Depth=1
	v_bfe_u32 v122, v111, 16, 7
	v_mov_b32_e32 v8, 0x7f800001
	s_mov_b32 s20, exec_lo
	s_delay_alu instid0(VALU_DEP_2)
	v_cmpx_ne_u32_e32 0x7f, v122
	s_cbranch_execz .LBB424_568
; %bb.565:                              ;   in Loop: Header=BB424_10 Depth=1
	v_and_b32_e32 v8, 7, v120
	v_lshrrev_b32_e32 v121, 3, v122
	s_mov_b32 s21, exec_lo
	v_cmpx_gt_u32_e32 8, v122
; %bb.566:                              ;   in Loop: Header=BB424_10 Depth=1
	s_delay_alu instid0(VALU_DEP_3) | instskip(NEXT) | instid1(VALU_DEP_1)
	v_clz_i32_u32_e32 v121, v8
	v_min_u32_e32 v121, 32, v121
	s_delay_alu instid0(VALU_DEP_1) | instskip(SKIP_1) | instid1(VALU_DEP_2)
	v_subrev_nc_u32_e32 v122, 28, v121
	v_sub_nc_u32_e32 v121, 29, v121
	v_lshlrev_b64 v[122:123], v122, v[8:9]
	s_delay_alu instid0(VALU_DEP_1)
	v_and_b32_e32 v8, 7, v122
; %bb.567:                              ;   in Loop: Header=BB424_10 Depth=1
	s_or_b32 exec_lo, exec_lo, s21
	v_lshlrev_b32_e32 v120, 24, v120
	s_delay_alu instid0(VALU_DEP_2) | instskip(SKIP_1) | instid1(VALU_DEP_3)
	v_lshlrev_b32_e32 v8, 20, v8
	v_lshl_add_u32 v121, v121, 23, 0x3c000000
	v_and_b32_e32 v120, 0x80000000, v120
	s_delay_alu instid0(VALU_DEP_1)
	v_or3_b32 v8, v8, v120, v121
.LBB424_568:                            ;   in Loop: Header=BB424_10 Depth=1
	s_or_b32 exec_lo, exec_lo, s20
.LBB424_569:                            ;   in Loop: Header=BB424_10 Depth=1
	s_delay_alu instid0(SALU_CYCLE_1)
	s_or_b32 exec_lo, exec_lo, s19
.LBB424_570:                            ;   in Loop: Header=BB424_10 Depth=1
	s_delay_alu instid0(SALU_CYCLE_1) | instskip(NEXT) | instid1(VALU_DEP_1)
	s_or_b32 exec_lo, exec_lo, s3
	v_mul_f32_e32 v8, v177, v8
	s_delay_alu instid0(VALU_DEP_1) | instskip(NEXT) | instid1(VALU_DEP_1)
	v_and_b32_e32 v120, 0x7f800000, v8
	v_cmp_ne_u32_e64 s2, 0x7f800000, v120
                                        ; implicit-def: $vgpr120
	s_delay_alu instid0(VALU_DEP_1) | instskip(NEXT) | instid1(SALU_CYCLE_1)
	s_and_saveexec_b32 s3, s2
	s_xor_b32 s2, exec_lo, s3
; %bb.571:                              ;   in Loop: Header=BB424_10 Depth=1
	v_bfe_u32 v120, v8, 16, 1
	s_delay_alu instid0(VALU_DEP_1)
	v_add3_u32 v120, v8, v120, 0x7fff
                                        ; implicit-def: $vgpr8
; %bb.572:                              ;   in Loop: Header=BB424_10 Depth=1
	s_and_not1_saveexec_b32 s3, s2
; %bb.573:                              ;   in Loop: Header=BB424_10 Depth=1
	v_and_b32_e32 v120, 0xffff, v8
	v_or_b32_e32 v121, 0x10000, v8
	s_delay_alu instid0(VALU_DEP_2) | instskip(NEXT) | instid1(VALU_DEP_1)
	v_cmp_eq_u32_e64 s2, 0, v120
	v_cndmask_b32_e64 v120, v121, v8, s2
; %bb.574:                              ;   in Loop: Header=BB424_10 Depth=1
	s_or_b32 exec_lo, exec_lo, s3
	v_mov_b32_e32 v8, 0
	s_mov_b32 s3, exec_lo
	v_cmpx_lt_u32_e32 0xffffff, v111
	s_cbranch_execz .LBB424_582
; %bb.575:                              ;   in Loop: Header=BB424_10 Depth=1
	v_lshrrev_b32_e32 v121, 24, v111
	v_bfrev_b32_e32 v8, 1
	s_mov_b32 s19, exec_lo
	s_delay_alu instid0(VALU_DEP_2)
	v_cmpx_ne_u32_e32 0x80, v121
	s_cbranch_execz .LBB424_581
; %bb.576:                              ;   in Loop: Header=BB424_10 Depth=1
	v_bfe_u32 v122, v111, 24, 7
	v_mov_b32_e32 v8, 0x7f800001
	s_mov_b32 s20, exec_lo
	s_delay_alu instid0(VALU_DEP_2)
	v_cmpx_ne_u32_e32 0x7f, v122
	s_cbranch_execz .LBB424_580
; %bb.577:                              ;   in Loop: Header=BB424_10 Depth=1
	v_and_b32_e32 v8, 7, v121
	v_lshrrev_b32_e32 v111, 3, v122
	s_mov_b32 s21, exec_lo
	v_cmpx_gt_u32_e32 8, v122
; %bb.578:                              ;   in Loop: Header=BB424_10 Depth=1
	s_delay_alu instid0(VALU_DEP_3) | instskip(NEXT) | instid1(VALU_DEP_1)
	v_clz_i32_u32_e32 v111, v8
	v_min_u32_e32 v111, 32, v111
	s_delay_alu instid0(VALU_DEP_1) | instskip(SKIP_1) | instid1(VALU_DEP_2)
	v_subrev_nc_u32_e32 v122, 28, v111
	v_sub_nc_u32_e32 v111, 29, v111
	v_lshlrev_b64 v[122:123], v122, v[8:9]
	s_delay_alu instid0(VALU_DEP_1)
	v_and_b32_e32 v8, 7, v122
; %bb.579:                              ;   in Loop: Header=BB424_10 Depth=1
	s_or_b32 exec_lo, exec_lo, s21
	v_lshlrev_b32_e32 v121, 24, v121
	s_delay_alu instid0(VALU_DEP_2) | instskip(SKIP_1) | instid1(VALU_DEP_3)
	v_lshlrev_b32_e32 v8, 20, v8
	v_lshl_add_u32 v111, v111, 23, 0x3c000000
	v_and_b32_e32 v121, 0x80000000, v121
	s_delay_alu instid0(VALU_DEP_1)
	v_or3_b32 v8, v8, v121, v111
.LBB424_580:                            ;   in Loop: Header=BB424_10 Depth=1
	s_or_b32 exec_lo, exec_lo, s20
.LBB424_581:                            ;   in Loop: Header=BB424_10 Depth=1
	s_delay_alu instid0(SALU_CYCLE_1)
	s_or_b32 exec_lo, exec_lo, s19
.LBB424_582:                            ;   in Loop: Header=BB424_10 Depth=1
	s_delay_alu instid0(SALU_CYCLE_1) | instskip(NEXT) | instid1(VALU_DEP_1)
	s_or_b32 exec_lo, exec_lo, s3
	v_mul_f32_e32 v8, v177, v8
	s_delay_alu instid0(VALU_DEP_1) | instskip(NEXT) | instid1(VALU_DEP_1)
	v_and_b32_e32 v111, 0x7f800000, v8
	v_cmp_ne_u32_e64 s2, 0x7f800000, v111
                                        ; implicit-def: $vgpr111
	s_delay_alu instid0(VALU_DEP_1) | instskip(NEXT) | instid1(SALU_CYCLE_1)
	s_and_saveexec_b32 s3, s2
	s_xor_b32 s2, exec_lo, s3
; %bb.583:                              ;   in Loop: Header=BB424_10 Depth=1
	v_bfe_u32 v111, v8, 16, 1
	s_delay_alu instid0(VALU_DEP_1)
	v_add3_u32 v111, v8, v111, 0x7fff
                                        ; implicit-def: $vgpr8
; %bb.584:                              ;   in Loop: Header=BB424_10 Depth=1
	s_and_not1_saveexec_b32 s3, s2
; %bb.585:                              ;   in Loop: Header=BB424_10 Depth=1
	v_and_b32_e32 v111, 0xffff, v8
	v_or_b32_e32 v121, 0x10000, v8
	s_delay_alu instid0(VALU_DEP_2) | instskip(NEXT) | instid1(VALU_DEP_1)
	v_cmp_eq_u32_e64 s2, 0, v111
	v_cndmask_b32_e64 v111, v121, v8, s2
; %bb.586:                              ;   in Loop: Header=BB424_10 Depth=1
	s_or_b32 exec_lo, exec_lo, s3
	flat_load_b32 v124, v[28:29] offset:1536
	s_mov_b32 s3, exec_lo
	s_waitcnt vmcnt(0) lgkmcnt(0)
	v_dual_mov_b32 v8, 0 :: v_dual_and_b32 v121, 0xff, v124
	s_delay_alu instid0(VALU_DEP_1)
	v_cmpx_ne_u16_e32 0, v121
	s_cbranch_execz .LBB424_594
; %bb.587:                              ;   in Loop: Header=BB424_10 Depth=1
	v_bfrev_b32_e32 v8, 1
	s_mov_b32 s19, exec_lo
	v_cmpx_ne_u16_e32 0x80, v121
	s_cbranch_execz .LBB424_593
; %bb.588:                              ;   in Loop: Header=BB424_10 Depth=1
	v_and_b32_e32 v122, 0x7f, v124
	v_mov_b32_e32 v8, 0x7f800001
	s_mov_b32 s20, exec_lo
	s_delay_alu instid0(VALU_DEP_2)
	v_cmpx_ne_u32_e32 0x7f, v122
	s_cbranch_execz .LBB424_592
; %bb.589:                              ;   in Loop: Header=BB424_10 Depth=1
	v_and_b32_e32 v8, 7, v124
	v_lshrrev_b32_e32 v121, 3, v122
	s_mov_b32 s21, exec_lo
	v_cmpx_gt_u32_e32 8, v122
; %bb.590:                              ;   in Loop: Header=BB424_10 Depth=1
	s_delay_alu instid0(VALU_DEP_3) | instskip(NEXT) | instid1(VALU_DEP_1)
	v_clz_i32_u32_e32 v121, v8
	v_min_u32_e32 v121, 32, v121
	s_delay_alu instid0(VALU_DEP_1) | instskip(SKIP_1) | instid1(VALU_DEP_2)
	v_subrev_nc_u32_e32 v122, 28, v121
	v_sub_nc_u32_e32 v121, 29, v121
	v_lshlrev_b64 v[122:123], v122, v[8:9]
	s_delay_alu instid0(VALU_DEP_1)
	v_and_b32_e32 v8, 7, v122
; %bb.591:                              ;   in Loop: Header=BB424_10 Depth=1
	s_or_b32 exec_lo, exec_lo, s21
	v_lshlrev_b32_e32 v122, 24, v124
	s_delay_alu instid0(VALU_DEP_2) | instskip(SKIP_1) | instid1(VALU_DEP_3)
	v_lshlrev_b32_e32 v8, 20, v8
	v_lshl_add_u32 v121, v121, 23, 0x3c000000
	v_and_b32_e32 v122, 0x80000000, v122
	s_delay_alu instid0(VALU_DEP_1)
	v_or3_b32 v8, v8, v122, v121
.LBB424_592:                            ;   in Loop: Header=BB424_10 Depth=1
	s_or_b32 exec_lo, exec_lo, s20
.LBB424_593:                            ;   in Loop: Header=BB424_10 Depth=1
	s_delay_alu instid0(SALU_CYCLE_1)
	s_or_b32 exec_lo, exec_lo, s19
.LBB424_594:                            ;   in Loop: Header=BB424_10 Depth=1
	s_delay_alu instid0(SALU_CYCLE_1) | instskip(NEXT) | instid1(VALU_DEP_1)
	s_or_b32 exec_lo, exec_lo, s3
	v_mul_f32_e32 v8, v177, v8
	s_delay_alu instid0(VALU_DEP_1) | instskip(NEXT) | instid1(VALU_DEP_1)
	v_and_b32_e32 v121, 0x7f800000, v8
	v_cmp_ne_u32_e64 s2, 0x7f800000, v121
                                        ; implicit-def: $vgpr121
	s_delay_alu instid0(VALU_DEP_1) | instskip(NEXT) | instid1(SALU_CYCLE_1)
	s_and_saveexec_b32 s3, s2
	s_xor_b32 s2, exec_lo, s3
; %bb.595:                              ;   in Loop: Header=BB424_10 Depth=1
	v_bfe_u32 v121, v8, 16, 1
	s_delay_alu instid0(VALU_DEP_1)
	v_add3_u32 v121, v8, v121, 0x7fff
                                        ; implicit-def: $vgpr8
; %bb.596:                              ;   in Loop: Header=BB424_10 Depth=1
	s_and_not1_saveexec_b32 s3, s2
; %bb.597:                              ;   in Loop: Header=BB424_10 Depth=1
	v_and_b32_e32 v121, 0xffff, v8
	v_or_b32_e32 v122, 0x10000, v8
	s_delay_alu instid0(VALU_DEP_2) | instskip(NEXT) | instid1(VALU_DEP_1)
	v_cmp_eq_u32_e64 s2, 0, v121
	v_cndmask_b32_e64 v121, v122, v8, s2
; %bb.598:                              ;   in Loop: Header=BB424_10 Depth=1
	s_or_b32 exec_lo, exec_lo, s3
	v_lshrrev_b16 v122, 8, v124
	v_mov_b32_e32 v8, 0
	s_mov_b32 s3, exec_lo
	s_delay_alu instid0(VALU_DEP_2)
	v_cmpx_ne_u16_e32 0, v122
	s_cbranch_execz .LBB424_606
; %bb.599:                              ;   in Loop: Header=BB424_10 Depth=1
	v_bfrev_b32_e32 v8, 1
	s_mov_b32 s19, exec_lo
	v_cmpx_ne_u16_e32 0x80, v122
	s_cbranch_execz .LBB424_605
; %bb.600:                              ;   in Loop: Header=BB424_10 Depth=1
	v_and_b32_e32 v122, 0xffff, v122
	v_mov_b32_e32 v8, 0x7f800001
	s_mov_b32 s20, exec_lo
	s_delay_alu instid0(VALU_DEP_2) | instskip(NEXT) | instid1(VALU_DEP_1)
	v_and_b32_e32 v123, 0x7f, v122
	v_cmpx_ne_u32_e32 0x7f, v123
	s_cbranch_execz .LBB424_604
; %bb.601:                              ;   in Loop: Header=BB424_10 Depth=1
	v_and_b32_e32 v8, 7, v122
	v_lshrrev_b32_e32 v122, 3, v123
	s_mov_b32 s21, exec_lo
	v_cmpx_gt_u32_e32 8, v123
; %bb.602:                              ;   in Loop: Header=BB424_10 Depth=1
	s_delay_alu instid0(VALU_DEP_3) | instskip(NEXT) | instid1(VALU_DEP_1)
	v_clz_i32_u32_e32 v122, v8
	v_min_u32_e32 v122, 32, v122
	s_delay_alu instid0(VALU_DEP_1) | instskip(SKIP_1) | instid1(VALU_DEP_2)
	v_subrev_nc_u32_e32 v123, 28, v122
	v_sub_nc_u32_e32 v122, 29, v122
	v_lshlrev_b64 v[125:126], v123, v[8:9]
	s_delay_alu instid0(VALU_DEP_1)
	v_and_b32_e32 v8, 7, v125
; %bb.603:                              ;   in Loop: Header=BB424_10 Depth=1
	s_or_b32 exec_lo, exec_lo, s21
	v_lshlrev_b32_e32 v123, 16, v124
	s_delay_alu instid0(VALU_DEP_2) | instskip(SKIP_1) | instid1(VALU_DEP_3)
	v_lshlrev_b32_e32 v8, 20, v8
	v_lshl_add_u32 v122, v122, 23, 0x3c000000
	v_and_b32_e32 v123, 0x80000000, v123
	s_delay_alu instid0(VALU_DEP_1)
	v_or3_b32 v8, v8, v123, v122
.LBB424_604:                            ;   in Loop: Header=BB424_10 Depth=1
	s_or_b32 exec_lo, exec_lo, s20
.LBB424_605:                            ;   in Loop: Header=BB424_10 Depth=1
	s_delay_alu instid0(SALU_CYCLE_1)
	s_or_b32 exec_lo, exec_lo, s19
.LBB424_606:                            ;   in Loop: Header=BB424_10 Depth=1
	s_delay_alu instid0(SALU_CYCLE_1) | instskip(NEXT) | instid1(VALU_DEP_1)
	s_or_b32 exec_lo, exec_lo, s3
	v_mul_f32_e32 v8, v177, v8
	s_delay_alu instid0(VALU_DEP_1) | instskip(NEXT) | instid1(VALU_DEP_1)
	v_and_b32_e32 v122, 0x7f800000, v8
	v_cmp_ne_u32_e64 s2, 0x7f800000, v122
                                        ; implicit-def: $vgpr122
	s_delay_alu instid0(VALU_DEP_1) | instskip(NEXT) | instid1(SALU_CYCLE_1)
	s_and_saveexec_b32 s3, s2
	s_xor_b32 s2, exec_lo, s3
; %bb.607:                              ;   in Loop: Header=BB424_10 Depth=1
	v_bfe_u32 v122, v8, 16, 1
	s_delay_alu instid0(VALU_DEP_1)
	v_add3_u32 v122, v8, v122, 0x7fff
                                        ; implicit-def: $vgpr8
; %bb.608:                              ;   in Loop: Header=BB424_10 Depth=1
	s_and_not1_saveexec_b32 s3, s2
; %bb.609:                              ;   in Loop: Header=BB424_10 Depth=1
	v_and_b32_e32 v122, 0xffff, v8
	v_or_b32_e32 v123, 0x10000, v8
	s_delay_alu instid0(VALU_DEP_2) | instskip(NEXT) | instid1(VALU_DEP_1)
	v_cmp_eq_u32_e64 s2, 0, v122
	v_cndmask_b32_e64 v122, v123, v8, s2
; %bb.610:                              ;   in Loop: Header=BB424_10 Depth=1
	s_or_b32 exec_lo, exec_lo, s3
	v_lshrrev_b32_e32 v123, 16, v124
	s_mov_b32 s3, exec_lo
	s_delay_alu instid0(VALU_DEP_1) | instskip(NEXT) | instid1(VALU_DEP_1)
	v_dual_mov_b32 v8, 0 :: v_dual_and_b32 v125, 0xff, v123
	v_cmpx_ne_u16_e32 0, v125
	s_cbranch_execz .LBB424_618
; %bb.611:                              ;   in Loop: Header=BB424_10 Depth=1
	v_bfrev_b32_e32 v8, 1
	s_mov_b32 s19, exec_lo
	v_cmpx_ne_u16_e32 0x80, v125
	s_cbranch_execz .LBB424_617
; %bb.612:                              ;   in Loop: Header=BB424_10 Depth=1
	v_bfe_u32 v126, v124, 16, 7
	v_mov_b32_e32 v8, 0x7f800001
	s_mov_b32 s20, exec_lo
	s_delay_alu instid0(VALU_DEP_2)
	v_cmpx_ne_u32_e32 0x7f, v126
	s_cbranch_execz .LBB424_616
; %bb.613:                              ;   in Loop: Header=BB424_10 Depth=1
	v_and_b32_e32 v8, 7, v123
	v_lshrrev_b32_e32 v125, 3, v126
	s_mov_b32 s21, exec_lo
	v_cmpx_gt_u32_e32 8, v126
; %bb.614:                              ;   in Loop: Header=BB424_10 Depth=1
	s_delay_alu instid0(VALU_DEP_3) | instskip(NEXT) | instid1(VALU_DEP_1)
	v_clz_i32_u32_e32 v125, v8
	v_min_u32_e32 v125, 32, v125
	s_delay_alu instid0(VALU_DEP_1) | instskip(SKIP_1) | instid1(VALU_DEP_2)
	v_subrev_nc_u32_e32 v126, 28, v125
	v_sub_nc_u32_e32 v125, 29, v125
	v_lshlrev_b64 v[126:127], v126, v[8:9]
	s_delay_alu instid0(VALU_DEP_1)
	v_and_b32_e32 v8, 7, v126
; %bb.615:                              ;   in Loop: Header=BB424_10 Depth=1
	s_or_b32 exec_lo, exec_lo, s21
	v_lshlrev_b32_e32 v123, 24, v123
	s_delay_alu instid0(VALU_DEP_2) | instskip(SKIP_1) | instid1(VALU_DEP_3)
	v_lshlrev_b32_e32 v8, 20, v8
	v_lshl_add_u32 v125, v125, 23, 0x3c000000
	v_and_b32_e32 v123, 0x80000000, v123
	s_delay_alu instid0(VALU_DEP_1)
	v_or3_b32 v8, v8, v123, v125
.LBB424_616:                            ;   in Loop: Header=BB424_10 Depth=1
	s_or_b32 exec_lo, exec_lo, s20
.LBB424_617:                            ;   in Loop: Header=BB424_10 Depth=1
	s_delay_alu instid0(SALU_CYCLE_1)
	s_or_b32 exec_lo, exec_lo, s19
.LBB424_618:                            ;   in Loop: Header=BB424_10 Depth=1
	s_delay_alu instid0(SALU_CYCLE_1) | instskip(NEXT) | instid1(VALU_DEP_1)
	s_or_b32 exec_lo, exec_lo, s3
	v_mul_f32_e32 v8, v177, v8
	s_delay_alu instid0(VALU_DEP_1) | instskip(NEXT) | instid1(VALU_DEP_1)
	v_and_b32_e32 v123, 0x7f800000, v8
	v_cmp_ne_u32_e64 s2, 0x7f800000, v123
                                        ; implicit-def: $vgpr123
	s_delay_alu instid0(VALU_DEP_1) | instskip(NEXT) | instid1(SALU_CYCLE_1)
	s_and_saveexec_b32 s3, s2
	s_xor_b32 s2, exec_lo, s3
; %bb.619:                              ;   in Loop: Header=BB424_10 Depth=1
	v_bfe_u32 v123, v8, 16, 1
	s_delay_alu instid0(VALU_DEP_1)
	v_add3_u32 v123, v8, v123, 0x7fff
                                        ; implicit-def: $vgpr8
; %bb.620:                              ;   in Loop: Header=BB424_10 Depth=1
	s_and_not1_saveexec_b32 s3, s2
; %bb.621:                              ;   in Loop: Header=BB424_10 Depth=1
	v_and_b32_e32 v123, 0xffff, v8
	v_or_b32_e32 v125, 0x10000, v8
	s_delay_alu instid0(VALU_DEP_2) | instskip(NEXT) | instid1(VALU_DEP_1)
	v_cmp_eq_u32_e64 s2, 0, v123
	v_cndmask_b32_e64 v123, v125, v8, s2
; %bb.622:                              ;   in Loop: Header=BB424_10 Depth=1
	s_or_b32 exec_lo, exec_lo, s3
	v_mov_b32_e32 v8, 0
	s_mov_b32 s3, exec_lo
	v_cmpx_lt_u32_e32 0xffffff, v124
	s_cbranch_execz .LBB424_630
; %bb.623:                              ;   in Loop: Header=BB424_10 Depth=1
	v_lshrrev_b32_e32 v125, 24, v124
	v_bfrev_b32_e32 v8, 1
	s_mov_b32 s19, exec_lo
	s_delay_alu instid0(VALU_DEP_2)
	v_cmpx_ne_u32_e32 0x80, v125
	s_cbranch_execz .LBB424_629
; %bb.624:                              ;   in Loop: Header=BB424_10 Depth=1
	v_bfe_u32 v126, v124, 24, 7
	v_mov_b32_e32 v8, 0x7f800001
	s_mov_b32 s20, exec_lo
	s_delay_alu instid0(VALU_DEP_2)
	v_cmpx_ne_u32_e32 0x7f, v126
	s_cbranch_execz .LBB424_628
; %bb.625:                              ;   in Loop: Header=BB424_10 Depth=1
	v_and_b32_e32 v8, 7, v125
	v_lshrrev_b32_e32 v124, 3, v126
	s_mov_b32 s21, exec_lo
	v_cmpx_gt_u32_e32 8, v126
; %bb.626:                              ;   in Loop: Header=BB424_10 Depth=1
	s_delay_alu instid0(VALU_DEP_3) | instskip(NEXT) | instid1(VALU_DEP_1)
	v_clz_i32_u32_e32 v124, v8
	v_min_u32_e32 v124, 32, v124
	s_delay_alu instid0(VALU_DEP_1) | instskip(SKIP_1) | instid1(VALU_DEP_2)
	v_subrev_nc_u32_e32 v126, 28, v124
	v_sub_nc_u32_e32 v124, 29, v124
	v_lshlrev_b64 v[126:127], v126, v[8:9]
	s_delay_alu instid0(VALU_DEP_1)
	v_and_b32_e32 v8, 7, v126
; %bb.627:                              ;   in Loop: Header=BB424_10 Depth=1
	s_or_b32 exec_lo, exec_lo, s21
	v_lshlrev_b32_e32 v125, 24, v125
	s_delay_alu instid0(VALU_DEP_2) | instskip(SKIP_1) | instid1(VALU_DEP_3)
	v_lshlrev_b32_e32 v8, 20, v8
	v_lshl_add_u32 v124, v124, 23, 0x3c000000
	v_and_b32_e32 v125, 0x80000000, v125
	s_delay_alu instid0(VALU_DEP_1)
	v_or3_b32 v8, v8, v125, v124
.LBB424_628:                            ;   in Loop: Header=BB424_10 Depth=1
	s_or_b32 exec_lo, exec_lo, s20
.LBB424_629:                            ;   in Loop: Header=BB424_10 Depth=1
	s_delay_alu instid0(SALU_CYCLE_1)
	s_or_b32 exec_lo, exec_lo, s19
.LBB424_630:                            ;   in Loop: Header=BB424_10 Depth=1
	s_delay_alu instid0(SALU_CYCLE_1) | instskip(NEXT) | instid1(VALU_DEP_1)
	s_or_b32 exec_lo, exec_lo, s3
	v_mul_f32_e32 v8, v177, v8
	s_delay_alu instid0(VALU_DEP_1) | instskip(NEXT) | instid1(VALU_DEP_1)
	v_and_b32_e32 v124, 0x7f800000, v8
	v_cmp_ne_u32_e64 s2, 0x7f800000, v124
                                        ; implicit-def: $vgpr124
	s_delay_alu instid0(VALU_DEP_1) | instskip(NEXT) | instid1(SALU_CYCLE_1)
	s_and_saveexec_b32 s3, s2
	s_xor_b32 s2, exec_lo, s3
; %bb.631:                              ;   in Loop: Header=BB424_10 Depth=1
	v_bfe_u32 v124, v8, 16, 1
	s_delay_alu instid0(VALU_DEP_1)
	v_add3_u32 v124, v8, v124, 0x7fff
                                        ; implicit-def: $vgpr8
; %bb.632:                              ;   in Loop: Header=BB424_10 Depth=1
	s_and_not1_saveexec_b32 s3, s2
; %bb.633:                              ;   in Loop: Header=BB424_10 Depth=1
	v_and_b32_e32 v124, 0xffff, v8
	v_or_b32_e32 v125, 0x10000, v8
	s_delay_alu instid0(VALU_DEP_2) | instskip(NEXT) | instid1(VALU_DEP_1)
	v_cmp_eq_u32_e64 s2, 0, v124
	v_cndmask_b32_e64 v124, v125, v8, s2
; %bb.634:                              ;   in Loop: Header=BB424_10 Depth=1
	s_or_b32 exec_lo, exec_lo, s3
	flat_load_b32 v29, v[28:29] offset:1544
	v_mov_b32_e32 v8, 0
	s_mov_b32 s3, exec_lo
	s_waitcnt vmcnt(0) lgkmcnt(0)
	v_and_b32_e32 v28, 0xff, v29
	s_delay_alu instid0(VALU_DEP_1)
	v_cmpx_ne_u16_e32 0, v28
	s_cbranch_execz .LBB424_642
; %bb.635:                              ;   in Loop: Header=BB424_10 Depth=1
	v_bfrev_b32_e32 v8, 1
	s_mov_b32 s19, exec_lo
	v_cmpx_ne_u16_e32 0x80, v28
	s_cbranch_execz .LBB424_641
; %bb.636:                              ;   in Loop: Header=BB424_10 Depth=1
	v_and_b32_e32 v125, 0x7f, v29
	v_mov_b32_e32 v8, 0x7f800001
	s_mov_b32 s20, exec_lo
	s_delay_alu instid0(VALU_DEP_2)
	v_cmpx_ne_u32_e32 0x7f, v125
	s_cbranch_execz .LBB424_640
; %bb.637:                              ;   in Loop: Header=BB424_10 Depth=1
	v_and_b32_e32 v8, 7, v29
	v_lshrrev_b32_e32 v28, 3, v125
	s_mov_b32 s21, exec_lo
	v_cmpx_gt_u32_e32 8, v125
; %bb.638:                              ;   in Loop: Header=BB424_10 Depth=1
	s_delay_alu instid0(VALU_DEP_3) | instskip(NEXT) | instid1(VALU_DEP_1)
	v_clz_i32_u32_e32 v28, v8
	v_min_u32_e32 v28, 32, v28
	s_delay_alu instid0(VALU_DEP_1) | instskip(SKIP_1) | instid1(VALU_DEP_2)
	v_subrev_nc_u32_e32 v125, 28, v28
	v_sub_nc_u32_e32 v28, 29, v28
	v_lshlrev_b64 v[125:126], v125, v[8:9]
	s_delay_alu instid0(VALU_DEP_1)
	v_and_b32_e32 v8, 7, v125
; %bb.639:                              ;   in Loop: Header=BB424_10 Depth=1
	s_or_b32 exec_lo, exec_lo, s21
	v_lshlrev_b32_e32 v125, 24, v29
	s_delay_alu instid0(VALU_DEP_2) | instskip(SKIP_1) | instid1(VALU_DEP_3)
	v_lshlrev_b32_e32 v8, 20, v8
	v_lshl_add_u32 v28, v28, 23, 0x3c000000
	v_and_b32_e32 v125, 0x80000000, v125
	s_delay_alu instid0(VALU_DEP_1)
	v_or3_b32 v8, v8, v125, v28
.LBB424_640:                            ;   in Loop: Header=BB424_10 Depth=1
	s_or_b32 exec_lo, exec_lo, s20
.LBB424_641:                            ;   in Loop: Header=BB424_10 Depth=1
	s_delay_alu instid0(SALU_CYCLE_1)
	s_or_b32 exec_lo, exec_lo, s19
.LBB424_642:                            ;   in Loop: Header=BB424_10 Depth=1
	s_delay_alu instid0(SALU_CYCLE_1) | instskip(NEXT) | instid1(VALU_DEP_1)
	s_or_b32 exec_lo, exec_lo, s3
	v_mul_f32_e32 v8, v177, v8
	s_delay_alu instid0(VALU_DEP_1) | instskip(NEXT) | instid1(VALU_DEP_1)
	v_and_b32_e32 v28, 0x7f800000, v8
	v_cmp_ne_u32_e64 s2, 0x7f800000, v28
                                        ; implicit-def: $vgpr28
	s_delay_alu instid0(VALU_DEP_1) | instskip(NEXT) | instid1(SALU_CYCLE_1)
	s_and_saveexec_b32 s3, s2
	s_xor_b32 s2, exec_lo, s3
; %bb.643:                              ;   in Loop: Header=BB424_10 Depth=1
	v_bfe_u32 v28, v8, 16, 1
	s_delay_alu instid0(VALU_DEP_1)
	v_add3_u32 v28, v8, v28, 0x7fff
                                        ; implicit-def: $vgpr8
; %bb.644:                              ;   in Loop: Header=BB424_10 Depth=1
	s_and_not1_saveexec_b32 s3, s2
; %bb.645:                              ;   in Loop: Header=BB424_10 Depth=1
	v_and_b32_e32 v28, 0xffff, v8
	v_or_b32_e32 v125, 0x10000, v8
	s_delay_alu instid0(VALU_DEP_2) | instskip(NEXT) | instid1(VALU_DEP_1)
	v_cmp_eq_u32_e64 s2, 0, v28
	v_cndmask_b32_e64 v28, v125, v8, s2
; %bb.646:                              ;   in Loop: Header=BB424_10 Depth=1
	s_or_b32 exec_lo, exec_lo, s3
	v_lshrrev_b16 v125, 8, v29
	v_mov_b32_e32 v8, 0
	s_mov_b32 s3, exec_lo
	s_delay_alu instid0(VALU_DEP_2)
	v_cmpx_ne_u16_e32 0, v125
	s_cbranch_execz .LBB424_654
; %bb.647:                              ;   in Loop: Header=BB424_10 Depth=1
	v_bfrev_b32_e32 v8, 1
	s_mov_b32 s19, exec_lo
	v_cmpx_ne_u16_e32 0x80, v125
	s_cbranch_execz .LBB424_653
; %bb.648:                              ;   in Loop: Header=BB424_10 Depth=1
	v_and_b32_e32 v125, 0xffff, v125
	v_mov_b32_e32 v8, 0x7f800001
	s_mov_b32 s20, exec_lo
	s_delay_alu instid0(VALU_DEP_2) | instskip(NEXT) | instid1(VALU_DEP_1)
	v_and_b32_e32 v126, 0x7f, v125
	v_cmpx_ne_u32_e32 0x7f, v126
	s_cbranch_execz .LBB424_652
; %bb.649:                              ;   in Loop: Header=BB424_10 Depth=1
	v_and_b32_e32 v8, 7, v125
	v_lshrrev_b32_e32 v125, 3, v126
	s_mov_b32 s21, exec_lo
	v_cmpx_gt_u32_e32 8, v126
; %bb.650:                              ;   in Loop: Header=BB424_10 Depth=1
	s_delay_alu instid0(VALU_DEP_3) | instskip(NEXT) | instid1(VALU_DEP_1)
	v_clz_i32_u32_e32 v125, v8
	v_min_u32_e32 v125, 32, v125
	s_delay_alu instid0(VALU_DEP_1) | instskip(SKIP_1) | instid1(VALU_DEP_2)
	v_subrev_nc_u32_e32 v126, 28, v125
	v_sub_nc_u32_e32 v125, 29, v125
	v_lshlrev_b64 v[126:127], v126, v[8:9]
	s_delay_alu instid0(VALU_DEP_1)
	v_and_b32_e32 v8, 7, v126
; %bb.651:                              ;   in Loop: Header=BB424_10 Depth=1
	s_or_b32 exec_lo, exec_lo, s21
	v_lshlrev_b32_e32 v126, 16, v29
	s_delay_alu instid0(VALU_DEP_2) | instskip(SKIP_1) | instid1(VALU_DEP_3)
	v_lshlrev_b32_e32 v8, 20, v8
	v_lshl_add_u32 v125, v125, 23, 0x3c000000
	v_and_b32_e32 v126, 0x80000000, v126
	s_delay_alu instid0(VALU_DEP_1)
	v_or3_b32 v8, v8, v126, v125
.LBB424_652:                            ;   in Loop: Header=BB424_10 Depth=1
	s_or_b32 exec_lo, exec_lo, s20
.LBB424_653:                            ;   in Loop: Header=BB424_10 Depth=1
	s_delay_alu instid0(SALU_CYCLE_1)
	s_or_b32 exec_lo, exec_lo, s19
.LBB424_654:                            ;   in Loop: Header=BB424_10 Depth=1
	s_delay_alu instid0(SALU_CYCLE_1) | instskip(NEXT) | instid1(VALU_DEP_1)
	s_or_b32 exec_lo, exec_lo, s3
	v_mul_f32_e32 v8, v177, v8
                                        ; implicit-def: $vgpr126
	s_delay_alu instid0(VALU_DEP_1) | instskip(NEXT) | instid1(VALU_DEP_1)
	v_and_b32_e32 v125, 0x7f800000, v8
	v_cmp_ne_u32_e64 s2, 0x7f800000, v125
	s_delay_alu instid0(VALU_DEP_1) | instskip(NEXT) | instid1(SALU_CYCLE_1)
	s_and_saveexec_b32 s3, s2
	s_xor_b32 s2, exec_lo, s3
; %bb.655:                              ;   in Loop: Header=BB424_10 Depth=1
	v_bfe_u32 v125, v8, 16, 1
	s_delay_alu instid0(VALU_DEP_1)
	v_add3_u32 v126, v8, v125, 0x7fff
                                        ; implicit-def: $vgpr8
; %bb.656:                              ;   in Loop: Header=BB424_10 Depth=1
	s_and_not1_saveexec_b32 s3, s2
; %bb.657:                              ;   in Loop: Header=BB424_10 Depth=1
	v_and_b32_e32 v125, 0xffff, v8
	v_or_b32_e32 v126, 0x10000, v8
	s_delay_alu instid0(VALU_DEP_2) | instskip(NEXT) | instid1(VALU_DEP_1)
	v_cmp_eq_u32_e64 s2, 0, v125
	v_cndmask_b32_e64 v126, v126, v8, s2
; %bb.658:                              ;   in Loop: Header=BB424_10 Depth=1
	s_or_b32 exec_lo, exec_lo, s3
	v_lshrrev_b32_e32 v125, 16, v29
	s_mov_b32 s3, exec_lo
	s_delay_alu instid0(VALU_DEP_1) | instskip(NEXT) | instid1(VALU_DEP_1)
	v_dual_mov_b32 v8, 0 :: v_dual_and_b32 v127, 0xff, v125
	v_cmpx_ne_u16_e32 0, v127
	s_cbranch_execz .LBB424_666
; %bb.659:                              ;   in Loop: Header=BB424_10 Depth=1
	v_bfrev_b32_e32 v8, 1
	s_mov_b32 s19, exec_lo
	v_cmpx_ne_u16_e32 0x80, v127
	s_cbranch_execz .LBB424_665
; %bb.660:                              ;   in Loop: Header=BB424_10 Depth=1
	v_bfe_u32 v136, v29, 16, 7
	v_mov_b32_e32 v8, 0x7f800001
	s_mov_b32 s20, exec_lo
	s_delay_alu instid0(VALU_DEP_2)
	v_cmpx_ne_u32_e32 0x7f, v136
	s_cbranch_execz .LBB424_664
; %bb.661:                              ;   in Loop: Header=BB424_10 Depth=1
	v_and_b32_e32 v8, 7, v125
	v_lshrrev_b32_e32 v127, 3, v136
	s_mov_b32 s21, exec_lo
	v_cmpx_gt_u32_e32 8, v136
; %bb.662:                              ;   in Loop: Header=BB424_10 Depth=1
	s_delay_alu instid0(VALU_DEP_3) | instskip(NEXT) | instid1(VALU_DEP_1)
	v_clz_i32_u32_e32 v127, v8
	v_min_u32_e32 v127, 32, v127
	s_delay_alu instid0(VALU_DEP_1) | instskip(SKIP_1) | instid1(VALU_DEP_2)
	v_subrev_nc_u32_e32 v136, 28, v127
	v_sub_nc_u32_e32 v127, 29, v127
	v_lshlrev_b64 v[136:137], v136, v[8:9]
	s_delay_alu instid0(VALU_DEP_1)
	v_and_b32_e32 v8, 7, v136
; %bb.663:                              ;   in Loop: Header=BB424_10 Depth=1
	s_or_b32 exec_lo, exec_lo, s21
	v_lshlrev_b32_e32 v125, 24, v125
	s_delay_alu instid0(VALU_DEP_2) | instskip(SKIP_1) | instid1(VALU_DEP_3)
	v_lshlrev_b32_e32 v8, 20, v8
	v_lshl_add_u32 v127, v127, 23, 0x3c000000
	v_and_b32_e32 v125, 0x80000000, v125
	s_delay_alu instid0(VALU_DEP_1)
	v_or3_b32 v8, v8, v125, v127
.LBB424_664:                            ;   in Loop: Header=BB424_10 Depth=1
	s_or_b32 exec_lo, exec_lo, s20
.LBB424_665:                            ;   in Loop: Header=BB424_10 Depth=1
	s_delay_alu instid0(SALU_CYCLE_1)
	s_or_b32 exec_lo, exec_lo, s19
.LBB424_666:                            ;   in Loop: Header=BB424_10 Depth=1
	s_delay_alu instid0(SALU_CYCLE_1) | instskip(NEXT) | instid1(VALU_DEP_1)
	s_or_b32 exec_lo, exec_lo, s3
	v_mul_f32_e32 v8, v177, v8
	s_delay_alu instid0(VALU_DEP_1) | instskip(NEXT) | instid1(VALU_DEP_1)
	v_and_b32_e32 v125, 0x7f800000, v8
	v_cmp_ne_u32_e64 s2, 0x7f800000, v125
                                        ; implicit-def: $vgpr125
	s_delay_alu instid0(VALU_DEP_1) | instskip(NEXT) | instid1(SALU_CYCLE_1)
	s_and_saveexec_b32 s3, s2
	s_xor_b32 s2, exec_lo, s3
; %bb.667:                              ;   in Loop: Header=BB424_10 Depth=1
	v_bfe_u32 v125, v8, 16, 1
	s_delay_alu instid0(VALU_DEP_1)
	v_add3_u32 v125, v8, v125, 0x7fff
                                        ; implicit-def: $vgpr8
; %bb.668:                              ;   in Loop: Header=BB424_10 Depth=1
	s_and_not1_saveexec_b32 s3, s2
; %bb.669:                              ;   in Loop: Header=BB424_10 Depth=1
	v_and_b32_e32 v125, 0xffff, v8
	v_or_b32_e32 v127, 0x10000, v8
	s_delay_alu instid0(VALU_DEP_2) | instskip(NEXT) | instid1(VALU_DEP_1)
	v_cmp_eq_u32_e64 s2, 0, v125
	v_cndmask_b32_e64 v125, v127, v8, s2
; %bb.670:                              ;   in Loop: Header=BB424_10 Depth=1
	s_or_b32 exec_lo, exec_lo, s3
	v_mov_b32_e32 v8, 0
	s_mov_b32 s3, exec_lo
	v_cmpx_lt_u32_e32 0xffffff, v29
	s_cbranch_execz .LBB424_678
; %bb.671:                              ;   in Loop: Header=BB424_10 Depth=1
	v_lshrrev_b32_e32 v127, 24, v29
	v_bfrev_b32_e32 v8, 1
	s_mov_b32 s19, exec_lo
	s_delay_alu instid0(VALU_DEP_2)
	v_cmpx_ne_u32_e32 0x80, v127
	s_cbranch_execz .LBB424_677
; %bb.672:                              ;   in Loop: Header=BB424_10 Depth=1
	v_bfe_u32 v136, v29, 24, 7
	v_mov_b32_e32 v8, 0x7f800001
	s_mov_b32 s20, exec_lo
	s_delay_alu instid0(VALU_DEP_2)
	v_cmpx_ne_u32_e32 0x7f, v136
	s_cbranch_execz .LBB424_676
; %bb.673:                              ;   in Loop: Header=BB424_10 Depth=1
	v_and_b32_e32 v8, 7, v127
	v_lshrrev_b32_e32 v29, 3, v136
	s_mov_b32 s21, exec_lo
	v_cmpx_gt_u32_e32 8, v136
; %bb.674:                              ;   in Loop: Header=BB424_10 Depth=1
	s_delay_alu instid0(VALU_DEP_3) | instskip(NEXT) | instid1(VALU_DEP_1)
	v_clz_i32_u32_e32 v29, v8
	v_min_u32_e32 v29, 32, v29
	s_delay_alu instid0(VALU_DEP_1) | instskip(SKIP_1) | instid1(VALU_DEP_2)
	v_subrev_nc_u32_e32 v136, 28, v29
	v_sub_nc_u32_e32 v29, 29, v29
	v_lshlrev_b64 v[136:137], v136, v[8:9]
	s_delay_alu instid0(VALU_DEP_1)
	v_and_b32_e32 v8, 7, v136
; %bb.675:                              ;   in Loop: Header=BB424_10 Depth=1
	s_or_b32 exec_lo, exec_lo, s21
	v_lshlrev_b32_e32 v127, 24, v127
	s_delay_alu instid0(VALU_DEP_2) | instskip(SKIP_1) | instid1(VALU_DEP_3)
	v_lshlrev_b32_e32 v8, 20, v8
	v_lshl_add_u32 v29, v29, 23, 0x3c000000
	v_and_b32_e32 v127, 0x80000000, v127
	s_delay_alu instid0(VALU_DEP_1)
	v_or3_b32 v8, v8, v127, v29
.LBB424_676:                            ;   in Loop: Header=BB424_10 Depth=1
	s_or_b32 exec_lo, exec_lo, s20
.LBB424_677:                            ;   in Loop: Header=BB424_10 Depth=1
	s_delay_alu instid0(SALU_CYCLE_1)
	s_or_b32 exec_lo, exec_lo, s19
.LBB424_678:                            ;   in Loop: Header=BB424_10 Depth=1
	s_delay_alu instid0(SALU_CYCLE_1) | instskip(NEXT) | instid1(VALU_DEP_1)
	s_or_b32 exec_lo, exec_lo, s3
	v_mul_f32_e32 v29, v177, v8
	s_delay_alu instid0(VALU_DEP_1) | instskip(NEXT) | instid1(VALU_DEP_1)
	v_and_b32_e32 v8, 0x7f800000, v29
	v_cmp_ne_u32_e64 s2, 0x7f800000, v8
                                        ; implicit-def: $vgpr8
	s_delay_alu instid0(VALU_DEP_1) | instskip(NEXT) | instid1(SALU_CYCLE_1)
	s_and_saveexec_b32 s3, s2
	s_xor_b32 s2, exec_lo, s3
; %bb.679:                              ;   in Loop: Header=BB424_10 Depth=1
	v_bfe_u32 v8, v29, 16, 1
	s_delay_alu instid0(VALU_DEP_1)
	v_add3_u32 v8, v29, v8, 0x7fff
                                        ; implicit-def: $vgpr29
; %bb.680:                              ;   in Loop: Header=BB424_10 Depth=1
	s_and_not1_saveexec_b32 s3, s2
; %bb.681:                              ;   in Loop: Header=BB424_10 Depth=1
	v_and_b32_e32 v8, 0xffff, v29
	v_or_b32_e32 v177, 0x10000, v29
	s_delay_alu instid0(VALU_DEP_2) | instskip(NEXT) | instid1(VALU_DEP_1)
	v_cmp_eq_u32_e64 s2, 0, v8
	v_cndmask_b32_e64 v8, v177, v29, s2
; %bb.682:                              ;   in Loop: Header=BB424_10 Depth=1
	s_or_b32 exec_lo, exec_lo, s3
	v_and_b32_e32 v181, 0xffff0000, v181
	v_and_b32_e32 v28, 0xffff0000, v28
	;; [unrolled: 1-line block ×5, first 2 shown]
	v_dual_mul_f32 v181, v54, v181 :: v_dual_and_b32 v110, 0xffff0000, v110
	v_and_b32_e32 v178, 0xffff0000, v178
	v_mul_f32_e32 v182, v55, v182
	v_and_b32_e32 v40, 0xffff0000, v40
	s_delay_alu instid0(VALU_DEP_4) | instskip(SKIP_3) | instid1(VALU_DEP_3)
	v_fmac_f32_e32 v181, v50, v176
	v_and_b32_e32 v183, 0xffff0000, v183
	v_and_b32_e32 v29, 0xffff0000, v126
	v_dual_fmac_f32 v182, v51, v178 :: v_dual_and_b32 v123, 0xffff0000, v124
	v_dual_mul_f32 v183, v64, v183 :: v_dual_and_b32 v122, 0xffff0000, v122
	v_and_b32_e32 v179, 0xffff0000, v179
	v_and_b32_e32 v176, 0xffff0000, v180
	v_mul_f32_e32 v178, v65, v40
	v_and_b32_e32 v120, 0xffff0000, v120
	v_and_b32_e32 v109, 0xffff0000, v109
	v_fmac_f32_e32 v183, v52, v179
	v_and_b32_e32 v179, 0xffff0000, v44
	v_dual_fmac_f32 v178, v53, v176 :: v_dual_and_b32 v93, 0xffff0000, v93
	v_and_b32_e32 v176, 0xffff0000, v56
	v_and_b32_e32 v43, 0xffff0000, v43
	;; [unrolled: 1-line block ×3, first 2 shown]
	s_delay_alu instid0(VALU_DEP_4) | instskip(SKIP_3) | instid1(VALU_DEP_4)
	v_fmac_f32_e32 v178, v69, v179
	v_and_b32_e32 v79, 0xffff0000, v79
	v_and_b32_e32 v179, 0xffff0000, v60
	v_fmac_f32_e32 v183, v68, v43
	v_dual_fmac_f32 v178, v81, v176 :: v_dual_and_b32 v61, 0xffff0000, v61
	v_and_b32_e32 v73, 0xffff0000, v73
	v_and_b32_e32 v176, 0xffff0000, v72
	;; [unrolled: 1-line block ×4, first 2 shown]
	v_fmac_f32_e32 v178, v85, v179
	v_and_b32_e32 v63, 0xffff0000, v63
	v_and_b32_e32 v179, 0xffff0000, v76
	s_delay_alu instid0(VALU_DEP_4) | instskip(NEXT) | instid1(VALU_DEP_4)
	v_dual_fmac_f32 v182, v67, v42 :: v_dual_and_b32 v121, 0xffff0000, v121
	v_dual_fmac_f32 v178, v97, v176 :: v_dual_and_b32 v57, 0xffff0000, v57
	v_and_b32_e32 v176, 0xffff0000, v88
	v_and_b32_e32 v8, 0xffff0000, v8
	s_delay_alu instid0(VALU_DEP_3) | instskip(SKIP_1) | instid1(VALU_DEP_2)
	v_fmac_f32_e32 v178, v101, v179
	v_and_b32_e32 v47, 0xffff0000, v47
	v_dual_fmac_f32 v178, v113, v176 :: v_dual_and_b32 v179, 0xffff0000, v91
	v_and_b32_e32 v41, 0xffff0000, v41
	s_delay_alu instid0(VALU_DEP_3) | instskip(NEXT) | instid1(VALU_DEP_3)
	v_dual_fmac_f32 v183, v80, v47 :: v_dual_and_b32 v94, 0xffff0000, v94
	v_dual_fmac_f32 v178, v117, v179 :: v_dual_and_b32 v45, 0xffff0000, v45
	s_delay_alu instid0(VALU_DEP_3) | instskip(SKIP_1) | instid1(VALU_DEP_4)
	v_dual_fmac_f32 v181, v66, v41 :: v_dual_and_b32 v108, 0xffff0000, v108
	v_and_b32_e32 v104, 0xffff0000, v104
	v_dual_fmac_f32 v183, v84, v59 :: v_dual_and_b32 v90, 0xffff0000, v90
	s_delay_alu instid0(VALU_DEP_3) | instskip(SKIP_2) | instid1(VALU_DEP_4)
	v_dual_fmac_f32 v181, v70, v45 :: v_dual_and_b32 v74, 0xffff0000, v74
	v_and_b32_e32 v92, 0xffff0000, v92
	v_and_b32_e32 v179, 0xffff0000, v107
	v_dual_fmac_f32 v183, v96, v63 :: v_dual_and_b32 v58, 0xffff0000, v58
	s_delay_alu instid0(VALU_DEP_4) | instskip(NEXT) | instid1(VALU_DEP_1)
	v_dual_fmac_f32 v181, v82, v57 :: v_dual_and_b32 v78, 0xffff0000, v78
	v_dual_fmac_f32 v181, v86, v61 :: v_dual_and_b32 v62, 0xffff0000, v62
	s_delay_alu instid0(VALU_DEP_1) | instskip(NEXT) | instid1(VALU_DEP_1)
	v_dual_fmac_f32 v181, v98, v73 :: v_dual_and_b32 v46, 0xffff0000, v46
	v_dual_fmac_f32 v182, v71, v46 :: v_dual_and_b32 v105, 0xffff0000, v105
	s_delay_alu instid0(VALU_DEP_1) | instskip(NEXT) | instid1(VALU_DEP_1)
	v_dual_fmac_f32 v182, v83, v58 :: v_dual_and_b32 v89, 0xffff0000, v89
	v_dual_fmac_f32 v182, v87, v62 :: v_dual_and_b32 v77, 0xffff0000, v77
	v_and_b32_e32 v75, 0xffff0000, v75
	s_delay_alu instid0(VALU_DEP_2) | instskip(NEXT) | instid1(VALU_DEP_2)
	v_dual_fmac_f32 v181, v102, v77 :: v_dual_fmac_f32 v182, v99, v74
	v_fmac_f32_e32 v183, v100, v75
	s_delay_alu instid0(VALU_DEP_2) | instskip(NEXT) | instid1(VALU_DEP_2)
	v_dual_fmac_f32 v181, v114, v89 :: v_dual_fmac_f32 v182, v103, v78
	v_fmac_f32_e32 v183, v112, v79
	;; [unrolled: 3-line block ×3, first 2 shown]
	s_delay_alu instid0(VALU_DEP_2) | instskip(NEXT) | instid1(VALU_DEP_2)
	v_dual_fmac_f32 v181, v130, v105 :: v_dual_and_b32 v176, 0xffff0000, v95
	v_dual_fmac_f32 v182, v119, v94 :: v_dual_fmac_f32 v183, v128, v104
	s_delay_alu instid0(VALU_DEP_2) | instskip(SKIP_1) | instid1(VALU_DEP_3)
	v_dual_fmac_f32 v181, v134, v109 :: v_dual_fmac_f32 v178, v129, v176
	v_and_b32_e32 v176, 0xffff0000, v111
	v_dual_fmac_f32 v182, v131, v106 :: v_dual_fmac_f32 v183, v132, v108
	s_delay_alu instid0(VALU_DEP_3) | instskip(NEXT) | instid1(VALU_DEP_2)
	v_dual_fmac_f32 v181, v146, v121 :: v_dual_fmac_f32 v178, v133, v179
	v_dual_fmac_f32 v182, v135, v110 :: v_dual_fmac_f32 v183, v144, v120
	s_delay_alu instid0(VALU_DEP_2) | instskip(NEXT) | instid1(VALU_DEP_3)
	v_fmac_f32_e32 v181, v160, v28
	v_fmac_f32_e32 v178, v145, v176
	s_delay_alu instid0(VALU_DEP_3) | instskip(NEXT) | instid1(VALU_DEP_2)
	v_dual_fmac_f32 v182, v147, v122 :: v_dual_fmac_f32 v183, v148, v177
	v_fmac_f32_e32 v178, v151, v123
	s_delay_alu instid0(VALU_DEP_2) | instskip(NEXT) | instid1(VALU_DEP_2)
	v_fmac_f32_e32 v182, v161, v29
	v_fmac_f32_e32 v178, v163, v8
	s_delay_alu instid0(VALU_DEP_2) | instskip(NEXT) | instid1(VALU_DEP_1)
	v_dual_add_f32 v28, v181, v182 :: v_dual_and_b32 v179, 0xffff0000, v125
	v_fmac_f32_e32 v183, v162, v179
	s_delay_alu instid0(VALU_DEP_1) | instskip(NEXT) | instid1(VALU_DEP_1)
	v_add_f32_e32 v8, v28, v183
	v_add_f32_e32 v8, v178, v8
	ds_bpermute_b32 v28, v149, v8
	s_and_saveexec_b32 s3, vcc_lo
	s_cbranch_execz .LBB424_9
; %bb.683:                              ;   in Loop: Header=BB424_10 Depth=1
	v_add_nc_u32_e32 v29, v164, v165
	s_load_b32 s19, s[8:9], 0x0
	s_waitcnt lgkmcnt(0)
	v_add_f32_e32 v8, v8, v28
	v_cmp_lt_i32_e64 s2, v165, v33
	v_cvt_f32_i32_e32 v29, v29
	s_delay_alu instid0(VALU_DEP_1) | instskip(NEXT) | instid1(VALU_DEP_1)
	v_mul_f32_e32 v29, v48, v29
	v_cndmask_b32_e64 v28, 0, v29, s1
	s_delay_alu instid0(VALU_DEP_1) | instskip(NEXT) | instid1(VALU_DEP_1)
	v_dual_max_f32 v29, v150, v150 :: v_dual_fmac_f32 v28, v8, v13
	v_dual_max_f32 v8, v29, v28 :: v_dual_add_nc_u32 v29, s19, v166
	v_cndmask_b32_e64 v28, 0, v28, s2
	s_delay_alu instid0(VALU_DEP_2)
	v_cndmask_b32_e64 v150, v150, v8, s2
	ds_store_b32 v29, v28
	s_branch .LBB424_9
.LBB424_684:
	s_or_b32 exec_lo, exec_lo, s11
.LBB424_685:
	s_delay_alu instid0(SALU_CYCLE_1)
	s_or_b32 exec_lo, exec_lo, s15
	v_xor_b32_e32 v8, 16, v39
	v_xor_b32_e32 v9, 8, v39
	s_waitcnt lgkmcnt(0)
	s_lshr_b32 s8, s18, 16
	v_dual_max_f32 v13, v150, v150 :: v_dual_and_b32 v18, 31, v31
	v_cmp_lt_i32_e32 vcc_lo, v8, v49
	v_lshlrev_b32_e32 v24, 2, v34
	v_cndmask_b32_e32 v8, v39, v8, vcc_lo
	v_cmp_lt_i32_e32 vcc_lo, v9, v49
	s_delay_alu instid0(VALU_DEP_2) | instskip(SKIP_3) | instid1(VALU_DEP_1)
	v_dual_cndmask_b32 v9, v39, v9 :: v_dual_lshlrev_b32 v20, 2, v8
	ds_bpermute_b32 v8, v20, v150
	s_waitcnt lgkmcnt(0)
	v_dual_max_f32 v8, v8, v8 :: v_dual_lshlrev_b32 v21, 2, v9
	v_max_f32_e32 v8, v13, v8
	v_xor_b32_e32 v13, 4, v39
	s_delay_alu instid0(VALU_DEP_1) | instskip(SKIP_4) | instid1(VALU_DEP_1)
	v_cmp_lt_i32_e32 vcc_lo, v13, v49
	v_cndmask_b32_e32 v13, v39, v13, vcc_lo
	ds_bpermute_b32 v9, v21, v8
	v_lshlrev_b32_e32 v23, 2, v13
	v_xor_b32_e32 v13, 2, v39
	v_cmp_lt_i32_e32 vcc_lo, v13, v49
	v_cndmask_b32_e32 v13, v39, v13, vcc_lo
	v_cmp_eq_u32_e32 vcc_lo, 0, v18
	s_waitcnt lgkmcnt(0)
	v_max_f32_e32 v9, v9, v9
	s_delay_alu instid0(VALU_DEP_3) | instskip(NEXT) | instid1(VALU_DEP_2)
	v_lshlrev_b32_e32 v13, 2, v13
	v_max_f32_e32 v8, v8, v9
	ds_bpermute_b32 v9, v23, v8
	s_waitcnt lgkmcnt(0)
	v_max_f32_e32 v9, v9, v9
	s_delay_alu instid0(VALU_DEP_1)
	v_max_f32_e32 v8, v8, v9
	ds_bpermute_b32 v9, v13, v8
	s_and_saveexec_b32 s1, vcc_lo
	s_cbranch_execz .LBB424_687
; %bb.686:
	s_waitcnt lgkmcnt(0)
	v_dual_max_f32 v9, v9, v9 :: v_dual_max_f32 v8, v8, v8
	s_delay_alu instid0(VALU_DEP_1)
	v_max_f32_e32 v8, v8, v9
	ds_store_b32 v24, v8 offset:224
.LBB424_687:
	s_or_b32 exec_lo, exec_lo, s1
	v_cmp_gt_u32_e64 s1, 4, v18
	v_dual_mov_b32 v8, 0xff7fffff :: v_dual_lshlrev_b32 v25, 2, v18
	s_waitcnt lgkmcnt(0)
	s_barrier
	buffer_gl0_inv
	s_and_saveexec_b32 s2, s1
	s_cbranch_execz .LBB424_689
; %bb.688:
	ds_load_b32 v8, v25 offset:224
.LBB424_689:
	s_or_b32 exec_lo, exec_lo, s2
	s_waitcnt lgkmcnt(0)
	ds_bpermute_b32 v9, v13, v8
	v_xor_b32_e32 v19, 1, v39
	v_max_f32_e32 v8, v8, v8
	v_subrev_nc_u32_e32 v29, s13, v35
	v_lshlrev_b32_e32 v28, 2, v39
	s_delay_alu instid0(VALU_DEP_4) | instskip(NEXT) | instid1(VALU_DEP_2)
	v_cmp_lt_i32_e64 s2, v19, v49
	v_and_b32_e32 v28, 0xffffff80, v28
	s_delay_alu instid0(VALU_DEP_2) | instskip(SKIP_2) | instid1(VALU_DEP_1)
	v_cndmask_b32_e64 v19, v39, v19, s2
	s_waitcnt lgkmcnt(0)
	v_max_f32_e32 v9, v9, v9
	v_dual_max_f32 v8, v8, v9 :: v_dual_lshlrev_b32 v19, 2, v19
	ds_bpermute_b32 v9, v19, v8
	s_waitcnt lgkmcnt(0)
	v_max_f32_e32 v9, v9, v9
	s_delay_alu instid0(VALU_DEP_1) | instskip(SKIP_4) | instid1(VALU_DEP_1)
	v_max_f32_e32 v8, v8, v9
	v_lshl_add_u32 v9, v29, 4, s17
	v_mov_b32_e32 v29, 0
	ds_bpermute_b32 v8, v28, v8
	v_min_i32_e32 v9, v9, v33
	v_subrev_nc_u32_e32 v9, s17, v9
	s_delay_alu instid0(VALU_DEP_1) | instskip(NEXT) | instid1(VALU_DEP_1)
	v_cmp_lt_i32_e64 s2, v31, v9
	s_and_saveexec_b32 s9, s2
	s_cbranch_execz .LBB424_693
; %bb.690:
	s_getpc_b64 s[18:19]
	s_add_u32 s18, s18, llvm.amdgcn.dynlds.offset.table@rel32@lo+4
	s_addc_u32 s19, s19, llvm.amdgcn.dynlds.offset.table@rel32@hi+12
	s_ashr_i32 s11, s10, 31
	v_dual_mov_b32 v29, 0 :: v_dual_mov_b32 v48, v31
	s_lshl_b64 s[20:21], s[10:11], 2
	s_mov_b32 s11, 0
	s_add_u32 s18, s20, s18
	s_addc_u32 s19, s21, s19
	s_load_b32 s3, s[18:19], 0x0
	s_waitcnt lgkmcnt(0)
	v_lshl_add_u32 v39, v31, 2, s3
	.p2align	6
.LBB424_691:                            ; =>This Inner Loop Header: Depth=1
	ds_load_b32 v49, v39
	s_waitcnt lgkmcnt(0)
	v_sub_f32_e32 v49, v49, v8
	s_delay_alu instid0(VALU_DEP_1) | instskip(NEXT) | instid1(VALU_DEP_1)
	v_mul_f32_e32 v49, 0x3fb8aa3b, v49
	v_exp_f32_e32 v49, v49
	s_waitcnt_depctr 0xfff
	v_dual_add_f32 v29, v29, v49 :: v_dual_add_nc_u32 v48, 0x80, v48
	s_delay_alu instid0(VALU_DEP_1) | instskip(SKIP_3) | instid1(SALU_CYCLE_1)
	v_cmp_ge_i32_e64 s3, v48, v9
	ds_store_b32 v39, v49
	v_add_nc_u32_e32 v39, 0x200, v39
	s_or_b32 s11, s3, s11
	s_and_not1_b32 exec_lo, exec_lo, s11
	s_cbranch_execnz .LBB424_691
; %bb.692:
	s_or_b32 exec_lo, exec_lo, s11
.LBB424_693:
	s_delay_alu instid0(SALU_CYCLE_1)
	s_or_b32 exec_lo, exec_lo, s9
	ds_bpermute_b32 v20, v20, v29
	s_waitcnt lgkmcnt(0)
	v_add_f32_e32 v20, v29, v20
	ds_bpermute_b32 v21, v21, v20
	s_waitcnt lgkmcnt(0)
	v_add_f32_e32 v20, v20, v21
	;; [unrolled: 3-line block ×5, first 2 shown]
	s_and_saveexec_b32 s3, vcc_lo
	s_cbranch_execz .LBB424_695
; %bb.694:
	ds_store_b32 v24, v20 offset:240
.LBB424_695:
	s_or_b32 exec_lo, exec_lo, s3
	s_waitcnt lgkmcnt(0)
	s_barrier
	buffer_gl0_inv
	s_and_saveexec_b32 s3, s1
	s_cbranch_execz .LBB424_697
; %bb.696:
	ds_load_b32 v20, v25 offset:240
.LBB424_697:
	s_or_b32 exec_lo, exec_lo, s3
	s_waitcnt lgkmcnt(0)
	ds_bpermute_b32 v13, v13, v20
	s_waitcnt lgkmcnt(0)
	v_add_f32_e32 v13, v20, v13
	ds_bpermute_b32 v20, v19, v13
	s_waitcnt lgkmcnt(0)
	v_add_f32_e32 v13, v13, v20
	ds_bpermute_b32 v13, v28, v13
	s_and_saveexec_b32 s1, s2
	s_cbranch_execz .LBB424_700
; %bb.698:
	s_waitcnt lgkmcnt(0)
	v_add_f32_e32 v21, 0x358637bd, v13
	s_getpc_b64 s[2:3]
	s_add_u32 s2, s2, llvm.amdgcn.dynlds.offset.table@rel32@lo+4
	s_addc_u32 s3, s3, llvm.amdgcn.dynlds.offset.table@rel32@hi+12
	s_ashr_i32 s11, s10, 31
	s_delay_alu instid0(SALU_CYCLE_1) | instskip(SKIP_3) | instid1(VALU_DEP_2)
	s_lshl_b64 s[18:19], s[10:11], 2
	v_div_scale_f32 v20, null, v21, v21, 1.0
	v_div_scale_f32 v25, vcc_lo, 1.0, v21, 1.0
	s_add_u32 s2, s18, s2
	v_rcp_f32_e32 v23, v20
	s_addc_u32 s3, s19, s3
	s_load_b32 s2, s[2:3], 0x0
	s_waitcnt_depctr 0xfff
	v_fma_f32 v24, -v20, v23, 1.0
	s_delay_alu instid0(VALU_DEP_1) | instskip(NEXT) | instid1(VALU_DEP_1)
	v_fmac_f32_e32 v23, v24, v23
	v_mul_f32_e32 v24, v25, v23
	s_delay_alu instid0(VALU_DEP_1) | instskip(NEXT) | instid1(VALU_DEP_1)
	v_fma_f32 v28, -v20, v24, v25
	v_fmac_f32_e32 v24, v28, v23
	s_delay_alu instid0(VALU_DEP_1) | instskip(NEXT) | instid1(VALU_DEP_1)
	v_fma_f32 v20, -v20, v24, v25
	v_div_fmas_f32 v23, v20, v23, v24
	s_waitcnt lgkmcnt(0)
	v_lshl_add_u32 v20, v31, 2, s2
	s_mov_b32 s2, 0
	s_delay_alu instid0(VALU_DEP_2)
	v_div_fixup_f32 v21, v23, v21, 1.0
	v_mov_b32_e32 v23, v31
.LBB424_699:                            ; =>This Inner Loop Header: Depth=1
	ds_load_b32 v24, v20
	s_waitcnt lgkmcnt(0)
	v_dual_mul_f32 v24, v21, v24 :: v_dual_add_nc_u32 v23, 0x80, v23
	s_delay_alu instid0(VALU_DEP_1) | instskip(SKIP_3) | instid1(SALU_CYCLE_1)
	v_cmp_ge_i32_e32 vcc_lo, v23, v9
	ds_store_b32 v20, v24
	v_add_nc_u32_e32 v20, 0x200, v20
	s_or_b32 s2, vcc_lo, s2
	s_and_not1_b32 exec_lo, exec_lo, s2
	s_cbranch_execnz .LBB424_699
.LBB424_700:
	s_or_b32 exec_lo, exec_lo, s1
	v_cmp_ne_u16_e64 s1, s8, 0
	s_mov_b32 s2, exec_lo
	s_waitcnt lgkmcnt(0)
	s_barrier
	buffer_gl0_inv
	s_cmp_lg_u32 s1, 0
	s_addc_u32 s1, s7, 0
	v_cmpx_eq_u32_e32 0, v31
	s_cbranch_execz .LBB424_702
; %bb.701:
	s_mul_i32 s3, s1, s4
	s_mul_i32 s8, s1, s12
	;; [unrolled: 1-line block ×3, first 2 shown]
	s_ashr_i32 s9, s8, 31
	s_ashr_i32 s15, s14, 31
	;; [unrolled: 1-line block ×3, first 2 shown]
	s_lshl_b64 s[8:9], s[8:9], 2
	s_lshl_b64 s[18:19], s[14:15], 2
	;; [unrolled: 1-line block ×3, first 2 shown]
	s_add_u32 s3, s18, s8
	s_addc_u32 s7, s19, s9
	s_add_u32 s3, s3, s12
	s_addc_u32 s7, s7, s13
	v_add_co_u32 v2, vcc_lo, s3, v2
	v_add_co_ci_u32_e32 v3, vcc_lo, s7, v3, vcc_lo
	v_add_co_u32 v0, vcc_lo, s3, v0
	v_add_co_ci_u32_e32 v1, vcc_lo, s7, v1, vcc_lo
	flat_store_b32 v[2:3], v8
	flat_store_b32 v[0:1], v13
.LBB424_702:
	s_or_b32 exec_lo, exec_lo, s2
                                        ; implicit-def: $sgpr2
	s_and_saveexec_b32 s3, s0
	s_delay_alu instid0(SALU_CYCLE_1)
	s_xor_b32 s0, exec_lo, s3
; %bb.703:
	s_ashr_i32 s11, s10, 31
	s_mov_b32 s2, 0
                                        ; implicit-def: $vgpr33
                                        ; implicit-def: $vgpr36
                                        ; implicit-def: $vgpr35
                                        ; implicit-def: $vgpr16
                                        ; implicit-def: $vgpr10
                                        ; implicit-def: $vgpr11
                                        ; implicit-def: $vgpr14
                                        ; implicit-def: $vgpr15
                                        ; implicit-def: $vgpr22
                                        ; implicit-def: $vgpr26_vgpr27
                                        ; implicit-def: $vgpr37
                                        ; implicit-def: $vgpr38
                                        ; implicit-def: $vgpr6_vgpr7
                                        ; implicit-def: $vgpr12
; %bb.704:
	s_or_saveexec_b32 s7, s0
	v_dual_mov_b32 v0, s10 :: v_dual_mov_b32 v21, s2
	v_dual_mov_b32 v20, s2 :: v_dual_mov_b32 v1, s11
	;; [unrolled: 1-line block ×4, first 2 shown]
	v_mov_b32_e32 v29, s2
	s_xor_b32 exec_lo, exec_lo, s7
	s_cbranch_execz .LBB424_1650
; %bb.705:
	flat_load_b32 v26, v[26:27]
	s_getpc_b64 s[2:3]
	s_add_u32 s2, s2, llvm.amdgcn.dynlds.offset.table@rel32@lo+4
	s_addc_u32 s3, s3, llvm.amdgcn.dynlds.offset.table@rel32@hi+12
	s_ashr_i32 s11, s10, 31
	v_add_co_u32 v3, vcc_lo, v10, v37
	s_lshl_b64 s[8:9], s[10:11], 2
	v_dual_mov_b32 v10, 0 :: v_dual_and_b32 v9, 0xf8, v12
	s_add_u32 s2, s8, s2
	s_addc_u32 s3, s9, s3
	v_add_co_ci_u32_e32 v8, vcc_lo, v11, v38, vcc_lo
	s_load_b32 s0, s[2:3], 0x0
	v_lshlrev_b64 v[0:1], 2, v[16:17]
	v_add_co_u32 v11, vcc_lo, v3, v9
	v_dual_mov_b32 v24, 0 :: v_dual_lshlrev_b32 v3, 5, v32
	v_dual_mov_b32 v29, 0 :: v_dual_and_b32 v2, 8, v12
	v_add_co_ci_u32_e32 v12, vcc_lo, 0, v8, vcc_lo
	v_add_co_u32 v0, vcc_lo, v6, v0
	v_add_co_ci_u32_e32 v1, vcc_lo, v7, v1, vcc_lo
	v_lshl_add_u32 v6, v34, 4, s17
	v_lshl_or_b32 v3, v34, 6, v3
	s_delay_alu instid0(VALU_DEP_4)
	v_add_co_u32 v13, vcc_lo, v14, v0
	v_dual_mov_b32 v28, 0 :: v_dual_add_nc_u32 v27, -1, v36
	v_add_co_ci_u32_e32 v14, vcc_lo, v15, v1, vcc_lo
	v_add3_u32 v15, v6, v2, 7
	s_waitcnt lgkmcnt(0)
	v_dual_mov_b32 v20, 0 :: v_dual_add_nc_u32 v17, s0, v3
	v_mov_b32_e32 v25, 0
	v_mov_b32_e32 v23, 0
	;; [unrolled: 1-line block ×3, first 2 shown]
	s_mov_b32 s2, -1
	s_mov_b32 s3, 0xffffff
	s_mov_b32 s8, 0
	s_branch .LBB424_707
.LBB424_706:                            ;   in Loop: Header=BB424_707 Depth=1
	s_or_b32 exec_lo, exec_lo, s0
	v_and_b32_e32 v38, 0xffff0000, v38
	v_and_b32_e32 v50, 0xffff0000, v50
	;; [unrolled: 1-line block ×9, first 2 shown]
	v_add_f32_e32 v8, v8, v36
	v_dual_add_f32 v36, v37, v38 :: v_dual_and_b32 v37, 0xffff0000, v49
	s_delay_alu instid0(VALU_DEP_4) | instskip(SKIP_1) | instid1(VALU_DEP_3)
	v_dual_add_f32 v38, v39, v48 :: v_dual_and_b32 v39, 0xffff0000, v83
	v_and_b32_e32 v6, 0xffff0000, v6
	v_add_f32_e32 v8, v8, v36
	v_and_b32_e32 v49, 0xffff0000, v84
	v_add_f32_e32 v37, v37, v50
	v_and_b32_e32 v1, 0xffff0000, v1
	v_and_b32_e32 v0, 0xffff0000, v0
	v_add_f32_e32 v8, v8, v38
	v_and_b32_e32 v38, 0xffff0000, v87
	v_and_b32_e32 v3, 0xffff0000, v3
	;; [unrolled: 1-line block ×3, first 2 shown]
	v_add_f32_e32 v0, v0, v1
	v_add_f32_e32 v8, v8, v37
	v_and_b32_e32 v48, 0xffff0000, v82
	v_and_b32_e32 v52, 0xffff0000, v52
	;; [unrolled: 1-line block ×3, first 2 shown]
	v_add_nc_u32_e32 v16, 4, v16
	v_add_f32_e32 v29, v29, v8
	v_dual_add_f32 v39, v48, v39 :: v_dual_and_b32 v48, 0xffff0000, v86
	v_add_co_u32 v13, s0, v13, 16
	s_delay_alu instid0(VALU_DEP_4) | instskip(SKIP_1) | instid1(VALU_DEP_4)
	v_cmp_ge_i32_e32 vcc_lo, v16, v35
	v_add_co_ci_u32_e64 v14, s0, 0, v14, s0
	v_add_f32_e32 v38, v48, v38
	v_and_b32_e32 v48, 0xffff0000, v99
	s_or_b32 s8, vcc_lo, s8
	v_and_b32_e32 v65, 0xffff0000, v151
	v_add_f32_e32 v1, v2, v3
	v_and_b32_e32 v2, 0xffff0000, v51
	v_add_f32_e32 v48, v54, v48
	v_and_b32_e32 v36, 0xffff0000, v85
	v_and_b32_e32 v54, 0xffff0000, v130
	v_dual_add_f32 v0, v0, v1 :: v_dual_and_b32 v7, 0xffff0000, v7
	v_add_f32_e32 v1, v2, v52
	s_delay_alu instid0(VALU_DEP_4)
	v_add_f32_e32 v36, v49, v36
	v_and_b32_e32 v2, 0xffff0000, v9
	v_add_nc_u32_e32 v15, 64, v15
	v_add_f32_e32 v6, v6, v7
	v_add_f32_e32 v0, v0, v1
	v_dual_add_f32 v36, v39, v36 :: v_dual_and_b32 v39, 0xffff0000, v101
	v_add_nc_u32_e32 v17, 0x100, v17
	s_delay_alu instid0(VALU_DEP_2) | instskip(NEXT) | instid1(VALU_DEP_1)
	v_add_f32_e32 v39, v55, v39
	v_add_f32_e32 v37, v48, v39
	v_and_b32_e32 v39, 0xffff0000, v115
	v_and_b32_e32 v48, 0xffff0000, v114
	v_dual_add_f32 v36, v36, v38 :: v_dual_and_b32 v49, 0xffff0000, v96
	s_delay_alu instid0(VALU_DEP_2) | instskip(SKIP_1) | instid1(VALU_DEP_1)
	v_dual_add_f32 v39, v48, v39 :: v_dual_and_b32 v48, 0xffff0000, v133
	v_and_b32_e32 v55, 0xffff0000, v132
	v_add_f32_e32 v48, v55, v48
	v_and_b32_e32 v50, 0xffff0000, v97
	v_and_b32_e32 v55, 0xffff0000, v146
	s_delay_alu instid0(VALU_DEP_2) | instskip(SKIP_1) | instid1(VALU_DEP_2)
	v_dual_add_f32 v38, v49, v50 :: v_dual_and_b32 v49, 0xffff0000, v103
	v_and_b32_e32 v50, 0xffff0000, v102
	v_add_f32_e32 v36, v36, v38
	s_delay_alu instid0(VALU_DEP_2) | instskip(NEXT) | instid1(VALU_DEP_1)
	v_dual_add_f32 v38, v50, v49 :: v_dual_and_b32 v49, 0xffff0000, v116
	v_dual_add_f32 v37, v37, v38 :: v_dual_and_b32 v38, 0xffff0000, v117
	s_delay_alu instid0(VALU_DEP_1) | instskip(NEXT) | instid1(VALU_DEP_1)
	v_dual_add_f32 v38, v49, v38 :: v_dual_and_b32 v49, 0xffff0000, v131
	v_dual_add_f32 v38, v39, v38 :: v_dual_and_b32 v39, 0xffff0000, v135
	s_delay_alu instid0(VALU_DEP_2) | instskip(SKIP_1) | instid1(VALU_DEP_2)
	v_dual_add_f32 v49, v54, v49 :: v_dual_and_b32 v54, 0xffff0000, v134
	v_add_f32_e32 v28, v28, v36
	v_dual_add_f32 v39, v54, v39 :: v_dual_and_b32 v36, 0xffff0000, v113
	v_and_b32_e32 v54, 0xffff0000, v147
	s_delay_alu instid0(VALU_DEP_1) | instskip(NEXT) | instid1(VALU_DEP_1)
	v_dual_add_f32 v7, v55, v54 :: v_dual_and_b32 v8, 0xffff0000, v112
	v_dual_add_f32 v3, v6, v7 :: v_dual_add_f32 v8, v8, v36
	s_delay_alu instid0(VALU_DEP_1) | instskip(SKIP_3) | instid1(VALU_DEP_4)
	v_dual_add_f32 v8, v37, v8 :: v_dual_and_b32 v7, 0xffff0000, v53
	v_add_f32_e32 v37, v49, v48
	v_and_b32_e32 v48, 0xffff0000, v144
	v_and_b32_e32 v49, 0xffff0000, v145
	v_dual_add_f32 v1, v7, v2 :: v_dual_and_b32 v36, 0xffff0000, v119
	s_delay_alu instid0(VALU_DEP_4) | instskip(SKIP_1) | instid1(VALU_DEP_4)
	v_add_f32_e32 v37, v37, v39
	v_and_b32_e32 v39, 0xffff0000, v149
	v_dual_add_f32 v9, v48, v49 :: v_dual_and_b32 v50, 0xffff0000, v118
	s_delay_alu instid0(VALU_DEP_4) | instskip(NEXT) | instid1(VALU_DEP_2)
	v_dual_add_f32 v0, v0, v1 :: v_dual_add_f32 v25, v25, v8
	v_dual_add_f32 v7, v37, v9 :: v_dual_add_f32 v36, v50, v36
	v_and_b32_e32 v50, 0xffff0000, v129
	s_delay_alu instid0(VALU_DEP_2) | instskip(NEXT) | instid1(VALU_DEP_3)
	v_dual_add_f32 v20, v20, v0 :: v_dual_add_f32 v23, v23, v7
	v_add_f32_e32 v36, v38, v36
	s_delay_alu instid0(VALU_DEP_3) | instskip(SKIP_2) | instid1(VALU_DEP_3)
	v_add_f32_e32 v38, v64, v50
	v_and_b32_e32 v50, 0xffff0000, v148
	v_and_b32_e32 v64, 0xffff0000, v150
	v_add_f32_e32 v2, v36, v38
	s_delay_alu instid0(VALU_DEP_3) | instskip(NEXT) | instid1(VALU_DEP_2)
	v_add_f32_e32 v6, v50, v39
	v_add_f32_e32 v24, v24, v2
	s_delay_alu instid0(VALU_DEP_2) | instskip(NEXT) | instid1(VALU_DEP_1)
	v_dual_add_f32 v3, v3, v6 :: v_dual_add_f32 v6, v64, v65
	v_add_f32_e32 v3, v3, v6
	s_delay_alu instid0(VALU_DEP_1)
	v_add_f32_e32 v21, v21, v3
	s_and_not1_b32 exec_lo, exec_lo, s8
	s_cbranch_execz .LBB424_1649
.LBB424_707:                            ; =>This Inner Loop Header: Depth=1
	flat_load_b32 v51, v[13:14]
	ds_load_2addr_b64 v[6:9], v17 offset1:1
	ds_load_2addr_b64 v[0:3], v17 offset0:2 offset1:3
	s_mov_b32 s0, exec_lo
                                        ; implicit-def: $vgpr66
	s_waitcnt lgkmcnt(1)
	v_and_b32_e32 v36, 0x7f800000, v6
	s_delay_alu instid0(VALU_DEP_1)
	v_cmpx_ne_u32_e32 0x7f800000, v36
	s_xor_b32 s0, exec_lo, s0
; %bb.708:                              ;   in Loop: Header=BB424_707 Depth=1
	v_bfe_u32 v36, v6, 16, 1
	s_delay_alu instid0(VALU_DEP_1)
	v_add3_u32 v66, v6, v36, 0x7fff
; %bb.709:                              ;   in Loop: Header=BB424_707 Depth=1
	s_and_not1_saveexec_b32 s0, s0
; %bb.710:                              ;   in Loop: Header=BB424_707 Depth=1
	v_and_b32_e32 v36, 0xffff, v6
	v_or_b32_e32 v37, 0x10000, v6
	s_delay_alu instid0(VALU_DEP_2) | instskip(NEXT) | instid1(VALU_DEP_2)
	v_cmp_eq_u32_e32 vcc_lo, 0, v36
	v_cndmask_b32_e32 v66, v37, v6, vcc_lo
; %bb.711:                              ;   in Loop: Header=BB424_707 Depth=1
	s_or_b32 exec_lo, exec_lo, s0
	v_and_b32_e32 v6, 0x7f800000, v7
	s_mov_b32 s0, exec_lo
                                        ; implicit-def: $vgpr36
	s_delay_alu instid0(VALU_DEP_1)
	v_cmpx_ne_u32_e32 0x7f800000, v6
	s_xor_b32 s0, exec_lo, s0
; %bb.712:                              ;   in Loop: Header=BB424_707 Depth=1
	v_bfe_u32 v6, v7, 16, 1
	s_delay_alu instid0(VALU_DEP_1)
	v_add3_u32 v36, v7, v6, 0x7fff
; %bb.713:                              ;   in Loop: Header=BB424_707 Depth=1
	s_and_not1_saveexec_b32 s0, s0
; %bb.714:                              ;   in Loop: Header=BB424_707 Depth=1
	v_and_b32_e32 v6, 0xffff, v7
	v_or_b32_e32 v36, 0x10000, v7
	s_delay_alu instid0(VALU_DEP_2) | instskip(NEXT) | instid1(VALU_DEP_2)
	v_cmp_eq_u32_e32 vcc_lo, 0, v6
	v_cndmask_b32_e32 v36, v36, v7, vcc_lo
; %bb.715:                              ;   in Loop: Header=BB424_707 Depth=1
	s_or_b32 exec_lo, exec_lo, s0
	v_and_b32_e32 v6, 0x7f800000, v8
	s_mov_b32 s0, exec_lo
                                        ; implicit-def: $vgpr37
	s_delay_alu instid0(VALU_DEP_1)
	v_cmpx_ne_u32_e32 0x7f800000, v6
	s_xor_b32 s0, exec_lo, s0
; %bb.716:                              ;   in Loop: Header=BB424_707 Depth=1
	v_bfe_u32 v6, v8, 16, 1
	s_delay_alu instid0(VALU_DEP_1)
	v_add3_u32 v37, v8, v6, 0x7fff
; %bb.717:                              ;   in Loop: Header=BB424_707 Depth=1
	s_and_not1_saveexec_b32 s0, s0
; %bb.718:                              ;   in Loop: Header=BB424_707 Depth=1
	v_and_b32_e32 v6, 0xffff, v8
	v_or_b32_e32 v7, 0x10000, v8
	s_delay_alu instid0(VALU_DEP_2) | instskip(NEXT) | instid1(VALU_DEP_2)
	v_cmp_eq_u32_e32 vcc_lo, 0, v6
	v_cndmask_b32_e32 v37, v7, v8, vcc_lo
; %bb.719:                              ;   in Loop: Header=BB424_707 Depth=1
	s_or_b32 exec_lo, exec_lo, s0
	v_and_b32_e32 v6, 0x7f800000, v9
	s_mov_b32 s0, exec_lo
                                        ; implicit-def: $vgpr38
	s_delay_alu instid0(VALU_DEP_1)
	v_cmpx_ne_u32_e32 0x7f800000, v6
	s_xor_b32 s0, exec_lo, s0
; %bb.720:                              ;   in Loop: Header=BB424_707 Depth=1
	v_bfe_u32 v6, v9, 16, 1
	s_delay_alu instid0(VALU_DEP_1)
	v_add3_u32 v38, v9, v6, 0x7fff
                                        ; implicit-def: $vgpr6_vgpr7_vgpr8_vgpr9
; %bb.721:                              ;   in Loop: Header=BB424_707 Depth=1
	s_and_not1_saveexec_b32 s0, s0
; %bb.722:                              ;   in Loop: Header=BB424_707 Depth=1
	v_and_b32_e32 v6, 0xffff, v9
	v_or_b32_e32 v7, 0x10000, v9
	s_delay_alu instid0(VALU_DEP_2) | instskip(NEXT) | instid1(VALU_DEP_2)
	v_cmp_eq_u32_e32 vcc_lo, 0, v6
	v_cndmask_b32_e32 v38, v7, v9, vcc_lo
; %bb.723:                              ;   in Loop: Header=BB424_707 Depth=1
	s_or_b32 exec_lo, exec_lo, s0
	s_waitcnt lgkmcnt(0)
	v_and_b32_e32 v6, 0x7f800000, v0
	s_mov_b32 s0, exec_lo
                                        ; implicit-def: $vgpr39
	s_delay_alu instid0(VALU_DEP_1)
	v_cmpx_ne_u32_e32 0x7f800000, v6
	s_xor_b32 s0, exec_lo, s0
; %bb.724:                              ;   in Loop: Header=BB424_707 Depth=1
	v_bfe_u32 v6, v0, 16, 1
	s_delay_alu instid0(VALU_DEP_1)
	v_add3_u32 v39, v0, v6, 0x7fff
; %bb.725:                              ;   in Loop: Header=BB424_707 Depth=1
	s_and_not1_saveexec_b32 s0, s0
; %bb.726:                              ;   in Loop: Header=BB424_707 Depth=1
	v_and_b32_e32 v6, 0xffff, v0
	v_or_b32_e32 v7, 0x10000, v0
	s_delay_alu instid0(VALU_DEP_2) | instskip(NEXT) | instid1(VALU_DEP_2)
	v_cmp_eq_u32_e32 vcc_lo, 0, v6
	v_cndmask_b32_e32 v39, v7, v0, vcc_lo
; %bb.727:                              ;   in Loop: Header=BB424_707 Depth=1
	s_or_b32 exec_lo, exec_lo, s0
	v_and_b32_e32 v0, 0x7f800000, v1
	s_mov_b32 s0, exec_lo
                                        ; implicit-def: $vgpr48
	s_delay_alu instid0(VALU_DEP_1)
	v_cmpx_ne_u32_e32 0x7f800000, v0
	s_xor_b32 s0, exec_lo, s0
; %bb.728:                              ;   in Loop: Header=BB424_707 Depth=1
	v_bfe_u32 v0, v1, 16, 1
	s_delay_alu instid0(VALU_DEP_1)
	v_add3_u32 v48, v1, v0, 0x7fff
; %bb.729:                              ;   in Loop: Header=BB424_707 Depth=1
	s_and_not1_saveexec_b32 s0, s0
; %bb.730:                              ;   in Loop: Header=BB424_707 Depth=1
	v_and_b32_e32 v0, 0xffff, v1
	v_or_b32_e32 v6, 0x10000, v1
	s_delay_alu instid0(VALU_DEP_2) | instskip(NEXT) | instid1(VALU_DEP_2)
	v_cmp_eq_u32_e32 vcc_lo, 0, v0
	v_cndmask_b32_e32 v48, v6, v1, vcc_lo
; %bb.731:                              ;   in Loop: Header=BB424_707 Depth=1
	s_or_b32 exec_lo, exec_lo, s0
	v_and_b32_e32 v0, 0x7f800000, v2
	s_mov_b32 s0, exec_lo
                                        ; implicit-def: $vgpr49
	s_delay_alu instid0(VALU_DEP_1)
	v_cmpx_ne_u32_e32 0x7f800000, v0
	s_xor_b32 s0, exec_lo, s0
; %bb.732:                              ;   in Loop: Header=BB424_707 Depth=1
	v_bfe_u32 v0, v2, 16, 1
	s_delay_alu instid0(VALU_DEP_1)
	v_add3_u32 v49, v2, v0, 0x7fff
; %bb.733:                              ;   in Loop: Header=BB424_707 Depth=1
	s_and_not1_saveexec_b32 s0, s0
; %bb.734:                              ;   in Loop: Header=BB424_707 Depth=1
	v_and_b32_e32 v0, 0xffff, v2
	v_or_b32_e32 v1, 0x10000, v2
	s_delay_alu instid0(VALU_DEP_2) | instskip(NEXT) | instid1(VALU_DEP_2)
	v_cmp_eq_u32_e32 vcc_lo, 0, v0
	v_cndmask_b32_e32 v49, v1, v2, vcc_lo
; %bb.735:                              ;   in Loop: Header=BB424_707 Depth=1
	s_or_b32 exec_lo, exec_lo, s0
	v_and_b32_e32 v0, 0x7f800000, v3
	s_mov_b32 s0, exec_lo
                                        ; implicit-def: $vgpr50
	s_delay_alu instid0(VALU_DEP_1)
	v_cmpx_ne_u32_e32 0x7f800000, v0
	s_xor_b32 s0, exec_lo, s0
; %bb.736:                              ;   in Loop: Header=BB424_707 Depth=1
	v_bfe_u32 v0, v3, 16, 1
	s_delay_alu instid0(VALU_DEP_1)
	v_add3_u32 v50, v3, v0, 0x7fff
                                        ; implicit-def: $vgpr0_vgpr1_vgpr2_vgpr3
; %bb.737:                              ;   in Loop: Header=BB424_707 Depth=1
	s_and_not1_saveexec_b32 s0, s0
; %bb.738:                              ;   in Loop: Header=BB424_707 Depth=1
	v_and_b32_e32 v0, 0xffff, v3
	v_or_b32_e32 v1, 0x10000, v3
	s_delay_alu instid0(VALU_DEP_2) | instskip(NEXT) | instid1(VALU_DEP_2)
	v_cmp_eq_u32_e32 vcc_lo, 0, v0
	v_cndmask_b32_e32 v50, v1, v3, vcc_lo
; %bb.739:                              ;   in Loop: Header=BB424_707 Depth=1
	s_or_b32 exec_lo, exec_lo, s0
	s_waitcnt vmcnt(0)
	v_mad_i64_i32 v[0:1], null, v51, v22, v[11:12]
	s_mov_b32 s0, exec_lo
	v_mov_b32_e32 v6, 0
	flat_load_b64 v[2:3], v[0:1]
	s_waitcnt vmcnt(0) lgkmcnt(0)
	v_and_b32_e32 v7, 0xff, v2
	s_delay_alu instid0(VALU_DEP_1)
	v_cmpx_ne_u16_e32 0, v7
	s_cbranch_execz .LBB424_747
; %bb.740:                              ;   in Loop: Header=BB424_707 Depth=1
	v_bfrev_b32_e32 v6, 1
	s_mov_b32 s9, exec_lo
	v_cmpx_ne_u16_e32 0x80, v7
	s_cbranch_execz .LBB424_746
; %bb.741:                              ;   in Loop: Header=BB424_707 Depth=1
	v_and_b32_e32 v7, 0x7f, v2
	v_mov_b32_e32 v6, 0x7f800001
	s_mov_b32 s12, exec_lo
	s_delay_alu instid0(VALU_DEP_2)
	v_cmpx_ne_u32_e32 0x7f, v7
	s_cbranch_execz .LBB424_745
; %bb.742:                              ;   in Loop: Header=BB424_707 Depth=1
	v_lshrrev_b32_e32 v8, 3, v7
	v_cmp_gt_u32_e32 vcc_lo, 8, v7
	v_dual_mov_b32 v7, v3 :: v_dual_mov_b32 v6, v2
	s_and_saveexec_b32 s13, vcc_lo
; %bb.743:                              ;   in Loop: Header=BB424_707 Depth=1
	v_and_b32_e32 v6, 7, v2
	s_delay_alu instid0(VALU_DEP_1) | instskip(NEXT) | instid1(VALU_DEP_1)
	v_clz_i32_u32_e32 v6, v6
	v_min_u32_e32 v8, 32, v6
	s_delay_alu instid0(VALU_DEP_1) | instskip(SKIP_1) | instid1(VALU_DEP_2)
	v_subrev_nc_u32_e32 v6, 28, v8
	v_sub_nc_u32_e32 v8, 29, v8
	v_lshlrev_b64 v[6:7], v6, v[2:3]
; %bb.744:                              ;   in Loop: Header=BB424_707 Depth=1
	s_or_b32 exec_lo, exec_lo, s13
	s_delay_alu instid0(VALU_DEP_1) | instskip(SKIP_2) | instid1(VALU_DEP_3)
	v_lshlrev_b32_e32 v6, 20, v6
	v_lshlrev_b32_e32 v7, 24, v2
	v_lshl_add_u32 v8, v8, 23, 0x3c000000
	v_and_b32_e32 v6, 0x700000, v6
	s_delay_alu instid0(VALU_DEP_3) | instskip(NEXT) | instid1(VALU_DEP_1)
	v_and_b32_e32 v7, 0x80000000, v7
	v_or3_b32 v6, v6, v7, v8
.LBB424_745:                            ;   in Loop: Header=BB424_707 Depth=1
	s_or_b32 exec_lo, exec_lo, s12
.LBB424_746:                            ;   in Loop: Header=BB424_707 Depth=1
	s_delay_alu instid0(SALU_CYCLE_1)
	s_or_b32 exec_lo, exec_lo, s9
.LBB424_747:                            ;   in Loop: Header=BB424_707 Depth=1
	s_delay_alu instid0(SALU_CYCLE_1) | instskip(NEXT) | instid1(VALU_DEP_1)
	s_or_b32 exec_lo, exec_lo, s0
	v_mul_f32_e32 v6, v26, v6
	s_mov_b32 s0, exec_lo
                                        ; implicit-def: $vgpr8
	s_delay_alu instid0(VALU_DEP_1) | instskip(NEXT) | instid1(VALU_DEP_1)
	v_and_b32_e32 v7, 0x7f800000, v6
	v_cmpx_ne_u32_e32 0x7f800000, v7
	s_xor_b32 s0, exec_lo, s0
; %bb.748:                              ;   in Loop: Header=BB424_707 Depth=1
	v_bfe_u32 v7, v6, 16, 1
	s_delay_alu instid0(VALU_DEP_1)
	v_add3_u32 v8, v6, v7, 0x7fff
                                        ; implicit-def: $vgpr6
; %bb.749:                              ;   in Loop: Header=BB424_707 Depth=1
	s_and_not1_saveexec_b32 s0, s0
; %bb.750:                              ;   in Loop: Header=BB424_707 Depth=1
	v_and_b32_e32 v7, 0xffff, v6
	v_or_b32_e32 v8, 0x10000, v6
	s_delay_alu instid0(VALU_DEP_2) | instskip(NEXT) | instid1(VALU_DEP_2)
	v_cmp_eq_u32_e32 vcc_lo, 0, v7
	v_cndmask_b32_e32 v8, v8, v6, vcc_lo
; %bb.751:                              ;   in Loop: Header=BB424_707 Depth=1
	s_or_b32 exec_lo, exec_lo, s0
	v_lshrrev_b16 v7, 8, v2
	v_mov_b32_e32 v6, 0
	s_mov_b32 s0, exec_lo
	s_delay_alu instid0(VALU_DEP_2)
	v_cmpx_ne_u16_e32 0, v7
	s_cbranch_execz .LBB424_759
; %bb.752:                              ;   in Loop: Header=BB424_707 Depth=1
	v_bfrev_b32_e32 v6, 1
	s_mov_b32 s9, exec_lo
	v_cmpx_ne_u16_e32 0x80, v7
	s_cbranch_execz .LBB424_758
; %bb.753:                              ;   in Loop: Header=BB424_707 Depth=1
	v_and_b32_e32 v9, 0xffff, v7
	v_mov_b32_e32 v6, 0x7f800001
	s_mov_b32 s12, exec_lo
	s_delay_alu instid0(VALU_DEP_2) | instskip(NEXT) | instid1(VALU_DEP_1)
	v_and_b32_e32 v7, 0x7f, v9
	v_cmpx_ne_u32_e32 0x7f, v7
	s_cbranch_execz .LBB424_757
; %bb.754:                              ;   in Loop: Header=BB424_707 Depth=1
	v_and_b32_e32 v9, 7, v9
	v_lshrrev_b32_e32 v6, 3, v7
	s_mov_b32 s13, exec_lo
	v_cmpx_gt_u32_e32 8, v7
; %bb.755:                              ;   in Loop: Header=BB424_707 Depth=1
	s_delay_alu instid0(VALU_DEP_3) | instskip(NEXT) | instid1(VALU_DEP_1)
	v_clz_i32_u32_e32 v6, v9
	v_min_u32_e32 v6, 32, v6
	s_delay_alu instid0(VALU_DEP_1) | instskip(SKIP_1) | instid1(VALU_DEP_2)
	v_subrev_nc_u32_e32 v7, 28, v6
	v_sub_nc_u32_e32 v6, 29, v6
	v_lshlrev_b64 v[51:52], v7, v[9:10]
	s_delay_alu instid0(VALU_DEP_1)
	v_and_b32_e32 v9, 7, v51
; %bb.756:                              ;   in Loop: Header=BB424_707 Depth=1
	s_or_b32 exec_lo, exec_lo, s13
	v_lshlrev_b32_e32 v7, 16, v2
	s_delay_alu instid0(VALU_DEP_2) | instskip(SKIP_1) | instid1(VALU_DEP_3)
	v_lshlrev_b32_e32 v9, 20, v9
	v_lshl_add_u32 v6, v6, 23, 0x3c000000
	v_and_b32_e32 v7, 0x80000000, v7
	s_delay_alu instid0(VALU_DEP_1)
	v_or3_b32 v6, v9, v7, v6
.LBB424_757:                            ;   in Loop: Header=BB424_707 Depth=1
	s_or_b32 exec_lo, exec_lo, s12
.LBB424_758:                            ;   in Loop: Header=BB424_707 Depth=1
	s_delay_alu instid0(SALU_CYCLE_1)
	s_or_b32 exec_lo, exec_lo, s9
.LBB424_759:                            ;   in Loop: Header=BB424_707 Depth=1
	s_delay_alu instid0(SALU_CYCLE_1) | instskip(NEXT) | instid1(VALU_DEP_1)
	s_or_b32 exec_lo, exec_lo, s0
	v_mul_f32_e32 v6, v26, v6
	s_mov_b32 s0, exec_lo
                                        ; implicit-def: $vgpr52
	s_delay_alu instid0(VALU_DEP_1) | instskip(NEXT) | instid1(VALU_DEP_1)
	v_and_b32_e32 v7, 0x7f800000, v6
	v_cmpx_ne_u32_e32 0x7f800000, v7
	s_xor_b32 s0, exec_lo, s0
; %bb.760:                              ;   in Loop: Header=BB424_707 Depth=1
	v_bfe_u32 v7, v6, 16, 1
	s_delay_alu instid0(VALU_DEP_1)
	v_add3_u32 v52, v6, v7, 0x7fff
                                        ; implicit-def: $vgpr6
; %bb.761:                              ;   in Loop: Header=BB424_707 Depth=1
	s_and_not1_saveexec_b32 s0, s0
; %bb.762:                              ;   in Loop: Header=BB424_707 Depth=1
	v_and_b32_e32 v7, 0xffff, v6
	v_or_b32_e32 v9, 0x10000, v6
	s_delay_alu instid0(VALU_DEP_2) | instskip(NEXT) | instid1(VALU_DEP_2)
	v_cmp_eq_u32_e32 vcc_lo, 0, v7
	v_cndmask_b32_e32 v52, v9, v6, vcc_lo
; %bb.763:                              ;   in Loop: Header=BB424_707 Depth=1
	s_or_b32 exec_lo, exec_lo, s0
	v_lshrrev_b32_e32 v6, 16, v2
	v_mov_b32_e32 v7, 0
	s_mov_b32 s0, exec_lo
	s_delay_alu instid0(VALU_DEP_2) | instskip(NEXT) | instid1(VALU_DEP_1)
	v_and_b32_e32 v9, 0xff, v6
	v_cmpx_ne_u16_e32 0, v9
	s_cbranch_execz .LBB424_771
; %bb.764:                              ;   in Loop: Header=BB424_707 Depth=1
	v_bfrev_b32_e32 v7, 1
	s_mov_b32 s9, exec_lo
	v_cmpx_ne_u16_e32 0x80, v9
	s_cbranch_execz .LBB424_770
; %bb.765:                              ;   in Loop: Header=BB424_707 Depth=1
	v_bfe_u32 v51, v2, 16, 7
	v_mov_b32_e32 v7, 0x7f800001
	s_mov_b32 s12, exec_lo
	s_delay_alu instid0(VALU_DEP_2)
	v_cmpx_ne_u32_e32 0x7f, v51
	s_cbranch_execz .LBB424_769
; %bb.766:                              ;   in Loop: Header=BB424_707 Depth=1
	v_and_b32_e32 v9, 7, v6
	v_lshrrev_b32_e32 v7, 3, v51
	s_mov_b32 s13, exec_lo
	v_cmpx_gt_u32_e32 8, v51
; %bb.767:                              ;   in Loop: Header=BB424_707 Depth=1
	s_delay_alu instid0(VALU_DEP_3) | instskip(NEXT) | instid1(VALU_DEP_1)
	v_clz_i32_u32_e32 v7, v9
	v_min_u32_e32 v7, 32, v7
	s_delay_alu instid0(VALU_DEP_1) | instskip(SKIP_1) | instid1(VALU_DEP_2)
	v_subrev_nc_u32_e32 v51, 28, v7
	v_sub_nc_u32_e32 v7, 29, v7
	v_lshlrev_b64 v[53:54], v51, v[9:10]
	s_delay_alu instid0(VALU_DEP_1)
	v_and_b32_e32 v9, 7, v53
; %bb.768:                              ;   in Loop: Header=BB424_707 Depth=1
	s_or_b32 exec_lo, exec_lo, s13
	v_lshlrev_b32_e32 v6, 24, v6
	s_delay_alu instid0(VALU_DEP_2) | instskip(SKIP_1) | instid1(VALU_DEP_3)
	v_lshlrev_b32_e32 v9, 20, v9
	v_lshl_add_u32 v7, v7, 23, 0x3c000000
	v_and_b32_e32 v6, 0x80000000, v6
	s_delay_alu instid0(VALU_DEP_1)
	v_or3_b32 v7, v9, v6, v7
.LBB424_769:                            ;   in Loop: Header=BB424_707 Depth=1
	s_or_b32 exec_lo, exec_lo, s12
.LBB424_770:                            ;   in Loop: Header=BB424_707 Depth=1
	s_delay_alu instid0(SALU_CYCLE_1)
	s_or_b32 exec_lo, exec_lo, s9
.LBB424_771:                            ;   in Loop: Header=BB424_707 Depth=1
	s_delay_alu instid0(SALU_CYCLE_1) | instskip(NEXT) | instid1(VALU_DEP_1)
	s_or_b32 exec_lo, exec_lo, s0
	v_mul_f32_e32 v6, v26, v7
	s_mov_b32 s0, exec_lo
                                        ; implicit-def: $vgpr53
	s_delay_alu instid0(VALU_DEP_1) | instskip(NEXT) | instid1(VALU_DEP_1)
	v_and_b32_e32 v7, 0x7f800000, v6
	v_cmpx_ne_u32_e32 0x7f800000, v7
	s_xor_b32 s0, exec_lo, s0
; %bb.772:                              ;   in Loop: Header=BB424_707 Depth=1
	v_bfe_u32 v7, v6, 16, 1
	s_delay_alu instid0(VALU_DEP_1)
	v_add3_u32 v53, v6, v7, 0x7fff
                                        ; implicit-def: $vgpr6
; %bb.773:                              ;   in Loop: Header=BB424_707 Depth=1
	s_and_not1_saveexec_b32 s0, s0
; %bb.774:                              ;   in Loop: Header=BB424_707 Depth=1
	v_and_b32_e32 v7, 0xffff, v6
	v_or_b32_e32 v9, 0x10000, v6
	s_delay_alu instid0(VALU_DEP_2) | instskip(NEXT) | instid1(VALU_DEP_2)
	v_cmp_eq_u32_e32 vcc_lo, 0, v7
	v_cndmask_b32_e32 v53, v9, v6, vcc_lo
; %bb.775:                              ;   in Loop: Header=BB424_707 Depth=1
	s_or_b32 exec_lo, exec_lo, s0
	v_mov_b32_e32 v7, 0
	s_mov_b32 s0, exec_lo
	v_cmpx_lt_u32_e32 0xffffff, v2
	s_cbranch_execz .LBB424_783
; %bb.776:                              ;   in Loop: Header=BB424_707 Depth=1
	v_lshrrev_b32_e32 v6, 24, v2
	v_bfrev_b32_e32 v7, 1
	s_mov_b32 s9, exec_lo
	s_delay_alu instid0(VALU_DEP_2)
	v_cmpx_ne_u32_e32 0x80, v6
	s_cbranch_execz .LBB424_782
; %bb.777:                              ;   in Loop: Header=BB424_707 Depth=1
	v_bfe_u32 v51, v2, 24, 7
	v_mov_b32_e32 v7, 0x7f800001
	s_mov_b32 s12, exec_lo
	s_delay_alu instid0(VALU_DEP_2)
	v_cmpx_ne_u32_e32 0x7f, v51
	s_cbranch_execz .LBB424_781
; %bb.778:                              ;   in Loop: Header=BB424_707 Depth=1
	v_and_b32_e32 v9, 7, v6
	v_lshrrev_b32_e32 v7, 3, v51
	s_mov_b32 s13, exec_lo
	v_cmpx_gt_u32_e32 8, v51
; %bb.779:                              ;   in Loop: Header=BB424_707 Depth=1
	s_delay_alu instid0(VALU_DEP_3) | instskip(NEXT) | instid1(VALU_DEP_1)
	v_clz_i32_u32_e32 v7, v9
	v_min_u32_e32 v7, 32, v7
	s_delay_alu instid0(VALU_DEP_1) | instskip(SKIP_1) | instid1(VALU_DEP_2)
	v_subrev_nc_u32_e32 v51, 28, v7
	v_sub_nc_u32_e32 v7, 29, v7
	v_lshlrev_b64 v[54:55], v51, v[9:10]
	s_delay_alu instid0(VALU_DEP_1)
	v_and_b32_e32 v9, 7, v54
; %bb.780:                              ;   in Loop: Header=BB424_707 Depth=1
	s_or_b32 exec_lo, exec_lo, s13
	v_lshlrev_b32_e32 v6, 24, v6
	s_delay_alu instid0(VALU_DEP_2) | instskip(SKIP_1) | instid1(VALU_DEP_3)
	v_lshlrev_b32_e32 v9, 20, v9
	v_lshl_add_u32 v7, v7, 23, 0x3c000000
	v_and_b32_e32 v6, 0x80000000, v6
	s_delay_alu instid0(VALU_DEP_1)
	v_or3_b32 v7, v9, v6, v7
.LBB424_781:                            ;   in Loop: Header=BB424_707 Depth=1
	s_or_b32 exec_lo, exec_lo, s12
.LBB424_782:                            ;   in Loop: Header=BB424_707 Depth=1
	s_delay_alu instid0(SALU_CYCLE_1)
	s_or_b32 exec_lo, exec_lo, s9
.LBB424_783:                            ;   in Loop: Header=BB424_707 Depth=1
	s_delay_alu instid0(SALU_CYCLE_1) | instskip(NEXT) | instid1(VALU_DEP_1)
	s_or_b32 exec_lo, exec_lo, s0
	v_mul_f32_e32 v6, v26, v7
	s_mov_b32 s0, exec_lo
                                        ; implicit-def: $vgpr54
	s_delay_alu instid0(VALU_DEP_1) | instskip(NEXT) | instid1(VALU_DEP_1)
	v_and_b32_e32 v7, 0x7f800000, v6
	v_cmpx_ne_u32_e32 0x7f800000, v7
	s_xor_b32 s0, exec_lo, s0
; %bb.784:                              ;   in Loop: Header=BB424_707 Depth=1
	v_bfe_u32 v7, v6, 16, 1
	s_delay_alu instid0(VALU_DEP_1)
	v_add3_u32 v54, v6, v7, 0x7fff
                                        ; implicit-def: $vgpr6
; %bb.785:                              ;   in Loop: Header=BB424_707 Depth=1
	s_and_not1_saveexec_b32 s0, s0
; %bb.786:                              ;   in Loop: Header=BB424_707 Depth=1
	v_and_b32_e32 v7, 0xffff, v6
	v_or_b32_e32 v9, 0x10000, v6
	s_delay_alu instid0(VALU_DEP_2) | instskip(NEXT) | instid1(VALU_DEP_2)
	v_cmp_eq_u32_e32 vcc_lo, 0, v7
	v_cndmask_b32_e32 v54, v9, v6, vcc_lo
; %bb.787:                              ;   in Loop: Header=BB424_707 Depth=1
	s_or_b32 exec_lo, exec_lo, s0
	v_dual_mov_b32 v6, 0 :: v_dual_and_b32 v7, 0xff, v3
	v_mov_b32_e32 v9, v3
	s_mov_b32 s0, exec_lo
	s_delay_alu instid0(VALU_DEP_2)
	v_cmpx_ne_u16_e32 0, v7
	s_cbranch_execz .LBB424_795
; %bb.788:                              ;   in Loop: Header=BB424_707 Depth=1
	v_bfrev_b32_e32 v6, 1
	s_mov_b32 s9, exec_lo
	v_cmpx_ne_u16_e32 0x80, v7
	s_cbranch_execz .LBB424_794
; %bb.789:                              ;   in Loop: Header=BB424_707 Depth=1
	v_and_b32_e32 v7, 0x7f, v3
	v_mov_b32_e32 v6, 0x7f800001
	s_mov_b32 s12, exec_lo
	s_delay_alu instid0(VALU_DEP_2)
	v_cmpx_ne_u32_e32 0x7f, v7
	s_cbranch_execz .LBB424_793
; %bb.790:                              ;   in Loop: Header=BB424_707 Depth=1
	v_lshrrev_b32_e32 v51, 3, v7
	v_cmp_gt_u32_e32 vcc_lo, 8, v7
	v_dual_mov_b32 v6, v9 :: v_dual_mov_b32 v7, v10
	s_and_saveexec_b32 s13, vcc_lo
; %bb.791:                              ;   in Loop: Header=BB424_707 Depth=1
	v_and_b32_e32 v6, 7, v3
	s_delay_alu instid0(VALU_DEP_1) | instskip(NEXT) | instid1(VALU_DEP_1)
	v_clz_i32_u32_e32 v6, v6
	v_min_u32_e32 v51, 32, v6
	s_delay_alu instid0(VALU_DEP_1) | instskip(SKIP_1) | instid1(VALU_DEP_2)
	v_subrev_nc_u32_e32 v6, 28, v51
	v_sub_nc_u32_e32 v51, 29, v51
	v_lshlrev_b64 v[6:7], v6, v[9:10]
; %bb.792:                              ;   in Loop: Header=BB424_707 Depth=1
	s_or_b32 exec_lo, exec_lo, s13
	s_delay_alu instid0(VALU_DEP_1) | instskip(SKIP_2) | instid1(VALU_DEP_3)
	v_lshlrev_b32_e32 v6, 20, v6
	v_lshlrev_b32_e32 v7, 24, v9
	v_lshl_add_u32 v51, v51, 23, 0x3c000000
	v_and_b32_e32 v6, 0x700000, v6
	s_delay_alu instid0(VALU_DEP_3) | instskip(NEXT) | instid1(VALU_DEP_1)
	v_and_b32_e32 v7, 0x80000000, v7
	v_or3_b32 v6, v6, v7, v51
.LBB424_793:                            ;   in Loop: Header=BB424_707 Depth=1
	s_or_b32 exec_lo, exec_lo, s12
.LBB424_794:                            ;   in Loop: Header=BB424_707 Depth=1
	s_delay_alu instid0(SALU_CYCLE_1)
	s_or_b32 exec_lo, exec_lo, s9
.LBB424_795:                            ;   in Loop: Header=BB424_707 Depth=1
	s_delay_alu instid0(SALU_CYCLE_1) | instskip(NEXT) | instid1(VALU_DEP_1)
	s_or_b32 exec_lo, exec_lo, s0
	v_mul_f32_e32 v6, v26, v6
	s_mov_b32 s0, exec_lo
                                        ; implicit-def: $vgpr55
	s_delay_alu instid0(VALU_DEP_1) | instskip(NEXT) | instid1(VALU_DEP_1)
	v_and_b32_e32 v7, 0x7f800000, v6
	v_cmpx_ne_u32_e32 0x7f800000, v7
	s_xor_b32 s0, exec_lo, s0
; %bb.796:                              ;   in Loop: Header=BB424_707 Depth=1
	v_bfe_u32 v7, v6, 16, 1
	s_delay_alu instid0(VALU_DEP_1)
	v_add3_u32 v55, v6, v7, 0x7fff
                                        ; implicit-def: $vgpr6
; %bb.797:                              ;   in Loop: Header=BB424_707 Depth=1
	s_and_not1_saveexec_b32 s0, s0
; %bb.798:                              ;   in Loop: Header=BB424_707 Depth=1
	v_and_b32_e32 v7, 0xffff, v6
	v_or_b32_e32 v51, 0x10000, v6
	s_delay_alu instid0(VALU_DEP_2) | instskip(NEXT) | instid1(VALU_DEP_2)
	v_cmp_eq_u32_e32 vcc_lo, 0, v7
	v_cndmask_b32_e32 v55, v51, v6, vcc_lo
; %bb.799:                              ;   in Loop: Header=BB424_707 Depth=1
	s_or_b32 exec_lo, exec_lo, s0
	v_lshrrev_b16 v7, 8, v9
	v_mov_b32_e32 v6, 0
	s_mov_b32 s0, exec_lo
	s_delay_alu instid0(VALU_DEP_2)
	v_cmpx_ne_u16_e32 0, v7
	s_cbranch_execz .LBB424_807
; %bb.800:                              ;   in Loop: Header=BB424_707 Depth=1
	v_bfrev_b32_e32 v6, 1
	s_mov_b32 s9, exec_lo
	v_cmpx_ne_u16_e32 0x80, v7
	s_cbranch_execz .LBB424_806
; %bb.801:                              ;   in Loop: Header=BB424_707 Depth=1
	v_and_b32_e32 v7, 0xffff, v7
	v_mov_b32_e32 v6, 0x7f800001
	s_mov_b32 s12, exec_lo
	s_delay_alu instid0(VALU_DEP_2) | instskip(NEXT) | instid1(VALU_DEP_1)
	v_and_b32_e32 v64, 0x7f, v7
	v_cmpx_ne_u32_e32 0x7f, v64
	s_cbranch_execz .LBB424_805
; %bb.802:                              ;   in Loop: Header=BB424_707 Depth=1
	v_dual_mov_b32 v7, v10 :: v_dual_and_b32 v6, 7, v7
	v_lshrrev_b32_e32 v51, 3, v64
	s_mov_b32 s13, exec_lo
	v_cmpx_gt_u32_e32 8, v64
; %bb.803:                              ;   in Loop: Header=BB424_707 Depth=1
	s_delay_alu instid0(VALU_DEP_3) | instskip(NEXT) | instid1(VALU_DEP_1)
	v_clz_i32_u32_e32 v51, v6
	v_min_u32_e32 v51, 32, v51
	s_delay_alu instid0(VALU_DEP_1) | instskip(SKIP_1) | instid1(VALU_DEP_2)
	v_subrev_nc_u32_e32 v64, 28, v51
	v_sub_nc_u32_e32 v51, 29, v51
	v_lshlrev_b64 v[6:7], v64, v[6:7]
	s_delay_alu instid0(VALU_DEP_1)
	v_and_b32_e32 v6, 7, v6
; %bb.804:                              ;   in Loop: Header=BB424_707 Depth=1
	s_or_b32 exec_lo, exec_lo, s13
	v_lshlrev_b32_e32 v7, 16, v9
	s_delay_alu instid0(VALU_DEP_2) | instskip(SKIP_1) | instid1(VALU_DEP_3)
	v_lshlrev_b32_e32 v6, 20, v6
	v_lshl_add_u32 v9, v51, 23, 0x3c000000
	v_and_b32_e32 v7, 0x80000000, v7
	s_delay_alu instid0(VALU_DEP_1)
	v_or3_b32 v6, v6, v7, v9
.LBB424_805:                            ;   in Loop: Header=BB424_707 Depth=1
	s_or_b32 exec_lo, exec_lo, s12
.LBB424_806:                            ;   in Loop: Header=BB424_707 Depth=1
	s_delay_alu instid0(SALU_CYCLE_1)
	s_or_b32 exec_lo, exec_lo, s9
.LBB424_807:                            ;   in Loop: Header=BB424_707 Depth=1
	s_delay_alu instid0(SALU_CYCLE_1) | instskip(NEXT) | instid1(VALU_DEP_1)
	s_or_b32 exec_lo, exec_lo, s0
	v_mul_f32_e32 v7, v26, v6
	s_delay_alu instid0(VALU_DEP_1) | instskip(NEXT) | instid1(VALU_DEP_1)
	v_and_b32_e32 v6, 0x7f800000, v7
	v_cmp_ne_u32_e32 vcc_lo, 0x7f800000, v6
                                        ; implicit-def: $vgpr6
	s_and_saveexec_b32 s0, vcc_lo
	s_delay_alu instid0(SALU_CYCLE_1)
	s_xor_b32 s0, exec_lo, s0
; %bb.808:                              ;   in Loop: Header=BB424_707 Depth=1
	v_bfe_u32 v6, v7, 16, 1
	s_delay_alu instid0(VALU_DEP_1)
	v_add3_u32 v6, v7, v6, 0x7fff
                                        ; implicit-def: $vgpr7
; %bb.809:                              ;   in Loop: Header=BB424_707 Depth=1
	s_and_not1_saveexec_b32 s0, s0
; %bb.810:                              ;   in Loop: Header=BB424_707 Depth=1
	v_and_b32_e32 v6, 0xffff, v7
	v_or_b32_e32 v9, 0x10000, v7
	s_delay_alu instid0(VALU_DEP_2) | instskip(NEXT) | instid1(VALU_DEP_2)
	v_cmp_eq_u32_e32 vcc_lo, 0, v6
	v_cndmask_b32_e32 v6, v9, v7, vcc_lo
; %bb.811:                              ;   in Loop: Header=BB424_707 Depth=1
	s_or_b32 exec_lo, exec_lo, s0
	v_lshrrev_b32_e32 v7, 16, v3
	v_mov_b32_e32 v9, 0
	s_mov_b32 s0, exec_lo
	s_delay_alu instid0(VALU_DEP_2) | instskip(NEXT) | instid1(VALU_DEP_1)
	v_and_b32_e32 v51, 0xff, v7
	v_cmpx_ne_u16_e32 0, v51
	s_cbranch_execz .LBB424_819
; %bb.812:                              ;   in Loop: Header=BB424_707 Depth=1
	v_bfrev_b32_e32 v9, 1
	s_mov_b32 s9, exec_lo
	v_cmpx_ne_u16_e32 0x80, v51
	s_cbranch_execz .LBB424_818
; %bb.813:                              ;   in Loop: Header=BB424_707 Depth=1
	v_bfe_u32 v64, v3, 16, 7
	v_mov_b32_e32 v9, 0x7f800001
	s_mov_b32 s12, exec_lo
	s_delay_alu instid0(VALU_DEP_2)
	v_cmpx_ne_u32_e32 0x7f, v64
	s_cbranch_execz .LBB424_817
; %bb.814:                              ;   in Loop: Header=BB424_707 Depth=1
	v_and_b32_e32 v9, 7, v7
	v_lshrrev_b32_e32 v51, 3, v64
	s_mov_b32 s13, exec_lo
	v_cmpx_gt_u32_e32 8, v64
; %bb.815:                              ;   in Loop: Header=BB424_707 Depth=1
	s_delay_alu instid0(VALU_DEP_3) | instskip(NEXT) | instid1(VALU_DEP_1)
	v_clz_i32_u32_e32 v51, v9
	v_min_u32_e32 v51, 32, v51
	s_delay_alu instid0(VALU_DEP_1) | instskip(SKIP_1) | instid1(VALU_DEP_2)
	v_subrev_nc_u32_e32 v64, 28, v51
	v_sub_nc_u32_e32 v51, 29, v51
	v_lshlrev_b64 v[64:65], v64, v[9:10]
	s_delay_alu instid0(VALU_DEP_1)
	v_and_b32_e32 v9, 7, v64
; %bb.816:                              ;   in Loop: Header=BB424_707 Depth=1
	s_or_b32 exec_lo, exec_lo, s13
	v_lshlrev_b32_e32 v7, 24, v7
	s_delay_alu instid0(VALU_DEP_2) | instskip(SKIP_1) | instid1(VALU_DEP_3)
	v_lshlrev_b32_e32 v9, 20, v9
	v_lshl_add_u32 v51, v51, 23, 0x3c000000
	v_and_b32_e32 v7, 0x80000000, v7
	s_delay_alu instid0(VALU_DEP_1)
	v_or3_b32 v9, v9, v7, v51
.LBB424_817:                            ;   in Loop: Header=BB424_707 Depth=1
	s_or_b32 exec_lo, exec_lo, s12
.LBB424_818:                            ;   in Loop: Header=BB424_707 Depth=1
	s_delay_alu instid0(SALU_CYCLE_1)
	s_or_b32 exec_lo, exec_lo, s9
.LBB424_819:                            ;   in Loop: Header=BB424_707 Depth=1
	s_delay_alu instid0(SALU_CYCLE_1) | instskip(NEXT) | instid1(VALU_DEP_1)
	s_or_b32 exec_lo, exec_lo, s0
	v_mul_f32_e32 v7, v26, v9
	s_mov_b32 s0, exec_lo
                                        ; implicit-def: $vgpr64
	s_delay_alu instid0(VALU_DEP_1) | instskip(NEXT) | instid1(VALU_DEP_1)
	v_and_b32_e32 v9, 0x7f800000, v7
	v_cmpx_ne_u32_e32 0x7f800000, v9
	s_xor_b32 s0, exec_lo, s0
; %bb.820:                              ;   in Loop: Header=BB424_707 Depth=1
	v_bfe_u32 v9, v7, 16, 1
	s_delay_alu instid0(VALU_DEP_1)
	v_add3_u32 v64, v7, v9, 0x7fff
                                        ; implicit-def: $vgpr7
; %bb.821:                              ;   in Loop: Header=BB424_707 Depth=1
	s_and_not1_saveexec_b32 s0, s0
; %bb.822:                              ;   in Loop: Header=BB424_707 Depth=1
	v_and_b32_e32 v9, 0xffff, v7
	v_or_b32_e32 v51, 0x10000, v7
	s_delay_alu instid0(VALU_DEP_2) | instskip(NEXT) | instid1(VALU_DEP_2)
	v_cmp_eq_u32_e32 vcc_lo, 0, v9
	v_cndmask_b32_e32 v64, v51, v7, vcc_lo
; %bb.823:                              ;   in Loop: Header=BB424_707 Depth=1
	s_or_b32 exec_lo, exec_lo, s0
	v_mov_b32_e32 v7, 0
	s_mov_b32 s0, exec_lo
	v_cmpx_lt_u64_e64 s[2:3], v[2:3]
	s_cbranch_execz .LBB424_831
; %bb.824:                              ;   in Loop: Header=BB424_707 Depth=1
	v_lshrrev_b32_e32 v2, 24, v3
	v_bfrev_b32_e32 v7, 1
	s_mov_b32 s9, exec_lo
	s_delay_alu instid0(VALU_DEP_2)
	v_cmpx_ne_u32_e32 0x80, v2
	s_cbranch_execz .LBB424_830
; %bb.825:                              ;   in Loop: Header=BB424_707 Depth=1
	v_bfe_u32 v51, v3, 24, 7
	v_mov_b32_e32 v7, 0x7f800001
	s_mov_b32 s12, exec_lo
	s_delay_alu instid0(VALU_DEP_2)
	v_cmpx_ne_u32_e32 0x7f, v51
	s_cbranch_execz .LBB424_829
; %bb.826:                              ;   in Loop: Header=BB424_707 Depth=1
	v_and_b32_e32 v9, 7, v2
	v_lshrrev_b32_e32 v3, 3, v51
	s_mov_b32 s13, exec_lo
	v_cmpx_gt_u32_e32 8, v51
; %bb.827:                              ;   in Loop: Header=BB424_707 Depth=1
	s_delay_alu instid0(VALU_DEP_3) | instskip(NEXT) | instid1(VALU_DEP_1)
	v_clz_i32_u32_e32 v3, v9
	v_min_u32_e32 v3, 32, v3
	s_delay_alu instid0(VALU_DEP_1) | instskip(SKIP_1) | instid1(VALU_DEP_2)
	v_subrev_nc_u32_e32 v7, 28, v3
	v_sub_nc_u32_e32 v3, 29, v3
	v_lshlrev_b64 v[67:68], v7, v[9:10]
	s_delay_alu instid0(VALU_DEP_1)
	v_and_b32_e32 v9, 7, v67
; %bb.828:                              ;   in Loop: Header=BB424_707 Depth=1
	s_or_b32 exec_lo, exec_lo, s13
	v_lshlrev_b32_e32 v2, 24, v2
	s_delay_alu instid0(VALU_DEP_2) | instskip(SKIP_1) | instid1(VALU_DEP_3)
	v_lshlrev_b32_e32 v7, 20, v9
	v_lshl_add_u32 v3, v3, 23, 0x3c000000
	v_and_b32_e32 v2, 0x80000000, v2
	s_delay_alu instid0(VALU_DEP_1)
	v_or3_b32 v7, v7, v2, v3
.LBB424_829:                            ;   in Loop: Header=BB424_707 Depth=1
	s_or_b32 exec_lo, exec_lo, s12
.LBB424_830:                            ;   in Loop: Header=BB424_707 Depth=1
	s_delay_alu instid0(SALU_CYCLE_1)
	s_or_b32 exec_lo, exec_lo, s9
.LBB424_831:                            ;   in Loop: Header=BB424_707 Depth=1
	s_delay_alu instid0(SALU_CYCLE_1) | instskip(NEXT) | instid1(VALU_DEP_1)
	s_or_b32 exec_lo, exec_lo, s0
	v_mul_f32_e32 v3, v26, v7
	s_delay_alu instid0(VALU_DEP_1) | instskip(NEXT) | instid1(VALU_DEP_1)
	v_and_b32_e32 v2, 0x7f800000, v3
	v_cmp_ne_u32_e32 vcc_lo, 0x7f800000, v2
                                        ; implicit-def: $vgpr2
	s_and_saveexec_b32 s0, vcc_lo
	s_delay_alu instid0(SALU_CYCLE_1)
	s_xor_b32 s0, exec_lo, s0
; %bb.832:                              ;   in Loop: Header=BB424_707 Depth=1
	v_bfe_u32 v2, v3, 16, 1
	s_delay_alu instid0(VALU_DEP_1)
	v_add3_u32 v2, v3, v2, 0x7fff
                                        ; implicit-def: $vgpr3
; %bb.833:                              ;   in Loop: Header=BB424_707 Depth=1
	s_and_not1_saveexec_b32 s0, s0
; %bb.834:                              ;   in Loop: Header=BB424_707 Depth=1
	v_and_b32_e32 v2, 0xffff, v3
	v_or_b32_e32 v7, 0x10000, v3
	s_delay_alu instid0(VALU_DEP_2) | instskip(NEXT) | instid1(VALU_DEP_2)
	v_cmp_eq_u32_e32 vcc_lo, 0, v2
	v_cndmask_b32_e32 v2, v7, v3, vcc_lo
; %bb.835:                              ;   in Loop: Header=BB424_707 Depth=1
	s_or_b32 exec_lo, exec_lo, s0
	v_cmp_eq_u32_e32 vcc_lo, v27, v16
	v_add_nc_u32_e32 v51, -7, v15
	v_lshrrev_b32_e32 v6, 16, v6
	v_lshrrev_b32_e32 v7, 16, v55
	v_lshrrev_b32_e32 v9, 16, v54
	v_lshrrev_b32_e32 v69, 16, v53
	v_lshrrev_b32_e32 v68, 16, v52
	v_lshrrev_b32_e32 v8, 16, v8
	v_lshrrev_b32_e32 v3, 16, v64
	v_lshrrev_b32_e32 v2, 16, v2
	v_add_nc_u32_e32 v65, -6, v15
	v_add_nc_u32_e32 v64, -5, v15
	;; [unrolled: 1-line block ×6, first 2 shown]
	s_and_saveexec_b32 s9, vcc_lo
	s_cbranch_execz .LBB424_837
; %bb.836:                              ;   in Loop: Header=BB424_707 Depth=1
	v_cmp_lt_i32_e64 s0, v51, v33
	s_delay_alu instid0(VALU_DEP_1) | instskip(SKIP_1) | instid1(VALU_DEP_1)
	v_cndmask_b32_e64 v8, 0, v8, s0
	v_cmp_lt_i32_e64 s0, v65, v33
	v_cndmask_b32_e64 v68, 0, v68, s0
	v_cmp_lt_i32_e64 s0, v64, v33
	s_delay_alu instid0(VALU_DEP_1) | instskip(SKIP_1) | instid1(VALU_DEP_1)
	v_cndmask_b32_e64 v69, 0, v69, s0
	v_cmp_lt_i32_e64 s0, v55, v33
	v_cndmask_b32_e64 v9, 0, v9, s0
	;; [unrolled: 5-line block ×4, first 2 shown]
.LBB424_837:                            ;   in Loop: Header=BB424_707 Depth=1
	s_or_b32 exec_lo, exec_lo, s9
	v_and_b32_e32 v66, 0xffff0000, v66
	v_lshlrev_b32_e32 v8, 16, v8
	s_delay_alu instid0(VALU_DEP_1) | instskip(NEXT) | instid1(VALU_DEP_1)
	v_mul_f32_e32 v67, v66, v8
	v_and_b32_e32 v8, 0x7f800000, v67
	s_delay_alu instid0(VALU_DEP_1) | instskip(NEXT) | instid1(VALU_DEP_1)
	v_cmp_ne_u32_e64 s0, 0x7f800000, v8
                                        ; implicit-def: $vgpr8
	s_and_saveexec_b32 s9, s0
	s_delay_alu instid0(SALU_CYCLE_1)
	s_xor_b32 s0, exec_lo, s9
; %bb.838:                              ;   in Loop: Header=BB424_707 Depth=1
	v_bfe_u32 v8, v67, 16, 1
	s_delay_alu instid0(VALU_DEP_1)
	v_add3_u32 v8, v67, v8, 0x7fff
                                        ; implicit-def: $vgpr67
; %bb.839:                              ;   in Loop: Header=BB424_707 Depth=1
	s_and_not1_saveexec_b32 s9, s0
; %bb.840:                              ;   in Loop: Header=BB424_707 Depth=1
	v_and_b32_e32 v8, 0xffff, v67
	v_or_b32_e32 v70, 0x10000, v67
	s_delay_alu instid0(VALU_DEP_2) | instskip(NEXT) | instid1(VALU_DEP_1)
	v_cmp_eq_u32_e64 s0, 0, v8
	v_cndmask_b32_e64 v8, v70, v67, s0
; %bb.841:                              ;   in Loop: Header=BB424_707 Depth=1
	s_or_b32 exec_lo, exec_lo, s9
	v_and_b32_e32 v67, 0xffff0000, v36
	v_lshlrev_b32_e32 v36, 16, v68
	s_delay_alu instid0(VALU_DEP_1) | instskip(NEXT) | instid1(VALU_DEP_1)
	v_mul_f32_e32 v68, v67, v36
	v_and_b32_e32 v36, 0x7f800000, v68
	s_delay_alu instid0(VALU_DEP_1) | instskip(NEXT) | instid1(VALU_DEP_1)
	v_cmp_ne_u32_e64 s0, 0x7f800000, v36
                                        ; implicit-def: $vgpr36
	s_and_saveexec_b32 s9, s0
	s_delay_alu instid0(SALU_CYCLE_1)
	s_xor_b32 s0, exec_lo, s9
; %bb.842:                              ;   in Loop: Header=BB424_707 Depth=1
	v_bfe_u32 v36, v68, 16, 1
	s_delay_alu instid0(VALU_DEP_1)
	v_add3_u32 v36, v68, v36, 0x7fff
                                        ; implicit-def: $vgpr68
; %bb.843:                              ;   in Loop: Header=BB424_707 Depth=1
	s_and_not1_saveexec_b32 s9, s0
; %bb.844:                              ;   in Loop: Header=BB424_707 Depth=1
	v_and_b32_e32 v36, 0xffff, v68
	v_or_b32_e32 v70, 0x10000, v68
	s_delay_alu instid0(VALU_DEP_2) | instskip(NEXT) | instid1(VALU_DEP_1)
	v_cmp_eq_u32_e64 s0, 0, v36
	v_cndmask_b32_e64 v36, v70, v68, s0
; %bb.845:                              ;   in Loop: Header=BB424_707 Depth=1
	s_or_b32 exec_lo, exec_lo, s9
	v_and_b32_e32 v68, 0xffff0000, v37
	v_lshlrev_b32_e32 v37, 16, v69
	s_delay_alu instid0(VALU_DEP_1) | instskip(NEXT) | instid1(VALU_DEP_1)
	v_mul_f32_e32 v69, v68, v37
	v_and_b32_e32 v37, 0x7f800000, v69
	s_delay_alu instid0(VALU_DEP_1) | instskip(NEXT) | instid1(VALU_DEP_1)
	v_cmp_ne_u32_e64 s0, 0x7f800000, v37
                                        ; implicit-def: $vgpr37
	s_and_saveexec_b32 s9, s0
	s_delay_alu instid0(SALU_CYCLE_1)
	s_xor_b32 s0, exec_lo, s9
; %bb.846:                              ;   in Loop: Header=BB424_707 Depth=1
	v_bfe_u32 v37, v69, 16, 1
	s_delay_alu instid0(VALU_DEP_1)
	v_add3_u32 v37, v69, v37, 0x7fff
                                        ; implicit-def: $vgpr69
; %bb.847:                              ;   in Loop: Header=BB424_707 Depth=1
	s_and_not1_saveexec_b32 s9, s0
; %bb.848:                              ;   in Loop: Header=BB424_707 Depth=1
	v_and_b32_e32 v37, 0xffff, v69
	v_or_b32_e32 v70, 0x10000, v69
	s_delay_alu instid0(VALU_DEP_2) | instskip(NEXT) | instid1(VALU_DEP_1)
	v_cmp_eq_u32_e64 s0, 0, v37
	v_cndmask_b32_e64 v37, v70, v69, s0
; %bb.849:                              ;   in Loop: Header=BB424_707 Depth=1
	s_or_b32 exec_lo, exec_lo, s9
	v_and_b32_e32 v69, 0xffff0000, v38
	v_lshlrev_b32_e32 v9, 16, v9
	s_delay_alu instid0(VALU_DEP_1) | instskip(NEXT) | instid1(VALU_DEP_1)
	v_mul_f32_e32 v9, v69, v9
	v_and_b32_e32 v38, 0x7f800000, v9
	s_delay_alu instid0(VALU_DEP_1) | instskip(NEXT) | instid1(VALU_DEP_1)
	v_cmp_ne_u32_e64 s0, 0x7f800000, v38
                                        ; implicit-def: $vgpr38
	s_and_saveexec_b32 s9, s0
	s_delay_alu instid0(SALU_CYCLE_1)
	s_xor_b32 s0, exec_lo, s9
; %bb.850:                              ;   in Loop: Header=BB424_707 Depth=1
	v_bfe_u32 v38, v9, 16, 1
	s_delay_alu instid0(VALU_DEP_1)
	v_add3_u32 v38, v9, v38, 0x7fff
                                        ; implicit-def: $vgpr9
; %bb.851:                              ;   in Loop: Header=BB424_707 Depth=1
	s_and_not1_saveexec_b32 s9, s0
; %bb.852:                              ;   in Loop: Header=BB424_707 Depth=1
	v_and_b32_e32 v38, 0xffff, v9
	v_or_b32_e32 v70, 0x10000, v9
	s_delay_alu instid0(VALU_DEP_2) | instskip(NEXT) | instid1(VALU_DEP_1)
	v_cmp_eq_u32_e64 s0, 0, v38
	v_cndmask_b32_e64 v38, v70, v9, s0
; %bb.853:                              ;   in Loop: Header=BB424_707 Depth=1
	s_or_b32 exec_lo, exec_lo, s9
	v_and_b32_e32 v70, 0xffff0000, v39
	v_lshlrev_b32_e32 v7, 16, v7
                                        ; implicit-def: $vgpr39
	s_delay_alu instid0(VALU_DEP_1) | instskip(NEXT) | instid1(VALU_DEP_1)
	v_mul_f32_e32 v7, v70, v7
	v_and_b32_e32 v9, 0x7f800000, v7
	s_delay_alu instid0(VALU_DEP_1) | instskip(NEXT) | instid1(VALU_DEP_1)
	v_cmp_ne_u32_e64 s0, 0x7f800000, v9
	s_and_saveexec_b32 s9, s0
	s_delay_alu instid0(SALU_CYCLE_1)
	s_xor_b32 s0, exec_lo, s9
; %bb.854:                              ;   in Loop: Header=BB424_707 Depth=1
	v_bfe_u32 v9, v7, 16, 1
	s_delay_alu instid0(VALU_DEP_1)
	v_add3_u32 v39, v7, v9, 0x7fff
                                        ; implicit-def: $vgpr7
; %bb.855:                              ;   in Loop: Header=BB424_707 Depth=1
	s_and_not1_saveexec_b32 s9, s0
; %bb.856:                              ;   in Loop: Header=BB424_707 Depth=1
	v_and_b32_e32 v9, 0xffff, v7
	v_or_b32_e32 v39, 0x10000, v7
	s_delay_alu instid0(VALU_DEP_2) | instskip(NEXT) | instid1(VALU_DEP_1)
	v_cmp_eq_u32_e64 s0, 0, v9
	v_cndmask_b32_e64 v39, v39, v7, s0
; %bb.857:                              ;   in Loop: Header=BB424_707 Depth=1
	s_or_b32 exec_lo, exec_lo, s9
	v_and_b32_e32 v71, 0xffff0000, v48
	v_lshlrev_b32_e32 v6, 16, v6
                                        ; implicit-def: $vgpr48
	s_delay_alu instid0(VALU_DEP_1) | instskip(NEXT) | instid1(VALU_DEP_1)
	v_mul_f32_e32 v6, v71, v6
	v_and_b32_e32 v7, 0x7f800000, v6
	s_delay_alu instid0(VALU_DEP_1) | instskip(NEXT) | instid1(VALU_DEP_1)
	v_cmp_ne_u32_e64 s0, 0x7f800000, v7
	s_and_saveexec_b32 s9, s0
	s_delay_alu instid0(SALU_CYCLE_1)
	s_xor_b32 s0, exec_lo, s9
; %bb.858:                              ;   in Loop: Header=BB424_707 Depth=1
	v_bfe_u32 v7, v6, 16, 1
	s_delay_alu instid0(VALU_DEP_1)
	v_add3_u32 v48, v6, v7, 0x7fff
                                        ; implicit-def: $vgpr6
; %bb.859:                              ;   in Loop: Header=BB424_707 Depth=1
	s_and_not1_saveexec_b32 s9, s0
; %bb.860:                              ;   in Loop: Header=BB424_707 Depth=1
	v_and_b32_e32 v7, 0xffff, v6
	v_or_b32_e32 v9, 0x10000, v6
	s_delay_alu instid0(VALU_DEP_2) | instskip(NEXT) | instid1(VALU_DEP_1)
	v_cmp_eq_u32_e64 s0, 0, v7
	v_cndmask_b32_e64 v48, v9, v6, s0
; %bb.861:                              ;   in Loop: Header=BB424_707 Depth=1
	s_or_b32 exec_lo, exec_lo, s9
	v_and_b32_e32 v80, 0xffff0000, v49
	v_lshlrev_b32_e32 v3, 16, v3
                                        ; implicit-def: $vgpr49
	s_delay_alu instid0(VALU_DEP_1) | instskip(NEXT) | instid1(VALU_DEP_1)
	v_mul_f32_e32 v3, v80, v3
	v_and_b32_e32 v6, 0x7f800000, v3
	s_delay_alu instid0(VALU_DEP_1) | instskip(NEXT) | instid1(VALU_DEP_1)
	v_cmp_ne_u32_e64 s0, 0x7f800000, v6
	s_and_saveexec_b32 s9, s0
	s_delay_alu instid0(SALU_CYCLE_1)
	s_xor_b32 s0, exec_lo, s9
; %bb.862:                              ;   in Loop: Header=BB424_707 Depth=1
	v_bfe_u32 v6, v3, 16, 1
	s_delay_alu instid0(VALU_DEP_1)
	v_add3_u32 v49, v3, v6, 0x7fff
                                        ; implicit-def: $vgpr3
; %bb.863:                              ;   in Loop: Header=BB424_707 Depth=1
	s_and_not1_saveexec_b32 s9, s0
; %bb.864:                              ;   in Loop: Header=BB424_707 Depth=1
	v_and_b32_e32 v6, 0xffff, v3
	v_or_b32_e32 v7, 0x10000, v3
	s_delay_alu instid0(VALU_DEP_2) | instskip(NEXT) | instid1(VALU_DEP_1)
	v_cmp_eq_u32_e64 s0, 0, v6
	v_cndmask_b32_e64 v49, v7, v3, s0
; %bb.865:                              ;   in Loop: Header=BB424_707 Depth=1
	s_or_b32 exec_lo, exec_lo, s9
	v_and_b32_e32 v81, 0xffff0000, v50
	v_lshlrev_b32_e32 v2, 16, v2
                                        ; implicit-def: $vgpr50
	s_delay_alu instid0(VALU_DEP_1) | instskip(NEXT) | instid1(VALU_DEP_1)
	v_mul_f32_e32 v2, v81, v2
	v_and_b32_e32 v3, 0x7f800000, v2
	s_delay_alu instid0(VALU_DEP_1) | instskip(NEXT) | instid1(VALU_DEP_1)
	v_cmp_ne_u32_e64 s0, 0x7f800000, v3
	s_and_saveexec_b32 s9, s0
	s_delay_alu instid0(SALU_CYCLE_1)
	s_xor_b32 s0, exec_lo, s9
; %bb.866:                              ;   in Loop: Header=BB424_707 Depth=1
	v_bfe_u32 v3, v2, 16, 1
	s_delay_alu instid0(VALU_DEP_1)
	v_add3_u32 v50, v2, v3, 0x7fff
                                        ; implicit-def: $vgpr2
; %bb.867:                              ;   in Loop: Header=BB424_707 Depth=1
	s_and_not1_saveexec_b32 s9, s0
; %bb.868:                              ;   in Loop: Header=BB424_707 Depth=1
	v_and_b32_e32 v3, 0xffff, v2
	v_or_b32_e32 v6, 0x10000, v2
	s_delay_alu instid0(VALU_DEP_2) | instskip(NEXT) | instid1(VALU_DEP_1)
	v_cmp_eq_u32_e64 s0, 0, v3
	v_cndmask_b32_e64 v50, v6, v2, s0
; %bb.869:                              ;   in Loop: Header=BB424_707 Depth=1
	s_or_b32 exec_lo, exec_lo, s9
	flat_load_b64 v[2:3], v[0:1] offset:256
	s_mov_b32 s9, exec_lo
	s_waitcnt vmcnt(0) lgkmcnt(0)
	v_dual_mov_b32 v6, 0 :: v_dual_and_b32 v7, 0xff, v2
	s_delay_alu instid0(VALU_DEP_1)
	v_cmpx_ne_u16_e32 0, v7
	s_cbranch_execz .LBB424_877
; %bb.870:                              ;   in Loop: Header=BB424_707 Depth=1
	v_bfrev_b32_e32 v6, 1
	s_mov_b32 s12, exec_lo
	v_cmpx_ne_u16_e32 0x80, v7
	s_cbranch_execz .LBB424_876
; %bb.871:                              ;   in Loop: Header=BB424_707 Depth=1
	v_and_b32_e32 v7, 0x7f, v2
	v_mov_b32_e32 v6, 0x7f800001
	s_mov_b32 s13, exec_lo
	s_delay_alu instid0(VALU_DEP_2)
	v_cmpx_ne_u32_e32 0x7f, v7
	s_cbranch_execz .LBB424_875
; %bb.872:                              ;   in Loop: Header=BB424_707 Depth=1
	v_lshrrev_b32_e32 v9, 3, v7
	v_cmp_gt_u32_e64 s0, 8, v7
	v_dual_mov_b32 v7, v3 :: v_dual_mov_b32 v6, v2
	s_delay_alu instid0(VALU_DEP_2)
	s_and_saveexec_b32 s15, s0
; %bb.873:                              ;   in Loop: Header=BB424_707 Depth=1
	v_and_b32_e32 v6, 7, v2
	s_delay_alu instid0(VALU_DEP_1) | instskip(NEXT) | instid1(VALU_DEP_1)
	v_clz_i32_u32_e32 v6, v6
	v_min_u32_e32 v9, 32, v6
	s_delay_alu instid0(VALU_DEP_1) | instskip(SKIP_1) | instid1(VALU_DEP_2)
	v_subrev_nc_u32_e32 v6, 28, v9
	v_sub_nc_u32_e32 v9, 29, v9
	v_lshlrev_b64 v[6:7], v6, v[2:3]
; %bb.874:                              ;   in Loop: Header=BB424_707 Depth=1
	s_or_b32 exec_lo, exec_lo, s15
	s_delay_alu instid0(VALU_DEP_1) | instskip(SKIP_2) | instid1(VALU_DEP_3)
	v_lshlrev_b32_e32 v6, 20, v6
	v_lshlrev_b32_e32 v7, 24, v2
	v_lshl_add_u32 v9, v9, 23, 0x3c000000
	v_and_b32_e32 v6, 0x700000, v6
	s_delay_alu instid0(VALU_DEP_3) | instskip(NEXT) | instid1(VALU_DEP_1)
	v_and_b32_e32 v7, 0x80000000, v7
	v_or3_b32 v6, v6, v7, v9
.LBB424_875:                            ;   in Loop: Header=BB424_707 Depth=1
	s_or_b32 exec_lo, exec_lo, s13
.LBB424_876:                            ;   in Loop: Header=BB424_707 Depth=1
	s_delay_alu instid0(SALU_CYCLE_1)
	s_or_b32 exec_lo, exec_lo, s12
.LBB424_877:                            ;   in Loop: Header=BB424_707 Depth=1
	s_delay_alu instid0(SALU_CYCLE_1) | instskip(NEXT) | instid1(VALU_DEP_1)
	s_or_b32 exec_lo, exec_lo, s9
	v_mul_f32_e32 v6, v26, v6
                                        ; implicit-def: $vgpr82
	s_delay_alu instid0(VALU_DEP_1) | instskip(NEXT) | instid1(VALU_DEP_1)
	v_and_b32_e32 v7, 0x7f800000, v6
	v_cmp_ne_u32_e64 s0, 0x7f800000, v7
	s_delay_alu instid0(VALU_DEP_1) | instskip(NEXT) | instid1(SALU_CYCLE_1)
	s_and_saveexec_b32 s9, s0
	s_xor_b32 s0, exec_lo, s9
; %bb.878:                              ;   in Loop: Header=BB424_707 Depth=1
	v_bfe_u32 v7, v6, 16, 1
	s_delay_alu instid0(VALU_DEP_1)
	v_add3_u32 v82, v6, v7, 0x7fff
                                        ; implicit-def: $vgpr6
; %bb.879:                              ;   in Loop: Header=BB424_707 Depth=1
	s_and_not1_saveexec_b32 s9, s0
; %bb.880:                              ;   in Loop: Header=BB424_707 Depth=1
	v_and_b32_e32 v7, 0xffff, v6
	v_or_b32_e32 v9, 0x10000, v6
	s_delay_alu instid0(VALU_DEP_2) | instskip(NEXT) | instid1(VALU_DEP_1)
	v_cmp_eq_u32_e64 s0, 0, v7
	v_cndmask_b32_e64 v82, v9, v6, s0
; %bb.881:                              ;   in Loop: Header=BB424_707 Depth=1
	s_or_b32 exec_lo, exec_lo, s9
	v_lshrrev_b16 v7, 8, v2
	v_mov_b32_e32 v6, 0
	s_mov_b32 s9, exec_lo
	s_delay_alu instid0(VALU_DEP_2)
	v_cmpx_ne_u16_e32 0, v7
	s_cbranch_execz .LBB424_889
; %bb.882:                              ;   in Loop: Header=BB424_707 Depth=1
	v_bfrev_b32_e32 v6, 1
	s_mov_b32 s12, exec_lo
	v_cmpx_ne_u16_e32 0x80, v7
	s_cbranch_execz .LBB424_888
; %bb.883:                              ;   in Loop: Header=BB424_707 Depth=1
	v_and_b32_e32 v9, 0xffff, v7
	v_mov_b32_e32 v6, 0x7f800001
	s_mov_b32 s13, exec_lo
	s_delay_alu instid0(VALU_DEP_2) | instskip(NEXT) | instid1(VALU_DEP_1)
	v_and_b32_e32 v7, 0x7f, v9
	v_cmpx_ne_u32_e32 0x7f, v7
	s_cbranch_execz .LBB424_887
; %bb.884:                              ;   in Loop: Header=BB424_707 Depth=1
	v_and_b32_e32 v9, 7, v9
	v_lshrrev_b32_e32 v6, 3, v7
	s_mov_b32 s15, exec_lo
	v_cmpx_gt_u32_e32 8, v7
; %bb.885:                              ;   in Loop: Header=BB424_707 Depth=1
	s_delay_alu instid0(VALU_DEP_3) | instskip(NEXT) | instid1(VALU_DEP_1)
	v_clz_i32_u32_e32 v6, v9
	v_min_u32_e32 v6, 32, v6
	s_delay_alu instid0(VALU_DEP_1) | instskip(SKIP_1) | instid1(VALU_DEP_2)
	v_subrev_nc_u32_e32 v7, 28, v6
	v_sub_nc_u32_e32 v6, 29, v6
	v_lshlrev_b64 v[83:84], v7, v[9:10]
	s_delay_alu instid0(VALU_DEP_1)
	v_and_b32_e32 v9, 7, v83
; %bb.886:                              ;   in Loop: Header=BB424_707 Depth=1
	s_or_b32 exec_lo, exec_lo, s15
	v_lshlrev_b32_e32 v7, 16, v2
	s_delay_alu instid0(VALU_DEP_2) | instskip(SKIP_1) | instid1(VALU_DEP_3)
	v_lshlrev_b32_e32 v9, 20, v9
	v_lshl_add_u32 v6, v6, 23, 0x3c000000
	v_and_b32_e32 v7, 0x80000000, v7
	s_delay_alu instid0(VALU_DEP_1)
	v_or3_b32 v6, v9, v7, v6
.LBB424_887:                            ;   in Loop: Header=BB424_707 Depth=1
	s_or_b32 exec_lo, exec_lo, s13
.LBB424_888:                            ;   in Loop: Header=BB424_707 Depth=1
	s_delay_alu instid0(SALU_CYCLE_1)
	s_or_b32 exec_lo, exec_lo, s12
.LBB424_889:                            ;   in Loop: Header=BB424_707 Depth=1
	s_delay_alu instid0(SALU_CYCLE_1) | instskip(NEXT) | instid1(VALU_DEP_1)
	s_or_b32 exec_lo, exec_lo, s9
	v_mul_f32_e32 v6, v26, v6
                                        ; implicit-def: $vgpr83
	s_delay_alu instid0(VALU_DEP_1) | instskip(NEXT) | instid1(VALU_DEP_1)
	v_and_b32_e32 v7, 0x7f800000, v6
	v_cmp_ne_u32_e64 s0, 0x7f800000, v7
	s_delay_alu instid0(VALU_DEP_1) | instskip(NEXT) | instid1(SALU_CYCLE_1)
	s_and_saveexec_b32 s9, s0
	s_xor_b32 s0, exec_lo, s9
; %bb.890:                              ;   in Loop: Header=BB424_707 Depth=1
	v_bfe_u32 v7, v6, 16, 1
	s_delay_alu instid0(VALU_DEP_1)
	v_add3_u32 v83, v6, v7, 0x7fff
                                        ; implicit-def: $vgpr6
; %bb.891:                              ;   in Loop: Header=BB424_707 Depth=1
	s_and_not1_saveexec_b32 s9, s0
; %bb.892:                              ;   in Loop: Header=BB424_707 Depth=1
	v_and_b32_e32 v7, 0xffff, v6
	v_or_b32_e32 v9, 0x10000, v6
	s_delay_alu instid0(VALU_DEP_2) | instskip(NEXT) | instid1(VALU_DEP_1)
	v_cmp_eq_u32_e64 s0, 0, v7
	v_cndmask_b32_e64 v83, v9, v6, s0
; %bb.893:                              ;   in Loop: Header=BB424_707 Depth=1
	s_or_b32 exec_lo, exec_lo, s9
	v_lshrrev_b32_e32 v6, 16, v2
	v_mov_b32_e32 v7, 0
	s_mov_b32 s9, exec_lo
	s_delay_alu instid0(VALU_DEP_2) | instskip(NEXT) | instid1(VALU_DEP_1)
	v_and_b32_e32 v9, 0xff, v6
	v_cmpx_ne_u16_e32 0, v9
	s_cbranch_execz .LBB424_901
; %bb.894:                              ;   in Loop: Header=BB424_707 Depth=1
	v_bfrev_b32_e32 v7, 1
	s_mov_b32 s12, exec_lo
	v_cmpx_ne_u16_e32 0x80, v9
	s_cbranch_execz .LBB424_900
; %bb.895:                              ;   in Loop: Header=BB424_707 Depth=1
	v_bfe_u32 v84, v2, 16, 7
	v_mov_b32_e32 v7, 0x7f800001
	s_mov_b32 s13, exec_lo
	s_delay_alu instid0(VALU_DEP_2)
	v_cmpx_ne_u32_e32 0x7f, v84
	s_cbranch_execz .LBB424_899
; %bb.896:                              ;   in Loop: Header=BB424_707 Depth=1
	v_and_b32_e32 v9, 7, v6
	v_lshrrev_b32_e32 v7, 3, v84
	s_mov_b32 s15, exec_lo
	v_cmpx_gt_u32_e32 8, v84
; %bb.897:                              ;   in Loop: Header=BB424_707 Depth=1
	s_delay_alu instid0(VALU_DEP_3) | instskip(NEXT) | instid1(VALU_DEP_1)
	v_clz_i32_u32_e32 v7, v9
	v_min_u32_e32 v7, 32, v7
	s_delay_alu instid0(VALU_DEP_1) | instskip(SKIP_1) | instid1(VALU_DEP_2)
	v_subrev_nc_u32_e32 v84, 28, v7
	v_sub_nc_u32_e32 v7, 29, v7
	v_lshlrev_b64 v[84:85], v84, v[9:10]
	s_delay_alu instid0(VALU_DEP_1)
	v_and_b32_e32 v9, 7, v84
; %bb.898:                              ;   in Loop: Header=BB424_707 Depth=1
	s_or_b32 exec_lo, exec_lo, s15
	v_lshlrev_b32_e32 v6, 24, v6
	s_delay_alu instid0(VALU_DEP_2) | instskip(SKIP_1) | instid1(VALU_DEP_3)
	v_lshlrev_b32_e32 v9, 20, v9
	v_lshl_add_u32 v7, v7, 23, 0x3c000000
	v_and_b32_e32 v6, 0x80000000, v6
	s_delay_alu instid0(VALU_DEP_1)
	v_or3_b32 v7, v9, v6, v7
.LBB424_899:                            ;   in Loop: Header=BB424_707 Depth=1
	s_or_b32 exec_lo, exec_lo, s13
.LBB424_900:                            ;   in Loop: Header=BB424_707 Depth=1
	s_delay_alu instid0(SALU_CYCLE_1)
	s_or_b32 exec_lo, exec_lo, s12
.LBB424_901:                            ;   in Loop: Header=BB424_707 Depth=1
	s_delay_alu instid0(SALU_CYCLE_1) | instskip(NEXT) | instid1(VALU_DEP_1)
	s_or_b32 exec_lo, exec_lo, s9
	v_mul_f32_e32 v6, v26, v7
                                        ; implicit-def: $vgpr84
	s_delay_alu instid0(VALU_DEP_1) | instskip(NEXT) | instid1(VALU_DEP_1)
	v_and_b32_e32 v7, 0x7f800000, v6
	v_cmp_ne_u32_e64 s0, 0x7f800000, v7
	s_delay_alu instid0(VALU_DEP_1) | instskip(NEXT) | instid1(SALU_CYCLE_1)
	s_and_saveexec_b32 s9, s0
	s_xor_b32 s0, exec_lo, s9
; %bb.902:                              ;   in Loop: Header=BB424_707 Depth=1
	v_bfe_u32 v7, v6, 16, 1
	s_delay_alu instid0(VALU_DEP_1)
	v_add3_u32 v84, v6, v7, 0x7fff
                                        ; implicit-def: $vgpr6
; %bb.903:                              ;   in Loop: Header=BB424_707 Depth=1
	s_and_not1_saveexec_b32 s9, s0
; %bb.904:                              ;   in Loop: Header=BB424_707 Depth=1
	v_and_b32_e32 v7, 0xffff, v6
	v_or_b32_e32 v9, 0x10000, v6
	s_delay_alu instid0(VALU_DEP_2) | instskip(NEXT) | instid1(VALU_DEP_1)
	v_cmp_eq_u32_e64 s0, 0, v7
	v_cndmask_b32_e64 v84, v9, v6, s0
; %bb.905:                              ;   in Loop: Header=BB424_707 Depth=1
	s_or_b32 exec_lo, exec_lo, s9
	v_mov_b32_e32 v7, 0
	s_mov_b32 s9, exec_lo
	v_cmpx_lt_u32_e32 0xffffff, v2
	s_cbranch_execz .LBB424_913
; %bb.906:                              ;   in Loop: Header=BB424_707 Depth=1
	v_lshrrev_b32_e32 v6, 24, v2
	v_bfrev_b32_e32 v7, 1
	s_mov_b32 s12, exec_lo
	s_delay_alu instid0(VALU_DEP_2)
	v_cmpx_ne_u32_e32 0x80, v6
	s_cbranch_execz .LBB424_912
; %bb.907:                              ;   in Loop: Header=BB424_707 Depth=1
	v_bfe_u32 v85, v2, 24, 7
	v_mov_b32_e32 v7, 0x7f800001
	s_mov_b32 s13, exec_lo
	s_delay_alu instid0(VALU_DEP_2)
	v_cmpx_ne_u32_e32 0x7f, v85
	s_cbranch_execz .LBB424_911
; %bb.908:                              ;   in Loop: Header=BB424_707 Depth=1
	v_and_b32_e32 v9, 7, v6
	v_lshrrev_b32_e32 v7, 3, v85
	s_mov_b32 s15, exec_lo
	v_cmpx_gt_u32_e32 8, v85
; %bb.909:                              ;   in Loop: Header=BB424_707 Depth=1
	s_delay_alu instid0(VALU_DEP_3) | instskip(NEXT) | instid1(VALU_DEP_1)
	v_clz_i32_u32_e32 v7, v9
	v_min_u32_e32 v7, 32, v7
	s_delay_alu instid0(VALU_DEP_1) | instskip(SKIP_1) | instid1(VALU_DEP_2)
	v_subrev_nc_u32_e32 v85, 28, v7
	v_sub_nc_u32_e32 v7, 29, v7
	v_lshlrev_b64 v[85:86], v85, v[9:10]
	s_delay_alu instid0(VALU_DEP_1)
	v_and_b32_e32 v9, 7, v85
; %bb.910:                              ;   in Loop: Header=BB424_707 Depth=1
	s_or_b32 exec_lo, exec_lo, s15
	v_lshlrev_b32_e32 v6, 24, v6
	s_delay_alu instid0(VALU_DEP_2) | instskip(SKIP_1) | instid1(VALU_DEP_3)
	v_lshlrev_b32_e32 v9, 20, v9
	v_lshl_add_u32 v7, v7, 23, 0x3c000000
	v_and_b32_e32 v6, 0x80000000, v6
	s_delay_alu instid0(VALU_DEP_1)
	v_or3_b32 v7, v9, v6, v7
.LBB424_911:                            ;   in Loop: Header=BB424_707 Depth=1
	s_or_b32 exec_lo, exec_lo, s13
.LBB424_912:                            ;   in Loop: Header=BB424_707 Depth=1
	s_delay_alu instid0(SALU_CYCLE_1)
	s_or_b32 exec_lo, exec_lo, s12
.LBB424_913:                            ;   in Loop: Header=BB424_707 Depth=1
	s_delay_alu instid0(SALU_CYCLE_1) | instskip(NEXT) | instid1(VALU_DEP_1)
	s_or_b32 exec_lo, exec_lo, s9
	v_mul_f32_e32 v6, v26, v7
                                        ; implicit-def: $vgpr85
	s_delay_alu instid0(VALU_DEP_1) | instskip(NEXT) | instid1(VALU_DEP_1)
	v_and_b32_e32 v7, 0x7f800000, v6
	v_cmp_ne_u32_e64 s0, 0x7f800000, v7
	s_delay_alu instid0(VALU_DEP_1) | instskip(NEXT) | instid1(SALU_CYCLE_1)
	s_and_saveexec_b32 s9, s0
	s_xor_b32 s0, exec_lo, s9
; %bb.914:                              ;   in Loop: Header=BB424_707 Depth=1
	v_bfe_u32 v7, v6, 16, 1
	s_delay_alu instid0(VALU_DEP_1)
	v_add3_u32 v85, v6, v7, 0x7fff
                                        ; implicit-def: $vgpr6
; %bb.915:                              ;   in Loop: Header=BB424_707 Depth=1
	s_and_not1_saveexec_b32 s9, s0
; %bb.916:                              ;   in Loop: Header=BB424_707 Depth=1
	v_and_b32_e32 v7, 0xffff, v6
	v_or_b32_e32 v9, 0x10000, v6
	s_delay_alu instid0(VALU_DEP_2) | instskip(NEXT) | instid1(VALU_DEP_1)
	v_cmp_eq_u32_e64 s0, 0, v7
	v_cndmask_b32_e64 v85, v9, v6, s0
; %bb.917:                              ;   in Loop: Header=BB424_707 Depth=1
	s_or_b32 exec_lo, exec_lo, s9
	v_dual_mov_b32 v6, 0 :: v_dual_and_b32 v7, 0xff, v3
	v_mov_b32_e32 v9, v3
	s_mov_b32 s9, exec_lo
	s_delay_alu instid0(VALU_DEP_2)
	v_cmpx_ne_u16_e32 0, v7
	s_cbranch_execz .LBB424_925
; %bb.918:                              ;   in Loop: Header=BB424_707 Depth=1
	v_bfrev_b32_e32 v6, 1
	s_mov_b32 s12, exec_lo
	v_cmpx_ne_u16_e32 0x80, v7
	s_cbranch_execz .LBB424_924
; %bb.919:                              ;   in Loop: Header=BB424_707 Depth=1
	v_and_b32_e32 v7, 0x7f, v3
	v_mov_b32_e32 v6, 0x7f800001
	s_mov_b32 s13, exec_lo
	s_delay_alu instid0(VALU_DEP_2)
	v_cmpx_ne_u32_e32 0x7f, v7
	s_cbranch_execz .LBB424_923
; %bb.920:                              ;   in Loop: Header=BB424_707 Depth=1
	v_lshrrev_b32_e32 v86, 3, v7
	v_cmp_gt_u32_e64 s0, 8, v7
	v_dual_mov_b32 v6, v9 :: v_dual_mov_b32 v7, v10
	s_delay_alu instid0(VALU_DEP_2)
	s_and_saveexec_b32 s15, s0
; %bb.921:                              ;   in Loop: Header=BB424_707 Depth=1
	v_and_b32_e32 v6, 7, v3
	s_delay_alu instid0(VALU_DEP_1) | instskip(NEXT) | instid1(VALU_DEP_1)
	v_clz_i32_u32_e32 v6, v6
	v_min_u32_e32 v86, 32, v6
	s_delay_alu instid0(VALU_DEP_1) | instskip(SKIP_1) | instid1(VALU_DEP_2)
	v_subrev_nc_u32_e32 v6, 28, v86
	v_sub_nc_u32_e32 v86, 29, v86
	v_lshlrev_b64 v[6:7], v6, v[9:10]
; %bb.922:                              ;   in Loop: Header=BB424_707 Depth=1
	s_or_b32 exec_lo, exec_lo, s15
	s_delay_alu instid0(VALU_DEP_1) | instskip(SKIP_2) | instid1(VALU_DEP_3)
	v_lshlrev_b32_e32 v6, 20, v6
	v_lshlrev_b32_e32 v7, 24, v9
	v_lshl_add_u32 v86, v86, 23, 0x3c000000
	v_and_b32_e32 v6, 0x700000, v6
	s_delay_alu instid0(VALU_DEP_3) | instskip(NEXT) | instid1(VALU_DEP_1)
	v_and_b32_e32 v7, 0x80000000, v7
	v_or3_b32 v6, v6, v7, v86
.LBB424_923:                            ;   in Loop: Header=BB424_707 Depth=1
	s_or_b32 exec_lo, exec_lo, s13
.LBB424_924:                            ;   in Loop: Header=BB424_707 Depth=1
	s_delay_alu instid0(SALU_CYCLE_1)
	s_or_b32 exec_lo, exec_lo, s12
.LBB424_925:                            ;   in Loop: Header=BB424_707 Depth=1
	s_delay_alu instid0(SALU_CYCLE_1) | instskip(NEXT) | instid1(VALU_DEP_1)
	s_or_b32 exec_lo, exec_lo, s9
	v_mul_f32_e32 v6, v26, v6
                                        ; implicit-def: $vgpr86
	s_delay_alu instid0(VALU_DEP_1) | instskip(NEXT) | instid1(VALU_DEP_1)
	v_and_b32_e32 v7, 0x7f800000, v6
	v_cmp_ne_u32_e64 s0, 0x7f800000, v7
	s_delay_alu instid0(VALU_DEP_1) | instskip(NEXT) | instid1(SALU_CYCLE_1)
	s_and_saveexec_b32 s9, s0
	s_xor_b32 s0, exec_lo, s9
; %bb.926:                              ;   in Loop: Header=BB424_707 Depth=1
	v_bfe_u32 v7, v6, 16, 1
	s_delay_alu instid0(VALU_DEP_1)
	v_add3_u32 v86, v6, v7, 0x7fff
                                        ; implicit-def: $vgpr6
; %bb.927:                              ;   in Loop: Header=BB424_707 Depth=1
	s_and_not1_saveexec_b32 s9, s0
; %bb.928:                              ;   in Loop: Header=BB424_707 Depth=1
	v_and_b32_e32 v7, 0xffff, v6
	v_or_b32_e32 v86, 0x10000, v6
	s_delay_alu instid0(VALU_DEP_2) | instskip(NEXT) | instid1(VALU_DEP_1)
	v_cmp_eq_u32_e64 s0, 0, v7
	v_cndmask_b32_e64 v86, v86, v6, s0
; %bb.929:                              ;   in Loop: Header=BB424_707 Depth=1
	s_or_b32 exec_lo, exec_lo, s9
	v_lshrrev_b16 v7, 8, v9
	v_mov_b32_e32 v6, 0
	s_mov_b32 s9, exec_lo
	s_delay_alu instid0(VALU_DEP_2)
	v_cmpx_ne_u16_e32 0, v7
	s_cbranch_execz .LBB424_937
; %bb.930:                              ;   in Loop: Header=BB424_707 Depth=1
	v_bfrev_b32_e32 v6, 1
	s_mov_b32 s12, exec_lo
	v_cmpx_ne_u16_e32 0x80, v7
	s_cbranch_execz .LBB424_936
; %bb.931:                              ;   in Loop: Header=BB424_707 Depth=1
	v_and_b32_e32 v7, 0xffff, v7
	v_mov_b32_e32 v6, 0x7f800001
	s_mov_b32 s13, exec_lo
	s_delay_alu instid0(VALU_DEP_2) | instskip(NEXT) | instid1(VALU_DEP_1)
	v_and_b32_e32 v96, 0x7f, v7
	v_cmpx_ne_u32_e32 0x7f, v96
	s_cbranch_execz .LBB424_935
; %bb.932:                              ;   in Loop: Header=BB424_707 Depth=1
	v_dual_mov_b32 v7, v10 :: v_dual_and_b32 v6, 7, v7
	v_lshrrev_b32_e32 v87, 3, v96
	s_mov_b32 s15, exec_lo
	v_cmpx_gt_u32_e32 8, v96
; %bb.933:                              ;   in Loop: Header=BB424_707 Depth=1
	s_delay_alu instid0(VALU_DEP_3) | instskip(NEXT) | instid1(VALU_DEP_1)
	v_clz_i32_u32_e32 v87, v6
	v_min_u32_e32 v87, 32, v87
	s_delay_alu instid0(VALU_DEP_1) | instskip(SKIP_1) | instid1(VALU_DEP_2)
	v_subrev_nc_u32_e32 v96, 28, v87
	v_sub_nc_u32_e32 v87, 29, v87
	v_lshlrev_b64 v[6:7], v96, v[6:7]
	s_delay_alu instid0(VALU_DEP_1)
	v_and_b32_e32 v6, 7, v6
; %bb.934:                              ;   in Loop: Header=BB424_707 Depth=1
	s_or_b32 exec_lo, exec_lo, s15
	v_lshlrev_b32_e32 v7, 16, v9
	s_delay_alu instid0(VALU_DEP_2) | instskip(SKIP_1) | instid1(VALU_DEP_3)
	v_lshlrev_b32_e32 v6, 20, v6
	v_lshl_add_u32 v9, v87, 23, 0x3c000000
	v_and_b32_e32 v7, 0x80000000, v7
	s_delay_alu instid0(VALU_DEP_1)
	v_or3_b32 v6, v6, v7, v9
.LBB424_935:                            ;   in Loop: Header=BB424_707 Depth=1
	s_or_b32 exec_lo, exec_lo, s13
.LBB424_936:                            ;   in Loop: Header=BB424_707 Depth=1
	s_delay_alu instid0(SALU_CYCLE_1)
	s_or_b32 exec_lo, exec_lo, s12
.LBB424_937:                            ;   in Loop: Header=BB424_707 Depth=1
	s_delay_alu instid0(SALU_CYCLE_1) | instskip(NEXT) | instid1(VALU_DEP_1)
	s_or_b32 exec_lo, exec_lo, s9
	v_mul_f32_e32 v7, v26, v6
	s_delay_alu instid0(VALU_DEP_1) | instskip(NEXT) | instid1(VALU_DEP_1)
	v_and_b32_e32 v6, 0x7f800000, v7
	v_cmp_ne_u32_e64 s0, 0x7f800000, v6
                                        ; implicit-def: $vgpr6
	s_delay_alu instid0(VALU_DEP_1) | instskip(NEXT) | instid1(SALU_CYCLE_1)
	s_and_saveexec_b32 s9, s0
	s_xor_b32 s0, exec_lo, s9
; %bb.938:                              ;   in Loop: Header=BB424_707 Depth=1
	v_bfe_u32 v6, v7, 16, 1
	s_delay_alu instid0(VALU_DEP_1)
	v_add3_u32 v6, v7, v6, 0x7fff
                                        ; implicit-def: $vgpr7
; %bb.939:                              ;   in Loop: Header=BB424_707 Depth=1
	s_and_not1_saveexec_b32 s9, s0
; %bb.940:                              ;   in Loop: Header=BB424_707 Depth=1
	v_and_b32_e32 v6, 0xffff, v7
	v_or_b32_e32 v9, 0x10000, v7
	s_delay_alu instid0(VALU_DEP_2) | instskip(NEXT) | instid1(VALU_DEP_1)
	v_cmp_eq_u32_e64 s0, 0, v6
	v_cndmask_b32_e64 v6, v9, v7, s0
; %bb.941:                              ;   in Loop: Header=BB424_707 Depth=1
	s_or_b32 exec_lo, exec_lo, s9
	v_lshrrev_b32_e32 v7, 16, v3
	v_mov_b32_e32 v9, 0
	s_mov_b32 s9, exec_lo
	s_delay_alu instid0(VALU_DEP_2) | instskip(NEXT) | instid1(VALU_DEP_1)
	v_and_b32_e32 v87, 0xff, v7
	v_cmpx_ne_u16_e32 0, v87
	s_cbranch_execz .LBB424_949
; %bb.942:                              ;   in Loop: Header=BB424_707 Depth=1
	v_bfrev_b32_e32 v9, 1
	s_mov_b32 s12, exec_lo
	v_cmpx_ne_u16_e32 0x80, v87
	s_cbranch_execz .LBB424_948
; %bb.943:                              ;   in Loop: Header=BB424_707 Depth=1
	v_bfe_u32 v96, v3, 16, 7
	v_mov_b32_e32 v9, 0x7f800001
	s_mov_b32 s13, exec_lo
	s_delay_alu instid0(VALU_DEP_2)
	v_cmpx_ne_u32_e32 0x7f, v96
	s_cbranch_execz .LBB424_947
; %bb.944:                              ;   in Loop: Header=BB424_707 Depth=1
	v_and_b32_e32 v9, 7, v7
	v_lshrrev_b32_e32 v87, 3, v96
	s_mov_b32 s15, exec_lo
	v_cmpx_gt_u32_e32 8, v96
; %bb.945:                              ;   in Loop: Header=BB424_707 Depth=1
	s_delay_alu instid0(VALU_DEP_3) | instskip(NEXT) | instid1(VALU_DEP_1)
	v_clz_i32_u32_e32 v87, v9
	v_min_u32_e32 v87, 32, v87
	s_delay_alu instid0(VALU_DEP_1) | instskip(SKIP_1) | instid1(VALU_DEP_2)
	v_subrev_nc_u32_e32 v96, 28, v87
	v_sub_nc_u32_e32 v87, 29, v87
	v_lshlrev_b64 v[96:97], v96, v[9:10]
	s_delay_alu instid0(VALU_DEP_1)
	v_and_b32_e32 v9, 7, v96
; %bb.946:                              ;   in Loop: Header=BB424_707 Depth=1
	s_or_b32 exec_lo, exec_lo, s15
	v_lshlrev_b32_e32 v7, 24, v7
	s_delay_alu instid0(VALU_DEP_2) | instskip(SKIP_1) | instid1(VALU_DEP_3)
	v_lshlrev_b32_e32 v9, 20, v9
	v_lshl_add_u32 v87, v87, 23, 0x3c000000
	v_and_b32_e32 v7, 0x80000000, v7
	s_delay_alu instid0(VALU_DEP_1)
	v_or3_b32 v9, v9, v7, v87
.LBB424_947:                            ;   in Loop: Header=BB424_707 Depth=1
	s_or_b32 exec_lo, exec_lo, s13
.LBB424_948:                            ;   in Loop: Header=BB424_707 Depth=1
	s_delay_alu instid0(SALU_CYCLE_1)
	s_or_b32 exec_lo, exec_lo, s12
.LBB424_949:                            ;   in Loop: Header=BB424_707 Depth=1
	s_delay_alu instid0(SALU_CYCLE_1) | instskip(NEXT) | instid1(VALU_DEP_1)
	s_or_b32 exec_lo, exec_lo, s9
	v_mul_f32_e32 v7, v26, v9
                                        ; implicit-def: $vgpr87
	s_delay_alu instid0(VALU_DEP_1) | instskip(NEXT) | instid1(VALU_DEP_1)
	v_and_b32_e32 v9, 0x7f800000, v7
	v_cmp_ne_u32_e64 s0, 0x7f800000, v9
	s_delay_alu instid0(VALU_DEP_1) | instskip(NEXT) | instid1(SALU_CYCLE_1)
	s_and_saveexec_b32 s9, s0
	s_xor_b32 s0, exec_lo, s9
; %bb.950:                              ;   in Loop: Header=BB424_707 Depth=1
	v_bfe_u32 v9, v7, 16, 1
	s_delay_alu instid0(VALU_DEP_1)
	v_add3_u32 v87, v7, v9, 0x7fff
                                        ; implicit-def: $vgpr7
; %bb.951:                              ;   in Loop: Header=BB424_707 Depth=1
	s_and_not1_saveexec_b32 s9, s0
; %bb.952:                              ;   in Loop: Header=BB424_707 Depth=1
	v_and_b32_e32 v9, 0xffff, v7
	v_or_b32_e32 v87, 0x10000, v7
	s_delay_alu instid0(VALU_DEP_2) | instskip(NEXT) | instid1(VALU_DEP_1)
	v_cmp_eq_u32_e64 s0, 0, v9
	v_cndmask_b32_e64 v87, v87, v7, s0
; %bb.953:                              ;   in Loop: Header=BB424_707 Depth=1
	s_or_b32 exec_lo, exec_lo, s9
	v_mov_b32_e32 v7, 0
	s_mov_b32 s9, exec_lo
	v_cmpx_lt_u64_e64 s[2:3], v[2:3]
	s_cbranch_execz .LBB424_961
; %bb.954:                              ;   in Loop: Header=BB424_707 Depth=1
	v_lshrrev_b32_e32 v2, 24, v3
	v_bfrev_b32_e32 v7, 1
	s_mov_b32 s12, exec_lo
	s_delay_alu instid0(VALU_DEP_2)
	v_cmpx_ne_u32_e32 0x80, v2
	s_cbranch_execz .LBB424_960
; %bb.955:                              ;   in Loop: Header=BB424_707 Depth=1
	v_bfe_u32 v96, v3, 24, 7
	v_mov_b32_e32 v7, 0x7f800001
	s_mov_b32 s13, exec_lo
	s_delay_alu instid0(VALU_DEP_2)
	v_cmpx_ne_u32_e32 0x7f, v96
	s_cbranch_execz .LBB424_959
; %bb.956:                              ;   in Loop: Header=BB424_707 Depth=1
	v_and_b32_e32 v9, 7, v2
	v_lshrrev_b32_e32 v3, 3, v96
	s_mov_b32 s15, exec_lo
	v_cmpx_gt_u32_e32 8, v96
; %bb.957:                              ;   in Loop: Header=BB424_707 Depth=1
	s_delay_alu instid0(VALU_DEP_3) | instskip(NEXT) | instid1(VALU_DEP_1)
	v_clz_i32_u32_e32 v3, v9
	v_min_u32_e32 v3, 32, v3
	s_delay_alu instid0(VALU_DEP_1) | instskip(SKIP_1) | instid1(VALU_DEP_2)
	v_subrev_nc_u32_e32 v7, 28, v3
	v_sub_nc_u32_e32 v3, 29, v3
	v_lshlrev_b64 v[96:97], v7, v[9:10]
	s_delay_alu instid0(VALU_DEP_1)
	v_and_b32_e32 v9, 7, v96
; %bb.958:                              ;   in Loop: Header=BB424_707 Depth=1
	s_or_b32 exec_lo, exec_lo, s15
	v_lshlrev_b32_e32 v2, 24, v2
	s_delay_alu instid0(VALU_DEP_2) | instskip(SKIP_1) | instid1(VALU_DEP_3)
	v_lshlrev_b32_e32 v7, 20, v9
	v_lshl_add_u32 v3, v3, 23, 0x3c000000
	v_and_b32_e32 v2, 0x80000000, v2
	s_delay_alu instid0(VALU_DEP_1)
	v_or3_b32 v7, v7, v2, v3
.LBB424_959:                            ;   in Loop: Header=BB424_707 Depth=1
	s_or_b32 exec_lo, exec_lo, s13
.LBB424_960:                            ;   in Loop: Header=BB424_707 Depth=1
	s_delay_alu instid0(SALU_CYCLE_1)
	s_or_b32 exec_lo, exec_lo, s12
.LBB424_961:                            ;   in Loop: Header=BB424_707 Depth=1
	s_delay_alu instid0(SALU_CYCLE_1) | instskip(NEXT) | instid1(VALU_DEP_1)
	s_or_b32 exec_lo, exec_lo, s9
	v_mul_f32_e32 v3, v26, v7
	s_delay_alu instid0(VALU_DEP_1) | instskip(NEXT) | instid1(VALU_DEP_1)
	v_and_b32_e32 v2, 0x7f800000, v3
	v_cmp_ne_u32_e64 s0, 0x7f800000, v2
                                        ; implicit-def: $vgpr2
	s_delay_alu instid0(VALU_DEP_1) | instskip(NEXT) | instid1(SALU_CYCLE_1)
	s_and_saveexec_b32 s9, s0
	s_xor_b32 s0, exec_lo, s9
; %bb.962:                              ;   in Loop: Header=BB424_707 Depth=1
	v_bfe_u32 v2, v3, 16, 1
	s_delay_alu instid0(VALU_DEP_1)
	v_add3_u32 v2, v3, v2, 0x7fff
                                        ; implicit-def: $vgpr3
; %bb.963:                              ;   in Loop: Header=BB424_707 Depth=1
	s_and_not1_saveexec_b32 s9, s0
; %bb.964:                              ;   in Loop: Header=BB424_707 Depth=1
	v_and_b32_e32 v2, 0xffff, v3
	v_or_b32_e32 v7, 0x10000, v3
	s_delay_alu instid0(VALU_DEP_2) | instskip(NEXT) | instid1(VALU_DEP_1)
	v_cmp_eq_u32_e64 s0, 0, v2
	v_cndmask_b32_e64 v2, v7, v3, s0
; %bb.965:                              ;   in Loop: Header=BB424_707 Depth=1
	s_or_b32 exec_lo, exec_lo, s9
	v_lshrrev_b32_e32 v6, 16, v6
	v_lshrrev_b32_e32 v7, 16, v86
	v_lshrrev_b32_e32 v9, 16, v85
	v_lshrrev_b32_e32 v84, 16, v84
	v_lshrrev_b32_e32 v83, 16, v83
	v_lshrrev_b32_e32 v82, 16, v82
	v_lshrrev_b32_e32 v3, 16, v87
	v_lshrrev_b32_e32 v2, 16, v2
	s_and_saveexec_b32 s9, vcc_lo
	s_cbranch_execz .LBB424_967
; %bb.966:                              ;   in Loop: Header=BB424_707 Depth=1
	v_cmp_lt_i32_e64 s0, v51, v33
	s_delay_alu instid0(VALU_DEP_1) | instskip(SKIP_1) | instid1(VALU_DEP_1)
	v_cndmask_b32_e64 v82, 0, v82, s0
	v_cmp_lt_i32_e64 s0, v65, v33
	v_cndmask_b32_e64 v83, 0, v83, s0
	v_cmp_lt_i32_e64 s0, v64, v33
	s_delay_alu instid0(VALU_DEP_1) | instskip(SKIP_1) | instid1(VALU_DEP_1)
	v_cndmask_b32_e64 v84, 0, v84, s0
	v_cmp_lt_i32_e64 s0, v55, v33
	v_cndmask_b32_e64 v9, 0, v9, s0
	;; [unrolled: 5-line block ×4, first 2 shown]
.LBB424_967:                            ;   in Loop: Header=BB424_707 Depth=1
	s_or_b32 exec_lo, exec_lo, s9
	v_lshlrev_b32_e32 v82, 16, v82
	s_delay_alu instid0(VALU_DEP_1) | instskip(NEXT) | instid1(VALU_DEP_1)
	v_mul_f32_e32 v85, v66, v82
	v_and_b32_e32 v82, 0x7f800000, v85
	s_delay_alu instid0(VALU_DEP_1) | instskip(NEXT) | instid1(VALU_DEP_1)
	v_cmp_ne_u32_e64 s0, 0x7f800000, v82
                                        ; implicit-def: $vgpr82
	s_and_saveexec_b32 s9, s0
	s_delay_alu instid0(SALU_CYCLE_1)
	s_xor_b32 s0, exec_lo, s9
; %bb.968:                              ;   in Loop: Header=BB424_707 Depth=1
	v_bfe_u32 v82, v85, 16, 1
	s_delay_alu instid0(VALU_DEP_1)
	v_add3_u32 v82, v85, v82, 0x7fff
                                        ; implicit-def: $vgpr85
; %bb.969:                              ;   in Loop: Header=BB424_707 Depth=1
	s_and_not1_saveexec_b32 s9, s0
; %bb.970:                              ;   in Loop: Header=BB424_707 Depth=1
	v_and_b32_e32 v82, 0xffff, v85
	v_or_b32_e32 v86, 0x10000, v85
	s_delay_alu instid0(VALU_DEP_2) | instskip(NEXT) | instid1(VALU_DEP_1)
	v_cmp_eq_u32_e64 s0, 0, v82
	v_cndmask_b32_e64 v82, v86, v85, s0
; %bb.971:                              ;   in Loop: Header=BB424_707 Depth=1
	s_or_b32 exec_lo, exec_lo, s9
	v_lshlrev_b32_e32 v83, 16, v83
	s_delay_alu instid0(VALU_DEP_1) | instskip(NEXT) | instid1(VALU_DEP_1)
	v_mul_f32_e32 v85, v67, v83
	v_and_b32_e32 v83, 0x7f800000, v85
	s_delay_alu instid0(VALU_DEP_1) | instskip(NEXT) | instid1(VALU_DEP_1)
	v_cmp_ne_u32_e64 s0, 0x7f800000, v83
                                        ; implicit-def: $vgpr83
	s_and_saveexec_b32 s9, s0
	s_delay_alu instid0(SALU_CYCLE_1)
	s_xor_b32 s0, exec_lo, s9
; %bb.972:                              ;   in Loop: Header=BB424_707 Depth=1
	v_bfe_u32 v83, v85, 16, 1
	s_delay_alu instid0(VALU_DEP_1)
	v_add3_u32 v83, v85, v83, 0x7fff
                                        ; implicit-def: $vgpr85
; %bb.973:                              ;   in Loop: Header=BB424_707 Depth=1
	s_and_not1_saveexec_b32 s9, s0
; %bb.974:                              ;   in Loop: Header=BB424_707 Depth=1
	v_and_b32_e32 v83, 0xffff, v85
	v_or_b32_e32 v86, 0x10000, v85
	s_delay_alu instid0(VALU_DEP_2) | instskip(NEXT) | instid1(VALU_DEP_1)
	v_cmp_eq_u32_e64 s0, 0, v83
	v_cndmask_b32_e64 v83, v86, v85, s0
; %bb.975:                              ;   in Loop: Header=BB424_707 Depth=1
	s_or_b32 exec_lo, exec_lo, s9
	v_lshlrev_b32_e32 v84, 16, v84
	s_delay_alu instid0(VALU_DEP_1) | instskip(NEXT) | instid1(VALU_DEP_1)
	v_mul_f32_e32 v85, v68, v84
	v_and_b32_e32 v84, 0x7f800000, v85
	s_delay_alu instid0(VALU_DEP_1) | instskip(NEXT) | instid1(VALU_DEP_1)
	v_cmp_ne_u32_e64 s0, 0x7f800000, v84
                                        ; implicit-def: $vgpr84
	s_and_saveexec_b32 s9, s0
	s_delay_alu instid0(SALU_CYCLE_1)
	s_xor_b32 s0, exec_lo, s9
; %bb.976:                              ;   in Loop: Header=BB424_707 Depth=1
	v_bfe_u32 v84, v85, 16, 1
	s_delay_alu instid0(VALU_DEP_1)
	v_add3_u32 v84, v85, v84, 0x7fff
                                        ; implicit-def: $vgpr85
; %bb.977:                              ;   in Loop: Header=BB424_707 Depth=1
	s_and_not1_saveexec_b32 s9, s0
; %bb.978:                              ;   in Loop: Header=BB424_707 Depth=1
	v_and_b32_e32 v84, 0xffff, v85
	v_or_b32_e32 v86, 0x10000, v85
	s_delay_alu instid0(VALU_DEP_2) | instskip(NEXT) | instid1(VALU_DEP_1)
	v_cmp_eq_u32_e64 s0, 0, v84
	v_cndmask_b32_e64 v84, v86, v85, s0
; %bb.979:                              ;   in Loop: Header=BB424_707 Depth=1
	s_or_b32 exec_lo, exec_lo, s9
	v_lshlrev_b32_e32 v9, 16, v9
	s_delay_alu instid0(VALU_DEP_1) | instskip(NEXT) | instid1(VALU_DEP_1)
	v_mul_f32_e32 v9, v69, v9
	v_and_b32_e32 v85, 0x7f800000, v9
	s_delay_alu instid0(VALU_DEP_1) | instskip(NEXT) | instid1(VALU_DEP_1)
	v_cmp_ne_u32_e64 s0, 0x7f800000, v85
                                        ; implicit-def: $vgpr85
	s_and_saveexec_b32 s9, s0
	s_delay_alu instid0(SALU_CYCLE_1)
	s_xor_b32 s0, exec_lo, s9
; %bb.980:                              ;   in Loop: Header=BB424_707 Depth=1
	v_bfe_u32 v85, v9, 16, 1
	s_delay_alu instid0(VALU_DEP_1)
	v_add3_u32 v85, v9, v85, 0x7fff
                                        ; implicit-def: $vgpr9
; %bb.981:                              ;   in Loop: Header=BB424_707 Depth=1
	s_and_not1_saveexec_b32 s9, s0
; %bb.982:                              ;   in Loop: Header=BB424_707 Depth=1
	v_and_b32_e32 v85, 0xffff, v9
	v_or_b32_e32 v86, 0x10000, v9
	s_delay_alu instid0(VALU_DEP_2) | instskip(NEXT) | instid1(VALU_DEP_1)
	v_cmp_eq_u32_e64 s0, 0, v85
	v_cndmask_b32_e64 v85, v86, v9, s0
; %bb.983:                              ;   in Loop: Header=BB424_707 Depth=1
	s_or_b32 exec_lo, exec_lo, s9
	v_lshlrev_b32_e32 v7, 16, v7
                                        ; implicit-def: $vgpr86
	s_delay_alu instid0(VALU_DEP_1) | instskip(NEXT) | instid1(VALU_DEP_1)
	v_mul_f32_e32 v7, v70, v7
	v_and_b32_e32 v9, 0x7f800000, v7
	s_delay_alu instid0(VALU_DEP_1) | instskip(NEXT) | instid1(VALU_DEP_1)
	v_cmp_ne_u32_e64 s0, 0x7f800000, v9
	s_and_saveexec_b32 s9, s0
	s_delay_alu instid0(SALU_CYCLE_1)
	s_xor_b32 s0, exec_lo, s9
; %bb.984:                              ;   in Loop: Header=BB424_707 Depth=1
	v_bfe_u32 v9, v7, 16, 1
	s_delay_alu instid0(VALU_DEP_1)
	v_add3_u32 v86, v7, v9, 0x7fff
                                        ; implicit-def: $vgpr7
; %bb.985:                              ;   in Loop: Header=BB424_707 Depth=1
	s_and_not1_saveexec_b32 s9, s0
; %bb.986:                              ;   in Loop: Header=BB424_707 Depth=1
	v_and_b32_e32 v9, 0xffff, v7
	v_or_b32_e32 v86, 0x10000, v7
	s_delay_alu instid0(VALU_DEP_2) | instskip(NEXT) | instid1(VALU_DEP_1)
	v_cmp_eq_u32_e64 s0, 0, v9
	v_cndmask_b32_e64 v86, v86, v7, s0
; %bb.987:                              ;   in Loop: Header=BB424_707 Depth=1
	s_or_b32 exec_lo, exec_lo, s9
	v_lshlrev_b32_e32 v6, 16, v6
                                        ; implicit-def: $vgpr87
	s_delay_alu instid0(VALU_DEP_1) | instskip(NEXT) | instid1(VALU_DEP_1)
	v_mul_f32_e32 v6, v71, v6
	v_and_b32_e32 v7, 0x7f800000, v6
	s_delay_alu instid0(VALU_DEP_1) | instskip(NEXT) | instid1(VALU_DEP_1)
	v_cmp_ne_u32_e64 s0, 0x7f800000, v7
	s_and_saveexec_b32 s9, s0
	s_delay_alu instid0(SALU_CYCLE_1)
	s_xor_b32 s0, exec_lo, s9
; %bb.988:                              ;   in Loop: Header=BB424_707 Depth=1
	v_bfe_u32 v7, v6, 16, 1
	s_delay_alu instid0(VALU_DEP_1)
	v_add3_u32 v87, v6, v7, 0x7fff
                                        ; implicit-def: $vgpr6
; %bb.989:                              ;   in Loop: Header=BB424_707 Depth=1
	s_and_not1_saveexec_b32 s9, s0
; %bb.990:                              ;   in Loop: Header=BB424_707 Depth=1
	v_and_b32_e32 v7, 0xffff, v6
	v_or_b32_e32 v9, 0x10000, v6
	s_delay_alu instid0(VALU_DEP_2) | instskip(NEXT) | instid1(VALU_DEP_1)
	v_cmp_eq_u32_e64 s0, 0, v7
	v_cndmask_b32_e64 v87, v9, v6, s0
; %bb.991:                              ;   in Loop: Header=BB424_707 Depth=1
	s_or_b32 exec_lo, exec_lo, s9
	v_lshlrev_b32_e32 v3, 16, v3
                                        ; implicit-def: $vgpr96
	s_delay_alu instid0(VALU_DEP_1) | instskip(NEXT) | instid1(VALU_DEP_1)
	v_mul_f32_e32 v3, v80, v3
	v_and_b32_e32 v6, 0x7f800000, v3
	s_delay_alu instid0(VALU_DEP_1) | instskip(NEXT) | instid1(VALU_DEP_1)
	v_cmp_ne_u32_e64 s0, 0x7f800000, v6
	s_and_saveexec_b32 s9, s0
	s_delay_alu instid0(SALU_CYCLE_1)
	s_xor_b32 s0, exec_lo, s9
; %bb.992:                              ;   in Loop: Header=BB424_707 Depth=1
	v_bfe_u32 v6, v3, 16, 1
	s_delay_alu instid0(VALU_DEP_1)
	v_add3_u32 v96, v3, v6, 0x7fff
                                        ; implicit-def: $vgpr3
; %bb.993:                              ;   in Loop: Header=BB424_707 Depth=1
	s_and_not1_saveexec_b32 s9, s0
; %bb.994:                              ;   in Loop: Header=BB424_707 Depth=1
	v_and_b32_e32 v6, 0xffff, v3
	v_or_b32_e32 v7, 0x10000, v3
	s_delay_alu instid0(VALU_DEP_2) | instskip(NEXT) | instid1(VALU_DEP_1)
	v_cmp_eq_u32_e64 s0, 0, v6
	v_cndmask_b32_e64 v96, v7, v3, s0
; %bb.995:                              ;   in Loop: Header=BB424_707 Depth=1
	s_or_b32 exec_lo, exec_lo, s9
	v_lshlrev_b32_e32 v2, 16, v2
                                        ; implicit-def: $vgpr97
	s_delay_alu instid0(VALU_DEP_1) | instskip(NEXT) | instid1(VALU_DEP_1)
	v_mul_f32_e32 v2, v81, v2
	v_and_b32_e32 v3, 0x7f800000, v2
	s_delay_alu instid0(VALU_DEP_1) | instskip(NEXT) | instid1(VALU_DEP_1)
	v_cmp_ne_u32_e64 s0, 0x7f800000, v3
	s_and_saveexec_b32 s9, s0
	s_delay_alu instid0(SALU_CYCLE_1)
	s_xor_b32 s0, exec_lo, s9
; %bb.996:                              ;   in Loop: Header=BB424_707 Depth=1
	v_bfe_u32 v3, v2, 16, 1
	s_delay_alu instid0(VALU_DEP_1)
	v_add3_u32 v97, v2, v3, 0x7fff
                                        ; implicit-def: $vgpr2
; %bb.997:                              ;   in Loop: Header=BB424_707 Depth=1
	s_and_not1_saveexec_b32 s9, s0
; %bb.998:                              ;   in Loop: Header=BB424_707 Depth=1
	v_and_b32_e32 v3, 0xffff, v2
	v_or_b32_e32 v6, 0x10000, v2
	s_delay_alu instid0(VALU_DEP_2) | instskip(NEXT) | instid1(VALU_DEP_1)
	v_cmp_eq_u32_e64 s0, 0, v3
	v_cndmask_b32_e64 v97, v6, v2, s0
; %bb.999:                              ;   in Loop: Header=BB424_707 Depth=1
	s_or_b32 exec_lo, exec_lo, s9
	flat_load_b64 v[2:3], v[0:1] offset:512
	s_mov_b32 s9, exec_lo
	s_waitcnt vmcnt(0) lgkmcnt(0)
	v_dual_mov_b32 v6, 0 :: v_dual_and_b32 v7, 0xff, v2
	s_delay_alu instid0(VALU_DEP_1)
	v_cmpx_ne_u16_e32 0, v7
	s_cbranch_execz .LBB424_1007
; %bb.1000:                             ;   in Loop: Header=BB424_707 Depth=1
	v_bfrev_b32_e32 v6, 1
	s_mov_b32 s12, exec_lo
	v_cmpx_ne_u16_e32 0x80, v7
	s_cbranch_execz .LBB424_1006
; %bb.1001:                             ;   in Loop: Header=BB424_707 Depth=1
	v_and_b32_e32 v7, 0x7f, v2
	v_mov_b32_e32 v6, 0x7f800001
	s_mov_b32 s13, exec_lo
	s_delay_alu instid0(VALU_DEP_2)
	v_cmpx_ne_u32_e32 0x7f, v7
	s_cbranch_execz .LBB424_1005
; %bb.1002:                             ;   in Loop: Header=BB424_707 Depth=1
	v_lshrrev_b32_e32 v9, 3, v7
	v_cmp_gt_u32_e64 s0, 8, v7
	v_dual_mov_b32 v7, v3 :: v_dual_mov_b32 v6, v2
	s_delay_alu instid0(VALU_DEP_2)
	s_and_saveexec_b32 s15, s0
; %bb.1003:                             ;   in Loop: Header=BB424_707 Depth=1
	v_and_b32_e32 v6, 7, v2
	s_delay_alu instid0(VALU_DEP_1) | instskip(NEXT) | instid1(VALU_DEP_1)
	v_clz_i32_u32_e32 v6, v6
	v_min_u32_e32 v9, 32, v6
	s_delay_alu instid0(VALU_DEP_1) | instskip(SKIP_1) | instid1(VALU_DEP_2)
	v_subrev_nc_u32_e32 v6, 28, v9
	v_sub_nc_u32_e32 v9, 29, v9
	v_lshlrev_b64 v[6:7], v6, v[2:3]
; %bb.1004:                             ;   in Loop: Header=BB424_707 Depth=1
	s_or_b32 exec_lo, exec_lo, s15
	s_delay_alu instid0(VALU_DEP_1) | instskip(SKIP_2) | instid1(VALU_DEP_3)
	v_lshlrev_b32_e32 v6, 20, v6
	v_lshlrev_b32_e32 v7, 24, v2
	v_lshl_add_u32 v9, v9, 23, 0x3c000000
	v_and_b32_e32 v6, 0x700000, v6
	s_delay_alu instid0(VALU_DEP_3) | instskip(NEXT) | instid1(VALU_DEP_1)
	v_and_b32_e32 v7, 0x80000000, v7
	v_or3_b32 v6, v6, v7, v9
.LBB424_1005:                           ;   in Loop: Header=BB424_707 Depth=1
	s_or_b32 exec_lo, exec_lo, s13
.LBB424_1006:                           ;   in Loop: Header=BB424_707 Depth=1
	s_delay_alu instid0(SALU_CYCLE_1)
	s_or_b32 exec_lo, exec_lo, s12
.LBB424_1007:                           ;   in Loop: Header=BB424_707 Depth=1
	s_delay_alu instid0(SALU_CYCLE_1) | instskip(NEXT) | instid1(VALU_DEP_1)
	s_or_b32 exec_lo, exec_lo, s9
	v_mul_f32_e32 v6, v26, v6
                                        ; implicit-def: $vgpr98
	s_delay_alu instid0(VALU_DEP_1) | instskip(NEXT) | instid1(VALU_DEP_1)
	v_and_b32_e32 v7, 0x7f800000, v6
	v_cmp_ne_u32_e64 s0, 0x7f800000, v7
	s_delay_alu instid0(VALU_DEP_1) | instskip(NEXT) | instid1(SALU_CYCLE_1)
	s_and_saveexec_b32 s9, s0
	s_xor_b32 s0, exec_lo, s9
; %bb.1008:                             ;   in Loop: Header=BB424_707 Depth=1
	v_bfe_u32 v7, v6, 16, 1
	s_delay_alu instid0(VALU_DEP_1)
	v_add3_u32 v98, v6, v7, 0x7fff
                                        ; implicit-def: $vgpr6
; %bb.1009:                             ;   in Loop: Header=BB424_707 Depth=1
	s_and_not1_saveexec_b32 s9, s0
; %bb.1010:                             ;   in Loop: Header=BB424_707 Depth=1
	v_and_b32_e32 v7, 0xffff, v6
	v_or_b32_e32 v9, 0x10000, v6
	s_delay_alu instid0(VALU_DEP_2) | instskip(NEXT) | instid1(VALU_DEP_1)
	v_cmp_eq_u32_e64 s0, 0, v7
	v_cndmask_b32_e64 v98, v9, v6, s0
; %bb.1011:                             ;   in Loop: Header=BB424_707 Depth=1
	s_or_b32 exec_lo, exec_lo, s9
	v_lshrrev_b16 v7, 8, v2
	v_mov_b32_e32 v6, 0
	s_mov_b32 s9, exec_lo
	s_delay_alu instid0(VALU_DEP_2)
	v_cmpx_ne_u16_e32 0, v7
	s_cbranch_execz .LBB424_1019
; %bb.1012:                             ;   in Loop: Header=BB424_707 Depth=1
	v_bfrev_b32_e32 v6, 1
	s_mov_b32 s12, exec_lo
	v_cmpx_ne_u16_e32 0x80, v7
	s_cbranch_execz .LBB424_1018
; %bb.1013:                             ;   in Loop: Header=BB424_707 Depth=1
	v_and_b32_e32 v9, 0xffff, v7
	v_mov_b32_e32 v6, 0x7f800001
	s_mov_b32 s13, exec_lo
	s_delay_alu instid0(VALU_DEP_2) | instskip(NEXT) | instid1(VALU_DEP_1)
	v_and_b32_e32 v7, 0x7f, v9
	v_cmpx_ne_u32_e32 0x7f, v7
	s_cbranch_execz .LBB424_1017
; %bb.1014:                             ;   in Loop: Header=BB424_707 Depth=1
	v_and_b32_e32 v9, 7, v9
	v_lshrrev_b32_e32 v6, 3, v7
	s_mov_b32 s15, exec_lo
	v_cmpx_gt_u32_e32 8, v7
; %bb.1015:                             ;   in Loop: Header=BB424_707 Depth=1
	s_delay_alu instid0(VALU_DEP_3) | instskip(NEXT) | instid1(VALU_DEP_1)
	v_clz_i32_u32_e32 v6, v9
	v_min_u32_e32 v6, 32, v6
	s_delay_alu instid0(VALU_DEP_1) | instskip(SKIP_1) | instid1(VALU_DEP_2)
	v_subrev_nc_u32_e32 v7, 28, v6
	v_sub_nc_u32_e32 v6, 29, v6
	v_lshlrev_b64 v[99:100], v7, v[9:10]
	s_delay_alu instid0(VALU_DEP_1)
	v_and_b32_e32 v9, 7, v99
; %bb.1016:                             ;   in Loop: Header=BB424_707 Depth=1
	s_or_b32 exec_lo, exec_lo, s15
	v_lshlrev_b32_e32 v7, 16, v2
	s_delay_alu instid0(VALU_DEP_2) | instskip(SKIP_1) | instid1(VALU_DEP_3)
	v_lshlrev_b32_e32 v9, 20, v9
	v_lshl_add_u32 v6, v6, 23, 0x3c000000
	v_and_b32_e32 v7, 0x80000000, v7
	s_delay_alu instid0(VALU_DEP_1)
	v_or3_b32 v6, v9, v7, v6
.LBB424_1017:                           ;   in Loop: Header=BB424_707 Depth=1
	s_or_b32 exec_lo, exec_lo, s13
.LBB424_1018:                           ;   in Loop: Header=BB424_707 Depth=1
	s_delay_alu instid0(SALU_CYCLE_1)
	s_or_b32 exec_lo, exec_lo, s12
.LBB424_1019:                           ;   in Loop: Header=BB424_707 Depth=1
	s_delay_alu instid0(SALU_CYCLE_1) | instskip(NEXT) | instid1(VALU_DEP_1)
	s_or_b32 exec_lo, exec_lo, s9
	v_mul_f32_e32 v6, v26, v6
                                        ; implicit-def: $vgpr99
	s_delay_alu instid0(VALU_DEP_1) | instskip(NEXT) | instid1(VALU_DEP_1)
	v_and_b32_e32 v7, 0x7f800000, v6
	v_cmp_ne_u32_e64 s0, 0x7f800000, v7
	s_delay_alu instid0(VALU_DEP_1) | instskip(NEXT) | instid1(SALU_CYCLE_1)
	s_and_saveexec_b32 s9, s0
	s_xor_b32 s0, exec_lo, s9
; %bb.1020:                             ;   in Loop: Header=BB424_707 Depth=1
	v_bfe_u32 v7, v6, 16, 1
	s_delay_alu instid0(VALU_DEP_1)
	v_add3_u32 v99, v6, v7, 0x7fff
                                        ; implicit-def: $vgpr6
; %bb.1021:                             ;   in Loop: Header=BB424_707 Depth=1
	s_and_not1_saveexec_b32 s9, s0
; %bb.1022:                             ;   in Loop: Header=BB424_707 Depth=1
	v_and_b32_e32 v7, 0xffff, v6
	v_or_b32_e32 v9, 0x10000, v6
	s_delay_alu instid0(VALU_DEP_2) | instskip(NEXT) | instid1(VALU_DEP_1)
	v_cmp_eq_u32_e64 s0, 0, v7
	v_cndmask_b32_e64 v99, v9, v6, s0
; %bb.1023:                             ;   in Loop: Header=BB424_707 Depth=1
	s_or_b32 exec_lo, exec_lo, s9
	v_lshrrev_b32_e32 v6, 16, v2
	v_mov_b32_e32 v7, 0
	s_mov_b32 s9, exec_lo
	s_delay_alu instid0(VALU_DEP_2) | instskip(NEXT) | instid1(VALU_DEP_1)
	v_and_b32_e32 v9, 0xff, v6
	v_cmpx_ne_u16_e32 0, v9
	s_cbranch_execz .LBB424_1031
; %bb.1024:                             ;   in Loop: Header=BB424_707 Depth=1
	v_bfrev_b32_e32 v7, 1
	s_mov_b32 s12, exec_lo
	v_cmpx_ne_u16_e32 0x80, v9
	s_cbranch_execz .LBB424_1030
; %bb.1025:                             ;   in Loop: Header=BB424_707 Depth=1
	v_bfe_u32 v100, v2, 16, 7
	v_mov_b32_e32 v7, 0x7f800001
	s_mov_b32 s13, exec_lo
	s_delay_alu instid0(VALU_DEP_2)
	v_cmpx_ne_u32_e32 0x7f, v100
	s_cbranch_execz .LBB424_1029
; %bb.1026:                             ;   in Loop: Header=BB424_707 Depth=1
	v_and_b32_e32 v9, 7, v6
	v_lshrrev_b32_e32 v7, 3, v100
	s_mov_b32 s15, exec_lo
	v_cmpx_gt_u32_e32 8, v100
; %bb.1027:                             ;   in Loop: Header=BB424_707 Depth=1
	s_delay_alu instid0(VALU_DEP_3) | instskip(NEXT) | instid1(VALU_DEP_1)
	v_clz_i32_u32_e32 v7, v9
	v_min_u32_e32 v7, 32, v7
	s_delay_alu instid0(VALU_DEP_1) | instskip(SKIP_1) | instid1(VALU_DEP_2)
	v_subrev_nc_u32_e32 v100, 28, v7
	v_sub_nc_u32_e32 v7, 29, v7
	v_lshlrev_b64 v[100:101], v100, v[9:10]
	s_delay_alu instid0(VALU_DEP_1)
	v_and_b32_e32 v9, 7, v100
; %bb.1028:                             ;   in Loop: Header=BB424_707 Depth=1
	s_or_b32 exec_lo, exec_lo, s15
	v_lshlrev_b32_e32 v6, 24, v6
	s_delay_alu instid0(VALU_DEP_2) | instskip(SKIP_1) | instid1(VALU_DEP_3)
	v_lshlrev_b32_e32 v9, 20, v9
	v_lshl_add_u32 v7, v7, 23, 0x3c000000
	v_and_b32_e32 v6, 0x80000000, v6
	s_delay_alu instid0(VALU_DEP_1)
	v_or3_b32 v7, v9, v6, v7
.LBB424_1029:                           ;   in Loop: Header=BB424_707 Depth=1
	s_or_b32 exec_lo, exec_lo, s13
.LBB424_1030:                           ;   in Loop: Header=BB424_707 Depth=1
	s_delay_alu instid0(SALU_CYCLE_1)
	s_or_b32 exec_lo, exec_lo, s12
.LBB424_1031:                           ;   in Loop: Header=BB424_707 Depth=1
	s_delay_alu instid0(SALU_CYCLE_1) | instskip(NEXT) | instid1(VALU_DEP_1)
	s_or_b32 exec_lo, exec_lo, s9
	v_mul_f32_e32 v6, v26, v7
                                        ; implicit-def: $vgpr100
	s_delay_alu instid0(VALU_DEP_1) | instskip(NEXT) | instid1(VALU_DEP_1)
	v_and_b32_e32 v7, 0x7f800000, v6
	v_cmp_ne_u32_e64 s0, 0x7f800000, v7
	s_delay_alu instid0(VALU_DEP_1) | instskip(NEXT) | instid1(SALU_CYCLE_1)
	s_and_saveexec_b32 s9, s0
	s_xor_b32 s0, exec_lo, s9
; %bb.1032:                             ;   in Loop: Header=BB424_707 Depth=1
	v_bfe_u32 v7, v6, 16, 1
	s_delay_alu instid0(VALU_DEP_1)
	v_add3_u32 v100, v6, v7, 0x7fff
                                        ; implicit-def: $vgpr6
; %bb.1033:                             ;   in Loop: Header=BB424_707 Depth=1
	s_and_not1_saveexec_b32 s9, s0
; %bb.1034:                             ;   in Loop: Header=BB424_707 Depth=1
	v_and_b32_e32 v7, 0xffff, v6
	v_or_b32_e32 v9, 0x10000, v6
	s_delay_alu instid0(VALU_DEP_2) | instskip(NEXT) | instid1(VALU_DEP_1)
	v_cmp_eq_u32_e64 s0, 0, v7
	v_cndmask_b32_e64 v100, v9, v6, s0
; %bb.1035:                             ;   in Loop: Header=BB424_707 Depth=1
	s_or_b32 exec_lo, exec_lo, s9
	v_mov_b32_e32 v7, 0
	s_mov_b32 s9, exec_lo
	v_cmpx_lt_u32_e32 0xffffff, v2
	s_cbranch_execz .LBB424_1043
; %bb.1036:                             ;   in Loop: Header=BB424_707 Depth=1
	v_lshrrev_b32_e32 v6, 24, v2
	v_bfrev_b32_e32 v7, 1
	s_mov_b32 s12, exec_lo
	s_delay_alu instid0(VALU_DEP_2)
	v_cmpx_ne_u32_e32 0x80, v6
	s_cbranch_execz .LBB424_1042
; %bb.1037:                             ;   in Loop: Header=BB424_707 Depth=1
	v_bfe_u32 v101, v2, 24, 7
	v_mov_b32_e32 v7, 0x7f800001
	s_mov_b32 s13, exec_lo
	s_delay_alu instid0(VALU_DEP_2)
	v_cmpx_ne_u32_e32 0x7f, v101
	s_cbranch_execz .LBB424_1041
; %bb.1038:                             ;   in Loop: Header=BB424_707 Depth=1
	v_and_b32_e32 v9, 7, v6
	v_lshrrev_b32_e32 v7, 3, v101
	s_mov_b32 s15, exec_lo
	v_cmpx_gt_u32_e32 8, v101
; %bb.1039:                             ;   in Loop: Header=BB424_707 Depth=1
	s_delay_alu instid0(VALU_DEP_3) | instskip(NEXT) | instid1(VALU_DEP_1)
	v_clz_i32_u32_e32 v7, v9
	v_min_u32_e32 v7, 32, v7
	s_delay_alu instid0(VALU_DEP_1) | instskip(SKIP_1) | instid1(VALU_DEP_2)
	v_subrev_nc_u32_e32 v101, 28, v7
	v_sub_nc_u32_e32 v7, 29, v7
	v_lshlrev_b64 v[101:102], v101, v[9:10]
	s_delay_alu instid0(VALU_DEP_1)
	v_and_b32_e32 v9, 7, v101
; %bb.1040:                             ;   in Loop: Header=BB424_707 Depth=1
	s_or_b32 exec_lo, exec_lo, s15
	v_lshlrev_b32_e32 v6, 24, v6
	s_delay_alu instid0(VALU_DEP_2) | instskip(SKIP_1) | instid1(VALU_DEP_3)
	v_lshlrev_b32_e32 v9, 20, v9
	v_lshl_add_u32 v7, v7, 23, 0x3c000000
	v_and_b32_e32 v6, 0x80000000, v6
	s_delay_alu instid0(VALU_DEP_1)
	v_or3_b32 v7, v9, v6, v7
.LBB424_1041:                           ;   in Loop: Header=BB424_707 Depth=1
	s_or_b32 exec_lo, exec_lo, s13
.LBB424_1042:                           ;   in Loop: Header=BB424_707 Depth=1
	s_delay_alu instid0(SALU_CYCLE_1)
	s_or_b32 exec_lo, exec_lo, s12
.LBB424_1043:                           ;   in Loop: Header=BB424_707 Depth=1
	s_delay_alu instid0(SALU_CYCLE_1) | instskip(NEXT) | instid1(VALU_DEP_1)
	s_or_b32 exec_lo, exec_lo, s9
	v_mul_f32_e32 v6, v26, v7
                                        ; implicit-def: $vgpr101
	s_delay_alu instid0(VALU_DEP_1) | instskip(NEXT) | instid1(VALU_DEP_1)
	v_and_b32_e32 v7, 0x7f800000, v6
	v_cmp_ne_u32_e64 s0, 0x7f800000, v7
	s_delay_alu instid0(VALU_DEP_1) | instskip(NEXT) | instid1(SALU_CYCLE_1)
	s_and_saveexec_b32 s9, s0
	s_xor_b32 s0, exec_lo, s9
; %bb.1044:                             ;   in Loop: Header=BB424_707 Depth=1
	v_bfe_u32 v7, v6, 16, 1
	s_delay_alu instid0(VALU_DEP_1)
	v_add3_u32 v101, v6, v7, 0x7fff
                                        ; implicit-def: $vgpr6
; %bb.1045:                             ;   in Loop: Header=BB424_707 Depth=1
	s_and_not1_saveexec_b32 s9, s0
; %bb.1046:                             ;   in Loop: Header=BB424_707 Depth=1
	v_and_b32_e32 v7, 0xffff, v6
	v_or_b32_e32 v9, 0x10000, v6
	s_delay_alu instid0(VALU_DEP_2) | instskip(NEXT) | instid1(VALU_DEP_1)
	v_cmp_eq_u32_e64 s0, 0, v7
	v_cndmask_b32_e64 v101, v9, v6, s0
; %bb.1047:                             ;   in Loop: Header=BB424_707 Depth=1
	s_or_b32 exec_lo, exec_lo, s9
	v_dual_mov_b32 v6, 0 :: v_dual_and_b32 v7, 0xff, v3
	v_mov_b32_e32 v9, v3
	s_mov_b32 s9, exec_lo
	s_delay_alu instid0(VALU_DEP_2)
	v_cmpx_ne_u16_e32 0, v7
	s_cbranch_execz .LBB424_1055
; %bb.1048:                             ;   in Loop: Header=BB424_707 Depth=1
	v_bfrev_b32_e32 v6, 1
	s_mov_b32 s12, exec_lo
	v_cmpx_ne_u16_e32 0x80, v7
	s_cbranch_execz .LBB424_1054
; %bb.1049:                             ;   in Loop: Header=BB424_707 Depth=1
	v_and_b32_e32 v7, 0x7f, v3
	v_mov_b32_e32 v6, 0x7f800001
	s_mov_b32 s13, exec_lo
	s_delay_alu instid0(VALU_DEP_2)
	v_cmpx_ne_u32_e32 0x7f, v7
	s_cbranch_execz .LBB424_1053
; %bb.1050:                             ;   in Loop: Header=BB424_707 Depth=1
	v_lshrrev_b32_e32 v102, 3, v7
	v_cmp_gt_u32_e64 s0, 8, v7
	v_dual_mov_b32 v6, v9 :: v_dual_mov_b32 v7, v10
	s_delay_alu instid0(VALU_DEP_2)
	s_and_saveexec_b32 s15, s0
; %bb.1051:                             ;   in Loop: Header=BB424_707 Depth=1
	v_and_b32_e32 v6, 7, v3
	s_delay_alu instid0(VALU_DEP_1) | instskip(NEXT) | instid1(VALU_DEP_1)
	v_clz_i32_u32_e32 v6, v6
	v_min_u32_e32 v102, 32, v6
	s_delay_alu instid0(VALU_DEP_1) | instskip(SKIP_1) | instid1(VALU_DEP_2)
	v_subrev_nc_u32_e32 v6, 28, v102
	v_sub_nc_u32_e32 v102, 29, v102
	v_lshlrev_b64 v[6:7], v6, v[9:10]
; %bb.1052:                             ;   in Loop: Header=BB424_707 Depth=1
	s_or_b32 exec_lo, exec_lo, s15
	s_delay_alu instid0(VALU_DEP_1) | instskip(SKIP_2) | instid1(VALU_DEP_3)
	v_lshlrev_b32_e32 v6, 20, v6
	v_lshlrev_b32_e32 v7, 24, v9
	v_lshl_add_u32 v102, v102, 23, 0x3c000000
	v_and_b32_e32 v6, 0x700000, v6
	s_delay_alu instid0(VALU_DEP_3) | instskip(NEXT) | instid1(VALU_DEP_1)
	v_and_b32_e32 v7, 0x80000000, v7
	v_or3_b32 v6, v6, v7, v102
.LBB424_1053:                           ;   in Loop: Header=BB424_707 Depth=1
	s_or_b32 exec_lo, exec_lo, s13
.LBB424_1054:                           ;   in Loop: Header=BB424_707 Depth=1
	s_delay_alu instid0(SALU_CYCLE_1)
	s_or_b32 exec_lo, exec_lo, s12
.LBB424_1055:                           ;   in Loop: Header=BB424_707 Depth=1
	s_delay_alu instid0(SALU_CYCLE_1) | instskip(NEXT) | instid1(VALU_DEP_1)
	s_or_b32 exec_lo, exec_lo, s9
	v_mul_f32_e32 v6, v26, v6
                                        ; implicit-def: $vgpr102
	s_delay_alu instid0(VALU_DEP_1) | instskip(NEXT) | instid1(VALU_DEP_1)
	v_and_b32_e32 v7, 0x7f800000, v6
	v_cmp_ne_u32_e64 s0, 0x7f800000, v7
	s_delay_alu instid0(VALU_DEP_1) | instskip(NEXT) | instid1(SALU_CYCLE_1)
	s_and_saveexec_b32 s9, s0
	s_xor_b32 s0, exec_lo, s9
; %bb.1056:                             ;   in Loop: Header=BB424_707 Depth=1
	v_bfe_u32 v7, v6, 16, 1
	s_delay_alu instid0(VALU_DEP_1)
	v_add3_u32 v102, v6, v7, 0x7fff
                                        ; implicit-def: $vgpr6
; %bb.1057:                             ;   in Loop: Header=BB424_707 Depth=1
	s_and_not1_saveexec_b32 s9, s0
; %bb.1058:                             ;   in Loop: Header=BB424_707 Depth=1
	v_and_b32_e32 v7, 0xffff, v6
	v_or_b32_e32 v102, 0x10000, v6
	s_delay_alu instid0(VALU_DEP_2) | instskip(NEXT) | instid1(VALU_DEP_1)
	v_cmp_eq_u32_e64 s0, 0, v7
	v_cndmask_b32_e64 v102, v102, v6, s0
; %bb.1059:                             ;   in Loop: Header=BB424_707 Depth=1
	s_or_b32 exec_lo, exec_lo, s9
	v_lshrrev_b16 v7, 8, v9
	v_mov_b32_e32 v6, 0
	s_mov_b32 s9, exec_lo
	s_delay_alu instid0(VALU_DEP_2)
	v_cmpx_ne_u16_e32 0, v7
	s_cbranch_execz .LBB424_1067
; %bb.1060:                             ;   in Loop: Header=BB424_707 Depth=1
	v_bfrev_b32_e32 v6, 1
	s_mov_b32 s12, exec_lo
	v_cmpx_ne_u16_e32 0x80, v7
	s_cbranch_execz .LBB424_1066
; %bb.1061:                             ;   in Loop: Header=BB424_707 Depth=1
	v_and_b32_e32 v7, 0xffff, v7
	v_mov_b32_e32 v6, 0x7f800001
	s_mov_b32 s13, exec_lo
	s_delay_alu instid0(VALU_DEP_2) | instskip(NEXT) | instid1(VALU_DEP_1)
	v_and_b32_e32 v112, 0x7f, v7
	v_cmpx_ne_u32_e32 0x7f, v112
	s_cbranch_execz .LBB424_1065
; %bb.1062:                             ;   in Loop: Header=BB424_707 Depth=1
	v_dual_mov_b32 v7, v10 :: v_dual_and_b32 v6, 7, v7
	v_lshrrev_b32_e32 v103, 3, v112
	s_mov_b32 s15, exec_lo
	v_cmpx_gt_u32_e32 8, v112
; %bb.1063:                             ;   in Loop: Header=BB424_707 Depth=1
	s_delay_alu instid0(VALU_DEP_3) | instskip(NEXT) | instid1(VALU_DEP_1)
	v_clz_i32_u32_e32 v103, v6
	v_min_u32_e32 v103, 32, v103
	s_delay_alu instid0(VALU_DEP_1) | instskip(SKIP_1) | instid1(VALU_DEP_2)
	v_subrev_nc_u32_e32 v112, 28, v103
	v_sub_nc_u32_e32 v103, 29, v103
	v_lshlrev_b64 v[6:7], v112, v[6:7]
	s_delay_alu instid0(VALU_DEP_1)
	v_and_b32_e32 v6, 7, v6
; %bb.1064:                             ;   in Loop: Header=BB424_707 Depth=1
	s_or_b32 exec_lo, exec_lo, s15
	v_lshlrev_b32_e32 v7, 16, v9
	s_delay_alu instid0(VALU_DEP_2) | instskip(SKIP_1) | instid1(VALU_DEP_3)
	v_lshlrev_b32_e32 v6, 20, v6
	v_lshl_add_u32 v9, v103, 23, 0x3c000000
	v_and_b32_e32 v7, 0x80000000, v7
	s_delay_alu instid0(VALU_DEP_1)
	v_or3_b32 v6, v6, v7, v9
.LBB424_1065:                           ;   in Loop: Header=BB424_707 Depth=1
	s_or_b32 exec_lo, exec_lo, s13
.LBB424_1066:                           ;   in Loop: Header=BB424_707 Depth=1
	s_delay_alu instid0(SALU_CYCLE_1)
	s_or_b32 exec_lo, exec_lo, s12
.LBB424_1067:                           ;   in Loop: Header=BB424_707 Depth=1
	s_delay_alu instid0(SALU_CYCLE_1) | instskip(NEXT) | instid1(VALU_DEP_1)
	s_or_b32 exec_lo, exec_lo, s9
	v_mul_f32_e32 v7, v26, v6
	s_delay_alu instid0(VALU_DEP_1) | instskip(NEXT) | instid1(VALU_DEP_1)
	v_and_b32_e32 v6, 0x7f800000, v7
	v_cmp_ne_u32_e64 s0, 0x7f800000, v6
                                        ; implicit-def: $vgpr6
	s_delay_alu instid0(VALU_DEP_1) | instskip(NEXT) | instid1(SALU_CYCLE_1)
	s_and_saveexec_b32 s9, s0
	s_xor_b32 s0, exec_lo, s9
; %bb.1068:                             ;   in Loop: Header=BB424_707 Depth=1
	v_bfe_u32 v6, v7, 16, 1
	s_delay_alu instid0(VALU_DEP_1)
	v_add3_u32 v6, v7, v6, 0x7fff
                                        ; implicit-def: $vgpr7
; %bb.1069:                             ;   in Loop: Header=BB424_707 Depth=1
	s_and_not1_saveexec_b32 s9, s0
; %bb.1070:                             ;   in Loop: Header=BB424_707 Depth=1
	v_and_b32_e32 v6, 0xffff, v7
	v_or_b32_e32 v9, 0x10000, v7
	s_delay_alu instid0(VALU_DEP_2) | instskip(NEXT) | instid1(VALU_DEP_1)
	v_cmp_eq_u32_e64 s0, 0, v6
	v_cndmask_b32_e64 v6, v9, v7, s0
; %bb.1071:                             ;   in Loop: Header=BB424_707 Depth=1
	s_or_b32 exec_lo, exec_lo, s9
	v_lshrrev_b32_e32 v7, 16, v3
	v_mov_b32_e32 v9, 0
	s_mov_b32 s9, exec_lo
	s_delay_alu instid0(VALU_DEP_2) | instskip(NEXT) | instid1(VALU_DEP_1)
	v_and_b32_e32 v103, 0xff, v7
	v_cmpx_ne_u16_e32 0, v103
	s_cbranch_execz .LBB424_1079
; %bb.1072:                             ;   in Loop: Header=BB424_707 Depth=1
	v_bfrev_b32_e32 v9, 1
	s_mov_b32 s12, exec_lo
	v_cmpx_ne_u16_e32 0x80, v103
	s_cbranch_execz .LBB424_1078
; %bb.1073:                             ;   in Loop: Header=BB424_707 Depth=1
	v_bfe_u32 v112, v3, 16, 7
	v_mov_b32_e32 v9, 0x7f800001
	s_mov_b32 s13, exec_lo
	s_delay_alu instid0(VALU_DEP_2)
	v_cmpx_ne_u32_e32 0x7f, v112
	s_cbranch_execz .LBB424_1077
; %bb.1074:                             ;   in Loop: Header=BB424_707 Depth=1
	v_and_b32_e32 v9, 7, v7
	v_lshrrev_b32_e32 v103, 3, v112
	s_mov_b32 s15, exec_lo
	v_cmpx_gt_u32_e32 8, v112
; %bb.1075:                             ;   in Loop: Header=BB424_707 Depth=1
	s_delay_alu instid0(VALU_DEP_3) | instskip(NEXT) | instid1(VALU_DEP_1)
	v_clz_i32_u32_e32 v103, v9
	v_min_u32_e32 v103, 32, v103
	s_delay_alu instid0(VALU_DEP_1) | instskip(SKIP_1) | instid1(VALU_DEP_2)
	v_subrev_nc_u32_e32 v112, 28, v103
	v_sub_nc_u32_e32 v103, 29, v103
	v_lshlrev_b64 v[112:113], v112, v[9:10]
	s_delay_alu instid0(VALU_DEP_1)
	v_and_b32_e32 v9, 7, v112
; %bb.1076:                             ;   in Loop: Header=BB424_707 Depth=1
	s_or_b32 exec_lo, exec_lo, s15
	v_lshlrev_b32_e32 v7, 24, v7
	s_delay_alu instid0(VALU_DEP_2) | instskip(SKIP_1) | instid1(VALU_DEP_3)
	v_lshlrev_b32_e32 v9, 20, v9
	v_lshl_add_u32 v103, v103, 23, 0x3c000000
	v_and_b32_e32 v7, 0x80000000, v7
	s_delay_alu instid0(VALU_DEP_1)
	v_or3_b32 v9, v9, v7, v103
.LBB424_1077:                           ;   in Loop: Header=BB424_707 Depth=1
	s_or_b32 exec_lo, exec_lo, s13
.LBB424_1078:                           ;   in Loop: Header=BB424_707 Depth=1
	s_delay_alu instid0(SALU_CYCLE_1)
	s_or_b32 exec_lo, exec_lo, s12
.LBB424_1079:                           ;   in Loop: Header=BB424_707 Depth=1
	s_delay_alu instid0(SALU_CYCLE_1) | instskip(NEXT) | instid1(VALU_DEP_1)
	s_or_b32 exec_lo, exec_lo, s9
	v_mul_f32_e32 v7, v26, v9
                                        ; implicit-def: $vgpr103
	s_delay_alu instid0(VALU_DEP_1) | instskip(NEXT) | instid1(VALU_DEP_1)
	v_and_b32_e32 v9, 0x7f800000, v7
	v_cmp_ne_u32_e64 s0, 0x7f800000, v9
	s_delay_alu instid0(VALU_DEP_1) | instskip(NEXT) | instid1(SALU_CYCLE_1)
	s_and_saveexec_b32 s9, s0
	s_xor_b32 s0, exec_lo, s9
; %bb.1080:                             ;   in Loop: Header=BB424_707 Depth=1
	v_bfe_u32 v9, v7, 16, 1
	s_delay_alu instid0(VALU_DEP_1)
	v_add3_u32 v103, v7, v9, 0x7fff
                                        ; implicit-def: $vgpr7
; %bb.1081:                             ;   in Loop: Header=BB424_707 Depth=1
	s_and_not1_saveexec_b32 s9, s0
; %bb.1082:                             ;   in Loop: Header=BB424_707 Depth=1
	v_and_b32_e32 v9, 0xffff, v7
	v_or_b32_e32 v103, 0x10000, v7
	s_delay_alu instid0(VALU_DEP_2) | instskip(NEXT) | instid1(VALU_DEP_1)
	v_cmp_eq_u32_e64 s0, 0, v9
	v_cndmask_b32_e64 v103, v103, v7, s0
; %bb.1083:                             ;   in Loop: Header=BB424_707 Depth=1
	s_or_b32 exec_lo, exec_lo, s9
	v_mov_b32_e32 v7, 0
	s_mov_b32 s9, exec_lo
	v_cmpx_lt_u64_e64 s[2:3], v[2:3]
	s_cbranch_execz .LBB424_1091
; %bb.1084:                             ;   in Loop: Header=BB424_707 Depth=1
	v_lshrrev_b32_e32 v2, 24, v3
	v_bfrev_b32_e32 v7, 1
	s_mov_b32 s12, exec_lo
	s_delay_alu instid0(VALU_DEP_2)
	v_cmpx_ne_u32_e32 0x80, v2
	s_cbranch_execz .LBB424_1090
; %bb.1085:                             ;   in Loop: Header=BB424_707 Depth=1
	v_bfe_u32 v112, v3, 24, 7
	v_mov_b32_e32 v7, 0x7f800001
	s_mov_b32 s13, exec_lo
	s_delay_alu instid0(VALU_DEP_2)
	v_cmpx_ne_u32_e32 0x7f, v112
	s_cbranch_execz .LBB424_1089
; %bb.1086:                             ;   in Loop: Header=BB424_707 Depth=1
	v_and_b32_e32 v9, 7, v2
	v_lshrrev_b32_e32 v3, 3, v112
	s_mov_b32 s15, exec_lo
	v_cmpx_gt_u32_e32 8, v112
; %bb.1087:                             ;   in Loop: Header=BB424_707 Depth=1
	s_delay_alu instid0(VALU_DEP_3) | instskip(NEXT) | instid1(VALU_DEP_1)
	v_clz_i32_u32_e32 v3, v9
	v_min_u32_e32 v3, 32, v3
	s_delay_alu instid0(VALU_DEP_1) | instskip(SKIP_1) | instid1(VALU_DEP_2)
	v_subrev_nc_u32_e32 v7, 28, v3
	v_sub_nc_u32_e32 v3, 29, v3
	v_lshlrev_b64 v[112:113], v7, v[9:10]
	s_delay_alu instid0(VALU_DEP_1)
	v_and_b32_e32 v9, 7, v112
; %bb.1088:                             ;   in Loop: Header=BB424_707 Depth=1
	s_or_b32 exec_lo, exec_lo, s15
	v_lshlrev_b32_e32 v2, 24, v2
	s_delay_alu instid0(VALU_DEP_2) | instskip(SKIP_1) | instid1(VALU_DEP_3)
	v_lshlrev_b32_e32 v7, 20, v9
	v_lshl_add_u32 v3, v3, 23, 0x3c000000
	v_and_b32_e32 v2, 0x80000000, v2
	s_delay_alu instid0(VALU_DEP_1)
	v_or3_b32 v7, v7, v2, v3
.LBB424_1089:                           ;   in Loop: Header=BB424_707 Depth=1
	s_or_b32 exec_lo, exec_lo, s13
.LBB424_1090:                           ;   in Loop: Header=BB424_707 Depth=1
	s_delay_alu instid0(SALU_CYCLE_1)
	s_or_b32 exec_lo, exec_lo, s12
.LBB424_1091:                           ;   in Loop: Header=BB424_707 Depth=1
	s_delay_alu instid0(SALU_CYCLE_1) | instskip(NEXT) | instid1(VALU_DEP_1)
	s_or_b32 exec_lo, exec_lo, s9
	v_mul_f32_e32 v3, v26, v7
	s_delay_alu instid0(VALU_DEP_1) | instskip(NEXT) | instid1(VALU_DEP_1)
	v_and_b32_e32 v2, 0x7f800000, v3
	v_cmp_ne_u32_e64 s0, 0x7f800000, v2
                                        ; implicit-def: $vgpr2
	s_delay_alu instid0(VALU_DEP_1) | instskip(NEXT) | instid1(SALU_CYCLE_1)
	s_and_saveexec_b32 s9, s0
	s_xor_b32 s0, exec_lo, s9
; %bb.1092:                             ;   in Loop: Header=BB424_707 Depth=1
	v_bfe_u32 v2, v3, 16, 1
	s_delay_alu instid0(VALU_DEP_1)
	v_add3_u32 v2, v3, v2, 0x7fff
                                        ; implicit-def: $vgpr3
; %bb.1093:                             ;   in Loop: Header=BB424_707 Depth=1
	s_and_not1_saveexec_b32 s9, s0
; %bb.1094:                             ;   in Loop: Header=BB424_707 Depth=1
	v_and_b32_e32 v2, 0xffff, v3
	v_or_b32_e32 v7, 0x10000, v3
	s_delay_alu instid0(VALU_DEP_2) | instskip(NEXT) | instid1(VALU_DEP_1)
	v_cmp_eq_u32_e64 s0, 0, v2
	v_cndmask_b32_e64 v2, v7, v3, s0
; %bb.1095:                             ;   in Loop: Header=BB424_707 Depth=1
	s_or_b32 exec_lo, exec_lo, s9
	v_lshrrev_b32_e32 v6, 16, v6
	v_lshrrev_b32_e32 v7, 16, v102
	;; [unrolled: 1-line block ×8, first 2 shown]
	s_and_saveexec_b32 s9, vcc_lo
	s_cbranch_execz .LBB424_1097
; %bb.1096:                             ;   in Loop: Header=BB424_707 Depth=1
	v_cmp_lt_i32_e64 s0, v51, v33
	s_delay_alu instid0(VALU_DEP_1) | instskip(SKIP_1) | instid1(VALU_DEP_1)
	v_cndmask_b32_e64 v98, 0, v98, s0
	v_cmp_lt_i32_e64 s0, v65, v33
	v_cndmask_b32_e64 v99, 0, v99, s0
	v_cmp_lt_i32_e64 s0, v64, v33
	s_delay_alu instid0(VALU_DEP_1) | instskip(SKIP_1) | instid1(VALU_DEP_1)
	v_cndmask_b32_e64 v100, 0, v100, s0
	v_cmp_lt_i32_e64 s0, v55, v33
	v_cndmask_b32_e64 v9, 0, v9, s0
	;; [unrolled: 5-line block ×4, first 2 shown]
.LBB424_1097:                           ;   in Loop: Header=BB424_707 Depth=1
	s_or_b32 exec_lo, exec_lo, s9
	v_lshlrev_b32_e32 v98, 16, v98
	s_delay_alu instid0(VALU_DEP_1) | instskip(NEXT) | instid1(VALU_DEP_1)
	v_mul_f32_e32 v101, v66, v98
	v_and_b32_e32 v98, 0x7f800000, v101
	s_delay_alu instid0(VALU_DEP_1) | instskip(NEXT) | instid1(VALU_DEP_1)
	v_cmp_ne_u32_e64 s0, 0x7f800000, v98
                                        ; implicit-def: $vgpr98
	s_and_saveexec_b32 s9, s0
	s_delay_alu instid0(SALU_CYCLE_1)
	s_xor_b32 s0, exec_lo, s9
; %bb.1098:                             ;   in Loop: Header=BB424_707 Depth=1
	v_bfe_u32 v98, v101, 16, 1
	s_delay_alu instid0(VALU_DEP_1)
	v_add3_u32 v98, v101, v98, 0x7fff
                                        ; implicit-def: $vgpr101
; %bb.1099:                             ;   in Loop: Header=BB424_707 Depth=1
	s_and_not1_saveexec_b32 s9, s0
; %bb.1100:                             ;   in Loop: Header=BB424_707 Depth=1
	v_and_b32_e32 v98, 0xffff, v101
	v_or_b32_e32 v102, 0x10000, v101
	s_delay_alu instid0(VALU_DEP_2) | instskip(NEXT) | instid1(VALU_DEP_1)
	v_cmp_eq_u32_e64 s0, 0, v98
	v_cndmask_b32_e64 v98, v102, v101, s0
; %bb.1101:                             ;   in Loop: Header=BB424_707 Depth=1
	s_or_b32 exec_lo, exec_lo, s9
	v_lshlrev_b32_e32 v99, 16, v99
	s_delay_alu instid0(VALU_DEP_1) | instskip(NEXT) | instid1(VALU_DEP_1)
	v_mul_f32_e32 v101, v67, v99
	v_and_b32_e32 v99, 0x7f800000, v101
	s_delay_alu instid0(VALU_DEP_1) | instskip(NEXT) | instid1(VALU_DEP_1)
	v_cmp_ne_u32_e64 s0, 0x7f800000, v99
                                        ; implicit-def: $vgpr99
	s_and_saveexec_b32 s9, s0
	s_delay_alu instid0(SALU_CYCLE_1)
	s_xor_b32 s0, exec_lo, s9
; %bb.1102:                             ;   in Loop: Header=BB424_707 Depth=1
	v_bfe_u32 v99, v101, 16, 1
	s_delay_alu instid0(VALU_DEP_1)
	v_add3_u32 v99, v101, v99, 0x7fff
                                        ; implicit-def: $vgpr101
; %bb.1103:                             ;   in Loop: Header=BB424_707 Depth=1
	s_and_not1_saveexec_b32 s9, s0
; %bb.1104:                             ;   in Loop: Header=BB424_707 Depth=1
	v_and_b32_e32 v99, 0xffff, v101
	v_or_b32_e32 v102, 0x10000, v101
	s_delay_alu instid0(VALU_DEP_2) | instskip(NEXT) | instid1(VALU_DEP_1)
	v_cmp_eq_u32_e64 s0, 0, v99
	v_cndmask_b32_e64 v99, v102, v101, s0
; %bb.1105:                             ;   in Loop: Header=BB424_707 Depth=1
	s_or_b32 exec_lo, exec_lo, s9
	v_lshlrev_b32_e32 v100, 16, v100
	s_delay_alu instid0(VALU_DEP_1) | instskip(NEXT) | instid1(VALU_DEP_1)
	v_mul_f32_e32 v101, v68, v100
	v_and_b32_e32 v100, 0x7f800000, v101
	s_delay_alu instid0(VALU_DEP_1) | instskip(NEXT) | instid1(VALU_DEP_1)
	v_cmp_ne_u32_e64 s0, 0x7f800000, v100
                                        ; implicit-def: $vgpr100
	s_and_saveexec_b32 s9, s0
	s_delay_alu instid0(SALU_CYCLE_1)
	s_xor_b32 s0, exec_lo, s9
; %bb.1106:                             ;   in Loop: Header=BB424_707 Depth=1
	v_bfe_u32 v100, v101, 16, 1
	s_delay_alu instid0(VALU_DEP_1)
	v_add3_u32 v100, v101, v100, 0x7fff
                                        ; implicit-def: $vgpr101
; %bb.1107:                             ;   in Loop: Header=BB424_707 Depth=1
	s_and_not1_saveexec_b32 s9, s0
; %bb.1108:                             ;   in Loop: Header=BB424_707 Depth=1
	v_and_b32_e32 v100, 0xffff, v101
	v_or_b32_e32 v102, 0x10000, v101
	s_delay_alu instid0(VALU_DEP_2) | instskip(NEXT) | instid1(VALU_DEP_1)
	v_cmp_eq_u32_e64 s0, 0, v100
	v_cndmask_b32_e64 v100, v102, v101, s0
; %bb.1109:                             ;   in Loop: Header=BB424_707 Depth=1
	s_or_b32 exec_lo, exec_lo, s9
	v_lshlrev_b32_e32 v9, 16, v9
	s_delay_alu instid0(VALU_DEP_1) | instskip(NEXT) | instid1(VALU_DEP_1)
	v_mul_f32_e32 v9, v69, v9
	v_and_b32_e32 v101, 0x7f800000, v9
	s_delay_alu instid0(VALU_DEP_1) | instskip(NEXT) | instid1(VALU_DEP_1)
	v_cmp_ne_u32_e64 s0, 0x7f800000, v101
                                        ; implicit-def: $vgpr101
	s_and_saveexec_b32 s9, s0
	s_delay_alu instid0(SALU_CYCLE_1)
	s_xor_b32 s0, exec_lo, s9
; %bb.1110:                             ;   in Loop: Header=BB424_707 Depth=1
	v_bfe_u32 v101, v9, 16, 1
	s_delay_alu instid0(VALU_DEP_1)
	v_add3_u32 v101, v9, v101, 0x7fff
                                        ; implicit-def: $vgpr9
; %bb.1111:                             ;   in Loop: Header=BB424_707 Depth=1
	s_and_not1_saveexec_b32 s9, s0
; %bb.1112:                             ;   in Loop: Header=BB424_707 Depth=1
	v_and_b32_e32 v101, 0xffff, v9
	v_or_b32_e32 v102, 0x10000, v9
	s_delay_alu instid0(VALU_DEP_2) | instskip(NEXT) | instid1(VALU_DEP_1)
	v_cmp_eq_u32_e64 s0, 0, v101
	v_cndmask_b32_e64 v101, v102, v9, s0
; %bb.1113:                             ;   in Loop: Header=BB424_707 Depth=1
	s_or_b32 exec_lo, exec_lo, s9
	v_lshlrev_b32_e32 v7, 16, v7
                                        ; implicit-def: $vgpr102
	s_delay_alu instid0(VALU_DEP_1) | instskip(NEXT) | instid1(VALU_DEP_1)
	v_mul_f32_e32 v7, v70, v7
	v_and_b32_e32 v9, 0x7f800000, v7
	s_delay_alu instid0(VALU_DEP_1) | instskip(NEXT) | instid1(VALU_DEP_1)
	v_cmp_ne_u32_e64 s0, 0x7f800000, v9
	s_and_saveexec_b32 s9, s0
	s_delay_alu instid0(SALU_CYCLE_1)
	s_xor_b32 s0, exec_lo, s9
; %bb.1114:                             ;   in Loop: Header=BB424_707 Depth=1
	v_bfe_u32 v9, v7, 16, 1
	s_delay_alu instid0(VALU_DEP_1)
	v_add3_u32 v102, v7, v9, 0x7fff
                                        ; implicit-def: $vgpr7
; %bb.1115:                             ;   in Loop: Header=BB424_707 Depth=1
	s_and_not1_saveexec_b32 s9, s0
; %bb.1116:                             ;   in Loop: Header=BB424_707 Depth=1
	v_and_b32_e32 v9, 0xffff, v7
	v_or_b32_e32 v102, 0x10000, v7
	s_delay_alu instid0(VALU_DEP_2) | instskip(NEXT) | instid1(VALU_DEP_1)
	v_cmp_eq_u32_e64 s0, 0, v9
	v_cndmask_b32_e64 v102, v102, v7, s0
; %bb.1117:                             ;   in Loop: Header=BB424_707 Depth=1
	s_or_b32 exec_lo, exec_lo, s9
	v_lshlrev_b32_e32 v6, 16, v6
                                        ; implicit-def: $vgpr103
	s_delay_alu instid0(VALU_DEP_1) | instskip(NEXT) | instid1(VALU_DEP_1)
	v_mul_f32_e32 v6, v71, v6
	v_and_b32_e32 v7, 0x7f800000, v6
	s_delay_alu instid0(VALU_DEP_1) | instskip(NEXT) | instid1(VALU_DEP_1)
	v_cmp_ne_u32_e64 s0, 0x7f800000, v7
	s_and_saveexec_b32 s9, s0
	s_delay_alu instid0(SALU_CYCLE_1)
	s_xor_b32 s0, exec_lo, s9
; %bb.1118:                             ;   in Loop: Header=BB424_707 Depth=1
	v_bfe_u32 v7, v6, 16, 1
	s_delay_alu instid0(VALU_DEP_1)
	v_add3_u32 v103, v6, v7, 0x7fff
                                        ; implicit-def: $vgpr6
; %bb.1119:                             ;   in Loop: Header=BB424_707 Depth=1
	s_and_not1_saveexec_b32 s9, s0
; %bb.1120:                             ;   in Loop: Header=BB424_707 Depth=1
	v_and_b32_e32 v7, 0xffff, v6
	v_or_b32_e32 v9, 0x10000, v6
	s_delay_alu instid0(VALU_DEP_2) | instskip(NEXT) | instid1(VALU_DEP_1)
	v_cmp_eq_u32_e64 s0, 0, v7
	v_cndmask_b32_e64 v103, v9, v6, s0
; %bb.1121:                             ;   in Loop: Header=BB424_707 Depth=1
	s_or_b32 exec_lo, exec_lo, s9
	v_lshlrev_b32_e32 v3, 16, v3
                                        ; implicit-def: $vgpr112
	s_delay_alu instid0(VALU_DEP_1) | instskip(NEXT) | instid1(VALU_DEP_1)
	v_mul_f32_e32 v3, v80, v3
	v_and_b32_e32 v6, 0x7f800000, v3
	s_delay_alu instid0(VALU_DEP_1) | instskip(NEXT) | instid1(VALU_DEP_1)
	v_cmp_ne_u32_e64 s0, 0x7f800000, v6
	s_and_saveexec_b32 s9, s0
	s_delay_alu instid0(SALU_CYCLE_1)
	s_xor_b32 s0, exec_lo, s9
; %bb.1122:                             ;   in Loop: Header=BB424_707 Depth=1
	v_bfe_u32 v6, v3, 16, 1
	s_delay_alu instid0(VALU_DEP_1)
	v_add3_u32 v112, v3, v6, 0x7fff
                                        ; implicit-def: $vgpr3
; %bb.1123:                             ;   in Loop: Header=BB424_707 Depth=1
	s_and_not1_saveexec_b32 s9, s0
; %bb.1124:                             ;   in Loop: Header=BB424_707 Depth=1
	v_and_b32_e32 v6, 0xffff, v3
	v_or_b32_e32 v7, 0x10000, v3
	s_delay_alu instid0(VALU_DEP_2) | instskip(NEXT) | instid1(VALU_DEP_1)
	v_cmp_eq_u32_e64 s0, 0, v6
	v_cndmask_b32_e64 v112, v7, v3, s0
; %bb.1125:                             ;   in Loop: Header=BB424_707 Depth=1
	s_or_b32 exec_lo, exec_lo, s9
	v_lshlrev_b32_e32 v2, 16, v2
                                        ; implicit-def: $vgpr113
	s_delay_alu instid0(VALU_DEP_1) | instskip(NEXT) | instid1(VALU_DEP_1)
	v_mul_f32_e32 v2, v81, v2
	v_and_b32_e32 v3, 0x7f800000, v2
	s_delay_alu instid0(VALU_DEP_1) | instskip(NEXT) | instid1(VALU_DEP_1)
	v_cmp_ne_u32_e64 s0, 0x7f800000, v3
	s_and_saveexec_b32 s9, s0
	s_delay_alu instid0(SALU_CYCLE_1)
	s_xor_b32 s0, exec_lo, s9
; %bb.1126:                             ;   in Loop: Header=BB424_707 Depth=1
	v_bfe_u32 v3, v2, 16, 1
	s_delay_alu instid0(VALU_DEP_1)
	v_add3_u32 v113, v2, v3, 0x7fff
                                        ; implicit-def: $vgpr2
; %bb.1127:                             ;   in Loop: Header=BB424_707 Depth=1
	s_and_not1_saveexec_b32 s9, s0
; %bb.1128:                             ;   in Loop: Header=BB424_707 Depth=1
	v_and_b32_e32 v3, 0xffff, v2
	v_or_b32_e32 v6, 0x10000, v2
	s_delay_alu instid0(VALU_DEP_2) | instskip(NEXT) | instid1(VALU_DEP_1)
	v_cmp_eq_u32_e64 s0, 0, v3
	v_cndmask_b32_e64 v113, v6, v2, s0
; %bb.1129:                             ;   in Loop: Header=BB424_707 Depth=1
	s_or_b32 exec_lo, exec_lo, s9
	flat_load_b64 v[2:3], v[0:1] offset:768
	s_mov_b32 s9, exec_lo
	s_waitcnt vmcnt(0) lgkmcnt(0)
	v_dual_mov_b32 v6, 0 :: v_dual_and_b32 v7, 0xff, v2
	s_delay_alu instid0(VALU_DEP_1)
	v_cmpx_ne_u16_e32 0, v7
	s_cbranch_execz .LBB424_1137
; %bb.1130:                             ;   in Loop: Header=BB424_707 Depth=1
	v_bfrev_b32_e32 v6, 1
	s_mov_b32 s12, exec_lo
	v_cmpx_ne_u16_e32 0x80, v7
	s_cbranch_execz .LBB424_1136
; %bb.1131:                             ;   in Loop: Header=BB424_707 Depth=1
	v_and_b32_e32 v7, 0x7f, v2
	v_mov_b32_e32 v6, 0x7f800001
	s_mov_b32 s13, exec_lo
	s_delay_alu instid0(VALU_DEP_2)
	v_cmpx_ne_u32_e32 0x7f, v7
	s_cbranch_execz .LBB424_1135
; %bb.1132:                             ;   in Loop: Header=BB424_707 Depth=1
	v_lshrrev_b32_e32 v9, 3, v7
	v_cmp_gt_u32_e64 s0, 8, v7
	v_dual_mov_b32 v7, v3 :: v_dual_mov_b32 v6, v2
	s_delay_alu instid0(VALU_DEP_2)
	s_and_saveexec_b32 s15, s0
; %bb.1133:                             ;   in Loop: Header=BB424_707 Depth=1
	v_and_b32_e32 v6, 7, v2
	s_delay_alu instid0(VALU_DEP_1) | instskip(NEXT) | instid1(VALU_DEP_1)
	v_clz_i32_u32_e32 v6, v6
	v_min_u32_e32 v9, 32, v6
	s_delay_alu instid0(VALU_DEP_1) | instskip(SKIP_1) | instid1(VALU_DEP_2)
	v_subrev_nc_u32_e32 v6, 28, v9
	v_sub_nc_u32_e32 v9, 29, v9
	v_lshlrev_b64 v[6:7], v6, v[2:3]
; %bb.1134:                             ;   in Loop: Header=BB424_707 Depth=1
	s_or_b32 exec_lo, exec_lo, s15
	s_delay_alu instid0(VALU_DEP_1) | instskip(SKIP_2) | instid1(VALU_DEP_3)
	v_lshlrev_b32_e32 v6, 20, v6
	v_lshlrev_b32_e32 v7, 24, v2
	v_lshl_add_u32 v9, v9, 23, 0x3c000000
	v_and_b32_e32 v6, 0x700000, v6
	s_delay_alu instid0(VALU_DEP_3) | instskip(NEXT) | instid1(VALU_DEP_1)
	v_and_b32_e32 v7, 0x80000000, v7
	v_or3_b32 v6, v6, v7, v9
.LBB424_1135:                           ;   in Loop: Header=BB424_707 Depth=1
	s_or_b32 exec_lo, exec_lo, s13
.LBB424_1136:                           ;   in Loop: Header=BB424_707 Depth=1
	s_delay_alu instid0(SALU_CYCLE_1)
	s_or_b32 exec_lo, exec_lo, s12
.LBB424_1137:                           ;   in Loop: Header=BB424_707 Depth=1
	s_delay_alu instid0(SALU_CYCLE_1) | instskip(NEXT) | instid1(VALU_DEP_1)
	s_or_b32 exec_lo, exec_lo, s9
	v_mul_f32_e32 v6, v26, v6
                                        ; implicit-def: $vgpr114
	s_delay_alu instid0(VALU_DEP_1) | instskip(NEXT) | instid1(VALU_DEP_1)
	v_and_b32_e32 v7, 0x7f800000, v6
	v_cmp_ne_u32_e64 s0, 0x7f800000, v7
	s_delay_alu instid0(VALU_DEP_1) | instskip(NEXT) | instid1(SALU_CYCLE_1)
	s_and_saveexec_b32 s9, s0
	s_xor_b32 s0, exec_lo, s9
; %bb.1138:                             ;   in Loop: Header=BB424_707 Depth=1
	v_bfe_u32 v7, v6, 16, 1
	s_delay_alu instid0(VALU_DEP_1)
	v_add3_u32 v114, v6, v7, 0x7fff
                                        ; implicit-def: $vgpr6
; %bb.1139:                             ;   in Loop: Header=BB424_707 Depth=1
	s_and_not1_saveexec_b32 s9, s0
; %bb.1140:                             ;   in Loop: Header=BB424_707 Depth=1
	v_and_b32_e32 v7, 0xffff, v6
	v_or_b32_e32 v9, 0x10000, v6
	s_delay_alu instid0(VALU_DEP_2) | instskip(NEXT) | instid1(VALU_DEP_1)
	v_cmp_eq_u32_e64 s0, 0, v7
	v_cndmask_b32_e64 v114, v9, v6, s0
; %bb.1141:                             ;   in Loop: Header=BB424_707 Depth=1
	s_or_b32 exec_lo, exec_lo, s9
	v_lshrrev_b16 v7, 8, v2
	v_mov_b32_e32 v6, 0
	s_mov_b32 s9, exec_lo
	s_delay_alu instid0(VALU_DEP_2)
	v_cmpx_ne_u16_e32 0, v7
	s_cbranch_execz .LBB424_1149
; %bb.1142:                             ;   in Loop: Header=BB424_707 Depth=1
	v_bfrev_b32_e32 v6, 1
	s_mov_b32 s12, exec_lo
	v_cmpx_ne_u16_e32 0x80, v7
	s_cbranch_execz .LBB424_1148
; %bb.1143:                             ;   in Loop: Header=BB424_707 Depth=1
	v_and_b32_e32 v9, 0xffff, v7
	v_mov_b32_e32 v6, 0x7f800001
	s_mov_b32 s13, exec_lo
	s_delay_alu instid0(VALU_DEP_2) | instskip(NEXT) | instid1(VALU_DEP_1)
	v_and_b32_e32 v7, 0x7f, v9
	v_cmpx_ne_u32_e32 0x7f, v7
	s_cbranch_execz .LBB424_1147
; %bb.1144:                             ;   in Loop: Header=BB424_707 Depth=1
	v_and_b32_e32 v9, 7, v9
	v_lshrrev_b32_e32 v6, 3, v7
	s_mov_b32 s15, exec_lo
	v_cmpx_gt_u32_e32 8, v7
; %bb.1145:                             ;   in Loop: Header=BB424_707 Depth=1
	s_delay_alu instid0(VALU_DEP_3) | instskip(NEXT) | instid1(VALU_DEP_1)
	v_clz_i32_u32_e32 v6, v9
	v_min_u32_e32 v6, 32, v6
	s_delay_alu instid0(VALU_DEP_1) | instskip(SKIP_1) | instid1(VALU_DEP_2)
	v_subrev_nc_u32_e32 v7, 28, v6
	v_sub_nc_u32_e32 v6, 29, v6
	v_lshlrev_b64 v[115:116], v7, v[9:10]
	s_delay_alu instid0(VALU_DEP_1)
	v_and_b32_e32 v9, 7, v115
; %bb.1146:                             ;   in Loop: Header=BB424_707 Depth=1
	s_or_b32 exec_lo, exec_lo, s15
	v_lshlrev_b32_e32 v7, 16, v2
	s_delay_alu instid0(VALU_DEP_2) | instskip(SKIP_1) | instid1(VALU_DEP_3)
	v_lshlrev_b32_e32 v9, 20, v9
	v_lshl_add_u32 v6, v6, 23, 0x3c000000
	v_and_b32_e32 v7, 0x80000000, v7
	s_delay_alu instid0(VALU_DEP_1)
	v_or3_b32 v6, v9, v7, v6
.LBB424_1147:                           ;   in Loop: Header=BB424_707 Depth=1
	s_or_b32 exec_lo, exec_lo, s13
.LBB424_1148:                           ;   in Loop: Header=BB424_707 Depth=1
	s_delay_alu instid0(SALU_CYCLE_1)
	s_or_b32 exec_lo, exec_lo, s12
.LBB424_1149:                           ;   in Loop: Header=BB424_707 Depth=1
	s_delay_alu instid0(SALU_CYCLE_1) | instskip(NEXT) | instid1(VALU_DEP_1)
	s_or_b32 exec_lo, exec_lo, s9
	v_mul_f32_e32 v6, v26, v6
                                        ; implicit-def: $vgpr115
	s_delay_alu instid0(VALU_DEP_1) | instskip(NEXT) | instid1(VALU_DEP_1)
	v_and_b32_e32 v7, 0x7f800000, v6
	v_cmp_ne_u32_e64 s0, 0x7f800000, v7
	s_delay_alu instid0(VALU_DEP_1) | instskip(NEXT) | instid1(SALU_CYCLE_1)
	s_and_saveexec_b32 s9, s0
	s_xor_b32 s0, exec_lo, s9
; %bb.1150:                             ;   in Loop: Header=BB424_707 Depth=1
	v_bfe_u32 v7, v6, 16, 1
	s_delay_alu instid0(VALU_DEP_1)
	v_add3_u32 v115, v6, v7, 0x7fff
                                        ; implicit-def: $vgpr6
; %bb.1151:                             ;   in Loop: Header=BB424_707 Depth=1
	s_and_not1_saveexec_b32 s9, s0
; %bb.1152:                             ;   in Loop: Header=BB424_707 Depth=1
	v_and_b32_e32 v7, 0xffff, v6
	v_or_b32_e32 v9, 0x10000, v6
	s_delay_alu instid0(VALU_DEP_2) | instskip(NEXT) | instid1(VALU_DEP_1)
	v_cmp_eq_u32_e64 s0, 0, v7
	v_cndmask_b32_e64 v115, v9, v6, s0
; %bb.1153:                             ;   in Loop: Header=BB424_707 Depth=1
	s_or_b32 exec_lo, exec_lo, s9
	v_lshrrev_b32_e32 v6, 16, v2
	v_mov_b32_e32 v7, 0
	s_mov_b32 s9, exec_lo
	s_delay_alu instid0(VALU_DEP_2) | instskip(NEXT) | instid1(VALU_DEP_1)
	v_and_b32_e32 v9, 0xff, v6
	v_cmpx_ne_u16_e32 0, v9
	s_cbranch_execz .LBB424_1161
; %bb.1154:                             ;   in Loop: Header=BB424_707 Depth=1
	v_bfrev_b32_e32 v7, 1
	s_mov_b32 s12, exec_lo
	v_cmpx_ne_u16_e32 0x80, v9
	s_cbranch_execz .LBB424_1160
; %bb.1155:                             ;   in Loop: Header=BB424_707 Depth=1
	v_bfe_u32 v116, v2, 16, 7
	v_mov_b32_e32 v7, 0x7f800001
	s_mov_b32 s13, exec_lo
	s_delay_alu instid0(VALU_DEP_2)
	v_cmpx_ne_u32_e32 0x7f, v116
	s_cbranch_execz .LBB424_1159
; %bb.1156:                             ;   in Loop: Header=BB424_707 Depth=1
	v_and_b32_e32 v9, 7, v6
	v_lshrrev_b32_e32 v7, 3, v116
	s_mov_b32 s15, exec_lo
	v_cmpx_gt_u32_e32 8, v116
; %bb.1157:                             ;   in Loop: Header=BB424_707 Depth=1
	s_delay_alu instid0(VALU_DEP_3) | instskip(NEXT) | instid1(VALU_DEP_1)
	v_clz_i32_u32_e32 v7, v9
	v_min_u32_e32 v7, 32, v7
	s_delay_alu instid0(VALU_DEP_1) | instskip(SKIP_1) | instid1(VALU_DEP_2)
	v_subrev_nc_u32_e32 v116, 28, v7
	v_sub_nc_u32_e32 v7, 29, v7
	v_lshlrev_b64 v[116:117], v116, v[9:10]
	s_delay_alu instid0(VALU_DEP_1)
	v_and_b32_e32 v9, 7, v116
; %bb.1158:                             ;   in Loop: Header=BB424_707 Depth=1
	s_or_b32 exec_lo, exec_lo, s15
	v_lshlrev_b32_e32 v6, 24, v6
	s_delay_alu instid0(VALU_DEP_2) | instskip(SKIP_1) | instid1(VALU_DEP_3)
	v_lshlrev_b32_e32 v9, 20, v9
	v_lshl_add_u32 v7, v7, 23, 0x3c000000
	v_and_b32_e32 v6, 0x80000000, v6
	s_delay_alu instid0(VALU_DEP_1)
	v_or3_b32 v7, v9, v6, v7
.LBB424_1159:                           ;   in Loop: Header=BB424_707 Depth=1
	s_or_b32 exec_lo, exec_lo, s13
.LBB424_1160:                           ;   in Loop: Header=BB424_707 Depth=1
	s_delay_alu instid0(SALU_CYCLE_1)
	s_or_b32 exec_lo, exec_lo, s12
.LBB424_1161:                           ;   in Loop: Header=BB424_707 Depth=1
	s_delay_alu instid0(SALU_CYCLE_1) | instskip(NEXT) | instid1(VALU_DEP_1)
	s_or_b32 exec_lo, exec_lo, s9
	v_mul_f32_e32 v6, v26, v7
                                        ; implicit-def: $vgpr116
	s_delay_alu instid0(VALU_DEP_1) | instskip(NEXT) | instid1(VALU_DEP_1)
	v_and_b32_e32 v7, 0x7f800000, v6
	v_cmp_ne_u32_e64 s0, 0x7f800000, v7
	s_delay_alu instid0(VALU_DEP_1) | instskip(NEXT) | instid1(SALU_CYCLE_1)
	s_and_saveexec_b32 s9, s0
	s_xor_b32 s0, exec_lo, s9
; %bb.1162:                             ;   in Loop: Header=BB424_707 Depth=1
	v_bfe_u32 v7, v6, 16, 1
	s_delay_alu instid0(VALU_DEP_1)
	v_add3_u32 v116, v6, v7, 0x7fff
                                        ; implicit-def: $vgpr6
; %bb.1163:                             ;   in Loop: Header=BB424_707 Depth=1
	s_and_not1_saveexec_b32 s9, s0
; %bb.1164:                             ;   in Loop: Header=BB424_707 Depth=1
	v_and_b32_e32 v7, 0xffff, v6
	v_or_b32_e32 v9, 0x10000, v6
	s_delay_alu instid0(VALU_DEP_2) | instskip(NEXT) | instid1(VALU_DEP_1)
	v_cmp_eq_u32_e64 s0, 0, v7
	v_cndmask_b32_e64 v116, v9, v6, s0
; %bb.1165:                             ;   in Loop: Header=BB424_707 Depth=1
	s_or_b32 exec_lo, exec_lo, s9
	v_mov_b32_e32 v7, 0
	s_mov_b32 s9, exec_lo
	v_cmpx_lt_u32_e32 0xffffff, v2
	s_cbranch_execz .LBB424_1173
; %bb.1166:                             ;   in Loop: Header=BB424_707 Depth=1
	v_lshrrev_b32_e32 v6, 24, v2
	v_bfrev_b32_e32 v7, 1
	s_mov_b32 s12, exec_lo
	s_delay_alu instid0(VALU_DEP_2)
	v_cmpx_ne_u32_e32 0x80, v6
	s_cbranch_execz .LBB424_1172
; %bb.1167:                             ;   in Loop: Header=BB424_707 Depth=1
	v_bfe_u32 v117, v2, 24, 7
	v_mov_b32_e32 v7, 0x7f800001
	s_mov_b32 s13, exec_lo
	s_delay_alu instid0(VALU_DEP_2)
	v_cmpx_ne_u32_e32 0x7f, v117
	s_cbranch_execz .LBB424_1171
; %bb.1168:                             ;   in Loop: Header=BB424_707 Depth=1
	v_and_b32_e32 v9, 7, v6
	v_lshrrev_b32_e32 v7, 3, v117
	s_mov_b32 s15, exec_lo
	v_cmpx_gt_u32_e32 8, v117
; %bb.1169:                             ;   in Loop: Header=BB424_707 Depth=1
	s_delay_alu instid0(VALU_DEP_3) | instskip(NEXT) | instid1(VALU_DEP_1)
	v_clz_i32_u32_e32 v7, v9
	v_min_u32_e32 v7, 32, v7
	s_delay_alu instid0(VALU_DEP_1) | instskip(SKIP_1) | instid1(VALU_DEP_2)
	v_subrev_nc_u32_e32 v117, 28, v7
	v_sub_nc_u32_e32 v7, 29, v7
	v_lshlrev_b64 v[117:118], v117, v[9:10]
	s_delay_alu instid0(VALU_DEP_1)
	v_and_b32_e32 v9, 7, v117
; %bb.1170:                             ;   in Loop: Header=BB424_707 Depth=1
	s_or_b32 exec_lo, exec_lo, s15
	v_lshlrev_b32_e32 v6, 24, v6
	s_delay_alu instid0(VALU_DEP_2) | instskip(SKIP_1) | instid1(VALU_DEP_3)
	v_lshlrev_b32_e32 v9, 20, v9
	v_lshl_add_u32 v7, v7, 23, 0x3c000000
	v_and_b32_e32 v6, 0x80000000, v6
	s_delay_alu instid0(VALU_DEP_1)
	v_or3_b32 v7, v9, v6, v7
.LBB424_1171:                           ;   in Loop: Header=BB424_707 Depth=1
	s_or_b32 exec_lo, exec_lo, s13
.LBB424_1172:                           ;   in Loop: Header=BB424_707 Depth=1
	s_delay_alu instid0(SALU_CYCLE_1)
	s_or_b32 exec_lo, exec_lo, s12
.LBB424_1173:                           ;   in Loop: Header=BB424_707 Depth=1
	s_delay_alu instid0(SALU_CYCLE_1) | instskip(NEXT) | instid1(VALU_DEP_1)
	s_or_b32 exec_lo, exec_lo, s9
	v_mul_f32_e32 v6, v26, v7
                                        ; implicit-def: $vgpr117
	s_delay_alu instid0(VALU_DEP_1) | instskip(NEXT) | instid1(VALU_DEP_1)
	v_and_b32_e32 v7, 0x7f800000, v6
	v_cmp_ne_u32_e64 s0, 0x7f800000, v7
	s_delay_alu instid0(VALU_DEP_1) | instskip(NEXT) | instid1(SALU_CYCLE_1)
	s_and_saveexec_b32 s9, s0
	s_xor_b32 s0, exec_lo, s9
; %bb.1174:                             ;   in Loop: Header=BB424_707 Depth=1
	v_bfe_u32 v7, v6, 16, 1
	s_delay_alu instid0(VALU_DEP_1)
	v_add3_u32 v117, v6, v7, 0x7fff
                                        ; implicit-def: $vgpr6
; %bb.1175:                             ;   in Loop: Header=BB424_707 Depth=1
	s_and_not1_saveexec_b32 s9, s0
; %bb.1176:                             ;   in Loop: Header=BB424_707 Depth=1
	v_and_b32_e32 v7, 0xffff, v6
	v_or_b32_e32 v9, 0x10000, v6
	s_delay_alu instid0(VALU_DEP_2) | instskip(NEXT) | instid1(VALU_DEP_1)
	v_cmp_eq_u32_e64 s0, 0, v7
	v_cndmask_b32_e64 v117, v9, v6, s0
; %bb.1177:                             ;   in Loop: Header=BB424_707 Depth=1
	s_or_b32 exec_lo, exec_lo, s9
	v_dual_mov_b32 v6, 0 :: v_dual_and_b32 v7, 0xff, v3
	v_mov_b32_e32 v9, v3
	s_mov_b32 s9, exec_lo
	s_delay_alu instid0(VALU_DEP_2)
	v_cmpx_ne_u16_e32 0, v7
	s_cbranch_execz .LBB424_1185
; %bb.1178:                             ;   in Loop: Header=BB424_707 Depth=1
	v_bfrev_b32_e32 v6, 1
	s_mov_b32 s12, exec_lo
	v_cmpx_ne_u16_e32 0x80, v7
	s_cbranch_execz .LBB424_1184
; %bb.1179:                             ;   in Loop: Header=BB424_707 Depth=1
	v_and_b32_e32 v7, 0x7f, v3
	v_mov_b32_e32 v6, 0x7f800001
	s_mov_b32 s13, exec_lo
	s_delay_alu instid0(VALU_DEP_2)
	v_cmpx_ne_u32_e32 0x7f, v7
	s_cbranch_execz .LBB424_1183
; %bb.1180:                             ;   in Loop: Header=BB424_707 Depth=1
	v_lshrrev_b32_e32 v118, 3, v7
	v_cmp_gt_u32_e64 s0, 8, v7
	v_dual_mov_b32 v6, v9 :: v_dual_mov_b32 v7, v10
	s_delay_alu instid0(VALU_DEP_2)
	s_and_saveexec_b32 s15, s0
; %bb.1181:                             ;   in Loop: Header=BB424_707 Depth=1
	v_and_b32_e32 v6, 7, v3
	s_delay_alu instid0(VALU_DEP_1) | instskip(NEXT) | instid1(VALU_DEP_1)
	v_clz_i32_u32_e32 v6, v6
	v_min_u32_e32 v118, 32, v6
	s_delay_alu instid0(VALU_DEP_1) | instskip(SKIP_1) | instid1(VALU_DEP_2)
	v_subrev_nc_u32_e32 v6, 28, v118
	v_sub_nc_u32_e32 v118, 29, v118
	v_lshlrev_b64 v[6:7], v6, v[9:10]
; %bb.1182:                             ;   in Loop: Header=BB424_707 Depth=1
	s_or_b32 exec_lo, exec_lo, s15
	s_delay_alu instid0(VALU_DEP_1) | instskip(SKIP_2) | instid1(VALU_DEP_3)
	v_lshlrev_b32_e32 v6, 20, v6
	v_lshlrev_b32_e32 v7, 24, v9
	v_lshl_add_u32 v118, v118, 23, 0x3c000000
	v_and_b32_e32 v6, 0x700000, v6
	s_delay_alu instid0(VALU_DEP_3) | instskip(NEXT) | instid1(VALU_DEP_1)
	v_and_b32_e32 v7, 0x80000000, v7
	v_or3_b32 v6, v6, v7, v118
.LBB424_1183:                           ;   in Loop: Header=BB424_707 Depth=1
	s_or_b32 exec_lo, exec_lo, s13
.LBB424_1184:                           ;   in Loop: Header=BB424_707 Depth=1
	s_delay_alu instid0(SALU_CYCLE_1)
	s_or_b32 exec_lo, exec_lo, s12
.LBB424_1185:                           ;   in Loop: Header=BB424_707 Depth=1
	s_delay_alu instid0(SALU_CYCLE_1) | instskip(NEXT) | instid1(VALU_DEP_1)
	s_or_b32 exec_lo, exec_lo, s9
	v_mul_f32_e32 v6, v26, v6
                                        ; implicit-def: $vgpr118
	s_delay_alu instid0(VALU_DEP_1) | instskip(NEXT) | instid1(VALU_DEP_1)
	v_and_b32_e32 v7, 0x7f800000, v6
	v_cmp_ne_u32_e64 s0, 0x7f800000, v7
	s_delay_alu instid0(VALU_DEP_1) | instskip(NEXT) | instid1(SALU_CYCLE_1)
	s_and_saveexec_b32 s9, s0
	s_xor_b32 s0, exec_lo, s9
; %bb.1186:                             ;   in Loop: Header=BB424_707 Depth=1
	v_bfe_u32 v7, v6, 16, 1
	s_delay_alu instid0(VALU_DEP_1)
	v_add3_u32 v118, v6, v7, 0x7fff
                                        ; implicit-def: $vgpr6
; %bb.1187:                             ;   in Loop: Header=BB424_707 Depth=1
	s_and_not1_saveexec_b32 s9, s0
; %bb.1188:                             ;   in Loop: Header=BB424_707 Depth=1
	v_and_b32_e32 v7, 0xffff, v6
	v_or_b32_e32 v118, 0x10000, v6
	s_delay_alu instid0(VALU_DEP_2) | instskip(NEXT) | instid1(VALU_DEP_1)
	v_cmp_eq_u32_e64 s0, 0, v7
	v_cndmask_b32_e64 v118, v118, v6, s0
; %bb.1189:                             ;   in Loop: Header=BB424_707 Depth=1
	s_or_b32 exec_lo, exec_lo, s9
	v_lshrrev_b16 v7, 8, v9
	v_mov_b32_e32 v6, 0
	s_mov_b32 s9, exec_lo
	s_delay_alu instid0(VALU_DEP_2)
	v_cmpx_ne_u16_e32 0, v7
	s_cbranch_execz .LBB424_1197
; %bb.1190:                             ;   in Loop: Header=BB424_707 Depth=1
	v_bfrev_b32_e32 v6, 1
	s_mov_b32 s12, exec_lo
	v_cmpx_ne_u16_e32 0x80, v7
	s_cbranch_execz .LBB424_1196
; %bb.1191:                             ;   in Loop: Header=BB424_707 Depth=1
	v_and_b32_e32 v7, 0xffff, v7
	v_mov_b32_e32 v6, 0x7f800001
	s_mov_b32 s13, exec_lo
	s_delay_alu instid0(VALU_DEP_2) | instskip(NEXT) | instid1(VALU_DEP_1)
	v_and_b32_e32 v128, 0x7f, v7
	v_cmpx_ne_u32_e32 0x7f, v128
	s_cbranch_execz .LBB424_1195
; %bb.1192:                             ;   in Loop: Header=BB424_707 Depth=1
	v_dual_mov_b32 v7, v10 :: v_dual_and_b32 v6, 7, v7
	v_lshrrev_b32_e32 v119, 3, v128
	s_mov_b32 s15, exec_lo
	v_cmpx_gt_u32_e32 8, v128
; %bb.1193:                             ;   in Loop: Header=BB424_707 Depth=1
	s_delay_alu instid0(VALU_DEP_3) | instskip(NEXT) | instid1(VALU_DEP_1)
	v_clz_i32_u32_e32 v119, v6
	v_min_u32_e32 v119, 32, v119
	s_delay_alu instid0(VALU_DEP_1) | instskip(SKIP_1) | instid1(VALU_DEP_2)
	v_subrev_nc_u32_e32 v128, 28, v119
	v_sub_nc_u32_e32 v119, 29, v119
	v_lshlrev_b64 v[6:7], v128, v[6:7]
	s_delay_alu instid0(VALU_DEP_1)
	v_and_b32_e32 v6, 7, v6
; %bb.1194:                             ;   in Loop: Header=BB424_707 Depth=1
	s_or_b32 exec_lo, exec_lo, s15
	v_lshlrev_b32_e32 v7, 16, v9
	s_delay_alu instid0(VALU_DEP_2) | instskip(SKIP_1) | instid1(VALU_DEP_3)
	v_lshlrev_b32_e32 v6, 20, v6
	v_lshl_add_u32 v9, v119, 23, 0x3c000000
	v_and_b32_e32 v7, 0x80000000, v7
	s_delay_alu instid0(VALU_DEP_1)
	v_or3_b32 v6, v6, v7, v9
.LBB424_1195:                           ;   in Loop: Header=BB424_707 Depth=1
	s_or_b32 exec_lo, exec_lo, s13
.LBB424_1196:                           ;   in Loop: Header=BB424_707 Depth=1
	s_delay_alu instid0(SALU_CYCLE_1)
	s_or_b32 exec_lo, exec_lo, s12
.LBB424_1197:                           ;   in Loop: Header=BB424_707 Depth=1
	s_delay_alu instid0(SALU_CYCLE_1) | instskip(NEXT) | instid1(VALU_DEP_1)
	s_or_b32 exec_lo, exec_lo, s9
	v_mul_f32_e32 v7, v26, v6
	s_delay_alu instid0(VALU_DEP_1) | instskip(NEXT) | instid1(VALU_DEP_1)
	v_and_b32_e32 v6, 0x7f800000, v7
	v_cmp_ne_u32_e64 s0, 0x7f800000, v6
                                        ; implicit-def: $vgpr6
	s_delay_alu instid0(VALU_DEP_1) | instskip(NEXT) | instid1(SALU_CYCLE_1)
	s_and_saveexec_b32 s9, s0
	s_xor_b32 s0, exec_lo, s9
; %bb.1198:                             ;   in Loop: Header=BB424_707 Depth=1
	v_bfe_u32 v6, v7, 16, 1
	s_delay_alu instid0(VALU_DEP_1)
	v_add3_u32 v6, v7, v6, 0x7fff
                                        ; implicit-def: $vgpr7
; %bb.1199:                             ;   in Loop: Header=BB424_707 Depth=1
	s_and_not1_saveexec_b32 s9, s0
; %bb.1200:                             ;   in Loop: Header=BB424_707 Depth=1
	v_and_b32_e32 v6, 0xffff, v7
	v_or_b32_e32 v9, 0x10000, v7
	s_delay_alu instid0(VALU_DEP_2) | instskip(NEXT) | instid1(VALU_DEP_1)
	v_cmp_eq_u32_e64 s0, 0, v6
	v_cndmask_b32_e64 v6, v9, v7, s0
; %bb.1201:                             ;   in Loop: Header=BB424_707 Depth=1
	s_or_b32 exec_lo, exec_lo, s9
	v_lshrrev_b32_e32 v7, 16, v3
	v_mov_b32_e32 v9, 0
	s_mov_b32 s9, exec_lo
	s_delay_alu instid0(VALU_DEP_2) | instskip(NEXT) | instid1(VALU_DEP_1)
	v_and_b32_e32 v119, 0xff, v7
	v_cmpx_ne_u16_e32 0, v119
	s_cbranch_execz .LBB424_1209
; %bb.1202:                             ;   in Loop: Header=BB424_707 Depth=1
	v_bfrev_b32_e32 v9, 1
	s_mov_b32 s12, exec_lo
	v_cmpx_ne_u16_e32 0x80, v119
	s_cbranch_execz .LBB424_1208
; %bb.1203:                             ;   in Loop: Header=BB424_707 Depth=1
	v_bfe_u32 v128, v3, 16, 7
	v_mov_b32_e32 v9, 0x7f800001
	s_mov_b32 s13, exec_lo
	s_delay_alu instid0(VALU_DEP_2)
	v_cmpx_ne_u32_e32 0x7f, v128
	s_cbranch_execz .LBB424_1207
; %bb.1204:                             ;   in Loop: Header=BB424_707 Depth=1
	v_and_b32_e32 v9, 7, v7
	v_lshrrev_b32_e32 v119, 3, v128
	s_mov_b32 s15, exec_lo
	v_cmpx_gt_u32_e32 8, v128
; %bb.1205:                             ;   in Loop: Header=BB424_707 Depth=1
	s_delay_alu instid0(VALU_DEP_3) | instskip(NEXT) | instid1(VALU_DEP_1)
	v_clz_i32_u32_e32 v119, v9
	v_min_u32_e32 v119, 32, v119
	s_delay_alu instid0(VALU_DEP_1) | instskip(SKIP_1) | instid1(VALU_DEP_2)
	v_subrev_nc_u32_e32 v128, 28, v119
	v_sub_nc_u32_e32 v119, 29, v119
	v_lshlrev_b64 v[128:129], v128, v[9:10]
	s_delay_alu instid0(VALU_DEP_1)
	v_and_b32_e32 v9, 7, v128
; %bb.1206:                             ;   in Loop: Header=BB424_707 Depth=1
	s_or_b32 exec_lo, exec_lo, s15
	v_lshlrev_b32_e32 v7, 24, v7
	s_delay_alu instid0(VALU_DEP_2) | instskip(SKIP_1) | instid1(VALU_DEP_3)
	v_lshlrev_b32_e32 v9, 20, v9
	v_lshl_add_u32 v119, v119, 23, 0x3c000000
	v_and_b32_e32 v7, 0x80000000, v7
	s_delay_alu instid0(VALU_DEP_1)
	v_or3_b32 v9, v9, v7, v119
.LBB424_1207:                           ;   in Loop: Header=BB424_707 Depth=1
	s_or_b32 exec_lo, exec_lo, s13
.LBB424_1208:                           ;   in Loop: Header=BB424_707 Depth=1
	s_delay_alu instid0(SALU_CYCLE_1)
	s_or_b32 exec_lo, exec_lo, s12
.LBB424_1209:                           ;   in Loop: Header=BB424_707 Depth=1
	s_delay_alu instid0(SALU_CYCLE_1) | instskip(NEXT) | instid1(VALU_DEP_1)
	s_or_b32 exec_lo, exec_lo, s9
	v_mul_f32_e32 v7, v26, v9
                                        ; implicit-def: $vgpr119
	s_delay_alu instid0(VALU_DEP_1) | instskip(NEXT) | instid1(VALU_DEP_1)
	v_and_b32_e32 v9, 0x7f800000, v7
	v_cmp_ne_u32_e64 s0, 0x7f800000, v9
	s_delay_alu instid0(VALU_DEP_1) | instskip(NEXT) | instid1(SALU_CYCLE_1)
	s_and_saveexec_b32 s9, s0
	s_xor_b32 s0, exec_lo, s9
; %bb.1210:                             ;   in Loop: Header=BB424_707 Depth=1
	v_bfe_u32 v9, v7, 16, 1
	s_delay_alu instid0(VALU_DEP_1)
	v_add3_u32 v119, v7, v9, 0x7fff
                                        ; implicit-def: $vgpr7
; %bb.1211:                             ;   in Loop: Header=BB424_707 Depth=1
	s_and_not1_saveexec_b32 s9, s0
; %bb.1212:                             ;   in Loop: Header=BB424_707 Depth=1
	v_and_b32_e32 v9, 0xffff, v7
	v_or_b32_e32 v119, 0x10000, v7
	s_delay_alu instid0(VALU_DEP_2) | instskip(NEXT) | instid1(VALU_DEP_1)
	v_cmp_eq_u32_e64 s0, 0, v9
	v_cndmask_b32_e64 v119, v119, v7, s0
; %bb.1213:                             ;   in Loop: Header=BB424_707 Depth=1
	s_or_b32 exec_lo, exec_lo, s9
	v_mov_b32_e32 v7, 0
	s_mov_b32 s9, exec_lo
	v_cmpx_lt_u64_e64 s[2:3], v[2:3]
	s_cbranch_execz .LBB424_1221
; %bb.1214:                             ;   in Loop: Header=BB424_707 Depth=1
	v_lshrrev_b32_e32 v2, 24, v3
	v_bfrev_b32_e32 v7, 1
	s_mov_b32 s12, exec_lo
	s_delay_alu instid0(VALU_DEP_2)
	v_cmpx_ne_u32_e32 0x80, v2
	s_cbranch_execz .LBB424_1220
; %bb.1215:                             ;   in Loop: Header=BB424_707 Depth=1
	v_bfe_u32 v128, v3, 24, 7
	v_mov_b32_e32 v7, 0x7f800001
	s_mov_b32 s13, exec_lo
	s_delay_alu instid0(VALU_DEP_2)
	v_cmpx_ne_u32_e32 0x7f, v128
	s_cbranch_execz .LBB424_1219
; %bb.1216:                             ;   in Loop: Header=BB424_707 Depth=1
	v_and_b32_e32 v9, 7, v2
	v_lshrrev_b32_e32 v3, 3, v128
	s_mov_b32 s15, exec_lo
	v_cmpx_gt_u32_e32 8, v128
; %bb.1217:                             ;   in Loop: Header=BB424_707 Depth=1
	s_delay_alu instid0(VALU_DEP_3) | instskip(NEXT) | instid1(VALU_DEP_1)
	v_clz_i32_u32_e32 v3, v9
	v_min_u32_e32 v3, 32, v3
	s_delay_alu instid0(VALU_DEP_1) | instskip(SKIP_1) | instid1(VALU_DEP_2)
	v_subrev_nc_u32_e32 v7, 28, v3
	v_sub_nc_u32_e32 v3, 29, v3
	v_lshlrev_b64 v[128:129], v7, v[9:10]
	s_delay_alu instid0(VALU_DEP_1)
	v_and_b32_e32 v9, 7, v128
; %bb.1218:                             ;   in Loop: Header=BB424_707 Depth=1
	s_or_b32 exec_lo, exec_lo, s15
	v_lshlrev_b32_e32 v2, 24, v2
	s_delay_alu instid0(VALU_DEP_2) | instskip(SKIP_1) | instid1(VALU_DEP_3)
	v_lshlrev_b32_e32 v7, 20, v9
	v_lshl_add_u32 v3, v3, 23, 0x3c000000
	v_and_b32_e32 v2, 0x80000000, v2
	s_delay_alu instid0(VALU_DEP_1)
	v_or3_b32 v7, v7, v2, v3
.LBB424_1219:                           ;   in Loop: Header=BB424_707 Depth=1
	s_or_b32 exec_lo, exec_lo, s13
.LBB424_1220:                           ;   in Loop: Header=BB424_707 Depth=1
	s_delay_alu instid0(SALU_CYCLE_1)
	s_or_b32 exec_lo, exec_lo, s12
.LBB424_1221:                           ;   in Loop: Header=BB424_707 Depth=1
	s_delay_alu instid0(SALU_CYCLE_1) | instskip(NEXT) | instid1(VALU_DEP_1)
	s_or_b32 exec_lo, exec_lo, s9
	v_mul_f32_e32 v3, v26, v7
	s_delay_alu instid0(VALU_DEP_1) | instskip(NEXT) | instid1(VALU_DEP_1)
	v_and_b32_e32 v2, 0x7f800000, v3
	v_cmp_ne_u32_e64 s0, 0x7f800000, v2
                                        ; implicit-def: $vgpr2
	s_delay_alu instid0(VALU_DEP_1) | instskip(NEXT) | instid1(SALU_CYCLE_1)
	s_and_saveexec_b32 s9, s0
	s_xor_b32 s0, exec_lo, s9
; %bb.1222:                             ;   in Loop: Header=BB424_707 Depth=1
	v_bfe_u32 v2, v3, 16, 1
	s_delay_alu instid0(VALU_DEP_1)
	v_add3_u32 v2, v3, v2, 0x7fff
                                        ; implicit-def: $vgpr3
; %bb.1223:                             ;   in Loop: Header=BB424_707 Depth=1
	s_and_not1_saveexec_b32 s9, s0
; %bb.1224:                             ;   in Loop: Header=BB424_707 Depth=1
	v_and_b32_e32 v2, 0xffff, v3
	v_or_b32_e32 v7, 0x10000, v3
	s_delay_alu instid0(VALU_DEP_2) | instskip(NEXT) | instid1(VALU_DEP_1)
	v_cmp_eq_u32_e64 s0, 0, v2
	v_cndmask_b32_e64 v2, v7, v3, s0
; %bb.1225:                             ;   in Loop: Header=BB424_707 Depth=1
	s_or_b32 exec_lo, exec_lo, s9
	v_lshrrev_b32_e32 v6, 16, v6
	v_lshrrev_b32_e32 v7, 16, v118
	;; [unrolled: 1-line block ×8, first 2 shown]
	s_and_saveexec_b32 s9, vcc_lo
	s_cbranch_execz .LBB424_1227
; %bb.1226:                             ;   in Loop: Header=BB424_707 Depth=1
	v_cmp_lt_i32_e64 s0, v51, v33
	s_delay_alu instid0(VALU_DEP_1) | instskip(SKIP_1) | instid1(VALU_DEP_1)
	v_cndmask_b32_e64 v114, 0, v114, s0
	v_cmp_lt_i32_e64 s0, v65, v33
	v_cndmask_b32_e64 v115, 0, v115, s0
	v_cmp_lt_i32_e64 s0, v64, v33
	s_delay_alu instid0(VALU_DEP_1) | instskip(SKIP_1) | instid1(VALU_DEP_1)
	v_cndmask_b32_e64 v116, 0, v116, s0
	v_cmp_lt_i32_e64 s0, v55, v33
	v_cndmask_b32_e64 v9, 0, v9, s0
	;; [unrolled: 5-line block ×4, first 2 shown]
.LBB424_1227:                           ;   in Loop: Header=BB424_707 Depth=1
	s_or_b32 exec_lo, exec_lo, s9
	v_lshlrev_b32_e32 v114, 16, v114
	s_delay_alu instid0(VALU_DEP_1) | instskip(NEXT) | instid1(VALU_DEP_1)
	v_mul_f32_e32 v117, v66, v114
	v_and_b32_e32 v114, 0x7f800000, v117
	s_delay_alu instid0(VALU_DEP_1) | instskip(NEXT) | instid1(VALU_DEP_1)
	v_cmp_ne_u32_e64 s0, 0x7f800000, v114
                                        ; implicit-def: $vgpr114
	s_and_saveexec_b32 s9, s0
	s_delay_alu instid0(SALU_CYCLE_1)
	s_xor_b32 s0, exec_lo, s9
; %bb.1228:                             ;   in Loop: Header=BB424_707 Depth=1
	v_bfe_u32 v114, v117, 16, 1
	s_delay_alu instid0(VALU_DEP_1)
	v_add3_u32 v114, v117, v114, 0x7fff
                                        ; implicit-def: $vgpr117
; %bb.1229:                             ;   in Loop: Header=BB424_707 Depth=1
	s_and_not1_saveexec_b32 s9, s0
; %bb.1230:                             ;   in Loop: Header=BB424_707 Depth=1
	v_and_b32_e32 v114, 0xffff, v117
	v_or_b32_e32 v118, 0x10000, v117
	s_delay_alu instid0(VALU_DEP_2) | instskip(NEXT) | instid1(VALU_DEP_1)
	v_cmp_eq_u32_e64 s0, 0, v114
	v_cndmask_b32_e64 v114, v118, v117, s0
; %bb.1231:                             ;   in Loop: Header=BB424_707 Depth=1
	s_or_b32 exec_lo, exec_lo, s9
	v_lshlrev_b32_e32 v115, 16, v115
	s_delay_alu instid0(VALU_DEP_1) | instskip(NEXT) | instid1(VALU_DEP_1)
	v_mul_f32_e32 v117, v67, v115
	v_and_b32_e32 v115, 0x7f800000, v117
	s_delay_alu instid0(VALU_DEP_1) | instskip(NEXT) | instid1(VALU_DEP_1)
	v_cmp_ne_u32_e64 s0, 0x7f800000, v115
                                        ; implicit-def: $vgpr115
	s_and_saveexec_b32 s9, s0
	s_delay_alu instid0(SALU_CYCLE_1)
	s_xor_b32 s0, exec_lo, s9
; %bb.1232:                             ;   in Loop: Header=BB424_707 Depth=1
	v_bfe_u32 v115, v117, 16, 1
	s_delay_alu instid0(VALU_DEP_1)
	v_add3_u32 v115, v117, v115, 0x7fff
                                        ; implicit-def: $vgpr117
; %bb.1233:                             ;   in Loop: Header=BB424_707 Depth=1
	s_and_not1_saveexec_b32 s9, s0
; %bb.1234:                             ;   in Loop: Header=BB424_707 Depth=1
	v_and_b32_e32 v115, 0xffff, v117
	v_or_b32_e32 v118, 0x10000, v117
	s_delay_alu instid0(VALU_DEP_2) | instskip(NEXT) | instid1(VALU_DEP_1)
	v_cmp_eq_u32_e64 s0, 0, v115
	v_cndmask_b32_e64 v115, v118, v117, s0
; %bb.1235:                             ;   in Loop: Header=BB424_707 Depth=1
	s_or_b32 exec_lo, exec_lo, s9
	v_lshlrev_b32_e32 v116, 16, v116
	s_delay_alu instid0(VALU_DEP_1) | instskip(NEXT) | instid1(VALU_DEP_1)
	v_mul_f32_e32 v117, v68, v116
	v_and_b32_e32 v116, 0x7f800000, v117
	s_delay_alu instid0(VALU_DEP_1) | instskip(NEXT) | instid1(VALU_DEP_1)
	v_cmp_ne_u32_e64 s0, 0x7f800000, v116
                                        ; implicit-def: $vgpr116
	s_and_saveexec_b32 s9, s0
	s_delay_alu instid0(SALU_CYCLE_1)
	s_xor_b32 s0, exec_lo, s9
; %bb.1236:                             ;   in Loop: Header=BB424_707 Depth=1
	v_bfe_u32 v116, v117, 16, 1
	s_delay_alu instid0(VALU_DEP_1)
	v_add3_u32 v116, v117, v116, 0x7fff
                                        ; implicit-def: $vgpr117
; %bb.1237:                             ;   in Loop: Header=BB424_707 Depth=1
	s_and_not1_saveexec_b32 s9, s0
; %bb.1238:                             ;   in Loop: Header=BB424_707 Depth=1
	v_and_b32_e32 v116, 0xffff, v117
	v_or_b32_e32 v118, 0x10000, v117
	s_delay_alu instid0(VALU_DEP_2) | instskip(NEXT) | instid1(VALU_DEP_1)
	v_cmp_eq_u32_e64 s0, 0, v116
	v_cndmask_b32_e64 v116, v118, v117, s0
; %bb.1239:                             ;   in Loop: Header=BB424_707 Depth=1
	s_or_b32 exec_lo, exec_lo, s9
	v_lshlrev_b32_e32 v9, 16, v9
	s_delay_alu instid0(VALU_DEP_1) | instskip(NEXT) | instid1(VALU_DEP_1)
	v_mul_f32_e32 v9, v69, v9
	v_and_b32_e32 v117, 0x7f800000, v9
	s_delay_alu instid0(VALU_DEP_1) | instskip(NEXT) | instid1(VALU_DEP_1)
	v_cmp_ne_u32_e64 s0, 0x7f800000, v117
                                        ; implicit-def: $vgpr117
	s_and_saveexec_b32 s9, s0
	s_delay_alu instid0(SALU_CYCLE_1)
	s_xor_b32 s0, exec_lo, s9
; %bb.1240:                             ;   in Loop: Header=BB424_707 Depth=1
	v_bfe_u32 v117, v9, 16, 1
	s_delay_alu instid0(VALU_DEP_1)
	v_add3_u32 v117, v9, v117, 0x7fff
                                        ; implicit-def: $vgpr9
; %bb.1241:                             ;   in Loop: Header=BB424_707 Depth=1
	s_and_not1_saveexec_b32 s9, s0
; %bb.1242:                             ;   in Loop: Header=BB424_707 Depth=1
	v_and_b32_e32 v117, 0xffff, v9
	v_or_b32_e32 v118, 0x10000, v9
	s_delay_alu instid0(VALU_DEP_2) | instskip(NEXT) | instid1(VALU_DEP_1)
	v_cmp_eq_u32_e64 s0, 0, v117
	v_cndmask_b32_e64 v117, v118, v9, s0
; %bb.1243:                             ;   in Loop: Header=BB424_707 Depth=1
	s_or_b32 exec_lo, exec_lo, s9
	v_lshlrev_b32_e32 v7, 16, v7
                                        ; implicit-def: $vgpr118
	s_delay_alu instid0(VALU_DEP_1) | instskip(NEXT) | instid1(VALU_DEP_1)
	v_mul_f32_e32 v7, v70, v7
	v_and_b32_e32 v9, 0x7f800000, v7
	s_delay_alu instid0(VALU_DEP_1) | instskip(NEXT) | instid1(VALU_DEP_1)
	v_cmp_ne_u32_e64 s0, 0x7f800000, v9
	s_and_saveexec_b32 s9, s0
	s_delay_alu instid0(SALU_CYCLE_1)
	s_xor_b32 s0, exec_lo, s9
; %bb.1244:                             ;   in Loop: Header=BB424_707 Depth=1
	v_bfe_u32 v9, v7, 16, 1
	s_delay_alu instid0(VALU_DEP_1)
	v_add3_u32 v118, v7, v9, 0x7fff
                                        ; implicit-def: $vgpr7
; %bb.1245:                             ;   in Loop: Header=BB424_707 Depth=1
	s_and_not1_saveexec_b32 s9, s0
; %bb.1246:                             ;   in Loop: Header=BB424_707 Depth=1
	v_and_b32_e32 v9, 0xffff, v7
	v_or_b32_e32 v118, 0x10000, v7
	s_delay_alu instid0(VALU_DEP_2) | instskip(NEXT) | instid1(VALU_DEP_1)
	v_cmp_eq_u32_e64 s0, 0, v9
	v_cndmask_b32_e64 v118, v118, v7, s0
; %bb.1247:                             ;   in Loop: Header=BB424_707 Depth=1
	s_or_b32 exec_lo, exec_lo, s9
	v_lshlrev_b32_e32 v6, 16, v6
                                        ; implicit-def: $vgpr119
	s_delay_alu instid0(VALU_DEP_1) | instskip(NEXT) | instid1(VALU_DEP_1)
	v_mul_f32_e32 v6, v71, v6
	v_and_b32_e32 v7, 0x7f800000, v6
	s_delay_alu instid0(VALU_DEP_1) | instskip(NEXT) | instid1(VALU_DEP_1)
	v_cmp_ne_u32_e64 s0, 0x7f800000, v7
	s_and_saveexec_b32 s9, s0
	s_delay_alu instid0(SALU_CYCLE_1)
	s_xor_b32 s0, exec_lo, s9
; %bb.1248:                             ;   in Loop: Header=BB424_707 Depth=1
	v_bfe_u32 v7, v6, 16, 1
	s_delay_alu instid0(VALU_DEP_1)
	v_add3_u32 v119, v6, v7, 0x7fff
                                        ; implicit-def: $vgpr6
; %bb.1249:                             ;   in Loop: Header=BB424_707 Depth=1
	s_and_not1_saveexec_b32 s9, s0
; %bb.1250:                             ;   in Loop: Header=BB424_707 Depth=1
	v_and_b32_e32 v7, 0xffff, v6
	v_or_b32_e32 v9, 0x10000, v6
	s_delay_alu instid0(VALU_DEP_2) | instskip(NEXT) | instid1(VALU_DEP_1)
	v_cmp_eq_u32_e64 s0, 0, v7
	v_cndmask_b32_e64 v119, v9, v6, s0
; %bb.1251:                             ;   in Loop: Header=BB424_707 Depth=1
	s_or_b32 exec_lo, exec_lo, s9
	v_lshlrev_b32_e32 v3, 16, v3
                                        ; implicit-def: $vgpr128
	s_delay_alu instid0(VALU_DEP_1) | instskip(NEXT) | instid1(VALU_DEP_1)
	v_mul_f32_e32 v3, v80, v3
	v_and_b32_e32 v6, 0x7f800000, v3
	s_delay_alu instid0(VALU_DEP_1) | instskip(NEXT) | instid1(VALU_DEP_1)
	v_cmp_ne_u32_e64 s0, 0x7f800000, v6
	s_and_saveexec_b32 s9, s0
	s_delay_alu instid0(SALU_CYCLE_1)
	s_xor_b32 s0, exec_lo, s9
; %bb.1252:                             ;   in Loop: Header=BB424_707 Depth=1
	v_bfe_u32 v6, v3, 16, 1
	s_delay_alu instid0(VALU_DEP_1)
	v_add3_u32 v128, v3, v6, 0x7fff
                                        ; implicit-def: $vgpr3
; %bb.1253:                             ;   in Loop: Header=BB424_707 Depth=1
	s_and_not1_saveexec_b32 s9, s0
; %bb.1254:                             ;   in Loop: Header=BB424_707 Depth=1
	v_and_b32_e32 v6, 0xffff, v3
	v_or_b32_e32 v7, 0x10000, v3
	s_delay_alu instid0(VALU_DEP_2) | instskip(NEXT) | instid1(VALU_DEP_1)
	v_cmp_eq_u32_e64 s0, 0, v6
	v_cndmask_b32_e64 v128, v7, v3, s0
; %bb.1255:                             ;   in Loop: Header=BB424_707 Depth=1
	s_or_b32 exec_lo, exec_lo, s9
	v_lshlrev_b32_e32 v2, 16, v2
                                        ; implicit-def: $vgpr129
	s_delay_alu instid0(VALU_DEP_1) | instskip(NEXT) | instid1(VALU_DEP_1)
	v_mul_f32_e32 v2, v81, v2
	v_and_b32_e32 v3, 0x7f800000, v2
	s_delay_alu instid0(VALU_DEP_1) | instskip(NEXT) | instid1(VALU_DEP_1)
	v_cmp_ne_u32_e64 s0, 0x7f800000, v3
	s_and_saveexec_b32 s9, s0
	s_delay_alu instid0(SALU_CYCLE_1)
	s_xor_b32 s0, exec_lo, s9
; %bb.1256:                             ;   in Loop: Header=BB424_707 Depth=1
	v_bfe_u32 v3, v2, 16, 1
	s_delay_alu instid0(VALU_DEP_1)
	v_add3_u32 v129, v2, v3, 0x7fff
                                        ; implicit-def: $vgpr2
; %bb.1257:                             ;   in Loop: Header=BB424_707 Depth=1
	s_and_not1_saveexec_b32 s9, s0
; %bb.1258:                             ;   in Loop: Header=BB424_707 Depth=1
	v_and_b32_e32 v3, 0xffff, v2
	v_or_b32_e32 v6, 0x10000, v2
	s_delay_alu instid0(VALU_DEP_2) | instskip(NEXT) | instid1(VALU_DEP_1)
	v_cmp_eq_u32_e64 s0, 0, v3
	v_cndmask_b32_e64 v129, v6, v2, s0
; %bb.1259:                             ;   in Loop: Header=BB424_707 Depth=1
	s_or_b32 exec_lo, exec_lo, s9
	flat_load_b64 v[2:3], v[0:1] offset:1024
	s_mov_b32 s9, exec_lo
	s_waitcnt vmcnt(0) lgkmcnt(0)
	v_dual_mov_b32 v6, 0 :: v_dual_and_b32 v7, 0xff, v2
	s_delay_alu instid0(VALU_DEP_1)
	v_cmpx_ne_u16_e32 0, v7
	s_cbranch_execz .LBB424_1267
; %bb.1260:                             ;   in Loop: Header=BB424_707 Depth=1
	v_bfrev_b32_e32 v6, 1
	s_mov_b32 s12, exec_lo
	v_cmpx_ne_u16_e32 0x80, v7
	s_cbranch_execz .LBB424_1266
; %bb.1261:                             ;   in Loop: Header=BB424_707 Depth=1
	v_and_b32_e32 v7, 0x7f, v2
	v_mov_b32_e32 v6, 0x7f800001
	s_mov_b32 s13, exec_lo
	s_delay_alu instid0(VALU_DEP_2)
	v_cmpx_ne_u32_e32 0x7f, v7
	s_cbranch_execz .LBB424_1265
; %bb.1262:                             ;   in Loop: Header=BB424_707 Depth=1
	v_lshrrev_b32_e32 v9, 3, v7
	v_cmp_gt_u32_e64 s0, 8, v7
	v_dual_mov_b32 v7, v3 :: v_dual_mov_b32 v6, v2
	s_delay_alu instid0(VALU_DEP_2)
	s_and_saveexec_b32 s15, s0
; %bb.1263:                             ;   in Loop: Header=BB424_707 Depth=1
	v_and_b32_e32 v6, 7, v2
	s_delay_alu instid0(VALU_DEP_1) | instskip(NEXT) | instid1(VALU_DEP_1)
	v_clz_i32_u32_e32 v6, v6
	v_min_u32_e32 v9, 32, v6
	s_delay_alu instid0(VALU_DEP_1) | instskip(SKIP_1) | instid1(VALU_DEP_2)
	v_subrev_nc_u32_e32 v6, 28, v9
	v_sub_nc_u32_e32 v9, 29, v9
	v_lshlrev_b64 v[6:7], v6, v[2:3]
; %bb.1264:                             ;   in Loop: Header=BB424_707 Depth=1
	s_or_b32 exec_lo, exec_lo, s15
	s_delay_alu instid0(VALU_DEP_1) | instskip(SKIP_2) | instid1(VALU_DEP_3)
	v_lshlrev_b32_e32 v6, 20, v6
	v_lshlrev_b32_e32 v7, 24, v2
	v_lshl_add_u32 v9, v9, 23, 0x3c000000
	v_and_b32_e32 v6, 0x700000, v6
	s_delay_alu instid0(VALU_DEP_3) | instskip(NEXT) | instid1(VALU_DEP_1)
	v_and_b32_e32 v7, 0x80000000, v7
	v_or3_b32 v6, v6, v7, v9
.LBB424_1265:                           ;   in Loop: Header=BB424_707 Depth=1
	s_or_b32 exec_lo, exec_lo, s13
.LBB424_1266:                           ;   in Loop: Header=BB424_707 Depth=1
	s_delay_alu instid0(SALU_CYCLE_1)
	s_or_b32 exec_lo, exec_lo, s12
.LBB424_1267:                           ;   in Loop: Header=BB424_707 Depth=1
	s_delay_alu instid0(SALU_CYCLE_1) | instskip(NEXT) | instid1(VALU_DEP_1)
	s_or_b32 exec_lo, exec_lo, s9
	v_mul_f32_e32 v6, v26, v6
                                        ; implicit-def: $vgpr130
	s_delay_alu instid0(VALU_DEP_1) | instskip(NEXT) | instid1(VALU_DEP_1)
	v_and_b32_e32 v7, 0x7f800000, v6
	v_cmp_ne_u32_e64 s0, 0x7f800000, v7
	s_delay_alu instid0(VALU_DEP_1) | instskip(NEXT) | instid1(SALU_CYCLE_1)
	s_and_saveexec_b32 s9, s0
	s_xor_b32 s0, exec_lo, s9
; %bb.1268:                             ;   in Loop: Header=BB424_707 Depth=1
	v_bfe_u32 v7, v6, 16, 1
	s_delay_alu instid0(VALU_DEP_1)
	v_add3_u32 v130, v6, v7, 0x7fff
                                        ; implicit-def: $vgpr6
; %bb.1269:                             ;   in Loop: Header=BB424_707 Depth=1
	s_and_not1_saveexec_b32 s9, s0
; %bb.1270:                             ;   in Loop: Header=BB424_707 Depth=1
	v_and_b32_e32 v7, 0xffff, v6
	v_or_b32_e32 v9, 0x10000, v6
	s_delay_alu instid0(VALU_DEP_2) | instskip(NEXT) | instid1(VALU_DEP_1)
	v_cmp_eq_u32_e64 s0, 0, v7
	v_cndmask_b32_e64 v130, v9, v6, s0
; %bb.1271:                             ;   in Loop: Header=BB424_707 Depth=1
	s_or_b32 exec_lo, exec_lo, s9
	v_lshrrev_b16 v7, 8, v2
	v_mov_b32_e32 v6, 0
	s_mov_b32 s9, exec_lo
	s_delay_alu instid0(VALU_DEP_2)
	v_cmpx_ne_u16_e32 0, v7
	s_cbranch_execz .LBB424_1279
; %bb.1272:                             ;   in Loop: Header=BB424_707 Depth=1
	v_bfrev_b32_e32 v6, 1
	s_mov_b32 s12, exec_lo
	v_cmpx_ne_u16_e32 0x80, v7
	s_cbranch_execz .LBB424_1278
; %bb.1273:                             ;   in Loop: Header=BB424_707 Depth=1
	v_and_b32_e32 v9, 0xffff, v7
	v_mov_b32_e32 v6, 0x7f800001
	s_mov_b32 s13, exec_lo
	s_delay_alu instid0(VALU_DEP_2) | instskip(NEXT) | instid1(VALU_DEP_1)
	v_and_b32_e32 v7, 0x7f, v9
	v_cmpx_ne_u32_e32 0x7f, v7
	s_cbranch_execz .LBB424_1277
; %bb.1274:                             ;   in Loop: Header=BB424_707 Depth=1
	v_and_b32_e32 v9, 7, v9
	v_lshrrev_b32_e32 v6, 3, v7
	s_mov_b32 s15, exec_lo
	v_cmpx_gt_u32_e32 8, v7
; %bb.1275:                             ;   in Loop: Header=BB424_707 Depth=1
	s_delay_alu instid0(VALU_DEP_3) | instskip(NEXT) | instid1(VALU_DEP_1)
	v_clz_i32_u32_e32 v6, v9
	v_min_u32_e32 v6, 32, v6
	s_delay_alu instid0(VALU_DEP_1) | instskip(SKIP_1) | instid1(VALU_DEP_2)
	v_subrev_nc_u32_e32 v7, 28, v6
	v_sub_nc_u32_e32 v6, 29, v6
	v_lshlrev_b64 v[131:132], v7, v[9:10]
	s_delay_alu instid0(VALU_DEP_1)
	v_and_b32_e32 v9, 7, v131
; %bb.1276:                             ;   in Loop: Header=BB424_707 Depth=1
	s_or_b32 exec_lo, exec_lo, s15
	v_lshlrev_b32_e32 v7, 16, v2
	s_delay_alu instid0(VALU_DEP_2) | instskip(SKIP_1) | instid1(VALU_DEP_3)
	v_lshlrev_b32_e32 v9, 20, v9
	v_lshl_add_u32 v6, v6, 23, 0x3c000000
	v_and_b32_e32 v7, 0x80000000, v7
	s_delay_alu instid0(VALU_DEP_1)
	v_or3_b32 v6, v9, v7, v6
.LBB424_1277:                           ;   in Loop: Header=BB424_707 Depth=1
	s_or_b32 exec_lo, exec_lo, s13
.LBB424_1278:                           ;   in Loop: Header=BB424_707 Depth=1
	s_delay_alu instid0(SALU_CYCLE_1)
	s_or_b32 exec_lo, exec_lo, s12
.LBB424_1279:                           ;   in Loop: Header=BB424_707 Depth=1
	s_delay_alu instid0(SALU_CYCLE_1) | instskip(NEXT) | instid1(VALU_DEP_1)
	s_or_b32 exec_lo, exec_lo, s9
	v_mul_f32_e32 v6, v26, v6
                                        ; implicit-def: $vgpr131
	s_delay_alu instid0(VALU_DEP_1) | instskip(NEXT) | instid1(VALU_DEP_1)
	v_and_b32_e32 v7, 0x7f800000, v6
	v_cmp_ne_u32_e64 s0, 0x7f800000, v7
	s_delay_alu instid0(VALU_DEP_1) | instskip(NEXT) | instid1(SALU_CYCLE_1)
	s_and_saveexec_b32 s9, s0
	s_xor_b32 s0, exec_lo, s9
; %bb.1280:                             ;   in Loop: Header=BB424_707 Depth=1
	v_bfe_u32 v7, v6, 16, 1
	s_delay_alu instid0(VALU_DEP_1)
	v_add3_u32 v131, v6, v7, 0x7fff
                                        ; implicit-def: $vgpr6
; %bb.1281:                             ;   in Loop: Header=BB424_707 Depth=1
	s_and_not1_saveexec_b32 s9, s0
; %bb.1282:                             ;   in Loop: Header=BB424_707 Depth=1
	v_and_b32_e32 v7, 0xffff, v6
	v_or_b32_e32 v9, 0x10000, v6
	s_delay_alu instid0(VALU_DEP_2) | instskip(NEXT) | instid1(VALU_DEP_1)
	v_cmp_eq_u32_e64 s0, 0, v7
	v_cndmask_b32_e64 v131, v9, v6, s0
; %bb.1283:                             ;   in Loop: Header=BB424_707 Depth=1
	s_or_b32 exec_lo, exec_lo, s9
	v_lshrrev_b32_e32 v6, 16, v2
	v_mov_b32_e32 v7, 0
	s_mov_b32 s9, exec_lo
	s_delay_alu instid0(VALU_DEP_2) | instskip(NEXT) | instid1(VALU_DEP_1)
	v_and_b32_e32 v9, 0xff, v6
	v_cmpx_ne_u16_e32 0, v9
	s_cbranch_execz .LBB424_1291
; %bb.1284:                             ;   in Loop: Header=BB424_707 Depth=1
	v_bfrev_b32_e32 v7, 1
	s_mov_b32 s12, exec_lo
	v_cmpx_ne_u16_e32 0x80, v9
	s_cbranch_execz .LBB424_1290
; %bb.1285:                             ;   in Loop: Header=BB424_707 Depth=1
	v_bfe_u32 v132, v2, 16, 7
	v_mov_b32_e32 v7, 0x7f800001
	s_mov_b32 s13, exec_lo
	s_delay_alu instid0(VALU_DEP_2)
	v_cmpx_ne_u32_e32 0x7f, v132
	s_cbranch_execz .LBB424_1289
; %bb.1286:                             ;   in Loop: Header=BB424_707 Depth=1
	v_and_b32_e32 v9, 7, v6
	v_lshrrev_b32_e32 v7, 3, v132
	s_mov_b32 s15, exec_lo
	v_cmpx_gt_u32_e32 8, v132
; %bb.1287:                             ;   in Loop: Header=BB424_707 Depth=1
	s_delay_alu instid0(VALU_DEP_3) | instskip(NEXT) | instid1(VALU_DEP_1)
	v_clz_i32_u32_e32 v7, v9
	v_min_u32_e32 v7, 32, v7
	s_delay_alu instid0(VALU_DEP_1) | instskip(SKIP_1) | instid1(VALU_DEP_2)
	v_subrev_nc_u32_e32 v132, 28, v7
	v_sub_nc_u32_e32 v7, 29, v7
	v_lshlrev_b64 v[132:133], v132, v[9:10]
	s_delay_alu instid0(VALU_DEP_1)
	v_and_b32_e32 v9, 7, v132
; %bb.1288:                             ;   in Loop: Header=BB424_707 Depth=1
	s_or_b32 exec_lo, exec_lo, s15
	v_lshlrev_b32_e32 v6, 24, v6
	s_delay_alu instid0(VALU_DEP_2) | instskip(SKIP_1) | instid1(VALU_DEP_3)
	v_lshlrev_b32_e32 v9, 20, v9
	v_lshl_add_u32 v7, v7, 23, 0x3c000000
	v_and_b32_e32 v6, 0x80000000, v6
	s_delay_alu instid0(VALU_DEP_1)
	v_or3_b32 v7, v9, v6, v7
.LBB424_1289:                           ;   in Loop: Header=BB424_707 Depth=1
	s_or_b32 exec_lo, exec_lo, s13
.LBB424_1290:                           ;   in Loop: Header=BB424_707 Depth=1
	s_delay_alu instid0(SALU_CYCLE_1)
	s_or_b32 exec_lo, exec_lo, s12
.LBB424_1291:                           ;   in Loop: Header=BB424_707 Depth=1
	s_delay_alu instid0(SALU_CYCLE_1) | instskip(NEXT) | instid1(VALU_DEP_1)
	s_or_b32 exec_lo, exec_lo, s9
	v_mul_f32_e32 v6, v26, v7
                                        ; implicit-def: $vgpr132
	s_delay_alu instid0(VALU_DEP_1) | instskip(NEXT) | instid1(VALU_DEP_1)
	v_and_b32_e32 v7, 0x7f800000, v6
	v_cmp_ne_u32_e64 s0, 0x7f800000, v7
	s_delay_alu instid0(VALU_DEP_1) | instskip(NEXT) | instid1(SALU_CYCLE_1)
	s_and_saveexec_b32 s9, s0
	s_xor_b32 s0, exec_lo, s9
; %bb.1292:                             ;   in Loop: Header=BB424_707 Depth=1
	v_bfe_u32 v7, v6, 16, 1
	s_delay_alu instid0(VALU_DEP_1)
	v_add3_u32 v132, v6, v7, 0x7fff
                                        ; implicit-def: $vgpr6
; %bb.1293:                             ;   in Loop: Header=BB424_707 Depth=1
	s_and_not1_saveexec_b32 s9, s0
; %bb.1294:                             ;   in Loop: Header=BB424_707 Depth=1
	v_and_b32_e32 v7, 0xffff, v6
	v_or_b32_e32 v9, 0x10000, v6
	s_delay_alu instid0(VALU_DEP_2) | instskip(NEXT) | instid1(VALU_DEP_1)
	v_cmp_eq_u32_e64 s0, 0, v7
	v_cndmask_b32_e64 v132, v9, v6, s0
; %bb.1295:                             ;   in Loop: Header=BB424_707 Depth=1
	s_or_b32 exec_lo, exec_lo, s9
	v_mov_b32_e32 v7, 0
	s_mov_b32 s9, exec_lo
	v_cmpx_lt_u32_e32 0xffffff, v2
	s_cbranch_execz .LBB424_1303
; %bb.1296:                             ;   in Loop: Header=BB424_707 Depth=1
	v_lshrrev_b32_e32 v6, 24, v2
	v_bfrev_b32_e32 v7, 1
	s_mov_b32 s12, exec_lo
	s_delay_alu instid0(VALU_DEP_2)
	v_cmpx_ne_u32_e32 0x80, v6
	s_cbranch_execz .LBB424_1302
; %bb.1297:                             ;   in Loop: Header=BB424_707 Depth=1
	v_bfe_u32 v133, v2, 24, 7
	v_mov_b32_e32 v7, 0x7f800001
	s_mov_b32 s13, exec_lo
	s_delay_alu instid0(VALU_DEP_2)
	v_cmpx_ne_u32_e32 0x7f, v133
	s_cbranch_execz .LBB424_1301
; %bb.1298:                             ;   in Loop: Header=BB424_707 Depth=1
	v_and_b32_e32 v9, 7, v6
	v_lshrrev_b32_e32 v7, 3, v133
	s_mov_b32 s15, exec_lo
	v_cmpx_gt_u32_e32 8, v133
; %bb.1299:                             ;   in Loop: Header=BB424_707 Depth=1
	s_delay_alu instid0(VALU_DEP_3) | instskip(NEXT) | instid1(VALU_DEP_1)
	v_clz_i32_u32_e32 v7, v9
	v_min_u32_e32 v7, 32, v7
	s_delay_alu instid0(VALU_DEP_1) | instskip(SKIP_1) | instid1(VALU_DEP_2)
	v_subrev_nc_u32_e32 v133, 28, v7
	v_sub_nc_u32_e32 v7, 29, v7
	v_lshlrev_b64 v[133:134], v133, v[9:10]
	s_delay_alu instid0(VALU_DEP_1)
	v_and_b32_e32 v9, 7, v133
; %bb.1300:                             ;   in Loop: Header=BB424_707 Depth=1
	s_or_b32 exec_lo, exec_lo, s15
	v_lshlrev_b32_e32 v6, 24, v6
	s_delay_alu instid0(VALU_DEP_2) | instskip(SKIP_1) | instid1(VALU_DEP_3)
	v_lshlrev_b32_e32 v9, 20, v9
	v_lshl_add_u32 v7, v7, 23, 0x3c000000
	v_and_b32_e32 v6, 0x80000000, v6
	s_delay_alu instid0(VALU_DEP_1)
	v_or3_b32 v7, v9, v6, v7
.LBB424_1301:                           ;   in Loop: Header=BB424_707 Depth=1
	s_or_b32 exec_lo, exec_lo, s13
.LBB424_1302:                           ;   in Loop: Header=BB424_707 Depth=1
	s_delay_alu instid0(SALU_CYCLE_1)
	s_or_b32 exec_lo, exec_lo, s12
.LBB424_1303:                           ;   in Loop: Header=BB424_707 Depth=1
	s_delay_alu instid0(SALU_CYCLE_1) | instskip(NEXT) | instid1(VALU_DEP_1)
	s_or_b32 exec_lo, exec_lo, s9
	v_mul_f32_e32 v6, v26, v7
                                        ; implicit-def: $vgpr133
	s_delay_alu instid0(VALU_DEP_1) | instskip(NEXT) | instid1(VALU_DEP_1)
	v_and_b32_e32 v7, 0x7f800000, v6
	v_cmp_ne_u32_e64 s0, 0x7f800000, v7
	s_delay_alu instid0(VALU_DEP_1) | instskip(NEXT) | instid1(SALU_CYCLE_1)
	s_and_saveexec_b32 s9, s0
	s_xor_b32 s0, exec_lo, s9
; %bb.1304:                             ;   in Loop: Header=BB424_707 Depth=1
	v_bfe_u32 v7, v6, 16, 1
	s_delay_alu instid0(VALU_DEP_1)
	v_add3_u32 v133, v6, v7, 0x7fff
                                        ; implicit-def: $vgpr6
; %bb.1305:                             ;   in Loop: Header=BB424_707 Depth=1
	s_and_not1_saveexec_b32 s9, s0
; %bb.1306:                             ;   in Loop: Header=BB424_707 Depth=1
	v_and_b32_e32 v7, 0xffff, v6
	v_or_b32_e32 v9, 0x10000, v6
	s_delay_alu instid0(VALU_DEP_2) | instskip(NEXT) | instid1(VALU_DEP_1)
	v_cmp_eq_u32_e64 s0, 0, v7
	v_cndmask_b32_e64 v133, v9, v6, s0
; %bb.1307:                             ;   in Loop: Header=BB424_707 Depth=1
	s_or_b32 exec_lo, exec_lo, s9
	v_dual_mov_b32 v6, 0 :: v_dual_and_b32 v7, 0xff, v3
	v_mov_b32_e32 v9, v3
	s_mov_b32 s9, exec_lo
	s_delay_alu instid0(VALU_DEP_2)
	v_cmpx_ne_u16_e32 0, v7
	s_cbranch_execz .LBB424_1315
; %bb.1308:                             ;   in Loop: Header=BB424_707 Depth=1
	v_bfrev_b32_e32 v6, 1
	s_mov_b32 s12, exec_lo
	v_cmpx_ne_u16_e32 0x80, v7
	s_cbranch_execz .LBB424_1314
; %bb.1309:                             ;   in Loop: Header=BB424_707 Depth=1
	v_and_b32_e32 v7, 0x7f, v3
	v_mov_b32_e32 v6, 0x7f800001
	s_mov_b32 s13, exec_lo
	s_delay_alu instid0(VALU_DEP_2)
	v_cmpx_ne_u32_e32 0x7f, v7
	s_cbranch_execz .LBB424_1313
; %bb.1310:                             ;   in Loop: Header=BB424_707 Depth=1
	v_lshrrev_b32_e32 v134, 3, v7
	v_cmp_gt_u32_e64 s0, 8, v7
	v_dual_mov_b32 v6, v9 :: v_dual_mov_b32 v7, v10
	s_delay_alu instid0(VALU_DEP_2)
	s_and_saveexec_b32 s15, s0
; %bb.1311:                             ;   in Loop: Header=BB424_707 Depth=1
	v_and_b32_e32 v6, 7, v3
	s_delay_alu instid0(VALU_DEP_1) | instskip(NEXT) | instid1(VALU_DEP_1)
	v_clz_i32_u32_e32 v6, v6
	v_min_u32_e32 v134, 32, v6
	s_delay_alu instid0(VALU_DEP_1) | instskip(SKIP_1) | instid1(VALU_DEP_2)
	v_subrev_nc_u32_e32 v6, 28, v134
	v_sub_nc_u32_e32 v134, 29, v134
	v_lshlrev_b64 v[6:7], v6, v[9:10]
; %bb.1312:                             ;   in Loop: Header=BB424_707 Depth=1
	s_or_b32 exec_lo, exec_lo, s15
	s_delay_alu instid0(VALU_DEP_1) | instskip(SKIP_2) | instid1(VALU_DEP_3)
	v_lshlrev_b32_e32 v6, 20, v6
	v_lshlrev_b32_e32 v7, 24, v9
	v_lshl_add_u32 v134, v134, 23, 0x3c000000
	v_and_b32_e32 v6, 0x700000, v6
	s_delay_alu instid0(VALU_DEP_3) | instskip(NEXT) | instid1(VALU_DEP_1)
	v_and_b32_e32 v7, 0x80000000, v7
	v_or3_b32 v6, v6, v7, v134
.LBB424_1313:                           ;   in Loop: Header=BB424_707 Depth=1
	s_or_b32 exec_lo, exec_lo, s13
.LBB424_1314:                           ;   in Loop: Header=BB424_707 Depth=1
	s_delay_alu instid0(SALU_CYCLE_1)
	s_or_b32 exec_lo, exec_lo, s12
.LBB424_1315:                           ;   in Loop: Header=BB424_707 Depth=1
	s_delay_alu instid0(SALU_CYCLE_1) | instskip(NEXT) | instid1(VALU_DEP_1)
	s_or_b32 exec_lo, exec_lo, s9
	v_mul_f32_e32 v6, v26, v6
                                        ; implicit-def: $vgpr134
	s_delay_alu instid0(VALU_DEP_1) | instskip(NEXT) | instid1(VALU_DEP_1)
	v_and_b32_e32 v7, 0x7f800000, v6
	v_cmp_ne_u32_e64 s0, 0x7f800000, v7
	s_delay_alu instid0(VALU_DEP_1) | instskip(NEXT) | instid1(SALU_CYCLE_1)
	s_and_saveexec_b32 s9, s0
	s_xor_b32 s0, exec_lo, s9
; %bb.1316:                             ;   in Loop: Header=BB424_707 Depth=1
	v_bfe_u32 v7, v6, 16, 1
	s_delay_alu instid0(VALU_DEP_1)
	v_add3_u32 v134, v6, v7, 0x7fff
                                        ; implicit-def: $vgpr6
; %bb.1317:                             ;   in Loop: Header=BB424_707 Depth=1
	s_and_not1_saveexec_b32 s9, s0
; %bb.1318:                             ;   in Loop: Header=BB424_707 Depth=1
	v_and_b32_e32 v7, 0xffff, v6
	v_or_b32_e32 v134, 0x10000, v6
	s_delay_alu instid0(VALU_DEP_2) | instskip(NEXT) | instid1(VALU_DEP_1)
	v_cmp_eq_u32_e64 s0, 0, v7
	v_cndmask_b32_e64 v134, v134, v6, s0
; %bb.1319:                             ;   in Loop: Header=BB424_707 Depth=1
	s_or_b32 exec_lo, exec_lo, s9
	v_lshrrev_b16 v7, 8, v9
	v_mov_b32_e32 v6, 0
	s_mov_b32 s9, exec_lo
	s_delay_alu instid0(VALU_DEP_2)
	v_cmpx_ne_u16_e32 0, v7
	s_cbranch_execz .LBB424_1327
; %bb.1320:                             ;   in Loop: Header=BB424_707 Depth=1
	v_bfrev_b32_e32 v6, 1
	s_mov_b32 s12, exec_lo
	v_cmpx_ne_u16_e32 0x80, v7
	s_cbranch_execz .LBB424_1326
; %bb.1321:                             ;   in Loop: Header=BB424_707 Depth=1
	v_and_b32_e32 v7, 0xffff, v7
	v_mov_b32_e32 v6, 0x7f800001
	s_mov_b32 s13, exec_lo
	s_delay_alu instid0(VALU_DEP_2) | instskip(NEXT) | instid1(VALU_DEP_1)
	v_and_b32_e32 v144, 0x7f, v7
	v_cmpx_ne_u32_e32 0x7f, v144
	s_cbranch_execz .LBB424_1325
; %bb.1322:                             ;   in Loop: Header=BB424_707 Depth=1
	v_dual_mov_b32 v7, v10 :: v_dual_and_b32 v6, 7, v7
	v_lshrrev_b32_e32 v135, 3, v144
	s_mov_b32 s15, exec_lo
	v_cmpx_gt_u32_e32 8, v144
; %bb.1323:                             ;   in Loop: Header=BB424_707 Depth=1
	s_delay_alu instid0(VALU_DEP_3) | instskip(NEXT) | instid1(VALU_DEP_1)
	v_clz_i32_u32_e32 v135, v6
	v_min_u32_e32 v135, 32, v135
	s_delay_alu instid0(VALU_DEP_1) | instskip(SKIP_1) | instid1(VALU_DEP_2)
	v_subrev_nc_u32_e32 v144, 28, v135
	v_sub_nc_u32_e32 v135, 29, v135
	v_lshlrev_b64 v[6:7], v144, v[6:7]
	s_delay_alu instid0(VALU_DEP_1)
	v_and_b32_e32 v6, 7, v6
; %bb.1324:                             ;   in Loop: Header=BB424_707 Depth=1
	s_or_b32 exec_lo, exec_lo, s15
	v_lshlrev_b32_e32 v7, 16, v9
	s_delay_alu instid0(VALU_DEP_2) | instskip(SKIP_1) | instid1(VALU_DEP_3)
	v_lshlrev_b32_e32 v6, 20, v6
	v_lshl_add_u32 v9, v135, 23, 0x3c000000
	v_and_b32_e32 v7, 0x80000000, v7
	s_delay_alu instid0(VALU_DEP_1)
	v_or3_b32 v6, v6, v7, v9
.LBB424_1325:                           ;   in Loop: Header=BB424_707 Depth=1
	s_or_b32 exec_lo, exec_lo, s13
.LBB424_1326:                           ;   in Loop: Header=BB424_707 Depth=1
	s_delay_alu instid0(SALU_CYCLE_1)
	s_or_b32 exec_lo, exec_lo, s12
.LBB424_1327:                           ;   in Loop: Header=BB424_707 Depth=1
	s_delay_alu instid0(SALU_CYCLE_1) | instskip(NEXT) | instid1(VALU_DEP_1)
	s_or_b32 exec_lo, exec_lo, s9
	v_mul_f32_e32 v7, v26, v6
	s_delay_alu instid0(VALU_DEP_1) | instskip(NEXT) | instid1(VALU_DEP_1)
	v_and_b32_e32 v6, 0x7f800000, v7
	v_cmp_ne_u32_e64 s0, 0x7f800000, v6
                                        ; implicit-def: $vgpr6
	s_delay_alu instid0(VALU_DEP_1) | instskip(NEXT) | instid1(SALU_CYCLE_1)
	s_and_saveexec_b32 s9, s0
	s_xor_b32 s0, exec_lo, s9
; %bb.1328:                             ;   in Loop: Header=BB424_707 Depth=1
	v_bfe_u32 v6, v7, 16, 1
	s_delay_alu instid0(VALU_DEP_1)
	v_add3_u32 v6, v7, v6, 0x7fff
                                        ; implicit-def: $vgpr7
; %bb.1329:                             ;   in Loop: Header=BB424_707 Depth=1
	s_and_not1_saveexec_b32 s9, s0
; %bb.1330:                             ;   in Loop: Header=BB424_707 Depth=1
	v_and_b32_e32 v6, 0xffff, v7
	v_or_b32_e32 v9, 0x10000, v7
	s_delay_alu instid0(VALU_DEP_2) | instskip(NEXT) | instid1(VALU_DEP_1)
	v_cmp_eq_u32_e64 s0, 0, v6
	v_cndmask_b32_e64 v6, v9, v7, s0
; %bb.1331:                             ;   in Loop: Header=BB424_707 Depth=1
	s_or_b32 exec_lo, exec_lo, s9
	v_lshrrev_b32_e32 v7, 16, v3
	v_mov_b32_e32 v9, 0
	s_mov_b32 s9, exec_lo
	s_delay_alu instid0(VALU_DEP_2) | instskip(NEXT) | instid1(VALU_DEP_1)
	v_and_b32_e32 v135, 0xff, v7
	v_cmpx_ne_u16_e64 0, v135
	s_cbranch_execz .LBB424_1339
; %bb.1332:                             ;   in Loop: Header=BB424_707 Depth=1
	v_bfrev_b32_e32 v9, 1
	s_mov_b32 s12, exec_lo
	v_cmpx_ne_u16_e64 0x80, v135
	s_cbranch_execz .LBB424_1338
; %bb.1333:                             ;   in Loop: Header=BB424_707 Depth=1
	v_bfe_u32 v144, v3, 16, 7
	v_mov_b32_e32 v9, 0x7f800001
	s_mov_b32 s13, exec_lo
	s_delay_alu instid0(VALU_DEP_2)
	v_cmpx_ne_u32_e32 0x7f, v144
	s_cbranch_execz .LBB424_1337
; %bb.1334:                             ;   in Loop: Header=BB424_707 Depth=1
	v_and_b32_e32 v9, 7, v7
	v_lshrrev_b32_e32 v135, 3, v144
	s_mov_b32 s15, exec_lo
	v_cmpx_gt_u32_e32 8, v144
; %bb.1335:                             ;   in Loop: Header=BB424_707 Depth=1
	s_delay_alu instid0(VALU_DEP_3) | instskip(NEXT) | instid1(VALU_DEP_1)
	v_clz_i32_u32_e32 v135, v9
	v_min_u32_e32 v135, 32, v135
	s_delay_alu instid0(VALU_DEP_1) | instskip(SKIP_1) | instid1(VALU_DEP_2)
	v_subrev_nc_u32_e32 v144, 28, v135
	v_sub_nc_u32_e32 v135, 29, v135
	v_lshlrev_b64 v[144:145], v144, v[9:10]
	s_delay_alu instid0(VALU_DEP_1)
	v_and_b32_e32 v9, 7, v144
; %bb.1336:                             ;   in Loop: Header=BB424_707 Depth=1
	s_or_b32 exec_lo, exec_lo, s15
	v_lshlrev_b32_e32 v7, 24, v7
	s_delay_alu instid0(VALU_DEP_2) | instskip(SKIP_1) | instid1(VALU_DEP_3)
	v_lshlrev_b32_e32 v9, 20, v9
	v_lshl_add_u32 v135, v135, 23, 0x3c000000
	v_and_b32_e32 v7, 0x80000000, v7
	s_delay_alu instid0(VALU_DEP_1)
	v_or3_b32 v9, v9, v7, v135
.LBB424_1337:                           ;   in Loop: Header=BB424_707 Depth=1
	s_or_b32 exec_lo, exec_lo, s13
.LBB424_1338:                           ;   in Loop: Header=BB424_707 Depth=1
	s_delay_alu instid0(SALU_CYCLE_1)
	s_or_b32 exec_lo, exec_lo, s12
.LBB424_1339:                           ;   in Loop: Header=BB424_707 Depth=1
	s_delay_alu instid0(SALU_CYCLE_1) | instskip(NEXT) | instid1(VALU_DEP_1)
	s_or_b32 exec_lo, exec_lo, s9
	v_mul_f32_e32 v7, v26, v9
                                        ; implicit-def: $vgpr135
	s_delay_alu instid0(VALU_DEP_1) | instskip(NEXT) | instid1(VALU_DEP_1)
	v_and_b32_e32 v9, 0x7f800000, v7
	v_cmp_ne_u32_e64 s0, 0x7f800000, v9
	s_delay_alu instid0(VALU_DEP_1) | instskip(NEXT) | instid1(SALU_CYCLE_1)
	s_and_saveexec_b32 s9, s0
	s_xor_b32 s0, exec_lo, s9
; %bb.1340:                             ;   in Loop: Header=BB424_707 Depth=1
	v_bfe_u32 v9, v7, 16, 1
	s_delay_alu instid0(VALU_DEP_1)
	v_add3_u32 v135, v7, v9, 0x7fff
                                        ; implicit-def: $vgpr7
; %bb.1341:                             ;   in Loop: Header=BB424_707 Depth=1
	s_and_not1_saveexec_b32 s9, s0
; %bb.1342:                             ;   in Loop: Header=BB424_707 Depth=1
	v_and_b32_e32 v9, 0xffff, v7
	v_or_b32_e32 v135, 0x10000, v7
	s_delay_alu instid0(VALU_DEP_2) | instskip(NEXT) | instid1(VALU_DEP_1)
	v_cmp_eq_u32_e64 s0, 0, v9
	v_cndmask_b32_e64 v135, v135, v7, s0
; %bb.1343:                             ;   in Loop: Header=BB424_707 Depth=1
	s_or_b32 exec_lo, exec_lo, s9
	v_mov_b32_e32 v7, 0
	s_mov_b32 s9, exec_lo
	v_cmpx_lt_u64_e64 s[2:3], v[2:3]
	s_cbranch_execz .LBB424_1351
; %bb.1344:                             ;   in Loop: Header=BB424_707 Depth=1
	v_lshrrev_b32_e32 v2, 24, v3
	v_bfrev_b32_e32 v7, 1
	s_mov_b32 s12, exec_lo
	s_delay_alu instid0(VALU_DEP_2)
	v_cmpx_ne_u32_e32 0x80, v2
	s_cbranch_execz .LBB424_1350
; %bb.1345:                             ;   in Loop: Header=BB424_707 Depth=1
	v_bfe_u32 v144, v3, 24, 7
	v_mov_b32_e32 v7, 0x7f800001
	s_mov_b32 s13, exec_lo
	s_delay_alu instid0(VALU_DEP_2)
	v_cmpx_ne_u32_e32 0x7f, v144
	s_cbranch_execz .LBB424_1349
; %bb.1346:                             ;   in Loop: Header=BB424_707 Depth=1
	v_and_b32_e32 v9, 7, v2
	v_lshrrev_b32_e32 v3, 3, v144
	s_mov_b32 s15, exec_lo
	v_cmpx_gt_u32_e32 8, v144
; %bb.1347:                             ;   in Loop: Header=BB424_707 Depth=1
	s_delay_alu instid0(VALU_DEP_3) | instskip(NEXT) | instid1(VALU_DEP_1)
	v_clz_i32_u32_e32 v3, v9
	v_min_u32_e32 v3, 32, v3
	s_delay_alu instid0(VALU_DEP_1) | instskip(SKIP_1) | instid1(VALU_DEP_2)
	v_subrev_nc_u32_e32 v7, 28, v3
	v_sub_nc_u32_e32 v3, 29, v3
	v_lshlrev_b64 v[144:145], v7, v[9:10]
	s_delay_alu instid0(VALU_DEP_1)
	v_and_b32_e32 v9, 7, v144
; %bb.1348:                             ;   in Loop: Header=BB424_707 Depth=1
	s_or_b32 exec_lo, exec_lo, s15
	v_lshlrev_b32_e32 v2, 24, v2
	s_delay_alu instid0(VALU_DEP_2) | instskip(SKIP_1) | instid1(VALU_DEP_3)
	v_lshlrev_b32_e32 v7, 20, v9
	v_lshl_add_u32 v3, v3, 23, 0x3c000000
	v_and_b32_e32 v2, 0x80000000, v2
	s_delay_alu instid0(VALU_DEP_1)
	v_or3_b32 v7, v7, v2, v3
.LBB424_1349:                           ;   in Loop: Header=BB424_707 Depth=1
	s_or_b32 exec_lo, exec_lo, s13
.LBB424_1350:                           ;   in Loop: Header=BB424_707 Depth=1
	s_delay_alu instid0(SALU_CYCLE_1)
	s_or_b32 exec_lo, exec_lo, s12
.LBB424_1351:                           ;   in Loop: Header=BB424_707 Depth=1
	s_delay_alu instid0(SALU_CYCLE_1) | instskip(NEXT) | instid1(VALU_DEP_1)
	s_or_b32 exec_lo, exec_lo, s9
	v_mul_f32_e32 v3, v26, v7
	s_delay_alu instid0(VALU_DEP_1) | instskip(NEXT) | instid1(VALU_DEP_1)
	v_and_b32_e32 v2, 0x7f800000, v3
	v_cmp_ne_u32_e64 s0, 0x7f800000, v2
                                        ; implicit-def: $vgpr2
	s_delay_alu instid0(VALU_DEP_1) | instskip(NEXT) | instid1(SALU_CYCLE_1)
	s_and_saveexec_b32 s9, s0
	s_xor_b32 s0, exec_lo, s9
; %bb.1352:                             ;   in Loop: Header=BB424_707 Depth=1
	v_bfe_u32 v2, v3, 16, 1
	s_delay_alu instid0(VALU_DEP_1)
	v_add3_u32 v2, v3, v2, 0x7fff
                                        ; implicit-def: $vgpr3
; %bb.1353:                             ;   in Loop: Header=BB424_707 Depth=1
	s_and_not1_saveexec_b32 s9, s0
; %bb.1354:                             ;   in Loop: Header=BB424_707 Depth=1
	v_and_b32_e32 v2, 0xffff, v3
	v_or_b32_e32 v7, 0x10000, v3
	s_delay_alu instid0(VALU_DEP_2) | instskip(NEXT) | instid1(VALU_DEP_1)
	v_cmp_eq_u32_e64 s0, 0, v2
	v_cndmask_b32_e64 v2, v7, v3, s0
; %bb.1355:                             ;   in Loop: Header=BB424_707 Depth=1
	s_or_b32 exec_lo, exec_lo, s9
	v_lshrrev_b32_e32 v6, 16, v6
	v_lshrrev_b32_e32 v7, 16, v134
	;; [unrolled: 1-line block ×8, first 2 shown]
	s_and_saveexec_b32 s9, vcc_lo
	s_cbranch_execz .LBB424_1357
; %bb.1356:                             ;   in Loop: Header=BB424_707 Depth=1
	v_cmp_lt_i32_e64 s0, v51, v33
	s_delay_alu instid0(VALU_DEP_1) | instskip(SKIP_1) | instid1(VALU_DEP_1)
	v_cndmask_b32_e64 v130, 0, v130, s0
	v_cmp_lt_i32_e64 s0, v65, v33
	v_cndmask_b32_e64 v131, 0, v131, s0
	v_cmp_lt_i32_e64 s0, v64, v33
	s_delay_alu instid0(VALU_DEP_1) | instskip(SKIP_1) | instid1(VALU_DEP_1)
	v_cndmask_b32_e64 v132, 0, v132, s0
	v_cmp_lt_i32_e64 s0, v55, v33
	v_cndmask_b32_e64 v9, 0, v9, s0
	;; [unrolled: 5-line block ×4, first 2 shown]
.LBB424_1357:                           ;   in Loop: Header=BB424_707 Depth=1
	s_or_b32 exec_lo, exec_lo, s9
	v_lshlrev_b32_e32 v130, 16, v130
	s_delay_alu instid0(VALU_DEP_1) | instskip(NEXT) | instid1(VALU_DEP_1)
	v_mul_f32_e32 v133, v66, v130
	v_and_b32_e32 v130, 0x7f800000, v133
	s_delay_alu instid0(VALU_DEP_1) | instskip(NEXT) | instid1(VALU_DEP_1)
	v_cmp_ne_u32_e64 s0, 0x7f800000, v130
                                        ; implicit-def: $vgpr130
	s_and_saveexec_b32 s9, s0
	s_delay_alu instid0(SALU_CYCLE_1)
	s_xor_b32 s0, exec_lo, s9
; %bb.1358:                             ;   in Loop: Header=BB424_707 Depth=1
	v_bfe_u32 v130, v133, 16, 1
	s_delay_alu instid0(VALU_DEP_1)
	v_add3_u32 v130, v133, v130, 0x7fff
                                        ; implicit-def: $vgpr133
; %bb.1359:                             ;   in Loop: Header=BB424_707 Depth=1
	s_and_not1_saveexec_b32 s9, s0
; %bb.1360:                             ;   in Loop: Header=BB424_707 Depth=1
	v_and_b32_e32 v130, 0xffff, v133
	v_or_b32_e32 v134, 0x10000, v133
	s_delay_alu instid0(VALU_DEP_2) | instskip(NEXT) | instid1(VALU_DEP_1)
	v_cmp_eq_u32_e64 s0, 0, v130
	v_cndmask_b32_e64 v130, v134, v133, s0
; %bb.1361:                             ;   in Loop: Header=BB424_707 Depth=1
	s_or_b32 exec_lo, exec_lo, s9
	v_lshlrev_b32_e32 v131, 16, v131
	s_delay_alu instid0(VALU_DEP_1) | instskip(NEXT) | instid1(VALU_DEP_1)
	v_mul_f32_e32 v133, v67, v131
	v_and_b32_e32 v131, 0x7f800000, v133
	s_delay_alu instid0(VALU_DEP_1) | instskip(NEXT) | instid1(VALU_DEP_1)
	v_cmp_ne_u32_e64 s0, 0x7f800000, v131
                                        ; implicit-def: $vgpr131
	s_and_saveexec_b32 s9, s0
	s_delay_alu instid0(SALU_CYCLE_1)
	s_xor_b32 s0, exec_lo, s9
; %bb.1362:                             ;   in Loop: Header=BB424_707 Depth=1
	v_bfe_u32 v131, v133, 16, 1
	s_delay_alu instid0(VALU_DEP_1)
	v_add3_u32 v131, v133, v131, 0x7fff
                                        ; implicit-def: $vgpr133
; %bb.1363:                             ;   in Loop: Header=BB424_707 Depth=1
	s_and_not1_saveexec_b32 s9, s0
; %bb.1364:                             ;   in Loop: Header=BB424_707 Depth=1
	v_and_b32_e32 v131, 0xffff, v133
	v_or_b32_e32 v134, 0x10000, v133
	s_delay_alu instid0(VALU_DEP_2) | instskip(NEXT) | instid1(VALU_DEP_1)
	v_cmp_eq_u32_e64 s0, 0, v131
	v_cndmask_b32_e64 v131, v134, v133, s0
; %bb.1365:                             ;   in Loop: Header=BB424_707 Depth=1
	s_or_b32 exec_lo, exec_lo, s9
	v_lshlrev_b32_e32 v132, 16, v132
	s_delay_alu instid0(VALU_DEP_1) | instskip(NEXT) | instid1(VALU_DEP_1)
	v_mul_f32_e32 v133, v68, v132
	v_and_b32_e32 v132, 0x7f800000, v133
	s_delay_alu instid0(VALU_DEP_1) | instskip(NEXT) | instid1(VALU_DEP_1)
	v_cmp_ne_u32_e64 s0, 0x7f800000, v132
                                        ; implicit-def: $vgpr132
	s_and_saveexec_b32 s9, s0
	s_delay_alu instid0(SALU_CYCLE_1)
	s_xor_b32 s0, exec_lo, s9
; %bb.1366:                             ;   in Loop: Header=BB424_707 Depth=1
	v_bfe_u32 v132, v133, 16, 1
	s_delay_alu instid0(VALU_DEP_1)
	v_add3_u32 v132, v133, v132, 0x7fff
                                        ; implicit-def: $vgpr133
; %bb.1367:                             ;   in Loop: Header=BB424_707 Depth=1
	s_and_not1_saveexec_b32 s9, s0
; %bb.1368:                             ;   in Loop: Header=BB424_707 Depth=1
	v_and_b32_e32 v132, 0xffff, v133
	v_or_b32_e32 v134, 0x10000, v133
	s_delay_alu instid0(VALU_DEP_2) | instskip(NEXT) | instid1(VALU_DEP_1)
	v_cmp_eq_u32_e64 s0, 0, v132
	v_cndmask_b32_e64 v132, v134, v133, s0
; %bb.1369:                             ;   in Loop: Header=BB424_707 Depth=1
	s_or_b32 exec_lo, exec_lo, s9
	v_lshlrev_b32_e32 v9, 16, v9
	s_delay_alu instid0(VALU_DEP_1) | instskip(NEXT) | instid1(VALU_DEP_1)
	v_mul_f32_e32 v9, v69, v9
	v_and_b32_e32 v133, 0x7f800000, v9
	s_delay_alu instid0(VALU_DEP_1) | instskip(NEXT) | instid1(VALU_DEP_1)
	v_cmp_ne_u32_e64 s0, 0x7f800000, v133
                                        ; implicit-def: $vgpr133
	s_and_saveexec_b32 s9, s0
	s_delay_alu instid0(SALU_CYCLE_1)
	s_xor_b32 s0, exec_lo, s9
; %bb.1370:                             ;   in Loop: Header=BB424_707 Depth=1
	v_bfe_u32 v133, v9, 16, 1
	s_delay_alu instid0(VALU_DEP_1)
	v_add3_u32 v133, v9, v133, 0x7fff
                                        ; implicit-def: $vgpr9
; %bb.1371:                             ;   in Loop: Header=BB424_707 Depth=1
	s_and_not1_saveexec_b32 s9, s0
; %bb.1372:                             ;   in Loop: Header=BB424_707 Depth=1
	v_and_b32_e32 v133, 0xffff, v9
	v_or_b32_e32 v134, 0x10000, v9
	s_delay_alu instid0(VALU_DEP_2) | instskip(NEXT) | instid1(VALU_DEP_1)
	v_cmp_eq_u32_e64 s0, 0, v133
	v_cndmask_b32_e64 v133, v134, v9, s0
; %bb.1373:                             ;   in Loop: Header=BB424_707 Depth=1
	s_or_b32 exec_lo, exec_lo, s9
	v_lshlrev_b32_e32 v7, 16, v7
                                        ; implicit-def: $vgpr134
	s_delay_alu instid0(VALU_DEP_1) | instskip(NEXT) | instid1(VALU_DEP_1)
	v_mul_f32_e32 v7, v70, v7
	v_and_b32_e32 v9, 0x7f800000, v7
	s_delay_alu instid0(VALU_DEP_1) | instskip(NEXT) | instid1(VALU_DEP_1)
	v_cmp_ne_u32_e64 s0, 0x7f800000, v9
	s_and_saveexec_b32 s9, s0
	s_delay_alu instid0(SALU_CYCLE_1)
	s_xor_b32 s0, exec_lo, s9
; %bb.1374:                             ;   in Loop: Header=BB424_707 Depth=1
	v_bfe_u32 v9, v7, 16, 1
	s_delay_alu instid0(VALU_DEP_1)
	v_add3_u32 v134, v7, v9, 0x7fff
                                        ; implicit-def: $vgpr7
; %bb.1375:                             ;   in Loop: Header=BB424_707 Depth=1
	s_and_not1_saveexec_b32 s9, s0
; %bb.1376:                             ;   in Loop: Header=BB424_707 Depth=1
	v_and_b32_e32 v9, 0xffff, v7
	v_or_b32_e32 v134, 0x10000, v7
	s_delay_alu instid0(VALU_DEP_2) | instskip(NEXT) | instid1(VALU_DEP_1)
	v_cmp_eq_u32_e64 s0, 0, v9
	v_cndmask_b32_e64 v134, v134, v7, s0
; %bb.1377:                             ;   in Loop: Header=BB424_707 Depth=1
	s_or_b32 exec_lo, exec_lo, s9
	v_lshlrev_b32_e32 v6, 16, v6
                                        ; implicit-def: $vgpr135
	s_delay_alu instid0(VALU_DEP_1) | instskip(NEXT) | instid1(VALU_DEP_1)
	v_mul_f32_e32 v6, v71, v6
	v_and_b32_e32 v7, 0x7f800000, v6
	s_delay_alu instid0(VALU_DEP_1) | instskip(NEXT) | instid1(VALU_DEP_1)
	v_cmp_ne_u32_e64 s0, 0x7f800000, v7
	s_and_saveexec_b32 s9, s0
	s_delay_alu instid0(SALU_CYCLE_1)
	s_xor_b32 s0, exec_lo, s9
; %bb.1378:                             ;   in Loop: Header=BB424_707 Depth=1
	v_bfe_u32 v7, v6, 16, 1
	s_delay_alu instid0(VALU_DEP_1)
	v_add3_u32 v135, v6, v7, 0x7fff
                                        ; implicit-def: $vgpr6
; %bb.1379:                             ;   in Loop: Header=BB424_707 Depth=1
	s_and_not1_saveexec_b32 s9, s0
; %bb.1380:                             ;   in Loop: Header=BB424_707 Depth=1
	v_and_b32_e32 v7, 0xffff, v6
	v_or_b32_e32 v9, 0x10000, v6
	s_delay_alu instid0(VALU_DEP_2) | instskip(NEXT) | instid1(VALU_DEP_1)
	v_cmp_eq_u32_e64 s0, 0, v7
	v_cndmask_b32_e64 v135, v9, v6, s0
; %bb.1381:                             ;   in Loop: Header=BB424_707 Depth=1
	s_or_b32 exec_lo, exec_lo, s9
	v_lshlrev_b32_e32 v3, 16, v3
                                        ; implicit-def: $vgpr144
	s_delay_alu instid0(VALU_DEP_1) | instskip(NEXT) | instid1(VALU_DEP_1)
	v_mul_f32_e32 v3, v80, v3
	v_and_b32_e32 v6, 0x7f800000, v3
	s_delay_alu instid0(VALU_DEP_1) | instskip(NEXT) | instid1(VALU_DEP_1)
	v_cmp_ne_u32_e64 s0, 0x7f800000, v6
	s_and_saveexec_b32 s9, s0
	s_delay_alu instid0(SALU_CYCLE_1)
	s_xor_b32 s0, exec_lo, s9
; %bb.1382:                             ;   in Loop: Header=BB424_707 Depth=1
	v_bfe_u32 v6, v3, 16, 1
	s_delay_alu instid0(VALU_DEP_1)
	v_add3_u32 v144, v3, v6, 0x7fff
                                        ; implicit-def: $vgpr3
; %bb.1383:                             ;   in Loop: Header=BB424_707 Depth=1
	s_and_not1_saveexec_b32 s9, s0
; %bb.1384:                             ;   in Loop: Header=BB424_707 Depth=1
	v_and_b32_e32 v6, 0xffff, v3
	v_or_b32_e32 v7, 0x10000, v3
	s_delay_alu instid0(VALU_DEP_2) | instskip(NEXT) | instid1(VALU_DEP_1)
	v_cmp_eq_u32_e64 s0, 0, v6
	v_cndmask_b32_e64 v144, v7, v3, s0
; %bb.1385:                             ;   in Loop: Header=BB424_707 Depth=1
	s_or_b32 exec_lo, exec_lo, s9
	v_lshlrev_b32_e32 v2, 16, v2
                                        ; implicit-def: $vgpr145
	s_delay_alu instid0(VALU_DEP_1) | instskip(NEXT) | instid1(VALU_DEP_1)
	v_mul_f32_e32 v2, v81, v2
	v_and_b32_e32 v3, 0x7f800000, v2
	s_delay_alu instid0(VALU_DEP_1) | instskip(NEXT) | instid1(VALU_DEP_1)
	v_cmp_ne_u32_e64 s0, 0x7f800000, v3
	s_and_saveexec_b32 s9, s0
	s_delay_alu instid0(SALU_CYCLE_1)
	s_xor_b32 s0, exec_lo, s9
; %bb.1386:                             ;   in Loop: Header=BB424_707 Depth=1
	v_bfe_u32 v3, v2, 16, 1
	s_delay_alu instid0(VALU_DEP_1)
	v_add3_u32 v145, v2, v3, 0x7fff
                                        ; implicit-def: $vgpr2
; %bb.1387:                             ;   in Loop: Header=BB424_707 Depth=1
	s_and_not1_saveexec_b32 s9, s0
; %bb.1388:                             ;   in Loop: Header=BB424_707 Depth=1
	v_and_b32_e32 v3, 0xffff, v2
	v_or_b32_e32 v6, 0x10000, v2
	s_delay_alu instid0(VALU_DEP_2) | instskip(NEXT) | instid1(VALU_DEP_1)
	v_cmp_eq_u32_e64 s0, 0, v3
	v_cndmask_b32_e64 v145, v6, v2, s0
; %bb.1389:                             ;   in Loop: Header=BB424_707 Depth=1
	s_or_b32 exec_lo, exec_lo, s9
	flat_load_b64 v[2:3], v[0:1] offset:1280
	s_mov_b32 s9, exec_lo
	s_waitcnt vmcnt(0) lgkmcnt(0)
	v_dual_mov_b32 v6, 0 :: v_dual_and_b32 v7, 0xff, v2
	s_delay_alu instid0(VALU_DEP_1)
	v_cmpx_ne_u16_e32 0, v7
	s_cbranch_execz .LBB424_1397
; %bb.1390:                             ;   in Loop: Header=BB424_707 Depth=1
	v_bfrev_b32_e32 v6, 1
	s_mov_b32 s12, exec_lo
	v_cmpx_ne_u16_e32 0x80, v7
	s_cbranch_execz .LBB424_1396
; %bb.1391:                             ;   in Loop: Header=BB424_707 Depth=1
	v_and_b32_e32 v7, 0x7f, v2
	v_mov_b32_e32 v6, 0x7f800001
	s_mov_b32 s13, exec_lo
	s_delay_alu instid0(VALU_DEP_2)
	v_cmpx_ne_u32_e32 0x7f, v7
	s_cbranch_execz .LBB424_1395
; %bb.1392:                             ;   in Loop: Header=BB424_707 Depth=1
	v_lshrrev_b32_e32 v9, 3, v7
	v_cmp_gt_u32_e64 s0, 8, v7
	v_dual_mov_b32 v7, v3 :: v_dual_mov_b32 v6, v2
	s_delay_alu instid0(VALU_DEP_2)
	s_and_saveexec_b32 s15, s0
; %bb.1393:                             ;   in Loop: Header=BB424_707 Depth=1
	v_and_b32_e32 v6, 7, v2
	s_delay_alu instid0(VALU_DEP_1) | instskip(NEXT) | instid1(VALU_DEP_1)
	v_clz_i32_u32_e32 v6, v6
	v_min_u32_e32 v9, 32, v6
	s_delay_alu instid0(VALU_DEP_1) | instskip(SKIP_1) | instid1(VALU_DEP_2)
	v_subrev_nc_u32_e32 v6, 28, v9
	v_sub_nc_u32_e32 v9, 29, v9
	v_lshlrev_b64 v[6:7], v6, v[2:3]
; %bb.1394:                             ;   in Loop: Header=BB424_707 Depth=1
	s_or_b32 exec_lo, exec_lo, s15
	s_delay_alu instid0(VALU_DEP_1) | instskip(SKIP_2) | instid1(VALU_DEP_3)
	v_lshlrev_b32_e32 v6, 20, v6
	v_lshlrev_b32_e32 v7, 24, v2
	v_lshl_add_u32 v9, v9, 23, 0x3c000000
	v_and_b32_e32 v6, 0x700000, v6
	s_delay_alu instid0(VALU_DEP_3) | instskip(NEXT) | instid1(VALU_DEP_1)
	v_and_b32_e32 v7, 0x80000000, v7
	v_or3_b32 v6, v6, v7, v9
.LBB424_1395:                           ;   in Loop: Header=BB424_707 Depth=1
	s_or_b32 exec_lo, exec_lo, s13
.LBB424_1396:                           ;   in Loop: Header=BB424_707 Depth=1
	s_delay_alu instid0(SALU_CYCLE_1)
	s_or_b32 exec_lo, exec_lo, s12
.LBB424_1397:                           ;   in Loop: Header=BB424_707 Depth=1
	s_delay_alu instid0(SALU_CYCLE_1) | instskip(NEXT) | instid1(VALU_DEP_1)
	s_or_b32 exec_lo, exec_lo, s9
	v_mul_f32_e32 v6, v26, v6
                                        ; implicit-def: $vgpr146
	s_delay_alu instid0(VALU_DEP_1) | instskip(NEXT) | instid1(VALU_DEP_1)
	v_and_b32_e32 v7, 0x7f800000, v6
	v_cmp_ne_u32_e64 s0, 0x7f800000, v7
	s_delay_alu instid0(VALU_DEP_1) | instskip(NEXT) | instid1(SALU_CYCLE_1)
	s_and_saveexec_b32 s9, s0
	s_xor_b32 s0, exec_lo, s9
; %bb.1398:                             ;   in Loop: Header=BB424_707 Depth=1
	v_bfe_u32 v7, v6, 16, 1
	s_delay_alu instid0(VALU_DEP_1)
	v_add3_u32 v146, v6, v7, 0x7fff
                                        ; implicit-def: $vgpr6
; %bb.1399:                             ;   in Loop: Header=BB424_707 Depth=1
	s_and_not1_saveexec_b32 s9, s0
; %bb.1400:                             ;   in Loop: Header=BB424_707 Depth=1
	v_and_b32_e32 v7, 0xffff, v6
	v_or_b32_e32 v9, 0x10000, v6
	s_delay_alu instid0(VALU_DEP_2) | instskip(NEXT) | instid1(VALU_DEP_1)
	v_cmp_eq_u32_e64 s0, 0, v7
	v_cndmask_b32_e64 v146, v9, v6, s0
; %bb.1401:                             ;   in Loop: Header=BB424_707 Depth=1
	s_or_b32 exec_lo, exec_lo, s9
	v_lshrrev_b16 v7, 8, v2
	v_mov_b32_e32 v6, 0
	s_mov_b32 s9, exec_lo
	s_delay_alu instid0(VALU_DEP_2)
	v_cmpx_ne_u16_e32 0, v7
	s_cbranch_execz .LBB424_1409
; %bb.1402:                             ;   in Loop: Header=BB424_707 Depth=1
	v_bfrev_b32_e32 v6, 1
	s_mov_b32 s12, exec_lo
	v_cmpx_ne_u16_e32 0x80, v7
	s_cbranch_execz .LBB424_1408
; %bb.1403:                             ;   in Loop: Header=BB424_707 Depth=1
	v_and_b32_e32 v9, 0xffff, v7
	v_mov_b32_e32 v6, 0x7f800001
	s_mov_b32 s13, exec_lo
	s_delay_alu instid0(VALU_DEP_2) | instskip(NEXT) | instid1(VALU_DEP_1)
	v_and_b32_e32 v7, 0x7f, v9
	v_cmpx_ne_u32_e32 0x7f, v7
	s_cbranch_execz .LBB424_1407
; %bb.1404:                             ;   in Loop: Header=BB424_707 Depth=1
	v_and_b32_e32 v9, 7, v9
	v_lshrrev_b32_e32 v6, 3, v7
	s_mov_b32 s15, exec_lo
	v_cmpx_gt_u32_e32 8, v7
; %bb.1405:                             ;   in Loop: Header=BB424_707 Depth=1
	s_delay_alu instid0(VALU_DEP_3) | instskip(NEXT) | instid1(VALU_DEP_1)
	v_clz_i32_u32_e32 v6, v9
	v_min_u32_e32 v6, 32, v6
	s_delay_alu instid0(VALU_DEP_1) | instskip(SKIP_1) | instid1(VALU_DEP_2)
	v_subrev_nc_u32_e32 v7, 28, v6
	v_sub_nc_u32_e32 v6, 29, v6
	v_lshlrev_b64 v[147:148], v7, v[9:10]
	s_delay_alu instid0(VALU_DEP_1)
	v_and_b32_e32 v9, 7, v147
; %bb.1406:                             ;   in Loop: Header=BB424_707 Depth=1
	s_or_b32 exec_lo, exec_lo, s15
	v_lshlrev_b32_e32 v7, 16, v2
	s_delay_alu instid0(VALU_DEP_2) | instskip(SKIP_1) | instid1(VALU_DEP_3)
	v_lshlrev_b32_e32 v9, 20, v9
	v_lshl_add_u32 v6, v6, 23, 0x3c000000
	v_and_b32_e32 v7, 0x80000000, v7
	s_delay_alu instid0(VALU_DEP_1)
	v_or3_b32 v6, v9, v7, v6
.LBB424_1407:                           ;   in Loop: Header=BB424_707 Depth=1
	s_or_b32 exec_lo, exec_lo, s13
.LBB424_1408:                           ;   in Loop: Header=BB424_707 Depth=1
	s_delay_alu instid0(SALU_CYCLE_1)
	s_or_b32 exec_lo, exec_lo, s12
.LBB424_1409:                           ;   in Loop: Header=BB424_707 Depth=1
	s_delay_alu instid0(SALU_CYCLE_1) | instskip(NEXT) | instid1(VALU_DEP_1)
	s_or_b32 exec_lo, exec_lo, s9
	v_mul_f32_e32 v6, v26, v6
                                        ; implicit-def: $vgpr147
	s_delay_alu instid0(VALU_DEP_1) | instskip(NEXT) | instid1(VALU_DEP_1)
	v_and_b32_e32 v7, 0x7f800000, v6
	v_cmp_ne_u32_e64 s0, 0x7f800000, v7
	s_delay_alu instid0(VALU_DEP_1) | instskip(NEXT) | instid1(SALU_CYCLE_1)
	s_and_saveexec_b32 s9, s0
	s_xor_b32 s0, exec_lo, s9
; %bb.1410:                             ;   in Loop: Header=BB424_707 Depth=1
	v_bfe_u32 v7, v6, 16, 1
	s_delay_alu instid0(VALU_DEP_1)
	v_add3_u32 v147, v6, v7, 0x7fff
                                        ; implicit-def: $vgpr6
; %bb.1411:                             ;   in Loop: Header=BB424_707 Depth=1
	s_and_not1_saveexec_b32 s9, s0
; %bb.1412:                             ;   in Loop: Header=BB424_707 Depth=1
	v_and_b32_e32 v7, 0xffff, v6
	v_or_b32_e32 v9, 0x10000, v6
	s_delay_alu instid0(VALU_DEP_2) | instskip(NEXT) | instid1(VALU_DEP_1)
	v_cmp_eq_u32_e64 s0, 0, v7
	v_cndmask_b32_e64 v147, v9, v6, s0
; %bb.1413:                             ;   in Loop: Header=BB424_707 Depth=1
	s_or_b32 exec_lo, exec_lo, s9
	v_lshrrev_b32_e32 v6, 16, v2
	v_mov_b32_e32 v7, 0
	s_mov_b32 s9, exec_lo
	s_delay_alu instid0(VALU_DEP_2) | instskip(NEXT) | instid1(VALU_DEP_1)
	v_and_b32_e32 v9, 0xff, v6
	v_cmpx_ne_u16_e32 0, v9
	s_cbranch_execz .LBB424_1421
; %bb.1414:                             ;   in Loop: Header=BB424_707 Depth=1
	v_bfrev_b32_e32 v7, 1
	s_mov_b32 s12, exec_lo
	v_cmpx_ne_u16_e32 0x80, v9
	s_cbranch_execz .LBB424_1420
; %bb.1415:                             ;   in Loop: Header=BB424_707 Depth=1
	v_bfe_u32 v148, v2, 16, 7
	v_mov_b32_e32 v7, 0x7f800001
	s_mov_b32 s13, exec_lo
	s_delay_alu instid0(VALU_DEP_2)
	v_cmpx_ne_u32_e32 0x7f, v148
	s_cbranch_execz .LBB424_1419
; %bb.1416:                             ;   in Loop: Header=BB424_707 Depth=1
	v_and_b32_e32 v9, 7, v6
	v_lshrrev_b32_e32 v7, 3, v148
	s_mov_b32 s15, exec_lo
	v_cmpx_gt_u32_e32 8, v148
; %bb.1417:                             ;   in Loop: Header=BB424_707 Depth=1
	s_delay_alu instid0(VALU_DEP_3) | instskip(NEXT) | instid1(VALU_DEP_1)
	v_clz_i32_u32_e32 v7, v9
	v_min_u32_e32 v7, 32, v7
	s_delay_alu instid0(VALU_DEP_1) | instskip(SKIP_1) | instid1(VALU_DEP_2)
	v_subrev_nc_u32_e32 v148, 28, v7
	v_sub_nc_u32_e32 v7, 29, v7
	v_lshlrev_b64 v[148:149], v148, v[9:10]
	s_delay_alu instid0(VALU_DEP_1)
	v_and_b32_e32 v9, 7, v148
; %bb.1418:                             ;   in Loop: Header=BB424_707 Depth=1
	s_or_b32 exec_lo, exec_lo, s15
	v_lshlrev_b32_e32 v6, 24, v6
	s_delay_alu instid0(VALU_DEP_2) | instskip(SKIP_1) | instid1(VALU_DEP_3)
	v_lshlrev_b32_e32 v9, 20, v9
	v_lshl_add_u32 v7, v7, 23, 0x3c000000
	v_and_b32_e32 v6, 0x80000000, v6
	s_delay_alu instid0(VALU_DEP_1)
	v_or3_b32 v7, v9, v6, v7
.LBB424_1419:                           ;   in Loop: Header=BB424_707 Depth=1
	s_or_b32 exec_lo, exec_lo, s13
.LBB424_1420:                           ;   in Loop: Header=BB424_707 Depth=1
	s_delay_alu instid0(SALU_CYCLE_1)
	s_or_b32 exec_lo, exec_lo, s12
.LBB424_1421:                           ;   in Loop: Header=BB424_707 Depth=1
	s_delay_alu instid0(SALU_CYCLE_1) | instskip(NEXT) | instid1(VALU_DEP_1)
	s_or_b32 exec_lo, exec_lo, s9
	v_mul_f32_e32 v6, v26, v7
                                        ; implicit-def: $vgpr148
	s_delay_alu instid0(VALU_DEP_1) | instskip(NEXT) | instid1(VALU_DEP_1)
	v_and_b32_e32 v7, 0x7f800000, v6
	v_cmp_ne_u32_e64 s0, 0x7f800000, v7
	s_delay_alu instid0(VALU_DEP_1) | instskip(NEXT) | instid1(SALU_CYCLE_1)
	s_and_saveexec_b32 s9, s0
	s_xor_b32 s0, exec_lo, s9
; %bb.1422:                             ;   in Loop: Header=BB424_707 Depth=1
	v_bfe_u32 v7, v6, 16, 1
	s_delay_alu instid0(VALU_DEP_1)
	v_add3_u32 v148, v6, v7, 0x7fff
                                        ; implicit-def: $vgpr6
; %bb.1423:                             ;   in Loop: Header=BB424_707 Depth=1
	s_and_not1_saveexec_b32 s9, s0
; %bb.1424:                             ;   in Loop: Header=BB424_707 Depth=1
	v_and_b32_e32 v7, 0xffff, v6
	v_or_b32_e32 v9, 0x10000, v6
	s_delay_alu instid0(VALU_DEP_2) | instskip(NEXT) | instid1(VALU_DEP_1)
	v_cmp_eq_u32_e64 s0, 0, v7
	v_cndmask_b32_e64 v148, v9, v6, s0
; %bb.1425:                             ;   in Loop: Header=BB424_707 Depth=1
	s_or_b32 exec_lo, exec_lo, s9
	v_mov_b32_e32 v7, 0
	s_mov_b32 s9, exec_lo
	v_cmpx_lt_u32_e32 0xffffff, v2
	s_cbranch_execz .LBB424_1433
; %bb.1426:                             ;   in Loop: Header=BB424_707 Depth=1
	v_lshrrev_b32_e32 v6, 24, v2
	v_bfrev_b32_e32 v7, 1
	s_mov_b32 s12, exec_lo
	s_delay_alu instid0(VALU_DEP_2)
	v_cmpx_ne_u32_e32 0x80, v6
	s_cbranch_execz .LBB424_1432
; %bb.1427:                             ;   in Loop: Header=BB424_707 Depth=1
	v_bfe_u32 v149, v2, 24, 7
	v_mov_b32_e32 v7, 0x7f800001
	s_mov_b32 s13, exec_lo
	s_delay_alu instid0(VALU_DEP_2)
	v_cmpx_ne_u32_e32 0x7f, v149
	s_cbranch_execz .LBB424_1431
; %bb.1428:                             ;   in Loop: Header=BB424_707 Depth=1
	v_and_b32_e32 v9, 7, v6
	v_lshrrev_b32_e32 v7, 3, v149
	s_mov_b32 s15, exec_lo
	v_cmpx_gt_u32_e32 8, v149
; %bb.1429:                             ;   in Loop: Header=BB424_707 Depth=1
	s_delay_alu instid0(VALU_DEP_3) | instskip(NEXT) | instid1(VALU_DEP_1)
	v_clz_i32_u32_e32 v7, v9
	v_min_u32_e32 v7, 32, v7
	s_delay_alu instid0(VALU_DEP_1) | instskip(SKIP_1) | instid1(VALU_DEP_2)
	v_subrev_nc_u32_e32 v149, 28, v7
	v_sub_nc_u32_e32 v7, 29, v7
	v_lshlrev_b64 v[149:150], v149, v[9:10]
	s_delay_alu instid0(VALU_DEP_1)
	v_and_b32_e32 v9, 7, v149
; %bb.1430:                             ;   in Loop: Header=BB424_707 Depth=1
	s_or_b32 exec_lo, exec_lo, s15
	v_lshlrev_b32_e32 v6, 24, v6
	s_delay_alu instid0(VALU_DEP_2) | instskip(SKIP_1) | instid1(VALU_DEP_3)
	v_lshlrev_b32_e32 v9, 20, v9
	v_lshl_add_u32 v7, v7, 23, 0x3c000000
	v_and_b32_e32 v6, 0x80000000, v6
	s_delay_alu instid0(VALU_DEP_1)
	v_or3_b32 v7, v9, v6, v7
.LBB424_1431:                           ;   in Loop: Header=BB424_707 Depth=1
	s_or_b32 exec_lo, exec_lo, s13
.LBB424_1432:                           ;   in Loop: Header=BB424_707 Depth=1
	s_delay_alu instid0(SALU_CYCLE_1)
	s_or_b32 exec_lo, exec_lo, s12
.LBB424_1433:                           ;   in Loop: Header=BB424_707 Depth=1
	s_delay_alu instid0(SALU_CYCLE_1) | instskip(NEXT) | instid1(VALU_DEP_1)
	s_or_b32 exec_lo, exec_lo, s9
	v_mul_f32_e32 v6, v26, v7
                                        ; implicit-def: $vgpr149
	s_delay_alu instid0(VALU_DEP_1) | instskip(NEXT) | instid1(VALU_DEP_1)
	v_and_b32_e32 v7, 0x7f800000, v6
	v_cmp_ne_u32_e64 s0, 0x7f800000, v7
	s_delay_alu instid0(VALU_DEP_1) | instskip(NEXT) | instid1(SALU_CYCLE_1)
	s_and_saveexec_b32 s9, s0
	s_xor_b32 s0, exec_lo, s9
; %bb.1434:                             ;   in Loop: Header=BB424_707 Depth=1
	v_bfe_u32 v7, v6, 16, 1
	s_delay_alu instid0(VALU_DEP_1)
	v_add3_u32 v149, v6, v7, 0x7fff
                                        ; implicit-def: $vgpr6
; %bb.1435:                             ;   in Loop: Header=BB424_707 Depth=1
	s_and_not1_saveexec_b32 s9, s0
; %bb.1436:                             ;   in Loop: Header=BB424_707 Depth=1
	v_and_b32_e32 v7, 0xffff, v6
	v_or_b32_e32 v9, 0x10000, v6
	s_delay_alu instid0(VALU_DEP_2) | instskip(NEXT) | instid1(VALU_DEP_1)
	v_cmp_eq_u32_e64 s0, 0, v7
	v_cndmask_b32_e64 v149, v9, v6, s0
; %bb.1437:                             ;   in Loop: Header=BB424_707 Depth=1
	s_or_b32 exec_lo, exec_lo, s9
	v_dual_mov_b32 v6, 0 :: v_dual_and_b32 v7, 0xff, v3
	v_mov_b32_e32 v9, v3
	s_mov_b32 s9, exec_lo
	s_delay_alu instid0(VALU_DEP_2)
	v_cmpx_ne_u16_e32 0, v7
	s_cbranch_execz .LBB424_1445
; %bb.1438:                             ;   in Loop: Header=BB424_707 Depth=1
	v_bfrev_b32_e32 v6, 1
	s_mov_b32 s12, exec_lo
	v_cmpx_ne_u16_e32 0x80, v7
	s_cbranch_execz .LBB424_1444
; %bb.1439:                             ;   in Loop: Header=BB424_707 Depth=1
	v_and_b32_e32 v7, 0x7f, v3
	v_mov_b32_e32 v6, 0x7f800001
	s_mov_b32 s13, exec_lo
	s_delay_alu instid0(VALU_DEP_2)
	v_cmpx_ne_u32_e32 0x7f, v7
	s_cbranch_execz .LBB424_1443
; %bb.1440:                             ;   in Loop: Header=BB424_707 Depth=1
	v_lshrrev_b32_e32 v150, 3, v7
	v_cmp_gt_u32_e64 s0, 8, v7
	v_dual_mov_b32 v6, v9 :: v_dual_mov_b32 v7, v10
	s_delay_alu instid0(VALU_DEP_2)
	s_and_saveexec_b32 s15, s0
; %bb.1441:                             ;   in Loop: Header=BB424_707 Depth=1
	v_and_b32_e32 v6, 7, v3
	s_delay_alu instid0(VALU_DEP_1) | instskip(NEXT) | instid1(VALU_DEP_1)
	v_clz_i32_u32_e32 v6, v6
	v_min_u32_e32 v150, 32, v6
	s_delay_alu instid0(VALU_DEP_1) | instskip(SKIP_1) | instid1(VALU_DEP_2)
	v_subrev_nc_u32_e32 v6, 28, v150
	v_sub_nc_u32_e32 v150, 29, v150
	v_lshlrev_b64 v[6:7], v6, v[9:10]
; %bb.1442:                             ;   in Loop: Header=BB424_707 Depth=1
	s_or_b32 exec_lo, exec_lo, s15
	s_delay_alu instid0(VALU_DEP_1) | instskip(SKIP_2) | instid1(VALU_DEP_3)
	v_lshlrev_b32_e32 v6, 20, v6
	v_lshlrev_b32_e32 v7, 24, v9
	v_lshl_add_u32 v150, v150, 23, 0x3c000000
	v_and_b32_e32 v6, 0x700000, v6
	s_delay_alu instid0(VALU_DEP_3) | instskip(NEXT) | instid1(VALU_DEP_1)
	v_and_b32_e32 v7, 0x80000000, v7
	v_or3_b32 v6, v6, v7, v150
.LBB424_1443:                           ;   in Loop: Header=BB424_707 Depth=1
	s_or_b32 exec_lo, exec_lo, s13
.LBB424_1444:                           ;   in Loop: Header=BB424_707 Depth=1
	s_delay_alu instid0(SALU_CYCLE_1)
	s_or_b32 exec_lo, exec_lo, s12
.LBB424_1445:                           ;   in Loop: Header=BB424_707 Depth=1
	s_delay_alu instid0(SALU_CYCLE_1) | instskip(NEXT) | instid1(VALU_DEP_1)
	s_or_b32 exec_lo, exec_lo, s9
	v_mul_f32_e32 v6, v26, v6
                                        ; implicit-def: $vgpr150
	s_delay_alu instid0(VALU_DEP_1) | instskip(NEXT) | instid1(VALU_DEP_1)
	v_and_b32_e32 v7, 0x7f800000, v6
	v_cmp_ne_u32_e64 s0, 0x7f800000, v7
	s_delay_alu instid0(VALU_DEP_1) | instskip(NEXT) | instid1(SALU_CYCLE_1)
	s_and_saveexec_b32 s9, s0
	s_xor_b32 s0, exec_lo, s9
; %bb.1446:                             ;   in Loop: Header=BB424_707 Depth=1
	v_bfe_u32 v7, v6, 16, 1
	s_delay_alu instid0(VALU_DEP_1)
	v_add3_u32 v150, v6, v7, 0x7fff
                                        ; implicit-def: $vgpr6
; %bb.1447:                             ;   in Loop: Header=BB424_707 Depth=1
	s_and_not1_saveexec_b32 s9, s0
; %bb.1448:                             ;   in Loop: Header=BB424_707 Depth=1
	v_and_b32_e32 v7, 0xffff, v6
	v_or_b32_e32 v150, 0x10000, v6
	s_delay_alu instid0(VALU_DEP_2) | instskip(NEXT) | instid1(VALU_DEP_1)
	v_cmp_eq_u32_e64 s0, 0, v7
	v_cndmask_b32_e64 v150, v150, v6, s0
; %bb.1449:                             ;   in Loop: Header=BB424_707 Depth=1
	s_or_b32 exec_lo, exec_lo, s9
	v_lshrrev_b16 v7, 8, v9
	v_mov_b32_e32 v6, 0
	s_mov_b32 s9, exec_lo
	s_delay_alu instid0(VALU_DEP_2)
	v_cmpx_ne_u16_e32 0, v7
	s_cbranch_execz .LBB424_1457
; %bb.1450:                             ;   in Loop: Header=BB424_707 Depth=1
	v_bfrev_b32_e32 v6, 1
	s_mov_b32 s12, exec_lo
	v_cmpx_ne_u16_e32 0x80, v7
	s_cbranch_execz .LBB424_1456
; %bb.1451:                             ;   in Loop: Header=BB424_707 Depth=1
	v_and_b32_e32 v7, 0xffff, v7
	v_mov_b32_e32 v6, 0x7f800001
	s_mov_b32 s13, exec_lo
	s_delay_alu instid0(VALU_DEP_2) | instskip(NEXT) | instid1(VALU_DEP_1)
	v_and_b32_e32 v160, 0x7f, v7
	v_cmpx_ne_u32_e32 0x7f, v160
	s_cbranch_execz .LBB424_1455
; %bb.1452:                             ;   in Loop: Header=BB424_707 Depth=1
	v_dual_mov_b32 v7, v10 :: v_dual_and_b32 v6, 7, v7
	v_lshrrev_b32_e32 v151, 3, v160
	s_mov_b32 s15, exec_lo
	v_cmpx_gt_u32_e32 8, v160
; %bb.1453:                             ;   in Loop: Header=BB424_707 Depth=1
	s_delay_alu instid0(VALU_DEP_3) | instskip(NEXT) | instid1(VALU_DEP_1)
	v_clz_i32_u32_e32 v151, v6
	v_min_u32_e32 v151, 32, v151
	s_delay_alu instid0(VALU_DEP_1) | instskip(SKIP_1) | instid1(VALU_DEP_2)
	v_subrev_nc_u32_e32 v160, 28, v151
	v_sub_nc_u32_e32 v151, 29, v151
	v_lshlrev_b64 v[6:7], v160, v[6:7]
	s_delay_alu instid0(VALU_DEP_1)
	v_and_b32_e32 v6, 7, v6
; %bb.1454:                             ;   in Loop: Header=BB424_707 Depth=1
	s_or_b32 exec_lo, exec_lo, s15
	v_lshlrev_b32_e32 v7, 16, v9
	s_delay_alu instid0(VALU_DEP_2) | instskip(SKIP_1) | instid1(VALU_DEP_3)
	v_lshlrev_b32_e32 v6, 20, v6
	v_lshl_add_u32 v9, v151, 23, 0x3c000000
	v_and_b32_e32 v7, 0x80000000, v7
	s_delay_alu instid0(VALU_DEP_1)
	v_or3_b32 v6, v6, v7, v9
.LBB424_1455:                           ;   in Loop: Header=BB424_707 Depth=1
	s_or_b32 exec_lo, exec_lo, s13
.LBB424_1456:                           ;   in Loop: Header=BB424_707 Depth=1
	s_delay_alu instid0(SALU_CYCLE_1)
	s_or_b32 exec_lo, exec_lo, s12
.LBB424_1457:                           ;   in Loop: Header=BB424_707 Depth=1
	s_delay_alu instid0(SALU_CYCLE_1) | instskip(NEXT) | instid1(VALU_DEP_1)
	s_or_b32 exec_lo, exec_lo, s9
	v_mul_f32_e32 v7, v26, v6
	s_delay_alu instid0(VALU_DEP_1) | instskip(NEXT) | instid1(VALU_DEP_1)
	v_and_b32_e32 v6, 0x7f800000, v7
	v_cmp_ne_u32_e64 s0, 0x7f800000, v6
                                        ; implicit-def: $vgpr6
	s_delay_alu instid0(VALU_DEP_1) | instskip(NEXT) | instid1(SALU_CYCLE_1)
	s_and_saveexec_b32 s9, s0
	s_xor_b32 s0, exec_lo, s9
; %bb.1458:                             ;   in Loop: Header=BB424_707 Depth=1
	v_bfe_u32 v6, v7, 16, 1
	s_delay_alu instid0(VALU_DEP_1)
	v_add3_u32 v6, v7, v6, 0x7fff
                                        ; implicit-def: $vgpr7
; %bb.1459:                             ;   in Loop: Header=BB424_707 Depth=1
	s_and_not1_saveexec_b32 s9, s0
; %bb.1460:                             ;   in Loop: Header=BB424_707 Depth=1
	v_and_b32_e32 v6, 0xffff, v7
	v_or_b32_e32 v9, 0x10000, v7
	s_delay_alu instid0(VALU_DEP_2) | instskip(NEXT) | instid1(VALU_DEP_1)
	v_cmp_eq_u32_e64 s0, 0, v6
	v_cndmask_b32_e64 v6, v9, v7, s0
; %bb.1461:                             ;   in Loop: Header=BB424_707 Depth=1
	s_or_b32 exec_lo, exec_lo, s9
	v_lshrrev_b32_e32 v7, 16, v3
	v_mov_b32_e32 v9, 0
	s_mov_b32 s9, exec_lo
	s_delay_alu instid0(VALU_DEP_2) | instskip(NEXT) | instid1(VALU_DEP_1)
	v_and_b32_e32 v151, 0xff, v7
	v_cmpx_ne_u16_e64 0, v151
	s_cbranch_execz .LBB424_1469
; %bb.1462:                             ;   in Loop: Header=BB424_707 Depth=1
	v_bfrev_b32_e32 v9, 1
	s_mov_b32 s12, exec_lo
	v_cmpx_ne_u16_e64 0x80, v151
	s_cbranch_execz .LBB424_1468
; %bb.1463:                             ;   in Loop: Header=BB424_707 Depth=1
	v_bfe_u32 v160, v3, 16, 7
	v_mov_b32_e32 v9, 0x7f800001
	s_mov_b32 s13, exec_lo
	s_delay_alu instid0(VALU_DEP_2)
	v_cmpx_ne_u32_e32 0x7f, v160
	s_cbranch_execz .LBB424_1467
; %bb.1464:                             ;   in Loop: Header=BB424_707 Depth=1
	v_and_b32_e32 v9, 7, v7
	v_lshrrev_b32_e32 v151, 3, v160
	s_mov_b32 s15, exec_lo
	v_cmpx_gt_u32_e32 8, v160
; %bb.1465:                             ;   in Loop: Header=BB424_707 Depth=1
	s_delay_alu instid0(VALU_DEP_3) | instskip(NEXT) | instid1(VALU_DEP_1)
	v_clz_i32_u32_e32 v151, v9
	v_min_u32_e32 v151, 32, v151
	s_delay_alu instid0(VALU_DEP_1) | instskip(SKIP_1) | instid1(VALU_DEP_2)
	v_subrev_nc_u32_e32 v160, 28, v151
	v_sub_nc_u32_e32 v151, 29, v151
	v_lshlrev_b64 v[160:161], v160, v[9:10]
	s_delay_alu instid0(VALU_DEP_1)
	v_and_b32_e32 v9, 7, v160
; %bb.1466:                             ;   in Loop: Header=BB424_707 Depth=1
	s_or_b32 exec_lo, exec_lo, s15
	v_lshlrev_b32_e32 v7, 24, v7
	s_delay_alu instid0(VALU_DEP_2) | instskip(SKIP_1) | instid1(VALU_DEP_3)
	v_lshlrev_b32_e32 v9, 20, v9
	v_lshl_add_u32 v151, v151, 23, 0x3c000000
	v_and_b32_e32 v7, 0x80000000, v7
	s_delay_alu instid0(VALU_DEP_1)
	v_or3_b32 v9, v9, v7, v151
.LBB424_1467:                           ;   in Loop: Header=BB424_707 Depth=1
	s_or_b32 exec_lo, exec_lo, s13
.LBB424_1468:                           ;   in Loop: Header=BB424_707 Depth=1
	s_delay_alu instid0(SALU_CYCLE_1)
	s_or_b32 exec_lo, exec_lo, s12
.LBB424_1469:                           ;   in Loop: Header=BB424_707 Depth=1
	s_delay_alu instid0(SALU_CYCLE_1) | instskip(NEXT) | instid1(VALU_DEP_1)
	s_or_b32 exec_lo, exec_lo, s9
	v_mul_f32_e32 v9, v26, v9
	s_delay_alu instid0(VALU_DEP_1) | instskip(NEXT) | instid1(VALU_DEP_1)
	v_and_b32_e32 v7, 0x7f800000, v9
	v_cmp_ne_u32_e64 s0, 0x7f800000, v7
                                        ; implicit-def: $vgpr7
	s_delay_alu instid0(VALU_DEP_1) | instskip(NEXT) | instid1(SALU_CYCLE_1)
	s_and_saveexec_b32 s9, s0
	s_xor_b32 s0, exec_lo, s9
; %bb.1470:                             ;   in Loop: Header=BB424_707 Depth=1
	v_bfe_u32 v7, v9, 16, 1
	s_delay_alu instid0(VALU_DEP_1)
	v_add3_u32 v7, v9, v7, 0x7fff
                                        ; implicit-def: $vgpr9
; %bb.1471:                             ;   in Loop: Header=BB424_707 Depth=1
	s_and_not1_saveexec_b32 s9, s0
; %bb.1472:                             ;   in Loop: Header=BB424_707 Depth=1
	v_and_b32_e32 v7, 0xffff, v9
	v_or_b32_e32 v151, 0x10000, v9
	s_delay_alu instid0(VALU_DEP_2) | instskip(NEXT) | instid1(VALU_DEP_1)
	v_cmp_eq_u32_e64 s0, 0, v7
	v_cndmask_b32_e64 v7, v151, v9, s0
; %bb.1473:                             ;   in Loop: Header=BB424_707 Depth=1
	s_or_b32 exec_lo, exec_lo, s9
	v_mov_b32_e32 v9, 0
	s_mov_b32 s9, exec_lo
	v_cmpx_lt_u64_e64 s[2:3], v[2:3]
	s_cbranch_execz .LBB424_1481
; %bb.1474:                             ;   in Loop: Header=BB424_707 Depth=1
	v_lshrrev_b32_e32 v2, 24, v3
	v_bfrev_b32_e32 v9, 1
	s_mov_b32 s12, exec_lo
	s_delay_alu instid0(VALU_DEP_2)
	v_cmpx_ne_u32_e32 0x80, v2
	s_cbranch_execz .LBB424_1480
; %bb.1475:                             ;   in Loop: Header=BB424_707 Depth=1
	v_bfe_u32 v151, v3, 24, 7
	v_mov_b32_e32 v9, 0x7f800001
	s_mov_b32 s13, exec_lo
	s_delay_alu instid0(VALU_DEP_2)
	v_cmpx_ne_u32_e32 0x7f, v151
	s_cbranch_execz .LBB424_1479
; %bb.1476:                             ;   in Loop: Header=BB424_707 Depth=1
	v_and_b32_e32 v9, 7, v2
	v_lshrrev_b32_e32 v3, 3, v151
	s_mov_b32 s15, exec_lo
	v_cmpx_gt_u32_e32 8, v151
; %bb.1477:                             ;   in Loop: Header=BB424_707 Depth=1
	s_delay_alu instid0(VALU_DEP_3) | instskip(NEXT) | instid1(VALU_DEP_1)
	v_clz_i32_u32_e32 v3, v9
	v_min_u32_e32 v3, 32, v3
	s_delay_alu instid0(VALU_DEP_1) | instskip(SKIP_1) | instid1(VALU_DEP_2)
	v_subrev_nc_u32_e32 v151, 28, v3
	v_sub_nc_u32_e32 v3, 29, v3
	v_lshlrev_b64 v[160:161], v151, v[9:10]
	s_delay_alu instid0(VALU_DEP_1)
	v_and_b32_e32 v9, 7, v160
; %bb.1478:                             ;   in Loop: Header=BB424_707 Depth=1
	s_or_b32 exec_lo, exec_lo, s15
	v_lshlrev_b32_e32 v2, 24, v2
	s_delay_alu instid0(VALU_DEP_2) | instskip(SKIP_1) | instid1(VALU_DEP_3)
	v_lshlrev_b32_e32 v9, 20, v9
	v_lshl_add_u32 v3, v3, 23, 0x3c000000
	v_and_b32_e32 v2, 0x80000000, v2
	s_delay_alu instid0(VALU_DEP_1)
	v_or3_b32 v9, v9, v2, v3
.LBB424_1479:                           ;   in Loop: Header=BB424_707 Depth=1
	s_or_b32 exec_lo, exec_lo, s13
.LBB424_1480:                           ;   in Loop: Header=BB424_707 Depth=1
	s_delay_alu instid0(SALU_CYCLE_1)
	s_or_b32 exec_lo, exec_lo, s12
.LBB424_1481:                           ;   in Loop: Header=BB424_707 Depth=1
	s_delay_alu instid0(SALU_CYCLE_1) | instskip(NEXT) | instid1(VALU_DEP_1)
	s_or_b32 exec_lo, exec_lo, s9
	v_mul_f32_e32 v3, v26, v9
	s_delay_alu instid0(VALU_DEP_1) | instskip(NEXT) | instid1(VALU_DEP_1)
	v_and_b32_e32 v2, 0x7f800000, v3
	v_cmp_ne_u32_e64 s0, 0x7f800000, v2
                                        ; implicit-def: $vgpr2
	s_delay_alu instid0(VALU_DEP_1) | instskip(NEXT) | instid1(SALU_CYCLE_1)
	s_and_saveexec_b32 s9, s0
	s_xor_b32 s0, exec_lo, s9
; %bb.1482:                             ;   in Loop: Header=BB424_707 Depth=1
	v_bfe_u32 v2, v3, 16, 1
	s_delay_alu instid0(VALU_DEP_1)
	v_add3_u32 v2, v3, v2, 0x7fff
                                        ; implicit-def: $vgpr3
; %bb.1483:                             ;   in Loop: Header=BB424_707 Depth=1
	s_and_not1_saveexec_b32 s9, s0
; %bb.1484:                             ;   in Loop: Header=BB424_707 Depth=1
	v_and_b32_e32 v2, 0xffff, v3
	v_or_b32_e32 v9, 0x10000, v3
	s_delay_alu instid0(VALU_DEP_2) | instskip(NEXT) | instid1(VALU_DEP_1)
	v_cmp_eq_u32_e64 s0, 0, v2
	v_cndmask_b32_e64 v2, v9, v3, s0
; %bb.1485:                             ;   in Loop: Header=BB424_707 Depth=1
	s_or_b32 exec_lo, exec_lo, s9
	v_lshrrev_b32_e32 v9, 16, v6
	v_lshrrev_b32_e32 v150, 16, v150
	;; [unrolled: 1-line block ×8, first 2 shown]
	s_and_saveexec_b32 s9, vcc_lo
	s_cbranch_execz .LBB424_1487
; %bb.1486:                             ;   in Loop: Header=BB424_707 Depth=1
	v_cmp_lt_i32_e64 s0, v51, v33
	s_delay_alu instid0(VALU_DEP_1) | instskip(SKIP_1) | instid1(VALU_DEP_1)
	v_cndmask_b32_e64 v6, 0, v6, s0
	v_cmp_lt_i32_e64 s0, v65, v33
	v_cndmask_b32_e64 v147, 0, v147, s0
	v_cmp_lt_i32_e64 s0, v64, v33
	s_delay_alu instid0(VALU_DEP_1) | instskip(SKIP_1) | instid1(VALU_DEP_1)
	v_cndmask_b32_e64 v148, 0, v148, s0
	v_cmp_lt_i32_e64 s0, v55, v33
	v_cndmask_b32_e64 v149, 0, v149, s0
	;; [unrolled: 5-line block ×4, first 2 shown]
.LBB424_1487:                           ;   in Loop: Header=BB424_707 Depth=1
	s_or_b32 exec_lo, exec_lo, s9
	v_lshlrev_b32_e32 v6, 16, v6
	s_delay_alu instid0(VALU_DEP_1) | instskip(NEXT) | instid1(VALU_DEP_1)
	v_mul_f32_e32 v7, v66, v6
	v_and_b32_e32 v6, 0x7f800000, v7
	s_delay_alu instid0(VALU_DEP_1) | instskip(NEXT) | instid1(VALU_DEP_1)
	v_cmp_ne_u32_e64 s0, 0x7f800000, v6
                                        ; implicit-def: $vgpr6
	s_and_saveexec_b32 s9, s0
	s_delay_alu instid0(SALU_CYCLE_1)
	s_xor_b32 s0, exec_lo, s9
; %bb.1488:                             ;   in Loop: Header=BB424_707 Depth=1
	v_bfe_u32 v6, v7, 16, 1
	s_delay_alu instid0(VALU_DEP_1)
	v_add3_u32 v6, v7, v6, 0x7fff
                                        ; implicit-def: $vgpr7
; %bb.1489:                             ;   in Loop: Header=BB424_707 Depth=1
	s_and_not1_saveexec_b32 s9, s0
; %bb.1490:                             ;   in Loop: Header=BB424_707 Depth=1
	v_and_b32_e32 v6, 0xffff, v7
	v_or_b32_e32 v146, 0x10000, v7
	s_delay_alu instid0(VALU_DEP_2) | instskip(NEXT) | instid1(VALU_DEP_1)
	v_cmp_eq_u32_e64 s0, 0, v6
	v_cndmask_b32_e64 v6, v146, v7, s0
; %bb.1491:                             ;   in Loop: Header=BB424_707 Depth=1
	s_or_b32 exec_lo, exec_lo, s9
	v_lshlrev_b32_e32 v7, 16, v147
	s_delay_alu instid0(VALU_DEP_1) | instskip(NEXT) | instid1(VALU_DEP_1)
	v_mul_f32_e32 v146, v67, v7
	v_and_b32_e32 v7, 0x7f800000, v146
	s_delay_alu instid0(VALU_DEP_1) | instskip(NEXT) | instid1(VALU_DEP_1)
	v_cmp_ne_u32_e64 s0, 0x7f800000, v7
                                        ; implicit-def: $vgpr7
	s_and_saveexec_b32 s9, s0
	s_delay_alu instid0(SALU_CYCLE_1)
	s_xor_b32 s0, exec_lo, s9
; %bb.1492:                             ;   in Loop: Header=BB424_707 Depth=1
	v_bfe_u32 v7, v146, 16, 1
	s_delay_alu instid0(VALU_DEP_1)
	v_add3_u32 v7, v146, v7, 0x7fff
                                        ; implicit-def: $vgpr146
; %bb.1493:                             ;   in Loop: Header=BB424_707 Depth=1
	s_and_not1_saveexec_b32 s9, s0
; %bb.1494:                             ;   in Loop: Header=BB424_707 Depth=1
	v_and_b32_e32 v7, 0xffff, v146
	v_or_b32_e32 v147, 0x10000, v146
	s_delay_alu instid0(VALU_DEP_2) | instskip(NEXT) | instid1(VALU_DEP_1)
	v_cmp_eq_u32_e64 s0, 0, v7
	v_cndmask_b32_e64 v7, v147, v146, s0
; %bb.1495:                             ;   in Loop: Header=BB424_707 Depth=1
	s_or_b32 exec_lo, exec_lo, s9
	v_lshlrev_b32_e32 v146, 16, v148
	s_delay_alu instid0(VALU_DEP_1) | instskip(NEXT) | instid1(VALU_DEP_1)
	v_mul_f32_e32 v147, v68, v146
	v_and_b32_e32 v146, 0x7f800000, v147
	s_delay_alu instid0(VALU_DEP_1) | instskip(NEXT) | instid1(VALU_DEP_1)
	v_cmp_ne_u32_e64 s0, 0x7f800000, v146
                                        ; implicit-def: $vgpr146
	s_and_saveexec_b32 s9, s0
	s_delay_alu instid0(SALU_CYCLE_1)
	s_xor_b32 s0, exec_lo, s9
; %bb.1496:                             ;   in Loop: Header=BB424_707 Depth=1
	v_bfe_u32 v146, v147, 16, 1
	s_delay_alu instid0(VALU_DEP_1)
	v_add3_u32 v146, v147, v146, 0x7fff
                                        ; implicit-def: $vgpr147
; %bb.1497:                             ;   in Loop: Header=BB424_707 Depth=1
	s_and_not1_saveexec_b32 s9, s0
; %bb.1498:                             ;   in Loop: Header=BB424_707 Depth=1
	v_and_b32_e32 v146, 0xffff, v147
	v_or_b32_e32 v148, 0x10000, v147
	s_delay_alu instid0(VALU_DEP_2) | instskip(NEXT) | instid1(VALU_DEP_1)
	v_cmp_eq_u32_e64 s0, 0, v146
	v_cndmask_b32_e64 v146, v148, v147, s0
; %bb.1499:                             ;   in Loop: Header=BB424_707 Depth=1
	s_or_b32 exec_lo, exec_lo, s9
	v_lshlrev_b32_e32 v147, 16, v149
	s_delay_alu instid0(VALU_DEP_1) | instskip(NEXT) | instid1(VALU_DEP_1)
	v_mul_f32_e32 v148, v69, v147
	v_and_b32_e32 v147, 0x7f800000, v148
	s_delay_alu instid0(VALU_DEP_1) | instskip(NEXT) | instid1(VALU_DEP_1)
	v_cmp_ne_u32_e64 s0, 0x7f800000, v147
                                        ; implicit-def: $vgpr147
	s_and_saveexec_b32 s9, s0
	s_delay_alu instid0(SALU_CYCLE_1)
	s_xor_b32 s0, exec_lo, s9
; %bb.1500:                             ;   in Loop: Header=BB424_707 Depth=1
	v_bfe_u32 v147, v148, 16, 1
	s_delay_alu instid0(VALU_DEP_1)
	v_add3_u32 v147, v148, v147, 0x7fff
                                        ; implicit-def: $vgpr148
; %bb.1501:                             ;   in Loop: Header=BB424_707 Depth=1
	s_and_not1_saveexec_b32 s9, s0
; %bb.1502:                             ;   in Loop: Header=BB424_707 Depth=1
	v_and_b32_e32 v147, 0xffff, v148
	v_or_b32_e32 v149, 0x10000, v148
	s_delay_alu instid0(VALU_DEP_2) | instskip(NEXT) | instid1(VALU_DEP_1)
	v_cmp_eq_u32_e64 s0, 0, v147
	v_cndmask_b32_e64 v147, v149, v148, s0
; %bb.1503:                             ;   in Loop: Header=BB424_707 Depth=1
	s_or_b32 exec_lo, exec_lo, s9
	v_lshlrev_b32_e32 v148, 16, v150
	s_delay_alu instid0(VALU_DEP_1) | instskip(NEXT) | instid1(VALU_DEP_1)
	v_mul_f32_e32 v149, v70, v148
	v_and_b32_e32 v148, 0x7f800000, v149
	s_delay_alu instid0(VALU_DEP_1) | instskip(NEXT) | instid1(VALU_DEP_1)
	v_cmp_ne_u32_e64 s0, 0x7f800000, v148
                                        ; implicit-def: $vgpr148
	s_and_saveexec_b32 s9, s0
	s_delay_alu instid0(SALU_CYCLE_1)
	s_xor_b32 s0, exec_lo, s9
; %bb.1504:                             ;   in Loop: Header=BB424_707 Depth=1
	v_bfe_u32 v148, v149, 16, 1
	s_delay_alu instid0(VALU_DEP_1)
	v_add3_u32 v148, v149, v148, 0x7fff
                                        ; implicit-def: $vgpr149
; %bb.1505:                             ;   in Loop: Header=BB424_707 Depth=1
	s_and_not1_saveexec_b32 s9, s0
; %bb.1506:                             ;   in Loop: Header=BB424_707 Depth=1
	v_and_b32_e32 v148, 0xffff, v149
	v_or_b32_e32 v150, 0x10000, v149
	s_delay_alu instid0(VALU_DEP_2) | instskip(NEXT) | instid1(VALU_DEP_1)
	v_cmp_eq_u32_e64 s0, 0, v148
	v_cndmask_b32_e64 v148, v150, v149, s0
; %bb.1507:                             ;   in Loop: Header=BB424_707 Depth=1
	s_or_b32 exec_lo, exec_lo, s9
	v_lshlrev_b32_e32 v9, 16, v9
	s_delay_alu instid0(VALU_DEP_1) | instskip(NEXT) | instid1(VALU_DEP_1)
	v_mul_f32_e32 v9, v71, v9
	v_and_b32_e32 v149, 0x7f800000, v9
	s_delay_alu instid0(VALU_DEP_1) | instskip(NEXT) | instid1(VALU_DEP_1)
	v_cmp_ne_u32_e64 s0, 0x7f800000, v149
                                        ; implicit-def: $vgpr149
	s_and_saveexec_b32 s9, s0
	s_delay_alu instid0(SALU_CYCLE_1)
	s_xor_b32 s0, exec_lo, s9
; %bb.1508:                             ;   in Loop: Header=BB424_707 Depth=1
	v_bfe_u32 v149, v9, 16, 1
	s_delay_alu instid0(VALU_DEP_1)
	v_add3_u32 v149, v9, v149, 0x7fff
                                        ; implicit-def: $vgpr9
; %bb.1509:                             ;   in Loop: Header=BB424_707 Depth=1
	s_and_not1_saveexec_b32 s9, s0
; %bb.1510:                             ;   in Loop: Header=BB424_707 Depth=1
	v_and_b32_e32 v149, 0xffff, v9
	v_or_b32_e32 v150, 0x10000, v9
	s_delay_alu instid0(VALU_DEP_2) | instskip(NEXT) | instid1(VALU_DEP_1)
	v_cmp_eq_u32_e64 s0, 0, v149
	v_cndmask_b32_e64 v149, v150, v9, s0
; %bb.1511:                             ;   in Loop: Header=BB424_707 Depth=1
	s_or_b32 exec_lo, exec_lo, s9
	v_lshlrev_b32_e32 v3, 16, v3
                                        ; implicit-def: $vgpr150
	s_delay_alu instid0(VALU_DEP_1) | instskip(NEXT) | instid1(VALU_DEP_1)
	v_mul_f32_e32 v3, v80, v3
	v_and_b32_e32 v9, 0x7f800000, v3
	s_delay_alu instid0(VALU_DEP_1) | instskip(NEXT) | instid1(VALU_DEP_1)
	v_cmp_ne_u32_e64 s0, 0x7f800000, v9
	s_and_saveexec_b32 s9, s0
	s_delay_alu instid0(SALU_CYCLE_1)
	s_xor_b32 s0, exec_lo, s9
; %bb.1512:                             ;   in Loop: Header=BB424_707 Depth=1
	v_bfe_u32 v9, v3, 16, 1
	s_delay_alu instid0(VALU_DEP_1)
	v_add3_u32 v150, v3, v9, 0x7fff
                                        ; implicit-def: $vgpr3
; %bb.1513:                             ;   in Loop: Header=BB424_707 Depth=1
	s_and_not1_saveexec_b32 s9, s0
; %bb.1514:                             ;   in Loop: Header=BB424_707 Depth=1
	v_and_b32_e32 v9, 0xffff, v3
	v_or_b32_e32 v150, 0x10000, v3
	s_delay_alu instid0(VALU_DEP_2) | instskip(NEXT) | instid1(VALU_DEP_1)
	v_cmp_eq_u32_e64 s0, 0, v9
	v_cndmask_b32_e64 v150, v150, v3, s0
; %bb.1515:                             ;   in Loop: Header=BB424_707 Depth=1
	s_or_b32 exec_lo, exec_lo, s9
	v_lshlrev_b32_e32 v2, 16, v2
                                        ; implicit-def: $vgpr151
	s_delay_alu instid0(VALU_DEP_1) | instskip(NEXT) | instid1(VALU_DEP_1)
	v_mul_f32_e32 v2, v81, v2
	v_and_b32_e32 v3, 0x7f800000, v2
	s_delay_alu instid0(VALU_DEP_1) | instskip(NEXT) | instid1(VALU_DEP_1)
	v_cmp_ne_u32_e64 s0, 0x7f800000, v3
	s_and_saveexec_b32 s9, s0
	s_delay_alu instid0(SALU_CYCLE_1)
	s_xor_b32 s0, exec_lo, s9
; %bb.1516:                             ;   in Loop: Header=BB424_707 Depth=1
	v_bfe_u32 v3, v2, 16, 1
	s_delay_alu instid0(VALU_DEP_1)
	v_add3_u32 v151, v2, v3, 0x7fff
                                        ; implicit-def: $vgpr2
; %bb.1517:                             ;   in Loop: Header=BB424_707 Depth=1
	s_and_not1_saveexec_b32 s9, s0
; %bb.1518:                             ;   in Loop: Header=BB424_707 Depth=1
	v_and_b32_e32 v3, 0xffff, v2
	v_or_b32_e32 v9, 0x10000, v2
	s_delay_alu instid0(VALU_DEP_2) | instskip(NEXT) | instid1(VALU_DEP_1)
	v_cmp_eq_u32_e64 s0, 0, v3
	v_cndmask_b32_e64 v151, v9, v2, s0
; %bb.1519:                             ;   in Loop: Header=BB424_707 Depth=1
	s_or_b32 exec_lo, exec_lo, s9
	flat_load_b64 v[0:1], v[0:1] offset:1536
	s_mov_b32 s9, exec_lo
	s_waitcnt vmcnt(0) lgkmcnt(0)
	v_dual_mov_b32 v2, 0 :: v_dual_and_b32 v3, 0xff, v0
	s_delay_alu instid0(VALU_DEP_1)
	v_cmpx_ne_u16_e32 0, v3
	s_cbranch_execz .LBB424_1527
; %bb.1520:                             ;   in Loop: Header=BB424_707 Depth=1
	v_bfrev_b32_e32 v2, 1
	s_mov_b32 s12, exec_lo
	v_cmpx_ne_u16_e32 0x80, v3
	s_cbranch_execz .LBB424_1526
; %bb.1521:                             ;   in Loop: Header=BB424_707 Depth=1
	v_and_b32_e32 v3, 0x7f, v0
	v_mov_b32_e32 v2, 0x7f800001
	s_mov_b32 s13, exec_lo
	s_delay_alu instid0(VALU_DEP_2)
	v_cmpx_ne_u32_e32 0x7f, v3
	s_cbranch_execz .LBB424_1525
; %bb.1522:                             ;   in Loop: Header=BB424_707 Depth=1
	v_lshrrev_b32_e32 v9, 3, v3
	v_cmp_gt_u32_e64 s0, 8, v3
	v_dual_mov_b32 v3, v1 :: v_dual_mov_b32 v2, v0
	s_delay_alu instid0(VALU_DEP_2)
	s_and_saveexec_b32 s15, s0
; %bb.1523:                             ;   in Loop: Header=BB424_707 Depth=1
	v_and_b32_e32 v2, 7, v0
	s_delay_alu instid0(VALU_DEP_1) | instskip(NEXT) | instid1(VALU_DEP_1)
	v_clz_i32_u32_e32 v2, v2
	v_min_u32_e32 v9, 32, v2
	s_delay_alu instid0(VALU_DEP_1) | instskip(SKIP_1) | instid1(VALU_DEP_2)
	v_subrev_nc_u32_e32 v2, 28, v9
	v_sub_nc_u32_e32 v9, 29, v9
	v_lshlrev_b64 v[2:3], v2, v[0:1]
; %bb.1524:                             ;   in Loop: Header=BB424_707 Depth=1
	s_or_b32 exec_lo, exec_lo, s15
	s_delay_alu instid0(VALU_DEP_1) | instskip(SKIP_2) | instid1(VALU_DEP_3)
	v_lshlrev_b32_e32 v2, 20, v2
	v_lshlrev_b32_e32 v3, 24, v0
	v_lshl_add_u32 v9, v9, 23, 0x3c000000
	v_and_b32_e32 v2, 0x700000, v2
	s_delay_alu instid0(VALU_DEP_3) | instskip(NEXT) | instid1(VALU_DEP_1)
	v_and_b32_e32 v3, 0x80000000, v3
	v_or3_b32 v2, v2, v3, v9
.LBB424_1525:                           ;   in Loop: Header=BB424_707 Depth=1
	s_or_b32 exec_lo, exec_lo, s13
.LBB424_1526:                           ;   in Loop: Header=BB424_707 Depth=1
	s_delay_alu instid0(SALU_CYCLE_1)
	s_or_b32 exec_lo, exec_lo, s12
.LBB424_1527:                           ;   in Loop: Header=BB424_707 Depth=1
	s_delay_alu instid0(SALU_CYCLE_1) | instskip(NEXT) | instid1(VALU_DEP_1)
	s_or_b32 exec_lo, exec_lo, s9
	v_mul_f32_e32 v2, v26, v2
                                        ; implicit-def: $vgpr160
	s_delay_alu instid0(VALU_DEP_1) | instskip(NEXT) | instid1(VALU_DEP_1)
	v_and_b32_e32 v3, 0x7f800000, v2
	v_cmp_ne_u32_e64 s0, 0x7f800000, v3
	s_delay_alu instid0(VALU_DEP_1) | instskip(NEXT) | instid1(SALU_CYCLE_1)
	s_and_saveexec_b32 s9, s0
	s_xor_b32 s0, exec_lo, s9
; %bb.1528:                             ;   in Loop: Header=BB424_707 Depth=1
	v_bfe_u32 v3, v2, 16, 1
	s_delay_alu instid0(VALU_DEP_1)
	v_add3_u32 v160, v2, v3, 0x7fff
                                        ; implicit-def: $vgpr2
; %bb.1529:                             ;   in Loop: Header=BB424_707 Depth=1
	s_and_not1_saveexec_b32 s9, s0
; %bb.1530:                             ;   in Loop: Header=BB424_707 Depth=1
	v_and_b32_e32 v3, 0xffff, v2
	v_or_b32_e32 v9, 0x10000, v2
	s_delay_alu instid0(VALU_DEP_2) | instskip(NEXT) | instid1(VALU_DEP_1)
	v_cmp_eq_u32_e64 s0, 0, v3
	v_cndmask_b32_e64 v160, v9, v2, s0
; %bb.1531:                             ;   in Loop: Header=BB424_707 Depth=1
	s_or_b32 exec_lo, exec_lo, s9
	v_lshrrev_b16 v3, 8, v0
	v_mov_b32_e32 v2, 0
	s_mov_b32 s9, exec_lo
	s_delay_alu instid0(VALU_DEP_2)
	v_cmpx_ne_u16_e32 0, v3
	s_cbranch_execz .LBB424_1539
; %bb.1532:                             ;   in Loop: Header=BB424_707 Depth=1
	v_bfrev_b32_e32 v2, 1
	s_mov_b32 s12, exec_lo
	v_cmpx_ne_u16_e32 0x80, v3
	s_cbranch_execz .LBB424_1538
; %bb.1533:                             ;   in Loop: Header=BB424_707 Depth=1
	v_and_b32_e32 v9, 0xffff, v3
	v_mov_b32_e32 v2, 0x7f800001
	s_mov_b32 s13, exec_lo
	s_delay_alu instid0(VALU_DEP_2) | instskip(NEXT) | instid1(VALU_DEP_1)
	v_and_b32_e32 v3, 0x7f, v9
	v_cmpx_ne_u32_e32 0x7f, v3
	s_cbranch_execz .LBB424_1537
; %bb.1534:                             ;   in Loop: Header=BB424_707 Depth=1
	v_and_b32_e32 v9, 7, v9
	v_lshrrev_b32_e32 v2, 3, v3
	s_mov_b32 s15, exec_lo
	v_cmpx_gt_u32_e32 8, v3
; %bb.1535:                             ;   in Loop: Header=BB424_707 Depth=1
	s_delay_alu instid0(VALU_DEP_3) | instskip(NEXT) | instid1(VALU_DEP_1)
	v_clz_i32_u32_e32 v2, v9
	v_min_u32_e32 v2, 32, v2
	s_delay_alu instid0(VALU_DEP_1) | instskip(SKIP_1) | instid1(VALU_DEP_2)
	v_subrev_nc_u32_e32 v3, 28, v2
	v_sub_nc_u32_e32 v2, 29, v2
	v_lshlrev_b64 v[161:162], v3, v[9:10]
	s_delay_alu instid0(VALU_DEP_1)
	v_and_b32_e32 v9, 7, v161
; %bb.1536:                             ;   in Loop: Header=BB424_707 Depth=1
	s_or_b32 exec_lo, exec_lo, s15
	v_lshlrev_b32_e32 v3, 16, v0
	s_delay_alu instid0(VALU_DEP_2) | instskip(SKIP_1) | instid1(VALU_DEP_3)
	v_lshlrev_b32_e32 v9, 20, v9
	v_lshl_add_u32 v2, v2, 23, 0x3c000000
	v_and_b32_e32 v3, 0x80000000, v3
	s_delay_alu instid0(VALU_DEP_1)
	v_or3_b32 v2, v9, v3, v2
.LBB424_1537:                           ;   in Loop: Header=BB424_707 Depth=1
	s_or_b32 exec_lo, exec_lo, s13
.LBB424_1538:                           ;   in Loop: Header=BB424_707 Depth=1
	s_delay_alu instid0(SALU_CYCLE_1)
	s_or_b32 exec_lo, exec_lo, s12
.LBB424_1539:                           ;   in Loop: Header=BB424_707 Depth=1
	s_delay_alu instid0(SALU_CYCLE_1) | instskip(NEXT) | instid1(VALU_DEP_1)
	s_or_b32 exec_lo, exec_lo, s9
	v_mul_f32_e32 v2, v26, v2
                                        ; implicit-def: $vgpr161
	s_delay_alu instid0(VALU_DEP_1) | instskip(NEXT) | instid1(VALU_DEP_1)
	v_and_b32_e32 v3, 0x7f800000, v2
	v_cmp_ne_u32_e64 s0, 0x7f800000, v3
	s_delay_alu instid0(VALU_DEP_1) | instskip(NEXT) | instid1(SALU_CYCLE_1)
	s_and_saveexec_b32 s9, s0
	s_xor_b32 s0, exec_lo, s9
; %bb.1540:                             ;   in Loop: Header=BB424_707 Depth=1
	v_bfe_u32 v3, v2, 16, 1
	s_delay_alu instid0(VALU_DEP_1)
	v_add3_u32 v161, v2, v3, 0x7fff
                                        ; implicit-def: $vgpr2
; %bb.1541:                             ;   in Loop: Header=BB424_707 Depth=1
	s_and_not1_saveexec_b32 s9, s0
; %bb.1542:                             ;   in Loop: Header=BB424_707 Depth=1
	v_and_b32_e32 v3, 0xffff, v2
	v_or_b32_e32 v9, 0x10000, v2
	s_delay_alu instid0(VALU_DEP_2) | instskip(NEXT) | instid1(VALU_DEP_1)
	v_cmp_eq_u32_e64 s0, 0, v3
	v_cndmask_b32_e64 v161, v9, v2, s0
; %bb.1543:                             ;   in Loop: Header=BB424_707 Depth=1
	s_or_b32 exec_lo, exec_lo, s9
	v_lshrrev_b32_e32 v2, 16, v0
	v_mov_b32_e32 v3, 0
	s_mov_b32 s9, exec_lo
	s_delay_alu instid0(VALU_DEP_2) | instskip(NEXT) | instid1(VALU_DEP_1)
	v_and_b32_e32 v9, 0xff, v2
	v_cmpx_ne_u16_e32 0, v9
	s_cbranch_execz .LBB424_1551
; %bb.1544:                             ;   in Loop: Header=BB424_707 Depth=1
	v_bfrev_b32_e32 v3, 1
	s_mov_b32 s12, exec_lo
	v_cmpx_ne_u16_e32 0x80, v9
	s_cbranch_execz .LBB424_1550
; %bb.1545:                             ;   in Loop: Header=BB424_707 Depth=1
	v_bfe_u32 v162, v0, 16, 7
	v_mov_b32_e32 v3, 0x7f800001
	s_mov_b32 s13, exec_lo
	s_delay_alu instid0(VALU_DEP_2)
	v_cmpx_ne_u32_e32 0x7f, v162
	s_cbranch_execz .LBB424_1549
; %bb.1546:                             ;   in Loop: Header=BB424_707 Depth=1
	v_and_b32_e32 v9, 7, v2
	v_lshrrev_b32_e32 v3, 3, v162
	s_mov_b32 s15, exec_lo
	v_cmpx_gt_u32_e32 8, v162
; %bb.1547:                             ;   in Loop: Header=BB424_707 Depth=1
	s_delay_alu instid0(VALU_DEP_3) | instskip(NEXT) | instid1(VALU_DEP_1)
	v_clz_i32_u32_e32 v3, v9
	v_min_u32_e32 v3, 32, v3
	s_delay_alu instid0(VALU_DEP_1) | instskip(SKIP_1) | instid1(VALU_DEP_2)
	v_subrev_nc_u32_e32 v162, 28, v3
	v_sub_nc_u32_e32 v3, 29, v3
	v_lshlrev_b64 v[162:163], v162, v[9:10]
	s_delay_alu instid0(VALU_DEP_1)
	v_and_b32_e32 v9, 7, v162
; %bb.1548:                             ;   in Loop: Header=BB424_707 Depth=1
	s_or_b32 exec_lo, exec_lo, s15
	v_lshlrev_b32_e32 v2, 24, v2
	s_delay_alu instid0(VALU_DEP_2) | instskip(SKIP_1) | instid1(VALU_DEP_3)
	v_lshlrev_b32_e32 v9, 20, v9
	v_lshl_add_u32 v3, v3, 23, 0x3c000000
	v_and_b32_e32 v2, 0x80000000, v2
	s_delay_alu instid0(VALU_DEP_1)
	v_or3_b32 v3, v9, v2, v3
.LBB424_1549:                           ;   in Loop: Header=BB424_707 Depth=1
	s_or_b32 exec_lo, exec_lo, s13
.LBB424_1550:                           ;   in Loop: Header=BB424_707 Depth=1
	s_delay_alu instid0(SALU_CYCLE_1)
	s_or_b32 exec_lo, exec_lo, s12
.LBB424_1551:                           ;   in Loop: Header=BB424_707 Depth=1
	s_delay_alu instid0(SALU_CYCLE_1) | instskip(NEXT) | instid1(VALU_DEP_1)
	s_or_b32 exec_lo, exec_lo, s9
	v_mul_f32_e32 v2, v26, v3
                                        ; implicit-def: $vgpr162
	s_delay_alu instid0(VALU_DEP_1) | instskip(NEXT) | instid1(VALU_DEP_1)
	v_and_b32_e32 v3, 0x7f800000, v2
	v_cmp_ne_u32_e64 s0, 0x7f800000, v3
	s_delay_alu instid0(VALU_DEP_1) | instskip(NEXT) | instid1(SALU_CYCLE_1)
	s_and_saveexec_b32 s9, s0
	s_xor_b32 s0, exec_lo, s9
; %bb.1552:                             ;   in Loop: Header=BB424_707 Depth=1
	v_bfe_u32 v3, v2, 16, 1
	s_delay_alu instid0(VALU_DEP_1)
	v_add3_u32 v162, v2, v3, 0x7fff
                                        ; implicit-def: $vgpr2
; %bb.1553:                             ;   in Loop: Header=BB424_707 Depth=1
	s_and_not1_saveexec_b32 s9, s0
; %bb.1554:                             ;   in Loop: Header=BB424_707 Depth=1
	v_and_b32_e32 v3, 0xffff, v2
	v_or_b32_e32 v9, 0x10000, v2
	s_delay_alu instid0(VALU_DEP_2) | instskip(NEXT) | instid1(VALU_DEP_1)
	v_cmp_eq_u32_e64 s0, 0, v3
	v_cndmask_b32_e64 v162, v9, v2, s0
; %bb.1555:                             ;   in Loop: Header=BB424_707 Depth=1
	s_or_b32 exec_lo, exec_lo, s9
	v_mov_b32_e32 v3, 0
	s_mov_b32 s9, exec_lo
	v_cmpx_lt_u32_e32 0xffffff, v0
	s_cbranch_execz .LBB424_1563
; %bb.1556:                             ;   in Loop: Header=BB424_707 Depth=1
	v_lshrrev_b32_e32 v2, 24, v0
	v_bfrev_b32_e32 v3, 1
	s_mov_b32 s12, exec_lo
	s_delay_alu instid0(VALU_DEP_2)
	v_cmpx_ne_u32_e32 0x80, v2
	s_cbranch_execz .LBB424_1562
; %bb.1557:                             ;   in Loop: Header=BB424_707 Depth=1
	v_bfe_u32 v163, v0, 24, 7
	v_mov_b32_e32 v3, 0x7f800001
	s_mov_b32 s13, exec_lo
	s_delay_alu instid0(VALU_DEP_2)
	v_cmpx_ne_u32_e32 0x7f, v163
	s_cbranch_execz .LBB424_1561
; %bb.1558:                             ;   in Loop: Header=BB424_707 Depth=1
	v_and_b32_e32 v9, 7, v2
	v_lshrrev_b32_e32 v3, 3, v163
	s_mov_b32 s15, exec_lo
	v_cmpx_gt_u32_e32 8, v163
; %bb.1559:                             ;   in Loop: Header=BB424_707 Depth=1
	s_delay_alu instid0(VALU_DEP_3) | instskip(NEXT) | instid1(VALU_DEP_1)
	v_clz_i32_u32_e32 v3, v9
	v_min_u32_e32 v3, 32, v3
	s_delay_alu instid0(VALU_DEP_1) | instskip(SKIP_1) | instid1(VALU_DEP_2)
	v_subrev_nc_u32_e32 v163, 28, v3
	v_sub_nc_u32_e32 v3, 29, v3
	v_lshlrev_b64 v[163:164], v163, v[9:10]
	s_delay_alu instid0(VALU_DEP_1)
	v_and_b32_e32 v9, 7, v163
; %bb.1560:                             ;   in Loop: Header=BB424_707 Depth=1
	s_or_b32 exec_lo, exec_lo, s15
	v_lshlrev_b32_e32 v2, 24, v2
	s_delay_alu instid0(VALU_DEP_2) | instskip(SKIP_1) | instid1(VALU_DEP_3)
	v_lshlrev_b32_e32 v9, 20, v9
	v_lshl_add_u32 v3, v3, 23, 0x3c000000
	v_and_b32_e32 v2, 0x80000000, v2
	s_delay_alu instid0(VALU_DEP_1)
	v_or3_b32 v3, v9, v2, v3
.LBB424_1561:                           ;   in Loop: Header=BB424_707 Depth=1
	s_or_b32 exec_lo, exec_lo, s13
.LBB424_1562:                           ;   in Loop: Header=BB424_707 Depth=1
	s_delay_alu instid0(SALU_CYCLE_1)
	s_or_b32 exec_lo, exec_lo, s12
.LBB424_1563:                           ;   in Loop: Header=BB424_707 Depth=1
	s_delay_alu instid0(SALU_CYCLE_1) | instskip(NEXT) | instid1(VALU_DEP_1)
	s_or_b32 exec_lo, exec_lo, s9
	v_mul_f32_e32 v2, v26, v3
                                        ; implicit-def: $vgpr163
	s_delay_alu instid0(VALU_DEP_1) | instskip(NEXT) | instid1(VALU_DEP_1)
	v_and_b32_e32 v3, 0x7f800000, v2
	v_cmp_ne_u32_e64 s0, 0x7f800000, v3
	s_delay_alu instid0(VALU_DEP_1) | instskip(NEXT) | instid1(SALU_CYCLE_1)
	s_and_saveexec_b32 s9, s0
	s_xor_b32 s0, exec_lo, s9
; %bb.1564:                             ;   in Loop: Header=BB424_707 Depth=1
	v_bfe_u32 v3, v2, 16, 1
	s_delay_alu instid0(VALU_DEP_1)
	v_add3_u32 v163, v2, v3, 0x7fff
                                        ; implicit-def: $vgpr2
; %bb.1565:                             ;   in Loop: Header=BB424_707 Depth=1
	s_and_not1_saveexec_b32 s9, s0
; %bb.1566:                             ;   in Loop: Header=BB424_707 Depth=1
	v_and_b32_e32 v3, 0xffff, v2
	v_or_b32_e32 v9, 0x10000, v2
	s_delay_alu instid0(VALU_DEP_2) | instskip(NEXT) | instid1(VALU_DEP_1)
	v_cmp_eq_u32_e64 s0, 0, v3
	v_cndmask_b32_e64 v163, v9, v2, s0
; %bb.1567:                             ;   in Loop: Header=BB424_707 Depth=1
	s_or_b32 exec_lo, exec_lo, s9
	v_dual_mov_b32 v2, 0 :: v_dual_and_b32 v3, 0xff, v1
	v_mov_b32_e32 v9, v1
	s_mov_b32 s9, exec_lo
	s_delay_alu instid0(VALU_DEP_2)
	v_cmpx_ne_u16_e32 0, v3
	s_cbranch_execz .LBB424_1575
; %bb.1568:                             ;   in Loop: Header=BB424_707 Depth=1
	v_bfrev_b32_e32 v2, 1
	s_mov_b32 s12, exec_lo
	v_cmpx_ne_u16_e32 0x80, v3
	s_cbranch_execz .LBB424_1574
; %bb.1569:                             ;   in Loop: Header=BB424_707 Depth=1
	v_and_b32_e32 v3, 0x7f, v1
	v_mov_b32_e32 v2, 0x7f800001
	s_mov_b32 s13, exec_lo
	s_delay_alu instid0(VALU_DEP_2)
	v_cmpx_ne_u32_e32 0x7f, v3
	s_cbranch_execz .LBB424_1573
; %bb.1570:                             ;   in Loop: Header=BB424_707 Depth=1
	v_lshrrev_b32_e32 v164, 3, v3
	v_cmp_gt_u32_e64 s0, 8, v3
	v_dual_mov_b32 v2, v9 :: v_dual_mov_b32 v3, v10
	s_delay_alu instid0(VALU_DEP_2)
	s_and_saveexec_b32 s15, s0
; %bb.1571:                             ;   in Loop: Header=BB424_707 Depth=1
	v_and_b32_e32 v2, 7, v1
	s_delay_alu instid0(VALU_DEP_1) | instskip(NEXT) | instid1(VALU_DEP_1)
	v_clz_i32_u32_e32 v2, v2
	v_min_u32_e32 v164, 32, v2
	s_delay_alu instid0(VALU_DEP_1) | instskip(SKIP_1) | instid1(VALU_DEP_2)
	v_subrev_nc_u32_e32 v2, 28, v164
	v_sub_nc_u32_e32 v164, 29, v164
	v_lshlrev_b64 v[2:3], v2, v[9:10]
; %bb.1572:                             ;   in Loop: Header=BB424_707 Depth=1
	s_or_b32 exec_lo, exec_lo, s15
	s_delay_alu instid0(VALU_DEP_1) | instskip(SKIP_2) | instid1(VALU_DEP_3)
	v_lshlrev_b32_e32 v2, 20, v2
	v_lshlrev_b32_e32 v3, 24, v9
	v_lshl_add_u32 v164, v164, 23, 0x3c000000
	v_and_b32_e32 v2, 0x700000, v2
	s_delay_alu instid0(VALU_DEP_3) | instskip(NEXT) | instid1(VALU_DEP_1)
	v_and_b32_e32 v3, 0x80000000, v3
	v_or3_b32 v2, v2, v3, v164
.LBB424_1573:                           ;   in Loop: Header=BB424_707 Depth=1
	s_or_b32 exec_lo, exec_lo, s13
.LBB424_1574:                           ;   in Loop: Header=BB424_707 Depth=1
	s_delay_alu instid0(SALU_CYCLE_1)
	s_or_b32 exec_lo, exec_lo, s12
.LBB424_1575:                           ;   in Loop: Header=BB424_707 Depth=1
	s_delay_alu instid0(SALU_CYCLE_1) | instskip(NEXT) | instid1(VALU_DEP_1)
	s_or_b32 exec_lo, exec_lo, s9
	v_mul_f32_e32 v2, v26, v2
                                        ; implicit-def: $vgpr164
	s_delay_alu instid0(VALU_DEP_1) | instskip(NEXT) | instid1(VALU_DEP_1)
	v_and_b32_e32 v3, 0x7f800000, v2
	v_cmp_ne_u32_e64 s0, 0x7f800000, v3
	s_delay_alu instid0(VALU_DEP_1) | instskip(NEXT) | instid1(SALU_CYCLE_1)
	s_and_saveexec_b32 s9, s0
	s_xor_b32 s0, exec_lo, s9
; %bb.1576:                             ;   in Loop: Header=BB424_707 Depth=1
	v_bfe_u32 v3, v2, 16, 1
	s_delay_alu instid0(VALU_DEP_1)
	v_add3_u32 v164, v2, v3, 0x7fff
                                        ; implicit-def: $vgpr2
; %bb.1577:                             ;   in Loop: Header=BB424_707 Depth=1
	s_and_not1_saveexec_b32 s9, s0
; %bb.1578:                             ;   in Loop: Header=BB424_707 Depth=1
	v_and_b32_e32 v3, 0xffff, v2
	v_or_b32_e32 v164, 0x10000, v2
	s_delay_alu instid0(VALU_DEP_2) | instskip(NEXT) | instid1(VALU_DEP_1)
	v_cmp_eq_u32_e64 s0, 0, v3
	v_cndmask_b32_e64 v164, v164, v2, s0
; %bb.1579:                             ;   in Loop: Header=BB424_707 Depth=1
	s_or_b32 exec_lo, exec_lo, s9
	v_lshrrev_b16 v3, 8, v9
	v_mov_b32_e32 v2, 0
	s_mov_b32 s9, exec_lo
	s_delay_alu instid0(VALU_DEP_2)
	v_cmpx_ne_u16_e32 0, v3
	s_cbranch_execz .LBB424_1587
; %bb.1580:                             ;   in Loop: Header=BB424_707 Depth=1
	v_bfrev_b32_e32 v2, 1
	s_mov_b32 s12, exec_lo
	v_cmpx_ne_u16_e32 0x80, v3
	s_cbranch_execz .LBB424_1586
; %bb.1581:                             ;   in Loop: Header=BB424_707 Depth=1
	v_and_b32_e32 v3, 0xffff, v3
	v_mov_b32_e32 v2, 0x7f800001
	s_mov_b32 s13, exec_lo
	s_delay_alu instid0(VALU_DEP_2) | instskip(NEXT) | instid1(VALU_DEP_1)
	v_and_b32_e32 v166, 0x7f, v3
	v_cmpx_ne_u32_e32 0x7f, v166
	s_cbranch_execz .LBB424_1585
; %bb.1582:                             ;   in Loop: Header=BB424_707 Depth=1
	v_dual_mov_b32 v3, v10 :: v_dual_and_b32 v2, 7, v3
	v_lshrrev_b32_e32 v165, 3, v166
	s_mov_b32 s15, exec_lo
	v_cmpx_gt_u32_e32 8, v166
; %bb.1583:                             ;   in Loop: Header=BB424_707 Depth=1
	s_delay_alu instid0(VALU_DEP_3) | instskip(NEXT) | instid1(VALU_DEP_1)
	v_clz_i32_u32_e32 v165, v2
	v_min_u32_e32 v165, 32, v165
	s_delay_alu instid0(VALU_DEP_1) | instskip(SKIP_1) | instid1(VALU_DEP_2)
	v_subrev_nc_u32_e32 v166, 28, v165
	v_sub_nc_u32_e32 v165, 29, v165
	v_lshlrev_b64 v[2:3], v166, v[2:3]
	s_delay_alu instid0(VALU_DEP_1)
	v_and_b32_e32 v2, 7, v2
; %bb.1584:                             ;   in Loop: Header=BB424_707 Depth=1
	s_or_b32 exec_lo, exec_lo, s15
	v_lshlrev_b32_e32 v3, 16, v9
	s_delay_alu instid0(VALU_DEP_2) | instskip(SKIP_1) | instid1(VALU_DEP_3)
	v_lshlrev_b32_e32 v2, 20, v2
	v_lshl_add_u32 v9, v165, 23, 0x3c000000
	v_and_b32_e32 v3, 0x80000000, v3
	s_delay_alu instid0(VALU_DEP_1)
	v_or3_b32 v2, v2, v3, v9
.LBB424_1585:                           ;   in Loop: Header=BB424_707 Depth=1
	s_or_b32 exec_lo, exec_lo, s13
.LBB424_1586:                           ;   in Loop: Header=BB424_707 Depth=1
	s_delay_alu instid0(SALU_CYCLE_1)
	s_or_b32 exec_lo, exec_lo, s12
.LBB424_1587:                           ;   in Loop: Header=BB424_707 Depth=1
	s_delay_alu instid0(SALU_CYCLE_1) | instskip(NEXT) | instid1(VALU_DEP_1)
	s_or_b32 exec_lo, exec_lo, s9
	v_mul_f32_e32 v3, v26, v2
	s_delay_alu instid0(VALU_DEP_1) | instskip(NEXT) | instid1(VALU_DEP_1)
	v_and_b32_e32 v2, 0x7f800000, v3
	v_cmp_ne_u32_e64 s0, 0x7f800000, v2
                                        ; implicit-def: $vgpr2
	s_delay_alu instid0(VALU_DEP_1) | instskip(NEXT) | instid1(SALU_CYCLE_1)
	s_and_saveexec_b32 s9, s0
	s_xor_b32 s0, exec_lo, s9
; %bb.1588:                             ;   in Loop: Header=BB424_707 Depth=1
	v_bfe_u32 v2, v3, 16, 1
	s_delay_alu instid0(VALU_DEP_1)
	v_add3_u32 v2, v3, v2, 0x7fff
                                        ; implicit-def: $vgpr3
; %bb.1589:                             ;   in Loop: Header=BB424_707 Depth=1
	s_and_not1_saveexec_b32 s9, s0
; %bb.1590:                             ;   in Loop: Header=BB424_707 Depth=1
	v_and_b32_e32 v2, 0xffff, v3
	v_or_b32_e32 v9, 0x10000, v3
	s_delay_alu instid0(VALU_DEP_2) | instskip(NEXT) | instid1(VALU_DEP_1)
	v_cmp_eq_u32_e64 s0, 0, v2
	v_cndmask_b32_e64 v2, v9, v3, s0
; %bb.1591:                             ;   in Loop: Header=BB424_707 Depth=1
	s_or_b32 exec_lo, exec_lo, s9
	v_lshrrev_b32_e32 v3, 16, v1
	v_mov_b32_e32 v9, 0
	s_mov_b32 s9, exec_lo
	s_delay_alu instid0(VALU_DEP_2) | instskip(NEXT) | instid1(VALU_DEP_1)
	v_and_b32_e32 v165, 0xff, v3
	v_cmpx_ne_u16_e64 0, v165
	s_cbranch_execz .LBB424_1599
; %bb.1592:                             ;   in Loop: Header=BB424_707 Depth=1
	v_bfrev_b32_e32 v9, 1
	s_mov_b32 s12, exec_lo
	v_cmpx_ne_u16_e64 0x80, v165
	s_cbranch_execz .LBB424_1598
; %bb.1593:                             ;   in Loop: Header=BB424_707 Depth=1
	v_bfe_u32 v166, v1, 16, 7
	v_mov_b32_e32 v9, 0x7f800001
	s_mov_b32 s13, exec_lo
	s_delay_alu instid0(VALU_DEP_2)
	v_cmpx_ne_u32_e32 0x7f, v166
	s_cbranch_execz .LBB424_1597
; %bb.1594:                             ;   in Loop: Header=BB424_707 Depth=1
	v_and_b32_e32 v9, 7, v3
	v_lshrrev_b32_e32 v165, 3, v166
	s_mov_b32 s15, exec_lo
	v_cmpx_gt_u32_e32 8, v166
; %bb.1595:                             ;   in Loop: Header=BB424_707 Depth=1
	s_delay_alu instid0(VALU_DEP_3) | instskip(NEXT) | instid1(VALU_DEP_1)
	v_clz_i32_u32_e32 v165, v9
	v_min_u32_e32 v165, 32, v165
	s_delay_alu instid0(VALU_DEP_1) | instskip(SKIP_1) | instid1(VALU_DEP_2)
	v_subrev_nc_u32_e32 v166, 28, v165
	v_sub_nc_u32_e32 v165, 29, v165
	v_lshlrev_b64 v[166:167], v166, v[9:10]
	s_delay_alu instid0(VALU_DEP_1)
	v_and_b32_e32 v9, 7, v166
; %bb.1596:                             ;   in Loop: Header=BB424_707 Depth=1
	s_or_b32 exec_lo, exec_lo, s15
	v_lshlrev_b32_e32 v3, 24, v3
	s_delay_alu instid0(VALU_DEP_2) | instskip(SKIP_1) | instid1(VALU_DEP_3)
	v_lshlrev_b32_e32 v9, 20, v9
	v_lshl_add_u32 v165, v165, 23, 0x3c000000
	v_and_b32_e32 v3, 0x80000000, v3
	s_delay_alu instid0(VALU_DEP_1)
	v_or3_b32 v9, v9, v3, v165
.LBB424_1597:                           ;   in Loop: Header=BB424_707 Depth=1
	s_or_b32 exec_lo, exec_lo, s13
.LBB424_1598:                           ;   in Loop: Header=BB424_707 Depth=1
	s_delay_alu instid0(SALU_CYCLE_1)
	s_or_b32 exec_lo, exec_lo, s12
.LBB424_1599:                           ;   in Loop: Header=BB424_707 Depth=1
	s_delay_alu instid0(SALU_CYCLE_1) | instskip(NEXT) | instid1(VALU_DEP_1)
	s_or_b32 exec_lo, exec_lo, s9
	v_mul_f32_e32 v3, v26, v9
                                        ; implicit-def: $vgpr166
	s_delay_alu instid0(VALU_DEP_1) | instskip(NEXT) | instid1(VALU_DEP_1)
	v_and_b32_e32 v9, 0x7f800000, v3
	v_cmp_ne_u32_e64 s0, 0x7f800000, v9
	s_delay_alu instid0(VALU_DEP_1) | instskip(NEXT) | instid1(SALU_CYCLE_1)
	s_and_saveexec_b32 s9, s0
	s_xor_b32 s0, exec_lo, s9
; %bb.1600:                             ;   in Loop: Header=BB424_707 Depth=1
	v_bfe_u32 v9, v3, 16, 1
	s_delay_alu instid0(VALU_DEP_1)
	v_add3_u32 v166, v3, v9, 0x7fff
                                        ; implicit-def: $vgpr3
; %bb.1601:                             ;   in Loop: Header=BB424_707 Depth=1
	s_and_not1_saveexec_b32 s9, s0
; %bb.1602:                             ;   in Loop: Header=BB424_707 Depth=1
	v_and_b32_e32 v9, 0xffff, v3
	v_or_b32_e32 v165, 0x10000, v3
	s_delay_alu instid0(VALU_DEP_2) | instskip(NEXT) | instid1(VALU_DEP_1)
	v_cmp_eq_u32_e64 s0, 0, v9
	v_cndmask_b32_e64 v166, v165, v3, s0
; %bb.1603:                             ;   in Loop: Header=BB424_707 Depth=1
	s_or_b32 exec_lo, exec_lo, s9
	v_mov_b32_e32 v3, 0
	s_mov_b32 s9, exec_lo
	v_cmpx_lt_u64_e64 s[2:3], v[0:1]
	s_cbranch_execz .LBB424_1611
; %bb.1604:                             ;   in Loop: Header=BB424_707 Depth=1
	v_lshrrev_b32_e32 v0, 24, v1
	v_bfrev_b32_e32 v3, 1
	s_mov_b32 s12, exec_lo
	s_delay_alu instid0(VALU_DEP_2)
	v_cmpx_ne_u32_e32 0x80, v0
	s_cbranch_execz .LBB424_1610
; %bb.1605:                             ;   in Loop: Header=BB424_707 Depth=1
	v_bfe_u32 v165, v1, 24, 7
	v_mov_b32_e32 v3, 0x7f800001
	s_mov_b32 s13, exec_lo
	s_delay_alu instid0(VALU_DEP_2)
	v_cmpx_ne_u32_e32 0x7f, v165
	s_cbranch_execz .LBB424_1609
; %bb.1606:                             ;   in Loop: Header=BB424_707 Depth=1
	v_and_b32_e32 v9, 7, v0
	v_lshrrev_b32_e32 v1, 3, v165
	s_mov_b32 s15, exec_lo
	v_cmpx_gt_u32_e32 8, v165
; %bb.1607:                             ;   in Loop: Header=BB424_707 Depth=1
	s_delay_alu instid0(VALU_DEP_3) | instskip(NEXT) | instid1(VALU_DEP_1)
	v_clz_i32_u32_e32 v1, v9
	v_min_u32_e32 v1, 32, v1
	s_delay_alu instid0(VALU_DEP_1) | instskip(SKIP_1) | instid1(VALU_DEP_2)
	v_subrev_nc_u32_e32 v3, 28, v1
	v_sub_nc_u32_e32 v1, 29, v1
	v_lshlrev_b64 v[176:177], v3, v[9:10]
	s_delay_alu instid0(VALU_DEP_1)
	v_and_b32_e32 v9, 7, v176
; %bb.1608:                             ;   in Loop: Header=BB424_707 Depth=1
	s_or_b32 exec_lo, exec_lo, s15
	v_lshlrev_b32_e32 v0, 24, v0
	s_delay_alu instid0(VALU_DEP_2) | instskip(SKIP_1) | instid1(VALU_DEP_3)
	v_lshlrev_b32_e32 v3, 20, v9
	v_lshl_add_u32 v1, v1, 23, 0x3c000000
	v_and_b32_e32 v0, 0x80000000, v0
	s_delay_alu instid0(VALU_DEP_1)
	v_or3_b32 v3, v3, v0, v1
.LBB424_1609:                           ;   in Loop: Header=BB424_707 Depth=1
	s_or_b32 exec_lo, exec_lo, s13
.LBB424_1610:                           ;   in Loop: Header=BB424_707 Depth=1
	s_delay_alu instid0(SALU_CYCLE_1)
	s_or_b32 exec_lo, exec_lo, s12
.LBB424_1611:                           ;   in Loop: Header=BB424_707 Depth=1
	s_delay_alu instid0(SALU_CYCLE_1) | instskip(NEXT) | instid1(VALU_DEP_1)
	s_or_b32 exec_lo, exec_lo, s9
	v_mul_f32_e32 v0, v26, v3
                                        ; implicit-def: $vgpr9
	s_delay_alu instid0(VALU_DEP_1) | instskip(NEXT) | instid1(VALU_DEP_1)
	v_and_b32_e32 v1, 0x7f800000, v0
	v_cmp_ne_u32_e64 s0, 0x7f800000, v1
	s_delay_alu instid0(VALU_DEP_1) | instskip(NEXT) | instid1(SALU_CYCLE_1)
	s_and_saveexec_b32 s9, s0
	s_xor_b32 s0, exec_lo, s9
; %bb.1612:                             ;   in Loop: Header=BB424_707 Depth=1
	v_bfe_u32 v1, v0, 16, 1
	s_delay_alu instid0(VALU_DEP_1)
	v_add3_u32 v9, v0, v1, 0x7fff
                                        ; implicit-def: $vgpr0
; %bb.1613:                             ;   in Loop: Header=BB424_707 Depth=1
	s_and_not1_saveexec_b32 s9, s0
; %bb.1614:                             ;   in Loop: Header=BB424_707 Depth=1
	v_and_b32_e32 v1, 0xffff, v0
	v_or_b32_e32 v3, 0x10000, v0
	s_delay_alu instid0(VALU_DEP_2) | instskip(NEXT) | instid1(VALU_DEP_1)
	v_cmp_eq_u32_e64 s0, 0, v1
	v_cndmask_b32_e64 v9, v3, v0, s0
; %bb.1615:                             ;   in Loop: Header=BB424_707 Depth=1
	s_or_b32 exec_lo, exec_lo, s9
	v_lshrrev_b32_e32 v165, 16, v2
	v_lshrrev_b32_e32 v164, 16, v164
	;; [unrolled: 1-line block ×8, first 2 shown]
	s_and_saveexec_b32 s0, vcc_lo
	s_cbranch_execz .LBB424_1617
; %bb.1616:                             ;   in Loop: Header=BB424_707 Depth=1
	v_cmp_lt_i32_e32 vcc_lo, v51, v33
	v_cndmask_b32_e32 v0, 0, v0, vcc_lo
	v_cmp_lt_i32_e32 vcc_lo, v65, v33
	v_cndmask_b32_e32 v1, 0, v1, vcc_lo
	;; [unrolled: 2-line block ×8, first 2 shown]
.LBB424_1617:                           ;   in Loop: Header=BB424_707 Depth=1
	s_or_b32 exec_lo, exec_lo, s0
	v_lshlrev_b32_e32 v0, 16, v0
	s_delay_alu instid0(VALU_DEP_1) | instskip(NEXT) | instid1(VALU_DEP_1)
	v_mul_f32_e32 v51, v66, v0
	v_and_b32_e32 v0, 0x7f800000, v51
	s_delay_alu instid0(VALU_DEP_1) | instskip(SKIP_1) | instid1(SALU_CYCLE_1)
	v_cmp_ne_u32_e32 vcc_lo, 0x7f800000, v0
                                        ; implicit-def: $vgpr0
	s_and_saveexec_b32 s0, vcc_lo
	s_xor_b32 s0, exec_lo, s0
; %bb.1618:                             ;   in Loop: Header=BB424_707 Depth=1
	v_bfe_u32 v0, v51, 16, 1
	s_delay_alu instid0(VALU_DEP_1)
	v_add3_u32 v0, v51, v0, 0x7fff
                                        ; implicit-def: $vgpr51
; %bb.1619:                             ;   in Loop: Header=BB424_707 Depth=1
	s_and_not1_saveexec_b32 s0, s0
; %bb.1620:                             ;   in Loop: Header=BB424_707 Depth=1
	v_and_b32_e32 v0, 0xffff, v51
	v_or_b32_e32 v52, 0x10000, v51
	s_delay_alu instid0(VALU_DEP_2) | instskip(NEXT) | instid1(VALU_DEP_2)
	v_cmp_eq_u32_e32 vcc_lo, 0, v0
	v_cndmask_b32_e32 v0, v52, v51, vcc_lo
; %bb.1621:                             ;   in Loop: Header=BB424_707 Depth=1
	s_or_b32 exec_lo, exec_lo, s0
	v_lshlrev_b32_e32 v1, 16, v1
	s_delay_alu instid0(VALU_DEP_1) | instskip(NEXT) | instid1(VALU_DEP_1)
	v_mul_f32_e32 v51, v67, v1
	v_and_b32_e32 v1, 0x7f800000, v51
	s_delay_alu instid0(VALU_DEP_1) | instskip(SKIP_1) | instid1(SALU_CYCLE_1)
	v_cmp_ne_u32_e32 vcc_lo, 0x7f800000, v1
                                        ; implicit-def: $vgpr1
	s_and_saveexec_b32 s0, vcc_lo
	s_xor_b32 s0, exec_lo, s0
; %bb.1622:                             ;   in Loop: Header=BB424_707 Depth=1
	v_bfe_u32 v1, v51, 16, 1
	s_delay_alu instid0(VALU_DEP_1)
	v_add3_u32 v1, v51, v1, 0x7fff
                                        ; implicit-def: $vgpr51
; %bb.1623:                             ;   in Loop: Header=BB424_707 Depth=1
	s_and_not1_saveexec_b32 s0, s0
; %bb.1624:                             ;   in Loop: Header=BB424_707 Depth=1
	v_and_b32_e32 v1, 0xffff, v51
	v_or_b32_e32 v52, 0x10000, v51
	s_delay_alu instid0(VALU_DEP_2) | instskip(NEXT) | instid1(VALU_DEP_2)
	v_cmp_eq_u32_e32 vcc_lo, 0, v1
	v_cndmask_b32_e32 v1, v52, v51, vcc_lo
; %bb.1625:                             ;   in Loop: Header=BB424_707 Depth=1
	s_or_b32 exec_lo, exec_lo, s0
	v_lshlrev_b32_e32 v2, 16, v2
	s_delay_alu instid0(VALU_DEP_1) | instskip(NEXT) | instid1(VALU_DEP_1)
	v_mul_f32_e32 v51, v68, v2
	v_and_b32_e32 v2, 0x7f800000, v51
	s_delay_alu instid0(VALU_DEP_1) | instskip(SKIP_1) | instid1(SALU_CYCLE_1)
	v_cmp_ne_u32_e32 vcc_lo, 0x7f800000, v2
                                        ; implicit-def: $vgpr2
	s_and_saveexec_b32 s0, vcc_lo
	s_xor_b32 s0, exec_lo, s0
; %bb.1626:                             ;   in Loop: Header=BB424_707 Depth=1
	v_bfe_u32 v2, v51, 16, 1
	s_delay_alu instid0(VALU_DEP_1)
	v_add3_u32 v2, v51, v2, 0x7fff
                                        ; implicit-def: $vgpr51
; %bb.1627:                             ;   in Loop: Header=BB424_707 Depth=1
	s_and_not1_saveexec_b32 s0, s0
; %bb.1628:                             ;   in Loop: Header=BB424_707 Depth=1
	v_and_b32_e32 v2, 0xffff, v51
	v_or_b32_e32 v52, 0x10000, v51
	s_delay_alu instid0(VALU_DEP_2) | instskip(NEXT) | instid1(VALU_DEP_2)
	v_cmp_eq_u32_e32 vcc_lo, 0, v2
	v_cndmask_b32_e32 v2, v52, v51, vcc_lo
; %bb.1629:                             ;   in Loop: Header=BB424_707 Depth=1
	s_or_b32 exec_lo, exec_lo, s0
	v_lshlrev_b32_e32 v3, 16, v3
	s_delay_alu instid0(VALU_DEP_1) | instskip(NEXT) | instid1(VALU_DEP_1)
	v_mul_f32_e32 v51, v69, v3
	v_and_b32_e32 v3, 0x7f800000, v51
	s_delay_alu instid0(VALU_DEP_1) | instskip(SKIP_1) | instid1(SALU_CYCLE_1)
	v_cmp_ne_u32_e32 vcc_lo, 0x7f800000, v3
                                        ; implicit-def: $vgpr3
	s_and_saveexec_b32 s0, vcc_lo
	s_xor_b32 s0, exec_lo, s0
; %bb.1630:                             ;   in Loop: Header=BB424_707 Depth=1
	v_bfe_u32 v3, v51, 16, 1
	s_delay_alu instid0(VALU_DEP_1)
	v_add3_u32 v3, v51, v3, 0x7fff
                                        ; implicit-def: $vgpr51
; %bb.1631:                             ;   in Loop: Header=BB424_707 Depth=1
	s_and_not1_saveexec_b32 s0, s0
; %bb.1632:                             ;   in Loop: Header=BB424_707 Depth=1
	v_and_b32_e32 v3, 0xffff, v51
	v_or_b32_e32 v52, 0x10000, v51
	s_delay_alu instid0(VALU_DEP_2) | instskip(NEXT) | instid1(VALU_DEP_2)
	v_cmp_eq_u32_e32 vcc_lo, 0, v3
	v_cndmask_b32_e32 v3, v52, v51, vcc_lo
; %bb.1633:                             ;   in Loop: Header=BB424_707 Depth=1
	s_or_b32 exec_lo, exec_lo, s0
	v_lshlrev_b32_e32 v51, 16, v164
	s_delay_alu instid0(VALU_DEP_1) | instskip(NEXT) | instid1(VALU_DEP_1)
	v_mul_f32_e32 v52, v70, v51
	v_and_b32_e32 v51, 0x7f800000, v52
	s_delay_alu instid0(VALU_DEP_1) | instskip(SKIP_1) | instid1(SALU_CYCLE_1)
	v_cmp_ne_u32_e32 vcc_lo, 0x7f800000, v51
                                        ; implicit-def: $vgpr51
	s_and_saveexec_b32 s0, vcc_lo
	s_xor_b32 s0, exec_lo, s0
; %bb.1634:                             ;   in Loop: Header=BB424_707 Depth=1
	v_bfe_u32 v51, v52, 16, 1
	s_delay_alu instid0(VALU_DEP_1)
	v_add3_u32 v51, v52, v51, 0x7fff
                                        ; implicit-def: $vgpr52
; %bb.1635:                             ;   in Loop: Header=BB424_707 Depth=1
	s_and_not1_saveexec_b32 s0, s0
; %bb.1636:                             ;   in Loop: Header=BB424_707 Depth=1
	v_and_b32_e32 v51, 0xffff, v52
	v_or_b32_e32 v53, 0x10000, v52
	s_delay_alu instid0(VALU_DEP_2) | instskip(NEXT) | instid1(VALU_DEP_2)
	v_cmp_eq_u32_e32 vcc_lo, 0, v51
	v_cndmask_b32_e32 v51, v53, v52, vcc_lo
; %bb.1637:                             ;   in Loop: Header=BB424_707 Depth=1
	s_or_b32 exec_lo, exec_lo, s0
	v_lshlrev_b32_e32 v52, 16, v165
	s_delay_alu instid0(VALU_DEP_1) | instskip(NEXT) | instid1(VALU_DEP_1)
	v_mul_f32_e32 v53, v71, v52
	v_and_b32_e32 v52, 0x7f800000, v53
	s_delay_alu instid0(VALU_DEP_1) | instskip(SKIP_1) | instid1(SALU_CYCLE_1)
	v_cmp_ne_u32_e32 vcc_lo, 0x7f800000, v52
                                        ; implicit-def: $vgpr52
	s_and_saveexec_b32 s0, vcc_lo
	s_xor_b32 s0, exec_lo, s0
; %bb.1638:                             ;   in Loop: Header=BB424_707 Depth=1
	v_bfe_u32 v52, v53, 16, 1
	s_delay_alu instid0(VALU_DEP_1)
	v_add3_u32 v52, v53, v52, 0x7fff
                                        ; implicit-def: $vgpr53
; %bb.1639:                             ;   in Loop: Header=BB424_707 Depth=1
	s_and_not1_saveexec_b32 s0, s0
; %bb.1640:                             ;   in Loop: Header=BB424_707 Depth=1
	v_and_b32_e32 v52, 0xffff, v53
	v_or_b32_e32 v54, 0x10000, v53
	s_delay_alu instid0(VALU_DEP_2) | instskip(NEXT) | instid1(VALU_DEP_2)
	v_cmp_eq_u32_e32 vcc_lo, 0, v52
	v_cndmask_b32_e32 v52, v54, v53, vcc_lo
; %bb.1641:                             ;   in Loop: Header=BB424_707 Depth=1
	s_or_b32 exec_lo, exec_lo, s0
	v_lshlrev_b32_e32 v53, 16, v160
	s_delay_alu instid0(VALU_DEP_1) | instskip(NEXT) | instid1(VALU_DEP_1)
	v_mul_f32_e32 v54, v80, v53
	v_and_b32_e32 v53, 0x7f800000, v54
	s_delay_alu instid0(VALU_DEP_1) | instskip(SKIP_1) | instid1(SALU_CYCLE_1)
	v_cmp_ne_u32_e32 vcc_lo, 0x7f800000, v53
                                        ; implicit-def: $vgpr53
	s_and_saveexec_b32 s0, vcc_lo
	s_xor_b32 s0, exec_lo, s0
; %bb.1642:                             ;   in Loop: Header=BB424_707 Depth=1
	v_bfe_u32 v53, v54, 16, 1
	s_delay_alu instid0(VALU_DEP_1)
	v_add3_u32 v53, v54, v53, 0x7fff
                                        ; implicit-def: $vgpr54
; %bb.1643:                             ;   in Loop: Header=BB424_707 Depth=1
	s_and_not1_saveexec_b32 s0, s0
; %bb.1644:                             ;   in Loop: Header=BB424_707 Depth=1
	v_and_b32_e32 v53, 0xffff, v54
	v_or_b32_e32 v55, 0x10000, v54
	s_delay_alu instid0(VALU_DEP_2) | instskip(NEXT) | instid1(VALU_DEP_2)
	v_cmp_eq_u32_e32 vcc_lo, 0, v53
	v_cndmask_b32_e32 v53, v55, v54, vcc_lo
; %bb.1645:                             ;   in Loop: Header=BB424_707 Depth=1
	s_or_b32 exec_lo, exec_lo, s0
	v_lshlrev_b32_e32 v9, 16, v9
	s_delay_alu instid0(VALU_DEP_1) | instskip(NEXT) | instid1(VALU_DEP_1)
	v_mul_f32_e32 v54, v81, v9
	v_and_b32_e32 v9, 0x7f800000, v54
	s_delay_alu instid0(VALU_DEP_1) | instskip(SKIP_1) | instid1(SALU_CYCLE_1)
	v_cmp_ne_u32_e32 vcc_lo, 0x7f800000, v9
                                        ; implicit-def: $vgpr9
	s_and_saveexec_b32 s0, vcc_lo
	s_xor_b32 s0, exec_lo, s0
; %bb.1646:                             ;   in Loop: Header=BB424_707 Depth=1
	v_bfe_u32 v9, v54, 16, 1
	s_delay_alu instid0(VALU_DEP_1)
	v_add3_u32 v9, v54, v9, 0x7fff
                                        ; implicit-def: $vgpr54
; %bb.1647:                             ;   in Loop: Header=BB424_707 Depth=1
	s_and_not1_saveexec_b32 s0, s0
	s_cbranch_execz .LBB424_706
; %bb.1648:                             ;   in Loop: Header=BB424_707 Depth=1
	v_and_b32_e32 v9, 0xffff, v54
	v_or_b32_e32 v55, 0x10000, v54
	s_delay_alu instid0(VALU_DEP_2) | instskip(NEXT) | instid1(VALU_DEP_2)
	v_cmp_eq_u32_e32 vcc_lo, 0, v9
	v_cndmask_b32_e32 v9, v55, v54, vcc_lo
	s_branch .LBB424_706
.LBB424_1649:
	s_or_b32 exec_lo, exec_lo, s8
	v_dual_mov_b32 v0, s10 :: v_dual_mov_b32 v1, s11
.LBB424_1650:
	s_or_b32 exec_lo, exec_lo, s7
	s_delay_alu instid0(VALU_DEP_1)
	v_lshlrev_b64 v[0:1], 2, v[0:1]
	s_getpc_b64 s[2:3]
	s_add_u32 s2, s2, llvm.amdgcn.dynlds.offset.table@rel32@lo+4
	s_addc_u32 s3, s3, llvm.amdgcn.dynlds.offset.table@rel32@hi+12
	s_waitcnt lgkmcnt(0)
	s_waitcnt_vscnt null, 0x0
	s_barrier
	buffer_gl0_inv
	ds_bpermute_b32 v2, v19, v25
	v_add_co_u32 v0, vcc_lo, v0, s2
	v_add_co_ci_u32_e32 v1, vcc_lo, s3, v1, vcc_lo
	ds_bpermute_b32 v6, v19, v24
	ds_bpermute_b32 v11, v19, v23
	;; [unrolled: 1-line block ×3, first 2 shown]
	global_load_b32 v10, v[0:1], off
	ds_bpermute_b32 v0, v19, v29
	ds_bpermute_b32 v1, v19, v28
	;; [unrolled: 1-line block ×3, first 2 shown]
	v_and_b32_e32 v3, 0x3c1, v31
	v_lshrrev_b32_e32 v8, 1, v18
	s_delay_alu instid0(VALU_DEP_2)
	v_cmp_eq_u32_e32 vcc_lo, 64, v3
	s_waitcnt lgkmcnt(6)
	v_add_f32_e32 v3, v25, v2
	s_waitcnt lgkmcnt(2)
	v_dual_add_f32 v2, v24, v6 :: v_dual_add_f32 v7, v29, v0
	s_waitcnt lgkmcnt(1)
	v_dual_add_f32 v9, v28, v1 :: v_dual_add_f32 v0, v21, v12
	;; [unrolled: 2-line block ×3, first 2 shown]
	v_lshlrev_b32_e32 v11, 2, v8
	s_waitcnt vmcnt(0)
	v_mad_u32_u24 v10, 0x1c0, v34, v10
	s_and_saveexec_b32 s0, vcc_lo
	s_cbranch_execz .LBB424_1652
; %bb.1651:
	s_delay_alu instid0(VALU_DEP_1)
	v_add3_u32 v12, v10, v11, 0xfffffc80
	ds_store_2addr_b32 v12, v7, v9 offset1:16
	ds_store_2addr_b32 v12, v3, v2 offset0:32 offset1:48
	ds_store_2addr_b32 v12, v1, v0 offset0:64 offset1:80
	ds_store_b32 v12, v6 offset:384
.LBB424_1652:
	s_or_b32 exec_lo, exec_lo, s0
	v_cmp_eq_u32_e32 vcc_lo, 0, v32
	s_mov_b32 s2, exec_lo
	s_waitcnt lgkmcnt(0)
	s_barrier
	buffer_gl0_inv
	v_cmpx_gt_u32_e32 64, v31
	s_cbranch_execz .LBB424_1662
; %bb.1653:
	s_and_saveexec_b32 s0, vcc_lo
	s_cbranch_execnz .LBB424_1706
; %bb.1654:
	s_or_b32 exec_lo, exec_lo, s0
	s_and_saveexec_b32 s0, vcc_lo
	s_cbranch_execnz .LBB424_1707
.LBB424_1655:
	s_or_b32 exec_lo, exec_lo, s0
	s_and_saveexec_b32 s0, vcc_lo
	s_cbranch_execnz .LBB424_1708
.LBB424_1656:
	s_or_b32 exec_lo, exec_lo, s0
	s_and_saveexec_b32 s0, vcc_lo
	s_cbranch_execnz .LBB424_1709
.LBB424_1657:
	s_or_b32 exec_lo, exec_lo, s0
	s_and_saveexec_b32 s0, vcc_lo
	s_cbranch_execnz .LBB424_1710
.LBB424_1658:
	s_or_b32 exec_lo, exec_lo, s0
	s_and_saveexec_b32 s0, vcc_lo
	s_cbranch_execnz .LBB424_1711
.LBB424_1659:
	s_or_b32 exec_lo, exec_lo, s0
	s_and_saveexec_b32 s0, vcc_lo
	s_cbranch_execz .LBB424_1661
.LBB424_1660:
	v_lshl_add_u32 v12, v8, 2, v10
	ds_load_b32 v12, v12 offset:384
	s_waitcnt lgkmcnt(0)
	v_add_f32_e32 v6, v6, v12
.LBB424_1661:
	s_or_b32 exec_lo, exec_lo, s0
.LBB424_1662:
	s_delay_alu instid0(SALU_CYCLE_1)
	s_or_b32 exec_lo, exec_lo, s2
	v_and_b32_e32 v12, 0x3e1, v31
	s_mov_b32 s2, exec_lo
	s_barrier
	buffer_gl0_inv
	v_cmpx_eq_u32_e32 32, v12
	s_cbranch_execz .LBB424_1664
; %bb.1663:
	v_add3_u32 v11, v10, v11, 0xfffffe40
	ds_store_2addr_b32 v11, v7, v9 offset1:16
	ds_store_2addr_b32 v11, v3, v2 offset0:32 offset1:48
	ds_store_2addr_b32 v11, v1, v0 offset0:64 offset1:80
	ds_store_b32 v11, v6 offset:384
.LBB424_1664:
	s_or_b32 exec_lo, exec_lo, s2
	v_cmp_gt_u32_e64 s0, 32, v31
	s_waitcnt lgkmcnt(0)
	s_barrier
	buffer_gl0_inv
	s_and_saveexec_b32 s2, s0
	s_cbranch_execz .LBB424_1674
; %bb.1665:
	v_lshl_add_u32 v8, v8, 2, v10
	s_and_saveexec_b32 s3, vcc_lo
	s_cbranch_execnz .LBB424_1712
; %bb.1666:
	s_or_b32 exec_lo, exec_lo, s3
	s_and_saveexec_b32 s3, vcc_lo
	s_cbranch_execnz .LBB424_1713
.LBB424_1667:
	s_or_b32 exec_lo, exec_lo, s3
	s_and_saveexec_b32 s3, vcc_lo
	s_cbranch_execnz .LBB424_1714
.LBB424_1668:
	s_or_b32 exec_lo, exec_lo, s3
	s_and_saveexec_b32 s3, vcc_lo
	s_cbranch_execnz .LBB424_1715
.LBB424_1669:
	s_or_b32 exec_lo, exec_lo, s3
	s_and_saveexec_b32 s3, vcc_lo
	s_cbranch_execnz .LBB424_1716
.LBB424_1670:
	s_or_b32 exec_lo, exec_lo, s3
	s_and_saveexec_b32 s3, vcc_lo
	s_cbranch_execnz .LBB424_1717
.LBB424_1671:
	s_or_b32 exec_lo, exec_lo, s3
	s_and_saveexec_b32 s3, vcc_lo
	s_cbranch_execz .LBB424_1673
.LBB424_1672:
	ds_load_b32 v8, v8 offset:384
	s_waitcnt lgkmcnt(0)
	v_add_f32_e32 v6, v6, v8
.LBB424_1673:
	s_or_b32 exec_lo, exec_lo, s3
.LBB424_1674:
	s_delay_alu instid0(SALU_CYCLE_1)
	s_or_b32 exec_lo, exec_lo, s2
	s_barrier
	buffer_gl0_inv
	s_and_b32 exec_lo, exec_lo, s0
	s_cbranch_execz .LBB424_1705
; %bb.1675:
	s_and_b32 exec_lo, exec_lo, vcc_lo
	s_cbranch_execz .LBB424_1705
; %bb.1676:
	v_and_b32_e32 v8, 0x7f800000, v7
	s_mov_b32 s0, exec_lo
                                        ; implicit-def: $vgpr10
	s_delay_alu instid0(VALU_DEP_1)
	v_cmpx_ne_u32_e32 0x7f800000, v8
	s_xor_b32 s0, exec_lo, s0
; %bb.1677:
	v_bfe_u32 v8, v7, 16, 1
	s_delay_alu instid0(VALU_DEP_1)
	v_add3_u32 v10, v7, v8, 0x7fff
; %bb.1678:
	s_and_not1_saveexec_b32 s0, s0
; %bb.1679:
	v_and_b32_e32 v8, 0xffff, v7
	v_or_b32_e32 v10, 0x10000, v7
	s_delay_alu instid0(VALU_DEP_2) | instskip(NEXT) | instid1(VALU_DEP_2)
	v_cmp_eq_u32_e32 vcc_lo, 0, v8
	v_cndmask_b32_e32 v10, v10, v7, vcc_lo
; %bb.1680:
	s_or_b32 exec_lo, exec_lo, s0
	s_mul_i32 s2, s1, s4
	s_mul_i32 s0, s6, s1
	;; [unrolled: 1-line block ×5, first 2 shown]
	s_ashr_i32 s1, s0, 31
	s_ashr_i32 s3, s2, 31
	;; [unrolled: 1-line block ×3, first 2 shown]
	s_lshl_b64 s[0:1], s[0:1], 1
	s_lshl_b64 s[2:3], s[2:3], 1
	;; [unrolled: 1-line block ×3, first 2 shown]
	s_add_u32 s0, s2, s0
	s_addc_u32 s1, s3, s1
	s_add_u32 s0, s0, s6
	s_addc_u32 s1, s1, s7
	v_lshlrev_b32_e32 v7, 1, v30
	v_add_co_u32 v4, vcc_lo, s0, v4
	v_add_co_ci_u32_e32 v5, vcc_lo, s1, v5, vcc_lo
	v_and_b32_e32 v11, 0x7f800000, v9
	s_delay_alu instid0(VALU_DEP_3) | instskip(NEXT) | instid1(VALU_DEP_3)
	v_add_co_u32 v7, vcc_lo, v4, v7
	v_add_co_ci_u32_e32 v8, vcc_lo, 0, v5, vcc_lo
	s_mov_b32 s0, exec_lo
                                        ; implicit-def: $vgpr4
	flat_store_d16_hi_b16 v[7:8], v10
	v_cmpx_ne_u32_e32 0x7f800000, v11
	s_xor_b32 s0, exec_lo, s0
; %bb.1681:
	v_bfe_u32 v4, v9, 16, 1
	s_delay_alu instid0(VALU_DEP_1)
	v_add3_u32 v4, v9, v4, 0x7fff
; %bb.1682:
	s_and_not1_saveexec_b32 s0, s0
; %bb.1683:
	v_and_b32_e32 v4, 0xffff, v9
	v_or_b32_e32 v5, 0x10000, v9
	s_delay_alu instid0(VALU_DEP_2) | instskip(NEXT) | instid1(VALU_DEP_2)
	v_cmp_eq_u32_e32 vcc_lo, 0, v4
	v_cndmask_b32_e32 v4, v5, v9, vcc_lo
; %bb.1684:
	s_or_b32 exec_lo, exec_lo, s0
	v_and_b32_e32 v5, 0x7f800000, v3
	s_mov_b32 s0, exec_lo
	flat_store_d16_hi_b16 v[7:8], v4 offset:32
                                        ; implicit-def: $vgpr4
	v_cmpx_ne_u32_e32 0x7f800000, v5
	s_xor_b32 s0, exec_lo, s0
; %bb.1685:
	v_bfe_u32 v4, v3, 16, 1
	s_delay_alu instid0(VALU_DEP_1)
	v_add3_u32 v4, v3, v4, 0x7fff
; %bb.1686:
	s_and_not1_saveexec_b32 s0, s0
; %bb.1687:
	v_and_b32_e32 v4, 0xffff, v3
	v_or_b32_e32 v5, 0x10000, v3
	s_delay_alu instid0(VALU_DEP_2) | instskip(NEXT) | instid1(VALU_DEP_2)
	v_cmp_eq_u32_e32 vcc_lo, 0, v4
	v_cndmask_b32_e32 v4, v5, v3, vcc_lo
; %bb.1688:
	s_or_b32 exec_lo, exec_lo, s0
	v_and_b32_e32 v3, 0x7f800000, v2
	flat_store_d16_hi_b16 v[7:8], v4 offset:64
	v_cmp_ne_u32_e32 vcc_lo, 0x7f800000, v3
                                        ; implicit-def: $vgpr3
	s_and_saveexec_b32 s0, vcc_lo
	s_delay_alu instid0(SALU_CYCLE_1)
	s_xor_b32 s0, exec_lo, s0
; %bb.1689:
	v_bfe_u32 v3, v2, 16, 1
	s_delay_alu instid0(VALU_DEP_1)
	v_add3_u32 v3, v2, v3, 0x7fff
; %bb.1690:
	s_and_not1_saveexec_b32 s0, s0
; %bb.1691:
	v_and_b32_e32 v3, 0xffff, v2
	v_or_b32_e32 v4, 0x10000, v2
	s_delay_alu instid0(VALU_DEP_2) | instskip(NEXT) | instid1(VALU_DEP_2)
	v_cmp_eq_u32_e32 vcc_lo, 0, v3
	v_cndmask_b32_e32 v3, v4, v2, vcc_lo
; %bb.1692:
	s_or_b32 exec_lo, exec_lo, s0
	v_and_b32_e32 v2, 0x7f800000, v1
	flat_store_d16_hi_b16 v[7:8], v3 offset:96
	v_cmp_ne_u32_e32 vcc_lo, 0x7f800000, v2
                                        ; implicit-def: $vgpr2
	s_and_saveexec_b32 s0, vcc_lo
	s_delay_alu instid0(SALU_CYCLE_1)
	s_xor_b32 s0, exec_lo, s0
; %bb.1693:
	v_bfe_u32 v2, v1, 16, 1
	s_delay_alu instid0(VALU_DEP_1)
	v_add3_u32 v2, v1, v2, 0x7fff
; %bb.1694:
	s_and_not1_saveexec_b32 s0, s0
; %bb.1695:
	v_and_b32_e32 v2, 0xffff, v1
	v_or_b32_e32 v3, 0x10000, v1
	s_delay_alu instid0(VALU_DEP_2) | instskip(NEXT) | instid1(VALU_DEP_2)
	v_cmp_eq_u32_e32 vcc_lo, 0, v2
	v_cndmask_b32_e32 v2, v3, v1, vcc_lo
; %bb.1696:
	s_or_b32 exec_lo, exec_lo, s0
	v_and_b32_e32 v1, 0x7f800000, v0
	flat_store_d16_hi_b16 v[7:8], v2 offset:128
	v_cmp_ne_u32_e32 vcc_lo, 0x7f800000, v1
                                        ; implicit-def: $vgpr1
	s_and_saveexec_b32 s0, vcc_lo
	s_delay_alu instid0(SALU_CYCLE_1)
	s_xor_b32 s0, exec_lo, s0
; %bb.1697:
	v_bfe_u32 v1, v0, 16, 1
	s_delay_alu instid0(VALU_DEP_1)
	v_add3_u32 v1, v0, v1, 0x7fff
; %bb.1698:
	s_and_not1_saveexec_b32 s0, s0
; %bb.1699:
	v_and_b32_e32 v1, 0xffff, v0
	v_or_b32_e32 v2, 0x10000, v0
	s_delay_alu instid0(VALU_DEP_2) | instskip(NEXT) | instid1(VALU_DEP_2)
	v_cmp_eq_u32_e32 vcc_lo, 0, v1
	v_cndmask_b32_e32 v1, v2, v0, vcc_lo
; %bb.1700:
	s_or_b32 exec_lo, exec_lo, s0
	v_and_b32_e32 v0, 0x7f800000, v6
	s_mov_b32 s0, exec_lo
	flat_store_d16_hi_b16 v[7:8], v1 offset:160
                                        ; implicit-def: $vgpr9
	v_cmpx_ne_u32_e32 0x7f800000, v0
	s_xor_b32 s0, exec_lo, s0
; %bb.1701:
	v_bfe_u32 v0, v6, 16, 1
	s_delay_alu instid0(VALU_DEP_1)
	v_add3_u32 v9, v6, v0, 0x7fff
                                        ; implicit-def: $vgpr0_vgpr1_vgpr2_vgpr3_vgpr4_vgpr5_vgpr6
; %bb.1702:
	s_and_not1_saveexec_b32 s0, s0
; %bb.1703:
	v_and_b32_e32 v0, 0xffff, v6
	v_or_b32_e32 v1, 0x10000, v6
	s_delay_alu instid0(VALU_DEP_2) | instskip(NEXT) | instid1(VALU_DEP_2)
	v_cmp_eq_u32_e32 vcc_lo, 0, v0
	v_cndmask_b32_e32 v9, v1, v6, vcc_lo
; %bb.1704:
	s_or_b32 exec_lo, exec_lo, s0
	flat_store_d16_hi_b16 v[7:8], v9 offset:192
.LBB424_1705:
	s_or_b32 exec_lo, exec_lo, s5
	s_clause 0x1f
	scratch_load_b32 v137, off, s32
	scratch_load_b32 v136, off, s32 offset:4
	scratch_load_b32 v127, off, s32 offset:8
	;; [unrolled: 1-line block ×31, first 2 shown]
	s_clause 0x11
	scratch_load_b32 v73, off, s32 offset:128
	scratch_load_b32 v72, off, s32 offset:132
	;; [unrolled: 1-line block ×18, first 2 shown]
	s_waitcnt vmcnt(0) lgkmcnt(0)
	s_setpc_b64 s[30:31]
.LBB424_1706:
	v_lshl_add_u32 v12, v8, 2, v10
	ds_load_b32 v12, v12
	s_waitcnt lgkmcnt(0)
	v_add_f32_e32 v7, v7, v12
	s_or_b32 exec_lo, exec_lo, s0
	s_and_saveexec_b32 s0, vcc_lo
	s_cbranch_execz .LBB424_1655
.LBB424_1707:
	v_lshl_add_u32 v12, v8, 2, v10
	ds_load_b32 v12, v12 offset:64
	s_waitcnt lgkmcnt(0)
	v_add_f32_e32 v9, v9, v12
	s_or_b32 exec_lo, exec_lo, s0
	s_and_saveexec_b32 s0, vcc_lo
	s_cbranch_execz .LBB424_1656
.LBB424_1708:
	v_lshl_add_u32 v12, v8, 2, v10
	ds_load_b32 v12, v12 offset:128
	s_waitcnt lgkmcnt(0)
	v_add_f32_e32 v3, v3, v12
	s_or_b32 exec_lo, exec_lo, s0
	s_and_saveexec_b32 s0, vcc_lo
	s_cbranch_execz .LBB424_1657
.LBB424_1709:
	v_lshl_add_u32 v12, v8, 2, v10
	ds_load_b32 v12, v12 offset:192
	s_waitcnt lgkmcnt(0)
	v_add_f32_e32 v2, v2, v12
	s_or_b32 exec_lo, exec_lo, s0
	s_and_saveexec_b32 s0, vcc_lo
	s_cbranch_execz .LBB424_1658
.LBB424_1710:
	v_lshl_add_u32 v12, v8, 2, v10
	ds_load_b32 v12, v12 offset:256
	s_waitcnt lgkmcnt(0)
	v_add_f32_e32 v1, v1, v12
	s_or_b32 exec_lo, exec_lo, s0
	s_and_saveexec_b32 s0, vcc_lo
	s_cbranch_execz .LBB424_1659
.LBB424_1711:
	v_lshl_add_u32 v12, v8, 2, v10
	ds_load_b32 v12, v12 offset:320
	s_waitcnt lgkmcnt(0)
	v_add_f32_e32 v0, v0, v12
	s_or_b32 exec_lo, exec_lo, s0
	s_and_saveexec_b32 s0, vcc_lo
	s_cbranch_execnz .LBB424_1660
	s_branch .LBB424_1661
.LBB424_1712:
	ds_load_b32 v10, v8
	s_waitcnt lgkmcnt(0)
	v_add_f32_e32 v7, v7, v10
	s_or_b32 exec_lo, exec_lo, s3
	s_and_saveexec_b32 s3, vcc_lo
	s_cbranch_execz .LBB424_1667
.LBB424_1713:
	ds_load_b32 v10, v8 offset:64
	s_waitcnt lgkmcnt(0)
	v_add_f32_e32 v9, v9, v10
	s_or_b32 exec_lo, exec_lo, s3
	s_and_saveexec_b32 s3, vcc_lo
	s_cbranch_execz .LBB424_1668
.LBB424_1714:
	ds_load_b32 v10, v8 offset:128
	s_waitcnt lgkmcnt(0)
	v_add_f32_e32 v3, v3, v10
	s_or_b32 exec_lo, exec_lo, s3
	s_and_saveexec_b32 s3, vcc_lo
	s_cbranch_execz .LBB424_1669
.LBB424_1715:
	ds_load_b32 v10, v8 offset:192
	s_waitcnt lgkmcnt(0)
	v_add_f32_e32 v2, v2, v10
	s_or_b32 exec_lo, exec_lo, s3
	s_and_saveexec_b32 s3, vcc_lo
	s_cbranch_execz .LBB424_1670
.LBB424_1716:
	ds_load_b32 v10, v8 offset:256
	s_waitcnt lgkmcnt(0)
	v_add_f32_e32 v1, v1, v10
	s_or_b32 exec_lo, exec_lo, s3
	s_and_saveexec_b32 s3, vcc_lo
	s_cbranch_execz .LBB424_1671
.LBB424_1717:
	ds_load_b32 v10, v8 offset:320
	s_waitcnt lgkmcnt(0)
	v_add_f32_e32 v0, v0, v10
	s_or_b32 exec_lo, exec_lo, s3
	s_and_saveexec_b32 s3, vcc_lo
	s_cbranch_execnz .LBB424_1672
	s_branch .LBB424_1673
.Lfunc_end424:
	.size	_ZN4vllm22paged_attention_kernelI14__hip_bfloat16hLi112ELi16ELi128ELNS_18Fp8KVCacheDataTypeE1ELb0ELi512EEEvPfS3_PT_PKS4_PKT0_SA_ifPKiSC_iPKfiiiSE_SE_iiiii, .Lfunc_end424-_ZN4vllm22paged_attention_kernelI14__hip_bfloat16hLi112ELi16ELi128ELNS_18Fp8KVCacheDataTypeE1ELb0ELi512EEEvPfS3_PT_PKS4_PKT0_SA_ifPKiSC_iPKfiiiSE_SE_iiiii
                                        ; -- End function
	.section	.AMDGPU.csdata,"",@progbits
; Function info:
; codeLenInByte = 52004
; NumSgprs: 35
; NumVgprs: 184
; ScratchSize: 204
; MemoryBound: 0
	.section	.text._ZN4vllm25paged_attention_v2_kernelI14__hip_bfloat16hLi112ELi16ELi128ELNS_18Fp8KVCacheDataTypeE1ELb0ELi512EEEvPfS3_PT_PKS4_PKT0_SA_ifPKiSC_iPKfiiiSE_SE_iiiii,"axG",@progbits,_ZN4vllm25paged_attention_v2_kernelI14__hip_bfloat16hLi112ELi16ELi128ELNS_18Fp8KVCacheDataTypeE1ELb0ELi512EEEvPfS3_PT_PKS4_PKT0_SA_ifPKiSC_iPKfiiiSE_SE_iiiii,comdat
	.protected	_ZN4vllm25paged_attention_v2_kernelI14__hip_bfloat16hLi112ELi16ELi128ELNS_18Fp8KVCacheDataTypeE1ELb0ELi512EEEvPfS3_PT_PKS4_PKT0_SA_ifPKiSC_iPKfiiiSE_SE_iiiii ; -- Begin function _ZN4vllm25paged_attention_v2_kernelI14__hip_bfloat16hLi112ELi16ELi128ELNS_18Fp8KVCacheDataTypeE1ELb0ELi512EEEvPfS3_PT_PKS4_PKT0_SA_ifPKiSC_iPKfiiiSE_SE_iiiii
	.globl	_ZN4vllm25paged_attention_v2_kernelI14__hip_bfloat16hLi112ELi16ELi128ELNS_18Fp8KVCacheDataTypeE1ELb0ELi512EEEvPfS3_PT_PKS4_PKT0_SA_ifPKiSC_iPKfiiiSE_SE_iiiii
	.p2align	8
	.type	_ZN4vllm25paged_attention_v2_kernelI14__hip_bfloat16hLi112ELi16ELi128ELNS_18Fp8KVCacheDataTypeE1ELb0ELi512EEEvPfS3_PT_PKS4_PKT0_SA_ifPKiSC_iPKfiiiSE_SE_iiiii,@function
_ZN4vllm25paged_attention_v2_kernelI14__hip_bfloat16hLi112ELi16ELi128ELNS_18Fp8KVCacheDataTypeE1ELb0ELi512EEEvPfS3_PT_PKS4_PKT0_SA_ifPKiSC_iPKfiiiSE_SE_iiiii: ; @_ZN4vllm25paged_attention_v2_kernelI14__hip_bfloat16hLi112ELi16ELi128ELNS_18Fp8KVCacheDataTypeE1ELb0ELi512EEEvPfS3_PT_PKS4_PKT0_SA_ifPKiSC_iPKfiiiSE_SE_iiiii
; %bb.0:
	s_clause 0x5
	s_load_b256 s[24:31], s[0:1], 0x0
	s_load_b256 s[16:23], s[0:1], 0x20
	s_load_b64 s[2:3], s[0:1], 0x40
	s_load_b64 s[4:5], s[0:1], 0x50
	s_load_b32 s6, s[0:1], 0x48
	s_load_b256 s[36:43], s[0:1], 0x58
	v_mov_b32_e32 v31, v0
	s_add_u32 s8, s0, 0x90
	s_mov_b32 s12, s13
	s_addc_u32 s9, s1, 0
	s_mov_b32 s13, s14
	s_mov_b32 s14, s15
	;; [unrolled: 1-line block ×4, first 2 shown]
	s_getpc_b64 s[0:1]
	s_add_u32 s0, s0, _ZN4vllm22paged_attention_kernelI14__hip_bfloat16hLi112ELi16ELi128ELNS_18Fp8KVCacheDataTypeE1ELb0ELi512EEEvPfS3_PT_PKS4_PKT0_SA_ifPKiSC_iPKfiiiSE_SE_iiiii@rel32@lo+4
	s_addc_u32 s1, s1, _ZN4vllm22paged_attention_kernelI14__hip_bfloat16hLi112ELi16ELi128ELNS_18Fp8KVCacheDataTypeE1ELb0ELi512EEEvPfS3_PT_PKS4_PKT0_SA_ifPKiSC_iPKfiiiSE_SE_iiiii@rel32@hi+12
	s_waitcnt lgkmcnt(0)
	v_dual_mov_b32 v0, s24 :: v_dual_mov_b32 v1, s25
	v_dual_mov_b32 v2, s26 :: v_dual_mov_b32 v3, s27
	;; [unrolled: 1-line block ×14, first 2 shown]
	s_swappc_b64 s[30:31], s[0:1]
	s_endpgm
	.section	.rodata,"a",@progbits
	.p2align	6, 0x0
	.amdhsa_kernel _ZN4vllm25paged_attention_v2_kernelI14__hip_bfloat16hLi112ELi16ELi128ELNS_18Fp8KVCacheDataTypeE1ELb0ELi512EEEvPfS3_PT_PKS4_PKT0_SA_ifPKiSC_iPKfiiiSE_SE_iiiii
		.amdhsa_group_segment_fixed_size 256
		.amdhsa_private_segment_fixed_size 204
		.amdhsa_kernarg_size 400
		.amdhsa_user_sgpr_count 13
		.amdhsa_user_sgpr_dispatch_ptr 0
		.amdhsa_user_sgpr_queue_ptr 0
		.amdhsa_user_sgpr_kernarg_segment_ptr 1
		.amdhsa_user_sgpr_dispatch_id 0
		.amdhsa_user_sgpr_private_segment_size 0
		.amdhsa_wavefront_size32 1
		.amdhsa_uses_dynamic_stack 0
		.amdhsa_enable_private_segment 1
		.amdhsa_system_sgpr_workgroup_id_x 1
		.amdhsa_system_sgpr_workgroup_id_y 1
		.amdhsa_system_sgpr_workgroup_id_z 1
		.amdhsa_system_sgpr_workgroup_info 0
		.amdhsa_system_vgpr_workitem_id 0
		.amdhsa_next_free_vgpr 184
		.amdhsa_next_free_sgpr 44
		.amdhsa_reserve_vcc 1
		.amdhsa_float_round_mode_32 0
		.amdhsa_float_round_mode_16_64 0
		.amdhsa_float_denorm_mode_32 3
		.amdhsa_float_denorm_mode_16_64 3
		.amdhsa_dx10_clamp 1
		.amdhsa_ieee_mode 1
		.amdhsa_fp16_overflow 0
		.amdhsa_workgroup_processor_mode 1
		.amdhsa_memory_ordered 1
		.amdhsa_forward_progress 0
		.amdhsa_shared_vgpr_count 0
		.amdhsa_exception_fp_ieee_invalid_op 0
		.amdhsa_exception_fp_denorm_src 0
		.amdhsa_exception_fp_ieee_div_zero 0
		.amdhsa_exception_fp_ieee_overflow 0
		.amdhsa_exception_fp_ieee_underflow 0
		.amdhsa_exception_fp_ieee_inexact 0
		.amdhsa_exception_int_div_zero 0
	.end_amdhsa_kernel
	.section	.text._ZN4vllm25paged_attention_v2_kernelI14__hip_bfloat16hLi112ELi16ELi128ELNS_18Fp8KVCacheDataTypeE1ELb0ELi512EEEvPfS3_PT_PKS4_PKT0_SA_ifPKiSC_iPKfiiiSE_SE_iiiii,"axG",@progbits,_ZN4vllm25paged_attention_v2_kernelI14__hip_bfloat16hLi112ELi16ELi128ELNS_18Fp8KVCacheDataTypeE1ELb0ELi512EEEvPfS3_PT_PKS4_PKT0_SA_ifPKiSC_iPKfiiiSE_SE_iiiii,comdat
.Lfunc_end425:
	.size	_ZN4vllm25paged_attention_v2_kernelI14__hip_bfloat16hLi112ELi16ELi128ELNS_18Fp8KVCacheDataTypeE1ELb0ELi512EEEvPfS3_PT_PKS4_PKT0_SA_ifPKiSC_iPKfiiiSE_SE_iiiii, .Lfunc_end425-_ZN4vllm25paged_attention_v2_kernelI14__hip_bfloat16hLi112ELi16ELi128ELNS_18Fp8KVCacheDataTypeE1ELb0ELi512EEEvPfS3_PT_PKS4_PKT0_SA_ifPKiSC_iPKfiiiSE_SE_iiiii
                                        ; -- End function
	.section	.AMDGPU.csdata,"",@progbits
; Kernel info:
; codeLenInByte = 232
; NumSgprs: 46
; NumVgprs: 184
; ScratchSize: 204
; MemoryBound: 0
; FloatMode: 240
; IeeeMode: 1
; LDSByteSize: 256 bytes/workgroup (compile time only)
; SGPRBlocks: 5
; VGPRBlocks: 22
; NumSGPRsForWavesPerEU: 46
; NumVGPRsForWavesPerEU: 184
; Occupancy: 8
; WaveLimiterHint : 1
; COMPUTE_PGM_RSRC2:SCRATCH_EN: 1
; COMPUTE_PGM_RSRC2:USER_SGPR: 13
; COMPUTE_PGM_RSRC2:TRAP_HANDLER: 0
; COMPUTE_PGM_RSRC2:TGID_X_EN: 1
; COMPUTE_PGM_RSRC2:TGID_Y_EN: 1
; COMPUTE_PGM_RSRC2:TGID_Z_EN: 1
; COMPUTE_PGM_RSRC2:TIDIG_COMP_CNT: 0
	.text
	.p2align	2                               ; -- Begin function _ZN4vllm22paged_attention_kernelI14__hip_bfloat16hLi120ELi16ELi128ELNS_18Fp8KVCacheDataTypeE1ELb0ELi512EEEvPfS3_PT_PKS4_PKT0_SA_ifPKiSC_iPKfiiiSE_SE_iiiii
	.type	_ZN4vllm22paged_attention_kernelI14__hip_bfloat16hLi120ELi16ELi128ELNS_18Fp8KVCacheDataTypeE1ELb0ELi512EEEvPfS3_PT_PKS4_PKT0_SA_ifPKiSC_iPKfiiiSE_SE_iiiii,@function
_ZN4vllm22paged_attention_kernelI14__hip_bfloat16hLi120ELi16ELi128ELNS_18Fp8KVCacheDataTypeE1ELb0ELi512EEEvPfS3_PT_PKS4_PKT0_SA_ifPKiSC_iPKfiiiSE_SE_iiiii: ; @_ZN4vllm22paged_attention_kernelI14__hip_bfloat16hLi120ELi16ELi128ELNS_18Fp8KVCacheDataTypeE1ELb0ELi512EEEvPfS3_PT_PKS4_PKT0_SA_ifPKiSC_iPKfiiiSE_SE_iiiii
; %bb.0:
	s_waitcnt vmcnt(0) expcnt(0) lgkmcnt(0)
	s_clause 0x1f
	scratch_store_b32 off, v40, s32 offset:228
	; meta instruction
	scratch_store_b32 off, v41, s32 offset:224
	; meta instruction
	;; [unrolled: 2-line block ×31, first 2 shown]
	scratch_store_b32 off, v95, s32 offset:104
	s_clause 0x19
	scratch_store_b32 off, v104, s32 offset:100
	; meta instruction
	scratch_store_b32 off, v105, s32 offset:96
	; meta instruction
	;; [unrolled: 2-line block ×25, first 2 shown]
	scratch_store_b32 off, v153, s32
	s_mov_b32 s10, s13
	s_ashr_i32 s11, s13, 31
	s_lshl_b32 s16, s14, 9
	s_lshl_b64 s[0:1], s[10:11], 2
	s_mov_b32 s11, exec_lo
	v_add_co_u32 v16, vcc_lo, v16, s0
	v_add_co_ci_u32_e32 v17, vcc_lo, s1, v17, vcc_lo
	flat_load_b32 v32, v[16:17]
	s_waitcnt vmcnt(0) lgkmcnt(0)
	v_cmpx_lt_i32_e64 s16, v32
	s_cbranch_execz .LBB426_1913
; %bb.1:
	v_sub_nc_u32_e32 v16, 0, v12
	s_clause 0x1
	s_load_b32 s0, s[8:9], 0x10
	s_load_b32 s1, s[8:9], 0x0
	s_mov_b32 s6, s15
	v_mov_b32_e32 v37, 0
	v_max_i32_e32 v16, v12, v16
	s_delay_alu instid0(VALU_DEP_1) | instskip(SKIP_1) | instid1(VALU_DEP_2)
	v_cvt_f32_u32_e32 v17, v16
	v_sub_nc_u32_e32 v28, 0, v16
	v_rcp_iflag_f32_e32 v17, v17
	s_waitcnt lgkmcnt(0)
	s_lshr_b32 s0, s0, 16
	s_delay_alu instid0(SALU_CYCLE_1) | instskip(SKIP_3) | instid1(SALU_CYCLE_1)
	s_cmp_lg_u32 s0, 0
	s_waitcnt_depctr 0xfff
	v_mul_f32_e32 v17, 0x4f7ffffe, v17
	s_cselect_b32 s0, -1, 0
	s_cmp_lg_u32 s0, 0
	s_delay_alu instid0(VALU_DEP_1)
	v_cvt_u32_f32_e32 v17, v17
	s_addc_u32 s15, s1, 0
	s_mov_b32 s1, exec_lo
	s_abs_i32 s0, s15
	v_xor_b32_e32 v12, s15, v12
	v_mul_lo_u32 v28, v28, v17
	s_delay_alu instid0(VALU_DEP_2) | instskip(NEXT) | instid1(VALU_DEP_2)
	v_ashrrev_i32_e32 v12, 31, v12
	v_mul_hi_u32 v28, v17, v28
	s_delay_alu instid0(VALU_DEP_1) | instskip(NEXT) | instid1(VALU_DEP_1)
	v_add_nc_u32_e32 v17, v17, v28
	v_mul_hi_u32 v17, s0, v17
	s_delay_alu instid0(VALU_DEP_1) | instskip(SKIP_1) | instid1(VALU_DEP_2)
	v_mul_lo_u32 v28, v17, v16
	v_add_nc_u32_e32 v29, 1, v17
	v_sub_nc_u32_e32 v28, s0, v28
	s_abs_i32 s0, s12
	s_delay_alu instid0(VALU_DEP_1) | instskip(SKIP_1) | instid1(VALU_DEP_2)
	v_sub_nc_u32_e32 v30, v28, v16
	v_cmp_ge_u32_e32 vcc_lo, v28, v16
	v_dual_cndmask_b32 v17, v17, v29 :: v_dual_cndmask_b32 v28, v28, v30
	s_delay_alu instid0(VALU_DEP_1) | instskip(NEXT) | instid1(VALU_DEP_2)
	v_add_nc_u32_e32 v29, 1, v17
	v_cmp_ge_u32_e32 vcc_lo, v28, v16
	s_delay_alu instid0(VALU_DEP_2) | instskip(NEXT) | instid1(VALU_DEP_1)
	v_cndmask_b32_e32 v16, v17, v29, vcc_lo
	v_xor_b32_e32 v16, v16, v12
	s_delay_alu instid0(VALU_DEP_1) | instskip(NEXT) | instid1(VALU_DEP_1)
	v_sub_nc_u32_e32 v12, v16, v12
	v_sub_nc_u32_e32 v16, 0, v12
	s_delay_alu instid0(VALU_DEP_1) | instskip(NEXT) | instid1(VALU_DEP_1)
	v_max_i32_e32 v28, v12, v16
	v_cvt_f32_u32_e32 v16, v28
	v_sub_nc_u32_e32 v17, 0, v28
	s_delay_alu instid0(VALU_DEP_2) | instskip(SKIP_2) | instid1(VALU_DEP_1)
	v_rcp_iflag_f32_e32 v16, v16
	s_waitcnt_depctr 0xfff
	v_mul_f32_e32 v16, 0x4f7ffffe, v16
	v_cvt_u32_f32_e32 v16, v16
	s_delay_alu instid0(VALU_DEP_1) | instskip(NEXT) | instid1(VALU_DEP_1)
	v_mul_lo_u32 v17, v17, v16
	v_mul_hi_u32 v17, v16, v17
	s_delay_alu instid0(VALU_DEP_1) | instskip(NEXT) | instid1(VALU_DEP_1)
	v_add_nc_u32_e32 v29, v16, v17
	v_mad_u64_u32 v[16:17], null, s0, v29, 0
	v_cmpx_ne_u64_e32 0, v[19:20]
	s_cbranch_execz .LBB426_3
; %bb.2:
	s_ashr_i32 s13, s12, 31
	s_delay_alu instid0(SALU_CYCLE_1) | instskip(NEXT) | instid1(SALU_CYCLE_1)
	s_lshl_b64 s[2:3], s[12:13], 2
	v_add_co_u32 v19, vcc_lo, v19, s2
	v_add_co_ci_u32_e32 v20, vcc_lo, s3, v20, vcc_lo
	flat_load_b32 v37, v[19:20]
.LBB426_3:
	s_or_b32 exec_lo, exec_lo, s1
	v_and_b32_e32 v31, 0x3ff, v31
	v_ashrrev_i32_e32 v16, 31, v12
	s_ashr_i32 s1, s12, 31
	s_mul_i32 s4, s12, 0x78
	s_mov_b32 s2, exec_lo
	v_lshrrev_b32_e32 v30, 1, v31
	v_and_b32_e32 v33, 1, v31
	v_lshlrev_b32_e32 v12, 3, v31
	v_cmpx_gt_u32_e32 30, v31
	s_cbranch_execz .LBB426_5
; %bb.4:
	v_mul_lo_u32 v19, s10, v21
	s_ashr_i32 s5, s4, 31
	s_delay_alu instid0(SALU_CYCLE_1) | instskip(NEXT) | instid1(VALU_DEP_1)
	s_lshl_b64 s[18:19], s[4:5], 1
	v_ashrrev_i32_e32 v20, 31, v19
	s_delay_alu instid0(VALU_DEP_1) | instskip(NEXT) | instid1(VALU_DEP_1)
	v_lshlrev_b64 v[19:20], 1, v[19:20]
	v_add_co_u32 v6, vcc_lo, v6, v19
	s_delay_alu instid0(VALU_DEP_2) | instskip(SKIP_1) | instid1(VALU_DEP_3)
	v_add_co_ci_u32_e32 v7, vcc_lo, v7, v20, vcc_lo
	v_lshlrev_b32_e32 v19, 3, v30
	v_add_co_u32 v6, vcc_lo, v6, s18
	s_delay_alu instid0(VALU_DEP_3) | instskip(NEXT) | instid1(VALU_DEP_3)
	v_add_co_ci_u32_e32 v7, vcc_lo, s19, v7, vcc_lo
	v_mad_u32_u24 v19, 0x78, v33, v19
	s_delay_alu instid0(VALU_DEP_3) | instskip(NEXT) | instid1(VALU_DEP_3)
	v_add_co_u32 v6, vcc_lo, v6, v12
	v_add_co_ci_u32_e32 v7, vcc_lo, 0, v7, vcc_lo
	flat_load_b64 v[6:7], v[6:7]
	s_waitcnt vmcnt(0) lgkmcnt(0)
	ds_store_b64 v19, v[6:7]
.LBB426_5:
	s_or_b32 exec_lo, exec_lo, s2
	v_mul_lo_u32 v6, v17, v28
	v_add_nc_u32_e32 v7, 15, v32
	v_add_nc_u32_e32 v20, 1, v17
	v_lshrrev_b32_e32 v34, 5, v31
	s_lshl_b32 s13, s14, 5
	v_mbcnt_lo_u32_b32 v36, -1, 0
	v_ashrrev_i32_e32 v19, 31, v7
	s_waitcnt vmcnt(0) lgkmcnt(0)
	s_waitcnt_vscnt null, 0x0
	v_sub_nc_u32_e32 v6, s0, v6
	s_add_i32 s0, s13, 32
	s_barrier
	v_lshrrev_b32_e32 v19, 28, v19
	buffer_gl0_inv
	v_sub_nc_u32_e32 v21, v6, v28
	v_cmp_ge_u32_e32 vcc_lo, v6, v28
                                        ; implicit-def: $vgpr49
	v_add_nc_u32_e32 v7, v7, v19
	v_cndmask_b32_e32 v17, v17, v20, vcc_lo
	s_delay_alu instid0(VALU_DEP_4) | instskip(SKIP_1) | instid1(VALU_DEP_4)
	v_cndmask_b32_e32 v19, v6, v21, vcc_lo
	v_xor_b32_e32 v21, s1, v16
	v_ashrrev_i32_e32 v38, 4, v7
	v_mul_lo_u32 v6, s10, v18
	v_add_nc_u32_e32 v20, 1, v17
	v_cmp_ge_u32_e32 vcc_lo, v19, v28
	v_or_b32_e32 v16, s13, v34
	v_min_i32_e32 v35, s0, v38
                                        ; implicit-def: $sgpr1
	s_delay_alu instid0(VALU_DEP_4) | instskip(NEXT) | instid1(VALU_DEP_2)
	v_cndmask_b32_e32 v7, v17, v20, vcc_lo
	v_cmp_ge_i32_e64 s0, v16, v35
	s_delay_alu instid0(VALU_DEP_2) | instskip(SKIP_1) | instid1(VALU_DEP_2)
	v_xor_b32_e32 v17, v7, v21
	v_ashrrev_i32_e32 v7, 31, v6
	v_sub_nc_u32_e32 v17, v17, v21
	s_delay_alu instid0(VALU_DEP_4) | instskip(NEXT) | instid1(SALU_CYCLE_1)
	s_and_saveexec_b32 s2, s0
	s_xor_b32 s2, exec_lo, s2
; %bb.6:
	v_mbcnt_lo_u32_b32 v36, -1, 0
	v_mov_b32_e32 v49, 32
	s_mov_b32 s1, 0xff7fffff
                                        ; implicit-def: $vgpr37
                                        ; implicit-def: $vgpr13
                                        ; implicit-def: $vgpr24
                                        ; implicit-def: $vgpr8
                                        ; implicit-def: $vgpr9
; %bb.7:
	s_or_saveexec_b32 s17, s2
	s_clause 0x1
	s_load_b32 s18, s[8:9], 0x14
	s_load_b32 s5, s[8:9], 0x8
	v_mul_lo_u32 v39, v17, v23
	v_lshlrev_b64 v[6:7], 2, v[6:7]
	v_mov_b32_e32 v161, s1
	v_ashrrev_i32_e32 v17, 31, v16
	s_delay_alu instid0(VALU_DEP_4)
	v_ashrrev_i32_e32 v48, 31, v39
	s_xor_b32 exec_lo, exec_lo, s17
	s_cbranch_execz .LBB426_733
; %bb.8:
	v_bfe_u32 v177, v31, 1, 4
	v_mul_u32_u24_e32 v20, 0x78, v33
	v_add_co_u32 v8, vcc_lo, v8, v39
	v_add_co_ci_u32_e32 v19, vcc_lo, v9, v48, vcc_lo
	s_delay_alu instid0(VALU_DEP_4)
	v_dual_mov_b32 v9, 0 :: v_dual_lshlrev_b32 v18, 4, v177
	ds_load_2addr_b64 v[64:67], v20 offset1:1
	ds_load_2addr_b64 v[80:83], v20 offset0:2 offset1:3
	ds_load_2addr_b64 v[96:99], v20 offset0:4 offset1:5
	;; [unrolled: 1-line block ×6, first 2 shown]
	ds_load_b64 v[20:21], v20 offset:112
	v_add_co_u32 v18, vcc_lo, v8, v18
	v_xor_b32_e32 v8, 1, v36
	v_add_co_ci_u32_e32 v19, vcc_lo, 0, v19, vcc_lo
	v_lshlrev_b64 v[28:29], 2, v[16:17]
	s_ashr_i32 s7, s6, 31
	s_delay_alu instid0(VALU_DEP_3)
	v_cmp_gt_i32_e32 vcc_lo, 32, v8
	v_lshlrev_b32_e32 v23, 2, v33
	v_cmp_neq_f32_e64 s1, 0, v37
	v_mov_b32_e32 v49, 32
	s_lshl_b64 s[8:9], s[6:7], 2
	v_cndmask_b32_e32 v8, v36, v8, vcc_lo
	s_waitcnt lgkmcnt(0)
	v_lshlrev_b32_e32 v50, 16, v64
	v_and_b32_e32 v51, 0xffff0000, v64
	v_lshlrev_b32_e32 v52, 16, v65
	v_and_b32_e32 v53, 0xffff0000, v65
	v_lshlrev_b32_e32 v149, 2, v8
	v_add_co_u32 v8, s2, v6, v28
	v_lshlrev_b32_e32 v166, 16, v21
	v_and_b32_e32 v167, 0xffff0000, v21
	v_add_co_ci_u32_e64 v21, s2, v7, v29, s2
	v_lshlrev_b32_e32 v28, 4, v34
	v_lshlrev_b32_e32 v29, 2, v177
	;; [unrolled: 1-line block ×3, first 2 shown]
	v_and_b32_e32 v165, 0xffff0000, v20
	v_add_co_u32 v20, s2, v14, v8
	v_dual_mov_b32 v179, v16 :: v_dual_lshlrev_b32 v54, 16, v66
	v_and_b32_e32 v55, 0xffff0000, v66
	v_lshlrev_b32_e32 v64, 16, v67
	v_and_b32_e32 v65, 0xffff0000, v67
	v_lshlrev_b32_e32 v66, 16, v80
	;; [unrolled: 2-line block ×23, first 2 shown]
	v_cmp_eq_u32_e32 vcc_lo, 0, v33
	v_and_b32_e32 v150, 0xffff0000, v161
	v_lshlrev_b32_e32 v151, 16, v162
	v_and_b32_e32 v160, 0xffff0000, v162
	v_lshlrev_b32_e32 v162, 16, v163
	v_and_b32_e32 v163, 0xffff0000, v163
	v_add_co_ci_u32_e64 v21, s2, v15, v21, s2
	v_sub_nc_u32_e32 v176, 1, v32
	v_add3_u32 v177, s16, v28, v177
	v_lshl_or_b32 v178, v34, 6, v29
	v_mov_b32_e32 v161, 0xff7fffff
	s_getpc_b64 s[20:21]
	s_add_u32 s20, s20, llvm.amdgcn.dynlds.offset.table@rel32@lo+4
	s_addc_u32 s21, s21, llvm.amdgcn.dynlds.offset.table@rel32@hi+12
	s_add_u32 s8, s8, s20
	s_mov_b32 s7, 0
	s_addc_u32 s9, s9, s21
	s_branch .LBB426_10
.LBB426_9:                              ;   in Loop: Header=BB426_10 Depth=1
	s_or_b32 exec_lo, exec_lo, s3
	v_add_nc_u32_e32 v179, 4, v179
	v_add_co_u32 v20, s3, v20, 16
	s_delay_alu instid0(VALU_DEP_1) | instskip(NEXT) | instid1(VALU_DEP_3)
	v_add_co_ci_u32_e64 v21, s3, 0, v21, s3
	v_cmp_ge_i32_e64 s2, v179, v35
	v_add_nc_u32_e32 v177, 64, v177
	v_add_nc_u32_e32 v178, 0x100, v178
	s_delay_alu instid0(VALU_DEP_3) | instskip(NEXT) | instid1(SALU_CYCLE_1)
	s_or_b32 s7, s2, s7
	s_and_not1_b32 exec_lo, exec_lo, s7
	s_cbranch_execz .LBB426_732
.LBB426_10:                             ; =>This Inner Loop Header: Depth=1
	flat_load_b32 v8, v[20:21]
	s_mov_b32 s3, exec_lo
	s_waitcnt vmcnt(0) lgkmcnt(0)
	v_mad_i64_i32 v[28:29], null, v8, v22, v[18:19]
	v_mov_b32_e32 v8, 0
	s_delay_alu instid0(VALU_DEP_2) | instskip(NEXT) | instid1(VALU_DEP_1)
	v_add_co_u32 v28, s2, v28, v23
	v_add_co_ci_u32_e64 v29, s2, 0, v29, s2
	flat_load_b32 v40, v[28:29]
	flat_load_b32 v181, v[24:25]
	s_waitcnt vmcnt(1) lgkmcnt(1)
	v_and_b32_e32 v180, 0xff, v40
	s_delay_alu instid0(VALU_DEP_1)
	v_cmpx_ne_u16_e64 0, v180
	s_cbranch_execz .LBB426_18
; %bb.11:                               ;   in Loop: Header=BB426_10 Depth=1
	v_bfrev_b32_e32 v8, 1
	s_mov_b32 s19, exec_lo
	v_cmpx_ne_u16_e64 0x80, v180
	s_cbranch_execz .LBB426_17
; %bb.12:                               ;   in Loop: Header=BB426_10 Depth=1
	v_and_b32_e32 v182, 0x7f, v40
	v_mov_b32_e32 v8, 0x7f800001
	s_mov_b32 s20, exec_lo
	s_delay_alu instid0(VALU_DEP_2)
	v_cmpx_ne_u32_e32 0x7f, v182
	s_cbranch_execz .LBB426_16
; %bb.13:                               ;   in Loop: Header=BB426_10 Depth=1
	v_and_b32_e32 v8, 7, v40
	v_lshrrev_b32_e32 v180, 3, v182
	s_mov_b32 s21, exec_lo
	v_cmpx_gt_u32_e32 8, v182
; %bb.14:                               ;   in Loop: Header=BB426_10 Depth=1
	s_delay_alu instid0(VALU_DEP_3) | instskip(NEXT) | instid1(VALU_DEP_1)
	v_clz_i32_u32_e32 v180, v8
	v_min_u32_e32 v180, 32, v180
	s_delay_alu instid0(VALU_DEP_1) | instskip(SKIP_1) | instid1(VALU_DEP_2)
	v_subrev_nc_u32_e32 v182, 28, v180
	v_sub_nc_u32_e32 v180, 29, v180
	v_lshlrev_b64 v[182:183], v182, v[8:9]
	s_delay_alu instid0(VALU_DEP_1)
	v_and_b32_e32 v8, 7, v182
; %bb.15:                               ;   in Loop: Header=BB426_10 Depth=1
	s_or_b32 exec_lo, exec_lo, s21
	v_lshlrev_b32_e32 v182, 24, v40
	s_delay_alu instid0(VALU_DEP_2) | instskip(SKIP_1) | instid1(VALU_DEP_3)
	v_lshlrev_b32_e32 v8, 20, v8
	v_lshl_add_u32 v180, v180, 23, 0x3c000000
	v_and_b32_e32 v182, 0x80000000, v182
	s_delay_alu instid0(VALU_DEP_1)
	v_or3_b32 v8, v8, v182, v180
.LBB426_16:                             ;   in Loop: Header=BB426_10 Depth=1
	s_or_b32 exec_lo, exec_lo, s20
.LBB426_17:                             ;   in Loop: Header=BB426_10 Depth=1
	s_delay_alu instid0(SALU_CYCLE_1)
	s_or_b32 exec_lo, exec_lo, s19
.LBB426_18:                             ;   in Loop: Header=BB426_10 Depth=1
	s_delay_alu instid0(SALU_CYCLE_1) | instskip(SKIP_2) | instid1(VALU_DEP_1)
	s_or_b32 exec_lo, exec_lo, s3
	s_waitcnt vmcnt(0) lgkmcnt(0)
	v_mul_f32_e32 v8, v181, v8
	v_and_b32_e32 v180, 0x7f800000, v8
	s_delay_alu instid0(VALU_DEP_1) | instskip(NEXT) | instid1(VALU_DEP_1)
	v_cmp_ne_u32_e64 s2, 0x7f800000, v180
                                        ; implicit-def: $vgpr180
	s_and_saveexec_b32 s3, s2
	s_delay_alu instid0(SALU_CYCLE_1)
	s_xor_b32 s2, exec_lo, s3
; %bb.19:                               ;   in Loop: Header=BB426_10 Depth=1
	v_bfe_u32 v180, v8, 16, 1
	s_delay_alu instid0(VALU_DEP_1)
	v_add3_u32 v180, v8, v180, 0x7fff
                                        ; implicit-def: $vgpr8
; %bb.20:                               ;   in Loop: Header=BB426_10 Depth=1
	s_and_not1_saveexec_b32 s3, s2
; %bb.21:                               ;   in Loop: Header=BB426_10 Depth=1
	v_and_b32_e32 v180, 0xffff, v8
	v_or_b32_e32 v182, 0x10000, v8
	s_delay_alu instid0(VALU_DEP_2) | instskip(NEXT) | instid1(VALU_DEP_1)
	v_cmp_eq_u32_e64 s2, 0, v180
	v_cndmask_b32_e64 v180, v182, v8, s2
; %bb.22:                               ;   in Loop: Header=BB426_10 Depth=1
	s_or_b32 exec_lo, exec_lo, s3
	v_lshrrev_b16 v182, 8, v40
	v_mov_b32_e32 v8, 0
	s_mov_b32 s3, exec_lo
	s_delay_alu instid0(VALU_DEP_2)
	v_cmpx_ne_u16_e64 0, v182
	s_cbranch_execz .LBB426_30
; %bb.23:                               ;   in Loop: Header=BB426_10 Depth=1
	v_bfrev_b32_e32 v8, 1
	s_mov_b32 s19, exec_lo
	v_cmpx_ne_u16_e64 0x80, v182
	s_cbranch_execz .LBB426_29
; %bb.24:                               ;   in Loop: Header=BB426_10 Depth=1
	v_and_b32_e32 v182, 0xffff, v182
	v_mov_b32_e32 v8, 0x7f800001
	s_mov_b32 s20, exec_lo
	s_delay_alu instid0(VALU_DEP_2) | instskip(NEXT) | instid1(VALU_DEP_1)
	v_and_b32_e32 v183, 0x7f, v182
	v_cmpx_ne_u32_e32 0x7f, v183
	s_cbranch_execz .LBB426_28
; %bb.25:                               ;   in Loop: Header=BB426_10 Depth=1
	v_and_b32_e32 v8, 7, v182
	v_lshrrev_b32_e32 v182, 3, v183
	s_mov_b32 s21, exec_lo
	v_cmpx_gt_u32_e32 8, v183
; %bb.26:                               ;   in Loop: Header=BB426_10 Depth=1
	s_delay_alu instid0(VALU_DEP_3) | instskip(NEXT) | instid1(VALU_DEP_1)
	v_clz_i32_u32_e32 v182, v8
	v_min_u32_e32 v182, 32, v182
	s_delay_alu instid0(VALU_DEP_1) | instskip(SKIP_1) | instid1(VALU_DEP_2)
	v_subrev_nc_u32_e32 v183, 28, v182
	v_sub_nc_u32_e32 v182, 29, v182
	v_lshlrev_b64 v[41:42], v183, v[8:9]
	s_delay_alu instid0(VALU_DEP_1)
	v_and_b32_e32 v8, 7, v41
; %bb.27:                               ;   in Loop: Header=BB426_10 Depth=1
	s_or_b32 exec_lo, exec_lo, s21
	v_lshlrev_b32_e32 v183, 16, v40
	s_delay_alu instid0(VALU_DEP_2) | instskip(SKIP_1) | instid1(VALU_DEP_3)
	v_lshlrev_b32_e32 v8, 20, v8
	v_lshl_add_u32 v182, v182, 23, 0x3c000000
	v_and_b32_e32 v183, 0x80000000, v183
	s_delay_alu instid0(VALU_DEP_1)
	v_or3_b32 v8, v8, v183, v182
.LBB426_28:                             ;   in Loop: Header=BB426_10 Depth=1
	s_or_b32 exec_lo, exec_lo, s20
.LBB426_29:                             ;   in Loop: Header=BB426_10 Depth=1
	s_delay_alu instid0(SALU_CYCLE_1)
	s_or_b32 exec_lo, exec_lo, s19
.LBB426_30:                             ;   in Loop: Header=BB426_10 Depth=1
	s_delay_alu instid0(SALU_CYCLE_1) | instskip(NEXT) | instid1(VALU_DEP_1)
	s_or_b32 exec_lo, exec_lo, s3
	v_mul_f32_e32 v8, v181, v8
	s_delay_alu instid0(VALU_DEP_1) | instskip(NEXT) | instid1(VALU_DEP_1)
	v_and_b32_e32 v182, 0x7f800000, v8
	v_cmp_ne_u32_e64 s2, 0x7f800000, v182
                                        ; implicit-def: $vgpr182
	s_delay_alu instid0(VALU_DEP_1) | instskip(NEXT) | instid1(SALU_CYCLE_1)
	s_and_saveexec_b32 s3, s2
	s_xor_b32 s2, exec_lo, s3
; %bb.31:                               ;   in Loop: Header=BB426_10 Depth=1
	v_bfe_u32 v182, v8, 16, 1
	s_delay_alu instid0(VALU_DEP_1)
	v_add3_u32 v182, v8, v182, 0x7fff
                                        ; implicit-def: $vgpr8
; %bb.32:                               ;   in Loop: Header=BB426_10 Depth=1
	s_and_not1_saveexec_b32 s3, s2
; %bb.33:                               ;   in Loop: Header=BB426_10 Depth=1
	v_and_b32_e32 v182, 0xffff, v8
	v_or_b32_e32 v183, 0x10000, v8
	s_delay_alu instid0(VALU_DEP_2) | instskip(NEXT) | instid1(VALU_DEP_1)
	v_cmp_eq_u32_e64 s2, 0, v182
	v_cndmask_b32_e64 v182, v183, v8, s2
; %bb.34:                               ;   in Loop: Header=BB426_10 Depth=1
	s_or_b32 exec_lo, exec_lo, s3
	v_lshrrev_b32_e32 v183, 16, v40
	s_mov_b32 s3, exec_lo
	s_delay_alu instid0(VALU_DEP_1) | instskip(NEXT) | instid1(VALU_DEP_1)
	v_dual_mov_b32 v8, 0 :: v_dual_and_b32 v41, 0xff, v183
	v_cmpx_ne_u16_e32 0, v41
	s_cbranch_execz .LBB426_42
; %bb.35:                               ;   in Loop: Header=BB426_10 Depth=1
	v_bfrev_b32_e32 v8, 1
	s_mov_b32 s19, exec_lo
	v_cmpx_ne_u16_e32 0x80, v41
	s_cbranch_execz .LBB426_41
; %bb.36:                               ;   in Loop: Header=BB426_10 Depth=1
	v_bfe_u32 v42, v40, 16, 7
	v_mov_b32_e32 v8, 0x7f800001
	s_mov_b32 s20, exec_lo
	s_delay_alu instid0(VALU_DEP_2)
	v_cmpx_ne_u32_e32 0x7f, v42
	s_cbranch_execz .LBB426_40
; %bb.37:                               ;   in Loop: Header=BB426_10 Depth=1
	v_and_b32_e32 v8, 7, v183
	v_lshrrev_b32_e32 v41, 3, v42
	s_mov_b32 s21, exec_lo
	v_cmpx_gt_u32_e32 8, v42
; %bb.38:                               ;   in Loop: Header=BB426_10 Depth=1
	s_delay_alu instid0(VALU_DEP_3) | instskip(NEXT) | instid1(VALU_DEP_1)
	v_clz_i32_u32_e32 v41, v8
	v_min_u32_e32 v41, 32, v41
	s_delay_alu instid0(VALU_DEP_1) | instskip(SKIP_1) | instid1(VALU_DEP_2)
	v_subrev_nc_u32_e32 v42, 28, v41
	v_sub_nc_u32_e32 v41, 29, v41
	v_lshlrev_b64 v[42:43], v42, v[8:9]
	s_delay_alu instid0(VALU_DEP_1)
	v_and_b32_e32 v8, 7, v42
; %bb.39:                               ;   in Loop: Header=BB426_10 Depth=1
	s_or_b32 exec_lo, exec_lo, s21
	v_lshlrev_b32_e32 v183, 24, v183
	s_delay_alu instid0(VALU_DEP_2) | instskip(SKIP_1) | instid1(VALU_DEP_3)
	v_lshlrev_b32_e32 v8, 20, v8
	v_lshl_add_u32 v41, v41, 23, 0x3c000000
	v_and_b32_e32 v183, 0x80000000, v183
	s_delay_alu instid0(VALU_DEP_1)
	v_or3_b32 v8, v8, v183, v41
.LBB426_40:                             ;   in Loop: Header=BB426_10 Depth=1
	s_or_b32 exec_lo, exec_lo, s20
.LBB426_41:                             ;   in Loop: Header=BB426_10 Depth=1
	s_delay_alu instid0(SALU_CYCLE_1)
	s_or_b32 exec_lo, exec_lo, s19
.LBB426_42:                             ;   in Loop: Header=BB426_10 Depth=1
	s_delay_alu instid0(SALU_CYCLE_1) | instskip(NEXT) | instid1(VALU_DEP_1)
	s_or_b32 exec_lo, exec_lo, s3
	v_mul_f32_e32 v8, v181, v8
	s_delay_alu instid0(VALU_DEP_1) | instskip(NEXT) | instid1(VALU_DEP_1)
	v_and_b32_e32 v183, 0x7f800000, v8
	v_cmp_ne_u32_e64 s2, 0x7f800000, v183
                                        ; implicit-def: $vgpr183
	s_delay_alu instid0(VALU_DEP_1) | instskip(NEXT) | instid1(SALU_CYCLE_1)
	s_and_saveexec_b32 s3, s2
	s_xor_b32 s2, exec_lo, s3
; %bb.43:                               ;   in Loop: Header=BB426_10 Depth=1
	v_bfe_u32 v183, v8, 16, 1
	s_delay_alu instid0(VALU_DEP_1)
	v_add3_u32 v183, v8, v183, 0x7fff
                                        ; implicit-def: $vgpr8
; %bb.44:                               ;   in Loop: Header=BB426_10 Depth=1
	s_and_not1_saveexec_b32 s3, s2
; %bb.45:                               ;   in Loop: Header=BB426_10 Depth=1
	v_and_b32_e32 v183, 0xffff, v8
	v_or_b32_e32 v41, 0x10000, v8
	s_delay_alu instid0(VALU_DEP_2) | instskip(NEXT) | instid1(VALU_DEP_1)
	v_cmp_eq_u32_e64 s2, 0, v183
	v_cndmask_b32_e64 v183, v41, v8, s2
; %bb.46:                               ;   in Loop: Header=BB426_10 Depth=1
	s_or_b32 exec_lo, exec_lo, s3
	v_mov_b32_e32 v8, 0
	s_mov_b32 s3, exec_lo
	v_cmpx_lt_u32_e32 0xffffff, v40
	s_cbranch_execz .LBB426_54
; %bb.47:                               ;   in Loop: Header=BB426_10 Depth=1
	v_lshrrev_b32_e32 v41, 24, v40
	v_bfrev_b32_e32 v8, 1
	s_mov_b32 s19, exec_lo
	s_delay_alu instid0(VALU_DEP_2)
	v_cmpx_ne_u32_e32 0x80, v41
	s_cbranch_execz .LBB426_53
; %bb.48:                               ;   in Loop: Header=BB426_10 Depth=1
	v_bfe_u32 v42, v40, 24, 7
	v_mov_b32_e32 v8, 0x7f800001
	s_mov_b32 s20, exec_lo
	s_delay_alu instid0(VALU_DEP_2)
	v_cmpx_ne_u32_e32 0x7f, v42
	s_cbranch_execz .LBB426_52
; %bb.49:                               ;   in Loop: Header=BB426_10 Depth=1
	v_and_b32_e32 v8, 7, v41
	v_lshrrev_b32_e32 v40, 3, v42
	s_mov_b32 s21, exec_lo
	v_cmpx_gt_u32_e32 8, v42
; %bb.50:                               ;   in Loop: Header=BB426_10 Depth=1
	s_delay_alu instid0(VALU_DEP_3) | instskip(NEXT) | instid1(VALU_DEP_1)
	v_clz_i32_u32_e32 v40, v8
	v_min_u32_e32 v40, 32, v40
	s_delay_alu instid0(VALU_DEP_1) | instskip(SKIP_1) | instid1(VALU_DEP_2)
	v_subrev_nc_u32_e32 v42, 28, v40
	v_sub_nc_u32_e32 v40, 29, v40
	v_lshlrev_b64 v[42:43], v42, v[8:9]
	s_delay_alu instid0(VALU_DEP_1)
	v_and_b32_e32 v8, 7, v42
; %bb.51:                               ;   in Loop: Header=BB426_10 Depth=1
	s_or_b32 exec_lo, exec_lo, s21
	v_lshlrev_b32_e32 v41, 24, v41
	s_delay_alu instid0(VALU_DEP_2) | instskip(SKIP_1) | instid1(VALU_DEP_3)
	v_lshlrev_b32_e32 v8, 20, v8
	v_lshl_add_u32 v40, v40, 23, 0x3c000000
	v_and_b32_e32 v41, 0x80000000, v41
	s_delay_alu instid0(VALU_DEP_1)
	v_or3_b32 v8, v8, v41, v40
.LBB426_52:                             ;   in Loop: Header=BB426_10 Depth=1
	s_or_b32 exec_lo, exec_lo, s20
.LBB426_53:                             ;   in Loop: Header=BB426_10 Depth=1
	s_delay_alu instid0(SALU_CYCLE_1)
	s_or_b32 exec_lo, exec_lo, s19
.LBB426_54:                             ;   in Loop: Header=BB426_10 Depth=1
	s_delay_alu instid0(SALU_CYCLE_1) | instskip(NEXT) | instid1(VALU_DEP_1)
	s_or_b32 exec_lo, exec_lo, s3
	v_mul_f32_e32 v8, v181, v8
	s_delay_alu instid0(VALU_DEP_1) | instskip(NEXT) | instid1(VALU_DEP_1)
	v_and_b32_e32 v40, 0x7f800000, v8
	v_cmp_ne_u32_e64 s2, 0x7f800000, v40
                                        ; implicit-def: $vgpr40
	s_delay_alu instid0(VALU_DEP_1) | instskip(NEXT) | instid1(SALU_CYCLE_1)
	s_and_saveexec_b32 s3, s2
	s_xor_b32 s2, exec_lo, s3
; %bb.55:                               ;   in Loop: Header=BB426_10 Depth=1
	v_bfe_u32 v40, v8, 16, 1
	s_delay_alu instid0(VALU_DEP_1)
	v_add3_u32 v40, v8, v40, 0x7fff
                                        ; implicit-def: $vgpr8
; %bb.56:                               ;   in Loop: Header=BB426_10 Depth=1
	s_and_not1_saveexec_b32 s3, s2
; %bb.57:                               ;   in Loop: Header=BB426_10 Depth=1
	v_and_b32_e32 v40, 0xffff, v8
	v_or_b32_e32 v41, 0x10000, v8
	s_delay_alu instid0(VALU_DEP_2) | instskip(NEXT) | instid1(VALU_DEP_1)
	v_cmp_eq_u32_e64 s2, 0, v40
	v_cndmask_b32_e64 v40, v41, v8, s2
; %bb.58:                               ;   in Loop: Header=BB426_10 Depth=1
	s_or_b32 exec_lo, exec_lo, s3
	flat_load_b32 v44, v[28:29] offset:8
	s_mov_b32 s3, exec_lo
	s_waitcnt vmcnt(0) lgkmcnt(0)
	v_dual_mov_b32 v8, 0 :: v_dual_and_b32 v41, 0xff, v44
	s_delay_alu instid0(VALU_DEP_1)
	v_cmpx_ne_u16_e32 0, v41
	s_cbranch_execz .LBB426_66
; %bb.59:                               ;   in Loop: Header=BB426_10 Depth=1
	v_bfrev_b32_e32 v8, 1
	s_mov_b32 s19, exec_lo
	v_cmpx_ne_u16_e32 0x80, v41
	s_cbranch_execz .LBB426_65
; %bb.60:                               ;   in Loop: Header=BB426_10 Depth=1
	v_and_b32_e32 v42, 0x7f, v44
	v_mov_b32_e32 v8, 0x7f800001
	s_mov_b32 s20, exec_lo
	s_delay_alu instid0(VALU_DEP_2)
	v_cmpx_ne_u32_e32 0x7f, v42
	s_cbranch_execz .LBB426_64
; %bb.61:                               ;   in Loop: Header=BB426_10 Depth=1
	v_and_b32_e32 v8, 7, v44
	v_lshrrev_b32_e32 v41, 3, v42
	s_mov_b32 s21, exec_lo
	v_cmpx_gt_u32_e32 8, v42
; %bb.62:                               ;   in Loop: Header=BB426_10 Depth=1
	s_delay_alu instid0(VALU_DEP_3) | instskip(NEXT) | instid1(VALU_DEP_1)
	v_clz_i32_u32_e32 v41, v8
	v_min_u32_e32 v41, 32, v41
	s_delay_alu instid0(VALU_DEP_1) | instskip(SKIP_1) | instid1(VALU_DEP_2)
	v_subrev_nc_u32_e32 v42, 28, v41
	v_sub_nc_u32_e32 v41, 29, v41
	v_lshlrev_b64 v[42:43], v42, v[8:9]
	s_delay_alu instid0(VALU_DEP_1)
	v_and_b32_e32 v8, 7, v42
; %bb.63:                               ;   in Loop: Header=BB426_10 Depth=1
	s_or_b32 exec_lo, exec_lo, s21
	v_lshlrev_b32_e32 v42, 24, v44
	s_delay_alu instid0(VALU_DEP_2) | instskip(SKIP_1) | instid1(VALU_DEP_3)
	v_lshlrev_b32_e32 v8, 20, v8
	v_lshl_add_u32 v41, v41, 23, 0x3c000000
	v_and_b32_e32 v42, 0x80000000, v42
	s_delay_alu instid0(VALU_DEP_1)
	v_or3_b32 v8, v8, v42, v41
.LBB426_64:                             ;   in Loop: Header=BB426_10 Depth=1
	s_or_b32 exec_lo, exec_lo, s20
.LBB426_65:                             ;   in Loop: Header=BB426_10 Depth=1
	s_delay_alu instid0(SALU_CYCLE_1)
	s_or_b32 exec_lo, exec_lo, s19
.LBB426_66:                             ;   in Loop: Header=BB426_10 Depth=1
	s_delay_alu instid0(SALU_CYCLE_1) | instskip(NEXT) | instid1(VALU_DEP_1)
	s_or_b32 exec_lo, exec_lo, s3
	v_mul_f32_e32 v8, v181, v8
	s_delay_alu instid0(VALU_DEP_1) | instskip(NEXT) | instid1(VALU_DEP_1)
	v_and_b32_e32 v41, 0x7f800000, v8
	v_cmp_ne_u32_e64 s2, 0x7f800000, v41
                                        ; implicit-def: $vgpr41
	s_delay_alu instid0(VALU_DEP_1) | instskip(NEXT) | instid1(SALU_CYCLE_1)
	s_and_saveexec_b32 s3, s2
	s_xor_b32 s2, exec_lo, s3
; %bb.67:                               ;   in Loop: Header=BB426_10 Depth=1
	v_bfe_u32 v41, v8, 16, 1
	s_delay_alu instid0(VALU_DEP_1)
	v_add3_u32 v41, v8, v41, 0x7fff
                                        ; implicit-def: $vgpr8
; %bb.68:                               ;   in Loop: Header=BB426_10 Depth=1
	s_and_not1_saveexec_b32 s3, s2
; %bb.69:                               ;   in Loop: Header=BB426_10 Depth=1
	v_and_b32_e32 v41, 0xffff, v8
	v_or_b32_e32 v42, 0x10000, v8
	s_delay_alu instid0(VALU_DEP_2) | instskip(NEXT) | instid1(VALU_DEP_1)
	v_cmp_eq_u32_e64 s2, 0, v41
	v_cndmask_b32_e64 v41, v42, v8, s2
; %bb.70:                               ;   in Loop: Header=BB426_10 Depth=1
	s_or_b32 exec_lo, exec_lo, s3
	v_lshrrev_b16 v42, 8, v44
	v_mov_b32_e32 v8, 0
	s_mov_b32 s3, exec_lo
	s_delay_alu instid0(VALU_DEP_2)
	v_cmpx_ne_u16_e32 0, v42
	s_cbranch_execz .LBB426_78
; %bb.71:                               ;   in Loop: Header=BB426_10 Depth=1
	v_bfrev_b32_e32 v8, 1
	s_mov_b32 s19, exec_lo
	v_cmpx_ne_u16_e32 0x80, v42
	s_cbranch_execz .LBB426_77
; %bb.72:                               ;   in Loop: Header=BB426_10 Depth=1
	v_and_b32_e32 v42, 0xffff, v42
	v_mov_b32_e32 v8, 0x7f800001
	s_mov_b32 s20, exec_lo
	s_delay_alu instid0(VALU_DEP_2) | instskip(NEXT) | instid1(VALU_DEP_1)
	v_and_b32_e32 v43, 0x7f, v42
	v_cmpx_ne_u32_e32 0x7f, v43
	s_cbranch_execz .LBB426_76
; %bb.73:                               ;   in Loop: Header=BB426_10 Depth=1
	v_and_b32_e32 v8, 7, v42
	v_lshrrev_b32_e32 v42, 3, v43
	s_mov_b32 s21, exec_lo
	v_cmpx_gt_u32_e32 8, v43
; %bb.74:                               ;   in Loop: Header=BB426_10 Depth=1
	s_delay_alu instid0(VALU_DEP_3) | instskip(NEXT) | instid1(VALU_DEP_1)
	v_clz_i32_u32_e32 v42, v8
	v_min_u32_e32 v42, 32, v42
	s_delay_alu instid0(VALU_DEP_1) | instskip(SKIP_1) | instid1(VALU_DEP_2)
	v_subrev_nc_u32_e32 v43, 28, v42
	v_sub_nc_u32_e32 v42, 29, v42
	v_lshlrev_b64 v[45:46], v43, v[8:9]
	s_delay_alu instid0(VALU_DEP_1)
	v_and_b32_e32 v8, 7, v45
; %bb.75:                               ;   in Loop: Header=BB426_10 Depth=1
	s_or_b32 exec_lo, exec_lo, s21
	v_lshlrev_b32_e32 v43, 16, v44
	s_delay_alu instid0(VALU_DEP_2) | instskip(SKIP_1) | instid1(VALU_DEP_3)
	v_lshlrev_b32_e32 v8, 20, v8
	v_lshl_add_u32 v42, v42, 23, 0x3c000000
	v_and_b32_e32 v43, 0x80000000, v43
	s_delay_alu instid0(VALU_DEP_1)
	v_or3_b32 v8, v8, v43, v42
.LBB426_76:                             ;   in Loop: Header=BB426_10 Depth=1
	s_or_b32 exec_lo, exec_lo, s20
.LBB426_77:                             ;   in Loop: Header=BB426_10 Depth=1
	s_delay_alu instid0(SALU_CYCLE_1)
	s_or_b32 exec_lo, exec_lo, s19
.LBB426_78:                             ;   in Loop: Header=BB426_10 Depth=1
	s_delay_alu instid0(SALU_CYCLE_1) | instskip(NEXT) | instid1(VALU_DEP_1)
	s_or_b32 exec_lo, exec_lo, s3
	v_mul_f32_e32 v8, v181, v8
	s_delay_alu instid0(VALU_DEP_1) | instskip(NEXT) | instid1(VALU_DEP_1)
	v_and_b32_e32 v42, 0x7f800000, v8
	v_cmp_ne_u32_e64 s2, 0x7f800000, v42
                                        ; implicit-def: $vgpr42
	s_delay_alu instid0(VALU_DEP_1) | instskip(NEXT) | instid1(SALU_CYCLE_1)
	s_and_saveexec_b32 s3, s2
	s_xor_b32 s2, exec_lo, s3
; %bb.79:                               ;   in Loop: Header=BB426_10 Depth=1
	v_bfe_u32 v42, v8, 16, 1
	s_delay_alu instid0(VALU_DEP_1)
	v_add3_u32 v42, v8, v42, 0x7fff
                                        ; implicit-def: $vgpr8
; %bb.80:                               ;   in Loop: Header=BB426_10 Depth=1
	s_and_not1_saveexec_b32 s3, s2
; %bb.81:                               ;   in Loop: Header=BB426_10 Depth=1
	v_and_b32_e32 v42, 0xffff, v8
	v_or_b32_e32 v43, 0x10000, v8
	s_delay_alu instid0(VALU_DEP_2) | instskip(NEXT) | instid1(VALU_DEP_1)
	v_cmp_eq_u32_e64 s2, 0, v42
	v_cndmask_b32_e64 v42, v43, v8, s2
; %bb.82:                               ;   in Loop: Header=BB426_10 Depth=1
	s_or_b32 exec_lo, exec_lo, s3
	v_lshrrev_b32_e32 v43, 16, v44
	s_mov_b32 s3, exec_lo
	s_delay_alu instid0(VALU_DEP_1) | instskip(NEXT) | instid1(VALU_DEP_1)
	v_dual_mov_b32 v8, 0 :: v_dual_and_b32 v45, 0xff, v43
	v_cmpx_ne_u16_e32 0, v45
	s_cbranch_execz .LBB426_90
; %bb.83:                               ;   in Loop: Header=BB426_10 Depth=1
	v_bfrev_b32_e32 v8, 1
	s_mov_b32 s19, exec_lo
	v_cmpx_ne_u16_e32 0x80, v45
	s_cbranch_execz .LBB426_89
; %bb.84:                               ;   in Loop: Header=BB426_10 Depth=1
	v_bfe_u32 v46, v44, 16, 7
	v_mov_b32_e32 v8, 0x7f800001
	s_mov_b32 s20, exec_lo
	s_delay_alu instid0(VALU_DEP_2)
	v_cmpx_ne_u32_e32 0x7f, v46
	s_cbranch_execz .LBB426_88
; %bb.85:                               ;   in Loop: Header=BB426_10 Depth=1
	v_and_b32_e32 v8, 7, v43
	v_lshrrev_b32_e32 v45, 3, v46
	s_mov_b32 s21, exec_lo
	v_cmpx_gt_u32_e32 8, v46
; %bb.86:                               ;   in Loop: Header=BB426_10 Depth=1
	s_delay_alu instid0(VALU_DEP_3) | instskip(NEXT) | instid1(VALU_DEP_1)
	v_clz_i32_u32_e32 v45, v8
	v_min_u32_e32 v45, 32, v45
	s_delay_alu instid0(VALU_DEP_1) | instskip(SKIP_1) | instid1(VALU_DEP_2)
	v_subrev_nc_u32_e32 v46, 28, v45
	v_sub_nc_u32_e32 v45, 29, v45
	v_lshlrev_b64 v[46:47], v46, v[8:9]
	s_delay_alu instid0(VALU_DEP_1)
	v_and_b32_e32 v8, 7, v46
; %bb.87:                               ;   in Loop: Header=BB426_10 Depth=1
	s_or_b32 exec_lo, exec_lo, s21
	v_lshlrev_b32_e32 v43, 24, v43
	s_delay_alu instid0(VALU_DEP_2) | instskip(SKIP_1) | instid1(VALU_DEP_3)
	v_lshlrev_b32_e32 v8, 20, v8
	v_lshl_add_u32 v45, v45, 23, 0x3c000000
	v_and_b32_e32 v43, 0x80000000, v43
	s_delay_alu instid0(VALU_DEP_1)
	v_or3_b32 v8, v8, v43, v45
.LBB426_88:                             ;   in Loop: Header=BB426_10 Depth=1
	s_or_b32 exec_lo, exec_lo, s20
.LBB426_89:                             ;   in Loop: Header=BB426_10 Depth=1
	s_delay_alu instid0(SALU_CYCLE_1)
	s_or_b32 exec_lo, exec_lo, s19
.LBB426_90:                             ;   in Loop: Header=BB426_10 Depth=1
	s_delay_alu instid0(SALU_CYCLE_1) | instskip(NEXT) | instid1(VALU_DEP_1)
	s_or_b32 exec_lo, exec_lo, s3
	v_mul_f32_e32 v8, v181, v8
	s_delay_alu instid0(VALU_DEP_1) | instskip(NEXT) | instid1(VALU_DEP_1)
	v_and_b32_e32 v43, 0x7f800000, v8
	v_cmp_ne_u32_e64 s2, 0x7f800000, v43
                                        ; implicit-def: $vgpr43
	s_delay_alu instid0(VALU_DEP_1) | instskip(NEXT) | instid1(SALU_CYCLE_1)
	s_and_saveexec_b32 s3, s2
	s_xor_b32 s2, exec_lo, s3
; %bb.91:                               ;   in Loop: Header=BB426_10 Depth=1
	v_bfe_u32 v43, v8, 16, 1
	s_delay_alu instid0(VALU_DEP_1)
	v_add3_u32 v43, v8, v43, 0x7fff
                                        ; implicit-def: $vgpr8
; %bb.92:                               ;   in Loop: Header=BB426_10 Depth=1
	s_and_not1_saveexec_b32 s3, s2
; %bb.93:                               ;   in Loop: Header=BB426_10 Depth=1
	v_and_b32_e32 v43, 0xffff, v8
	v_or_b32_e32 v45, 0x10000, v8
	s_delay_alu instid0(VALU_DEP_2) | instskip(NEXT) | instid1(VALU_DEP_1)
	v_cmp_eq_u32_e64 s2, 0, v43
	v_cndmask_b32_e64 v43, v45, v8, s2
; %bb.94:                               ;   in Loop: Header=BB426_10 Depth=1
	s_or_b32 exec_lo, exec_lo, s3
	v_mov_b32_e32 v8, 0
	s_mov_b32 s3, exec_lo
	v_cmpx_lt_u32_e32 0xffffff, v44
	s_cbranch_execz .LBB426_102
; %bb.95:                               ;   in Loop: Header=BB426_10 Depth=1
	v_lshrrev_b32_e32 v45, 24, v44
	v_bfrev_b32_e32 v8, 1
	s_mov_b32 s19, exec_lo
	s_delay_alu instid0(VALU_DEP_2)
	v_cmpx_ne_u32_e32 0x80, v45
	s_cbranch_execz .LBB426_101
; %bb.96:                               ;   in Loop: Header=BB426_10 Depth=1
	v_bfe_u32 v46, v44, 24, 7
	v_mov_b32_e32 v8, 0x7f800001
	s_mov_b32 s20, exec_lo
	s_delay_alu instid0(VALU_DEP_2)
	v_cmpx_ne_u32_e32 0x7f, v46
	s_cbranch_execz .LBB426_100
; %bb.97:                               ;   in Loop: Header=BB426_10 Depth=1
	v_and_b32_e32 v8, 7, v45
	v_lshrrev_b32_e32 v44, 3, v46
	s_mov_b32 s21, exec_lo
	v_cmpx_gt_u32_e32 8, v46
; %bb.98:                               ;   in Loop: Header=BB426_10 Depth=1
	s_delay_alu instid0(VALU_DEP_3) | instskip(NEXT) | instid1(VALU_DEP_1)
	v_clz_i32_u32_e32 v44, v8
	v_min_u32_e32 v44, 32, v44
	s_delay_alu instid0(VALU_DEP_1) | instskip(SKIP_1) | instid1(VALU_DEP_2)
	v_subrev_nc_u32_e32 v46, 28, v44
	v_sub_nc_u32_e32 v44, 29, v44
	v_lshlrev_b64 v[46:47], v46, v[8:9]
	s_delay_alu instid0(VALU_DEP_1)
	v_and_b32_e32 v8, 7, v46
; %bb.99:                               ;   in Loop: Header=BB426_10 Depth=1
	s_or_b32 exec_lo, exec_lo, s21
	v_lshlrev_b32_e32 v45, 24, v45
	s_delay_alu instid0(VALU_DEP_2) | instskip(SKIP_1) | instid1(VALU_DEP_3)
	v_lshlrev_b32_e32 v8, 20, v8
	v_lshl_add_u32 v44, v44, 23, 0x3c000000
	v_and_b32_e32 v45, 0x80000000, v45
	s_delay_alu instid0(VALU_DEP_1)
	v_or3_b32 v8, v8, v45, v44
.LBB426_100:                            ;   in Loop: Header=BB426_10 Depth=1
	s_or_b32 exec_lo, exec_lo, s20
.LBB426_101:                            ;   in Loop: Header=BB426_10 Depth=1
	s_delay_alu instid0(SALU_CYCLE_1)
	s_or_b32 exec_lo, exec_lo, s19
.LBB426_102:                            ;   in Loop: Header=BB426_10 Depth=1
	s_delay_alu instid0(SALU_CYCLE_1) | instskip(NEXT) | instid1(VALU_DEP_1)
	s_or_b32 exec_lo, exec_lo, s3
	v_mul_f32_e32 v8, v181, v8
	s_delay_alu instid0(VALU_DEP_1) | instskip(NEXT) | instid1(VALU_DEP_1)
	v_and_b32_e32 v44, 0x7f800000, v8
	v_cmp_ne_u32_e64 s2, 0x7f800000, v44
                                        ; implicit-def: $vgpr44
	s_delay_alu instid0(VALU_DEP_1) | instskip(NEXT) | instid1(SALU_CYCLE_1)
	s_and_saveexec_b32 s3, s2
	s_xor_b32 s2, exec_lo, s3
; %bb.103:                              ;   in Loop: Header=BB426_10 Depth=1
	v_bfe_u32 v44, v8, 16, 1
	s_delay_alu instid0(VALU_DEP_1)
	v_add3_u32 v44, v8, v44, 0x7fff
                                        ; implicit-def: $vgpr8
; %bb.104:                              ;   in Loop: Header=BB426_10 Depth=1
	s_and_not1_saveexec_b32 s3, s2
; %bb.105:                              ;   in Loop: Header=BB426_10 Depth=1
	v_and_b32_e32 v44, 0xffff, v8
	v_or_b32_e32 v45, 0x10000, v8
	s_delay_alu instid0(VALU_DEP_2) | instskip(NEXT) | instid1(VALU_DEP_1)
	v_cmp_eq_u32_e64 s2, 0, v44
	v_cndmask_b32_e64 v44, v45, v8, s2
; %bb.106:                              ;   in Loop: Header=BB426_10 Depth=1
	s_or_b32 exec_lo, exec_lo, s3
	flat_load_b32 v56, v[28:29] offset:256
	s_mov_b32 s3, exec_lo
	s_waitcnt vmcnt(0) lgkmcnt(0)
	v_dual_mov_b32 v8, 0 :: v_dual_and_b32 v45, 0xff, v56
	s_delay_alu instid0(VALU_DEP_1)
	v_cmpx_ne_u16_e32 0, v45
	s_cbranch_execz .LBB426_114
; %bb.107:                              ;   in Loop: Header=BB426_10 Depth=1
	v_bfrev_b32_e32 v8, 1
	s_mov_b32 s19, exec_lo
	v_cmpx_ne_u16_e32 0x80, v45
	s_cbranch_execz .LBB426_113
; %bb.108:                              ;   in Loop: Header=BB426_10 Depth=1
	v_and_b32_e32 v46, 0x7f, v56
	v_mov_b32_e32 v8, 0x7f800001
	s_mov_b32 s20, exec_lo
	s_delay_alu instid0(VALU_DEP_2)
	v_cmpx_ne_u32_e32 0x7f, v46
	s_cbranch_execz .LBB426_112
; %bb.109:                              ;   in Loop: Header=BB426_10 Depth=1
	v_and_b32_e32 v8, 7, v56
	v_lshrrev_b32_e32 v45, 3, v46
	s_mov_b32 s21, exec_lo
	v_cmpx_gt_u32_e32 8, v46
; %bb.110:                              ;   in Loop: Header=BB426_10 Depth=1
	s_delay_alu instid0(VALU_DEP_3) | instskip(NEXT) | instid1(VALU_DEP_1)
	v_clz_i32_u32_e32 v45, v8
	v_min_u32_e32 v45, 32, v45
	s_delay_alu instid0(VALU_DEP_1) | instskip(SKIP_1) | instid1(VALU_DEP_2)
	v_subrev_nc_u32_e32 v46, 28, v45
	v_sub_nc_u32_e32 v45, 29, v45
	v_lshlrev_b64 v[46:47], v46, v[8:9]
	s_delay_alu instid0(VALU_DEP_1)
	v_and_b32_e32 v8, 7, v46
; %bb.111:                              ;   in Loop: Header=BB426_10 Depth=1
	s_or_b32 exec_lo, exec_lo, s21
	v_lshlrev_b32_e32 v46, 24, v56
	s_delay_alu instid0(VALU_DEP_2) | instskip(SKIP_1) | instid1(VALU_DEP_3)
	v_lshlrev_b32_e32 v8, 20, v8
	v_lshl_add_u32 v45, v45, 23, 0x3c000000
	v_and_b32_e32 v46, 0x80000000, v46
	s_delay_alu instid0(VALU_DEP_1)
	v_or3_b32 v8, v8, v46, v45
.LBB426_112:                            ;   in Loop: Header=BB426_10 Depth=1
	s_or_b32 exec_lo, exec_lo, s20
.LBB426_113:                            ;   in Loop: Header=BB426_10 Depth=1
	s_delay_alu instid0(SALU_CYCLE_1)
	s_or_b32 exec_lo, exec_lo, s19
.LBB426_114:                            ;   in Loop: Header=BB426_10 Depth=1
	s_delay_alu instid0(SALU_CYCLE_1) | instskip(NEXT) | instid1(VALU_DEP_1)
	s_or_b32 exec_lo, exec_lo, s3
	v_mul_f32_e32 v8, v181, v8
	s_delay_alu instid0(VALU_DEP_1) | instskip(NEXT) | instid1(VALU_DEP_1)
	v_and_b32_e32 v45, 0x7f800000, v8
	v_cmp_ne_u32_e64 s2, 0x7f800000, v45
                                        ; implicit-def: $vgpr45
	s_delay_alu instid0(VALU_DEP_1) | instskip(NEXT) | instid1(SALU_CYCLE_1)
	s_and_saveexec_b32 s3, s2
	s_xor_b32 s2, exec_lo, s3
; %bb.115:                              ;   in Loop: Header=BB426_10 Depth=1
	v_bfe_u32 v45, v8, 16, 1
	s_delay_alu instid0(VALU_DEP_1)
	v_add3_u32 v45, v8, v45, 0x7fff
                                        ; implicit-def: $vgpr8
; %bb.116:                              ;   in Loop: Header=BB426_10 Depth=1
	s_and_not1_saveexec_b32 s3, s2
; %bb.117:                              ;   in Loop: Header=BB426_10 Depth=1
	v_and_b32_e32 v45, 0xffff, v8
	v_or_b32_e32 v46, 0x10000, v8
	s_delay_alu instid0(VALU_DEP_2) | instskip(NEXT) | instid1(VALU_DEP_1)
	v_cmp_eq_u32_e64 s2, 0, v45
	v_cndmask_b32_e64 v45, v46, v8, s2
; %bb.118:                              ;   in Loop: Header=BB426_10 Depth=1
	s_or_b32 exec_lo, exec_lo, s3
	v_lshrrev_b16 v46, 8, v56
	v_mov_b32_e32 v8, 0
	s_mov_b32 s3, exec_lo
	s_delay_alu instid0(VALU_DEP_2)
	v_cmpx_ne_u16_e32 0, v46
	s_cbranch_execz .LBB426_126
; %bb.119:                              ;   in Loop: Header=BB426_10 Depth=1
	v_bfrev_b32_e32 v8, 1
	s_mov_b32 s19, exec_lo
	v_cmpx_ne_u16_e32 0x80, v46
	s_cbranch_execz .LBB426_125
; %bb.120:                              ;   in Loop: Header=BB426_10 Depth=1
	v_and_b32_e32 v46, 0xffff, v46
	v_mov_b32_e32 v8, 0x7f800001
	s_mov_b32 s20, exec_lo
	s_delay_alu instid0(VALU_DEP_2) | instskip(NEXT) | instid1(VALU_DEP_1)
	v_and_b32_e32 v47, 0x7f, v46
	v_cmpx_ne_u32_e32 0x7f, v47
	s_cbranch_execz .LBB426_124
; %bb.121:                              ;   in Loop: Header=BB426_10 Depth=1
	v_and_b32_e32 v8, 7, v46
	v_lshrrev_b32_e32 v46, 3, v47
	s_mov_b32 s21, exec_lo
	v_cmpx_gt_u32_e32 8, v47
; %bb.122:                              ;   in Loop: Header=BB426_10 Depth=1
	s_delay_alu instid0(VALU_DEP_3) | instskip(NEXT) | instid1(VALU_DEP_1)
	v_clz_i32_u32_e32 v46, v8
	v_min_u32_e32 v46, 32, v46
	s_delay_alu instid0(VALU_DEP_1) | instskip(SKIP_1) | instid1(VALU_DEP_2)
	v_subrev_nc_u32_e32 v47, 28, v46
	v_sub_nc_u32_e32 v46, 29, v46
	v_lshlrev_b64 v[57:58], v47, v[8:9]
	s_delay_alu instid0(VALU_DEP_1)
	v_and_b32_e32 v8, 7, v57
; %bb.123:                              ;   in Loop: Header=BB426_10 Depth=1
	s_or_b32 exec_lo, exec_lo, s21
	v_lshlrev_b32_e32 v47, 16, v56
	s_delay_alu instid0(VALU_DEP_2) | instskip(SKIP_1) | instid1(VALU_DEP_3)
	v_lshlrev_b32_e32 v8, 20, v8
	v_lshl_add_u32 v46, v46, 23, 0x3c000000
	v_and_b32_e32 v47, 0x80000000, v47
	s_delay_alu instid0(VALU_DEP_1)
	v_or3_b32 v8, v8, v47, v46
.LBB426_124:                            ;   in Loop: Header=BB426_10 Depth=1
	s_or_b32 exec_lo, exec_lo, s20
.LBB426_125:                            ;   in Loop: Header=BB426_10 Depth=1
	s_delay_alu instid0(SALU_CYCLE_1)
	s_or_b32 exec_lo, exec_lo, s19
.LBB426_126:                            ;   in Loop: Header=BB426_10 Depth=1
	s_delay_alu instid0(SALU_CYCLE_1) | instskip(NEXT) | instid1(VALU_DEP_1)
	s_or_b32 exec_lo, exec_lo, s3
	v_mul_f32_e32 v8, v181, v8
	s_delay_alu instid0(VALU_DEP_1) | instskip(NEXT) | instid1(VALU_DEP_1)
	v_and_b32_e32 v46, 0x7f800000, v8
	v_cmp_ne_u32_e64 s2, 0x7f800000, v46
                                        ; implicit-def: $vgpr46
	s_delay_alu instid0(VALU_DEP_1) | instskip(NEXT) | instid1(SALU_CYCLE_1)
	s_and_saveexec_b32 s3, s2
	s_xor_b32 s2, exec_lo, s3
; %bb.127:                              ;   in Loop: Header=BB426_10 Depth=1
	v_bfe_u32 v46, v8, 16, 1
	s_delay_alu instid0(VALU_DEP_1)
	v_add3_u32 v46, v8, v46, 0x7fff
                                        ; implicit-def: $vgpr8
; %bb.128:                              ;   in Loop: Header=BB426_10 Depth=1
	s_and_not1_saveexec_b32 s3, s2
; %bb.129:                              ;   in Loop: Header=BB426_10 Depth=1
	v_and_b32_e32 v46, 0xffff, v8
	v_or_b32_e32 v47, 0x10000, v8
	s_delay_alu instid0(VALU_DEP_2) | instskip(NEXT) | instid1(VALU_DEP_1)
	v_cmp_eq_u32_e64 s2, 0, v46
	v_cndmask_b32_e64 v46, v47, v8, s2
; %bb.130:                              ;   in Loop: Header=BB426_10 Depth=1
	s_or_b32 exec_lo, exec_lo, s3
	v_lshrrev_b32_e32 v47, 16, v56
	s_mov_b32 s3, exec_lo
	s_delay_alu instid0(VALU_DEP_1) | instskip(NEXT) | instid1(VALU_DEP_1)
	v_dual_mov_b32 v8, 0 :: v_dual_and_b32 v57, 0xff, v47
	v_cmpx_ne_u16_e32 0, v57
	s_cbranch_execz .LBB426_138
; %bb.131:                              ;   in Loop: Header=BB426_10 Depth=1
	v_bfrev_b32_e32 v8, 1
	s_mov_b32 s19, exec_lo
	v_cmpx_ne_u16_e32 0x80, v57
	s_cbranch_execz .LBB426_137
; %bb.132:                              ;   in Loop: Header=BB426_10 Depth=1
	v_bfe_u32 v58, v56, 16, 7
	v_mov_b32_e32 v8, 0x7f800001
	s_mov_b32 s20, exec_lo
	s_delay_alu instid0(VALU_DEP_2)
	v_cmpx_ne_u32_e32 0x7f, v58
	s_cbranch_execz .LBB426_136
; %bb.133:                              ;   in Loop: Header=BB426_10 Depth=1
	v_and_b32_e32 v8, 7, v47
	v_lshrrev_b32_e32 v57, 3, v58
	s_mov_b32 s21, exec_lo
	v_cmpx_gt_u32_e32 8, v58
; %bb.134:                              ;   in Loop: Header=BB426_10 Depth=1
	s_delay_alu instid0(VALU_DEP_3) | instskip(NEXT) | instid1(VALU_DEP_1)
	v_clz_i32_u32_e32 v57, v8
	v_min_u32_e32 v57, 32, v57
	s_delay_alu instid0(VALU_DEP_1) | instskip(SKIP_1) | instid1(VALU_DEP_2)
	v_subrev_nc_u32_e32 v58, 28, v57
	v_sub_nc_u32_e32 v57, 29, v57
	v_lshlrev_b64 v[58:59], v58, v[8:9]
	s_delay_alu instid0(VALU_DEP_1)
	v_and_b32_e32 v8, 7, v58
; %bb.135:                              ;   in Loop: Header=BB426_10 Depth=1
	s_or_b32 exec_lo, exec_lo, s21
	v_lshlrev_b32_e32 v47, 24, v47
	s_delay_alu instid0(VALU_DEP_2) | instskip(SKIP_1) | instid1(VALU_DEP_3)
	v_lshlrev_b32_e32 v8, 20, v8
	v_lshl_add_u32 v57, v57, 23, 0x3c000000
	v_and_b32_e32 v47, 0x80000000, v47
	s_delay_alu instid0(VALU_DEP_1)
	v_or3_b32 v8, v8, v47, v57
.LBB426_136:                            ;   in Loop: Header=BB426_10 Depth=1
	s_or_b32 exec_lo, exec_lo, s20
.LBB426_137:                            ;   in Loop: Header=BB426_10 Depth=1
	s_delay_alu instid0(SALU_CYCLE_1)
	s_or_b32 exec_lo, exec_lo, s19
.LBB426_138:                            ;   in Loop: Header=BB426_10 Depth=1
	s_delay_alu instid0(SALU_CYCLE_1) | instskip(NEXT) | instid1(VALU_DEP_1)
	s_or_b32 exec_lo, exec_lo, s3
	v_mul_f32_e32 v8, v181, v8
	s_delay_alu instid0(VALU_DEP_1) | instskip(NEXT) | instid1(VALU_DEP_1)
	v_and_b32_e32 v47, 0x7f800000, v8
	v_cmp_ne_u32_e64 s2, 0x7f800000, v47
                                        ; implicit-def: $vgpr47
	s_delay_alu instid0(VALU_DEP_1) | instskip(NEXT) | instid1(SALU_CYCLE_1)
	s_and_saveexec_b32 s3, s2
	s_xor_b32 s2, exec_lo, s3
; %bb.139:                              ;   in Loop: Header=BB426_10 Depth=1
	v_bfe_u32 v47, v8, 16, 1
	s_delay_alu instid0(VALU_DEP_1)
	v_add3_u32 v47, v8, v47, 0x7fff
                                        ; implicit-def: $vgpr8
; %bb.140:                              ;   in Loop: Header=BB426_10 Depth=1
	s_and_not1_saveexec_b32 s3, s2
; %bb.141:                              ;   in Loop: Header=BB426_10 Depth=1
	v_and_b32_e32 v47, 0xffff, v8
	v_or_b32_e32 v57, 0x10000, v8
	s_delay_alu instid0(VALU_DEP_2) | instskip(NEXT) | instid1(VALU_DEP_1)
	v_cmp_eq_u32_e64 s2, 0, v47
	v_cndmask_b32_e64 v47, v57, v8, s2
; %bb.142:                              ;   in Loop: Header=BB426_10 Depth=1
	s_or_b32 exec_lo, exec_lo, s3
	v_mov_b32_e32 v8, 0
	s_mov_b32 s3, exec_lo
	v_cmpx_lt_u32_e32 0xffffff, v56
	s_cbranch_execz .LBB426_150
; %bb.143:                              ;   in Loop: Header=BB426_10 Depth=1
	v_lshrrev_b32_e32 v57, 24, v56
	v_bfrev_b32_e32 v8, 1
	s_mov_b32 s19, exec_lo
	s_delay_alu instid0(VALU_DEP_2)
	v_cmpx_ne_u32_e32 0x80, v57
	s_cbranch_execz .LBB426_149
; %bb.144:                              ;   in Loop: Header=BB426_10 Depth=1
	v_bfe_u32 v58, v56, 24, 7
	v_mov_b32_e32 v8, 0x7f800001
	s_mov_b32 s20, exec_lo
	s_delay_alu instid0(VALU_DEP_2)
	v_cmpx_ne_u32_e32 0x7f, v58
	s_cbranch_execz .LBB426_148
; %bb.145:                              ;   in Loop: Header=BB426_10 Depth=1
	v_and_b32_e32 v8, 7, v57
	v_lshrrev_b32_e32 v56, 3, v58
	s_mov_b32 s21, exec_lo
	v_cmpx_gt_u32_e32 8, v58
; %bb.146:                              ;   in Loop: Header=BB426_10 Depth=1
	s_delay_alu instid0(VALU_DEP_3) | instskip(NEXT) | instid1(VALU_DEP_1)
	v_clz_i32_u32_e32 v56, v8
	v_min_u32_e32 v56, 32, v56
	s_delay_alu instid0(VALU_DEP_1) | instskip(SKIP_1) | instid1(VALU_DEP_2)
	v_subrev_nc_u32_e32 v58, 28, v56
	v_sub_nc_u32_e32 v56, 29, v56
	v_lshlrev_b64 v[58:59], v58, v[8:9]
	s_delay_alu instid0(VALU_DEP_1)
	v_and_b32_e32 v8, 7, v58
; %bb.147:                              ;   in Loop: Header=BB426_10 Depth=1
	s_or_b32 exec_lo, exec_lo, s21
	v_lshlrev_b32_e32 v57, 24, v57
	s_delay_alu instid0(VALU_DEP_2) | instskip(SKIP_1) | instid1(VALU_DEP_3)
	v_lshlrev_b32_e32 v8, 20, v8
	v_lshl_add_u32 v56, v56, 23, 0x3c000000
	v_and_b32_e32 v57, 0x80000000, v57
	s_delay_alu instid0(VALU_DEP_1)
	v_or3_b32 v8, v8, v57, v56
.LBB426_148:                            ;   in Loop: Header=BB426_10 Depth=1
	s_or_b32 exec_lo, exec_lo, s20
.LBB426_149:                            ;   in Loop: Header=BB426_10 Depth=1
	s_delay_alu instid0(SALU_CYCLE_1)
	s_or_b32 exec_lo, exec_lo, s19
.LBB426_150:                            ;   in Loop: Header=BB426_10 Depth=1
	s_delay_alu instid0(SALU_CYCLE_1) | instskip(NEXT) | instid1(VALU_DEP_1)
	s_or_b32 exec_lo, exec_lo, s3
	v_mul_f32_e32 v8, v181, v8
	s_delay_alu instid0(VALU_DEP_1) | instskip(NEXT) | instid1(VALU_DEP_1)
	v_and_b32_e32 v56, 0x7f800000, v8
	v_cmp_ne_u32_e64 s2, 0x7f800000, v56
                                        ; implicit-def: $vgpr56
	s_delay_alu instid0(VALU_DEP_1) | instskip(NEXT) | instid1(SALU_CYCLE_1)
	s_and_saveexec_b32 s3, s2
	s_xor_b32 s2, exec_lo, s3
; %bb.151:                              ;   in Loop: Header=BB426_10 Depth=1
	v_bfe_u32 v56, v8, 16, 1
	s_delay_alu instid0(VALU_DEP_1)
	v_add3_u32 v56, v8, v56, 0x7fff
                                        ; implicit-def: $vgpr8
; %bb.152:                              ;   in Loop: Header=BB426_10 Depth=1
	s_and_not1_saveexec_b32 s3, s2
; %bb.153:                              ;   in Loop: Header=BB426_10 Depth=1
	v_and_b32_e32 v56, 0xffff, v8
	v_or_b32_e32 v57, 0x10000, v8
	s_delay_alu instid0(VALU_DEP_2) | instskip(NEXT) | instid1(VALU_DEP_1)
	v_cmp_eq_u32_e64 s2, 0, v56
	v_cndmask_b32_e64 v56, v57, v8, s2
; %bb.154:                              ;   in Loop: Header=BB426_10 Depth=1
	s_or_b32 exec_lo, exec_lo, s3
	flat_load_b32 v60, v[28:29] offset:264
	s_mov_b32 s3, exec_lo
	s_waitcnt vmcnt(0) lgkmcnt(0)
	v_dual_mov_b32 v8, 0 :: v_dual_and_b32 v57, 0xff, v60
	s_delay_alu instid0(VALU_DEP_1)
	v_cmpx_ne_u16_e32 0, v57
	s_cbranch_execz .LBB426_162
; %bb.155:                              ;   in Loop: Header=BB426_10 Depth=1
	v_bfrev_b32_e32 v8, 1
	s_mov_b32 s19, exec_lo
	v_cmpx_ne_u16_e32 0x80, v57
	s_cbranch_execz .LBB426_161
; %bb.156:                              ;   in Loop: Header=BB426_10 Depth=1
	v_and_b32_e32 v58, 0x7f, v60
	v_mov_b32_e32 v8, 0x7f800001
	s_mov_b32 s20, exec_lo
	s_delay_alu instid0(VALU_DEP_2)
	v_cmpx_ne_u32_e32 0x7f, v58
	s_cbranch_execz .LBB426_160
; %bb.157:                              ;   in Loop: Header=BB426_10 Depth=1
	v_and_b32_e32 v8, 7, v60
	v_lshrrev_b32_e32 v57, 3, v58
	s_mov_b32 s21, exec_lo
	v_cmpx_gt_u32_e32 8, v58
; %bb.158:                              ;   in Loop: Header=BB426_10 Depth=1
	s_delay_alu instid0(VALU_DEP_3) | instskip(NEXT) | instid1(VALU_DEP_1)
	v_clz_i32_u32_e32 v57, v8
	v_min_u32_e32 v57, 32, v57
	s_delay_alu instid0(VALU_DEP_1) | instskip(SKIP_1) | instid1(VALU_DEP_2)
	v_subrev_nc_u32_e32 v58, 28, v57
	v_sub_nc_u32_e32 v57, 29, v57
	v_lshlrev_b64 v[58:59], v58, v[8:9]
	s_delay_alu instid0(VALU_DEP_1)
	v_and_b32_e32 v8, 7, v58
; %bb.159:                              ;   in Loop: Header=BB426_10 Depth=1
	s_or_b32 exec_lo, exec_lo, s21
	v_lshlrev_b32_e32 v58, 24, v60
	s_delay_alu instid0(VALU_DEP_2) | instskip(SKIP_1) | instid1(VALU_DEP_3)
	v_lshlrev_b32_e32 v8, 20, v8
	v_lshl_add_u32 v57, v57, 23, 0x3c000000
	v_and_b32_e32 v58, 0x80000000, v58
	s_delay_alu instid0(VALU_DEP_1)
	v_or3_b32 v8, v8, v58, v57
.LBB426_160:                            ;   in Loop: Header=BB426_10 Depth=1
	s_or_b32 exec_lo, exec_lo, s20
.LBB426_161:                            ;   in Loop: Header=BB426_10 Depth=1
	s_delay_alu instid0(SALU_CYCLE_1)
	s_or_b32 exec_lo, exec_lo, s19
.LBB426_162:                            ;   in Loop: Header=BB426_10 Depth=1
	s_delay_alu instid0(SALU_CYCLE_1) | instskip(NEXT) | instid1(VALU_DEP_1)
	s_or_b32 exec_lo, exec_lo, s3
	v_mul_f32_e32 v8, v181, v8
	s_delay_alu instid0(VALU_DEP_1) | instskip(NEXT) | instid1(VALU_DEP_1)
	v_and_b32_e32 v57, 0x7f800000, v8
	v_cmp_ne_u32_e64 s2, 0x7f800000, v57
                                        ; implicit-def: $vgpr57
	s_delay_alu instid0(VALU_DEP_1) | instskip(NEXT) | instid1(SALU_CYCLE_1)
	s_and_saveexec_b32 s3, s2
	s_xor_b32 s2, exec_lo, s3
; %bb.163:                              ;   in Loop: Header=BB426_10 Depth=1
	v_bfe_u32 v57, v8, 16, 1
	s_delay_alu instid0(VALU_DEP_1)
	v_add3_u32 v57, v8, v57, 0x7fff
                                        ; implicit-def: $vgpr8
; %bb.164:                              ;   in Loop: Header=BB426_10 Depth=1
	s_and_not1_saveexec_b32 s3, s2
; %bb.165:                              ;   in Loop: Header=BB426_10 Depth=1
	v_and_b32_e32 v57, 0xffff, v8
	v_or_b32_e32 v58, 0x10000, v8
	s_delay_alu instid0(VALU_DEP_2) | instskip(NEXT) | instid1(VALU_DEP_1)
	v_cmp_eq_u32_e64 s2, 0, v57
	v_cndmask_b32_e64 v57, v58, v8, s2
; %bb.166:                              ;   in Loop: Header=BB426_10 Depth=1
	s_or_b32 exec_lo, exec_lo, s3
	v_lshrrev_b16 v58, 8, v60
	v_mov_b32_e32 v8, 0
	s_mov_b32 s3, exec_lo
	s_delay_alu instid0(VALU_DEP_2)
	v_cmpx_ne_u16_e32 0, v58
	s_cbranch_execz .LBB426_174
; %bb.167:                              ;   in Loop: Header=BB426_10 Depth=1
	v_bfrev_b32_e32 v8, 1
	s_mov_b32 s19, exec_lo
	v_cmpx_ne_u16_e32 0x80, v58
	s_cbranch_execz .LBB426_173
; %bb.168:                              ;   in Loop: Header=BB426_10 Depth=1
	v_and_b32_e32 v58, 0xffff, v58
	v_mov_b32_e32 v8, 0x7f800001
	s_mov_b32 s20, exec_lo
	s_delay_alu instid0(VALU_DEP_2) | instskip(NEXT) | instid1(VALU_DEP_1)
	v_and_b32_e32 v59, 0x7f, v58
	v_cmpx_ne_u32_e32 0x7f, v59
	s_cbranch_execz .LBB426_172
; %bb.169:                              ;   in Loop: Header=BB426_10 Depth=1
	v_and_b32_e32 v8, 7, v58
	v_lshrrev_b32_e32 v58, 3, v59
	s_mov_b32 s21, exec_lo
	v_cmpx_gt_u32_e32 8, v59
; %bb.170:                              ;   in Loop: Header=BB426_10 Depth=1
	s_delay_alu instid0(VALU_DEP_3) | instskip(NEXT) | instid1(VALU_DEP_1)
	v_clz_i32_u32_e32 v58, v8
	v_min_u32_e32 v58, 32, v58
	s_delay_alu instid0(VALU_DEP_1) | instskip(SKIP_1) | instid1(VALU_DEP_2)
	v_subrev_nc_u32_e32 v59, 28, v58
	v_sub_nc_u32_e32 v58, 29, v58
	v_lshlrev_b64 v[61:62], v59, v[8:9]
	s_delay_alu instid0(VALU_DEP_1)
	v_and_b32_e32 v8, 7, v61
; %bb.171:                              ;   in Loop: Header=BB426_10 Depth=1
	s_or_b32 exec_lo, exec_lo, s21
	v_lshlrev_b32_e32 v59, 16, v60
	s_delay_alu instid0(VALU_DEP_2) | instskip(SKIP_1) | instid1(VALU_DEP_3)
	v_lshlrev_b32_e32 v8, 20, v8
	v_lshl_add_u32 v58, v58, 23, 0x3c000000
	v_and_b32_e32 v59, 0x80000000, v59
	s_delay_alu instid0(VALU_DEP_1)
	v_or3_b32 v8, v8, v59, v58
.LBB426_172:                            ;   in Loop: Header=BB426_10 Depth=1
	s_or_b32 exec_lo, exec_lo, s20
.LBB426_173:                            ;   in Loop: Header=BB426_10 Depth=1
	s_delay_alu instid0(SALU_CYCLE_1)
	s_or_b32 exec_lo, exec_lo, s19
.LBB426_174:                            ;   in Loop: Header=BB426_10 Depth=1
	s_delay_alu instid0(SALU_CYCLE_1) | instskip(NEXT) | instid1(VALU_DEP_1)
	s_or_b32 exec_lo, exec_lo, s3
	v_mul_f32_e32 v8, v181, v8
	s_delay_alu instid0(VALU_DEP_1) | instskip(NEXT) | instid1(VALU_DEP_1)
	v_and_b32_e32 v58, 0x7f800000, v8
	v_cmp_ne_u32_e64 s2, 0x7f800000, v58
                                        ; implicit-def: $vgpr58
	s_delay_alu instid0(VALU_DEP_1) | instskip(NEXT) | instid1(SALU_CYCLE_1)
	s_and_saveexec_b32 s3, s2
	s_xor_b32 s2, exec_lo, s3
; %bb.175:                              ;   in Loop: Header=BB426_10 Depth=1
	v_bfe_u32 v58, v8, 16, 1
	s_delay_alu instid0(VALU_DEP_1)
	v_add3_u32 v58, v8, v58, 0x7fff
                                        ; implicit-def: $vgpr8
; %bb.176:                              ;   in Loop: Header=BB426_10 Depth=1
	s_and_not1_saveexec_b32 s3, s2
; %bb.177:                              ;   in Loop: Header=BB426_10 Depth=1
	v_and_b32_e32 v58, 0xffff, v8
	v_or_b32_e32 v59, 0x10000, v8
	s_delay_alu instid0(VALU_DEP_2) | instskip(NEXT) | instid1(VALU_DEP_1)
	v_cmp_eq_u32_e64 s2, 0, v58
	v_cndmask_b32_e64 v58, v59, v8, s2
; %bb.178:                              ;   in Loop: Header=BB426_10 Depth=1
	s_or_b32 exec_lo, exec_lo, s3
	v_lshrrev_b32_e32 v59, 16, v60
	s_mov_b32 s3, exec_lo
	s_delay_alu instid0(VALU_DEP_1) | instskip(NEXT) | instid1(VALU_DEP_1)
	v_dual_mov_b32 v8, 0 :: v_dual_and_b32 v61, 0xff, v59
	v_cmpx_ne_u16_e32 0, v61
	s_cbranch_execz .LBB426_186
; %bb.179:                              ;   in Loop: Header=BB426_10 Depth=1
	v_bfrev_b32_e32 v8, 1
	s_mov_b32 s19, exec_lo
	v_cmpx_ne_u16_e32 0x80, v61
	s_cbranch_execz .LBB426_185
; %bb.180:                              ;   in Loop: Header=BB426_10 Depth=1
	v_bfe_u32 v62, v60, 16, 7
	v_mov_b32_e32 v8, 0x7f800001
	s_mov_b32 s20, exec_lo
	s_delay_alu instid0(VALU_DEP_2)
	v_cmpx_ne_u32_e32 0x7f, v62
	s_cbranch_execz .LBB426_184
; %bb.181:                              ;   in Loop: Header=BB426_10 Depth=1
	v_and_b32_e32 v8, 7, v59
	v_lshrrev_b32_e32 v61, 3, v62
	s_mov_b32 s21, exec_lo
	v_cmpx_gt_u32_e32 8, v62
; %bb.182:                              ;   in Loop: Header=BB426_10 Depth=1
	s_delay_alu instid0(VALU_DEP_3) | instskip(NEXT) | instid1(VALU_DEP_1)
	v_clz_i32_u32_e32 v61, v8
	v_min_u32_e32 v61, 32, v61
	s_delay_alu instid0(VALU_DEP_1) | instskip(SKIP_1) | instid1(VALU_DEP_2)
	v_subrev_nc_u32_e32 v62, 28, v61
	v_sub_nc_u32_e32 v61, 29, v61
	v_lshlrev_b64 v[62:63], v62, v[8:9]
	s_delay_alu instid0(VALU_DEP_1)
	v_and_b32_e32 v8, 7, v62
; %bb.183:                              ;   in Loop: Header=BB426_10 Depth=1
	s_or_b32 exec_lo, exec_lo, s21
	v_lshlrev_b32_e32 v59, 24, v59
	s_delay_alu instid0(VALU_DEP_2) | instskip(SKIP_1) | instid1(VALU_DEP_3)
	v_lshlrev_b32_e32 v8, 20, v8
	v_lshl_add_u32 v61, v61, 23, 0x3c000000
	v_and_b32_e32 v59, 0x80000000, v59
	s_delay_alu instid0(VALU_DEP_1)
	v_or3_b32 v8, v8, v59, v61
.LBB426_184:                            ;   in Loop: Header=BB426_10 Depth=1
	s_or_b32 exec_lo, exec_lo, s20
.LBB426_185:                            ;   in Loop: Header=BB426_10 Depth=1
	s_delay_alu instid0(SALU_CYCLE_1)
	s_or_b32 exec_lo, exec_lo, s19
.LBB426_186:                            ;   in Loop: Header=BB426_10 Depth=1
	s_delay_alu instid0(SALU_CYCLE_1) | instskip(NEXT) | instid1(VALU_DEP_1)
	s_or_b32 exec_lo, exec_lo, s3
	v_mul_f32_e32 v8, v181, v8
	s_delay_alu instid0(VALU_DEP_1) | instskip(NEXT) | instid1(VALU_DEP_1)
	v_and_b32_e32 v59, 0x7f800000, v8
	v_cmp_ne_u32_e64 s2, 0x7f800000, v59
                                        ; implicit-def: $vgpr59
	s_delay_alu instid0(VALU_DEP_1) | instskip(NEXT) | instid1(SALU_CYCLE_1)
	s_and_saveexec_b32 s3, s2
	s_xor_b32 s2, exec_lo, s3
; %bb.187:                              ;   in Loop: Header=BB426_10 Depth=1
	v_bfe_u32 v59, v8, 16, 1
	s_delay_alu instid0(VALU_DEP_1)
	v_add3_u32 v59, v8, v59, 0x7fff
                                        ; implicit-def: $vgpr8
; %bb.188:                              ;   in Loop: Header=BB426_10 Depth=1
	s_and_not1_saveexec_b32 s3, s2
; %bb.189:                              ;   in Loop: Header=BB426_10 Depth=1
	v_and_b32_e32 v59, 0xffff, v8
	v_or_b32_e32 v61, 0x10000, v8
	s_delay_alu instid0(VALU_DEP_2) | instskip(NEXT) | instid1(VALU_DEP_1)
	v_cmp_eq_u32_e64 s2, 0, v59
	v_cndmask_b32_e64 v59, v61, v8, s2
; %bb.190:                              ;   in Loop: Header=BB426_10 Depth=1
	s_or_b32 exec_lo, exec_lo, s3
	v_mov_b32_e32 v8, 0
	s_mov_b32 s3, exec_lo
	v_cmpx_lt_u32_e32 0xffffff, v60
	s_cbranch_execz .LBB426_198
; %bb.191:                              ;   in Loop: Header=BB426_10 Depth=1
	v_lshrrev_b32_e32 v61, 24, v60
	v_bfrev_b32_e32 v8, 1
	s_mov_b32 s19, exec_lo
	s_delay_alu instid0(VALU_DEP_2)
	v_cmpx_ne_u32_e32 0x80, v61
	s_cbranch_execz .LBB426_197
; %bb.192:                              ;   in Loop: Header=BB426_10 Depth=1
	v_bfe_u32 v62, v60, 24, 7
	v_mov_b32_e32 v8, 0x7f800001
	s_mov_b32 s20, exec_lo
	s_delay_alu instid0(VALU_DEP_2)
	v_cmpx_ne_u32_e32 0x7f, v62
	s_cbranch_execz .LBB426_196
; %bb.193:                              ;   in Loop: Header=BB426_10 Depth=1
	v_and_b32_e32 v8, 7, v61
	v_lshrrev_b32_e32 v60, 3, v62
	s_mov_b32 s21, exec_lo
	v_cmpx_gt_u32_e32 8, v62
; %bb.194:                              ;   in Loop: Header=BB426_10 Depth=1
	s_delay_alu instid0(VALU_DEP_3) | instskip(NEXT) | instid1(VALU_DEP_1)
	v_clz_i32_u32_e32 v60, v8
	v_min_u32_e32 v60, 32, v60
	s_delay_alu instid0(VALU_DEP_1) | instskip(SKIP_1) | instid1(VALU_DEP_2)
	v_subrev_nc_u32_e32 v62, 28, v60
	v_sub_nc_u32_e32 v60, 29, v60
	v_lshlrev_b64 v[62:63], v62, v[8:9]
	s_delay_alu instid0(VALU_DEP_1)
	v_and_b32_e32 v8, 7, v62
; %bb.195:                              ;   in Loop: Header=BB426_10 Depth=1
	s_or_b32 exec_lo, exec_lo, s21
	v_lshlrev_b32_e32 v61, 24, v61
	s_delay_alu instid0(VALU_DEP_2) | instskip(SKIP_1) | instid1(VALU_DEP_3)
	v_lshlrev_b32_e32 v8, 20, v8
	v_lshl_add_u32 v60, v60, 23, 0x3c000000
	v_and_b32_e32 v61, 0x80000000, v61
	s_delay_alu instid0(VALU_DEP_1)
	v_or3_b32 v8, v8, v61, v60
.LBB426_196:                            ;   in Loop: Header=BB426_10 Depth=1
	s_or_b32 exec_lo, exec_lo, s20
.LBB426_197:                            ;   in Loop: Header=BB426_10 Depth=1
	s_delay_alu instid0(SALU_CYCLE_1)
	s_or_b32 exec_lo, exec_lo, s19
.LBB426_198:                            ;   in Loop: Header=BB426_10 Depth=1
	s_delay_alu instid0(SALU_CYCLE_1) | instskip(NEXT) | instid1(VALU_DEP_1)
	s_or_b32 exec_lo, exec_lo, s3
	v_mul_f32_e32 v8, v181, v8
	s_delay_alu instid0(VALU_DEP_1) | instskip(NEXT) | instid1(VALU_DEP_1)
	v_and_b32_e32 v60, 0x7f800000, v8
	v_cmp_ne_u32_e64 s2, 0x7f800000, v60
                                        ; implicit-def: $vgpr60
	s_delay_alu instid0(VALU_DEP_1) | instskip(NEXT) | instid1(SALU_CYCLE_1)
	s_and_saveexec_b32 s3, s2
	s_xor_b32 s2, exec_lo, s3
; %bb.199:                              ;   in Loop: Header=BB426_10 Depth=1
	v_bfe_u32 v60, v8, 16, 1
	s_delay_alu instid0(VALU_DEP_1)
	v_add3_u32 v60, v8, v60, 0x7fff
                                        ; implicit-def: $vgpr8
; %bb.200:                              ;   in Loop: Header=BB426_10 Depth=1
	s_and_not1_saveexec_b32 s3, s2
; %bb.201:                              ;   in Loop: Header=BB426_10 Depth=1
	v_and_b32_e32 v60, 0xffff, v8
	v_or_b32_e32 v61, 0x10000, v8
	s_delay_alu instid0(VALU_DEP_2) | instskip(NEXT) | instid1(VALU_DEP_1)
	v_cmp_eq_u32_e64 s2, 0, v60
	v_cndmask_b32_e64 v60, v61, v8, s2
; %bb.202:                              ;   in Loop: Header=BB426_10 Depth=1
	s_or_b32 exec_lo, exec_lo, s3
	flat_load_b32 v72, v[28:29] offset:512
	s_mov_b32 s3, exec_lo
	s_waitcnt vmcnt(0) lgkmcnt(0)
	v_dual_mov_b32 v8, 0 :: v_dual_and_b32 v61, 0xff, v72
	s_delay_alu instid0(VALU_DEP_1)
	v_cmpx_ne_u16_e32 0, v61
	s_cbranch_execz .LBB426_210
; %bb.203:                              ;   in Loop: Header=BB426_10 Depth=1
	v_bfrev_b32_e32 v8, 1
	s_mov_b32 s19, exec_lo
	v_cmpx_ne_u16_e32 0x80, v61
	s_cbranch_execz .LBB426_209
; %bb.204:                              ;   in Loop: Header=BB426_10 Depth=1
	v_and_b32_e32 v62, 0x7f, v72
	v_mov_b32_e32 v8, 0x7f800001
	s_mov_b32 s20, exec_lo
	s_delay_alu instid0(VALU_DEP_2)
	v_cmpx_ne_u32_e32 0x7f, v62
	s_cbranch_execz .LBB426_208
; %bb.205:                              ;   in Loop: Header=BB426_10 Depth=1
	v_and_b32_e32 v8, 7, v72
	v_lshrrev_b32_e32 v61, 3, v62
	s_mov_b32 s21, exec_lo
	v_cmpx_gt_u32_e32 8, v62
; %bb.206:                              ;   in Loop: Header=BB426_10 Depth=1
	s_delay_alu instid0(VALU_DEP_3) | instskip(NEXT) | instid1(VALU_DEP_1)
	v_clz_i32_u32_e32 v61, v8
	v_min_u32_e32 v61, 32, v61
	s_delay_alu instid0(VALU_DEP_1) | instskip(SKIP_1) | instid1(VALU_DEP_2)
	v_subrev_nc_u32_e32 v62, 28, v61
	v_sub_nc_u32_e32 v61, 29, v61
	v_lshlrev_b64 v[62:63], v62, v[8:9]
	s_delay_alu instid0(VALU_DEP_1)
	v_and_b32_e32 v8, 7, v62
; %bb.207:                              ;   in Loop: Header=BB426_10 Depth=1
	s_or_b32 exec_lo, exec_lo, s21
	v_lshlrev_b32_e32 v62, 24, v72
	s_delay_alu instid0(VALU_DEP_2) | instskip(SKIP_1) | instid1(VALU_DEP_3)
	v_lshlrev_b32_e32 v8, 20, v8
	v_lshl_add_u32 v61, v61, 23, 0x3c000000
	v_and_b32_e32 v62, 0x80000000, v62
	s_delay_alu instid0(VALU_DEP_1)
	v_or3_b32 v8, v8, v62, v61
.LBB426_208:                            ;   in Loop: Header=BB426_10 Depth=1
	s_or_b32 exec_lo, exec_lo, s20
.LBB426_209:                            ;   in Loop: Header=BB426_10 Depth=1
	s_delay_alu instid0(SALU_CYCLE_1)
	s_or_b32 exec_lo, exec_lo, s19
.LBB426_210:                            ;   in Loop: Header=BB426_10 Depth=1
	s_delay_alu instid0(SALU_CYCLE_1) | instskip(NEXT) | instid1(VALU_DEP_1)
	s_or_b32 exec_lo, exec_lo, s3
	v_mul_f32_e32 v8, v181, v8
	s_delay_alu instid0(VALU_DEP_1) | instskip(NEXT) | instid1(VALU_DEP_1)
	v_and_b32_e32 v61, 0x7f800000, v8
	v_cmp_ne_u32_e64 s2, 0x7f800000, v61
                                        ; implicit-def: $vgpr61
	s_delay_alu instid0(VALU_DEP_1) | instskip(NEXT) | instid1(SALU_CYCLE_1)
	s_and_saveexec_b32 s3, s2
	s_xor_b32 s2, exec_lo, s3
; %bb.211:                              ;   in Loop: Header=BB426_10 Depth=1
	v_bfe_u32 v61, v8, 16, 1
	s_delay_alu instid0(VALU_DEP_1)
	v_add3_u32 v61, v8, v61, 0x7fff
                                        ; implicit-def: $vgpr8
; %bb.212:                              ;   in Loop: Header=BB426_10 Depth=1
	s_and_not1_saveexec_b32 s3, s2
; %bb.213:                              ;   in Loop: Header=BB426_10 Depth=1
	v_and_b32_e32 v61, 0xffff, v8
	v_or_b32_e32 v62, 0x10000, v8
	s_delay_alu instid0(VALU_DEP_2) | instskip(NEXT) | instid1(VALU_DEP_1)
	v_cmp_eq_u32_e64 s2, 0, v61
	v_cndmask_b32_e64 v61, v62, v8, s2
; %bb.214:                              ;   in Loop: Header=BB426_10 Depth=1
	s_or_b32 exec_lo, exec_lo, s3
	v_lshrrev_b16 v62, 8, v72
	v_mov_b32_e32 v8, 0
	s_mov_b32 s3, exec_lo
	s_delay_alu instid0(VALU_DEP_2)
	v_cmpx_ne_u16_e32 0, v62
	s_cbranch_execz .LBB426_222
; %bb.215:                              ;   in Loop: Header=BB426_10 Depth=1
	v_bfrev_b32_e32 v8, 1
	s_mov_b32 s19, exec_lo
	v_cmpx_ne_u16_e32 0x80, v62
	s_cbranch_execz .LBB426_221
; %bb.216:                              ;   in Loop: Header=BB426_10 Depth=1
	v_and_b32_e32 v62, 0xffff, v62
	v_mov_b32_e32 v8, 0x7f800001
	s_mov_b32 s20, exec_lo
	s_delay_alu instid0(VALU_DEP_2) | instskip(NEXT) | instid1(VALU_DEP_1)
	v_and_b32_e32 v63, 0x7f, v62
	v_cmpx_ne_u32_e32 0x7f, v63
	s_cbranch_execz .LBB426_220
; %bb.217:                              ;   in Loop: Header=BB426_10 Depth=1
	v_and_b32_e32 v8, 7, v62
	v_lshrrev_b32_e32 v62, 3, v63
	s_mov_b32 s21, exec_lo
	v_cmpx_gt_u32_e32 8, v63
; %bb.218:                              ;   in Loop: Header=BB426_10 Depth=1
	s_delay_alu instid0(VALU_DEP_3) | instskip(NEXT) | instid1(VALU_DEP_1)
	v_clz_i32_u32_e32 v62, v8
	v_min_u32_e32 v62, 32, v62
	s_delay_alu instid0(VALU_DEP_1) | instskip(SKIP_1) | instid1(VALU_DEP_2)
	v_subrev_nc_u32_e32 v63, 28, v62
	v_sub_nc_u32_e32 v62, 29, v62
	v_lshlrev_b64 v[73:74], v63, v[8:9]
	s_delay_alu instid0(VALU_DEP_1)
	v_and_b32_e32 v8, 7, v73
; %bb.219:                              ;   in Loop: Header=BB426_10 Depth=1
	s_or_b32 exec_lo, exec_lo, s21
	v_lshlrev_b32_e32 v63, 16, v72
	s_delay_alu instid0(VALU_DEP_2) | instskip(SKIP_1) | instid1(VALU_DEP_3)
	v_lshlrev_b32_e32 v8, 20, v8
	v_lshl_add_u32 v62, v62, 23, 0x3c000000
	v_and_b32_e32 v63, 0x80000000, v63
	s_delay_alu instid0(VALU_DEP_1)
	v_or3_b32 v8, v8, v63, v62
.LBB426_220:                            ;   in Loop: Header=BB426_10 Depth=1
	s_or_b32 exec_lo, exec_lo, s20
.LBB426_221:                            ;   in Loop: Header=BB426_10 Depth=1
	s_delay_alu instid0(SALU_CYCLE_1)
	s_or_b32 exec_lo, exec_lo, s19
.LBB426_222:                            ;   in Loop: Header=BB426_10 Depth=1
	s_delay_alu instid0(SALU_CYCLE_1) | instskip(NEXT) | instid1(VALU_DEP_1)
	s_or_b32 exec_lo, exec_lo, s3
	v_mul_f32_e32 v8, v181, v8
	s_delay_alu instid0(VALU_DEP_1) | instskip(NEXT) | instid1(VALU_DEP_1)
	v_and_b32_e32 v62, 0x7f800000, v8
	v_cmp_ne_u32_e64 s2, 0x7f800000, v62
                                        ; implicit-def: $vgpr62
	s_delay_alu instid0(VALU_DEP_1) | instskip(NEXT) | instid1(SALU_CYCLE_1)
	s_and_saveexec_b32 s3, s2
	s_xor_b32 s2, exec_lo, s3
; %bb.223:                              ;   in Loop: Header=BB426_10 Depth=1
	v_bfe_u32 v62, v8, 16, 1
	s_delay_alu instid0(VALU_DEP_1)
	v_add3_u32 v62, v8, v62, 0x7fff
                                        ; implicit-def: $vgpr8
; %bb.224:                              ;   in Loop: Header=BB426_10 Depth=1
	s_and_not1_saveexec_b32 s3, s2
; %bb.225:                              ;   in Loop: Header=BB426_10 Depth=1
	v_and_b32_e32 v62, 0xffff, v8
	v_or_b32_e32 v63, 0x10000, v8
	s_delay_alu instid0(VALU_DEP_2) | instskip(NEXT) | instid1(VALU_DEP_1)
	v_cmp_eq_u32_e64 s2, 0, v62
	v_cndmask_b32_e64 v62, v63, v8, s2
; %bb.226:                              ;   in Loop: Header=BB426_10 Depth=1
	s_or_b32 exec_lo, exec_lo, s3
	v_lshrrev_b32_e32 v63, 16, v72
	s_mov_b32 s3, exec_lo
	s_delay_alu instid0(VALU_DEP_1) | instskip(NEXT) | instid1(VALU_DEP_1)
	v_dual_mov_b32 v8, 0 :: v_dual_and_b32 v73, 0xff, v63
	v_cmpx_ne_u16_e32 0, v73
	s_cbranch_execz .LBB426_234
; %bb.227:                              ;   in Loop: Header=BB426_10 Depth=1
	v_bfrev_b32_e32 v8, 1
	s_mov_b32 s19, exec_lo
	v_cmpx_ne_u16_e32 0x80, v73
	s_cbranch_execz .LBB426_233
; %bb.228:                              ;   in Loop: Header=BB426_10 Depth=1
	v_bfe_u32 v74, v72, 16, 7
	v_mov_b32_e32 v8, 0x7f800001
	s_mov_b32 s20, exec_lo
	s_delay_alu instid0(VALU_DEP_2)
	v_cmpx_ne_u32_e32 0x7f, v74
	s_cbranch_execz .LBB426_232
; %bb.229:                              ;   in Loop: Header=BB426_10 Depth=1
	v_and_b32_e32 v8, 7, v63
	v_lshrrev_b32_e32 v73, 3, v74
	s_mov_b32 s21, exec_lo
	v_cmpx_gt_u32_e32 8, v74
; %bb.230:                              ;   in Loop: Header=BB426_10 Depth=1
	s_delay_alu instid0(VALU_DEP_3) | instskip(NEXT) | instid1(VALU_DEP_1)
	v_clz_i32_u32_e32 v73, v8
	v_min_u32_e32 v73, 32, v73
	s_delay_alu instid0(VALU_DEP_1) | instskip(SKIP_1) | instid1(VALU_DEP_2)
	v_subrev_nc_u32_e32 v74, 28, v73
	v_sub_nc_u32_e32 v73, 29, v73
	v_lshlrev_b64 v[74:75], v74, v[8:9]
	s_delay_alu instid0(VALU_DEP_1)
	v_and_b32_e32 v8, 7, v74
; %bb.231:                              ;   in Loop: Header=BB426_10 Depth=1
	s_or_b32 exec_lo, exec_lo, s21
	v_lshlrev_b32_e32 v63, 24, v63
	s_delay_alu instid0(VALU_DEP_2) | instskip(SKIP_1) | instid1(VALU_DEP_3)
	v_lshlrev_b32_e32 v8, 20, v8
	v_lshl_add_u32 v73, v73, 23, 0x3c000000
	v_and_b32_e32 v63, 0x80000000, v63
	s_delay_alu instid0(VALU_DEP_1)
	v_or3_b32 v8, v8, v63, v73
.LBB426_232:                            ;   in Loop: Header=BB426_10 Depth=1
	s_or_b32 exec_lo, exec_lo, s20
.LBB426_233:                            ;   in Loop: Header=BB426_10 Depth=1
	s_delay_alu instid0(SALU_CYCLE_1)
	s_or_b32 exec_lo, exec_lo, s19
.LBB426_234:                            ;   in Loop: Header=BB426_10 Depth=1
	s_delay_alu instid0(SALU_CYCLE_1) | instskip(NEXT) | instid1(VALU_DEP_1)
	s_or_b32 exec_lo, exec_lo, s3
	v_mul_f32_e32 v8, v181, v8
	s_delay_alu instid0(VALU_DEP_1) | instskip(NEXT) | instid1(VALU_DEP_1)
	v_and_b32_e32 v63, 0x7f800000, v8
	v_cmp_ne_u32_e64 s2, 0x7f800000, v63
                                        ; implicit-def: $vgpr63
	s_delay_alu instid0(VALU_DEP_1) | instskip(NEXT) | instid1(SALU_CYCLE_1)
	s_and_saveexec_b32 s3, s2
	s_xor_b32 s2, exec_lo, s3
; %bb.235:                              ;   in Loop: Header=BB426_10 Depth=1
	v_bfe_u32 v63, v8, 16, 1
	s_delay_alu instid0(VALU_DEP_1)
	v_add3_u32 v63, v8, v63, 0x7fff
                                        ; implicit-def: $vgpr8
; %bb.236:                              ;   in Loop: Header=BB426_10 Depth=1
	s_and_not1_saveexec_b32 s3, s2
; %bb.237:                              ;   in Loop: Header=BB426_10 Depth=1
	v_and_b32_e32 v63, 0xffff, v8
	v_or_b32_e32 v73, 0x10000, v8
	s_delay_alu instid0(VALU_DEP_2) | instskip(NEXT) | instid1(VALU_DEP_1)
	v_cmp_eq_u32_e64 s2, 0, v63
	v_cndmask_b32_e64 v63, v73, v8, s2
; %bb.238:                              ;   in Loop: Header=BB426_10 Depth=1
	s_or_b32 exec_lo, exec_lo, s3
	v_mov_b32_e32 v8, 0
	s_mov_b32 s3, exec_lo
	v_cmpx_lt_u32_e32 0xffffff, v72
	s_cbranch_execz .LBB426_246
; %bb.239:                              ;   in Loop: Header=BB426_10 Depth=1
	v_lshrrev_b32_e32 v73, 24, v72
	v_bfrev_b32_e32 v8, 1
	s_mov_b32 s19, exec_lo
	s_delay_alu instid0(VALU_DEP_2)
	v_cmpx_ne_u32_e32 0x80, v73
	s_cbranch_execz .LBB426_245
; %bb.240:                              ;   in Loop: Header=BB426_10 Depth=1
	v_bfe_u32 v74, v72, 24, 7
	v_mov_b32_e32 v8, 0x7f800001
	s_mov_b32 s20, exec_lo
	s_delay_alu instid0(VALU_DEP_2)
	v_cmpx_ne_u32_e32 0x7f, v74
	s_cbranch_execz .LBB426_244
; %bb.241:                              ;   in Loop: Header=BB426_10 Depth=1
	v_and_b32_e32 v8, 7, v73
	v_lshrrev_b32_e32 v72, 3, v74
	s_mov_b32 s21, exec_lo
	v_cmpx_gt_u32_e32 8, v74
; %bb.242:                              ;   in Loop: Header=BB426_10 Depth=1
	s_delay_alu instid0(VALU_DEP_3) | instskip(NEXT) | instid1(VALU_DEP_1)
	v_clz_i32_u32_e32 v72, v8
	v_min_u32_e32 v72, 32, v72
	s_delay_alu instid0(VALU_DEP_1) | instskip(SKIP_1) | instid1(VALU_DEP_2)
	v_subrev_nc_u32_e32 v74, 28, v72
	v_sub_nc_u32_e32 v72, 29, v72
	v_lshlrev_b64 v[74:75], v74, v[8:9]
	s_delay_alu instid0(VALU_DEP_1)
	v_and_b32_e32 v8, 7, v74
; %bb.243:                              ;   in Loop: Header=BB426_10 Depth=1
	s_or_b32 exec_lo, exec_lo, s21
	v_lshlrev_b32_e32 v73, 24, v73
	s_delay_alu instid0(VALU_DEP_2) | instskip(SKIP_1) | instid1(VALU_DEP_3)
	v_lshlrev_b32_e32 v8, 20, v8
	v_lshl_add_u32 v72, v72, 23, 0x3c000000
	v_and_b32_e32 v73, 0x80000000, v73
	s_delay_alu instid0(VALU_DEP_1)
	v_or3_b32 v8, v8, v73, v72
.LBB426_244:                            ;   in Loop: Header=BB426_10 Depth=1
	s_or_b32 exec_lo, exec_lo, s20
.LBB426_245:                            ;   in Loop: Header=BB426_10 Depth=1
	s_delay_alu instid0(SALU_CYCLE_1)
	s_or_b32 exec_lo, exec_lo, s19
.LBB426_246:                            ;   in Loop: Header=BB426_10 Depth=1
	s_delay_alu instid0(SALU_CYCLE_1) | instskip(NEXT) | instid1(VALU_DEP_1)
	s_or_b32 exec_lo, exec_lo, s3
	v_mul_f32_e32 v8, v181, v8
	s_delay_alu instid0(VALU_DEP_1) | instskip(NEXT) | instid1(VALU_DEP_1)
	v_and_b32_e32 v72, 0x7f800000, v8
	v_cmp_ne_u32_e64 s2, 0x7f800000, v72
                                        ; implicit-def: $vgpr72
	s_delay_alu instid0(VALU_DEP_1) | instskip(NEXT) | instid1(SALU_CYCLE_1)
	s_and_saveexec_b32 s3, s2
	s_xor_b32 s2, exec_lo, s3
; %bb.247:                              ;   in Loop: Header=BB426_10 Depth=1
	v_bfe_u32 v72, v8, 16, 1
	s_delay_alu instid0(VALU_DEP_1)
	v_add3_u32 v72, v8, v72, 0x7fff
                                        ; implicit-def: $vgpr8
; %bb.248:                              ;   in Loop: Header=BB426_10 Depth=1
	s_and_not1_saveexec_b32 s3, s2
; %bb.249:                              ;   in Loop: Header=BB426_10 Depth=1
	v_and_b32_e32 v72, 0xffff, v8
	v_or_b32_e32 v73, 0x10000, v8
	s_delay_alu instid0(VALU_DEP_2) | instskip(NEXT) | instid1(VALU_DEP_1)
	v_cmp_eq_u32_e64 s2, 0, v72
	v_cndmask_b32_e64 v72, v73, v8, s2
; %bb.250:                              ;   in Loop: Header=BB426_10 Depth=1
	s_or_b32 exec_lo, exec_lo, s3
	flat_load_b32 v76, v[28:29] offset:520
	s_mov_b32 s3, exec_lo
	s_waitcnt vmcnt(0) lgkmcnt(0)
	v_dual_mov_b32 v8, 0 :: v_dual_and_b32 v73, 0xff, v76
	s_delay_alu instid0(VALU_DEP_1)
	v_cmpx_ne_u16_e32 0, v73
	s_cbranch_execz .LBB426_258
; %bb.251:                              ;   in Loop: Header=BB426_10 Depth=1
	v_bfrev_b32_e32 v8, 1
	s_mov_b32 s19, exec_lo
	v_cmpx_ne_u16_e32 0x80, v73
	s_cbranch_execz .LBB426_257
; %bb.252:                              ;   in Loop: Header=BB426_10 Depth=1
	v_and_b32_e32 v74, 0x7f, v76
	v_mov_b32_e32 v8, 0x7f800001
	s_mov_b32 s20, exec_lo
	s_delay_alu instid0(VALU_DEP_2)
	v_cmpx_ne_u32_e32 0x7f, v74
	s_cbranch_execz .LBB426_256
; %bb.253:                              ;   in Loop: Header=BB426_10 Depth=1
	v_and_b32_e32 v8, 7, v76
	v_lshrrev_b32_e32 v73, 3, v74
	s_mov_b32 s21, exec_lo
	v_cmpx_gt_u32_e32 8, v74
; %bb.254:                              ;   in Loop: Header=BB426_10 Depth=1
	s_delay_alu instid0(VALU_DEP_3) | instskip(NEXT) | instid1(VALU_DEP_1)
	v_clz_i32_u32_e32 v73, v8
	v_min_u32_e32 v73, 32, v73
	s_delay_alu instid0(VALU_DEP_1) | instskip(SKIP_1) | instid1(VALU_DEP_2)
	v_subrev_nc_u32_e32 v74, 28, v73
	v_sub_nc_u32_e32 v73, 29, v73
	v_lshlrev_b64 v[74:75], v74, v[8:9]
	s_delay_alu instid0(VALU_DEP_1)
	v_and_b32_e32 v8, 7, v74
; %bb.255:                              ;   in Loop: Header=BB426_10 Depth=1
	s_or_b32 exec_lo, exec_lo, s21
	v_lshlrev_b32_e32 v74, 24, v76
	s_delay_alu instid0(VALU_DEP_2) | instskip(SKIP_1) | instid1(VALU_DEP_3)
	v_lshlrev_b32_e32 v8, 20, v8
	v_lshl_add_u32 v73, v73, 23, 0x3c000000
	v_and_b32_e32 v74, 0x80000000, v74
	s_delay_alu instid0(VALU_DEP_1)
	v_or3_b32 v8, v8, v74, v73
.LBB426_256:                            ;   in Loop: Header=BB426_10 Depth=1
	s_or_b32 exec_lo, exec_lo, s20
.LBB426_257:                            ;   in Loop: Header=BB426_10 Depth=1
	s_delay_alu instid0(SALU_CYCLE_1)
	s_or_b32 exec_lo, exec_lo, s19
.LBB426_258:                            ;   in Loop: Header=BB426_10 Depth=1
	s_delay_alu instid0(SALU_CYCLE_1) | instskip(NEXT) | instid1(VALU_DEP_1)
	s_or_b32 exec_lo, exec_lo, s3
	v_mul_f32_e32 v8, v181, v8
	s_delay_alu instid0(VALU_DEP_1) | instskip(NEXT) | instid1(VALU_DEP_1)
	v_and_b32_e32 v73, 0x7f800000, v8
	v_cmp_ne_u32_e64 s2, 0x7f800000, v73
                                        ; implicit-def: $vgpr73
	s_delay_alu instid0(VALU_DEP_1) | instskip(NEXT) | instid1(SALU_CYCLE_1)
	s_and_saveexec_b32 s3, s2
	s_xor_b32 s2, exec_lo, s3
; %bb.259:                              ;   in Loop: Header=BB426_10 Depth=1
	v_bfe_u32 v73, v8, 16, 1
	s_delay_alu instid0(VALU_DEP_1)
	v_add3_u32 v73, v8, v73, 0x7fff
                                        ; implicit-def: $vgpr8
; %bb.260:                              ;   in Loop: Header=BB426_10 Depth=1
	s_and_not1_saveexec_b32 s3, s2
; %bb.261:                              ;   in Loop: Header=BB426_10 Depth=1
	v_and_b32_e32 v73, 0xffff, v8
	v_or_b32_e32 v74, 0x10000, v8
	s_delay_alu instid0(VALU_DEP_2) | instskip(NEXT) | instid1(VALU_DEP_1)
	v_cmp_eq_u32_e64 s2, 0, v73
	v_cndmask_b32_e64 v73, v74, v8, s2
; %bb.262:                              ;   in Loop: Header=BB426_10 Depth=1
	s_or_b32 exec_lo, exec_lo, s3
	v_lshrrev_b16 v74, 8, v76
	v_mov_b32_e32 v8, 0
	s_mov_b32 s3, exec_lo
	s_delay_alu instid0(VALU_DEP_2)
	v_cmpx_ne_u16_e32 0, v74
	s_cbranch_execz .LBB426_270
; %bb.263:                              ;   in Loop: Header=BB426_10 Depth=1
	v_bfrev_b32_e32 v8, 1
	s_mov_b32 s19, exec_lo
	v_cmpx_ne_u16_e32 0x80, v74
	s_cbranch_execz .LBB426_269
; %bb.264:                              ;   in Loop: Header=BB426_10 Depth=1
	v_and_b32_e32 v74, 0xffff, v74
	v_mov_b32_e32 v8, 0x7f800001
	s_mov_b32 s20, exec_lo
	s_delay_alu instid0(VALU_DEP_2) | instskip(NEXT) | instid1(VALU_DEP_1)
	v_and_b32_e32 v75, 0x7f, v74
	v_cmpx_ne_u32_e32 0x7f, v75
	s_cbranch_execz .LBB426_268
; %bb.265:                              ;   in Loop: Header=BB426_10 Depth=1
	v_and_b32_e32 v8, 7, v74
	v_lshrrev_b32_e32 v74, 3, v75
	s_mov_b32 s21, exec_lo
	v_cmpx_gt_u32_e32 8, v75
; %bb.266:                              ;   in Loop: Header=BB426_10 Depth=1
	s_delay_alu instid0(VALU_DEP_3) | instskip(NEXT) | instid1(VALU_DEP_1)
	v_clz_i32_u32_e32 v74, v8
	v_min_u32_e32 v74, 32, v74
	s_delay_alu instid0(VALU_DEP_1) | instskip(SKIP_1) | instid1(VALU_DEP_2)
	v_subrev_nc_u32_e32 v75, 28, v74
	v_sub_nc_u32_e32 v74, 29, v74
	v_lshlrev_b64 v[77:78], v75, v[8:9]
	s_delay_alu instid0(VALU_DEP_1)
	v_and_b32_e32 v8, 7, v77
; %bb.267:                              ;   in Loop: Header=BB426_10 Depth=1
	s_or_b32 exec_lo, exec_lo, s21
	v_lshlrev_b32_e32 v75, 16, v76
	s_delay_alu instid0(VALU_DEP_2) | instskip(SKIP_1) | instid1(VALU_DEP_3)
	v_lshlrev_b32_e32 v8, 20, v8
	v_lshl_add_u32 v74, v74, 23, 0x3c000000
	v_and_b32_e32 v75, 0x80000000, v75
	s_delay_alu instid0(VALU_DEP_1)
	v_or3_b32 v8, v8, v75, v74
.LBB426_268:                            ;   in Loop: Header=BB426_10 Depth=1
	s_or_b32 exec_lo, exec_lo, s20
.LBB426_269:                            ;   in Loop: Header=BB426_10 Depth=1
	s_delay_alu instid0(SALU_CYCLE_1)
	s_or_b32 exec_lo, exec_lo, s19
.LBB426_270:                            ;   in Loop: Header=BB426_10 Depth=1
	s_delay_alu instid0(SALU_CYCLE_1) | instskip(NEXT) | instid1(VALU_DEP_1)
	s_or_b32 exec_lo, exec_lo, s3
	v_mul_f32_e32 v8, v181, v8
	s_delay_alu instid0(VALU_DEP_1) | instskip(NEXT) | instid1(VALU_DEP_1)
	v_and_b32_e32 v74, 0x7f800000, v8
	v_cmp_ne_u32_e64 s2, 0x7f800000, v74
                                        ; implicit-def: $vgpr74
	s_delay_alu instid0(VALU_DEP_1) | instskip(NEXT) | instid1(SALU_CYCLE_1)
	s_and_saveexec_b32 s3, s2
	s_xor_b32 s2, exec_lo, s3
; %bb.271:                              ;   in Loop: Header=BB426_10 Depth=1
	v_bfe_u32 v74, v8, 16, 1
	s_delay_alu instid0(VALU_DEP_1)
	v_add3_u32 v74, v8, v74, 0x7fff
                                        ; implicit-def: $vgpr8
; %bb.272:                              ;   in Loop: Header=BB426_10 Depth=1
	s_and_not1_saveexec_b32 s3, s2
; %bb.273:                              ;   in Loop: Header=BB426_10 Depth=1
	v_and_b32_e32 v74, 0xffff, v8
	v_or_b32_e32 v75, 0x10000, v8
	s_delay_alu instid0(VALU_DEP_2) | instskip(NEXT) | instid1(VALU_DEP_1)
	v_cmp_eq_u32_e64 s2, 0, v74
	v_cndmask_b32_e64 v74, v75, v8, s2
; %bb.274:                              ;   in Loop: Header=BB426_10 Depth=1
	s_or_b32 exec_lo, exec_lo, s3
	v_lshrrev_b32_e32 v75, 16, v76
	s_mov_b32 s3, exec_lo
	s_delay_alu instid0(VALU_DEP_1) | instskip(NEXT) | instid1(VALU_DEP_1)
	v_dual_mov_b32 v8, 0 :: v_dual_and_b32 v77, 0xff, v75
	v_cmpx_ne_u16_e32 0, v77
	s_cbranch_execz .LBB426_282
; %bb.275:                              ;   in Loop: Header=BB426_10 Depth=1
	v_bfrev_b32_e32 v8, 1
	s_mov_b32 s19, exec_lo
	v_cmpx_ne_u16_e32 0x80, v77
	s_cbranch_execz .LBB426_281
; %bb.276:                              ;   in Loop: Header=BB426_10 Depth=1
	v_bfe_u32 v78, v76, 16, 7
	v_mov_b32_e32 v8, 0x7f800001
	s_mov_b32 s20, exec_lo
	s_delay_alu instid0(VALU_DEP_2)
	v_cmpx_ne_u32_e32 0x7f, v78
	s_cbranch_execz .LBB426_280
; %bb.277:                              ;   in Loop: Header=BB426_10 Depth=1
	v_and_b32_e32 v8, 7, v75
	v_lshrrev_b32_e32 v77, 3, v78
	s_mov_b32 s21, exec_lo
	v_cmpx_gt_u32_e32 8, v78
; %bb.278:                              ;   in Loop: Header=BB426_10 Depth=1
	s_delay_alu instid0(VALU_DEP_3) | instskip(NEXT) | instid1(VALU_DEP_1)
	v_clz_i32_u32_e32 v77, v8
	v_min_u32_e32 v77, 32, v77
	s_delay_alu instid0(VALU_DEP_1) | instskip(SKIP_1) | instid1(VALU_DEP_2)
	v_subrev_nc_u32_e32 v78, 28, v77
	v_sub_nc_u32_e32 v77, 29, v77
	v_lshlrev_b64 v[78:79], v78, v[8:9]
	s_delay_alu instid0(VALU_DEP_1)
	v_and_b32_e32 v8, 7, v78
; %bb.279:                              ;   in Loop: Header=BB426_10 Depth=1
	s_or_b32 exec_lo, exec_lo, s21
	v_lshlrev_b32_e32 v75, 24, v75
	s_delay_alu instid0(VALU_DEP_2) | instskip(SKIP_1) | instid1(VALU_DEP_3)
	v_lshlrev_b32_e32 v8, 20, v8
	v_lshl_add_u32 v77, v77, 23, 0x3c000000
	v_and_b32_e32 v75, 0x80000000, v75
	s_delay_alu instid0(VALU_DEP_1)
	v_or3_b32 v8, v8, v75, v77
.LBB426_280:                            ;   in Loop: Header=BB426_10 Depth=1
	s_or_b32 exec_lo, exec_lo, s20
.LBB426_281:                            ;   in Loop: Header=BB426_10 Depth=1
	s_delay_alu instid0(SALU_CYCLE_1)
	s_or_b32 exec_lo, exec_lo, s19
.LBB426_282:                            ;   in Loop: Header=BB426_10 Depth=1
	s_delay_alu instid0(SALU_CYCLE_1) | instskip(NEXT) | instid1(VALU_DEP_1)
	s_or_b32 exec_lo, exec_lo, s3
	v_mul_f32_e32 v8, v181, v8
	s_delay_alu instid0(VALU_DEP_1) | instskip(NEXT) | instid1(VALU_DEP_1)
	v_and_b32_e32 v75, 0x7f800000, v8
	v_cmp_ne_u32_e64 s2, 0x7f800000, v75
                                        ; implicit-def: $vgpr75
	s_delay_alu instid0(VALU_DEP_1) | instskip(NEXT) | instid1(SALU_CYCLE_1)
	s_and_saveexec_b32 s3, s2
	s_xor_b32 s2, exec_lo, s3
; %bb.283:                              ;   in Loop: Header=BB426_10 Depth=1
	v_bfe_u32 v75, v8, 16, 1
	s_delay_alu instid0(VALU_DEP_1)
	v_add3_u32 v75, v8, v75, 0x7fff
                                        ; implicit-def: $vgpr8
; %bb.284:                              ;   in Loop: Header=BB426_10 Depth=1
	s_and_not1_saveexec_b32 s3, s2
; %bb.285:                              ;   in Loop: Header=BB426_10 Depth=1
	v_and_b32_e32 v75, 0xffff, v8
	v_or_b32_e32 v77, 0x10000, v8
	s_delay_alu instid0(VALU_DEP_2) | instskip(NEXT) | instid1(VALU_DEP_1)
	v_cmp_eq_u32_e64 s2, 0, v75
	v_cndmask_b32_e64 v75, v77, v8, s2
; %bb.286:                              ;   in Loop: Header=BB426_10 Depth=1
	s_or_b32 exec_lo, exec_lo, s3
	v_mov_b32_e32 v8, 0
	s_mov_b32 s3, exec_lo
	v_cmpx_lt_u32_e32 0xffffff, v76
	s_cbranch_execz .LBB426_294
; %bb.287:                              ;   in Loop: Header=BB426_10 Depth=1
	v_lshrrev_b32_e32 v77, 24, v76
	v_bfrev_b32_e32 v8, 1
	s_mov_b32 s19, exec_lo
	s_delay_alu instid0(VALU_DEP_2)
	v_cmpx_ne_u32_e32 0x80, v77
	s_cbranch_execz .LBB426_293
; %bb.288:                              ;   in Loop: Header=BB426_10 Depth=1
	v_bfe_u32 v78, v76, 24, 7
	v_mov_b32_e32 v8, 0x7f800001
	s_mov_b32 s20, exec_lo
	s_delay_alu instid0(VALU_DEP_2)
	v_cmpx_ne_u32_e32 0x7f, v78
	s_cbranch_execz .LBB426_292
; %bb.289:                              ;   in Loop: Header=BB426_10 Depth=1
	v_and_b32_e32 v8, 7, v77
	v_lshrrev_b32_e32 v76, 3, v78
	s_mov_b32 s21, exec_lo
	v_cmpx_gt_u32_e32 8, v78
; %bb.290:                              ;   in Loop: Header=BB426_10 Depth=1
	s_delay_alu instid0(VALU_DEP_3) | instskip(NEXT) | instid1(VALU_DEP_1)
	v_clz_i32_u32_e32 v76, v8
	v_min_u32_e32 v76, 32, v76
	s_delay_alu instid0(VALU_DEP_1) | instskip(SKIP_1) | instid1(VALU_DEP_2)
	v_subrev_nc_u32_e32 v78, 28, v76
	v_sub_nc_u32_e32 v76, 29, v76
	v_lshlrev_b64 v[78:79], v78, v[8:9]
	s_delay_alu instid0(VALU_DEP_1)
	v_and_b32_e32 v8, 7, v78
; %bb.291:                              ;   in Loop: Header=BB426_10 Depth=1
	s_or_b32 exec_lo, exec_lo, s21
	v_lshlrev_b32_e32 v77, 24, v77
	s_delay_alu instid0(VALU_DEP_2) | instskip(SKIP_1) | instid1(VALU_DEP_3)
	v_lshlrev_b32_e32 v8, 20, v8
	v_lshl_add_u32 v76, v76, 23, 0x3c000000
	v_and_b32_e32 v77, 0x80000000, v77
	s_delay_alu instid0(VALU_DEP_1)
	v_or3_b32 v8, v8, v77, v76
.LBB426_292:                            ;   in Loop: Header=BB426_10 Depth=1
	s_or_b32 exec_lo, exec_lo, s20
.LBB426_293:                            ;   in Loop: Header=BB426_10 Depth=1
	s_delay_alu instid0(SALU_CYCLE_1)
	s_or_b32 exec_lo, exec_lo, s19
.LBB426_294:                            ;   in Loop: Header=BB426_10 Depth=1
	s_delay_alu instid0(SALU_CYCLE_1) | instskip(NEXT) | instid1(VALU_DEP_1)
	s_or_b32 exec_lo, exec_lo, s3
	v_mul_f32_e32 v8, v181, v8
	s_delay_alu instid0(VALU_DEP_1) | instskip(NEXT) | instid1(VALU_DEP_1)
	v_and_b32_e32 v76, 0x7f800000, v8
	v_cmp_ne_u32_e64 s2, 0x7f800000, v76
                                        ; implicit-def: $vgpr76
	s_delay_alu instid0(VALU_DEP_1) | instskip(NEXT) | instid1(SALU_CYCLE_1)
	s_and_saveexec_b32 s3, s2
	s_xor_b32 s2, exec_lo, s3
; %bb.295:                              ;   in Loop: Header=BB426_10 Depth=1
	v_bfe_u32 v76, v8, 16, 1
	s_delay_alu instid0(VALU_DEP_1)
	v_add3_u32 v76, v8, v76, 0x7fff
                                        ; implicit-def: $vgpr8
; %bb.296:                              ;   in Loop: Header=BB426_10 Depth=1
	s_and_not1_saveexec_b32 s3, s2
; %bb.297:                              ;   in Loop: Header=BB426_10 Depth=1
	v_and_b32_e32 v76, 0xffff, v8
	v_or_b32_e32 v77, 0x10000, v8
	s_delay_alu instid0(VALU_DEP_2) | instskip(NEXT) | instid1(VALU_DEP_1)
	v_cmp_eq_u32_e64 s2, 0, v76
	v_cndmask_b32_e64 v76, v77, v8, s2
; %bb.298:                              ;   in Loop: Header=BB426_10 Depth=1
	s_or_b32 exec_lo, exec_lo, s3
	flat_load_b32 v88, v[28:29] offset:768
	s_mov_b32 s3, exec_lo
	s_waitcnt vmcnt(0) lgkmcnt(0)
	v_dual_mov_b32 v8, 0 :: v_dual_and_b32 v77, 0xff, v88
	s_delay_alu instid0(VALU_DEP_1)
	v_cmpx_ne_u16_e32 0, v77
	s_cbranch_execz .LBB426_306
; %bb.299:                              ;   in Loop: Header=BB426_10 Depth=1
	v_bfrev_b32_e32 v8, 1
	s_mov_b32 s19, exec_lo
	v_cmpx_ne_u16_e32 0x80, v77
	s_cbranch_execz .LBB426_305
; %bb.300:                              ;   in Loop: Header=BB426_10 Depth=1
	v_and_b32_e32 v78, 0x7f, v88
	v_mov_b32_e32 v8, 0x7f800001
	s_mov_b32 s20, exec_lo
	s_delay_alu instid0(VALU_DEP_2)
	v_cmpx_ne_u32_e32 0x7f, v78
	s_cbranch_execz .LBB426_304
; %bb.301:                              ;   in Loop: Header=BB426_10 Depth=1
	v_and_b32_e32 v8, 7, v88
	v_lshrrev_b32_e32 v77, 3, v78
	s_mov_b32 s21, exec_lo
	v_cmpx_gt_u32_e32 8, v78
; %bb.302:                              ;   in Loop: Header=BB426_10 Depth=1
	s_delay_alu instid0(VALU_DEP_3) | instskip(NEXT) | instid1(VALU_DEP_1)
	v_clz_i32_u32_e32 v77, v8
	v_min_u32_e32 v77, 32, v77
	s_delay_alu instid0(VALU_DEP_1) | instskip(SKIP_1) | instid1(VALU_DEP_2)
	v_subrev_nc_u32_e32 v78, 28, v77
	v_sub_nc_u32_e32 v77, 29, v77
	v_lshlrev_b64 v[78:79], v78, v[8:9]
	s_delay_alu instid0(VALU_DEP_1)
	v_and_b32_e32 v8, 7, v78
; %bb.303:                              ;   in Loop: Header=BB426_10 Depth=1
	s_or_b32 exec_lo, exec_lo, s21
	v_lshlrev_b32_e32 v78, 24, v88
	s_delay_alu instid0(VALU_DEP_2) | instskip(SKIP_1) | instid1(VALU_DEP_3)
	v_lshlrev_b32_e32 v8, 20, v8
	v_lshl_add_u32 v77, v77, 23, 0x3c000000
	v_and_b32_e32 v78, 0x80000000, v78
	s_delay_alu instid0(VALU_DEP_1)
	v_or3_b32 v8, v8, v78, v77
.LBB426_304:                            ;   in Loop: Header=BB426_10 Depth=1
	s_or_b32 exec_lo, exec_lo, s20
.LBB426_305:                            ;   in Loop: Header=BB426_10 Depth=1
	s_delay_alu instid0(SALU_CYCLE_1)
	s_or_b32 exec_lo, exec_lo, s19
.LBB426_306:                            ;   in Loop: Header=BB426_10 Depth=1
	s_delay_alu instid0(SALU_CYCLE_1) | instskip(NEXT) | instid1(VALU_DEP_1)
	s_or_b32 exec_lo, exec_lo, s3
	v_mul_f32_e32 v8, v181, v8
	s_delay_alu instid0(VALU_DEP_1) | instskip(NEXT) | instid1(VALU_DEP_1)
	v_and_b32_e32 v77, 0x7f800000, v8
	v_cmp_ne_u32_e64 s2, 0x7f800000, v77
                                        ; implicit-def: $vgpr77
	s_delay_alu instid0(VALU_DEP_1) | instskip(NEXT) | instid1(SALU_CYCLE_1)
	s_and_saveexec_b32 s3, s2
	s_xor_b32 s2, exec_lo, s3
; %bb.307:                              ;   in Loop: Header=BB426_10 Depth=1
	v_bfe_u32 v77, v8, 16, 1
	s_delay_alu instid0(VALU_DEP_1)
	v_add3_u32 v77, v8, v77, 0x7fff
                                        ; implicit-def: $vgpr8
; %bb.308:                              ;   in Loop: Header=BB426_10 Depth=1
	s_and_not1_saveexec_b32 s3, s2
; %bb.309:                              ;   in Loop: Header=BB426_10 Depth=1
	v_and_b32_e32 v77, 0xffff, v8
	v_or_b32_e32 v78, 0x10000, v8
	s_delay_alu instid0(VALU_DEP_2) | instskip(NEXT) | instid1(VALU_DEP_1)
	v_cmp_eq_u32_e64 s2, 0, v77
	v_cndmask_b32_e64 v77, v78, v8, s2
; %bb.310:                              ;   in Loop: Header=BB426_10 Depth=1
	s_or_b32 exec_lo, exec_lo, s3
	v_lshrrev_b16 v78, 8, v88
	v_mov_b32_e32 v8, 0
	s_mov_b32 s3, exec_lo
	s_delay_alu instid0(VALU_DEP_2)
	v_cmpx_ne_u16_e32 0, v78
	s_cbranch_execz .LBB426_318
; %bb.311:                              ;   in Loop: Header=BB426_10 Depth=1
	v_bfrev_b32_e32 v8, 1
	s_mov_b32 s19, exec_lo
	v_cmpx_ne_u16_e32 0x80, v78
	s_cbranch_execz .LBB426_317
; %bb.312:                              ;   in Loop: Header=BB426_10 Depth=1
	v_and_b32_e32 v78, 0xffff, v78
	v_mov_b32_e32 v8, 0x7f800001
	s_mov_b32 s20, exec_lo
	s_delay_alu instid0(VALU_DEP_2) | instskip(NEXT) | instid1(VALU_DEP_1)
	v_and_b32_e32 v79, 0x7f, v78
	v_cmpx_ne_u32_e32 0x7f, v79
	s_cbranch_execz .LBB426_316
; %bb.313:                              ;   in Loop: Header=BB426_10 Depth=1
	v_and_b32_e32 v8, 7, v78
	v_lshrrev_b32_e32 v78, 3, v79
	s_mov_b32 s21, exec_lo
	v_cmpx_gt_u32_e32 8, v79
; %bb.314:                              ;   in Loop: Header=BB426_10 Depth=1
	s_delay_alu instid0(VALU_DEP_3) | instskip(NEXT) | instid1(VALU_DEP_1)
	v_clz_i32_u32_e32 v78, v8
	v_min_u32_e32 v78, 32, v78
	s_delay_alu instid0(VALU_DEP_1) | instskip(SKIP_1) | instid1(VALU_DEP_2)
	v_subrev_nc_u32_e32 v79, 28, v78
	v_sub_nc_u32_e32 v78, 29, v78
	v_lshlrev_b64 v[89:90], v79, v[8:9]
	s_delay_alu instid0(VALU_DEP_1)
	v_and_b32_e32 v8, 7, v89
; %bb.315:                              ;   in Loop: Header=BB426_10 Depth=1
	s_or_b32 exec_lo, exec_lo, s21
	v_lshlrev_b32_e32 v79, 16, v88
	s_delay_alu instid0(VALU_DEP_2) | instskip(SKIP_1) | instid1(VALU_DEP_3)
	v_lshlrev_b32_e32 v8, 20, v8
	v_lshl_add_u32 v78, v78, 23, 0x3c000000
	v_and_b32_e32 v79, 0x80000000, v79
	s_delay_alu instid0(VALU_DEP_1)
	v_or3_b32 v8, v8, v79, v78
.LBB426_316:                            ;   in Loop: Header=BB426_10 Depth=1
	s_or_b32 exec_lo, exec_lo, s20
.LBB426_317:                            ;   in Loop: Header=BB426_10 Depth=1
	s_delay_alu instid0(SALU_CYCLE_1)
	s_or_b32 exec_lo, exec_lo, s19
.LBB426_318:                            ;   in Loop: Header=BB426_10 Depth=1
	s_delay_alu instid0(SALU_CYCLE_1) | instskip(NEXT) | instid1(VALU_DEP_1)
	s_or_b32 exec_lo, exec_lo, s3
	v_mul_f32_e32 v8, v181, v8
	s_delay_alu instid0(VALU_DEP_1) | instskip(NEXT) | instid1(VALU_DEP_1)
	v_and_b32_e32 v78, 0x7f800000, v8
	v_cmp_ne_u32_e64 s2, 0x7f800000, v78
                                        ; implicit-def: $vgpr78
	s_delay_alu instid0(VALU_DEP_1) | instskip(NEXT) | instid1(SALU_CYCLE_1)
	s_and_saveexec_b32 s3, s2
	s_xor_b32 s2, exec_lo, s3
; %bb.319:                              ;   in Loop: Header=BB426_10 Depth=1
	v_bfe_u32 v78, v8, 16, 1
	s_delay_alu instid0(VALU_DEP_1)
	v_add3_u32 v78, v8, v78, 0x7fff
                                        ; implicit-def: $vgpr8
; %bb.320:                              ;   in Loop: Header=BB426_10 Depth=1
	s_and_not1_saveexec_b32 s3, s2
; %bb.321:                              ;   in Loop: Header=BB426_10 Depth=1
	v_and_b32_e32 v78, 0xffff, v8
	v_or_b32_e32 v79, 0x10000, v8
	s_delay_alu instid0(VALU_DEP_2) | instskip(NEXT) | instid1(VALU_DEP_1)
	v_cmp_eq_u32_e64 s2, 0, v78
	v_cndmask_b32_e64 v78, v79, v8, s2
; %bb.322:                              ;   in Loop: Header=BB426_10 Depth=1
	s_or_b32 exec_lo, exec_lo, s3
	v_lshrrev_b32_e32 v79, 16, v88
	s_mov_b32 s3, exec_lo
	s_delay_alu instid0(VALU_DEP_1) | instskip(NEXT) | instid1(VALU_DEP_1)
	v_dual_mov_b32 v8, 0 :: v_dual_and_b32 v89, 0xff, v79
	v_cmpx_ne_u16_e32 0, v89
	s_cbranch_execz .LBB426_330
; %bb.323:                              ;   in Loop: Header=BB426_10 Depth=1
	v_bfrev_b32_e32 v8, 1
	s_mov_b32 s19, exec_lo
	v_cmpx_ne_u16_e32 0x80, v89
	s_cbranch_execz .LBB426_329
; %bb.324:                              ;   in Loop: Header=BB426_10 Depth=1
	v_bfe_u32 v90, v88, 16, 7
	v_mov_b32_e32 v8, 0x7f800001
	s_mov_b32 s20, exec_lo
	s_delay_alu instid0(VALU_DEP_2)
	v_cmpx_ne_u32_e32 0x7f, v90
	s_cbranch_execz .LBB426_328
; %bb.325:                              ;   in Loop: Header=BB426_10 Depth=1
	v_and_b32_e32 v8, 7, v79
	v_lshrrev_b32_e32 v89, 3, v90
	s_mov_b32 s21, exec_lo
	v_cmpx_gt_u32_e32 8, v90
; %bb.326:                              ;   in Loop: Header=BB426_10 Depth=1
	s_delay_alu instid0(VALU_DEP_3) | instskip(NEXT) | instid1(VALU_DEP_1)
	v_clz_i32_u32_e32 v89, v8
	v_min_u32_e32 v89, 32, v89
	s_delay_alu instid0(VALU_DEP_1) | instskip(SKIP_1) | instid1(VALU_DEP_2)
	v_subrev_nc_u32_e32 v90, 28, v89
	v_sub_nc_u32_e32 v89, 29, v89
	v_lshlrev_b64 v[90:91], v90, v[8:9]
	s_delay_alu instid0(VALU_DEP_1)
	v_and_b32_e32 v8, 7, v90
; %bb.327:                              ;   in Loop: Header=BB426_10 Depth=1
	s_or_b32 exec_lo, exec_lo, s21
	v_lshlrev_b32_e32 v79, 24, v79
	s_delay_alu instid0(VALU_DEP_2) | instskip(SKIP_1) | instid1(VALU_DEP_3)
	v_lshlrev_b32_e32 v8, 20, v8
	v_lshl_add_u32 v89, v89, 23, 0x3c000000
	v_and_b32_e32 v79, 0x80000000, v79
	s_delay_alu instid0(VALU_DEP_1)
	v_or3_b32 v8, v8, v79, v89
.LBB426_328:                            ;   in Loop: Header=BB426_10 Depth=1
	s_or_b32 exec_lo, exec_lo, s20
.LBB426_329:                            ;   in Loop: Header=BB426_10 Depth=1
	s_delay_alu instid0(SALU_CYCLE_1)
	s_or_b32 exec_lo, exec_lo, s19
.LBB426_330:                            ;   in Loop: Header=BB426_10 Depth=1
	s_delay_alu instid0(SALU_CYCLE_1) | instskip(NEXT) | instid1(VALU_DEP_1)
	s_or_b32 exec_lo, exec_lo, s3
	v_mul_f32_e32 v8, v181, v8
	s_delay_alu instid0(VALU_DEP_1) | instskip(NEXT) | instid1(VALU_DEP_1)
	v_and_b32_e32 v79, 0x7f800000, v8
	v_cmp_ne_u32_e64 s2, 0x7f800000, v79
                                        ; implicit-def: $vgpr79
	s_delay_alu instid0(VALU_DEP_1) | instskip(NEXT) | instid1(SALU_CYCLE_1)
	s_and_saveexec_b32 s3, s2
	s_xor_b32 s2, exec_lo, s3
; %bb.331:                              ;   in Loop: Header=BB426_10 Depth=1
	v_bfe_u32 v79, v8, 16, 1
	s_delay_alu instid0(VALU_DEP_1)
	v_add3_u32 v79, v8, v79, 0x7fff
                                        ; implicit-def: $vgpr8
; %bb.332:                              ;   in Loop: Header=BB426_10 Depth=1
	s_and_not1_saveexec_b32 s3, s2
; %bb.333:                              ;   in Loop: Header=BB426_10 Depth=1
	v_and_b32_e32 v79, 0xffff, v8
	v_or_b32_e32 v89, 0x10000, v8
	s_delay_alu instid0(VALU_DEP_2) | instskip(NEXT) | instid1(VALU_DEP_1)
	v_cmp_eq_u32_e64 s2, 0, v79
	v_cndmask_b32_e64 v79, v89, v8, s2
; %bb.334:                              ;   in Loop: Header=BB426_10 Depth=1
	s_or_b32 exec_lo, exec_lo, s3
	v_mov_b32_e32 v8, 0
	s_mov_b32 s3, exec_lo
	v_cmpx_lt_u32_e32 0xffffff, v88
	s_cbranch_execz .LBB426_342
; %bb.335:                              ;   in Loop: Header=BB426_10 Depth=1
	v_lshrrev_b32_e32 v89, 24, v88
	v_bfrev_b32_e32 v8, 1
	s_mov_b32 s19, exec_lo
	s_delay_alu instid0(VALU_DEP_2)
	v_cmpx_ne_u32_e32 0x80, v89
	s_cbranch_execz .LBB426_341
; %bb.336:                              ;   in Loop: Header=BB426_10 Depth=1
	v_bfe_u32 v90, v88, 24, 7
	v_mov_b32_e32 v8, 0x7f800001
	s_mov_b32 s20, exec_lo
	s_delay_alu instid0(VALU_DEP_2)
	v_cmpx_ne_u32_e32 0x7f, v90
	s_cbranch_execz .LBB426_340
; %bb.337:                              ;   in Loop: Header=BB426_10 Depth=1
	v_and_b32_e32 v8, 7, v89
	v_lshrrev_b32_e32 v88, 3, v90
	s_mov_b32 s21, exec_lo
	v_cmpx_gt_u32_e32 8, v90
; %bb.338:                              ;   in Loop: Header=BB426_10 Depth=1
	s_delay_alu instid0(VALU_DEP_3) | instskip(NEXT) | instid1(VALU_DEP_1)
	v_clz_i32_u32_e32 v88, v8
	v_min_u32_e32 v88, 32, v88
	s_delay_alu instid0(VALU_DEP_1) | instskip(SKIP_1) | instid1(VALU_DEP_2)
	v_subrev_nc_u32_e32 v90, 28, v88
	v_sub_nc_u32_e32 v88, 29, v88
	v_lshlrev_b64 v[90:91], v90, v[8:9]
	s_delay_alu instid0(VALU_DEP_1)
	v_and_b32_e32 v8, 7, v90
; %bb.339:                              ;   in Loop: Header=BB426_10 Depth=1
	s_or_b32 exec_lo, exec_lo, s21
	v_lshlrev_b32_e32 v89, 24, v89
	s_delay_alu instid0(VALU_DEP_2) | instskip(SKIP_1) | instid1(VALU_DEP_3)
	v_lshlrev_b32_e32 v8, 20, v8
	v_lshl_add_u32 v88, v88, 23, 0x3c000000
	v_and_b32_e32 v89, 0x80000000, v89
	s_delay_alu instid0(VALU_DEP_1)
	v_or3_b32 v8, v8, v89, v88
.LBB426_340:                            ;   in Loop: Header=BB426_10 Depth=1
	s_or_b32 exec_lo, exec_lo, s20
.LBB426_341:                            ;   in Loop: Header=BB426_10 Depth=1
	s_delay_alu instid0(SALU_CYCLE_1)
	s_or_b32 exec_lo, exec_lo, s19
.LBB426_342:                            ;   in Loop: Header=BB426_10 Depth=1
	s_delay_alu instid0(SALU_CYCLE_1) | instskip(NEXT) | instid1(VALU_DEP_1)
	s_or_b32 exec_lo, exec_lo, s3
	v_mul_f32_e32 v8, v181, v8
	s_delay_alu instid0(VALU_DEP_1) | instskip(NEXT) | instid1(VALU_DEP_1)
	v_and_b32_e32 v88, 0x7f800000, v8
	v_cmp_ne_u32_e64 s2, 0x7f800000, v88
                                        ; implicit-def: $vgpr88
	s_delay_alu instid0(VALU_DEP_1) | instskip(NEXT) | instid1(SALU_CYCLE_1)
	s_and_saveexec_b32 s3, s2
	s_xor_b32 s2, exec_lo, s3
; %bb.343:                              ;   in Loop: Header=BB426_10 Depth=1
	v_bfe_u32 v88, v8, 16, 1
	s_delay_alu instid0(VALU_DEP_1)
	v_add3_u32 v88, v8, v88, 0x7fff
                                        ; implicit-def: $vgpr8
; %bb.344:                              ;   in Loop: Header=BB426_10 Depth=1
	s_and_not1_saveexec_b32 s3, s2
; %bb.345:                              ;   in Loop: Header=BB426_10 Depth=1
	v_and_b32_e32 v88, 0xffff, v8
	v_or_b32_e32 v89, 0x10000, v8
	s_delay_alu instid0(VALU_DEP_2) | instskip(NEXT) | instid1(VALU_DEP_1)
	v_cmp_eq_u32_e64 s2, 0, v88
	v_cndmask_b32_e64 v88, v89, v8, s2
; %bb.346:                              ;   in Loop: Header=BB426_10 Depth=1
	s_or_b32 exec_lo, exec_lo, s3
	flat_load_b32 v92, v[28:29] offset:776
	s_mov_b32 s3, exec_lo
	s_waitcnt vmcnt(0) lgkmcnt(0)
	v_dual_mov_b32 v8, 0 :: v_dual_and_b32 v89, 0xff, v92
	s_delay_alu instid0(VALU_DEP_1)
	v_cmpx_ne_u16_e32 0, v89
	s_cbranch_execz .LBB426_354
; %bb.347:                              ;   in Loop: Header=BB426_10 Depth=1
	v_bfrev_b32_e32 v8, 1
	s_mov_b32 s19, exec_lo
	v_cmpx_ne_u16_e32 0x80, v89
	s_cbranch_execz .LBB426_353
; %bb.348:                              ;   in Loop: Header=BB426_10 Depth=1
	v_and_b32_e32 v90, 0x7f, v92
	v_mov_b32_e32 v8, 0x7f800001
	s_mov_b32 s20, exec_lo
	s_delay_alu instid0(VALU_DEP_2)
	v_cmpx_ne_u32_e32 0x7f, v90
	s_cbranch_execz .LBB426_352
; %bb.349:                              ;   in Loop: Header=BB426_10 Depth=1
	v_and_b32_e32 v8, 7, v92
	v_lshrrev_b32_e32 v89, 3, v90
	s_mov_b32 s21, exec_lo
	v_cmpx_gt_u32_e32 8, v90
; %bb.350:                              ;   in Loop: Header=BB426_10 Depth=1
	s_delay_alu instid0(VALU_DEP_3) | instskip(NEXT) | instid1(VALU_DEP_1)
	v_clz_i32_u32_e32 v89, v8
	v_min_u32_e32 v89, 32, v89
	s_delay_alu instid0(VALU_DEP_1) | instskip(SKIP_1) | instid1(VALU_DEP_2)
	v_subrev_nc_u32_e32 v90, 28, v89
	v_sub_nc_u32_e32 v89, 29, v89
	v_lshlrev_b64 v[90:91], v90, v[8:9]
	s_delay_alu instid0(VALU_DEP_1)
	v_and_b32_e32 v8, 7, v90
; %bb.351:                              ;   in Loop: Header=BB426_10 Depth=1
	s_or_b32 exec_lo, exec_lo, s21
	v_lshlrev_b32_e32 v90, 24, v92
	s_delay_alu instid0(VALU_DEP_2) | instskip(SKIP_1) | instid1(VALU_DEP_3)
	v_lshlrev_b32_e32 v8, 20, v8
	v_lshl_add_u32 v89, v89, 23, 0x3c000000
	v_and_b32_e32 v90, 0x80000000, v90
	s_delay_alu instid0(VALU_DEP_1)
	v_or3_b32 v8, v8, v90, v89
.LBB426_352:                            ;   in Loop: Header=BB426_10 Depth=1
	s_or_b32 exec_lo, exec_lo, s20
.LBB426_353:                            ;   in Loop: Header=BB426_10 Depth=1
	s_delay_alu instid0(SALU_CYCLE_1)
	s_or_b32 exec_lo, exec_lo, s19
.LBB426_354:                            ;   in Loop: Header=BB426_10 Depth=1
	s_delay_alu instid0(SALU_CYCLE_1) | instskip(NEXT) | instid1(VALU_DEP_1)
	s_or_b32 exec_lo, exec_lo, s3
	v_mul_f32_e32 v8, v181, v8
	s_delay_alu instid0(VALU_DEP_1) | instskip(NEXT) | instid1(VALU_DEP_1)
	v_and_b32_e32 v89, 0x7f800000, v8
	v_cmp_ne_u32_e64 s2, 0x7f800000, v89
                                        ; implicit-def: $vgpr89
	s_delay_alu instid0(VALU_DEP_1) | instskip(NEXT) | instid1(SALU_CYCLE_1)
	s_and_saveexec_b32 s3, s2
	s_xor_b32 s2, exec_lo, s3
; %bb.355:                              ;   in Loop: Header=BB426_10 Depth=1
	v_bfe_u32 v89, v8, 16, 1
	s_delay_alu instid0(VALU_DEP_1)
	v_add3_u32 v89, v8, v89, 0x7fff
                                        ; implicit-def: $vgpr8
; %bb.356:                              ;   in Loop: Header=BB426_10 Depth=1
	s_and_not1_saveexec_b32 s3, s2
; %bb.357:                              ;   in Loop: Header=BB426_10 Depth=1
	v_and_b32_e32 v89, 0xffff, v8
	v_or_b32_e32 v90, 0x10000, v8
	s_delay_alu instid0(VALU_DEP_2) | instskip(NEXT) | instid1(VALU_DEP_1)
	v_cmp_eq_u32_e64 s2, 0, v89
	v_cndmask_b32_e64 v89, v90, v8, s2
; %bb.358:                              ;   in Loop: Header=BB426_10 Depth=1
	s_or_b32 exec_lo, exec_lo, s3
	v_lshrrev_b16 v90, 8, v92
	v_mov_b32_e32 v8, 0
	s_mov_b32 s3, exec_lo
	s_delay_alu instid0(VALU_DEP_2)
	v_cmpx_ne_u16_e32 0, v90
	s_cbranch_execz .LBB426_366
; %bb.359:                              ;   in Loop: Header=BB426_10 Depth=1
	v_bfrev_b32_e32 v8, 1
	s_mov_b32 s19, exec_lo
	v_cmpx_ne_u16_e32 0x80, v90
	s_cbranch_execz .LBB426_365
; %bb.360:                              ;   in Loop: Header=BB426_10 Depth=1
	v_and_b32_e32 v90, 0xffff, v90
	v_mov_b32_e32 v8, 0x7f800001
	s_mov_b32 s20, exec_lo
	s_delay_alu instid0(VALU_DEP_2) | instskip(NEXT) | instid1(VALU_DEP_1)
	v_and_b32_e32 v91, 0x7f, v90
	v_cmpx_ne_u32_e32 0x7f, v91
	s_cbranch_execz .LBB426_364
; %bb.361:                              ;   in Loop: Header=BB426_10 Depth=1
	v_and_b32_e32 v8, 7, v90
	v_lshrrev_b32_e32 v90, 3, v91
	s_mov_b32 s21, exec_lo
	v_cmpx_gt_u32_e32 8, v91
; %bb.362:                              ;   in Loop: Header=BB426_10 Depth=1
	s_delay_alu instid0(VALU_DEP_3) | instskip(NEXT) | instid1(VALU_DEP_1)
	v_clz_i32_u32_e32 v90, v8
	v_min_u32_e32 v90, 32, v90
	s_delay_alu instid0(VALU_DEP_1) | instskip(SKIP_1) | instid1(VALU_DEP_2)
	v_subrev_nc_u32_e32 v91, 28, v90
	v_sub_nc_u32_e32 v90, 29, v90
	v_lshlrev_b64 v[93:94], v91, v[8:9]
	s_delay_alu instid0(VALU_DEP_1)
	v_and_b32_e32 v8, 7, v93
; %bb.363:                              ;   in Loop: Header=BB426_10 Depth=1
	s_or_b32 exec_lo, exec_lo, s21
	v_lshlrev_b32_e32 v91, 16, v92
	s_delay_alu instid0(VALU_DEP_2) | instskip(SKIP_1) | instid1(VALU_DEP_3)
	v_lshlrev_b32_e32 v8, 20, v8
	v_lshl_add_u32 v90, v90, 23, 0x3c000000
	v_and_b32_e32 v91, 0x80000000, v91
	s_delay_alu instid0(VALU_DEP_1)
	v_or3_b32 v8, v8, v91, v90
.LBB426_364:                            ;   in Loop: Header=BB426_10 Depth=1
	s_or_b32 exec_lo, exec_lo, s20
.LBB426_365:                            ;   in Loop: Header=BB426_10 Depth=1
	s_delay_alu instid0(SALU_CYCLE_1)
	s_or_b32 exec_lo, exec_lo, s19
.LBB426_366:                            ;   in Loop: Header=BB426_10 Depth=1
	s_delay_alu instid0(SALU_CYCLE_1) | instskip(NEXT) | instid1(VALU_DEP_1)
	s_or_b32 exec_lo, exec_lo, s3
	v_mul_f32_e32 v8, v181, v8
	s_delay_alu instid0(VALU_DEP_1) | instskip(NEXT) | instid1(VALU_DEP_1)
	v_and_b32_e32 v90, 0x7f800000, v8
	v_cmp_ne_u32_e64 s2, 0x7f800000, v90
                                        ; implicit-def: $vgpr90
	s_delay_alu instid0(VALU_DEP_1) | instskip(NEXT) | instid1(SALU_CYCLE_1)
	s_and_saveexec_b32 s3, s2
	s_xor_b32 s2, exec_lo, s3
; %bb.367:                              ;   in Loop: Header=BB426_10 Depth=1
	v_bfe_u32 v90, v8, 16, 1
	s_delay_alu instid0(VALU_DEP_1)
	v_add3_u32 v90, v8, v90, 0x7fff
                                        ; implicit-def: $vgpr8
; %bb.368:                              ;   in Loop: Header=BB426_10 Depth=1
	s_and_not1_saveexec_b32 s3, s2
; %bb.369:                              ;   in Loop: Header=BB426_10 Depth=1
	v_and_b32_e32 v90, 0xffff, v8
	v_or_b32_e32 v91, 0x10000, v8
	s_delay_alu instid0(VALU_DEP_2) | instskip(NEXT) | instid1(VALU_DEP_1)
	v_cmp_eq_u32_e64 s2, 0, v90
	v_cndmask_b32_e64 v90, v91, v8, s2
; %bb.370:                              ;   in Loop: Header=BB426_10 Depth=1
	s_or_b32 exec_lo, exec_lo, s3
	v_lshrrev_b32_e32 v91, 16, v92
	s_mov_b32 s3, exec_lo
	s_delay_alu instid0(VALU_DEP_1) | instskip(NEXT) | instid1(VALU_DEP_1)
	v_dual_mov_b32 v8, 0 :: v_dual_and_b32 v93, 0xff, v91
	v_cmpx_ne_u16_e32 0, v93
	s_cbranch_execz .LBB426_378
; %bb.371:                              ;   in Loop: Header=BB426_10 Depth=1
	v_bfrev_b32_e32 v8, 1
	s_mov_b32 s19, exec_lo
	v_cmpx_ne_u16_e32 0x80, v93
	s_cbranch_execz .LBB426_377
; %bb.372:                              ;   in Loop: Header=BB426_10 Depth=1
	v_bfe_u32 v94, v92, 16, 7
	v_mov_b32_e32 v8, 0x7f800001
	s_mov_b32 s20, exec_lo
	s_delay_alu instid0(VALU_DEP_2)
	v_cmpx_ne_u32_e32 0x7f, v94
	s_cbranch_execz .LBB426_376
; %bb.373:                              ;   in Loop: Header=BB426_10 Depth=1
	v_and_b32_e32 v8, 7, v91
	v_lshrrev_b32_e32 v93, 3, v94
	s_mov_b32 s21, exec_lo
	v_cmpx_gt_u32_e32 8, v94
; %bb.374:                              ;   in Loop: Header=BB426_10 Depth=1
	s_delay_alu instid0(VALU_DEP_3) | instskip(NEXT) | instid1(VALU_DEP_1)
	v_clz_i32_u32_e32 v93, v8
	v_min_u32_e32 v93, 32, v93
	s_delay_alu instid0(VALU_DEP_1) | instskip(SKIP_1) | instid1(VALU_DEP_2)
	v_subrev_nc_u32_e32 v94, 28, v93
	v_sub_nc_u32_e32 v93, 29, v93
	v_lshlrev_b64 v[94:95], v94, v[8:9]
	s_delay_alu instid0(VALU_DEP_1)
	v_and_b32_e32 v8, 7, v94
; %bb.375:                              ;   in Loop: Header=BB426_10 Depth=1
	s_or_b32 exec_lo, exec_lo, s21
	v_lshlrev_b32_e32 v91, 24, v91
	s_delay_alu instid0(VALU_DEP_2) | instskip(SKIP_1) | instid1(VALU_DEP_3)
	v_lshlrev_b32_e32 v8, 20, v8
	v_lshl_add_u32 v93, v93, 23, 0x3c000000
	v_and_b32_e32 v91, 0x80000000, v91
	s_delay_alu instid0(VALU_DEP_1)
	v_or3_b32 v8, v8, v91, v93
.LBB426_376:                            ;   in Loop: Header=BB426_10 Depth=1
	s_or_b32 exec_lo, exec_lo, s20
.LBB426_377:                            ;   in Loop: Header=BB426_10 Depth=1
	s_delay_alu instid0(SALU_CYCLE_1)
	s_or_b32 exec_lo, exec_lo, s19
.LBB426_378:                            ;   in Loop: Header=BB426_10 Depth=1
	s_delay_alu instid0(SALU_CYCLE_1) | instskip(NEXT) | instid1(VALU_DEP_1)
	s_or_b32 exec_lo, exec_lo, s3
	v_mul_f32_e32 v8, v181, v8
	s_delay_alu instid0(VALU_DEP_1) | instskip(NEXT) | instid1(VALU_DEP_1)
	v_and_b32_e32 v91, 0x7f800000, v8
	v_cmp_ne_u32_e64 s2, 0x7f800000, v91
                                        ; implicit-def: $vgpr91
	s_delay_alu instid0(VALU_DEP_1) | instskip(NEXT) | instid1(SALU_CYCLE_1)
	s_and_saveexec_b32 s3, s2
	s_xor_b32 s2, exec_lo, s3
; %bb.379:                              ;   in Loop: Header=BB426_10 Depth=1
	v_bfe_u32 v91, v8, 16, 1
	s_delay_alu instid0(VALU_DEP_1)
	v_add3_u32 v91, v8, v91, 0x7fff
                                        ; implicit-def: $vgpr8
; %bb.380:                              ;   in Loop: Header=BB426_10 Depth=1
	s_and_not1_saveexec_b32 s3, s2
; %bb.381:                              ;   in Loop: Header=BB426_10 Depth=1
	v_and_b32_e32 v91, 0xffff, v8
	v_or_b32_e32 v93, 0x10000, v8
	s_delay_alu instid0(VALU_DEP_2) | instskip(NEXT) | instid1(VALU_DEP_1)
	v_cmp_eq_u32_e64 s2, 0, v91
	v_cndmask_b32_e64 v91, v93, v8, s2
; %bb.382:                              ;   in Loop: Header=BB426_10 Depth=1
	s_or_b32 exec_lo, exec_lo, s3
	v_mov_b32_e32 v8, 0
	s_mov_b32 s3, exec_lo
	v_cmpx_lt_u32_e32 0xffffff, v92
	s_cbranch_execz .LBB426_390
; %bb.383:                              ;   in Loop: Header=BB426_10 Depth=1
	v_lshrrev_b32_e32 v93, 24, v92
	v_bfrev_b32_e32 v8, 1
	s_mov_b32 s19, exec_lo
	s_delay_alu instid0(VALU_DEP_2)
	v_cmpx_ne_u32_e32 0x80, v93
	s_cbranch_execz .LBB426_389
; %bb.384:                              ;   in Loop: Header=BB426_10 Depth=1
	v_bfe_u32 v94, v92, 24, 7
	v_mov_b32_e32 v8, 0x7f800001
	s_mov_b32 s20, exec_lo
	s_delay_alu instid0(VALU_DEP_2)
	v_cmpx_ne_u32_e32 0x7f, v94
	s_cbranch_execz .LBB426_388
; %bb.385:                              ;   in Loop: Header=BB426_10 Depth=1
	v_and_b32_e32 v8, 7, v93
	v_lshrrev_b32_e32 v92, 3, v94
	s_mov_b32 s21, exec_lo
	v_cmpx_gt_u32_e32 8, v94
; %bb.386:                              ;   in Loop: Header=BB426_10 Depth=1
	s_delay_alu instid0(VALU_DEP_3) | instskip(NEXT) | instid1(VALU_DEP_1)
	v_clz_i32_u32_e32 v92, v8
	v_min_u32_e32 v92, 32, v92
	s_delay_alu instid0(VALU_DEP_1) | instskip(SKIP_1) | instid1(VALU_DEP_2)
	v_subrev_nc_u32_e32 v94, 28, v92
	v_sub_nc_u32_e32 v92, 29, v92
	v_lshlrev_b64 v[94:95], v94, v[8:9]
	s_delay_alu instid0(VALU_DEP_1)
	v_and_b32_e32 v8, 7, v94
; %bb.387:                              ;   in Loop: Header=BB426_10 Depth=1
	s_or_b32 exec_lo, exec_lo, s21
	v_lshlrev_b32_e32 v93, 24, v93
	s_delay_alu instid0(VALU_DEP_2) | instskip(SKIP_1) | instid1(VALU_DEP_3)
	v_lshlrev_b32_e32 v8, 20, v8
	v_lshl_add_u32 v92, v92, 23, 0x3c000000
	v_and_b32_e32 v93, 0x80000000, v93
	s_delay_alu instid0(VALU_DEP_1)
	v_or3_b32 v8, v8, v93, v92
.LBB426_388:                            ;   in Loop: Header=BB426_10 Depth=1
	s_or_b32 exec_lo, exec_lo, s20
.LBB426_389:                            ;   in Loop: Header=BB426_10 Depth=1
	s_delay_alu instid0(SALU_CYCLE_1)
	s_or_b32 exec_lo, exec_lo, s19
.LBB426_390:                            ;   in Loop: Header=BB426_10 Depth=1
	s_delay_alu instid0(SALU_CYCLE_1) | instskip(NEXT) | instid1(VALU_DEP_1)
	s_or_b32 exec_lo, exec_lo, s3
	v_mul_f32_e32 v8, v181, v8
	s_delay_alu instid0(VALU_DEP_1) | instskip(NEXT) | instid1(VALU_DEP_1)
	v_and_b32_e32 v92, 0x7f800000, v8
	v_cmp_ne_u32_e64 s2, 0x7f800000, v92
                                        ; implicit-def: $vgpr92
	s_delay_alu instid0(VALU_DEP_1) | instskip(NEXT) | instid1(SALU_CYCLE_1)
	s_and_saveexec_b32 s3, s2
	s_xor_b32 s2, exec_lo, s3
; %bb.391:                              ;   in Loop: Header=BB426_10 Depth=1
	v_bfe_u32 v92, v8, 16, 1
	s_delay_alu instid0(VALU_DEP_1)
	v_add3_u32 v92, v8, v92, 0x7fff
                                        ; implicit-def: $vgpr8
; %bb.392:                              ;   in Loop: Header=BB426_10 Depth=1
	s_and_not1_saveexec_b32 s3, s2
; %bb.393:                              ;   in Loop: Header=BB426_10 Depth=1
	v_and_b32_e32 v92, 0xffff, v8
	v_or_b32_e32 v93, 0x10000, v8
	s_delay_alu instid0(VALU_DEP_2) | instskip(NEXT) | instid1(VALU_DEP_1)
	v_cmp_eq_u32_e64 s2, 0, v92
	v_cndmask_b32_e64 v92, v93, v8, s2
; %bb.394:                              ;   in Loop: Header=BB426_10 Depth=1
	s_or_b32 exec_lo, exec_lo, s3
	flat_load_b32 v95, v[28:29] offset:1024
	s_mov_b32 s3, exec_lo
	s_waitcnt vmcnt(0) lgkmcnt(0)
	v_dual_mov_b32 v8, 0 :: v_dual_and_b32 v93, 0xff, v95
	s_delay_alu instid0(VALU_DEP_1)
	v_cmpx_ne_u16_e32 0, v93
	s_cbranch_execz .LBB426_402
; %bb.395:                              ;   in Loop: Header=BB426_10 Depth=1
	v_bfrev_b32_e32 v8, 1
	s_mov_b32 s19, exec_lo
	v_cmpx_ne_u16_e32 0x80, v93
	s_cbranch_execz .LBB426_401
; %bb.396:                              ;   in Loop: Header=BB426_10 Depth=1
	v_and_b32_e32 v94, 0x7f, v95
	v_mov_b32_e32 v8, 0x7f800001
	s_mov_b32 s20, exec_lo
	s_delay_alu instid0(VALU_DEP_2)
	v_cmpx_ne_u32_e32 0x7f, v94
	s_cbranch_execz .LBB426_400
; %bb.397:                              ;   in Loop: Header=BB426_10 Depth=1
	v_and_b32_e32 v8, 7, v95
	v_lshrrev_b32_e32 v93, 3, v94
	s_mov_b32 s21, exec_lo
	v_cmpx_gt_u32_e32 8, v94
; %bb.398:                              ;   in Loop: Header=BB426_10 Depth=1
	s_delay_alu instid0(VALU_DEP_3) | instskip(NEXT) | instid1(VALU_DEP_1)
	v_clz_i32_u32_e32 v93, v8
	v_min_u32_e32 v93, 32, v93
	s_delay_alu instid0(VALU_DEP_1) | instskip(SKIP_1) | instid1(VALU_DEP_2)
	v_subrev_nc_u32_e32 v94, 28, v93
	v_sub_nc_u32_e32 v93, 29, v93
	v_lshlrev_b64 v[104:105], v94, v[8:9]
	s_delay_alu instid0(VALU_DEP_1)
	v_and_b32_e32 v8, 7, v104
; %bb.399:                              ;   in Loop: Header=BB426_10 Depth=1
	s_or_b32 exec_lo, exec_lo, s21
	v_lshlrev_b32_e32 v94, 24, v95
	s_delay_alu instid0(VALU_DEP_2) | instskip(SKIP_1) | instid1(VALU_DEP_3)
	v_lshlrev_b32_e32 v8, 20, v8
	v_lshl_add_u32 v93, v93, 23, 0x3c000000
	v_and_b32_e32 v94, 0x80000000, v94
	s_delay_alu instid0(VALU_DEP_1)
	v_or3_b32 v8, v8, v94, v93
.LBB426_400:                            ;   in Loop: Header=BB426_10 Depth=1
	s_or_b32 exec_lo, exec_lo, s20
.LBB426_401:                            ;   in Loop: Header=BB426_10 Depth=1
	s_delay_alu instid0(SALU_CYCLE_1)
	s_or_b32 exec_lo, exec_lo, s19
.LBB426_402:                            ;   in Loop: Header=BB426_10 Depth=1
	s_delay_alu instid0(SALU_CYCLE_1) | instskip(NEXT) | instid1(VALU_DEP_1)
	s_or_b32 exec_lo, exec_lo, s3
	v_mul_f32_e32 v8, v181, v8
	s_delay_alu instid0(VALU_DEP_1) | instskip(NEXT) | instid1(VALU_DEP_1)
	v_and_b32_e32 v93, 0x7f800000, v8
	v_cmp_ne_u32_e64 s2, 0x7f800000, v93
                                        ; implicit-def: $vgpr93
	s_delay_alu instid0(VALU_DEP_1) | instskip(NEXT) | instid1(SALU_CYCLE_1)
	s_and_saveexec_b32 s3, s2
	s_xor_b32 s2, exec_lo, s3
; %bb.403:                              ;   in Loop: Header=BB426_10 Depth=1
	v_bfe_u32 v93, v8, 16, 1
	s_delay_alu instid0(VALU_DEP_1)
	v_add3_u32 v93, v8, v93, 0x7fff
                                        ; implicit-def: $vgpr8
; %bb.404:                              ;   in Loop: Header=BB426_10 Depth=1
	s_and_not1_saveexec_b32 s3, s2
; %bb.405:                              ;   in Loop: Header=BB426_10 Depth=1
	v_and_b32_e32 v93, 0xffff, v8
	v_or_b32_e32 v94, 0x10000, v8
	s_delay_alu instid0(VALU_DEP_2) | instskip(NEXT) | instid1(VALU_DEP_1)
	v_cmp_eq_u32_e64 s2, 0, v93
	v_cndmask_b32_e64 v93, v94, v8, s2
; %bb.406:                              ;   in Loop: Header=BB426_10 Depth=1
	s_or_b32 exec_lo, exec_lo, s3
	v_lshrrev_b16 v94, 8, v95
	v_mov_b32_e32 v8, 0
	s_mov_b32 s3, exec_lo
	s_delay_alu instid0(VALU_DEP_2)
	v_cmpx_ne_u16_e32 0, v94
	s_cbranch_execz .LBB426_414
; %bb.407:                              ;   in Loop: Header=BB426_10 Depth=1
	v_bfrev_b32_e32 v8, 1
	s_mov_b32 s19, exec_lo
	v_cmpx_ne_u16_e32 0x80, v94
	s_cbranch_execz .LBB426_413
; %bb.408:                              ;   in Loop: Header=BB426_10 Depth=1
	v_and_b32_e32 v94, 0xffff, v94
	v_mov_b32_e32 v8, 0x7f800001
	s_mov_b32 s20, exec_lo
	s_delay_alu instid0(VALU_DEP_2) | instskip(NEXT) | instid1(VALU_DEP_1)
	v_and_b32_e32 v104, 0x7f, v94
	v_cmpx_ne_u32_e32 0x7f, v104
	s_cbranch_execz .LBB426_412
; %bb.409:                              ;   in Loop: Header=BB426_10 Depth=1
	v_and_b32_e32 v8, 7, v94
	v_lshrrev_b32_e32 v94, 3, v104
	s_mov_b32 s21, exec_lo
	v_cmpx_gt_u32_e32 8, v104
; %bb.410:                              ;   in Loop: Header=BB426_10 Depth=1
	s_delay_alu instid0(VALU_DEP_3) | instskip(NEXT) | instid1(VALU_DEP_1)
	v_clz_i32_u32_e32 v94, v8
	v_min_u32_e32 v94, 32, v94
	s_delay_alu instid0(VALU_DEP_1) | instskip(SKIP_1) | instid1(VALU_DEP_2)
	v_subrev_nc_u32_e32 v104, 28, v94
	v_sub_nc_u32_e32 v94, 29, v94
	v_lshlrev_b64 v[104:105], v104, v[8:9]
	s_delay_alu instid0(VALU_DEP_1)
	v_and_b32_e32 v8, 7, v104
; %bb.411:                              ;   in Loop: Header=BB426_10 Depth=1
	s_or_b32 exec_lo, exec_lo, s21
	v_lshlrev_b32_e32 v104, 16, v95
	s_delay_alu instid0(VALU_DEP_2) | instskip(SKIP_1) | instid1(VALU_DEP_3)
	v_lshlrev_b32_e32 v8, 20, v8
	v_lshl_add_u32 v94, v94, 23, 0x3c000000
	v_and_b32_e32 v104, 0x80000000, v104
	s_delay_alu instid0(VALU_DEP_1)
	v_or3_b32 v8, v8, v104, v94
.LBB426_412:                            ;   in Loop: Header=BB426_10 Depth=1
	s_or_b32 exec_lo, exec_lo, s20
.LBB426_413:                            ;   in Loop: Header=BB426_10 Depth=1
	s_delay_alu instid0(SALU_CYCLE_1)
	s_or_b32 exec_lo, exec_lo, s19
.LBB426_414:                            ;   in Loop: Header=BB426_10 Depth=1
	s_delay_alu instid0(SALU_CYCLE_1) | instskip(NEXT) | instid1(VALU_DEP_1)
	s_or_b32 exec_lo, exec_lo, s3
	v_mul_f32_e32 v8, v181, v8
	s_delay_alu instid0(VALU_DEP_1) | instskip(NEXT) | instid1(VALU_DEP_1)
	v_and_b32_e32 v94, 0x7f800000, v8
	v_cmp_ne_u32_e64 s2, 0x7f800000, v94
                                        ; implicit-def: $vgpr94
	s_delay_alu instid0(VALU_DEP_1) | instskip(NEXT) | instid1(SALU_CYCLE_1)
	s_and_saveexec_b32 s3, s2
	s_xor_b32 s2, exec_lo, s3
; %bb.415:                              ;   in Loop: Header=BB426_10 Depth=1
	v_bfe_u32 v94, v8, 16, 1
	s_delay_alu instid0(VALU_DEP_1)
	v_add3_u32 v94, v8, v94, 0x7fff
                                        ; implicit-def: $vgpr8
; %bb.416:                              ;   in Loop: Header=BB426_10 Depth=1
	s_and_not1_saveexec_b32 s3, s2
; %bb.417:                              ;   in Loop: Header=BB426_10 Depth=1
	v_and_b32_e32 v94, 0xffff, v8
	v_or_b32_e32 v104, 0x10000, v8
	s_delay_alu instid0(VALU_DEP_2) | instskip(NEXT) | instid1(VALU_DEP_1)
	v_cmp_eq_u32_e64 s2, 0, v94
	v_cndmask_b32_e64 v94, v104, v8, s2
; %bb.418:                              ;   in Loop: Header=BB426_10 Depth=1
	s_or_b32 exec_lo, exec_lo, s3
	v_lshrrev_b32_e32 v104, 16, v95
	s_mov_b32 s3, exec_lo
	s_delay_alu instid0(VALU_DEP_1) | instskip(NEXT) | instid1(VALU_DEP_1)
	v_dual_mov_b32 v8, 0 :: v_dual_and_b32 v105, 0xff, v104
	v_cmpx_ne_u16_e32 0, v105
	s_cbranch_execz .LBB426_426
; %bb.419:                              ;   in Loop: Header=BB426_10 Depth=1
	v_bfrev_b32_e32 v8, 1
	s_mov_b32 s19, exec_lo
	v_cmpx_ne_u16_e32 0x80, v105
	s_cbranch_execz .LBB426_425
; %bb.420:                              ;   in Loop: Header=BB426_10 Depth=1
	v_bfe_u32 v106, v95, 16, 7
	v_mov_b32_e32 v8, 0x7f800001
	s_mov_b32 s20, exec_lo
	s_delay_alu instid0(VALU_DEP_2)
	v_cmpx_ne_u32_e32 0x7f, v106
	s_cbranch_execz .LBB426_424
; %bb.421:                              ;   in Loop: Header=BB426_10 Depth=1
	v_and_b32_e32 v8, 7, v104
	v_lshrrev_b32_e32 v105, 3, v106
	s_mov_b32 s21, exec_lo
	v_cmpx_gt_u32_e32 8, v106
; %bb.422:                              ;   in Loop: Header=BB426_10 Depth=1
	s_delay_alu instid0(VALU_DEP_3) | instskip(NEXT) | instid1(VALU_DEP_1)
	v_clz_i32_u32_e32 v105, v8
	v_min_u32_e32 v105, 32, v105
	s_delay_alu instid0(VALU_DEP_1) | instskip(SKIP_1) | instid1(VALU_DEP_2)
	v_subrev_nc_u32_e32 v106, 28, v105
	v_sub_nc_u32_e32 v105, 29, v105
	v_lshlrev_b64 v[106:107], v106, v[8:9]
	s_delay_alu instid0(VALU_DEP_1)
	v_and_b32_e32 v8, 7, v106
; %bb.423:                              ;   in Loop: Header=BB426_10 Depth=1
	s_or_b32 exec_lo, exec_lo, s21
	v_lshlrev_b32_e32 v104, 24, v104
	s_delay_alu instid0(VALU_DEP_2) | instskip(SKIP_1) | instid1(VALU_DEP_3)
	v_lshlrev_b32_e32 v8, 20, v8
	v_lshl_add_u32 v105, v105, 23, 0x3c000000
	v_and_b32_e32 v104, 0x80000000, v104
	s_delay_alu instid0(VALU_DEP_1)
	v_or3_b32 v8, v8, v104, v105
.LBB426_424:                            ;   in Loop: Header=BB426_10 Depth=1
	s_or_b32 exec_lo, exec_lo, s20
.LBB426_425:                            ;   in Loop: Header=BB426_10 Depth=1
	s_delay_alu instid0(SALU_CYCLE_1)
	s_or_b32 exec_lo, exec_lo, s19
.LBB426_426:                            ;   in Loop: Header=BB426_10 Depth=1
	s_delay_alu instid0(SALU_CYCLE_1) | instskip(NEXT) | instid1(VALU_DEP_1)
	s_or_b32 exec_lo, exec_lo, s3
	v_mul_f32_e32 v8, v181, v8
	s_delay_alu instid0(VALU_DEP_1) | instskip(NEXT) | instid1(VALU_DEP_1)
	v_and_b32_e32 v104, 0x7f800000, v8
	v_cmp_ne_u32_e64 s2, 0x7f800000, v104
                                        ; implicit-def: $vgpr104
	s_delay_alu instid0(VALU_DEP_1) | instskip(NEXT) | instid1(SALU_CYCLE_1)
	s_and_saveexec_b32 s3, s2
	s_xor_b32 s2, exec_lo, s3
; %bb.427:                              ;   in Loop: Header=BB426_10 Depth=1
	v_bfe_u32 v104, v8, 16, 1
	s_delay_alu instid0(VALU_DEP_1)
	v_add3_u32 v104, v8, v104, 0x7fff
                                        ; implicit-def: $vgpr8
; %bb.428:                              ;   in Loop: Header=BB426_10 Depth=1
	s_and_not1_saveexec_b32 s3, s2
; %bb.429:                              ;   in Loop: Header=BB426_10 Depth=1
	v_and_b32_e32 v104, 0xffff, v8
	v_or_b32_e32 v105, 0x10000, v8
	s_delay_alu instid0(VALU_DEP_2) | instskip(NEXT) | instid1(VALU_DEP_1)
	v_cmp_eq_u32_e64 s2, 0, v104
	v_cndmask_b32_e64 v104, v105, v8, s2
; %bb.430:                              ;   in Loop: Header=BB426_10 Depth=1
	s_or_b32 exec_lo, exec_lo, s3
	v_mov_b32_e32 v8, 0
	s_mov_b32 s3, exec_lo
	v_cmpx_lt_u32_e32 0xffffff, v95
	s_cbranch_execz .LBB426_438
; %bb.431:                              ;   in Loop: Header=BB426_10 Depth=1
	v_lshrrev_b32_e32 v105, 24, v95
	v_bfrev_b32_e32 v8, 1
	s_mov_b32 s19, exec_lo
	s_delay_alu instid0(VALU_DEP_2)
	v_cmpx_ne_u32_e32 0x80, v105
	s_cbranch_execz .LBB426_437
; %bb.432:                              ;   in Loop: Header=BB426_10 Depth=1
	v_bfe_u32 v106, v95, 24, 7
	v_mov_b32_e32 v8, 0x7f800001
	s_mov_b32 s20, exec_lo
	s_delay_alu instid0(VALU_DEP_2)
	v_cmpx_ne_u32_e32 0x7f, v106
	s_cbranch_execz .LBB426_436
; %bb.433:                              ;   in Loop: Header=BB426_10 Depth=1
	v_and_b32_e32 v8, 7, v105
	v_lshrrev_b32_e32 v95, 3, v106
	s_mov_b32 s21, exec_lo
	v_cmpx_gt_u32_e32 8, v106
; %bb.434:                              ;   in Loop: Header=BB426_10 Depth=1
	s_delay_alu instid0(VALU_DEP_3) | instskip(NEXT) | instid1(VALU_DEP_1)
	v_clz_i32_u32_e32 v95, v8
	v_min_u32_e32 v95, 32, v95
	s_delay_alu instid0(VALU_DEP_1) | instskip(SKIP_1) | instid1(VALU_DEP_2)
	v_subrev_nc_u32_e32 v106, 28, v95
	v_sub_nc_u32_e32 v95, 29, v95
	v_lshlrev_b64 v[106:107], v106, v[8:9]
	s_delay_alu instid0(VALU_DEP_1)
	v_and_b32_e32 v8, 7, v106
; %bb.435:                              ;   in Loop: Header=BB426_10 Depth=1
	s_or_b32 exec_lo, exec_lo, s21
	v_lshlrev_b32_e32 v105, 24, v105
	s_delay_alu instid0(VALU_DEP_2) | instskip(SKIP_1) | instid1(VALU_DEP_3)
	v_lshlrev_b32_e32 v8, 20, v8
	v_lshl_add_u32 v95, v95, 23, 0x3c000000
	v_and_b32_e32 v105, 0x80000000, v105
	s_delay_alu instid0(VALU_DEP_1)
	v_or3_b32 v8, v8, v105, v95
.LBB426_436:                            ;   in Loop: Header=BB426_10 Depth=1
	s_or_b32 exec_lo, exec_lo, s20
.LBB426_437:                            ;   in Loop: Header=BB426_10 Depth=1
	s_delay_alu instid0(SALU_CYCLE_1)
	s_or_b32 exec_lo, exec_lo, s19
.LBB426_438:                            ;   in Loop: Header=BB426_10 Depth=1
	s_delay_alu instid0(SALU_CYCLE_1) | instskip(NEXT) | instid1(VALU_DEP_1)
	s_or_b32 exec_lo, exec_lo, s3
	v_mul_f32_e32 v8, v181, v8
	s_delay_alu instid0(VALU_DEP_1) | instskip(NEXT) | instid1(VALU_DEP_1)
	v_and_b32_e32 v95, 0x7f800000, v8
	v_cmp_ne_u32_e64 s2, 0x7f800000, v95
                                        ; implicit-def: $vgpr95
	s_delay_alu instid0(VALU_DEP_1) | instskip(NEXT) | instid1(SALU_CYCLE_1)
	s_and_saveexec_b32 s3, s2
	s_xor_b32 s2, exec_lo, s3
; %bb.439:                              ;   in Loop: Header=BB426_10 Depth=1
	v_bfe_u32 v95, v8, 16, 1
	s_delay_alu instid0(VALU_DEP_1)
	v_add3_u32 v95, v8, v95, 0x7fff
                                        ; implicit-def: $vgpr8
; %bb.440:                              ;   in Loop: Header=BB426_10 Depth=1
	s_and_not1_saveexec_b32 s3, s2
; %bb.441:                              ;   in Loop: Header=BB426_10 Depth=1
	v_and_b32_e32 v95, 0xffff, v8
	v_or_b32_e32 v105, 0x10000, v8
	s_delay_alu instid0(VALU_DEP_2) | instskip(NEXT) | instid1(VALU_DEP_1)
	v_cmp_eq_u32_e64 s2, 0, v95
	v_cndmask_b32_e64 v95, v105, v8, s2
; %bb.442:                              ;   in Loop: Header=BB426_10 Depth=1
	s_or_b32 exec_lo, exec_lo, s3
	flat_load_b32 v107, v[28:29] offset:1032
	s_mov_b32 s3, exec_lo
	s_waitcnt vmcnt(0) lgkmcnt(0)
	v_dual_mov_b32 v8, 0 :: v_dual_and_b32 v105, 0xff, v107
	s_delay_alu instid0(VALU_DEP_1)
	v_cmpx_ne_u16_e32 0, v105
	s_cbranch_execz .LBB426_450
; %bb.443:                              ;   in Loop: Header=BB426_10 Depth=1
	v_bfrev_b32_e32 v8, 1
	s_mov_b32 s19, exec_lo
	v_cmpx_ne_u16_e32 0x80, v105
	s_cbranch_execz .LBB426_449
; %bb.444:                              ;   in Loop: Header=BB426_10 Depth=1
	v_and_b32_e32 v106, 0x7f, v107
	v_mov_b32_e32 v8, 0x7f800001
	s_mov_b32 s20, exec_lo
	s_delay_alu instid0(VALU_DEP_2)
	v_cmpx_ne_u32_e32 0x7f, v106
	s_cbranch_execz .LBB426_448
; %bb.445:                              ;   in Loop: Header=BB426_10 Depth=1
	v_and_b32_e32 v8, 7, v107
	v_lshrrev_b32_e32 v105, 3, v106
	s_mov_b32 s21, exec_lo
	v_cmpx_gt_u32_e32 8, v106
; %bb.446:                              ;   in Loop: Header=BB426_10 Depth=1
	s_delay_alu instid0(VALU_DEP_3) | instskip(NEXT) | instid1(VALU_DEP_1)
	v_clz_i32_u32_e32 v105, v8
	v_min_u32_e32 v105, 32, v105
	s_delay_alu instid0(VALU_DEP_1) | instskip(SKIP_1) | instid1(VALU_DEP_2)
	v_subrev_nc_u32_e32 v106, 28, v105
	v_sub_nc_u32_e32 v105, 29, v105
	v_lshlrev_b64 v[108:109], v106, v[8:9]
	s_delay_alu instid0(VALU_DEP_1)
	v_and_b32_e32 v8, 7, v108
; %bb.447:                              ;   in Loop: Header=BB426_10 Depth=1
	s_or_b32 exec_lo, exec_lo, s21
	v_lshlrev_b32_e32 v106, 24, v107
	s_delay_alu instid0(VALU_DEP_2) | instskip(SKIP_1) | instid1(VALU_DEP_3)
	v_lshlrev_b32_e32 v8, 20, v8
	v_lshl_add_u32 v105, v105, 23, 0x3c000000
	v_and_b32_e32 v106, 0x80000000, v106
	s_delay_alu instid0(VALU_DEP_1)
	v_or3_b32 v8, v8, v106, v105
.LBB426_448:                            ;   in Loop: Header=BB426_10 Depth=1
	s_or_b32 exec_lo, exec_lo, s20
.LBB426_449:                            ;   in Loop: Header=BB426_10 Depth=1
	s_delay_alu instid0(SALU_CYCLE_1)
	s_or_b32 exec_lo, exec_lo, s19
.LBB426_450:                            ;   in Loop: Header=BB426_10 Depth=1
	s_delay_alu instid0(SALU_CYCLE_1) | instskip(NEXT) | instid1(VALU_DEP_1)
	s_or_b32 exec_lo, exec_lo, s3
	v_mul_f32_e32 v8, v181, v8
	s_delay_alu instid0(VALU_DEP_1) | instskip(NEXT) | instid1(VALU_DEP_1)
	v_and_b32_e32 v105, 0x7f800000, v8
	v_cmp_ne_u32_e64 s2, 0x7f800000, v105
                                        ; implicit-def: $vgpr105
	s_delay_alu instid0(VALU_DEP_1) | instskip(NEXT) | instid1(SALU_CYCLE_1)
	s_and_saveexec_b32 s3, s2
	s_xor_b32 s2, exec_lo, s3
; %bb.451:                              ;   in Loop: Header=BB426_10 Depth=1
	v_bfe_u32 v105, v8, 16, 1
	s_delay_alu instid0(VALU_DEP_1)
	v_add3_u32 v105, v8, v105, 0x7fff
                                        ; implicit-def: $vgpr8
; %bb.452:                              ;   in Loop: Header=BB426_10 Depth=1
	s_and_not1_saveexec_b32 s3, s2
; %bb.453:                              ;   in Loop: Header=BB426_10 Depth=1
	v_and_b32_e32 v105, 0xffff, v8
	v_or_b32_e32 v106, 0x10000, v8
	s_delay_alu instid0(VALU_DEP_2) | instskip(NEXT) | instid1(VALU_DEP_1)
	v_cmp_eq_u32_e64 s2, 0, v105
	v_cndmask_b32_e64 v105, v106, v8, s2
; %bb.454:                              ;   in Loop: Header=BB426_10 Depth=1
	s_or_b32 exec_lo, exec_lo, s3
	v_lshrrev_b16 v106, 8, v107
	v_mov_b32_e32 v8, 0
	s_mov_b32 s3, exec_lo
	s_delay_alu instid0(VALU_DEP_2)
	v_cmpx_ne_u16_e32 0, v106
	s_cbranch_execz .LBB426_462
; %bb.455:                              ;   in Loop: Header=BB426_10 Depth=1
	v_bfrev_b32_e32 v8, 1
	s_mov_b32 s19, exec_lo
	v_cmpx_ne_u16_e32 0x80, v106
	s_cbranch_execz .LBB426_461
; %bb.456:                              ;   in Loop: Header=BB426_10 Depth=1
	v_and_b32_e32 v106, 0xffff, v106
	v_mov_b32_e32 v8, 0x7f800001
	s_mov_b32 s20, exec_lo
	s_delay_alu instid0(VALU_DEP_2) | instskip(NEXT) | instid1(VALU_DEP_1)
	v_and_b32_e32 v108, 0x7f, v106
	v_cmpx_ne_u32_e32 0x7f, v108
	s_cbranch_execz .LBB426_460
; %bb.457:                              ;   in Loop: Header=BB426_10 Depth=1
	v_and_b32_e32 v8, 7, v106
	v_lshrrev_b32_e32 v106, 3, v108
	s_mov_b32 s21, exec_lo
	v_cmpx_gt_u32_e32 8, v108
; %bb.458:                              ;   in Loop: Header=BB426_10 Depth=1
	s_delay_alu instid0(VALU_DEP_3) | instskip(NEXT) | instid1(VALU_DEP_1)
	v_clz_i32_u32_e32 v106, v8
	v_min_u32_e32 v106, 32, v106
	s_delay_alu instid0(VALU_DEP_1) | instskip(SKIP_1) | instid1(VALU_DEP_2)
	v_subrev_nc_u32_e32 v108, 28, v106
	v_sub_nc_u32_e32 v106, 29, v106
	v_lshlrev_b64 v[108:109], v108, v[8:9]
	s_delay_alu instid0(VALU_DEP_1)
	v_and_b32_e32 v8, 7, v108
; %bb.459:                              ;   in Loop: Header=BB426_10 Depth=1
	s_or_b32 exec_lo, exec_lo, s21
	v_lshlrev_b32_e32 v108, 16, v107
	s_delay_alu instid0(VALU_DEP_2) | instskip(SKIP_1) | instid1(VALU_DEP_3)
	v_lshlrev_b32_e32 v8, 20, v8
	v_lshl_add_u32 v106, v106, 23, 0x3c000000
	v_and_b32_e32 v108, 0x80000000, v108
	s_delay_alu instid0(VALU_DEP_1)
	v_or3_b32 v8, v8, v108, v106
.LBB426_460:                            ;   in Loop: Header=BB426_10 Depth=1
	s_or_b32 exec_lo, exec_lo, s20
.LBB426_461:                            ;   in Loop: Header=BB426_10 Depth=1
	s_delay_alu instid0(SALU_CYCLE_1)
	s_or_b32 exec_lo, exec_lo, s19
.LBB426_462:                            ;   in Loop: Header=BB426_10 Depth=1
	s_delay_alu instid0(SALU_CYCLE_1) | instskip(NEXT) | instid1(VALU_DEP_1)
	s_or_b32 exec_lo, exec_lo, s3
	v_mul_f32_e32 v8, v181, v8
	s_delay_alu instid0(VALU_DEP_1) | instskip(NEXT) | instid1(VALU_DEP_1)
	v_and_b32_e32 v106, 0x7f800000, v8
	v_cmp_ne_u32_e64 s2, 0x7f800000, v106
                                        ; implicit-def: $vgpr106
	s_delay_alu instid0(VALU_DEP_1) | instskip(NEXT) | instid1(SALU_CYCLE_1)
	s_and_saveexec_b32 s3, s2
	s_xor_b32 s2, exec_lo, s3
; %bb.463:                              ;   in Loop: Header=BB426_10 Depth=1
	v_bfe_u32 v106, v8, 16, 1
	s_delay_alu instid0(VALU_DEP_1)
	v_add3_u32 v106, v8, v106, 0x7fff
                                        ; implicit-def: $vgpr8
; %bb.464:                              ;   in Loop: Header=BB426_10 Depth=1
	s_and_not1_saveexec_b32 s3, s2
; %bb.465:                              ;   in Loop: Header=BB426_10 Depth=1
	v_and_b32_e32 v106, 0xffff, v8
	v_or_b32_e32 v108, 0x10000, v8
	s_delay_alu instid0(VALU_DEP_2) | instskip(NEXT) | instid1(VALU_DEP_1)
	v_cmp_eq_u32_e64 s2, 0, v106
	v_cndmask_b32_e64 v106, v108, v8, s2
; %bb.466:                              ;   in Loop: Header=BB426_10 Depth=1
	s_or_b32 exec_lo, exec_lo, s3
	v_lshrrev_b32_e32 v108, 16, v107
	s_mov_b32 s3, exec_lo
	s_delay_alu instid0(VALU_DEP_1) | instskip(NEXT) | instid1(VALU_DEP_1)
	v_dual_mov_b32 v8, 0 :: v_dual_and_b32 v109, 0xff, v108
	v_cmpx_ne_u16_e32 0, v109
	s_cbranch_execz .LBB426_474
; %bb.467:                              ;   in Loop: Header=BB426_10 Depth=1
	v_bfrev_b32_e32 v8, 1
	s_mov_b32 s19, exec_lo
	v_cmpx_ne_u16_e32 0x80, v109
	s_cbranch_execz .LBB426_473
; %bb.468:                              ;   in Loop: Header=BB426_10 Depth=1
	v_bfe_u32 v110, v107, 16, 7
	v_mov_b32_e32 v8, 0x7f800001
	s_mov_b32 s20, exec_lo
	s_delay_alu instid0(VALU_DEP_2)
	v_cmpx_ne_u32_e32 0x7f, v110
	s_cbranch_execz .LBB426_472
; %bb.469:                              ;   in Loop: Header=BB426_10 Depth=1
	v_and_b32_e32 v8, 7, v108
	v_lshrrev_b32_e32 v109, 3, v110
	s_mov_b32 s21, exec_lo
	v_cmpx_gt_u32_e32 8, v110
; %bb.470:                              ;   in Loop: Header=BB426_10 Depth=1
	s_delay_alu instid0(VALU_DEP_3) | instskip(NEXT) | instid1(VALU_DEP_1)
	v_clz_i32_u32_e32 v109, v8
	v_min_u32_e32 v109, 32, v109
	s_delay_alu instid0(VALU_DEP_1) | instskip(SKIP_1) | instid1(VALU_DEP_2)
	v_subrev_nc_u32_e32 v110, 28, v109
	v_sub_nc_u32_e32 v109, 29, v109
	v_lshlrev_b64 v[110:111], v110, v[8:9]
	s_delay_alu instid0(VALU_DEP_1)
	v_and_b32_e32 v8, 7, v110
; %bb.471:                              ;   in Loop: Header=BB426_10 Depth=1
	s_or_b32 exec_lo, exec_lo, s21
	v_lshlrev_b32_e32 v108, 24, v108
	s_delay_alu instid0(VALU_DEP_2) | instskip(SKIP_1) | instid1(VALU_DEP_3)
	v_lshlrev_b32_e32 v8, 20, v8
	v_lshl_add_u32 v109, v109, 23, 0x3c000000
	v_and_b32_e32 v108, 0x80000000, v108
	s_delay_alu instid0(VALU_DEP_1)
	v_or3_b32 v8, v8, v108, v109
.LBB426_472:                            ;   in Loop: Header=BB426_10 Depth=1
	s_or_b32 exec_lo, exec_lo, s20
.LBB426_473:                            ;   in Loop: Header=BB426_10 Depth=1
	s_delay_alu instid0(SALU_CYCLE_1)
	s_or_b32 exec_lo, exec_lo, s19
.LBB426_474:                            ;   in Loop: Header=BB426_10 Depth=1
	s_delay_alu instid0(SALU_CYCLE_1) | instskip(NEXT) | instid1(VALU_DEP_1)
	s_or_b32 exec_lo, exec_lo, s3
	v_mul_f32_e32 v8, v181, v8
	s_delay_alu instid0(VALU_DEP_1) | instskip(NEXT) | instid1(VALU_DEP_1)
	v_and_b32_e32 v108, 0x7f800000, v8
	v_cmp_ne_u32_e64 s2, 0x7f800000, v108
                                        ; implicit-def: $vgpr108
	s_delay_alu instid0(VALU_DEP_1) | instskip(NEXT) | instid1(SALU_CYCLE_1)
	s_and_saveexec_b32 s3, s2
	s_xor_b32 s2, exec_lo, s3
; %bb.475:                              ;   in Loop: Header=BB426_10 Depth=1
	v_bfe_u32 v108, v8, 16, 1
	s_delay_alu instid0(VALU_DEP_1)
	v_add3_u32 v108, v8, v108, 0x7fff
                                        ; implicit-def: $vgpr8
; %bb.476:                              ;   in Loop: Header=BB426_10 Depth=1
	s_and_not1_saveexec_b32 s3, s2
; %bb.477:                              ;   in Loop: Header=BB426_10 Depth=1
	v_and_b32_e32 v108, 0xffff, v8
	v_or_b32_e32 v109, 0x10000, v8
	s_delay_alu instid0(VALU_DEP_2) | instskip(NEXT) | instid1(VALU_DEP_1)
	v_cmp_eq_u32_e64 s2, 0, v108
	v_cndmask_b32_e64 v108, v109, v8, s2
; %bb.478:                              ;   in Loop: Header=BB426_10 Depth=1
	s_or_b32 exec_lo, exec_lo, s3
	v_mov_b32_e32 v8, 0
	s_mov_b32 s3, exec_lo
	v_cmpx_lt_u32_e32 0xffffff, v107
	s_cbranch_execz .LBB426_486
; %bb.479:                              ;   in Loop: Header=BB426_10 Depth=1
	v_lshrrev_b32_e32 v109, 24, v107
	v_bfrev_b32_e32 v8, 1
	s_mov_b32 s19, exec_lo
	s_delay_alu instid0(VALU_DEP_2)
	v_cmpx_ne_u32_e32 0x80, v109
	s_cbranch_execz .LBB426_485
; %bb.480:                              ;   in Loop: Header=BB426_10 Depth=1
	v_bfe_u32 v110, v107, 24, 7
	v_mov_b32_e32 v8, 0x7f800001
	s_mov_b32 s20, exec_lo
	s_delay_alu instid0(VALU_DEP_2)
	v_cmpx_ne_u32_e32 0x7f, v110
	s_cbranch_execz .LBB426_484
; %bb.481:                              ;   in Loop: Header=BB426_10 Depth=1
	v_and_b32_e32 v8, 7, v109
	v_lshrrev_b32_e32 v107, 3, v110
	s_mov_b32 s21, exec_lo
	v_cmpx_gt_u32_e32 8, v110
; %bb.482:                              ;   in Loop: Header=BB426_10 Depth=1
	s_delay_alu instid0(VALU_DEP_3) | instskip(NEXT) | instid1(VALU_DEP_1)
	v_clz_i32_u32_e32 v107, v8
	v_min_u32_e32 v107, 32, v107
	s_delay_alu instid0(VALU_DEP_1) | instskip(SKIP_1) | instid1(VALU_DEP_2)
	v_subrev_nc_u32_e32 v110, 28, v107
	v_sub_nc_u32_e32 v107, 29, v107
	v_lshlrev_b64 v[110:111], v110, v[8:9]
	s_delay_alu instid0(VALU_DEP_1)
	v_and_b32_e32 v8, 7, v110
; %bb.483:                              ;   in Loop: Header=BB426_10 Depth=1
	s_or_b32 exec_lo, exec_lo, s21
	v_lshlrev_b32_e32 v109, 24, v109
	s_delay_alu instid0(VALU_DEP_2) | instskip(SKIP_1) | instid1(VALU_DEP_3)
	v_lshlrev_b32_e32 v8, 20, v8
	v_lshl_add_u32 v107, v107, 23, 0x3c000000
	v_and_b32_e32 v109, 0x80000000, v109
	s_delay_alu instid0(VALU_DEP_1)
	v_or3_b32 v8, v8, v109, v107
.LBB426_484:                            ;   in Loop: Header=BB426_10 Depth=1
	s_or_b32 exec_lo, exec_lo, s20
.LBB426_485:                            ;   in Loop: Header=BB426_10 Depth=1
	s_delay_alu instid0(SALU_CYCLE_1)
	s_or_b32 exec_lo, exec_lo, s19
.LBB426_486:                            ;   in Loop: Header=BB426_10 Depth=1
	s_delay_alu instid0(SALU_CYCLE_1) | instskip(NEXT) | instid1(VALU_DEP_1)
	s_or_b32 exec_lo, exec_lo, s3
	v_mul_f32_e32 v8, v181, v8
	s_delay_alu instid0(VALU_DEP_1) | instskip(NEXT) | instid1(VALU_DEP_1)
	v_and_b32_e32 v107, 0x7f800000, v8
	v_cmp_ne_u32_e64 s2, 0x7f800000, v107
                                        ; implicit-def: $vgpr107
	s_delay_alu instid0(VALU_DEP_1) | instskip(NEXT) | instid1(SALU_CYCLE_1)
	s_and_saveexec_b32 s3, s2
	s_xor_b32 s2, exec_lo, s3
; %bb.487:                              ;   in Loop: Header=BB426_10 Depth=1
	v_bfe_u32 v107, v8, 16, 1
	s_delay_alu instid0(VALU_DEP_1)
	v_add3_u32 v107, v8, v107, 0x7fff
                                        ; implicit-def: $vgpr8
; %bb.488:                              ;   in Loop: Header=BB426_10 Depth=1
	s_and_not1_saveexec_b32 s3, s2
; %bb.489:                              ;   in Loop: Header=BB426_10 Depth=1
	v_and_b32_e32 v107, 0xffff, v8
	v_or_b32_e32 v109, 0x10000, v8
	s_delay_alu instid0(VALU_DEP_2) | instskip(NEXT) | instid1(VALU_DEP_1)
	v_cmp_eq_u32_e64 s2, 0, v107
	v_cndmask_b32_e64 v107, v109, v8, s2
; %bb.490:                              ;   in Loop: Header=BB426_10 Depth=1
	s_or_b32 exec_lo, exec_lo, s3
	flat_load_b32 v111, v[28:29] offset:1280
	s_mov_b32 s3, exec_lo
	s_waitcnt vmcnt(0) lgkmcnt(0)
	v_dual_mov_b32 v8, 0 :: v_dual_and_b32 v109, 0xff, v111
	s_delay_alu instid0(VALU_DEP_1)
	v_cmpx_ne_u16_e32 0, v109
	s_cbranch_execz .LBB426_498
; %bb.491:                              ;   in Loop: Header=BB426_10 Depth=1
	v_bfrev_b32_e32 v8, 1
	s_mov_b32 s19, exec_lo
	v_cmpx_ne_u16_e32 0x80, v109
	s_cbranch_execz .LBB426_497
; %bb.492:                              ;   in Loop: Header=BB426_10 Depth=1
	v_and_b32_e32 v110, 0x7f, v111
	v_mov_b32_e32 v8, 0x7f800001
	s_mov_b32 s20, exec_lo
	s_delay_alu instid0(VALU_DEP_2)
	v_cmpx_ne_u32_e32 0x7f, v110
	s_cbranch_execz .LBB426_496
; %bb.493:                              ;   in Loop: Header=BB426_10 Depth=1
	v_and_b32_e32 v8, 7, v111
	v_lshrrev_b32_e32 v109, 3, v110
	s_mov_b32 s21, exec_lo
	v_cmpx_gt_u32_e32 8, v110
; %bb.494:                              ;   in Loop: Header=BB426_10 Depth=1
	s_delay_alu instid0(VALU_DEP_3) | instskip(NEXT) | instid1(VALU_DEP_1)
	v_clz_i32_u32_e32 v109, v8
	v_min_u32_e32 v109, 32, v109
	s_delay_alu instid0(VALU_DEP_1) | instskip(SKIP_1) | instid1(VALU_DEP_2)
	v_subrev_nc_u32_e32 v110, 28, v109
	v_sub_nc_u32_e32 v109, 29, v109
	v_lshlrev_b64 v[120:121], v110, v[8:9]
	s_delay_alu instid0(VALU_DEP_1)
	v_and_b32_e32 v8, 7, v120
; %bb.495:                              ;   in Loop: Header=BB426_10 Depth=1
	s_or_b32 exec_lo, exec_lo, s21
	v_lshlrev_b32_e32 v110, 24, v111
	s_delay_alu instid0(VALU_DEP_2) | instskip(SKIP_1) | instid1(VALU_DEP_3)
	v_lshlrev_b32_e32 v8, 20, v8
	v_lshl_add_u32 v109, v109, 23, 0x3c000000
	v_and_b32_e32 v110, 0x80000000, v110
	s_delay_alu instid0(VALU_DEP_1)
	v_or3_b32 v8, v8, v110, v109
.LBB426_496:                            ;   in Loop: Header=BB426_10 Depth=1
	s_or_b32 exec_lo, exec_lo, s20
.LBB426_497:                            ;   in Loop: Header=BB426_10 Depth=1
	s_delay_alu instid0(SALU_CYCLE_1)
	s_or_b32 exec_lo, exec_lo, s19
.LBB426_498:                            ;   in Loop: Header=BB426_10 Depth=1
	s_delay_alu instid0(SALU_CYCLE_1) | instskip(NEXT) | instid1(VALU_DEP_1)
	s_or_b32 exec_lo, exec_lo, s3
	v_mul_f32_e32 v8, v181, v8
	s_delay_alu instid0(VALU_DEP_1) | instskip(NEXT) | instid1(VALU_DEP_1)
	v_and_b32_e32 v109, 0x7f800000, v8
	v_cmp_ne_u32_e64 s2, 0x7f800000, v109
                                        ; implicit-def: $vgpr109
	s_delay_alu instid0(VALU_DEP_1) | instskip(NEXT) | instid1(SALU_CYCLE_1)
	s_and_saveexec_b32 s3, s2
	s_xor_b32 s2, exec_lo, s3
; %bb.499:                              ;   in Loop: Header=BB426_10 Depth=1
	v_bfe_u32 v109, v8, 16, 1
	s_delay_alu instid0(VALU_DEP_1)
	v_add3_u32 v109, v8, v109, 0x7fff
                                        ; implicit-def: $vgpr8
; %bb.500:                              ;   in Loop: Header=BB426_10 Depth=1
	s_and_not1_saveexec_b32 s3, s2
; %bb.501:                              ;   in Loop: Header=BB426_10 Depth=1
	v_and_b32_e32 v109, 0xffff, v8
	v_or_b32_e32 v110, 0x10000, v8
	s_delay_alu instid0(VALU_DEP_2) | instskip(NEXT) | instid1(VALU_DEP_1)
	v_cmp_eq_u32_e64 s2, 0, v109
	v_cndmask_b32_e64 v109, v110, v8, s2
; %bb.502:                              ;   in Loop: Header=BB426_10 Depth=1
	s_or_b32 exec_lo, exec_lo, s3
	v_lshrrev_b16 v110, 8, v111
	v_mov_b32_e32 v8, 0
	s_mov_b32 s3, exec_lo
	s_delay_alu instid0(VALU_DEP_2)
	v_cmpx_ne_u16_e32 0, v110
	s_cbranch_execz .LBB426_510
; %bb.503:                              ;   in Loop: Header=BB426_10 Depth=1
	v_bfrev_b32_e32 v8, 1
	s_mov_b32 s19, exec_lo
	v_cmpx_ne_u16_e32 0x80, v110
	s_cbranch_execz .LBB426_509
; %bb.504:                              ;   in Loop: Header=BB426_10 Depth=1
	v_and_b32_e32 v110, 0xffff, v110
	v_mov_b32_e32 v8, 0x7f800001
	s_mov_b32 s20, exec_lo
	s_delay_alu instid0(VALU_DEP_2) | instskip(NEXT) | instid1(VALU_DEP_1)
	v_and_b32_e32 v120, 0x7f, v110
	v_cmpx_ne_u32_e32 0x7f, v120
	s_cbranch_execz .LBB426_508
; %bb.505:                              ;   in Loop: Header=BB426_10 Depth=1
	v_and_b32_e32 v8, 7, v110
	v_lshrrev_b32_e32 v110, 3, v120
	s_mov_b32 s21, exec_lo
	v_cmpx_gt_u32_e32 8, v120
; %bb.506:                              ;   in Loop: Header=BB426_10 Depth=1
	s_delay_alu instid0(VALU_DEP_3) | instskip(NEXT) | instid1(VALU_DEP_1)
	v_clz_i32_u32_e32 v110, v8
	v_min_u32_e32 v110, 32, v110
	s_delay_alu instid0(VALU_DEP_1) | instskip(SKIP_1) | instid1(VALU_DEP_2)
	v_subrev_nc_u32_e32 v120, 28, v110
	v_sub_nc_u32_e32 v110, 29, v110
	v_lshlrev_b64 v[120:121], v120, v[8:9]
	s_delay_alu instid0(VALU_DEP_1)
	v_and_b32_e32 v8, 7, v120
; %bb.507:                              ;   in Loop: Header=BB426_10 Depth=1
	s_or_b32 exec_lo, exec_lo, s21
	v_lshlrev_b32_e32 v120, 16, v111
	s_delay_alu instid0(VALU_DEP_2) | instskip(SKIP_1) | instid1(VALU_DEP_3)
	v_lshlrev_b32_e32 v8, 20, v8
	v_lshl_add_u32 v110, v110, 23, 0x3c000000
	v_and_b32_e32 v120, 0x80000000, v120
	s_delay_alu instid0(VALU_DEP_1)
	v_or3_b32 v8, v8, v120, v110
.LBB426_508:                            ;   in Loop: Header=BB426_10 Depth=1
	s_or_b32 exec_lo, exec_lo, s20
.LBB426_509:                            ;   in Loop: Header=BB426_10 Depth=1
	s_delay_alu instid0(SALU_CYCLE_1)
	s_or_b32 exec_lo, exec_lo, s19
.LBB426_510:                            ;   in Loop: Header=BB426_10 Depth=1
	s_delay_alu instid0(SALU_CYCLE_1) | instskip(NEXT) | instid1(VALU_DEP_1)
	s_or_b32 exec_lo, exec_lo, s3
	v_mul_f32_e32 v8, v181, v8
	s_delay_alu instid0(VALU_DEP_1) | instskip(NEXT) | instid1(VALU_DEP_1)
	v_and_b32_e32 v110, 0x7f800000, v8
	v_cmp_ne_u32_e64 s2, 0x7f800000, v110
                                        ; implicit-def: $vgpr110
	s_delay_alu instid0(VALU_DEP_1) | instskip(NEXT) | instid1(SALU_CYCLE_1)
	s_and_saveexec_b32 s3, s2
	s_xor_b32 s2, exec_lo, s3
; %bb.511:                              ;   in Loop: Header=BB426_10 Depth=1
	v_bfe_u32 v110, v8, 16, 1
	s_delay_alu instid0(VALU_DEP_1)
	v_add3_u32 v110, v8, v110, 0x7fff
                                        ; implicit-def: $vgpr8
; %bb.512:                              ;   in Loop: Header=BB426_10 Depth=1
	s_and_not1_saveexec_b32 s3, s2
; %bb.513:                              ;   in Loop: Header=BB426_10 Depth=1
	v_and_b32_e32 v110, 0xffff, v8
	v_or_b32_e32 v120, 0x10000, v8
	s_delay_alu instid0(VALU_DEP_2) | instskip(NEXT) | instid1(VALU_DEP_1)
	v_cmp_eq_u32_e64 s2, 0, v110
	v_cndmask_b32_e64 v110, v120, v8, s2
; %bb.514:                              ;   in Loop: Header=BB426_10 Depth=1
	s_or_b32 exec_lo, exec_lo, s3
	v_lshrrev_b32_e32 v120, 16, v111
	s_mov_b32 s3, exec_lo
	s_delay_alu instid0(VALU_DEP_1) | instskip(NEXT) | instid1(VALU_DEP_1)
	v_dual_mov_b32 v8, 0 :: v_dual_and_b32 v121, 0xff, v120
	v_cmpx_ne_u16_e32 0, v121
	s_cbranch_execz .LBB426_522
; %bb.515:                              ;   in Loop: Header=BB426_10 Depth=1
	v_bfrev_b32_e32 v8, 1
	s_mov_b32 s19, exec_lo
	v_cmpx_ne_u16_e32 0x80, v121
	s_cbranch_execz .LBB426_521
; %bb.516:                              ;   in Loop: Header=BB426_10 Depth=1
	v_bfe_u32 v122, v111, 16, 7
	v_mov_b32_e32 v8, 0x7f800001
	s_mov_b32 s20, exec_lo
	s_delay_alu instid0(VALU_DEP_2)
	v_cmpx_ne_u32_e32 0x7f, v122
	s_cbranch_execz .LBB426_520
; %bb.517:                              ;   in Loop: Header=BB426_10 Depth=1
	v_and_b32_e32 v8, 7, v120
	v_lshrrev_b32_e32 v121, 3, v122
	s_mov_b32 s21, exec_lo
	v_cmpx_gt_u32_e32 8, v122
; %bb.518:                              ;   in Loop: Header=BB426_10 Depth=1
	s_delay_alu instid0(VALU_DEP_3) | instskip(NEXT) | instid1(VALU_DEP_1)
	v_clz_i32_u32_e32 v121, v8
	v_min_u32_e32 v121, 32, v121
	s_delay_alu instid0(VALU_DEP_1) | instskip(SKIP_1) | instid1(VALU_DEP_2)
	v_subrev_nc_u32_e32 v122, 28, v121
	v_sub_nc_u32_e32 v121, 29, v121
	v_lshlrev_b64 v[122:123], v122, v[8:9]
	s_delay_alu instid0(VALU_DEP_1)
	v_and_b32_e32 v8, 7, v122
; %bb.519:                              ;   in Loop: Header=BB426_10 Depth=1
	s_or_b32 exec_lo, exec_lo, s21
	v_lshlrev_b32_e32 v120, 24, v120
	s_delay_alu instid0(VALU_DEP_2) | instskip(SKIP_1) | instid1(VALU_DEP_3)
	v_lshlrev_b32_e32 v8, 20, v8
	v_lshl_add_u32 v121, v121, 23, 0x3c000000
	v_and_b32_e32 v120, 0x80000000, v120
	s_delay_alu instid0(VALU_DEP_1)
	v_or3_b32 v8, v8, v120, v121
.LBB426_520:                            ;   in Loop: Header=BB426_10 Depth=1
	s_or_b32 exec_lo, exec_lo, s20
.LBB426_521:                            ;   in Loop: Header=BB426_10 Depth=1
	s_delay_alu instid0(SALU_CYCLE_1)
	s_or_b32 exec_lo, exec_lo, s19
.LBB426_522:                            ;   in Loop: Header=BB426_10 Depth=1
	s_delay_alu instid0(SALU_CYCLE_1) | instskip(NEXT) | instid1(VALU_DEP_1)
	s_or_b32 exec_lo, exec_lo, s3
	v_mul_f32_e32 v8, v181, v8
	s_delay_alu instid0(VALU_DEP_1) | instskip(NEXT) | instid1(VALU_DEP_1)
	v_and_b32_e32 v120, 0x7f800000, v8
	v_cmp_ne_u32_e64 s2, 0x7f800000, v120
                                        ; implicit-def: $vgpr120
	s_delay_alu instid0(VALU_DEP_1) | instskip(NEXT) | instid1(SALU_CYCLE_1)
	s_and_saveexec_b32 s3, s2
	s_xor_b32 s2, exec_lo, s3
; %bb.523:                              ;   in Loop: Header=BB426_10 Depth=1
	v_bfe_u32 v120, v8, 16, 1
	s_delay_alu instid0(VALU_DEP_1)
	v_add3_u32 v120, v8, v120, 0x7fff
                                        ; implicit-def: $vgpr8
; %bb.524:                              ;   in Loop: Header=BB426_10 Depth=1
	s_and_not1_saveexec_b32 s3, s2
; %bb.525:                              ;   in Loop: Header=BB426_10 Depth=1
	v_and_b32_e32 v120, 0xffff, v8
	v_or_b32_e32 v121, 0x10000, v8
	s_delay_alu instid0(VALU_DEP_2) | instskip(NEXT) | instid1(VALU_DEP_1)
	v_cmp_eq_u32_e64 s2, 0, v120
	v_cndmask_b32_e64 v120, v121, v8, s2
; %bb.526:                              ;   in Loop: Header=BB426_10 Depth=1
	s_or_b32 exec_lo, exec_lo, s3
	v_mov_b32_e32 v8, 0
	s_mov_b32 s3, exec_lo
	v_cmpx_lt_u32_e32 0xffffff, v111
	s_cbranch_execz .LBB426_534
; %bb.527:                              ;   in Loop: Header=BB426_10 Depth=1
	v_lshrrev_b32_e32 v121, 24, v111
	v_bfrev_b32_e32 v8, 1
	s_mov_b32 s19, exec_lo
	s_delay_alu instid0(VALU_DEP_2)
	v_cmpx_ne_u32_e32 0x80, v121
	s_cbranch_execz .LBB426_533
; %bb.528:                              ;   in Loop: Header=BB426_10 Depth=1
	v_bfe_u32 v122, v111, 24, 7
	v_mov_b32_e32 v8, 0x7f800001
	s_mov_b32 s20, exec_lo
	s_delay_alu instid0(VALU_DEP_2)
	v_cmpx_ne_u32_e32 0x7f, v122
	s_cbranch_execz .LBB426_532
; %bb.529:                              ;   in Loop: Header=BB426_10 Depth=1
	v_and_b32_e32 v8, 7, v121
	v_lshrrev_b32_e32 v111, 3, v122
	s_mov_b32 s21, exec_lo
	v_cmpx_gt_u32_e32 8, v122
; %bb.530:                              ;   in Loop: Header=BB426_10 Depth=1
	s_delay_alu instid0(VALU_DEP_3) | instskip(NEXT) | instid1(VALU_DEP_1)
	v_clz_i32_u32_e32 v111, v8
	v_min_u32_e32 v111, 32, v111
	s_delay_alu instid0(VALU_DEP_1) | instskip(SKIP_1) | instid1(VALU_DEP_2)
	v_subrev_nc_u32_e32 v122, 28, v111
	v_sub_nc_u32_e32 v111, 29, v111
	v_lshlrev_b64 v[122:123], v122, v[8:9]
	s_delay_alu instid0(VALU_DEP_1)
	v_and_b32_e32 v8, 7, v122
; %bb.531:                              ;   in Loop: Header=BB426_10 Depth=1
	s_or_b32 exec_lo, exec_lo, s21
	v_lshlrev_b32_e32 v121, 24, v121
	s_delay_alu instid0(VALU_DEP_2) | instskip(SKIP_1) | instid1(VALU_DEP_3)
	v_lshlrev_b32_e32 v8, 20, v8
	v_lshl_add_u32 v111, v111, 23, 0x3c000000
	v_and_b32_e32 v121, 0x80000000, v121
	s_delay_alu instid0(VALU_DEP_1)
	v_or3_b32 v8, v8, v121, v111
.LBB426_532:                            ;   in Loop: Header=BB426_10 Depth=1
	s_or_b32 exec_lo, exec_lo, s20
.LBB426_533:                            ;   in Loop: Header=BB426_10 Depth=1
	s_delay_alu instid0(SALU_CYCLE_1)
	s_or_b32 exec_lo, exec_lo, s19
.LBB426_534:                            ;   in Loop: Header=BB426_10 Depth=1
	s_delay_alu instid0(SALU_CYCLE_1) | instskip(NEXT) | instid1(VALU_DEP_1)
	s_or_b32 exec_lo, exec_lo, s3
	v_mul_f32_e32 v8, v181, v8
	s_delay_alu instid0(VALU_DEP_1) | instskip(NEXT) | instid1(VALU_DEP_1)
	v_and_b32_e32 v111, 0x7f800000, v8
	v_cmp_ne_u32_e64 s2, 0x7f800000, v111
                                        ; implicit-def: $vgpr111
	s_delay_alu instid0(VALU_DEP_1) | instskip(NEXT) | instid1(SALU_CYCLE_1)
	s_and_saveexec_b32 s3, s2
	s_xor_b32 s2, exec_lo, s3
; %bb.535:                              ;   in Loop: Header=BB426_10 Depth=1
	v_bfe_u32 v111, v8, 16, 1
	s_delay_alu instid0(VALU_DEP_1)
	v_add3_u32 v111, v8, v111, 0x7fff
                                        ; implicit-def: $vgpr8
; %bb.536:                              ;   in Loop: Header=BB426_10 Depth=1
	s_and_not1_saveexec_b32 s3, s2
; %bb.537:                              ;   in Loop: Header=BB426_10 Depth=1
	v_and_b32_e32 v111, 0xffff, v8
	v_or_b32_e32 v121, 0x10000, v8
	s_delay_alu instid0(VALU_DEP_2) | instskip(NEXT) | instid1(VALU_DEP_1)
	v_cmp_eq_u32_e64 s2, 0, v111
	v_cndmask_b32_e64 v111, v121, v8, s2
; %bb.538:                              ;   in Loop: Header=BB426_10 Depth=1
	s_or_b32 exec_lo, exec_lo, s3
	flat_load_b32 v123, v[28:29] offset:1288
	s_mov_b32 s3, exec_lo
	s_waitcnt vmcnt(0) lgkmcnt(0)
	v_dual_mov_b32 v8, 0 :: v_dual_and_b32 v121, 0xff, v123
	s_delay_alu instid0(VALU_DEP_1)
	v_cmpx_ne_u16_e32 0, v121
	s_cbranch_execz .LBB426_546
; %bb.539:                              ;   in Loop: Header=BB426_10 Depth=1
	v_bfrev_b32_e32 v8, 1
	s_mov_b32 s19, exec_lo
	v_cmpx_ne_u16_e32 0x80, v121
	s_cbranch_execz .LBB426_545
; %bb.540:                              ;   in Loop: Header=BB426_10 Depth=1
	v_and_b32_e32 v122, 0x7f, v123
	v_mov_b32_e32 v8, 0x7f800001
	s_mov_b32 s20, exec_lo
	s_delay_alu instid0(VALU_DEP_2)
	v_cmpx_ne_u32_e32 0x7f, v122
	s_cbranch_execz .LBB426_544
; %bb.541:                              ;   in Loop: Header=BB426_10 Depth=1
	v_and_b32_e32 v8, 7, v123
	v_lshrrev_b32_e32 v121, 3, v122
	s_mov_b32 s21, exec_lo
	v_cmpx_gt_u32_e32 8, v122
; %bb.542:                              ;   in Loop: Header=BB426_10 Depth=1
	s_delay_alu instid0(VALU_DEP_3) | instskip(NEXT) | instid1(VALU_DEP_1)
	v_clz_i32_u32_e32 v121, v8
	v_min_u32_e32 v121, 32, v121
	s_delay_alu instid0(VALU_DEP_1) | instskip(SKIP_1) | instid1(VALU_DEP_2)
	v_subrev_nc_u32_e32 v122, 28, v121
	v_sub_nc_u32_e32 v121, 29, v121
	v_lshlrev_b64 v[124:125], v122, v[8:9]
	s_delay_alu instid0(VALU_DEP_1)
	v_and_b32_e32 v8, 7, v124
; %bb.543:                              ;   in Loop: Header=BB426_10 Depth=1
	s_or_b32 exec_lo, exec_lo, s21
	v_lshlrev_b32_e32 v122, 24, v123
	s_delay_alu instid0(VALU_DEP_2) | instskip(SKIP_1) | instid1(VALU_DEP_3)
	v_lshlrev_b32_e32 v8, 20, v8
	v_lshl_add_u32 v121, v121, 23, 0x3c000000
	v_and_b32_e32 v122, 0x80000000, v122
	s_delay_alu instid0(VALU_DEP_1)
	v_or3_b32 v8, v8, v122, v121
.LBB426_544:                            ;   in Loop: Header=BB426_10 Depth=1
	s_or_b32 exec_lo, exec_lo, s20
.LBB426_545:                            ;   in Loop: Header=BB426_10 Depth=1
	s_delay_alu instid0(SALU_CYCLE_1)
	s_or_b32 exec_lo, exec_lo, s19
.LBB426_546:                            ;   in Loop: Header=BB426_10 Depth=1
	s_delay_alu instid0(SALU_CYCLE_1) | instskip(NEXT) | instid1(VALU_DEP_1)
	s_or_b32 exec_lo, exec_lo, s3
	v_mul_f32_e32 v8, v181, v8
	s_delay_alu instid0(VALU_DEP_1) | instskip(NEXT) | instid1(VALU_DEP_1)
	v_and_b32_e32 v121, 0x7f800000, v8
	v_cmp_ne_u32_e64 s2, 0x7f800000, v121
                                        ; implicit-def: $vgpr121
	s_delay_alu instid0(VALU_DEP_1) | instskip(NEXT) | instid1(SALU_CYCLE_1)
	s_and_saveexec_b32 s3, s2
	s_xor_b32 s2, exec_lo, s3
; %bb.547:                              ;   in Loop: Header=BB426_10 Depth=1
	v_bfe_u32 v121, v8, 16, 1
	s_delay_alu instid0(VALU_DEP_1)
	v_add3_u32 v121, v8, v121, 0x7fff
                                        ; implicit-def: $vgpr8
; %bb.548:                              ;   in Loop: Header=BB426_10 Depth=1
	s_and_not1_saveexec_b32 s3, s2
; %bb.549:                              ;   in Loop: Header=BB426_10 Depth=1
	v_and_b32_e32 v121, 0xffff, v8
	v_or_b32_e32 v122, 0x10000, v8
	s_delay_alu instid0(VALU_DEP_2) | instskip(NEXT) | instid1(VALU_DEP_1)
	v_cmp_eq_u32_e64 s2, 0, v121
	v_cndmask_b32_e64 v121, v122, v8, s2
; %bb.550:                              ;   in Loop: Header=BB426_10 Depth=1
	s_or_b32 exec_lo, exec_lo, s3
	v_lshrrev_b16 v122, 8, v123
	v_mov_b32_e32 v8, 0
	s_mov_b32 s3, exec_lo
	s_delay_alu instid0(VALU_DEP_2)
	v_cmpx_ne_u16_e32 0, v122
	s_cbranch_execz .LBB426_558
; %bb.551:                              ;   in Loop: Header=BB426_10 Depth=1
	v_bfrev_b32_e32 v8, 1
	s_mov_b32 s19, exec_lo
	v_cmpx_ne_u16_e32 0x80, v122
	s_cbranch_execz .LBB426_557
; %bb.552:                              ;   in Loop: Header=BB426_10 Depth=1
	v_and_b32_e32 v122, 0xffff, v122
	v_mov_b32_e32 v8, 0x7f800001
	s_mov_b32 s20, exec_lo
	s_delay_alu instid0(VALU_DEP_2) | instskip(NEXT) | instid1(VALU_DEP_1)
	v_and_b32_e32 v124, 0x7f, v122
	v_cmpx_ne_u32_e32 0x7f, v124
	s_cbranch_execz .LBB426_556
; %bb.553:                              ;   in Loop: Header=BB426_10 Depth=1
	v_and_b32_e32 v8, 7, v122
	v_lshrrev_b32_e32 v122, 3, v124
	s_mov_b32 s21, exec_lo
	v_cmpx_gt_u32_e32 8, v124
; %bb.554:                              ;   in Loop: Header=BB426_10 Depth=1
	s_delay_alu instid0(VALU_DEP_3) | instskip(NEXT) | instid1(VALU_DEP_1)
	v_clz_i32_u32_e32 v122, v8
	v_min_u32_e32 v122, 32, v122
	s_delay_alu instid0(VALU_DEP_1) | instskip(SKIP_1) | instid1(VALU_DEP_2)
	v_subrev_nc_u32_e32 v124, 28, v122
	v_sub_nc_u32_e32 v122, 29, v122
	v_lshlrev_b64 v[124:125], v124, v[8:9]
	s_delay_alu instid0(VALU_DEP_1)
	v_and_b32_e32 v8, 7, v124
; %bb.555:                              ;   in Loop: Header=BB426_10 Depth=1
	s_or_b32 exec_lo, exec_lo, s21
	v_lshlrev_b32_e32 v124, 16, v123
	s_delay_alu instid0(VALU_DEP_2) | instskip(SKIP_1) | instid1(VALU_DEP_3)
	v_lshlrev_b32_e32 v8, 20, v8
	v_lshl_add_u32 v122, v122, 23, 0x3c000000
	v_and_b32_e32 v124, 0x80000000, v124
	s_delay_alu instid0(VALU_DEP_1)
	v_or3_b32 v8, v8, v124, v122
.LBB426_556:                            ;   in Loop: Header=BB426_10 Depth=1
	s_or_b32 exec_lo, exec_lo, s20
.LBB426_557:                            ;   in Loop: Header=BB426_10 Depth=1
	s_delay_alu instid0(SALU_CYCLE_1)
	s_or_b32 exec_lo, exec_lo, s19
.LBB426_558:                            ;   in Loop: Header=BB426_10 Depth=1
	s_delay_alu instid0(SALU_CYCLE_1) | instskip(NEXT) | instid1(VALU_DEP_1)
	s_or_b32 exec_lo, exec_lo, s3
	v_mul_f32_e32 v8, v181, v8
	s_delay_alu instid0(VALU_DEP_1) | instskip(NEXT) | instid1(VALU_DEP_1)
	v_and_b32_e32 v122, 0x7f800000, v8
	v_cmp_ne_u32_e64 s2, 0x7f800000, v122
                                        ; implicit-def: $vgpr122
	s_delay_alu instid0(VALU_DEP_1) | instskip(NEXT) | instid1(SALU_CYCLE_1)
	s_and_saveexec_b32 s3, s2
	s_xor_b32 s2, exec_lo, s3
; %bb.559:                              ;   in Loop: Header=BB426_10 Depth=1
	v_bfe_u32 v122, v8, 16, 1
	s_delay_alu instid0(VALU_DEP_1)
	v_add3_u32 v122, v8, v122, 0x7fff
                                        ; implicit-def: $vgpr8
; %bb.560:                              ;   in Loop: Header=BB426_10 Depth=1
	s_and_not1_saveexec_b32 s3, s2
; %bb.561:                              ;   in Loop: Header=BB426_10 Depth=1
	v_and_b32_e32 v122, 0xffff, v8
	v_or_b32_e32 v124, 0x10000, v8
	s_delay_alu instid0(VALU_DEP_2) | instskip(NEXT) | instid1(VALU_DEP_1)
	v_cmp_eq_u32_e64 s2, 0, v122
	v_cndmask_b32_e64 v122, v124, v8, s2
; %bb.562:                              ;   in Loop: Header=BB426_10 Depth=1
	s_or_b32 exec_lo, exec_lo, s3
	v_lshrrev_b32_e32 v124, 16, v123
	s_mov_b32 s3, exec_lo
	s_delay_alu instid0(VALU_DEP_1) | instskip(NEXT) | instid1(VALU_DEP_1)
	v_dual_mov_b32 v8, 0 :: v_dual_and_b32 v125, 0xff, v124
	v_cmpx_ne_u16_e32 0, v125
	s_cbranch_execz .LBB426_570
; %bb.563:                              ;   in Loop: Header=BB426_10 Depth=1
	v_bfrev_b32_e32 v8, 1
	s_mov_b32 s19, exec_lo
	v_cmpx_ne_u16_e32 0x80, v125
	s_cbranch_execz .LBB426_569
; %bb.564:                              ;   in Loop: Header=BB426_10 Depth=1
	v_bfe_u32 v126, v123, 16, 7
	v_mov_b32_e32 v8, 0x7f800001
	s_mov_b32 s20, exec_lo
	s_delay_alu instid0(VALU_DEP_2)
	v_cmpx_ne_u32_e32 0x7f, v126
	s_cbranch_execz .LBB426_568
; %bb.565:                              ;   in Loop: Header=BB426_10 Depth=1
	v_and_b32_e32 v8, 7, v124
	v_lshrrev_b32_e32 v125, 3, v126
	s_mov_b32 s21, exec_lo
	v_cmpx_gt_u32_e32 8, v126
; %bb.566:                              ;   in Loop: Header=BB426_10 Depth=1
	s_delay_alu instid0(VALU_DEP_3) | instskip(NEXT) | instid1(VALU_DEP_1)
	v_clz_i32_u32_e32 v125, v8
	v_min_u32_e32 v125, 32, v125
	s_delay_alu instid0(VALU_DEP_1) | instskip(SKIP_1) | instid1(VALU_DEP_2)
	v_subrev_nc_u32_e32 v126, 28, v125
	v_sub_nc_u32_e32 v125, 29, v125
	v_lshlrev_b64 v[126:127], v126, v[8:9]
	s_delay_alu instid0(VALU_DEP_1)
	v_and_b32_e32 v8, 7, v126
; %bb.567:                              ;   in Loop: Header=BB426_10 Depth=1
	s_or_b32 exec_lo, exec_lo, s21
	v_lshlrev_b32_e32 v124, 24, v124
	s_delay_alu instid0(VALU_DEP_2) | instskip(SKIP_1) | instid1(VALU_DEP_3)
	v_lshlrev_b32_e32 v8, 20, v8
	v_lshl_add_u32 v125, v125, 23, 0x3c000000
	v_and_b32_e32 v124, 0x80000000, v124
	s_delay_alu instid0(VALU_DEP_1)
	v_or3_b32 v8, v8, v124, v125
.LBB426_568:                            ;   in Loop: Header=BB426_10 Depth=1
	s_or_b32 exec_lo, exec_lo, s20
.LBB426_569:                            ;   in Loop: Header=BB426_10 Depth=1
	s_delay_alu instid0(SALU_CYCLE_1)
	s_or_b32 exec_lo, exec_lo, s19
.LBB426_570:                            ;   in Loop: Header=BB426_10 Depth=1
	s_delay_alu instid0(SALU_CYCLE_1) | instskip(NEXT) | instid1(VALU_DEP_1)
	s_or_b32 exec_lo, exec_lo, s3
	v_mul_f32_e32 v8, v181, v8
	s_delay_alu instid0(VALU_DEP_1) | instskip(NEXT) | instid1(VALU_DEP_1)
	v_and_b32_e32 v124, 0x7f800000, v8
	v_cmp_ne_u32_e64 s2, 0x7f800000, v124
                                        ; implicit-def: $vgpr124
	s_delay_alu instid0(VALU_DEP_1) | instskip(NEXT) | instid1(SALU_CYCLE_1)
	s_and_saveexec_b32 s3, s2
	s_xor_b32 s2, exec_lo, s3
; %bb.571:                              ;   in Loop: Header=BB426_10 Depth=1
	v_bfe_u32 v124, v8, 16, 1
	s_delay_alu instid0(VALU_DEP_1)
	v_add3_u32 v124, v8, v124, 0x7fff
                                        ; implicit-def: $vgpr8
; %bb.572:                              ;   in Loop: Header=BB426_10 Depth=1
	s_and_not1_saveexec_b32 s3, s2
; %bb.573:                              ;   in Loop: Header=BB426_10 Depth=1
	v_and_b32_e32 v124, 0xffff, v8
	v_or_b32_e32 v125, 0x10000, v8
	s_delay_alu instid0(VALU_DEP_2) | instskip(NEXT) | instid1(VALU_DEP_1)
	v_cmp_eq_u32_e64 s2, 0, v124
	v_cndmask_b32_e64 v124, v125, v8, s2
; %bb.574:                              ;   in Loop: Header=BB426_10 Depth=1
	s_or_b32 exec_lo, exec_lo, s3
	v_mov_b32_e32 v8, 0
	s_mov_b32 s3, exec_lo
	v_cmpx_lt_u32_e32 0xffffff, v123
	s_cbranch_execz .LBB426_582
; %bb.575:                              ;   in Loop: Header=BB426_10 Depth=1
	v_lshrrev_b32_e32 v125, 24, v123
	v_bfrev_b32_e32 v8, 1
	s_mov_b32 s19, exec_lo
	s_delay_alu instid0(VALU_DEP_2)
	v_cmpx_ne_u32_e32 0x80, v125
	s_cbranch_execz .LBB426_581
; %bb.576:                              ;   in Loop: Header=BB426_10 Depth=1
	v_bfe_u32 v126, v123, 24, 7
	v_mov_b32_e32 v8, 0x7f800001
	s_mov_b32 s20, exec_lo
	s_delay_alu instid0(VALU_DEP_2)
	v_cmpx_ne_u32_e32 0x7f, v126
	s_cbranch_execz .LBB426_580
; %bb.577:                              ;   in Loop: Header=BB426_10 Depth=1
	v_and_b32_e32 v8, 7, v125
	v_lshrrev_b32_e32 v123, 3, v126
	s_mov_b32 s21, exec_lo
	v_cmpx_gt_u32_e32 8, v126
; %bb.578:                              ;   in Loop: Header=BB426_10 Depth=1
	s_delay_alu instid0(VALU_DEP_3) | instskip(NEXT) | instid1(VALU_DEP_1)
	v_clz_i32_u32_e32 v123, v8
	v_min_u32_e32 v123, 32, v123
	s_delay_alu instid0(VALU_DEP_1) | instskip(SKIP_1) | instid1(VALU_DEP_2)
	v_subrev_nc_u32_e32 v126, 28, v123
	v_sub_nc_u32_e32 v123, 29, v123
	v_lshlrev_b64 v[126:127], v126, v[8:9]
	s_delay_alu instid0(VALU_DEP_1)
	v_and_b32_e32 v8, 7, v126
; %bb.579:                              ;   in Loop: Header=BB426_10 Depth=1
	s_or_b32 exec_lo, exec_lo, s21
	v_lshlrev_b32_e32 v125, 24, v125
	s_delay_alu instid0(VALU_DEP_2) | instskip(SKIP_1) | instid1(VALU_DEP_3)
	v_lshlrev_b32_e32 v8, 20, v8
	v_lshl_add_u32 v123, v123, 23, 0x3c000000
	v_and_b32_e32 v125, 0x80000000, v125
	s_delay_alu instid0(VALU_DEP_1)
	v_or3_b32 v8, v8, v125, v123
.LBB426_580:                            ;   in Loop: Header=BB426_10 Depth=1
	s_or_b32 exec_lo, exec_lo, s20
.LBB426_581:                            ;   in Loop: Header=BB426_10 Depth=1
	s_delay_alu instid0(SALU_CYCLE_1)
	s_or_b32 exec_lo, exec_lo, s19
.LBB426_582:                            ;   in Loop: Header=BB426_10 Depth=1
	s_delay_alu instid0(SALU_CYCLE_1) | instskip(NEXT) | instid1(VALU_DEP_1)
	s_or_b32 exec_lo, exec_lo, s3
	v_mul_f32_e32 v8, v181, v8
	s_delay_alu instid0(VALU_DEP_1) | instskip(NEXT) | instid1(VALU_DEP_1)
	v_and_b32_e32 v123, 0x7f800000, v8
	v_cmp_ne_u32_e64 s2, 0x7f800000, v123
                                        ; implicit-def: $vgpr123
	s_delay_alu instid0(VALU_DEP_1) | instskip(NEXT) | instid1(SALU_CYCLE_1)
	s_and_saveexec_b32 s3, s2
	s_xor_b32 s2, exec_lo, s3
; %bb.583:                              ;   in Loop: Header=BB426_10 Depth=1
	v_bfe_u32 v123, v8, 16, 1
	s_delay_alu instid0(VALU_DEP_1)
	v_add3_u32 v123, v8, v123, 0x7fff
                                        ; implicit-def: $vgpr8
; %bb.584:                              ;   in Loop: Header=BB426_10 Depth=1
	s_and_not1_saveexec_b32 s3, s2
; %bb.585:                              ;   in Loop: Header=BB426_10 Depth=1
	v_and_b32_e32 v123, 0xffff, v8
	v_or_b32_e32 v125, 0x10000, v8
	s_delay_alu instid0(VALU_DEP_2) | instskip(NEXT) | instid1(VALU_DEP_1)
	v_cmp_eq_u32_e64 s2, 0, v123
	v_cndmask_b32_e64 v123, v125, v8, s2
; %bb.586:                              ;   in Loop: Header=BB426_10 Depth=1
	s_or_b32 exec_lo, exec_lo, s3
	flat_load_b32 v127, v[28:29] offset:1536
	s_mov_b32 s3, exec_lo
	s_waitcnt vmcnt(0) lgkmcnt(0)
	v_dual_mov_b32 v8, 0 :: v_dual_and_b32 v125, 0xff, v127
	s_delay_alu instid0(VALU_DEP_1)
	v_cmpx_ne_u16_e32 0, v125
	s_cbranch_execz .LBB426_594
; %bb.587:                              ;   in Loop: Header=BB426_10 Depth=1
	v_bfrev_b32_e32 v8, 1
	s_mov_b32 s19, exec_lo
	v_cmpx_ne_u16_e32 0x80, v125
	s_cbranch_execz .LBB426_593
; %bb.588:                              ;   in Loop: Header=BB426_10 Depth=1
	v_and_b32_e32 v126, 0x7f, v127
	v_mov_b32_e32 v8, 0x7f800001
	s_mov_b32 s20, exec_lo
	s_delay_alu instid0(VALU_DEP_2)
	v_cmpx_ne_u32_e32 0x7f, v126
	s_cbranch_execz .LBB426_592
; %bb.589:                              ;   in Loop: Header=BB426_10 Depth=1
	v_and_b32_e32 v8, 7, v127
	v_lshrrev_b32_e32 v125, 3, v126
	s_mov_b32 s21, exec_lo
	v_cmpx_gt_u32_e32 8, v126
; %bb.590:                              ;   in Loop: Header=BB426_10 Depth=1
	s_delay_alu instid0(VALU_DEP_3) | instskip(NEXT) | instid1(VALU_DEP_1)
	v_clz_i32_u32_e32 v125, v8
	v_min_u32_e32 v125, 32, v125
	s_delay_alu instid0(VALU_DEP_1) | instskip(SKIP_1) | instid1(VALU_DEP_2)
	v_subrev_nc_u32_e32 v126, 28, v125
	v_sub_nc_u32_e32 v125, 29, v125
	v_lshlrev_b64 v[136:137], v126, v[8:9]
	s_delay_alu instid0(VALU_DEP_1)
	v_and_b32_e32 v8, 7, v136
; %bb.591:                              ;   in Loop: Header=BB426_10 Depth=1
	s_or_b32 exec_lo, exec_lo, s21
	v_lshlrev_b32_e32 v126, 24, v127
	s_delay_alu instid0(VALU_DEP_2) | instskip(SKIP_1) | instid1(VALU_DEP_3)
	v_lshlrev_b32_e32 v8, 20, v8
	v_lshl_add_u32 v125, v125, 23, 0x3c000000
	v_and_b32_e32 v126, 0x80000000, v126
	s_delay_alu instid0(VALU_DEP_1)
	v_or3_b32 v8, v8, v126, v125
.LBB426_592:                            ;   in Loop: Header=BB426_10 Depth=1
	s_or_b32 exec_lo, exec_lo, s20
.LBB426_593:                            ;   in Loop: Header=BB426_10 Depth=1
	s_delay_alu instid0(SALU_CYCLE_1)
	s_or_b32 exec_lo, exec_lo, s19
.LBB426_594:                            ;   in Loop: Header=BB426_10 Depth=1
	s_delay_alu instid0(SALU_CYCLE_1) | instskip(NEXT) | instid1(VALU_DEP_1)
	s_or_b32 exec_lo, exec_lo, s3
	v_mul_f32_e32 v8, v181, v8
	s_delay_alu instid0(VALU_DEP_1) | instskip(NEXT) | instid1(VALU_DEP_1)
	v_and_b32_e32 v125, 0x7f800000, v8
	v_cmp_ne_u32_e64 s2, 0x7f800000, v125
                                        ; implicit-def: $vgpr125
	s_delay_alu instid0(VALU_DEP_1) | instskip(NEXT) | instid1(SALU_CYCLE_1)
	s_and_saveexec_b32 s3, s2
	s_xor_b32 s2, exec_lo, s3
; %bb.595:                              ;   in Loop: Header=BB426_10 Depth=1
	v_bfe_u32 v125, v8, 16, 1
	s_delay_alu instid0(VALU_DEP_1)
	v_add3_u32 v125, v8, v125, 0x7fff
                                        ; implicit-def: $vgpr8
; %bb.596:                              ;   in Loop: Header=BB426_10 Depth=1
	s_and_not1_saveexec_b32 s3, s2
; %bb.597:                              ;   in Loop: Header=BB426_10 Depth=1
	v_and_b32_e32 v125, 0xffff, v8
	v_or_b32_e32 v126, 0x10000, v8
	s_delay_alu instid0(VALU_DEP_2) | instskip(NEXT) | instid1(VALU_DEP_1)
	v_cmp_eq_u32_e64 s2, 0, v125
	v_cndmask_b32_e64 v125, v126, v8, s2
; %bb.598:                              ;   in Loop: Header=BB426_10 Depth=1
	s_or_b32 exec_lo, exec_lo, s3
	v_lshrrev_b16 v126, 8, v127
	v_mov_b32_e32 v8, 0
	s_mov_b32 s3, exec_lo
	s_delay_alu instid0(VALU_DEP_2)
	v_cmpx_ne_u16_e32 0, v126
	s_cbranch_execz .LBB426_606
; %bb.599:                              ;   in Loop: Header=BB426_10 Depth=1
	v_bfrev_b32_e32 v8, 1
	s_mov_b32 s19, exec_lo
	v_cmpx_ne_u16_e32 0x80, v126
	s_cbranch_execz .LBB426_605
; %bb.600:                              ;   in Loop: Header=BB426_10 Depth=1
	v_and_b32_e32 v126, 0xffff, v126
	v_mov_b32_e32 v8, 0x7f800001
	s_mov_b32 s20, exec_lo
	s_delay_alu instid0(VALU_DEP_2) | instskip(NEXT) | instid1(VALU_DEP_1)
	v_and_b32_e32 v136, 0x7f, v126
	v_cmpx_ne_u32_e32 0x7f, v136
	s_cbranch_execz .LBB426_604
; %bb.601:                              ;   in Loop: Header=BB426_10 Depth=1
	v_and_b32_e32 v8, 7, v126
	v_lshrrev_b32_e32 v126, 3, v136
	s_mov_b32 s21, exec_lo
	v_cmpx_gt_u32_e32 8, v136
; %bb.602:                              ;   in Loop: Header=BB426_10 Depth=1
	s_delay_alu instid0(VALU_DEP_3) | instskip(NEXT) | instid1(VALU_DEP_1)
	v_clz_i32_u32_e32 v126, v8
	v_min_u32_e32 v126, 32, v126
	s_delay_alu instid0(VALU_DEP_1) | instskip(SKIP_1) | instid1(VALU_DEP_2)
	v_subrev_nc_u32_e32 v136, 28, v126
	v_sub_nc_u32_e32 v126, 29, v126
	v_lshlrev_b64 v[136:137], v136, v[8:9]
	s_delay_alu instid0(VALU_DEP_1)
	v_and_b32_e32 v8, 7, v136
; %bb.603:                              ;   in Loop: Header=BB426_10 Depth=1
	s_or_b32 exec_lo, exec_lo, s21
	v_lshlrev_b32_e32 v136, 16, v127
	s_delay_alu instid0(VALU_DEP_2) | instskip(SKIP_1) | instid1(VALU_DEP_3)
	v_lshlrev_b32_e32 v8, 20, v8
	v_lshl_add_u32 v126, v126, 23, 0x3c000000
	v_and_b32_e32 v136, 0x80000000, v136
	s_delay_alu instid0(VALU_DEP_1)
	v_or3_b32 v8, v8, v136, v126
.LBB426_604:                            ;   in Loop: Header=BB426_10 Depth=1
	s_or_b32 exec_lo, exec_lo, s20
.LBB426_605:                            ;   in Loop: Header=BB426_10 Depth=1
	s_delay_alu instid0(SALU_CYCLE_1)
	s_or_b32 exec_lo, exec_lo, s19
.LBB426_606:                            ;   in Loop: Header=BB426_10 Depth=1
	s_delay_alu instid0(SALU_CYCLE_1) | instskip(NEXT) | instid1(VALU_DEP_1)
	s_or_b32 exec_lo, exec_lo, s3
	v_mul_f32_e32 v8, v181, v8
	s_delay_alu instid0(VALU_DEP_1) | instskip(NEXT) | instid1(VALU_DEP_1)
	v_and_b32_e32 v126, 0x7f800000, v8
	v_cmp_ne_u32_e64 s2, 0x7f800000, v126
                                        ; implicit-def: $vgpr126
	s_delay_alu instid0(VALU_DEP_1) | instskip(NEXT) | instid1(SALU_CYCLE_1)
	s_and_saveexec_b32 s3, s2
	s_xor_b32 s2, exec_lo, s3
; %bb.607:                              ;   in Loop: Header=BB426_10 Depth=1
	v_bfe_u32 v126, v8, 16, 1
	s_delay_alu instid0(VALU_DEP_1)
	v_add3_u32 v126, v8, v126, 0x7fff
                                        ; implicit-def: $vgpr8
; %bb.608:                              ;   in Loop: Header=BB426_10 Depth=1
	s_and_not1_saveexec_b32 s3, s2
; %bb.609:                              ;   in Loop: Header=BB426_10 Depth=1
	v_and_b32_e32 v126, 0xffff, v8
	v_or_b32_e32 v136, 0x10000, v8
	s_delay_alu instid0(VALU_DEP_2) | instskip(NEXT) | instid1(VALU_DEP_1)
	v_cmp_eq_u32_e64 s2, 0, v126
	v_cndmask_b32_e64 v126, v136, v8, s2
; %bb.610:                              ;   in Loop: Header=BB426_10 Depth=1
	s_or_b32 exec_lo, exec_lo, s3
	v_lshrrev_b32_e32 v136, 16, v127
	s_mov_b32 s3, exec_lo
	s_delay_alu instid0(VALU_DEP_1) | instskip(NEXT) | instid1(VALU_DEP_1)
	v_dual_mov_b32 v8, 0 :: v_dual_and_b32 v137, 0xff, v136
	v_cmpx_ne_u16_e64 0, v137
	s_cbranch_execz .LBB426_618
; %bb.611:                              ;   in Loop: Header=BB426_10 Depth=1
	v_bfrev_b32_e32 v8, 1
	s_mov_b32 s19, exec_lo
	v_cmpx_ne_u16_e64 0x80, v137
	s_cbranch_execz .LBB426_617
; %bb.612:                              ;   in Loop: Header=BB426_10 Depth=1
	v_bfe_u32 v138, v127, 16, 7
	v_mov_b32_e32 v8, 0x7f800001
	s_mov_b32 s20, exec_lo
	s_delay_alu instid0(VALU_DEP_2)
	v_cmpx_ne_u32_e32 0x7f, v138
	s_cbranch_execz .LBB426_616
; %bb.613:                              ;   in Loop: Header=BB426_10 Depth=1
	v_and_b32_e32 v8, 7, v136
	v_lshrrev_b32_e32 v137, 3, v138
	s_mov_b32 s21, exec_lo
	v_cmpx_gt_u32_e32 8, v138
; %bb.614:                              ;   in Loop: Header=BB426_10 Depth=1
	s_delay_alu instid0(VALU_DEP_3) | instskip(NEXT) | instid1(VALU_DEP_1)
	v_clz_i32_u32_e32 v137, v8
	v_min_u32_e32 v137, 32, v137
	s_delay_alu instid0(VALU_DEP_1) | instskip(SKIP_1) | instid1(VALU_DEP_2)
	v_subrev_nc_u32_e32 v138, 28, v137
	v_sub_nc_u32_e32 v137, 29, v137
	v_lshlrev_b64 v[138:139], v138, v[8:9]
	s_delay_alu instid0(VALU_DEP_1)
	v_and_b32_e32 v8, 7, v138
; %bb.615:                              ;   in Loop: Header=BB426_10 Depth=1
	s_or_b32 exec_lo, exec_lo, s21
	v_lshlrev_b32_e32 v136, 24, v136
	s_delay_alu instid0(VALU_DEP_2) | instskip(SKIP_1) | instid1(VALU_DEP_3)
	v_lshlrev_b32_e32 v8, 20, v8
	v_lshl_add_u32 v137, v137, 23, 0x3c000000
	v_and_b32_e32 v136, 0x80000000, v136
	s_delay_alu instid0(VALU_DEP_1)
	v_or3_b32 v8, v8, v136, v137
.LBB426_616:                            ;   in Loop: Header=BB426_10 Depth=1
	s_or_b32 exec_lo, exec_lo, s20
.LBB426_617:                            ;   in Loop: Header=BB426_10 Depth=1
	s_delay_alu instid0(SALU_CYCLE_1)
	s_or_b32 exec_lo, exec_lo, s19
.LBB426_618:                            ;   in Loop: Header=BB426_10 Depth=1
	s_delay_alu instid0(SALU_CYCLE_1) | instskip(NEXT) | instid1(VALU_DEP_1)
	s_or_b32 exec_lo, exec_lo, s3
	v_mul_f32_e32 v8, v181, v8
	s_delay_alu instid0(VALU_DEP_1) | instskip(NEXT) | instid1(VALU_DEP_1)
	v_and_b32_e32 v136, 0x7f800000, v8
	v_cmp_ne_u32_e64 s2, 0x7f800000, v136
                                        ; implicit-def: $vgpr136
	s_delay_alu instid0(VALU_DEP_1) | instskip(NEXT) | instid1(SALU_CYCLE_1)
	s_and_saveexec_b32 s3, s2
	s_xor_b32 s2, exec_lo, s3
; %bb.619:                              ;   in Loop: Header=BB426_10 Depth=1
	v_bfe_u32 v136, v8, 16, 1
	s_delay_alu instid0(VALU_DEP_1)
	v_add3_u32 v136, v8, v136, 0x7fff
                                        ; implicit-def: $vgpr8
; %bb.620:                              ;   in Loop: Header=BB426_10 Depth=1
	s_and_not1_saveexec_b32 s3, s2
; %bb.621:                              ;   in Loop: Header=BB426_10 Depth=1
	v_and_b32_e32 v136, 0xffff, v8
	v_or_b32_e32 v137, 0x10000, v8
	s_delay_alu instid0(VALU_DEP_2) | instskip(NEXT) | instid1(VALU_DEP_1)
	v_cmp_eq_u32_e64 s2, 0, v136
	v_cndmask_b32_e64 v136, v137, v8, s2
; %bb.622:                              ;   in Loop: Header=BB426_10 Depth=1
	s_or_b32 exec_lo, exec_lo, s3
	v_mov_b32_e32 v8, 0
	s_mov_b32 s3, exec_lo
	v_cmpx_lt_u32_e32 0xffffff, v127
	s_cbranch_execz .LBB426_630
; %bb.623:                              ;   in Loop: Header=BB426_10 Depth=1
	v_lshrrev_b32_e32 v137, 24, v127
	v_bfrev_b32_e32 v8, 1
	s_mov_b32 s19, exec_lo
	s_delay_alu instid0(VALU_DEP_2)
	v_cmpx_ne_u32_e32 0x80, v137
	s_cbranch_execz .LBB426_629
; %bb.624:                              ;   in Loop: Header=BB426_10 Depth=1
	v_bfe_u32 v138, v127, 24, 7
	v_mov_b32_e32 v8, 0x7f800001
	s_mov_b32 s20, exec_lo
	s_delay_alu instid0(VALU_DEP_2)
	v_cmpx_ne_u32_e32 0x7f, v138
	s_cbranch_execz .LBB426_628
; %bb.625:                              ;   in Loop: Header=BB426_10 Depth=1
	v_and_b32_e32 v8, 7, v137
	v_lshrrev_b32_e32 v127, 3, v138
	s_mov_b32 s21, exec_lo
	v_cmpx_gt_u32_e32 8, v138
; %bb.626:                              ;   in Loop: Header=BB426_10 Depth=1
	s_delay_alu instid0(VALU_DEP_3) | instskip(NEXT) | instid1(VALU_DEP_1)
	v_clz_i32_u32_e32 v127, v8
	v_min_u32_e32 v127, 32, v127
	s_delay_alu instid0(VALU_DEP_1) | instskip(SKIP_1) | instid1(VALU_DEP_2)
	v_subrev_nc_u32_e32 v138, 28, v127
	v_sub_nc_u32_e32 v127, 29, v127
	v_lshlrev_b64 v[138:139], v138, v[8:9]
	s_delay_alu instid0(VALU_DEP_1)
	v_and_b32_e32 v8, 7, v138
; %bb.627:                              ;   in Loop: Header=BB426_10 Depth=1
	s_or_b32 exec_lo, exec_lo, s21
	v_lshlrev_b32_e32 v137, 24, v137
	s_delay_alu instid0(VALU_DEP_2) | instskip(SKIP_1) | instid1(VALU_DEP_3)
	v_lshlrev_b32_e32 v8, 20, v8
	v_lshl_add_u32 v127, v127, 23, 0x3c000000
	v_and_b32_e32 v137, 0x80000000, v137
	s_delay_alu instid0(VALU_DEP_1)
	v_or3_b32 v8, v8, v137, v127
.LBB426_628:                            ;   in Loop: Header=BB426_10 Depth=1
	s_or_b32 exec_lo, exec_lo, s20
.LBB426_629:                            ;   in Loop: Header=BB426_10 Depth=1
	s_delay_alu instid0(SALU_CYCLE_1)
	s_or_b32 exec_lo, exec_lo, s19
.LBB426_630:                            ;   in Loop: Header=BB426_10 Depth=1
	s_delay_alu instid0(SALU_CYCLE_1) | instskip(NEXT) | instid1(VALU_DEP_1)
	s_or_b32 exec_lo, exec_lo, s3
	v_mul_f32_e32 v8, v181, v8
	s_delay_alu instid0(VALU_DEP_1) | instskip(NEXT) | instid1(VALU_DEP_1)
	v_and_b32_e32 v127, 0x7f800000, v8
	v_cmp_ne_u32_e64 s2, 0x7f800000, v127
                                        ; implicit-def: $vgpr127
	s_delay_alu instid0(VALU_DEP_1) | instskip(NEXT) | instid1(SALU_CYCLE_1)
	s_and_saveexec_b32 s3, s2
	s_xor_b32 s2, exec_lo, s3
; %bb.631:                              ;   in Loop: Header=BB426_10 Depth=1
	v_bfe_u32 v127, v8, 16, 1
	s_delay_alu instid0(VALU_DEP_1)
	v_add3_u32 v127, v8, v127, 0x7fff
                                        ; implicit-def: $vgpr8
; %bb.632:                              ;   in Loop: Header=BB426_10 Depth=1
	s_and_not1_saveexec_b32 s3, s2
; %bb.633:                              ;   in Loop: Header=BB426_10 Depth=1
	v_and_b32_e32 v127, 0xffff, v8
	v_or_b32_e32 v137, 0x10000, v8
	s_delay_alu instid0(VALU_DEP_2) | instskip(NEXT) | instid1(VALU_DEP_1)
	v_cmp_eq_u32_e64 s2, 0, v127
	v_cndmask_b32_e64 v127, v137, v8, s2
; %bb.634:                              ;   in Loop: Header=BB426_10 Depth=1
	s_or_b32 exec_lo, exec_lo, s3
	flat_load_b32 v140, v[28:29] offset:1544
	s_mov_b32 s3, exec_lo
	s_waitcnt vmcnt(0) lgkmcnt(0)
	v_dual_mov_b32 v8, 0 :: v_dual_and_b32 v137, 0xff, v140
	s_delay_alu instid0(VALU_DEP_1)
	v_cmpx_ne_u16_e64 0, v137
	s_cbranch_execz .LBB426_642
; %bb.635:                              ;   in Loop: Header=BB426_10 Depth=1
	v_bfrev_b32_e32 v8, 1
	s_mov_b32 s19, exec_lo
	v_cmpx_ne_u16_e64 0x80, v137
	s_cbranch_execz .LBB426_641
; %bb.636:                              ;   in Loop: Header=BB426_10 Depth=1
	v_and_b32_e32 v138, 0x7f, v140
	v_mov_b32_e32 v8, 0x7f800001
	s_mov_b32 s20, exec_lo
	s_delay_alu instid0(VALU_DEP_2)
	v_cmpx_ne_u32_e32 0x7f, v138
	s_cbranch_execz .LBB426_640
; %bb.637:                              ;   in Loop: Header=BB426_10 Depth=1
	v_and_b32_e32 v8, 7, v140
	v_lshrrev_b32_e32 v137, 3, v138
	s_mov_b32 s21, exec_lo
	v_cmpx_gt_u32_e32 8, v138
; %bb.638:                              ;   in Loop: Header=BB426_10 Depth=1
	s_delay_alu instid0(VALU_DEP_3) | instskip(NEXT) | instid1(VALU_DEP_1)
	v_clz_i32_u32_e32 v137, v8
	v_min_u32_e32 v137, 32, v137
	s_delay_alu instid0(VALU_DEP_1) | instskip(SKIP_1) | instid1(VALU_DEP_2)
	v_subrev_nc_u32_e32 v138, 28, v137
	v_sub_nc_u32_e32 v137, 29, v137
	v_lshlrev_b64 v[138:139], v138, v[8:9]
	s_delay_alu instid0(VALU_DEP_1)
	v_and_b32_e32 v8, 7, v138
; %bb.639:                              ;   in Loop: Header=BB426_10 Depth=1
	s_or_b32 exec_lo, exec_lo, s21
	v_lshlrev_b32_e32 v138, 24, v140
	s_delay_alu instid0(VALU_DEP_2) | instskip(SKIP_1) | instid1(VALU_DEP_3)
	v_lshlrev_b32_e32 v8, 20, v8
	v_lshl_add_u32 v137, v137, 23, 0x3c000000
	v_and_b32_e32 v138, 0x80000000, v138
	s_delay_alu instid0(VALU_DEP_1)
	v_or3_b32 v8, v8, v138, v137
.LBB426_640:                            ;   in Loop: Header=BB426_10 Depth=1
	s_or_b32 exec_lo, exec_lo, s20
.LBB426_641:                            ;   in Loop: Header=BB426_10 Depth=1
	s_delay_alu instid0(SALU_CYCLE_1)
	s_or_b32 exec_lo, exec_lo, s19
.LBB426_642:                            ;   in Loop: Header=BB426_10 Depth=1
	s_delay_alu instid0(SALU_CYCLE_1) | instskip(NEXT) | instid1(VALU_DEP_1)
	s_or_b32 exec_lo, exec_lo, s3
	v_mul_f32_e32 v8, v181, v8
	s_delay_alu instid0(VALU_DEP_1) | instskip(NEXT) | instid1(VALU_DEP_1)
	v_and_b32_e32 v137, 0x7f800000, v8
	v_cmp_ne_u32_e64 s2, 0x7f800000, v137
                                        ; implicit-def: $vgpr137
	s_delay_alu instid0(VALU_DEP_1) | instskip(NEXT) | instid1(SALU_CYCLE_1)
	s_and_saveexec_b32 s3, s2
	s_xor_b32 s2, exec_lo, s3
; %bb.643:                              ;   in Loop: Header=BB426_10 Depth=1
	v_bfe_u32 v137, v8, 16, 1
	s_delay_alu instid0(VALU_DEP_1)
	v_add3_u32 v137, v8, v137, 0x7fff
                                        ; implicit-def: $vgpr8
; %bb.644:                              ;   in Loop: Header=BB426_10 Depth=1
	s_and_not1_saveexec_b32 s3, s2
; %bb.645:                              ;   in Loop: Header=BB426_10 Depth=1
	v_and_b32_e32 v137, 0xffff, v8
	v_or_b32_e32 v138, 0x10000, v8
	s_delay_alu instid0(VALU_DEP_2) | instskip(NEXT) | instid1(VALU_DEP_1)
	v_cmp_eq_u32_e64 s2, 0, v137
	v_cndmask_b32_e64 v137, v138, v8, s2
; %bb.646:                              ;   in Loop: Header=BB426_10 Depth=1
	s_or_b32 exec_lo, exec_lo, s3
	v_lshrrev_b16 v138, 8, v140
	v_mov_b32_e32 v8, 0
	s_mov_b32 s3, exec_lo
	s_delay_alu instid0(VALU_DEP_2)
	v_cmpx_ne_u16_e64 0, v138
	s_cbranch_execz .LBB426_654
; %bb.647:                              ;   in Loop: Header=BB426_10 Depth=1
	v_bfrev_b32_e32 v8, 1
	s_mov_b32 s19, exec_lo
	v_cmpx_ne_u16_e64 0x80, v138
	s_cbranch_execz .LBB426_653
; %bb.648:                              ;   in Loop: Header=BB426_10 Depth=1
	v_and_b32_e32 v138, 0xffff, v138
	v_mov_b32_e32 v8, 0x7f800001
	s_mov_b32 s20, exec_lo
	s_delay_alu instid0(VALU_DEP_2) | instskip(NEXT) | instid1(VALU_DEP_1)
	v_and_b32_e32 v139, 0x7f, v138
	v_cmpx_ne_u32_e32 0x7f, v139
	s_cbranch_execz .LBB426_652
; %bb.649:                              ;   in Loop: Header=BB426_10 Depth=1
	v_and_b32_e32 v8, 7, v138
	v_lshrrev_b32_e32 v138, 3, v139
	s_mov_b32 s21, exec_lo
	v_cmpx_gt_u32_e32 8, v139
; %bb.650:                              ;   in Loop: Header=BB426_10 Depth=1
	s_delay_alu instid0(VALU_DEP_3) | instskip(NEXT) | instid1(VALU_DEP_1)
	v_clz_i32_u32_e32 v138, v8
	v_min_u32_e32 v138, 32, v138
	s_delay_alu instid0(VALU_DEP_1) | instskip(SKIP_1) | instid1(VALU_DEP_2)
	v_subrev_nc_u32_e32 v139, 28, v138
	v_sub_nc_u32_e32 v138, 29, v138
	v_lshlrev_b64 v[141:142], v139, v[8:9]
	s_delay_alu instid0(VALU_DEP_1)
	v_and_b32_e32 v8, 7, v141
; %bb.651:                              ;   in Loop: Header=BB426_10 Depth=1
	s_or_b32 exec_lo, exec_lo, s21
	v_lshlrev_b32_e32 v139, 16, v140
	s_delay_alu instid0(VALU_DEP_2) | instskip(SKIP_1) | instid1(VALU_DEP_3)
	v_lshlrev_b32_e32 v8, 20, v8
	v_lshl_add_u32 v138, v138, 23, 0x3c000000
	v_and_b32_e32 v139, 0x80000000, v139
	s_delay_alu instid0(VALU_DEP_1)
	v_or3_b32 v8, v8, v139, v138
.LBB426_652:                            ;   in Loop: Header=BB426_10 Depth=1
	s_or_b32 exec_lo, exec_lo, s20
.LBB426_653:                            ;   in Loop: Header=BB426_10 Depth=1
	s_delay_alu instid0(SALU_CYCLE_1)
	s_or_b32 exec_lo, exec_lo, s19
.LBB426_654:                            ;   in Loop: Header=BB426_10 Depth=1
	s_delay_alu instid0(SALU_CYCLE_1) | instskip(NEXT) | instid1(VALU_DEP_1)
	s_or_b32 exec_lo, exec_lo, s3
	v_mul_f32_e32 v8, v181, v8
	s_delay_alu instid0(VALU_DEP_1) | instskip(NEXT) | instid1(VALU_DEP_1)
	v_and_b32_e32 v138, 0x7f800000, v8
	v_cmp_ne_u32_e64 s2, 0x7f800000, v138
                                        ; implicit-def: $vgpr138
	s_delay_alu instid0(VALU_DEP_1) | instskip(NEXT) | instid1(SALU_CYCLE_1)
	s_and_saveexec_b32 s3, s2
	s_xor_b32 s2, exec_lo, s3
; %bb.655:                              ;   in Loop: Header=BB426_10 Depth=1
	v_bfe_u32 v138, v8, 16, 1
	s_delay_alu instid0(VALU_DEP_1)
	v_add3_u32 v138, v8, v138, 0x7fff
                                        ; implicit-def: $vgpr8
; %bb.656:                              ;   in Loop: Header=BB426_10 Depth=1
	s_and_not1_saveexec_b32 s3, s2
; %bb.657:                              ;   in Loop: Header=BB426_10 Depth=1
	v_and_b32_e32 v138, 0xffff, v8
	v_or_b32_e32 v139, 0x10000, v8
	s_delay_alu instid0(VALU_DEP_2) | instskip(NEXT) | instid1(VALU_DEP_1)
	v_cmp_eq_u32_e64 s2, 0, v138
	v_cndmask_b32_e64 v138, v139, v8, s2
; %bb.658:                              ;   in Loop: Header=BB426_10 Depth=1
	s_or_b32 exec_lo, exec_lo, s3
	v_lshrrev_b32_e32 v139, 16, v140
	s_mov_b32 s3, exec_lo
	s_delay_alu instid0(VALU_DEP_1) | instskip(NEXT) | instid1(VALU_DEP_1)
	v_dual_mov_b32 v8, 0 :: v_dual_and_b32 v141, 0xff, v139
	v_cmpx_ne_u16_e64 0, v141
	s_cbranch_execz .LBB426_666
; %bb.659:                              ;   in Loop: Header=BB426_10 Depth=1
	v_bfrev_b32_e32 v8, 1
	s_mov_b32 s19, exec_lo
	v_cmpx_ne_u16_e64 0x80, v141
	s_cbranch_execz .LBB426_665
; %bb.660:                              ;   in Loop: Header=BB426_10 Depth=1
	v_bfe_u32 v142, v140, 16, 7
	v_mov_b32_e32 v8, 0x7f800001
	s_mov_b32 s20, exec_lo
	s_delay_alu instid0(VALU_DEP_2)
	v_cmpx_ne_u32_e32 0x7f, v142
	s_cbranch_execz .LBB426_664
; %bb.661:                              ;   in Loop: Header=BB426_10 Depth=1
	v_and_b32_e32 v8, 7, v139
	v_lshrrev_b32_e32 v141, 3, v142
	s_mov_b32 s21, exec_lo
	v_cmpx_gt_u32_e32 8, v142
; %bb.662:                              ;   in Loop: Header=BB426_10 Depth=1
	s_delay_alu instid0(VALU_DEP_3) | instskip(NEXT) | instid1(VALU_DEP_1)
	v_clz_i32_u32_e32 v141, v8
	v_min_u32_e32 v141, 32, v141
	s_delay_alu instid0(VALU_DEP_1) | instskip(SKIP_1) | instid1(VALU_DEP_2)
	v_subrev_nc_u32_e32 v142, 28, v141
	v_sub_nc_u32_e32 v141, 29, v141
	v_lshlrev_b64 v[142:143], v142, v[8:9]
	s_delay_alu instid0(VALU_DEP_1)
	v_and_b32_e32 v8, 7, v142
; %bb.663:                              ;   in Loop: Header=BB426_10 Depth=1
	s_or_b32 exec_lo, exec_lo, s21
	v_lshlrev_b32_e32 v139, 24, v139
	s_delay_alu instid0(VALU_DEP_2) | instskip(SKIP_1) | instid1(VALU_DEP_3)
	v_lshlrev_b32_e32 v8, 20, v8
	v_lshl_add_u32 v141, v141, 23, 0x3c000000
	v_and_b32_e32 v139, 0x80000000, v139
	s_delay_alu instid0(VALU_DEP_1)
	v_or3_b32 v8, v8, v139, v141
.LBB426_664:                            ;   in Loop: Header=BB426_10 Depth=1
	s_or_b32 exec_lo, exec_lo, s20
.LBB426_665:                            ;   in Loop: Header=BB426_10 Depth=1
	s_delay_alu instid0(SALU_CYCLE_1)
	s_or_b32 exec_lo, exec_lo, s19
.LBB426_666:                            ;   in Loop: Header=BB426_10 Depth=1
	s_delay_alu instid0(SALU_CYCLE_1) | instskip(NEXT) | instid1(VALU_DEP_1)
	s_or_b32 exec_lo, exec_lo, s3
	v_mul_f32_e32 v8, v181, v8
	s_delay_alu instid0(VALU_DEP_1) | instskip(NEXT) | instid1(VALU_DEP_1)
	v_and_b32_e32 v139, 0x7f800000, v8
	v_cmp_ne_u32_e64 s2, 0x7f800000, v139
                                        ; implicit-def: $vgpr139
	s_delay_alu instid0(VALU_DEP_1) | instskip(NEXT) | instid1(SALU_CYCLE_1)
	s_and_saveexec_b32 s3, s2
	s_xor_b32 s2, exec_lo, s3
; %bb.667:                              ;   in Loop: Header=BB426_10 Depth=1
	v_bfe_u32 v139, v8, 16, 1
	s_delay_alu instid0(VALU_DEP_1)
	v_add3_u32 v139, v8, v139, 0x7fff
                                        ; implicit-def: $vgpr8
; %bb.668:                              ;   in Loop: Header=BB426_10 Depth=1
	s_and_not1_saveexec_b32 s3, s2
; %bb.669:                              ;   in Loop: Header=BB426_10 Depth=1
	v_and_b32_e32 v139, 0xffff, v8
	v_or_b32_e32 v141, 0x10000, v8
	s_delay_alu instid0(VALU_DEP_2) | instskip(NEXT) | instid1(VALU_DEP_1)
	v_cmp_eq_u32_e64 s2, 0, v139
	v_cndmask_b32_e64 v139, v141, v8, s2
; %bb.670:                              ;   in Loop: Header=BB426_10 Depth=1
	s_or_b32 exec_lo, exec_lo, s3
	v_mov_b32_e32 v8, 0
	s_mov_b32 s3, exec_lo
	v_cmpx_lt_u32_e32 0xffffff, v140
	s_cbranch_execz .LBB426_678
; %bb.671:                              ;   in Loop: Header=BB426_10 Depth=1
	v_lshrrev_b32_e32 v141, 24, v140
	v_bfrev_b32_e32 v8, 1
	s_mov_b32 s19, exec_lo
	s_delay_alu instid0(VALU_DEP_2)
	v_cmpx_ne_u32_e32 0x80, v141
	s_cbranch_execz .LBB426_677
; %bb.672:                              ;   in Loop: Header=BB426_10 Depth=1
	v_bfe_u32 v142, v140, 24, 7
	v_mov_b32_e32 v8, 0x7f800001
	s_mov_b32 s20, exec_lo
	s_delay_alu instid0(VALU_DEP_2)
	v_cmpx_ne_u32_e32 0x7f, v142
	s_cbranch_execz .LBB426_676
; %bb.673:                              ;   in Loop: Header=BB426_10 Depth=1
	v_and_b32_e32 v8, 7, v141
	v_lshrrev_b32_e32 v140, 3, v142
	s_mov_b32 s21, exec_lo
	v_cmpx_gt_u32_e32 8, v142
; %bb.674:                              ;   in Loop: Header=BB426_10 Depth=1
	s_delay_alu instid0(VALU_DEP_3) | instskip(NEXT) | instid1(VALU_DEP_1)
	v_clz_i32_u32_e32 v140, v8
	v_min_u32_e32 v140, 32, v140
	s_delay_alu instid0(VALU_DEP_1) | instskip(SKIP_1) | instid1(VALU_DEP_2)
	v_subrev_nc_u32_e32 v142, 28, v140
	v_sub_nc_u32_e32 v140, 29, v140
	v_lshlrev_b64 v[142:143], v142, v[8:9]
	s_delay_alu instid0(VALU_DEP_1)
	v_and_b32_e32 v8, 7, v142
; %bb.675:                              ;   in Loop: Header=BB426_10 Depth=1
	s_or_b32 exec_lo, exec_lo, s21
	v_lshlrev_b32_e32 v141, 24, v141
	s_delay_alu instid0(VALU_DEP_2) | instskip(SKIP_1) | instid1(VALU_DEP_3)
	v_lshlrev_b32_e32 v8, 20, v8
	v_lshl_add_u32 v140, v140, 23, 0x3c000000
	v_and_b32_e32 v141, 0x80000000, v141
	s_delay_alu instid0(VALU_DEP_1)
	v_or3_b32 v8, v8, v141, v140
.LBB426_676:                            ;   in Loop: Header=BB426_10 Depth=1
	s_or_b32 exec_lo, exec_lo, s20
.LBB426_677:                            ;   in Loop: Header=BB426_10 Depth=1
	s_delay_alu instid0(SALU_CYCLE_1)
	s_or_b32 exec_lo, exec_lo, s19
.LBB426_678:                            ;   in Loop: Header=BB426_10 Depth=1
	s_delay_alu instid0(SALU_CYCLE_1) | instskip(NEXT) | instid1(VALU_DEP_1)
	s_or_b32 exec_lo, exec_lo, s3
	v_mul_f32_e32 v8, v181, v8
	s_delay_alu instid0(VALU_DEP_1) | instskip(NEXT) | instid1(VALU_DEP_1)
	v_and_b32_e32 v140, 0x7f800000, v8
	v_cmp_ne_u32_e64 s2, 0x7f800000, v140
                                        ; implicit-def: $vgpr140
	s_delay_alu instid0(VALU_DEP_1) | instskip(NEXT) | instid1(SALU_CYCLE_1)
	s_and_saveexec_b32 s3, s2
	s_xor_b32 s2, exec_lo, s3
; %bb.679:                              ;   in Loop: Header=BB426_10 Depth=1
	v_bfe_u32 v140, v8, 16, 1
	s_delay_alu instid0(VALU_DEP_1)
	v_add3_u32 v140, v8, v140, 0x7fff
                                        ; implicit-def: $vgpr8
; %bb.680:                              ;   in Loop: Header=BB426_10 Depth=1
	s_and_not1_saveexec_b32 s3, s2
; %bb.681:                              ;   in Loop: Header=BB426_10 Depth=1
	v_and_b32_e32 v140, 0xffff, v8
	v_or_b32_e32 v141, 0x10000, v8
	s_delay_alu instid0(VALU_DEP_2) | instskip(NEXT) | instid1(VALU_DEP_1)
	v_cmp_eq_u32_e64 s2, 0, v140
	v_cndmask_b32_e64 v140, v141, v8, s2
; %bb.682:                              ;   in Loop: Header=BB426_10 Depth=1
	s_or_b32 exec_lo, exec_lo, s3
	flat_load_b32 v29, v[28:29] offset:1792
	v_mov_b32_e32 v8, 0
	s_mov_b32 s3, exec_lo
	s_waitcnt vmcnt(0) lgkmcnt(0)
	v_and_b32_e32 v28, 0xff, v29
	s_delay_alu instid0(VALU_DEP_1)
	v_cmpx_ne_u16_e32 0, v28
	s_cbranch_execz .LBB426_690
; %bb.683:                              ;   in Loop: Header=BB426_10 Depth=1
	v_bfrev_b32_e32 v8, 1
	s_mov_b32 s19, exec_lo
	v_cmpx_ne_u16_e32 0x80, v28
	s_cbranch_execz .LBB426_689
; %bb.684:                              ;   in Loop: Header=BB426_10 Depth=1
	v_and_b32_e32 v141, 0x7f, v29
	v_mov_b32_e32 v8, 0x7f800001
	s_mov_b32 s20, exec_lo
	s_delay_alu instid0(VALU_DEP_2)
	v_cmpx_ne_u32_e32 0x7f, v141
	s_cbranch_execz .LBB426_688
; %bb.685:                              ;   in Loop: Header=BB426_10 Depth=1
	v_and_b32_e32 v8, 7, v29
	v_lshrrev_b32_e32 v28, 3, v141
	s_mov_b32 s21, exec_lo
	v_cmpx_gt_u32_e32 8, v141
; %bb.686:                              ;   in Loop: Header=BB426_10 Depth=1
	s_delay_alu instid0(VALU_DEP_3) | instskip(NEXT) | instid1(VALU_DEP_1)
	v_clz_i32_u32_e32 v28, v8
	v_min_u32_e32 v28, 32, v28
	s_delay_alu instid0(VALU_DEP_1) | instskip(SKIP_1) | instid1(VALU_DEP_2)
	v_subrev_nc_u32_e32 v141, 28, v28
	v_sub_nc_u32_e32 v28, 29, v28
	v_lshlrev_b64 v[141:142], v141, v[8:9]
	s_delay_alu instid0(VALU_DEP_1)
	v_and_b32_e32 v8, 7, v141
; %bb.687:                              ;   in Loop: Header=BB426_10 Depth=1
	s_or_b32 exec_lo, exec_lo, s21
	v_lshlrev_b32_e32 v141, 24, v29
	s_delay_alu instid0(VALU_DEP_2) | instskip(SKIP_1) | instid1(VALU_DEP_3)
	v_lshlrev_b32_e32 v8, 20, v8
	v_lshl_add_u32 v28, v28, 23, 0x3c000000
	v_and_b32_e32 v141, 0x80000000, v141
	s_delay_alu instid0(VALU_DEP_1)
	v_or3_b32 v8, v8, v141, v28
.LBB426_688:                            ;   in Loop: Header=BB426_10 Depth=1
	s_or_b32 exec_lo, exec_lo, s20
.LBB426_689:                            ;   in Loop: Header=BB426_10 Depth=1
	s_delay_alu instid0(SALU_CYCLE_1)
	s_or_b32 exec_lo, exec_lo, s19
.LBB426_690:                            ;   in Loop: Header=BB426_10 Depth=1
	s_delay_alu instid0(SALU_CYCLE_1) | instskip(NEXT) | instid1(VALU_DEP_1)
	s_or_b32 exec_lo, exec_lo, s3
	v_mul_f32_e32 v8, v181, v8
	s_delay_alu instid0(VALU_DEP_1) | instskip(NEXT) | instid1(VALU_DEP_1)
	v_and_b32_e32 v28, 0x7f800000, v8
	v_cmp_ne_u32_e64 s2, 0x7f800000, v28
                                        ; implicit-def: $vgpr28
	s_delay_alu instid0(VALU_DEP_1) | instskip(NEXT) | instid1(SALU_CYCLE_1)
	s_and_saveexec_b32 s3, s2
	s_xor_b32 s2, exec_lo, s3
; %bb.691:                              ;   in Loop: Header=BB426_10 Depth=1
	v_bfe_u32 v28, v8, 16, 1
	s_delay_alu instid0(VALU_DEP_1)
	v_add3_u32 v28, v8, v28, 0x7fff
                                        ; implicit-def: $vgpr8
; %bb.692:                              ;   in Loop: Header=BB426_10 Depth=1
	s_and_not1_saveexec_b32 s3, s2
; %bb.693:                              ;   in Loop: Header=BB426_10 Depth=1
	v_and_b32_e32 v28, 0xffff, v8
	v_or_b32_e32 v141, 0x10000, v8
	s_delay_alu instid0(VALU_DEP_2) | instskip(NEXT) | instid1(VALU_DEP_1)
	v_cmp_eq_u32_e64 s2, 0, v28
	v_cndmask_b32_e64 v28, v141, v8, s2
; %bb.694:                              ;   in Loop: Header=BB426_10 Depth=1
	s_or_b32 exec_lo, exec_lo, s3
	v_lshrrev_b16 v141, 8, v29
	v_mov_b32_e32 v8, 0
	s_mov_b32 s3, exec_lo
	s_delay_alu instid0(VALU_DEP_2)
	v_cmpx_ne_u16_e64 0, v141
	s_cbranch_execz .LBB426_702
; %bb.695:                              ;   in Loop: Header=BB426_10 Depth=1
	v_bfrev_b32_e32 v8, 1
	s_mov_b32 s19, exec_lo
	v_cmpx_ne_u16_e64 0x80, v141
	s_cbranch_execz .LBB426_701
; %bb.696:                              ;   in Loop: Header=BB426_10 Depth=1
	v_and_b32_e32 v141, 0xffff, v141
	v_mov_b32_e32 v8, 0x7f800001
	s_mov_b32 s20, exec_lo
	s_delay_alu instid0(VALU_DEP_2) | instskip(NEXT) | instid1(VALU_DEP_1)
	v_and_b32_e32 v142, 0x7f, v141
	v_cmpx_ne_u32_e32 0x7f, v142
	s_cbranch_execz .LBB426_700
; %bb.697:                              ;   in Loop: Header=BB426_10 Depth=1
	v_and_b32_e32 v8, 7, v141
	v_lshrrev_b32_e32 v141, 3, v142
	s_mov_b32 s21, exec_lo
	v_cmpx_gt_u32_e32 8, v142
; %bb.698:                              ;   in Loop: Header=BB426_10 Depth=1
	s_delay_alu instid0(VALU_DEP_3) | instskip(NEXT) | instid1(VALU_DEP_1)
	v_clz_i32_u32_e32 v141, v8
	v_min_u32_e32 v141, 32, v141
	s_delay_alu instid0(VALU_DEP_1) | instskip(SKIP_1) | instid1(VALU_DEP_2)
	v_subrev_nc_u32_e32 v142, 28, v141
	v_sub_nc_u32_e32 v141, 29, v141
	v_lshlrev_b64 v[142:143], v142, v[8:9]
	s_delay_alu instid0(VALU_DEP_1)
	v_and_b32_e32 v8, 7, v142
; %bb.699:                              ;   in Loop: Header=BB426_10 Depth=1
	s_or_b32 exec_lo, exec_lo, s21
	v_lshlrev_b32_e32 v142, 16, v29
	s_delay_alu instid0(VALU_DEP_2) | instskip(SKIP_1) | instid1(VALU_DEP_3)
	v_lshlrev_b32_e32 v8, 20, v8
	v_lshl_add_u32 v141, v141, 23, 0x3c000000
	v_and_b32_e32 v142, 0x80000000, v142
	s_delay_alu instid0(VALU_DEP_1)
	v_or3_b32 v8, v8, v142, v141
.LBB426_700:                            ;   in Loop: Header=BB426_10 Depth=1
	s_or_b32 exec_lo, exec_lo, s20
.LBB426_701:                            ;   in Loop: Header=BB426_10 Depth=1
	s_delay_alu instid0(SALU_CYCLE_1)
	s_or_b32 exec_lo, exec_lo, s19
.LBB426_702:                            ;   in Loop: Header=BB426_10 Depth=1
	s_delay_alu instid0(SALU_CYCLE_1) | instskip(NEXT) | instid1(VALU_DEP_1)
	s_or_b32 exec_lo, exec_lo, s3
	v_mul_f32_e32 v8, v181, v8
                                        ; implicit-def: $vgpr142
	s_delay_alu instid0(VALU_DEP_1) | instskip(NEXT) | instid1(VALU_DEP_1)
	v_and_b32_e32 v141, 0x7f800000, v8
	v_cmp_ne_u32_e64 s2, 0x7f800000, v141
	s_delay_alu instid0(VALU_DEP_1) | instskip(NEXT) | instid1(SALU_CYCLE_1)
	s_and_saveexec_b32 s3, s2
	s_xor_b32 s2, exec_lo, s3
; %bb.703:                              ;   in Loop: Header=BB426_10 Depth=1
	v_bfe_u32 v141, v8, 16, 1
	s_delay_alu instid0(VALU_DEP_1)
	v_add3_u32 v142, v8, v141, 0x7fff
                                        ; implicit-def: $vgpr8
; %bb.704:                              ;   in Loop: Header=BB426_10 Depth=1
	s_and_not1_saveexec_b32 s3, s2
; %bb.705:                              ;   in Loop: Header=BB426_10 Depth=1
	v_and_b32_e32 v141, 0xffff, v8
	v_or_b32_e32 v142, 0x10000, v8
	s_delay_alu instid0(VALU_DEP_2) | instskip(NEXT) | instid1(VALU_DEP_1)
	v_cmp_eq_u32_e64 s2, 0, v141
	v_cndmask_b32_e64 v142, v142, v8, s2
; %bb.706:                              ;   in Loop: Header=BB426_10 Depth=1
	s_or_b32 exec_lo, exec_lo, s3
	v_lshrrev_b32_e32 v141, 16, v29
	s_mov_b32 s3, exec_lo
	s_delay_alu instid0(VALU_DEP_1) | instskip(NEXT) | instid1(VALU_DEP_1)
	v_dual_mov_b32 v8, 0 :: v_dual_and_b32 v143, 0xff, v141
	v_cmpx_ne_u16_e64 0, v143
	s_cbranch_execz .LBB426_714
; %bb.707:                              ;   in Loop: Header=BB426_10 Depth=1
	v_bfrev_b32_e32 v8, 1
	s_mov_b32 s19, exec_lo
	v_cmpx_ne_u16_e64 0x80, v143
	s_cbranch_execz .LBB426_713
; %bb.708:                              ;   in Loop: Header=BB426_10 Depth=1
	v_bfe_u32 v152, v29, 16, 7
	v_mov_b32_e32 v8, 0x7f800001
	s_mov_b32 s20, exec_lo
	s_delay_alu instid0(VALU_DEP_2)
	v_cmpx_ne_u32_e32 0x7f, v152
	s_cbranch_execz .LBB426_712
; %bb.709:                              ;   in Loop: Header=BB426_10 Depth=1
	v_and_b32_e32 v8, 7, v141
	v_lshrrev_b32_e32 v143, 3, v152
	s_mov_b32 s21, exec_lo
	v_cmpx_gt_u32_e32 8, v152
; %bb.710:                              ;   in Loop: Header=BB426_10 Depth=1
	s_delay_alu instid0(VALU_DEP_3) | instskip(NEXT) | instid1(VALU_DEP_1)
	v_clz_i32_u32_e32 v143, v8
	v_min_u32_e32 v143, 32, v143
	s_delay_alu instid0(VALU_DEP_1) | instskip(SKIP_1) | instid1(VALU_DEP_2)
	v_subrev_nc_u32_e32 v152, 28, v143
	v_sub_nc_u32_e32 v143, 29, v143
	v_lshlrev_b64 v[152:153], v152, v[8:9]
	s_delay_alu instid0(VALU_DEP_1)
	v_and_b32_e32 v8, 7, v152
; %bb.711:                              ;   in Loop: Header=BB426_10 Depth=1
	s_or_b32 exec_lo, exec_lo, s21
	v_lshlrev_b32_e32 v141, 24, v141
	s_delay_alu instid0(VALU_DEP_2) | instskip(SKIP_1) | instid1(VALU_DEP_3)
	v_lshlrev_b32_e32 v8, 20, v8
	v_lshl_add_u32 v143, v143, 23, 0x3c000000
	v_and_b32_e32 v141, 0x80000000, v141
	s_delay_alu instid0(VALU_DEP_1)
	v_or3_b32 v8, v8, v141, v143
.LBB426_712:                            ;   in Loop: Header=BB426_10 Depth=1
	s_or_b32 exec_lo, exec_lo, s20
.LBB426_713:                            ;   in Loop: Header=BB426_10 Depth=1
	s_delay_alu instid0(SALU_CYCLE_1)
	s_or_b32 exec_lo, exec_lo, s19
.LBB426_714:                            ;   in Loop: Header=BB426_10 Depth=1
	s_delay_alu instid0(SALU_CYCLE_1) | instskip(NEXT) | instid1(VALU_DEP_1)
	s_or_b32 exec_lo, exec_lo, s3
	v_mul_f32_e32 v8, v181, v8
	s_delay_alu instid0(VALU_DEP_1) | instskip(NEXT) | instid1(VALU_DEP_1)
	v_and_b32_e32 v141, 0x7f800000, v8
	v_cmp_ne_u32_e64 s2, 0x7f800000, v141
                                        ; implicit-def: $vgpr141
	s_delay_alu instid0(VALU_DEP_1) | instskip(NEXT) | instid1(SALU_CYCLE_1)
	s_and_saveexec_b32 s3, s2
	s_xor_b32 s2, exec_lo, s3
; %bb.715:                              ;   in Loop: Header=BB426_10 Depth=1
	v_bfe_u32 v141, v8, 16, 1
	s_delay_alu instid0(VALU_DEP_1)
	v_add3_u32 v141, v8, v141, 0x7fff
                                        ; implicit-def: $vgpr8
; %bb.716:                              ;   in Loop: Header=BB426_10 Depth=1
	s_and_not1_saveexec_b32 s3, s2
; %bb.717:                              ;   in Loop: Header=BB426_10 Depth=1
	v_and_b32_e32 v141, 0xffff, v8
	v_or_b32_e32 v143, 0x10000, v8
	s_delay_alu instid0(VALU_DEP_2) | instskip(NEXT) | instid1(VALU_DEP_1)
	v_cmp_eq_u32_e64 s2, 0, v141
	v_cndmask_b32_e64 v141, v143, v8, s2
; %bb.718:                              ;   in Loop: Header=BB426_10 Depth=1
	s_or_b32 exec_lo, exec_lo, s3
	v_mov_b32_e32 v8, 0
	s_mov_b32 s3, exec_lo
	v_cmpx_lt_u32_e32 0xffffff, v29
	s_cbranch_execz .LBB426_726
; %bb.719:                              ;   in Loop: Header=BB426_10 Depth=1
	v_lshrrev_b32_e32 v143, 24, v29
	v_bfrev_b32_e32 v8, 1
	s_mov_b32 s19, exec_lo
	s_delay_alu instid0(VALU_DEP_2)
	v_cmpx_ne_u32_e32 0x80, v143
	s_cbranch_execz .LBB426_725
; %bb.720:                              ;   in Loop: Header=BB426_10 Depth=1
	v_bfe_u32 v152, v29, 24, 7
	v_mov_b32_e32 v8, 0x7f800001
	s_mov_b32 s20, exec_lo
	s_delay_alu instid0(VALU_DEP_2)
	v_cmpx_ne_u32_e32 0x7f, v152
	s_cbranch_execz .LBB426_724
; %bb.721:                              ;   in Loop: Header=BB426_10 Depth=1
	v_and_b32_e32 v8, 7, v143
	v_lshrrev_b32_e32 v29, 3, v152
	s_mov_b32 s21, exec_lo
	v_cmpx_gt_u32_e32 8, v152
; %bb.722:                              ;   in Loop: Header=BB426_10 Depth=1
	s_delay_alu instid0(VALU_DEP_3) | instskip(NEXT) | instid1(VALU_DEP_1)
	v_clz_i32_u32_e32 v29, v8
	v_min_u32_e32 v29, 32, v29
	s_delay_alu instid0(VALU_DEP_1) | instskip(SKIP_1) | instid1(VALU_DEP_2)
	v_subrev_nc_u32_e32 v152, 28, v29
	v_sub_nc_u32_e32 v29, 29, v29
	v_lshlrev_b64 v[152:153], v152, v[8:9]
	s_delay_alu instid0(VALU_DEP_1)
	v_and_b32_e32 v8, 7, v152
; %bb.723:                              ;   in Loop: Header=BB426_10 Depth=1
	s_or_b32 exec_lo, exec_lo, s21
	v_lshlrev_b32_e32 v143, 24, v143
	s_delay_alu instid0(VALU_DEP_2) | instskip(SKIP_1) | instid1(VALU_DEP_3)
	v_lshlrev_b32_e32 v8, 20, v8
	v_lshl_add_u32 v29, v29, 23, 0x3c000000
	v_and_b32_e32 v143, 0x80000000, v143
	s_delay_alu instid0(VALU_DEP_1)
	v_or3_b32 v8, v8, v143, v29
.LBB426_724:                            ;   in Loop: Header=BB426_10 Depth=1
	s_or_b32 exec_lo, exec_lo, s20
.LBB426_725:                            ;   in Loop: Header=BB426_10 Depth=1
	s_delay_alu instid0(SALU_CYCLE_1)
	s_or_b32 exec_lo, exec_lo, s19
.LBB426_726:                            ;   in Loop: Header=BB426_10 Depth=1
	s_delay_alu instid0(SALU_CYCLE_1) | instskip(NEXT) | instid1(VALU_DEP_1)
	s_or_b32 exec_lo, exec_lo, s3
	v_mul_f32_e32 v29, v181, v8
	s_delay_alu instid0(VALU_DEP_1) | instskip(NEXT) | instid1(VALU_DEP_1)
	v_and_b32_e32 v8, 0x7f800000, v29
	v_cmp_ne_u32_e64 s2, 0x7f800000, v8
                                        ; implicit-def: $vgpr8
	s_delay_alu instid0(VALU_DEP_1) | instskip(NEXT) | instid1(SALU_CYCLE_1)
	s_and_saveexec_b32 s3, s2
	s_xor_b32 s2, exec_lo, s3
; %bb.727:                              ;   in Loop: Header=BB426_10 Depth=1
	v_bfe_u32 v8, v29, 16, 1
	s_delay_alu instid0(VALU_DEP_1)
	v_add3_u32 v8, v29, v8, 0x7fff
                                        ; implicit-def: $vgpr29
; %bb.728:                              ;   in Loop: Header=BB426_10 Depth=1
	s_and_not1_saveexec_b32 s3, s2
; %bb.729:                              ;   in Loop: Header=BB426_10 Depth=1
	v_and_b32_e32 v8, 0xffff, v29
	v_or_b32_e32 v181, 0x10000, v29
	s_delay_alu instid0(VALU_DEP_2) | instskip(NEXT) | instid1(VALU_DEP_1)
	v_cmp_eq_u32_e64 s2, 0, v8
	v_cndmask_b32_e64 v8, v181, v29, s2
; %bb.730:                              ;   in Loop: Header=BB426_10 Depth=1
	s_or_b32 exec_lo, exec_lo, s3
	v_and_b32_e32 v43, 0xffff0000, v43
	v_and_b32_e32 v138, 0xffff0000, v138
	;; [unrolled: 1-line block ×4, first 2 shown]
	s_delay_alu instid0(VALU_DEP_4) | instskip(SKIP_3) | instid1(VALU_DEP_4)
	v_dual_mul_f32 v43, v64, v43 :: v_dual_and_b32 v42, 0xffff0000, v42
	v_and_b32_e32 v136, 0xffff0000, v136
	v_and_b32_e32 v181, 0xffff0000, v139
	;; [unrolled: 1-line block ×3, first 2 shown]
	v_dual_fmac_f32 v43, v52, v183 :: v_dual_and_b32 v180, 0xffff0000, v180
	v_and_b32_e32 v122, 0xffff0000, v122
	v_mul_f32_e32 v42, v55, v42
	v_and_b32_e32 v44, 0xffff0000, v44
	v_and_b32_e32 v29, 0xffff0000, v142
	v_fmac_f32_e32 v43, v68, v47
	v_and_b32_e32 v41, 0xffff0000, v41
	v_and_b32_e32 v28, 0xffff0000, v28
	v_dual_fmac_f32 v42, v51, v182 :: v_dual_and_b32 v139, 0xffff0000, v140
	s_delay_alu instid0(VALU_DEP_3) | instskip(SKIP_3) | instid1(VALU_DEP_4)
	v_dual_mul_f32 v182, v65, v44 :: v_dual_mul_f32 v41, v54, v41
	v_and_b32_e32 v126, 0xffff0000, v126
	v_and_b32_e32 v183, 0xffff0000, v56
	;; [unrolled: 1-line block ×3, first 2 shown]
	v_dual_fmac_f32 v41, v50, v180 :: v_dual_and_b32 v110, 0xffff0000, v110
	v_and_b32_e32 v180, 0xffff0000, v40
	v_and_b32_e32 v125, 0xffff0000, v125
	;; [unrolled: 1-line block ×3, first 2 shown]
	v_dual_fmac_f32 v43, v80, v59 :: v_dual_and_b32 v62, 0xffff0000, v62
	s_delay_alu instid0(VALU_DEP_4) | instskip(SKIP_1) | instid1(VALU_DEP_3)
	v_dual_fmac_f32 v182, v53, v180 :: v_dual_and_b32 v109, 0xffff0000, v109
	v_and_b32_e32 v180, 0xffff0000, v60
	v_dual_fmac_f32 v43, v84, v63 :: v_dual_and_b32 v106, 0xffff0000, v106
	s_delay_alu instid0(VALU_DEP_3) | instskip(SKIP_2) | instid1(VALU_DEP_3)
	v_dual_fmac_f32 v182, v69, v183 :: v_dual_and_b32 v93, 0xffff0000, v93
	v_and_b32_e32 v183, 0xffff0000, v72
	v_and_b32_e32 v8, 0xffff0000, v8
	v_dual_fmac_f32 v182, v81, v180 :: v_dual_and_b32 v89, 0xffff0000, v89
	v_and_b32_e32 v180, 0xffff0000, v76
	s_delay_alu instid0(VALU_DEP_2) | instskip(SKIP_1) | instid1(VALU_DEP_2)
	v_dual_fmac_f32 v182, v85, v183 :: v_dual_and_b32 v77, 0xffff0000, v77
	v_and_b32_e32 v183, 0xffff0000, v88
	v_dual_fmac_f32 v182, v97, v180 :: v_dual_and_b32 v73, 0xffff0000, v73
	v_and_b32_e32 v180, 0xffff0000, v92
	s_delay_alu instid0(VALU_DEP_2) | instskip(NEXT) | instid1(VALU_DEP_1)
	v_dual_fmac_f32 v182, v101, v183 :: v_dual_and_b32 v61, 0xffff0000, v61
	v_dual_fmac_f32 v182, v113, v180 :: v_dual_and_b32 v183, 0xffff0000, v95
	v_and_b32_e32 v57, 0xffff0000, v57
	v_and_b32_e32 v180, 0xffff0000, v107
	s_delay_alu instid0(VALU_DEP_3) | instskip(NEXT) | instid1(VALU_DEP_1)
	v_dual_fmac_f32 v182, v117, v183 :: v_dual_and_b32 v45, 0xffff0000, v45
	v_dual_fmac_f32 v182, v129, v180 :: v_dual_and_b32 v183, 0xffff0000, v111
	s_delay_alu instid0(VALU_DEP_2) | instskip(NEXT) | instid1(VALU_DEP_1)
	v_dual_fmac_f32 v41, v66, v45 :: v_dual_and_b32 v124, 0xffff0000, v124
	v_dual_fmac_f32 v41, v70, v57 :: v_dual_and_b32 v120, 0xffff0000, v120
	s_delay_alu instid0(VALU_DEP_1) | instskip(NEXT) | instid1(VALU_DEP_1)
	v_dual_fmac_f32 v41, v82, v61 :: v_dual_and_b32 v108, 0xffff0000, v108
	v_dual_fmac_f32 v41, v86, v73 :: v_dual_and_b32 v104, 0xffff0000, v104
	v_and_b32_e32 v90, 0xffff0000, v90
	v_and_b32_e32 v46, 0xffff0000, v46
	;; [unrolled: 1-line block ×3, first 2 shown]
	s_delay_alu instid0(VALU_DEP_4) | instskip(NEXT) | instid1(VALU_DEP_3)
	v_dual_fmac_f32 v41, v98, v77 :: v_dual_and_b32 v74, 0xffff0000, v74
	v_dual_fmac_f32 v42, v67, v46 :: v_dual_and_b32 v75, 0xffff0000, v75
	s_delay_alu instid0(VALU_DEP_2) | instskip(NEXT) | instid1(VALU_DEP_2)
	v_dual_fmac_f32 v41, v102, v89 :: v_dual_and_b32 v94, 0xffff0000, v94
	v_dual_fmac_f32 v43, v96, v75 :: v_dual_and_b32 v58, 0xffff0000, v58
	s_delay_alu instid0(VALU_DEP_2) | instskip(NEXT) | instid1(VALU_DEP_2)
	v_dual_fmac_f32 v41, v114, v93 :: v_dual_and_b32 v78, 0xffff0000, v78
	v_dual_fmac_f32 v42, v71, v58 :: v_dual_and_b32 v121, 0xffff0000, v121
	s_delay_alu instid0(VALU_DEP_1) | instskip(SKIP_1) | instid1(VALU_DEP_2)
	v_dual_fmac_f32 v42, v83, v62 :: v_dual_and_b32 v105, 0xffff0000, v105
	v_and_b32_e32 v91, 0xffff0000, v91
	v_dual_fmac_f32 v41, v118, v105 :: v_dual_fmac_f32 v42, v87, v74
	v_and_b32_e32 v79, 0xffff0000, v79
	s_delay_alu instid0(VALU_DEP_2) | instskip(NEXT) | instid1(VALU_DEP_2)
	v_dual_fmac_f32 v41, v130, v109 :: v_dual_fmac_f32 v42, v99, v78
	v_fmac_f32_e32 v43, v100, v79
	s_delay_alu instid0(VALU_DEP_2) | instskip(NEXT) | instid1(VALU_DEP_2)
	v_dual_fmac_f32 v41, v134, v121 :: v_dual_fmac_f32 v42, v103, v90
	v_fmac_f32_e32 v43, v112, v91
	;; [unrolled: 3-line block ×3, first 2 shown]
	s_delay_alu instid0(VALU_DEP_2) | instskip(NEXT) | instid1(VALU_DEP_2)
	v_fmac_f32_e32 v41, v151, v137
	v_dual_fmac_f32 v42, v119, v106 :: v_dual_fmac_f32 v43, v128, v108
	s_delay_alu instid0(VALU_DEP_1) | instskip(NEXT) | instid1(VALU_DEP_2)
	v_dual_fmac_f32 v41, v164, v28 :: v_dual_fmac_f32 v42, v131, v110
	v_dual_fmac_f32 v43, v132, v120 :: v_dual_and_b32 v180, 0xffff0000, v123
	s_delay_alu instid0(VALU_DEP_1) | instskip(SKIP_1) | instid1(VALU_DEP_2)
	v_dual_fmac_f32 v42, v135, v122 :: v_dual_fmac_f32 v43, v144, v124
	v_fmac_f32_e32 v182, v133, v183
	v_dual_fmac_f32 v42, v147, v126 :: v_dual_and_b32 v183, 0xffff0000, v127
	s_delay_alu instid0(VALU_DEP_3) | instskip(NEXT) | instid1(VALU_DEP_3)
	v_fmac_f32_e32 v43, v148, v136
	v_fmac_f32_e32 v182, v145, v180
	v_and_b32_e32 v180, 0xffff0000, v141
	s_delay_alu instid0(VALU_DEP_3) | instskip(NEXT) | instid1(VALU_DEP_3)
	v_dual_fmac_f32 v42, v160, v138 :: v_dual_fmac_f32 v43, v162, v181
	v_fmac_f32_e32 v182, v150, v183
	s_delay_alu instid0(VALU_DEP_2) | instskip(NEXT) | instid1(VALU_DEP_2)
	v_dual_fmac_f32 v42, v165, v29 :: v_dual_fmac_f32 v43, v166, v180
	v_fmac_f32_e32 v182, v163, v139
	s_delay_alu instid0(VALU_DEP_2) | instskip(NEXT) | instid1(VALU_DEP_2)
	v_add_f32_e32 v28, v41, v42
	v_fmac_f32_e32 v182, v167, v8
	s_delay_alu instid0(VALU_DEP_2) | instskip(NEXT) | instid1(VALU_DEP_1)
	v_add_f32_e32 v8, v28, v43
	v_add_f32_e32 v8, v182, v8
	ds_bpermute_b32 v28, v149, v8
	s_and_saveexec_b32 s3, vcc_lo
	s_cbranch_execz .LBB426_9
; %bb.731:                              ;   in Loop: Header=BB426_10 Depth=1
	v_add_nc_u32_e32 v29, v176, v177
	s_load_b32 s19, s[8:9], 0x0
	v_cmp_lt_i32_e64 s2, v177, v32
	s_waitcnt lgkmcnt(0)
	v_add_f32_e32 v8, v8, v28
	v_cvt_f32_i32_e32 v29, v29
	s_delay_alu instid0(VALU_DEP_1) | instskip(NEXT) | instid1(VALU_DEP_1)
	v_mul_f32_e32 v29, v37, v29
	v_cndmask_b32_e64 v28, 0, v29, s1
	v_max_f32_e32 v29, v161, v161
	s_delay_alu instid0(VALU_DEP_2) | instskip(NEXT) | instid1(VALU_DEP_1)
	v_fmac_f32_e32 v28, v8, v13
	v_dual_max_f32 v8, v29, v28 :: v_dual_add_nc_u32 v29, s19, v178
	v_cndmask_b32_e64 v28, 0, v28, s2
	s_delay_alu instid0(VALU_DEP_2)
	v_cndmask_b32_e64 v161, v161, v8, s2
	ds_store_b32 v29, v28
	s_branch .LBB426_9
.LBB426_732:
	s_or_b32 exec_lo, exec_lo, s7
.LBB426_733:
	s_delay_alu instid0(SALU_CYCLE_1)
	s_or_b32 exec_lo, exec_lo, s17
	v_xor_b32_e32 v8, 16, v36
	v_xor_b32_e32 v9, 8, v36
	s_waitcnt lgkmcnt(0)
	s_lshr_b32 s8, s18, 16
	v_dual_max_f32 v13, v161, v161 :: v_dual_lshlrev_b32 v24, 2, v34
	v_cmp_lt_i32_e32 vcc_lo, v8, v49
	v_cndmask_b32_e32 v8, v36, v8, vcc_lo
	v_cmp_lt_i32_e32 vcc_lo, v9, v49
	s_delay_alu instid0(VALU_DEP_2) | instskip(SKIP_3) | instid1(VALU_DEP_1)
	v_dual_cndmask_b32 v9, v36, v9 :: v_dual_lshlrev_b32 v20, 2, v8
	ds_bpermute_b32 v8, v20, v161
	s_waitcnt lgkmcnt(0)
	v_dual_max_f32 v8, v8, v8 :: v_dual_lshlrev_b32 v21, 2, v9
	v_max_f32_e32 v8, v13, v8
	v_xor_b32_e32 v13, 4, v36
	s_delay_alu instid0(VALU_DEP_1) | instskip(SKIP_4) | instid1(VALU_DEP_1)
	v_cmp_lt_i32_e32 vcc_lo, v13, v49
	v_cndmask_b32_e32 v13, v36, v13, vcc_lo
	ds_bpermute_b32 v9, v21, v8
	v_lshlrev_b32_e32 v23, 2, v13
	v_xor_b32_e32 v13, 2, v36
	v_cmp_lt_i32_e32 vcc_lo, v13, v49
	v_cndmask_b32_e32 v13, v36, v13, vcc_lo
	s_waitcnt lgkmcnt(0)
	v_max_f32_e32 v9, v9, v9
	s_delay_alu instid0(VALU_DEP_2) | instskip(NEXT) | instid1(VALU_DEP_2)
	v_lshlrev_b32_e32 v18, 2, v13
	v_max_f32_e32 v8, v8, v9
	ds_bpermute_b32 v9, v23, v8
	s_waitcnt lgkmcnt(0)
	v_max_f32_e32 v9, v9, v9
	s_delay_alu instid0(VALU_DEP_1)
	v_dual_max_f32 v9, v8, v9 :: v_dual_and_b32 v8, 31, v31
	ds_bpermute_b32 v13, v18, v9
	v_cmp_eq_u32_e32 vcc_lo, 0, v8
	s_and_saveexec_b32 s1, vcc_lo
	s_cbranch_execz .LBB426_735
; %bb.734:
	s_waitcnt lgkmcnt(0)
	v_max_f32_e32 v13, v13, v13
	v_max_f32_e32 v9, v9, v9
	s_delay_alu instid0(VALU_DEP_1)
	v_max_f32_e32 v9, v9, v13
	ds_store_b32 v24, v9 offset:240
.LBB426_735:
	s_or_b32 exec_lo, exec_lo, s1
	v_cmp_gt_u32_e64 s1, 4, v8
	v_mov_b32_e32 v9, 0xff7fffff
	v_lshlrev_b32_e32 v25, 2, v8
	s_waitcnt lgkmcnt(0)
	s_barrier
	buffer_gl0_inv
	s_and_saveexec_b32 s2, s1
	s_cbranch_execz .LBB426_737
; %bb.736:
	ds_load_b32 v9, v25 offset:240
.LBB426_737:
	s_or_b32 exec_lo, exec_lo, s2
	s_waitcnt lgkmcnt(0)
	ds_bpermute_b32 v13, v18, v9
	v_xor_b32_e32 v19, 1, v36
	v_dual_max_f32 v9, v9, v9 :: v_dual_lshlrev_b32 v28, 2, v36
	v_subrev_nc_u32_e32 v29, s13, v35
	s_delay_alu instid0(VALU_DEP_3) | instskip(NEXT) | instid1(VALU_DEP_3)
	v_cmp_lt_i32_e64 s2, v19, v49
	v_and_b32_e32 v28, 0xffffff80, v28
	s_delay_alu instid0(VALU_DEP_2) | instskip(NEXT) | instid1(VALU_DEP_1)
	v_cndmask_b32_e64 v19, v36, v19, s2
	v_lshlrev_b32_e32 v19, 2, v19
	s_waitcnt lgkmcnt(0)
	v_max_f32_e32 v13, v13, v13
	s_delay_alu instid0(VALU_DEP_1) | instskip(SKIP_3) | instid1(VALU_DEP_1)
	v_max_f32_e32 v9, v9, v13
	ds_bpermute_b32 v13, v19, v9
	s_waitcnt lgkmcnt(0)
	v_max_f32_e32 v13, v13, v13
	v_max_f32_e32 v9, v9, v13
	v_lshl_add_u32 v13, v29, 4, s16
	v_mov_b32_e32 v29, 0
	ds_bpermute_b32 v9, v28, v9
	v_min_i32_e32 v13, v13, v32
	s_delay_alu instid0(VALU_DEP_1) | instskip(NEXT) | instid1(VALU_DEP_1)
	v_subrev_nc_u32_e32 v13, s16, v13
	v_cmp_lt_i32_e64 s2, v31, v13
	s_delay_alu instid0(VALU_DEP_1)
	s_and_saveexec_b32 s9, s2
	s_cbranch_execz .LBB426_741
; %bb.738:
	s_getpc_b64 s[18:19]
	s_add_u32 s18, s18, llvm.amdgcn.dynlds.offset.table@rel32@lo+4
	s_addc_u32 s19, s19, llvm.amdgcn.dynlds.offset.table@rel32@hi+12
	s_ashr_i32 s7, s6, 31
	v_mov_b32_e32 v29, 0
	s_lshl_b64 s[20:21], s[6:7], 2
	v_mov_b32_e32 v37, v31
	s_add_u32 s18, s20, s18
	s_addc_u32 s19, s21, s19
	s_mov_b32 s7, 0
	s_load_b32 s3, s[18:19], 0x0
	s_waitcnt lgkmcnt(0)
	v_lshl_add_u32 v36, v31, 2, s3
	.p2align	6
.LBB426_739:                            ; =>This Inner Loop Header: Depth=1
	ds_load_b32 v49, v36
	v_add_nc_u32_e32 v37, 0x80, v37
	s_delay_alu instid0(VALU_DEP_1) | instskip(NEXT) | instid1(VALU_DEP_1)
	v_cmp_ge_i32_e64 s3, v37, v13
	s_or_b32 s7, s3, s7
	s_waitcnt lgkmcnt(0)
	v_sub_f32_e32 v49, v49, v9
	s_delay_alu instid0(VALU_DEP_1) | instskip(NEXT) | instid1(VALU_DEP_1)
	v_mul_f32_e32 v49, 0x3fb8aa3b, v49
	v_exp_f32_e32 v49, v49
	ds_store_b32 v36, v49
	v_dual_add_f32 v29, v29, v49 :: v_dual_add_nc_u32 v36, 0x200, v36
	s_and_not1_b32 exec_lo, exec_lo, s7
	s_cbranch_execnz .LBB426_739
; %bb.740:
	s_or_b32 exec_lo, exec_lo, s7
.LBB426_741:
	s_delay_alu instid0(SALU_CYCLE_1)
	s_or_b32 exec_lo, exec_lo, s9
	ds_bpermute_b32 v20, v20, v29
	s_waitcnt lgkmcnt(0)
	v_add_f32_e32 v20, v29, v20
	ds_bpermute_b32 v21, v21, v20
	s_waitcnt lgkmcnt(0)
	v_add_f32_e32 v20, v20, v21
	;; [unrolled: 3-line block ×5, first 2 shown]
	s_and_saveexec_b32 s3, vcc_lo
	s_cbranch_execz .LBB426_743
; %bb.742:
	ds_store_b32 v24, v20 offset:256
.LBB426_743:
	s_or_b32 exec_lo, exec_lo, s3
	s_waitcnt lgkmcnt(0)
	s_barrier
	buffer_gl0_inv
	s_and_saveexec_b32 s3, s1
	s_cbranch_execz .LBB426_745
; %bb.744:
	ds_load_b32 v20, v25 offset:256
.LBB426_745:
	s_or_b32 exec_lo, exec_lo, s3
	s_waitcnt lgkmcnt(0)
	ds_bpermute_b32 v18, v18, v20
	s_waitcnt lgkmcnt(0)
	v_add_f32_e32 v18, v20, v18
	ds_bpermute_b32 v20, v19, v18
	s_waitcnt lgkmcnt(0)
	v_add_f32_e32 v18, v18, v20
	ds_bpermute_b32 v18, v28, v18
	s_and_saveexec_b32 s1, s2
	s_cbranch_execz .LBB426_748
; %bb.746:
	s_waitcnt lgkmcnt(0)
	v_add_f32_e32 v21, 0x358637bd, v18
	s_getpc_b64 s[2:3]
	s_add_u32 s2, s2, llvm.amdgcn.dynlds.offset.table@rel32@lo+4
	s_addc_u32 s3, s3, llvm.amdgcn.dynlds.offset.table@rel32@hi+12
	s_ashr_i32 s7, s6, 31
	s_delay_alu instid0(SALU_CYCLE_1) | instskip(SKIP_3) | instid1(VALU_DEP_2)
	s_lshl_b64 s[18:19], s[6:7], 2
	v_div_scale_f32 v20, null, v21, v21, 1.0
	v_div_scale_f32 v25, vcc_lo, 1.0, v21, 1.0
	s_add_u32 s2, s18, s2
	v_rcp_f32_e32 v23, v20
	s_addc_u32 s3, s19, s3
	s_load_b32 s2, s[2:3], 0x0
	s_waitcnt_depctr 0xfff
	v_fma_f32 v24, -v20, v23, 1.0
	s_delay_alu instid0(VALU_DEP_1) | instskip(NEXT) | instid1(VALU_DEP_1)
	v_fmac_f32_e32 v23, v24, v23
	v_mul_f32_e32 v24, v25, v23
	s_delay_alu instid0(VALU_DEP_1) | instskip(NEXT) | instid1(VALU_DEP_1)
	v_fma_f32 v28, -v20, v24, v25
	v_fmac_f32_e32 v24, v28, v23
	s_delay_alu instid0(VALU_DEP_1) | instskip(NEXT) | instid1(VALU_DEP_1)
	v_fma_f32 v20, -v20, v24, v25
	v_div_fmas_f32 v23, v20, v23, v24
	s_waitcnt lgkmcnt(0)
	v_lshl_add_u32 v20, v31, 2, s2
	s_mov_b32 s2, 0
	s_delay_alu instid0(VALU_DEP_2)
	v_div_fixup_f32 v21, v23, v21, 1.0
	v_mov_b32_e32 v23, v31
.LBB426_747:                            ; =>This Inner Loop Header: Depth=1
	ds_load_b32 v24, v20
	s_waitcnt lgkmcnt(0)
	v_dual_mul_f32 v24, v21, v24 :: v_dual_add_nc_u32 v23, 0x80, v23
	s_delay_alu instid0(VALU_DEP_1) | instskip(SKIP_3) | instid1(SALU_CYCLE_1)
	v_cmp_ge_i32_e32 vcc_lo, v23, v13
	ds_store_b32 v20, v24
	v_add_nc_u32_e32 v20, 0x200, v20
	s_or_b32 s2, vcc_lo, s2
	s_and_not1_b32 exec_lo, exec_lo, s2
	s_cbranch_execnz .LBB426_747
.LBB426_748:
	s_or_b32 exec_lo, exec_lo, s1
	v_cmp_ne_u16_e64 s1, s8, 0
	s_waitcnt lgkmcnt(0)
	s_barrier
	buffer_gl0_inv
	s_cmp_lg_u32 s1, 0
	s_addc_u32 s5, s5, 0
	s_delay_alu instid0(SALU_CYCLE_1) | instskip(NEXT) | instid1(SALU_CYCLE_1)
	s_mul_i32 s1, s5, s10
	s_mul_i32 s2, s1, s15
	s_mov_b32 s1, exec_lo
	v_cmpx_eq_u32_e32 0, v31
	s_cbranch_execz .LBB426_750
; %bb.749:
	s_mul_i32 s8, s5, s12
	s_ashr_i32 s15, s14, 31
	s_ashr_i32 s9, s8, 31
	;; [unrolled: 1-line block ×3, first 2 shown]
	s_lshl_b64 s[8:9], s[8:9], 2
	s_lshl_b64 s[12:13], s[14:15], 2
	;; [unrolled: 1-line block ×3, first 2 shown]
	s_add_u32 s3, s12, s8
	s_addc_u32 s7, s13, s9
	s_add_u32 s3, s3, s18
	s_addc_u32 s7, s7, s19
	v_add_co_u32 v2, vcc_lo, s3, v2
	v_add_co_ci_u32_e32 v3, vcc_lo, s7, v3, vcc_lo
	v_add_co_u32 v0, vcc_lo, s3, v0
	v_add_co_ci_u32_e32 v1, vcc_lo, s7, v1, vcc_lo
	flat_store_b32 v[2:3], v9
	flat_store_b32 v[0:1], v18
.LBB426_750:
	s_or_b32 exec_lo, exec_lo, s1
	v_lshrrev_b32_e32 v18, 1, v8
                                        ; implicit-def: $sgpr1
	s_and_saveexec_b32 s3, s0
	s_delay_alu instid0(SALU_CYCLE_1)
	s_xor_b32 s0, exec_lo, s3
; %bb.751:
	v_lshrrev_b32_e32 v18, 1, v8
	s_ashr_i32 s7, s6, 31
	s_mov_b32 s1, 0
                                        ; implicit-def: $vgpr32
                                        ; implicit-def: $vgpr38
                                        ; implicit-def: $vgpr35
                                        ; implicit-def: $vgpr16
                                        ; implicit-def: $vgpr10
                                        ; implicit-def: $vgpr11
                                        ; implicit-def: $vgpr14
                                        ; implicit-def: $vgpr15
                                        ; implicit-def: $vgpr22
                                        ; implicit-def: $vgpr26_vgpr27
                                        ; implicit-def: $vgpr39
                                        ; implicit-def: $vgpr48
                                        ; implicit-def: $vgpr6_vgpr7
                                        ; implicit-def: $vgpr12
; %bb.752:
	s_or_saveexec_b32 s3, s0
	v_dual_mov_b32 v0, s6 :: v_dual_mov_b32 v21, s1
	v_dual_mov_b32 v20, s1 :: v_dual_mov_b32 v1, s7
	;; [unrolled: 1-line block ×5, first 2 shown]
	s_xor_b32 exec_lo, exec_lo, s3
	s_cbranch_execz .LBB426_1830
; %bb.753:
	flat_load_b32 v37, v[26:27]
	s_getpc_b64 s[0:1]
	s_add_u32 s0, s0, llvm.amdgcn.dynlds.offset.table@rel32@lo+4
	s_addc_u32 s1, s1, llvm.amdgcn.dynlds.offset.table@rel32@hi+12
	s_ashr_i32 s7, s6, 31
	v_dual_mov_b32 v13, 0 :: v_dual_and_b32 v2, 8, v12
	s_lshl_b64 s[8:9], s[6:7], 2
	v_or_b32_e32 v3, 0x70, v18
	s_add_u32 s0, s8, s0
	s_addc_u32 s1, s9, s1
	v_add_co_u32 v10, vcc_lo, v10, v39
	s_load_b32 s1, s[0:1], 0x0
	v_lshlrev_b64 v[0:1], 2, v[16:17]
	v_add_co_ci_u32_e32 v11, vcc_lo, v11, v48, vcc_lo
	v_cmp_gt_u32_e32 vcc_lo, 0x78, v3
	v_lshl_or_b32 v17, v3, 4, v2
	v_dual_mov_b32 v36, 0 :: v_dual_lshlrev_b32 v3, 5, v33
	v_add_co_u32 v0, s0, v6, v0
	s_delay_alu instid0(VALU_DEP_1) | instskip(SKIP_1) | instid1(VALU_DEP_4)
	v_add_co_ci_u32_e64 v1, s0, v7, v1, s0
	v_lshl_add_u32 v6, v34, 4, s16
	v_lshl_or_b32 v3, v34, 6, v3
	s_delay_alu instid0(VALU_DEP_4)
	v_add_co_u32 v14, s0, v14, v0
	v_dual_mov_b32 v29, 0 :: v_dual_add_nc_u32 v38, -1, v38
	v_lshl_or_b32 v39, v18, 4, v2
	v_add_co_ci_u32_e64 v15, s0, v15, v1, s0
	v_add3_u32 v48, v6, v2, 7
	s_waitcnt lgkmcnt(0)
	v_dual_mov_b32 v28, 0 :: v_dual_add_nc_u32 v49, s1, v3
	v_dual_mov_b32 v25, 0 :: v_dual_mov_b32 v24, 0
	v_dual_mov_b32 v23, 0 :: v_dual_mov_b32 v20, 0
	v_mov_b32_e32 v21, 0
	s_mov_b32 s8, -1
	s_mov_b32 s9, 0xffffff
	s_mov_b32 s10, 0
	s_branch .LBB426_756
.LBB426_754:                            ;   in Loop: Header=BB426_756 Depth=1
	s_or_b32 exec_lo, exec_lo, s1
	v_and_b32_e32 v3, 0xffff0000, v3
	v_and_b32_e32 v68, 0xffff0000, v68
	v_and_b32_e32 v12, 0xffff0000, v12
	v_and_b32_e32 v2, 0xffff0000, v2
	v_and_b32_e32 v66, 0xffff0000, v66
	s_delay_alu instid0(VALU_DEP_4) | instskip(NEXT) | instid1(VALU_DEP_3)
	v_dual_add_f32 v3, v68, v3 :: v_dual_and_b32 v0, 0xffff0000, v0
	v_dual_add_f32 v2, v2, v12 :: v_dual_and_b32 v67, 0xffff0000, v67
	s_delay_alu instid0(VALU_DEP_1) | instskip(NEXT) | instid1(VALU_DEP_1)
	v_dual_add_f32 v12, v66, v67 :: v_dual_and_b32 v1, 0xffff0000, v1
	v_add_f32_e32 v0, v1, v0
	s_delay_alu instid0(VALU_DEP_2) | instskip(NEXT) | instid1(VALU_DEP_1)
	v_add_f32_e32 v2, v2, v12
	v_add_f32_e32 v2, v2, v3
	s_delay_alu instid0(VALU_DEP_1) | instskip(NEXT) | instid1(VALU_DEP_1)
	v_add_f32_e32 v0, v2, v0
	v_add_f32_e32 v20, v20, v0
.LBB426_755:                            ;   in Loop: Header=BB426_756 Depth=1
	s_or_b32 exec_lo, exec_lo, s12
	v_and_b32_e32 v3, 0xffff0000, v50
	v_and_b32_e32 v12, 0xffff0000, v52
	;; [unrolled: 1-line block ×7, first 2 shown]
	s_delay_alu instid0(VALU_DEP_4) | instskip(NEXT) | instid1(VALU_DEP_4)
	v_dual_add_f32 v2, v3, v2 :: v_dual_and_b32 v9, 0xffff0000, v9
	v_dual_add_f32 v1, v12, v1 :: v_dual_and_b32 v0, 0xffff0000, v55
	v_and_b32_e32 v12, 0xffff0000, v84
	v_and_b32_e32 v65, 0xffff0000, v160
	;; [unrolled: 1-line block ×3, first 2 shown]
	v_add_f32_e32 v6, v6, v7
	v_add_f32_e32 v1, v2, v1
	v_and_b32_e32 v53, 0xffff0000, v83
	v_and_b32_e32 v3, 0xffff0000, v86
	;; [unrolled: 1-line block ×5, first 2 shown]
	v_add_f32_e32 v12, v53, v12
	v_and_b32_e32 v50, 0xffff0000, v54
	v_and_b32_e32 v54, 0xffff0000, v85
	v_add_nc_u32_e32 v16, 4, v16
	v_add_co_u32 v14, s1, v14, 16
	s_delay_alu instid0(VALU_DEP_1) | instskip(NEXT) | instid1(VALU_DEP_4)
	v_add_co_ci_u32_e64 v15, s1, 0, v15, s1
	v_add_f32_e32 v3, v54, v3
	v_add_f32_e32 v0, v50, v0
	v_and_b32_e32 v50, 0xffff0000, v87
	v_and_b32_e32 v51, 0xffff0000, v64
	s_delay_alu instid0(VALU_DEP_4) | instskip(NEXT) | instid1(VALU_DEP_4)
	v_dual_add_f32 v3, v12, v3 :: v_dual_and_b32 v64, 0xffff0000, v129
	v_add_f32_e32 v0, v1, v0
	s_delay_alu instid0(VALU_DEP_3)
	v_dual_add_f32 v2, v50, v2 :: v_dual_add_f32 v1, v51, v52
	v_and_b32_e32 v12, 0xffff0000, v98
	v_and_b32_e32 v50, 0xffff0000, v99
	;; [unrolled: 1-line block ×4, first 2 shown]
	v_dual_add_f32 v0, v0, v1 :: v_dual_add_f32 v1, v3, v2
	v_and_b32_e32 v3, 0xffff0000, v102
	v_and_b32_e32 v51, 0xffff0000, v97
	s_delay_alu instid0(VALU_DEP_3) | instskip(SKIP_2) | instid1(VALU_DEP_4)
	v_dual_add_f32 v7, v67, v66 :: v_dual_add_f32 v36, v36, v0
	v_cmp_ge_i32_e64 s0, v16, v35
	v_add_nc_u32_e32 v48, 64, v48
	v_dual_add_f32 v2, v51, v12 :: v_dual_and_b32 v51, 0xffff0000, v101
	v_and_b32_e32 v12, 0xffff0000, v100
	v_add_f32_e32 v6, v6, v7
	s_or_b32 s10, s0, s10
	s_delay_alu instid0(VALU_DEP_3) | instskip(NEXT) | instid1(VALU_DEP_3)
	v_dual_add_f32 v0, v1, v2 :: v_dual_and_b32 v1, 0xffff0000, v112
	v_dual_add_f32 v2, v50, v12 :: v_dual_add_f32 v3, v51, v3
	s_delay_alu instid0(VALU_DEP_2) | instskip(SKIP_1) | instid1(VALU_DEP_3)
	v_dual_add_f32 v29, v29, v0 :: v_dual_and_b32 v12, 0xffff0000, v103
	v_add_f32_e32 v8, v8, v9
	v_dual_add_f32 v2, v2, v3 :: v_dual_add_nc_u32 v49, 0x100, v49
	v_and_b32_e32 v3, 0xffff0000, v118
	s_delay_alu instid0(VALU_DEP_4) | instskip(NEXT) | instid1(VALU_DEP_2)
	v_dual_add_f32 v1, v12, v1 :: v_dual_and_b32 v12, 0xffff0000, v116
	v_dual_add_f32 v3, v52, v3 :: v_dual_and_b32 v52, 0xffff0000, v132
	s_delay_alu instid0(VALU_DEP_1) | instskip(NEXT) | instid1(VALU_DEP_1)
	v_dual_add_f32 v52, v54, v52 :: v_dual_and_b32 v51, 0xffff0000, v115
	v_dual_add_f32 v12, v51, v12 :: v_dual_and_b32 v53, 0xffff0000, v119
	v_and_b32_e32 v0, 0xffff0000, v113
	v_and_b32_e32 v51, 0xffff0000, v134
	;; [unrolled: 1-line block ×4, first 2 shown]
	v_dual_add_f32 v3, v12, v3 :: v_dual_and_b32 v12, 0xffff0000, v144
	s_delay_alu instid0(VALU_DEP_3) | instskip(SKIP_2) | instid1(VALU_DEP_4)
	v_dual_add_f32 v51, v55, v51 :: v_dual_and_b32 v50, 0xffff0000, v114
	v_and_b32_e32 v55, 0xffff0000, v147
	v_add_f32_e32 v1, v2, v1
	v_add_f32_e32 v12, v54, v12
	v_and_b32_e32 v54, 0xffff0000, v148
	v_add_f32_e32 v0, v0, v50
	v_dual_add_f32 v50, v52, v51 :: v_dual_and_b32 v51, 0xffff0000, v145
	s_delay_alu instid0(VALU_DEP_3) | instskip(NEXT) | instid1(VALU_DEP_3)
	v_dual_add_f32 v9, v55, v54 :: v_dual_and_b32 v54, 0xffff0000, v164
	v_dual_add_f32 v0, v1, v0 :: v_dual_and_b32 v55, 0xffff0000, v163
	v_and_b32_e32 v2, 0xffff0000, v128
	s_delay_alu instid0(VALU_DEP_2) | instskip(NEXT) | instid1(VALU_DEP_3)
	v_dual_add_f32 v8, v8, v9 :: v_dual_add_f32 v7, v55, v54
	v_add_f32_e32 v28, v28, v0
	s_delay_alu instid0(VALU_DEP_3) | instskip(NEXT) | instid1(VALU_DEP_3)
	v_add_f32_e32 v2, v53, v2
	v_dual_add_f32 v6, v6, v7 :: v_dual_and_b32 v53, 0xffff0000, v130
	s_delay_alu instid0(VALU_DEP_1) | instskip(SKIP_3) | instid1(VALU_DEP_4)
	v_dual_add_f32 v2, v3, v2 :: v_dual_add_f32 v3, v64, v53
	v_dual_add_f32 v12, v50, v12 :: v_dual_and_b32 v53, 0xffff0000, v149
	v_and_b32_e32 v50, 0xffff0000, v150
	v_and_b32_e32 v64, 0xffff0000, v151
	v_add_f32_e32 v1, v2, v3
	s_delay_alu instid0(VALU_DEP_3) | instskip(SKIP_2) | instid1(VALU_DEP_4)
	v_add_f32_e32 v9, v53, v50
	v_and_b32_e32 v53, 0xffff0000, v166
	v_and_b32_e32 v50, 0xffff0000, v165
	v_add_f32_e32 v25, v25, v1
	s_delay_alu instid0(VALU_DEP_4) | instskip(SKIP_1) | instid1(VALU_DEP_4)
	v_add_f32_e32 v8, v8, v9
	v_add_f32_e32 v9, v64, v65
	;; [unrolled: 1-line block ×3, first 2 shown]
	s_delay_alu instid0(VALU_DEP_2) | instskip(NEXT) | instid1(VALU_DEP_2)
	v_dual_add_f32 v3, v8, v9 :: v_dual_and_b32 v52, 0xffff0000, v146
	v_add_f32_e32 v6, v6, v7
	s_delay_alu instid0(VALU_DEP_2) | instskip(NEXT) | instid1(VALU_DEP_3)
	v_add_f32_e32 v23, v23, v3
	v_add_f32_e32 v51, v51, v52
	s_delay_alu instid0(VALU_DEP_1) | instskip(NEXT) | instid1(VALU_DEP_1)
	v_dual_add_f32 v21, v21, v6 :: v_dual_add_f32 v2, v12, v51
	v_add_f32_e32 v24, v24, v2
	s_and_not1_b32 exec_lo, exec_lo, s10
	s_cbranch_execz .LBB426_1829
.LBB426_756:                            ; =>This Inner Loop Header: Depth=1
	flat_load_b32 v12, v[14:15]
	ds_load_2addr_b64 v[6:9], v49 offset1:1
	ds_load_2addr_b64 v[0:3], v49 offset0:2 offset1:3
	s_waitcnt lgkmcnt(1)
	v_and_b32_e32 v50, 0x7f800000, v6
	s_delay_alu instid0(VALU_DEP_1) | instskip(NEXT) | instid1(VALU_DEP_1)
	v_cmp_ne_u32_e64 s0, 0x7f800000, v50
                                        ; implicit-def: $vgpr50
	s_and_saveexec_b32 s1, s0
	s_delay_alu instid0(SALU_CYCLE_1)
	s_xor_b32 s0, exec_lo, s1
; %bb.757:                              ;   in Loop: Header=BB426_756 Depth=1
	v_bfe_u32 v50, v6, 16, 1
	s_delay_alu instid0(VALU_DEP_1)
	v_add3_u32 v50, v6, v50, 0x7fff
; %bb.758:                              ;   in Loop: Header=BB426_756 Depth=1
	s_and_not1_saveexec_b32 s1, s0
; %bb.759:                              ;   in Loop: Header=BB426_756 Depth=1
	v_and_b32_e32 v50, 0xffff, v6
	v_or_b32_e32 v51, 0x10000, v6
	s_delay_alu instid0(VALU_DEP_2) | instskip(NEXT) | instid1(VALU_DEP_1)
	v_cmp_eq_u32_e64 s0, 0, v50
	v_cndmask_b32_e64 v50, v51, v6, s0
; %bb.760:                              ;   in Loop: Header=BB426_756 Depth=1
	s_or_b32 exec_lo, exec_lo, s1
	v_and_b32_e32 v6, 0x7f800000, v7
                                        ; implicit-def: $vgpr51
	s_delay_alu instid0(VALU_DEP_1) | instskip(NEXT) | instid1(VALU_DEP_1)
	v_cmp_ne_u32_e64 s0, 0x7f800000, v6
	s_and_saveexec_b32 s1, s0
	s_delay_alu instid0(SALU_CYCLE_1)
	s_xor_b32 s0, exec_lo, s1
; %bb.761:                              ;   in Loop: Header=BB426_756 Depth=1
	v_bfe_u32 v6, v7, 16, 1
	s_delay_alu instid0(VALU_DEP_1)
	v_add3_u32 v51, v7, v6, 0x7fff
; %bb.762:                              ;   in Loop: Header=BB426_756 Depth=1
	s_and_not1_saveexec_b32 s1, s0
; %bb.763:                              ;   in Loop: Header=BB426_756 Depth=1
	v_and_b32_e32 v6, 0xffff, v7
	v_or_b32_e32 v51, 0x10000, v7
	s_delay_alu instid0(VALU_DEP_2) | instskip(NEXT) | instid1(VALU_DEP_1)
	v_cmp_eq_u32_e64 s0, 0, v6
	v_cndmask_b32_e64 v51, v51, v7, s0
; %bb.764:                              ;   in Loop: Header=BB426_756 Depth=1
	s_or_b32 exec_lo, exec_lo, s1
	v_and_b32_e32 v6, 0x7f800000, v8
                                        ; implicit-def: $vgpr52
	s_delay_alu instid0(VALU_DEP_1) | instskip(NEXT) | instid1(VALU_DEP_1)
	v_cmp_ne_u32_e64 s0, 0x7f800000, v6
	s_and_saveexec_b32 s1, s0
	s_delay_alu instid0(SALU_CYCLE_1)
	s_xor_b32 s0, exec_lo, s1
; %bb.765:                              ;   in Loop: Header=BB426_756 Depth=1
	v_bfe_u32 v6, v8, 16, 1
	s_delay_alu instid0(VALU_DEP_1)
	v_add3_u32 v52, v8, v6, 0x7fff
; %bb.766:                              ;   in Loop: Header=BB426_756 Depth=1
	s_and_not1_saveexec_b32 s1, s0
; %bb.767:                              ;   in Loop: Header=BB426_756 Depth=1
	v_and_b32_e32 v6, 0xffff, v8
	v_or_b32_e32 v7, 0x10000, v8
	s_delay_alu instid0(VALU_DEP_2) | instskip(NEXT) | instid1(VALU_DEP_1)
	v_cmp_eq_u32_e64 s0, 0, v6
	v_cndmask_b32_e64 v52, v7, v8, s0
; %bb.768:                              ;   in Loop: Header=BB426_756 Depth=1
	s_or_b32 exec_lo, exec_lo, s1
	v_and_b32_e32 v6, 0x7f800000, v9
                                        ; implicit-def: $vgpr53
	s_delay_alu instid0(VALU_DEP_1) | instskip(NEXT) | instid1(VALU_DEP_1)
	v_cmp_ne_u32_e64 s0, 0x7f800000, v6
	s_and_saveexec_b32 s1, s0
	s_delay_alu instid0(SALU_CYCLE_1)
	s_xor_b32 s0, exec_lo, s1
; %bb.769:                              ;   in Loop: Header=BB426_756 Depth=1
	v_bfe_u32 v6, v9, 16, 1
	s_delay_alu instid0(VALU_DEP_1)
	v_add3_u32 v53, v9, v6, 0x7fff
                                        ; implicit-def: $vgpr6_vgpr7_vgpr8_vgpr9
; %bb.770:                              ;   in Loop: Header=BB426_756 Depth=1
	s_and_not1_saveexec_b32 s1, s0
; %bb.771:                              ;   in Loop: Header=BB426_756 Depth=1
	v_and_b32_e32 v6, 0xffff, v9
	v_or_b32_e32 v7, 0x10000, v9
	s_delay_alu instid0(VALU_DEP_2) | instskip(NEXT) | instid1(VALU_DEP_1)
	v_cmp_eq_u32_e64 s0, 0, v6
	v_cndmask_b32_e64 v53, v7, v9, s0
; %bb.772:                              ;   in Loop: Header=BB426_756 Depth=1
	s_or_b32 exec_lo, exec_lo, s1
	s_waitcnt lgkmcnt(0)
	v_and_b32_e32 v6, 0x7f800000, v0
                                        ; implicit-def: $vgpr54
	s_delay_alu instid0(VALU_DEP_1) | instskip(NEXT) | instid1(VALU_DEP_1)
	v_cmp_ne_u32_e64 s0, 0x7f800000, v6
	s_and_saveexec_b32 s1, s0
	s_delay_alu instid0(SALU_CYCLE_1)
	s_xor_b32 s0, exec_lo, s1
; %bb.773:                              ;   in Loop: Header=BB426_756 Depth=1
	v_bfe_u32 v6, v0, 16, 1
	s_delay_alu instid0(VALU_DEP_1)
	v_add3_u32 v54, v0, v6, 0x7fff
; %bb.774:                              ;   in Loop: Header=BB426_756 Depth=1
	s_and_not1_saveexec_b32 s1, s0
; %bb.775:                              ;   in Loop: Header=BB426_756 Depth=1
	v_and_b32_e32 v6, 0xffff, v0
	v_or_b32_e32 v7, 0x10000, v0
	s_delay_alu instid0(VALU_DEP_2) | instskip(NEXT) | instid1(VALU_DEP_1)
	v_cmp_eq_u32_e64 s0, 0, v6
	v_cndmask_b32_e64 v54, v7, v0, s0
; %bb.776:                              ;   in Loop: Header=BB426_756 Depth=1
	s_or_b32 exec_lo, exec_lo, s1
	v_and_b32_e32 v0, 0x7f800000, v1
                                        ; implicit-def: $vgpr55
	s_delay_alu instid0(VALU_DEP_1) | instskip(NEXT) | instid1(VALU_DEP_1)
	v_cmp_ne_u32_e64 s0, 0x7f800000, v0
	s_and_saveexec_b32 s1, s0
	s_delay_alu instid0(SALU_CYCLE_1)
	s_xor_b32 s0, exec_lo, s1
; %bb.777:                              ;   in Loop: Header=BB426_756 Depth=1
	v_bfe_u32 v0, v1, 16, 1
	s_delay_alu instid0(VALU_DEP_1)
	v_add3_u32 v55, v1, v0, 0x7fff
; %bb.778:                              ;   in Loop: Header=BB426_756 Depth=1
	s_and_not1_saveexec_b32 s1, s0
; %bb.779:                              ;   in Loop: Header=BB426_756 Depth=1
	v_and_b32_e32 v0, 0xffff, v1
	v_or_b32_e32 v6, 0x10000, v1
	s_delay_alu instid0(VALU_DEP_2) | instskip(NEXT) | instid1(VALU_DEP_1)
	v_cmp_eq_u32_e64 s0, 0, v0
	v_cndmask_b32_e64 v55, v6, v1, s0
; %bb.780:                              ;   in Loop: Header=BB426_756 Depth=1
	s_or_b32 exec_lo, exec_lo, s1
	v_and_b32_e32 v0, 0x7f800000, v2
                                        ; implicit-def: $vgpr64
	s_delay_alu instid0(VALU_DEP_1) | instskip(NEXT) | instid1(VALU_DEP_1)
	v_cmp_ne_u32_e64 s0, 0x7f800000, v0
	s_and_saveexec_b32 s1, s0
	s_delay_alu instid0(SALU_CYCLE_1)
	s_xor_b32 s0, exec_lo, s1
; %bb.781:                              ;   in Loop: Header=BB426_756 Depth=1
	v_bfe_u32 v0, v2, 16, 1
	s_delay_alu instid0(VALU_DEP_1)
	v_add3_u32 v64, v2, v0, 0x7fff
; %bb.782:                              ;   in Loop: Header=BB426_756 Depth=1
	s_and_not1_saveexec_b32 s1, s0
; %bb.783:                              ;   in Loop: Header=BB426_756 Depth=1
	v_and_b32_e32 v0, 0xffff, v2
	v_or_b32_e32 v1, 0x10000, v2
	s_delay_alu instid0(VALU_DEP_2) | instskip(NEXT) | instid1(VALU_DEP_1)
	v_cmp_eq_u32_e64 s0, 0, v0
	v_cndmask_b32_e64 v64, v1, v2, s0
; %bb.784:                              ;   in Loop: Header=BB426_756 Depth=1
	s_or_b32 exec_lo, exec_lo, s1
	v_and_b32_e32 v0, 0x7f800000, v3
                                        ; implicit-def: $vgpr65
	s_delay_alu instid0(VALU_DEP_1) | instskip(NEXT) | instid1(VALU_DEP_1)
	v_cmp_ne_u32_e64 s0, 0x7f800000, v0
	s_and_saveexec_b32 s1, s0
	s_delay_alu instid0(SALU_CYCLE_1)
	s_xor_b32 s0, exec_lo, s1
; %bb.785:                              ;   in Loop: Header=BB426_756 Depth=1
	v_bfe_u32 v0, v3, 16, 1
	s_delay_alu instid0(VALU_DEP_1)
	v_add3_u32 v65, v3, v0, 0x7fff
                                        ; implicit-def: $vgpr0_vgpr1_vgpr2_vgpr3
; %bb.786:                              ;   in Loop: Header=BB426_756 Depth=1
	s_and_not1_saveexec_b32 s1, s0
; %bb.787:                              ;   in Loop: Header=BB426_756 Depth=1
	v_and_b32_e32 v0, 0xffff, v3
	v_or_b32_e32 v1, 0x10000, v3
	s_delay_alu instid0(VALU_DEP_2) | instskip(NEXT) | instid1(VALU_DEP_1)
	v_cmp_eq_u32_e64 s0, 0, v0
	v_cndmask_b32_e64 v65, v1, v3, s0
; %bb.788:                              ;   in Loop: Header=BB426_756 Depth=1
	s_or_b32 exec_lo, exec_lo, s1
	s_waitcnt vmcnt(0)
	v_mad_i64_i32 v[0:1], null, v12, v22, v[10:11]
	s_mov_b32 s1, exec_lo
	v_mov_b32_e32 v8, 0
	s_delay_alu instid0(VALU_DEP_2) | instskip(NEXT) | instid1(VALU_DEP_1)
	v_add_co_u32 v2, s0, v0, v39
	v_add_co_ci_u32_e64 v3, s0, 0, v1, s0
	flat_load_b64 v[6:7], v[2:3]
	s_waitcnt vmcnt(0) lgkmcnt(0)
	v_and_b32_e32 v9, 0xff, v6
	s_delay_alu instid0(VALU_DEP_1)
	v_cmpx_ne_u16_e32 0, v9
	s_cbranch_execz .LBB426_796
; %bb.789:                              ;   in Loop: Header=BB426_756 Depth=1
	v_bfrev_b32_e32 v8, 1
	s_mov_b32 s12, exec_lo
	v_cmpx_ne_u16_e32 0x80, v9
	s_cbranch_execz .LBB426_795
; %bb.790:                              ;   in Loop: Header=BB426_756 Depth=1
	v_and_b32_e32 v9, 0x7f, v6
	v_mov_b32_e32 v8, 0x7f800001
	s_mov_b32 s13, exec_lo
	s_delay_alu instid0(VALU_DEP_2)
	v_cmpx_ne_u32_e32 0x7f, v9
	s_cbranch_execz .LBB426_794
; %bb.791:                              ;   in Loop: Header=BB426_756 Depth=1
	v_lshrrev_b32_e32 v12, 3, v9
	v_cmp_gt_u32_e64 s0, 8, v9
	v_dual_mov_b32 v9, v7 :: v_dual_mov_b32 v8, v6
	s_delay_alu instid0(VALU_DEP_2)
	s_and_saveexec_b32 s15, s0
; %bb.792:                              ;   in Loop: Header=BB426_756 Depth=1
	v_and_b32_e32 v8, 7, v6
	s_delay_alu instid0(VALU_DEP_1) | instskip(NEXT) | instid1(VALU_DEP_1)
	v_clz_i32_u32_e32 v8, v8
	v_min_u32_e32 v12, 32, v8
	s_delay_alu instid0(VALU_DEP_1) | instskip(SKIP_1) | instid1(VALU_DEP_2)
	v_subrev_nc_u32_e32 v8, 28, v12
	v_sub_nc_u32_e32 v12, 29, v12
	v_lshlrev_b64 v[8:9], v8, v[6:7]
; %bb.793:                              ;   in Loop: Header=BB426_756 Depth=1
	s_or_b32 exec_lo, exec_lo, s15
	s_delay_alu instid0(VALU_DEP_1) | instskip(SKIP_2) | instid1(VALU_DEP_3)
	v_lshlrev_b32_e32 v8, 20, v8
	v_lshlrev_b32_e32 v9, 24, v6
	v_lshl_add_u32 v12, v12, 23, 0x3c000000
	v_and_b32_e32 v8, 0x700000, v8
	s_delay_alu instid0(VALU_DEP_3) | instskip(NEXT) | instid1(VALU_DEP_1)
	v_and_b32_e32 v9, 0x80000000, v9
	v_or3_b32 v8, v8, v9, v12
.LBB426_794:                            ;   in Loop: Header=BB426_756 Depth=1
	s_or_b32 exec_lo, exec_lo, s13
.LBB426_795:                            ;   in Loop: Header=BB426_756 Depth=1
	s_delay_alu instid0(SALU_CYCLE_1)
	s_or_b32 exec_lo, exec_lo, s12
.LBB426_796:                            ;   in Loop: Header=BB426_756 Depth=1
	s_delay_alu instid0(SALU_CYCLE_1) | instskip(NEXT) | instid1(VALU_DEP_1)
	s_or_b32 exec_lo, exec_lo, s1
	v_mul_f32_e32 v8, v37, v8
                                        ; implicit-def: $vgpr67
	s_delay_alu instid0(VALU_DEP_1) | instskip(NEXT) | instid1(VALU_DEP_1)
	v_and_b32_e32 v9, 0x7f800000, v8
	v_cmp_ne_u32_e64 s0, 0x7f800000, v9
	s_delay_alu instid0(VALU_DEP_1) | instskip(NEXT) | instid1(SALU_CYCLE_1)
	s_and_saveexec_b32 s1, s0
	s_xor_b32 s0, exec_lo, s1
; %bb.797:                              ;   in Loop: Header=BB426_756 Depth=1
	v_bfe_u32 v9, v8, 16, 1
	s_delay_alu instid0(VALU_DEP_1)
	v_add3_u32 v67, v8, v9, 0x7fff
                                        ; implicit-def: $vgpr8
; %bb.798:                              ;   in Loop: Header=BB426_756 Depth=1
	s_and_not1_saveexec_b32 s1, s0
; %bb.799:                              ;   in Loop: Header=BB426_756 Depth=1
	v_and_b32_e32 v9, 0xffff, v8
	v_or_b32_e32 v12, 0x10000, v8
	s_delay_alu instid0(VALU_DEP_2) | instskip(NEXT) | instid1(VALU_DEP_1)
	v_cmp_eq_u32_e64 s0, 0, v9
	v_cndmask_b32_e64 v67, v12, v8, s0
; %bb.800:                              ;   in Loop: Header=BB426_756 Depth=1
	s_or_b32 exec_lo, exec_lo, s1
	v_lshrrev_b16 v9, 8, v6
	v_mov_b32_e32 v8, 0
	s_mov_b32 s1, exec_lo
	s_delay_alu instid0(VALU_DEP_2)
	v_cmpx_ne_u16_e32 0, v9
	s_cbranch_execz .LBB426_808
; %bb.801:                              ;   in Loop: Header=BB426_756 Depth=1
	v_bfrev_b32_e32 v8, 1
	s_mov_b32 s12, exec_lo
	v_cmpx_ne_u16_e32 0x80, v9
	s_cbranch_execz .LBB426_807
; %bb.802:                              ;   in Loop: Header=BB426_756 Depth=1
	v_and_b32_e32 v12, 0xffff, v9
	v_mov_b32_e32 v8, 0x7f800001
	s_mov_b32 s13, exec_lo
	s_delay_alu instid0(VALU_DEP_2) | instskip(NEXT) | instid1(VALU_DEP_1)
	v_and_b32_e32 v9, 0x7f, v12
	v_cmpx_ne_u32_e32 0x7f, v9
	s_cbranch_execz .LBB426_806
; %bb.803:                              ;   in Loop: Header=BB426_756 Depth=1
	v_and_b32_e32 v12, 7, v12
	v_lshrrev_b32_e32 v8, 3, v9
	s_mov_b32 s15, exec_lo
	v_cmpx_gt_u32_e32 8, v9
; %bb.804:                              ;   in Loop: Header=BB426_756 Depth=1
	s_delay_alu instid0(VALU_DEP_3) | instskip(NEXT) | instid1(VALU_DEP_1)
	v_clz_i32_u32_e32 v8, v12
	v_min_u32_e32 v8, 32, v8
	s_delay_alu instid0(VALU_DEP_1) | instskip(SKIP_1) | instid1(VALU_DEP_2)
	v_subrev_nc_u32_e32 v9, 28, v8
	v_sub_nc_u32_e32 v8, 29, v8
	v_lshlrev_b64 v[68:69], v9, v[12:13]
	s_delay_alu instid0(VALU_DEP_1)
	v_and_b32_e32 v12, 7, v68
; %bb.805:                              ;   in Loop: Header=BB426_756 Depth=1
	s_or_b32 exec_lo, exec_lo, s15
	v_lshlrev_b32_e32 v9, 16, v6
	s_delay_alu instid0(VALU_DEP_2) | instskip(SKIP_1) | instid1(VALU_DEP_3)
	v_lshlrev_b32_e32 v12, 20, v12
	v_lshl_add_u32 v8, v8, 23, 0x3c000000
	v_and_b32_e32 v9, 0x80000000, v9
	s_delay_alu instid0(VALU_DEP_1)
	v_or3_b32 v8, v12, v9, v8
.LBB426_806:                            ;   in Loop: Header=BB426_756 Depth=1
	s_or_b32 exec_lo, exec_lo, s13
.LBB426_807:                            ;   in Loop: Header=BB426_756 Depth=1
	s_delay_alu instid0(SALU_CYCLE_1)
	s_or_b32 exec_lo, exec_lo, s12
.LBB426_808:                            ;   in Loop: Header=BB426_756 Depth=1
	s_delay_alu instid0(SALU_CYCLE_1) | instskip(NEXT) | instid1(VALU_DEP_1)
	s_or_b32 exec_lo, exec_lo, s1
	v_mul_f32_e32 v8, v37, v8
                                        ; implicit-def: $vgpr68
	s_delay_alu instid0(VALU_DEP_1) | instskip(NEXT) | instid1(VALU_DEP_1)
	v_and_b32_e32 v9, 0x7f800000, v8
	v_cmp_ne_u32_e64 s0, 0x7f800000, v9
	s_delay_alu instid0(VALU_DEP_1) | instskip(NEXT) | instid1(SALU_CYCLE_1)
	s_and_saveexec_b32 s1, s0
	s_xor_b32 s0, exec_lo, s1
; %bb.809:                              ;   in Loop: Header=BB426_756 Depth=1
	v_bfe_u32 v9, v8, 16, 1
	s_delay_alu instid0(VALU_DEP_1)
	v_add3_u32 v68, v8, v9, 0x7fff
                                        ; implicit-def: $vgpr8
; %bb.810:                              ;   in Loop: Header=BB426_756 Depth=1
	s_and_not1_saveexec_b32 s1, s0
; %bb.811:                              ;   in Loop: Header=BB426_756 Depth=1
	v_and_b32_e32 v9, 0xffff, v8
	v_or_b32_e32 v12, 0x10000, v8
	s_delay_alu instid0(VALU_DEP_2) | instskip(NEXT) | instid1(VALU_DEP_1)
	v_cmp_eq_u32_e64 s0, 0, v9
	v_cndmask_b32_e64 v68, v12, v8, s0
; %bb.812:                              ;   in Loop: Header=BB426_756 Depth=1
	s_or_b32 exec_lo, exec_lo, s1
	v_lshrrev_b32_e32 v8, 16, v6
	s_mov_b32 s1, exec_lo
	s_delay_alu instid0(VALU_DEP_1) | instskip(NEXT) | instid1(VALU_DEP_1)
	v_dual_mov_b32 v9, 0 :: v_dual_and_b32 v12, 0xff, v8
	v_cmpx_ne_u16_e32 0, v12
	s_cbranch_execz .LBB426_820
; %bb.813:                              ;   in Loop: Header=BB426_756 Depth=1
	v_bfrev_b32_e32 v9, 1
	s_mov_b32 s12, exec_lo
	v_cmpx_ne_u16_e32 0x80, v12
	s_cbranch_execz .LBB426_819
; %bb.814:                              ;   in Loop: Header=BB426_756 Depth=1
	v_bfe_u32 v66, v6, 16, 7
	v_mov_b32_e32 v9, 0x7f800001
	s_mov_b32 s13, exec_lo
	s_delay_alu instid0(VALU_DEP_2)
	v_cmpx_ne_u32_e32 0x7f, v66
	s_cbranch_execz .LBB426_818
; %bb.815:                              ;   in Loop: Header=BB426_756 Depth=1
	v_and_b32_e32 v12, 7, v8
	v_lshrrev_b32_e32 v9, 3, v66
	s_mov_b32 s15, exec_lo
	v_cmpx_gt_u32_e32 8, v66
; %bb.816:                              ;   in Loop: Header=BB426_756 Depth=1
	s_delay_alu instid0(VALU_DEP_3) | instskip(NEXT) | instid1(VALU_DEP_1)
	v_clz_i32_u32_e32 v9, v12
	v_min_u32_e32 v9, 32, v9
	s_delay_alu instid0(VALU_DEP_1) | instskip(SKIP_1) | instid1(VALU_DEP_2)
	v_subrev_nc_u32_e32 v66, 28, v9
	v_sub_nc_u32_e32 v9, 29, v9
	v_lshlrev_b64 v[69:70], v66, v[12:13]
	s_delay_alu instid0(VALU_DEP_1)
	v_and_b32_e32 v12, 7, v69
; %bb.817:                              ;   in Loop: Header=BB426_756 Depth=1
	s_or_b32 exec_lo, exec_lo, s15
	v_lshlrev_b32_e32 v8, 24, v8
	s_delay_alu instid0(VALU_DEP_2) | instskip(SKIP_1) | instid1(VALU_DEP_3)
	v_lshlrev_b32_e32 v12, 20, v12
	v_lshl_add_u32 v9, v9, 23, 0x3c000000
	v_and_b32_e32 v8, 0x80000000, v8
	s_delay_alu instid0(VALU_DEP_1)
	v_or3_b32 v9, v12, v8, v9
.LBB426_818:                            ;   in Loop: Header=BB426_756 Depth=1
	s_or_b32 exec_lo, exec_lo, s13
.LBB426_819:                            ;   in Loop: Header=BB426_756 Depth=1
	s_delay_alu instid0(SALU_CYCLE_1)
	s_or_b32 exec_lo, exec_lo, s12
.LBB426_820:                            ;   in Loop: Header=BB426_756 Depth=1
	s_delay_alu instid0(SALU_CYCLE_1) | instskip(NEXT) | instid1(VALU_DEP_1)
	s_or_b32 exec_lo, exec_lo, s1
	v_mul_f32_e32 v8, v37, v9
                                        ; implicit-def: $vgpr69
	s_delay_alu instid0(VALU_DEP_1) | instskip(NEXT) | instid1(VALU_DEP_1)
	v_and_b32_e32 v9, 0x7f800000, v8
	v_cmp_ne_u32_e64 s0, 0x7f800000, v9
	s_delay_alu instid0(VALU_DEP_1) | instskip(NEXT) | instid1(SALU_CYCLE_1)
	s_and_saveexec_b32 s1, s0
	s_xor_b32 s0, exec_lo, s1
; %bb.821:                              ;   in Loop: Header=BB426_756 Depth=1
	v_bfe_u32 v9, v8, 16, 1
	s_delay_alu instid0(VALU_DEP_1)
	v_add3_u32 v69, v8, v9, 0x7fff
                                        ; implicit-def: $vgpr8
; %bb.822:                              ;   in Loop: Header=BB426_756 Depth=1
	s_and_not1_saveexec_b32 s1, s0
; %bb.823:                              ;   in Loop: Header=BB426_756 Depth=1
	v_and_b32_e32 v9, 0xffff, v8
	v_or_b32_e32 v12, 0x10000, v8
	s_delay_alu instid0(VALU_DEP_2) | instskip(NEXT) | instid1(VALU_DEP_1)
	v_cmp_eq_u32_e64 s0, 0, v9
	v_cndmask_b32_e64 v69, v12, v8, s0
; %bb.824:                              ;   in Loop: Header=BB426_756 Depth=1
	s_or_b32 exec_lo, exec_lo, s1
	v_mov_b32_e32 v9, 0
	s_mov_b32 s1, exec_lo
	v_cmpx_lt_u32_e32 0xffffff, v6
	s_cbranch_execz .LBB426_832
; %bb.825:                              ;   in Loop: Header=BB426_756 Depth=1
	v_lshrrev_b32_e32 v8, 24, v6
	v_bfrev_b32_e32 v9, 1
	s_mov_b32 s12, exec_lo
	s_delay_alu instid0(VALU_DEP_2)
	v_cmpx_ne_u32_e32 0x80, v8
	s_cbranch_execz .LBB426_831
; %bb.826:                              ;   in Loop: Header=BB426_756 Depth=1
	v_bfe_u32 v66, v6, 24, 7
	v_mov_b32_e32 v9, 0x7f800001
	s_mov_b32 s13, exec_lo
	s_delay_alu instid0(VALU_DEP_2)
	v_cmpx_ne_u32_e32 0x7f, v66
	s_cbranch_execz .LBB426_830
; %bb.827:                              ;   in Loop: Header=BB426_756 Depth=1
	v_and_b32_e32 v12, 7, v8
	v_lshrrev_b32_e32 v9, 3, v66
	s_mov_b32 s15, exec_lo
	v_cmpx_gt_u32_e32 8, v66
; %bb.828:                              ;   in Loop: Header=BB426_756 Depth=1
	s_delay_alu instid0(VALU_DEP_3) | instskip(NEXT) | instid1(VALU_DEP_1)
	v_clz_i32_u32_e32 v9, v12
	v_min_u32_e32 v9, 32, v9
	s_delay_alu instid0(VALU_DEP_1) | instskip(SKIP_1) | instid1(VALU_DEP_2)
	v_subrev_nc_u32_e32 v66, 28, v9
	v_sub_nc_u32_e32 v9, 29, v9
	v_lshlrev_b64 v[70:71], v66, v[12:13]
	s_delay_alu instid0(VALU_DEP_1)
	v_and_b32_e32 v12, 7, v70
; %bb.829:                              ;   in Loop: Header=BB426_756 Depth=1
	s_or_b32 exec_lo, exec_lo, s15
	v_lshlrev_b32_e32 v8, 24, v8
	s_delay_alu instid0(VALU_DEP_2) | instskip(SKIP_1) | instid1(VALU_DEP_3)
	v_lshlrev_b32_e32 v12, 20, v12
	v_lshl_add_u32 v9, v9, 23, 0x3c000000
	v_and_b32_e32 v8, 0x80000000, v8
	s_delay_alu instid0(VALU_DEP_1)
	v_or3_b32 v9, v12, v8, v9
.LBB426_830:                            ;   in Loop: Header=BB426_756 Depth=1
	s_or_b32 exec_lo, exec_lo, s13
.LBB426_831:                            ;   in Loop: Header=BB426_756 Depth=1
	s_delay_alu instid0(SALU_CYCLE_1)
	s_or_b32 exec_lo, exec_lo, s12
.LBB426_832:                            ;   in Loop: Header=BB426_756 Depth=1
	s_delay_alu instid0(SALU_CYCLE_1) | instskip(NEXT) | instid1(VALU_DEP_1)
	s_or_b32 exec_lo, exec_lo, s1
	v_mul_f32_e32 v8, v37, v9
                                        ; implicit-def: $vgpr70
	s_delay_alu instid0(VALU_DEP_1) | instskip(NEXT) | instid1(VALU_DEP_1)
	v_and_b32_e32 v9, 0x7f800000, v8
	v_cmp_ne_u32_e64 s0, 0x7f800000, v9
	s_delay_alu instid0(VALU_DEP_1) | instskip(NEXT) | instid1(SALU_CYCLE_1)
	s_and_saveexec_b32 s1, s0
	s_xor_b32 s0, exec_lo, s1
; %bb.833:                              ;   in Loop: Header=BB426_756 Depth=1
	v_bfe_u32 v9, v8, 16, 1
	s_delay_alu instid0(VALU_DEP_1)
	v_add3_u32 v70, v8, v9, 0x7fff
                                        ; implicit-def: $vgpr8
; %bb.834:                              ;   in Loop: Header=BB426_756 Depth=1
	s_and_not1_saveexec_b32 s1, s0
; %bb.835:                              ;   in Loop: Header=BB426_756 Depth=1
	v_and_b32_e32 v9, 0xffff, v8
	v_or_b32_e32 v12, 0x10000, v8
	s_delay_alu instid0(VALU_DEP_2) | instskip(NEXT) | instid1(VALU_DEP_1)
	v_cmp_eq_u32_e64 s0, 0, v9
	v_cndmask_b32_e64 v70, v12, v8, s0
; %bb.836:                              ;   in Loop: Header=BB426_756 Depth=1
	s_or_b32 exec_lo, exec_lo, s1
	v_dual_mov_b32 v12, v7 :: v_dual_and_b32 v9, 0xff, v7
	v_mov_b32_e32 v8, 0
	s_mov_b32 s1, exec_lo
	s_delay_alu instid0(VALU_DEP_2)
	v_cmpx_ne_u16_e32 0, v9
	s_cbranch_execz .LBB426_844
; %bb.837:                              ;   in Loop: Header=BB426_756 Depth=1
	v_bfrev_b32_e32 v8, 1
	s_mov_b32 s12, exec_lo
	v_cmpx_ne_u16_e32 0x80, v9
	s_cbranch_execz .LBB426_843
; %bb.838:                              ;   in Loop: Header=BB426_756 Depth=1
	v_and_b32_e32 v9, 0x7f, v7
	v_mov_b32_e32 v8, 0x7f800001
	s_mov_b32 s13, exec_lo
	s_delay_alu instid0(VALU_DEP_2)
	v_cmpx_ne_u32_e32 0x7f, v9
	s_cbranch_execz .LBB426_842
; %bb.839:                              ;   in Loop: Header=BB426_756 Depth=1
	v_lshrrev_b32_e32 v66, 3, v9
	v_cmp_gt_u32_e64 s0, 8, v9
	v_dual_mov_b32 v8, v12 :: v_dual_mov_b32 v9, v13
	s_delay_alu instid0(VALU_DEP_2)
	s_and_saveexec_b32 s15, s0
; %bb.840:                              ;   in Loop: Header=BB426_756 Depth=1
	v_and_b32_e32 v8, 7, v7
	s_delay_alu instid0(VALU_DEP_1) | instskip(NEXT) | instid1(VALU_DEP_1)
	v_clz_i32_u32_e32 v8, v8
	v_min_u32_e32 v66, 32, v8
	s_delay_alu instid0(VALU_DEP_1) | instskip(SKIP_1) | instid1(VALU_DEP_2)
	v_subrev_nc_u32_e32 v8, 28, v66
	v_sub_nc_u32_e32 v66, 29, v66
	v_lshlrev_b64 v[8:9], v8, v[12:13]
; %bb.841:                              ;   in Loop: Header=BB426_756 Depth=1
	s_or_b32 exec_lo, exec_lo, s15
	s_delay_alu instid0(VALU_DEP_1) | instskip(SKIP_2) | instid1(VALU_DEP_3)
	v_lshlrev_b32_e32 v8, 20, v8
	v_lshlrev_b32_e32 v9, 24, v12
	v_lshl_add_u32 v66, v66, 23, 0x3c000000
	v_and_b32_e32 v8, 0x700000, v8
	s_delay_alu instid0(VALU_DEP_3) | instskip(NEXT) | instid1(VALU_DEP_1)
	v_and_b32_e32 v9, 0x80000000, v9
	v_or3_b32 v8, v8, v9, v66
.LBB426_842:                            ;   in Loop: Header=BB426_756 Depth=1
	s_or_b32 exec_lo, exec_lo, s13
.LBB426_843:                            ;   in Loop: Header=BB426_756 Depth=1
	s_delay_alu instid0(SALU_CYCLE_1)
	s_or_b32 exec_lo, exec_lo, s12
.LBB426_844:                            ;   in Loop: Header=BB426_756 Depth=1
	s_delay_alu instid0(SALU_CYCLE_1) | instskip(NEXT) | instid1(VALU_DEP_1)
	s_or_b32 exec_lo, exec_lo, s1
	v_mul_f32_e32 v8, v37, v8
                                        ; implicit-def: $vgpr71
	s_delay_alu instid0(VALU_DEP_1) | instskip(NEXT) | instid1(VALU_DEP_1)
	v_and_b32_e32 v9, 0x7f800000, v8
	v_cmp_ne_u32_e64 s0, 0x7f800000, v9
	s_delay_alu instid0(VALU_DEP_1) | instskip(NEXT) | instid1(SALU_CYCLE_1)
	s_and_saveexec_b32 s1, s0
	s_xor_b32 s0, exec_lo, s1
; %bb.845:                              ;   in Loop: Header=BB426_756 Depth=1
	v_bfe_u32 v9, v8, 16, 1
	s_delay_alu instid0(VALU_DEP_1)
	v_add3_u32 v71, v8, v9, 0x7fff
                                        ; implicit-def: $vgpr8
; %bb.846:                              ;   in Loop: Header=BB426_756 Depth=1
	s_and_not1_saveexec_b32 s1, s0
; %bb.847:                              ;   in Loop: Header=BB426_756 Depth=1
	v_and_b32_e32 v9, 0xffff, v8
	v_or_b32_e32 v66, 0x10000, v8
	s_delay_alu instid0(VALU_DEP_2) | instskip(NEXT) | instid1(VALU_DEP_1)
	v_cmp_eq_u32_e64 s0, 0, v9
	v_cndmask_b32_e64 v71, v66, v8, s0
; %bb.848:                              ;   in Loop: Header=BB426_756 Depth=1
	s_or_b32 exec_lo, exec_lo, s1
	v_lshrrev_b16 v9, 8, v12
	v_mov_b32_e32 v8, 0
	s_mov_b32 s1, exec_lo
	s_delay_alu instid0(VALU_DEP_2)
	v_cmpx_ne_u16_e32 0, v9
	s_cbranch_execz .LBB426_856
; %bb.849:                              ;   in Loop: Header=BB426_756 Depth=1
	v_bfrev_b32_e32 v8, 1
	s_mov_b32 s12, exec_lo
	v_cmpx_ne_u16_e32 0x80, v9
	s_cbranch_execz .LBB426_855
; %bb.850:                              ;   in Loop: Header=BB426_756 Depth=1
	v_and_b32_e32 v9, 0xffff, v9
	v_mov_b32_e32 v8, 0x7f800001
	s_mov_b32 s13, exec_lo
	s_delay_alu instid0(VALU_DEP_2) | instskip(NEXT) | instid1(VALU_DEP_1)
	v_and_b32_e32 v80, 0x7f, v9
	v_cmpx_ne_u32_e32 0x7f, v80
	s_cbranch_execz .LBB426_854
; %bb.851:                              ;   in Loop: Header=BB426_756 Depth=1
	v_dual_mov_b32 v9, v13 :: v_dual_and_b32 v8, 7, v9
	v_lshrrev_b32_e32 v66, 3, v80
	s_mov_b32 s15, exec_lo
	v_cmpx_gt_u32_e32 8, v80
; %bb.852:                              ;   in Loop: Header=BB426_756 Depth=1
	s_delay_alu instid0(VALU_DEP_3) | instskip(NEXT) | instid1(VALU_DEP_1)
	v_clz_i32_u32_e32 v66, v8
	v_min_u32_e32 v66, 32, v66
	s_delay_alu instid0(VALU_DEP_1) | instskip(SKIP_1) | instid1(VALU_DEP_2)
	v_subrev_nc_u32_e32 v80, 28, v66
	v_sub_nc_u32_e32 v66, 29, v66
	v_lshlrev_b64 v[8:9], v80, v[8:9]
	s_delay_alu instid0(VALU_DEP_1)
	v_and_b32_e32 v8, 7, v8
; %bb.853:                              ;   in Loop: Header=BB426_756 Depth=1
	s_or_b32 exec_lo, exec_lo, s15
	v_lshlrev_b32_e32 v9, 16, v12
	s_delay_alu instid0(VALU_DEP_2) | instskip(SKIP_1) | instid1(VALU_DEP_3)
	v_lshlrev_b32_e32 v8, 20, v8
	v_lshl_add_u32 v12, v66, 23, 0x3c000000
	v_and_b32_e32 v9, 0x80000000, v9
	s_delay_alu instid0(VALU_DEP_1)
	v_or3_b32 v8, v8, v9, v12
.LBB426_854:                            ;   in Loop: Header=BB426_756 Depth=1
	s_or_b32 exec_lo, exec_lo, s13
.LBB426_855:                            ;   in Loop: Header=BB426_756 Depth=1
	s_delay_alu instid0(SALU_CYCLE_1)
	s_or_b32 exec_lo, exec_lo, s12
.LBB426_856:                            ;   in Loop: Header=BB426_756 Depth=1
	s_delay_alu instid0(SALU_CYCLE_1) | instskip(NEXT) | instid1(VALU_DEP_1)
	s_or_b32 exec_lo, exec_lo, s1
	v_mul_f32_e32 v9, v37, v8
	s_delay_alu instid0(VALU_DEP_1) | instskip(NEXT) | instid1(VALU_DEP_1)
	v_and_b32_e32 v8, 0x7f800000, v9
	v_cmp_ne_u32_e64 s0, 0x7f800000, v8
                                        ; implicit-def: $vgpr8
	s_delay_alu instid0(VALU_DEP_1) | instskip(NEXT) | instid1(SALU_CYCLE_1)
	s_and_saveexec_b32 s1, s0
	s_xor_b32 s0, exec_lo, s1
; %bb.857:                              ;   in Loop: Header=BB426_756 Depth=1
	v_bfe_u32 v8, v9, 16, 1
	s_delay_alu instid0(VALU_DEP_1)
	v_add3_u32 v8, v9, v8, 0x7fff
                                        ; implicit-def: $vgpr9
; %bb.858:                              ;   in Loop: Header=BB426_756 Depth=1
	s_and_not1_saveexec_b32 s1, s0
; %bb.859:                              ;   in Loop: Header=BB426_756 Depth=1
	v_and_b32_e32 v8, 0xffff, v9
	v_or_b32_e32 v12, 0x10000, v9
	s_delay_alu instid0(VALU_DEP_2) | instskip(NEXT) | instid1(VALU_DEP_1)
	v_cmp_eq_u32_e64 s0, 0, v8
	v_cndmask_b32_e64 v8, v12, v9, s0
; %bb.860:                              ;   in Loop: Header=BB426_756 Depth=1
	s_or_b32 exec_lo, exec_lo, s1
	v_lshrrev_b32_e32 v9, 16, v7
	v_mov_b32_e32 v12, 0
	s_mov_b32 s1, exec_lo
	s_delay_alu instid0(VALU_DEP_2) | instskip(NEXT) | instid1(VALU_DEP_1)
	v_and_b32_e32 v66, 0xff, v9
	v_cmpx_ne_u16_e32 0, v66
	s_cbranch_execz .LBB426_868
; %bb.861:                              ;   in Loop: Header=BB426_756 Depth=1
	v_bfrev_b32_e32 v12, 1
	s_mov_b32 s12, exec_lo
	v_cmpx_ne_u16_e32 0x80, v66
	s_cbranch_execz .LBB426_867
; %bb.862:                              ;   in Loop: Header=BB426_756 Depth=1
	v_bfe_u32 v80, v7, 16, 7
	v_mov_b32_e32 v12, 0x7f800001
	s_mov_b32 s13, exec_lo
	s_delay_alu instid0(VALU_DEP_2)
	v_cmpx_ne_u32_e32 0x7f, v80
	s_cbranch_execz .LBB426_866
; %bb.863:                              ;   in Loop: Header=BB426_756 Depth=1
	v_and_b32_e32 v12, 7, v9
	v_lshrrev_b32_e32 v66, 3, v80
	s_mov_b32 s15, exec_lo
	v_cmpx_gt_u32_e32 8, v80
; %bb.864:                              ;   in Loop: Header=BB426_756 Depth=1
	s_delay_alu instid0(VALU_DEP_3) | instskip(NEXT) | instid1(VALU_DEP_1)
	v_clz_i32_u32_e32 v66, v12
	v_min_u32_e32 v66, 32, v66
	s_delay_alu instid0(VALU_DEP_1) | instskip(SKIP_1) | instid1(VALU_DEP_2)
	v_subrev_nc_u32_e32 v80, 28, v66
	v_sub_nc_u32_e32 v66, 29, v66
	v_lshlrev_b64 v[80:81], v80, v[12:13]
	s_delay_alu instid0(VALU_DEP_1)
	v_and_b32_e32 v12, 7, v80
; %bb.865:                              ;   in Loop: Header=BB426_756 Depth=1
	s_or_b32 exec_lo, exec_lo, s15
	v_lshlrev_b32_e32 v9, 24, v9
	s_delay_alu instid0(VALU_DEP_2) | instskip(SKIP_1) | instid1(VALU_DEP_3)
	v_lshlrev_b32_e32 v12, 20, v12
	v_lshl_add_u32 v66, v66, 23, 0x3c000000
	v_and_b32_e32 v9, 0x80000000, v9
	s_delay_alu instid0(VALU_DEP_1)
	v_or3_b32 v12, v12, v9, v66
.LBB426_866:                            ;   in Loop: Header=BB426_756 Depth=1
	s_or_b32 exec_lo, exec_lo, s13
.LBB426_867:                            ;   in Loop: Header=BB426_756 Depth=1
	s_delay_alu instid0(SALU_CYCLE_1)
	s_or_b32 exec_lo, exec_lo, s12
.LBB426_868:                            ;   in Loop: Header=BB426_756 Depth=1
	s_delay_alu instid0(SALU_CYCLE_1) | instskip(NEXT) | instid1(VALU_DEP_1)
	s_or_b32 exec_lo, exec_lo, s1
	v_mul_f32_e32 v9, v37, v12
                                        ; implicit-def: $vgpr80
	s_delay_alu instid0(VALU_DEP_1) | instskip(NEXT) | instid1(VALU_DEP_1)
	v_and_b32_e32 v12, 0x7f800000, v9
	v_cmp_ne_u32_e64 s0, 0x7f800000, v12
	s_delay_alu instid0(VALU_DEP_1) | instskip(NEXT) | instid1(SALU_CYCLE_1)
	s_and_saveexec_b32 s1, s0
	s_xor_b32 s0, exec_lo, s1
; %bb.869:                              ;   in Loop: Header=BB426_756 Depth=1
	v_bfe_u32 v12, v9, 16, 1
	s_delay_alu instid0(VALU_DEP_1)
	v_add3_u32 v80, v9, v12, 0x7fff
                                        ; implicit-def: $vgpr9
; %bb.870:                              ;   in Loop: Header=BB426_756 Depth=1
	s_and_not1_saveexec_b32 s1, s0
; %bb.871:                              ;   in Loop: Header=BB426_756 Depth=1
	v_and_b32_e32 v12, 0xffff, v9
	v_or_b32_e32 v66, 0x10000, v9
	s_delay_alu instid0(VALU_DEP_2) | instskip(NEXT) | instid1(VALU_DEP_1)
	v_cmp_eq_u32_e64 s0, 0, v12
	v_cndmask_b32_e64 v80, v66, v9, s0
; %bb.872:                              ;   in Loop: Header=BB426_756 Depth=1
	s_or_b32 exec_lo, exec_lo, s1
	v_mov_b32_e32 v9, 0
	s_mov_b32 s1, exec_lo
	v_cmpx_lt_u64_e64 s[8:9], v[6:7]
	s_cbranch_execz .LBB426_880
; %bb.873:                              ;   in Loop: Header=BB426_756 Depth=1
	v_lshrrev_b32_e32 v6, 24, v7
	v_bfrev_b32_e32 v9, 1
	s_mov_b32 s12, exec_lo
	s_delay_alu instid0(VALU_DEP_2)
	v_cmpx_ne_u32_e32 0x80, v6
	s_cbranch_execz .LBB426_879
; %bb.874:                              ;   in Loop: Header=BB426_756 Depth=1
	v_bfe_u32 v66, v7, 24, 7
	v_mov_b32_e32 v9, 0x7f800001
	s_mov_b32 s13, exec_lo
	s_delay_alu instid0(VALU_DEP_2)
	v_cmpx_ne_u32_e32 0x7f, v66
	s_cbranch_execz .LBB426_878
; %bb.875:                              ;   in Loop: Header=BB426_756 Depth=1
	v_and_b32_e32 v12, 7, v6
	v_lshrrev_b32_e32 v7, 3, v66
	s_mov_b32 s15, exec_lo
	v_cmpx_gt_u32_e32 8, v66
; %bb.876:                              ;   in Loop: Header=BB426_756 Depth=1
	s_delay_alu instid0(VALU_DEP_3) | instskip(NEXT) | instid1(VALU_DEP_1)
	v_clz_i32_u32_e32 v7, v12
	v_min_u32_e32 v7, 32, v7
	s_delay_alu instid0(VALU_DEP_1) | instskip(SKIP_1) | instid1(VALU_DEP_2)
	v_subrev_nc_u32_e32 v9, 28, v7
	v_sub_nc_u32_e32 v7, 29, v7
	v_lshlrev_b64 v[81:82], v9, v[12:13]
	s_delay_alu instid0(VALU_DEP_1)
	v_and_b32_e32 v12, 7, v81
; %bb.877:                              ;   in Loop: Header=BB426_756 Depth=1
	s_or_b32 exec_lo, exec_lo, s15
	v_lshlrev_b32_e32 v6, 24, v6
	s_delay_alu instid0(VALU_DEP_2) | instskip(SKIP_1) | instid1(VALU_DEP_3)
	v_lshlrev_b32_e32 v9, 20, v12
	v_lshl_add_u32 v7, v7, 23, 0x3c000000
	v_and_b32_e32 v6, 0x80000000, v6
	s_delay_alu instid0(VALU_DEP_1)
	v_or3_b32 v9, v9, v6, v7
.LBB426_878:                            ;   in Loop: Header=BB426_756 Depth=1
	s_or_b32 exec_lo, exec_lo, s13
.LBB426_879:                            ;   in Loop: Header=BB426_756 Depth=1
	s_delay_alu instid0(SALU_CYCLE_1)
	s_or_b32 exec_lo, exec_lo, s12
.LBB426_880:                            ;   in Loop: Header=BB426_756 Depth=1
	s_delay_alu instid0(SALU_CYCLE_1) | instskip(NEXT) | instid1(VALU_DEP_1)
	s_or_b32 exec_lo, exec_lo, s1
	v_mul_f32_e32 v7, v37, v9
	s_delay_alu instid0(VALU_DEP_1) | instskip(NEXT) | instid1(VALU_DEP_1)
	v_and_b32_e32 v6, 0x7f800000, v7
	v_cmp_ne_u32_e64 s0, 0x7f800000, v6
                                        ; implicit-def: $vgpr6
	s_delay_alu instid0(VALU_DEP_1) | instskip(NEXT) | instid1(SALU_CYCLE_1)
	s_and_saveexec_b32 s1, s0
	s_xor_b32 s0, exec_lo, s1
; %bb.881:                              ;   in Loop: Header=BB426_756 Depth=1
	v_bfe_u32 v6, v7, 16, 1
	s_delay_alu instid0(VALU_DEP_1)
	v_add3_u32 v6, v7, v6, 0x7fff
                                        ; implicit-def: $vgpr7
; %bb.882:                              ;   in Loop: Header=BB426_756 Depth=1
	s_and_not1_saveexec_b32 s1, s0
; %bb.883:                              ;   in Loop: Header=BB426_756 Depth=1
	v_and_b32_e32 v6, 0xffff, v7
	v_or_b32_e32 v9, 0x10000, v7
	s_delay_alu instid0(VALU_DEP_2) | instskip(NEXT) | instid1(VALU_DEP_1)
	v_cmp_eq_u32_e64 s0, 0, v6
	v_cndmask_b32_e64 v6, v9, v7, s0
; %bb.884:                              ;   in Loop: Header=BB426_756 Depth=1
	s_or_b32 exec_lo, exec_lo, s1
	v_cmp_eq_u32_e64 s0, v38, v16
	v_add_nc_u32_e32 v66, -7, v48
	v_lshrrev_b32_e32 v8, 16, v8
	v_lshrrev_b32_e32 v9, 16, v71
	;; [unrolled: 1-line block ×8, first 2 shown]
	s_and_saveexec_b32 s12, s0
	s_cbranch_execz .LBB426_886
; %bb.885:                              ;   in Loop: Header=BB426_756 Depth=1
	v_add_nc_u32_e32 v67, -6, v48
	v_cmp_lt_i32_e64 s1, v66, v32
	v_add_nc_u32_e32 v71, -5, v48
	v_add_nc_u32_e32 v80, -2, v48
	s_delay_alu instid0(VALU_DEP_3) | instskip(SKIP_2) | instid1(VALU_DEP_2)
	v_cndmask_b32_e64 v68, 0, v68, s1
	v_cmp_lt_i32_e64 s1, v67, v32
	v_add_nc_u32_e32 v67, -4, v48
	v_cndmask_b32_e64 v69, 0, v69, s1
	v_cmp_lt_i32_e64 s1, v71, v32
	v_add_nc_u32_e32 v71, -3, v48
	s_delay_alu instid0(VALU_DEP_2) | instskip(SKIP_2) | instid1(VALU_DEP_2)
	v_cndmask_b32_e64 v70, 0, v70, s1
	v_cmp_lt_i32_e64 s1, v67, v32
	v_add_nc_u32_e32 v67, -1, v48
	v_cndmask_b32_e64 v12, 0, v12, s1
	v_cmp_lt_i32_e64 s1, v71, v32
	s_delay_alu instid0(VALU_DEP_1) | instskip(SKIP_1) | instid1(VALU_DEP_1)
	v_cndmask_b32_e64 v9, 0, v9, s1
	v_cmp_lt_i32_e64 s1, v80, v32
	v_cndmask_b32_e64 v8, 0, v8, s1
	v_cmp_lt_i32_e64 s1, v67, v32
	s_delay_alu instid0(VALU_DEP_1) | instskip(SKIP_1) | instid1(VALU_DEP_1)
	v_cndmask_b32_e64 v7, 0, v7, s1
	v_cmp_lt_i32_e64 s1, v48, v32
	v_cndmask_b32_e64 v6, 0, v6, s1
.LBB426_886:                            ;   in Loop: Header=BB426_756 Depth=1
	s_or_b32 exec_lo, exec_lo, s12
	v_and_b32_e32 v67, 0xffff0000, v50
	v_lshlrev_b32_e32 v50, 16, v68
	s_delay_alu instid0(VALU_DEP_1) | instskip(NEXT) | instid1(VALU_DEP_1)
	v_mul_f32_e32 v68, v67, v50
	v_and_b32_e32 v50, 0x7f800000, v68
	s_delay_alu instid0(VALU_DEP_1) | instskip(NEXT) | instid1(VALU_DEP_1)
	v_cmp_ne_u32_e64 s1, 0x7f800000, v50
                                        ; implicit-def: $vgpr50
	s_and_saveexec_b32 s12, s1
	s_delay_alu instid0(SALU_CYCLE_1)
	s_xor_b32 s1, exec_lo, s12
; %bb.887:                              ;   in Loop: Header=BB426_756 Depth=1
	v_bfe_u32 v50, v68, 16, 1
	s_delay_alu instid0(VALU_DEP_1)
	v_add3_u32 v50, v68, v50, 0x7fff
                                        ; implicit-def: $vgpr68
; %bb.888:                              ;   in Loop: Header=BB426_756 Depth=1
	s_and_not1_saveexec_b32 s12, s1
; %bb.889:                              ;   in Loop: Header=BB426_756 Depth=1
	v_and_b32_e32 v50, 0xffff, v68
	v_or_b32_e32 v71, 0x10000, v68
	s_delay_alu instid0(VALU_DEP_2) | instskip(NEXT) | instid1(VALU_DEP_1)
	v_cmp_eq_u32_e64 s1, 0, v50
	v_cndmask_b32_e64 v50, v71, v68, s1
; %bb.890:                              ;   in Loop: Header=BB426_756 Depth=1
	s_or_b32 exec_lo, exec_lo, s12
	v_and_b32_e32 v68, 0xffff0000, v51
	v_lshlrev_b32_e32 v51, 16, v69
	s_delay_alu instid0(VALU_DEP_1) | instskip(NEXT) | instid1(VALU_DEP_1)
	v_mul_f32_e32 v69, v68, v51
	v_and_b32_e32 v51, 0x7f800000, v69
	s_delay_alu instid0(VALU_DEP_1) | instskip(NEXT) | instid1(VALU_DEP_1)
	v_cmp_ne_u32_e64 s1, 0x7f800000, v51
                                        ; implicit-def: $vgpr51
	s_and_saveexec_b32 s12, s1
	s_delay_alu instid0(SALU_CYCLE_1)
	s_xor_b32 s1, exec_lo, s12
; %bb.891:                              ;   in Loop: Header=BB426_756 Depth=1
	v_bfe_u32 v51, v69, 16, 1
	s_delay_alu instid0(VALU_DEP_1)
	v_add3_u32 v51, v69, v51, 0x7fff
                                        ; implicit-def: $vgpr69
; %bb.892:                              ;   in Loop: Header=BB426_756 Depth=1
	s_and_not1_saveexec_b32 s12, s1
; %bb.893:                              ;   in Loop: Header=BB426_756 Depth=1
	v_and_b32_e32 v51, 0xffff, v69
	v_or_b32_e32 v71, 0x10000, v69
	s_delay_alu instid0(VALU_DEP_2) | instskip(NEXT) | instid1(VALU_DEP_1)
	v_cmp_eq_u32_e64 s1, 0, v51
	v_cndmask_b32_e64 v51, v71, v69, s1
; %bb.894:                              ;   in Loop: Header=BB426_756 Depth=1
	s_or_b32 exec_lo, exec_lo, s12
	v_and_b32_e32 v69, 0xffff0000, v52
	v_lshlrev_b32_e32 v52, 16, v70
	s_delay_alu instid0(VALU_DEP_1) | instskip(NEXT) | instid1(VALU_DEP_1)
	v_mul_f32_e32 v70, v69, v52
	v_and_b32_e32 v52, 0x7f800000, v70
	s_delay_alu instid0(VALU_DEP_1) | instskip(NEXT) | instid1(VALU_DEP_1)
	v_cmp_ne_u32_e64 s1, 0x7f800000, v52
                                        ; implicit-def: $vgpr52
	s_and_saveexec_b32 s12, s1
	s_delay_alu instid0(SALU_CYCLE_1)
	s_xor_b32 s1, exec_lo, s12
; %bb.895:                              ;   in Loop: Header=BB426_756 Depth=1
	v_bfe_u32 v52, v70, 16, 1
	s_delay_alu instid0(VALU_DEP_1)
	v_add3_u32 v52, v70, v52, 0x7fff
                                        ; implicit-def: $vgpr70
; %bb.896:                              ;   in Loop: Header=BB426_756 Depth=1
	s_and_not1_saveexec_b32 s12, s1
; %bb.897:                              ;   in Loop: Header=BB426_756 Depth=1
	v_and_b32_e32 v52, 0xffff, v70
	v_or_b32_e32 v71, 0x10000, v70
	s_delay_alu instid0(VALU_DEP_2) | instskip(NEXT) | instid1(VALU_DEP_1)
	v_cmp_eq_u32_e64 s1, 0, v52
	v_cndmask_b32_e64 v52, v71, v70, s1
; %bb.898:                              ;   in Loop: Header=BB426_756 Depth=1
	s_or_b32 exec_lo, exec_lo, s12
	v_and_b32_e32 v70, 0xffff0000, v53
	v_lshlrev_b32_e32 v12, 16, v12
	s_delay_alu instid0(VALU_DEP_1) | instskip(NEXT) | instid1(VALU_DEP_1)
	v_mul_f32_e32 v12, v70, v12
	v_and_b32_e32 v53, 0x7f800000, v12
	s_delay_alu instid0(VALU_DEP_1) | instskip(NEXT) | instid1(VALU_DEP_1)
	v_cmp_ne_u32_e64 s1, 0x7f800000, v53
                                        ; implicit-def: $vgpr53
	s_and_saveexec_b32 s12, s1
	s_delay_alu instid0(SALU_CYCLE_1)
	s_xor_b32 s1, exec_lo, s12
; %bb.899:                              ;   in Loop: Header=BB426_756 Depth=1
	v_bfe_u32 v53, v12, 16, 1
	s_delay_alu instid0(VALU_DEP_1)
	v_add3_u32 v53, v12, v53, 0x7fff
                                        ; implicit-def: $vgpr12
; %bb.900:                              ;   in Loop: Header=BB426_756 Depth=1
	s_and_not1_saveexec_b32 s12, s1
; %bb.901:                              ;   in Loop: Header=BB426_756 Depth=1
	v_and_b32_e32 v53, 0xffff, v12
	v_or_b32_e32 v71, 0x10000, v12
	s_delay_alu instid0(VALU_DEP_2) | instskip(NEXT) | instid1(VALU_DEP_1)
	v_cmp_eq_u32_e64 s1, 0, v53
	v_cndmask_b32_e64 v53, v71, v12, s1
; %bb.902:                              ;   in Loop: Header=BB426_756 Depth=1
	s_or_b32 exec_lo, exec_lo, s12
	v_and_b32_e32 v71, 0xffff0000, v54
	v_lshlrev_b32_e32 v9, 16, v9
                                        ; implicit-def: $vgpr54
	s_delay_alu instid0(VALU_DEP_1) | instskip(NEXT) | instid1(VALU_DEP_1)
	v_mul_f32_e32 v9, v71, v9
	v_and_b32_e32 v12, 0x7f800000, v9
	s_delay_alu instid0(VALU_DEP_1) | instskip(NEXT) | instid1(VALU_DEP_1)
	v_cmp_ne_u32_e64 s1, 0x7f800000, v12
	s_and_saveexec_b32 s12, s1
	s_delay_alu instid0(SALU_CYCLE_1)
	s_xor_b32 s1, exec_lo, s12
; %bb.903:                              ;   in Loop: Header=BB426_756 Depth=1
	v_bfe_u32 v12, v9, 16, 1
	s_delay_alu instid0(VALU_DEP_1)
	v_add3_u32 v54, v9, v12, 0x7fff
                                        ; implicit-def: $vgpr9
; %bb.904:                              ;   in Loop: Header=BB426_756 Depth=1
	s_and_not1_saveexec_b32 s12, s1
; %bb.905:                              ;   in Loop: Header=BB426_756 Depth=1
	v_and_b32_e32 v12, 0xffff, v9
	v_or_b32_e32 v54, 0x10000, v9
	s_delay_alu instid0(VALU_DEP_2) | instskip(NEXT) | instid1(VALU_DEP_1)
	v_cmp_eq_u32_e64 s1, 0, v12
	v_cndmask_b32_e64 v54, v54, v9, s1
; %bb.906:                              ;   in Loop: Header=BB426_756 Depth=1
	s_or_b32 exec_lo, exec_lo, s12
	v_and_b32_e32 v80, 0xffff0000, v55
	v_lshlrev_b32_e32 v8, 16, v8
                                        ; implicit-def: $vgpr55
	s_delay_alu instid0(VALU_DEP_1) | instskip(NEXT) | instid1(VALU_DEP_1)
	v_mul_f32_e32 v8, v80, v8
	v_and_b32_e32 v9, 0x7f800000, v8
	s_delay_alu instid0(VALU_DEP_1) | instskip(NEXT) | instid1(VALU_DEP_1)
	v_cmp_ne_u32_e64 s1, 0x7f800000, v9
	s_and_saveexec_b32 s12, s1
	s_delay_alu instid0(SALU_CYCLE_1)
	s_xor_b32 s1, exec_lo, s12
; %bb.907:                              ;   in Loop: Header=BB426_756 Depth=1
	v_bfe_u32 v9, v8, 16, 1
	s_delay_alu instid0(VALU_DEP_1)
	v_add3_u32 v55, v8, v9, 0x7fff
                                        ; implicit-def: $vgpr8
; %bb.908:                              ;   in Loop: Header=BB426_756 Depth=1
	s_and_not1_saveexec_b32 s12, s1
; %bb.909:                              ;   in Loop: Header=BB426_756 Depth=1
	v_and_b32_e32 v9, 0xffff, v8
	v_or_b32_e32 v12, 0x10000, v8
	s_delay_alu instid0(VALU_DEP_2) | instskip(NEXT) | instid1(VALU_DEP_1)
	v_cmp_eq_u32_e64 s1, 0, v9
	v_cndmask_b32_e64 v55, v12, v8, s1
; %bb.910:                              ;   in Loop: Header=BB426_756 Depth=1
	s_or_b32 exec_lo, exec_lo, s12
	v_and_b32_e32 v81, 0xffff0000, v64
	v_lshlrev_b32_e32 v7, 16, v7
                                        ; implicit-def: $vgpr64
	s_delay_alu instid0(VALU_DEP_1) | instskip(NEXT) | instid1(VALU_DEP_1)
	v_mul_f32_e32 v7, v81, v7
	v_and_b32_e32 v8, 0x7f800000, v7
	s_delay_alu instid0(VALU_DEP_1) | instskip(NEXT) | instid1(VALU_DEP_1)
	v_cmp_ne_u32_e64 s1, 0x7f800000, v8
	s_and_saveexec_b32 s12, s1
	s_delay_alu instid0(SALU_CYCLE_1)
	s_xor_b32 s1, exec_lo, s12
; %bb.911:                              ;   in Loop: Header=BB426_756 Depth=1
	v_bfe_u32 v8, v7, 16, 1
	s_delay_alu instid0(VALU_DEP_1)
	v_add3_u32 v64, v7, v8, 0x7fff
                                        ; implicit-def: $vgpr7
; %bb.912:                              ;   in Loop: Header=BB426_756 Depth=1
	s_and_not1_saveexec_b32 s12, s1
; %bb.913:                              ;   in Loop: Header=BB426_756 Depth=1
	v_and_b32_e32 v8, 0xffff, v7
	v_or_b32_e32 v9, 0x10000, v7
	s_delay_alu instid0(VALU_DEP_2) | instskip(NEXT) | instid1(VALU_DEP_1)
	v_cmp_eq_u32_e64 s1, 0, v8
	v_cndmask_b32_e64 v64, v9, v7, s1
; %bb.914:                              ;   in Loop: Header=BB426_756 Depth=1
	s_or_b32 exec_lo, exec_lo, s12
	v_and_b32_e32 v82, 0xffff0000, v65
	v_lshlrev_b32_e32 v6, 16, v6
                                        ; implicit-def: $vgpr65
	s_delay_alu instid0(VALU_DEP_1) | instskip(NEXT) | instid1(VALU_DEP_1)
	v_mul_f32_e32 v6, v82, v6
	v_and_b32_e32 v7, 0x7f800000, v6
	s_delay_alu instid0(VALU_DEP_1) | instskip(NEXT) | instid1(VALU_DEP_1)
	v_cmp_ne_u32_e64 s1, 0x7f800000, v7
	s_and_saveexec_b32 s12, s1
	s_delay_alu instid0(SALU_CYCLE_1)
	s_xor_b32 s1, exec_lo, s12
; %bb.915:                              ;   in Loop: Header=BB426_756 Depth=1
	v_bfe_u32 v7, v6, 16, 1
	s_delay_alu instid0(VALU_DEP_1)
	v_add3_u32 v65, v6, v7, 0x7fff
                                        ; implicit-def: $vgpr6
; %bb.916:                              ;   in Loop: Header=BB426_756 Depth=1
	s_and_not1_saveexec_b32 s12, s1
; %bb.917:                              ;   in Loop: Header=BB426_756 Depth=1
	v_and_b32_e32 v7, 0xffff, v6
	v_or_b32_e32 v8, 0x10000, v6
	s_delay_alu instid0(VALU_DEP_2) | instskip(NEXT) | instid1(VALU_DEP_1)
	v_cmp_eq_u32_e64 s1, 0, v7
	v_cndmask_b32_e64 v65, v8, v6, s1
; %bb.918:                              ;   in Loop: Header=BB426_756 Depth=1
	s_or_b32 exec_lo, exec_lo, s12
	flat_load_b64 v[6:7], v[2:3] offset:256
	s_mov_b32 s12, exec_lo
	s_waitcnt vmcnt(0) lgkmcnt(0)
	v_dual_mov_b32 v8, 0 :: v_dual_and_b32 v9, 0xff, v6
	s_delay_alu instid0(VALU_DEP_1)
	v_cmpx_ne_u16_e32 0, v9
	s_cbranch_execz .LBB426_926
; %bb.919:                              ;   in Loop: Header=BB426_756 Depth=1
	v_bfrev_b32_e32 v8, 1
	s_mov_b32 s13, exec_lo
	v_cmpx_ne_u16_e32 0x80, v9
	s_cbranch_execz .LBB426_925
; %bb.920:                              ;   in Loop: Header=BB426_756 Depth=1
	v_and_b32_e32 v9, 0x7f, v6
	v_mov_b32_e32 v8, 0x7f800001
	s_mov_b32 s15, exec_lo
	s_delay_alu instid0(VALU_DEP_2)
	v_cmpx_ne_u32_e32 0x7f, v9
	s_cbranch_execz .LBB426_924
; %bb.921:                              ;   in Loop: Header=BB426_756 Depth=1
	v_lshrrev_b32_e32 v12, 3, v9
	v_cmp_gt_u32_e64 s1, 8, v9
	v_dual_mov_b32 v9, v7 :: v_dual_mov_b32 v8, v6
	s_delay_alu instid0(VALU_DEP_2)
	s_and_saveexec_b32 s16, s1
; %bb.922:                              ;   in Loop: Header=BB426_756 Depth=1
	v_and_b32_e32 v8, 7, v6
	s_delay_alu instid0(VALU_DEP_1) | instskip(NEXT) | instid1(VALU_DEP_1)
	v_clz_i32_u32_e32 v8, v8
	v_min_u32_e32 v12, 32, v8
	s_delay_alu instid0(VALU_DEP_1) | instskip(SKIP_1) | instid1(VALU_DEP_2)
	v_subrev_nc_u32_e32 v8, 28, v12
	v_sub_nc_u32_e32 v12, 29, v12
	v_lshlrev_b64 v[8:9], v8, v[6:7]
; %bb.923:                              ;   in Loop: Header=BB426_756 Depth=1
	s_or_b32 exec_lo, exec_lo, s16
	s_delay_alu instid0(VALU_DEP_1) | instskip(SKIP_2) | instid1(VALU_DEP_3)
	v_lshlrev_b32_e32 v8, 20, v8
	v_lshlrev_b32_e32 v9, 24, v6
	v_lshl_add_u32 v12, v12, 23, 0x3c000000
	v_and_b32_e32 v8, 0x700000, v8
	s_delay_alu instid0(VALU_DEP_3) | instskip(NEXT) | instid1(VALU_DEP_1)
	v_and_b32_e32 v9, 0x80000000, v9
	v_or3_b32 v8, v8, v9, v12
.LBB426_924:                            ;   in Loop: Header=BB426_756 Depth=1
	s_or_b32 exec_lo, exec_lo, s15
.LBB426_925:                            ;   in Loop: Header=BB426_756 Depth=1
	s_delay_alu instid0(SALU_CYCLE_1)
	s_or_b32 exec_lo, exec_lo, s13
.LBB426_926:                            ;   in Loop: Header=BB426_756 Depth=1
	s_delay_alu instid0(SALU_CYCLE_1) | instskip(NEXT) | instid1(VALU_DEP_1)
	s_or_b32 exec_lo, exec_lo, s12
	v_mul_f32_e32 v8, v37, v8
                                        ; implicit-def: $vgpr83
	s_delay_alu instid0(VALU_DEP_1) | instskip(NEXT) | instid1(VALU_DEP_1)
	v_and_b32_e32 v9, 0x7f800000, v8
	v_cmp_ne_u32_e64 s1, 0x7f800000, v9
	s_delay_alu instid0(VALU_DEP_1) | instskip(NEXT) | instid1(SALU_CYCLE_1)
	s_and_saveexec_b32 s12, s1
	s_xor_b32 s1, exec_lo, s12
; %bb.927:                              ;   in Loop: Header=BB426_756 Depth=1
	v_bfe_u32 v9, v8, 16, 1
	s_delay_alu instid0(VALU_DEP_1)
	v_add3_u32 v83, v8, v9, 0x7fff
                                        ; implicit-def: $vgpr8
; %bb.928:                              ;   in Loop: Header=BB426_756 Depth=1
	s_and_not1_saveexec_b32 s12, s1
; %bb.929:                              ;   in Loop: Header=BB426_756 Depth=1
	v_and_b32_e32 v9, 0xffff, v8
	v_or_b32_e32 v12, 0x10000, v8
	s_delay_alu instid0(VALU_DEP_2) | instskip(NEXT) | instid1(VALU_DEP_1)
	v_cmp_eq_u32_e64 s1, 0, v9
	v_cndmask_b32_e64 v83, v12, v8, s1
; %bb.930:                              ;   in Loop: Header=BB426_756 Depth=1
	s_or_b32 exec_lo, exec_lo, s12
	v_lshrrev_b16 v9, 8, v6
	v_mov_b32_e32 v8, 0
	s_mov_b32 s12, exec_lo
	s_delay_alu instid0(VALU_DEP_2)
	v_cmpx_ne_u16_e32 0, v9
	s_cbranch_execz .LBB426_938
; %bb.931:                              ;   in Loop: Header=BB426_756 Depth=1
	v_bfrev_b32_e32 v8, 1
	s_mov_b32 s13, exec_lo
	v_cmpx_ne_u16_e32 0x80, v9
	s_cbranch_execz .LBB426_937
; %bb.932:                              ;   in Loop: Header=BB426_756 Depth=1
	v_and_b32_e32 v12, 0xffff, v9
	v_mov_b32_e32 v8, 0x7f800001
	s_mov_b32 s15, exec_lo
	s_delay_alu instid0(VALU_DEP_2) | instskip(NEXT) | instid1(VALU_DEP_1)
	v_and_b32_e32 v9, 0x7f, v12
	v_cmpx_ne_u32_e32 0x7f, v9
	s_cbranch_execz .LBB426_936
; %bb.933:                              ;   in Loop: Header=BB426_756 Depth=1
	v_and_b32_e32 v12, 7, v12
	v_lshrrev_b32_e32 v8, 3, v9
	s_mov_b32 s16, exec_lo
	v_cmpx_gt_u32_e32 8, v9
; %bb.934:                              ;   in Loop: Header=BB426_756 Depth=1
	s_delay_alu instid0(VALU_DEP_3) | instskip(NEXT) | instid1(VALU_DEP_1)
	v_clz_i32_u32_e32 v8, v12
	v_min_u32_e32 v8, 32, v8
	s_delay_alu instid0(VALU_DEP_1) | instskip(SKIP_1) | instid1(VALU_DEP_2)
	v_subrev_nc_u32_e32 v9, 28, v8
	v_sub_nc_u32_e32 v8, 29, v8
	v_lshlrev_b64 v[84:85], v9, v[12:13]
	s_delay_alu instid0(VALU_DEP_1)
	v_and_b32_e32 v12, 7, v84
; %bb.935:                              ;   in Loop: Header=BB426_756 Depth=1
	s_or_b32 exec_lo, exec_lo, s16
	v_lshlrev_b32_e32 v9, 16, v6
	s_delay_alu instid0(VALU_DEP_2) | instskip(SKIP_1) | instid1(VALU_DEP_3)
	v_lshlrev_b32_e32 v12, 20, v12
	v_lshl_add_u32 v8, v8, 23, 0x3c000000
	v_and_b32_e32 v9, 0x80000000, v9
	s_delay_alu instid0(VALU_DEP_1)
	v_or3_b32 v8, v12, v9, v8
.LBB426_936:                            ;   in Loop: Header=BB426_756 Depth=1
	s_or_b32 exec_lo, exec_lo, s15
.LBB426_937:                            ;   in Loop: Header=BB426_756 Depth=1
	s_delay_alu instid0(SALU_CYCLE_1)
	s_or_b32 exec_lo, exec_lo, s13
.LBB426_938:                            ;   in Loop: Header=BB426_756 Depth=1
	s_delay_alu instid0(SALU_CYCLE_1) | instskip(NEXT) | instid1(VALU_DEP_1)
	s_or_b32 exec_lo, exec_lo, s12
	v_mul_f32_e32 v8, v37, v8
                                        ; implicit-def: $vgpr84
	s_delay_alu instid0(VALU_DEP_1) | instskip(NEXT) | instid1(VALU_DEP_1)
	v_and_b32_e32 v9, 0x7f800000, v8
	v_cmp_ne_u32_e64 s1, 0x7f800000, v9
	s_delay_alu instid0(VALU_DEP_1) | instskip(NEXT) | instid1(SALU_CYCLE_1)
	s_and_saveexec_b32 s12, s1
	s_xor_b32 s1, exec_lo, s12
; %bb.939:                              ;   in Loop: Header=BB426_756 Depth=1
	v_bfe_u32 v9, v8, 16, 1
	s_delay_alu instid0(VALU_DEP_1)
	v_add3_u32 v84, v8, v9, 0x7fff
                                        ; implicit-def: $vgpr8
; %bb.940:                              ;   in Loop: Header=BB426_756 Depth=1
	s_and_not1_saveexec_b32 s12, s1
; %bb.941:                              ;   in Loop: Header=BB426_756 Depth=1
	v_and_b32_e32 v9, 0xffff, v8
	v_or_b32_e32 v12, 0x10000, v8
	s_delay_alu instid0(VALU_DEP_2) | instskip(NEXT) | instid1(VALU_DEP_1)
	v_cmp_eq_u32_e64 s1, 0, v9
	v_cndmask_b32_e64 v84, v12, v8, s1
; %bb.942:                              ;   in Loop: Header=BB426_756 Depth=1
	s_or_b32 exec_lo, exec_lo, s12
	v_lshrrev_b32_e32 v8, 16, v6
	s_mov_b32 s12, exec_lo
	s_delay_alu instid0(VALU_DEP_1) | instskip(NEXT) | instid1(VALU_DEP_1)
	v_dual_mov_b32 v9, 0 :: v_dual_and_b32 v12, 0xff, v8
	v_cmpx_ne_u16_e32 0, v12
	s_cbranch_execz .LBB426_950
; %bb.943:                              ;   in Loop: Header=BB426_756 Depth=1
	v_bfrev_b32_e32 v9, 1
	s_mov_b32 s13, exec_lo
	v_cmpx_ne_u16_e32 0x80, v12
	s_cbranch_execz .LBB426_949
; %bb.944:                              ;   in Loop: Header=BB426_756 Depth=1
	v_bfe_u32 v85, v6, 16, 7
	v_mov_b32_e32 v9, 0x7f800001
	s_mov_b32 s15, exec_lo
	s_delay_alu instid0(VALU_DEP_2)
	v_cmpx_ne_u32_e32 0x7f, v85
	s_cbranch_execz .LBB426_948
; %bb.945:                              ;   in Loop: Header=BB426_756 Depth=1
	v_and_b32_e32 v12, 7, v8
	v_lshrrev_b32_e32 v9, 3, v85
	s_mov_b32 s16, exec_lo
	v_cmpx_gt_u32_e32 8, v85
; %bb.946:                              ;   in Loop: Header=BB426_756 Depth=1
	s_delay_alu instid0(VALU_DEP_3) | instskip(NEXT) | instid1(VALU_DEP_1)
	v_clz_i32_u32_e32 v9, v12
	v_min_u32_e32 v9, 32, v9
	s_delay_alu instid0(VALU_DEP_1) | instskip(SKIP_1) | instid1(VALU_DEP_2)
	v_subrev_nc_u32_e32 v85, 28, v9
	v_sub_nc_u32_e32 v9, 29, v9
	v_lshlrev_b64 v[85:86], v85, v[12:13]
	s_delay_alu instid0(VALU_DEP_1)
	v_and_b32_e32 v12, 7, v85
; %bb.947:                              ;   in Loop: Header=BB426_756 Depth=1
	s_or_b32 exec_lo, exec_lo, s16
	v_lshlrev_b32_e32 v8, 24, v8
	s_delay_alu instid0(VALU_DEP_2) | instskip(SKIP_1) | instid1(VALU_DEP_3)
	v_lshlrev_b32_e32 v12, 20, v12
	v_lshl_add_u32 v9, v9, 23, 0x3c000000
	v_and_b32_e32 v8, 0x80000000, v8
	s_delay_alu instid0(VALU_DEP_1)
	v_or3_b32 v9, v12, v8, v9
.LBB426_948:                            ;   in Loop: Header=BB426_756 Depth=1
	s_or_b32 exec_lo, exec_lo, s15
.LBB426_949:                            ;   in Loop: Header=BB426_756 Depth=1
	s_delay_alu instid0(SALU_CYCLE_1)
	s_or_b32 exec_lo, exec_lo, s13
.LBB426_950:                            ;   in Loop: Header=BB426_756 Depth=1
	s_delay_alu instid0(SALU_CYCLE_1) | instskip(NEXT) | instid1(VALU_DEP_1)
	s_or_b32 exec_lo, exec_lo, s12
	v_mul_f32_e32 v8, v37, v9
                                        ; implicit-def: $vgpr85
	s_delay_alu instid0(VALU_DEP_1) | instskip(NEXT) | instid1(VALU_DEP_1)
	v_and_b32_e32 v9, 0x7f800000, v8
	v_cmp_ne_u32_e64 s1, 0x7f800000, v9
	s_delay_alu instid0(VALU_DEP_1) | instskip(NEXT) | instid1(SALU_CYCLE_1)
	s_and_saveexec_b32 s12, s1
	s_xor_b32 s1, exec_lo, s12
; %bb.951:                              ;   in Loop: Header=BB426_756 Depth=1
	v_bfe_u32 v9, v8, 16, 1
	s_delay_alu instid0(VALU_DEP_1)
	v_add3_u32 v85, v8, v9, 0x7fff
                                        ; implicit-def: $vgpr8
; %bb.952:                              ;   in Loop: Header=BB426_756 Depth=1
	s_and_not1_saveexec_b32 s12, s1
; %bb.953:                              ;   in Loop: Header=BB426_756 Depth=1
	v_and_b32_e32 v9, 0xffff, v8
	v_or_b32_e32 v12, 0x10000, v8
	s_delay_alu instid0(VALU_DEP_2) | instskip(NEXT) | instid1(VALU_DEP_1)
	v_cmp_eq_u32_e64 s1, 0, v9
	v_cndmask_b32_e64 v85, v12, v8, s1
; %bb.954:                              ;   in Loop: Header=BB426_756 Depth=1
	s_or_b32 exec_lo, exec_lo, s12
	v_mov_b32_e32 v9, 0
	s_mov_b32 s12, exec_lo
	v_cmpx_lt_u32_e32 0xffffff, v6
	s_cbranch_execz .LBB426_962
; %bb.955:                              ;   in Loop: Header=BB426_756 Depth=1
	v_lshrrev_b32_e32 v8, 24, v6
	v_bfrev_b32_e32 v9, 1
	s_mov_b32 s13, exec_lo
	s_delay_alu instid0(VALU_DEP_2)
	v_cmpx_ne_u32_e32 0x80, v8
	s_cbranch_execz .LBB426_961
; %bb.956:                              ;   in Loop: Header=BB426_756 Depth=1
	v_bfe_u32 v86, v6, 24, 7
	v_mov_b32_e32 v9, 0x7f800001
	s_mov_b32 s15, exec_lo
	s_delay_alu instid0(VALU_DEP_2)
	v_cmpx_ne_u32_e32 0x7f, v86
	s_cbranch_execz .LBB426_960
; %bb.957:                              ;   in Loop: Header=BB426_756 Depth=1
	v_and_b32_e32 v12, 7, v8
	v_lshrrev_b32_e32 v9, 3, v86
	s_mov_b32 s16, exec_lo
	v_cmpx_gt_u32_e32 8, v86
; %bb.958:                              ;   in Loop: Header=BB426_756 Depth=1
	s_delay_alu instid0(VALU_DEP_3) | instskip(NEXT) | instid1(VALU_DEP_1)
	v_clz_i32_u32_e32 v9, v12
	v_min_u32_e32 v9, 32, v9
	s_delay_alu instid0(VALU_DEP_1) | instskip(SKIP_1) | instid1(VALU_DEP_2)
	v_subrev_nc_u32_e32 v86, 28, v9
	v_sub_nc_u32_e32 v9, 29, v9
	v_lshlrev_b64 v[86:87], v86, v[12:13]
	s_delay_alu instid0(VALU_DEP_1)
	v_and_b32_e32 v12, 7, v86
; %bb.959:                              ;   in Loop: Header=BB426_756 Depth=1
	s_or_b32 exec_lo, exec_lo, s16
	v_lshlrev_b32_e32 v8, 24, v8
	s_delay_alu instid0(VALU_DEP_2) | instskip(SKIP_1) | instid1(VALU_DEP_3)
	v_lshlrev_b32_e32 v12, 20, v12
	v_lshl_add_u32 v9, v9, 23, 0x3c000000
	v_and_b32_e32 v8, 0x80000000, v8
	s_delay_alu instid0(VALU_DEP_1)
	v_or3_b32 v9, v12, v8, v9
.LBB426_960:                            ;   in Loop: Header=BB426_756 Depth=1
	s_or_b32 exec_lo, exec_lo, s15
.LBB426_961:                            ;   in Loop: Header=BB426_756 Depth=1
	s_delay_alu instid0(SALU_CYCLE_1)
	s_or_b32 exec_lo, exec_lo, s13
.LBB426_962:                            ;   in Loop: Header=BB426_756 Depth=1
	s_delay_alu instid0(SALU_CYCLE_1) | instskip(NEXT) | instid1(VALU_DEP_1)
	s_or_b32 exec_lo, exec_lo, s12
	v_mul_f32_e32 v8, v37, v9
                                        ; implicit-def: $vgpr86
	s_delay_alu instid0(VALU_DEP_1) | instskip(NEXT) | instid1(VALU_DEP_1)
	v_and_b32_e32 v9, 0x7f800000, v8
	v_cmp_ne_u32_e64 s1, 0x7f800000, v9
	s_delay_alu instid0(VALU_DEP_1) | instskip(NEXT) | instid1(SALU_CYCLE_1)
	s_and_saveexec_b32 s12, s1
	s_xor_b32 s1, exec_lo, s12
; %bb.963:                              ;   in Loop: Header=BB426_756 Depth=1
	v_bfe_u32 v9, v8, 16, 1
	s_delay_alu instid0(VALU_DEP_1)
	v_add3_u32 v86, v8, v9, 0x7fff
                                        ; implicit-def: $vgpr8
; %bb.964:                              ;   in Loop: Header=BB426_756 Depth=1
	s_and_not1_saveexec_b32 s12, s1
; %bb.965:                              ;   in Loop: Header=BB426_756 Depth=1
	v_and_b32_e32 v9, 0xffff, v8
	v_or_b32_e32 v12, 0x10000, v8
	s_delay_alu instid0(VALU_DEP_2) | instskip(NEXT) | instid1(VALU_DEP_1)
	v_cmp_eq_u32_e64 s1, 0, v9
	v_cndmask_b32_e64 v86, v12, v8, s1
; %bb.966:                              ;   in Loop: Header=BB426_756 Depth=1
	s_or_b32 exec_lo, exec_lo, s12
	v_dual_mov_b32 v12, v7 :: v_dual_and_b32 v9, 0xff, v7
	v_mov_b32_e32 v8, 0
	s_mov_b32 s12, exec_lo
	s_delay_alu instid0(VALU_DEP_2)
	v_cmpx_ne_u16_e32 0, v9
	s_cbranch_execz .LBB426_974
; %bb.967:                              ;   in Loop: Header=BB426_756 Depth=1
	v_bfrev_b32_e32 v8, 1
	s_mov_b32 s13, exec_lo
	v_cmpx_ne_u16_e32 0x80, v9
	s_cbranch_execz .LBB426_973
; %bb.968:                              ;   in Loop: Header=BB426_756 Depth=1
	v_and_b32_e32 v9, 0x7f, v7
	v_mov_b32_e32 v8, 0x7f800001
	s_mov_b32 s15, exec_lo
	s_delay_alu instid0(VALU_DEP_2)
	v_cmpx_ne_u32_e32 0x7f, v9
	s_cbranch_execz .LBB426_972
; %bb.969:                              ;   in Loop: Header=BB426_756 Depth=1
	v_lshrrev_b32_e32 v87, 3, v9
	v_cmp_gt_u32_e64 s1, 8, v9
	v_dual_mov_b32 v8, v12 :: v_dual_mov_b32 v9, v13
	s_delay_alu instid0(VALU_DEP_2)
	s_and_saveexec_b32 s16, s1
; %bb.970:                              ;   in Loop: Header=BB426_756 Depth=1
	v_and_b32_e32 v8, 7, v7
	s_delay_alu instid0(VALU_DEP_1) | instskip(NEXT) | instid1(VALU_DEP_1)
	v_clz_i32_u32_e32 v8, v8
	v_min_u32_e32 v87, 32, v8
	s_delay_alu instid0(VALU_DEP_1) | instskip(SKIP_1) | instid1(VALU_DEP_2)
	v_subrev_nc_u32_e32 v8, 28, v87
	v_sub_nc_u32_e32 v87, 29, v87
	v_lshlrev_b64 v[8:9], v8, v[12:13]
; %bb.971:                              ;   in Loop: Header=BB426_756 Depth=1
	s_or_b32 exec_lo, exec_lo, s16
	s_delay_alu instid0(VALU_DEP_1) | instskip(SKIP_2) | instid1(VALU_DEP_3)
	v_lshlrev_b32_e32 v8, 20, v8
	v_lshlrev_b32_e32 v9, 24, v12
	v_lshl_add_u32 v87, v87, 23, 0x3c000000
	v_and_b32_e32 v8, 0x700000, v8
	s_delay_alu instid0(VALU_DEP_3) | instskip(NEXT) | instid1(VALU_DEP_1)
	v_and_b32_e32 v9, 0x80000000, v9
	v_or3_b32 v8, v8, v9, v87
.LBB426_972:                            ;   in Loop: Header=BB426_756 Depth=1
	s_or_b32 exec_lo, exec_lo, s15
.LBB426_973:                            ;   in Loop: Header=BB426_756 Depth=1
	s_delay_alu instid0(SALU_CYCLE_1)
	s_or_b32 exec_lo, exec_lo, s13
.LBB426_974:                            ;   in Loop: Header=BB426_756 Depth=1
	s_delay_alu instid0(SALU_CYCLE_1) | instskip(NEXT) | instid1(VALU_DEP_1)
	s_or_b32 exec_lo, exec_lo, s12
	v_mul_f32_e32 v8, v37, v8
                                        ; implicit-def: $vgpr87
	s_delay_alu instid0(VALU_DEP_1) | instskip(NEXT) | instid1(VALU_DEP_1)
	v_and_b32_e32 v9, 0x7f800000, v8
	v_cmp_ne_u32_e64 s1, 0x7f800000, v9
	s_delay_alu instid0(VALU_DEP_1) | instskip(NEXT) | instid1(SALU_CYCLE_1)
	s_and_saveexec_b32 s12, s1
	s_xor_b32 s1, exec_lo, s12
; %bb.975:                              ;   in Loop: Header=BB426_756 Depth=1
	v_bfe_u32 v9, v8, 16, 1
	s_delay_alu instid0(VALU_DEP_1)
	v_add3_u32 v87, v8, v9, 0x7fff
                                        ; implicit-def: $vgpr8
; %bb.976:                              ;   in Loop: Header=BB426_756 Depth=1
	s_and_not1_saveexec_b32 s12, s1
; %bb.977:                              ;   in Loop: Header=BB426_756 Depth=1
	v_and_b32_e32 v9, 0xffff, v8
	v_or_b32_e32 v87, 0x10000, v8
	s_delay_alu instid0(VALU_DEP_2) | instskip(NEXT) | instid1(VALU_DEP_1)
	v_cmp_eq_u32_e64 s1, 0, v9
	v_cndmask_b32_e64 v87, v87, v8, s1
; %bb.978:                              ;   in Loop: Header=BB426_756 Depth=1
	s_or_b32 exec_lo, exec_lo, s12
	v_lshrrev_b16 v9, 8, v12
	v_mov_b32_e32 v8, 0
	s_mov_b32 s12, exec_lo
	s_delay_alu instid0(VALU_DEP_2)
	v_cmpx_ne_u16_e32 0, v9
	s_cbranch_execz .LBB426_986
; %bb.979:                              ;   in Loop: Header=BB426_756 Depth=1
	v_bfrev_b32_e32 v8, 1
	s_mov_b32 s13, exec_lo
	v_cmpx_ne_u16_e32 0x80, v9
	s_cbranch_execz .LBB426_985
; %bb.980:                              ;   in Loop: Header=BB426_756 Depth=1
	v_and_b32_e32 v9, 0xffff, v9
	v_mov_b32_e32 v8, 0x7f800001
	s_mov_b32 s15, exec_lo
	s_delay_alu instid0(VALU_DEP_2) | instskip(NEXT) | instid1(VALU_DEP_1)
	v_and_b32_e32 v97, 0x7f, v9
	v_cmpx_ne_u32_e32 0x7f, v97
	s_cbranch_execz .LBB426_984
; %bb.981:                              ;   in Loop: Header=BB426_756 Depth=1
	v_dual_mov_b32 v9, v13 :: v_dual_and_b32 v8, 7, v9
	v_lshrrev_b32_e32 v96, 3, v97
	s_mov_b32 s16, exec_lo
	v_cmpx_gt_u32_e32 8, v97
; %bb.982:                              ;   in Loop: Header=BB426_756 Depth=1
	s_delay_alu instid0(VALU_DEP_3) | instskip(NEXT) | instid1(VALU_DEP_1)
	v_clz_i32_u32_e32 v96, v8
	v_min_u32_e32 v96, 32, v96
	s_delay_alu instid0(VALU_DEP_1) | instskip(SKIP_1) | instid1(VALU_DEP_2)
	v_subrev_nc_u32_e32 v97, 28, v96
	v_sub_nc_u32_e32 v96, 29, v96
	v_lshlrev_b64 v[8:9], v97, v[8:9]
	s_delay_alu instid0(VALU_DEP_1)
	v_and_b32_e32 v8, 7, v8
; %bb.983:                              ;   in Loop: Header=BB426_756 Depth=1
	s_or_b32 exec_lo, exec_lo, s16
	v_lshlrev_b32_e32 v9, 16, v12
	s_delay_alu instid0(VALU_DEP_2) | instskip(SKIP_1) | instid1(VALU_DEP_3)
	v_lshlrev_b32_e32 v8, 20, v8
	v_lshl_add_u32 v12, v96, 23, 0x3c000000
	v_and_b32_e32 v9, 0x80000000, v9
	s_delay_alu instid0(VALU_DEP_1)
	v_or3_b32 v8, v8, v9, v12
.LBB426_984:                            ;   in Loop: Header=BB426_756 Depth=1
	s_or_b32 exec_lo, exec_lo, s15
.LBB426_985:                            ;   in Loop: Header=BB426_756 Depth=1
	s_delay_alu instid0(SALU_CYCLE_1)
	s_or_b32 exec_lo, exec_lo, s13
.LBB426_986:                            ;   in Loop: Header=BB426_756 Depth=1
	s_delay_alu instid0(SALU_CYCLE_1) | instskip(NEXT) | instid1(VALU_DEP_1)
	s_or_b32 exec_lo, exec_lo, s12
	v_mul_f32_e32 v9, v37, v8
	s_delay_alu instid0(VALU_DEP_1) | instskip(NEXT) | instid1(VALU_DEP_1)
	v_and_b32_e32 v8, 0x7f800000, v9
	v_cmp_ne_u32_e64 s1, 0x7f800000, v8
                                        ; implicit-def: $vgpr8
	s_delay_alu instid0(VALU_DEP_1) | instskip(NEXT) | instid1(SALU_CYCLE_1)
	s_and_saveexec_b32 s12, s1
	s_xor_b32 s1, exec_lo, s12
; %bb.987:                              ;   in Loop: Header=BB426_756 Depth=1
	v_bfe_u32 v8, v9, 16, 1
	s_delay_alu instid0(VALU_DEP_1)
	v_add3_u32 v8, v9, v8, 0x7fff
                                        ; implicit-def: $vgpr9
; %bb.988:                              ;   in Loop: Header=BB426_756 Depth=1
	s_and_not1_saveexec_b32 s12, s1
; %bb.989:                              ;   in Loop: Header=BB426_756 Depth=1
	v_and_b32_e32 v8, 0xffff, v9
	v_or_b32_e32 v12, 0x10000, v9
	s_delay_alu instid0(VALU_DEP_2) | instskip(NEXT) | instid1(VALU_DEP_1)
	v_cmp_eq_u32_e64 s1, 0, v8
	v_cndmask_b32_e64 v8, v12, v9, s1
; %bb.990:                              ;   in Loop: Header=BB426_756 Depth=1
	s_or_b32 exec_lo, exec_lo, s12
	v_lshrrev_b32_e32 v9, 16, v7
	v_mov_b32_e32 v12, 0
	s_mov_b32 s12, exec_lo
	s_delay_alu instid0(VALU_DEP_2) | instskip(NEXT) | instid1(VALU_DEP_1)
	v_and_b32_e32 v96, 0xff, v9
	v_cmpx_ne_u16_e32 0, v96
	s_cbranch_execz .LBB426_998
; %bb.991:                              ;   in Loop: Header=BB426_756 Depth=1
	v_bfrev_b32_e32 v12, 1
	s_mov_b32 s13, exec_lo
	v_cmpx_ne_u16_e32 0x80, v96
	s_cbranch_execz .LBB426_997
; %bb.992:                              ;   in Loop: Header=BB426_756 Depth=1
	v_bfe_u32 v97, v7, 16, 7
	v_mov_b32_e32 v12, 0x7f800001
	s_mov_b32 s15, exec_lo
	s_delay_alu instid0(VALU_DEP_2)
	v_cmpx_ne_u32_e32 0x7f, v97
	s_cbranch_execz .LBB426_996
; %bb.993:                              ;   in Loop: Header=BB426_756 Depth=1
	v_and_b32_e32 v12, 7, v9
	v_lshrrev_b32_e32 v96, 3, v97
	s_mov_b32 s16, exec_lo
	v_cmpx_gt_u32_e32 8, v97
; %bb.994:                              ;   in Loop: Header=BB426_756 Depth=1
	s_delay_alu instid0(VALU_DEP_3) | instskip(NEXT) | instid1(VALU_DEP_1)
	v_clz_i32_u32_e32 v96, v12
	v_min_u32_e32 v96, 32, v96
	s_delay_alu instid0(VALU_DEP_1) | instskip(SKIP_1) | instid1(VALU_DEP_2)
	v_subrev_nc_u32_e32 v97, 28, v96
	v_sub_nc_u32_e32 v96, 29, v96
	v_lshlrev_b64 v[97:98], v97, v[12:13]
	s_delay_alu instid0(VALU_DEP_1)
	v_and_b32_e32 v12, 7, v97
; %bb.995:                              ;   in Loop: Header=BB426_756 Depth=1
	s_or_b32 exec_lo, exec_lo, s16
	v_lshlrev_b32_e32 v9, 24, v9
	s_delay_alu instid0(VALU_DEP_2) | instskip(SKIP_1) | instid1(VALU_DEP_3)
	v_lshlrev_b32_e32 v12, 20, v12
	v_lshl_add_u32 v96, v96, 23, 0x3c000000
	v_and_b32_e32 v9, 0x80000000, v9
	s_delay_alu instid0(VALU_DEP_1)
	v_or3_b32 v12, v12, v9, v96
.LBB426_996:                            ;   in Loop: Header=BB426_756 Depth=1
	s_or_b32 exec_lo, exec_lo, s15
.LBB426_997:                            ;   in Loop: Header=BB426_756 Depth=1
	s_delay_alu instid0(SALU_CYCLE_1)
	s_or_b32 exec_lo, exec_lo, s13
.LBB426_998:                            ;   in Loop: Header=BB426_756 Depth=1
	s_delay_alu instid0(SALU_CYCLE_1) | instskip(NEXT) | instid1(VALU_DEP_1)
	s_or_b32 exec_lo, exec_lo, s12
	v_mul_f32_e32 v9, v37, v12
                                        ; implicit-def: $vgpr96
	s_delay_alu instid0(VALU_DEP_1) | instskip(NEXT) | instid1(VALU_DEP_1)
	v_and_b32_e32 v12, 0x7f800000, v9
	v_cmp_ne_u32_e64 s1, 0x7f800000, v12
	s_delay_alu instid0(VALU_DEP_1) | instskip(NEXT) | instid1(SALU_CYCLE_1)
	s_and_saveexec_b32 s12, s1
	s_xor_b32 s1, exec_lo, s12
; %bb.999:                              ;   in Loop: Header=BB426_756 Depth=1
	v_bfe_u32 v12, v9, 16, 1
	s_delay_alu instid0(VALU_DEP_1)
	v_add3_u32 v96, v9, v12, 0x7fff
                                        ; implicit-def: $vgpr9
; %bb.1000:                             ;   in Loop: Header=BB426_756 Depth=1
	s_and_not1_saveexec_b32 s12, s1
; %bb.1001:                             ;   in Loop: Header=BB426_756 Depth=1
	v_and_b32_e32 v12, 0xffff, v9
	v_or_b32_e32 v96, 0x10000, v9
	s_delay_alu instid0(VALU_DEP_2) | instskip(NEXT) | instid1(VALU_DEP_1)
	v_cmp_eq_u32_e64 s1, 0, v12
	v_cndmask_b32_e64 v96, v96, v9, s1
; %bb.1002:                             ;   in Loop: Header=BB426_756 Depth=1
	s_or_b32 exec_lo, exec_lo, s12
	v_mov_b32_e32 v9, 0
	s_mov_b32 s12, exec_lo
	v_cmpx_lt_u64_e64 s[8:9], v[6:7]
	s_cbranch_execz .LBB426_1010
; %bb.1003:                             ;   in Loop: Header=BB426_756 Depth=1
	v_lshrrev_b32_e32 v6, 24, v7
	v_bfrev_b32_e32 v9, 1
	s_mov_b32 s13, exec_lo
	s_delay_alu instid0(VALU_DEP_2)
	v_cmpx_ne_u32_e32 0x80, v6
	s_cbranch_execz .LBB426_1009
; %bb.1004:                             ;   in Loop: Header=BB426_756 Depth=1
	v_bfe_u32 v97, v7, 24, 7
	v_mov_b32_e32 v9, 0x7f800001
	s_mov_b32 s15, exec_lo
	s_delay_alu instid0(VALU_DEP_2)
	v_cmpx_ne_u32_e32 0x7f, v97
	s_cbranch_execz .LBB426_1008
; %bb.1005:                             ;   in Loop: Header=BB426_756 Depth=1
	v_and_b32_e32 v12, 7, v6
	v_lshrrev_b32_e32 v7, 3, v97
	s_mov_b32 s16, exec_lo
	v_cmpx_gt_u32_e32 8, v97
; %bb.1006:                             ;   in Loop: Header=BB426_756 Depth=1
	s_delay_alu instid0(VALU_DEP_3) | instskip(NEXT) | instid1(VALU_DEP_1)
	v_clz_i32_u32_e32 v7, v12
	v_min_u32_e32 v7, 32, v7
	s_delay_alu instid0(VALU_DEP_1) | instskip(SKIP_1) | instid1(VALU_DEP_2)
	v_subrev_nc_u32_e32 v9, 28, v7
	v_sub_nc_u32_e32 v7, 29, v7
	v_lshlrev_b64 v[97:98], v9, v[12:13]
	s_delay_alu instid0(VALU_DEP_1)
	v_and_b32_e32 v12, 7, v97
; %bb.1007:                             ;   in Loop: Header=BB426_756 Depth=1
	s_or_b32 exec_lo, exec_lo, s16
	v_lshlrev_b32_e32 v6, 24, v6
	s_delay_alu instid0(VALU_DEP_2) | instskip(SKIP_1) | instid1(VALU_DEP_3)
	v_lshlrev_b32_e32 v9, 20, v12
	v_lshl_add_u32 v7, v7, 23, 0x3c000000
	v_and_b32_e32 v6, 0x80000000, v6
	s_delay_alu instid0(VALU_DEP_1)
	v_or3_b32 v9, v9, v6, v7
.LBB426_1008:                           ;   in Loop: Header=BB426_756 Depth=1
	s_or_b32 exec_lo, exec_lo, s15
.LBB426_1009:                           ;   in Loop: Header=BB426_756 Depth=1
	s_delay_alu instid0(SALU_CYCLE_1)
	s_or_b32 exec_lo, exec_lo, s13
.LBB426_1010:                           ;   in Loop: Header=BB426_756 Depth=1
	s_delay_alu instid0(SALU_CYCLE_1) | instskip(NEXT) | instid1(VALU_DEP_1)
	s_or_b32 exec_lo, exec_lo, s12
	v_mul_f32_e32 v7, v37, v9
	s_delay_alu instid0(VALU_DEP_1) | instskip(NEXT) | instid1(VALU_DEP_1)
	v_and_b32_e32 v6, 0x7f800000, v7
	v_cmp_ne_u32_e64 s1, 0x7f800000, v6
                                        ; implicit-def: $vgpr6
	s_delay_alu instid0(VALU_DEP_1) | instskip(NEXT) | instid1(SALU_CYCLE_1)
	s_and_saveexec_b32 s12, s1
	s_xor_b32 s1, exec_lo, s12
; %bb.1011:                             ;   in Loop: Header=BB426_756 Depth=1
	v_bfe_u32 v6, v7, 16, 1
	s_delay_alu instid0(VALU_DEP_1)
	v_add3_u32 v6, v7, v6, 0x7fff
                                        ; implicit-def: $vgpr7
; %bb.1012:                             ;   in Loop: Header=BB426_756 Depth=1
	s_and_not1_saveexec_b32 s12, s1
; %bb.1013:                             ;   in Loop: Header=BB426_756 Depth=1
	v_and_b32_e32 v6, 0xffff, v7
	v_or_b32_e32 v9, 0x10000, v7
	s_delay_alu instid0(VALU_DEP_2) | instskip(NEXT) | instid1(VALU_DEP_1)
	v_cmp_eq_u32_e64 s1, 0, v6
	v_cndmask_b32_e64 v6, v9, v7, s1
; %bb.1014:                             ;   in Loop: Header=BB426_756 Depth=1
	s_or_b32 exec_lo, exec_lo, s12
	v_lshrrev_b32_e32 v8, 16, v8
	v_lshrrev_b32_e32 v9, 16, v87
	;; [unrolled: 1-line block ×8, first 2 shown]
	s_and_saveexec_b32 s12, s0
	s_cbranch_execz .LBB426_1016
; %bb.1015:                             ;   in Loop: Header=BB426_756 Depth=1
	v_add_nc_u32_e32 v86, -6, v48
	v_cmp_lt_i32_e64 s1, v66, v32
	v_add_nc_u32_e32 v87, -5, v48
	v_add_nc_u32_e32 v96, -2, v48
	s_delay_alu instid0(VALU_DEP_3) | instskip(SKIP_2) | instid1(VALU_DEP_2)
	v_cndmask_b32_e64 v83, 0, v83, s1
	v_cmp_lt_i32_e64 s1, v86, v32
	v_add_nc_u32_e32 v86, -4, v48
	v_cndmask_b32_e64 v84, 0, v84, s1
	v_cmp_lt_i32_e64 s1, v87, v32
	v_add_nc_u32_e32 v87, -3, v48
	s_delay_alu instid0(VALU_DEP_2) | instskip(SKIP_2) | instid1(VALU_DEP_2)
	v_cndmask_b32_e64 v85, 0, v85, s1
	v_cmp_lt_i32_e64 s1, v86, v32
	v_add_nc_u32_e32 v86, -1, v48
	v_cndmask_b32_e64 v12, 0, v12, s1
	v_cmp_lt_i32_e64 s1, v87, v32
	s_delay_alu instid0(VALU_DEP_1) | instskip(SKIP_1) | instid1(VALU_DEP_1)
	v_cndmask_b32_e64 v9, 0, v9, s1
	v_cmp_lt_i32_e64 s1, v96, v32
	v_cndmask_b32_e64 v8, 0, v8, s1
	v_cmp_lt_i32_e64 s1, v86, v32
	s_delay_alu instid0(VALU_DEP_1) | instskip(SKIP_1) | instid1(VALU_DEP_1)
	v_cndmask_b32_e64 v7, 0, v7, s1
	v_cmp_lt_i32_e64 s1, v48, v32
	v_cndmask_b32_e64 v6, 0, v6, s1
.LBB426_1016:                           ;   in Loop: Header=BB426_756 Depth=1
	s_or_b32 exec_lo, exec_lo, s12
	v_lshlrev_b32_e32 v83, 16, v83
	s_delay_alu instid0(VALU_DEP_1) | instskip(NEXT) | instid1(VALU_DEP_1)
	v_mul_f32_e32 v86, v67, v83
	v_and_b32_e32 v83, 0x7f800000, v86
	s_delay_alu instid0(VALU_DEP_1) | instskip(NEXT) | instid1(VALU_DEP_1)
	v_cmp_ne_u32_e64 s1, 0x7f800000, v83
                                        ; implicit-def: $vgpr83
	s_and_saveexec_b32 s12, s1
	s_delay_alu instid0(SALU_CYCLE_1)
	s_xor_b32 s1, exec_lo, s12
; %bb.1017:                             ;   in Loop: Header=BB426_756 Depth=1
	v_bfe_u32 v83, v86, 16, 1
	s_delay_alu instid0(VALU_DEP_1)
	v_add3_u32 v83, v86, v83, 0x7fff
                                        ; implicit-def: $vgpr86
; %bb.1018:                             ;   in Loop: Header=BB426_756 Depth=1
	s_and_not1_saveexec_b32 s12, s1
; %bb.1019:                             ;   in Loop: Header=BB426_756 Depth=1
	v_and_b32_e32 v83, 0xffff, v86
	v_or_b32_e32 v87, 0x10000, v86
	s_delay_alu instid0(VALU_DEP_2) | instskip(NEXT) | instid1(VALU_DEP_1)
	v_cmp_eq_u32_e64 s1, 0, v83
	v_cndmask_b32_e64 v83, v87, v86, s1
; %bb.1020:                             ;   in Loop: Header=BB426_756 Depth=1
	s_or_b32 exec_lo, exec_lo, s12
	v_lshlrev_b32_e32 v84, 16, v84
	s_delay_alu instid0(VALU_DEP_1) | instskip(NEXT) | instid1(VALU_DEP_1)
	v_mul_f32_e32 v86, v68, v84
	v_and_b32_e32 v84, 0x7f800000, v86
	s_delay_alu instid0(VALU_DEP_1) | instskip(NEXT) | instid1(VALU_DEP_1)
	v_cmp_ne_u32_e64 s1, 0x7f800000, v84
                                        ; implicit-def: $vgpr84
	s_and_saveexec_b32 s12, s1
	s_delay_alu instid0(SALU_CYCLE_1)
	s_xor_b32 s1, exec_lo, s12
; %bb.1021:                             ;   in Loop: Header=BB426_756 Depth=1
	v_bfe_u32 v84, v86, 16, 1
	s_delay_alu instid0(VALU_DEP_1)
	v_add3_u32 v84, v86, v84, 0x7fff
                                        ; implicit-def: $vgpr86
; %bb.1022:                             ;   in Loop: Header=BB426_756 Depth=1
	s_and_not1_saveexec_b32 s12, s1
; %bb.1023:                             ;   in Loop: Header=BB426_756 Depth=1
	v_and_b32_e32 v84, 0xffff, v86
	v_or_b32_e32 v87, 0x10000, v86
	s_delay_alu instid0(VALU_DEP_2) | instskip(NEXT) | instid1(VALU_DEP_1)
	v_cmp_eq_u32_e64 s1, 0, v84
	v_cndmask_b32_e64 v84, v87, v86, s1
; %bb.1024:                             ;   in Loop: Header=BB426_756 Depth=1
	s_or_b32 exec_lo, exec_lo, s12
	v_lshlrev_b32_e32 v85, 16, v85
	s_delay_alu instid0(VALU_DEP_1) | instskip(NEXT) | instid1(VALU_DEP_1)
	v_mul_f32_e32 v86, v69, v85
	v_and_b32_e32 v85, 0x7f800000, v86
	s_delay_alu instid0(VALU_DEP_1) | instskip(NEXT) | instid1(VALU_DEP_1)
	v_cmp_ne_u32_e64 s1, 0x7f800000, v85
                                        ; implicit-def: $vgpr85
	s_and_saveexec_b32 s12, s1
	s_delay_alu instid0(SALU_CYCLE_1)
	s_xor_b32 s1, exec_lo, s12
; %bb.1025:                             ;   in Loop: Header=BB426_756 Depth=1
	v_bfe_u32 v85, v86, 16, 1
	s_delay_alu instid0(VALU_DEP_1)
	v_add3_u32 v85, v86, v85, 0x7fff
                                        ; implicit-def: $vgpr86
; %bb.1026:                             ;   in Loop: Header=BB426_756 Depth=1
	s_and_not1_saveexec_b32 s12, s1
; %bb.1027:                             ;   in Loop: Header=BB426_756 Depth=1
	v_and_b32_e32 v85, 0xffff, v86
	v_or_b32_e32 v87, 0x10000, v86
	s_delay_alu instid0(VALU_DEP_2) | instskip(NEXT) | instid1(VALU_DEP_1)
	v_cmp_eq_u32_e64 s1, 0, v85
	v_cndmask_b32_e64 v85, v87, v86, s1
; %bb.1028:                             ;   in Loop: Header=BB426_756 Depth=1
	s_or_b32 exec_lo, exec_lo, s12
	v_lshlrev_b32_e32 v12, 16, v12
	s_delay_alu instid0(VALU_DEP_1) | instskip(NEXT) | instid1(VALU_DEP_1)
	v_mul_f32_e32 v12, v70, v12
	v_and_b32_e32 v86, 0x7f800000, v12
	s_delay_alu instid0(VALU_DEP_1) | instskip(NEXT) | instid1(VALU_DEP_1)
	v_cmp_ne_u32_e64 s1, 0x7f800000, v86
                                        ; implicit-def: $vgpr86
	s_and_saveexec_b32 s12, s1
	s_delay_alu instid0(SALU_CYCLE_1)
	s_xor_b32 s1, exec_lo, s12
; %bb.1029:                             ;   in Loop: Header=BB426_756 Depth=1
	v_bfe_u32 v86, v12, 16, 1
	s_delay_alu instid0(VALU_DEP_1)
	v_add3_u32 v86, v12, v86, 0x7fff
                                        ; implicit-def: $vgpr12
; %bb.1030:                             ;   in Loop: Header=BB426_756 Depth=1
	s_and_not1_saveexec_b32 s12, s1
; %bb.1031:                             ;   in Loop: Header=BB426_756 Depth=1
	v_and_b32_e32 v86, 0xffff, v12
	v_or_b32_e32 v87, 0x10000, v12
	s_delay_alu instid0(VALU_DEP_2) | instskip(NEXT) | instid1(VALU_DEP_1)
	v_cmp_eq_u32_e64 s1, 0, v86
	v_cndmask_b32_e64 v86, v87, v12, s1
; %bb.1032:                             ;   in Loop: Header=BB426_756 Depth=1
	s_or_b32 exec_lo, exec_lo, s12
	v_lshlrev_b32_e32 v9, 16, v9
                                        ; implicit-def: $vgpr87
	s_delay_alu instid0(VALU_DEP_1) | instskip(NEXT) | instid1(VALU_DEP_1)
	v_mul_f32_e32 v9, v71, v9
	v_and_b32_e32 v12, 0x7f800000, v9
	s_delay_alu instid0(VALU_DEP_1) | instskip(NEXT) | instid1(VALU_DEP_1)
	v_cmp_ne_u32_e64 s1, 0x7f800000, v12
	s_and_saveexec_b32 s12, s1
	s_delay_alu instid0(SALU_CYCLE_1)
	s_xor_b32 s1, exec_lo, s12
; %bb.1033:                             ;   in Loop: Header=BB426_756 Depth=1
	v_bfe_u32 v12, v9, 16, 1
	s_delay_alu instid0(VALU_DEP_1)
	v_add3_u32 v87, v9, v12, 0x7fff
                                        ; implicit-def: $vgpr9
; %bb.1034:                             ;   in Loop: Header=BB426_756 Depth=1
	s_and_not1_saveexec_b32 s12, s1
; %bb.1035:                             ;   in Loop: Header=BB426_756 Depth=1
	v_and_b32_e32 v12, 0xffff, v9
	v_or_b32_e32 v87, 0x10000, v9
	s_delay_alu instid0(VALU_DEP_2) | instskip(NEXT) | instid1(VALU_DEP_1)
	v_cmp_eq_u32_e64 s1, 0, v12
	v_cndmask_b32_e64 v87, v87, v9, s1
; %bb.1036:                             ;   in Loop: Header=BB426_756 Depth=1
	s_or_b32 exec_lo, exec_lo, s12
	v_lshlrev_b32_e32 v8, 16, v8
                                        ; implicit-def: $vgpr96
	s_delay_alu instid0(VALU_DEP_1) | instskip(NEXT) | instid1(VALU_DEP_1)
	v_mul_f32_e32 v8, v80, v8
	v_and_b32_e32 v9, 0x7f800000, v8
	s_delay_alu instid0(VALU_DEP_1) | instskip(NEXT) | instid1(VALU_DEP_1)
	v_cmp_ne_u32_e64 s1, 0x7f800000, v9
	s_and_saveexec_b32 s12, s1
	s_delay_alu instid0(SALU_CYCLE_1)
	s_xor_b32 s1, exec_lo, s12
; %bb.1037:                             ;   in Loop: Header=BB426_756 Depth=1
	v_bfe_u32 v9, v8, 16, 1
	s_delay_alu instid0(VALU_DEP_1)
	v_add3_u32 v96, v8, v9, 0x7fff
                                        ; implicit-def: $vgpr8
; %bb.1038:                             ;   in Loop: Header=BB426_756 Depth=1
	s_and_not1_saveexec_b32 s12, s1
; %bb.1039:                             ;   in Loop: Header=BB426_756 Depth=1
	v_and_b32_e32 v9, 0xffff, v8
	v_or_b32_e32 v12, 0x10000, v8
	s_delay_alu instid0(VALU_DEP_2) | instskip(NEXT) | instid1(VALU_DEP_1)
	v_cmp_eq_u32_e64 s1, 0, v9
	v_cndmask_b32_e64 v96, v12, v8, s1
; %bb.1040:                             ;   in Loop: Header=BB426_756 Depth=1
	s_or_b32 exec_lo, exec_lo, s12
	v_lshlrev_b32_e32 v7, 16, v7
                                        ; implicit-def: $vgpr97
	s_delay_alu instid0(VALU_DEP_1) | instskip(NEXT) | instid1(VALU_DEP_1)
	v_mul_f32_e32 v7, v81, v7
	v_and_b32_e32 v8, 0x7f800000, v7
	s_delay_alu instid0(VALU_DEP_1) | instskip(NEXT) | instid1(VALU_DEP_1)
	v_cmp_ne_u32_e64 s1, 0x7f800000, v8
	s_and_saveexec_b32 s12, s1
	s_delay_alu instid0(SALU_CYCLE_1)
	s_xor_b32 s1, exec_lo, s12
; %bb.1041:                             ;   in Loop: Header=BB426_756 Depth=1
	v_bfe_u32 v8, v7, 16, 1
	s_delay_alu instid0(VALU_DEP_1)
	v_add3_u32 v97, v7, v8, 0x7fff
                                        ; implicit-def: $vgpr7
; %bb.1042:                             ;   in Loop: Header=BB426_756 Depth=1
	s_and_not1_saveexec_b32 s12, s1
; %bb.1043:                             ;   in Loop: Header=BB426_756 Depth=1
	v_and_b32_e32 v8, 0xffff, v7
	v_or_b32_e32 v9, 0x10000, v7
	s_delay_alu instid0(VALU_DEP_2) | instskip(NEXT) | instid1(VALU_DEP_1)
	v_cmp_eq_u32_e64 s1, 0, v8
	v_cndmask_b32_e64 v97, v9, v7, s1
; %bb.1044:                             ;   in Loop: Header=BB426_756 Depth=1
	s_or_b32 exec_lo, exec_lo, s12
	v_lshlrev_b32_e32 v6, 16, v6
                                        ; implicit-def: $vgpr98
	s_delay_alu instid0(VALU_DEP_1) | instskip(NEXT) | instid1(VALU_DEP_1)
	v_mul_f32_e32 v6, v82, v6
	v_and_b32_e32 v7, 0x7f800000, v6
	s_delay_alu instid0(VALU_DEP_1) | instskip(NEXT) | instid1(VALU_DEP_1)
	v_cmp_ne_u32_e64 s1, 0x7f800000, v7
	s_and_saveexec_b32 s12, s1
	s_delay_alu instid0(SALU_CYCLE_1)
	s_xor_b32 s1, exec_lo, s12
; %bb.1045:                             ;   in Loop: Header=BB426_756 Depth=1
	v_bfe_u32 v7, v6, 16, 1
	s_delay_alu instid0(VALU_DEP_1)
	v_add3_u32 v98, v6, v7, 0x7fff
                                        ; implicit-def: $vgpr6
; %bb.1046:                             ;   in Loop: Header=BB426_756 Depth=1
	s_and_not1_saveexec_b32 s12, s1
; %bb.1047:                             ;   in Loop: Header=BB426_756 Depth=1
	v_and_b32_e32 v7, 0xffff, v6
	v_or_b32_e32 v8, 0x10000, v6
	s_delay_alu instid0(VALU_DEP_2) | instskip(NEXT) | instid1(VALU_DEP_1)
	v_cmp_eq_u32_e64 s1, 0, v7
	v_cndmask_b32_e64 v98, v8, v6, s1
; %bb.1048:                             ;   in Loop: Header=BB426_756 Depth=1
	s_or_b32 exec_lo, exec_lo, s12
	flat_load_b64 v[6:7], v[2:3] offset:512
	s_mov_b32 s12, exec_lo
	s_waitcnt vmcnt(0) lgkmcnt(0)
	v_dual_mov_b32 v8, 0 :: v_dual_and_b32 v9, 0xff, v6
	s_delay_alu instid0(VALU_DEP_1)
	v_cmpx_ne_u16_e32 0, v9
	s_cbranch_execz .LBB426_1056
; %bb.1049:                             ;   in Loop: Header=BB426_756 Depth=1
	v_bfrev_b32_e32 v8, 1
	s_mov_b32 s13, exec_lo
	v_cmpx_ne_u16_e32 0x80, v9
	s_cbranch_execz .LBB426_1055
; %bb.1050:                             ;   in Loop: Header=BB426_756 Depth=1
	v_and_b32_e32 v9, 0x7f, v6
	v_mov_b32_e32 v8, 0x7f800001
	s_mov_b32 s15, exec_lo
	s_delay_alu instid0(VALU_DEP_2)
	v_cmpx_ne_u32_e32 0x7f, v9
	s_cbranch_execz .LBB426_1054
; %bb.1051:                             ;   in Loop: Header=BB426_756 Depth=1
	v_lshrrev_b32_e32 v12, 3, v9
	v_cmp_gt_u32_e64 s1, 8, v9
	v_dual_mov_b32 v9, v7 :: v_dual_mov_b32 v8, v6
	s_delay_alu instid0(VALU_DEP_2)
	s_and_saveexec_b32 s16, s1
; %bb.1052:                             ;   in Loop: Header=BB426_756 Depth=1
	v_and_b32_e32 v8, 7, v6
	s_delay_alu instid0(VALU_DEP_1) | instskip(NEXT) | instid1(VALU_DEP_1)
	v_clz_i32_u32_e32 v8, v8
	v_min_u32_e32 v12, 32, v8
	s_delay_alu instid0(VALU_DEP_1) | instskip(SKIP_1) | instid1(VALU_DEP_2)
	v_subrev_nc_u32_e32 v8, 28, v12
	v_sub_nc_u32_e32 v12, 29, v12
	v_lshlrev_b64 v[8:9], v8, v[6:7]
; %bb.1053:                             ;   in Loop: Header=BB426_756 Depth=1
	s_or_b32 exec_lo, exec_lo, s16
	s_delay_alu instid0(VALU_DEP_1) | instskip(SKIP_2) | instid1(VALU_DEP_3)
	v_lshlrev_b32_e32 v8, 20, v8
	v_lshlrev_b32_e32 v9, 24, v6
	v_lshl_add_u32 v12, v12, 23, 0x3c000000
	v_and_b32_e32 v8, 0x700000, v8
	s_delay_alu instid0(VALU_DEP_3) | instskip(NEXT) | instid1(VALU_DEP_1)
	v_and_b32_e32 v9, 0x80000000, v9
	v_or3_b32 v8, v8, v9, v12
.LBB426_1054:                           ;   in Loop: Header=BB426_756 Depth=1
	s_or_b32 exec_lo, exec_lo, s15
.LBB426_1055:                           ;   in Loop: Header=BB426_756 Depth=1
	s_delay_alu instid0(SALU_CYCLE_1)
	s_or_b32 exec_lo, exec_lo, s13
.LBB426_1056:                           ;   in Loop: Header=BB426_756 Depth=1
	s_delay_alu instid0(SALU_CYCLE_1) | instskip(NEXT) | instid1(VALU_DEP_1)
	s_or_b32 exec_lo, exec_lo, s12
	v_mul_f32_e32 v8, v37, v8
                                        ; implicit-def: $vgpr99
	s_delay_alu instid0(VALU_DEP_1) | instskip(NEXT) | instid1(VALU_DEP_1)
	v_and_b32_e32 v9, 0x7f800000, v8
	v_cmp_ne_u32_e64 s1, 0x7f800000, v9
	s_delay_alu instid0(VALU_DEP_1) | instskip(NEXT) | instid1(SALU_CYCLE_1)
	s_and_saveexec_b32 s12, s1
	s_xor_b32 s1, exec_lo, s12
; %bb.1057:                             ;   in Loop: Header=BB426_756 Depth=1
	v_bfe_u32 v9, v8, 16, 1
	s_delay_alu instid0(VALU_DEP_1)
	v_add3_u32 v99, v8, v9, 0x7fff
                                        ; implicit-def: $vgpr8
; %bb.1058:                             ;   in Loop: Header=BB426_756 Depth=1
	s_and_not1_saveexec_b32 s12, s1
; %bb.1059:                             ;   in Loop: Header=BB426_756 Depth=1
	v_and_b32_e32 v9, 0xffff, v8
	v_or_b32_e32 v12, 0x10000, v8
	s_delay_alu instid0(VALU_DEP_2) | instskip(NEXT) | instid1(VALU_DEP_1)
	v_cmp_eq_u32_e64 s1, 0, v9
	v_cndmask_b32_e64 v99, v12, v8, s1
; %bb.1060:                             ;   in Loop: Header=BB426_756 Depth=1
	s_or_b32 exec_lo, exec_lo, s12
	v_lshrrev_b16 v9, 8, v6
	v_mov_b32_e32 v8, 0
	s_mov_b32 s12, exec_lo
	s_delay_alu instid0(VALU_DEP_2)
	v_cmpx_ne_u16_e32 0, v9
	s_cbranch_execz .LBB426_1068
; %bb.1061:                             ;   in Loop: Header=BB426_756 Depth=1
	v_bfrev_b32_e32 v8, 1
	s_mov_b32 s13, exec_lo
	v_cmpx_ne_u16_e32 0x80, v9
	s_cbranch_execz .LBB426_1067
; %bb.1062:                             ;   in Loop: Header=BB426_756 Depth=1
	v_and_b32_e32 v12, 0xffff, v9
	v_mov_b32_e32 v8, 0x7f800001
	s_mov_b32 s15, exec_lo
	s_delay_alu instid0(VALU_DEP_2) | instskip(NEXT) | instid1(VALU_DEP_1)
	v_and_b32_e32 v9, 0x7f, v12
	v_cmpx_ne_u32_e32 0x7f, v9
	s_cbranch_execz .LBB426_1066
; %bb.1063:                             ;   in Loop: Header=BB426_756 Depth=1
	v_and_b32_e32 v12, 7, v12
	v_lshrrev_b32_e32 v8, 3, v9
	s_mov_b32 s16, exec_lo
	v_cmpx_gt_u32_e32 8, v9
; %bb.1064:                             ;   in Loop: Header=BB426_756 Depth=1
	s_delay_alu instid0(VALU_DEP_3) | instskip(NEXT) | instid1(VALU_DEP_1)
	v_clz_i32_u32_e32 v8, v12
	v_min_u32_e32 v8, 32, v8
	s_delay_alu instid0(VALU_DEP_1) | instskip(SKIP_1) | instid1(VALU_DEP_2)
	v_subrev_nc_u32_e32 v9, 28, v8
	v_sub_nc_u32_e32 v8, 29, v8
	v_lshlrev_b64 v[100:101], v9, v[12:13]
	s_delay_alu instid0(VALU_DEP_1)
	v_and_b32_e32 v12, 7, v100
; %bb.1065:                             ;   in Loop: Header=BB426_756 Depth=1
	s_or_b32 exec_lo, exec_lo, s16
	v_lshlrev_b32_e32 v9, 16, v6
	s_delay_alu instid0(VALU_DEP_2) | instskip(SKIP_1) | instid1(VALU_DEP_3)
	v_lshlrev_b32_e32 v12, 20, v12
	v_lshl_add_u32 v8, v8, 23, 0x3c000000
	v_and_b32_e32 v9, 0x80000000, v9
	s_delay_alu instid0(VALU_DEP_1)
	v_or3_b32 v8, v12, v9, v8
.LBB426_1066:                           ;   in Loop: Header=BB426_756 Depth=1
	s_or_b32 exec_lo, exec_lo, s15
.LBB426_1067:                           ;   in Loop: Header=BB426_756 Depth=1
	s_delay_alu instid0(SALU_CYCLE_1)
	s_or_b32 exec_lo, exec_lo, s13
.LBB426_1068:                           ;   in Loop: Header=BB426_756 Depth=1
	s_delay_alu instid0(SALU_CYCLE_1) | instskip(NEXT) | instid1(VALU_DEP_1)
	s_or_b32 exec_lo, exec_lo, s12
	v_mul_f32_e32 v8, v37, v8
                                        ; implicit-def: $vgpr100
	s_delay_alu instid0(VALU_DEP_1) | instskip(NEXT) | instid1(VALU_DEP_1)
	v_and_b32_e32 v9, 0x7f800000, v8
	v_cmp_ne_u32_e64 s1, 0x7f800000, v9
	s_delay_alu instid0(VALU_DEP_1) | instskip(NEXT) | instid1(SALU_CYCLE_1)
	s_and_saveexec_b32 s12, s1
	s_xor_b32 s1, exec_lo, s12
; %bb.1069:                             ;   in Loop: Header=BB426_756 Depth=1
	v_bfe_u32 v9, v8, 16, 1
	s_delay_alu instid0(VALU_DEP_1)
	v_add3_u32 v100, v8, v9, 0x7fff
                                        ; implicit-def: $vgpr8
; %bb.1070:                             ;   in Loop: Header=BB426_756 Depth=1
	s_and_not1_saveexec_b32 s12, s1
; %bb.1071:                             ;   in Loop: Header=BB426_756 Depth=1
	v_and_b32_e32 v9, 0xffff, v8
	v_or_b32_e32 v12, 0x10000, v8
	s_delay_alu instid0(VALU_DEP_2) | instskip(NEXT) | instid1(VALU_DEP_1)
	v_cmp_eq_u32_e64 s1, 0, v9
	v_cndmask_b32_e64 v100, v12, v8, s1
; %bb.1072:                             ;   in Loop: Header=BB426_756 Depth=1
	s_or_b32 exec_lo, exec_lo, s12
	v_lshrrev_b32_e32 v8, 16, v6
	s_mov_b32 s12, exec_lo
	s_delay_alu instid0(VALU_DEP_1) | instskip(NEXT) | instid1(VALU_DEP_1)
	v_dual_mov_b32 v9, 0 :: v_dual_and_b32 v12, 0xff, v8
	v_cmpx_ne_u16_e32 0, v12
	s_cbranch_execz .LBB426_1080
; %bb.1073:                             ;   in Loop: Header=BB426_756 Depth=1
	v_bfrev_b32_e32 v9, 1
	s_mov_b32 s13, exec_lo
	v_cmpx_ne_u16_e32 0x80, v12
	s_cbranch_execz .LBB426_1079
; %bb.1074:                             ;   in Loop: Header=BB426_756 Depth=1
	v_bfe_u32 v101, v6, 16, 7
	v_mov_b32_e32 v9, 0x7f800001
	s_mov_b32 s15, exec_lo
	s_delay_alu instid0(VALU_DEP_2)
	v_cmpx_ne_u32_e32 0x7f, v101
	s_cbranch_execz .LBB426_1078
; %bb.1075:                             ;   in Loop: Header=BB426_756 Depth=1
	v_and_b32_e32 v12, 7, v8
	v_lshrrev_b32_e32 v9, 3, v101
	s_mov_b32 s16, exec_lo
	v_cmpx_gt_u32_e32 8, v101
; %bb.1076:                             ;   in Loop: Header=BB426_756 Depth=1
	s_delay_alu instid0(VALU_DEP_3) | instskip(NEXT) | instid1(VALU_DEP_1)
	v_clz_i32_u32_e32 v9, v12
	v_min_u32_e32 v9, 32, v9
	s_delay_alu instid0(VALU_DEP_1) | instskip(SKIP_1) | instid1(VALU_DEP_2)
	v_subrev_nc_u32_e32 v101, 28, v9
	v_sub_nc_u32_e32 v9, 29, v9
	v_lshlrev_b64 v[101:102], v101, v[12:13]
	s_delay_alu instid0(VALU_DEP_1)
	v_and_b32_e32 v12, 7, v101
; %bb.1077:                             ;   in Loop: Header=BB426_756 Depth=1
	s_or_b32 exec_lo, exec_lo, s16
	v_lshlrev_b32_e32 v8, 24, v8
	s_delay_alu instid0(VALU_DEP_2) | instskip(SKIP_1) | instid1(VALU_DEP_3)
	v_lshlrev_b32_e32 v12, 20, v12
	v_lshl_add_u32 v9, v9, 23, 0x3c000000
	v_and_b32_e32 v8, 0x80000000, v8
	s_delay_alu instid0(VALU_DEP_1)
	v_or3_b32 v9, v12, v8, v9
.LBB426_1078:                           ;   in Loop: Header=BB426_756 Depth=1
	s_or_b32 exec_lo, exec_lo, s15
.LBB426_1079:                           ;   in Loop: Header=BB426_756 Depth=1
	s_delay_alu instid0(SALU_CYCLE_1)
	s_or_b32 exec_lo, exec_lo, s13
.LBB426_1080:                           ;   in Loop: Header=BB426_756 Depth=1
	s_delay_alu instid0(SALU_CYCLE_1) | instskip(NEXT) | instid1(VALU_DEP_1)
	s_or_b32 exec_lo, exec_lo, s12
	v_mul_f32_e32 v8, v37, v9
                                        ; implicit-def: $vgpr101
	s_delay_alu instid0(VALU_DEP_1) | instskip(NEXT) | instid1(VALU_DEP_1)
	v_and_b32_e32 v9, 0x7f800000, v8
	v_cmp_ne_u32_e64 s1, 0x7f800000, v9
	s_delay_alu instid0(VALU_DEP_1) | instskip(NEXT) | instid1(SALU_CYCLE_1)
	s_and_saveexec_b32 s12, s1
	s_xor_b32 s1, exec_lo, s12
; %bb.1081:                             ;   in Loop: Header=BB426_756 Depth=1
	v_bfe_u32 v9, v8, 16, 1
	s_delay_alu instid0(VALU_DEP_1)
	v_add3_u32 v101, v8, v9, 0x7fff
                                        ; implicit-def: $vgpr8
; %bb.1082:                             ;   in Loop: Header=BB426_756 Depth=1
	s_and_not1_saveexec_b32 s12, s1
; %bb.1083:                             ;   in Loop: Header=BB426_756 Depth=1
	v_and_b32_e32 v9, 0xffff, v8
	v_or_b32_e32 v12, 0x10000, v8
	s_delay_alu instid0(VALU_DEP_2) | instskip(NEXT) | instid1(VALU_DEP_1)
	v_cmp_eq_u32_e64 s1, 0, v9
	v_cndmask_b32_e64 v101, v12, v8, s1
; %bb.1084:                             ;   in Loop: Header=BB426_756 Depth=1
	s_or_b32 exec_lo, exec_lo, s12
	v_mov_b32_e32 v9, 0
	s_mov_b32 s12, exec_lo
	v_cmpx_lt_u32_e32 0xffffff, v6
	s_cbranch_execz .LBB426_1092
; %bb.1085:                             ;   in Loop: Header=BB426_756 Depth=1
	v_lshrrev_b32_e32 v8, 24, v6
	v_bfrev_b32_e32 v9, 1
	s_mov_b32 s13, exec_lo
	s_delay_alu instid0(VALU_DEP_2)
	v_cmpx_ne_u32_e32 0x80, v8
	s_cbranch_execz .LBB426_1091
; %bb.1086:                             ;   in Loop: Header=BB426_756 Depth=1
	v_bfe_u32 v102, v6, 24, 7
	v_mov_b32_e32 v9, 0x7f800001
	s_mov_b32 s15, exec_lo
	s_delay_alu instid0(VALU_DEP_2)
	v_cmpx_ne_u32_e32 0x7f, v102
	s_cbranch_execz .LBB426_1090
; %bb.1087:                             ;   in Loop: Header=BB426_756 Depth=1
	v_and_b32_e32 v12, 7, v8
	v_lshrrev_b32_e32 v9, 3, v102
	s_mov_b32 s16, exec_lo
	v_cmpx_gt_u32_e32 8, v102
; %bb.1088:                             ;   in Loop: Header=BB426_756 Depth=1
	s_delay_alu instid0(VALU_DEP_3) | instskip(NEXT) | instid1(VALU_DEP_1)
	v_clz_i32_u32_e32 v9, v12
	v_min_u32_e32 v9, 32, v9
	s_delay_alu instid0(VALU_DEP_1) | instskip(SKIP_1) | instid1(VALU_DEP_2)
	v_subrev_nc_u32_e32 v102, 28, v9
	v_sub_nc_u32_e32 v9, 29, v9
	v_lshlrev_b64 v[102:103], v102, v[12:13]
	s_delay_alu instid0(VALU_DEP_1)
	v_and_b32_e32 v12, 7, v102
; %bb.1089:                             ;   in Loop: Header=BB426_756 Depth=1
	s_or_b32 exec_lo, exec_lo, s16
	v_lshlrev_b32_e32 v8, 24, v8
	s_delay_alu instid0(VALU_DEP_2) | instskip(SKIP_1) | instid1(VALU_DEP_3)
	v_lshlrev_b32_e32 v12, 20, v12
	v_lshl_add_u32 v9, v9, 23, 0x3c000000
	v_and_b32_e32 v8, 0x80000000, v8
	s_delay_alu instid0(VALU_DEP_1)
	v_or3_b32 v9, v12, v8, v9
.LBB426_1090:                           ;   in Loop: Header=BB426_756 Depth=1
	s_or_b32 exec_lo, exec_lo, s15
.LBB426_1091:                           ;   in Loop: Header=BB426_756 Depth=1
	s_delay_alu instid0(SALU_CYCLE_1)
	s_or_b32 exec_lo, exec_lo, s13
.LBB426_1092:                           ;   in Loop: Header=BB426_756 Depth=1
	s_delay_alu instid0(SALU_CYCLE_1) | instskip(NEXT) | instid1(VALU_DEP_1)
	s_or_b32 exec_lo, exec_lo, s12
	v_mul_f32_e32 v8, v37, v9
                                        ; implicit-def: $vgpr102
	s_delay_alu instid0(VALU_DEP_1) | instskip(NEXT) | instid1(VALU_DEP_1)
	v_and_b32_e32 v9, 0x7f800000, v8
	v_cmp_ne_u32_e64 s1, 0x7f800000, v9
	s_delay_alu instid0(VALU_DEP_1) | instskip(NEXT) | instid1(SALU_CYCLE_1)
	s_and_saveexec_b32 s12, s1
	s_xor_b32 s1, exec_lo, s12
; %bb.1093:                             ;   in Loop: Header=BB426_756 Depth=1
	v_bfe_u32 v9, v8, 16, 1
	s_delay_alu instid0(VALU_DEP_1)
	v_add3_u32 v102, v8, v9, 0x7fff
                                        ; implicit-def: $vgpr8
; %bb.1094:                             ;   in Loop: Header=BB426_756 Depth=1
	s_and_not1_saveexec_b32 s12, s1
; %bb.1095:                             ;   in Loop: Header=BB426_756 Depth=1
	v_and_b32_e32 v9, 0xffff, v8
	v_or_b32_e32 v12, 0x10000, v8
	s_delay_alu instid0(VALU_DEP_2) | instskip(NEXT) | instid1(VALU_DEP_1)
	v_cmp_eq_u32_e64 s1, 0, v9
	v_cndmask_b32_e64 v102, v12, v8, s1
; %bb.1096:                             ;   in Loop: Header=BB426_756 Depth=1
	s_or_b32 exec_lo, exec_lo, s12
	v_dual_mov_b32 v12, v7 :: v_dual_and_b32 v9, 0xff, v7
	v_mov_b32_e32 v8, 0
	s_mov_b32 s12, exec_lo
	s_delay_alu instid0(VALU_DEP_2)
	v_cmpx_ne_u16_e32 0, v9
	s_cbranch_execz .LBB426_1104
; %bb.1097:                             ;   in Loop: Header=BB426_756 Depth=1
	v_bfrev_b32_e32 v8, 1
	s_mov_b32 s13, exec_lo
	v_cmpx_ne_u16_e32 0x80, v9
	s_cbranch_execz .LBB426_1103
; %bb.1098:                             ;   in Loop: Header=BB426_756 Depth=1
	v_and_b32_e32 v9, 0x7f, v7
	v_mov_b32_e32 v8, 0x7f800001
	s_mov_b32 s15, exec_lo
	s_delay_alu instid0(VALU_DEP_2)
	v_cmpx_ne_u32_e32 0x7f, v9
	s_cbranch_execz .LBB426_1102
; %bb.1099:                             ;   in Loop: Header=BB426_756 Depth=1
	v_lshrrev_b32_e32 v103, 3, v9
	v_cmp_gt_u32_e64 s1, 8, v9
	v_dual_mov_b32 v8, v12 :: v_dual_mov_b32 v9, v13
	s_delay_alu instid0(VALU_DEP_2)
	s_and_saveexec_b32 s16, s1
; %bb.1100:                             ;   in Loop: Header=BB426_756 Depth=1
	v_and_b32_e32 v8, 7, v7
	s_delay_alu instid0(VALU_DEP_1) | instskip(NEXT) | instid1(VALU_DEP_1)
	v_clz_i32_u32_e32 v8, v8
	v_min_u32_e32 v103, 32, v8
	s_delay_alu instid0(VALU_DEP_1) | instskip(SKIP_1) | instid1(VALU_DEP_2)
	v_subrev_nc_u32_e32 v8, 28, v103
	v_sub_nc_u32_e32 v103, 29, v103
	v_lshlrev_b64 v[8:9], v8, v[12:13]
; %bb.1101:                             ;   in Loop: Header=BB426_756 Depth=1
	s_or_b32 exec_lo, exec_lo, s16
	s_delay_alu instid0(VALU_DEP_1) | instskip(SKIP_2) | instid1(VALU_DEP_3)
	v_lshlrev_b32_e32 v8, 20, v8
	v_lshlrev_b32_e32 v9, 24, v12
	v_lshl_add_u32 v103, v103, 23, 0x3c000000
	v_and_b32_e32 v8, 0x700000, v8
	s_delay_alu instid0(VALU_DEP_3) | instskip(NEXT) | instid1(VALU_DEP_1)
	v_and_b32_e32 v9, 0x80000000, v9
	v_or3_b32 v8, v8, v9, v103
.LBB426_1102:                           ;   in Loop: Header=BB426_756 Depth=1
	s_or_b32 exec_lo, exec_lo, s15
.LBB426_1103:                           ;   in Loop: Header=BB426_756 Depth=1
	s_delay_alu instid0(SALU_CYCLE_1)
	s_or_b32 exec_lo, exec_lo, s13
.LBB426_1104:                           ;   in Loop: Header=BB426_756 Depth=1
	s_delay_alu instid0(SALU_CYCLE_1) | instskip(NEXT) | instid1(VALU_DEP_1)
	s_or_b32 exec_lo, exec_lo, s12
	v_mul_f32_e32 v8, v37, v8
                                        ; implicit-def: $vgpr103
	s_delay_alu instid0(VALU_DEP_1) | instskip(NEXT) | instid1(VALU_DEP_1)
	v_and_b32_e32 v9, 0x7f800000, v8
	v_cmp_ne_u32_e64 s1, 0x7f800000, v9
	s_delay_alu instid0(VALU_DEP_1) | instskip(NEXT) | instid1(SALU_CYCLE_1)
	s_and_saveexec_b32 s12, s1
	s_xor_b32 s1, exec_lo, s12
; %bb.1105:                             ;   in Loop: Header=BB426_756 Depth=1
	v_bfe_u32 v9, v8, 16, 1
	s_delay_alu instid0(VALU_DEP_1)
	v_add3_u32 v103, v8, v9, 0x7fff
                                        ; implicit-def: $vgpr8
; %bb.1106:                             ;   in Loop: Header=BB426_756 Depth=1
	s_and_not1_saveexec_b32 s12, s1
; %bb.1107:                             ;   in Loop: Header=BB426_756 Depth=1
	v_and_b32_e32 v9, 0xffff, v8
	v_or_b32_e32 v103, 0x10000, v8
	s_delay_alu instid0(VALU_DEP_2) | instskip(NEXT) | instid1(VALU_DEP_1)
	v_cmp_eq_u32_e64 s1, 0, v9
	v_cndmask_b32_e64 v103, v103, v8, s1
; %bb.1108:                             ;   in Loop: Header=BB426_756 Depth=1
	s_or_b32 exec_lo, exec_lo, s12
	v_lshrrev_b16 v9, 8, v12
	v_mov_b32_e32 v8, 0
	s_mov_b32 s12, exec_lo
	s_delay_alu instid0(VALU_DEP_2)
	v_cmpx_ne_u16_e32 0, v9
	s_cbranch_execz .LBB426_1116
; %bb.1109:                             ;   in Loop: Header=BB426_756 Depth=1
	v_bfrev_b32_e32 v8, 1
	s_mov_b32 s13, exec_lo
	v_cmpx_ne_u16_e32 0x80, v9
	s_cbranch_execz .LBB426_1115
; %bb.1110:                             ;   in Loop: Header=BB426_756 Depth=1
	v_and_b32_e32 v9, 0xffff, v9
	v_mov_b32_e32 v8, 0x7f800001
	s_mov_b32 s15, exec_lo
	s_delay_alu instid0(VALU_DEP_2) | instskip(NEXT) | instid1(VALU_DEP_1)
	v_and_b32_e32 v113, 0x7f, v9
	v_cmpx_ne_u32_e32 0x7f, v113
	s_cbranch_execz .LBB426_1114
; %bb.1111:                             ;   in Loop: Header=BB426_756 Depth=1
	v_dual_mov_b32 v9, v13 :: v_dual_and_b32 v8, 7, v9
	v_lshrrev_b32_e32 v112, 3, v113
	s_mov_b32 s16, exec_lo
	v_cmpx_gt_u32_e32 8, v113
; %bb.1112:                             ;   in Loop: Header=BB426_756 Depth=1
	s_delay_alu instid0(VALU_DEP_3) | instskip(NEXT) | instid1(VALU_DEP_1)
	v_clz_i32_u32_e32 v112, v8
	v_min_u32_e32 v112, 32, v112
	s_delay_alu instid0(VALU_DEP_1) | instskip(SKIP_1) | instid1(VALU_DEP_2)
	v_subrev_nc_u32_e32 v113, 28, v112
	v_sub_nc_u32_e32 v112, 29, v112
	v_lshlrev_b64 v[8:9], v113, v[8:9]
	s_delay_alu instid0(VALU_DEP_1)
	v_and_b32_e32 v8, 7, v8
; %bb.1113:                             ;   in Loop: Header=BB426_756 Depth=1
	s_or_b32 exec_lo, exec_lo, s16
	v_lshlrev_b32_e32 v9, 16, v12
	s_delay_alu instid0(VALU_DEP_2) | instskip(SKIP_1) | instid1(VALU_DEP_3)
	v_lshlrev_b32_e32 v8, 20, v8
	v_lshl_add_u32 v12, v112, 23, 0x3c000000
	v_and_b32_e32 v9, 0x80000000, v9
	s_delay_alu instid0(VALU_DEP_1)
	v_or3_b32 v8, v8, v9, v12
.LBB426_1114:                           ;   in Loop: Header=BB426_756 Depth=1
	s_or_b32 exec_lo, exec_lo, s15
.LBB426_1115:                           ;   in Loop: Header=BB426_756 Depth=1
	s_delay_alu instid0(SALU_CYCLE_1)
	s_or_b32 exec_lo, exec_lo, s13
.LBB426_1116:                           ;   in Loop: Header=BB426_756 Depth=1
	s_delay_alu instid0(SALU_CYCLE_1) | instskip(NEXT) | instid1(VALU_DEP_1)
	s_or_b32 exec_lo, exec_lo, s12
	v_mul_f32_e32 v9, v37, v8
	s_delay_alu instid0(VALU_DEP_1) | instskip(NEXT) | instid1(VALU_DEP_1)
	v_and_b32_e32 v8, 0x7f800000, v9
	v_cmp_ne_u32_e64 s1, 0x7f800000, v8
                                        ; implicit-def: $vgpr8
	s_delay_alu instid0(VALU_DEP_1) | instskip(NEXT) | instid1(SALU_CYCLE_1)
	s_and_saveexec_b32 s12, s1
	s_xor_b32 s1, exec_lo, s12
; %bb.1117:                             ;   in Loop: Header=BB426_756 Depth=1
	v_bfe_u32 v8, v9, 16, 1
	s_delay_alu instid0(VALU_DEP_1)
	v_add3_u32 v8, v9, v8, 0x7fff
                                        ; implicit-def: $vgpr9
; %bb.1118:                             ;   in Loop: Header=BB426_756 Depth=1
	s_and_not1_saveexec_b32 s12, s1
; %bb.1119:                             ;   in Loop: Header=BB426_756 Depth=1
	v_and_b32_e32 v8, 0xffff, v9
	v_or_b32_e32 v12, 0x10000, v9
	s_delay_alu instid0(VALU_DEP_2) | instskip(NEXT) | instid1(VALU_DEP_1)
	v_cmp_eq_u32_e64 s1, 0, v8
	v_cndmask_b32_e64 v8, v12, v9, s1
; %bb.1120:                             ;   in Loop: Header=BB426_756 Depth=1
	s_or_b32 exec_lo, exec_lo, s12
	v_lshrrev_b32_e32 v9, 16, v7
	v_mov_b32_e32 v12, 0
	s_mov_b32 s12, exec_lo
	s_delay_alu instid0(VALU_DEP_2) | instskip(NEXT) | instid1(VALU_DEP_1)
	v_and_b32_e32 v112, 0xff, v9
	v_cmpx_ne_u16_e32 0, v112
	s_cbranch_execz .LBB426_1128
; %bb.1121:                             ;   in Loop: Header=BB426_756 Depth=1
	v_bfrev_b32_e32 v12, 1
	s_mov_b32 s13, exec_lo
	v_cmpx_ne_u16_e32 0x80, v112
	s_cbranch_execz .LBB426_1127
; %bb.1122:                             ;   in Loop: Header=BB426_756 Depth=1
	v_bfe_u32 v113, v7, 16, 7
	v_mov_b32_e32 v12, 0x7f800001
	s_mov_b32 s15, exec_lo
	s_delay_alu instid0(VALU_DEP_2)
	v_cmpx_ne_u32_e32 0x7f, v113
	s_cbranch_execz .LBB426_1126
; %bb.1123:                             ;   in Loop: Header=BB426_756 Depth=1
	v_and_b32_e32 v12, 7, v9
	v_lshrrev_b32_e32 v112, 3, v113
	s_mov_b32 s16, exec_lo
	v_cmpx_gt_u32_e32 8, v113
; %bb.1124:                             ;   in Loop: Header=BB426_756 Depth=1
	s_delay_alu instid0(VALU_DEP_3) | instskip(NEXT) | instid1(VALU_DEP_1)
	v_clz_i32_u32_e32 v112, v12
	v_min_u32_e32 v112, 32, v112
	s_delay_alu instid0(VALU_DEP_1) | instskip(SKIP_1) | instid1(VALU_DEP_2)
	v_subrev_nc_u32_e32 v113, 28, v112
	v_sub_nc_u32_e32 v112, 29, v112
	v_lshlrev_b64 v[113:114], v113, v[12:13]
	s_delay_alu instid0(VALU_DEP_1)
	v_and_b32_e32 v12, 7, v113
; %bb.1125:                             ;   in Loop: Header=BB426_756 Depth=1
	s_or_b32 exec_lo, exec_lo, s16
	v_lshlrev_b32_e32 v9, 24, v9
	s_delay_alu instid0(VALU_DEP_2) | instskip(SKIP_1) | instid1(VALU_DEP_3)
	v_lshlrev_b32_e32 v12, 20, v12
	v_lshl_add_u32 v112, v112, 23, 0x3c000000
	v_and_b32_e32 v9, 0x80000000, v9
	s_delay_alu instid0(VALU_DEP_1)
	v_or3_b32 v12, v12, v9, v112
.LBB426_1126:                           ;   in Loop: Header=BB426_756 Depth=1
	s_or_b32 exec_lo, exec_lo, s15
.LBB426_1127:                           ;   in Loop: Header=BB426_756 Depth=1
	s_delay_alu instid0(SALU_CYCLE_1)
	s_or_b32 exec_lo, exec_lo, s13
.LBB426_1128:                           ;   in Loop: Header=BB426_756 Depth=1
	s_delay_alu instid0(SALU_CYCLE_1) | instskip(NEXT) | instid1(VALU_DEP_1)
	s_or_b32 exec_lo, exec_lo, s12
	v_mul_f32_e32 v9, v37, v12
                                        ; implicit-def: $vgpr112
	s_delay_alu instid0(VALU_DEP_1) | instskip(NEXT) | instid1(VALU_DEP_1)
	v_and_b32_e32 v12, 0x7f800000, v9
	v_cmp_ne_u32_e64 s1, 0x7f800000, v12
	s_delay_alu instid0(VALU_DEP_1) | instskip(NEXT) | instid1(SALU_CYCLE_1)
	s_and_saveexec_b32 s12, s1
	s_xor_b32 s1, exec_lo, s12
; %bb.1129:                             ;   in Loop: Header=BB426_756 Depth=1
	v_bfe_u32 v12, v9, 16, 1
	s_delay_alu instid0(VALU_DEP_1)
	v_add3_u32 v112, v9, v12, 0x7fff
                                        ; implicit-def: $vgpr9
; %bb.1130:                             ;   in Loop: Header=BB426_756 Depth=1
	s_and_not1_saveexec_b32 s12, s1
; %bb.1131:                             ;   in Loop: Header=BB426_756 Depth=1
	v_and_b32_e32 v12, 0xffff, v9
	v_or_b32_e32 v112, 0x10000, v9
	s_delay_alu instid0(VALU_DEP_2) | instskip(NEXT) | instid1(VALU_DEP_1)
	v_cmp_eq_u32_e64 s1, 0, v12
	v_cndmask_b32_e64 v112, v112, v9, s1
; %bb.1132:                             ;   in Loop: Header=BB426_756 Depth=1
	s_or_b32 exec_lo, exec_lo, s12
	v_mov_b32_e32 v9, 0
	s_mov_b32 s12, exec_lo
	v_cmpx_lt_u64_e64 s[8:9], v[6:7]
	s_cbranch_execz .LBB426_1140
; %bb.1133:                             ;   in Loop: Header=BB426_756 Depth=1
	v_lshrrev_b32_e32 v6, 24, v7
	v_bfrev_b32_e32 v9, 1
	s_mov_b32 s13, exec_lo
	s_delay_alu instid0(VALU_DEP_2)
	v_cmpx_ne_u32_e32 0x80, v6
	s_cbranch_execz .LBB426_1139
; %bb.1134:                             ;   in Loop: Header=BB426_756 Depth=1
	v_bfe_u32 v113, v7, 24, 7
	v_mov_b32_e32 v9, 0x7f800001
	s_mov_b32 s15, exec_lo
	s_delay_alu instid0(VALU_DEP_2)
	v_cmpx_ne_u32_e32 0x7f, v113
	s_cbranch_execz .LBB426_1138
; %bb.1135:                             ;   in Loop: Header=BB426_756 Depth=1
	v_and_b32_e32 v12, 7, v6
	v_lshrrev_b32_e32 v7, 3, v113
	s_mov_b32 s16, exec_lo
	v_cmpx_gt_u32_e32 8, v113
; %bb.1136:                             ;   in Loop: Header=BB426_756 Depth=1
	s_delay_alu instid0(VALU_DEP_3) | instskip(NEXT) | instid1(VALU_DEP_1)
	v_clz_i32_u32_e32 v7, v12
	v_min_u32_e32 v7, 32, v7
	s_delay_alu instid0(VALU_DEP_1) | instskip(SKIP_1) | instid1(VALU_DEP_2)
	v_subrev_nc_u32_e32 v9, 28, v7
	v_sub_nc_u32_e32 v7, 29, v7
	v_lshlrev_b64 v[113:114], v9, v[12:13]
	s_delay_alu instid0(VALU_DEP_1)
	v_and_b32_e32 v12, 7, v113
; %bb.1137:                             ;   in Loop: Header=BB426_756 Depth=1
	s_or_b32 exec_lo, exec_lo, s16
	v_lshlrev_b32_e32 v6, 24, v6
	s_delay_alu instid0(VALU_DEP_2) | instskip(SKIP_1) | instid1(VALU_DEP_3)
	v_lshlrev_b32_e32 v9, 20, v12
	v_lshl_add_u32 v7, v7, 23, 0x3c000000
	v_and_b32_e32 v6, 0x80000000, v6
	s_delay_alu instid0(VALU_DEP_1)
	v_or3_b32 v9, v9, v6, v7
.LBB426_1138:                           ;   in Loop: Header=BB426_756 Depth=1
	s_or_b32 exec_lo, exec_lo, s15
.LBB426_1139:                           ;   in Loop: Header=BB426_756 Depth=1
	s_delay_alu instid0(SALU_CYCLE_1)
	s_or_b32 exec_lo, exec_lo, s13
.LBB426_1140:                           ;   in Loop: Header=BB426_756 Depth=1
	s_delay_alu instid0(SALU_CYCLE_1) | instskip(NEXT) | instid1(VALU_DEP_1)
	s_or_b32 exec_lo, exec_lo, s12
	v_mul_f32_e32 v7, v37, v9
	s_delay_alu instid0(VALU_DEP_1) | instskip(NEXT) | instid1(VALU_DEP_1)
	v_and_b32_e32 v6, 0x7f800000, v7
	v_cmp_ne_u32_e64 s1, 0x7f800000, v6
                                        ; implicit-def: $vgpr6
	s_delay_alu instid0(VALU_DEP_1) | instskip(NEXT) | instid1(SALU_CYCLE_1)
	s_and_saveexec_b32 s12, s1
	s_xor_b32 s1, exec_lo, s12
; %bb.1141:                             ;   in Loop: Header=BB426_756 Depth=1
	v_bfe_u32 v6, v7, 16, 1
	s_delay_alu instid0(VALU_DEP_1)
	v_add3_u32 v6, v7, v6, 0x7fff
                                        ; implicit-def: $vgpr7
; %bb.1142:                             ;   in Loop: Header=BB426_756 Depth=1
	s_and_not1_saveexec_b32 s12, s1
; %bb.1143:                             ;   in Loop: Header=BB426_756 Depth=1
	v_and_b32_e32 v6, 0xffff, v7
	v_or_b32_e32 v9, 0x10000, v7
	s_delay_alu instid0(VALU_DEP_2) | instskip(NEXT) | instid1(VALU_DEP_1)
	v_cmp_eq_u32_e64 s1, 0, v6
	v_cndmask_b32_e64 v6, v9, v7, s1
; %bb.1144:                             ;   in Loop: Header=BB426_756 Depth=1
	s_or_b32 exec_lo, exec_lo, s12
	v_lshrrev_b32_e32 v8, 16, v8
	v_lshrrev_b32_e32 v9, 16, v103
	;; [unrolled: 1-line block ×8, first 2 shown]
	s_and_saveexec_b32 s12, s0
	s_cbranch_execz .LBB426_1146
; %bb.1145:                             ;   in Loop: Header=BB426_756 Depth=1
	v_add_nc_u32_e32 v102, -6, v48
	v_cmp_lt_i32_e64 s1, v66, v32
	v_add_nc_u32_e32 v103, -5, v48
	v_add_nc_u32_e32 v112, -2, v48
	s_delay_alu instid0(VALU_DEP_3) | instskip(SKIP_2) | instid1(VALU_DEP_2)
	v_cndmask_b32_e64 v99, 0, v99, s1
	v_cmp_lt_i32_e64 s1, v102, v32
	v_add_nc_u32_e32 v102, -4, v48
	v_cndmask_b32_e64 v100, 0, v100, s1
	v_cmp_lt_i32_e64 s1, v103, v32
	v_add_nc_u32_e32 v103, -3, v48
	s_delay_alu instid0(VALU_DEP_2) | instskip(SKIP_2) | instid1(VALU_DEP_2)
	v_cndmask_b32_e64 v101, 0, v101, s1
	v_cmp_lt_i32_e64 s1, v102, v32
	v_add_nc_u32_e32 v102, -1, v48
	v_cndmask_b32_e64 v12, 0, v12, s1
	v_cmp_lt_i32_e64 s1, v103, v32
	s_delay_alu instid0(VALU_DEP_1) | instskip(SKIP_1) | instid1(VALU_DEP_1)
	v_cndmask_b32_e64 v9, 0, v9, s1
	v_cmp_lt_i32_e64 s1, v112, v32
	v_cndmask_b32_e64 v8, 0, v8, s1
	v_cmp_lt_i32_e64 s1, v102, v32
	s_delay_alu instid0(VALU_DEP_1) | instskip(SKIP_1) | instid1(VALU_DEP_1)
	v_cndmask_b32_e64 v7, 0, v7, s1
	v_cmp_lt_i32_e64 s1, v48, v32
	v_cndmask_b32_e64 v6, 0, v6, s1
.LBB426_1146:                           ;   in Loop: Header=BB426_756 Depth=1
	s_or_b32 exec_lo, exec_lo, s12
	v_lshlrev_b32_e32 v99, 16, v99
	s_delay_alu instid0(VALU_DEP_1) | instskip(NEXT) | instid1(VALU_DEP_1)
	v_mul_f32_e32 v102, v67, v99
	v_and_b32_e32 v99, 0x7f800000, v102
	s_delay_alu instid0(VALU_DEP_1) | instskip(NEXT) | instid1(VALU_DEP_1)
	v_cmp_ne_u32_e64 s1, 0x7f800000, v99
                                        ; implicit-def: $vgpr99
	s_and_saveexec_b32 s12, s1
	s_delay_alu instid0(SALU_CYCLE_1)
	s_xor_b32 s1, exec_lo, s12
; %bb.1147:                             ;   in Loop: Header=BB426_756 Depth=1
	v_bfe_u32 v99, v102, 16, 1
	s_delay_alu instid0(VALU_DEP_1)
	v_add3_u32 v99, v102, v99, 0x7fff
                                        ; implicit-def: $vgpr102
; %bb.1148:                             ;   in Loop: Header=BB426_756 Depth=1
	s_and_not1_saveexec_b32 s12, s1
; %bb.1149:                             ;   in Loop: Header=BB426_756 Depth=1
	v_and_b32_e32 v99, 0xffff, v102
	v_or_b32_e32 v103, 0x10000, v102
	s_delay_alu instid0(VALU_DEP_2) | instskip(NEXT) | instid1(VALU_DEP_1)
	v_cmp_eq_u32_e64 s1, 0, v99
	v_cndmask_b32_e64 v99, v103, v102, s1
; %bb.1150:                             ;   in Loop: Header=BB426_756 Depth=1
	s_or_b32 exec_lo, exec_lo, s12
	v_lshlrev_b32_e32 v100, 16, v100
	s_delay_alu instid0(VALU_DEP_1) | instskip(NEXT) | instid1(VALU_DEP_1)
	v_mul_f32_e32 v102, v68, v100
	v_and_b32_e32 v100, 0x7f800000, v102
	s_delay_alu instid0(VALU_DEP_1) | instskip(NEXT) | instid1(VALU_DEP_1)
	v_cmp_ne_u32_e64 s1, 0x7f800000, v100
                                        ; implicit-def: $vgpr100
	s_and_saveexec_b32 s12, s1
	s_delay_alu instid0(SALU_CYCLE_1)
	s_xor_b32 s1, exec_lo, s12
; %bb.1151:                             ;   in Loop: Header=BB426_756 Depth=1
	v_bfe_u32 v100, v102, 16, 1
	s_delay_alu instid0(VALU_DEP_1)
	v_add3_u32 v100, v102, v100, 0x7fff
                                        ; implicit-def: $vgpr102
; %bb.1152:                             ;   in Loop: Header=BB426_756 Depth=1
	s_and_not1_saveexec_b32 s12, s1
; %bb.1153:                             ;   in Loop: Header=BB426_756 Depth=1
	v_and_b32_e32 v100, 0xffff, v102
	v_or_b32_e32 v103, 0x10000, v102
	s_delay_alu instid0(VALU_DEP_2) | instskip(NEXT) | instid1(VALU_DEP_1)
	v_cmp_eq_u32_e64 s1, 0, v100
	v_cndmask_b32_e64 v100, v103, v102, s1
; %bb.1154:                             ;   in Loop: Header=BB426_756 Depth=1
	s_or_b32 exec_lo, exec_lo, s12
	v_lshlrev_b32_e32 v101, 16, v101
	s_delay_alu instid0(VALU_DEP_1) | instskip(NEXT) | instid1(VALU_DEP_1)
	v_mul_f32_e32 v102, v69, v101
	v_and_b32_e32 v101, 0x7f800000, v102
	s_delay_alu instid0(VALU_DEP_1) | instskip(NEXT) | instid1(VALU_DEP_1)
	v_cmp_ne_u32_e64 s1, 0x7f800000, v101
                                        ; implicit-def: $vgpr101
	s_and_saveexec_b32 s12, s1
	s_delay_alu instid0(SALU_CYCLE_1)
	s_xor_b32 s1, exec_lo, s12
; %bb.1155:                             ;   in Loop: Header=BB426_756 Depth=1
	v_bfe_u32 v101, v102, 16, 1
	s_delay_alu instid0(VALU_DEP_1)
	v_add3_u32 v101, v102, v101, 0x7fff
                                        ; implicit-def: $vgpr102
; %bb.1156:                             ;   in Loop: Header=BB426_756 Depth=1
	s_and_not1_saveexec_b32 s12, s1
; %bb.1157:                             ;   in Loop: Header=BB426_756 Depth=1
	v_and_b32_e32 v101, 0xffff, v102
	v_or_b32_e32 v103, 0x10000, v102
	s_delay_alu instid0(VALU_DEP_2) | instskip(NEXT) | instid1(VALU_DEP_1)
	v_cmp_eq_u32_e64 s1, 0, v101
	v_cndmask_b32_e64 v101, v103, v102, s1
; %bb.1158:                             ;   in Loop: Header=BB426_756 Depth=1
	s_or_b32 exec_lo, exec_lo, s12
	v_lshlrev_b32_e32 v12, 16, v12
	s_delay_alu instid0(VALU_DEP_1) | instskip(NEXT) | instid1(VALU_DEP_1)
	v_mul_f32_e32 v12, v70, v12
	v_and_b32_e32 v102, 0x7f800000, v12
	s_delay_alu instid0(VALU_DEP_1) | instskip(NEXT) | instid1(VALU_DEP_1)
	v_cmp_ne_u32_e64 s1, 0x7f800000, v102
                                        ; implicit-def: $vgpr102
	s_and_saveexec_b32 s12, s1
	s_delay_alu instid0(SALU_CYCLE_1)
	s_xor_b32 s1, exec_lo, s12
; %bb.1159:                             ;   in Loop: Header=BB426_756 Depth=1
	v_bfe_u32 v102, v12, 16, 1
	s_delay_alu instid0(VALU_DEP_1)
	v_add3_u32 v102, v12, v102, 0x7fff
                                        ; implicit-def: $vgpr12
; %bb.1160:                             ;   in Loop: Header=BB426_756 Depth=1
	s_and_not1_saveexec_b32 s12, s1
; %bb.1161:                             ;   in Loop: Header=BB426_756 Depth=1
	v_and_b32_e32 v102, 0xffff, v12
	v_or_b32_e32 v103, 0x10000, v12
	s_delay_alu instid0(VALU_DEP_2) | instskip(NEXT) | instid1(VALU_DEP_1)
	v_cmp_eq_u32_e64 s1, 0, v102
	v_cndmask_b32_e64 v102, v103, v12, s1
; %bb.1162:                             ;   in Loop: Header=BB426_756 Depth=1
	s_or_b32 exec_lo, exec_lo, s12
	v_lshlrev_b32_e32 v9, 16, v9
                                        ; implicit-def: $vgpr103
	s_delay_alu instid0(VALU_DEP_1) | instskip(NEXT) | instid1(VALU_DEP_1)
	v_mul_f32_e32 v9, v71, v9
	v_and_b32_e32 v12, 0x7f800000, v9
	s_delay_alu instid0(VALU_DEP_1) | instskip(NEXT) | instid1(VALU_DEP_1)
	v_cmp_ne_u32_e64 s1, 0x7f800000, v12
	s_and_saveexec_b32 s12, s1
	s_delay_alu instid0(SALU_CYCLE_1)
	s_xor_b32 s1, exec_lo, s12
; %bb.1163:                             ;   in Loop: Header=BB426_756 Depth=1
	v_bfe_u32 v12, v9, 16, 1
	s_delay_alu instid0(VALU_DEP_1)
	v_add3_u32 v103, v9, v12, 0x7fff
                                        ; implicit-def: $vgpr9
; %bb.1164:                             ;   in Loop: Header=BB426_756 Depth=1
	s_and_not1_saveexec_b32 s12, s1
; %bb.1165:                             ;   in Loop: Header=BB426_756 Depth=1
	v_and_b32_e32 v12, 0xffff, v9
	v_or_b32_e32 v103, 0x10000, v9
	s_delay_alu instid0(VALU_DEP_2) | instskip(NEXT) | instid1(VALU_DEP_1)
	v_cmp_eq_u32_e64 s1, 0, v12
	v_cndmask_b32_e64 v103, v103, v9, s1
; %bb.1166:                             ;   in Loop: Header=BB426_756 Depth=1
	s_or_b32 exec_lo, exec_lo, s12
	v_lshlrev_b32_e32 v8, 16, v8
                                        ; implicit-def: $vgpr112
	s_delay_alu instid0(VALU_DEP_1) | instskip(NEXT) | instid1(VALU_DEP_1)
	v_mul_f32_e32 v8, v80, v8
	v_and_b32_e32 v9, 0x7f800000, v8
	s_delay_alu instid0(VALU_DEP_1) | instskip(NEXT) | instid1(VALU_DEP_1)
	v_cmp_ne_u32_e64 s1, 0x7f800000, v9
	s_and_saveexec_b32 s12, s1
	s_delay_alu instid0(SALU_CYCLE_1)
	s_xor_b32 s1, exec_lo, s12
; %bb.1167:                             ;   in Loop: Header=BB426_756 Depth=1
	v_bfe_u32 v9, v8, 16, 1
	s_delay_alu instid0(VALU_DEP_1)
	v_add3_u32 v112, v8, v9, 0x7fff
                                        ; implicit-def: $vgpr8
; %bb.1168:                             ;   in Loop: Header=BB426_756 Depth=1
	s_and_not1_saveexec_b32 s12, s1
; %bb.1169:                             ;   in Loop: Header=BB426_756 Depth=1
	v_and_b32_e32 v9, 0xffff, v8
	v_or_b32_e32 v12, 0x10000, v8
	s_delay_alu instid0(VALU_DEP_2) | instskip(NEXT) | instid1(VALU_DEP_1)
	v_cmp_eq_u32_e64 s1, 0, v9
	v_cndmask_b32_e64 v112, v12, v8, s1
; %bb.1170:                             ;   in Loop: Header=BB426_756 Depth=1
	s_or_b32 exec_lo, exec_lo, s12
	v_lshlrev_b32_e32 v7, 16, v7
                                        ; implicit-def: $vgpr113
	s_delay_alu instid0(VALU_DEP_1) | instskip(NEXT) | instid1(VALU_DEP_1)
	v_mul_f32_e32 v7, v81, v7
	v_and_b32_e32 v8, 0x7f800000, v7
	s_delay_alu instid0(VALU_DEP_1) | instskip(NEXT) | instid1(VALU_DEP_1)
	v_cmp_ne_u32_e64 s1, 0x7f800000, v8
	s_and_saveexec_b32 s12, s1
	s_delay_alu instid0(SALU_CYCLE_1)
	s_xor_b32 s1, exec_lo, s12
; %bb.1171:                             ;   in Loop: Header=BB426_756 Depth=1
	v_bfe_u32 v8, v7, 16, 1
	s_delay_alu instid0(VALU_DEP_1)
	v_add3_u32 v113, v7, v8, 0x7fff
                                        ; implicit-def: $vgpr7
; %bb.1172:                             ;   in Loop: Header=BB426_756 Depth=1
	s_and_not1_saveexec_b32 s12, s1
; %bb.1173:                             ;   in Loop: Header=BB426_756 Depth=1
	v_and_b32_e32 v8, 0xffff, v7
	v_or_b32_e32 v9, 0x10000, v7
	s_delay_alu instid0(VALU_DEP_2) | instskip(NEXT) | instid1(VALU_DEP_1)
	v_cmp_eq_u32_e64 s1, 0, v8
	v_cndmask_b32_e64 v113, v9, v7, s1
; %bb.1174:                             ;   in Loop: Header=BB426_756 Depth=1
	s_or_b32 exec_lo, exec_lo, s12
	v_lshlrev_b32_e32 v6, 16, v6
                                        ; implicit-def: $vgpr114
	s_delay_alu instid0(VALU_DEP_1) | instskip(NEXT) | instid1(VALU_DEP_1)
	v_mul_f32_e32 v6, v82, v6
	v_and_b32_e32 v7, 0x7f800000, v6
	s_delay_alu instid0(VALU_DEP_1) | instskip(NEXT) | instid1(VALU_DEP_1)
	v_cmp_ne_u32_e64 s1, 0x7f800000, v7
	s_and_saveexec_b32 s12, s1
	s_delay_alu instid0(SALU_CYCLE_1)
	s_xor_b32 s1, exec_lo, s12
; %bb.1175:                             ;   in Loop: Header=BB426_756 Depth=1
	v_bfe_u32 v7, v6, 16, 1
	s_delay_alu instid0(VALU_DEP_1)
	v_add3_u32 v114, v6, v7, 0x7fff
                                        ; implicit-def: $vgpr6
; %bb.1176:                             ;   in Loop: Header=BB426_756 Depth=1
	s_and_not1_saveexec_b32 s12, s1
; %bb.1177:                             ;   in Loop: Header=BB426_756 Depth=1
	v_and_b32_e32 v7, 0xffff, v6
	v_or_b32_e32 v8, 0x10000, v6
	s_delay_alu instid0(VALU_DEP_2) | instskip(NEXT) | instid1(VALU_DEP_1)
	v_cmp_eq_u32_e64 s1, 0, v7
	v_cndmask_b32_e64 v114, v8, v6, s1
; %bb.1178:                             ;   in Loop: Header=BB426_756 Depth=1
	s_or_b32 exec_lo, exec_lo, s12
	flat_load_b64 v[6:7], v[2:3] offset:768
	s_mov_b32 s12, exec_lo
	s_waitcnt vmcnt(0) lgkmcnt(0)
	v_dual_mov_b32 v8, 0 :: v_dual_and_b32 v9, 0xff, v6
	s_delay_alu instid0(VALU_DEP_1)
	v_cmpx_ne_u16_e32 0, v9
	s_cbranch_execz .LBB426_1186
; %bb.1179:                             ;   in Loop: Header=BB426_756 Depth=1
	v_bfrev_b32_e32 v8, 1
	s_mov_b32 s13, exec_lo
	v_cmpx_ne_u16_e32 0x80, v9
	s_cbranch_execz .LBB426_1185
; %bb.1180:                             ;   in Loop: Header=BB426_756 Depth=1
	v_and_b32_e32 v9, 0x7f, v6
	v_mov_b32_e32 v8, 0x7f800001
	s_mov_b32 s15, exec_lo
	s_delay_alu instid0(VALU_DEP_2)
	v_cmpx_ne_u32_e32 0x7f, v9
	s_cbranch_execz .LBB426_1184
; %bb.1181:                             ;   in Loop: Header=BB426_756 Depth=1
	v_lshrrev_b32_e32 v12, 3, v9
	v_cmp_gt_u32_e64 s1, 8, v9
	v_dual_mov_b32 v9, v7 :: v_dual_mov_b32 v8, v6
	s_delay_alu instid0(VALU_DEP_2)
	s_and_saveexec_b32 s16, s1
; %bb.1182:                             ;   in Loop: Header=BB426_756 Depth=1
	v_and_b32_e32 v8, 7, v6
	s_delay_alu instid0(VALU_DEP_1) | instskip(NEXT) | instid1(VALU_DEP_1)
	v_clz_i32_u32_e32 v8, v8
	v_min_u32_e32 v12, 32, v8
	s_delay_alu instid0(VALU_DEP_1) | instskip(SKIP_1) | instid1(VALU_DEP_2)
	v_subrev_nc_u32_e32 v8, 28, v12
	v_sub_nc_u32_e32 v12, 29, v12
	v_lshlrev_b64 v[8:9], v8, v[6:7]
; %bb.1183:                             ;   in Loop: Header=BB426_756 Depth=1
	s_or_b32 exec_lo, exec_lo, s16
	s_delay_alu instid0(VALU_DEP_1) | instskip(SKIP_2) | instid1(VALU_DEP_3)
	v_lshlrev_b32_e32 v8, 20, v8
	v_lshlrev_b32_e32 v9, 24, v6
	v_lshl_add_u32 v12, v12, 23, 0x3c000000
	v_and_b32_e32 v8, 0x700000, v8
	s_delay_alu instid0(VALU_DEP_3) | instskip(NEXT) | instid1(VALU_DEP_1)
	v_and_b32_e32 v9, 0x80000000, v9
	v_or3_b32 v8, v8, v9, v12
.LBB426_1184:                           ;   in Loop: Header=BB426_756 Depth=1
	s_or_b32 exec_lo, exec_lo, s15
.LBB426_1185:                           ;   in Loop: Header=BB426_756 Depth=1
	s_delay_alu instid0(SALU_CYCLE_1)
	s_or_b32 exec_lo, exec_lo, s13
.LBB426_1186:                           ;   in Loop: Header=BB426_756 Depth=1
	s_delay_alu instid0(SALU_CYCLE_1) | instskip(NEXT) | instid1(VALU_DEP_1)
	s_or_b32 exec_lo, exec_lo, s12
	v_mul_f32_e32 v8, v37, v8
                                        ; implicit-def: $vgpr115
	s_delay_alu instid0(VALU_DEP_1) | instskip(NEXT) | instid1(VALU_DEP_1)
	v_and_b32_e32 v9, 0x7f800000, v8
	v_cmp_ne_u32_e64 s1, 0x7f800000, v9
	s_delay_alu instid0(VALU_DEP_1) | instskip(NEXT) | instid1(SALU_CYCLE_1)
	s_and_saveexec_b32 s12, s1
	s_xor_b32 s1, exec_lo, s12
; %bb.1187:                             ;   in Loop: Header=BB426_756 Depth=1
	v_bfe_u32 v9, v8, 16, 1
	s_delay_alu instid0(VALU_DEP_1)
	v_add3_u32 v115, v8, v9, 0x7fff
                                        ; implicit-def: $vgpr8
; %bb.1188:                             ;   in Loop: Header=BB426_756 Depth=1
	s_and_not1_saveexec_b32 s12, s1
; %bb.1189:                             ;   in Loop: Header=BB426_756 Depth=1
	v_and_b32_e32 v9, 0xffff, v8
	v_or_b32_e32 v12, 0x10000, v8
	s_delay_alu instid0(VALU_DEP_2) | instskip(NEXT) | instid1(VALU_DEP_1)
	v_cmp_eq_u32_e64 s1, 0, v9
	v_cndmask_b32_e64 v115, v12, v8, s1
; %bb.1190:                             ;   in Loop: Header=BB426_756 Depth=1
	s_or_b32 exec_lo, exec_lo, s12
	v_lshrrev_b16 v9, 8, v6
	v_mov_b32_e32 v8, 0
	s_mov_b32 s12, exec_lo
	s_delay_alu instid0(VALU_DEP_2)
	v_cmpx_ne_u16_e32 0, v9
	s_cbranch_execz .LBB426_1198
; %bb.1191:                             ;   in Loop: Header=BB426_756 Depth=1
	v_bfrev_b32_e32 v8, 1
	s_mov_b32 s13, exec_lo
	v_cmpx_ne_u16_e32 0x80, v9
	s_cbranch_execz .LBB426_1197
; %bb.1192:                             ;   in Loop: Header=BB426_756 Depth=1
	v_and_b32_e32 v12, 0xffff, v9
	v_mov_b32_e32 v8, 0x7f800001
	s_mov_b32 s15, exec_lo
	s_delay_alu instid0(VALU_DEP_2) | instskip(NEXT) | instid1(VALU_DEP_1)
	v_and_b32_e32 v9, 0x7f, v12
	v_cmpx_ne_u32_e32 0x7f, v9
	s_cbranch_execz .LBB426_1196
; %bb.1193:                             ;   in Loop: Header=BB426_756 Depth=1
	v_and_b32_e32 v12, 7, v12
	v_lshrrev_b32_e32 v8, 3, v9
	s_mov_b32 s16, exec_lo
	v_cmpx_gt_u32_e32 8, v9
; %bb.1194:                             ;   in Loop: Header=BB426_756 Depth=1
	s_delay_alu instid0(VALU_DEP_3) | instskip(NEXT) | instid1(VALU_DEP_1)
	v_clz_i32_u32_e32 v8, v12
	v_min_u32_e32 v8, 32, v8
	s_delay_alu instid0(VALU_DEP_1) | instskip(SKIP_1) | instid1(VALU_DEP_2)
	v_subrev_nc_u32_e32 v9, 28, v8
	v_sub_nc_u32_e32 v8, 29, v8
	v_lshlrev_b64 v[116:117], v9, v[12:13]
	s_delay_alu instid0(VALU_DEP_1)
	v_and_b32_e32 v12, 7, v116
; %bb.1195:                             ;   in Loop: Header=BB426_756 Depth=1
	s_or_b32 exec_lo, exec_lo, s16
	v_lshlrev_b32_e32 v9, 16, v6
	s_delay_alu instid0(VALU_DEP_2) | instskip(SKIP_1) | instid1(VALU_DEP_3)
	v_lshlrev_b32_e32 v12, 20, v12
	v_lshl_add_u32 v8, v8, 23, 0x3c000000
	v_and_b32_e32 v9, 0x80000000, v9
	s_delay_alu instid0(VALU_DEP_1)
	v_or3_b32 v8, v12, v9, v8
.LBB426_1196:                           ;   in Loop: Header=BB426_756 Depth=1
	s_or_b32 exec_lo, exec_lo, s15
.LBB426_1197:                           ;   in Loop: Header=BB426_756 Depth=1
	s_delay_alu instid0(SALU_CYCLE_1)
	s_or_b32 exec_lo, exec_lo, s13
.LBB426_1198:                           ;   in Loop: Header=BB426_756 Depth=1
	s_delay_alu instid0(SALU_CYCLE_1) | instskip(NEXT) | instid1(VALU_DEP_1)
	s_or_b32 exec_lo, exec_lo, s12
	v_mul_f32_e32 v8, v37, v8
                                        ; implicit-def: $vgpr116
	s_delay_alu instid0(VALU_DEP_1) | instskip(NEXT) | instid1(VALU_DEP_1)
	v_and_b32_e32 v9, 0x7f800000, v8
	v_cmp_ne_u32_e64 s1, 0x7f800000, v9
	s_delay_alu instid0(VALU_DEP_1) | instskip(NEXT) | instid1(SALU_CYCLE_1)
	s_and_saveexec_b32 s12, s1
	s_xor_b32 s1, exec_lo, s12
; %bb.1199:                             ;   in Loop: Header=BB426_756 Depth=1
	v_bfe_u32 v9, v8, 16, 1
	s_delay_alu instid0(VALU_DEP_1)
	v_add3_u32 v116, v8, v9, 0x7fff
                                        ; implicit-def: $vgpr8
; %bb.1200:                             ;   in Loop: Header=BB426_756 Depth=1
	s_and_not1_saveexec_b32 s12, s1
; %bb.1201:                             ;   in Loop: Header=BB426_756 Depth=1
	v_and_b32_e32 v9, 0xffff, v8
	v_or_b32_e32 v12, 0x10000, v8
	s_delay_alu instid0(VALU_DEP_2) | instskip(NEXT) | instid1(VALU_DEP_1)
	v_cmp_eq_u32_e64 s1, 0, v9
	v_cndmask_b32_e64 v116, v12, v8, s1
; %bb.1202:                             ;   in Loop: Header=BB426_756 Depth=1
	s_or_b32 exec_lo, exec_lo, s12
	v_lshrrev_b32_e32 v8, 16, v6
	s_mov_b32 s12, exec_lo
	s_delay_alu instid0(VALU_DEP_1) | instskip(NEXT) | instid1(VALU_DEP_1)
	v_dual_mov_b32 v9, 0 :: v_dual_and_b32 v12, 0xff, v8
	v_cmpx_ne_u16_e32 0, v12
	s_cbranch_execz .LBB426_1210
; %bb.1203:                             ;   in Loop: Header=BB426_756 Depth=1
	v_bfrev_b32_e32 v9, 1
	s_mov_b32 s13, exec_lo
	v_cmpx_ne_u16_e32 0x80, v12
	s_cbranch_execz .LBB426_1209
; %bb.1204:                             ;   in Loop: Header=BB426_756 Depth=1
	v_bfe_u32 v117, v6, 16, 7
	v_mov_b32_e32 v9, 0x7f800001
	s_mov_b32 s15, exec_lo
	s_delay_alu instid0(VALU_DEP_2)
	v_cmpx_ne_u32_e32 0x7f, v117
	s_cbranch_execz .LBB426_1208
; %bb.1205:                             ;   in Loop: Header=BB426_756 Depth=1
	v_and_b32_e32 v12, 7, v8
	v_lshrrev_b32_e32 v9, 3, v117
	s_mov_b32 s16, exec_lo
	v_cmpx_gt_u32_e32 8, v117
; %bb.1206:                             ;   in Loop: Header=BB426_756 Depth=1
	s_delay_alu instid0(VALU_DEP_3) | instskip(NEXT) | instid1(VALU_DEP_1)
	v_clz_i32_u32_e32 v9, v12
	v_min_u32_e32 v9, 32, v9
	s_delay_alu instid0(VALU_DEP_1) | instskip(SKIP_1) | instid1(VALU_DEP_2)
	v_subrev_nc_u32_e32 v117, 28, v9
	v_sub_nc_u32_e32 v9, 29, v9
	v_lshlrev_b64 v[117:118], v117, v[12:13]
	s_delay_alu instid0(VALU_DEP_1)
	v_and_b32_e32 v12, 7, v117
; %bb.1207:                             ;   in Loop: Header=BB426_756 Depth=1
	s_or_b32 exec_lo, exec_lo, s16
	v_lshlrev_b32_e32 v8, 24, v8
	s_delay_alu instid0(VALU_DEP_2) | instskip(SKIP_1) | instid1(VALU_DEP_3)
	v_lshlrev_b32_e32 v12, 20, v12
	v_lshl_add_u32 v9, v9, 23, 0x3c000000
	v_and_b32_e32 v8, 0x80000000, v8
	s_delay_alu instid0(VALU_DEP_1)
	v_or3_b32 v9, v12, v8, v9
.LBB426_1208:                           ;   in Loop: Header=BB426_756 Depth=1
	s_or_b32 exec_lo, exec_lo, s15
.LBB426_1209:                           ;   in Loop: Header=BB426_756 Depth=1
	s_delay_alu instid0(SALU_CYCLE_1)
	s_or_b32 exec_lo, exec_lo, s13
.LBB426_1210:                           ;   in Loop: Header=BB426_756 Depth=1
	s_delay_alu instid0(SALU_CYCLE_1) | instskip(NEXT) | instid1(VALU_DEP_1)
	s_or_b32 exec_lo, exec_lo, s12
	v_mul_f32_e32 v8, v37, v9
                                        ; implicit-def: $vgpr117
	s_delay_alu instid0(VALU_DEP_1) | instskip(NEXT) | instid1(VALU_DEP_1)
	v_and_b32_e32 v9, 0x7f800000, v8
	v_cmp_ne_u32_e64 s1, 0x7f800000, v9
	s_delay_alu instid0(VALU_DEP_1) | instskip(NEXT) | instid1(SALU_CYCLE_1)
	s_and_saveexec_b32 s12, s1
	s_xor_b32 s1, exec_lo, s12
; %bb.1211:                             ;   in Loop: Header=BB426_756 Depth=1
	v_bfe_u32 v9, v8, 16, 1
	s_delay_alu instid0(VALU_DEP_1)
	v_add3_u32 v117, v8, v9, 0x7fff
                                        ; implicit-def: $vgpr8
; %bb.1212:                             ;   in Loop: Header=BB426_756 Depth=1
	s_and_not1_saveexec_b32 s12, s1
; %bb.1213:                             ;   in Loop: Header=BB426_756 Depth=1
	v_and_b32_e32 v9, 0xffff, v8
	v_or_b32_e32 v12, 0x10000, v8
	s_delay_alu instid0(VALU_DEP_2) | instskip(NEXT) | instid1(VALU_DEP_1)
	v_cmp_eq_u32_e64 s1, 0, v9
	v_cndmask_b32_e64 v117, v12, v8, s1
; %bb.1214:                             ;   in Loop: Header=BB426_756 Depth=1
	s_or_b32 exec_lo, exec_lo, s12
	v_mov_b32_e32 v9, 0
	s_mov_b32 s12, exec_lo
	v_cmpx_lt_u32_e32 0xffffff, v6
	s_cbranch_execz .LBB426_1222
; %bb.1215:                             ;   in Loop: Header=BB426_756 Depth=1
	v_lshrrev_b32_e32 v8, 24, v6
	v_bfrev_b32_e32 v9, 1
	s_mov_b32 s13, exec_lo
	s_delay_alu instid0(VALU_DEP_2)
	v_cmpx_ne_u32_e32 0x80, v8
	s_cbranch_execz .LBB426_1221
; %bb.1216:                             ;   in Loop: Header=BB426_756 Depth=1
	v_bfe_u32 v118, v6, 24, 7
	v_mov_b32_e32 v9, 0x7f800001
	s_mov_b32 s15, exec_lo
	s_delay_alu instid0(VALU_DEP_2)
	v_cmpx_ne_u32_e32 0x7f, v118
	s_cbranch_execz .LBB426_1220
; %bb.1217:                             ;   in Loop: Header=BB426_756 Depth=1
	v_and_b32_e32 v12, 7, v8
	v_lshrrev_b32_e32 v9, 3, v118
	s_mov_b32 s16, exec_lo
	v_cmpx_gt_u32_e32 8, v118
; %bb.1218:                             ;   in Loop: Header=BB426_756 Depth=1
	s_delay_alu instid0(VALU_DEP_3) | instskip(NEXT) | instid1(VALU_DEP_1)
	v_clz_i32_u32_e32 v9, v12
	v_min_u32_e32 v9, 32, v9
	s_delay_alu instid0(VALU_DEP_1) | instskip(SKIP_1) | instid1(VALU_DEP_2)
	v_subrev_nc_u32_e32 v118, 28, v9
	v_sub_nc_u32_e32 v9, 29, v9
	v_lshlrev_b64 v[118:119], v118, v[12:13]
	s_delay_alu instid0(VALU_DEP_1)
	v_and_b32_e32 v12, 7, v118
; %bb.1219:                             ;   in Loop: Header=BB426_756 Depth=1
	s_or_b32 exec_lo, exec_lo, s16
	v_lshlrev_b32_e32 v8, 24, v8
	s_delay_alu instid0(VALU_DEP_2) | instskip(SKIP_1) | instid1(VALU_DEP_3)
	v_lshlrev_b32_e32 v12, 20, v12
	v_lshl_add_u32 v9, v9, 23, 0x3c000000
	v_and_b32_e32 v8, 0x80000000, v8
	s_delay_alu instid0(VALU_DEP_1)
	v_or3_b32 v9, v12, v8, v9
.LBB426_1220:                           ;   in Loop: Header=BB426_756 Depth=1
	s_or_b32 exec_lo, exec_lo, s15
.LBB426_1221:                           ;   in Loop: Header=BB426_756 Depth=1
	s_delay_alu instid0(SALU_CYCLE_1)
	s_or_b32 exec_lo, exec_lo, s13
.LBB426_1222:                           ;   in Loop: Header=BB426_756 Depth=1
	s_delay_alu instid0(SALU_CYCLE_1) | instskip(NEXT) | instid1(VALU_DEP_1)
	s_or_b32 exec_lo, exec_lo, s12
	v_mul_f32_e32 v8, v37, v9
                                        ; implicit-def: $vgpr118
	s_delay_alu instid0(VALU_DEP_1) | instskip(NEXT) | instid1(VALU_DEP_1)
	v_and_b32_e32 v9, 0x7f800000, v8
	v_cmp_ne_u32_e64 s1, 0x7f800000, v9
	s_delay_alu instid0(VALU_DEP_1) | instskip(NEXT) | instid1(SALU_CYCLE_1)
	s_and_saveexec_b32 s12, s1
	s_xor_b32 s1, exec_lo, s12
; %bb.1223:                             ;   in Loop: Header=BB426_756 Depth=1
	v_bfe_u32 v9, v8, 16, 1
	s_delay_alu instid0(VALU_DEP_1)
	v_add3_u32 v118, v8, v9, 0x7fff
                                        ; implicit-def: $vgpr8
; %bb.1224:                             ;   in Loop: Header=BB426_756 Depth=1
	s_and_not1_saveexec_b32 s12, s1
; %bb.1225:                             ;   in Loop: Header=BB426_756 Depth=1
	v_and_b32_e32 v9, 0xffff, v8
	v_or_b32_e32 v12, 0x10000, v8
	s_delay_alu instid0(VALU_DEP_2) | instskip(NEXT) | instid1(VALU_DEP_1)
	v_cmp_eq_u32_e64 s1, 0, v9
	v_cndmask_b32_e64 v118, v12, v8, s1
; %bb.1226:                             ;   in Loop: Header=BB426_756 Depth=1
	s_or_b32 exec_lo, exec_lo, s12
	v_dual_mov_b32 v12, v7 :: v_dual_and_b32 v9, 0xff, v7
	v_mov_b32_e32 v8, 0
	s_mov_b32 s12, exec_lo
	s_delay_alu instid0(VALU_DEP_2)
	v_cmpx_ne_u16_e32 0, v9
	s_cbranch_execz .LBB426_1234
; %bb.1227:                             ;   in Loop: Header=BB426_756 Depth=1
	v_bfrev_b32_e32 v8, 1
	s_mov_b32 s13, exec_lo
	v_cmpx_ne_u16_e32 0x80, v9
	s_cbranch_execz .LBB426_1233
; %bb.1228:                             ;   in Loop: Header=BB426_756 Depth=1
	v_and_b32_e32 v9, 0x7f, v7
	v_mov_b32_e32 v8, 0x7f800001
	s_mov_b32 s15, exec_lo
	s_delay_alu instid0(VALU_DEP_2)
	v_cmpx_ne_u32_e32 0x7f, v9
	s_cbranch_execz .LBB426_1232
; %bb.1229:                             ;   in Loop: Header=BB426_756 Depth=1
	v_lshrrev_b32_e32 v119, 3, v9
	v_cmp_gt_u32_e64 s1, 8, v9
	v_dual_mov_b32 v8, v12 :: v_dual_mov_b32 v9, v13
	s_delay_alu instid0(VALU_DEP_2)
	s_and_saveexec_b32 s16, s1
; %bb.1230:                             ;   in Loop: Header=BB426_756 Depth=1
	v_and_b32_e32 v8, 7, v7
	s_delay_alu instid0(VALU_DEP_1) | instskip(NEXT) | instid1(VALU_DEP_1)
	v_clz_i32_u32_e32 v8, v8
	v_min_u32_e32 v119, 32, v8
	s_delay_alu instid0(VALU_DEP_1) | instskip(SKIP_1) | instid1(VALU_DEP_2)
	v_subrev_nc_u32_e32 v8, 28, v119
	v_sub_nc_u32_e32 v119, 29, v119
	v_lshlrev_b64 v[8:9], v8, v[12:13]
; %bb.1231:                             ;   in Loop: Header=BB426_756 Depth=1
	s_or_b32 exec_lo, exec_lo, s16
	s_delay_alu instid0(VALU_DEP_1) | instskip(SKIP_2) | instid1(VALU_DEP_3)
	v_lshlrev_b32_e32 v8, 20, v8
	v_lshlrev_b32_e32 v9, 24, v12
	v_lshl_add_u32 v119, v119, 23, 0x3c000000
	v_and_b32_e32 v8, 0x700000, v8
	s_delay_alu instid0(VALU_DEP_3) | instskip(NEXT) | instid1(VALU_DEP_1)
	v_and_b32_e32 v9, 0x80000000, v9
	v_or3_b32 v8, v8, v9, v119
.LBB426_1232:                           ;   in Loop: Header=BB426_756 Depth=1
	s_or_b32 exec_lo, exec_lo, s15
.LBB426_1233:                           ;   in Loop: Header=BB426_756 Depth=1
	s_delay_alu instid0(SALU_CYCLE_1)
	s_or_b32 exec_lo, exec_lo, s13
.LBB426_1234:                           ;   in Loop: Header=BB426_756 Depth=1
	s_delay_alu instid0(SALU_CYCLE_1) | instskip(NEXT) | instid1(VALU_DEP_1)
	s_or_b32 exec_lo, exec_lo, s12
	v_mul_f32_e32 v8, v37, v8
                                        ; implicit-def: $vgpr119
	s_delay_alu instid0(VALU_DEP_1) | instskip(NEXT) | instid1(VALU_DEP_1)
	v_and_b32_e32 v9, 0x7f800000, v8
	v_cmp_ne_u32_e64 s1, 0x7f800000, v9
	s_delay_alu instid0(VALU_DEP_1) | instskip(NEXT) | instid1(SALU_CYCLE_1)
	s_and_saveexec_b32 s12, s1
	s_xor_b32 s1, exec_lo, s12
; %bb.1235:                             ;   in Loop: Header=BB426_756 Depth=1
	v_bfe_u32 v9, v8, 16, 1
	s_delay_alu instid0(VALU_DEP_1)
	v_add3_u32 v119, v8, v9, 0x7fff
                                        ; implicit-def: $vgpr8
; %bb.1236:                             ;   in Loop: Header=BB426_756 Depth=1
	s_and_not1_saveexec_b32 s12, s1
; %bb.1237:                             ;   in Loop: Header=BB426_756 Depth=1
	v_and_b32_e32 v9, 0xffff, v8
	v_or_b32_e32 v119, 0x10000, v8
	s_delay_alu instid0(VALU_DEP_2) | instskip(NEXT) | instid1(VALU_DEP_1)
	v_cmp_eq_u32_e64 s1, 0, v9
	v_cndmask_b32_e64 v119, v119, v8, s1
; %bb.1238:                             ;   in Loop: Header=BB426_756 Depth=1
	s_or_b32 exec_lo, exec_lo, s12
	v_lshrrev_b16 v9, 8, v12
	v_mov_b32_e32 v8, 0
	s_mov_b32 s12, exec_lo
	s_delay_alu instid0(VALU_DEP_2)
	v_cmpx_ne_u16_e32 0, v9
	s_cbranch_execz .LBB426_1246
; %bb.1239:                             ;   in Loop: Header=BB426_756 Depth=1
	v_bfrev_b32_e32 v8, 1
	s_mov_b32 s13, exec_lo
	v_cmpx_ne_u16_e32 0x80, v9
	s_cbranch_execz .LBB426_1245
; %bb.1240:                             ;   in Loop: Header=BB426_756 Depth=1
	v_and_b32_e32 v9, 0xffff, v9
	v_mov_b32_e32 v8, 0x7f800001
	s_mov_b32 s15, exec_lo
	s_delay_alu instid0(VALU_DEP_2) | instskip(NEXT) | instid1(VALU_DEP_1)
	v_and_b32_e32 v129, 0x7f, v9
	v_cmpx_ne_u32_e32 0x7f, v129
	s_cbranch_execz .LBB426_1244
; %bb.1241:                             ;   in Loop: Header=BB426_756 Depth=1
	v_dual_mov_b32 v9, v13 :: v_dual_and_b32 v8, 7, v9
	v_lshrrev_b32_e32 v128, 3, v129
	s_mov_b32 s16, exec_lo
	v_cmpx_gt_u32_e32 8, v129
; %bb.1242:                             ;   in Loop: Header=BB426_756 Depth=1
	s_delay_alu instid0(VALU_DEP_3) | instskip(NEXT) | instid1(VALU_DEP_1)
	v_clz_i32_u32_e32 v128, v8
	v_min_u32_e32 v128, 32, v128
	s_delay_alu instid0(VALU_DEP_1) | instskip(SKIP_1) | instid1(VALU_DEP_2)
	v_subrev_nc_u32_e32 v129, 28, v128
	v_sub_nc_u32_e32 v128, 29, v128
	v_lshlrev_b64 v[8:9], v129, v[8:9]
	s_delay_alu instid0(VALU_DEP_1)
	v_and_b32_e32 v8, 7, v8
; %bb.1243:                             ;   in Loop: Header=BB426_756 Depth=1
	s_or_b32 exec_lo, exec_lo, s16
	v_lshlrev_b32_e32 v9, 16, v12
	s_delay_alu instid0(VALU_DEP_2) | instskip(SKIP_1) | instid1(VALU_DEP_3)
	v_lshlrev_b32_e32 v8, 20, v8
	v_lshl_add_u32 v12, v128, 23, 0x3c000000
	v_and_b32_e32 v9, 0x80000000, v9
	s_delay_alu instid0(VALU_DEP_1)
	v_or3_b32 v8, v8, v9, v12
.LBB426_1244:                           ;   in Loop: Header=BB426_756 Depth=1
	s_or_b32 exec_lo, exec_lo, s15
.LBB426_1245:                           ;   in Loop: Header=BB426_756 Depth=1
	s_delay_alu instid0(SALU_CYCLE_1)
	s_or_b32 exec_lo, exec_lo, s13
.LBB426_1246:                           ;   in Loop: Header=BB426_756 Depth=1
	s_delay_alu instid0(SALU_CYCLE_1) | instskip(NEXT) | instid1(VALU_DEP_1)
	s_or_b32 exec_lo, exec_lo, s12
	v_mul_f32_e32 v9, v37, v8
	s_delay_alu instid0(VALU_DEP_1) | instskip(NEXT) | instid1(VALU_DEP_1)
	v_and_b32_e32 v8, 0x7f800000, v9
	v_cmp_ne_u32_e64 s1, 0x7f800000, v8
                                        ; implicit-def: $vgpr8
	s_delay_alu instid0(VALU_DEP_1) | instskip(NEXT) | instid1(SALU_CYCLE_1)
	s_and_saveexec_b32 s12, s1
	s_xor_b32 s1, exec_lo, s12
; %bb.1247:                             ;   in Loop: Header=BB426_756 Depth=1
	v_bfe_u32 v8, v9, 16, 1
	s_delay_alu instid0(VALU_DEP_1)
	v_add3_u32 v8, v9, v8, 0x7fff
                                        ; implicit-def: $vgpr9
; %bb.1248:                             ;   in Loop: Header=BB426_756 Depth=1
	s_and_not1_saveexec_b32 s12, s1
; %bb.1249:                             ;   in Loop: Header=BB426_756 Depth=1
	v_and_b32_e32 v8, 0xffff, v9
	v_or_b32_e32 v12, 0x10000, v9
	s_delay_alu instid0(VALU_DEP_2) | instskip(NEXT) | instid1(VALU_DEP_1)
	v_cmp_eq_u32_e64 s1, 0, v8
	v_cndmask_b32_e64 v8, v12, v9, s1
; %bb.1250:                             ;   in Loop: Header=BB426_756 Depth=1
	s_or_b32 exec_lo, exec_lo, s12
	v_lshrrev_b32_e32 v9, 16, v7
	v_mov_b32_e32 v12, 0
	s_mov_b32 s12, exec_lo
	s_delay_alu instid0(VALU_DEP_2) | instskip(NEXT) | instid1(VALU_DEP_1)
	v_and_b32_e32 v128, 0xff, v9
	v_cmpx_ne_u16_e64 0, v128
	s_cbranch_execz .LBB426_1258
; %bb.1251:                             ;   in Loop: Header=BB426_756 Depth=1
	v_bfrev_b32_e32 v12, 1
	s_mov_b32 s13, exec_lo
	v_cmpx_ne_u16_e64 0x80, v128
	s_cbranch_execz .LBB426_1257
; %bb.1252:                             ;   in Loop: Header=BB426_756 Depth=1
	v_bfe_u32 v129, v7, 16, 7
	v_mov_b32_e32 v12, 0x7f800001
	s_mov_b32 s15, exec_lo
	s_delay_alu instid0(VALU_DEP_2)
	v_cmpx_ne_u32_e32 0x7f, v129
	s_cbranch_execz .LBB426_1256
; %bb.1253:                             ;   in Loop: Header=BB426_756 Depth=1
	v_and_b32_e32 v12, 7, v9
	v_lshrrev_b32_e32 v128, 3, v129
	s_mov_b32 s16, exec_lo
	v_cmpx_gt_u32_e32 8, v129
; %bb.1254:                             ;   in Loop: Header=BB426_756 Depth=1
	s_delay_alu instid0(VALU_DEP_3) | instskip(NEXT) | instid1(VALU_DEP_1)
	v_clz_i32_u32_e32 v128, v12
	v_min_u32_e32 v128, 32, v128
	s_delay_alu instid0(VALU_DEP_1) | instskip(SKIP_1) | instid1(VALU_DEP_2)
	v_subrev_nc_u32_e32 v129, 28, v128
	v_sub_nc_u32_e32 v128, 29, v128
	v_lshlrev_b64 v[129:130], v129, v[12:13]
	s_delay_alu instid0(VALU_DEP_1)
	v_and_b32_e32 v12, 7, v129
; %bb.1255:                             ;   in Loop: Header=BB426_756 Depth=1
	s_or_b32 exec_lo, exec_lo, s16
	v_lshlrev_b32_e32 v9, 24, v9
	s_delay_alu instid0(VALU_DEP_2) | instskip(SKIP_1) | instid1(VALU_DEP_3)
	v_lshlrev_b32_e32 v12, 20, v12
	v_lshl_add_u32 v128, v128, 23, 0x3c000000
	v_and_b32_e32 v9, 0x80000000, v9
	s_delay_alu instid0(VALU_DEP_1)
	v_or3_b32 v12, v12, v9, v128
.LBB426_1256:                           ;   in Loop: Header=BB426_756 Depth=1
	s_or_b32 exec_lo, exec_lo, s15
.LBB426_1257:                           ;   in Loop: Header=BB426_756 Depth=1
	s_delay_alu instid0(SALU_CYCLE_1)
	s_or_b32 exec_lo, exec_lo, s13
.LBB426_1258:                           ;   in Loop: Header=BB426_756 Depth=1
	s_delay_alu instid0(SALU_CYCLE_1) | instskip(NEXT) | instid1(VALU_DEP_1)
	s_or_b32 exec_lo, exec_lo, s12
	v_mul_f32_e32 v9, v37, v12
                                        ; implicit-def: $vgpr128
	s_delay_alu instid0(VALU_DEP_1) | instskip(NEXT) | instid1(VALU_DEP_1)
	v_and_b32_e32 v12, 0x7f800000, v9
	v_cmp_ne_u32_e64 s1, 0x7f800000, v12
	s_delay_alu instid0(VALU_DEP_1) | instskip(NEXT) | instid1(SALU_CYCLE_1)
	s_and_saveexec_b32 s12, s1
	s_xor_b32 s1, exec_lo, s12
; %bb.1259:                             ;   in Loop: Header=BB426_756 Depth=1
	v_bfe_u32 v12, v9, 16, 1
	s_delay_alu instid0(VALU_DEP_1)
	v_add3_u32 v128, v9, v12, 0x7fff
                                        ; implicit-def: $vgpr9
; %bb.1260:                             ;   in Loop: Header=BB426_756 Depth=1
	s_and_not1_saveexec_b32 s12, s1
; %bb.1261:                             ;   in Loop: Header=BB426_756 Depth=1
	v_and_b32_e32 v12, 0xffff, v9
	v_or_b32_e32 v128, 0x10000, v9
	s_delay_alu instid0(VALU_DEP_2) | instskip(NEXT) | instid1(VALU_DEP_1)
	v_cmp_eq_u32_e64 s1, 0, v12
	v_cndmask_b32_e64 v128, v128, v9, s1
; %bb.1262:                             ;   in Loop: Header=BB426_756 Depth=1
	s_or_b32 exec_lo, exec_lo, s12
	v_mov_b32_e32 v9, 0
	s_mov_b32 s12, exec_lo
	v_cmpx_lt_u64_e64 s[8:9], v[6:7]
	s_cbranch_execz .LBB426_1270
; %bb.1263:                             ;   in Loop: Header=BB426_756 Depth=1
	v_lshrrev_b32_e32 v6, 24, v7
	v_bfrev_b32_e32 v9, 1
	s_mov_b32 s13, exec_lo
	s_delay_alu instid0(VALU_DEP_2)
	v_cmpx_ne_u32_e32 0x80, v6
	s_cbranch_execz .LBB426_1269
; %bb.1264:                             ;   in Loop: Header=BB426_756 Depth=1
	v_bfe_u32 v129, v7, 24, 7
	v_mov_b32_e32 v9, 0x7f800001
	s_mov_b32 s15, exec_lo
	s_delay_alu instid0(VALU_DEP_2)
	v_cmpx_ne_u32_e32 0x7f, v129
	s_cbranch_execz .LBB426_1268
; %bb.1265:                             ;   in Loop: Header=BB426_756 Depth=1
	v_and_b32_e32 v12, 7, v6
	v_lshrrev_b32_e32 v7, 3, v129
	s_mov_b32 s16, exec_lo
	v_cmpx_gt_u32_e32 8, v129
; %bb.1266:                             ;   in Loop: Header=BB426_756 Depth=1
	s_delay_alu instid0(VALU_DEP_3) | instskip(NEXT) | instid1(VALU_DEP_1)
	v_clz_i32_u32_e32 v7, v12
	v_min_u32_e32 v7, 32, v7
	s_delay_alu instid0(VALU_DEP_1) | instskip(SKIP_1) | instid1(VALU_DEP_2)
	v_subrev_nc_u32_e32 v9, 28, v7
	v_sub_nc_u32_e32 v7, 29, v7
	v_lshlrev_b64 v[129:130], v9, v[12:13]
	s_delay_alu instid0(VALU_DEP_1)
	v_and_b32_e32 v12, 7, v129
; %bb.1267:                             ;   in Loop: Header=BB426_756 Depth=1
	s_or_b32 exec_lo, exec_lo, s16
	v_lshlrev_b32_e32 v6, 24, v6
	s_delay_alu instid0(VALU_DEP_2) | instskip(SKIP_1) | instid1(VALU_DEP_3)
	v_lshlrev_b32_e32 v9, 20, v12
	v_lshl_add_u32 v7, v7, 23, 0x3c000000
	v_and_b32_e32 v6, 0x80000000, v6
	s_delay_alu instid0(VALU_DEP_1)
	v_or3_b32 v9, v9, v6, v7
.LBB426_1268:                           ;   in Loop: Header=BB426_756 Depth=1
	s_or_b32 exec_lo, exec_lo, s15
.LBB426_1269:                           ;   in Loop: Header=BB426_756 Depth=1
	s_delay_alu instid0(SALU_CYCLE_1)
	s_or_b32 exec_lo, exec_lo, s13
.LBB426_1270:                           ;   in Loop: Header=BB426_756 Depth=1
	s_delay_alu instid0(SALU_CYCLE_1) | instskip(NEXT) | instid1(VALU_DEP_1)
	s_or_b32 exec_lo, exec_lo, s12
	v_mul_f32_e32 v7, v37, v9
	s_delay_alu instid0(VALU_DEP_1) | instskip(NEXT) | instid1(VALU_DEP_1)
	v_and_b32_e32 v6, 0x7f800000, v7
	v_cmp_ne_u32_e64 s1, 0x7f800000, v6
                                        ; implicit-def: $vgpr6
	s_delay_alu instid0(VALU_DEP_1) | instskip(NEXT) | instid1(SALU_CYCLE_1)
	s_and_saveexec_b32 s12, s1
	s_xor_b32 s1, exec_lo, s12
; %bb.1271:                             ;   in Loop: Header=BB426_756 Depth=1
	v_bfe_u32 v6, v7, 16, 1
	s_delay_alu instid0(VALU_DEP_1)
	v_add3_u32 v6, v7, v6, 0x7fff
                                        ; implicit-def: $vgpr7
; %bb.1272:                             ;   in Loop: Header=BB426_756 Depth=1
	s_and_not1_saveexec_b32 s12, s1
; %bb.1273:                             ;   in Loop: Header=BB426_756 Depth=1
	v_and_b32_e32 v6, 0xffff, v7
	v_or_b32_e32 v9, 0x10000, v7
	s_delay_alu instid0(VALU_DEP_2) | instskip(NEXT) | instid1(VALU_DEP_1)
	v_cmp_eq_u32_e64 s1, 0, v6
	v_cndmask_b32_e64 v6, v9, v7, s1
; %bb.1274:                             ;   in Loop: Header=BB426_756 Depth=1
	s_or_b32 exec_lo, exec_lo, s12
	v_lshrrev_b32_e32 v8, 16, v8
	v_lshrrev_b32_e32 v9, 16, v119
	v_lshrrev_b32_e32 v12, 16, v118
	v_lshrrev_b32_e32 v117, 16, v117
	v_lshrrev_b32_e32 v116, 16, v116
	v_lshrrev_b32_e32 v115, 16, v115
	v_lshrrev_b32_e32 v7, 16, v128
	v_lshrrev_b32_e32 v6, 16, v6
	s_and_saveexec_b32 s12, s0
	s_cbranch_execz .LBB426_1276
; %bb.1275:                             ;   in Loop: Header=BB426_756 Depth=1
	v_add_nc_u32_e32 v118, -6, v48
	v_cmp_lt_i32_e64 s1, v66, v32
	v_add_nc_u32_e32 v119, -5, v48
	v_add_nc_u32_e32 v128, -2, v48
	s_delay_alu instid0(VALU_DEP_3) | instskip(SKIP_2) | instid1(VALU_DEP_2)
	v_cndmask_b32_e64 v115, 0, v115, s1
	v_cmp_lt_i32_e64 s1, v118, v32
	v_add_nc_u32_e32 v118, -4, v48
	v_cndmask_b32_e64 v116, 0, v116, s1
	v_cmp_lt_i32_e64 s1, v119, v32
	v_add_nc_u32_e32 v119, -3, v48
	s_delay_alu instid0(VALU_DEP_2) | instskip(SKIP_2) | instid1(VALU_DEP_2)
	v_cndmask_b32_e64 v117, 0, v117, s1
	v_cmp_lt_i32_e64 s1, v118, v32
	v_add_nc_u32_e32 v118, -1, v48
	v_cndmask_b32_e64 v12, 0, v12, s1
	v_cmp_lt_i32_e64 s1, v119, v32
	s_delay_alu instid0(VALU_DEP_1) | instskip(SKIP_1) | instid1(VALU_DEP_1)
	v_cndmask_b32_e64 v9, 0, v9, s1
	v_cmp_lt_i32_e64 s1, v128, v32
	v_cndmask_b32_e64 v8, 0, v8, s1
	v_cmp_lt_i32_e64 s1, v118, v32
	s_delay_alu instid0(VALU_DEP_1) | instskip(SKIP_1) | instid1(VALU_DEP_1)
	v_cndmask_b32_e64 v7, 0, v7, s1
	v_cmp_lt_i32_e64 s1, v48, v32
	v_cndmask_b32_e64 v6, 0, v6, s1
.LBB426_1276:                           ;   in Loop: Header=BB426_756 Depth=1
	s_or_b32 exec_lo, exec_lo, s12
	v_lshlrev_b32_e32 v115, 16, v115
	s_delay_alu instid0(VALU_DEP_1) | instskip(NEXT) | instid1(VALU_DEP_1)
	v_mul_f32_e32 v118, v67, v115
	v_and_b32_e32 v115, 0x7f800000, v118
	s_delay_alu instid0(VALU_DEP_1) | instskip(NEXT) | instid1(VALU_DEP_1)
	v_cmp_ne_u32_e64 s1, 0x7f800000, v115
                                        ; implicit-def: $vgpr115
	s_and_saveexec_b32 s12, s1
	s_delay_alu instid0(SALU_CYCLE_1)
	s_xor_b32 s1, exec_lo, s12
; %bb.1277:                             ;   in Loop: Header=BB426_756 Depth=1
	v_bfe_u32 v115, v118, 16, 1
	s_delay_alu instid0(VALU_DEP_1)
	v_add3_u32 v115, v118, v115, 0x7fff
                                        ; implicit-def: $vgpr118
; %bb.1278:                             ;   in Loop: Header=BB426_756 Depth=1
	s_and_not1_saveexec_b32 s12, s1
; %bb.1279:                             ;   in Loop: Header=BB426_756 Depth=1
	v_and_b32_e32 v115, 0xffff, v118
	v_or_b32_e32 v119, 0x10000, v118
	s_delay_alu instid0(VALU_DEP_2) | instskip(NEXT) | instid1(VALU_DEP_1)
	v_cmp_eq_u32_e64 s1, 0, v115
	v_cndmask_b32_e64 v115, v119, v118, s1
; %bb.1280:                             ;   in Loop: Header=BB426_756 Depth=1
	s_or_b32 exec_lo, exec_lo, s12
	v_lshlrev_b32_e32 v116, 16, v116
	s_delay_alu instid0(VALU_DEP_1) | instskip(NEXT) | instid1(VALU_DEP_1)
	v_mul_f32_e32 v118, v68, v116
	v_and_b32_e32 v116, 0x7f800000, v118
	s_delay_alu instid0(VALU_DEP_1) | instskip(NEXT) | instid1(VALU_DEP_1)
	v_cmp_ne_u32_e64 s1, 0x7f800000, v116
                                        ; implicit-def: $vgpr116
	s_and_saveexec_b32 s12, s1
	s_delay_alu instid0(SALU_CYCLE_1)
	s_xor_b32 s1, exec_lo, s12
; %bb.1281:                             ;   in Loop: Header=BB426_756 Depth=1
	v_bfe_u32 v116, v118, 16, 1
	s_delay_alu instid0(VALU_DEP_1)
	v_add3_u32 v116, v118, v116, 0x7fff
                                        ; implicit-def: $vgpr118
; %bb.1282:                             ;   in Loop: Header=BB426_756 Depth=1
	s_and_not1_saveexec_b32 s12, s1
; %bb.1283:                             ;   in Loop: Header=BB426_756 Depth=1
	v_and_b32_e32 v116, 0xffff, v118
	v_or_b32_e32 v119, 0x10000, v118
	s_delay_alu instid0(VALU_DEP_2) | instskip(NEXT) | instid1(VALU_DEP_1)
	v_cmp_eq_u32_e64 s1, 0, v116
	v_cndmask_b32_e64 v116, v119, v118, s1
; %bb.1284:                             ;   in Loop: Header=BB426_756 Depth=1
	s_or_b32 exec_lo, exec_lo, s12
	v_lshlrev_b32_e32 v117, 16, v117
	s_delay_alu instid0(VALU_DEP_1) | instskip(NEXT) | instid1(VALU_DEP_1)
	v_mul_f32_e32 v118, v69, v117
	v_and_b32_e32 v117, 0x7f800000, v118
	s_delay_alu instid0(VALU_DEP_1) | instskip(NEXT) | instid1(VALU_DEP_1)
	v_cmp_ne_u32_e64 s1, 0x7f800000, v117
                                        ; implicit-def: $vgpr117
	s_and_saveexec_b32 s12, s1
	s_delay_alu instid0(SALU_CYCLE_1)
	s_xor_b32 s1, exec_lo, s12
; %bb.1285:                             ;   in Loop: Header=BB426_756 Depth=1
	v_bfe_u32 v117, v118, 16, 1
	s_delay_alu instid0(VALU_DEP_1)
	v_add3_u32 v117, v118, v117, 0x7fff
                                        ; implicit-def: $vgpr118
; %bb.1286:                             ;   in Loop: Header=BB426_756 Depth=1
	s_and_not1_saveexec_b32 s12, s1
; %bb.1287:                             ;   in Loop: Header=BB426_756 Depth=1
	v_and_b32_e32 v117, 0xffff, v118
	v_or_b32_e32 v119, 0x10000, v118
	s_delay_alu instid0(VALU_DEP_2) | instskip(NEXT) | instid1(VALU_DEP_1)
	v_cmp_eq_u32_e64 s1, 0, v117
	v_cndmask_b32_e64 v117, v119, v118, s1
; %bb.1288:                             ;   in Loop: Header=BB426_756 Depth=1
	s_or_b32 exec_lo, exec_lo, s12
	v_lshlrev_b32_e32 v12, 16, v12
	s_delay_alu instid0(VALU_DEP_1) | instskip(NEXT) | instid1(VALU_DEP_1)
	v_mul_f32_e32 v12, v70, v12
	v_and_b32_e32 v118, 0x7f800000, v12
	s_delay_alu instid0(VALU_DEP_1) | instskip(NEXT) | instid1(VALU_DEP_1)
	v_cmp_ne_u32_e64 s1, 0x7f800000, v118
                                        ; implicit-def: $vgpr118
	s_and_saveexec_b32 s12, s1
	s_delay_alu instid0(SALU_CYCLE_1)
	s_xor_b32 s1, exec_lo, s12
; %bb.1289:                             ;   in Loop: Header=BB426_756 Depth=1
	v_bfe_u32 v118, v12, 16, 1
	s_delay_alu instid0(VALU_DEP_1)
	v_add3_u32 v118, v12, v118, 0x7fff
                                        ; implicit-def: $vgpr12
; %bb.1290:                             ;   in Loop: Header=BB426_756 Depth=1
	s_and_not1_saveexec_b32 s12, s1
; %bb.1291:                             ;   in Loop: Header=BB426_756 Depth=1
	v_and_b32_e32 v118, 0xffff, v12
	v_or_b32_e32 v119, 0x10000, v12
	s_delay_alu instid0(VALU_DEP_2) | instskip(NEXT) | instid1(VALU_DEP_1)
	v_cmp_eq_u32_e64 s1, 0, v118
	v_cndmask_b32_e64 v118, v119, v12, s1
; %bb.1292:                             ;   in Loop: Header=BB426_756 Depth=1
	s_or_b32 exec_lo, exec_lo, s12
	v_lshlrev_b32_e32 v9, 16, v9
                                        ; implicit-def: $vgpr119
	s_delay_alu instid0(VALU_DEP_1) | instskip(NEXT) | instid1(VALU_DEP_1)
	v_mul_f32_e32 v9, v71, v9
	v_and_b32_e32 v12, 0x7f800000, v9
	s_delay_alu instid0(VALU_DEP_1) | instskip(NEXT) | instid1(VALU_DEP_1)
	v_cmp_ne_u32_e64 s1, 0x7f800000, v12
	s_and_saveexec_b32 s12, s1
	s_delay_alu instid0(SALU_CYCLE_1)
	s_xor_b32 s1, exec_lo, s12
; %bb.1293:                             ;   in Loop: Header=BB426_756 Depth=1
	v_bfe_u32 v12, v9, 16, 1
	s_delay_alu instid0(VALU_DEP_1)
	v_add3_u32 v119, v9, v12, 0x7fff
                                        ; implicit-def: $vgpr9
; %bb.1294:                             ;   in Loop: Header=BB426_756 Depth=1
	s_and_not1_saveexec_b32 s12, s1
; %bb.1295:                             ;   in Loop: Header=BB426_756 Depth=1
	v_and_b32_e32 v12, 0xffff, v9
	v_or_b32_e32 v119, 0x10000, v9
	s_delay_alu instid0(VALU_DEP_2) | instskip(NEXT) | instid1(VALU_DEP_1)
	v_cmp_eq_u32_e64 s1, 0, v12
	v_cndmask_b32_e64 v119, v119, v9, s1
; %bb.1296:                             ;   in Loop: Header=BB426_756 Depth=1
	s_or_b32 exec_lo, exec_lo, s12
	v_lshlrev_b32_e32 v8, 16, v8
                                        ; implicit-def: $vgpr128
	s_delay_alu instid0(VALU_DEP_1) | instskip(NEXT) | instid1(VALU_DEP_1)
	v_mul_f32_e32 v8, v80, v8
	v_and_b32_e32 v9, 0x7f800000, v8
	s_delay_alu instid0(VALU_DEP_1) | instskip(NEXT) | instid1(VALU_DEP_1)
	v_cmp_ne_u32_e64 s1, 0x7f800000, v9
	s_and_saveexec_b32 s12, s1
	s_delay_alu instid0(SALU_CYCLE_1)
	s_xor_b32 s1, exec_lo, s12
; %bb.1297:                             ;   in Loop: Header=BB426_756 Depth=1
	v_bfe_u32 v9, v8, 16, 1
	s_delay_alu instid0(VALU_DEP_1)
	v_add3_u32 v128, v8, v9, 0x7fff
                                        ; implicit-def: $vgpr8
; %bb.1298:                             ;   in Loop: Header=BB426_756 Depth=1
	s_and_not1_saveexec_b32 s12, s1
; %bb.1299:                             ;   in Loop: Header=BB426_756 Depth=1
	v_and_b32_e32 v9, 0xffff, v8
	v_or_b32_e32 v12, 0x10000, v8
	s_delay_alu instid0(VALU_DEP_2) | instskip(NEXT) | instid1(VALU_DEP_1)
	v_cmp_eq_u32_e64 s1, 0, v9
	v_cndmask_b32_e64 v128, v12, v8, s1
; %bb.1300:                             ;   in Loop: Header=BB426_756 Depth=1
	s_or_b32 exec_lo, exec_lo, s12
	v_lshlrev_b32_e32 v7, 16, v7
                                        ; implicit-def: $vgpr129
	s_delay_alu instid0(VALU_DEP_1) | instskip(NEXT) | instid1(VALU_DEP_1)
	v_mul_f32_e32 v7, v81, v7
	v_and_b32_e32 v8, 0x7f800000, v7
	s_delay_alu instid0(VALU_DEP_1) | instskip(NEXT) | instid1(VALU_DEP_1)
	v_cmp_ne_u32_e64 s1, 0x7f800000, v8
	s_and_saveexec_b32 s12, s1
	s_delay_alu instid0(SALU_CYCLE_1)
	s_xor_b32 s1, exec_lo, s12
; %bb.1301:                             ;   in Loop: Header=BB426_756 Depth=1
	v_bfe_u32 v8, v7, 16, 1
	s_delay_alu instid0(VALU_DEP_1)
	v_add3_u32 v129, v7, v8, 0x7fff
                                        ; implicit-def: $vgpr7
; %bb.1302:                             ;   in Loop: Header=BB426_756 Depth=1
	s_and_not1_saveexec_b32 s12, s1
; %bb.1303:                             ;   in Loop: Header=BB426_756 Depth=1
	v_and_b32_e32 v8, 0xffff, v7
	v_or_b32_e32 v9, 0x10000, v7
	s_delay_alu instid0(VALU_DEP_2) | instskip(NEXT) | instid1(VALU_DEP_1)
	v_cmp_eq_u32_e64 s1, 0, v8
	v_cndmask_b32_e64 v129, v9, v7, s1
; %bb.1304:                             ;   in Loop: Header=BB426_756 Depth=1
	s_or_b32 exec_lo, exec_lo, s12
	v_lshlrev_b32_e32 v6, 16, v6
                                        ; implicit-def: $vgpr130
	s_delay_alu instid0(VALU_DEP_1) | instskip(NEXT) | instid1(VALU_DEP_1)
	v_mul_f32_e32 v6, v82, v6
	v_and_b32_e32 v7, 0x7f800000, v6
	s_delay_alu instid0(VALU_DEP_1) | instskip(NEXT) | instid1(VALU_DEP_1)
	v_cmp_ne_u32_e64 s1, 0x7f800000, v7
	s_and_saveexec_b32 s12, s1
	s_delay_alu instid0(SALU_CYCLE_1)
	s_xor_b32 s1, exec_lo, s12
; %bb.1305:                             ;   in Loop: Header=BB426_756 Depth=1
	v_bfe_u32 v7, v6, 16, 1
	s_delay_alu instid0(VALU_DEP_1)
	v_add3_u32 v130, v6, v7, 0x7fff
                                        ; implicit-def: $vgpr6
; %bb.1306:                             ;   in Loop: Header=BB426_756 Depth=1
	s_and_not1_saveexec_b32 s12, s1
; %bb.1307:                             ;   in Loop: Header=BB426_756 Depth=1
	v_and_b32_e32 v7, 0xffff, v6
	v_or_b32_e32 v8, 0x10000, v6
	s_delay_alu instid0(VALU_DEP_2) | instskip(NEXT) | instid1(VALU_DEP_1)
	v_cmp_eq_u32_e64 s1, 0, v7
	v_cndmask_b32_e64 v130, v8, v6, s1
; %bb.1308:                             ;   in Loop: Header=BB426_756 Depth=1
	s_or_b32 exec_lo, exec_lo, s12
	flat_load_b64 v[6:7], v[2:3] offset:1024
	s_mov_b32 s12, exec_lo
	s_waitcnt vmcnt(0) lgkmcnt(0)
	v_dual_mov_b32 v8, 0 :: v_dual_and_b32 v9, 0xff, v6
	s_delay_alu instid0(VALU_DEP_1)
	v_cmpx_ne_u16_e32 0, v9
	s_cbranch_execz .LBB426_1316
; %bb.1309:                             ;   in Loop: Header=BB426_756 Depth=1
	v_bfrev_b32_e32 v8, 1
	s_mov_b32 s13, exec_lo
	v_cmpx_ne_u16_e32 0x80, v9
	s_cbranch_execz .LBB426_1315
; %bb.1310:                             ;   in Loop: Header=BB426_756 Depth=1
	v_and_b32_e32 v9, 0x7f, v6
	v_mov_b32_e32 v8, 0x7f800001
	s_mov_b32 s15, exec_lo
	s_delay_alu instid0(VALU_DEP_2)
	v_cmpx_ne_u32_e32 0x7f, v9
	s_cbranch_execz .LBB426_1314
; %bb.1311:                             ;   in Loop: Header=BB426_756 Depth=1
	v_lshrrev_b32_e32 v12, 3, v9
	v_cmp_gt_u32_e64 s1, 8, v9
	v_dual_mov_b32 v9, v7 :: v_dual_mov_b32 v8, v6
	s_delay_alu instid0(VALU_DEP_2)
	s_and_saveexec_b32 s16, s1
; %bb.1312:                             ;   in Loop: Header=BB426_756 Depth=1
	v_and_b32_e32 v8, 7, v6
	s_delay_alu instid0(VALU_DEP_1) | instskip(NEXT) | instid1(VALU_DEP_1)
	v_clz_i32_u32_e32 v8, v8
	v_min_u32_e32 v12, 32, v8
	s_delay_alu instid0(VALU_DEP_1) | instskip(SKIP_1) | instid1(VALU_DEP_2)
	v_subrev_nc_u32_e32 v8, 28, v12
	v_sub_nc_u32_e32 v12, 29, v12
	v_lshlrev_b64 v[8:9], v8, v[6:7]
; %bb.1313:                             ;   in Loop: Header=BB426_756 Depth=1
	s_or_b32 exec_lo, exec_lo, s16
	s_delay_alu instid0(VALU_DEP_1) | instskip(SKIP_2) | instid1(VALU_DEP_3)
	v_lshlrev_b32_e32 v8, 20, v8
	v_lshlrev_b32_e32 v9, 24, v6
	v_lshl_add_u32 v12, v12, 23, 0x3c000000
	v_and_b32_e32 v8, 0x700000, v8
	s_delay_alu instid0(VALU_DEP_3) | instskip(NEXT) | instid1(VALU_DEP_1)
	v_and_b32_e32 v9, 0x80000000, v9
	v_or3_b32 v8, v8, v9, v12
.LBB426_1314:                           ;   in Loop: Header=BB426_756 Depth=1
	s_or_b32 exec_lo, exec_lo, s15
.LBB426_1315:                           ;   in Loop: Header=BB426_756 Depth=1
	s_delay_alu instid0(SALU_CYCLE_1)
	s_or_b32 exec_lo, exec_lo, s13
.LBB426_1316:                           ;   in Loop: Header=BB426_756 Depth=1
	s_delay_alu instid0(SALU_CYCLE_1) | instskip(NEXT) | instid1(VALU_DEP_1)
	s_or_b32 exec_lo, exec_lo, s12
	v_mul_f32_e32 v8, v37, v8
                                        ; implicit-def: $vgpr131
	s_delay_alu instid0(VALU_DEP_1) | instskip(NEXT) | instid1(VALU_DEP_1)
	v_and_b32_e32 v9, 0x7f800000, v8
	v_cmp_ne_u32_e64 s1, 0x7f800000, v9
	s_delay_alu instid0(VALU_DEP_1) | instskip(NEXT) | instid1(SALU_CYCLE_1)
	s_and_saveexec_b32 s12, s1
	s_xor_b32 s1, exec_lo, s12
; %bb.1317:                             ;   in Loop: Header=BB426_756 Depth=1
	v_bfe_u32 v9, v8, 16, 1
	s_delay_alu instid0(VALU_DEP_1)
	v_add3_u32 v131, v8, v9, 0x7fff
                                        ; implicit-def: $vgpr8
; %bb.1318:                             ;   in Loop: Header=BB426_756 Depth=1
	s_and_not1_saveexec_b32 s12, s1
; %bb.1319:                             ;   in Loop: Header=BB426_756 Depth=1
	v_and_b32_e32 v9, 0xffff, v8
	v_or_b32_e32 v12, 0x10000, v8
	s_delay_alu instid0(VALU_DEP_2) | instskip(NEXT) | instid1(VALU_DEP_1)
	v_cmp_eq_u32_e64 s1, 0, v9
	v_cndmask_b32_e64 v131, v12, v8, s1
; %bb.1320:                             ;   in Loop: Header=BB426_756 Depth=1
	s_or_b32 exec_lo, exec_lo, s12
	v_lshrrev_b16 v9, 8, v6
	v_mov_b32_e32 v8, 0
	s_mov_b32 s12, exec_lo
	s_delay_alu instid0(VALU_DEP_2)
	v_cmpx_ne_u16_e32 0, v9
	s_cbranch_execz .LBB426_1328
; %bb.1321:                             ;   in Loop: Header=BB426_756 Depth=1
	v_bfrev_b32_e32 v8, 1
	s_mov_b32 s13, exec_lo
	v_cmpx_ne_u16_e32 0x80, v9
	s_cbranch_execz .LBB426_1327
; %bb.1322:                             ;   in Loop: Header=BB426_756 Depth=1
	v_and_b32_e32 v12, 0xffff, v9
	v_mov_b32_e32 v8, 0x7f800001
	s_mov_b32 s15, exec_lo
	s_delay_alu instid0(VALU_DEP_2) | instskip(NEXT) | instid1(VALU_DEP_1)
	v_and_b32_e32 v9, 0x7f, v12
	v_cmpx_ne_u32_e32 0x7f, v9
	s_cbranch_execz .LBB426_1326
; %bb.1323:                             ;   in Loop: Header=BB426_756 Depth=1
	v_and_b32_e32 v12, 7, v12
	v_lshrrev_b32_e32 v8, 3, v9
	s_mov_b32 s16, exec_lo
	v_cmpx_gt_u32_e32 8, v9
; %bb.1324:                             ;   in Loop: Header=BB426_756 Depth=1
	s_delay_alu instid0(VALU_DEP_3) | instskip(NEXT) | instid1(VALU_DEP_1)
	v_clz_i32_u32_e32 v8, v12
	v_min_u32_e32 v8, 32, v8
	s_delay_alu instid0(VALU_DEP_1) | instskip(SKIP_1) | instid1(VALU_DEP_2)
	v_subrev_nc_u32_e32 v9, 28, v8
	v_sub_nc_u32_e32 v8, 29, v8
	v_lshlrev_b64 v[132:133], v9, v[12:13]
	s_delay_alu instid0(VALU_DEP_1)
	v_and_b32_e32 v12, 7, v132
; %bb.1325:                             ;   in Loop: Header=BB426_756 Depth=1
	s_or_b32 exec_lo, exec_lo, s16
	v_lshlrev_b32_e32 v9, 16, v6
	s_delay_alu instid0(VALU_DEP_2) | instskip(SKIP_1) | instid1(VALU_DEP_3)
	v_lshlrev_b32_e32 v12, 20, v12
	v_lshl_add_u32 v8, v8, 23, 0x3c000000
	v_and_b32_e32 v9, 0x80000000, v9
	s_delay_alu instid0(VALU_DEP_1)
	v_or3_b32 v8, v12, v9, v8
.LBB426_1326:                           ;   in Loop: Header=BB426_756 Depth=1
	s_or_b32 exec_lo, exec_lo, s15
.LBB426_1327:                           ;   in Loop: Header=BB426_756 Depth=1
	s_delay_alu instid0(SALU_CYCLE_1)
	s_or_b32 exec_lo, exec_lo, s13
.LBB426_1328:                           ;   in Loop: Header=BB426_756 Depth=1
	s_delay_alu instid0(SALU_CYCLE_1) | instskip(NEXT) | instid1(VALU_DEP_1)
	s_or_b32 exec_lo, exec_lo, s12
	v_mul_f32_e32 v8, v37, v8
                                        ; implicit-def: $vgpr132
	s_delay_alu instid0(VALU_DEP_1) | instskip(NEXT) | instid1(VALU_DEP_1)
	v_and_b32_e32 v9, 0x7f800000, v8
	v_cmp_ne_u32_e64 s1, 0x7f800000, v9
	s_delay_alu instid0(VALU_DEP_1) | instskip(NEXT) | instid1(SALU_CYCLE_1)
	s_and_saveexec_b32 s12, s1
	s_xor_b32 s1, exec_lo, s12
; %bb.1329:                             ;   in Loop: Header=BB426_756 Depth=1
	v_bfe_u32 v9, v8, 16, 1
	s_delay_alu instid0(VALU_DEP_1)
	v_add3_u32 v132, v8, v9, 0x7fff
                                        ; implicit-def: $vgpr8
; %bb.1330:                             ;   in Loop: Header=BB426_756 Depth=1
	s_and_not1_saveexec_b32 s12, s1
; %bb.1331:                             ;   in Loop: Header=BB426_756 Depth=1
	v_and_b32_e32 v9, 0xffff, v8
	v_or_b32_e32 v12, 0x10000, v8
	s_delay_alu instid0(VALU_DEP_2) | instskip(NEXT) | instid1(VALU_DEP_1)
	v_cmp_eq_u32_e64 s1, 0, v9
	v_cndmask_b32_e64 v132, v12, v8, s1
; %bb.1332:                             ;   in Loop: Header=BB426_756 Depth=1
	s_or_b32 exec_lo, exec_lo, s12
	v_lshrrev_b32_e32 v8, 16, v6
	s_mov_b32 s12, exec_lo
	s_delay_alu instid0(VALU_DEP_1) | instskip(NEXT) | instid1(VALU_DEP_1)
	v_dual_mov_b32 v9, 0 :: v_dual_and_b32 v12, 0xff, v8
	v_cmpx_ne_u16_e32 0, v12
	s_cbranch_execz .LBB426_1340
; %bb.1333:                             ;   in Loop: Header=BB426_756 Depth=1
	v_bfrev_b32_e32 v9, 1
	s_mov_b32 s13, exec_lo
	v_cmpx_ne_u16_e32 0x80, v12
	s_cbranch_execz .LBB426_1339
; %bb.1334:                             ;   in Loop: Header=BB426_756 Depth=1
	v_bfe_u32 v133, v6, 16, 7
	v_mov_b32_e32 v9, 0x7f800001
	s_mov_b32 s15, exec_lo
	s_delay_alu instid0(VALU_DEP_2)
	v_cmpx_ne_u32_e32 0x7f, v133
	s_cbranch_execz .LBB426_1338
; %bb.1335:                             ;   in Loop: Header=BB426_756 Depth=1
	v_and_b32_e32 v12, 7, v8
	v_lshrrev_b32_e32 v9, 3, v133
	s_mov_b32 s16, exec_lo
	v_cmpx_gt_u32_e32 8, v133
; %bb.1336:                             ;   in Loop: Header=BB426_756 Depth=1
	s_delay_alu instid0(VALU_DEP_3) | instskip(NEXT) | instid1(VALU_DEP_1)
	v_clz_i32_u32_e32 v9, v12
	v_min_u32_e32 v9, 32, v9
	s_delay_alu instid0(VALU_DEP_1) | instskip(SKIP_1) | instid1(VALU_DEP_2)
	v_subrev_nc_u32_e32 v133, 28, v9
	v_sub_nc_u32_e32 v9, 29, v9
	v_lshlrev_b64 v[133:134], v133, v[12:13]
	s_delay_alu instid0(VALU_DEP_1)
	v_and_b32_e32 v12, 7, v133
; %bb.1337:                             ;   in Loop: Header=BB426_756 Depth=1
	s_or_b32 exec_lo, exec_lo, s16
	v_lshlrev_b32_e32 v8, 24, v8
	s_delay_alu instid0(VALU_DEP_2) | instskip(SKIP_1) | instid1(VALU_DEP_3)
	v_lshlrev_b32_e32 v12, 20, v12
	v_lshl_add_u32 v9, v9, 23, 0x3c000000
	v_and_b32_e32 v8, 0x80000000, v8
	s_delay_alu instid0(VALU_DEP_1)
	v_or3_b32 v9, v12, v8, v9
.LBB426_1338:                           ;   in Loop: Header=BB426_756 Depth=1
	s_or_b32 exec_lo, exec_lo, s15
.LBB426_1339:                           ;   in Loop: Header=BB426_756 Depth=1
	s_delay_alu instid0(SALU_CYCLE_1)
	s_or_b32 exec_lo, exec_lo, s13
.LBB426_1340:                           ;   in Loop: Header=BB426_756 Depth=1
	s_delay_alu instid0(SALU_CYCLE_1) | instskip(NEXT) | instid1(VALU_DEP_1)
	s_or_b32 exec_lo, exec_lo, s12
	v_mul_f32_e32 v8, v37, v9
                                        ; implicit-def: $vgpr133
	s_delay_alu instid0(VALU_DEP_1) | instskip(NEXT) | instid1(VALU_DEP_1)
	v_and_b32_e32 v9, 0x7f800000, v8
	v_cmp_ne_u32_e64 s1, 0x7f800000, v9
	s_delay_alu instid0(VALU_DEP_1) | instskip(NEXT) | instid1(SALU_CYCLE_1)
	s_and_saveexec_b32 s12, s1
	s_xor_b32 s1, exec_lo, s12
; %bb.1341:                             ;   in Loop: Header=BB426_756 Depth=1
	v_bfe_u32 v9, v8, 16, 1
	s_delay_alu instid0(VALU_DEP_1)
	v_add3_u32 v133, v8, v9, 0x7fff
                                        ; implicit-def: $vgpr8
; %bb.1342:                             ;   in Loop: Header=BB426_756 Depth=1
	s_and_not1_saveexec_b32 s12, s1
; %bb.1343:                             ;   in Loop: Header=BB426_756 Depth=1
	v_and_b32_e32 v9, 0xffff, v8
	v_or_b32_e32 v12, 0x10000, v8
	s_delay_alu instid0(VALU_DEP_2) | instskip(NEXT) | instid1(VALU_DEP_1)
	v_cmp_eq_u32_e64 s1, 0, v9
	v_cndmask_b32_e64 v133, v12, v8, s1
; %bb.1344:                             ;   in Loop: Header=BB426_756 Depth=1
	s_or_b32 exec_lo, exec_lo, s12
	v_mov_b32_e32 v9, 0
	s_mov_b32 s12, exec_lo
	v_cmpx_lt_u32_e32 0xffffff, v6
	s_cbranch_execz .LBB426_1352
; %bb.1345:                             ;   in Loop: Header=BB426_756 Depth=1
	v_lshrrev_b32_e32 v8, 24, v6
	v_bfrev_b32_e32 v9, 1
	s_mov_b32 s13, exec_lo
	s_delay_alu instid0(VALU_DEP_2)
	v_cmpx_ne_u32_e32 0x80, v8
	s_cbranch_execz .LBB426_1351
; %bb.1346:                             ;   in Loop: Header=BB426_756 Depth=1
	v_bfe_u32 v134, v6, 24, 7
	v_mov_b32_e32 v9, 0x7f800001
	s_mov_b32 s15, exec_lo
	s_delay_alu instid0(VALU_DEP_2)
	v_cmpx_ne_u32_e32 0x7f, v134
	s_cbranch_execz .LBB426_1350
; %bb.1347:                             ;   in Loop: Header=BB426_756 Depth=1
	v_and_b32_e32 v12, 7, v8
	v_lshrrev_b32_e32 v9, 3, v134
	s_mov_b32 s16, exec_lo
	v_cmpx_gt_u32_e32 8, v134
; %bb.1348:                             ;   in Loop: Header=BB426_756 Depth=1
	s_delay_alu instid0(VALU_DEP_3) | instskip(NEXT) | instid1(VALU_DEP_1)
	v_clz_i32_u32_e32 v9, v12
	v_min_u32_e32 v9, 32, v9
	s_delay_alu instid0(VALU_DEP_1) | instskip(SKIP_1) | instid1(VALU_DEP_2)
	v_subrev_nc_u32_e32 v134, 28, v9
	v_sub_nc_u32_e32 v9, 29, v9
	v_lshlrev_b64 v[134:135], v134, v[12:13]
	s_delay_alu instid0(VALU_DEP_1)
	v_and_b32_e32 v12, 7, v134
; %bb.1349:                             ;   in Loop: Header=BB426_756 Depth=1
	s_or_b32 exec_lo, exec_lo, s16
	v_lshlrev_b32_e32 v8, 24, v8
	s_delay_alu instid0(VALU_DEP_2) | instskip(SKIP_1) | instid1(VALU_DEP_3)
	v_lshlrev_b32_e32 v12, 20, v12
	v_lshl_add_u32 v9, v9, 23, 0x3c000000
	v_and_b32_e32 v8, 0x80000000, v8
	s_delay_alu instid0(VALU_DEP_1)
	v_or3_b32 v9, v12, v8, v9
.LBB426_1350:                           ;   in Loop: Header=BB426_756 Depth=1
	s_or_b32 exec_lo, exec_lo, s15
.LBB426_1351:                           ;   in Loop: Header=BB426_756 Depth=1
	s_delay_alu instid0(SALU_CYCLE_1)
	s_or_b32 exec_lo, exec_lo, s13
.LBB426_1352:                           ;   in Loop: Header=BB426_756 Depth=1
	s_delay_alu instid0(SALU_CYCLE_1) | instskip(NEXT) | instid1(VALU_DEP_1)
	s_or_b32 exec_lo, exec_lo, s12
	v_mul_f32_e32 v8, v37, v9
                                        ; implicit-def: $vgpr134
	s_delay_alu instid0(VALU_DEP_1) | instskip(NEXT) | instid1(VALU_DEP_1)
	v_and_b32_e32 v9, 0x7f800000, v8
	v_cmp_ne_u32_e64 s1, 0x7f800000, v9
	s_delay_alu instid0(VALU_DEP_1) | instskip(NEXT) | instid1(SALU_CYCLE_1)
	s_and_saveexec_b32 s12, s1
	s_xor_b32 s1, exec_lo, s12
; %bb.1353:                             ;   in Loop: Header=BB426_756 Depth=1
	v_bfe_u32 v9, v8, 16, 1
	s_delay_alu instid0(VALU_DEP_1)
	v_add3_u32 v134, v8, v9, 0x7fff
                                        ; implicit-def: $vgpr8
; %bb.1354:                             ;   in Loop: Header=BB426_756 Depth=1
	s_and_not1_saveexec_b32 s12, s1
; %bb.1355:                             ;   in Loop: Header=BB426_756 Depth=1
	v_and_b32_e32 v9, 0xffff, v8
	v_or_b32_e32 v12, 0x10000, v8
	s_delay_alu instid0(VALU_DEP_2) | instskip(NEXT) | instid1(VALU_DEP_1)
	v_cmp_eq_u32_e64 s1, 0, v9
	v_cndmask_b32_e64 v134, v12, v8, s1
; %bb.1356:                             ;   in Loop: Header=BB426_756 Depth=1
	s_or_b32 exec_lo, exec_lo, s12
	v_dual_mov_b32 v12, v7 :: v_dual_and_b32 v9, 0xff, v7
	v_mov_b32_e32 v8, 0
	s_mov_b32 s12, exec_lo
	s_delay_alu instid0(VALU_DEP_2)
	v_cmpx_ne_u16_e32 0, v9
	s_cbranch_execz .LBB426_1364
; %bb.1357:                             ;   in Loop: Header=BB426_756 Depth=1
	v_bfrev_b32_e32 v8, 1
	s_mov_b32 s13, exec_lo
	v_cmpx_ne_u16_e32 0x80, v9
	s_cbranch_execz .LBB426_1363
; %bb.1358:                             ;   in Loop: Header=BB426_756 Depth=1
	v_and_b32_e32 v9, 0x7f, v7
	v_mov_b32_e32 v8, 0x7f800001
	s_mov_b32 s15, exec_lo
	s_delay_alu instid0(VALU_DEP_2)
	v_cmpx_ne_u32_e32 0x7f, v9
	s_cbranch_execz .LBB426_1362
; %bb.1359:                             ;   in Loop: Header=BB426_756 Depth=1
	v_lshrrev_b32_e32 v135, 3, v9
	v_cmp_gt_u32_e64 s1, 8, v9
	v_dual_mov_b32 v8, v12 :: v_dual_mov_b32 v9, v13
	s_delay_alu instid0(VALU_DEP_2)
	s_and_saveexec_b32 s16, s1
; %bb.1360:                             ;   in Loop: Header=BB426_756 Depth=1
	v_and_b32_e32 v8, 7, v7
	s_delay_alu instid0(VALU_DEP_1) | instskip(NEXT) | instid1(VALU_DEP_1)
	v_clz_i32_u32_e32 v8, v8
	v_min_u32_e32 v135, 32, v8
	s_delay_alu instid0(VALU_DEP_1) | instskip(SKIP_1) | instid1(VALU_DEP_2)
	v_subrev_nc_u32_e32 v8, 28, v135
	v_sub_nc_u32_e32 v135, 29, v135
	v_lshlrev_b64 v[8:9], v8, v[12:13]
; %bb.1361:                             ;   in Loop: Header=BB426_756 Depth=1
	s_or_b32 exec_lo, exec_lo, s16
	s_delay_alu instid0(VALU_DEP_1) | instskip(SKIP_2) | instid1(VALU_DEP_3)
	v_lshlrev_b32_e32 v8, 20, v8
	v_lshlrev_b32_e32 v9, 24, v12
	v_lshl_add_u32 v135, v135, 23, 0x3c000000
	v_and_b32_e32 v8, 0x700000, v8
	s_delay_alu instid0(VALU_DEP_3) | instskip(NEXT) | instid1(VALU_DEP_1)
	v_and_b32_e32 v9, 0x80000000, v9
	v_or3_b32 v8, v8, v9, v135
.LBB426_1362:                           ;   in Loop: Header=BB426_756 Depth=1
	s_or_b32 exec_lo, exec_lo, s15
.LBB426_1363:                           ;   in Loop: Header=BB426_756 Depth=1
	s_delay_alu instid0(SALU_CYCLE_1)
	s_or_b32 exec_lo, exec_lo, s13
.LBB426_1364:                           ;   in Loop: Header=BB426_756 Depth=1
	s_delay_alu instid0(SALU_CYCLE_1) | instskip(NEXT) | instid1(VALU_DEP_1)
	s_or_b32 exec_lo, exec_lo, s12
	v_mul_f32_e32 v8, v37, v8
                                        ; implicit-def: $vgpr135
	s_delay_alu instid0(VALU_DEP_1) | instskip(NEXT) | instid1(VALU_DEP_1)
	v_and_b32_e32 v9, 0x7f800000, v8
	v_cmp_ne_u32_e64 s1, 0x7f800000, v9
	s_delay_alu instid0(VALU_DEP_1) | instskip(NEXT) | instid1(SALU_CYCLE_1)
	s_and_saveexec_b32 s12, s1
	s_xor_b32 s1, exec_lo, s12
; %bb.1365:                             ;   in Loop: Header=BB426_756 Depth=1
	v_bfe_u32 v9, v8, 16, 1
	s_delay_alu instid0(VALU_DEP_1)
	v_add3_u32 v135, v8, v9, 0x7fff
                                        ; implicit-def: $vgpr8
; %bb.1366:                             ;   in Loop: Header=BB426_756 Depth=1
	s_and_not1_saveexec_b32 s12, s1
; %bb.1367:                             ;   in Loop: Header=BB426_756 Depth=1
	v_and_b32_e32 v9, 0xffff, v8
	v_or_b32_e32 v135, 0x10000, v8
	s_delay_alu instid0(VALU_DEP_2) | instskip(NEXT) | instid1(VALU_DEP_1)
	v_cmp_eq_u32_e64 s1, 0, v9
	v_cndmask_b32_e64 v135, v135, v8, s1
; %bb.1368:                             ;   in Loop: Header=BB426_756 Depth=1
	s_or_b32 exec_lo, exec_lo, s12
	v_lshrrev_b16 v9, 8, v12
	v_mov_b32_e32 v8, 0
	s_mov_b32 s12, exec_lo
	s_delay_alu instid0(VALU_DEP_2)
	v_cmpx_ne_u16_e32 0, v9
	s_cbranch_execz .LBB426_1376
; %bb.1369:                             ;   in Loop: Header=BB426_756 Depth=1
	v_bfrev_b32_e32 v8, 1
	s_mov_b32 s13, exec_lo
	v_cmpx_ne_u16_e32 0x80, v9
	s_cbranch_execz .LBB426_1375
; %bb.1370:                             ;   in Loop: Header=BB426_756 Depth=1
	v_and_b32_e32 v9, 0xffff, v9
	v_mov_b32_e32 v8, 0x7f800001
	s_mov_b32 s15, exec_lo
	s_delay_alu instid0(VALU_DEP_2) | instskip(NEXT) | instid1(VALU_DEP_1)
	v_and_b32_e32 v145, 0x7f, v9
	v_cmpx_ne_u32_e32 0x7f, v145
	s_cbranch_execz .LBB426_1374
; %bb.1371:                             ;   in Loop: Header=BB426_756 Depth=1
	v_dual_mov_b32 v9, v13 :: v_dual_and_b32 v8, 7, v9
	v_lshrrev_b32_e32 v144, 3, v145
	s_mov_b32 s16, exec_lo
	v_cmpx_gt_u32_e32 8, v145
; %bb.1372:                             ;   in Loop: Header=BB426_756 Depth=1
	s_delay_alu instid0(VALU_DEP_3) | instskip(NEXT) | instid1(VALU_DEP_1)
	v_clz_i32_u32_e32 v144, v8
	v_min_u32_e32 v144, 32, v144
	s_delay_alu instid0(VALU_DEP_1) | instskip(SKIP_1) | instid1(VALU_DEP_2)
	v_subrev_nc_u32_e32 v145, 28, v144
	v_sub_nc_u32_e32 v144, 29, v144
	v_lshlrev_b64 v[8:9], v145, v[8:9]
	s_delay_alu instid0(VALU_DEP_1)
	v_and_b32_e32 v8, 7, v8
; %bb.1373:                             ;   in Loop: Header=BB426_756 Depth=1
	s_or_b32 exec_lo, exec_lo, s16
	v_lshlrev_b32_e32 v9, 16, v12
	s_delay_alu instid0(VALU_DEP_2) | instskip(SKIP_1) | instid1(VALU_DEP_3)
	v_lshlrev_b32_e32 v8, 20, v8
	v_lshl_add_u32 v12, v144, 23, 0x3c000000
	v_and_b32_e32 v9, 0x80000000, v9
	s_delay_alu instid0(VALU_DEP_1)
	v_or3_b32 v8, v8, v9, v12
.LBB426_1374:                           ;   in Loop: Header=BB426_756 Depth=1
	s_or_b32 exec_lo, exec_lo, s15
.LBB426_1375:                           ;   in Loop: Header=BB426_756 Depth=1
	s_delay_alu instid0(SALU_CYCLE_1)
	s_or_b32 exec_lo, exec_lo, s13
.LBB426_1376:                           ;   in Loop: Header=BB426_756 Depth=1
	s_delay_alu instid0(SALU_CYCLE_1) | instskip(NEXT) | instid1(VALU_DEP_1)
	s_or_b32 exec_lo, exec_lo, s12
	v_mul_f32_e32 v9, v37, v8
	s_delay_alu instid0(VALU_DEP_1) | instskip(NEXT) | instid1(VALU_DEP_1)
	v_and_b32_e32 v8, 0x7f800000, v9
	v_cmp_ne_u32_e64 s1, 0x7f800000, v8
                                        ; implicit-def: $vgpr8
	s_delay_alu instid0(VALU_DEP_1) | instskip(NEXT) | instid1(SALU_CYCLE_1)
	s_and_saveexec_b32 s12, s1
	s_xor_b32 s1, exec_lo, s12
; %bb.1377:                             ;   in Loop: Header=BB426_756 Depth=1
	v_bfe_u32 v8, v9, 16, 1
	s_delay_alu instid0(VALU_DEP_1)
	v_add3_u32 v8, v9, v8, 0x7fff
                                        ; implicit-def: $vgpr9
; %bb.1378:                             ;   in Loop: Header=BB426_756 Depth=1
	s_and_not1_saveexec_b32 s12, s1
; %bb.1379:                             ;   in Loop: Header=BB426_756 Depth=1
	v_and_b32_e32 v8, 0xffff, v9
	v_or_b32_e32 v12, 0x10000, v9
	s_delay_alu instid0(VALU_DEP_2) | instskip(NEXT) | instid1(VALU_DEP_1)
	v_cmp_eq_u32_e64 s1, 0, v8
	v_cndmask_b32_e64 v8, v12, v9, s1
; %bb.1380:                             ;   in Loop: Header=BB426_756 Depth=1
	s_or_b32 exec_lo, exec_lo, s12
	v_lshrrev_b32_e32 v9, 16, v7
	v_mov_b32_e32 v12, 0
	s_mov_b32 s12, exec_lo
	s_delay_alu instid0(VALU_DEP_2) | instskip(NEXT) | instid1(VALU_DEP_1)
	v_and_b32_e32 v144, 0xff, v9
	v_cmpx_ne_u16_e64 0, v144
	s_cbranch_execz .LBB426_1388
; %bb.1381:                             ;   in Loop: Header=BB426_756 Depth=1
	v_bfrev_b32_e32 v12, 1
	s_mov_b32 s13, exec_lo
	v_cmpx_ne_u16_e64 0x80, v144
	s_cbranch_execz .LBB426_1387
; %bb.1382:                             ;   in Loop: Header=BB426_756 Depth=1
	v_bfe_u32 v145, v7, 16, 7
	v_mov_b32_e32 v12, 0x7f800001
	s_mov_b32 s15, exec_lo
	s_delay_alu instid0(VALU_DEP_2)
	v_cmpx_ne_u32_e32 0x7f, v145
	s_cbranch_execz .LBB426_1386
; %bb.1383:                             ;   in Loop: Header=BB426_756 Depth=1
	v_and_b32_e32 v12, 7, v9
	v_lshrrev_b32_e32 v144, 3, v145
	s_mov_b32 s16, exec_lo
	v_cmpx_gt_u32_e32 8, v145
; %bb.1384:                             ;   in Loop: Header=BB426_756 Depth=1
	s_delay_alu instid0(VALU_DEP_3) | instskip(NEXT) | instid1(VALU_DEP_1)
	v_clz_i32_u32_e32 v144, v12
	v_min_u32_e32 v144, 32, v144
	s_delay_alu instid0(VALU_DEP_1) | instskip(SKIP_1) | instid1(VALU_DEP_2)
	v_subrev_nc_u32_e32 v145, 28, v144
	v_sub_nc_u32_e32 v144, 29, v144
	v_lshlrev_b64 v[145:146], v145, v[12:13]
	s_delay_alu instid0(VALU_DEP_1)
	v_and_b32_e32 v12, 7, v145
; %bb.1385:                             ;   in Loop: Header=BB426_756 Depth=1
	s_or_b32 exec_lo, exec_lo, s16
	v_lshlrev_b32_e32 v9, 24, v9
	s_delay_alu instid0(VALU_DEP_2) | instskip(SKIP_1) | instid1(VALU_DEP_3)
	v_lshlrev_b32_e32 v12, 20, v12
	v_lshl_add_u32 v144, v144, 23, 0x3c000000
	v_and_b32_e32 v9, 0x80000000, v9
	s_delay_alu instid0(VALU_DEP_1)
	v_or3_b32 v12, v12, v9, v144
.LBB426_1386:                           ;   in Loop: Header=BB426_756 Depth=1
	s_or_b32 exec_lo, exec_lo, s15
.LBB426_1387:                           ;   in Loop: Header=BB426_756 Depth=1
	s_delay_alu instid0(SALU_CYCLE_1)
	s_or_b32 exec_lo, exec_lo, s13
.LBB426_1388:                           ;   in Loop: Header=BB426_756 Depth=1
	s_delay_alu instid0(SALU_CYCLE_1) | instskip(NEXT) | instid1(VALU_DEP_1)
	s_or_b32 exec_lo, exec_lo, s12
	v_mul_f32_e32 v9, v37, v12
                                        ; implicit-def: $vgpr144
	s_delay_alu instid0(VALU_DEP_1) | instskip(NEXT) | instid1(VALU_DEP_1)
	v_and_b32_e32 v12, 0x7f800000, v9
	v_cmp_ne_u32_e64 s1, 0x7f800000, v12
	s_delay_alu instid0(VALU_DEP_1) | instskip(NEXT) | instid1(SALU_CYCLE_1)
	s_and_saveexec_b32 s12, s1
	s_xor_b32 s1, exec_lo, s12
; %bb.1389:                             ;   in Loop: Header=BB426_756 Depth=1
	v_bfe_u32 v12, v9, 16, 1
	s_delay_alu instid0(VALU_DEP_1)
	v_add3_u32 v144, v9, v12, 0x7fff
                                        ; implicit-def: $vgpr9
; %bb.1390:                             ;   in Loop: Header=BB426_756 Depth=1
	s_and_not1_saveexec_b32 s12, s1
; %bb.1391:                             ;   in Loop: Header=BB426_756 Depth=1
	v_and_b32_e32 v12, 0xffff, v9
	v_or_b32_e32 v144, 0x10000, v9
	s_delay_alu instid0(VALU_DEP_2) | instskip(NEXT) | instid1(VALU_DEP_1)
	v_cmp_eq_u32_e64 s1, 0, v12
	v_cndmask_b32_e64 v144, v144, v9, s1
; %bb.1392:                             ;   in Loop: Header=BB426_756 Depth=1
	s_or_b32 exec_lo, exec_lo, s12
	v_mov_b32_e32 v9, 0
	s_mov_b32 s12, exec_lo
	v_cmpx_lt_u64_e64 s[8:9], v[6:7]
	s_cbranch_execz .LBB426_1400
; %bb.1393:                             ;   in Loop: Header=BB426_756 Depth=1
	v_lshrrev_b32_e32 v6, 24, v7
	v_bfrev_b32_e32 v9, 1
	s_mov_b32 s13, exec_lo
	s_delay_alu instid0(VALU_DEP_2)
	v_cmpx_ne_u32_e32 0x80, v6
	s_cbranch_execz .LBB426_1399
; %bb.1394:                             ;   in Loop: Header=BB426_756 Depth=1
	v_bfe_u32 v145, v7, 24, 7
	v_mov_b32_e32 v9, 0x7f800001
	s_mov_b32 s15, exec_lo
	s_delay_alu instid0(VALU_DEP_2)
	v_cmpx_ne_u32_e32 0x7f, v145
	s_cbranch_execz .LBB426_1398
; %bb.1395:                             ;   in Loop: Header=BB426_756 Depth=1
	v_and_b32_e32 v12, 7, v6
	v_lshrrev_b32_e32 v7, 3, v145
	s_mov_b32 s16, exec_lo
	v_cmpx_gt_u32_e32 8, v145
; %bb.1396:                             ;   in Loop: Header=BB426_756 Depth=1
	s_delay_alu instid0(VALU_DEP_3) | instskip(NEXT) | instid1(VALU_DEP_1)
	v_clz_i32_u32_e32 v7, v12
	v_min_u32_e32 v7, 32, v7
	s_delay_alu instid0(VALU_DEP_1) | instskip(SKIP_1) | instid1(VALU_DEP_2)
	v_subrev_nc_u32_e32 v9, 28, v7
	v_sub_nc_u32_e32 v7, 29, v7
	v_lshlrev_b64 v[145:146], v9, v[12:13]
	s_delay_alu instid0(VALU_DEP_1)
	v_and_b32_e32 v12, 7, v145
; %bb.1397:                             ;   in Loop: Header=BB426_756 Depth=1
	s_or_b32 exec_lo, exec_lo, s16
	v_lshlrev_b32_e32 v6, 24, v6
	s_delay_alu instid0(VALU_DEP_2) | instskip(SKIP_1) | instid1(VALU_DEP_3)
	v_lshlrev_b32_e32 v9, 20, v12
	v_lshl_add_u32 v7, v7, 23, 0x3c000000
	v_and_b32_e32 v6, 0x80000000, v6
	s_delay_alu instid0(VALU_DEP_1)
	v_or3_b32 v9, v9, v6, v7
.LBB426_1398:                           ;   in Loop: Header=BB426_756 Depth=1
	s_or_b32 exec_lo, exec_lo, s15
.LBB426_1399:                           ;   in Loop: Header=BB426_756 Depth=1
	s_delay_alu instid0(SALU_CYCLE_1)
	s_or_b32 exec_lo, exec_lo, s13
.LBB426_1400:                           ;   in Loop: Header=BB426_756 Depth=1
	s_delay_alu instid0(SALU_CYCLE_1) | instskip(NEXT) | instid1(VALU_DEP_1)
	s_or_b32 exec_lo, exec_lo, s12
	v_mul_f32_e32 v7, v37, v9
	s_delay_alu instid0(VALU_DEP_1) | instskip(NEXT) | instid1(VALU_DEP_1)
	v_and_b32_e32 v6, 0x7f800000, v7
	v_cmp_ne_u32_e64 s1, 0x7f800000, v6
                                        ; implicit-def: $vgpr6
	s_delay_alu instid0(VALU_DEP_1) | instskip(NEXT) | instid1(SALU_CYCLE_1)
	s_and_saveexec_b32 s12, s1
	s_xor_b32 s1, exec_lo, s12
; %bb.1401:                             ;   in Loop: Header=BB426_756 Depth=1
	v_bfe_u32 v6, v7, 16, 1
	s_delay_alu instid0(VALU_DEP_1)
	v_add3_u32 v6, v7, v6, 0x7fff
                                        ; implicit-def: $vgpr7
; %bb.1402:                             ;   in Loop: Header=BB426_756 Depth=1
	s_and_not1_saveexec_b32 s12, s1
; %bb.1403:                             ;   in Loop: Header=BB426_756 Depth=1
	v_and_b32_e32 v6, 0xffff, v7
	v_or_b32_e32 v9, 0x10000, v7
	s_delay_alu instid0(VALU_DEP_2) | instskip(NEXT) | instid1(VALU_DEP_1)
	v_cmp_eq_u32_e64 s1, 0, v6
	v_cndmask_b32_e64 v6, v9, v7, s1
; %bb.1404:                             ;   in Loop: Header=BB426_756 Depth=1
	s_or_b32 exec_lo, exec_lo, s12
	v_lshrrev_b32_e32 v8, 16, v8
	v_lshrrev_b32_e32 v9, 16, v135
	;; [unrolled: 1-line block ×8, first 2 shown]
	s_and_saveexec_b32 s12, s0
	s_cbranch_execz .LBB426_1406
; %bb.1405:                             ;   in Loop: Header=BB426_756 Depth=1
	v_add_nc_u32_e32 v134, -6, v48
	v_cmp_lt_i32_e64 s1, v66, v32
	v_add_nc_u32_e32 v135, -5, v48
	v_add_nc_u32_e32 v144, -2, v48
	s_delay_alu instid0(VALU_DEP_3) | instskip(SKIP_2) | instid1(VALU_DEP_2)
	v_cndmask_b32_e64 v131, 0, v131, s1
	v_cmp_lt_i32_e64 s1, v134, v32
	v_add_nc_u32_e32 v134, -4, v48
	v_cndmask_b32_e64 v132, 0, v132, s1
	v_cmp_lt_i32_e64 s1, v135, v32
	v_add_nc_u32_e32 v135, -3, v48
	s_delay_alu instid0(VALU_DEP_2) | instskip(SKIP_2) | instid1(VALU_DEP_2)
	v_cndmask_b32_e64 v133, 0, v133, s1
	v_cmp_lt_i32_e64 s1, v134, v32
	v_add_nc_u32_e32 v134, -1, v48
	v_cndmask_b32_e64 v12, 0, v12, s1
	v_cmp_lt_i32_e64 s1, v135, v32
	s_delay_alu instid0(VALU_DEP_1) | instskip(SKIP_1) | instid1(VALU_DEP_1)
	v_cndmask_b32_e64 v9, 0, v9, s1
	v_cmp_lt_i32_e64 s1, v144, v32
	v_cndmask_b32_e64 v8, 0, v8, s1
	v_cmp_lt_i32_e64 s1, v134, v32
	s_delay_alu instid0(VALU_DEP_1) | instskip(SKIP_1) | instid1(VALU_DEP_1)
	v_cndmask_b32_e64 v7, 0, v7, s1
	v_cmp_lt_i32_e64 s1, v48, v32
	v_cndmask_b32_e64 v6, 0, v6, s1
.LBB426_1406:                           ;   in Loop: Header=BB426_756 Depth=1
	s_or_b32 exec_lo, exec_lo, s12
	v_lshlrev_b32_e32 v131, 16, v131
	s_delay_alu instid0(VALU_DEP_1) | instskip(NEXT) | instid1(VALU_DEP_1)
	v_mul_f32_e32 v134, v67, v131
	v_and_b32_e32 v131, 0x7f800000, v134
	s_delay_alu instid0(VALU_DEP_1) | instskip(NEXT) | instid1(VALU_DEP_1)
	v_cmp_ne_u32_e64 s1, 0x7f800000, v131
                                        ; implicit-def: $vgpr131
	s_and_saveexec_b32 s12, s1
	s_delay_alu instid0(SALU_CYCLE_1)
	s_xor_b32 s1, exec_lo, s12
; %bb.1407:                             ;   in Loop: Header=BB426_756 Depth=1
	v_bfe_u32 v131, v134, 16, 1
	s_delay_alu instid0(VALU_DEP_1)
	v_add3_u32 v131, v134, v131, 0x7fff
                                        ; implicit-def: $vgpr134
; %bb.1408:                             ;   in Loop: Header=BB426_756 Depth=1
	s_and_not1_saveexec_b32 s12, s1
; %bb.1409:                             ;   in Loop: Header=BB426_756 Depth=1
	v_and_b32_e32 v131, 0xffff, v134
	v_or_b32_e32 v135, 0x10000, v134
	s_delay_alu instid0(VALU_DEP_2) | instskip(NEXT) | instid1(VALU_DEP_1)
	v_cmp_eq_u32_e64 s1, 0, v131
	v_cndmask_b32_e64 v131, v135, v134, s1
; %bb.1410:                             ;   in Loop: Header=BB426_756 Depth=1
	s_or_b32 exec_lo, exec_lo, s12
	v_lshlrev_b32_e32 v132, 16, v132
	s_delay_alu instid0(VALU_DEP_1) | instskip(NEXT) | instid1(VALU_DEP_1)
	v_mul_f32_e32 v134, v68, v132
	v_and_b32_e32 v132, 0x7f800000, v134
	s_delay_alu instid0(VALU_DEP_1) | instskip(NEXT) | instid1(VALU_DEP_1)
	v_cmp_ne_u32_e64 s1, 0x7f800000, v132
                                        ; implicit-def: $vgpr132
	s_and_saveexec_b32 s12, s1
	s_delay_alu instid0(SALU_CYCLE_1)
	s_xor_b32 s1, exec_lo, s12
; %bb.1411:                             ;   in Loop: Header=BB426_756 Depth=1
	v_bfe_u32 v132, v134, 16, 1
	s_delay_alu instid0(VALU_DEP_1)
	v_add3_u32 v132, v134, v132, 0x7fff
                                        ; implicit-def: $vgpr134
; %bb.1412:                             ;   in Loop: Header=BB426_756 Depth=1
	s_and_not1_saveexec_b32 s12, s1
; %bb.1413:                             ;   in Loop: Header=BB426_756 Depth=1
	v_and_b32_e32 v132, 0xffff, v134
	v_or_b32_e32 v135, 0x10000, v134
	s_delay_alu instid0(VALU_DEP_2) | instskip(NEXT) | instid1(VALU_DEP_1)
	v_cmp_eq_u32_e64 s1, 0, v132
	v_cndmask_b32_e64 v132, v135, v134, s1
; %bb.1414:                             ;   in Loop: Header=BB426_756 Depth=1
	s_or_b32 exec_lo, exec_lo, s12
	v_lshlrev_b32_e32 v133, 16, v133
	s_delay_alu instid0(VALU_DEP_1) | instskip(NEXT) | instid1(VALU_DEP_1)
	v_mul_f32_e32 v134, v69, v133
	v_and_b32_e32 v133, 0x7f800000, v134
	s_delay_alu instid0(VALU_DEP_1) | instskip(NEXT) | instid1(VALU_DEP_1)
	v_cmp_ne_u32_e64 s1, 0x7f800000, v133
                                        ; implicit-def: $vgpr133
	s_and_saveexec_b32 s12, s1
	s_delay_alu instid0(SALU_CYCLE_1)
	s_xor_b32 s1, exec_lo, s12
; %bb.1415:                             ;   in Loop: Header=BB426_756 Depth=1
	v_bfe_u32 v133, v134, 16, 1
	s_delay_alu instid0(VALU_DEP_1)
	v_add3_u32 v133, v134, v133, 0x7fff
                                        ; implicit-def: $vgpr134
; %bb.1416:                             ;   in Loop: Header=BB426_756 Depth=1
	s_and_not1_saveexec_b32 s12, s1
; %bb.1417:                             ;   in Loop: Header=BB426_756 Depth=1
	v_and_b32_e32 v133, 0xffff, v134
	v_or_b32_e32 v135, 0x10000, v134
	s_delay_alu instid0(VALU_DEP_2) | instskip(NEXT) | instid1(VALU_DEP_1)
	v_cmp_eq_u32_e64 s1, 0, v133
	v_cndmask_b32_e64 v133, v135, v134, s1
; %bb.1418:                             ;   in Loop: Header=BB426_756 Depth=1
	s_or_b32 exec_lo, exec_lo, s12
	v_lshlrev_b32_e32 v12, 16, v12
	s_delay_alu instid0(VALU_DEP_1) | instskip(NEXT) | instid1(VALU_DEP_1)
	v_mul_f32_e32 v12, v70, v12
	v_and_b32_e32 v134, 0x7f800000, v12
	s_delay_alu instid0(VALU_DEP_1) | instskip(NEXT) | instid1(VALU_DEP_1)
	v_cmp_ne_u32_e64 s1, 0x7f800000, v134
                                        ; implicit-def: $vgpr134
	s_and_saveexec_b32 s12, s1
	s_delay_alu instid0(SALU_CYCLE_1)
	s_xor_b32 s1, exec_lo, s12
; %bb.1419:                             ;   in Loop: Header=BB426_756 Depth=1
	v_bfe_u32 v134, v12, 16, 1
	s_delay_alu instid0(VALU_DEP_1)
	v_add3_u32 v134, v12, v134, 0x7fff
                                        ; implicit-def: $vgpr12
; %bb.1420:                             ;   in Loop: Header=BB426_756 Depth=1
	s_and_not1_saveexec_b32 s12, s1
; %bb.1421:                             ;   in Loop: Header=BB426_756 Depth=1
	v_and_b32_e32 v134, 0xffff, v12
	v_or_b32_e32 v135, 0x10000, v12
	s_delay_alu instid0(VALU_DEP_2) | instskip(NEXT) | instid1(VALU_DEP_1)
	v_cmp_eq_u32_e64 s1, 0, v134
	v_cndmask_b32_e64 v134, v135, v12, s1
; %bb.1422:                             ;   in Loop: Header=BB426_756 Depth=1
	s_or_b32 exec_lo, exec_lo, s12
	v_lshlrev_b32_e32 v9, 16, v9
                                        ; implicit-def: $vgpr135
	s_delay_alu instid0(VALU_DEP_1) | instskip(NEXT) | instid1(VALU_DEP_1)
	v_mul_f32_e32 v9, v71, v9
	v_and_b32_e32 v12, 0x7f800000, v9
	s_delay_alu instid0(VALU_DEP_1) | instskip(NEXT) | instid1(VALU_DEP_1)
	v_cmp_ne_u32_e64 s1, 0x7f800000, v12
	s_and_saveexec_b32 s12, s1
	s_delay_alu instid0(SALU_CYCLE_1)
	s_xor_b32 s1, exec_lo, s12
; %bb.1423:                             ;   in Loop: Header=BB426_756 Depth=1
	v_bfe_u32 v12, v9, 16, 1
	s_delay_alu instid0(VALU_DEP_1)
	v_add3_u32 v135, v9, v12, 0x7fff
                                        ; implicit-def: $vgpr9
; %bb.1424:                             ;   in Loop: Header=BB426_756 Depth=1
	s_and_not1_saveexec_b32 s12, s1
; %bb.1425:                             ;   in Loop: Header=BB426_756 Depth=1
	v_and_b32_e32 v12, 0xffff, v9
	v_or_b32_e32 v135, 0x10000, v9
	s_delay_alu instid0(VALU_DEP_2) | instskip(NEXT) | instid1(VALU_DEP_1)
	v_cmp_eq_u32_e64 s1, 0, v12
	v_cndmask_b32_e64 v135, v135, v9, s1
; %bb.1426:                             ;   in Loop: Header=BB426_756 Depth=1
	s_or_b32 exec_lo, exec_lo, s12
	v_lshlrev_b32_e32 v8, 16, v8
                                        ; implicit-def: $vgpr144
	s_delay_alu instid0(VALU_DEP_1) | instskip(NEXT) | instid1(VALU_DEP_1)
	v_mul_f32_e32 v8, v80, v8
	v_and_b32_e32 v9, 0x7f800000, v8
	s_delay_alu instid0(VALU_DEP_1) | instskip(NEXT) | instid1(VALU_DEP_1)
	v_cmp_ne_u32_e64 s1, 0x7f800000, v9
	s_and_saveexec_b32 s12, s1
	s_delay_alu instid0(SALU_CYCLE_1)
	s_xor_b32 s1, exec_lo, s12
; %bb.1427:                             ;   in Loop: Header=BB426_756 Depth=1
	v_bfe_u32 v9, v8, 16, 1
	s_delay_alu instid0(VALU_DEP_1)
	v_add3_u32 v144, v8, v9, 0x7fff
                                        ; implicit-def: $vgpr8
; %bb.1428:                             ;   in Loop: Header=BB426_756 Depth=1
	s_and_not1_saveexec_b32 s12, s1
; %bb.1429:                             ;   in Loop: Header=BB426_756 Depth=1
	v_and_b32_e32 v9, 0xffff, v8
	v_or_b32_e32 v12, 0x10000, v8
	s_delay_alu instid0(VALU_DEP_2) | instskip(NEXT) | instid1(VALU_DEP_1)
	v_cmp_eq_u32_e64 s1, 0, v9
	v_cndmask_b32_e64 v144, v12, v8, s1
; %bb.1430:                             ;   in Loop: Header=BB426_756 Depth=1
	s_or_b32 exec_lo, exec_lo, s12
	v_lshlrev_b32_e32 v7, 16, v7
                                        ; implicit-def: $vgpr145
	s_delay_alu instid0(VALU_DEP_1) | instskip(NEXT) | instid1(VALU_DEP_1)
	v_mul_f32_e32 v7, v81, v7
	v_and_b32_e32 v8, 0x7f800000, v7
	s_delay_alu instid0(VALU_DEP_1) | instskip(NEXT) | instid1(VALU_DEP_1)
	v_cmp_ne_u32_e64 s1, 0x7f800000, v8
	s_and_saveexec_b32 s12, s1
	s_delay_alu instid0(SALU_CYCLE_1)
	s_xor_b32 s1, exec_lo, s12
; %bb.1431:                             ;   in Loop: Header=BB426_756 Depth=1
	v_bfe_u32 v8, v7, 16, 1
	s_delay_alu instid0(VALU_DEP_1)
	v_add3_u32 v145, v7, v8, 0x7fff
                                        ; implicit-def: $vgpr7
; %bb.1432:                             ;   in Loop: Header=BB426_756 Depth=1
	s_and_not1_saveexec_b32 s12, s1
; %bb.1433:                             ;   in Loop: Header=BB426_756 Depth=1
	v_and_b32_e32 v8, 0xffff, v7
	v_or_b32_e32 v9, 0x10000, v7
	s_delay_alu instid0(VALU_DEP_2) | instskip(NEXT) | instid1(VALU_DEP_1)
	v_cmp_eq_u32_e64 s1, 0, v8
	v_cndmask_b32_e64 v145, v9, v7, s1
; %bb.1434:                             ;   in Loop: Header=BB426_756 Depth=1
	s_or_b32 exec_lo, exec_lo, s12
	v_lshlrev_b32_e32 v6, 16, v6
                                        ; implicit-def: $vgpr146
	s_delay_alu instid0(VALU_DEP_1) | instskip(NEXT) | instid1(VALU_DEP_1)
	v_mul_f32_e32 v6, v82, v6
	v_and_b32_e32 v7, 0x7f800000, v6
	s_delay_alu instid0(VALU_DEP_1) | instskip(NEXT) | instid1(VALU_DEP_1)
	v_cmp_ne_u32_e64 s1, 0x7f800000, v7
	s_and_saveexec_b32 s12, s1
	s_delay_alu instid0(SALU_CYCLE_1)
	s_xor_b32 s1, exec_lo, s12
; %bb.1435:                             ;   in Loop: Header=BB426_756 Depth=1
	v_bfe_u32 v7, v6, 16, 1
	s_delay_alu instid0(VALU_DEP_1)
	v_add3_u32 v146, v6, v7, 0x7fff
                                        ; implicit-def: $vgpr6
; %bb.1436:                             ;   in Loop: Header=BB426_756 Depth=1
	s_and_not1_saveexec_b32 s12, s1
; %bb.1437:                             ;   in Loop: Header=BB426_756 Depth=1
	v_and_b32_e32 v7, 0xffff, v6
	v_or_b32_e32 v8, 0x10000, v6
	s_delay_alu instid0(VALU_DEP_2) | instskip(NEXT) | instid1(VALU_DEP_1)
	v_cmp_eq_u32_e64 s1, 0, v7
	v_cndmask_b32_e64 v146, v8, v6, s1
; %bb.1438:                             ;   in Loop: Header=BB426_756 Depth=1
	s_or_b32 exec_lo, exec_lo, s12
	flat_load_b64 v[6:7], v[2:3] offset:1280
	s_mov_b32 s12, exec_lo
	s_waitcnt vmcnt(0) lgkmcnt(0)
	v_dual_mov_b32 v8, 0 :: v_dual_and_b32 v9, 0xff, v6
	s_delay_alu instid0(VALU_DEP_1)
	v_cmpx_ne_u16_e32 0, v9
	s_cbranch_execz .LBB426_1446
; %bb.1439:                             ;   in Loop: Header=BB426_756 Depth=1
	v_bfrev_b32_e32 v8, 1
	s_mov_b32 s13, exec_lo
	v_cmpx_ne_u16_e32 0x80, v9
	s_cbranch_execz .LBB426_1445
; %bb.1440:                             ;   in Loop: Header=BB426_756 Depth=1
	v_and_b32_e32 v9, 0x7f, v6
	v_mov_b32_e32 v8, 0x7f800001
	s_mov_b32 s15, exec_lo
	s_delay_alu instid0(VALU_DEP_2)
	v_cmpx_ne_u32_e32 0x7f, v9
	s_cbranch_execz .LBB426_1444
; %bb.1441:                             ;   in Loop: Header=BB426_756 Depth=1
	v_lshrrev_b32_e32 v12, 3, v9
	v_cmp_gt_u32_e64 s1, 8, v9
	v_dual_mov_b32 v9, v7 :: v_dual_mov_b32 v8, v6
	s_delay_alu instid0(VALU_DEP_2)
	s_and_saveexec_b32 s16, s1
; %bb.1442:                             ;   in Loop: Header=BB426_756 Depth=1
	v_and_b32_e32 v8, 7, v6
	s_delay_alu instid0(VALU_DEP_1) | instskip(NEXT) | instid1(VALU_DEP_1)
	v_clz_i32_u32_e32 v8, v8
	v_min_u32_e32 v12, 32, v8
	s_delay_alu instid0(VALU_DEP_1) | instskip(SKIP_1) | instid1(VALU_DEP_2)
	v_subrev_nc_u32_e32 v8, 28, v12
	v_sub_nc_u32_e32 v12, 29, v12
	v_lshlrev_b64 v[8:9], v8, v[6:7]
; %bb.1443:                             ;   in Loop: Header=BB426_756 Depth=1
	s_or_b32 exec_lo, exec_lo, s16
	s_delay_alu instid0(VALU_DEP_1) | instskip(SKIP_2) | instid1(VALU_DEP_3)
	v_lshlrev_b32_e32 v8, 20, v8
	v_lshlrev_b32_e32 v9, 24, v6
	v_lshl_add_u32 v12, v12, 23, 0x3c000000
	v_and_b32_e32 v8, 0x700000, v8
	s_delay_alu instid0(VALU_DEP_3) | instskip(NEXT) | instid1(VALU_DEP_1)
	v_and_b32_e32 v9, 0x80000000, v9
	v_or3_b32 v8, v8, v9, v12
.LBB426_1444:                           ;   in Loop: Header=BB426_756 Depth=1
	s_or_b32 exec_lo, exec_lo, s15
.LBB426_1445:                           ;   in Loop: Header=BB426_756 Depth=1
	s_delay_alu instid0(SALU_CYCLE_1)
	s_or_b32 exec_lo, exec_lo, s13
.LBB426_1446:                           ;   in Loop: Header=BB426_756 Depth=1
	s_delay_alu instid0(SALU_CYCLE_1) | instskip(NEXT) | instid1(VALU_DEP_1)
	s_or_b32 exec_lo, exec_lo, s12
	v_mul_f32_e32 v8, v37, v8
                                        ; implicit-def: $vgpr147
	s_delay_alu instid0(VALU_DEP_1) | instskip(NEXT) | instid1(VALU_DEP_1)
	v_and_b32_e32 v9, 0x7f800000, v8
	v_cmp_ne_u32_e64 s1, 0x7f800000, v9
	s_delay_alu instid0(VALU_DEP_1) | instskip(NEXT) | instid1(SALU_CYCLE_1)
	s_and_saveexec_b32 s12, s1
	s_xor_b32 s1, exec_lo, s12
; %bb.1447:                             ;   in Loop: Header=BB426_756 Depth=1
	v_bfe_u32 v9, v8, 16, 1
	s_delay_alu instid0(VALU_DEP_1)
	v_add3_u32 v147, v8, v9, 0x7fff
                                        ; implicit-def: $vgpr8
; %bb.1448:                             ;   in Loop: Header=BB426_756 Depth=1
	s_and_not1_saveexec_b32 s12, s1
; %bb.1449:                             ;   in Loop: Header=BB426_756 Depth=1
	v_and_b32_e32 v9, 0xffff, v8
	v_or_b32_e32 v12, 0x10000, v8
	s_delay_alu instid0(VALU_DEP_2) | instskip(NEXT) | instid1(VALU_DEP_1)
	v_cmp_eq_u32_e64 s1, 0, v9
	v_cndmask_b32_e64 v147, v12, v8, s1
; %bb.1450:                             ;   in Loop: Header=BB426_756 Depth=1
	s_or_b32 exec_lo, exec_lo, s12
	v_lshrrev_b16 v9, 8, v6
	v_mov_b32_e32 v8, 0
	s_mov_b32 s12, exec_lo
	s_delay_alu instid0(VALU_DEP_2)
	v_cmpx_ne_u16_e32 0, v9
	s_cbranch_execz .LBB426_1458
; %bb.1451:                             ;   in Loop: Header=BB426_756 Depth=1
	v_bfrev_b32_e32 v8, 1
	s_mov_b32 s13, exec_lo
	v_cmpx_ne_u16_e32 0x80, v9
	s_cbranch_execz .LBB426_1457
; %bb.1452:                             ;   in Loop: Header=BB426_756 Depth=1
	v_and_b32_e32 v12, 0xffff, v9
	v_mov_b32_e32 v8, 0x7f800001
	s_mov_b32 s15, exec_lo
	s_delay_alu instid0(VALU_DEP_2) | instskip(NEXT) | instid1(VALU_DEP_1)
	v_and_b32_e32 v9, 0x7f, v12
	v_cmpx_ne_u32_e32 0x7f, v9
	s_cbranch_execz .LBB426_1456
; %bb.1453:                             ;   in Loop: Header=BB426_756 Depth=1
	v_and_b32_e32 v12, 7, v12
	v_lshrrev_b32_e32 v8, 3, v9
	s_mov_b32 s16, exec_lo
	v_cmpx_gt_u32_e32 8, v9
; %bb.1454:                             ;   in Loop: Header=BB426_756 Depth=1
	s_delay_alu instid0(VALU_DEP_3) | instskip(NEXT) | instid1(VALU_DEP_1)
	v_clz_i32_u32_e32 v8, v12
	v_min_u32_e32 v8, 32, v8
	s_delay_alu instid0(VALU_DEP_1) | instskip(SKIP_1) | instid1(VALU_DEP_2)
	v_subrev_nc_u32_e32 v9, 28, v8
	v_sub_nc_u32_e32 v8, 29, v8
	v_lshlrev_b64 v[148:149], v9, v[12:13]
	s_delay_alu instid0(VALU_DEP_1)
	v_and_b32_e32 v12, 7, v148
; %bb.1455:                             ;   in Loop: Header=BB426_756 Depth=1
	s_or_b32 exec_lo, exec_lo, s16
	v_lshlrev_b32_e32 v9, 16, v6
	s_delay_alu instid0(VALU_DEP_2) | instskip(SKIP_1) | instid1(VALU_DEP_3)
	v_lshlrev_b32_e32 v12, 20, v12
	v_lshl_add_u32 v8, v8, 23, 0x3c000000
	v_and_b32_e32 v9, 0x80000000, v9
	s_delay_alu instid0(VALU_DEP_1)
	v_or3_b32 v8, v12, v9, v8
.LBB426_1456:                           ;   in Loop: Header=BB426_756 Depth=1
	s_or_b32 exec_lo, exec_lo, s15
.LBB426_1457:                           ;   in Loop: Header=BB426_756 Depth=1
	s_delay_alu instid0(SALU_CYCLE_1)
	s_or_b32 exec_lo, exec_lo, s13
.LBB426_1458:                           ;   in Loop: Header=BB426_756 Depth=1
	s_delay_alu instid0(SALU_CYCLE_1) | instskip(NEXT) | instid1(VALU_DEP_1)
	s_or_b32 exec_lo, exec_lo, s12
	v_mul_f32_e32 v8, v37, v8
                                        ; implicit-def: $vgpr148
	s_delay_alu instid0(VALU_DEP_1) | instskip(NEXT) | instid1(VALU_DEP_1)
	v_and_b32_e32 v9, 0x7f800000, v8
	v_cmp_ne_u32_e64 s1, 0x7f800000, v9
	s_delay_alu instid0(VALU_DEP_1) | instskip(NEXT) | instid1(SALU_CYCLE_1)
	s_and_saveexec_b32 s12, s1
	s_xor_b32 s1, exec_lo, s12
; %bb.1459:                             ;   in Loop: Header=BB426_756 Depth=1
	v_bfe_u32 v9, v8, 16, 1
	s_delay_alu instid0(VALU_DEP_1)
	v_add3_u32 v148, v8, v9, 0x7fff
                                        ; implicit-def: $vgpr8
; %bb.1460:                             ;   in Loop: Header=BB426_756 Depth=1
	s_and_not1_saveexec_b32 s12, s1
; %bb.1461:                             ;   in Loop: Header=BB426_756 Depth=1
	v_and_b32_e32 v9, 0xffff, v8
	v_or_b32_e32 v12, 0x10000, v8
	s_delay_alu instid0(VALU_DEP_2) | instskip(NEXT) | instid1(VALU_DEP_1)
	v_cmp_eq_u32_e64 s1, 0, v9
	v_cndmask_b32_e64 v148, v12, v8, s1
; %bb.1462:                             ;   in Loop: Header=BB426_756 Depth=1
	s_or_b32 exec_lo, exec_lo, s12
	v_lshrrev_b32_e32 v8, 16, v6
	s_mov_b32 s12, exec_lo
	s_delay_alu instid0(VALU_DEP_1) | instskip(NEXT) | instid1(VALU_DEP_1)
	v_dual_mov_b32 v9, 0 :: v_dual_and_b32 v12, 0xff, v8
	v_cmpx_ne_u16_e32 0, v12
	s_cbranch_execz .LBB426_1470
; %bb.1463:                             ;   in Loop: Header=BB426_756 Depth=1
	v_bfrev_b32_e32 v9, 1
	s_mov_b32 s13, exec_lo
	v_cmpx_ne_u16_e32 0x80, v12
	s_cbranch_execz .LBB426_1469
; %bb.1464:                             ;   in Loop: Header=BB426_756 Depth=1
	v_bfe_u32 v149, v6, 16, 7
	v_mov_b32_e32 v9, 0x7f800001
	s_mov_b32 s15, exec_lo
	s_delay_alu instid0(VALU_DEP_2)
	v_cmpx_ne_u32_e32 0x7f, v149
	s_cbranch_execz .LBB426_1468
; %bb.1465:                             ;   in Loop: Header=BB426_756 Depth=1
	v_and_b32_e32 v12, 7, v8
	v_lshrrev_b32_e32 v9, 3, v149
	s_mov_b32 s16, exec_lo
	v_cmpx_gt_u32_e32 8, v149
; %bb.1466:                             ;   in Loop: Header=BB426_756 Depth=1
	s_delay_alu instid0(VALU_DEP_3) | instskip(NEXT) | instid1(VALU_DEP_1)
	v_clz_i32_u32_e32 v9, v12
	v_min_u32_e32 v9, 32, v9
	s_delay_alu instid0(VALU_DEP_1) | instskip(SKIP_1) | instid1(VALU_DEP_2)
	v_subrev_nc_u32_e32 v149, 28, v9
	v_sub_nc_u32_e32 v9, 29, v9
	v_lshlrev_b64 v[149:150], v149, v[12:13]
	s_delay_alu instid0(VALU_DEP_1)
	v_and_b32_e32 v12, 7, v149
; %bb.1467:                             ;   in Loop: Header=BB426_756 Depth=1
	s_or_b32 exec_lo, exec_lo, s16
	v_lshlrev_b32_e32 v8, 24, v8
	s_delay_alu instid0(VALU_DEP_2) | instskip(SKIP_1) | instid1(VALU_DEP_3)
	v_lshlrev_b32_e32 v12, 20, v12
	v_lshl_add_u32 v9, v9, 23, 0x3c000000
	v_and_b32_e32 v8, 0x80000000, v8
	s_delay_alu instid0(VALU_DEP_1)
	v_or3_b32 v9, v12, v8, v9
.LBB426_1468:                           ;   in Loop: Header=BB426_756 Depth=1
	s_or_b32 exec_lo, exec_lo, s15
.LBB426_1469:                           ;   in Loop: Header=BB426_756 Depth=1
	s_delay_alu instid0(SALU_CYCLE_1)
	s_or_b32 exec_lo, exec_lo, s13
.LBB426_1470:                           ;   in Loop: Header=BB426_756 Depth=1
	s_delay_alu instid0(SALU_CYCLE_1) | instskip(NEXT) | instid1(VALU_DEP_1)
	s_or_b32 exec_lo, exec_lo, s12
	v_mul_f32_e32 v8, v37, v9
                                        ; implicit-def: $vgpr149
	s_delay_alu instid0(VALU_DEP_1) | instskip(NEXT) | instid1(VALU_DEP_1)
	v_and_b32_e32 v9, 0x7f800000, v8
	v_cmp_ne_u32_e64 s1, 0x7f800000, v9
	s_delay_alu instid0(VALU_DEP_1) | instskip(NEXT) | instid1(SALU_CYCLE_1)
	s_and_saveexec_b32 s12, s1
	s_xor_b32 s1, exec_lo, s12
; %bb.1471:                             ;   in Loop: Header=BB426_756 Depth=1
	v_bfe_u32 v9, v8, 16, 1
	s_delay_alu instid0(VALU_DEP_1)
	v_add3_u32 v149, v8, v9, 0x7fff
                                        ; implicit-def: $vgpr8
; %bb.1472:                             ;   in Loop: Header=BB426_756 Depth=1
	s_and_not1_saveexec_b32 s12, s1
; %bb.1473:                             ;   in Loop: Header=BB426_756 Depth=1
	v_and_b32_e32 v9, 0xffff, v8
	v_or_b32_e32 v12, 0x10000, v8
	s_delay_alu instid0(VALU_DEP_2) | instskip(NEXT) | instid1(VALU_DEP_1)
	v_cmp_eq_u32_e64 s1, 0, v9
	v_cndmask_b32_e64 v149, v12, v8, s1
; %bb.1474:                             ;   in Loop: Header=BB426_756 Depth=1
	s_or_b32 exec_lo, exec_lo, s12
	v_mov_b32_e32 v9, 0
	s_mov_b32 s12, exec_lo
	v_cmpx_lt_u32_e32 0xffffff, v6
	s_cbranch_execz .LBB426_1482
; %bb.1475:                             ;   in Loop: Header=BB426_756 Depth=1
	v_lshrrev_b32_e32 v8, 24, v6
	v_bfrev_b32_e32 v9, 1
	s_mov_b32 s13, exec_lo
	s_delay_alu instid0(VALU_DEP_2)
	v_cmpx_ne_u32_e32 0x80, v8
	s_cbranch_execz .LBB426_1481
; %bb.1476:                             ;   in Loop: Header=BB426_756 Depth=1
	v_bfe_u32 v150, v6, 24, 7
	v_mov_b32_e32 v9, 0x7f800001
	s_mov_b32 s15, exec_lo
	s_delay_alu instid0(VALU_DEP_2)
	v_cmpx_ne_u32_e32 0x7f, v150
	s_cbranch_execz .LBB426_1480
; %bb.1477:                             ;   in Loop: Header=BB426_756 Depth=1
	v_and_b32_e32 v12, 7, v8
	v_lshrrev_b32_e32 v9, 3, v150
	s_mov_b32 s16, exec_lo
	v_cmpx_gt_u32_e32 8, v150
; %bb.1478:                             ;   in Loop: Header=BB426_756 Depth=1
	s_delay_alu instid0(VALU_DEP_3) | instskip(NEXT) | instid1(VALU_DEP_1)
	v_clz_i32_u32_e32 v9, v12
	v_min_u32_e32 v9, 32, v9
	s_delay_alu instid0(VALU_DEP_1) | instskip(SKIP_1) | instid1(VALU_DEP_2)
	v_subrev_nc_u32_e32 v150, 28, v9
	v_sub_nc_u32_e32 v9, 29, v9
	v_lshlrev_b64 v[150:151], v150, v[12:13]
	s_delay_alu instid0(VALU_DEP_1)
	v_and_b32_e32 v12, 7, v150
; %bb.1479:                             ;   in Loop: Header=BB426_756 Depth=1
	s_or_b32 exec_lo, exec_lo, s16
	v_lshlrev_b32_e32 v8, 24, v8
	s_delay_alu instid0(VALU_DEP_2) | instskip(SKIP_1) | instid1(VALU_DEP_3)
	v_lshlrev_b32_e32 v12, 20, v12
	v_lshl_add_u32 v9, v9, 23, 0x3c000000
	v_and_b32_e32 v8, 0x80000000, v8
	s_delay_alu instid0(VALU_DEP_1)
	v_or3_b32 v9, v12, v8, v9
.LBB426_1480:                           ;   in Loop: Header=BB426_756 Depth=1
	s_or_b32 exec_lo, exec_lo, s15
.LBB426_1481:                           ;   in Loop: Header=BB426_756 Depth=1
	s_delay_alu instid0(SALU_CYCLE_1)
	s_or_b32 exec_lo, exec_lo, s13
.LBB426_1482:                           ;   in Loop: Header=BB426_756 Depth=1
	s_delay_alu instid0(SALU_CYCLE_1) | instskip(NEXT) | instid1(VALU_DEP_1)
	s_or_b32 exec_lo, exec_lo, s12
	v_mul_f32_e32 v8, v37, v9
                                        ; implicit-def: $vgpr150
	s_delay_alu instid0(VALU_DEP_1) | instskip(NEXT) | instid1(VALU_DEP_1)
	v_and_b32_e32 v9, 0x7f800000, v8
	v_cmp_ne_u32_e64 s1, 0x7f800000, v9
	s_delay_alu instid0(VALU_DEP_1) | instskip(NEXT) | instid1(SALU_CYCLE_1)
	s_and_saveexec_b32 s12, s1
	s_xor_b32 s1, exec_lo, s12
; %bb.1483:                             ;   in Loop: Header=BB426_756 Depth=1
	v_bfe_u32 v9, v8, 16, 1
	s_delay_alu instid0(VALU_DEP_1)
	v_add3_u32 v150, v8, v9, 0x7fff
                                        ; implicit-def: $vgpr8
; %bb.1484:                             ;   in Loop: Header=BB426_756 Depth=1
	s_and_not1_saveexec_b32 s12, s1
; %bb.1485:                             ;   in Loop: Header=BB426_756 Depth=1
	v_and_b32_e32 v9, 0xffff, v8
	v_or_b32_e32 v12, 0x10000, v8
	s_delay_alu instid0(VALU_DEP_2) | instskip(NEXT) | instid1(VALU_DEP_1)
	v_cmp_eq_u32_e64 s1, 0, v9
	v_cndmask_b32_e64 v150, v12, v8, s1
; %bb.1486:                             ;   in Loop: Header=BB426_756 Depth=1
	s_or_b32 exec_lo, exec_lo, s12
	v_dual_mov_b32 v12, v7 :: v_dual_and_b32 v9, 0xff, v7
	v_mov_b32_e32 v8, 0
	s_mov_b32 s12, exec_lo
	s_delay_alu instid0(VALU_DEP_2)
	v_cmpx_ne_u16_e32 0, v9
	s_cbranch_execz .LBB426_1494
; %bb.1487:                             ;   in Loop: Header=BB426_756 Depth=1
	v_bfrev_b32_e32 v8, 1
	s_mov_b32 s13, exec_lo
	v_cmpx_ne_u16_e32 0x80, v9
	s_cbranch_execz .LBB426_1493
; %bb.1488:                             ;   in Loop: Header=BB426_756 Depth=1
	v_and_b32_e32 v9, 0x7f, v7
	v_mov_b32_e32 v8, 0x7f800001
	s_mov_b32 s15, exec_lo
	s_delay_alu instid0(VALU_DEP_2)
	v_cmpx_ne_u32_e32 0x7f, v9
	s_cbranch_execz .LBB426_1492
; %bb.1489:                             ;   in Loop: Header=BB426_756 Depth=1
	v_lshrrev_b32_e32 v151, 3, v9
	v_cmp_gt_u32_e64 s1, 8, v9
	v_dual_mov_b32 v8, v12 :: v_dual_mov_b32 v9, v13
	s_delay_alu instid0(VALU_DEP_2)
	s_and_saveexec_b32 s16, s1
; %bb.1490:                             ;   in Loop: Header=BB426_756 Depth=1
	v_and_b32_e32 v8, 7, v7
	s_delay_alu instid0(VALU_DEP_1) | instskip(NEXT) | instid1(VALU_DEP_1)
	v_clz_i32_u32_e32 v8, v8
	v_min_u32_e32 v151, 32, v8
	s_delay_alu instid0(VALU_DEP_1) | instskip(SKIP_1) | instid1(VALU_DEP_2)
	v_subrev_nc_u32_e32 v8, 28, v151
	v_sub_nc_u32_e32 v151, 29, v151
	v_lshlrev_b64 v[8:9], v8, v[12:13]
; %bb.1491:                             ;   in Loop: Header=BB426_756 Depth=1
	s_or_b32 exec_lo, exec_lo, s16
	s_delay_alu instid0(VALU_DEP_1) | instskip(SKIP_2) | instid1(VALU_DEP_3)
	v_lshlrev_b32_e32 v8, 20, v8
	v_lshlrev_b32_e32 v9, 24, v12
	v_lshl_add_u32 v151, v151, 23, 0x3c000000
	v_and_b32_e32 v8, 0x700000, v8
	s_delay_alu instid0(VALU_DEP_3) | instskip(NEXT) | instid1(VALU_DEP_1)
	v_and_b32_e32 v9, 0x80000000, v9
	v_or3_b32 v8, v8, v9, v151
.LBB426_1492:                           ;   in Loop: Header=BB426_756 Depth=1
	s_or_b32 exec_lo, exec_lo, s15
.LBB426_1493:                           ;   in Loop: Header=BB426_756 Depth=1
	s_delay_alu instid0(SALU_CYCLE_1)
	s_or_b32 exec_lo, exec_lo, s13
.LBB426_1494:                           ;   in Loop: Header=BB426_756 Depth=1
	s_delay_alu instid0(SALU_CYCLE_1) | instskip(NEXT) | instid1(VALU_DEP_1)
	s_or_b32 exec_lo, exec_lo, s12
	v_mul_f32_e32 v8, v37, v8
                                        ; implicit-def: $vgpr151
	s_delay_alu instid0(VALU_DEP_1) | instskip(NEXT) | instid1(VALU_DEP_1)
	v_and_b32_e32 v9, 0x7f800000, v8
	v_cmp_ne_u32_e64 s1, 0x7f800000, v9
	s_delay_alu instid0(VALU_DEP_1) | instskip(NEXT) | instid1(SALU_CYCLE_1)
	s_and_saveexec_b32 s12, s1
	s_xor_b32 s1, exec_lo, s12
; %bb.1495:                             ;   in Loop: Header=BB426_756 Depth=1
	v_bfe_u32 v9, v8, 16, 1
	s_delay_alu instid0(VALU_DEP_1)
	v_add3_u32 v151, v8, v9, 0x7fff
                                        ; implicit-def: $vgpr8
; %bb.1496:                             ;   in Loop: Header=BB426_756 Depth=1
	s_and_not1_saveexec_b32 s12, s1
; %bb.1497:                             ;   in Loop: Header=BB426_756 Depth=1
	v_and_b32_e32 v9, 0xffff, v8
	v_or_b32_e32 v151, 0x10000, v8
	s_delay_alu instid0(VALU_DEP_2) | instskip(NEXT) | instid1(VALU_DEP_1)
	v_cmp_eq_u32_e64 s1, 0, v9
	v_cndmask_b32_e64 v151, v151, v8, s1
; %bb.1498:                             ;   in Loop: Header=BB426_756 Depth=1
	s_or_b32 exec_lo, exec_lo, s12
	v_lshrrev_b16 v9, 8, v12
	v_mov_b32_e32 v8, 0
	s_mov_b32 s12, exec_lo
	s_delay_alu instid0(VALU_DEP_2)
	v_cmpx_ne_u16_e32 0, v9
	s_cbranch_execz .LBB426_1506
; %bb.1499:                             ;   in Loop: Header=BB426_756 Depth=1
	v_bfrev_b32_e32 v8, 1
	s_mov_b32 s13, exec_lo
	v_cmpx_ne_u16_e32 0x80, v9
	s_cbranch_execz .LBB426_1505
; %bb.1500:                             ;   in Loop: Header=BB426_756 Depth=1
	v_and_b32_e32 v9, 0xffff, v9
	v_mov_b32_e32 v8, 0x7f800001
	s_mov_b32 s15, exec_lo
	s_delay_alu instid0(VALU_DEP_2) | instskip(NEXT) | instid1(VALU_DEP_1)
	v_and_b32_e32 v161, 0x7f, v9
	v_cmpx_ne_u32_e32 0x7f, v161
	s_cbranch_execz .LBB426_1504
; %bb.1501:                             ;   in Loop: Header=BB426_756 Depth=1
	v_dual_mov_b32 v9, v13 :: v_dual_and_b32 v8, 7, v9
	v_lshrrev_b32_e32 v160, 3, v161
	s_mov_b32 s16, exec_lo
	v_cmpx_gt_u32_e32 8, v161
; %bb.1502:                             ;   in Loop: Header=BB426_756 Depth=1
	s_delay_alu instid0(VALU_DEP_3) | instskip(NEXT) | instid1(VALU_DEP_1)
	v_clz_i32_u32_e32 v160, v8
	v_min_u32_e32 v160, 32, v160
	s_delay_alu instid0(VALU_DEP_1) | instskip(SKIP_1) | instid1(VALU_DEP_2)
	v_subrev_nc_u32_e32 v161, 28, v160
	v_sub_nc_u32_e32 v160, 29, v160
	v_lshlrev_b64 v[8:9], v161, v[8:9]
	s_delay_alu instid0(VALU_DEP_1)
	v_and_b32_e32 v8, 7, v8
; %bb.1503:                             ;   in Loop: Header=BB426_756 Depth=1
	s_or_b32 exec_lo, exec_lo, s16
	v_lshlrev_b32_e32 v9, 16, v12
	s_delay_alu instid0(VALU_DEP_2) | instskip(SKIP_1) | instid1(VALU_DEP_3)
	v_lshlrev_b32_e32 v8, 20, v8
	v_lshl_add_u32 v12, v160, 23, 0x3c000000
	v_and_b32_e32 v9, 0x80000000, v9
	s_delay_alu instid0(VALU_DEP_1)
	v_or3_b32 v8, v8, v9, v12
.LBB426_1504:                           ;   in Loop: Header=BB426_756 Depth=1
	s_or_b32 exec_lo, exec_lo, s15
.LBB426_1505:                           ;   in Loop: Header=BB426_756 Depth=1
	s_delay_alu instid0(SALU_CYCLE_1)
	s_or_b32 exec_lo, exec_lo, s13
.LBB426_1506:                           ;   in Loop: Header=BB426_756 Depth=1
	s_delay_alu instid0(SALU_CYCLE_1) | instskip(NEXT) | instid1(VALU_DEP_1)
	s_or_b32 exec_lo, exec_lo, s12
	v_mul_f32_e32 v9, v37, v8
	s_delay_alu instid0(VALU_DEP_1) | instskip(NEXT) | instid1(VALU_DEP_1)
	v_and_b32_e32 v8, 0x7f800000, v9
	v_cmp_ne_u32_e64 s1, 0x7f800000, v8
                                        ; implicit-def: $vgpr8
	s_delay_alu instid0(VALU_DEP_1) | instskip(NEXT) | instid1(SALU_CYCLE_1)
	s_and_saveexec_b32 s12, s1
	s_xor_b32 s1, exec_lo, s12
; %bb.1507:                             ;   in Loop: Header=BB426_756 Depth=1
	v_bfe_u32 v8, v9, 16, 1
	s_delay_alu instid0(VALU_DEP_1)
	v_add3_u32 v8, v9, v8, 0x7fff
                                        ; implicit-def: $vgpr9
; %bb.1508:                             ;   in Loop: Header=BB426_756 Depth=1
	s_and_not1_saveexec_b32 s12, s1
; %bb.1509:                             ;   in Loop: Header=BB426_756 Depth=1
	v_and_b32_e32 v8, 0xffff, v9
	v_or_b32_e32 v12, 0x10000, v9
	s_delay_alu instid0(VALU_DEP_2) | instskip(NEXT) | instid1(VALU_DEP_1)
	v_cmp_eq_u32_e64 s1, 0, v8
	v_cndmask_b32_e64 v8, v12, v9, s1
; %bb.1510:                             ;   in Loop: Header=BB426_756 Depth=1
	s_or_b32 exec_lo, exec_lo, s12
	v_lshrrev_b32_e32 v9, 16, v7
	v_mov_b32_e32 v12, 0
	s_mov_b32 s12, exec_lo
	s_delay_alu instid0(VALU_DEP_2) | instskip(NEXT) | instid1(VALU_DEP_1)
	v_and_b32_e32 v160, 0xff, v9
	v_cmpx_ne_u16_e64 0, v160
	s_cbranch_execz .LBB426_1518
; %bb.1511:                             ;   in Loop: Header=BB426_756 Depth=1
	v_bfrev_b32_e32 v12, 1
	s_mov_b32 s13, exec_lo
	v_cmpx_ne_u16_e64 0x80, v160
	s_cbranch_execz .LBB426_1517
; %bb.1512:                             ;   in Loop: Header=BB426_756 Depth=1
	v_bfe_u32 v161, v7, 16, 7
	v_mov_b32_e32 v12, 0x7f800001
	s_mov_b32 s15, exec_lo
	s_delay_alu instid0(VALU_DEP_2)
	v_cmpx_ne_u32_e32 0x7f, v161
	s_cbranch_execz .LBB426_1516
; %bb.1513:                             ;   in Loop: Header=BB426_756 Depth=1
	v_and_b32_e32 v12, 7, v9
	v_lshrrev_b32_e32 v160, 3, v161
	s_mov_b32 s16, exec_lo
	v_cmpx_gt_u32_e32 8, v161
; %bb.1514:                             ;   in Loop: Header=BB426_756 Depth=1
	s_delay_alu instid0(VALU_DEP_3) | instskip(NEXT) | instid1(VALU_DEP_1)
	v_clz_i32_u32_e32 v160, v12
	v_min_u32_e32 v160, 32, v160
	s_delay_alu instid0(VALU_DEP_1) | instskip(SKIP_1) | instid1(VALU_DEP_2)
	v_subrev_nc_u32_e32 v161, 28, v160
	v_sub_nc_u32_e32 v160, 29, v160
	v_lshlrev_b64 v[161:162], v161, v[12:13]
	s_delay_alu instid0(VALU_DEP_1)
	v_and_b32_e32 v12, 7, v161
; %bb.1515:                             ;   in Loop: Header=BB426_756 Depth=1
	s_or_b32 exec_lo, exec_lo, s16
	v_lshlrev_b32_e32 v9, 24, v9
	s_delay_alu instid0(VALU_DEP_2) | instskip(SKIP_1) | instid1(VALU_DEP_3)
	v_lshlrev_b32_e32 v12, 20, v12
	v_lshl_add_u32 v160, v160, 23, 0x3c000000
	v_and_b32_e32 v9, 0x80000000, v9
	s_delay_alu instid0(VALU_DEP_1)
	v_or3_b32 v12, v12, v9, v160
.LBB426_1516:                           ;   in Loop: Header=BB426_756 Depth=1
	s_or_b32 exec_lo, exec_lo, s15
.LBB426_1517:                           ;   in Loop: Header=BB426_756 Depth=1
	s_delay_alu instid0(SALU_CYCLE_1)
	s_or_b32 exec_lo, exec_lo, s13
.LBB426_1518:                           ;   in Loop: Header=BB426_756 Depth=1
	s_delay_alu instid0(SALU_CYCLE_1) | instskip(NEXT) | instid1(VALU_DEP_1)
	s_or_b32 exec_lo, exec_lo, s12
	v_mul_f32_e32 v12, v37, v12
	s_delay_alu instid0(VALU_DEP_1) | instskip(NEXT) | instid1(VALU_DEP_1)
	v_and_b32_e32 v9, 0x7f800000, v12
	v_cmp_ne_u32_e64 s1, 0x7f800000, v9
                                        ; implicit-def: $vgpr9
	s_delay_alu instid0(VALU_DEP_1) | instskip(NEXT) | instid1(SALU_CYCLE_1)
	s_and_saveexec_b32 s12, s1
	s_xor_b32 s1, exec_lo, s12
; %bb.1519:                             ;   in Loop: Header=BB426_756 Depth=1
	v_bfe_u32 v9, v12, 16, 1
	s_delay_alu instid0(VALU_DEP_1)
	v_add3_u32 v9, v12, v9, 0x7fff
                                        ; implicit-def: $vgpr12
; %bb.1520:                             ;   in Loop: Header=BB426_756 Depth=1
	s_and_not1_saveexec_b32 s12, s1
; %bb.1521:                             ;   in Loop: Header=BB426_756 Depth=1
	v_and_b32_e32 v9, 0xffff, v12
	v_or_b32_e32 v160, 0x10000, v12
	s_delay_alu instid0(VALU_DEP_2) | instskip(NEXT) | instid1(VALU_DEP_1)
	v_cmp_eq_u32_e64 s1, 0, v9
	v_cndmask_b32_e64 v9, v160, v12, s1
; %bb.1522:                             ;   in Loop: Header=BB426_756 Depth=1
	s_or_b32 exec_lo, exec_lo, s12
	v_mov_b32_e32 v12, 0
	s_mov_b32 s12, exec_lo
	v_cmpx_lt_u64_e64 s[8:9], v[6:7]
	s_cbranch_execz .LBB426_1530
; %bb.1523:                             ;   in Loop: Header=BB426_756 Depth=1
	v_lshrrev_b32_e32 v6, 24, v7
	v_bfrev_b32_e32 v12, 1
	s_mov_b32 s13, exec_lo
	s_delay_alu instid0(VALU_DEP_2)
	v_cmpx_ne_u32_e32 0x80, v6
	s_cbranch_execz .LBB426_1529
; %bb.1524:                             ;   in Loop: Header=BB426_756 Depth=1
	v_bfe_u32 v160, v7, 24, 7
	v_mov_b32_e32 v12, 0x7f800001
	s_mov_b32 s15, exec_lo
	s_delay_alu instid0(VALU_DEP_2)
	v_cmpx_ne_u32_e32 0x7f, v160
	s_cbranch_execz .LBB426_1528
; %bb.1525:                             ;   in Loop: Header=BB426_756 Depth=1
	v_and_b32_e32 v12, 7, v6
	v_lshrrev_b32_e32 v7, 3, v160
	s_mov_b32 s16, exec_lo
	v_cmpx_gt_u32_e32 8, v160
; %bb.1526:                             ;   in Loop: Header=BB426_756 Depth=1
	s_delay_alu instid0(VALU_DEP_3) | instskip(NEXT) | instid1(VALU_DEP_1)
	v_clz_i32_u32_e32 v7, v12
	v_min_u32_e32 v7, 32, v7
	s_delay_alu instid0(VALU_DEP_1) | instskip(SKIP_1) | instid1(VALU_DEP_2)
	v_subrev_nc_u32_e32 v160, 28, v7
	v_sub_nc_u32_e32 v7, 29, v7
	v_lshlrev_b64 v[160:161], v160, v[12:13]
	s_delay_alu instid0(VALU_DEP_1)
	v_and_b32_e32 v12, 7, v160
; %bb.1527:                             ;   in Loop: Header=BB426_756 Depth=1
	s_or_b32 exec_lo, exec_lo, s16
	v_lshlrev_b32_e32 v6, 24, v6
	s_delay_alu instid0(VALU_DEP_2) | instskip(SKIP_1) | instid1(VALU_DEP_3)
	v_lshlrev_b32_e32 v12, 20, v12
	v_lshl_add_u32 v7, v7, 23, 0x3c000000
	v_and_b32_e32 v6, 0x80000000, v6
	s_delay_alu instid0(VALU_DEP_1)
	v_or3_b32 v12, v12, v6, v7
.LBB426_1528:                           ;   in Loop: Header=BB426_756 Depth=1
	s_or_b32 exec_lo, exec_lo, s15
.LBB426_1529:                           ;   in Loop: Header=BB426_756 Depth=1
	s_delay_alu instid0(SALU_CYCLE_1)
	s_or_b32 exec_lo, exec_lo, s13
.LBB426_1530:                           ;   in Loop: Header=BB426_756 Depth=1
	s_delay_alu instid0(SALU_CYCLE_1) | instskip(NEXT) | instid1(VALU_DEP_1)
	s_or_b32 exec_lo, exec_lo, s12
	v_mul_f32_e32 v7, v37, v12
	s_delay_alu instid0(VALU_DEP_1) | instskip(NEXT) | instid1(VALU_DEP_1)
	v_and_b32_e32 v6, 0x7f800000, v7
	v_cmp_ne_u32_e64 s1, 0x7f800000, v6
                                        ; implicit-def: $vgpr6
	s_delay_alu instid0(VALU_DEP_1) | instskip(NEXT) | instid1(SALU_CYCLE_1)
	s_and_saveexec_b32 s12, s1
	s_xor_b32 s1, exec_lo, s12
; %bb.1531:                             ;   in Loop: Header=BB426_756 Depth=1
	v_bfe_u32 v6, v7, 16, 1
	s_delay_alu instid0(VALU_DEP_1)
	v_add3_u32 v6, v7, v6, 0x7fff
                                        ; implicit-def: $vgpr7
; %bb.1532:                             ;   in Loop: Header=BB426_756 Depth=1
	s_and_not1_saveexec_b32 s12, s1
; %bb.1533:                             ;   in Loop: Header=BB426_756 Depth=1
	v_and_b32_e32 v6, 0xffff, v7
	v_or_b32_e32 v12, 0x10000, v7
	s_delay_alu instid0(VALU_DEP_2) | instskip(NEXT) | instid1(VALU_DEP_1)
	v_cmp_eq_u32_e64 s1, 0, v6
	v_cndmask_b32_e64 v6, v12, v7, s1
; %bb.1534:                             ;   in Loop: Header=BB426_756 Depth=1
	s_or_b32 exec_lo, exec_lo, s12
	v_lshrrev_b32_e32 v12, 16, v8
	v_lshrrev_b32_e32 v151, 16, v151
	;; [unrolled: 1-line block ×8, first 2 shown]
	s_and_saveexec_b32 s12, s0
	s_cbranch_execz .LBB426_1536
; %bb.1535:                             ;   in Loop: Header=BB426_756 Depth=1
	v_add_nc_u32_e32 v9, -6, v48
	v_cmp_lt_i32_e64 s1, v66, v32
	v_add_nc_u32_e32 v147, -5, v48
	v_add_nc_u32_e32 v160, -2, v48
	s_delay_alu instid0(VALU_DEP_3) | instskip(SKIP_2) | instid1(VALU_DEP_2)
	v_cndmask_b32_e64 v8, 0, v8, s1
	v_cmp_lt_i32_e64 s1, v9, v32
	v_add_nc_u32_e32 v9, -4, v48
	v_cndmask_b32_e64 v148, 0, v148, s1
	v_cmp_lt_i32_e64 s1, v147, v32
	v_add_nc_u32_e32 v147, -3, v48
	s_delay_alu instid0(VALU_DEP_2) | instskip(SKIP_2) | instid1(VALU_DEP_2)
	v_cndmask_b32_e64 v149, 0, v149, s1
	v_cmp_lt_i32_e64 s1, v9, v32
	v_add_nc_u32_e32 v9, -1, v48
	v_cndmask_b32_e64 v150, 0, v150, s1
	v_cmp_lt_i32_e64 s1, v147, v32
	s_delay_alu instid0(VALU_DEP_1) | instskip(SKIP_1) | instid1(VALU_DEP_1)
	v_cndmask_b32_e64 v151, 0, v151, s1
	v_cmp_lt_i32_e64 s1, v160, v32
	v_cndmask_b32_e64 v12, 0, v12, s1
	v_cmp_lt_i32_e64 s1, v9, v32
	s_delay_alu instid0(VALU_DEP_1) | instskip(SKIP_1) | instid1(VALU_DEP_1)
	v_cndmask_b32_e64 v7, 0, v7, s1
	v_cmp_lt_i32_e64 s1, v48, v32
	v_cndmask_b32_e64 v6, 0, v6, s1
.LBB426_1536:                           ;   in Loop: Header=BB426_756 Depth=1
	s_or_b32 exec_lo, exec_lo, s12
	v_lshlrev_b32_e32 v8, 16, v8
	s_delay_alu instid0(VALU_DEP_1) | instskip(NEXT) | instid1(VALU_DEP_1)
	v_mul_f32_e32 v9, v67, v8
	v_and_b32_e32 v8, 0x7f800000, v9
	s_delay_alu instid0(VALU_DEP_1) | instskip(NEXT) | instid1(VALU_DEP_1)
	v_cmp_ne_u32_e64 s1, 0x7f800000, v8
                                        ; implicit-def: $vgpr8
	s_and_saveexec_b32 s12, s1
	s_delay_alu instid0(SALU_CYCLE_1)
	s_xor_b32 s1, exec_lo, s12
; %bb.1537:                             ;   in Loop: Header=BB426_756 Depth=1
	v_bfe_u32 v8, v9, 16, 1
	s_delay_alu instid0(VALU_DEP_1)
	v_add3_u32 v8, v9, v8, 0x7fff
                                        ; implicit-def: $vgpr9
; %bb.1538:                             ;   in Loop: Header=BB426_756 Depth=1
	s_and_not1_saveexec_b32 s12, s1
; %bb.1539:                             ;   in Loop: Header=BB426_756 Depth=1
	v_and_b32_e32 v8, 0xffff, v9
	v_or_b32_e32 v147, 0x10000, v9
	s_delay_alu instid0(VALU_DEP_2) | instskip(NEXT) | instid1(VALU_DEP_1)
	v_cmp_eq_u32_e64 s1, 0, v8
	v_cndmask_b32_e64 v8, v147, v9, s1
; %bb.1540:                             ;   in Loop: Header=BB426_756 Depth=1
	s_or_b32 exec_lo, exec_lo, s12
	v_lshlrev_b32_e32 v9, 16, v148
	s_delay_alu instid0(VALU_DEP_1) | instskip(NEXT) | instid1(VALU_DEP_1)
	v_mul_f32_e32 v147, v68, v9
	v_and_b32_e32 v9, 0x7f800000, v147
	s_delay_alu instid0(VALU_DEP_1) | instskip(NEXT) | instid1(VALU_DEP_1)
	v_cmp_ne_u32_e64 s1, 0x7f800000, v9
                                        ; implicit-def: $vgpr9
	s_and_saveexec_b32 s12, s1
	s_delay_alu instid0(SALU_CYCLE_1)
	s_xor_b32 s1, exec_lo, s12
; %bb.1541:                             ;   in Loop: Header=BB426_756 Depth=1
	v_bfe_u32 v9, v147, 16, 1
	s_delay_alu instid0(VALU_DEP_1)
	v_add3_u32 v9, v147, v9, 0x7fff
                                        ; implicit-def: $vgpr147
; %bb.1542:                             ;   in Loop: Header=BB426_756 Depth=1
	s_and_not1_saveexec_b32 s12, s1
; %bb.1543:                             ;   in Loop: Header=BB426_756 Depth=1
	v_and_b32_e32 v9, 0xffff, v147
	v_or_b32_e32 v148, 0x10000, v147
	s_delay_alu instid0(VALU_DEP_2) | instskip(NEXT) | instid1(VALU_DEP_1)
	v_cmp_eq_u32_e64 s1, 0, v9
	v_cndmask_b32_e64 v9, v148, v147, s1
; %bb.1544:                             ;   in Loop: Header=BB426_756 Depth=1
	s_or_b32 exec_lo, exec_lo, s12
	v_lshlrev_b32_e32 v147, 16, v149
	s_delay_alu instid0(VALU_DEP_1) | instskip(NEXT) | instid1(VALU_DEP_1)
	v_mul_f32_e32 v148, v69, v147
	v_and_b32_e32 v147, 0x7f800000, v148
	s_delay_alu instid0(VALU_DEP_1) | instskip(NEXT) | instid1(VALU_DEP_1)
	v_cmp_ne_u32_e64 s1, 0x7f800000, v147
                                        ; implicit-def: $vgpr147
	s_and_saveexec_b32 s12, s1
	s_delay_alu instid0(SALU_CYCLE_1)
	s_xor_b32 s1, exec_lo, s12
; %bb.1545:                             ;   in Loop: Header=BB426_756 Depth=1
	v_bfe_u32 v147, v148, 16, 1
	s_delay_alu instid0(VALU_DEP_1)
	v_add3_u32 v147, v148, v147, 0x7fff
                                        ; implicit-def: $vgpr148
; %bb.1546:                             ;   in Loop: Header=BB426_756 Depth=1
	s_and_not1_saveexec_b32 s12, s1
; %bb.1547:                             ;   in Loop: Header=BB426_756 Depth=1
	v_and_b32_e32 v147, 0xffff, v148
	v_or_b32_e32 v149, 0x10000, v148
	s_delay_alu instid0(VALU_DEP_2) | instskip(NEXT) | instid1(VALU_DEP_1)
	v_cmp_eq_u32_e64 s1, 0, v147
	v_cndmask_b32_e64 v147, v149, v148, s1
; %bb.1548:                             ;   in Loop: Header=BB426_756 Depth=1
	s_or_b32 exec_lo, exec_lo, s12
	v_lshlrev_b32_e32 v148, 16, v150
	s_delay_alu instid0(VALU_DEP_1) | instskip(NEXT) | instid1(VALU_DEP_1)
	v_mul_f32_e32 v149, v70, v148
	v_and_b32_e32 v148, 0x7f800000, v149
	s_delay_alu instid0(VALU_DEP_1) | instskip(NEXT) | instid1(VALU_DEP_1)
	v_cmp_ne_u32_e64 s1, 0x7f800000, v148
                                        ; implicit-def: $vgpr148
	s_and_saveexec_b32 s12, s1
	s_delay_alu instid0(SALU_CYCLE_1)
	s_xor_b32 s1, exec_lo, s12
; %bb.1549:                             ;   in Loop: Header=BB426_756 Depth=1
	v_bfe_u32 v148, v149, 16, 1
	s_delay_alu instid0(VALU_DEP_1)
	v_add3_u32 v148, v149, v148, 0x7fff
                                        ; implicit-def: $vgpr149
; %bb.1550:                             ;   in Loop: Header=BB426_756 Depth=1
	s_and_not1_saveexec_b32 s12, s1
; %bb.1551:                             ;   in Loop: Header=BB426_756 Depth=1
	v_and_b32_e32 v148, 0xffff, v149
	v_or_b32_e32 v150, 0x10000, v149
	s_delay_alu instid0(VALU_DEP_2) | instskip(NEXT) | instid1(VALU_DEP_1)
	v_cmp_eq_u32_e64 s1, 0, v148
	v_cndmask_b32_e64 v148, v150, v149, s1
; %bb.1552:                             ;   in Loop: Header=BB426_756 Depth=1
	s_or_b32 exec_lo, exec_lo, s12
	v_lshlrev_b32_e32 v149, 16, v151
	s_delay_alu instid0(VALU_DEP_1) | instskip(NEXT) | instid1(VALU_DEP_1)
	v_mul_f32_e32 v150, v71, v149
	v_and_b32_e32 v149, 0x7f800000, v150
	s_delay_alu instid0(VALU_DEP_1) | instskip(NEXT) | instid1(VALU_DEP_1)
	v_cmp_ne_u32_e64 s1, 0x7f800000, v149
                                        ; implicit-def: $vgpr149
	s_and_saveexec_b32 s12, s1
	s_delay_alu instid0(SALU_CYCLE_1)
	s_xor_b32 s1, exec_lo, s12
; %bb.1553:                             ;   in Loop: Header=BB426_756 Depth=1
	v_bfe_u32 v149, v150, 16, 1
	s_delay_alu instid0(VALU_DEP_1)
	v_add3_u32 v149, v150, v149, 0x7fff
                                        ; implicit-def: $vgpr150
; %bb.1554:                             ;   in Loop: Header=BB426_756 Depth=1
	s_and_not1_saveexec_b32 s12, s1
; %bb.1555:                             ;   in Loop: Header=BB426_756 Depth=1
	v_and_b32_e32 v149, 0xffff, v150
	v_or_b32_e32 v151, 0x10000, v150
	s_delay_alu instid0(VALU_DEP_2) | instskip(NEXT) | instid1(VALU_DEP_1)
	v_cmp_eq_u32_e64 s1, 0, v149
	v_cndmask_b32_e64 v149, v151, v150, s1
; %bb.1556:                             ;   in Loop: Header=BB426_756 Depth=1
	s_or_b32 exec_lo, exec_lo, s12
	v_lshlrev_b32_e32 v12, 16, v12
	s_delay_alu instid0(VALU_DEP_1) | instskip(NEXT) | instid1(VALU_DEP_1)
	v_mul_f32_e32 v12, v80, v12
	v_and_b32_e32 v150, 0x7f800000, v12
	s_delay_alu instid0(VALU_DEP_1) | instskip(NEXT) | instid1(VALU_DEP_1)
	v_cmp_ne_u32_e64 s1, 0x7f800000, v150
                                        ; implicit-def: $vgpr150
	s_and_saveexec_b32 s12, s1
	s_delay_alu instid0(SALU_CYCLE_1)
	s_xor_b32 s1, exec_lo, s12
; %bb.1557:                             ;   in Loop: Header=BB426_756 Depth=1
	v_bfe_u32 v150, v12, 16, 1
	s_delay_alu instid0(VALU_DEP_1)
	v_add3_u32 v150, v12, v150, 0x7fff
                                        ; implicit-def: $vgpr12
; %bb.1558:                             ;   in Loop: Header=BB426_756 Depth=1
	s_and_not1_saveexec_b32 s12, s1
; %bb.1559:                             ;   in Loop: Header=BB426_756 Depth=1
	v_and_b32_e32 v150, 0xffff, v12
	v_or_b32_e32 v151, 0x10000, v12
	s_delay_alu instid0(VALU_DEP_2) | instskip(NEXT) | instid1(VALU_DEP_1)
	v_cmp_eq_u32_e64 s1, 0, v150
	v_cndmask_b32_e64 v150, v151, v12, s1
; %bb.1560:                             ;   in Loop: Header=BB426_756 Depth=1
	s_or_b32 exec_lo, exec_lo, s12
	v_lshlrev_b32_e32 v7, 16, v7
                                        ; implicit-def: $vgpr151
	s_delay_alu instid0(VALU_DEP_1) | instskip(NEXT) | instid1(VALU_DEP_1)
	v_mul_f32_e32 v7, v81, v7
	v_and_b32_e32 v12, 0x7f800000, v7
	s_delay_alu instid0(VALU_DEP_1) | instskip(NEXT) | instid1(VALU_DEP_1)
	v_cmp_ne_u32_e64 s1, 0x7f800000, v12
	s_and_saveexec_b32 s12, s1
	s_delay_alu instid0(SALU_CYCLE_1)
	s_xor_b32 s1, exec_lo, s12
; %bb.1561:                             ;   in Loop: Header=BB426_756 Depth=1
	v_bfe_u32 v12, v7, 16, 1
	s_delay_alu instid0(VALU_DEP_1)
	v_add3_u32 v151, v7, v12, 0x7fff
                                        ; implicit-def: $vgpr7
; %bb.1562:                             ;   in Loop: Header=BB426_756 Depth=1
	s_and_not1_saveexec_b32 s12, s1
; %bb.1563:                             ;   in Loop: Header=BB426_756 Depth=1
	v_and_b32_e32 v12, 0xffff, v7
	v_or_b32_e32 v151, 0x10000, v7
	s_delay_alu instid0(VALU_DEP_2) | instskip(NEXT) | instid1(VALU_DEP_1)
	v_cmp_eq_u32_e64 s1, 0, v12
	v_cndmask_b32_e64 v151, v151, v7, s1
; %bb.1564:                             ;   in Loop: Header=BB426_756 Depth=1
	s_or_b32 exec_lo, exec_lo, s12
	v_lshlrev_b32_e32 v6, 16, v6
                                        ; implicit-def: $vgpr160
	s_delay_alu instid0(VALU_DEP_1) | instskip(NEXT) | instid1(VALU_DEP_1)
	v_mul_f32_e32 v6, v82, v6
	v_and_b32_e32 v7, 0x7f800000, v6
	s_delay_alu instid0(VALU_DEP_1) | instskip(NEXT) | instid1(VALU_DEP_1)
	v_cmp_ne_u32_e64 s1, 0x7f800000, v7
	s_and_saveexec_b32 s12, s1
	s_delay_alu instid0(SALU_CYCLE_1)
	s_xor_b32 s1, exec_lo, s12
; %bb.1565:                             ;   in Loop: Header=BB426_756 Depth=1
	v_bfe_u32 v7, v6, 16, 1
	s_delay_alu instid0(VALU_DEP_1)
	v_add3_u32 v160, v6, v7, 0x7fff
                                        ; implicit-def: $vgpr6
; %bb.1566:                             ;   in Loop: Header=BB426_756 Depth=1
	s_and_not1_saveexec_b32 s12, s1
; %bb.1567:                             ;   in Loop: Header=BB426_756 Depth=1
	v_and_b32_e32 v7, 0xffff, v6
	v_or_b32_e32 v12, 0x10000, v6
	s_delay_alu instid0(VALU_DEP_2) | instskip(NEXT) | instid1(VALU_DEP_1)
	v_cmp_eq_u32_e64 s1, 0, v7
	v_cndmask_b32_e64 v160, v12, v6, s1
; %bb.1568:                             ;   in Loop: Header=BB426_756 Depth=1
	s_or_b32 exec_lo, exec_lo, s12
	flat_load_b64 v[2:3], v[2:3] offset:1536
	s_mov_b32 s12, exec_lo
	s_waitcnt vmcnt(0) lgkmcnt(0)
	v_dual_mov_b32 v6, 0 :: v_dual_and_b32 v7, 0xff, v2
	s_delay_alu instid0(VALU_DEP_1)
	v_cmpx_ne_u16_e32 0, v7
	s_cbranch_execz .LBB426_1576
; %bb.1569:                             ;   in Loop: Header=BB426_756 Depth=1
	v_bfrev_b32_e32 v6, 1
	s_mov_b32 s13, exec_lo
	v_cmpx_ne_u16_e32 0x80, v7
	s_cbranch_execz .LBB426_1575
; %bb.1570:                             ;   in Loop: Header=BB426_756 Depth=1
	v_and_b32_e32 v7, 0x7f, v2
	v_mov_b32_e32 v6, 0x7f800001
	s_mov_b32 s15, exec_lo
	s_delay_alu instid0(VALU_DEP_2)
	v_cmpx_ne_u32_e32 0x7f, v7
	s_cbranch_execz .LBB426_1574
; %bb.1571:                             ;   in Loop: Header=BB426_756 Depth=1
	v_lshrrev_b32_e32 v12, 3, v7
	v_cmp_gt_u32_e64 s1, 8, v7
	v_dual_mov_b32 v7, v3 :: v_dual_mov_b32 v6, v2
	s_delay_alu instid0(VALU_DEP_2)
	s_and_saveexec_b32 s16, s1
; %bb.1572:                             ;   in Loop: Header=BB426_756 Depth=1
	v_and_b32_e32 v6, 7, v2
	s_delay_alu instid0(VALU_DEP_1) | instskip(NEXT) | instid1(VALU_DEP_1)
	v_clz_i32_u32_e32 v6, v6
	v_min_u32_e32 v12, 32, v6
	s_delay_alu instid0(VALU_DEP_1) | instskip(SKIP_1) | instid1(VALU_DEP_2)
	v_subrev_nc_u32_e32 v6, 28, v12
	v_sub_nc_u32_e32 v12, 29, v12
	v_lshlrev_b64 v[6:7], v6, v[2:3]
; %bb.1573:                             ;   in Loop: Header=BB426_756 Depth=1
	s_or_b32 exec_lo, exec_lo, s16
	s_delay_alu instid0(VALU_DEP_1) | instskip(SKIP_2) | instid1(VALU_DEP_3)
	v_lshlrev_b32_e32 v6, 20, v6
	v_lshlrev_b32_e32 v7, 24, v2
	v_lshl_add_u32 v12, v12, 23, 0x3c000000
	v_and_b32_e32 v6, 0x700000, v6
	s_delay_alu instid0(VALU_DEP_3) | instskip(NEXT) | instid1(VALU_DEP_1)
	v_and_b32_e32 v7, 0x80000000, v7
	v_or3_b32 v6, v6, v7, v12
.LBB426_1574:                           ;   in Loop: Header=BB426_756 Depth=1
	s_or_b32 exec_lo, exec_lo, s15
.LBB426_1575:                           ;   in Loop: Header=BB426_756 Depth=1
	s_delay_alu instid0(SALU_CYCLE_1)
	s_or_b32 exec_lo, exec_lo, s13
.LBB426_1576:                           ;   in Loop: Header=BB426_756 Depth=1
	s_delay_alu instid0(SALU_CYCLE_1) | instskip(NEXT) | instid1(VALU_DEP_1)
	s_or_b32 exec_lo, exec_lo, s12
	v_mul_f32_e32 v6, v37, v6
                                        ; implicit-def: $vgpr161
	s_delay_alu instid0(VALU_DEP_1) | instskip(NEXT) | instid1(VALU_DEP_1)
	v_and_b32_e32 v7, 0x7f800000, v6
	v_cmp_ne_u32_e64 s1, 0x7f800000, v7
	s_delay_alu instid0(VALU_DEP_1) | instskip(NEXT) | instid1(SALU_CYCLE_1)
	s_and_saveexec_b32 s12, s1
	s_xor_b32 s1, exec_lo, s12
; %bb.1577:                             ;   in Loop: Header=BB426_756 Depth=1
	v_bfe_u32 v7, v6, 16, 1
	s_delay_alu instid0(VALU_DEP_1)
	v_add3_u32 v161, v6, v7, 0x7fff
                                        ; implicit-def: $vgpr6
; %bb.1578:                             ;   in Loop: Header=BB426_756 Depth=1
	s_and_not1_saveexec_b32 s12, s1
; %bb.1579:                             ;   in Loop: Header=BB426_756 Depth=1
	v_and_b32_e32 v7, 0xffff, v6
	v_or_b32_e32 v12, 0x10000, v6
	s_delay_alu instid0(VALU_DEP_2) | instskip(NEXT) | instid1(VALU_DEP_1)
	v_cmp_eq_u32_e64 s1, 0, v7
	v_cndmask_b32_e64 v161, v12, v6, s1
; %bb.1580:                             ;   in Loop: Header=BB426_756 Depth=1
	s_or_b32 exec_lo, exec_lo, s12
	v_lshrrev_b16 v7, 8, v2
	v_mov_b32_e32 v6, 0
	s_mov_b32 s12, exec_lo
	s_delay_alu instid0(VALU_DEP_2)
	v_cmpx_ne_u16_e32 0, v7
	s_cbranch_execz .LBB426_1588
; %bb.1581:                             ;   in Loop: Header=BB426_756 Depth=1
	v_bfrev_b32_e32 v6, 1
	s_mov_b32 s13, exec_lo
	v_cmpx_ne_u16_e32 0x80, v7
	s_cbranch_execz .LBB426_1587
; %bb.1582:                             ;   in Loop: Header=BB426_756 Depth=1
	v_and_b32_e32 v12, 0xffff, v7
	v_mov_b32_e32 v6, 0x7f800001
	s_mov_b32 s15, exec_lo
	s_delay_alu instid0(VALU_DEP_2) | instskip(NEXT) | instid1(VALU_DEP_1)
	v_and_b32_e32 v7, 0x7f, v12
	v_cmpx_ne_u32_e32 0x7f, v7
	s_cbranch_execz .LBB426_1586
; %bb.1583:                             ;   in Loop: Header=BB426_756 Depth=1
	v_and_b32_e32 v12, 7, v12
	v_lshrrev_b32_e32 v6, 3, v7
	s_mov_b32 s16, exec_lo
	v_cmpx_gt_u32_e32 8, v7
; %bb.1584:                             ;   in Loop: Header=BB426_756 Depth=1
	s_delay_alu instid0(VALU_DEP_3) | instskip(NEXT) | instid1(VALU_DEP_1)
	v_clz_i32_u32_e32 v6, v12
	v_min_u32_e32 v6, 32, v6
	s_delay_alu instid0(VALU_DEP_1) | instskip(SKIP_1) | instid1(VALU_DEP_2)
	v_subrev_nc_u32_e32 v7, 28, v6
	v_sub_nc_u32_e32 v6, 29, v6
	v_lshlrev_b64 v[162:163], v7, v[12:13]
	s_delay_alu instid0(VALU_DEP_1)
	v_and_b32_e32 v12, 7, v162
; %bb.1585:                             ;   in Loop: Header=BB426_756 Depth=1
	s_or_b32 exec_lo, exec_lo, s16
	v_lshlrev_b32_e32 v7, 16, v2
	s_delay_alu instid0(VALU_DEP_2) | instskip(SKIP_1) | instid1(VALU_DEP_3)
	v_lshlrev_b32_e32 v12, 20, v12
	v_lshl_add_u32 v6, v6, 23, 0x3c000000
	v_and_b32_e32 v7, 0x80000000, v7
	s_delay_alu instid0(VALU_DEP_1)
	v_or3_b32 v6, v12, v7, v6
.LBB426_1586:                           ;   in Loop: Header=BB426_756 Depth=1
	s_or_b32 exec_lo, exec_lo, s15
.LBB426_1587:                           ;   in Loop: Header=BB426_756 Depth=1
	s_delay_alu instid0(SALU_CYCLE_1)
	s_or_b32 exec_lo, exec_lo, s13
.LBB426_1588:                           ;   in Loop: Header=BB426_756 Depth=1
	s_delay_alu instid0(SALU_CYCLE_1) | instskip(NEXT) | instid1(VALU_DEP_1)
	s_or_b32 exec_lo, exec_lo, s12
	v_mul_f32_e32 v6, v37, v6
                                        ; implicit-def: $vgpr162
	s_delay_alu instid0(VALU_DEP_1) | instskip(NEXT) | instid1(VALU_DEP_1)
	v_and_b32_e32 v7, 0x7f800000, v6
	v_cmp_ne_u32_e64 s1, 0x7f800000, v7
	s_delay_alu instid0(VALU_DEP_1) | instskip(NEXT) | instid1(SALU_CYCLE_1)
	s_and_saveexec_b32 s12, s1
	s_xor_b32 s1, exec_lo, s12
; %bb.1589:                             ;   in Loop: Header=BB426_756 Depth=1
	v_bfe_u32 v7, v6, 16, 1
	s_delay_alu instid0(VALU_DEP_1)
	v_add3_u32 v162, v6, v7, 0x7fff
                                        ; implicit-def: $vgpr6
; %bb.1590:                             ;   in Loop: Header=BB426_756 Depth=1
	s_and_not1_saveexec_b32 s12, s1
; %bb.1591:                             ;   in Loop: Header=BB426_756 Depth=1
	v_and_b32_e32 v7, 0xffff, v6
	v_or_b32_e32 v12, 0x10000, v6
	s_delay_alu instid0(VALU_DEP_2) | instskip(NEXT) | instid1(VALU_DEP_1)
	v_cmp_eq_u32_e64 s1, 0, v7
	v_cndmask_b32_e64 v162, v12, v6, s1
; %bb.1592:                             ;   in Loop: Header=BB426_756 Depth=1
	s_or_b32 exec_lo, exec_lo, s12
	v_lshrrev_b32_e32 v6, 16, v2
	s_mov_b32 s12, exec_lo
	s_delay_alu instid0(VALU_DEP_1) | instskip(NEXT) | instid1(VALU_DEP_1)
	v_dual_mov_b32 v7, 0 :: v_dual_and_b32 v12, 0xff, v6
	v_cmpx_ne_u16_e32 0, v12
	s_cbranch_execz .LBB426_1600
; %bb.1593:                             ;   in Loop: Header=BB426_756 Depth=1
	v_bfrev_b32_e32 v7, 1
	s_mov_b32 s13, exec_lo
	v_cmpx_ne_u16_e32 0x80, v12
	s_cbranch_execz .LBB426_1599
; %bb.1594:                             ;   in Loop: Header=BB426_756 Depth=1
	v_bfe_u32 v163, v2, 16, 7
	v_mov_b32_e32 v7, 0x7f800001
	s_mov_b32 s15, exec_lo
	s_delay_alu instid0(VALU_DEP_2)
	v_cmpx_ne_u32_e32 0x7f, v163
	s_cbranch_execz .LBB426_1598
; %bb.1595:                             ;   in Loop: Header=BB426_756 Depth=1
	v_and_b32_e32 v12, 7, v6
	v_lshrrev_b32_e32 v7, 3, v163
	s_mov_b32 s16, exec_lo
	v_cmpx_gt_u32_e32 8, v163
; %bb.1596:                             ;   in Loop: Header=BB426_756 Depth=1
	s_delay_alu instid0(VALU_DEP_3) | instskip(NEXT) | instid1(VALU_DEP_1)
	v_clz_i32_u32_e32 v7, v12
	v_min_u32_e32 v7, 32, v7
	s_delay_alu instid0(VALU_DEP_1) | instskip(SKIP_1) | instid1(VALU_DEP_2)
	v_subrev_nc_u32_e32 v163, 28, v7
	v_sub_nc_u32_e32 v7, 29, v7
	v_lshlrev_b64 v[163:164], v163, v[12:13]
	s_delay_alu instid0(VALU_DEP_1)
	v_and_b32_e32 v12, 7, v163
; %bb.1597:                             ;   in Loop: Header=BB426_756 Depth=1
	s_or_b32 exec_lo, exec_lo, s16
	v_lshlrev_b32_e32 v6, 24, v6
	s_delay_alu instid0(VALU_DEP_2) | instskip(SKIP_1) | instid1(VALU_DEP_3)
	v_lshlrev_b32_e32 v12, 20, v12
	v_lshl_add_u32 v7, v7, 23, 0x3c000000
	v_and_b32_e32 v6, 0x80000000, v6
	s_delay_alu instid0(VALU_DEP_1)
	v_or3_b32 v7, v12, v6, v7
.LBB426_1598:                           ;   in Loop: Header=BB426_756 Depth=1
	s_or_b32 exec_lo, exec_lo, s15
.LBB426_1599:                           ;   in Loop: Header=BB426_756 Depth=1
	s_delay_alu instid0(SALU_CYCLE_1)
	s_or_b32 exec_lo, exec_lo, s13
.LBB426_1600:                           ;   in Loop: Header=BB426_756 Depth=1
	s_delay_alu instid0(SALU_CYCLE_1) | instskip(NEXT) | instid1(VALU_DEP_1)
	s_or_b32 exec_lo, exec_lo, s12
	v_mul_f32_e32 v6, v37, v7
                                        ; implicit-def: $vgpr163
	s_delay_alu instid0(VALU_DEP_1) | instskip(NEXT) | instid1(VALU_DEP_1)
	v_and_b32_e32 v7, 0x7f800000, v6
	v_cmp_ne_u32_e64 s1, 0x7f800000, v7
	s_delay_alu instid0(VALU_DEP_1) | instskip(NEXT) | instid1(SALU_CYCLE_1)
	s_and_saveexec_b32 s12, s1
	s_xor_b32 s1, exec_lo, s12
; %bb.1601:                             ;   in Loop: Header=BB426_756 Depth=1
	v_bfe_u32 v7, v6, 16, 1
	s_delay_alu instid0(VALU_DEP_1)
	v_add3_u32 v163, v6, v7, 0x7fff
                                        ; implicit-def: $vgpr6
; %bb.1602:                             ;   in Loop: Header=BB426_756 Depth=1
	s_and_not1_saveexec_b32 s12, s1
; %bb.1603:                             ;   in Loop: Header=BB426_756 Depth=1
	v_and_b32_e32 v7, 0xffff, v6
	v_or_b32_e32 v12, 0x10000, v6
	s_delay_alu instid0(VALU_DEP_2) | instskip(NEXT) | instid1(VALU_DEP_1)
	v_cmp_eq_u32_e64 s1, 0, v7
	v_cndmask_b32_e64 v163, v12, v6, s1
; %bb.1604:                             ;   in Loop: Header=BB426_756 Depth=1
	s_or_b32 exec_lo, exec_lo, s12
	v_mov_b32_e32 v7, 0
	s_mov_b32 s12, exec_lo
	v_cmpx_lt_u32_e32 0xffffff, v2
	s_cbranch_execz .LBB426_1612
; %bb.1605:                             ;   in Loop: Header=BB426_756 Depth=1
	v_lshrrev_b32_e32 v6, 24, v2
	v_bfrev_b32_e32 v7, 1
	s_mov_b32 s13, exec_lo
	s_delay_alu instid0(VALU_DEP_2)
	v_cmpx_ne_u32_e32 0x80, v6
	s_cbranch_execz .LBB426_1611
; %bb.1606:                             ;   in Loop: Header=BB426_756 Depth=1
	v_bfe_u32 v164, v2, 24, 7
	v_mov_b32_e32 v7, 0x7f800001
	s_mov_b32 s15, exec_lo
	s_delay_alu instid0(VALU_DEP_2)
	v_cmpx_ne_u32_e32 0x7f, v164
	s_cbranch_execz .LBB426_1610
; %bb.1607:                             ;   in Loop: Header=BB426_756 Depth=1
	v_and_b32_e32 v12, 7, v6
	v_lshrrev_b32_e32 v7, 3, v164
	s_mov_b32 s16, exec_lo
	v_cmpx_gt_u32_e32 8, v164
; %bb.1608:                             ;   in Loop: Header=BB426_756 Depth=1
	s_delay_alu instid0(VALU_DEP_3) | instskip(NEXT) | instid1(VALU_DEP_1)
	v_clz_i32_u32_e32 v7, v12
	v_min_u32_e32 v7, 32, v7
	s_delay_alu instid0(VALU_DEP_1) | instskip(SKIP_1) | instid1(VALU_DEP_2)
	v_subrev_nc_u32_e32 v164, 28, v7
	v_sub_nc_u32_e32 v7, 29, v7
	v_lshlrev_b64 v[164:165], v164, v[12:13]
	s_delay_alu instid0(VALU_DEP_1)
	v_and_b32_e32 v12, 7, v164
; %bb.1609:                             ;   in Loop: Header=BB426_756 Depth=1
	s_or_b32 exec_lo, exec_lo, s16
	v_lshlrev_b32_e32 v6, 24, v6
	s_delay_alu instid0(VALU_DEP_2) | instskip(SKIP_1) | instid1(VALU_DEP_3)
	v_lshlrev_b32_e32 v12, 20, v12
	v_lshl_add_u32 v7, v7, 23, 0x3c000000
	v_and_b32_e32 v6, 0x80000000, v6
	s_delay_alu instid0(VALU_DEP_1)
	v_or3_b32 v7, v12, v6, v7
.LBB426_1610:                           ;   in Loop: Header=BB426_756 Depth=1
	s_or_b32 exec_lo, exec_lo, s15
.LBB426_1611:                           ;   in Loop: Header=BB426_756 Depth=1
	s_delay_alu instid0(SALU_CYCLE_1)
	s_or_b32 exec_lo, exec_lo, s13
.LBB426_1612:                           ;   in Loop: Header=BB426_756 Depth=1
	s_delay_alu instid0(SALU_CYCLE_1) | instskip(NEXT) | instid1(VALU_DEP_1)
	s_or_b32 exec_lo, exec_lo, s12
	v_mul_f32_e32 v6, v37, v7
                                        ; implicit-def: $vgpr164
	s_delay_alu instid0(VALU_DEP_1) | instskip(NEXT) | instid1(VALU_DEP_1)
	v_and_b32_e32 v7, 0x7f800000, v6
	v_cmp_ne_u32_e64 s1, 0x7f800000, v7
	s_delay_alu instid0(VALU_DEP_1) | instskip(NEXT) | instid1(SALU_CYCLE_1)
	s_and_saveexec_b32 s12, s1
	s_xor_b32 s1, exec_lo, s12
; %bb.1613:                             ;   in Loop: Header=BB426_756 Depth=1
	v_bfe_u32 v7, v6, 16, 1
	s_delay_alu instid0(VALU_DEP_1)
	v_add3_u32 v164, v6, v7, 0x7fff
                                        ; implicit-def: $vgpr6
; %bb.1614:                             ;   in Loop: Header=BB426_756 Depth=1
	s_and_not1_saveexec_b32 s12, s1
; %bb.1615:                             ;   in Loop: Header=BB426_756 Depth=1
	v_and_b32_e32 v7, 0xffff, v6
	v_or_b32_e32 v12, 0x10000, v6
	s_delay_alu instid0(VALU_DEP_2) | instskip(NEXT) | instid1(VALU_DEP_1)
	v_cmp_eq_u32_e64 s1, 0, v7
	v_cndmask_b32_e64 v164, v12, v6, s1
; %bb.1616:                             ;   in Loop: Header=BB426_756 Depth=1
	s_or_b32 exec_lo, exec_lo, s12
	v_dual_mov_b32 v12, v3 :: v_dual_and_b32 v7, 0xff, v3
	v_mov_b32_e32 v6, 0
	s_mov_b32 s12, exec_lo
	s_delay_alu instid0(VALU_DEP_2)
	v_cmpx_ne_u16_e32 0, v7
	s_cbranch_execz .LBB426_1624
; %bb.1617:                             ;   in Loop: Header=BB426_756 Depth=1
	v_bfrev_b32_e32 v6, 1
	s_mov_b32 s13, exec_lo
	v_cmpx_ne_u16_e32 0x80, v7
	s_cbranch_execz .LBB426_1623
; %bb.1618:                             ;   in Loop: Header=BB426_756 Depth=1
	v_and_b32_e32 v7, 0x7f, v3
	v_mov_b32_e32 v6, 0x7f800001
	s_mov_b32 s15, exec_lo
	s_delay_alu instid0(VALU_DEP_2)
	v_cmpx_ne_u32_e32 0x7f, v7
	s_cbranch_execz .LBB426_1622
; %bb.1619:                             ;   in Loop: Header=BB426_756 Depth=1
	v_lshrrev_b32_e32 v165, 3, v7
	v_cmp_gt_u32_e64 s1, 8, v7
	v_dual_mov_b32 v6, v12 :: v_dual_mov_b32 v7, v13
	s_delay_alu instid0(VALU_DEP_2)
	s_and_saveexec_b32 s16, s1
; %bb.1620:                             ;   in Loop: Header=BB426_756 Depth=1
	v_and_b32_e32 v6, 7, v3
	s_delay_alu instid0(VALU_DEP_1) | instskip(NEXT) | instid1(VALU_DEP_1)
	v_clz_i32_u32_e32 v6, v6
	v_min_u32_e32 v165, 32, v6
	s_delay_alu instid0(VALU_DEP_1) | instskip(SKIP_1) | instid1(VALU_DEP_2)
	v_subrev_nc_u32_e32 v6, 28, v165
	v_sub_nc_u32_e32 v165, 29, v165
	v_lshlrev_b64 v[6:7], v6, v[12:13]
; %bb.1621:                             ;   in Loop: Header=BB426_756 Depth=1
	s_or_b32 exec_lo, exec_lo, s16
	s_delay_alu instid0(VALU_DEP_1) | instskip(SKIP_2) | instid1(VALU_DEP_3)
	v_lshlrev_b32_e32 v6, 20, v6
	v_lshlrev_b32_e32 v7, 24, v12
	v_lshl_add_u32 v165, v165, 23, 0x3c000000
	v_and_b32_e32 v6, 0x700000, v6
	s_delay_alu instid0(VALU_DEP_3) | instskip(NEXT) | instid1(VALU_DEP_1)
	v_and_b32_e32 v7, 0x80000000, v7
	v_or3_b32 v6, v6, v7, v165
.LBB426_1622:                           ;   in Loop: Header=BB426_756 Depth=1
	s_or_b32 exec_lo, exec_lo, s15
.LBB426_1623:                           ;   in Loop: Header=BB426_756 Depth=1
	s_delay_alu instid0(SALU_CYCLE_1)
	s_or_b32 exec_lo, exec_lo, s13
.LBB426_1624:                           ;   in Loop: Header=BB426_756 Depth=1
	s_delay_alu instid0(SALU_CYCLE_1) | instskip(NEXT) | instid1(VALU_DEP_1)
	s_or_b32 exec_lo, exec_lo, s12
	v_mul_f32_e32 v6, v37, v6
                                        ; implicit-def: $vgpr165
	s_delay_alu instid0(VALU_DEP_1) | instskip(NEXT) | instid1(VALU_DEP_1)
	v_and_b32_e32 v7, 0x7f800000, v6
	v_cmp_ne_u32_e64 s1, 0x7f800000, v7
	s_delay_alu instid0(VALU_DEP_1) | instskip(NEXT) | instid1(SALU_CYCLE_1)
	s_and_saveexec_b32 s12, s1
	s_xor_b32 s1, exec_lo, s12
; %bb.1625:                             ;   in Loop: Header=BB426_756 Depth=1
	v_bfe_u32 v7, v6, 16, 1
	s_delay_alu instid0(VALU_DEP_1)
	v_add3_u32 v165, v6, v7, 0x7fff
                                        ; implicit-def: $vgpr6
; %bb.1626:                             ;   in Loop: Header=BB426_756 Depth=1
	s_and_not1_saveexec_b32 s12, s1
; %bb.1627:                             ;   in Loop: Header=BB426_756 Depth=1
	v_and_b32_e32 v7, 0xffff, v6
	v_or_b32_e32 v165, 0x10000, v6
	s_delay_alu instid0(VALU_DEP_2) | instskip(NEXT) | instid1(VALU_DEP_1)
	v_cmp_eq_u32_e64 s1, 0, v7
	v_cndmask_b32_e64 v165, v165, v6, s1
; %bb.1628:                             ;   in Loop: Header=BB426_756 Depth=1
	s_or_b32 exec_lo, exec_lo, s12
	v_lshrrev_b16 v7, 8, v12
	v_mov_b32_e32 v6, 0
	s_mov_b32 s12, exec_lo
	s_delay_alu instid0(VALU_DEP_2)
	v_cmpx_ne_u16_e32 0, v7
	s_cbranch_execz .LBB426_1636
; %bb.1629:                             ;   in Loop: Header=BB426_756 Depth=1
	v_bfrev_b32_e32 v6, 1
	s_mov_b32 s13, exec_lo
	v_cmpx_ne_u16_e32 0x80, v7
	s_cbranch_execz .LBB426_1635
; %bb.1630:                             ;   in Loop: Header=BB426_756 Depth=1
	v_and_b32_e32 v7, 0xffff, v7
	v_mov_b32_e32 v6, 0x7f800001
	s_mov_b32 s15, exec_lo
	s_delay_alu instid0(VALU_DEP_2) | instskip(NEXT) | instid1(VALU_DEP_1)
	v_and_b32_e32 v167, 0x7f, v7
	v_cmpx_ne_u32_e32 0x7f, v167
	s_cbranch_execz .LBB426_1634
; %bb.1631:                             ;   in Loop: Header=BB426_756 Depth=1
	v_dual_mov_b32 v7, v13 :: v_dual_and_b32 v6, 7, v7
	v_lshrrev_b32_e32 v166, 3, v167
	s_mov_b32 s16, exec_lo
	v_cmpx_gt_u32_e32 8, v167
; %bb.1632:                             ;   in Loop: Header=BB426_756 Depth=1
	s_delay_alu instid0(VALU_DEP_3) | instskip(NEXT) | instid1(VALU_DEP_1)
	v_clz_i32_u32_e32 v166, v6
	v_min_u32_e32 v166, 32, v166
	s_delay_alu instid0(VALU_DEP_1) | instskip(SKIP_1) | instid1(VALU_DEP_2)
	v_subrev_nc_u32_e32 v167, 28, v166
	v_sub_nc_u32_e32 v166, 29, v166
	v_lshlrev_b64 v[6:7], v167, v[6:7]
	s_delay_alu instid0(VALU_DEP_1)
	v_and_b32_e32 v6, 7, v6
; %bb.1633:                             ;   in Loop: Header=BB426_756 Depth=1
	s_or_b32 exec_lo, exec_lo, s16
	v_lshlrev_b32_e32 v7, 16, v12
	s_delay_alu instid0(VALU_DEP_2) | instskip(SKIP_1) | instid1(VALU_DEP_3)
	v_lshlrev_b32_e32 v6, 20, v6
	v_lshl_add_u32 v12, v166, 23, 0x3c000000
	v_and_b32_e32 v7, 0x80000000, v7
	s_delay_alu instid0(VALU_DEP_1)
	v_or3_b32 v6, v6, v7, v12
.LBB426_1634:                           ;   in Loop: Header=BB426_756 Depth=1
	s_or_b32 exec_lo, exec_lo, s15
.LBB426_1635:                           ;   in Loop: Header=BB426_756 Depth=1
	s_delay_alu instid0(SALU_CYCLE_1)
	s_or_b32 exec_lo, exec_lo, s13
.LBB426_1636:                           ;   in Loop: Header=BB426_756 Depth=1
	s_delay_alu instid0(SALU_CYCLE_1) | instskip(NEXT) | instid1(VALU_DEP_1)
	s_or_b32 exec_lo, exec_lo, s12
	v_mul_f32_e32 v7, v37, v6
	s_delay_alu instid0(VALU_DEP_1) | instskip(NEXT) | instid1(VALU_DEP_1)
	v_and_b32_e32 v6, 0x7f800000, v7
	v_cmp_ne_u32_e64 s1, 0x7f800000, v6
                                        ; implicit-def: $vgpr6
	s_delay_alu instid0(VALU_DEP_1) | instskip(NEXT) | instid1(SALU_CYCLE_1)
	s_and_saveexec_b32 s12, s1
	s_xor_b32 s1, exec_lo, s12
; %bb.1637:                             ;   in Loop: Header=BB426_756 Depth=1
	v_bfe_u32 v6, v7, 16, 1
	s_delay_alu instid0(VALU_DEP_1)
	v_add3_u32 v6, v7, v6, 0x7fff
                                        ; implicit-def: $vgpr7
; %bb.1638:                             ;   in Loop: Header=BB426_756 Depth=1
	s_and_not1_saveexec_b32 s12, s1
; %bb.1639:                             ;   in Loop: Header=BB426_756 Depth=1
	v_and_b32_e32 v6, 0xffff, v7
	v_or_b32_e32 v12, 0x10000, v7
	s_delay_alu instid0(VALU_DEP_2) | instskip(NEXT) | instid1(VALU_DEP_1)
	v_cmp_eq_u32_e64 s1, 0, v6
	v_cndmask_b32_e64 v6, v12, v7, s1
; %bb.1640:                             ;   in Loop: Header=BB426_756 Depth=1
	s_or_b32 exec_lo, exec_lo, s12
	v_lshrrev_b32_e32 v7, 16, v3
	v_mov_b32_e32 v12, 0
	s_mov_b32 s12, exec_lo
	s_delay_alu instid0(VALU_DEP_2) | instskip(NEXT) | instid1(VALU_DEP_1)
	v_and_b32_e32 v166, 0xff, v7
	v_cmpx_ne_u16_e64 0, v166
	s_cbranch_execz .LBB426_1648
; %bb.1641:                             ;   in Loop: Header=BB426_756 Depth=1
	v_bfrev_b32_e32 v12, 1
	s_mov_b32 s13, exec_lo
	v_cmpx_ne_u16_e64 0x80, v166
	s_cbranch_execz .LBB426_1647
; %bb.1642:                             ;   in Loop: Header=BB426_756 Depth=1
	v_bfe_u32 v167, v3, 16, 7
	v_mov_b32_e32 v12, 0x7f800001
	s_mov_b32 s15, exec_lo
	s_delay_alu instid0(VALU_DEP_2)
	v_cmpx_ne_u32_e32 0x7f, v167
	s_cbranch_execz .LBB426_1646
; %bb.1643:                             ;   in Loop: Header=BB426_756 Depth=1
	v_and_b32_e32 v12, 7, v7
	v_lshrrev_b32_e32 v166, 3, v167
	s_mov_b32 s16, exec_lo
	v_cmpx_gt_u32_e32 8, v167
; %bb.1644:                             ;   in Loop: Header=BB426_756 Depth=1
	s_delay_alu instid0(VALU_DEP_3) | instskip(NEXT) | instid1(VALU_DEP_1)
	v_clz_i32_u32_e32 v166, v12
	v_min_u32_e32 v166, 32, v166
	s_delay_alu instid0(VALU_DEP_1) | instskip(SKIP_1) | instid1(VALU_DEP_2)
	v_subrev_nc_u32_e32 v167, 28, v166
	v_sub_nc_u32_e32 v166, 29, v166
	v_lshlrev_b64 v[176:177], v167, v[12:13]
	s_delay_alu instid0(VALU_DEP_1)
	v_and_b32_e32 v12, 7, v176
; %bb.1645:                             ;   in Loop: Header=BB426_756 Depth=1
	s_or_b32 exec_lo, exec_lo, s16
	v_lshlrev_b32_e32 v7, 24, v7
	s_delay_alu instid0(VALU_DEP_2) | instskip(SKIP_1) | instid1(VALU_DEP_3)
	v_lshlrev_b32_e32 v12, 20, v12
	v_lshl_add_u32 v166, v166, 23, 0x3c000000
	v_and_b32_e32 v7, 0x80000000, v7
	s_delay_alu instid0(VALU_DEP_1)
	v_or3_b32 v12, v12, v7, v166
.LBB426_1646:                           ;   in Loop: Header=BB426_756 Depth=1
	s_or_b32 exec_lo, exec_lo, s15
.LBB426_1647:                           ;   in Loop: Header=BB426_756 Depth=1
	s_delay_alu instid0(SALU_CYCLE_1)
	s_or_b32 exec_lo, exec_lo, s13
.LBB426_1648:                           ;   in Loop: Header=BB426_756 Depth=1
	s_delay_alu instid0(SALU_CYCLE_1) | instskip(NEXT) | instid1(VALU_DEP_1)
	s_or_b32 exec_lo, exec_lo, s12
	v_mul_f32_e32 v12, v37, v12
	s_delay_alu instid0(VALU_DEP_1) | instskip(NEXT) | instid1(VALU_DEP_1)
	v_and_b32_e32 v7, 0x7f800000, v12
	v_cmp_ne_u32_e64 s1, 0x7f800000, v7
                                        ; implicit-def: $vgpr7
	s_delay_alu instid0(VALU_DEP_1) | instskip(NEXT) | instid1(SALU_CYCLE_1)
	s_and_saveexec_b32 s12, s1
	s_xor_b32 s1, exec_lo, s12
; %bb.1649:                             ;   in Loop: Header=BB426_756 Depth=1
	v_bfe_u32 v7, v12, 16, 1
	s_delay_alu instid0(VALU_DEP_1)
	v_add3_u32 v7, v12, v7, 0x7fff
                                        ; implicit-def: $vgpr12
; %bb.1650:                             ;   in Loop: Header=BB426_756 Depth=1
	s_and_not1_saveexec_b32 s12, s1
; %bb.1651:                             ;   in Loop: Header=BB426_756 Depth=1
	v_and_b32_e32 v7, 0xffff, v12
	v_or_b32_e32 v166, 0x10000, v12
	s_delay_alu instid0(VALU_DEP_2) | instskip(NEXT) | instid1(VALU_DEP_1)
	v_cmp_eq_u32_e64 s1, 0, v7
	v_cndmask_b32_e64 v7, v166, v12, s1
; %bb.1652:                             ;   in Loop: Header=BB426_756 Depth=1
	s_or_b32 exec_lo, exec_lo, s12
	v_mov_b32_e32 v12, 0
	s_mov_b32 s12, exec_lo
	v_cmpx_lt_u64_e64 s[8:9], v[2:3]
	s_cbranch_execz .LBB426_1660
; %bb.1653:                             ;   in Loop: Header=BB426_756 Depth=1
	v_lshrrev_b32_e32 v2, 24, v3
	v_bfrev_b32_e32 v12, 1
	s_mov_b32 s13, exec_lo
	s_delay_alu instid0(VALU_DEP_2)
	v_cmpx_ne_u32_e32 0x80, v2
	s_cbranch_execz .LBB426_1659
; %bb.1654:                             ;   in Loop: Header=BB426_756 Depth=1
	v_bfe_u32 v166, v3, 24, 7
	v_mov_b32_e32 v12, 0x7f800001
	s_mov_b32 s15, exec_lo
	s_delay_alu instid0(VALU_DEP_2)
	v_cmpx_ne_u32_e32 0x7f, v166
	s_cbranch_execz .LBB426_1658
; %bb.1655:                             ;   in Loop: Header=BB426_756 Depth=1
	v_and_b32_e32 v12, 7, v2
	v_lshrrev_b32_e32 v3, 3, v166
	s_mov_b32 s16, exec_lo
	v_cmpx_gt_u32_e32 8, v166
; %bb.1656:                             ;   in Loop: Header=BB426_756 Depth=1
	s_delay_alu instid0(VALU_DEP_3) | instskip(NEXT) | instid1(VALU_DEP_1)
	v_clz_i32_u32_e32 v3, v12
	v_min_u32_e32 v3, 32, v3
	s_delay_alu instid0(VALU_DEP_1) | instskip(SKIP_1) | instid1(VALU_DEP_2)
	v_subrev_nc_u32_e32 v166, 28, v3
	v_sub_nc_u32_e32 v3, 29, v3
	v_lshlrev_b64 v[166:167], v166, v[12:13]
	s_delay_alu instid0(VALU_DEP_1)
	v_and_b32_e32 v12, 7, v166
; %bb.1657:                             ;   in Loop: Header=BB426_756 Depth=1
	s_or_b32 exec_lo, exec_lo, s16
	v_lshlrev_b32_e32 v2, 24, v2
	s_delay_alu instid0(VALU_DEP_2) | instskip(SKIP_1) | instid1(VALU_DEP_3)
	v_lshlrev_b32_e32 v12, 20, v12
	v_lshl_add_u32 v3, v3, 23, 0x3c000000
	v_and_b32_e32 v2, 0x80000000, v2
	s_delay_alu instid0(VALU_DEP_1)
	v_or3_b32 v12, v12, v2, v3
.LBB426_1658:                           ;   in Loop: Header=BB426_756 Depth=1
	s_or_b32 exec_lo, exec_lo, s15
.LBB426_1659:                           ;   in Loop: Header=BB426_756 Depth=1
	s_delay_alu instid0(SALU_CYCLE_1)
	s_or_b32 exec_lo, exec_lo, s13
.LBB426_1660:                           ;   in Loop: Header=BB426_756 Depth=1
	s_delay_alu instid0(SALU_CYCLE_1) | instskip(NEXT) | instid1(VALU_DEP_1)
	s_or_b32 exec_lo, exec_lo, s12
	v_mul_f32_e32 v3, v37, v12
	s_delay_alu instid0(VALU_DEP_1) | instskip(NEXT) | instid1(VALU_DEP_1)
	v_and_b32_e32 v2, 0x7f800000, v3
	v_cmp_ne_u32_e64 s1, 0x7f800000, v2
                                        ; implicit-def: $vgpr2
	s_delay_alu instid0(VALU_DEP_1) | instskip(NEXT) | instid1(SALU_CYCLE_1)
	s_and_saveexec_b32 s12, s1
	s_xor_b32 s1, exec_lo, s12
; %bb.1661:                             ;   in Loop: Header=BB426_756 Depth=1
	v_bfe_u32 v2, v3, 16, 1
	s_delay_alu instid0(VALU_DEP_1)
	v_add3_u32 v2, v3, v2, 0x7fff
                                        ; implicit-def: $vgpr3
; %bb.1662:                             ;   in Loop: Header=BB426_756 Depth=1
	s_and_not1_saveexec_b32 s12, s1
; %bb.1663:                             ;   in Loop: Header=BB426_756 Depth=1
	v_and_b32_e32 v2, 0xffff, v3
	v_or_b32_e32 v12, 0x10000, v3
	s_delay_alu instid0(VALU_DEP_2) | instskip(NEXT) | instid1(VALU_DEP_1)
	v_cmp_eq_u32_e64 s1, 0, v2
	v_cndmask_b32_e64 v2, v12, v3, s1
; %bb.1664:                             ;   in Loop: Header=BB426_756 Depth=1
	s_or_b32 exec_lo, exec_lo, s12
	v_lshrrev_b32_e32 v12, 16, v6
	v_lshrrev_b32_e32 v165, 16, v165
	;; [unrolled: 1-line block ×8, first 2 shown]
	s_and_saveexec_b32 s12, s0
	s_cbranch_execz .LBB426_1666
; %bb.1665:                             ;   in Loop: Header=BB426_756 Depth=1
	v_add_nc_u32_e32 v7, -6, v48
	v_cmp_lt_i32_e64 s1, v66, v32
	v_add_nc_u32_e32 v161, -5, v48
	v_add_nc_u32_e32 v166, -2, v48
	s_delay_alu instid0(VALU_DEP_3) | instskip(SKIP_2) | instid1(VALU_DEP_2)
	v_cndmask_b32_e64 v6, 0, v6, s1
	v_cmp_lt_i32_e64 s1, v7, v32
	v_add_nc_u32_e32 v7, -4, v48
	v_cndmask_b32_e64 v162, 0, v162, s1
	v_cmp_lt_i32_e64 s1, v161, v32
	v_add_nc_u32_e32 v161, -3, v48
	s_delay_alu instid0(VALU_DEP_2) | instskip(SKIP_2) | instid1(VALU_DEP_2)
	v_cndmask_b32_e64 v163, 0, v163, s1
	v_cmp_lt_i32_e64 s1, v7, v32
	v_add_nc_u32_e32 v7, -1, v48
	v_cndmask_b32_e64 v164, 0, v164, s1
	v_cmp_lt_i32_e64 s1, v161, v32
	s_delay_alu instid0(VALU_DEP_1) | instskip(SKIP_1) | instid1(VALU_DEP_1)
	v_cndmask_b32_e64 v165, 0, v165, s1
	v_cmp_lt_i32_e64 s1, v166, v32
	v_cndmask_b32_e64 v12, 0, v12, s1
	v_cmp_lt_i32_e64 s1, v7, v32
	s_delay_alu instid0(VALU_DEP_1) | instskip(SKIP_1) | instid1(VALU_DEP_1)
	v_cndmask_b32_e64 v3, 0, v3, s1
	v_cmp_lt_i32_e64 s1, v48, v32
	v_cndmask_b32_e64 v2, 0, v2, s1
.LBB426_1666:                           ;   in Loop: Header=BB426_756 Depth=1
	s_or_b32 exec_lo, exec_lo, s12
	v_lshlrev_b32_e32 v6, 16, v6
	s_delay_alu instid0(VALU_DEP_1) | instskip(NEXT) | instid1(VALU_DEP_1)
	v_mul_f32_e32 v7, v67, v6
	v_and_b32_e32 v6, 0x7f800000, v7
	s_delay_alu instid0(VALU_DEP_1) | instskip(NEXT) | instid1(VALU_DEP_1)
	v_cmp_ne_u32_e64 s1, 0x7f800000, v6
                                        ; implicit-def: $vgpr6
	s_and_saveexec_b32 s12, s1
	s_delay_alu instid0(SALU_CYCLE_1)
	s_xor_b32 s1, exec_lo, s12
; %bb.1667:                             ;   in Loop: Header=BB426_756 Depth=1
	v_bfe_u32 v6, v7, 16, 1
	s_delay_alu instid0(VALU_DEP_1)
	v_add3_u32 v6, v7, v6, 0x7fff
                                        ; implicit-def: $vgpr7
; %bb.1668:                             ;   in Loop: Header=BB426_756 Depth=1
	s_and_not1_saveexec_b32 s12, s1
; %bb.1669:                             ;   in Loop: Header=BB426_756 Depth=1
	v_and_b32_e32 v6, 0xffff, v7
	v_or_b32_e32 v161, 0x10000, v7
	s_delay_alu instid0(VALU_DEP_2) | instskip(NEXT) | instid1(VALU_DEP_1)
	v_cmp_eq_u32_e64 s1, 0, v6
	v_cndmask_b32_e64 v6, v161, v7, s1
; %bb.1670:                             ;   in Loop: Header=BB426_756 Depth=1
	s_or_b32 exec_lo, exec_lo, s12
	v_lshlrev_b32_e32 v7, 16, v162
	s_delay_alu instid0(VALU_DEP_1) | instskip(NEXT) | instid1(VALU_DEP_1)
	v_mul_f32_e32 v161, v68, v7
	v_and_b32_e32 v7, 0x7f800000, v161
	s_delay_alu instid0(VALU_DEP_1) | instskip(NEXT) | instid1(VALU_DEP_1)
	v_cmp_ne_u32_e64 s1, 0x7f800000, v7
                                        ; implicit-def: $vgpr7
	s_and_saveexec_b32 s12, s1
	s_delay_alu instid0(SALU_CYCLE_1)
	s_xor_b32 s1, exec_lo, s12
; %bb.1671:                             ;   in Loop: Header=BB426_756 Depth=1
	v_bfe_u32 v7, v161, 16, 1
	s_delay_alu instid0(VALU_DEP_1)
	v_add3_u32 v7, v161, v7, 0x7fff
                                        ; implicit-def: $vgpr161
; %bb.1672:                             ;   in Loop: Header=BB426_756 Depth=1
	s_and_not1_saveexec_b32 s12, s1
; %bb.1673:                             ;   in Loop: Header=BB426_756 Depth=1
	v_and_b32_e32 v7, 0xffff, v161
	v_or_b32_e32 v162, 0x10000, v161
	s_delay_alu instid0(VALU_DEP_2) | instskip(NEXT) | instid1(VALU_DEP_1)
	v_cmp_eq_u32_e64 s1, 0, v7
	v_cndmask_b32_e64 v7, v162, v161, s1
; %bb.1674:                             ;   in Loop: Header=BB426_756 Depth=1
	s_or_b32 exec_lo, exec_lo, s12
	v_lshlrev_b32_e32 v161, 16, v163
	s_delay_alu instid0(VALU_DEP_1) | instskip(NEXT) | instid1(VALU_DEP_1)
	v_mul_f32_e32 v162, v69, v161
	v_and_b32_e32 v161, 0x7f800000, v162
	s_delay_alu instid0(VALU_DEP_1) | instskip(NEXT) | instid1(VALU_DEP_1)
	v_cmp_ne_u32_e64 s1, 0x7f800000, v161
                                        ; implicit-def: $vgpr161
	s_and_saveexec_b32 s12, s1
	s_delay_alu instid0(SALU_CYCLE_1)
	s_xor_b32 s1, exec_lo, s12
; %bb.1675:                             ;   in Loop: Header=BB426_756 Depth=1
	v_bfe_u32 v161, v162, 16, 1
	s_delay_alu instid0(VALU_DEP_1)
	v_add3_u32 v161, v162, v161, 0x7fff
                                        ; implicit-def: $vgpr162
; %bb.1676:                             ;   in Loop: Header=BB426_756 Depth=1
	s_and_not1_saveexec_b32 s12, s1
; %bb.1677:                             ;   in Loop: Header=BB426_756 Depth=1
	v_and_b32_e32 v161, 0xffff, v162
	v_or_b32_e32 v163, 0x10000, v162
	s_delay_alu instid0(VALU_DEP_2) | instskip(NEXT) | instid1(VALU_DEP_1)
	v_cmp_eq_u32_e64 s1, 0, v161
	v_cndmask_b32_e64 v161, v163, v162, s1
; %bb.1678:                             ;   in Loop: Header=BB426_756 Depth=1
	s_or_b32 exec_lo, exec_lo, s12
	v_lshlrev_b32_e32 v162, 16, v164
	s_delay_alu instid0(VALU_DEP_1) | instskip(NEXT) | instid1(VALU_DEP_1)
	v_mul_f32_e32 v163, v70, v162
	v_and_b32_e32 v162, 0x7f800000, v163
	s_delay_alu instid0(VALU_DEP_1) | instskip(NEXT) | instid1(VALU_DEP_1)
	v_cmp_ne_u32_e64 s1, 0x7f800000, v162
                                        ; implicit-def: $vgpr162
	s_and_saveexec_b32 s12, s1
	s_delay_alu instid0(SALU_CYCLE_1)
	s_xor_b32 s1, exec_lo, s12
; %bb.1679:                             ;   in Loop: Header=BB426_756 Depth=1
	v_bfe_u32 v162, v163, 16, 1
	s_delay_alu instid0(VALU_DEP_1)
	v_add3_u32 v162, v163, v162, 0x7fff
                                        ; implicit-def: $vgpr163
; %bb.1680:                             ;   in Loop: Header=BB426_756 Depth=1
	s_and_not1_saveexec_b32 s12, s1
; %bb.1681:                             ;   in Loop: Header=BB426_756 Depth=1
	v_and_b32_e32 v162, 0xffff, v163
	v_or_b32_e32 v164, 0x10000, v163
	s_delay_alu instid0(VALU_DEP_2) | instskip(NEXT) | instid1(VALU_DEP_1)
	v_cmp_eq_u32_e64 s1, 0, v162
	v_cndmask_b32_e64 v162, v164, v163, s1
; %bb.1682:                             ;   in Loop: Header=BB426_756 Depth=1
	s_or_b32 exec_lo, exec_lo, s12
	v_lshlrev_b32_e32 v163, 16, v165
	s_delay_alu instid0(VALU_DEP_1) | instskip(NEXT) | instid1(VALU_DEP_1)
	v_mul_f32_e32 v164, v71, v163
	v_and_b32_e32 v163, 0x7f800000, v164
	s_delay_alu instid0(VALU_DEP_1) | instskip(NEXT) | instid1(VALU_DEP_1)
	v_cmp_ne_u32_e64 s1, 0x7f800000, v163
                                        ; implicit-def: $vgpr163
	s_and_saveexec_b32 s12, s1
	s_delay_alu instid0(SALU_CYCLE_1)
	s_xor_b32 s1, exec_lo, s12
; %bb.1683:                             ;   in Loop: Header=BB426_756 Depth=1
	v_bfe_u32 v163, v164, 16, 1
	s_delay_alu instid0(VALU_DEP_1)
	v_add3_u32 v163, v164, v163, 0x7fff
                                        ; implicit-def: $vgpr164
; %bb.1684:                             ;   in Loop: Header=BB426_756 Depth=1
	s_and_not1_saveexec_b32 s12, s1
; %bb.1685:                             ;   in Loop: Header=BB426_756 Depth=1
	v_and_b32_e32 v163, 0xffff, v164
	v_or_b32_e32 v165, 0x10000, v164
	s_delay_alu instid0(VALU_DEP_2) | instskip(NEXT) | instid1(VALU_DEP_1)
	v_cmp_eq_u32_e64 s1, 0, v163
	v_cndmask_b32_e64 v163, v165, v164, s1
; %bb.1686:                             ;   in Loop: Header=BB426_756 Depth=1
	s_or_b32 exec_lo, exec_lo, s12
	v_lshlrev_b32_e32 v12, 16, v12
	s_delay_alu instid0(VALU_DEP_1) | instskip(NEXT) | instid1(VALU_DEP_1)
	v_mul_f32_e32 v12, v80, v12
	v_and_b32_e32 v164, 0x7f800000, v12
	s_delay_alu instid0(VALU_DEP_1) | instskip(NEXT) | instid1(VALU_DEP_1)
	v_cmp_ne_u32_e64 s1, 0x7f800000, v164
                                        ; implicit-def: $vgpr164
	s_and_saveexec_b32 s12, s1
	s_delay_alu instid0(SALU_CYCLE_1)
	s_xor_b32 s1, exec_lo, s12
; %bb.1687:                             ;   in Loop: Header=BB426_756 Depth=1
	v_bfe_u32 v164, v12, 16, 1
	s_delay_alu instid0(VALU_DEP_1)
	v_add3_u32 v164, v12, v164, 0x7fff
                                        ; implicit-def: $vgpr12
; %bb.1688:                             ;   in Loop: Header=BB426_756 Depth=1
	s_and_not1_saveexec_b32 s12, s1
; %bb.1689:                             ;   in Loop: Header=BB426_756 Depth=1
	v_and_b32_e32 v164, 0xffff, v12
	v_or_b32_e32 v165, 0x10000, v12
	s_delay_alu instid0(VALU_DEP_2) | instskip(NEXT) | instid1(VALU_DEP_1)
	v_cmp_eq_u32_e64 s1, 0, v164
	v_cndmask_b32_e64 v164, v165, v12, s1
; %bb.1690:                             ;   in Loop: Header=BB426_756 Depth=1
	s_or_b32 exec_lo, exec_lo, s12
	v_lshlrev_b32_e32 v3, 16, v3
                                        ; implicit-def: $vgpr165
	s_delay_alu instid0(VALU_DEP_1) | instskip(NEXT) | instid1(VALU_DEP_1)
	v_mul_f32_e32 v3, v81, v3
	v_and_b32_e32 v12, 0x7f800000, v3
	s_delay_alu instid0(VALU_DEP_1) | instskip(NEXT) | instid1(VALU_DEP_1)
	v_cmp_ne_u32_e64 s1, 0x7f800000, v12
	s_and_saveexec_b32 s12, s1
	s_delay_alu instid0(SALU_CYCLE_1)
	s_xor_b32 s1, exec_lo, s12
; %bb.1691:                             ;   in Loop: Header=BB426_756 Depth=1
	v_bfe_u32 v12, v3, 16, 1
	s_delay_alu instid0(VALU_DEP_1)
	v_add3_u32 v165, v3, v12, 0x7fff
                                        ; implicit-def: $vgpr3
; %bb.1692:                             ;   in Loop: Header=BB426_756 Depth=1
	s_and_not1_saveexec_b32 s12, s1
; %bb.1693:                             ;   in Loop: Header=BB426_756 Depth=1
	v_and_b32_e32 v12, 0xffff, v3
	v_or_b32_e32 v165, 0x10000, v3
	s_delay_alu instid0(VALU_DEP_2) | instskip(NEXT) | instid1(VALU_DEP_1)
	v_cmp_eq_u32_e64 s1, 0, v12
	v_cndmask_b32_e64 v165, v165, v3, s1
; %bb.1694:                             ;   in Loop: Header=BB426_756 Depth=1
	s_or_b32 exec_lo, exec_lo, s12
	v_lshlrev_b32_e32 v2, 16, v2
                                        ; implicit-def: $vgpr166
	s_delay_alu instid0(VALU_DEP_1) | instskip(NEXT) | instid1(VALU_DEP_1)
	v_mul_f32_e32 v2, v82, v2
	v_and_b32_e32 v3, 0x7f800000, v2
	s_delay_alu instid0(VALU_DEP_1) | instskip(NEXT) | instid1(VALU_DEP_1)
	v_cmp_ne_u32_e64 s1, 0x7f800000, v3
	s_and_saveexec_b32 s12, s1
	s_delay_alu instid0(SALU_CYCLE_1)
	s_xor_b32 s1, exec_lo, s12
	s_cbranch_execnz .LBB426_1697
; %bb.1695:                             ;   in Loop: Header=BB426_756 Depth=1
	s_and_not1_saveexec_b32 s12, s1
	s_cbranch_execnz .LBB426_1698
.LBB426_1696:                           ;   in Loop: Header=BB426_756 Depth=1
	s_or_b32 exec_lo, exec_lo, s12
	s_and_saveexec_b32 s12, vcc_lo
	s_cbranch_execz .LBB426_755
	s_branch .LBB426_1699
.LBB426_1697:                           ;   in Loop: Header=BB426_756 Depth=1
	v_bfe_u32 v3, v2, 16, 1
	s_delay_alu instid0(VALU_DEP_1)
	v_add3_u32 v166, v2, v3, 0x7fff
                                        ; implicit-def: $vgpr2
	s_and_not1_saveexec_b32 s12, s1
	s_cbranch_execz .LBB426_1696
.LBB426_1698:                           ;   in Loop: Header=BB426_756 Depth=1
	v_and_b32_e32 v3, 0xffff, v2
	v_or_b32_e32 v12, 0x10000, v2
	s_delay_alu instid0(VALU_DEP_2) | instskip(NEXT) | instid1(VALU_DEP_1)
	v_cmp_eq_u32_e64 s1, 0, v3
	v_cndmask_b32_e64 v166, v12, v2, s1
	s_or_b32 exec_lo, exec_lo, s12
	s_and_saveexec_b32 s12, vcc_lo
	s_cbranch_execz .LBB426_755
.LBB426_1699:                           ;   in Loop: Header=BB426_756 Depth=1
	v_add_co_u32 v0, s1, v0, v17
	s_delay_alu instid0(VALU_DEP_1)
	v_add_co_ci_u32_e64 v1, s1, 0, v1, s1
	s_mov_b32 s13, exec_lo
	flat_load_b64 v[0:1], v[0:1]
	flat_load_b32 v167, v[26:27]
	s_waitcnt vmcnt(1) lgkmcnt(1)
	v_dual_mov_b32 v2, 0 :: v_dual_and_b32 v3, 0xff, v0
	s_delay_alu instid0(VALU_DEP_1)
	v_cmpx_ne_u16_e32 0, v3
	s_cbranch_execz .LBB426_1707
; %bb.1700:                             ;   in Loop: Header=BB426_756 Depth=1
	v_bfrev_b32_e32 v2, 1
	s_mov_b32 s15, exec_lo
	v_cmpx_ne_u16_e32 0x80, v3
	s_cbranch_execz .LBB426_1706
; %bb.1701:                             ;   in Loop: Header=BB426_756 Depth=1
	v_and_b32_e32 v3, 0x7f, v0
	v_mov_b32_e32 v2, 0x7f800001
	s_mov_b32 s16, exec_lo
	s_delay_alu instid0(VALU_DEP_2)
	v_cmpx_ne_u32_e32 0x7f, v3
	s_cbranch_execz .LBB426_1705
; %bb.1702:                             ;   in Loop: Header=BB426_756 Depth=1
	v_lshrrev_b32_e32 v12, 3, v3
	v_cmp_gt_u32_e64 s1, 8, v3
	v_dual_mov_b32 v3, v1 :: v_dual_mov_b32 v2, v0
	s_delay_alu instid0(VALU_DEP_2)
	s_and_saveexec_b32 s17, s1
; %bb.1703:                             ;   in Loop: Header=BB426_756 Depth=1
	v_and_b32_e32 v2, 7, v0
	s_delay_alu instid0(VALU_DEP_1) | instskip(NEXT) | instid1(VALU_DEP_1)
	v_clz_i32_u32_e32 v2, v2
	v_min_u32_e32 v12, 32, v2
	s_delay_alu instid0(VALU_DEP_1) | instskip(SKIP_1) | instid1(VALU_DEP_2)
	v_subrev_nc_u32_e32 v2, 28, v12
	v_sub_nc_u32_e32 v12, 29, v12
	v_lshlrev_b64 v[2:3], v2, v[0:1]
; %bb.1704:                             ;   in Loop: Header=BB426_756 Depth=1
	s_or_b32 exec_lo, exec_lo, s17
	s_delay_alu instid0(VALU_DEP_1) | instskip(SKIP_2) | instid1(VALU_DEP_3)
	v_lshlrev_b32_e32 v2, 20, v2
	v_lshlrev_b32_e32 v3, 24, v0
	v_lshl_add_u32 v12, v12, 23, 0x3c000000
	v_and_b32_e32 v2, 0x700000, v2
	s_delay_alu instid0(VALU_DEP_3) | instskip(NEXT) | instid1(VALU_DEP_1)
	v_and_b32_e32 v3, 0x80000000, v3
	v_or3_b32 v2, v2, v3, v12
.LBB426_1705:                           ;   in Loop: Header=BB426_756 Depth=1
	s_or_b32 exec_lo, exec_lo, s16
.LBB426_1706:                           ;   in Loop: Header=BB426_756 Depth=1
	s_delay_alu instid0(SALU_CYCLE_1)
	s_or_b32 exec_lo, exec_lo, s15
.LBB426_1707:                           ;   in Loop: Header=BB426_756 Depth=1
	s_delay_alu instid0(SALU_CYCLE_1) | instskip(SKIP_2) | instid1(VALU_DEP_1)
	s_or_b32 exec_lo, exec_lo, s13
	s_waitcnt vmcnt(0) lgkmcnt(0)
	v_mul_f32_e32 v2, v167, v2
                                        ; implicit-def: $vgpr176
	v_and_b32_e32 v3, 0x7f800000, v2
	s_delay_alu instid0(VALU_DEP_1) | instskip(NEXT) | instid1(VALU_DEP_1)
	v_cmp_ne_u32_e64 s1, 0x7f800000, v3
	s_and_saveexec_b32 s13, s1
	s_delay_alu instid0(SALU_CYCLE_1)
	s_xor_b32 s1, exec_lo, s13
; %bb.1708:                             ;   in Loop: Header=BB426_756 Depth=1
	v_bfe_u32 v3, v2, 16, 1
	s_delay_alu instid0(VALU_DEP_1)
	v_add3_u32 v176, v2, v3, 0x7fff
                                        ; implicit-def: $vgpr2
; %bb.1709:                             ;   in Loop: Header=BB426_756 Depth=1
	s_and_not1_saveexec_b32 s13, s1
; %bb.1710:                             ;   in Loop: Header=BB426_756 Depth=1
	v_and_b32_e32 v3, 0xffff, v2
	v_or_b32_e32 v12, 0x10000, v2
	s_delay_alu instid0(VALU_DEP_2) | instskip(NEXT) | instid1(VALU_DEP_1)
	v_cmp_eq_u32_e64 s1, 0, v3
	v_cndmask_b32_e64 v176, v12, v2, s1
; %bb.1711:                             ;   in Loop: Header=BB426_756 Depth=1
	s_or_b32 exec_lo, exec_lo, s13
	v_lshrrev_b16 v3, 8, v0
	v_mov_b32_e32 v2, 0
	s_mov_b32 s13, exec_lo
	s_delay_alu instid0(VALU_DEP_2)
	v_cmpx_ne_u16_e32 0, v3
	s_cbranch_execz .LBB426_1719
; %bb.1712:                             ;   in Loop: Header=BB426_756 Depth=1
	v_bfrev_b32_e32 v2, 1
	s_mov_b32 s15, exec_lo
	v_cmpx_ne_u16_e32 0x80, v3
	s_cbranch_execz .LBB426_1718
; %bb.1713:                             ;   in Loop: Header=BB426_756 Depth=1
	v_and_b32_e32 v12, 0xffff, v3
	v_mov_b32_e32 v2, 0x7f800001
	s_mov_b32 s16, exec_lo
	s_delay_alu instid0(VALU_DEP_2) | instskip(NEXT) | instid1(VALU_DEP_1)
	v_and_b32_e32 v3, 0x7f, v12
	v_cmpx_ne_u32_e32 0x7f, v3
	s_cbranch_execz .LBB426_1717
; %bb.1714:                             ;   in Loop: Header=BB426_756 Depth=1
	v_and_b32_e32 v12, 7, v12
	v_lshrrev_b32_e32 v2, 3, v3
	s_mov_b32 s17, exec_lo
	v_cmpx_gt_u32_e32 8, v3
; %bb.1715:                             ;   in Loop: Header=BB426_756 Depth=1
	s_delay_alu instid0(VALU_DEP_3) | instskip(NEXT) | instid1(VALU_DEP_1)
	v_clz_i32_u32_e32 v2, v12
	v_min_u32_e32 v2, 32, v2
	s_delay_alu instid0(VALU_DEP_1) | instskip(SKIP_1) | instid1(VALU_DEP_2)
	v_subrev_nc_u32_e32 v3, 28, v2
	v_sub_nc_u32_e32 v2, 29, v2
	v_lshlrev_b64 v[177:178], v3, v[12:13]
	s_delay_alu instid0(VALU_DEP_1)
	v_and_b32_e32 v12, 7, v177
; %bb.1716:                             ;   in Loop: Header=BB426_756 Depth=1
	s_or_b32 exec_lo, exec_lo, s17
	v_lshlrev_b32_e32 v3, 16, v0
	s_delay_alu instid0(VALU_DEP_2) | instskip(SKIP_1) | instid1(VALU_DEP_3)
	v_lshlrev_b32_e32 v12, 20, v12
	v_lshl_add_u32 v2, v2, 23, 0x3c000000
	v_and_b32_e32 v3, 0x80000000, v3
	s_delay_alu instid0(VALU_DEP_1)
	v_or3_b32 v2, v12, v3, v2
.LBB426_1717:                           ;   in Loop: Header=BB426_756 Depth=1
	s_or_b32 exec_lo, exec_lo, s16
.LBB426_1718:                           ;   in Loop: Header=BB426_756 Depth=1
	s_delay_alu instid0(SALU_CYCLE_1)
	s_or_b32 exec_lo, exec_lo, s15
.LBB426_1719:                           ;   in Loop: Header=BB426_756 Depth=1
	s_delay_alu instid0(SALU_CYCLE_1) | instskip(NEXT) | instid1(VALU_DEP_1)
	s_or_b32 exec_lo, exec_lo, s13
	v_mul_f32_e32 v2, v167, v2
                                        ; implicit-def: $vgpr177
	s_delay_alu instid0(VALU_DEP_1) | instskip(NEXT) | instid1(VALU_DEP_1)
	v_and_b32_e32 v3, 0x7f800000, v2
	v_cmp_ne_u32_e64 s1, 0x7f800000, v3
	s_delay_alu instid0(VALU_DEP_1) | instskip(NEXT) | instid1(SALU_CYCLE_1)
	s_and_saveexec_b32 s13, s1
	s_xor_b32 s1, exec_lo, s13
; %bb.1720:                             ;   in Loop: Header=BB426_756 Depth=1
	v_bfe_u32 v3, v2, 16, 1
	s_delay_alu instid0(VALU_DEP_1)
	v_add3_u32 v177, v2, v3, 0x7fff
                                        ; implicit-def: $vgpr2
; %bb.1721:                             ;   in Loop: Header=BB426_756 Depth=1
	s_and_not1_saveexec_b32 s13, s1
; %bb.1722:                             ;   in Loop: Header=BB426_756 Depth=1
	v_and_b32_e32 v3, 0xffff, v2
	v_or_b32_e32 v12, 0x10000, v2
	s_delay_alu instid0(VALU_DEP_2) | instskip(NEXT) | instid1(VALU_DEP_1)
	v_cmp_eq_u32_e64 s1, 0, v3
	v_cndmask_b32_e64 v177, v12, v2, s1
; %bb.1723:                             ;   in Loop: Header=BB426_756 Depth=1
	s_or_b32 exec_lo, exec_lo, s13
	v_lshrrev_b32_e32 v2, 16, v0
	s_mov_b32 s13, exec_lo
	s_delay_alu instid0(VALU_DEP_1) | instskip(NEXT) | instid1(VALU_DEP_1)
	v_dual_mov_b32 v3, 0 :: v_dual_and_b32 v12, 0xff, v2
	v_cmpx_ne_u16_e32 0, v12
	s_cbranch_execz .LBB426_1731
; %bb.1724:                             ;   in Loop: Header=BB426_756 Depth=1
	v_bfrev_b32_e32 v3, 1
	s_mov_b32 s15, exec_lo
	v_cmpx_ne_u16_e32 0x80, v12
	s_cbranch_execz .LBB426_1730
; %bb.1725:                             ;   in Loop: Header=BB426_756 Depth=1
	v_bfe_u32 v178, v0, 16, 7
	v_mov_b32_e32 v3, 0x7f800001
	s_mov_b32 s16, exec_lo
	s_delay_alu instid0(VALU_DEP_2)
	v_cmpx_ne_u32_e32 0x7f, v178
	s_cbranch_execz .LBB426_1729
; %bb.1726:                             ;   in Loop: Header=BB426_756 Depth=1
	v_and_b32_e32 v12, 7, v2
	v_lshrrev_b32_e32 v3, 3, v178
	s_mov_b32 s17, exec_lo
	v_cmpx_gt_u32_e32 8, v178
; %bb.1727:                             ;   in Loop: Header=BB426_756 Depth=1
	s_delay_alu instid0(VALU_DEP_3) | instskip(NEXT) | instid1(VALU_DEP_1)
	v_clz_i32_u32_e32 v3, v12
	v_min_u32_e32 v3, 32, v3
	s_delay_alu instid0(VALU_DEP_1) | instskip(SKIP_1) | instid1(VALU_DEP_2)
	v_subrev_nc_u32_e32 v178, 28, v3
	v_sub_nc_u32_e32 v3, 29, v3
	v_lshlrev_b64 v[178:179], v178, v[12:13]
	s_delay_alu instid0(VALU_DEP_1)
	v_and_b32_e32 v12, 7, v178
; %bb.1728:                             ;   in Loop: Header=BB426_756 Depth=1
	s_or_b32 exec_lo, exec_lo, s17
	v_lshlrev_b32_e32 v2, 24, v2
	s_delay_alu instid0(VALU_DEP_2) | instskip(SKIP_1) | instid1(VALU_DEP_3)
	v_lshlrev_b32_e32 v12, 20, v12
	v_lshl_add_u32 v3, v3, 23, 0x3c000000
	v_and_b32_e32 v2, 0x80000000, v2
	s_delay_alu instid0(VALU_DEP_1)
	v_or3_b32 v3, v12, v2, v3
.LBB426_1729:                           ;   in Loop: Header=BB426_756 Depth=1
	s_or_b32 exec_lo, exec_lo, s16
.LBB426_1730:                           ;   in Loop: Header=BB426_756 Depth=1
	s_delay_alu instid0(SALU_CYCLE_1)
	s_or_b32 exec_lo, exec_lo, s15
.LBB426_1731:                           ;   in Loop: Header=BB426_756 Depth=1
	s_delay_alu instid0(SALU_CYCLE_1) | instskip(NEXT) | instid1(VALU_DEP_1)
	s_or_b32 exec_lo, exec_lo, s13
	v_mul_f32_e32 v2, v167, v3
                                        ; implicit-def: $vgpr178
	s_delay_alu instid0(VALU_DEP_1) | instskip(NEXT) | instid1(VALU_DEP_1)
	v_and_b32_e32 v3, 0x7f800000, v2
	v_cmp_ne_u32_e64 s1, 0x7f800000, v3
	s_delay_alu instid0(VALU_DEP_1) | instskip(NEXT) | instid1(SALU_CYCLE_1)
	s_and_saveexec_b32 s13, s1
	s_xor_b32 s1, exec_lo, s13
; %bb.1732:                             ;   in Loop: Header=BB426_756 Depth=1
	v_bfe_u32 v3, v2, 16, 1
	s_delay_alu instid0(VALU_DEP_1)
	v_add3_u32 v178, v2, v3, 0x7fff
                                        ; implicit-def: $vgpr2
; %bb.1733:                             ;   in Loop: Header=BB426_756 Depth=1
	s_and_not1_saveexec_b32 s13, s1
; %bb.1734:                             ;   in Loop: Header=BB426_756 Depth=1
	v_and_b32_e32 v3, 0xffff, v2
	v_or_b32_e32 v12, 0x10000, v2
	s_delay_alu instid0(VALU_DEP_2) | instskip(NEXT) | instid1(VALU_DEP_1)
	v_cmp_eq_u32_e64 s1, 0, v3
	v_cndmask_b32_e64 v178, v12, v2, s1
; %bb.1735:                             ;   in Loop: Header=BB426_756 Depth=1
	s_or_b32 exec_lo, exec_lo, s13
	v_mov_b32_e32 v3, 0
	s_mov_b32 s13, exec_lo
	v_cmpx_lt_u32_e32 0xffffff, v0
	s_cbranch_execz .LBB426_1743
; %bb.1736:                             ;   in Loop: Header=BB426_756 Depth=1
	v_lshrrev_b32_e32 v2, 24, v0
	v_bfrev_b32_e32 v3, 1
	s_mov_b32 s15, exec_lo
	s_delay_alu instid0(VALU_DEP_2)
	v_cmpx_ne_u32_e32 0x80, v2
	s_cbranch_execz .LBB426_1742
; %bb.1737:                             ;   in Loop: Header=BB426_756 Depth=1
	v_bfe_u32 v179, v0, 24, 7
	v_mov_b32_e32 v3, 0x7f800001
	s_mov_b32 s16, exec_lo
	s_delay_alu instid0(VALU_DEP_2)
	v_cmpx_ne_u32_e32 0x7f, v179
	s_cbranch_execz .LBB426_1741
; %bb.1738:                             ;   in Loop: Header=BB426_756 Depth=1
	v_and_b32_e32 v12, 7, v2
	v_lshrrev_b32_e32 v3, 3, v179
	s_mov_b32 s17, exec_lo
	v_cmpx_gt_u32_e32 8, v179
; %bb.1739:                             ;   in Loop: Header=BB426_756 Depth=1
	s_delay_alu instid0(VALU_DEP_3) | instskip(NEXT) | instid1(VALU_DEP_1)
	v_clz_i32_u32_e32 v3, v12
	v_min_u32_e32 v3, 32, v3
	s_delay_alu instid0(VALU_DEP_1) | instskip(SKIP_1) | instid1(VALU_DEP_2)
	v_subrev_nc_u32_e32 v179, 28, v3
	v_sub_nc_u32_e32 v3, 29, v3
	v_lshlrev_b64 v[179:180], v179, v[12:13]
	s_delay_alu instid0(VALU_DEP_1)
	v_and_b32_e32 v12, 7, v179
; %bb.1740:                             ;   in Loop: Header=BB426_756 Depth=1
	s_or_b32 exec_lo, exec_lo, s17
	v_lshlrev_b32_e32 v2, 24, v2
	s_delay_alu instid0(VALU_DEP_2) | instskip(SKIP_1) | instid1(VALU_DEP_3)
	v_lshlrev_b32_e32 v12, 20, v12
	v_lshl_add_u32 v3, v3, 23, 0x3c000000
	v_and_b32_e32 v2, 0x80000000, v2
	s_delay_alu instid0(VALU_DEP_1)
	v_or3_b32 v3, v12, v2, v3
.LBB426_1741:                           ;   in Loop: Header=BB426_756 Depth=1
	s_or_b32 exec_lo, exec_lo, s16
.LBB426_1742:                           ;   in Loop: Header=BB426_756 Depth=1
	s_delay_alu instid0(SALU_CYCLE_1)
	s_or_b32 exec_lo, exec_lo, s15
.LBB426_1743:                           ;   in Loop: Header=BB426_756 Depth=1
	s_delay_alu instid0(SALU_CYCLE_1) | instskip(NEXT) | instid1(VALU_DEP_1)
	s_or_b32 exec_lo, exec_lo, s13
	v_mul_f32_e32 v2, v167, v3
                                        ; implicit-def: $vgpr179
	s_delay_alu instid0(VALU_DEP_1) | instskip(NEXT) | instid1(VALU_DEP_1)
	v_and_b32_e32 v3, 0x7f800000, v2
	v_cmp_ne_u32_e64 s1, 0x7f800000, v3
	s_delay_alu instid0(VALU_DEP_1) | instskip(NEXT) | instid1(SALU_CYCLE_1)
	s_and_saveexec_b32 s13, s1
	s_xor_b32 s1, exec_lo, s13
; %bb.1744:                             ;   in Loop: Header=BB426_756 Depth=1
	v_bfe_u32 v3, v2, 16, 1
	s_delay_alu instid0(VALU_DEP_1)
	v_add3_u32 v179, v2, v3, 0x7fff
                                        ; implicit-def: $vgpr2
; %bb.1745:                             ;   in Loop: Header=BB426_756 Depth=1
	s_and_not1_saveexec_b32 s13, s1
; %bb.1746:                             ;   in Loop: Header=BB426_756 Depth=1
	v_and_b32_e32 v3, 0xffff, v2
	v_or_b32_e32 v12, 0x10000, v2
	s_delay_alu instid0(VALU_DEP_2) | instskip(NEXT) | instid1(VALU_DEP_1)
	v_cmp_eq_u32_e64 s1, 0, v3
	v_cndmask_b32_e64 v179, v12, v2, s1
; %bb.1747:                             ;   in Loop: Header=BB426_756 Depth=1
	s_or_b32 exec_lo, exec_lo, s13
	v_dual_mov_b32 v12, v1 :: v_dual_and_b32 v3, 0xff, v1
	v_mov_b32_e32 v2, 0
	s_mov_b32 s13, exec_lo
	s_delay_alu instid0(VALU_DEP_2)
	v_cmpx_ne_u16_e32 0, v3
	s_cbranch_execz .LBB426_1755
; %bb.1748:                             ;   in Loop: Header=BB426_756 Depth=1
	v_bfrev_b32_e32 v2, 1
	s_mov_b32 s15, exec_lo
	v_cmpx_ne_u16_e32 0x80, v3
	s_cbranch_execz .LBB426_1754
; %bb.1749:                             ;   in Loop: Header=BB426_756 Depth=1
	v_and_b32_e32 v3, 0x7f, v1
	v_mov_b32_e32 v2, 0x7f800001
	s_mov_b32 s16, exec_lo
	s_delay_alu instid0(VALU_DEP_2)
	v_cmpx_ne_u32_e32 0x7f, v3
	s_cbranch_execz .LBB426_1753
; %bb.1750:                             ;   in Loop: Header=BB426_756 Depth=1
	v_lshrrev_b32_e32 v180, 3, v3
	v_cmp_gt_u32_e64 s1, 8, v3
	v_dual_mov_b32 v2, v12 :: v_dual_mov_b32 v3, v13
	s_delay_alu instid0(VALU_DEP_2)
	s_and_saveexec_b32 s17, s1
; %bb.1751:                             ;   in Loop: Header=BB426_756 Depth=1
	v_and_b32_e32 v2, 7, v1
	s_delay_alu instid0(VALU_DEP_1) | instskip(NEXT) | instid1(VALU_DEP_1)
	v_clz_i32_u32_e32 v2, v2
	v_min_u32_e32 v180, 32, v2
	s_delay_alu instid0(VALU_DEP_1) | instskip(SKIP_1) | instid1(VALU_DEP_2)
	v_subrev_nc_u32_e32 v2, 28, v180
	v_sub_nc_u32_e32 v180, 29, v180
	v_lshlrev_b64 v[2:3], v2, v[12:13]
; %bb.1752:                             ;   in Loop: Header=BB426_756 Depth=1
	s_or_b32 exec_lo, exec_lo, s17
	s_delay_alu instid0(VALU_DEP_1) | instskip(SKIP_2) | instid1(VALU_DEP_3)
	v_lshlrev_b32_e32 v2, 20, v2
	v_lshlrev_b32_e32 v3, 24, v12
	v_lshl_add_u32 v180, v180, 23, 0x3c000000
	v_and_b32_e32 v2, 0x700000, v2
	s_delay_alu instid0(VALU_DEP_3) | instskip(NEXT) | instid1(VALU_DEP_1)
	v_and_b32_e32 v3, 0x80000000, v3
	v_or3_b32 v2, v2, v3, v180
.LBB426_1753:                           ;   in Loop: Header=BB426_756 Depth=1
	s_or_b32 exec_lo, exec_lo, s16
.LBB426_1754:                           ;   in Loop: Header=BB426_756 Depth=1
	s_delay_alu instid0(SALU_CYCLE_1)
	s_or_b32 exec_lo, exec_lo, s15
.LBB426_1755:                           ;   in Loop: Header=BB426_756 Depth=1
	s_delay_alu instid0(SALU_CYCLE_1) | instskip(NEXT) | instid1(VALU_DEP_1)
	s_or_b32 exec_lo, exec_lo, s13
	v_mul_f32_e32 v2, v167, v2
                                        ; implicit-def: $vgpr180
	s_delay_alu instid0(VALU_DEP_1) | instskip(NEXT) | instid1(VALU_DEP_1)
	v_and_b32_e32 v3, 0x7f800000, v2
	v_cmp_ne_u32_e64 s1, 0x7f800000, v3
	s_delay_alu instid0(VALU_DEP_1) | instskip(NEXT) | instid1(SALU_CYCLE_1)
	s_and_saveexec_b32 s13, s1
	s_xor_b32 s1, exec_lo, s13
; %bb.1756:                             ;   in Loop: Header=BB426_756 Depth=1
	v_bfe_u32 v3, v2, 16, 1
	s_delay_alu instid0(VALU_DEP_1)
	v_add3_u32 v180, v2, v3, 0x7fff
                                        ; implicit-def: $vgpr2
; %bb.1757:                             ;   in Loop: Header=BB426_756 Depth=1
	s_and_not1_saveexec_b32 s13, s1
; %bb.1758:                             ;   in Loop: Header=BB426_756 Depth=1
	v_and_b32_e32 v3, 0xffff, v2
	v_or_b32_e32 v180, 0x10000, v2
	s_delay_alu instid0(VALU_DEP_2) | instskip(NEXT) | instid1(VALU_DEP_1)
	v_cmp_eq_u32_e64 s1, 0, v3
	v_cndmask_b32_e64 v180, v180, v2, s1
; %bb.1759:                             ;   in Loop: Header=BB426_756 Depth=1
	s_or_b32 exec_lo, exec_lo, s13
	v_lshrrev_b16 v3, 8, v12
	v_mov_b32_e32 v2, 0
	s_mov_b32 s13, exec_lo
	s_delay_alu instid0(VALU_DEP_2)
	v_cmpx_ne_u16_e32 0, v3
	s_cbranch_execz .LBB426_1767
; %bb.1760:                             ;   in Loop: Header=BB426_756 Depth=1
	v_bfrev_b32_e32 v2, 1
	s_mov_b32 s15, exec_lo
	v_cmpx_ne_u16_e32 0x80, v3
	s_cbranch_execz .LBB426_1766
; %bb.1761:                             ;   in Loop: Header=BB426_756 Depth=1
	v_and_b32_e32 v3, 0xffff, v3
	v_mov_b32_e32 v2, 0x7f800001
	s_mov_b32 s16, exec_lo
	s_delay_alu instid0(VALU_DEP_2) | instskip(NEXT) | instid1(VALU_DEP_1)
	v_and_b32_e32 v182, 0x7f, v3
	v_cmpx_ne_u32_e32 0x7f, v182
	s_cbranch_execz .LBB426_1765
; %bb.1762:                             ;   in Loop: Header=BB426_756 Depth=1
	v_dual_mov_b32 v3, v13 :: v_dual_and_b32 v2, 7, v3
	v_lshrrev_b32_e32 v181, 3, v182
	s_mov_b32 s17, exec_lo
	v_cmpx_gt_u32_e32 8, v182
; %bb.1763:                             ;   in Loop: Header=BB426_756 Depth=1
	s_delay_alu instid0(VALU_DEP_3) | instskip(NEXT) | instid1(VALU_DEP_1)
	v_clz_i32_u32_e32 v181, v2
	v_min_u32_e32 v181, 32, v181
	s_delay_alu instid0(VALU_DEP_1) | instskip(SKIP_1) | instid1(VALU_DEP_2)
	v_subrev_nc_u32_e32 v182, 28, v181
	v_sub_nc_u32_e32 v181, 29, v181
	v_lshlrev_b64 v[2:3], v182, v[2:3]
	s_delay_alu instid0(VALU_DEP_1)
	v_and_b32_e32 v2, 7, v2
; %bb.1764:                             ;   in Loop: Header=BB426_756 Depth=1
	s_or_b32 exec_lo, exec_lo, s17
	v_lshlrev_b32_e32 v3, 16, v12
	s_delay_alu instid0(VALU_DEP_2) | instskip(SKIP_1) | instid1(VALU_DEP_3)
	v_lshlrev_b32_e32 v2, 20, v2
	v_lshl_add_u32 v12, v181, 23, 0x3c000000
	v_and_b32_e32 v3, 0x80000000, v3
	s_delay_alu instid0(VALU_DEP_1)
	v_or3_b32 v2, v2, v3, v12
.LBB426_1765:                           ;   in Loop: Header=BB426_756 Depth=1
	s_or_b32 exec_lo, exec_lo, s16
.LBB426_1766:                           ;   in Loop: Header=BB426_756 Depth=1
	s_delay_alu instid0(SALU_CYCLE_1)
	s_or_b32 exec_lo, exec_lo, s15
.LBB426_1767:                           ;   in Loop: Header=BB426_756 Depth=1
	s_delay_alu instid0(SALU_CYCLE_1) | instskip(NEXT) | instid1(VALU_DEP_1)
	s_or_b32 exec_lo, exec_lo, s13
	v_mul_f32_e32 v3, v167, v2
	s_delay_alu instid0(VALU_DEP_1) | instskip(NEXT) | instid1(VALU_DEP_1)
	v_and_b32_e32 v2, 0x7f800000, v3
	v_cmp_ne_u32_e64 s1, 0x7f800000, v2
                                        ; implicit-def: $vgpr2
	s_delay_alu instid0(VALU_DEP_1) | instskip(NEXT) | instid1(SALU_CYCLE_1)
	s_and_saveexec_b32 s13, s1
	s_xor_b32 s1, exec_lo, s13
; %bb.1768:                             ;   in Loop: Header=BB426_756 Depth=1
	v_bfe_u32 v2, v3, 16, 1
	s_delay_alu instid0(VALU_DEP_1)
	v_add3_u32 v2, v3, v2, 0x7fff
                                        ; implicit-def: $vgpr3
; %bb.1769:                             ;   in Loop: Header=BB426_756 Depth=1
	s_and_not1_saveexec_b32 s13, s1
; %bb.1770:                             ;   in Loop: Header=BB426_756 Depth=1
	v_and_b32_e32 v2, 0xffff, v3
	v_or_b32_e32 v12, 0x10000, v3
	s_delay_alu instid0(VALU_DEP_2) | instskip(NEXT) | instid1(VALU_DEP_1)
	v_cmp_eq_u32_e64 s1, 0, v2
	v_cndmask_b32_e64 v2, v12, v3, s1
; %bb.1771:                             ;   in Loop: Header=BB426_756 Depth=1
	s_or_b32 exec_lo, exec_lo, s13
	v_lshrrev_b32_e32 v3, 16, v1
	s_mov_b32 s13, exec_lo
	s_delay_alu instid0(VALU_DEP_1) | instskip(NEXT) | instid1(VALU_DEP_1)
	v_dual_mov_b32 v12, 0 :: v_dual_and_b32 v181, 0xff, v3
	v_cmpx_ne_u16_e64 0, v181
	s_cbranch_execz .LBB426_1779
; %bb.1772:                             ;   in Loop: Header=BB426_756 Depth=1
	v_bfrev_b32_e32 v12, 1
	s_mov_b32 s15, exec_lo
	v_cmpx_ne_u16_e64 0x80, v181
	s_cbranch_execz .LBB426_1778
; %bb.1773:                             ;   in Loop: Header=BB426_756 Depth=1
	v_bfe_u32 v182, v1, 16, 7
	v_mov_b32_e32 v12, 0x7f800001
	s_mov_b32 s16, exec_lo
	s_delay_alu instid0(VALU_DEP_2)
	v_cmpx_ne_u32_e32 0x7f, v182
	s_cbranch_execz .LBB426_1777
; %bb.1774:                             ;   in Loop: Header=BB426_756 Depth=1
	v_and_b32_e32 v12, 7, v3
	v_lshrrev_b32_e32 v181, 3, v182
	s_mov_b32 s17, exec_lo
	v_cmpx_gt_u32_e32 8, v182
; %bb.1775:                             ;   in Loop: Header=BB426_756 Depth=1
	s_delay_alu instid0(VALU_DEP_3) | instskip(NEXT) | instid1(VALU_DEP_1)
	v_clz_i32_u32_e32 v181, v12
	v_min_u32_e32 v181, 32, v181
	s_delay_alu instid0(VALU_DEP_1) | instskip(SKIP_1) | instid1(VALU_DEP_2)
	v_subrev_nc_u32_e32 v182, 28, v181
	v_sub_nc_u32_e32 v181, 29, v181
	v_lshlrev_b64 v[182:183], v182, v[12:13]
	s_delay_alu instid0(VALU_DEP_1)
	v_and_b32_e32 v12, 7, v182
; %bb.1776:                             ;   in Loop: Header=BB426_756 Depth=1
	s_or_b32 exec_lo, exec_lo, s17
	v_lshlrev_b32_e32 v3, 24, v3
	s_delay_alu instid0(VALU_DEP_2) | instskip(SKIP_1) | instid1(VALU_DEP_3)
	v_lshlrev_b32_e32 v12, 20, v12
	v_lshl_add_u32 v181, v181, 23, 0x3c000000
	v_and_b32_e32 v3, 0x80000000, v3
	s_delay_alu instid0(VALU_DEP_1)
	v_or3_b32 v12, v12, v3, v181
.LBB426_1777:                           ;   in Loop: Header=BB426_756 Depth=1
	s_or_b32 exec_lo, exec_lo, s16
.LBB426_1778:                           ;   in Loop: Header=BB426_756 Depth=1
	s_delay_alu instid0(SALU_CYCLE_1)
	s_or_b32 exec_lo, exec_lo, s15
.LBB426_1779:                           ;   in Loop: Header=BB426_756 Depth=1
	s_delay_alu instid0(SALU_CYCLE_1) | instskip(NEXT) | instid1(VALU_DEP_1)
	s_or_b32 exec_lo, exec_lo, s13
	v_mul_f32_e32 v3, v167, v12
                                        ; implicit-def: $vgpr181
	s_delay_alu instid0(VALU_DEP_1) | instskip(NEXT) | instid1(VALU_DEP_1)
	v_and_b32_e32 v12, 0x7f800000, v3
	v_cmp_ne_u32_e64 s1, 0x7f800000, v12
	s_delay_alu instid0(VALU_DEP_1) | instskip(NEXT) | instid1(SALU_CYCLE_1)
	s_and_saveexec_b32 s13, s1
	s_xor_b32 s1, exec_lo, s13
; %bb.1780:                             ;   in Loop: Header=BB426_756 Depth=1
	v_bfe_u32 v12, v3, 16, 1
	s_delay_alu instid0(VALU_DEP_1)
	v_add3_u32 v181, v3, v12, 0x7fff
                                        ; implicit-def: $vgpr3
; %bb.1781:                             ;   in Loop: Header=BB426_756 Depth=1
	s_and_not1_saveexec_b32 s13, s1
; %bb.1782:                             ;   in Loop: Header=BB426_756 Depth=1
	v_and_b32_e32 v12, 0xffff, v3
	v_or_b32_e32 v181, 0x10000, v3
	s_delay_alu instid0(VALU_DEP_2) | instskip(NEXT) | instid1(VALU_DEP_1)
	v_cmp_eq_u32_e64 s1, 0, v12
	v_cndmask_b32_e64 v181, v181, v3, s1
; %bb.1783:                             ;   in Loop: Header=BB426_756 Depth=1
	s_or_b32 exec_lo, exec_lo, s13
	v_mov_b32_e32 v3, 0
	s_mov_b32 s13, exec_lo
	v_cmpx_lt_u64_e64 s[8:9], v[0:1]
	s_cbranch_execz .LBB426_1791
; %bb.1784:                             ;   in Loop: Header=BB426_756 Depth=1
	v_lshrrev_b32_e32 v0, 24, v1
	v_bfrev_b32_e32 v3, 1
	s_mov_b32 s15, exec_lo
	s_delay_alu instid0(VALU_DEP_2)
	v_cmpx_ne_u32_e32 0x80, v0
	s_cbranch_execz .LBB426_1790
; %bb.1785:                             ;   in Loop: Header=BB426_756 Depth=1
	v_bfe_u32 v182, v1, 24, 7
	v_mov_b32_e32 v3, 0x7f800001
	s_mov_b32 s16, exec_lo
	s_delay_alu instid0(VALU_DEP_2)
	v_cmpx_ne_u32_e32 0x7f, v182
	s_cbranch_execz .LBB426_1789
; %bb.1786:                             ;   in Loop: Header=BB426_756 Depth=1
	v_and_b32_e32 v12, 7, v0
	v_lshrrev_b32_e32 v1, 3, v182
	s_mov_b32 s17, exec_lo
	v_cmpx_gt_u32_e32 8, v182
; %bb.1787:                             ;   in Loop: Header=BB426_756 Depth=1
	s_delay_alu instid0(VALU_DEP_3) | instskip(NEXT) | instid1(VALU_DEP_1)
	v_clz_i32_u32_e32 v1, v12
	v_min_u32_e32 v1, 32, v1
	s_delay_alu instid0(VALU_DEP_1) | instskip(SKIP_1) | instid1(VALU_DEP_2)
	v_subrev_nc_u32_e32 v3, 28, v1
	v_sub_nc_u32_e32 v1, 29, v1
	v_lshlrev_b64 v[182:183], v3, v[12:13]
	s_delay_alu instid0(VALU_DEP_1)
	v_and_b32_e32 v12, 7, v182
; %bb.1788:                             ;   in Loop: Header=BB426_756 Depth=1
	s_or_b32 exec_lo, exec_lo, s17
	v_lshlrev_b32_e32 v0, 24, v0
	s_delay_alu instid0(VALU_DEP_2) | instskip(SKIP_1) | instid1(VALU_DEP_3)
	v_lshlrev_b32_e32 v3, 20, v12
	v_lshl_add_u32 v1, v1, 23, 0x3c000000
	v_and_b32_e32 v0, 0x80000000, v0
	s_delay_alu instid0(VALU_DEP_1)
	v_or3_b32 v3, v3, v0, v1
.LBB426_1789:                           ;   in Loop: Header=BB426_756 Depth=1
	s_or_b32 exec_lo, exec_lo, s16
.LBB426_1790:                           ;   in Loop: Header=BB426_756 Depth=1
	s_delay_alu instid0(SALU_CYCLE_1)
	s_or_b32 exec_lo, exec_lo, s15
.LBB426_1791:                           ;   in Loop: Header=BB426_756 Depth=1
	s_delay_alu instid0(SALU_CYCLE_1) | instskip(NEXT) | instid1(VALU_DEP_1)
	s_or_b32 exec_lo, exec_lo, s13
	v_mul_f32_e32 v1, v167, v3
	s_delay_alu instid0(VALU_DEP_1) | instskip(NEXT) | instid1(VALU_DEP_1)
	v_and_b32_e32 v0, 0x7f800000, v1
	v_cmp_ne_u32_e64 s1, 0x7f800000, v0
                                        ; implicit-def: $vgpr0
	s_delay_alu instid0(VALU_DEP_1) | instskip(NEXT) | instid1(SALU_CYCLE_1)
	s_and_saveexec_b32 s13, s1
	s_xor_b32 s1, exec_lo, s13
; %bb.1792:                             ;   in Loop: Header=BB426_756 Depth=1
	v_bfe_u32 v0, v1, 16, 1
	s_delay_alu instid0(VALU_DEP_1)
	v_add3_u32 v0, v1, v0, 0x7fff
                                        ; implicit-def: $vgpr1
; %bb.1793:                             ;   in Loop: Header=BB426_756 Depth=1
	s_and_not1_saveexec_b32 s13, s1
; %bb.1794:                             ;   in Loop: Header=BB426_756 Depth=1
	v_and_b32_e32 v0, 0xffff, v1
	v_or_b32_e32 v3, 0x10000, v1
	s_delay_alu instid0(VALU_DEP_2) | instskip(NEXT) | instid1(VALU_DEP_1)
	v_cmp_eq_u32_e64 s1, 0, v0
	v_cndmask_b32_e64 v0, v3, v1, s1
; %bb.1795:                             ;   in Loop: Header=BB426_756 Depth=1
	s_or_b32 exec_lo, exec_lo, s13
	v_lshrrev_b32_e32 v3, 16, v2
	v_lshrrev_b32_e32 v167, 16, v180
	v_lshrrev_b32_e32 v179, 16, v179
	v_lshrrev_b32_e32 v178, 16, v178
	v_lshrrev_b32_e32 v12, 16, v177
	v_lshrrev_b32_e32 v2, 16, v176
	v_lshrrev_b32_e32 v1, 16, v181
	v_lshrrev_b32_e32 v0, 16, v0
	s_and_saveexec_b32 s1, s0
	s_cbranch_execz .LBB426_1797
; %bb.1796:                             ;   in Loop: Header=BB426_756 Depth=1
	v_add_nc_u32_e32 v176, -6, v48
	v_cmp_lt_i32_e64 s0, v66, v32
	v_add_nc_u32_e32 v177, -5, v48
	v_add_nc_u32_e32 v66, -4, v48
	s_delay_alu instid0(VALU_DEP_3) | instskip(SKIP_2) | instid1(VALU_DEP_2)
	v_cndmask_b32_e64 v2, 0, v2, s0
	v_cmp_lt_i32_e64 s0, v176, v32
	v_add_nc_u32_e32 v176, -3, v48
	v_cndmask_b32_e64 v12, 0, v12, s0
	v_cmp_lt_i32_e64 s0, v177, v32
	v_add_nc_u32_e32 v177, -2, v48
	s_delay_alu instid0(VALU_DEP_2) | instskip(SKIP_2) | instid1(VALU_DEP_2)
	v_cndmask_b32_e64 v178, 0, v178, s0
	v_cmp_lt_i32_e64 s0, v66, v32
	v_add_nc_u32_e32 v66, -1, v48
	v_cndmask_b32_e64 v179, 0, v179, s0
	v_cmp_lt_i32_e64 s0, v176, v32
	s_delay_alu instid0(VALU_DEP_1) | instskip(SKIP_1) | instid1(VALU_DEP_1)
	v_cndmask_b32_e64 v167, 0, v167, s0
	v_cmp_lt_i32_e64 s0, v177, v32
	v_cndmask_b32_e64 v3, 0, v3, s0
	v_cmp_lt_i32_e64 s0, v66, v32
	s_delay_alu instid0(VALU_DEP_1) | instskip(SKIP_1) | instid1(VALU_DEP_1)
	v_cndmask_b32_e64 v1, 0, v1, s0
	v_cmp_lt_i32_e64 s0, v48, v32
	v_cndmask_b32_e64 v0, 0, v0, s0
.LBB426_1797:                           ;   in Loop: Header=BB426_756 Depth=1
	s_or_b32 exec_lo, exec_lo, s1
	v_lshlrev_b32_e32 v2, 16, v2
	s_delay_alu instid0(VALU_DEP_1) | instskip(NEXT) | instid1(VALU_DEP_1)
	v_mul_f32_e32 v66, v67, v2
	v_and_b32_e32 v2, 0x7f800000, v66
	s_delay_alu instid0(VALU_DEP_1) | instskip(NEXT) | instid1(VALU_DEP_1)
	v_cmp_ne_u32_e64 s0, 0x7f800000, v2
                                        ; implicit-def: $vgpr2
	s_and_saveexec_b32 s1, s0
	s_delay_alu instid0(SALU_CYCLE_1)
	s_xor_b32 s0, exec_lo, s1
; %bb.1798:                             ;   in Loop: Header=BB426_756 Depth=1
	v_bfe_u32 v2, v66, 16, 1
	s_delay_alu instid0(VALU_DEP_1)
	v_add3_u32 v2, v66, v2, 0x7fff
                                        ; implicit-def: $vgpr66
; %bb.1799:                             ;   in Loop: Header=BB426_756 Depth=1
	s_and_not1_saveexec_b32 s1, s0
; %bb.1800:                             ;   in Loop: Header=BB426_756 Depth=1
	v_and_b32_e32 v2, 0xffff, v66
	v_or_b32_e32 v67, 0x10000, v66
	s_delay_alu instid0(VALU_DEP_2) | instskip(NEXT) | instid1(VALU_DEP_1)
	v_cmp_eq_u32_e64 s0, 0, v2
	v_cndmask_b32_e64 v2, v67, v66, s0
; %bb.1801:                             ;   in Loop: Header=BB426_756 Depth=1
	s_or_b32 exec_lo, exec_lo, s1
	v_lshlrev_b32_e32 v12, 16, v12
	s_delay_alu instid0(VALU_DEP_1) | instskip(NEXT) | instid1(VALU_DEP_1)
	v_mul_f32_e32 v66, v68, v12
	v_and_b32_e32 v12, 0x7f800000, v66
	s_delay_alu instid0(VALU_DEP_1) | instskip(NEXT) | instid1(VALU_DEP_1)
	v_cmp_ne_u32_e64 s0, 0x7f800000, v12
                                        ; implicit-def: $vgpr12
	s_and_saveexec_b32 s1, s0
	s_delay_alu instid0(SALU_CYCLE_1)
	s_xor_b32 s0, exec_lo, s1
; %bb.1802:                             ;   in Loop: Header=BB426_756 Depth=1
	v_bfe_u32 v12, v66, 16, 1
	s_delay_alu instid0(VALU_DEP_1)
	v_add3_u32 v12, v66, v12, 0x7fff
                                        ; implicit-def: $vgpr66
; %bb.1803:                             ;   in Loop: Header=BB426_756 Depth=1
	s_and_not1_saveexec_b32 s1, s0
; %bb.1804:                             ;   in Loop: Header=BB426_756 Depth=1
	v_and_b32_e32 v12, 0xffff, v66
	v_or_b32_e32 v67, 0x10000, v66
	s_delay_alu instid0(VALU_DEP_2) | instskip(NEXT) | instid1(VALU_DEP_1)
	v_cmp_eq_u32_e64 s0, 0, v12
	v_cndmask_b32_e64 v12, v67, v66, s0
; %bb.1805:                             ;   in Loop: Header=BB426_756 Depth=1
	s_or_b32 exec_lo, exec_lo, s1
	v_lshlrev_b32_e32 v66, 16, v178
	s_delay_alu instid0(VALU_DEP_1) | instskip(NEXT) | instid1(VALU_DEP_1)
	v_mul_f32_e32 v67, v69, v66
	v_and_b32_e32 v66, 0x7f800000, v67
	s_delay_alu instid0(VALU_DEP_1) | instskip(NEXT) | instid1(VALU_DEP_1)
	v_cmp_ne_u32_e64 s0, 0x7f800000, v66
                                        ; implicit-def: $vgpr66
	s_and_saveexec_b32 s1, s0
	s_delay_alu instid0(SALU_CYCLE_1)
	s_xor_b32 s0, exec_lo, s1
; %bb.1806:                             ;   in Loop: Header=BB426_756 Depth=1
	v_bfe_u32 v66, v67, 16, 1
	s_delay_alu instid0(VALU_DEP_1)
	v_add3_u32 v66, v67, v66, 0x7fff
                                        ; implicit-def: $vgpr67
; %bb.1807:                             ;   in Loop: Header=BB426_756 Depth=1
	s_and_not1_saveexec_b32 s1, s0
; %bb.1808:                             ;   in Loop: Header=BB426_756 Depth=1
	v_and_b32_e32 v66, 0xffff, v67
	v_or_b32_e32 v68, 0x10000, v67
	s_delay_alu instid0(VALU_DEP_2) | instskip(NEXT) | instid1(VALU_DEP_1)
	v_cmp_eq_u32_e64 s0, 0, v66
	v_cndmask_b32_e64 v66, v68, v67, s0
; %bb.1809:                             ;   in Loop: Header=BB426_756 Depth=1
	s_or_b32 exec_lo, exec_lo, s1
	v_lshlrev_b32_e32 v67, 16, v179
	s_delay_alu instid0(VALU_DEP_1) | instskip(NEXT) | instid1(VALU_DEP_1)
	v_mul_f32_e32 v68, v70, v67
	v_and_b32_e32 v67, 0x7f800000, v68
	s_delay_alu instid0(VALU_DEP_1) | instskip(NEXT) | instid1(VALU_DEP_1)
	v_cmp_ne_u32_e64 s0, 0x7f800000, v67
                                        ; implicit-def: $vgpr67
	s_and_saveexec_b32 s1, s0
	s_delay_alu instid0(SALU_CYCLE_1)
	s_xor_b32 s0, exec_lo, s1
; %bb.1810:                             ;   in Loop: Header=BB426_756 Depth=1
	v_bfe_u32 v67, v68, 16, 1
	s_delay_alu instid0(VALU_DEP_1)
	v_add3_u32 v67, v68, v67, 0x7fff
                                        ; implicit-def: $vgpr68
; %bb.1811:                             ;   in Loop: Header=BB426_756 Depth=1
	s_and_not1_saveexec_b32 s1, s0
; %bb.1812:                             ;   in Loop: Header=BB426_756 Depth=1
	v_and_b32_e32 v67, 0xffff, v68
	v_or_b32_e32 v69, 0x10000, v68
	s_delay_alu instid0(VALU_DEP_2) | instskip(NEXT) | instid1(VALU_DEP_1)
	v_cmp_eq_u32_e64 s0, 0, v67
	v_cndmask_b32_e64 v67, v69, v68, s0
; %bb.1813:                             ;   in Loop: Header=BB426_756 Depth=1
	s_or_b32 exec_lo, exec_lo, s1
	v_lshlrev_b32_e32 v68, 16, v167
	s_delay_alu instid0(VALU_DEP_1) | instskip(NEXT) | instid1(VALU_DEP_1)
	v_mul_f32_e32 v69, v71, v68
	v_and_b32_e32 v68, 0x7f800000, v69
	s_delay_alu instid0(VALU_DEP_1) | instskip(NEXT) | instid1(VALU_DEP_1)
	v_cmp_ne_u32_e64 s0, 0x7f800000, v68
                                        ; implicit-def: $vgpr68
	s_and_saveexec_b32 s1, s0
	s_delay_alu instid0(SALU_CYCLE_1)
	s_xor_b32 s0, exec_lo, s1
; %bb.1814:                             ;   in Loop: Header=BB426_756 Depth=1
	v_bfe_u32 v68, v69, 16, 1
	s_delay_alu instid0(VALU_DEP_1)
	v_add3_u32 v68, v69, v68, 0x7fff
                                        ; implicit-def: $vgpr69
; %bb.1815:                             ;   in Loop: Header=BB426_756 Depth=1
	s_and_not1_saveexec_b32 s1, s0
; %bb.1816:                             ;   in Loop: Header=BB426_756 Depth=1
	v_and_b32_e32 v68, 0xffff, v69
	v_or_b32_e32 v70, 0x10000, v69
	s_delay_alu instid0(VALU_DEP_2) | instskip(NEXT) | instid1(VALU_DEP_1)
	v_cmp_eq_u32_e64 s0, 0, v68
	v_cndmask_b32_e64 v68, v70, v69, s0
; %bb.1817:                             ;   in Loop: Header=BB426_756 Depth=1
	s_or_b32 exec_lo, exec_lo, s1
	v_lshlrev_b32_e32 v3, 16, v3
	s_delay_alu instid0(VALU_DEP_1) | instskip(NEXT) | instid1(VALU_DEP_1)
	v_mul_f32_e32 v69, v80, v3
	v_and_b32_e32 v3, 0x7f800000, v69
	s_delay_alu instid0(VALU_DEP_1) | instskip(NEXT) | instid1(VALU_DEP_1)
	v_cmp_ne_u32_e64 s0, 0x7f800000, v3
                                        ; implicit-def: $vgpr3
	s_and_saveexec_b32 s1, s0
	s_delay_alu instid0(SALU_CYCLE_1)
	s_xor_b32 s0, exec_lo, s1
; %bb.1818:                             ;   in Loop: Header=BB426_756 Depth=1
	v_bfe_u32 v3, v69, 16, 1
	s_delay_alu instid0(VALU_DEP_1)
	v_add3_u32 v3, v69, v3, 0x7fff
                                        ; implicit-def: $vgpr69
; %bb.1819:                             ;   in Loop: Header=BB426_756 Depth=1
	s_and_not1_saveexec_b32 s1, s0
; %bb.1820:                             ;   in Loop: Header=BB426_756 Depth=1
	v_and_b32_e32 v3, 0xffff, v69
	v_or_b32_e32 v70, 0x10000, v69
	s_delay_alu instid0(VALU_DEP_2) | instskip(NEXT) | instid1(VALU_DEP_1)
	v_cmp_eq_u32_e64 s0, 0, v3
	v_cndmask_b32_e64 v3, v70, v69, s0
; %bb.1821:                             ;   in Loop: Header=BB426_756 Depth=1
	s_or_b32 exec_lo, exec_lo, s1
	v_lshlrev_b32_e32 v1, 16, v1
	s_delay_alu instid0(VALU_DEP_1) | instskip(NEXT) | instid1(VALU_DEP_1)
	v_mul_f32_e32 v69, v81, v1
	v_and_b32_e32 v1, 0x7f800000, v69
	s_delay_alu instid0(VALU_DEP_1) | instskip(NEXT) | instid1(VALU_DEP_1)
	v_cmp_ne_u32_e64 s0, 0x7f800000, v1
                                        ; implicit-def: $vgpr1
	s_and_saveexec_b32 s1, s0
	s_delay_alu instid0(SALU_CYCLE_1)
	s_xor_b32 s0, exec_lo, s1
; %bb.1822:                             ;   in Loop: Header=BB426_756 Depth=1
	v_bfe_u32 v1, v69, 16, 1
	s_delay_alu instid0(VALU_DEP_1)
	v_add3_u32 v1, v69, v1, 0x7fff
                                        ; implicit-def: $vgpr69
; %bb.1823:                             ;   in Loop: Header=BB426_756 Depth=1
	s_and_not1_saveexec_b32 s1, s0
; %bb.1824:                             ;   in Loop: Header=BB426_756 Depth=1
	v_and_b32_e32 v1, 0xffff, v69
	v_or_b32_e32 v70, 0x10000, v69
	s_delay_alu instid0(VALU_DEP_2) | instskip(NEXT) | instid1(VALU_DEP_1)
	v_cmp_eq_u32_e64 s0, 0, v1
	v_cndmask_b32_e64 v1, v70, v69, s0
; %bb.1825:                             ;   in Loop: Header=BB426_756 Depth=1
	s_or_b32 exec_lo, exec_lo, s1
	v_lshlrev_b32_e32 v0, 16, v0
	s_delay_alu instid0(VALU_DEP_1) | instskip(NEXT) | instid1(VALU_DEP_1)
	v_mul_f32_e32 v69, v82, v0
	v_and_b32_e32 v0, 0x7f800000, v69
	s_delay_alu instid0(VALU_DEP_1) | instskip(NEXT) | instid1(VALU_DEP_1)
	v_cmp_ne_u32_e64 s0, 0x7f800000, v0
                                        ; implicit-def: $vgpr0
	s_and_saveexec_b32 s1, s0
	s_delay_alu instid0(SALU_CYCLE_1)
	s_xor_b32 s0, exec_lo, s1
; %bb.1826:                             ;   in Loop: Header=BB426_756 Depth=1
	v_bfe_u32 v0, v69, 16, 1
	s_delay_alu instid0(VALU_DEP_1)
	v_add3_u32 v0, v69, v0, 0x7fff
                                        ; implicit-def: $vgpr69
; %bb.1827:                             ;   in Loop: Header=BB426_756 Depth=1
	s_and_not1_saveexec_b32 s1, s0
	s_cbranch_execz .LBB426_754
; %bb.1828:                             ;   in Loop: Header=BB426_756 Depth=1
	v_and_b32_e32 v0, 0xffff, v69
	v_or_b32_e32 v70, 0x10000, v69
	s_delay_alu instid0(VALU_DEP_2) | instskip(NEXT) | instid1(VALU_DEP_1)
	v_cmp_eq_u32_e64 s0, 0, v0
	v_cndmask_b32_e64 v0, v70, v69, s0
	s_branch .LBB426_754
.LBB426_1829:
	s_or_b32 exec_lo, exec_lo, s10
	v_dual_mov_b32 v0, s6 :: v_dual_mov_b32 v1, s7
.LBB426_1830:
	s_or_b32 exec_lo, exec_lo, s3
	s_delay_alu instid0(VALU_DEP_1)
	v_lshlrev_b64 v[0:1], 2, v[0:1]
	s_getpc_b64 s[0:1]
	s_add_u32 s0, s0, llvm.amdgcn.dynlds.offset.table@rel32@lo+4
	s_addc_u32 s1, s1, llvm.amdgcn.dynlds.offset.table@rel32@hi+12
	s_waitcnt lgkmcnt(0)
	s_waitcnt_vscnt null, 0x0
	s_barrier
	buffer_gl0_inv
	ds_bpermute_b32 v2, v19, v28
	v_add_co_u32 v0, vcc_lo, v0, s0
	v_add_co_ci_u32_e32 v1, vcc_lo, s1, v1, vcc_lo
	ds_bpermute_b32 v3, v19, v25
	ds_bpermute_b32 v7, v19, v24
	;; [unrolled: 1-line block ×3, first 2 shown]
	global_load_b32 v10, v[0:1], off
	ds_bpermute_b32 v0, v19, v36
	ds_bpermute_b32 v1, v19, v29
	;; [unrolled: 1-line block ×4, first 2 shown]
	v_cmp_eq_u32_e32 vcc_lo, 0, v33
	v_and_b32_e32 v14, 0x3c0, v31
	s_mov_b32 s1, exec_lo
	s_waitcnt lgkmcnt(6)
	v_dual_add_f32 v6, v28, v2 :: v_dual_add_f32 v3, v25, v3
	s_waitcnt lgkmcnt(5)
	v_add_f32_e32 v2, v24, v7
	s_waitcnt lgkmcnt(2)
	v_dual_add_f32 v9, v36, v0 :: v_dual_add_f32 v8, v29, v1
	s_waitcnt lgkmcnt(1)
	v_dual_add_f32 v1, v23, v11 :: v_dual_add_f32 v0, v21, v12
	s_waitcnt lgkmcnt(0)
	v_add_f32_e32 v7, v20, v13
	s_waitcnt vmcnt(0)
	v_mad_u32_u24 v10, 0x1e0, v34, v10
	v_cmpx_eq_u32_e32 64, v14
	s_cbranch_execz .LBB426_1835
; %bb.1831:
	s_delay_alu instid0(VALU_DEP_2) | instskip(NEXT) | instid1(VALU_DEP_1)
	v_add_nc_u32_e32 v11, 0xfffffc40, v10
	v_lshl_add_u32 v11, v18, 2, v11
	s_and_saveexec_b32 s0, vcc_lo
	s_cbranch_execz .LBB426_1833
; %bb.1832:
	ds_store_2addr_b32 v11, v9, v8 offset1:16
	ds_store_2addr_b32 v11, v6, v3 offset0:32 offset1:48
	ds_store_2addr_b32 v11, v2, v1 offset0:64 offset1:80
	ds_store_b32 v11, v0 offset:384
.LBB426_1833:
	s_or_b32 exec_lo, exec_lo, s0
	v_or_b32_e32 v12, 0x70, v18
	s_delay_alu instid0(VALU_DEP_1) | instskip(NEXT) | instid1(VALU_DEP_1)
	v_cmp_gt_u32_e64 s0, 0x78, v12
	s_and_b32 s0, vcc_lo, s0
	s_delay_alu instid0(SALU_CYCLE_1)
	s_and_b32 exec_lo, exec_lo, s0
	s_cbranch_execz .LBB426_1835
; %bb.1834:
	ds_store_b32 v11, v7 offset:448
.LBB426_1835:
	s_or_b32 exec_lo, exec_lo, s1
	s_delay_alu instid0(SALU_CYCLE_1)
	s_mov_b32 s1, exec_lo
	s_waitcnt lgkmcnt(0)
	s_barrier
	buffer_gl0_inv
	v_cmpx_gt_u32_e32 64, v31
	s_cbranch_execz .LBB426_1847
; %bb.1836:
	s_and_saveexec_b32 s0, vcc_lo
	s_cbranch_execnz .LBB426_1914
; %bb.1837:
	s_or_b32 exec_lo, exec_lo, s0
	s_and_saveexec_b32 s0, vcc_lo
	s_cbranch_execnz .LBB426_1915
.LBB426_1838:
	s_or_b32 exec_lo, exec_lo, s0
	s_and_saveexec_b32 s0, vcc_lo
	s_cbranch_execnz .LBB426_1916
.LBB426_1839:
	s_or_b32 exec_lo, exec_lo, s0
	s_and_saveexec_b32 s0, vcc_lo
	s_cbranch_execnz .LBB426_1917
.LBB426_1840:
	s_or_b32 exec_lo, exec_lo, s0
	s_and_saveexec_b32 s0, vcc_lo
	s_cbranch_execnz .LBB426_1918
.LBB426_1841:
	s_or_b32 exec_lo, exec_lo, s0
	s_and_saveexec_b32 s0, vcc_lo
	s_cbranch_execnz .LBB426_1919
.LBB426_1842:
	s_or_b32 exec_lo, exec_lo, s0
	s_and_saveexec_b32 s0, vcc_lo
	s_cbranch_execz .LBB426_1844
.LBB426_1843:
	v_lshl_add_u32 v11, v18, 2, v10
	ds_load_b32 v11, v11 offset:384
	s_waitcnt lgkmcnt(0)
	v_add_f32_e32 v0, v0, v11
.LBB426_1844:
	s_or_b32 exec_lo, exec_lo, s0
	v_or_b32_e32 v11, 0x70, v18
	s_delay_alu instid0(VALU_DEP_1) | instskip(NEXT) | instid1(VALU_DEP_1)
	v_cmp_gt_u32_e64 s0, 0x78, v11
	s_and_b32 s3, vcc_lo, s0
	s_delay_alu instid0(SALU_CYCLE_1)
	s_and_saveexec_b32 s0, s3
	s_cbranch_execz .LBB426_1846
; %bb.1845:
	v_lshl_add_u32 v11, v18, 2, v10
	ds_load_b32 v11, v11 offset:448
	s_waitcnt lgkmcnt(0)
	v_add_f32_e32 v7, v7, v11
.LBB426_1846:
	s_or_b32 exec_lo, exec_lo, s0
.LBB426_1847:
	s_delay_alu instid0(SALU_CYCLE_1)
	s_or_b32 exec_lo, exec_lo, s1
	v_and_b32_e32 v11, 0x3e0, v31
	s_mov_b32 s1, exec_lo
	s_barrier
	buffer_gl0_inv
	v_cmpx_eq_u32_e32 32, v11
	s_cbranch_execz .LBB426_1852
; %bb.1848:
	v_add_nc_u32_e32 v11, 0xfffffe20, v10
	s_delay_alu instid0(VALU_DEP_1)
	v_lshl_add_u32 v11, v18, 2, v11
	s_and_saveexec_b32 s0, vcc_lo
	s_cbranch_execz .LBB426_1850
; %bb.1849:
	ds_store_2addr_b32 v11, v9, v8 offset1:16
	ds_store_2addr_b32 v11, v6, v3 offset0:32 offset1:48
	ds_store_2addr_b32 v11, v2, v1 offset0:64 offset1:80
	ds_store_b32 v11, v0 offset:384
.LBB426_1850:
	s_or_b32 exec_lo, exec_lo, s0
	v_or_b32_e32 v12, 0x70, v18
	s_delay_alu instid0(VALU_DEP_1) | instskip(NEXT) | instid1(VALU_DEP_1)
	v_cmp_gt_u32_e64 s0, 0x78, v12
	s_and_b32 s0, vcc_lo, s0
	s_delay_alu instid0(SALU_CYCLE_1)
	s_and_b32 exec_lo, exec_lo, s0
	s_cbranch_execz .LBB426_1852
; %bb.1851:
	ds_store_b32 v11, v7 offset:448
.LBB426_1852:
	s_or_b32 exec_lo, exec_lo, s1
	v_cmp_gt_u32_e64 s0, 32, v31
	s_waitcnt lgkmcnt(0)
	s_barrier
	buffer_gl0_inv
	s_and_saveexec_b32 s3, s0
	s_cbranch_execz .LBB426_1864
; %bb.1853:
	v_lshl_add_u32 v10, v18, 2, v10
	s_and_saveexec_b32 s1, vcc_lo
	s_cbranch_execnz .LBB426_1920
; %bb.1854:
	s_or_b32 exec_lo, exec_lo, s1
	s_and_saveexec_b32 s1, vcc_lo
	s_cbranch_execnz .LBB426_1921
.LBB426_1855:
	s_or_b32 exec_lo, exec_lo, s1
	s_and_saveexec_b32 s1, vcc_lo
	s_cbranch_execnz .LBB426_1922
.LBB426_1856:
	s_or_b32 exec_lo, exec_lo, s1
	s_and_saveexec_b32 s1, vcc_lo
	s_cbranch_execnz .LBB426_1923
.LBB426_1857:
	s_or_b32 exec_lo, exec_lo, s1
	s_and_saveexec_b32 s1, vcc_lo
	s_cbranch_execnz .LBB426_1924
.LBB426_1858:
	s_or_b32 exec_lo, exec_lo, s1
	s_and_saveexec_b32 s1, vcc_lo
	s_cbranch_execnz .LBB426_1925
.LBB426_1859:
	s_or_b32 exec_lo, exec_lo, s1
	s_and_saveexec_b32 s1, vcc_lo
	s_cbranch_execz .LBB426_1861
.LBB426_1860:
	ds_load_b32 v11, v10 offset:384
	s_waitcnt lgkmcnt(0)
	v_add_f32_e32 v0, v0, v11
.LBB426_1861:
	s_or_b32 exec_lo, exec_lo, s1
	v_or_b32_e32 v11, 0x70, v18
	s_delay_alu instid0(VALU_DEP_1) | instskip(NEXT) | instid1(VALU_DEP_1)
	v_cmp_gt_u32_e64 s1, 0x78, v11
	s_and_b32 s6, vcc_lo, s1
	s_delay_alu instid0(SALU_CYCLE_1)
	s_and_saveexec_b32 s1, s6
	s_cbranch_execz .LBB426_1863
; %bb.1862:
	ds_load_b32 v10, v10 offset:448
	s_waitcnt lgkmcnt(0)
	v_add_f32_e32 v7, v7, v10
.LBB426_1863:
	s_or_b32 exec_lo, exec_lo, s1
.LBB426_1864:
	s_delay_alu instid0(SALU_CYCLE_1)
	s_or_b32 exec_lo, exec_lo, s3
	s_barrier
	buffer_gl0_inv
	s_and_b32 exec_lo, exec_lo, s0
	s_cbranch_execz .LBB426_1913
; %bb.1865:
	s_mul_i32 s0, s2, 0x78
	s_mul_i32 s2, s4, s5
	;; [unrolled: 1-line block ×3, first 2 shown]
	s_ashr_i32 s3, s2, 31
	s_ashr_i32 s5, s4, 31
	s_ashr_i32 s1, s0, 31
	s_lshl_b64 s[2:3], s[2:3], 1
	s_lshl_b64 s[4:5], s[4:5], 1
	;; [unrolled: 1-line block ×3, first 2 shown]
	s_add_u32 s2, s4, s2
	s_addc_u32 s3, s5, s3
	s_add_u32 s0, s2, s0
	s_addc_u32 s1, s3, s1
	v_add_co_u32 v10, s0, s0, v4
	s_delay_alu instid0(VALU_DEP_1)
	v_add_co_ci_u32_e64 v11, s0, s1, v5, s0
	s_and_saveexec_b32 s1, vcc_lo
	s_cbranch_execz .LBB426_1871
; %bb.1866:
	v_and_b32_e32 v4, 0x7f800000, v9
	s_delay_alu instid0(VALU_DEP_1) | instskip(NEXT) | instid1(VALU_DEP_1)
	v_cmp_ne_u32_e64 s0, 0x7f800000, v4
                                        ; implicit-def: $vgpr4
	s_and_saveexec_b32 s2, s0
	s_delay_alu instid0(SALU_CYCLE_1)
	s_xor_b32 s0, exec_lo, s2
; %bb.1867:
	v_bfe_u32 v4, v9, 16, 1
	s_delay_alu instid0(VALU_DEP_1)
	v_add3_u32 v4, v9, v4, 0x7fff
; %bb.1868:
	s_and_not1_saveexec_b32 s2, s0
; %bb.1869:
	v_and_b32_e32 v4, 0xffff, v9
	v_or_b32_e32 v5, 0x10000, v9
	s_delay_alu instid0(VALU_DEP_2) | instskip(NEXT) | instid1(VALU_DEP_1)
	v_cmp_eq_u32_e64 s0, 0, v4
	v_cndmask_b32_e64 v4, v5, v9, s0
; %bb.1870:
	s_or_b32 exec_lo, exec_lo, s2
	v_lshlrev_b32_e32 v5, 1, v30
	s_delay_alu instid0(VALU_DEP_1) | instskip(NEXT) | instid1(VALU_DEP_1)
	v_add_co_u32 v12, s0, v10, v5
	v_add_co_ci_u32_e64 v13, s0, 0, v11, s0
	flat_store_d16_hi_b16 v[12:13], v4
.LBB426_1871:
	s_or_b32 exec_lo, exec_lo, s1
	v_or_b32_e32 v4, 16, v30
	s_delay_alu instid0(VALU_DEP_1) | instskip(NEXT) | instid1(VALU_DEP_1)
	v_cmp_gt_u32_e64 s0, 0x78, v4
	s_and_b32 s0, vcc_lo, s0
	s_delay_alu instid0(SALU_CYCLE_1)
	s_and_saveexec_b32 s1, s0
	s_cbranch_execz .LBB426_1877
; %bb.1872:
	v_and_b32_e32 v4, 0x7f800000, v8
	s_delay_alu instid0(VALU_DEP_1) | instskip(NEXT) | instid1(VALU_DEP_1)
	v_cmp_ne_u32_e64 s0, 0x7f800000, v4
                                        ; implicit-def: $vgpr4
	s_and_saveexec_b32 s2, s0
	s_delay_alu instid0(SALU_CYCLE_1)
	s_xor_b32 s0, exec_lo, s2
; %bb.1873:
	v_bfe_u32 v4, v8, 16, 1
	s_delay_alu instid0(VALU_DEP_1)
	v_add3_u32 v4, v8, v4, 0x7fff
; %bb.1874:
	s_and_not1_saveexec_b32 s2, s0
; %bb.1875:
	v_and_b32_e32 v4, 0xffff, v8
	v_or_b32_e32 v5, 0x10000, v8
	s_delay_alu instid0(VALU_DEP_2) | instskip(NEXT) | instid1(VALU_DEP_1)
	v_cmp_eq_u32_e64 s0, 0, v4
	v_cndmask_b32_e64 v4, v5, v8, s0
; %bb.1876:
	s_or_b32 exec_lo, exec_lo, s2
	v_lshlrev_b32_e32 v5, 1, v30
	s_delay_alu instid0(VALU_DEP_1) | instskip(NEXT) | instid1(VALU_DEP_1)
	v_add_co_u32 v8, s0, v10, v5
	v_add_co_ci_u32_e64 v9, s0, 0, v11, s0
	flat_store_d16_hi_b16 v[8:9], v4 offset:32
.LBB426_1877:
	s_or_b32 exec_lo, exec_lo, s1
	v_or_b32_e32 v4, 32, v30
	s_delay_alu instid0(VALU_DEP_1) | instskip(NEXT) | instid1(VALU_DEP_1)
	v_cmp_gt_u32_e64 s0, 0x78, v4
	s_and_b32 s0, vcc_lo, s0
	s_delay_alu instid0(SALU_CYCLE_1)
	s_and_saveexec_b32 s1, s0
	s_cbranch_execz .LBB426_1883
; %bb.1878:
	v_and_b32_e32 v4, 0x7f800000, v6
	s_delay_alu instid0(VALU_DEP_1) | instskip(NEXT) | instid1(VALU_DEP_1)
	v_cmp_ne_u32_e64 s0, 0x7f800000, v4
                                        ; implicit-def: $vgpr4
	s_and_saveexec_b32 s2, s0
	s_delay_alu instid0(SALU_CYCLE_1)
	s_xor_b32 s0, exec_lo, s2
; %bb.1879:
	v_bfe_u32 v4, v6, 16, 1
	s_delay_alu instid0(VALU_DEP_1)
	v_add3_u32 v4, v6, v4, 0x7fff
; %bb.1880:
	s_and_not1_saveexec_b32 s2, s0
; %bb.1881:
	v_and_b32_e32 v4, 0xffff, v6
	v_or_b32_e32 v5, 0x10000, v6
	s_delay_alu instid0(VALU_DEP_2) | instskip(NEXT) | instid1(VALU_DEP_1)
	v_cmp_eq_u32_e64 s0, 0, v4
	v_cndmask_b32_e64 v4, v5, v6, s0
; %bb.1882:
	s_or_b32 exec_lo, exec_lo, s2
	v_lshlrev_b32_e32 v5, 1, v30
	s_delay_alu instid0(VALU_DEP_1) | instskip(NEXT) | instid1(VALU_DEP_1)
	v_add_co_u32 v5, s0, v10, v5
	v_add_co_ci_u32_e64 v6, s0, 0, v11, s0
	flat_store_d16_hi_b16 v[5:6], v4 offset:64
.LBB426_1883:
	;; [unrolled: 36-line block ×3, first 2 shown]
	s_or_b32 exec_lo, exec_lo, s1
	v_or_b32_e32 v3, 64, v30
	s_delay_alu instid0(VALU_DEP_1) | instskip(NEXT) | instid1(VALU_DEP_1)
	v_cmp_gt_u32_e64 s0, 0x78, v3
	s_and_b32 s0, vcc_lo, s0
	s_delay_alu instid0(SALU_CYCLE_1)
	s_and_saveexec_b32 s1, s0
	s_cbranch_execz .LBB426_1895
; %bb.1890:
	v_and_b32_e32 v3, 0x7f800000, v2
	s_delay_alu instid0(VALU_DEP_1) | instskip(NEXT) | instid1(VALU_DEP_1)
	v_cmp_ne_u32_e64 s0, 0x7f800000, v3
                                        ; implicit-def: $vgpr3
	s_and_saveexec_b32 s2, s0
	s_delay_alu instid0(SALU_CYCLE_1)
	s_xor_b32 s0, exec_lo, s2
; %bb.1891:
	v_bfe_u32 v3, v2, 16, 1
	s_delay_alu instid0(VALU_DEP_1)
	v_add3_u32 v3, v2, v3, 0x7fff
; %bb.1892:
	s_and_not1_saveexec_b32 s2, s0
; %bb.1893:
	v_and_b32_e32 v3, 0xffff, v2
	v_or_b32_e32 v4, 0x10000, v2
	s_delay_alu instid0(VALU_DEP_2) | instskip(NEXT) | instid1(VALU_DEP_1)
	v_cmp_eq_u32_e64 s0, 0, v3
	v_cndmask_b32_e64 v3, v4, v2, s0
; %bb.1894:
	s_or_b32 exec_lo, exec_lo, s2
	v_lshlrev_b32_e32 v2, 1, v30
	s_delay_alu instid0(VALU_DEP_1) | instskip(NEXT) | instid1(VALU_DEP_1)
	v_add_co_u32 v4, s0, v10, v2
	v_add_co_ci_u32_e64 v5, s0, 0, v11, s0
	flat_store_d16_hi_b16 v[4:5], v3 offset:128
.LBB426_1895:
	s_or_b32 exec_lo, exec_lo, s1
	v_or_b32_e32 v2, 0x50, v30
	s_delay_alu instid0(VALU_DEP_1) | instskip(NEXT) | instid1(VALU_DEP_1)
	v_cmp_gt_u32_e64 s0, 0x78, v2
	s_and_b32 s0, vcc_lo, s0
	s_delay_alu instid0(SALU_CYCLE_1)
	s_and_saveexec_b32 s1, s0
	s_cbranch_execz .LBB426_1901
; %bb.1896:
	v_and_b32_e32 v2, 0x7f800000, v1
	s_delay_alu instid0(VALU_DEP_1) | instskip(NEXT) | instid1(VALU_DEP_1)
	v_cmp_ne_u32_e64 s0, 0x7f800000, v2
                                        ; implicit-def: $vgpr2
	s_and_saveexec_b32 s2, s0
	s_delay_alu instid0(SALU_CYCLE_1)
	s_xor_b32 s0, exec_lo, s2
; %bb.1897:
	v_bfe_u32 v2, v1, 16, 1
	s_delay_alu instid0(VALU_DEP_1)
	v_add3_u32 v2, v1, v2, 0x7fff
; %bb.1898:
	s_and_not1_saveexec_b32 s2, s0
; %bb.1899:
	v_and_b32_e32 v2, 0xffff, v1
	v_or_b32_e32 v3, 0x10000, v1
	s_delay_alu instid0(VALU_DEP_2) | instskip(NEXT) | instid1(VALU_DEP_1)
	v_cmp_eq_u32_e64 s0, 0, v2
	v_cndmask_b32_e64 v2, v3, v1, s0
; %bb.1900:
	s_or_b32 exec_lo, exec_lo, s2
	v_lshlrev_b32_e32 v1, 1, v30
	s_delay_alu instid0(VALU_DEP_1) | instskip(NEXT) | instid1(VALU_DEP_1)
	v_add_co_u32 v3, s0, v10, v1
	v_add_co_ci_u32_e64 v4, s0, 0, v11, s0
	flat_store_d16_hi_b16 v[3:4], v2 offset:160
.LBB426_1901:
	s_or_b32 exec_lo, exec_lo, s1
	v_or_b32_e32 v1, 0x60, v30
	s_delay_alu instid0(VALU_DEP_1) | instskip(NEXT) | instid1(VALU_DEP_1)
	v_cmp_gt_u32_e64 s0, 0x78, v1
	s_and_b32 s0, vcc_lo, s0
	s_delay_alu instid0(SALU_CYCLE_1)
	s_and_saveexec_b32 s1, s0
	s_cbranch_execz .LBB426_1907
; %bb.1902:
	v_and_b32_e32 v1, 0x7f800000, v0
	s_delay_alu instid0(VALU_DEP_1) | instskip(NEXT) | instid1(VALU_DEP_1)
	v_cmp_ne_u32_e64 s0, 0x7f800000, v1
                                        ; implicit-def: $vgpr1
	s_and_saveexec_b32 s2, s0
	s_delay_alu instid0(SALU_CYCLE_1)
	s_xor_b32 s0, exec_lo, s2
; %bb.1903:
	v_bfe_u32 v1, v0, 16, 1
	s_delay_alu instid0(VALU_DEP_1)
	v_add3_u32 v1, v0, v1, 0x7fff
; %bb.1904:
	s_and_not1_saveexec_b32 s2, s0
; %bb.1905:
	v_and_b32_e32 v1, 0xffff, v0
	v_or_b32_e32 v2, 0x10000, v0
	s_delay_alu instid0(VALU_DEP_2) | instskip(NEXT) | instid1(VALU_DEP_1)
	v_cmp_eq_u32_e64 s0, 0, v1
	v_cndmask_b32_e64 v1, v2, v0, s0
; %bb.1906:
	s_or_b32 exec_lo, exec_lo, s2
	v_lshlrev_b32_e32 v0, 1, v30
	s_delay_alu instid0(VALU_DEP_1) | instskip(NEXT) | instid1(VALU_DEP_1)
	v_add_co_u32 v2, s0, v10, v0
	v_add_co_ci_u32_e64 v3, s0, 0, v11, s0
	flat_store_d16_hi_b16 v[2:3], v1 offset:192
.LBB426_1907:
	s_or_b32 exec_lo, exec_lo, s1
	v_or_b32_e32 v0, 0x70, v30
	s_delay_alu instid0(VALU_DEP_1) | instskip(NEXT) | instid1(VALU_DEP_1)
	v_cmp_gt_u32_e64 s0, 0x78, v0
	s_and_b32 s0, vcc_lo, s0
	s_delay_alu instid0(SALU_CYCLE_1)
	s_and_b32 exec_lo, exec_lo, s0
	s_cbranch_execz .LBB426_1913
; %bb.1908:
	v_and_b32_e32 v0, 0x7f800000, v7
	s_mov_b32 s0, exec_lo
                                        ; implicit-def: $vgpr8
	s_delay_alu instid0(VALU_DEP_1)
	v_cmpx_ne_u32_e32 0x7f800000, v0
	s_xor_b32 s0, exec_lo, s0
; %bb.1909:
	v_bfe_u32 v0, v7, 16, 1
	s_delay_alu instid0(VALU_DEP_1)
	v_add3_u32 v8, v7, v0, 0x7fff
                                        ; implicit-def: $vgpr0_vgpr1_vgpr2_vgpr3_vgpr4_vgpr5_vgpr6_vgpr7
; %bb.1910:
	s_and_not1_saveexec_b32 s0, s0
; %bb.1911:
	v_and_b32_e32 v0, 0xffff, v7
	v_or_b32_e32 v1, 0x10000, v7
	s_delay_alu instid0(VALU_DEP_2) | instskip(NEXT) | instid1(VALU_DEP_2)
	v_cmp_eq_u32_e32 vcc_lo, 0, v0
	v_cndmask_b32_e32 v8, v1, v7, vcc_lo
; %bb.1912:
	s_or_b32 exec_lo, exec_lo, s0
	v_lshlrev_b32_e32 v0, 1, v30
	s_delay_alu instid0(VALU_DEP_1)
	v_add_co_u32 v0, vcc_lo, v10, v0
	v_add_co_ci_u32_e32 v1, vcc_lo, 0, v11, vcc_lo
	flat_store_d16_hi_b16 v[0:1], v8 offset:224
.LBB426_1913:
	s_or_b32 exec_lo, exec_lo, s11
	s_clause 0x1f
	scratch_load_b32 v153, off, s32
	scratch_load_b32 v152, off, s32 offset:4
	scratch_load_b32 v143, off, s32 offset:8
	;; [unrolled: 1-line block ×31, first 2 shown]
	s_clause 0x19
	scratch_load_b32 v89, off, s32 offset:128
	scratch_load_b32 v88, off, s32 offset:132
	;; [unrolled: 1-line block ×26, first 2 shown]
	s_waitcnt vmcnt(0) lgkmcnt(0)
	s_setpc_b64 s[30:31]
.LBB426_1914:
	v_lshl_add_u32 v11, v18, 2, v10
	ds_load_b32 v11, v11
	s_waitcnt lgkmcnt(0)
	v_add_f32_e32 v9, v9, v11
	s_or_b32 exec_lo, exec_lo, s0
	s_and_saveexec_b32 s0, vcc_lo
	s_cbranch_execz .LBB426_1838
.LBB426_1915:
	v_lshl_add_u32 v11, v18, 2, v10
	ds_load_b32 v11, v11 offset:64
	s_waitcnt lgkmcnt(0)
	v_add_f32_e32 v8, v8, v11
	s_or_b32 exec_lo, exec_lo, s0
	s_and_saveexec_b32 s0, vcc_lo
	s_cbranch_execz .LBB426_1839
.LBB426_1916:
	v_lshl_add_u32 v11, v18, 2, v10
	ds_load_b32 v11, v11 offset:128
	s_waitcnt lgkmcnt(0)
	v_add_f32_e32 v6, v6, v11
	s_or_b32 exec_lo, exec_lo, s0
	s_and_saveexec_b32 s0, vcc_lo
	s_cbranch_execz .LBB426_1840
.LBB426_1917:
	v_lshl_add_u32 v11, v18, 2, v10
	ds_load_b32 v11, v11 offset:192
	s_waitcnt lgkmcnt(0)
	v_add_f32_e32 v3, v3, v11
	s_or_b32 exec_lo, exec_lo, s0
	s_and_saveexec_b32 s0, vcc_lo
	s_cbranch_execz .LBB426_1841
.LBB426_1918:
	v_lshl_add_u32 v11, v18, 2, v10
	ds_load_b32 v11, v11 offset:256
	s_waitcnt lgkmcnt(0)
	v_add_f32_e32 v2, v2, v11
	s_or_b32 exec_lo, exec_lo, s0
	s_and_saveexec_b32 s0, vcc_lo
	s_cbranch_execz .LBB426_1842
.LBB426_1919:
	v_lshl_add_u32 v11, v18, 2, v10
	ds_load_b32 v11, v11 offset:320
	s_waitcnt lgkmcnt(0)
	v_add_f32_e32 v1, v1, v11
	s_or_b32 exec_lo, exec_lo, s0
	s_and_saveexec_b32 s0, vcc_lo
	s_cbranch_execnz .LBB426_1843
	s_branch .LBB426_1844
.LBB426_1920:
	ds_load_b32 v11, v10
	s_waitcnt lgkmcnt(0)
	v_add_f32_e32 v9, v9, v11
	s_or_b32 exec_lo, exec_lo, s1
	s_and_saveexec_b32 s1, vcc_lo
	s_cbranch_execz .LBB426_1855
.LBB426_1921:
	ds_load_b32 v11, v10 offset:64
	s_waitcnt lgkmcnt(0)
	v_add_f32_e32 v8, v8, v11
	s_or_b32 exec_lo, exec_lo, s1
	s_and_saveexec_b32 s1, vcc_lo
	s_cbranch_execz .LBB426_1856
.LBB426_1922:
	ds_load_b32 v11, v10 offset:128
	s_waitcnt lgkmcnt(0)
	v_add_f32_e32 v6, v6, v11
	s_or_b32 exec_lo, exec_lo, s1
	s_and_saveexec_b32 s1, vcc_lo
	s_cbranch_execz .LBB426_1857
.LBB426_1923:
	ds_load_b32 v11, v10 offset:192
	s_waitcnt lgkmcnt(0)
	v_add_f32_e32 v3, v3, v11
	s_or_b32 exec_lo, exec_lo, s1
	s_and_saveexec_b32 s1, vcc_lo
	s_cbranch_execz .LBB426_1858
.LBB426_1924:
	ds_load_b32 v11, v10 offset:256
	s_waitcnt lgkmcnt(0)
	v_add_f32_e32 v2, v2, v11
	s_or_b32 exec_lo, exec_lo, s1
	s_and_saveexec_b32 s1, vcc_lo
	s_cbranch_execz .LBB426_1859
.LBB426_1925:
	ds_load_b32 v11, v10 offset:320
	s_waitcnt lgkmcnt(0)
	v_add_f32_e32 v1, v1, v11
	s_or_b32 exec_lo, exec_lo, s1
	s_and_saveexec_b32 s1, vcc_lo
	s_cbranch_execnz .LBB426_1860
	s_branch .LBB426_1861
.Lfunc_end426:
	.size	_ZN4vllm22paged_attention_kernelI14__hip_bfloat16hLi120ELi16ELi128ELNS_18Fp8KVCacheDataTypeE1ELb0ELi512EEEvPfS3_PT_PKS4_PKT0_SA_ifPKiSC_iPKfiiiSE_SE_iiiii, .Lfunc_end426-_ZN4vllm22paged_attention_kernelI14__hip_bfloat16hLi120ELi16ELi128ELNS_18Fp8KVCacheDataTypeE1ELb0ELi512EEEvPfS3_PT_PKS4_PKT0_SA_ifPKiSC_iPKfiiiSE_SE_iiiii
                                        ; -- End function
	.section	.AMDGPU.csdata,"",@progbits
; Function info:
; codeLenInByte = 59120
; NumSgprs: 35
; NumVgprs: 184
; ScratchSize: 236
; MemoryBound: 0
	.section	.text._ZN4vllm25paged_attention_v2_kernelI14__hip_bfloat16hLi120ELi16ELi128ELNS_18Fp8KVCacheDataTypeE1ELb0ELi512EEEvPfS3_PT_PKS4_PKT0_SA_ifPKiSC_iPKfiiiSE_SE_iiiii,"axG",@progbits,_ZN4vllm25paged_attention_v2_kernelI14__hip_bfloat16hLi120ELi16ELi128ELNS_18Fp8KVCacheDataTypeE1ELb0ELi512EEEvPfS3_PT_PKS4_PKT0_SA_ifPKiSC_iPKfiiiSE_SE_iiiii,comdat
	.protected	_ZN4vllm25paged_attention_v2_kernelI14__hip_bfloat16hLi120ELi16ELi128ELNS_18Fp8KVCacheDataTypeE1ELb0ELi512EEEvPfS3_PT_PKS4_PKT0_SA_ifPKiSC_iPKfiiiSE_SE_iiiii ; -- Begin function _ZN4vllm25paged_attention_v2_kernelI14__hip_bfloat16hLi120ELi16ELi128ELNS_18Fp8KVCacheDataTypeE1ELb0ELi512EEEvPfS3_PT_PKS4_PKT0_SA_ifPKiSC_iPKfiiiSE_SE_iiiii
	.globl	_ZN4vllm25paged_attention_v2_kernelI14__hip_bfloat16hLi120ELi16ELi128ELNS_18Fp8KVCacheDataTypeE1ELb0ELi512EEEvPfS3_PT_PKS4_PKT0_SA_ifPKiSC_iPKfiiiSE_SE_iiiii
	.p2align	8
	.type	_ZN4vllm25paged_attention_v2_kernelI14__hip_bfloat16hLi120ELi16ELi128ELNS_18Fp8KVCacheDataTypeE1ELb0ELi512EEEvPfS3_PT_PKS4_PKT0_SA_ifPKiSC_iPKfiiiSE_SE_iiiii,@function
_ZN4vllm25paged_attention_v2_kernelI14__hip_bfloat16hLi120ELi16ELi128ELNS_18Fp8KVCacheDataTypeE1ELb0ELi512EEEvPfS3_PT_PKS4_PKT0_SA_ifPKiSC_iPKfiiiSE_SE_iiiii: ; @_ZN4vllm25paged_attention_v2_kernelI14__hip_bfloat16hLi120ELi16ELi128ELNS_18Fp8KVCacheDataTypeE1ELb0ELi512EEEvPfS3_PT_PKS4_PKT0_SA_ifPKiSC_iPKfiiiSE_SE_iiiii
; %bb.0:
	s_clause 0x5
	s_load_b256 s[24:31], s[0:1], 0x0
	s_load_b256 s[16:23], s[0:1], 0x20
	s_load_b64 s[2:3], s[0:1], 0x40
	s_load_b64 s[4:5], s[0:1], 0x50
	s_load_b32 s6, s[0:1], 0x48
	s_load_b256 s[36:43], s[0:1], 0x58
	v_mov_b32_e32 v31, v0
	s_add_u32 s8, s0, 0x90
	s_mov_b32 s12, s13
	s_addc_u32 s9, s1, 0
	s_mov_b32 s13, s14
	s_mov_b32 s14, s15
	s_mov_b32 s15, 16
	s_mov_b32 s32, 0
	s_getpc_b64 s[0:1]
	s_add_u32 s0, s0, _ZN4vllm22paged_attention_kernelI14__hip_bfloat16hLi120ELi16ELi128ELNS_18Fp8KVCacheDataTypeE1ELb0ELi512EEEvPfS3_PT_PKS4_PKT0_SA_ifPKiSC_iPKfiiiSE_SE_iiiii@rel32@lo+4
	s_addc_u32 s1, s1, _ZN4vllm22paged_attention_kernelI14__hip_bfloat16hLi120ELi16ELi128ELNS_18Fp8KVCacheDataTypeE1ELb0ELi512EEEvPfS3_PT_PKS4_PKT0_SA_ifPKiSC_iPKfiiiSE_SE_iiiii@rel32@hi+12
	s_waitcnt lgkmcnt(0)
	v_dual_mov_b32 v0, s24 :: v_dual_mov_b32 v1, s25
	v_dual_mov_b32 v2, s26 :: v_dual_mov_b32 v3, s27
	;; [unrolled: 1-line block ×14, first 2 shown]
	s_swappc_b64 s[30:31], s[0:1]
	s_endpgm
	.section	.rodata,"a",@progbits
	.p2align	6, 0x0
	.amdhsa_kernel _ZN4vllm25paged_attention_v2_kernelI14__hip_bfloat16hLi120ELi16ELi128ELNS_18Fp8KVCacheDataTypeE1ELb0ELi512EEEvPfS3_PT_PKS4_PKT0_SA_ifPKiSC_iPKfiiiSE_SE_iiiii
		.amdhsa_group_segment_fixed_size 272
		.amdhsa_private_segment_fixed_size 236
		.amdhsa_kernarg_size 400
		.amdhsa_user_sgpr_count 13
		.amdhsa_user_sgpr_dispatch_ptr 0
		.amdhsa_user_sgpr_queue_ptr 0
		.amdhsa_user_sgpr_kernarg_segment_ptr 1
		.amdhsa_user_sgpr_dispatch_id 0
		.amdhsa_user_sgpr_private_segment_size 0
		.amdhsa_wavefront_size32 1
		.amdhsa_uses_dynamic_stack 0
		.amdhsa_enable_private_segment 1
		.amdhsa_system_sgpr_workgroup_id_x 1
		.amdhsa_system_sgpr_workgroup_id_y 1
		.amdhsa_system_sgpr_workgroup_id_z 1
		.amdhsa_system_sgpr_workgroup_info 0
		.amdhsa_system_vgpr_workitem_id 0
		.amdhsa_next_free_vgpr 184
		.amdhsa_next_free_sgpr 44
		.amdhsa_reserve_vcc 1
		.amdhsa_float_round_mode_32 0
		.amdhsa_float_round_mode_16_64 0
		.amdhsa_float_denorm_mode_32 3
		.amdhsa_float_denorm_mode_16_64 3
		.amdhsa_dx10_clamp 1
		.amdhsa_ieee_mode 1
		.amdhsa_fp16_overflow 0
		.amdhsa_workgroup_processor_mode 1
		.amdhsa_memory_ordered 1
		.amdhsa_forward_progress 0
		.amdhsa_shared_vgpr_count 0
		.amdhsa_exception_fp_ieee_invalid_op 0
		.amdhsa_exception_fp_denorm_src 0
		.amdhsa_exception_fp_ieee_div_zero 0
		.amdhsa_exception_fp_ieee_overflow 0
		.amdhsa_exception_fp_ieee_underflow 0
		.amdhsa_exception_fp_ieee_inexact 0
		.amdhsa_exception_int_div_zero 0
	.end_amdhsa_kernel
	.section	.text._ZN4vllm25paged_attention_v2_kernelI14__hip_bfloat16hLi120ELi16ELi128ELNS_18Fp8KVCacheDataTypeE1ELb0ELi512EEEvPfS3_PT_PKS4_PKT0_SA_ifPKiSC_iPKfiiiSE_SE_iiiii,"axG",@progbits,_ZN4vllm25paged_attention_v2_kernelI14__hip_bfloat16hLi120ELi16ELi128ELNS_18Fp8KVCacheDataTypeE1ELb0ELi512EEEvPfS3_PT_PKS4_PKT0_SA_ifPKiSC_iPKfiiiSE_SE_iiiii,comdat
.Lfunc_end427:
	.size	_ZN4vllm25paged_attention_v2_kernelI14__hip_bfloat16hLi120ELi16ELi128ELNS_18Fp8KVCacheDataTypeE1ELb0ELi512EEEvPfS3_PT_PKS4_PKT0_SA_ifPKiSC_iPKfiiiSE_SE_iiiii, .Lfunc_end427-_ZN4vllm25paged_attention_v2_kernelI14__hip_bfloat16hLi120ELi16ELi128ELNS_18Fp8KVCacheDataTypeE1ELb0ELi512EEEvPfS3_PT_PKS4_PKT0_SA_ifPKiSC_iPKfiiiSE_SE_iiiii
                                        ; -- End function
	.section	.AMDGPU.csdata,"",@progbits
; Kernel info:
; codeLenInByte = 232
; NumSgprs: 46
; NumVgprs: 184
; ScratchSize: 236
; MemoryBound: 0
; FloatMode: 240
; IeeeMode: 1
; LDSByteSize: 272 bytes/workgroup (compile time only)
; SGPRBlocks: 5
; VGPRBlocks: 22
; NumSGPRsForWavesPerEU: 46
; NumVGPRsForWavesPerEU: 184
; Occupancy: 8
; WaveLimiterHint : 1
; COMPUTE_PGM_RSRC2:SCRATCH_EN: 1
; COMPUTE_PGM_RSRC2:USER_SGPR: 13
; COMPUTE_PGM_RSRC2:TRAP_HANDLER: 0
; COMPUTE_PGM_RSRC2:TGID_X_EN: 1
; COMPUTE_PGM_RSRC2:TGID_Y_EN: 1
; COMPUTE_PGM_RSRC2:TGID_Z_EN: 1
; COMPUTE_PGM_RSRC2:TIDIG_COMP_CNT: 0
	.text
	.p2align	2                               ; -- Begin function _ZN4vllm22paged_attention_kernelI14__hip_bfloat16hLi128ELi16ELi128ELNS_18Fp8KVCacheDataTypeE1ELb0ELi512EEEvPfS3_PT_PKS4_PKT0_SA_ifPKiSC_iPKfiiiSE_SE_iiiii
	.type	_ZN4vllm22paged_attention_kernelI14__hip_bfloat16hLi128ELi16ELi128ELNS_18Fp8KVCacheDataTypeE1ELb0ELi512EEEvPfS3_PT_PKS4_PKT0_SA_ifPKiSC_iPKfiiiSE_SE_iiiii,@function
_ZN4vllm22paged_attention_kernelI14__hip_bfloat16hLi128ELi16ELi128ELNS_18Fp8KVCacheDataTypeE1ELb0ELi512EEEvPfS3_PT_PKS4_PKT0_SA_ifPKiSC_iPKfiiiSE_SE_iiiii: ; @_ZN4vllm22paged_attention_kernelI14__hip_bfloat16hLi128ELi16ELi128ELNS_18Fp8KVCacheDataTypeE1ELb0ELi512EEEvPfS3_PT_PKS4_PKT0_SA_ifPKiSC_iPKfiiiSE_SE_iiiii
; %bb.0:
	s_waitcnt vmcnt(0) expcnt(0) lgkmcnt(0)
	s_clause 0x1f
	scratch_store_b32 off, v40, s32 offset:260
	; meta instruction
	scratch_store_b32 off, v41, s32 offset:256
	; meta instruction
	;; [unrolled: 2-line block ×31, first 2 shown]
	scratch_store_b32 off, v95, s32 offset:136
	s_clause 0x1f
	scratch_store_b32 off, v104, s32 offset:132
	; meta instruction
	scratch_store_b32 off, v105, s32 offset:128
	; meta instruction
	;; [unrolled: 2-line block ×31, first 2 shown]
	scratch_store_b32 off, v159, s32 offset:8
	s_clause 0x1
	scratch_store_b32 off, v168, s32 offset:4
	; meta instruction
	scratch_store_b32 off, v169, s32
	s_mov_b32 s6, s13
	s_ashr_i32 s7, s13, 31
	s_lshl_b32 s18, s14, 9
	s_lshl_b64 s[0:1], s[6:7], 2
	s_mov_b32 s5, exec_lo
	v_add_co_u32 v16, vcc_lo, v16, s0
	v_add_co_ci_u32_e32 v17, vcc_lo, s1, v17, vcc_lo
	flat_load_b32 v33, v[16:17]
	s_waitcnt vmcnt(0) lgkmcnt(0)
	v_cmpx_lt_i32_e64 s18, v33
	s_cbranch_execz .LBB428_1937
; %bb.1:
	v_sub_nc_u32_e32 v16, 0, v12
	s_clause 0x1
	s_load_b32 s0, s[8:9], 0x10
	s_load_b32 s1, s[8:9], 0x0
	s_mov_b32 s16, s15
	v_mov_b32_e32 v48, 0
	v_max_i32_e32 v16, v12, v16
	s_delay_alu instid0(VALU_DEP_1) | instskip(SKIP_1) | instid1(VALU_DEP_2)
	v_cvt_f32_u32_e32 v17, v16
	v_sub_nc_u32_e32 v28, 0, v16
	v_rcp_iflag_f32_e32 v17, v17
	s_waitcnt lgkmcnt(0)
	s_lshr_b32 s0, s0, 16
	s_delay_alu instid0(SALU_CYCLE_1) | instskip(SKIP_3) | instid1(SALU_CYCLE_1)
	s_cmp_lg_u32 s0, 0
	s_waitcnt_depctr 0xfff
	v_mul_f32_e32 v17, 0x4f7ffffe, v17
	s_cselect_b32 s0, -1, 0
	s_cmp_lg_u32 s0, 0
	s_delay_alu instid0(VALU_DEP_1)
	v_cvt_u32_f32_e32 v17, v17
	s_addc_u32 s7, s1, 0
	s_abs_i32 s1, s12
	s_abs_i32 s0, s7
	v_xor_b32_e32 v12, s7, v12
	v_mul_lo_u32 v28, v28, v17
	s_delay_alu instid0(VALU_DEP_2) | instskip(NEXT) | instid1(VALU_DEP_2)
	v_ashrrev_i32_e32 v12, 31, v12
	v_mul_hi_u32 v28, v17, v28
	s_delay_alu instid0(VALU_DEP_1) | instskip(NEXT) | instid1(VALU_DEP_1)
	v_add_nc_u32_e32 v17, v17, v28
	v_mul_hi_u32 v17, s0, v17
	s_delay_alu instid0(VALU_DEP_1) | instskip(SKIP_1) | instid1(VALU_DEP_2)
	v_mul_lo_u32 v28, v17, v16
	v_add_nc_u32_e32 v29, 1, v17
	v_sub_nc_u32_e32 v28, s0, v28
	s_mov_b32 s0, exec_lo
	s_delay_alu instid0(VALU_DEP_1) | instskip(SKIP_1) | instid1(VALU_DEP_2)
	v_sub_nc_u32_e32 v30, v28, v16
	v_cmp_ge_u32_e32 vcc_lo, v28, v16
	v_dual_cndmask_b32 v17, v17, v29 :: v_dual_cndmask_b32 v28, v28, v30
	s_delay_alu instid0(VALU_DEP_1) | instskip(NEXT) | instid1(VALU_DEP_2)
	v_add_nc_u32_e32 v29, 1, v17
	v_cmp_ge_u32_e32 vcc_lo, v28, v16
	s_delay_alu instid0(VALU_DEP_2) | instskip(NEXT) | instid1(VALU_DEP_1)
	v_cndmask_b32_e32 v16, v17, v29, vcc_lo
	v_xor_b32_e32 v16, v16, v12
	s_delay_alu instid0(VALU_DEP_1) | instskip(NEXT) | instid1(VALU_DEP_1)
	v_sub_nc_u32_e32 v12, v16, v12
	v_sub_nc_u32_e32 v16, 0, v12
	s_delay_alu instid0(VALU_DEP_1) | instskip(NEXT) | instid1(VALU_DEP_1)
	v_max_i32_e32 v28, v12, v16
	v_cvt_f32_u32_e32 v16, v28
	v_sub_nc_u32_e32 v17, 0, v28
	s_delay_alu instid0(VALU_DEP_2) | instskip(SKIP_2) | instid1(VALU_DEP_1)
	v_rcp_iflag_f32_e32 v16, v16
	s_waitcnt_depctr 0xfff
	v_mul_f32_e32 v16, 0x4f7ffffe, v16
	v_cvt_u32_f32_e32 v16, v16
	s_delay_alu instid0(VALU_DEP_1) | instskip(NEXT) | instid1(VALU_DEP_1)
	v_mul_lo_u32 v17, v17, v16
	v_mul_hi_u32 v17, v16, v17
	s_delay_alu instid0(VALU_DEP_1) | instskip(NEXT) | instid1(VALU_DEP_1)
	v_add_nc_u32_e32 v29, v16, v17
	v_mad_u64_u32 v[16:17], null, s1, v29, 0
	v_cmpx_ne_u64_e32 0, v[19:20]
	s_cbranch_execz .LBB428_3
; %bb.2:
	s_ashr_i32 s13, s12, 31
	s_delay_alu instid0(SALU_CYCLE_1) | instskip(NEXT) | instid1(SALU_CYCLE_1)
	s_lshl_b64 s[2:3], s[12:13], 2
	v_add_co_u32 v19, vcc_lo, v19, s2
	v_add_co_ci_u32_e32 v20, vcc_lo, s3, v20, vcc_lo
	flat_load_b32 v48, v[19:20]
.LBB428_3:
	s_or_b32 exec_lo, exec_lo, s0
	v_and_b32_e32 v31, 0x3ff, v31
	v_ashrrev_i32_e32 v16, 31, v12
	s_ashr_i32 s2, s12, 31
	s_lshl_b32 s10, s12, 7
	s_delay_alu instid0(VALU_DEP_2) | instskip(SKIP_3) | instid1(VALU_DEP_2)
	v_lshrrev_b32_e32 v30, 1, v31
	v_and_b32_e32 v32, 1, v31
	v_cmp_gt_u32_e64 s0, 32, v31
	v_lshlrev_b32_e32 v12, 3, v31
	s_and_saveexec_b32 s3, s0
	s_cbranch_execz .LBB428_5
; %bb.4:
	v_mul_lo_u32 v19, s6, v21
	s_ashr_i32 s11, s10, 31
	s_delay_alu instid0(SALU_CYCLE_1) | instskip(NEXT) | instid1(VALU_DEP_1)
	s_lshl_b64 s[20:21], s[10:11], 1
	v_ashrrev_i32_e32 v20, 31, v19
	s_delay_alu instid0(VALU_DEP_1) | instskip(NEXT) | instid1(VALU_DEP_1)
	v_lshlrev_b64 v[19:20], 1, v[19:20]
	v_add_co_u32 v6, vcc_lo, v6, v19
	s_delay_alu instid0(VALU_DEP_2) | instskip(SKIP_1) | instid1(VALU_DEP_3)
	v_add_co_ci_u32_e32 v7, vcc_lo, v7, v20, vcc_lo
	v_lshlrev_b32_e32 v19, 3, v30
	v_add_co_u32 v6, vcc_lo, v6, s20
	s_delay_alu instid0(VALU_DEP_3) | instskip(NEXT) | instid1(VALU_DEP_3)
	v_add_co_ci_u32_e32 v7, vcc_lo, s21, v7, vcc_lo
	v_lshl_add_u32 v19, v32, 7, v19
	s_delay_alu instid0(VALU_DEP_3) | instskip(NEXT) | instid1(VALU_DEP_3)
	v_add_co_u32 v6, vcc_lo, v6, v12
	v_add_co_ci_u32_e32 v7, vcc_lo, 0, v7, vcc_lo
	flat_load_b64 v[6:7], v[6:7]
	s_waitcnt vmcnt(0) lgkmcnt(0)
	ds_store_b64 v19, v[6:7]
.LBB428_5:
	s_or_b32 exec_lo, exec_lo, s3
	v_mul_lo_u32 v6, v17, v28
	v_add_nc_u32_e32 v7, 15, v33
	v_add_nc_u32_e32 v20, 1, v17
	v_lshrrev_b32_e32 v34, 5, v31
	s_lshl_b32 s13, s14, 5
	v_mbcnt_lo_u32_b32 v36, -1, 0
	v_ashrrev_i32_e32 v19, 31, v7
	s_waitcnt vmcnt(0) lgkmcnt(0)
	s_waitcnt_vscnt null, 0x0
	v_sub_nc_u32_e32 v6, s1, v6
	s_add_i32 s1, s13, 32
	s_barrier
	v_lshrrev_b32_e32 v19, 28, v19
	buffer_gl0_inv
	v_sub_nc_u32_e32 v21, v6, v28
	v_cmp_ge_u32_e32 vcc_lo, v6, v28
                                        ; implicit-def: $vgpr49
	v_add_nc_u32_e32 v7, v7, v19
	v_cndmask_b32_e32 v17, v17, v20, vcc_lo
	s_delay_alu instid0(VALU_DEP_4) | instskip(SKIP_1) | instid1(VALU_DEP_4)
	v_cndmask_b32_e32 v19, v6, v21, vcc_lo
	v_xor_b32_e32 v21, s2, v16
	v_ashrrev_i32_e32 v37, 4, v7
	v_mul_lo_u32 v6, s6, v18
	v_add_nc_u32_e32 v20, 1, v17
	v_cmp_ge_u32_e32 vcc_lo, v19, v28
	v_or_b32_e32 v16, s13, v34
	v_min_i32_e32 v35, s1, v37
                                        ; implicit-def: $sgpr2
	s_delay_alu instid0(VALU_DEP_4) | instskip(NEXT) | instid1(VALU_DEP_2)
	v_cndmask_b32_e32 v7, v17, v20, vcc_lo
	v_cmp_ge_i32_e64 s1, v16, v35
	s_delay_alu instid0(VALU_DEP_2) | instskip(SKIP_1) | instid1(VALU_DEP_2)
	v_xor_b32_e32 v17, v7, v21
	v_ashrrev_i32_e32 v7, 31, v6
	v_sub_nc_u32_e32 v17, v17, v21
	s_delay_alu instid0(VALU_DEP_4) | instskip(NEXT) | instid1(SALU_CYCLE_1)
	s_and_saveexec_b32 s3, s1
	s_xor_b32 s3, exec_lo, s3
; %bb.6:
	v_mbcnt_lo_u32_b32 v36, -1, 0
	v_mov_b32_e32 v49, 32
	s_mov_b32 s2, 0xff7fffff
                                        ; implicit-def: $vgpr48
                                        ; implicit-def: $vgpr13
                                        ; implicit-def: $vgpr24
                                        ; implicit-def: $vgpr8
                                        ; implicit-def: $vgpr9
; %bb.7:
	s_or_saveexec_b32 s15, s3
	s_clause 0x1
	s_load_b32 s19, s[8:9], 0x14
	s_load_b32 s11, s[8:9], 0x8
	v_mul_lo_u32 v38, v17, v23
	v_lshlrev_b64 v[6:7], 2, v[6:7]
	v_mov_b32_e32 v165, s2
	v_ashrrev_i32_e32 v17, 31, v16
	s_delay_alu instid0(VALU_DEP_4)
	v_ashrrev_i32_e32 v39, 31, v38
	s_xor_b32 exec_lo, exec_lo, s15
	s_cbranch_execz .LBB428_781
; %bb.8:
	v_lshlrev_b32_e32 v20, 7, v32
	v_add_co_u32 v8, vcc_lo, v8, v38
	v_bfe_u32 v28, v31, 1, 4
	v_add_co_ci_u32_e32 v19, vcc_lo, v9, v39, vcc_lo
	v_mov_b32_e32 v9, 0
	ds_load_b128 v[64:67], v20
	ds_load_b128 v[80:83], v20 offset:16
	v_dual_mov_b32 v49, 32 :: v_dual_lshlrev_b32 v18, 4, v28
	ds_load_b128 v[96:99], v20 offset:32
	ds_load_b128 v[112:115], v20 offset:48
	;; [unrolled: 1-line block ×4, first 2 shown]
	v_add_co_u32 v18, vcc_lo, v8, v18
	v_xor_b32_e32 v8, 1, v36
	ds_load_b128 v[160:163], v20 offset:96
	ds_load_b128 v[176:179], v20 offset:112
	v_add_co_ci_u32_e32 v19, vcc_lo, 0, v19, vcc_lo
	v_cmp_gt_i32_e32 vcc_lo, 32, v8
	v_lshlrev_b64 v[20:21], 2, v[16:17]
	v_lshlrev_b32_e32 v29, 4, v34
	v_lshlrev_b32_e32 v165, 2, v28
	s_ashr_i32 s17, s16, 31
	s_waitcnt lgkmcnt(0)
	v_dual_cndmask_b32 v8, v36, v8 :: v_dual_and_b32 v53, 0xffff0000, v65
	v_lshlrev_b32_e32 v23, 2, v32
	v_lshlrev_b32_e32 v50, 16, v64
	v_and_b32_e32 v51, 0xffff0000, v64
	s_delay_alu instid0(VALU_DEP_4) | instskip(SKIP_1) | instid1(VALU_DEP_1)
	v_lshlrev_b32_e32 v149, 2, v8
	v_add_co_u32 v8, s3, v6, v20
	v_add_co_ci_u32_e64 v21, s3, v7, v21, s3
	v_dual_mov_b32 v183, v16 :: v_dual_lshlrev_b32 v52, 16, v65
	s_delay_alu instid0(VALU_DEP_3)
	v_add_co_u32 v20, s3, v14, v8
	v_lshlrev_b32_e32 v54, 16, v66
	v_and_b32_e32 v55, 0xffff0000, v66
	v_lshlrev_b32_e32 v64, 16, v67
	v_and_b32_e32 v65, 0xffff0000, v67
	;; [unrolled: 2-line block ×23, first 2 shown]
	v_lshlrev_b32_e32 v148, 16, v161
	v_cmp_eq_u32_e32 vcc_lo, 0, v32
	v_cmp_neq_f32_e64 s2, 0, v48
	v_and_b32_e32 v150, 0xffff0000, v161
	v_lshlrev_b32_e32 v151, 16, v162
	v_and_b32_e32 v160, 0xffff0000, v162
	v_lshlrev_b32_e32 v161, 16, v163
	;; [unrolled: 2-line block ×6, first 2 shown]
	v_and_b32_e32 v179, 0xffff0000, v179
	s_lshl_b64 s[8:9], s[16:17], 2
	v_add_co_ci_u32_e64 v21, s3, v15, v21, s3
	v_sub_nc_u32_e32 v180, 1, v33
	v_add3_u32 v181, s18, v29, v28
	v_lshl_or_b32 v182, v34, 6, v165
	v_mov_b32_e32 v165, 0xff7fffff
	s_getpc_b64 s[20:21]
	s_add_u32 s20, s20, llvm.amdgcn.dynlds.offset.table@rel32@lo+4
	s_addc_u32 s21, s21, llvm.amdgcn.dynlds.offset.table@rel32@hi+12
	s_add_u32 s8, s8, s20
	s_mov_b32 s17, 0
	s_addc_u32 s9, s9, s21
	s_branch .LBB428_10
.LBB428_9:                              ;   in Loop: Header=BB428_10 Depth=1
	s_or_b32 exec_lo, exec_lo, s4
	v_add_nc_u32_e32 v183, 4, v183
	v_add_co_u32 v20, s4, v20, 16
	s_delay_alu instid0(VALU_DEP_1) | instskip(NEXT) | instid1(VALU_DEP_3)
	v_add_co_ci_u32_e64 v21, s4, 0, v21, s4
	v_cmp_ge_i32_e64 s3, v183, v35
	v_add_nc_u32_e32 v181, 64, v181
	v_add_nc_u32_e32 v182, 0x100, v182
	s_delay_alu instid0(VALU_DEP_3) | instskip(NEXT) | instid1(SALU_CYCLE_1)
	s_or_b32 s17, s3, s17
	s_and_not1_b32 exec_lo, exec_lo, s17
	s_cbranch_execz .LBB428_780
.LBB428_10:                             ; =>This Inner Loop Header: Depth=1
	flat_load_b32 v8, v[20:21]
	s_mov_b32 s4, exec_lo
	s_waitcnt vmcnt(0) lgkmcnt(0)
	v_mad_i64_i32 v[28:29], null, v8, v22, v[18:19]
	v_mov_b32_e32 v8, 0
	s_delay_alu instid0(VALU_DEP_2) | instskip(NEXT) | instid1(VALU_DEP_1)
	v_add_co_u32 v28, s3, v28, v23
	v_add_co_ci_u32_e64 v29, s3, 0, v29, s3
	flat_load_b32 v44, v[28:29]
	flat_load_b32 v41, v[24:25]
	s_waitcnt vmcnt(1) lgkmcnt(1)
	v_and_b32_e32 v40, 0xff, v44
	s_delay_alu instid0(VALU_DEP_1)
	v_cmpx_ne_u16_e32 0, v40
	s_cbranch_execz .LBB428_18
; %bb.11:                               ;   in Loop: Header=BB428_10 Depth=1
	v_bfrev_b32_e32 v8, 1
	s_mov_b32 s20, exec_lo
	v_cmpx_ne_u16_e32 0x80, v40
	s_cbranch_execz .LBB428_17
; %bb.12:                               ;   in Loop: Header=BB428_10 Depth=1
	v_and_b32_e32 v42, 0x7f, v44
	v_mov_b32_e32 v8, 0x7f800001
	s_mov_b32 s21, exec_lo
	s_delay_alu instid0(VALU_DEP_2)
	v_cmpx_ne_u32_e32 0x7f, v42
	s_cbranch_execz .LBB428_16
; %bb.13:                               ;   in Loop: Header=BB428_10 Depth=1
	v_and_b32_e32 v8, 7, v44
	v_lshrrev_b32_e32 v40, 3, v42
	s_mov_b32 s22, exec_lo
	v_cmpx_gt_u32_e32 8, v42
; %bb.14:                               ;   in Loop: Header=BB428_10 Depth=1
	s_delay_alu instid0(VALU_DEP_3) | instskip(NEXT) | instid1(VALU_DEP_1)
	v_clz_i32_u32_e32 v40, v8
	v_min_u32_e32 v40, 32, v40
	s_delay_alu instid0(VALU_DEP_1) | instskip(SKIP_1) | instid1(VALU_DEP_2)
	v_subrev_nc_u32_e32 v42, 28, v40
	v_sub_nc_u32_e32 v40, 29, v40
	v_lshlrev_b64 v[42:43], v42, v[8:9]
	s_delay_alu instid0(VALU_DEP_1)
	v_and_b32_e32 v8, 7, v42
; %bb.15:                               ;   in Loop: Header=BB428_10 Depth=1
	s_or_b32 exec_lo, exec_lo, s22
	v_lshlrev_b32_e32 v42, 24, v44
	s_delay_alu instid0(VALU_DEP_2) | instskip(SKIP_1) | instid1(VALU_DEP_3)
	v_lshlrev_b32_e32 v8, 20, v8
	v_lshl_add_u32 v40, v40, 23, 0x3c000000
	v_and_b32_e32 v42, 0x80000000, v42
	s_delay_alu instid0(VALU_DEP_1)
	v_or3_b32 v8, v8, v42, v40
.LBB428_16:                             ;   in Loop: Header=BB428_10 Depth=1
	s_or_b32 exec_lo, exec_lo, s21
.LBB428_17:                             ;   in Loop: Header=BB428_10 Depth=1
	s_delay_alu instid0(SALU_CYCLE_1)
	s_or_b32 exec_lo, exec_lo, s20
.LBB428_18:                             ;   in Loop: Header=BB428_10 Depth=1
	s_delay_alu instid0(SALU_CYCLE_1) | instskip(SKIP_2) | instid1(VALU_DEP_1)
	s_or_b32 exec_lo, exec_lo, s4
	s_waitcnt vmcnt(0) lgkmcnt(0)
	v_mul_f32_e32 v8, v41, v8
	v_and_b32_e32 v40, 0x7f800000, v8
	s_delay_alu instid0(VALU_DEP_1) | instskip(NEXT) | instid1(VALU_DEP_1)
	v_cmp_ne_u32_e64 s3, 0x7f800000, v40
                                        ; implicit-def: $vgpr40
	s_and_saveexec_b32 s4, s3
	s_delay_alu instid0(SALU_CYCLE_1)
	s_xor_b32 s3, exec_lo, s4
; %bb.19:                               ;   in Loop: Header=BB428_10 Depth=1
	v_bfe_u32 v40, v8, 16, 1
	s_delay_alu instid0(VALU_DEP_1)
	v_add3_u32 v40, v8, v40, 0x7fff
                                        ; implicit-def: $vgpr8
; %bb.20:                               ;   in Loop: Header=BB428_10 Depth=1
	s_and_not1_saveexec_b32 s4, s3
; %bb.21:                               ;   in Loop: Header=BB428_10 Depth=1
	v_and_b32_e32 v40, 0xffff, v8
	v_or_b32_e32 v42, 0x10000, v8
	s_delay_alu instid0(VALU_DEP_2) | instskip(NEXT) | instid1(VALU_DEP_1)
	v_cmp_eq_u32_e64 s3, 0, v40
	v_cndmask_b32_e64 v40, v42, v8, s3
; %bb.22:                               ;   in Loop: Header=BB428_10 Depth=1
	s_or_b32 exec_lo, exec_lo, s4
	v_lshrrev_b16 v42, 8, v44
	v_mov_b32_e32 v8, 0
	s_mov_b32 s4, exec_lo
	s_delay_alu instid0(VALU_DEP_2)
	v_cmpx_ne_u16_e32 0, v42
	s_cbranch_execz .LBB428_30
; %bb.23:                               ;   in Loop: Header=BB428_10 Depth=1
	v_bfrev_b32_e32 v8, 1
	s_mov_b32 s20, exec_lo
	v_cmpx_ne_u16_e32 0x80, v42
	s_cbranch_execz .LBB428_29
; %bb.24:                               ;   in Loop: Header=BB428_10 Depth=1
	v_and_b32_e32 v42, 0xffff, v42
	v_mov_b32_e32 v8, 0x7f800001
	s_mov_b32 s21, exec_lo
	s_delay_alu instid0(VALU_DEP_2) | instskip(NEXT) | instid1(VALU_DEP_1)
	v_and_b32_e32 v43, 0x7f, v42
	v_cmpx_ne_u32_e32 0x7f, v43
	s_cbranch_execz .LBB428_28
; %bb.25:                               ;   in Loop: Header=BB428_10 Depth=1
	v_and_b32_e32 v8, 7, v42
	v_lshrrev_b32_e32 v42, 3, v43
	s_mov_b32 s22, exec_lo
	v_cmpx_gt_u32_e32 8, v43
; %bb.26:                               ;   in Loop: Header=BB428_10 Depth=1
	s_delay_alu instid0(VALU_DEP_3) | instskip(NEXT) | instid1(VALU_DEP_1)
	v_clz_i32_u32_e32 v42, v8
	v_min_u32_e32 v42, 32, v42
	s_delay_alu instid0(VALU_DEP_1) | instskip(SKIP_1) | instid1(VALU_DEP_2)
	v_subrev_nc_u32_e32 v43, 28, v42
	v_sub_nc_u32_e32 v42, 29, v42
	v_lshlrev_b64 v[45:46], v43, v[8:9]
	s_delay_alu instid0(VALU_DEP_1)
	v_and_b32_e32 v8, 7, v45
; %bb.27:                               ;   in Loop: Header=BB428_10 Depth=1
	s_or_b32 exec_lo, exec_lo, s22
	v_lshlrev_b32_e32 v43, 16, v44
	s_delay_alu instid0(VALU_DEP_2) | instskip(SKIP_1) | instid1(VALU_DEP_3)
	v_lshlrev_b32_e32 v8, 20, v8
	v_lshl_add_u32 v42, v42, 23, 0x3c000000
	v_and_b32_e32 v43, 0x80000000, v43
	s_delay_alu instid0(VALU_DEP_1)
	v_or3_b32 v8, v8, v43, v42
.LBB428_28:                             ;   in Loop: Header=BB428_10 Depth=1
	s_or_b32 exec_lo, exec_lo, s21
.LBB428_29:                             ;   in Loop: Header=BB428_10 Depth=1
	s_delay_alu instid0(SALU_CYCLE_1)
	s_or_b32 exec_lo, exec_lo, s20
.LBB428_30:                             ;   in Loop: Header=BB428_10 Depth=1
	s_delay_alu instid0(SALU_CYCLE_1) | instskip(NEXT) | instid1(VALU_DEP_1)
	s_or_b32 exec_lo, exec_lo, s4
	v_mul_f32_e32 v8, v41, v8
	s_delay_alu instid0(VALU_DEP_1) | instskip(NEXT) | instid1(VALU_DEP_1)
	v_and_b32_e32 v42, 0x7f800000, v8
	v_cmp_ne_u32_e64 s3, 0x7f800000, v42
                                        ; implicit-def: $vgpr42
	s_delay_alu instid0(VALU_DEP_1) | instskip(NEXT) | instid1(SALU_CYCLE_1)
	s_and_saveexec_b32 s4, s3
	s_xor_b32 s3, exec_lo, s4
; %bb.31:                               ;   in Loop: Header=BB428_10 Depth=1
	v_bfe_u32 v42, v8, 16, 1
	s_delay_alu instid0(VALU_DEP_1)
	v_add3_u32 v42, v8, v42, 0x7fff
                                        ; implicit-def: $vgpr8
; %bb.32:                               ;   in Loop: Header=BB428_10 Depth=1
	s_and_not1_saveexec_b32 s4, s3
; %bb.33:                               ;   in Loop: Header=BB428_10 Depth=1
	v_and_b32_e32 v42, 0xffff, v8
	v_or_b32_e32 v43, 0x10000, v8
	s_delay_alu instid0(VALU_DEP_2) | instskip(NEXT) | instid1(VALU_DEP_1)
	v_cmp_eq_u32_e64 s3, 0, v42
	v_cndmask_b32_e64 v42, v43, v8, s3
; %bb.34:                               ;   in Loop: Header=BB428_10 Depth=1
	s_or_b32 exec_lo, exec_lo, s4
	v_lshrrev_b32_e32 v43, 16, v44
	s_mov_b32 s4, exec_lo
	s_delay_alu instid0(VALU_DEP_1) | instskip(NEXT) | instid1(VALU_DEP_1)
	v_dual_mov_b32 v8, 0 :: v_dual_and_b32 v45, 0xff, v43
	v_cmpx_ne_u16_e32 0, v45
	s_cbranch_execz .LBB428_42
; %bb.35:                               ;   in Loop: Header=BB428_10 Depth=1
	v_bfrev_b32_e32 v8, 1
	s_mov_b32 s20, exec_lo
	v_cmpx_ne_u16_e32 0x80, v45
	s_cbranch_execz .LBB428_41
; %bb.36:                               ;   in Loop: Header=BB428_10 Depth=1
	v_bfe_u32 v46, v44, 16, 7
	v_mov_b32_e32 v8, 0x7f800001
	s_mov_b32 s21, exec_lo
	s_delay_alu instid0(VALU_DEP_2)
	v_cmpx_ne_u32_e32 0x7f, v46
	s_cbranch_execz .LBB428_40
; %bb.37:                               ;   in Loop: Header=BB428_10 Depth=1
	v_and_b32_e32 v8, 7, v43
	v_lshrrev_b32_e32 v45, 3, v46
	s_mov_b32 s22, exec_lo
	v_cmpx_gt_u32_e32 8, v46
; %bb.38:                               ;   in Loop: Header=BB428_10 Depth=1
	s_delay_alu instid0(VALU_DEP_3) | instskip(NEXT) | instid1(VALU_DEP_1)
	v_clz_i32_u32_e32 v45, v8
	v_min_u32_e32 v45, 32, v45
	s_delay_alu instid0(VALU_DEP_1) | instskip(SKIP_1) | instid1(VALU_DEP_2)
	v_subrev_nc_u32_e32 v46, 28, v45
	v_sub_nc_u32_e32 v45, 29, v45
	v_lshlrev_b64 v[46:47], v46, v[8:9]
	s_delay_alu instid0(VALU_DEP_1)
	v_and_b32_e32 v8, 7, v46
; %bb.39:                               ;   in Loop: Header=BB428_10 Depth=1
	s_or_b32 exec_lo, exec_lo, s22
	v_lshlrev_b32_e32 v43, 24, v43
	s_delay_alu instid0(VALU_DEP_2) | instskip(SKIP_1) | instid1(VALU_DEP_3)
	v_lshlrev_b32_e32 v8, 20, v8
	v_lshl_add_u32 v45, v45, 23, 0x3c000000
	v_and_b32_e32 v43, 0x80000000, v43
	s_delay_alu instid0(VALU_DEP_1)
	v_or3_b32 v8, v8, v43, v45
.LBB428_40:                             ;   in Loop: Header=BB428_10 Depth=1
	s_or_b32 exec_lo, exec_lo, s21
.LBB428_41:                             ;   in Loop: Header=BB428_10 Depth=1
	s_delay_alu instid0(SALU_CYCLE_1)
	s_or_b32 exec_lo, exec_lo, s20
.LBB428_42:                             ;   in Loop: Header=BB428_10 Depth=1
	s_delay_alu instid0(SALU_CYCLE_1) | instskip(NEXT) | instid1(VALU_DEP_1)
	s_or_b32 exec_lo, exec_lo, s4
	v_mul_f32_e32 v8, v41, v8
	s_delay_alu instid0(VALU_DEP_1) | instskip(NEXT) | instid1(VALU_DEP_1)
	v_and_b32_e32 v43, 0x7f800000, v8
	v_cmp_ne_u32_e64 s3, 0x7f800000, v43
                                        ; implicit-def: $vgpr43
	s_delay_alu instid0(VALU_DEP_1) | instskip(NEXT) | instid1(SALU_CYCLE_1)
	s_and_saveexec_b32 s4, s3
	s_xor_b32 s3, exec_lo, s4
; %bb.43:                               ;   in Loop: Header=BB428_10 Depth=1
	v_bfe_u32 v43, v8, 16, 1
	s_delay_alu instid0(VALU_DEP_1)
	v_add3_u32 v43, v8, v43, 0x7fff
                                        ; implicit-def: $vgpr8
; %bb.44:                               ;   in Loop: Header=BB428_10 Depth=1
	s_and_not1_saveexec_b32 s4, s3
; %bb.45:                               ;   in Loop: Header=BB428_10 Depth=1
	v_and_b32_e32 v43, 0xffff, v8
	v_or_b32_e32 v45, 0x10000, v8
	s_delay_alu instid0(VALU_DEP_2) | instskip(NEXT) | instid1(VALU_DEP_1)
	v_cmp_eq_u32_e64 s3, 0, v43
	v_cndmask_b32_e64 v43, v45, v8, s3
; %bb.46:                               ;   in Loop: Header=BB428_10 Depth=1
	s_or_b32 exec_lo, exec_lo, s4
	v_mov_b32_e32 v8, 0
	s_mov_b32 s4, exec_lo
	v_cmpx_lt_u32_e32 0xffffff, v44
	s_cbranch_execz .LBB428_54
; %bb.47:                               ;   in Loop: Header=BB428_10 Depth=1
	v_lshrrev_b32_e32 v45, 24, v44
	v_bfrev_b32_e32 v8, 1
	s_mov_b32 s20, exec_lo
	s_delay_alu instid0(VALU_DEP_2)
	v_cmpx_ne_u32_e32 0x80, v45
	s_cbranch_execz .LBB428_53
; %bb.48:                               ;   in Loop: Header=BB428_10 Depth=1
	v_bfe_u32 v46, v44, 24, 7
	v_mov_b32_e32 v8, 0x7f800001
	s_mov_b32 s21, exec_lo
	s_delay_alu instid0(VALU_DEP_2)
	v_cmpx_ne_u32_e32 0x7f, v46
	s_cbranch_execz .LBB428_52
; %bb.49:                               ;   in Loop: Header=BB428_10 Depth=1
	v_and_b32_e32 v8, 7, v45
	v_lshrrev_b32_e32 v44, 3, v46
	s_mov_b32 s22, exec_lo
	v_cmpx_gt_u32_e32 8, v46
; %bb.50:                               ;   in Loop: Header=BB428_10 Depth=1
	s_delay_alu instid0(VALU_DEP_3) | instskip(NEXT) | instid1(VALU_DEP_1)
	v_clz_i32_u32_e32 v44, v8
	v_min_u32_e32 v44, 32, v44
	s_delay_alu instid0(VALU_DEP_1) | instskip(SKIP_1) | instid1(VALU_DEP_2)
	v_subrev_nc_u32_e32 v46, 28, v44
	v_sub_nc_u32_e32 v44, 29, v44
	v_lshlrev_b64 v[46:47], v46, v[8:9]
	s_delay_alu instid0(VALU_DEP_1)
	v_and_b32_e32 v8, 7, v46
; %bb.51:                               ;   in Loop: Header=BB428_10 Depth=1
	s_or_b32 exec_lo, exec_lo, s22
	v_lshlrev_b32_e32 v45, 24, v45
	s_delay_alu instid0(VALU_DEP_2) | instskip(SKIP_1) | instid1(VALU_DEP_3)
	v_lshlrev_b32_e32 v8, 20, v8
	v_lshl_add_u32 v44, v44, 23, 0x3c000000
	v_and_b32_e32 v45, 0x80000000, v45
	s_delay_alu instid0(VALU_DEP_1)
	v_or3_b32 v8, v8, v45, v44
.LBB428_52:                             ;   in Loop: Header=BB428_10 Depth=1
	s_or_b32 exec_lo, exec_lo, s21
.LBB428_53:                             ;   in Loop: Header=BB428_10 Depth=1
	s_delay_alu instid0(SALU_CYCLE_1)
	s_or_b32 exec_lo, exec_lo, s20
.LBB428_54:                             ;   in Loop: Header=BB428_10 Depth=1
	s_delay_alu instid0(SALU_CYCLE_1) | instskip(NEXT) | instid1(VALU_DEP_1)
	s_or_b32 exec_lo, exec_lo, s4
	v_mul_f32_e32 v8, v41, v8
	s_delay_alu instid0(VALU_DEP_1) | instskip(NEXT) | instid1(VALU_DEP_1)
	v_and_b32_e32 v44, 0x7f800000, v8
	v_cmp_ne_u32_e64 s3, 0x7f800000, v44
                                        ; implicit-def: $vgpr44
	s_delay_alu instid0(VALU_DEP_1) | instskip(NEXT) | instid1(SALU_CYCLE_1)
	s_and_saveexec_b32 s4, s3
	s_xor_b32 s3, exec_lo, s4
; %bb.55:                               ;   in Loop: Header=BB428_10 Depth=1
	v_bfe_u32 v44, v8, 16, 1
	s_delay_alu instid0(VALU_DEP_1)
	v_add3_u32 v44, v8, v44, 0x7fff
                                        ; implicit-def: $vgpr8
; %bb.56:                               ;   in Loop: Header=BB428_10 Depth=1
	s_and_not1_saveexec_b32 s4, s3
; %bb.57:                               ;   in Loop: Header=BB428_10 Depth=1
	v_and_b32_e32 v44, 0xffff, v8
	v_or_b32_e32 v45, 0x10000, v8
	s_delay_alu instid0(VALU_DEP_2) | instskip(NEXT) | instid1(VALU_DEP_1)
	v_cmp_eq_u32_e64 s3, 0, v44
	v_cndmask_b32_e64 v44, v45, v8, s3
; %bb.58:                               ;   in Loop: Header=BB428_10 Depth=1
	s_or_b32 exec_lo, exec_lo, s4
	flat_load_b32 v56, v[28:29] offset:8
	s_mov_b32 s4, exec_lo
	s_waitcnt vmcnt(0) lgkmcnt(0)
	v_dual_mov_b32 v8, 0 :: v_dual_and_b32 v45, 0xff, v56
	s_delay_alu instid0(VALU_DEP_1)
	v_cmpx_ne_u16_e32 0, v45
	s_cbranch_execz .LBB428_66
; %bb.59:                               ;   in Loop: Header=BB428_10 Depth=1
	v_bfrev_b32_e32 v8, 1
	s_mov_b32 s20, exec_lo
	v_cmpx_ne_u16_e32 0x80, v45
	s_cbranch_execz .LBB428_65
; %bb.60:                               ;   in Loop: Header=BB428_10 Depth=1
	v_and_b32_e32 v46, 0x7f, v56
	v_mov_b32_e32 v8, 0x7f800001
	s_mov_b32 s21, exec_lo
	s_delay_alu instid0(VALU_DEP_2)
	v_cmpx_ne_u32_e32 0x7f, v46
	s_cbranch_execz .LBB428_64
; %bb.61:                               ;   in Loop: Header=BB428_10 Depth=1
	v_and_b32_e32 v8, 7, v56
	v_lshrrev_b32_e32 v45, 3, v46
	s_mov_b32 s22, exec_lo
	v_cmpx_gt_u32_e32 8, v46
; %bb.62:                               ;   in Loop: Header=BB428_10 Depth=1
	s_delay_alu instid0(VALU_DEP_3) | instskip(NEXT) | instid1(VALU_DEP_1)
	v_clz_i32_u32_e32 v45, v8
	v_min_u32_e32 v45, 32, v45
	s_delay_alu instid0(VALU_DEP_1) | instskip(SKIP_1) | instid1(VALU_DEP_2)
	v_subrev_nc_u32_e32 v46, 28, v45
	v_sub_nc_u32_e32 v45, 29, v45
	v_lshlrev_b64 v[46:47], v46, v[8:9]
	s_delay_alu instid0(VALU_DEP_1)
	v_and_b32_e32 v8, 7, v46
; %bb.63:                               ;   in Loop: Header=BB428_10 Depth=1
	s_or_b32 exec_lo, exec_lo, s22
	v_lshlrev_b32_e32 v46, 24, v56
	s_delay_alu instid0(VALU_DEP_2) | instskip(SKIP_1) | instid1(VALU_DEP_3)
	v_lshlrev_b32_e32 v8, 20, v8
	v_lshl_add_u32 v45, v45, 23, 0x3c000000
	v_and_b32_e32 v46, 0x80000000, v46
	s_delay_alu instid0(VALU_DEP_1)
	v_or3_b32 v8, v8, v46, v45
.LBB428_64:                             ;   in Loop: Header=BB428_10 Depth=1
	s_or_b32 exec_lo, exec_lo, s21
.LBB428_65:                             ;   in Loop: Header=BB428_10 Depth=1
	s_delay_alu instid0(SALU_CYCLE_1)
	s_or_b32 exec_lo, exec_lo, s20
.LBB428_66:                             ;   in Loop: Header=BB428_10 Depth=1
	s_delay_alu instid0(SALU_CYCLE_1) | instskip(NEXT) | instid1(VALU_DEP_1)
	s_or_b32 exec_lo, exec_lo, s4
	v_mul_f32_e32 v8, v41, v8
	s_delay_alu instid0(VALU_DEP_1) | instskip(NEXT) | instid1(VALU_DEP_1)
	v_and_b32_e32 v45, 0x7f800000, v8
	v_cmp_ne_u32_e64 s3, 0x7f800000, v45
                                        ; implicit-def: $vgpr45
	s_delay_alu instid0(VALU_DEP_1) | instskip(NEXT) | instid1(SALU_CYCLE_1)
	s_and_saveexec_b32 s4, s3
	s_xor_b32 s3, exec_lo, s4
; %bb.67:                               ;   in Loop: Header=BB428_10 Depth=1
	v_bfe_u32 v45, v8, 16, 1
	s_delay_alu instid0(VALU_DEP_1)
	v_add3_u32 v45, v8, v45, 0x7fff
                                        ; implicit-def: $vgpr8
; %bb.68:                               ;   in Loop: Header=BB428_10 Depth=1
	s_and_not1_saveexec_b32 s4, s3
; %bb.69:                               ;   in Loop: Header=BB428_10 Depth=1
	v_and_b32_e32 v45, 0xffff, v8
	v_or_b32_e32 v46, 0x10000, v8
	s_delay_alu instid0(VALU_DEP_2) | instskip(NEXT) | instid1(VALU_DEP_1)
	v_cmp_eq_u32_e64 s3, 0, v45
	v_cndmask_b32_e64 v45, v46, v8, s3
; %bb.70:                               ;   in Loop: Header=BB428_10 Depth=1
	s_or_b32 exec_lo, exec_lo, s4
	v_lshrrev_b16 v46, 8, v56
	v_mov_b32_e32 v8, 0
	s_mov_b32 s4, exec_lo
	s_delay_alu instid0(VALU_DEP_2)
	v_cmpx_ne_u16_e32 0, v46
	s_cbranch_execz .LBB428_78
; %bb.71:                               ;   in Loop: Header=BB428_10 Depth=1
	v_bfrev_b32_e32 v8, 1
	s_mov_b32 s20, exec_lo
	v_cmpx_ne_u16_e32 0x80, v46
	s_cbranch_execz .LBB428_77
; %bb.72:                               ;   in Loop: Header=BB428_10 Depth=1
	v_and_b32_e32 v46, 0xffff, v46
	v_mov_b32_e32 v8, 0x7f800001
	s_mov_b32 s21, exec_lo
	s_delay_alu instid0(VALU_DEP_2) | instskip(NEXT) | instid1(VALU_DEP_1)
	v_and_b32_e32 v47, 0x7f, v46
	v_cmpx_ne_u32_e32 0x7f, v47
	s_cbranch_execz .LBB428_76
; %bb.73:                               ;   in Loop: Header=BB428_10 Depth=1
	v_and_b32_e32 v8, 7, v46
	v_lshrrev_b32_e32 v46, 3, v47
	s_mov_b32 s22, exec_lo
	v_cmpx_gt_u32_e32 8, v47
; %bb.74:                               ;   in Loop: Header=BB428_10 Depth=1
	s_delay_alu instid0(VALU_DEP_3) | instskip(NEXT) | instid1(VALU_DEP_1)
	v_clz_i32_u32_e32 v46, v8
	v_min_u32_e32 v46, 32, v46
	s_delay_alu instid0(VALU_DEP_1) | instskip(SKIP_1) | instid1(VALU_DEP_2)
	v_subrev_nc_u32_e32 v47, 28, v46
	v_sub_nc_u32_e32 v46, 29, v46
	v_lshlrev_b64 v[57:58], v47, v[8:9]
	s_delay_alu instid0(VALU_DEP_1)
	v_and_b32_e32 v8, 7, v57
; %bb.75:                               ;   in Loop: Header=BB428_10 Depth=1
	s_or_b32 exec_lo, exec_lo, s22
	v_lshlrev_b32_e32 v47, 16, v56
	s_delay_alu instid0(VALU_DEP_2) | instskip(SKIP_1) | instid1(VALU_DEP_3)
	v_lshlrev_b32_e32 v8, 20, v8
	v_lshl_add_u32 v46, v46, 23, 0x3c000000
	v_and_b32_e32 v47, 0x80000000, v47
	s_delay_alu instid0(VALU_DEP_1)
	v_or3_b32 v8, v8, v47, v46
.LBB428_76:                             ;   in Loop: Header=BB428_10 Depth=1
	s_or_b32 exec_lo, exec_lo, s21
.LBB428_77:                             ;   in Loop: Header=BB428_10 Depth=1
	s_delay_alu instid0(SALU_CYCLE_1)
	s_or_b32 exec_lo, exec_lo, s20
.LBB428_78:                             ;   in Loop: Header=BB428_10 Depth=1
	s_delay_alu instid0(SALU_CYCLE_1) | instskip(NEXT) | instid1(VALU_DEP_1)
	s_or_b32 exec_lo, exec_lo, s4
	v_mul_f32_e32 v8, v41, v8
	s_delay_alu instid0(VALU_DEP_1) | instskip(NEXT) | instid1(VALU_DEP_1)
	v_and_b32_e32 v46, 0x7f800000, v8
	v_cmp_ne_u32_e64 s3, 0x7f800000, v46
                                        ; implicit-def: $vgpr46
	s_delay_alu instid0(VALU_DEP_1) | instskip(NEXT) | instid1(SALU_CYCLE_1)
	s_and_saveexec_b32 s4, s3
	s_xor_b32 s3, exec_lo, s4
; %bb.79:                               ;   in Loop: Header=BB428_10 Depth=1
	v_bfe_u32 v46, v8, 16, 1
	s_delay_alu instid0(VALU_DEP_1)
	v_add3_u32 v46, v8, v46, 0x7fff
                                        ; implicit-def: $vgpr8
; %bb.80:                               ;   in Loop: Header=BB428_10 Depth=1
	s_and_not1_saveexec_b32 s4, s3
; %bb.81:                               ;   in Loop: Header=BB428_10 Depth=1
	v_and_b32_e32 v46, 0xffff, v8
	v_or_b32_e32 v47, 0x10000, v8
	s_delay_alu instid0(VALU_DEP_2) | instskip(NEXT) | instid1(VALU_DEP_1)
	v_cmp_eq_u32_e64 s3, 0, v46
	v_cndmask_b32_e64 v46, v47, v8, s3
; %bb.82:                               ;   in Loop: Header=BB428_10 Depth=1
	s_or_b32 exec_lo, exec_lo, s4
	v_lshrrev_b32_e32 v47, 16, v56
	s_mov_b32 s4, exec_lo
	s_delay_alu instid0(VALU_DEP_1) | instskip(NEXT) | instid1(VALU_DEP_1)
	v_dual_mov_b32 v8, 0 :: v_dual_and_b32 v57, 0xff, v47
	v_cmpx_ne_u16_e32 0, v57
	s_cbranch_execz .LBB428_90
; %bb.83:                               ;   in Loop: Header=BB428_10 Depth=1
	v_bfrev_b32_e32 v8, 1
	s_mov_b32 s20, exec_lo
	v_cmpx_ne_u16_e32 0x80, v57
	s_cbranch_execz .LBB428_89
; %bb.84:                               ;   in Loop: Header=BB428_10 Depth=1
	v_bfe_u32 v58, v56, 16, 7
	v_mov_b32_e32 v8, 0x7f800001
	s_mov_b32 s21, exec_lo
	s_delay_alu instid0(VALU_DEP_2)
	v_cmpx_ne_u32_e32 0x7f, v58
	s_cbranch_execz .LBB428_88
; %bb.85:                               ;   in Loop: Header=BB428_10 Depth=1
	v_and_b32_e32 v8, 7, v47
	v_lshrrev_b32_e32 v57, 3, v58
	s_mov_b32 s22, exec_lo
	v_cmpx_gt_u32_e32 8, v58
; %bb.86:                               ;   in Loop: Header=BB428_10 Depth=1
	s_delay_alu instid0(VALU_DEP_3) | instskip(NEXT) | instid1(VALU_DEP_1)
	v_clz_i32_u32_e32 v57, v8
	v_min_u32_e32 v57, 32, v57
	s_delay_alu instid0(VALU_DEP_1) | instskip(SKIP_1) | instid1(VALU_DEP_2)
	v_subrev_nc_u32_e32 v58, 28, v57
	v_sub_nc_u32_e32 v57, 29, v57
	v_lshlrev_b64 v[58:59], v58, v[8:9]
	s_delay_alu instid0(VALU_DEP_1)
	v_and_b32_e32 v8, 7, v58
; %bb.87:                               ;   in Loop: Header=BB428_10 Depth=1
	s_or_b32 exec_lo, exec_lo, s22
	v_lshlrev_b32_e32 v47, 24, v47
	s_delay_alu instid0(VALU_DEP_2) | instskip(SKIP_1) | instid1(VALU_DEP_3)
	v_lshlrev_b32_e32 v8, 20, v8
	v_lshl_add_u32 v57, v57, 23, 0x3c000000
	v_and_b32_e32 v47, 0x80000000, v47
	s_delay_alu instid0(VALU_DEP_1)
	v_or3_b32 v8, v8, v47, v57
.LBB428_88:                             ;   in Loop: Header=BB428_10 Depth=1
	s_or_b32 exec_lo, exec_lo, s21
.LBB428_89:                             ;   in Loop: Header=BB428_10 Depth=1
	s_delay_alu instid0(SALU_CYCLE_1)
	s_or_b32 exec_lo, exec_lo, s20
.LBB428_90:                             ;   in Loop: Header=BB428_10 Depth=1
	s_delay_alu instid0(SALU_CYCLE_1) | instskip(NEXT) | instid1(VALU_DEP_1)
	s_or_b32 exec_lo, exec_lo, s4
	v_mul_f32_e32 v8, v41, v8
	s_delay_alu instid0(VALU_DEP_1) | instskip(NEXT) | instid1(VALU_DEP_1)
	v_and_b32_e32 v47, 0x7f800000, v8
	v_cmp_ne_u32_e64 s3, 0x7f800000, v47
                                        ; implicit-def: $vgpr47
	s_delay_alu instid0(VALU_DEP_1) | instskip(NEXT) | instid1(SALU_CYCLE_1)
	s_and_saveexec_b32 s4, s3
	s_xor_b32 s3, exec_lo, s4
; %bb.91:                               ;   in Loop: Header=BB428_10 Depth=1
	v_bfe_u32 v47, v8, 16, 1
	s_delay_alu instid0(VALU_DEP_1)
	v_add3_u32 v47, v8, v47, 0x7fff
                                        ; implicit-def: $vgpr8
; %bb.92:                               ;   in Loop: Header=BB428_10 Depth=1
	s_and_not1_saveexec_b32 s4, s3
; %bb.93:                               ;   in Loop: Header=BB428_10 Depth=1
	v_and_b32_e32 v47, 0xffff, v8
	v_or_b32_e32 v57, 0x10000, v8
	s_delay_alu instid0(VALU_DEP_2) | instskip(NEXT) | instid1(VALU_DEP_1)
	v_cmp_eq_u32_e64 s3, 0, v47
	v_cndmask_b32_e64 v47, v57, v8, s3
; %bb.94:                               ;   in Loop: Header=BB428_10 Depth=1
	s_or_b32 exec_lo, exec_lo, s4
	v_mov_b32_e32 v8, 0
	s_mov_b32 s4, exec_lo
	v_cmpx_lt_u32_e32 0xffffff, v56
	s_cbranch_execz .LBB428_102
; %bb.95:                               ;   in Loop: Header=BB428_10 Depth=1
	v_lshrrev_b32_e32 v57, 24, v56
	v_bfrev_b32_e32 v8, 1
	s_mov_b32 s20, exec_lo
	s_delay_alu instid0(VALU_DEP_2)
	v_cmpx_ne_u32_e32 0x80, v57
	s_cbranch_execz .LBB428_101
; %bb.96:                               ;   in Loop: Header=BB428_10 Depth=1
	v_bfe_u32 v58, v56, 24, 7
	v_mov_b32_e32 v8, 0x7f800001
	s_mov_b32 s21, exec_lo
	s_delay_alu instid0(VALU_DEP_2)
	v_cmpx_ne_u32_e32 0x7f, v58
	s_cbranch_execz .LBB428_100
; %bb.97:                               ;   in Loop: Header=BB428_10 Depth=1
	v_and_b32_e32 v8, 7, v57
	v_lshrrev_b32_e32 v56, 3, v58
	s_mov_b32 s22, exec_lo
	v_cmpx_gt_u32_e32 8, v58
; %bb.98:                               ;   in Loop: Header=BB428_10 Depth=1
	s_delay_alu instid0(VALU_DEP_3) | instskip(NEXT) | instid1(VALU_DEP_1)
	v_clz_i32_u32_e32 v56, v8
	v_min_u32_e32 v56, 32, v56
	s_delay_alu instid0(VALU_DEP_1) | instskip(SKIP_1) | instid1(VALU_DEP_2)
	v_subrev_nc_u32_e32 v58, 28, v56
	v_sub_nc_u32_e32 v56, 29, v56
	v_lshlrev_b64 v[58:59], v58, v[8:9]
	s_delay_alu instid0(VALU_DEP_1)
	v_and_b32_e32 v8, 7, v58
; %bb.99:                               ;   in Loop: Header=BB428_10 Depth=1
	s_or_b32 exec_lo, exec_lo, s22
	v_lshlrev_b32_e32 v57, 24, v57
	s_delay_alu instid0(VALU_DEP_2) | instskip(SKIP_1) | instid1(VALU_DEP_3)
	v_lshlrev_b32_e32 v8, 20, v8
	v_lshl_add_u32 v56, v56, 23, 0x3c000000
	v_and_b32_e32 v57, 0x80000000, v57
	s_delay_alu instid0(VALU_DEP_1)
	v_or3_b32 v8, v8, v57, v56
.LBB428_100:                            ;   in Loop: Header=BB428_10 Depth=1
	s_or_b32 exec_lo, exec_lo, s21
.LBB428_101:                            ;   in Loop: Header=BB428_10 Depth=1
	s_delay_alu instid0(SALU_CYCLE_1)
	s_or_b32 exec_lo, exec_lo, s20
.LBB428_102:                            ;   in Loop: Header=BB428_10 Depth=1
	s_delay_alu instid0(SALU_CYCLE_1) | instskip(NEXT) | instid1(VALU_DEP_1)
	s_or_b32 exec_lo, exec_lo, s4
	v_mul_f32_e32 v8, v41, v8
	s_delay_alu instid0(VALU_DEP_1) | instskip(NEXT) | instid1(VALU_DEP_1)
	v_and_b32_e32 v56, 0x7f800000, v8
	v_cmp_ne_u32_e64 s3, 0x7f800000, v56
                                        ; implicit-def: $vgpr56
	s_delay_alu instid0(VALU_DEP_1) | instskip(NEXT) | instid1(SALU_CYCLE_1)
	s_and_saveexec_b32 s4, s3
	s_xor_b32 s3, exec_lo, s4
; %bb.103:                              ;   in Loop: Header=BB428_10 Depth=1
	v_bfe_u32 v56, v8, 16, 1
	s_delay_alu instid0(VALU_DEP_1)
	v_add3_u32 v56, v8, v56, 0x7fff
                                        ; implicit-def: $vgpr8
; %bb.104:                              ;   in Loop: Header=BB428_10 Depth=1
	s_and_not1_saveexec_b32 s4, s3
; %bb.105:                              ;   in Loop: Header=BB428_10 Depth=1
	v_and_b32_e32 v56, 0xffff, v8
	v_or_b32_e32 v57, 0x10000, v8
	s_delay_alu instid0(VALU_DEP_2) | instskip(NEXT) | instid1(VALU_DEP_1)
	v_cmp_eq_u32_e64 s3, 0, v56
	v_cndmask_b32_e64 v56, v57, v8, s3
; %bb.106:                              ;   in Loop: Header=BB428_10 Depth=1
	s_or_b32 exec_lo, exec_lo, s4
	flat_load_b32 v60, v[28:29] offset:256
	s_mov_b32 s4, exec_lo
	s_waitcnt vmcnt(0) lgkmcnt(0)
	v_dual_mov_b32 v8, 0 :: v_dual_and_b32 v57, 0xff, v60
	s_delay_alu instid0(VALU_DEP_1)
	v_cmpx_ne_u16_e32 0, v57
	s_cbranch_execz .LBB428_114
; %bb.107:                              ;   in Loop: Header=BB428_10 Depth=1
	v_bfrev_b32_e32 v8, 1
	s_mov_b32 s20, exec_lo
	v_cmpx_ne_u16_e32 0x80, v57
	s_cbranch_execz .LBB428_113
; %bb.108:                              ;   in Loop: Header=BB428_10 Depth=1
	v_and_b32_e32 v58, 0x7f, v60
	v_mov_b32_e32 v8, 0x7f800001
	s_mov_b32 s21, exec_lo
	s_delay_alu instid0(VALU_DEP_2)
	v_cmpx_ne_u32_e32 0x7f, v58
	s_cbranch_execz .LBB428_112
; %bb.109:                              ;   in Loop: Header=BB428_10 Depth=1
	v_and_b32_e32 v8, 7, v60
	v_lshrrev_b32_e32 v57, 3, v58
	s_mov_b32 s22, exec_lo
	v_cmpx_gt_u32_e32 8, v58
; %bb.110:                              ;   in Loop: Header=BB428_10 Depth=1
	s_delay_alu instid0(VALU_DEP_3) | instskip(NEXT) | instid1(VALU_DEP_1)
	v_clz_i32_u32_e32 v57, v8
	v_min_u32_e32 v57, 32, v57
	s_delay_alu instid0(VALU_DEP_1) | instskip(SKIP_1) | instid1(VALU_DEP_2)
	v_subrev_nc_u32_e32 v58, 28, v57
	v_sub_nc_u32_e32 v57, 29, v57
	v_lshlrev_b64 v[58:59], v58, v[8:9]
	s_delay_alu instid0(VALU_DEP_1)
	v_and_b32_e32 v8, 7, v58
; %bb.111:                              ;   in Loop: Header=BB428_10 Depth=1
	s_or_b32 exec_lo, exec_lo, s22
	v_lshlrev_b32_e32 v58, 24, v60
	s_delay_alu instid0(VALU_DEP_2) | instskip(SKIP_1) | instid1(VALU_DEP_3)
	v_lshlrev_b32_e32 v8, 20, v8
	v_lshl_add_u32 v57, v57, 23, 0x3c000000
	v_and_b32_e32 v58, 0x80000000, v58
	s_delay_alu instid0(VALU_DEP_1)
	v_or3_b32 v8, v8, v58, v57
.LBB428_112:                            ;   in Loop: Header=BB428_10 Depth=1
	s_or_b32 exec_lo, exec_lo, s21
.LBB428_113:                            ;   in Loop: Header=BB428_10 Depth=1
	s_delay_alu instid0(SALU_CYCLE_1)
	s_or_b32 exec_lo, exec_lo, s20
.LBB428_114:                            ;   in Loop: Header=BB428_10 Depth=1
	s_delay_alu instid0(SALU_CYCLE_1) | instskip(NEXT) | instid1(VALU_DEP_1)
	s_or_b32 exec_lo, exec_lo, s4
	v_mul_f32_e32 v8, v41, v8
	s_delay_alu instid0(VALU_DEP_1) | instskip(NEXT) | instid1(VALU_DEP_1)
	v_and_b32_e32 v57, 0x7f800000, v8
	v_cmp_ne_u32_e64 s3, 0x7f800000, v57
                                        ; implicit-def: $vgpr57
	s_delay_alu instid0(VALU_DEP_1) | instskip(NEXT) | instid1(SALU_CYCLE_1)
	s_and_saveexec_b32 s4, s3
	s_xor_b32 s3, exec_lo, s4
; %bb.115:                              ;   in Loop: Header=BB428_10 Depth=1
	v_bfe_u32 v57, v8, 16, 1
	s_delay_alu instid0(VALU_DEP_1)
	v_add3_u32 v57, v8, v57, 0x7fff
                                        ; implicit-def: $vgpr8
; %bb.116:                              ;   in Loop: Header=BB428_10 Depth=1
	s_and_not1_saveexec_b32 s4, s3
; %bb.117:                              ;   in Loop: Header=BB428_10 Depth=1
	v_and_b32_e32 v57, 0xffff, v8
	v_or_b32_e32 v58, 0x10000, v8
	s_delay_alu instid0(VALU_DEP_2) | instskip(NEXT) | instid1(VALU_DEP_1)
	v_cmp_eq_u32_e64 s3, 0, v57
	v_cndmask_b32_e64 v57, v58, v8, s3
; %bb.118:                              ;   in Loop: Header=BB428_10 Depth=1
	s_or_b32 exec_lo, exec_lo, s4
	v_lshrrev_b16 v58, 8, v60
	v_mov_b32_e32 v8, 0
	s_mov_b32 s4, exec_lo
	s_delay_alu instid0(VALU_DEP_2)
	v_cmpx_ne_u16_e32 0, v58
	s_cbranch_execz .LBB428_126
; %bb.119:                              ;   in Loop: Header=BB428_10 Depth=1
	v_bfrev_b32_e32 v8, 1
	s_mov_b32 s20, exec_lo
	v_cmpx_ne_u16_e32 0x80, v58
	s_cbranch_execz .LBB428_125
; %bb.120:                              ;   in Loop: Header=BB428_10 Depth=1
	v_and_b32_e32 v58, 0xffff, v58
	v_mov_b32_e32 v8, 0x7f800001
	s_mov_b32 s21, exec_lo
	s_delay_alu instid0(VALU_DEP_2) | instskip(NEXT) | instid1(VALU_DEP_1)
	v_and_b32_e32 v59, 0x7f, v58
	v_cmpx_ne_u32_e32 0x7f, v59
	s_cbranch_execz .LBB428_124
; %bb.121:                              ;   in Loop: Header=BB428_10 Depth=1
	v_and_b32_e32 v8, 7, v58
	v_lshrrev_b32_e32 v58, 3, v59
	s_mov_b32 s22, exec_lo
	v_cmpx_gt_u32_e32 8, v59
; %bb.122:                              ;   in Loop: Header=BB428_10 Depth=1
	s_delay_alu instid0(VALU_DEP_3) | instskip(NEXT) | instid1(VALU_DEP_1)
	v_clz_i32_u32_e32 v58, v8
	v_min_u32_e32 v58, 32, v58
	s_delay_alu instid0(VALU_DEP_1) | instskip(SKIP_1) | instid1(VALU_DEP_2)
	v_subrev_nc_u32_e32 v59, 28, v58
	v_sub_nc_u32_e32 v58, 29, v58
	v_lshlrev_b64 v[61:62], v59, v[8:9]
	s_delay_alu instid0(VALU_DEP_1)
	v_and_b32_e32 v8, 7, v61
; %bb.123:                              ;   in Loop: Header=BB428_10 Depth=1
	s_or_b32 exec_lo, exec_lo, s22
	v_lshlrev_b32_e32 v59, 16, v60
	s_delay_alu instid0(VALU_DEP_2) | instskip(SKIP_1) | instid1(VALU_DEP_3)
	v_lshlrev_b32_e32 v8, 20, v8
	v_lshl_add_u32 v58, v58, 23, 0x3c000000
	v_and_b32_e32 v59, 0x80000000, v59
	s_delay_alu instid0(VALU_DEP_1)
	v_or3_b32 v8, v8, v59, v58
.LBB428_124:                            ;   in Loop: Header=BB428_10 Depth=1
	s_or_b32 exec_lo, exec_lo, s21
.LBB428_125:                            ;   in Loop: Header=BB428_10 Depth=1
	s_delay_alu instid0(SALU_CYCLE_1)
	s_or_b32 exec_lo, exec_lo, s20
.LBB428_126:                            ;   in Loop: Header=BB428_10 Depth=1
	s_delay_alu instid0(SALU_CYCLE_1) | instskip(NEXT) | instid1(VALU_DEP_1)
	s_or_b32 exec_lo, exec_lo, s4
	v_mul_f32_e32 v8, v41, v8
	s_delay_alu instid0(VALU_DEP_1) | instskip(NEXT) | instid1(VALU_DEP_1)
	v_and_b32_e32 v58, 0x7f800000, v8
	v_cmp_ne_u32_e64 s3, 0x7f800000, v58
                                        ; implicit-def: $vgpr58
	s_delay_alu instid0(VALU_DEP_1) | instskip(NEXT) | instid1(SALU_CYCLE_1)
	s_and_saveexec_b32 s4, s3
	s_xor_b32 s3, exec_lo, s4
; %bb.127:                              ;   in Loop: Header=BB428_10 Depth=1
	v_bfe_u32 v58, v8, 16, 1
	s_delay_alu instid0(VALU_DEP_1)
	v_add3_u32 v58, v8, v58, 0x7fff
                                        ; implicit-def: $vgpr8
; %bb.128:                              ;   in Loop: Header=BB428_10 Depth=1
	s_and_not1_saveexec_b32 s4, s3
; %bb.129:                              ;   in Loop: Header=BB428_10 Depth=1
	v_and_b32_e32 v58, 0xffff, v8
	v_or_b32_e32 v59, 0x10000, v8
	s_delay_alu instid0(VALU_DEP_2) | instskip(NEXT) | instid1(VALU_DEP_1)
	v_cmp_eq_u32_e64 s3, 0, v58
	v_cndmask_b32_e64 v58, v59, v8, s3
; %bb.130:                              ;   in Loop: Header=BB428_10 Depth=1
	s_or_b32 exec_lo, exec_lo, s4
	v_lshrrev_b32_e32 v59, 16, v60
	s_mov_b32 s4, exec_lo
	s_delay_alu instid0(VALU_DEP_1) | instskip(NEXT) | instid1(VALU_DEP_1)
	v_dual_mov_b32 v8, 0 :: v_dual_and_b32 v61, 0xff, v59
	v_cmpx_ne_u16_e32 0, v61
	s_cbranch_execz .LBB428_138
; %bb.131:                              ;   in Loop: Header=BB428_10 Depth=1
	v_bfrev_b32_e32 v8, 1
	s_mov_b32 s20, exec_lo
	v_cmpx_ne_u16_e32 0x80, v61
	s_cbranch_execz .LBB428_137
; %bb.132:                              ;   in Loop: Header=BB428_10 Depth=1
	v_bfe_u32 v62, v60, 16, 7
	v_mov_b32_e32 v8, 0x7f800001
	s_mov_b32 s21, exec_lo
	s_delay_alu instid0(VALU_DEP_2)
	v_cmpx_ne_u32_e32 0x7f, v62
	s_cbranch_execz .LBB428_136
; %bb.133:                              ;   in Loop: Header=BB428_10 Depth=1
	v_and_b32_e32 v8, 7, v59
	v_lshrrev_b32_e32 v61, 3, v62
	s_mov_b32 s22, exec_lo
	v_cmpx_gt_u32_e32 8, v62
; %bb.134:                              ;   in Loop: Header=BB428_10 Depth=1
	s_delay_alu instid0(VALU_DEP_3) | instskip(NEXT) | instid1(VALU_DEP_1)
	v_clz_i32_u32_e32 v61, v8
	v_min_u32_e32 v61, 32, v61
	s_delay_alu instid0(VALU_DEP_1) | instskip(SKIP_1) | instid1(VALU_DEP_2)
	v_subrev_nc_u32_e32 v62, 28, v61
	v_sub_nc_u32_e32 v61, 29, v61
	v_lshlrev_b64 v[62:63], v62, v[8:9]
	s_delay_alu instid0(VALU_DEP_1)
	v_and_b32_e32 v8, 7, v62
; %bb.135:                              ;   in Loop: Header=BB428_10 Depth=1
	s_or_b32 exec_lo, exec_lo, s22
	v_lshlrev_b32_e32 v59, 24, v59
	s_delay_alu instid0(VALU_DEP_2) | instskip(SKIP_1) | instid1(VALU_DEP_3)
	v_lshlrev_b32_e32 v8, 20, v8
	v_lshl_add_u32 v61, v61, 23, 0x3c000000
	v_and_b32_e32 v59, 0x80000000, v59
	s_delay_alu instid0(VALU_DEP_1)
	v_or3_b32 v8, v8, v59, v61
.LBB428_136:                            ;   in Loop: Header=BB428_10 Depth=1
	s_or_b32 exec_lo, exec_lo, s21
.LBB428_137:                            ;   in Loop: Header=BB428_10 Depth=1
	s_delay_alu instid0(SALU_CYCLE_1)
	s_or_b32 exec_lo, exec_lo, s20
.LBB428_138:                            ;   in Loop: Header=BB428_10 Depth=1
	s_delay_alu instid0(SALU_CYCLE_1) | instskip(NEXT) | instid1(VALU_DEP_1)
	s_or_b32 exec_lo, exec_lo, s4
	v_mul_f32_e32 v8, v41, v8
	s_delay_alu instid0(VALU_DEP_1) | instskip(NEXT) | instid1(VALU_DEP_1)
	v_and_b32_e32 v59, 0x7f800000, v8
	v_cmp_ne_u32_e64 s3, 0x7f800000, v59
                                        ; implicit-def: $vgpr59
	s_delay_alu instid0(VALU_DEP_1) | instskip(NEXT) | instid1(SALU_CYCLE_1)
	s_and_saveexec_b32 s4, s3
	s_xor_b32 s3, exec_lo, s4
; %bb.139:                              ;   in Loop: Header=BB428_10 Depth=1
	v_bfe_u32 v59, v8, 16, 1
	s_delay_alu instid0(VALU_DEP_1)
	v_add3_u32 v59, v8, v59, 0x7fff
                                        ; implicit-def: $vgpr8
; %bb.140:                              ;   in Loop: Header=BB428_10 Depth=1
	s_and_not1_saveexec_b32 s4, s3
; %bb.141:                              ;   in Loop: Header=BB428_10 Depth=1
	v_and_b32_e32 v59, 0xffff, v8
	v_or_b32_e32 v61, 0x10000, v8
	s_delay_alu instid0(VALU_DEP_2) | instskip(NEXT) | instid1(VALU_DEP_1)
	v_cmp_eq_u32_e64 s3, 0, v59
	v_cndmask_b32_e64 v59, v61, v8, s3
; %bb.142:                              ;   in Loop: Header=BB428_10 Depth=1
	s_or_b32 exec_lo, exec_lo, s4
	v_mov_b32_e32 v8, 0
	s_mov_b32 s4, exec_lo
	v_cmpx_lt_u32_e32 0xffffff, v60
	s_cbranch_execz .LBB428_150
; %bb.143:                              ;   in Loop: Header=BB428_10 Depth=1
	v_lshrrev_b32_e32 v61, 24, v60
	v_bfrev_b32_e32 v8, 1
	s_mov_b32 s20, exec_lo
	s_delay_alu instid0(VALU_DEP_2)
	v_cmpx_ne_u32_e32 0x80, v61
	s_cbranch_execz .LBB428_149
; %bb.144:                              ;   in Loop: Header=BB428_10 Depth=1
	v_bfe_u32 v62, v60, 24, 7
	v_mov_b32_e32 v8, 0x7f800001
	s_mov_b32 s21, exec_lo
	s_delay_alu instid0(VALU_DEP_2)
	v_cmpx_ne_u32_e32 0x7f, v62
	s_cbranch_execz .LBB428_148
; %bb.145:                              ;   in Loop: Header=BB428_10 Depth=1
	v_and_b32_e32 v8, 7, v61
	v_lshrrev_b32_e32 v60, 3, v62
	s_mov_b32 s22, exec_lo
	v_cmpx_gt_u32_e32 8, v62
; %bb.146:                              ;   in Loop: Header=BB428_10 Depth=1
	s_delay_alu instid0(VALU_DEP_3) | instskip(NEXT) | instid1(VALU_DEP_1)
	v_clz_i32_u32_e32 v60, v8
	v_min_u32_e32 v60, 32, v60
	s_delay_alu instid0(VALU_DEP_1) | instskip(SKIP_1) | instid1(VALU_DEP_2)
	v_subrev_nc_u32_e32 v62, 28, v60
	v_sub_nc_u32_e32 v60, 29, v60
	v_lshlrev_b64 v[62:63], v62, v[8:9]
	s_delay_alu instid0(VALU_DEP_1)
	v_and_b32_e32 v8, 7, v62
; %bb.147:                              ;   in Loop: Header=BB428_10 Depth=1
	s_or_b32 exec_lo, exec_lo, s22
	v_lshlrev_b32_e32 v61, 24, v61
	s_delay_alu instid0(VALU_DEP_2) | instskip(SKIP_1) | instid1(VALU_DEP_3)
	v_lshlrev_b32_e32 v8, 20, v8
	v_lshl_add_u32 v60, v60, 23, 0x3c000000
	v_and_b32_e32 v61, 0x80000000, v61
	s_delay_alu instid0(VALU_DEP_1)
	v_or3_b32 v8, v8, v61, v60
.LBB428_148:                            ;   in Loop: Header=BB428_10 Depth=1
	s_or_b32 exec_lo, exec_lo, s21
.LBB428_149:                            ;   in Loop: Header=BB428_10 Depth=1
	s_delay_alu instid0(SALU_CYCLE_1)
	s_or_b32 exec_lo, exec_lo, s20
.LBB428_150:                            ;   in Loop: Header=BB428_10 Depth=1
	s_delay_alu instid0(SALU_CYCLE_1) | instskip(NEXT) | instid1(VALU_DEP_1)
	s_or_b32 exec_lo, exec_lo, s4
	v_mul_f32_e32 v8, v41, v8
	s_delay_alu instid0(VALU_DEP_1) | instskip(NEXT) | instid1(VALU_DEP_1)
	v_and_b32_e32 v60, 0x7f800000, v8
	v_cmp_ne_u32_e64 s3, 0x7f800000, v60
                                        ; implicit-def: $vgpr60
	s_delay_alu instid0(VALU_DEP_1) | instskip(NEXT) | instid1(SALU_CYCLE_1)
	s_and_saveexec_b32 s4, s3
	s_xor_b32 s3, exec_lo, s4
; %bb.151:                              ;   in Loop: Header=BB428_10 Depth=1
	v_bfe_u32 v60, v8, 16, 1
	s_delay_alu instid0(VALU_DEP_1)
	v_add3_u32 v60, v8, v60, 0x7fff
                                        ; implicit-def: $vgpr8
; %bb.152:                              ;   in Loop: Header=BB428_10 Depth=1
	s_and_not1_saveexec_b32 s4, s3
; %bb.153:                              ;   in Loop: Header=BB428_10 Depth=1
	v_and_b32_e32 v60, 0xffff, v8
	v_or_b32_e32 v61, 0x10000, v8
	s_delay_alu instid0(VALU_DEP_2) | instskip(NEXT) | instid1(VALU_DEP_1)
	v_cmp_eq_u32_e64 s3, 0, v60
	v_cndmask_b32_e64 v60, v61, v8, s3
; %bb.154:                              ;   in Loop: Header=BB428_10 Depth=1
	s_or_b32 exec_lo, exec_lo, s4
	flat_load_b32 v72, v[28:29] offset:264
	s_mov_b32 s4, exec_lo
	s_waitcnt vmcnt(0) lgkmcnt(0)
	v_dual_mov_b32 v8, 0 :: v_dual_and_b32 v61, 0xff, v72
	s_delay_alu instid0(VALU_DEP_1)
	v_cmpx_ne_u16_e32 0, v61
	s_cbranch_execz .LBB428_162
; %bb.155:                              ;   in Loop: Header=BB428_10 Depth=1
	v_bfrev_b32_e32 v8, 1
	s_mov_b32 s20, exec_lo
	v_cmpx_ne_u16_e32 0x80, v61
	s_cbranch_execz .LBB428_161
; %bb.156:                              ;   in Loop: Header=BB428_10 Depth=1
	v_and_b32_e32 v62, 0x7f, v72
	v_mov_b32_e32 v8, 0x7f800001
	s_mov_b32 s21, exec_lo
	s_delay_alu instid0(VALU_DEP_2)
	v_cmpx_ne_u32_e32 0x7f, v62
	s_cbranch_execz .LBB428_160
; %bb.157:                              ;   in Loop: Header=BB428_10 Depth=1
	v_and_b32_e32 v8, 7, v72
	v_lshrrev_b32_e32 v61, 3, v62
	s_mov_b32 s22, exec_lo
	v_cmpx_gt_u32_e32 8, v62
; %bb.158:                              ;   in Loop: Header=BB428_10 Depth=1
	s_delay_alu instid0(VALU_DEP_3) | instskip(NEXT) | instid1(VALU_DEP_1)
	v_clz_i32_u32_e32 v61, v8
	v_min_u32_e32 v61, 32, v61
	s_delay_alu instid0(VALU_DEP_1) | instskip(SKIP_1) | instid1(VALU_DEP_2)
	v_subrev_nc_u32_e32 v62, 28, v61
	v_sub_nc_u32_e32 v61, 29, v61
	v_lshlrev_b64 v[62:63], v62, v[8:9]
	s_delay_alu instid0(VALU_DEP_1)
	v_and_b32_e32 v8, 7, v62
; %bb.159:                              ;   in Loop: Header=BB428_10 Depth=1
	s_or_b32 exec_lo, exec_lo, s22
	v_lshlrev_b32_e32 v62, 24, v72
	s_delay_alu instid0(VALU_DEP_2) | instskip(SKIP_1) | instid1(VALU_DEP_3)
	v_lshlrev_b32_e32 v8, 20, v8
	v_lshl_add_u32 v61, v61, 23, 0x3c000000
	v_and_b32_e32 v62, 0x80000000, v62
	s_delay_alu instid0(VALU_DEP_1)
	v_or3_b32 v8, v8, v62, v61
.LBB428_160:                            ;   in Loop: Header=BB428_10 Depth=1
	s_or_b32 exec_lo, exec_lo, s21
.LBB428_161:                            ;   in Loop: Header=BB428_10 Depth=1
	s_delay_alu instid0(SALU_CYCLE_1)
	s_or_b32 exec_lo, exec_lo, s20
.LBB428_162:                            ;   in Loop: Header=BB428_10 Depth=1
	s_delay_alu instid0(SALU_CYCLE_1) | instskip(NEXT) | instid1(VALU_DEP_1)
	s_or_b32 exec_lo, exec_lo, s4
	v_mul_f32_e32 v8, v41, v8
	s_delay_alu instid0(VALU_DEP_1) | instskip(NEXT) | instid1(VALU_DEP_1)
	v_and_b32_e32 v61, 0x7f800000, v8
	v_cmp_ne_u32_e64 s3, 0x7f800000, v61
                                        ; implicit-def: $vgpr61
	s_delay_alu instid0(VALU_DEP_1) | instskip(NEXT) | instid1(SALU_CYCLE_1)
	s_and_saveexec_b32 s4, s3
	s_xor_b32 s3, exec_lo, s4
; %bb.163:                              ;   in Loop: Header=BB428_10 Depth=1
	v_bfe_u32 v61, v8, 16, 1
	s_delay_alu instid0(VALU_DEP_1)
	v_add3_u32 v61, v8, v61, 0x7fff
                                        ; implicit-def: $vgpr8
; %bb.164:                              ;   in Loop: Header=BB428_10 Depth=1
	s_and_not1_saveexec_b32 s4, s3
; %bb.165:                              ;   in Loop: Header=BB428_10 Depth=1
	v_and_b32_e32 v61, 0xffff, v8
	v_or_b32_e32 v62, 0x10000, v8
	s_delay_alu instid0(VALU_DEP_2) | instskip(NEXT) | instid1(VALU_DEP_1)
	v_cmp_eq_u32_e64 s3, 0, v61
	v_cndmask_b32_e64 v61, v62, v8, s3
; %bb.166:                              ;   in Loop: Header=BB428_10 Depth=1
	s_or_b32 exec_lo, exec_lo, s4
	v_lshrrev_b16 v62, 8, v72
	v_mov_b32_e32 v8, 0
	s_mov_b32 s4, exec_lo
	s_delay_alu instid0(VALU_DEP_2)
	v_cmpx_ne_u16_e32 0, v62
	s_cbranch_execz .LBB428_174
; %bb.167:                              ;   in Loop: Header=BB428_10 Depth=1
	v_bfrev_b32_e32 v8, 1
	s_mov_b32 s20, exec_lo
	v_cmpx_ne_u16_e32 0x80, v62
	s_cbranch_execz .LBB428_173
; %bb.168:                              ;   in Loop: Header=BB428_10 Depth=1
	v_and_b32_e32 v62, 0xffff, v62
	v_mov_b32_e32 v8, 0x7f800001
	s_mov_b32 s21, exec_lo
	s_delay_alu instid0(VALU_DEP_2) | instskip(NEXT) | instid1(VALU_DEP_1)
	v_and_b32_e32 v63, 0x7f, v62
	v_cmpx_ne_u32_e32 0x7f, v63
	s_cbranch_execz .LBB428_172
; %bb.169:                              ;   in Loop: Header=BB428_10 Depth=1
	v_and_b32_e32 v8, 7, v62
	v_lshrrev_b32_e32 v62, 3, v63
	s_mov_b32 s22, exec_lo
	v_cmpx_gt_u32_e32 8, v63
; %bb.170:                              ;   in Loop: Header=BB428_10 Depth=1
	s_delay_alu instid0(VALU_DEP_3) | instskip(NEXT) | instid1(VALU_DEP_1)
	v_clz_i32_u32_e32 v62, v8
	v_min_u32_e32 v62, 32, v62
	s_delay_alu instid0(VALU_DEP_1) | instskip(SKIP_1) | instid1(VALU_DEP_2)
	v_subrev_nc_u32_e32 v63, 28, v62
	v_sub_nc_u32_e32 v62, 29, v62
	v_lshlrev_b64 v[73:74], v63, v[8:9]
	s_delay_alu instid0(VALU_DEP_1)
	v_and_b32_e32 v8, 7, v73
; %bb.171:                              ;   in Loop: Header=BB428_10 Depth=1
	s_or_b32 exec_lo, exec_lo, s22
	v_lshlrev_b32_e32 v63, 16, v72
	s_delay_alu instid0(VALU_DEP_2) | instskip(SKIP_1) | instid1(VALU_DEP_3)
	v_lshlrev_b32_e32 v8, 20, v8
	v_lshl_add_u32 v62, v62, 23, 0x3c000000
	v_and_b32_e32 v63, 0x80000000, v63
	s_delay_alu instid0(VALU_DEP_1)
	v_or3_b32 v8, v8, v63, v62
.LBB428_172:                            ;   in Loop: Header=BB428_10 Depth=1
	s_or_b32 exec_lo, exec_lo, s21
.LBB428_173:                            ;   in Loop: Header=BB428_10 Depth=1
	s_delay_alu instid0(SALU_CYCLE_1)
	s_or_b32 exec_lo, exec_lo, s20
.LBB428_174:                            ;   in Loop: Header=BB428_10 Depth=1
	s_delay_alu instid0(SALU_CYCLE_1) | instskip(NEXT) | instid1(VALU_DEP_1)
	s_or_b32 exec_lo, exec_lo, s4
	v_mul_f32_e32 v8, v41, v8
	s_delay_alu instid0(VALU_DEP_1) | instskip(NEXT) | instid1(VALU_DEP_1)
	v_and_b32_e32 v62, 0x7f800000, v8
	v_cmp_ne_u32_e64 s3, 0x7f800000, v62
                                        ; implicit-def: $vgpr62
	s_delay_alu instid0(VALU_DEP_1) | instskip(NEXT) | instid1(SALU_CYCLE_1)
	s_and_saveexec_b32 s4, s3
	s_xor_b32 s3, exec_lo, s4
; %bb.175:                              ;   in Loop: Header=BB428_10 Depth=1
	v_bfe_u32 v62, v8, 16, 1
	s_delay_alu instid0(VALU_DEP_1)
	v_add3_u32 v62, v8, v62, 0x7fff
                                        ; implicit-def: $vgpr8
; %bb.176:                              ;   in Loop: Header=BB428_10 Depth=1
	s_and_not1_saveexec_b32 s4, s3
; %bb.177:                              ;   in Loop: Header=BB428_10 Depth=1
	v_and_b32_e32 v62, 0xffff, v8
	v_or_b32_e32 v63, 0x10000, v8
	s_delay_alu instid0(VALU_DEP_2) | instskip(NEXT) | instid1(VALU_DEP_1)
	v_cmp_eq_u32_e64 s3, 0, v62
	v_cndmask_b32_e64 v62, v63, v8, s3
; %bb.178:                              ;   in Loop: Header=BB428_10 Depth=1
	s_or_b32 exec_lo, exec_lo, s4
	v_lshrrev_b32_e32 v63, 16, v72
	s_mov_b32 s4, exec_lo
	s_delay_alu instid0(VALU_DEP_1) | instskip(NEXT) | instid1(VALU_DEP_1)
	v_dual_mov_b32 v8, 0 :: v_dual_and_b32 v73, 0xff, v63
	v_cmpx_ne_u16_e32 0, v73
	s_cbranch_execz .LBB428_186
; %bb.179:                              ;   in Loop: Header=BB428_10 Depth=1
	v_bfrev_b32_e32 v8, 1
	s_mov_b32 s20, exec_lo
	v_cmpx_ne_u16_e32 0x80, v73
	s_cbranch_execz .LBB428_185
; %bb.180:                              ;   in Loop: Header=BB428_10 Depth=1
	v_bfe_u32 v74, v72, 16, 7
	v_mov_b32_e32 v8, 0x7f800001
	s_mov_b32 s21, exec_lo
	s_delay_alu instid0(VALU_DEP_2)
	v_cmpx_ne_u32_e32 0x7f, v74
	s_cbranch_execz .LBB428_184
; %bb.181:                              ;   in Loop: Header=BB428_10 Depth=1
	v_and_b32_e32 v8, 7, v63
	v_lshrrev_b32_e32 v73, 3, v74
	s_mov_b32 s22, exec_lo
	v_cmpx_gt_u32_e32 8, v74
; %bb.182:                              ;   in Loop: Header=BB428_10 Depth=1
	s_delay_alu instid0(VALU_DEP_3) | instskip(NEXT) | instid1(VALU_DEP_1)
	v_clz_i32_u32_e32 v73, v8
	v_min_u32_e32 v73, 32, v73
	s_delay_alu instid0(VALU_DEP_1) | instskip(SKIP_1) | instid1(VALU_DEP_2)
	v_subrev_nc_u32_e32 v74, 28, v73
	v_sub_nc_u32_e32 v73, 29, v73
	v_lshlrev_b64 v[74:75], v74, v[8:9]
	s_delay_alu instid0(VALU_DEP_1)
	v_and_b32_e32 v8, 7, v74
; %bb.183:                              ;   in Loop: Header=BB428_10 Depth=1
	s_or_b32 exec_lo, exec_lo, s22
	v_lshlrev_b32_e32 v63, 24, v63
	s_delay_alu instid0(VALU_DEP_2) | instskip(SKIP_1) | instid1(VALU_DEP_3)
	v_lshlrev_b32_e32 v8, 20, v8
	v_lshl_add_u32 v73, v73, 23, 0x3c000000
	v_and_b32_e32 v63, 0x80000000, v63
	s_delay_alu instid0(VALU_DEP_1)
	v_or3_b32 v8, v8, v63, v73
.LBB428_184:                            ;   in Loop: Header=BB428_10 Depth=1
	s_or_b32 exec_lo, exec_lo, s21
.LBB428_185:                            ;   in Loop: Header=BB428_10 Depth=1
	s_delay_alu instid0(SALU_CYCLE_1)
	s_or_b32 exec_lo, exec_lo, s20
.LBB428_186:                            ;   in Loop: Header=BB428_10 Depth=1
	s_delay_alu instid0(SALU_CYCLE_1) | instskip(NEXT) | instid1(VALU_DEP_1)
	s_or_b32 exec_lo, exec_lo, s4
	v_mul_f32_e32 v8, v41, v8
	s_delay_alu instid0(VALU_DEP_1) | instskip(NEXT) | instid1(VALU_DEP_1)
	v_and_b32_e32 v63, 0x7f800000, v8
	v_cmp_ne_u32_e64 s3, 0x7f800000, v63
                                        ; implicit-def: $vgpr63
	s_delay_alu instid0(VALU_DEP_1) | instskip(NEXT) | instid1(SALU_CYCLE_1)
	s_and_saveexec_b32 s4, s3
	s_xor_b32 s3, exec_lo, s4
; %bb.187:                              ;   in Loop: Header=BB428_10 Depth=1
	v_bfe_u32 v63, v8, 16, 1
	s_delay_alu instid0(VALU_DEP_1)
	v_add3_u32 v63, v8, v63, 0x7fff
                                        ; implicit-def: $vgpr8
; %bb.188:                              ;   in Loop: Header=BB428_10 Depth=1
	s_and_not1_saveexec_b32 s4, s3
; %bb.189:                              ;   in Loop: Header=BB428_10 Depth=1
	v_and_b32_e32 v63, 0xffff, v8
	v_or_b32_e32 v73, 0x10000, v8
	s_delay_alu instid0(VALU_DEP_2) | instskip(NEXT) | instid1(VALU_DEP_1)
	v_cmp_eq_u32_e64 s3, 0, v63
	v_cndmask_b32_e64 v63, v73, v8, s3
; %bb.190:                              ;   in Loop: Header=BB428_10 Depth=1
	s_or_b32 exec_lo, exec_lo, s4
	v_mov_b32_e32 v8, 0
	s_mov_b32 s4, exec_lo
	v_cmpx_lt_u32_e32 0xffffff, v72
	s_cbranch_execz .LBB428_198
; %bb.191:                              ;   in Loop: Header=BB428_10 Depth=1
	v_lshrrev_b32_e32 v73, 24, v72
	v_bfrev_b32_e32 v8, 1
	s_mov_b32 s20, exec_lo
	s_delay_alu instid0(VALU_DEP_2)
	v_cmpx_ne_u32_e32 0x80, v73
	s_cbranch_execz .LBB428_197
; %bb.192:                              ;   in Loop: Header=BB428_10 Depth=1
	v_bfe_u32 v74, v72, 24, 7
	v_mov_b32_e32 v8, 0x7f800001
	s_mov_b32 s21, exec_lo
	s_delay_alu instid0(VALU_DEP_2)
	v_cmpx_ne_u32_e32 0x7f, v74
	s_cbranch_execz .LBB428_196
; %bb.193:                              ;   in Loop: Header=BB428_10 Depth=1
	v_and_b32_e32 v8, 7, v73
	v_lshrrev_b32_e32 v72, 3, v74
	s_mov_b32 s22, exec_lo
	v_cmpx_gt_u32_e32 8, v74
; %bb.194:                              ;   in Loop: Header=BB428_10 Depth=1
	s_delay_alu instid0(VALU_DEP_3) | instskip(NEXT) | instid1(VALU_DEP_1)
	v_clz_i32_u32_e32 v72, v8
	v_min_u32_e32 v72, 32, v72
	s_delay_alu instid0(VALU_DEP_1) | instskip(SKIP_1) | instid1(VALU_DEP_2)
	v_subrev_nc_u32_e32 v74, 28, v72
	v_sub_nc_u32_e32 v72, 29, v72
	v_lshlrev_b64 v[74:75], v74, v[8:9]
	s_delay_alu instid0(VALU_DEP_1)
	v_and_b32_e32 v8, 7, v74
; %bb.195:                              ;   in Loop: Header=BB428_10 Depth=1
	s_or_b32 exec_lo, exec_lo, s22
	v_lshlrev_b32_e32 v73, 24, v73
	s_delay_alu instid0(VALU_DEP_2) | instskip(SKIP_1) | instid1(VALU_DEP_3)
	v_lshlrev_b32_e32 v8, 20, v8
	v_lshl_add_u32 v72, v72, 23, 0x3c000000
	v_and_b32_e32 v73, 0x80000000, v73
	s_delay_alu instid0(VALU_DEP_1)
	v_or3_b32 v8, v8, v73, v72
.LBB428_196:                            ;   in Loop: Header=BB428_10 Depth=1
	s_or_b32 exec_lo, exec_lo, s21
.LBB428_197:                            ;   in Loop: Header=BB428_10 Depth=1
	s_delay_alu instid0(SALU_CYCLE_1)
	s_or_b32 exec_lo, exec_lo, s20
.LBB428_198:                            ;   in Loop: Header=BB428_10 Depth=1
	s_delay_alu instid0(SALU_CYCLE_1) | instskip(NEXT) | instid1(VALU_DEP_1)
	s_or_b32 exec_lo, exec_lo, s4
	v_mul_f32_e32 v8, v41, v8
	s_delay_alu instid0(VALU_DEP_1) | instskip(NEXT) | instid1(VALU_DEP_1)
	v_and_b32_e32 v72, 0x7f800000, v8
	v_cmp_ne_u32_e64 s3, 0x7f800000, v72
                                        ; implicit-def: $vgpr72
	s_delay_alu instid0(VALU_DEP_1) | instskip(NEXT) | instid1(SALU_CYCLE_1)
	s_and_saveexec_b32 s4, s3
	s_xor_b32 s3, exec_lo, s4
; %bb.199:                              ;   in Loop: Header=BB428_10 Depth=1
	v_bfe_u32 v72, v8, 16, 1
	s_delay_alu instid0(VALU_DEP_1)
	v_add3_u32 v72, v8, v72, 0x7fff
                                        ; implicit-def: $vgpr8
; %bb.200:                              ;   in Loop: Header=BB428_10 Depth=1
	s_and_not1_saveexec_b32 s4, s3
; %bb.201:                              ;   in Loop: Header=BB428_10 Depth=1
	v_and_b32_e32 v72, 0xffff, v8
	v_or_b32_e32 v73, 0x10000, v8
	s_delay_alu instid0(VALU_DEP_2) | instskip(NEXT) | instid1(VALU_DEP_1)
	v_cmp_eq_u32_e64 s3, 0, v72
	v_cndmask_b32_e64 v72, v73, v8, s3
; %bb.202:                              ;   in Loop: Header=BB428_10 Depth=1
	s_or_b32 exec_lo, exec_lo, s4
	flat_load_b32 v76, v[28:29] offset:512
	s_mov_b32 s4, exec_lo
	s_waitcnt vmcnt(0) lgkmcnt(0)
	v_dual_mov_b32 v8, 0 :: v_dual_and_b32 v73, 0xff, v76
	s_delay_alu instid0(VALU_DEP_1)
	v_cmpx_ne_u16_e32 0, v73
	s_cbranch_execz .LBB428_210
; %bb.203:                              ;   in Loop: Header=BB428_10 Depth=1
	v_bfrev_b32_e32 v8, 1
	s_mov_b32 s20, exec_lo
	v_cmpx_ne_u16_e32 0x80, v73
	s_cbranch_execz .LBB428_209
; %bb.204:                              ;   in Loop: Header=BB428_10 Depth=1
	v_and_b32_e32 v74, 0x7f, v76
	v_mov_b32_e32 v8, 0x7f800001
	s_mov_b32 s21, exec_lo
	s_delay_alu instid0(VALU_DEP_2)
	v_cmpx_ne_u32_e32 0x7f, v74
	s_cbranch_execz .LBB428_208
; %bb.205:                              ;   in Loop: Header=BB428_10 Depth=1
	v_and_b32_e32 v8, 7, v76
	v_lshrrev_b32_e32 v73, 3, v74
	s_mov_b32 s22, exec_lo
	v_cmpx_gt_u32_e32 8, v74
; %bb.206:                              ;   in Loop: Header=BB428_10 Depth=1
	s_delay_alu instid0(VALU_DEP_3) | instskip(NEXT) | instid1(VALU_DEP_1)
	v_clz_i32_u32_e32 v73, v8
	v_min_u32_e32 v73, 32, v73
	s_delay_alu instid0(VALU_DEP_1) | instskip(SKIP_1) | instid1(VALU_DEP_2)
	v_subrev_nc_u32_e32 v74, 28, v73
	v_sub_nc_u32_e32 v73, 29, v73
	v_lshlrev_b64 v[74:75], v74, v[8:9]
	s_delay_alu instid0(VALU_DEP_1)
	v_and_b32_e32 v8, 7, v74
; %bb.207:                              ;   in Loop: Header=BB428_10 Depth=1
	s_or_b32 exec_lo, exec_lo, s22
	v_lshlrev_b32_e32 v74, 24, v76
	s_delay_alu instid0(VALU_DEP_2) | instskip(SKIP_1) | instid1(VALU_DEP_3)
	v_lshlrev_b32_e32 v8, 20, v8
	v_lshl_add_u32 v73, v73, 23, 0x3c000000
	v_and_b32_e32 v74, 0x80000000, v74
	s_delay_alu instid0(VALU_DEP_1)
	v_or3_b32 v8, v8, v74, v73
.LBB428_208:                            ;   in Loop: Header=BB428_10 Depth=1
	s_or_b32 exec_lo, exec_lo, s21
.LBB428_209:                            ;   in Loop: Header=BB428_10 Depth=1
	s_delay_alu instid0(SALU_CYCLE_1)
	s_or_b32 exec_lo, exec_lo, s20
.LBB428_210:                            ;   in Loop: Header=BB428_10 Depth=1
	s_delay_alu instid0(SALU_CYCLE_1) | instskip(NEXT) | instid1(VALU_DEP_1)
	s_or_b32 exec_lo, exec_lo, s4
	v_mul_f32_e32 v8, v41, v8
	s_delay_alu instid0(VALU_DEP_1) | instskip(NEXT) | instid1(VALU_DEP_1)
	v_and_b32_e32 v73, 0x7f800000, v8
	v_cmp_ne_u32_e64 s3, 0x7f800000, v73
                                        ; implicit-def: $vgpr73
	s_delay_alu instid0(VALU_DEP_1) | instskip(NEXT) | instid1(SALU_CYCLE_1)
	s_and_saveexec_b32 s4, s3
	s_xor_b32 s3, exec_lo, s4
; %bb.211:                              ;   in Loop: Header=BB428_10 Depth=1
	v_bfe_u32 v73, v8, 16, 1
	s_delay_alu instid0(VALU_DEP_1)
	v_add3_u32 v73, v8, v73, 0x7fff
                                        ; implicit-def: $vgpr8
; %bb.212:                              ;   in Loop: Header=BB428_10 Depth=1
	s_and_not1_saveexec_b32 s4, s3
; %bb.213:                              ;   in Loop: Header=BB428_10 Depth=1
	v_and_b32_e32 v73, 0xffff, v8
	v_or_b32_e32 v74, 0x10000, v8
	s_delay_alu instid0(VALU_DEP_2) | instskip(NEXT) | instid1(VALU_DEP_1)
	v_cmp_eq_u32_e64 s3, 0, v73
	v_cndmask_b32_e64 v73, v74, v8, s3
; %bb.214:                              ;   in Loop: Header=BB428_10 Depth=1
	s_or_b32 exec_lo, exec_lo, s4
	v_lshrrev_b16 v74, 8, v76
	v_mov_b32_e32 v8, 0
	s_mov_b32 s4, exec_lo
	s_delay_alu instid0(VALU_DEP_2)
	v_cmpx_ne_u16_e32 0, v74
	s_cbranch_execz .LBB428_222
; %bb.215:                              ;   in Loop: Header=BB428_10 Depth=1
	v_bfrev_b32_e32 v8, 1
	s_mov_b32 s20, exec_lo
	v_cmpx_ne_u16_e32 0x80, v74
	s_cbranch_execz .LBB428_221
; %bb.216:                              ;   in Loop: Header=BB428_10 Depth=1
	v_and_b32_e32 v74, 0xffff, v74
	v_mov_b32_e32 v8, 0x7f800001
	s_mov_b32 s21, exec_lo
	s_delay_alu instid0(VALU_DEP_2) | instskip(NEXT) | instid1(VALU_DEP_1)
	v_and_b32_e32 v75, 0x7f, v74
	v_cmpx_ne_u32_e32 0x7f, v75
	s_cbranch_execz .LBB428_220
; %bb.217:                              ;   in Loop: Header=BB428_10 Depth=1
	v_and_b32_e32 v8, 7, v74
	v_lshrrev_b32_e32 v74, 3, v75
	s_mov_b32 s22, exec_lo
	v_cmpx_gt_u32_e32 8, v75
; %bb.218:                              ;   in Loop: Header=BB428_10 Depth=1
	s_delay_alu instid0(VALU_DEP_3) | instskip(NEXT) | instid1(VALU_DEP_1)
	v_clz_i32_u32_e32 v74, v8
	v_min_u32_e32 v74, 32, v74
	s_delay_alu instid0(VALU_DEP_1) | instskip(SKIP_1) | instid1(VALU_DEP_2)
	v_subrev_nc_u32_e32 v75, 28, v74
	v_sub_nc_u32_e32 v74, 29, v74
	v_lshlrev_b64 v[77:78], v75, v[8:9]
	s_delay_alu instid0(VALU_DEP_1)
	v_and_b32_e32 v8, 7, v77
; %bb.219:                              ;   in Loop: Header=BB428_10 Depth=1
	s_or_b32 exec_lo, exec_lo, s22
	v_lshlrev_b32_e32 v75, 16, v76
	s_delay_alu instid0(VALU_DEP_2) | instskip(SKIP_1) | instid1(VALU_DEP_3)
	v_lshlrev_b32_e32 v8, 20, v8
	v_lshl_add_u32 v74, v74, 23, 0x3c000000
	v_and_b32_e32 v75, 0x80000000, v75
	s_delay_alu instid0(VALU_DEP_1)
	v_or3_b32 v8, v8, v75, v74
.LBB428_220:                            ;   in Loop: Header=BB428_10 Depth=1
	s_or_b32 exec_lo, exec_lo, s21
.LBB428_221:                            ;   in Loop: Header=BB428_10 Depth=1
	s_delay_alu instid0(SALU_CYCLE_1)
	s_or_b32 exec_lo, exec_lo, s20
.LBB428_222:                            ;   in Loop: Header=BB428_10 Depth=1
	s_delay_alu instid0(SALU_CYCLE_1) | instskip(NEXT) | instid1(VALU_DEP_1)
	s_or_b32 exec_lo, exec_lo, s4
	v_mul_f32_e32 v8, v41, v8
	s_delay_alu instid0(VALU_DEP_1) | instskip(NEXT) | instid1(VALU_DEP_1)
	v_and_b32_e32 v74, 0x7f800000, v8
	v_cmp_ne_u32_e64 s3, 0x7f800000, v74
                                        ; implicit-def: $vgpr74
	s_delay_alu instid0(VALU_DEP_1) | instskip(NEXT) | instid1(SALU_CYCLE_1)
	s_and_saveexec_b32 s4, s3
	s_xor_b32 s3, exec_lo, s4
; %bb.223:                              ;   in Loop: Header=BB428_10 Depth=1
	v_bfe_u32 v74, v8, 16, 1
	s_delay_alu instid0(VALU_DEP_1)
	v_add3_u32 v74, v8, v74, 0x7fff
                                        ; implicit-def: $vgpr8
; %bb.224:                              ;   in Loop: Header=BB428_10 Depth=1
	s_and_not1_saveexec_b32 s4, s3
; %bb.225:                              ;   in Loop: Header=BB428_10 Depth=1
	v_and_b32_e32 v74, 0xffff, v8
	v_or_b32_e32 v75, 0x10000, v8
	s_delay_alu instid0(VALU_DEP_2) | instskip(NEXT) | instid1(VALU_DEP_1)
	v_cmp_eq_u32_e64 s3, 0, v74
	v_cndmask_b32_e64 v74, v75, v8, s3
; %bb.226:                              ;   in Loop: Header=BB428_10 Depth=1
	s_or_b32 exec_lo, exec_lo, s4
	v_lshrrev_b32_e32 v75, 16, v76
	s_mov_b32 s4, exec_lo
	s_delay_alu instid0(VALU_DEP_1) | instskip(NEXT) | instid1(VALU_DEP_1)
	v_dual_mov_b32 v8, 0 :: v_dual_and_b32 v77, 0xff, v75
	v_cmpx_ne_u16_e32 0, v77
	s_cbranch_execz .LBB428_234
; %bb.227:                              ;   in Loop: Header=BB428_10 Depth=1
	v_bfrev_b32_e32 v8, 1
	s_mov_b32 s20, exec_lo
	v_cmpx_ne_u16_e32 0x80, v77
	s_cbranch_execz .LBB428_233
; %bb.228:                              ;   in Loop: Header=BB428_10 Depth=1
	v_bfe_u32 v78, v76, 16, 7
	v_mov_b32_e32 v8, 0x7f800001
	s_mov_b32 s21, exec_lo
	s_delay_alu instid0(VALU_DEP_2)
	v_cmpx_ne_u32_e32 0x7f, v78
	s_cbranch_execz .LBB428_232
; %bb.229:                              ;   in Loop: Header=BB428_10 Depth=1
	v_and_b32_e32 v8, 7, v75
	v_lshrrev_b32_e32 v77, 3, v78
	s_mov_b32 s22, exec_lo
	v_cmpx_gt_u32_e32 8, v78
; %bb.230:                              ;   in Loop: Header=BB428_10 Depth=1
	s_delay_alu instid0(VALU_DEP_3) | instskip(NEXT) | instid1(VALU_DEP_1)
	v_clz_i32_u32_e32 v77, v8
	v_min_u32_e32 v77, 32, v77
	s_delay_alu instid0(VALU_DEP_1) | instskip(SKIP_1) | instid1(VALU_DEP_2)
	v_subrev_nc_u32_e32 v78, 28, v77
	v_sub_nc_u32_e32 v77, 29, v77
	v_lshlrev_b64 v[78:79], v78, v[8:9]
	s_delay_alu instid0(VALU_DEP_1)
	v_and_b32_e32 v8, 7, v78
; %bb.231:                              ;   in Loop: Header=BB428_10 Depth=1
	s_or_b32 exec_lo, exec_lo, s22
	v_lshlrev_b32_e32 v75, 24, v75
	s_delay_alu instid0(VALU_DEP_2) | instskip(SKIP_1) | instid1(VALU_DEP_3)
	v_lshlrev_b32_e32 v8, 20, v8
	v_lshl_add_u32 v77, v77, 23, 0x3c000000
	v_and_b32_e32 v75, 0x80000000, v75
	s_delay_alu instid0(VALU_DEP_1)
	v_or3_b32 v8, v8, v75, v77
.LBB428_232:                            ;   in Loop: Header=BB428_10 Depth=1
	s_or_b32 exec_lo, exec_lo, s21
.LBB428_233:                            ;   in Loop: Header=BB428_10 Depth=1
	s_delay_alu instid0(SALU_CYCLE_1)
	s_or_b32 exec_lo, exec_lo, s20
.LBB428_234:                            ;   in Loop: Header=BB428_10 Depth=1
	s_delay_alu instid0(SALU_CYCLE_1) | instskip(NEXT) | instid1(VALU_DEP_1)
	s_or_b32 exec_lo, exec_lo, s4
	v_mul_f32_e32 v8, v41, v8
	s_delay_alu instid0(VALU_DEP_1) | instskip(NEXT) | instid1(VALU_DEP_1)
	v_and_b32_e32 v75, 0x7f800000, v8
	v_cmp_ne_u32_e64 s3, 0x7f800000, v75
                                        ; implicit-def: $vgpr75
	s_delay_alu instid0(VALU_DEP_1) | instskip(NEXT) | instid1(SALU_CYCLE_1)
	s_and_saveexec_b32 s4, s3
	s_xor_b32 s3, exec_lo, s4
; %bb.235:                              ;   in Loop: Header=BB428_10 Depth=1
	v_bfe_u32 v75, v8, 16, 1
	s_delay_alu instid0(VALU_DEP_1)
	v_add3_u32 v75, v8, v75, 0x7fff
                                        ; implicit-def: $vgpr8
; %bb.236:                              ;   in Loop: Header=BB428_10 Depth=1
	s_and_not1_saveexec_b32 s4, s3
; %bb.237:                              ;   in Loop: Header=BB428_10 Depth=1
	v_and_b32_e32 v75, 0xffff, v8
	v_or_b32_e32 v77, 0x10000, v8
	s_delay_alu instid0(VALU_DEP_2) | instskip(NEXT) | instid1(VALU_DEP_1)
	v_cmp_eq_u32_e64 s3, 0, v75
	v_cndmask_b32_e64 v75, v77, v8, s3
; %bb.238:                              ;   in Loop: Header=BB428_10 Depth=1
	s_or_b32 exec_lo, exec_lo, s4
	v_mov_b32_e32 v8, 0
	s_mov_b32 s4, exec_lo
	v_cmpx_lt_u32_e32 0xffffff, v76
	s_cbranch_execz .LBB428_246
; %bb.239:                              ;   in Loop: Header=BB428_10 Depth=1
	v_lshrrev_b32_e32 v77, 24, v76
	v_bfrev_b32_e32 v8, 1
	s_mov_b32 s20, exec_lo
	s_delay_alu instid0(VALU_DEP_2)
	v_cmpx_ne_u32_e32 0x80, v77
	s_cbranch_execz .LBB428_245
; %bb.240:                              ;   in Loop: Header=BB428_10 Depth=1
	v_bfe_u32 v78, v76, 24, 7
	v_mov_b32_e32 v8, 0x7f800001
	s_mov_b32 s21, exec_lo
	s_delay_alu instid0(VALU_DEP_2)
	v_cmpx_ne_u32_e32 0x7f, v78
	s_cbranch_execz .LBB428_244
; %bb.241:                              ;   in Loop: Header=BB428_10 Depth=1
	v_and_b32_e32 v8, 7, v77
	v_lshrrev_b32_e32 v76, 3, v78
	s_mov_b32 s22, exec_lo
	v_cmpx_gt_u32_e32 8, v78
; %bb.242:                              ;   in Loop: Header=BB428_10 Depth=1
	s_delay_alu instid0(VALU_DEP_3) | instskip(NEXT) | instid1(VALU_DEP_1)
	v_clz_i32_u32_e32 v76, v8
	v_min_u32_e32 v76, 32, v76
	s_delay_alu instid0(VALU_DEP_1) | instskip(SKIP_1) | instid1(VALU_DEP_2)
	v_subrev_nc_u32_e32 v78, 28, v76
	v_sub_nc_u32_e32 v76, 29, v76
	v_lshlrev_b64 v[78:79], v78, v[8:9]
	s_delay_alu instid0(VALU_DEP_1)
	v_and_b32_e32 v8, 7, v78
; %bb.243:                              ;   in Loop: Header=BB428_10 Depth=1
	s_or_b32 exec_lo, exec_lo, s22
	v_lshlrev_b32_e32 v77, 24, v77
	s_delay_alu instid0(VALU_DEP_2) | instskip(SKIP_1) | instid1(VALU_DEP_3)
	v_lshlrev_b32_e32 v8, 20, v8
	v_lshl_add_u32 v76, v76, 23, 0x3c000000
	v_and_b32_e32 v77, 0x80000000, v77
	s_delay_alu instid0(VALU_DEP_1)
	v_or3_b32 v8, v8, v77, v76
.LBB428_244:                            ;   in Loop: Header=BB428_10 Depth=1
	s_or_b32 exec_lo, exec_lo, s21
.LBB428_245:                            ;   in Loop: Header=BB428_10 Depth=1
	s_delay_alu instid0(SALU_CYCLE_1)
	s_or_b32 exec_lo, exec_lo, s20
.LBB428_246:                            ;   in Loop: Header=BB428_10 Depth=1
	s_delay_alu instid0(SALU_CYCLE_1) | instskip(NEXT) | instid1(VALU_DEP_1)
	s_or_b32 exec_lo, exec_lo, s4
	v_mul_f32_e32 v8, v41, v8
	s_delay_alu instid0(VALU_DEP_1) | instskip(NEXT) | instid1(VALU_DEP_1)
	v_and_b32_e32 v76, 0x7f800000, v8
	v_cmp_ne_u32_e64 s3, 0x7f800000, v76
                                        ; implicit-def: $vgpr76
	s_delay_alu instid0(VALU_DEP_1) | instskip(NEXT) | instid1(SALU_CYCLE_1)
	s_and_saveexec_b32 s4, s3
	s_xor_b32 s3, exec_lo, s4
; %bb.247:                              ;   in Loop: Header=BB428_10 Depth=1
	v_bfe_u32 v76, v8, 16, 1
	s_delay_alu instid0(VALU_DEP_1)
	v_add3_u32 v76, v8, v76, 0x7fff
                                        ; implicit-def: $vgpr8
; %bb.248:                              ;   in Loop: Header=BB428_10 Depth=1
	s_and_not1_saveexec_b32 s4, s3
; %bb.249:                              ;   in Loop: Header=BB428_10 Depth=1
	v_and_b32_e32 v76, 0xffff, v8
	v_or_b32_e32 v77, 0x10000, v8
	s_delay_alu instid0(VALU_DEP_2) | instskip(NEXT) | instid1(VALU_DEP_1)
	v_cmp_eq_u32_e64 s3, 0, v76
	v_cndmask_b32_e64 v76, v77, v8, s3
; %bb.250:                              ;   in Loop: Header=BB428_10 Depth=1
	s_or_b32 exec_lo, exec_lo, s4
	flat_load_b32 v88, v[28:29] offset:520
	s_mov_b32 s4, exec_lo
	s_waitcnt vmcnt(0) lgkmcnt(0)
	v_dual_mov_b32 v8, 0 :: v_dual_and_b32 v77, 0xff, v88
	s_delay_alu instid0(VALU_DEP_1)
	v_cmpx_ne_u16_e32 0, v77
	s_cbranch_execz .LBB428_258
; %bb.251:                              ;   in Loop: Header=BB428_10 Depth=1
	v_bfrev_b32_e32 v8, 1
	s_mov_b32 s20, exec_lo
	v_cmpx_ne_u16_e32 0x80, v77
	s_cbranch_execz .LBB428_257
; %bb.252:                              ;   in Loop: Header=BB428_10 Depth=1
	v_and_b32_e32 v78, 0x7f, v88
	v_mov_b32_e32 v8, 0x7f800001
	s_mov_b32 s21, exec_lo
	s_delay_alu instid0(VALU_DEP_2)
	v_cmpx_ne_u32_e32 0x7f, v78
	s_cbranch_execz .LBB428_256
; %bb.253:                              ;   in Loop: Header=BB428_10 Depth=1
	v_and_b32_e32 v8, 7, v88
	v_lshrrev_b32_e32 v77, 3, v78
	s_mov_b32 s22, exec_lo
	v_cmpx_gt_u32_e32 8, v78
; %bb.254:                              ;   in Loop: Header=BB428_10 Depth=1
	s_delay_alu instid0(VALU_DEP_3) | instskip(NEXT) | instid1(VALU_DEP_1)
	v_clz_i32_u32_e32 v77, v8
	v_min_u32_e32 v77, 32, v77
	s_delay_alu instid0(VALU_DEP_1) | instskip(SKIP_1) | instid1(VALU_DEP_2)
	v_subrev_nc_u32_e32 v78, 28, v77
	v_sub_nc_u32_e32 v77, 29, v77
	v_lshlrev_b64 v[78:79], v78, v[8:9]
	s_delay_alu instid0(VALU_DEP_1)
	v_and_b32_e32 v8, 7, v78
; %bb.255:                              ;   in Loop: Header=BB428_10 Depth=1
	s_or_b32 exec_lo, exec_lo, s22
	v_lshlrev_b32_e32 v78, 24, v88
	s_delay_alu instid0(VALU_DEP_2) | instskip(SKIP_1) | instid1(VALU_DEP_3)
	v_lshlrev_b32_e32 v8, 20, v8
	v_lshl_add_u32 v77, v77, 23, 0x3c000000
	v_and_b32_e32 v78, 0x80000000, v78
	s_delay_alu instid0(VALU_DEP_1)
	v_or3_b32 v8, v8, v78, v77
.LBB428_256:                            ;   in Loop: Header=BB428_10 Depth=1
	s_or_b32 exec_lo, exec_lo, s21
.LBB428_257:                            ;   in Loop: Header=BB428_10 Depth=1
	s_delay_alu instid0(SALU_CYCLE_1)
	s_or_b32 exec_lo, exec_lo, s20
.LBB428_258:                            ;   in Loop: Header=BB428_10 Depth=1
	s_delay_alu instid0(SALU_CYCLE_1) | instskip(NEXT) | instid1(VALU_DEP_1)
	s_or_b32 exec_lo, exec_lo, s4
	v_mul_f32_e32 v8, v41, v8
	s_delay_alu instid0(VALU_DEP_1) | instskip(NEXT) | instid1(VALU_DEP_1)
	v_and_b32_e32 v77, 0x7f800000, v8
	v_cmp_ne_u32_e64 s3, 0x7f800000, v77
                                        ; implicit-def: $vgpr77
	s_delay_alu instid0(VALU_DEP_1) | instskip(NEXT) | instid1(SALU_CYCLE_1)
	s_and_saveexec_b32 s4, s3
	s_xor_b32 s3, exec_lo, s4
; %bb.259:                              ;   in Loop: Header=BB428_10 Depth=1
	v_bfe_u32 v77, v8, 16, 1
	s_delay_alu instid0(VALU_DEP_1)
	v_add3_u32 v77, v8, v77, 0x7fff
                                        ; implicit-def: $vgpr8
; %bb.260:                              ;   in Loop: Header=BB428_10 Depth=1
	s_and_not1_saveexec_b32 s4, s3
; %bb.261:                              ;   in Loop: Header=BB428_10 Depth=1
	v_and_b32_e32 v77, 0xffff, v8
	v_or_b32_e32 v78, 0x10000, v8
	s_delay_alu instid0(VALU_DEP_2) | instskip(NEXT) | instid1(VALU_DEP_1)
	v_cmp_eq_u32_e64 s3, 0, v77
	v_cndmask_b32_e64 v77, v78, v8, s3
; %bb.262:                              ;   in Loop: Header=BB428_10 Depth=1
	s_or_b32 exec_lo, exec_lo, s4
	v_lshrrev_b16 v78, 8, v88
	v_mov_b32_e32 v8, 0
	s_mov_b32 s4, exec_lo
	s_delay_alu instid0(VALU_DEP_2)
	v_cmpx_ne_u16_e32 0, v78
	s_cbranch_execz .LBB428_270
; %bb.263:                              ;   in Loop: Header=BB428_10 Depth=1
	v_bfrev_b32_e32 v8, 1
	s_mov_b32 s20, exec_lo
	v_cmpx_ne_u16_e32 0x80, v78
	s_cbranch_execz .LBB428_269
; %bb.264:                              ;   in Loop: Header=BB428_10 Depth=1
	v_and_b32_e32 v78, 0xffff, v78
	v_mov_b32_e32 v8, 0x7f800001
	s_mov_b32 s21, exec_lo
	s_delay_alu instid0(VALU_DEP_2) | instskip(NEXT) | instid1(VALU_DEP_1)
	v_and_b32_e32 v79, 0x7f, v78
	v_cmpx_ne_u32_e32 0x7f, v79
	s_cbranch_execz .LBB428_268
; %bb.265:                              ;   in Loop: Header=BB428_10 Depth=1
	v_and_b32_e32 v8, 7, v78
	v_lshrrev_b32_e32 v78, 3, v79
	s_mov_b32 s22, exec_lo
	v_cmpx_gt_u32_e32 8, v79
; %bb.266:                              ;   in Loop: Header=BB428_10 Depth=1
	s_delay_alu instid0(VALU_DEP_3) | instskip(NEXT) | instid1(VALU_DEP_1)
	v_clz_i32_u32_e32 v78, v8
	v_min_u32_e32 v78, 32, v78
	s_delay_alu instid0(VALU_DEP_1) | instskip(SKIP_1) | instid1(VALU_DEP_2)
	v_subrev_nc_u32_e32 v79, 28, v78
	v_sub_nc_u32_e32 v78, 29, v78
	v_lshlrev_b64 v[89:90], v79, v[8:9]
	s_delay_alu instid0(VALU_DEP_1)
	v_and_b32_e32 v8, 7, v89
; %bb.267:                              ;   in Loop: Header=BB428_10 Depth=1
	s_or_b32 exec_lo, exec_lo, s22
	v_lshlrev_b32_e32 v79, 16, v88
	s_delay_alu instid0(VALU_DEP_2) | instskip(SKIP_1) | instid1(VALU_DEP_3)
	v_lshlrev_b32_e32 v8, 20, v8
	v_lshl_add_u32 v78, v78, 23, 0x3c000000
	v_and_b32_e32 v79, 0x80000000, v79
	s_delay_alu instid0(VALU_DEP_1)
	v_or3_b32 v8, v8, v79, v78
.LBB428_268:                            ;   in Loop: Header=BB428_10 Depth=1
	s_or_b32 exec_lo, exec_lo, s21
.LBB428_269:                            ;   in Loop: Header=BB428_10 Depth=1
	s_delay_alu instid0(SALU_CYCLE_1)
	s_or_b32 exec_lo, exec_lo, s20
.LBB428_270:                            ;   in Loop: Header=BB428_10 Depth=1
	s_delay_alu instid0(SALU_CYCLE_1) | instskip(NEXT) | instid1(VALU_DEP_1)
	s_or_b32 exec_lo, exec_lo, s4
	v_mul_f32_e32 v8, v41, v8
	s_delay_alu instid0(VALU_DEP_1) | instskip(NEXT) | instid1(VALU_DEP_1)
	v_and_b32_e32 v78, 0x7f800000, v8
	v_cmp_ne_u32_e64 s3, 0x7f800000, v78
                                        ; implicit-def: $vgpr78
	s_delay_alu instid0(VALU_DEP_1) | instskip(NEXT) | instid1(SALU_CYCLE_1)
	s_and_saveexec_b32 s4, s3
	s_xor_b32 s3, exec_lo, s4
; %bb.271:                              ;   in Loop: Header=BB428_10 Depth=1
	v_bfe_u32 v78, v8, 16, 1
	s_delay_alu instid0(VALU_DEP_1)
	v_add3_u32 v78, v8, v78, 0x7fff
                                        ; implicit-def: $vgpr8
; %bb.272:                              ;   in Loop: Header=BB428_10 Depth=1
	s_and_not1_saveexec_b32 s4, s3
; %bb.273:                              ;   in Loop: Header=BB428_10 Depth=1
	v_and_b32_e32 v78, 0xffff, v8
	v_or_b32_e32 v79, 0x10000, v8
	s_delay_alu instid0(VALU_DEP_2) | instskip(NEXT) | instid1(VALU_DEP_1)
	v_cmp_eq_u32_e64 s3, 0, v78
	v_cndmask_b32_e64 v78, v79, v8, s3
; %bb.274:                              ;   in Loop: Header=BB428_10 Depth=1
	s_or_b32 exec_lo, exec_lo, s4
	v_lshrrev_b32_e32 v79, 16, v88
	s_mov_b32 s4, exec_lo
	s_delay_alu instid0(VALU_DEP_1) | instskip(NEXT) | instid1(VALU_DEP_1)
	v_dual_mov_b32 v8, 0 :: v_dual_and_b32 v89, 0xff, v79
	v_cmpx_ne_u16_e32 0, v89
	s_cbranch_execz .LBB428_282
; %bb.275:                              ;   in Loop: Header=BB428_10 Depth=1
	v_bfrev_b32_e32 v8, 1
	s_mov_b32 s20, exec_lo
	v_cmpx_ne_u16_e32 0x80, v89
	s_cbranch_execz .LBB428_281
; %bb.276:                              ;   in Loop: Header=BB428_10 Depth=1
	v_bfe_u32 v90, v88, 16, 7
	v_mov_b32_e32 v8, 0x7f800001
	s_mov_b32 s21, exec_lo
	s_delay_alu instid0(VALU_DEP_2)
	v_cmpx_ne_u32_e32 0x7f, v90
	s_cbranch_execz .LBB428_280
; %bb.277:                              ;   in Loop: Header=BB428_10 Depth=1
	v_and_b32_e32 v8, 7, v79
	v_lshrrev_b32_e32 v89, 3, v90
	s_mov_b32 s22, exec_lo
	v_cmpx_gt_u32_e32 8, v90
; %bb.278:                              ;   in Loop: Header=BB428_10 Depth=1
	s_delay_alu instid0(VALU_DEP_3) | instskip(NEXT) | instid1(VALU_DEP_1)
	v_clz_i32_u32_e32 v89, v8
	v_min_u32_e32 v89, 32, v89
	s_delay_alu instid0(VALU_DEP_1) | instskip(SKIP_1) | instid1(VALU_DEP_2)
	v_subrev_nc_u32_e32 v90, 28, v89
	v_sub_nc_u32_e32 v89, 29, v89
	v_lshlrev_b64 v[90:91], v90, v[8:9]
	s_delay_alu instid0(VALU_DEP_1)
	v_and_b32_e32 v8, 7, v90
; %bb.279:                              ;   in Loop: Header=BB428_10 Depth=1
	s_or_b32 exec_lo, exec_lo, s22
	v_lshlrev_b32_e32 v79, 24, v79
	s_delay_alu instid0(VALU_DEP_2) | instskip(SKIP_1) | instid1(VALU_DEP_3)
	v_lshlrev_b32_e32 v8, 20, v8
	v_lshl_add_u32 v89, v89, 23, 0x3c000000
	v_and_b32_e32 v79, 0x80000000, v79
	s_delay_alu instid0(VALU_DEP_1)
	v_or3_b32 v8, v8, v79, v89
.LBB428_280:                            ;   in Loop: Header=BB428_10 Depth=1
	s_or_b32 exec_lo, exec_lo, s21
.LBB428_281:                            ;   in Loop: Header=BB428_10 Depth=1
	s_delay_alu instid0(SALU_CYCLE_1)
	s_or_b32 exec_lo, exec_lo, s20
.LBB428_282:                            ;   in Loop: Header=BB428_10 Depth=1
	s_delay_alu instid0(SALU_CYCLE_1) | instskip(NEXT) | instid1(VALU_DEP_1)
	s_or_b32 exec_lo, exec_lo, s4
	v_mul_f32_e32 v8, v41, v8
	s_delay_alu instid0(VALU_DEP_1) | instskip(NEXT) | instid1(VALU_DEP_1)
	v_and_b32_e32 v79, 0x7f800000, v8
	v_cmp_ne_u32_e64 s3, 0x7f800000, v79
                                        ; implicit-def: $vgpr79
	s_delay_alu instid0(VALU_DEP_1) | instskip(NEXT) | instid1(SALU_CYCLE_1)
	s_and_saveexec_b32 s4, s3
	s_xor_b32 s3, exec_lo, s4
; %bb.283:                              ;   in Loop: Header=BB428_10 Depth=1
	v_bfe_u32 v79, v8, 16, 1
	s_delay_alu instid0(VALU_DEP_1)
	v_add3_u32 v79, v8, v79, 0x7fff
                                        ; implicit-def: $vgpr8
; %bb.284:                              ;   in Loop: Header=BB428_10 Depth=1
	s_and_not1_saveexec_b32 s4, s3
; %bb.285:                              ;   in Loop: Header=BB428_10 Depth=1
	v_and_b32_e32 v79, 0xffff, v8
	v_or_b32_e32 v89, 0x10000, v8
	s_delay_alu instid0(VALU_DEP_2) | instskip(NEXT) | instid1(VALU_DEP_1)
	v_cmp_eq_u32_e64 s3, 0, v79
	v_cndmask_b32_e64 v79, v89, v8, s3
; %bb.286:                              ;   in Loop: Header=BB428_10 Depth=1
	s_or_b32 exec_lo, exec_lo, s4
	v_mov_b32_e32 v8, 0
	s_mov_b32 s4, exec_lo
	v_cmpx_lt_u32_e32 0xffffff, v88
	s_cbranch_execz .LBB428_294
; %bb.287:                              ;   in Loop: Header=BB428_10 Depth=1
	v_lshrrev_b32_e32 v89, 24, v88
	v_bfrev_b32_e32 v8, 1
	s_mov_b32 s20, exec_lo
	s_delay_alu instid0(VALU_DEP_2)
	v_cmpx_ne_u32_e32 0x80, v89
	s_cbranch_execz .LBB428_293
; %bb.288:                              ;   in Loop: Header=BB428_10 Depth=1
	v_bfe_u32 v90, v88, 24, 7
	v_mov_b32_e32 v8, 0x7f800001
	s_mov_b32 s21, exec_lo
	s_delay_alu instid0(VALU_DEP_2)
	v_cmpx_ne_u32_e32 0x7f, v90
	s_cbranch_execz .LBB428_292
; %bb.289:                              ;   in Loop: Header=BB428_10 Depth=1
	v_and_b32_e32 v8, 7, v89
	v_lshrrev_b32_e32 v88, 3, v90
	s_mov_b32 s22, exec_lo
	v_cmpx_gt_u32_e32 8, v90
; %bb.290:                              ;   in Loop: Header=BB428_10 Depth=1
	s_delay_alu instid0(VALU_DEP_3) | instskip(NEXT) | instid1(VALU_DEP_1)
	v_clz_i32_u32_e32 v88, v8
	v_min_u32_e32 v88, 32, v88
	s_delay_alu instid0(VALU_DEP_1) | instskip(SKIP_1) | instid1(VALU_DEP_2)
	v_subrev_nc_u32_e32 v90, 28, v88
	v_sub_nc_u32_e32 v88, 29, v88
	v_lshlrev_b64 v[90:91], v90, v[8:9]
	s_delay_alu instid0(VALU_DEP_1)
	v_and_b32_e32 v8, 7, v90
; %bb.291:                              ;   in Loop: Header=BB428_10 Depth=1
	s_or_b32 exec_lo, exec_lo, s22
	v_lshlrev_b32_e32 v89, 24, v89
	s_delay_alu instid0(VALU_DEP_2) | instskip(SKIP_1) | instid1(VALU_DEP_3)
	v_lshlrev_b32_e32 v8, 20, v8
	v_lshl_add_u32 v88, v88, 23, 0x3c000000
	v_and_b32_e32 v89, 0x80000000, v89
	s_delay_alu instid0(VALU_DEP_1)
	v_or3_b32 v8, v8, v89, v88
.LBB428_292:                            ;   in Loop: Header=BB428_10 Depth=1
	s_or_b32 exec_lo, exec_lo, s21
.LBB428_293:                            ;   in Loop: Header=BB428_10 Depth=1
	s_delay_alu instid0(SALU_CYCLE_1)
	s_or_b32 exec_lo, exec_lo, s20
.LBB428_294:                            ;   in Loop: Header=BB428_10 Depth=1
	s_delay_alu instid0(SALU_CYCLE_1) | instskip(NEXT) | instid1(VALU_DEP_1)
	s_or_b32 exec_lo, exec_lo, s4
	v_mul_f32_e32 v8, v41, v8
	s_delay_alu instid0(VALU_DEP_1) | instskip(NEXT) | instid1(VALU_DEP_1)
	v_and_b32_e32 v88, 0x7f800000, v8
	v_cmp_ne_u32_e64 s3, 0x7f800000, v88
                                        ; implicit-def: $vgpr88
	s_delay_alu instid0(VALU_DEP_1) | instskip(NEXT) | instid1(SALU_CYCLE_1)
	s_and_saveexec_b32 s4, s3
	s_xor_b32 s3, exec_lo, s4
; %bb.295:                              ;   in Loop: Header=BB428_10 Depth=1
	v_bfe_u32 v88, v8, 16, 1
	s_delay_alu instid0(VALU_DEP_1)
	v_add3_u32 v88, v8, v88, 0x7fff
                                        ; implicit-def: $vgpr8
; %bb.296:                              ;   in Loop: Header=BB428_10 Depth=1
	s_and_not1_saveexec_b32 s4, s3
; %bb.297:                              ;   in Loop: Header=BB428_10 Depth=1
	v_and_b32_e32 v88, 0xffff, v8
	v_or_b32_e32 v89, 0x10000, v8
	s_delay_alu instid0(VALU_DEP_2) | instskip(NEXT) | instid1(VALU_DEP_1)
	v_cmp_eq_u32_e64 s3, 0, v88
	v_cndmask_b32_e64 v88, v89, v8, s3
; %bb.298:                              ;   in Loop: Header=BB428_10 Depth=1
	s_or_b32 exec_lo, exec_lo, s4
	flat_load_b32 v92, v[28:29] offset:768
	s_mov_b32 s4, exec_lo
	s_waitcnt vmcnt(0) lgkmcnt(0)
	v_dual_mov_b32 v8, 0 :: v_dual_and_b32 v89, 0xff, v92
	s_delay_alu instid0(VALU_DEP_1)
	v_cmpx_ne_u16_e32 0, v89
	s_cbranch_execz .LBB428_306
; %bb.299:                              ;   in Loop: Header=BB428_10 Depth=1
	v_bfrev_b32_e32 v8, 1
	s_mov_b32 s20, exec_lo
	v_cmpx_ne_u16_e32 0x80, v89
	s_cbranch_execz .LBB428_305
; %bb.300:                              ;   in Loop: Header=BB428_10 Depth=1
	v_and_b32_e32 v90, 0x7f, v92
	v_mov_b32_e32 v8, 0x7f800001
	s_mov_b32 s21, exec_lo
	s_delay_alu instid0(VALU_DEP_2)
	v_cmpx_ne_u32_e32 0x7f, v90
	s_cbranch_execz .LBB428_304
; %bb.301:                              ;   in Loop: Header=BB428_10 Depth=1
	v_and_b32_e32 v8, 7, v92
	v_lshrrev_b32_e32 v89, 3, v90
	s_mov_b32 s22, exec_lo
	v_cmpx_gt_u32_e32 8, v90
; %bb.302:                              ;   in Loop: Header=BB428_10 Depth=1
	s_delay_alu instid0(VALU_DEP_3) | instskip(NEXT) | instid1(VALU_DEP_1)
	v_clz_i32_u32_e32 v89, v8
	v_min_u32_e32 v89, 32, v89
	s_delay_alu instid0(VALU_DEP_1) | instskip(SKIP_1) | instid1(VALU_DEP_2)
	v_subrev_nc_u32_e32 v90, 28, v89
	v_sub_nc_u32_e32 v89, 29, v89
	v_lshlrev_b64 v[90:91], v90, v[8:9]
	s_delay_alu instid0(VALU_DEP_1)
	v_and_b32_e32 v8, 7, v90
; %bb.303:                              ;   in Loop: Header=BB428_10 Depth=1
	s_or_b32 exec_lo, exec_lo, s22
	v_lshlrev_b32_e32 v90, 24, v92
	s_delay_alu instid0(VALU_DEP_2) | instskip(SKIP_1) | instid1(VALU_DEP_3)
	v_lshlrev_b32_e32 v8, 20, v8
	v_lshl_add_u32 v89, v89, 23, 0x3c000000
	v_and_b32_e32 v90, 0x80000000, v90
	s_delay_alu instid0(VALU_DEP_1)
	v_or3_b32 v8, v8, v90, v89
.LBB428_304:                            ;   in Loop: Header=BB428_10 Depth=1
	s_or_b32 exec_lo, exec_lo, s21
.LBB428_305:                            ;   in Loop: Header=BB428_10 Depth=1
	s_delay_alu instid0(SALU_CYCLE_1)
	s_or_b32 exec_lo, exec_lo, s20
.LBB428_306:                            ;   in Loop: Header=BB428_10 Depth=1
	s_delay_alu instid0(SALU_CYCLE_1) | instskip(NEXT) | instid1(VALU_DEP_1)
	s_or_b32 exec_lo, exec_lo, s4
	v_mul_f32_e32 v8, v41, v8
	s_delay_alu instid0(VALU_DEP_1) | instskip(NEXT) | instid1(VALU_DEP_1)
	v_and_b32_e32 v89, 0x7f800000, v8
	v_cmp_ne_u32_e64 s3, 0x7f800000, v89
                                        ; implicit-def: $vgpr89
	s_delay_alu instid0(VALU_DEP_1) | instskip(NEXT) | instid1(SALU_CYCLE_1)
	s_and_saveexec_b32 s4, s3
	s_xor_b32 s3, exec_lo, s4
; %bb.307:                              ;   in Loop: Header=BB428_10 Depth=1
	v_bfe_u32 v89, v8, 16, 1
	s_delay_alu instid0(VALU_DEP_1)
	v_add3_u32 v89, v8, v89, 0x7fff
                                        ; implicit-def: $vgpr8
; %bb.308:                              ;   in Loop: Header=BB428_10 Depth=1
	s_and_not1_saveexec_b32 s4, s3
; %bb.309:                              ;   in Loop: Header=BB428_10 Depth=1
	v_and_b32_e32 v89, 0xffff, v8
	v_or_b32_e32 v90, 0x10000, v8
	s_delay_alu instid0(VALU_DEP_2) | instskip(NEXT) | instid1(VALU_DEP_1)
	v_cmp_eq_u32_e64 s3, 0, v89
	v_cndmask_b32_e64 v89, v90, v8, s3
; %bb.310:                              ;   in Loop: Header=BB428_10 Depth=1
	s_or_b32 exec_lo, exec_lo, s4
	v_lshrrev_b16 v90, 8, v92
	v_mov_b32_e32 v8, 0
	s_mov_b32 s4, exec_lo
	s_delay_alu instid0(VALU_DEP_2)
	v_cmpx_ne_u16_e32 0, v90
	s_cbranch_execz .LBB428_318
; %bb.311:                              ;   in Loop: Header=BB428_10 Depth=1
	v_bfrev_b32_e32 v8, 1
	s_mov_b32 s20, exec_lo
	v_cmpx_ne_u16_e32 0x80, v90
	s_cbranch_execz .LBB428_317
; %bb.312:                              ;   in Loop: Header=BB428_10 Depth=1
	v_and_b32_e32 v90, 0xffff, v90
	v_mov_b32_e32 v8, 0x7f800001
	s_mov_b32 s21, exec_lo
	s_delay_alu instid0(VALU_DEP_2) | instskip(NEXT) | instid1(VALU_DEP_1)
	v_and_b32_e32 v91, 0x7f, v90
	v_cmpx_ne_u32_e32 0x7f, v91
	s_cbranch_execz .LBB428_316
; %bb.313:                              ;   in Loop: Header=BB428_10 Depth=1
	v_and_b32_e32 v8, 7, v90
	v_lshrrev_b32_e32 v90, 3, v91
	s_mov_b32 s22, exec_lo
	v_cmpx_gt_u32_e32 8, v91
; %bb.314:                              ;   in Loop: Header=BB428_10 Depth=1
	s_delay_alu instid0(VALU_DEP_3) | instskip(NEXT) | instid1(VALU_DEP_1)
	v_clz_i32_u32_e32 v90, v8
	v_min_u32_e32 v90, 32, v90
	s_delay_alu instid0(VALU_DEP_1) | instskip(SKIP_1) | instid1(VALU_DEP_2)
	v_subrev_nc_u32_e32 v91, 28, v90
	v_sub_nc_u32_e32 v90, 29, v90
	v_lshlrev_b64 v[93:94], v91, v[8:9]
	s_delay_alu instid0(VALU_DEP_1)
	v_and_b32_e32 v8, 7, v93
; %bb.315:                              ;   in Loop: Header=BB428_10 Depth=1
	s_or_b32 exec_lo, exec_lo, s22
	v_lshlrev_b32_e32 v91, 16, v92
	s_delay_alu instid0(VALU_DEP_2) | instskip(SKIP_1) | instid1(VALU_DEP_3)
	v_lshlrev_b32_e32 v8, 20, v8
	v_lshl_add_u32 v90, v90, 23, 0x3c000000
	v_and_b32_e32 v91, 0x80000000, v91
	s_delay_alu instid0(VALU_DEP_1)
	v_or3_b32 v8, v8, v91, v90
.LBB428_316:                            ;   in Loop: Header=BB428_10 Depth=1
	s_or_b32 exec_lo, exec_lo, s21
.LBB428_317:                            ;   in Loop: Header=BB428_10 Depth=1
	s_delay_alu instid0(SALU_CYCLE_1)
	s_or_b32 exec_lo, exec_lo, s20
.LBB428_318:                            ;   in Loop: Header=BB428_10 Depth=1
	s_delay_alu instid0(SALU_CYCLE_1) | instskip(NEXT) | instid1(VALU_DEP_1)
	s_or_b32 exec_lo, exec_lo, s4
	v_mul_f32_e32 v8, v41, v8
	s_delay_alu instid0(VALU_DEP_1) | instskip(NEXT) | instid1(VALU_DEP_1)
	v_and_b32_e32 v90, 0x7f800000, v8
	v_cmp_ne_u32_e64 s3, 0x7f800000, v90
                                        ; implicit-def: $vgpr90
	s_delay_alu instid0(VALU_DEP_1) | instskip(NEXT) | instid1(SALU_CYCLE_1)
	s_and_saveexec_b32 s4, s3
	s_xor_b32 s3, exec_lo, s4
; %bb.319:                              ;   in Loop: Header=BB428_10 Depth=1
	v_bfe_u32 v90, v8, 16, 1
	s_delay_alu instid0(VALU_DEP_1)
	v_add3_u32 v90, v8, v90, 0x7fff
                                        ; implicit-def: $vgpr8
; %bb.320:                              ;   in Loop: Header=BB428_10 Depth=1
	s_and_not1_saveexec_b32 s4, s3
; %bb.321:                              ;   in Loop: Header=BB428_10 Depth=1
	v_and_b32_e32 v90, 0xffff, v8
	v_or_b32_e32 v91, 0x10000, v8
	s_delay_alu instid0(VALU_DEP_2) | instskip(NEXT) | instid1(VALU_DEP_1)
	v_cmp_eq_u32_e64 s3, 0, v90
	v_cndmask_b32_e64 v90, v91, v8, s3
; %bb.322:                              ;   in Loop: Header=BB428_10 Depth=1
	s_or_b32 exec_lo, exec_lo, s4
	v_lshrrev_b32_e32 v91, 16, v92
	s_mov_b32 s4, exec_lo
	s_delay_alu instid0(VALU_DEP_1) | instskip(NEXT) | instid1(VALU_DEP_1)
	v_dual_mov_b32 v8, 0 :: v_dual_and_b32 v93, 0xff, v91
	v_cmpx_ne_u16_e32 0, v93
	s_cbranch_execz .LBB428_330
; %bb.323:                              ;   in Loop: Header=BB428_10 Depth=1
	v_bfrev_b32_e32 v8, 1
	s_mov_b32 s20, exec_lo
	v_cmpx_ne_u16_e32 0x80, v93
	s_cbranch_execz .LBB428_329
; %bb.324:                              ;   in Loop: Header=BB428_10 Depth=1
	v_bfe_u32 v94, v92, 16, 7
	v_mov_b32_e32 v8, 0x7f800001
	s_mov_b32 s21, exec_lo
	s_delay_alu instid0(VALU_DEP_2)
	v_cmpx_ne_u32_e32 0x7f, v94
	s_cbranch_execz .LBB428_328
; %bb.325:                              ;   in Loop: Header=BB428_10 Depth=1
	v_and_b32_e32 v8, 7, v91
	v_lshrrev_b32_e32 v93, 3, v94
	s_mov_b32 s22, exec_lo
	v_cmpx_gt_u32_e32 8, v94
; %bb.326:                              ;   in Loop: Header=BB428_10 Depth=1
	s_delay_alu instid0(VALU_DEP_3) | instskip(NEXT) | instid1(VALU_DEP_1)
	v_clz_i32_u32_e32 v93, v8
	v_min_u32_e32 v93, 32, v93
	s_delay_alu instid0(VALU_DEP_1) | instskip(SKIP_1) | instid1(VALU_DEP_2)
	v_subrev_nc_u32_e32 v94, 28, v93
	v_sub_nc_u32_e32 v93, 29, v93
	v_lshlrev_b64 v[94:95], v94, v[8:9]
	s_delay_alu instid0(VALU_DEP_1)
	v_and_b32_e32 v8, 7, v94
; %bb.327:                              ;   in Loop: Header=BB428_10 Depth=1
	s_or_b32 exec_lo, exec_lo, s22
	v_lshlrev_b32_e32 v91, 24, v91
	s_delay_alu instid0(VALU_DEP_2) | instskip(SKIP_1) | instid1(VALU_DEP_3)
	v_lshlrev_b32_e32 v8, 20, v8
	v_lshl_add_u32 v93, v93, 23, 0x3c000000
	v_and_b32_e32 v91, 0x80000000, v91
	s_delay_alu instid0(VALU_DEP_1)
	v_or3_b32 v8, v8, v91, v93
.LBB428_328:                            ;   in Loop: Header=BB428_10 Depth=1
	s_or_b32 exec_lo, exec_lo, s21
.LBB428_329:                            ;   in Loop: Header=BB428_10 Depth=1
	s_delay_alu instid0(SALU_CYCLE_1)
	s_or_b32 exec_lo, exec_lo, s20
.LBB428_330:                            ;   in Loop: Header=BB428_10 Depth=1
	s_delay_alu instid0(SALU_CYCLE_1) | instskip(NEXT) | instid1(VALU_DEP_1)
	s_or_b32 exec_lo, exec_lo, s4
	v_mul_f32_e32 v8, v41, v8
	s_delay_alu instid0(VALU_DEP_1) | instskip(NEXT) | instid1(VALU_DEP_1)
	v_and_b32_e32 v91, 0x7f800000, v8
	v_cmp_ne_u32_e64 s3, 0x7f800000, v91
                                        ; implicit-def: $vgpr91
	s_delay_alu instid0(VALU_DEP_1) | instskip(NEXT) | instid1(SALU_CYCLE_1)
	s_and_saveexec_b32 s4, s3
	s_xor_b32 s3, exec_lo, s4
; %bb.331:                              ;   in Loop: Header=BB428_10 Depth=1
	v_bfe_u32 v91, v8, 16, 1
	s_delay_alu instid0(VALU_DEP_1)
	v_add3_u32 v91, v8, v91, 0x7fff
                                        ; implicit-def: $vgpr8
; %bb.332:                              ;   in Loop: Header=BB428_10 Depth=1
	s_and_not1_saveexec_b32 s4, s3
; %bb.333:                              ;   in Loop: Header=BB428_10 Depth=1
	v_and_b32_e32 v91, 0xffff, v8
	v_or_b32_e32 v93, 0x10000, v8
	s_delay_alu instid0(VALU_DEP_2) | instskip(NEXT) | instid1(VALU_DEP_1)
	v_cmp_eq_u32_e64 s3, 0, v91
	v_cndmask_b32_e64 v91, v93, v8, s3
; %bb.334:                              ;   in Loop: Header=BB428_10 Depth=1
	s_or_b32 exec_lo, exec_lo, s4
	v_mov_b32_e32 v8, 0
	s_mov_b32 s4, exec_lo
	v_cmpx_lt_u32_e32 0xffffff, v92
	s_cbranch_execz .LBB428_342
; %bb.335:                              ;   in Loop: Header=BB428_10 Depth=1
	v_lshrrev_b32_e32 v93, 24, v92
	v_bfrev_b32_e32 v8, 1
	s_mov_b32 s20, exec_lo
	s_delay_alu instid0(VALU_DEP_2)
	v_cmpx_ne_u32_e32 0x80, v93
	s_cbranch_execz .LBB428_341
; %bb.336:                              ;   in Loop: Header=BB428_10 Depth=1
	v_bfe_u32 v94, v92, 24, 7
	v_mov_b32_e32 v8, 0x7f800001
	s_mov_b32 s21, exec_lo
	s_delay_alu instid0(VALU_DEP_2)
	v_cmpx_ne_u32_e32 0x7f, v94
	s_cbranch_execz .LBB428_340
; %bb.337:                              ;   in Loop: Header=BB428_10 Depth=1
	v_and_b32_e32 v8, 7, v93
	v_lshrrev_b32_e32 v92, 3, v94
	s_mov_b32 s22, exec_lo
	v_cmpx_gt_u32_e32 8, v94
; %bb.338:                              ;   in Loop: Header=BB428_10 Depth=1
	s_delay_alu instid0(VALU_DEP_3) | instskip(NEXT) | instid1(VALU_DEP_1)
	v_clz_i32_u32_e32 v92, v8
	v_min_u32_e32 v92, 32, v92
	s_delay_alu instid0(VALU_DEP_1) | instskip(SKIP_1) | instid1(VALU_DEP_2)
	v_subrev_nc_u32_e32 v94, 28, v92
	v_sub_nc_u32_e32 v92, 29, v92
	v_lshlrev_b64 v[94:95], v94, v[8:9]
	s_delay_alu instid0(VALU_DEP_1)
	v_and_b32_e32 v8, 7, v94
; %bb.339:                              ;   in Loop: Header=BB428_10 Depth=1
	s_or_b32 exec_lo, exec_lo, s22
	v_lshlrev_b32_e32 v93, 24, v93
	s_delay_alu instid0(VALU_DEP_2) | instskip(SKIP_1) | instid1(VALU_DEP_3)
	v_lshlrev_b32_e32 v8, 20, v8
	v_lshl_add_u32 v92, v92, 23, 0x3c000000
	v_and_b32_e32 v93, 0x80000000, v93
	s_delay_alu instid0(VALU_DEP_1)
	v_or3_b32 v8, v8, v93, v92
.LBB428_340:                            ;   in Loop: Header=BB428_10 Depth=1
	s_or_b32 exec_lo, exec_lo, s21
.LBB428_341:                            ;   in Loop: Header=BB428_10 Depth=1
	s_delay_alu instid0(SALU_CYCLE_1)
	s_or_b32 exec_lo, exec_lo, s20
.LBB428_342:                            ;   in Loop: Header=BB428_10 Depth=1
	s_delay_alu instid0(SALU_CYCLE_1) | instskip(NEXT) | instid1(VALU_DEP_1)
	s_or_b32 exec_lo, exec_lo, s4
	v_mul_f32_e32 v8, v41, v8
	s_delay_alu instid0(VALU_DEP_1) | instskip(NEXT) | instid1(VALU_DEP_1)
	v_and_b32_e32 v92, 0x7f800000, v8
	v_cmp_ne_u32_e64 s3, 0x7f800000, v92
                                        ; implicit-def: $vgpr92
	s_delay_alu instid0(VALU_DEP_1) | instskip(NEXT) | instid1(SALU_CYCLE_1)
	s_and_saveexec_b32 s4, s3
	s_xor_b32 s3, exec_lo, s4
; %bb.343:                              ;   in Loop: Header=BB428_10 Depth=1
	v_bfe_u32 v92, v8, 16, 1
	s_delay_alu instid0(VALU_DEP_1)
	v_add3_u32 v92, v8, v92, 0x7fff
                                        ; implicit-def: $vgpr8
; %bb.344:                              ;   in Loop: Header=BB428_10 Depth=1
	s_and_not1_saveexec_b32 s4, s3
; %bb.345:                              ;   in Loop: Header=BB428_10 Depth=1
	v_and_b32_e32 v92, 0xffff, v8
	v_or_b32_e32 v93, 0x10000, v8
	s_delay_alu instid0(VALU_DEP_2) | instskip(NEXT) | instid1(VALU_DEP_1)
	v_cmp_eq_u32_e64 s3, 0, v92
	v_cndmask_b32_e64 v92, v93, v8, s3
; %bb.346:                              ;   in Loop: Header=BB428_10 Depth=1
	s_or_b32 exec_lo, exec_lo, s4
	flat_load_b32 v104, v[28:29] offset:776
	s_mov_b32 s4, exec_lo
	s_waitcnt vmcnt(0) lgkmcnt(0)
	v_dual_mov_b32 v8, 0 :: v_dual_and_b32 v93, 0xff, v104
	s_delay_alu instid0(VALU_DEP_1)
	v_cmpx_ne_u16_e32 0, v93
	s_cbranch_execz .LBB428_354
; %bb.347:                              ;   in Loop: Header=BB428_10 Depth=1
	v_bfrev_b32_e32 v8, 1
	s_mov_b32 s20, exec_lo
	v_cmpx_ne_u16_e32 0x80, v93
	s_cbranch_execz .LBB428_353
; %bb.348:                              ;   in Loop: Header=BB428_10 Depth=1
	v_and_b32_e32 v94, 0x7f, v104
	v_mov_b32_e32 v8, 0x7f800001
	s_mov_b32 s21, exec_lo
	s_delay_alu instid0(VALU_DEP_2)
	v_cmpx_ne_u32_e32 0x7f, v94
	s_cbranch_execz .LBB428_352
; %bb.349:                              ;   in Loop: Header=BB428_10 Depth=1
	v_and_b32_e32 v8, 7, v104
	v_lshrrev_b32_e32 v93, 3, v94
	s_mov_b32 s22, exec_lo
	v_cmpx_gt_u32_e32 8, v94
; %bb.350:                              ;   in Loop: Header=BB428_10 Depth=1
	s_delay_alu instid0(VALU_DEP_3) | instskip(NEXT) | instid1(VALU_DEP_1)
	v_clz_i32_u32_e32 v93, v8
	v_min_u32_e32 v93, 32, v93
	s_delay_alu instid0(VALU_DEP_1) | instskip(SKIP_1) | instid1(VALU_DEP_2)
	v_subrev_nc_u32_e32 v94, 28, v93
	v_sub_nc_u32_e32 v93, 29, v93
	v_lshlrev_b64 v[94:95], v94, v[8:9]
	s_delay_alu instid0(VALU_DEP_1)
	v_and_b32_e32 v8, 7, v94
; %bb.351:                              ;   in Loop: Header=BB428_10 Depth=1
	s_or_b32 exec_lo, exec_lo, s22
	v_lshlrev_b32_e32 v94, 24, v104
	s_delay_alu instid0(VALU_DEP_2) | instskip(SKIP_1) | instid1(VALU_DEP_3)
	v_lshlrev_b32_e32 v8, 20, v8
	v_lshl_add_u32 v93, v93, 23, 0x3c000000
	v_and_b32_e32 v94, 0x80000000, v94
	s_delay_alu instid0(VALU_DEP_1)
	v_or3_b32 v8, v8, v94, v93
.LBB428_352:                            ;   in Loop: Header=BB428_10 Depth=1
	s_or_b32 exec_lo, exec_lo, s21
.LBB428_353:                            ;   in Loop: Header=BB428_10 Depth=1
	s_delay_alu instid0(SALU_CYCLE_1)
	s_or_b32 exec_lo, exec_lo, s20
.LBB428_354:                            ;   in Loop: Header=BB428_10 Depth=1
	s_delay_alu instid0(SALU_CYCLE_1) | instskip(NEXT) | instid1(VALU_DEP_1)
	s_or_b32 exec_lo, exec_lo, s4
	v_mul_f32_e32 v8, v41, v8
	s_delay_alu instid0(VALU_DEP_1) | instskip(NEXT) | instid1(VALU_DEP_1)
	v_and_b32_e32 v93, 0x7f800000, v8
	v_cmp_ne_u32_e64 s3, 0x7f800000, v93
                                        ; implicit-def: $vgpr93
	s_delay_alu instid0(VALU_DEP_1) | instskip(NEXT) | instid1(SALU_CYCLE_1)
	s_and_saveexec_b32 s4, s3
	s_xor_b32 s3, exec_lo, s4
; %bb.355:                              ;   in Loop: Header=BB428_10 Depth=1
	v_bfe_u32 v93, v8, 16, 1
	s_delay_alu instid0(VALU_DEP_1)
	v_add3_u32 v93, v8, v93, 0x7fff
                                        ; implicit-def: $vgpr8
; %bb.356:                              ;   in Loop: Header=BB428_10 Depth=1
	s_and_not1_saveexec_b32 s4, s3
; %bb.357:                              ;   in Loop: Header=BB428_10 Depth=1
	v_and_b32_e32 v93, 0xffff, v8
	v_or_b32_e32 v94, 0x10000, v8
	s_delay_alu instid0(VALU_DEP_2) | instskip(NEXT) | instid1(VALU_DEP_1)
	v_cmp_eq_u32_e64 s3, 0, v93
	v_cndmask_b32_e64 v93, v94, v8, s3
; %bb.358:                              ;   in Loop: Header=BB428_10 Depth=1
	s_or_b32 exec_lo, exec_lo, s4
	v_lshrrev_b16 v94, 8, v104
	v_mov_b32_e32 v8, 0
	s_mov_b32 s4, exec_lo
	s_delay_alu instid0(VALU_DEP_2)
	v_cmpx_ne_u16_e32 0, v94
	s_cbranch_execz .LBB428_366
; %bb.359:                              ;   in Loop: Header=BB428_10 Depth=1
	v_bfrev_b32_e32 v8, 1
	s_mov_b32 s20, exec_lo
	v_cmpx_ne_u16_e32 0x80, v94
	s_cbranch_execz .LBB428_365
; %bb.360:                              ;   in Loop: Header=BB428_10 Depth=1
	v_and_b32_e32 v94, 0xffff, v94
	v_mov_b32_e32 v8, 0x7f800001
	s_mov_b32 s21, exec_lo
	s_delay_alu instid0(VALU_DEP_2) | instskip(NEXT) | instid1(VALU_DEP_1)
	v_and_b32_e32 v95, 0x7f, v94
	v_cmpx_ne_u32_e32 0x7f, v95
	s_cbranch_execz .LBB428_364
; %bb.361:                              ;   in Loop: Header=BB428_10 Depth=1
	v_and_b32_e32 v8, 7, v94
	v_lshrrev_b32_e32 v94, 3, v95
	s_mov_b32 s22, exec_lo
	v_cmpx_gt_u32_e32 8, v95
; %bb.362:                              ;   in Loop: Header=BB428_10 Depth=1
	s_delay_alu instid0(VALU_DEP_3) | instskip(NEXT) | instid1(VALU_DEP_1)
	v_clz_i32_u32_e32 v94, v8
	v_min_u32_e32 v94, 32, v94
	s_delay_alu instid0(VALU_DEP_1) | instskip(SKIP_1) | instid1(VALU_DEP_2)
	v_subrev_nc_u32_e32 v95, 28, v94
	v_sub_nc_u32_e32 v94, 29, v94
	v_lshlrev_b64 v[105:106], v95, v[8:9]
	s_delay_alu instid0(VALU_DEP_1)
	v_and_b32_e32 v8, 7, v105
; %bb.363:                              ;   in Loop: Header=BB428_10 Depth=1
	s_or_b32 exec_lo, exec_lo, s22
	v_lshlrev_b32_e32 v95, 16, v104
	s_delay_alu instid0(VALU_DEP_2) | instskip(SKIP_1) | instid1(VALU_DEP_3)
	v_lshlrev_b32_e32 v8, 20, v8
	v_lshl_add_u32 v94, v94, 23, 0x3c000000
	v_and_b32_e32 v95, 0x80000000, v95
	s_delay_alu instid0(VALU_DEP_1)
	v_or3_b32 v8, v8, v95, v94
.LBB428_364:                            ;   in Loop: Header=BB428_10 Depth=1
	s_or_b32 exec_lo, exec_lo, s21
.LBB428_365:                            ;   in Loop: Header=BB428_10 Depth=1
	s_delay_alu instid0(SALU_CYCLE_1)
	s_or_b32 exec_lo, exec_lo, s20
.LBB428_366:                            ;   in Loop: Header=BB428_10 Depth=1
	s_delay_alu instid0(SALU_CYCLE_1) | instskip(NEXT) | instid1(VALU_DEP_1)
	s_or_b32 exec_lo, exec_lo, s4
	v_mul_f32_e32 v8, v41, v8
	s_delay_alu instid0(VALU_DEP_1) | instskip(NEXT) | instid1(VALU_DEP_1)
	v_and_b32_e32 v94, 0x7f800000, v8
	v_cmp_ne_u32_e64 s3, 0x7f800000, v94
                                        ; implicit-def: $vgpr94
	s_delay_alu instid0(VALU_DEP_1) | instskip(NEXT) | instid1(SALU_CYCLE_1)
	s_and_saveexec_b32 s4, s3
	s_xor_b32 s3, exec_lo, s4
; %bb.367:                              ;   in Loop: Header=BB428_10 Depth=1
	v_bfe_u32 v94, v8, 16, 1
	s_delay_alu instid0(VALU_DEP_1)
	v_add3_u32 v94, v8, v94, 0x7fff
                                        ; implicit-def: $vgpr8
; %bb.368:                              ;   in Loop: Header=BB428_10 Depth=1
	s_and_not1_saveexec_b32 s4, s3
; %bb.369:                              ;   in Loop: Header=BB428_10 Depth=1
	v_and_b32_e32 v94, 0xffff, v8
	v_or_b32_e32 v95, 0x10000, v8
	s_delay_alu instid0(VALU_DEP_2) | instskip(NEXT) | instid1(VALU_DEP_1)
	v_cmp_eq_u32_e64 s3, 0, v94
	v_cndmask_b32_e64 v94, v95, v8, s3
; %bb.370:                              ;   in Loop: Header=BB428_10 Depth=1
	s_or_b32 exec_lo, exec_lo, s4
	v_lshrrev_b32_e32 v95, 16, v104
	s_mov_b32 s4, exec_lo
	s_delay_alu instid0(VALU_DEP_1) | instskip(NEXT) | instid1(VALU_DEP_1)
	v_dual_mov_b32 v8, 0 :: v_dual_and_b32 v105, 0xff, v95
	v_cmpx_ne_u16_e32 0, v105
	s_cbranch_execz .LBB428_378
; %bb.371:                              ;   in Loop: Header=BB428_10 Depth=1
	v_bfrev_b32_e32 v8, 1
	s_mov_b32 s20, exec_lo
	v_cmpx_ne_u16_e32 0x80, v105
	s_cbranch_execz .LBB428_377
; %bb.372:                              ;   in Loop: Header=BB428_10 Depth=1
	v_bfe_u32 v106, v104, 16, 7
	v_mov_b32_e32 v8, 0x7f800001
	s_mov_b32 s21, exec_lo
	s_delay_alu instid0(VALU_DEP_2)
	v_cmpx_ne_u32_e32 0x7f, v106
	s_cbranch_execz .LBB428_376
; %bb.373:                              ;   in Loop: Header=BB428_10 Depth=1
	v_and_b32_e32 v8, 7, v95
	v_lshrrev_b32_e32 v105, 3, v106
	s_mov_b32 s22, exec_lo
	v_cmpx_gt_u32_e32 8, v106
; %bb.374:                              ;   in Loop: Header=BB428_10 Depth=1
	s_delay_alu instid0(VALU_DEP_3) | instskip(NEXT) | instid1(VALU_DEP_1)
	v_clz_i32_u32_e32 v105, v8
	v_min_u32_e32 v105, 32, v105
	s_delay_alu instid0(VALU_DEP_1) | instskip(SKIP_1) | instid1(VALU_DEP_2)
	v_subrev_nc_u32_e32 v106, 28, v105
	v_sub_nc_u32_e32 v105, 29, v105
	v_lshlrev_b64 v[106:107], v106, v[8:9]
	s_delay_alu instid0(VALU_DEP_1)
	v_and_b32_e32 v8, 7, v106
; %bb.375:                              ;   in Loop: Header=BB428_10 Depth=1
	s_or_b32 exec_lo, exec_lo, s22
	v_lshlrev_b32_e32 v95, 24, v95
	s_delay_alu instid0(VALU_DEP_2) | instskip(SKIP_1) | instid1(VALU_DEP_3)
	v_lshlrev_b32_e32 v8, 20, v8
	v_lshl_add_u32 v105, v105, 23, 0x3c000000
	v_and_b32_e32 v95, 0x80000000, v95
	s_delay_alu instid0(VALU_DEP_1)
	v_or3_b32 v8, v8, v95, v105
.LBB428_376:                            ;   in Loop: Header=BB428_10 Depth=1
	s_or_b32 exec_lo, exec_lo, s21
.LBB428_377:                            ;   in Loop: Header=BB428_10 Depth=1
	s_delay_alu instid0(SALU_CYCLE_1)
	s_or_b32 exec_lo, exec_lo, s20
.LBB428_378:                            ;   in Loop: Header=BB428_10 Depth=1
	s_delay_alu instid0(SALU_CYCLE_1) | instskip(NEXT) | instid1(VALU_DEP_1)
	s_or_b32 exec_lo, exec_lo, s4
	v_mul_f32_e32 v8, v41, v8
	s_delay_alu instid0(VALU_DEP_1) | instskip(NEXT) | instid1(VALU_DEP_1)
	v_and_b32_e32 v95, 0x7f800000, v8
	v_cmp_ne_u32_e64 s3, 0x7f800000, v95
                                        ; implicit-def: $vgpr95
	s_delay_alu instid0(VALU_DEP_1) | instskip(NEXT) | instid1(SALU_CYCLE_1)
	s_and_saveexec_b32 s4, s3
	s_xor_b32 s3, exec_lo, s4
; %bb.379:                              ;   in Loop: Header=BB428_10 Depth=1
	v_bfe_u32 v95, v8, 16, 1
	s_delay_alu instid0(VALU_DEP_1)
	v_add3_u32 v95, v8, v95, 0x7fff
                                        ; implicit-def: $vgpr8
; %bb.380:                              ;   in Loop: Header=BB428_10 Depth=1
	s_and_not1_saveexec_b32 s4, s3
; %bb.381:                              ;   in Loop: Header=BB428_10 Depth=1
	v_and_b32_e32 v95, 0xffff, v8
	v_or_b32_e32 v105, 0x10000, v8
	s_delay_alu instid0(VALU_DEP_2) | instskip(NEXT) | instid1(VALU_DEP_1)
	v_cmp_eq_u32_e64 s3, 0, v95
	v_cndmask_b32_e64 v95, v105, v8, s3
; %bb.382:                              ;   in Loop: Header=BB428_10 Depth=1
	s_or_b32 exec_lo, exec_lo, s4
	v_mov_b32_e32 v8, 0
	s_mov_b32 s4, exec_lo
	v_cmpx_lt_u32_e32 0xffffff, v104
	s_cbranch_execz .LBB428_390
; %bb.383:                              ;   in Loop: Header=BB428_10 Depth=1
	v_lshrrev_b32_e32 v105, 24, v104
	v_bfrev_b32_e32 v8, 1
	s_mov_b32 s20, exec_lo
	s_delay_alu instid0(VALU_DEP_2)
	v_cmpx_ne_u32_e32 0x80, v105
	s_cbranch_execz .LBB428_389
; %bb.384:                              ;   in Loop: Header=BB428_10 Depth=1
	v_bfe_u32 v106, v104, 24, 7
	v_mov_b32_e32 v8, 0x7f800001
	s_mov_b32 s21, exec_lo
	s_delay_alu instid0(VALU_DEP_2)
	v_cmpx_ne_u32_e32 0x7f, v106
	s_cbranch_execz .LBB428_388
; %bb.385:                              ;   in Loop: Header=BB428_10 Depth=1
	v_and_b32_e32 v8, 7, v105
	v_lshrrev_b32_e32 v104, 3, v106
	s_mov_b32 s22, exec_lo
	v_cmpx_gt_u32_e32 8, v106
; %bb.386:                              ;   in Loop: Header=BB428_10 Depth=1
	s_delay_alu instid0(VALU_DEP_3) | instskip(NEXT) | instid1(VALU_DEP_1)
	v_clz_i32_u32_e32 v104, v8
	v_min_u32_e32 v104, 32, v104
	s_delay_alu instid0(VALU_DEP_1) | instskip(SKIP_1) | instid1(VALU_DEP_2)
	v_subrev_nc_u32_e32 v106, 28, v104
	v_sub_nc_u32_e32 v104, 29, v104
	v_lshlrev_b64 v[106:107], v106, v[8:9]
	s_delay_alu instid0(VALU_DEP_1)
	v_and_b32_e32 v8, 7, v106
; %bb.387:                              ;   in Loop: Header=BB428_10 Depth=1
	s_or_b32 exec_lo, exec_lo, s22
	v_lshlrev_b32_e32 v105, 24, v105
	s_delay_alu instid0(VALU_DEP_2) | instskip(SKIP_1) | instid1(VALU_DEP_3)
	v_lshlrev_b32_e32 v8, 20, v8
	v_lshl_add_u32 v104, v104, 23, 0x3c000000
	v_and_b32_e32 v105, 0x80000000, v105
	s_delay_alu instid0(VALU_DEP_1)
	v_or3_b32 v8, v8, v105, v104
.LBB428_388:                            ;   in Loop: Header=BB428_10 Depth=1
	s_or_b32 exec_lo, exec_lo, s21
.LBB428_389:                            ;   in Loop: Header=BB428_10 Depth=1
	s_delay_alu instid0(SALU_CYCLE_1)
	s_or_b32 exec_lo, exec_lo, s20
.LBB428_390:                            ;   in Loop: Header=BB428_10 Depth=1
	s_delay_alu instid0(SALU_CYCLE_1) | instskip(NEXT) | instid1(VALU_DEP_1)
	s_or_b32 exec_lo, exec_lo, s4
	v_mul_f32_e32 v8, v41, v8
	s_delay_alu instid0(VALU_DEP_1) | instskip(NEXT) | instid1(VALU_DEP_1)
	v_and_b32_e32 v104, 0x7f800000, v8
	v_cmp_ne_u32_e64 s3, 0x7f800000, v104
                                        ; implicit-def: $vgpr104
	s_delay_alu instid0(VALU_DEP_1) | instskip(NEXT) | instid1(SALU_CYCLE_1)
	s_and_saveexec_b32 s4, s3
	s_xor_b32 s3, exec_lo, s4
; %bb.391:                              ;   in Loop: Header=BB428_10 Depth=1
	v_bfe_u32 v104, v8, 16, 1
	s_delay_alu instid0(VALU_DEP_1)
	v_add3_u32 v104, v8, v104, 0x7fff
                                        ; implicit-def: $vgpr8
; %bb.392:                              ;   in Loop: Header=BB428_10 Depth=1
	s_and_not1_saveexec_b32 s4, s3
; %bb.393:                              ;   in Loop: Header=BB428_10 Depth=1
	v_and_b32_e32 v104, 0xffff, v8
	v_or_b32_e32 v105, 0x10000, v8
	s_delay_alu instid0(VALU_DEP_2) | instskip(NEXT) | instid1(VALU_DEP_1)
	v_cmp_eq_u32_e64 s3, 0, v104
	v_cndmask_b32_e64 v104, v105, v8, s3
; %bb.394:                              ;   in Loop: Header=BB428_10 Depth=1
	s_or_b32 exec_lo, exec_lo, s4
	flat_load_b32 v107, v[28:29] offset:1024
	s_mov_b32 s4, exec_lo
	s_waitcnt vmcnt(0) lgkmcnt(0)
	v_dual_mov_b32 v8, 0 :: v_dual_and_b32 v105, 0xff, v107
	s_delay_alu instid0(VALU_DEP_1)
	v_cmpx_ne_u16_e32 0, v105
	s_cbranch_execz .LBB428_402
; %bb.395:                              ;   in Loop: Header=BB428_10 Depth=1
	v_bfrev_b32_e32 v8, 1
	s_mov_b32 s20, exec_lo
	v_cmpx_ne_u16_e32 0x80, v105
	s_cbranch_execz .LBB428_401
; %bb.396:                              ;   in Loop: Header=BB428_10 Depth=1
	v_and_b32_e32 v106, 0x7f, v107
	v_mov_b32_e32 v8, 0x7f800001
	s_mov_b32 s21, exec_lo
	s_delay_alu instid0(VALU_DEP_2)
	v_cmpx_ne_u32_e32 0x7f, v106
	s_cbranch_execz .LBB428_400
; %bb.397:                              ;   in Loop: Header=BB428_10 Depth=1
	v_and_b32_e32 v8, 7, v107
	v_lshrrev_b32_e32 v105, 3, v106
	s_mov_b32 s22, exec_lo
	v_cmpx_gt_u32_e32 8, v106
; %bb.398:                              ;   in Loop: Header=BB428_10 Depth=1
	s_delay_alu instid0(VALU_DEP_3) | instskip(NEXT) | instid1(VALU_DEP_1)
	v_clz_i32_u32_e32 v105, v8
	v_min_u32_e32 v105, 32, v105
	s_delay_alu instid0(VALU_DEP_1) | instskip(SKIP_1) | instid1(VALU_DEP_2)
	v_subrev_nc_u32_e32 v106, 28, v105
	v_sub_nc_u32_e32 v105, 29, v105
	v_lshlrev_b64 v[108:109], v106, v[8:9]
	s_delay_alu instid0(VALU_DEP_1)
	v_and_b32_e32 v8, 7, v108
; %bb.399:                              ;   in Loop: Header=BB428_10 Depth=1
	s_or_b32 exec_lo, exec_lo, s22
	v_lshlrev_b32_e32 v106, 24, v107
	s_delay_alu instid0(VALU_DEP_2) | instskip(SKIP_1) | instid1(VALU_DEP_3)
	v_lshlrev_b32_e32 v8, 20, v8
	v_lshl_add_u32 v105, v105, 23, 0x3c000000
	v_and_b32_e32 v106, 0x80000000, v106
	s_delay_alu instid0(VALU_DEP_1)
	v_or3_b32 v8, v8, v106, v105
.LBB428_400:                            ;   in Loop: Header=BB428_10 Depth=1
	s_or_b32 exec_lo, exec_lo, s21
.LBB428_401:                            ;   in Loop: Header=BB428_10 Depth=1
	s_delay_alu instid0(SALU_CYCLE_1)
	s_or_b32 exec_lo, exec_lo, s20
.LBB428_402:                            ;   in Loop: Header=BB428_10 Depth=1
	s_delay_alu instid0(SALU_CYCLE_1) | instskip(NEXT) | instid1(VALU_DEP_1)
	s_or_b32 exec_lo, exec_lo, s4
	v_mul_f32_e32 v8, v41, v8
	s_delay_alu instid0(VALU_DEP_1) | instskip(NEXT) | instid1(VALU_DEP_1)
	v_and_b32_e32 v105, 0x7f800000, v8
	v_cmp_ne_u32_e64 s3, 0x7f800000, v105
                                        ; implicit-def: $vgpr105
	s_delay_alu instid0(VALU_DEP_1) | instskip(NEXT) | instid1(SALU_CYCLE_1)
	s_and_saveexec_b32 s4, s3
	s_xor_b32 s3, exec_lo, s4
; %bb.403:                              ;   in Loop: Header=BB428_10 Depth=1
	v_bfe_u32 v105, v8, 16, 1
	s_delay_alu instid0(VALU_DEP_1)
	v_add3_u32 v105, v8, v105, 0x7fff
                                        ; implicit-def: $vgpr8
; %bb.404:                              ;   in Loop: Header=BB428_10 Depth=1
	s_and_not1_saveexec_b32 s4, s3
; %bb.405:                              ;   in Loop: Header=BB428_10 Depth=1
	v_and_b32_e32 v105, 0xffff, v8
	v_or_b32_e32 v106, 0x10000, v8
	s_delay_alu instid0(VALU_DEP_2) | instskip(NEXT) | instid1(VALU_DEP_1)
	v_cmp_eq_u32_e64 s3, 0, v105
	v_cndmask_b32_e64 v105, v106, v8, s3
; %bb.406:                              ;   in Loop: Header=BB428_10 Depth=1
	s_or_b32 exec_lo, exec_lo, s4
	v_lshrrev_b16 v106, 8, v107
	v_mov_b32_e32 v8, 0
	s_mov_b32 s4, exec_lo
	s_delay_alu instid0(VALU_DEP_2)
	v_cmpx_ne_u16_e32 0, v106
	s_cbranch_execz .LBB428_414
; %bb.407:                              ;   in Loop: Header=BB428_10 Depth=1
	v_bfrev_b32_e32 v8, 1
	s_mov_b32 s20, exec_lo
	v_cmpx_ne_u16_e32 0x80, v106
	s_cbranch_execz .LBB428_413
; %bb.408:                              ;   in Loop: Header=BB428_10 Depth=1
	v_and_b32_e32 v106, 0xffff, v106
	v_mov_b32_e32 v8, 0x7f800001
	s_mov_b32 s21, exec_lo
	s_delay_alu instid0(VALU_DEP_2) | instskip(NEXT) | instid1(VALU_DEP_1)
	v_and_b32_e32 v108, 0x7f, v106
	v_cmpx_ne_u32_e32 0x7f, v108
	s_cbranch_execz .LBB428_412
; %bb.409:                              ;   in Loop: Header=BB428_10 Depth=1
	v_and_b32_e32 v8, 7, v106
	v_lshrrev_b32_e32 v106, 3, v108
	s_mov_b32 s22, exec_lo
	v_cmpx_gt_u32_e32 8, v108
; %bb.410:                              ;   in Loop: Header=BB428_10 Depth=1
	s_delay_alu instid0(VALU_DEP_3) | instskip(NEXT) | instid1(VALU_DEP_1)
	v_clz_i32_u32_e32 v106, v8
	v_min_u32_e32 v106, 32, v106
	s_delay_alu instid0(VALU_DEP_1) | instskip(SKIP_1) | instid1(VALU_DEP_2)
	v_subrev_nc_u32_e32 v108, 28, v106
	v_sub_nc_u32_e32 v106, 29, v106
	v_lshlrev_b64 v[108:109], v108, v[8:9]
	s_delay_alu instid0(VALU_DEP_1)
	v_and_b32_e32 v8, 7, v108
; %bb.411:                              ;   in Loop: Header=BB428_10 Depth=1
	s_or_b32 exec_lo, exec_lo, s22
	v_lshlrev_b32_e32 v108, 16, v107
	s_delay_alu instid0(VALU_DEP_2) | instskip(SKIP_1) | instid1(VALU_DEP_3)
	v_lshlrev_b32_e32 v8, 20, v8
	v_lshl_add_u32 v106, v106, 23, 0x3c000000
	v_and_b32_e32 v108, 0x80000000, v108
	s_delay_alu instid0(VALU_DEP_1)
	v_or3_b32 v8, v8, v108, v106
.LBB428_412:                            ;   in Loop: Header=BB428_10 Depth=1
	s_or_b32 exec_lo, exec_lo, s21
.LBB428_413:                            ;   in Loop: Header=BB428_10 Depth=1
	s_delay_alu instid0(SALU_CYCLE_1)
	s_or_b32 exec_lo, exec_lo, s20
.LBB428_414:                            ;   in Loop: Header=BB428_10 Depth=1
	s_delay_alu instid0(SALU_CYCLE_1) | instskip(NEXT) | instid1(VALU_DEP_1)
	s_or_b32 exec_lo, exec_lo, s4
	v_mul_f32_e32 v8, v41, v8
	s_delay_alu instid0(VALU_DEP_1) | instskip(NEXT) | instid1(VALU_DEP_1)
	v_and_b32_e32 v106, 0x7f800000, v8
	v_cmp_ne_u32_e64 s3, 0x7f800000, v106
                                        ; implicit-def: $vgpr106
	s_delay_alu instid0(VALU_DEP_1) | instskip(NEXT) | instid1(SALU_CYCLE_1)
	s_and_saveexec_b32 s4, s3
	s_xor_b32 s3, exec_lo, s4
; %bb.415:                              ;   in Loop: Header=BB428_10 Depth=1
	v_bfe_u32 v106, v8, 16, 1
	s_delay_alu instid0(VALU_DEP_1)
	v_add3_u32 v106, v8, v106, 0x7fff
                                        ; implicit-def: $vgpr8
; %bb.416:                              ;   in Loop: Header=BB428_10 Depth=1
	s_and_not1_saveexec_b32 s4, s3
; %bb.417:                              ;   in Loop: Header=BB428_10 Depth=1
	v_and_b32_e32 v106, 0xffff, v8
	v_or_b32_e32 v108, 0x10000, v8
	s_delay_alu instid0(VALU_DEP_2) | instskip(NEXT) | instid1(VALU_DEP_1)
	v_cmp_eq_u32_e64 s3, 0, v106
	v_cndmask_b32_e64 v106, v108, v8, s3
; %bb.418:                              ;   in Loop: Header=BB428_10 Depth=1
	s_or_b32 exec_lo, exec_lo, s4
	v_lshrrev_b32_e32 v108, 16, v107
	s_mov_b32 s4, exec_lo
	s_delay_alu instid0(VALU_DEP_1) | instskip(NEXT) | instid1(VALU_DEP_1)
	v_dual_mov_b32 v8, 0 :: v_dual_and_b32 v109, 0xff, v108
	v_cmpx_ne_u16_e32 0, v109
	s_cbranch_execz .LBB428_426
; %bb.419:                              ;   in Loop: Header=BB428_10 Depth=1
	v_bfrev_b32_e32 v8, 1
	s_mov_b32 s20, exec_lo
	v_cmpx_ne_u16_e32 0x80, v109
	s_cbranch_execz .LBB428_425
; %bb.420:                              ;   in Loop: Header=BB428_10 Depth=1
	v_bfe_u32 v110, v107, 16, 7
	v_mov_b32_e32 v8, 0x7f800001
	s_mov_b32 s21, exec_lo
	s_delay_alu instid0(VALU_DEP_2)
	v_cmpx_ne_u32_e32 0x7f, v110
	s_cbranch_execz .LBB428_424
; %bb.421:                              ;   in Loop: Header=BB428_10 Depth=1
	v_and_b32_e32 v8, 7, v108
	v_lshrrev_b32_e32 v109, 3, v110
	s_mov_b32 s22, exec_lo
	v_cmpx_gt_u32_e32 8, v110
; %bb.422:                              ;   in Loop: Header=BB428_10 Depth=1
	s_delay_alu instid0(VALU_DEP_3) | instskip(NEXT) | instid1(VALU_DEP_1)
	v_clz_i32_u32_e32 v109, v8
	v_min_u32_e32 v109, 32, v109
	s_delay_alu instid0(VALU_DEP_1) | instskip(SKIP_1) | instid1(VALU_DEP_2)
	v_subrev_nc_u32_e32 v110, 28, v109
	v_sub_nc_u32_e32 v109, 29, v109
	v_lshlrev_b64 v[110:111], v110, v[8:9]
	s_delay_alu instid0(VALU_DEP_1)
	v_and_b32_e32 v8, 7, v110
; %bb.423:                              ;   in Loop: Header=BB428_10 Depth=1
	s_or_b32 exec_lo, exec_lo, s22
	v_lshlrev_b32_e32 v108, 24, v108
	s_delay_alu instid0(VALU_DEP_2) | instskip(SKIP_1) | instid1(VALU_DEP_3)
	v_lshlrev_b32_e32 v8, 20, v8
	v_lshl_add_u32 v109, v109, 23, 0x3c000000
	v_and_b32_e32 v108, 0x80000000, v108
	s_delay_alu instid0(VALU_DEP_1)
	v_or3_b32 v8, v8, v108, v109
.LBB428_424:                            ;   in Loop: Header=BB428_10 Depth=1
	s_or_b32 exec_lo, exec_lo, s21
.LBB428_425:                            ;   in Loop: Header=BB428_10 Depth=1
	s_delay_alu instid0(SALU_CYCLE_1)
	s_or_b32 exec_lo, exec_lo, s20
.LBB428_426:                            ;   in Loop: Header=BB428_10 Depth=1
	s_delay_alu instid0(SALU_CYCLE_1) | instskip(NEXT) | instid1(VALU_DEP_1)
	s_or_b32 exec_lo, exec_lo, s4
	v_mul_f32_e32 v8, v41, v8
	s_delay_alu instid0(VALU_DEP_1) | instskip(NEXT) | instid1(VALU_DEP_1)
	v_and_b32_e32 v108, 0x7f800000, v8
	v_cmp_ne_u32_e64 s3, 0x7f800000, v108
                                        ; implicit-def: $vgpr108
	s_delay_alu instid0(VALU_DEP_1) | instskip(NEXT) | instid1(SALU_CYCLE_1)
	s_and_saveexec_b32 s4, s3
	s_xor_b32 s3, exec_lo, s4
; %bb.427:                              ;   in Loop: Header=BB428_10 Depth=1
	v_bfe_u32 v108, v8, 16, 1
	s_delay_alu instid0(VALU_DEP_1)
	v_add3_u32 v108, v8, v108, 0x7fff
                                        ; implicit-def: $vgpr8
; %bb.428:                              ;   in Loop: Header=BB428_10 Depth=1
	s_and_not1_saveexec_b32 s4, s3
; %bb.429:                              ;   in Loop: Header=BB428_10 Depth=1
	v_and_b32_e32 v108, 0xffff, v8
	v_or_b32_e32 v109, 0x10000, v8
	s_delay_alu instid0(VALU_DEP_2) | instskip(NEXT) | instid1(VALU_DEP_1)
	v_cmp_eq_u32_e64 s3, 0, v108
	v_cndmask_b32_e64 v108, v109, v8, s3
; %bb.430:                              ;   in Loop: Header=BB428_10 Depth=1
	s_or_b32 exec_lo, exec_lo, s4
	v_mov_b32_e32 v8, 0
	s_mov_b32 s4, exec_lo
	v_cmpx_lt_u32_e32 0xffffff, v107
	s_cbranch_execz .LBB428_438
; %bb.431:                              ;   in Loop: Header=BB428_10 Depth=1
	v_lshrrev_b32_e32 v109, 24, v107
	v_bfrev_b32_e32 v8, 1
	s_mov_b32 s20, exec_lo
	s_delay_alu instid0(VALU_DEP_2)
	v_cmpx_ne_u32_e32 0x80, v109
	s_cbranch_execz .LBB428_437
; %bb.432:                              ;   in Loop: Header=BB428_10 Depth=1
	v_bfe_u32 v110, v107, 24, 7
	v_mov_b32_e32 v8, 0x7f800001
	s_mov_b32 s21, exec_lo
	s_delay_alu instid0(VALU_DEP_2)
	v_cmpx_ne_u32_e32 0x7f, v110
	s_cbranch_execz .LBB428_436
; %bb.433:                              ;   in Loop: Header=BB428_10 Depth=1
	v_and_b32_e32 v8, 7, v109
	v_lshrrev_b32_e32 v107, 3, v110
	s_mov_b32 s22, exec_lo
	v_cmpx_gt_u32_e32 8, v110
; %bb.434:                              ;   in Loop: Header=BB428_10 Depth=1
	s_delay_alu instid0(VALU_DEP_3) | instskip(NEXT) | instid1(VALU_DEP_1)
	v_clz_i32_u32_e32 v107, v8
	v_min_u32_e32 v107, 32, v107
	s_delay_alu instid0(VALU_DEP_1) | instskip(SKIP_1) | instid1(VALU_DEP_2)
	v_subrev_nc_u32_e32 v110, 28, v107
	v_sub_nc_u32_e32 v107, 29, v107
	v_lshlrev_b64 v[110:111], v110, v[8:9]
	s_delay_alu instid0(VALU_DEP_1)
	v_and_b32_e32 v8, 7, v110
; %bb.435:                              ;   in Loop: Header=BB428_10 Depth=1
	s_or_b32 exec_lo, exec_lo, s22
	v_lshlrev_b32_e32 v109, 24, v109
	s_delay_alu instid0(VALU_DEP_2) | instskip(SKIP_1) | instid1(VALU_DEP_3)
	v_lshlrev_b32_e32 v8, 20, v8
	v_lshl_add_u32 v107, v107, 23, 0x3c000000
	v_and_b32_e32 v109, 0x80000000, v109
	s_delay_alu instid0(VALU_DEP_1)
	v_or3_b32 v8, v8, v109, v107
.LBB428_436:                            ;   in Loop: Header=BB428_10 Depth=1
	s_or_b32 exec_lo, exec_lo, s21
.LBB428_437:                            ;   in Loop: Header=BB428_10 Depth=1
	s_delay_alu instid0(SALU_CYCLE_1)
	s_or_b32 exec_lo, exec_lo, s20
.LBB428_438:                            ;   in Loop: Header=BB428_10 Depth=1
	s_delay_alu instid0(SALU_CYCLE_1) | instskip(NEXT) | instid1(VALU_DEP_1)
	s_or_b32 exec_lo, exec_lo, s4
	v_mul_f32_e32 v8, v41, v8
	s_delay_alu instid0(VALU_DEP_1) | instskip(NEXT) | instid1(VALU_DEP_1)
	v_and_b32_e32 v107, 0x7f800000, v8
	v_cmp_ne_u32_e64 s3, 0x7f800000, v107
                                        ; implicit-def: $vgpr107
	s_delay_alu instid0(VALU_DEP_1) | instskip(NEXT) | instid1(SALU_CYCLE_1)
	s_and_saveexec_b32 s4, s3
	s_xor_b32 s3, exec_lo, s4
; %bb.439:                              ;   in Loop: Header=BB428_10 Depth=1
	v_bfe_u32 v107, v8, 16, 1
	s_delay_alu instid0(VALU_DEP_1)
	v_add3_u32 v107, v8, v107, 0x7fff
                                        ; implicit-def: $vgpr8
; %bb.440:                              ;   in Loop: Header=BB428_10 Depth=1
	s_and_not1_saveexec_b32 s4, s3
; %bb.441:                              ;   in Loop: Header=BB428_10 Depth=1
	v_and_b32_e32 v107, 0xffff, v8
	v_or_b32_e32 v109, 0x10000, v8
	s_delay_alu instid0(VALU_DEP_2) | instskip(NEXT) | instid1(VALU_DEP_1)
	v_cmp_eq_u32_e64 s3, 0, v107
	v_cndmask_b32_e64 v107, v109, v8, s3
; %bb.442:                              ;   in Loop: Header=BB428_10 Depth=1
	s_or_b32 exec_lo, exec_lo, s4
	flat_load_b32 v111, v[28:29] offset:1032
	s_mov_b32 s4, exec_lo
	s_waitcnt vmcnt(0) lgkmcnt(0)
	v_dual_mov_b32 v8, 0 :: v_dual_and_b32 v109, 0xff, v111
	s_delay_alu instid0(VALU_DEP_1)
	v_cmpx_ne_u16_e32 0, v109
	s_cbranch_execz .LBB428_450
; %bb.443:                              ;   in Loop: Header=BB428_10 Depth=1
	v_bfrev_b32_e32 v8, 1
	s_mov_b32 s20, exec_lo
	v_cmpx_ne_u16_e32 0x80, v109
	s_cbranch_execz .LBB428_449
; %bb.444:                              ;   in Loop: Header=BB428_10 Depth=1
	v_and_b32_e32 v110, 0x7f, v111
	v_mov_b32_e32 v8, 0x7f800001
	s_mov_b32 s21, exec_lo
	s_delay_alu instid0(VALU_DEP_2)
	v_cmpx_ne_u32_e32 0x7f, v110
	s_cbranch_execz .LBB428_448
; %bb.445:                              ;   in Loop: Header=BB428_10 Depth=1
	v_and_b32_e32 v8, 7, v111
	v_lshrrev_b32_e32 v109, 3, v110
	s_mov_b32 s22, exec_lo
	v_cmpx_gt_u32_e32 8, v110
; %bb.446:                              ;   in Loop: Header=BB428_10 Depth=1
	s_delay_alu instid0(VALU_DEP_3) | instskip(NEXT) | instid1(VALU_DEP_1)
	v_clz_i32_u32_e32 v109, v8
	v_min_u32_e32 v109, 32, v109
	s_delay_alu instid0(VALU_DEP_1) | instskip(SKIP_1) | instid1(VALU_DEP_2)
	v_subrev_nc_u32_e32 v110, 28, v109
	v_sub_nc_u32_e32 v109, 29, v109
	v_lshlrev_b64 v[120:121], v110, v[8:9]
	s_delay_alu instid0(VALU_DEP_1)
	v_and_b32_e32 v8, 7, v120
; %bb.447:                              ;   in Loop: Header=BB428_10 Depth=1
	s_or_b32 exec_lo, exec_lo, s22
	v_lshlrev_b32_e32 v110, 24, v111
	s_delay_alu instid0(VALU_DEP_2) | instskip(SKIP_1) | instid1(VALU_DEP_3)
	v_lshlrev_b32_e32 v8, 20, v8
	v_lshl_add_u32 v109, v109, 23, 0x3c000000
	v_and_b32_e32 v110, 0x80000000, v110
	s_delay_alu instid0(VALU_DEP_1)
	v_or3_b32 v8, v8, v110, v109
.LBB428_448:                            ;   in Loop: Header=BB428_10 Depth=1
	s_or_b32 exec_lo, exec_lo, s21
.LBB428_449:                            ;   in Loop: Header=BB428_10 Depth=1
	s_delay_alu instid0(SALU_CYCLE_1)
	s_or_b32 exec_lo, exec_lo, s20
.LBB428_450:                            ;   in Loop: Header=BB428_10 Depth=1
	s_delay_alu instid0(SALU_CYCLE_1) | instskip(NEXT) | instid1(VALU_DEP_1)
	s_or_b32 exec_lo, exec_lo, s4
	v_mul_f32_e32 v8, v41, v8
	s_delay_alu instid0(VALU_DEP_1) | instskip(NEXT) | instid1(VALU_DEP_1)
	v_and_b32_e32 v109, 0x7f800000, v8
	v_cmp_ne_u32_e64 s3, 0x7f800000, v109
                                        ; implicit-def: $vgpr109
	s_delay_alu instid0(VALU_DEP_1) | instskip(NEXT) | instid1(SALU_CYCLE_1)
	s_and_saveexec_b32 s4, s3
	s_xor_b32 s3, exec_lo, s4
; %bb.451:                              ;   in Loop: Header=BB428_10 Depth=1
	v_bfe_u32 v109, v8, 16, 1
	s_delay_alu instid0(VALU_DEP_1)
	v_add3_u32 v109, v8, v109, 0x7fff
                                        ; implicit-def: $vgpr8
; %bb.452:                              ;   in Loop: Header=BB428_10 Depth=1
	s_and_not1_saveexec_b32 s4, s3
; %bb.453:                              ;   in Loop: Header=BB428_10 Depth=1
	v_and_b32_e32 v109, 0xffff, v8
	v_or_b32_e32 v110, 0x10000, v8
	s_delay_alu instid0(VALU_DEP_2) | instskip(NEXT) | instid1(VALU_DEP_1)
	v_cmp_eq_u32_e64 s3, 0, v109
	v_cndmask_b32_e64 v109, v110, v8, s3
; %bb.454:                              ;   in Loop: Header=BB428_10 Depth=1
	s_or_b32 exec_lo, exec_lo, s4
	v_lshrrev_b16 v110, 8, v111
	v_mov_b32_e32 v8, 0
	s_mov_b32 s4, exec_lo
	s_delay_alu instid0(VALU_DEP_2)
	v_cmpx_ne_u16_e32 0, v110
	s_cbranch_execz .LBB428_462
; %bb.455:                              ;   in Loop: Header=BB428_10 Depth=1
	v_bfrev_b32_e32 v8, 1
	s_mov_b32 s20, exec_lo
	v_cmpx_ne_u16_e32 0x80, v110
	s_cbranch_execz .LBB428_461
; %bb.456:                              ;   in Loop: Header=BB428_10 Depth=1
	v_and_b32_e32 v110, 0xffff, v110
	v_mov_b32_e32 v8, 0x7f800001
	s_mov_b32 s21, exec_lo
	s_delay_alu instid0(VALU_DEP_2) | instskip(NEXT) | instid1(VALU_DEP_1)
	v_and_b32_e32 v120, 0x7f, v110
	v_cmpx_ne_u32_e32 0x7f, v120
	s_cbranch_execz .LBB428_460
; %bb.457:                              ;   in Loop: Header=BB428_10 Depth=1
	v_and_b32_e32 v8, 7, v110
	v_lshrrev_b32_e32 v110, 3, v120
	s_mov_b32 s22, exec_lo
	v_cmpx_gt_u32_e32 8, v120
; %bb.458:                              ;   in Loop: Header=BB428_10 Depth=1
	s_delay_alu instid0(VALU_DEP_3) | instskip(NEXT) | instid1(VALU_DEP_1)
	v_clz_i32_u32_e32 v110, v8
	v_min_u32_e32 v110, 32, v110
	s_delay_alu instid0(VALU_DEP_1) | instskip(SKIP_1) | instid1(VALU_DEP_2)
	v_subrev_nc_u32_e32 v120, 28, v110
	v_sub_nc_u32_e32 v110, 29, v110
	v_lshlrev_b64 v[120:121], v120, v[8:9]
	s_delay_alu instid0(VALU_DEP_1)
	v_and_b32_e32 v8, 7, v120
; %bb.459:                              ;   in Loop: Header=BB428_10 Depth=1
	s_or_b32 exec_lo, exec_lo, s22
	v_lshlrev_b32_e32 v120, 16, v111
	s_delay_alu instid0(VALU_DEP_2) | instskip(SKIP_1) | instid1(VALU_DEP_3)
	v_lshlrev_b32_e32 v8, 20, v8
	v_lshl_add_u32 v110, v110, 23, 0x3c000000
	v_and_b32_e32 v120, 0x80000000, v120
	s_delay_alu instid0(VALU_DEP_1)
	v_or3_b32 v8, v8, v120, v110
.LBB428_460:                            ;   in Loop: Header=BB428_10 Depth=1
	s_or_b32 exec_lo, exec_lo, s21
.LBB428_461:                            ;   in Loop: Header=BB428_10 Depth=1
	s_delay_alu instid0(SALU_CYCLE_1)
	s_or_b32 exec_lo, exec_lo, s20
.LBB428_462:                            ;   in Loop: Header=BB428_10 Depth=1
	s_delay_alu instid0(SALU_CYCLE_1) | instskip(NEXT) | instid1(VALU_DEP_1)
	s_or_b32 exec_lo, exec_lo, s4
	v_mul_f32_e32 v8, v41, v8
	s_delay_alu instid0(VALU_DEP_1) | instskip(NEXT) | instid1(VALU_DEP_1)
	v_and_b32_e32 v110, 0x7f800000, v8
	v_cmp_ne_u32_e64 s3, 0x7f800000, v110
                                        ; implicit-def: $vgpr110
	s_delay_alu instid0(VALU_DEP_1) | instskip(NEXT) | instid1(SALU_CYCLE_1)
	s_and_saveexec_b32 s4, s3
	s_xor_b32 s3, exec_lo, s4
; %bb.463:                              ;   in Loop: Header=BB428_10 Depth=1
	v_bfe_u32 v110, v8, 16, 1
	s_delay_alu instid0(VALU_DEP_1)
	v_add3_u32 v110, v8, v110, 0x7fff
                                        ; implicit-def: $vgpr8
; %bb.464:                              ;   in Loop: Header=BB428_10 Depth=1
	s_and_not1_saveexec_b32 s4, s3
; %bb.465:                              ;   in Loop: Header=BB428_10 Depth=1
	v_and_b32_e32 v110, 0xffff, v8
	v_or_b32_e32 v120, 0x10000, v8
	s_delay_alu instid0(VALU_DEP_2) | instskip(NEXT) | instid1(VALU_DEP_1)
	v_cmp_eq_u32_e64 s3, 0, v110
	v_cndmask_b32_e64 v110, v120, v8, s3
; %bb.466:                              ;   in Loop: Header=BB428_10 Depth=1
	s_or_b32 exec_lo, exec_lo, s4
	v_lshrrev_b32_e32 v120, 16, v111
	s_mov_b32 s4, exec_lo
	s_delay_alu instid0(VALU_DEP_1) | instskip(NEXT) | instid1(VALU_DEP_1)
	v_dual_mov_b32 v8, 0 :: v_dual_and_b32 v121, 0xff, v120
	v_cmpx_ne_u16_e32 0, v121
	s_cbranch_execz .LBB428_474
; %bb.467:                              ;   in Loop: Header=BB428_10 Depth=1
	v_bfrev_b32_e32 v8, 1
	s_mov_b32 s20, exec_lo
	v_cmpx_ne_u16_e32 0x80, v121
	s_cbranch_execz .LBB428_473
; %bb.468:                              ;   in Loop: Header=BB428_10 Depth=1
	v_bfe_u32 v122, v111, 16, 7
	v_mov_b32_e32 v8, 0x7f800001
	s_mov_b32 s21, exec_lo
	s_delay_alu instid0(VALU_DEP_2)
	v_cmpx_ne_u32_e32 0x7f, v122
	s_cbranch_execz .LBB428_472
; %bb.469:                              ;   in Loop: Header=BB428_10 Depth=1
	v_and_b32_e32 v8, 7, v120
	v_lshrrev_b32_e32 v121, 3, v122
	s_mov_b32 s22, exec_lo
	v_cmpx_gt_u32_e32 8, v122
; %bb.470:                              ;   in Loop: Header=BB428_10 Depth=1
	s_delay_alu instid0(VALU_DEP_3) | instskip(NEXT) | instid1(VALU_DEP_1)
	v_clz_i32_u32_e32 v121, v8
	v_min_u32_e32 v121, 32, v121
	s_delay_alu instid0(VALU_DEP_1) | instskip(SKIP_1) | instid1(VALU_DEP_2)
	v_subrev_nc_u32_e32 v122, 28, v121
	v_sub_nc_u32_e32 v121, 29, v121
	v_lshlrev_b64 v[122:123], v122, v[8:9]
	s_delay_alu instid0(VALU_DEP_1)
	v_and_b32_e32 v8, 7, v122
; %bb.471:                              ;   in Loop: Header=BB428_10 Depth=1
	s_or_b32 exec_lo, exec_lo, s22
	v_lshlrev_b32_e32 v120, 24, v120
	s_delay_alu instid0(VALU_DEP_2) | instskip(SKIP_1) | instid1(VALU_DEP_3)
	v_lshlrev_b32_e32 v8, 20, v8
	v_lshl_add_u32 v121, v121, 23, 0x3c000000
	v_and_b32_e32 v120, 0x80000000, v120
	s_delay_alu instid0(VALU_DEP_1)
	v_or3_b32 v8, v8, v120, v121
.LBB428_472:                            ;   in Loop: Header=BB428_10 Depth=1
	s_or_b32 exec_lo, exec_lo, s21
.LBB428_473:                            ;   in Loop: Header=BB428_10 Depth=1
	s_delay_alu instid0(SALU_CYCLE_1)
	s_or_b32 exec_lo, exec_lo, s20
.LBB428_474:                            ;   in Loop: Header=BB428_10 Depth=1
	s_delay_alu instid0(SALU_CYCLE_1) | instskip(NEXT) | instid1(VALU_DEP_1)
	s_or_b32 exec_lo, exec_lo, s4
	v_mul_f32_e32 v8, v41, v8
	s_delay_alu instid0(VALU_DEP_1) | instskip(NEXT) | instid1(VALU_DEP_1)
	v_and_b32_e32 v120, 0x7f800000, v8
	v_cmp_ne_u32_e64 s3, 0x7f800000, v120
                                        ; implicit-def: $vgpr120
	s_delay_alu instid0(VALU_DEP_1) | instskip(NEXT) | instid1(SALU_CYCLE_1)
	s_and_saveexec_b32 s4, s3
	s_xor_b32 s3, exec_lo, s4
; %bb.475:                              ;   in Loop: Header=BB428_10 Depth=1
	v_bfe_u32 v120, v8, 16, 1
	s_delay_alu instid0(VALU_DEP_1)
	v_add3_u32 v120, v8, v120, 0x7fff
                                        ; implicit-def: $vgpr8
; %bb.476:                              ;   in Loop: Header=BB428_10 Depth=1
	s_and_not1_saveexec_b32 s4, s3
; %bb.477:                              ;   in Loop: Header=BB428_10 Depth=1
	v_and_b32_e32 v120, 0xffff, v8
	v_or_b32_e32 v121, 0x10000, v8
	s_delay_alu instid0(VALU_DEP_2) | instskip(NEXT) | instid1(VALU_DEP_1)
	v_cmp_eq_u32_e64 s3, 0, v120
	v_cndmask_b32_e64 v120, v121, v8, s3
; %bb.478:                              ;   in Loop: Header=BB428_10 Depth=1
	s_or_b32 exec_lo, exec_lo, s4
	v_mov_b32_e32 v8, 0
	s_mov_b32 s4, exec_lo
	v_cmpx_lt_u32_e32 0xffffff, v111
	s_cbranch_execz .LBB428_486
; %bb.479:                              ;   in Loop: Header=BB428_10 Depth=1
	v_lshrrev_b32_e32 v121, 24, v111
	v_bfrev_b32_e32 v8, 1
	s_mov_b32 s20, exec_lo
	s_delay_alu instid0(VALU_DEP_2)
	v_cmpx_ne_u32_e32 0x80, v121
	s_cbranch_execz .LBB428_485
; %bb.480:                              ;   in Loop: Header=BB428_10 Depth=1
	v_bfe_u32 v122, v111, 24, 7
	v_mov_b32_e32 v8, 0x7f800001
	s_mov_b32 s21, exec_lo
	s_delay_alu instid0(VALU_DEP_2)
	v_cmpx_ne_u32_e32 0x7f, v122
	s_cbranch_execz .LBB428_484
; %bb.481:                              ;   in Loop: Header=BB428_10 Depth=1
	v_and_b32_e32 v8, 7, v121
	v_lshrrev_b32_e32 v111, 3, v122
	s_mov_b32 s22, exec_lo
	v_cmpx_gt_u32_e32 8, v122
; %bb.482:                              ;   in Loop: Header=BB428_10 Depth=1
	s_delay_alu instid0(VALU_DEP_3) | instskip(NEXT) | instid1(VALU_DEP_1)
	v_clz_i32_u32_e32 v111, v8
	v_min_u32_e32 v111, 32, v111
	s_delay_alu instid0(VALU_DEP_1) | instskip(SKIP_1) | instid1(VALU_DEP_2)
	v_subrev_nc_u32_e32 v122, 28, v111
	v_sub_nc_u32_e32 v111, 29, v111
	v_lshlrev_b64 v[122:123], v122, v[8:9]
	s_delay_alu instid0(VALU_DEP_1)
	v_and_b32_e32 v8, 7, v122
; %bb.483:                              ;   in Loop: Header=BB428_10 Depth=1
	s_or_b32 exec_lo, exec_lo, s22
	v_lshlrev_b32_e32 v121, 24, v121
	s_delay_alu instid0(VALU_DEP_2) | instskip(SKIP_1) | instid1(VALU_DEP_3)
	v_lshlrev_b32_e32 v8, 20, v8
	v_lshl_add_u32 v111, v111, 23, 0x3c000000
	v_and_b32_e32 v121, 0x80000000, v121
	s_delay_alu instid0(VALU_DEP_1)
	v_or3_b32 v8, v8, v121, v111
.LBB428_484:                            ;   in Loop: Header=BB428_10 Depth=1
	s_or_b32 exec_lo, exec_lo, s21
.LBB428_485:                            ;   in Loop: Header=BB428_10 Depth=1
	s_delay_alu instid0(SALU_CYCLE_1)
	s_or_b32 exec_lo, exec_lo, s20
.LBB428_486:                            ;   in Loop: Header=BB428_10 Depth=1
	s_delay_alu instid0(SALU_CYCLE_1) | instskip(NEXT) | instid1(VALU_DEP_1)
	s_or_b32 exec_lo, exec_lo, s4
	v_mul_f32_e32 v8, v41, v8
	s_delay_alu instid0(VALU_DEP_1) | instskip(NEXT) | instid1(VALU_DEP_1)
	v_and_b32_e32 v111, 0x7f800000, v8
	v_cmp_ne_u32_e64 s3, 0x7f800000, v111
                                        ; implicit-def: $vgpr111
	s_delay_alu instid0(VALU_DEP_1) | instskip(NEXT) | instid1(SALU_CYCLE_1)
	s_and_saveexec_b32 s4, s3
	s_xor_b32 s3, exec_lo, s4
; %bb.487:                              ;   in Loop: Header=BB428_10 Depth=1
	v_bfe_u32 v111, v8, 16, 1
	s_delay_alu instid0(VALU_DEP_1)
	v_add3_u32 v111, v8, v111, 0x7fff
                                        ; implicit-def: $vgpr8
; %bb.488:                              ;   in Loop: Header=BB428_10 Depth=1
	s_and_not1_saveexec_b32 s4, s3
; %bb.489:                              ;   in Loop: Header=BB428_10 Depth=1
	v_and_b32_e32 v111, 0xffff, v8
	v_or_b32_e32 v121, 0x10000, v8
	s_delay_alu instid0(VALU_DEP_2) | instskip(NEXT) | instid1(VALU_DEP_1)
	v_cmp_eq_u32_e64 s3, 0, v111
	v_cndmask_b32_e64 v111, v121, v8, s3
; %bb.490:                              ;   in Loop: Header=BB428_10 Depth=1
	s_or_b32 exec_lo, exec_lo, s4
	flat_load_b32 v123, v[28:29] offset:1280
	s_mov_b32 s4, exec_lo
	s_waitcnt vmcnt(0) lgkmcnt(0)
	v_dual_mov_b32 v8, 0 :: v_dual_and_b32 v121, 0xff, v123
	s_delay_alu instid0(VALU_DEP_1)
	v_cmpx_ne_u16_e32 0, v121
	s_cbranch_execz .LBB428_498
; %bb.491:                              ;   in Loop: Header=BB428_10 Depth=1
	v_bfrev_b32_e32 v8, 1
	s_mov_b32 s20, exec_lo
	v_cmpx_ne_u16_e32 0x80, v121
	s_cbranch_execz .LBB428_497
; %bb.492:                              ;   in Loop: Header=BB428_10 Depth=1
	v_and_b32_e32 v122, 0x7f, v123
	v_mov_b32_e32 v8, 0x7f800001
	s_mov_b32 s21, exec_lo
	s_delay_alu instid0(VALU_DEP_2)
	v_cmpx_ne_u32_e32 0x7f, v122
	s_cbranch_execz .LBB428_496
; %bb.493:                              ;   in Loop: Header=BB428_10 Depth=1
	v_and_b32_e32 v8, 7, v123
	v_lshrrev_b32_e32 v121, 3, v122
	s_mov_b32 s22, exec_lo
	v_cmpx_gt_u32_e32 8, v122
; %bb.494:                              ;   in Loop: Header=BB428_10 Depth=1
	s_delay_alu instid0(VALU_DEP_3) | instskip(NEXT) | instid1(VALU_DEP_1)
	v_clz_i32_u32_e32 v121, v8
	v_min_u32_e32 v121, 32, v121
	s_delay_alu instid0(VALU_DEP_1) | instskip(SKIP_1) | instid1(VALU_DEP_2)
	v_subrev_nc_u32_e32 v122, 28, v121
	v_sub_nc_u32_e32 v121, 29, v121
	v_lshlrev_b64 v[124:125], v122, v[8:9]
	s_delay_alu instid0(VALU_DEP_1)
	v_and_b32_e32 v8, 7, v124
; %bb.495:                              ;   in Loop: Header=BB428_10 Depth=1
	s_or_b32 exec_lo, exec_lo, s22
	v_lshlrev_b32_e32 v122, 24, v123
	s_delay_alu instid0(VALU_DEP_2) | instskip(SKIP_1) | instid1(VALU_DEP_3)
	v_lshlrev_b32_e32 v8, 20, v8
	v_lshl_add_u32 v121, v121, 23, 0x3c000000
	v_and_b32_e32 v122, 0x80000000, v122
	s_delay_alu instid0(VALU_DEP_1)
	v_or3_b32 v8, v8, v122, v121
.LBB428_496:                            ;   in Loop: Header=BB428_10 Depth=1
	s_or_b32 exec_lo, exec_lo, s21
.LBB428_497:                            ;   in Loop: Header=BB428_10 Depth=1
	s_delay_alu instid0(SALU_CYCLE_1)
	s_or_b32 exec_lo, exec_lo, s20
.LBB428_498:                            ;   in Loop: Header=BB428_10 Depth=1
	s_delay_alu instid0(SALU_CYCLE_1) | instskip(NEXT) | instid1(VALU_DEP_1)
	s_or_b32 exec_lo, exec_lo, s4
	v_mul_f32_e32 v8, v41, v8
	s_delay_alu instid0(VALU_DEP_1) | instskip(NEXT) | instid1(VALU_DEP_1)
	v_and_b32_e32 v121, 0x7f800000, v8
	v_cmp_ne_u32_e64 s3, 0x7f800000, v121
                                        ; implicit-def: $vgpr121
	s_delay_alu instid0(VALU_DEP_1) | instskip(NEXT) | instid1(SALU_CYCLE_1)
	s_and_saveexec_b32 s4, s3
	s_xor_b32 s3, exec_lo, s4
; %bb.499:                              ;   in Loop: Header=BB428_10 Depth=1
	v_bfe_u32 v121, v8, 16, 1
	s_delay_alu instid0(VALU_DEP_1)
	v_add3_u32 v121, v8, v121, 0x7fff
                                        ; implicit-def: $vgpr8
; %bb.500:                              ;   in Loop: Header=BB428_10 Depth=1
	s_and_not1_saveexec_b32 s4, s3
; %bb.501:                              ;   in Loop: Header=BB428_10 Depth=1
	v_and_b32_e32 v121, 0xffff, v8
	v_or_b32_e32 v122, 0x10000, v8
	s_delay_alu instid0(VALU_DEP_2) | instskip(NEXT) | instid1(VALU_DEP_1)
	v_cmp_eq_u32_e64 s3, 0, v121
	v_cndmask_b32_e64 v121, v122, v8, s3
; %bb.502:                              ;   in Loop: Header=BB428_10 Depth=1
	s_or_b32 exec_lo, exec_lo, s4
	v_lshrrev_b16 v122, 8, v123
	v_mov_b32_e32 v8, 0
	s_mov_b32 s4, exec_lo
	s_delay_alu instid0(VALU_DEP_2)
	v_cmpx_ne_u16_e32 0, v122
	s_cbranch_execz .LBB428_510
; %bb.503:                              ;   in Loop: Header=BB428_10 Depth=1
	v_bfrev_b32_e32 v8, 1
	s_mov_b32 s20, exec_lo
	v_cmpx_ne_u16_e32 0x80, v122
	s_cbranch_execz .LBB428_509
; %bb.504:                              ;   in Loop: Header=BB428_10 Depth=1
	v_and_b32_e32 v122, 0xffff, v122
	v_mov_b32_e32 v8, 0x7f800001
	s_mov_b32 s21, exec_lo
	s_delay_alu instid0(VALU_DEP_2) | instskip(NEXT) | instid1(VALU_DEP_1)
	v_and_b32_e32 v124, 0x7f, v122
	v_cmpx_ne_u32_e32 0x7f, v124
	s_cbranch_execz .LBB428_508
; %bb.505:                              ;   in Loop: Header=BB428_10 Depth=1
	v_and_b32_e32 v8, 7, v122
	v_lshrrev_b32_e32 v122, 3, v124
	s_mov_b32 s22, exec_lo
	v_cmpx_gt_u32_e32 8, v124
; %bb.506:                              ;   in Loop: Header=BB428_10 Depth=1
	s_delay_alu instid0(VALU_DEP_3) | instskip(NEXT) | instid1(VALU_DEP_1)
	v_clz_i32_u32_e32 v122, v8
	v_min_u32_e32 v122, 32, v122
	s_delay_alu instid0(VALU_DEP_1) | instskip(SKIP_1) | instid1(VALU_DEP_2)
	v_subrev_nc_u32_e32 v124, 28, v122
	v_sub_nc_u32_e32 v122, 29, v122
	v_lshlrev_b64 v[124:125], v124, v[8:9]
	s_delay_alu instid0(VALU_DEP_1)
	v_and_b32_e32 v8, 7, v124
; %bb.507:                              ;   in Loop: Header=BB428_10 Depth=1
	s_or_b32 exec_lo, exec_lo, s22
	v_lshlrev_b32_e32 v124, 16, v123
	s_delay_alu instid0(VALU_DEP_2) | instskip(SKIP_1) | instid1(VALU_DEP_3)
	v_lshlrev_b32_e32 v8, 20, v8
	v_lshl_add_u32 v122, v122, 23, 0x3c000000
	v_and_b32_e32 v124, 0x80000000, v124
	s_delay_alu instid0(VALU_DEP_1)
	v_or3_b32 v8, v8, v124, v122
.LBB428_508:                            ;   in Loop: Header=BB428_10 Depth=1
	s_or_b32 exec_lo, exec_lo, s21
.LBB428_509:                            ;   in Loop: Header=BB428_10 Depth=1
	s_delay_alu instid0(SALU_CYCLE_1)
	s_or_b32 exec_lo, exec_lo, s20
.LBB428_510:                            ;   in Loop: Header=BB428_10 Depth=1
	s_delay_alu instid0(SALU_CYCLE_1) | instskip(NEXT) | instid1(VALU_DEP_1)
	s_or_b32 exec_lo, exec_lo, s4
	v_mul_f32_e32 v8, v41, v8
	s_delay_alu instid0(VALU_DEP_1) | instskip(NEXT) | instid1(VALU_DEP_1)
	v_and_b32_e32 v122, 0x7f800000, v8
	v_cmp_ne_u32_e64 s3, 0x7f800000, v122
                                        ; implicit-def: $vgpr122
	s_delay_alu instid0(VALU_DEP_1) | instskip(NEXT) | instid1(SALU_CYCLE_1)
	s_and_saveexec_b32 s4, s3
	s_xor_b32 s3, exec_lo, s4
; %bb.511:                              ;   in Loop: Header=BB428_10 Depth=1
	v_bfe_u32 v122, v8, 16, 1
	s_delay_alu instid0(VALU_DEP_1)
	v_add3_u32 v122, v8, v122, 0x7fff
                                        ; implicit-def: $vgpr8
; %bb.512:                              ;   in Loop: Header=BB428_10 Depth=1
	s_and_not1_saveexec_b32 s4, s3
; %bb.513:                              ;   in Loop: Header=BB428_10 Depth=1
	v_and_b32_e32 v122, 0xffff, v8
	v_or_b32_e32 v124, 0x10000, v8
	s_delay_alu instid0(VALU_DEP_2) | instskip(NEXT) | instid1(VALU_DEP_1)
	v_cmp_eq_u32_e64 s3, 0, v122
	v_cndmask_b32_e64 v122, v124, v8, s3
; %bb.514:                              ;   in Loop: Header=BB428_10 Depth=1
	s_or_b32 exec_lo, exec_lo, s4
	v_lshrrev_b32_e32 v124, 16, v123
	s_mov_b32 s4, exec_lo
	s_delay_alu instid0(VALU_DEP_1) | instskip(NEXT) | instid1(VALU_DEP_1)
	v_dual_mov_b32 v8, 0 :: v_dual_and_b32 v125, 0xff, v124
	v_cmpx_ne_u16_e32 0, v125
	s_cbranch_execz .LBB428_522
; %bb.515:                              ;   in Loop: Header=BB428_10 Depth=1
	v_bfrev_b32_e32 v8, 1
	s_mov_b32 s20, exec_lo
	v_cmpx_ne_u16_e32 0x80, v125
	s_cbranch_execz .LBB428_521
; %bb.516:                              ;   in Loop: Header=BB428_10 Depth=1
	v_bfe_u32 v126, v123, 16, 7
	v_mov_b32_e32 v8, 0x7f800001
	s_mov_b32 s21, exec_lo
	s_delay_alu instid0(VALU_DEP_2)
	v_cmpx_ne_u32_e32 0x7f, v126
	s_cbranch_execz .LBB428_520
; %bb.517:                              ;   in Loop: Header=BB428_10 Depth=1
	v_and_b32_e32 v8, 7, v124
	v_lshrrev_b32_e32 v125, 3, v126
	s_mov_b32 s22, exec_lo
	v_cmpx_gt_u32_e32 8, v126
; %bb.518:                              ;   in Loop: Header=BB428_10 Depth=1
	s_delay_alu instid0(VALU_DEP_3) | instskip(NEXT) | instid1(VALU_DEP_1)
	v_clz_i32_u32_e32 v125, v8
	v_min_u32_e32 v125, 32, v125
	s_delay_alu instid0(VALU_DEP_1) | instskip(SKIP_1) | instid1(VALU_DEP_2)
	v_subrev_nc_u32_e32 v126, 28, v125
	v_sub_nc_u32_e32 v125, 29, v125
	v_lshlrev_b64 v[126:127], v126, v[8:9]
	s_delay_alu instid0(VALU_DEP_1)
	v_and_b32_e32 v8, 7, v126
; %bb.519:                              ;   in Loop: Header=BB428_10 Depth=1
	s_or_b32 exec_lo, exec_lo, s22
	v_lshlrev_b32_e32 v124, 24, v124
	s_delay_alu instid0(VALU_DEP_2) | instskip(SKIP_1) | instid1(VALU_DEP_3)
	v_lshlrev_b32_e32 v8, 20, v8
	v_lshl_add_u32 v125, v125, 23, 0x3c000000
	v_and_b32_e32 v124, 0x80000000, v124
	s_delay_alu instid0(VALU_DEP_1)
	v_or3_b32 v8, v8, v124, v125
.LBB428_520:                            ;   in Loop: Header=BB428_10 Depth=1
	s_or_b32 exec_lo, exec_lo, s21
.LBB428_521:                            ;   in Loop: Header=BB428_10 Depth=1
	s_delay_alu instid0(SALU_CYCLE_1)
	s_or_b32 exec_lo, exec_lo, s20
.LBB428_522:                            ;   in Loop: Header=BB428_10 Depth=1
	s_delay_alu instid0(SALU_CYCLE_1) | instskip(NEXT) | instid1(VALU_DEP_1)
	s_or_b32 exec_lo, exec_lo, s4
	v_mul_f32_e32 v8, v41, v8
	s_delay_alu instid0(VALU_DEP_1) | instskip(NEXT) | instid1(VALU_DEP_1)
	v_and_b32_e32 v124, 0x7f800000, v8
	v_cmp_ne_u32_e64 s3, 0x7f800000, v124
                                        ; implicit-def: $vgpr124
	s_delay_alu instid0(VALU_DEP_1) | instskip(NEXT) | instid1(SALU_CYCLE_1)
	s_and_saveexec_b32 s4, s3
	s_xor_b32 s3, exec_lo, s4
; %bb.523:                              ;   in Loop: Header=BB428_10 Depth=1
	v_bfe_u32 v124, v8, 16, 1
	s_delay_alu instid0(VALU_DEP_1)
	v_add3_u32 v124, v8, v124, 0x7fff
                                        ; implicit-def: $vgpr8
; %bb.524:                              ;   in Loop: Header=BB428_10 Depth=1
	s_and_not1_saveexec_b32 s4, s3
; %bb.525:                              ;   in Loop: Header=BB428_10 Depth=1
	v_and_b32_e32 v124, 0xffff, v8
	v_or_b32_e32 v125, 0x10000, v8
	s_delay_alu instid0(VALU_DEP_2) | instskip(NEXT) | instid1(VALU_DEP_1)
	v_cmp_eq_u32_e64 s3, 0, v124
	v_cndmask_b32_e64 v124, v125, v8, s3
; %bb.526:                              ;   in Loop: Header=BB428_10 Depth=1
	s_or_b32 exec_lo, exec_lo, s4
	v_mov_b32_e32 v8, 0
	s_mov_b32 s4, exec_lo
	v_cmpx_lt_u32_e32 0xffffff, v123
	s_cbranch_execz .LBB428_534
; %bb.527:                              ;   in Loop: Header=BB428_10 Depth=1
	v_lshrrev_b32_e32 v125, 24, v123
	v_bfrev_b32_e32 v8, 1
	s_mov_b32 s20, exec_lo
	s_delay_alu instid0(VALU_DEP_2)
	v_cmpx_ne_u32_e32 0x80, v125
	s_cbranch_execz .LBB428_533
; %bb.528:                              ;   in Loop: Header=BB428_10 Depth=1
	v_bfe_u32 v126, v123, 24, 7
	v_mov_b32_e32 v8, 0x7f800001
	s_mov_b32 s21, exec_lo
	s_delay_alu instid0(VALU_DEP_2)
	v_cmpx_ne_u32_e32 0x7f, v126
	s_cbranch_execz .LBB428_532
; %bb.529:                              ;   in Loop: Header=BB428_10 Depth=1
	v_and_b32_e32 v8, 7, v125
	v_lshrrev_b32_e32 v123, 3, v126
	s_mov_b32 s22, exec_lo
	v_cmpx_gt_u32_e32 8, v126
; %bb.530:                              ;   in Loop: Header=BB428_10 Depth=1
	s_delay_alu instid0(VALU_DEP_3) | instskip(NEXT) | instid1(VALU_DEP_1)
	v_clz_i32_u32_e32 v123, v8
	v_min_u32_e32 v123, 32, v123
	s_delay_alu instid0(VALU_DEP_1) | instskip(SKIP_1) | instid1(VALU_DEP_2)
	v_subrev_nc_u32_e32 v126, 28, v123
	v_sub_nc_u32_e32 v123, 29, v123
	v_lshlrev_b64 v[126:127], v126, v[8:9]
	s_delay_alu instid0(VALU_DEP_1)
	v_and_b32_e32 v8, 7, v126
; %bb.531:                              ;   in Loop: Header=BB428_10 Depth=1
	s_or_b32 exec_lo, exec_lo, s22
	v_lshlrev_b32_e32 v125, 24, v125
	s_delay_alu instid0(VALU_DEP_2) | instskip(SKIP_1) | instid1(VALU_DEP_3)
	v_lshlrev_b32_e32 v8, 20, v8
	v_lshl_add_u32 v123, v123, 23, 0x3c000000
	v_and_b32_e32 v125, 0x80000000, v125
	s_delay_alu instid0(VALU_DEP_1)
	v_or3_b32 v8, v8, v125, v123
.LBB428_532:                            ;   in Loop: Header=BB428_10 Depth=1
	s_or_b32 exec_lo, exec_lo, s21
.LBB428_533:                            ;   in Loop: Header=BB428_10 Depth=1
	s_delay_alu instid0(SALU_CYCLE_1)
	s_or_b32 exec_lo, exec_lo, s20
.LBB428_534:                            ;   in Loop: Header=BB428_10 Depth=1
	s_delay_alu instid0(SALU_CYCLE_1) | instskip(NEXT) | instid1(VALU_DEP_1)
	s_or_b32 exec_lo, exec_lo, s4
	v_mul_f32_e32 v8, v41, v8
	s_delay_alu instid0(VALU_DEP_1) | instskip(NEXT) | instid1(VALU_DEP_1)
	v_and_b32_e32 v123, 0x7f800000, v8
	v_cmp_ne_u32_e64 s3, 0x7f800000, v123
                                        ; implicit-def: $vgpr123
	s_delay_alu instid0(VALU_DEP_1) | instskip(NEXT) | instid1(SALU_CYCLE_1)
	s_and_saveexec_b32 s4, s3
	s_xor_b32 s3, exec_lo, s4
; %bb.535:                              ;   in Loop: Header=BB428_10 Depth=1
	v_bfe_u32 v123, v8, 16, 1
	s_delay_alu instid0(VALU_DEP_1)
	v_add3_u32 v123, v8, v123, 0x7fff
                                        ; implicit-def: $vgpr8
; %bb.536:                              ;   in Loop: Header=BB428_10 Depth=1
	s_and_not1_saveexec_b32 s4, s3
; %bb.537:                              ;   in Loop: Header=BB428_10 Depth=1
	v_and_b32_e32 v123, 0xffff, v8
	v_or_b32_e32 v125, 0x10000, v8
	s_delay_alu instid0(VALU_DEP_2) | instskip(NEXT) | instid1(VALU_DEP_1)
	v_cmp_eq_u32_e64 s3, 0, v123
	v_cndmask_b32_e64 v123, v125, v8, s3
; %bb.538:                              ;   in Loop: Header=BB428_10 Depth=1
	s_or_b32 exec_lo, exec_lo, s4
	flat_load_b32 v127, v[28:29] offset:1288
	s_mov_b32 s4, exec_lo
	s_waitcnt vmcnt(0) lgkmcnt(0)
	v_dual_mov_b32 v8, 0 :: v_dual_and_b32 v125, 0xff, v127
	s_delay_alu instid0(VALU_DEP_1)
	v_cmpx_ne_u16_e32 0, v125
	s_cbranch_execz .LBB428_546
; %bb.539:                              ;   in Loop: Header=BB428_10 Depth=1
	v_bfrev_b32_e32 v8, 1
	s_mov_b32 s20, exec_lo
	v_cmpx_ne_u16_e32 0x80, v125
	s_cbranch_execz .LBB428_545
; %bb.540:                              ;   in Loop: Header=BB428_10 Depth=1
	v_and_b32_e32 v126, 0x7f, v127
	v_mov_b32_e32 v8, 0x7f800001
	s_mov_b32 s21, exec_lo
	s_delay_alu instid0(VALU_DEP_2)
	v_cmpx_ne_u32_e32 0x7f, v126
	s_cbranch_execz .LBB428_544
; %bb.541:                              ;   in Loop: Header=BB428_10 Depth=1
	v_and_b32_e32 v8, 7, v127
	v_lshrrev_b32_e32 v125, 3, v126
	s_mov_b32 s22, exec_lo
	v_cmpx_gt_u32_e32 8, v126
; %bb.542:                              ;   in Loop: Header=BB428_10 Depth=1
	s_delay_alu instid0(VALU_DEP_3) | instskip(NEXT) | instid1(VALU_DEP_1)
	v_clz_i32_u32_e32 v125, v8
	v_min_u32_e32 v125, 32, v125
	s_delay_alu instid0(VALU_DEP_1) | instskip(SKIP_1) | instid1(VALU_DEP_2)
	v_subrev_nc_u32_e32 v126, 28, v125
	v_sub_nc_u32_e32 v125, 29, v125
	v_lshlrev_b64 v[136:137], v126, v[8:9]
	s_delay_alu instid0(VALU_DEP_1)
	v_and_b32_e32 v8, 7, v136
; %bb.543:                              ;   in Loop: Header=BB428_10 Depth=1
	s_or_b32 exec_lo, exec_lo, s22
	v_lshlrev_b32_e32 v126, 24, v127
	s_delay_alu instid0(VALU_DEP_2) | instskip(SKIP_1) | instid1(VALU_DEP_3)
	v_lshlrev_b32_e32 v8, 20, v8
	v_lshl_add_u32 v125, v125, 23, 0x3c000000
	v_and_b32_e32 v126, 0x80000000, v126
	s_delay_alu instid0(VALU_DEP_1)
	v_or3_b32 v8, v8, v126, v125
.LBB428_544:                            ;   in Loop: Header=BB428_10 Depth=1
	s_or_b32 exec_lo, exec_lo, s21
.LBB428_545:                            ;   in Loop: Header=BB428_10 Depth=1
	s_delay_alu instid0(SALU_CYCLE_1)
	s_or_b32 exec_lo, exec_lo, s20
.LBB428_546:                            ;   in Loop: Header=BB428_10 Depth=1
	s_delay_alu instid0(SALU_CYCLE_1) | instskip(NEXT) | instid1(VALU_DEP_1)
	s_or_b32 exec_lo, exec_lo, s4
	v_mul_f32_e32 v8, v41, v8
	s_delay_alu instid0(VALU_DEP_1) | instskip(NEXT) | instid1(VALU_DEP_1)
	v_and_b32_e32 v125, 0x7f800000, v8
	v_cmp_ne_u32_e64 s3, 0x7f800000, v125
                                        ; implicit-def: $vgpr125
	s_delay_alu instid0(VALU_DEP_1) | instskip(NEXT) | instid1(SALU_CYCLE_1)
	s_and_saveexec_b32 s4, s3
	s_xor_b32 s3, exec_lo, s4
; %bb.547:                              ;   in Loop: Header=BB428_10 Depth=1
	v_bfe_u32 v125, v8, 16, 1
	s_delay_alu instid0(VALU_DEP_1)
	v_add3_u32 v125, v8, v125, 0x7fff
                                        ; implicit-def: $vgpr8
; %bb.548:                              ;   in Loop: Header=BB428_10 Depth=1
	s_and_not1_saveexec_b32 s4, s3
; %bb.549:                              ;   in Loop: Header=BB428_10 Depth=1
	v_and_b32_e32 v125, 0xffff, v8
	v_or_b32_e32 v126, 0x10000, v8
	s_delay_alu instid0(VALU_DEP_2) | instskip(NEXT) | instid1(VALU_DEP_1)
	v_cmp_eq_u32_e64 s3, 0, v125
	v_cndmask_b32_e64 v125, v126, v8, s3
; %bb.550:                              ;   in Loop: Header=BB428_10 Depth=1
	s_or_b32 exec_lo, exec_lo, s4
	v_lshrrev_b16 v126, 8, v127
	v_mov_b32_e32 v8, 0
	s_mov_b32 s4, exec_lo
	s_delay_alu instid0(VALU_DEP_2)
	v_cmpx_ne_u16_e32 0, v126
	s_cbranch_execz .LBB428_558
; %bb.551:                              ;   in Loop: Header=BB428_10 Depth=1
	v_bfrev_b32_e32 v8, 1
	s_mov_b32 s20, exec_lo
	v_cmpx_ne_u16_e32 0x80, v126
	s_cbranch_execz .LBB428_557
; %bb.552:                              ;   in Loop: Header=BB428_10 Depth=1
	v_and_b32_e32 v126, 0xffff, v126
	v_mov_b32_e32 v8, 0x7f800001
	s_mov_b32 s21, exec_lo
	s_delay_alu instid0(VALU_DEP_2) | instskip(NEXT) | instid1(VALU_DEP_1)
	v_and_b32_e32 v136, 0x7f, v126
	v_cmpx_ne_u32_e32 0x7f, v136
	s_cbranch_execz .LBB428_556
; %bb.553:                              ;   in Loop: Header=BB428_10 Depth=1
	v_and_b32_e32 v8, 7, v126
	v_lshrrev_b32_e32 v126, 3, v136
	s_mov_b32 s22, exec_lo
	v_cmpx_gt_u32_e32 8, v136
; %bb.554:                              ;   in Loop: Header=BB428_10 Depth=1
	s_delay_alu instid0(VALU_DEP_3) | instskip(NEXT) | instid1(VALU_DEP_1)
	v_clz_i32_u32_e32 v126, v8
	v_min_u32_e32 v126, 32, v126
	s_delay_alu instid0(VALU_DEP_1) | instskip(SKIP_1) | instid1(VALU_DEP_2)
	v_subrev_nc_u32_e32 v136, 28, v126
	v_sub_nc_u32_e32 v126, 29, v126
	v_lshlrev_b64 v[136:137], v136, v[8:9]
	s_delay_alu instid0(VALU_DEP_1)
	v_and_b32_e32 v8, 7, v136
; %bb.555:                              ;   in Loop: Header=BB428_10 Depth=1
	s_or_b32 exec_lo, exec_lo, s22
	v_lshlrev_b32_e32 v136, 16, v127
	s_delay_alu instid0(VALU_DEP_2) | instskip(SKIP_1) | instid1(VALU_DEP_3)
	v_lshlrev_b32_e32 v8, 20, v8
	v_lshl_add_u32 v126, v126, 23, 0x3c000000
	v_and_b32_e32 v136, 0x80000000, v136
	s_delay_alu instid0(VALU_DEP_1)
	v_or3_b32 v8, v8, v136, v126
.LBB428_556:                            ;   in Loop: Header=BB428_10 Depth=1
	s_or_b32 exec_lo, exec_lo, s21
.LBB428_557:                            ;   in Loop: Header=BB428_10 Depth=1
	s_delay_alu instid0(SALU_CYCLE_1)
	s_or_b32 exec_lo, exec_lo, s20
.LBB428_558:                            ;   in Loop: Header=BB428_10 Depth=1
	s_delay_alu instid0(SALU_CYCLE_1) | instskip(NEXT) | instid1(VALU_DEP_1)
	s_or_b32 exec_lo, exec_lo, s4
	v_mul_f32_e32 v8, v41, v8
	s_delay_alu instid0(VALU_DEP_1) | instskip(NEXT) | instid1(VALU_DEP_1)
	v_and_b32_e32 v126, 0x7f800000, v8
	v_cmp_ne_u32_e64 s3, 0x7f800000, v126
                                        ; implicit-def: $vgpr126
	s_delay_alu instid0(VALU_DEP_1) | instskip(NEXT) | instid1(SALU_CYCLE_1)
	s_and_saveexec_b32 s4, s3
	s_xor_b32 s3, exec_lo, s4
; %bb.559:                              ;   in Loop: Header=BB428_10 Depth=1
	v_bfe_u32 v126, v8, 16, 1
	s_delay_alu instid0(VALU_DEP_1)
	v_add3_u32 v126, v8, v126, 0x7fff
                                        ; implicit-def: $vgpr8
; %bb.560:                              ;   in Loop: Header=BB428_10 Depth=1
	s_and_not1_saveexec_b32 s4, s3
; %bb.561:                              ;   in Loop: Header=BB428_10 Depth=1
	v_and_b32_e32 v126, 0xffff, v8
	v_or_b32_e32 v136, 0x10000, v8
	s_delay_alu instid0(VALU_DEP_2) | instskip(NEXT) | instid1(VALU_DEP_1)
	v_cmp_eq_u32_e64 s3, 0, v126
	v_cndmask_b32_e64 v126, v136, v8, s3
; %bb.562:                              ;   in Loop: Header=BB428_10 Depth=1
	s_or_b32 exec_lo, exec_lo, s4
	v_lshrrev_b32_e32 v136, 16, v127
	s_mov_b32 s4, exec_lo
	s_delay_alu instid0(VALU_DEP_1) | instskip(NEXT) | instid1(VALU_DEP_1)
	v_dual_mov_b32 v8, 0 :: v_dual_and_b32 v137, 0xff, v136
	v_cmpx_ne_u16_e64 0, v137
	s_cbranch_execz .LBB428_570
; %bb.563:                              ;   in Loop: Header=BB428_10 Depth=1
	v_bfrev_b32_e32 v8, 1
	s_mov_b32 s20, exec_lo
	v_cmpx_ne_u16_e64 0x80, v137
	s_cbranch_execz .LBB428_569
; %bb.564:                              ;   in Loop: Header=BB428_10 Depth=1
	v_bfe_u32 v138, v127, 16, 7
	v_mov_b32_e32 v8, 0x7f800001
	s_mov_b32 s21, exec_lo
	s_delay_alu instid0(VALU_DEP_2)
	v_cmpx_ne_u32_e32 0x7f, v138
	s_cbranch_execz .LBB428_568
; %bb.565:                              ;   in Loop: Header=BB428_10 Depth=1
	v_and_b32_e32 v8, 7, v136
	v_lshrrev_b32_e32 v137, 3, v138
	s_mov_b32 s22, exec_lo
	v_cmpx_gt_u32_e32 8, v138
; %bb.566:                              ;   in Loop: Header=BB428_10 Depth=1
	s_delay_alu instid0(VALU_DEP_3) | instskip(NEXT) | instid1(VALU_DEP_1)
	v_clz_i32_u32_e32 v137, v8
	v_min_u32_e32 v137, 32, v137
	s_delay_alu instid0(VALU_DEP_1) | instskip(SKIP_1) | instid1(VALU_DEP_2)
	v_subrev_nc_u32_e32 v138, 28, v137
	v_sub_nc_u32_e32 v137, 29, v137
	v_lshlrev_b64 v[138:139], v138, v[8:9]
	s_delay_alu instid0(VALU_DEP_1)
	v_and_b32_e32 v8, 7, v138
; %bb.567:                              ;   in Loop: Header=BB428_10 Depth=1
	s_or_b32 exec_lo, exec_lo, s22
	v_lshlrev_b32_e32 v136, 24, v136
	s_delay_alu instid0(VALU_DEP_2) | instskip(SKIP_1) | instid1(VALU_DEP_3)
	v_lshlrev_b32_e32 v8, 20, v8
	v_lshl_add_u32 v137, v137, 23, 0x3c000000
	v_and_b32_e32 v136, 0x80000000, v136
	s_delay_alu instid0(VALU_DEP_1)
	v_or3_b32 v8, v8, v136, v137
.LBB428_568:                            ;   in Loop: Header=BB428_10 Depth=1
	s_or_b32 exec_lo, exec_lo, s21
.LBB428_569:                            ;   in Loop: Header=BB428_10 Depth=1
	s_delay_alu instid0(SALU_CYCLE_1)
	s_or_b32 exec_lo, exec_lo, s20
.LBB428_570:                            ;   in Loop: Header=BB428_10 Depth=1
	s_delay_alu instid0(SALU_CYCLE_1) | instskip(NEXT) | instid1(VALU_DEP_1)
	s_or_b32 exec_lo, exec_lo, s4
	v_mul_f32_e32 v8, v41, v8
	s_delay_alu instid0(VALU_DEP_1) | instskip(NEXT) | instid1(VALU_DEP_1)
	v_and_b32_e32 v136, 0x7f800000, v8
	v_cmp_ne_u32_e64 s3, 0x7f800000, v136
                                        ; implicit-def: $vgpr136
	s_delay_alu instid0(VALU_DEP_1) | instskip(NEXT) | instid1(SALU_CYCLE_1)
	s_and_saveexec_b32 s4, s3
	s_xor_b32 s3, exec_lo, s4
; %bb.571:                              ;   in Loop: Header=BB428_10 Depth=1
	v_bfe_u32 v136, v8, 16, 1
	s_delay_alu instid0(VALU_DEP_1)
	v_add3_u32 v136, v8, v136, 0x7fff
                                        ; implicit-def: $vgpr8
; %bb.572:                              ;   in Loop: Header=BB428_10 Depth=1
	s_and_not1_saveexec_b32 s4, s3
; %bb.573:                              ;   in Loop: Header=BB428_10 Depth=1
	v_and_b32_e32 v136, 0xffff, v8
	v_or_b32_e32 v137, 0x10000, v8
	s_delay_alu instid0(VALU_DEP_2) | instskip(NEXT) | instid1(VALU_DEP_1)
	v_cmp_eq_u32_e64 s3, 0, v136
	v_cndmask_b32_e64 v136, v137, v8, s3
; %bb.574:                              ;   in Loop: Header=BB428_10 Depth=1
	s_or_b32 exec_lo, exec_lo, s4
	v_mov_b32_e32 v8, 0
	s_mov_b32 s4, exec_lo
	v_cmpx_lt_u32_e32 0xffffff, v127
	s_cbranch_execz .LBB428_582
; %bb.575:                              ;   in Loop: Header=BB428_10 Depth=1
	v_lshrrev_b32_e32 v137, 24, v127
	v_bfrev_b32_e32 v8, 1
	s_mov_b32 s20, exec_lo
	s_delay_alu instid0(VALU_DEP_2)
	v_cmpx_ne_u32_e32 0x80, v137
	s_cbranch_execz .LBB428_581
; %bb.576:                              ;   in Loop: Header=BB428_10 Depth=1
	v_bfe_u32 v138, v127, 24, 7
	v_mov_b32_e32 v8, 0x7f800001
	s_mov_b32 s21, exec_lo
	s_delay_alu instid0(VALU_DEP_2)
	v_cmpx_ne_u32_e32 0x7f, v138
	s_cbranch_execz .LBB428_580
; %bb.577:                              ;   in Loop: Header=BB428_10 Depth=1
	v_and_b32_e32 v8, 7, v137
	v_lshrrev_b32_e32 v127, 3, v138
	s_mov_b32 s22, exec_lo
	v_cmpx_gt_u32_e32 8, v138
; %bb.578:                              ;   in Loop: Header=BB428_10 Depth=1
	s_delay_alu instid0(VALU_DEP_3) | instskip(NEXT) | instid1(VALU_DEP_1)
	v_clz_i32_u32_e32 v127, v8
	v_min_u32_e32 v127, 32, v127
	s_delay_alu instid0(VALU_DEP_1) | instskip(SKIP_1) | instid1(VALU_DEP_2)
	v_subrev_nc_u32_e32 v138, 28, v127
	v_sub_nc_u32_e32 v127, 29, v127
	v_lshlrev_b64 v[138:139], v138, v[8:9]
	s_delay_alu instid0(VALU_DEP_1)
	v_and_b32_e32 v8, 7, v138
; %bb.579:                              ;   in Loop: Header=BB428_10 Depth=1
	s_or_b32 exec_lo, exec_lo, s22
	v_lshlrev_b32_e32 v137, 24, v137
	s_delay_alu instid0(VALU_DEP_2) | instskip(SKIP_1) | instid1(VALU_DEP_3)
	v_lshlrev_b32_e32 v8, 20, v8
	v_lshl_add_u32 v127, v127, 23, 0x3c000000
	v_and_b32_e32 v137, 0x80000000, v137
	s_delay_alu instid0(VALU_DEP_1)
	v_or3_b32 v8, v8, v137, v127
.LBB428_580:                            ;   in Loop: Header=BB428_10 Depth=1
	s_or_b32 exec_lo, exec_lo, s21
.LBB428_581:                            ;   in Loop: Header=BB428_10 Depth=1
	s_delay_alu instid0(SALU_CYCLE_1)
	s_or_b32 exec_lo, exec_lo, s20
.LBB428_582:                            ;   in Loop: Header=BB428_10 Depth=1
	s_delay_alu instid0(SALU_CYCLE_1) | instskip(NEXT) | instid1(VALU_DEP_1)
	s_or_b32 exec_lo, exec_lo, s4
	v_mul_f32_e32 v8, v41, v8
	s_delay_alu instid0(VALU_DEP_1) | instskip(NEXT) | instid1(VALU_DEP_1)
	v_and_b32_e32 v127, 0x7f800000, v8
	v_cmp_ne_u32_e64 s3, 0x7f800000, v127
                                        ; implicit-def: $vgpr127
	s_delay_alu instid0(VALU_DEP_1) | instskip(NEXT) | instid1(SALU_CYCLE_1)
	s_and_saveexec_b32 s4, s3
	s_xor_b32 s3, exec_lo, s4
; %bb.583:                              ;   in Loop: Header=BB428_10 Depth=1
	v_bfe_u32 v127, v8, 16, 1
	s_delay_alu instid0(VALU_DEP_1)
	v_add3_u32 v127, v8, v127, 0x7fff
                                        ; implicit-def: $vgpr8
; %bb.584:                              ;   in Loop: Header=BB428_10 Depth=1
	s_and_not1_saveexec_b32 s4, s3
; %bb.585:                              ;   in Loop: Header=BB428_10 Depth=1
	v_and_b32_e32 v127, 0xffff, v8
	v_or_b32_e32 v137, 0x10000, v8
	s_delay_alu instid0(VALU_DEP_2) | instskip(NEXT) | instid1(VALU_DEP_1)
	v_cmp_eq_u32_e64 s3, 0, v127
	v_cndmask_b32_e64 v127, v137, v8, s3
; %bb.586:                              ;   in Loop: Header=BB428_10 Depth=1
	s_or_b32 exec_lo, exec_lo, s4
	flat_load_b32 v139, v[28:29] offset:1536
	s_mov_b32 s4, exec_lo
	s_waitcnt vmcnt(0) lgkmcnt(0)
	v_dual_mov_b32 v8, 0 :: v_dual_and_b32 v137, 0xff, v139
	s_delay_alu instid0(VALU_DEP_1)
	v_cmpx_ne_u16_e64 0, v137
	s_cbranch_execz .LBB428_594
; %bb.587:                              ;   in Loop: Header=BB428_10 Depth=1
	v_bfrev_b32_e32 v8, 1
	s_mov_b32 s20, exec_lo
	v_cmpx_ne_u16_e64 0x80, v137
	s_cbranch_execz .LBB428_593
; %bb.588:                              ;   in Loop: Header=BB428_10 Depth=1
	v_and_b32_e32 v138, 0x7f, v139
	v_mov_b32_e32 v8, 0x7f800001
	s_mov_b32 s21, exec_lo
	s_delay_alu instid0(VALU_DEP_2)
	v_cmpx_ne_u32_e32 0x7f, v138
	s_cbranch_execz .LBB428_592
; %bb.589:                              ;   in Loop: Header=BB428_10 Depth=1
	v_and_b32_e32 v8, 7, v139
	v_lshrrev_b32_e32 v137, 3, v138
	s_mov_b32 s22, exec_lo
	v_cmpx_gt_u32_e32 8, v138
; %bb.590:                              ;   in Loop: Header=BB428_10 Depth=1
	s_delay_alu instid0(VALU_DEP_3) | instskip(NEXT) | instid1(VALU_DEP_1)
	v_clz_i32_u32_e32 v137, v8
	v_min_u32_e32 v137, 32, v137
	s_delay_alu instid0(VALU_DEP_1) | instskip(SKIP_1) | instid1(VALU_DEP_2)
	v_subrev_nc_u32_e32 v138, 28, v137
	v_sub_nc_u32_e32 v137, 29, v137
	v_lshlrev_b64 v[140:141], v138, v[8:9]
	s_delay_alu instid0(VALU_DEP_1)
	v_and_b32_e32 v8, 7, v140
; %bb.591:                              ;   in Loop: Header=BB428_10 Depth=1
	s_or_b32 exec_lo, exec_lo, s22
	v_lshlrev_b32_e32 v138, 24, v139
	s_delay_alu instid0(VALU_DEP_2) | instskip(SKIP_1) | instid1(VALU_DEP_3)
	v_lshlrev_b32_e32 v8, 20, v8
	v_lshl_add_u32 v137, v137, 23, 0x3c000000
	v_and_b32_e32 v138, 0x80000000, v138
	s_delay_alu instid0(VALU_DEP_1)
	v_or3_b32 v8, v8, v138, v137
.LBB428_592:                            ;   in Loop: Header=BB428_10 Depth=1
	s_or_b32 exec_lo, exec_lo, s21
.LBB428_593:                            ;   in Loop: Header=BB428_10 Depth=1
	s_delay_alu instid0(SALU_CYCLE_1)
	s_or_b32 exec_lo, exec_lo, s20
.LBB428_594:                            ;   in Loop: Header=BB428_10 Depth=1
	s_delay_alu instid0(SALU_CYCLE_1) | instskip(NEXT) | instid1(VALU_DEP_1)
	s_or_b32 exec_lo, exec_lo, s4
	v_mul_f32_e32 v8, v41, v8
	s_delay_alu instid0(VALU_DEP_1) | instskip(NEXT) | instid1(VALU_DEP_1)
	v_and_b32_e32 v137, 0x7f800000, v8
	v_cmp_ne_u32_e64 s3, 0x7f800000, v137
                                        ; implicit-def: $vgpr137
	s_delay_alu instid0(VALU_DEP_1) | instskip(NEXT) | instid1(SALU_CYCLE_1)
	s_and_saveexec_b32 s4, s3
	s_xor_b32 s3, exec_lo, s4
; %bb.595:                              ;   in Loop: Header=BB428_10 Depth=1
	v_bfe_u32 v137, v8, 16, 1
	s_delay_alu instid0(VALU_DEP_1)
	v_add3_u32 v137, v8, v137, 0x7fff
                                        ; implicit-def: $vgpr8
; %bb.596:                              ;   in Loop: Header=BB428_10 Depth=1
	s_and_not1_saveexec_b32 s4, s3
; %bb.597:                              ;   in Loop: Header=BB428_10 Depth=1
	v_and_b32_e32 v137, 0xffff, v8
	v_or_b32_e32 v138, 0x10000, v8
	s_delay_alu instid0(VALU_DEP_2) | instskip(NEXT) | instid1(VALU_DEP_1)
	v_cmp_eq_u32_e64 s3, 0, v137
	v_cndmask_b32_e64 v137, v138, v8, s3
; %bb.598:                              ;   in Loop: Header=BB428_10 Depth=1
	s_or_b32 exec_lo, exec_lo, s4
	v_lshrrev_b16 v138, 8, v139
	v_mov_b32_e32 v8, 0
	s_mov_b32 s4, exec_lo
	s_delay_alu instid0(VALU_DEP_2)
	v_cmpx_ne_u16_e64 0, v138
	s_cbranch_execz .LBB428_606
; %bb.599:                              ;   in Loop: Header=BB428_10 Depth=1
	v_bfrev_b32_e32 v8, 1
	s_mov_b32 s20, exec_lo
	v_cmpx_ne_u16_e64 0x80, v138
	s_cbranch_execz .LBB428_605
; %bb.600:                              ;   in Loop: Header=BB428_10 Depth=1
	v_and_b32_e32 v138, 0xffff, v138
	v_mov_b32_e32 v8, 0x7f800001
	s_mov_b32 s21, exec_lo
	s_delay_alu instid0(VALU_DEP_2) | instskip(NEXT) | instid1(VALU_DEP_1)
	v_and_b32_e32 v140, 0x7f, v138
	v_cmpx_ne_u32_e32 0x7f, v140
	s_cbranch_execz .LBB428_604
; %bb.601:                              ;   in Loop: Header=BB428_10 Depth=1
	v_and_b32_e32 v8, 7, v138
	v_lshrrev_b32_e32 v138, 3, v140
	s_mov_b32 s22, exec_lo
	v_cmpx_gt_u32_e32 8, v140
; %bb.602:                              ;   in Loop: Header=BB428_10 Depth=1
	s_delay_alu instid0(VALU_DEP_3) | instskip(NEXT) | instid1(VALU_DEP_1)
	v_clz_i32_u32_e32 v138, v8
	v_min_u32_e32 v138, 32, v138
	s_delay_alu instid0(VALU_DEP_1) | instskip(SKIP_1) | instid1(VALU_DEP_2)
	v_subrev_nc_u32_e32 v140, 28, v138
	v_sub_nc_u32_e32 v138, 29, v138
	v_lshlrev_b64 v[140:141], v140, v[8:9]
	s_delay_alu instid0(VALU_DEP_1)
	v_and_b32_e32 v8, 7, v140
; %bb.603:                              ;   in Loop: Header=BB428_10 Depth=1
	s_or_b32 exec_lo, exec_lo, s22
	v_lshlrev_b32_e32 v140, 16, v139
	s_delay_alu instid0(VALU_DEP_2) | instskip(SKIP_1) | instid1(VALU_DEP_3)
	v_lshlrev_b32_e32 v8, 20, v8
	v_lshl_add_u32 v138, v138, 23, 0x3c000000
	v_and_b32_e32 v140, 0x80000000, v140
	s_delay_alu instid0(VALU_DEP_1)
	v_or3_b32 v8, v8, v140, v138
.LBB428_604:                            ;   in Loop: Header=BB428_10 Depth=1
	s_or_b32 exec_lo, exec_lo, s21
.LBB428_605:                            ;   in Loop: Header=BB428_10 Depth=1
	s_delay_alu instid0(SALU_CYCLE_1)
	s_or_b32 exec_lo, exec_lo, s20
.LBB428_606:                            ;   in Loop: Header=BB428_10 Depth=1
	s_delay_alu instid0(SALU_CYCLE_1) | instskip(NEXT) | instid1(VALU_DEP_1)
	s_or_b32 exec_lo, exec_lo, s4
	v_mul_f32_e32 v8, v41, v8
	s_delay_alu instid0(VALU_DEP_1) | instskip(NEXT) | instid1(VALU_DEP_1)
	v_and_b32_e32 v138, 0x7f800000, v8
	v_cmp_ne_u32_e64 s3, 0x7f800000, v138
                                        ; implicit-def: $vgpr138
	s_delay_alu instid0(VALU_DEP_1) | instskip(NEXT) | instid1(SALU_CYCLE_1)
	s_and_saveexec_b32 s4, s3
	s_xor_b32 s3, exec_lo, s4
; %bb.607:                              ;   in Loop: Header=BB428_10 Depth=1
	v_bfe_u32 v138, v8, 16, 1
	s_delay_alu instid0(VALU_DEP_1)
	v_add3_u32 v138, v8, v138, 0x7fff
                                        ; implicit-def: $vgpr8
; %bb.608:                              ;   in Loop: Header=BB428_10 Depth=1
	s_and_not1_saveexec_b32 s4, s3
; %bb.609:                              ;   in Loop: Header=BB428_10 Depth=1
	v_and_b32_e32 v138, 0xffff, v8
	v_or_b32_e32 v140, 0x10000, v8
	s_delay_alu instid0(VALU_DEP_2) | instskip(NEXT) | instid1(VALU_DEP_1)
	v_cmp_eq_u32_e64 s3, 0, v138
	v_cndmask_b32_e64 v138, v140, v8, s3
; %bb.610:                              ;   in Loop: Header=BB428_10 Depth=1
	s_or_b32 exec_lo, exec_lo, s4
	v_lshrrev_b32_e32 v140, 16, v139
	s_mov_b32 s4, exec_lo
	s_delay_alu instid0(VALU_DEP_1) | instskip(NEXT) | instid1(VALU_DEP_1)
	v_dual_mov_b32 v8, 0 :: v_dual_and_b32 v141, 0xff, v140
	v_cmpx_ne_u16_e64 0, v141
	s_cbranch_execz .LBB428_618
; %bb.611:                              ;   in Loop: Header=BB428_10 Depth=1
	v_bfrev_b32_e32 v8, 1
	s_mov_b32 s20, exec_lo
	v_cmpx_ne_u16_e64 0x80, v141
	s_cbranch_execz .LBB428_617
; %bb.612:                              ;   in Loop: Header=BB428_10 Depth=1
	v_bfe_u32 v142, v139, 16, 7
	v_mov_b32_e32 v8, 0x7f800001
	s_mov_b32 s21, exec_lo
	s_delay_alu instid0(VALU_DEP_2)
	v_cmpx_ne_u32_e32 0x7f, v142
	s_cbranch_execz .LBB428_616
; %bb.613:                              ;   in Loop: Header=BB428_10 Depth=1
	v_and_b32_e32 v8, 7, v140
	v_lshrrev_b32_e32 v141, 3, v142
	s_mov_b32 s22, exec_lo
	v_cmpx_gt_u32_e32 8, v142
; %bb.614:                              ;   in Loop: Header=BB428_10 Depth=1
	s_delay_alu instid0(VALU_DEP_3) | instskip(NEXT) | instid1(VALU_DEP_1)
	v_clz_i32_u32_e32 v141, v8
	v_min_u32_e32 v141, 32, v141
	s_delay_alu instid0(VALU_DEP_1) | instskip(SKIP_1) | instid1(VALU_DEP_2)
	v_subrev_nc_u32_e32 v142, 28, v141
	v_sub_nc_u32_e32 v141, 29, v141
	v_lshlrev_b64 v[142:143], v142, v[8:9]
	s_delay_alu instid0(VALU_DEP_1)
	v_and_b32_e32 v8, 7, v142
; %bb.615:                              ;   in Loop: Header=BB428_10 Depth=1
	s_or_b32 exec_lo, exec_lo, s22
	v_lshlrev_b32_e32 v140, 24, v140
	s_delay_alu instid0(VALU_DEP_2) | instskip(SKIP_1) | instid1(VALU_DEP_3)
	v_lshlrev_b32_e32 v8, 20, v8
	v_lshl_add_u32 v141, v141, 23, 0x3c000000
	v_and_b32_e32 v140, 0x80000000, v140
	s_delay_alu instid0(VALU_DEP_1)
	v_or3_b32 v8, v8, v140, v141
.LBB428_616:                            ;   in Loop: Header=BB428_10 Depth=1
	s_or_b32 exec_lo, exec_lo, s21
.LBB428_617:                            ;   in Loop: Header=BB428_10 Depth=1
	s_delay_alu instid0(SALU_CYCLE_1)
	s_or_b32 exec_lo, exec_lo, s20
.LBB428_618:                            ;   in Loop: Header=BB428_10 Depth=1
	s_delay_alu instid0(SALU_CYCLE_1) | instskip(NEXT) | instid1(VALU_DEP_1)
	s_or_b32 exec_lo, exec_lo, s4
	v_mul_f32_e32 v8, v41, v8
	s_delay_alu instid0(VALU_DEP_1) | instskip(NEXT) | instid1(VALU_DEP_1)
	v_and_b32_e32 v140, 0x7f800000, v8
	v_cmp_ne_u32_e64 s3, 0x7f800000, v140
                                        ; implicit-def: $vgpr140
	s_delay_alu instid0(VALU_DEP_1) | instskip(NEXT) | instid1(SALU_CYCLE_1)
	s_and_saveexec_b32 s4, s3
	s_xor_b32 s3, exec_lo, s4
; %bb.619:                              ;   in Loop: Header=BB428_10 Depth=1
	v_bfe_u32 v140, v8, 16, 1
	s_delay_alu instid0(VALU_DEP_1)
	v_add3_u32 v140, v8, v140, 0x7fff
                                        ; implicit-def: $vgpr8
; %bb.620:                              ;   in Loop: Header=BB428_10 Depth=1
	s_and_not1_saveexec_b32 s4, s3
; %bb.621:                              ;   in Loop: Header=BB428_10 Depth=1
	v_and_b32_e32 v140, 0xffff, v8
	v_or_b32_e32 v141, 0x10000, v8
	s_delay_alu instid0(VALU_DEP_2) | instskip(NEXT) | instid1(VALU_DEP_1)
	v_cmp_eq_u32_e64 s3, 0, v140
	v_cndmask_b32_e64 v140, v141, v8, s3
; %bb.622:                              ;   in Loop: Header=BB428_10 Depth=1
	s_or_b32 exec_lo, exec_lo, s4
	v_mov_b32_e32 v8, 0
	s_mov_b32 s4, exec_lo
	v_cmpx_lt_u32_e32 0xffffff, v139
	s_cbranch_execz .LBB428_630
; %bb.623:                              ;   in Loop: Header=BB428_10 Depth=1
	v_lshrrev_b32_e32 v141, 24, v139
	v_bfrev_b32_e32 v8, 1
	s_mov_b32 s20, exec_lo
	s_delay_alu instid0(VALU_DEP_2)
	v_cmpx_ne_u32_e32 0x80, v141
	s_cbranch_execz .LBB428_629
; %bb.624:                              ;   in Loop: Header=BB428_10 Depth=1
	v_bfe_u32 v142, v139, 24, 7
	v_mov_b32_e32 v8, 0x7f800001
	s_mov_b32 s21, exec_lo
	s_delay_alu instid0(VALU_DEP_2)
	v_cmpx_ne_u32_e32 0x7f, v142
	s_cbranch_execz .LBB428_628
; %bb.625:                              ;   in Loop: Header=BB428_10 Depth=1
	v_and_b32_e32 v8, 7, v141
	v_lshrrev_b32_e32 v139, 3, v142
	s_mov_b32 s22, exec_lo
	v_cmpx_gt_u32_e32 8, v142
; %bb.626:                              ;   in Loop: Header=BB428_10 Depth=1
	s_delay_alu instid0(VALU_DEP_3) | instskip(NEXT) | instid1(VALU_DEP_1)
	v_clz_i32_u32_e32 v139, v8
	v_min_u32_e32 v139, 32, v139
	s_delay_alu instid0(VALU_DEP_1) | instskip(SKIP_1) | instid1(VALU_DEP_2)
	v_subrev_nc_u32_e32 v142, 28, v139
	v_sub_nc_u32_e32 v139, 29, v139
	v_lshlrev_b64 v[142:143], v142, v[8:9]
	s_delay_alu instid0(VALU_DEP_1)
	v_and_b32_e32 v8, 7, v142
; %bb.627:                              ;   in Loop: Header=BB428_10 Depth=1
	s_or_b32 exec_lo, exec_lo, s22
	v_lshlrev_b32_e32 v141, 24, v141
	s_delay_alu instid0(VALU_DEP_2) | instskip(SKIP_1) | instid1(VALU_DEP_3)
	v_lshlrev_b32_e32 v8, 20, v8
	v_lshl_add_u32 v139, v139, 23, 0x3c000000
	v_and_b32_e32 v141, 0x80000000, v141
	s_delay_alu instid0(VALU_DEP_1)
	v_or3_b32 v8, v8, v141, v139
.LBB428_628:                            ;   in Loop: Header=BB428_10 Depth=1
	s_or_b32 exec_lo, exec_lo, s21
.LBB428_629:                            ;   in Loop: Header=BB428_10 Depth=1
	s_delay_alu instid0(SALU_CYCLE_1)
	s_or_b32 exec_lo, exec_lo, s20
.LBB428_630:                            ;   in Loop: Header=BB428_10 Depth=1
	s_delay_alu instid0(SALU_CYCLE_1) | instskip(NEXT) | instid1(VALU_DEP_1)
	s_or_b32 exec_lo, exec_lo, s4
	v_mul_f32_e32 v8, v41, v8
	s_delay_alu instid0(VALU_DEP_1) | instskip(NEXT) | instid1(VALU_DEP_1)
	v_and_b32_e32 v139, 0x7f800000, v8
	v_cmp_ne_u32_e64 s3, 0x7f800000, v139
                                        ; implicit-def: $vgpr139
	s_delay_alu instid0(VALU_DEP_1) | instskip(NEXT) | instid1(SALU_CYCLE_1)
	s_and_saveexec_b32 s4, s3
	s_xor_b32 s3, exec_lo, s4
; %bb.631:                              ;   in Loop: Header=BB428_10 Depth=1
	v_bfe_u32 v139, v8, 16, 1
	s_delay_alu instid0(VALU_DEP_1)
	v_add3_u32 v139, v8, v139, 0x7fff
                                        ; implicit-def: $vgpr8
; %bb.632:                              ;   in Loop: Header=BB428_10 Depth=1
	s_and_not1_saveexec_b32 s4, s3
; %bb.633:                              ;   in Loop: Header=BB428_10 Depth=1
	v_and_b32_e32 v139, 0xffff, v8
	v_or_b32_e32 v141, 0x10000, v8
	s_delay_alu instid0(VALU_DEP_2) | instskip(NEXT) | instid1(VALU_DEP_1)
	v_cmp_eq_u32_e64 s3, 0, v139
	v_cndmask_b32_e64 v139, v141, v8, s3
; %bb.634:                              ;   in Loop: Header=BB428_10 Depth=1
	s_or_b32 exec_lo, exec_lo, s4
	flat_load_b32 v143, v[28:29] offset:1544
	s_mov_b32 s4, exec_lo
	s_waitcnt vmcnt(0) lgkmcnt(0)
	v_dual_mov_b32 v8, 0 :: v_dual_and_b32 v141, 0xff, v143
	s_delay_alu instid0(VALU_DEP_1)
	v_cmpx_ne_u16_e64 0, v141
	s_cbranch_execz .LBB428_642
; %bb.635:                              ;   in Loop: Header=BB428_10 Depth=1
	v_bfrev_b32_e32 v8, 1
	s_mov_b32 s20, exec_lo
	v_cmpx_ne_u16_e64 0x80, v141
	s_cbranch_execz .LBB428_641
; %bb.636:                              ;   in Loop: Header=BB428_10 Depth=1
	v_and_b32_e32 v142, 0x7f, v143
	v_mov_b32_e32 v8, 0x7f800001
	s_mov_b32 s21, exec_lo
	s_delay_alu instid0(VALU_DEP_2)
	v_cmpx_ne_u32_e32 0x7f, v142
	s_cbranch_execz .LBB428_640
; %bb.637:                              ;   in Loop: Header=BB428_10 Depth=1
	v_and_b32_e32 v8, 7, v143
	v_lshrrev_b32_e32 v141, 3, v142
	s_mov_b32 s22, exec_lo
	v_cmpx_gt_u32_e32 8, v142
; %bb.638:                              ;   in Loop: Header=BB428_10 Depth=1
	s_delay_alu instid0(VALU_DEP_3) | instskip(NEXT) | instid1(VALU_DEP_1)
	v_clz_i32_u32_e32 v141, v8
	v_min_u32_e32 v141, 32, v141
	s_delay_alu instid0(VALU_DEP_1) | instskip(SKIP_1) | instid1(VALU_DEP_2)
	v_subrev_nc_u32_e32 v142, 28, v141
	v_sub_nc_u32_e32 v141, 29, v141
	v_lshlrev_b64 v[152:153], v142, v[8:9]
	s_delay_alu instid0(VALU_DEP_1)
	v_and_b32_e32 v8, 7, v152
; %bb.639:                              ;   in Loop: Header=BB428_10 Depth=1
	s_or_b32 exec_lo, exec_lo, s22
	v_lshlrev_b32_e32 v142, 24, v143
	s_delay_alu instid0(VALU_DEP_2) | instskip(SKIP_1) | instid1(VALU_DEP_3)
	v_lshlrev_b32_e32 v8, 20, v8
	v_lshl_add_u32 v141, v141, 23, 0x3c000000
	v_and_b32_e32 v142, 0x80000000, v142
	s_delay_alu instid0(VALU_DEP_1)
	v_or3_b32 v8, v8, v142, v141
.LBB428_640:                            ;   in Loop: Header=BB428_10 Depth=1
	s_or_b32 exec_lo, exec_lo, s21
.LBB428_641:                            ;   in Loop: Header=BB428_10 Depth=1
	s_delay_alu instid0(SALU_CYCLE_1)
	s_or_b32 exec_lo, exec_lo, s20
.LBB428_642:                            ;   in Loop: Header=BB428_10 Depth=1
	s_delay_alu instid0(SALU_CYCLE_1) | instskip(NEXT) | instid1(VALU_DEP_1)
	s_or_b32 exec_lo, exec_lo, s4
	v_mul_f32_e32 v8, v41, v8
	s_delay_alu instid0(VALU_DEP_1) | instskip(NEXT) | instid1(VALU_DEP_1)
	v_and_b32_e32 v141, 0x7f800000, v8
	v_cmp_ne_u32_e64 s3, 0x7f800000, v141
                                        ; implicit-def: $vgpr141
	s_delay_alu instid0(VALU_DEP_1) | instskip(NEXT) | instid1(SALU_CYCLE_1)
	s_and_saveexec_b32 s4, s3
	s_xor_b32 s3, exec_lo, s4
; %bb.643:                              ;   in Loop: Header=BB428_10 Depth=1
	v_bfe_u32 v141, v8, 16, 1
	s_delay_alu instid0(VALU_DEP_1)
	v_add3_u32 v141, v8, v141, 0x7fff
                                        ; implicit-def: $vgpr8
; %bb.644:                              ;   in Loop: Header=BB428_10 Depth=1
	s_and_not1_saveexec_b32 s4, s3
; %bb.645:                              ;   in Loop: Header=BB428_10 Depth=1
	v_and_b32_e32 v141, 0xffff, v8
	v_or_b32_e32 v142, 0x10000, v8
	s_delay_alu instid0(VALU_DEP_2) | instskip(NEXT) | instid1(VALU_DEP_1)
	v_cmp_eq_u32_e64 s3, 0, v141
	v_cndmask_b32_e64 v141, v142, v8, s3
; %bb.646:                              ;   in Loop: Header=BB428_10 Depth=1
	s_or_b32 exec_lo, exec_lo, s4
	v_lshrrev_b16 v142, 8, v143
	v_mov_b32_e32 v8, 0
	s_mov_b32 s4, exec_lo
	s_delay_alu instid0(VALU_DEP_2)
	v_cmpx_ne_u16_e64 0, v142
	s_cbranch_execz .LBB428_654
; %bb.647:                              ;   in Loop: Header=BB428_10 Depth=1
	v_bfrev_b32_e32 v8, 1
	s_mov_b32 s20, exec_lo
	v_cmpx_ne_u16_e64 0x80, v142
	s_cbranch_execz .LBB428_653
; %bb.648:                              ;   in Loop: Header=BB428_10 Depth=1
	v_and_b32_e32 v142, 0xffff, v142
	v_mov_b32_e32 v8, 0x7f800001
	s_mov_b32 s21, exec_lo
	s_delay_alu instid0(VALU_DEP_2) | instskip(NEXT) | instid1(VALU_DEP_1)
	v_and_b32_e32 v152, 0x7f, v142
	v_cmpx_ne_u32_e32 0x7f, v152
	s_cbranch_execz .LBB428_652
; %bb.649:                              ;   in Loop: Header=BB428_10 Depth=1
	v_and_b32_e32 v8, 7, v142
	v_lshrrev_b32_e32 v142, 3, v152
	s_mov_b32 s22, exec_lo
	v_cmpx_gt_u32_e32 8, v152
; %bb.650:                              ;   in Loop: Header=BB428_10 Depth=1
	s_delay_alu instid0(VALU_DEP_3) | instskip(NEXT) | instid1(VALU_DEP_1)
	v_clz_i32_u32_e32 v142, v8
	v_min_u32_e32 v142, 32, v142
	s_delay_alu instid0(VALU_DEP_1) | instskip(SKIP_1) | instid1(VALU_DEP_2)
	v_subrev_nc_u32_e32 v152, 28, v142
	v_sub_nc_u32_e32 v142, 29, v142
	v_lshlrev_b64 v[152:153], v152, v[8:9]
	s_delay_alu instid0(VALU_DEP_1)
	v_and_b32_e32 v8, 7, v152
; %bb.651:                              ;   in Loop: Header=BB428_10 Depth=1
	s_or_b32 exec_lo, exec_lo, s22
	v_lshlrev_b32_e32 v152, 16, v143
	s_delay_alu instid0(VALU_DEP_2) | instskip(SKIP_1) | instid1(VALU_DEP_3)
	v_lshlrev_b32_e32 v8, 20, v8
	v_lshl_add_u32 v142, v142, 23, 0x3c000000
	v_and_b32_e32 v152, 0x80000000, v152
	s_delay_alu instid0(VALU_DEP_1)
	v_or3_b32 v8, v8, v152, v142
.LBB428_652:                            ;   in Loop: Header=BB428_10 Depth=1
	s_or_b32 exec_lo, exec_lo, s21
.LBB428_653:                            ;   in Loop: Header=BB428_10 Depth=1
	s_delay_alu instid0(SALU_CYCLE_1)
	s_or_b32 exec_lo, exec_lo, s20
.LBB428_654:                            ;   in Loop: Header=BB428_10 Depth=1
	s_delay_alu instid0(SALU_CYCLE_1) | instskip(NEXT) | instid1(VALU_DEP_1)
	s_or_b32 exec_lo, exec_lo, s4
	v_mul_f32_e32 v8, v41, v8
	s_delay_alu instid0(VALU_DEP_1) | instskip(NEXT) | instid1(VALU_DEP_1)
	v_and_b32_e32 v142, 0x7f800000, v8
	v_cmp_ne_u32_e64 s3, 0x7f800000, v142
                                        ; implicit-def: $vgpr142
	s_delay_alu instid0(VALU_DEP_1) | instskip(NEXT) | instid1(SALU_CYCLE_1)
	s_and_saveexec_b32 s4, s3
	s_xor_b32 s3, exec_lo, s4
; %bb.655:                              ;   in Loop: Header=BB428_10 Depth=1
	v_bfe_u32 v142, v8, 16, 1
	s_delay_alu instid0(VALU_DEP_1)
	v_add3_u32 v142, v8, v142, 0x7fff
                                        ; implicit-def: $vgpr8
; %bb.656:                              ;   in Loop: Header=BB428_10 Depth=1
	s_and_not1_saveexec_b32 s4, s3
; %bb.657:                              ;   in Loop: Header=BB428_10 Depth=1
	v_and_b32_e32 v142, 0xffff, v8
	v_or_b32_e32 v152, 0x10000, v8
	s_delay_alu instid0(VALU_DEP_2) | instskip(NEXT) | instid1(VALU_DEP_1)
	v_cmp_eq_u32_e64 s3, 0, v142
	v_cndmask_b32_e64 v142, v152, v8, s3
; %bb.658:                              ;   in Loop: Header=BB428_10 Depth=1
	s_or_b32 exec_lo, exec_lo, s4
	v_lshrrev_b32_e32 v152, 16, v143
	s_mov_b32 s4, exec_lo
	s_delay_alu instid0(VALU_DEP_1) | instskip(NEXT) | instid1(VALU_DEP_1)
	v_dual_mov_b32 v8, 0 :: v_dual_and_b32 v153, 0xff, v152
	v_cmpx_ne_u16_e64 0, v153
	s_cbranch_execz .LBB428_666
; %bb.659:                              ;   in Loop: Header=BB428_10 Depth=1
	v_bfrev_b32_e32 v8, 1
	s_mov_b32 s20, exec_lo
	v_cmpx_ne_u16_e64 0x80, v153
	s_cbranch_execz .LBB428_665
; %bb.660:                              ;   in Loop: Header=BB428_10 Depth=1
	v_bfe_u32 v154, v143, 16, 7
	v_mov_b32_e32 v8, 0x7f800001
	s_mov_b32 s21, exec_lo
	s_delay_alu instid0(VALU_DEP_2)
	v_cmpx_ne_u32_e32 0x7f, v154
	s_cbranch_execz .LBB428_664
; %bb.661:                              ;   in Loop: Header=BB428_10 Depth=1
	v_and_b32_e32 v8, 7, v152
	v_lshrrev_b32_e32 v153, 3, v154
	s_mov_b32 s22, exec_lo
	v_cmpx_gt_u32_e32 8, v154
; %bb.662:                              ;   in Loop: Header=BB428_10 Depth=1
	s_delay_alu instid0(VALU_DEP_3) | instskip(NEXT) | instid1(VALU_DEP_1)
	v_clz_i32_u32_e32 v153, v8
	v_min_u32_e32 v153, 32, v153
	s_delay_alu instid0(VALU_DEP_1) | instskip(SKIP_1) | instid1(VALU_DEP_2)
	v_subrev_nc_u32_e32 v154, 28, v153
	v_sub_nc_u32_e32 v153, 29, v153
	v_lshlrev_b64 v[154:155], v154, v[8:9]
	s_delay_alu instid0(VALU_DEP_1)
	v_and_b32_e32 v8, 7, v154
; %bb.663:                              ;   in Loop: Header=BB428_10 Depth=1
	s_or_b32 exec_lo, exec_lo, s22
	v_lshlrev_b32_e32 v152, 24, v152
	s_delay_alu instid0(VALU_DEP_2) | instskip(SKIP_1) | instid1(VALU_DEP_3)
	v_lshlrev_b32_e32 v8, 20, v8
	v_lshl_add_u32 v153, v153, 23, 0x3c000000
	v_and_b32_e32 v152, 0x80000000, v152
	s_delay_alu instid0(VALU_DEP_1)
	v_or3_b32 v8, v8, v152, v153
.LBB428_664:                            ;   in Loop: Header=BB428_10 Depth=1
	s_or_b32 exec_lo, exec_lo, s21
.LBB428_665:                            ;   in Loop: Header=BB428_10 Depth=1
	s_delay_alu instid0(SALU_CYCLE_1)
	s_or_b32 exec_lo, exec_lo, s20
.LBB428_666:                            ;   in Loop: Header=BB428_10 Depth=1
	s_delay_alu instid0(SALU_CYCLE_1) | instskip(NEXT) | instid1(VALU_DEP_1)
	s_or_b32 exec_lo, exec_lo, s4
	v_mul_f32_e32 v8, v41, v8
	s_delay_alu instid0(VALU_DEP_1) | instskip(NEXT) | instid1(VALU_DEP_1)
	v_and_b32_e32 v152, 0x7f800000, v8
	v_cmp_ne_u32_e64 s3, 0x7f800000, v152
                                        ; implicit-def: $vgpr152
	s_delay_alu instid0(VALU_DEP_1) | instskip(NEXT) | instid1(SALU_CYCLE_1)
	s_and_saveexec_b32 s4, s3
	s_xor_b32 s3, exec_lo, s4
; %bb.667:                              ;   in Loop: Header=BB428_10 Depth=1
	v_bfe_u32 v152, v8, 16, 1
	s_delay_alu instid0(VALU_DEP_1)
	v_add3_u32 v152, v8, v152, 0x7fff
                                        ; implicit-def: $vgpr8
; %bb.668:                              ;   in Loop: Header=BB428_10 Depth=1
	s_and_not1_saveexec_b32 s4, s3
; %bb.669:                              ;   in Loop: Header=BB428_10 Depth=1
	v_and_b32_e32 v152, 0xffff, v8
	v_or_b32_e32 v153, 0x10000, v8
	s_delay_alu instid0(VALU_DEP_2) | instskip(NEXT) | instid1(VALU_DEP_1)
	v_cmp_eq_u32_e64 s3, 0, v152
	v_cndmask_b32_e64 v152, v153, v8, s3
; %bb.670:                              ;   in Loop: Header=BB428_10 Depth=1
	s_or_b32 exec_lo, exec_lo, s4
	v_mov_b32_e32 v8, 0
	s_mov_b32 s4, exec_lo
	v_cmpx_lt_u32_e32 0xffffff, v143
	s_cbranch_execz .LBB428_678
; %bb.671:                              ;   in Loop: Header=BB428_10 Depth=1
	v_lshrrev_b32_e32 v153, 24, v143
	v_bfrev_b32_e32 v8, 1
	s_mov_b32 s20, exec_lo
	s_delay_alu instid0(VALU_DEP_2)
	v_cmpx_ne_u32_e32 0x80, v153
	s_cbranch_execz .LBB428_677
; %bb.672:                              ;   in Loop: Header=BB428_10 Depth=1
	v_bfe_u32 v154, v143, 24, 7
	v_mov_b32_e32 v8, 0x7f800001
	s_mov_b32 s21, exec_lo
	s_delay_alu instid0(VALU_DEP_2)
	v_cmpx_ne_u32_e32 0x7f, v154
	s_cbranch_execz .LBB428_676
; %bb.673:                              ;   in Loop: Header=BB428_10 Depth=1
	v_and_b32_e32 v8, 7, v153
	v_lshrrev_b32_e32 v143, 3, v154
	s_mov_b32 s22, exec_lo
	v_cmpx_gt_u32_e32 8, v154
; %bb.674:                              ;   in Loop: Header=BB428_10 Depth=1
	s_delay_alu instid0(VALU_DEP_3) | instskip(NEXT) | instid1(VALU_DEP_1)
	v_clz_i32_u32_e32 v143, v8
	v_min_u32_e32 v143, 32, v143
	s_delay_alu instid0(VALU_DEP_1) | instskip(SKIP_1) | instid1(VALU_DEP_2)
	v_subrev_nc_u32_e32 v154, 28, v143
	v_sub_nc_u32_e32 v143, 29, v143
	v_lshlrev_b64 v[154:155], v154, v[8:9]
	s_delay_alu instid0(VALU_DEP_1)
	v_and_b32_e32 v8, 7, v154
; %bb.675:                              ;   in Loop: Header=BB428_10 Depth=1
	s_or_b32 exec_lo, exec_lo, s22
	v_lshlrev_b32_e32 v153, 24, v153
	s_delay_alu instid0(VALU_DEP_2) | instskip(SKIP_1) | instid1(VALU_DEP_3)
	v_lshlrev_b32_e32 v8, 20, v8
	v_lshl_add_u32 v143, v143, 23, 0x3c000000
	v_and_b32_e32 v153, 0x80000000, v153
	s_delay_alu instid0(VALU_DEP_1)
	v_or3_b32 v8, v8, v153, v143
.LBB428_676:                            ;   in Loop: Header=BB428_10 Depth=1
	s_or_b32 exec_lo, exec_lo, s21
.LBB428_677:                            ;   in Loop: Header=BB428_10 Depth=1
	s_delay_alu instid0(SALU_CYCLE_1)
	s_or_b32 exec_lo, exec_lo, s20
.LBB428_678:                            ;   in Loop: Header=BB428_10 Depth=1
	s_delay_alu instid0(SALU_CYCLE_1) | instskip(NEXT) | instid1(VALU_DEP_1)
	s_or_b32 exec_lo, exec_lo, s4
	v_mul_f32_e32 v8, v41, v8
	s_delay_alu instid0(VALU_DEP_1) | instskip(NEXT) | instid1(VALU_DEP_1)
	v_and_b32_e32 v143, 0x7f800000, v8
	v_cmp_ne_u32_e64 s3, 0x7f800000, v143
                                        ; implicit-def: $vgpr143
	s_delay_alu instid0(VALU_DEP_1) | instskip(NEXT) | instid1(SALU_CYCLE_1)
	s_and_saveexec_b32 s4, s3
	s_xor_b32 s3, exec_lo, s4
; %bb.679:                              ;   in Loop: Header=BB428_10 Depth=1
	v_bfe_u32 v143, v8, 16, 1
	s_delay_alu instid0(VALU_DEP_1)
	v_add3_u32 v143, v8, v143, 0x7fff
                                        ; implicit-def: $vgpr8
; %bb.680:                              ;   in Loop: Header=BB428_10 Depth=1
	s_and_not1_saveexec_b32 s4, s3
; %bb.681:                              ;   in Loop: Header=BB428_10 Depth=1
	v_and_b32_e32 v143, 0xffff, v8
	v_or_b32_e32 v153, 0x10000, v8
	s_delay_alu instid0(VALU_DEP_2) | instskip(NEXT) | instid1(VALU_DEP_1)
	v_cmp_eq_u32_e64 s3, 0, v143
	v_cndmask_b32_e64 v143, v153, v8, s3
; %bb.682:                              ;   in Loop: Header=BB428_10 Depth=1
	s_or_b32 exec_lo, exec_lo, s4
	flat_load_b32 v156, v[28:29] offset:1792
	s_mov_b32 s4, exec_lo
	s_waitcnt vmcnt(0) lgkmcnt(0)
	v_dual_mov_b32 v8, 0 :: v_dual_and_b32 v153, 0xff, v156
	s_delay_alu instid0(VALU_DEP_1)
	v_cmpx_ne_u16_e64 0, v153
	s_cbranch_execz .LBB428_690
; %bb.683:                              ;   in Loop: Header=BB428_10 Depth=1
	v_bfrev_b32_e32 v8, 1
	s_mov_b32 s20, exec_lo
	v_cmpx_ne_u16_e64 0x80, v153
	s_cbranch_execz .LBB428_689
; %bb.684:                              ;   in Loop: Header=BB428_10 Depth=1
	v_and_b32_e32 v154, 0x7f, v156
	v_mov_b32_e32 v8, 0x7f800001
	s_mov_b32 s21, exec_lo
	s_delay_alu instid0(VALU_DEP_2)
	v_cmpx_ne_u32_e32 0x7f, v154
	s_cbranch_execz .LBB428_688
; %bb.685:                              ;   in Loop: Header=BB428_10 Depth=1
	v_and_b32_e32 v8, 7, v156
	v_lshrrev_b32_e32 v153, 3, v154
	s_mov_b32 s22, exec_lo
	v_cmpx_gt_u32_e32 8, v154
; %bb.686:                              ;   in Loop: Header=BB428_10 Depth=1
	s_delay_alu instid0(VALU_DEP_3) | instskip(NEXT) | instid1(VALU_DEP_1)
	v_clz_i32_u32_e32 v153, v8
	v_min_u32_e32 v153, 32, v153
	s_delay_alu instid0(VALU_DEP_1) | instskip(SKIP_1) | instid1(VALU_DEP_2)
	v_subrev_nc_u32_e32 v154, 28, v153
	v_sub_nc_u32_e32 v153, 29, v153
	v_lshlrev_b64 v[154:155], v154, v[8:9]
	s_delay_alu instid0(VALU_DEP_1)
	v_and_b32_e32 v8, 7, v154
; %bb.687:                              ;   in Loop: Header=BB428_10 Depth=1
	s_or_b32 exec_lo, exec_lo, s22
	v_lshlrev_b32_e32 v154, 24, v156
	s_delay_alu instid0(VALU_DEP_2) | instskip(SKIP_1) | instid1(VALU_DEP_3)
	v_lshlrev_b32_e32 v8, 20, v8
	v_lshl_add_u32 v153, v153, 23, 0x3c000000
	v_and_b32_e32 v154, 0x80000000, v154
	s_delay_alu instid0(VALU_DEP_1)
	v_or3_b32 v8, v8, v154, v153
.LBB428_688:                            ;   in Loop: Header=BB428_10 Depth=1
	s_or_b32 exec_lo, exec_lo, s21
.LBB428_689:                            ;   in Loop: Header=BB428_10 Depth=1
	s_delay_alu instid0(SALU_CYCLE_1)
	s_or_b32 exec_lo, exec_lo, s20
.LBB428_690:                            ;   in Loop: Header=BB428_10 Depth=1
	s_delay_alu instid0(SALU_CYCLE_1) | instskip(NEXT) | instid1(VALU_DEP_1)
	s_or_b32 exec_lo, exec_lo, s4
	v_mul_f32_e32 v8, v41, v8
	s_delay_alu instid0(VALU_DEP_1) | instskip(NEXT) | instid1(VALU_DEP_1)
	v_and_b32_e32 v153, 0x7f800000, v8
	v_cmp_ne_u32_e64 s3, 0x7f800000, v153
                                        ; implicit-def: $vgpr153
	s_delay_alu instid0(VALU_DEP_1) | instskip(NEXT) | instid1(SALU_CYCLE_1)
	s_and_saveexec_b32 s4, s3
	s_xor_b32 s3, exec_lo, s4
; %bb.691:                              ;   in Loop: Header=BB428_10 Depth=1
	v_bfe_u32 v153, v8, 16, 1
	s_delay_alu instid0(VALU_DEP_1)
	v_add3_u32 v153, v8, v153, 0x7fff
                                        ; implicit-def: $vgpr8
; %bb.692:                              ;   in Loop: Header=BB428_10 Depth=1
	s_and_not1_saveexec_b32 s4, s3
; %bb.693:                              ;   in Loop: Header=BB428_10 Depth=1
	v_and_b32_e32 v153, 0xffff, v8
	v_or_b32_e32 v154, 0x10000, v8
	s_delay_alu instid0(VALU_DEP_2) | instskip(NEXT) | instid1(VALU_DEP_1)
	v_cmp_eq_u32_e64 s3, 0, v153
	v_cndmask_b32_e64 v153, v154, v8, s3
; %bb.694:                              ;   in Loop: Header=BB428_10 Depth=1
	s_or_b32 exec_lo, exec_lo, s4
	v_lshrrev_b16 v154, 8, v156
	v_mov_b32_e32 v8, 0
	s_mov_b32 s4, exec_lo
	s_delay_alu instid0(VALU_DEP_2)
	v_cmpx_ne_u16_e64 0, v154
	s_cbranch_execz .LBB428_702
; %bb.695:                              ;   in Loop: Header=BB428_10 Depth=1
	v_bfrev_b32_e32 v8, 1
	s_mov_b32 s20, exec_lo
	v_cmpx_ne_u16_e64 0x80, v154
	s_cbranch_execz .LBB428_701
; %bb.696:                              ;   in Loop: Header=BB428_10 Depth=1
	v_and_b32_e32 v154, 0xffff, v154
	v_mov_b32_e32 v8, 0x7f800001
	s_mov_b32 s21, exec_lo
	s_delay_alu instid0(VALU_DEP_2) | instskip(NEXT) | instid1(VALU_DEP_1)
	v_and_b32_e32 v155, 0x7f, v154
	v_cmpx_ne_u32_e32 0x7f, v155
	s_cbranch_execz .LBB428_700
; %bb.697:                              ;   in Loop: Header=BB428_10 Depth=1
	v_and_b32_e32 v8, 7, v154
	v_lshrrev_b32_e32 v154, 3, v155
	s_mov_b32 s22, exec_lo
	v_cmpx_gt_u32_e32 8, v155
; %bb.698:                              ;   in Loop: Header=BB428_10 Depth=1
	s_delay_alu instid0(VALU_DEP_3) | instskip(NEXT) | instid1(VALU_DEP_1)
	v_clz_i32_u32_e32 v154, v8
	v_min_u32_e32 v154, 32, v154
	s_delay_alu instid0(VALU_DEP_1) | instskip(SKIP_1) | instid1(VALU_DEP_2)
	v_subrev_nc_u32_e32 v155, 28, v154
	v_sub_nc_u32_e32 v154, 29, v154
	v_lshlrev_b64 v[157:158], v155, v[8:9]
	s_delay_alu instid0(VALU_DEP_1)
	v_and_b32_e32 v8, 7, v157
; %bb.699:                              ;   in Loop: Header=BB428_10 Depth=1
	s_or_b32 exec_lo, exec_lo, s22
	v_lshlrev_b32_e32 v155, 16, v156
	s_delay_alu instid0(VALU_DEP_2) | instskip(SKIP_1) | instid1(VALU_DEP_3)
	v_lshlrev_b32_e32 v8, 20, v8
	v_lshl_add_u32 v154, v154, 23, 0x3c000000
	v_and_b32_e32 v155, 0x80000000, v155
	s_delay_alu instid0(VALU_DEP_1)
	v_or3_b32 v8, v8, v155, v154
.LBB428_700:                            ;   in Loop: Header=BB428_10 Depth=1
	s_or_b32 exec_lo, exec_lo, s21
.LBB428_701:                            ;   in Loop: Header=BB428_10 Depth=1
	s_delay_alu instid0(SALU_CYCLE_1)
	s_or_b32 exec_lo, exec_lo, s20
.LBB428_702:                            ;   in Loop: Header=BB428_10 Depth=1
	s_delay_alu instid0(SALU_CYCLE_1) | instskip(NEXT) | instid1(VALU_DEP_1)
	s_or_b32 exec_lo, exec_lo, s4
	v_mul_f32_e32 v8, v41, v8
	s_delay_alu instid0(VALU_DEP_1) | instskip(NEXT) | instid1(VALU_DEP_1)
	v_and_b32_e32 v154, 0x7f800000, v8
	v_cmp_ne_u32_e64 s3, 0x7f800000, v154
                                        ; implicit-def: $vgpr154
	s_delay_alu instid0(VALU_DEP_1) | instskip(NEXT) | instid1(SALU_CYCLE_1)
	s_and_saveexec_b32 s4, s3
	s_xor_b32 s3, exec_lo, s4
; %bb.703:                              ;   in Loop: Header=BB428_10 Depth=1
	v_bfe_u32 v154, v8, 16, 1
	s_delay_alu instid0(VALU_DEP_1)
	v_add3_u32 v154, v8, v154, 0x7fff
                                        ; implicit-def: $vgpr8
; %bb.704:                              ;   in Loop: Header=BB428_10 Depth=1
	s_and_not1_saveexec_b32 s4, s3
; %bb.705:                              ;   in Loop: Header=BB428_10 Depth=1
	v_and_b32_e32 v154, 0xffff, v8
	v_or_b32_e32 v155, 0x10000, v8
	s_delay_alu instid0(VALU_DEP_2) | instskip(NEXT) | instid1(VALU_DEP_1)
	v_cmp_eq_u32_e64 s3, 0, v154
	v_cndmask_b32_e64 v154, v155, v8, s3
; %bb.706:                              ;   in Loop: Header=BB428_10 Depth=1
	s_or_b32 exec_lo, exec_lo, s4
	v_lshrrev_b32_e32 v155, 16, v156
	s_mov_b32 s4, exec_lo
	s_delay_alu instid0(VALU_DEP_1) | instskip(NEXT) | instid1(VALU_DEP_1)
	v_dual_mov_b32 v8, 0 :: v_dual_and_b32 v157, 0xff, v155
	v_cmpx_ne_u16_e64 0, v157
	s_cbranch_execz .LBB428_714
; %bb.707:                              ;   in Loop: Header=BB428_10 Depth=1
	v_bfrev_b32_e32 v8, 1
	s_mov_b32 s20, exec_lo
	v_cmpx_ne_u16_e64 0x80, v157
	s_cbranch_execz .LBB428_713
; %bb.708:                              ;   in Loop: Header=BB428_10 Depth=1
	v_bfe_u32 v158, v156, 16, 7
	v_mov_b32_e32 v8, 0x7f800001
	s_mov_b32 s21, exec_lo
	s_delay_alu instid0(VALU_DEP_2)
	v_cmpx_ne_u32_e32 0x7f, v158
	s_cbranch_execz .LBB428_712
; %bb.709:                              ;   in Loop: Header=BB428_10 Depth=1
	v_and_b32_e32 v8, 7, v155
	v_lshrrev_b32_e32 v157, 3, v158
	s_mov_b32 s22, exec_lo
	v_cmpx_gt_u32_e32 8, v158
; %bb.710:                              ;   in Loop: Header=BB428_10 Depth=1
	s_delay_alu instid0(VALU_DEP_3) | instskip(NEXT) | instid1(VALU_DEP_1)
	v_clz_i32_u32_e32 v157, v8
	v_min_u32_e32 v157, 32, v157
	s_delay_alu instid0(VALU_DEP_1) | instskip(SKIP_1) | instid1(VALU_DEP_2)
	v_subrev_nc_u32_e32 v158, 28, v157
	v_sub_nc_u32_e32 v157, 29, v157
	v_lshlrev_b64 v[158:159], v158, v[8:9]
	s_delay_alu instid0(VALU_DEP_1)
	v_and_b32_e32 v8, 7, v158
; %bb.711:                              ;   in Loop: Header=BB428_10 Depth=1
	s_or_b32 exec_lo, exec_lo, s22
	v_lshlrev_b32_e32 v155, 24, v155
	s_delay_alu instid0(VALU_DEP_2) | instskip(SKIP_1) | instid1(VALU_DEP_3)
	v_lshlrev_b32_e32 v8, 20, v8
	v_lshl_add_u32 v157, v157, 23, 0x3c000000
	v_and_b32_e32 v155, 0x80000000, v155
	s_delay_alu instid0(VALU_DEP_1)
	v_or3_b32 v8, v8, v155, v157
.LBB428_712:                            ;   in Loop: Header=BB428_10 Depth=1
	s_or_b32 exec_lo, exec_lo, s21
.LBB428_713:                            ;   in Loop: Header=BB428_10 Depth=1
	s_delay_alu instid0(SALU_CYCLE_1)
	s_or_b32 exec_lo, exec_lo, s20
.LBB428_714:                            ;   in Loop: Header=BB428_10 Depth=1
	s_delay_alu instid0(SALU_CYCLE_1) | instskip(NEXT) | instid1(VALU_DEP_1)
	s_or_b32 exec_lo, exec_lo, s4
	v_mul_f32_e32 v8, v41, v8
	s_delay_alu instid0(VALU_DEP_1) | instskip(NEXT) | instid1(VALU_DEP_1)
	v_and_b32_e32 v155, 0x7f800000, v8
	v_cmp_ne_u32_e64 s3, 0x7f800000, v155
                                        ; implicit-def: $vgpr155
	s_delay_alu instid0(VALU_DEP_1) | instskip(NEXT) | instid1(SALU_CYCLE_1)
	s_and_saveexec_b32 s4, s3
	s_xor_b32 s3, exec_lo, s4
; %bb.715:                              ;   in Loop: Header=BB428_10 Depth=1
	v_bfe_u32 v155, v8, 16, 1
	s_delay_alu instid0(VALU_DEP_1)
	v_add3_u32 v155, v8, v155, 0x7fff
                                        ; implicit-def: $vgpr8
; %bb.716:                              ;   in Loop: Header=BB428_10 Depth=1
	s_and_not1_saveexec_b32 s4, s3
; %bb.717:                              ;   in Loop: Header=BB428_10 Depth=1
	v_and_b32_e32 v155, 0xffff, v8
	v_or_b32_e32 v157, 0x10000, v8
	s_delay_alu instid0(VALU_DEP_2) | instskip(NEXT) | instid1(VALU_DEP_1)
	v_cmp_eq_u32_e64 s3, 0, v155
	v_cndmask_b32_e64 v155, v157, v8, s3
; %bb.718:                              ;   in Loop: Header=BB428_10 Depth=1
	s_or_b32 exec_lo, exec_lo, s4
	v_mov_b32_e32 v8, 0
	s_mov_b32 s4, exec_lo
	v_cmpx_lt_u32_e32 0xffffff, v156
	s_cbranch_execz .LBB428_726
; %bb.719:                              ;   in Loop: Header=BB428_10 Depth=1
	v_lshrrev_b32_e32 v157, 24, v156
	v_bfrev_b32_e32 v8, 1
	s_mov_b32 s20, exec_lo
	s_delay_alu instid0(VALU_DEP_2)
	v_cmpx_ne_u32_e32 0x80, v157
	s_cbranch_execz .LBB428_725
; %bb.720:                              ;   in Loop: Header=BB428_10 Depth=1
	v_bfe_u32 v158, v156, 24, 7
	v_mov_b32_e32 v8, 0x7f800001
	s_mov_b32 s21, exec_lo
	s_delay_alu instid0(VALU_DEP_2)
	v_cmpx_ne_u32_e32 0x7f, v158
	s_cbranch_execz .LBB428_724
; %bb.721:                              ;   in Loop: Header=BB428_10 Depth=1
	v_and_b32_e32 v8, 7, v157
	v_lshrrev_b32_e32 v156, 3, v158
	s_mov_b32 s22, exec_lo
	v_cmpx_gt_u32_e32 8, v158
; %bb.722:                              ;   in Loop: Header=BB428_10 Depth=1
	s_delay_alu instid0(VALU_DEP_3) | instskip(NEXT) | instid1(VALU_DEP_1)
	v_clz_i32_u32_e32 v156, v8
	v_min_u32_e32 v156, 32, v156
	s_delay_alu instid0(VALU_DEP_1) | instskip(SKIP_1) | instid1(VALU_DEP_2)
	v_subrev_nc_u32_e32 v158, 28, v156
	v_sub_nc_u32_e32 v156, 29, v156
	v_lshlrev_b64 v[158:159], v158, v[8:9]
	s_delay_alu instid0(VALU_DEP_1)
	v_and_b32_e32 v8, 7, v158
; %bb.723:                              ;   in Loop: Header=BB428_10 Depth=1
	s_or_b32 exec_lo, exec_lo, s22
	v_lshlrev_b32_e32 v157, 24, v157
	s_delay_alu instid0(VALU_DEP_2) | instskip(SKIP_1) | instid1(VALU_DEP_3)
	v_lshlrev_b32_e32 v8, 20, v8
	v_lshl_add_u32 v156, v156, 23, 0x3c000000
	v_and_b32_e32 v157, 0x80000000, v157
	s_delay_alu instid0(VALU_DEP_1)
	v_or3_b32 v8, v8, v157, v156
.LBB428_724:                            ;   in Loop: Header=BB428_10 Depth=1
	s_or_b32 exec_lo, exec_lo, s21
.LBB428_725:                            ;   in Loop: Header=BB428_10 Depth=1
	s_delay_alu instid0(SALU_CYCLE_1)
	s_or_b32 exec_lo, exec_lo, s20
.LBB428_726:                            ;   in Loop: Header=BB428_10 Depth=1
	s_delay_alu instid0(SALU_CYCLE_1) | instskip(NEXT) | instid1(VALU_DEP_1)
	s_or_b32 exec_lo, exec_lo, s4
	v_mul_f32_e32 v8, v41, v8
	s_delay_alu instid0(VALU_DEP_1) | instskip(NEXT) | instid1(VALU_DEP_1)
	v_and_b32_e32 v156, 0x7f800000, v8
	v_cmp_ne_u32_e64 s3, 0x7f800000, v156
                                        ; implicit-def: $vgpr156
	s_delay_alu instid0(VALU_DEP_1) | instskip(NEXT) | instid1(SALU_CYCLE_1)
	s_and_saveexec_b32 s4, s3
	s_xor_b32 s3, exec_lo, s4
; %bb.727:                              ;   in Loop: Header=BB428_10 Depth=1
	v_bfe_u32 v156, v8, 16, 1
	s_delay_alu instid0(VALU_DEP_1)
	v_add3_u32 v156, v8, v156, 0x7fff
                                        ; implicit-def: $vgpr8
; %bb.728:                              ;   in Loop: Header=BB428_10 Depth=1
	s_and_not1_saveexec_b32 s4, s3
; %bb.729:                              ;   in Loop: Header=BB428_10 Depth=1
	v_and_b32_e32 v156, 0xffff, v8
	v_or_b32_e32 v157, 0x10000, v8
	s_delay_alu instid0(VALU_DEP_2) | instskip(NEXT) | instid1(VALU_DEP_1)
	v_cmp_eq_u32_e64 s3, 0, v156
	v_cndmask_b32_e64 v156, v157, v8, s3
; %bb.730:                              ;   in Loop: Header=BB428_10 Depth=1
	s_or_b32 exec_lo, exec_lo, s4
	flat_load_b32 v29, v[28:29] offset:1800
	v_mov_b32_e32 v8, 0
	s_mov_b32 s4, exec_lo
	s_waitcnt vmcnt(0) lgkmcnt(0)
	v_and_b32_e32 v28, 0xff, v29
	s_delay_alu instid0(VALU_DEP_1)
	v_cmpx_ne_u16_e32 0, v28
	s_cbranch_execz .LBB428_738
; %bb.731:                              ;   in Loop: Header=BB428_10 Depth=1
	v_bfrev_b32_e32 v8, 1
	s_mov_b32 s20, exec_lo
	v_cmpx_ne_u16_e32 0x80, v28
	s_cbranch_execz .LBB428_737
; %bb.732:                              ;   in Loop: Header=BB428_10 Depth=1
	v_and_b32_e32 v157, 0x7f, v29
	v_mov_b32_e32 v8, 0x7f800001
	s_mov_b32 s21, exec_lo
	s_delay_alu instid0(VALU_DEP_2)
	v_cmpx_ne_u32_e32 0x7f, v157
	s_cbranch_execz .LBB428_736
; %bb.733:                              ;   in Loop: Header=BB428_10 Depth=1
	v_and_b32_e32 v8, 7, v29
	v_lshrrev_b32_e32 v28, 3, v157
	s_mov_b32 s22, exec_lo
	v_cmpx_gt_u32_e32 8, v157
; %bb.734:                              ;   in Loop: Header=BB428_10 Depth=1
	s_delay_alu instid0(VALU_DEP_3) | instskip(NEXT) | instid1(VALU_DEP_1)
	v_clz_i32_u32_e32 v28, v8
	v_min_u32_e32 v28, 32, v28
	s_delay_alu instid0(VALU_DEP_1) | instskip(SKIP_1) | instid1(VALU_DEP_2)
	v_subrev_nc_u32_e32 v157, 28, v28
	v_sub_nc_u32_e32 v28, 29, v28
	v_lshlrev_b64 v[157:158], v157, v[8:9]
	s_delay_alu instid0(VALU_DEP_1)
	v_and_b32_e32 v8, 7, v157
; %bb.735:                              ;   in Loop: Header=BB428_10 Depth=1
	s_or_b32 exec_lo, exec_lo, s22
	v_lshlrev_b32_e32 v157, 24, v29
	s_delay_alu instid0(VALU_DEP_2) | instskip(SKIP_1) | instid1(VALU_DEP_3)
	v_lshlrev_b32_e32 v8, 20, v8
	v_lshl_add_u32 v28, v28, 23, 0x3c000000
	v_and_b32_e32 v157, 0x80000000, v157
	s_delay_alu instid0(VALU_DEP_1)
	v_or3_b32 v8, v8, v157, v28
.LBB428_736:                            ;   in Loop: Header=BB428_10 Depth=1
	s_or_b32 exec_lo, exec_lo, s21
.LBB428_737:                            ;   in Loop: Header=BB428_10 Depth=1
	s_delay_alu instid0(SALU_CYCLE_1)
	s_or_b32 exec_lo, exec_lo, s20
.LBB428_738:                            ;   in Loop: Header=BB428_10 Depth=1
	s_delay_alu instid0(SALU_CYCLE_1) | instskip(NEXT) | instid1(VALU_DEP_1)
	s_or_b32 exec_lo, exec_lo, s4
	v_mul_f32_e32 v8, v41, v8
	s_delay_alu instid0(VALU_DEP_1) | instskip(NEXT) | instid1(VALU_DEP_1)
	v_and_b32_e32 v28, 0x7f800000, v8
	v_cmp_ne_u32_e64 s3, 0x7f800000, v28
                                        ; implicit-def: $vgpr28
	s_delay_alu instid0(VALU_DEP_1) | instskip(NEXT) | instid1(SALU_CYCLE_1)
	s_and_saveexec_b32 s4, s3
	s_xor_b32 s3, exec_lo, s4
; %bb.739:                              ;   in Loop: Header=BB428_10 Depth=1
	v_bfe_u32 v28, v8, 16, 1
	s_delay_alu instid0(VALU_DEP_1)
	v_add3_u32 v28, v8, v28, 0x7fff
                                        ; implicit-def: $vgpr8
; %bb.740:                              ;   in Loop: Header=BB428_10 Depth=1
	s_and_not1_saveexec_b32 s4, s3
; %bb.741:                              ;   in Loop: Header=BB428_10 Depth=1
	v_and_b32_e32 v28, 0xffff, v8
	v_or_b32_e32 v157, 0x10000, v8
	s_delay_alu instid0(VALU_DEP_2) | instskip(NEXT) | instid1(VALU_DEP_1)
	v_cmp_eq_u32_e64 s3, 0, v28
	v_cndmask_b32_e64 v28, v157, v8, s3
; %bb.742:                              ;   in Loop: Header=BB428_10 Depth=1
	s_or_b32 exec_lo, exec_lo, s4
	v_lshrrev_b16 v157, 8, v29
	v_mov_b32_e32 v8, 0
	s_mov_b32 s4, exec_lo
	s_delay_alu instid0(VALU_DEP_2)
	v_cmpx_ne_u16_e64 0, v157
	s_cbranch_execz .LBB428_750
; %bb.743:                              ;   in Loop: Header=BB428_10 Depth=1
	v_bfrev_b32_e32 v8, 1
	s_mov_b32 s20, exec_lo
	v_cmpx_ne_u16_e64 0x80, v157
	s_cbranch_execz .LBB428_749
; %bb.744:                              ;   in Loop: Header=BB428_10 Depth=1
	v_and_b32_e32 v157, 0xffff, v157
	v_mov_b32_e32 v8, 0x7f800001
	s_mov_b32 s21, exec_lo
	s_delay_alu instid0(VALU_DEP_2) | instskip(NEXT) | instid1(VALU_DEP_1)
	v_and_b32_e32 v158, 0x7f, v157
	v_cmpx_ne_u32_e32 0x7f, v158
	s_cbranch_execz .LBB428_748
; %bb.745:                              ;   in Loop: Header=BB428_10 Depth=1
	v_and_b32_e32 v8, 7, v157
	v_lshrrev_b32_e32 v157, 3, v158
	s_mov_b32 s22, exec_lo
	v_cmpx_gt_u32_e32 8, v158
; %bb.746:                              ;   in Loop: Header=BB428_10 Depth=1
	s_delay_alu instid0(VALU_DEP_3) | instskip(NEXT) | instid1(VALU_DEP_1)
	v_clz_i32_u32_e32 v157, v8
	v_min_u32_e32 v157, 32, v157
	s_delay_alu instid0(VALU_DEP_1) | instskip(SKIP_1) | instid1(VALU_DEP_2)
	v_subrev_nc_u32_e32 v158, 28, v157
	v_sub_nc_u32_e32 v157, 29, v157
	v_lshlrev_b64 v[158:159], v158, v[8:9]
	s_delay_alu instid0(VALU_DEP_1)
	v_and_b32_e32 v8, 7, v158
; %bb.747:                              ;   in Loop: Header=BB428_10 Depth=1
	s_or_b32 exec_lo, exec_lo, s22
	v_lshlrev_b32_e32 v158, 16, v29
	s_delay_alu instid0(VALU_DEP_2) | instskip(SKIP_1) | instid1(VALU_DEP_3)
	v_lshlrev_b32_e32 v8, 20, v8
	v_lshl_add_u32 v157, v157, 23, 0x3c000000
	v_and_b32_e32 v158, 0x80000000, v158
	s_delay_alu instid0(VALU_DEP_1)
	v_or3_b32 v8, v8, v158, v157
.LBB428_748:                            ;   in Loop: Header=BB428_10 Depth=1
	s_or_b32 exec_lo, exec_lo, s21
.LBB428_749:                            ;   in Loop: Header=BB428_10 Depth=1
	s_delay_alu instid0(SALU_CYCLE_1)
	s_or_b32 exec_lo, exec_lo, s20
.LBB428_750:                            ;   in Loop: Header=BB428_10 Depth=1
	s_delay_alu instid0(SALU_CYCLE_1) | instskip(NEXT) | instid1(VALU_DEP_1)
	s_or_b32 exec_lo, exec_lo, s4
	v_mul_f32_e32 v8, v41, v8
                                        ; implicit-def: $vgpr158
	s_delay_alu instid0(VALU_DEP_1) | instskip(NEXT) | instid1(VALU_DEP_1)
	v_and_b32_e32 v157, 0x7f800000, v8
	v_cmp_ne_u32_e64 s3, 0x7f800000, v157
	s_delay_alu instid0(VALU_DEP_1) | instskip(NEXT) | instid1(SALU_CYCLE_1)
	s_and_saveexec_b32 s4, s3
	s_xor_b32 s3, exec_lo, s4
; %bb.751:                              ;   in Loop: Header=BB428_10 Depth=1
	v_bfe_u32 v157, v8, 16, 1
	s_delay_alu instid0(VALU_DEP_1)
	v_add3_u32 v158, v8, v157, 0x7fff
                                        ; implicit-def: $vgpr8
; %bb.752:                              ;   in Loop: Header=BB428_10 Depth=1
	s_and_not1_saveexec_b32 s4, s3
; %bb.753:                              ;   in Loop: Header=BB428_10 Depth=1
	v_and_b32_e32 v157, 0xffff, v8
	v_or_b32_e32 v158, 0x10000, v8
	s_delay_alu instid0(VALU_DEP_2) | instskip(NEXT) | instid1(VALU_DEP_1)
	v_cmp_eq_u32_e64 s3, 0, v157
	v_cndmask_b32_e64 v158, v158, v8, s3
; %bb.754:                              ;   in Loop: Header=BB428_10 Depth=1
	s_or_b32 exec_lo, exec_lo, s4
	v_lshrrev_b32_e32 v157, 16, v29
	s_mov_b32 s4, exec_lo
	s_delay_alu instid0(VALU_DEP_1) | instskip(NEXT) | instid1(VALU_DEP_1)
	v_dual_mov_b32 v8, 0 :: v_dual_and_b32 v159, 0xff, v157
	v_cmpx_ne_u16_e64 0, v159
	s_cbranch_execz .LBB428_762
; %bb.755:                              ;   in Loop: Header=BB428_10 Depth=1
	v_bfrev_b32_e32 v8, 1
	s_mov_b32 s20, exec_lo
	v_cmpx_ne_u16_e64 0x80, v159
	s_cbranch_execz .LBB428_761
; %bb.756:                              ;   in Loop: Header=BB428_10 Depth=1
	v_bfe_u32 v168, v29, 16, 7
	v_mov_b32_e32 v8, 0x7f800001
	s_mov_b32 s21, exec_lo
	s_delay_alu instid0(VALU_DEP_2)
	v_cmpx_ne_u32_e32 0x7f, v168
	s_cbranch_execz .LBB428_760
; %bb.757:                              ;   in Loop: Header=BB428_10 Depth=1
	v_and_b32_e32 v8, 7, v157
	v_lshrrev_b32_e32 v159, 3, v168
	s_mov_b32 s22, exec_lo
	v_cmpx_gt_u32_e32 8, v168
; %bb.758:                              ;   in Loop: Header=BB428_10 Depth=1
	s_delay_alu instid0(VALU_DEP_3) | instskip(NEXT) | instid1(VALU_DEP_1)
	v_clz_i32_u32_e32 v159, v8
	v_min_u32_e32 v159, 32, v159
	s_delay_alu instid0(VALU_DEP_1) | instskip(SKIP_1) | instid1(VALU_DEP_2)
	v_subrev_nc_u32_e32 v168, 28, v159
	v_sub_nc_u32_e32 v159, 29, v159
	v_lshlrev_b64 v[168:169], v168, v[8:9]
	s_delay_alu instid0(VALU_DEP_1)
	v_and_b32_e32 v8, 7, v168
; %bb.759:                              ;   in Loop: Header=BB428_10 Depth=1
	s_or_b32 exec_lo, exec_lo, s22
	v_lshlrev_b32_e32 v157, 24, v157
	s_delay_alu instid0(VALU_DEP_2) | instskip(SKIP_1) | instid1(VALU_DEP_3)
	v_lshlrev_b32_e32 v8, 20, v8
	v_lshl_add_u32 v159, v159, 23, 0x3c000000
	v_and_b32_e32 v157, 0x80000000, v157
	s_delay_alu instid0(VALU_DEP_1)
	v_or3_b32 v8, v8, v157, v159
.LBB428_760:                            ;   in Loop: Header=BB428_10 Depth=1
	s_or_b32 exec_lo, exec_lo, s21
.LBB428_761:                            ;   in Loop: Header=BB428_10 Depth=1
	s_delay_alu instid0(SALU_CYCLE_1)
	s_or_b32 exec_lo, exec_lo, s20
.LBB428_762:                            ;   in Loop: Header=BB428_10 Depth=1
	s_delay_alu instid0(SALU_CYCLE_1) | instskip(NEXT) | instid1(VALU_DEP_1)
	s_or_b32 exec_lo, exec_lo, s4
	v_mul_f32_e32 v8, v41, v8
	s_delay_alu instid0(VALU_DEP_1) | instskip(NEXT) | instid1(VALU_DEP_1)
	v_and_b32_e32 v157, 0x7f800000, v8
	v_cmp_ne_u32_e64 s3, 0x7f800000, v157
                                        ; implicit-def: $vgpr157
	s_delay_alu instid0(VALU_DEP_1) | instskip(NEXT) | instid1(SALU_CYCLE_1)
	s_and_saveexec_b32 s4, s3
	s_xor_b32 s3, exec_lo, s4
; %bb.763:                              ;   in Loop: Header=BB428_10 Depth=1
	v_bfe_u32 v157, v8, 16, 1
	s_delay_alu instid0(VALU_DEP_1)
	v_add3_u32 v157, v8, v157, 0x7fff
                                        ; implicit-def: $vgpr8
; %bb.764:                              ;   in Loop: Header=BB428_10 Depth=1
	s_and_not1_saveexec_b32 s4, s3
; %bb.765:                              ;   in Loop: Header=BB428_10 Depth=1
	v_and_b32_e32 v157, 0xffff, v8
	v_or_b32_e32 v159, 0x10000, v8
	s_delay_alu instid0(VALU_DEP_2) | instskip(NEXT) | instid1(VALU_DEP_1)
	v_cmp_eq_u32_e64 s3, 0, v157
	v_cndmask_b32_e64 v157, v159, v8, s3
; %bb.766:                              ;   in Loop: Header=BB428_10 Depth=1
	s_or_b32 exec_lo, exec_lo, s4
	v_mov_b32_e32 v8, 0
	s_mov_b32 s4, exec_lo
	v_cmpx_lt_u32_e32 0xffffff, v29
	s_cbranch_execz .LBB428_774
; %bb.767:                              ;   in Loop: Header=BB428_10 Depth=1
	v_lshrrev_b32_e32 v159, 24, v29
	v_bfrev_b32_e32 v8, 1
	s_mov_b32 s20, exec_lo
	s_delay_alu instid0(VALU_DEP_2)
	v_cmpx_ne_u32_e32 0x80, v159
	s_cbranch_execz .LBB428_773
; %bb.768:                              ;   in Loop: Header=BB428_10 Depth=1
	v_bfe_u32 v168, v29, 24, 7
	v_mov_b32_e32 v8, 0x7f800001
	s_mov_b32 s21, exec_lo
	s_delay_alu instid0(VALU_DEP_2)
	v_cmpx_ne_u32_e32 0x7f, v168
	s_cbranch_execz .LBB428_772
; %bb.769:                              ;   in Loop: Header=BB428_10 Depth=1
	v_and_b32_e32 v8, 7, v159
	v_lshrrev_b32_e32 v29, 3, v168
	s_mov_b32 s22, exec_lo
	v_cmpx_gt_u32_e32 8, v168
; %bb.770:                              ;   in Loop: Header=BB428_10 Depth=1
	s_delay_alu instid0(VALU_DEP_3) | instskip(NEXT) | instid1(VALU_DEP_1)
	v_clz_i32_u32_e32 v29, v8
	v_min_u32_e32 v29, 32, v29
	s_delay_alu instid0(VALU_DEP_1) | instskip(SKIP_1) | instid1(VALU_DEP_2)
	v_subrev_nc_u32_e32 v168, 28, v29
	v_sub_nc_u32_e32 v29, 29, v29
	v_lshlrev_b64 v[168:169], v168, v[8:9]
	s_delay_alu instid0(VALU_DEP_1)
	v_and_b32_e32 v8, 7, v168
; %bb.771:                              ;   in Loop: Header=BB428_10 Depth=1
	s_or_b32 exec_lo, exec_lo, s22
	v_lshlrev_b32_e32 v159, 24, v159
	s_delay_alu instid0(VALU_DEP_2) | instskip(SKIP_1) | instid1(VALU_DEP_3)
	v_lshlrev_b32_e32 v8, 20, v8
	v_lshl_add_u32 v29, v29, 23, 0x3c000000
	v_and_b32_e32 v159, 0x80000000, v159
	s_delay_alu instid0(VALU_DEP_1)
	v_or3_b32 v8, v8, v159, v29
.LBB428_772:                            ;   in Loop: Header=BB428_10 Depth=1
	s_or_b32 exec_lo, exec_lo, s21
.LBB428_773:                            ;   in Loop: Header=BB428_10 Depth=1
	s_delay_alu instid0(SALU_CYCLE_1)
	s_or_b32 exec_lo, exec_lo, s20
.LBB428_774:                            ;   in Loop: Header=BB428_10 Depth=1
	s_delay_alu instid0(SALU_CYCLE_1) | instskip(NEXT) | instid1(VALU_DEP_1)
	s_or_b32 exec_lo, exec_lo, s4
	v_mul_f32_e32 v29, v41, v8
	s_delay_alu instid0(VALU_DEP_1) | instskip(NEXT) | instid1(VALU_DEP_1)
	v_and_b32_e32 v8, 0x7f800000, v29
	v_cmp_ne_u32_e64 s3, 0x7f800000, v8
                                        ; implicit-def: $vgpr8
	s_delay_alu instid0(VALU_DEP_1) | instskip(NEXT) | instid1(SALU_CYCLE_1)
	s_and_saveexec_b32 s4, s3
	s_xor_b32 s3, exec_lo, s4
; %bb.775:                              ;   in Loop: Header=BB428_10 Depth=1
	v_bfe_u32 v8, v29, 16, 1
	s_delay_alu instid0(VALU_DEP_1)
	v_add3_u32 v8, v29, v8, 0x7fff
                                        ; implicit-def: $vgpr29
; %bb.776:                              ;   in Loop: Header=BB428_10 Depth=1
	s_and_not1_saveexec_b32 s4, s3
; %bb.777:                              ;   in Loop: Header=BB428_10 Depth=1
	v_and_b32_e32 v8, 0xffff, v29
	v_or_b32_e32 v41, 0x10000, v29
	s_delay_alu instid0(VALU_DEP_2) | instskip(NEXT) | instid1(VALU_DEP_1)
	v_cmp_eq_u32_e64 s3, 0, v8
	v_cndmask_b32_e64 v8, v41, v29, s3
; %bb.778:                              ;   in Loop: Header=BB428_10 Depth=1
	s_or_b32 exec_lo, exec_lo, s4
	v_and_b32_e32 v45, 0xffff0000, v45
	v_and_b32_e32 v46, 0xffff0000, v46
	;; [unrolled: 1-line block ×6, first 2 shown]
	v_dual_mul_f32 v45, v54, v45 :: v_dual_and_b32 v40, 0xffff0000, v40
	v_mul_f32_e32 v46, v55, v46
	v_and_b32_e32 v56, 0xffff0000, v56
	v_and_b32_e32 v29, 0xffff0000, v158
	;; [unrolled: 1-line block ×3, first 2 shown]
	v_dual_mul_f32 v47, v64, v47 :: v_dual_and_b32 v154, 0xffff0000, v154
	v_dual_fmac_f32 v45, v50, v40 :: v_dual_and_b32 v142, 0xffff0000, v142
	v_dual_fmac_f32 v46, v51, v42 :: v_dual_and_b32 v43, 0xffff0000, v43
	v_and_b32_e32 v40, 0xffff0000, v44
	v_mul_f32_e32 v42, v65, v56
	s_delay_alu instid0(VALU_DEP_3) | instskip(SKIP_2) | instid1(VALU_DEP_4)
	v_dual_fmac_f32 v47, v52, v43 :: v_dual_and_b32 v152, 0xffff0000, v152
	v_and_b32_e32 v141, 0xffff0000, v141
	v_and_b32_e32 v43, 0xffff0000, v60
	v_dual_fmac_f32 v42, v53, v40 :: v_dual_and_b32 v125, 0xffff0000, v125
	v_and_b32_e32 v40, 0xffff0000, v72
	v_and_b32_e32 v63, 0xffff0000, v63
	;; [unrolled: 1-line block ×3, first 2 shown]
	s_delay_alu instid0(VALU_DEP_4) | instskip(SKIP_3) | instid1(VALU_DEP_4)
	v_dual_fmac_f32 v42, v69, v43 :: v_dual_and_b32 v109, 0xffff0000, v109
	v_and_b32_e32 v43, 0xffff0000, v76
	v_and_b32_e32 v74, 0xffff0000, v74
	;; [unrolled: 1-line block ×3, first 2 shown]
	v_dual_fmac_f32 v42, v81, v40 :: v_dual_and_b32 v93, 0xffff0000, v93
	v_and_b32_e32 v40, 0xffff0000, v88
	v_and_b32_e32 v62, 0xffff0000, v62
	;; [unrolled: 1-line block ×3, first 2 shown]
	s_delay_alu instid0(VALU_DEP_4) | instskip(SKIP_2) | instid1(VALU_DEP_3)
	v_fmac_f32_e32 v42, v85, v43
	v_and_b32_e32 v91, 0xffff0000, v91
	v_and_b32_e32 v43, 0xffff0000, v92
	v_dual_fmac_f32 v42, v97, v40 :: v_dual_and_b32 v77, 0xffff0000, v77
	v_and_b32_e32 v40, 0xffff0000, v104
	s_delay_alu instid0(VALU_DEP_2) | instskip(SKIP_1) | instid1(VALU_DEP_2)
	v_fmac_f32_e32 v42, v101, v43
	v_and_b32_e32 v75, 0xffff0000, v75
	v_dual_fmac_f32 v42, v113, v40 :: v_dual_and_b32 v43, 0xffff0000, v107
	v_and_b32_e32 v61, 0xffff0000, v61
	v_and_b32_e32 v40, 0xffff0000, v111
	s_delay_alu instid0(VALU_DEP_3) | instskip(NEXT) | instid1(VALU_DEP_1)
	v_fmac_f32_e32 v42, v117, v43
	v_dual_fmac_f32 v42, v129, v40 :: v_dual_and_b32 v59, 0xffff0000, v59
	s_delay_alu instid0(VALU_DEP_1) | instskip(NEXT) | instid1(VALU_DEP_1)
	v_dual_fmac_f32 v47, v68, v59 :: v_dual_and_b32 v138, 0xffff0000, v138
	v_dual_fmac_f32 v47, v80, v63 :: v_dual_and_b32 v126, 0xffff0000, v126
	v_and_b32_e32 v57, 0xffff0000, v57
	v_and_b32_e32 v140, 0xffff0000, v140
	s_delay_alu instid0(VALU_DEP_3) | instskip(NEXT) | instid1(VALU_DEP_3)
	v_dual_fmac_f32 v47, v84, v75 :: v_dual_and_b32 v122, 0xffff0000, v122
	v_dual_fmac_f32 v45, v66, v57 :: v_dual_and_b32 v136, 0xffff0000, v136
	s_delay_alu instid0(VALU_DEP_2) | instskip(SKIP_1) | instid1(VALU_DEP_3)
	v_dual_fmac_f32 v47, v96, v79 :: v_dual_and_b32 v110, 0xffff0000, v110
	v_and_b32_e32 v73, 0xffff0000, v73
	v_dual_fmac_f32 v45, v70, v61 :: v_dual_and_b32 v124, 0xffff0000, v124
	s_delay_alu instid0(VALU_DEP_3) | instskip(NEXT) | instid1(VALU_DEP_2)
	v_dual_fmac_f32 v47, v100, v91 :: v_dual_and_b32 v106, 0xffff0000, v106
	v_dual_fmac_f32 v45, v82, v73 :: v_dual_and_b32 v90, 0xffff0000, v90
	s_delay_alu instid0(VALU_DEP_1) | instskip(SKIP_1) | instid1(VALU_DEP_1)
	v_dual_fmac_f32 v45, v86, v77 :: v_dual_and_b32 v120, 0xffff0000, v120
	v_and_b32_e32 v58, 0xffff0000, v58
	v_dual_fmac_f32 v46, v67, v58 :: v_dual_and_b32 v153, 0xffff0000, v153
	s_delay_alu instid0(VALU_DEP_1) | instskip(NEXT) | instid1(VALU_DEP_1)
	v_dual_fmac_f32 v46, v71, v62 :: v_dual_and_b32 v137, 0xffff0000, v137
	v_dual_fmac_f32 v46, v83, v74 :: v_dual_and_b32 v121, 0xffff0000, v121
	s_delay_alu instid0(VALU_DEP_1) | instskip(NEXT) | instid1(VALU_DEP_1)
	v_dual_fmac_f32 v46, v87, v78 :: v_dual_and_b32 v105, 0xffff0000, v105
	v_dual_fmac_f32 v46, v99, v90 :: v_dual_and_b32 v95, 0xffff0000, v95
	v_and_b32_e32 v89, 0xffff0000, v89
	s_delay_alu instid0(VALU_DEP_2) | instskip(NEXT) | instid1(VALU_DEP_2)
	v_dual_fmac_f32 v47, v112, v95 :: v_dual_and_b32 v108, 0xffff0000, v108
	v_dual_fmac_f32 v45, v98, v89 :: v_dual_and_b32 v94, 0xffff0000, v94
	s_delay_alu instid0(VALU_DEP_2) | instskip(NEXT) | instid1(VALU_DEP_2)
	v_fmac_f32_e32 v47, v116, v108
	v_dual_fmac_f32 v45, v102, v93 :: v_dual_fmac_f32 v46, v103, v94
	s_delay_alu instid0(VALU_DEP_2) | instskip(NEXT) | instid1(VALU_DEP_2)
	v_fmac_f32_e32 v47, v128, v120
	v_dual_fmac_f32 v45, v114, v105 :: v_dual_fmac_f32 v46, v115, v106
	;; [unrolled: 3-line block ×3, first 2 shown]
	s_delay_alu instid0(VALU_DEP_2) | instskip(NEXT) | instid1(VALU_DEP_2)
	v_dual_fmac_f32 v47, v144, v136 :: v_dual_and_b32 v40, 0xffff0000, v127
	v_dual_fmac_f32 v45, v130, v121 :: v_dual_fmac_f32 v46, v131, v122
	s_delay_alu instid0(VALU_DEP_2) | instskip(NEXT) | instid1(VALU_DEP_2)
	v_fmac_f32_e32 v47, v148, v140
	v_dual_fmac_f32 v45, v134, v125 :: v_dual_fmac_f32 v46, v135, v126
	s_delay_alu instid0(VALU_DEP_2) | instskip(NEXT) | instid1(VALU_DEP_2)
	v_fmac_f32_e32 v47, v161, v152
	;; [unrolled: 3-line block ×3, first 2 shown]
	v_dual_fmac_f32 v45, v151, v141 :: v_dual_fmac_f32 v46, v160, v142
	s_delay_alu instid0(VALU_DEP_1) | instskip(NEXT) | instid1(VALU_DEP_1)
	v_dual_fmac_f32 v45, v163, v153 :: v_dual_fmac_f32 v46, v164, v154
	v_dual_fmac_f32 v45, v176, v28 :: v_dual_fmac_f32 v46, v177, v29
	s_delay_alu instid0(VALU_DEP_1) | instskip(NEXT) | instid1(VALU_DEP_1)
	v_dual_add_f32 v28, v45, v46 :: v_dual_and_b32 v43, 0xffff0000, v123
	v_fmac_f32_e32 v42, v133, v43
	s_delay_alu instid0(VALU_DEP_1) | instskip(SKIP_1) | instid1(VALU_DEP_2)
	v_dual_fmac_f32 v42, v145, v40 :: v_dual_and_b32 v43, 0xffff0000, v139
	v_and_b32_e32 v40, 0xffff0000, v143
	v_dual_fmac_f32 v42, v150, v43 :: v_dual_and_b32 v43, 0xffff0000, v157
	s_delay_alu instid0(VALU_DEP_1) | instskip(NEXT) | instid1(VALU_DEP_2)
	v_fmac_f32_e32 v42, v162, v40
	v_fmac_f32_e32 v47, v178, v43
	s_delay_alu instid0(VALU_DEP_2) | instskip(NEXT) | instid1(VALU_DEP_1)
	v_fmac_f32_e32 v42, v167, v155
	v_fmac_f32_e32 v42, v179, v8
	s_delay_alu instid0(VALU_DEP_3) | instskip(NEXT) | instid1(VALU_DEP_1)
	v_add_f32_e32 v8, v28, v47
	v_add_f32_e32 v8, v42, v8
	ds_bpermute_b32 v28, v149, v8
	s_and_saveexec_b32 s4, vcc_lo
	s_cbranch_execz .LBB428_9
; %bb.779:                              ;   in Loop: Header=BB428_10 Depth=1
	v_add_nc_u32_e32 v29, v180, v181
	s_load_b32 s20, s[8:9], 0x0
	s_waitcnt lgkmcnt(0)
	v_add_f32_e32 v8, v8, v28
	v_cmp_lt_i32_e64 s3, v181, v33
	v_cvt_f32_i32_e32 v29, v29
	s_delay_alu instid0(VALU_DEP_1) | instskip(NEXT) | instid1(VALU_DEP_1)
	v_mul_f32_e32 v29, v48, v29
	v_cndmask_b32_e64 v28, 0, v29, s2
	v_max_f32_e32 v29, v165, v165
	s_delay_alu instid0(VALU_DEP_2) | instskip(NEXT) | instid1(VALU_DEP_1)
	v_fmac_f32_e32 v28, v8, v13
	v_dual_max_f32 v8, v29, v28 :: v_dual_add_nc_u32 v29, s20, v182
	v_cndmask_b32_e64 v28, 0, v28, s3
	s_delay_alu instid0(VALU_DEP_2)
	v_cndmask_b32_e64 v165, v165, v8, s3
	ds_store_b32 v29, v28
	s_branch .LBB428_9
.LBB428_780:
	s_or_b32 exec_lo, exec_lo, s17
.LBB428_781:
	s_delay_alu instid0(SALU_CYCLE_1)
	s_or_b32 exec_lo, exec_lo, s15
	v_xor_b32_e32 v8, 16, v36
	v_xor_b32_e32 v9, 8, v36
	s_waitcnt lgkmcnt(0)
	s_lshr_b32 s8, s19, 16
	v_dual_max_f32 v13, v165, v165 :: v_dual_and_b32 v18, 31, v31
	v_cmp_lt_i32_e32 vcc_lo, v8, v49
	v_lshlrev_b32_e32 v24, 2, v34
	v_cndmask_b32_e32 v8, v36, v8, vcc_lo
	v_cmp_lt_i32_e32 vcc_lo, v9, v49
	s_delay_alu instid0(VALU_DEP_2) | instskip(SKIP_3) | instid1(VALU_DEP_1)
	v_dual_cndmask_b32 v9, v36, v9 :: v_dual_lshlrev_b32 v20, 2, v8
	ds_bpermute_b32 v8, v20, v165
	s_waitcnt lgkmcnt(0)
	v_dual_max_f32 v8, v8, v8 :: v_dual_lshlrev_b32 v21, 2, v9
	v_max_f32_e32 v8, v13, v8
	v_xor_b32_e32 v13, 4, v36
	s_delay_alu instid0(VALU_DEP_1) | instskip(SKIP_4) | instid1(VALU_DEP_1)
	v_cmp_lt_i32_e32 vcc_lo, v13, v49
	v_cndmask_b32_e32 v13, v36, v13, vcc_lo
	ds_bpermute_b32 v9, v21, v8
	v_lshlrev_b32_e32 v23, 2, v13
	v_xor_b32_e32 v13, 2, v36
	v_cmp_lt_i32_e32 vcc_lo, v13, v49
	v_cndmask_b32_e32 v13, v36, v13, vcc_lo
	v_cmp_eq_u32_e32 vcc_lo, 0, v18
	s_waitcnt lgkmcnt(0)
	v_max_f32_e32 v9, v9, v9
	s_delay_alu instid0(VALU_DEP_3) | instskip(NEXT) | instid1(VALU_DEP_2)
	v_lshlrev_b32_e32 v13, 2, v13
	v_max_f32_e32 v8, v8, v9
	ds_bpermute_b32 v9, v23, v8
	s_waitcnt lgkmcnt(0)
	v_max_f32_e32 v9, v9, v9
	s_delay_alu instid0(VALU_DEP_1)
	v_max_f32_e32 v8, v8, v9
	ds_bpermute_b32 v9, v13, v8
	s_and_saveexec_b32 s2, vcc_lo
	s_cbranch_execz .LBB428_783
; %bb.782:
	s_waitcnt lgkmcnt(0)
	v_dual_max_f32 v9, v9, v9 :: v_dual_max_f32 v8, v8, v8
	s_delay_alu instid0(VALU_DEP_1)
	v_max_f32_e32 v8, v8, v9
	ds_store_b32 v24, v8 offset:256
.LBB428_783:
	s_or_b32 exec_lo, exec_lo, s2
	v_cmp_gt_u32_e64 s2, 4, v18
	v_dual_mov_b32 v8, 0xff7fffff :: v_dual_lshlrev_b32 v25, 2, v18
	s_waitcnt lgkmcnt(0)
	s_barrier
	buffer_gl0_inv
	s_and_saveexec_b32 s3, s2
	s_cbranch_execz .LBB428_785
; %bb.784:
	ds_load_b32 v8, v25 offset:256
.LBB428_785:
	s_or_b32 exec_lo, exec_lo, s3
	s_waitcnt lgkmcnt(0)
	ds_bpermute_b32 v9, v13, v8
	v_xor_b32_e32 v19, 1, v36
	v_max_f32_e32 v8, v8, v8
	v_subrev_nc_u32_e32 v29, s13, v35
	v_lshlrev_b32_e32 v28, 2, v36
	s_delay_alu instid0(VALU_DEP_4) | instskip(NEXT) | instid1(VALU_DEP_2)
	v_cmp_lt_i32_e64 s3, v19, v49
	v_and_b32_e32 v28, 0xffffff80, v28
	s_delay_alu instid0(VALU_DEP_2) | instskip(SKIP_2) | instid1(VALU_DEP_1)
	v_cndmask_b32_e64 v19, v36, v19, s3
	s_waitcnt lgkmcnt(0)
	v_max_f32_e32 v9, v9, v9
	v_dual_max_f32 v8, v8, v9 :: v_dual_lshlrev_b32 v19, 2, v19
	ds_bpermute_b32 v9, v19, v8
	s_waitcnt lgkmcnt(0)
	v_max_f32_e32 v9, v9, v9
	s_delay_alu instid0(VALU_DEP_1) | instskip(SKIP_4) | instid1(VALU_DEP_1)
	v_max_f32_e32 v8, v8, v9
	v_lshl_add_u32 v9, v29, 4, s18
	v_mov_b32_e32 v29, 0
	ds_bpermute_b32 v8, v28, v8
	v_min_i32_e32 v9, v9, v33
	v_subrev_nc_u32_e32 v9, s18, v9
	s_delay_alu instid0(VALU_DEP_1) | instskip(NEXT) | instid1(VALU_DEP_1)
	v_cmp_lt_i32_e64 s3, v31, v9
	s_and_saveexec_b32 s9, s3
	s_cbranch_execz .LBB428_789
; %bb.786:
	s_getpc_b64 s[20:21]
	s_add_u32 s20, s20, llvm.amdgcn.dynlds.offset.table@rel32@lo+4
	s_addc_u32 s21, s21, llvm.amdgcn.dynlds.offset.table@rel32@hi+12
	s_ashr_i32 s17, s16, 31
	v_dual_mov_b32 v29, 0 :: v_dual_mov_b32 v48, v31
	s_lshl_b64 s[22:23], s[16:17], 2
	s_mov_b32 s13, 0
	s_add_u32 s20, s22, s20
	s_addc_u32 s21, s23, s21
	s_load_b32 s4, s[20:21], 0x0
	s_waitcnt lgkmcnt(0)
	v_lshl_add_u32 v36, v31, 2, s4
	.p2align	6
.LBB428_787:                            ; =>This Inner Loop Header: Depth=1
	ds_load_b32 v49, v36
	s_waitcnt lgkmcnt(0)
	v_sub_f32_e32 v49, v49, v8
	s_delay_alu instid0(VALU_DEP_1) | instskip(NEXT) | instid1(VALU_DEP_1)
	v_mul_f32_e32 v49, 0x3fb8aa3b, v49
	v_exp_f32_e32 v49, v49
	s_waitcnt_depctr 0xfff
	v_dual_add_f32 v29, v29, v49 :: v_dual_add_nc_u32 v48, 0x80, v48
	s_delay_alu instid0(VALU_DEP_1) | instskip(SKIP_3) | instid1(SALU_CYCLE_1)
	v_cmp_ge_i32_e64 s4, v48, v9
	ds_store_b32 v36, v49
	v_add_nc_u32_e32 v36, 0x200, v36
	s_or_b32 s13, s4, s13
	s_and_not1_b32 exec_lo, exec_lo, s13
	s_cbranch_execnz .LBB428_787
; %bb.788:
	s_or_b32 exec_lo, exec_lo, s13
.LBB428_789:
	s_delay_alu instid0(SALU_CYCLE_1)
	s_or_b32 exec_lo, exec_lo, s9
	ds_bpermute_b32 v20, v20, v29
	s_waitcnt lgkmcnt(0)
	v_add_f32_e32 v20, v29, v20
	ds_bpermute_b32 v21, v21, v20
	s_waitcnt lgkmcnt(0)
	v_add_f32_e32 v20, v20, v21
	;; [unrolled: 3-line block ×5, first 2 shown]
	s_and_saveexec_b32 s4, vcc_lo
	s_cbranch_execz .LBB428_791
; %bb.790:
	ds_store_b32 v24, v20 offset:272
.LBB428_791:
	s_or_b32 exec_lo, exec_lo, s4
	s_waitcnt lgkmcnt(0)
	s_barrier
	buffer_gl0_inv
	s_and_saveexec_b32 s4, s2
	s_cbranch_execz .LBB428_793
; %bb.792:
	ds_load_b32 v20, v25 offset:272
.LBB428_793:
	s_or_b32 exec_lo, exec_lo, s4
	s_waitcnt lgkmcnt(0)
	ds_bpermute_b32 v13, v13, v20
	s_waitcnt lgkmcnt(0)
	v_add_f32_e32 v13, v20, v13
	ds_bpermute_b32 v20, v19, v13
	s_waitcnt lgkmcnt(0)
	v_add_f32_e32 v13, v13, v20
	ds_bpermute_b32 v13, v28, v13
	s_and_saveexec_b32 s2, s3
	s_cbranch_execz .LBB428_796
; %bb.794:
	s_waitcnt lgkmcnt(0)
	v_add_f32_e32 v21, 0x358637bd, v13
	s_getpc_b64 s[20:21]
	s_add_u32 s20, s20, llvm.amdgcn.dynlds.offset.table@rel32@lo+4
	s_addc_u32 s21, s21, llvm.amdgcn.dynlds.offset.table@rel32@hi+12
	s_ashr_i32 s17, s16, 31
	s_delay_alu instid0(SALU_CYCLE_1) | instskip(SKIP_3) | instid1(VALU_DEP_2)
	s_lshl_b64 s[22:23], s[16:17], 2
	v_div_scale_f32 v20, null, v21, v21, 1.0
	v_div_scale_f32 v25, vcc_lo, 1.0, v21, 1.0
	s_add_u32 s20, s22, s20
	v_rcp_f32_e32 v23, v20
	s_addc_u32 s21, s23, s21
	s_load_b32 s3, s[20:21], 0x0
	s_waitcnt_depctr 0xfff
	v_fma_f32 v24, -v20, v23, 1.0
	s_delay_alu instid0(VALU_DEP_1) | instskip(NEXT) | instid1(VALU_DEP_1)
	v_fmac_f32_e32 v23, v24, v23
	v_mul_f32_e32 v24, v25, v23
	s_delay_alu instid0(VALU_DEP_1) | instskip(NEXT) | instid1(VALU_DEP_1)
	v_fma_f32 v28, -v20, v24, v25
	v_fmac_f32_e32 v24, v28, v23
	s_delay_alu instid0(VALU_DEP_1) | instskip(NEXT) | instid1(VALU_DEP_1)
	v_fma_f32 v20, -v20, v24, v25
	v_div_fmas_f32 v23, v20, v23, v24
	s_waitcnt lgkmcnt(0)
	v_lshl_add_u32 v20, v31, 2, s3
	s_mov_b32 s3, 0
	s_delay_alu instid0(VALU_DEP_2)
	v_div_fixup_f32 v21, v23, v21, 1.0
	v_mov_b32_e32 v23, v31
.LBB428_795:                            ; =>This Inner Loop Header: Depth=1
	ds_load_b32 v24, v20
	s_waitcnt lgkmcnt(0)
	v_dual_mul_f32 v24, v21, v24 :: v_dual_add_nc_u32 v23, 0x80, v23
	s_delay_alu instid0(VALU_DEP_1) | instskip(SKIP_3) | instid1(SALU_CYCLE_1)
	v_cmp_ge_i32_e32 vcc_lo, v23, v9
	ds_store_b32 v20, v24
	v_add_nc_u32_e32 v20, 0x200, v20
	s_or_b32 s3, vcc_lo, s3
	s_and_not1_b32 exec_lo, exec_lo, s3
	s_cbranch_execnz .LBB428_795
.LBB428_796:
	s_or_b32 exec_lo, exec_lo, s2
	v_cmp_ne_u16_e64 s2, s8, 0
	s_waitcnt lgkmcnt(0)
	s_barrier
	buffer_gl0_inv
	s_cmp_lg_u32 s2, 0
	s_mov_b32 s2, exec_lo
	s_addc_u32 s4, s11, 0
	v_cmpx_eq_u32_e32 0, v31
	s_cbranch_execz .LBB428_798
; %bb.797:
	s_mul_i32 s3, s4, s6
	s_mul_i32 s8, s4, s12
	s_mul_i32 s12, s3, s7
	s_ashr_i32 s9, s8, 31
	s_ashr_i32 s15, s14, 31
	;; [unrolled: 1-line block ×3, first 2 shown]
	s_lshl_b64 s[8:9], s[8:9], 2
	s_lshl_b64 s[20:21], s[14:15], 2
	;; [unrolled: 1-line block ×3, first 2 shown]
	s_add_u32 s3, s20, s8
	s_addc_u32 s8, s21, s9
	s_add_u32 s3, s3, s12
	s_addc_u32 s8, s8, s13
	v_add_co_u32 v2, vcc_lo, s3, v2
	v_add_co_ci_u32_e32 v3, vcc_lo, s8, v3, vcc_lo
	v_add_co_u32 v0, vcc_lo, s3, v0
	v_add_co_ci_u32_e32 v1, vcc_lo, s8, v1, vcc_lo
	flat_store_b32 v[2:3], v8
	flat_store_b32 v[0:1], v13
.LBB428_798:
	s_or_b32 exec_lo, exec_lo, s2
                                        ; implicit-def: $sgpr2
	s_and_saveexec_b32 s3, s1
	s_delay_alu instid0(SALU_CYCLE_1)
	s_xor_b32 s1, exec_lo, s3
; %bb.799:
	s_ashr_i32 s17, s16, 31
	s_mov_b32 s2, 0
                                        ; implicit-def: $vgpr33
                                        ; implicit-def: $vgpr37
                                        ; implicit-def: $vgpr35
                                        ; implicit-def: $vgpr16
                                        ; implicit-def: $vgpr10
                                        ; implicit-def: $vgpr11
                                        ; implicit-def: $vgpr14
                                        ; implicit-def: $vgpr15
                                        ; implicit-def: $vgpr22
                                        ; implicit-def: $vgpr26_vgpr27
                                        ; implicit-def: $vgpr38
                                        ; implicit-def: $vgpr39
                                        ; implicit-def: $vgpr6_vgpr7
                                        ; implicit-def: $vgpr12
; %bb.800:
	s_or_saveexec_b32 s8, s1
	v_dual_mov_b32 v0, s16 :: v_dual_mov_b32 v21, s2
	v_dual_mov_b32 v20, s2 :: v_dual_mov_b32 v1, s17
	;; [unrolled: 1-line block ×5, first 2 shown]
	s_xor_b32 exec_lo, exec_lo, s8
	s_cbranch_execz .LBB428_1876
; %bb.801:
	flat_load_b32 v26, v[26:27]
	s_getpc_b64 s[2:3]
	s_add_u32 s2, s2, llvm.amdgcn.dynlds.offset.table@rel32@lo+4
	s_addc_u32 s3, s3, llvm.amdgcn.dynlds.offset.table@rel32@hi+12
	s_ashr_i32 s17, s16, 31
	v_add_co_u32 v3, vcc_lo, v10, v38
	s_lshl_b64 s[12:13], s[16:17], 2
	v_dual_mov_b32 v10, 0 :: v_dual_and_b32 v9, 0xf8, v12
	s_add_u32 s2, s12, s2
	s_addc_u32 s3, s13, s3
	v_add_co_ci_u32_e32 v8, vcc_lo, v11, v39, vcc_lo
	s_load_b32 s1, s[2:3], 0x0
	v_lshlrev_b64 v[0:1], 2, v[16:17]
	v_add_co_u32 v11, vcc_lo, v3, v9
	v_dual_mov_b32 v28, 0 :: v_dual_lshlrev_b32 v3, 5, v32
	v_dual_mov_b32 v29, 0 :: v_dual_and_b32 v2, 8, v12
	v_add_co_ci_u32_e32 v12, vcc_lo, 0, v8, vcc_lo
	v_add_co_u32 v0, vcc_lo, v6, v0
	v_add_co_ci_u32_e32 v1, vcc_lo, v7, v1, vcc_lo
	v_lshl_add_u32 v6, v34, 4, s18
	v_lshl_or_b32 v3, v34, 6, v3
	s_delay_alu instid0(VALU_DEP_4)
	v_add_co_u32 v13, vcc_lo, v14, v0
	v_dual_mov_b32 v36, 0 :: v_dual_add_nc_u32 v27, -1, v37
	v_add_co_ci_u32_e32 v14, vcc_lo, v15, v1, vcc_lo
	v_add3_u32 v15, v6, v2, 7
	s_waitcnt lgkmcnt(0)
	v_dual_mov_b32 v24, 0 :: v_dual_add_nc_u32 v17, s1, v3
	v_dual_mov_b32 v25, 0 :: v_dual_mov_b32 v20, 0
	v_mov_b32_e32 v23, 0
	v_mov_b32_e32 v21, 0
	s_mov_b32 s2, -1
	s_mov_b32 s3, 0xffffff
	s_mov_b32 s9, 0
	s_branch .LBB428_803
.LBB428_802:                            ;   in Loop: Header=BB428_803 Depth=1
	s_or_b32 exec_lo, exec_lo, s1
	v_and_b32_e32 v37, 0xffff0000, v37
	v_and_b32_e32 v38, 0xffff0000, v38
	;; [unrolled: 1-line block ×6, first 2 shown]
	s_delay_alu instid0(VALU_DEP_4) | instskip(NEXT) | instid1(VALU_DEP_4)
	v_dual_add_f32 v8, v8, v37 :: v_dual_and_b32 v55, 0xffff0000, v98
	v_dual_add_f32 v37, v38, v39 :: v_dual_and_b32 v38, 0xffff0000, v48
	v_and_b32_e32 v39, 0xffff0000, v50
	v_and_b32_e32 v48, 0xffff0000, v51
	;; [unrolled: 1-line block ×3, first 2 shown]
	s_delay_alu instid0(VALU_DEP_4)
	v_add_f32_e32 v8, v8, v37
	v_add_f32_e32 v37, v38, v49
	v_and_b32_e32 v49, 0xffff0000, v84
	v_and_b32_e32 v7, 0xffff0000, v7
	;; [unrolled: 1-line block ×4, first 2 shown]
	v_dual_add_f32 v8, v8, v37 :: v_dual_add_f32 v37, v39, v48
	v_dual_add_f32 v48, v50, v49 :: v_dual_and_b32 v39, 0xffff0000, v96
	v_and_b32_e32 v49, 0xffff0000, v87
	v_and_b32_e32 v50, 0xffff0000, v99
	s_delay_alu instid0(VALU_DEP_4) | instskip(SKIP_1) | instid1(VALU_DEP_4)
	v_add_f32_e32 v8, v8, v37
	v_and_b32_e32 v0, 0xffff0000, v0
	v_dual_add_f32 v39, v49, v39 :: v_dual_and_b32 v52, 0xffff0000, v52
	v_and_b32_e32 v51, 0xffff0000, v85
	v_and_b32_e32 v49, 0xffff0000, v100
	;; [unrolled: 1-line block ×3, first 2 shown]
	v_add_co_u32 v13, s1, v13, 16
	s_delay_alu instid0(VALU_DEP_1) | instskip(NEXT) | instid1(VALU_DEP_3)
	v_add_co_ci_u32_e64 v14, s1, 0, v14, s1
	v_dual_add_f32 v49, v50, v49 :: v_dual_add_f32 v38, v51, v38
	v_dual_add_f32 v36, v36, v8 :: v_dual_and_b32 v51, 0xffff0000, v101
	v_add_nc_u32_e32 v15, 64, v15
	s_delay_alu instid0(VALU_DEP_3)
	v_dual_add_f32 v38, v48, v38 :: v_dual_add_nc_u32 v17, 0x100, v17
	v_and_b32_e32 v48, 0xffff0000, v102
	v_and_b32_e32 v37, 0xffff0000, v97
	v_add_f32_e32 v0, v0, v1
	v_add_nc_u32_e32 v16, 4, v16
	v_add_f32_e32 v38, v38, v39
	s_delay_alu instid0(VALU_DEP_4) | instskip(SKIP_1) | instid1(VALU_DEP_4)
	v_dual_add_f32 v48, v51, v48 :: v_dual_add_f32 v37, v37, v55
	v_and_b32_e32 v51, 0xffff0000, v113
	v_cmp_ge_i32_e32 vcc_lo, v16, v35
	s_delay_alu instid0(VALU_DEP_3) | instskip(SKIP_3) | instid1(VALU_DEP_3)
	v_dual_add_f32 v48, v49, v48 :: v_dual_add_f32 v37, v38, v37
	v_and_b32_e32 v50, 0xffff0000, v103
	v_and_b32_e32 v49, 0xffff0000, v118
	s_or_b32 s9, vcc_lo, s9
	v_add_f32_e32 v29, v29, v37
	v_and_b32_e32 v37, 0xffff0000, v129
	v_and_b32_e32 v64, 0xffff0000, v115
	;; [unrolled: 1-line block ×3, first 2 shown]
	v_add_f32_e32 v49, v65, v49
	v_and_b32_e32 v65, 0xffff0000, v145
	s_delay_alu instid0(VALU_DEP_3) | instskip(NEXT) | instid1(VALU_DEP_1)
	v_dual_add_f32 v39, v50, v39 :: v_dual_and_b32 v50, 0xffff0000, v116
	v_add_f32_e32 v39, v48, v39
	s_delay_alu instid0(VALU_DEP_2) | instskip(NEXT) | instid1(VALU_DEP_1)
	v_add_f32_e32 v50, v64, v50
	v_dual_add_f32 v8, v50, v49 :: v_dual_and_b32 v55, 0xffff0000, v114
	s_delay_alu instid0(VALU_DEP_1) | instskip(SKIP_2) | instid1(VALU_DEP_3)
	v_dual_add_f32 v48, v51, v55 :: v_dual_and_b32 v51, 0xffff0000, v128
	v_and_b32_e32 v49, 0xffff0000, v131
	v_and_b32_e32 v50, 0xffff0000, v133
	v_add_f32_e32 v38, v39, v48
	v_and_b32_e32 v48, 0xffff0000, v132
	s_delay_alu instid0(VALU_DEP_2) | instskip(NEXT) | instid1(VALU_DEP_1)
	v_dual_add_f32 v28, v28, v38 :: v_dual_and_b32 v55, 0xffff0000, v119
	v_dual_add_f32 v48, v49, v48 :: v_dual_add_f32 v39, v55, v51
	v_and_b32_e32 v38, 0xffff0000, v130
	v_and_b32_e32 v55, 0xffff0000, v147
	s_delay_alu instid0(VALU_DEP_2) | instskip(NEXT) | instid1(VALU_DEP_1)
	v_dual_add_f32 v8, v8, v39 :: v_dual_add_f32 v37, v37, v38
	v_dual_add_f32 v8, v8, v37 :: v_dual_and_b32 v39, 0xffff0000, v134
	s_delay_alu instid0(VALU_DEP_1) | instskip(NEXT) | instid1(VALU_DEP_2)
	v_dual_add_f32 v39, v50, v39 :: v_dual_and_b32 v38, 0xffff0000, v144
	v_dual_add_f32 v25, v25, v8 :: v_dual_and_b32 v2, 0xffff0000, v2
	s_delay_alu instid0(VALU_DEP_2) | instskip(SKIP_1) | instid1(VALU_DEP_3)
	v_add_f32_e32 v39, v48, v39
	v_and_b32_e32 v51, 0xffff0000, v135
	v_dual_add_f32 v1, v2, v3 :: v_dual_and_b32 v6, 0xffff0000, v6
	v_and_b32_e32 v49, 0xffff0000, v150
	v_and_b32_e32 v2, 0xffff0000, v9
	s_delay_alu instid0(VALU_DEP_4) | instskip(SKIP_4) | instid1(VALU_DEP_4)
	v_add_f32_e32 v38, v51, v38
	v_and_b32_e32 v51, 0xffff0000, v146
	v_and_b32_e32 v64, 0xffff0000, v149
	v_add_f32_e32 v6, v6, v7
	v_add_f32_e32 v0, v0, v1
	v_dual_add_f32 v38, v39, v38 :: v_dual_add_f32 v39, v65, v51
	s_delay_alu instid0(VALU_DEP_4) | instskip(SKIP_1) | instid1(VALU_DEP_2)
	v_dual_add_f32 v49, v64, v49 :: v_dual_and_b32 v50, 0xffff0000, v148
	v_dual_add_f32 v1, v2, v52 :: v_dual_and_b32 v64, 0xffff0000, v163
	;; [unrolled: 1-line block ×3, first 2 shown]
	v_and_b32_e32 v48, 0xffff0000, v160
	s_delay_alu instid0(VALU_DEP_3) | instskip(NEXT) | instid1(VALU_DEP_1)
	v_dual_add_f32 v0, v0, v1 :: v_dual_and_b32 v55, 0xffff0000, v151
	v_dual_add_f32 v37, v50, v49 :: v_dual_add_f32 v48, v55, v48
	v_and_b32_e32 v55, 0xffff0000, v164
	s_delay_alu instid0(VALU_DEP_2) | instskip(NEXT) | instid1(VALU_DEP_2)
	v_dual_add_f32 v37, v37, v48 :: v_dual_and_b32 v50, 0xffff0000, v162
	v_dual_add_f32 v7, v64, v55 :: v_dual_and_b32 v48, 0xffff0000, v166
	v_and_b32_e32 v66, 0xffff0000, v176
	s_delay_alu instid0(VALU_DEP_2) | instskip(SKIP_1) | instid1(VALU_DEP_1)
	v_dual_add_f32 v3, v6, v7 :: v_dual_and_b32 v2, 0xffff0000, v54
	v_and_b32_e32 v7, 0xffff0000, v53
	v_dual_add_f32 v1, v7, v2 :: v_dual_add_f32 v2, v38, v39
	v_add_f32_e32 v6, v51, v48
	s_delay_alu instid0(VALU_DEP_2) | instskip(NEXT) | instid1(VALU_DEP_2)
	v_dual_add_f32 v0, v0, v1 :: v_dual_and_b32 v65, 0xffff0000, v167
	v_add_f32_e32 v3, v3, v6
	s_delay_alu instid0(VALU_DEP_4) | instskip(NEXT) | instid1(VALU_DEP_3)
	v_add_f32_e32 v24, v24, v2
	v_dual_add_f32 v20, v20, v0 :: v_dual_and_b32 v49, 0xffff0000, v161
	s_delay_alu instid0(VALU_DEP_4) | instskip(NEXT) | instid1(VALU_DEP_2)
	v_add_f32_e32 v6, v65, v66
	v_add_f32_e32 v9, v49, v50
	s_delay_alu instid0(VALU_DEP_2) | instskip(NEXT) | instid1(VALU_DEP_2)
	v_add_f32_e32 v3, v3, v6
	v_add_f32_e32 v7, v37, v9
	s_delay_alu instid0(VALU_DEP_2) | instskip(NEXT) | instid1(VALU_DEP_2)
	v_add_f32_e32 v21, v21, v3
	v_add_f32_e32 v23, v23, v7
	s_and_not1_b32 exec_lo, exec_lo, s9
	s_cbranch_execz .LBB428_1875
.LBB428_803:                            ; =>This Inner Loop Header: Depth=1
	flat_load_b32 v52, v[13:14]
	ds_load_2addr_b64 v[6:9], v17 offset1:1
	ds_load_2addr_b64 v[0:3], v17 offset0:2 offset1:3
	s_mov_b32 s1, exec_lo
                                        ; implicit-def: $vgpr67
	s_waitcnt lgkmcnt(1)
	v_and_b32_e32 v37, 0x7f800000, v6
	s_delay_alu instid0(VALU_DEP_1)
	v_cmpx_ne_u32_e32 0x7f800000, v37
	s_xor_b32 s1, exec_lo, s1
; %bb.804:                              ;   in Loop: Header=BB428_803 Depth=1
	v_bfe_u32 v37, v6, 16, 1
	s_delay_alu instid0(VALU_DEP_1)
	v_add3_u32 v67, v6, v37, 0x7fff
; %bb.805:                              ;   in Loop: Header=BB428_803 Depth=1
	s_and_not1_saveexec_b32 s1, s1
; %bb.806:                              ;   in Loop: Header=BB428_803 Depth=1
	v_and_b32_e32 v37, 0xffff, v6
	v_or_b32_e32 v38, 0x10000, v6
	s_delay_alu instid0(VALU_DEP_2) | instskip(NEXT) | instid1(VALU_DEP_2)
	v_cmp_eq_u32_e32 vcc_lo, 0, v37
	v_cndmask_b32_e32 v67, v38, v6, vcc_lo
; %bb.807:                              ;   in Loop: Header=BB428_803 Depth=1
	s_or_b32 exec_lo, exec_lo, s1
	v_and_b32_e32 v6, 0x7f800000, v7
	s_mov_b32 s1, exec_lo
                                        ; implicit-def: $vgpr37
	s_delay_alu instid0(VALU_DEP_1)
	v_cmpx_ne_u32_e32 0x7f800000, v6
	s_xor_b32 s1, exec_lo, s1
; %bb.808:                              ;   in Loop: Header=BB428_803 Depth=1
	v_bfe_u32 v6, v7, 16, 1
	s_delay_alu instid0(VALU_DEP_1)
	v_add3_u32 v37, v7, v6, 0x7fff
; %bb.809:                              ;   in Loop: Header=BB428_803 Depth=1
	s_and_not1_saveexec_b32 s1, s1
; %bb.810:                              ;   in Loop: Header=BB428_803 Depth=1
	v_and_b32_e32 v6, 0xffff, v7
	v_or_b32_e32 v37, 0x10000, v7
	s_delay_alu instid0(VALU_DEP_2) | instskip(NEXT) | instid1(VALU_DEP_2)
	v_cmp_eq_u32_e32 vcc_lo, 0, v6
	v_cndmask_b32_e32 v37, v37, v7, vcc_lo
; %bb.811:                              ;   in Loop: Header=BB428_803 Depth=1
	s_or_b32 exec_lo, exec_lo, s1
	v_and_b32_e32 v6, 0x7f800000, v8
	s_mov_b32 s1, exec_lo
                                        ; implicit-def: $vgpr38
	s_delay_alu instid0(VALU_DEP_1)
	v_cmpx_ne_u32_e32 0x7f800000, v6
	s_xor_b32 s1, exec_lo, s1
; %bb.812:                              ;   in Loop: Header=BB428_803 Depth=1
	v_bfe_u32 v6, v8, 16, 1
	s_delay_alu instid0(VALU_DEP_1)
	v_add3_u32 v38, v8, v6, 0x7fff
; %bb.813:                              ;   in Loop: Header=BB428_803 Depth=1
	s_and_not1_saveexec_b32 s1, s1
; %bb.814:                              ;   in Loop: Header=BB428_803 Depth=1
	v_and_b32_e32 v6, 0xffff, v8
	v_or_b32_e32 v7, 0x10000, v8
	s_delay_alu instid0(VALU_DEP_2) | instskip(NEXT) | instid1(VALU_DEP_2)
	v_cmp_eq_u32_e32 vcc_lo, 0, v6
	v_cndmask_b32_e32 v38, v7, v8, vcc_lo
; %bb.815:                              ;   in Loop: Header=BB428_803 Depth=1
	s_or_b32 exec_lo, exec_lo, s1
	v_and_b32_e32 v6, 0x7f800000, v9
	s_mov_b32 s1, exec_lo
                                        ; implicit-def: $vgpr39
	s_delay_alu instid0(VALU_DEP_1)
	v_cmpx_ne_u32_e32 0x7f800000, v6
	s_xor_b32 s1, exec_lo, s1
; %bb.816:                              ;   in Loop: Header=BB428_803 Depth=1
	v_bfe_u32 v6, v9, 16, 1
	s_delay_alu instid0(VALU_DEP_1)
	v_add3_u32 v39, v9, v6, 0x7fff
                                        ; implicit-def: $vgpr6_vgpr7_vgpr8_vgpr9
; %bb.817:                              ;   in Loop: Header=BB428_803 Depth=1
	s_and_not1_saveexec_b32 s1, s1
; %bb.818:                              ;   in Loop: Header=BB428_803 Depth=1
	v_and_b32_e32 v6, 0xffff, v9
	v_or_b32_e32 v7, 0x10000, v9
	s_delay_alu instid0(VALU_DEP_2) | instskip(NEXT) | instid1(VALU_DEP_2)
	v_cmp_eq_u32_e32 vcc_lo, 0, v6
	v_cndmask_b32_e32 v39, v7, v9, vcc_lo
; %bb.819:                              ;   in Loop: Header=BB428_803 Depth=1
	s_or_b32 exec_lo, exec_lo, s1
	s_waitcnt lgkmcnt(0)
	v_and_b32_e32 v6, 0x7f800000, v0
	s_mov_b32 s1, exec_lo
                                        ; implicit-def: $vgpr48
	s_delay_alu instid0(VALU_DEP_1)
	v_cmpx_ne_u32_e32 0x7f800000, v6
	s_xor_b32 s1, exec_lo, s1
; %bb.820:                              ;   in Loop: Header=BB428_803 Depth=1
	v_bfe_u32 v6, v0, 16, 1
	s_delay_alu instid0(VALU_DEP_1)
	v_add3_u32 v48, v0, v6, 0x7fff
; %bb.821:                              ;   in Loop: Header=BB428_803 Depth=1
	s_and_not1_saveexec_b32 s1, s1
; %bb.822:                              ;   in Loop: Header=BB428_803 Depth=1
	v_and_b32_e32 v6, 0xffff, v0
	v_or_b32_e32 v7, 0x10000, v0
	s_delay_alu instid0(VALU_DEP_2) | instskip(NEXT) | instid1(VALU_DEP_2)
	v_cmp_eq_u32_e32 vcc_lo, 0, v6
	v_cndmask_b32_e32 v48, v7, v0, vcc_lo
; %bb.823:                              ;   in Loop: Header=BB428_803 Depth=1
	s_or_b32 exec_lo, exec_lo, s1
	v_and_b32_e32 v0, 0x7f800000, v1
	s_mov_b32 s1, exec_lo
                                        ; implicit-def: $vgpr49
	s_delay_alu instid0(VALU_DEP_1)
	v_cmpx_ne_u32_e32 0x7f800000, v0
	s_xor_b32 s1, exec_lo, s1
; %bb.824:                              ;   in Loop: Header=BB428_803 Depth=1
	v_bfe_u32 v0, v1, 16, 1
	s_delay_alu instid0(VALU_DEP_1)
	v_add3_u32 v49, v1, v0, 0x7fff
; %bb.825:                              ;   in Loop: Header=BB428_803 Depth=1
	s_and_not1_saveexec_b32 s1, s1
; %bb.826:                              ;   in Loop: Header=BB428_803 Depth=1
	v_and_b32_e32 v0, 0xffff, v1
	v_or_b32_e32 v6, 0x10000, v1
	s_delay_alu instid0(VALU_DEP_2) | instskip(NEXT) | instid1(VALU_DEP_2)
	v_cmp_eq_u32_e32 vcc_lo, 0, v0
	v_cndmask_b32_e32 v49, v6, v1, vcc_lo
; %bb.827:                              ;   in Loop: Header=BB428_803 Depth=1
	s_or_b32 exec_lo, exec_lo, s1
	v_and_b32_e32 v0, 0x7f800000, v2
	s_mov_b32 s1, exec_lo
                                        ; implicit-def: $vgpr50
	s_delay_alu instid0(VALU_DEP_1)
	v_cmpx_ne_u32_e32 0x7f800000, v0
	s_xor_b32 s1, exec_lo, s1
; %bb.828:                              ;   in Loop: Header=BB428_803 Depth=1
	v_bfe_u32 v0, v2, 16, 1
	s_delay_alu instid0(VALU_DEP_1)
	v_add3_u32 v50, v2, v0, 0x7fff
; %bb.829:                              ;   in Loop: Header=BB428_803 Depth=1
	s_and_not1_saveexec_b32 s1, s1
; %bb.830:                              ;   in Loop: Header=BB428_803 Depth=1
	v_and_b32_e32 v0, 0xffff, v2
	v_or_b32_e32 v1, 0x10000, v2
	s_delay_alu instid0(VALU_DEP_2) | instskip(NEXT) | instid1(VALU_DEP_2)
	v_cmp_eq_u32_e32 vcc_lo, 0, v0
	v_cndmask_b32_e32 v50, v1, v2, vcc_lo
; %bb.831:                              ;   in Loop: Header=BB428_803 Depth=1
	s_or_b32 exec_lo, exec_lo, s1
	v_and_b32_e32 v0, 0x7f800000, v3
	s_mov_b32 s1, exec_lo
                                        ; implicit-def: $vgpr51
	s_delay_alu instid0(VALU_DEP_1)
	v_cmpx_ne_u32_e32 0x7f800000, v0
	s_xor_b32 s1, exec_lo, s1
; %bb.832:                              ;   in Loop: Header=BB428_803 Depth=1
	v_bfe_u32 v0, v3, 16, 1
	s_delay_alu instid0(VALU_DEP_1)
	v_add3_u32 v51, v3, v0, 0x7fff
                                        ; implicit-def: $vgpr0_vgpr1_vgpr2_vgpr3
; %bb.833:                              ;   in Loop: Header=BB428_803 Depth=1
	s_and_not1_saveexec_b32 s1, s1
; %bb.834:                              ;   in Loop: Header=BB428_803 Depth=1
	v_and_b32_e32 v0, 0xffff, v3
	v_or_b32_e32 v1, 0x10000, v3
	s_delay_alu instid0(VALU_DEP_2) | instskip(NEXT) | instid1(VALU_DEP_2)
	v_cmp_eq_u32_e32 vcc_lo, 0, v0
	v_cndmask_b32_e32 v51, v1, v3, vcc_lo
; %bb.835:                              ;   in Loop: Header=BB428_803 Depth=1
	s_or_b32 exec_lo, exec_lo, s1
	s_waitcnt vmcnt(0)
	v_mad_i64_i32 v[0:1], null, v52, v22, v[11:12]
	s_mov_b32 s1, exec_lo
	v_mov_b32_e32 v6, 0
	flat_load_b64 v[2:3], v[0:1]
	s_waitcnt vmcnt(0) lgkmcnt(0)
	v_and_b32_e32 v7, 0xff, v2
	s_delay_alu instid0(VALU_DEP_1)
	v_cmpx_ne_u16_e32 0, v7
	s_cbranch_execz .LBB428_843
; %bb.836:                              ;   in Loop: Header=BB428_803 Depth=1
	v_bfrev_b32_e32 v6, 1
	s_mov_b32 s11, exec_lo
	v_cmpx_ne_u16_e32 0x80, v7
	s_cbranch_execz .LBB428_842
; %bb.837:                              ;   in Loop: Header=BB428_803 Depth=1
	v_and_b32_e32 v7, 0x7f, v2
	v_mov_b32_e32 v6, 0x7f800001
	s_mov_b32 s12, exec_lo
	s_delay_alu instid0(VALU_DEP_2)
	v_cmpx_ne_u32_e32 0x7f, v7
	s_cbranch_execz .LBB428_841
; %bb.838:                              ;   in Loop: Header=BB428_803 Depth=1
	v_lshrrev_b32_e32 v8, 3, v7
	v_cmp_gt_u32_e32 vcc_lo, 8, v7
	v_dual_mov_b32 v7, v3 :: v_dual_mov_b32 v6, v2
	s_and_saveexec_b32 s13, vcc_lo
; %bb.839:                              ;   in Loop: Header=BB428_803 Depth=1
	v_and_b32_e32 v6, 7, v2
	s_delay_alu instid0(VALU_DEP_1) | instskip(NEXT) | instid1(VALU_DEP_1)
	v_clz_i32_u32_e32 v6, v6
	v_min_u32_e32 v8, 32, v6
	s_delay_alu instid0(VALU_DEP_1) | instskip(SKIP_1) | instid1(VALU_DEP_2)
	v_subrev_nc_u32_e32 v6, 28, v8
	v_sub_nc_u32_e32 v8, 29, v8
	v_lshlrev_b64 v[6:7], v6, v[2:3]
; %bb.840:                              ;   in Loop: Header=BB428_803 Depth=1
	s_or_b32 exec_lo, exec_lo, s13
	s_delay_alu instid0(VALU_DEP_1) | instskip(SKIP_2) | instid1(VALU_DEP_3)
	v_lshlrev_b32_e32 v6, 20, v6
	v_lshlrev_b32_e32 v7, 24, v2
	v_lshl_add_u32 v8, v8, 23, 0x3c000000
	v_and_b32_e32 v6, 0x700000, v6
	s_delay_alu instid0(VALU_DEP_3) | instskip(NEXT) | instid1(VALU_DEP_1)
	v_and_b32_e32 v7, 0x80000000, v7
	v_or3_b32 v6, v6, v7, v8
.LBB428_841:                            ;   in Loop: Header=BB428_803 Depth=1
	s_or_b32 exec_lo, exec_lo, s12
.LBB428_842:                            ;   in Loop: Header=BB428_803 Depth=1
	s_delay_alu instid0(SALU_CYCLE_1)
	s_or_b32 exec_lo, exec_lo, s11
.LBB428_843:                            ;   in Loop: Header=BB428_803 Depth=1
	s_delay_alu instid0(SALU_CYCLE_1) | instskip(NEXT) | instid1(VALU_DEP_1)
	s_or_b32 exec_lo, exec_lo, s1
	v_mul_f32_e32 v6, v26, v6
	s_mov_b32 s1, exec_lo
                                        ; implicit-def: $vgpr8
	s_delay_alu instid0(VALU_DEP_1) | instskip(NEXT) | instid1(VALU_DEP_1)
	v_and_b32_e32 v7, 0x7f800000, v6
	v_cmpx_ne_u32_e32 0x7f800000, v7
	s_xor_b32 s1, exec_lo, s1
; %bb.844:                              ;   in Loop: Header=BB428_803 Depth=1
	v_bfe_u32 v7, v6, 16, 1
	s_delay_alu instid0(VALU_DEP_1)
	v_add3_u32 v8, v6, v7, 0x7fff
                                        ; implicit-def: $vgpr6
; %bb.845:                              ;   in Loop: Header=BB428_803 Depth=1
	s_and_not1_saveexec_b32 s1, s1
; %bb.846:                              ;   in Loop: Header=BB428_803 Depth=1
	v_and_b32_e32 v7, 0xffff, v6
	v_or_b32_e32 v8, 0x10000, v6
	s_delay_alu instid0(VALU_DEP_2) | instskip(NEXT) | instid1(VALU_DEP_2)
	v_cmp_eq_u32_e32 vcc_lo, 0, v7
	v_cndmask_b32_e32 v8, v8, v6, vcc_lo
; %bb.847:                              ;   in Loop: Header=BB428_803 Depth=1
	s_or_b32 exec_lo, exec_lo, s1
	v_lshrrev_b16 v7, 8, v2
	v_mov_b32_e32 v6, 0
	s_mov_b32 s1, exec_lo
	s_delay_alu instid0(VALU_DEP_2)
	v_cmpx_ne_u16_e32 0, v7
	s_cbranch_execz .LBB428_855
; %bb.848:                              ;   in Loop: Header=BB428_803 Depth=1
	v_bfrev_b32_e32 v6, 1
	s_mov_b32 s11, exec_lo
	v_cmpx_ne_u16_e32 0x80, v7
	s_cbranch_execz .LBB428_854
; %bb.849:                              ;   in Loop: Header=BB428_803 Depth=1
	v_and_b32_e32 v9, 0xffff, v7
	v_mov_b32_e32 v6, 0x7f800001
	s_mov_b32 s12, exec_lo
	s_delay_alu instid0(VALU_DEP_2) | instskip(NEXT) | instid1(VALU_DEP_1)
	v_and_b32_e32 v7, 0x7f, v9
	v_cmpx_ne_u32_e32 0x7f, v7
	s_cbranch_execz .LBB428_853
; %bb.850:                              ;   in Loop: Header=BB428_803 Depth=1
	v_and_b32_e32 v9, 7, v9
	v_lshrrev_b32_e32 v6, 3, v7
	s_mov_b32 s13, exec_lo
	v_cmpx_gt_u32_e32 8, v7
; %bb.851:                              ;   in Loop: Header=BB428_803 Depth=1
	s_delay_alu instid0(VALU_DEP_3) | instskip(NEXT) | instid1(VALU_DEP_1)
	v_clz_i32_u32_e32 v6, v9
	v_min_u32_e32 v6, 32, v6
	s_delay_alu instid0(VALU_DEP_1) | instskip(SKIP_1) | instid1(VALU_DEP_2)
	v_subrev_nc_u32_e32 v7, 28, v6
	v_sub_nc_u32_e32 v6, 29, v6
	v_lshlrev_b64 v[52:53], v7, v[9:10]
	s_delay_alu instid0(VALU_DEP_1)
	v_and_b32_e32 v9, 7, v52
; %bb.852:                              ;   in Loop: Header=BB428_803 Depth=1
	s_or_b32 exec_lo, exec_lo, s13
	v_lshlrev_b32_e32 v7, 16, v2
	s_delay_alu instid0(VALU_DEP_2) | instskip(SKIP_1) | instid1(VALU_DEP_3)
	v_lshlrev_b32_e32 v9, 20, v9
	v_lshl_add_u32 v6, v6, 23, 0x3c000000
	v_and_b32_e32 v7, 0x80000000, v7
	s_delay_alu instid0(VALU_DEP_1)
	v_or3_b32 v6, v9, v7, v6
.LBB428_853:                            ;   in Loop: Header=BB428_803 Depth=1
	s_or_b32 exec_lo, exec_lo, s12
.LBB428_854:                            ;   in Loop: Header=BB428_803 Depth=1
	s_delay_alu instid0(SALU_CYCLE_1)
	s_or_b32 exec_lo, exec_lo, s11
.LBB428_855:                            ;   in Loop: Header=BB428_803 Depth=1
	s_delay_alu instid0(SALU_CYCLE_1) | instskip(NEXT) | instid1(VALU_DEP_1)
	s_or_b32 exec_lo, exec_lo, s1
	v_mul_f32_e32 v6, v26, v6
	s_mov_b32 s1, exec_lo
                                        ; implicit-def: $vgpr53
	s_delay_alu instid0(VALU_DEP_1) | instskip(NEXT) | instid1(VALU_DEP_1)
	v_and_b32_e32 v7, 0x7f800000, v6
	v_cmpx_ne_u32_e32 0x7f800000, v7
	s_xor_b32 s1, exec_lo, s1
; %bb.856:                              ;   in Loop: Header=BB428_803 Depth=1
	v_bfe_u32 v7, v6, 16, 1
	s_delay_alu instid0(VALU_DEP_1)
	v_add3_u32 v53, v6, v7, 0x7fff
                                        ; implicit-def: $vgpr6
; %bb.857:                              ;   in Loop: Header=BB428_803 Depth=1
	s_and_not1_saveexec_b32 s1, s1
; %bb.858:                              ;   in Loop: Header=BB428_803 Depth=1
	v_and_b32_e32 v7, 0xffff, v6
	v_or_b32_e32 v9, 0x10000, v6
	s_delay_alu instid0(VALU_DEP_2) | instskip(NEXT) | instid1(VALU_DEP_2)
	v_cmp_eq_u32_e32 vcc_lo, 0, v7
	v_cndmask_b32_e32 v53, v9, v6, vcc_lo
; %bb.859:                              ;   in Loop: Header=BB428_803 Depth=1
	s_or_b32 exec_lo, exec_lo, s1
	v_lshrrev_b32_e32 v6, 16, v2
	v_mov_b32_e32 v7, 0
	s_mov_b32 s1, exec_lo
	s_delay_alu instid0(VALU_DEP_2) | instskip(NEXT) | instid1(VALU_DEP_1)
	v_and_b32_e32 v9, 0xff, v6
	v_cmpx_ne_u16_e32 0, v9
	s_cbranch_execz .LBB428_867
; %bb.860:                              ;   in Loop: Header=BB428_803 Depth=1
	v_bfrev_b32_e32 v7, 1
	s_mov_b32 s11, exec_lo
	v_cmpx_ne_u16_e32 0x80, v9
	s_cbranch_execz .LBB428_866
; %bb.861:                              ;   in Loop: Header=BB428_803 Depth=1
	v_bfe_u32 v52, v2, 16, 7
	v_mov_b32_e32 v7, 0x7f800001
	s_mov_b32 s12, exec_lo
	s_delay_alu instid0(VALU_DEP_2)
	v_cmpx_ne_u32_e32 0x7f, v52
	s_cbranch_execz .LBB428_865
; %bb.862:                              ;   in Loop: Header=BB428_803 Depth=1
	v_and_b32_e32 v9, 7, v6
	v_lshrrev_b32_e32 v7, 3, v52
	s_mov_b32 s13, exec_lo
	v_cmpx_gt_u32_e32 8, v52
; %bb.863:                              ;   in Loop: Header=BB428_803 Depth=1
	s_delay_alu instid0(VALU_DEP_3) | instskip(NEXT) | instid1(VALU_DEP_1)
	v_clz_i32_u32_e32 v7, v9
	v_min_u32_e32 v7, 32, v7
	s_delay_alu instid0(VALU_DEP_1) | instskip(SKIP_1) | instid1(VALU_DEP_2)
	v_subrev_nc_u32_e32 v52, 28, v7
	v_sub_nc_u32_e32 v7, 29, v7
	v_lshlrev_b64 v[54:55], v52, v[9:10]
	s_delay_alu instid0(VALU_DEP_1)
	v_and_b32_e32 v9, 7, v54
; %bb.864:                              ;   in Loop: Header=BB428_803 Depth=1
	s_or_b32 exec_lo, exec_lo, s13
	v_lshlrev_b32_e32 v6, 24, v6
	s_delay_alu instid0(VALU_DEP_2) | instskip(SKIP_1) | instid1(VALU_DEP_3)
	v_lshlrev_b32_e32 v9, 20, v9
	v_lshl_add_u32 v7, v7, 23, 0x3c000000
	v_and_b32_e32 v6, 0x80000000, v6
	s_delay_alu instid0(VALU_DEP_1)
	v_or3_b32 v7, v9, v6, v7
.LBB428_865:                            ;   in Loop: Header=BB428_803 Depth=1
	s_or_b32 exec_lo, exec_lo, s12
.LBB428_866:                            ;   in Loop: Header=BB428_803 Depth=1
	s_delay_alu instid0(SALU_CYCLE_1)
	s_or_b32 exec_lo, exec_lo, s11
.LBB428_867:                            ;   in Loop: Header=BB428_803 Depth=1
	s_delay_alu instid0(SALU_CYCLE_1) | instskip(NEXT) | instid1(VALU_DEP_1)
	s_or_b32 exec_lo, exec_lo, s1
	v_mul_f32_e32 v6, v26, v7
	s_mov_b32 s1, exec_lo
                                        ; implicit-def: $vgpr54
	s_delay_alu instid0(VALU_DEP_1) | instskip(NEXT) | instid1(VALU_DEP_1)
	v_and_b32_e32 v7, 0x7f800000, v6
	v_cmpx_ne_u32_e32 0x7f800000, v7
	s_xor_b32 s1, exec_lo, s1
; %bb.868:                              ;   in Loop: Header=BB428_803 Depth=1
	v_bfe_u32 v7, v6, 16, 1
	s_delay_alu instid0(VALU_DEP_1)
	v_add3_u32 v54, v6, v7, 0x7fff
                                        ; implicit-def: $vgpr6
; %bb.869:                              ;   in Loop: Header=BB428_803 Depth=1
	s_and_not1_saveexec_b32 s1, s1
; %bb.870:                              ;   in Loop: Header=BB428_803 Depth=1
	v_and_b32_e32 v7, 0xffff, v6
	v_or_b32_e32 v9, 0x10000, v6
	s_delay_alu instid0(VALU_DEP_2) | instskip(NEXT) | instid1(VALU_DEP_2)
	v_cmp_eq_u32_e32 vcc_lo, 0, v7
	v_cndmask_b32_e32 v54, v9, v6, vcc_lo
; %bb.871:                              ;   in Loop: Header=BB428_803 Depth=1
	s_or_b32 exec_lo, exec_lo, s1
	v_mov_b32_e32 v7, 0
	s_mov_b32 s1, exec_lo
	v_cmpx_lt_u32_e32 0xffffff, v2
	s_cbranch_execz .LBB428_879
; %bb.872:                              ;   in Loop: Header=BB428_803 Depth=1
	v_lshrrev_b32_e32 v6, 24, v2
	v_bfrev_b32_e32 v7, 1
	s_mov_b32 s11, exec_lo
	s_delay_alu instid0(VALU_DEP_2)
	v_cmpx_ne_u32_e32 0x80, v6
	s_cbranch_execz .LBB428_878
; %bb.873:                              ;   in Loop: Header=BB428_803 Depth=1
	v_bfe_u32 v52, v2, 24, 7
	v_mov_b32_e32 v7, 0x7f800001
	s_mov_b32 s12, exec_lo
	s_delay_alu instid0(VALU_DEP_2)
	v_cmpx_ne_u32_e32 0x7f, v52
	s_cbranch_execz .LBB428_877
; %bb.874:                              ;   in Loop: Header=BB428_803 Depth=1
	v_and_b32_e32 v9, 7, v6
	v_lshrrev_b32_e32 v7, 3, v52
	s_mov_b32 s13, exec_lo
	v_cmpx_gt_u32_e32 8, v52
; %bb.875:                              ;   in Loop: Header=BB428_803 Depth=1
	s_delay_alu instid0(VALU_DEP_3) | instskip(NEXT) | instid1(VALU_DEP_1)
	v_clz_i32_u32_e32 v7, v9
	v_min_u32_e32 v7, 32, v7
	s_delay_alu instid0(VALU_DEP_1) | instskip(SKIP_1) | instid1(VALU_DEP_2)
	v_subrev_nc_u32_e32 v52, 28, v7
	v_sub_nc_u32_e32 v7, 29, v7
	v_lshlrev_b64 v[64:65], v52, v[9:10]
	s_delay_alu instid0(VALU_DEP_1)
	v_and_b32_e32 v9, 7, v64
; %bb.876:                              ;   in Loop: Header=BB428_803 Depth=1
	s_or_b32 exec_lo, exec_lo, s13
	v_lshlrev_b32_e32 v6, 24, v6
	s_delay_alu instid0(VALU_DEP_2) | instskip(SKIP_1) | instid1(VALU_DEP_3)
	v_lshlrev_b32_e32 v9, 20, v9
	v_lshl_add_u32 v7, v7, 23, 0x3c000000
	v_and_b32_e32 v6, 0x80000000, v6
	s_delay_alu instid0(VALU_DEP_1)
	v_or3_b32 v7, v9, v6, v7
.LBB428_877:                            ;   in Loop: Header=BB428_803 Depth=1
	s_or_b32 exec_lo, exec_lo, s12
.LBB428_878:                            ;   in Loop: Header=BB428_803 Depth=1
	s_delay_alu instid0(SALU_CYCLE_1)
	s_or_b32 exec_lo, exec_lo, s11
.LBB428_879:                            ;   in Loop: Header=BB428_803 Depth=1
	s_delay_alu instid0(SALU_CYCLE_1) | instskip(NEXT) | instid1(VALU_DEP_1)
	s_or_b32 exec_lo, exec_lo, s1
	v_mul_f32_e32 v6, v26, v7
	s_mov_b32 s1, exec_lo
                                        ; implicit-def: $vgpr55
	s_delay_alu instid0(VALU_DEP_1) | instskip(NEXT) | instid1(VALU_DEP_1)
	v_and_b32_e32 v7, 0x7f800000, v6
	v_cmpx_ne_u32_e32 0x7f800000, v7
	s_xor_b32 s1, exec_lo, s1
; %bb.880:                              ;   in Loop: Header=BB428_803 Depth=1
	v_bfe_u32 v7, v6, 16, 1
	s_delay_alu instid0(VALU_DEP_1)
	v_add3_u32 v55, v6, v7, 0x7fff
                                        ; implicit-def: $vgpr6
; %bb.881:                              ;   in Loop: Header=BB428_803 Depth=1
	s_and_not1_saveexec_b32 s1, s1
; %bb.882:                              ;   in Loop: Header=BB428_803 Depth=1
	v_and_b32_e32 v7, 0xffff, v6
	v_or_b32_e32 v9, 0x10000, v6
	s_delay_alu instid0(VALU_DEP_2) | instskip(NEXT) | instid1(VALU_DEP_2)
	v_cmp_eq_u32_e32 vcc_lo, 0, v7
	v_cndmask_b32_e32 v55, v9, v6, vcc_lo
; %bb.883:                              ;   in Loop: Header=BB428_803 Depth=1
	s_or_b32 exec_lo, exec_lo, s1
	v_dual_mov_b32 v6, 0 :: v_dual_and_b32 v7, 0xff, v3
	v_mov_b32_e32 v9, v3
	s_mov_b32 s1, exec_lo
	s_delay_alu instid0(VALU_DEP_2)
	v_cmpx_ne_u16_e32 0, v7
	s_cbranch_execz .LBB428_891
; %bb.884:                              ;   in Loop: Header=BB428_803 Depth=1
	v_bfrev_b32_e32 v6, 1
	s_mov_b32 s11, exec_lo
	v_cmpx_ne_u16_e32 0x80, v7
	s_cbranch_execz .LBB428_890
; %bb.885:                              ;   in Loop: Header=BB428_803 Depth=1
	v_and_b32_e32 v7, 0x7f, v3
	v_mov_b32_e32 v6, 0x7f800001
	s_mov_b32 s12, exec_lo
	s_delay_alu instid0(VALU_DEP_2)
	v_cmpx_ne_u32_e32 0x7f, v7
	s_cbranch_execz .LBB428_889
; %bb.886:                              ;   in Loop: Header=BB428_803 Depth=1
	v_lshrrev_b32_e32 v52, 3, v7
	v_cmp_gt_u32_e32 vcc_lo, 8, v7
	v_dual_mov_b32 v6, v9 :: v_dual_mov_b32 v7, v10
	s_and_saveexec_b32 s13, vcc_lo
; %bb.887:                              ;   in Loop: Header=BB428_803 Depth=1
	v_and_b32_e32 v6, 7, v3
	s_delay_alu instid0(VALU_DEP_1) | instskip(NEXT) | instid1(VALU_DEP_1)
	v_clz_i32_u32_e32 v6, v6
	v_min_u32_e32 v52, 32, v6
	s_delay_alu instid0(VALU_DEP_1) | instskip(SKIP_1) | instid1(VALU_DEP_2)
	v_subrev_nc_u32_e32 v6, 28, v52
	v_sub_nc_u32_e32 v52, 29, v52
	v_lshlrev_b64 v[6:7], v6, v[9:10]
; %bb.888:                              ;   in Loop: Header=BB428_803 Depth=1
	s_or_b32 exec_lo, exec_lo, s13
	s_delay_alu instid0(VALU_DEP_1) | instskip(SKIP_2) | instid1(VALU_DEP_3)
	v_lshlrev_b32_e32 v6, 20, v6
	v_lshlrev_b32_e32 v7, 24, v9
	v_lshl_add_u32 v52, v52, 23, 0x3c000000
	v_and_b32_e32 v6, 0x700000, v6
	s_delay_alu instid0(VALU_DEP_3) | instskip(NEXT) | instid1(VALU_DEP_1)
	v_and_b32_e32 v7, 0x80000000, v7
	v_or3_b32 v6, v6, v7, v52
.LBB428_889:                            ;   in Loop: Header=BB428_803 Depth=1
	s_or_b32 exec_lo, exec_lo, s12
.LBB428_890:                            ;   in Loop: Header=BB428_803 Depth=1
	s_delay_alu instid0(SALU_CYCLE_1)
	s_or_b32 exec_lo, exec_lo, s11
.LBB428_891:                            ;   in Loop: Header=BB428_803 Depth=1
	s_delay_alu instid0(SALU_CYCLE_1) | instskip(NEXT) | instid1(VALU_DEP_1)
	s_or_b32 exec_lo, exec_lo, s1
	v_mul_f32_e32 v6, v26, v6
	s_mov_b32 s1, exec_lo
                                        ; implicit-def: $vgpr64
	s_delay_alu instid0(VALU_DEP_1) | instskip(NEXT) | instid1(VALU_DEP_1)
	v_and_b32_e32 v7, 0x7f800000, v6
	v_cmpx_ne_u32_e32 0x7f800000, v7
	s_xor_b32 s1, exec_lo, s1
; %bb.892:                              ;   in Loop: Header=BB428_803 Depth=1
	v_bfe_u32 v7, v6, 16, 1
	s_delay_alu instid0(VALU_DEP_1)
	v_add3_u32 v64, v6, v7, 0x7fff
                                        ; implicit-def: $vgpr6
; %bb.893:                              ;   in Loop: Header=BB428_803 Depth=1
	s_and_not1_saveexec_b32 s1, s1
; %bb.894:                              ;   in Loop: Header=BB428_803 Depth=1
	v_and_b32_e32 v7, 0xffff, v6
	v_or_b32_e32 v52, 0x10000, v6
	s_delay_alu instid0(VALU_DEP_2) | instskip(NEXT) | instid1(VALU_DEP_2)
	v_cmp_eq_u32_e32 vcc_lo, 0, v7
	v_cndmask_b32_e32 v64, v52, v6, vcc_lo
; %bb.895:                              ;   in Loop: Header=BB428_803 Depth=1
	s_or_b32 exec_lo, exec_lo, s1
	v_lshrrev_b16 v7, 8, v9
	v_mov_b32_e32 v6, 0
	s_mov_b32 s1, exec_lo
	s_delay_alu instid0(VALU_DEP_2)
	v_cmpx_ne_u16_e32 0, v7
	s_cbranch_execz .LBB428_903
; %bb.896:                              ;   in Loop: Header=BB428_803 Depth=1
	v_bfrev_b32_e32 v6, 1
	s_mov_b32 s11, exec_lo
	v_cmpx_ne_u16_e32 0x80, v7
	s_cbranch_execz .LBB428_902
; %bb.897:                              ;   in Loop: Header=BB428_803 Depth=1
	v_and_b32_e32 v7, 0xffff, v7
	v_mov_b32_e32 v6, 0x7f800001
	s_mov_b32 s12, exec_lo
	s_delay_alu instid0(VALU_DEP_2) | instskip(NEXT) | instid1(VALU_DEP_1)
	v_and_b32_e32 v65, 0x7f, v7
	v_cmpx_ne_u32_e32 0x7f, v65
	s_cbranch_execz .LBB428_901
; %bb.898:                              ;   in Loop: Header=BB428_803 Depth=1
	v_dual_mov_b32 v7, v10 :: v_dual_and_b32 v6, 7, v7
	v_lshrrev_b32_e32 v52, 3, v65
	s_mov_b32 s13, exec_lo
	v_cmpx_gt_u32_e32 8, v65
; %bb.899:                              ;   in Loop: Header=BB428_803 Depth=1
	s_delay_alu instid0(VALU_DEP_3) | instskip(NEXT) | instid1(VALU_DEP_1)
	v_clz_i32_u32_e32 v52, v6
	v_min_u32_e32 v52, 32, v52
	s_delay_alu instid0(VALU_DEP_1) | instskip(SKIP_1) | instid1(VALU_DEP_2)
	v_subrev_nc_u32_e32 v65, 28, v52
	v_sub_nc_u32_e32 v52, 29, v52
	v_lshlrev_b64 v[6:7], v65, v[6:7]
	s_delay_alu instid0(VALU_DEP_1)
	v_and_b32_e32 v6, 7, v6
; %bb.900:                              ;   in Loop: Header=BB428_803 Depth=1
	s_or_b32 exec_lo, exec_lo, s13
	v_lshlrev_b32_e32 v7, 16, v9
	s_delay_alu instid0(VALU_DEP_2) | instskip(SKIP_1) | instid1(VALU_DEP_3)
	v_lshlrev_b32_e32 v6, 20, v6
	v_lshl_add_u32 v9, v52, 23, 0x3c000000
	v_and_b32_e32 v7, 0x80000000, v7
	s_delay_alu instid0(VALU_DEP_1)
	v_or3_b32 v6, v6, v7, v9
.LBB428_901:                            ;   in Loop: Header=BB428_803 Depth=1
	s_or_b32 exec_lo, exec_lo, s12
.LBB428_902:                            ;   in Loop: Header=BB428_803 Depth=1
	s_delay_alu instid0(SALU_CYCLE_1)
	s_or_b32 exec_lo, exec_lo, s11
.LBB428_903:                            ;   in Loop: Header=BB428_803 Depth=1
	s_delay_alu instid0(SALU_CYCLE_1) | instskip(NEXT) | instid1(VALU_DEP_1)
	s_or_b32 exec_lo, exec_lo, s1
	v_mul_f32_e32 v7, v26, v6
	s_delay_alu instid0(VALU_DEP_1) | instskip(NEXT) | instid1(VALU_DEP_1)
	v_and_b32_e32 v6, 0x7f800000, v7
	v_cmp_ne_u32_e32 vcc_lo, 0x7f800000, v6
                                        ; implicit-def: $vgpr6
	s_and_saveexec_b32 s1, vcc_lo
	s_delay_alu instid0(SALU_CYCLE_1)
	s_xor_b32 s1, exec_lo, s1
; %bb.904:                              ;   in Loop: Header=BB428_803 Depth=1
	v_bfe_u32 v6, v7, 16, 1
	s_delay_alu instid0(VALU_DEP_1)
	v_add3_u32 v6, v7, v6, 0x7fff
                                        ; implicit-def: $vgpr7
; %bb.905:                              ;   in Loop: Header=BB428_803 Depth=1
	s_and_not1_saveexec_b32 s1, s1
; %bb.906:                              ;   in Loop: Header=BB428_803 Depth=1
	v_and_b32_e32 v6, 0xffff, v7
	v_or_b32_e32 v9, 0x10000, v7
	s_delay_alu instid0(VALU_DEP_2) | instskip(NEXT) | instid1(VALU_DEP_2)
	v_cmp_eq_u32_e32 vcc_lo, 0, v6
	v_cndmask_b32_e32 v6, v9, v7, vcc_lo
; %bb.907:                              ;   in Loop: Header=BB428_803 Depth=1
	s_or_b32 exec_lo, exec_lo, s1
	v_lshrrev_b32_e32 v7, 16, v3
	s_mov_b32 s1, exec_lo
	s_delay_alu instid0(VALU_DEP_1) | instskip(NEXT) | instid1(VALU_DEP_1)
	v_dual_mov_b32 v9, 0 :: v_dual_and_b32 v52, 0xff, v7
	v_cmpx_ne_u16_e32 0, v52
	s_cbranch_execz .LBB428_915
; %bb.908:                              ;   in Loop: Header=BB428_803 Depth=1
	v_bfrev_b32_e32 v9, 1
	s_mov_b32 s11, exec_lo
	v_cmpx_ne_u16_e32 0x80, v52
	s_cbranch_execz .LBB428_914
; %bb.909:                              ;   in Loop: Header=BB428_803 Depth=1
	v_bfe_u32 v65, v3, 16, 7
	v_mov_b32_e32 v9, 0x7f800001
	s_mov_b32 s12, exec_lo
	s_delay_alu instid0(VALU_DEP_2)
	v_cmpx_ne_u32_e32 0x7f, v65
	s_cbranch_execz .LBB428_913
; %bb.910:                              ;   in Loop: Header=BB428_803 Depth=1
	v_and_b32_e32 v9, 7, v7
	v_lshrrev_b32_e32 v52, 3, v65
	s_mov_b32 s13, exec_lo
	v_cmpx_gt_u32_e32 8, v65
; %bb.911:                              ;   in Loop: Header=BB428_803 Depth=1
	s_delay_alu instid0(VALU_DEP_3) | instskip(NEXT) | instid1(VALU_DEP_1)
	v_clz_i32_u32_e32 v52, v9
	v_min_u32_e32 v52, 32, v52
	s_delay_alu instid0(VALU_DEP_1) | instskip(SKIP_1) | instid1(VALU_DEP_2)
	v_subrev_nc_u32_e32 v65, 28, v52
	v_sub_nc_u32_e32 v52, 29, v52
	v_lshlrev_b64 v[65:66], v65, v[9:10]
	s_delay_alu instid0(VALU_DEP_1)
	v_and_b32_e32 v9, 7, v65
; %bb.912:                              ;   in Loop: Header=BB428_803 Depth=1
	s_or_b32 exec_lo, exec_lo, s13
	v_lshlrev_b32_e32 v7, 24, v7
	s_delay_alu instid0(VALU_DEP_2) | instskip(SKIP_1) | instid1(VALU_DEP_3)
	v_lshlrev_b32_e32 v9, 20, v9
	v_lshl_add_u32 v52, v52, 23, 0x3c000000
	v_and_b32_e32 v7, 0x80000000, v7
	s_delay_alu instid0(VALU_DEP_1)
	v_or3_b32 v9, v9, v7, v52
.LBB428_913:                            ;   in Loop: Header=BB428_803 Depth=1
	s_or_b32 exec_lo, exec_lo, s12
.LBB428_914:                            ;   in Loop: Header=BB428_803 Depth=1
	s_delay_alu instid0(SALU_CYCLE_1)
	s_or_b32 exec_lo, exec_lo, s11
.LBB428_915:                            ;   in Loop: Header=BB428_803 Depth=1
	s_delay_alu instid0(SALU_CYCLE_1) | instskip(NEXT) | instid1(VALU_DEP_1)
	s_or_b32 exec_lo, exec_lo, s1
	v_mul_f32_e32 v7, v26, v9
	s_mov_b32 s1, exec_lo
                                        ; implicit-def: $vgpr65
	s_delay_alu instid0(VALU_DEP_1) | instskip(NEXT) | instid1(VALU_DEP_1)
	v_and_b32_e32 v9, 0x7f800000, v7
	v_cmpx_ne_u32_e32 0x7f800000, v9
	s_xor_b32 s1, exec_lo, s1
; %bb.916:                              ;   in Loop: Header=BB428_803 Depth=1
	v_bfe_u32 v9, v7, 16, 1
	s_delay_alu instid0(VALU_DEP_1)
	v_add3_u32 v65, v7, v9, 0x7fff
                                        ; implicit-def: $vgpr7
; %bb.917:                              ;   in Loop: Header=BB428_803 Depth=1
	s_and_not1_saveexec_b32 s1, s1
; %bb.918:                              ;   in Loop: Header=BB428_803 Depth=1
	v_and_b32_e32 v9, 0xffff, v7
	v_or_b32_e32 v52, 0x10000, v7
	s_delay_alu instid0(VALU_DEP_2) | instskip(NEXT) | instid1(VALU_DEP_2)
	v_cmp_eq_u32_e32 vcc_lo, 0, v9
	v_cndmask_b32_e32 v65, v52, v7, vcc_lo
; %bb.919:                              ;   in Loop: Header=BB428_803 Depth=1
	s_or_b32 exec_lo, exec_lo, s1
	v_mov_b32_e32 v7, 0
	s_mov_b32 s1, exec_lo
	v_cmpx_lt_u64_e64 s[2:3], v[2:3]
	s_cbranch_execz .LBB428_927
; %bb.920:                              ;   in Loop: Header=BB428_803 Depth=1
	v_lshrrev_b32_e32 v2, 24, v3
	v_bfrev_b32_e32 v7, 1
	s_mov_b32 s11, exec_lo
	s_delay_alu instid0(VALU_DEP_2)
	v_cmpx_ne_u32_e32 0x80, v2
	s_cbranch_execz .LBB428_926
; %bb.921:                              ;   in Loop: Header=BB428_803 Depth=1
	v_bfe_u32 v52, v3, 24, 7
	v_mov_b32_e32 v7, 0x7f800001
	s_mov_b32 s12, exec_lo
	s_delay_alu instid0(VALU_DEP_2)
	v_cmpx_ne_u32_e32 0x7f, v52
	s_cbranch_execz .LBB428_925
; %bb.922:                              ;   in Loop: Header=BB428_803 Depth=1
	v_and_b32_e32 v9, 7, v2
	v_lshrrev_b32_e32 v3, 3, v52
	s_mov_b32 s13, exec_lo
	v_cmpx_gt_u32_e32 8, v52
; %bb.923:                              ;   in Loop: Header=BB428_803 Depth=1
	s_delay_alu instid0(VALU_DEP_3) | instskip(NEXT) | instid1(VALU_DEP_1)
	v_clz_i32_u32_e32 v3, v9
	v_min_u32_e32 v3, 32, v3
	s_delay_alu instid0(VALU_DEP_1) | instskip(SKIP_1) | instid1(VALU_DEP_2)
	v_subrev_nc_u32_e32 v7, 28, v3
	v_sub_nc_u32_e32 v3, 29, v3
	v_lshlrev_b64 v[68:69], v7, v[9:10]
	s_delay_alu instid0(VALU_DEP_1)
	v_and_b32_e32 v9, 7, v68
; %bb.924:                              ;   in Loop: Header=BB428_803 Depth=1
	s_or_b32 exec_lo, exec_lo, s13
	v_lshlrev_b32_e32 v2, 24, v2
	s_delay_alu instid0(VALU_DEP_2) | instskip(SKIP_1) | instid1(VALU_DEP_3)
	v_lshlrev_b32_e32 v7, 20, v9
	v_lshl_add_u32 v3, v3, 23, 0x3c000000
	v_and_b32_e32 v2, 0x80000000, v2
	s_delay_alu instid0(VALU_DEP_1)
	v_or3_b32 v7, v7, v2, v3
.LBB428_925:                            ;   in Loop: Header=BB428_803 Depth=1
	s_or_b32 exec_lo, exec_lo, s12
.LBB428_926:                            ;   in Loop: Header=BB428_803 Depth=1
	s_delay_alu instid0(SALU_CYCLE_1)
	s_or_b32 exec_lo, exec_lo, s11
.LBB428_927:                            ;   in Loop: Header=BB428_803 Depth=1
	s_delay_alu instid0(SALU_CYCLE_1) | instskip(NEXT) | instid1(VALU_DEP_1)
	s_or_b32 exec_lo, exec_lo, s1
	v_mul_f32_e32 v3, v26, v7
	s_delay_alu instid0(VALU_DEP_1) | instskip(NEXT) | instid1(VALU_DEP_1)
	v_and_b32_e32 v2, 0x7f800000, v3
	v_cmp_ne_u32_e32 vcc_lo, 0x7f800000, v2
                                        ; implicit-def: $vgpr2
	s_and_saveexec_b32 s1, vcc_lo
	s_delay_alu instid0(SALU_CYCLE_1)
	s_xor_b32 s1, exec_lo, s1
; %bb.928:                              ;   in Loop: Header=BB428_803 Depth=1
	v_bfe_u32 v2, v3, 16, 1
	s_delay_alu instid0(VALU_DEP_1)
	v_add3_u32 v2, v3, v2, 0x7fff
                                        ; implicit-def: $vgpr3
; %bb.929:                              ;   in Loop: Header=BB428_803 Depth=1
	s_and_not1_saveexec_b32 s1, s1
; %bb.930:                              ;   in Loop: Header=BB428_803 Depth=1
	v_and_b32_e32 v2, 0xffff, v3
	v_or_b32_e32 v7, 0x10000, v3
	s_delay_alu instid0(VALU_DEP_2) | instskip(NEXT) | instid1(VALU_DEP_2)
	v_cmp_eq_u32_e32 vcc_lo, 0, v2
	v_cndmask_b32_e32 v2, v7, v3, vcc_lo
; %bb.931:                              ;   in Loop: Header=BB428_803 Depth=1
	s_or_b32 exec_lo, exec_lo, s1
	v_cmp_eq_u32_e32 vcc_lo, v27, v16
	v_add_nc_u32_e32 v52, -7, v15
	v_lshrrev_b32_e32 v6, 16, v6
	v_lshrrev_b32_e32 v7, 16, v64
	;; [unrolled: 1-line block ×8, first 2 shown]
	v_add_nc_u32_e32 v66, -6, v15
	v_add_nc_u32_e32 v65, -5, v15
	;; [unrolled: 1-line block ×6, first 2 shown]
	s_and_saveexec_b32 s11, vcc_lo
	s_cbranch_execz .LBB428_933
; %bb.932:                              ;   in Loop: Header=BB428_803 Depth=1
	v_cmp_lt_i32_e64 s1, v52, v33
	s_delay_alu instid0(VALU_DEP_1) | instskip(SKIP_1) | instid1(VALU_DEP_1)
	v_cndmask_b32_e64 v8, 0, v8, s1
	v_cmp_lt_i32_e64 s1, v66, v33
	v_cndmask_b32_e64 v69, 0, v69, s1
	v_cmp_lt_i32_e64 s1, v65, v33
	s_delay_alu instid0(VALU_DEP_1) | instskip(SKIP_1) | instid1(VALU_DEP_1)
	v_cndmask_b32_e64 v70, 0, v70, s1
	v_cmp_lt_i32_e64 s1, v64, v33
	v_cndmask_b32_e64 v9, 0, v9, s1
	;; [unrolled: 5-line block ×4, first 2 shown]
.LBB428_933:                            ;   in Loop: Header=BB428_803 Depth=1
	s_or_b32 exec_lo, exec_lo, s11
	v_and_b32_e32 v67, 0xffff0000, v67
	v_lshlrev_b32_e32 v8, 16, v8
	s_delay_alu instid0(VALU_DEP_1) | instskip(NEXT) | instid1(VALU_DEP_1)
	v_mul_f32_e32 v68, v67, v8
	v_and_b32_e32 v8, 0x7f800000, v68
	s_delay_alu instid0(VALU_DEP_1) | instskip(NEXT) | instid1(VALU_DEP_1)
	v_cmp_ne_u32_e64 s1, 0x7f800000, v8
                                        ; implicit-def: $vgpr8
	s_and_saveexec_b32 s11, s1
	s_delay_alu instid0(SALU_CYCLE_1)
	s_xor_b32 s1, exec_lo, s11
; %bb.934:                              ;   in Loop: Header=BB428_803 Depth=1
	v_bfe_u32 v8, v68, 16, 1
	s_delay_alu instid0(VALU_DEP_1)
	v_add3_u32 v8, v68, v8, 0x7fff
                                        ; implicit-def: $vgpr68
; %bb.935:                              ;   in Loop: Header=BB428_803 Depth=1
	s_and_not1_saveexec_b32 s11, s1
; %bb.936:                              ;   in Loop: Header=BB428_803 Depth=1
	v_and_b32_e32 v8, 0xffff, v68
	v_or_b32_e32 v71, 0x10000, v68
	s_delay_alu instid0(VALU_DEP_2) | instskip(NEXT) | instid1(VALU_DEP_1)
	v_cmp_eq_u32_e64 s1, 0, v8
	v_cndmask_b32_e64 v8, v71, v68, s1
; %bb.937:                              ;   in Loop: Header=BB428_803 Depth=1
	s_or_b32 exec_lo, exec_lo, s11
	v_and_b32_e32 v68, 0xffff0000, v37
	v_lshlrev_b32_e32 v37, 16, v69
	s_delay_alu instid0(VALU_DEP_1) | instskip(NEXT) | instid1(VALU_DEP_1)
	v_mul_f32_e32 v69, v68, v37
	v_and_b32_e32 v37, 0x7f800000, v69
	s_delay_alu instid0(VALU_DEP_1) | instskip(NEXT) | instid1(VALU_DEP_1)
	v_cmp_ne_u32_e64 s1, 0x7f800000, v37
                                        ; implicit-def: $vgpr37
	s_and_saveexec_b32 s11, s1
	s_delay_alu instid0(SALU_CYCLE_1)
	s_xor_b32 s1, exec_lo, s11
; %bb.938:                              ;   in Loop: Header=BB428_803 Depth=1
	v_bfe_u32 v37, v69, 16, 1
	s_delay_alu instid0(VALU_DEP_1)
	v_add3_u32 v37, v69, v37, 0x7fff
                                        ; implicit-def: $vgpr69
; %bb.939:                              ;   in Loop: Header=BB428_803 Depth=1
	s_and_not1_saveexec_b32 s11, s1
; %bb.940:                              ;   in Loop: Header=BB428_803 Depth=1
	v_and_b32_e32 v37, 0xffff, v69
	v_or_b32_e32 v71, 0x10000, v69
	s_delay_alu instid0(VALU_DEP_2) | instskip(NEXT) | instid1(VALU_DEP_1)
	v_cmp_eq_u32_e64 s1, 0, v37
	v_cndmask_b32_e64 v37, v71, v69, s1
; %bb.941:                              ;   in Loop: Header=BB428_803 Depth=1
	s_or_b32 exec_lo, exec_lo, s11
	v_and_b32_e32 v69, 0xffff0000, v38
	v_lshlrev_b32_e32 v38, 16, v70
	s_delay_alu instid0(VALU_DEP_1) | instskip(NEXT) | instid1(VALU_DEP_1)
	v_mul_f32_e32 v70, v69, v38
	v_and_b32_e32 v38, 0x7f800000, v70
	s_delay_alu instid0(VALU_DEP_1) | instskip(NEXT) | instid1(VALU_DEP_1)
	v_cmp_ne_u32_e64 s1, 0x7f800000, v38
                                        ; implicit-def: $vgpr38
	s_and_saveexec_b32 s11, s1
	s_delay_alu instid0(SALU_CYCLE_1)
	s_xor_b32 s1, exec_lo, s11
; %bb.942:                              ;   in Loop: Header=BB428_803 Depth=1
	v_bfe_u32 v38, v70, 16, 1
	s_delay_alu instid0(VALU_DEP_1)
	v_add3_u32 v38, v70, v38, 0x7fff
                                        ; implicit-def: $vgpr70
; %bb.943:                              ;   in Loop: Header=BB428_803 Depth=1
	s_and_not1_saveexec_b32 s11, s1
; %bb.944:                              ;   in Loop: Header=BB428_803 Depth=1
	v_and_b32_e32 v38, 0xffff, v70
	v_or_b32_e32 v71, 0x10000, v70
	s_delay_alu instid0(VALU_DEP_2) | instskip(NEXT) | instid1(VALU_DEP_1)
	v_cmp_eq_u32_e64 s1, 0, v38
	v_cndmask_b32_e64 v38, v71, v70, s1
; %bb.945:                              ;   in Loop: Header=BB428_803 Depth=1
	s_or_b32 exec_lo, exec_lo, s11
	v_and_b32_e32 v70, 0xffff0000, v39
	v_lshlrev_b32_e32 v9, 16, v9
	s_delay_alu instid0(VALU_DEP_1) | instskip(NEXT) | instid1(VALU_DEP_1)
	v_mul_f32_e32 v9, v70, v9
	v_and_b32_e32 v39, 0x7f800000, v9
	s_delay_alu instid0(VALU_DEP_1) | instskip(NEXT) | instid1(VALU_DEP_1)
	v_cmp_ne_u32_e64 s1, 0x7f800000, v39
                                        ; implicit-def: $vgpr39
	s_and_saveexec_b32 s11, s1
	s_delay_alu instid0(SALU_CYCLE_1)
	s_xor_b32 s1, exec_lo, s11
; %bb.946:                              ;   in Loop: Header=BB428_803 Depth=1
	v_bfe_u32 v39, v9, 16, 1
	s_delay_alu instid0(VALU_DEP_1)
	v_add3_u32 v39, v9, v39, 0x7fff
                                        ; implicit-def: $vgpr9
; %bb.947:                              ;   in Loop: Header=BB428_803 Depth=1
	s_and_not1_saveexec_b32 s11, s1
; %bb.948:                              ;   in Loop: Header=BB428_803 Depth=1
	v_and_b32_e32 v39, 0xffff, v9
	v_or_b32_e32 v71, 0x10000, v9
	s_delay_alu instid0(VALU_DEP_2) | instskip(NEXT) | instid1(VALU_DEP_1)
	v_cmp_eq_u32_e64 s1, 0, v39
	v_cndmask_b32_e64 v39, v71, v9, s1
; %bb.949:                              ;   in Loop: Header=BB428_803 Depth=1
	s_or_b32 exec_lo, exec_lo, s11
	v_and_b32_e32 v71, 0xffff0000, v48
	v_lshlrev_b32_e32 v7, 16, v7
                                        ; implicit-def: $vgpr48
	s_delay_alu instid0(VALU_DEP_1) | instskip(NEXT) | instid1(VALU_DEP_1)
	v_mul_f32_e32 v7, v71, v7
	v_and_b32_e32 v9, 0x7f800000, v7
	s_delay_alu instid0(VALU_DEP_1) | instskip(NEXT) | instid1(VALU_DEP_1)
	v_cmp_ne_u32_e64 s1, 0x7f800000, v9
	s_and_saveexec_b32 s11, s1
	s_delay_alu instid0(SALU_CYCLE_1)
	s_xor_b32 s1, exec_lo, s11
; %bb.950:                              ;   in Loop: Header=BB428_803 Depth=1
	v_bfe_u32 v9, v7, 16, 1
	s_delay_alu instid0(VALU_DEP_1)
	v_add3_u32 v48, v7, v9, 0x7fff
                                        ; implicit-def: $vgpr7
; %bb.951:                              ;   in Loop: Header=BB428_803 Depth=1
	s_and_not1_saveexec_b32 s11, s1
; %bb.952:                              ;   in Loop: Header=BB428_803 Depth=1
	v_and_b32_e32 v9, 0xffff, v7
	v_or_b32_e32 v48, 0x10000, v7
	s_delay_alu instid0(VALU_DEP_2) | instskip(NEXT) | instid1(VALU_DEP_1)
	v_cmp_eq_u32_e64 s1, 0, v9
	v_cndmask_b32_e64 v48, v48, v7, s1
; %bb.953:                              ;   in Loop: Header=BB428_803 Depth=1
	s_or_b32 exec_lo, exec_lo, s11
	v_and_b32_e32 v80, 0xffff0000, v49
	v_lshlrev_b32_e32 v6, 16, v6
                                        ; implicit-def: $vgpr49
	s_delay_alu instid0(VALU_DEP_1) | instskip(NEXT) | instid1(VALU_DEP_1)
	v_mul_f32_e32 v6, v80, v6
	v_and_b32_e32 v7, 0x7f800000, v6
	s_delay_alu instid0(VALU_DEP_1) | instskip(NEXT) | instid1(VALU_DEP_1)
	v_cmp_ne_u32_e64 s1, 0x7f800000, v7
	s_and_saveexec_b32 s11, s1
	s_delay_alu instid0(SALU_CYCLE_1)
	s_xor_b32 s1, exec_lo, s11
; %bb.954:                              ;   in Loop: Header=BB428_803 Depth=1
	v_bfe_u32 v7, v6, 16, 1
	s_delay_alu instid0(VALU_DEP_1)
	v_add3_u32 v49, v6, v7, 0x7fff
                                        ; implicit-def: $vgpr6
; %bb.955:                              ;   in Loop: Header=BB428_803 Depth=1
	s_and_not1_saveexec_b32 s11, s1
; %bb.956:                              ;   in Loop: Header=BB428_803 Depth=1
	v_and_b32_e32 v7, 0xffff, v6
	v_or_b32_e32 v9, 0x10000, v6
	s_delay_alu instid0(VALU_DEP_2) | instskip(NEXT) | instid1(VALU_DEP_1)
	v_cmp_eq_u32_e64 s1, 0, v7
	v_cndmask_b32_e64 v49, v9, v6, s1
; %bb.957:                              ;   in Loop: Header=BB428_803 Depth=1
	s_or_b32 exec_lo, exec_lo, s11
	v_and_b32_e32 v81, 0xffff0000, v50
	v_lshlrev_b32_e32 v3, 16, v3
                                        ; implicit-def: $vgpr50
	s_delay_alu instid0(VALU_DEP_1) | instskip(NEXT) | instid1(VALU_DEP_1)
	v_mul_f32_e32 v3, v81, v3
	v_and_b32_e32 v6, 0x7f800000, v3
	s_delay_alu instid0(VALU_DEP_1) | instskip(NEXT) | instid1(VALU_DEP_1)
	v_cmp_ne_u32_e64 s1, 0x7f800000, v6
	s_and_saveexec_b32 s11, s1
	s_delay_alu instid0(SALU_CYCLE_1)
	s_xor_b32 s1, exec_lo, s11
; %bb.958:                              ;   in Loop: Header=BB428_803 Depth=1
	v_bfe_u32 v6, v3, 16, 1
	s_delay_alu instid0(VALU_DEP_1)
	v_add3_u32 v50, v3, v6, 0x7fff
                                        ; implicit-def: $vgpr3
; %bb.959:                              ;   in Loop: Header=BB428_803 Depth=1
	s_and_not1_saveexec_b32 s11, s1
; %bb.960:                              ;   in Loop: Header=BB428_803 Depth=1
	v_and_b32_e32 v6, 0xffff, v3
	v_or_b32_e32 v7, 0x10000, v3
	s_delay_alu instid0(VALU_DEP_2) | instskip(NEXT) | instid1(VALU_DEP_1)
	v_cmp_eq_u32_e64 s1, 0, v6
	v_cndmask_b32_e64 v50, v7, v3, s1
; %bb.961:                              ;   in Loop: Header=BB428_803 Depth=1
	s_or_b32 exec_lo, exec_lo, s11
	v_and_b32_e32 v82, 0xffff0000, v51
	v_lshlrev_b32_e32 v2, 16, v2
                                        ; implicit-def: $vgpr51
	s_delay_alu instid0(VALU_DEP_1) | instskip(NEXT) | instid1(VALU_DEP_1)
	v_mul_f32_e32 v2, v82, v2
	v_and_b32_e32 v3, 0x7f800000, v2
	s_delay_alu instid0(VALU_DEP_1) | instskip(NEXT) | instid1(VALU_DEP_1)
	v_cmp_ne_u32_e64 s1, 0x7f800000, v3
	s_and_saveexec_b32 s11, s1
	s_delay_alu instid0(SALU_CYCLE_1)
	s_xor_b32 s1, exec_lo, s11
; %bb.962:                              ;   in Loop: Header=BB428_803 Depth=1
	v_bfe_u32 v3, v2, 16, 1
	s_delay_alu instid0(VALU_DEP_1)
	v_add3_u32 v51, v2, v3, 0x7fff
                                        ; implicit-def: $vgpr2
; %bb.963:                              ;   in Loop: Header=BB428_803 Depth=1
	s_and_not1_saveexec_b32 s11, s1
; %bb.964:                              ;   in Loop: Header=BB428_803 Depth=1
	v_and_b32_e32 v3, 0xffff, v2
	v_or_b32_e32 v6, 0x10000, v2
	s_delay_alu instid0(VALU_DEP_2) | instskip(NEXT) | instid1(VALU_DEP_1)
	v_cmp_eq_u32_e64 s1, 0, v3
	v_cndmask_b32_e64 v51, v6, v2, s1
; %bb.965:                              ;   in Loop: Header=BB428_803 Depth=1
	s_or_b32 exec_lo, exec_lo, s11
	flat_load_b64 v[2:3], v[0:1] offset:256
	s_mov_b32 s11, exec_lo
	s_waitcnt vmcnt(0) lgkmcnt(0)
	v_dual_mov_b32 v6, 0 :: v_dual_and_b32 v7, 0xff, v2
	s_delay_alu instid0(VALU_DEP_1)
	v_cmpx_ne_u16_e32 0, v7
	s_cbranch_execz .LBB428_973
; %bb.966:                              ;   in Loop: Header=BB428_803 Depth=1
	v_bfrev_b32_e32 v6, 1
	s_mov_b32 s12, exec_lo
	v_cmpx_ne_u16_e32 0x80, v7
	s_cbranch_execz .LBB428_972
; %bb.967:                              ;   in Loop: Header=BB428_803 Depth=1
	v_and_b32_e32 v7, 0x7f, v2
	v_mov_b32_e32 v6, 0x7f800001
	s_mov_b32 s13, exec_lo
	s_delay_alu instid0(VALU_DEP_2)
	v_cmpx_ne_u32_e32 0x7f, v7
	s_cbranch_execz .LBB428_971
; %bb.968:                              ;   in Loop: Header=BB428_803 Depth=1
	v_lshrrev_b32_e32 v9, 3, v7
	v_cmp_gt_u32_e64 s1, 8, v7
	v_dual_mov_b32 v7, v3 :: v_dual_mov_b32 v6, v2
	s_delay_alu instid0(VALU_DEP_2)
	s_and_saveexec_b32 s15, s1
; %bb.969:                              ;   in Loop: Header=BB428_803 Depth=1
	v_and_b32_e32 v6, 7, v2
	s_delay_alu instid0(VALU_DEP_1) | instskip(NEXT) | instid1(VALU_DEP_1)
	v_clz_i32_u32_e32 v6, v6
	v_min_u32_e32 v9, 32, v6
	s_delay_alu instid0(VALU_DEP_1) | instskip(SKIP_1) | instid1(VALU_DEP_2)
	v_subrev_nc_u32_e32 v6, 28, v9
	v_sub_nc_u32_e32 v9, 29, v9
	v_lshlrev_b64 v[6:7], v6, v[2:3]
; %bb.970:                              ;   in Loop: Header=BB428_803 Depth=1
	s_or_b32 exec_lo, exec_lo, s15
	s_delay_alu instid0(VALU_DEP_1) | instskip(SKIP_2) | instid1(VALU_DEP_3)
	v_lshlrev_b32_e32 v6, 20, v6
	v_lshlrev_b32_e32 v7, 24, v2
	v_lshl_add_u32 v9, v9, 23, 0x3c000000
	v_and_b32_e32 v6, 0x700000, v6
	s_delay_alu instid0(VALU_DEP_3) | instskip(NEXT) | instid1(VALU_DEP_1)
	v_and_b32_e32 v7, 0x80000000, v7
	v_or3_b32 v6, v6, v7, v9
.LBB428_971:                            ;   in Loop: Header=BB428_803 Depth=1
	s_or_b32 exec_lo, exec_lo, s13
.LBB428_972:                            ;   in Loop: Header=BB428_803 Depth=1
	s_delay_alu instid0(SALU_CYCLE_1)
	s_or_b32 exec_lo, exec_lo, s12
.LBB428_973:                            ;   in Loop: Header=BB428_803 Depth=1
	s_delay_alu instid0(SALU_CYCLE_1) | instskip(NEXT) | instid1(VALU_DEP_1)
	s_or_b32 exec_lo, exec_lo, s11
	v_mul_f32_e32 v6, v26, v6
                                        ; implicit-def: $vgpr83
	s_delay_alu instid0(VALU_DEP_1) | instskip(NEXT) | instid1(VALU_DEP_1)
	v_and_b32_e32 v7, 0x7f800000, v6
	v_cmp_ne_u32_e64 s1, 0x7f800000, v7
	s_delay_alu instid0(VALU_DEP_1) | instskip(NEXT) | instid1(SALU_CYCLE_1)
	s_and_saveexec_b32 s11, s1
	s_xor_b32 s1, exec_lo, s11
; %bb.974:                              ;   in Loop: Header=BB428_803 Depth=1
	v_bfe_u32 v7, v6, 16, 1
	s_delay_alu instid0(VALU_DEP_1)
	v_add3_u32 v83, v6, v7, 0x7fff
                                        ; implicit-def: $vgpr6
; %bb.975:                              ;   in Loop: Header=BB428_803 Depth=1
	s_and_not1_saveexec_b32 s11, s1
; %bb.976:                              ;   in Loop: Header=BB428_803 Depth=1
	v_and_b32_e32 v7, 0xffff, v6
	v_or_b32_e32 v9, 0x10000, v6
	s_delay_alu instid0(VALU_DEP_2) | instskip(NEXT) | instid1(VALU_DEP_1)
	v_cmp_eq_u32_e64 s1, 0, v7
	v_cndmask_b32_e64 v83, v9, v6, s1
; %bb.977:                              ;   in Loop: Header=BB428_803 Depth=1
	s_or_b32 exec_lo, exec_lo, s11
	v_lshrrev_b16 v7, 8, v2
	v_mov_b32_e32 v6, 0
	s_mov_b32 s11, exec_lo
	s_delay_alu instid0(VALU_DEP_2)
	v_cmpx_ne_u16_e32 0, v7
	s_cbranch_execz .LBB428_985
; %bb.978:                              ;   in Loop: Header=BB428_803 Depth=1
	v_bfrev_b32_e32 v6, 1
	s_mov_b32 s12, exec_lo
	v_cmpx_ne_u16_e32 0x80, v7
	s_cbranch_execz .LBB428_984
; %bb.979:                              ;   in Loop: Header=BB428_803 Depth=1
	v_and_b32_e32 v9, 0xffff, v7
	v_mov_b32_e32 v6, 0x7f800001
	s_mov_b32 s13, exec_lo
	s_delay_alu instid0(VALU_DEP_2) | instskip(NEXT) | instid1(VALU_DEP_1)
	v_and_b32_e32 v7, 0x7f, v9
	v_cmpx_ne_u32_e32 0x7f, v7
	s_cbranch_execz .LBB428_983
; %bb.980:                              ;   in Loop: Header=BB428_803 Depth=1
	v_and_b32_e32 v9, 7, v9
	v_lshrrev_b32_e32 v6, 3, v7
	s_mov_b32 s15, exec_lo
	v_cmpx_gt_u32_e32 8, v7
; %bb.981:                              ;   in Loop: Header=BB428_803 Depth=1
	s_delay_alu instid0(VALU_DEP_3) | instskip(NEXT) | instid1(VALU_DEP_1)
	v_clz_i32_u32_e32 v6, v9
	v_min_u32_e32 v6, 32, v6
	s_delay_alu instid0(VALU_DEP_1) | instskip(SKIP_1) | instid1(VALU_DEP_2)
	v_subrev_nc_u32_e32 v7, 28, v6
	v_sub_nc_u32_e32 v6, 29, v6
	v_lshlrev_b64 v[84:85], v7, v[9:10]
	s_delay_alu instid0(VALU_DEP_1)
	v_and_b32_e32 v9, 7, v84
; %bb.982:                              ;   in Loop: Header=BB428_803 Depth=1
	s_or_b32 exec_lo, exec_lo, s15
	v_lshlrev_b32_e32 v7, 16, v2
	s_delay_alu instid0(VALU_DEP_2) | instskip(SKIP_1) | instid1(VALU_DEP_3)
	v_lshlrev_b32_e32 v9, 20, v9
	v_lshl_add_u32 v6, v6, 23, 0x3c000000
	v_and_b32_e32 v7, 0x80000000, v7
	s_delay_alu instid0(VALU_DEP_1)
	v_or3_b32 v6, v9, v7, v6
.LBB428_983:                            ;   in Loop: Header=BB428_803 Depth=1
	s_or_b32 exec_lo, exec_lo, s13
.LBB428_984:                            ;   in Loop: Header=BB428_803 Depth=1
	s_delay_alu instid0(SALU_CYCLE_1)
	s_or_b32 exec_lo, exec_lo, s12
.LBB428_985:                            ;   in Loop: Header=BB428_803 Depth=1
	s_delay_alu instid0(SALU_CYCLE_1) | instskip(NEXT) | instid1(VALU_DEP_1)
	s_or_b32 exec_lo, exec_lo, s11
	v_mul_f32_e32 v6, v26, v6
                                        ; implicit-def: $vgpr84
	s_delay_alu instid0(VALU_DEP_1) | instskip(NEXT) | instid1(VALU_DEP_1)
	v_and_b32_e32 v7, 0x7f800000, v6
	v_cmp_ne_u32_e64 s1, 0x7f800000, v7
	s_delay_alu instid0(VALU_DEP_1) | instskip(NEXT) | instid1(SALU_CYCLE_1)
	s_and_saveexec_b32 s11, s1
	s_xor_b32 s1, exec_lo, s11
; %bb.986:                              ;   in Loop: Header=BB428_803 Depth=1
	v_bfe_u32 v7, v6, 16, 1
	s_delay_alu instid0(VALU_DEP_1)
	v_add3_u32 v84, v6, v7, 0x7fff
                                        ; implicit-def: $vgpr6
; %bb.987:                              ;   in Loop: Header=BB428_803 Depth=1
	s_and_not1_saveexec_b32 s11, s1
; %bb.988:                              ;   in Loop: Header=BB428_803 Depth=1
	v_and_b32_e32 v7, 0xffff, v6
	v_or_b32_e32 v9, 0x10000, v6
	s_delay_alu instid0(VALU_DEP_2) | instskip(NEXT) | instid1(VALU_DEP_1)
	v_cmp_eq_u32_e64 s1, 0, v7
	v_cndmask_b32_e64 v84, v9, v6, s1
; %bb.989:                              ;   in Loop: Header=BB428_803 Depth=1
	s_or_b32 exec_lo, exec_lo, s11
	v_lshrrev_b32_e32 v6, 16, v2
	v_mov_b32_e32 v7, 0
	s_mov_b32 s11, exec_lo
	s_delay_alu instid0(VALU_DEP_2) | instskip(NEXT) | instid1(VALU_DEP_1)
	v_and_b32_e32 v9, 0xff, v6
	v_cmpx_ne_u16_e32 0, v9
	s_cbranch_execz .LBB428_997
; %bb.990:                              ;   in Loop: Header=BB428_803 Depth=1
	v_bfrev_b32_e32 v7, 1
	s_mov_b32 s12, exec_lo
	v_cmpx_ne_u16_e32 0x80, v9
	s_cbranch_execz .LBB428_996
; %bb.991:                              ;   in Loop: Header=BB428_803 Depth=1
	v_bfe_u32 v85, v2, 16, 7
	v_mov_b32_e32 v7, 0x7f800001
	s_mov_b32 s13, exec_lo
	s_delay_alu instid0(VALU_DEP_2)
	v_cmpx_ne_u32_e32 0x7f, v85
	s_cbranch_execz .LBB428_995
; %bb.992:                              ;   in Loop: Header=BB428_803 Depth=1
	v_and_b32_e32 v9, 7, v6
	v_lshrrev_b32_e32 v7, 3, v85
	s_mov_b32 s15, exec_lo
	v_cmpx_gt_u32_e32 8, v85
; %bb.993:                              ;   in Loop: Header=BB428_803 Depth=1
	s_delay_alu instid0(VALU_DEP_3) | instskip(NEXT) | instid1(VALU_DEP_1)
	v_clz_i32_u32_e32 v7, v9
	v_min_u32_e32 v7, 32, v7
	s_delay_alu instid0(VALU_DEP_1) | instskip(SKIP_1) | instid1(VALU_DEP_2)
	v_subrev_nc_u32_e32 v85, 28, v7
	v_sub_nc_u32_e32 v7, 29, v7
	v_lshlrev_b64 v[85:86], v85, v[9:10]
	s_delay_alu instid0(VALU_DEP_1)
	v_and_b32_e32 v9, 7, v85
; %bb.994:                              ;   in Loop: Header=BB428_803 Depth=1
	s_or_b32 exec_lo, exec_lo, s15
	v_lshlrev_b32_e32 v6, 24, v6
	s_delay_alu instid0(VALU_DEP_2) | instskip(SKIP_1) | instid1(VALU_DEP_3)
	v_lshlrev_b32_e32 v9, 20, v9
	v_lshl_add_u32 v7, v7, 23, 0x3c000000
	v_and_b32_e32 v6, 0x80000000, v6
	s_delay_alu instid0(VALU_DEP_1)
	v_or3_b32 v7, v9, v6, v7
.LBB428_995:                            ;   in Loop: Header=BB428_803 Depth=1
	s_or_b32 exec_lo, exec_lo, s13
.LBB428_996:                            ;   in Loop: Header=BB428_803 Depth=1
	s_delay_alu instid0(SALU_CYCLE_1)
	s_or_b32 exec_lo, exec_lo, s12
.LBB428_997:                            ;   in Loop: Header=BB428_803 Depth=1
	s_delay_alu instid0(SALU_CYCLE_1) | instskip(NEXT) | instid1(VALU_DEP_1)
	s_or_b32 exec_lo, exec_lo, s11
	v_mul_f32_e32 v6, v26, v7
                                        ; implicit-def: $vgpr85
	s_delay_alu instid0(VALU_DEP_1) | instskip(NEXT) | instid1(VALU_DEP_1)
	v_and_b32_e32 v7, 0x7f800000, v6
	v_cmp_ne_u32_e64 s1, 0x7f800000, v7
	s_delay_alu instid0(VALU_DEP_1) | instskip(NEXT) | instid1(SALU_CYCLE_1)
	s_and_saveexec_b32 s11, s1
	s_xor_b32 s1, exec_lo, s11
; %bb.998:                              ;   in Loop: Header=BB428_803 Depth=1
	v_bfe_u32 v7, v6, 16, 1
	s_delay_alu instid0(VALU_DEP_1)
	v_add3_u32 v85, v6, v7, 0x7fff
                                        ; implicit-def: $vgpr6
; %bb.999:                              ;   in Loop: Header=BB428_803 Depth=1
	s_and_not1_saveexec_b32 s11, s1
; %bb.1000:                             ;   in Loop: Header=BB428_803 Depth=1
	v_and_b32_e32 v7, 0xffff, v6
	v_or_b32_e32 v9, 0x10000, v6
	s_delay_alu instid0(VALU_DEP_2) | instskip(NEXT) | instid1(VALU_DEP_1)
	v_cmp_eq_u32_e64 s1, 0, v7
	v_cndmask_b32_e64 v85, v9, v6, s1
; %bb.1001:                             ;   in Loop: Header=BB428_803 Depth=1
	s_or_b32 exec_lo, exec_lo, s11
	v_mov_b32_e32 v7, 0
	s_mov_b32 s11, exec_lo
	v_cmpx_lt_u32_e32 0xffffff, v2
	s_cbranch_execz .LBB428_1009
; %bb.1002:                             ;   in Loop: Header=BB428_803 Depth=1
	v_lshrrev_b32_e32 v6, 24, v2
	v_bfrev_b32_e32 v7, 1
	s_mov_b32 s12, exec_lo
	s_delay_alu instid0(VALU_DEP_2)
	v_cmpx_ne_u32_e32 0x80, v6
	s_cbranch_execz .LBB428_1008
; %bb.1003:                             ;   in Loop: Header=BB428_803 Depth=1
	v_bfe_u32 v86, v2, 24, 7
	v_mov_b32_e32 v7, 0x7f800001
	s_mov_b32 s13, exec_lo
	s_delay_alu instid0(VALU_DEP_2)
	v_cmpx_ne_u32_e32 0x7f, v86
	s_cbranch_execz .LBB428_1007
; %bb.1004:                             ;   in Loop: Header=BB428_803 Depth=1
	v_and_b32_e32 v9, 7, v6
	v_lshrrev_b32_e32 v7, 3, v86
	s_mov_b32 s15, exec_lo
	v_cmpx_gt_u32_e32 8, v86
; %bb.1005:                             ;   in Loop: Header=BB428_803 Depth=1
	s_delay_alu instid0(VALU_DEP_3) | instskip(NEXT) | instid1(VALU_DEP_1)
	v_clz_i32_u32_e32 v7, v9
	v_min_u32_e32 v7, 32, v7
	s_delay_alu instid0(VALU_DEP_1) | instskip(SKIP_1) | instid1(VALU_DEP_2)
	v_subrev_nc_u32_e32 v86, 28, v7
	v_sub_nc_u32_e32 v7, 29, v7
	v_lshlrev_b64 v[86:87], v86, v[9:10]
	s_delay_alu instid0(VALU_DEP_1)
	v_and_b32_e32 v9, 7, v86
; %bb.1006:                             ;   in Loop: Header=BB428_803 Depth=1
	s_or_b32 exec_lo, exec_lo, s15
	v_lshlrev_b32_e32 v6, 24, v6
	s_delay_alu instid0(VALU_DEP_2) | instskip(SKIP_1) | instid1(VALU_DEP_3)
	v_lshlrev_b32_e32 v9, 20, v9
	v_lshl_add_u32 v7, v7, 23, 0x3c000000
	v_and_b32_e32 v6, 0x80000000, v6
	s_delay_alu instid0(VALU_DEP_1)
	v_or3_b32 v7, v9, v6, v7
.LBB428_1007:                           ;   in Loop: Header=BB428_803 Depth=1
	s_or_b32 exec_lo, exec_lo, s13
.LBB428_1008:                           ;   in Loop: Header=BB428_803 Depth=1
	s_delay_alu instid0(SALU_CYCLE_1)
	s_or_b32 exec_lo, exec_lo, s12
.LBB428_1009:                           ;   in Loop: Header=BB428_803 Depth=1
	s_delay_alu instid0(SALU_CYCLE_1) | instskip(NEXT) | instid1(VALU_DEP_1)
	s_or_b32 exec_lo, exec_lo, s11
	v_mul_f32_e32 v6, v26, v7
                                        ; implicit-def: $vgpr86
	s_delay_alu instid0(VALU_DEP_1) | instskip(NEXT) | instid1(VALU_DEP_1)
	v_and_b32_e32 v7, 0x7f800000, v6
	v_cmp_ne_u32_e64 s1, 0x7f800000, v7
	s_delay_alu instid0(VALU_DEP_1) | instskip(NEXT) | instid1(SALU_CYCLE_1)
	s_and_saveexec_b32 s11, s1
	s_xor_b32 s1, exec_lo, s11
; %bb.1010:                             ;   in Loop: Header=BB428_803 Depth=1
	v_bfe_u32 v7, v6, 16, 1
	s_delay_alu instid0(VALU_DEP_1)
	v_add3_u32 v86, v6, v7, 0x7fff
                                        ; implicit-def: $vgpr6
; %bb.1011:                             ;   in Loop: Header=BB428_803 Depth=1
	s_and_not1_saveexec_b32 s11, s1
; %bb.1012:                             ;   in Loop: Header=BB428_803 Depth=1
	v_and_b32_e32 v7, 0xffff, v6
	v_or_b32_e32 v9, 0x10000, v6
	s_delay_alu instid0(VALU_DEP_2) | instskip(NEXT) | instid1(VALU_DEP_1)
	v_cmp_eq_u32_e64 s1, 0, v7
	v_cndmask_b32_e64 v86, v9, v6, s1
; %bb.1013:                             ;   in Loop: Header=BB428_803 Depth=1
	s_or_b32 exec_lo, exec_lo, s11
	v_dual_mov_b32 v6, 0 :: v_dual_and_b32 v7, 0xff, v3
	v_mov_b32_e32 v9, v3
	s_mov_b32 s11, exec_lo
	s_delay_alu instid0(VALU_DEP_2)
	v_cmpx_ne_u16_e32 0, v7
	s_cbranch_execz .LBB428_1021
; %bb.1014:                             ;   in Loop: Header=BB428_803 Depth=1
	v_bfrev_b32_e32 v6, 1
	s_mov_b32 s12, exec_lo
	v_cmpx_ne_u16_e32 0x80, v7
	s_cbranch_execz .LBB428_1020
; %bb.1015:                             ;   in Loop: Header=BB428_803 Depth=1
	v_and_b32_e32 v7, 0x7f, v3
	v_mov_b32_e32 v6, 0x7f800001
	s_mov_b32 s13, exec_lo
	s_delay_alu instid0(VALU_DEP_2)
	v_cmpx_ne_u32_e32 0x7f, v7
	s_cbranch_execz .LBB428_1019
; %bb.1016:                             ;   in Loop: Header=BB428_803 Depth=1
	v_lshrrev_b32_e32 v87, 3, v7
	v_cmp_gt_u32_e64 s1, 8, v7
	v_dual_mov_b32 v6, v9 :: v_dual_mov_b32 v7, v10
	s_delay_alu instid0(VALU_DEP_2)
	s_and_saveexec_b32 s15, s1
; %bb.1017:                             ;   in Loop: Header=BB428_803 Depth=1
	v_and_b32_e32 v6, 7, v3
	s_delay_alu instid0(VALU_DEP_1) | instskip(NEXT) | instid1(VALU_DEP_1)
	v_clz_i32_u32_e32 v6, v6
	v_min_u32_e32 v87, 32, v6
	s_delay_alu instid0(VALU_DEP_1) | instskip(SKIP_1) | instid1(VALU_DEP_2)
	v_subrev_nc_u32_e32 v6, 28, v87
	v_sub_nc_u32_e32 v87, 29, v87
	v_lshlrev_b64 v[6:7], v6, v[9:10]
; %bb.1018:                             ;   in Loop: Header=BB428_803 Depth=1
	s_or_b32 exec_lo, exec_lo, s15
	s_delay_alu instid0(VALU_DEP_1) | instskip(SKIP_2) | instid1(VALU_DEP_3)
	v_lshlrev_b32_e32 v6, 20, v6
	v_lshlrev_b32_e32 v7, 24, v9
	v_lshl_add_u32 v87, v87, 23, 0x3c000000
	v_and_b32_e32 v6, 0x700000, v6
	s_delay_alu instid0(VALU_DEP_3) | instskip(NEXT) | instid1(VALU_DEP_1)
	v_and_b32_e32 v7, 0x80000000, v7
	v_or3_b32 v6, v6, v7, v87
.LBB428_1019:                           ;   in Loop: Header=BB428_803 Depth=1
	s_or_b32 exec_lo, exec_lo, s13
.LBB428_1020:                           ;   in Loop: Header=BB428_803 Depth=1
	s_delay_alu instid0(SALU_CYCLE_1)
	s_or_b32 exec_lo, exec_lo, s12
.LBB428_1021:                           ;   in Loop: Header=BB428_803 Depth=1
	s_delay_alu instid0(SALU_CYCLE_1) | instskip(NEXT) | instid1(VALU_DEP_1)
	s_or_b32 exec_lo, exec_lo, s11
	v_mul_f32_e32 v6, v26, v6
                                        ; implicit-def: $vgpr87
	s_delay_alu instid0(VALU_DEP_1) | instskip(NEXT) | instid1(VALU_DEP_1)
	v_and_b32_e32 v7, 0x7f800000, v6
	v_cmp_ne_u32_e64 s1, 0x7f800000, v7
	s_delay_alu instid0(VALU_DEP_1) | instskip(NEXT) | instid1(SALU_CYCLE_1)
	s_and_saveexec_b32 s11, s1
	s_xor_b32 s1, exec_lo, s11
; %bb.1022:                             ;   in Loop: Header=BB428_803 Depth=1
	v_bfe_u32 v7, v6, 16, 1
	s_delay_alu instid0(VALU_DEP_1)
	v_add3_u32 v87, v6, v7, 0x7fff
                                        ; implicit-def: $vgpr6
; %bb.1023:                             ;   in Loop: Header=BB428_803 Depth=1
	s_and_not1_saveexec_b32 s11, s1
; %bb.1024:                             ;   in Loop: Header=BB428_803 Depth=1
	v_and_b32_e32 v7, 0xffff, v6
	v_or_b32_e32 v87, 0x10000, v6
	s_delay_alu instid0(VALU_DEP_2) | instskip(NEXT) | instid1(VALU_DEP_1)
	v_cmp_eq_u32_e64 s1, 0, v7
	v_cndmask_b32_e64 v87, v87, v6, s1
; %bb.1025:                             ;   in Loop: Header=BB428_803 Depth=1
	s_or_b32 exec_lo, exec_lo, s11
	v_lshrrev_b16 v7, 8, v9
	v_mov_b32_e32 v6, 0
	s_mov_b32 s11, exec_lo
	s_delay_alu instid0(VALU_DEP_2)
	v_cmpx_ne_u16_e32 0, v7
	s_cbranch_execz .LBB428_1033
; %bb.1026:                             ;   in Loop: Header=BB428_803 Depth=1
	v_bfrev_b32_e32 v6, 1
	s_mov_b32 s12, exec_lo
	v_cmpx_ne_u16_e32 0x80, v7
	s_cbranch_execz .LBB428_1032
; %bb.1027:                             ;   in Loop: Header=BB428_803 Depth=1
	v_and_b32_e32 v7, 0xffff, v7
	v_mov_b32_e32 v6, 0x7f800001
	s_mov_b32 s13, exec_lo
	s_delay_alu instid0(VALU_DEP_2) | instskip(NEXT) | instid1(VALU_DEP_1)
	v_and_b32_e32 v97, 0x7f, v7
	v_cmpx_ne_u32_e32 0x7f, v97
	s_cbranch_execz .LBB428_1031
; %bb.1028:                             ;   in Loop: Header=BB428_803 Depth=1
	v_dual_mov_b32 v7, v10 :: v_dual_and_b32 v6, 7, v7
	v_lshrrev_b32_e32 v96, 3, v97
	s_mov_b32 s15, exec_lo
	v_cmpx_gt_u32_e32 8, v97
; %bb.1029:                             ;   in Loop: Header=BB428_803 Depth=1
	s_delay_alu instid0(VALU_DEP_3) | instskip(NEXT) | instid1(VALU_DEP_1)
	v_clz_i32_u32_e32 v96, v6
	v_min_u32_e32 v96, 32, v96
	s_delay_alu instid0(VALU_DEP_1) | instskip(SKIP_1) | instid1(VALU_DEP_2)
	v_subrev_nc_u32_e32 v97, 28, v96
	v_sub_nc_u32_e32 v96, 29, v96
	v_lshlrev_b64 v[6:7], v97, v[6:7]
	s_delay_alu instid0(VALU_DEP_1)
	v_and_b32_e32 v6, 7, v6
; %bb.1030:                             ;   in Loop: Header=BB428_803 Depth=1
	s_or_b32 exec_lo, exec_lo, s15
	v_lshlrev_b32_e32 v7, 16, v9
	s_delay_alu instid0(VALU_DEP_2) | instskip(SKIP_1) | instid1(VALU_DEP_3)
	v_lshlrev_b32_e32 v6, 20, v6
	v_lshl_add_u32 v9, v96, 23, 0x3c000000
	v_and_b32_e32 v7, 0x80000000, v7
	s_delay_alu instid0(VALU_DEP_1)
	v_or3_b32 v6, v6, v7, v9
.LBB428_1031:                           ;   in Loop: Header=BB428_803 Depth=1
	s_or_b32 exec_lo, exec_lo, s13
.LBB428_1032:                           ;   in Loop: Header=BB428_803 Depth=1
	s_delay_alu instid0(SALU_CYCLE_1)
	s_or_b32 exec_lo, exec_lo, s12
.LBB428_1033:                           ;   in Loop: Header=BB428_803 Depth=1
	s_delay_alu instid0(SALU_CYCLE_1) | instskip(NEXT) | instid1(VALU_DEP_1)
	s_or_b32 exec_lo, exec_lo, s11
	v_mul_f32_e32 v7, v26, v6
	s_delay_alu instid0(VALU_DEP_1) | instskip(NEXT) | instid1(VALU_DEP_1)
	v_and_b32_e32 v6, 0x7f800000, v7
	v_cmp_ne_u32_e64 s1, 0x7f800000, v6
                                        ; implicit-def: $vgpr6
	s_delay_alu instid0(VALU_DEP_1) | instskip(NEXT) | instid1(SALU_CYCLE_1)
	s_and_saveexec_b32 s11, s1
	s_xor_b32 s1, exec_lo, s11
; %bb.1034:                             ;   in Loop: Header=BB428_803 Depth=1
	v_bfe_u32 v6, v7, 16, 1
	s_delay_alu instid0(VALU_DEP_1)
	v_add3_u32 v6, v7, v6, 0x7fff
                                        ; implicit-def: $vgpr7
; %bb.1035:                             ;   in Loop: Header=BB428_803 Depth=1
	s_and_not1_saveexec_b32 s11, s1
; %bb.1036:                             ;   in Loop: Header=BB428_803 Depth=1
	v_and_b32_e32 v6, 0xffff, v7
	v_or_b32_e32 v9, 0x10000, v7
	s_delay_alu instid0(VALU_DEP_2) | instskip(NEXT) | instid1(VALU_DEP_1)
	v_cmp_eq_u32_e64 s1, 0, v6
	v_cndmask_b32_e64 v6, v9, v7, s1
; %bb.1037:                             ;   in Loop: Header=BB428_803 Depth=1
	s_or_b32 exec_lo, exec_lo, s11
	v_lshrrev_b32_e32 v7, 16, v3
	s_mov_b32 s11, exec_lo
	s_delay_alu instid0(VALU_DEP_1) | instskip(NEXT) | instid1(VALU_DEP_1)
	v_dual_mov_b32 v9, 0 :: v_dual_and_b32 v96, 0xff, v7
	v_cmpx_ne_u16_e32 0, v96
	s_cbranch_execz .LBB428_1045
; %bb.1038:                             ;   in Loop: Header=BB428_803 Depth=1
	v_bfrev_b32_e32 v9, 1
	s_mov_b32 s12, exec_lo
	v_cmpx_ne_u16_e32 0x80, v96
	s_cbranch_execz .LBB428_1044
; %bb.1039:                             ;   in Loop: Header=BB428_803 Depth=1
	v_bfe_u32 v97, v3, 16, 7
	v_mov_b32_e32 v9, 0x7f800001
	s_mov_b32 s13, exec_lo
	s_delay_alu instid0(VALU_DEP_2)
	v_cmpx_ne_u32_e32 0x7f, v97
	s_cbranch_execz .LBB428_1043
; %bb.1040:                             ;   in Loop: Header=BB428_803 Depth=1
	v_and_b32_e32 v9, 7, v7
	v_lshrrev_b32_e32 v96, 3, v97
	s_mov_b32 s15, exec_lo
	v_cmpx_gt_u32_e32 8, v97
; %bb.1041:                             ;   in Loop: Header=BB428_803 Depth=1
	s_delay_alu instid0(VALU_DEP_3) | instskip(NEXT) | instid1(VALU_DEP_1)
	v_clz_i32_u32_e32 v96, v9
	v_min_u32_e32 v96, 32, v96
	s_delay_alu instid0(VALU_DEP_1) | instskip(SKIP_1) | instid1(VALU_DEP_2)
	v_subrev_nc_u32_e32 v97, 28, v96
	v_sub_nc_u32_e32 v96, 29, v96
	v_lshlrev_b64 v[97:98], v97, v[9:10]
	s_delay_alu instid0(VALU_DEP_1)
	v_and_b32_e32 v9, 7, v97
; %bb.1042:                             ;   in Loop: Header=BB428_803 Depth=1
	s_or_b32 exec_lo, exec_lo, s15
	v_lshlrev_b32_e32 v7, 24, v7
	s_delay_alu instid0(VALU_DEP_2) | instskip(SKIP_1) | instid1(VALU_DEP_3)
	v_lshlrev_b32_e32 v9, 20, v9
	v_lshl_add_u32 v96, v96, 23, 0x3c000000
	v_and_b32_e32 v7, 0x80000000, v7
	s_delay_alu instid0(VALU_DEP_1)
	v_or3_b32 v9, v9, v7, v96
.LBB428_1043:                           ;   in Loop: Header=BB428_803 Depth=1
	s_or_b32 exec_lo, exec_lo, s13
.LBB428_1044:                           ;   in Loop: Header=BB428_803 Depth=1
	s_delay_alu instid0(SALU_CYCLE_1)
	s_or_b32 exec_lo, exec_lo, s12
.LBB428_1045:                           ;   in Loop: Header=BB428_803 Depth=1
	s_delay_alu instid0(SALU_CYCLE_1) | instskip(NEXT) | instid1(VALU_DEP_1)
	s_or_b32 exec_lo, exec_lo, s11
	v_mul_f32_e32 v7, v26, v9
                                        ; implicit-def: $vgpr96
	s_delay_alu instid0(VALU_DEP_1) | instskip(NEXT) | instid1(VALU_DEP_1)
	v_and_b32_e32 v9, 0x7f800000, v7
	v_cmp_ne_u32_e64 s1, 0x7f800000, v9
	s_delay_alu instid0(VALU_DEP_1) | instskip(NEXT) | instid1(SALU_CYCLE_1)
	s_and_saveexec_b32 s11, s1
	s_xor_b32 s1, exec_lo, s11
; %bb.1046:                             ;   in Loop: Header=BB428_803 Depth=1
	v_bfe_u32 v9, v7, 16, 1
	s_delay_alu instid0(VALU_DEP_1)
	v_add3_u32 v96, v7, v9, 0x7fff
                                        ; implicit-def: $vgpr7
; %bb.1047:                             ;   in Loop: Header=BB428_803 Depth=1
	s_and_not1_saveexec_b32 s11, s1
; %bb.1048:                             ;   in Loop: Header=BB428_803 Depth=1
	v_and_b32_e32 v9, 0xffff, v7
	v_or_b32_e32 v96, 0x10000, v7
	s_delay_alu instid0(VALU_DEP_2) | instskip(NEXT) | instid1(VALU_DEP_1)
	v_cmp_eq_u32_e64 s1, 0, v9
	v_cndmask_b32_e64 v96, v96, v7, s1
; %bb.1049:                             ;   in Loop: Header=BB428_803 Depth=1
	s_or_b32 exec_lo, exec_lo, s11
	v_mov_b32_e32 v7, 0
	s_mov_b32 s11, exec_lo
	v_cmpx_lt_u64_e64 s[2:3], v[2:3]
	s_cbranch_execz .LBB428_1057
; %bb.1050:                             ;   in Loop: Header=BB428_803 Depth=1
	v_lshrrev_b32_e32 v2, 24, v3
	v_bfrev_b32_e32 v7, 1
	s_mov_b32 s12, exec_lo
	s_delay_alu instid0(VALU_DEP_2)
	v_cmpx_ne_u32_e32 0x80, v2
	s_cbranch_execz .LBB428_1056
; %bb.1051:                             ;   in Loop: Header=BB428_803 Depth=1
	v_bfe_u32 v97, v3, 24, 7
	v_mov_b32_e32 v7, 0x7f800001
	s_mov_b32 s13, exec_lo
	s_delay_alu instid0(VALU_DEP_2)
	v_cmpx_ne_u32_e32 0x7f, v97
	s_cbranch_execz .LBB428_1055
; %bb.1052:                             ;   in Loop: Header=BB428_803 Depth=1
	v_and_b32_e32 v9, 7, v2
	v_lshrrev_b32_e32 v3, 3, v97
	s_mov_b32 s15, exec_lo
	v_cmpx_gt_u32_e32 8, v97
; %bb.1053:                             ;   in Loop: Header=BB428_803 Depth=1
	s_delay_alu instid0(VALU_DEP_3) | instskip(NEXT) | instid1(VALU_DEP_1)
	v_clz_i32_u32_e32 v3, v9
	v_min_u32_e32 v3, 32, v3
	s_delay_alu instid0(VALU_DEP_1) | instskip(SKIP_1) | instid1(VALU_DEP_2)
	v_subrev_nc_u32_e32 v7, 28, v3
	v_sub_nc_u32_e32 v3, 29, v3
	v_lshlrev_b64 v[97:98], v7, v[9:10]
	s_delay_alu instid0(VALU_DEP_1)
	v_and_b32_e32 v9, 7, v97
; %bb.1054:                             ;   in Loop: Header=BB428_803 Depth=1
	s_or_b32 exec_lo, exec_lo, s15
	v_lshlrev_b32_e32 v2, 24, v2
	s_delay_alu instid0(VALU_DEP_2) | instskip(SKIP_1) | instid1(VALU_DEP_3)
	v_lshlrev_b32_e32 v7, 20, v9
	v_lshl_add_u32 v3, v3, 23, 0x3c000000
	v_and_b32_e32 v2, 0x80000000, v2
	s_delay_alu instid0(VALU_DEP_1)
	v_or3_b32 v7, v7, v2, v3
.LBB428_1055:                           ;   in Loop: Header=BB428_803 Depth=1
	s_or_b32 exec_lo, exec_lo, s13
.LBB428_1056:                           ;   in Loop: Header=BB428_803 Depth=1
	s_delay_alu instid0(SALU_CYCLE_1)
	s_or_b32 exec_lo, exec_lo, s12
.LBB428_1057:                           ;   in Loop: Header=BB428_803 Depth=1
	s_delay_alu instid0(SALU_CYCLE_1) | instskip(NEXT) | instid1(VALU_DEP_1)
	s_or_b32 exec_lo, exec_lo, s11
	v_mul_f32_e32 v3, v26, v7
	s_delay_alu instid0(VALU_DEP_1) | instskip(NEXT) | instid1(VALU_DEP_1)
	v_and_b32_e32 v2, 0x7f800000, v3
	v_cmp_ne_u32_e64 s1, 0x7f800000, v2
                                        ; implicit-def: $vgpr2
	s_delay_alu instid0(VALU_DEP_1) | instskip(NEXT) | instid1(SALU_CYCLE_1)
	s_and_saveexec_b32 s11, s1
	s_xor_b32 s1, exec_lo, s11
; %bb.1058:                             ;   in Loop: Header=BB428_803 Depth=1
	v_bfe_u32 v2, v3, 16, 1
	s_delay_alu instid0(VALU_DEP_1)
	v_add3_u32 v2, v3, v2, 0x7fff
                                        ; implicit-def: $vgpr3
; %bb.1059:                             ;   in Loop: Header=BB428_803 Depth=1
	s_and_not1_saveexec_b32 s11, s1
; %bb.1060:                             ;   in Loop: Header=BB428_803 Depth=1
	v_and_b32_e32 v2, 0xffff, v3
	v_or_b32_e32 v7, 0x10000, v3
	s_delay_alu instid0(VALU_DEP_2) | instskip(NEXT) | instid1(VALU_DEP_1)
	v_cmp_eq_u32_e64 s1, 0, v2
	v_cndmask_b32_e64 v2, v7, v3, s1
; %bb.1061:                             ;   in Loop: Header=BB428_803 Depth=1
	s_or_b32 exec_lo, exec_lo, s11
	v_lshrrev_b32_e32 v6, 16, v6
	v_lshrrev_b32_e32 v7, 16, v87
	;; [unrolled: 1-line block ×8, first 2 shown]
	s_and_saveexec_b32 s11, vcc_lo
	s_cbranch_execz .LBB428_1063
; %bb.1062:                             ;   in Loop: Header=BB428_803 Depth=1
	v_cmp_lt_i32_e64 s1, v52, v33
	s_delay_alu instid0(VALU_DEP_1) | instskip(SKIP_1) | instid1(VALU_DEP_1)
	v_cndmask_b32_e64 v83, 0, v83, s1
	v_cmp_lt_i32_e64 s1, v66, v33
	v_cndmask_b32_e64 v84, 0, v84, s1
	v_cmp_lt_i32_e64 s1, v65, v33
	s_delay_alu instid0(VALU_DEP_1) | instskip(SKIP_1) | instid1(VALU_DEP_1)
	v_cndmask_b32_e64 v85, 0, v85, s1
	v_cmp_lt_i32_e64 s1, v64, v33
	v_cndmask_b32_e64 v9, 0, v9, s1
	;; [unrolled: 5-line block ×4, first 2 shown]
.LBB428_1063:                           ;   in Loop: Header=BB428_803 Depth=1
	s_or_b32 exec_lo, exec_lo, s11
	v_lshlrev_b32_e32 v83, 16, v83
	s_delay_alu instid0(VALU_DEP_1) | instskip(NEXT) | instid1(VALU_DEP_1)
	v_mul_f32_e32 v86, v67, v83
	v_and_b32_e32 v83, 0x7f800000, v86
	s_delay_alu instid0(VALU_DEP_1) | instskip(NEXT) | instid1(VALU_DEP_1)
	v_cmp_ne_u32_e64 s1, 0x7f800000, v83
                                        ; implicit-def: $vgpr83
	s_and_saveexec_b32 s11, s1
	s_delay_alu instid0(SALU_CYCLE_1)
	s_xor_b32 s1, exec_lo, s11
; %bb.1064:                             ;   in Loop: Header=BB428_803 Depth=1
	v_bfe_u32 v83, v86, 16, 1
	s_delay_alu instid0(VALU_DEP_1)
	v_add3_u32 v83, v86, v83, 0x7fff
                                        ; implicit-def: $vgpr86
; %bb.1065:                             ;   in Loop: Header=BB428_803 Depth=1
	s_and_not1_saveexec_b32 s11, s1
; %bb.1066:                             ;   in Loop: Header=BB428_803 Depth=1
	v_and_b32_e32 v83, 0xffff, v86
	v_or_b32_e32 v87, 0x10000, v86
	s_delay_alu instid0(VALU_DEP_2) | instskip(NEXT) | instid1(VALU_DEP_1)
	v_cmp_eq_u32_e64 s1, 0, v83
	v_cndmask_b32_e64 v83, v87, v86, s1
; %bb.1067:                             ;   in Loop: Header=BB428_803 Depth=1
	s_or_b32 exec_lo, exec_lo, s11
	v_lshlrev_b32_e32 v84, 16, v84
	s_delay_alu instid0(VALU_DEP_1) | instskip(NEXT) | instid1(VALU_DEP_1)
	v_mul_f32_e32 v86, v68, v84
	v_and_b32_e32 v84, 0x7f800000, v86
	s_delay_alu instid0(VALU_DEP_1) | instskip(NEXT) | instid1(VALU_DEP_1)
	v_cmp_ne_u32_e64 s1, 0x7f800000, v84
                                        ; implicit-def: $vgpr84
	s_and_saveexec_b32 s11, s1
	s_delay_alu instid0(SALU_CYCLE_1)
	s_xor_b32 s1, exec_lo, s11
; %bb.1068:                             ;   in Loop: Header=BB428_803 Depth=1
	v_bfe_u32 v84, v86, 16, 1
	s_delay_alu instid0(VALU_DEP_1)
	v_add3_u32 v84, v86, v84, 0x7fff
                                        ; implicit-def: $vgpr86
; %bb.1069:                             ;   in Loop: Header=BB428_803 Depth=1
	s_and_not1_saveexec_b32 s11, s1
; %bb.1070:                             ;   in Loop: Header=BB428_803 Depth=1
	v_and_b32_e32 v84, 0xffff, v86
	v_or_b32_e32 v87, 0x10000, v86
	s_delay_alu instid0(VALU_DEP_2) | instskip(NEXT) | instid1(VALU_DEP_1)
	v_cmp_eq_u32_e64 s1, 0, v84
	v_cndmask_b32_e64 v84, v87, v86, s1
; %bb.1071:                             ;   in Loop: Header=BB428_803 Depth=1
	s_or_b32 exec_lo, exec_lo, s11
	v_lshlrev_b32_e32 v85, 16, v85
	s_delay_alu instid0(VALU_DEP_1) | instskip(NEXT) | instid1(VALU_DEP_1)
	v_mul_f32_e32 v86, v69, v85
	v_and_b32_e32 v85, 0x7f800000, v86
	s_delay_alu instid0(VALU_DEP_1) | instskip(NEXT) | instid1(VALU_DEP_1)
	v_cmp_ne_u32_e64 s1, 0x7f800000, v85
                                        ; implicit-def: $vgpr85
	s_and_saveexec_b32 s11, s1
	s_delay_alu instid0(SALU_CYCLE_1)
	s_xor_b32 s1, exec_lo, s11
; %bb.1072:                             ;   in Loop: Header=BB428_803 Depth=1
	v_bfe_u32 v85, v86, 16, 1
	s_delay_alu instid0(VALU_DEP_1)
	v_add3_u32 v85, v86, v85, 0x7fff
                                        ; implicit-def: $vgpr86
; %bb.1073:                             ;   in Loop: Header=BB428_803 Depth=1
	s_and_not1_saveexec_b32 s11, s1
; %bb.1074:                             ;   in Loop: Header=BB428_803 Depth=1
	v_and_b32_e32 v85, 0xffff, v86
	v_or_b32_e32 v87, 0x10000, v86
	s_delay_alu instid0(VALU_DEP_2) | instskip(NEXT) | instid1(VALU_DEP_1)
	v_cmp_eq_u32_e64 s1, 0, v85
	v_cndmask_b32_e64 v85, v87, v86, s1
; %bb.1075:                             ;   in Loop: Header=BB428_803 Depth=1
	s_or_b32 exec_lo, exec_lo, s11
	v_lshlrev_b32_e32 v9, 16, v9
	s_delay_alu instid0(VALU_DEP_1) | instskip(NEXT) | instid1(VALU_DEP_1)
	v_mul_f32_e32 v9, v70, v9
	v_and_b32_e32 v86, 0x7f800000, v9
	s_delay_alu instid0(VALU_DEP_1) | instskip(NEXT) | instid1(VALU_DEP_1)
	v_cmp_ne_u32_e64 s1, 0x7f800000, v86
                                        ; implicit-def: $vgpr86
	s_and_saveexec_b32 s11, s1
	s_delay_alu instid0(SALU_CYCLE_1)
	s_xor_b32 s1, exec_lo, s11
; %bb.1076:                             ;   in Loop: Header=BB428_803 Depth=1
	v_bfe_u32 v86, v9, 16, 1
	s_delay_alu instid0(VALU_DEP_1)
	v_add3_u32 v86, v9, v86, 0x7fff
                                        ; implicit-def: $vgpr9
; %bb.1077:                             ;   in Loop: Header=BB428_803 Depth=1
	s_and_not1_saveexec_b32 s11, s1
; %bb.1078:                             ;   in Loop: Header=BB428_803 Depth=1
	v_and_b32_e32 v86, 0xffff, v9
	v_or_b32_e32 v87, 0x10000, v9
	s_delay_alu instid0(VALU_DEP_2) | instskip(NEXT) | instid1(VALU_DEP_1)
	v_cmp_eq_u32_e64 s1, 0, v86
	v_cndmask_b32_e64 v86, v87, v9, s1
; %bb.1079:                             ;   in Loop: Header=BB428_803 Depth=1
	s_or_b32 exec_lo, exec_lo, s11
	v_lshlrev_b32_e32 v7, 16, v7
                                        ; implicit-def: $vgpr87
	s_delay_alu instid0(VALU_DEP_1) | instskip(NEXT) | instid1(VALU_DEP_1)
	v_mul_f32_e32 v7, v71, v7
	v_and_b32_e32 v9, 0x7f800000, v7
	s_delay_alu instid0(VALU_DEP_1) | instskip(NEXT) | instid1(VALU_DEP_1)
	v_cmp_ne_u32_e64 s1, 0x7f800000, v9
	s_and_saveexec_b32 s11, s1
	s_delay_alu instid0(SALU_CYCLE_1)
	s_xor_b32 s1, exec_lo, s11
; %bb.1080:                             ;   in Loop: Header=BB428_803 Depth=1
	v_bfe_u32 v9, v7, 16, 1
	s_delay_alu instid0(VALU_DEP_1)
	v_add3_u32 v87, v7, v9, 0x7fff
                                        ; implicit-def: $vgpr7
; %bb.1081:                             ;   in Loop: Header=BB428_803 Depth=1
	s_and_not1_saveexec_b32 s11, s1
; %bb.1082:                             ;   in Loop: Header=BB428_803 Depth=1
	v_and_b32_e32 v9, 0xffff, v7
	v_or_b32_e32 v87, 0x10000, v7
	s_delay_alu instid0(VALU_DEP_2) | instskip(NEXT) | instid1(VALU_DEP_1)
	v_cmp_eq_u32_e64 s1, 0, v9
	v_cndmask_b32_e64 v87, v87, v7, s1
; %bb.1083:                             ;   in Loop: Header=BB428_803 Depth=1
	s_or_b32 exec_lo, exec_lo, s11
	v_lshlrev_b32_e32 v6, 16, v6
                                        ; implicit-def: $vgpr96
	s_delay_alu instid0(VALU_DEP_1) | instskip(NEXT) | instid1(VALU_DEP_1)
	v_mul_f32_e32 v6, v80, v6
	v_and_b32_e32 v7, 0x7f800000, v6
	s_delay_alu instid0(VALU_DEP_1) | instskip(NEXT) | instid1(VALU_DEP_1)
	v_cmp_ne_u32_e64 s1, 0x7f800000, v7
	s_and_saveexec_b32 s11, s1
	s_delay_alu instid0(SALU_CYCLE_1)
	s_xor_b32 s1, exec_lo, s11
; %bb.1084:                             ;   in Loop: Header=BB428_803 Depth=1
	v_bfe_u32 v7, v6, 16, 1
	s_delay_alu instid0(VALU_DEP_1)
	v_add3_u32 v96, v6, v7, 0x7fff
                                        ; implicit-def: $vgpr6
; %bb.1085:                             ;   in Loop: Header=BB428_803 Depth=1
	s_and_not1_saveexec_b32 s11, s1
; %bb.1086:                             ;   in Loop: Header=BB428_803 Depth=1
	v_and_b32_e32 v7, 0xffff, v6
	v_or_b32_e32 v9, 0x10000, v6
	s_delay_alu instid0(VALU_DEP_2) | instskip(NEXT) | instid1(VALU_DEP_1)
	v_cmp_eq_u32_e64 s1, 0, v7
	v_cndmask_b32_e64 v96, v9, v6, s1
; %bb.1087:                             ;   in Loop: Header=BB428_803 Depth=1
	s_or_b32 exec_lo, exec_lo, s11
	v_lshlrev_b32_e32 v3, 16, v3
                                        ; implicit-def: $vgpr97
	s_delay_alu instid0(VALU_DEP_1) | instskip(NEXT) | instid1(VALU_DEP_1)
	v_mul_f32_e32 v3, v81, v3
	v_and_b32_e32 v6, 0x7f800000, v3
	s_delay_alu instid0(VALU_DEP_1) | instskip(NEXT) | instid1(VALU_DEP_1)
	v_cmp_ne_u32_e64 s1, 0x7f800000, v6
	s_and_saveexec_b32 s11, s1
	s_delay_alu instid0(SALU_CYCLE_1)
	s_xor_b32 s1, exec_lo, s11
; %bb.1088:                             ;   in Loop: Header=BB428_803 Depth=1
	v_bfe_u32 v6, v3, 16, 1
	s_delay_alu instid0(VALU_DEP_1)
	v_add3_u32 v97, v3, v6, 0x7fff
                                        ; implicit-def: $vgpr3
; %bb.1089:                             ;   in Loop: Header=BB428_803 Depth=1
	s_and_not1_saveexec_b32 s11, s1
; %bb.1090:                             ;   in Loop: Header=BB428_803 Depth=1
	v_and_b32_e32 v6, 0xffff, v3
	v_or_b32_e32 v7, 0x10000, v3
	s_delay_alu instid0(VALU_DEP_2) | instskip(NEXT) | instid1(VALU_DEP_1)
	v_cmp_eq_u32_e64 s1, 0, v6
	v_cndmask_b32_e64 v97, v7, v3, s1
; %bb.1091:                             ;   in Loop: Header=BB428_803 Depth=1
	s_or_b32 exec_lo, exec_lo, s11
	v_lshlrev_b32_e32 v2, 16, v2
                                        ; implicit-def: $vgpr98
	s_delay_alu instid0(VALU_DEP_1) | instskip(NEXT) | instid1(VALU_DEP_1)
	v_mul_f32_e32 v2, v82, v2
	v_and_b32_e32 v3, 0x7f800000, v2
	s_delay_alu instid0(VALU_DEP_1) | instskip(NEXT) | instid1(VALU_DEP_1)
	v_cmp_ne_u32_e64 s1, 0x7f800000, v3
	s_and_saveexec_b32 s11, s1
	s_delay_alu instid0(SALU_CYCLE_1)
	s_xor_b32 s1, exec_lo, s11
; %bb.1092:                             ;   in Loop: Header=BB428_803 Depth=1
	v_bfe_u32 v3, v2, 16, 1
	s_delay_alu instid0(VALU_DEP_1)
	v_add3_u32 v98, v2, v3, 0x7fff
                                        ; implicit-def: $vgpr2
; %bb.1093:                             ;   in Loop: Header=BB428_803 Depth=1
	s_and_not1_saveexec_b32 s11, s1
; %bb.1094:                             ;   in Loop: Header=BB428_803 Depth=1
	v_and_b32_e32 v3, 0xffff, v2
	v_or_b32_e32 v6, 0x10000, v2
	s_delay_alu instid0(VALU_DEP_2) | instskip(NEXT) | instid1(VALU_DEP_1)
	v_cmp_eq_u32_e64 s1, 0, v3
	v_cndmask_b32_e64 v98, v6, v2, s1
; %bb.1095:                             ;   in Loop: Header=BB428_803 Depth=1
	s_or_b32 exec_lo, exec_lo, s11
	flat_load_b64 v[2:3], v[0:1] offset:512
	s_mov_b32 s11, exec_lo
	s_waitcnt vmcnt(0) lgkmcnt(0)
	v_dual_mov_b32 v6, 0 :: v_dual_and_b32 v7, 0xff, v2
	s_delay_alu instid0(VALU_DEP_1)
	v_cmpx_ne_u16_e32 0, v7
	s_cbranch_execz .LBB428_1103
; %bb.1096:                             ;   in Loop: Header=BB428_803 Depth=1
	v_bfrev_b32_e32 v6, 1
	s_mov_b32 s12, exec_lo
	v_cmpx_ne_u16_e32 0x80, v7
	s_cbranch_execz .LBB428_1102
; %bb.1097:                             ;   in Loop: Header=BB428_803 Depth=1
	v_and_b32_e32 v7, 0x7f, v2
	v_mov_b32_e32 v6, 0x7f800001
	s_mov_b32 s13, exec_lo
	s_delay_alu instid0(VALU_DEP_2)
	v_cmpx_ne_u32_e32 0x7f, v7
	s_cbranch_execz .LBB428_1101
; %bb.1098:                             ;   in Loop: Header=BB428_803 Depth=1
	v_lshrrev_b32_e32 v9, 3, v7
	v_cmp_gt_u32_e64 s1, 8, v7
	v_dual_mov_b32 v7, v3 :: v_dual_mov_b32 v6, v2
	s_delay_alu instid0(VALU_DEP_2)
	s_and_saveexec_b32 s15, s1
; %bb.1099:                             ;   in Loop: Header=BB428_803 Depth=1
	v_and_b32_e32 v6, 7, v2
	s_delay_alu instid0(VALU_DEP_1) | instskip(NEXT) | instid1(VALU_DEP_1)
	v_clz_i32_u32_e32 v6, v6
	v_min_u32_e32 v9, 32, v6
	s_delay_alu instid0(VALU_DEP_1) | instskip(SKIP_1) | instid1(VALU_DEP_2)
	v_subrev_nc_u32_e32 v6, 28, v9
	v_sub_nc_u32_e32 v9, 29, v9
	v_lshlrev_b64 v[6:7], v6, v[2:3]
; %bb.1100:                             ;   in Loop: Header=BB428_803 Depth=1
	s_or_b32 exec_lo, exec_lo, s15
	s_delay_alu instid0(VALU_DEP_1) | instskip(SKIP_2) | instid1(VALU_DEP_3)
	v_lshlrev_b32_e32 v6, 20, v6
	v_lshlrev_b32_e32 v7, 24, v2
	v_lshl_add_u32 v9, v9, 23, 0x3c000000
	v_and_b32_e32 v6, 0x700000, v6
	s_delay_alu instid0(VALU_DEP_3) | instskip(NEXT) | instid1(VALU_DEP_1)
	v_and_b32_e32 v7, 0x80000000, v7
	v_or3_b32 v6, v6, v7, v9
.LBB428_1101:                           ;   in Loop: Header=BB428_803 Depth=1
	s_or_b32 exec_lo, exec_lo, s13
.LBB428_1102:                           ;   in Loop: Header=BB428_803 Depth=1
	s_delay_alu instid0(SALU_CYCLE_1)
	s_or_b32 exec_lo, exec_lo, s12
.LBB428_1103:                           ;   in Loop: Header=BB428_803 Depth=1
	s_delay_alu instid0(SALU_CYCLE_1) | instskip(NEXT) | instid1(VALU_DEP_1)
	s_or_b32 exec_lo, exec_lo, s11
	v_mul_f32_e32 v6, v26, v6
                                        ; implicit-def: $vgpr99
	s_delay_alu instid0(VALU_DEP_1) | instskip(NEXT) | instid1(VALU_DEP_1)
	v_and_b32_e32 v7, 0x7f800000, v6
	v_cmp_ne_u32_e64 s1, 0x7f800000, v7
	s_delay_alu instid0(VALU_DEP_1) | instskip(NEXT) | instid1(SALU_CYCLE_1)
	s_and_saveexec_b32 s11, s1
	s_xor_b32 s1, exec_lo, s11
; %bb.1104:                             ;   in Loop: Header=BB428_803 Depth=1
	v_bfe_u32 v7, v6, 16, 1
	s_delay_alu instid0(VALU_DEP_1)
	v_add3_u32 v99, v6, v7, 0x7fff
                                        ; implicit-def: $vgpr6
; %bb.1105:                             ;   in Loop: Header=BB428_803 Depth=1
	s_and_not1_saveexec_b32 s11, s1
; %bb.1106:                             ;   in Loop: Header=BB428_803 Depth=1
	v_and_b32_e32 v7, 0xffff, v6
	v_or_b32_e32 v9, 0x10000, v6
	s_delay_alu instid0(VALU_DEP_2) | instskip(NEXT) | instid1(VALU_DEP_1)
	v_cmp_eq_u32_e64 s1, 0, v7
	v_cndmask_b32_e64 v99, v9, v6, s1
; %bb.1107:                             ;   in Loop: Header=BB428_803 Depth=1
	s_or_b32 exec_lo, exec_lo, s11
	v_lshrrev_b16 v7, 8, v2
	v_mov_b32_e32 v6, 0
	s_mov_b32 s11, exec_lo
	s_delay_alu instid0(VALU_DEP_2)
	v_cmpx_ne_u16_e32 0, v7
	s_cbranch_execz .LBB428_1115
; %bb.1108:                             ;   in Loop: Header=BB428_803 Depth=1
	v_bfrev_b32_e32 v6, 1
	s_mov_b32 s12, exec_lo
	v_cmpx_ne_u16_e32 0x80, v7
	s_cbranch_execz .LBB428_1114
; %bb.1109:                             ;   in Loop: Header=BB428_803 Depth=1
	v_and_b32_e32 v9, 0xffff, v7
	v_mov_b32_e32 v6, 0x7f800001
	s_mov_b32 s13, exec_lo
	s_delay_alu instid0(VALU_DEP_2) | instskip(NEXT) | instid1(VALU_DEP_1)
	v_and_b32_e32 v7, 0x7f, v9
	v_cmpx_ne_u32_e32 0x7f, v7
	s_cbranch_execz .LBB428_1113
; %bb.1110:                             ;   in Loop: Header=BB428_803 Depth=1
	v_and_b32_e32 v9, 7, v9
	v_lshrrev_b32_e32 v6, 3, v7
	s_mov_b32 s15, exec_lo
	v_cmpx_gt_u32_e32 8, v7
; %bb.1111:                             ;   in Loop: Header=BB428_803 Depth=1
	s_delay_alu instid0(VALU_DEP_3) | instskip(NEXT) | instid1(VALU_DEP_1)
	v_clz_i32_u32_e32 v6, v9
	v_min_u32_e32 v6, 32, v6
	s_delay_alu instid0(VALU_DEP_1) | instskip(SKIP_1) | instid1(VALU_DEP_2)
	v_subrev_nc_u32_e32 v7, 28, v6
	v_sub_nc_u32_e32 v6, 29, v6
	v_lshlrev_b64 v[100:101], v7, v[9:10]
	s_delay_alu instid0(VALU_DEP_1)
	v_and_b32_e32 v9, 7, v100
; %bb.1112:                             ;   in Loop: Header=BB428_803 Depth=1
	s_or_b32 exec_lo, exec_lo, s15
	v_lshlrev_b32_e32 v7, 16, v2
	s_delay_alu instid0(VALU_DEP_2) | instskip(SKIP_1) | instid1(VALU_DEP_3)
	v_lshlrev_b32_e32 v9, 20, v9
	v_lshl_add_u32 v6, v6, 23, 0x3c000000
	v_and_b32_e32 v7, 0x80000000, v7
	s_delay_alu instid0(VALU_DEP_1)
	v_or3_b32 v6, v9, v7, v6
.LBB428_1113:                           ;   in Loop: Header=BB428_803 Depth=1
	s_or_b32 exec_lo, exec_lo, s13
.LBB428_1114:                           ;   in Loop: Header=BB428_803 Depth=1
	s_delay_alu instid0(SALU_CYCLE_1)
	s_or_b32 exec_lo, exec_lo, s12
.LBB428_1115:                           ;   in Loop: Header=BB428_803 Depth=1
	s_delay_alu instid0(SALU_CYCLE_1) | instskip(NEXT) | instid1(VALU_DEP_1)
	s_or_b32 exec_lo, exec_lo, s11
	v_mul_f32_e32 v6, v26, v6
                                        ; implicit-def: $vgpr100
	s_delay_alu instid0(VALU_DEP_1) | instskip(NEXT) | instid1(VALU_DEP_1)
	v_and_b32_e32 v7, 0x7f800000, v6
	v_cmp_ne_u32_e64 s1, 0x7f800000, v7
	s_delay_alu instid0(VALU_DEP_1) | instskip(NEXT) | instid1(SALU_CYCLE_1)
	s_and_saveexec_b32 s11, s1
	s_xor_b32 s1, exec_lo, s11
; %bb.1116:                             ;   in Loop: Header=BB428_803 Depth=1
	v_bfe_u32 v7, v6, 16, 1
	s_delay_alu instid0(VALU_DEP_1)
	v_add3_u32 v100, v6, v7, 0x7fff
                                        ; implicit-def: $vgpr6
; %bb.1117:                             ;   in Loop: Header=BB428_803 Depth=1
	s_and_not1_saveexec_b32 s11, s1
; %bb.1118:                             ;   in Loop: Header=BB428_803 Depth=1
	v_and_b32_e32 v7, 0xffff, v6
	v_or_b32_e32 v9, 0x10000, v6
	s_delay_alu instid0(VALU_DEP_2) | instskip(NEXT) | instid1(VALU_DEP_1)
	v_cmp_eq_u32_e64 s1, 0, v7
	v_cndmask_b32_e64 v100, v9, v6, s1
; %bb.1119:                             ;   in Loop: Header=BB428_803 Depth=1
	s_or_b32 exec_lo, exec_lo, s11
	v_lshrrev_b32_e32 v6, 16, v2
	v_mov_b32_e32 v7, 0
	s_mov_b32 s11, exec_lo
	s_delay_alu instid0(VALU_DEP_2) | instskip(NEXT) | instid1(VALU_DEP_1)
	v_and_b32_e32 v9, 0xff, v6
	v_cmpx_ne_u16_e32 0, v9
	s_cbranch_execz .LBB428_1127
; %bb.1120:                             ;   in Loop: Header=BB428_803 Depth=1
	v_bfrev_b32_e32 v7, 1
	s_mov_b32 s12, exec_lo
	v_cmpx_ne_u16_e32 0x80, v9
	s_cbranch_execz .LBB428_1126
; %bb.1121:                             ;   in Loop: Header=BB428_803 Depth=1
	v_bfe_u32 v101, v2, 16, 7
	v_mov_b32_e32 v7, 0x7f800001
	s_mov_b32 s13, exec_lo
	s_delay_alu instid0(VALU_DEP_2)
	v_cmpx_ne_u32_e32 0x7f, v101
	s_cbranch_execz .LBB428_1125
; %bb.1122:                             ;   in Loop: Header=BB428_803 Depth=1
	v_and_b32_e32 v9, 7, v6
	v_lshrrev_b32_e32 v7, 3, v101
	s_mov_b32 s15, exec_lo
	v_cmpx_gt_u32_e32 8, v101
; %bb.1123:                             ;   in Loop: Header=BB428_803 Depth=1
	s_delay_alu instid0(VALU_DEP_3) | instskip(NEXT) | instid1(VALU_DEP_1)
	v_clz_i32_u32_e32 v7, v9
	v_min_u32_e32 v7, 32, v7
	s_delay_alu instid0(VALU_DEP_1) | instskip(SKIP_1) | instid1(VALU_DEP_2)
	v_subrev_nc_u32_e32 v101, 28, v7
	v_sub_nc_u32_e32 v7, 29, v7
	v_lshlrev_b64 v[101:102], v101, v[9:10]
	s_delay_alu instid0(VALU_DEP_1)
	v_and_b32_e32 v9, 7, v101
; %bb.1124:                             ;   in Loop: Header=BB428_803 Depth=1
	s_or_b32 exec_lo, exec_lo, s15
	v_lshlrev_b32_e32 v6, 24, v6
	s_delay_alu instid0(VALU_DEP_2) | instskip(SKIP_1) | instid1(VALU_DEP_3)
	v_lshlrev_b32_e32 v9, 20, v9
	v_lshl_add_u32 v7, v7, 23, 0x3c000000
	v_and_b32_e32 v6, 0x80000000, v6
	s_delay_alu instid0(VALU_DEP_1)
	v_or3_b32 v7, v9, v6, v7
.LBB428_1125:                           ;   in Loop: Header=BB428_803 Depth=1
	s_or_b32 exec_lo, exec_lo, s13
.LBB428_1126:                           ;   in Loop: Header=BB428_803 Depth=1
	s_delay_alu instid0(SALU_CYCLE_1)
	s_or_b32 exec_lo, exec_lo, s12
.LBB428_1127:                           ;   in Loop: Header=BB428_803 Depth=1
	s_delay_alu instid0(SALU_CYCLE_1) | instskip(NEXT) | instid1(VALU_DEP_1)
	s_or_b32 exec_lo, exec_lo, s11
	v_mul_f32_e32 v6, v26, v7
                                        ; implicit-def: $vgpr101
	s_delay_alu instid0(VALU_DEP_1) | instskip(NEXT) | instid1(VALU_DEP_1)
	v_and_b32_e32 v7, 0x7f800000, v6
	v_cmp_ne_u32_e64 s1, 0x7f800000, v7
	s_delay_alu instid0(VALU_DEP_1) | instskip(NEXT) | instid1(SALU_CYCLE_1)
	s_and_saveexec_b32 s11, s1
	s_xor_b32 s1, exec_lo, s11
; %bb.1128:                             ;   in Loop: Header=BB428_803 Depth=1
	v_bfe_u32 v7, v6, 16, 1
	s_delay_alu instid0(VALU_DEP_1)
	v_add3_u32 v101, v6, v7, 0x7fff
                                        ; implicit-def: $vgpr6
; %bb.1129:                             ;   in Loop: Header=BB428_803 Depth=1
	s_and_not1_saveexec_b32 s11, s1
; %bb.1130:                             ;   in Loop: Header=BB428_803 Depth=1
	v_and_b32_e32 v7, 0xffff, v6
	v_or_b32_e32 v9, 0x10000, v6
	s_delay_alu instid0(VALU_DEP_2) | instskip(NEXT) | instid1(VALU_DEP_1)
	v_cmp_eq_u32_e64 s1, 0, v7
	v_cndmask_b32_e64 v101, v9, v6, s1
; %bb.1131:                             ;   in Loop: Header=BB428_803 Depth=1
	s_or_b32 exec_lo, exec_lo, s11
	v_mov_b32_e32 v7, 0
	s_mov_b32 s11, exec_lo
	v_cmpx_lt_u32_e32 0xffffff, v2
	s_cbranch_execz .LBB428_1139
; %bb.1132:                             ;   in Loop: Header=BB428_803 Depth=1
	v_lshrrev_b32_e32 v6, 24, v2
	v_bfrev_b32_e32 v7, 1
	s_mov_b32 s12, exec_lo
	s_delay_alu instid0(VALU_DEP_2)
	v_cmpx_ne_u32_e32 0x80, v6
	s_cbranch_execz .LBB428_1138
; %bb.1133:                             ;   in Loop: Header=BB428_803 Depth=1
	v_bfe_u32 v102, v2, 24, 7
	v_mov_b32_e32 v7, 0x7f800001
	s_mov_b32 s13, exec_lo
	s_delay_alu instid0(VALU_DEP_2)
	v_cmpx_ne_u32_e32 0x7f, v102
	s_cbranch_execz .LBB428_1137
; %bb.1134:                             ;   in Loop: Header=BB428_803 Depth=1
	v_and_b32_e32 v9, 7, v6
	v_lshrrev_b32_e32 v7, 3, v102
	s_mov_b32 s15, exec_lo
	v_cmpx_gt_u32_e32 8, v102
; %bb.1135:                             ;   in Loop: Header=BB428_803 Depth=1
	s_delay_alu instid0(VALU_DEP_3) | instskip(NEXT) | instid1(VALU_DEP_1)
	v_clz_i32_u32_e32 v7, v9
	v_min_u32_e32 v7, 32, v7
	s_delay_alu instid0(VALU_DEP_1) | instskip(SKIP_1) | instid1(VALU_DEP_2)
	v_subrev_nc_u32_e32 v102, 28, v7
	v_sub_nc_u32_e32 v7, 29, v7
	v_lshlrev_b64 v[102:103], v102, v[9:10]
	s_delay_alu instid0(VALU_DEP_1)
	v_and_b32_e32 v9, 7, v102
; %bb.1136:                             ;   in Loop: Header=BB428_803 Depth=1
	s_or_b32 exec_lo, exec_lo, s15
	v_lshlrev_b32_e32 v6, 24, v6
	s_delay_alu instid0(VALU_DEP_2) | instskip(SKIP_1) | instid1(VALU_DEP_3)
	v_lshlrev_b32_e32 v9, 20, v9
	v_lshl_add_u32 v7, v7, 23, 0x3c000000
	v_and_b32_e32 v6, 0x80000000, v6
	s_delay_alu instid0(VALU_DEP_1)
	v_or3_b32 v7, v9, v6, v7
.LBB428_1137:                           ;   in Loop: Header=BB428_803 Depth=1
	s_or_b32 exec_lo, exec_lo, s13
.LBB428_1138:                           ;   in Loop: Header=BB428_803 Depth=1
	s_delay_alu instid0(SALU_CYCLE_1)
	s_or_b32 exec_lo, exec_lo, s12
.LBB428_1139:                           ;   in Loop: Header=BB428_803 Depth=1
	s_delay_alu instid0(SALU_CYCLE_1) | instskip(NEXT) | instid1(VALU_DEP_1)
	s_or_b32 exec_lo, exec_lo, s11
	v_mul_f32_e32 v6, v26, v7
                                        ; implicit-def: $vgpr102
	s_delay_alu instid0(VALU_DEP_1) | instskip(NEXT) | instid1(VALU_DEP_1)
	v_and_b32_e32 v7, 0x7f800000, v6
	v_cmp_ne_u32_e64 s1, 0x7f800000, v7
	s_delay_alu instid0(VALU_DEP_1) | instskip(NEXT) | instid1(SALU_CYCLE_1)
	s_and_saveexec_b32 s11, s1
	s_xor_b32 s1, exec_lo, s11
; %bb.1140:                             ;   in Loop: Header=BB428_803 Depth=1
	v_bfe_u32 v7, v6, 16, 1
	s_delay_alu instid0(VALU_DEP_1)
	v_add3_u32 v102, v6, v7, 0x7fff
                                        ; implicit-def: $vgpr6
; %bb.1141:                             ;   in Loop: Header=BB428_803 Depth=1
	s_and_not1_saveexec_b32 s11, s1
; %bb.1142:                             ;   in Loop: Header=BB428_803 Depth=1
	v_and_b32_e32 v7, 0xffff, v6
	v_or_b32_e32 v9, 0x10000, v6
	s_delay_alu instid0(VALU_DEP_2) | instskip(NEXT) | instid1(VALU_DEP_1)
	v_cmp_eq_u32_e64 s1, 0, v7
	v_cndmask_b32_e64 v102, v9, v6, s1
; %bb.1143:                             ;   in Loop: Header=BB428_803 Depth=1
	s_or_b32 exec_lo, exec_lo, s11
	v_dual_mov_b32 v6, 0 :: v_dual_and_b32 v7, 0xff, v3
	v_mov_b32_e32 v9, v3
	s_mov_b32 s11, exec_lo
	s_delay_alu instid0(VALU_DEP_2)
	v_cmpx_ne_u16_e32 0, v7
	s_cbranch_execz .LBB428_1151
; %bb.1144:                             ;   in Loop: Header=BB428_803 Depth=1
	v_bfrev_b32_e32 v6, 1
	s_mov_b32 s12, exec_lo
	v_cmpx_ne_u16_e32 0x80, v7
	s_cbranch_execz .LBB428_1150
; %bb.1145:                             ;   in Loop: Header=BB428_803 Depth=1
	v_and_b32_e32 v7, 0x7f, v3
	v_mov_b32_e32 v6, 0x7f800001
	s_mov_b32 s13, exec_lo
	s_delay_alu instid0(VALU_DEP_2)
	v_cmpx_ne_u32_e32 0x7f, v7
	s_cbranch_execz .LBB428_1149
; %bb.1146:                             ;   in Loop: Header=BB428_803 Depth=1
	v_lshrrev_b32_e32 v103, 3, v7
	v_cmp_gt_u32_e64 s1, 8, v7
	v_dual_mov_b32 v6, v9 :: v_dual_mov_b32 v7, v10
	s_delay_alu instid0(VALU_DEP_2)
	s_and_saveexec_b32 s15, s1
; %bb.1147:                             ;   in Loop: Header=BB428_803 Depth=1
	v_and_b32_e32 v6, 7, v3
	s_delay_alu instid0(VALU_DEP_1) | instskip(NEXT) | instid1(VALU_DEP_1)
	v_clz_i32_u32_e32 v6, v6
	v_min_u32_e32 v103, 32, v6
	s_delay_alu instid0(VALU_DEP_1) | instskip(SKIP_1) | instid1(VALU_DEP_2)
	v_subrev_nc_u32_e32 v6, 28, v103
	v_sub_nc_u32_e32 v103, 29, v103
	v_lshlrev_b64 v[6:7], v6, v[9:10]
; %bb.1148:                             ;   in Loop: Header=BB428_803 Depth=1
	s_or_b32 exec_lo, exec_lo, s15
	s_delay_alu instid0(VALU_DEP_1) | instskip(SKIP_2) | instid1(VALU_DEP_3)
	v_lshlrev_b32_e32 v6, 20, v6
	v_lshlrev_b32_e32 v7, 24, v9
	v_lshl_add_u32 v103, v103, 23, 0x3c000000
	v_and_b32_e32 v6, 0x700000, v6
	s_delay_alu instid0(VALU_DEP_3) | instskip(NEXT) | instid1(VALU_DEP_1)
	v_and_b32_e32 v7, 0x80000000, v7
	v_or3_b32 v6, v6, v7, v103
.LBB428_1149:                           ;   in Loop: Header=BB428_803 Depth=1
	s_or_b32 exec_lo, exec_lo, s13
.LBB428_1150:                           ;   in Loop: Header=BB428_803 Depth=1
	s_delay_alu instid0(SALU_CYCLE_1)
	s_or_b32 exec_lo, exec_lo, s12
.LBB428_1151:                           ;   in Loop: Header=BB428_803 Depth=1
	s_delay_alu instid0(SALU_CYCLE_1) | instskip(NEXT) | instid1(VALU_DEP_1)
	s_or_b32 exec_lo, exec_lo, s11
	v_mul_f32_e32 v6, v26, v6
                                        ; implicit-def: $vgpr103
	s_delay_alu instid0(VALU_DEP_1) | instskip(NEXT) | instid1(VALU_DEP_1)
	v_and_b32_e32 v7, 0x7f800000, v6
	v_cmp_ne_u32_e64 s1, 0x7f800000, v7
	s_delay_alu instid0(VALU_DEP_1) | instskip(NEXT) | instid1(SALU_CYCLE_1)
	s_and_saveexec_b32 s11, s1
	s_xor_b32 s1, exec_lo, s11
; %bb.1152:                             ;   in Loop: Header=BB428_803 Depth=1
	v_bfe_u32 v7, v6, 16, 1
	s_delay_alu instid0(VALU_DEP_1)
	v_add3_u32 v103, v6, v7, 0x7fff
                                        ; implicit-def: $vgpr6
; %bb.1153:                             ;   in Loop: Header=BB428_803 Depth=1
	s_and_not1_saveexec_b32 s11, s1
; %bb.1154:                             ;   in Loop: Header=BB428_803 Depth=1
	v_and_b32_e32 v7, 0xffff, v6
	v_or_b32_e32 v103, 0x10000, v6
	s_delay_alu instid0(VALU_DEP_2) | instskip(NEXT) | instid1(VALU_DEP_1)
	v_cmp_eq_u32_e64 s1, 0, v7
	v_cndmask_b32_e64 v103, v103, v6, s1
; %bb.1155:                             ;   in Loop: Header=BB428_803 Depth=1
	s_or_b32 exec_lo, exec_lo, s11
	v_lshrrev_b16 v7, 8, v9
	v_mov_b32_e32 v6, 0
	s_mov_b32 s11, exec_lo
	s_delay_alu instid0(VALU_DEP_2)
	v_cmpx_ne_u16_e32 0, v7
	s_cbranch_execz .LBB428_1163
; %bb.1156:                             ;   in Loop: Header=BB428_803 Depth=1
	v_bfrev_b32_e32 v6, 1
	s_mov_b32 s12, exec_lo
	v_cmpx_ne_u16_e32 0x80, v7
	s_cbranch_execz .LBB428_1162
; %bb.1157:                             ;   in Loop: Header=BB428_803 Depth=1
	v_and_b32_e32 v7, 0xffff, v7
	v_mov_b32_e32 v6, 0x7f800001
	s_mov_b32 s13, exec_lo
	s_delay_alu instid0(VALU_DEP_2) | instskip(NEXT) | instid1(VALU_DEP_1)
	v_and_b32_e32 v113, 0x7f, v7
	v_cmpx_ne_u32_e32 0x7f, v113
	s_cbranch_execz .LBB428_1161
; %bb.1158:                             ;   in Loop: Header=BB428_803 Depth=1
	v_dual_mov_b32 v7, v10 :: v_dual_and_b32 v6, 7, v7
	v_lshrrev_b32_e32 v112, 3, v113
	s_mov_b32 s15, exec_lo
	v_cmpx_gt_u32_e32 8, v113
; %bb.1159:                             ;   in Loop: Header=BB428_803 Depth=1
	s_delay_alu instid0(VALU_DEP_3) | instskip(NEXT) | instid1(VALU_DEP_1)
	v_clz_i32_u32_e32 v112, v6
	v_min_u32_e32 v112, 32, v112
	s_delay_alu instid0(VALU_DEP_1) | instskip(SKIP_1) | instid1(VALU_DEP_2)
	v_subrev_nc_u32_e32 v113, 28, v112
	v_sub_nc_u32_e32 v112, 29, v112
	v_lshlrev_b64 v[6:7], v113, v[6:7]
	s_delay_alu instid0(VALU_DEP_1)
	v_and_b32_e32 v6, 7, v6
; %bb.1160:                             ;   in Loop: Header=BB428_803 Depth=1
	s_or_b32 exec_lo, exec_lo, s15
	v_lshlrev_b32_e32 v7, 16, v9
	s_delay_alu instid0(VALU_DEP_2) | instskip(SKIP_1) | instid1(VALU_DEP_3)
	v_lshlrev_b32_e32 v6, 20, v6
	v_lshl_add_u32 v9, v112, 23, 0x3c000000
	v_and_b32_e32 v7, 0x80000000, v7
	s_delay_alu instid0(VALU_DEP_1)
	v_or3_b32 v6, v6, v7, v9
.LBB428_1161:                           ;   in Loop: Header=BB428_803 Depth=1
	s_or_b32 exec_lo, exec_lo, s13
.LBB428_1162:                           ;   in Loop: Header=BB428_803 Depth=1
	s_delay_alu instid0(SALU_CYCLE_1)
	s_or_b32 exec_lo, exec_lo, s12
.LBB428_1163:                           ;   in Loop: Header=BB428_803 Depth=1
	s_delay_alu instid0(SALU_CYCLE_1) | instskip(NEXT) | instid1(VALU_DEP_1)
	s_or_b32 exec_lo, exec_lo, s11
	v_mul_f32_e32 v7, v26, v6
	s_delay_alu instid0(VALU_DEP_1) | instskip(NEXT) | instid1(VALU_DEP_1)
	v_and_b32_e32 v6, 0x7f800000, v7
	v_cmp_ne_u32_e64 s1, 0x7f800000, v6
                                        ; implicit-def: $vgpr6
	s_delay_alu instid0(VALU_DEP_1) | instskip(NEXT) | instid1(SALU_CYCLE_1)
	s_and_saveexec_b32 s11, s1
	s_xor_b32 s1, exec_lo, s11
; %bb.1164:                             ;   in Loop: Header=BB428_803 Depth=1
	v_bfe_u32 v6, v7, 16, 1
	s_delay_alu instid0(VALU_DEP_1)
	v_add3_u32 v6, v7, v6, 0x7fff
                                        ; implicit-def: $vgpr7
; %bb.1165:                             ;   in Loop: Header=BB428_803 Depth=1
	s_and_not1_saveexec_b32 s11, s1
; %bb.1166:                             ;   in Loop: Header=BB428_803 Depth=1
	v_and_b32_e32 v6, 0xffff, v7
	v_or_b32_e32 v9, 0x10000, v7
	s_delay_alu instid0(VALU_DEP_2) | instskip(NEXT) | instid1(VALU_DEP_1)
	v_cmp_eq_u32_e64 s1, 0, v6
	v_cndmask_b32_e64 v6, v9, v7, s1
; %bb.1167:                             ;   in Loop: Header=BB428_803 Depth=1
	s_or_b32 exec_lo, exec_lo, s11
	v_lshrrev_b32_e32 v7, 16, v3
	s_mov_b32 s11, exec_lo
	s_delay_alu instid0(VALU_DEP_1) | instskip(NEXT) | instid1(VALU_DEP_1)
	v_dual_mov_b32 v9, 0 :: v_dual_and_b32 v112, 0xff, v7
	v_cmpx_ne_u16_e32 0, v112
	s_cbranch_execz .LBB428_1175
; %bb.1168:                             ;   in Loop: Header=BB428_803 Depth=1
	v_bfrev_b32_e32 v9, 1
	s_mov_b32 s12, exec_lo
	v_cmpx_ne_u16_e32 0x80, v112
	s_cbranch_execz .LBB428_1174
; %bb.1169:                             ;   in Loop: Header=BB428_803 Depth=1
	v_bfe_u32 v113, v3, 16, 7
	v_mov_b32_e32 v9, 0x7f800001
	s_mov_b32 s13, exec_lo
	s_delay_alu instid0(VALU_DEP_2)
	v_cmpx_ne_u32_e32 0x7f, v113
	s_cbranch_execz .LBB428_1173
; %bb.1170:                             ;   in Loop: Header=BB428_803 Depth=1
	v_and_b32_e32 v9, 7, v7
	v_lshrrev_b32_e32 v112, 3, v113
	s_mov_b32 s15, exec_lo
	v_cmpx_gt_u32_e32 8, v113
; %bb.1171:                             ;   in Loop: Header=BB428_803 Depth=1
	s_delay_alu instid0(VALU_DEP_3) | instskip(NEXT) | instid1(VALU_DEP_1)
	v_clz_i32_u32_e32 v112, v9
	v_min_u32_e32 v112, 32, v112
	s_delay_alu instid0(VALU_DEP_1) | instskip(SKIP_1) | instid1(VALU_DEP_2)
	v_subrev_nc_u32_e32 v113, 28, v112
	v_sub_nc_u32_e32 v112, 29, v112
	v_lshlrev_b64 v[113:114], v113, v[9:10]
	s_delay_alu instid0(VALU_DEP_1)
	v_and_b32_e32 v9, 7, v113
; %bb.1172:                             ;   in Loop: Header=BB428_803 Depth=1
	s_or_b32 exec_lo, exec_lo, s15
	v_lshlrev_b32_e32 v7, 24, v7
	s_delay_alu instid0(VALU_DEP_2) | instskip(SKIP_1) | instid1(VALU_DEP_3)
	v_lshlrev_b32_e32 v9, 20, v9
	v_lshl_add_u32 v112, v112, 23, 0x3c000000
	v_and_b32_e32 v7, 0x80000000, v7
	s_delay_alu instid0(VALU_DEP_1)
	v_or3_b32 v9, v9, v7, v112
.LBB428_1173:                           ;   in Loop: Header=BB428_803 Depth=1
	s_or_b32 exec_lo, exec_lo, s13
.LBB428_1174:                           ;   in Loop: Header=BB428_803 Depth=1
	s_delay_alu instid0(SALU_CYCLE_1)
	s_or_b32 exec_lo, exec_lo, s12
.LBB428_1175:                           ;   in Loop: Header=BB428_803 Depth=1
	s_delay_alu instid0(SALU_CYCLE_1) | instskip(NEXT) | instid1(VALU_DEP_1)
	s_or_b32 exec_lo, exec_lo, s11
	v_mul_f32_e32 v7, v26, v9
                                        ; implicit-def: $vgpr112
	s_delay_alu instid0(VALU_DEP_1) | instskip(NEXT) | instid1(VALU_DEP_1)
	v_and_b32_e32 v9, 0x7f800000, v7
	v_cmp_ne_u32_e64 s1, 0x7f800000, v9
	s_delay_alu instid0(VALU_DEP_1) | instskip(NEXT) | instid1(SALU_CYCLE_1)
	s_and_saveexec_b32 s11, s1
	s_xor_b32 s1, exec_lo, s11
; %bb.1176:                             ;   in Loop: Header=BB428_803 Depth=1
	v_bfe_u32 v9, v7, 16, 1
	s_delay_alu instid0(VALU_DEP_1)
	v_add3_u32 v112, v7, v9, 0x7fff
                                        ; implicit-def: $vgpr7
; %bb.1177:                             ;   in Loop: Header=BB428_803 Depth=1
	s_and_not1_saveexec_b32 s11, s1
; %bb.1178:                             ;   in Loop: Header=BB428_803 Depth=1
	v_and_b32_e32 v9, 0xffff, v7
	v_or_b32_e32 v112, 0x10000, v7
	s_delay_alu instid0(VALU_DEP_2) | instskip(NEXT) | instid1(VALU_DEP_1)
	v_cmp_eq_u32_e64 s1, 0, v9
	v_cndmask_b32_e64 v112, v112, v7, s1
; %bb.1179:                             ;   in Loop: Header=BB428_803 Depth=1
	s_or_b32 exec_lo, exec_lo, s11
	v_mov_b32_e32 v7, 0
	s_mov_b32 s11, exec_lo
	v_cmpx_lt_u64_e64 s[2:3], v[2:3]
	s_cbranch_execz .LBB428_1187
; %bb.1180:                             ;   in Loop: Header=BB428_803 Depth=1
	v_lshrrev_b32_e32 v2, 24, v3
	v_bfrev_b32_e32 v7, 1
	s_mov_b32 s12, exec_lo
	s_delay_alu instid0(VALU_DEP_2)
	v_cmpx_ne_u32_e32 0x80, v2
	s_cbranch_execz .LBB428_1186
; %bb.1181:                             ;   in Loop: Header=BB428_803 Depth=1
	v_bfe_u32 v113, v3, 24, 7
	v_mov_b32_e32 v7, 0x7f800001
	s_mov_b32 s13, exec_lo
	s_delay_alu instid0(VALU_DEP_2)
	v_cmpx_ne_u32_e32 0x7f, v113
	s_cbranch_execz .LBB428_1185
; %bb.1182:                             ;   in Loop: Header=BB428_803 Depth=1
	v_and_b32_e32 v9, 7, v2
	v_lshrrev_b32_e32 v3, 3, v113
	s_mov_b32 s15, exec_lo
	v_cmpx_gt_u32_e32 8, v113
; %bb.1183:                             ;   in Loop: Header=BB428_803 Depth=1
	s_delay_alu instid0(VALU_DEP_3) | instskip(NEXT) | instid1(VALU_DEP_1)
	v_clz_i32_u32_e32 v3, v9
	v_min_u32_e32 v3, 32, v3
	s_delay_alu instid0(VALU_DEP_1) | instskip(SKIP_1) | instid1(VALU_DEP_2)
	v_subrev_nc_u32_e32 v7, 28, v3
	v_sub_nc_u32_e32 v3, 29, v3
	v_lshlrev_b64 v[113:114], v7, v[9:10]
	s_delay_alu instid0(VALU_DEP_1)
	v_and_b32_e32 v9, 7, v113
; %bb.1184:                             ;   in Loop: Header=BB428_803 Depth=1
	s_or_b32 exec_lo, exec_lo, s15
	v_lshlrev_b32_e32 v2, 24, v2
	s_delay_alu instid0(VALU_DEP_2) | instskip(SKIP_1) | instid1(VALU_DEP_3)
	v_lshlrev_b32_e32 v7, 20, v9
	v_lshl_add_u32 v3, v3, 23, 0x3c000000
	v_and_b32_e32 v2, 0x80000000, v2
	s_delay_alu instid0(VALU_DEP_1)
	v_or3_b32 v7, v7, v2, v3
.LBB428_1185:                           ;   in Loop: Header=BB428_803 Depth=1
	s_or_b32 exec_lo, exec_lo, s13
.LBB428_1186:                           ;   in Loop: Header=BB428_803 Depth=1
	s_delay_alu instid0(SALU_CYCLE_1)
	s_or_b32 exec_lo, exec_lo, s12
.LBB428_1187:                           ;   in Loop: Header=BB428_803 Depth=1
	s_delay_alu instid0(SALU_CYCLE_1) | instskip(NEXT) | instid1(VALU_DEP_1)
	s_or_b32 exec_lo, exec_lo, s11
	v_mul_f32_e32 v3, v26, v7
	s_delay_alu instid0(VALU_DEP_1) | instskip(NEXT) | instid1(VALU_DEP_1)
	v_and_b32_e32 v2, 0x7f800000, v3
	v_cmp_ne_u32_e64 s1, 0x7f800000, v2
                                        ; implicit-def: $vgpr2
	s_delay_alu instid0(VALU_DEP_1) | instskip(NEXT) | instid1(SALU_CYCLE_1)
	s_and_saveexec_b32 s11, s1
	s_xor_b32 s1, exec_lo, s11
; %bb.1188:                             ;   in Loop: Header=BB428_803 Depth=1
	v_bfe_u32 v2, v3, 16, 1
	s_delay_alu instid0(VALU_DEP_1)
	v_add3_u32 v2, v3, v2, 0x7fff
                                        ; implicit-def: $vgpr3
; %bb.1189:                             ;   in Loop: Header=BB428_803 Depth=1
	s_and_not1_saveexec_b32 s11, s1
; %bb.1190:                             ;   in Loop: Header=BB428_803 Depth=1
	v_and_b32_e32 v2, 0xffff, v3
	v_or_b32_e32 v7, 0x10000, v3
	s_delay_alu instid0(VALU_DEP_2) | instskip(NEXT) | instid1(VALU_DEP_1)
	v_cmp_eq_u32_e64 s1, 0, v2
	v_cndmask_b32_e64 v2, v7, v3, s1
; %bb.1191:                             ;   in Loop: Header=BB428_803 Depth=1
	s_or_b32 exec_lo, exec_lo, s11
	v_lshrrev_b32_e32 v6, 16, v6
	v_lshrrev_b32_e32 v7, 16, v103
	v_lshrrev_b32_e32 v9, 16, v102
	v_lshrrev_b32_e32 v101, 16, v101
	v_lshrrev_b32_e32 v100, 16, v100
	v_lshrrev_b32_e32 v99, 16, v99
	v_lshrrev_b32_e32 v3, 16, v112
	v_lshrrev_b32_e32 v2, 16, v2
	s_and_saveexec_b32 s11, vcc_lo
	s_cbranch_execz .LBB428_1193
; %bb.1192:                             ;   in Loop: Header=BB428_803 Depth=1
	v_cmp_lt_i32_e64 s1, v52, v33
	s_delay_alu instid0(VALU_DEP_1) | instskip(SKIP_1) | instid1(VALU_DEP_1)
	v_cndmask_b32_e64 v99, 0, v99, s1
	v_cmp_lt_i32_e64 s1, v66, v33
	v_cndmask_b32_e64 v100, 0, v100, s1
	v_cmp_lt_i32_e64 s1, v65, v33
	s_delay_alu instid0(VALU_DEP_1) | instskip(SKIP_1) | instid1(VALU_DEP_1)
	v_cndmask_b32_e64 v101, 0, v101, s1
	v_cmp_lt_i32_e64 s1, v64, v33
	v_cndmask_b32_e64 v9, 0, v9, s1
	;; [unrolled: 5-line block ×4, first 2 shown]
.LBB428_1193:                           ;   in Loop: Header=BB428_803 Depth=1
	s_or_b32 exec_lo, exec_lo, s11
	v_lshlrev_b32_e32 v99, 16, v99
	s_delay_alu instid0(VALU_DEP_1) | instskip(NEXT) | instid1(VALU_DEP_1)
	v_mul_f32_e32 v102, v67, v99
	v_and_b32_e32 v99, 0x7f800000, v102
	s_delay_alu instid0(VALU_DEP_1) | instskip(NEXT) | instid1(VALU_DEP_1)
	v_cmp_ne_u32_e64 s1, 0x7f800000, v99
                                        ; implicit-def: $vgpr99
	s_and_saveexec_b32 s11, s1
	s_delay_alu instid0(SALU_CYCLE_1)
	s_xor_b32 s1, exec_lo, s11
; %bb.1194:                             ;   in Loop: Header=BB428_803 Depth=1
	v_bfe_u32 v99, v102, 16, 1
	s_delay_alu instid0(VALU_DEP_1)
	v_add3_u32 v99, v102, v99, 0x7fff
                                        ; implicit-def: $vgpr102
; %bb.1195:                             ;   in Loop: Header=BB428_803 Depth=1
	s_and_not1_saveexec_b32 s11, s1
; %bb.1196:                             ;   in Loop: Header=BB428_803 Depth=1
	v_and_b32_e32 v99, 0xffff, v102
	v_or_b32_e32 v103, 0x10000, v102
	s_delay_alu instid0(VALU_DEP_2) | instskip(NEXT) | instid1(VALU_DEP_1)
	v_cmp_eq_u32_e64 s1, 0, v99
	v_cndmask_b32_e64 v99, v103, v102, s1
; %bb.1197:                             ;   in Loop: Header=BB428_803 Depth=1
	s_or_b32 exec_lo, exec_lo, s11
	v_lshlrev_b32_e32 v100, 16, v100
	s_delay_alu instid0(VALU_DEP_1) | instskip(NEXT) | instid1(VALU_DEP_1)
	v_mul_f32_e32 v102, v68, v100
	v_and_b32_e32 v100, 0x7f800000, v102
	s_delay_alu instid0(VALU_DEP_1) | instskip(NEXT) | instid1(VALU_DEP_1)
	v_cmp_ne_u32_e64 s1, 0x7f800000, v100
                                        ; implicit-def: $vgpr100
	s_and_saveexec_b32 s11, s1
	s_delay_alu instid0(SALU_CYCLE_1)
	s_xor_b32 s1, exec_lo, s11
; %bb.1198:                             ;   in Loop: Header=BB428_803 Depth=1
	v_bfe_u32 v100, v102, 16, 1
	s_delay_alu instid0(VALU_DEP_1)
	v_add3_u32 v100, v102, v100, 0x7fff
                                        ; implicit-def: $vgpr102
; %bb.1199:                             ;   in Loop: Header=BB428_803 Depth=1
	s_and_not1_saveexec_b32 s11, s1
; %bb.1200:                             ;   in Loop: Header=BB428_803 Depth=1
	v_and_b32_e32 v100, 0xffff, v102
	v_or_b32_e32 v103, 0x10000, v102
	s_delay_alu instid0(VALU_DEP_2) | instskip(NEXT) | instid1(VALU_DEP_1)
	v_cmp_eq_u32_e64 s1, 0, v100
	v_cndmask_b32_e64 v100, v103, v102, s1
; %bb.1201:                             ;   in Loop: Header=BB428_803 Depth=1
	s_or_b32 exec_lo, exec_lo, s11
	v_lshlrev_b32_e32 v101, 16, v101
	s_delay_alu instid0(VALU_DEP_1) | instskip(NEXT) | instid1(VALU_DEP_1)
	v_mul_f32_e32 v102, v69, v101
	v_and_b32_e32 v101, 0x7f800000, v102
	s_delay_alu instid0(VALU_DEP_1) | instskip(NEXT) | instid1(VALU_DEP_1)
	v_cmp_ne_u32_e64 s1, 0x7f800000, v101
                                        ; implicit-def: $vgpr101
	s_and_saveexec_b32 s11, s1
	s_delay_alu instid0(SALU_CYCLE_1)
	s_xor_b32 s1, exec_lo, s11
; %bb.1202:                             ;   in Loop: Header=BB428_803 Depth=1
	v_bfe_u32 v101, v102, 16, 1
	s_delay_alu instid0(VALU_DEP_1)
	v_add3_u32 v101, v102, v101, 0x7fff
                                        ; implicit-def: $vgpr102
; %bb.1203:                             ;   in Loop: Header=BB428_803 Depth=1
	s_and_not1_saveexec_b32 s11, s1
; %bb.1204:                             ;   in Loop: Header=BB428_803 Depth=1
	v_and_b32_e32 v101, 0xffff, v102
	v_or_b32_e32 v103, 0x10000, v102
	s_delay_alu instid0(VALU_DEP_2) | instskip(NEXT) | instid1(VALU_DEP_1)
	v_cmp_eq_u32_e64 s1, 0, v101
	v_cndmask_b32_e64 v101, v103, v102, s1
; %bb.1205:                             ;   in Loop: Header=BB428_803 Depth=1
	s_or_b32 exec_lo, exec_lo, s11
	v_lshlrev_b32_e32 v9, 16, v9
	s_delay_alu instid0(VALU_DEP_1) | instskip(NEXT) | instid1(VALU_DEP_1)
	v_mul_f32_e32 v9, v70, v9
	v_and_b32_e32 v102, 0x7f800000, v9
	s_delay_alu instid0(VALU_DEP_1) | instskip(NEXT) | instid1(VALU_DEP_1)
	v_cmp_ne_u32_e64 s1, 0x7f800000, v102
                                        ; implicit-def: $vgpr102
	s_and_saveexec_b32 s11, s1
	s_delay_alu instid0(SALU_CYCLE_1)
	s_xor_b32 s1, exec_lo, s11
; %bb.1206:                             ;   in Loop: Header=BB428_803 Depth=1
	v_bfe_u32 v102, v9, 16, 1
	s_delay_alu instid0(VALU_DEP_1)
	v_add3_u32 v102, v9, v102, 0x7fff
                                        ; implicit-def: $vgpr9
; %bb.1207:                             ;   in Loop: Header=BB428_803 Depth=1
	s_and_not1_saveexec_b32 s11, s1
; %bb.1208:                             ;   in Loop: Header=BB428_803 Depth=1
	v_and_b32_e32 v102, 0xffff, v9
	v_or_b32_e32 v103, 0x10000, v9
	s_delay_alu instid0(VALU_DEP_2) | instskip(NEXT) | instid1(VALU_DEP_1)
	v_cmp_eq_u32_e64 s1, 0, v102
	v_cndmask_b32_e64 v102, v103, v9, s1
; %bb.1209:                             ;   in Loop: Header=BB428_803 Depth=1
	s_or_b32 exec_lo, exec_lo, s11
	v_lshlrev_b32_e32 v7, 16, v7
                                        ; implicit-def: $vgpr103
	s_delay_alu instid0(VALU_DEP_1) | instskip(NEXT) | instid1(VALU_DEP_1)
	v_mul_f32_e32 v7, v71, v7
	v_and_b32_e32 v9, 0x7f800000, v7
	s_delay_alu instid0(VALU_DEP_1) | instskip(NEXT) | instid1(VALU_DEP_1)
	v_cmp_ne_u32_e64 s1, 0x7f800000, v9
	s_and_saveexec_b32 s11, s1
	s_delay_alu instid0(SALU_CYCLE_1)
	s_xor_b32 s1, exec_lo, s11
; %bb.1210:                             ;   in Loop: Header=BB428_803 Depth=1
	v_bfe_u32 v9, v7, 16, 1
	s_delay_alu instid0(VALU_DEP_1)
	v_add3_u32 v103, v7, v9, 0x7fff
                                        ; implicit-def: $vgpr7
; %bb.1211:                             ;   in Loop: Header=BB428_803 Depth=1
	s_and_not1_saveexec_b32 s11, s1
; %bb.1212:                             ;   in Loop: Header=BB428_803 Depth=1
	v_and_b32_e32 v9, 0xffff, v7
	v_or_b32_e32 v103, 0x10000, v7
	s_delay_alu instid0(VALU_DEP_2) | instskip(NEXT) | instid1(VALU_DEP_1)
	v_cmp_eq_u32_e64 s1, 0, v9
	v_cndmask_b32_e64 v103, v103, v7, s1
; %bb.1213:                             ;   in Loop: Header=BB428_803 Depth=1
	s_or_b32 exec_lo, exec_lo, s11
	v_lshlrev_b32_e32 v6, 16, v6
                                        ; implicit-def: $vgpr112
	s_delay_alu instid0(VALU_DEP_1) | instskip(NEXT) | instid1(VALU_DEP_1)
	v_mul_f32_e32 v6, v80, v6
	v_and_b32_e32 v7, 0x7f800000, v6
	s_delay_alu instid0(VALU_DEP_1) | instskip(NEXT) | instid1(VALU_DEP_1)
	v_cmp_ne_u32_e64 s1, 0x7f800000, v7
	s_and_saveexec_b32 s11, s1
	s_delay_alu instid0(SALU_CYCLE_1)
	s_xor_b32 s1, exec_lo, s11
; %bb.1214:                             ;   in Loop: Header=BB428_803 Depth=1
	v_bfe_u32 v7, v6, 16, 1
	s_delay_alu instid0(VALU_DEP_1)
	v_add3_u32 v112, v6, v7, 0x7fff
                                        ; implicit-def: $vgpr6
; %bb.1215:                             ;   in Loop: Header=BB428_803 Depth=1
	s_and_not1_saveexec_b32 s11, s1
; %bb.1216:                             ;   in Loop: Header=BB428_803 Depth=1
	v_and_b32_e32 v7, 0xffff, v6
	v_or_b32_e32 v9, 0x10000, v6
	s_delay_alu instid0(VALU_DEP_2) | instskip(NEXT) | instid1(VALU_DEP_1)
	v_cmp_eq_u32_e64 s1, 0, v7
	v_cndmask_b32_e64 v112, v9, v6, s1
; %bb.1217:                             ;   in Loop: Header=BB428_803 Depth=1
	s_or_b32 exec_lo, exec_lo, s11
	v_lshlrev_b32_e32 v3, 16, v3
                                        ; implicit-def: $vgpr113
	s_delay_alu instid0(VALU_DEP_1) | instskip(NEXT) | instid1(VALU_DEP_1)
	v_mul_f32_e32 v3, v81, v3
	v_and_b32_e32 v6, 0x7f800000, v3
	s_delay_alu instid0(VALU_DEP_1) | instskip(NEXT) | instid1(VALU_DEP_1)
	v_cmp_ne_u32_e64 s1, 0x7f800000, v6
	s_and_saveexec_b32 s11, s1
	s_delay_alu instid0(SALU_CYCLE_1)
	s_xor_b32 s1, exec_lo, s11
; %bb.1218:                             ;   in Loop: Header=BB428_803 Depth=1
	v_bfe_u32 v6, v3, 16, 1
	s_delay_alu instid0(VALU_DEP_1)
	v_add3_u32 v113, v3, v6, 0x7fff
                                        ; implicit-def: $vgpr3
; %bb.1219:                             ;   in Loop: Header=BB428_803 Depth=1
	s_and_not1_saveexec_b32 s11, s1
; %bb.1220:                             ;   in Loop: Header=BB428_803 Depth=1
	v_and_b32_e32 v6, 0xffff, v3
	v_or_b32_e32 v7, 0x10000, v3
	s_delay_alu instid0(VALU_DEP_2) | instskip(NEXT) | instid1(VALU_DEP_1)
	v_cmp_eq_u32_e64 s1, 0, v6
	v_cndmask_b32_e64 v113, v7, v3, s1
; %bb.1221:                             ;   in Loop: Header=BB428_803 Depth=1
	s_or_b32 exec_lo, exec_lo, s11
	v_lshlrev_b32_e32 v2, 16, v2
                                        ; implicit-def: $vgpr114
	s_delay_alu instid0(VALU_DEP_1) | instskip(NEXT) | instid1(VALU_DEP_1)
	v_mul_f32_e32 v2, v82, v2
	v_and_b32_e32 v3, 0x7f800000, v2
	s_delay_alu instid0(VALU_DEP_1) | instskip(NEXT) | instid1(VALU_DEP_1)
	v_cmp_ne_u32_e64 s1, 0x7f800000, v3
	s_and_saveexec_b32 s11, s1
	s_delay_alu instid0(SALU_CYCLE_1)
	s_xor_b32 s1, exec_lo, s11
; %bb.1222:                             ;   in Loop: Header=BB428_803 Depth=1
	v_bfe_u32 v3, v2, 16, 1
	s_delay_alu instid0(VALU_DEP_1)
	v_add3_u32 v114, v2, v3, 0x7fff
                                        ; implicit-def: $vgpr2
; %bb.1223:                             ;   in Loop: Header=BB428_803 Depth=1
	s_and_not1_saveexec_b32 s11, s1
; %bb.1224:                             ;   in Loop: Header=BB428_803 Depth=1
	v_and_b32_e32 v3, 0xffff, v2
	v_or_b32_e32 v6, 0x10000, v2
	s_delay_alu instid0(VALU_DEP_2) | instskip(NEXT) | instid1(VALU_DEP_1)
	v_cmp_eq_u32_e64 s1, 0, v3
	v_cndmask_b32_e64 v114, v6, v2, s1
; %bb.1225:                             ;   in Loop: Header=BB428_803 Depth=1
	s_or_b32 exec_lo, exec_lo, s11
	flat_load_b64 v[2:3], v[0:1] offset:768
	s_mov_b32 s11, exec_lo
	s_waitcnt vmcnt(0) lgkmcnt(0)
	v_dual_mov_b32 v6, 0 :: v_dual_and_b32 v7, 0xff, v2
	s_delay_alu instid0(VALU_DEP_1)
	v_cmpx_ne_u16_e32 0, v7
	s_cbranch_execz .LBB428_1233
; %bb.1226:                             ;   in Loop: Header=BB428_803 Depth=1
	v_bfrev_b32_e32 v6, 1
	s_mov_b32 s12, exec_lo
	v_cmpx_ne_u16_e32 0x80, v7
	s_cbranch_execz .LBB428_1232
; %bb.1227:                             ;   in Loop: Header=BB428_803 Depth=1
	v_and_b32_e32 v7, 0x7f, v2
	v_mov_b32_e32 v6, 0x7f800001
	s_mov_b32 s13, exec_lo
	s_delay_alu instid0(VALU_DEP_2)
	v_cmpx_ne_u32_e32 0x7f, v7
	s_cbranch_execz .LBB428_1231
; %bb.1228:                             ;   in Loop: Header=BB428_803 Depth=1
	v_lshrrev_b32_e32 v9, 3, v7
	v_cmp_gt_u32_e64 s1, 8, v7
	v_dual_mov_b32 v7, v3 :: v_dual_mov_b32 v6, v2
	s_delay_alu instid0(VALU_DEP_2)
	s_and_saveexec_b32 s15, s1
; %bb.1229:                             ;   in Loop: Header=BB428_803 Depth=1
	v_and_b32_e32 v6, 7, v2
	s_delay_alu instid0(VALU_DEP_1) | instskip(NEXT) | instid1(VALU_DEP_1)
	v_clz_i32_u32_e32 v6, v6
	v_min_u32_e32 v9, 32, v6
	s_delay_alu instid0(VALU_DEP_1) | instskip(SKIP_1) | instid1(VALU_DEP_2)
	v_subrev_nc_u32_e32 v6, 28, v9
	v_sub_nc_u32_e32 v9, 29, v9
	v_lshlrev_b64 v[6:7], v6, v[2:3]
; %bb.1230:                             ;   in Loop: Header=BB428_803 Depth=1
	s_or_b32 exec_lo, exec_lo, s15
	s_delay_alu instid0(VALU_DEP_1) | instskip(SKIP_2) | instid1(VALU_DEP_3)
	v_lshlrev_b32_e32 v6, 20, v6
	v_lshlrev_b32_e32 v7, 24, v2
	v_lshl_add_u32 v9, v9, 23, 0x3c000000
	v_and_b32_e32 v6, 0x700000, v6
	s_delay_alu instid0(VALU_DEP_3) | instskip(NEXT) | instid1(VALU_DEP_1)
	v_and_b32_e32 v7, 0x80000000, v7
	v_or3_b32 v6, v6, v7, v9
.LBB428_1231:                           ;   in Loop: Header=BB428_803 Depth=1
	s_or_b32 exec_lo, exec_lo, s13
.LBB428_1232:                           ;   in Loop: Header=BB428_803 Depth=1
	s_delay_alu instid0(SALU_CYCLE_1)
	s_or_b32 exec_lo, exec_lo, s12
.LBB428_1233:                           ;   in Loop: Header=BB428_803 Depth=1
	s_delay_alu instid0(SALU_CYCLE_1) | instskip(NEXT) | instid1(VALU_DEP_1)
	s_or_b32 exec_lo, exec_lo, s11
	v_mul_f32_e32 v6, v26, v6
                                        ; implicit-def: $vgpr115
	s_delay_alu instid0(VALU_DEP_1) | instskip(NEXT) | instid1(VALU_DEP_1)
	v_and_b32_e32 v7, 0x7f800000, v6
	v_cmp_ne_u32_e64 s1, 0x7f800000, v7
	s_delay_alu instid0(VALU_DEP_1) | instskip(NEXT) | instid1(SALU_CYCLE_1)
	s_and_saveexec_b32 s11, s1
	s_xor_b32 s1, exec_lo, s11
; %bb.1234:                             ;   in Loop: Header=BB428_803 Depth=1
	v_bfe_u32 v7, v6, 16, 1
	s_delay_alu instid0(VALU_DEP_1)
	v_add3_u32 v115, v6, v7, 0x7fff
                                        ; implicit-def: $vgpr6
; %bb.1235:                             ;   in Loop: Header=BB428_803 Depth=1
	s_and_not1_saveexec_b32 s11, s1
; %bb.1236:                             ;   in Loop: Header=BB428_803 Depth=1
	v_and_b32_e32 v7, 0xffff, v6
	v_or_b32_e32 v9, 0x10000, v6
	s_delay_alu instid0(VALU_DEP_2) | instskip(NEXT) | instid1(VALU_DEP_1)
	v_cmp_eq_u32_e64 s1, 0, v7
	v_cndmask_b32_e64 v115, v9, v6, s1
; %bb.1237:                             ;   in Loop: Header=BB428_803 Depth=1
	s_or_b32 exec_lo, exec_lo, s11
	v_lshrrev_b16 v7, 8, v2
	v_mov_b32_e32 v6, 0
	s_mov_b32 s11, exec_lo
	s_delay_alu instid0(VALU_DEP_2)
	v_cmpx_ne_u16_e32 0, v7
	s_cbranch_execz .LBB428_1245
; %bb.1238:                             ;   in Loop: Header=BB428_803 Depth=1
	v_bfrev_b32_e32 v6, 1
	s_mov_b32 s12, exec_lo
	v_cmpx_ne_u16_e32 0x80, v7
	s_cbranch_execz .LBB428_1244
; %bb.1239:                             ;   in Loop: Header=BB428_803 Depth=1
	v_and_b32_e32 v9, 0xffff, v7
	v_mov_b32_e32 v6, 0x7f800001
	s_mov_b32 s13, exec_lo
	s_delay_alu instid0(VALU_DEP_2) | instskip(NEXT) | instid1(VALU_DEP_1)
	v_and_b32_e32 v7, 0x7f, v9
	v_cmpx_ne_u32_e32 0x7f, v7
	s_cbranch_execz .LBB428_1243
; %bb.1240:                             ;   in Loop: Header=BB428_803 Depth=1
	v_and_b32_e32 v9, 7, v9
	v_lshrrev_b32_e32 v6, 3, v7
	s_mov_b32 s15, exec_lo
	v_cmpx_gt_u32_e32 8, v7
; %bb.1241:                             ;   in Loop: Header=BB428_803 Depth=1
	s_delay_alu instid0(VALU_DEP_3) | instskip(NEXT) | instid1(VALU_DEP_1)
	v_clz_i32_u32_e32 v6, v9
	v_min_u32_e32 v6, 32, v6
	s_delay_alu instid0(VALU_DEP_1) | instskip(SKIP_1) | instid1(VALU_DEP_2)
	v_subrev_nc_u32_e32 v7, 28, v6
	v_sub_nc_u32_e32 v6, 29, v6
	v_lshlrev_b64 v[116:117], v7, v[9:10]
	s_delay_alu instid0(VALU_DEP_1)
	v_and_b32_e32 v9, 7, v116
; %bb.1242:                             ;   in Loop: Header=BB428_803 Depth=1
	s_or_b32 exec_lo, exec_lo, s15
	v_lshlrev_b32_e32 v7, 16, v2
	s_delay_alu instid0(VALU_DEP_2) | instskip(SKIP_1) | instid1(VALU_DEP_3)
	v_lshlrev_b32_e32 v9, 20, v9
	v_lshl_add_u32 v6, v6, 23, 0x3c000000
	v_and_b32_e32 v7, 0x80000000, v7
	s_delay_alu instid0(VALU_DEP_1)
	v_or3_b32 v6, v9, v7, v6
.LBB428_1243:                           ;   in Loop: Header=BB428_803 Depth=1
	s_or_b32 exec_lo, exec_lo, s13
.LBB428_1244:                           ;   in Loop: Header=BB428_803 Depth=1
	s_delay_alu instid0(SALU_CYCLE_1)
	s_or_b32 exec_lo, exec_lo, s12
.LBB428_1245:                           ;   in Loop: Header=BB428_803 Depth=1
	s_delay_alu instid0(SALU_CYCLE_1) | instskip(NEXT) | instid1(VALU_DEP_1)
	s_or_b32 exec_lo, exec_lo, s11
	v_mul_f32_e32 v6, v26, v6
                                        ; implicit-def: $vgpr116
	s_delay_alu instid0(VALU_DEP_1) | instskip(NEXT) | instid1(VALU_DEP_1)
	v_and_b32_e32 v7, 0x7f800000, v6
	v_cmp_ne_u32_e64 s1, 0x7f800000, v7
	s_delay_alu instid0(VALU_DEP_1) | instskip(NEXT) | instid1(SALU_CYCLE_1)
	s_and_saveexec_b32 s11, s1
	s_xor_b32 s1, exec_lo, s11
; %bb.1246:                             ;   in Loop: Header=BB428_803 Depth=1
	v_bfe_u32 v7, v6, 16, 1
	s_delay_alu instid0(VALU_DEP_1)
	v_add3_u32 v116, v6, v7, 0x7fff
                                        ; implicit-def: $vgpr6
; %bb.1247:                             ;   in Loop: Header=BB428_803 Depth=1
	s_and_not1_saveexec_b32 s11, s1
; %bb.1248:                             ;   in Loop: Header=BB428_803 Depth=1
	v_and_b32_e32 v7, 0xffff, v6
	v_or_b32_e32 v9, 0x10000, v6
	s_delay_alu instid0(VALU_DEP_2) | instskip(NEXT) | instid1(VALU_DEP_1)
	v_cmp_eq_u32_e64 s1, 0, v7
	v_cndmask_b32_e64 v116, v9, v6, s1
; %bb.1249:                             ;   in Loop: Header=BB428_803 Depth=1
	s_or_b32 exec_lo, exec_lo, s11
	v_lshrrev_b32_e32 v6, 16, v2
	v_mov_b32_e32 v7, 0
	s_mov_b32 s11, exec_lo
	s_delay_alu instid0(VALU_DEP_2) | instskip(NEXT) | instid1(VALU_DEP_1)
	v_and_b32_e32 v9, 0xff, v6
	v_cmpx_ne_u16_e32 0, v9
	s_cbranch_execz .LBB428_1257
; %bb.1250:                             ;   in Loop: Header=BB428_803 Depth=1
	v_bfrev_b32_e32 v7, 1
	s_mov_b32 s12, exec_lo
	v_cmpx_ne_u16_e32 0x80, v9
	s_cbranch_execz .LBB428_1256
; %bb.1251:                             ;   in Loop: Header=BB428_803 Depth=1
	v_bfe_u32 v117, v2, 16, 7
	v_mov_b32_e32 v7, 0x7f800001
	s_mov_b32 s13, exec_lo
	s_delay_alu instid0(VALU_DEP_2)
	v_cmpx_ne_u32_e32 0x7f, v117
	s_cbranch_execz .LBB428_1255
; %bb.1252:                             ;   in Loop: Header=BB428_803 Depth=1
	v_and_b32_e32 v9, 7, v6
	v_lshrrev_b32_e32 v7, 3, v117
	s_mov_b32 s15, exec_lo
	v_cmpx_gt_u32_e32 8, v117
; %bb.1253:                             ;   in Loop: Header=BB428_803 Depth=1
	s_delay_alu instid0(VALU_DEP_3) | instskip(NEXT) | instid1(VALU_DEP_1)
	v_clz_i32_u32_e32 v7, v9
	v_min_u32_e32 v7, 32, v7
	s_delay_alu instid0(VALU_DEP_1) | instskip(SKIP_1) | instid1(VALU_DEP_2)
	v_subrev_nc_u32_e32 v117, 28, v7
	v_sub_nc_u32_e32 v7, 29, v7
	v_lshlrev_b64 v[117:118], v117, v[9:10]
	s_delay_alu instid0(VALU_DEP_1)
	v_and_b32_e32 v9, 7, v117
; %bb.1254:                             ;   in Loop: Header=BB428_803 Depth=1
	s_or_b32 exec_lo, exec_lo, s15
	v_lshlrev_b32_e32 v6, 24, v6
	s_delay_alu instid0(VALU_DEP_2) | instskip(SKIP_1) | instid1(VALU_DEP_3)
	v_lshlrev_b32_e32 v9, 20, v9
	v_lshl_add_u32 v7, v7, 23, 0x3c000000
	v_and_b32_e32 v6, 0x80000000, v6
	s_delay_alu instid0(VALU_DEP_1)
	v_or3_b32 v7, v9, v6, v7
.LBB428_1255:                           ;   in Loop: Header=BB428_803 Depth=1
	s_or_b32 exec_lo, exec_lo, s13
.LBB428_1256:                           ;   in Loop: Header=BB428_803 Depth=1
	s_delay_alu instid0(SALU_CYCLE_1)
	s_or_b32 exec_lo, exec_lo, s12
.LBB428_1257:                           ;   in Loop: Header=BB428_803 Depth=1
	s_delay_alu instid0(SALU_CYCLE_1) | instskip(NEXT) | instid1(VALU_DEP_1)
	s_or_b32 exec_lo, exec_lo, s11
	v_mul_f32_e32 v6, v26, v7
                                        ; implicit-def: $vgpr117
	s_delay_alu instid0(VALU_DEP_1) | instskip(NEXT) | instid1(VALU_DEP_1)
	v_and_b32_e32 v7, 0x7f800000, v6
	v_cmp_ne_u32_e64 s1, 0x7f800000, v7
	s_delay_alu instid0(VALU_DEP_1) | instskip(NEXT) | instid1(SALU_CYCLE_1)
	s_and_saveexec_b32 s11, s1
	s_xor_b32 s1, exec_lo, s11
; %bb.1258:                             ;   in Loop: Header=BB428_803 Depth=1
	v_bfe_u32 v7, v6, 16, 1
	s_delay_alu instid0(VALU_DEP_1)
	v_add3_u32 v117, v6, v7, 0x7fff
                                        ; implicit-def: $vgpr6
; %bb.1259:                             ;   in Loop: Header=BB428_803 Depth=1
	s_and_not1_saveexec_b32 s11, s1
; %bb.1260:                             ;   in Loop: Header=BB428_803 Depth=1
	v_and_b32_e32 v7, 0xffff, v6
	v_or_b32_e32 v9, 0x10000, v6
	s_delay_alu instid0(VALU_DEP_2) | instskip(NEXT) | instid1(VALU_DEP_1)
	v_cmp_eq_u32_e64 s1, 0, v7
	v_cndmask_b32_e64 v117, v9, v6, s1
; %bb.1261:                             ;   in Loop: Header=BB428_803 Depth=1
	s_or_b32 exec_lo, exec_lo, s11
	v_mov_b32_e32 v7, 0
	s_mov_b32 s11, exec_lo
	v_cmpx_lt_u32_e32 0xffffff, v2
	s_cbranch_execz .LBB428_1269
; %bb.1262:                             ;   in Loop: Header=BB428_803 Depth=1
	v_lshrrev_b32_e32 v6, 24, v2
	v_bfrev_b32_e32 v7, 1
	s_mov_b32 s12, exec_lo
	s_delay_alu instid0(VALU_DEP_2)
	v_cmpx_ne_u32_e32 0x80, v6
	s_cbranch_execz .LBB428_1268
; %bb.1263:                             ;   in Loop: Header=BB428_803 Depth=1
	v_bfe_u32 v118, v2, 24, 7
	v_mov_b32_e32 v7, 0x7f800001
	s_mov_b32 s13, exec_lo
	s_delay_alu instid0(VALU_DEP_2)
	v_cmpx_ne_u32_e32 0x7f, v118
	s_cbranch_execz .LBB428_1267
; %bb.1264:                             ;   in Loop: Header=BB428_803 Depth=1
	v_and_b32_e32 v9, 7, v6
	v_lshrrev_b32_e32 v7, 3, v118
	s_mov_b32 s15, exec_lo
	v_cmpx_gt_u32_e32 8, v118
; %bb.1265:                             ;   in Loop: Header=BB428_803 Depth=1
	s_delay_alu instid0(VALU_DEP_3) | instskip(NEXT) | instid1(VALU_DEP_1)
	v_clz_i32_u32_e32 v7, v9
	v_min_u32_e32 v7, 32, v7
	s_delay_alu instid0(VALU_DEP_1) | instskip(SKIP_1) | instid1(VALU_DEP_2)
	v_subrev_nc_u32_e32 v118, 28, v7
	v_sub_nc_u32_e32 v7, 29, v7
	v_lshlrev_b64 v[118:119], v118, v[9:10]
	s_delay_alu instid0(VALU_DEP_1)
	v_and_b32_e32 v9, 7, v118
; %bb.1266:                             ;   in Loop: Header=BB428_803 Depth=1
	s_or_b32 exec_lo, exec_lo, s15
	v_lshlrev_b32_e32 v6, 24, v6
	s_delay_alu instid0(VALU_DEP_2) | instskip(SKIP_1) | instid1(VALU_DEP_3)
	v_lshlrev_b32_e32 v9, 20, v9
	v_lshl_add_u32 v7, v7, 23, 0x3c000000
	v_and_b32_e32 v6, 0x80000000, v6
	s_delay_alu instid0(VALU_DEP_1)
	v_or3_b32 v7, v9, v6, v7
.LBB428_1267:                           ;   in Loop: Header=BB428_803 Depth=1
	s_or_b32 exec_lo, exec_lo, s13
.LBB428_1268:                           ;   in Loop: Header=BB428_803 Depth=1
	s_delay_alu instid0(SALU_CYCLE_1)
	s_or_b32 exec_lo, exec_lo, s12
.LBB428_1269:                           ;   in Loop: Header=BB428_803 Depth=1
	s_delay_alu instid0(SALU_CYCLE_1) | instskip(NEXT) | instid1(VALU_DEP_1)
	s_or_b32 exec_lo, exec_lo, s11
	v_mul_f32_e32 v6, v26, v7
                                        ; implicit-def: $vgpr118
	s_delay_alu instid0(VALU_DEP_1) | instskip(NEXT) | instid1(VALU_DEP_1)
	v_and_b32_e32 v7, 0x7f800000, v6
	v_cmp_ne_u32_e64 s1, 0x7f800000, v7
	s_delay_alu instid0(VALU_DEP_1) | instskip(NEXT) | instid1(SALU_CYCLE_1)
	s_and_saveexec_b32 s11, s1
	s_xor_b32 s1, exec_lo, s11
; %bb.1270:                             ;   in Loop: Header=BB428_803 Depth=1
	v_bfe_u32 v7, v6, 16, 1
	s_delay_alu instid0(VALU_DEP_1)
	v_add3_u32 v118, v6, v7, 0x7fff
                                        ; implicit-def: $vgpr6
; %bb.1271:                             ;   in Loop: Header=BB428_803 Depth=1
	s_and_not1_saveexec_b32 s11, s1
; %bb.1272:                             ;   in Loop: Header=BB428_803 Depth=1
	v_and_b32_e32 v7, 0xffff, v6
	v_or_b32_e32 v9, 0x10000, v6
	s_delay_alu instid0(VALU_DEP_2) | instskip(NEXT) | instid1(VALU_DEP_1)
	v_cmp_eq_u32_e64 s1, 0, v7
	v_cndmask_b32_e64 v118, v9, v6, s1
; %bb.1273:                             ;   in Loop: Header=BB428_803 Depth=1
	s_or_b32 exec_lo, exec_lo, s11
	v_dual_mov_b32 v6, 0 :: v_dual_and_b32 v7, 0xff, v3
	v_mov_b32_e32 v9, v3
	s_mov_b32 s11, exec_lo
	s_delay_alu instid0(VALU_DEP_2)
	v_cmpx_ne_u16_e32 0, v7
	s_cbranch_execz .LBB428_1281
; %bb.1274:                             ;   in Loop: Header=BB428_803 Depth=1
	v_bfrev_b32_e32 v6, 1
	s_mov_b32 s12, exec_lo
	v_cmpx_ne_u16_e32 0x80, v7
	s_cbranch_execz .LBB428_1280
; %bb.1275:                             ;   in Loop: Header=BB428_803 Depth=1
	v_and_b32_e32 v7, 0x7f, v3
	v_mov_b32_e32 v6, 0x7f800001
	s_mov_b32 s13, exec_lo
	s_delay_alu instid0(VALU_DEP_2)
	v_cmpx_ne_u32_e32 0x7f, v7
	s_cbranch_execz .LBB428_1279
; %bb.1276:                             ;   in Loop: Header=BB428_803 Depth=1
	v_lshrrev_b32_e32 v119, 3, v7
	v_cmp_gt_u32_e64 s1, 8, v7
	v_dual_mov_b32 v6, v9 :: v_dual_mov_b32 v7, v10
	s_delay_alu instid0(VALU_DEP_2)
	s_and_saveexec_b32 s15, s1
; %bb.1277:                             ;   in Loop: Header=BB428_803 Depth=1
	v_and_b32_e32 v6, 7, v3
	s_delay_alu instid0(VALU_DEP_1) | instskip(NEXT) | instid1(VALU_DEP_1)
	v_clz_i32_u32_e32 v6, v6
	v_min_u32_e32 v119, 32, v6
	s_delay_alu instid0(VALU_DEP_1) | instskip(SKIP_1) | instid1(VALU_DEP_2)
	v_subrev_nc_u32_e32 v6, 28, v119
	v_sub_nc_u32_e32 v119, 29, v119
	v_lshlrev_b64 v[6:7], v6, v[9:10]
; %bb.1278:                             ;   in Loop: Header=BB428_803 Depth=1
	s_or_b32 exec_lo, exec_lo, s15
	s_delay_alu instid0(VALU_DEP_1) | instskip(SKIP_2) | instid1(VALU_DEP_3)
	v_lshlrev_b32_e32 v6, 20, v6
	v_lshlrev_b32_e32 v7, 24, v9
	v_lshl_add_u32 v119, v119, 23, 0x3c000000
	v_and_b32_e32 v6, 0x700000, v6
	s_delay_alu instid0(VALU_DEP_3) | instskip(NEXT) | instid1(VALU_DEP_1)
	v_and_b32_e32 v7, 0x80000000, v7
	v_or3_b32 v6, v6, v7, v119
.LBB428_1279:                           ;   in Loop: Header=BB428_803 Depth=1
	s_or_b32 exec_lo, exec_lo, s13
.LBB428_1280:                           ;   in Loop: Header=BB428_803 Depth=1
	s_delay_alu instid0(SALU_CYCLE_1)
	s_or_b32 exec_lo, exec_lo, s12
.LBB428_1281:                           ;   in Loop: Header=BB428_803 Depth=1
	s_delay_alu instid0(SALU_CYCLE_1) | instskip(NEXT) | instid1(VALU_DEP_1)
	s_or_b32 exec_lo, exec_lo, s11
	v_mul_f32_e32 v6, v26, v6
                                        ; implicit-def: $vgpr119
	s_delay_alu instid0(VALU_DEP_1) | instskip(NEXT) | instid1(VALU_DEP_1)
	v_and_b32_e32 v7, 0x7f800000, v6
	v_cmp_ne_u32_e64 s1, 0x7f800000, v7
	s_delay_alu instid0(VALU_DEP_1) | instskip(NEXT) | instid1(SALU_CYCLE_1)
	s_and_saveexec_b32 s11, s1
	s_xor_b32 s1, exec_lo, s11
; %bb.1282:                             ;   in Loop: Header=BB428_803 Depth=1
	v_bfe_u32 v7, v6, 16, 1
	s_delay_alu instid0(VALU_DEP_1)
	v_add3_u32 v119, v6, v7, 0x7fff
                                        ; implicit-def: $vgpr6
; %bb.1283:                             ;   in Loop: Header=BB428_803 Depth=1
	s_and_not1_saveexec_b32 s11, s1
; %bb.1284:                             ;   in Loop: Header=BB428_803 Depth=1
	v_and_b32_e32 v7, 0xffff, v6
	v_or_b32_e32 v119, 0x10000, v6
	s_delay_alu instid0(VALU_DEP_2) | instskip(NEXT) | instid1(VALU_DEP_1)
	v_cmp_eq_u32_e64 s1, 0, v7
	v_cndmask_b32_e64 v119, v119, v6, s1
; %bb.1285:                             ;   in Loop: Header=BB428_803 Depth=1
	s_or_b32 exec_lo, exec_lo, s11
	v_lshrrev_b16 v7, 8, v9
	v_mov_b32_e32 v6, 0
	s_mov_b32 s11, exec_lo
	s_delay_alu instid0(VALU_DEP_2)
	v_cmpx_ne_u16_e32 0, v7
	s_cbranch_execz .LBB428_1293
; %bb.1286:                             ;   in Loop: Header=BB428_803 Depth=1
	v_bfrev_b32_e32 v6, 1
	s_mov_b32 s12, exec_lo
	v_cmpx_ne_u16_e32 0x80, v7
	s_cbranch_execz .LBB428_1292
; %bb.1287:                             ;   in Loop: Header=BB428_803 Depth=1
	v_and_b32_e32 v7, 0xffff, v7
	v_mov_b32_e32 v6, 0x7f800001
	s_mov_b32 s13, exec_lo
	s_delay_alu instid0(VALU_DEP_2) | instskip(NEXT) | instid1(VALU_DEP_1)
	v_and_b32_e32 v129, 0x7f, v7
	v_cmpx_ne_u32_e32 0x7f, v129
	s_cbranch_execz .LBB428_1291
; %bb.1288:                             ;   in Loop: Header=BB428_803 Depth=1
	v_dual_mov_b32 v7, v10 :: v_dual_and_b32 v6, 7, v7
	v_lshrrev_b32_e32 v128, 3, v129
	s_mov_b32 s15, exec_lo
	v_cmpx_gt_u32_e32 8, v129
; %bb.1289:                             ;   in Loop: Header=BB428_803 Depth=1
	s_delay_alu instid0(VALU_DEP_3) | instskip(NEXT) | instid1(VALU_DEP_1)
	v_clz_i32_u32_e32 v128, v6
	v_min_u32_e32 v128, 32, v128
	s_delay_alu instid0(VALU_DEP_1) | instskip(SKIP_1) | instid1(VALU_DEP_2)
	v_subrev_nc_u32_e32 v129, 28, v128
	v_sub_nc_u32_e32 v128, 29, v128
	v_lshlrev_b64 v[6:7], v129, v[6:7]
	s_delay_alu instid0(VALU_DEP_1)
	v_and_b32_e32 v6, 7, v6
; %bb.1290:                             ;   in Loop: Header=BB428_803 Depth=1
	s_or_b32 exec_lo, exec_lo, s15
	v_lshlrev_b32_e32 v7, 16, v9
	s_delay_alu instid0(VALU_DEP_2) | instskip(SKIP_1) | instid1(VALU_DEP_3)
	v_lshlrev_b32_e32 v6, 20, v6
	v_lshl_add_u32 v9, v128, 23, 0x3c000000
	v_and_b32_e32 v7, 0x80000000, v7
	s_delay_alu instid0(VALU_DEP_1)
	v_or3_b32 v6, v6, v7, v9
.LBB428_1291:                           ;   in Loop: Header=BB428_803 Depth=1
	s_or_b32 exec_lo, exec_lo, s13
.LBB428_1292:                           ;   in Loop: Header=BB428_803 Depth=1
	s_delay_alu instid0(SALU_CYCLE_1)
	s_or_b32 exec_lo, exec_lo, s12
.LBB428_1293:                           ;   in Loop: Header=BB428_803 Depth=1
	s_delay_alu instid0(SALU_CYCLE_1) | instskip(NEXT) | instid1(VALU_DEP_1)
	s_or_b32 exec_lo, exec_lo, s11
	v_mul_f32_e32 v7, v26, v6
	s_delay_alu instid0(VALU_DEP_1) | instskip(NEXT) | instid1(VALU_DEP_1)
	v_and_b32_e32 v6, 0x7f800000, v7
	v_cmp_ne_u32_e64 s1, 0x7f800000, v6
                                        ; implicit-def: $vgpr6
	s_delay_alu instid0(VALU_DEP_1) | instskip(NEXT) | instid1(SALU_CYCLE_1)
	s_and_saveexec_b32 s11, s1
	s_xor_b32 s1, exec_lo, s11
; %bb.1294:                             ;   in Loop: Header=BB428_803 Depth=1
	v_bfe_u32 v6, v7, 16, 1
	s_delay_alu instid0(VALU_DEP_1)
	v_add3_u32 v6, v7, v6, 0x7fff
                                        ; implicit-def: $vgpr7
; %bb.1295:                             ;   in Loop: Header=BB428_803 Depth=1
	s_and_not1_saveexec_b32 s11, s1
; %bb.1296:                             ;   in Loop: Header=BB428_803 Depth=1
	v_and_b32_e32 v6, 0xffff, v7
	v_or_b32_e32 v9, 0x10000, v7
	s_delay_alu instid0(VALU_DEP_2) | instskip(NEXT) | instid1(VALU_DEP_1)
	v_cmp_eq_u32_e64 s1, 0, v6
	v_cndmask_b32_e64 v6, v9, v7, s1
; %bb.1297:                             ;   in Loop: Header=BB428_803 Depth=1
	s_or_b32 exec_lo, exec_lo, s11
	v_lshrrev_b32_e32 v7, 16, v3
	s_mov_b32 s11, exec_lo
	s_delay_alu instid0(VALU_DEP_1) | instskip(NEXT) | instid1(VALU_DEP_1)
	v_dual_mov_b32 v9, 0 :: v_dual_and_b32 v128, 0xff, v7
	v_cmpx_ne_u16_e64 0, v128
	s_cbranch_execz .LBB428_1305
; %bb.1298:                             ;   in Loop: Header=BB428_803 Depth=1
	v_bfrev_b32_e32 v9, 1
	s_mov_b32 s12, exec_lo
	v_cmpx_ne_u16_e64 0x80, v128
	s_cbranch_execz .LBB428_1304
; %bb.1299:                             ;   in Loop: Header=BB428_803 Depth=1
	v_bfe_u32 v129, v3, 16, 7
	v_mov_b32_e32 v9, 0x7f800001
	s_mov_b32 s13, exec_lo
	s_delay_alu instid0(VALU_DEP_2)
	v_cmpx_ne_u32_e32 0x7f, v129
	s_cbranch_execz .LBB428_1303
; %bb.1300:                             ;   in Loop: Header=BB428_803 Depth=1
	v_and_b32_e32 v9, 7, v7
	v_lshrrev_b32_e32 v128, 3, v129
	s_mov_b32 s15, exec_lo
	v_cmpx_gt_u32_e32 8, v129
; %bb.1301:                             ;   in Loop: Header=BB428_803 Depth=1
	s_delay_alu instid0(VALU_DEP_3) | instskip(NEXT) | instid1(VALU_DEP_1)
	v_clz_i32_u32_e32 v128, v9
	v_min_u32_e32 v128, 32, v128
	s_delay_alu instid0(VALU_DEP_1) | instskip(SKIP_1) | instid1(VALU_DEP_2)
	v_subrev_nc_u32_e32 v129, 28, v128
	v_sub_nc_u32_e32 v128, 29, v128
	v_lshlrev_b64 v[129:130], v129, v[9:10]
	s_delay_alu instid0(VALU_DEP_1)
	v_and_b32_e32 v9, 7, v129
; %bb.1302:                             ;   in Loop: Header=BB428_803 Depth=1
	s_or_b32 exec_lo, exec_lo, s15
	v_lshlrev_b32_e32 v7, 24, v7
	s_delay_alu instid0(VALU_DEP_2) | instskip(SKIP_1) | instid1(VALU_DEP_3)
	v_lshlrev_b32_e32 v9, 20, v9
	v_lshl_add_u32 v128, v128, 23, 0x3c000000
	v_and_b32_e32 v7, 0x80000000, v7
	s_delay_alu instid0(VALU_DEP_1)
	v_or3_b32 v9, v9, v7, v128
.LBB428_1303:                           ;   in Loop: Header=BB428_803 Depth=1
	s_or_b32 exec_lo, exec_lo, s13
.LBB428_1304:                           ;   in Loop: Header=BB428_803 Depth=1
	s_delay_alu instid0(SALU_CYCLE_1)
	s_or_b32 exec_lo, exec_lo, s12
.LBB428_1305:                           ;   in Loop: Header=BB428_803 Depth=1
	s_delay_alu instid0(SALU_CYCLE_1) | instskip(NEXT) | instid1(VALU_DEP_1)
	s_or_b32 exec_lo, exec_lo, s11
	v_mul_f32_e32 v7, v26, v9
                                        ; implicit-def: $vgpr128
	s_delay_alu instid0(VALU_DEP_1) | instskip(NEXT) | instid1(VALU_DEP_1)
	v_and_b32_e32 v9, 0x7f800000, v7
	v_cmp_ne_u32_e64 s1, 0x7f800000, v9
	s_delay_alu instid0(VALU_DEP_1) | instskip(NEXT) | instid1(SALU_CYCLE_1)
	s_and_saveexec_b32 s11, s1
	s_xor_b32 s1, exec_lo, s11
; %bb.1306:                             ;   in Loop: Header=BB428_803 Depth=1
	v_bfe_u32 v9, v7, 16, 1
	s_delay_alu instid0(VALU_DEP_1)
	v_add3_u32 v128, v7, v9, 0x7fff
                                        ; implicit-def: $vgpr7
; %bb.1307:                             ;   in Loop: Header=BB428_803 Depth=1
	s_and_not1_saveexec_b32 s11, s1
; %bb.1308:                             ;   in Loop: Header=BB428_803 Depth=1
	v_and_b32_e32 v9, 0xffff, v7
	v_or_b32_e32 v128, 0x10000, v7
	s_delay_alu instid0(VALU_DEP_2) | instskip(NEXT) | instid1(VALU_DEP_1)
	v_cmp_eq_u32_e64 s1, 0, v9
	v_cndmask_b32_e64 v128, v128, v7, s1
; %bb.1309:                             ;   in Loop: Header=BB428_803 Depth=1
	s_or_b32 exec_lo, exec_lo, s11
	v_mov_b32_e32 v7, 0
	s_mov_b32 s11, exec_lo
	v_cmpx_lt_u64_e64 s[2:3], v[2:3]
	s_cbranch_execz .LBB428_1317
; %bb.1310:                             ;   in Loop: Header=BB428_803 Depth=1
	v_lshrrev_b32_e32 v2, 24, v3
	v_bfrev_b32_e32 v7, 1
	s_mov_b32 s12, exec_lo
	s_delay_alu instid0(VALU_DEP_2)
	v_cmpx_ne_u32_e32 0x80, v2
	s_cbranch_execz .LBB428_1316
; %bb.1311:                             ;   in Loop: Header=BB428_803 Depth=1
	v_bfe_u32 v129, v3, 24, 7
	v_mov_b32_e32 v7, 0x7f800001
	s_mov_b32 s13, exec_lo
	s_delay_alu instid0(VALU_DEP_2)
	v_cmpx_ne_u32_e32 0x7f, v129
	s_cbranch_execz .LBB428_1315
; %bb.1312:                             ;   in Loop: Header=BB428_803 Depth=1
	v_and_b32_e32 v9, 7, v2
	v_lshrrev_b32_e32 v3, 3, v129
	s_mov_b32 s15, exec_lo
	v_cmpx_gt_u32_e32 8, v129
; %bb.1313:                             ;   in Loop: Header=BB428_803 Depth=1
	s_delay_alu instid0(VALU_DEP_3) | instskip(NEXT) | instid1(VALU_DEP_1)
	v_clz_i32_u32_e32 v3, v9
	v_min_u32_e32 v3, 32, v3
	s_delay_alu instid0(VALU_DEP_1) | instskip(SKIP_1) | instid1(VALU_DEP_2)
	v_subrev_nc_u32_e32 v7, 28, v3
	v_sub_nc_u32_e32 v3, 29, v3
	v_lshlrev_b64 v[129:130], v7, v[9:10]
	s_delay_alu instid0(VALU_DEP_1)
	v_and_b32_e32 v9, 7, v129
; %bb.1314:                             ;   in Loop: Header=BB428_803 Depth=1
	s_or_b32 exec_lo, exec_lo, s15
	v_lshlrev_b32_e32 v2, 24, v2
	s_delay_alu instid0(VALU_DEP_2) | instskip(SKIP_1) | instid1(VALU_DEP_3)
	v_lshlrev_b32_e32 v7, 20, v9
	v_lshl_add_u32 v3, v3, 23, 0x3c000000
	v_and_b32_e32 v2, 0x80000000, v2
	s_delay_alu instid0(VALU_DEP_1)
	v_or3_b32 v7, v7, v2, v3
.LBB428_1315:                           ;   in Loop: Header=BB428_803 Depth=1
	s_or_b32 exec_lo, exec_lo, s13
.LBB428_1316:                           ;   in Loop: Header=BB428_803 Depth=1
	s_delay_alu instid0(SALU_CYCLE_1)
	s_or_b32 exec_lo, exec_lo, s12
.LBB428_1317:                           ;   in Loop: Header=BB428_803 Depth=1
	s_delay_alu instid0(SALU_CYCLE_1) | instskip(NEXT) | instid1(VALU_DEP_1)
	s_or_b32 exec_lo, exec_lo, s11
	v_mul_f32_e32 v3, v26, v7
	s_delay_alu instid0(VALU_DEP_1) | instskip(NEXT) | instid1(VALU_DEP_1)
	v_and_b32_e32 v2, 0x7f800000, v3
	v_cmp_ne_u32_e64 s1, 0x7f800000, v2
                                        ; implicit-def: $vgpr2
	s_delay_alu instid0(VALU_DEP_1) | instskip(NEXT) | instid1(SALU_CYCLE_1)
	s_and_saveexec_b32 s11, s1
	s_xor_b32 s1, exec_lo, s11
; %bb.1318:                             ;   in Loop: Header=BB428_803 Depth=1
	v_bfe_u32 v2, v3, 16, 1
	s_delay_alu instid0(VALU_DEP_1)
	v_add3_u32 v2, v3, v2, 0x7fff
                                        ; implicit-def: $vgpr3
; %bb.1319:                             ;   in Loop: Header=BB428_803 Depth=1
	s_and_not1_saveexec_b32 s11, s1
; %bb.1320:                             ;   in Loop: Header=BB428_803 Depth=1
	v_and_b32_e32 v2, 0xffff, v3
	v_or_b32_e32 v7, 0x10000, v3
	s_delay_alu instid0(VALU_DEP_2) | instskip(NEXT) | instid1(VALU_DEP_1)
	v_cmp_eq_u32_e64 s1, 0, v2
	v_cndmask_b32_e64 v2, v7, v3, s1
; %bb.1321:                             ;   in Loop: Header=BB428_803 Depth=1
	s_or_b32 exec_lo, exec_lo, s11
	v_lshrrev_b32_e32 v6, 16, v6
	v_lshrrev_b32_e32 v7, 16, v119
	;; [unrolled: 1-line block ×8, first 2 shown]
	s_and_saveexec_b32 s11, vcc_lo
	s_cbranch_execz .LBB428_1323
; %bb.1322:                             ;   in Loop: Header=BB428_803 Depth=1
	v_cmp_lt_i32_e64 s1, v52, v33
	s_delay_alu instid0(VALU_DEP_1) | instskip(SKIP_1) | instid1(VALU_DEP_1)
	v_cndmask_b32_e64 v115, 0, v115, s1
	v_cmp_lt_i32_e64 s1, v66, v33
	v_cndmask_b32_e64 v116, 0, v116, s1
	v_cmp_lt_i32_e64 s1, v65, v33
	s_delay_alu instid0(VALU_DEP_1) | instskip(SKIP_1) | instid1(VALU_DEP_1)
	v_cndmask_b32_e64 v117, 0, v117, s1
	v_cmp_lt_i32_e64 s1, v64, v33
	v_cndmask_b32_e64 v9, 0, v9, s1
	;; [unrolled: 5-line block ×4, first 2 shown]
.LBB428_1323:                           ;   in Loop: Header=BB428_803 Depth=1
	s_or_b32 exec_lo, exec_lo, s11
	v_lshlrev_b32_e32 v115, 16, v115
	s_delay_alu instid0(VALU_DEP_1) | instskip(NEXT) | instid1(VALU_DEP_1)
	v_mul_f32_e32 v118, v67, v115
	v_and_b32_e32 v115, 0x7f800000, v118
	s_delay_alu instid0(VALU_DEP_1) | instskip(NEXT) | instid1(VALU_DEP_1)
	v_cmp_ne_u32_e64 s1, 0x7f800000, v115
                                        ; implicit-def: $vgpr115
	s_and_saveexec_b32 s11, s1
	s_delay_alu instid0(SALU_CYCLE_1)
	s_xor_b32 s1, exec_lo, s11
; %bb.1324:                             ;   in Loop: Header=BB428_803 Depth=1
	v_bfe_u32 v115, v118, 16, 1
	s_delay_alu instid0(VALU_DEP_1)
	v_add3_u32 v115, v118, v115, 0x7fff
                                        ; implicit-def: $vgpr118
; %bb.1325:                             ;   in Loop: Header=BB428_803 Depth=1
	s_and_not1_saveexec_b32 s11, s1
; %bb.1326:                             ;   in Loop: Header=BB428_803 Depth=1
	v_and_b32_e32 v115, 0xffff, v118
	v_or_b32_e32 v119, 0x10000, v118
	s_delay_alu instid0(VALU_DEP_2) | instskip(NEXT) | instid1(VALU_DEP_1)
	v_cmp_eq_u32_e64 s1, 0, v115
	v_cndmask_b32_e64 v115, v119, v118, s1
; %bb.1327:                             ;   in Loop: Header=BB428_803 Depth=1
	s_or_b32 exec_lo, exec_lo, s11
	v_lshlrev_b32_e32 v116, 16, v116
	s_delay_alu instid0(VALU_DEP_1) | instskip(NEXT) | instid1(VALU_DEP_1)
	v_mul_f32_e32 v118, v68, v116
	v_and_b32_e32 v116, 0x7f800000, v118
	s_delay_alu instid0(VALU_DEP_1) | instskip(NEXT) | instid1(VALU_DEP_1)
	v_cmp_ne_u32_e64 s1, 0x7f800000, v116
                                        ; implicit-def: $vgpr116
	s_and_saveexec_b32 s11, s1
	s_delay_alu instid0(SALU_CYCLE_1)
	s_xor_b32 s1, exec_lo, s11
; %bb.1328:                             ;   in Loop: Header=BB428_803 Depth=1
	v_bfe_u32 v116, v118, 16, 1
	s_delay_alu instid0(VALU_DEP_1)
	v_add3_u32 v116, v118, v116, 0x7fff
                                        ; implicit-def: $vgpr118
; %bb.1329:                             ;   in Loop: Header=BB428_803 Depth=1
	s_and_not1_saveexec_b32 s11, s1
; %bb.1330:                             ;   in Loop: Header=BB428_803 Depth=1
	v_and_b32_e32 v116, 0xffff, v118
	v_or_b32_e32 v119, 0x10000, v118
	s_delay_alu instid0(VALU_DEP_2) | instskip(NEXT) | instid1(VALU_DEP_1)
	v_cmp_eq_u32_e64 s1, 0, v116
	v_cndmask_b32_e64 v116, v119, v118, s1
; %bb.1331:                             ;   in Loop: Header=BB428_803 Depth=1
	s_or_b32 exec_lo, exec_lo, s11
	v_lshlrev_b32_e32 v117, 16, v117
	s_delay_alu instid0(VALU_DEP_1) | instskip(NEXT) | instid1(VALU_DEP_1)
	v_mul_f32_e32 v118, v69, v117
	v_and_b32_e32 v117, 0x7f800000, v118
	s_delay_alu instid0(VALU_DEP_1) | instskip(NEXT) | instid1(VALU_DEP_1)
	v_cmp_ne_u32_e64 s1, 0x7f800000, v117
                                        ; implicit-def: $vgpr117
	s_and_saveexec_b32 s11, s1
	s_delay_alu instid0(SALU_CYCLE_1)
	s_xor_b32 s1, exec_lo, s11
; %bb.1332:                             ;   in Loop: Header=BB428_803 Depth=1
	v_bfe_u32 v117, v118, 16, 1
	s_delay_alu instid0(VALU_DEP_1)
	v_add3_u32 v117, v118, v117, 0x7fff
                                        ; implicit-def: $vgpr118
; %bb.1333:                             ;   in Loop: Header=BB428_803 Depth=1
	s_and_not1_saveexec_b32 s11, s1
; %bb.1334:                             ;   in Loop: Header=BB428_803 Depth=1
	v_and_b32_e32 v117, 0xffff, v118
	v_or_b32_e32 v119, 0x10000, v118
	s_delay_alu instid0(VALU_DEP_2) | instskip(NEXT) | instid1(VALU_DEP_1)
	v_cmp_eq_u32_e64 s1, 0, v117
	v_cndmask_b32_e64 v117, v119, v118, s1
; %bb.1335:                             ;   in Loop: Header=BB428_803 Depth=1
	s_or_b32 exec_lo, exec_lo, s11
	v_lshlrev_b32_e32 v9, 16, v9
	s_delay_alu instid0(VALU_DEP_1) | instskip(NEXT) | instid1(VALU_DEP_1)
	v_mul_f32_e32 v9, v70, v9
	v_and_b32_e32 v118, 0x7f800000, v9
	s_delay_alu instid0(VALU_DEP_1) | instskip(NEXT) | instid1(VALU_DEP_1)
	v_cmp_ne_u32_e64 s1, 0x7f800000, v118
                                        ; implicit-def: $vgpr118
	s_and_saveexec_b32 s11, s1
	s_delay_alu instid0(SALU_CYCLE_1)
	s_xor_b32 s1, exec_lo, s11
; %bb.1336:                             ;   in Loop: Header=BB428_803 Depth=1
	v_bfe_u32 v118, v9, 16, 1
	s_delay_alu instid0(VALU_DEP_1)
	v_add3_u32 v118, v9, v118, 0x7fff
                                        ; implicit-def: $vgpr9
; %bb.1337:                             ;   in Loop: Header=BB428_803 Depth=1
	s_and_not1_saveexec_b32 s11, s1
; %bb.1338:                             ;   in Loop: Header=BB428_803 Depth=1
	v_and_b32_e32 v118, 0xffff, v9
	v_or_b32_e32 v119, 0x10000, v9
	s_delay_alu instid0(VALU_DEP_2) | instskip(NEXT) | instid1(VALU_DEP_1)
	v_cmp_eq_u32_e64 s1, 0, v118
	v_cndmask_b32_e64 v118, v119, v9, s1
; %bb.1339:                             ;   in Loop: Header=BB428_803 Depth=1
	s_or_b32 exec_lo, exec_lo, s11
	v_lshlrev_b32_e32 v7, 16, v7
                                        ; implicit-def: $vgpr119
	s_delay_alu instid0(VALU_DEP_1) | instskip(NEXT) | instid1(VALU_DEP_1)
	v_mul_f32_e32 v7, v71, v7
	v_and_b32_e32 v9, 0x7f800000, v7
	s_delay_alu instid0(VALU_DEP_1) | instskip(NEXT) | instid1(VALU_DEP_1)
	v_cmp_ne_u32_e64 s1, 0x7f800000, v9
	s_and_saveexec_b32 s11, s1
	s_delay_alu instid0(SALU_CYCLE_1)
	s_xor_b32 s1, exec_lo, s11
; %bb.1340:                             ;   in Loop: Header=BB428_803 Depth=1
	v_bfe_u32 v9, v7, 16, 1
	s_delay_alu instid0(VALU_DEP_1)
	v_add3_u32 v119, v7, v9, 0x7fff
                                        ; implicit-def: $vgpr7
; %bb.1341:                             ;   in Loop: Header=BB428_803 Depth=1
	s_and_not1_saveexec_b32 s11, s1
; %bb.1342:                             ;   in Loop: Header=BB428_803 Depth=1
	v_and_b32_e32 v9, 0xffff, v7
	v_or_b32_e32 v119, 0x10000, v7
	s_delay_alu instid0(VALU_DEP_2) | instskip(NEXT) | instid1(VALU_DEP_1)
	v_cmp_eq_u32_e64 s1, 0, v9
	v_cndmask_b32_e64 v119, v119, v7, s1
; %bb.1343:                             ;   in Loop: Header=BB428_803 Depth=1
	s_or_b32 exec_lo, exec_lo, s11
	v_lshlrev_b32_e32 v6, 16, v6
                                        ; implicit-def: $vgpr128
	s_delay_alu instid0(VALU_DEP_1) | instskip(NEXT) | instid1(VALU_DEP_1)
	v_mul_f32_e32 v6, v80, v6
	v_and_b32_e32 v7, 0x7f800000, v6
	s_delay_alu instid0(VALU_DEP_1) | instskip(NEXT) | instid1(VALU_DEP_1)
	v_cmp_ne_u32_e64 s1, 0x7f800000, v7
	s_and_saveexec_b32 s11, s1
	s_delay_alu instid0(SALU_CYCLE_1)
	s_xor_b32 s1, exec_lo, s11
; %bb.1344:                             ;   in Loop: Header=BB428_803 Depth=1
	v_bfe_u32 v7, v6, 16, 1
	s_delay_alu instid0(VALU_DEP_1)
	v_add3_u32 v128, v6, v7, 0x7fff
                                        ; implicit-def: $vgpr6
; %bb.1345:                             ;   in Loop: Header=BB428_803 Depth=1
	s_and_not1_saveexec_b32 s11, s1
; %bb.1346:                             ;   in Loop: Header=BB428_803 Depth=1
	v_and_b32_e32 v7, 0xffff, v6
	v_or_b32_e32 v9, 0x10000, v6
	s_delay_alu instid0(VALU_DEP_2) | instskip(NEXT) | instid1(VALU_DEP_1)
	v_cmp_eq_u32_e64 s1, 0, v7
	v_cndmask_b32_e64 v128, v9, v6, s1
; %bb.1347:                             ;   in Loop: Header=BB428_803 Depth=1
	s_or_b32 exec_lo, exec_lo, s11
	v_lshlrev_b32_e32 v3, 16, v3
                                        ; implicit-def: $vgpr129
	s_delay_alu instid0(VALU_DEP_1) | instskip(NEXT) | instid1(VALU_DEP_1)
	v_mul_f32_e32 v3, v81, v3
	v_and_b32_e32 v6, 0x7f800000, v3
	s_delay_alu instid0(VALU_DEP_1) | instskip(NEXT) | instid1(VALU_DEP_1)
	v_cmp_ne_u32_e64 s1, 0x7f800000, v6
	s_and_saveexec_b32 s11, s1
	s_delay_alu instid0(SALU_CYCLE_1)
	s_xor_b32 s1, exec_lo, s11
; %bb.1348:                             ;   in Loop: Header=BB428_803 Depth=1
	v_bfe_u32 v6, v3, 16, 1
	s_delay_alu instid0(VALU_DEP_1)
	v_add3_u32 v129, v3, v6, 0x7fff
                                        ; implicit-def: $vgpr3
; %bb.1349:                             ;   in Loop: Header=BB428_803 Depth=1
	s_and_not1_saveexec_b32 s11, s1
; %bb.1350:                             ;   in Loop: Header=BB428_803 Depth=1
	v_and_b32_e32 v6, 0xffff, v3
	v_or_b32_e32 v7, 0x10000, v3
	s_delay_alu instid0(VALU_DEP_2) | instskip(NEXT) | instid1(VALU_DEP_1)
	v_cmp_eq_u32_e64 s1, 0, v6
	v_cndmask_b32_e64 v129, v7, v3, s1
; %bb.1351:                             ;   in Loop: Header=BB428_803 Depth=1
	s_or_b32 exec_lo, exec_lo, s11
	v_lshlrev_b32_e32 v2, 16, v2
                                        ; implicit-def: $vgpr130
	s_delay_alu instid0(VALU_DEP_1) | instskip(NEXT) | instid1(VALU_DEP_1)
	v_mul_f32_e32 v2, v82, v2
	v_and_b32_e32 v3, 0x7f800000, v2
	s_delay_alu instid0(VALU_DEP_1) | instskip(NEXT) | instid1(VALU_DEP_1)
	v_cmp_ne_u32_e64 s1, 0x7f800000, v3
	s_and_saveexec_b32 s11, s1
	s_delay_alu instid0(SALU_CYCLE_1)
	s_xor_b32 s1, exec_lo, s11
; %bb.1352:                             ;   in Loop: Header=BB428_803 Depth=1
	v_bfe_u32 v3, v2, 16, 1
	s_delay_alu instid0(VALU_DEP_1)
	v_add3_u32 v130, v2, v3, 0x7fff
                                        ; implicit-def: $vgpr2
; %bb.1353:                             ;   in Loop: Header=BB428_803 Depth=1
	s_and_not1_saveexec_b32 s11, s1
; %bb.1354:                             ;   in Loop: Header=BB428_803 Depth=1
	v_and_b32_e32 v3, 0xffff, v2
	v_or_b32_e32 v6, 0x10000, v2
	s_delay_alu instid0(VALU_DEP_2) | instskip(NEXT) | instid1(VALU_DEP_1)
	v_cmp_eq_u32_e64 s1, 0, v3
	v_cndmask_b32_e64 v130, v6, v2, s1
; %bb.1355:                             ;   in Loop: Header=BB428_803 Depth=1
	s_or_b32 exec_lo, exec_lo, s11
	flat_load_b64 v[2:3], v[0:1] offset:1024
	s_mov_b32 s11, exec_lo
	s_waitcnt vmcnt(0) lgkmcnt(0)
	v_dual_mov_b32 v6, 0 :: v_dual_and_b32 v7, 0xff, v2
	s_delay_alu instid0(VALU_DEP_1)
	v_cmpx_ne_u16_e32 0, v7
	s_cbranch_execz .LBB428_1363
; %bb.1356:                             ;   in Loop: Header=BB428_803 Depth=1
	v_bfrev_b32_e32 v6, 1
	s_mov_b32 s12, exec_lo
	v_cmpx_ne_u16_e32 0x80, v7
	s_cbranch_execz .LBB428_1362
; %bb.1357:                             ;   in Loop: Header=BB428_803 Depth=1
	v_and_b32_e32 v7, 0x7f, v2
	v_mov_b32_e32 v6, 0x7f800001
	s_mov_b32 s13, exec_lo
	s_delay_alu instid0(VALU_DEP_2)
	v_cmpx_ne_u32_e32 0x7f, v7
	s_cbranch_execz .LBB428_1361
; %bb.1358:                             ;   in Loop: Header=BB428_803 Depth=1
	v_lshrrev_b32_e32 v9, 3, v7
	v_cmp_gt_u32_e64 s1, 8, v7
	v_dual_mov_b32 v7, v3 :: v_dual_mov_b32 v6, v2
	s_delay_alu instid0(VALU_DEP_2)
	s_and_saveexec_b32 s15, s1
; %bb.1359:                             ;   in Loop: Header=BB428_803 Depth=1
	v_and_b32_e32 v6, 7, v2
	s_delay_alu instid0(VALU_DEP_1) | instskip(NEXT) | instid1(VALU_DEP_1)
	v_clz_i32_u32_e32 v6, v6
	v_min_u32_e32 v9, 32, v6
	s_delay_alu instid0(VALU_DEP_1) | instskip(SKIP_1) | instid1(VALU_DEP_2)
	v_subrev_nc_u32_e32 v6, 28, v9
	v_sub_nc_u32_e32 v9, 29, v9
	v_lshlrev_b64 v[6:7], v6, v[2:3]
; %bb.1360:                             ;   in Loop: Header=BB428_803 Depth=1
	s_or_b32 exec_lo, exec_lo, s15
	s_delay_alu instid0(VALU_DEP_1) | instskip(SKIP_2) | instid1(VALU_DEP_3)
	v_lshlrev_b32_e32 v6, 20, v6
	v_lshlrev_b32_e32 v7, 24, v2
	v_lshl_add_u32 v9, v9, 23, 0x3c000000
	v_and_b32_e32 v6, 0x700000, v6
	s_delay_alu instid0(VALU_DEP_3) | instskip(NEXT) | instid1(VALU_DEP_1)
	v_and_b32_e32 v7, 0x80000000, v7
	v_or3_b32 v6, v6, v7, v9
.LBB428_1361:                           ;   in Loop: Header=BB428_803 Depth=1
	s_or_b32 exec_lo, exec_lo, s13
.LBB428_1362:                           ;   in Loop: Header=BB428_803 Depth=1
	s_delay_alu instid0(SALU_CYCLE_1)
	s_or_b32 exec_lo, exec_lo, s12
.LBB428_1363:                           ;   in Loop: Header=BB428_803 Depth=1
	s_delay_alu instid0(SALU_CYCLE_1) | instskip(NEXT) | instid1(VALU_DEP_1)
	s_or_b32 exec_lo, exec_lo, s11
	v_mul_f32_e32 v6, v26, v6
                                        ; implicit-def: $vgpr131
	s_delay_alu instid0(VALU_DEP_1) | instskip(NEXT) | instid1(VALU_DEP_1)
	v_and_b32_e32 v7, 0x7f800000, v6
	v_cmp_ne_u32_e64 s1, 0x7f800000, v7
	s_delay_alu instid0(VALU_DEP_1) | instskip(NEXT) | instid1(SALU_CYCLE_1)
	s_and_saveexec_b32 s11, s1
	s_xor_b32 s1, exec_lo, s11
; %bb.1364:                             ;   in Loop: Header=BB428_803 Depth=1
	v_bfe_u32 v7, v6, 16, 1
	s_delay_alu instid0(VALU_DEP_1)
	v_add3_u32 v131, v6, v7, 0x7fff
                                        ; implicit-def: $vgpr6
; %bb.1365:                             ;   in Loop: Header=BB428_803 Depth=1
	s_and_not1_saveexec_b32 s11, s1
; %bb.1366:                             ;   in Loop: Header=BB428_803 Depth=1
	v_and_b32_e32 v7, 0xffff, v6
	v_or_b32_e32 v9, 0x10000, v6
	s_delay_alu instid0(VALU_DEP_2) | instskip(NEXT) | instid1(VALU_DEP_1)
	v_cmp_eq_u32_e64 s1, 0, v7
	v_cndmask_b32_e64 v131, v9, v6, s1
; %bb.1367:                             ;   in Loop: Header=BB428_803 Depth=1
	s_or_b32 exec_lo, exec_lo, s11
	v_lshrrev_b16 v7, 8, v2
	v_mov_b32_e32 v6, 0
	s_mov_b32 s11, exec_lo
	s_delay_alu instid0(VALU_DEP_2)
	v_cmpx_ne_u16_e32 0, v7
	s_cbranch_execz .LBB428_1375
; %bb.1368:                             ;   in Loop: Header=BB428_803 Depth=1
	v_bfrev_b32_e32 v6, 1
	s_mov_b32 s12, exec_lo
	v_cmpx_ne_u16_e32 0x80, v7
	s_cbranch_execz .LBB428_1374
; %bb.1369:                             ;   in Loop: Header=BB428_803 Depth=1
	v_and_b32_e32 v9, 0xffff, v7
	v_mov_b32_e32 v6, 0x7f800001
	s_mov_b32 s13, exec_lo
	s_delay_alu instid0(VALU_DEP_2) | instskip(NEXT) | instid1(VALU_DEP_1)
	v_and_b32_e32 v7, 0x7f, v9
	v_cmpx_ne_u32_e32 0x7f, v7
	s_cbranch_execz .LBB428_1373
; %bb.1370:                             ;   in Loop: Header=BB428_803 Depth=1
	v_and_b32_e32 v9, 7, v9
	v_lshrrev_b32_e32 v6, 3, v7
	s_mov_b32 s15, exec_lo
	v_cmpx_gt_u32_e32 8, v7
; %bb.1371:                             ;   in Loop: Header=BB428_803 Depth=1
	s_delay_alu instid0(VALU_DEP_3) | instskip(NEXT) | instid1(VALU_DEP_1)
	v_clz_i32_u32_e32 v6, v9
	v_min_u32_e32 v6, 32, v6
	s_delay_alu instid0(VALU_DEP_1) | instskip(SKIP_1) | instid1(VALU_DEP_2)
	v_subrev_nc_u32_e32 v7, 28, v6
	v_sub_nc_u32_e32 v6, 29, v6
	v_lshlrev_b64 v[132:133], v7, v[9:10]
	s_delay_alu instid0(VALU_DEP_1)
	v_and_b32_e32 v9, 7, v132
; %bb.1372:                             ;   in Loop: Header=BB428_803 Depth=1
	s_or_b32 exec_lo, exec_lo, s15
	v_lshlrev_b32_e32 v7, 16, v2
	s_delay_alu instid0(VALU_DEP_2) | instskip(SKIP_1) | instid1(VALU_DEP_3)
	v_lshlrev_b32_e32 v9, 20, v9
	v_lshl_add_u32 v6, v6, 23, 0x3c000000
	v_and_b32_e32 v7, 0x80000000, v7
	s_delay_alu instid0(VALU_DEP_1)
	v_or3_b32 v6, v9, v7, v6
.LBB428_1373:                           ;   in Loop: Header=BB428_803 Depth=1
	s_or_b32 exec_lo, exec_lo, s13
.LBB428_1374:                           ;   in Loop: Header=BB428_803 Depth=1
	s_delay_alu instid0(SALU_CYCLE_1)
	s_or_b32 exec_lo, exec_lo, s12
.LBB428_1375:                           ;   in Loop: Header=BB428_803 Depth=1
	s_delay_alu instid0(SALU_CYCLE_1) | instskip(NEXT) | instid1(VALU_DEP_1)
	s_or_b32 exec_lo, exec_lo, s11
	v_mul_f32_e32 v6, v26, v6
                                        ; implicit-def: $vgpr132
	s_delay_alu instid0(VALU_DEP_1) | instskip(NEXT) | instid1(VALU_DEP_1)
	v_and_b32_e32 v7, 0x7f800000, v6
	v_cmp_ne_u32_e64 s1, 0x7f800000, v7
	s_delay_alu instid0(VALU_DEP_1) | instskip(NEXT) | instid1(SALU_CYCLE_1)
	s_and_saveexec_b32 s11, s1
	s_xor_b32 s1, exec_lo, s11
; %bb.1376:                             ;   in Loop: Header=BB428_803 Depth=1
	v_bfe_u32 v7, v6, 16, 1
	s_delay_alu instid0(VALU_DEP_1)
	v_add3_u32 v132, v6, v7, 0x7fff
                                        ; implicit-def: $vgpr6
; %bb.1377:                             ;   in Loop: Header=BB428_803 Depth=1
	s_and_not1_saveexec_b32 s11, s1
; %bb.1378:                             ;   in Loop: Header=BB428_803 Depth=1
	v_and_b32_e32 v7, 0xffff, v6
	v_or_b32_e32 v9, 0x10000, v6
	s_delay_alu instid0(VALU_DEP_2) | instskip(NEXT) | instid1(VALU_DEP_1)
	v_cmp_eq_u32_e64 s1, 0, v7
	v_cndmask_b32_e64 v132, v9, v6, s1
; %bb.1379:                             ;   in Loop: Header=BB428_803 Depth=1
	s_or_b32 exec_lo, exec_lo, s11
	v_lshrrev_b32_e32 v6, 16, v2
	v_mov_b32_e32 v7, 0
	s_mov_b32 s11, exec_lo
	s_delay_alu instid0(VALU_DEP_2) | instskip(NEXT) | instid1(VALU_DEP_1)
	v_and_b32_e32 v9, 0xff, v6
	v_cmpx_ne_u16_e32 0, v9
	s_cbranch_execz .LBB428_1387
; %bb.1380:                             ;   in Loop: Header=BB428_803 Depth=1
	v_bfrev_b32_e32 v7, 1
	s_mov_b32 s12, exec_lo
	v_cmpx_ne_u16_e32 0x80, v9
	s_cbranch_execz .LBB428_1386
; %bb.1381:                             ;   in Loop: Header=BB428_803 Depth=1
	v_bfe_u32 v133, v2, 16, 7
	v_mov_b32_e32 v7, 0x7f800001
	s_mov_b32 s13, exec_lo
	s_delay_alu instid0(VALU_DEP_2)
	v_cmpx_ne_u32_e32 0x7f, v133
	s_cbranch_execz .LBB428_1385
; %bb.1382:                             ;   in Loop: Header=BB428_803 Depth=1
	v_and_b32_e32 v9, 7, v6
	v_lshrrev_b32_e32 v7, 3, v133
	s_mov_b32 s15, exec_lo
	v_cmpx_gt_u32_e32 8, v133
; %bb.1383:                             ;   in Loop: Header=BB428_803 Depth=1
	s_delay_alu instid0(VALU_DEP_3) | instskip(NEXT) | instid1(VALU_DEP_1)
	v_clz_i32_u32_e32 v7, v9
	v_min_u32_e32 v7, 32, v7
	s_delay_alu instid0(VALU_DEP_1) | instskip(SKIP_1) | instid1(VALU_DEP_2)
	v_subrev_nc_u32_e32 v133, 28, v7
	v_sub_nc_u32_e32 v7, 29, v7
	v_lshlrev_b64 v[133:134], v133, v[9:10]
	s_delay_alu instid0(VALU_DEP_1)
	v_and_b32_e32 v9, 7, v133
; %bb.1384:                             ;   in Loop: Header=BB428_803 Depth=1
	s_or_b32 exec_lo, exec_lo, s15
	v_lshlrev_b32_e32 v6, 24, v6
	s_delay_alu instid0(VALU_DEP_2) | instskip(SKIP_1) | instid1(VALU_DEP_3)
	v_lshlrev_b32_e32 v9, 20, v9
	v_lshl_add_u32 v7, v7, 23, 0x3c000000
	v_and_b32_e32 v6, 0x80000000, v6
	s_delay_alu instid0(VALU_DEP_1)
	v_or3_b32 v7, v9, v6, v7
.LBB428_1385:                           ;   in Loop: Header=BB428_803 Depth=1
	s_or_b32 exec_lo, exec_lo, s13
.LBB428_1386:                           ;   in Loop: Header=BB428_803 Depth=1
	s_delay_alu instid0(SALU_CYCLE_1)
	s_or_b32 exec_lo, exec_lo, s12
.LBB428_1387:                           ;   in Loop: Header=BB428_803 Depth=1
	s_delay_alu instid0(SALU_CYCLE_1) | instskip(NEXT) | instid1(VALU_DEP_1)
	s_or_b32 exec_lo, exec_lo, s11
	v_mul_f32_e32 v6, v26, v7
                                        ; implicit-def: $vgpr133
	s_delay_alu instid0(VALU_DEP_1) | instskip(NEXT) | instid1(VALU_DEP_1)
	v_and_b32_e32 v7, 0x7f800000, v6
	v_cmp_ne_u32_e64 s1, 0x7f800000, v7
	s_delay_alu instid0(VALU_DEP_1) | instskip(NEXT) | instid1(SALU_CYCLE_1)
	s_and_saveexec_b32 s11, s1
	s_xor_b32 s1, exec_lo, s11
; %bb.1388:                             ;   in Loop: Header=BB428_803 Depth=1
	v_bfe_u32 v7, v6, 16, 1
	s_delay_alu instid0(VALU_DEP_1)
	v_add3_u32 v133, v6, v7, 0x7fff
                                        ; implicit-def: $vgpr6
; %bb.1389:                             ;   in Loop: Header=BB428_803 Depth=1
	s_and_not1_saveexec_b32 s11, s1
; %bb.1390:                             ;   in Loop: Header=BB428_803 Depth=1
	v_and_b32_e32 v7, 0xffff, v6
	v_or_b32_e32 v9, 0x10000, v6
	s_delay_alu instid0(VALU_DEP_2) | instskip(NEXT) | instid1(VALU_DEP_1)
	v_cmp_eq_u32_e64 s1, 0, v7
	v_cndmask_b32_e64 v133, v9, v6, s1
; %bb.1391:                             ;   in Loop: Header=BB428_803 Depth=1
	s_or_b32 exec_lo, exec_lo, s11
	v_mov_b32_e32 v7, 0
	s_mov_b32 s11, exec_lo
	v_cmpx_lt_u32_e32 0xffffff, v2
	s_cbranch_execz .LBB428_1399
; %bb.1392:                             ;   in Loop: Header=BB428_803 Depth=1
	v_lshrrev_b32_e32 v6, 24, v2
	v_bfrev_b32_e32 v7, 1
	s_mov_b32 s12, exec_lo
	s_delay_alu instid0(VALU_DEP_2)
	v_cmpx_ne_u32_e32 0x80, v6
	s_cbranch_execz .LBB428_1398
; %bb.1393:                             ;   in Loop: Header=BB428_803 Depth=1
	v_bfe_u32 v134, v2, 24, 7
	v_mov_b32_e32 v7, 0x7f800001
	s_mov_b32 s13, exec_lo
	s_delay_alu instid0(VALU_DEP_2)
	v_cmpx_ne_u32_e32 0x7f, v134
	s_cbranch_execz .LBB428_1397
; %bb.1394:                             ;   in Loop: Header=BB428_803 Depth=1
	v_and_b32_e32 v9, 7, v6
	v_lshrrev_b32_e32 v7, 3, v134
	s_mov_b32 s15, exec_lo
	v_cmpx_gt_u32_e32 8, v134
; %bb.1395:                             ;   in Loop: Header=BB428_803 Depth=1
	s_delay_alu instid0(VALU_DEP_3) | instskip(NEXT) | instid1(VALU_DEP_1)
	v_clz_i32_u32_e32 v7, v9
	v_min_u32_e32 v7, 32, v7
	s_delay_alu instid0(VALU_DEP_1) | instskip(SKIP_1) | instid1(VALU_DEP_2)
	v_subrev_nc_u32_e32 v134, 28, v7
	v_sub_nc_u32_e32 v7, 29, v7
	v_lshlrev_b64 v[134:135], v134, v[9:10]
	s_delay_alu instid0(VALU_DEP_1)
	v_and_b32_e32 v9, 7, v134
; %bb.1396:                             ;   in Loop: Header=BB428_803 Depth=1
	s_or_b32 exec_lo, exec_lo, s15
	v_lshlrev_b32_e32 v6, 24, v6
	s_delay_alu instid0(VALU_DEP_2) | instskip(SKIP_1) | instid1(VALU_DEP_3)
	v_lshlrev_b32_e32 v9, 20, v9
	v_lshl_add_u32 v7, v7, 23, 0x3c000000
	v_and_b32_e32 v6, 0x80000000, v6
	s_delay_alu instid0(VALU_DEP_1)
	v_or3_b32 v7, v9, v6, v7
.LBB428_1397:                           ;   in Loop: Header=BB428_803 Depth=1
	s_or_b32 exec_lo, exec_lo, s13
.LBB428_1398:                           ;   in Loop: Header=BB428_803 Depth=1
	s_delay_alu instid0(SALU_CYCLE_1)
	s_or_b32 exec_lo, exec_lo, s12
.LBB428_1399:                           ;   in Loop: Header=BB428_803 Depth=1
	s_delay_alu instid0(SALU_CYCLE_1) | instskip(NEXT) | instid1(VALU_DEP_1)
	s_or_b32 exec_lo, exec_lo, s11
	v_mul_f32_e32 v6, v26, v7
                                        ; implicit-def: $vgpr134
	s_delay_alu instid0(VALU_DEP_1) | instskip(NEXT) | instid1(VALU_DEP_1)
	v_and_b32_e32 v7, 0x7f800000, v6
	v_cmp_ne_u32_e64 s1, 0x7f800000, v7
	s_delay_alu instid0(VALU_DEP_1) | instskip(NEXT) | instid1(SALU_CYCLE_1)
	s_and_saveexec_b32 s11, s1
	s_xor_b32 s1, exec_lo, s11
; %bb.1400:                             ;   in Loop: Header=BB428_803 Depth=1
	v_bfe_u32 v7, v6, 16, 1
	s_delay_alu instid0(VALU_DEP_1)
	v_add3_u32 v134, v6, v7, 0x7fff
                                        ; implicit-def: $vgpr6
; %bb.1401:                             ;   in Loop: Header=BB428_803 Depth=1
	s_and_not1_saveexec_b32 s11, s1
; %bb.1402:                             ;   in Loop: Header=BB428_803 Depth=1
	v_and_b32_e32 v7, 0xffff, v6
	v_or_b32_e32 v9, 0x10000, v6
	s_delay_alu instid0(VALU_DEP_2) | instskip(NEXT) | instid1(VALU_DEP_1)
	v_cmp_eq_u32_e64 s1, 0, v7
	v_cndmask_b32_e64 v134, v9, v6, s1
; %bb.1403:                             ;   in Loop: Header=BB428_803 Depth=1
	s_or_b32 exec_lo, exec_lo, s11
	v_dual_mov_b32 v6, 0 :: v_dual_and_b32 v7, 0xff, v3
	v_mov_b32_e32 v9, v3
	s_mov_b32 s11, exec_lo
	s_delay_alu instid0(VALU_DEP_2)
	v_cmpx_ne_u16_e32 0, v7
	s_cbranch_execz .LBB428_1411
; %bb.1404:                             ;   in Loop: Header=BB428_803 Depth=1
	v_bfrev_b32_e32 v6, 1
	s_mov_b32 s12, exec_lo
	v_cmpx_ne_u16_e32 0x80, v7
	s_cbranch_execz .LBB428_1410
; %bb.1405:                             ;   in Loop: Header=BB428_803 Depth=1
	v_and_b32_e32 v7, 0x7f, v3
	v_mov_b32_e32 v6, 0x7f800001
	s_mov_b32 s13, exec_lo
	s_delay_alu instid0(VALU_DEP_2)
	v_cmpx_ne_u32_e32 0x7f, v7
	s_cbranch_execz .LBB428_1409
; %bb.1406:                             ;   in Loop: Header=BB428_803 Depth=1
	v_lshrrev_b32_e32 v135, 3, v7
	v_cmp_gt_u32_e64 s1, 8, v7
	v_dual_mov_b32 v6, v9 :: v_dual_mov_b32 v7, v10
	s_delay_alu instid0(VALU_DEP_2)
	s_and_saveexec_b32 s15, s1
; %bb.1407:                             ;   in Loop: Header=BB428_803 Depth=1
	v_and_b32_e32 v6, 7, v3
	s_delay_alu instid0(VALU_DEP_1) | instskip(NEXT) | instid1(VALU_DEP_1)
	v_clz_i32_u32_e32 v6, v6
	v_min_u32_e32 v135, 32, v6
	s_delay_alu instid0(VALU_DEP_1) | instskip(SKIP_1) | instid1(VALU_DEP_2)
	v_subrev_nc_u32_e32 v6, 28, v135
	v_sub_nc_u32_e32 v135, 29, v135
	v_lshlrev_b64 v[6:7], v6, v[9:10]
; %bb.1408:                             ;   in Loop: Header=BB428_803 Depth=1
	s_or_b32 exec_lo, exec_lo, s15
	s_delay_alu instid0(VALU_DEP_1) | instskip(SKIP_2) | instid1(VALU_DEP_3)
	v_lshlrev_b32_e32 v6, 20, v6
	v_lshlrev_b32_e32 v7, 24, v9
	v_lshl_add_u32 v135, v135, 23, 0x3c000000
	v_and_b32_e32 v6, 0x700000, v6
	s_delay_alu instid0(VALU_DEP_3) | instskip(NEXT) | instid1(VALU_DEP_1)
	v_and_b32_e32 v7, 0x80000000, v7
	v_or3_b32 v6, v6, v7, v135
.LBB428_1409:                           ;   in Loop: Header=BB428_803 Depth=1
	s_or_b32 exec_lo, exec_lo, s13
.LBB428_1410:                           ;   in Loop: Header=BB428_803 Depth=1
	s_delay_alu instid0(SALU_CYCLE_1)
	s_or_b32 exec_lo, exec_lo, s12
.LBB428_1411:                           ;   in Loop: Header=BB428_803 Depth=1
	s_delay_alu instid0(SALU_CYCLE_1) | instskip(NEXT) | instid1(VALU_DEP_1)
	s_or_b32 exec_lo, exec_lo, s11
	v_mul_f32_e32 v6, v26, v6
                                        ; implicit-def: $vgpr135
	s_delay_alu instid0(VALU_DEP_1) | instskip(NEXT) | instid1(VALU_DEP_1)
	v_and_b32_e32 v7, 0x7f800000, v6
	v_cmp_ne_u32_e64 s1, 0x7f800000, v7
	s_delay_alu instid0(VALU_DEP_1) | instskip(NEXT) | instid1(SALU_CYCLE_1)
	s_and_saveexec_b32 s11, s1
	s_xor_b32 s1, exec_lo, s11
; %bb.1412:                             ;   in Loop: Header=BB428_803 Depth=1
	v_bfe_u32 v7, v6, 16, 1
	s_delay_alu instid0(VALU_DEP_1)
	v_add3_u32 v135, v6, v7, 0x7fff
                                        ; implicit-def: $vgpr6
; %bb.1413:                             ;   in Loop: Header=BB428_803 Depth=1
	s_and_not1_saveexec_b32 s11, s1
; %bb.1414:                             ;   in Loop: Header=BB428_803 Depth=1
	v_and_b32_e32 v7, 0xffff, v6
	v_or_b32_e32 v135, 0x10000, v6
	s_delay_alu instid0(VALU_DEP_2) | instskip(NEXT) | instid1(VALU_DEP_1)
	v_cmp_eq_u32_e64 s1, 0, v7
	v_cndmask_b32_e64 v135, v135, v6, s1
; %bb.1415:                             ;   in Loop: Header=BB428_803 Depth=1
	s_or_b32 exec_lo, exec_lo, s11
	v_lshrrev_b16 v7, 8, v9
	v_mov_b32_e32 v6, 0
	s_mov_b32 s11, exec_lo
	s_delay_alu instid0(VALU_DEP_2)
	v_cmpx_ne_u16_e32 0, v7
	s_cbranch_execz .LBB428_1423
; %bb.1416:                             ;   in Loop: Header=BB428_803 Depth=1
	v_bfrev_b32_e32 v6, 1
	s_mov_b32 s12, exec_lo
	v_cmpx_ne_u16_e32 0x80, v7
	s_cbranch_execz .LBB428_1422
; %bb.1417:                             ;   in Loop: Header=BB428_803 Depth=1
	v_and_b32_e32 v7, 0xffff, v7
	v_mov_b32_e32 v6, 0x7f800001
	s_mov_b32 s13, exec_lo
	s_delay_alu instid0(VALU_DEP_2) | instskip(NEXT) | instid1(VALU_DEP_1)
	v_and_b32_e32 v145, 0x7f, v7
	v_cmpx_ne_u32_e32 0x7f, v145
	s_cbranch_execz .LBB428_1421
; %bb.1418:                             ;   in Loop: Header=BB428_803 Depth=1
	v_dual_mov_b32 v7, v10 :: v_dual_and_b32 v6, 7, v7
	v_lshrrev_b32_e32 v144, 3, v145
	s_mov_b32 s15, exec_lo
	v_cmpx_gt_u32_e32 8, v145
; %bb.1419:                             ;   in Loop: Header=BB428_803 Depth=1
	s_delay_alu instid0(VALU_DEP_3) | instskip(NEXT) | instid1(VALU_DEP_1)
	v_clz_i32_u32_e32 v144, v6
	v_min_u32_e32 v144, 32, v144
	s_delay_alu instid0(VALU_DEP_1) | instskip(SKIP_1) | instid1(VALU_DEP_2)
	v_subrev_nc_u32_e32 v145, 28, v144
	v_sub_nc_u32_e32 v144, 29, v144
	v_lshlrev_b64 v[6:7], v145, v[6:7]
	s_delay_alu instid0(VALU_DEP_1)
	v_and_b32_e32 v6, 7, v6
; %bb.1420:                             ;   in Loop: Header=BB428_803 Depth=1
	s_or_b32 exec_lo, exec_lo, s15
	v_lshlrev_b32_e32 v7, 16, v9
	s_delay_alu instid0(VALU_DEP_2) | instskip(SKIP_1) | instid1(VALU_DEP_3)
	v_lshlrev_b32_e32 v6, 20, v6
	v_lshl_add_u32 v9, v144, 23, 0x3c000000
	v_and_b32_e32 v7, 0x80000000, v7
	s_delay_alu instid0(VALU_DEP_1)
	v_or3_b32 v6, v6, v7, v9
.LBB428_1421:                           ;   in Loop: Header=BB428_803 Depth=1
	s_or_b32 exec_lo, exec_lo, s13
.LBB428_1422:                           ;   in Loop: Header=BB428_803 Depth=1
	s_delay_alu instid0(SALU_CYCLE_1)
	s_or_b32 exec_lo, exec_lo, s12
.LBB428_1423:                           ;   in Loop: Header=BB428_803 Depth=1
	s_delay_alu instid0(SALU_CYCLE_1) | instskip(NEXT) | instid1(VALU_DEP_1)
	s_or_b32 exec_lo, exec_lo, s11
	v_mul_f32_e32 v7, v26, v6
	s_delay_alu instid0(VALU_DEP_1) | instskip(NEXT) | instid1(VALU_DEP_1)
	v_and_b32_e32 v6, 0x7f800000, v7
	v_cmp_ne_u32_e64 s1, 0x7f800000, v6
                                        ; implicit-def: $vgpr6
	s_delay_alu instid0(VALU_DEP_1) | instskip(NEXT) | instid1(SALU_CYCLE_1)
	s_and_saveexec_b32 s11, s1
	s_xor_b32 s1, exec_lo, s11
; %bb.1424:                             ;   in Loop: Header=BB428_803 Depth=1
	v_bfe_u32 v6, v7, 16, 1
	s_delay_alu instid0(VALU_DEP_1)
	v_add3_u32 v6, v7, v6, 0x7fff
                                        ; implicit-def: $vgpr7
; %bb.1425:                             ;   in Loop: Header=BB428_803 Depth=1
	s_and_not1_saveexec_b32 s11, s1
; %bb.1426:                             ;   in Loop: Header=BB428_803 Depth=1
	v_and_b32_e32 v6, 0xffff, v7
	v_or_b32_e32 v9, 0x10000, v7
	s_delay_alu instid0(VALU_DEP_2) | instskip(NEXT) | instid1(VALU_DEP_1)
	v_cmp_eq_u32_e64 s1, 0, v6
	v_cndmask_b32_e64 v6, v9, v7, s1
; %bb.1427:                             ;   in Loop: Header=BB428_803 Depth=1
	s_or_b32 exec_lo, exec_lo, s11
	v_lshrrev_b32_e32 v7, 16, v3
	s_mov_b32 s11, exec_lo
	s_delay_alu instid0(VALU_DEP_1) | instskip(NEXT) | instid1(VALU_DEP_1)
	v_dual_mov_b32 v9, 0 :: v_dual_and_b32 v144, 0xff, v7
	v_cmpx_ne_u16_e64 0, v144
	s_cbranch_execz .LBB428_1435
; %bb.1428:                             ;   in Loop: Header=BB428_803 Depth=1
	v_bfrev_b32_e32 v9, 1
	s_mov_b32 s12, exec_lo
	v_cmpx_ne_u16_e64 0x80, v144
	s_cbranch_execz .LBB428_1434
; %bb.1429:                             ;   in Loop: Header=BB428_803 Depth=1
	v_bfe_u32 v145, v3, 16, 7
	v_mov_b32_e32 v9, 0x7f800001
	s_mov_b32 s13, exec_lo
	s_delay_alu instid0(VALU_DEP_2)
	v_cmpx_ne_u32_e32 0x7f, v145
	s_cbranch_execz .LBB428_1433
; %bb.1430:                             ;   in Loop: Header=BB428_803 Depth=1
	v_and_b32_e32 v9, 7, v7
	v_lshrrev_b32_e32 v144, 3, v145
	s_mov_b32 s15, exec_lo
	v_cmpx_gt_u32_e32 8, v145
; %bb.1431:                             ;   in Loop: Header=BB428_803 Depth=1
	s_delay_alu instid0(VALU_DEP_3) | instskip(NEXT) | instid1(VALU_DEP_1)
	v_clz_i32_u32_e32 v144, v9
	v_min_u32_e32 v144, 32, v144
	s_delay_alu instid0(VALU_DEP_1) | instskip(SKIP_1) | instid1(VALU_DEP_2)
	v_subrev_nc_u32_e32 v145, 28, v144
	v_sub_nc_u32_e32 v144, 29, v144
	v_lshlrev_b64 v[145:146], v145, v[9:10]
	s_delay_alu instid0(VALU_DEP_1)
	v_and_b32_e32 v9, 7, v145
; %bb.1432:                             ;   in Loop: Header=BB428_803 Depth=1
	s_or_b32 exec_lo, exec_lo, s15
	v_lshlrev_b32_e32 v7, 24, v7
	s_delay_alu instid0(VALU_DEP_2) | instskip(SKIP_1) | instid1(VALU_DEP_3)
	v_lshlrev_b32_e32 v9, 20, v9
	v_lshl_add_u32 v144, v144, 23, 0x3c000000
	v_and_b32_e32 v7, 0x80000000, v7
	s_delay_alu instid0(VALU_DEP_1)
	v_or3_b32 v9, v9, v7, v144
.LBB428_1433:                           ;   in Loop: Header=BB428_803 Depth=1
	s_or_b32 exec_lo, exec_lo, s13
.LBB428_1434:                           ;   in Loop: Header=BB428_803 Depth=1
	s_delay_alu instid0(SALU_CYCLE_1)
	s_or_b32 exec_lo, exec_lo, s12
.LBB428_1435:                           ;   in Loop: Header=BB428_803 Depth=1
	s_delay_alu instid0(SALU_CYCLE_1) | instskip(NEXT) | instid1(VALU_DEP_1)
	s_or_b32 exec_lo, exec_lo, s11
	v_mul_f32_e32 v7, v26, v9
                                        ; implicit-def: $vgpr144
	s_delay_alu instid0(VALU_DEP_1) | instskip(NEXT) | instid1(VALU_DEP_1)
	v_and_b32_e32 v9, 0x7f800000, v7
	v_cmp_ne_u32_e64 s1, 0x7f800000, v9
	s_delay_alu instid0(VALU_DEP_1) | instskip(NEXT) | instid1(SALU_CYCLE_1)
	s_and_saveexec_b32 s11, s1
	s_xor_b32 s1, exec_lo, s11
; %bb.1436:                             ;   in Loop: Header=BB428_803 Depth=1
	v_bfe_u32 v9, v7, 16, 1
	s_delay_alu instid0(VALU_DEP_1)
	v_add3_u32 v144, v7, v9, 0x7fff
                                        ; implicit-def: $vgpr7
; %bb.1437:                             ;   in Loop: Header=BB428_803 Depth=1
	s_and_not1_saveexec_b32 s11, s1
; %bb.1438:                             ;   in Loop: Header=BB428_803 Depth=1
	v_and_b32_e32 v9, 0xffff, v7
	v_or_b32_e32 v144, 0x10000, v7
	s_delay_alu instid0(VALU_DEP_2) | instskip(NEXT) | instid1(VALU_DEP_1)
	v_cmp_eq_u32_e64 s1, 0, v9
	v_cndmask_b32_e64 v144, v144, v7, s1
; %bb.1439:                             ;   in Loop: Header=BB428_803 Depth=1
	s_or_b32 exec_lo, exec_lo, s11
	v_mov_b32_e32 v7, 0
	s_mov_b32 s11, exec_lo
	v_cmpx_lt_u64_e64 s[2:3], v[2:3]
	s_cbranch_execz .LBB428_1447
; %bb.1440:                             ;   in Loop: Header=BB428_803 Depth=1
	v_lshrrev_b32_e32 v2, 24, v3
	v_bfrev_b32_e32 v7, 1
	s_mov_b32 s12, exec_lo
	s_delay_alu instid0(VALU_DEP_2)
	v_cmpx_ne_u32_e32 0x80, v2
	s_cbranch_execz .LBB428_1446
; %bb.1441:                             ;   in Loop: Header=BB428_803 Depth=1
	v_bfe_u32 v145, v3, 24, 7
	v_mov_b32_e32 v7, 0x7f800001
	s_mov_b32 s13, exec_lo
	s_delay_alu instid0(VALU_DEP_2)
	v_cmpx_ne_u32_e32 0x7f, v145
	s_cbranch_execz .LBB428_1445
; %bb.1442:                             ;   in Loop: Header=BB428_803 Depth=1
	v_and_b32_e32 v9, 7, v2
	v_lshrrev_b32_e32 v3, 3, v145
	s_mov_b32 s15, exec_lo
	v_cmpx_gt_u32_e32 8, v145
; %bb.1443:                             ;   in Loop: Header=BB428_803 Depth=1
	s_delay_alu instid0(VALU_DEP_3) | instskip(NEXT) | instid1(VALU_DEP_1)
	v_clz_i32_u32_e32 v3, v9
	v_min_u32_e32 v3, 32, v3
	s_delay_alu instid0(VALU_DEP_1) | instskip(SKIP_1) | instid1(VALU_DEP_2)
	v_subrev_nc_u32_e32 v7, 28, v3
	v_sub_nc_u32_e32 v3, 29, v3
	v_lshlrev_b64 v[145:146], v7, v[9:10]
	s_delay_alu instid0(VALU_DEP_1)
	v_and_b32_e32 v9, 7, v145
; %bb.1444:                             ;   in Loop: Header=BB428_803 Depth=1
	s_or_b32 exec_lo, exec_lo, s15
	v_lshlrev_b32_e32 v2, 24, v2
	s_delay_alu instid0(VALU_DEP_2) | instskip(SKIP_1) | instid1(VALU_DEP_3)
	v_lshlrev_b32_e32 v7, 20, v9
	v_lshl_add_u32 v3, v3, 23, 0x3c000000
	v_and_b32_e32 v2, 0x80000000, v2
	s_delay_alu instid0(VALU_DEP_1)
	v_or3_b32 v7, v7, v2, v3
.LBB428_1445:                           ;   in Loop: Header=BB428_803 Depth=1
	s_or_b32 exec_lo, exec_lo, s13
.LBB428_1446:                           ;   in Loop: Header=BB428_803 Depth=1
	s_delay_alu instid0(SALU_CYCLE_1)
	s_or_b32 exec_lo, exec_lo, s12
.LBB428_1447:                           ;   in Loop: Header=BB428_803 Depth=1
	s_delay_alu instid0(SALU_CYCLE_1) | instskip(NEXT) | instid1(VALU_DEP_1)
	s_or_b32 exec_lo, exec_lo, s11
	v_mul_f32_e32 v3, v26, v7
	s_delay_alu instid0(VALU_DEP_1) | instskip(NEXT) | instid1(VALU_DEP_1)
	v_and_b32_e32 v2, 0x7f800000, v3
	v_cmp_ne_u32_e64 s1, 0x7f800000, v2
                                        ; implicit-def: $vgpr2
	s_delay_alu instid0(VALU_DEP_1) | instskip(NEXT) | instid1(SALU_CYCLE_1)
	s_and_saveexec_b32 s11, s1
	s_xor_b32 s1, exec_lo, s11
; %bb.1448:                             ;   in Loop: Header=BB428_803 Depth=1
	v_bfe_u32 v2, v3, 16, 1
	s_delay_alu instid0(VALU_DEP_1)
	v_add3_u32 v2, v3, v2, 0x7fff
                                        ; implicit-def: $vgpr3
; %bb.1449:                             ;   in Loop: Header=BB428_803 Depth=1
	s_and_not1_saveexec_b32 s11, s1
; %bb.1450:                             ;   in Loop: Header=BB428_803 Depth=1
	v_and_b32_e32 v2, 0xffff, v3
	v_or_b32_e32 v7, 0x10000, v3
	s_delay_alu instid0(VALU_DEP_2) | instskip(NEXT) | instid1(VALU_DEP_1)
	v_cmp_eq_u32_e64 s1, 0, v2
	v_cndmask_b32_e64 v2, v7, v3, s1
; %bb.1451:                             ;   in Loop: Header=BB428_803 Depth=1
	s_or_b32 exec_lo, exec_lo, s11
	v_lshrrev_b32_e32 v6, 16, v6
	v_lshrrev_b32_e32 v7, 16, v135
	;; [unrolled: 1-line block ×8, first 2 shown]
	s_and_saveexec_b32 s11, vcc_lo
	s_cbranch_execz .LBB428_1453
; %bb.1452:                             ;   in Loop: Header=BB428_803 Depth=1
	v_cmp_lt_i32_e64 s1, v52, v33
	s_delay_alu instid0(VALU_DEP_1) | instskip(SKIP_1) | instid1(VALU_DEP_1)
	v_cndmask_b32_e64 v131, 0, v131, s1
	v_cmp_lt_i32_e64 s1, v66, v33
	v_cndmask_b32_e64 v132, 0, v132, s1
	v_cmp_lt_i32_e64 s1, v65, v33
	s_delay_alu instid0(VALU_DEP_1) | instskip(SKIP_1) | instid1(VALU_DEP_1)
	v_cndmask_b32_e64 v133, 0, v133, s1
	v_cmp_lt_i32_e64 s1, v64, v33
	v_cndmask_b32_e64 v9, 0, v9, s1
	;; [unrolled: 5-line block ×4, first 2 shown]
.LBB428_1453:                           ;   in Loop: Header=BB428_803 Depth=1
	s_or_b32 exec_lo, exec_lo, s11
	v_lshlrev_b32_e32 v131, 16, v131
	s_delay_alu instid0(VALU_DEP_1) | instskip(NEXT) | instid1(VALU_DEP_1)
	v_mul_f32_e32 v134, v67, v131
	v_and_b32_e32 v131, 0x7f800000, v134
	s_delay_alu instid0(VALU_DEP_1) | instskip(NEXT) | instid1(VALU_DEP_1)
	v_cmp_ne_u32_e64 s1, 0x7f800000, v131
                                        ; implicit-def: $vgpr131
	s_and_saveexec_b32 s11, s1
	s_delay_alu instid0(SALU_CYCLE_1)
	s_xor_b32 s1, exec_lo, s11
; %bb.1454:                             ;   in Loop: Header=BB428_803 Depth=1
	v_bfe_u32 v131, v134, 16, 1
	s_delay_alu instid0(VALU_DEP_1)
	v_add3_u32 v131, v134, v131, 0x7fff
                                        ; implicit-def: $vgpr134
; %bb.1455:                             ;   in Loop: Header=BB428_803 Depth=1
	s_and_not1_saveexec_b32 s11, s1
; %bb.1456:                             ;   in Loop: Header=BB428_803 Depth=1
	v_and_b32_e32 v131, 0xffff, v134
	v_or_b32_e32 v135, 0x10000, v134
	s_delay_alu instid0(VALU_DEP_2) | instskip(NEXT) | instid1(VALU_DEP_1)
	v_cmp_eq_u32_e64 s1, 0, v131
	v_cndmask_b32_e64 v131, v135, v134, s1
; %bb.1457:                             ;   in Loop: Header=BB428_803 Depth=1
	s_or_b32 exec_lo, exec_lo, s11
	v_lshlrev_b32_e32 v132, 16, v132
	s_delay_alu instid0(VALU_DEP_1) | instskip(NEXT) | instid1(VALU_DEP_1)
	v_mul_f32_e32 v134, v68, v132
	v_and_b32_e32 v132, 0x7f800000, v134
	s_delay_alu instid0(VALU_DEP_1) | instskip(NEXT) | instid1(VALU_DEP_1)
	v_cmp_ne_u32_e64 s1, 0x7f800000, v132
                                        ; implicit-def: $vgpr132
	s_and_saveexec_b32 s11, s1
	s_delay_alu instid0(SALU_CYCLE_1)
	s_xor_b32 s1, exec_lo, s11
; %bb.1458:                             ;   in Loop: Header=BB428_803 Depth=1
	v_bfe_u32 v132, v134, 16, 1
	s_delay_alu instid0(VALU_DEP_1)
	v_add3_u32 v132, v134, v132, 0x7fff
                                        ; implicit-def: $vgpr134
; %bb.1459:                             ;   in Loop: Header=BB428_803 Depth=1
	s_and_not1_saveexec_b32 s11, s1
; %bb.1460:                             ;   in Loop: Header=BB428_803 Depth=1
	v_and_b32_e32 v132, 0xffff, v134
	v_or_b32_e32 v135, 0x10000, v134
	s_delay_alu instid0(VALU_DEP_2) | instskip(NEXT) | instid1(VALU_DEP_1)
	v_cmp_eq_u32_e64 s1, 0, v132
	v_cndmask_b32_e64 v132, v135, v134, s1
; %bb.1461:                             ;   in Loop: Header=BB428_803 Depth=1
	s_or_b32 exec_lo, exec_lo, s11
	v_lshlrev_b32_e32 v133, 16, v133
	s_delay_alu instid0(VALU_DEP_1) | instskip(NEXT) | instid1(VALU_DEP_1)
	v_mul_f32_e32 v134, v69, v133
	v_and_b32_e32 v133, 0x7f800000, v134
	s_delay_alu instid0(VALU_DEP_1) | instskip(NEXT) | instid1(VALU_DEP_1)
	v_cmp_ne_u32_e64 s1, 0x7f800000, v133
                                        ; implicit-def: $vgpr133
	s_and_saveexec_b32 s11, s1
	s_delay_alu instid0(SALU_CYCLE_1)
	s_xor_b32 s1, exec_lo, s11
; %bb.1462:                             ;   in Loop: Header=BB428_803 Depth=1
	v_bfe_u32 v133, v134, 16, 1
	s_delay_alu instid0(VALU_DEP_1)
	v_add3_u32 v133, v134, v133, 0x7fff
                                        ; implicit-def: $vgpr134
; %bb.1463:                             ;   in Loop: Header=BB428_803 Depth=1
	s_and_not1_saveexec_b32 s11, s1
; %bb.1464:                             ;   in Loop: Header=BB428_803 Depth=1
	v_and_b32_e32 v133, 0xffff, v134
	v_or_b32_e32 v135, 0x10000, v134
	s_delay_alu instid0(VALU_DEP_2) | instskip(NEXT) | instid1(VALU_DEP_1)
	v_cmp_eq_u32_e64 s1, 0, v133
	v_cndmask_b32_e64 v133, v135, v134, s1
; %bb.1465:                             ;   in Loop: Header=BB428_803 Depth=1
	s_or_b32 exec_lo, exec_lo, s11
	v_lshlrev_b32_e32 v9, 16, v9
	s_delay_alu instid0(VALU_DEP_1) | instskip(NEXT) | instid1(VALU_DEP_1)
	v_mul_f32_e32 v9, v70, v9
	v_and_b32_e32 v134, 0x7f800000, v9
	s_delay_alu instid0(VALU_DEP_1) | instskip(NEXT) | instid1(VALU_DEP_1)
	v_cmp_ne_u32_e64 s1, 0x7f800000, v134
                                        ; implicit-def: $vgpr134
	s_and_saveexec_b32 s11, s1
	s_delay_alu instid0(SALU_CYCLE_1)
	s_xor_b32 s1, exec_lo, s11
; %bb.1466:                             ;   in Loop: Header=BB428_803 Depth=1
	v_bfe_u32 v134, v9, 16, 1
	s_delay_alu instid0(VALU_DEP_1)
	v_add3_u32 v134, v9, v134, 0x7fff
                                        ; implicit-def: $vgpr9
; %bb.1467:                             ;   in Loop: Header=BB428_803 Depth=1
	s_and_not1_saveexec_b32 s11, s1
; %bb.1468:                             ;   in Loop: Header=BB428_803 Depth=1
	v_and_b32_e32 v134, 0xffff, v9
	v_or_b32_e32 v135, 0x10000, v9
	s_delay_alu instid0(VALU_DEP_2) | instskip(NEXT) | instid1(VALU_DEP_1)
	v_cmp_eq_u32_e64 s1, 0, v134
	v_cndmask_b32_e64 v134, v135, v9, s1
; %bb.1469:                             ;   in Loop: Header=BB428_803 Depth=1
	s_or_b32 exec_lo, exec_lo, s11
	v_lshlrev_b32_e32 v7, 16, v7
                                        ; implicit-def: $vgpr135
	s_delay_alu instid0(VALU_DEP_1) | instskip(NEXT) | instid1(VALU_DEP_1)
	v_mul_f32_e32 v7, v71, v7
	v_and_b32_e32 v9, 0x7f800000, v7
	s_delay_alu instid0(VALU_DEP_1) | instskip(NEXT) | instid1(VALU_DEP_1)
	v_cmp_ne_u32_e64 s1, 0x7f800000, v9
	s_and_saveexec_b32 s11, s1
	s_delay_alu instid0(SALU_CYCLE_1)
	s_xor_b32 s1, exec_lo, s11
; %bb.1470:                             ;   in Loop: Header=BB428_803 Depth=1
	v_bfe_u32 v9, v7, 16, 1
	s_delay_alu instid0(VALU_DEP_1)
	v_add3_u32 v135, v7, v9, 0x7fff
                                        ; implicit-def: $vgpr7
; %bb.1471:                             ;   in Loop: Header=BB428_803 Depth=1
	s_and_not1_saveexec_b32 s11, s1
; %bb.1472:                             ;   in Loop: Header=BB428_803 Depth=1
	v_and_b32_e32 v9, 0xffff, v7
	v_or_b32_e32 v135, 0x10000, v7
	s_delay_alu instid0(VALU_DEP_2) | instskip(NEXT) | instid1(VALU_DEP_1)
	v_cmp_eq_u32_e64 s1, 0, v9
	v_cndmask_b32_e64 v135, v135, v7, s1
; %bb.1473:                             ;   in Loop: Header=BB428_803 Depth=1
	s_or_b32 exec_lo, exec_lo, s11
	v_lshlrev_b32_e32 v6, 16, v6
                                        ; implicit-def: $vgpr144
	s_delay_alu instid0(VALU_DEP_1) | instskip(NEXT) | instid1(VALU_DEP_1)
	v_mul_f32_e32 v6, v80, v6
	v_and_b32_e32 v7, 0x7f800000, v6
	s_delay_alu instid0(VALU_DEP_1) | instskip(NEXT) | instid1(VALU_DEP_1)
	v_cmp_ne_u32_e64 s1, 0x7f800000, v7
	s_and_saveexec_b32 s11, s1
	s_delay_alu instid0(SALU_CYCLE_1)
	s_xor_b32 s1, exec_lo, s11
; %bb.1474:                             ;   in Loop: Header=BB428_803 Depth=1
	v_bfe_u32 v7, v6, 16, 1
	s_delay_alu instid0(VALU_DEP_1)
	v_add3_u32 v144, v6, v7, 0x7fff
                                        ; implicit-def: $vgpr6
; %bb.1475:                             ;   in Loop: Header=BB428_803 Depth=1
	s_and_not1_saveexec_b32 s11, s1
; %bb.1476:                             ;   in Loop: Header=BB428_803 Depth=1
	v_and_b32_e32 v7, 0xffff, v6
	v_or_b32_e32 v9, 0x10000, v6
	s_delay_alu instid0(VALU_DEP_2) | instskip(NEXT) | instid1(VALU_DEP_1)
	v_cmp_eq_u32_e64 s1, 0, v7
	v_cndmask_b32_e64 v144, v9, v6, s1
; %bb.1477:                             ;   in Loop: Header=BB428_803 Depth=1
	s_or_b32 exec_lo, exec_lo, s11
	v_lshlrev_b32_e32 v3, 16, v3
                                        ; implicit-def: $vgpr145
	s_delay_alu instid0(VALU_DEP_1) | instskip(NEXT) | instid1(VALU_DEP_1)
	v_mul_f32_e32 v3, v81, v3
	v_and_b32_e32 v6, 0x7f800000, v3
	s_delay_alu instid0(VALU_DEP_1) | instskip(NEXT) | instid1(VALU_DEP_1)
	v_cmp_ne_u32_e64 s1, 0x7f800000, v6
	s_and_saveexec_b32 s11, s1
	s_delay_alu instid0(SALU_CYCLE_1)
	s_xor_b32 s1, exec_lo, s11
; %bb.1478:                             ;   in Loop: Header=BB428_803 Depth=1
	v_bfe_u32 v6, v3, 16, 1
	s_delay_alu instid0(VALU_DEP_1)
	v_add3_u32 v145, v3, v6, 0x7fff
                                        ; implicit-def: $vgpr3
; %bb.1479:                             ;   in Loop: Header=BB428_803 Depth=1
	s_and_not1_saveexec_b32 s11, s1
; %bb.1480:                             ;   in Loop: Header=BB428_803 Depth=1
	v_and_b32_e32 v6, 0xffff, v3
	v_or_b32_e32 v7, 0x10000, v3
	s_delay_alu instid0(VALU_DEP_2) | instskip(NEXT) | instid1(VALU_DEP_1)
	v_cmp_eq_u32_e64 s1, 0, v6
	v_cndmask_b32_e64 v145, v7, v3, s1
; %bb.1481:                             ;   in Loop: Header=BB428_803 Depth=1
	s_or_b32 exec_lo, exec_lo, s11
	v_lshlrev_b32_e32 v2, 16, v2
                                        ; implicit-def: $vgpr146
	s_delay_alu instid0(VALU_DEP_1) | instskip(NEXT) | instid1(VALU_DEP_1)
	v_mul_f32_e32 v2, v82, v2
	v_and_b32_e32 v3, 0x7f800000, v2
	s_delay_alu instid0(VALU_DEP_1) | instskip(NEXT) | instid1(VALU_DEP_1)
	v_cmp_ne_u32_e64 s1, 0x7f800000, v3
	s_and_saveexec_b32 s11, s1
	s_delay_alu instid0(SALU_CYCLE_1)
	s_xor_b32 s1, exec_lo, s11
; %bb.1482:                             ;   in Loop: Header=BB428_803 Depth=1
	v_bfe_u32 v3, v2, 16, 1
	s_delay_alu instid0(VALU_DEP_1)
	v_add3_u32 v146, v2, v3, 0x7fff
                                        ; implicit-def: $vgpr2
; %bb.1483:                             ;   in Loop: Header=BB428_803 Depth=1
	s_and_not1_saveexec_b32 s11, s1
; %bb.1484:                             ;   in Loop: Header=BB428_803 Depth=1
	v_and_b32_e32 v3, 0xffff, v2
	v_or_b32_e32 v6, 0x10000, v2
	s_delay_alu instid0(VALU_DEP_2) | instskip(NEXT) | instid1(VALU_DEP_1)
	v_cmp_eq_u32_e64 s1, 0, v3
	v_cndmask_b32_e64 v146, v6, v2, s1
; %bb.1485:                             ;   in Loop: Header=BB428_803 Depth=1
	s_or_b32 exec_lo, exec_lo, s11
	flat_load_b64 v[2:3], v[0:1] offset:1280
	s_mov_b32 s11, exec_lo
	s_waitcnt vmcnt(0) lgkmcnt(0)
	v_dual_mov_b32 v6, 0 :: v_dual_and_b32 v7, 0xff, v2
	s_delay_alu instid0(VALU_DEP_1)
	v_cmpx_ne_u16_e32 0, v7
	s_cbranch_execz .LBB428_1493
; %bb.1486:                             ;   in Loop: Header=BB428_803 Depth=1
	v_bfrev_b32_e32 v6, 1
	s_mov_b32 s12, exec_lo
	v_cmpx_ne_u16_e32 0x80, v7
	s_cbranch_execz .LBB428_1492
; %bb.1487:                             ;   in Loop: Header=BB428_803 Depth=1
	v_and_b32_e32 v7, 0x7f, v2
	v_mov_b32_e32 v6, 0x7f800001
	s_mov_b32 s13, exec_lo
	s_delay_alu instid0(VALU_DEP_2)
	v_cmpx_ne_u32_e32 0x7f, v7
	s_cbranch_execz .LBB428_1491
; %bb.1488:                             ;   in Loop: Header=BB428_803 Depth=1
	v_lshrrev_b32_e32 v9, 3, v7
	v_cmp_gt_u32_e64 s1, 8, v7
	v_dual_mov_b32 v7, v3 :: v_dual_mov_b32 v6, v2
	s_delay_alu instid0(VALU_DEP_2)
	s_and_saveexec_b32 s15, s1
; %bb.1489:                             ;   in Loop: Header=BB428_803 Depth=1
	v_and_b32_e32 v6, 7, v2
	s_delay_alu instid0(VALU_DEP_1) | instskip(NEXT) | instid1(VALU_DEP_1)
	v_clz_i32_u32_e32 v6, v6
	v_min_u32_e32 v9, 32, v6
	s_delay_alu instid0(VALU_DEP_1) | instskip(SKIP_1) | instid1(VALU_DEP_2)
	v_subrev_nc_u32_e32 v6, 28, v9
	v_sub_nc_u32_e32 v9, 29, v9
	v_lshlrev_b64 v[6:7], v6, v[2:3]
; %bb.1490:                             ;   in Loop: Header=BB428_803 Depth=1
	s_or_b32 exec_lo, exec_lo, s15
	s_delay_alu instid0(VALU_DEP_1) | instskip(SKIP_2) | instid1(VALU_DEP_3)
	v_lshlrev_b32_e32 v6, 20, v6
	v_lshlrev_b32_e32 v7, 24, v2
	v_lshl_add_u32 v9, v9, 23, 0x3c000000
	v_and_b32_e32 v6, 0x700000, v6
	s_delay_alu instid0(VALU_DEP_3) | instskip(NEXT) | instid1(VALU_DEP_1)
	v_and_b32_e32 v7, 0x80000000, v7
	v_or3_b32 v6, v6, v7, v9
.LBB428_1491:                           ;   in Loop: Header=BB428_803 Depth=1
	s_or_b32 exec_lo, exec_lo, s13
.LBB428_1492:                           ;   in Loop: Header=BB428_803 Depth=1
	s_delay_alu instid0(SALU_CYCLE_1)
	s_or_b32 exec_lo, exec_lo, s12
.LBB428_1493:                           ;   in Loop: Header=BB428_803 Depth=1
	s_delay_alu instid0(SALU_CYCLE_1) | instskip(NEXT) | instid1(VALU_DEP_1)
	s_or_b32 exec_lo, exec_lo, s11
	v_mul_f32_e32 v6, v26, v6
                                        ; implicit-def: $vgpr147
	s_delay_alu instid0(VALU_DEP_1) | instskip(NEXT) | instid1(VALU_DEP_1)
	v_and_b32_e32 v7, 0x7f800000, v6
	v_cmp_ne_u32_e64 s1, 0x7f800000, v7
	s_delay_alu instid0(VALU_DEP_1) | instskip(NEXT) | instid1(SALU_CYCLE_1)
	s_and_saveexec_b32 s11, s1
	s_xor_b32 s1, exec_lo, s11
; %bb.1494:                             ;   in Loop: Header=BB428_803 Depth=1
	v_bfe_u32 v7, v6, 16, 1
	s_delay_alu instid0(VALU_DEP_1)
	v_add3_u32 v147, v6, v7, 0x7fff
                                        ; implicit-def: $vgpr6
; %bb.1495:                             ;   in Loop: Header=BB428_803 Depth=1
	s_and_not1_saveexec_b32 s11, s1
; %bb.1496:                             ;   in Loop: Header=BB428_803 Depth=1
	v_and_b32_e32 v7, 0xffff, v6
	v_or_b32_e32 v9, 0x10000, v6
	s_delay_alu instid0(VALU_DEP_2) | instskip(NEXT) | instid1(VALU_DEP_1)
	v_cmp_eq_u32_e64 s1, 0, v7
	v_cndmask_b32_e64 v147, v9, v6, s1
; %bb.1497:                             ;   in Loop: Header=BB428_803 Depth=1
	s_or_b32 exec_lo, exec_lo, s11
	v_lshrrev_b16 v7, 8, v2
	v_mov_b32_e32 v6, 0
	s_mov_b32 s11, exec_lo
	s_delay_alu instid0(VALU_DEP_2)
	v_cmpx_ne_u16_e32 0, v7
	s_cbranch_execz .LBB428_1505
; %bb.1498:                             ;   in Loop: Header=BB428_803 Depth=1
	v_bfrev_b32_e32 v6, 1
	s_mov_b32 s12, exec_lo
	v_cmpx_ne_u16_e32 0x80, v7
	s_cbranch_execz .LBB428_1504
; %bb.1499:                             ;   in Loop: Header=BB428_803 Depth=1
	v_and_b32_e32 v9, 0xffff, v7
	v_mov_b32_e32 v6, 0x7f800001
	s_mov_b32 s13, exec_lo
	s_delay_alu instid0(VALU_DEP_2) | instskip(NEXT) | instid1(VALU_DEP_1)
	v_and_b32_e32 v7, 0x7f, v9
	v_cmpx_ne_u32_e32 0x7f, v7
	s_cbranch_execz .LBB428_1503
; %bb.1500:                             ;   in Loop: Header=BB428_803 Depth=1
	v_and_b32_e32 v9, 7, v9
	v_lshrrev_b32_e32 v6, 3, v7
	s_mov_b32 s15, exec_lo
	v_cmpx_gt_u32_e32 8, v7
; %bb.1501:                             ;   in Loop: Header=BB428_803 Depth=1
	s_delay_alu instid0(VALU_DEP_3) | instskip(NEXT) | instid1(VALU_DEP_1)
	v_clz_i32_u32_e32 v6, v9
	v_min_u32_e32 v6, 32, v6
	s_delay_alu instid0(VALU_DEP_1) | instskip(SKIP_1) | instid1(VALU_DEP_2)
	v_subrev_nc_u32_e32 v7, 28, v6
	v_sub_nc_u32_e32 v6, 29, v6
	v_lshlrev_b64 v[148:149], v7, v[9:10]
	s_delay_alu instid0(VALU_DEP_1)
	v_and_b32_e32 v9, 7, v148
; %bb.1502:                             ;   in Loop: Header=BB428_803 Depth=1
	s_or_b32 exec_lo, exec_lo, s15
	v_lshlrev_b32_e32 v7, 16, v2
	s_delay_alu instid0(VALU_DEP_2) | instskip(SKIP_1) | instid1(VALU_DEP_3)
	v_lshlrev_b32_e32 v9, 20, v9
	v_lshl_add_u32 v6, v6, 23, 0x3c000000
	v_and_b32_e32 v7, 0x80000000, v7
	s_delay_alu instid0(VALU_DEP_1)
	v_or3_b32 v6, v9, v7, v6
.LBB428_1503:                           ;   in Loop: Header=BB428_803 Depth=1
	s_or_b32 exec_lo, exec_lo, s13
.LBB428_1504:                           ;   in Loop: Header=BB428_803 Depth=1
	s_delay_alu instid0(SALU_CYCLE_1)
	s_or_b32 exec_lo, exec_lo, s12
.LBB428_1505:                           ;   in Loop: Header=BB428_803 Depth=1
	s_delay_alu instid0(SALU_CYCLE_1) | instskip(NEXT) | instid1(VALU_DEP_1)
	s_or_b32 exec_lo, exec_lo, s11
	v_mul_f32_e32 v6, v26, v6
                                        ; implicit-def: $vgpr148
	s_delay_alu instid0(VALU_DEP_1) | instskip(NEXT) | instid1(VALU_DEP_1)
	v_and_b32_e32 v7, 0x7f800000, v6
	v_cmp_ne_u32_e64 s1, 0x7f800000, v7
	s_delay_alu instid0(VALU_DEP_1) | instskip(NEXT) | instid1(SALU_CYCLE_1)
	s_and_saveexec_b32 s11, s1
	s_xor_b32 s1, exec_lo, s11
; %bb.1506:                             ;   in Loop: Header=BB428_803 Depth=1
	v_bfe_u32 v7, v6, 16, 1
	s_delay_alu instid0(VALU_DEP_1)
	v_add3_u32 v148, v6, v7, 0x7fff
                                        ; implicit-def: $vgpr6
; %bb.1507:                             ;   in Loop: Header=BB428_803 Depth=1
	s_and_not1_saveexec_b32 s11, s1
; %bb.1508:                             ;   in Loop: Header=BB428_803 Depth=1
	v_and_b32_e32 v7, 0xffff, v6
	v_or_b32_e32 v9, 0x10000, v6
	s_delay_alu instid0(VALU_DEP_2) | instskip(NEXT) | instid1(VALU_DEP_1)
	v_cmp_eq_u32_e64 s1, 0, v7
	v_cndmask_b32_e64 v148, v9, v6, s1
; %bb.1509:                             ;   in Loop: Header=BB428_803 Depth=1
	s_or_b32 exec_lo, exec_lo, s11
	v_lshrrev_b32_e32 v6, 16, v2
	v_mov_b32_e32 v7, 0
	s_mov_b32 s11, exec_lo
	s_delay_alu instid0(VALU_DEP_2) | instskip(NEXT) | instid1(VALU_DEP_1)
	v_and_b32_e32 v9, 0xff, v6
	v_cmpx_ne_u16_e32 0, v9
	s_cbranch_execz .LBB428_1517
; %bb.1510:                             ;   in Loop: Header=BB428_803 Depth=1
	v_bfrev_b32_e32 v7, 1
	s_mov_b32 s12, exec_lo
	v_cmpx_ne_u16_e32 0x80, v9
	s_cbranch_execz .LBB428_1516
; %bb.1511:                             ;   in Loop: Header=BB428_803 Depth=1
	v_bfe_u32 v149, v2, 16, 7
	v_mov_b32_e32 v7, 0x7f800001
	s_mov_b32 s13, exec_lo
	s_delay_alu instid0(VALU_DEP_2)
	v_cmpx_ne_u32_e32 0x7f, v149
	s_cbranch_execz .LBB428_1515
; %bb.1512:                             ;   in Loop: Header=BB428_803 Depth=1
	v_and_b32_e32 v9, 7, v6
	v_lshrrev_b32_e32 v7, 3, v149
	s_mov_b32 s15, exec_lo
	v_cmpx_gt_u32_e32 8, v149
; %bb.1513:                             ;   in Loop: Header=BB428_803 Depth=1
	s_delay_alu instid0(VALU_DEP_3) | instskip(NEXT) | instid1(VALU_DEP_1)
	v_clz_i32_u32_e32 v7, v9
	v_min_u32_e32 v7, 32, v7
	s_delay_alu instid0(VALU_DEP_1) | instskip(SKIP_1) | instid1(VALU_DEP_2)
	v_subrev_nc_u32_e32 v149, 28, v7
	v_sub_nc_u32_e32 v7, 29, v7
	v_lshlrev_b64 v[149:150], v149, v[9:10]
	s_delay_alu instid0(VALU_DEP_1)
	v_and_b32_e32 v9, 7, v149
; %bb.1514:                             ;   in Loop: Header=BB428_803 Depth=1
	s_or_b32 exec_lo, exec_lo, s15
	v_lshlrev_b32_e32 v6, 24, v6
	s_delay_alu instid0(VALU_DEP_2) | instskip(SKIP_1) | instid1(VALU_DEP_3)
	v_lshlrev_b32_e32 v9, 20, v9
	v_lshl_add_u32 v7, v7, 23, 0x3c000000
	v_and_b32_e32 v6, 0x80000000, v6
	s_delay_alu instid0(VALU_DEP_1)
	v_or3_b32 v7, v9, v6, v7
.LBB428_1515:                           ;   in Loop: Header=BB428_803 Depth=1
	s_or_b32 exec_lo, exec_lo, s13
.LBB428_1516:                           ;   in Loop: Header=BB428_803 Depth=1
	s_delay_alu instid0(SALU_CYCLE_1)
	s_or_b32 exec_lo, exec_lo, s12
.LBB428_1517:                           ;   in Loop: Header=BB428_803 Depth=1
	s_delay_alu instid0(SALU_CYCLE_1) | instskip(NEXT) | instid1(VALU_DEP_1)
	s_or_b32 exec_lo, exec_lo, s11
	v_mul_f32_e32 v6, v26, v7
                                        ; implicit-def: $vgpr149
	s_delay_alu instid0(VALU_DEP_1) | instskip(NEXT) | instid1(VALU_DEP_1)
	v_and_b32_e32 v7, 0x7f800000, v6
	v_cmp_ne_u32_e64 s1, 0x7f800000, v7
	s_delay_alu instid0(VALU_DEP_1) | instskip(NEXT) | instid1(SALU_CYCLE_1)
	s_and_saveexec_b32 s11, s1
	s_xor_b32 s1, exec_lo, s11
; %bb.1518:                             ;   in Loop: Header=BB428_803 Depth=1
	v_bfe_u32 v7, v6, 16, 1
	s_delay_alu instid0(VALU_DEP_1)
	v_add3_u32 v149, v6, v7, 0x7fff
                                        ; implicit-def: $vgpr6
; %bb.1519:                             ;   in Loop: Header=BB428_803 Depth=1
	s_and_not1_saveexec_b32 s11, s1
; %bb.1520:                             ;   in Loop: Header=BB428_803 Depth=1
	v_and_b32_e32 v7, 0xffff, v6
	v_or_b32_e32 v9, 0x10000, v6
	s_delay_alu instid0(VALU_DEP_2) | instskip(NEXT) | instid1(VALU_DEP_1)
	v_cmp_eq_u32_e64 s1, 0, v7
	v_cndmask_b32_e64 v149, v9, v6, s1
; %bb.1521:                             ;   in Loop: Header=BB428_803 Depth=1
	s_or_b32 exec_lo, exec_lo, s11
	v_mov_b32_e32 v7, 0
	s_mov_b32 s11, exec_lo
	v_cmpx_lt_u32_e32 0xffffff, v2
	s_cbranch_execz .LBB428_1529
; %bb.1522:                             ;   in Loop: Header=BB428_803 Depth=1
	v_lshrrev_b32_e32 v6, 24, v2
	v_bfrev_b32_e32 v7, 1
	s_mov_b32 s12, exec_lo
	s_delay_alu instid0(VALU_DEP_2)
	v_cmpx_ne_u32_e32 0x80, v6
	s_cbranch_execz .LBB428_1528
; %bb.1523:                             ;   in Loop: Header=BB428_803 Depth=1
	v_bfe_u32 v150, v2, 24, 7
	v_mov_b32_e32 v7, 0x7f800001
	s_mov_b32 s13, exec_lo
	s_delay_alu instid0(VALU_DEP_2)
	v_cmpx_ne_u32_e32 0x7f, v150
	s_cbranch_execz .LBB428_1527
; %bb.1524:                             ;   in Loop: Header=BB428_803 Depth=1
	v_and_b32_e32 v9, 7, v6
	v_lshrrev_b32_e32 v7, 3, v150
	s_mov_b32 s15, exec_lo
	v_cmpx_gt_u32_e32 8, v150
; %bb.1525:                             ;   in Loop: Header=BB428_803 Depth=1
	s_delay_alu instid0(VALU_DEP_3) | instskip(NEXT) | instid1(VALU_DEP_1)
	v_clz_i32_u32_e32 v7, v9
	v_min_u32_e32 v7, 32, v7
	s_delay_alu instid0(VALU_DEP_1) | instskip(SKIP_1) | instid1(VALU_DEP_2)
	v_subrev_nc_u32_e32 v150, 28, v7
	v_sub_nc_u32_e32 v7, 29, v7
	v_lshlrev_b64 v[150:151], v150, v[9:10]
	s_delay_alu instid0(VALU_DEP_1)
	v_and_b32_e32 v9, 7, v150
; %bb.1526:                             ;   in Loop: Header=BB428_803 Depth=1
	s_or_b32 exec_lo, exec_lo, s15
	v_lshlrev_b32_e32 v6, 24, v6
	s_delay_alu instid0(VALU_DEP_2) | instskip(SKIP_1) | instid1(VALU_DEP_3)
	v_lshlrev_b32_e32 v9, 20, v9
	v_lshl_add_u32 v7, v7, 23, 0x3c000000
	v_and_b32_e32 v6, 0x80000000, v6
	s_delay_alu instid0(VALU_DEP_1)
	v_or3_b32 v7, v9, v6, v7
.LBB428_1527:                           ;   in Loop: Header=BB428_803 Depth=1
	s_or_b32 exec_lo, exec_lo, s13
.LBB428_1528:                           ;   in Loop: Header=BB428_803 Depth=1
	s_delay_alu instid0(SALU_CYCLE_1)
	s_or_b32 exec_lo, exec_lo, s12
.LBB428_1529:                           ;   in Loop: Header=BB428_803 Depth=1
	s_delay_alu instid0(SALU_CYCLE_1) | instskip(NEXT) | instid1(VALU_DEP_1)
	s_or_b32 exec_lo, exec_lo, s11
	v_mul_f32_e32 v6, v26, v7
                                        ; implicit-def: $vgpr150
	s_delay_alu instid0(VALU_DEP_1) | instskip(NEXT) | instid1(VALU_DEP_1)
	v_and_b32_e32 v7, 0x7f800000, v6
	v_cmp_ne_u32_e64 s1, 0x7f800000, v7
	s_delay_alu instid0(VALU_DEP_1) | instskip(NEXT) | instid1(SALU_CYCLE_1)
	s_and_saveexec_b32 s11, s1
	s_xor_b32 s1, exec_lo, s11
; %bb.1530:                             ;   in Loop: Header=BB428_803 Depth=1
	v_bfe_u32 v7, v6, 16, 1
	s_delay_alu instid0(VALU_DEP_1)
	v_add3_u32 v150, v6, v7, 0x7fff
                                        ; implicit-def: $vgpr6
; %bb.1531:                             ;   in Loop: Header=BB428_803 Depth=1
	s_and_not1_saveexec_b32 s11, s1
; %bb.1532:                             ;   in Loop: Header=BB428_803 Depth=1
	v_and_b32_e32 v7, 0xffff, v6
	v_or_b32_e32 v9, 0x10000, v6
	s_delay_alu instid0(VALU_DEP_2) | instskip(NEXT) | instid1(VALU_DEP_1)
	v_cmp_eq_u32_e64 s1, 0, v7
	v_cndmask_b32_e64 v150, v9, v6, s1
; %bb.1533:                             ;   in Loop: Header=BB428_803 Depth=1
	s_or_b32 exec_lo, exec_lo, s11
	v_dual_mov_b32 v6, 0 :: v_dual_and_b32 v7, 0xff, v3
	v_mov_b32_e32 v9, v3
	s_mov_b32 s11, exec_lo
	s_delay_alu instid0(VALU_DEP_2)
	v_cmpx_ne_u16_e32 0, v7
	s_cbranch_execz .LBB428_1541
; %bb.1534:                             ;   in Loop: Header=BB428_803 Depth=1
	v_bfrev_b32_e32 v6, 1
	s_mov_b32 s12, exec_lo
	v_cmpx_ne_u16_e32 0x80, v7
	s_cbranch_execz .LBB428_1540
; %bb.1535:                             ;   in Loop: Header=BB428_803 Depth=1
	v_and_b32_e32 v7, 0x7f, v3
	v_mov_b32_e32 v6, 0x7f800001
	s_mov_b32 s13, exec_lo
	s_delay_alu instid0(VALU_DEP_2)
	v_cmpx_ne_u32_e32 0x7f, v7
	s_cbranch_execz .LBB428_1539
; %bb.1536:                             ;   in Loop: Header=BB428_803 Depth=1
	v_lshrrev_b32_e32 v151, 3, v7
	v_cmp_gt_u32_e64 s1, 8, v7
	v_dual_mov_b32 v6, v9 :: v_dual_mov_b32 v7, v10
	s_delay_alu instid0(VALU_DEP_2)
	s_and_saveexec_b32 s15, s1
; %bb.1537:                             ;   in Loop: Header=BB428_803 Depth=1
	v_and_b32_e32 v6, 7, v3
	s_delay_alu instid0(VALU_DEP_1) | instskip(NEXT) | instid1(VALU_DEP_1)
	v_clz_i32_u32_e32 v6, v6
	v_min_u32_e32 v151, 32, v6
	s_delay_alu instid0(VALU_DEP_1) | instskip(SKIP_1) | instid1(VALU_DEP_2)
	v_subrev_nc_u32_e32 v6, 28, v151
	v_sub_nc_u32_e32 v151, 29, v151
	v_lshlrev_b64 v[6:7], v6, v[9:10]
; %bb.1538:                             ;   in Loop: Header=BB428_803 Depth=1
	s_or_b32 exec_lo, exec_lo, s15
	s_delay_alu instid0(VALU_DEP_1) | instskip(SKIP_2) | instid1(VALU_DEP_3)
	v_lshlrev_b32_e32 v6, 20, v6
	v_lshlrev_b32_e32 v7, 24, v9
	v_lshl_add_u32 v151, v151, 23, 0x3c000000
	v_and_b32_e32 v6, 0x700000, v6
	s_delay_alu instid0(VALU_DEP_3) | instskip(NEXT) | instid1(VALU_DEP_1)
	v_and_b32_e32 v7, 0x80000000, v7
	v_or3_b32 v6, v6, v7, v151
.LBB428_1539:                           ;   in Loop: Header=BB428_803 Depth=1
	s_or_b32 exec_lo, exec_lo, s13
.LBB428_1540:                           ;   in Loop: Header=BB428_803 Depth=1
	s_delay_alu instid0(SALU_CYCLE_1)
	s_or_b32 exec_lo, exec_lo, s12
.LBB428_1541:                           ;   in Loop: Header=BB428_803 Depth=1
	s_delay_alu instid0(SALU_CYCLE_1) | instskip(NEXT) | instid1(VALU_DEP_1)
	s_or_b32 exec_lo, exec_lo, s11
	v_mul_f32_e32 v6, v26, v6
                                        ; implicit-def: $vgpr151
	s_delay_alu instid0(VALU_DEP_1) | instskip(NEXT) | instid1(VALU_DEP_1)
	v_and_b32_e32 v7, 0x7f800000, v6
	v_cmp_ne_u32_e64 s1, 0x7f800000, v7
	s_delay_alu instid0(VALU_DEP_1) | instskip(NEXT) | instid1(SALU_CYCLE_1)
	s_and_saveexec_b32 s11, s1
	s_xor_b32 s1, exec_lo, s11
; %bb.1542:                             ;   in Loop: Header=BB428_803 Depth=1
	v_bfe_u32 v7, v6, 16, 1
	s_delay_alu instid0(VALU_DEP_1)
	v_add3_u32 v151, v6, v7, 0x7fff
                                        ; implicit-def: $vgpr6
; %bb.1543:                             ;   in Loop: Header=BB428_803 Depth=1
	s_and_not1_saveexec_b32 s11, s1
; %bb.1544:                             ;   in Loop: Header=BB428_803 Depth=1
	v_and_b32_e32 v7, 0xffff, v6
	v_or_b32_e32 v151, 0x10000, v6
	s_delay_alu instid0(VALU_DEP_2) | instskip(NEXT) | instid1(VALU_DEP_1)
	v_cmp_eq_u32_e64 s1, 0, v7
	v_cndmask_b32_e64 v151, v151, v6, s1
; %bb.1545:                             ;   in Loop: Header=BB428_803 Depth=1
	s_or_b32 exec_lo, exec_lo, s11
	v_lshrrev_b16 v7, 8, v9
	v_mov_b32_e32 v6, 0
	s_mov_b32 s11, exec_lo
	s_delay_alu instid0(VALU_DEP_2)
	v_cmpx_ne_u16_e32 0, v7
	s_cbranch_execz .LBB428_1553
; %bb.1546:                             ;   in Loop: Header=BB428_803 Depth=1
	v_bfrev_b32_e32 v6, 1
	s_mov_b32 s12, exec_lo
	v_cmpx_ne_u16_e32 0x80, v7
	s_cbranch_execz .LBB428_1552
; %bb.1547:                             ;   in Loop: Header=BB428_803 Depth=1
	v_and_b32_e32 v7, 0xffff, v7
	v_mov_b32_e32 v6, 0x7f800001
	s_mov_b32 s13, exec_lo
	s_delay_alu instid0(VALU_DEP_2) | instskip(NEXT) | instid1(VALU_DEP_1)
	v_and_b32_e32 v161, 0x7f, v7
	v_cmpx_ne_u32_e32 0x7f, v161
	s_cbranch_execz .LBB428_1551
; %bb.1548:                             ;   in Loop: Header=BB428_803 Depth=1
	v_dual_mov_b32 v7, v10 :: v_dual_and_b32 v6, 7, v7
	v_lshrrev_b32_e32 v160, 3, v161
	s_mov_b32 s15, exec_lo
	v_cmpx_gt_u32_e32 8, v161
; %bb.1549:                             ;   in Loop: Header=BB428_803 Depth=1
	s_delay_alu instid0(VALU_DEP_3) | instskip(NEXT) | instid1(VALU_DEP_1)
	v_clz_i32_u32_e32 v160, v6
	v_min_u32_e32 v160, 32, v160
	s_delay_alu instid0(VALU_DEP_1) | instskip(SKIP_1) | instid1(VALU_DEP_2)
	v_subrev_nc_u32_e32 v161, 28, v160
	v_sub_nc_u32_e32 v160, 29, v160
	v_lshlrev_b64 v[6:7], v161, v[6:7]
	s_delay_alu instid0(VALU_DEP_1)
	v_and_b32_e32 v6, 7, v6
; %bb.1550:                             ;   in Loop: Header=BB428_803 Depth=1
	s_or_b32 exec_lo, exec_lo, s15
	v_lshlrev_b32_e32 v7, 16, v9
	s_delay_alu instid0(VALU_DEP_2) | instskip(SKIP_1) | instid1(VALU_DEP_3)
	v_lshlrev_b32_e32 v6, 20, v6
	v_lshl_add_u32 v9, v160, 23, 0x3c000000
	v_and_b32_e32 v7, 0x80000000, v7
	s_delay_alu instid0(VALU_DEP_1)
	v_or3_b32 v6, v6, v7, v9
.LBB428_1551:                           ;   in Loop: Header=BB428_803 Depth=1
	s_or_b32 exec_lo, exec_lo, s13
.LBB428_1552:                           ;   in Loop: Header=BB428_803 Depth=1
	s_delay_alu instid0(SALU_CYCLE_1)
	s_or_b32 exec_lo, exec_lo, s12
.LBB428_1553:                           ;   in Loop: Header=BB428_803 Depth=1
	s_delay_alu instid0(SALU_CYCLE_1) | instskip(NEXT) | instid1(VALU_DEP_1)
	s_or_b32 exec_lo, exec_lo, s11
	v_mul_f32_e32 v7, v26, v6
	s_delay_alu instid0(VALU_DEP_1) | instskip(NEXT) | instid1(VALU_DEP_1)
	v_and_b32_e32 v6, 0x7f800000, v7
	v_cmp_ne_u32_e64 s1, 0x7f800000, v6
                                        ; implicit-def: $vgpr6
	s_delay_alu instid0(VALU_DEP_1) | instskip(NEXT) | instid1(SALU_CYCLE_1)
	s_and_saveexec_b32 s11, s1
	s_xor_b32 s1, exec_lo, s11
; %bb.1554:                             ;   in Loop: Header=BB428_803 Depth=1
	v_bfe_u32 v6, v7, 16, 1
	s_delay_alu instid0(VALU_DEP_1)
	v_add3_u32 v6, v7, v6, 0x7fff
                                        ; implicit-def: $vgpr7
; %bb.1555:                             ;   in Loop: Header=BB428_803 Depth=1
	s_and_not1_saveexec_b32 s11, s1
; %bb.1556:                             ;   in Loop: Header=BB428_803 Depth=1
	v_and_b32_e32 v6, 0xffff, v7
	v_or_b32_e32 v9, 0x10000, v7
	s_delay_alu instid0(VALU_DEP_2) | instskip(NEXT) | instid1(VALU_DEP_1)
	v_cmp_eq_u32_e64 s1, 0, v6
	v_cndmask_b32_e64 v6, v9, v7, s1
; %bb.1557:                             ;   in Loop: Header=BB428_803 Depth=1
	s_or_b32 exec_lo, exec_lo, s11
	v_lshrrev_b32_e32 v7, 16, v3
	s_mov_b32 s11, exec_lo
	s_delay_alu instid0(VALU_DEP_1) | instskip(NEXT) | instid1(VALU_DEP_1)
	v_dual_mov_b32 v9, 0 :: v_dual_and_b32 v160, 0xff, v7
	v_cmpx_ne_u16_e64 0, v160
	s_cbranch_execz .LBB428_1565
; %bb.1558:                             ;   in Loop: Header=BB428_803 Depth=1
	v_bfrev_b32_e32 v9, 1
	s_mov_b32 s12, exec_lo
	v_cmpx_ne_u16_e64 0x80, v160
	s_cbranch_execz .LBB428_1564
; %bb.1559:                             ;   in Loop: Header=BB428_803 Depth=1
	v_bfe_u32 v161, v3, 16, 7
	v_mov_b32_e32 v9, 0x7f800001
	s_mov_b32 s13, exec_lo
	s_delay_alu instid0(VALU_DEP_2)
	v_cmpx_ne_u32_e32 0x7f, v161
	s_cbranch_execz .LBB428_1563
; %bb.1560:                             ;   in Loop: Header=BB428_803 Depth=1
	v_and_b32_e32 v9, 7, v7
	v_lshrrev_b32_e32 v160, 3, v161
	s_mov_b32 s15, exec_lo
	v_cmpx_gt_u32_e32 8, v161
; %bb.1561:                             ;   in Loop: Header=BB428_803 Depth=1
	s_delay_alu instid0(VALU_DEP_3) | instskip(NEXT) | instid1(VALU_DEP_1)
	v_clz_i32_u32_e32 v160, v9
	v_min_u32_e32 v160, 32, v160
	s_delay_alu instid0(VALU_DEP_1) | instskip(SKIP_1) | instid1(VALU_DEP_2)
	v_subrev_nc_u32_e32 v161, 28, v160
	v_sub_nc_u32_e32 v160, 29, v160
	v_lshlrev_b64 v[161:162], v161, v[9:10]
	s_delay_alu instid0(VALU_DEP_1)
	v_and_b32_e32 v9, 7, v161
; %bb.1562:                             ;   in Loop: Header=BB428_803 Depth=1
	s_or_b32 exec_lo, exec_lo, s15
	v_lshlrev_b32_e32 v7, 24, v7
	s_delay_alu instid0(VALU_DEP_2) | instskip(SKIP_1) | instid1(VALU_DEP_3)
	v_lshlrev_b32_e32 v9, 20, v9
	v_lshl_add_u32 v160, v160, 23, 0x3c000000
	v_and_b32_e32 v7, 0x80000000, v7
	s_delay_alu instid0(VALU_DEP_1)
	v_or3_b32 v9, v9, v7, v160
.LBB428_1563:                           ;   in Loop: Header=BB428_803 Depth=1
	s_or_b32 exec_lo, exec_lo, s13
.LBB428_1564:                           ;   in Loop: Header=BB428_803 Depth=1
	s_delay_alu instid0(SALU_CYCLE_1)
	s_or_b32 exec_lo, exec_lo, s12
.LBB428_1565:                           ;   in Loop: Header=BB428_803 Depth=1
	s_delay_alu instid0(SALU_CYCLE_1) | instskip(NEXT) | instid1(VALU_DEP_1)
	s_or_b32 exec_lo, exec_lo, s11
	v_mul_f32_e32 v7, v26, v9
                                        ; implicit-def: $vgpr160
	s_delay_alu instid0(VALU_DEP_1) | instskip(NEXT) | instid1(VALU_DEP_1)
	v_and_b32_e32 v9, 0x7f800000, v7
	v_cmp_ne_u32_e64 s1, 0x7f800000, v9
	s_delay_alu instid0(VALU_DEP_1) | instskip(NEXT) | instid1(SALU_CYCLE_1)
	s_and_saveexec_b32 s11, s1
	s_xor_b32 s1, exec_lo, s11
; %bb.1566:                             ;   in Loop: Header=BB428_803 Depth=1
	v_bfe_u32 v9, v7, 16, 1
	s_delay_alu instid0(VALU_DEP_1)
	v_add3_u32 v160, v7, v9, 0x7fff
                                        ; implicit-def: $vgpr7
; %bb.1567:                             ;   in Loop: Header=BB428_803 Depth=1
	s_and_not1_saveexec_b32 s11, s1
; %bb.1568:                             ;   in Loop: Header=BB428_803 Depth=1
	v_and_b32_e32 v9, 0xffff, v7
	v_or_b32_e32 v160, 0x10000, v7
	s_delay_alu instid0(VALU_DEP_2) | instskip(NEXT) | instid1(VALU_DEP_1)
	v_cmp_eq_u32_e64 s1, 0, v9
	v_cndmask_b32_e64 v160, v160, v7, s1
; %bb.1569:                             ;   in Loop: Header=BB428_803 Depth=1
	s_or_b32 exec_lo, exec_lo, s11
	v_mov_b32_e32 v7, 0
	s_mov_b32 s11, exec_lo
	v_cmpx_lt_u64_e64 s[2:3], v[2:3]
	s_cbranch_execz .LBB428_1577
; %bb.1570:                             ;   in Loop: Header=BB428_803 Depth=1
	v_lshrrev_b32_e32 v2, 24, v3
	v_bfrev_b32_e32 v7, 1
	s_mov_b32 s12, exec_lo
	s_delay_alu instid0(VALU_DEP_2)
	v_cmpx_ne_u32_e32 0x80, v2
	s_cbranch_execz .LBB428_1576
; %bb.1571:                             ;   in Loop: Header=BB428_803 Depth=1
	v_bfe_u32 v161, v3, 24, 7
	v_mov_b32_e32 v7, 0x7f800001
	s_mov_b32 s13, exec_lo
	s_delay_alu instid0(VALU_DEP_2)
	v_cmpx_ne_u32_e32 0x7f, v161
	s_cbranch_execz .LBB428_1575
; %bb.1572:                             ;   in Loop: Header=BB428_803 Depth=1
	v_and_b32_e32 v9, 7, v2
	v_lshrrev_b32_e32 v3, 3, v161
	s_mov_b32 s15, exec_lo
	v_cmpx_gt_u32_e32 8, v161
; %bb.1573:                             ;   in Loop: Header=BB428_803 Depth=1
	s_delay_alu instid0(VALU_DEP_3) | instskip(NEXT) | instid1(VALU_DEP_1)
	v_clz_i32_u32_e32 v3, v9
	v_min_u32_e32 v3, 32, v3
	s_delay_alu instid0(VALU_DEP_1) | instskip(SKIP_1) | instid1(VALU_DEP_2)
	v_subrev_nc_u32_e32 v7, 28, v3
	v_sub_nc_u32_e32 v3, 29, v3
	v_lshlrev_b64 v[161:162], v7, v[9:10]
	s_delay_alu instid0(VALU_DEP_1)
	v_and_b32_e32 v9, 7, v161
; %bb.1574:                             ;   in Loop: Header=BB428_803 Depth=1
	s_or_b32 exec_lo, exec_lo, s15
	v_lshlrev_b32_e32 v2, 24, v2
	s_delay_alu instid0(VALU_DEP_2) | instskip(SKIP_1) | instid1(VALU_DEP_3)
	v_lshlrev_b32_e32 v7, 20, v9
	v_lshl_add_u32 v3, v3, 23, 0x3c000000
	v_and_b32_e32 v2, 0x80000000, v2
	s_delay_alu instid0(VALU_DEP_1)
	v_or3_b32 v7, v7, v2, v3
.LBB428_1575:                           ;   in Loop: Header=BB428_803 Depth=1
	s_or_b32 exec_lo, exec_lo, s13
.LBB428_1576:                           ;   in Loop: Header=BB428_803 Depth=1
	s_delay_alu instid0(SALU_CYCLE_1)
	s_or_b32 exec_lo, exec_lo, s12
.LBB428_1577:                           ;   in Loop: Header=BB428_803 Depth=1
	s_delay_alu instid0(SALU_CYCLE_1) | instskip(NEXT) | instid1(VALU_DEP_1)
	s_or_b32 exec_lo, exec_lo, s11
	v_mul_f32_e32 v3, v26, v7
	s_delay_alu instid0(VALU_DEP_1) | instskip(NEXT) | instid1(VALU_DEP_1)
	v_and_b32_e32 v2, 0x7f800000, v3
	v_cmp_ne_u32_e64 s1, 0x7f800000, v2
                                        ; implicit-def: $vgpr2
	s_delay_alu instid0(VALU_DEP_1) | instskip(NEXT) | instid1(SALU_CYCLE_1)
	s_and_saveexec_b32 s11, s1
	s_xor_b32 s1, exec_lo, s11
; %bb.1578:                             ;   in Loop: Header=BB428_803 Depth=1
	v_bfe_u32 v2, v3, 16, 1
	s_delay_alu instid0(VALU_DEP_1)
	v_add3_u32 v2, v3, v2, 0x7fff
                                        ; implicit-def: $vgpr3
; %bb.1579:                             ;   in Loop: Header=BB428_803 Depth=1
	s_and_not1_saveexec_b32 s11, s1
; %bb.1580:                             ;   in Loop: Header=BB428_803 Depth=1
	v_and_b32_e32 v2, 0xffff, v3
	v_or_b32_e32 v7, 0x10000, v3
	s_delay_alu instid0(VALU_DEP_2) | instskip(NEXT) | instid1(VALU_DEP_1)
	v_cmp_eq_u32_e64 s1, 0, v2
	v_cndmask_b32_e64 v2, v7, v3, s1
; %bb.1581:                             ;   in Loop: Header=BB428_803 Depth=1
	s_or_b32 exec_lo, exec_lo, s11
	v_lshrrev_b32_e32 v6, 16, v6
	v_lshrrev_b32_e32 v7, 16, v151
	;; [unrolled: 1-line block ×8, first 2 shown]
	s_and_saveexec_b32 s11, vcc_lo
	s_cbranch_execz .LBB428_1583
; %bb.1582:                             ;   in Loop: Header=BB428_803 Depth=1
	v_cmp_lt_i32_e64 s1, v52, v33
	s_delay_alu instid0(VALU_DEP_1) | instskip(SKIP_1) | instid1(VALU_DEP_1)
	v_cndmask_b32_e64 v147, 0, v147, s1
	v_cmp_lt_i32_e64 s1, v66, v33
	v_cndmask_b32_e64 v148, 0, v148, s1
	v_cmp_lt_i32_e64 s1, v65, v33
	s_delay_alu instid0(VALU_DEP_1) | instskip(SKIP_1) | instid1(VALU_DEP_1)
	v_cndmask_b32_e64 v149, 0, v149, s1
	v_cmp_lt_i32_e64 s1, v64, v33
	v_cndmask_b32_e64 v9, 0, v9, s1
	;; [unrolled: 5-line block ×4, first 2 shown]
.LBB428_1583:                           ;   in Loop: Header=BB428_803 Depth=1
	s_or_b32 exec_lo, exec_lo, s11
	v_lshlrev_b32_e32 v147, 16, v147
	s_delay_alu instid0(VALU_DEP_1) | instskip(NEXT) | instid1(VALU_DEP_1)
	v_mul_f32_e32 v150, v67, v147
	v_and_b32_e32 v147, 0x7f800000, v150
	s_delay_alu instid0(VALU_DEP_1) | instskip(NEXT) | instid1(VALU_DEP_1)
	v_cmp_ne_u32_e64 s1, 0x7f800000, v147
                                        ; implicit-def: $vgpr147
	s_and_saveexec_b32 s11, s1
	s_delay_alu instid0(SALU_CYCLE_1)
	s_xor_b32 s1, exec_lo, s11
; %bb.1584:                             ;   in Loop: Header=BB428_803 Depth=1
	v_bfe_u32 v147, v150, 16, 1
	s_delay_alu instid0(VALU_DEP_1)
	v_add3_u32 v147, v150, v147, 0x7fff
                                        ; implicit-def: $vgpr150
; %bb.1585:                             ;   in Loop: Header=BB428_803 Depth=1
	s_and_not1_saveexec_b32 s11, s1
; %bb.1586:                             ;   in Loop: Header=BB428_803 Depth=1
	v_and_b32_e32 v147, 0xffff, v150
	v_or_b32_e32 v151, 0x10000, v150
	s_delay_alu instid0(VALU_DEP_2) | instskip(NEXT) | instid1(VALU_DEP_1)
	v_cmp_eq_u32_e64 s1, 0, v147
	v_cndmask_b32_e64 v147, v151, v150, s1
; %bb.1587:                             ;   in Loop: Header=BB428_803 Depth=1
	s_or_b32 exec_lo, exec_lo, s11
	v_lshlrev_b32_e32 v148, 16, v148
	s_delay_alu instid0(VALU_DEP_1) | instskip(NEXT) | instid1(VALU_DEP_1)
	v_mul_f32_e32 v150, v68, v148
	v_and_b32_e32 v148, 0x7f800000, v150
	s_delay_alu instid0(VALU_DEP_1) | instskip(NEXT) | instid1(VALU_DEP_1)
	v_cmp_ne_u32_e64 s1, 0x7f800000, v148
                                        ; implicit-def: $vgpr148
	s_and_saveexec_b32 s11, s1
	s_delay_alu instid0(SALU_CYCLE_1)
	s_xor_b32 s1, exec_lo, s11
; %bb.1588:                             ;   in Loop: Header=BB428_803 Depth=1
	v_bfe_u32 v148, v150, 16, 1
	s_delay_alu instid0(VALU_DEP_1)
	v_add3_u32 v148, v150, v148, 0x7fff
                                        ; implicit-def: $vgpr150
; %bb.1589:                             ;   in Loop: Header=BB428_803 Depth=1
	s_and_not1_saveexec_b32 s11, s1
; %bb.1590:                             ;   in Loop: Header=BB428_803 Depth=1
	v_and_b32_e32 v148, 0xffff, v150
	v_or_b32_e32 v151, 0x10000, v150
	s_delay_alu instid0(VALU_DEP_2) | instskip(NEXT) | instid1(VALU_DEP_1)
	v_cmp_eq_u32_e64 s1, 0, v148
	v_cndmask_b32_e64 v148, v151, v150, s1
; %bb.1591:                             ;   in Loop: Header=BB428_803 Depth=1
	s_or_b32 exec_lo, exec_lo, s11
	v_lshlrev_b32_e32 v149, 16, v149
	s_delay_alu instid0(VALU_DEP_1) | instskip(NEXT) | instid1(VALU_DEP_1)
	v_mul_f32_e32 v150, v69, v149
	v_and_b32_e32 v149, 0x7f800000, v150
	s_delay_alu instid0(VALU_DEP_1) | instskip(NEXT) | instid1(VALU_DEP_1)
	v_cmp_ne_u32_e64 s1, 0x7f800000, v149
                                        ; implicit-def: $vgpr149
	s_and_saveexec_b32 s11, s1
	s_delay_alu instid0(SALU_CYCLE_1)
	s_xor_b32 s1, exec_lo, s11
; %bb.1592:                             ;   in Loop: Header=BB428_803 Depth=1
	v_bfe_u32 v149, v150, 16, 1
	s_delay_alu instid0(VALU_DEP_1)
	v_add3_u32 v149, v150, v149, 0x7fff
                                        ; implicit-def: $vgpr150
; %bb.1593:                             ;   in Loop: Header=BB428_803 Depth=1
	s_and_not1_saveexec_b32 s11, s1
; %bb.1594:                             ;   in Loop: Header=BB428_803 Depth=1
	v_and_b32_e32 v149, 0xffff, v150
	v_or_b32_e32 v151, 0x10000, v150
	s_delay_alu instid0(VALU_DEP_2) | instskip(NEXT) | instid1(VALU_DEP_1)
	v_cmp_eq_u32_e64 s1, 0, v149
	v_cndmask_b32_e64 v149, v151, v150, s1
; %bb.1595:                             ;   in Loop: Header=BB428_803 Depth=1
	s_or_b32 exec_lo, exec_lo, s11
	v_lshlrev_b32_e32 v9, 16, v9
	s_delay_alu instid0(VALU_DEP_1) | instskip(NEXT) | instid1(VALU_DEP_1)
	v_mul_f32_e32 v9, v70, v9
	v_and_b32_e32 v150, 0x7f800000, v9
	s_delay_alu instid0(VALU_DEP_1) | instskip(NEXT) | instid1(VALU_DEP_1)
	v_cmp_ne_u32_e64 s1, 0x7f800000, v150
                                        ; implicit-def: $vgpr150
	s_and_saveexec_b32 s11, s1
	s_delay_alu instid0(SALU_CYCLE_1)
	s_xor_b32 s1, exec_lo, s11
; %bb.1596:                             ;   in Loop: Header=BB428_803 Depth=1
	v_bfe_u32 v150, v9, 16, 1
	s_delay_alu instid0(VALU_DEP_1)
	v_add3_u32 v150, v9, v150, 0x7fff
                                        ; implicit-def: $vgpr9
; %bb.1597:                             ;   in Loop: Header=BB428_803 Depth=1
	s_and_not1_saveexec_b32 s11, s1
; %bb.1598:                             ;   in Loop: Header=BB428_803 Depth=1
	v_and_b32_e32 v150, 0xffff, v9
	v_or_b32_e32 v151, 0x10000, v9
	s_delay_alu instid0(VALU_DEP_2) | instskip(NEXT) | instid1(VALU_DEP_1)
	v_cmp_eq_u32_e64 s1, 0, v150
	v_cndmask_b32_e64 v150, v151, v9, s1
; %bb.1599:                             ;   in Loop: Header=BB428_803 Depth=1
	s_or_b32 exec_lo, exec_lo, s11
	v_lshlrev_b32_e32 v7, 16, v7
                                        ; implicit-def: $vgpr151
	s_delay_alu instid0(VALU_DEP_1) | instskip(NEXT) | instid1(VALU_DEP_1)
	v_mul_f32_e32 v7, v71, v7
	v_and_b32_e32 v9, 0x7f800000, v7
	s_delay_alu instid0(VALU_DEP_1) | instskip(NEXT) | instid1(VALU_DEP_1)
	v_cmp_ne_u32_e64 s1, 0x7f800000, v9
	s_and_saveexec_b32 s11, s1
	s_delay_alu instid0(SALU_CYCLE_1)
	s_xor_b32 s1, exec_lo, s11
; %bb.1600:                             ;   in Loop: Header=BB428_803 Depth=1
	v_bfe_u32 v9, v7, 16, 1
	s_delay_alu instid0(VALU_DEP_1)
	v_add3_u32 v151, v7, v9, 0x7fff
                                        ; implicit-def: $vgpr7
; %bb.1601:                             ;   in Loop: Header=BB428_803 Depth=1
	s_and_not1_saveexec_b32 s11, s1
; %bb.1602:                             ;   in Loop: Header=BB428_803 Depth=1
	v_and_b32_e32 v9, 0xffff, v7
	v_or_b32_e32 v151, 0x10000, v7
	s_delay_alu instid0(VALU_DEP_2) | instskip(NEXT) | instid1(VALU_DEP_1)
	v_cmp_eq_u32_e64 s1, 0, v9
	v_cndmask_b32_e64 v151, v151, v7, s1
; %bb.1603:                             ;   in Loop: Header=BB428_803 Depth=1
	s_or_b32 exec_lo, exec_lo, s11
	v_lshlrev_b32_e32 v6, 16, v6
                                        ; implicit-def: $vgpr160
	s_delay_alu instid0(VALU_DEP_1) | instskip(NEXT) | instid1(VALU_DEP_1)
	v_mul_f32_e32 v6, v80, v6
	v_and_b32_e32 v7, 0x7f800000, v6
	s_delay_alu instid0(VALU_DEP_1) | instskip(NEXT) | instid1(VALU_DEP_1)
	v_cmp_ne_u32_e64 s1, 0x7f800000, v7
	s_and_saveexec_b32 s11, s1
	s_delay_alu instid0(SALU_CYCLE_1)
	s_xor_b32 s1, exec_lo, s11
; %bb.1604:                             ;   in Loop: Header=BB428_803 Depth=1
	v_bfe_u32 v7, v6, 16, 1
	s_delay_alu instid0(VALU_DEP_1)
	v_add3_u32 v160, v6, v7, 0x7fff
                                        ; implicit-def: $vgpr6
; %bb.1605:                             ;   in Loop: Header=BB428_803 Depth=1
	s_and_not1_saveexec_b32 s11, s1
; %bb.1606:                             ;   in Loop: Header=BB428_803 Depth=1
	v_and_b32_e32 v7, 0xffff, v6
	v_or_b32_e32 v9, 0x10000, v6
	s_delay_alu instid0(VALU_DEP_2) | instskip(NEXT) | instid1(VALU_DEP_1)
	v_cmp_eq_u32_e64 s1, 0, v7
	v_cndmask_b32_e64 v160, v9, v6, s1
; %bb.1607:                             ;   in Loop: Header=BB428_803 Depth=1
	s_or_b32 exec_lo, exec_lo, s11
	v_lshlrev_b32_e32 v3, 16, v3
                                        ; implicit-def: $vgpr161
	s_delay_alu instid0(VALU_DEP_1) | instskip(NEXT) | instid1(VALU_DEP_1)
	v_mul_f32_e32 v3, v81, v3
	v_and_b32_e32 v6, 0x7f800000, v3
	s_delay_alu instid0(VALU_DEP_1) | instskip(NEXT) | instid1(VALU_DEP_1)
	v_cmp_ne_u32_e64 s1, 0x7f800000, v6
	s_and_saveexec_b32 s11, s1
	s_delay_alu instid0(SALU_CYCLE_1)
	s_xor_b32 s1, exec_lo, s11
; %bb.1608:                             ;   in Loop: Header=BB428_803 Depth=1
	v_bfe_u32 v6, v3, 16, 1
	s_delay_alu instid0(VALU_DEP_1)
	v_add3_u32 v161, v3, v6, 0x7fff
                                        ; implicit-def: $vgpr3
; %bb.1609:                             ;   in Loop: Header=BB428_803 Depth=1
	s_and_not1_saveexec_b32 s11, s1
; %bb.1610:                             ;   in Loop: Header=BB428_803 Depth=1
	v_and_b32_e32 v6, 0xffff, v3
	v_or_b32_e32 v7, 0x10000, v3
	s_delay_alu instid0(VALU_DEP_2) | instskip(NEXT) | instid1(VALU_DEP_1)
	v_cmp_eq_u32_e64 s1, 0, v6
	v_cndmask_b32_e64 v161, v7, v3, s1
; %bb.1611:                             ;   in Loop: Header=BB428_803 Depth=1
	s_or_b32 exec_lo, exec_lo, s11
	v_lshlrev_b32_e32 v2, 16, v2
                                        ; implicit-def: $vgpr162
	s_delay_alu instid0(VALU_DEP_1) | instskip(NEXT) | instid1(VALU_DEP_1)
	v_mul_f32_e32 v2, v82, v2
	v_and_b32_e32 v3, 0x7f800000, v2
	s_delay_alu instid0(VALU_DEP_1) | instskip(NEXT) | instid1(VALU_DEP_1)
	v_cmp_ne_u32_e64 s1, 0x7f800000, v3
	s_and_saveexec_b32 s11, s1
	s_delay_alu instid0(SALU_CYCLE_1)
	s_xor_b32 s1, exec_lo, s11
; %bb.1612:                             ;   in Loop: Header=BB428_803 Depth=1
	v_bfe_u32 v3, v2, 16, 1
	s_delay_alu instid0(VALU_DEP_1)
	v_add3_u32 v162, v2, v3, 0x7fff
                                        ; implicit-def: $vgpr2
; %bb.1613:                             ;   in Loop: Header=BB428_803 Depth=1
	s_and_not1_saveexec_b32 s11, s1
; %bb.1614:                             ;   in Loop: Header=BB428_803 Depth=1
	v_and_b32_e32 v3, 0xffff, v2
	v_or_b32_e32 v6, 0x10000, v2
	s_delay_alu instid0(VALU_DEP_2) | instskip(NEXT) | instid1(VALU_DEP_1)
	v_cmp_eq_u32_e64 s1, 0, v3
	v_cndmask_b32_e64 v162, v6, v2, s1
; %bb.1615:                             ;   in Loop: Header=BB428_803 Depth=1
	s_or_b32 exec_lo, exec_lo, s11
	flat_load_b64 v[2:3], v[0:1] offset:1536
	s_mov_b32 s11, exec_lo
	s_waitcnt vmcnt(0) lgkmcnt(0)
	v_dual_mov_b32 v6, 0 :: v_dual_and_b32 v7, 0xff, v2
	s_delay_alu instid0(VALU_DEP_1)
	v_cmpx_ne_u16_e32 0, v7
	s_cbranch_execz .LBB428_1623
; %bb.1616:                             ;   in Loop: Header=BB428_803 Depth=1
	v_bfrev_b32_e32 v6, 1
	s_mov_b32 s12, exec_lo
	v_cmpx_ne_u16_e32 0x80, v7
	s_cbranch_execz .LBB428_1622
; %bb.1617:                             ;   in Loop: Header=BB428_803 Depth=1
	v_and_b32_e32 v7, 0x7f, v2
	v_mov_b32_e32 v6, 0x7f800001
	s_mov_b32 s13, exec_lo
	s_delay_alu instid0(VALU_DEP_2)
	v_cmpx_ne_u32_e32 0x7f, v7
	s_cbranch_execz .LBB428_1621
; %bb.1618:                             ;   in Loop: Header=BB428_803 Depth=1
	v_lshrrev_b32_e32 v9, 3, v7
	v_cmp_gt_u32_e64 s1, 8, v7
	v_dual_mov_b32 v7, v3 :: v_dual_mov_b32 v6, v2
	s_delay_alu instid0(VALU_DEP_2)
	s_and_saveexec_b32 s15, s1
; %bb.1619:                             ;   in Loop: Header=BB428_803 Depth=1
	v_and_b32_e32 v6, 7, v2
	s_delay_alu instid0(VALU_DEP_1) | instskip(NEXT) | instid1(VALU_DEP_1)
	v_clz_i32_u32_e32 v6, v6
	v_min_u32_e32 v9, 32, v6
	s_delay_alu instid0(VALU_DEP_1) | instskip(SKIP_1) | instid1(VALU_DEP_2)
	v_subrev_nc_u32_e32 v6, 28, v9
	v_sub_nc_u32_e32 v9, 29, v9
	v_lshlrev_b64 v[6:7], v6, v[2:3]
; %bb.1620:                             ;   in Loop: Header=BB428_803 Depth=1
	s_or_b32 exec_lo, exec_lo, s15
	s_delay_alu instid0(VALU_DEP_1) | instskip(SKIP_2) | instid1(VALU_DEP_3)
	v_lshlrev_b32_e32 v6, 20, v6
	v_lshlrev_b32_e32 v7, 24, v2
	v_lshl_add_u32 v9, v9, 23, 0x3c000000
	v_and_b32_e32 v6, 0x700000, v6
	s_delay_alu instid0(VALU_DEP_3) | instskip(NEXT) | instid1(VALU_DEP_1)
	v_and_b32_e32 v7, 0x80000000, v7
	v_or3_b32 v6, v6, v7, v9
.LBB428_1621:                           ;   in Loop: Header=BB428_803 Depth=1
	s_or_b32 exec_lo, exec_lo, s13
.LBB428_1622:                           ;   in Loop: Header=BB428_803 Depth=1
	s_delay_alu instid0(SALU_CYCLE_1)
	s_or_b32 exec_lo, exec_lo, s12
.LBB428_1623:                           ;   in Loop: Header=BB428_803 Depth=1
	s_delay_alu instid0(SALU_CYCLE_1) | instskip(NEXT) | instid1(VALU_DEP_1)
	s_or_b32 exec_lo, exec_lo, s11
	v_mul_f32_e32 v6, v26, v6
                                        ; implicit-def: $vgpr163
	s_delay_alu instid0(VALU_DEP_1) | instskip(NEXT) | instid1(VALU_DEP_1)
	v_and_b32_e32 v7, 0x7f800000, v6
	v_cmp_ne_u32_e64 s1, 0x7f800000, v7
	s_delay_alu instid0(VALU_DEP_1) | instskip(NEXT) | instid1(SALU_CYCLE_1)
	s_and_saveexec_b32 s11, s1
	s_xor_b32 s1, exec_lo, s11
; %bb.1624:                             ;   in Loop: Header=BB428_803 Depth=1
	v_bfe_u32 v7, v6, 16, 1
	s_delay_alu instid0(VALU_DEP_1)
	v_add3_u32 v163, v6, v7, 0x7fff
                                        ; implicit-def: $vgpr6
; %bb.1625:                             ;   in Loop: Header=BB428_803 Depth=1
	s_and_not1_saveexec_b32 s11, s1
; %bb.1626:                             ;   in Loop: Header=BB428_803 Depth=1
	v_and_b32_e32 v7, 0xffff, v6
	v_or_b32_e32 v9, 0x10000, v6
	s_delay_alu instid0(VALU_DEP_2) | instskip(NEXT) | instid1(VALU_DEP_1)
	v_cmp_eq_u32_e64 s1, 0, v7
	v_cndmask_b32_e64 v163, v9, v6, s1
; %bb.1627:                             ;   in Loop: Header=BB428_803 Depth=1
	s_or_b32 exec_lo, exec_lo, s11
	v_lshrrev_b16 v7, 8, v2
	v_mov_b32_e32 v6, 0
	s_mov_b32 s11, exec_lo
	s_delay_alu instid0(VALU_DEP_2)
	v_cmpx_ne_u16_e32 0, v7
	s_cbranch_execz .LBB428_1635
; %bb.1628:                             ;   in Loop: Header=BB428_803 Depth=1
	v_bfrev_b32_e32 v6, 1
	s_mov_b32 s12, exec_lo
	v_cmpx_ne_u16_e32 0x80, v7
	s_cbranch_execz .LBB428_1634
; %bb.1629:                             ;   in Loop: Header=BB428_803 Depth=1
	v_and_b32_e32 v9, 0xffff, v7
	v_mov_b32_e32 v6, 0x7f800001
	s_mov_b32 s13, exec_lo
	s_delay_alu instid0(VALU_DEP_2) | instskip(NEXT) | instid1(VALU_DEP_1)
	v_and_b32_e32 v7, 0x7f, v9
	v_cmpx_ne_u32_e32 0x7f, v7
	s_cbranch_execz .LBB428_1633
; %bb.1630:                             ;   in Loop: Header=BB428_803 Depth=1
	v_and_b32_e32 v9, 7, v9
	v_lshrrev_b32_e32 v6, 3, v7
	s_mov_b32 s15, exec_lo
	v_cmpx_gt_u32_e32 8, v7
; %bb.1631:                             ;   in Loop: Header=BB428_803 Depth=1
	s_delay_alu instid0(VALU_DEP_3) | instskip(NEXT) | instid1(VALU_DEP_1)
	v_clz_i32_u32_e32 v6, v9
	v_min_u32_e32 v6, 32, v6
	s_delay_alu instid0(VALU_DEP_1) | instskip(SKIP_1) | instid1(VALU_DEP_2)
	v_subrev_nc_u32_e32 v7, 28, v6
	v_sub_nc_u32_e32 v6, 29, v6
	v_lshlrev_b64 v[164:165], v7, v[9:10]
	s_delay_alu instid0(VALU_DEP_1)
	v_and_b32_e32 v9, 7, v164
; %bb.1632:                             ;   in Loop: Header=BB428_803 Depth=1
	s_or_b32 exec_lo, exec_lo, s15
	v_lshlrev_b32_e32 v7, 16, v2
	s_delay_alu instid0(VALU_DEP_2) | instskip(SKIP_1) | instid1(VALU_DEP_3)
	v_lshlrev_b32_e32 v9, 20, v9
	v_lshl_add_u32 v6, v6, 23, 0x3c000000
	v_and_b32_e32 v7, 0x80000000, v7
	s_delay_alu instid0(VALU_DEP_1)
	v_or3_b32 v6, v9, v7, v6
.LBB428_1633:                           ;   in Loop: Header=BB428_803 Depth=1
	s_or_b32 exec_lo, exec_lo, s13
.LBB428_1634:                           ;   in Loop: Header=BB428_803 Depth=1
	s_delay_alu instid0(SALU_CYCLE_1)
	s_or_b32 exec_lo, exec_lo, s12
.LBB428_1635:                           ;   in Loop: Header=BB428_803 Depth=1
	s_delay_alu instid0(SALU_CYCLE_1) | instskip(NEXT) | instid1(VALU_DEP_1)
	s_or_b32 exec_lo, exec_lo, s11
	v_mul_f32_e32 v6, v26, v6
                                        ; implicit-def: $vgpr164
	s_delay_alu instid0(VALU_DEP_1) | instskip(NEXT) | instid1(VALU_DEP_1)
	v_and_b32_e32 v7, 0x7f800000, v6
	v_cmp_ne_u32_e64 s1, 0x7f800000, v7
	s_delay_alu instid0(VALU_DEP_1) | instskip(NEXT) | instid1(SALU_CYCLE_1)
	s_and_saveexec_b32 s11, s1
	s_xor_b32 s1, exec_lo, s11
; %bb.1636:                             ;   in Loop: Header=BB428_803 Depth=1
	v_bfe_u32 v7, v6, 16, 1
	s_delay_alu instid0(VALU_DEP_1)
	v_add3_u32 v164, v6, v7, 0x7fff
                                        ; implicit-def: $vgpr6
; %bb.1637:                             ;   in Loop: Header=BB428_803 Depth=1
	s_and_not1_saveexec_b32 s11, s1
; %bb.1638:                             ;   in Loop: Header=BB428_803 Depth=1
	v_and_b32_e32 v7, 0xffff, v6
	v_or_b32_e32 v9, 0x10000, v6
	s_delay_alu instid0(VALU_DEP_2) | instskip(NEXT) | instid1(VALU_DEP_1)
	v_cmp_eq_u32_e64 s1, 0, v7
	v_cndmask_b32_e64 v164, v9, v6, s1
; %bb.1639:                             ;   in Loop: Header=BB428_803 Depth=1
	s_or_b32 exec_lo, exec_lo, s11
	v_lshrrev_b32_e32 v6, 16, v2
	v_mov_b32_e32 v7, 0
	s_mov_b32 s11, exec_lo
	s_delay_alu instid0(VALU_DEP_2) | instskip(NEXT) | instid1(VALU_DEP_1)
	v_and_b32_e32 v9, 0xff, v6
	v_cmpx_ne_u16_e32 0, v9
	s_cbranch_execz .LBB428_1647
; %bb.1640:                             ;   in Loop: Header=BB428_803 Depth=1
	v_bfrev_b32_e32 v7, 1
	s_mov_b32 s12, exec_lo
	v_cmpx_ne_u16_e32 0x80, v9
	s_cbranch_execz .LBB428_1646
; %bb.1641:                             ;   in Loop: Header=BB428_803 Depth=1
	v_bfe_u32 v165, v2, 16, 7
	v_mov_b32_e32 v7, 0x7f800001
	s_mov_b32 s13, exec_lo
	s_delay_alu instid0(VALU_DEP_2)
	v_cmpx_ne_u32_e32 0x7f, v165
	s_cbranch_execz .LBB428_1645
; %bb.1642:                             ;   in Loop: Header=BB428_803 Depth=1
	v_and_b32_e32 v9, 7, v6
	v_lshrrev_b32_e32 v7, 3, v165
	s_mov_b32 s15, exec_lo
	v_cmpx_gt_u32_e32 8, v165
; %bb.1643:                             ;   in Loop: Header=BB428_803 Depth=1
	s_delay_alu instid0(VALU_DEP_3) | instskip(NEXT) | instid1(VALU_DEP_1)
	v_clz_i32_u32_e32 v7, v9
	v_min_u32_e32 v7, 32, v7
	s_delay_alu instid0(VALU_DEP_1) | instskip(SKIP_1) | instid1(VALU_DEP_2)
	v_subrev_nc_u32_e32 v165, 28, v7
	v_sub_nc_u32_e32 v7, 29, v7
	v_lshlrev_b64 v[165:166], v165, v[9:10]
	s_delay_alu instid0(VALU_DEP_1)
	v_and_b32_e32 v9, 7, v165
; %bb.1644:                             ;   in Loop: Header=BB428_803 Depth=1
	s_or_b32 exec_lo, exec_lo, s15
	v_lshlrev_b32_e32 v6, 24, v6
	s_delay_alu instid0(VALU_DEP_2) | instskip(SKIP_1) | instid1(VALU_DEP_3)
	v_lshlrev_b32_e32 v9, 20, v9
	v_lshl_add_u32 v7, v7, 23, 0x3c000000
	v_and_b32_e32 v6, 0x80000000, v6
	s_delay_alu instid0(VALU_DEP_1)
	v_or3_b32 v7, v9, v6, v7
.LBB428_1645:                           ;   in Loop: Header=BB428_803 Depth=1
	s_or_b32 exec_lo, exec_lo, s13
.LBB428_1646:                           ;   in Loop: Header=BB428_803 Depth=1
	s_delay_alu instid0(SALU_CYCLE_1)
	s_or_b32 exec_lo, exec_lo, s12
.LBB428_1647:                           ;   in Loop: Header=BB428_803 Depth=1
	s_delay_alu instid0(SALU_CYCLE_1) | instskip(NEXT) | instid1(VALU_DEP_1)
	s_or_b32 exec_lo, exec_lo, s11
	v_mul_f32_e32 v6, v26, v7
                                        ; implicit-def: $vgpr165
	s_delay_alu instid0(VALU_DEP_1) | instskip(NEXT) | instid1(VALU_DEP_1)
	v_and_b32_e32 v7, 0x7f800000, v6
	v_cmp_ne_u32_e64 s1, 0x7f800000, v7
	s_delay_alu instid0(VALU_DEP_1) | instskip(NEXT) | instid1(SALU_CYCLE_1)
	s_and_saveexec_b32 s11, s1
	s_xor_b32 s1, exec_lo, s11
; %bb.1648:                             ;   in Loop: Header=BB428_803 Depth=1
	v_bfe_u32 v7, v6, 16, 1
	s_delay_alu instid0(VALU_DEP_1)
	v_add3_u32 v165, v6, v7, 0x7fff
                                        ; implicit-def: $vgpr6
; %bb.1649:                             ;   in Loop: Header=BB428_803 Depth=1
	s_and_not1_saveexec_b32 s11, s1
; %bb.1650:                             ;   in Loop: Header=BB428_803 Depth=1
	v_and_b32_e32 v7, 0xffff, v6
	v_or_b32_e32 v9, 0x10000, v6
	s_delay_alu instid0(VALU_DEP_2) | instskip(NEXT) | instid1(VALU_DEP_1)
	v_cmp_eq_u32_e64 s1, 0, v7
	v_cndmask_b32_e64 v165, v9, v6, s1
; %bb.1651:                             ;   in Loop: Header=BB428_803 Depth=1
	s_or_b32 exec_lo, exec_lo, s11
	v_mov_b32_e32 v7, 0
	s_mov_b32 s11, exec_lo
	v_cmpx_lt_u32_e32 0xffffff, v2
	s_cbranch_execz .LBB428_1659
; %bb.1652:                             ;   in Loop: Header=BB428_803 Depth=1
	v_lshrrev_b32_e32 v6, 24, v2
	v_bfrev_b32_e32 v7, 1
	s_mov_b32 s12, exec_lo
	s_delay_alu instid0(VALU_DEP_2)
	v_cmpx_ne_u32_e32 0x80, v6
	s_cbranch_execz .LBB428_1658
; %bb.1653:                             ;   in Loop: Header=BB428_803 Depth=1
	v_bfe_u32 v166, v2, 24, 7
	v_mov_b32_e32 v7, 0x7f800001
	s_mov_b32 s13, exec_lo
	s_delay_alu instid0(VALU_DEP_2)
	v_cmpx_ne_u32_e32 0x7f, v166
	s_cbranch_execz .LBB428_1657
; %bb.1654:                             ;   in Loop: Header=BB428_803 Depth=1
	v_and_b32_e32 v9, 7, v6
	v_lshrrev_b32_e32 v7, 3, v166
	s_mov_b32 s15, exec_lo
	v_cmpx_gt_u32_e32 8, v166
; %bb.1655:                             ;   in Loop: Header=BB428_803 Depth=1
	s_delay_alu instid0(VALU_DEP_3) | instskip(NEXT) | instid1(VALU_DEP_1)
	v_clz_i32_u32_e32 v7, v9
	v_min_u32_e32 v7, 32, v7
	s_delay_alu instid0(VALU_DEP_1) | instskip(SKIP_1) | instid1(VALU_DEP_2)
	v_subrev_nc_u32_e32 v166, 28, v7
	v_sub_nc_u32_e32 v7, 29, v7
	v_lshlrev_b64 v[166:167], v166, v[9:10]
	s_delay_alu instid0(VALU_DEP_1)
	v_and_b32_e32 v9, 7, v166
; %bb.1656:                             ;   in Loop: Header=BB428_803 Depth=1
	s_or_b32 exec_lo, exec_lo, s15
	v_lshlrev_b32_e32 v6, 24, v6
	s_delay_alu instid0(VALU_DEP_2) | instskip(SKIP_1) | instid1(VALU_DEP_3)
	v_lshlrev_b32_e32 v9, 20, v9
	v_lshl_add_u32 v7, v7, 23, 0x3c000000
	v_and_b32_e32 v6, 0x80000000, v6
	s_delay_alu instid0(VALU_DEP_1)
	v_or3_b32 v7, v9, v6, v7
.LBB428_1657:                           ;   in Loop: Header=BB428_803 Depth=1
	s_or_b32 exec_lo, exec_lo, s13
.LBB428_1658:                           ;   in Loop: Header=BB428_803 Depth=1
	s_delay_alu instid0(SALU_CYCLE_1)
	s_or_b32 exec_lo, exec_lo, s12
.LBB428_1659:                           ;   in Loop: Header=BB428_803 Depth=1
	s_delay_alu instid0(SALU_CYCLE_1) | instskip(NEXT) | instid1(VALU_DEP_1)
	s_or_b32 exec_lo, exec_lo, s11
	v_mul_f32_e32 v6, v26, v7
                                        ; implicit-def: $vgpr166
	s_delay_alu instid0(VALU_DEP_1) | instskip(NEXT) | instid1(VALU_DEP_1)
	v_and_b32_e32 v7, 0x7f800000, v6
	v_cmp_ne_u32_e64 s1, 0x7f800000, v7
	s_delay_alu instid0(VALU_DEP_1) | instskip(NEXT) | instid1(SALU_CYCLE_1)
	s_and_saveexec_b32 s11, s1
	s_xor_b32 s1, exec_lo, s11
; %bb.1660:                             ;   in Loop: Header=BB428_803 Depth=1
	v_bfe_u32 v7, v6, 16, 1
	s_delay_alu instid0(VALU_DEP_1)
	v_add3_u32 v166, v6, v7, 0x7fff
                                        ; implicit-def: $vgpr6
; %bb.1661:                             ;   in Loop: Header=BB428_803 Depth=1
	s_and_not1_saveexec_b32 s11, s1
; %bb.1662:                             ;   in Loop: Header=BB428_803 Depth=1
	v_and_b32_e32 v7, 0xffff, v6
	v_or_b32_e32 v9, 0x10000, v6
	s_delay_alu instid0(VALU_DEP_2) | instskip(NEXT) | instid1(VALU_DEP_1)
	v_cmp_eq_u32_e64 s1, 0, v7
	v_cndmask_b32_e64 v166, v9, v6, s1
; %bb.1663:                             ;   in Loop: Header=BB428_803 Depth=1
	s_or_b32 exec_lo, exec_lo, s11
	v_dual_mov_b32 v6, 0 :: v_dual_and_b32 v7, 0xff, v3
	v_mov_b32_e32 v9, v3
	s_mov_b32 s11, exec_lo
	s_delay_alu instid0(VALU_DEP_2)
	v_cmpx_ne_u16_e32 0, v7
	s_cbranch_execz .LBB428_1671
; %bb.1664:                             ;   in Loop: Header=BB428_803 Depth=1
	v_bfrev_b32_e32 v6, 1
	s_mov_b32 s12, exec_lo
	v_cmpx_ne_u16_e32 0x80, v7
	s_cbranch_execz .LBB428_1670
; %bb.1665:                             ;   in Loop: Header=BB428_803 Depth=1
	v_and_b32_e32 v7, 0x7f, v3
	v_mov_b32_e32 v6, 0x7f800001
	s_mov_b32 s13, exec_lo
	s_delay_alu instid0(VALU_DEP_2)
	v_cmpx_ne_u32_e32 0x7f, v7
	s_cbranch_execz .LBB428_1669
; %bb.1666:                             ;   in Loop: Header=BB428_803 Depth=1
	v_lshrrev_b32_e32 v167, 3, v7
	v_cmp_gt_u32_e64 s1, 8, v7
	v_dual_mov_b32 v6, v9 :: v_dual_mov_b32 v7, v10
	s_delay_alu instid0(VALU_DEP_2)
	s_and_saveexec_b32 s15, s1
; %bb.1667:                             ;   in Loop: Header=BB428_803 Depth=1
	v_and_b32_e32 v6, 7, v3
	s_delay_alu instid0(VALU_DEP_1) | instskip(NEXT) | instid1(VALU_DEP_1)
	v_clz_i32_u32_e32 v6, v6
	v_min_u32_e32 v167, 32, v6
	s_delay_alu instid0(VALU_DEP_1) | instskip(SKIP_1) | instid1(VALU_DEP_2)
	v_subrev_nc_u32_e32 v6, 28, v167
	v_sub_nc_u32_e32 v167, 29, v167
	v_lshlrev_b64 v[6:7], v6, v[9:10]
; %bb.1668:                             ;   in Loop: Header=BB428_803 Depth=1
	s_or_b32 exec_lo, exec_lo, s15
	s_delay_alu instid0(VALU_DEP_1) | instskip(SKIP_2) | instid1(VALU_DEP_3)
	v_lshlrev_b32_e32 v6, 20, v6
	v_lshlrev_b32_e32 v7, 24, v9
	v_lshl_add_u32 v167, v167, 23, 0x3c000000
	v_and_b32_e32 v6, 0x700000, v6
	s_delay_alu instid0(VALU_DEP_3) | instskip(NEXT) | instid1(VALU_DEP_1)
	v_and_b32_e32 v7, 0x80000000, v7
	v_or3_b32 v6, v6, v7, v167
.LBB428_1669:                           ;   in Loop: Header=BB428_803 Depth=1
	s_or_b32 exec_lo, exec_lo, s13
.LBB428_1670:                           ;   in Loop: Header=BB428_803 Depth=1
	s_delay_alu instid0(SALU_CYCLE_1)
	s_or_b32 exec_lo, exec_lo, s12
.LBB428_1671:                           ;   in Loop: Header=BB428_803 Depth=1
	s_delay_alu instid0(SALU_CYCLE_1) | instskip(NEXT) | instid1(VALU_DEP_1)
	s_or_b32 exec_lo, exec_lo, s11
	v_mul_f32_e32 v6, v26, v6
                                        ; implicit-def: $vgpr167
	s_delay_alu instid0(VALU_DEP_1) | instskip(NEXT) | instid1(VALU_DEP_1)
	v_and_b32_e32 v7, 0x7f800000, v6
	v_cmp_ne_u32_e64 s1, 0x7f800000, v7
	s_delay_alu instid0(VALU_DEP_1) | instskip(NEXT) | instid1(SALU_CYCLE_1)
	s_and_saveexec_b32 s11, s1
	s_xor_b32 s1, exec_lo, s11
; %bb.1672:                             ;   in Loop: Header=BB428_803 Depth=1
	v_bfe_u32 v7, v6, 16, 1
	s_delay_alu instid0(VALU_DEP_1)
	v_add3_u32 v167, v6, v7, 0x7fff
                                        ; implicit-def: $vgpr6
; %bb.1673:                             ;   in Loop: Header=BB428_803 Depth=1
	s_and_not1_saveexec_b32 s11, s1
; %bb.1674:                             ;   in Loop: Header=BB428_803 Depth=1
	v_and_b32_e32 v7, 0xffff, v6
	v_or_b32_e32 v167, 0x10000, v6
	s_delay_alu instid0(VALU_DEP_2) | instskip(NEXT) | instid1(VALU_DEP_1)
	v_cmp_eq_u32_e64 s1, 0, v7
	v_cndmask_b32_e64 v167, v167, v6, s1
; %bb.1675:                             ;   in Loop: Header=BB428_803 Depth=1
	s_or_b32 exec_lo, exec_lo, s11
	v_lshrrev_b16 v7, 8, v9
	v_mov_b32_e32 v6, 0
	s_mov_b32 s11, exec_lo
	s_delay_alu instid0(VALU_DEP_2)
	v_cmpx_ne_u16_e32 0, v7
	s_cbranch_execz .LBB428_1683
; %bb.1676:                             ;   in Loop: Header=BB428_803 Depth=1
	v_bfrev_b32_e32 v6, 1
	s_mov_b32 s12, exec_lo
	v_cmpx_ne_u16_e32 0x80, v7
	s_cbranch_execz .LBB428_1682
; %bb.1677:                             ;   in Loop: Header=BB428_803 Depth=1
	v_and_b32_e32 v7, 0xffff, v7
	v_mov_b32_e32 v6, 0x7f800001
	s_mov_b32 s13, exec_lo
	s_delay_alu instid0(VALU_DEP_2) | instskip(NEXT) | instid1(VALU_DEP_1)
	v_and_b32_e32 v177, 0x7f, v7
	v_cmpx_ne_u32_e32 0x7f, v177
	s_cbranch_execz .LBB428_1681
; %bb.1678:                             ;   in Loop: Header=BB428_803 Depth=1
	v_dual_mov_b32 v7, v10 :: v_dual_and_b32 v6, 7, v7
	v_lshrrev_b32_e32 v176, 3, v177
	s_mov_b32 s15, exec_lo
	v_cmpx_gt_u32_e32 8, v177
; %bb.1679:                             ;   in Loop: Header=BB428_803 Depth=1
	s_delay_alu instid0(VALU_DEP_3) | instskip(NEXT) | instid1(VALU_DEP_1)
	v_clz_i32_u32_e32 v176, v6
	v_min_u32_e32 v176, 32, v176
	s_delay_alu instid0(VALU_DEP_1) | instskip(SKIP_1) | instid1(VALU_DEP_2)
	v_subrev_nc_u32_e32 v177, 28, v176
	v_sub_nc_u32_e32 v176, 29, v176
	v_lshlrev_b64 v[6:7], v177, v[6:7]
	s_delay_alu instid0(VALU_DEP_1)
	v_and_b32_e32 v6, 7, v6
; %bb.1680:                             ;   in Loop: Header=BB428_803 Depth=1
	s_or_b32 exec_lo, exec_lo, s15
	v_lshlrev_b32_e32 v7, 16, v9
	s_delay_alu instid0(VALU_DEP_2) | instskip(SKIP_1) | instid1(VALU_DEP_3)
	v_lshlrev_b32_e32 v6, 20, v6
	v_lshl_add_u32 v9, v176, 23, 0x3c000000
	v_and_b32_e32 v7, 0x80000000, v7
	s_delay_alu instid0(VALU_DEP_1)
	v_or3_b32 v6, v6, v7, v9
.LBB428_1681:                           ;   in Loop: Header=BB428_803 Depth=1
	s_or_b32 exec_lo, exec_lo, s13
.LBB428_1682:                           ;   in Loop: Header=BB428_803 Depth=1
	s_delay_alu instid0(SALU_CYCLE_1)
	s_or_b32 exec_lo, exec_lo, s12
.LBB428_1683:                           ;   in Loop: Header=BB428_803 Depth=1
	s_delay_alu instid0(SALU_CYCLE_1) | instskip(NEXT) | instid1(VALU_DEP_1)
	s_or_b32 exec_lo, exec_lo, s11
	v_mul_f32_e32 v7, v26, v6
	s_delay_alu instid0(VALU_DEP_1) | instskip(NEXT) | instid1(VALU_DEP_1)
	v_and_b32_e32 v6, 0x7f800000, v7
	v_cmp_ne_u32_e64 s1, 0x7f800000, v6
                                        ; implicit-def: $vgpr6
	s_delay_alu instid0(VALU_DEP_1) | instskip(NEXT) | instid1(SALU_CYCLE_1)
	s_and_saveexec_b32 s11, s1
	s_xor_b32 s1, exec_lo, s11
; %bb.1684:                             ;   in Loop: Header=BB428_803 Depth=1
	v_bfe_u32 v6, v7, 16, 1
	s_delay_alu instid0(VALU_DEP_1)
	v_add3_u32 v6, v7, v6, 0x7fff
                                        ; implicit-def: $vgpr7
; %bb.1685:                             ;   in Loop: Header=BB428_803 Depth=1
	s_and_not1_saveexec_b32 s11, s1
; %bb.1686:                             ;   in Loop: Header=BB428_803 Depth=1
	v_and_b32_e32 v6, 0xffff, v7
	v_or_b32_e32 v9, 0x10000, v7
	s_delay_alu instid0(VALU_DEP_2) | instskip(NEXT) | instid1(VALU_DEP_1)
	v_cmp_eq_u32_e64 s1, 0, v6
	v_cndmask_b32_e64 v6, v9, v7, s1
; %bb.1687:                             ;   in Loop: Header=BB428_803 Depth=1
	s_or_b32 exec_lo, exec_lo, s11
	v_lshrrev_b32_e32 v7, 16, v3
	s_mov_b32 s11, exec_lo
	s_delay_alu instid0(VALU_DEP_1) | instskip(NEXT) | instid1(VALU_DEP_1)
	v_dual_mov_b32 v9, 0 :: v_dual_and_b32 v176, 0xff, v7
	v_cmpx_ne_u16_e64 0, v176
	s_cbranch_execz .LBB428_1695
; %bb.1688:                             ;   in Loop: Header=BB428_803 Depth=1
	v_bfrev_b32_e32 v9, 1
	s_mov_b32 s12, exec_lo
	v_cmpx_ne_u16_e64 0x80, v176
	s_cbranch_execz .LBB428_1694
; %bb.1689:                             ;   in Loop: Header=BB428_803 Depth=1
	v_bfe_u32 v177, v3, 16, 7
	v_mov_b32_e32 v9, 0x7f800001
	s_mov_b32 s13, exec_lo
	s_delay_alu instid0(VALU_DEP_2)
	v_cmpx_ne_u32_e32 0x7f, v177
	s_cbranch_execz .LBB428_1693
; %bb.1690:                             ;   in Loop: Header=BB428_803 Depth=1
	v_and_b32_e32 v9, 7, v7
	v_lshrrev_b32_e32 v176, 3, v177
	s_mov_b32 s15, exec_lo
	v_cmpx_gt_u32_e32 8, v177
; %bb.1691:                             ;   in Loop: Header=BB428_803 Depth=1
	s_delay_alu instid0(VALU_DEP_3) | instskip(NEXT) | instid1(VALU_DEP_1)
	v_clz_i32_u32_e32 v176, v9
	v_min_u32_e32 v176, 32, v176
	s_delay_alu instid0(VALU_DEP_1) | instskip(SKIP_1) | instid1(VALU_DEP_2)
	v_subrev_nc_u32_e32 v177, 28, v176
	v_sub_nc_u32_e32 v176, 29, v176
	v_lshlrev_b64 v[177:178], v177, v[9:10]
	s_delay_alu instid0(VALU_DEP_1)
	v_and_b32_e32 v9, 7, v177
; %bb.1692:                             ;   in Loop: Header=BB428_803 Depth=1
	s_or_b32 exec_lo, exec_lo, s15
	v_lshlrev_b32_e32 v7, 24, v7
	s_delay_alu instid0(VALU_DEP_2) | instskip(SKIP_1) | instid1(VALU_DEP_3)
	v_lshlrev_b32_e32 v9, 20, v9
	v_lshl_add_u32 v176, v176, 23, 0x3c000000
	v_and_b32_e32 v7, 0x80000000, v7
	s_delay_alu instid0(VALU_DEP_1)
	v_or3_b32 v9, v9, v7, v176
.LBB428_1693:                           ;   in Loop: Header=BB428_803 Depth=1
	s_or_b32 exec_lo, exec_lo, s13
.LBB428_1694:                           ;   in Loop: Header=BB428_803 Depth=1
	s_delay_alu instid0(SALU_CYCLE_1)
	s_or_b32 exec_lo, exec_lo, s12
.LBB428_1695:                           ;   in Loop: Header=BB428_803 Depth=1
	s_delay_alu instid0(SALU_CYCLE_1) | instskip(NEXT) | instid1(VALU_DEP_1)
	s_or_b32 exec_lo, exec_lo, s11
	v_mul_f32_e32 v9, v26, v9
	s_delay_alu instid0(VALU_DEP_1) | instskip(NEXT) | instid1(VALU_DEP_1)
	v_and_b32_e32 v7, 0x7f800000, v9
	v_cmp_ne_u32_e64 s1, 0x7f800000, v7
                                        ; implicit-def: $vgpr7
	s_delay_alu instid0(VALU_DEP_1) | instskip(NEXT) | instid1(SALU_CYCLE_1)
	s_and_saveexec_b32 s11, s1
	s_xor_b32 s1, exec_lo, s11
; %bb.1696:                             ;   in Loop: Header=BB428_803 Depth=1
	v_bfe_u32 v7, v9, 16, 1
	s_delay_alu instid0(VALU_DEP_1)
	v_add3_u32 v7, v9, v7, 0x7fff
                                        ; implicit-def: $vgpr9
; %bb.1697:                             ;   in Loop: Header=BB428_803 Depth=1
	s_and_not1_saveexec_b32 s11, s1
; %bb.1698:                             ;   in Loop: Header=BB428_803 Depth=1
	v_and_b32_e32 v7, 0xffff, v9
	v_or_b32_e32 v176, 0x10000, v9
	s_delay_alu instid0(VALU_DEP_2) | instskip(NEXT) | instid1(VALU_DEP_1)
	v_cmp_eq_u32_e64 s1, 0, v7
	v_cndmask_b32_e64 v7, v176, v9, s1
; %bb.1699:                             ;   in Loop: Header=BB428_803 Depth=1
	s_or_b32 exec_lo, exec_lo, s11
	v_mov_b32_e32 v9, 0
	s_mov_b32 s11, exec_lo
	v_cmpx_lt_u64_e64 s[2:3], v[2:3]
	s_cbranch_execz .LBB428_1707
; %bb.1700:                             ;   in Loop: Header=BB428_803 Depth=1
	v_lshrrev_b32_e32 v2, 24, v3
	v_bfrev_b32_e32 v9, 1
	s_mov_b32 s12, exec_lo
	s_delay_alu instid0(VALU_DEP_2)
	v_cmpx_ne_u32_e32 0x80, v2
	s_cbranch_execz .LBB428_1706
; %bb.1701:                             ;   in Loop: Header=BB428_803 Depth=1
	v_bfe_u32 v176, v3, 24, 7
	v_mov_b32_e32 v9, 0x7f800001
	s_mov_b32 s13, exec_lo
	s_delay_alu instid0(VALU_DEP_2)
	v_cmpx_ne_u32_e32 0x7f, v176
	s_cbranch_execz .LBB428_1705
; %bb.1702:                             ;   in Loop: Header=BB428_803 Depth=1
	v_and_b32_e32 v9, 7, v2
	v_lshrrev_b32_e32 v3, 3, v176
	s_mov_b32 s15, exec_lo
	v_cmpx_gt_u32_e32 8, v176
; %bb.1703:                             ;   in Loop: Header=BB428_803 Depth=1
	s_delay_alu instid0(VALU_DEP_3) | instskip(NEXT) | instid1(VALU_DEP_1)
	v_clz_i32_u32_e32 v3, v9
	v_min_u32_e32 v3, 32, v3
	s_delay_alu instid0(VALU_DEP_1) | instskip(SKIP_1) | instid1(VALU_DEP_2)
	v_subrev_nc_u32_e32 v176, 28, v3
	v_sub_nc_u32_e32 v3, 29, v3
	v_lshlrev_b64 v[176:177], v176, v[9:10]
	s_delay_alu instid0(VALU_DEP_1)
	v_and_b32_e32 v9, 7, v176
; %bb.1704:                             ;   in Loop: Header=BB428_803 Depth=1
	s_or_b32 exec_lo, exec_lo, s15
	v_lshlrev_b32_e32 v2, 24, v2
	s_delay_alu instid0(VALU_DEP_2) | instskip(SKIP_1) | instid1(VALU_DEP_3)
	v_lshlrev_b32_e32 v9, 20, v9
	v_lshl_add_u32 v3, v3, 23, 0x3c000000
	v_and_b32_e32 v2, 0x80000000, v2
	s_delay_alu instid0(VALU_DEP_1)
	v_or3_b32 v9, v9, v2, v3
.LBB428_1705:                           ;   in Loop: Header=BB428_803 Depth=1
	s_or_b32 exec_lo, exec_lo, s13
.LBB428_1706:                           ;   in Loop: Header=BB428_803 Depth=1
	s_delay_alu instid0(SALU_CYCLE_1)
	s_or_b32 exec_lo, exec_lo, s12
.LBB428_1707:                           ;   in Loop: Header=BB428_803 Depth=1
	s_delay_alu instid0(SALU_CYCLE_1) | instskip(NEXT) | instid1(VALU_DEP_1)
	s_or_b32 exec_lo, exec_lo, s11
	v_mul_f32_e32 v3, v26, v9
	s_delay_alu instid0(VALU_DEP_1) | instskip(NEXT) | instid1(VALU_DEP_1)
	v_and_b32_e32 v2, 0x7f800000, v3
	v_cmp_ne_u32_e64 s1, 0x7f800000, v2
                                        ; implicit-def: $vgpr2
	s_delay_alu instid0(VALU_DEP_1) | instskip(NEXT) | instid1(SALU_CYCLE_1)
	s_and_saveexec_b32 s11, s1
	s_xor_b32 s1, exec_lo, s11
; %bb.1708:                             ;   in Loop: Header=BB428_803 Depth=1
	v_bfe_u32 v2, v3, 16, 1
	s_delay_alu instid0(VALU_DEP_1)
	v_add3_u32 v2, v3, v2, 0x7fff
                                        ; implicit-def: $vgpr3
; %bb.1709:                             ;   in Loop: Header=BB428_803 Depth=1
	s_and_not1_saveexec_b32 s11, s1
; %bb.1710:                             ;   in Loop: Header=BB428_803 Depth=1
	v_and_b32_e32 v2, 0xffff, v3
	v_or_b32_e32 v9, 0x10000, v3
	s_delay_alu instid0(VALU_DEP_2) | instskip(NEXT) | instid1(VALU_DEP_1)
	v_cmp_eq_u32_e64 s1, 0, v2
	v_cndmask_b32_e64 v2, v9, v3, s1
; %bb.1711:                             ;   in Loop: Header=BB428_803 Depth=1
	s_or_b32 exec_lo, exec_lo, s11
	v_lshrrev_b32_e32 v9, 16, v6
	v_lshrrev_b32_e32 v167, 16, v167
	;; [unrolled: 1-line block ×8, first 2 shown]
	s_and_saveexec_b32 s11, vcc_lo
	s_cbranch_execz .LBB428_1713
; %bb.1712:                             ;   in Loop: Header=BB428_803 Depth=1
	v_cmp_lt_i32_e64 s1, v52, v33
	s_delay_alu instid0(VALU_DEP_1) | instskip(SKIP_1) | instid1(VALU_DEP_1)
	v_cndmask_b32_e64 v6, 0, v6, s1
	v_cmp_lt_i32_e64 s1, v66, v33
	v_cndmask_b32_e64 v164, 0, v164, s1
	v_cmp_lt_i32_e64 s1, v65, v33
	s_delay_alu instid0(VALU_DEP_1) | instskip(SKIP_1) | instid1(VALU_DEP_1)
	v_cndmask_b32_e64 v165, 0, v165, s1
	v_cmp_lt_i32_e64 s1, v64, v33
	v_cndmask_b32_e64 v166, 0, v166, s1
	;; [unrolled: 5-line block ×4, first 2 shown]
.LBB428_1713:                           ;   in Loop: Header=BB428_803 Depth=1
	s_or_b32 exec_lo, exec_lo, s11
	v_lshlrev_b32_e32 v6, 16, v6
	s_delay_alu instid0(VALU_DEP_1) | instskip(NEXT) | instid1(VALU_DEP_1)
	v_mul_f32_e32 v7, v67, v6
	v_and_b32_e32 v6, 0x7f800000, v7
	s_delay_alu instid0(VALU_DEP_1) | instskip(NEXT) | instid1(VALU_DEP_1)
	v_cmp_ne_u32_e64 s1, 0x7f800000, v6
                                        ; implicit-def: $vgpr6
	s_and_saveexec_b32 s11, s1
	s_delay_alu instid0(SALU_CYCLE_1)
	s_xor_b32 s1, exec_lo, s11
; %bb.1714:                             ;   in Loop: Header=BB428_803 Depth=1
	v_bfe_u32 v6, v7, 16, 1
	s_delay_alu instid0(VALU_DEP_1)
	v_add3_u32 v6, v7, v6, 0x7fff
                                        ; implicit-def: $vgpr7
; %bb.1715:                             ;   in Loop: Header=BB428_803 Depth=1
	s_and_not1_saveexec_b32 s11, s1
; %bb.1716:                             ;   in Loop: Header=BB428_803 Depth=1
	v_and_b32_e32 v6, 0xffff, v7
	v_or_b32_e32 v163, 0x10000, v7
	s_delay_alu instid0(VALU_DEP_2) | instskip(NEXT) | instid1(VALU_DEP_1)
	v_cmp_eq_u32_e64 s1, 0, v6
	v_cndmask_b32_e64 v6, v163, v7, s1
; %bb.1717:                             ;   in Loop: Header=BB428_803 Depth=1
	s_or_b32 exec_lo, exec_lo, s11
	v_lshlrev_b32_e32 v7, 16, v164
	s_delay_alu instid0(VALU_DEP_1) | instskip(NEXT) | instid1(VALU_DEP_1)
	v_mul_f32_e32 v163, v68, v7
	v_and_b32_e32 v7, 0x7f800000, v163
	s_delay_alu instid0(VALU_DEP_1) | instskip(NEXT) | instid1(VALU_DEP_1)
	v_cmp_ne_u32_e64 s1, 0x7f800000, v7
                                        ; implicit-def: $vgpr7
	s_and_saveexec_b32 s11, s1
	s_delay_alu instid0(SALU_CYCLE_1)
	s_xor_b32 s1, exec_lo, s11
; %bb.1718:                             ;   in Loop: Header=BB428_803 Depth=1
	v_bfe_u32 v7, v163, 16, 1
	s_delay_alu instid0(VALU_DEP_1)
	v_add3_u32 v7, v163, v7, 0x7fff
                                        ; implicit-def: $vgpr163
; %bb.1719:                             ;   in Loop: Header=BB428_803 Depth=1
	s_and_not1_saveexec_b32 s11, s1
; %bb.1720:                             ;   in Loop: Header=BB428_803 Depth=1
	v_and_b32_e32 v7, 0xffff, v163
	v_or_b32_e32 v164, 0x10000, v163
	s_delay_alu instid0(VALU_DEP_2) | instskip(NEXT) | instid1(VALU_DEP_1)
	v_cmp_eq_u32_e64 s1, 0, v7
	v_cndmask_b32_e64 v7, v164, v163, s1
; %bb.1721:                             ;   in Loop: Header=BB428_803 Depth=1
	s_or_b32 exec_lo, exec_lo, s11
	v_lshlrev_b32_e32 v163, 16, v165
	s_delay_alu instid0(VALU_DEP_1) | instskip(NEXT) | instid1(VALU_DEP_1)
	v_mul_f32_e32 v164, v69, v163
	v_and_b32_e32 v163, 0x7f800000, v164
	s_delay_alu instid0(VALU_DEP_1) | instskip(NEXT) | instid1(VALU_DEP_1)
	v_cmp_ne_u32_e64 s1, 0x7f800000, v163
                                        ; implicit-def: $vgpr163
	s_and_saveexec_b32 s11, s1
	s_delay_alu instid0(SALU_CYCLE_1)
	s_xor_b32 s1, exec_lo, s11
; %bb.1722:                             ;   in Loop: Header=BB428_803 Depth=1
	v_bfe_u32 v163, v164, 16, 1
	s_delay_alu instid0(VALU_DEP_1)
	v_add3_u32 v163, v164, v163, 0x7fff
                                        ; implicit-def: $vgpr164
; %bb.1723:                             ;   in Loop: Header=BB428_803 Depth=1
	s_and_not1_saveexec_b32 s11, s1
; %bb.1724:                             ;   in Loop: Header=BB428_803 Depth=1
	v_and_b32_e32 v163, 0xffff, v164
	v_or_b32_e32 v165, 0x10000, v164
	s_delay_alu instid0(VALU_DEP_2) | instskip(NEXT) | instid1(VALU_DEP_1)
	v_cmp_eq_u32_e64 s1, 0, v163
	v_cndmask_b32_e64 v163, v165, v164, s1
; %bb.1725:                             ;   in Loop: Header=BB428_803 Depth=1
	s_or_b32 exec_lo, exec_lo, s11
	v_lshlrev_b32_e32 v164, 16, v166
	s_delay_alu instid0(VALU_DEP_1) | instskip(NEXT) | instid1(VALU_DEP_1)
	v_mul_f32_e32 v165, v70, v164
	v_and_b32_e32 v164, 0x7f800000, v165
	s_delay_alu instid0(VALU_DEP_1) | instskip(NEXT) | instid1(VALU_DEP_1)
	v_cmp_ne_u32_e64 s1, 0x7f800000, v164
                                        ; implicit-def: $vgpr164
	s_and_saveexec_b32 s11, s1
	s_delay_alu instid0(SALU_CYCLE_1)
	s_xor_b32 s1, exec_lo, s11
; %bb.1726:                             ;   in Loop: Header=BB428_803 Depth=1
	v_bfe_u32 v164, v165, 16, 1
	s_delay_alu instid0(VALU_DEP_1)
	v_add3_u32 v164, v165, v164, 0x7fff
                                        ; implicit-def: $vgpr165
; %bb.1727:                             ;   in Loop: Header=BB428_803 Depth=1
	s_and_not1_saveexec_b32 s11, s1
; %bb.1728:                             ;   in Loop: Header=BB428_803 Depth=1
	v_and_b32_e32 v164, 0xffff, v165
	v_or_b32_e32 v166, 0x10000, v165
	s_delay_alu instid0(VALU_DEP_2) | instskip(NEXT) | instid1(VALU_DEP_1)
	v_cmp_eq_u32_e64 s1, 0, v164
	v_cndmask_b32_e64 v164, v166, v165, s1
; %bb.1729:                             ;   in Loop: Header=BB428_803 Depth=1
	s_or_b32 exec_lo, exec_lo, s11
	v_lshlrev_b32_e32 v165, 16, v167
	s_delay_alu instid0(VALU_DEP_1) | instskip(NEXT) | instid1(VALU_DEP_1)
	v_mul_f32_e32 v166, v71, v165
	v_and_b32_e32 v165, 0x7f800000, v166
	s_delay_alu instid0(VALU_DEP_1) | instskip(NEXT) | instid1(VALU_DEP_1)
	v_cmp_ne_u32_e64 s1, 0x7f800000, v165
                                        ; implicit-def: $vgpr165
	s_and_saveexec_b32 s11, s1
	s_delay_alu instid0(SALU_CYCLE_1)
	s_xor_b32 s1, exec_lo, s11
; %bb.1730:                             ;   in Loop: Header=BB428_803 Depth=1
	v_bfe_u32 v165, v166, 16, 1
	s_delay_alu instid0(VALU_DEP_1)
	v_add3_u32 v165, v166, v165, 0x7fff
                                        ; implicit-def: $vgpr166
; %bb.1731:                             ;   in Loop: Header=BB428_803 Depth=1
	s_and_not1_saveexec_b32 s11, s1
; %bb.1732:                             ;   in Loop: Header=BB428_803 Depth=1
	v_and_b32_e32 v165, 0xffff, v166
	v_or_b32_e32 v167, 0x10000, v166
	s_delay_alu instid0(VALU_DEP_2) | instskip(NEXT) | instid1(VALU_DEP_1)
	v_cmp_eq_u32_e64 s1, 0, v165
	v_cndmask_b32_e64 v165, v167, v166, s1
; %bb.1733:                             ;   in Loop: Header=BB428_803 Depth=1
	s_or_b32 exec_lo, exec_lo, s11
	v_lshlrev_b32_e32 v9, 16, v9
	s_delay_alu instid0(VALU_DEP_1) | instskip(NEXT) | instid1(VALU_DEP_1)
	v_mul_f32_e32 v9, v80, v9
	v_and_b32_e32 v166, 0x7f800000, v9
	s_delay_alu instid0(VALU_DEP_1) | instskip(NEXT) | instid1(VALU_DEP_1)
	v_cmp_ne_u32_e64 s1, 0x7f800000, v166
                                        ; implicit-def: $vgpr166
	s_and_saveexec_b32 s11, s1
	s_delay_alu instid0(SALU_CYCLE_1)
	s_xor_b32 s1, exec_lo, s11
; %bb.1734:                             ;   in Loop: Header=BB428_803 Depth=1
	v_bfe_u32 v166, v9, 16, 1
	s_delay_alu instid0(VALU_DEP_1)
	v_add3_u32 v166, v9, v166, 0x7fff
                                        ; implicit-def: $vgpr9
; %bb.1735:                             ;   in Loop: Header=BB428_803 Depth=1
	s_and_not1_saveexec_b32 s11, s1
; %bb.1736:                             ;   in Loop: Header=BB428_803 Depth=1
	v_and_b32_e32 v166, 0xffff, v9
	v_or_b32_e32 v167, 0x10000, v9
	s_delay_alu instid0(VALU_DEP_2) | instskip(NEXT) | instid1(VALU_DEP_1)
	v_cmp_eq_u32_e64 s1, 0, v166
	v_cndmask_b32_e64 v166, v167, v9, s1
; %bb.1737:                             ;   in Loop: Header=BB428_803 Depth=1
	s_or_b32 exec_lo, exec_lo, s11
	v_lshlrev_b32_e32 v3, 16, v3
                                        ; implicit-def: $vgpr167
	s_delay_alu instid0(VALU_DEP_1) | instskip(NEXT) | instid1(VALU_DEP_1)
	v_mul_f32_e32 v3, v81, v3
	v_and_b32_e32 v9, 0x7f800000, v3
	s_delay_alu instid0(VALU_DEP_1) | instskip(NEXT) | instid1(VALU_DEP_1)
	v_cmp_ne_u32_e64 s1, 0x7f800000, v9
	s_and_saveexec_b32 s11, s1
	s_delay_alu instid0(SALU_CYCLE_1)
	s_xor_b32 s1, exec_lo, s11
; %bb.1738:                             ;   in Loop: Header=BB428_803 Depth=1
	v_bfe_u32 v9, v3, 16, 1
	s_delay_alu instid0(VALU_DEP_1)
	v_add3_u32 v167, v3, v9, 0x7fff
                                        ; implicit-def: $vgpr3
; %bb.1739:                             ;   in Loop: Header=BB428_803 Depth=1
	s_and_not1_saveexec_b32 s11, s1
; %bb.1740:                             ;   in Loop: Header=BB428_803 Depth=1
	v_and_b32_e32 v9, 0xffff, v3
	v_or_b32_e32 v167, 0x10000, v3
	s_delay_alu instid0(VALU_DEP_2) | instskip(NEXT) | instid1(VALU_DEP_1)
	v_cmp_eq_u32_e64 s1, 0, v9
	v_cndmask_b32_e64 v167, v167, v3, s1
; %bb.1741:                             ;   in Loop: Header=BB428_803 Depth=1
	s_or_b32 exec_lo, exec_lo, s11
	v_lshlrev_b32_e32 v2, 16, v2
                                        ; implicit-def: $vgpr176
	s_delay_alu instid0(VALU_DEP_1) | instskip(NEXT) | instid1(VALU_DEP_1)
	v_mul_f32_e32 v2, v82, v2
	v_and_b32_e32 v3, 0x7f800000, v2
	s_delay_alu instid0(VALU_DEP_1) | instskip(NEXT) | instid1(VALU_DEP_1)
	v_cmp_ne_u32_e64 s1, 0x7f800000, v3
	s_and_saveexec_b32 s11, s1
	s_delay_alu instid0(SALU_CYCLE_1)
	s_xor_b32 s1, exec_lo, s11
; %bb.1742:                             ;   in Loop: Header=BB428_803 Depth=1
	v_bfe_u32 v3, v2, 16, 1
	s_delay_alu instid0(VALU_DEP_1)
	v_add3_u32 v176, v2, v3, 0x7fff
                                        ; implicit-def: $vgpr2
; %bb.1743:                             ;   in Loop: Header=BB428_803 Depth=1
	s_and_not1_saveexec_b32 s11, s1
; %bb.1744:                             ;   in Loop: Header=BB428_803 Depth=1
	v_and_b32_e32 v3, 0xffff, v2
	v_or_b32_e32 v9, 0x10000, v2
	s_delay_alu instid0(VALU_DEP_2) | instskip(NEXT) | instid1(VALU_DEP_1)
	v_cmp_eq_u32_e64 s1, 0, v3
	v_cndmask_b32_e64 v176, v9, v2, s1
; %bb.1745:                             ;   in Loop: Header=BB428_803 Depth=1
	s_or_b32 exec_lo, exec_lo, s11
	flat_load_b64 v[0:1], v[0:1] offset:1792
	s_mov_b32 s11, exec_lo
	s_waitcnt vmcnt(0) lgkmcnt(0)
	v_dual_mov_b32 v2, 0 :: v_dual_and_b32 v3, 0xff, v0
	s_delay_alu instid0(VALU_DEP_1)
	v_cmpx_ne_u16_e32 0, v3
	s_cbranch_execz .LBB428_1753
; %bb.1746:                             ;   in Loop: Header=BB428_803 Depth=1
	v_bfrev_b32_e32 v2, 1
	s_mov_b32 s12, exec_lo
	v_cmpx_ne_u16_e32 0x80, v3
	s_cbranch_execz .LBB428_1752
; %bb.1747:                             ;   in Loop: Header=BB428_803 Depth=1
	v_and_b32_e32 v3, 0x7f, v0
	v_mov_b32_e32 v2, 0x7f800001
	s_mov_b32 s13, exec_lo
	s_delay_alu instid0(VALU_DEP_2)
	v_cmpx_ne_u32_e32 0x7f, v3
	s_cbranch_execz .LBB428_1751
; %bb.1748:                             ;   in Loop: Header=BB428_803 Depth=1
	v_lshrrev_b32_e32 v9, 3, v3
	v_cmp_gt_u32_e64 s1, 8, v3
	v_dual_mov_b32 v3, v1 :: v_dual_mov_b32 v2, v0
	s_delay_alu instid0(VALU_DEP_2)
	s_and_saveexec_b32 s15, s1
; %bb.1749:                             ;   in Loop: Header=BB428_803 Depth=1
	v_and_b32_e32 v2, 7, v0
	s_delay_alu instid0(VALU_DEP_1) | instskip(NEXT) | instid1(VALU_DEP_1)
	v_clz_i32_u32_e32 v2, v2
	v_min_u32_e32 v9, 32, v2
	s_delay_alu instid0(VALU_DEP_1) | instskip(SKIP_1) | instid1(VALU_DEP_2)
	v_subrev_nc_u32_e32 v2, 28, v9
	v_sub_nc_u32_e32 v9, 29, v9
	v_lshlrev_b64 v[2:3], v2, v[0:1]
; %bb.1750:                             ;   in Loop: Header=BB428_803 Depth=1
	s_or_b32 exec_lo, exec_lo, s15
	s_delay_alu instid0(VALU_DEP_1) | instskip(SKIP_2) | instid1(VALU_DEP_3)
	v_lshlrev_b32_e32 v2, 20, v2
	v_lshlrev_b32_e32 v3, 24, v0
	v_lshl_add_u32 v9, v9, 23, 0x3c000000
	v_and_b32_e32 v2, 0x700000, v2
	s_delay_alu instid0(VALU_DEP_3) | instskip(NEXT) | instid1(VALU_DEP_1)
	v_and_b32_e32 v3, 0x80000000, v3
	v_or3_b32 v2, v2, v3, v9
.LBB428_1751:                           ;   in Loop: Header=BB428_803 Depth=1
	s_or_b32 exec_lo, exec_lo, s13
.LBB428_1752:                           ;   in Loop: Header=BB428_803 Depth=1
	s_delay_alu instid0(SALU_CYCLE_1)
	s_or_b32 exec_lo, exec_lo, s12
.LBB428_1753:                           ;   in Loop: Header=BB428_803 Depth=1
	s_delay_alu instid0(SALU_CYCLE_1) | instskip(NEXT) | instid1(VALU_DEP_1)
	s_or_b32 exec_lo, exec_lo, s11
	v_mul_f32_e32 v2, v26, v2
                                        ; implicit-def: $vgpr177
	s_delay_alu instid0(VALU_DEP_1) | instskip(NEXT) | instid1(VALU_DEP_1)
	v_and_b32_e32 v3, 0x7f800000, v2
	v_cmp_ne_u32_e64 s1, 0x7f800000, v3
	s_delay_alu instid0(VALU_DEP_1) | instskip(NEXT) | instid1(SALU_CYCLE_1)
	s_and_saveexec_b32 s11, s1
	s_xor_b32 s1, exec_lo, s11
; %bb.1754:                             ;   in Loop: Header=BB428_803 Depth=1
	v_bfe_u32 v3, v2, 16, 1
	s_delay_alu instid0(VALU_DEP_1)
	v_add3_u32 v177, v2, v3, 0x7fff
                                        ; implicit-def: $vgpr2
; %bb.1755:                             ;   in Loop: Header=BB428_803 Depth=1
	s_and_not1_saveexec_b32 s11, s1
; %bb.1756:                             ;   in Loop: Header=BB428_803 Depth=1
	v_and_b32_e32 v3, 0xffff, v2
	v_or_b32_e32 v9, 0x10000, v2
	s_delay_alu instid0(VALU_DEP_2) | instskip(NEXT) | instid1(VALU_DEP_1)
	v_cmp_eq_u32_e64 s1, 0, v3
	v_cndmask_b32_e64 v177, v9, v2, s1
; %bb.1757:                             ;   in Loop: Header=BB428_803 Depth=1
	s_or_b32 exec_lo, exec_lo, s11
	v_lshrrev_b16 v3, 8, v0
	v_mov_b32_e32 v2, 0
	s_mov_b32 s11, exec_lo
	s_delay_alu instid0(VALU_DEP_2)
	v_cmpx_ne_u16_e32 0, v3
	s_cbranch_execz .LBB428_1765
; %bb.1758:                             ;   in Loop: Header=BB428_803 Depth=1
	v_bfrev_b32_e32 v2, 1
	s_mov_b32 s12, exec_lo
	v_cmpx_ne_u16_e32 0x80, v3
	s_cbranch_execz .LBB428_1764
; %bb.1759:                             ;   in Loop: Header=BB428_803 Depth=1
	v_and_b32_e32 v9, 0xffff, v3
	v_mov_b32_e32 v2, 0x7f800001
	s_mov_b32 s13, exec_lo
	s_delay_alu instid0(VALU_DEP_2) | instskip(NEXT) | instid1(VALU_DEP_1)
	v_and_b32_e32 v3, 0x7f, v9
	v_cmpx_ne_u32_e32 0x7f, v3
	s_cbranch_execz .LBB428_1763
; %bb.1760:                             ;   in Loop: Header=BB428_803 Depth=1
	v_and_b32_e32 v9, 7, v9
	v_lshrrev_b32_e32 v2, 3, v3
	s_mov_b32 s15, exec_lo
	v_cmpx_gt_u32_e32 8, v3
; %bb.1761:                             ;   in Loop: Header=BB428_803 Depth=1
	s_delay_alu instid0(VALU_DEP_3) | instskip(NEXT) | instid1(VALU_DEP_1)
	v_clz_i32_u32_e32 v2, v9
	v_min_u32_e32 v2, 32, v2
	s_delay_alu instid0(VALU_DEP_1) | instskip(SKIP_1) | instid1(VALU_DEP_2)
	v_subrev_nc_u32_e32 v3, 28, v2
	v_sub_nc_u32_e32 v2, 29, v2
	v_lshlrev_b64 v[178:179], v3, v[9:10]
	s_delay_alu instid0(VALU_DEP_1)
	v_and_b32_e32 v9, 7, v178
; %bb.1762:                             ;   in Loop: Header=BB428_803 Depth=1
	s_or_b32 exec_lo, exec_lo, s15
	v_lshlrev_b32_e32 v3, 16, v0
	s_delay_alu instid0(VALU_DEP_2) | instskip(SKIP_1) | instid1(VALU_DEP_3)
	v_lshlrev_b32_e32 v9, 20, v9
	v_lshl_add_u32 v2, v2, 23, 0x3c000000
	v_and_b32_e32 v3, 0x80000000, v3
	s_delay_alu instid0(VALU_DEP_1)
	v_or3_b32 v2, v9, v3, v2
.LBB428_1763:                           ;   in Loop: Header=BB428_803 Depth=1
	s_or_b32 exec_lo, exec_lo, s13
.LBB428_1764:                           ;   in Loop: Header=BB428_803 Depth=1
	s_delay_alu instid0(SALU_CYCLE_1)
	s_or_b32 exec_lo, exec_lo, s12
.LBB428_1765:                           ;   in Loop: Header=BB428_803 Depth=1
	s_delay_alu instid0(SALU_CYCLE_1) | instskip(NEXT) | instid1(VALU_DEP_1)
	s_or_b32 exec_lo, exec_lo, s11
	v_mul_f32_e32 v2, v26, v2
                                        ; implicit-def: $vgpr178
	s_delay_alu instid0(VALU_DEP_1) | instskip(NEXT) | instid1(VALU_DEP_1)
	v_and_b32_e32 v3, 0x7f800000, v2
	v_cmp_ne_u32_e64 s1, 0x7f800000, v3
	s_delay_alu instid0(VALU_DEP_1) | instskip(NEXT) | instid1(SALU_CYCLE_1)
	s_and_saveexec_b32 s11, s1
	s_xor_b32 s1, exec_lo, s11
; %bb.1766:                             ;   in Loop: Header=BB428_803 Depth=1
	v_bfe_u32 v3, v2, 16, 1
	s_delay_alu instid0(VALU_DEP_1)
	v_add3_u32 v178, v2, v3, 0x7fff
                                        ; implicit-def: $vgpr2
; %bb.1767:                             ;   in Loop: Header=BB428_803 Depth=1
	s_and_not1_saveexec_b32 s11, s1
; %bb.1768:                             ;   in Loop: Header=BB428_803 Depth=1
	v_and_b32_e32 v3, 0xffff, v2
	v_or_b32_e32 v9, 0x10000, v2
	s_delay_alu instid0(VALU_DEP_2) | instskip(NEXT) | instid1(VALU_DEP_1)
	v_cmp_eq_u32_e64 s1, 0, v3
	v_cndmask_b32_e64 v178, v9, v2, s1
; %bb.1769:                             ;   in Loop: Header=BB428_803 Depth=1
	s_or_b32 exec_lo, exec_lo, s11
	v_lshrrev_b32_e32 v2, 16, v0
	v_mov_b32_e32 v3, 0
	s_mov_b32 s11, exec_lo
	s_delay_alu instid0(VALU_DEP_2) | instskip(NEXT) | instid1(VALU_DEP_1)
	v_and_b32_e32 v9, 0xff, v2
	v_cmpx_ne_u16_e32 0, v9
	s_cbranch_execz .LBB428_1777
; %bb.1770:                             ;   in Loop: Header=BB428_803 Depth=1
	v_bfrev_b32_e32 v3, 1
	s_mov_b32 s12, exec_lo
	v_cmpx_ne_u16_e32 0x80, v9
	s_cbranch_execz .LBB428_1776
; %bb.1771:                             ;   in Loop: Header=BB428_803 Depth=1
	v_bfe_u32 v179, v0, 16, 7
	v_mov_b32_e32 v3, 0x7f800001
	s_mov_b32 s13, exec_lo
	s_delay_alu instid0(VALU_DEP_2)
	v_cmpx_ne_u32_e32 0x7f, v179
	s_cbranch_execz .LBB428_1775
; %bb.1772:                             ;   in Loop: Header=BB428_803 Depth=1
	v_and_b32_e32 v9, 7, v2
	v_lshrrev_b32_e32 v3, 3, v179
	s_mov_b32 s15, exec_lo
	v_cmpx_gt_u32_e32 8, v179
; %bb.1773:                             ;   in Loop: Header=BB428_803 Depth=1
	s_delay_alu instid0(VALU_DEP_3) | instskip(NEXT) | instid1(VALU_DEP_1)
	v_clz_i32_u32_e32 v3, v9
	v_min_u32_e32 v3, 32, v3
	s_delay_alu instid0(VALU_DEP_1) | instskip(SKIP_1) | instid1(VALU_DEP_2)
	v_subrev_nc_u32_e32 v179, 28, v3
	v_sub_nc_u32_e32 v3, 29, v3
	v_lshlrev_b64 v[179:180], v179, v[9:10]
	s_delay_alu instid0(VALU_DEP_1)
	v_and_b32_e32 v9, 7, v179
; %bb.1774:                             ;   in Loop: Header=BB428_803 Depth=1
	s_or_b32 exec_lo, exec_lo, s15
	v_lshlrev_b32_e32 v2, 24, v2
	s_delay_alu instid0(VALU_DEP_2) | instskip(SKIP_1) | instid1(VALU_DEP_3)
	v_lshlrev_b32_e32 v9, 20, v9
	v_lshl_add_u32 v3, v3, 23, 0x3c000000
	v_and_b32_e32 v2, 0x80000000, v2
	s_delay_alu instid0(VALU_DEP_1)
	v_or3_b32 v3, v9, v2, v3
.LBB428_1775:                           ;   in Loop: Header=BB428_803 Depth=1
	s_or_b32 exec_lo, exec_lo, s13
.LBB428_1776:                           ;   in Loop: Header=BB428_803 Depth=1
	s_delay_alu instid0(SALU_CYCLE_1)
	s_or_b32 exec_lo, exec_lo, s12
.LBB428_1777:                           ;   in Loop: Header=BB428_803 Depth=1
	s_delay_alu instid0(SALU_CYCLE_1) | instskip(NEXT) | instid1(VALU_DEP_1)
	s_or_b32 exec_lo, exec_lo, s11
	v_mul_f32_e32 v2, v26, v3
                                        ; implicit-def: $vgpr179
	s_delay_alu instid0(VALU_DEP_1) | instskip(NEXT) | instid1(VALU_DEP_1)
	v_and_b32_e32 v3, 0x7f800000, v2
	v_cmp_ne_u32_e64 s1, 0x7f800000, v3
	s_delay_alu instid0(VALU_DEP_1) | instskip(NEXT) | instid1(SALU_CYCLE_1)
	s_and_saveexec_b32 s11, s1
	s_xor_b32 s1, exec_lo, s11
; %bb.1778:                             ;   in Loop: Header=BB428_803 Depth=1
	v_bfe_u32 v3, v2, 16, 1
	s_delay_alu instid0(VALU_DEP_1)
	v_add3_u32 v179, v2, v3, 0x7fff
                                        ; implicit-def: $vgpr2
; %bb.1779:                             ;   in Loop: Header=BB428_803 Depth=1
	s_and_not1_saveexec_b32 s11, s1
; %bb.1780:                             ;   in Loop: Header=BB428_803 Depth=1
	v_and_b32_e32 v3, 0xffff, v2
	v_or_b32_e32 v9, 0x10000, v2
	s_delay_alu instid0(VALU_DEP_2) | instskip(NEXT) | instid1(VALU_DEP_1)
	v_cmp_eq_u32_e64 s1, 0, v3
	v_cndmask_b32_e64 v179, v9, v2, s1
; %bb.1781:                             ;   in Loop: Header=BB428_803 Depth=1
	s_or_b32 exec_lo, exec_lo, s11
	v_mov_b32_e32 v3, 0
	s_mov_b32 s11, exec_lo
	v_cmpx_lt_u32_e32 0xffffff, v0
	s_cbranch_execz .LBB428_1789
; %bb.1782:                             ;   in Loop: Header=BB428_803 Depth=1
	v_lshrrev_b32_e32 v2, 24, v0
	v_bfrev_b32_e32 v3, 1
	s_mov_b32 s12, exec_lo
	s_delay_alu instid0(VALU_DEP_2)
	v_cmpx_ne_u32_e32 0x80, v2
	s_cbranch_execz .LBB428_1788
; %bb.1783:                             ;   in Loop: Header=BB428_803 Depth=1
	v_bfe_u32 v180, v0, 24, 7
	v_mov_b32_e32 v3, 0x7f800001
	s_mov_b32 s13, exec_lo
	s_delay_alu instid0(VALU_DEP_2)
	v_cmpx_ne_u32_e32 0x7f, v180
	s_cbranch_execz .LBB428_1787
; %bb.1784:                             ;   in Loop: Header=BB428_803 Depth=1
	v_and_b32_e32 v9, 7, v2
	v_lshrrev_b32_e32 v3, 3, v180
	s_mov_b32 s15, exec_lo
	v_cmpx_gt_u32_e32 8, v180
; %bb.1785:                             ;   in Loop: Header=BB428_803 Depth=1
	s_delay_alu instid0(VALU_DEP_3) | instskip(NEXT) | instid1(VALU_DEP_1)
	v_clz_i32_u32_e32 v3, v9
	v_min_u32_e32 v3, 32, v3
	s_delay_alu instid0(VALU_DEP_1) | instskip(SKIP_1) | instid1(VALU_DEP_2)
	v_subrev_nc_u32_e32 v180, 28, v3
	v_sub_nc_u32_e32 v3, 29, v3
	v_lshlrev_b64 v[180:181], v180, v[9:10]
	s_delay_alu instid0(VALU_DEP_1)
	v_and_b32_e32 v9, 7, v180
; %bb.1786:                             ;   in Loop: Header=BB428_803 Depth=1
	s_or_b32 exec_lo, exec_lo, s15
	v_lshlrev_b32_e32 v2, 24, v2
	s_delay_alu instid0(VALU_DEP_2) | instskip(SKIP_1) | instid1(VALU_DEP_3)
	v_lshlrev_b32_e32 v9, 20, v9
	v_lshl_add_u32 v3, v3, 23, 0x3c000000
	v_and_b32_e32 v2, 0x80000000, v2
	s_delay_alu instid0(VALU_DEP_1)
	v_or3_b32 v3, v9, v2, v3
.LBB428_1787:                           ;   in Loop: Header=BB428_803 Depth=1
	s_or_b32 exec_lo, exec_lo, s13
.LBB428_1788:                           ;   in Loop: Header=BB428_803 Depth=1
	s_delay_alu instid0(SALU_CYCLE_1)
	s_or_b32 exec_lo, exec_lo, s12
.LBB428_1789:                           ;   in Loop: Header=BB428_803 Depth=1
	s_delay_alu instid0(SALU_CYCLE_1) | instskip(NEXT) | instid1(VALU_DEP_1)
	s_or_b32 exec_lo, exec_lo, s11
	v_mul_f32_e32 v2, v26, v3
                                        ; implicit-def: $vgpr180
	s_delay_alu instid0(VALU_DEP_1) | instskip(NEXT) | instid1(VALU_DEP_1)
	v_and_b32_e32 v3, 0x7f800000, v2
	v_cmp_ne_u32_e64 s1, 0x7f800000, v3
	s_delay_alu instid0(VALU_DEP_1) | instskip(NEXT) | instid1(SALU_CYCLE_1)
	s_and_saveexec_b32 s11, s1
	s_xor_b32 s1, exec_lo, s11
; %bb.1790:                             ;   in Loop: Header=BB428_803 Depth=1
	v_bfe_u32 v3, v2, 16, 1
	s_delay_alu instid0(VALU_DEP_1)
	v_add3_u32 v180, v2, v3, 0x7fff
                                        ; implicit-def: $vgpr2
; %bb.1791:                             ;   in Loop: Header=BB428_803 Depth=1
	s_and_not1_saveexec_b32 s11, s1
; %bb.1792:                             ;   in Loop: Header=BB428_803 Depth=1
	v_and_b32_e32 v3, 0xffff, v2
	v_or_b32_e32 v9, 0x10000, v2
	s_delay_alu instid0(VALU_DEP_2) | instskip(NEXT) | instid1(VALU_DEP_1)
	v_cmp_eq_u32_e64 s1, 0, v3
	v_cndmask_b32_e64 v180, v9, v2, s1
; %bb.1793:                             ;   in Loop: Header=BB428_803 Depth=1
	s_or_b32 exec_lo, exec_lo, s11
	v_dual_mov_b32 v2, 0 :: v_dual_and_b32 v3, 0xff, v1
	v_mov_b32_e32 v9, v1
	s_mov_b32 s11, exec_lo
	s_delay_alu instid0(VALU_DEP_2)
	v_cmpx_ne_u16_e32 0, v3
	s_cbranch_execz .LBB428_1801
; %bb.1794:                             ;   in Loop: Header=BB428_803 Depth=1
	v_bfrev_b32_e32 v2, 1
	s_mov_b32 s12, exec_lo
	v_cmpx_ne_u16_e32 0x80, v3
	s_cbranch_execz .LBB428_1800
; %bb.1795:                             ;   in Loop: Header=BB428_803 Depth=1
	v_and_b32_e32 v3, 0x7f, v1
	v_mov_b32_e32 v2, 0x7f800001
	s_mov_b32 s13, exec_lo
	s_delay_alu instid0(VALU_DEP_2)
	v_cmpx_ne_u32_e32 0x7f, v3
	s_cbranch_execz .LBB428_1799
; %bb.1796:                             ;   in Loop: Header=BB428_803 Depth=1
	v_lshrrev_b32_e32 v181, 3, v3
	v_cmp_gt_u32_e64 s1, 8, v3
	v_dual_mov_b32 v2, v9 :: v_dual_mov_b32 v3, v10
	s_delay_alu instid0(VALU_DEP_2)
	s_and_saveexec_b32 s15, s1
; %bb.1797:                             ;   in Loop: Header=BB428_803 Depth=1
	v_and_b32_e32 v2, 7, v1
	s_delay_alu instid0(VALU_DEP_1) | instskip(NEXT) | instid1(VALU_DEP_1)
	v_clz_i32_u32_e32 v2, v2
	v_min_u32_e32 v181, 32, v2
	s_delay_alu instid0(VALU_DEP_1) | instskip(SKIP_1) | instid1(VALU_DEP_2)
	v_subrev_nc_u32_e32 v2, 28, v181
	v_sub_nc_u32_e32 v181, 29, v181
	v_lshlrev_b64 v[2:3], v2, v[9:10]
; %bb.1798:                             ;   in Loop: Header=BB428_803 Depth=1
	s_or_b32 exec_lo, exec_lo, s15
	s_delay_alu instid0(VALU_DEP_1) | instskip(SKIP_2) | instid1(VALU_DEP_3)
	v_lshlrev_b32_e32 v2, 20, v2
	v_lshlrev_b32_e32 v3, 24, v9
	v_lshl_add_u32 v181, v181, 23, 0x3c000000
	v_and_b32_e32 v2, 0x700000, v2
	s_delay_alu instid0(VALU_DEP_3) | instskip(NEXT) | instid1(VALU_DEP_1)
	v_and_b32_e32 v3, 0x80000000, v3
	v_or3_b32 v2, v2, v3, v181
.LBB428_1799:                           ;   in Loop: Header=BB428_803 Depth=1
	s_or_b32 exec_lo, exec_lo, s13
.LBB428_1800:                           ;   in Loop: Header=BB428_803 Depth=1
	s_delay_alu instid0(SALU_CYCLE_1)
	s_or_b32 exec_lo, exec_lo, s12
.LBB428_1801:                           ;   in Loop: Header=BB428_803 Depth=1
	s_delay_alu instid0(SALU_CYCLE_1) | instskip(NEXT) | instid1(VALU_DEP_1)
	s_or_b32 exec_lo, exec_lo, s11
	v_mul_f32_e32 v2, v26, v2
                                        ; implicit-def: $vgpr181
	s_delay_alu instid0(VALU_DEP_1) | instskip(NEXT) | instid1(VALU_DEP_1)
	v_and_b32_e32 v3, 0x7f800000, v2
	v_cmp_ne_u32_e64 s1, 0x7f800000, v3
	s_delay_alu instid0(VALU_DEP_1) | instskip(NEXT) | instid1(SALU_CYCLE_1)
	s_and_saveexec_b32 s11, s1
	s_xor_b32 s1, exec_lo, s11
; %bb.1802:                             ;   in Loop: Header=BB428_803 Depth=1
	v_bfe_u32 v3, v2, 16, 1
	s_delay_alu instid0(VALU_DEP_1)
	v_add3_u32 v181, v2, v3, 0x7fff
                                        ; implicit-def: $vgpr2
; %bb.1803:                             ;   in Loop: Header=BB428_803 Depth=1
	s_and_not1_saveexec_b32 s11, s1
; %bb.1804:                             ;   in Loop: Header=BB428_803 Depth=1
	v_and_b32_e32 v3, 0xffff, v2
	v_or_b32_e32 v181, 0x10000, v2
	s_delay_alu instid0(VALU_DEP_2) | instskip(NEXT) | instid1(VALU_DEP_1)
	v_cmp_eq_u32_e64 s1, 0, v3
	v_cndmask_b32_e64 v181, v181, v2, s1
; %bb.1805:                             ;   in Loop: Header=BB428_803 Depth=1
	s_or_b32 exec_lo, exec_lo, s11
	v_lshrrev_b16 v3, 8, v9
	v_mov_b32_e32 v2, 0
	s_mov_b32 s11, exec_lo
	s_delay_alu instid0(VALU_DEP_2)
	v_cmpx_ne_u16_e32 0, v3
	s_cbranch_execz .LBB428_1813
; %bb.1806:                             ;   in Loop: Header=BB428_803 Depth=1
	v_bfrev_b32_e32 v2, 1
	s_mov_b32 s12, exec_lo
	v_cmpx_ne_u16_e32 0x80, v3
	s_cbranch_execz .LBB428_1812
; %bb.1807:                             ;   in Loop: Header=BB428_803 Depth=1
	v_and_b32_e32 v3, 0xffff, v3
	v_mov_b32_e32 v2, 0x7f800001
	s_mov_b32 s13, exec_lo
	s_delay_alu instid0(VALU_DEP_2) | instskip(NEXT) | instid1(VALU_DEP_1)
	v_and_b32_e32 v183, 0x7f, v3
	v_cmpx_ne_u32_e32 0x7f, v183
	s_cbranch_execz .LBB428_1811
; %bb.1808:                             ;   in Loop: Header=BB428_803 Depth=1
	v_dual_mov_b32 v3, v10 :: v_dual_and_b32 v2, 7, v3
	v_lshrrev_b32_e32 v182, 3, v183
	s_mov_b32 s15, exec_lo
	v_cmpx_gt_u32_e32 8, v183
; %bb.1809:                             ;   in Loop: Header=BB428_803 Depth=1
	s_delay_alu instid0(VALU_DEP_3) | instskip(NEXT) | instid1(VALU_DEP_1)
	v_clz_i32_u32_e32 v182, v2
	v_min_u32_e32 v182, 32, v182
	s_delay_alu instid0(VALU_DEP_1) | instskip(SKIP_1) | instid1(VALU_DEP_2)
	v_subrev_nc_u32_e32 v183, 28, v182
	v_sub_nc_u32_e32 v182, 29, v182
	v_lshlrev_b64 v[2:3], v183, v[2:3]
	s_delay_alu instid0(VALU_DEP_1)
	v_and_b32_e32 v2, 7, v2
; %bb.1810:                             ;   in Loop: Header=BB428_803 Depth=1
	s_or_b32 exec_lo, exec_lo, s15
	v_lshlrev_b32_e32 v3, 16, v9
	s_delay_alu instid0(VALU_DEP_2) | instskip(SKIP_1) | instid1(VALU_DEP_3)
	v_lshlrev_b32_e32 v2, 20, v2
	v_lshl_add_u32 v9, v182, 23, 0x3c000000
	v_and_b32_e32 v3, 0x80000000, v3
	s_delay_alu instid0(VALU_DEP_1)
	v_or3_b32 v2, v2, v3, v9
.LBB428_1811:                           ;   in Loop: Header=BB428_803 Depth=1
	s_or_b32 exec_lo, exec_lo, s13
.LBB428_1812:                           ;   in Loop: Header=BB428_803 Depth=1
	s_delay_alu instid0(SALU_CYCLE_1)
	s_or_b32 exec_lo, exec_lo, s12
.LBB428_1813:                           ;   in Loop: Header=BB428_803 Depth=1
	s_delay_alu instid0(SALU_CYCLE_1) | instskip(NEXT) | instid1(VALU_DEP_1)
	s_or_b32 exec_lo, exec_lo, s11
	v_mul_f32_e32 v3, v26, v2
	s_delay_alu instid0(VALU_DEP_1) | instskip(NEXT) | instid1(VALU_DEP_1)
	v_and_b32_e32 v2, 0x7f800000, v3
	v_cmp_ne_u32_e64 s1, 0x7f800000, v2
                                        ; implicit-def: $vgpr2
	s_delay_alu instid0(VALU_DEP_1) | instskip(NEXT) | instid1(SALU_CYCLE_1)
	s_and_saveexec_b32 s11, s1
	s_xor_b32 s1, exec_lo, s11
; %bb.1814:                             ;   in Loop: Header=BB428_803 Depth=1
	v_bfe_u32 v2, v3, 16, 1
	s_delay_alu instid0(VALU_DEP_1)
	v_add3_u32 v2, v3, v2, 0x7fff
                                        ; implicit-def: $vgpr3
; %bb.1815:                             ;   in Loop: Header=BB428_803 Depth=1
	s_and_not1_saveexec_b32 s11, s1
; %bb.1816:                             ;   in Loop: Header=BB428_803 Depth=1
	v_and_b32_e32 v2, 0xffff, v3
	v_or_b32_e32 v9, 0x10000, v3
	s_delay_alu instid0(VALU_DEP_2) | instskip(NEXT) | instid1(VALU_DEP_1)
	v_cmp_eq_u32_e64 s1, 0, v2
	v_cndmask_b32_e64 v2, v9, v3, s1
; %bb.1817:                             ;   in Loop: Header=BB428_803 Depth=1
	s_or_b32 exec_lo, exec_lo, s11
	v_lshrrev_b32_e32 v3, 16, v1
	s_mov_b32 s11, exec_lo
	s_delay_alu instid0(VALU_DEP_1) | instskip(NEXT) | instid1(VALU_DEP_1)
	v_dual_mov_b32 v9, 0 :: v_dual_and_b32 v182, 0xff, v3
	v_cmpx_ne_u16_e64 0, v182
	s_cbranch_execz .LBB428_1825
; %bb.1818:                             ;   in Loop: Header=BB428_803 Depth=1
	v_bfrev_b32_e32 v9, 1
	s_mov_b32 s12, exec_lo
	v_cmpx_ne_u16_e64 0x80, v182
	s_cbranch_execz .LBB428_1824
; %bb.1819:                             ;   in Loop: Header=BB428_803 Depth=1
	v_bfe_u32 v183, v1, 16, 7
	v_mov_b32_e32 v9, 0x7f800001
	s_mov_b32 s13, exec_lo
	s_delay_alu instid0(VALU_DEP_2)
	v_cmpx_ne_u32_e32 0x7f, v183
	s_cbranch_execz .LBB428_1823
; %bb.1820:                             ;   in Loop: Header=BB428_803 Depth=1
	v_and_b32_e32 v9, 7, v3
	v_lshrrev_b32_e32 v182, 3, v183
	s_mov_b32 s15, exec_lo
	v_cmpx_gt_u32_e32 8, v183
; %bb.1821:                             ;   in Loop: Header=BB428_803 Depth=1
	s_delay_alu instid0(VALU_DEP_3) | instskip(NEXT) | instid1(VALU_DEP_1)
	v_clz_i32_u32_e32 v182, v9
	v_min_u32_e32 v182, 32, v182
	s_delay_alu instid0(VALU_DEP_1) | instskip(SKIP_1) | instid1(VALU_DEP_2)
	v_subrev_nc_u32_e32 v183, 28, v182
	v_sub_nc_u32_e32 v182, 29, v182
	v_lshlrev_b64 v[40:41], v183, v[9:10]
	s_delay_alu instid0(VALU_DEP_1)
	v_and_b32_e32 v9, 7, v40
; %bb.1822:                             ;   in Loop: Header=BB428_803 Depth=1
	s_or_b32 exec_lo, exec_lo, s15
	v_lshlrev_b32_e32 v3, 24, v3
	s_delay_alu instid0(VALU_DEP_2) | instskip(SKIP_1) | instid1(VALU_DEP_3)
	v_lshlrev_b32_e32 v9, 20, v9
	v_lshl_add_u32 v182, v182, 23, 0x3c000000
	v_and_b32_e32 v3, 0x80000000, v3
	s_delay_alu instid0(VALU_DEP_1)
	v_or3_b32 v9, v9, v3, v182
.LBB428_1823:                           ;   in Loop: Header=BB428_803 Depth=1
	s_or_b32 exec_lo, exec_lo, s13
.LBB428_1824:                           ;   in Loop: Header=BB428_803 Depth=1
	s_delay_alu instid0(SALU_CYCLE_1)
	s_or_b32 exec_lo, exec_lo, s12
.LBB428_1825:                           ;   in Loop: Header=BB428_803 Depth=1
	s_delay_alu instid0(SALU_CYCLE_1) | instskip(NEXT) | instid1(VALU_DEP_1)
	s_or_b32 exec_lo, exec_lo, s11
	v_mul_f32_e32 v3, v26, v9
                                        ; implicit-def: $vgpr183
	s_delay_alu instid0(VALU_DEP_1) | instskip(NEXT) | instid1(VALU_DEP_1)
	v_and_b32_e32 v9, 0x7f800000, v3
	v_cmp_ne_u32_e64 s1, 0x7f800000, v9
	s_delay_alu instid0(VALU_DEP_1) | instskip(NEXT) | instid1(SALU_CYCLE_1)
	s_and_saveexec_b32 s11, s1
	s_xor_b32 s1, exec_lo, s11
; %bb.1826:                             ;   in Loop: Header=BB428_803 Depth=1
	v_bfe_u32 v9, v3, 16, 1
	s_delay_alu instid0(VALU_DEP_1)
	v_add3_u32 v183, v3, v9, 0x7fff
                                        ; implicit-def: $vgpr3
; %bb.1827:                             ;   in Loop: Header=BB428_803 Depth=1
	s_and_not1_saveexec_b32 s11, s1
; %bb.1828:                             ;   in Loop: Header=BB428_803 Depth=1
	v_and_b32_e32 v9, 0xffff, v3
	v_or_b32_e32 v182, 0x10000, v3
	s_delay_alu instid0(VALU_DEP_2) | instskip(NEXT) | instid1(VALU_DEP_1)
	v_cmp_eq_u32_e64 s1, 0, v9
	v_cndmask_b32_e64 v183, v182, v3, s1
; %bb.1829:                             ;   in Loop: Header=BB428_803 Depth=1
	s_or_b32 exec_lo, exec_lo, s11
	v_mov_b32_e32 v3, 0
	s_mov_b32 s11, exec_lo
	v_cmpx_lt_u64_e64 s[2:3], v[0:1]
	s_cbranch_execz .LBB428_1837
; %bb.1830:                             ;   in Loop: Header=BB428_803 Depth=1
	v_lshrrev_b32_e32 v0, 24, v1
	v_bfrev_b32_e32 v3, 1
	s_mov_b32 s12, exec_lo
	s_delay_alu instid0(VALU_DEP_2)
	v_cmpx_ne_u32_e32 0x80, v0
	s_cbranch_execz .LBB428_1836
; %bb.1831:                             ;   in Loop: Header=BB428_803 Depth=1
	v_bfe_u32 v182, v1, 24, 7
	v_mov_b32_e32 v3, 0x7f800001
	s_mov_b32 s13, exec_lo
	s_delay_alu instid0(VALU_DEP_2)
	v_cmpx_ne_u32_e32 0x7f, v182
	s_cbranch_execz .LBB428_1835
; %bb.1832:                             ;   in Loop: Header=BB428_803 Depth=1
	v_and_b32_e32 v9, 7, v0
	v_lshrrev_b32_e32 v1, 3, v182
	s_mov_b32 s15, exec_lo
	v_cmpx_gt_u32_e32 8, v182
; %bb.1833:                             ;   in Loop: Header=BB428_803 Depth=1
	s_delay_alu instid0(VALU_DEP_3) | instskip(NEXT) | instid1(VALU_DEP_1)
	v_clz_i32_u32_e32 v1, v9
	v_min_u32_e32 v1, 32, v1
	s_delay_alu instid0(VALU_DEP_1) | instskip(SKIP_1) | instid1(VALU_DEP_2)
	v_subrev_nc_u32_e32 v3, 28, v1
	v_sub_nc_u32_e32 v1, 29, v1
	v_lshlrev_b64 v[40:41], v3, v[9:10]
	s_delay_alu instid0(VALU_DEP_1)
	v_and_b32_e32 v9, 7, v40
; %bb.1834:                             ;   in Loop: Header=BB428_803 Depth=1
	s_or_b32 exec_lo, exec_lo, s15
	v_lshlrev_b32_e32 v0, 24, v0
	s_delay_alu instid0(VALU_DEP_2) | instskip(SKIP_1) | instid1(VALU_DEP_3)
	v_lshlrev_b32_e32 v3, 20, v9
	v_lshl_add_u32 v1, v1, 23, 0x3c000000
	v_and_b32_e32 v0, 0x80000000, v0
	s_delay_alu instid0(VALU_DEP_1)
	v_or3_b32 v3, v3, v0, v1
.LBB428_1835:                           ;   in Loop: Header=BB428_803 Depth=1
	s_or_b32 exec_lo, exec_lo, s13
.LBB428_1836:                           ;   in Loop: Header=BB428_803 Depth=1
	s_delay_alu instid0(SALU_CYCLE_1)
	s_or_b32 exec_lo, exec_lo, s12
.LBB428_1837:                           ;   in Loop: Header=BB428_803 Depth=1
	s_delay_alu instid0(SALU_CYCLE_1) | instskip(NEXT) | instid1(VALU_DEP_1)
	s_or_b32 exec_lo, exec_lo, s11
	v_mul_f32_e32 v0, v26, v3
                                        ; implicit-def: $vgpr40
	s_delay_alu instid0(VALU_DEP_1) | instskip(NEXT) | instid1(VALU_DEP_1)
	v_and_b32_e32 v1, 0x7f800000, v0
	v_cmp_ne_u32_e64 s1, 0x7f800000, v1
	s_delay_alu instid0(VALU_DEP_1) | instskip(NEXT) | instid1(SALU_CYCLE_1)
	s_and_saveexec_b32 s11, s1
	s_xor_b32 s1, exec_lo, s11
; %bb.1838:                             ;   in Loop: Header=BB428_803 Depth=1
	v_bfe_u32 v1, v0, 16, 1
	s_delay_alu instid0(VALU_DEP_1)
	v_add3_u32 v40, v0, v1, 0x7fff
                                        ; implicit-def: $vgpr0
; %bb.1839:                             ;   in Loop: Header=BB428_803 Depth=1
	s_and_not1_saveexec_b32 s11, s1
; %bb.1840:                             ;   in Loop: Header=BB428_803 Depth=1
	v_and_b32_e32 v1, 0xffff, v0
	v_or_b32_e32 v3, 0x10000, v0
	s_delay_alu instid0(VALU_DEP_2) | instskip(NEXT) | instid1(VALU_DEP_1)
	v_cmp_eq_u32_e64 s1, 0, v1
	v_cndmask_b32_e64 v40, v3, v0, s1
; %bb.1841:                             ;   in Loop: Header=BB428_803 Depth=1
	s_or_b32 exec_lo, exec_lo, s11
	v_lshrrev_b32_e32 v182, 16, v2
	v_lshrrev_b32_e32 v9, 16, v181
	;; [unrolled: 1-line block ×8, first 2 shown]
	s_and_saveexec_b32 s1, vcc_lo
	s_cbranch_execz .LBB428_1843
; %bb.1842:                             ;   in Loop: Header=BB428_803 Depth=1
	v_cmp_lt_i32_e32 vcc_lo, v52, v33
	v_cndmask_b32_e32 v0, 0, v0, vcc_lo
	v_cmp_lt_i32_e32 vcc_lo, v66, v33
	v_cndmask_b32_e32 v1, 0, v1, vcc_lo
	;; [unrolled: 2-line block ×8, first 2 shown]
.LBB428_1843:                           ;   in Loop: Header=BB428_803 Depth=1
	s_or_b32 exec_lo, exec_lo, s1
	v_lshlrev_b32_e32 v0, 16, v0
	s_delay_alu instid0(VALU_DEP_1) | instskip(NEXT) | instid1(VALU_DEP_1)
	v_mul_f32_e32 v52, v67, v0
	v_and_b32_e32 v0, 0x7f800000, v52
	s_delay_alu instid0(VALU_DEP_1) | instskip(SKIP_1) | instid1(SALU_CYCLE_1)
	v_cmp_ne_u32_e32 vcc_lo, 0x7f800000, v0
                                        ; implicit-def: $vgpr0
	s_and_saveexec_b32 s1, vcc_lo
	s_xor_b32 s1, exec_lo, s1
; %bb.1844:                             ;   in Loop: Header=BB428_803 Depth=1
	v_bfe_u32 v0, v52, 16, 1
	s_delay_alu instid0(VALU_DEP_1)
	v_add3_u32 v0, v52, v0, 0x7fff
                                        ; implicit-def: $vgpr52
; %bb.1845:                             ;   in Loop: Header=BB428_803 Depth=1
	s_and_not1_saveexec_b32 s1, s1
; %bb.1846:                             ;   in Loop: Header=BB428_803 Depth=1
	v_and_b32_e32 v0, 0xffff, v52
	v_or_b32_e32 v53, 0x10000, v52
	s_delay_alu instid0(VALU_DEP_2) | instskip(NEXT) | instid1(VALU_DEP_2)
	v_cmp_eq_u32_e32 vcc_lo, 0, v0
	v_cndmask_b32_e32 v0, v53, v52, vcc_lo
; %bb.1847:                             ;   in Loop: Header=BB428_803 Depth=1
	s_or_b32 exec_lo, exec_lo, s1
	v_lshlrev_b32_e32 v1, 16, v1
	s_delay_alu instid0(VALU_DEP_1) | instskip(NEXT) | instid1(VALU_DEP_1)
	v_mul_f32_e32 v52, v68, v1
	v_and_b32_e32 v1, 0x7f800000, v52
	s_delay_alu instid0(VALU_DEP_1) | instskip(SKIP_1) | instid1(SALU_CYCLE_1)
	v_cmp_ne_u32_e32 vcc_lo, 0x7f800000, v1
                                        ; implicit-def: $vgpr1
	s_and_saveexec_b32 s1, vcc_lo
	s_xor_b32 s1, exec_lo, s1
; %bb.1848:                             ;   in Loop: Header=BB428_803 Depth=1
	v_bfe_u32 v1, v52, 16, 1
	s_delay_alu instid0(VALU_DEP_1)
	v_add3_u32 v1, v52, v1, 0x7fff
                                        ; implicit-def: $vgpr52
; %bb.1849:                             ;   in Loop: Header=BB428_803 Depth=1
	s_and_not1_saveexec_b32 s1, s1
; %bb.1850:                             ;   in Loop: Header=BB428_803 Depth=1
	v_and_b32_e32 v1, 0xffff, v52
	v_or_b32_e32 v53, 0x10000, v52
	s_delay_alu instid0(VALU_DEP_2) | instskip(NEXT) | instid1(VALU_DEP_2)
	v_cmp_eq_u32_e32 vcc_lo, 0, v1
	v_cndmask_b32_e32 v1, v53, v52, vcc_lo
; %bb.1851:                             ;   in Loop: Header=BB428_803 Depth=1
	s_or_b32 exec_lo, exec_lo, s1
	v_lshlrev_b32_e32 v2, 16, v2
	s_delay_alu instid0(VALU_DEP_1) | instskip(NEXT) | instid1(VALU_DEP_1)
	v_mul_f32_e32 v52, v69, v2
	v_and_b32_e32 v2, 0x7f800000, v52
	s_delay_alu instid0(VALU_DEP_1) | instskip(SKIP_1) | instid1(SALU_CYCLE_1)
	v_cmp_ne_u32_e32 vcc_lo, 0x7f800000, v2
                                        ; implicit-def: $vgpr2
	s_and_saveexec_b32 s1, vcc_lo
	s_xor_b32 s1, exec_lo, s1
; %bb.1852:                             ;   in Loop: Header=BB428_803 Depth=1
	v_bfe_u32 v2, v52, 16, 1
	s_delay_alu instid0(VALU_DEP_1)
	v_add3_u32 v2, v52, v2, 0x7fff
                                        ; implicit-def: $vgpr52
; %bb.1853:                             ;   in Loop: Header=BB428_803 Depth=1
	s_and_not1_saveexec_b32 s1, s1
; %bb.1854:                             ;   in Loop: Header=BB428_803 Depth=1
	v_and_b32_e32 v2, 0xffff, v52
	v_or_b32_e32 v53, 0x10000, v52
	s_delay_alu instid0(VALU_DEP_2) | instskip(NEXT) | instid1(VALU_DEP_2)
	v_cmp_eq_u32_e32 vcc_lo, 0, v2
	v_cndmask_b32_e32 v2, v53, v52, vcc_lo
; %bb.1855:                             ;   in Loop: Header=BB428_803 Depth=1
	s_or_b32 exec_lo, exec_lo, s1
	v_lshlrev_b32_e32 v3, 16, v3
	s_delay_alu instid0(VALU_DEP_1) | instskip(NEXT) | instid1(VALU_DEP_1)
	v_mul_f32_e32 v52, v70, v3
	v_and_b32_e32 v3, 0x7f800000, v52
	s_delay_alu instid0(VALU_DEP_1) | instskip(SKIP_1) | instid1(SALU_CYCLE_1)
	v_cmp_ne_u32_e32 vcc_lo, 0x7f800000, v3
                                        ; implicit-def: $vgpr3
	s_and_saveexec_b32 s1, vcc_lo
	s_xor_b32 s1, exec_lo, s1
; %bb.1856:                             ;   in Loop: Header=BB428_803 Depth=1
	v_bfe_u32 v3, v52, 16, 1
	s_delay_alu instid0(VALU_DEP_1)
	v_add3_u32 v3, v52, v3, 0x7fff
                                        ; implicit-def: $vgpr52
; %bb.1857:                             ;   in Loop: Header=BB428_803 Depth=1
	s_and_not1_saveexec_b32 s1, s1
; %bb.1858:                             ;   in Loop: Header=BB428_803 Depth=1
	v_and_b32_e32 v3, 0xffff, v52
	v_or_b32_e32 v53, 0x10000, v52
	s_delay_alu instid0(VALU_DEP_2) | instskip(NEXT) | instid1(VALU_DEP_2)
	v_cmp_eq_u32_e32 vcc_lo, 0, v3
	v_cndmask_b32_e32 v3, v53, v52, vcc_lo
; %bb.1859:                             ;   in Loop: Header=BB428_803 Depth=1
	s_or_b32 exec_lo, exec_lo, s1
	v_lshlrev_b32_e32 v9, 16, v9
	s_delay_alu instid0(VALU_DEP_1) | instskip(NEXT) | instid1(VALU_DEP_1)
	v_mul_f32_e32 v52, v71, v9
	v_and_b32_e32 v9, 0x7f800000, v52
	s_delay_alu instid0(VALU_DEP_1) | instskip(SKIP_1) | instid1(SALU_CYCLE_1)
	v_cmp_ne_u32_e32 vcc_lo, 0x7f800000, v9
                                        ; implicit-def: $vgpr9
	s_and_saveexec_b32 s1, vcc_lo
	s_xor_b32 s1, exec_lo, s1
; %bb.1860:                             ;   in Loop: Header=BB428_803 Depth=1
	v_bfe_u32 v9, v52, 16, 1
	s_delay_alu instid0(VALU_DEP_1)
	v_add3_u32 v9, v52, v9, 0x7fff
                                        ; implicit-def: $vgpr52
; %bb.1861:                             ;   in Loop: Header=BB428_803 Depth=1
	s_and_not1_saveexec_b32 s1, s1
; %bb.1862:                             ;   in Loop: Header=BB428_803 Depth=1
	v_and_b32_e32 v9, 0xffff, v52
	v_or_b32_e32 v53, 0x10000, v52
	s_delay_alu instid0(VALU_DEP_2) | instskip(NEXT) | instid1(VALU_DEP_2)
	v_cmp_eq_u32_e32 vcc_lo, 0, v9
	v_cndmask_b32_e32 v9, v53, v52, vcc_lo
; %bb.1863:                             ;   in Loop: Header=BB428_803 Depth=1
	s_or_b32 exec_lo, exec_lo, s1
	v_lshlrev_b32_e32 v52, 16, v182
	s_delay_alu instid0(VALU_DEP_1) | instskip(NEXT) | instid1(VALU_DEP_1)
	v_mul_f32_e32 v53, v80, v52
	v_and_b32_e32 v52, 0x7f800000, v53
	s_delay_alu instid0(VALU_DEP_1) | instskip(SKIP_1) | instid1(SALU_CYCLE_1)
	v_cmp_ne_u32_e32 vcc_lo, 0x7f800000, v52
                                        ; implicit-def: $vgpr52
	s_and_saveexec_b32 s1, vcc_lo
	s_xor_b32 s1, exec_lo, s1
; %bb.1864:                             ;   in Loop: Header=BB428_803 Depth=1
	v_bfe_u32 v52, v53, 16, 1
	s_delay_alu instid0(VALU_DEP_1)
	v_add3_u32 v52, v53, v52, 0x7fff
                                        ; implicit-def: $vgpr53
; %bb.1865:                             ;   in Loop: Header=BB428_803 Depth=1
	s_and_not1_saveexec_b32 s1, s1
; %bb.1866:                             ;   in Loop: Header=BB428_803 Depth=1
	v_and_b32_e32 v52, 0xffff, v53
	v_or_b32_e32 v54, 0x10000, v53
	s_delay_alu instid0(VALU_DEP_2) | instskip(NEXT) | instid1(VALU_DEP_2)
	v_cmp_eq_u32_e32 vcc_lo, 0, v52
	v_cndmask_b32_e32 v52, v54, v53, vcc_lo
; %bb.1867:                             ;   in Loop: Header=BB428_803 Depth=1
	s_or_b32 exec_lo, exec_lo, s1
	v_lshlrev_b32_e32 v53, 16, v178
	s_delay_alu instid0(VALU_DEP_1) | instskip(NEXT) | instid1(VALU_DEP_1)
	v_mul_f32_e32 v54, v81, v53
	v_and_b32_e32 v53, 0x7f800000, v54
	s_delay_alu instid0(VALU_DEP_1) | instskip(SKIP_1) | instid1(SALU_CYCLE_1)
	v_cmp_ne_u32_e32 vcc_lo, 0x7f800000, v53
                                        ; implicit-def: $vgpr53
	s_and_saveexec_b32 s1, vcc_lo
	s_xor_b32 s1, exec_lo, s1
; %bb.1868:                             ;   in Loop: Header=BB428_803 Depth=1
	v_bfe_u32 v53, v54, 16, 1
	s_delay_alu instid0(VALU_DEP_1)
	v_add3_u32 v53, v54, v53, 0x7fff
                                        ; implicit-def: $vgpr54
; %bb.1869:                             ;   in Loop: Header=BB428_803 Depth=1
	s_and_not1_saveexec_b32 s1, s1
; %bb.1870:                             ;   in Loop: Header=BB428_803 Depth=1
	v_and_b32_e32 v53, 0xffff, v54
	v_or_b32_e32 v55, 0x10000, v54
	s_delay_alu instid0(VALU_DEP_2) | instskip(NEXT) | instid1(VALU_DEP_2)
	v_cmp_eq_u32_e32 vcc_lo, 0, v53
	v_cndmask_b32_e32 v53, v55, v54, vcc_lo
; %bb.1871:                             ;   in Loop: Header=BB428_803 Depth=1
	s_or_b32 exec_lo, exec_lo, s1
	v_lshlrev_b32_e32 v54, 16, v177
	s_delay_alu instid0(VALU_DEP_1) | instskip(NEXT) | instid1(VALU_DEP_1)
	v_mul_f32_e32 v55, v82, v54
	v_and_b32_e32 v54, 0x7f800000, v55
	s_delay_alu instid0(VALU_DEP_1) | instskip(SKIP_1) | instid1(SALU_CYCLE_1)
	v_cmp_ne_u32_e32 vcc_lo, 0x7f800000, v54
                                        ; implicit-def: $vgpr54
	s_and_saveexec_b32 s1, vcc_lo
	s_xor_b32 s1, exec_lo, s1
; %bb.1872:                             ;   in Loop: Header=BB428_803 Depth=1
	v_bfe_u32 v54, v55, 16, 1
	s_delay_alu instid0(VALU_DEP_1)
	v_add3_u32 v54, v55, v54, 0x7fff
                                        ; implicit-def: $vgpr55
; %bb.1873:                             ;   in Loop: Header=BB428_803 Depth=1
	s_and_not1_saveexec_b32 s1, s1
	s_cbranch_execz .LBB428_802
; %bb.1874:                             ;   in Loop: Header=BB428_803 Depth=1
	v_and_b32_e32 v54, 0xffff, v55
	v_or_b32_e32 v64, 0x10000, v55
	s_delay_alu instid0(VALU_DEP_2) | instskip(NEXT) | instid1(VALU_DEP_2)
	v_cmp_eq_u32_e32 vcc_lo, 0, v54
	v_cndmask_b32_e32 v54, v64, v55, vcc_lo
	s_branch .LBB428_802
.LBB428_1875:
	s_or_b32 exec_lo, exec_lo, s9
	v_dual_mov_b32 v0, s16 :: v_dual_mov_b32 v1, s17
.LBB428_1876:
	s_or_b32 exec_lo, exec_lo, s8
	s_delay_alu instid0(VALU_DEP_1)
	v_lshlrev_b64 v[0:1], 2, v[0:1]
	s_getpc_b64 s[2:3]
	s_add_u32 s2, s2, llvm.amdgcn.dynlds.offset.table@rel32@lo+4
	s_addc_u32 s3, s3, llvm.amdgcn.dynlds.offset.table@rel32@hi+12
	s_waitcnt lgkmcnt(0)
	s_waitcnt_vscnt null, 0x0
	s_barrier
	buffer_gl0_inv
	ds_bpermute_b32 v2, v19, v28
	v_add_co_u32 v0, vcc_lo, v0, s2
	v_add_co_ci_u32_e32 v1, vcc_lo, s3, v1, vcc_lo
	ds_bpermute_b32 v3, v19, v25
	ds_bpermute_b32 v7, v19, v24
	;; [unrolled: 1-line block ×3, first 2 shown]
	global_load_b32 v11, v[0:1], off
	ds_bpermute_b32 v0, v19, v36
	ds_bpermute_b32 v1, v19, v29
	;; [unrolled: 1-line block ×4, first 2 shown]
	v_lshrrev_b32_e32 v9, 1, v18
	v_and_b32_e32 v15, 0x3c1, v31
	s_mov_b32 s1, exec_lo
	s_waitcnt lgkmcnt(6)
	v_dual_add_f32 v6, v28, v2 :: v_dual_add_f32 v3, v25, v3
	s_waitcnt lgkmcnt(5)
	v_add_f32_e32 v2, v24, v7
	s_waitcnt lgkmcnt(3)
	v_add_f32_e32 v8, v36, v0
	s_waitcnt lgkmcnt(2)
	v_dual_add_f32 v10, v29, v1 :: v_dual_add_f32 v1, v23, v12
	s_waitcnt lgkmcnt(0)
	v_dual_add_f32 v0, v21, v13 :: v_dual_add_f32 v7, v20, v14
	s_waitcnt vmcnt(0)
	v_lshl_add_u32 v12, v34, 9, v11
	v_cmpx_eq_u32_e32 64, v15
	s_cbranch_execz .LBB428_1878
; %bb.1877:
	v_lshlrev_b32_e32 v13, 2, v9
	s_delay_alu instid0(VALU_DEP_1)
	v_add3_u32 v13, v12, v13, 0xfffffc00
	ds_store_2addr_b32 v13, v8, v10 offset1:16
	ds_store_2addr_b32 v13, v6, v3 offset0:32 offset1:48
	ds_store_2addr_b32 v13, v2, v1 offset0:64 offset1:80
	;; [unrolled: 1-line block ×3, first 2 shown]
.LBB428_1878:
	s_or_b32 exec_lo, exec_lo, s1
	v_cmp_eq_u32_e32 vcc_lo, 0, v32
	s_mov_b32 s2, exec_lo
	s_waitcnt lgkmcnt(0)
	s_barrier
	buffer_gl0_inv
	v_cmpx_gt_u32_e32 64, v31
	s_cbranch_execz .LBB428_1889
; %bb.1879:
	s_and_saveexec_b32 s1, vcc_lo
	s_cbranch_execnz .LBB428_1938
; %bb.1880:
	s_or_b32 exec_lo, exec_lo, s1
	s_and_saveexec_b32 s1, vcc_lo
	s_cbranch_execnz .LBB428_1939
.LBB428_1881:
	s_or_b32 exec_lo, exec_lo, s1
	s_and_saveexec_b32 s1, vcc_lo
	s_cbranch_execnz .LBB428_1940
.LBB428_1882:
	s_or_b32 exec_lo, exec_lo, s1
	s_and_saveexec_b32 s1, vcc_lo
	s_cbranch_execnz .LBB428_1941
.LBB428_1883:
	s_or_b32 exec_lo, exec_lo, s1
	s_and_saveexec_b32 s1, vcc_lo
	s_cbranch_execnz .LBB428_1942
.LBB428_1884:
	s_or_b32 exec_lo, exec_lo, s1
	s_and_saveexec_b32 s1, vcc_lo
	s_cbranch_execnz .LBB428_1943
.LBB428_1885:
	s_or_b32 exec_lo, exec_lo, s1
	s_and_saveexec_b32 s1, vcc_lo
	s_cbranch_execnz .LBB428_1944
.LBB428_1886:
	s_or_b32 exec_lo, exec_lo, s1
	s_and_saveexec_b32 s1, vcc_lo
	s_cbranch_execz .LBB428_1888
.LBB428_1887:
	v_lshl_add_u32 v13, v9, 2, v12
	ds_load_b32 v13, v13 offset:448
	s_waitcnt lgkmcnt(0)
	v_add_f32_e32 v7, v7, v13
.LBB428_1888:
	s_or_b32 exec_lo, exec_lo, s1
.LBB428_1889:
	s_delay_alu instid0(SALU_CYCLE_1)
	s_or_b32 exec_lo, exec_lo, s2
	v_and_b32_e32 v13, 0x3e1, v31
	s_mov_b32 s2, exec_lo
	s_barrier
	buffer_gl0_inv
	v_cmpx_eq_u32_e32 32, v13
	s_cbranch_execz .LBB428_1891
; %bb.1890:
	v_lshl_add_u32 v11, v9, 2, v11
	ds_store_2addr_b32 v11, v8, v10 offset1:16
	ds_store_2addr_b32 v11, v6, v3 offset0:32 offset1:48
	ds_store_2addr_b32 v11, v2, v1 offset0:64 offset1:80
	ds_store_2addr_b32 v11, v0, v7 offset0:96 offset1:112
.LBB428_1891:
	s_or_b32 exec_lo, exec_lo, s2
	s_waitcnt lgkmcnt(0)
	s_barrier
	buffer_gl0_inv
	s_and_saveexec_b32 s1, s0
	s_cbranch_execz .LBB428_1902
; %bb.1892:
	v_lshl_add_u32 v9, v9, 2, v12
	s_and_saveexec_b32 s2, vcc_lo
	s_cbranch_execnz .LBB428_1945
; %bb.1893:
	s_or_b32 exec_lo, exec_lo, s2
	s_and_saveexec_b32 s2, vcc_lo
	s_cbranch_execnz .LBB428_1946
.LBB428_1894:
	s_or_b32 exec_lo, exec_lo, s2
	s_and_saveexec_b32 s2, vcc_lo
	s_cbranch_execnz .LBB428_1947
.LBB428_1895:
	s_or_b32 exec_lo, exec_lo, s2
	s_and_saveexec_b32 s2, vcc_lo
	s_cbranch_execnz .LBB428_1948
.LBB428_1896:
	s_or_b32 exec_lo, exec_lo, s2
	s_and_saveexec_b32 s2, vcc_lo
	s_cbranch_execnz .LBB428_1949
.LBB428_1897:
	s_or_b32 exec_lo, exec_lo, s2
	s_and_saveexec_b32 s2, vcc_lo
	s_cbranch_execnz .LBB428_1950
.LBB428_1898:
	s_or_b32 exec_lo, exec_lo, s2
	s_and_saveexec_b32 s2, vcc_lo
	s_cbranch_execnz .LBB428_1951
.LBB428_1899:
	s_or_b32 exec_lo, exec_lo, s2
	s_and_saveexec_b32 s2, vcc_lo
	s_cbranch_execz .LBB428_1901
.LBB428_1900:
	ds_load_b32 v9, v9 offset:448
	s_waitcnt lgkmcnt(0)
	v_add_f32_e32 v7, v7, v9
.LBB428_1901:
	s_or_b32 exec_lo, exec_lo, s2
.LBB428_1902:
	s_delay_alu instid0(SALU_CYCLE_1)
	s_or_b32 exec_lo, exec_lo, s1
	s_barrier
	buffer_gl0_inv
	s_and_b32 exec_lo, exec_lo, s0
	s_cbranch_execz .LBB428_1937
; %bb.1903:
	s_and_b32 exec_lo, exec_lo, vcc_lo
	s_cbranch_execz .LBB428_1937
; %bb.1904:
	v_and_b32_e32 v9, 0x7f800000, v8
	s_mov_b32 s0, exec_lo
                                        ; implicit-def: $vgpr11
	s_delay_alu instid0(VALU_DEP_1)
	v_cmpx_ne_u32_e32 0x7f800000, v9
	s_xor_b32 s0, exec_lo, s0
; %bb.1905:
	v_bfe_u32 v9, v8, 16, 1
	s_delay_alu instid0(VALU_DEP_1)
	v_add3_u32 v11, v8, v9, 0x7fff
; %bb.1906:
	s_and_not1_saveexec_b32 s0, s0
; %bb.1907:
	v_and_b32_e32 v9, 0xffff, v8
	v_or_b32_e32 v11, 0x10000, v8
	s_delay_alu instid0(VALU_DEP_2) | instskip(NEXT) | instid1(VALU_DEP_2)
	v_cmp_eq_u32_e32 vcc_lo, 0, v9
	v_cndmask_b32_e32 v11, v11, v8, vcc_lo
; %bb.1908:
	s_or_b32 exec_lo, exec_lo, s0
	s_mul_i32 s1, s4, s6
	s_mul_i32 s0, s10, s4
	;; [unrolled: 1-line block ×3, first 2 shown]
	s_lshl_b32 s2, s14, 7
	s_lshl_b32 s6, s1, 7
	s_ashr_i32 s1, s0, 31
	s_ashr_i32 s3, s2, 31
	;; [unrolled: 1-line block ×3, first 2 shown]
	s_lshl_b64 s[0:1], s[0:1], 1
	s_lshl_b64 s[2:3], s[2:3], 1
	;; [unrolled: 1-line block ×3, first 2 shown]
	s_add_u32 s0, s2, s0
	s_addc_u32 s1, s3, s1
	s_add_u32 s0, s0, s6
	s_addc_u32 s1, s1, s7
	v_lshlrev_b32_e32 v8, 1, v30
	v_add_co_u32 v4, vcc_lo, s0, v4
	v_add_co_ci_u32_e32 v5, vcc_lo, s1, v5, vcc_lo
	v_and_b32_e32 v12, 0x7f800000, v10
	s_delay_alu instid0(VALU_DEP_3) | instskip(NEXT) | instid1(VALU_DEP_3)
	v_add_co_u32 v8, vcc_lo, v4, v8
	v_add_co_ci_u32_e32 v9, vcc_lo, 0, v5, vcc_lo
	s_mov_b32 s0, exec_lo
                                        ; implicit-def: $vgpr4
	flat_store_d16_hi_b16 v[8:9], v11
	v_cmpx_ne_u32_e32 0x7f800000, v12
	s_xor_b32 s0, exec_lo, s0
; %bb.1909:
	v_bfe_u32 v4, v10, 16, 1
	s_delay_alu instid0(VALU_DEP_1)
	v_add3_u32 v4, v10, v4, 0x7fff
; %bb.1910:
	s_and_not1_saveexec_b32 s0, s0
; %bb.1911:
	v_and_b32_e32 v4, 0xffff, v10
	v_or_b32_e32 v5, 0x10000, v10
	s_delay_alu instid0(VALU_DEP_2) | instskip(NEXT) | instid1(VALU_DEP_2)
	v_cmp_eq_u32_e32 vcc_lo, 0, v4
	v_cndmask_b32_e32 v4, v5, v10, vcc_lo
; %bb.1912:
	s_or_b32 exec_lo, exec_lo, s0
	v_and_b32_e32 v5, 0x7f800000, v6
	s_mov_b32 s0, exec_lo
	flat_store_d16_hi_b16 v[8:9], v4 offset:32
                                        ; implicit-def: $vgpr4
	v_cmpx_ne_u32_e32 0x7f800000, v5
	s_xor_b32 s0, exec_lo, s0
; %bb.1913:
	v_bfe_u32 v4, v6, 16, 1
	s_delay_alu instid0(VALU_DEP_1)
	v_add3_u32 v4, v6, v4, 0x7fff
; %bb.1914:
	s_and_not1_saveexec_b32 s0, s0
; %bb.1915:
	v_and_b32_e32 v4, 0xffff, v6
	v_or_b32_e32 v5, 0x10000, v6
	s_delay_alu instid0(VALU_DEP_2) | instskip(NEXT) | instid1(VALU_DEP_2)
	v_cmp_eq_u32_e32 vcc_lo, 0, v4
	v_cndmask_b32_e32 v4, v5, v6, vcc_lo
; %bb.1916:
	s_or_b32 exec_lo, exec_lo, s0
	v_and_b32_e32 v5, 0x7f800000, v3
	s_mov_b32 s0, exec_lo
	flat_store_d16_hi_b16 v[8:9], v4 offset:64
                                        ; implicit-def: $vgpr4
	v_cmpx_ne_u32_e32 0x7f800000, v5
	s_xor_b32 s0, exec_lo, s0
; %bb.1917:
	v_bfe_u32 v4, v3, 16, 1
	s_delay_alu instid0(VALU_DEP_1)
	v_add3_u32 v4, v3, v4, 0x7fff
; %bb.1918:
	s_and_not1_saveexec_b32 s0, s0
; %bb.1919:
	v_and_b32_e32 v4, 0xffff, v3
	v_or_b32_e32 v5, 0x10000, v3
	s_delay_alu instid0(VALU_DEP_2) | instskip(NEXT) | instid1(VALU_DEP_2)
	v_cmp_eq_u32_e32 vcc_lo, 0, v4
	v_cndmask_b32_e32 v4, v5, v3, vcc_lo
; %bb.1920:
	s_or_b32 exec_lo, exec_lo, s0
	v_and_b32_e32 v3, 0x7f800000, v2
	flat_store_d16_hi_b16 v[8:9], v4 offset:96
	v_cmp_ne_u32_e32 vcc_lo, 0x7f800000, v3
                                        ; implicit-def: $vgpr3
	s_and_saveexec_b32 s0, vcc_lo
	s_delay_alu instid0(SALU_CYCLE_1)
	s_xor_b32 s0, exec_lo, s0
; %bb.1921:
	v_bfe_u32 v3, v2, 16, 1
	s_delay_alu instid0(VALU_DEP_1)
	v_add3_u32 v3, v2, v3, 0x7fff
; %bb.1922:
	s_and_not1_saveexec_b32 s0, s0
; %bb.1923:
	v_and_b32_e32 v3, 0xffff, v2
	v_or_b32_e32 v4, 0x10000, v2
	s_delay_alu instid0(VALU_DEP_2) | instskip(NEXT) | instid1(VALU_DEP_2)
	v_cmp_eq_u32_e32 vcc_lo, 0, v3
	v_cndmask_b32_e32 v3, v4, v2, vcc_lo
; %bb.1924:
	s_or_b32 exec_lo, exec_lo, s0
	v_and_b32_e32 v2, 0x7f800000, v1
	flat_store_d16_hi_b16 v[8:9], v3 offset:128
	v_cmp_ne_u32_e32 vcc_lo, 0x7f800000, v2
                                        ; implicit-def: $vgpr2
	s_and_saveexec_b32 s0, vcc_lo
	s_delay_alu instid0(SALU_CYCLE_1)
	s_xor_b32 s0, exec_lo, s0
; %bb.1925:
	v_bfe_u32 v2, v1, 16, 1
	s_delay_alu instid0(VALU_DEP_1)
	v_add3_u32 v2, v1, v2, 0x7fff
; %bb.1926:
	s_and_not1_saveexec_b32 s0, s0
; %bb.1927:
	v_and_b32_e32 v2, 0xffff, v1
	v_or_b32_e32 v3, 0x10000, v1
	s_delay_alu instid0(VALU_DEP_2) | instskip(NEXT) | instid1(VALU_DEP_2)
	v_cmp_eq_u32_e32 vcc_lo, 0, v2
	v_cndmask_b32_e32 v2, v3, v1, vcc_lo
; %bb.1928:
	s_or_b32 exec_lo, exec_lo, s0
	v_and_b32_e32 v1, 0x7f800000, v0
	flat_store_d16_hi_b16 v[8:9], v2 offset:160
	v_cmp_ne_u32_e32 vcc_lo, 0x7f800000, v1
                                        ; implicit-def: $vgpr1
	s_and_saveexec_b32 s0, vcc_lo
	s_delay_alu instid0(SALU_CYCLE_1)
	s_xor_b32 s0, exec_lo, s0
; %bb.1929:
	v_bfe_u32 v1, v0, 16, 1
	s_delay_alu instid0(VALU_DEP_1)
	v_add3_u32 v1, v0, v1, 0x7fff
; %bb.1930:
	s_and_not1_saveexec_b32 s0, s0
; %bb.1931:
	v_and_b32_e32 v1, 0xffff, v0
	v_or_b32_e32 v2, 0x10000, v0
	s_delay_alu instid0(VALU_DEP_2) | instskip(NEXT) | instid1(VALU_DEP_2)
	v_cmp_eq_u32_e32 vcc_lo, 0, v1
	v_cndmask_b32_e32 v1, v2, v0, vcc_lo
; %bb.1932:
	s_or_b32 exec_lo, exec_lo, s0
	v_and_b32_e32 v0, 0x7f800000, v7
	s_mov_b32 s0, exec_lo
	flat_store_d16_hi_b16 v[8:9], v1 offset:192
                                        ; implicit-def: $vgpr10
	v_cmpx_ne_u32_e32 0x7f800000, v0
	s_xor_b32 s0, exec_lo, s0
; %bb.1933:
	v_bfe_u32 v0, v7, 16, 1
	s_delay_alu instid0(VALU_DEP_1)
	v_add3_u32 v10, v7, v0, 0x7fff
                                        ; implicit-def: $vgpr0_vgpr1_vgpr2_vgpr3_vgpr4_vgpr5_vgpr6_vgpr7
; %bb.1934:
	s_and_not1_saveexec_b32 s0, s0
; %bb.1935:
	v_and_b32_e32 v0, 0xffff, v7
	v_or_b32_e32 v1, 0x10000, v7
	s_delay_alu instid0(VALU_DEP_2) | instskip(NEXT) | instid1(VALU_DEP_2)
	v_cmp_eq_u32_e32 vcc_lo, 0, v0
	v_cndmask_b32_e32 v10, v1, v7, vcc_lo
; %bb.1936:
	s_or_b32 exec_lo, exec_lo, s0
	flat_store_d16_hi_b16 v[8:9], v10 offset:224
.LBB428_1937:
	s_or_b32 exec_lo, exec_lo, s5
	s_clause 0x1f
	scratch_load_b32 v169, off, s32
	scratch_load_b32 v168, off, s32 offset:4
	scratch_load_b32 v159, off, s32 offset:8
	;; [unrolled: 1-line block ×31, first 2 shown]
	s_clause 0x1f
	scratch_load_b32 v105, off, s32 offset:128
	scratch_load_b32 v104, off, s32 offset:132
	;; [unrolled: 1-line block ×32, first 2 shown]
	s_clause 0x1
	scratch_load_b32 v41, off, s32 offset:256
	scratch_load_b32 v40, off, s32 offset:260
	s_waitcnt vmcnt(0) lgkmcnt(0)
	s_setpc_b64 s[30:31]
.LBB428_1938:
	v_lshl_add_u32 v13, v9, 2, v12
	ds_load_b32 v13, v13
	s_waitcnt lgkmcnt(0)
	v_add_f32_e32 v8, v8, v13
	s_or_b32 exec_lo, exec_lo, s1
	s_and_saveexec_b32 s1, vcc_lo
	s_cbranch_execz .LBB428_1881
.LBB428_1939:
	v_lshl_add_u32 v13, v9, 2, v12
	ds_load_b32 v13, v13 offset:64
	s_waitcnt lgkmcnt(0)
	v_add_f32_e32 v10, v10, v13
	s_or_b32 exec_lo, exec_lo, s1
	s_and_saveexec_b32 s1, vcc_lo
	s_cbranch_execz .LBB428_1882
.LBB428_1940:
	v_lshl_add_u32 v13, v9, 2, v12
	ds_load_b32 v13, v13 offset:128
	s_waitcnt lgkmcnt(0)
	v_add_f32_e32 v6, v6, v13
	s_or_b32 exec_lo, exec_lo, s1
	s_and_saveexec_b32 s1, vcc_lo
	s_cbranch_execz .LBB428_1883
.LBB428_1941:
	v_lshl_add_u32 v13, v9, 2, v12
	ds_load_b32 v13, v13 offset:192
	s_waitcnt lgkmcnt(0)
	v_add_f32_e32 v3, v3, v13
	s_or_b32 exec_lo, exec_lo, s1
	s_and_saveexec_b32 s1, vcc_lo
	s_cbranch_execz .LBB428_1884
.LBB428_1942:
	v_lshl_add_u32 v13, v9, 2, v12
	ds_load_b32 v13, v13 offset:256
	s_waitcnt lgkmcnt(0)
	v_add_f32_e32 v2, v2, v13
	s_or_b32 exec_lo, exec_lo, s1
	s_and_saveexec_b32 s1, vcc_lo
	s_cbranch_execz .LBB428_1885
.LBB428_1943:
	v_lshl_add_u32 v13, v9, 2, v12
	ds_load_b32 v13, v13 offset:320
	s_waitcnt lgkmcnt(0)
	v_add_f32_e32 v1, v1, v13
	s_or_b32 exec_lo, exec_lo, s1
	s_and_saveexec_b32 s1, vcc_lo
	s_cbranch_execz .LBB428_1886
.LBB428_1944:
	v_lshl_add_u32 v13, v9, 2, v12
	ds_load_b32 v13, v13 offset:384
	s_waitcnt lgkmcnt(0)
	v_add_f32_e32 v0, v0, v13
	s_or_b32 exec_lo, exec_lo, s1
	s_and_saveexec_b32 s1, vcc_lo
	s_cbranch_execnz .LBB428_1887
	s_branch .LBB428_1888
.LBB428_1945:
	ds_load_b32 v11, v9
	s_waitcnt lgkmcnt(0)
	v_add_f32_e32 v8, v8, v11
	s_or_b32 exec_lo, exec_lo, s2
	s_and_saveexec_b32 s2, vcc_lo
	s_cbranch_execz .LBB428_1894
.LBB428_1946:
	ds_load_b32 v11, v9 offset:64
	s_waitcnt lgkmcnt(0)
	v_add_f32_e32 v10, v10, v11
	s_or_b32 exec_lo, exec_lo, s2
	s_and_saveexec_b32 s2, vcc_lo
	s_cbranch_execz .LBB428_1895
.LBB428_1947:
	ds_load_b32 v11, v9 offset:128
	s_waitcnt lgkmcnt(0)
	v_add_f32_e32 v6, v6, v11
	s_or_b32 exec_lo, exec_lo, s2
	s_and_saveexec_b32 s2, vcc_lo
	s_cbranch_execz .LBB428_1896
.LBB428_1948:
	ds_load_b32 v11, v9 offset:192
	s_waitcnt lgkmcnt(0)
	v_add_f32_e32 v3, v3, v11
	s_or_b32 exec_lo, exec_lo, s2
	s_and_saveexec_b32 s2, vcc_lo
	s_cbranch_execz .LBB428_1897
.LBB428_1949:
	ds_load_b32 v11, v9 offset:256
	s_waitcnt lgkmcnt(0)
	v_add_f32_e32 v2, v2, v11
	s_or_b32 exec_lo, exec_lo, s2
	s_and_saveexec_b32 s2, vcc_lo
	s_cbranch_execz .LBB428_1898
.LBB428_1950:
	ds_load_b32 v11, v9 offset:320
	s_waitcnt lgkmcnt(0)
	v_add_f32_e32 v1, v1, v11
	s_or_b32 exec_lo, exec_lo, s2
	s_and_saveexec_b32 s2, vcc_lo
	s_cbranch_execz .LBB428_1899
.LBB428_1951:
	ds_load_b32 v11, v9 offset:384
	s_waitcnt lgkmcnt(0)
	v_add_f32_e32 v0, v0, v11
	s_or_b32 exec_lo, exec_lo, s2
	s_and_saveexec_b32 s2, vcc_lo
	s_cbranch_execnz .LBB428_1900
	s_branch .LBB428_1901
.Lfunc_end428:
	.size	_ZN4vllm22paged_attention_kernelI14__hip_bfloat16hLi128ELi16ELi128ELNS_18Fp8KVCacheDataTypeE1ELb0ELi512EEEvPfS3_PT_PKS4_PKT0_SA_ifPKiSC_iPKfiiiSE_SE_iiiii, .Lfunc_end428-_ZN4vllm22paged_attention_kernelI14__hip_bfloat16hLi128ELi16ELi128ELNS_18Fp8KVCacheDataTypeE1ELb0ELi512EEEvPfS3_PT_PKS4_PKT0_SA_ifPKiSC_iPKfiiiSE_SE_iiiii
                                        ; -- End function
	.section	.AMDGPU.csdata,"",@progbits
; Function info:
; codeLenInByte = 59096
; NumSgprs: 35
; NumVgprs: 184
; ScratchSize: 268
; MemoryBound: 0
	.section	.text._ZN4vllm25paged_attention_v2_kernelI14__hip_bfloat16hLi128ELi16ELi128ELNS_18Fp8KVCacheDataTypeE1ELb0ELi512EEEvPfS3_PT_PKS4_PKT0_SA_ifPKiSC_iPKfiiiSE_SE_iiiii,"axG",@progbits,_ZN4vllm25paged_attention_v2_kernelI14__hip_bfloat16hLi128ELi16ELi128ELNS_18Fp8KVCacheDataTypeE1ELb0ELi512EEEvPfS3_PT_PKS4_PKT0_SA_ifPKiSC_iPKfiiiSE_SE_iiiii,comdat
	.protected	_ZN4vllm25paged_attention_v2_kernelI14__hip_bfloat16hLi128ELi16ELi128ELNS_18Fp8KVCacheDataTypeE1ELb0ELi512EEEvPfS3_PT_PKS4_PKT0_SA_ifPKiSC_iPKfiiiSE_SE_iiiii ; -- Begin function _ZN4vllm25paged_attention_v2_kernelI14__hip_bfloat16hLi128ELi16ELi128ELNS_18Fp8KVCacheDataTypeE1ELb0ELi512EEEvPfS3_PT_PKS4_PKT0_SA_ifPKiSC_iPKfiiiSE_SE_iiiii
	.globl	_ZN4vllm25paged_attention_v2_kernelI14__hip_bfloat16hLi128ELi16ELi128ELNS_18Fp8KVCacheDataTypeE1ELb0ELi512EEEvPfS3_PT_PKS4_PKT0_SA_ifPKiSC_iPKfiiiSE_SE_iiiii
	.p2align	8
	.type	_ZN4vllm25paged_attention_v2_kernelI14__hip_bfloat16hLi128ELi16ELi128ELNS_18Fp8KVCacheDataTypeE1ELb0ELi512EEEvPfS3_PT_PKS4_PKT0_SA_ifPKiSC_iPKfiiiSE_SE_iiiii,@function
_ZN4vllm25paged_attention_v2_kernelI14__hip_bfloat16hLi128ELi16ELi128ELNS_18Fp8KVCacheDataTypeE1ELb0ELi512EEEvPfS3_PT_PKS4_PKT0_SA_ifPKiSC_iPKfiiiSE_SE_iiiii: ; @_ZN4vllm25paged_attention_v2_kernelI14__hip_bfloat16hLi128ELi16ELi128ELNS_18Fp8KVCacheDataTypeE1ELb0ELi512EEEvPfS3_PT_PKS4_PKT0_SA_ifPKiSC_iPKfiiiSE_SE_iiiii
; %bb.0:
	s_clause 0x5
	s_load_b256 s[24:31], s[0:1], 0x0
	s_load_b256 s[16:23], s[0:1], 0x20
	s_load_b64 s[2:3], s[0:1], 0x40
	s_load_b64 s[4:5], s[0:1], 0x50
	s_load_b32 s6, s[0:1], 0x48
	s_load_b256 s[36:43], s[0:1], 0x58
	v_mov_b32_e32 v31, v0
	s_add_u32 s8, s0, 0x90
	s_mov_b32 s12, s13
	s_addc_u32 s9, s1, 0
	s_mov_b32 s13, s14
	s_mov_b32 s14, s15
	;; [unrolled: 1-line block ×4, first 2 shown]
	s_getpc_b64 s[0:1]
	s_add_u32 s0, s0, _ZN4vllm22paged_attention_kernelI14__hip_bfloat16hLi128ELi16ELi128ELNS_18Fp8KVCacheDataTypeE1ELb0ELi512EEEvPfS3_PT_PKS4_PKT0_SA_ifPKiSC_iPKfiiiSE_SE_iiiii@rel32@lo+4
	s_addc_u32 s1, s1, _ZN4vllm22paged_attention_kernelI14__hip_bfloat16hLi128ELi16ELi128ELNS_18Fp8KVCacheDataTypeE1ELb0ELi512EEEvPfS3_PT_PKS4_PKT0_SA_ifPKiSC_iPKfiiiSE_SE_iiiii@rel32@hi+12
	s_waitcnt lgkmcnt(0)
	v_dual_mov_b32 v0, s24 :: v_dual_mov_b32 v1, s25
	v_dual_mov_b32 v2, s26 :: v_dual_mov_b32 v3, s27
	;; [unrolled: 1-line block ×14, first 2 shown]
	s_swappc_b64 s[30:31], s[0:1]
	s_endpgm
	.section	.rodata,"a",@progbits
	.p2align	6, 0x0
	.amdhsa_kernel _ZN4vllm25paged_attention_v2_kernelI14__hip_bfloat16hLi128ELi16ELi128ELNS_18Fp8KVCacheDataTypeE1ELb0ELi512EEEvPfS3_PT_PKS4_PKT0_SA_ifPKiSC_iPKfiiiSE_SE_iiiii
		.amdhsa_group_segment_fixed_size 288
		.amdhsa_private_segment_fixed_size 268
		.amdhsa_kernarg_size 400
		.amdhsa_user_sgpr_count 13
		.amdhsa_user_sgpr_dispatch_ptr 0
		.amdhsa_user_sgpr_queue_ptr 0
		.amdhsa_user_sgpr_kernarg_segment_ptr 1
		.amdhsa_user_sgpr_dispatch_id 0
		.amdhsa_user_sgpr_private_segment_size 0
		.amdhsa_wavefront_size32 1
		.amdhsa_uses_dynamic_stack 0
		.amdhsa_enable_private_segment 1
		.amdhsa_system_sgpr_workgroup_id_x 1
		.amdhsa_system_sgpr_workgroup_id_y 1
		.amdhsa_system_sgpr_workgroup_id_z 1
		.amdhsa_system_sgpr_workgroup_info 0
		.amdhsa_system_vgpr_workitem_id 0
		.amdhsa_next_free_vgpr 184
		.amdhsa_next_free_sgpr 44
		.amdhsa_reserve_vcc 1
		.amdhsa_float_round_mode_32 0
		.amdhsa_float_round_mode_16_64 0
		.amdhsa_float_denorm_mode_32 3
		.amdhsa_float_denorm_mode_16_64 3
		.amdhsa_dx10_clamp 1
		.amdhsa_ieee_mode 1
		.amdhsa_fp16_overflow 0
		.amdhsa_workgroup_processor_mode 1
		.amdhsa_memory_ordered 1
		.amdhsa_forward_progress 0
		.amdhsa_shared_vgpr_count 0
		.amdhsa_exception_fp_ieee_invalid_op 0
		.amdhsa_exception_fp_denorm_src 0
		.amdhsa_exception_fp_ieee_div_zero 0
		.amdhsa_exception_fp_ieee_overflow 0
		.amdhsa_exception_fp_ieee_underflow 0
		.amdhsa_exception_fp_ieee_inexact 0
		.amdhsa_exception_int_div_zero 0
	.end_amdhsa_kernel
	.section	.text._ZN4vllm25paged_attention_v2_kernelI14__hip_bfloat16hLi128ELi16ELi128ELNS_18Fp8KVCacheDataTypeE1ELb0ELi512EEEvPfS3_PT_PKS4_PKT0_SA_ifPKiSC_iPKfiiiSE_SE_iiiii,"axG",@progbits,_ZN4vllm25paged_attention_v2_kernelI14__hip_bfloat16hLi128ELi16ELi128ELNS_18Fp8KVCacheDataTypeE1ELb0ELi512EEEvPfS3_PT_PKS4_PKT0_SA_ifPKiSC_iPKfiiiSE_SE_iiiii,comdat
.Lfunc_end429:
	.size	_ZN4vllm25paged_attention_v2_kernelI14__hip_bfloat16hLi128ELi16ELi128ELNS_18Fp8KVCacheDataTypeE1ELb0ELi512EEEvPfS3_PT_PKS4_PKT0_SA_ifPKiSC_iPKfiiiSE_SE_iiiii, .Lfunc_end429-_ZN4vllm25paged_attention_v2_kernelI14__hip_bfloat16hLi128ELi16ELi128ELNS_18Fp8KVCacheDataTypeE1ELb0ELi512EEEvPfS3_PT_PKS4_PKT0_SA_ifPKiSC_iPKfiiiSE_SE_iiiii
                                        ; -- End function
	.section	.AMDGPU.csdata,"",@progbits
; Kernel info:
; codeLenInByte = 232
; NumSgprs: 46
; NumVgprs: 184
; ScratchSize: 268
; MemoryBound: 0
; FloatMode: 240
; IeeeMode: 1
; LDSByteSize: 288 bytes/workgroup (compile time only)
; SGPRBlocks: 5
; VGPRBlocks: 22
; NumSGPRsForWavesPerEU: 46
; NumVGPRsForWavesPerEU: 184
; Occupancy: 8
; WaveLimiterHint : 1
; COMPUTE_PGM_RSRC2:SCRATCH_EN: 1
; COMPUTE_PGM_RSRC2:USER_SGPR: 13
; COMPUTE_PGM_RSRC2:TRAP_HANDLER: 0
; COMPUTE_PGM_RSRC2:TGID_X_EN: 1
; COMPUTE_PGM_RSRC2:TGID_Y_EN: 1
; COMPUTE_PGM_RSRC2:TGID_Z_EN: 1
; COMPUTE_PGM_RSRC2:TIDIG_COMP_CNT: 0
	.text
	.p2align	2                               ; -- Begin function _ZN4vllm22paged_attention_kernelI14__hip_bfloat16hLi192ELi16ELi128ELNS_18Fp8KVCacheDataTypeE1ELb0ELi512EEEvPfS3_PT_PKS4_PKT0_SA_ifPKiSC_iPKfiiiSE_SE_iiiii
	.type	_ZN4vllm22paged_attention_kernelI14__hip_bfloat16hLi192ELi16ELi128ELNS_18Fp8KVCacheDataTypeE1ELb0ELi512EEEvPfS3_PT_PKS4_PKT0_SA_ifPKiSC_iPKfiiiSE_SE_iiiii,@function
_ZN4vllm22paged_attention_kernelI14__hip_bfloat16hLi192ELi16ELi128ELNS_18Fp8KVCacheDataTypeE1ELb0ELi512EEEvPfS3_PT_PKS4_PKT0_SA_ifPKiSC_iPKfiiiSE_SE_iiiii: ; @_ZN4vllm22paged_attention_kernelI14__hip_bfloat16hLi192ELi16ELi128ELNS_18Fp8KVCacheDataTypeE1ELb0ELi512EEEvPfS3_PT_PKS4_PKT0_SA_ifPKiSC_iPKfiiiSE_SE_iiiii
; %bb.0:
	s_waitcnt vmcnt(0) expcnt(0) lgkmcnt(0)
	s_clause 0x1f
	scratch_store_b32 off, v40, s32 offset:316
	; meta instruction
	scratch_store_b32 off, v41, s32 offset:312
	; meta instruction
	;; [unrolled: 2-line block ×31, first 2 shown]
	scratch_store_b32 off, v95, s32 offset:192
	s_clause 0x1f
	scratch_store_b32 off, v104, s32 offset:188
	; meta instruction
	scratch_store_b32 off, v105, s32 offset:184
	; meta instruction
	;; [unrolled: 2-line block ×31, first 2 shown]
	scratch_store_b32 off, v159, s32 offset:64
	s_clause 0xf
	scratch_store_b32 off, v168, s32 offset:60
	; meta instruction
	scratch_store_b32 off, v169, s32 offset:56
	; meta instruction
	scratch_store_b32 off, v170, s32 offset:52
	; meta instruction
	scratch_store_b32 off, v171, s32 offset:48
	; meta instruction
	scratch_store_b32 off, v172, s32 offset:44
	; meta instruction
	scratch_store_b32 off, v173, s32 offset:40
	; meta instruction
	scratch_store_b32 off, v174, s32 offset:36
	; meta instruction
	scratch_store_b32 off, v175, s32 offset:32
	; meta instruction
	scratch_store_b32 off, v184, s32 offset:28
	; meta instruction
	scratch_store_b32 off, v185, s32 offset:24
	; meta instruction
	scratch_store_b32 off, v186, s32 offset:20
	; meta instruction
	scratch_store_b32 off, v187, s32 offset:16
	; meta instruction
	scratch_store_b32 off, v188, s32 offset:12
	; meta instruction
	scratch_store_b32 off, v189, s32 offset:8
	; meta instruction
	scratch_store_b32 off, v190, s32 offset:4
	; meta instruction
	scratch_store_b32 off, v191, s32
	s_mov_b32 s4, s13
	s_ashr_i32 s5, s13, 31
	v_dual_mov_b32 v30, v3 :: v_dual_mov_b32 v29, v0
	s_lshl_b64 s[0:1], s[4:5], 2
	v_mov_b32_e32 v28, v1
	v_add_co_u32 v0, vcc_lo, v16, s0
	v_add_co_ci_u32_e32 v1, vcc_lo, s1, v17, vcc_lo
	v_dual_mov_b32 v32, v11 :: v_dual_mov_b32 v95, v5
	v_dual_mov_b32 v104, v4 :: v_dual_mov_b32 v33, v2
	flat_load_b32 v35, v[0:1]
	s_lshl_b32 s17, s14, 9
	s_mov_b32 s5, exec_lo
	s_waitcnt vmcnt(0) lgkmcnt(0)
	v_cmpx_lt_i32_e64 s17, v35
	s_cbranch_execz .LBB430_2865
; %bb.1:
	v_sub_nc_u32_e32 v0, 0, v12
	s_clause 0x1
	s_load_b32 s0, s[8:9], 0x10
	s_load_b32 s1, s[8:9], 0x0
	s_mov_b32 s10, s15
	v_mov_b32_e32 v39, 0
	v_max_i32_e32 v0, v12, v0
	s_delay_alu instid0(VALU_DEP_1) | instskip(SKIP_1) | instid1(VALU_DEP_2)
	v_cvt_f32_u32_e32 v1, v0
	v_sub_nc_u32_e32 v2, 0, v0
	v_rcp_iflag_f32_e32 v1, v1
	s_waitcnt lgkmcnt(0)
	s_lshr_b32 s0, s0, 16
	s_delay_alu instid0(SALU_CYCLE_1) | instskip(SKIP_3) | instid1(SALU_CYCLE_1)
	s_cmp_lg_u32 s0, 0
	s_waitcnt_depctr 0xfff
	v_mul_f32_e32 v1, 0x4f7ffffe, v1
	s_cselect_b32 s0, -1, 0
	s_cmp_lg_u32 s0, 0
	s_delay_alu instid0(VALU_DEP_1) | instskip(SKIP_3) | instid1(VALU_DEP_1)
	v_cvt_u32_f32_e32 v1, v1
	s_addc_u32 s16, s1, 0
	s_mov_b32 s1, exec_lo
	s_abs_i32 s0, s16
	v_mul_lo_u32 v2, v2, v1
	s_delay_alu instid0(VALU_DEP_1) | instskip(NEXT) | instid1(VALU_DEP_1)
	v_mul_hi_u32 v2, v1, v2
	v_add_nc_u32_e32 v1, v1, v2
	s_delay_alu instid0(VALU_DEP_1) | instskip(NEXT) | instid1(VALU_DEP_1)
	v_mul_hi_u32 v1, s0, v1
	v_mul_lo_u32 v2, v1, v0
	v_add_nc_u32_e32 v3, 1, v1
	s_delay_alu instid0(VALU_DEP_2) | instskip(SKIP_1) | instid1(VALU_DEP_1)
	v_sub_nc_u32_e32 v2, s0, v2
	s_abs_i32 s0, s12
	v_sub_nc_u32_e32 v4, v2, v0
	v_cmp_ge_u32_e32 vcc_lo, v2, v0
	s_delay_alu instid0(VALU_DEP_2) | instskip(SKIP_1) | instid1(VALU_DEP_2)
	v_dual_cndmask_b32 v1, v1, v3 :: v_dual_cndmask_b32 v2, v2, v4
	v_xor_b32_e32 v3, s16, v12
	v_add_nc_u32_e32 v4, 1, v1
	s_delay_alu instid0(VALU_DEP_3) | instskip(NEXT) | instid1(VALU_DEP_3)
	v_cmp_ge_u32_e32 vcc_lo, v2, v0
	v_ashrrev_i32_e32 v3, 31, v3
	s_delay_alu instid0(VALU_DEP_3) | instskip(NEXT) | instid1(VALU_DEP_1)
	v_cndmask_b32_e32 v0, v1, v4, vcc_lo
	v_xor_b32_e32 v0, v0, v3
	s_delay_alu instid0(VALU_DEP_1) | instskip(NEXT) | instid1(VALU_DEP_1)
	v_sub_nc_u32_e32 v1, v0, v3
	v_sub_nc_u32_e32 v0, 0, v1
	s_delay_alu instid0(VALU_DEP_1) | instskip(NEXT) | instid1(VALU_DEP_1)
	v_max_i32_e32 v0, v1, v0
	v_cvt_f32_u32_e32 v2, v0
	v_sub_nc_u32_e32 v3, 0, v0
	s_delay_alu instid0(VALU_DEP_2) | instskip(SKIP_2) | instid1(VALU_DEP_1)
	v_rcp_iflag_f32_e32 v2, v2
	s_waitcnt_depctr 0xfff
	v_mul_f32_e32 v2, 0x4f7ffffe, v2
	v_cvt_u32_f32_e32 v2, v2
	s_delay_alu instid0(VALU_DEP_1) | instskip(NEXT) | instid1(VALU_DEP_1)
	v_mul_lo_u32 v3, v3, v2
	v_mul_hi_u32 v3, v2, v3
	s_delay_alu instid0(VALU_DEP_1) | instskip(NEXT) | instid1(VALU_DEP_1)
	v_add_nc_u32_e32 v2, v2, v3
	v_mad_u64_u32 v[16:17], null, s0, v2, 0
	v_cmpx_ne_u64_e32 0, v[19:20]
	s_cbranch_execz .LBB430_3
; %bb.2:
	s_ashr_i32 s13, s12, 31
	s_delay_alu instid0(SALU_CYCLE_1) | instskip(NEXT) | instid1(SALU_CYCLE_1)
	s_lshl_b64 s[2:3], s[12:13], 2
	v_add_co_u32 v2, vcc_lo, v19, s2
	v_add_co_ci_u32_e32 v3, vcc_lo, s3, v20, vcc_lo
	flat_load_b32 v39, v[2:3]
.LBB430_3:
	s_or_b32 exec_lo, exec_lo, s1
	v_and_b32_e32 v2, 0x3ff, v31
	v_ashrrev_i32_e32 v1, 31, v1
	s_ashr_i32 s1, s12, 31
	s_mul_i32 s6, s12, 0xc0
	s_mov_b32 s2, exec_lo
	v_lshrrev_b32_e32 v105, 1, v2
	v_and_b32_e32 v3, 1, v2
	v_lshlrev_b32_e32 v34, 3, v2
	s_clause 0x1
	scratch_store_b32 off, v3, s32 offset:432
	scratch_store_b32 off, v2, s32 offset:424
	v_cmpx_gt_u32_e32 48, v2
	s_cbranch_execz .LBB430_5
; %bb.4:
	v_mul_lo_u32 v2, s4, v21
	s_ashr_i32 s7, s6, 31
	scratch_load_b32 v5, off, s32 offset:432 ; 4-byte Folded Reload
	s_lshl_b64 s[18:19], s[6:7], 1
	v_lshlrev_b32_e32 v4, 3, v105
	v_ashrrev_i32_e32 v3, 31, v2
	s_delay_alu instid0(VALU_DEP_1) | instskip(NEXT) | instid1(VALU_DEP_1)
	v_lshlrev_b64 v[2:3], 1, v[2:3]
	v_add_co_u32 v2, vcc_lo, v6, v2
	s_delay_alu instid0(VALU_DEP_2) | instskip(NEXT) | instid1(VALU_DEP_2)
	v_add_co_ci_u32_e32 v3, vcc_lo, v7, v3, vcc_lo
	v_add_co_u32 v2, vcc_lo, v2, s18
	s_delay_alu instid0(VALU_DEP_2) | instskip(NEXT) | instid1(VALU_DEP_2)
	v_add_co_ci_u32_e32 v3, vcc_lo, s19, v3, vcc_lo
	v_add_co_u32 v2, vcc_lo, v2, v34
	s_delay_alu instid0(VALU_DEP_2)
	v_add_co_ci_u32_e32 v3, vcc_lo, 0, v3, vcc_lo
	flat_load_b64 v[2:3], v[2:3]
	s_waitcnt vmcnt(1)
	v_mad_u32_u24 v4, 0xc0, v5, v4
	s_waitcnt vmcnt(0) lgkmcnt(0)
	ds_store_b64 v4, v[2:3]
.LBB430_5:
	s_or_b32 exec_lo, exec_lo, s2
	scratch_load_b32 v7, off, s32 offset:424 ; 4-byte Folded Reload
	v_mul_lo_u32 v2, v17, v0
	v_add_nc_u32_e32 v5, 1, v17
	v_xor_b32_e32 v1, s1, v1
	s_lshl_b32 s13, s14, 5
	v_mbcnt_lo_u32_b32 v38, -1, 0
                                        ; implicit-def: $sgpr1
                                        ; implicit-def: $vgpr11
	s_delay_alu instid0(VALU_DEP_4) | instskip(SKIP_1) | instid1(VALU_DEP_1)
	v_sub_nc_u32_e32 v2, s0, v2
	s_add_i32 s0, s13, 32
	v_sub_nc_u32_e32 v6, v2, v0
	v_cmp_ge_u32_e32 vcc_lo, v2, v0
	s_delay_alu instid0(VALU_DEP_2) | instskip(NEXT) | instid1(VALU_DEP_1)
	v_dual_cndmask_b32 v2, v2, v6 :: v_dual_add_nc_u32 v3, 15, v35
	v_ashrrev_i32_e32 v4, 31, v3
	v_cndmask_b32_e32 v5, v17, v5, vcc_lo
	v_mul_lo_u32 v6, s4, v18
	s_delay_alu instid0(VALU_DEP_4) | instskip(NEXT) | instid1(VALU_DEP_4)
	v_cmp_ge_u32_e32 vcc_lo, v2, v0
	v_lshrrev_b32_e32 v4, 28, v4
	s_delay_alu instid0(VALU_DEP_1) | instskip(SKIP_1) | instid1(VALU_DEP_2)
	v_add_nc_u32_e32 v3, v3, v4
	v_add_nc_u32_e32 v4, 1, v5
	v_ashrrev_i32_e32 v36, 4, v3
	s_delay_alu instid0(VALU_DEP_2) | instskip(NEXT) | instid1(VALU_DEP_2)
	v_cndmask_b32_e32 v0, v5, v4, vcc_lo
	v_min_i32_e32 v37, s0, v36
	s_delay_alu instid0(VALU_DEP_2) | instskip(NEXT) | instid1(VALU_DEP_1)
	v_xor_b32_e32 v0, v0, v1
	v_sub_nc_u32_e32 v0, v0, v1
	s_waitcnt vmcnt(0)
	v_lshrrev_b32_e32 v7, 5, v7
	s_delay_alu instid0(VALU_DEP_1)
	v_or_b32_e32 v16, s13, v7
	scratch_store_b32 off, v7, s32 offset:428 ; 4-byte Folded Spill
	v_ashrrev_i32_e32 v7, 31, v6
	s_waitcnt lgkmcnt(0)
	s_waitcnt_vscnt null, 0x0
	s_barrier
	v_cmp_ge_i32_e64 s0, v16, v37
	buffer_gl0_inv
	s_and_saveexec_b32 s2, s0
	s_delay_alu instid0(SALU_CYCLE_1)
	s_xor_b32 s2, exec_lo, s2
; %bb.6:
	v_mbcnt_lo_u32_b32 v38, -1, 0
	v_mov_b32_e32 v11, 32
	s_mov_b32 s1, 0xff7fffff
                                        ; implicit-def: $vgpr39
                                        ; implicit-def: $vgpr13
                                        ; implicit-def: $vgpr24
                                        ; implicit-def: $vgpr8
                                        ; implicit-def: $vgpr9
; %bb.7:
	s_or_saveexec_b32 s15, s2
	s_clause 0x1
	s_load_b32 s18, s[8:9], 0x14
	s_load_b32 s7, s[8:9], 0x8
	v_mul_lo_u32 v51, v0, v23
	v_lshlrev_b64 v[49:50], 2, v[6:7]
	v_mov_b32_e32 v91, s1
	v_ashrrev_i32_e32 v17, 31, v16
	s_delay_alu instid0(VALU_DEP_4)
	v_ashrrev_i32_e32 v52, 31, v51
	s_xor_b32 exec_lo, exec_lo, s15
	s_cbranch_execz .LBB430_1165
; %bb.8:
	s_clause 0xa
	scratch_store_b32 off, v36, s32 offset:488
	scratch_store_b32 off, v34, s32 offset:484
	;; [unrolled: 1-line block ×8, first 2 shown]
	scratch_store_b64 off, v[26:27], s32 offset:452
	scratch_store_b32 off, v104, s32 offset:440
	scratch_store_b32 off, v95, s32 offset:436
	scratch_load_b32 v11, off, s32 offset:432 ; 4-byte Folded Reload
	s_ashr_i32 s11, s10, 31
	s_getpc_b64 s[2:3]
	s_add_u32 s2, s2, llvm.amdgcn.dynlds.offset.table@rel32@lo+4
	s_addc_u32 s3, s3, llvm.amdgcn.dynlds.offset.table@rel32@hi+12
	s_lshl_b64 s[8:9], s[10:11], 2
	v_cmp_neq_f32_e64 s1, 0, v39
	s_add_u32 s8, s8, s2
	s_mov_b32 s11, 0
	s_addc_u32 s9, s9, s3
	v_mov_b32_e32 v105, v16
	v_mov_b32_e32 v91, 0xff7fffff
	s_waitcnt vmcnt(0)
	v_mul_u32_u24_e32 v10, 0xc0, v11
	ds_load_b128 v[0:3], v10
	ds_load_b128 v[4:7], v10 offset:16
	ds_load_b128 v[18:21], v10 offset:32
	;; [unrolled: 1-line block ×3, first 2 shown]
	v_lshlrev_b32_e32 v95, 2, v11
	s_clause 0x4
	scratch_store_b32 off, v15, s32 offset:444
	scratch_store_b32 off, v14, s32 offset:448
	scratch_store_b64 off, v[49:50], s32 offset:492
	scratch_store_b32 off, v51, s32 offset:500
	scratch_store_b32 off, v52, s32 offset:504
	s_waitcnt lgkmcnt(0)
	v_lshlrev_b32_e32 v12, 16, v0
	v_and_b32_e32 v0, 0xffff0000, v0
	v_lshlrev_b32_e32 v100, 16, v27
	v_and_b32_e32 v101, 0xffff0000, v27
	scratch_store_b32 off, v12, s32 offset:320 ; 4-byte Folded Spill
	v_and_b32_e32 v12, 0xffff0000, v21
	scratch_store_b32 off, v0, s32 offset:324 ; 4-byte Folded Spill
	v_lshlrev_b32_e32 v0, 16, v1
	v_lshlrev_b32_e32 v102, 16, v28
	v_and_b32_e32 v103, 0xffff0000, v28
	scratch_store_b32 off, v12, s32 offset:412 ; 4-byte Folded Spill
	v_lshlrev_b32_e32 v12, 16, v26
	scratch_store_b32 off, v0, s32 offset:328 ; 4-byte Folded Spill
	v_and_b32_e32 v0, 0xffff0000, v1
	v_lshlrev_b32_e32 v112, 16, v29
	v_and_b32_e32 v113, 0xffff0000, v29
	scratch_store_b32 off, v12, s32 offset:416 ; 4-byte Folded Spill
	v_and_b32_e32 v12, 0xffff0000, v26
	scratch_store_b32 off, v0, s32 offset:332 ; 4-byte Folded Spill
	v_lshlrev_b32_e32 v0, 16, v2
	ds_load_b128 v[26:29], v10 offset:112
	s_clause 0x1
	scratch_store_b32 off, v12, s32 offset:420
	scratch_store_b32 off, v0, s32 offset:336
	v_and_b32_e32 v0, 0xffff0000, v2
	scratch_store_b32 off, v0, s32 offset:340 ; 4-byte Folded Spill
	v_lshlrev_b32_e32 v0, 16, v3
	scratch_store_b32 off, v0, s32 offset:344 ; 4-byte Folded Spill
	v_and_b32_e32 v0, 0xffff0000, v3
	s_waitcnt lgkmcnt(0)
	v_lshlrev_b32_e32 v163, 16, v26
	v_and_b32_e32 v164, 0xffff0000, v26
	scratch_store_b32 off, v0, s32 offset:348 ; 4-byte Folded Spill
	v_lshlrev_b32_e32 v0, 16, v4
	v_lshlrev_b32_e32 v165, 16, v27
	v_and_b32_e32 v166, 0xffff0000, v27
	v_lshlrev_b32_e32 v167, 16, v28
	v_and_b32_e32 v176, 0xffff0000, v28
	scratch_store_b32 off, v0, s32 offset:352 ; 4-byte Folded Spill
	v_and_b32_e32 v0, 0xffff0000, v4
	v_and_b32_e32 v4, 0xffff0000, v7
	v_lshlrev_b32_e32 v177, 16, v29
	v_and_b32_e32 v178, 0xffff0000, v29
	ds_load_b128 v[26:29], v10 offset:176
	s_clause 0x1
	scratch_store_b32 off, v0, s32 offset:356
	scratch_store_b32 off, v4, s32 offset:380
	v_lshlrev_b32_e32 v0, 16, v5
	v_lshlrev_b32_e32 v4, 16, v18
	s_clause 0x1
	scratch_store_b32 off, v0, s32 offset:360
	scratch_store_b32 off, v4, s32 offset:384
	v_and_b32_e32 v0, 0xffff0000, v5
	v_and_b32_e32 v4, 0xffff0000, v18
	s_clause 0x1
	scratch_store_b32 off, v0, s32 offset:364
	scratch_store_b32 off, v4, s32 offset:388
	v_lshlrev_b32_e32 v0, 16, v6
	v_lshlrev_b32_e32 v4, 16, v19
	s_waitcnt lgkmcnt(0)
	v_lshlrev_b32_e32 v75, 16, v26
	v_and_b32_e32 v76, 0xffff0000, v26
	s_clause 0x1
	scratch_store_b32 off, v0, s32 offset:368
	scratch_store_b32 off, v4, s32 offset:392
	v_and_b32_e32 v0, 0xffff0000, v6
	v_and_b32_e32 v4, 0xffff0000, v19
	v_lshlrev_b32_e32 v77, 16, v27
	v_and_b32_e32 v78, 0xffff0000, v27
	v_lshlrev_b32_e32 v79, 16, v28
	s_clause 0x1
	scratch_store_b32 off, v0, s32 offset:372
	scratch_store_b32 off, v4, s32 offset:396
	v_lshlrev_b32_e32 v0, 16, v7
	v_lshlrev_b32_e32 v4, 16, v20
	v_and_b32_e32 v88, 0xffff0000, v28
	v_lshlrev_b32_e32 v89, 16, v29
	v_and_b32_e32 v90, 0xffff0000, v29
	s_clause 0x1
	scratch_store_b32 off, v0, s32 offset:376
	scratch_store_b32 off, v4, s32 offset:400
	ds_load_b128 v[0:3], v10 offset:64
	v_and_b32_e32 v4, 0xffff0000, v20
	scratch_store_b32 off, v4, s32 offset:404 ; 4-byte Folded Spill
	v_lshlrev_b32_e32 v4, 16, v21
	ds_load_b128 v[18:21], v10 offset:96
	scratch_store_b32 off, v4, s32 offset:408 ; 4-byte Folded Spill
	ds_load_b128 v[4:7], v10 offset:80
	s_waitcnt lgkmcnt(2)
	v_lshlrev_b32_e32 v114, 16, v0
	v_and_b32_e32 v115, 0xffff0000, v0
	v_lshlrev_b32_e32 v116, 16, v1
	v_and_b32_e32 v117, 0xffff0000, v1
	;; [unrolled: 2-line block ×4, first 2 shown]
	ds_load_b128 v[0:3], v10 offset:128
	s_waitcnt lgkmcnt(2)
	v_lshlrev_b32_e32 v147, 16, v18
	v_and_b32_e32 v148, 0xffff0000, v18
	v_lshlrev_b32_e32 v149, 16, v19
	v_and_b32_e32 v150, 0xffff0000, v19
	s_waitcnt lgkmcnt(1)
	v_lshlrev_b32_e32 v130, 16, v4
	v_and_b32_e32 v131, 0xffff0000, v4
	v_lshlrev_b32_e32 v132, 16, v5
	v_and_b32_e32 v133, 0xffff0000, v5
	;; [unrolled: 2-line block ×4, first 2 shown]
	ds_load_b128 v[4:7], v10 offset:144
	v_lshlrev_b32_e32 v151, 16, v20
	v_and_b32_e32 v160, 0xffff0000, v20
	v_lshlrev_b32_e32 v161, 16, v21
	v_and_b32_e32 v162, 0xffff0000, v21
	ds_load_b128 v[18:21], v10 offset:160
	s_waitcnt lgkmcnt(2)
	v_lshlrev_b32_e32 v183, 16, v2
	v_and_b32_e32 v40, 0xffff0000, v2
	scratch_load_b32 v2, off, s32 offset:424 ; 4-byte Folded Reload
	v_lshlrev_b32_e32 v179, 16, v0
	v_and_b32_e32 v180, 0xffff0000, v0
	v_lshlrev_b32_e32 v181, 16, v1
	v_and_b32_e32 v182, 0xffff0000, v1
	v_lshlrev_b64 v[0:1], 2, v[16:17]
	v_lshlrev_b32_e32 v41, 16, v3
	v_and_b32_e32 v42, 0xffff0000, v3
	s_delay_alu instid0(VALU_DEP_3) | instskip(NEXT) | instid1(VALU_DEP_4)
	v_add_co_u32 v0, vcc_lo, v49, v0
	v_add_co_ci_u32_e32 v1, vcc_lo, v50, v1, vcc_lo
	s_waitcnt lgkmcnt(1)
	v_lshlrev_b32_e32 v43, 16, v4
	v_and_b32_e32 v44, 0xffff0000, v4
	v_add_co_u32 v4, vcc_lo, v8, v51
	v_lshlrev_b32_e32 v45, 16, v5
	v_and_b32_e32 v46, 0xffff0000, v5
	v_add_co_ci_u32_e32 v5, vcc_lo, v9, v52, vcc_lo
	v_lshlrev_b32_e32 v47, 16, v6
	v_and_b32_e32 v56, 0xffff0000, v6
	v_xor_b32_e32 v6, 1, v38
	s_waitcnt lgkmcnt(0)
	v_lshlrev_b32_e32 v59, 16, v18
	v_and_b32_e32 v60, 0xffff0000, v18
	v_lshlrev_b32_e32 v61, 16, v19
	v_and_b32_e32 v62, 0xffff0000, v19
	;; [unrolled: 2-line block ×4, first 2 shown]
	v_lshlrev_b32_e32 v73, 16, v21
	v_dual_mov_b32 v21, 0 :: v_dual_and_b32 v74, 0xffff0000, v21
	s_waitcnt vmcnt(0)
	v_bfe_u32 v2, v2, 1, 4
	s_delay_alu instid0(VALU_DEP_1) | instskip(NEXT) | instid1(VALU_DEP_1)
	v_lshlrev_b32_e32 v3, 4, v2
	v_add_co_u32 v8, vcc_lo, v4, v3
	v_add_co_ci_u32_e32 v9, vcc_lo, 0, v5, vcc_lo
	v_cmp_gt_i32_e32 vcc_lo, 32, v6
	v_cndmask_b32_e32 v3, v38, v6, vcc_lo
	v_add_co_u32 v18, vcc_lo, v14, v0
	v_add_co_ci_u32_e32 v19, vcc_lo, v15, v1, vcc_lo
	s_delay_alu instid0(VALU_DEP_3)
	v_lshlrev_b32_e32 v92, 2, v3
	scratch_load_b32 v3, off, s32 offset:428 ; 4-byte Folded Reload
	v_lshlrev_b32_e32 v1, 2, v2
	v_cmp_eq_u32_e32 vcc_lo, 0, v11
	s_waitcnt vmcnt(0)
	v_lshlrev_b32_e32 v0, 4, v3
	s_delay_alu instid0(VALU_DEP_3) | instskip(NEXT) | instid1(VALU_DEP_2)
	v_lshl_or_b32 v94, v3, 6, v1
	v_add3_u32 v93, s17, v0, v2
	s_branch .LBB430_10
.LBB430_9:                              ;   in Loop: Header=BB430_10 Depth=1
	s_or_b32 exec_lo, exec_lo, s3
	v_add_nc_u32_e32 v105, 4, v105
	v_add_co_u32 v18, s3, v18, 16
	s_delay_alu instid0(VALU_DEP_1) | instskip(NEXT) | instid1(VALU_DEP_3)
	v_add_co_ci_u32_e64 v19, s3, 0, v19, s3
	v_cmp_ge_i32_e64 s2, v105, v37
	v_add_nc_u32_e32 v93, 64, v93
	v_add_nc_u32_e32 v94, 0x100, v94
	s_delay_alu instid0(VALU_DEP_3) | instskip(NEXT) | instid1(SALU_CYCLE_1)
	s_or_b32 s11, s2, s11
	s_and_not1_b32 exec_lo, exec_lo, s11
	s_cbranch_execz .LBB430_1164
.LBB430_10:                             ; =>This Inner Loop Header: Depth=1
	flat_load_b32 v2, v[18:19]
	s_mov_b32 s3, exec_lo
	s_waitcnt vmcnt(0) lgkmcnt(0)
	v_mad_i64_i32 v[0:1], null, v2, v22, v[8:9]
	s_delay_alu instid0(VALU_DEP_1) | instskip(NEXT) | instid1(VALU_DEP_1)
	v_add_co_u32 v28, s2, v0, v95
	v_add_co_ci_u32_e64 v29, s2, 0, v1, s2
	flat_load_b32 v0, v[28:29]
	flat_load_b32 v107, v[24:25]
	s_waitcnt vmcnt(1) lgkmcnt(1)
	v_dual_mov_b32 v1, 0 :: v_dual_and_b32 v2, 0xff, v0
	s_delay_alu instid0(VALU_DEP_1)
	v_cmpx_ne_u16_e32 0, v2
	s_cbranch_execz .LBB430_18
; %bb.11:                               ;   in Loop: Header=BB430_10 Depth=1
	v_bfrev_b32_e32 v1, 1
	s_mov_b32 s19, exec_lo
	v_cmpx_ne_u16_e32 0x80, v2
	s_cbranch_execz .LBB430_17
; %bb.12:                               ;   in Loop: Header=BB430_10 Depth=1
	v_and_b32_e32 v2, 0x7f, v0
	v_mov_b32_e32 v1, 0x7f800001
	s_mov_b32 s20, exec_lo
	s_delay_alu instid0(VALU_DEP_2)
	v_cmpx_ne_u32_e32 0x7f, v2
	s_cbranch_execz .LBB430_16
; %bb.13:                               ;   in Loop: Header=BB430_10 Depth=1
	v_and_b32_e32 v20, 7, v0
	v_lshrrev_b32_e32 v1, 3, v2
	v_mov_b32_e32 v31, v21
	s_mov_b32 s21, exec_lo
	s_delay_alu instid0(VALU_DEP_3)
	v_mov_b32_e32 v30, v20
	v_cmpx_gt_u32_e32 8, v2
; %bb.14:                               ;   in Loop: Header=BB430_10 Depth=1
	v_clz_i32_u32_e32 v1, v20
	s_delay_alu instid0(VALU_DEP_1) | instskip(NEXT) | instid1(VALU_DEP_1)
	v_min_u32_e32 v1, 32, v1
	v_subrev_nc_u32_e32 v2, 28, v1
	v_sub_nc_u32_e32 v1, 29, v1
	s_delay_alu instid0(VALU_DEP_2) | instskip(NEXT) | instid1(VALU_DEP_1)
	v_lshlrev_b64 v[2:3], v2, v[20:21]
	v_and_b32_e32 v30, 7, v2
; %bb.15:                               ;   in Loop: Header=BB430_10 Depth=1
	s_or_b32 exec_lo, exec_lo, s21
	v_lshlrev_b32_e32 v2, 24, v0
	s_delay_alu instid0(VALU_DEP_2) | instskip(SKIP_1) | instid1(VALU_DEP_3)
	v_lshlrev_b32_e32 v3, 20, v30
	v_lshl_add_u32 v1, v1, 23, 0x3c000000
	v_and_b32_e32 v2, 0x80000000, v2
	s_delay_alu instid0(VALU_DEP_1)
	v_or3_b32 v1, v3, v2, v1
.LBB430_16:                             ;   in Loop: Header=BB430_10 Depth=1
	s_or_b32 exec_lo, exec_lo, s20
.LBB430_17:                             ;   in Loop: Header=BB430_10 Depth=1
	s_delay_alu instid0(SALU_CYCLE_1)
	s_or_b32 exec_lo, exec_lo, s19
.LBB430_18:                             ;   in Loop: Header=BB430_10 Depth=1
	s_delay_alu instid0(SALU_CYCLE_1) | instskip(SKIP_2) | instid1(VALU_DEP_1)
	s_or_b32 exec_lo, exec_lo, s3
	s_waitcnt vmcnt(0) lgkmcnt(0)
	v_mul_f32_e32 v1, v107, v1
                                        ; implicit-def: $vgpr106
	v_and_b32_e32 v2, 0x7f800000, v1
	s_delay_alu instid0(VALU_DEP_1) | instskip(NEXT) | instid1(VALU_DEP_1)
	v_cmp_ne_u32_e64 s2, 0x7f800000, v2
	s_and_saveexec_b32 s3, s2
	s_delay_alu instid0(SALU_CYCLE_1)
	s_xor_b32 s2, exec_lo, s3
; %bb.19:                               ;   in Loop: Header=BB430_10 Depth=1
	v_bfe_u32 v2, v1, 16, 1
	s_delay_alu instid0(VALU_DEP_1)
	v_add3_u32 v106, v1, v2, 0x7fff
                                        ; implicit-def: $vgpr1
; %bb.20:                               ;   in Loop: Header=BB430_10 Depth=1
	s_and_not1_saveexec_b32 s3, s2
; %bb.21:                               ;   in Loop: Header=BB430_10 Depth=1
	v_and_b32_e32 v2, 0xffff, v1
	v_or_b32_e32 v3, 0x10000, v1
	s_delay_alu instid0(VALU_DEP_2) | instskip(NEXT) | instid1(VALU_DEP_1)
	v_cmp_eq_u32_e64 s2, 0, v2
	v_cndmask_b32_e64 v106, v3, v1, s2
; %bb.22:                               ;   in Loop: Header=BB430_10 Depth=1
	s_or_b32 exec_lo, exec_lo, s3
	v_lshrrev_b16 v2, 8, v0
	v_mov_b32_e32 v1, 0
	s_mov_b32 s3, exec_lo
	s_delay_alu instid0(VALU_DEP_2)
	v_cmpx_ne_u16_e32 0, v2
	s_cbranch_execz .LBB430_30
; %bb.23:                               ;   in Loop: Header=BB430_10 Depth=1
	v_bfrev_b32_e32 v1, 1
	s_mov_b32 s19, exec_lo
	v_cmpx_ne_u16_e32 0x80, v2
	s_cbranch_execz .LBB430_29
; %bb.24:                               ;   in Loop: Header=BB430_10 Depth=1
	v_and_b32_e32 v3, 0xffff, v2
	v_mov_b32_e32 v1, 0x7f800001
	s_mov_b32 s20, exec_lo
	s_delay_alu instid0(VALU_DEP_2) | instskip(NEXT) | instid1(VALU_DEP_1)
	v_and_b32_e32 v2, 0x7f, v3
	v_cmpx_ne_u32_e32 0x7f, v2
	s_cbranch_execz .LBB430_28
; %bb.25:                               ;   in Loop: Header=BB430_10 Depth=1
	v_and_b32_e32 v20, 7, v3
	v_lshrrev_b32_e32 v1, 3, v2
	v_mov_b32_e32 v31, v21
	s_mov_b32 s21, exec_lo
	s_delay_alu instid0(VALU_DEP_3)
	v_mov_b32_e32 v30, v20
	v_cmpx_gt_u32_e32 8, v2
; %bb.26:                               ;   in Loop: Header=BB430_10 Depth=1
	v_clz_i32_u32_e32 v1, v20
	s_delay_alu instid0(VALU_DEP_1) | instskip(NEXT) | instid1(VALU_DEP_1)
	v_min_u32_e32 v1, 32, v1
	v_subrev_nc_u32_e32 v2, 28, v1
	v_sub_nc_u32_e32 v1, 29, v1
	s_delay_alu instid0(VALU_DEP_2) | instskip(NEXT) | instid1(VALU_DEP_1)
	v_lshlrev_b64 v[2:3], v2, v[20:21]
	v_and_b32_e32 v30, 7, v2
; %bb.27:                               ;   in Loop: Header=BB430_10 Depth=1
	s_or_b32 exec_lo, exec_lo, s21
	v_lshlrev_b32_e32 v2, 16, v0
	s_delay_alu instid0(VALU_DEP_2) | instskip(SKIP_1) | instid1(VALU_DEP_3)
	v_lshlrev_b32_e32 v3, 20, v30
	v_lshl_add_u32 v1, v1, 23, 0x3c000000
	v_and_b32_e32 v2, 0x80000000, v2
	s_delay_alu instid0(VALU_DEP_1)
	v_or3_b32 v1, v3, v2, v1
.LBB430_28:                             ;   in Loop: Header=BB430_10 Depth=1
	s_or_b32 exec_lo, exec_lo, s20
.LBB430_29:                             ;   in Loop: Header=BB430_10 Depth=1
	s_delay_alu instid0(SALU_CYCLE_1)
	s_or_b32 exec_lo, exec_lo, s19
.LBB430_30:                             ;   in Loop: Header=BB430_10 Depth=1
	s_delay_alu instid0(SALU_CYCLE_1) | instskip(NEXT) | instid1(VALU_DEP_1)
	s_or_b32 exec_lo, exec_lo, s3
	v_mul_f32_e32 v1, v107, v1
                                        ; implicit-def: $vgpr108
	s_delay_alu instid0(VALU_DEP_1) | instskip(NEXT) | instid1(VALU_DEP_1)
	v_and_b32_e32 v2, 0x7f800000, v1
	v_cmp_ne_u32_e64 s2, 0x7f800000, v2
	s_delay_alu instid0(VALU_DEP_1) | instskip(NEXT) | instid1(SALU_CYCLE_1)
	s_and_saveexec_b32 s3, s2
	s_xor_b32 s2, exec_lo, s3
; %bb.31:                               ;   in Loop: Header=BB430_10 Depth=1
	v_bfe_u32 v2, v1, 16, 1
	s_delay_alu instid0(VALU_DEP_1)
	v_add3_u32 v108, v1, v2, 0x7fff
                                        ; implicit-def: $vgpr1
; %bb.32:                               ;   in Loop: Header=BB430_10 Depth=1
	s_and_not1_saveexec_b32 s3, s2
; %bb.33:                               ;   in Loop: Header=BB430_10 Depth=1
	v_and_b32_e32 v2, 0xffff, v1
	v_or_b32_e32 v3, 0x10000, v1
	s_delay_alu instid0(VALU_DEP_2) | instskip(NEXT) | instid1(VALU_DEP_1)
	v_cmp_eq_u32_e64 s2, 0, v2
	v_cndmask_b32_e64 v108, v3, v1, s2
; %bb.34:                               ;   in Loop: Header=BB430_10 Depth=1
	s_or_b32 exec_lo, exec_lo, s3
	v_lshrrev_b32_e32 v1, 16, v0
	s_mov_b32 s3, exec_lo
	s_delay_alu instid0(VALU_DEP_1) | instskip(NEXT) | instid1(VALU_DEP_1)
	v_dual_mov_b32 v2, 0 :: v_dual_and_b32 v3, 0xff, v1
	v_cmpx_ne_u16_e32 0, v3
	s_cbranch_execz .LBB430_42
; %bb.35:                               ;   in Loop: Header=BB430_10 Depth=1
	v_bfrev_b32_e32 v2, 1
	s_mov_b32 s19, exec_lo
	v_cmpx_ne_u16_e32 0x80, v3
	s_cbranch_execz .LBB430_41
; %bb.36:                               ;   in Loop: Header=BB430_10 Depth=1
	v_bfe_u32 v3, v0, 16, 7
	v_mov_b32_e32 v2, 0x7f800001
	s_mov_b32 s20, exec_lo
	s_delay_alu instid0(VALU_DEP_2)
	v_cmpx_ne_u32_e32 0x7f, v3
	s_cbranch_execz .LBB430_40
; %bb.37:                               ;   in Loop: Header=BB430_10 Depth=1
	v_and_b32_e32 v20, 7, v1
	v_lshrrev_b32_e32 v2, 3, v3
	v_mov_b32_e32 v31, v21
	s_mov_b32 s21, exec_lo
	s_delay_alu instid0(VALU_DEP_3)
	v_mov_b32_e32 v30, v20
	v_cmpx_gt_u32_e32 8, v3
; %bb.38:                               ;   in Loop: Header=BB430_10 Depth=1
	v_clz_i32_u32_e32 v2, v20
	s_delay_alu instid0(VALU_DEP_1) | instskip(NEXT) | instid1(VALU_DEP_1)
	v_min_u32_e32 v2, 32, v2
	v_subrev_nc_u32_e32 v3, 28, v2
	v_sub_nc_u32_e32 v2, 29, v2
	s_delay_alu instid0(VALU_DEP_2) | instskip(NEXT) | instid1(VALU_DEP_1)
	v_lshlrev_b64 v[3:4], v3, v[20:21]
	v_and_b32_e32 v30, 7, v3
; %bb.39:                               ;   in Loop: Header=BB430_10 Depth=1
	s_or_b32 exec_lo, exec_lo, s21
	v_lshlrev_b32_e32 v1, 24, v1
	s_delay_alu instid0(VALU_DEP_2) | instskip(SKIP_1) | instid1(VALU_DEP_3)
	v_lshlrev_b32_e32 v3, 20, v30
	v_lshl_add_u32 v2, v2, 23, 0x3c000000
	v_and_b32_e32 v1, 0x80000000, v1
	s_delay_alu instid0(VALU_DEP_1)
	v_or3_b32 v2, v3, v1, v2
.LBB430_40:                             ;   in Loop: Header=BB430_10 Depth=1
	s_or_b32 exec_lo, exec_lo, s20
.LBB430_41:                             ;   in Loop: Header=BB430_10 Depth=1
	s_delay_alu instid0(SALU_CYCLE_1)
	s_or_b32 exec_lo, exec_lo, s19
.LBB430_42:                             ;   in Loop: Header=BB430_10 Depth=1
	s_delay_alu instid0(SALU_CYCLE_1) | instskip(NEXT) | instid1(VALU_DEP_1)
	s_or_b32 exec_lo, exec_lo, s3
	v_mul_f32_e32 v1, v107, v2
                                        ; implicit-def: $vgpr110
	s_delay_alu instid0(VALU_DEP_1) | instskip(NEXT) | instid1(VALU_DEP_1)
	v_and_b32_e32 v2, 0x7f800000, v1
	v_cmp_ne_u32_e64 s2, 0x7f800000, v2
	s_delay_alu instid0(VALU_DEP_1) | instskip(NEXT) | instid1(SALU_CYCLE_1)
	s_and_saveexec_b32 s3, s2
	s_xor_b32 s2, exec_lo, s3
; %bb.43:                               ;   in Loop: Header=BB430_10 Depth=1
	v_bfe_u32 v2, v1, 16, 1
	s_delay_alu instid0(VALU_DEP_1)
	v_add3_u32 v110, v1, v2, 0x7fff
                                        ; implicit-def: $vgpr1
; %bb.44:                               ;   in Loop: Header=BB430_10 Depth=1
	s_and_not1_saveexec_b32 s3, s2
; %bb.45:                               ;   in Loop: Header=BB430_10 Depth=1
	v_and_b32_e32 v2, 0xffff, v1
	v_or_b32_e32 v3, 0x10000, v1
	s_delay_alu instid0(VALU_DEP_2) | instskip(NEXT) | instid1(VALU_DEP_1)
	v_cmp_eq_u32_e64 s2, 0, v2
	v_cndmask_b32_e64 v110, v3, v1, s2
; %bb.46:                               ;   in Loop: Header=BB430_10 Depth=1
	s_or_b32 exec_lo, exec_lo, s3
	v_mov_b32_e32 v2, 0
	s_mov_b32 s3, exec_lo
	v_cmpx_lt_u32_e32 0xffffff, v0
	s_cbranch_execz .LBB430_54
; %bb.47:                               ;   in Loop: Header=BB430_10 Depth=1
	v_lshrrev_b32_e32 v1, 24, v0
	v_bfrev_b32_e32 v2, 1
	s_mov_b32 s19, exec_lo
	s_delay_alu instid0(VALU_DEP_2)
	v_cmpx_ne_u32_e32 0x80, v1
	s_cbranch_execz .LBB430_53
; %bb.48:                               ;   in Loop: Header=BB430_10 Depth=1
	v_bfe_u32 v3, v0, 24, 7
	v_mov_b32_e32 v2, 0x7f800001
	s_mov_b32 s20, exec_lo
	s_delay_alu instid0(VALU_DEP_2)
	v_cmpx_ne_u32_e32 0x7f, v3
	s_cbranch_execz .LBB430_52
; %bb.49:                               ;   in Loop: Header=BB430_10 Depth=1
	v_and_b32_e32 v20, 7, v1
	v_lshrrev_b32_e32 v0, 3, v3
	v_mov_b32_e32 v31, v21
	s_mov_b32 s21, exec_lo
	s_delay_alu instid0(VALU_DEP_3)
	v_mov_b32_e32 v30, v20
	v_cmpx_gt_u32_e32 8, v3
; %bb.50:                               ;   in Loop: Header=BB430_10 Depth=1
	v_clz_i32_u32_e32 v0, v20
	s_delay_alu instid0(VALU_DEP_1) | instskip(NEXT) | instid1(VALU_DEP_1)
	v_min_u32_e32 v0, 32, v0
	v_subrev_nc_u32_e32 v2, 28, v0
	v_sub_nc_u32_e32 v0, 29, v0
	s_delay_alu instid0(VALU_DEP_2) | instskip(NEXT) | instid1(VALU_DEP_1)
	v_lshlrev_b64 v[2:3], v2, v[20:21]
	v_and_b32_e32 v30, 7, v2
; %bb.51:                               ;   in Loop: Header=BB430_10 Depth=1
	s_or_b32 exec_lo, exec_lo, s21
	v_lshlrev_b32_e32 v1, 24, v1
	s_delay_alu instid0(VALU_DEP_2) | instskip(SKIP_1) | instid1(VALU_DEP_3)
	v_lshlrev_b32_e32 v2, 20, v30
	v_lshl_add_u32 v0, v0, 23, 0x3c000000
	v_and_b32_e32 v1, 0x80000000, v1
	s_delay_alu instid0(VALU_DEP_1)
	v_or3_b32 v2, v2, v1, v0
.LBB430_52:                             ;   in Loop: Header=BB430_10 Depth=1
	s_or_b32 exec_lo, exec_lo, s20
.LBB430_53:                             ;   in Loop: Header=BB430_10 Depth=1
	s_delay_alu instid0(SALU_CYCLE_1)
	s_or_b32 exec_lo, exec_lo, s19
.LBB430_54:                             ;   in Loop: Header=BB430_10 Depth=1
	s_delay_alu instid0(SALU_CYCLE_1) | instskip(NEXT) | instid1(VALU_DEP_1)
	s_or_b32 exec_lo, exec_lo, s3
	v_mul_f32_e32 v0, v107, v2
                                        ; implicit-def: $vgpr109
	s_delay_alu instid0(VALU_DEP_1) | instskip(NEXT) | instid1(VALU_DEP_1)
	v_and_b32_e32 v1, 0x7f800000, v0
	v_cmp_ne_u32_e64 s2, 0x7f800000, v1
	s_delay_alu instid0(VALU_DEP_1) | instskip(NEXT) | instid1(SALU_CYCLE_1)
	s_and_saveexec_b32 s3, s2
	s_xor_b32 s2, exec_lo, s3
; %bb.55:                               ;   in Loop: Header=BB430_10 Depth=1
	v_bfe_u32 v1, v0, 16, 1
	s_delay_alu instid0(VALU_DEP_1)
	v_add3_u32 v109, v0, v1, 0x7fff
                                        ; implicit-def: $vgpr0
; %bb.56:                               ;   in Loop: Header=BB430_10 Depth=1
	s_and_not1_saveexec_b32 s3, s2
; %bb.57:                               ;   in Loop: Header=BB430_10 Depth=1
	v_and_b32_e32 v1, 0xffff, v0
	v_or_b32_e32 v2, 0x10000, v0
	s_delay_alu instid0(VALU_DEP_2) | instskip(NEXT) | instid1(VALU_DEP_1)
	v_cmp_eq_u32_e64 s2, 0, v1
	v_cndmask_b32_e64 v109, v2, v0, s2
; %bb.58:                               ;   in Loop: Header=BB430_10 Depth=1
	s_or_b32 exec_lo, exec_lo, s3
	flat_load_b32 v0, v[28:29] offset:8
	s_mov_b32 s3, exec_lo
	s_waitcnt vmcnt(0) lgkmcnt(0)
	v_dual_mov_b32 v1, 0 :: v_dual_and_b32 v2, 0xff, v0
	s_delay_alu instid0(VALU_DEP_1)
	v_cmpx_ne_u16_e32 0, v2
	s_cbranch_execz .LBB430_66
; %bb.59:                               ;   in Loop: Header=BB430_10 Depth=1
	v_bfrev_b32_e32 v1, 1
	s_mov_b32 s19, exec_lo
	v_cmpx_ne_u16_e32 0x80, v2
	s_cbranch_execz .LBB430_65
; %bb.60:                               ;   in Loop: Header=BB430_10 Depth=1
	v_and_b32_e32 v2, 0x7f, v0
	v_mov_b32_e32 v1, 0x7f800001
	s_mov_b32 s20, exec_lo
	s_delay_alu instid0(VALU_DEP_2)
	v_cmpx_ne_u32_e32 0x7f, v2
	s_cbranch_execz .LBB430_64
; %bb.61:                               ;   in Loop: Header=BB430_10 Depth=1
	v_and_b32_e32 v20, 7, v0
	v_lshrrev_b32_e32 v1, 3, v2
	v_mov_b32_e32 v31, v21
	s_mov_b32 s21, exec_lo
	s_delay_alu instid0(VALU_DEP_3)
	v_mov_b32_e32 v30, v20
	v_cmpx_gt_u32_e32 8, v2
; %bb.62:                               ;   in Loop: Header=BB430_10 Depth=1
	v_clz_i32_u32_e32 v1, v20
	s_delay_alu instid0(VALU_DEP_1) | instskip(NEXT) | instid1(VALU_DEP_1)
	v_min_u32_e32 v1, 32, v1
	v_subrev_nc_u32_e32 v2, 28, v1
	v_sub_nc_u32_e32 v1, 29, v1
	s_delay_alu instid0(VALU_DEP_2) | instskip(NEXT) | instid1(VALU_DEP_1)
	v_lshlrev_b64 v[2:3], v2, v[20:21]
	v_and_b32_e32 v30, 7, v2
; %bb.63:                               ;   in Loop: Header=BB430_10 Depth=1
	s_or_b32 exec_lo, exec_lo, s21
	v_lshlrev_b32_e32 v2, 24, v0
	s_delay_alu instid0(VALU_DEP_2) | instskip(SKIP_1) | instid1(VALU_DEP_3)
	v_lshlrev_b32_e32 v3, 20, v30
	v_lshl_add_u32 v1, v1, 23, 0x3c000000
	v_and_b32_e32 v2, 0x80000000, v2
	s_delay_alu instid0(VALU_DEP_1)
	v_or3_b32 v1, v3, v2, v1
.LBB430_64:                             ;   in Loop: Header=BB430_10 Depth=1
	s_or_b32 exec_lo, exec_lo, s20
.LBB430_65:                             ;   in Loop: Header=BB430_10 Depth=1
	s_delay_alu instid0(SALU_CYCLE_1)
	s_or_b32 exec_lo, exec_lo, s19
.LBB430_66:                             ;   in Loop: Header=BB430_10 Depth=1
	s_delay_alu instid0(SALU_CYCLE_1) | instskip(NEXT) | instid1(VALU_DEP_1)
	s_or_b32 exec_lo, exec_lo, s3
	v_mul_f32_e32 v1, v107, v1
                                        ; implicit-def: $vgpr111
	s_delay_alu instid0(VALU_DEP_1) | instskip(NEXT) | instid1(VALU_DEP_1)
	v_and_b32_e32 v2, 0x7f800000, v1
	v_cmp_ne_u32_e64 s2, 0x7f800000, v2
	s_delay_alu instid0(VALU_DEP_1) | instskip(NEXT) | instid1(SALU_CYCLE_1)
	s_and_saveexec_b32 s3, s2
	s_xor_b32 s2, exec_lo, s3
; %bb.67:                               ;   in Loop: Header=BB430_10 Depth=1
	v_bfe_u32 v2, v1, 16, 1
	s_delay_alu instid0(VALU_DEP_1)
	v_add3_u32 v111, v1, v2, 0x7fff
                                        ; implicit-def: $vgpr1
; %bb.68:                               ;   in Loop: Header=BB430_10 Depth=1
	s_and_not1_saveexec_b32 s3, s2
; %bb.69:                               ;   in Loop: Header=BB430_10 Depth=1
	v_and_b32_e32 v2, 0xffff, v1
	v_or_b32_e32 v3, 0x10000, v1
	s_delay_alu instid0(VALU_DEP_2) | instskip(NEXT) | instid1(VALU_DEP_1)
	v_cmp_eq_u32_e64 s2, 0, v2
	v_cndmask_b32_e64 v111, v3, v1, s2
; %bb.70:                               ;   in Loop: Header=BB430_10 Depth=1
	s_or_b32 exec_lo, exec_lo, s3
	v_lshrrev_b16 v2, 8, v0
	v_mov_b32_e32 v1, 0
	s_mov_b32 s3, exec_lo
	s_delay_alu instid0(VALU_DEP_2)
	v_cmpx_ne_u16_e32 0, v2
	s_cbranch_execz .LBB430_78
; %bb.71:                               ;   in Loop: Header=BB430_10 Depth=1
	v_bfrev_b32_e32 v1, 1
	s_mov_b32 s19, exec_lo
	v_cmpx_ne_u16_e32 0x80, v2
	s_cbranch_execz .LBB430_77
; %bb.72:                               ;   in Loop: Header=BB430_10 Depth=1
	v_and_b32_e32 v3, 0xffff, v2
	v_mov_b32_e32 v1, 0x7f800001
	s_mov_b32 s20, exec_lo
	s_delay_alu instid0(VALU_DEP_2) | instskip(NEXT) | instid1(VALU_DEP_1)
	v_and_b32_e32 v2, 0x7f, v3
	v_cmpx_ne_u32_e32 0x7f, v2
	s_cbranch_execz .LBB430_76
; %bb.73:                               ;   in Loop: Header=BB430_10 Depth=1
	v_and_b32_e32 v20, 7, v3
	v_lshrrev_b32_e32 v1, 3, v2
	v_mov_b32_e32 v31, v21
	s_mov_b32 s21, exec_lo
	s_delay_alu instid0(VALU_DEP_3)
	v_mov_b32_e32 v30, v20
	v_cmpx_gt_u32_e32 8, v2
; %bb.74:                               ;   in Loop: Header=BB430_10 Depth=1
	v_clz_i32_u32_e32 v1, v20
	s_delay_alu instid0(VALU_DEP_1) | instskip(NEXT) | instid1(VALU_DEP_1)
	v_min_u32_e32 v1, 32, v1
	v_subrev_nc_u32_e32 v2, 28, v1
	v_sub_nc_u32_e32 v1, 29, v1
	s_delay_alu instid0(VALU_DEP_2) | instskip(NEXT) | instid1(VALU_DEP_1)
	v_lshlrev_b64 v[2:3], v2, v[20:21]
	v_and_b32_e32 v30, 7, v2
; %bb.75:                               ;   in Loop: Header=BB430_10 Depth=1
	s_or_b32 exec_lo, exec_lo, s21
	v_lshlrev_b32_e32 v2, 16, v0
	s_delay_alu instid0(VALU_DEP_2) | instskip(SKIP_1) | instid1(VALU_DEP_3)
	v_lshlrev_b32_e32 v3, 20, v30
	v_lshl_add_u32 v1, v1, 23, 0x3c000000
	v_and_b32_e32 v2, 0x80000000, v2
	s_delay_alu instid0(VALU_DEP_1)
	v_or3_b32 v1, v3, v2, v1
.LBB430_76:                             ;   in Loop: Header=BB430_10 Depth=1
	s_or_b32 exec_lo, exec_lo, s20
.LBB430_77:                             ;   in Loop: Header=BB430_10 Depth=1
	s_delay_alu instid0(SALU_CYCLE_1)
	s_or_b32 exec_lo, exec_lo, s19
.LBB430_78:                             ;   in Loop: Header=BB430_10 Depth=1
	s_delay_alu instid0(SALU_CYCLE_1) | instskip(NEXT) | instid1(VALU_DEP_1)
	s_or_b32 exec_lo, exec_lo, s3
	v_mul_f32_e32 v1, v107, v1
                                        ; implicit-def: $vgpr120
	s_delay_alu instid0(VALU_DEP_1) | instskip(NEXT) | instid1(VALU_DEP_1)
	v_and_b32_e32 v2, 0x7f800000, v1
	v_cmp_ne_u32_e64 s2, 0x7f800000, v2
	s_delay_alu instid0(VALU_DEP_1) | instskip(NEXT) | instid1(SALU_CYCLE_1)
	s_and_saveexec_b32 s3, s2
	s_xor_b32 s2, exec_lo, s3
; %bb.79:                               ;   in Loop: Header=BB430_10 Depth=1
	v_bfe_u32 v2, v1, 16, 1
	s_delay_alu instid0(VALU_DEP_1)
	v_add3_u32 v120, v1, v2, 0x7fff
                                        ; implicit-def: $vgpr1
; %bb.80:                               ;   in Loop: Header=BB430_10 Depth=1
	s_and_not1_saveexec_b32 s3, s2
; %bb.81:                               ;   in Loop: Header=BB430_10 Depth=1
	v_and_b32_e32 v2, 0xffff, v1
	v_or_b32_e32 v3, 0x10000, v1
	s_delay_alu instid0(VALU_DEP_2) | instskip(NEXT) | instid1(VALU_DEP_1)
	v_cmp_eq_u32_e64 s2, 0, v2
	v_cndmask_b32_e64 v120, v3, v1, s2
; %bb.82:                               ;   in Loop: Header=BB430_10 Depth=1
	s_or_b32 exec_lo, exec_lo, s3
	v_lshrrev_b32_e32 v1, 16, v0
	s_mov_b32 s3, exec_lo
	s_delay_alu instid0(VALU_DEP_1) | instskip(NEXT) | instid1(VALU_DEP_1)
	v_dual_mov_b32 v2, 0 :: v_dual_and_b32 v3, 0xff, v1
	v_cmpx_ne_u16_e32 0, v3
	s_cbranch_execz .LBB430_90
; %bb.83:                               ;   in Loop: Header=BB430_10 Depth=1
	v_bfrev_b32_e32 v2, 1
	s_mov_b32 s19, exec_lo
	v_cmpx_ne_u16_e32 0x80, v3
	s_cbranch_execz .LBB430_89
; %bb.84:                               ;   in Loop: Header=BB430_10 Depth=1
	v_bfe_u32 v3, v0, 16, 7
	v_mov_b32_e32 v2, 0x7f800001
	s_mov_b32 s20, exec_lo
	s_delay_alu instid0(VALU_DEP_2)
	v_cmpx_ne_u32_e32 0x7f, v3
	s_cbranch_execz .LBB430_88
; %bb.85:                               ;   in Loop: Header=BB430_10 Depth=1
	v_and_b32_e32 v20, 7, v1
	v_lshrrev_b32_e32 v2, 3, v3
	v_mov_b32_e32 v31, v21
	s_mov_b32 s21, exec_lo
	s_delay_alu instid0(VALU_DEP_3)
	v_mov_b32_e32 v30, v20
	v_cmpx_gt_u32_e32 8, v3
; %bb.86:                               ;   in Loop: Header=BB430_10 Depth=1
	v_clz_i32_u32_e32 v2, v20
	s_delay_alu instid0(VALU_DEP_1) | instskip(NEXT) | instid1(VALU_DEP_1)
	v_min_u32_e32 v2, 32, v2
	v_subrev_nc_u32_e32 v3, 28, v2
	v_sub_nc_u32_e32 v2, 29, v2
	s_delay_alu instid0(VALU_DEP_2) | instskip(NEXT) | instid1(VALU_DEP_1)
	v_lshlrev_b64 v[3:4], v3, v[20:21]
	v_and_b32_e32 v30, 7, v3
; %bb.87:                               ;   in Loop: Header=BB430_10 Depth=1
	s_or_b32 exec_lo, exec_lo, s21
	v_lshlrev_b32_e32 v1, 24, v1
	s_delay_alu instid0(VALU_DEP_2) | instskip(SKIP_1) | instid1(VALU_DEP_3)
	v_lshlrev_b32_e32 v3, 20, v30
	v_lshl_add_u32 v2, v2, 23, 0x3c000000
	v_and_b32_e32 v1, 0x80000000, v1
	s_delay_alu instid0(VALU_DEP_1)
	v_or3_b32 v2, v3, v1, v2
.LBB430_88:                             ;   in Loop: Header=BB430_10 Depth=1
	s_or_b32 exec_lo, exec_lo, s20
.LBB430_89:                             ;   in Loop: Header=BB430_10 Depth=1
	s_delay_alu instid0(SALU_CYCLE_1)
	s_or_b32 exec_lo, exec_lo, s19
.LBB430_90:                             ;   in Loop: Header=BB430_10 Depth=1
	s_delay_alu instid0(SALU_CYCLE_1) | instskip(NEXT) | instid1(VALU_DEP_1)
	s_or_b32 exec_lo, exec_lo, s3
	v_mul_f32_e32 v1, v107, v2
                                        ; implicit-def: $vgpr122
	s_delay_alu instid0(VALU_DEP_1) | instskip(NEXT) | instid1(VALU_DEP_1)
	v_and_b32_e32 v2, 0x7f800000, v1
	v_cmp_ne_u32_e64 s2, 0x7f800000, v2
	s_delay_alu instid0(VALU_DEP_1) | instskip(NEXT) | instid1(SALU_CYCLE_1)
	s_and_saveexec_b32 s3, s2
	s_xor_b32 s2, exec_lo, s3
; %bb.91:                               ;   in Loop: Header=BB430_10 Depth=1
	v_bfe_u32 v2, v1, 16, 1
	s_delay_alu instid0(VALU_DEP_1)
	v_add3_u32 v122, v1, v2, 0x7fff
                                        ; implicit-def: $vgpr1
; %bb.92:                               ;   in Loop: Header=BB430_10 Depth=1
	s_and_not1_saveexec_b32 s3, s2
; %bb.93:                               ;   in Loop: Header=BB430_10 Depth=1
	v_and_b32_e32 v2, 0xffff, v1
	v_or_b32_e32 v3, 0x10000, v1
	s_delay_alu instid0(VALU_DEP_2) | instskip(NEXT) | instid1(VALU_DEP_1)
	v_cmp_eq_u32_e64 s2, 0, v2
	v_cndmask_b32_e64 v122, v3, v1, s2
; %bb.94:                               ;   in Loop: Header=BB430_10 Depth=1
	s_or_b32 exec_lo, exec_lo, s3
	v_mov_b32_e32 v2, 0
	s_mov_b32 s3, exec_lo
	v_cmpx_lt_u32_e32 0xffffff, v0
	s_cbranch_execz .LBB430_102
; %bb.95:                               ;   in Loop: Header=BB430_10 Depth=1
	v_lshrrev_b32_e32 v1, 24, v0
	v_bfrev_b32_e32 v2, 1
	s_mov_b32 s19, exec_lo
	s_delay_alu instid0(VALU_DEP_2)
	v_cmpx_ne_u32_e32 0x80, v1
	s_cbranch_execz .LBB430_101
; %bb.96:                               ;   in Loop: Header=BB430_10 Depth=1
	v_bfe_u32 v3, v0, 24, 7
	v_mov_b32_e32 v2, 0x7f800001
	s_mov_b32 s20, exec_lo
	s_delay_alu instid0(VALU_DEP_2)
	v_cmpx_ne_u32_e32 0x7f, v3
	s_cbranch_execz .LBB430_100
; %bb.97:                               ;   in Loop: Header=BB430_10 Depth=1
	v_and_b32_e32 v20, 7, v1
	v_lshrrev_b32_e32 v0, 3, v3
	v_mov_b32_e32 v31, v21
	s_mov_b32 s21, exec_lo
	s_delay_alu instid0(VALU_DEP_3)
	v_mov_b32_e32 v30, v20
	v_cmpx_gt_u32_e32 8, v3
; %bb.98:                               ;   in Loop: Header=BB430_10 Depth=1
	v_clz_i32_u32_e32 v0, v20
	s_delay_alu instid0(VALU_DEP_1) | instskip(NEXT) | instid1(VALU_DEP_1)
	v_min_u32_e32 v0, 32, v0
	v_subrev_nc_u32_e32 v2, 28, v0
	v_sub_nc_u32_e32 v0, 29, v0
	s_delay_alu instid0(VALU_DEP_2) | instskip(NEXT) | instid1(VALU_DEP_1)
	v_lshlrev_b64 v[2:3], v2, v[20:21]
	v_and_b32_e32 v30, 7, v2
; %bb.99:                               ;   in Loop: Header=BB430_10 Depth=1
	s_or_b32 exec_lo, exec_lo, s21
	v_lshlrev_b32_e32 v1, 24, v1
	s_delay_alu instid0(VALU_DEP_2) | instskip(SKIP_1) | instid1(VALU_DEP_3)
	v_lshlrev_b32_e32 v2, 20, v30
	v_lshl_add_u32 v0, v0, 23, 0x3c000000
	v_and_b32_e32 v1, 0x80000000, v1
	s_delay_alu instid0(VALU_DEP_1)
	v_or3_b32 v2, v2, v1, v0
.LBB430_100:                            ;   in Loop: Header=BB430_10 Depth=1
	s_or_b32 exec_lo, exec_lo, s20
.LBB430_101:                            ;   in Loop: Header=BB430_10 Depth=1
	s_delay_alu instid0(SALU_CYCLE_1)
	s_or_b32 exec_lo, exec_lo, s19
.LBB430_102:                            ;   in Loop: Header=BB430_10 Depth=1
	s_delay_alu instid0(SALU_CYCLE_1) | instskip(NEXT) | instid1(VALU_DEP_1)
	s_or_b32 exec_lo, exec_lo, s3
	v_mul_f32_e32 v0, v107, v2
                                        ; implicit-def: $vgpr121
	s_delay_alu instid0(VALU_DEP_1) | instskip(NEXT) | instid1(VALU_DEP_1)
	v_and_b32_e32 v1, 0x7f800000, v0
	v_cmp_ne_u32_e64 s2, 0x7f800000, v1
	s_delay_alu instid0(VALU_DEP_1) | instskip(NEXT) | instid1(SALU_CYCLE_1)
	s_and_saveexec_b32 s3, s2
	s_xor_b32 s2, exec_lo, s3
; %bb.103:                              ;   in Loop: Header=BB430_10 Depth=1
	v_bfe_u32 v1, v0, 16, 1
	s_delay_alu instid0(VALU_DEP_1)
	v_add3_u32 v121, v0, v1, 0x7fff
                                        ; implicit-def: $vgpr0
; %bb.104:                              ;   in Loop: Header=BB430_10 Depth=1
	s_and_not1_saveexec_b32 s3, s2
; %bb.105:                              ;   in Loop: Header=BB430_10 Depth=1
	v_and_b32_e32 v1, 0xffff, v0
	v_or_b32_e32 v2, 0x10000, v0
	s_delay_alu instid0(VALU_DEP_2) | instskip(NEXT) | instid1(VALU_DEP_1)
	v_cmp_eq_u32_e64 s2, 0, v1
	v_cndmask_b32_e64 v121, v2, v0, s2
; %bb.106:                              ;   in Loop: Header=BB430_10 Depth=1
	s_or_b32 exec_lo, exec_lo, s3
	flat_load_b32 v0, v[28:29] offset:256
	s_mov_b32 s3, exec_lo
	s_waitcnt vmcnt(0) lgkmcnt(0)
	v_dual_mov_b32 v1, 0 :: v_dual_and_b32 v2, 0xff, v0
	s_delay_alu instid0(VALU_DEP_1)
	v_cmpx_ne_u16_e32 0, v2
	s_cbranch_execz .LBB430_114
; %bb.107:                              ;   in Loop: Header=BB430_10 Depth=1
	v_bfrev_b32_e32 v1, 1
	s_mov_b32 s19, exec_lo
	v_cmpx_ne_u16_e32 0x80, v2
	s_cbranch_execz .LBB430_113
; %bb.108:                              ;   in Loop: Header=BB430_10 Depth=1
	v_and_b32_e32 v2, 0x7f, v0
	v_mov_b32_e32 v1, 0x7f800001
	s_mov_b32 s20, exec_lo
	s_delay_alu instid0(VALU_DEP_2)
	v_cmpx_ne_u32_e32 0x7f, v2
	s_cbranch_execz .LBB430_112
; %bb.109:                              ;   in Loop: Header=BB430_10 Depth=1
	v_and_b32_e32 v20, 7, v0
	v_lshrrev_b32_e32 v1, 3, v2
	v_mov_b32_e32 v31, v21
	s_mov_b32 s21, exec_lo
	s_delay_alu instid0(VALU_DEP_3)
	v_mov_b32_e32 v30, v20
	v_cmpx_gt_u32_e32 8, v2
; %bb.110:                              ;   in Loop: Header=BB430_10 Depth=1
	v_clz_i32_u32_e32 v1, v20
	s_delay_alu instid0(VALU_DEP_1) | instskip(NEXT) | instid1(VALU_DEP_1)
	v_min_u32_e32 v1, 32, v1
	v_subrev_nc_u32_e32 v2, 28, v1
	v_sub_nc_u32_e32 v1, 29, v1
	s_delay_alu instid0(VALU_DEP_2) | instskip(NEXT) | instid1(VALU_DEP_1)
	v_lshlrev_b64 v[2:3], v2, v[20:21]
	v_and_b32_e32 v30, 7, v2
; %bb.111:                              ;   in Loop: Header=BB430_10 Depth=1
	s_or_b32 exec_lo, exec_lo, s21
	v_lshlrev_b32_e32 v2, 24, v0
	s_delay_alu instid0(VALU_DEP_2) | instskip(SKIP_1) | instid1(VALU_DEP_3)
	v_lshlrev_b32_e32 v3, 20, v30
	v_lshl_add_u32 v1, v1, 23, 0x3c000000
	v_and_b32_e32 v2, 0x80000000, v2
	s_delay_alu instid0(VALU_DEP_1)
	v_or3_b32 v1, v3, v2, v1
.LBB430_112:                            ;   in Loop: Header=BB430_10 Depth=1
	s_or_b32 exec_lo, exec_lo, s20
.LBB430_113:                            ;   in Loop: Header=BB430_10 Depth=1
	s_delay_alu instid0(SALU_CYCLE_1)
	s_or_b32 exec_lo, exec_lo, s19
.LBB430_114:                            ;   in Loop: Header=BB430_10 Depth=1
	s_delay_alu instid0(SALU_CYCLE_1) | instskip(NEXT) | instid1(VALU_DEP_1)
	s_or_b32 exec_lo, exec_lo, s3
	v_mul_f32_e32 v1, v107, v1
                                        ; implicit-def: $vgpr123
	s_delay_alu instid0(VALU_DEP_1) | instskip(NEXT) | instid1(VALU_DEP_1)
	v_and_b32_e32 v2, 0x7f800000, v1
	v_cmp_ne_u32_e64 s2, 0x7f800000, v2
	s_delay_alu instid0(VALU_DEP_1) | instskip(NEXT) | instid1(SALU_CYCLE_1)
	s_and_saveexec_b32 s3, s2
	s_xor_b32 s2, exec_lo, s3
; %bb.115:                              ;   in Loop: Header=BB430_10 Depth=1
	v_bfe_u32 v2, v1, 16, 1
	s_delay_alu instid0(VALU_DEP_1)
	v_add3_u32 v123, v1, v2, 0x7fff
                                        ; implicit-def: $vgpr1
; %bb.116:                              ;   in Loop: Header=BB430_10 Depth=1
	s_and_not1_saveexec_b32 s3, s2
; %bb.117:                              ;   in Loop: Header=BB430_10 Depth=1
	v_and_b32_e32 v2, 0xffff, v1
	v_or_b32_e32 v3, 0x10000, v1
	s_delay_alu instid0(VALU_DEP_2) | instskip(NEXT) | instid1(VALU_DEP_1)
	v_cmp_eq_u32_e64 s2, 0, v2
	v_cndmask_b32_e64 v123, v3, v1, s2
; %bb.118:                              ;   in Loop: Header=BB430_10 Depth=1
	s_or_b32 exec_lo, exec_lo, s3
	v_lshrrev_b16 v2, 8, v0
	v_mov_b32_e32 v1, 0
	s_mov_b32 s3, exec_lo
	s_delay_alu instid0(VALU_DEP_2)
	v_cmpx_ne_u16_e32 0, v2
	s_cbranch_execz .LBB430_126
; %bb.119:                              ;   in Loop: Header=BB430_10 Depth=1
	v_bfrev_b32_e32 v1, 1
	s_mov_b32 s19, exec_lo
	v_cmpx_ne_u16_e32 0x80, v2
	s_cbranch_execz .LBB430_125
; %bb.120:                              ;   in Loop: Header=BB430_10 Depth=1
	v_and_b32_e32 v3, 0xffff, v2
	v_mov_b32_e32 v1, 0x7f800001
	s_mov_b32 s20, exec_lo
	s_delay_alu instid0(VALU_DEP_2) | instskip(NEXT) | instid1(VALU_DEP_1)
	v_and_b32_e32 v2, 0x7f, v3
	v_cmpx_ne_u32_e32 0x7f, v2
	s_cbranch_execz .LBB430_124
; %bb.121:                              ;   in Loop: Header=BB430_10 Depth=1
	v_and_b32_e32 v20, 7, v3
	v_lshrrev_b32_e32 v1, 3, v2
	v_mov_b32_e32 v31, v21
	s_mov_b32 s21, exec_lo
	s_delay_alu instid0(VALU_DEP_3)
	v_mov_b32_e32 v30, v20
	v_cmpx_gt_u32_e32 8, v2
; %bb.122:                              ;   in Loop: Header=BB430_10 Depth=1
	v_clz_i32_u32_e32 v1, v20
	s_delay_alu instid0(VALU_DEP_1) | instskip(NEXT) | instid1(VALU_DEP_1)
	v_min_u32_e32 v1, 32, v1
	v_subrev_nc_u32_e32 v2, 28, v1
	v_sub_nc_u32_e32 v1, 29, v1
	s_delay_alu instid0(VALU_DEP_2) | instskip(NEXT) | instid1(VALU_DEP_1)
	v_lshlrev_b64 v[2:3], v2, v[20:21]
	v_and_b32_e32 v30, 7, v2
; %bb.123:                              ;   in Loop: Header=BB430_10 Depth=1
	s_or_b32 exec_lo, exec_lo, s21
	v_lshlrev_b32_e32 v2, 16, v0
	s_delay_alu instid0(VALU_DEP_2) | instskip(SKIP_1) | instid1(VALU_DEP_3)
	v_lshlrev_b32_e32 v3, 20, v30
	v_lshl_add_u32 v1, v1, 23, 0x3c000000
	v_and_b32_e32 v2, 0x80000000, v2
	s_delay_alu instid0(VALU_DEP_1)
	v_or3_b32 v1, v3, v2, v1
.LBB430_124:                            ;   in Loop: Header=BB430_10 Depth=1
	s_or_b32 exec_lo, exec_lo, s20
.LBB430_125:                            ;   in Loop: Header=BB430_10 Depth=1
	s_delay_alu instid0(SALU_CYCLE_1)
	s_or_b32 exec_lo, exec_lo, s19
.LBB430_126:                            ;   in Loop: Header=BB430_10 Depth=1
	s_delay_alu instid0(SALU_CYCLE_1) | instskip(NEXT) | instid1(VALU_DEP_1)
	s_or_b32 exec_lo, exec_lo, s3
	v_mul_f32_e32 v1, v107, v1
                                        ; implicit-def: $vgpr125
	s_delay_alu instid0(VALU_DEP_1) | instskip(NEXT) | instid1(VALU_DEP_1)
	v_and_b32_e32 v2, 0x7f800000, v1
	v_cmp_ne_u32_e64 s2, 0x7f800000, v2
	s_delay_alu instid0(VALU_DEP_1) | instskip(NEXT) | instid1(SALU_CYCLE_1)
	s_and_saveexec_b32 s3, s2
	s_xor_b32 s2, exec_lo, s3
; %bb.127:                              ;   in Loop: Header=BB430_10 Depth=1
	v_bfe_u32 v2, v1, 16, 1
	s_delay_alu instid0(VALU_DEP_1)
	v_add3_u32 v125, v1, v2, 0x7fff
                                        ; implicit-def: $vgpr1
; %bb.128:                              ;   in Loop: Header=BB430_10 Depth=1
	s_and_not1_saveexec_b32 s3, s2
; %bb.129:                              ;   in Loop: Header=BB430_10 Depth=1
	v_and_b32_e32 v2, 0xffff, v1
	v_or_b32_e32 v3, 0x10000, v1
	s_delay_alu instid0(VALU_DEP_2) | instskip(NEXT) | instid1(VALU_DEP_1)
	v_cmp_eq_u32_e64 s2, 0, v2
	v_cndmask_b32_e64 v125, v3, v1, s2
; %bb.130:                              ;   in Loop: Header=BB430_10 Depth=1
	s_or_b32 exec_lo, exec_lo, s3
	v_lshrrev_b32_e32 v1, 16, v0
	s_mov_b32 s3, exec_lo
	s_delay_alu instid0(VALU_DEP_1) | instskip(NEXT) | instid1(VALU_DEP_1)
	v_dual_mov_b32 v2, 0 :: v_dual_and_b32 v3, 0xff, v1
	v_cmpx_ne_u16_e32 0, v3
	s_cbranch_execz .LBB430_138
; %bb.131:                              ;   in Loop: Header=BB430_10 Depth=1
	v_bfrev_b32_e32 v2, 1
	s_mov_b32 s19, exec_lo
	v_cmpx_ne_u16_e32 0x80, v3
	s_cbranch_execz .LBB430_137
; %bb.132:                              ;   in Loop: Header=BB430_10 Depth=1
	v_bfe_u32 v3, v0, 16, 7
	v_mov_b32_e32 v2, 0x7f800001
	s_mov_b32 s20, exec_lo
	s_delay_alu instid0(VALU_DEP_2)
	v_cmpx_ne_u32_e32 0x7f, v3
	s_cbranch_execz .LBB430_136
; %bb.133:                              ;   in Loop: Header=BB430_10 Depth=1
	v_and_b32_e32 v20, 7, v1
	v_lshrrev_b32_e32 v2, 3, v3
	v_mov_b32_e32 v31, v21
	s_mov_b32 s21, exec_lo
	s_delay_alu instid0(VALU_DEP_3)
	v_mov_b32_e32 v30, v20
	v_cmpx_gt_u32_e32 8, v3
; %bb.134:                              ;   in Loop: Header=BB430_10 Depth=1
	v_clz_i32_u32_e32 v2, v20
	s_delay_alu instid0(VALU_DEP_1) | instskip(NEXT) | instid1(VALU_DEP_1)
	v_min_u32_e32 v2, 32, v2
	v_subrev_nc_u32_e32 v3, 28, v2
	v_sub_nc_u32_e32 v2, 29, v2
	s_delay_alu instid0(VALU_DEP_2) | instskip(NEXT) | instid1(VALU_DEP_1)
	v_lshlrev_b64 v[3:4], v3, v[20:21]
	v_and_b32_e32 v30, 7, v3
; %bb.135:                              ;   in Loop: Header=BB430_10 Depth=1
	s_or_b32 exec_lo, exec_lo, s21
	v_lshlrev_b32_e32 v1, 24, v1
	s_delay_alu instid0(VALU_DEP_2) | instskip(SKIP_1) | instid1(VALU_DEP_3)
	v_lshlrev_b32_e32 v3, 20, v30
	v_lshl_add_u32 v2, v2, 23, 0x3c000000
	v_and_b32_e32 v1, 0x80000000, v1
	s_delay_alu instid0(VALU_DEP_1)
	v_or3_b32 v2, v3, v1, v2
.LBB430_136:                            ;   in Loop: Header=BB430_10 Depth=1
	s_or_b32 exec_lo, exec_lo, s20
.LBB430_137:                            ;   in Loop: Header=BB430_10 Depth=1
	s_delay_alu instid0(SALU_CYCLE_1)
	s_or_b32 exec_lo, exec_lo, s19
.LBB430_138:                            ;   in Loop: Header=BB430_10 Depth=1
	s_delay_alu instid0(SALU_CYCLE_1) | instskip(NEXT) | instid1(VALU_DEP_1)
	s_or_b32 exec_lo, exec_lo, s3
	v_mul_f32_e32 v1, v107, v2
                                        ; implicit-def: $vgpr124
	s_delay_alu instid0(VALU_DEP_1) | instskip(NEXT) | instid1(VALU_DEP_1)
	v_and_b32_e32 v2, 0x7f800000, v1
	v_cmp_ne_u32_e64 s2, 0x7f800000, v2
	s_delay_alu instid0(VALU_DEP_1) | instskip(NEXT) | instid1(SALU_CYCLE_1)
	s_and_saveexec_b32 s3, s2
	s_xor_b32 s2, exec_lo, s3
; %bb.139:                              ;   in Loop: Header=BB430_10 Depth=1
	v_bfe_u32 v2, v1, 16, 1
	s_delay_alu instid0(VALU_DEP_1)
	v_add3_u32 v124, v1, v2, 0x7fff
                                        ; implicit-def: $vgpr1
; %bb.140:                              ;   in Loop: Header=BB430_10 Depth=1
	s_and_not1_saveexec_b32 s3, s2
; %bb.141:                              ;   in Loop: Header=BB430_10 Depth=1
	v_and_b32_e32 v2, 0xffff, v1
	v_or_b32_e32 v3, 0x10000, v1
	s_delay_alu instid0(VALU_DEP_2) | instskip(NEXT) | instid1(VALU_DEP_1)
	v_cmp_eq_u32_e64 s2, 0, v2
	v_cndmask_b32_e64 v124, v3, v1, s2
; %bb.142:                              ;   in Loop: Header=BB430_10 Depth=1
	s_or_b32 exec_lo, exec_lo, s3
	v_mov_b32_e32 v2, 0
	s_mov_b32 s3, exec_lo
	v_cmpx_lt_u32_e32 0xffffff, v0
	s_cbranch_execz .LBB430_150
; %bb.143:                              ;   in Loop: Header=BB430_10 Depth=1
	v_lshrrev_b32_e32 v1, 24, v0
	v_bfrev_b32_e32 v2, 1
	s_mov_b32 s19, exec_lo
	s_delay_alu instid0(VALU_DEP_2)
	v_cmpx_ne_u32_e32 0x80, v1
	s_cbranch_execz .LBB430_149
; %bb.144:                              ;   in Loop: Header=BB430_10 Depth=1
	v_bfe_u32 v3, v0, 24, 7
	v_mov_b32_e32 v2, 0x7f800001
	s_mov_b32 s20, exec_lo
	s_delay_alu instid0(VALU_DEP_2)
	v_cmpx_ne_u32_e32 0x7f, v3
	s_cbranch_execz .LBB430_148
; %bb.145:                              ;   in Loop: Header=BB430_10 Depth=1
	v_and_b32_e32 v20, 7, v1
	v_lshrrev_b32_e32 v0, 3, v3
	v_mov_b32_e32 v31, v21
	s_mov_b32 s21, exec_lo
	s_delay_alu instid0(VALU_DEP_3)
	v_mov_b32_e32 v30, v20
	v_cmpx_gt_u32_e32 8, v3
; %bb.146:                              ;   in Loop: Header=BB430_10 Depth=1
	v_clz_i32_u32_e32 v0, v20
	s_delay_alu instid0(VALU_DEP_1) | instskip(NEXT) | instid1(VALU_DEP_1)
	v_min_u32_e32 v0, 32, v0
	v_subrev_nc_u32_e32 v2, 28, v0
	v_sub_nc_u32_e32 v0, 29, v0
	s_delay_alu instid0(VALU_DEP_2) | instskip(NEXT) | instid1(VALU_DEP_1)
	v_lshlrev_b64 v[2:3], v2, v[20:21]
	v_and_b32_e32 v30, 7, v2
; %bb.147:                              ;   in Loop: Header=BB430_10 Depth=1
	s_or_b32 exec_lo, exec_lo, s21
	v_lshlrev_b32_e32 v1, 24, v1
	s_delay_alu instid0(VALU_DEP_2) | instskip(SKIP_1) | instid1(VALU_DEP_3)
	v_lshlrev_b32_e32 v2, 20, v30
	v_lshl_add_u32 v0, v0, 23, 0x3c000000
	v_and_b32_e32 v1, 0x80000000, v1
	s_delay_alu instid0(VALU_DEP_1)
	v_or3_b32 v2, v2, v1, v0
.LBB430_148:                            ;   in Loop: Header=BB430_10 Depth=1
	s_or_b32 exec_lo, exec_lo, s20
.LBB430_149:                            ;   in Loop: Header=BB430_10 Depth=1
	s_delay_alu instid0(SALU_CYCLE_1)
	s_or_b32 exec_lo, exec_lo, s19
.LBB430_150:                            ;   in Loop: Header=BB430_10 Depth=1
	s_delay_alu instid0(SALU_CYCLE_1) | instskip(NEXT) | instid1(VALU_DEP_1)
	s_or_b32 exec_lo, exec_lo, s3
	v_mul_f32_e32 v0, v107, v2
                                        ; implicit-def: $vgpr126
	s_delay_alu instid0(VALU_DEP_1) | instskip(NEXT) | instid1(VALU_DEP_1)
	v_and_b32_e32 v1, 0x7f800000, v0
	v_cmp_ne_u32_e64 s2, 0x7f800000, v1
	s_delay_alu instid0(VALU_DEP_1) | instskip(NEXT) | instid1(SALU_CYCLE_1)
	s_and_saveexec_b32 s3, s2
	s_xor_b32 s2, exec_lo, s3
; %bb.151:                              ;   in Loop: Header=BB430_10 Depth=1
	v_bfe_u32 v1, v0, 16, 1
	s_delay_alu instid0(VALU_DEP_1)
	v_add3_u32 v126, v0, v1, 0x7fff
                                        ; implicit-def: $vgpr0
; %bb.152:                              ;   in Loop: Header=BB430_10 Depth=1
	s_and_not1_saveexec_b32 s3, s2
; %bb.153:                              ;   in Loop: Header=BB430_10 Depth=1
	v_and_b32_e32 v1, 0xffff, v0
	v_or_b32_e32 v2, 0x10000, v0
	s_delay_alu instid0(VALU_DEP_2) | instskip(NEXT) | instid1(VALU_DEP_1)
	v_cmp_eq_u32_e64 s2, 0, v1
	v_cndmask_b32_e64 v126, v2, v0, s2
; %bb.154:                              ;   in Loop: Header=BB430_10 Depth=1
	s_or_b32 exec_lo, exec_lo, s3
	flat_load_b32 v0, v[28:29] offset:264
	s_mov_b32 s3, exec_lo
	s_waitcnt vmcnt(0) lgkmcnt(0)
	v_dual_mov_b32 v1, 0 :: v_dual_and_b32 v2, 0xff, v0
	s_delay_alu instid0(VALU_DEP_1)
	v_cmpx_ne_u16_e32 0, v2
	s_cbranch_execz .LBB430_162
; %bb.155:                              ;   in Loop: Header=BB430_10 Depth=1
	v_bfrev_b32_e32 v1, 1
	s_mov_b32 s19, exec_lo
	v_cmpx_ne_u16_e32 0x80, v2
	s_cbranch_execz .LBB430_161
; %bb.156:                              ;   in Loop: Header=BB430_10 Depth=1
	v_and_b32_e32 v2, 0x7f, v0
	v_mov_b32_e32 v1, 0x7f800001
	s_mov_b32 s20, exec_lo
	s_delay_alu instid0(VALU_DEP_2)
	v_cmpx_ne_u32_e32 0x7f, v2
	s_cbranch_execz .LBB430_160
; %bb.157:                              ;   in Loop: Header=BB430_10 Depth=1
	v_and_b32_e32 v20, 7, v0
	v_lshrrev_b32_e32 v1, 3, v2
	v_mov_b32_e32 v31, v21
	s_mov_b32 s21, exec_lo
	s_delay_alu instid0(VALU_DEP_3)
	v_mov_b32_e32 v30, v20
	v_cmpx_gt_u32_e32 8, v2
; %bb.158:                              ;   in Loop: Header=BB430_10 Depth=1
	v_clz_i32_u32_e32 v1, v20
	s_delay_alu instid0(VALU_DEP_1) | instskip(NEXT) | instid1(VALU_DEP_1)
	v_min_u32_e32 v1, 32, v1
	v_subrev_nc_u32_e32 v2, 28, v1
	v_sub_nc_u32_e32 v1, 29, v1
	s_delay_alu instid0(VALU_DEP_2) | instskip(NEXT) | instid1(VALU_DEP_1)
	v_lshlrev_b64 v[2:3], v2, v[20:21]
	v_and_b32_e32 v30, 7, v2
; %bb.159:                              ;   in Loop: Header=BB430_10 Depth=1
	s_or_b32 exec_lo, exec_lo, s21
	v_lshlrev_b32_e32 v2, 24, v0
	s_delay_alu instid0(VALU_DEP_2) | instskip(SKIP_1) | instid1(VALU_DEP_3)
	v_lshlrev_b32_e32 v3, 20, v30
	v_lshl_add_u32 v1, v1, 23, 0x3c000000
	v_and_b32_e32 v2, 0x80000000, v2
	s_delay_alu instid0(VALU_DEP_1)
	v_or3_b32 v1, v3, v2, v1
.LBB430_160:                            ;   in Loop: Header=BB430_10 Depth=1
	s_or_b32 exec_lo, exec_lo, s20
.LBB430_161:                            ;   in Loop: Header=BB430_10 Depth=1
	s_delay_alu instid0(SALU_CYCLE_1)
	s_or_b32 exec_lo, exec_lo, s19
.LBB430_162:                            ;   in Loop: Header=BB430_10 Depth=1
	s_delay_alu instid0(SALU_CYCLE_1) | instskip(NEXT) | instid1(VALU_DEP_1)
	s_or_b32 exec_lo, exec_lo, s3
	v_mul_f32_e32 v1, v107, v1
                                        ; implicit-def: $vgpr127
	s_delay_alu instid0(VALU_DEP_1) | instskip(NEXT) | instid1(VALU_DEP_1)
	v_and_b32_e32 v2, 0x7f800000, v1
	v_cmp_ne_u32_e64 s2, 0x7f800000, v2
	s_delay_alu instid0(VALU_DEP_1) | instskip(NEXT) | instid1(SALU_CYCLE_1)
	s_and_saveexec_b32 s3, s2
	s_xor_b32 s2, exec_lo, s3
; %bb.163:                              ;   in Loop: Header=BB430_10 Depth=1
	v_bfe_u32 v2, v1, 16, 1
	s_delay_alu instid0(VALU_DEP_1)
	v_add3_u32 v127, v1, v2, 0x7fff
                                        ; implicit-def: $vgpr1
; %bb.164:                              ;   in Loop: Header=BB430_10 Depth=1
	s_and_not1_saveexec_b32 s3, s2
; %bb.165:                              ;   in Loop: Header=BB430_10 Depth=1
	v_and_b32_e32 v2, 0xffff, v1
	v_or_b32_e32 v3, 0x10000, v1
	s_delay_alu instid0(VALU_DEP_2) | instskip(NEXT) | instid1(VALU_DEP_1)
	v_cmp_eq_u32_e64 s2, 0, v2
	v_cndmask_b32_e64 v127, v3, v1, s2
; %bb.166:                              ;   in Loop: Header=BB430_10 Depth=1
	s_or_b32 exec_lo, exec_lo, s3
	v_lshrrev_b16 v2, 8, v0
	v_mov_b32_e32 v1, 0
	s_mov_b32 s3, exec_lo
	s_delay_alu instid0(VALU_DEP_2)
	v_cmpx_ne_u16_e32 0, v2
	s_cbranch_execz .LBB430_174
; %bb.167:                              ;   in Loop: Header=BB430_10 Depth=1
	v_bfrev_b32_e32 v1, 1
	s_mov_b32 s19, exec_lo
	v_cmpx_ne_u16_e32 0x80, v2
	s_cbranch_execz .LBB430_173
; %bb.168:                              ;   in Loop: Header=BB430_10 Depth=1
	v_and_b32_e32 v3, 0xffff, v2
	v_mov_b32_e32 v1, 0x7f800001
	s_mov_b32 s20, exec_lo
	s_delay_alu instid0(VALU_DEP_2) | instskip(NEXT) | instid1(VALU_DEP_1)
	v_and_b32_e32 v2, 0x7f, v3
	v_cmpx_ne_u32_e32 0x7f, v2
	s_cbranch_execz .LBB430_172
; %bb.169:                              ;   in Loop: Header=BB430_10 Depth=1
	v_and_b32_e32 v20, 7, v3
	v_lshrrev_b32_e32 v1, 3, v2
	v_mov_b32_e32 v31, v21
	s_mov_b32 s21, exec_lo
	s_delay_alu instid0(VALU_DEP_3)
	v_mov_b32_e32 v30, v20
	v_cmpx_gt_u32_e32 8, v2
; %bb.170:                              ;   in Loop: Header=BB430_10 Depth=1
	v_clz_i32_u32_e32 v1, v20
	s_delay_alu instid0(VALU_DEP_1) | instskip(NEXT) | instid1(VALU_DEP_1)
	v_min_u32_e32 v1, 32, v1
	v_subrev_nc_u32_e32 v2, 28, v1
	v_sub_nc_u32_e32 v1, 29, v1
	s_delay_alu instid0(VALU_DEP_2) | instskip(NEXT) | instid1(VALU_DEP_1)
	v_lshlrev_b64 v[2:3], v2, v[20:21]
	v_and_b32_e32 v30, 7, v2
; %bb.171:                              ;   in Loop: Header=BB430_10 Depth=1
	s_or_b32 exec_lo, exec_lo, s21
	v_lshlrev_b32_e32 v2, 16, v0
	s_delay_alu instid0(VALU_DEP_2) | instskip(SKIP_1) | instid1(VALU_DEP_3)
	v_lshlrev_b32_e32 v3, 20, v30
	v_lshl_add_u32 v1, v1, 23, 0x3c000000
	v_and_b32_e32 v2, 0x80000000, v2
	s_delay_alu instid0(VALU_DEP_1)
	v_or3_b32 v1, v3, v2, v1
.LBB430_172:                            ;   in Loop: Header=BB430_10 Depth=1
	s_or_b32 exec_lo, exec_lo, s20
.LBB430_173:                            ;   in Loop: Header=BB430_10 Depth=1
	s_delay_alu instid0(SALU_CYCLE_1)
	s_or_b32 exec_lo, exec_lo, s19
.LBB430_174:                            ;   in Loop: Header=BB430_10 Depth=1
	s_delay_alu instid0(SALU_CYCLE_1) | instskip(NEXT) | instid1(VALU_DEP_1)
	s_or_b32 exec_lo, exec_lo, s3
	v_mul_f32_e32 v1, v107, v1
                                        ; implicit-def: $vgpr136
	s_delay_alu instid0(VALU_DEP_1) | instskip(NEXT) | instid1(VALU_DEP_1)
	v_and_b32_e32 v2, 0x7f800000, v1
	v_cmp_ne_u32_e64 s2, 0x7f800000, v2
	s_delay_alu instid0(VALU_DEP_1) | instskip(NEXT) | instid1(SALU_CYCLE_1)
	s_and_saveexec_b32 s3, s2
	s_xor_b32 s2, exec_lo, s3
; %bb.175:                              ;   in Loop: Header=BB430_10 Depth=1
	v_bfe_u32 v2, v1, 16, 1
	s_delay_alu instid0(VALU_DEP_1)
	v_add3_u32 v136, v1, v2, 0x7fff
                                        ; implicit-def: $vgpr1
; %bb.176:                              ;   in Loop: Header=BB430_10 Depth=1
	s_and_not1_saveexec_b32 s3, s2
; %bb.177:                              ;   in Loop: Header=BB430_10 Depth=1
	v_and_b32_e32 v2, 0xffff, v1
	v_or_b32_e32 v3, 0x10000, v1
	s_delay_alu instid0(VALU_DEP_2) | instskip(NEXT) | instid1(VALU_DEP_1)
	v_cmp_eq_u32_e64 s2, 0, v2
	v_cndmask_b32_e64 v136, v3, v1, s2
; %bb.178:                              ;   in Loop: Header=BB430_10 Depth=1
	s_or_b32 exec_lo, exec_lo, s3
	v_lshrrev_b32_e32 v1, 16, v0
	s_mov_b32 s3, exec_lo
	s_delay_alu instid0(VALU_DEP_1) | instskip(NEXT) | instid1(VALU_DEP_1)
	v_dual_mov_b32 v2, 0 :: v_dual_and_b32 v3, 0xff, v1
	v_cmpx_ne_u16_e32 0, v3
	s_cbranch_execz .LBB430_186
; %bb.179:                              ;   in Loop: Header=BB430_10 Depth=1
	v_bfrev_b32_e32 v2, 1
	s_mov_b32 s19, exec_lo
	v_cmpx_ne_u16_e32 0x80, v3
	s_cbranch_execz .LBB430_185
; %bb.180:                              ;   in Loop: Header=BB430_10 Depth=1
	v_bfe_u32 v3, v0, 16, 7
	v_mov_b32_e32 v2, 0x7f800001
	s_mov_b32 s20, exec_lo
	s_delay_alu instid0(VALU_DEP_2)
	v_cmpx_ne_u32_e32 0x7f, v3
	s_cbranch_execz .LBB430_184
; %bb.181:                              ;   in Loop: Header=BB430_10 Depth=1
	v_and_b32_e32 v20, 7, v1
	v_lshrrev_b32_e32 v2, 3, v3
	v_mov_b32_e32 v31, v21
	s_mov_b32 s21, exec_lo
	s_delay_alu instid0(VALU_DEP_3)
	v_mov_b32_e32 v30, v20
	v_cmpx_gt_u32_e32 8, v3
; %bb.182:                              ;   in Loop: Header=BB430_10 Depth=1
	v_clz_i32_u32_e32 v2, v20
	s_delay_alu instid0(VALU_DEP_1) | instskip(NEXT) | instid1(VALU_DEP_1)
	v_min_u32_e32 v2, 32, v2
	v_subrev_nc_u32_e32 v3, 28, v2
	v_sub_nc_u32_e32 v2, 29, v2
	s_delay_alu instid0(VALU_DEP_2) | instskip(NEXT) | instid1(VALU_DEP_1)
	v_lshlrev_b64 v[3:4], v3, v[20:21]
	v_and_b32_e32 v30, 7, v3
; %bb.183:                              ;   in Loop: Header=BB430_10 Depth=1
	s_or_b32 exec_lo, exec_lo, s21
	v_lshlrev_b32_e32 v1, 24, v1
	s_delay_alu instid0(VALU_DEP_2) | instskip(SKIP_1) | instid1(VALU_DEP_3)
	v_lshlrev_b32_e32 v3, 20, v30
	v_lshl_add_u32 v2, v2, 23, 0x3c000000
	v_and_b32_e32 v1, 0x80000000, v1
	s_delay_alu instid0(VALU_DEP_1)
	v_or3_b32 v2, v3, v1, v2
.LBB430_184:                            ;   in Loop: Header=BB430_10 Depth=1
	s_or_b32 exec_lo, exec_lo, s20
.LBB430_185:                            ;   in Loop: Header=BB430_10 Depth=1
	s_delay_alu instid0(SALU_CYCLE_1)
	s_or_b32 exec_lo, exec_lo, s19
.LBB430_186:                            ;   in Loop: Header=BB430_10 Depth=1
	s_delay_alu instid0(SALU_CYCLE_1) | instskip(NEXT) | instid1(VALU_DEP_1)
	s_or_b32 exec_lo, exec_lo, s3
	v_mul_f32_e32 v1, v107, v2
                                        ; implicit-def: $vgpr137
	s_delay_alu instid0(VALU_DEP_1) | instskip(NEXT) | instid1(VALU_DEP_1)
	v_and_b32_e32 v2, 0x7f800000, v1
	v_cmp_ne_u32_e64 s2, 0x7f800000, v2
	s_delay_alu instid0(VALU_DEP_1) | instskip(NEXT) | instid1(SALU_CYCLE_1)
	s_and_saveexec_b32 s3, s2
	s_xor_b32 s2, exec_lo, s3
; %bb.187:                              ;   in Loop: Header=BB430_10 Depth=1
	v_bfe_u32 v2, v1, 16, 1
	s_delay_alu instid0(VALU_DEP_1)
	v_add3_u32 v137, v1, v2, 0x7fff
                                        ; implicit-def: $vgpr1
; %bb.188:                              ;   in Loop: Header=BB430_10 Depth=1
	s_and_not1_saveexec_b32 s3, s2
; %bb.189:                              ;   in Loop: Header=BB430_10 Depth=1
	v_and_b32_e32 v2, 0xffff, v1
	v_or_b32_e32 v3, 0x10000, v1
	s_delay_alu instid0(VALU_DEP_2) | instskip(NEXT) | instid1(VALU_DEP_1)
	v_cmp_eq_u32_e64 s2, 0, v2
	v_cndmask_b32_e64 v137, v3, v1, s2
; %bb.190:                              ;   in Loop: Header=BB430_10 Depth=1
	s_or_b32 exec_lo, exec_lo, s3
	v_mov_b32_e32 v2, 0
	s_mov_b32 s3, exec_lo
	v_cmpx_lt_u32_e32 0xffffff, v0
	s_cbranch_execz .LBB430_198
; %bb.191:                              ;   in Loop: Header=BB430_10 Depth=1
	v_lshrrev_b32_e32 v1, 24, v0
	v_bfrev_b32_e32 v2, 1
	s_mov_b32 s19, exec_lo
	s_delay_alu instid0(VALU_DEP_2)
	v_cmpx_ne_u32_e32 0x80, v1
	s_cbranch_execz .LBB430_197
; %bb.192:                              ;   in Loop: Header=BB430_10 Depth=1
	v_bfe_u32 v3, v0, 24, 7
	v_mov_b32_e32 v2, 0x7f800001
	s_mov_b32 s20, exec_lo
	s_delay_alu instid0(VALU_DEP_2)
	v_cmpx_ne_u32_e32 0x7f, v3
	s_cbranch_execz .LBB430_196
; %bb.193:                              ;   in Loop: Header=BB430_10 Depth=1
	v_and_b32_e32 v20, 7, v1
	v_lshrrev_b32_e32 v0, 3, v3
	v_mov_b32_e32 v31, v21
	s_mov_b32 s21, exec_lo
	s_delay_alu instid0(VALU_DEP_3)
	v_mov_b32_e32 v30, v20
	v_cmpx_gt_u32_e32 8, v3
; %bb.194:                              ;   in Loop: Header=BB430_10 Depth=1
	v_clz_i32_u32_e32 v0, v20
	s_delay_alu instid0(VALU_DEP_1) | instskip(NEXT) | instid1(VALU_DEP_1)
	v_min_u32_e32 v0, 32, v0
	v_subrev_nc_u32_e32 v2, 28, v0
	v_sub_nc_u32_e32 v0, 29, v0
	s_delay_alu instid0(VALU_DEP_2) | instskip(NEXT) | instid1(VALU_DEP_1)
	v_lshlrev_b64 v[2:3], v2, v[20:21]
	v_and_b32_e32 v30, 7, v2
; %bb.195:                              ;   in Loop: Header=BB430_10 Depth=1
	s_or_b32 exec_lo, exec_lo, s21
	v_lshlrev_b32_e32 v1, 24, v1
	s_delay_alu instid0(VALU_DEP_2) | instskip(SKIP_1) | instid1(VALU_DEP_3)
	v_lshlrev_b32_e32 v2, 20, v30
	v_lshl_add_u32 v0, v0, 23, 0x3c000000
	v_and_b32_e32 v1, 0x80000000, v1
	s_delay_alu instid0(VALU_DEP_1)
	v_or3_b32 v2, v2, v1, v0
.LBB430_196:                            ;   in Loop: Header=BB430_10 Depth=1
	s_or_b32 exec_lo, exec_lo, s20
.LBB430_197:                            ;   in Loop: Header=BB430_10 Depth=1
	s_delay_alu instid0(SALU_CYCLE_1)
	s_or_b32 exec_lo, exec_lo, s19
.LBB430_198:                            ;   in Loop: Header=BB430_10 Depth=1
	s_delay_alu instid0(SALU_CYCLE_1) | instskip(NEXT) | instid1(VALU_DEP_1)
	s_or_b32 exec_lo, exec_lo, s3
	v_mul_f32_e32 v0, v107, v2
                                        ; implicit-def: $vgpr138
	s_delay_alu instid0(VALU_DEP_1) | instskip(NEXT) | instid1(VALU_DEP_1)
	v_and_b32_e32 v1, 0x7f800000, v0
	v_cmp_ne_u32_e64 s2, 0x7f800000, v1
	s_delay_alu instid0(VALU_DEP_1) | instskip(NEXT) | instid1(SALU_CYCLE_1)
	s_and_saveexec_b32 s3, s2
	s_xor_b32 s2, exec_lo, s3
; %bb.199:                              ;   in Loop: Header=BB430_10 Depth=1
	v_bfe_u32 v1, v0, 16, 1
	s_delay_alu instid0(VALU_DEP_1)
	v_add3_u32 v138, v0, v1, 0x7fff
                                        ; implicit-def: $vgpr0
; %bb.200:                              ;   in Loop: Header=BB430_10 Depth=1
	s_and_not1_saveexec_b32 s3, s2
; %bb.201:                              ;   in Loop: Header=BB430_10 Depth=1
	v_and_b32_e32 v1, 0xffff, v0
	v_or_b32_e32 v2, 0x10000, v0
	s_delay_alu instid0(VALU_DEP_2) | instskip(NEXT) | instid1(VALU_DEP_1)
	v_cmp_eq_u32_e64 s2, 0, v1
	v_cndmask_b32_e64 v138, v2, v0, s2
; %bb.202:                              ;   in Loop: Header=BB430_10 Depth=1
	s_or_b32 exec_lo, exec_lo, s3
	flat_load_b32 v0, v[28:29] offset:512
	s_mov_b32 s3, exec_lo
	s_waitcnt vmcnt(0) lgkmcnt(0)
	v_dual_mov_b32 v1, 0 :: v_dual_and_b32 v2, 0xff, v0
	s_delay_alu instid0(VALU_DEP_1)
	v_cmpx_ne_u16_e32 0, v2
	s_cbranch_execz .LBB430_210
; %bb.203:                              ;   in Loop: Header=BB430_10 Depth=1
	v_bfrev_b32_e32 v1, 1
	s_mov_b32 s19, exec_lo
	v_cmpx_ne_u16_e32 0x80, v2
	s_cbranch_execz .LBB430_209
; %bb.204:                              ;   in Loop: Header=BB430_10 Depth=1
	v_and_b32_e32 v2, 0x7f, v0
	v_mov_b32_e32 v1, 0x7f800001
	s_mov_b32 s20, exec_lo
	s_delay_alu instid0(VALU_DEP_2)
	v_cmpx_ne_u32_e32 0x7f, v2
	s_cbranch_execz .LBB430_208
; %bb.205:                              ;   in Loop: Header=BB430_10 Depth=1
	v_and_b32_e32 v20, 7, v0
	v_lshrrev_b32_e32 v1, 3, v2
	v_mov_b32_e32 v31, v21
	s_mov_b32 s21, exec_lo
	s_delay_alu instid0(VALU_DEP_3)
	v_mov_b32_e32 v30, v20
	v_cmpx_gt_u32_e32 8, v2
; %bb.206:                              ;   in Loop: Header=BB430_10 Depth=1
	v_clz_i32_u32_e32 v1, v20
	s_delay_alu instid0(VALU_DEP_1) | instskip(NEXT) | instid1(VALU_DEP_1)
	v_min_u32_e32 v1, 32, v1
	v_subrev_nc_u32_e32 v2, 28, v1
	v_sub_nc_u32_e32 v1, 29, v1
	s_delay_alu instid0(VALU_DEP_2) | instskip(NEXT) | instid1(VALU_DEP_1)
	v_lshlrev_b64 v[2:3], v2, v[20:21]
	v_and_b32_e32 v30, 7, v2
; %bb.207:                              ;   in Loop: Header=BB430_10 Depth=1
	s_or_b32 exec_lo, exec_lo, s21
	v_lshlrev_b32_e32 v2, 24, v0
	s_delay_alu instid0(VALU_DEP_2) | instskip(SKIP_1) | instid1(VALU_DEP_3)
	v_lshlrev_b32_e32 v3, 20, v30
	v_lshl_add_u32 v1, v1, 23, 0x3c000000
	v_and_b32_e32 v2, 0x80000000, v2
	s_delay_alu instid0(VALU_DEP_1)
	v_or3_b32 v1, v3, v2, v1
.LBB430_208:                            ;   in Loop: Header=BB430_10 Depth=1
	s_or_b32 exec_lo, exec_lo, s20
.LBB430_209:                            ;   in Loop: Header=BB430_10 Depth=1
	s_delay_alu instid0(SALU_CYCLE_1)
	s_or_b32 exec_lo, exec_lo, s19
.LBB430_210:                            ;   in Loop: Header=BB430_10 Depth=1
	s_delay_alu instid0(SALU_CYCLE_1) | instskip(NEXT) | instid1(VALU_DEP_1)
	s_or_b32 exec_lo, exec_lo, s3
	v_mul_f32_e32 v1, v107, v1
                                        ; implicit-def: $vgpr139
	s_delay_alu instid0(VALU_DEP_1) | instskip(NEXT) | instid1(VALU_DEP_1)
	v_and_b32_e32 v2, 0x7f800000, v1
	v_cmp_ne_u32_e64 s2, 0x7f800000, v2
	s_delay_alu instid0(VALU_DEP_1) | instskip(NEXT) | instid1(SALU_CYCLE_1)
	s_and_saveexec_b32 s3, s2
	s_xor_b32 s2, exec_lo, s3
; %bb.211:                              ;   in Loop: Header=BB430_10 Depth=1
	v_bfe_u32 v2, v1, 16, 1
	s_delay_alu instid0(VALU_DEP_1)
	v_add3_u32 v139, v1, v2, 0x7fff
                                        ; implicit-def: $vgpr1
; %bb.212:                              ;   in Loop: Header=BB430_10 Depth=1
	s_and_not1_saveexec_b32 s3, s2
; %bb.213:                              ;   in Loop: Header=BB430_10 Depth=1
	v_and_b32_e32 v2, 0xffff, v1
	v_or_b32_e32 v3, 0x10000, v1
	s_delay_alu instid0(VALU_DEP_2) | instskip(NEXT) | instid1(VALU_DEP_1)
	v_cmp_eq_u32_e64 s2, 0, v2
	v_cndmask_b32_e64 v139, v3, v1, s2
; %bb.214:                              ;   in Loop: Header=BB430_10 Depth=1
	s_or_b32 exec_lo, exec_lo, s3
	v_lshrrev_b16 v2, 8, v0
	v_mov_b32_e32 v1, 0
	s_mov_b32 s3, exec_lo
	s_delay_alu instid0(VALU_DEP_2)
	v_cmpx_ne_u16_e32 0, v2
	s_cbranch_execz .LBB430_222
; %bb.215:                              ;   in Loop: Header=BB430_10 Depth=1
	v_bfrev_b32_e32 v1, 1
	s_mov_b32 s19, exec_lo
	v_cmpx_ne_u16_e32 0x80, v2
	s_cbranch_execz .LBB430_221
; %bb.216:                              ;   in Loop: Header=BB430_10 Depth=1
	v_and_b32_e32 v3, 0xffff, v2
	v_mov_b32_e32 v1, 0x7f800001
	s_mov_b32 s20, exec_lo
	s_delay_alu instid0(VALU_DEP_2) | instskip(NEXT) | instid1(VALU_DEP_1)
	v_and_b32_e32 v2, 0x7f, v3
	v_cmpx_ne_u32_e32 0x7f, v2
	s_cbranch_execz .LBB430_220
; %bb.217:                              ;   in Loop: Header=BB430_10 Depth=1
	v_and_b32_e32 v20, 7, v3
	v_lshrrev_b32_e32 v1, 3, v2
	v_mov_b32_e32 v31, v21
	s_mov_b32 s21, exec_lo
	s_delay_alu instid0(VALU_DEP_3)
	v_mov_b32_e32 v30, v20
	v_cmpx_gt_u32_e32 8, v2
; %bb.218:                              ;   in Loop: Header=BB430_10 Depth=1
	v_clz_i32_u32_e32 v1, v20
	s_delay_alu instid0(VALU_DEP_1) | instskip(NEXT) | instid1(VALU_DEP_1)
	v_min_u32_e32 v1, 32, v1
	v_subrev_nc_u32_e32 v2, 28, v1
	v_sub_nc_u32_e32 v1, 29, v1
	s_delay_alu instid0(VALU_DEP_2) | instskip(NEXT) | instid1(VALU_DEP_1)
	v_lshlrev_b64 v[2:3], v2, v[20:21]
	v_and_b32_e32 v30, 7, v2
; %bb.219:                              ;   in Loop: Header=BB430_10 Depth=1
	s_or_b32 exec_lo, exec_lo, s21
	v_lshlrev_b32_e32 v2, 16, v0
	s_delay_alu instid0(VALU_DEP_2) | instskip(SKIP_1) | instid1(VALU_DEP_3)
	v_lshlrev_b32_e32 v3, 20, v30
	v_lshl_add_u32 v1, v1, 23, 0x3c000000
	v_and_b32_e32 v2, 0x80000000, v2
	s_delay_alu instid0(VALU_DEP_1)
	v_or3_b32 v1, v3, v2, v1
.LBB430_220:                            ;   in Loop: Header=BB430_10 Depth=1
	s_or_b32 exec_lo, exec_lo, s20
.LBB430_221:                            ;   in Loop: Header=BB430_10 Depth=1
	s_delay_alu instid0(SALU_CYCLE_1)
	s_or_b32 exec_lo, exec_lo, s19
.LBB430_222:                            ;   in Loop: Header=BB430_10 Depth=1
	s_delay_alu instid0(SALU_CYCLE_1) | instskip(NEXT) | instid1(VALU_DEP_1)
	s_or_b32 exec_lo, exec_lo, s3
	v_mul_f32_e32 v1, v107, v1
                                        ; implicit-def: $vgpr140
	s_delay_alu instid0(VALU_DEP_1) | instskip(NEXT) | instid1(VALU_DEP_1)
	v_and_b32_e32 v2, 0x7f800000, v1
	v_cmp_ne_u32_e64 s2, 0x7f800000, v2
	s_delay_alu instid0(VALU_DEP_1) | instskip(NEXT) | instid1(SALU_CYCLE_1)
	s_and_saveexec_b32 s3, s2
	s_xor_b32 s2, exec_lo, s3
; %bb.223:                              ;   in Loop: Header=BB430_10 Depth=1
	v_bfe_u32 v2, v1, 16, 1
	s_delay_alu instid0(VALU_DEP_1)
	v_add3_u32 v140, v1, v2, 0x7fff
                                        ; implicit-def: $vgpr1
; %bb.224:                              ;   in Loop: Header=BB430_10 Depth=1
	s_and_not1_saveexec_b32 s3, s2
; %bb.225:                              ;   in Loop: Header=BB430_10 Depth=1
	v_and_b32_e32 v2, 0xffff, v1
	v_or_b32_e32 v3, 0x10000, v1
	s_delay_alu instid0(VALU_DEP_2) | instskip(NEXT) | instid1(VALU_DEP_1)
	v_cmp_eq_u32_e64 s2, 0, v2
	v_cndmask_b32_e64 v140, v3, v1, s2
; %bb.226:                              ;   in Loop: Header=BB430_10 Depth=1
	s_or_b32 exec_lo, exec_lo, s3
	v_lshrrev_b32_e32 v1, 16, v0
	s_mov_b32 s3, exec_lo
	s_delay_alu instid0(VALU_DEP_1) | instskip(NEXT) | instid1(VALU_DEP_1)
	v_dual_mov_b32 v2, 0 :: v_dual_and_b32 v3, 0xff, v1
	v_cmpx_ne_u16_e32 0, v3
	s_cbranch_execz .LBB430_234
; %bb.227:                              ;   in Loop: Header=BB430_10 Depth=1
	v_bfrev_b32_e32 v2, 1
	s_mov_b32 s19, exec_lo
	v_cmpx_ne_u16_e32 0x80, v3
	s_cbranch_execz .LBB430_233
; %bb.228:                              ;   in Loop: Header=BB430_10 Depth=1
	v_bfe_u32 v3, v0, 16, 7
	v_mov_b32_e32 v2, 0x7f800001
	s_mov_b32 s20, exec_lo
	s_delay_alu instid0(VALU_DEP_2)
	v_cmpx_ne_u32_e32 0x7f, v3
	s_cbranch_execz .LBB430_232
; %bb.229:                              ;   in Loop: Header=BB430_10 Depth=1
	v_and_b32_e32 v20, 7, v1
	v_lshrrev_b32_e32 v2, 3, v3
	v_mov_b32_e32 v31, v21
	s_mov_b32 s21, exec_lo
	s_delay_alu instid0(VALU_DEP_3)
	v_mov_b32_e32 v30, v20
	v_cmpx_gt_u32_e32 8, v3
; %bb.230:                              ;   in Loop: Header=BB430_10 Depth=1
	v_clz_i32_u32_e32 v2, v20
	s_delay_alu instid0(VALU_DEP_1) | instskip(NEXT) | instid1(VALU_DEP_1)
	v_min_u32_e32 v2, 32, v2
	v_subrev_nc_u32_e32 v3, 28, v2
	v_sub_nc_u32_e32 v2, 29, v2
	s_delay_alu instid0(VALU_DEP_2) | instskip(NEXT) | instid1(VALU_DEP_1)
	v_lshlrev_b64 v[3:4], v3, v[20:21]
	v_and_b32_e32 v30, 7, v3
; %bb.231:                              ;   in Loop: Header=BB430_10 Depth=1
	s_or_b32 exec_lo, exec_lo, s21
	v_lshlrev_b32_e32 v1, 24, v1
	s_delay_alu instid0(VALU_DEP_2) | instskip(SKIP_1) | instid1(VALU_DEP_3)
	v_lshlrev_b32_e32 v3, 20, v30
	v_lshl_add_u32 v2, v2, 23, 0x3c000000
	v_and_b32_e32 v1, 0x80000000, v1
	s_delay_alu instid0(VALU_DEP_1)
	v_or3_b32 v2, v3, v1, v2
.LBB430_232:                            ;   in Loop: Header=BB430_10 Depth=1
	s_or_b32 exec_lo, exec_lo, s20
.LBB430_233:                            ;   in Loop: Header=BB430_10 Depth=1
	s_delay_alu instid0(SALU_CYCLE_1)
	s_or_b32 exec_lo, exec_lo, s19
.LBB430_234:                            ;   in Loop: Header=BB430_10 Depth=1
	s_delay_alu instid0(SALU_CYCLE_1) | instskip(NEXT) | instid1(VALU_DEP_1)
	s_or_b32 exec_lo, exec_lo, s3
	v_mul_f32_e32 v1, v107, v2
                                        ; implicit-def: $vgpr141
	s_delay_alu instid0(VALU_DEP_1) | instskip(NEXT) | instid1(VALU_DEP_1)
	v_and_b32_e32 v2, 0x7f800000, v1
	v_cmp_ne_u32_e64 s2, 0x7f800000, v2
	s_delay_alu instid0(VALU_DEP_1) | instskip(NEXT) | instid1(SALU_CYCLE_1)
	s_and_saveexec_b32 s3, s2
	s_xor_b32 s2, exec_lo, s3
; %bb.235:                              ;   in Loop: Header=BB430_10 Depth=1
	v_bfe_u32 v2, v1, 16, 1
	s_delay_alu instid0(VALU_DEP_1)
	v_add3_u32 v141, v1, v2, 0x7fff
                                        ; implicit-def: $vgpr1
; %bb.236:                              ;   in Loop: Header=BB430_10 Depth=1
	s_and_not1_saveexec_b32 s3, s2
; %bb.237:                              ;   in Loop: Header=BB430_10 Depth=1
	v_and_b32_e32 v2, 0xffff, v1
	v_or_b32_e32 v3, 0x10000, v1
	s_delay_alu instid0(VALU_DEP_2) | instskip(NEXT) | instid1(VALU_DEP_1)
	v_cmp_eq_u32_e64 s2, 0, v2
	v_cndmask_b32_e64 v141, v3, v1, s2
; %bb.238:                              ;   in Loop: Header=BB430_10 Depth=1
	s_or_b32 exec_lo, exec_lo, s3
	v_mov_b32_e32 v2, 0
	s_mov_b32 s3, exec_lo
	v_cmpx_lt_u32_e32 0xffffff, v0
	s_cbranch_execz .LBB430_246
; %bb.239:                              ;   in Loop: Header=BB430_10 Depth=1
	v_lshrrev_b32_e32 v1, 24, v0
	v_bfrev_b32_e32 v2, 1
	s_mov_b32 s19, exec_lo
	s_delay_alu instid0(VALU_DEP_2)
	v_cmpx_ne_u32_e32 0x80, v1
	s_cbranch_execz .LBB430_245
; %bb.240:                              ;   in Loop: Header=BB430_10 Depth=1
	v_bfe_u32 v3, v0, 24, 7
	v_mov_b32_e32 v2, 0x7f800001
	s_mov_b32 s20, exec_lo
	s_delay_alu instid0(VALU_DEP_2)
	v_cmpx_ne_u32_e32 0x7f, v3
	s_cbranch_execz .LBB430_244
; %bb.241:                              ;   in Loop: Header=BB430_10 Depth=1
	v_and_b32_e32 v20, 7, v1
	v_lshrrev_b32_e32 v0, 3, v3
	v_mov_b32_e32 v31, v21
	s_mov_b32 s21, exec_lo
	s_delay_alu instid0(VALU_DEP_3)
	v_mov_b32_e32 v30, v20
	v_cmpx_gt_u32_e32 8, v3
; %bb.242:                              ;   in Loop: Header=BB430_10 Depth=1
	v_clz_i32_u32_e32 v0, v20
	s_delay_alu instid0(VALU_DEP_1) | instskip(NEXT) | instid1(VALU_DEP_1)
	v_min_u32_e32 v0, 32, v0
	v_subrev_nc_u32_e32 v2, 28, v0
	v_sub_nc_u32_e32 v0, 29, v0
	s_delay_alu instid0(VALU_DEP_2) | instskip(NEXT) | instid1(VALU_DEP_1)
	v_lshlrev_b64 v[2:3], v2, v[20:21]
	v_and_b32_e32 v30, 7, v2
; %bb.243:                              ;   in Loop: Header=BB430_10 Depth=1
	s_or_b32 exec_lo, exec_lo, s21
	v_lshlrev_b32_e32 v1, 24, v1
	s_delay_alu instid0(VALU_DEP_2) | instskip(SKIP_1) | instid1(VALU_DEP_3)
	v_lshlrev_b32_e32 v2, 20, v30
	v_lshl_add_u32 v0, v0, 23, 0x3c000000
	v_and_b32_e32 v1, 0x80000000, v1
	s_delay_alu instid0(VALU_DEP_1)
	v_or3_b32 v2, v2, v1, v0
.LBB430_244:                            ;   in Loop: Header=BB430_10 Depth=1
	s_or_b32 exec_lo, exec_lo, s20
.LBB430_245:                            ;   in Loop: Header=BB430_10 Depth=1
	s_delay_alu instid0(SALU_CYCLE_1)
	s_or_b32 exec_lo, exec_lo, s19
.LBB430_246:                            ;   in Loop: Header=BB430_10 Depth=1
	s_delay_alu instid0(SALU_CYCLE_1) | instskip(NEXT) | instid1(VALU_DEP_1)
	s_or_b32 exec_lo, exec_lo, s3
	v_mul_f32_e32 v0, v107, v2
                                        ; implicit-def: $vgpr142
	s_delay_alu instid0(VALU_DEP_1) | instskip(NEXT) | instid1(VALU_DEP_1)
	v_and_b32_e32 v1, 0x7f800000, v0
	v_cmp_ne_u32_e64 s2, 0x7f800000, v1
	s_delay_alu instid0(VALU_DEP_1) | instskip(NEXT) | instid1(SALU_CYCLE_1)
	s_and_saveexec_b32 s3, s2
	s_xor_b32 s2, exec_lo, s3
; %bb.247:                              ;   in Loop: Header=BB430_10 Depth=1
	v_bfe_u32 v1, v0, 16, 1
	s_delay_alu instid0(VALU_DEP_1)
	v_add3_u32 v142, v0, v1, 0x7fff
                                        ; implicit-def: $vgpr0
; %bb.248:                              ;   in Loop: Header=BB430_10 Depth=1
	s_and_not1_saveexec_b32 s3, s2
; %bb.249:                              ;   in Loop: Header=BB430_10 Depth=1
	v_and_b32_e32 v1, 0xffff, v0
	v_or_b32_e32 v2, 0x10000, v0
	s_delay_alu instid0(VALU_DEP_2) | instskip(NEXT) | instid1(VALU_DEP_1)
	v_cmp_eq_u32_e64 s2, 0, v1
	v_cndmask_b32_e64 v142, v2, v0, s2
; %bb.250:                              ;   in Loop: Header=BB430_10 Depth=1
	s_or_b32 exec_lo, exec_lo, s3
	flat_load_b32 v0, v[28:29] offset:520
	s_mov_b32 s3, exec_lo
	s_waitcnt vmcnt(0) lgkmcnt(0)
	v_dual_mov_b32 v1, 0 :: v_dual_and_b32 v2, 0xff, v0
	s_delay_alu instid0(VALU_DEP_1)
	v_cmpx_ne_u16_e32 0, v2
	s_cbranch_execz .LBB430_258
; %bb.251:                              ;   in Loop: Header=BB430_10 Depth=1
	v_bfrev_b32_e32 v1, 1
	s_mov_b32 s19, exec_lo
	v_cmpx_ne_u16_e32 0x80, v2
	s_cbranch_execz .LBB430_257
; %bb.252:                              ;   in Loop: Header=BB430_10 Depth=1
	v_and_b32_e32 v2, 0x7f, v0
	v_mov_b32_e32 v1, 0x7f800001
	s_mov_b32 s20, exec_lo
	s_delay_alu instid0(VALU_DEP_2)
	v_cmpx_ne_u32_e32 0x7f, v2
	s_cbranch_execz .LBB430_256
; %bb.253:                              ;   in Loop: Header=BB430_10 Depth=1
	v_and_b32_e32 v20, 7, v0
	v_lshrrev_b32_e32 v1, 3, v2
	v_mov_b32_e32 v31, v21
	s_mov_b32 s21, exec_lo
	s_delay_alu instid0(VALU_DEP_3)
	v_mov_b32_e32 v30, v20
	v_cmpx_gt_u32_e32 8, v2
; %bb.254:                              ;   in Loop: Header=BB430_10 Depth=1
	v_clz_i32_u32_e32 v1, v20
	s_delay_alu instid0(VALU_DEP_1) | instskip(NEXT) | instid1(VALU_DEP_1)
	v_min_u32_e32 v1, 32, v1
	v_subrev_nc_u32_e32 v2, 28, v1
	v_sub_nc_u32_e32 v1, 29, v1
	s_delay_alu instid0(VALU_DEP_2) | instskip(NEXT) | instid1(VALU_DEP_1)
	v_lshlrev_b64 v[2:3], v2, v[20:21]
	v_and_b32_e32 v30, 7, v2
; %bb.255:                              ;   in Loop: Header=BB430_10 Depth=1
	s_or_b32 exec_lo, exec_lo, s21
	v_lshlrev_b32_e32 v2, 24, v0
	s_delay_alu instid0(VALU_DEP_2) | instskip(SKIP_1) | instid1(VALU_DEP_3)
	v_lshlrev_b32_e32 v3, 20, v30
	v_lshl_add_u32 v1, v1, 23, 0x3c000000
	v_and_b32_e32 v2, 0x80000000, v2
	s_delay_alu instid0(VALU_DEP_1)
	v_or3_b32 v1, v3, v2, v1
.LBB430_256:                            ;   in Loop: Header=BB430_10 Depth=1
	s_or_b32 exec_lo, exec_lo, s20
.LBB430_257:                            ;   in Loop: Header=BB430_10 Depth=1
	s_delay_alu instid0(SALU_CYCLE_1)
	s_or_b32 exec_lo, exec_lo, s19
.LBB430_258:                            ;   in Loop: Header=BB430_10 Depth=1
	s_delay_alu instid0(SALU_CYCLE_1) | instskip(NEXT) | instid1(VALU_DEP_1)
	s_or_b32 exec_lo, exec_lo, s3
	v_mul_f32_e32 v1, v107, v1
                                        ; implicit-def: $vgpr143
	s_delay_alu instid0(VALU_DEP_1) | instskip(NEXT) | instid1(VALU_DEP_1)
	v_and_b32_e32 v2, 0x7f800000, v1
	v_cmp_ne_u32_e64 s2, 0x7f800000, v2
	s_delay_alu instid0(VALU_DEP_1) | instskip(NEXT) | instid1(SALU_CYCLE_1)
	s_and_saveexec_b32 s3, s2
	s_xor_b32 s2, exec_lo, s3
; %bb.259:                              ;   in Loop: Header=BB430_10 Depth=1
	v_bfe_u32 v2, v1, 16, 1
	s_delay_alu instid0(VALU_DEP_1)
	v_add3_u32 v143, v1, v2, 0x7fff
                                        ; implicit-def: $vgpr1
; %bb.260:                              ;   in Loop: Header=BB430_10 Depth=1
	s_and_not1_saveexec_b32 s3, s2
; %bb.261:                              ;   in Loop: Header=BB430_10 Depth=1
	v_and_b32_e32 v2, 0xffff, v1
	v_or_b32_e32 v3, 0x10000, v1
	s_delay_alu instid0(VALU_DEP_2) | instskip(NEXT) | instid1(VALU_DEP_1)
	v_cmp_eq_u32_e64 s2, 0, v2
	v_cndmask_b32_e64 v143, v3, v1, s2
; %bb.262:                              ;   in Loop: Header=BB430_10 Depth=1
	s_or_b32 exec_lo, exec_lo, s3
	v_lshrrev_b16 v2, 8, v0
	v_mov_b32_e32 v1, 0
	s_mov_b32 s3, exec_lo
	s_delay_alu instid0(VALU_DEP_2)
	v_cmpx_ne_u16_e32 0, v2
	s_cbranch_execz .LBB430_270
; %bb.263:                              ;   in Loop: Header=BB430_10 Depth=1
	v_bfrev_b32_e32 v1, 1
	s_mov_b32 s19, exec_lo
	v_cmpx_ne_u16_e32 0x80, v2
	s_cbranch_execz .LBB430_269
; %bb.264:                              ;   in Loop: Header=BB430_10 Depth=1
	v_and_b32_e32 v3, 0xffff, v2
	v_mov_b32_e32 v1, 0x7f800001
	s_mov_b32 s20, exec_lo
	s_delay_alu instid0(VALU_DEP_2) | instskip(NEXT) | instid1(VALU_DEP_1)
	v_and_b32_e32 v2, 0x7f, v3
	v_cmpx_ne_u32_e32 0x7f, v2
	s_cbranch_execz .LBB430_268
; %bb.265:                              ;   in Loop: Header=BB430_10 Depth=1
	v_and_b32_e32 v20, 7, v3
	v_lshrrev_b32_e32 v1, 3, v2
	v_mov_b32_e32 v31, v21
	s_mov_b32 s21, exec_lo
	s_delay_alu instid0(VALU_DEP_3)
	v_mov_b32_e32 v30, v20
	v_cmpx_gt_u32_e32 8, v2
; %bb.266:                              ;   in Loop: Header=BB430_10 Depth=1
	v_clz_i32_u32_e32 v1, v20
	s_delay_alu instid0(VALU_DEP_1) | instskip(NEXT) | instid1(VALU_DEP_1)
	v_min_u32_e32 v1, 32, v1
	v_subrev_nc_u32_e32 v2, 28, v1
	v_sub_nc_u32_e32 v1, 29, v1
	s_delay_alu instid0(VALU_DEP_2) | instskip(NEXT) | instid1(VALU_DEP_1)
	v_lshlrev_b64 v[2:3], v2, v[20:21]
	v_and_b32_e32 v30, 7, v2
; %bb.267:                              ;   in Loop: Header=BB430_10 Depth=1
	s_or_b32 exec_lo, exec_lo, s21
	v_lshlrev_b32_e32 v2, 16, v0
	s_delay_alu instid0(VALU_DEP_2) | instskip(SKIP_1) | instid1(VALU_DEP_3)
	v_lshlrev_b32_e32 v3, 20, v30
	v_lshl_add_u32 v1, v1, 23, 0x3c000000
	v_and_b32_e32 v2, 0x80000000, v2
	s_delay_alu instid0(VALU_DEP_1)
	v_or3_b32 v1, v3, v2, v1
.LBB430_268:                            ;   in Loop: Header=BB430_10 Depth=1
	s_or_b32 exec_lo, exec_lo, s20
.LBB430_269:                            ;   in Loop: Header=BB430_10 Depth=1
	s_delay_alu instid0(SALU_CYCLE_1)
	s_or_b32 exec_lo, exec_lo, s19
.LBB430_270:                            ;   in Loop: Header=BB430_10 Depth=1
	s_delay_alu instid0(SALU_CYCLE_1) | instskip(NEXT) | instid1(VALU_DEP_1)
	s_or_b32 exec_lo, exec_lo, s3
	v_mul_f32_e32 v1, v107, v1
                                        ; implicit-def: $vgpr152
	s_delay_alu instid0(VALU_DEP_1) | instskip(NEXT) | instid1(VALU_DEP_1)
	v_and_b32_e32 v2, 0x7f800000, v1
	v_cmp_ne_u32_e64 s2, 0x7f800000, v2
	s_delay_alu instid0(VALU_DEP_1) | instskip(NEXT) | instid1(SALU_CYCLE_1)
	s_and_saveexec_b32 s3, s2
	s_xor_b32 s2, exec_lo, s3
; %bb.271:                              ;   in Loop: Header=BB430_10 Depth=1
	v_bfe_u32 v2, v1, 16, 1
	s_delay_alu instid0(VALU_DEP_1)
	v_add3_u32 v152, v1, v2, 0x7fff
                                        ; implicit-def: $vgpr1
; %bb.272:                              ;   in Loop: Header=BB430_10 Depth=1
	s_and_not1_saveexec_b32 s3, s2
; %bb.273:                              ;   in Loop: Header=BB430_10 Depth=1
	v_and_b32_e32 v2, 0xffff, v1
	v_or_b32_e32 v3, 0x10000, v1
	s_delay_alu instid0(VALU_DEP_2) | instskip(NEXT) | instid1(VALU_DEP_1)
	v_cmp_eq_u32_e64 s2, 0, v2
	v_cndmask_b32_e64 v152, v3, v1, s2
; %bb.274:                              ;   in Loop: Header=BB430_10 Depth=1
	s_or_b32 exec_lo, exec_lo, s3
	v_lshrrev_b32_e32 v1, 16, v0
	s_mov_b32 s3, exec_lo
	s_delay_alu instid0(VALU_DEP_1) | instskip(NEXT) | instid1(VALU_DEP_1)
	v_dual_mov_b32 v2, 0 :: v_dual_and_b32 v3, 0xff, v1
	v_cmpx_ne_u16_e32 0, v3
	s_cbranch_execz .LBB430_282
; %bb.275:                              ;   in Loop: Header=BB430_10 Depth=1
	v_bfrev_b32_e32 v2, 1
	s_mov_b32 s19, exec_lo
	v_cmpx_ne_u16_e32 0x80, v3
	s_cbranch_execz .LBB430_281
; %bb.276:                              ;   in Loop: Header=BB430_10 Depth=1
	v_bfe_u32 v3, v0, 16, 7
	v_mov_b32_e32 v2, 0x7f800001
	s_mov_b32 s20, exec_lo
	s_delay_alu instid0(VALU_DEP_2)
	v_cmpx_ne_u32_e32 0x7f, v3
	s_cbranch_execz .LBB430_280
; %bb.277:                              ;   in Loop: Header=BB430_10 Depth=1
	v_and_b32_e32 v20, 7, v1
	v_lshrrev_b32_e32 v2, 3, v3
	v_mov_b32_e32 v31, v21
	s_mov_b32 s21, exec_lo
	s_delay_alu instid0(VALU_DEP_3)
	v_mov_b32_e32 v30, v20
	v_cmpx_gt_u32_e32 8, v3
; %bb.278:                              ;   in Loop: Header=BB430_10 Depth=1
	v_clz_i32_u32_e32 v2, v20
	s_delay_alu instid0(VALU_DEP_1) | instskip(NEXT) | instid1(VALU_DEP_1)
	v_min_u32_e32 v2, 32, v2
	v_subrev_nc_u32_e32 v3, 28, v2
	v_sub_nc_u32_e32 v2, 29, v2
	s_delay_alu instid0(VALU_DEP_2) | instskip(NEXT) | instid1(VALU_DEP_1)
	v_lshlrev_b64 v[3:4], v3, v[20:21]
	v_and_b32_e32 v30, 7, v3
; %bb.279:                              ;   in Loop: Header=BB430_10 Depth=1
	s_or_b32 exec_lo, exec_lo, s21
	v_lshlrev_b32_e32 v1, 24, v1
	s_delay_alu instid0(VALU_DEP_2) | instskip(SKIP_1) | instid1(VALU_DEP_3)
	v_lshlrev_b32_e32 v3, 20, v30
	v_lshl_add_u32 v2, v2, 23, 0x3c000000
	v_and_b32_e32 v1, 0x80000000, v1
	s_delay_alu instid0(VALU_DEP_1)
	v_or3_b32 v2, v3, v1, v2
.LBB430_280:                            ;   in Loop: Header=BB430_10 Depth=1
	s_or_b32 exec_lo, exec_lo, s20
.LBB430_281:                            ;   in Loop: Header=BB430_10 Depth=1
	s_delay_alu instid0(SALU_CYCLE_1)
	s_or_b32 exec_lo, exec_lo, s19
.LBB430_282:                            ;   in Loop: Header=BB430_10 Depth=1
	s_delay_alu instid0(SALU_CYCLE_1) | instskip(NEXT) | instid1(VALU_DEP_1)
	s_or_b32 exec_lo, exec_lo, s3
	v_mul_f32_e32 v1, v107, v2
                                        ; implicit-def: $vgpr153
	s_delay_alu instid0(VALU_DEP_1) | instskip(NEXT) | instid1(VALU_DEP_1)
	v_and_b32_e32 v2, 0x7f800000, v1
	v_cmp_ne_u32_e64 s2, 0x7f800000, v2
	s_delay_alu instid0(VALU_DEP_1) | instskip(NEXT) | instid1(SALU_CYCLE_1)
	s_and_saveexec_b32 s3, s2
	s_xor_b32 s2, exec_lo, s3
; %bb.283:                              ;   in Loop: Header=BB430_10 Depth=1
	v_bfe_u32 v2, v1, 16, 1
	s_delay_alu instid0(VALU_DEP_1)
	v_add3_u32 v153, v1, v2, 0x7fff
                                        ; implicit-def: $vgpr1
; %bb.284:                              ;   in Loop: Header=BB430_10 Depth=1
	s_and_not1_saveexec_b32 s3, s2
; %bb.285:                              ;   in Loop: Header=BB430_10 Depth=1
	v_and_b32_e32 v2, 0xffff, v1
	v_or_b32_e32 v3, 0x10000, v1
	s_delay_alu instid0(VALU_DEP_2) | instskip(NEXT) | instid1(VALU_DEP_1)
	v_cmp_eq_u32_e64 s2, 0, v2
	v_cndmask_b32_e64 v153, v3, v1, s2
; %bb.286:                              ;   in Loop: Header=BB430_10 Depth=1
	s_or_b32 exec_lo, exec_lo, s3
	v_mov_b32_e32 v2, 0
	s_mov_b32 s3, exec_lo
	v_cmpx_lt_u32_e32 0xffffff, v0
	s_cbranch_execz .LBB430_294
; %bb.287:                              ;   in Loop: Header=BB430_10 Depth=1
	v_lshrrev_b32_e32 v1, 24, v0
	v_bfrev_b32_e32 v2, 1
	s_mov_b32 s19, exec_lo
	s_delay_alu instid0(VALU_DEP_2)
	v_cmpx_ne_u32_e32 0x80, v1
	s_cbranch_execz .LBB430_293
; %bb.288:                              ;   in Loop: Header=BB430_10 Depth=1
	v_bfe_u32 v3, v0, 24, 7
	v_mov_b32_e32 v2, 0x7f800001
	s_mov_b32 s20, exec_lo
	s_delay_alu instid0(VALU_DEP_2)
	v_cmpx_ne_u32_e32 0x7f, v3
	s_cbranch_execz .LBB430_292
; %bb.289:                              ;   in Loop: Header=BB430_10 Depth=1
	v_and_b32_e32 v20, 7, v1
	v_lshrrev_b32_e32 v0, 3, v3
	v_mov_b32_e32 v31, v21
	s_mov_b32 s21, exec_lo
	s_delay_alu instid0(VALU_DEP_3)
	v_mov_b32_e32 v30, v20
	v_cmpx_gt_u32_e32 8, v3
; %bb.290:                              ;   in Loop: Header=BB430_10 Depth=1
	v_clz_i32_u32_e32 v0, v20
	s_delay_alu instid0(VALU_DEP_1) | instskip(NEXT) | instid1(VALU_DEP_1)
	v_min_u32_e32 v0, 32, v0
	v_subrev_nc_u32_e32 v2, 28, v0
	v_sub_nc_u32_e32 v0, 29, v0
	s_delay_alu instid0(VALU_DEP_2) | instskip(NEXT) | instid1(VALU_DEP_1)
	v_lshlrev_b64 v[2:3], v2, v[20:21]
	v_and_b32_e32 v30, 7, v2
; %bb.291:                              ;   in Loop: Header=BB430_10 Depth=1
	s_or_b32 exec_lo, exec_lo, s21
	v_lshlrev_b32_e32 v1, 24, v1
	s_delay_alu instid0(VALU_DEP_2) | instskip(SKIP_1) | instid1(VALU_DEP_3)
	v_lshlrev_b32_e32 v2, 20, v30
	v_lshl_add_u32 v0, v0, 23, 0x3c000000
	v_and_b32_e32 v1, 0x80000000, v1
	s_delay_alu instid0(VALU_DEP_1)
	v_or3_b32 v2, v2, v1, v0
.LBB430_292:                            ;   in Loop: Header=BB430_10 Depth=1
	s_or_b32 exec_lo, exec_lo, s20
.LBB430_293:                            ;   in Loop: Header=BB430_10 Depth=1
	s_delay_alu instid0(SALU_CYCLE_1)
	s_or_b32 exec_lo, exec_lo, s19
.LBB430_294:                            ;   in Loop: Header=BB430_10 Depth=1
	s_delay_alu instid0(SALU_CYCLE_1) | instskip(NEXT) | instid1(VALU_DEP_1)
	s_or_b32 exec_lo, exec_lo, s3
	v_mul_f32_e32 v0, v107, v2
                                        ; implicit-def: $vgpr154
	s_delay_alu instid0(VALU_DEP_1) | instskip(NEXT) | instid1(VALU_DEP_1)
	v_and_b32_e32 v1, 0x7f800000, v0
	v_cmp_ne_u32_e64 s2, 0x7f800000, v1
	s_delay_alu instid0(VALU_DEP_1) | instskip(NEXT) | instid1(SALU_CYCLE_1)
	s_and_saveexec_b32 s3, s2
	s_xor_b32 s2, exec_lo, s3
; %bb.295:                              ;   in Loop: Header=BB430_10 Depth=1
	v_bfe_u32 v1, v0, 16, 1
	s_delay_alu instid0(VALU_DEP_1)
	v_add3_u32 v154, v0, v1, 0x7fff
                                        ; implicit-def: $vgpr0
; %bb.296:                              ;   in Loop: Header=BB430_10 Depth=1
	s_and_not1_saveexec_b32 s3, s2
; %bb.297:                              ;   in Loop: Header=BB430_10 Depth=1
	v_and_b32_e32 v1, 0xffff, v0
	v_or_b32_e32 v2, 0x10000, v0
	s_delay_alu instid0(VALU_DEP_2) | instskip(NEXT) | instid1(VALU_DEP_1)
	v_cmp_eq_u32_e64 s2, 0, v1
	v_cndmask_b32_e64 v154, v2, v0, s2
; %bb.298:                              ;   in Loop: Header=BB430_10 Depth=1
	s_or_b32 exec_lo, exec_lo, s3
	flat_load_b32 v0, v[28:29] offset:768
	s_mov_b32 s3, exec_lo
	s_waitcnt vmcnt(0) lgkmcnt(0)
	v_dual_mov_b32 v1, 0 :: v_dual_and_b32 v2, 0xff, v0
	s_delay_alu instid0(VALU_DEP_1)
	v_cmpx_ne_u16_e32 0, v2
	s_cbranch_execz .LBB430_306
; %bb.299:                              ;   in Loop: Header=BB430_10 Depth=1
	v_bfrev_b32_e32 v1, 1
	s_mov_b32 s19, exec_lo
	v_cmpx_ne_u16_e32 0x80, v2
	s_cbranch_execz .LBB430_305
; %bb.300:                              ;   in Loop: Header=BB430_10 Depth=1
	v_and_b32_e32 v2, 0x7f, v0
	v_mov_b32_e32 v1, 0x7f800001
	s_mov_b32 s20, exec_lo
	s_delay_alu instid0(VALU_DEP_2)
	v_cmpx_ne_u32_e32 0x7f, v2
	s_cbranch_execz .LBB430_304
; %bb.301:                              ;   in Loop: Header=BB430_10 Depth=1
	v_and_b32_e32 v20, 7, v0
	v_lshrrev_b32_e32 v1, 3, v2
	v_mov_b32_e32 v31, v21
	s_mov_b32 s21, exec_lo
	s_delay_alu instid0(VALU_DEP_3)
	v_mov_b32_e32 v30, v20
	v_cmpx_gt_u32_e32 8, v2
; %bb.302:                              ;   in Loop: Header=BB430_10 Depth=1
	v_clz_i32_u32_e32 v1, v20
	s_delay_alu instid0(VALU_DEP_1) | instskip(NEXT) | instid1(VALU_DEP_1)
	v_min_u32_e32 v1, 32, v1
	v_subrev_nc_u32_e32 v2, 28, v1
	v_sub_nc_u32_e32 v1, 29, v1
	s_delay_alu instid0(VALU_DEP_2) | instskip(NEXT) | instid1(VALU_DEP_1)
	v_lshlrev_b64 v[2:3], v2, v[20:21]
	v_and_b32_e32 v30, 7, v2
; %bb.303:                              ;   in Loop: Header=BB430_10 Depth=1
	s_or_b32 exec_lo, exec_lo, s21
	v_lshlrev_b32_e32 v2, 24, v0
	s_delay_alu instid0(VALU_DEP_2) | instskip(SKIP_1) | instid1(VALU_DEP_3)
	v_lshlrev_b32_e32 v3, 20, v30
	v_lshl_add_u32 v1, v1, 23, 0x3c000000
	v_and_b32_e32 v2, 0x80000000, v2
	s_delay_alu instid0(VALU_DEP_1)
	v_or3_b32 v1, v3, v2, v1
.LBB430_304:                            ;   in Loop: Header=BB430_10 Depth=1
	s_or_b32 exec_lo, exec_lo, s20
.LBB430_305:                            ;   in Loop: Header=BB430_10 Depth=1
	s_delay_alu instid0(SALU_CYCLE_1)
	s_or_b32 exec_lo, exec_lo, s19
.LBB430_306:                            ;   in Loop: Header=BB430_10 Depth=1
	s_delay_alu instid0(SALU_CYCLE_1) | instskip(NEXT) | instid1(VALU_DEP_1)
	s_or_b32 exec_lo, exec_lo, s3
	v_mul_f32_e32 v1, v107, v1
                                        ; implicit-def: $vgpr155
	s_delay_alu instid0(VALU_DEP_1) | instskip(NEXT) | instid1(VALU_DEP_1)
	v_and_b32_e32 v2, 0x7f800000, v1
	v_cmp_ne_u32_e64 s2, 0x7f800000, v2
	s_delay_alu instid0(VALU_DEP_1) | instskip(NEXT) | instid1(SALU_CYCLE_1)
	s_and_saveexec_b32 s3, s2
	s_xor_b32 s2, exec_lo, s3
; %bb.307:                              ;   in Loop: Header=BB430_10 Depth=1
	v_bfe_u32 v2, v1, 16, 1
	s_delay_alu instid0(VALU_DEP_1)
	v_add3_u32 v155, v1, v2, 0x7fff
                                        ; implicit-def: $vgpr1
; %bb.308:                              ;   in Loop: Header=BB430_10 Depth=1
	s_and_not1_saveexec_b32 s3, s2
; %bb.309:                              ;   in Loop: Header=BB430_10 Depth=1
	v_and_b32_e32 v2, 0xffff, v1
	v_or_b32_e32 v3, 0x10000, v1
	s_delay_alu instid0(VALU_DEP_2) | instskip(NEXT) | instid1(VALU_DEP_1)
	v_cmp_eq_u32_e64 s2, 0, v2
	v_cndmask_b32_e64 v155, v3, v1, s2
; %bb.310:                              ;   in Loop: Header=BB430_10 Depth=1
	s_or_b32 exec_lo, exec_lo, s3
	v_lshrrev_b16 v2, 8, v0
	v_mov_b32_e32 v1, 0
	s_mov_b32 s3, exec_lo
	s_delay_alu instid0(VALU_DEP_2)
	v_cmpx_ne_u16_e32 0, v2
	s_cbranch_execz .LBB430_318
; %bb.311:                              ;   in Loop: Header=BB430_10 Depth=1
	v_bfrev_b32_e32 v1, 1
	s_mov_b32 s19, exec_lo
	v_cmpx_ne_u16_e32 0x80, v2
	s_cbranch_execz .LBB430_317
; %bb.312:                              ;   in Loop: Header=BB430_10 Depth=1
	v_and_b32_e32 v3, 0xffff, v2
	v_mov_b32_e32 v1, 0x7f800001
	s_mov_b32 s20, exec_lo
	s_delay_alu instid0(VALU_DEP_2) | instskip(NEXT) | instid1(VALU_DEP_1)
	v_and_b32_e32 v2, 0x7f, v3
	v_cmpx_ne_u32_e32 0x7f, v2
	s_cbranch_execz .LBB430_316
; %bb.313:                              ;   in Loop: Header=BB430_10 Depth=1
	v_and_b32_e32 v20, 7, v3
	v_lshrrev_b32_e32 v1, 3, v2
	v_mov_b32_e32 v31, v21
	s_mov_b32 s21, exec_lo
	s_delay_alu instid0(VALU_DEP_3)
	v_mov_b32_e32 v30, v20
	v_cmpx_gt_u32_e32 8, v2
; %bb.314:                              ;   in Loop: Header=BB430_10 Depth=1
	v_clz_i32_u32_e32 v1, v20
	s_delay_alu instid0(VALU_DEP_1) | instskip(NEXT) | instid1(VALU_DEP_1)
	v_min_u32_e32 v1, 32, v1
	v_subrev_nc_u32_e32 v2, 28, v1
	v_sub_nc_u32_e32 v1, 29, v1
	s_delay_alu instid0(VALU_DEP_2) | instskip(NEXT) | instid1(VALU_DEP_1)
	v_lshlrev_b64 v[2:3], v2, v[20:21]
	v_and_b32_e32 v30, 7, v2
; %bb.315:                              ;   in Loop: Header=BB430_10 Depth=1
	s_or_b32 exec_lo, exec_lo, s21
	v_lshlrev_b32_e32 v2, 16, v0
	s_delay_alu instid0(VALU_DEP_2) | instskip(SKIP_1) | instid1(VALU_DEP_3)
	v_lshlrev_b32_e32 v3, 20, v30
	v_lshl_add_u32 v1, v1, 23, 0x3c000000
	v_and_b32_e32 v2, 0x80000000, v2
	s_delay_alu instid0(VALU_DEP_1)
	v_or3_b32 v1, v3, v2, v1
.LBB430_316:                            ;   in Loop: Header=BB430_10 Depth=1
	s_or_b32 exec_lo, exec_lo, s20
.LBB430_317:                            ;   in Loop: Header=BB430_10 Depth=1
	s_delay_alu instid0(SALU_CYCLE_1)
	s_or_b32 exec_lo, exec_lo, s19
.LBB430_318:                            ;   in Loop: Header=BB430_10 Depth=1
	s_delay_alu instid0(SALU_CYCLE_1) | instskip(NEXT) | instid1(VALU_DEP_1)
	s_or_b32 exec_lo, exec_lo, s3
	v_mul_f32_e32 v1, v107, v1
                                        ; implicit-def: $vgpr156
	s_delay_alu instid0(VALU_DEP_1) | instskip(NEXT) | instid1(VALU_DEP_1)
	v_and_b32_e32 v2, 0x7f800000, v1
	v_cmp_ne_u32_e64 s2, 0x7f800000, v2
	s_delay_alu instid0(VALU_DEP_1) | instskip(NEXT) | instid1(SALU_CYCLE_1)
	s_and_saveexec_b32 s3, s2
	s_xor_b32 s2, exec_lo, s3
; %bb.319:                              ;   in Loop: Header=BB430_10 Depth=1
	v_bfe_u32 v2, v1, 16, 1
	s_delay_alu instid0(VALU_DEP_1)
	v_add3_u32 v156, v1, v2, 0x7fff
                                        ; implicit-def: $vgpr1
; %bb.320:                              ;   in Loop: Header=BB430_10 Depth=1
	s_and_not1_saveexec_b32 s3, s2
; %bb.321:                              ;   in Loop: Header=BB430_10 Depth=1
	v_and_b32_e32 v2, 0xffff, v1
	v_or_b32_e32 v3, 0x10000, v1
	s_delay_alu instid0(VALU_DEP_2) | instskip(NEXT) | instid1(VALU_DEP_1)
	v_cmp_eq_u32_e64 s2, 0, v2
	v_cndmask_b32_e64 v156, v3, v1, s2
; %bb.322:                              ;   in Loop: Header=BB430_10 Depth=1
	s_or_b32 exec_lo, exec_lo, s3
	v_lshrrev_b32_e32 v1, 16, v0
	s_mov_b32 s3, exec_lo
	s_delay_alu instid0(VALU_DEP_1) | instskip(NEXT) | instid1(VALU_DEP_1)
	v_dual_mov_b32 v2, 0 :: v_dual_and_b32 v3, 0xff, v1
	v_cmpx_ne_u16_e32 0, v3
	s_cbranch_execz .LBB430_330
; %bb.323:                              ;   in Loop: Header=BB430_10 Depth=1
	v_bfrev_b32_e32 v2, 1
	s_mov_b32 s19, exec_lo
	v_cmpx_ne_u16_e32 0x80, v3
	s_cbranch_execz .LBB430_329
; %bb.324:                              ;   in Loop: Header=BB430_10 Depth=1
	v_bfe_u32 v3, v0, 16, 7
	v_mov_b32_e32 v2, 0x7f800001
	s_mov_b32 s20, exec_lo
	s_delay_alu instid0(VALU_DEP_2)
	v_cmpx_ne_u32_e32 0x7f, v3
	s_cbranch_execz .LBB430_328
; %bb.325:                              ;   in Loop: Header=BB430_10 Depth=1
	v_and_b32_e32 v20, 7, v1
	v_lshrrev_b32_e32 v2, 3, v3
	v_mov_b32_e32 v31, v21
	s_mov_b32 s21, exec_lo
	s_delay_alu instid0(VALU_DEP_3)
	v_mov_b32_e32 v30, v20
	v_cmpx_gt_u32_e32 8, v3
; %bb.326:                              ;   in Loop: Header=BB430_10 Depth=1
	v_clz_i32_u32_e32 v2, v20
	s_delay_alu instid0(VALU_DEP_1) | instskip(NEXT) | instid1(VALU_DEP_1)
	v_min_u32_e32 v2, 32, v2
	v_subrev_nc_u32_e32 v3, 28, v2
	v_sub_nc_u32_e32 v2, 29, v2
	s_delay_alu instid0(VALU_DEP_2) | instskip(NEXT) | instid1(VALU_DEP_1)
	v_lshlrev_b64 v[3:4], v3, v[20:21]
	v_and_b32_e32 v30, 7, v3
; %bb.327:                              ;   in Loop: Header=BB430_10 Depth=1
	s_or_b32 exec_lo, exec_lo, s21
	v_lshlrev_b32_e32 v1, 24, v1
	s_delay_alu instid0(VALU_DEP_2) | instskip(SKIP_1) | instid1(VALU_DEP_3)
	v_lshlrev_b32_e32 v3, 20, v30
	v_lshl_add_u32 v2, v2, 23, 0x3c000000
	v_and_b32_e32 v1, 0x80000000, v1
	s_delay_alu instid0(VALU_DEP_1)
	v_or3_b32 v2, v3, v1, v2
.LBB430_328:                            ;   in Loop: Header=BB430_10 Depth=1
	s_or_b32 exec_lo, exec_lo, s20
.LBB430_329:                            ;   in Loop: Header=BB430_10 Depth=1
	s_delay_alu instid0(SALU_CYCLE_1)
	s_or_b32 exec_lo, exec_lo, s19
.LBB430_330:                            ;   in Loop: Header=BB430_10 Depth=1
	s_delay_alu instid0(SALU_CYCLE_1) | instskip(NEXT) | instid1(VALU_DEP_1)
	s_or_b32 exec_lo, exec_lo, s3
	v_mul_f32_e32 v1, v107, v2
                                        ; implicit-def: $vgpr157
	s_delay_alu instid0(VALU_DEP_1) | instskip(NEXT) | instid1(VALU_DEP_1)
	v_and_b32_e32 v2, 0x7f800000, v1
	v_cmp_ne_u32_e64 s2, 0x7f800000, v2
	s_delay_alu instid0(VALU_DEP_1) | instskip(NEXT) | instid1(SALU_CYCLE_1)
	s_and_saveexec_b32 s3, s2
	s_xor_b32 s2, exec_lo, s3
; %bb.331:                              ;   in Loop: Header=BB430_10 Depth=1
	v_bfe_u32 v2, v1, 16, 1
	s_delay_alu instid0(VALU_DEP_1)
	v_add3_u32 v157, v1, v2, 0x7fff
                                        ; implicit-def: $vgpr1
; %bb.332:                              ;   in Loop: Header=BB430_10 Depth=1
	s_and_not1_saveexec_b32 s3, s2
; %bb.333:                              ;   in Loop: Header=BB430_10 Depth=1
	v_and_b32_e32 v2, 0xffff, v1
	v_or_b32_e32 v3, 0x10000, v1
	s_delay_alu instid0(VALU_DEP_2) | instskip(NEXT) | instid1(VALU_DEP_1)
	v_cmp_eq_u32_e64 s2, 0, v2
	v_cndmask_b32_e64 v157, v3, v1, s2
; %bb.334:                              ;   in Loop: Header=BB430_10 Depth=1
	s_or_b32 exec_lo, exec_lo, s3
	v_mov_b32_e32 v2, 0
	s_mov_b32 s3, exec_lo
	v_cmpx_lt_u32_e32 0xffffff, v0
	s_cbranch_execz .LBB430_342
; %bb.335:                              ;   in Loop: Header=BB430_10 Depth=1
	v_lshrrev_b32_e32 v1, 24, v0
	v_bfrev_b32_e32 v2, 1
	s_mov_b32 s19, exec_lo
	s_delay_alu instid0(VALU_DEP_2)
	v_cmpx_ne_u32_e32 0x80, v1
	s_cbranch_execz .LBB430_341
; %bb.336:                              ;   in Loop: Header=BB430_10 Depth=1
	v_bfe_u32 v3, v0, 24, 7
	v_mov_b32_e32 v2, 0x7f800001
	s_mov_b32 s20, exec_lo
	s_delay_alu instid0(VALU_DEP_2)
	v_cmpx_ne_u32_e32 0x7f, v3
	s_cbranch_execz .LBB430_340
; %bb.337:                              ;   in Loop: Header=BB430_10 Depth=1
	v_and_b32_e32 v20, 7, v1
	v_lshrrev_b32_e32 v0, 3, v3
	v_mov_b32_e32 v31, v21
	s_mov_b32 s21, exec_lo
	s_delay_alu instid0(VALU_DEP_3)
	v_mov_b32_e32 v30, v20
	v_cmpx_gt_u32_e32 8, v3
; %bb.338:                              ;   in Loop: Header=BB430_10 Depth=1
	v_clz_i32_u32_e32 v0, v20
	s_delay_alu instid0(VALU_DEP_1) | instskip(NEXT) | instid1(VALU_DEP_1)
	v_min_u32_e32 v0, 32, v0
	v_subrev_nc_u32_e32 v2, 28, v0
	v_sub_nc_u32_e32 v0, 29, v0
	s_delay_alu instid0(VALU_DEP_2) | instskip(NEXT) | instid1(VALU_DEP_1)
	v_lshlrev_b64 v[2:3], v2, v[20:21]
	v_and_b32_e32 v30, 7, v2
; %bb.339:                              ;   in Loop: Header=BB430_10 Depth=1
	s_or_b32 exec_lo, exec_lo, s21
	v_lshlrev_b32_e32 v1, 24, v1
	s_delay_alu instid0(VALU_DEP_2) | instskip(SKIP_1) | instid1(VALU_DEP_3)
	v_lshlrev_b32_e32 v2, 20, v30
	v_lshl_add_u32 v0, v0, 23, 0x3c000000
	v_and_b32_e32 v1, 0x80000000, v1
	s_delay_alu instid0(VALU_DEP_1)
	v_or3_b32 v2, v2, v1, v0
.LBB430_340:                            ;   in Loop: Header=BB430_10 Depth=1
	s_or_b32 exec_lo, exec_lo, s20
.LBB430_341:                            ;   in Loop: Header=BB430_10 Depth=1
	s_delay_alu instid0(SALU_CYCLE_1)
	s_or_b32 exec_lo, exec_lo, s19
.LBB430_342:                            ;   in Loop: Header=BB430_10 Depth=1
	s_delay_alu instid0(SALU_CYCLE_1) | instskip(NEXT) | instid1(VALU_DEP_1)
	s_or_b32 exec_lo, exec_lo, s3
	v_mul_f32_e32 v0, v107, v2
                                        ; implicit-def: $vgpr158
	s_delay_alu instid0(VALU_DEP_1) | instskip(NEXT) | instid1(VALU_DEP_1)
	v_and_b32_e32 v1, 0x7f800000, v0
	v_cmp_ne_u32_e64 s2, 0x7f800000, v1
	s_delay_alu instid0(VALU_DEP_1) | instskip(NEXT) | instid1(SALU_CYCLE_1)
	s_and_saveexec_b32 s3, s2
	s_xor_b32 s2, exec_lo, s3
; %bb.343:                              ;   in Loop: Header=BB430_10 Depth=1
	v_bfe_u32 v1, v0, 16, 1
	s_delay_alu instid0(VALU_DEP_1)
	v_add3_u32 v158, v0, v1, 0x7fff
                                        ; implicit-def: $vgpr0
; %bb.344:                              ;   in Loop: Header=BB430_10 Depth=1
	s_and_not1_saveexec_b32 s3, s2
; %bb.345:                              ;   in Loop: Header=BB430_10 Depth=1
	v_and_b32_e32 v1, 0xffff, v0
	v_or_b32_e32 v2, 0x10000, v0
	s_delay_alu instid0(VALU_DEP_2) | instskip(NEXT) | instid1(VALU_DEP_1)
	v_cmp_eq_u32_e64 s2, 0, v1
	v_cndmask_b32_e64 v158, v2, v0, s2
; %bb.346:                              ;   in Loop: Header=BB430_10 Depth=1
	s_or_b32 exec_lo, exec_lo, s3
	flat_load_b32 v0, v[28:29] offset:776
	s_mov_b32 s3, exec_lo
	s_waitcnt vmcnt(0) lgkmcnt(0)
	v_dual_mov_b32 v1, 0 :: v_dual_and_b32 v2, 0xff, v0
	s_delay_alu instid0(VALU_DEP_1)
	v_cmpx_ne_u16_e32 0, v2
	s_cbranch_execz .LBB430_354
; %bb.347:                              ;   in Loop: Header=BB430_10 Depth=1
	v_bfrev_b32_e32 v1, 1
	s_mov_b32 s19, exec_lo
	v_cmpx_ne_u16_e32 0x80, v2
	s_cbranch_execz .LBB430_353
; %bb.348:                              ;   in Loop: Header=BB430_10 Depth=1
	v_and_b32_e32 v2, 0x7f, v0
	v_mov_b32_e32 v1, 0x7f800001
	s_mov_b32 s20, exec_lo
	s_delay_alu instid0(VALU_DEP_2)
	v_cmpx_ne_u32_e32 0x7f, v2
	s_cbranch_execz .LBB430_352
; %bb.349:                              ;   in Loop: Header=BB430_10 Depth=1
	v_and_b32_e32 v20, 7, v0
	v_lshrrev_b32_e32 v1, 3, v2
	v_mov_b32_e32 v31, v21
	s_mov_b32 s21, exec_lo
	s_delay_alu instid0(VALU_DEP_3)
	v_mov_b32_e32 v30, v20
	v_cmpx_gt_u32_e32 8, v2
; %bb.350:                              ;   in Loop: Header=BB430_10 Depth=1
	v_clz_i32_u32_e32 v1, v20
	s_delay_alu instid0(VALU_DEP_1) | instskip(NEXT) | instid1(VALU_DEP_1)
	v_min_u32_e32 v1, 32, v1
	v_subrev_nc_u32_e32 v2, 28, v1
	v_sub_nc_u32_e32 v1, 29, v1
	s_delay_alu instid0(VALU_DEP_2) | instskip(NEXT) | instid1(VALU_DEP_1)
	v_lshlrev_b64 v[2:3], v2, v[20:21]
	v_and_b32_e32 v30, 7, v2
; %bb.351:                              ;   in Loop: Header=BB430_10 Depth=1
	s_or_b32 exec_lo, exec_lo, s21
	v_lshlrev_b32_e32 v2, 24, v0
	s_delay_alu instid0(VALU_DEP_2) | instskip(SKIP_1) | instid1(VALU_DEP_3)
	v_lshlrev_b32_e32 v3, 20, v30
	v_lshl_add_u32 v1, v1, 23, 0x3c000000
	v_and_b32_e32 v2, 0x80000000, v2
	s_delay_alu instid0(VALU_DEP_1)
	v_or3_b32 v1, v3, v2, v1
.LBB430_352:                            ;   in Loop: Header=BB430_10 Depth=1
	s_or_b32 exec_lo, exec_lo, s20
.LBB430_353:                            ;   in Loop: Header=BB430_10 Depth=1
	s_delay_alu instid0(SALU_CYCLE_1)
	s_or_b32 exec_lo, exec_lo, s19
.LBB430_354:                            ;   in Loop: Header=BB430_10 Depth=1
	s_delay_alu instid0(SALU_CYCLE_1) | instskip(NEXT) | instid1(VALU_DEP_1)
	s_or_b32 exec_lo, exec_lo, s3
	v_mul_f32_e32 v1, v107, v1
                                        ; implicit-def: $vgpr159
	s_delay_alu instid0(VALU_DEP_1) | instskip(NEXT) | instid1(VALU_DEP_1)
	v_and_b32_e32 v2, 0x7f800000, v1
	v_cmp_ne_u32_e64 s2, 0x7f800000, v2
	s_delay_alu instid0(VALU_DEP_1) | instskip(NEXT) | instid1(SALU_CYCLE_1)
	s_and_saveexec_b32 s3, s2
	s_xor_b32 s2, exec_lo, s3
; %bb.355:                              ;   in Loop: Header=BB430_10 Depth=1
	v_bfe_u32 v2, v1, 16, 1
	s_delay_alu instid0(VALU_DEP_1)
	v_add3_u32 v159, v1, v2, 0x7fff
                                        ; implicit-def: $vgpr1
; %bb.356:                              ;   in Loop: Header=BB430_10 Depth=1
	s_and_not1_saveexec_b32 s3, s2
; %bb.357:                              ;   in Loop: Header=BB430_10 Depth=1
	v_and_b32_e32 v2, 0xffff, v1
	v_or_b32_e32 v3, 0x10000, v1
	s_delay_alu instid0(VALU_DEP_2) | instskip(NEXT) | instid1(VALU_DEP_1)
	v_cmp_eq_u32_e64 s2, 0, v2
	v_cndmask_b32_e64 v159, v3, v1, s2
; %bb.358:                              ;   in Loop: Header=BB430_10 Depth=1
	s_or_b32 exec_lo, exec_lo, s3
	v_lshrrev_b16 v2, 8, v0
	v_mov_b32_e32 v1, 0
	s_mov_b32 s3, exec_lo
	s_delay_alu instid0(VALU_DEP_2)
	v_cmpx_ne_u16_e32 0, v2
	s_cbranch_execz .LBB430_366
; %bb.359:                              ;   in Loop: Header=BB430_10 Depth=1
	v_bfrev_b32_e32 v1, 1
	s_mov_b32 s19, exec_lo
	v_cmpx_ne_u16_e32 0x80, v2
	s_cbranch_execz .LBB430_365
; %bb.360:                              ;   in Loop: Header=BB430_10 Depth=1
	v_and_b32_e32 v3, 0xffff, v2
	v_mov_b32_e32 v1, 0x7f800001
	s_mov_b32 s20, exec_lo
	s_delay_alu instid0(VALU_DEP_2) | instskip(NEXT) | instid1(VALU_DEP_1)
	v_and_b32_e32 v2, 0x7f, v3
	v_cmpx_ne_u32_e32 0x7f, v2
	s_cbranch_execz .LBB430_364
; %bb.361:                              ;   in Loop: Header=BB430_10 Depth=1
	v_and_b32_e32 v20, 7, v3
	v_lshrrev_b32_e32 v1, 3, v2
	v_mov_b32_e32 v31, v21
	s_mov_b32 s21, exec_lo
	s_delay_alu instid0(VALU_DEP_3)
	v_mov_b32_e32 v30, v20
	v_cmpx_gt_u32_e32 8, v2
; %bb.362:                              ;   in Loop: Header=BB430_10 Depth=1
	v_clz_i32_u32_e32 v1, v20
	s_delay_alu instid0(VALU_DEP_1) | instskip(NEXT) | instid1(VALU_DEP_1)
	v_min_u32_e32 v1, 32, v1
	v_subrev_nc_u32_e32 v2, 28, v1
	v_sub_nc_u32_e32 v1, 29, v1
	s_delay_alu instid0(VALU_DEP_2) | instskip(NEXT) | instid1(VALU_DEP_1)
	v_lshlrev_b64 v[2:3], v2, v[20:21]
	v_and_b32_e32 v30, 7, v2
; %bb.363:                              ;   in Loop: Header=BB430_10 Depth=1
	s_or_b32 exec_lo, exec_lo, s21
	v_lshlrev_b32_e32 v2, 16, v0
	s_delay_alu instid0(VALU_DEP_2) | instskip(SKIP_1) | instid1(VALU_DEP_3)
	v_lshlrev_b32_e32 v3, 20, v30
	v_lshl_add_u32 v1, v1, 23, 0x3c000000
	v_and_b32_e32 v2, 0x80000000, v2
	s_delay_alu instid0(VALU_DEP_1)
	v_or3_b32 v1, v3, v2, v1
.LBB430_364:                            ;   in Loop: Header=BB430_10 Depth=1
	s_or_b32 exec_lo, exec_lo, s20
.LBB430_365:                            ;   in Loop: Header=BB430_10 Depth=1
	s_delay_alu instid0(SALU_CYCLE_1)
	s_or_b32 exec_lo, exec_lo, s19
.LBB430_366:                            ;   in Loop: Header=BB430_10 Depth=1
	s_delay_alu instid0(SALU_CYCLE_1) | instskip(NEXT) | instid1(VALU_DEP_1)
	s_or_b32 exec_lo, exec_lo, s3
	v_mul_f32_e32 v1, v107, v1
                                        ; implicit-def: $vgpr168
	s_delay_alu instid0(VALU_DEP_1) | instskip(NEXT) | instid1(VALU_DEP_1)
	v_and_b32_e32 v2, 0x7f800000, v1
	v_cmp_ne_u32_e64 s2, 0x7f800000, v2
	s_delay_alu instid0(VALU_DEP_1) | instskip(NEXT) | instid1(SALU_CYCLE_1)
	s_and_saveexec_b32 s3, s2
	s_xor_b32 s2, exec_lo, s3
; %bb.367:                              ;   in Loop: Header=BB430_10 Depth=1
	v_bfe_u32 v2, v1, 16, 1
	s_delay_alu instid0(VALU_DEP_1)
	v_add3_u32 v168, v1, v2, 0x7fff
                                        ; implicit-def: $vgpr1
; %bb.368:                              ;   in Loop: Header=BB430_10 Depth=1
	s_and_not1_saveexec_b32 s3, s2
; %bb.369:                              ;   in Loop: Header=BB430_10 Depth=1
	v_and_b32_e32 v2, 0xffff, v1
	v_or_b32_e32 v3, 0x10000, v1
	s_delay_alu instid0(VALU_DEP_2) | instskip(NEXT) | instid1(VALU_DEP_1)
	v_cmp_eq_u32_e64 s2, 0, v2
	v_cndmask_b32_e64 v168, v3, v1, s2
; %bb.370:                              ;   in Loop: Header=BB430_10 Depth=1
	s_or_b32 exec_lo, exec_lo, s3
	v_lshrrev_b32_e32 v1, 16, v0
	s_mov_b32 s3, exec_lo
	s_delay_alu instid0(VALU_DEP_1) | instskip(NEXT) | instid1(VALU_DEP_1)
	v_dual_mov_b32 v2, 0 :: v_dual_and_b32 v3, 0xff, v1
	v_cmpx_ne_u16_e32 0, v3
	s_cbranch_execz .LBB430_378
; %bb.371:                              ;   in Loop: Header=BB430_10 Depth=1
	v_bfrev_b32_e32 v2, 1
	s_mov_b32 s19, exec_lo
	v_cmpx_ne_u16_e32 0x80, v3
	s_cbranch_execz .LBB430_377
; %bb.372:                              ;   in Loop: Header=BB430_10 Depth=1
	v_bfe_u32 v3, v0, 16, 7
	v_mov_b32_e32 v2, 0x7f800001
	s_mov_b32 s20, exec_lo
	s_delay_alu instid0(VALU_DEP_2)
	v_cmpx_ne_u32_e32 0x7f, v3
	s_cbranch_execz .LBB430_376
; %bb.373:                              ;   in Loop: Header=BB430_10 Depth=1
	v_and_b32_e32 v20, 7, v1
	v_lshrrev_b32_e32 v2, 3, v3
	v_mov_b32_e32 v31, v21
	s_mov_b32 s21, exec_lo
	s_delay_alu instid0(VALU_DEP_3)
	v_mov_b32_e32 v30, v20
	v_cmpx_gt_u32_e32 8, v3
; %bb.374:                              ;   in Loop: Header=BB430_10 Depth=1
	v_clz_i32_u32_e32 v2, v20
	s_delay_alu instid0(VALU_DEP_1) | instskip(NEXT) | instid1(VALU_DEP_1)
	v_min_u32_e32 v2, 32, v2
	v_subrev_nc_u32_e32 v3, 28, v2
	v_sub_nc_u32_e32 v2, 29, v2
	s_delay_alu instid0(VALU_DEP_2) | instskip(NEXT) | instid1(VALU_DEP_1)
	v_lshlrev_b64 v[3:4], v3, v[20:21]
	v_and_b32_e32 v30, 7, v3
; %bb.375:                              ;   in Loop: Header=BB430_10 Depth=1
	s_or_b32 exec_lo, exec_lo, s21
	v_lshlrev_b32_e32 v1, 24, v1
	s_delay_alu instid0(VALU_DEP_2) | instskip(SKIP_1) | instid1(VALU_DEP_3)
	v_lshlrev_b32_e32 v3, 20, v30
	v_lshl_add_u32 v2, v2, 23, 0x3c000000
	v_and_b32_e32 v1, 0x80000000, v1
	s_delay_alu instid0(VALU_DEP_1)
	v_or3_b32 v2, v3, v1, v2
.LBB430_376:                            ;   in Loop: Header=BB430_10 Depth=1
	s_or_b32 exec_lo, exec_lo, s20
.LBB430_377:                            ;   in Loop: Header=BB430_10 Depth=1
	s_delay_alu instid0(SALU_CYCLE_1)
	s_or_b32 exec_lo, exec_lo, s19
.LBB430_378:                            ;   in Loop: Header=BB430_10 Depth=1
	s_delay_alu instid0(SALU_CYCLE_1) | instskip(NEXT) | instid1(VALU_DEP_1)
	s_or_b32 exec_lo, exec_lo, s3
	v_mul_f32_e32 v1, v107, v2
                                        ; implicit-def: $vgpr169
	s_delay_alu instid0(VALU_DEP_1) | instskip(NEXT) | instid1(VALU_DEP_1)
	v_and_b32_e32 v2, 0x7f800000, v1
	v_cmp_ne_u32_e64 s2, 0x7f800000, v2
	s_delay_alu instid0(VALU_DEP_1) | instskip(NEXT) | instid1(SALU_CYCLE_1)
	s_and_saveexec_b32 s3, s2
	s_xor_b32 s2, exec_lo, s3
; %bb.379:                              ;   in Loop: Header=BB430_10 Depth=1
	v_bfe_u32 v2, v1, 16, 1
	s_delay_alu instid0(VALU_DEP_1)
	v_add3_u32 v169, v1, v2, 0x7fff
                                        ; implicit-def: $vgpr1
; %bb.380:                              ;   in Loop: Header=BB430_10 Depth=1
	s_and_not1_saveexec_b32 s3, s2
; %bb.381:                              ;   in Loop: Header=BB430_10 Depth=1
	v_and_b32_e32 v2, 0xffff, v1
	v_or_b32_e32 v3, 0x10000, v1
	s_delay_alu instid0(VALU_DEP_2) | instskip(NEXT) | instid1(VALU_DEP_1)
	v_cmp_eq_u32_e64 s2, 0, v2
	v_cndmask_b32_e64 v169, v3, v1, s2
; %bb.382:                              ;   in Loop: Header=BB430_10 Depth=1
	s_or_b32 exec_lo, exec_lo, s3
	v_mov_b32_e32 v2, 0
	s_mov_b32 s3, exec_lo
	v_cmpx_lt_u32_e32 0xffffff, v0
	s_cbranch_execz .LBB430_390
; %bb.383:                              ;   in Loop: Header=BB430_10 Depth=1
	v_lshrrev_b32_e32 v1, 24, v0
	v_bfrev_b32_e32 v2, 1
	s_mov_b32 s19, exec_lo
	s_delay_alu instid0(VALU_DEP_2)
	v_cmpx_ne_u32_e32 0x80, v1
	s_cbranch_execz .LBB430_389
; %bb.384:                              ;   in Loop: Header=BB430_10 Depth=1
	v_bfe_u32 v3, v0, 24, 7
	v_mov_b32_e32 v2, 0x7f800001
	s_mov_b32 s20, exec_lo
	s_delay_alu instid0(VALU_DEP_2)
	v_cmpx_ne_u32_e32 0x7f, v3
	s_cbranch_execz .LBB430_388
; %bb.385:                              ;   in Loop: Header=BB430_10 Depth=1
	v_and_b32_e32 v20, 7, v1
	v_lshrrev_b32_e32 v0, 3, v3
	v_mov_b32_e32 v31, v21
	s_mov_b32 s21, exec_lo
	s_delay_alu instid0(VALU_DEP_3)
	v_mov_b32_e32 v30, v20
	v_cmpx_gt_u32_e32 8, v3
; %bb.386:                              ;   in Loop: Header=BB430_10 Depth=1
	v_clz_i32_u32_e32 v0, v20
	s_delay_alu instid0(VALU_DEP_1) | instskip(NEXT) | instid1(VALU_DEP_1)
	v_min_u32_e32 v0, 32, v0
	v_subrev_nc_u32_e32 v2, 28, v0
	v_sub_nc_u32_e32 v0, 29, v0
	s_delay_alu instid0(VALU_DEP_2) | instskip(NEXT) | instid1(VALU_DEP_1)
	v_lshlrev_b64 v[2:3], v2, v[20:21]
	v_and_b32_e32 v30, 7, v2
; %bb.387:                              ;   in Loop: Header=BB430_10 Depth=1
	s_or_b32 exec_lo, exec_lo, s21
	v_lshlrev_b32_e32 v1, 24, v1
	s_delay_alu instid0(VALU_DEP_2) | instskip(SKIP_1) | instid1(VALU_DEP_3)
	v_lshlrev_b32_e32 v2, 20, v30
	v_lshl_add_u32 v0, v0, 23, 0x3c000000
	v_and_b32_e32 v1, 0x80000000, v1
	s_delay_alu instid0(VALU_DEP_1)
	v_or3_b32 v2, v2, v1, v0
.LBB430_388:                            ;   in Loop: Header=BB430_10 Depth=1
	s_or_b32 exec_lo, exec_lo, s20
.LBB430_389:                            ;   in Loop: Header=BB430_10 Depth=1
	s_delay_alu instid0(SALU_CYCLE_1)
	s_or_b32 exec_lo, exec_lo, s19
.LBB430_390:                            ;   in Loop: Header=BB430_10 Depth=1
	s_delay_alu instid0(SALU_CYCLE_1) | instskip(NEXT) | instid1(VALU_DEP_1)
	s_or_b32 exec_lo, exec_lo, s3
	v_mul_f32_e32 v0, v107, v2
                                        ; implicit-def: $vgpr170
	s_delay_alu instid0(VALU_DEP_1) | instskip(NEXT) | instid1(VALU_DEP_1)
	v_and_b32_e32 v1, 0x7f800000, v0
	v_cmp_ne_u32_e64 s2, 0x7f800000, v1
	s_delay_alu instid0(VALU_DEP_1) | instskip(NEXT) | instid1(SALU_CYCLE_1)
	s_and_saveexec_b32 s3, s2
	s_xor_b32 s2, exec_lo, s3
; %bb.391:                              ;   in Loop: Header=BB430_10 Depth=1
	v_bfe_u32 v1, v0, 16, 1
	s_delay_alu instid0(VALU_DEP_1)
	v_add3_u32 v170, v0, v1, 0x7fff
                                        ; implicit-def: $vgpr0
; %bb.392:                              ;   in Loop: Header=BB430_10 Depth=1
	s_and_not1_saveexec_b32 s3, s2
; %bb.393:                              ;   in Loop: Header=BB430_10 Depth=1
	v_and_b32_e32 v1, 0xffff, v0
	v_or_b32_e32 v2, 0x10000, v0
	s_delay_alu instid0(VALU_DEP_2) | instskip(NEXT) | instid1(VALU_DEP_1)
	v_cmp_eq_u32_e64 s2, 0, v1
	v_cndmask_b32_e64 v170, v2, v0, s2
; %bb.394:                              ;   in Loop: Header=BB430_10 Depth=1
	s_or_b32 exec_lo, exec_lo, s3
	flat_load_b32 v0, v[28:29] offset:1024
	s_mov_b32 s3, exec_lo
	s_waitcnt vmcnt(0) lgkmcnt(0)
	v_dual_mov_b32 v1, 0 :: v_dual_and_b32 v2, 0xff, v0
	s_delay_alu instid0(VALU_DEP_1)
	v_cmpx_ne_u16_e32 0, v2
	s_cbranch_execz .LBB430_402
; %bb.395:                              ;   in Loop: Header=BB430_10 Depth=1
	v_bfrev_b32_e32 v1, 1
	s_mov_b32 s19, exec_lo
	v_cmpx_ne_u16_e32 0x80, v2
	s_cbranch_execz .LBB430_401
; %bb.396:                              ;   in Loop: Header=BB430_10 Depth=1
	v_and_b32_e32 v2, 0x7f, v0
	v_mov_b32_e32 v1, 0x7f800001
	s_mov_b32 s20, exec_lo
	s_delay_alu instid0(VALU_DEP_2)
	v_cmpx_ne_u32_e32 0x7f, v2
	s_cbranch_execz .LBB430_400
; %bb.397:                              ;   in Loop: Header=BB430_10 Depth=1
	v_and_b32_e32 v20, 7, v0
	v_lshrrev_b32_e32 v1, 3, v2
	v_mov_b32_e32 v31, v21
	s_mov_b32 s21, exec_lo
	s_delay_alu instid0(VALU_DEP_3)
	v_mov_b32_e32 v30, v20
	v_cmpx_gt_u32_e32 8, v2
; %bb.398:                              ;   in Loop: Header=BB430_10 Depth=1
	v_clz_i32_u32_e32 v1, v20
	s_delay_alu instid0(VALU_DEP_1) | instskip(NEXT) | instid1(VALU_DEP_1)
	v_min_u32_e32 v1, 32, v1
	v_subrev_nc_u32_e32 v2, 28, v1
	v_sub_nc_u32_e32 v1, 29, v1
	s_delay_alu instid0(VALU_DEP_2) | instskip(NEXT) | instid1(VALU_DEP_1)
	v_lshlrev_b64 v[2:3], v2, v[20:21]
	v_and_b32_e32 v30, 7, v2
; %bb.399:                              ;   in Loop: Header=BB430_10 Depth=1
	s_or_b32 exec_lo, exec_lo, s21
	v_lshlrev_b32_e32 v2, 24, v0
	s_delay_alu instid0(VALU_DEP_2) | instskip(SKIP_1) | instid1(VALU_DEP_3)
	v_lshlrev_b32_e32 v3, 20, v30
	v_lshl_add_u32 v1, v1, 23, 0x3c000000
	v_and_b32_e32 v2, 0x80000000, v2
	s_delay_alu instid0(VALU_DEP_1)
	v_or3_b32 v1, v3, v2, v1
.LBB430_400:                            ;   in Loop: Header=BB430_10 Depth=1
	s_or_b32 exec_lo, exec_lo, s20
.LBB430_401:                            ;   in Loop: Header=BB430_10 Depth=1
	s_delay_alu instid0(SALU_CYCLE_1)
	s_or_b32 exec_lo, exec_lo, s19
.LBB430_402:                            ;   in Loop: Header=BB430_10 Depth=1
	s_delay_alu instid0(SALU_CYCLE_1) | instskip(NEXT) | instid1(VALU_DEP_1)
	s_or_b32 exec_lo, exec_lo, s3
	v_mul_f32_e32 v1, v107, v1
                                        ; implicit-def: $vgpr171
	s_delay_alu instid0(VALU_DEP_1) | instskip(NEXT) | instid1(VALU_DEP_1)
	v_and_b32_e32 v2, 0x7f800000, v1
	v_cmp_ne_u32_e64 s2, 0x7f800000, v2
	s_delay_alu instid0(VALU_DEP_1) | instskip(NEXT) | instid1(SALU_CYCLE_1)
	s_and_saveexec_b32 s3, s2
	s_xor_b32 s2, exec_lo, s3
; %bb.403:                              ;   in Loop: Header=BB430_10 Depth=1
	v_bfe_u32 v2, v1, 16, 1
	s_delay_alu instid0(VALU_DEP_1)
	v_add3_u32 v171, v1, v2, 0x7fff
                                        ; implicit-def: $vgpr1
; %bb.404:                              ;   in Loop: Header=BB430_10 Depth=1
	s_and_not1_saveexec_b32 s3, s2
; %bb.405:                              ;   in Loop: Header=BB430_10 Depth=1
	v_and_b32_e32 v2, 0xffff, v1
	v_or_b32_e32 v3, 0x10000, v1
	s_delay_alu instid0(VALU_DEP_2) | instskip(NEXT) | instid1(VALU_DEP_1)
	v_cmp_eq_u32_e64 s2, 0, v2
	v_cndmask_b32_e64 v171, v3, v1, s2
; %bb.406:                              ;   in Loop: Header=BB430_10 Depth=1
	s_or_b32 exec_lo, exec_lo, s3
	v_lshrrev_b16 v2, 8, v0
	v_mov_b32_e32 v1, 0
	s_mov_b32 s3, exec_lo
	s_delay_alu instid0(VALU_DEP_2)
	v_cmpx_ne_u16_e32 0, v2
	s_cbranch_execz .LBB430_414
; %bb.407:                              ;   in Loop: Header=BB430_10 Depth=1
	v_bfrev_b32_e32 v1, 1
	s_mov_b32 s19, exec_lo
	v_cmpx_ne_u16_e32 0x80, v2
	s_cbranch_execz .LBB430_413
; %bb.408:                              ;   in Loop: Header=BB430_10 Depth=1
	v_and_b32_e32 v3, 0xffff, v2
	v_mov_b32_e32 v1, 0x7f800001
	s_mov_b32 s20, exec_lo
	s_delay_alu instid0(VALU_DEP_2) | instskip(NEXT) | instid1(VALU_DEP_1)
	v_and_b32_e32 v2, 0x7f, v3
	v_cmpx_ne_u32_e32 0x7f, v2
	s_cbranch_execz .LBB430_412
; %bb.409:                              ;   in Loop: Header=BB430_10 Depth=1
	v_and_b32_e32 v20, 7, v3
	v_lshrrev_b32_e32 v1, 3, v2
	v_mov_b32_e32 v31, v21
	s_mov_b32 s21, exec_lo
	s_delay_alu instid0(VALU_DEP_3)
	v_mov_b32_e32 v30, v20
	v_cmpx_gt_u32_e32 8, v2
; %bb.410:                              ;   in Loop: Header=BB430_10 Depth=1
	v_clz_i32_u32_e32 v1, v20
	s_delay_alu instid0(VALU_DEP_1) | instskip(NEXT) | instid1(VALU_DEP_1)
	v_min_u32_e32 v1, 32, v1
	v_subrev_nc_u32_e32 v2, 28, v1
	v_sub_nc_u32_e32 v1, 29, v1
	s_delay_alu instid0(VALU_DEP_2) | instskip(NEXT) | instid1(VALU_DEP_1)
	v_lshlrev_b64 v[2:3], v2, v[20:21]
	v_and_b32_e32 v30, 7, v2
; %bb.411:                              ;   in Loop: Header=BB430_10 Depth=1
	s_or_b32 exec_lo, exec_lo, s21
	v_lshlrev_b32_e32 v2, 16, v0
	s_delay_alu instid0(VALU_DEP_2) | instskip(SKIP_1) | instid1(VALU_DEP_3)
	v_lshlrev_b32_e32 v3, 20, v30
	v_lshl_add_u32 v1, v1, 23, 0x3c000000
	v_and_b32_e32 v2, 0x80000000, v2
	s_delay_alu instid0(VALU_DEP_1)
	v_or3_b32 v1, v3, v2, v1
.LBB430_412:                            ;   in Loop: Header=BB430_10 Depth=1
	s_or_b32 exec_lo, exec_lo, s20
.LBB430_413:                            ;   in Loop: Header=BB430_10 Depth=1
	s_delay_alu instid0(SALU_CYCLE_1)
	s_or_b32 exec_lo, exec_lo, s19
.LBB430_414:                            ;   in Loop: Header=BB430_10 Depth=1
	s_delay_alu instid0(SALU_CYCLE_1) | instskip(NEXT) | instid1(VALU_DEP_1)
	s_or_b32 exec_lo, exec_lo, s3
	v_mul_f32_e32 v1, v107, v1
                                        ; implicit-def: $vgpr172
	s_delay_alu instid0(VALU_DEP_1) | instskip(NEXT) | instid1(VALU_DEP_1)
	v_and_b32_e32 v2, 0x7f800000, v1
	v_cmp_ne_u32_e64 s2, 0x7f800000, v2
	s_delay_alu instid0(VALU_DEP_1) | instskip(NEXT) | instid1(SALU_CYCLE_1)
	s_and_saveexec_b32 s3, s2
	s_xor_b32 s2, exec_lo, s3
; %bb.415:                              ;   in Loop: Header=BB430_10 Depth=1
	v_bfe_u32 v2, v1, 16, 1
	s_delay_alu instid0(VALU_DEP_1)
	v_add3_u32 v172, v1, v2, 0x7fff
                                        ; implicit-def: $vgpr1
; %bb.416:                              ;   in Loop: Header=BB430_10 Depth=1
	s_and_not1_saveexec_b32 s3, s2
; %bb.417:                              ;   in Loop: Header=BB430_10 Depth=1
	v_and_b32_e32 v2, 0xffff, v1
	v_or_b32_e32 v3, 0x10000, v1
	s_delay_alu instid0(VALU_DEP_2) | instskip(NEXT) | instid1(VALU_DEP_1)
	v_cmp_eq_u32_e64 s2, 0, v2
	v_cndmask_b32_e64 v172, v3, v1, s2
; %bb.418:                              ;   in Loop: Header=BB430_10 Depth=1
	s_or_b32 exec_lo, exec_lo, s3
	v_lshrrev_b32_e32 v1, 16, v0
	s_mov_b32 s3, exec_lo
	s_delay_alu instid0(VALU_DEP_1) | instskip(NEXT) | instid1(VALU_DEP_1)
	v_dual_mov_b32 v2, 0 :: v_dual_and_b32 v3, 0xff, v1
	v_cmpx_ne_u16_e32 0, v3
	s_cbranch_execz .LBB430_426
; %bb.419:                              ;   in Loop: Header=BB430_10 Depth=1
	v_bfrev_b32_e32 v2, 1
	s_mov_b32 s19, exec_lo
	v_cmpx_ne_u16_e32 0x80, v3
	s_cbranch_execz .LBB430_425
; %bb.420:                              ;   in Loop: Header=BB430_10 Depth=1
	v_bfe_u32 v3, v0, 16, 7
	v_mov_b32_e32 v2, 0x7f800001
	s_mov_b32 s20, exec_lo
	s_delay_alu instid0(VALU_DEP_2)
	v_cmpx_ne_u32_e32 0x7f, v3
	s_cbranch_execz .LBB430_424
; %bb.421:                              ;   in Loop: Header=BB430_10 Depth=1
	v_and_b32_e32 v20, 7, v1
	v_lshrrev_b32_e32 v2, 3, v3
	v_mov_b32_e32 v31, v21
	s_mov_b32 s21, exec_lo
	s_delay_alu instid0(VALU_DEP_3)
	v_mov_b32_e32 v30, v20
	v_cmpx_gt_u32_e32 8, v3
; %bb.422:                              ;   in Loop: Header=BB430_10 Depth=1
	v_clz_i32_u32_e32 v2, v20
	s_delay_alu instid0(VALU_DEP_1) | instskip(NEXT) | instid1(VALU_DEP_1)
	v_min_u32_e32 v2, 32, v2
	v_subrev_nc_u32_e32 v3, 28, v2
	v_sub_nc_u32_e32 v2, 29, v2
	s_delay_alu instid0(VALU_DEP_2) | instskip(NEXT) | instid1(VALU_DEP_1)
	v_lshlrev_b64 v[3:4], v3, v[20:21]
	v_and_b32_e32 v30, 7, v3
; %bb.423:                              ;   in Loop: Header=BB430_10 Depth=1
	s_or_b32 exec_lo, exec_lo, s21
	v_lshlrev_b32_e32 v1, 24, v1
	s_delay_alu instid0(VALU_DEP_2) | instskip(SKIP_1) | instid1(VALU_DEP_3)
	v_lshlrev_b32_e32 v3, 20, v30
	v_lshl_add_u32 v2, v2, 23, 0x3c000000
	v_and_b32_e32 v1, 0x80000000, v1
	s_delay_alu instid0(VALU_DEP_1)
	v_or3_b32 v2, v3, v1, v2
.LBB430_424:                            ;   in Loop: Header=BB430_10 Depth=1
	s_or_b32 exec_lo, exec_lo, s20
.LBB430_425:                            ;   in Loop: Header=BB430_10 Depth=1
	s_delay_alu instid0(SALU_CYCLE_1)
	s_or_b32 exec_lo, exec_lo, s19
.LBB430_426:                            ;   in Loop: Header=BB430_10 Depth=1
	s_delay_alu instid0(SALU_CYCLE_1) | instskip(NEXT) | instid1(VALU_DEP_1)
	s_or_b32 exec_lo, exec_lo, s3
	v_mul_f32_e32 v1, v107, v2
                                        ; implicit-def: $vgpr173
	s_delay_alu instid0(VALU_DEP_1) | instskip(NEXT) | instid1(VALU_DEP_1)
	v_and_b32_e32 v2, 0x7f800000, v1
	v_cmp_ne_u32_e64 s2, 0x7f800000, v2
	s_delay_alu instid0(VALU_DEP_1) | instskip(NEXT) | instid1(SALU_CYCLE_1)
	s_and_saveexec_b32 s3, s2
	s_xor_b32 s2, exec_lo, s3
; %bb.427:                              ;   in Loop: Header=BB430_10 Depth=1
	v_bfe_u32 v2, v1, 16, 1
	s_delay_alu instid0(VALU_DEP_1)
	v_add3_u32 v173, v1, v2, 0x7fff
                                        ; implicit-def: $vgpr1
; %bb.428:                              ;   in Loop: Header=BB430_10 Depth=1
	s_and_not1_saveexec_b32 s3, s2
; %bb.429:                              ;   in Loop: Header=BB430_10 Depth=1
	v_and_b32_e32 v2, 0xffff, v1
	v_or_b32_e32 v3, 0x10000, v1
	s_delay_alu instid0(VALU_DEP_2) | instskip(NEXT) | instid1(VALU_DEP_1)
	v_cmp_eq_u32_e64 s2, 0, v2
	v_cndmask_b32_e64 v173, v3, v1, s2
; %bb.430:                              ;   in Loop: Header=BB430_10 Depth=1
	s_or_b32 exec_lo, exec_lo, s3
	v_mov_b32_e32 v2, 0
	s_mov_b32 s3, exec_lo
	v_cmpx_lt_u32_e32 0xffffff, v0
	s_cbranch_execz .LBB430_438
; %bb.431:                              ;   in Loop: Header=BB430_10 Depth=1
	v_lshrrev_b32_e32 v1, 24, v0
	v_bfrev_b32_e32 v2, 1
	s_mov_b32 s19, exec_lo
	s_delay_alu instid0(VALU_DEP_2)
	v_cmpx_ne_u32_e32 0x80, v1
	s_cbranch_execz .LBB430_437
; %bb.432:                              ;   in Loop: Header=BB430_10 Depth=1
	v_bfe_u32 v3, v0, 24, 7
	v_mov_b32_e32 v2, 0x7f800001
	s_mov_b32 s20, exec_lo
	s_delay_alu instid0(VALU_DEP_2)
	v_cmpx_ne_u32_e32 0x7f, v3
	s_cbranch_execz .LBB430_436
; %bb.433:                              ;   in Loop: Header=BB430_10 Depth=1
	v_and_b32_e32 v20, 7, v1
	v_lshrrev_b32_e32 v0, 3, v3
	v_mov_b32_e32 v31, v21
	s_mov_b32 s21, exec_lo
	s_delay_alu instid0(VALU_DEP_3)
	v_mov_b32_e32 v30, v20
	v_cmpx_gt_u32_e32 8, v3
; %bb.434:                              ;   in Loop: Header=BB430_10 Depth=1
	v_clz_i32_u32_e32 v0, v20
	s_delay_alu instid0(VALU_DEP_1) | instskip(NEXT) | instid1(VALU_DEP_1)
	v_min_u32_e32 v0, 32, v0
	v_subrev_nc_u32_e32 v2, 28, v0
	v_sub_nc_u32_e32 v0, 29, v0
	s_delay_alu instid0(VALU_DEP_2) | instskip(NEXT) | instid1(VALU_DEP_1)
	v_lshlrev_b64 v[2:3], v2, v[20:21]
	v_and_b32_e32 v30, 7, v2
; %bb.435:                              ;   in Loop: Header=BB430_10 Depth=1
	s_or_b32 exec_lo, exec_lo, s21
	v_lshlrev_b32_e32 v1, 24, v1
	s_delay_alu instid0(VALU_DEP_2) | instskip(SKIP_1) | instid1(VALU_DEP_3)
	v_lshlrev_b32_e32 v2, 20, v30
	v_lshl_add_u32 v0, v0, 23, 0x3c000000
	v_and_b32_e32 v1, 0x80000000, v1
	s_delay_alu instid0(VALU_DEP_1)
	v_or3_b32 v2, v2, v1, v0
.LBB430_436:                            ;   in Loop: Header=BB430_10 Depth=1
	s_or_b32 exec_lo, exec_lo, s20
.LBB430_437:                            ;   in Loop: Header=BB430_10 Depth=1
	s_delay_alu instid0(SALU_CYCLE_1)
	s_or_b32 exec_lo, exec_lo, s19
.LBB430_438:                            ;   in Loop: Header=BB430_10 Depth=1
	s_delay_alu instid0(SALU_CYCLE_1) | instskip(NEXT) | instid1(VALU_DEP_1)
	s_or_b32 exec_lo, exec_lo, s3
	v_mul_f32_e32 v0, v107, v2
                                        ; implicit-def: $vgpr174
	s_delay_alu instid0(VALU_DEP_1) | instskip(NEXT) | instid1(VALU_DEP_1)
	v_and_b32_e32 v1, 0x7f800000, v0
	v_cmp_ne_u32_e64 s2, 0x7f800000, v1
	s_delay_alu instid0(VALU_DEP_1) | instskip(NEXT) | instid1(SALU_CYCLE_1)
	s_and_saveexec_b32 s3, s2
	s_xor_b32 s2, exec_lo, s3
; %bb.439:                              ;   in Loop: Header=BB430_10 Depth=1
	v_bfe_u32 v1, v0, 16, 1
	s_delay_alu instid0(VALU_DEP_1)
	v_add3_u32 v174, v0, v1, 0x7fff
                                        ; implicit-def: $vgpr0
; %bb.440:                              ;   in Loop: Header=BB430_10 Depth=1
	s_and_not1_saveexec_b32 s3, s2
; %bb.441:                              ;   in Loop: Header=BB430_10 Depth=1
	v_and_b32_e32 v1, 0xffff, v0
	v_or_b32_e32 v2, 0x10000, v0
	s_delay_alu instid0(VALU_DEP_2) | instskip(NEXT) | instid1(VALU_DEP_1)
	v_cmp_eq_u32_e64 s2, 0, v1
	v_cndmask_b32_e64 v174, v2, v0, s2
; %bb.442:                              ;   in Loop: Header=BB430_10 Depth=1
	s_or_b32 exec_lo, exec_lo, s3
	flat_load_b32 v0, v[28:29] offset:1032
	s_mov_b32 s3, exec_lo
	s_waitcnt vmcnt(0) lgkmcnt(0)
	v_dual_mov_b32 v1, 0 :: v_dual_and_b32 v2, 0xff, v0
	s_delay_alu instid0(VALU_DEP_1)
	v_cmpx_ne_u16_e32 0, v2
	s_cbranch_execz .LBB430_450
; %bb.443:                              ;   in Loop: Header=BB430_10 Depth=1
	v_bfrev_b32_e32 v1, 1
	s_mov_b32 s19, exec_lo
	v_cmpx_ne_u16_e32 0x80, v2
	s_cbranch_execz .LBB430_449
; %bb.444:                              ;   in Loop: Header=BB430_10 Depth=1
	v_and_b32_e32 v2, 0x7f, v0
	v_mov_b32_e32 v1, 0x7f800001
	s_mov_b32 s20, exec_lo
	s_delay_alu instid0(VALU_DEP_2)
	v_cmpx_ne_u32_e32 0x7f, v2
	s_cbranch_execz .LBB430_448
; %bb.445:                              ;   in Loop: Header=BB430_10 Depth=1
	v_and_b32_e32 v20, 7, v0
	v_lshrrev_b32_e32 v1, 3, v2
	v_mov_b32_e32 v31, v21
	s_mov_b32 s21, exec_lo
	s_delay_alu instid0(VALU_DEP_3)
	v_mov_b32_e32 v30, v20
	v_cmpx_gt_u32_e32 8, v2
; %bb.446:                              ;   in Loop: Header=BB430_10 Depth=1
	v_clz_i32_u32_e32 v1, v20
	s_delay_alu instid0(VALU_DEP_1) | instskip(NEXT) | instid1(VALU_DEP_1)
	v_min_u32_e32 v1, 32, v1
	v_subrev_nc_u32_e32 v2, 28, v1
	v_sub_nc_u32_e32 v1, 29, v1
	s_delay_alu instid0(VALU_DEP_2) | instskip(NEXT) | instid1(VALU_DEP_1)
	v_lshlrev_b64 v[2:3], v2, v[20:21]
	v_and_b32_e32 v30, 7, v2
; %bb.447:                              ;   in Loop: Header=BB430_10 Depth=1
	s_or_b32 exec_lo, exec_lo, s21
	v_lshlrev_b32_e32 v2, 24, v0
	s_delay_alu instid0(VALU_DEP_2) | instskip(SKIP_1) | instid1(VALU_DEP_3)
	v_lshlrev_b32_e32 v3, 20, v30
	v_lshl_add_u32 v1, v1, 23, 0x3c000000
	v_and_b32_e32 v2, 0x80000000, v2
	s_delay_alu instid0(VALU_DEP_1)
	v_or3_b32 v1, v3, v2, v1
.LBB430_448:                            ;   in Loop: Header=BB430_10 Depth=1
	s_or_b32 exec_lo, exec_lo, s20
.LBB430_449:                            ;   in Loop: Header=BB430_10 Depth=1
	s_delay_alu instid0(SALU_CYCLE_1)
	s_or_b32 exec_lo, exec_lo, s19
.LBB430_450:                            ;   in Loop: Header=BB430_10 Depth=1
	s_delay_alu instid0(SALU_CYCLE_1) | instskip(NEXT) | instid1(VALU_DEP_1)
	s_or_b32 exec_lo, exec_lo, s3
	v_mul_f32_e32 v1, v107, v1
                                        ; implicit-def: $vgpr175
	s_delay_alu instid0(VALU_DEP_1) | instskip(NEXT) | instid1(VALU_DEP_1)
	v_and_b32_e32 v2, 0x7f800000, v1
	v_cmp_ne_u32_e64 s2, 0x7f800000, v2
	s_delay_alu instid0(VALU_DEP_1) | instskip(NEXT) | instid1(SALU_CYCLE_1)
	s_and_saveexec_b32 s3, s2
	s_xor_b32 s2, exec_lo, s3
; %bb.451:                              ;   in Loop: Header=BB430_10 Depth=1
	v_bfe_u32 v2, v1, 16, 1
	s_delay_alu instid0(VALU_DEP_1)
	v_add3_u32 v175, v1, v2, 0x7fff
                                        ; implicit-def: $vgpr1
; %bb.452:                              ;   in Loop: Header=BB430_10 Depth=1
	s_and_not1_saveexec_b32 s3, s2
; %bb.453:                              ;   in Loop: Header=BB430_10 Depth=1
	v_and_b32_e32 v2, 0xffff, v1
	v_or_b32_e32 v3, 0x10000, v1
	s_delay_alu instid0(VALU_DEP_2) | instskip(NEXT) | instid1(VALU_DEP_1)
	v_cmp_eq_u32_e64 s2, 0, v2
	v_cndmask_b32_e64 v175, v3, v1, s2
; %bb.454:                              ;   in Loop: Header=BB430_10 Depth=1
	s_or_b32 exec_lo, exec_lo, s3
	v_lshrrev_b16 v2, 8, v0
	v_mov_b32_e32 v1, 0
	s_mov_b32 s3, exec_lo
	s_delay_alu instid0(VALU_DEP_2)
	v_cmpx_ne_u16_e32 0, v2
	s_cbranch_execz .LBB430_462
; %bb.455:                              ;   in Loop: Header=BB430_10 Depth=1
	v_bfrev_b32_e32 v1, 1
	s_mov_b32 s19, exec_lo
	v_cmpx_ne_u16_e32 0x80, v2
	s_cbranch_execz .LBB430_461
; %bb.456:                              ;   in Loop: Header=BB430_10 Depth=1
	v_and_b32_e32 v3, 0xffff, v2
	v_mov_b32_e32 v1, 0x7f800001
	s_mov_b32 s20, exec_lo
	s_delay_alu instid0(VALU_DEP_2) | instskip(NEXT) | instid1(VALU_DEP_1)
	v_and_b32_e32 v2, 0x7f, v3
	v_cmpx_ne_u32_e32 0x7f, v2
	s_cbranch_execz .LBB430_460
; %bb.457:                              ;   in Loop: Header=BB430_10 Depth=1
	v_and_b32_e32 v20, 7, v3
	v_lshrrev_b32_e32 v1, 3, v2
	v_mov_b32_e32 v31, v21
	s_mov_b32 s21, exec_lo
	s_delay_alu instid0(VALU_DEP_3)
	v_mov_b32_e32 v30, v20
	v_cmpx_gt_u32_e32 8, v2
; %bb.458:                              ;   in Loop: Header=BB430_10 Depth=1
	v_clz_i32_u32_e32 v1, v20
	s_delay_alu instid0(VALU_DEP_1) | instskip(NEXT) | instid1(VALU_DEP_1)
	v_min_u32_e32 v1, 32, v1
	v_subrev_nc_u32_e32 v2, 28, v1
	v_sub_nc_u32_e32 v1, 29, v1
	s_delay_alu instid0(VALU_DEP_2) | instskip(NEXT) | instid1(VALU_DEP_1)
	v_lshlrev_b64 v[2:3], v2, v[20:21]
	v_and_b32_e32 v30, 7, v2
; %bb.459:                              ;   in Loop: Header=BB430_10 Depth=1
	s_or_b32 exec_lo, exec_lo, s21
	v_lshlrev_b32_e32 v2, 16, v0
	s_delay_alu instid0(VALU_DEP_2) | instskip(SKIP_1) | instid1(VALU_DEP_3)
	v_lshlrev_b32_e32 v3, 20, v30
	v_lshl_add_u32 v1, v1, 23, 0x3c000000
	v_and_b32_e32 v2, 0x80000000, v2
	s_delay_alu instid0(VALU_DEP_1)
	v_or3_b32 v1, v3, v2, v1
.LBB430_460:                            ;   in Loop: Header=BB430_10 Depth=1
	s_or_b32 exec_lo, exec_lo, s20
.LBB430_461:                            ;   in Loop: Header=BB430_10 Depth=1
	s_delay_alu instid0(SALU_CYCLE_1)
	s_or_b32 exec_lo, exec_lo, s19
.LBB430_462:                            ;   in Loop: Header=BB430_10 Depth=1
	s_delay_alu instid0(SALU_CYCLE_1) | instskip(NEXT) | instid1(VALU_DEP_1)
	s_or_b32 exec_lo, exec_lo, s3
	v_mul_f32_e32 v1, v107, v1
                                        ; implicit-def: $vgpr184
	s_delay_alu instid0(VALU_DEP_1) | instskip(NEXT) | instid1(VALU_DEP_1)
	v_and_b32_e32 v2, 0x7f800000, v1
	v_cmp_ne_u32_e64 s2, 0x7f800000, v2
	s_delay_alu instid0(VALU_DEP_1) | instskip(NEXT) | instid1(SALU_CYCLE_1)
	s_and_saveexec_b32 s3, s2
	s_xor_b32 s2, exec_lo, s3
; %bb.463:                              ;   in Loop: Header=BB430_10 Depth=1
	v_bfe_u32 v2, v1, 16, 1
	s_delay_alu instid0(VALU_DEP_1)
	v_add3_u32 v184, v1, v2, 0x7fff
                                        ; implicit-def: $vgpr1
; %bb.464:                              ;   in Loop: Header=BB430_10 Depth=1
	s_and_not1_saveexec_b32 s3, s2
; %bb.465:                              ;   in Loop: Header=BB430_10 Depth=1
	v_and_b32_e32 v2, 0xffff, v1
	v_or_b32_e32 v3, 0x10000, v1
	s_delay_alu instid0(VALU_DEP_2) | instskip(NEXT) | instid1(VALU_DEP_1)
	v_cmp_eq_u32_e64 s2, 0, v2
	v_cndmask_b32_e64 v184, v3, v1, s2
; %bb.466:                              ;   in Loop: Header=BB430_10 Depth=1
	s_or_b32 exec_lo, exec_lo, s3
	v_lshrrev_b32_e32 v1, 16, v0
	s_mov_b32 s3, exec_lo
	s_delay_alu instid0(VALU_DEP_1) | instskip(NEXT) | instid1(VALU_DEP_1)
	v_dual_mov_b32 v2, 0 :: v_dual_and_b32 v3, 0xff, v1
	v_cmpx_ne_u16_e32 0, v3
	s_cbranch_execz .LBB430_474
; %bb.467:                              ;   in Loop: Header=BB430_10 Depth=1
	v_bfrev_b32_e32 v2, 1
	s_mov_b32 s19, exec_lo
	v_cmpx_ne_u16_e32 0x80, v3
	s_cbranch_execz .LBB430_473
; %bb.468:                              ;   in Loop: Header=BB430_10 Depth=1
	v_bfe_u32 v3, v0, 16, 7
	v_mov_b32_e32 v2, 0x7f800001
	s_mov_b32 s20, exec_lo
	s_delay_alu instid0(VALU_DEP_2)
	v_cmpx_ne_u32_e32 0x7f, v3
	s_cbranch_execz .LBB430_472
; %bb.469:                              ;   in Loop: Header=BB430_10 Depth=1
	v_and_b32_e32 v20, 7, v1
	v_lshrrev_b32_e32 v2, 3, v3
	v_mov_b32_e32 v31, v21
	s_mov_b32 s21, exec_lo
	s_delay_alu instid0(VALU_DEP_3)
	v_mov_b32_e32 v30, v20
	v_cmpx_gt_u32_e32 8, v3
; %bb.470:                              ;   in Loop: Header=BB430_10 Depth=1
	v_clz_i32_u32_e32 v2, v20
	s_delay_alu instid0(VALU_DEP_1) | instskip(NEXT) | instid1(VALU_DEP_1)
	v_min_u32_e32 v2, 32, v2
	v_subrev_nc_u32_e32 v3, 28, v2
	v_sub_nc_u32_e32 v2, 29, v2
	s_delay_alu instid0(VALU_DEP_2) | instskip(NEXT) | instid1(VALU_DEP_1)
	v_lshlrev_b64 v[3:4], v3, v[20:21]
	v_and_b32_e32 v30, 7, v3
; %bb.471:                              ;   in Loop: Header=BB430_10 Depth=1
	s_or_b32 exec_lo, exec_lo, s21
	v_lshlrev_b32_e32 v1, 24, v1
	s_delay_alu instid0(VALU_DEP_2) | instskip(SKIP_1) | instid1(VALU_DEP_3)
	v_lshlrev_b32_e32 v3, 20, v30
	v_lshl_add_u32 v2, v2, 23, 0x3c000000
	v_and_b32_e32 v1, 0x80000000, v1
	s_delay_alu instid0(VALU_DEP_1)
	v_or3_b32 v2, v3, v1, v2
.LBB430_472:                            ;   in Loop: Header=BB430_10 Depth=1
	s_or_b32 exec_lo, exec_lo, s20
.LBB430_473:                            ;   in Loop: Header=BB430_10 Depth=1
	s_delay_alu instid0(SALU_CYCLE_1)
	s_or_b32 exec_lo, exec_lo, s19
.LBB430_474:                            ;   in Loop: Header=BB430_10 Depth=1
	s_delay_alu instid0(SALU_CYCLE_1) | instskip(NEXT) | instid1(VALU_DEP_1)
	s_or_b32 exec_lo, exec_lo, s3
	v_mul_f32_e32 v1, v107, v2
                                        ; implicit-def: $vgpr185
	s_delay_alu instid0(VALU_DEP_1) | instskip(NEXT) | instid1(VALU_DEP_1)
	v_and_b32_e32 v2, 0x7f800000, v1
	v_cmp_ne_u32_e64 s2, 0x7f800000, v2
	s_delay_alu instid0(VALU_DEP_1) | instskip(NEXT) | instid1(SALU_CYCLE_1)
	s_and_saveexec_b32 s3, s2
	s_xor_b32 s2, exec_lo, s3
; %bb.475:                              ;   in Loop: Header=BB430_10 Depth=1
	v_bfe_u32 v2, v1, 16, 1
	s_delay_alu instid0(VALU_DEP_1)
	v_add3_u32 v185, v1, v2, 0x7fff
                                        ; implicit-def: $vgpr1
; %bb.476:                              ;   in Loop: Header=BB430_10 Depth=1
	s_and_not1_saveexec_b32 s3, s2
; %bb.477:                              ;   in Loop: Header=BB430_10 Depth=1
	v_and_b32_e32 v2, 0xffff, v1
	v_or_b32_e32 v3, 0x10000, v1
	s_delay_alu instid0(VALU_DEP_2) | instskip(NEXT) | instid1(VALU_DEP_1)
	v_cmp_eq_u32_e64 s2, 0, v2
	v_cndmask_b32_e64 v185, v3, v1, s2
; %bb.478:                              ;   in Loop: Header=BB430_10 Depth=1
	s_or_b32 exec_lo, exec_lo, s3
	v_mov_b32_e32 v2, 0
	s_mov_b32 s3, exec_lo
	v_cmpx_lt_u32_e32 0xffffff, v0
	s_cbranch_execz .LBB430_486
; %bb.479:                              ;   in Loop: Header=BB430_10 Depth=1
	v_lshrrev_b32_e32 v1, 24, v0
	v_bfrev_b32_e32 v2, 1
	s_mov_b32 s19, exec_lo
	s_delay_alu instid0(VALU_DEP_2)
	v_cmpx_ne_u32_e32 0x80, v1
	s_cbranch_execz .LBB430_485
; %bb.480:                              ;   in Loop: Header=BB430_10 Depth=1
	v_bfe_u32 v3, v0, 24, 7
	v_mov_b32_e32 v2, 0x7f800001
	s_mov_b32 s20, exec_lo
	s_delay_alu instid0(VALU_DEP_2)
	v_cmpx_ne_u32_e32 0x7f, v3
	s_cbranch_execz .LBB430_484
; %bb.481:                              ;   in Loop: Header=BB430_10 Depth=1
	v_and_b32_e32 v20, 7, v1
	v_lshrrev_b32_e32 v0, 3, v3
	v_mov_b32_e32 v31, v21
	s_mov_b32 s21, exec_lo
	s_delay_alu instid0(VALU_DEP_3)
	v_mov_b32_e32 v30, v20
	v_cmpx_gt_u32_e32 8, v3
; %bb.482:                              ;   in Loop: Header=BB430_10 Depth=1
	v_clz_i32_u32_e32 v0, v20
	s_delay_alu instid0(VALU_DEP_1) | instskip(NEXT) | instid1(VALU_DEP_1)
	v_min_u32_e32 v0, 32, v0
	v_subrev_nc_u32_e32 v2, 28, v0
	v_sub_nc_u32_e32 v0, 29, v0
	s_delay_alu instid0(VALU_DEP_2) | instskip(NEXT) | instid1(VALU_DEP_1)
	v_lshlrev_b64 v[2:3], v2, v[20:21]
	v_and_b32_e32 v30, 7, v2
; %bb.483:                              ;   in Loop: Header=BB430_10 Depth=1
	s_or_b32 exec_lo, exec_lo, s21
	v_lshlrev_b32_e32 v1, 24, v1
	s_delay_alu instid0(VALU_DEP_2) | instskip(SKIP_1) | instid1(VALU_DEP_3)
	v_lshlrev_b32_e32 v2, 20, v30
	v_lshl_add_u32 v0, v0, 23, 0x3c000000
	v_and_b32_e32 v1, 0x80000000, v1
	s_delay_alu instid0(VALU_DEP_1)
	v_or3_b32 v2, v2, v1, v0
.LBB430_484:                            ;   in Loop: Header=BB430_10 Depth=1
	s_or_b32 exec_lo, exec_lo, s20
.LBB430_485:                            ;   in Loop: Header=BB430_10 Depth=1
	s_delay_alu instid0(SALU_CYCLE_1)
	s_or_b32 exec_lo, exec_lo, s19
.LBB430_486:                            ;   in Loop: Header=BB430_10 Depth=1
	s_delay_alu instid0(SALU_CYCLE_1) | instskip(NEXT) | instid1(VALU_DEP_1)
	s_or_b32 exec_lo, exec_lo, s3
	v_mul_f32_e32 v0, v107, v2
                                        ; implicit-def: $vgpr186
	s_delay_alu instid0(VALU_DEP_1) | instskip(NEXT) | instid1(VALU_DEP_1)
	v_and_b32_e32 v1, 0x7f800000, v0
	v_cmp_ne_u32_e64 s2, 0x7f800000, v1
	s_delay_alu instid0(VALU_DEP_1) | instskip(NEXT) | instid1(SALU_CYCLE_1)
	s_and_saveexec_b32 s3, s2
	s_xor_b32 s2, exec_lo, s3
; %bb.487:                              ;   in Loop: Header=BB430_10 Depth=1
	v_bfe_u32 v1, v0, 16, 1
	s_delay_alu instid0(VALU_DEP_1)
	v_add3_u32 v186, v0, v1, 0x7fff
                                        ; implicit-def: $vgpr0
; %bb.488:                              ;   in Loop: Header=BB430_10 Depth=1
	s_and_not1_saveexec_b32 s3, s2
; %bb.489:                              ;   in Loop: Header=BB430_10 Depth=1
	v_and_b32_e32 v1, 0xffff, v0
	v_or_b32_e32 v2, 0x10000, v0
	s_delay_alu instid0(VALU_DEP_2) | instskip(NEXT) | instid1(VALU_DEP_1)
	v_cmp_eq_u32_e64 s2, 0, v1
	v_cndmask_b32_e64 v186, v2, v0, s2
; %bb.490:                              ;   in Loop: Header=BB430_10 Depth=1
	s_or_b32 exec_lo, exec_lo, s3
	flat_load_b32 v0, v[28:29] offset:1280
	s_mov_b32 s3, exec_lo
	s_waitcnt vmcnt(0) lgkmcnt(0)
	v_dual_mov_b32 v1, 0 :: v_dual_and_b32 v2, 0xff, v0
	s_delay_alu instid0(VALU_DEP_1)
	v_cmpx_ne_u16_e32 0, v2
	s_cbranch_execz .LBB430_498
; %bb.491:                              ;   in Loop: Header=BB430_10 Depth=1
	v_bfrev_b32_e32 v1, 1
	s_mov_b32 s19, exec_lo
	v_cmpx_ne_u16_e32 0x80, v2
	s_cbranch_execz .LBB430_497
; %bb.492:                              ;   in Loop: Header=BB430_10 Depth=1
	v_and_b32_e32 v2, 0x7f, v0
	v_mov_b32_e32 v1, 0x7f800001
	s_mov_b32 s20, exec_lo
	s_delay_alu instid0(VALU_DEP_2)
	v_cmpx_ne_u32_e32 0x7f, v2
	s_cbranch_execz .LBB430_496
; %bb.493:                              ;   in Loop: Header=BB430_10 Depth=1
	v_and_b32_e32 v20, 7, v0
	v_lshrrev_b32_e32 v1, 3, v2
	v_mov_b32_e32 v31, v21
	s_mov_b32 s21, exec_lo
	s_delay_alu instid0(VALU_DEP_3)
	v_mov_b32_e32 v30, v20
	v_cmpx_gt_u32_e32 8, v2
; %bb.494:                              ;   in Loop: Header=BB430_10 Depth=1
	v_clz_i32_u32_e32 v1, v20
	s_delay_alu instid0(VALU_DEP_1) | instskip(NEXT) | instid1(VALU_DEP_1)
	v_min_u32_e32 v1, 32, v1
	v_subrev_nc_u32_e32 v2, 28, v1
	v_sub_nc_u32_e32 v1, 29, v1
	s_delay_alu instid0(VALU_DEP_2) | instskip(NEXT) | instid1(VALU_DEP_1)
	v_lshlrev_b64 v[2:3], v2, v[20:21]
	v_and_b32_e32 v30, 7, v2
; %bb.495:                              ;   in Loop: Header=BB430_10 Depth=1
	s_or_b32 exec_lo, exec_lo, s21
	v_lshlrev_b32_e32 v2, 24, v0
	s_delay_alu instid0(VALU_DEP_2) | instskip(SKIP_1) | instid1(VALU_DEP_3)
	v_lshlrev_b32_e32 v3, 20, v30
	v_lshl_add_u32 v1, v1, 23, 0x3c000000
	v_and_b32_e32 v2, 0x80000000, v2
	s_delay_alu instid0(VALU_DEP_1)
	v_or3_b32 v1, v3, v2, v1
.LBB430_496:                            ;   in Loop: Header=BB430_10 Depth=1
	s_or_b32 exec_lo, exec_lo, s20
.LBB430_497:                            ;   in Loop: Header=BB430_10 Depth=1
	s_delay_alu instid0(SALU_CYCLE_1)
	s_or_b32 exec_lo, exec_lo, s19
.LBB430_498:                            ;   in Loop: Header=BB430_10 Depth=1
	s_delay_alu instid0(SALU_CYCLE_1) | instskip(NEXT) | instid1(VALU_DEP_1)
	s_or_b32 exec_lo, exec_lo, s3
	v_mul_f32_e32 v1, v107, v1
                                        ; implicit-def: $vgpr187
	s_delay_alu instid0(VALU_DEP_1) | instskip(NEXT) | instid1(VALU_DEP_1)
	v_and_b32_e32 v2, 0x7f800000, v1
	v_cmp_ne_u32_e64 s2, 0x7f800000, v2
	s_delay_alu instid0(VALU_DEP_1) | instskip(NEXT) | instid1(SALU_CYCLE_1)
	s_and_saveexec_b32 s3, s2
	s_xor_b32 s2, exec_lo, s3
; %bb.499:                              ;   in Loop: Header=BB430_10 Depth=1
	v_bfe_u32 v2, v1, 16, 1
	s_delay_alu instid0(VALU_DEP_1)
	v_add3_u32 v187, v1, v2, 0x7fff
                                        ; implicit-def: $vgpr1
; %bb.500:                              ;   in Loop: Header=BB430_10 Depth=1
	s_and_not1_saveexec_b32 s3, s2
; %bb.501:                              ;   in Loop: Header=BB430_10 Depth=1
	v_and_b32_e32 v2, 0xffff, v1
	v_or_b32_e32 v3, 0x10000, v1
	s_delay_alu instid0(VALU_DEP_2) | instskip(NEXT) | instid1(VALU_DEP_1)
	v_cmp_eq_u32_e64 s2, 0, v2
	v_cndmask_b32_e64 v187, v3, v1, s2
; %bb.502:                              ;   in Loop: Header=BB430_10 Depth=1
	s_or_b32 exec_lo, exec_lo, s3
	v_lshrrev_b16 v2, 8, v0
	v_mov_b32_e32 v1, 0
	s_mov_b32 s3, exec_lo
	s_delay_alu instid0(VALU_DEP_2)
	v_cmpx_ne_u16_e32 0, v2
	s_cbranch_execz .LBB430_510
; %bb.503:                              ;   in Loop: Header=BB430_10 Depth=1
	v_bfrev_b32_e32 v1, 1
	s_mov_b32 s19, exec_lo
	v_cmpx_ne_u16_e32 0x80, v2
	s_cbranch_execz .LBB430_509
; %bb.504:                              ;   in Loop: Header=BB430_10 Depth=1
	v_and_b32_e32 v3, 0xffff, v2
	v_mov_b32_e32 v1, 0x7f800001
	s_mov_b32 s20, exec_lo
	s_delay_alu instid0(VALU_DEP_2) | instskip(NEXT) | instid1(VALU_DEP_1)
	v_and_b32_e32 v2, 0x7f, v3
	v_cmpx_ne_u32_e32 0x7f, v2
	s_cbranch_execz .LBB430_508
; %bb.505:                              ;   in Loop: Header=BB430_10 Depth=1
	v_and_b32_e32 v20, 7, v3
	v_lshrrev_b32_e32 v1, 3, v2
	v_mov_b32_e32 v31, v21
	s_mov_b32 s21, exec_lo
	s_delay_alu instid0(VALU_DEP_3)
	v_mov_b32_e32 v30, v20
	v_cmpx_gt_u32_e32 8, v2
; %bb.506:                              ;   in Loop: Header=BB430_10 Depth=1
	v_clz_i32_u32_e32 v1, v20
	s_delay_alu instid0(VALU_DEP_1) | instskip(NEXT) | instid1(VALU_DEP_1)
	v_min_u32_e32 v1, 32, v1
	v_subrev_nc_u32_e32 v2, 28, v1
	v_sub_nc_u32_e32 v1, 29, v1
	s_delay_alu instid0(VALU_DEP_2) | instskip(NEXT) | instid1(VALU_DEP_1)
	v_lshlrev_b64 v[2:3], v2, v[20:21]
	v_and_b32_e32 v30, 7, v2
; %bb.507:                              ;   in Loop: Header=BB430_10 Depth=1
	s_or_b32 exec_lo, exec_lo, s21
	v_lshlrev_b32_e32 v2, 16, v0
	s_delay_alu instid0(VALU_DEP_2) | instskip(SKIP_1) | instid1(VALU_DEP_3)
	v_lshlrev_b32_e32 v3, 20, v30
	v_lshl_add_u32 v1, v1, 23, 0x3c000000
	v_and_b32_e32 v2, 0x80000000, v2
	s_delay_alu instid0(VALU_DEP_1)
	v_or3_b32 v1, v3, v2, v1
.LBB430_508:                            ;   in Loop: Header=BB430_10 Depth=1
	s_or_b32 exec_lo, exec_lo, s20
.LBB430_509:                            ;   in Loop: Header=BB430_10 Depth=1
	s_delay_alu instid0(SALU_CYCLE_1)
	s_or_b32 exec_lo, exec_lo, s19
.LBB430_510:                            ;   in Loop: Header=BB430_10 Depth=1
	s_delay_alu instid0(SALU_CYCLE_1) | instskip(NEXT) | instid1(VALU_DEP_1)
	s_or_b32 exec_lo, exec_lo, s3
	v_mul_f32_e32 v1, v107, v1
                                        ; implicit-def: $vgpr188
	s_delay_alu instid0(VALU_DEP_1) | instskip(NEXT) | instid1(VALU_DEP_1)
	v_and_b32_e32 v2, 0x7f800000, v1
	v_cmp_ne_u32_e64 s2, 0x7f800000, v2
	s_delay_alu instid0(VALU_DEP_1) | instskip(NEXT) | instid1(SALU_CYCLE_1)
	s_and_saveexec_b32 s3, s2
	s_xor_b32 s2, exec_lo, s3
; %bb.511:                              ;   in Loop: Header=BB430_10 Depth=1
	v_bfe_u32 v2, v1, 16, 1
	s_delay_alu instid0(VALU_DEP_1)
	v_add3_u32 v188, v1, v2, 0x7fff
                                        ; implicit-def: $vgpr1
; %bb.512:                              ;   in Loop: Header=BB430_10 Depth=1
	s_and_not1_saveexec_b32 s3, s2
; %bb.513:                              ;   in Loop: Header=BB430_10 Depth=1
	v_and_b32_e32 v2, 0xffff, v1
	v_or_b32_e32 v3, 0x10000, v1
	s_delay_alu instid0(VALU_DEP_2) | instskip(NEXT) | instid1(VALU_DEP_1)
	v_cmp_eq_u32_e64 s2, 0, v2
	v_cndmask_b32_e64 v188, v3, v1, s2
; %bb.514:                              ;   in Loop: Header=BB430_10 Depth=1
	s_or_b32 exec_lo, exec_lo, s3
	v_lshrrev_b32_e32 v1, 16, v0
	s_mov_b32 s3, exec_lo
	s_delay_alu instid0(VALU_DEP_1) | instskip(NEXT) | instid1(VALU_DEP_1)
	v_dual_mov_b32 v2, 0 :: v_dual_and_b32 v3, 0xff, v1
	v_cmpx_ne_u16_e32 0, v3
	s_cbranch_execz .LBB430_522
; %bb.515:                              ;   in Loop: Header=BB430_10 Depth=1
	v_bfrev_b32_e32 v2, 1
	s_mov_b32 s19, exec_lo
	v_cmpx_ne_u16_e32 0x80, v3
	s_cbranch_execz .LBB430_521
; %bb.516:                              ;   in Loop: Header=BB430_10 Depth=1
	v_bfe_u32 v3, v0, 16, 7
	v_mov_b32_e32 v2, 0x7f800001
	s_mov_b32 s20, exec_lo
	s_delay_alu instid0(VALU_DEP_2)
	v_cmpx_ne_u32_e32 0x7f, v3
	s_cbranch_execz .LBB430_520
; %bb.517:                              ;   in Loop: Header=BB430_10 Depth=1
	v_and_b32_e32 v20, 7, v1
	v_lshrrev_b32_e32 v2, 3, v3
	v_mov_b32_e32 v31, v21
	s_mov_b32 s21, exec_lo
	s_delay_alu instid0(VALU_DEP_3)
	v_mov_b32_e32 v30, v20
	v_cmpx_gt_u32_e32 8, v3
; %bb.518:                              ;   in Loop: Header=BB430_10 Depth=1
	v_clz_i32_u32_e32 v2, v20
	s_delay_alu instid0(VALU_DEP_1) | instskip(NEXT) | instid1(VALU_DEP_1)
	v_min_u32_e32 v2, 32, v2
	v_subrev_nc_u32_e32 v3, 28, v2
	v_sub_nc_u32_e32 v2, 29, v2
	s_delay_alu instid0(VALU_DEP_2) | instskip(NEXT) | instid1(VALU_DEP_1)
	v_lshlrev_b64 v[3:4], v3, v[20:21]
	v_and_b32_e32 v30, 7, v3
; %bb.519:                              ;   in Loop: Header=BB430_10 Depth=1
	s_or_b32 exec_lo, exec_lo, s21
	v_lshlrev_b32_e32 v1, 24, v1
	s_delay_alu instid0(VALU_DEP_2) | instskip(SKIP_1) | instid1(VALU_DEP_3)
	v_lshlrev_b32_e32 v3, 20, v30
	v_lshl_add_u32 v2, v2, 23, 0x3c000000
	v_and_b32_e32 v1, 0x80000000, v1
	s_delay_alu instid0(VALU_DEP_1)
	v_or3_b32 v2, v3, v1, v2
.LBB430_520:                            ;   in Loop: Header=BB430_10 Depth=1
	s_or_b32 exec_lo, exec_lo, s20
.LBB430_521:                            ;   in Loop: Header=BB430_10 Depth=1
	s_delay_alu instid0(SALU_CYCLE_1)
	s_or_b32 exec_lo, exec_lo, s19
.LBB430_522:                            ;   in Loop: Header=BB430_10 Depth=1
	s_delay_alu instid0(SALU_CYCLE_1) | instskip(NEXT) | instid1(VALU_DEP_1)
	s_or_b32 exec_lo, exec_lo, s3
	v_mul_f32_e32 v1, v107, v2
                                        ; implicit-def: $vgpr189
	s_delay_alu instid0(VALU_DEP_1) | instskip(NEXT) | instid1(VALU_DEP_1)
	v_and_b32_e32 v2, 0x7f800000, v1
	v_cmp_ne_u32_e64 s2, 0x7f800000, v2
	s_delay_alu instid0(VALU_DEP_1) | instskip(NEXT) | instid1(SALU_CYCLE_1)
	s_and_saveexec_b32 s3, s2
	s_xor_b32 s2, exec_lo, s3
; %bb.523:                              ;   in Loop: Header=BB430_10 Depth=1
	v_bfe_u32 v2, v1, 16, 1
	s_delay_alu instid0(VALU_DEP_1)
	v_add3_u32 v189, v1, v2, 0x7fff
                                        ; implicit-def: $vgpr1
; %bb.524:                              ;   in Loop: Header=BB430_10 Depth=1
	s_and_not1_saveexec_b32 s3, s2
; %bb.525:                              ;   in Loop: Header=BB430_10 Depth=1
	v_and_b32_e32 v2, 0xffff, v1
	v_or_b32_e32 v3, 0x10000, v1
	s_delay_alu instid0(VALU_DEP_2) | instskip(NEXT) | instid1(VALU_DEP_1)
	v_cmp_eq_u32_e64 s2, 0, v2
	v_cndmask_b32_e64 v189, v3, v1, s2
; %bb.526:                              ;   in Loop: Header=BB430_10 Depth=1
	s_or_b32 exec_lo, exec_lo, s3
	v_mov_b32_e32 v2, 0
	s_mov_b32 s3, exec_lo
	v_cmpx_lt_u32_e32 0xffffff, v0
	s_cbranch_execz .LBB430_534
; %bb.527:                              ;   in Loop: Header=BB430_10 Depth=1
	v_lshrrev_b32_e32 v1, 24, v0
	v_bfrev_b32_e32 v2, 1
	s_mov_b32 s19, exec_lo
	s_delay_alu instid0(VALU_DEP_2)
	v_cmpx_ne_u32_e32 0x80, v1
	s_cbranch_execz .LBB430_533
; %bb.528:                              ;   in Loop: Header=BB430_10 Depth=1
	v_bfe_u32 v3, v0, 24, 7
	v_mov_b32_e32 v2, 0x7f800001
	s_mov_b32 s20, exec_lo
	s_delay_alu instid0(VALU_DEP_2)
	v_cmpx_ne_u32_e32 0x7f, v3
	s_cbranch_execz .LBB430_532
; %bb.529:                              ;   in Loop: Header=BB430_10 Depth=1
	v_and_b32_e32 v20, 7, v1
	v_lshrrev_b32_e32 v0, 3, v3
	v_mov_b32_e32 v31, v21
	s_mov_b32 s21, exec_lo
	s_delay_alu instid0(VALU_DEP_3)
	v_mov_b32_e32 v30, v20
	v_cmpx_gt_u32_e32 8, v3
; %bb.530:                              ;   in Loop: Header=BB430_10 Depth=1
	v_clz_i32_u32_e32 v0, v20
	s_delay_alu instid0(VALU_DEP_1) | instskip(NEXT) | instid1(VALU_DEP_1)
	v_min_u32_e32 v0, 32, v0
	v_subrev_nc_u32_e32 v2, 28, v0
	v_sub_nc_u32_e32 v0, 29, v0
	s_delay_alu instid0(VALU_DEP_2) | instskip(NEXT) | instid1(VALU_DEP_1)
	v_lshlrev_b64 v[2:3], v2, v[20:21]
	v_and_b32_e32 v30, 7, v2
; %bb.531:                              ;   in Loop: Header=BB430_10 Depth=1
	s_or_b32 exec_lo, exec_lo, s21
	v_lshlrev_b32_e32 v1, 24, v1
	s_delay_alu instid0(VALU_DEP_2) | instskip(SKIP_1) | instid1(VALU_DEP_3)
	v_lshlrev_b32_e32 v2, 20, v30
	v_lshl_add_u32 v0, v0, 23, 0x3c000000
	v_and_b32_e32 v1, 0x80000000, v1
	s_delay_alu instid0(VALU_DEP_1)
	v_or3_b32 v2, v2, v1, v0
.LBB430_532:                            ;   in Loop: Header=BB430_10 Depth=1
	s_or_b32 exec_lo, exec_lo, s20
.LBB430_533:                            ;   in Loop: Header=BB430_10 Depth=1
	s_delay_alu instid0(SALU_CYCLE_1)
	s_or_b32 exec_lo, exec_lo, s19
.LBB430_534:                            ;   in Loop: Header=BB430_10 Depth=1
	s_delay_alu instid0(SALU_CYCLE_1) | instskip(NEXT) | instid1(VALU_DEP_1)
	s_or_b32 exec_lo, exec_lo, s3
	v_mul_f32_e32 v0, v107, v2
                                        ; implicit-def: $vgpr190
	s_delay_alu instid0(VALU_DEP_1) | instskip(NEXT) | instid1(VALU_DEP_1)
	v_and_b32_e32 v1, 0x7f800000, v0
	v_cmp_ne_u32_e64 s2, 0x7f800000, v1
	s_delay_alu instid0(VALU_DEP_1) | instskip(NEXT) | instid1(SALU_CYCLE_1)
	s_and_saveexec_b32 s3, s2
	s_xor_b32 s2, exec_lo, s3
; %bb.535:                              ;   in Loop: Header=BB430_10 Depth=1
	v_bfe_u32 v1, v0, 16, 1
	s_delay_alu instid0(VALU_DEP_1)
	v_add3_u32 v190, v0, v1, 0x7fff
                                        ; implicit-def: $vgpr0
; %bb.536:                              ;   in Loop: Header=BB430_10 Depth=1
	s_and_not1_saveexec_b32 s3, s2
; %bb.537:                              ;   in Loop: Header=BB430_10 Depth=1
	v_and_b32_e32 v1, 0xffff, v0
	v_or_b32_e32 v2, 0x10000, v0
	s_delay_alu instid0(VALU_DEP_2) | instskip(NEXT) | instid1(VALU_DEP_1)
	v_cmp_eq_u32_e64 s2, 0, v1
	v_cndmask_b32_e64 v190, v2, v0, s2
; %bb.538:                              ;   in Loop: Header=BB430_10 Depth=1
	s_or_b32 exec_lo, exec_lo, s3
	flat_load_b32 v0, v[28:29] offset:1288
	s_mov_b32 s3, exec_lo
	s_waitcnt vmcnt(0) lgkmcnt(0)
	v_dual_mov_b32 v1, 0 :: v_dual_and_b32 v2, 0xff, v0
	s_delay_alu instid0(VALU_DEP_1)
	v_cmpx_ne_u16_e32 0, v2
	s_cbranch_execz .LBB430_546
; %bb.539:                              ;   in Loop: Header=BB430_10 Depth=1
	v_bfrev_b32_e32 v1, 1
	s_mov_b32 s19, exec_lo
	v_cmpx_ne_u16_e32 0x80, v2
	s_cbranch_execz .LBB430_545
; %bb.540:                              ;   in Loop: Header=BB430_10 Depth=1
	v_and_b32_e32 v2, 0x7f, v0
	v_mov_b32_e32 v1, 0x7f800001
	s_mov_b32 s20, exec_lo
	s_delay_alu instid0(VALU_DEP_2)
	v_cmpx_ne_u32_e32 0x7f, v2
	s_cbranch_execz .LBB430_544
; %bb.541:                              ;   in Loop: Header=BB430_10 Depth=1
	v_and_b32_e32 v20, 7, v0
	v_lshrrev_b32_e32 v1, 3, v2
	v_mov_b32_e32 v31, v21
	s_mov_b32 s21, exec_lo
	s_delay_alu instid0(VALU_DEP_3)
	v_mov_b32_e32 v30, v20
	v_cmpx_gt_u32_e32 8, v2
; %bb.542:                              ;   in Loop: Header=BB430_10 Depth=1
	v_clz_i32_u32_e32 v1, v20
	s_delay_alu instid0(VALU_DEP_1) | instskip(NEXT) | instid1(VALU_DEP_1)
	v_min_u32_e32 v1, 32, v1
	v_subrev_nc_u32_e32 v2, 28, v1
	v_sub_nc_u32_e32 v1, 29, v1
	s_delay_alu instid0(VALU_DEP_2) | instskip(NEXT) | instid1(VALU_DEP_1)
	v_lshlrev_b64 v[2:3], v2, v[20:21]
	v_and_b32_e32 v30, 7, v2
; %bb.543:                              ;   in Loop: Header=BB430_10 Depth=1
	s_or_b32 exec_lo, exec_lo, s21
	v_lshlrev_b32_e32 v2, 24, v0
	s_delay_alu instid0(VALU_DEP_2) | instskip(SKIP_1) | instid1(VALU_DEP_3)
	v_lshlrev_b32_e32 v3, 20, v30
	v_lshl_add_u32 v1, v1, 23, 0x3c000000
	v_and_b32_e32 v2, 0x80000000, v2
	s_delay_alu instid0(VALU_DEP_1)
	v_or3_b32 v1, v3, v2, v1
.LBB430_544:                            ;   in Loop: Header=BB430_10 Depth=1
	s_or_b32 exec_lo, exec_lo, s20
.LBB430_545:                            ;   in Loop: Header=BB430_10 Depth=1
	s_delay_alu instid0(SALU_CYCLE_1)
	s_or_b32 exec_lo, exec_lo, s19
.LBB430_546:                            ;   in Loop: Header=BB430_10 Depth=1
	s_delay_alu instid0(SALU_CYCLE_1) | instskip(NEXT) | instid1(VALU_DEP_1)
	s_or_b32 exec_lo, exec_lo, s3
	v_mul_f32_e32 v1, v107, v1
                                        ; implicit-def: $vgpr191
	s_delay_alu instid0(VALU_DEP_1) | instskip(NEXT) | instid1(VALU_DEP_1)
	v_and_b32_e32 v2, 0x7f800000, v1
	v_cmp_ne_u32_e64 s2, 0x7f800000, v2
	s_delay_alu instid0(VALU_DEP_1) | instskip(NEXT) | instid1(SALU_CYCLE_1)
	s_and_saveexec_b32 s3, s2
	s_xor_b32 s2, exec_lo, s3
; %bb.547:                              ;   in Loop: Header=BB430_10 Depth=1
	v_bfe_u32 v2, v1, 16, 1
	s_delay_alu instid0(VALU_DEP_1)
	v_add3_u32 v191, v1, v2, 0x7fff
                                        ; implicit-def: $vgpr1
; %bb.548:                              ;   in Loop: Header=BB430_10 Depth=1
	s_and_not1_saveexec_b32 s3, s2
; %bb.549:                              ;   in Loop: Header=BB430_10 Depth=1
	v_and_b32_e32 v2, 0xffff, v1
	v_or_b32_e32 v3, 0x10000, v1
	s_delay_alu instid0(VALU_DEP_2) | instskip(NEXT) | instid1(VALU_DEP_1)
	v_cmp_eq_u32_e64 s2, 0, v2
	v_cndmask_b32_e64 v191, v3, v1, s2
; %bb.550:                              ;   in Loop: Header=BB430_10 Depth=1
	s_or_b32 exec_lo, exec_lo, s3
	v_lshrrev_b16 v2, 8, v0
	v_mov_b32_e32 v1, 0
	s_mov_b32 s3, exec_lo
	s_delay_alu instid0(VALU_DEP_2)
	v_cmpx_ne_u16_e32 0, v2
	s_cbranch_execz .LBB430_558
; %bb.551:                              ;   in Loop: Header=BB430_10 Depth=1
	v_bfrev_b32_e32 v1, 1
	s_mov_b32 s19, exec_lo
	v_cmpx_ne_u16_e32 0x80, v2
	s_cbranch_execz .LBB430_557
; %bb.552:                              ;   in Loop: Header=BB430_10 Depth=1
	v_and_b32_e32 v3, 0xffff, v2
	v_mov_b32_e32 v1, 0x7f800001
	s_mov_b32 s20, exec_lo
	s_delay_alu instid0(VALU_DEP_2) | instskip(NEXT) | instid1(VALU_DEP_1)
	v_and_b32_e32 v2, 0x7f, v3
	v_cmpx_ne_u32_e32 0x7f, v2
	s_cbranch_execz .LBB430_556
; %bb.553:                              ;   in Loop: Header=BB430_10 Depth=1
	v_and_b32_e32 v20, 7, v3
	v_lshrrev_b32_e32 v1, 3, v2
	v_mov_b32_e32 v31, v21
	s_mov_b32 s21, exec_lo
	s_delay_alu instid0(VALU_DEP_3)
	v_mov_b32_e32 v30, v20
	v_cmpx_gt_u32_e32 8, v2
; %bb.554:                              ;   in Loop: Header=BB430_10 Depth=1
	v_clz_i32_u32_e32 v1, v20
	s_delay_alu instid0(VALU_DEP_1) | instskip(NEXT) | instid1(VALU_DEP_1)
	v_min_u32_e32 v1, 32, v1
	v_subrev_nc_u32_e32 v2, 28, v1
	v_sub_nc_u32_e32 v1, 29, v1
	s_delay_alu instid0(VALU_DEP_2) | instskip(NEXT) | instid1(VALU_DEP_1)
	v_lshlrev_b64 v[2:3], v2, v[20:21]
	v_and_b32_e32 v30, 7, v2
; %bb.555:                              ;   in Loop: Header=BB430_10 Depth=1
	s_or_b32 exec_lo, exec_lo, s21
	v_lshlrev_b32_e32 v2, 16, v0
	s_delay_alu instid0(VALU_DEP_2) | instskip(SKIP_1) | instid1(VALU_DEP_3)
	v_lshlrev_b32_e32 v3, 20, v30
	v_lshl_add_u32 v1, v1, 23, 0x3c000000
	v_and_b32_e32 v2, 0x80000000, v2
	s_delay_alu instid0(VALU_DEP_1)
	v_or3_b32 v1, v3, v2, v1
.LBB430_556:                            ;   in Loop: Header=BB430_10 Depth=1
	s_or_b32 exec_lo, exec_lo, s20
.LBB430_557:                            ;   in Loop: Header=BB430_10 Depth=1
	s_delay_alu instid0(SALU_CYCLE_1)
	s_or_b32 exec_lo, exec_lo, s19
.LBB430_558:                            ;   in Loop: Header=BB430_10 Depth=1
	s_delay_alu instid0(SALU_CYCLE_1) | instskip(NEXT) | instid1(VALU_DEP_1)
	s_or_b32 exec_lo, exec_lo, s3
	v_mul_f32_e32 v1, v107, v1
                                        ; implicit-def: $vgpr32
	s_delay_alu instid0(VALU_DEP_1) | instskip(NEXT) | instid1(VALU_DEP_1)
	v_and_b32_e32 v2, 0x7f800000, v1
	v_cmp_ne_u32_e64 s2, 0x7f800000, v2
	s_delay_alu instid0(VALU_DEP_1) | instskip(NEXT) | instid1(SALU_CYCLE_1)
	s_and_saveexec_b32 s3, s2
	s_xor_b32 s2, exec_lo, s3
; %bb.559:                              ;   in Loop: Header=BB430_10 Depth=1
	v_bfe_u32 v2, v1, 16, 1
	s_delay_alu instid0(VALU_DEP_1)
	v_add3_u32 v32, v1, v2, 0x7fff
                                        ; implicit-def: $vgpr1
; %bb.560:                              ;   in Loop: Header=BB430_10 Depth=1
	s_and_not1_saveexec_b32 s3, s2
; %bb.561:                              ;   in Loop: Header=BB430_10 Depth=1
	v_and_b32_e32 v2, 0xffff, v1
	v_or_b32_e32 v3, 0x10000, v1
	s_delay_alu instid0(VALU_DEP_2) | instskip(NEXT) | instid1(VALU_DEP_1)
	v_cmp_eq_u32_e64 s2, 0, v2
	v_cndmask_b32_e64 v32, v3, v1, s2
; %bb.562:                              ;   in Loop: Header=BB430_10 Depth=1
	s_or_b32 exec_lo, exec_lo, s3
	v_lshrrev_b32_e32 v1, 16, v0
	s_mov_b32 s3, exec_lo
	s_delay_alu instid0(VALU_DEP_1) | instskip(NEXT) | instid1(VALU_DEP_1)
	v_dual_mov_b32 v2, 0 :: v_dual_and_b32 v3, 0xff, v1
	v_cmpx_ne_u16_e32 0, v3
	s_cbranch_execz .LBB430_570
; %bb.563:                              ;   in Loop: Header=BB430_10 Depth=1
	v_bfrev_b32_e32 v2, 1
	s_mov_b32 s19, exec_lo
	v_cmpx_ne_u16_e32 0x80, v3
	s_cbranch_execz .LBB430_569
; %bb.564:                              ;   in Loop: Header=BB430_10 Depth=1
	v_bfe_u32 v3, v0, 16, 7
	v_mov_b32_e32 v2, 0x7f800001
	s_mov_b32 s20, exec_lo
	s_delay_alu instid0(VALU_DEP_2)
	v_cmpx_ne_u32_e32 0x7f, v3
	s_cbranch_execz .LBB430_568
; %bb.565:                              ;   in Loop: Header=BB430_10 Depth=1
	v_and_b32_e32 v20, 7, v1
	v_lshrrev_b32_e32 v2, 3, v3
	v_mov_b32_e32 v31, v21
	s_mov_b32 s21, exec_lo
	s_delay_alu instid0(VALU_DEP_3)
	v_mov_b32_e32 v30, v20
	v_cmpx_gt_u32_e32 8, v3
; %bb.566:                              ;   in Loop: Header=BB430_10 Depth=1
	v_clz_i32_u32_e32 v2, v20
	s_delay_alu instid0(VALU_DEP_1) | instskip(NEXT) | instid1(VALU_DEP_1)
	v_min_u32_e32 v2, 32, v2
	v_subrev_nc_u32_e32 v3, 28, v2
	v_sub_nc_u32_e32 v2, 29, v2
	s_delay_alu instid0(VALU_DEP_2) | instskip(NEXT) | instid1(VALU_DEP_1)
	v_lshlrev_b64 v[3:4], v3, v[20:21]
	v_and_b32_e32 v30, 7, v3
; %bb.567:                              ;   in Loop: Header=BB430_10 Depth=1
	s_or_b32 exec_lo, exec_lo, s21
	v_lshlrev_b32_e32 v1, 24, v1
	s_delay_alu instid0(VALU_DEP_2) | instskip(SKIP_1) | instid1(VALU_DEP_3)
	v_lshlrev_b32_e32 v3, 20, v30
	v_lshl_add_u32 v2, v2, 23, 0x3c000000
	v_and_b32_e32 v1, 0x80000000, v1
	s_delay_alu instid0(VALU_DEP_1)
	v_or3_b32 v2, v3, v1, v2
.LBB430_568:                            ;   in Loop: Header=BB430_10 Depth=1
	s_or_b32 exec_lo, exec_lo, s20
.LBB430_569:                            ;   in Loop: Header=BB430_10 Depth=1
	s_delay_alu instid0(SALU_CYCLE_1)
	s_or_b32 exec_lo, exec_lo, s19
.LBB430_570:                            ;   in Loop: Header=BB430_10 Depth=1
	s_delay_alu instid0(SALU_CYCLE_1) | instskip(NEXT) | instid1(VALU_DEP_1)
	s_or_b32 exec_lo, exec_lo, s3
	v_mul_f32_e32 v1, v107, v2
                                        ; implicit-def: $vgpr34
	s_delay_alu instid0(VALU_DEP_1) | instskip(NEXT) | instid1(VALU_DEP_1)
	v_and_b32_e32 v2, 0x7f800000, v1
	v_cmp_ne_u32_e64 s2, 0x7f800000, v2
	s_delay_alu instid0(VALU_DEP_1) | instskip(NEXT) | instid1(SALU_CYCLE_1)
	s_and_saveexec_b32 s3, s2
	s_xor_b32 s2, exec_lo, s3
; %bb.571:                              ;   in Loop: Header=BB430_10 Depth=1
	v_bfe_u32 v2, v1, 16, 1
	s_delay_alu instid0(VALU_DEP_1)
	v_add3_u32 v34, v1, v2, 0x7fff
                                        ; implicit-def: $vgpr1
; %bb.572:                              ;   in Loop: Header=BB430_10 Depth=1
	s_and_not1_saveexec_b32 s3, s2
; %bb.573:                              ;   in Loop: Header=BB430_10 Depth=1
	v_and_b32_e32 v2, 0xffff, v1
	v_or_b32_e32 v3, 0x10000, v1
	s_delay_alu instid0(VALU_DEP_2) | instskip(NEXT) | instid1(VALU_DEP_1)
	v_cmp_eq_u32_e64 s2, 0, v2
	v_cndmask_b32_e64 v34, v3, v1, s2
; %bb.574:                              ;   in Loop: Header=BB430_10 Depth=1
	s_or_b32 exec_lo, exec_lo, s3
	v_mov_b32_e32 v2, 0
	s_mov_b32 s3, exec_lo
	v_cmpx_lt_u32_e32 0xffffff, v0
	s_cbranch_execz .LBB430_582
; %bb.575:                              ;   in Loop: Header=BB430_10 Depth=1
	v_lshrrev_b32_e32 v1, 24, v0
	v_bfrev_b32_e32 v2, 1
	s_mov_b32 s19, exec_lo
	s_delay_alu instid0(VALU_DEP_2)
	v_cmpx_ne_u32_e32 0x80, v1
	s_cbranch_execz .LBB430_581
; %bb.576:                              ;   in Loop: Header=BB430_10 Depth=1
	v_bfe_u32 v3, v0, 24, 7
	v_mov_b32_e32 v2, 0x7f800001
	s_mov_b32 s20, exec_lo
	s_delay_alu instid0(VALU_DEP_2)
	v_cmpx_ne_u32_e32 0x7f, v3
	s_cbranch_execz .LBB430_580
; %bb.577:                              ;   in Loop: Header=BB430_10 Depth=1
	v_and_b32_e32 v20, 7, v1
	v_lshrrev_b32_e32 v0, 3, v3
	v_mov_b32_e32 v31, v21
	s_mov_b32 s21, exec_lo
	s_delay_alu instid0(VALU_DEP_3)
	v_mov_b32_e32 v30, v20
	v_cmpx_gt_u32_e32 8, v3
; %bb.578:                              ;   in Loop: Header=BB430_10 Depth=1
	v_clz_i32_u32_e32 v0, v20
	s_delay_alu instid0(VALU_DEP_1) | instskip(NEXT) | instid1(VALU_DEP_1)
	v_min_u32_e32 v0, 32, v0
	v_subrev_nc_u32_e32 v2, 28, v0
	v_sub_nc_u32_e32 v0, 29, v0
	s_delay_alu instid0(VALU_DEP_2) | instskip(NEXT) | instid1(VALU_DEP_1)
	v_lshlrev_b64 v[2:3], v2, v[20:21]
	v_and_b32_e32 v30, 7, v2
; %bb.579:                              ;   in Loop: Header=BB430_10 Depth=1
	s_or_b32 exec_lo, exec_lo, s21
	v_lshlrev_b32_e32 v1, 24, v1
	s_delay_alu instid0(VALU_DEP_2) | instskip(SKIP_1) | instid1(VALU_DEP_3)
	v_lshlrev_b32_e32 v2, 20, v30
	v_lshl_add_u32 v0, v0, 23, 0x3c000000
	v_and_b32_e32 v1, 0x80000000, v1
	s_delay_alu instid0(VALU_DEP_1)
	v_or3_b32 v2, v2, v1, v0
.LBB430_580:                            ;   in Loop: Header=BB430_10 Depth=1
	s_or_b32 exec_lo, exec_lo, s20
.LBB430_581:                            ;   in Loop: Header=BB430_10 Depth=1
	s_delay_alu instid0(SALU_CYCLE_1)
	s_or_b32 exec_lo, exec_lo, s19
.LBB430_582:                            ;   in Loop: Header=BB430_10 Depth=1
	s_delay_alu instid0(SALU_CYCLE_1) | instskip(NEXT) | instid1(VALU_DEP_1)
	s_or_b32 exec_lo, exec_lo, s3
	v_mul_f32_e32 v0, v107, v2
                                        ; implicit-def: $vgpr5
	s_delay_alu instid0(VALU_DEP_1) | instskip(NEXT) | instid1(VALU_DEP_1)
	v_and_b32_e32 v1, 0x7f800000, v0
	v_cmp_ne_u32_e64 s2, 0x7f800000, v1
	s_delay_alu instid0(VALU_DEP_1) | instskip(NEXT) | instid1(SALU_CYCLE_1)
	s_and_saveexec_b32 s3, s2
	s_xor_b32 s2, exec_lo, s3
; %bb.583:                              ;   in Loop: Header=BB430_10 Depth=1
	v_bfe_u32 v1, v0, 16, 1
	s_delay_alu instid0(VALU_DEP_1)
	v_add3_u32 v5, v0, v1, 0x7fff
                                        ; implicit-def: $vgpr0
; %bb.584:                              ;   in Loop: Header=BB430_10 Depth=1
	s_and_not1_saveexec_b32 s3, s2
; %bb.585:                              ;   in Loop: Header=BB430_10 Depth=1
	v_and_b32_e32 v1, 0xffff, v0
	v_or_b32_e32 v2, 0x10000, v0
	s_delay_alu instid0(VALU_DEP_2) | instskip(NEXT) | instid1(VALU_DEP_1)
	v_cmp_eq_u32_e64 s2, 0, v1
	v_cndmask_b32_e64 v5, v2, v0, s2
; %bb.586:                              ;   in Loop: Header=BB430_10 Depth=1
	s_or_b32 exec_lo, exec_lo, s3
	flat_load_b32 v0, v[28:29] offset:1536
	s_mov_b32 s3, exec_lo
	s_waitcnt vmcnt(0) lgkmcnt(0)
	v_dual_mov_b32 v1, 0 :: v_dual_and_b32 v2, 0xff, v0
	s_delay_alu instid0(VALU_DEP_1)
	v_cmpx_ne_u16_e32 0, v2
	s_cbranch_execz .LBB430_594
; %bb.587:                              ;   in Loop: Header=BB430_10 Depth=1
	v_bfrev_b32_e32 v1, 1
	s_mov_b32 s19, exec_lo
	v_cmpx_ne_u16_e32 0x80, v2
	s_cbranch_execz .LBB430_593
; %bb.588:                              ;   in Loop: Header=BB430_10 Depth=1
	v_and_b32_e32 v2, 0x7f, v0
	v_mov_b32_e32 v1, 0x7f800001
	s_mov_b32 s20, exec_lo
	s_delay_alu instid0(VALU_DEP_2)
	v_cmpx_ne_u32_e32 0x7f, v2
	s_cbranch_execz .LBB430_592
; %bb.589:                              ;   in Loop: Header=BB430_10 Depth=1
	v_and_b32_e32 v20, 7, v0
	v_lshrrev_b32_e32 v1, 3, v2
	v_mov_b32_e32 v31, v21
	s_mov_b32 s21, exec_lo
	s_delay_alu instid0(VALU_DEP_3)
	v_mov_b32_e32 v30, v20
	v_cmpx_gt_u32_e32 8, v2
; %bb.590:                              ;   in Loop: Header=BB430_10 Depth=1
	v_clz_i32_u32_e32 v1, v20
	s_delay_alu instid0(VALU_DEP_1) | instskip(NEXT) | instid1(VALU_DEP_1)
	v_min_u32_e32 v1, 32, v1
	v_subrev_nc_u32_e32 v2, 28, v1
	v_sub_nc_u32_e32 v1, 29, v1
	s_delay_alu instid0(VALU_DEP_2) | instskip(NEXT) | instid1(VALU_DEP_1)
	v_lshlrev_b64 v[2:3], v2, v[20:21]
	v_and_b32_e32 v30, 7, v2
; %bb.591:                              ;   in Loop: Header=BB430_10 Depth=1
	s_or_b32 exec_lo, exec_lo, s21
	v_lshlrev_b32_e32 v2, 24, v0
	s_delay_alu instid0(VALU_DEP_2) | instskip(SKIP_1) | instid1(VALU_DEP_3)
	v_lshlrev_b32_e32 v3, 20, v30
	v_lshl_add_u32 v1, v1, 23, 0x3c000000
	v_and_b32_e32 v2, 0x80000000, v2
	s_delay_alu instid0(VALU_DEP_1)
	v_or3_b32 v1, v3, v2, v1
.LBB430_592:                            ;   in Loop: Header=BB430_10 Depth=1
	s_or_b32 exec_lo, exec_lo, s20
.LBB430_593:                            ;   in Loop: Header=BB430_10 Depth=1
	s_delay_alu instid0(SALU_CYCLE_1)
	s_or_b32 exec_lo, exec_lo, s19
.LBB430_594:                            ;   in Loop: Header=BB430_10 Depth=1
	s_delay_alu instid0(SALU_CYCLE_1) | instskip(NEXT) | instid1(VALU_DEP_1)
	s_or_b32 exec_lo, exec_lo, s3
	v_mul_f32_e32 v1, v107, v1
                                        ; implicit-def: $vgpr4
	s_delay_alu instid0(VALU_DEP_1) | instskip(NEXT) | instid1(VALU_DEP_1)
	v_and_b32_e32 v2, 0x7f800000, v1
	v_cmp_ne_u32_e64 s2, 0x7f800000, v2
	s_delay_alu instid0(VALU_DEP_1) | instskip(NEXT) | instid1(SALU_CYCLE_1)
	s_and_saveexec_b32 s3, s2
	s_xor_b32 s2, exec_lo, s3
; %bb.595:                              ;   in Loop: Header=BB430_10 Depth=1
	v_bfe_u32 v2, v1, 16, 1
	s_delay_alu instid0(VALU_DEP_1)
	v_add3_u32 v4, v1, v2, 0x7fff
                                        ; implicit-def: $vgpr1
; %bb.596:                              ;   in Loop: Header=BB430_10 Depth=1
	s_and_not1_saveexec_b32 s3, s2
; %bb.597:                              ;   in Loop: Header=BB430_10 Depth=1
	v_and_b32_e32 v2, 0xffff, v1
	v_or_b32_e32 v3, 0x10000, v1
	s_delay_alu instid0(VALU_DEP_2) | instskip(NEXT) | instid1(VALU_DEP_1)
	v_cmp_eq_u32_e64 s2, 0, v2
	v_cndmask_b32_e64 v4, v3, v1, s2
; %bb.598:                              ;   in Loop: Header=BB430_10 Depth=1
	s_or_b32 exec_lo, exec_lo, s3
	v_lshrrev_b16 v2, 8, v0
	v_mov_b32_e32 v1, 0
	s_mov_b32 s3, exec_lo
	s_delay_alu instid0(VALU_DEP_2)
	v_cmpx_ne_u16_e32 0, v2
	s_cbranch_execz .LBB430_606
; %bb.599:                              ;   in Loop: Header=BB430_10 Depth=1
	v_bfrev_b32_e32 v1, 1
	s_mov_b32 s19, exec_lo
	v_cmpx_ne_u16_e32 0x80, v2
	s_cbranch_execz .LBB430_605
; %bb.600:                              ;   in Loop: Header=BB430_10 Depth=1
	v_and_b32_e32 v3, 0xffff, v2
	v_mov_b32_e32 v1, 0x7f800001
	s_mov_b32 s20, exec_lo
	s_delay_alu instid0(VALU_DEP_2) | instskip(NEXT) | instid1(VALU_DEP_1)
	v_and_b32_e32 v2, 0x7f, v3
	v_cmpx_ne_u32_e32 0x7f, v2
	s_cbranch_execz .LBB430_604
; %bb.601:                              ;   in Loop: Header=BB430_10 Depth=1
	v_and_b32_e32 v20, 7, v3
	v_lshrrev_b32_e32 v1, 3, v2
	v_mov_b32_e32 v31, v21
	s_mov_b32 s21, exec_lo
	s_delay_alu instid0(VALU_DEP_3)
	v_mov_b32_e32 v30, v20
	v_cmpx_gt_u32_e32 8, v2
; %bb.602:                              ;   in Loop: Header=BB430_10 Depth=1
	v_clz_i32_u32_e32 v1, v20
	s_delay_alu instid0(VALU_DEP_1) | instskip(NEXT) | instid1(VALU_DEP_1)
	v_min_u32_e32 v1, 32, v1
	v_subrev_nc_u32_e32 v2, 28, v1
	v_sub_nc_u32_e32 v1, 29, v1
	s_delay_alu instid0(VALU_DEP_2) | instskip(NEXT) | instid1(VALU_DEP_1)
	v_lshlrev_b64 v[2:3], v2, v[20:21]
	v_and_b32_e32 v30, 7, v2
; %bb.603:                              ;   in Loop: Header=BB430_10 Depth=1
	s_or_b32 exec_lo, exec_lo, s21
	v_lshlrev_b32_e32 v2, 16, v0
	s_delay_alu instid0(VALU_DEP_2) | instskip(SKIP_1) | instid1(VALU_DEP_3)
	v_lshlrev_b32_e32 v3, 20, v30
	v_lshl_add_u32 v1, v1, 23, 0x3c000000
	v_and_b32_e32 v2, 0x80000000, v2
	s_delay_alu instid0(VALU_DEP_1)
	v_or3_b32 v1, v3, v2, v1
.LBB430_604:                            ;   in Loop: Header=BB430_10 Depth=1
	s_or_b32 exec_lo, exec_lo, s20
.LBB430_605:                            ;   in Loop: Header=BB430_10 Depth=1
	s_delay_alu instid0(SALU_CYCLE_1)
	s_or_b32 exec_lo, exec_lo, s19
.LBB430_606:                            ;   in Loop: Header=BB430_10 Depth=1
	s_delay_alu instid0(SALU_CYCLE_1) | instskip(NEXT) | instid1(VALU_DEP_1)
	s_or_b32 exec_lo, exec_lo, s3
	v_mul_f32_e32 v1, v107, v1
                                        ; implicit-def: $vgpr36
	s_delay_alu instid0(VALU_DEP_1) | instskip(NEXT) | instid1(VALU_DEP_1)
	v_and_b32_e32 v2, 0x7f800000, v1
	v_cmp_ne_u32_e64 s2, 0x7f800000, v2
	s_delay_alu instid0(VALU_DEP_1) | instskip(NEXT) | instid1(SALU_CYCLE_1)
	s_and_saveexec_b32 s3, s2
	s_xor_b32 s2, exec_lo, s3
; %bb.607:                              ;   in Loop: Header=BB430_10 Depth=1
	v_bfe_u32 v2, v1, 16, 1
	s_delay_alu instid0(VALU_DEP_1)
	v_add3_u32 v36, v1, v2, 0x7fff
                                        ; implicit-def: $vgpr1
; %bb.608:                              ;   in Loop: Header=BB430_10 Depth=1
	s_and_not1_saveexec_b32 s3, s2
; %bb.609:                              ;   in Loop: Header=BB430_10 Depth=1
	v_and_b32_e32 v2, 0xffff, v1
	v_or_b32_e32 v3, 0x10000, v1
	s_delay_alu instid0(VALU_DEP_2) | instskip(NEXT) | instid1(VALU_DEP_1)
	v_cmp_eq_u32_e64 s2, 0, v2
	v_cndmask_b32_e64 v36, v3, v1, s2
; %bb.610:                              ;   in Loop: Header=BB430_10 Depth=1
	s_or_b32 exec_lo, exec_lo, s3
	v_lshrrev_b32_e32 v1, 16, v0
	s_mov_b32 s3, exec_lo
	s_delay_alu instid0(VALU_DEP_1) | instskip(NEXT) | instid1(VALU_DEP_1)
	v_dual_mov_b32 v2, 0 :: v_dual_and_b32 v3, 0xff, v1
	v_cmpx_ne_u16_e32 0, v3
	s_cbranch_execz .LBB430_618
; %bb.611:                              ;   in Loop: Header=BB430_10 Depth=1
	v_bfrev_b32_e32 v2, 1
	s_mov_b32 s19, exec_lo
	v_cmpx_ne_u16_e32 0x80, v3
	s_cbranch_execz .LBB430_617
; %bb.612:                              ;   in Loop: Header=BB430_10 Depth=1
	v_bfe_u32 v3, v0, 16, 7
	v_mov_b32_e32 v2, 0x7f800001
	s_mov_b32 s20, exec_lo
	s_delay_alu instid0(VALU_DEP_2)
	v_cmpx_ne_u32_e32 0x7f, v3
	s_cbranch_execz .LBB430_616
; %bb.613:                              ;   in Loop: Header=BB430_10 Depth=1
	v_and_b32_e32 v20, 7, v1
	v_lshrrev_b32_e32 v2, 3, v3
	v_mov_b32_e32 v31, v21
	s_mov_b32 s21, exec_lo
	s_delay_alu instid0(VALU_DEP_3)
	v_mov_b32_e32 v30, v20
	v_cmpx_gt_u32_e32 8, v3
; %bb.614:                              ;   in Loop: Header=BB430_10 Depth=1
	v_clz_i32_u32_e32 v2, v20
	s_delay_alu instid0(VALU_DEP_1) | instskip(NEXT) | instid1(VALU_DEP_1)
	v_min_u32_e32 v2, 32, v2
	v_subrev_nc_u32_e32 v3, 28, v2
	v_sub_nc_u32_e32 v2, 29, v2
	s_delay_alu instid0(VALU_DEP_2) | instskip(NEXT) | instid1(VALU_DEP_1)
	v_lshlrev_b64 v[6:7], v3, v[20:21]
	v_and_b32_e32 v30, 7, v6
; %bb.615:                              ;   in Loop: Header=BB430_10 Depth=1
	s_or_b32 exec_lo, exec_lo, s21
	v_lshlrev_b32_e32 v1, 24, v1
	s_delay_alu instid0(VALU_DEP_2) | instskip(SKIP_1) | instid1(VALU_DEP_3)
	v_lshlrev_b32_e32 v3, 20, v30
	v_lshl_add_u32 v2, v2, 23, 0x3c000000
	v_and_b32_e32 v1, 0x80000000, v1
	s_delay_alu instid0(VALU_DEP_1)
	v_or3_b32 v2, v3, v1, v2
.LBB430_616:                            ;   in Loop: Header=BB430_10 Depth=1
	s_or_b32 exec_lo, exec_lo, s20
.LBB430_617:                            ;   in Loop: Header=BB430_10 Depth=1
	s_delay_alu instid0(SALU_CYCLE_1)
	s_or_b32 exec_lo, exec_lo, s19
.LBB430_618:                            ;   in Loop: Header=BB430_10 Depth=1
	s_delay_alu instid0(SALU_CYCLE_1) | instskip(NEXT) | instid1(VALU_DEP_1)
	s_or_b32 exec_lo, exec_lo, s3
	v_mul_f32_e32 v1, v107, v2
                                        ; implicit-def: $vgpr51
	s_delay_alu instid0(VALU_DEP_1) | instskip(NEXT) | instid1(VALU_DEP_1)
	v_and_b32_e32 v2, 0x7f800000, v1
	v_cmp_ne_u32_e64 s2, 0x7f800000, v2
	s_delay_alu instid0(VALU_DEP_1) | instskip(NEXT) | instid1(SALU_CYCLE_1)
	s_and_saveexec_b32 s3, s2
	s_xor_b32 s2, exec_lo, s3
; %bb.619:                              ;   in Loop: Header=BB430_10 Depth=1
	v_bfe_u32 v2, v1, 16, 1
	s_delay_alu instid0(VALU_DEP_1)
	v_add3_u32 v51, v1, v2, 0x7fff
                                        ; implicit-def: $vgpr1
; %bb.620:                              ;   in Loop: Header=BB430_10 Depth=1
	s_and_not1_saveexec_b32 s3, s2
; %bb.621:                              ;   in Loop: Header=BB430_10 Depth=1
	v_and_b32_e32 v2, 0xffff, v1
	v_or_b32_e32 v3, 0x10000, v1
	s_delay_alu instid0(VALU_DEP_2) | instskip(NEXT) | instid1(VALU_DEP_1)
	v_cmp_eq_u32_e64 s2, 0, v2
	v_cndmask_b32_e64 v51, v3, v1, s2
; %bb.622:                              ;   in Loop: Header=BB430_10 Depth=1
	s_or_b32 exec_lo, exec_lo, s3
	v_mov_b32_e32 v2, 0
	s_mov_b32 s3, exec_lo
	v_cmpx_lt_u32_e32 0xffffff, v0
	s_cbranch_execz .LBB430_630
; %bb.623:                              ;   in Loop: Header=BB430_10 Depth=1
	v_lshrrev_b32_e32 v1, 24, v0
	v_bfrev_b32_e32 v2, 1
	s_mov_b32 s19, exec_lo
	s_delay_alu instid0(VALU_DEP_2)
	v_cmpx_ne_u32_e32 0x80, v1
	s_cbranch_execz .LBB430_629
; %bb.624:                              ;   in Loop: Header=BB430_10 Depth=1
	v_bfe_u32 v3, v0, 24, 7
	v_mov_b32_e32 v2, 0x7f800001
	s_mov_b32 s20, exec_lo
	s_delay_alu instid0(VALU_DEP_2)
	v_cmpx_ne_u32_e32 0x7f, v3
	s_cbranch_execz .LBB430_628
; %bb.625:                              ;   in Loop: Header=BB430_10 Depth=1
	v_and_b32_e32 v20, 7, v1
	v_lshrrev_b32_e32 v0, 3, v3
	v_mov_b32_e32 v31, v21
	s_mov_b32 s21, exec_lo
	s_delay_alu instid0(VALU_DEP_3)
	v_mov_b32_e32 v30, v20
	v_cmpx_gt_u32_e32 8, v3
; %bb.626:                              ;   in Loop: Header=BB430_10 Depth=1
	v_clz_i32_u32_e32 v0, v20
	s_delay_alu instid0(VALU_DEP_1) | instskip(NEXT) | instid1(VALU_DEP_1)
	v_min_u32_e32 v0, 32, v0
	v_subrev_nc_u32_e32 v2, 28, v0
	v_sub_nc_u32_e32 v0, 29, v0
	s_delay_alu instid0(VALU_DEP_2) | instskip(NEXT) | instid1(VALU_DEP_1)
	v_lshlrev_b64 v[2:3], v2, v[20:21]
	v_and_b32_e32 v30, 7, v2
; %bb.627:                              ;   in Loop: Header=BB430_10 Depth=1
	s_or_b32 exec_lo, exec_lo, s21
	v_lshlrev_b32_e32 v1, 24, v1
	s_delay_alu instid0(VALU_DEP_2) | instskip(SKIP_1) | instid1(VALU_DEP_3)
	v_lshlrev_b32_e32 v2, 20, v30
	v_lshl_add_u32 v0, v0, 23, 0x3c000000
	v_and_b32_e32 v1, 0x80000000, v1
	s_delay_alu instid0(VALU_DEP_1)
	v_or3_b32 v2, v2, v1, v0
.LBB430_628:                            ;   in Loop: Header=BB430_10 Depth=1
	s_or_b32 exec_lo, exec_lo, s20
.LBB430_629:                            ;   in Loop: Header=BB430_10 Depth=1
	s_delay_alu instid0(SALU_CYCLE_1)
	s_or_b32 exec_lo, exec_lo, s19
.LBB430_630:                            ;   in Loop: Header=BB430_10 Depth=1
	s_delay_alu instid0(SALU_CYCLE_1) | instskip(NEXT) | instid1(VALU_DEP_1)
	s_or_b32 exec_lo, exec_lo, s3
	v_mul_f32_e32 v0, v107, v2
                                        ; implicit-def: $vgpr12
	s_delay_alu instid0(VALU_DEP_1) | instskip(NEXT) | instid1(VALU_DEP_1)
	v_and_b32_e32 v1, 0x7f800000, v0
	v_cmp_ne_u32_e64 s2, 0x7f800000, v1
	s_delay_alu instid0(VALU_DEP_1) | instskip(NEXT) | instid1(SALU_CYCLE_1)
	s_and_saveexec_b32 s3, s2
	s_xor_b32 s2, exec_lo, s3
; %bb.631:                              ;   in Loop: Header=BB430_10 Depth=1
	v_bfe_u32 v1, v0, 16, 1
	s_delay_alu instid0(VALU_DEP_1)
	v_add3_u32 v12, v0, v1, 0x7fff
                                        ; implicit-def: $vgpr0
; %bb.632:                              ;   in Loop: Header=BB430_10 Depth=1
	s_and_not1_saveexec_b32 s3, s2
; %bb.633:                              ;   in Loop: Header=BB430_10 Depth=1
	v_and_b32_e32 v1, 0xffff, v0
	v_or_b32_e32 v2, 0x10000, v0
	s_delay_alu instid0(VALU_DEP_2) | instskip(NEXT) | instid1(VALU_DEP_1)
	v_cmp_eq_u32_e64 s2, 0, v1
	v_cndmask_b32_e64 v12, v2, v0, s2
; %bb.634:                              ;   in Loop: Header=BB430_10 Depth=1
	s_or_b32 exec_lo, exec_lo, s3
	flat_load_b32 v0, v[28:29] offset:1544
	s_mov_b32 s3, exec_lo
	s_waitcnt vmcnt(0) lgkmcnt(0)
	v_dual_mov_b32 v1, 0 :: v_dual_and_b32 v2, 0xff, v0
	s_delay_alu instid0(VALU_DEP_1)
	v_cmpx_ne_u16_e32 0, v2
	s_cbranch_execz .LBB430_642
; %bb.635:                              ;   in Loop: Header=BB430_10 Depth=1
	v_bfrev_b32_e32 v1, 1
	s_mov_b32 s19, exec_lo
	v_cmpx_ne_u16_e32 0x80, v2
	s_cbranch_execz .LBB430_641
; %bb.636:                              ;   in Loop: Header=BB430_10 Depth=1
	v_and_b32_e32 v2, 0x7f, v0
	v_mov_b32_e32 v1, 0x7f800001
	s_mov_b32 s20, exec_lo
	s_delay_alu instid0(VALU_DEP_2)
	v_cmpx_ne_u32_e32 0x7f, v2
	s_cbranch_execz .LBB430_640
; %bb.637:                              ;   in Loop: Header=BB430_10 Depth=1
	v_and_b32_e32 v20, 7, v0
	v_lshrrev_b32_e32 v1, 3, v2
	v_mov_b32_e32 v31, v21
	s_mov_b32 s21, exec_lo
	s_delay_alu instid0(VALU_DEP_3)
	v_mov_b32_e32 v30, v20
	v_cmpx_gt_u32_e32 8, v2
; %bb.638:                              ;   in Loop: Header=BB430_10 Depth=1
	v_clz_i32_u32_e32 v1, v20
	s_delay_alu instid0(VALU_DEP_1) | instskip(NEXT) | instid1(VALU_DEP_1)
	v_min_u32_e32 v1, 32, v1
	v_subrev_nc_u32_e32 v2, 28, v1
	v_sub_nc_u32_e32 v1, 29, v1
	s_delay_alu instid0(VALU_DEP_2) | instskip(NEXT) | instid1(VALU_DEP_1)
	v_lshlrev_b64 v[2:3], v2, v[20:21]
	v_and_b32_e32 v30, 7, v2
; %bb.639:                              ;   in Loop: Header=BB430_10 Depth=1
	s_or_b32 exec_lo, exec_lo, s21
	v_lshlrev_b32_e32 v2, 24, v0
	s_delay_alu instid0(VALU_DEP_2) | instskip(SKIP_1) | instid1(VALU_DEP_3)
	v_lshlrev_b32_e32 v3, 20, v30
	v_lshl_add_u32 v1, v1, 23, 0x3c000000
	v_and_b32_e32 v2, 0x80000000, v2
	s_delay_alu instid0(VALU_DEP_1)
	v_or3_b32 v1, v3, v2, v1
.LBB430_640:                            ;   in Loop: Header=BB430_10 Depth=1
	s_or_b32 exec_lo, exec_lo, s20
.LBB430_641:                            ;   in Loop: Header=BB430_10 Depth=1
	s_delay_alu instid0(SALU_CYCLE_1)
	s_or_b32 exec_lo, exec_lo, s19
.LBB430_642:                            ;   in Loop: Header=BB430_10 Depth=1
	s_delay_alu instid0(SALU_CYCLE_1) | instskip(NEXT) | instid1(VALU_DEP_1)
	s_or_b32 exec_lo, exec_lo, s3
	v_mul_f32_e32 v1, v107, v1
                                        ; implicit-def: $vgpr11
	s_delay_alu instid0(VALU_DEP_1) | instskip(NEXT) | instid1(VALU_DEP_1)
	v_and_b32_e32 v2, 0x7f800000, v1
	v_cmp_ne_u32_e64 s2, 0x7f800000, v2
	s_delay_alu instid0(VALU_DEP_1) | instskip(NEXT) | instid1(SALU_CYCLE_1)
	s_and_saveexec_b32 s3, s2
	s_xor_b32 s2, exec_lo, s3
; %bb.643:                              ;   in Loop: Header=BB430_10 Depth=1
	v_bfe_u32 v2, v1, 16, 1
	s_delay_alu instid0(VALU_DEP_1)
	v_add3_u32 v11, v1, v2, 0x7fff
                                        ; implicit-def: $vgpr1
; %bb.644:                              ;   in Loop: Header=BB430_10 Depth=1
	s_and_not1_saveexec_b32 s3, s2
; %bb.645:                              ;   in Loop: Header=BB430_10 Depth=1
	v_and_b32_e32 v2, 0xffff, v1
	v_or_b32_e32 v3, 0x10000, v1
	s_delay_alu instid0(VALU_DEP_2) | instskip(NEXT) | instid1(VALU_DEP_1)
	v_cmp_eq_u32_e64 s2, 0, v2
	v_cndmask_b32_e64 v11, v3, v1, s2
; %bb.646:                              ;   in Loop: Header=BB430_10 Depth=1
	s_or_b32 exec_lo, exec_lo, s3
	v_lshrrev_b16 v2, 8, v0
	v_mov_b32_e32 v1, 0
	s_mov_b32 s3, exec_lo
	s_delay_alu instid0(VALU_DEP_2)
	v_cmpx_ne_u16_e32 0, v2
	s_cbranch_execz .LBB430_654
; %bb.647:                              ;   in Loop: Header=BB430_10 Depth=1
	v_bfrev_b32_e32 v1, 1
	s_mov_b32 s19, exec_lo
	v_cmpx_ne_u16_e32 0x80, v2
	s_cbranch_execz .LBB430_653
; %bb.648:                              ;   in Loop: Header=BB430_10 Depth=1
	v_and_b32_e32 v3, 0xffff, v2
	v_mov_b32_e32 v1, 0x7f800001
	s_mov_b32 s20, exec_lo
	s_delay_alu instid0(VALU_DEP_2) | instskip(NEXT) | instid1(VALU_DEP_1)
	v_and_b32_e32 v2, 0x7f, v3
	v_cmpx_ne_u32_e32 0x7f, v2
	s_cbranch_execz .LBB430_652
; %bb.649:                              ;   in Loop: Header=BB430_10 Depth=1
	v_and_b32_e32 v20, 7, v3
	v_lshrrev_b32_e32 v1, 3, v2
	v_mov_b32_e32 v31, v21
	s_mov_b32 s21, exec_lo
	s_delay_alu instid0(VALU_DEP_3)
	v_mov_b32_e32 v30, v20
	v_cmpx_gt_u32_e32 8, v2
; %bb.650:                              ;   in Loop: Header=BB430_10 Depth=1
	v_clz_i32_u32_e32 v1, v20
	s_delay_alu instid0(VALU_DEP_1) | instskip(NEXT) | instid1(VALU_DEP_1)
	v_min_u32_e32 v1, 32, v1
	v_subrev_nc_u32_e32 v2, 28, v1
	v_sub_nc_u32_e32 v1, 29, v1
	s_delay_alu instid0(VALU_DEP_2) | instskip(NEXT) | instid1(VALU_DEP_1)
	v_lshlrev_b64 v[2:3], v2, v[20:21]
	v_and_b32_e32 v30, 7, v2
; %bb.651:                              ;   in Loop: Header=BB430_10 Depth=1
	s_or_b32 exec_lo, exec_lo, s21
	v_lshlrev_b32_e32 v2, 16, v0
	s_delay_alu instid0(VALU_DEP_2) | instskip(SKIP_1) | instid1(VALU_DEP_3)
	v_lshlrev_b32_e32 v3, 20, v30
	v_lshl_add_u32 v1, v1, 23, 0x3c000000
	v_and_b32_e32 v2, 0x80000000, v2
	s_delay_alu instid0(VALU_DEP_1)
	v_or3_b32 v1, v3, v2, v1
.LBB430_652:                            ;   in Loop: Header=BB430_10 Depth=1
	s_or_b32 exec_lo, exec_lo, s20
.LBB430_653:                            ;   in Loop: Header=BB430_10 Depth=1
	s_delay_alu instid0(SALU_CYCLE_1)
	s_or_b32 exec_lo, exec_lo, s19
.LBB430_654:                            ;   in Loop: Header=BB430_10 Depth=1
	s_delay_alu instid0(SALU_CYCLE_1) | instskip(NEXT) | instid1(VALU_DEP_1)
	s_or_b32 exec_lo, exec_lo, s3
	v_mul_f32_e32 v1, v107, v1
                                        ; implicit-def: $vgpr10
	s_delay_alu instid0(VALU_DEP_1) | instskip(NEXT) | instid1(VALU_DEP_1)
	v_and_b32_e32 v2, 0x7f800000, v1
	v_cmp_ne_u32_e64 s2, 0x7f800000, v2
	s_delay_alu instid0(VALU_DEP_1) | instskip(NEXT) | instid1(SALU_CYCLE_1)
	s_and_saveexec_b32 s3, s2
	s_xor_b32 s2, exec_lo, s3
; %bb.655:                              ;   in Loop: Header=BB430_10 Depth=1
	v_bfe_u32 v2, v1, 16, 1
	s_delay_alu instid0(VALU_DEP_1)
	v_add3_u32 v10, v1, v2, 0x7fff
                                        ; implicit-def: $vgpr1
; %bb.656:                              ;   in Loop: Header=BB430_10 Depth=1
	s_and_not1_saveexec_b32 s3, s2
; %bb.657:                              ;   in Loop: Header=BB430_10 Depth=1
	v_and_b32_e32 v2, 0xffff, v1
	v_or_b32_e32 v3, 0x10000, v1
	s_delay_alu instid0(VALU_DEP_2) | instskip(NEXT) | instid1(VALU_DEP_1)
	v_cmp_eq_u32_e64 s2, 0, v2
	v_cndmask_b32_e64 v10, v3, v1, s2
; %bb.658:                              ;   in Loop: Header=BB430_10 Depth=1
	s_or_b32 exec_lo, exec_lo, s3
	v_lshrrev_b32_e32 v1, 16, v0
	s_mov_b32 s3, exec_lo
	s_delay_alu instid0(VALU_DEP_1) | instskip(NEXT) | instid1(VALU_DEP_1)
	v_dual_mov_b32 v2, 0 :: v_dual_and_b32 v3, 0xff, v1
	v_cmpx_ne_u16_e32 0, v3
	s_cbranch_execz .LBB430_666
; %bb.659:                              ;   in Loop: Header=BB430_10 Depth=1
	v_bfrev_b32_e32 v2, 1
	s_mov_b32 s19, exec_lo
	v_cmpx_ne_u16_e32 0x80, v3
	s_cbranch_execz .LBB430_665
; %bb.660:                              ;   in Loop: Header=BB430_10 Depth=1
	v_bfe_u32 v3, v0, 16, 7
	v_mov_b32_e32 v2, 0x7f800001
	s_mov_b32 s20, exec_lo
	s_delay_alu instid0(VALU_DEP_2)
	v_cmpx_ne_u32_e32 0x7f, v3
	s_cbranch_execz .LBB430_664
; %bb.661:                              ;   in Loop: Header=BB430_10 Depth=1
	v_and_b32_e32 v20, 7, v1
	v_lshrrev_b32_e32 v2, 3, v3
	v_mov_b32_e32 v31, v21
	s_mov_b32 s21, exec_lo
	s_delay_alu instid0(VALU_DEP_3)
	v_mov_b32_e32 v30, v20
	v_cmpx_gt_u32_e32 8, v3
; %bb.662:                              ;   in Loop: Header=BB430_10 Depth=1
	v_clz_i32_u32_e32 v2, v20
	s_delay_alu instid0(VALU_DEP_1) | instskip(NEXT) | instid1(VALU_DEP_1)
	v_min_u32_e32 v2, 32, v2
	v_subrev_nc_u32_e32 v3, 28, v2
	v_sub_nc_u32_e32 v2, 29, v2
	s_delay_alu instid0(VALU_DEP_2) | instskip(NEXT) | instid1(VALU_DEP_1)
	v_lshlrev_b64 v[6:7], v3, v[20:21]
	v_and_b32_e32 v30, 7, v6
; %bb.663:                              ;   in Loop: Header=BB430_10 Depth=1
	s_or_b32 exec_lo, exec_lo, s21
	v_lshlrev_b32_e32 v1, 24, v1
	s_delay_alu instid0(VALU_DEP_2) | instskip(SKIP_1) | instid1(VALU_DEP_3)
	v_lshlrev_b32_e32 v3, 20, v30
	v_lshl_add_u32 v2, v2, 23, 0x3c000000
	v_and_b32_e32 v1, 0x80000000, v1
	s_delay_alu instid0(VALU_DEP_1)
	v_or3_b32 v2, v3, v1, v2
.LBB430_664:                            ;   in Loop: Header=BB430_10 Depth=1
	s_or_b32 exec_lo, exec_lo, s20
.LBB430_665:                            ;   in Loop: Header=BB430_10 Depth=1
	s_delay_alu instid0(SALU_CYCLE_1)
	s_or_b32 exec_lo, exec_lo, s19
.LBB430_666:                            ;   in Loop: Header=BB430_10 Depth=1
	s_delay_alu instid0(SALU_CYCLE_1) | instskip(NEXT) | instid1(VALU_DEP_1)
	s_or_b32 exec_lo, exec_lo, s3
	v_mul_f32_e32 v1, v107, v2
                                        ; implicit-def: $vgpr49
	s_delay_alu instid0(VALU_DEP_1) | instskip(NEXT) | instid1(VALU_DEP_1)
	v_and_b32_e32 v2, 0x7f800000, v1
	v_cmp_ne_u32_e64 s2, 0x7f800000, v2
	s_delay_alu instid0(VALU_DEP_1) | instskip(NEXT) | instid1(SALU_CYCLE_1)
	s_and_saveexec_b32 s3, s2
	s_xor_b32 s2, exec_lo, s3
; %bb.667:                              ;   in Loop: Header=BB430_10 Depth=1
	v_bfe_u32 v2, v1, 16, 1
	s_delay_alu instid0(VALU_DEP_1)
	v_add3_u32 v49, v1, v2, 0x7fff
                                        ; implicit-def: $vgpr1
; %bb.668:                              ;   in Loop: Header=BB430_10 Depth=1
	s_and_not1_saveexec_b32 s3, s2
; %bb.669:                              ;   in Loop: Header=BB430_10 Depth=1
	v_and_b32_e32 v2, 0xffff, v1
	v_or_b32_e32 v3, 0x10000, v1
	s_delay_alu instid0(VALU_DEP_2) | instskip(NEXT) | instid1(VALU_DEP_1)
	v_cmp_eq_u32_e64 s2, 0, v2
	v_cndmask_b32_e64 v49, v3, v1, s2
; %bb.670:                              ;   in Loop: Header=BB430_10 Depth=1
	s_or_b32 exec_lo, exec_lo, s3
	v_mov_b32_e32 v2, 0
	s_mov_b32 s3, exec_lo
	v_cmpx_lt_u32_e32 0xffffff, v0
	s_cbranch_execz .LBB430_678
; %bb.671:                              ;   in Loop: Header=BB430_10 Depth=1
	v_lshrrev_b32_e32 v1, 24, v0
	v_bfrev_b32_e32 v2, 1
	s_mov_b32 s19, exec_lo
	s_delay_alu instid0(VALU_DEP_2)
	v_cmpx_ne_u32_e32 0x80, v1
	s_cbranch_execz .LBB430_677
; %bb.672:                              ;   in Loop: Header=BB430_10 Depth=1
	v_bfe_u32 v3, v0, 24, 7
	v_mov_b32_e32 v2, 0x7f800001
	s_mov_b32 s20, exec_lo
	s_delay_alu instid0(VALU_DEP_2)
	v_cmpx_ne_u32_e32 0x7f, v3
	s_cbranch_execz .LBB430_676
; %bb.673:                              ;   in Loop: Header=BB430_10 Depth=1
	v_and_b32_e32 v20, 7, v1
	v_lshrrev_b32_e32 v0, 3, v3
	v_mov_b32_e32 v31, v21
	s_mov_b32 s21, exec_lo
	s_delay_alu instid0(VALU_DEP_3)
	v_mov_b32_e32 v30, v20
	v_cmpx_gt_u32_e32 8, v3
; %bb.674:                              ;   in Loop: Header=BB430_10 Depth=1
	v_clz_i32_u32_e32 v0, v20
	s_delay_alu instid0(VALU_DEP_1) | instskip(NEXT) | instid1(VALU_DEP_1)
	v_min_u32_e32 v0, 32, v0
	v_subrev_nc_u32_e32 v2, 28, v0
	v_sub_nc_u32_e32 v0, 29, v0
	s_delay_alu instid0(VALU_DEP_2) | instskip(NEXT) | instid1(VALU_DEP_1)
	v_lshlrev_b64 v[2:3], v2, v[20:21]
	v_and_b32_e32 v30, 7, v2
; %bb.675:                              ;   in Loop: Header=BB430_10 Depth=1
	s_or_b32 exec_lo, exec_lo, s21
	v_lshlrev_b32_e32 v1, 24, v1
	s_delay_alu instid0(VALU_DEP_2) | instskip(SKIP_1) | instid1(VALU_DEP_3)
	v_lshlrev_b32_e32 v2, 20, v30
	v_lshl_add_u32 v0, v0, 23, 0x3c000000
	v_and_b32_e32 v1, 0x80000000, v1
	s_delay_alu instid0(VALU_DEP_1)
	v_or3_b32 v2, v2, v1, v0
.LBB430_676:                            ;   in Loop: Header=BB430_10 Depth=1
	s_or_b32 exec_lo, exec_lo, s20
.LBB430_677:                            ;   in Loop: Header=BB430_10 Depth=1
	s_delay_alu instid0(SALU_CYCLE_1)
	s_or_b32 exec_lo, exec_lo, s19
.LBB430_678:                            ;   in Loop: Header=BB430_10 Depth=1
	s_delay_alu instid0(SALU_CYCLE_1) | instskip(NEXT) | instid1(VALU_DEP_1)
	s_or_b32 exec_lo, exec_lo, s3
	v_mul_f32_e32 v0, v107, v2
                                        ; implicit-def: $vgpr6
	s_delay_alu instid0(VALU_DEP_1) | instskip(NEXT) | instid1(VALU_DEP_1)
	v_and_b32_e32 v1, 0x7f800000, v0
	v_cmp_ne_u32_e64 s2, 0x7f800000, v1
	s_delay_alu instid0(VALU_DEP_1) | instskip(NEXT) | instid1(SALU_CYCLE_1)
	s_and_saveexec_b32 s3, s2
	s_xor_b32 s2, exec_lo, s3
; %bb.679:                              ;   in Loop: Header=BB430_10 Depth=1
	v_bfe_u32 v1, v0, 16, 1
	s_delay_alu instid0(VALU_DEP_1)
	v_add3_u32 v6, v0, v1, 0x7fff
                                        ; implicit-def: $vgpr0
; %bb.680:                              ;   in Loop: Header=BB430_10 Depth=1
	s_and_not1_saveexec_b32 s3, s2
; %bb.681:                              ;   in Loop: Header=BB430_10 Depth=1
	v_and_b32_e32 v1, 0xffff, v0
	v_or_b32_e32 v2, 0x10000, v0
	s_delay_alu instid0(VALU_DEP_2) | instskip(NEXT) | instid1(VALU_DEP_1)
	v_cmp_eq_u32_e64 s2, 0, v1
	v_cndmask_b32_e64 v6, v2, v0, s2
; %bb.682:                              ;   in Loop: Header=BB430_10 Depth=1
	s_or_b32 exec_lo, exec_lo, s3
	flat_load_b32 v0, v[28:29] offset:1792
	s_mov_b32 s3, exec_lo
	s_waitcnt vmcnt(0) lgkmcnt(0)
	v_dual_mov_b32 v1, 0 :: v_dual_and_b32 v2, 0xff, v0
	s_delay_alu instid0(VALU_DEP_1)
	v_cmpx_ne_u16_e32 0, v2
	s_cbranch_execz .LBB430_690
; %bb.683:                              ;   in Loop: Header=BB430_10 Depth=1
	v_bfrev_b32_e32 v1, 1
	s_mov_b32 s19, exec_lo
	v_cmpx_ne_u16_e32 0x80, v2
	s_cbranch_execz .LBB430_689
; %bb.684:                              ;   in Loop: Header=BB430_10 Depth=1
	v_and_b32_e32 v2, 0x7f, v0
	v_mov_b32_e32 v1, 0x7f800001
	s_mov_b32 s20, exec_lo
	s_delay_alu instid0(VALU_DEP_2)
	v_cmpx_ne_u32_e32 0x7f, v2
	s_cbranch_execz .LBB430_688
; %bb.685:                              ;   in Loop: Header=BB430_10 Depth=1
	v_and_b32_e32 v20, 7, v0
	v_lshrrev_b32_e32 v1, 3, v2
	v_mov_b32_e32 v31, v21
	s_mov_b32 s21, exec_lo
	s_delay_alu instid0(VALU_DEP_3)
	v_mov_b32_e32 v30, v20
	v_cmpx_gt_u32_e32 8, v2
; %bb.686:                              ;   in Loop: Header=BB430_10 Depth=1
	v_clz_i32_u32_e32 v1, v20
	s_delay_alu instid0(VALU_DEP_1) | instskip(NEXT) | instid1(VALU_DEP_1)
	v_min_u32_e32 v1, 32, v1
	v_subrev_nc_u32_e32 v2, 28, v1
	v_sub_nc_u32_e32 v1, 29, v1
	s_delay_alu instid0(VALU_DEP_2) | instskip(NEXT) | instid1(VALU_DEP_1)
	v_lshlrev_b64 v[2:3], v2, v[20:21]
	v_and_b32_e32 v30, 7, v2
; %bb.687:                              ;   in Loop: Header=BB430_10 Depth=1
	s_or_b32 exec_lo, exec_lo, s21
	v_lshlrev_b32_e32 v2, 24, v0
	s_delay_alu instid0(VALU_DEP_2) | instskip(SKIP_1) | instid1(VALU_DEP_3)
	v_lshlrev_b32_e32 v3, 20, v30
	v_lshl_add_u32 v1, v1, 23, 0x3c000000
	v_and_b32_e32 v2, 0x80000000, v2
	s_delay_alu instid0(VALU_DEP_1)
	v_or3_b32 v1, v3, v2, v1
.LBB430_688:                            ;   in Loop: Header=BB430_10 Depth=1
	s_or_b32 exec_lo, exec_lo, s20
.LBB430_689:                            ;   in Loop: Header=BB430_10 Depth=1
	s_delay_alu instid0(SALU_CYCLE_1)
	s_or_b32 exec_lo, exec_lo, s19
.LBB430_690:                            ;   in Loop: Header=BB430_10 Depth=1
	s_delay_alu instid0(SALU_CYCLE_1) | instskip(NEXT) | instid1(VALU_DEP_1)
	s_or_b32 exec_lo, exec_lo, s3
	v_mul_f32_e32 v1, v107, v1
                                        ; implicit-def: $vgpr7
	s_delay_alu instid0(VALU_DEP_1) | instskip(NEXT) | instid1(VALU_DEP_1)
	v_and_b32_e32 v2, 0x7f800000, v1
	v_cmp_ne_u32_e64 s2, 0x7f800000, v2
	s_delay_alu instid0(VALU_DEP_1) | instskip(NEXT) | instid1(SALU_CYCLE_1)
	s_and_saveexec_b32 s3, s2
	s_xor_b32 s2, exec_lo, s3
; %bb.691:                              ;   in Loop: Header=BB430_10 Depth=1
	v_bfe_u32 v2, v1, 16, 1
	s_delay_alu instid0(VALU_DEP_1)
	v_add3_u32 v7, v1, v2, 0x7fff
                                        ; implicit-def: $vgpr1
; %bb.692:                              ;   in Loop: Header=BB430_10 Depth=1
	s_and_not1_saveexec_b32 s3, s2
; %bb.693:                              ;   in Loop: Header=BB430_10 Depth=1
	v_and_b32_e32 v2, 0xffff, v1
	v_or_b32_e32 v3, 0x10000, v1
	s_delay_alu instid0(VALU_DEP_2) | instskip(NEXT) | instid1(VALU_DEP_1)
	v_cmp_eq_u32_e64 s2, 0, v2
	v_cndmask_b32_e64 v7, v3, v1, s2
; %bb.694:                              ;   in Loop: Header=BB430_10 Depth=1
	s_or_b32 exec_lo, exec_lo, s3
	v_lshrrev_b16 v2, 8, v0
	v_mov_b32_e32 v1, 0
	s_mov_b32 s3, exec_lo
	s_delay_alu instid0(VALU_DEP_2)
	v_cmpx_ne_u16_e32 0, v2
	s_cbranch_execz .LBB430_702
; %bb.695:                              ;   in Loop: Header=BB430_10 Depth=1
	v_bfrev_b32_e32 v1, 1
	s_mov_b32 s19, exec_lo
	v_cmpx_ne_u16_e32 0x80, v2
	s_cbranch_execz .LBB430_701
; %bb.696:                              ;   in Loop: Header=BB430_10 Depth=1
	v_and_b32_e32 v3, 0xffff, v2
	v_mov_b32_e32 v1, 0x7f800001
	s_mov_b32 s20, exec_lo
	s_delay_alu instid0(VALU_DEP_2) | instskip(NEXT) | instid1(VALU_DEP_1)
	v_and_b32_e32 v2, 0x7f, v3
	v_cmpx_ne_u32_e32 0x7f, v2
	s_cbranch_execz .LBB430_700
; %bb.697:                              ;   in Loop: Header=BB430_10 Depth=1
	v_and_b32_e32 v20, 7, v3
	v_lshrrev_b32_e32 v1, 3, v2
	v_mov_b32_e32 v31, v21
	s_mov_b32 s21, exec_lo
	s_delay_alu instid0(VALU_DEP_3)
	v_mov_b32_e32 v30, v20
	v_cmpx_gt_u32_e32 8, v2
; %bb.698:                              ;   in Loop: Header=BB430_10 Depth=1
	v_clz_i32_u32_e32 v1, v20
	s_delay_alu instid0(VALU_DEP_1) | instskip(NEXT) | instid1(VALU_DEP_1)
	v_min_u32_e32 v1, 32, v1
	v_subrev_nc_u32_e32 v2, 28, v1
	v_sub_nc_u32_e32 v1, 29, v1
	s_delay_alu instid0(VALU_DEP_2) | instskip(NEXT) | instid1(VALU_DEP_1)
	v_lshlrev_b64 v[2:3], v2, v[20:21]
	v_and_b32_e32 v30, 7, v2
; %bb.699:                              ;   in Loop: Header=BB430_10 Depth=1
	s_or_b32 exec_lo, exec_lo, s21
	v_lshlrev_b32_e32 v2, 16, v0
	s_delay_alu instid0(VALU_DEP_2) | instskip(SKIP_1) | instid1(VALU_DEP_3)
	v_lshlrev_b32_e32 v3, 20, v30
	v_lshl_add_u32 v1, v1, 23, 0x3c000000
	v_and_b32_e32 v2, 0x80000000, v2
	s_delay_alu instid0(VALU_DEP_1)
	v_or3_b32 v1, v3, v2, v1
.LBB430_700:                            ;   in Loop: Header=BB430_10 Depth=1
	s_or_b32 exec_lo, exec_lo, s20
.LBB430_701:                            ;   in Loop: Header=BB430_10 Depth=1
	s_delay_alu instid0(SALU_CYCLE_1)
	s_or_b32 exec_lo, exec_lo, s19
.LBB430_702:                            ;   in Loop: Header=BB430_10 Depth=1
	s_delay_alu instid0(SALU_CYCLE_1) | instskip(NEXT) | instid1(VALU_DEP_1)
	s_or_b32 exec_lo, exec_lo, s3
	v_mul_f32_e32 v1, v107, v1
	s_delay_alu instid0(VALU_DEP_1) | instskip(NEXT) | instid1(VALU_DEP_1)
	v_and_b32_e32 v2, 0x7f800000, v1
	v_cmp_ne_u32_e64 s2, 0x7f800000, v2
                                        ; implicit-def: $vgpr2
	s_delay_alu instid0(VALU_DEP_1) | instskip(NEXT) | instid1(SALU_CYCLE_1)
	s_and_saveexec_b32 s3, s2
	s_xor_b32 s2, exec_lo, s3
; %bb.703:                              ;   in Loop: Header=BB430_10 Depth=1
	v_bfe_u32 v2, v1, 16, 1
	s_delay_alu instid0(VALU_DEP_1)
	v_add3_u32 v2, v1, v2, 0x7fff
                                        ; implicit-def: $vgpr1
; %bb.704:                              ;   in Loop: Header=BB430_10 Depth=1
	s_and_not1_saveexec_b32 s3, s2
; %bb.705:                              ;   in Loop: Header=BB430_10 Depth=1
	v_and_b32_e32 v2, 0xffff, v1
	v_or_b32_e32 v3, 0x10000, v1
	s_delay_alu instid0(VALU_DEP_2) | instskip(NEXT) | instid1(VALU_DEP_1)
	v_cmp_eq_u32_e64 s2, 0, v2
	v_cndmask_b32_e64 v2, v3, v1, s2
; %bb.706:                              ;   in Loop: Header=BB430_10 Depth=1
	s_or_b32 exec_lo, exec_lo, s3
	v_lshrrev_b32_e32 v1, 16, v0
	s_mov_b32 s3, exec_lo
	s_delay_alu instid0(VALU_DEP_1) | instskip(NEXT) | instid1(VALU_DEP_1)
	v_dual_mov_b32 v3, 0 :: v_dual_and_b32 v14, 0xff, v1
	v_cmpx_ne_u16_e32 0, v14
	s_cbranch_execz .LBB430_714
; %bb.707:                              ;   in Loop: Header=BB430_10 Depth=1
	v_bfrev_b32_e32 v3, 1
	s_mov_b32 s19, exec_lo
	v_cmpx_ne_u16_e32 0x80, v14
	s_cbranch_execz .LBB430_713
; %bb.708:                              ;   in Loop: Header=BB430_10 Depth=1
	v_bfe_u32 v14, v0, 16, 7
	v_mov_b32_e32 v3, 0x7f800001
	s_mov_b32 s20, exec_lo
	s_delay_alu instid0(VALU_DEP_2)
	v_cmpx_ne_u32_e32 0x7f, v14
	s_cbranch_execz .LBB430_712
; %bb.709:                              ;   in Loop: Header=BB430_10 Depth=1
	v_and_b32_e32 v20, 7, v1
	v_lshrrev_b32_e32 v3, 3, v14
	v_mov_b32_e32 v31, v21
	s_mov_b32 s21, exec_lo
	s_delay_alu instid0(VALU_DEP_3)
	v_mov_b32_e32 v30, v20
	v_cmpx_gt_u32_e32 8, v14
; %bb.710:                              ;   in Loop: Header=BB430_10 Depth=1
	v_clz_i32_u32_e32 v3, v20
	s_delay_alu instid0(VALU_DEP_1) | instskip(NEXT) | instid1(VALU_DEP_1)
	v_min_u32_e32 v3, 32, v3
	v_subrev_nc_u32_e32 v14, 28, v3
	v_sub_nc_u32_e32 v3, 29, v3
	s_delay_alu instid0(VALU_DEP_2) | instskip(NEXT) | instid1(VALU_DEP_1)
	v_lshlrev_b64 v[14:15], v14, v[20:21]
	v_and_b32_e32 v30, 7, v14
; %bb.711:                              ;   in Loop: Header=BB430_10 Depth=1
	s_or_b32 exec_lo, exec_lo, s21
	v_lshlrev_b32_e32 v1, 24, v1
	s_delay_alu instid0(VALU_DEP_2) | instskip(SKIP_1) | instid1(VALU_DEP_3)
	v_lshlrev_b32_e32 v14, 20, v30
	v_lshl_add_u32 v3, v3, 23, 0x3c000000
	v_and_b32_e32 v1, 0x80000000, v1
	s_delay_alu instid0(VALU_DEP_1)
	v_or3_b32 v3, v14, v1, v3
.LBB430_712:                            ;   in Loop: Header=BB430_10 Depth=1
	s_or_b32 exec_lo, exec_lo, s20
.LBB430_713:                            ;   in Loop: Header=BB430_10 Depth=1
	s_delay_alu instid0(SALU_CYCLE_1)
	s_or_b32 exec_lo, exec_lo, s19
.LBB430_714:                            ;   in Loop: Header=BB430_10 Depth=1
	s_delay_alu instid0(SALU_CYCLE_1) | instskip(NEXT) | instid1(VALU_DEP_1)
	s_or_b32 exec_lo, exec_lo, s3
	v_mul_f32_e32 v1, v107, v3
	s_delay_alu instid0(VALU_DEP_1) | instskip(NEXT) | instid1(VALU_DEP_1)
	v_and_b32_e32 v3, 0x7f800000, v1
	v_cmp_ne_u32_e64 s2, 0x7f800000, v3
                                        ; implicit-def: $vgpr3
	s_delay_alu instid0(VALU_DEP_1) | instskip(NEXT) | instid1(SALU_CYCLE_1)
	s_and_saveexec_b32 s3, s2
	s_xor_b32 s2, exec_lo, s3
; %bb.715:                              ;   in Loop: Header=BB430_10 Depth=1
	v_bfe_u32 v3, v1, 16, 1
	s_delay_alu instid0(VALU_DEP_1)
	v_add3_u32 v3, v1, v3, 0x7fff
                                        ; implicit-def: $vgpr1
; %bb.716:                              ;   in Loop: Header=BB430_10 Depth=1
	s_and_not1_saveexec_b32 s3, s2
; %bb.717:                              ;   in Loop: Header=BB430_10 Depth=1
	v_and_b32_e32 v3, 0xffff, v1
	v_or_b32_e32 v14, 0x10000, v1
	s_delay_alu instid0(VALU_DEP_2) | instskip(NEXT) | instid1(VALU_DEP_1)
	v_cmp_eq_u32_e64 s2, 0, v3
	v_cndmask_b32_e64 v3, v14, v1, s2
; %bb.718:                              ;   in Loop: Header=BB430_10 Depth=1
	s_or_b32 exec_lo, exec_lo, s3
	v_mov_b32_e32 v14, 0
	s_mov_b32 s3, exec_lo
	v_cmpx_lt_u32_e32 0xffffff, v0
	s_cbranch_execz .LBB430_726
; %bb.719:                              ;   in Loop: Header=BB430_10 Depth=1
	v_lshrrev_b32_e32 v1, 24, v0
	v_bfrev_b32_e32 v14, 1
	s_mov_b32 s19, exec_lo
	s_delay_alu instid0(VALU_DEP_2)
	v_cmpx_ne_u32_e32 0x80, v1
	s_cbranch_execz .LBB430_725
; %bb.720:                              ;   in Loop: Header=BB430_10 Depth=1
	v_bfe_u32 v15, v0, 24, 7
	v_mov_b32_e32 v14, 0x7f800001
	s_mov_b32 s20, exec_lo
	s_delay_alu instid0(VALU_DEP_2)
	v_cmpx_ne_u32_e32 0x7f, v15
	s_cbranch_execz .LBB430_724
; %bb.721:                              ;   in Loop: Header=BB430_10 Depth=1
	v_and_b32_e32 v20, 7, v1
	v_lshrrev_b32_e32 v0, 3, v15
	v_mov_b32_e32 v31, v21
	s_mov_b32 s21, exec_lo
	s_delay_alu instid0(VALU_DEP_3)
	v_mov_b32_e32 v30, v20
	v_cmpx_gt_u32_e32 8, v15
; %bb.722:                              ;   in Loop: Header=BB430_10 Depth=1
	v_clz_i32_u32_e32 v0, v20
	s_delay_alu instid0(VALU_DEP_1) | instskip(NEXT) | instid1(VALU_DEP_1)
	v_min_u32_e32 v0, 32, v0
	v_subrev_nc_u32_e32 v14, 28, v0
	v_sub_nc_u32_e32 v0, 29, v0
	s_delay_alu instid0(VALU_DEP_2) | instskip(NEXT) | instid1(VALU_DEP_1)
	v_lshlrev_b64 v[14:15], v14, v[20:21]
	v_and_b32_e32 v30, 7, v14
; %bb.723:                              ;   in Loop: Header=BB430_10 Depth=1
	s_or_b32 exec_lo, exec_lo, s21
	v_lshlrev_b32_e32 v1, 24, v1
	s_delay_alu instid0(VALU_DEP_2) | instskip(SKIP_1) | instid1(VALU_DEP_3)
	v_lshlrev_b32_e32 v14, 20, v30
	v_lshl_add_u32 v0, v0, 23, 0x3c000000
	v_and_b32_e32 v1, 0x80000000, v1
	s_delay_alu instid0(VALU_DEP_1)
	v_or3_b32 v14, v14, v1, v0
.LBB430_724:                            ;   in Loop: Header=BB430_10 Depth=1
	s_or_b32 exec_lo, exec_lo, s20
.LBB430_725:                            ;   in Loop: Header=BB430_10 Depth=1
	s_delay_alu instid0(SALU_CYCLE_1)
	s_or_b32 exec_lo, exec_lo, s19
.LBB430_726:                            ;   in Loop: Header=BB430_10 Depth=1
	s_delay_alu instid0(SALU_CYCLE_1) | instskip(NEXT) | instid1(VALU_DEP_1)
	s_or_b32 exec_lo, exec_lo, s3
	v_mul_f32_e32 v0, v107, v14
                                        ; implicit-def: $vgpr14
	s_delay_alu instid0(VALU_DEP_1) | instskip(NEXT) | instid1(VALU_DEP_1)
	v_and_b32_e32 v1, 0x7f800000, v0
	v_cmp_ne_u32_e64 s2, 0x7f800000, v1
	s_delay_alu instid0(VALU_DEP_1) | instskip(NEXT) | instid1(SALU_CYCLE_1)
	s_and_saveexec_b32 s3, s2
	s_xor_b32 s2, exec_lo, s3
; %bb.727:                              ;   in Loop: Header=BB430_10 Depth=1
	v_bfe_u32 v1, v0, 16, 1
	s_delay_alu instid0(VALU_DEP_1)
	v_add3_u32 v14, v0, v1, 0x7fff
                                        ; implicit-def: $vgpr0
; %bb.728:                              ;   in Loop: Header=BB430_10 Depth=1
	s_and_not1_saveexec_b32 s3, s2
; %bb.729:                              ;   in Loop: Header=BB430_10 Depth=1
	v_and_b32_e32 v1, 0xffff, v0
	v_or_b32_e32 v14, 0x10000, v0
	s_delay_alu instid0(VALU_DEP_2) | instskip(NEXT) | instid1(VALU_DEP_1)
	v_cmp_eq_u32_e64 s2, 0, v1
	v_cndmask_b32_e64 v14, v14, v0, s2
; %bb.730:                              ;   in Loop: Header=BB430_10 Depth=1
	s_or_b32 exec_lo, exec_lo, s3
	flat_load_b32 v0, v[28:29] offset:1800
	v_mov_b32_e32 v1, 0
	s_mov_b32 s3, exec_lo
	s_waitcnt vmcnt(0) lgkmcnt(0)
	v_and_b32_e32 v15, 0xff, v0
	s_delay_alu instid0(VALU_DEP_1)
	v_cmpx_ne_u16_e32 0, v15
	s_cbranch_execz .LBB430_738
; %bb.731:                              ;   in Loop: Header=BB430_10 Depth=1
	v_bfrev_b32_e32 v1, 1
	s_mov_b32 s19, exec_lo
	v_cmpx_ne_u16_e32 0x80, v15
	s_cbranch_execz .LBB430_737
; %bb.732:                              ;   in Loop: Header=BB430_10 Depth=1
	v_and_b32_e32 v15, 0x7f, v0
	v_mov_b32_e32 v1, 0x7f800001
	s_mov_b32 s20, exec_lo
	s_delay_alu instid0(VALU_DEP_2)
	v_cmpx_ne_u32_e32 0x7f, v15
	s_cbranch_execz .LBB430_736
; %bb.733:                              ;   in Loop: Header=BB430_10 Depth=1
	v_and_b32_e32 v20, 7, v0
	v_lshrrev_b32_e32 v1, 3, v15
	v_mov_b32_e32 v31, v21
	s_mov_b32 s21, exec_lo
	s_delay_alu instid0(VALU_DEP_3)
	v_mov_b32_e32 v30, v20
	v_cmpx_gt_u32_e32 8, v15
; %bb.734:                              ;   in Loop: Header=BB430_10 Depth=1
	v_clz_i32_u32_e32 v1, v20
	s_delay_alu instid0(VALU_DEP_1) | instskip(NEXT) | instid1(VALU_DEP_1)
	v_min_u32_e32 v1, 32, v1
	v_subrev_nc_u32_e32 v15, 28, v1
	v_sub_nc_u32_e32 v1, 29, v1
	s_delay_alu instid0(VALU_DEP_2) | instskip(NEXT) | instid1(VALU_DEP_1)
	v_lshlrev_b64 v[26:27], v15, v[20:21]
	v_and_b32_e32 v30, 7, v26
; %bb.735:                              ;   in Loop: Header=BB430_10 Depth=1
	s_or_b32 exec_lo, exec_lo, s21
	v_lshlrev_b32_e32 v15, 24, v0
	s_delay_alu instid0(VALU_DEP_2) | instskip(SKIP_1) | instid1(VALU_DEP_3)
	v_lshlrev_b32_e32 v20, 20, v30
	v_lshl_add_u32 v1, v1, 23, 0x3c000000
	v_and_b32_e32 v15, 0x80000000, v15
	s_delay_alu instid0(VALU_DEP_1)
	v_or3_b32 v1, v20, v15, v1
.LBB430_736:                            ;   in Loop: Header=BB430_10 Depth=1
	s_or_b32 exec_lo, exec_lo, s20
.LBB430_737:                            ;   in Loop: Header=BB430_10 Depth=1
	s_delay_alu instid0(SALU_CYCLE_1)
	s_or_b32 exec_lo, exec_lo, s19
.LBB430_738:                            ;   in Loop: Header=BB430_10 Depth=1
	s_delay_alu instid0(SALU_CYCLE_1) | instskip(NEXT) | instid1(VALU_DEP_1)
	s_or_b32 exec_lo, exec_lo, s3
	v_mul_f32_e32 v1, v107, v1
	s_delay_alu instid0(VALU_DEP_1) | instskip(NEXT) | instid1(VALU_DEP_1)
	v_and_b32_e32 v15, 0x7f800000, v1
	v_cmp_ne_u32_e64 s2, 0x7f800000, v15
                                        ; implicit-def: $vgpr15
	s_delay_alu instid0(VALU_DEP_1) | instskip(NEXT) | instid1(SALU_CYCLE_1)
	s_and_saveexec_b32 s3, s2
	s_xor_b32 s2, exec_lo, s3
; %bb.739:                              ;   in Loop: Header=BB430_10 Depth=1
	v_bfe_u32 v15, v1, 16, 1
	s_delay_alu instid0(VALU_DEP_1)
	v_add3_u32 v15, v1, v15, 0x7fff
                                        ; implicit-def: $vgpr1
; %bb.740:                              ;   in Loop: Header=BB430_10 Depth=1
	s_and_not1_saveexec_b32 s3, s2
; %bb.741:                              ;   in Loop: Header=BB430_10 Depth=1
	v_and_b32_e32 v15, 0xffff, v1
	v_or_b32_e32 v20, 0x10000, v1
	s_delay_alu instid0(VALU_DEP_2) | instskip(NEXT) | instid1(VALU_DEP_1)
	v_cmp_eq_u32_e64 s2, 0, v15
	v_cndmask_b32_e64 v15, v20, v1, s2
; %bb.742:                              ;   in Loop: Header=BB430_10 Depth=1
	s_or_b32 exec_lo, exec_lo, s3
	v_lshrrev_b16 v20, 8, v0
	v_mov_b32_e32 v1, 0
	s_mov_b32 s3, exec_lo
	s_delay_alu instid0(VALU_DEP_2)
	v_cmpx_ne_u16_e32 0, v20
	s_cbranch_execz .LBB430_750
; %bb.743:                              ;   in Loop: Header=BB430_10 Depth=1
	v_bfrev_b32_e32 v1, 1
	s_mov_b32 s19, exec_lo
	v_cmpx_ne_u16_e32 0x80, v20
	s_cbranch_execz .LBB430_749
; %bb.744:                              ;   in Loop: Header=BB430_10 Depth=1
	v_and_b32_e32 v20, 0xffff, v20
	v_mov_b32_e32 v1, 0x7f800001
	s_mov_b32 s20, exec_lo
	s_delay_alu instid0(VALU_DEP_2) | instskip(NEXT) | instid1(VALU_DEP_1)
	v_and_b32_e32 v23, 0x7f, v20
	v_cmpx_ne_u32_e32 0x7f, v23
	s_cbranch_execz .LBB430_748
; %bb.745:                              ;   in Loop: Header=BB430_10 Depth=1
	v_and_b32_e32 v20, 7, v20
	v_lshrrev_b32_e32 v1, 3, v23
	v_mov_b32_e32 v31, v21
	s_mov_b32 s21, exec_lo
	s_delay_alu instid0(VALU_DEP_3)
	v_mov_b32_e32 v30, v20
	v_cmpx_gt_u32_e32 8, v23
; %bb.746:                              ;   in Loop: Header=BB430_10 Depth=1
	v_clz_i32_u32_e32 v1, v20
	s_delay_alu instid0(VALU_DEP_1) | instskip(NEXT) | instid1(VALU_DEP_1)
	v_min_u32_e32 v1, 32, v1
	v_subrev_nc_u32_e32 v23, 28, v1
	v_sub_nc_u32_e32 v1, 29, v1
	s_delay_alu instid0(VALU_DEP_2) | instskip(NEXT) | instid1(VALU_DEP_1)
	v_lshlrev_b64 v[26:27], v23, v[20:21]
	v_and_b32_e32 v30, 7, v26
; %bb.747:                              ;   in Loop: Header=BB430_10 Depth=1
	s_or_b32 exec_lo, exec_lo, s21
	v_lshlrev_b32_e32 v20, 16, v0
	s_delay_alu instid0(VALU_DEP_2) | instskip(SKIP_1) | instid1(VALU_DEP_3)
	v_lshlrev_b32_e32 v23, 20, v30
	v_lshl_add_u32 v1, v1, 23, 0x3c000000
	v_and_b32_e32 v20, 0x80000000, v20
	s_delay_alu instid0(VALU_DEP_1)
	v_or3_b32 v1, v23, v20, v1
.LBB430_748:                            ;   in Loop: Header=BB430_10 Depth=1
	s_or_b32 exec_lo, exec_lo, s20
.LBB430_749:                            ;   in Loop: Header=BB430_10 Depth=1
	s_delay_alu instid0(SALU_CYCLE_1)
	s_or_b32 exec_lo, exec_lo, s19
.LBB430_750:                            ;   in Loop: Header=BB430_10 Depth=1
	s_delay_alu instid0(SALU_CYCLE_1) | instskip(NEXT) | instid1(VALU_DEP_1)
	s_or_b32 exec_lo, exec_lo, s3
	v_mul_f32_e32 v1, v107, v1
                                        ; implicit-def: $vgpr50
	s_delay_alu instid0(VALU_DEP_1) | instskip(NEXT) | instid1(VALU_DEP_1)
	v_and_b32_e32 v20, 0x7f800000, v1
	v_cmp_ne_u32_e64 s2, 0x7f800000, v20
	s_delay_alu instid0(VALU_DEP_1) | instskip(NEXT) | instid1(SALU_CYCLE_1)
	s_and_saveexec_b32 s3, s2
	s_xor_b32 s2, exec_lo, s3
; %bb.751:                              ;   in Loop: Header=BB430_10 Depth=1
	v_bfe_u32 v20, v1, 16, 1
	s_delay_alu instid0(VALU_DEP_1)
	v_add3_u32 v50, v1, v20, 0x7fff
                                        ; implicit-def: $vgpr1
; %bb.752:                              ;   in Loop: Header=BB430_10 Depth=1
	s_and_not1_saveexec_b32 s3, s2
; %bb.753:                              ;   in Loop: Header=BB430_10 Depth=1
	v_and_b32_e32 v20, 0xffff, v1
	v_or_b32_e32 v23, 0x10000, v1
	s_delay_alu instid0(VALU_DEP_2) | instskip(NEXT) | instid1(VALU_DEP_1)
	v_cmp_eq_u32_e64 s2, 0, v20
	v_cndmask_b32_e64 v50, v23, v1, s2
; %bb.754:                              ;   in Loop: Header=BB430_10 Depth=1
	s_or_b32 exec_lo, exec_lo, s3
	v_lshrrev_b32_e32 v1, 16, v0
	s_mov_b32 s3, exec_lo
	s_delay_alu instid0(VALU_DEP_1) | instskip(NEXT) | instid1(VALU_DEP_1)
	v_dual_mov_b32 v20, 0 :: v_dual_and_b32 v23, 0xff, v1
	v_cmpx_ne_u16_e32 0, v23
	s_cbranch_execz .LBB430_762
; %bb.755:                              ;   in Loop: Header=BB430_10 Depth=1
	v_bfrev_b32_e32 v20, 1
	s_mov_b32 s19, exec_lo
	v_cmpx_ne_u16_e32 0x80, v23
	s_cbranch_execz .LBB430_761
; %bb.756:                              ;   in Loop: Header=BB430_10 Depth=1
	v_bfe_u32 v26, v0, 16, 7
	v_mov_b32_e32 v20, 0x7f800001
	s_mov_b32 s20, exec_lo
	s_delay_alu instid0(VALU_DEP_2)
	v_cmpx_ne_u32_e32 0x7f, v26
	s_cbranch_execz .LBB430_760
; %bb.757:                              ;   in Loop: Header=BB430_10 Depth=1
	v_and_b32_e32 v20, 7, v1
	v_lshrrev_b32_e32 v23, 3, v26
	v_mov_b32_e32 v31, v21
	s_mov_b32 s21, exec_lo
	s_delay_alu instid0(VALU_DEP_3)
	v_mov_b32_e32 v30, v20
	v_cmpx_gt_u32_e32 8, v26
; %bb.758:                              ;   in Loop: Header=BB430_10 Depth=1
	v_clz_i32_u32_e32 v23, v20
	s_delay_alu instid0(VALU_DEP_1) | instskip(NEXT) | instid1(VALU_DEP_1)
	v_min_u32_e32 v23, 32, v23
	v_subrev_nc_u32_e32 v26, 28, v23
	v_sub_nc_u32_e32 v23, 29, v23
	s_delay_alu instid0(VALU_DEP_2) | instskip(NEXT) | instid1(VALU_DEP_1)
	v_lshlrev_b64 v[26:27], v26, v[20:21]
	v_and_b32_e32 v30, 7, v26
; %bb.759:                              ;   in Loop: Header=BB430_10 Depth=1
	s_or_b32 exec_lo, exec_lo, s21
	v_lshlrev_b32_e32 v1, 24, v1
	s_delay_alu instid0(VALU_DEP_2) | instskip(SKIP_1) | instid1(VALU_DEP_3)
	v_lshlrev_b32_e32 v20, 20, v30
	v_lshl_add_u32 v23, v23, 23, 0x3c000000
	v_and_b32_e32 v1, 0x80000000, v1
	s_delay_alu instid0(VALU_DEP_1)
	v_or3_b32 v20, v20, v1, v23
.LBB430_760:                            ;   in Loop: Header=BB430_10 Depth=1
	s_or_b32 exec_lo, exec_lo, s20
.LBB430_761:                            ;   in Loop: Header=BB430_10 Depth=1
	s_delay_alu instid0(SALU_CYCLE_1)
	s_or_b32 exec_lo, exec_lo, s19
.LBB430_762:                            ;   in Loop: Header=BB430_10 Depth=1
	s_delay_alu instid0(SALU_CYCLE_1) | instskip(NEXT) | instid1(VALU_DEP_1)
	s_or_b32 exec_lo, exec_lo, s3
	v_mul_f32_e32 v1, v107, v20
                                        ; implicit-def: $vgpr33
	s_delay_alu instid0(VALU_DEP_1) | instskip(NEXT) | instid1(VALU_DEP_1)
	v_and_b32_e32 v20, 0x7f800000, v1
	v_cmp_ne_u32_e64 s2, 0x7f800000, v20
	s_delay_alu instid0(VALU_DEP_1) | instskip(NEXT) | instid1(SALU_CYCLE_1)
	s_and_saveexec_b32 s3, s2
	s_xor_b32 s2, exec_lo, s3
; %bb.763:                              ;   in Loop: Header=BB430_10 Depth=1
	v_bfe_u32 v20, v1, 16, 1
	s_delay_alu instid0(VALU_DEP_1)
	v_add3_u32 v33, v1, v20, 0x7fff
                                        ; implicit-def: $vgpr1
; %bb.764:                              ;   in Loop: Header=BB430_10 Depth=1
	s_and_not1_saveexec_b32 s3, s2
; %bb.765:                              ;   in Loop: Header=BB430_10 Depth=1
	v_and_b32_e32 v20, 0xffff, v1
	v_or_b32_e32 v23, 0x10000, v1
	s_delay_alu instid0(VALU_DEP_2) | instskip(NEXT) | instid1(VALU_DEP_1)
	v_cmp_eq_u32_e64 s2, 0, v20
	v_cndmask_b32_e64 v33, v23, v1, s2
; %bb.766:                              ;   in Loop: Header=BB430_10 Depth=1
	s_or_b32 exec_lo, exec_lo, s3
	v_mov_b32_e32 v20, 0
	s_mov_b32 s3, exec_lo
	v_cmpx_lt_u32_e32 0xffffff, v0
	s_cbranch_execz .LBB430_774
; %bb.767:                              ;   in Loop: Header=BB430_10 Depth=1
	v_lshrrev_b32_e32 v1, 24, v0
	v_bfrev_b32_e32 v20, 1
	s_mov_b32 s19, exec_lo
	s_delay_alu instid0(VALU_DEP_2)
	v_cmpx_ne_u32_e32 0x80, v1
	s_cbranch_execz .LBB430_773
; %bb.768:                              ;   in Loop: Header=BB430_10 Depth=1
	v_bfe_u32 v23, v0, 24, 7
	v_mov_b32_e32 v20, 0x7f800001
	s_mov_b32 s20, exec_lo
	s_delay_alu instid0(VALU_DEP_2)
	v_cmpx_ne_u32_e32 0x7f, v23
	s_cbranch_execz .LBB430_772
; %bb.769:                              ;   in Loop: Header=BB430_10 Depth=1
	v_and_b32_e32 v20, 7, v1
	v_lshrrev_b32_e32 v0, 3, v23
	v_mov_b32_e32 v31, v21
	s_mov_b32 s21, exec_lo
	s_delay_alu instid0(VALU_DEP_3)
	v_mov_b32_e32 v30, v20
	v_cmpx_gt_u32_e32 8, v23
; %bb.770:                              ;   in Loop: Header=BB430_10 Depth=1
	v_clz_i32_u32_e32 v0, v20
	s_delay_alu instid0(VALU_DEP_1) | instskip(NEXT) | instid1(VALU_DEP_1)
	v_min_u32_e32 v0, 32, v0
	v_subrev_nc_u32_e32 v23, 28, v0
	v_sub_nc_u32_e32 v0, 29, v0
	s_delay_alu instid0(VALU_DEP_2) | instskip(NEXT) | instid1(VALU_DEP_1)
	v_lshlrev_b64 v[26:27], v23, v[20:21]
	v_and_b32_e32 v30, 7, v26
; %bb.771:                              ;   in Loop: Header=BB430_10 Depth=1
	s_or_b32 exec_lo, exec_lo, s21
	v_lshlrev_b32_e32 v1, 24, v1
	s_delay_alu instid0(VALU_DEP_2) | instskip(SKIP_1) | instid1(VALU_DEP_3)
	v_lshlrev_b32_e32 v20, 20, v30
	v_lshl_add_u32 v0, v0, 23, 0x3c000000
	v_and_b32_e32 v1, 0x80000000, v1
	s_delay_alu instid0(VALU_DEP_1)
	v_or3_b32 v20, v20, v1, v0
.LBB430_772:                            ;   in Loop: Header=BB430_10 Depth=1
	s_or_b32 exec_lo, exec_lo, s20
.LBB430_773:                            ;   in Loop: Header=BB430_10 Depth=1
	s_delay_alu instid0(SALU_CYCLE_1)
	s_or_b32 exec_lo, exec_lo, s19
.LBB430_774:                            ;   in Loop: Header=BB430_10 Depth=1
	s_delay_alu instid0(SALU_CYCLE_1) | instskip(NEXT) | instid1(VALU_DEP_1)
	s_or_b32 exec_lo, exec_lo, s3
	v_mul_f32_e32 v0, v107, v20
                                        ; implicit-def: $vgpr104
	s_delay_alu instid0(VALU_DEP_1) | instskip(NEXT) | instid1(VALU_DEP_1)
	v_and_b32_e32 v1, 0x7f800000, v0
	v_cmp_ne_u32_e64 s2, 0x7f800000, v1
	s_delay_alu instid0(VALU_DEP_1) | instskip(NEXT) | instid1(SALU_CYCLE_1)
	s_and_saveexec_b32 s3, s2
	s_xor_b32 s2, exec_lo, s3
; %bb.775:                              ;   in Loop: Header=BB430_10 Depth=1
	v_bfe_u32 v1, v0, 16, 1
	s_delay_alu instid0(VALU_DEP_1)
	v_add3_u32 v104, v0, v1, 0x7fff
                                        ; implicit-def: $vgpr0
; %bb.776:                              ;   in Loop: Header=BB430_10 Depth=1
	s_and_not1_saveexec_b32 s3, s2
; %bb.777:                              ;   in Loop: Header=BB430_10 Depth=1
	v_and_b32_e32 v1, 0xffff, v0
	v_or_b32_e32 v20, 0x10000, v0
	s_delay_alu instid0(VALU_DEP_2) | instskip(NEXT) | instid1(VALU_DEP_1)
	v_cmp_eq_u32_e64 s2, 0, v1
	v_cndmask_b32_e64 v104, v20, v0, s2
; %bb.778:                              ;   in Loop: Header=BB430_10 Depth=1
	s_or_b32 exec_lo, exec_lo, s3
	flat_load_b32 v23, v[28:29] offset:2048
	s_mov_b32 s3, exec_lo
	s_waitcnt vmcnt(0) lgkmcnt(0)
	v_dual_mov_b32 v0, 0 :: v_dual_and_b32 v1, 0xff, v23
	s_delay_alu instid0(VALU_DEP_1)
	v_cmpx_ne_u16_e32 0, v1
	s_cbranch_execz .LBB430_786
; %bb.779:                              ;   in Loop: Header=BB430_10 Depth=1
	v_bfrev_b32_e32 v0, 1
	s_mov_b32 s19, exec_lo
	v_cmpx_ne_u16_e32 0x80, v1
	s_cbranch_execz .LBB430_785
; %bb.780:                              ;   in Loop: Header=BB430_10 Depth=1
	v_and_b32_e32 v1, 0x7f, v23
	v_mov_b32_e32 v0, 0x7f800001
	s_mov_b32 s20, exec_lo
	s_delay_alu instid0(VALU_DEP_2)
	v_cmpx_ne_u32_e32 0x7f, v1
	s_cbranch_execz .LBB430_784
; %bb.781:                              ;   in Loop: Header=BB430_10 Depth=1
	v_and_b32_e32 v20, 7, v23
	v_lshrrev_b32_e32 v0, 3, v1
	v_mov_b32_e32 v31, v21
	s_mov_b32 s21, exec_lo
	s_delay_alu instid0(VALU_DEP_3)
	v_mov_b32_e32 v30, v20
	v_cmpx_gt_u32_e32 8, v1
; %bb.782:                              ;   in Loop: Header=BB430_10 Depth=1
	v_clz_i32_u32_e32 v0, v20
	s_delay_alu instid0(VALU_DEP_1) | instskip(NEXT) | instid1(VALU_DEP_1)
	v_min_u32_e32 v0, 32, v0
	v_subrev_nc_u32_e32 v1, 28, v0
	v_sub_nc_u32_e32 v0, 29, v0
	s_delay_alu instid0(VALU_DEP_2) | instskip(NEXT) | instid1(VALU_DEP_1)
	v_lshlrev_b64 v[26:27], v1, v[20:21]
	v_and_b32_e32 v30, 7, v26
; %bb.783:                              ;   in Loop: Header=BB430_10 Depth=1
	s_or_b32 exec_lo, exec_lo, s21
	v_lshlrev_b32_e32 v1, 24, v23
	s_delay_alu instid0(VALU_DEP_2) | instskip(SKIP_1) | instid1(VALU_DEP_3)
	v_lshlrev_b32_e32 v20, 20, v30
	v_lshl_add_u32 v0, v0, 23, 0x3c000000
	v_and_b32_e32 v1, 0x80000000, v1
	s_delay_alu instid0(VALU_DEP_1)
	v_or3_b32 v0, v20, v1, v0
.LBB430_784:                            ;   in Loop: Header=BB430_10 Depth=1
	s_or_b32 exec_lo, exec_lo, s20
.LBB430_785:                            ;   in Loop: Header=BB430_10 Depth=1
	s_delay_alu instid0(SALU_CYCLE_1)
	s_or_b32 exec_lo, exec_lo, s19
.LBB430_786:                            ;   in Loop: Header=BB430_10 Depth=1
	s_delay_alu instid0(SALU_CYCLE_1) | instskip(NEXT) | instid1(VALU_DEP_1)
	s_or_b32 exec_lo, exec_lo, s3
	v_mul_f32_e32 v0, v107, v0
	s_delay_alu instid0(VALU_DEP_1) | instskip(NEXT) | instid1(VALU_DEP_1)
	v_and_b32_e32 v1, 0x7f800000, v0
	v_cmp_ne_u32_e64 s2, 0x7f800000, v1
                                        ; implicit-def: $vgpr1
	s_delay_alu instid0(VALU_DEP_1) | instskip(NEXT) | instid1(SALU_CYCLE_1)
	s_and_saveexec_b32 s3, s2
	s_xor_b32 s2, exec_lo, s3
; %bb.787:                              ;   in Loop: Header=BB430_10 Depth=1
	v_bfe_u32 v1, v0, 16, 1
	s_delay_alu instid0(VALU_DEP_1)
	v_add3_u32 v1, v0, v1, 0x7fff
                                        ; implicit-def: $vgpr0
; %bb.788:                              ;   in Loop: Header=BB430_10 Depth=1
	s_and_not1_saveexec_b32 s3, s2
; %bb.789:                              ;   in Loop: Header=BB430_10 Depth=1
	v_and_b32_e32 v1, 0xffff, v0
	v_or_b32_e32 v20, 0x10000, v0
	s_delay_alu instid0(VALU_DEP_2) | instskip(NEXT) | instid1(VALU_DEP_1)
	v_cmp_eq_u32_e64 s2, 0, v1
	v_cndmask_b32_e64 v1, v20, v0, s2
; %bb.790:                              ;   in Loop: Header=BB430_10 Depth=1
	s_or_b32 exec_lo, exec_lo, s3
	v_lshrrev_b16 v20, 8, v23
	v_mov_b32_e32 v0, 0
	s_mov_b32 s3, exec_lo
	s_delay_alu instid0(VALU_DEP_2)
	v_cmpx_ne_u16_e32 0, v20
	s_cbranch_execz .LBB430_798
; %bb.791:                              ;   in Loop: Header=BB430_10 Depth=1
	v_bfrev_b32_e32 v0, 1
	s_mov_b32 s19, exec_lo
	v_cmpx_ne_u16_e32 0x80, v20
	s_cbranch_execz .LBB430_797
; %bb.792:                              ;   in Loop: Header=BB430_10 Depth=1
	v_and_b32_e32 v20, 0xffff, v20
	v_mov_b32_e32 v0, 0x7f800001
	s_mov_b32 s20, exec_lo
	s_delay_alu instid0(VALU_DEP_2) | instskip(NEXT) | instid1(VALU_DEP_1)
	v_and_b32_e32 v26, 0x7f, v20
	v_cmpx_ne_u32_e32 0x7f, v26
	s_cbranch_execz .LBB430_796
; %bb.793:                              ;   in Loop: Header=BB430_10 Depth=1
	v_and_b32_e32 v20, 7, v20
	v_lshrrev_b32_e32 v0, 3, v26
	v_mov_b32_e32 v31, v21
	s_mov_b32 s21, exec_lo
	s_delay_alu instid0(VALU_DEP_3)
	v_mov_b32_e32 v30, v20
	v_cmpx_gt_u32_e32 8, v26
; %bb.794:                              ;   in Loop: Header=BB430_10 Depth=1
	v_clz_i32_u32_e32 v0, v20
	s_delay_alu instid0(VALU_DEP_1) | instskip(NEXT) | instid1(VALU_DEP_1)
	v_min_u32_e32 v0, 32, v0
	v_subrev_nc_u32_e32 v26, 28, v0
	v_sub_nc_u32_e32 v0, 29, v0
	s_delay_alu instid0(VALU_DEP_2) | instskip(NEXT) | instid1(VALU_DEP_1)
	v_lshlrev_b64 v[26:27], v26, v[20:21]
	v_and_b32_e32 v30, 7, v26
; %bb.795:                              ;   in Loop: Header=BB430_10 Depth=1
	s_or_b32 exec_lo, exec_lo, s21
	v_lshlrev_b32_e32 v20, 16, v23
	s_delay_alu instid0(VALU_DEP_2) | instskip(SKIP_1) | instid1(VALU_DEP_3)
	v_lshlrev_b32_e32 v26, 20, v30
	v_lshl_add_u32 v0, v0, 23, 0x3c000000
	v_and_b32_e32 v20, 0x80000000, v20
	s_delay_alu instid0(VALU_DEP_1)
	v_or3_b32 v0, v26, v20, v0
.LBB430_796:                            ;   in Loop: Header=BB430_10 Depth=1
	s_or_b32 exec_lo, exec_lo, s20
.LBB430_797:                            ;   in Loop: Header=BB430_10 Depth=1
	s_delay_alu instid0(SALU_CYCLE_1)
	s_or_b32 exec_lo, exec_lo, s19
.LBB430_798:                            ;   in Loop: Header=BB430_10 Depth=1
	s_delay_alu instid0(SALU_CYCLE_1) | instskip(NEXT) | instid1(VALU_DEP_1)
	s_or_b32 exec_lo, exec_lo, s3
	v_mul_f32_e32 v20, v107, v0
	s_delay_alu instid0(VALU_DEP_1) | instskip(NEXT) | instid1(VALU_DEP_1)
	v_and_b32_e32 v0, 0x7f800000, v20
	v_cmp_ne_u32_e64 s2, 0x7f800000, v0
                                        ; implicit-def: $vgpr0
	s_delay_alu instid0(VALU_DEP_1) | instskip(NEXT) | instid1(SALU_CYCLE_1)
	s_and_saveexec_b32 s3, s2
	s_xor_b32 s2, exec_lo, s3
; %bb.799:                              ;   in Loop: Header=BB430_10 Depth=1
	v_bfe_u32 v0, v20, 16, 1
	s_delay_alu instid0(VALU_DEP_1)
	v_add3_u32 v0, v20, v0, 0x7fff
                                        ; implicit-def: $vgpr20
; %bb.800:                              ;   in Loop: Header=BB430_10 Depth=1
	s_and_not1_saveexec_b32 s3, s2
; %bb.801:                              ;   in Loop: Header=BB430_10 Depth=1
	v_and_b32_e32 v0, 0xffff, v20
	v_or_b32_e32 v26, 0x10000, v20
	s_delay_alu instid0(VALU_DEP_2) | instskip(NEXT) | instid1(VALU_DEP_1)
	v_cmp_eq_u32_e64 s2, 0, v0
	v_cndmask_b32_e64 v0, v26, v20, s2
; %bb.802:                              ;   in Loop: Header=BB430_10 Depth=1
	s_or_b32 exec_lo, exec_lo, s3
	v_lshrrev_b32_e32 v26, 16, v23
	s_mov_b32 s3, exec_lo
	s_delay_alu instid0(VALU_DEP_1) | instskip(NEXT) | instid1(VALU_DEP_1)
	v_dual_mov_b32 v20, 0 :: v_dual_and_b32 v27, 0xff, v26
	v_cmpx_ne_u16_e32 0, v27
	s_cbranch_execz .LBB430_810
; %bb.803:                              ;   in Loop: Header=BB430_10 Depth=1
	v_bfrev_b32_e32 v20, 1
	s_mov_b32 s19, exec_lo
	v_cmpx_ne_u16_e32 0x80, v27
	s_cbranch_execz .LBB430_809
; %bb.804:                              ;   in Loop: Header=BB430_10 Depth=1
	v_bfe_u32 v30, v23, 16, 7
	v_mov_b32_e32 v20, 0x7f800001
	s_mov_b32 s20, exec_lo
	s_delay_alu instid0(VALU_DEP_2)
	v_cmpx_ne_u32_e32 0x7f, v30
	s_cbranch_execz .LBB430_808
; %bb.805:                              ;   in Loop: Header=BB430_10 Depth=1
	v_and_b32_e32 v20, 7, v26
	v_lshrrev_b32_e32 v27, 3, v30
	v_cmp_gt_u32_e64 s2, 8, v30
	s_delay_alu instid0(VALU_DEP_3) | instskip(NEXT) | instid1(VALU_DEP_2)
	v_dual_mov_b32 v31, v21 :: v_dual_mov_b32 v30, v20
	s_and_saveexec_b32 s21, s2
; %bb.806:                              ;   in Loop: Header=BB430_10 Depth=1
	v_clz_i32_u32_e32 v27, v20
	s_delay_alu instid0(VALU_DEP_1) | instskip(NEXT) | instid1(VALU_DEP_1)
	v_min_u32_e32 v27, 32, v27
	v_subrev_nc_u32_e32 v30, 28, v27
	v_sub_nc_u32_e32 v27, 29, v27
	s_delay_alu instid0(VALU_DEP_2) | instskip(NEXT) | instid1(VALU_DEP_1)
	v_lshlrev_b64 v[30:31], v30, v[20:21]
	v_and_b32_e32 v30, 7, v30
; %bb.807:                              ;   in Loop: Header=BB430_10 Depth=1
	s_or_b32 exec_lo, exec_lo, s21
	v_lshlrev_b32_e32 v20, 24, v26
	s_delay_alu instid0(VALU_DEP_2) | instskip(SKIP_1) | instid1(VALU_DEP_3)
	v_lshlrev_b32_e32 v26, 20, v30
	v_lshl_add_u32 v27, v27, 23, 0x3c000000
	v_and_b32_e32 v20, 0x80000000, v20
	s_delay_alu instid0(VALU_DEP_1)
	v_or3_b32 v20, v26, v20, v27
.LBB430_808:                            ;   in Loop: Header=BB430_10 Depth=1
	s_or_b32 exec_lo, exec_lo, s20
.LBB430_809:                            ;   in Loop: Header=BB430_10 Depth=1
	s_delay_alu instid0(SALU_CYCLE_1)
	s_or_b32 exec_lo, exec_lo, s19
.LBB430_810:                            ;   in Loop: Header=BB430_10 Depth=1
	s_delay_alu instid0(SALU_CYCLE_1) | instskip(NEXT) | instid1(VALU_DEP_1)
	s_or_b32 exec_lo, exec_lo, s3
	v_mul_f32_e32 v20, v107, v20
                                        ; implicit-def: $vgpr144
	s_delay_alu instid0(VALU_DEP_1) | instskip(NEXT) | instid1(VALU_DEP_1)
	v_and_b32_e32 v26, 0x7f800000, v20
	v_cmp_ne_u32_e64 s2, 0x7f800000, v26
	s_delay_alu instid0(VALU_DEP_1) | instskip(NEXT) | instid1(SALU_CYCLE_1)
	s_and_saveexec_b32 s3, s2
	s_xor_b32 s2, exec_lo, s3
; %bb.811:                              ;   in Loop: Header=BB430_10 Depth=1
	v_bfe_u32 v26, v20, 16, 1
	s_delay_alu instid0(VALU_DEP_1)
	v_add3_u32 v144, v20, v26, 0x7fff
                                        ; implicit-def: $vgpr20
; %bb.812:                              ;   in Loop: Header=BB430_10 Depth=1
	s_and_not1_saveexec_b32 s3, s2
; %bb.813:                              ;   in Loop: Header=BB430_10 Depth=1
	v_and_b32_e32 v26, 0xffff, v20
	v_or_b32_e32 v27, 0x10000, v20
	s_delay_alu instid0(VALU_DEP_2) | instskip(NEXT) | instid1(VALU_DEP_1)
	v_cmp_eq_u32_e64 s2, 0, v26
	v_cndmask_b32_e64 v144, v27, v20, s2
; %bb.814:                              ;   in Loop: Header=BB430_10 Depth=1
	s_or_b32 exec_lo, exec_lo, s3
	v_mov_b32_e32 v20, 0
	s_mov_b32 s3, exec_lo
	v_cmpx_lt_u32_e32 0xffffff, v23
	s_cbranch_execz .LBB430_822
; %bb.815:                              ;   in Loop: Header=BB430_10 Depth=1
	v_lshrrev_b32_e32 v26, 24, v23
	v_bfrev_b32_e32 v20, 1
	s_mov_b32 s19, exec_lo
	s_delay_alu instid0(VALU_DEP_2)
	v_cmpx_ne_u32_e32 0x80, v26
	s_cbranch_execz .LBB430_821
; %bb.816:                              ;   in Loop: Header=BB430_10 Depth=1
	v_bfe_u32 v27, v23, 24, 7
	v_mov_b32_e32 v20, 0x7f800001
	s_mov_b32 s20, exec_lo
	s_delay_alu instid0(VALU_DEP_2)
	v_cmpx_ne_u32_e32 0x7f, v27
	s_cbranch_execz .LBB430_820
; %bb.817:                              ;   in Loop: Header=BB430_10 Depth=1
	v_and_b32_e32 v20, 7, v26
	v_lshrrev_b32_e32 v23, 3, v27
	v_mov_b32_e32 v31, v21
	s_mov_b32 s21, exec_lo
	s_delay_alu instid0(VALU_DEP_3)
	v_mov_b32_e32 v30, v20
	v_cmpx_gt_u32_e32 8, v27
; %bb.818:                              ;   in Loop: Header=BB430_10 Depth=1
	v_clz_i32_u32_e32 v23, v20
	s_delay_alu instid0(VALU_DEP_1) | instskip(NEXT) | instid1(VALU_DEP_1)
	v_min_u32_e32 v23, 32, v23
	v_subrev_nc_u32_e32 v27, 28, v23
	v_sub_nc_u32_e32 v23, 29, v23
	s_delay_alu instid0(VALU_DEP_2) | instskip(NEXT) | instid1(VALU_DEP_1)
	v_lshlrev_b64 v[30:31], v27, v[20:21]
	v_and_b32_e32 v30, 7, v30
; %bb.819:                              ;   in Loop: Header=BB430_10 Depth=1
	s_or_b32 exec_lo, exec_lo, s21
	v_lshlrev_b32_e32 v20, 24, v26
	s_delay_alu instid0(VALU_DEP_2) | instskip(SKIP_1) | instid1(VALU_DEP_3)
	v_lshlrev_b32_e32 v26, 20, v30
	v_lshl_add_u32 v23, v23, 23, 0x3c000000
	v_and_b32_e32 v20, 0x80000000, v20
	s_delay_alu instid0(VALU_DEP_1)
	v_or3_b32 v20, v26, v20, v23
.LBB430_820:                            ;   in Loop: Header=BB430_10 Depth=1
	s_or_b32 exec_lo, exec_lo, s20
.LBB430_821:                            ;   in Loop: Header=BB430_10 Depth=1
	s_delay_alu instid0(SALU_CYCLE_1)
	s_or_b32 exec_lo, exec_lo, s19
.LBB430_822:                            ;   in Loop: Header=BB430_10 Depth=1
	s_delay_alu instid0(SALU_CYCLE_1) | instskip(NEXT) | instid1(VALU_DEP_1)
	s_or_b32 exec_lo, exec_lo, s3
	v_mul_f32_e32 v20, v107, v20
	s_delay_alu instid0(VALU_DEP_1) | instskip(NEXT) | instid1(VALU_DEP_1)
	v_and_b32_e32 v23, 0x7f800000, v20
	v_cmp_ne_u32_e64 s2, 0x7f800000, v23
                                        ; implicit-def: $vgpr23
	s_delay_alu instid0(VALU_DEP_1) | instskip(NEXT) | instid1(SALU_CYCLE_1)
	s_and_saveexec_b32 s3, s2
	s_xor_b32 s2, exec_lo, s3
; %bb.823:                              ;   in Loop: Header=BB430_10 Depth=1
	v_bfe_u32 v23, v20, 16, 1
	s_delay_alu instid0(VALU_DEP_1)
	v_add3_u32 v23, v20, v23, 0x7fff
                                        ; implicit-def: $vgpr20
; %bb.824:                              ;   in Loop: Header=BB430_10 Depth=1
	s_and_not1_saveexec_b32 s3, s2
; %bb.825:                              ;   in Loop: Header=BB430_10 Depth=1
	v_and_b32_e32 v23, 0xffff, v20
	v_or_b32_e32 v26, 0x10000, v20
	s_delay_alu instid0(VALU_DEP_2) | instskip(NEXT) | instid1(VALU_DEP_1)
	v_cmp_eq_u32_e64 s2, 0, v23
	v_cndmask_b32_e64 v23, v26, v20, s2
; %bb.826:                              ;   in Loop: Header=BB430_10 Depth=1
	s_or_b32 exec_lo, exec_lo, s3
	flat_load_b32 v52, v[28:29] offset:2056
	v_mov_b32_e32 v20, 0
	s_mov_b32 s3, exec_lo
	s_waitcnt vmcnt(0) lgkmcnt(0)
	v_and_b32_e32 v26, 0xff, v52
	s_delay_alu instid0(VALU_DEP_1)
	v_cmpx_ne_u16_e32 0, v26
	s_cbranch_execz .LBB430_834
; %bb.827:                              ;   in Loop: Header=BB430_10 Depth=1
	v_bfrev_b32_e32 v20, 1
	s_mov_b32 s19, exec_lo
	v_cmpx_ne_u16_e32 0x80, v26
	s_cbranch_execz .LBB430_833
; %bb.828:                              ;   in Loop: Header=BB430_10 Depth=1
	v_and_b32_e32 v27, 0x7f, v52
	v_mov_b32_e32 v20, 0x7f800001
	s_mov_b32 s20, exec_lo
	s_delay_alu instid0(VALU_DEP_2)
	v_cmpx_ne_u32_e32 0x7f, v27
	s_cbranch_execz .LBB430_832
; %bb.829:                              ;   in Loop: Header=BB430_10 Depth=1
	v_and_b32_e32 v20, 7, v52
	v_lshrrev_b32_e32 v26, 3, v27
	v_mov_b32_e32 v31, v21
	s_mov_b32 s21, exec_lo
	s_delay_alu instid0(VALU_DEP_3)
	v_mov_b32_e32 v30, v20
	v_cmpx_gt_u32_e32 8, v27
; %bb.830:                              ;   in Loop: Header=BB430_10 Depth=1
	v_clz_i32_u32_e32 v26, v20
	s_delay_alu instid0(VALU_DEP_1) | instskip(NEXT) | instid1(VALU_DEP_1)
	v_min_u32_e32 v26, 32, v26
	v_subrev_nc_u32_e32 v27, 28, v26
	v_sub_nc_u32_e32 v26, 29, v26
	s_delay_alu instid0(VALU_DEP_2) | instskip(NEXT) | instid1(VALU_DEP_1)
	v_lshlrev_b64 v[30:31], v27, v[20:21]
	v_and_b32_e32 v30, 7, v30
; %bb.831:                              ;   in Loop: Header=BB430_10 Depth=1
	s_or_b32 exec_lo, exec_lo, s21
	v_lshlrev_b32_e32 v20, 24, v52
	s_delay_alu instid0(VALU_DEP_2) | instskip(SKIP_1) | instid1(VALU_DEP_3)
	v_lshlrev_b32_e32 v27, 20, v30
	v_lshl_add_u32 v26, v26, 23, 0x3c000000
	v_and_b32_e32 v20, 0x80000000, v20
	s_delay_alu instid0(VALU_DEP_1)
	v_or3_b32 v20, v27, v20, v26
.LBB430_832:                            ;   in Loop: Header=BB430_10 Depth=1
	s_or_b32 exec_lo, exec_lo, s20
.LBB430_833:                            ;   in Loop: Header=BB430_10 Depth=1
	s_delay_alu instid0(SALU_CYCLE_1)
	s_or_b32 exec_lo, exec_lo, s19
.LBB430_834:                            ;   in Loop: Header=BB430_10 Depth=1
	s_delay_alu instid0(SALU_CYCLE_1) | instskip(NEXT) | instid1(VALU_DEP_1)
	s_or_b32 exec_lo, exec_lo, s3
	v_mul_f32_e32 v20, v107, v20
                                        ; implicit-def: $vgpr27
	s_delay_alu instid0(VALU_DEP_1) | instskip(NEXT) | instid1(VALU_DEP_1)
	v_and_b32_e32 v26, 0x7f800000, v20
	v_cmp_ne_u32_e64 s2, 0x7f800000, v26
	s_delay_alu instid0(VALU_DEP_1) | instskip(NEXT) | instid1(SALU_CYCLE_1)
	s_and_saveexec_b32 s3, s2
	s_xor_b32 s2, exec_lo, s3
; %bb.835:                              ;   in Loop: Header=BB430_10 Depth=1
	v_bfe_u32 v26, v20, 16, 1
	s_delay_alu instid0(VALU_DEP_1)
	v_add3_u32 v27, v20, v26, 0x7fff
                                        ; implicit-def: $vgpr20
; %bb.836:                              ;   in Loop: Header=BB430_10 Depth=1
	s_and_not1_saveexec_b32 s3, s2
; %bb.837:                              ;   in Loop: Header=BB430_10 Depth=1
	v_and_b32_e32 v26, 0xffff, v20
	v_or_b32_e32 v27, 0x10000, v20
	s_delay_alu instid0(VALU_DEP_2) | instskip(NEXT) | instid1(VALU_DEP_1)
	v_cmp_eq_u32_e64 s2, 0, v26
	v_cndmask_b32_e64 v27, v27, v20, s2
; %bb.838:                              ;   in Loop: Header=BB430_10 Depth=1
	s_or_b32 exec_lo, exec_lo, s3
	v_lshrrev_b16 v26, 8, v52
	v_mov_b32_e32 v20, 0
	s_mov_b32 s3, exec_lo
	s_delay_alu instid0(VALU_DEP_2)
	v_cmpx_ne_u16_e32 0, v26
	s_cbranch_execz .LBB430_846
; %bb.839:                              ;   in Loop: Header=BB430_10 Depth=1
	v_bfrev_b32_e32 v20, 1
	s_mov_b32 s19, exec_lo
	v_cmpx_ne_u16_e32 0x80, v26
	s_cbranch_execz .LBB430_845
; %bb.840:                              ;   in Loop: Header=BB430_10 Depth=1
	v_and_b32_e32 v26, 0xffff, v26
	v_mov_b32_e32 v20, 0x7f800001
	s_mov_b32 s20, exec_lo
	s_delay_alu instid0(VALU_DEP_2) | instskip(NEXT) | instid1(VALU_DEP_1)
	v_and_b32_e32 v30, 0x7f, v26
	v_cmpx_ne_u32_e32 0x7f, v30
	s_cbranch_execz .LBB430_844
; %bb.841:                              ;   in Loop: Header=BB430_10 Depth=1
	v_and_b32_e32 v20, 7, v26
	v_lshrrev_b32_e32 v26, 3, v30
	v_cmp_gt_u32_e64 s2, 8, v30
	s_delay_alu instid0(VALU_DEP_3) | instskip(NEXT) | instid1(VALU_DEP_2)
	v_dual_mov_b32 v31, v21 :: v_dual_mov_b32 v30, v20
	s_and_saveexec_b32 s21, s2
; %bb.842:                              ;   in Loop: Header=BB430_10 Depth=1
	v_clz_i32_u32_e32 v26, v20
	s_delay_alu instid0(VALU_DEP_1) | instskip(NEXT) | instid1(VALU_DEP_1)
	v_min_u32_e32 v26, 32, v26
	v_subrev_nc_u32_e32 v30, 28, v26
	v_sub_nc_u32_e32 v26, 29, v26
	s_delay_alu instid0(VALU_DEP_2) | instskip(NEXT) | instid1(VALU_DEP_1)
	v_lshlrev_b64 v[30:31], v30, v[20:21]
	v_and_b32_e32 v30, 7, v30
; %bb.843:                              ;   in Loop: Header=BB430_10 Depth=1
	s_or_b32 exec_lo, exec_lo, s21
	v_lshlrev_b32_e32 v20, 16, v52
	s_delay_alu instid0(VALU_DEP_2) | instskip(SKIP_1) | instid1(VALU_DEP_3)
	v_lshlrev_b32_e32 v30, 20, v30
	v_lshl_add_u32 v26, v26, 23, 0x3c000000
	v_and_b32_e32 v20, 0x80000000, v20
	s_delay_alu instid0(VALU_DEP_1)
	v_or3_b32 v20, v30, v20, v26
.LBB430_844:                            ;   in Loop: Header=BB430_10 Depth=1
	s_or_b32 exec_lo, exec_lo, s20
.LBB430_845:                            ;   in Loop: Header=BB430_10 Depth=1
	s_delay_alu instid0(SALU_CYCLE_1)
	s_or_b32 exec_lo, exec_lo, s19
.LBB430_846:                            ;   in Loop: Header=BB430_10 Depth=1
	s_delay_alu instid0(SALU_CYCLE_1) | instskip(NEXT) | instid1(VALU_DEP_1)
	s_or_b32 exec_lo, exec_lo, s3
	v_mul_f32_e32 v20, v107, v20
	s_delay_alu instid0(VALU_DEP_1) | instskip(NEXT) | instid1(VALU_DEP_1)
	v_and_b32_e32 v26, 0x7f800000, v20
	v_cmp_ne_u32_e64 s2, 0x7f800000, v26
                                        ; implicit-def: $vgpr26
	s_delay_alu instid0(VALU_DEP_1) | instskip(NEXT) | instid1(SALU_CYCLE_1)
	s_and_saveexec_b32 s3, s2
	s_xor_b32 s2, exec_lo, s3
; %bb.847:                              ;   in Loop: Header=BB430_10 Depth=1
	v_bfe_u32 v26, v20, 16, 1
	s_delay_alu instid0(VALU_DEP_1)
	v_add3_u32 v26, v20, v26, 0x7fff
                                        ; implicit-def: $vgpr20
; %bb.848:                              ;   in Loop: Header=BB430_10 Depth=1
	s_and_not1_saveexec_b32 s3, s2
; %bb.849:                              ;   in Loop: Header=BB430_10 Depth=1
	v_and_b32_e32 v26, 0xffff, v20
	v_or_b32_e32 v30, 0x10000, v20
	s_delay_alu instid0(VALU_DEP_2) | instskip(NEXT) | instid1(VALU_DEP_1)
	v_cmp_eq_u32_e64 s2, 0, v26
	v_cndmask_b32_e64 v26, v30, v20, s2
; %bb.850:                              ;   in Loop: Header=BB430_10 Depth=1
	s_or_b32 exec_lo, exec_lo, s3
	v_lshrrev_b32_e32 v48, 16, v52
	v_mov_b32_e32 v20, 0
	s_mov_b32 s3, exec_lo
	s_delay_alu instid0(VALU_DEP_2) | instskip(NEXT) | instid1(VALU_DEP_1)
	v_and_b32_e32 v30, 0xff, v48
	v_cmpx_ne_u16_e32 0, v30
	s_cbranch_execz .LBB430_858
; %bb.851:                              ;   in Loop: Header=BB430_10 Depth=1
	v_bfrev_b32_e32 v20, 1
	s_mov_b32 s19, exec_lo
	v_cmpx_ne_u16_e32 0x80, v30
	s_cbranch_execz .LBB430_857
; %bb.852:                              ;   in Loop: Header=BB430_10 Depth=1
	v_bfe_u32 v30, v52, 16, 7
	v_mov_b32_e32 v20, 0x7f800001
	s_mov_b32 s20, exec_lo
	s_delay_alu instid0(VALU_DEP_2)
	v_cmpx_ne_u32_e32 0x7f, v30
	s_cbranch_execz .LBB430_856
; %bb.853:                              ;   in Loop: Header=BB430_10 Depth=1
	v_and_b32_e32 v20, 7, v48
	v_lshrrev_b32_e32 v53, 3, v30
	v_cmp_gt_u32_e64 s2, 8, v30
	s_delay_alu instid0(VALU_DEP_3) | instskip(NEXT) | instid1(VALU_DEP_2)
	v_dual_mov_b32 v31, v21 :: v_dual_mov_b32 v30, v20
	s_and_saveexec_b32 s21, s2
; %bb.854:                              ;   in Loop: Header=BB430_10 Depth=1
	v_clz_i32_u32_e32 v30, v20
	s_delay_alu instid0(VALU_DEP_1) | instskip(NEXT) | instid1(VALU_DEP_1)
	v_min_u32_e32 v53, 32, v30
	v_subrev_nc_u32_e32 v30, 28, v53
	v_sub_nc_u32_e32 v53, 29, v53
	s_delay_alu instid0(VALU_DEP_2) | instskip(NEXT) | instid1(VALU_DEP_1)
	v_lshlrev_b64 v[30:31], v30, v[20:21]
	v_and_b32_e32 v30, 7, v30
; %bb.855:                              ;   in Loop: Header=BB430_10 Depth=1
	s_or_b32 exec_lo, exec_lo, s21
	v_lshlrev_b32_e32 v20, 24, v48
	s_delay_alu instid0(VALU_DEP_2) | instskip(SKIP_1) | instid1(VALU_DEP_3)
	v_lshlrev_b32_e32 v30, 20, v30
	v_lshl_add_u32 v31, v53, 23, 0x3c000000
	v_and_b32_e32 v20, 0x80000000, v20
	s_delay_alu instid0(VALU_DEP_1)
	v_or3_b32 v20, v30, v20, v31
.LBB430_856:                            ;   in Loop: Header=BB430_10 Depth=1
	s_or_b32 exec_lo, exec_lo, s20
.LBB430_857:                            ;   in Loop: Header=BB430_10 Depth=1
	s_delay_alu instid0(SALU_CYCLE_1)
	s_or_b32 exec_lo, exec_lo, s19
.LBB430_858:                            ;   in Loop: Header=BB430_10 Depth=1
	s_delay_alu instid0(SALU_CYCLE_1) | instskip(NEXT) | instid1(VALU_DEP_1)
	s_or_b32 exec_lo, exec_lo, s3
	v_mul_f32_e32 v20, v107, v20
                                        ; implicit-def: $vgpr48
	s_delay_alu instid0(VALU_DEP_1) | instskip(NEXT) | instid1(VALU_DEP_1)
	v_and_b32_e32 v30, 0x7f800000, v20
	v_cmp_ne_u32_e64 s2, 0x7f800000, v30
	s_delay_alu instid0(VALU_DEP_1) | instskip(NEXT) | instid1(SALU_CYCLE_1)
	s_and_saveexec_b32 s3, s2
	s_xor_b32 s2, exec_lo, s3
; %bb.859:                              ;   in Loop: Header=BB430_10 Depth=1
	v_bfe_u32 v30, v20, 16, 1
	s_delay_alu instid0(VALU_DEP_1)
	v_add3_u32 v48, v20, v30, 0x7fff
                                        ; implicit-def: $vgpr20
; %bb.860:                              ;   in Loop: Header=BB430_10 Depth=1
	s_and_not1_saveexec_b32 s3, s2
; %bb.861:                              ;   in Loop: Header=BB430_10 Depth=1
	v_and_b32_e32 v30, 0xffff, v20
	v_or_b32_e32 v31, 0x10000, v20
	s_delay_alu instid0(VALU_DEP_2) | instskip(NEXT) | instid1(VALU_DEP_1)
	v_cmp_eq_u32_e64 s2, 0, v30
	v_cndmask_b32_e64 v48, v31, v20, s2
; %bb.862:                              ;   in Loop: Header=BB430_10 Depth=1
	s_or_b32 exec_lo, exec_lo, s3
	v_mov_b32_e32 v20, 0
	s_mov_b32 s3, exec_lo
	v_cmpx_lt_u32_e32 0xffffff, v52
	s_cbranch_execz .LBB430_870
; %bb.863:                              ;   in Loop: Header=BB430_10 Depth=1
	v_lshrrev_b32_e32 v53, 24, v52
	v_bfrev_b32_e32 v20, 1
	s_mov_b32 s19, exec_lo
	s_delay_alu instid0(VALU_DEP_2)
	v_cmpx_ne_u32_e32 0x80, v53
	s_cbranch_execz .LBB430_869
; %bb.864:                              ;   in Loop: Header=BB430_10 Depth=1
	v_bfe_u32 v30, v52, 24, 7
	v_mov_b32_e32 v20, 0x7f800001
	s_mov_b32 s20, exec_lo
	s_delay_alu instid0(VALU_DEP_2)
	v_cmpx_ne_u32_e32 0x7f, v30
	s_cbranch_execz .LBB430_868
; %bb.865:                              ;   in Loop: Header=BB430_10 Depth=1
	v_and_b32_e32 v20, 7, v53
	v_lshrrev_b32_e32 v52, 3, v30
	v_cmp_gt_u32_e64 s2, 8, v30
	s_delay_alu instid0(VALU_DEP_3) | instskip(NEXT) | instid1(VALU_DEP_2)
	v_dual_mov_b32 v31, v21 :: v_dual_mov_b32 v30, v20
	s_and_saveexec_b32 s21, s2
; %bb.866:                              ;   in Loop: Header=BB430_10 Depth=1
	v_clz_i32_u32_e32 v30, v20
	s_delay_alu instid0(VALU_DEP_1) | instskip(NEXT) | instid1(VALU_DEP_1)
	v_min_u32_e32 v52, 32, v30
	v_subrev_nc_u32_e32 v30, 28, v52
	v_sub_nc_u32_e32 v52, 29, v52
	s_delay_alu instid0(VALU_DEP_2) | instskip(NEXT) | instid1(VALU_DEP_1)
	v_lshlrev_b64 v[30:31], v30, v[20:21]
	v_and_b32_e32 v30, 7, v30
; %bb.867:                              ;   in Loop: Header=BB430_10 Depth=1
	s_or_b32 exec_lo, exec_lo, s21
	v_lshlrev_b32_e32 v20, 24, v53
	s_delay_alu instid0(VALU_DEP_2) | instskip(SKIP_1) | instid1(VALU_DEP_3)
	v_lshlrev_b32_e32 v30, 20, v30
	v_lshl_add_u32 v31, v52, 23, 0x3c000000
	v_and_b32_e32 v20, 0x80000000, v20
	s_delay_alu instid0(VALU_DEP_1)
	v_or3_b32 v20, v30, v20, v31
.LBB430_868:                            ;   in Loop: Header=BB430_10 Depth=1
	s_or_b32 exec_lo, exec_lo, s20
.LBB430_869:                            ;   in Loop: Header=BB430_10 Depth=1
	s_delay_alu instid0(SALU_CYCLE_1)
	s_or_b32 exec_lo, exec_lo, s19
.LBB430_870:                            ;   in Loop: Header=BB430_10 Depth=1
	s_delay_alu instid0(SALU_CYCLE_1) | instskip(NEXT) | instid1(VALU_DEP_1)
	s_or_b32 exec_lo, exec_lo, s3
	v_mul_f32_e32 v20, v107, v20
                                        ; implicit-def: $vgpr52
	s_delay_alu instid0(VALU_DEP_1) | instskip(NEXT) | instid1(VALU_DEP_1)
	v_and_b32_e32 v30, 0x7f800000, v20
	v_cmp_ne_u32_e64 s2, 0x7f800000, v30
	s_delay_alu instid0(VALU_DEP_1) | instskip(NEXT) | instid1(SALU_CYCLE_1)
	s_and_saveexec_b32 s3, s2
	s_xor_b32 s2, exec_lo, s3
; %bb.871:                              ;   in Loop: Header=BB430_10 Depth=1
	v_bfe_u32 v30, v20, 16, 1
	s_delay_alu instid0(VALU_DEP_1)
	v_add3_u32 v52, v20, v30, 0x7fff
                                        ; implicit-def: $vgpr20
; %bb.872:                              ;   in Loop: Header=BB430_10 Depth=1
	s_and_not1_saveexec_b32 s3, s2
; %bb.873:                              ;   in Loop: Header=BB430_10 Depth=1
	v_and_b32_e32 v30, 0xffff, v20
	v_or_b32_e32 v31, 0x10000, v20
	s_delay_alu instid0(VALU_DEP_2) | instskip(NEXT) | instid1(VALU_DEP_1)
	v_cmp_eq_u32_e64 s2, 0, v30
	v_cndmask_b32_e64 v52, v31, v20, s2
; %bb.874:                              ;   in Loop: Header=BB430_10 Depth=1
	s_or_b32 exec_lo, exec_lo, s3
	flat_load_b32 v64, v[28:29] offset:2304
	v_mov_b32_e32 v20, 0
	s_mov_b32 s3, exec_lo
	s_waitcnt vmcnt(0) lgkmcnt(0)
	v_and_b32_e32 v30, 0xff, v64
	s_delay_alu instid0(VALU_DEP_1)
	v_cmpx_ne_u16_e32 0, v30
	s_cbranch_execz .LBB430_882
; %bb.875:                              ;   in Loop: Header=BB430_10 Depth=1
	v_bfrev_b32_e32 v20, 1
	s_mov_b32 s19, exec_lo
	v_cmpx_ne_u16_e32 0x80, v30
	s_cbranch_execz .LBB430_881
; %bb.876:                              ;   in Loop: Header=BB430_10 Depth=1
	v_and_b32_e32 v30, 0x7f, v64
	v_mov_b32_e32 v20, 0x7f800001
	s_mov_b32 s20, exec_lo
	s_delay_alu instid0(VALU_DEP_2)
	v_cmpx_ne_u32_e32 0x7f, v30
	s_cbranch_execz .LBB430_880
; %bb.877:                              ;   in Loop: Header=BB430_10 Depth=1
	v_and_b32_e32 v20, 7, v64
	v_lshrrev_b32_e32 v53, 3, v30
	v_cmp_gt_u32_e64 s2, 8, v30
	s_delay_alu instid0(VALU_DEP_3) | instskip(NEXT) | instid1(VALU_DEP_2)
	v_dual_mov_b32 v31, v21 :: v_dual_mov_b32 v30, v20
	s_and_saveexec_b32 s21, s2
; %bb.878:                              ;   in Loop: Header=BB430_10 Depth=1
	v_clz_i32_u32_e32 v30, v20
	s_delay_alu instid0(VALU_DEP_1) | instskip(NEXT) | instid1(VALU_DEP_1)
	v_min_u32_e32 v53, 32, v30
	v_subrev_nc_u32_e32 v30, 28, v53
	v_sub_nc_u32_e32 v53, 29, v53
	s_delay_alu instid0(VALU_DEP_2) | instskip(NEXT) | instid1(VALU_DEP_1)
	v_lshlrev_b64 v[30:31], v30, v[20:21]
	v_and_b32_e32 v30, 7, v30
; %bb.879:                              ;   in Loop: Header=BB430_10 Depth=1
	s_or_b32 exec_lo, exec_lo, s21
	v_lshlrev_b32_e32 v20, 24, v64
	s_delay_alu instid0(VALU_DEP_2) | instskip(SKIP_1) | instid1(VALU_DEP_3)
	v_lshlrev_b32_e32 v30, 20, v30
	v_lshl_add_u32 v31, v53, 23, 0x3c000000
	v_and_b32_e32 v20, 0x80000000, v20
	s_delay_alu instid0(VALU_DEP_1)
	v_or3_b32 v20, v30, v20, v31
.LBB430_880:                            ;   in Loop: Header=BB430_10 Depth=1
	s_or_b32 exec_lo, exec_lo, s20
.LBB430_881:                            ;   in Loop: Header=BB430_10 Depth=1
	s_delay_alu instid0(SALU_CYCLE_1)
	s_or_b32 exec_lo, exec_lo, s19
.LBB430_882:                            ;   in Loop: Header=BB430_10 Depth=1
	s_delay_alu instid0(SALU_CYCLE_1) | instskip(NEXT) | instid1(VALU_DEP_1)
	s_or_b32 exec_lo, exec_lo, s3
	v_mul_f32_e32 v20, v107, v20
                                        ; implicit-def: $vgpr53
	s_delay_alu instid0(VALU_DEP_1) | instskip(NEXT) | instid1(VALU_DEP_1)
	v_and_b32_e32 v30, 0x7f800000, v20
	v_cmp_ne_u32_e64 s2, 0x7f800000, v30
	s_delay_alu instid0(VALU_DEP_1) | instskip(NEXT) | instid1(SALU_CYCLE_1)
	s_and_saveexec_b32 s3, s2
	s_xor_b32 s2, exec_lo, s3
; %bb.883:                              ;   in Loop: Header=BB430_10 Depth=1
	v_bfe_u32 v30, v20, 16, 1
	s_delay_alu instid0(VALU_DEP_1)
	v_add3_u32 v53, v20, v30, 0x7fff
                                        ; implicit-def: $vgpr20
; %bb.884:                              ;   in Loop: Header=BB430_10 Depth=1
	s_and_not1_saveexec_b32 s3, s2
; %bb.885:                              ;   in Loop: Header=BB430_10 Depth=1
	v_and_b32_e32 v30, 0xffff, v20
	v_or_b32_e32 v31, 0x10000, v20
	s_delay_alu instid0(VALU_DEP_2) | instskip(NEXT) | instid1(VALU_DEP_1)
	v_cmp_eq_u32_e64 s2, 0, v30
	v_cndmask_b32_e64 v53, v31, v20, s2
; %bb.886:                              ;   in Loop: Header=BB430_10 Depth=1
	s_or_b32 exec_lo, exec_lo, s3
	v_lshrrev_b16 v30, 8, v64
	v_mov_b32_e32 v20, 0
	s_mov_b32 s3, exec_lo
	s_delay_alu instid0(VALU_DEP_2)
	v_cmpx_ne_u16_e32 0, v30
	s_cbranch_execz .LBB430_894
; %bb.887:                              ;   in Loop: Header=BB430_10 Depth=1
	v_bfrev_b32_e32 v20, 1
	s_mov_b32 s19, exec_lo
	v_cmpx_ne_u16_e32 0x80, v30
	s_cbranch_execz .LBB430_893
; %bb.888:                              ;   in Loop: Header=BB430_10 Depth=1
	v_and_b32_e32 v31, 0xffff, v30
	v_mov_b32_e32 v20, 0x7f800001
	s_mov_b32 s20, exec_lo
	s_delay_alu instid0(VALU_DEP_2) | instskip(NEXT) | instid1(VALU_DEP_1)
	v_and_b32_e32 v30, 0x7f, v31
	v_cmpx_ne_u32_e32 0x7f, v30
	s_cbranch_execz .LBB430_892
; %bb.889:                              ;   in Loop: Header=BB430_10 Depth=1
	v_and_b32_e32 v20, 7, v31
	v_lshrrev_b32_e32 v54, 3, v30
	v_cmp_gt_u32_e64 s2, 8, v30
	s_delay_alu instid0(VALU_DEP_3) | instskip(NEXT) | instid1(VALU_DEP_2)
	v_dual_mov_b32 v31, v21 :: v_dual_mov_b32 v30, v20
	s_and_saveexec_b32 s21, s2
; %bb.890:                              ;   in Loop: Header=BB430_10 Depth=1
	v_clz_i32_u32_e32 v30, v20
	s_delay_alu instid0(VALU_DEP_1) | instskip(NEXT) | instid1(VALU_DEP_1)
	v_min_u32_e32 v54, 32, v30
	v_subrev_nc_u32_e32 v30, 28, v54
	v_sub_nc_u32_e32 v54, 29, v54
	s_delay_alu instid0(VALU_DEP_2) | instskip(NEXT) | instid1(VALU_DEP_1)
	v_lshlrev_b64 v[30:31], v30, v[20:21]
	v_and_b32_e32 v30, 7, v30
; %bb.891:                              ;   in Loop: Header=BB430_10 Depth=1
	s_or_b32 exec_lo, exec_lo, s21
	v_lshlrev_b32_e32 v20, 16, v64
	s_delay_alu instid0(VALU_DEP_2) | instskip(SKIP_1) | instid1(VALU_DEP_3)
	v_lshlrev_b32_e32 v30, 20, v30
	v_lshl_add_u32 v31, v54, 23, 0x3c000000
	v_and_b32_e32 v20, 0x80000000, v20
	s_delay_alu instid0(VALU_DEP_1)
	v_or3_b32 v20, v30, v20, v31
.LBB430_892:                            ;   in Loop: Header=BB430_10 Depth=1
	s_or_b32 exec_lo, exec_lo, s20
.LBB430_893:                            ;   in Loop: Header=BB430_10 Depth=1
	s_delay_alu instid0(SALU_CYCLE_1)
	s_or_b32 exec_lo, exec_lo, s19
.LBB430_894:                            ;   in Loop: Header=BB430_10 Depth=1
	s_delay_alu instid0(SALU_CYCLE_1) | instskip(NEXT) | instid1(VALU_DEP_1)
	s_or_b32 exec_lo, exec_lo, s3
	v_mul_f32_e32 v20, v107, v20
                                        ; implicit-def: $vgpr54
	s_delay_alu instid0(VALU_DEP_1) | instskip(NEXT) | instid1(VALU_DEP_1)
	v_and_b32_e32 v30, 0x7f800000, v20
	v_cmp_ne_u32_e64 s2, 0x7f800000, v30
	s_delay_alu instid0(VALU_DEP_1) | instskip(NEXT) | instid1(SALU_CYCLE_1)
	s_and_saveexec_b32 s3, s2
	s_xor_b32 s2, exec_lo, s3
; %bb.895:                              ;   in Loop: Header=BB430_10 Depth=1
	v_bfe_u32 v30, v20, 16, 1
	s_delay_alu instid0(VALU_DEP_1)
	v_add3_u32 v54, v20, v30, 0x7fff
                                        ; implicit-def: $vgpr20
; %bb.896:                              ;   in Loop: Header=BB430_10 Depth=1
	s_and_not1_saveexec_b32 s3, s2
; %bb.897:                              ;   in Loop: Header=BB430_10 Depth=1
	v_and_b32_e32 v30, 0xffff, v20
	v_or_b32_e32 v31, 0x10000, v20
	s_delay_alu instid0(VALU_DEP_2) | instskip(NEXT) | instid1(VALU_DEP_1)
	v_cmp_eq_u32_e64 s2, 0, v30
	v_cndmask_b32_e64 v54, v31, v20, s2
; %bb.898:                              ;   in Loop: Header=BB430_10 Depth=1
	s_or_b32 exec_lo, exec_lo, s3
	v_lshrrev_b32_e32 v55, 16, v64
	v_mov_b32_e32 v20, 0
	s_mov_b32 s3, exec_lo
	s_delay_alu instid0(VALU_DEP_2) | instskip(NEXT) | instid1(VALU_DEP_1)
	v_and_b32_e32 v30, 0xff, v55
	v_cmpx_ne_u16_e32 0, v30
	s_cbranch_execz .LBB430_906
; %bb.899:                              ;   in Loop: Header=BB430_10 Depth=1
	v_bfrev_b32_e32 v20, 1
	s_mov_b32 s19, exec_lo
	v_cmpx_ne_u16_e32 0x80, v30
	s_cbranch_execz .LBB430_905
; %bb.900:                              ;   in Loop: Header=BB430_10 Depth=1
	v_bfe_u32 v30, v64, 16, 7
	v_mov_b32_e32 v20, 0x7f800001
	s_mov_b32 s20, exec_lo
	s_delay_alu instid0(VALU_DEP_2)
	v_cmpx_ne_u32_e32 0x7f, v30
	s_cbranch_execz .LBB430_904
; %bb.901:                              ;   in Loop: Header=BB430_10 Depth=1
	v_and_b32_e32 v20, 7, v55
	v_lshrrev_b32_e32 v65, 3, v30
	v_cmp_gt_u32_e64 s2, 8, v30
	s_delay_alu instid0(VALU_DEP_3) | instskip(NEXT) | instid1(VALU_DEP_2)
	v_dual_mov_b32 v31, v21 :: v_dual_mov_b32 v30, v20
	s_and_saveexec_b32 s21, s2
; %bb.902:                              ;   in Loop: Header=BB430_10 Depth=1
	v_clz_i32_u32_e32 v30, v20
	s_delay_alu instid0(VALU_DEP_1) | instskip(NEXT) | instid1(VALU_DEP_1)
	v_min_u32_e32 v65, 32, v30
	v_subrev_nc_u32_e32 v30, 28, v65
	v_sub_nc_u32_e32 v65, 29, v65
	s_delay_alu instid0(VALU_DEP_2) | instskip(NEXT) | instid1(VALU_DEP_1)
	v_lshlrev_b64 v[30:31], v30, v[20:21]
	v_and_b32_e32 v30, 7, v30
; %bb.903:                              ;   in Loop: Header=BB430_10 Depth=1
	s_or_b32 exec_lo, exec_lo, s21
	v_lshlrev_b32_e32 v20, 24, v55
	s_delay_alu instid0(VALU_DEP_2) | instskip(SKIP_1) | instid1(VALU_DEP_3)
	v_lshlrev_b32_e32 v30, 20, v30
	v_lshl_add_u32 v31, v65, 23, 0x3c000000
	v_and_b32_e32 v20, 0x80000000, v20
	s_delay_alu instid0(VALU_DEP_1)
	v_or3_b32 v20, v30, v20, v31
.LBB430_904:                            ;   in Loop: Header=BB430_10 Depth=1
	s_or_b32 exec_lo, exec_lo, s20
.LBB430_905:                            ;   in Loop: Header=BB430_10 Depth=1
	s_delay_alu instid0(SALU_CYCLE_1)
	s_or_b32 exec_lo, exec_lo, s19
.LBB430_906:                            ;   in Loop: Header=BB430_10 Depth=1
	s_delay_alu instid0(SALU_CYCLE_1) | instskip(NEXT) | instid1(VALU_DEP_1)
	s_or_b32 exec_lo, exec_lo, s3
	v_mul_f32_e32 v20, v107, v20
                                        ; implicit-def: $vgpr55
	s_delay_alu instid0(VALU_DEP_1) | instskip(NEXT) | instid1(VALU_DEP_1)
	v_and_b32_e32 v30, 0x7f800000, v20
	v_cmp_ne_u32_e64 s2, 0x7f800000, v30
	s_delay_alu instid0(VALU_DEP_1) | instskip(NEXT) | instid1(SALU_CYCLE_1)
	s_and_saveexec_b32 s3, s2
	s_xor_b32 s2, exec_lo, s3
; %bb.907:                              ;   in Loop: Header=BB430_10 Depth=1
	v_bfe_u32 v30, v20, 16, 1
	s_delay_alu instid0(VALU_DEP_1)
	v_add3_u32 v55, v20, v30, 0x7fff
                                        ; implicit-def: $vgpr20
; %bb.908:                              ;   in Loop: Header=BB430_10 Depth=1
	s_and_not1_saveexec_b32 s3, s2
; %bb.909:                              ;   in Loop: Header=BB430_10 Depth=1
	v_and_b32_e32 v30, 0xffff, v20
	v_or_b32_e32 v31, 0x10000, v20
	s_delay_alu instid0(VALU_DEP_2) | instskip(NEXT) | instid1(VALU_DEP_1)
	v_cmp_eq_u32_e64 s2, 0, v30
	v_cndmask_b32_e64 v55, v31, v20, s2
; %bb.910:                              ;   in Loop: Header=BB430_10 Depth=1
	s_or_b32 exec_lo, exec_lo, s3
	v_mov_b32_e32 v20, 0
	s_mov_b32 s3, exec_lo
	v_cmpx_lt_u32_e32 0xffffff, v64
	s_cbranch_execz .LBB430_918
; %bb.911:                              ;   in Loop: Header=BB430_10 Depth=1
	v_lshrrev_b32_e32 v65, 24, v64
	v_bfrev_b32_e32 v20, 1
	s_mov_b32 s19, exec_lo
	s_delay_alu instid0(VALU_DEP_2)
	v_cmpx_ne_u32_e32 0x80, v65
	s_cbranch_execz .LBB430_917
; %bb.912:                              ;   in Loop: Header=BB430_10 Depth=1
	v_bfe_u32 v30, v64, 24, 7
	v_mov_b32_e32 v20, 0x7f800001
	s_mov_b32 s20, exec_lo
	s_delay_alu instid0(VALU_DEP_2)
	v_cmpx_ne_u32_e32 0x7f, v30
	s_cbranch_execz .LBB430_916
; %bb.913:                              ;   in Loop: Header=BB430_10 Depth=1
	v_and_b32_e32 v20, 7, v65
	v_lshrrev_b32_e32 v64, 3, v30
	v_cmp_gt_u32_e64 s2, 8, v30
	s_delay_alu instid0(VALU_DEP_3) | instskip(NEXT) | instid1(VALU_DEP_2)
	v_dual_mov_b32 v31, v21 :: v_dual_mov_b32 v30, v20
	s_and_saveexec_b32 s21, s2
; %bb.914:                              ;   in Loop: Header=BB430_10 Depth=1
	v_clz_i32_u32_e32 v30, v20
	s_delay_alu instid0(VALU_DEP_1) | instskip(NEXT) | instid1(VALU_DEP_1)
	v_min_u32_e32 v64, 32, v30
	v_subrev_nc_u32_e32 v30, 28, v64
	v_sub_nc_u32_e32 v64, 29, v64
	s_delay_alu instid0(VALU_DEP_2) | instskip(NEXT) | instid1(VALU_DEP_1)
	v_lshlrev_b64 v[30:31], v30, v[20:21]
	v_and_b32_e32 v30, 7, v30
; %bb.915:                              ;   in Loop: Header=BB430_10 Depth=1
	s_or_b32 exec_lo, exec_lo, s21
	v_lshlrev_b32_e32 v20, 24, v65
	s_delay_alu instid0(VALU_DEP_2) | instskip(SKIP_1) | instid1(VALU_DEP_3)
	v_lshlrev_b32_e32 v30, 20, v30
	v_lshl_add_u32 v31, v64, 23, 0x3c000000
	v_and_b32_e32 v20, 0x80000000, v20
	s_delay_alu instid0(VALU_DEP_1)
	v_or3_b32 v20, v30, v20, v31
.LBB430_916:                            ;   in Loop: Header=BB430_10 Depth=1
	s_or_b32 exec_lo, exec_lo, s20
.LBB430_917:                            ;   in Loop: Header=BB430_10 Depth=1
	s_delay_alu instid0(SALU_CYCLE_1)
	s_or_b32 exec_lo, exec_lo, s19
.LBB430_918:                            ;   in Loop: Header=BB430_10 Depth=1
	s_delay_alu instid0(SALU_CYCLE_1) | instskip(NEXT) | instid1(VALU_DEP_1)
	s_or_b32 exec_lo, exec_lo, s3
	v_mul_f32_e32 v20, v107, v20
                                        ; implicit-def: $vgpr64
	s_delay_alu instid0(VALU_DEP_1) | instskip(NEXT) | instid1(VALU_DEP_1)
	v_and_b32_e32 v30, 0x7f800000, v20
	v_cmp_ne_u32_e64 s2, 0x7f800000, v30
	s_delay_alu instid0(VALU_DEP_1) | instskip(NEXT) | instid1(SALU_CYCLE_1)
	s_and_saveexec_b32 s3, s2
	s_xor_b32 s2, exec_lo, s3
; %bb.919:                              ;   in Loop: Header=BB430_10 Depth=1
	v_bfe_u32 v30, v20, 16, 1
	s_delay_alu instid0(VALU_DEP_1)
	v_add3_u32 v64, v20, v30, 0x7fff
                                        ; implicit-def: $vgpr20
; %bb.920:                              ;   in Loop: Header=BB430_10 Depth=1
	s_and_not1_saveexec_b32 s3, s2
; %bb.921:                              ;   in Loop: Header=BB430_10 Depth=1
	v_and_b32_e32 v30, 0xffff, v20
	v_or_b32_e32 v31, 0x10000, v20
	s_delay_alu instid0(VALU_DEP_2) | instskip(NEXT) | instid1(VALU_DEP_1)
	v_cmp_eq_u32_e64 s2, 0, v30
	v_cndmask_b32_e64 v64, v31, v20, s2
; %bb.922:                              ;   in Loop: Header=BB430_10 Depth=1
	s_or_b32 exec_lo, exec_lo, s3
	flat_load_b32 v68, v[28:29] offset:2312
	v_mov_b32_e32 v20, 0
	s_mov_b32 s3, exec_lo
	s_waitcnt vmcnt(0) lgkmcnt(0)
	v_and_b32_e32 v30, 0xff, v68
	s_delay_alu instid0(VALU_DEP_1)
	v_cmpx_ne_u16_e32 0, v30
	s_cbranch_execz .LBB430_930
; %bb.923:                              ;   in Loop: Header=BB430_10 Depth=1
	v_bfrev_b32_e32 v20, 1
	s_mov_b32 s19, exec_lo
	v_cmpx_ne_u16_e32 0x80, v30
	s_cbranch_execz .LBB430_929
; %bb.924:                              ;   in Loop: Header=BB430_10 Depth=1
	v_and_b32_e32 v30, 0x7f, v68
	v_mov_b32_e32 v20, 0x7f800001
	s_mov_b32 s20, exec_lo
	s_delay_alu instid0(VALU_DEP_2)
	v_cmpx_ne_u32_e32 0x7f, v30
	s_cbranch_execz .LBB430_928
; %bb.925:                              ;   in Loop: Header=BB430_10 Depth=1
	v_and_b32_e32 v20, 7, v68
	v_lshrrev_b32_e32 v65, 3, v30
	v_cmp_gt_u32_e64 s2, 8, v30
	s_delay_alu instid0(VALU_DEP_3) | instskip(NEXT) | instid1(VALU_DEP_2)
	v_dual_mov_b32 v31, v21 :: v_dual_mov_b32 v30, v20
	s_and_saveexec_b32 s21, s2
; %bb.926:                              ;   in Loop: Header=BB430_10 Depth=1
	v_clz_i32_u32_e32 v30, v20
	s_delay_alu instid0(VALU_DEP_1) | instskip(NEXT) | instid1(VALU_DEP_1)
	v_min_u32_e32 v65, 32, v30
	v_subrev_nc_u32_e32 v30, 28, v65
	v_sub_nc_u32_e32 v65, 29, v65
	s_delay_alu instid0(VALU_DEP_2) | instskip(NEXT) | instid1(VALU_DEP_1)
	v_lshlrev_b64 v[30:31], v30, v[20:21]
	v_and_b32_e32 v30, 7, v30
; %bb.927:                              ;   in Loop: Header=BB430_10 Depth=1
	s_or_b32 exec_lo, exec_lo, s21
	v_lshlrev_b32_e32 v20, 24, v68
	s_delay_alu instid0(VALU_DEP_2) | instskip(SKIP_1) | instid1(VALU_DEP_3)
	v_lshlrev_b32_e32 v30, 20, v30
	v_lshl_add_u32 v31, v65, 23, 0x3c000000
	v_and_b32_e32 v20, 0x80000000, v20
	s_delay_alu instid0(VALU_DEP_1)
	v_or3_b32 v20, v30, v20, v31
.LBB430_928:                            ;   in Loop: Header=BB430_10 Depth=1
	s_or_b32 exec_lo, exec_lo, s20
.LBB430_929:                            ;   in Loop: Header=BB430_10 Depth=1
	s_delay_alu instid0(SALU_CYCLE_1)
	s_or_b32 exec_lo, exec_lo, s19
.LBB430_930:                            ;   in Loop: Header=BB430_10 Depth=1
	s_delay_alu instid0(SALU_CYCLE_1) | instskip(NEXT) | instid1(VALU_DEP_1)
	s_or_b32 exec_lo, exec_lo, s3
	v_mul_f32_e32 v20, v107, v20
                                        ; implicit-def: $vgpr65
	s_delay_alu instid0(VALU_DEP_1) | instskip(NEXT) | instid1(VALU_DEP_1)
	v_and_b32_e32 v30, 0x7f800000, v20
	v_cmp_ne_u32_e64 s2, 0x7f800000, v30
	s_delay_alu instid0(VALU_DEP_1) | instskip(NEXT) | instid1(SALU_CYCLE_1)
	s_and_saveexec_b32 s3, s2
	s_xor_b32 s2, exec_lo, s3
; %bb.931:                              ;   in Loop: Header=BB430_10 Depth=1
	v_bfe_u32 v30, v20, 16, 1
	s_delay_alu instid0(VALU_DEP_1)
	v_add3_u32 v65, v20, v30, 0x7fff
                                        ; implicit-def: $vgpr20
; %bb.932:                              ;   in Loop: Header=BB430_10 Depth=1
	s_and_not1_saveexec_b32 s3, s2
; %bb.933:                              ;   in Loop: Header=BB430_10 Depth=1
	v_and_b32_e32 v30, 0xffff, v20
	v_or_b32_e32 v31, 0x10000, v20
	s_delay_alu instid0(VALU_DEP_2) | instskip(NEXT) | instid1(VALU_DEP_1)
	v_cmp_eq_u32_e64 s2, 0, v30
	v_cndmask_b32_e64 v65, v31, v20, s2
; %bb.934:                              ;   in Loop: Header=BB430_10 Depth=1
	s_or_b32 exec_lo, exec_lo, s3
	v_lshrrev_b16 v30, 8, v68
	v_mov_b32_e32 v20, 0
	s_mov_b32 s3, exec_lo
	s_delay_alu instid0(VALU_DEP_2)
	v_cmpx_ne_u16_e32 0, v30
	s_cbranch_execz .LBB430_942
; %bb.935:                              ;   in Loop: Header=BB430_10 Depth=1
	v_bfrev_b32_e32 v20, 1
	s_mov_b32 s19, exec_lo
	v_cmpx_ne_u16_e32 0x80, v30
	s_cbranch_execz .LBB430_941
; %bb.936:                              ;   in Loop: Header=BB430_10 Depth=1
	v_and_b32_e32 v31, 0xffff, v30
	v_mov_b32_e32 v20, 0x7f800001
	s_mov_b32 s20, exec_lo
	s_delay_alu instid0(VALU_DEP_2) | instskip(NEXT) | instid1(VALU_DEP_1)
	v_and_b32_e32 v30, 0x7f, v31
	v_cmpx_ne_u32_e32 0x7f, v30
	s_cbranch_execz .LBB430_940
; %bb.937:                              ;   in Loop: Header=BB430_10 Depth=1
	v_and_b32_e32 v20, 7, v31
	v_lshrrev_b32_e32 v66, 3, v30
	v_cmp_gt_u32_e64 s2, 8, v30
	s_delay_alu instid0(VALU_DEP_3) | instskip(NEXT) | instid1(VALU_DEP_2)
	v_dual_mov_b32 v31, v21 :: v_dual_mov_b32 v30, v20
	s_and_saveexec_b32 s21, s2
; %bb.938:                              ;   in Loop: Header=BB430_10 Depth=1
	v_clz_i32_u32_e32 v30, v20
	s_delay_alu instid0(VALU_DEP_1) | instskip(NEXT) | instid1(VALU_DEP_1)
	v_min_u32_e32 v66, 32, v30
	v_subrev_nc_u32_e32 v30, 28, v66
	v_sub_nc_u32_e32 v66, 29, v66
	s_delay_alu instid0(VALU_DEP_2) | instskip(NEXT) | instid1(VALU_DEP_1)
	v_lshlrev_b64 v[30:31], v30, v[20:21]
	v_and_b32_e32 v30, 7, v30
; %bb.939:                              ;   in Loop: Header=BB430_10 Depth=1
	s_or_b32 exec_lo, exec_lo, s21
	v_lshlrev_b32_e32 v20, 16, v68
	s_delay_alu instid0(VALU_DEP_2) | instskip(SKIP_1) | instid1(VALU_DEP_3)
	v_lshlrev_b32_e32 v30, 20, v30
	v_lshl_add_u32 v31, v66, 23, 0x3c000000
	v_and_b32_e32 v20, 0x80000000, v20
	s_delay_alu instid0(VALU_DEP_1)
	v_or3_b32 v20, v30, v20, v31
.LBB430_940:                            ;   in Loop: Header=BB430_10 Depth=1
	s_or_b32 exec_lo, exec_lo, s20
.LBB430_941:                            ;   in Loop: Header=BB430_10 Depth=1
	s_delay_alu instid0(SALU_CYCLE_1)
	s_or_b32 exec_lo, exec_lo, s19
.LBB430_942:                            ;   in Loop: Header=BB430_10 Depth=1
	s_delay_alu instid0(SALU_CYCLE_1) | instskip(NEXT) | instid1(VALU_DEP_1)
	s_or_b32 exec_lo, exec_lo, s3
	v_mul_f32_e32 v20, v107, v20
                                        ; implicit-def: $vgpr66
	s_delay_alu instid0(VALU_DEP_1) | instskip(NEXT) | instid1(VALU_DEP_1)
	v_and_b32_e32 v30, 0x7f800000, v20
	v_cmp_ne_u32_e64 s2, 0x7f800000, v30
	s_delay_alu instid0(VALU_DEP_1) | instskip(NEXT) | instid1(SALU_CYCLE_1)
	s_and_saveexec_b32 s3, s2
	s_xor_b32 s2, exec_lo, s3
; %bb.943:                              ;   in Loop: Header=BB430_10 Depth=1
	v_bfe_u32 v30, v20, 16, 1
	s_delay_alu instid0(VALU_DEP_1)
	v_add3_u32 v66, v20, v30, 0x7fff
                                        ; implicit-def: $vgpr20
; %bb.944:                              ;   in Loop: Header=BB430_10 Depth=1
	s_and_not1_saveexec_b32 s3, s2
; %bb.945:                              ;   in Loop: Header=BB430_10 Depth=1
	v_and_b32_e32 v30, 0xffff, v20
	v_or_b32_e32 v31, 0x10000, v20
	s_delay_alu instid0(VALU_DEP_2) | instskip(NEXT) | instid1(VALU_DEP_1)
	v_cmp_eq_u32_e64 s2, 0, v30
	v_cndmask_b32_e64 v66, v31, v20, s2
; %bb.946:                              ;   in Loop: Header=BB430_10 Depth=1
	s_or_b32 exec_lo, exec_lo, s3
	v_lshrrev_b32_e32 v67, 16, v68
	v_mov_b32_e32 v20, 0
	s_mov_b32 s3, exec_lo
	s_delay_alu instid0(VALU_DEP_2) | instskip(NEXT) | instid1(VALU_DEP_1)
	v_and_b32_e32 v30, 0xff, v67
	v_cmpx_ne_u16_e32 0, v30
	s_cbranch_execz .LBB430_954
; %bb.947:                              ;   in Loop: Header=BB430_10 Depth=1
	v_bfrev_b32_e32 v20, 1
	s_mov_b32 s19, exec_lo
	v_cmpx_ne_u16_e32 0x80, v30
	s_cbranch_execz .LBB430_953
; %bb.948:                              ;   in Loop: Header=BB430_10 Depth=1
	v_bfe_u32 v30, v68, 16, 7
	v_mov_b32_e32 v20, 0x7f800001
	s_mov_b32 s20, exec_lo
	s_delay_alu instid0(VALU_DEP_2)
	v_cmpx_ne_u32_e32 0x7f, v30
	s_cbranch_execz .LBB430_952
; %bb.949:                              ;   in Loop: Header=BB430_10 Depth=1
	v_and_b32_e32 v20, 7, v67
	v_lshrrev_b32_e32 v69, 3, v30
	v_cmp_gt_u32_e64 s2, 8, v30
	s_delay_alu instid0(VALU_DEP_3) | instskip(NEXT) | instid1(VALU_DEP_2)
	v_dual_mov_b32 v31, v21 :: v_dual_mov_b32 v30, v20
	s_and_saveexec_b32 s21, s2
; %bb.950:                              ;   in Loop: Header=BB430_10 Depth=1
	v_clz_i32_u32_e32 v30, v20
	s_delay_alu instid0(VALU_DEP_1) | instskip(NEXT) | instid1(VALU_DEP_1)
	v_min_u32_e32 v69, 32, v30
	v_subrev_nc_u32_e32 v30, 28, v69
	v_sub_nc_u32_e32 v69, 29, v69
	s_delay_alu instid0(VALU_DEP_2) | instskip(NEXT) | instid1(VALU_DEP_1)
	v_lshlrev_b64 v[30:31], v30, v[20:21]
	v_and_b32_e32 v30, 7, v30
; %bb.951:                              ;   in Loop: Header=BB430_10 Depth=1
	s_or_b32 exec_lo, exec_lo, s21
	v_lshlrev_b32_e32 v20, 24, v67
	s_delay_alu instid0(VALU_DEP_2) | instskip(SKIP_1) | instid1(VALU_DEP_3)
	v_lshlrev_b32_e32 v30, 20, v30
	v_lshl_add_u32 v31, v69, 23, 0x3c000000
	v_and_b32_e32 v20, 0x80000000, v20
	s_delay_alu instid0(VALU_DEP_1)
	v_or3_b32 v20, v30, v20, v31
.LBB430_952:                            ;   in Loop: Header=BB430_10 Depth=1
	s_or_b32 exec_lo, exec_lo, s20
.LBB430_953:                            ;   in Loop: Header=BB430_10 Depth=1
	s_delay_alu instid0(SALU_CYCLE_1)
	s_or_b32 exec_lo, exec_lo, s19
.LBB430_954:                            ;   in Loop: Header=BB430_10 Depth=1
	s_delay_alu instid0(SALU_CYCLE_1) | instskip(NEXT) | instid1(VALU_DEP_1)
	s_or_b32 exec_lo, exec_lo, s3
	v_mul_f32_e32 v20, v107, v20
                                        ; implicit-def: $vgpr67
	s_delay_alu instid0(VALU_DEP_1) | instskip(NEXT) | instid1(VALU_DEP_1)
	v_and_b32_e32 v30, 0x7f800000, v20
	v_cmp_ne_u32_e64 s2, 0x7f800000, v30
	s_delay_alu instid0(VALU_DEP_1) | instskip(NEXT) | instid1(SALU_CYCLE_1)
	s_and_saveexec_b32 s3, s2
	s_xor_b32 s2, exec_lo, s3
; %bb.955:                              ;   in Loop: Header=BB430_10 Depth=1
	v_bfe_u32 v30, v20, 16, 1
	s_delay_alu instid0(VALU_DEP_1)
	v_add3_u32 v67, v20, v30, 0x7fff
                                        ; implicit-def: $vgpr20
; %bb.956:                              ;   in Loop: Header=BB430_10 Depth=1
	s_and_not1_saveexec_b32 s3, s2
; %bb.957:                              ;   in Loop: Header=BB430_10 Depth=1
	v_and_b32_e32 v30, 0xffff, v20
	v_or_b32_e32 v31, 0x10000, v20
	s_delay_alu instid0(VALU_DEP_2) | instskip(NEXT) | instid1(VALU_DEP_1)
	v_cmp_eq_u32_e64 s2, 0, v30
	v_cndmask_b32_e64 v67, v31, v20, s2
; %bb.958:                              ;   in Loop: Header=BB430_10 Depth=1
	s_or_b32 exec_lo, exec_lo, s3
	v_mov_b32_e32 v20, 0
	s_mov_b32 s3, exec_lo
	v_cmpx_lt_u32_e32 0xffffff, v68
	s_cbranch_execz .LBB430_966
; %bb.959:                              ;   in Loop: Header=BB430_10 Depth=1
	v_lshrrev_b32_e32 v69, 24, v68
	v_bfrev_b32_e32 v20, 1
	s_mov_b32 s19, exec_lo
	s_delay_alu instid0(VALU_DEP_2)
	v_cmpx_ne_u32_e32 0x80, v69
	s_cbranch_execz .LBB430_965
; %bb.960:                              ;   in Loop: Header=BB430_10 Depth=1
	v_bfe_u32 v30, v68, 24, 7
	v_mov_b32_e32 v20, 0x7f800001
	s_mov_b32 s20, exec_lo
	s_delay_alu instid0(VALU_DEP_2)
	v_cmpx_ne_u32_e32 0x7f, v30
	s_cbranch_execz .LBB430_964
; %bb.961:                              ;   in Loop: Header=BB430_10 Depth=1
	v_and_b32_e32 v20, 7, v69
	v_lshrrev_b32_e32 v68, 3, v30
	v_cmp_gt_u32_e64 s2, 8, v30
	s_delay_alu instid0(VALU_DEP_3) | instskip(NEXT) | instid1(VALU_DEP_2)
	v_dual_mov_b32 v31, v21 :: v_dual_mov_b32 v30, v20
	s_and_saveexec_b32 s21, s2
; %bb.962:                              ;   in Loop: Header=BB430_10 Depth=1
	v_clz_i32_u32_e32 v30, v20
	s_delay_alu instid0(VALU_DEP_1) | instskip(NEXT) | instid1(VALU_DEP_1)
	v_min_u32_e32 v68, 32, v30
	v_subrev_nc_u32_e32 v30, 28, v68
	v_sub_nc_u32_e32 v68, 29, v68
	s_delay_alu instid0(VALU_DEP_2) | instskip(NEXT) | instid1(VALU_DEP_1)
	v_lshlrev_b64 v[30:31], v30, v[20:21]
	v_and_b32_e32 v30, 7, v30
; %bb.963:                              ;   in Loop: Header=BB430_10 Depth=1
	s_or_b32 exec_lo, exec_lo, s21
	v_lshlrev_b32_e32 v20, 24, v69
	s_delay_alu instid0(VALU_DEP_2) | instskip(SKIP_1) | instid1(VALU_DEP_3)
	v_lshlrev_b32_e32 v30, 20, v30
	v_lshl_add_u32 v31, v68, 23, 0x3c000000
	v_and_b32_e32 v20, 0x80000000, v20
	s_delay_alu instid0(VALU_DEP_1)
	v_or3_b32 v20, v30, v20, v31
.LBB430_964:                            ;   in Loop: Header=BB430_10 Depth=1
	s_or_b32 exec_lo, exec_lo, s20
.LBB430_965:                            ;   in Loop: Header=BB430_10 Depth=1
	s_delay_alu instid0(SALU_CYCLE_1)
	s_or_b32 exec_lo, exec_lo, s19
.LBB430_966:                            ;   in Loop: Header=BB430_10 Depth=1
	s_delay_alu instid0(SALU_CYCLE_1) | instskip(NEXT) | instid1(VALU_DEP_1)
	s_or_b32 exec_lo, exec_lo, s3
	v_mul_f32_e32 v20, v107, v20
                                        ; implicit-def: $vgpr68
	s_delay_alu instid0(VALU_DEP_1) | instskip(NEXT) | instid1(VALU_DEP_1)
	v_and_b32_e32 v30, 0x7f800000, v20
	v_cmp_ne_u32_e64 s2, 0x7f800000, v30
	s_delay_alu instid0(VALU_DEP_1) | instskip(NEXT) | instid1(SALU_CYCLE_1)
	s_and_saveexec_b32 s3, s2
	s_xor_b32 s2, exec_lo, s3
; %bb.967:                              ;   in Loop: Header=BB430_10 Depth=1
	v_bfe_u32 v30, v20, 16, 1
	s_delay_alu instid0(VALU_DEP_1)
	v_add3_u32 v68, v20, v30, 0x7fff
                                        ; implicit-def: $vgpr20
; %bb.968:                              ;   in Loop: Header=BB430_10 Depth=1
	s_and_not1_saveexec_b32 s3, s2
; %bb.969:                              ;   in Loop: Header=BB430_10 Depth=1
	v_and_b32_e32 v30, 0xffff, v20
	v_or_b32_e32 v31, 0x10000, v20
	s_delay_alu instid0(VALU_DEP_2) | instskip(NEXT) | instid1(VALU_DEP_1)
	v_cmp_eq_u32_e64 s2, 0, v30
	v_cndmask_b32_e64 v68, v31, v20, s2
; %bb.970:                              ;   in Loop: Header=BB430_10 Depth=1
	s_or_b32 exec_lo, exec_lo, s3
	flat_load_b32 v80, v[28:29] offset:2560
	v_mov_b32_e32 v20, 0
	s_mov_b32 s3, exec_lo
	s_waitcnt vmcnt(0) lgkmcnt(0)
	v_and_b32_e32 v30, 0xff, v80
	s_delay_alu instid0(VALU_DEP_1)
	v_cmpx_ne_u16_e32 0, v30
	s_cbranch_execz .LBB430_978
; %bb.971:                              ;   in Loop: Header=BB430_10 Depth=1
	v_bfrev_b32_e32 v20, 1
	s_mov_b32 s19, exec_lo
	v_cmpx_ne_u16_e32 0x80, v30
	s_cbranch_execz .LBB430_977
; %bb.972:                              ;   in Loop: Header=BB430_10 Depth=1
	v_and_b32_e32 v30, 0x7f, v80
	v_mov_b32_e32 v20, 0x7f800001
	s_mov_b32 s20, exec_lo
	s_delay_alu instid0(VALU_DEP_2)
	v_cmpx_ne_u32_e32 0x7f, v30
	s_cbranch_execz .LBB430_976
; %bb.973:                              ;   in Loop: Header=BB430_10 Depth=1
	v_and_b32_e32 v20, 7, v80
	v_lshrrev_b32_e32 v69, 3, v30
	v_cmp_gt_u32_e64 s2, 8, v30
	s_delay_alu instid0(VALU_DEP_3) | instskip(NEXT) | instid1(VALU_DEP_2)
	v_dual_mov_b32 v31, v21 :: v_dual_mov_b32 v30, v20
	s_and_saveexec_b32 s21, s2
; %bb.974:                              ;   in Loop: Header=BB430_10 Depth=1
	v_clz_i32_u32_e32 v30, v20
	s_delay_alu instid0(VALU_DEP_1) | instskip(NEXT) | instid1(VALU_DEP_1)
	v_min_u32_e32 v69, 32, v30
	v_subrev_nc_u32_e32 v30, 28, v69
	v_sub_nc_u32_e32 v69, 29, v69
	s_delay_alu instid0(VALU_DEP_2) | instskip(NEXT) | instid1(VALU_DEP_1)
	v_lshlrev_b64 v[30:31], v30, v[20:21]
	v_and_b32_e32 v30, 7, v30
; %bb.975:                              ;   in Loop: Header=BB430_10 Depth=1
	s_or_b32 exec_lo, exec_lo, s21
	v_lshlrev_b32_e32 v20, 24, v80
	s_delay_alu instid0(VALU_DEP_2) | instskip(SKIP_1) | instid1(VALU_DEP_3)
	v_lshlrev_b32_e32 v30, 20, v30
	v_lshl_add_u32 v31, v69, 23, 0x3c000000
	v_and_b32_e32 v20, 0x80000000, v20
	s_delay_alu instid0(VALU_DEP_1)
	v_or3_b32 v20, v30, v20, v31
.LBB430_976:                            ;   in Loop: Header=BB430_10 Depth=1
	s_or_b32 exec_lo, exec_lo, s20
.LBB430_977:                            ;   in Loop: Header=BB430_10 Depth=1
	s_delay_alu instid0(SALU_CYCLE_1)
	s_or_b32 exec_lo, exec_lo, s19
.LBB430_978:                            ;   in Loop: Header=BB430_10 Depth=1
	s_delay_alu instid0(SALU_CYCLE_1) | instskip(NEXT) | instid1(VALU_DEP_1)
	s_or_b32 exec_lo, exec_lo, s3
	v_mul_f32_e32 v20, v107, v20
                                        ; implicit-def: $vgpr69
	s_delay_alu instid0(VALU_DEP_1) | instskip(NEXT) | instid1(VALU_DEP_1)
	v_and_b32_e32 v30, 0x7f800000, v20
	v_cmp_ne_u32_e64 s2, 0x7f800000, v30
	s_delay_alu instid0(VALU_DEP_1) | instskip(NEXT) | instid1(SALU_CYCLE_1)
	s_and_saveexec_b32 s3, s2
	s_xor_b32 s2, exec_lo, s3
; %bb.979:                              ;   in Loop: Header=BB430_10 Depth=1
	v_bfe_u32 v30, v20, 16, 1
	s_delay_alu instid0(VALU_DEP_1)
	v_add3_u32 v69, v20, v30, 0x7fff
                                        ; implicit-def: $vgpr20
; %bb.980:                              ;   in Loop: Header=BB430_10 Depth=1
	s_and_not1_saveexec_b32 s3, s2
; %bb.981:                              ;   in Loop: Header=BB430_10 Depth=1
	v_and_b32_e32 v30, 0xffff, v20
	v_or_b32_e32 v31, 0x10000, v20
	s_delay_alu instid0(VALU_DEP_2) | instskip(NEXT) | instid1(VALU_DEP_1)
	v_cmp_eq_u32_e64 s2, 0, v30
	v_cndmask_b32_e64 v69, v31, v20, s2
; %bb.982:                              ;   in Loop: Header=BB430_10 Depth=1
	s_or_b32 exec_lo, exec_lo, s3
	v_lshrrev_b16 v30, 8, v80
	v_mov_b32_e32 v20, 0
	s_mov_b32 s3, exec_lo
	s_delay_alu instid0(VALU_DEP_2)
	v_cmpx_ne_u16_e32 0, v30
	s_cbranch_execz .LBB430_990
; %bb.983:                              ;   in Loop: Header=BB430_10 Depth=1
	v_bfrev_b32_e32 v20, 1
	s_mov_b32 s19, exec_lo
	v_cmpx_ne_u16_e32 0x80, v30
	s_cbranch_execz .LBB430_989
; %bb.984:                              ;   in Loop: Header=BB430_10 Depth=1
	v_and_b32_e32 v31, 0xffff, v30
	v_mov_b32_e32 v20, 0x7f800001
	s_mov_b32 s20, exec_lo
	s_delay_alu instid0(VALU_DEP_2) | instskip(NEXT) | instid1(VALU_DEP_1)
	v_and_b32_e32 v30, 0x7f, v31
	v_cmpx_ne_u32_e32 0x7f, v30
	s_cbranch_execz .LBB430_988
; %bb.985:                              ;   in Loop: Header=BB430_10 Depth=1
	v_and_b32_e32 v20, 7, v31
	v_lshrrev_b32_e32 v70, 3, v30
	v_cmp_gt_u32_e64 s2, 8, v30
	s_delay_alu instid0(VALU_DEP_3) | instskip(NEXT) | instid1(VALU_DEP_2)
	v_dual_mov_b32 v31, v21 :: v_dual_mov_b32 v30, v20
	s_and_saveexec_b32 s21, s2
; %bb.986:                              ;   in Loop: Header=BB430_10 Depth=1
	v_clz_i32_u32_e32 v30, v20
	s_delay_alu instid0(VALU_DEP_1) | instskip(NEXT) | instid1(VALU_DEP_1)
	v_min_u32_e32 v70, 32, v30
	v_subrev_nc_u32_e32 v30, 28, v70
	v_sub_nc_u32_e32 v70, 29, v70
	s_delay_alu instid0(VALU_DEP_2) | instskip(NEXT) | instid1(VALU_DEP_1)
	v_lshlrev_b64 v[30:31], v30, v[20:21]
	v_and_b32_e32 v30, 7, v30
; %bb.987:                              ;   in Loop: Header=BB430_10 Depth=1
	s_or_b32 exec_lo, exec_lo, s21
	v_lshlrev_b32_e32 v20, 16, v80
	s_delay_alu instid0(VALU_DEP_2) | instskip(SKIP_1) | instid1(VALU_DEP_3)
	v_lshlrev_b32_e32 v30, 20, v30
	v_lshl_add_u32 v31, v70, 23, 0x3c000000
	v_and_b32_e32 v20, 0x80000000, v20
	s_delay_alu instid0(VALU_DEP_1)
	v_or3_b32 v20, v30, v20, v31
.LBB430_988:                            ;   in Loop: Header=BB430_10 Depth=1
	s_or_b32 exec_lo, exec_lo, s20
.LBB430_989:                            ;   in Loop: Header=BB430_10 Depth=1
	s_delay_alu instid0(SALU_CYCLE_1)
	s_or_b32 exec_lo, exec_lo, s19
.LBB430_990:                            ;   in Loop: Header=BB430_10 Depth=1
	s_delay_alu instid0(SALU_CYCLE_1) | instskip(NEXT) | instid1(VALU_DEP_1)
	s_or_b32 exec_lo, exec_lo, s3
	v_mul_f32_e32 v20, v107, v20
                                        ; implicit-def: $vgpr70
	s_delay_alu instid0(VALU_DEP_1) | instskip(NEXT) | instid1(VALU_DEP_1)
	v_and_b32_e32 v30, 0x7f800000, v20
	v_cmp_ne_u32_e64 s2, 0x7f800000, v30
	s_delay_alu instid0(VALU_DEP_1) | instskip(NEXT) | instid1(SALU_CYCLE_1)
	s_and_saveexec_b32 s3, s2
	s_xor_b32 s2, exec_lo, s3
; %bb.991:                              ;   in Loop: Header=BB430_10 Depth=1
	v_bfe_u32 v30, v20, 16, 1
	s_delay_alu instid0(VALU_DEP_1)
	v_add3_u32 v70, v20, v30, 0x7fff
                                        ; implicit-def: $vgpr20
; %bb.992:                              ;   in Loop: Header=BB430_10 Depth=1
	s_and_not1_saveexec_b32 s3, s2
; %bb.993:                              ;   in Loop: Header=BB430_10 Depth=1
	v_and_b32_e32 v30, 0xffff, v20
	v_or_b32_e32 v31, 0x10000, v20
	s_delay_alu instid0(VALU_DEP_2) | instskip(NEXT) | instid1(VALU_DEP_1)
	v_cmp_eq_u32_e64 s2, 0, v30
	v_cndmask_b32_e64 v70, v31, v20, s2
; %bb.994:                              ;   in Loop: Header=BB430_10 Depth=1
	s_or_b32 exec_lo, exec_lo, s3
	v_lshrrev_b32_e32 v71, 16, v80
	v_mov_b32_e32 v20, 0
	s_mov_b32 s3, exec_lo
	s_delay_alu instid0(VALU_DEP_2) | instskip(NEXT) | instid1(VALU_DEP_1)
	v_and_b32_e32 v30, 0xff, v71
	v_cmpx_ne_u16_e32 0, v30
	s_cbranch_execz .LBB430_1002
; %bb.995:                              ;   in Loop: Header=BB430_10 Depth=1
	v_bfrev_b32_e32 v20, 1
	s_mov_b32 s19, exec_lo
	v_cmpx_ne_u16_e32 0x80, v30
	s_cbranch_execz .LBB430_1001
; %bb.996:                              ;   in Loop: Header=BB430_10 Depth=1
	v_bfe_u32 v30, v80, 16, 7
	v_mov_b32_e32 v20, 0x7f800001
	s_mov_b32 s20, exec_lo
	s_delay_alu instid0(VALU_DEP_2)
	v_cmpx_ne_u32_e32 0x7f, v30
	s_cbranch_execz .LBB430_1000
; %bb.997:                              ;   in Loop: Header=BB430_10 Depth=1
	v_and_b32_e32 v20, 7, v71
	v_lshrrev_b32_e32 v81, 3, v30
	v_cmp_gt_u32_e64 s2, 8, v30
	s_delay_alu instid0(VALU_DEP_3) | instskip(NEXT) | instid1(VALU_DEP_2)
	v_dual_mov_b32 v31, v21 :: v_dual_mov_b32 v30, v20
	s_and_saveexec_b32 s21, s2
; %bb.998:                              ;   in Loop: Header=BB430_10 Depth=1
	v_clz_i32_u32_e32 v30, v20
	s_delay_alu instid0(VALU_DEP_1) | instskip(NEXT) | instid1(VALU_DEP_1)
	v_min_u32_e32 v81, 32, v30
	v_subrev_nc_u32_e32 v30, 28, v81
	v_sub_nc_u32_e32 v81, 29, v81
	s_delay_alu instid0(VALU_DEP_2) | instskip(NEXT) | instid1(VALU_DEP_1)
	v_lshlrev_b64 v[30:31], v30, v[20:21]
	v_and_b32_e32 v30, 7, v30
; %bb.999:                              ;   in Loop: Header=BB430_10 Depth=1
	s_or_b32 exec_lo, exec_lo, s21
	v_lshlrev_b32_e32 v20, 24, v71
	s_delay_alu instid0(VALU_DEP_2) | instskip(SKIP_1) | instid1(VALU_DEP_3)
	v_lshlrev_b32_e32 v30, 20, v30
	v_lshl_add_u32 v31, v81, 23, 0x3c000000
	v_and_b32_e32 v20, 0x80000000, v20
	s_delay_alu instid0(VALU_DEP_1)
	v_or3_b32 v20, v30, v20, v31
.LBB430_1000:                           ;   in Loop: Header=BB430_10 Depth=1
	s_or_b32 exec_lo, exec_lo, s20
.LBB430_1001:                           ;   in Loop: Header=BB430_10 Depth=1
	s_delay_alu instid0(SALU_CYCLE_1)
	s_or_b32 exec_lo, exec_lo, s19
.LBB430_1002:                           ;   in Loop: Header=BB430_10 Depth=1
	s_delay_alu instid0(SALU_CYCLE_1) | instskip(NEXT) | instid1(VALU_DEP_1)
	s_or_b32 exec_lo, exec_lo, s3
	v_mul_f32_e32 v20, v107, v20
                                        ; implicit-def: $vgpr71
	s_delay_alu instid0(VALU_DEP_1) | instskip(NEXT) | instid1(VALU_DEP_1)
	v_and_b32_e32 v30, 0x7f800000, v20
	v_cmp_ne_u32_e64 s2, 0x7f800000, v30
	s_delay_alu instid0(VALU_DEP_1) | instskip(NEXT) | instid1(SALU_CYCLE_1)
	s_and_saveexec_b32 s3, s2
	s_xor_b32 s2, exec_lo, s3
; %bb.1003:                             ;   in Loop: Header=BB430_10 Depth=1
	v_bfe_u32 v30, v20, 16, 1
	s_delay_alu instid0(VALU_DEP_1)
	v_add3_u32 v71, v20, v30, 0x7fff
                                        ; implicit-def: $vgpr20
; %bb.1004:                             ;   in Loop: Header=BB430_10 Depth=1
	s_and_not1_saveexec_b32 s3, s2
; %bb.1005:                             ;   in Loop: Header=BB430_10 Depth=1
	v_and_b32_e32 v30, 0xffff, v20
	v_or_b32_e32 v31, 0x10000, v20
	s_delay_alu instid0(VALU_DEP_2) | instskip(NEXT) | instid1(VALU_DEP_1)
	v_cmp_eq_u32_e64 s2, 0, v30
	v_cndmask_b32_e64 v71, v31, v20, s2
; %bb.1006:                             ;   in Loop: Header=BB430_10 Depth=1
	s_or_b32 exec_lo, exec_lo, s3
	v_mov_b32_e32 v20, 0
	s_mov_b32 s3, exec_lo
	v_cmpx_lt_u32_e32 0xffffff, v80
	s_cbranch_execz .LBB430_1014
; %bb.1007:                             ;   in Loop: Header=BB430_10 Depth=1
	v_lshrrev_b32_e32 v81, 24, v80
	v_bfrev_b32_e32 v20, 1
	s_mov_b32 s19, exec_lo
	s_delay_alu instid0(VALU_DEP_2)
	v_cmpx_ne_u32_e32 0x80, v81
	s_cbranch_execz .LBB430_1013
; %bb.1008:                             ;   in Loop: Header=BB430_10 Depth=1
	v_bfe_u32 v30, v80, 24, 7
	v_mov_b32_e32 v20, 0x7f800001
	s_mov_b32 s20, exec_lo
	s_delay_alu instid0(VALU_DEP_2)
	v_cmpx_ne_u32_e32 0x7f, v30
	s_cbranch_execz .LBB430_1012
; %bb.1009:                             ;   in Loop: Header=BB430_10 Depth=1
	v_and_b32_e32 v20, 7, v81
	v_lshrrev_b32_e32 v80, 3, v30
	v_cmp_gt_u32_e64 s2, 8, v30
	s_delay_alu instid0(VALU_DEP_3) | instskip(NEXT) | instid1(VALU_DEP_2)
	v_dual_mov_b32 v31, v21 :: v_dual_mov_b32 v30, v20
	s_and_saveexec_b32 s21, s2
; %bb.1010:                             ;   in Loop: Header=BB430_10 Depth=1
	v_clz_i32_u32_e32 v30, v20
	s_delay_alu instid0(VALU_DEP_1) | instskip(NEXT) | instid1(VALU_DEP_1)
	v_min_u32_e32 v80, 32, v30
	v_subrev_nc_u32_e32 v30, 28, v80
	v_sub_nc_u32_e32 v80, 29, v80
	s_delay_alu instid0(VALU_DEP_2) | instskip(NEXT) | instid1(VALU_DEP_1)
	v_lshlrev_b64 v[30:31], v30, v[20:21]
	v_and_b32_e32 v30, 7, v30
; %bb.1011:                             ;   in Loop: Header=BB430_10 Depth=1
	s_or_b32 exec_lo, exec_lo, s21
	v_lshlrev_b32_e32 v20, 24, v81
	s_delay_alu instid0(VALU_DEP_2) | instskip(SKIP_1) | instid1(VALU_DEP_3)
	v_lshlrev_b32_e32 v30, 20, v30
	v_lshl_add_u32 v31, v80, 23, 0x3c000000
	v_and_b32_e32 v20, 0x80000000, v20
	s_delay_alu instid0(VALU_DEP_1)
	v_or3_b32 v20, v30, v20, v31
.LBB430_1012:                           ;   in Loop: Header=BB430_10 Depth=1
	s_or_b32 exec_lo, exec_lo, s20
.LBB430_1013:                           ;   in Loop: Header=BB430_10 Depth=1
	s_delay_alu instid0(SALU_CYCLE_1)
	s_or_b32 exec_lo, exec_lo, s19
.LBB430_1014:                           ;   in Loop: Header=BB430_10 Depth=1
	s_delay_alu instid0(SALU_CYCLE_1) | instskip(NEXT) | instid1(VALU_DEP_1)
	s_or_b32 exec_lo, exec_lo, s3
	v_mul_f32_e32 v20, v107, v20
                                        ; implicit-def: $vgpr80
	s_delay_alu instid0(VALU_DEP_1) | instskip(NEXT) | instid1(VALU_DEP_1)
	v_and_b32_e32 v30, 0x7f800000, v20
	v_cmp_ne_u32_e64 s2, 0x7f800000, v30
	s_delay_alu instid0(VALU_DEP_1) | instskip(NEXT) | instid1(SALU_CYCLE_1)
	s_and_saveexec_b32 s3, s2
	s_xor_b32 s2, exec_lo, s3
; %bb.1015:                             ;   in Loop: Header=BB430_10 Depth=1
	v_bfe_u32 v30, v20, 16, 1
	s_delay_alu instid0(VALU_DEP_1)
	v_add3_u32 v80, v20, v30, 0x7fff
                                        ; implicit-def: $vgpr20
; %bb.1016:                             ;   in Loop: Header=BB430_10 Depth=1
	s_and_not1_saveexec_b32 s3, s2
; %bb.1017:                             ;   in Loop: Header=BB430_10 Depth=1
	v_and_b32_e32 v30, 0xffff, v20
	v_or_b32_e32 v31, 0x10000, v20
	s_delay_alu instid0(VALU_DEP_2) | instskip(NEXT) | instid1(VALU_DEP_1)
	v_cmp_eq_u32_e64 s2, 0, v30
	v_cndmask_b32_e64 v80, v31, v20, s2
; %bb.1018:                             ;   in Loop: Header=BB430_10 Depth=1
	s_or_b32 exec_lo, exec_lo, s3
	flat_load_b32 v84, v[28:29] offset:2568
	v_mov_b32_e32 v20, 0
	s_mov_b32 s3, exec_lo
	s_waitcnt vmcnt(0) lgkmcnt(0)
	v_and_b32_e32 v30, 0xff, v84
	s_delay_alu instid0(VALU_DEP_1)
	v_cmpx_ne_u16_e32 0, v30
	s_cbranch_execz .LBB430_1026
; %bb.1019:                             ;   in Loop: Header=BB430_10 Depth=1
	v_bfrev_b32_e32 v20, 1
	s_mov_b32 s19, exec_lo
	v_cmpx_ne_u16_e32 0x80, v30
	s_cbranch_execz .LBB430_1025
; %bb.1020:                             ;   in Loop: Header=BB430_10 Depth=1
	v_and_b32_e32 v30, 0x7f, v84
	v_mov_b32_e32 v20, 0x7f800001
	s_mov_b32 s20, exec_lo
	s_delay_alu instid0(VALU_DEP_2)
	v_cmpx_ne_u32_e32 0x7f, v30
	s_cbranch_execz .LBB430_1024
; %bb.1021:                             ;   in Loop: Header=BB430_10 Depth=1
	v_and_b32_e32 v20, 7, v84
	v_lshrrev_b32_e32 v81, 3, v30
	v_cmp_gt_u32_e64 s2, 8, v30
	s_delay_alu instid0(VALU_DEP_3) | instskip(NEXT) | instid1(VALU_DEP_2)
	v_dual_mov_b32 v31, v21 :: v_dual_mov_b32 v30, v20
	s_and_saveexec_b32 s21, s2
; %bb.1022:                             ;   in Loop: Header=BB430_10 Depth=1
	v_clz_i32_u32_e32 v30, v20
	s_delay_alu instid0(VALU_DEP_1) | instskip(NEXT) | instid1(VALU_DEP_1)
	v_min_u32_e32 v81, 32, v30
	v_subrev_nc_u32_e32 v30, 28, v81
	v_sub_nc_u32_e32 v81, 29, v81
	s_delay_alu instid0(VALU_DEP_2) | instskip(NEXT) | instid1(VALU_DEP_1)
	v_lshlrev_b64 v[30:31], v30, v[20:21]
	v_and_b32_e32 v30, 7, v30
; %bb.1023:                             ;   in Loop: Header=BB430_10 Depth=1
	s_or_b32 exec_lo, exec_lo, s21
	v_lshlrev_b32_e32 v20, 24, v84
	s_delay_alu instid0(VALU_DEP_2) | instskip(SKIP_1) | instid1(VALU_DEP_3)
	v_lshlrev_b32_e32 v30, 20, v30
	v_lshl_add_u32 v31, v81, 23, 0x3c000000
	v_and_b32_e32 v20, 0x80000000, v20
	s_delay_alu instid0(VALU_DEP_1)
	v_or3_b32 v20, v30, v20, v31
.LBB430_1024:                           ;   in Loop: Header=BB430_10 Depth=1
	s_or_b32 exec_lo, exec_lo, s20
.LBB430_1025:                           ;   in Loop: Header=BB430_10 Depth=1
	s_delay_alu instid0(SALU_CYCLE_1)
	s_or_b32 exec_lo, exec_lo, s19
.LBB430_1026:                           ;   in Loop: Header=BB430_10 Depth=1
	s_delay_alu instid0(SALU_CYCLE_1) | instskip(NEXT) | instid1(VALU_DEP_1)
	s_or_b32 exec_lo, exec_lo, s3
	v_mul_f32_e32 v20, v107, v20
                                        ; implicit-def: $vgpr81
	s_delay_alu instid0(VALU_DEP_1) | instskip(NEXT) | instid1(VALU_DEP_1)
	v_and_b32_e32 v30, 0x7f800000, v20
	v_cmp_ne_u32_e64 s2, 0x7f800000, v30
	s_delay_alu instid0(VALU_DEP_1) | instskip(NEXT) | instid1(SALU_CYCLE_1)
	s_and_saveexec_b32 s3, s2
	s_xor_b32 s2, exec_lo, s3
; %bb.1027:                             ;   in Loop: Header=BB430_10 Depth=1
	v_bfe_u32 v30, v20, 16, 1
	s_delay_alu instid0(VALU_DEP_1)
	v_add3_u32 v81, v20, v30, 0x7fff
                                        ; implicit-def: $vgpr20
; %bb.1028:                             ;   in Loop: Header=BB430_10 Depth=1
	s_and_not1_saveexec_b32 s3, s2
; %bb.1029:                             ;   in Loop: Header=BB430_10 Depth=1
	v_and_b32_e32 v30, 0xffff, v20
	v_or_b32_e32 v31, 0x10000, v20
	s_delay_alu instid0(VALU_DEP_2) | instskip(NEXT) | instid1(VALU_DEP_1)
	v_cmp_eq_u32_e64 s2, 0, v30
	v_cndmask_b32_e64 v81, v31, v20, s2
; %bb.1030:                             ;   in Loop: Header=BB430_10 Depth=1
	s_or_b32 exec_lo, exec_lo, s3
	v_lshrrev_b16 v30, 8, v84
	v_mov_b32_e32 v20, 0
	s_mov_b32 s3, exec_lo
	s_delay_alu instid0(VALU_DEP_2)
	v_cmpx_ne_u16_e32 0, v30
	s_cbranch_execz .LBB430_1038
; %bb.1031:                             ;   in Loop: Header=BB430_10 Depth=1
	v_bfrev_b32_e32 v20, 1
	s_mov_b32 s19, exec_lo
	v_cmpx_ne_u16_e32 0x80, v30
	s_cbranch_execz .LBB430_1037
; %bb.1032:                             ;   in Loop: Header=BB430_10 Depth=1
	v_and_b32_e32 v30, 0xffff, v30
	v_mov_b32_e32 v20, 0x7f800001
	s_mov_b32 s20, exec_lo
	s_delay_alu instid0(VALU_DEP_2) | instskip(NEXT) | instid1(VALU_DEP_1)
	v_and_b32_e32 v82, 0x7f, v30
	v_cmpx_ne_u32_e32 0x7f, v82
	s_cbranch_execz .LBB430_1036
; %bb.1033:                             ;   in Loop: Header=BB430_10 Depth=1
	v_and_b32_e32 v20, 7, v30
	v_mov_b32_e32 v31, v21
	v_lshrrev_b32_e32 v31, 3, v82
	s_mov_b32 s21, exec_lo
	s_delay_alu instid0(VALU_DEP_3)
	v_mov_b32_e32 v30, v20
	v_cmpx_gt_u32_e32 8, v82
; %bb.1034:                             ;   in Loop: Header=BB430_10 Depth=1
	v_clz_i32_u32_e32 v30, v20
	s_delay_alu instid0(VALU_DEP_1) | instskip(NEXT) | instid1(VALU_DEP_1)
	v_min_u32_e32 v82, 32, v30
	v_subrev_nc_u32_e32 v30, 28, v82
	s_delay_alu instid0(VALU_DEP_1) | instskip(SKIP_1) | instid1(VALU_DEP_2)
	v_lshlrev_b64 v[30:31], v30, v[20:21]
	v_sub_nc_u32_e32 v31, 29, v82
	v_and_b32_e32 v30, 7, v30
; %bb.1035:                             ;   in Loop: Header=BB430_10 Depth=1
	s_or_b32 exec_lo, exec_lo, s21
	v_lshlrev_b32_e32 v20, 16, v84
	s_delay_alu instid0(VALU_DEP_2) | instskip(SKIP_1) | instid1(VALU_DEP_3)
	v_lshlrev_b32_e32 v30, 20, v30
	v_lshl_add_u32 v31, v31, 23, 0x3c000000
	v_and_b32_e32 v20, 0x80000000, v20
	s_delay_alu instid0(VALU_DEP_1)
	v_or3_b32 v20, v30, v20, v31
.LBB430_1036:                           ;   in Loop: Header=BB430_10 Depth=1
	s_or_b32 exec_lo, exec_lo, s20
.LBB430_1037:                           ;   in Loop: Header=BB430_10 Depth=1
	s_delay_alu instid0(SALU_CYCLE_1)
	s_or_b32 exec_lo, exec_lo, s19
.LBB430_1038:                           ;   in Loop: Header=BB430_10 Depth=1
	s_delay_alu instid0(SALU_CYCLE_1) | instskip(NEXT) | instid1(VALU_DEP_1)
	s_or_b32 exec_lo, exec_lo, s3
	v_mul_f32_e32 v20, v107, v20
                                        ; implicit-def: $vgpr82
	s_delay_alu instid0(VALU_DEP_1) | instskip(NEXT) | instid1(VALU_DEP_1)
	v_and_b32_e32 v30, 0x7f800000, v20
	v_cmp_ne_u32_e64 s2, 0x7f800000, v30
	s_delay_alu instid0(VALU_DEP_1) | instskip(NEXT) | instid1(SALU_CYCLE_1)
	s_and_saveexec_b32 s3, s2
	s_xor_b32 s2, exec_lo, s3
; %bb.1039:                             ;   in Loop: Header=BB430_10 Depth=1
	v_bfe_u32 v30, v20, 16, 1
	s_delay_alu instid0(VALU_DEP_1)
	v_add3_u32 v82, v20, v30, 0x7fff
                                        ; implicit-def: $vgpr20
; %bb.1040:                             ;   in Loop: Header=BB430_10 Depth=1
	s_and_not1_saveexec_b32 s3, s2
; %bb.1041:                             ;   in Loop: Header=BB430_10 Depth=1
	v_and_b32_e32 v30, 0xffff, v20
	v_or_b32_e32 v31, 0x10000, v20
	s_delay_alu instid0(VALU_DEP_2) | instskip(NEXT) | instid1(VALU_DEP_1)
	v_cmp_eq_u32_e64 s2, 0, v30
	v_cndmask_b32_e64 v82, v31, v20, s2
; %bb.1042:                             ;   in Loop: Header=BB430_10 Depth=1
	s_or_b32 exec_lo, exec_lo, s3
	v_lshrrev_b32_e32 v83, 16, v84
	v_mov_b32_e32 v20, 0
	s_mov_b32 s3, exec_lo
	s_delay_alu instid0(VALU_DEP_2) | instskip(NEXT) | instid1(VALU_DEP_1)
	v_and_b32_e32 v30, 0xff, v83
	v_cmpx_ne_u16_e32 0, v30
	s_cbranch_execz .LBB430_1050
; %bb.1043:                             ;   in Loop: Header=BB430_10 Depth=1
	v_bfrev_b32_e32 v20, 1
	s_mov_b32 s19, exec_lo
	v_cmpx_ne_u16_e32 0x80, v30
	s_cbranch_execz .LBB430_1049
; %bb.1044:                             ;   in Loop: Header=BB430_10 Depth=1
	v_bfe_u32 v85, v84, 16, 7
	v_mov_b32_e32 v20, 0x7f800001
	s_mov_b32 s20, exec_lo
	s_delay_alu instid0(VALU_DEP_2)
	v_cmpx_ne_u32_e32 0x7f, v85
	s_cbranch_execz .LBB430_1048
; %bb.1045:                             ;   in Loop: Header=BB430_10 Depth=1
	v_and_b32_e32 v20, 7, v83
	v_mov_b32_e32 v31, v21
	v_lshrrev_b32_e32 v31, 3, v85
	s_mov_b32 s21, exec_lo
	s_delay_alu instid0(VALU_DEP_3)
	v_mov_b32_e32 v30, v20
	v_cmpx_gt_u32_e32 8, v85
; %bb.1046:                             ;   in Loop: Header=BB430_10 Depth=1
	v_clz_i32_u32_e32 v30, v20
	s_delay_alu instid0(VALU_DEP_1) | instskip(NEXT) | instid1(VALU_DEP_1)
	v_min_u32_e32 v85, 32, v30
	v_subrev_nc_u32_e32 v30, 28, v85
	s_delay_alu instid0(VALU_DEP_1) | instskip(SKIP_1) | instid1(VALU_DEP_2)
	v_lshlrev_b64 v[30:31], v30, v[20:21]
	v_sub_nc_u32_e32 v31, 29, v85
	v_and_b32_e32 v30, 7, v30
; %bb.1047:                             ;   in Loop: Header=BB430_10 Depth=1
	s_or_b32 exec_lo, exec_lo, s21
	v_lshlrev_b32_e32 v20, 24, v83
	s_delay_alu instid0(VALU_DEP_2) | instskip(SKIP_1) | instid1(VALU_DEP_3)
	v_lshlrev_b32_e32 v30, 20, v30
	v_lshl_add_u32 v31, v31, 23, 0x3c000000
	v_and_b32_e32 v20, 0x80000000, v20
	s_delay_alu instid0(VALU_DEP_1)
	v_or3_b32 v20, v30, v20, v31
.LBB430_1048:                           ;   in Loop: Header=BB430_10 Depth=1
	s_or_b32 exec_lo, exec_lo, s20
.LBB430_1049:                           ;   in Loop: Header=BB430_10 Depth=1
	s_delay_alu instid0(SALU_CYCLE_1)
	s_or_b32 exec_lo, exec_lo, s19
.LBB430_1050:                           ;   in Loop: Header=BB430_10 Depth=1
	s_delay_alu instid0(SALU_CYCLE_1) | instskip(NEXT) | instid1(VALU_DEP_1)
	s_or_b32 exec_lo, exec_lo, s3
	v_mul_f32_e32 v20, v107, v20
                                        ; implicit-def: $vgpr83
	s_delay_alu instid0(VALU_DEP_1) | instskip(NEXT) | instid1(VALU_DEP_1)
	v_and_b32_e32 v30, 0x7f800000, v20
	v_cmp_ne_u32_e64 s2, 0x7f800000, v30
	s_delay_alu instid0(VALU_DEP_1) | instskip(NEXT) | instid1(SALU_CYCLE_1)
	s_and_saveexec_b32 s3, s2
	s_xor_b32 s2, exec_lo, s3
; %bb.1051:                             ;   in Loop: Header=BB430_10 Depth=1
	v_bfe_u32 v30, v20, 16, 1
	s_delay_alu instid0(VALU_DEP_1)
	v_add3_u32 v83, v20, v30, 0x7fff
                                        ; implicit-def: $vgpr20
; %bb.1052:                             ;   in Loop: Header=BB430_10 Depth=1
	s_and_not1_saveexec_b32 s3, s2
; %bb.1053:                             ;   in Loop: Header=BB430_10 Depth=1
	v_and_b32_e32 v30, 0xffff, v20
	v_or_b32_e32 v31, 0x10000, v20
	s_delay_alu instid0(VALU_DEP_2) | instskip(NEXT) | instid1(VALU_DEP_1)
	v_cmp_eq_u32_e64 s2, 0, v30
	v_cndmask_b32_e64 v83, v31, v20, s2
; %bb.1054:                             ;   in Loop: Header=BB430_10 Depth=1
	s_or_b32 exec_lo, exec_lo, s3
	v_mov_b32_e32 v20, 0
	s_mov_b32 s3, exec_lo
	v_cmpx_lt_u32_e32 0xffffff, v84
	s_cbranch_execz .LBB430_1062
; %bb.1055:                             ;   in Loop: Header=BB430_10 Depth=1
	v_lshrrev_b32_e32 v85, 24, v84
	v_bfrev_b32_e32 v20, 1
	s_mov_b32 s19, exec_lo
	s_delay_alu instid0(VALU_DEP_2)
	v_cmpx_ne_u32_e32 0x80, v85
	s_cbranch_execz .LBB430_1061
; %bb.1056:                             ;   in Loop: Header=BB430_10 Depth=1
	v_bfe_u32 v84, v84, 24, 7
	v_mov_b32_e32 v20, 0x7f800001
	s_mov_b32 s20, exec_lo
	s_delay_alu instid0(VALU_DEP_2)
	v_cmpx_ne_u32_e32 0x7f, v84
	s_cbranch_execz .LBB430_1060
; %bb.1057:                             ;   in Loop: Header=BB430_10 Depth=1
	v_and_b32_e32 v20, 7, v85
	v_mov_b32_e32 v31, v21
	v_lshrrev_b32_e32 v31, 3, v84
	s_mov_b32 s21, exec_lo
	s_delay_alu instid0(VALU_DEP_3)
	v_mov_b32_e32 v30, v20
	v_cmpx_gt_u32_e32 8, v84
; %bb.1058:                             ;   in Loop: Header=BB430_10 Depth=1
	v_clz_i32_u32_e32 v30, v20
	s_delay_alu instid0(VALU_DEP_1) | instskip(NEXT) | instid1(VALU_DEP_1)
	v_min_u32_e32 v84, 32, v30
	v_subrev_nc_u32_e32 v30, 28, v84
	s_delay_alu instid0(VALU_DEP_1) | instskip(SKIP_1) | instid1(VALU_DEP_2)
	v_lshlrev_b64 v[30:31], v30, v[20:21]
	v_sub_nc_u32_e32 v31, 29, v84
	v_and_b32_e32 v30, 7, v30
; %bb.1059:                             ;   in Loop: Header=BB430_10 Depth=1
	s_or_b32 exec_lo, exec_lo, s21
	v_lshlrev_b32_e32 v20, 24, v85
	s_delay_alu instid0(VALU_DEP_2) | instskip(SKIP_1) | instid1(VALU_DEP_3)
	v_lshlrev_b32_e32 v30, 20, v30
	v_lshl_add_u32 v31, v31, 23, 0x3c000000
	v_and_b32_e32 v20, 0x80000000, v20
	s_delay_alu instid0(VALU_DEP_1)
	v_or3_b32 v20, v30, v20, v31
.LBB430_1060:                           ;   in Loop: Header=BB430_10 Depth=1
	s_or_b32 exec_lo, exec_lo, s20
.LBB430_1061:                           ;   in Loop: Header=BB430_10 Depth=1
	s_delay_alu instid0(SALU_CYCLE_1)
	s_or_b32 exec_lo, exec_lo, s19
.LBB430_1062:                           ;   in Loop: Header=BB430_10 Depth=1
	s_delay_alu instid0(SALU_CYCLE_1) | instskip(NEXT) | instid1(VALU_DEP_1)
	s_or_b32 exec_lo, exec_lo, s3
	v_mul_f32_e32 v20, v107, v20
                                        ; implicit-def: $vgpr84
	s_delay_alu instid0(VALU_DEP_1) | instskip(NEXT) | instid1(VALU_DEP_1)
	v_and_b32_e32 v30, 0x7f800000, v20
	v_cmp_ne_u32_e64 s2, 0x7f800000, v30
	s_delay_alu instid0(VALU_DEP_1) | instskip(NEXT) | instid1(SALU_CYCLE_1)
	s_and_saveexec_b32 s3, s2
	s_xor_b32 s2, exec_lo, s3
; %bb.1063:                             ;   in Loop: Header=BB430_10 Depth=1
	v_bfe_u32 v30, v20, 16, 1
	s_delay_alu instid0(VALU_DEP_1)
	v_add3_u32 v84, v20, v30, 0x7fff
                                        ; implicit-def: $vgpr20
; %bb.1064:                             ;   in Loop: Header=BB430_10 Depth=1
	s_and_not1_saveexec_b32 s3, s2
; %bb.1065:                             ;   in Loop: Header=BB430_10 Depth=1
	v_and_b32_e32 v30, 0xffff, v20
	v_or_b32_e32 v31, 0x10000, v20
	s_delay_alu instid0(VALU_DEP_2) | instskip(NEXT) | instid1(VALU_DEP_1)
	v_cmp_eq_u32_e64 s2, 0, v30
	v_cndmask_b32_e64 v84, v31, v20, s2
; %bb.1066:                             ;   in Loop: Header=BB430_10 Depth=1
	s_or_b32 exec_lo, exec_lo, s3
	flat_load_b32 v96, v[28:29] offset:2816
	v_mov_b32_e32 v20, 0
	s_mov_b32 s3, exec_lo
	s_waitcnt vmcnt(0) lgkmcnt(0)
	v_and_b32_e32 v30, 0xff, v96
	s_delay_alu instid0(VALU_DEP_1)
	v_cmpx_ne_u16_e32 0, v30
	s_cbranch_execz .LBB430_1074
; %bb.1067:                             ;   in Loop: Header=BB430_10 Depth=1
	v_bfrev_b32_e32 v20, 1
	s_mov_b32 s19, exec_lo
	v_cmpx_ne_u16_e32 0x80, v30
	s_cbranch_execz .LBB430_1073
; %bb.1068:                             ;   in Loop: Header=BB430_10 Depth=1
	v_and_b32_e32 v85, 0x7f, v96
	v_mov_b32_e32 v20, 0x7f800001
	s_mov_b32 s20, exec_lo
	s_delay_alu instid0(VALU_DEP_2)
	v_cmpx_ne_u32_e32 0x7f, v85
	s_cbranch_execz .LBB430_1072
; %bb.1069:                             ;   in Loop: Header=BB430_10 Depth=1
	v_and_b32_e32 v20, 7, v96
	v_mov_b32_e32 v31, v21
	v_lshrrev_b32_e32 v31, 3, v85
	s_mov_b32 s21, exec_lo
	s_delay_alu instid0(VALU_DEP_3)
	v_mov_b32_e32 v30, v20
	v_cmpx_gt_u32_e32 8, v85
; %bb.1070:                             ;   in Loop: Header=BB430_10 Depth=1
	v_clz_i32_u32_e32 v30, v20
	s_delay_alu instid0(VALU_DEP_1) | instskip(NEXT) | instid1(VALU_DEP_1)
	v_min_u32_e32 v85, 32, v30
	v_subrev_nc_u32_e32 v30, 28, v85
	s_delay_alu instid0(VALU_DEP_1) | instskip(SKIP_1) | instid1(VALU_DEP_2)
	v_lshlrev_b64 v[30:31], v30, v[20:21]
	v_sub_nc_u32_e32 v31, 29, v85
	v_and_b32_e32 v30, 7, v30
; %bb.1071:                             ;   in Loop: Header=BB430_10 Depth=1
	s_or_b32 exec_lo, exec_lo, s21
	v_lshlrev_b32_e32 v20, 24, v96
	s_delay_alu instid0(VALU_DEP_2) | instskip(SKIP_1) | instid1(VALU_DEP_3)
	v_lshlrev_b32_e32 v30, 20, v30
	v_lshl_add_u32 v31, v31, 23, 0x3c000000
	v_and_b32_e32 v20, 0x80000000, v20
	s_delay_alu instid0(VALU_DEP_1)
	v_or3_b32 v20, v30, v20, v31
.LBB430_1072:                           ;   in Loop: Header=BB430_10 Depth=1
	s_or_b32 exec_lo, exec_lo, s20
.LBB430_1073:                           ;   in Loop: Header=BB430_10 Depth=1
	s_delay_alu instid0(SALU_CYCLE_1)
	s_or_b32 exec_lo, exec_lo, s19
.LBB430_1074:                           ;   in Loop: Header=BB430_10 Depth=1
	s_delay_alu instid0(SALU_CYCLE_1) | instskip(NEXT) | instid1(VALU_DEP_1)
	s_or_b32 exec_lo, exec_lo, s3
	v_mul_f32_e32 v20, v107, v20
                                        ; implicit-def: $vgpr85
	s_delay_alu instid0(VALU_DEP_1) | instskip(NEXT) | instid1(VALU_DEP_1)
	v_and_b32_e32 v30, 0x7f800000, v20
	v_cmp_ne_u32_e64 s2, 0x7f800000, v30
	s_delay_alu instid0(VALU_DEP_1) | instskip(NEXT) | instid1(SALU_CYCLE_1)
	s_and_saveexec_b32 s3, s2
	s_xor_b32 s2, exec_lo, s3
; %bb.1075:                             ;   in Loop: Header=BB430_10 Depth=1
	v_bfe_u32 v30, v20, 16, 1
	s_delay_alu instid0(VALU_DEP_1)
	v_add3_u32 v85, v20, v30, 0x7fff
                                        ; implicit-def: $vgpr20
; %bb.1076:                             ;   in Loop: Header=BB430_10 Depth=1
	s_and_not1_saveexec_b32 s3, s2
; %bb.1077:                             ;   in Loop: Header=BB430_10 Depth=1
	v_and_b32_e32 v30, 0xffff, v20
	v_or_b32_e32 v31, 0x10000, v20
	s_delay_alu instid0(VALU_DEP_2) | instskip(NEXT) | instid1(VALU_DEP_1)
	v_cmp_eq_u32_e64 s2, 0, v30
	v_cndmask_b32_e64 v85, v31, v20, s2
; %bb.1078:                             ;   in Loop: Header=BB430_10 Depth=1
	s_or_b32 exec_lo, exec_lo, s3
	v_lshrrev_b16 v30, 8, v96
	v_mov_b32_e32 v20, 0
	s_mov_b32 s3, exec_lo
	s_delay_alu instid0(VALU_DEP_2)
	v_cmpx_ne_u16_e32 0, v30
	s_cbranch_execz .LBB430_1086
; %bb.1079:                             ;   in Loop: Header=BB430_10 Depth=1
	v_bfrev_b32_e32 v20, 1
	s_mov_b32 s19, exec_lo
	v_cmpx_ne_u16_e32 0x80, v30
	s_cbranch_execz .LBB430_1085
; %bb.1080:                             ;   in Loop: Header=BB430_10 Depth=1
	v_and_b32_e32 v30, 0xffff, v30
	v_mov_b32_e32 v20, 0x7f800001
	s_mov_b32 s20, exec_lo
	s_delay_alu instid0(VALU_DEP_2) | instskip(NEXT) | instid1(VALU_DEP_1)
	v_and_b32_e32 v86, 0x7f, v30
	v_cmpx_ne_u32_e32 0x7f, v86
	s_cbranch_execz .LBB430_1084
; %bb.1081:                             ;   in Loop: Header=BB430_10 Depth=1
	v_and_b32_e32 v20, 7, v30
	v_mov_b32_e32 v31, v21
	v_lshrrev_b32_e32 v31, 3, v86
	s_mov_b32 s21, exec_lo
	s_delay_alu instid0(VALU_DEP_3)
	v_mov_b32_e32 v30, v20
	v_cmpx_gt_u32_e32 8, v86
; %bb.1082:                             ;   in Loop: Header=BB430_10 Depth=1
	v_clz_i32_u32_e32 v30, v20
	s_delay_alu instid0(VALU_DEP_1) | instskip(NEXT) | instid1(VALU_DEP_1)
	v_min_u32_e32 v86, 32, v30
	v_subrev_nc_u32_e32 v30, 28, v86
	s_delay_alu instid0(VALU_DEP_1) | instskip(SKIP_1) | instid1(VALU_DEP_2)
	v_lshlrev_b64 v[30:31], v30, v[20:21]
	v_sub_nc_u32_e32 v31, 29, v86
	v_and_b32_e32 v30, 7, v30
; %bb.1083:                             ;   in Loop: Header=BB430_10 Depth=1
	s_or_b32 exec_lo, exec_lo, s21
	v_lshlrev_b32_e32 v20, 16, v96
	s_delay_alu instid0(VALU_DEP_2) | instskip(SKIP_1) | instid1(VALU_DEP_3)
	v_lshlrev_b32_e32 v30, 20, v30
	v_lshl_add_u32 v31, v31, 23, 0x3c000000
	v_and_b32_e32 v20, 0x80000000, v20
	s_delay_alu instid0(VALU_DEP_1)
	v_or3_b32 v20, v30, v20, v31
.LBB430_1084:                           ;   in Loop: Header=BB430_10 Depth=1
	s_or_b32 exec_lo, exec_lo, s20
.LBB430_1085:                           ;   in Loop: Header=BB430_10 Depth=1
	s_delay_alu instid0(SALU_CYCLE_1)
	s_or_b32 exec_lo, exec_lo, s19
.LBB430_1086:                           ;   in Loop: Header=BB430_10 Depth=1
	s_delay_alu instid0(SALU_CYCLE_1) | instskip(NEXT) | instid1(VALU_DEP_1)
	s_or_b32 exec_lo, exec_lo, s3
	v_mul_f32_e32 v20, v107, v20
                                        ; implicit-def: $vgpr86
	s_delay_alu instid0(VALU_DEP_1) | instskip(NEXT) | instid1(VALU_DEP_1)
	v_and_b32_e32 v30, 0x7f800000, v20
	v_cmp_ne_u32_e64 s2, 0x7f800000, v30
	s_delay_alu instid0(VALU_DEP_1) | instskip(NEXT) | instid1(SALU_CYCLE_1)
	s_and_saveexec_b32 s3, s2
	s_xor_b32 s2, exec_lo, s3
; %bb.1087:                             ;   in Loop: Header=BB430_10 Depth=1
	v_bfe_u32 v30, v20, 16, 1
	s_delay_alu instid0(VALU_DEP_1)
	v_add3_u32 v86, v20, v30, 0x7fff
                                        ; implicit-def: $vgpr20
; %bb.1088:                             ;   in Loop: Header=BB430_10 Depth=1
	s_and_not1_saveexec_b32 s3, s2
; %bb.1089:                             ;   in Loop: Header=BB430_10 Depth=1
	v_and_b32_e32 v30, 0xffff, v20
	v_or_b32_e32 v31, 0x10000, v20
	s_delay_alu instid0(VALU_DEP_2) | instskip(NEXT) | instid1(VALU_DEP_1)
	v_cmp_eq_u32_e64 s2, 0, v30
	v_cndmask_b32_e64 v86, v31, v20, s2
; %bb.1090:                             ;   in Loop: Header=BB430_10 Depth=1
	s_or_b32 exec_lo, exec_lo, s3
	v_lshrrev_b32_e32 v87, 16, v96
	v_mov_b32_e32 v20, 0
	s_mov_b32 s3, exec_lo
	s_delay_alu instid0(VALU_DEP_2) | instskip(NEXT) | instid1(VALU_DEP_1)
	v_and_b32_e32 v30, 0xff, v87
	v_cmpx_ne_u16_e32 0, v30
	s_cbranch_execz .LBB430_1098
; %bb.1091:                             ;   in Loop: Header=BB430_10 Depth=1
	v_bfrev_b32_e32 v20, 1
	s_mov_b32 s19, exec_lo
	v_cmpx_ne_u16_e32 0x80, v30
	s_cbranch_execz .LBB430_1097
; %bb.1092:                             ;   in Loop: Header=BB430_10 Depth=1
	v_bfe_u32 v97, v96, 16, 7
	v_mov_b32_e32 v20, 0x7f800001
	s_mov_b32 s20, exec_lo
	s_delay_alu instid0(VALU_DEP_2)
	v_cmpx_ne_u32_e32 0x7f, v97
	s_cbranch_execz .LBB430_1096
; %bb.1093:                             ;   in Loop: Header=BB430_10 Depth=1
	v_and_b32_e32 v20, 7, v87
	v_mov_b32_e32 v31, v21
	v_lshrrev_b32_e32 v31, 3, v97
	s_mov_b32 s21, exec_lo
	s_delay_alu instid0(VALU_DEP_3)
	v_mov_b32_e32 v30, v20
	v_cmpx_gt_u32_e32 8, v97
; %bb.1094:                             ;   in Loop: Header=BB430_10 Depth=1
	v_clz_i32_u32_e32 v30, v20
	s_delay_alu instid0(VALU_DEP_1) | instskip(NEXT) | instid1(VALU_DEP_1)
	v_min_u32_e32 v97, 32, v30
	v_subrev_nc_u32_e32 v30, 28, v97
	s_delay_alu instid0(VALU_DEP_1) | instskip(SKIP_1) | instid1(VALU_DEP_2)
	v_lshlrev_b64 v[30:31], v30, v[20:21]
	v_sub_nc_u32_e32 v31, 29, v97
	v_and_b32_e32 v30, 7, v30
; %bb.1095:                             ;   in Loop: Header=BB430_10 Depth=1
	s_or_b32 exec_lo, exec_lo, s21
	v_lshlrev_b32_e32 v20, 24, v87
	s_delay_alu instid0(VALU_DEP_2) | instskip(SKIP_1) | instid1(VALU_DEP_3)
	v_lshlrev_b32_e32 v30, 20, v30
	v_lshl_add_u32 v31, v31, 23, 0x3c000000
	v_and_b32_e32 v20, 0x80000000, v20
	s_delay_alu instid0(VALU_DEP_1)
	v_or3_b32 v20, v30, v20, v31
.LBB430_1096:                           ;   in Loop: Header=BB430_10 Depth=1
	s_or_b32 exec_lo, exec_lo, s20
.LBB430_1097:                           ;   in Loop: Header=BB430_10 Depth=1
	s_delay_alu instid0(SALU_CYCLE_1)
	s_or_b32 exec_lo, exec_lo, s19
.LBB430_1098:                           ;   in Loop: Header=BB430_10 Depth=1
	s_delay_alu instid0(SALU_CYCLE_1) | instskip(NEXT) | instid1(VALU_DEP_1)
	s_or_b32 exec_lo, exec_lo, s3
	v_mul_f32_e32 v20, v107, v20
                                        ; implicit-def: $vgpr87
	s_delay_alu instid0(VALU_DEP_1) | instskip(NEXT) | instid1(VALU_DEP_1)
	v_and_b32_e32 v30, 0x7f800000, v20
	v_cmp_ne_u32_e64 s2, 0x7f800000, v30
	s_delay_alu instid0(VALU_DEP_1) | instskip(NEXT) | instid1(SALU_CYCLE_1)
	s_and_saveexec_b32 s3, s2
	s_xor_b32 s2, exec_lo, s3
; %bb.1099:                             ;   in Loop: Header=BB430_10 Depth=1
	v_bfe_u32 v30, v20, 16, 1
	s_delay_alu instid0(VALU_DEP_1)
	v_add3_u32 v87, v20, v30, 0x7fff
                                        ; implicit-def: $vgpr20
; %bb.1100:                             ;   in Loop: Header=BB430_10 Depth=1
	s_and_not1_saveexec_b32 s3, s2
; %bb.1101:                             ;   in Loop: Header=BB430_10 Depth=1
	v_and_b32_e32 v30, 0xffff, v20
	v_or_b32_e32 v31, 0x10000, v20
	s_delay_alu instid0(VALU_DEP_2) | instskip(NEXT) | instid1(VALU_DEP_1)
	v_cmp_eq_u32_e64 s2, 0, v30
	v_cndmask_b32_e64 v87, v31, v20, s2
; %bb.1102:                             ;   in Loop: Header=BB430_10 Depth=1
	s_or_b32 exec_lo, exec_lo, s3
	v_mov_b32_e32 v20, 0
	s_mov_b32 s3, exec_lo
	v_cmpx_lt_u32_e32 0xffffff, v96
	s_cbranch_execz .LBB430_1110
; %bb.1103:                             ;   in Loop: Header=BB430_10 Depth=1
	v_lshrrev_b32_e32 v97, 24, v96
	v_bfrev_b32_e32 v20, 1
	s_mov_b32 s19, exec_lo
	s_delay_alu instid0(VALU_DEP_2)
	v_cmpx_ne_u32_e32 0x80, v97
	s_cbranch_execz .LBB430_1109
; %bb.1104:                             ;   in Loop: Header=BB430_10 Depth=1
	v_bfe_u32 v96, v96, 24, 7
	v_mov_b32_e32 v20, 0x7f800001
	s_mov_b32 s20, exec_lo
	s_delay_alu instid0(VALU_DEP_2)
	v_cmpx_ne_u32_e32 0x7f, v96
	s_cbranch_execz .LBB430_1108
; %bb.1105:                             ;   in Loop: Header=BB430_10 Depth=1
	v_and_b32_e32 v20, 7, v97
	v_mov_b32_e32 v31, v21
	v_lshrrev_b32_e32 v31, 3, v96
	s_mov_b32 s21, exec_lo
	s_delay_alu instid0(VALU_DEP_3)
	v_mov_b32_e32 v30, v20
	v_cmpx_gt_u32_e32 8, v96
; %bb.1106:                             ;   in Loop: Header=BB430_10 Depth=1
	v_clz_i32_u32_e32 v30, v20
	s_delay_alu instid0(VALU_DEP_1) | instskip(NEXT) | instid1(VALU_DEP_1)
	v_min_u32_e32 v96, 32, v30
	v_subrev_nc_u32_e32 v30, 28, v96
	s_delay_alu instid0(VALU_DEP_1) | instskip(SKIP_1) | instid1(VALU_DEP_2)
	v_lshlrev_b64 v[30:31], v30, v[20:21]
	v_sub_nc_u32_e32 v31, 29, v96
	v_and_b32_e32 v30, 7, v30
; %bb.1107:                             ;   in Loop: Header=BB430_10 Depth=1
	s_or_b32 exec_lo, exec_lo, s21
	v_lshlrev_b32_e32 v20, 24, v97
	s_delay_alu instid0(VALU_DEP_2) | instskip(SKIP_1) | instid1(VALU_DEP_3)
	v_lshlrev_b32_e32 v30, 20, v30
	v_lshl_add_u32 v31, v31, 23, 0x3c000000
	v_and_b32_e32 v20, 0x80000000, v20
	s_delay_alu instid0(VALU_DEP_1)
	v_or3_b32 v20, v30, v20, v31
.LBB430_1108:                           ;   in Loop: Header=BB430_10 Depth=1
	s_or_b32 exec_lo, exec_lo, s20
.LBB430_1109:                           ;   in Loop: Header=BB430_10 Depth=1
	s_delay_alu instid0(SALU_CYCLE_1)
	s_or_b32 exec_lo, exec_lo, s19
.LBB430_1110:                           ;   in Loop: Header=BB430_10 Depth=1
	s_delay_alu instid0(SALU_CYCLE_1) | instskip(NEXT) | instid1(VALU_DEP_1)
	s_or_b32 exec_lo, exec_lo, s3
	v_mul_f32_e32 v20, v107, v20
	s_delay_alu instid0(VALU_DEP_1) | instskip(NEXT) | instid1(VALU_DEP_1)
	v_and_b32_e32 v30, 0x7f800000, v20
	v_cmp_ne_u32_e64 s2, 0x7f800000, v30
                                        ; implicit-def: $vgpr30
	s_delay_alu instid0(VALU_DEP_1) | instskip(NEXT) | instid1(SALU_CYCLE_1)
	s_and_saveexec_b32 s3, s2
	s_xor_b32 s2, exec_lo, s3
; %bb.1111:                             ;   in Loop: Header=BB430_10 Depth=1
	v_bfe_u32 v30, v20, 16, 1
	s_delay_alu instid0(VALU_DEP_1)
	v_add3_u32 v30, v20, v30, 0x7fff
                                        ; implicit-def: $vgpr20
; %bb.1112:                             ;   in Loop: Header=BB430_10 Depth=1
	s_and_not1_saveexec_b32 s3, s2
; %bb.1113:                             ;   in Loop: Header=BB430_10 Depth=1
	v_and_b32_e32 v30, 0xffff, v20
	v_or_b32_e32 v31, 0x10000, v20
	s_delay_alu instid0(VALU_DEP_2) | instskip(NEXT) | instid1(VALU_DEP_1)
	v_cmp_eq_u32_e64 s2, 0, v30
	v_cndmask_b32_e64 v30, v31, v20, s2
; %bb.1114:                             ;   in Loop: Header=BB430_10 Depth=1
	s_or_b32 exec_lo, exec_lo, s3
	flat_load_b32 v98, v[28:29] offset:2824
	v_mov_b32_e32 v20, 0
	s_mov_b32 s3, exec_lo
	s_waitcnt vmcnt(0) lgkmcnt(0)
	v_and_b32_e32 v28, 0xff, v98
	s_delay_alu instid0(VALU_DEP_1)
	v_cmpx_ne_u16_e32 0, v28
	s_cbranch_execz .LBB430_1122
; %bb.1115:                             ;   in Loop: Header=BB430_10 Depth=1
	v_bfrev_b32_e32 v20, 1
	s_mov_b32 s19, exec_lo
	v_cmpx_ne_u16_e32 0x80, v28
	s_cbranch_execz .LBB430_1121
; %bb.1116:                             ;   in Loop: Header=BB430_10 Depth=1
	v_and_b32_e32 v31, 0x7f, v98
	v_mov_b32_e32 v20, 0x7f800001
	s_mov_b32 s20, exec_lo
	s_delay_alu instid0(VALU_DEP_2)
	v_cmpx_ne_u32_e32 0x7f, v31
	s_cbranch_execz .LBB430_1120
; %bb.1117:                             ;   in Loop: Header=BB430_10 Depth=1
	v_and_b32_e32 v20, 7, v98
	v_mov_b32_e32 v29, v21
	v_lshrrev_b32_e32 v29, 3, v31
	s_mov_b32 s21, exec_lo
	s_delay_alu instid0(VALU_DEP_3)
	v_mov_b32_e32 v28, v20
	v_cmpx_gt_u32_e32 8, v31
; %bb.1118:                             ;   in Loop: Header=BB430_10 Depth=1
	v_clz_i32_u32_e32 v28, v20
	s_delay_alu instid0(VALU_DEP_1) | instskip(NEXT) | instid1(VALU_DEP_1)
	v_min_u32_e32 v31, 32, v28
	v_subrev_nc_u32_e32 v28, 28, v31
	s_delay_alu instid0(VALU_DEP_1) | instskip(SKIP_1) | instid1(VALU_DEP_2)
	v_lshlrev_b64 v[28:29], v28, v[20:21]
	v_sub_nc_u32_e32 v29, 29, v31
	v_and_b32_e32 v28, 7, v28
; %bb.1119:                             ;   in Loop: Header=BB430_10 Depth=1
	s_or_b32 exec_lo, exec_lo, s21
	v_lshlrev_b32_e32 v20, 24, v98
	s_delay_alu instid0(VALU_DEP_2) | instskip(SKIP_1) | instid1(VALU_DEP_3)
	v_lshlrev_b32_e32 v28, 20, v28
	v_lshl_add_u32 v29, v29, 23, 0x3c000000
	v_and_b32_e32 v20, 0x80000000, v20
	s_delay_alu instid0(VALU_DEP_1)
	v_or3_b32 v20, v28, v20, v29
.LBB430_1120:                           ;   in Loop: Header=BB430_10 Depth=1
	s_or_b32 exec_lo, exec_lo, s20
.LBB430_1121:                           ;   in Loop: Header=BB430_10 Depth=1
	s_delay_alu instid0(SALU_CYCLE_1)
	s_or_b32 exec_lo, exec_lo, s19
.LBB430_1122:                           ;   in Loop: Header=BB430_10 Depth=1
	s_delay_alu instid0(SALU_CYCLE_1) | instskip(NEXT) | instid1(VALU_DEP_1)
	s_or_b32 exec_lo, exec_lo, s3
	v_mul_f32_e32 v20, v107, v20
                                        ; implicit-def: $vgpr31
	s_delay_alu instid0(VALU_DEP_1) | instskip(NEXT) | instid1(VALU_DEP_1)
	v_and_b32_e32 v28, 0x7f800000, v20
	v_cmp_ne_u32_e64 s2, 0x7f800000, v28
	s_delay_alu instid0(VALU_DEP_1) | instskip(NEXT) | instid1(SALU_CYCLE_1)
	s_and_saveexec_b32 s3, s2
	s_xor_b32 s2, exec_lo, s3
; %bb.1123:                             ;   in Loop: Header=BB430_10 Depth=1
	v_bfe_u32 v28, v20, 16, 1
	s_delay_alu instid0(VALU_DEP_1)
	v_add3_u32 v31, v20, v28, 0x7fff
                                        ; implicit-def: $vgpr20
; %bb.1124:                             ;   in Loop: Header=BB430_10 Depth=1
	s_and_not1_saveexec_b32 s3, s2
; %bb.1125:                             ;   in Loop: Header=BB430_10 Depth=1
	v_and_b32_e32 v28, 0xffff, v20
	v_or_b32_e32 v29, 0x10000, v20
	s_delay_alu instid0(VALU_DEP_2) | instskip(NEXT) | instid1(VALU_DEP_1)
	v_cmp_eq_u32_e64 s2, 0, v28
	v_cndmask_b32_e64 v31, v29, v20, s2
; %bb.1126:                             ;   in Loop: Header=BB430_10 Depth=1
	s_or_b32 exec_lo, exec_lo, s3
	v_lshrrev_b16 v28, 8, v98
	v_mov_b32_e32 v20, 0
	s_mov_b32 s3, exec_lo
	s_delay_alu instid0(VALU_DEP_2)
	v_cmpx_ne_u16_e32 0, v28
	s_cbranch_execz .LBB430_1134
; %bb.1127:                             ;   in Loop: Header=BB430_10 Depth=1
	v_bfrev_b32_e32 v20, 1
	s_mov_b32 s19, exec_lo
	v_cmpx_ne_u16_e32 0x80, v28
	s_cbranch_execz .LBB430_1133
; %bb.1128:                             ;   in Loop: Header=BB430_10 Depth=1
	v_and_b32_e32 v28, 0xffff, v28
	v_mov_b32_e32 v20, 0x7f800001
	s_mov_b32 s20, exec_lo
	s_delay_alu instid0(VALU_DEP_2) | instskip(NEXT) | instid1(VALU_DEP_1)
	v_and_b32_e32 v96, 0x7f, v28
	v_cmpx_ne_u32_e32 0x7f, v96
	s_cbranch_execz .LBB430_1132
; %bb.1129:                             ;   in Loop: Header=BB430_10 Depth=1
	v_and_b32_e32 v20, 7, v28
	v_mov_b32_e32 v29, v21
	v_lshrrev_b32_e32 v29, 3, v96
	s_mov_b32 s21, exec_lo
	s_delay_alu instid0(VALU_DEP_3)
	v_mov_b32_e32 v28, v20
	v_cmpx_gt_u32_e32 8, v96
; %bb.1130:                             ;   in Loop: Header=BB430_10 Depth=1
	v_clz_i32_u32_e32 v28, v20
	s_delay_alu instid0(VALU_DEP_1) | instskip(NEXT) | instid1(VALU_DEP_1)
	v_min_u32_e32 v96, 32, v28
	v_subrev_nc_u32_e32 v28, 28, v96
	s_delay_alu instid0(VALU_DEP_1) | instskip(SKIP_1) | instid1(VALU_DEP_2)
	v_lshlrev_b64 v[28:29], v28, v[20:21]
	v_sub_nc_u32_e32 v29, 29, v96
	v_and_b32_e32 v28, 7, v28
; %bb.1131:                             ;   in Loop: Header=BB430_10 Depth=1
	s_or_b32 exec_lo, exec_lo, s21
	v_lshlrev_b32_e32 v20, 16, v98
	s_delay_alu instid0(VALU_DEP_2) | instskip(SKIP_1) | instid1(VALU_DEP_3)
	v_lshlrev_b32_e32 v28, 20, v28
	v_lshl_add_u32 v29, v29, 23, 0x3c000000
	v_and_b32_e32 v20, 0x80000000, v20
	s_delay_alu instid0(VALU_DEP_1)
	v_or3_b32 v20, v28, v20, v29
.LBB430_1132:                           ;   in Loop: Header=BB430_10 Depth=1
	s_or_b32 exec_lo, exec_lo, s20
.LBB430_1133:                           ;   in Loop: Header=BB430_10 Depth=1
	s_delay_alu instid0(SALU_CYCLE_1)
	s_or_b32 exec_lo, exec_lo, s19
.LBB430_1134:                           ;   in Loop: Header=BB430_10 Depth=1
	s_delay_alu instid0(SALU_CYCLE_1) | instskip(NEXT) | instid1(VALU_DEP_1)
	s_or_b32 exec_lo, exec_lo, s3
	v_mul_f32_e32 v20, v107, v20
                                        ; implicit-def: $vgpr96
	s_delay_alu instid0(VALU_DEP_1) | instskip(NEXT) | instid1(VALU_DEP_1)
	v_and_b32_e32 v28, 0x7f800000, v20
	v_cmp_ne_u32_e64 s2, 0x7f800000, v28
	s_delay_alu instid0(VALU_DEP_1) | instskip(NEXT) | instid1(SALU_CYCLE_1)
	s_and_saveexec_b32 s3, s2
	s_xor_b32 s2, exec_lo, s3
; %bb.1135:                             ;   in Loop: Header=BB430_10 Depth=1
	v_bfe_u32 v28, v20, 16, 1
	s_delay_alu instid0(VALU_DEP_1)
	v_add3_u32 v96, v20, v28, 0x7fff
                                        ; implicit-def: $vgpr20
; %bb.1136:                             ;   in Loop: Header=BB430_10 Depth=1
	s_and_not1_saveexec_b32 s3, s2
; %bb.1137:                             ;   in Loop: Header=BB430_10 Depth=1
	v_and_b32_e32 v28, 0xffff, v20
	v_or_b32_e32 v29, 0x10000, v20
	s_delay_alu instid0(VALU_DEP_2) | instskip(NEXT) | instid1(VALU_DEP_1)
	v_cmp_eq_u32_e64 s2, 0, v28
	v_cndmask_b32_e64 v96, v29, v20, s2
; %bb.1138:                             ;   in Loop: Header=BB430_10 Depth=1
	s_or_b32 exec_lo, exec_lo, s3
	v_lshrrev_b32_e32 v97, 16, v98
	v_mov_b32_e32 v20, 0
	s_mov_b32 s3, exec_lo
	s_delay_alu instid0(VALU_DEP_2) | instskip(NEXT) | instid1(VALU_DEP_1)
	v_and_b32_e32 v28, 0xff, v97
	v_cmpx_ne_u16_e32 0, v28
	s_cbranch_execz .LBB430_1146
; %bb.1139:                             ;   in Loop: Header=BB430_10 Depth=1
	v_bfrev_b32_e32 v20, 1
	s_mov_b32 s19, exec_lo
	v_cmpx_ne_u16_e32 0x80, v28
	s_cbranch_execz .LBB430_1145
; %bb.1140:                             ;   in Loop: Header=BB430_10 Depth=1
	v_bfe_u32 v99, v98, 16, 7
	v_mov_b32_e32 v20, 0x7f800001
	s_mov_b32 s20, exec_lo
	s_delay_alu instid0(VALU_DEP_2)
	v_cmpx_ne_u32_e32 0x7f, v99
	s_cbranch_execz .LBB430_1144
; %bb.1141:                             ;   in Loop: Header=BB430_10 Depth=1
	v_and_b32_e32 v20, 7, v97
	v_mov_b32_e32 v29, v21
	v_lshrrev_b32_e32 v29, 3, v99
	s_mov_b32 s21, exec_lo
	s_delay_alu instid0(VALU_DEP_3)
	v_mov_b32_e32 v28, v20
	v_cmpx_gt_u32_e32 8, v99
; %bb.1142:                             ;   in Loop: Header=BB430_10 Depth=1
	v_clz_i32_u32_e32 v28, v20
	s_delay_alu instid0(VALU_DEP_1) | instskip(NEXT) | instid1(VALU_DEP_1)
	v_min_u32_e32 v99, 32, v28
	v_subrev_nc_u32_e32 v28, 28, v99
	s_delay_alu instid0(VALU_DEP_1) | instskip(SKIP_1) | instid1(VALU_DEP_2)
	v_lshlrev_b64 v[28:29], v28, v[20:21]
	v_sub_nc_u32_e32 v29, 29, v99
	v_and_b32_e32 v28, 7, v28
; %bb.1143:                             ;   in Loop: Header=BB430_10 Depth=1
	s_or_b32 exec_lo, exec_lo, s21
	v_lshlrev_b32_e32 v20, 24, v97
	s_delay_alu instid0(VALU_DEP_2) | instskip(SKIP_1) | instid1(VALU_DEP_3)
	v_lshlrev_b32_e32 v28, 20, v28
	v_lshl_add_u32 v29, v29, 23, 0x3c000000
	v_and_b32_e32 v20, 0x80000000, v20
	s_delay_alu instid0(VALU_DEP_1)
	v_or3_b32 v20, v28, v20, v29
.LBB430_1144:                           ;   in Loop: Header=BB430_10 Depth=1
	s_or_b32 exec_lo, exec_lo, s20
.LBB430_1145:                           ;   in Loop: Header=BB430_10 Depth=1
	s_delay_alu instid0(SALU_CYCLE_1)
	s_or_b32 exec_lo, exec_lo, s19
.LBB430_1146:                           ;   in Loop: Header=BB430_10 Depth=1
	s_delay_alu instid0(SALU_CYCLE_1) | instskip(NEXT) | instid1(VALU_DEP_1)
	s_or_b32 exec_lo, exec_lo, s3
	v_mul_f32_e32 v20, v107, v20
                                        ; implicit-def: $vgpr97
	s_delay_alu instid0(VALU_DEP_1) | instskip(NEXT) | instid1(VALU_DEP_1)
	v_and_b32_e32 v28, 0x7f800000, v20
	v_cmp_ne_u32_e64 s2, 0x7f800000, v28
	s_delay_alu instid0(VALU_DEP_1) | instskip(NEXT) | instid1(SALU_CYCLE_1)
	s_and_saveexec_b32 s3, s2
	s_xor_b32 s2, exec_lo, s3
; %bb.1147:                             ;   in Loop: Header=BB430_10 Depth=1
	v_bfe_u32 v28, v20, 16, 1
	s_delay_alu instid0(VALU_DEP_1)
	v_add3_u32 v97, v20, v28, 0x7fff
                                        ; implicit-def: $vgpr20
; %bb.1148:                             ;   in Loop: Header=BB430_10 Depth=1
	s_and_not1_saveexec_b32 s3, s2
; %bb.1149:                             ;   in Loop: Header=BB430_10 Depth=1
	v_and_b32_e32 v28, 0xffff, v20
	v_or_b32_e32 v29, 0x10000, v20
	s_delay_alu instid0(VALU_DEP_2) | instskip(NEXT) | instid1(VALU_DEP_1)
	v_cmp_eq_u32_e64 s2, 0, v28
	v_cndmask_b32_e64 v97, v29, v20, s2
; %bb.1150:                             ;   in Loop: Header=BB430_10 Depth=1
	s_or_b32 exec_lo, exec_lo, s3
	v_mov_b32_e32 v20, 0
	s_mov_b32 s3, exec_lo
	v_cmpx_lt_u32_e32 0xffffff, v98
	s_cbranch_execz .LBB430_1158
; %bb.1151:                             ;   in Loop: Header=BB430_10 Depth=1
	v_lshrrev_b32_e32 v99, 24, v98
	v_bfrev_b32_e32 v20, 1
	s_mov_b32 s19, exec_lo
	s_delay_alu instid0(VALU_DEP_2)
	v_cmpx_ne_u32_e32 0x80, v99
	s_cbranch_execz .LBB430_1157
; %bb.1152:                             ;   in Loop: Header=BB430_10 Depth=1
	v_bfe_u32 v98, v98, 24, 7
	v_mov_b32_e32 v20, 0x7f800001
	s_mov_b32 s20, exec_lo
	s_delay_alu instid0(VALU_DEP_2)
	v_cmpx_ne_u32_e32 0x7f, v98
	s_cbranch_execz .LBB430_1156
; %bb.1153:                             ;   in Loop: Header=BB430_10 Depth=1
	v_and_b32_e32 v20, 7, v99
	v_mov_b32_e32 v29, v21
	v_lshrrev_b32_e32 v29, 3, v98
	s_mov_b32 s21, exec_lo
	s_delay_alu instid0(VALU_DEP_3)
	v_mov_b32_e32 v28, v20
	v_cmpx_gt_u32_e32 8, v98
; %bb.1154:                             ;   in Loop: Header=BB430_10 Depth=1
	v_clz_i32_u32_e32 v28, v20
	s_delay_alu instid0(VALU_DEP_1) | instskip(NEXT) | instid1(VALU_DEP_1)
	v_min_u32_e32 v98, 32, v28
	v_subrev_nc_u32_e32 v28, 28, v98
	s_delay_alu instid0(VALU_DEP_1) | instskip(SKIP_1) | instid1(VALU_DEP_2)
	v_lshlrev_b64 v[28:29], v28, v[20:21]
	v_sub_nc_u32_e32 v29, 29, v98
	v_and_b32_e32 v28, 7, v28
; %bb.1155:                             ;   in Loop: Header=BB430_10 Depth=1
	s_or_b32 exec_lo, exec_lo, s21
	v_lshlrev_b32_e32 v20, 24, v99
	s_delay_alu instid0(VALU_DEP_2) | instskip(SKIP_1) | instid1(VALU_DEP_3)
	v_lshlrev_b32_e32 v28, 20, v28
	v_lshl_add_u32 v29, v29, 23, 0x3c000000
	v_and_b32_e32 v20, 0x80000000, v20
	s_delay_alu instid0(VALU_DEP_1)
	v_or3_b32 v20, v28, v20, v29
.LBB430_1156:                           ;   in Loop: Header=BB430_10 Depth=1
	s_or_b32 exec_lo, exec_lo, s20
.LBB430_1157:                           ;   in Loop: Header=BB430_10 Depth=1
	s_delay_alu instid0(SALU_CYCLE_1)
	s_or_b32 exec_lo, exec_lo, s19
.LBB430_1158:                           ;   in Loop: Header=BB430_10 Depth=1
	s_delay_alu instid0(SALU_CYCLE_1) | instskip(NEXT) | instid1(VALU_DEP_1)
	s_or_b32 exec_lo, exec_lo, s3
	v_mul_f32_e32 v28, v107, v20
	s_delay_alu instid0(VALU_DEP_1) | instskip(NEXT) | instid1(VALU_DEP_1)
	v_and_b32_e32 v20, 0x7f800000, v28
	v_cmp_ne_u32_e64 s2, 0x7f800000, v20
                                        ; implicit-def: $vgpr20
	s_delay_alu instid0(VALU_DEP_1) | instskip(NEXT) | instid1(SALU_CYCLE_1)
	s_and_saveexec_b32 s3, s2
	s_xor_b32 s2, exec_lo, s3
; %bb.1159:                             ;   in Loop: Header=BB430_10 Depth=1
	v_bfe_u32 v20, v28, 16, 1
	s_delay_alu instid0(VALU_DEP_1)
	v_add3_u32 v20, v28, v20, 0x7fff
                                        ; implicit-def: $vgpr28
; %bb.1160:                             ;   in Loop: Header=BB430_10 Depth=1
	s_and_not1_saveexec_b32 s3, s2
; %bb.1161:                             ;   in Loop: Header=BB430_10 Depth=1
	v_and_b32_e32 v20, 0xffff, v28
	v_or_b32_e32 v29, 0x10000, v28
	s_delay_alu instid0(VALU_DEP_2) | instskip(NEXT) | instid1(VALU_DEP_1)
	v_cmp_eq_u32_e64 s2, 0, v20
	v_cndmask_b32_e64 v20, v29, v28, s2
; %bb.1162:                             ;   in Loop: Header=BB430_10 Depth=1
	s_or_b32 exec_lo, exec_lo, s3
	scratch_load_b32 v98, off, s32 offset:336 ; 4-byte Folded Reload
	v_and_b32_e32 v28, 0xffff0000, v111
	v_and_b32_e32 v29, 0xffff0000, v106
	v_and_b32_e32 v2, 0xffff0000, v2
	v_and_b32_e32 v32, 0xffff0000, v32
	v_and_b32_e32 v0, 0xffff0000, v0
	v_and_b32_e32 v4, 0xffff0000, v4
	s_clause 0x2
	scratch_load_b32 v99, off, s32 offset:340
	scratch_load_b32 v106, off, s32 offset:344
	;; [unrolled: 1-line block ×3, first 2 shown]
	s_waitcnt vmcnt(3)
	v_dual_mul_f32 v28, v98, v28 :: v_dual_and_b32 v1, 0xffff0000, v1
	scratch_load_b32 v98, off, s32 offset:320 ; 4-byte Folded Reload
	s_waitcnt vmcnt(0)
	v_dual_fmac_f32 v28, v98, v29 :: v_dual_and_b32 v29, 0xffff0000, v120
	s_delay_alu instid0(VALU_DEP_1)
	v_dual_mul_f32 v29, v99, v29 :: v_dual_and_b32 v98, 0xffff0000, v108
	scratch_load_b32 v99, off, s32 offset:324 ; 4-byte Folded Reload
	s_waitcnt vmcnt(0)
	v_fmac_f32_e32 v29, v99, v98
	v_and_b32_e32 v98, 0xffff0000, v122
	v_and_b32_e32 v99, 0xffff0000, v110
	s_delay_alu instid0(VALU_DEP_2)
	v_mul_f32_e32 v106, v106, v98
	scratch_load_b32 v98, off, s32 offset:328 ; 4-byte Folded Reload
	s_waitcnt vmcnt(0)
	v_fmac_f32_e32 v106, v98, v99
	scratch_load_b32 v99, off, s32 offset:352 ; 4-byte Folded Reload
	v_and_b32_e32 v98, 0xffff0000, v123
	s_waitcnt vmcnt(0)
	s_delay_alu instid0(VALU_DEP_1) | instskip(SKIP_3) | instid1(VALU_DEP_1)
	v_fmac_f32_e32 v28, v99, v98
	scratch_load_b32 v99, off, s32 offset:356 ; 4-byte Folded Reload
	v_and_b32_e32 v98, 0xffff0000, v125
	s_waitcnt vmcnt(0)
	v_dual_fmac_f32 v29, v99, v98 :: v_dual_and_b32 v98, 0xffff0000, v121
	v_and_b32_e32 v99, 0xffff0000, v109
	s_delay_alu instid0(VALU_DEP_2)
	v_mul_f32_e32 v107, v107, v98
	scratch_load_b32 v98, off, s32 offset:332 ; 4-byte Folded Reload
	s_waitcnt vmcnt(0)
	v_dual_fmac_f32 v107, v98, v99 :: v_dual_and_b32 v98, 0xffff0000, v124
	scratch_load_b32 v99, off, s32 offset:360 ; 4-byte Folded Reload
	s_waitcnt vmcnt(0)
	v_fmac_f32_e32 v106, v99, v98
	scratch_load_b32 v99, off, s32 offset:368 ; 4-byte Folded Reload
	v_and_b32_e32 v98, 0xffff0000, v127
	s_waitcnt vmcnt(0)
	s_delay_alu instid0(VALU_DEP_1) | instskip(SKIP_3) | instid1(VALU_DEP_1)
	v_fmac_f32_e32 v28, v99, v98
	scratch_load_b32 v99, off, s32 offset:372 ; 4-byte Folded Reload
	v_and_b32_e32 v98, 0xffff0000, v136
	s_waitcnt vmcnt(0)
	v_fmac_f32_e32 v29, v99, v98
	scratch_load_b32 v99, off, s32 offset:364 ; 4-byte Folded Reload
	v_and_b32_e32 v98, 0xffff0000, v126
	s_waitcnt vmcnt(0)
	s_delay_alu instid0(VALU_DEP_1) | instskip(SKIP_3) | instid1(VALU_DEP_1)
	v_fmac_f32_e32 v107, v99, v98
	scratch_load_b32 v99, off, s32 offset:376 ; 4-byte Folded Reload
	v_and_b32_e32 v98, 0xffff0000, v137
	;; [unrolled: 9-line block ×7, first 2 shown]
	s_waitcnt vmcnt(0)
	v_fmac_f32_e32 v29, v99, v98
	scratch_load_b32 v99, off, s32 offset:412 ; 4-byte Folded Reload
	v_and_b32_e32 v98, 0xffff0000, v154
	s_waitcnt vmcnt(0)
	s_delay_alu instid0(VALU_DEP_1) | instskip(NEXT) | instid1(VALU_DEP_1)
	v_dual_fmac_f32 v107, v99, v98 :: v_dual_and_b32 v98, 0xffff0000, v157
	v_fmac_f32_e32 v106, v100, v98
	v_and_b32_e32 v98, 0xffff0000, v159
	s_delay_alu instid0(VALU_DEP_1) | instskip(SKIP_1) | instid1(VALU_DEP_1)
	v_fmac_f32_e32 v28, v102, v98
	v_and_b32_e32 v98, 0xffff0000, v168
	v_fmac_f32_e32 v29, v103, v98
	v_and_b32_e32 v98, 0xffff0000, v158
	s_delay_alu instid0(VALU_DEP_1) | instskip(NEXT) | instid1(VALU_DEP_1)
	v_dual_fmac_f32 v107, v101, v98 :: v_dual_and_b32 v98, 0xffff0000, v169
	v_fmac_f32_e32 v106, v112, v98
	v_and_b32_e32 v98, 0xffff0000, v171
	s_delay_alu instid0(VALU_DEP_1) | instskip(SKIP_1) | instid1(VALU_DEP_1)
	v_fmac_f32_e32 v28, v114, v98
	v_and_b32_e32 v98, 0xffff0000, v172
	v_fmac_f32_e32 v29, v115, v98
	v_and_b32_e32 v98, 0xffff0000, v170
	;; [unrolled: 9-line block ×4, first 2 shown]
	s_delay_alu instid0(VALU_DEP_1) | instskip(NEXT) | instid1(VALU_DEP_3)
	v_dual_fmac_f32 v107, v129, v98 :: v_dual_and_b32 v98, 0xffff0000, v189
	v_dual_fmac_f32 v29, v135, v32 :: v_dual_and_b32 v32, 0xffff0000, v190
	s_delay_alu instid0(VALU_DEP_2) | instskip(NEXT) | instid1(VALU_DEP_2)
	v_fmac_f32_e32 v106, v132, v98
	v_dual_fmac_f32 v107, v133, v32 :: v_dual_and_b32 v98, 0xffff0000, v191
	v_and_b32_e32 v32, 0xffff0000, v34
	s_delay_alu instid0(VALU_DEP_2) | instskip(NEXT) | instid1(VALU_DEP_2)
	v_fmac_f32_e32 v28, v134, v98
	v_fmac_f32_e32 v106, v145, v32
	s_delay_alu instid0(VALU_DEP_2) | instskip(SKIP_1) | instid1(VALU_DEP_1)
	v_fmac_f32_e32 v28, v147, v4
	v_and_b32_e32 v4, 0xffff0000, v36
	v_dual_fmac_f32 v29, v148, v4 :: v_dual_and_b32 v4, 0xffff0000, v5
	s_delay_alu instid0(VALU_DEP_1) | instskip(NEXT) | instid1(VALU_DEP_1)
	v_dual_fmac_f32 v107, v146, v4 :: v_dual_and_b32 v4, 0xffff0000, v51
	v_fmac_f32_e32 v106, v149, v4
	v_and_b32_e32 v4, 0xffff0000, v11
	s_delay_alu instid0(VALU_DEP_1) | instskip(SKIP_1) | instid1(VALU_DEP_1)
	v_fmac_f32_e32 v28, v151, v4
	v_and_b32_e32 v4, 0xffff0000, v10
	v_fmac_f32_e32 v29, v160, v4
	s_delay_alu instid0(VALU_DEP_1) | instskip(NEXT) | instid1(VALU_DEP_1)
	v_dual_fmac_f32 v29, v164, v2 :: v_dual_and_b32 v4, 0xffff0000, v12
	v_dual_fmac_f32 v107, v150, v4 :: v_dual_and_b32 v4, 0xffff0000, v49
	v_and_b32_e32 v2, 0xffff0000, v6
	s_delay_alu instid0(VALU_DEP_2) | instskip(NEXT) | instid1(VALU_DEP_2)
	v_fmac_f32_e32 v106, v161, v4
	v_dual_fmac_f32 v107, v162, v2 :: v_dual_and_b32 v4, 0xffff0000, v7
	v_and_b32_e32 v2, 0xffff0000, v3
	s_delay_alu instid0(VALU_DEP_2) | instskip(NEXT) | instid1(VALU_DEP_2)
	v_fmac_f32_e32 v28, v163, v4
	v_fmac_f32_e32 v106, v165, v2
	v_and_b32_e32 v2, 0xffff0000, v15
	s_delay_alu instid0(VALU_DEP_1) | instskip(SKIP_1) | instid1(VALU_DEP_1)
	v_fmac_f32_e32 v28, v167, v2
	v_and_b32_e32 v2, 0xffff0000, v50
	v_dual_fmac_f32 v28, v179, v1 :: v_dual_fmac_f32 v29, v176, v2
	v_and_b32_e32 v2, 0xffff0000, v14
	v_and_b32_e32 v1, 0xffff0000, v20
	s_delay_alu instid0(VALU_DEP_3) | instskip(NEXT) | instid1(VALU_DEP_3)
	v_fmac_f32_e32 v29, v180, v0
	v_dual_fmac_f32 v107, v166, v2 :: v_dual_and_b32 v2, 0xffff0000, v33
	v_and_b32_e32 v0, 0xffff0000, v104
	s_delay_alu instid0(VALU_DEP_1) | instskip(SKIP_1) | instid1(VALU_DEP_1)
	v_dual_fmac_f32 v106, v177, v2 :: v_dual_fmac_f32 v107, v178, v0
	v_and_b32_e32 v0, 0xffff0000, v144
	v_fmac_f32_e32 v106, v181, v0
	v_and_b32_e32 v0, 0xffff0000, v27
	s_delay_alu instid0(VALU_DEP_1) | instskip(SKIP_1) | instid1(VALU_DEP_1)
	v_fmac_f32_e32 v28, v183, v0
	v_and_b32_e32 v0, 0xffff0000, v26
	v_dual_fmac_f32 v29, v40, v0 :: v_dual_and_b32 v0, 0xffff0000, v23
	s_delay_alu instid0(VALU_DEP_1) | instskip(SKIP_1) | instid1(VALU_DEP_1)
	v_fmac_f32_e32 v107, v182, v0
	v_and_b32_e32 v0, 0xffff0000, v48
	v_fmac_f32_e32 v106, v41, v0
	v_and_b32_e32 v0, 0xffff0000, v53
	s_delay_alu instid0(VALU_DEP_1) | instskip(SKIP_1) | instid1(VALU_DEP_1)
	v_fmac_f32_e32 v28, v43, v0
	v_and_b32_e32 v0, 0xffff0000, v54
	v_fmac_f32_e32 v29, v44, v0
	v_and_b32_e32 v0, 0xffff0000, v52
	s_delay_alu instid0(VALU_DEP_1) | instskip(NEXT) | instid1(VALU_DEP_1)
	v_dual_fmac_f32 v107, v42, v0 :: v_dual_and_b32 v0, 0xffff0000, v55
	v_fmac_f32_e32 v106, v45, v0
	v_and_b32_e32 v0, 0xffff0000, v65
	s_delay_alu instid0(VALU_DEP_1) | instskip(SKIP_1) | instid1(VALU_DEP_1)
	v_fmac_f32_e32 v28, v47, v0
	v_and_b32_e32 v0, 0xffff0000, v66
	v_fmac_f32_e32 v29, v56, v0
	v_and_b32_e32 v0, 0xffff0000, v64
	s_delay_alu instid0(VALU_DEP_1) | instskip(NEXT) | instid1(VALU_DEP_1)
	v_dual_fmac_f32 v107, v46, v0 :: v_dual_and_b32 v0, 0xffff0000, v67
	;; [unrolled: 9-line block ×5, first 2 shown]
	v_fmac_f32_e32 v106, v77, v0
	v_and_b32_e32 v0, 0xffff0000, v31
	s_delay_alu instid0(VALU_DEP_1) | instskip(SKIP_1) | instid1(VALU_DEP_1)
	v_fmac_f32_e32 v28, v79, v0
	v_and_b32_e32 v0, 0xffff0000, v96
	v_dual_fmac_f32 v29, v88, v0 :: v_dual_and_b32 v0, 0xffff0000, v30
	s_delay_alu instid0(VALU_DEP_1) | instskip(NEXT) | instid1(VALU_DEP_1)
	v_dual_fmac_f32 v107, v78, v0 :: v_dual_and_b32 v0, 0xffff0000, v97
	v_dual_fmac_f32 v107, v90, v1 :: v_dual_fmac_f32 v106, v89, v0
	s_delay_alu instid0(VALU_DEP_3) | instskip(NEXT) | instid1(VALU_DEP_1)
	v_add_f32_e32 v0, v28, v29
	v_add_f32_e32 v0, v0, v106
	s_delay_alu instid0(VALU_DEP_1)
	v_add_f32_e32 v0, v107, v0
	ds_bpermute_b32 v1, v92, v0
	s_and_saveexec_b32 s3, vcc_lo
	s_cbranch_execz .LBB430_9
; %bb.1163:                             ;   in Loop: Header=BB430_10 Depth=1
	v_sub_nc_u32_e32 v2, 1, v35
	s_load_b32 s19, s[8:9], 0x0
	s_waitcnt lgkmcnt(0)
	v_add_f32_e32 v0, v0, v1
	v_cmp_lt_i32_e64 s2, v93, v35
	v_add_nc_u32_e32 v2, v2, v93
	s_delay_alu instid0(VALU_DEP_1) | instskip(NEXT) | instid1(VALU_DEP_1)
	v_cvt_f32_i32_e32 v2, v2
	v_mul_f32_e32 v2, v39, v2
	s_delay_alu instid0(VALU_DEP_1) | instskip(NEXT) | instid1(VALU_DEP_1)
	v_cndmask_b32_e64 v1, 0, v2, s1
	v_dual_max_f32 v2, v91, v91 :: v_dual_fmac_f32 v1, v0, v13
	s_delay_alu instid0(VALU_DEP_1) | instskip(SKIP_2) | instid1(VALU_DEP_3)
	v_max_f32_e32 v0, v2, v1
	v_add_nc_u32_e32 v2, s19, v94
	v_cndmask_b32_e64 v1, 0, v1, s2
	v_cndmask_b32_e64 v91, v91, v0, s2
	ds_store_b32 v2, v1
	s_branch .LBB430_9
.LBB430_1164:
	s_or_b32 exec_lo, exec_lo, s11
	s_clause 0x10
	scratch_load_b32 v95, off, s32 offset:436
	scratch_load_b32 v104, off, s32 offset:440
	scratch_load_b32 v0, off, s32 offset:424
	scratch_load_b32 v15, off, s32 offset:444
	scratch_load_b32 v14, off, s32 offset:448
	scratch_load_b64 v[26:27], off, s32 offset:452
	scratch_load_b32 v32, off, s32 offset:460
	scratch_load_b32 v10, off, s32 offset:464
	;; [unrolled: 1-line block ×8, first 2 shown]
	scratch_load_b64 v[49:50], off, s32 offset:492
	scratch_load_b32 v51, off, s32 offset:500
	scratch_load_b32 v52, off, s32 offset:504
	v_mov_b32_e32 v11, 32
	s_waitcnt vmcnt(14)
	v_lshrrev_b32_e32 v105, 1, v0
.LBB430_1165:
	s_or_b32 exec_lo, exec_lo, s15
	scratch_load_b32 v6, off, s32 offset:424 ; 4-byte Folded Reload
	v_xor_b32_e32 v0, 16, v38
	s_waitcnt lgkmcnt(0)
	v_xor_b32_e32 v1, 8, v38
	s_lshr_b32 s8, s18, 16
	v_max_f32_e32 v2, v91, v91
	v_cmp_lt_i32_e32 vcc_lo, v0, v11
	v_cndmask_b32_e32 v0, v38, v0, vcc_lo
	v_cmp_lt_i32_e32 vcc_lo, v1, v11
	s_delay_alu instid0(VALU_DEP_2) | instskip(SKIP_3) | instid1(VALU_DEP_1)
	v_lshlrev_b32_e32 v3, 2, v0
	ds_bpermute_b32 v0, v3, v91
	s_waitcnt lgkmcnt(0)
	v_dual_cndmask_b32 v1, v38, v1 :: v_dual_max_f32 v0, v0, v0
	v_lshlrev_b32_e32 v4, 2, v1
	s_delay_alu instid0(VALU_DEP_2) | instskip(SKIP_1) | instid1(VALU_DEP_1)
	v_max_f32_e32 v0, v2, v0
	v_xor_b32_e32 v2, 4, v38
	v_cmp_lt_i32_e32 vcc_lo, v2, v11
	v_cndmask_b32_e32 v2, v38, v2, vcc_lo
	s_delay_alu instid0(VALU_DEP_1) | instskip(SKIP_2) | instid1(VALU_DEP_1)
	v_lshlrev_b32_e32 v5, 2, v2
	ds_bpermute_b32 v1, v4, v0
	v_xor_b32_e32 v2, 2, v38
	v_cmp_lt_i32_e32 vcc_lo, v2, v11
	v_cndmask_b32_e32 v2, v38, v2, vcc_lo
	s_waitcnt lgkmcnt(0)
	s_delay_alu instid0(VALU_DEP_1) | instskip(NEXT) | instid1(VALU_DEP_1)
	v_dual_max_f32 v1, v1, v1 :: v_dual_lshlrev_b32 v2, 2, v2
	v_max_f32_e32 v0, v0, v1
	ds_bpermute_b32 v1, v5, v0
	s_waitcnt lgkmcnt(0)
	v_max_f32_e32 v1, v1, v1
	s_delay_alu instid0(VALU_DEP_1)
	v_max_f32_e32 v0, v0, v1
	ds_bpermute_b32 v1, v2, v0
	s_waitcnt vmcnt(0)
	v_and_b32_e32 v18, 31, v6
	scratch_load_b32 v6, off, s32 offset:428 ; 4-byte Folded Reload
	v_cmp_eq_u32_e32 vcc_lo, 0, v18
	s_waitcnt vmcnt(0)
	v_lshlrev_b32_e32 v6, 2, v6
	s_and_saveexec_b32 s1, vcc_lo
	s_cbranch_execz .LBB430_1167
; %bb.1166:
	s_waitcnt lgkmcnt(0)
	v_dual_max_f32 v1, v1, v1 :: v_dual_max_f32 v0, v0, v0
	s_delay_alu instid0(VALU_DEP_1)
	v_max_f32_e32 v0, v0, v1
	ds_store_b32 v6, v0 offset:384
.LBB430_1167:
	s_or_b32 exec_lo, exec_lo, s1
	v_cmp_gt_u32_e64 s1, 4, v18
	v_dual_mov_b32 v0, 0xff7fffff :: v_dual_lshlrev_b32 v7, 2, v18
	s_waitcnt lgkmcnt(0)
	s_waitcnt_vscnt null, 0x0
	s_barrier
	buffer_gl0_inv
	s_and_saveexec_b32 s2, s1
	s_cbranch_execz .LBB430_1169
; %bb.1168:
	ds_load_b32 v0, v7 offset:384
.LBB430_1169:
	s_or_b32 exec_lo, exec_lo, s2
	s_waitcnt lgkmcnt(0)
	ds_bpermute_b32 v1, v2, v0
	v_xor_b32_e32 v8, 1, v38
	v_max_f32_e32 v0, v0, v0
	v_subrev_nc_u32_e32 v9, s13, v37
	s_delay_alu instid0(VALU_DEP_3) | instskip(NEXT) | instid1(VALU_DEP_1)
	v_cmp_lt_i32_e64 s2, v8, v11
	v_cndmask_b32_e64 v8, v38, v8, s2
	s_waitcnt lgkmcnt(0)
	v_max_f32_e32 v1, v1, v1
	s_delay_alu instid0(VALU_DEP_2) | instskip(SKIP_1) | instid1(VALU_DEP_3)
	v_lshlrev_b32_e32 v19, 2, v8
	v_lshlrev_b32_e32 v8, 2, v38
	v_max_f32_e32 v0, v0, v1
	s_delay_alu instid0(VALU_DEP_2) | instskip(SKIP_3) | instid1(VALU_DEP_1)
	v_and_b32_e32 v8, 0xffffff80, v8
	ds_bpermute_b32 v1, v19, v0
	s_waitcnt lgkmcnt(0)
	v_max_f32_e32 v1, v1, v1
	v_max_f32_e32 v0, v0, v1
	v_lshl_add_u32 v1, v9, 4, s17
	scratch_load_b32 v9, off, s32 offset:424 ; 4-byte Folded Reload
	v_min_i32_e32 v1, v1, v35
	s_delay_alu instid0(VALU_DEP_1) | instskip(SKIP_1) | instid1(VALU_DEP_1)
	v_subrev_nc_u32_e32 v1, s17, v1
	s_waitcnt vmcnt(0)
	v_cmp_lt_i32_e64 s2, v9, v1
	v_mov_b32_e32 v9, 0
	ds_bpermute_b32 v0, v8, v0
	s_and_saveexec_b32 s9, s2
	s_cbranch_execz .LBB430_1173
; %bb.1170:
	scratch_load_b32 v11, off, s32 offset:424 ; 4-byte Folded Reload
	s_getpc_b64 s[18:19]
	s_add_u32 s18, s18, llvm.amdgcn.dynlds.offset.table@rel32@lo+4
	s_addc_u32 s19, s19, llvm.amdgcn.dynlds.offset.table@rel32@hi+12
	s_ashr_i32 s11, s10, 31
	v_mov_b32_e32 v9, 0
	s_lshl_b64 s[20:21], s[10:11], 2
	s_mov_b32 s11, 0
	s_add_u32 s18, s20, s18
	s_addc_u32 s19, s21, s19
	s_load_b32 s3, s[18:19], 0x0
	s_waitcnt vmcnt(0) lgkmcnt(0)
	v_lshl_add_u32 v13, v11, 2, s3
	.p2align	6
.LBB430_1171:                           ; =>This Inner Loop Header: Depth=1
	ds_load_b32 v12, v13
	v_add_nc_u32_e32 v11, 0x80, v11
	s_delay_alu instid0(VALU_DEP_1) | instskip(NEXT) | instid1(VALU_DEP_1)
	v_cmp_ge_i32_e64 s3, v11, v1
	s_or_b32 s11, s3, s11
	s_waitcnt lgkmcnt(0)
	v_sub_f32_e32 v12, v12, v0
	s_delay_alu instid0(VALU_DEP_1) | instskip(NEXT) | instid1(VALU_DEP_1)
	v_mul_f32_e32 v12, 0x3fb8aa3b, v12
	v_exp_f32_e32 v12, v12
	ds_store_b32 v13, v12
	v_add_f32_e32 v9, v9, v12
	v_add_nc_u32_e32 v13, 0x200, v13
	s_and_not1_b32 exec_lo, exec_lo, s11
	s_cbranch_execnz .LBB430_1171
; %bb.1172:
	s_or_b32 exec_lo, exec_lo, s11
.LBB430_1173:
	s_delay_alu instid0(SALU_CYCLE_1)
	s_or_b32 exec_lo, exec_lo, s9
	ds_bpermute_b32 v3, v3, v9
	s_waitcnt lgkmcnt(0)
	v_add_f32_e32 v3, v9, v3
	ds_bpermute_b32 v4, v4, v3
	s_waitcnt lgkmcnt(0)
	v_add_f32_e32 v3, v3, v4
	;; [unrolled: 3-line block ×5, first 2 shown]
	s_and_saveexec_b32 s3, vcc_lo
	s_cbranch_execz .LBB430_1175
; %bb.1174:
	ds_store_b32 v6, v3 offset:400
.LBB430_1175:
	s_or_b32 exec_lo, exec_lo, s3
	s_waitcnt lgkmcnt(0)
	s_barrier
	buffer_gl0_inv
	s_and_saveexec_b32 s3, s1
	s_cbranch_execz .LBB430_1177
; %bb.1176:
	ds_load_b32 v3, v7 offset:400
.LBB430_1177:
	s_or_b32 exec_lo, exec_lo, s3
	s_waitcnt lgkmcnt(0)
	ds_bpermute_b32 v2, v2, v3
	s_waitcnt lgkmcnt(0)
	v_add_f32_e32 v2, v3, v2
	ds_bpermute_b32 v3, v19, v2
	s_waitcnt lgkmcnt(0)
	v_add_f32_e32 v2, v2, v3
	ds_bpermute_b32 v2, v8, v2
	s_and_saveexec_b32 s1, s2
	s_cbranch_execz .LBB430_1180
; %bb.1178:
	s_waitcnt lgkmcnt(0)
	v_add_f32_e32 v4, 0x358637bd, v2
	s_getpc_b64 s[2:3]
	s_add_u32 s2, s2, llvm.amdgcn.dynlds.offset.table@rel32@lo+4
	s_addc_u32 s3, s3, llvm.amdgcn.dynlds.offset.table@rel32@hi+12
	s_ashr_i32 s11, s10, 31
	s_delay_alu instid0(SALU_CYCLE_1) | instskip(SKIP_4) | instid1(VALU_DEP_1)
	s_lshl_b64 s[18:19], s[10:11], 2
	v_div_scale_f32 v3, null, v4, v4, 1.0
	s_add_u32 s2, s18, s2
	s_addc_u32 s3, s19, s3
	s_load_b32 s2, s[2:3], 0x0
	v_rcp_f32_e32 v5, v3
	s_waitcnt_depctr 0xfff
	v_fma_f32 v6, -v3, v5, 1.0
	s_delay_alu instid0(VALU_DEP_1) | instskip(SKIP_1) | instid1(VALU_DEP_1)
	v_fmac_f32_e32 v5, v6, v5
	v_div_scale_f32 v7, vcc_lo, 1.0, v4, 1.0
	v_mul_f32_e32 v6, v7, v5
	s_delay_alu instid0(VALU_DEP_1) | instskip(NEXT) | instid1(VALU_DEP_1)
	v_fma_f32 v8, -v3, v6, v7
	v_fmac_f32_e32 v6, v8, v5
	s_delay_alu instid0(VALU_DEP_1) | instskip(NEXT) | instid1(VALU_DEP_1)
	v_fma_f32 v3, -v3, v6, v7
	v_div_fmas_f32 v5, v3, v5, v6
	scratch_load_b32 v6, off, s32 offset:424 ; 4-byte Folded Reload
	v_div_fixup_f32 v4, v5, v4, 1.0
	s_waitcnt vmcnt(0) lgkmcnt(0)
	v_lshl_add_u32 v3, v6, 2, s2
	v_mov_b32_e32 v5, v6
	s_mov_b32 s2, 0
.LBB430_1179:                           ; =>This Inner Loop Header: Depth=1
	ds_load_b32 v6, v3
	s_waitcnt lgkmcnt(0)
	v_dual_mul_f32 v6, v4, v6 :: v_dual_add_nc_u32 v5, 0x80, v5
	s_delay_alu instid0(VALU_DEP_1) | instskip(SKIP_3) | instid1(SALU_CYCLE_1)
	v_cmp_ge_i32_e32 vcc_lo, v5, v1
	ds_store_b32 v3, v6
	v_add_nc_u32_e32 v3, 0x200, v3
	s_or_b32 s2, vcc_lo, s2
	s_and_not1_b32 exec_lo, exec_lo, s2
	s_cbranch_execnz .LBB430_1179
.LBB430_1180:
	s_or_b32 exec_lo, exec_lo, s1
	scratch_load_b32 v1, off, s32 offset:424 ; 4-byte Folded Reload
	v_cmp_ne_u16_e64 s1, s8, 0
	s_mov_b32 s2, exec_lo
	s_waitcnt vmcnt(0) lgkmcnt(0)
	s_barrier
	buffer_gl0_inv
	s_cmp_lg_u32 s1, 0
	s_addc_u32 s1, s7, 0
	v_cmpx_eq_u32_e32 0, v1
	s_cbranch_execz .LBB430_1182
; %bb.1181:
	s_mul_i32 s3, s1, s4
	s_mul_i32 s8, s1, s12
	;; [unrolled: 1-line block ×3, first 2 shown]
	s_ashr_i32 s9, s8, 31
	s_ashr_i32 s15, s14, 31
	;; [unrolled: 1-line block ×3, first 2 shown]
	s_lshl_b64 s[8:9], s[8:9], 2
	s_lshl_b64 s[18:19], s[14:15], 2
	;; [unrolled: 1-line block ×3, first 2 shown]
	s_add_u32 s3, s18, s8
	s_addc_u32 s7, s19, s9
	s_add_u32 s3, s3, s12
	s_addc_u32 s7, s7, s13
	v_add_co_u32 v3, vcc_lo, s3, v33
	v_add_co_ci_u32_e32 v4, vcc_lo, s7, v30, vcc_lo
	v_add_co_u32 v5, vcc_lo, s3, v29
	v_add_co_ci_u32_e32 v6, vcc_lo, s7, v28, vcc_lo
	flat_store_b32 v[3:4], v0
	flat_store_b32 v[5:6], v2
.LBB430_1182:
	s_or_b32 exec_lo, exec_lo, s2
                                        ; implicit-def: $sgpr2
	s_and_saveexec_b32 s3, s0
	s_delay_alu instid0(SALU_CYCLE_1)
	s_xor_b32 s0, exec_lo, s3
; %bb.1183:
	s_ashr_i32 s11, s10, 31
	s_mov_b32 s2, 0
                                        ; implicit-def: $vgpr35
                                        ; implicit-def: $vgpr36
                                        ; implicit-def: $vgpr37
                                        ; implicit-def: $vgpr16
                                        ; implicit-def: $vgpr10
                                        ; implicit-def: $vgpr32
                                        ; implicit-def: $vgpr14
                                        ; implicit-def: $vgpr15
                                        ; implicit-def: $vgpr22
                                        ; implicit-def: $vgpr26_vgpr27
                                        ; implicit-def: $vgpr51
                                        ; implicit-def: $vgpr52
                                        ; implicit-def: $vgpr49_vgpr50
                                        ; implicit-def: $vgpr34
; %bb.1184:
	s_or_saveexec_b32 s7, s0
	v_dual_mov_b32 v0, s10 :: v_dual_mov_b32 v39, s2
	v_dual_mov_b32 v38, s2 :: v_dual_mov_b32 v1, s11
	v_dual_mov_b32 v48, s2 :: v_dual_mov_b32 v31, s2
	v_dual_mov_b32 v30, s2 :: v_dual_mov_b32 v29, s2
	v_dual_mov_b32 v28, s2 :: v_dual_mov_b32 v25, s2
	v_dual_mov_b32 v24, s2 :: v_dual_mov_b32 v23, s2
	v_dual_mov_b32 v21, s2 :: v_dual_mov_b32 v20, s2
	s_xor_b32 exec_lo, exec_lo, s7
	s_cbranch_execz .LBB430_2780
; %bb.1185:
	v_add_co_u32 v3, vcc_lo, v10, v51
	v_dual_mov_b32 v10, 0 :: v_dual_and_b32 v5, 0xf8, v34
	v_add_co_ci_u32_e32 v4, vcc_lo, v32, v52, vcc_lo
	flat_load_b32 v26, v[26:27]
	v_add_co_u32 v11, vcc_lo, v3, v5
	s_clause 0x1
	scratch_load_b32 v3, off, s32 offset:432
	scratch_load_b32 v5, off, s32 offset:428
	s_getpc_b64 s[2:3]
	s_add_u32 s2, s2, llvm.amdgcn.dynlds.offset.table@rel32@lo+4
	s_addc_u32 s3, s3, llvm.amdgcn.dynlds.offset.table@rel32@hi+12
	s_ashr_i32 s11, s10, 31
	v_lshlrev_b64 v[0:1], 2, v[16:17]
	s_lshl_b64 s[8:9], s[10:11], 2
	v_add_co_ci_u32_e32 v12, vcc_lo, 0, v4, vcc_lo
	s_add_u32 s2, s8, s2
	s_addc_u32 s3, s9, s3
	s_delay_alu instid0(VALU_DEP_2) | instskip(SKIP_3) | instid1(VALU_DEP_3)
	v_add_co_u32 v0, vcc_lo, v49, v0
	s_load_b32 s0, s[2:3], 0x0
	v_dual_mov_b32 v21, 0 :: v_dual_and_b32 v2, 8, v34
	v_add_co_ci_u32_e32 v1, vcc_lo, v50, v1, vcc_lo
	v_add_co_u32 v13, vcc_lo, v14, v0
	v_dual_mov_b32 v20, 0 :: v_dual_add_nc_u32 v27, -1, v36
	s_delay_alu instid0(VALU_DEP_3)
	v_add_co_ci_u32_e32 v14, vcc_lo, v15, v1, vcc_lo
	v_dual_mov_b32 v23, 0 :: v_dual_mov_b32 v30, 0
	v_dual_mov_b32 v25, 0 :: v_dual_mov_b32 v48, 0
	;; [unrolled: 1-line block ×3, first 2 shown]
	v_mov_b32_e32 v31, 0
	v_mov_b32_e32 v39, 0
	s_mov_b32 s2, -1
	s_mov_b32 s3, 0xffffff
	s_mov_b32 s8, 0
	v_mov_b32_e32 v24, 0
	s_waitcnt vmcnt(1)
	v_dual_mov_b32 v28, 0 :: v_dual_lshlrev_b32 v3, 5, v3
	s_waitcnt vmcnt(0)
	v_lshl_add_u32 v4, v5, 4, s17
	s_delay_alu instid0(VALU_DEP_2) | instskip(NEXT) | instid1(VALU_DEP_2)
	v_lshl_or_b32 v3, v5, 6, v3
	v_add3_u32 v15, v4, v2, 7
	s_waitcnt lgkmcnt(0)
	s_delay_alu instid0(VALU_DEP_2)
	v_add_nc_u32_e32 v17, s0, v3
	s_branch .LBB430_1187
.LBB430_1186:                           ;   in Loop: Header=BB430_1187 Depth=1
	s_or_b32 exec_lo, exec_lo, s0
	v_and_b32_e32 v69, 0xffff0000, v76
	v_and_b32_e32 v70, 0xffff0000, v75
	;; [unrolled: 1-line block ×5, first 2 shown]
	s_delay_alu instid0(VALU_DEP_4)
	v_dual_add_f32 v69, v70, v69 :: v_dual_and_b32 v80, 0xffff0000, v59
	v_and_b32_e32 v7, 0xffff0000, v7
	v_and_b32_e32 v70, 0xffff0000, v61
	;; [unrolled: 1-line block ×7, first 2 shown]
	s_delay_alu instid0(VALU_DEP_4) | instskip(NEXT) | instid1(VALU_DEP_4)
	v_dual_add_f32 v6, v6, v7 :: v_dual_and_b32 v5, 0xffff0000, v5
	v_add_f32_e32 v7, v68, v67
	v_and_b32_e32 v67, 0xffff0000, v77
	v_and_b32_e32 v4, 0xffff0000, v4
	;; [unrolled: 1-line block ×3, first 2 shown]
	s_delay_alu instid0(VALU_DEP_4) | instskip(SKIP_3) | instid1(VALU_DEP_4)
	v_dual_add_f32 v6, v6, v7 :: v_dual_and_b32 v49, 0xffff0000, v49
	v_and_b32_e32 v8, 0xffff0000, v8
	v_and_b32_e32 v51, 0xffff0000, v51
	v_dual_add_f32 v4, v4, v5 :: v_dual_and_b32 v3, 0xffff0000, v3
	v_dual_add_f32 v6, v6, v69 :: v_dual_and_b32 v69, 0xffff0000, v58
	v_and_b32_e32 v68, 0xffff0000, v78
	v_dual_add_f32 v5, v32, v34 :: v_dual_and_b32 v34, 0xffff0000, v167
	v_and_b32_e32 v1, 0xffff0000, v1
	s_delay_alu instid0(VALU_DEP_4) | instskip(NEXT) | instid1(VALU_DEP_4)
	v_add_f32_e32 v69, v71, v69
	v_add_f32_e32 v67, v67, v68
	v_and_b32_e32 v7, 0xffff0000, v62
	v_and_b32_e32 v68, 0xffff0000, v60
	;; [unrolled: 1-line block ×4, first 2 shown]
	v_add_f32_e32 v6, v6, v67
	v_dual_add_f32 v4, v4, v5 :: v_dual_and_b32 v67, 0xffff0000, v63
	v_and_b32_e32 v2, 0xffff0000, v2
	v_add_f32_e32 v8, v8, v49
	s_delay_alu instid0(VALU_DEP_3) | instskip(SKIP_2) | instid1(VALU_DEP_3)
	v_dual_add_f32 v67, v67, v81 :: v_dual_add_nc_u32 v16, 4, v16
	v_add_f32_e32 v68, v80, v68
	v_add_co_u32 v13, s0, v13, 16
	v_cmp_ge_i32_e32 vcc_lo, v16, v37
	v_add_co_ci_u32_e64 v14, s0, 0, v14, s0
	s_delay_alu instid0(VALU_DEP_4) | instskip(SKIP_4) | instid1(VALU_DEP_3)
	v_add_f32_e32 v68, v69, v68
	v_and_b32_e32 v80, 0xffff0000, v42
	v_and_b32_e32 v69, 0xffff0000, v46
	v_dual_add_f32 v21, v21, v6 :: v_dual_and_b32 v32, 0xffff0000, v36
	s_or_b32 s8, vcc_lo, s8
	v_add_f32_e32 v33, v33, v80
	v_add_f32_e32 v7, v70, v7
	v_dual_add_f32 v70, v82, v71 :: v_dual_and_b32 v71, 0xffff0000, v45
	v_dual_add_f32 v0, v0, v1 :: v_dual_add_f32 v1, v2, v3
	s_delay_alu instid0(VALU_DEP_3) | instskip(NEXT) | instid1(VALU_DEP_3)
	v_add_f32_e32 v7, v68, v7
	v_dual_add_f32 v69, v71, v69 :: v_dual_and_b32 v68, 0xffff0000, v47
	s_delay_alu instid0(VALU_DEP_4) | instskip(NEXT) | instid1(VALU_DEP_3)
	v_dual_add_f32 v33, v33, v70 :: v_dual_and_b32 v70, 0xffff0000, v56
	v_dual_add_f32 v6, v7, v67 :: v_dual_and_b32 v67, 0xffff0000, v161
	v_and_b32_e32 v2, 0xffff0000, v9
	s_delay_alu instid0(VALU_DEP_3) | instskip(NEXT) | instid1(VALU_DEP_4)
	v_add_f32_e32 v7, v33, v69
	v_add_f32_e32 v33, v68, v70
	s_delay_alu instid0(VALU_DEP_4) | instskip(SKIP_2) | instid1(VALU_DEP_4)
	v_add_f32_e32 v23, v23, v6
	v_and_b32_e32 v69, 0xffff0000, v129
	v_dual_add_f32 v0, v0, v1 :: v_dual_add_nc_u32 v15, 64, v15
	v_dual_add_f32 v6, v7, v33 :: v_dual_and_b32 v7, 0xffff0000, v183
	s_delay_alu instid0(VALU_DEP_1) | instskip(NEXT) | instid1(VALU_DEP_2)
	v_dual_add_f32 v24, v24, v6 :: v_dual_add_nc_u32 v17, 0x100, v17
	v_dual_add_f32 v5, v32, v7 :: v_dual_and_b32 v32, 0xffff0000, v176
	v_and_b32_e32 v6, 0xffff0000, v40
	s_delay_alu instid0(VALU_DEP_2) | instskip(NEXT) | instid1(VALU_DEP_3)
	v_dual_add_f32 v4, v4, v5 :: v_dual_and_b32 v7, 0xffff0000, v178
	v_add_f32_e32 v32, v34, v32
	v_and_b32_e32 v36, 0xffff0000, v177
	s_delay_alu instid0(VALU_DEP_1) | instskip(NEXT) | instid1(VALU_DEP_1)
	v_dual_add_f32 v7, v36, v7 :: v_dual_and_b32 v34, 0xffff0000, v182
	v_add_f32_e32 v7, v32, v7
	v_and_b32_e32 v33, 0xffff0000, v41
	s_delay_alu instid0(VALU_DEP_1) | instskip(NEXT) | instid1(VALU_DEP_1)
	v_add_f32_e32 v5, v6, v33
	v_add_f32_e32 v4, v4, v5
	s_delay_alu instid0(VALU_DEP_1) | instskip(NEXT) | instid1(VALU_DEP_1)
	v_dual_add_f32 v25, v25, v4 :: v_dual_and_b32 v32, 0xffff0000, v162
	v_dual_add_f32 v32, v67, v32 :: v_dual_and_b32 v33, 0xffff0000, v179
	v_and_b32_e32 v5, 0xffff0000, v181
	v_and_b32_e32 v6, 0xffff0000, v180
	;; [unrolled: 1-line block ×3, first 2 shown]
	s_delay_alu instid0(VALU_DEP_3) | instskip(NEXT) | instid1(VALU_DEP_3)
	v_add_f32_e32 v5, v5, v34
	v_add_f32_e32 v6, v33, v6
	v_and_b32_e32 v34, 0xffff0000, v163
	s_delay_alu instid0(VALU_DEP_2) | instskip(NEXT) | instid1(VALU_DEP_1)
	v_dual_add_f32 v6, v7, v6 :: v_dual_and_b32 v33, 0xffff0000, v160
	v_add_f32_e32 v4, v6, v5
	s_delay_alu instid0(VALU_DEP_1) | instskip(NEXT) | instid1(VALU_DEP_1)
	v_dual_add_f32 v28, v28, v4 :: v_dual_and_b32 v5, 0xffff0000, v165
	v_add_f32_e32 v5, v5, v67
	v_and_b32_e32 v67, 0xffff0000, v150
	v_and_b32_e32 v7, 0xffff0000, v164
	s_delay_alu instid0(VALU_DEP_1) | instskip(SKIP_2) | instid1(VALU_DEP_1)
	v_add_f32_e32 v7, v34, v7
	v_and_b32_e32 v34, 0xffff0000, v135
	v_and_b32_e32 v36, 0xffff0000, v151
	v_add_f32_e32 v33, v36, v33
	s_delay_alu instid0(VALU_DEP_1) | instskip(SKIP_1) | instid1(VALU_DEP_2)
	v_add_f32_e32 v6, v33, v32
	v_and_b32_e32 v32, 0xffff0000, v146
	v_dual_add_f32 v6, v6, v7 :: v_dual_and_b32 v7, 0xffff0000, v148
	s_delay_alu instid0(VALU_DEP_1) | instskip(NEXT) | instid1(VALU_DEP_1)
	v_dual_add_f32 v5, v6, v5 :: v_dual_and_b32 v68, 0xffff0000, v119
	v_add_f32_e32 v29, v29, v5
	v_and_b32_e32 v33, 0xffff0000, v144
	s_delay_alu instid0(VALU_DEP_1) | instskip(NEXT) | instid1(VALU_DEP_1)
	v_dual_add_f32 v33, v34, v33 :: v_dual_and_b32 v34, 0xffff0000, v147
	v_dual_add_f32 v7, v34, v7 :: v_dual_and_b32 v36, 0xffff0000, v145
	s_delay_alu instid0(VALU_DEP_1) | instskip(SKIP_1) | instid1(VALU_DEP_2)
	v_add_f32_e32 v32, v36, v32
	v_and_b32_e32 v36, 0xffff0000, v149
	v_add_f32_e32 v32, v33, v32
	v_and_b32_e32 v34, 0xffff0000, v128
	v_and_b32_e32 v33, 0xffff0000, v130
	s_delay_alu instid0(VALU_DEP_3) | instskip(SKIP_1) | instid1(VALU_DEP_4)
	v_add_f32_e32 v7, v32, v7
	v_add_f32_e32 v32, v36, v67
	;; [unrolled: 1-line block ×3, first 2 shown]
	s_delay_alu instid0(VALU_DEP_2) | instskip(NEXT) | instid1(VALU_DEP_1)
	v_add_f32_e32 v6, v7, v32
	v_dual_add_f32 v30, v30, v6 :: v_dual_add_f32 v33, v69, v33
	v_and_b32_e32 v69, 0xffff0000, v117
	v_and_b32_e32 v68, 0xffff0000, v97
	;; [unrolled: 1-line block ×3, first 2 shown]
	s_delay_alu instid0(VALU_DEP_4) | instskip(SKIP_1) | instid1(VALU_DEP_2)
	v_dual_add_f32 v4, v34, v33 :: v_dual_and_b32 v33, 0xffff0000, v103
	v_and_b32_e32 v67, 0xffff0000, v131
	v_dual_add_f32 v32, v33, v32 :: v_dual_and_b32 v5, 0xffff0000, v133
	v_and_b32_e32 v34, 0xffff0000, v113
	v_and_b32_e32 v6, 0xffff0000, v134
	s_delay_alu instid0(VALU_DEP_1) | instskip(NEXT) | instid1(VALU_DEP_1)
	v_dual_add_f32 v5, v5, v6 :: v_dual_and_b32 v36, 0xffff0000, v132
	v_add_f32_e32 v7, v67, v36
	v_and_b32_e32 v67, 0xffff0000, v87
	s_delay_alu instid0(VALU_DEP_2) | instskip(NEXT) | instid1(VALU_DEP_1)
	v_dual_add_f32 v4, v4, v7 :: v_dual_and_b32 v7, 0xffff0000, v114
	v_dual_add_f32 v4, v4, v5 :: v_dual_add_f32 v7, v34, v7
	s_delay_alu instid0(VALU_DEP_1) | instskip(NEXT) | instid1(VALU_DEP_1)
	v_dual_add_f32 v31, v31, v4 :: v_dual_and_b32 v50, 0xffff0000, v50
	v_dual_add_f32 v49, v50, v51 :: v_dual_and_b32 v34, 0xffff0000, v96
	s_delay_alu instid0(VALU_DEP_3) | instskip(SKIP_1) | instid1(VALU_DEP_3)
	v_dual_add_f32 v7, v32, v7 :: v_dual_and_b32 v32, 0xffff0000, v100
	v_and_b32_e32 v50, 0xffff0000, v64
	v_dual_add_f32 v34, v67, v34 :: v_dual_and_b32 v67, 0xffff0000, v99
	v_and_b32_e32 v33, 0xffff0000, v98
	v_add_f32_e32 v3, v8, v49
	s_delay_alu instid0(VALU_DEP_4) | instskip(SKIP_1) | instid1(VALU_DEP_4)
	v_add_f32_e32 v1, v2, v50
	v_and_b32_e32 v2, 0xffff0000, v66
	v_dual_add_f32 v32, v67, v32 :: v_dual_add_f32 v33, v68, v33
	v_and_b32_e32 v6, 0xffff0000, v116
	s_delay_alu instid0(VALU_DEP_4) | instskip(NEXT) | instid1(VALU_DEP_3)
	v_add_f32_e32 v0, v0, v1
	v_dual_add_f32 v5, v34, v33 :: v_dual_and_b32 v36, 0xffff0000, v115
	s_delay_alu instid0(VALU_DEP_1) | instskip(SKIP_3) | instid1(VALU_DEP_4)
	v_dual_add_f32 v5, v5, v32 :: v_dual_add_f32 v6, v36, v6
	v_and_b32_e32 v36, 0xffff0000, v118
	v_and_b32_e32 v32, 0xffff0000, v53
	;; [unrolled: 1-line block ×3, first 2 shown]
	v_dual_add_f32 v6, v7, v6 :: v_dual_and_b32 v9, 0xffff0000, v65
	s_delay_alu instid0(VALU_DEP_4) | instskip(NEXT) | instid1(VALU_DEP_2)
	v_add_f32_e32 v7, v69, v36
	v_dual_add_f32 v1, v9, v2 :: v_dual_and_b32 v36, 0xffff0000, v52
	s_delay_alu instid0(VALU_DEP_2) | instskip(NEXT) | instid1(VALU_DEP_2)
	v_dual_add_f32 v2, v6, v7 :: v_dual_and_b32 v33, 0xffff0000, v101
	v_add_f32_e32 v8, v36, v32
	v_and_b32_e32 v34, 0xffff0000, v102
	s_delay_alu instid0(VALU_DEP_3) | instskip(NEXT) | instid1(VALU_DEP_3)
	v_dual_add_f32 v0, v0, v1 :: v_dual_add_f32 v39, v39, v2
	v_dual_add_f32 v3, v3, v8 :: v_dual_and_b32 v52, 0xffff0000, v54
	s_delay_alu instid0(VALU_DEP_3) | instskip(NEXT) | instid1(VALU_DEP_3)
	v_add_f32_e32 v32, v33, v34
	v_add_f32_e32 v20, v20, v0
	s_delay_alu instid0(VALU_DEP_3) | instskip(NEXT) | instid1(VALU_DEP_3)
	v_add_f32_e32 v8, v52, v53
	v_add_f32_e32 v4, v5, v32
	s_delay_alu instid0(VALU_DEP_2) | instskip(NEXT) | instid1(VALU_DEP_2)
	v_add_f32_e32 v3, v3, v8
	v_add_f32_e32 v48, v48, v4
	s_delay_alu instid0(VALU_DEP_2)
	v_add_f32_e32 v38, v38, v3
	s_and_not1_b32 exec_lo, exec_lo, s8
	s_cbranch_execz .LBB430_2779
.LBB430_1187:                           ; =>This Inner Loop Header: Depth=1
	flat_load_b32 v51, v[13:14]
	ds_load_2addr_b64 v[6:9], v17 offset1:1
	ds_load_2addr_b64 v[0:3], v17 offset0:2 offset1:3
	s_mov_b32 s0, exec_lo
                                        ; implicit-def: $vgpr50
	s_waitcnt lgkmcnt(1)
	v_and_b32_e32 v4, 0x7f800000, v6
	s_delay_alu instid0(VALU_DEP_1)
	v_cmpx_ne_u32_e32 0x7f800000, v4
	s_xor_b32 s0, exec_lo, s0
; %bb.1188:                             ;   in Loop: Header=BB430_1187 Depth=1
	v_bfe_u32 v4, v6, 16, 1
	s_delay_alu instid0(VALU_DEP_1)
	v_add3_u32 v50, v6, v4, 0x7fff
; %bb.1189:                             ;   in Loop: Header=BB430_1187 Depth=1
	s_and_not1_saveexec_b32 s0, s0
; %bb.1190:                             ;   in Loop: Header=BB430_1187 Depth=1
	v_and_b32_e32 v4, 0xffff, v6
	v_or_b32_e32 v5, 0x10000, v6
	s_delay_alu instid0(VALU_DEP_2) | instskip(NEXT) | instid1(VALU_DEP_2)
	v_cmp_eq_u32_e32 vcc_lo, 0, v4
	v_cndmask_b32_e32 v50, v5, v6, vcc_lo
; %bb.1191:                             ;   in Loop: Header=BB430_1187 Depth=1
	s_or_b32 exec_lo, exec_lo, s0
	v_and_b32_e32 v4, 0x7f800000, v7
	s_mov_b32 s0, exec_lo
                                        ; implicit-def: $vgpr49
	s_delay_alu instid0(VALU_DEP_1)
	v_cmpx_ne_u32_e32 0x7f800000, v4
	s_xor_b32 s0, exec_lo, s0
; %bb.1192:                             ;   in Loop: Header=BB430_1187 Depth=1
	v_bfe_u32 v4, v7, 16, 1
	s_delay_alu instid0(VALU_DEP_1)
	v_add3_u32 v49, v7, v4, 0x7fff
; %bb.1193:                             ;   in Loop: Header=BB430_1187 Depth=1
	s_and_not1_saveexec_b32 s0, s0
; %bb.1194:                             ;   in Loop: Header=BB430_1187 Depth=1
	v_and_b32_e32 v4, 0xffff, v7
	v_or_b32_e32 v5, 0x10000, v7
	s_delay_alu instid0(VALU_DEP_2) | instskip(NEXT) | instid1(VALU_DEP_2)
	v_cmp_eq_u32_e32 vcc_lo, 0, v4
	v_cndmask_b32_e32 v49, v5, v7, vcc_lo
; %bb.1195:                             ;   in Loop: Header=BB430_1187 Depth=1
	s_or_b32 exec_lo, exec_lo, s0
	v_and_b32_e32 v4, 0x7f800000, v8
	s_mov_b32 s0, exec_lo
                                        ; implicit-def: $vgpr36
	s_delay_alu instid0(VALU_DEP_1)
	v_cmpx_ne_u32_e32 0x7f800000, v4
	s_xor_b32 s0, exec_lo, s0
; %bb.1196:                             ;   in Loop: Header=BB430_1187 Depth=1
	v_bfe_u32 v4, v8, 16, 1
	s_delay_alu instid0(VALU_DEP_1)
	v_add3_u32 v36, v8, v4, 0x7fff
; %bb.1197:                             ;   in Loop: Header=BB430_1187 Depth=1
	s_and_not1_saveexec_b32 s0, s0
; %bb.1198:                             ;   in Loop: Header=BB430_1187 Depth=1
	v_and_b32_e32 v4, 0xffff, v8
	v_or_b32_e32 v5, 0x10000, v8
	s_delay_alu instid0(VALU_DEP_2) | instskip(NEXT) | instid1(VALU_DEP_2)
	v_cmp_eq_u32_e32 vcc_lo, 0, v4
	v_cndmask_b32_e32 v36, v5, v8, vcc_lo
; %bb.1199:                             ;   in Loop: Header=BB430_1187 Depth=1
	s_or_b32 exec_lo, exec_lo, s0
	v_and_b32_e32 v4, 0x7f800000, v9
	s_mov_b32 s0, exec_lo
                                        ; implicit-def: $vgpr34
	s_delay_alu instid0(VALU_DEP_1)
	v_cmpx_ne_u32_e32 0x7f800000, v4
	s_xor_b32 s0, exec_lo, s0
; %bb.1200:                             ;   in Loop: Header=BB430_1187 Depth=1
	v_bfe_u32 v4, v9, 16, 1
	s_delay_alu instid0(VALU_DEP_1)
	v_add3_u32 v34, v9, v4, 0x7fff
                                        ; implicit-def: $vgpr6_vgpr7_vgpr8_vgpr9
; %bb.1201:                             ;   in Loop: Header=BB430_1187 Depth=1
	s_and_not1_saveexec_b32 s0, s0
; %bb.1202:                             ;   in Loop: Header=BB430_1187 Depth=1
	v_and_b32_e32 v4, 0xffff, v9
	v_or_b32_e32 v5, 0x10000, v9
	s_delay_alu instid0(VALU_DEP_2) | instskip(NEXT) | instid1(VALU_DEP_2)
	v_cmp_eq_u32_e32 vcc_lo, 0, v4
	v_cndmask_b32_e32 v34, v5, v9, vcc_lo
; %bb.1203:                             ;   in Loop: Header=BB430_1187 Depth=1
	s_or_b32 exec_lo, exec_lo, s0
	s_waitcnt lgkmcnt(0)
	v_and_b32_e32 v4, 0x7f800000, v0
	s_mov_b32 s0, exec_lo
                                        ; implicit-def: $vgpr33
	s_delay_alu instid0(VALU_DEP_1)
	v_cmpx_ne_u32_e32 0x7f800000, v4
	s_xor_b32 s0, exec_lo, s0
; %bb.1204:                             ;   in Loop: Header=BB430_1187 Depth=1
	v_bfe_u32 v4, v0, 16, 1
	s_delay_alu instid0(VALU_DEP_1)
	v_add3_u32 v33, v0, v4, 0x7fff
; %bb.1205:                             ;   in Loop: Header=BB430_1187 Depth=1
	s_and_not1_saveexec_b32 s0, s0
; %bb.1206:                             ;   in Loop: Header=BB430_1187 Depth=1
	v_and_b32_e32 v4, 0xffff, v0
	v_or_b32_e32 v5, 0x10000, v0
	s_delay_alu instid0(VALU_DEP_2) | instskip(NEXT) | instid1(VALU_DEP_2)
	v_cmp_eq_u32_e32 vcc_lo, 0, v4
	v_cndmask_b32_e32 v33, v5, v0, vcc_lo
; %bb.1207:                             ;   in Loop: Header=BB430_1187 Depth=1
	s_or_b32 exec_lo, exec_lo, s0
	v_and_b32_e32 v0, 0x7f800000, v1
	s_mov_b32 s0, exec_lo
                                        ; implicit-def: $vgpr32
	s_delay_alu instid0(VALU_DEP_1)
	v_cmpx_ne_u32_e32 0x7f800000, v0
	s_xor_b32 s0, exec_lo, s0
; %bb.1208:                             ;   in Loop: Header=BB430_1187 Depth=1
	v_bfe_u32 v0, v1, 16, 1
	s_delay_alu instid0(VALU_DEP_1)
	v_add3_u32 v32, v1, v0, 0x7fff
; %bb.1209:                             ;   in Loop: Header=BB430_1187 Depth=1
	s_and_not1_saveexec_b32 s0, s0
; %bb.1210:                             ;   in Loop: Header=BB430_1187 Depth=1
	v_and_b32_e32 v0, 0xffff, v1
	v_or_b32_e32 v4, 0x10000, v1
	s_delay_alu instid0(VALU_DEP_2) | instskip(NEXT) | instid1(VALU_DEP_2)
	v_cmp_eq_u32_e32 vcc_lo, 0, v0
	v_cndmask_b32_e32 v32, v4, v1, vcc_lo
; %bb.1211:                             ;   in Loop: Header=BB430_1187 Depth=1
	s_or_b32 exec_lo, exec_lo, s0
	v_and_b32_e32 v0, 0x7f800000, v2
	s_mov_b32 s0, exec_lo
                                        ; implicit-def: $vgpr5
	s_delay_alu instid0(VALU_DEP_1)
	v_cmpx_ne_u32_e32 0x7f800000, v0
	s_xor_b32 s0, exec_lo, s0
; %bb.1212:                             ;   in Loop: Header=BB430_1187 Depth=1
	v_bfe_u32 v0, v2, 16, 1
	s_delay_alu instid0(VALU_DEP_1)
	v_add3_u32 v5, v2, v0, 0x7fff
; %bb.1213:                             ;   in Loop: Header=BB430_1187 Depth=1
	s_and_not1_saveexec_b32 s0, s0
; %bb.1214:                             ;   in Loop: Header=BB430_1187 Depth=1
	v_and_b32_e32 v0, 0xffff, v2
	v_or_b32_e32 v1, 0x10000, v2
	s_delay_alu instid0(VALU_DEP_2) | instskip(NEXT) | instid1(VALU_DEP_2)
	v_cmp_eq_u32_e32 vcc_lo, 0, v0
	v_cndmask_b32_e32 v5, v1, v2, vcc_lo
; %bb.1215:                             ;   in Loop: Header=BB430_1187 Depth=1
	s_or_b32 exec_lo, exec_lo, s0
	v_and_b32_e32 v0, 0x7f800000, v3
	s_mov_b32 s0, exec_lo
                                        ; implicit-def: $vgpr4
	s_delay_alu instid0(VALU_DEP_1)
	v_cmpx_ne_u32_e32 0x7f800000, v0
	s_xor_b32 s0, exec_lo, s0
; %bb.1216:                             ;   in Loop: Header=BB430_1187 Depth=1
	v_bfe_u32 v0, v3, 16, 1
	s_delay_alu instid0(VALU_DEP_1)
	v_add3_u32 v4, v3, v0, 0x7fff
                                        ; implicit-def: $vgpr0_vgpr1_vgpr2_vgpr3
; %bb.1217:                             ;   in Loop: Header=BB430_1187 Depth=1
	s_and_not1_saveexec_b32 s0, s0
; %bb.1218:                             ;   in Loop: Header=BB430_1187 Depth=1
	v_and_b32_e32 v0, 0xffff, v3
	v_or_b32_e32 v1, 0x10000, v3
	s_delay_alu instid0(VALU_DEP_2) | instskip(NEXT) | instid1(VALU_DEP_2)
	v_cmp_eq_u32_e32 vcc_lo, 0, v0
	v_cndmask_b32_e32 v4, v1, v3, vcc_lo
; %bb.1219:                             ;   in Loop: Header=BB430_1187 Depth=1
	s_or_b32 exec_lo, exec_lo, s0
	s_waitcnt vmcnt(0)
	v_mad_i64_i32 v[0:1], null, v51, v22, v[11:12]
	s_mov_b32 s0, exec_lo
	v_mov_b32_e32 v6, 0
	flat_load_b64 v[2:3], v[0:1]
	s_waitcnt vmcnt(0) lgkmcnt(0)
	v_and_b32_e32 v7, 0xff, v2
	s_delay_alu instid0(VALU_DEP_1)
	v_cmpx_ne_u16_e32 0, v7
	s_cbranch_execz .LBB430_1227
; %bb.1220:                             ;   in Loop: Header=BB430_1187 Depth=1
	v_bfrev_b32_e32 v6, 1
	s_mov_b32 s9, exec_lo
	v_cmpx_ne_u16_e32 0x80, v7
	s_cbranch_execz .LBB430_1226
; %bb.1221:                             ;   in Loop: Header=BB430_1187 Depth=1
	v_and_b32_e32 v7, 0x7f, v2
	v_mov_b32_e32 v6, 0x7f800001
	s_mov_b32 s12, exec_lo
	s_delay_alu instid0(VALU_DEP_2)
	v_cmpx_ne_u32_e32 0x7f, v7
	s_cbranch_execz .LBB430_1225
; %bb.1222:                             ;   in Loop: Header=BB430_1187 Depth=1
	v_lshrrev_b32_e32 v8, 3, v7
	v_cmp_gt_u32_e32 vcc_lo, 8, v7
	v_dual_mov_b32 v7, v3 :: v_dual_mov_b32 v6, v2
	s_and_saveexec_b32 s13, vcc_lo
; %bb.1223:                             ;   in Loop: Header=BB430_1187 Depth=1
	v_and_b32_e32 v6, 7, v2
	s_delay_alu instid0(VALU_DEP_1) | instskip(NEXT) | instid1(VALU_DEP_1)
	v_clz_i32_u32_e32 v6, v6
	v_min_u32_e32 v8, 32, v6
	s_delay_alu instid0(VALU_DEP_1) | instskip(SKIP_1) | instid1(VALU_DEP_2)
	v_subrev_nc_u32_e32 v6, 28, v8
	v_sub_nc_u32_e32 v8, 29, v8
	v_lshlrev_b64 v[6:7], v6, v[2:3]
; %bb.1224:                             ;   in Loop: Header=BB430_1187 Depth=1
	s_or_b32 exec_lo, exec_lo, s13
	s_delay_alu instid0(VALU_DEP_1) | instskip(SKIP_2) | instid1(VALU_DEP_3)
	v_lshlrev_b32_e32 v6, 20, v6
	v_lshlrev_b32_e32 v7, 24, v2
	v_lshl_add_u32 v8, v8, 23, 0x3c000000
	v_and_b32_e32 v6, 0x700000, v6
	s_delay_alu instid0(VALU_DEP_3) | instskip(NEXT) | instid1(VALU_DEP_1)
	v_and_b32_e32 v7, 0x80000000, v7
	v_or3_b32 v6, v6, v7, v8
.LBB430_1225:                           ;   in Loop: Header=BB430_1187 Depth=1
	s_or_b32 exec_lo, exec_lo, s12
.LBB430_1226:                           ;   in Loop: Header=BB430_1187 Depth=1
	s_delay_alu instid0(SALU_CYCLE_1)
	s_or_b32 exec_lo, exec_lo, s9
.LBB430_1227:                           ;   in Loop: Header=BB430_1187 Depth=1
	s_delay_alu instid0(SALU_CYCLE_1) | instskip(NEXT) | instid1(VALU_DEP_1)
	s_or_b32 exec_lo, exec_lo, s0
	v_mul_f32_e32 v6, v26, v6
	s_mov_b32 s0, exec_lo
                                        ; implicit-def: $vgpr8
	s_delay_alu instid0(VALU_DEP_1) | instskip(NEXT) | instid1(VALU_DEP_1)
	v_and_b32_e32 v7, 0x7f800000, v6
	v_cmpx_ne_u32_e32 0x7f800000, v7
	s_xor_b32 s0, exec_lo, s0
; %bb.1228:                             ;   in Loop: Header=BB430_1187 Depth=1
	v_bfe_u32 v7, v6, 16, 1
	s_delay_alu instid0(VALU_DEP_1)
	v_add3_u32 v8, v6, v7, 0x7fff
                                        ; implicit-def: $vgpr6
; %bb.1229:                             ;   in Loop: Header=BB430_1187 Depth=1
	s_and_not1_saveexec_b32 s0, s0
; %bb.1230:                             ;   in Loop: Header=BB430_1187 Depth=1
	v_and_b32_e32 v7, 0xffff, v6
	v_or_b32_e32 v8, 0x10000, v6
	s_delay_alu instid0(VALU_DEP_2) | instskip(NEXT) | instid1(VALU_DEP_2)
	v_cmp_eq_u32_e32 vcc_lo, 0, v7
	v_cndmask_b32_e32 v8, v8, v6, vcc_lo
; %bb.1231:                             ;   in Loop: Header=BB430_1187 Depth=1
	s_or_b32 exec_lo, exec_lo, s0
	v_lshrrev_b16 v7, 8, v2
	v_mov_b32_e32 v6, 0
	s_mov_b32 s0, exec_lo
	s_delay_alu instid0(VALU_DEP_2)
	v_cmpx_ne_u16_e32 0, v7
	s_cbranch_execz .LBB430_1239
; %bb.1232:                             ;   in Loop: Header=BB430_1187 Depth=1
	v_bfrev_b32_e32 v6, 1
	s_mov_b32 s9, exec_lo
	v_cmpx_ne_u16_e32 0x80, v7
	s_cbranch_execz .LBB430_1238
; %bb.1233:                             ;   in Loop: Header=BB430_1187 Depth=1
	v_and_b32_e32 v9, 0xffff, v7
	v_mov_b32_e32 v6, 0x7f800001
	s_mov_b32 s12, exec_lo
	s_delay_alu instid0(VALU_DEP_2) | instskip(NEXT) | instid1(VALU_DEP_1)
	v_and_b32_e32 v7, 0x7f, v9
	v_cmpx_ne_u32_e32 0x7f, v7
	s_cbranch_execz .LBB430_1237
; %bb.1234:                             ;   in Loop: Header=BB430_1187 Depth=1
	v_and_b32_e32 v9, 7, v9
	v_lshrrev_b32_e32 v6, 3, v7
	s_mov_b32 s13, exec_lo
	v_cmpx_gt_u32_e32 8, v7
; %bb.1235:                             ;   in Loop: Header=BB430_1187 Depth=1
	s_delay_alu instid0(VALU_DEP_3) | instskip(NEXT) | instid1(VALU_DEP_1)
	v_clz_i32_u32_e32 v6, v9
	v_min_u32_e32 v6, 32, v6
	s_delay_alu instid0(VALU_DEP_1) | instskip(SKIP_1) | instid1(VALU_DEP_2)
	v_subrev_nc_u32_e32 v7, 28, v6
	v_sub_nc_u32_e32 v6, 29, v6
	v_lshlrev_b64 v[51:52], v7, v[9:10]
	s_delay_alu instid0(VALU_DEP_1)
	v_and_b32_e32 v9, 7, v51
; %bb.1236:                             ;   in Loop: Header=BB430_1187 Depth=1
	s_or_b32 exec_lo, exec_lo, s13
	v_lshlrev_b32_e32 v7, 16, v2
	s_delay_alu instid0(VALU_DEP_2) | instskip(SKIP_1) | instid1(VALU_DEP_3)
	v_lshlrev_b32_e32 v9, 20, v9
	v_lshl_add_u32 v6, v6, 23, 0x3c000000
	v_and_b32_e32 v7, 0x80000000, v7
	s_delay_alu instid0(VALU_DEP_1)
	v_or3_b32 v6, v9, v7, v6
.LBB430_1237:                           ;   in Loop: Header=BB430_1187 Depth=1
	s_or_b32 exec_lo, exec_lo, s12
.LBB430_1238:                           ;   in Loop: Header=BB430_1187 Depth=1
	s_delay_alu instid0(SALU_CYCLE_1)
	s_or_b32 exec_lo, exec_lo, s9
.LBB430_1239:                           ;   in Loop: Header=BB430_1187 Depth=1
	s_delay_alu instid0(SALU_CYCLE_1) | instskip(NEXT) | instid1(VALU_DEP_1)
	s_or_b32 exec_lo, exec_lo, s0
	v_mul_f32_e32 v6, v26, v6
	s_mov_b32 s0, exec_lo
                                        ; implicit-def: $vgpr51
	s_delay_alu instid0(VALU_DEP_1) | instskip(NEXT) | instid1(VALU_DEP_1)
	v_and_b32_e32 v7, 0x7f800000, v6
	v_cmpx_ne_u32_e32 0x7f800000, v7
	s_xor_b32 s0, exec_lo, s0
; %bb.1240:                             ;   in Loop: Header=BB430_1187 Depth=1
	v_bfe_u32 v7, v6, 16, 1
	s_delay_alu instid0(VALU_DEP_1)
	v_add3_u32 v51, v6, v7, 0x7fff
                                        ; implicit-def: $vgpr6
; %bb.1241:                             ;   in Loop: Header=BB430_1187 Depth=1
	s_and_not1_saveexec_b32 s0, s0
; %bb.1242:                             ;   in Loop: Header=BB430_1187 Depth=1
	v_and_b32_e32 v7, 0xffff, v6
	v_or_b32_e32 v9, 0x10000, v6
	s_delay_alu instid0(VALU_DEP_2) | instskip(NEXT) | instid1(VALU_DEP_2)
	v_cmp_eq_u32_e32 vcc_lo, 0, v7
	v_cndmask_b32_e32 v51, v9, v6, vcc_lo
; %bb.1243:                             ;   in Loop: Header=BB430_1187 Depth=1
	s_or_b32 exec_lo, exec_lo, s0
	v_lshrrev_b32_e32 v6, 16, v2
	v_mov_b32_e32 v7, 0
	s_mov_b32 s0, exec_lo
	s_delay_alu instid0(VALU_DEP_2) | instskip(NEXT) | instid1(VALU_DEP_1)
	v_and_b32_e32 v9, 0xff, v6
	v_cmpx_ne_u16_e32 0, v9
	s_cbranch_execz .LBB430_1251
; %bb.1244:                             ;   in Loop: Header=BB430_1187 Depth=1
	v_bfrev_b32_e32 v7, 1
	s_mov_b32 s9, exec_lo
	v_cmpx_ne_u16_e32 0x80, v9
	s_cbranch_execz .LBB430_1250
; %bb.1245:                             ;   in Loop: Header=BB430_1187 Depth=1
	v_bfe_u32 v52, v2, 16, 7
	v_mov_b32_e32 v7, 0x7f800001
	s_mov_b32 s12, exec_lo
	s_delay_alu instid0(VALU_DEP_2)
	v_cmpx_ne_u32_e32 0x7f, v52
	s_cbranch_execz .LBB430_1249
; %bb.1246:                             ;   in Loop: Header=BB430_1187 Depth=1
	v_and_b32_e32 v9, 7, v6
	v_lshrrev_b32_e32 v7, 3, v52
	s_mov_b32 s13, exec_lo
	v_cmpx_gt_u32_e32 8, v52
; %bb.1247:                             ;   in Loop: Header=BB430_1187 Depth=1
	s_delay_alu instid0(VALU_DEP_3) | instskip(NEXT) | instid1(VALU_DEP_1)
	v_clz_i32_u32_e32 v7, v9
	v_min_u32_e32 v7, 32, v7
	s_delay_alu instid0(VALU_DEP_1) | instskip(SKIP_1) | instid1(VALU_DEP_2)
	v_subrev_nc_u32_e32 v52, 28, v7
	v_sub_nc_u32_e32 v7, 29, v7
	v_lshlrev_b64 v[52:53], v52, v[9:10]
	s_delay_alu instid0(VALU_DEP_1)
	v_and_b32_e32 v9, 7, v52
; %bb.1248:                             ;   in Loop: Header=BB430_1187 Depth=1
	s_or_b32 exec_lo, exec_lo, s13
	v_lshlrev_b32_e32 v6, 24, v6
	s_delay_alu instid0(VALU_DEP_2) | instskip(SKIP_1) | instid1(VALU_DEP_3)
	v_lshlrev_b32_e32 v9, 20, v9
	v_lshl_add_u32 v7, v7, 23, 0x3c000000
	v_and_b32_e32 v6, 0x80000000, v6
	s_delay_alu instid0(VALU_DEP_1)
	v_or3_b32 v7, v9, v6, v7
.LBB430_1249:                           ;   in Loop: Header=BB430_1187 Depth=1
	s_or_b32 exec_lo, exec_lo, s12
.LBB430_1250:                           ;   in Loop: Header=BB430_1187 Depth=1
	s_delay_alu instid0(SALU_CYCLE_1)
	s_or_b32 exec_lo, exec_lo, s9
.LBB430_1251:                           ;   in Loop: Header=BB430_1187 Depth=1
	s_delay_alu instid0(SALU_CYCLE_1) | instskip(NEXT) | instid1(VALU_DEP_1)
	s_or_b32 exec_lo, exec_lo, s0
	v_mul_f32_e32 v6, v26, v7
	s_mov_b32 s0, exec_lo
                                        ; implicit-def: $vgpr52
	s_delay_alu instid0(VALU_DEP_1) | instskip(NEXT) | instid1(VALU_DEP_1)
	v_and_b32_e32 v7, 0x7f800000, v6
	v_cmpx_ne_u32_e32 0x7f800000, v7
	s_xor_b32 s0, exec_lo, s0
; %bb.1252:                             ;   in Loop: Header=BB430_1187 Depth=1
	v_bfe_u32 v7, v6, 16, 1
	s_delay_alu instid0(VALU_DEP_1)
	v_add3_u32 v52, v6, v7, 0x7fff
                                        ; implicit-def: $vgpr6
; %bb.1253:                             ;   in Loop: Header=BB430_1187 Depth=1
	s_and_not1_saveexec_b32 s0, s0
; %bb.1254:                             ;   in Loop: Header=BB430_1187 Depth=1
	v_and_b32_e32 v7, 0xffff, v6
	v_or_b32_e32 v9, 0x10000, v6
	s_delay_alu instid0(VALU_DEP_2) | instskip(NEXT) | instid1(VALU_DEP_2)
	v_cmp_eq_u32_e32 vcc_lo, 0, v7
	v_cndmask_b32_e32 v52, v9, v6, vcc_lo
; %bb.1255:                             ;   in Loop: Header=BB430_1187 Depth=1
	s_or_b32 exec_lo, exec_lo, s0
	v_mov_b32_e32 v7, 0
	s_mov_b32 s0, exec_lo
	v_cmpx_lt_u32_e32 0xffffff, v2
	s_cbranch_execz .LBB430_1263
; %bb.1256:                             ;   in Loop: Header=BB430_1187 Depth=1
	v_lshrrev_b32_e32 v6, 24, v2
	v_bfrev_b32_e32 v7, 1
	s_mov_b32 s9, exec_lo
	s_delay_alu instid0(VALU_DEP_2)
	v_cmpx_ne_u32_e32 0x80, v6
	s_cbranch_execz .LBB430_1262
; %bb.1257:                             ;   in Loop: Header=BB430_1187 Depth=1
	v_bfe_u32 v53, v2, 24, 7
	v_mov_b32_e32 v7, 0x7f800001
	s_mov_b32 s12, exec_lo
	s_delay_alu instid0(VALU_DEP_2)
	v_cmpx_ne_u32_e32 0x7f, v53
	s_cbranch_execz .LBB430_1261
; %bb.1258:                             ;   in Loop: Header=BB430_1187 Depth=1
	v_and_b32_e32 v9, 7, v6
	v_lshrrev_b32_e32 v7, 3, v53
	s_mov_b32 s13, exec_lo
	v_cmpx_gt_u32_e32 8, v53
; %bb.1259:                             ;   in Loop: Header=BB430_1187 Depth=1
	s_delay_alu instid0(VALU_DEP_3) | instskip(NEXT) | instid1(VALU_DEP_1)
	v_clz_i32_u32_e32 v7, v9
	v_min_u32_e32 v7, 32, v7
	s_delay_alu instid0(VALU_DEP_1) | instskip(SKIP_1) | instid1(VALU_DEP_2)
	v_subrev_nc_u32_e32 v53, 28, v7
	v_sub_nc_u32_e32 v7, 29, v7
	v_lshlrev_b64 v[53:54], v53, v[9:10]
	s_delay_alu instid0(VALU_DEP_1)
	v_and_b32_e32 v9, 7, v53
; %bb.1260:                             ;   in Loop: Header=BB430_1187 Depth=1
	s_or_b32 exec_lo, exec_lo, s13
	v_lshlrev_b32_e32 v6, 24, v6
	s_delay_alu instid0(VALU_DEP_2) | instskip(SKIP_1) | instid1(VALU_DEP_3)
	v_lshlrev_b32_e32 v9, 20, v9
	v_lshl_add_u32 v7, v7, 23, 0x3c000000
	v_and_b32_e32 v6, 0x80000000, v6
	s_delay_alu instid0(VALU_DEP_1)
	v_or3_b32 v7, v9, v6, v7
.LBB430_1261:                           ;   in Loop: Header=BB430_1187 Depth=1
	s_or_b32 exec_lo, exec_lo, s12
.LBB430_1262:                           ;   in Loop: Header=BB430_1187 Depth=1
	s_delay_alu instid0(SALU_CYCLE_1)
	s_or_b32 exec_lo, exec_lo, s9
.LBB430_1263:                           ;   in Loop: Header=BB430_1187 Depth=1
	s_delay_alu instid0(SALU_CYCLE_1) | instskip(NEXT) | instid1(VALU_DEP_1)
	s_or_b32 exec_lo, exec_lo, s0
	v_mul_f32_e32 v6, v26, v7
	s_mov_b32 s0, exec_lo
                                        ; implicit-def: $vgpr53
	s_delay_alu instid0(VALU_DEP_1) | instskip(NEXT) | instid1(VALU_DEP_1)
	v_and_b32_e32 v7, 0x7f800000, v6
	v_cmpx_ne_u32_e32 0x7f800000, v7
	s_xor_b32 s0, exec_lo, s0
; %bb.1264:                             ;   in Loop: Header=BB430_1187 Depth=1
	v_bfe_u32 v7, v6, 16, 1
	s_delay_alu instid0(VALU_DEP_1)
	v_add3_u32 v53, v6, v7, 0x7fff
                                        ; implicit-def: $vgpr6
; %bb.1265:                             ;   in Loop: Header=BB430_1187 Depth=1
	s_and_not1_saveexec_b32 s0, s0
; %bb.1266:                             ;   in Loop: Header=BB430_1187 Depth=1
	v_and_b32_e32 v7, 0xffff, v6
	v_or_b32_e32 v9, 0x10000, v6
	s_delay_alu instid0(VALU_DEP_2) | instskip(NEXT) | instid1(VALU_DEP_2)
	v_cmp_eq_u32_e32 vcc_lo, 0, v7
	v_cndmask_b32_e32 v53, v9, v6, vcc_lo
; %bb.1267:                             ;   in Loop: Header=BB430_1187 Depth=1
	s_or_b32 exec_lo, exec_lo, s0
	v_dual_mov_b32 v6, 0 :: v_dual_and_b32 v7, 0xff, v3
	v_mov_b32_e32 v9, v3
	s_mov_b32 s0, exec_lo
	s_delay_alu instid0(VALU_DEP_2)
	v_cmpx_ne_u16_e32 0, v7
	s_cbranch_execz .LBB430_1275
; %bb.1268:                             ;   in Loop: Header=BB430_1187 Depth=1
	v_bfrev_b32_e32 v6, 1
	s_mov_b32 s9, exec_lo
	v_cmpx_ne_u16_e32 0x80, v7
	s_cbranch_execz .LBB430_1274
; %bb.1269:                             ;   in Loop: Header=BB430_1187 Depth=1
	v_and_b32_e32 v7, 0x7f, v3
	v_mov_b32_e32 v6, 0x7f800001
	s_mov_b32 s12, exec_lo
	s_delay_alu instid0(VALU_DEP_2)
	v_cmpx_ne_u32_e32 0x7f, v7
	s_cbranch_execz .LBB430_1273
; %bb.1270:                             ;   in Loop: Header=BB430_1187 Depth=1
	v_lshrrev_b32_e32 v54, 3, v7
	v_cmp_gt_u32_e32 vcc_lo, 8, v7
	v_dual_mov_b32 v6, v9 :: v_dual_mov_b32 v7, v10
	s_and_saveexec_b32 s13, vcc_lo
; %bb.1271:                             ;   in Loop: Header=BB430_1187 Depth=1
	v_and_b32_e32 v6, 7, v3
	s_delay_alu instid0(VALU_DEP_1) | instskip(NEXT) | instid1(VALU_DEP_1)
	v_clz_i32_u32_e32 v6, v6
	v_min_u32_e32 v54, 32, v6
	s_delay_alu instid0(VALU_DEP_1) | instskip(SKIP_1) | instid1(VALU_DEP_2)
	v_subrev_nc_u32_e32 v6, 28, v54
	v_sub_nc_u32_e32 v54, 29, v54
	v_lshlrev_b64 v[6:7], v6, v[9:10]
; %bb.1272:                             ;   in Loop: Header=BB430_1187 Depth=1
	s_or_b32 exec_lo, exec_lo, s13
	s_delay_alu instid0(VALU_DEP_1) | instskip(SKIP_2) | instid1(VALU_DEP_3)
	v_lshlrev_b32_e32 v6, 20, v6
	v_lshlrev_b32_e32 v7, 24, v9
	v_lshl_add_u32 v54, v54, 23, 0x3c000000
	v_and_b32_e32 v6, 0x700000, v6
	s_delay_alu instid0(VALU_DEP_3) | instskip(NEXT) | instid1(VALU_DEP_1)
	v_and_b32_e32 v7, 0x80000000, v7
	v_or3_b32 v6, v6, v7, v54
.LBB430_1273:                           ;   in Loop: Header=BB430_1187 Depth=1
	s_or_b32 exec_lo, exec_lo, s12
.LBB430_1274:                           ;   in Loop: Header=BB430_1187 Depth=1
	s_delay_alu instid0(SALU_CYCLE_1)
	s_or_b32 exec_lo, exec_lo, s9
.LBB430_1275:                           ;   in Loop: Header=BB430_1187 Depth=1
	s_delay_alu instid0(SALU_CYCLE_1) | instskip(NEXT) | instid1(VALU_DEP_1)
	s_or_b32 exec_lo, exec_lo, s0
	v_mul_f32_e32 v6, v26, v6
	s_mov_b32 s0, exec_lo
                                        ; implicit-def: $vgpr54
	s_delay_alu instid0(VALU_DEP_1) | instskip(NEXT) | instid1(VALU_DEP_1)
	v_and_b32_e32 v7, 0x7f800000, v6
	v_cmpx_ne_u32_e32 0x7f800000, v7
	s_xor_b32 s0, exec_lo, s0
; %bb.1276:                             ;   in Loop: Header=BB430_1187 Depth=1
	v_bfe_u32 v7, v6, 16, 1
	s_delay_alu instid0(VALU_DEP_1)
	v_add3_u32 v54, v6, v7, 0x7fff
                                        ; implicit-def: $vgpr6
; %bb.1277:                             ;   in Loop: Header=BB430_1187 Depth=1
	s_and_not1_saveexec_b32 s0, s0
; %bb.1278:                             ;   in Loop: Header=BB430_1187 Depth=1
	v_and_b32_e32 v7, 0xffff, v6
	v_or_b32_e32 v54, 0x10000, v6
	s_delay_alu instid0(VALU_DEP_2) | instskip(NEXT) | instid1(VALU_DEP_2)
	v_cmp_eq_u32_e32 vcc_lo, 0, v7
	v_cndmask_b32_e32 v54, v54, v6, vcc_lo
; %bb.1279:                             ;   in Loop: Header=BB430_1187 Depth=1
	s_or_b32 exec_lo, exec_lo, s0
	v_lshrrev_b16 v7, 8, v9
	v_mov_b32_e32 v6, 0
	s_mov_b32 s0, exec_lo
	s_delay_alu instid0(VALU_DEP_2)
	v_cmpx_ne_u16_e32 0, v7
	s_cbranch_execz .LBB430_1287
; %bb.1280:                             ;   in Loop: Header=BB430_1187 Depth=1
	v_bfrev_b32_e32 v6, 1
	s_mov_b32 s9, exec_lo
	v_cmpx_ne_u16_e32 0x80, v7
	s_cbranch_execz .LBB430_1286
; %bb.1281:                             ;   in Loop: Header=BB430_1187 Depth=1
	v_and_b32_e32 v7, 0xffff, v7
	v_mov_b32_e32 v6, 0x7f800001
	s_mov_b32 s12, exec_lo
	s_delay_alu instid0(VALU_DEP_2) | instskip(NEXT) | instid1(VALU_DEP_1)
	v_and_b32_e32 v64, 0x7f, v7
	v_cmpx_ne_u32_e32 0x7f, v64
	s_cbranch_execz .LBB430_1285
; %bb.1282:                             ;   in Loop: Header=BB430_1187 Depth=1
	v_dual_mov_b32 v7, v10 :: v_dual_and_b32 v6, 7, v7
	v_lshrrev_b32_e32 v55, 3, v64
	s_mov_b32 s13, exec_lo
	v_cmpx_gt_u32_e32 8, v64
; %bb.1283:                             ;   in Loop: Header=BB430_1187 Depth=1
	s_delay_alu instid0(VALU_DEP_3) | instskip(NEXT) | instid1(VALU_DEP_1)
	v_clz_i32_u32_e32 v55, v6
	v_min_u32_e32 v55, 32, v55
	s_delay_alu instid0(VALU_DEP_1) | instskip(SKIP_1) | instid1(VALU_DEP_2)
	v_subrev_nc_u32_e32 v64, 28, v55
	v_sub_nc_u32_e32 v55, 29, v55
	v_lshlrev_b64 v[6:7], v64, v[6:7]
	s_delay_alu instid0(VALU_DEP_1)
	v_and_b32_e32 v6, 7, v6
; %bb.1284:                             ;   in Loop: Header=BB430_1187 Depth=1
	s_or_b32 exec_lo, exec_lo, s13
	v_lshlrev_b32_e32 v7, 16, v9
	s_delay_alu instid0(VALU_DEP_2) | instskip(SKIP_1) | instid1(VALU_DEP_3)
	v_lshlrev_b32_e32 v6, 20, v6
	v_lshl_add_u32 v9, v55, 23, 0x3c000000
	v_and_b32_e32 v7, 0x80000000, v7
	s_delay_alu instid0(VALU_DEP_1)
	v_or3_b32 v6, v6, v7, v9
.LBB430_1285:                           ;   in Loop: Header=BB430_1187 Depth=1
	s_or_b32 exec_lo, exec_lo, s12
.LBB430_1286:                           ;   in Loop: Header=BB430_1187 Depth=1
	s_delay_alu instid0(SALU_CYCLE_1)
	s_or_b32 exec_lo, exec_lo, s9
.LBB430_1287:                           ;   in Loop: Header=BB430_1187 Depth=1
	s_delay_alu instid0(SALU_CYCLE_1) | instskip(NEXT) | instid1(VALU_DEP_1)
	s_or_b32 exec_lo, exec_lo, s0
	v_mul_f32_e32 v7, v26, v6
	s_delay_alu instid0(VALU_DEP_1) | instskip(NEXT) | instid1(VALU_DEP_1)
	v_and_b32_e32 v6, 0x7f800000, v7
	v_cmp_ne_u32_e32 vcc_lo, 0x7f800000, v6
                                        ; implicit-def: $vgpr6
	s_and_saveexec_b32 s0, vcc_lo
	s_delay_alu instid0(SALU_CYCLE_1)
	s_xor_b32 s0, exec_lo, s0
; %bb.1288:                             ;   in Loop: Header=BB430_1187 Depth=1
	v_bfe_u32 v6, v7, 16, 1
	s_delay_alu instid0(VALU_DEP_1)
	v_add3_u32 v6, v7, v6, 0x7fff
                                        ; implicit-def: $vgpr7
; %bb.1289:                             ;   in Loop: Header=BB430_1187 Depth=1
	s_and_not1_saveexec_b32 s0, s0
; %bb.1290:                             ;   in Loop: Header=BB430_1187 Depth=1
	v_and_b32_e32 v6, 0xffff, v7
	v_or_b32_e32 v9, 0x10000, v7
	s_delay_alu instid0(VALU_DEP_2) | instskip(NEXT) | instid1(VALU_DEP_2)
	v_cmp_eq_u32_e32 vcc_lo, 0, v6
	v_cndmask_b32_e32 v6, v9, v7, vcc_lo
; %bb.1291:                             ;   in Loop: Header=BB430_1187 Depth=1
	s_or_b32 exec_lo, exec_lo, s0
	v_lshrrev_b32_e32 v7, 16, v3
	v_mov_b32_e32 v9, 0
	s_mov_b32 s0, exec_lo
	s_delay_alu instid0(VALU_DEP_2) | instskip(NEXT) | instid1(VALU_DEP_1)
	v_and_b32_e32 v55, 0xff, v7
	v_cmpx_ne_u16_e32 0, v55
	s_cbranch_execz .LBB430_1299
; %bb.1292:                             ;   in Loop: Header=BB430_1187 Depth=1
	v_bfrev_b32_e32 v9, 1
	s_mov_b32 s9, exec_lo
	v_cmpx_ne_u16_e32 0x80, v55
	s_cbranch_execz .LBB430_1298
; %bb.1293:                             ;   in Loop: Header=BB430_1187 Depth=1
	v_bfe_u32 v64, v3, 16, 7
	v_mov_b32_e32 v9, 0x7f800001
	s_mov_b32 s12, exec_lo
	s_delay_alu instid0(VALU_DEP_2)
	v_cmpx_ne_u32_e32 0x7f, v64
	s_cbranch_execz .LBB430_1297
; %bb.1294:                             ;   in Loop: Header=BB430_1187 Depth=1
	v_and_b32_e32 v9, 7, v7
	v_lshrrev_b32_e32 v55, 3, v64
	s_mov_b32 s13, exec_lo
	v_cmpx_gt_u32_e32 8, v64
; %bb.1295:                             ;   in Loop: Header=BB430_1187 Depth=1
	s_delay_alu instid0(VALU_DEP_3) | instskip(NEXT) | instid1(VALU_DEP_1)
	v_clz_i32_u32_e32 v55, v9
	v_min_u32_e32 v55, 32, v55
	s_delay_alu instid0(VALU_DEP_1) | instskip(SKIP_1) | instid1(VALU_DEP_2)
	v_subrev_nc_u32_e32 v64, 28, v55
	v_sub_nc_u32_e32 v55, 29, v55
	v_lshlrev_b64 v[64:65], v64, v[9:10]
	s_delay_alu instid0(VALU_DEP_1)
	v_and_b32_e32 v9, 7, v64
; %bb.1296:                             ;   in Loop: Header=BB430_1187 Depth=1
	s_or_b32 exec_lo, exec_lo, s13
	v_lshlrev_b32_e32 v7, 24, v7
	s_delay_alu instid0(VALU_DEP_2) | instskip(SKIP_1) | instid1(VALU_DEP_3)
	v_lshlrev_b32_e32 v9, 20, v9
	v_lshl_add_u32 v55, v55, 23, 0x3c000000
	v_and_b32_e32 v7, 0x80000000, v7
	s_delay_alu instid0(VALU_DEP_1)
	v_or3_b32 v9, v9, v7, v55
.LBB430_1297:                           ;   in Loop: Header=BB430_1187 Depth=1
	s_or_b32 exec_lo, exec_lo, s12
.LBB430_1298:                           ;   in Loop: Header=BB430_1187 Depth=1
	s_delay_alu instid0(SALU_CYCLE_1)
	s_or_b32 exec_lo, exec_lo, s9
.LBB430_1299:                           ;   in Loop: Header=BB430_1187 Depth=1
	s_delay_alu instid0(SALU_CYCLE_1) | instskip(NEXT) | instid1(VALU_DEP_1)
	s_or_b32 exec_lo, exec_lo, s0
	v_mul_f32_e32 v7, v26, v9
	s_mov_b32 s0, exec_lo
                                        ; implicit-def: $vgpr55
	s_delay_alu instid0(VALU_DEP_1) | instskip(NEXT) | instid1(VALU_DEP_1)
	v_and_b32_e32 v9, 0x7f800000, v7
	v_cmpx_ne_u32_e32 0x7f800000, v9
	s_xor_b32 s0, exec_lo, s0
; %bb.1300:                             ;   in Loop: Header=BB430_1187 Depth=1
	v_bfe_u32 v9, v7, 16, 1
	s_delay_alu instid0(VALU_DEP_1)
	v_add3_u32 v55, v7, v9, 0x7fff
                                        ; implicit-def: $vgpr7
; %bb.1301:                             ;   in Loop: Header=BB430_1187 Depth=1
	s_and_not1_saveexec_b32 s0, s0
; %bb.1302:                             ;   in Loop: Header=BB430_1187 Depth=1
	v_and_b32_e32 v9, 0xffff, v7
	v_or_b32_e32 v55, 0x10000, v7
	s_delay_alu instid0(VALU_DEP_2) | instskip(NEXT) | instid1(VALU_DEP_2)
	v_cmp_eq_u32_e32 vcc_lo, 0, v9
	v_cndmask_b32_e32 v55, v55, v7, vcc_lo
; %bb.1303:                             ;   in Loop: Header=BB430_1187 Depth=1
	s_or_b32 exec_lo, exec_lo, s0
	v_mov_b32_e32 v7, 0
	s_mov_b32 s0, exec_lo
	v_cmpx_lt_u64_e64 s[2:3], v[2:3]
	s_cbranch_execz .LBB430_1311
; %bb.1304:                             ;   in Loop: Header=BB430_1187 Depth=1
	v_lshrrev_b32_e32 v2, 24, v3
	v_bfrev_b32_e32 v7, 1
	s_mov_b32 s9, exec_lo
	s_delay_alu instid0(VALU_DEP_2)
	v_cmpx_ne_u32_e32 0x80, v2
	s_cbranch_execz .LBB430_1310
; %bb.1305:                             ;   in Loop: Header=BB430_1187 Depth=1
	v_bfe_u32 v64, v3, 24, 7
	v_mov_b32_e32 v7, 0x7f800001
	s_mov_b32 s12, exec_lo
	s_delay_alu instid0(VALU_DEP_2)
	v_cmpx_ne_u32_e32 0x7f, v64
	s_cbranch_execz .LBB430_1309
; %bb.1306:                             ;   in Loop: Header=BB430_1187 Depth=1
	v_and_b32_e32 v9, 7, v2
	v_lshrrev_b32_e32 v3, 3, v64
	s_mov_b32 s13, exec_lo
	v_cmpx_gt_u32_e32 8, v64
; %bb.1307:                             ;   in Loop: Header=BB430_1187 Depth=1
	s_delay_alu instid0(VALU_DEP_3) | instskip(NEXT) | instid1(VALU_DEP_1)
	v_clz_i32_u32_e32 v3, v9
	v_min_u32_e32 v3, 32, v3
	s_delay_alu instid0(VALU_DEP_1) | instskip(SKIP_1) | instid1(VALU_DEP_2)
	v_subrev_nc_u32_e32 v7, 28, v3
	v_sub_nc_u32_e32 v3, 29, v3
	v_lshlrev_b64 v[64:65], v7, v[9:10]
	s_delay_alu instid0(VALU_DEP_1)
	v_and_b32_e32 v9, 7, v64
; %bb.1308:                             ;   in Loop: Header=BB430_1187 Depth=1
	s_or_b32 exec_lo, exec_lo, s13
	v_lshlrev_b32_e32 v2, 24, v2
	s_delay_alu instid0(VALU_DEP_2) | instskip(SKIP_1) | instid1(VALU_DEP_3)
	v_lshlrev_b32_e32 v7, 20, v9
	v_lshl_add_u32 v3, v3, 23, 0x3c000000
	v_and_b32_e32 v2, 0x80000000, v2
	s_delay_alu instid0(VALU_DEP_1)
	v_or3_b32 v7, v7, v2, v3
.LBB430_1309:                           ;   in Loop: Header=BB430_1187 Depth=1
	s_or_b32 exec_lo, exec_lo, s12
.LBB430_1310:                           ;   in Loop: Header=BB430_1187 Depth=1
	s_delay_alu instid0(SALU_CYCLE_1)
	s_or_b32 exec_lo, exec_lo, s9
.LBB430_1311:                           ;   in Loop: Header=BB430_1187 Depth=1
	s_delay_alu instid0(SALU_CYCLE_1) | instskip(NEXT) | instid1(VALU_DEP_1)
	s_or_b32 exec_lo, exec_lo, s0
	v_mul_f32_e32 v3, v26, v7
	s_delay_alu instid0(VALU_DEP_1) | instskip(NEXT) | instid1(VALU_DEP_1)
	v_and_b32_e32 v2, 0x7f800000, v3
	v_cmp_ne_u32_e32 vcc_lo, 0x7f800000, v2
                                        ; implicit-def: $vgpr2
	s_and_saveexec_b32 s0, vcc_lo
	s_delay_alu instid0(SALU_CYCLE_1)
	s_xor_b32 s0, exec_lo, s0
; %bb.1312:                             ;   in Loop: Header=BB430_1187 Depth=1
	v_bfe_u32 v2, v3, 16, 1
	s_delay_alu instid0(VALU_DEP_1)
	v_add3_u32 v2, v3, v2, 0x7fff
                                        ; implicit-def: $vgpr3
; %bb.1313:                             ;   in Loop: Header=BB430_1187 Depth=1
	s_and_not1_saveexec_b32 s0, s0
; %bb.1314:                             ;   in Loop: Header=BB430_1187 Depth=1
	v_and_b32_e32 v2, 0xffff, v3
	v_or_b32_e32 v7, 0x10000, v3
	s_delay_alu instid0(VALU_DEP_2) | instskip(NEXT) | instid1(VALU_DEP_2)
	v_cmp_eq_u32_e32 vcc_lo, 0, v2
	v_cndmask_b32_e32 v2, v7, v3, vcc_lo
; %bb.1315:                             ;   in Loop: Header=BB430_1187 Depth=1
	s_or_b32 exec_lo, exec_lo, s0
	v_cmp_eq_u32_e32 vcc_lo, v27, v16
	v_add_nc_u32_e32 v64, -7, v15
	v_lshrrev_b32_e32 v6, 16, v6
	v_lshrrev_b32_e32 v7, 16, v54
	;; [unrolled: 1-line block ×8, first 2 shown]
	v_add_nc_u32_e32 v70, -6, v15
	v_add_nc_u32_e32 v69, -5, v15
	;; [unrolled: 1-line block ×6, first 2 shown]
	s_and_saveexec_b32 s9, vcc_lo
	s_cbranch_execz .LBB430_1317
; %bb.1316:                             ;   in Loop: Header=BB430_1187 Depth=1
	v_cmp_lt_i32_e64 s0, v64, v35
	s_delay_alu instid0(VALU_DEP_1) | instskip(SKIP_1) | instid1(VALU_DEP_1)
	v_cndmask_b32_e64 v8, 0, v8, s0
	v_cmp_lt_i32_e64 s0, v70, v35
	v_cndmask_b32_e64 v51, 0, v51, s0
	v_cmp_lt_i32_e64 s0, v69, v35
	s_delay_alu instid0(VALU_DEP_1) | instskip(SKIP_1) | instid1(VALU_DEP_1)
	v_cndmask_b32_e64 v52, 0, v52, s0
	v_cmp_lt_i32_e64 s0, v68, v35
	v_cndmask_b32_e64 v9, 0, v9, s0
	;; [unrolled: 5-line block ×4, first 2 shown]
.LBB430_1317:                           ;   in Loop: Header=BB430_1187 Depth=1
	s_or_b32 exec_lo, exec_lo, s9
	v_and_b32_e32 v71, 0xffff0000, v50
	v_lshlrev_b32_e32 v8, 16, v8
	s_delay_alu instid0(VALU_DEP_1) | instskip(NEXT) | instid1(VALU_DEP_1)
	v_mul_f32_e32 v50, v71, v8
	v_and_b32_e32 v8, 0x7f800000, v50
	s_delay_alu instid0(VALU_DEP_1) | instskip(NEXT) | instid1(VALU_DEP_1)
	v_cmp_ne_u32_e64 s0, 0x7f800000, v8
                                        ; implicit-def: $vgpr8
	s_and_saveexec_b32 s9, s0
	s_delay_alu instid0(SALU_CYCLE_1)
	s_xor_b32 s0, exec_lo, s9
; %bb.1318:                             ;   in Loop: Header=BB430_1187 Depth=1
	v_bfe_u32 v8, v50, 16, 1
	s_delay_alu instid0(VALU_DEP_1)
	v_add3_u32 v8, v50, v8, 0x7fff
                                        ; implicit-def: $vgpr50
; %bb.1319:                             ;   in Loop: Header=BB430_1187 Depth=1
	s_and_not1_saveexec_b32 s9, s0
; %bb.1320:                             ;   in Loop: Header=BB430_1187 Depth=1
	v_and_b32_e32 v8, 0xffff, v50
	v_or_b32_e32 v53, 0x10000, v50
	s_delay_alu instid0(VALU_DEP_2) | instskip(NEXT) | instid1(VALU_DEP_1)
	v_cmp_eq_u32_e64 s0, 0, v8
	v_cndmask_b32_e64 v8, v53, v50, s0
; %bb.1321:                             ;   in Loop: Header=BB430_1187 Depth=1
	s_or_b32 exec_lo, exec_lo, s9
	v_and_b32_e32 v80, 0xffff0000, v49
	v_lshlrev_b32_e32 v49, 16, v51
	s_delay_alu instid0(VALU_DEP_1) | instskip(NEXT) | instid1(VALU_DEP_1)
	v_mul_f32_e32 v50, v80, v49
	v_and_b32_e32 v49, 0x7f800000, v50
	s_delay_alu instid0(VALU_DEP_1) | instskip(NEXT) | instid1(VALU_DEP_1)
	v_cmp_ne_u32_e64 s0, 0x7f800000, v49
                                        ; implicit-def: $vgpr49
	s_and_saveexec_b32 s9, s0
	s_delay_alu instid0(SALU_CYCLE_1)
	s_xor_b32 s0, exec_lo, s9
; %bb.1322:                             ;   in Loop: Header=BB430_1187 Depth=1
	v_bfe_u32 v49, v50, 16, 1
	s_delay_alu instid0(VALU_DEP_1)
	v_add3_u32 v49, v50, v49, 0x7fff
                                        ; implicit-def: $vgpr50
; %bb.1323:                             ;   in Loop: Header=BB430_1187 Depth=1
	s_and_not1_saveexec_b32 s9, s0
; %bb.1324:                             ;   in Loop: Header=BB430_1187 Depth=1
	v_and_b32_e32 v49, 0xffff, v50
	v_or_b32_e32 v51, 0x10000, v50
	s_delay_alu instid0(VALU_DEP_2) | instskip(NEXT) | instid1(VALU_DEP_1)
	v_cmp_eq_u32_e64 s0, 0, v49
	v_cndmask_b32_e64 v49, v51, v50, s0
; %bb.1325:                             ;   in Loop: Header=BB430_1187 Depth=1
	s_or_b32 exec_lo, exec_lo, s9
	v_and_b32_e32 v81, 0xffff0000, v36
	v_lshlrev_b32_e32 v36, 16, v52
	s_delay_alu instid0(VALU_DEP_1) | instskip(NEXT) | instid1(VALU_DEP_1)
	v_mul_f32_e32 v36, v81, v36
	v_and_b32_e32 v50, 0x7f800000, v36
	s_delay_alu instid0(VALU_DEP_1) | instskip(NEXT) | instid1(VALU_DEP_1)
	v_cmp_ne_u32_e64 s0, 0x7f800000, v50
                                        ; implicit-def: $vgpr50
	s_and_saveexec_b32 s9, s0
	s_delay_alu instid0(SALU_CYCLE_1)
	s_xor_b32 s0, exec_lo, s9
; %bb.1326:                             ;   in Loop: Header=BB430_1187 Depth=1
	v_bfe_u32 v50, v36, 16, 1
	s_delay_alu instid0(VALU_DEP_1)
	v_add3_u32 v50, v36, v50, 0x7fff
                                        ; implicit-def: $vgpr36
; %bb.1327:                             ;   in Loop: Header=BB430_1187 Depth=1
	s_and_not1_saveexec_b32 s9, s0
; %bb.1328:                             ;   in Loop: Header=BB430_1187 Depth=1
	v_and_b32_e32 v50, 0xffff, v36
	v_or_b32_e32 v51, 0x10000, v36
	s_delay_alu instid0(VALU_DEP_2) | instskip(NEXT) | instid1(VALU_DEP_1)
	v_cmp_eq_u32_e64 s0, 0, v50
	v_cndmask_b32_e64 v50, v51, v36, s0
; %bb.1329:                             ;   in Loop: Header=BB430_1187 Depth=1
	s_or_b32 exec_lo, exec_lo, s9
	v_and_b32_e32 v82, 0xffff0000, v34
	v_lshlrev_b32_e32 v9, 16, v9
                                        ; implicit-def: $vgpr51
	s_delay_alu instid0(VALU_DEP_1) | instskip(NEXT) | instid1(VALU_DEP_1)
	v_mul_f32_e32 v9, v82, v9
	v_and_b32_e32 v34, 0x7f800000, v9
	s_delay_alu instid0(VALU_DEP_1) | instskip(NEXT) | instid1(VALU_DEP_1)
	v_cmp_ne_u32_e64 s0, 0x7f800000, v34
	s_and_saveexec_b32 s9, s0
	s_delay_alu instid0(SALU_CYCLE_1)
	s_xor_b32 s0, exec_lo, s9
; %bb.1330:                             ;   in Loop: Header=BB430_1187 Depth=1
	v_bfe_u32 v34, v9, 16, 1
	s_delay_alu instid0(VALU_DEP_1)
	v_add3_u32 v51, v9, v34, 0x7fff
                                        ; implicit-def: $vgpr9
; %bb.1331:                             ;   in Loop: Header=BB430_1187 Depth=1
	s_and_not1_saveexec_b32 s9, s0
; %bb.1332:                             ;   in Loop: Header=BB430_1187 Depth=1
	v_and_b32_e32 v34, 0xffff, v9
	v_or_b32_e32 v36, 0x10000, v9
	s_delay_alu instid0(VALU_DEP_2) | instskip(NEXT) | instid1(VALU_DEP_1)
	v_cmp_eq_u32_e64 s0, 0, v34
	v_cndmask_b32_e64 v51, v36, v9, s0
; %bb.1333:                             ;   in Loop: Header=BB430_1187 Depth=1
	s_or_b32 exec_lo, exec_lo, s9
	v_and_b32_e32 v83, 0xffff0000, v33
	v_lshlrev_b32_e32 v7, 16, v7
                                        ; implicit-def: $vgpr52
	s_delay_alu instid0(VALU_DEP_1) | instskip(NEXT) | instid1(VALU_DEP_1)
	v_mul_f32_e32 v7, v83, v7
	v_and_b32_e32 v9, 0x7f800000, v7
	s_delay_alu instid0(VALU_DEP_1) | instskip(NEXT) | instid1(VALU_DEP_1)
	v_cmp_ne_u32_e64 s0, 0x7f800000, v9
	s_and_saveexec_b32 s9, s0
	s_delay_alu instid0(SALU_CYCLE_1)
	s_xor_b32 s0, exec_lo, s9
; %bb.1334:                             ;   in Loop: Header=BB430_1187 Depth=1
	v_bfe_u32 v9, v7, 16, 1
	s_delay_alu instid0(VALU_DEP_1)
	v_add3_u32 v52, v7, v9, 0x7fff
                                        ; implicit-def: $vgpr7
; %bb.1335:                             ;   in Loop: Header=BB430_1187 Depth=1
	s_and_not1_saveexec_b32 s9, s0
; %bb.1336:                             ;   in Loop: Header=BB430_1187 Depth=1
	v_and_b32_e32 v9, 0xffff, v7
	v_or_b32_e32 v33, 0x10000, v7
	s_delay_alu instid0(VALU_DEP_2) | instskip(NEXT) | instid1(VALU_DEP_1)
	v_cmp_eq_u32_e64 s0, 0, v9
	v_cndmask_b32_e64 v52, v33, v7, s0
; %bb.1337:                             ;   in Loop: Header=BB430_1187 Depth=1
	s_or_b32 exec_lo, exec_lo, s9
	v_and_b32_e32 v84, 0xffff0000, v32
	v_lshlrev_b32_e32 v6, 16, v6
                                        ; implicit-def: $vgpr53
	s_delay_alu instid0(VALU_DEP_1) | instskip(NEXT) | instid1(VALU_DEP_1)
	v_mul_f32_e32 v6, v84, v6
	v_and_b32_e32 v7, 0x7f800000, v6
	s_delay_alu instid0(VALU_DEP_1) | instskip(NEXT) | instid1(VALU_DEP_1)
	v_cmp_ne_u32_e64 s0, 0x7f800000, v7
	s_and_saveexec_b32 s9, s0
	s_delay_alu instid0(SALU_CYCLE_1)
	s_xor_b32 s0, exec_lo, s9
; %bb.1338:                             ;   in Loop: Header=BB430_1187 Depth=1
	v_bfe_u32 v7, v6, 16, 1
	s_delay_alu instid0(VALU_DEP_1)
	v_add3_u32 v53, v6, v7, 0x7fff
                                        ; implicit-def: $vgpr6
; %bb.1339:                             ;   in Loop: Header=BB430_1187 Depth=1
	s_and_not1_saveexec_b32 s9, s0
; %bb.1340:                             ;   in Loop: Header=BB430_1187 Depth=1
	v_and_b32_e32 v7, 0xffff, v6
	v_or_b32_e32 v9, 0x10000, v6
	s_delay_alu instid0(VALU_DEP_2) | instskip(NEXT) | instid1(VALU_DEP_1)
	v_cmp_eq_u32_e64 s0, 0, v7
	v_cndmask_b32_e64 v53, v9, v6, s0
; %bb.1341:                             ;   in Loop: Header=BB430_1187 Depth=1
	s_or_b32 exec_lo, exec_lo, s9
	v_and_b32_e32 v85, 0xffff0000, v5
	v_lshlrev_b32_e32 v3, 16, v3
                                        ; implicit-def: $vgpr54
	s_delay_alu instid0(VALU_DEP_1) | instskip(NEXT) | instid1(VALU_DEP_1)
	v_mul_f32_e32 v3, v85, v3
	v_and_b32_e32 v5, 0x7f800000, v3
	s_delay_alu instid0(VALU_DEP_1) | instskip(NEXT) | instid1(VALU_DEP_1)
	v_cmp_ne_u32_e64 s0, 0x7f800000, v5
	s_and_saveexec_b32 s9, s0
	s_delay_alu instid0(SALU_CYCLE_1)
	s_xor_b32 s0, exec_lo, s9
; %bb.1342:                             ;   in Loop: Header=BB430_1187 Depth=1
	v_bfe_u32 v5, v3, 16, 1
	s_delay_alu instid0(VALU_DEP_1)
	v_add3_u32 v54, v3, v5, 0x7fff
                                        ; implicit-def: $vgpr3
; %bb.1343:                             ;   in Loop: Header=BB430_1187 Depth=1
	s_and_not1_saveexec_b32 s9, s0
; %bb.1344:                             ;   in Loop: Header=BB430_1187 Depth=1
	v_and_b32_e32 v5, 0xffff, v3
	v_or_b32_e32 v6, 0x10000, v3
	s_delay_alu instid0(VALU_DEP_2) | instskip(NEXT) | instid1(VALU_DEP_1)
	v_cmp_eq_u32_e64 s0, 0, v5
	v_cndmask_b32_e64 v54, v6, v3, s0
; %bb.1345:                             ;   in Loop: Header=BB430_1187 Depth=1
	s_or_b32 exec_lo, exec_lo, s9
	v_and_b32_e32 v86, 0xffff0000, v4
	v_lshlrev_b32_e32 v2, 16, v2
                                        ; implicit-def: $vgpr55
	s_delay_alu instid0(VALU_DEP_1) | instskip(NEXT) | instid1(VALU_DEP_1)
	v_mul_f32_e32 v2, v86, v2
	v_and_b32_e32 v3, 0x7f800000, v2
	s_delay_alu instid0(VALU_DEP_1) | instskip(NEXT) | instid1(VALU_DEP_1)
	v_cmp_ne_u32_e64 s0, 0x7f800000, v3
	s_and_saveexec_b32 s9, s0
	s_delay_alu instid0(SALU_CYCLE_1)
	s_xor_b32 s0, exec_lo, s9
; %bb.1346:                             ;   in Loop: Header=BB430_1187 Depth=1
	v_bfe_u32 v3, v2, 16, 1
	s_delay_alu instid0(VALU_DEP_1)
	v_add3_u32 v55, v2, v3, 0x7fff
                                        ; implicit-def: $vgpr2
; %bb.1347:                             ;   in Loop: Header=BB430_1187 Depth=1
	s_and_not1_saveexec_b32 s9, s0
; %bb.1348:                             ;   in Loop: Header=BB430_1187 Depth=1
	v_and_b32_e32 v3, 0xffff, v2
	v_or_b32_e32 v4, 0x10000, v2
	s_delay_alu instid0(VALU_DEP_2) | instskip(NEXT) | instid1(VALU_DEP_1)
	v_cmp_eq_u32_e64 s0, 0, v3
	v_cndmask_b32_e64 v55, v4, v2, s0
; %bb.1349:                             ;   in Loop: Header=BB430_1187 Depth=1
	s_or_b32 exec_lo, exec_lo, s9
	flat_load_b64 v[2:3], v[0:1] offset:256
	s_mov_b32 s9, exec_lo
	s_waitcnt vmcnt(0) lgkmcnt(0)
	v_dual_mov_b32 v4, 0 :: v_dual_and_b32 v5, 0xff, v2
	s_delay_alu instid0(VALU_DEP_1)
	v_cmpx_ne_u16_e32 0, v5
	s_cbranch_execz .LBB430_1357
; %bb.1350:                             ;   in Loop: Header=BB430_1187 Depth=1
	v_bfrev_b32_e32 v4, 1
	s_mov_b32 s12, exec_lo
	v_cmpx_ne_u16_e32 0x80, v5
	s_cbranch_execz .LBB430_1356
; %bb.1351:                             ;   in Loop: Header=BB430_1187 Depth=1
	v_and_b32_e32 v5, 0x7f, v2
	v_mov_b32_e32 v4, 0x7f800001
	s_mov_b32 s13, exec_lo
	s_delay_alu instid0(VALU_DEP_2)
	v_cmpx_ne_u32_e32 0x7f, v5
	s_cbranch_execz .LBB430_1355
; %bb.1352:                             ;   in Loop: Header=BB430_1187 Depth=1
	v_lshrrev_b32_e32 v4, 3, v5
	v_dual_mov_b32 v7, v3 :: v_dual_mov_b32 v6, v2
	s_mov_b32 s15, exec_lo
	v_cmpx_gt_u32_e32 8, v5
; %bb.1353:                             ;   in Loop: Header=BB430_1187 Depth=1
	v_and_b32_e32 v4, 7, v2
	s_delay_alu instid0(VALU_DEP_1) | instskip(NEXT) | instid1(VALU_DEP_1)
	v_clz_i32_u32_e32 v4, v4
	v_min_u32_e32 v4, 32, v4
	s_delay_alu instid0(VALU_DEP_1) | instskip(SKIP_1) | instid1(VALU_DEP_2)
	v_subrev_nc_u32_e32 v5, 28, v4
	v_sub_nc_u32_e32 v4, 29, v4
	v_lshlrev_b64 v[6:7], v5, v[2:3]
; %bb.1354:                             ;   in Loop: Header=BB430_1187 Depth=1
	s_or_b32 exec_lo, exec_lo, s15
	s_delay_alu instid0(VALU_DEP_1) | instskip(SKIP_2) | instid1(VALU_DEP_3)
	v_lshlrev_b32_e32 v5, 20, v6
	v_lshlrev_b32_e32 v6, 24, v2
	v_lshl_add_u32 v4, v4, 23, 0x3c000000
	v_and_b32_e32 v5, 0x700000, v5
	s_delay_alu instid0(VALU_DEP_3) | instskip(NEXT) | instid1(VALU_DEP_1)
	v_and_b32_e32 v6, 0x80000000, v6
	v_or3_b32 v4, v5, v6, v4
.LBB430_1355:                           ;   in Loop: Header=BB430_1187 Depth=1
	s_or_b32 exec_lo, exec_lo, s13
.LBB430_1356:                           ;   in Loop: Header=BB430_1187 Depth=1
	s_delay_alu instid0(SALU_CYCLE_1)
	s_or_b32 exec_lo, exec_lo, s12
.LBB430_1357:                           ;   in Loop: Header=BB430_1187 Depth=1
	s_delay_alu instid0(SALU_CYCLE_1) | instskip(NEXT) | instid1(VALU_DEP_1)
	s_or_b32 exec_lo, exec_lo, s9
	v_mul_f32_e32 v5, v26, v4
	s_delay_alu instid0(VALU_DEP_1) | instskip(NEXT) | instid1(VALU_DEP_1)
	v_and_b32_e32 v4, 0x7f800000, v5
	v_cmp_ne_u32_e64 s0, 0x7f800000, v4
                                        ; implicit-def: $vgpr4
	s_delay_alu instid0(VALU_DEP_1) | instskip(NEXT) | instid1(SALU_CYCLE_1)
	s_and_saveexec_b32 s9, s0
	s_xor_b32 s0, exec_lo, s9
; %bb.1358:                             ;   in Loop: Header=BB430_1187 Depth=1
	v_bfe_u32 v4, v5, 16, 1
	s_delay_alu instid0(VALU_DEP_1)
	v_add3_u32 v4, v5, v4, 0x7fff
                                        ; implicit-def: $vgpr5
; %bb.1359:                             ;   in Loop: Header=BB430_1187 Depth=1
	s_and_not1_saveexec_b32 s9, s0
; %bb.1360:                             ;   in Loop: Header=BB430_1187 Depth=1
	v_and_b32_e32 v4, 0xffff, v5
	v_or_b32_e32 v6, 0x10000, v5
	s_delay_alu instid0(VALU_DEP_2) | instskip(NEXT) | instid1(VALU_DEP_1)
	v_cmp_eq_u32_e64 s0, 0, v4
	v_cndmask_b32_e64 v4, v6, v5, s0
; %bb.1361:                             ;   in Loop: Header=BB430_1187 Depth=1
	s_or_b32 exec_lo, exec_lo, s9
	v_lshrrev_b16 v6, 8, v2
	v_mov_b32_e32 v5, 0
	s_mov_b32 s9, exec_lo
	s_delay_alu instid0(VALU_DEP_2)
	v_cmpx_ne_u16_e32 0, v6
	s_cbranch_execz .LBB430_1369
; %bb.1362:                             ;   in Loop: Header=BB430_1187 Depth=1
	v_bfrev_b32_e32 v5, 1
	s_mov_b32 s12, exec_lo
	v_cmpx_ne_u16_e32 0x80, v6
	s_cbranch_execz .LBB430_1368
; %bb.1363:                             ;   in Loop: Header=BB430_1187 Depth=1
	v_and_b32_e32 v7, 0xffff, v6
	v_mov_b32_e32 v5, 0x7f800001
	s_mov_b32 s13, exec_lo
	s_delay_alu instid0(VALU_DEP_2) | instskip(NEXT) | instid1(VALU_DEP_1)
	v_and_b32_e32 v6, 0x7f, v7
	v_cmpx_ne_u32_e32 0x7f, v6
	s_cbranch_execz .LBB430_1367
; %bb.1364:                             ;   in Loop: Header=BB430_1187 Depth=1
	v_and_b32_e32 v9, 7, v7
	v_lshrrev_b32_e32 v5, 3, v6
	s_mov_b32 s15, exec_lo
	v_cmpx_gt_u32_e32 8, v6
; %bb.1365:                             ;   in Loop: Header=BB430_1187 Depth=1
	s_delay_alu instid0(VALU_DEP_3) | instskip(NEXT) | instid1(VALU_DEP_1)
	v_clz_i32_u32_e32 v5, v9
	v_min_u32_e32 v5, 32, v5
	s_delay_alu instid0(VALU_DEP_1) | instskip(SKIP_1) | instid1(VALU_DEP_2)
	v_subrev_nc_u32_e32 v6, 28, v5
	v_sub_nc_u32_e32 v5, 29, v5
	v_lshlrev_b64 v[6:7], v6, v[9:10]
	s_delay_alu instid0(VALU_DEP_1)
	v_and_b32_e32 v9, 7, v6
; %bb.1366:                             ;   in Loop: Header=BB430_1187 Depth=1
	s_or_b32 exec_lo, exec_lo, s15
	v_lshlrev_b32_e32 v6, 16, v2
	s_delay_alu instid0(VALU_DEP_2) | instskip(SKIP_1) | instid1(VALU_DEP_3)
	v_lshlrev_b32_e32 v7, 20, v9
	v_lshl_add_u32 v5, v5, 23, 0x3c000000
	v_and_b32_e32 v6, 0x80000000, v6
	s_delay_alu instid0(VALU_DEP_1)
	v_or3_b32 v5, v7, v6, v5
.LBB430_1367:                           ;   in Loop: Header=BB430_1187 Depth=1
	s_or_b32 exec_lo, exec_lo, s13
.LBB430_1368:                           ;   in Loop: Header=BB430_1187 Depth=1
	s_delay_alu instid0(SALU_CYCLE_1)
	s_or_b32 exec_lo, exec_lo, s12
.LBB430_1369:                           ;   in Loop: Header=BB430_1187 Depth=1
	s_delay_alu instid0(SALU_CYCLE_1) | instskip(NEXT) | instid1(VALU_DEP_1)
	s_or_b32 exec_lo, exec_lo, s9
	v_mul_f32_e32 v6, v26, v5
	s_delay_alu instid0(VALU_DEP_1) | instskip(NEXT) | instid1(VALU_DEP_1)
	v_and_b32_e32 v5, 0x7f800000, v6
	v_cmp_ne_u32_e64 s0, 0x7f800000, v5
                                        ; implicit-def: $vgpr5
	s_delay_alu instid0(VALU_DEP_1) | instskip(NEXT) | instid1(SALU_CYCLE_1)
	s_and_saveexec_b32 s9, s0
	s_xor_b32 s0, exec_lo, s9
; %bb.1370:                             ;   in Loop: Header=BB430_1187 Depth=1
	v_bfe_u32 v5, v6, 16, 1
	s_delay_alu instid0(VALU_DEP_1)
	v_add3_u32 v5, v6, v5, 0x7fff
                                        ; implicit-def: $vgpr6
; %bb.1371:                             ;   in Loop: Header=BB430_1187 Depth=1
	s_and_not1_saveexec_b32 s9, s0
; %bb.1372:                             ;   in Loop: Header=BB430_1187 Depth=1
	v_and_b32_e32 v5, 0xffff, v6
	v_or_b32_e32 v7, 0x10000, v6
	s_delay_alu instid0(VALU_DEP_2) | instskip(NEXT) | instid1(VALU_DEP_1)
	v_cmp_eq_u32_e64 s0, 0, v5
	v_cndmask_b32_e64 v5, v7, v6, s0
; %bb.1373:                             ;   in Loop: Header=BB430_1187 Depth=1
	s_or_b32 exec_lo, exec_lo, s9
	v_lshrrev_b32_e32 v6, 16, v2
	v_mov_b32_e32 v7, 0
	s_mov_b32 s9, exec_lo
	s_delay_alu instid0(VALU_DEP_2) | instskip(NEXT) | instid1(VALU_DEP_1)
	v_and_b32_e32 v9, 0xff, v6
	v_cmpx_ne_u16_e32 0, v9
	s_cbranch_execz .LBB430_1381
; %bb.1374:                             ;   in Loop: Header=BB430_1187 Depth=1
	v_bfrev_b32_e32 v7, 1
	s_mov_b32 s12, exec_lo
	v_cmpx_ne_u16_e32 0x80, v9
	s_cbranch_execz .LBB430_1380
; %bb.1375:                             ;   in Loop: Header=BB430_1187 Depth=1
	v_bfe_u32 v32, v2, 16, 7
	v_mov_b32_e32 v7, 0x7f800001
	s_mov_b32 s13, exec_lo
	s_delay_alu instid0(VALU_DEP_2)
	v_cmpx_ne_u32_e32 0x7f, v32
	s_cbranch_execz .LBB430_1379
; %bb.1376:                             ;   in Loop: Header=BB430_1187 Depth=1
	v_and_b32_e32 v9, 7, v6
	v_lshrrev_b32_e32 v7, 3, v32
	s_mov_b32 s15, exec_lo
	v_cmpx_gt_u32_e32 8, v32
; %bb.1377:                             ;   in Loop: Header=BB430_1187 Depth=1
	s_delay_alu instid0(VALU_DEP_3) | instskip(NEXT) | instid1(VALU_DEP_1)
	v_clz_i32_u32_e32 v7, v9
	v_min_u32_e32 v7, 32, v7
	s_delay_alu instid0(VALU_DEP_1) | instskip(SKIP_1) | instid1(VALU_DEP_2)
	v_subrev_nc_u32_e32 v32, 28, v7
	v_sub_nc_u32_e32 v7, 29, v7
	v_lshlrev_b64 v[32:33], v32, v[9:10]
	s_delay_alu instid0(VALU_DEP_1)
	v_and_b32_e32 v9, 7, v32
; %bb.1378:                             ;   in Loop: Header=BB430_1187 Depth=1
	s_or_b32 exec_lo, exec_lo, s15
	v_lshlrev_b32_e32 v6, 24, v6
	s_delay_alu instid0(VALU_DEP_2) | instskip(SKIP_1) | instid1(VALU_DEP_3)
	v_lshlrev_b32_e32 v9, 20, v9
	v_lshl_add_u32 v7, v7, 23, 0x3c000000
	v_and_b32_e32 v6, 0x80000000, v6
	s_delay_alu instid0(VALU_DEP_1)
	v_or3_b32 v7, v9, v6, v7
.LBB430_1379:                           ;   in Loop: Header=BB430_1187 Depth=1
	s_or_b32 exec_lo, exec_lo, s13
.LBB430_1380:                           ;   in Loop: Header=BB430_1187 Depth=1
	s_delay_alu instid0(SALU_CYCLE_1)
	s_or_b32 exec_lo, exec_lo, s12
.LBB430_1381:                           ;   in Loop: Header=BB430_1187 Depth=1
	s_delay_alu instid0(SALU_CYCLE_1) | instskip(NEXT) | instid1(VALU_DEP_1)
	s_or_b32 exec_lo, exec_lo, s9
	v_mul_f32_e32 v6, v26, v7
                                        ; implicit-def: $vgpr32
	s_delay_alu instid0(VALU_DEP_1) | instskip(NEXT) | instid1(VALU_DEP_1)
	v_and_b32_e32 v7, 0x7f800000, v6
	v_cmp_ne_u32_e64 s0, 0x7f800000, v7
	s_delay_alu instid0(VALU_DEP_1) | instskip(NEXT) | instid1(SALU_CYCLE_1)
	s_and_saveexec_b32 s9, s0
	s_xor_b32 s0, exec_lo, s9
; %bb.1382:                             ;   in Loop: Header=BB430_1187 Depth=1
	v_bfe_u32 v7, v6, 16, 1
	s_delay_alu instid0(VALU_DEP_1)
	v_add3_u32 v32, v6, v7, 0x7fff
                                        ; implicit-def: $vgpr6
; %bb.1383:                             ;   in Loop: Header=BB430_1187 Depth=1
	s_and_not1_saveexec_b32 s9, s0
; %bb.1384:                             ;   in Loop: Header=BB430_1187 Depth=1
	v_and_b32_e32 v7, 0xffff, v6
	v_or_b32_e32 v9, 0x10000, v6
	s_delay_alu instid0(VALU_DEP_2) | instskip(NEXT) | instid1(VALU_DEP_1)
	v_cmp_eq_u32_e64 s0, 0, v7
	v_cndmask_b32_e64 v32, v9, v6, s0
; %bb.1385:                             ;   in Loop: Header=BB430_1187 Depth=1
	s_or_b32 exec_lo, exec_lo, s9
	v_mov_b32_e32 v7, 0
	s_mov_b32 s9, exec_lo
	v_cmpx_lt_u32_e32 0xffffff, v2
	s_cbranch_execz .LBB430_1393
; %bb.1386:                             ;   in Loop: Header=BB430_1187 Depth=1
	v_lshrrev_b32_e32 v6, 24, v2
	v_bfrev_b32_e32 v7, 1
	s_mov_b32 s12, exec_lo
	s_delay_alu instid0(VALU_DEP_2)
	v_cmpx_ne_u32_e32 0x80, v6
	s_cbranch_execz .LBB430_1392
; %bb.1387:                             ;   in Loop: Header=BB430_1187 Depth=1
	v_bfe_u32 v33, v2, 24, 7
	v_mov_b32_e32 v7, 0x7f800001
	s_mov_b32 s13, exec_lo
	s_delay_alu instid0(VALU_DEP_2)
	v_cmpx_ne_u32_e32 0x7f, v33
	s_cbranch_execz .LBB430_1391
; %bb.1388:                             ;   in Loop: Header=BB430_1187 Depth=1
	v_and_b32_e32 v9, 7, v6
	v_lshrrev_b32_e32 v7, 3, v33
	s_mov_b32 s15, exec_lo
	v_cmpx_gt_u32_e32 8, v33
; %bb.1389:                             ;   in Loop: Header=BB430_1187 Depth=1
	s_delay_alu instid0(VALU_DEP_3) | instskip(NEXT) | instid1(VALU_DEP_1)
	v_clz_i32_u32_e32 v7, v9
	v_min_u32_e32 v7, 32, v7
	s_delay_alu instid0(VALU_DEP_1) | instskip(SKIP_1) | instid1(VALU_DEP_2)
	v_subrev_nc_u32_e32 v33, 28, v7
	v_sub_nc_u32_e32 v7, 29, v7
	v_lshlrev_b64 v[33:34], v33, v[9:10]
	s_delay_alu instid0(VALU_DEP_1)
	v_and_b32_e32 v9, 7, v33
; %bb.1390:                             ;   in Loop: Header=BB430_1187 Depth=1
	s_or_b32 exec_lo, exec_lo, s15
	v_lshlrev_b32_e32 v6, 24, v6
	s_delay_alu instid0(VALU_DEP_2) | instskip(SKIP_1) | instid1(VALU_DEP_3)
	v_lshlrev_b32_e32 v9, 20, v9
	v_lshl_add_u32 v7, v7, 23, 0x3c000000
	v_and_b32_e32 v6, 0x80000000, v6
	s_delay_alu instid0(VALU_DEP_1)
	v_or3_b32 v7, v9, v6, v7
.LBB430_1391:                           ;   in Loop: Header=BB430_1187 Depth=1
	s_or_b32 exec_lo, exec_lo, s13
.LBB430_1392:                           ;   in Loop: Header=BB430_1187 Depth=1
	s_delay_alu instid0(SALU_CYCLE_1)
	s_or_b32 exec_lo, exec_lo, s12
.LBB430_1393:                           ;   in Loop: Header=BB430_1187 Depth=1
	s_delay_alu instid0(SALU_CYCLE_1) | instskip(NEXT) | instid1(VALU_DEP_1)
	s_or_b32 exec_lo, exec_lo, s9
	v_mul_f32_e32 v6, v26, v7
                                        ; implicit-def: $vgpr33
	s_delay_alu instid0(VALU_DEP_1) | instskip(NEXT) | instid1(VALU_DEP_1)
	v_and_b32_e32 v7, 0x7f800000, v6
	v_cmp_ne_u32_e64 s0, 0x7f800000, v7
	s_delay_alu instid0(VALU_DEP_1) | instskip(NEXT) | instid1(SALU_CYCLE_1)
	s_and_saveexec_b32 s9, s0
	s_xor_b32 s0, exec_lo, s9
; %bb.1394:                             ;   in Loop: Header=BB430_1187 Depth=1
	v_bfe_u32 v7, v6, 16, 1
	s_delay_alu instid0(VALU_DEP_1)
	v_add3_u32 v33, v6, v7, 0x7fff
                                        ; implicit-def: $vgpr6
; %bb.1395:                             ;   in Loop: Header=BB430_1187 Depth=1
	s_and_not1_saveexec_b32 s9, s0
; %bb.1396:                             ;   in Loop: Header=BB430_1187 Depth=1
	v_and_b32_e32 v7, 0xffff, v6
	v_or_b32_e32 v9, 0x10000, v6
	s_delay_alu instid0(VALU_DEP_2) | instskip(NEXT) | instid1(VALU_DEP_1)
	v_cmp_eq_u32_e64 s0, 0, v7
	v_cndmask_b32_e64 v33, v9, v6, s0
; %bb.1397:                             ;   in Loop: Header=BB430_1187 Depth=1
	s_or_b32 exec_lo, exec_lo, s9
	v_dual_mov_b32 v6, 0 :: v_dual_and_b32 v7, 0xff, v3
	v_mov_b32_e32 v9, v3
	s_mov_b32 s9, exec_lo
	s_delay_alu instid0(VALU_DEP_2)
	v_cmpx_ne_u16_e32 0, v7
	s_cbranch_execz .LBB430_1405
; %bb.1398:                             ;   in Loop: Header=BB430_1187 Depth=1
	v_bfrev_b32_e32 v6, 1
	s_mov_b32 s12, exec_lo
	v_cmpx_ne_u16_e32 0x80, v7
	s_cbranch_execz .LBB430_1404
; %bb.1399:                             ;   in Loop: Header=BB430_1187 Depth=1
	v_and_b32_e32 v7, 0x7f, v3
	v_mov_b32_e32 v6, 0x7f800001
	s_mov_b32 s13, exec_lo
	s_delay_alu instid0(VALU_DEP_2)
	v_cmpx_ne_u32_e32 0x7f, v7
	s_cbranch_execz .LBB430_1403
; %bb.1400:                             ;   in Loop: Header=BB430_1187 Depth=1
	v_lshrrev_b32_e32 v34, 3, v7
	v_cmp_gt_u32_e64 s0, 8, v7
	v_dual_mov_b32 v6, v9 :: v_dual_mov_b32 v7, v10
	s_delay_alu instid0(VALU_DEP_2)
	s_and_saveexec_b32 s15, s0
; %bb.1401:                             ;   in Loop: Header=BB430_1187 Depth=1
	v_and_b32_e32 v6, 7, v3
	s_delay_alu instid0(VALU_DEP_1) | instskip(NEXT) | instid1(VALU_DEP_1)
	v_clz_i32_u32_e32 v6, v6
	v_min_u32_e32 v34, 32, v6
	s_delay_alu instid0(VALU_DEP_1) | instskip(SKIP_1) | instid1(VALU_DEP_2)
	v_subrev_nc_u32_e32 v6, 28, v34
	v_sub_nc_u32_e32 v34, 29, v34
	v_lshlrev_b64 v[6:7], v6, v[9:10]
; %bb.1402:                             ;   in Loop: Header=BB430_1187 Depth=1
	s_or_b32 exec_lo, exec_lo, s15
	s_delay_alu instid0(VALU_DEP_1) | instskip(SKIP_2) | instid1(VALU_DEP_3)
	v_lshlrev_b32_e32 v6, 20, v6
	v_lshlrev_b32_e32 v7, 24, v9
	v_lshl_add_u32 v34, v34, 23, 0x3c000000
	v_and_b32_e32 v6, 0x700000, v6
	s_delay_alu instid0(VALU_DEP_3) | instskip(NEXT) | instid1(VALU_DEP_1)
	v_and_b32_e32 v7, 0x80000000, v7
	v_or3_b32 v6, v6, v7, v34
.LBB430_1403:                           ;   in Loop: Header=BB430_1187 Depth=1
	s_or_b32 exec_lo, exec_lo, s13
.LBB430_1404:                           ;   in Loop: Header=BB430_1187 Depth=1
	s_delay_alu instid0(SALU_CYCLE_1)
	s_or_b32 exec_lo, exec_lo, s12
.LBB430_1405:                           ;   in Loop: Header=BB430_1187 Depth=1
	s_delay_alu instid0(SALU_CYCLE_1) | instskip(NEXT) | instid1(VALU_DEP_1)
	s_or_b32 exec_lo, exec_lo, s9
	v_mul_f32_e32 v6, v26, v6
                                        ; implicit-def: $vgpr34
	s_delay_alu instid0(VALU_DEP_1) | instskip(NEXT) | instid1(VALU_DEP_1)
	v_and_b32_e32 v7, 0x7f800000, v6
	v_cmp_ne_u32_e64 s0, 0x7f800000, v7
	s_delay_alu instid0(VALU_DEP_1) | instskip(NEXT) | instid1(SALU_CYCLE_1)
	s_and_saveexec_b32 s9, s0
	s_xor_b32 s0, exec_lo, s9
; %bb.1406:                             ;   in Loop: Header=BB430_1187 Depth=1
	v_bfe_u32 v7, v6, 16, 1
	s_delay_alu instid0(VALU_DEP_1)
	v_add3_u32 v34, v6, v7, 0x7fff
                                        ; implicit-def: $vgpr6
; %bb.1407:                             ;   in Loop: Header=BB430_1187 Depth=1
	s_and_not1_saveexec_b32 s9, s0
; %bb.1408:                             ;   in Loop: Header=BB430_1187 Depth=1
	v_and_b32_e32 v7, 0xffff, v6
	v_or_b32_e32 v34, 0x10000, v6
	s_delay_alu instid0(VALU_DEP_2) | instskip(NEXT) | instid1(VALU_DEP_1)
	v_cmp_eq_u32_e64 s0, 0, v7
	v_cndmask_b32_e64 v34, v34, v6, s0
; %bb.1409:                             ;   in Loop: Header=BB430_1187 Depth=1
	s_or_b32 exec_lo, exec_lo, s9
	v_lshrrev_b16 v7, 8, v9
	v_mov_b32_e32 v6, 0
	s_mov_b32 s9, exec_lo
	s_delay_alu instid0(VALU_DEP_2)
	v_cmpx_ne_u16_e32 0, v7
	s_cbranch_execz .LBB430_1417
; %bb.1410:                             ;   in Loop: Header=BB430_1187 Depth=1
	v_bfrev_b32_e32 v6, 1
	s_mov_b32 s12, exec_lo
	v_cmpx_ne_u16_e32 0x80, v7
	s_cbranch_execz .LBB430_1416
; %bb.1411:                             ;   in Loop: Header=BB430_1187 Depth=1
	v_and_b32_e32 v7, 0xffff, v7
	v_mov_b32_e32 v6, 0x7f800001
	s_mov_b32 s13, exec_lo
	s_delay_alu instid0(VALU_DEP_2) | instskip(NEXT) | instid1(VALU_DEP_1)
	v_and_b32_e32 v87, 0x7f, v7
	v_cmpx_ne_u32_e32 0x7f, v87
	s_cbranch_execz .LBB430_1415
; %bb.1412:                             ;   in Loop: Header=BB430_1187 Depth=1
	v_dual_mov_b32 v7, v10 :: v_dual_and_b32 v6, 7, v7
	v_lshrrev_b32_e32 v36, 3, v87
	s_mov_b32 s15, exec_lo
	v_cmpx_gt_u32_e32 8, v87
; %bb.1413:                             ;   in Loop: Header=BB430_1187 Depth=1
	s_delay_alu instid0(VALU_DEP_3) | instskip(NEXT) | instid1(VALU_DEP_1)
	v_clz_i32_u32_e32 v36, v6
	v_min_u32_e32 v36, 32, v36
	s_delay_alu instid0(VALU_DEP_1) | instskip(SKIP_1) | instid1(VALU_DEP_2)
	v_subrev_nc_u32_e32 v87, 28, v36
	v_sub_nc_u32_e32 v36, 29, v36
	v_lshlrev_b64 v[6:7], v87, v[6:7]
	s_delay_alu instid0(VALU_DEP_1)
	v_and_b32_e32 v6, 7, v6
; %bb.1414:                             ;   in Loop: Header=BB430_1187 Depth=1
	s_or_b32 exec_lo, exec_lo, s15
	v_lshlrev_b32_e32 v7, 16, v9
	s_delay_alu instid0(VALU_DEP_2) | instskip(SKIP_1) | instid1(VALU_DEP_3)
	v_lshlrev_b32_e32 v6, 20, v6
	v_lshl_add_u32 v9, v36, 23, 0x3c000000
	v_and_b32_e32 v7, 0x80000000, v7
	s_delay_alu instid0(VALU_DEP_1)
	v_or3_b32 v6, v6, v7, v9
.LBB430_1415:                           ;   in Loop: Header=BB430_1187 Depth=1
	s_or_b32 exec_lo, exec_lo, s13
.LBB430_1416:                           ;   in Loop: Header=BB430_1187 Depth=1
	s_delay_alu instid0(SALU_CYCLE_1)
	s_or_b32 exec_lo, exec_lo, s12
.LBB430_1417:                           ;   in Loop: Header=BB430_1187 Depth=1
	s_delay_alu instid0(SALU_CYCLE_1) | instskip(NEXT) | instid1(VALU_DEP_1)
	s_or_b32 exec_lo, exec_lo, s9
	v_mul_f32_e32 v7, v26, v6
	s_delay_alu instid0(VALU_DEP_1) | instskip(NEXT) | instid1(VALU_DEP_1)
	v_and_b32_e32 v6, 0x7f800000, v7
	v_cmp_ne_u32_e64 s0, 0x7f800000, v6
                                        ; implicit-def: $vgpr6
	s_delay_alu instid0(VALU_DEP_1) | instskip(NEXT) | instid1(SALU_CYCLE_1)
	s_and_saveexec_b32 s9, s0
	s_xor_b32 s0, exec_lo, s9
; %bb.1418:                             ;   in Loop: Header=BB430_1187 Depth=1
	v_bfe_u32 v6, v7, 16, 1
	s_delay_alu instid0(VALU_DEP_1)
	v_add3_u32 v6, v7, v6, 0x7fff
                                        ; implicit-def: $vgpr7
; %bb.1419:                             ;   in Loop: Header=BB430_1187 Depth=1
	s_and_not1_saveexec_b32 s9, s0
; %bb.1420:                             ;   in Loop: Header=BB430_1187 Depth=1
	v_and_b32_e32 v6, 0xffff, v7
	v_or_b32_e32 v9, 0x10000, v7
	s_delay_alu instid0(VALU_DEP_2) | instskip(NEXT) | instid1(VALU_DEP_1)
	v_cmp_eq_u32_e64 s0, 0, v6
	v_cndmask_b32_e64 v6, v9, v7, s0
; %bb.1421:                             ;   in Loop: Header=BB430_1187 Depth=1
	s_or_b32 exec_lo, exec_lo, s9
	v_lshrrev_b32_e32 v7, 16, v3
	s_mov_b32 s9, exec_lo
	s_delay_alu instid0(VALU_DEP_1) | instskip(NEXT) | instid1(VALU_DEP_1)
	v_dual_mov_b32 v9, 0 :: v_dual_and_b32 v36, 0xff, v7
	v_cmpx_ne_u16_e32 0, v36
	s_cbranch_execz .LBB430_1429
; %bb.1422:                             ;   in Loop: Header=BB430_1187 Depth=1
	v_bfrev_b32_e32 v9, 1
	s_mov_b32 s12, exec_lo
	v_cmpx_ne_u16_e32 0x80, v36
	s_cbranch_execz .LBB430_1428
; %bb.1423:                             ;   in Loop: Header=BB430_1187 Depth=1
	v_bfe_u32 v87, v3, 16, 7
	v_mov_b32_e32 v9, 0x7f800001
	s_mov_b32 s13, exec_lo
	s_delay_alu instid0(VALU_DEP_2)
	v_cmpx_ne_u32_e32 0x7f, v87
	s_cbranch_execz .LBB430_1427
; %bb.1424:                             ;   in Loop: Header=BB430_1187 Depth=1
	v_and_b32_e32 v9, 7, v7
	v_lshrrev_b32_e32 v36, 3, v87
	s_mov_b32 s15, exec_lo
	v_cmpx_gt_u32_e32 8, v87
; %bb.1425:                             ;   in Loop: Header=BB430_1187 Depth=1
	s_delay_alu instid0(VALU_DEP_3) | instskip(NEXT) | instid1(VALU_DEP_1)
	v_clz_i32_u32_e32 v36, v9
	v_min_u32_e32 v36, 32, v36
	s_delay_alu instid0(VALU_DEP_1) | instskip(SKIP_1) | instid1(VALU_DEP_2)
	v_subrev_nc_u32_e32 v87, 28, v36
	v_sub_nc_u32_e32 v36, 29, v36
	v_lshlrev_b64 v[96:97], v87, v[9:10]
	s_delay_alu instid0(VALU_DEP_1)
	v_and_b32_e32 v9, 7, v96
; %bb.1426:                             ;   in Loop: Header=BB430_1187 Depth=1
	s_or_b32 exec_lo, exec_lo, s15
	v_lshlrev_b32_e32 v7, 24, v7
	s_delay_alu instid0(VALU_DEP_2) | instskip(SKIP_1) | instid1(VALU_DEP_3)
	v_lshlrev_b32_e32 v9, 20, v9
	v_lshl_add_u32 v36, v36, 23, 0x3c000000
	v_and_b32_e32 v7, 0x80000000, v7
	s_delay_alu instid0(VALU_DEP_1)
	v_or3_b32 v9, v9, v7, v36
.LBB430_1427:                           ;   in Loop: Header=BB430_1187 Depth=1
	s_or_b32 exec_lo, exec_lo, s13
.LBB430_1428:                           ;   in Loop: Header=BB430_1187 Depth=1
	s_delay_alu instid0(SALU_CYCLE_1)
	s_or_b32 exec_lo, exec_lo, s12
.LBB430_1429:                           ;   in Loop: Header=BB430_1187 Depth=1
	s_delay_alu instid0(SALU_CYCLE_1) | instskip(NEXT) | instid1(VALU_DEP_1)
	s_or_b32 exec_lo, exec_lo, s9
	v_mul_f32_e32 v7, v26, v9
                                        ; implicit-def: $vgpr36
	s_delay_alu instid0(VALU_DEP_1) | instskip(NEXT) | instid1(VALU_DEP_1)
	v_and_b32_e32 v9, 0x7f800000, v7
	v_cmp_ne_u32_e64 s0, 0x7f800000, v9
	s_delay_alu instid0(VALU_DEP_1) | instskip(NEXT) | instid1(SALU_CYCLE_1)
	s_and_saveexec_b32 s9, s0
	s_xor_b32 s0, exec_lo, s9
; %bb.1430:                             ;   in Loop: Header=BB430_1187 Depth=1
	v_bfe_u32 v9, v7, 16, 1
	s_delay_alu instid0(VALU_DEP_1)
	v_add3_u32 v36, v7, v9, 0x7fff
                                        ; implicit-def: $vgpr7
; %bb.1431:                             ;   in Loop: Header=BB430_1187 Depth=1
	s_and_not1_saveexec_b32 s9, s0
; %bb.1432:                             ;   in Loop: Header=BB430_1187 Depth=1
	v_and_b32_e32 v9, 0xffff, v7
	v_or_b32_e32 v36, 0x10000, v7
	s_delay_alu instid0(VALU_DEP_2) | instskip(NEXT) | instid1(VALU_DEP_1)
	v_cmp_eq_u32_e64 s0, 0, v9
	v_cndmask_b32_e64 v36, v36, v7, s0
; %bb.1433:                             ;   in Loop: Header=BB430_1187 Depth=1
	s_or_b32 exec_lo, exec_lo, s9
	v_mov_b32_e32 v7, 0
	s_mov_b32 s9, exec_lo
	v_cmpx_lt_u64_e64 s[2:3], v[2:3]
	s_cbranch_execz .LBB430_1441
; %bb.1434:                             ;   in Loop: Header=BB430_1187 Depth=1
	v_lshrrev_b32_e32 v2, 24, v3
	v_bfrev_b32_e32 v7, 1
	s_mov_b32 s12, exec_lo
	s_delay_alu instid0(VALU_DEP_2)
	v_cmpx_ne_u32_e32 0x80, v2
	s_cbranch_execz .LBB430_1440
; %bb.1435:                             ;   in Loop: Header=BB430_1187 Depth=1
	v_bfe_u32 v87, v3, 24, 7
	v_mov_b32_e32 v7, 0x7f800001
	s_mov_b32 s13, exec_lo
	s_delay_alu instid0(VALU_DEP_2)
	v_cmpx_ne_u32_e32 0x7f, v87
	s_cbranch_execz .LBB430_1439
; %bb.1436:                             ;   in Loop: Header=BB430_1187 Depth=1
	v_and_b32_e32 v9, 7, v2
	v_lshrrev_b32_e32 v3, 3, v87
	s_mov_b32 s15, exec_lo
	v_cmpx_gt_u32_e32 8, v87
; %bb.1437:                             ;   in Loop: Header=BB430_1187 Depth=1
	s_delay_alu instid0(VALU_DEP_3) | instskip(NEXT) | instid1(VALU_DEP_1)
	v_clz_i32_u32_e32 v3, v9
	v_min_u32_e32 v3, 32, v3
	s_delay_alu instid0(VALU_DEP_1) | instskip(SKIP_1) | instid1(VALU_DEP_2)
	v_subrev_nc_u32_e32 v7, 28, v3
	v_sub_nc_u32_e32 v3, 29, v3
	v_lshlrev_b64 v[96:97], v7, v[9:10]
	s_delay_alu instid0(VALU_DEP_1)
	v_and_b32_e32 v9, 7, v96
; %bb.1438:                             ;   in Loop: Header=BB430_1187 Depth=1
	s_or_b32 exec_lo, exec_lo, s15
	v_lshlrev_b32_e32 v2, 24, v2
	s_delay_alu instid0(VALU_DEP_2) | instskip(SKIP_1) | instid1(VALU_DEP_3)
	v_lshlrev_b32_e32 v7, 20, v9
	v_lshl_add_u32 v3, v3, 23, 0x3c000000
	v_and_b32_e32 v2, 0x80000000, v2
	s_delay_alu instid0(VALU_DEP_1)
	v_or3_b32 v7, v7, v2, v3
.LBB430_1439:                           ;   in Loop: Header=BB430_1187 Depth=1
	s_or_b32 exec_lo, exec_lo, s13
.LBB430_1440:                           ;   in Loop: Header=BB430_1187 Depth=1
	s_delay_alu instid0(SALU_CYCLE_1)
	s_or_b32 exec_lo, exec_lo, s12
.LBB430_1441:                           ;   in Loop: Header=BB430_1187 Depth=1
	s_delay_alu instid0(SALU_CYCLE_1) | instskip(NEXT) | instid1(VALU_DEP_1)
	s_or_b32 exec_lo, exec_lo, s9
	v_mul_f32_e32 v3, v26, v7
	s_delay_alu instid0(VALU_DEP_1) | instskip(NEXT) | instid1(VALU_DEP_1)
	v_and_b32_e32 v2, 0x7f800000, v3
	v_cmp_ne_u32_e64 s0, 0x7f800000, v2
                                        ; implicit-def: $vgpr2
	s_delay_alu instid0(VALU_DEP_1) | instskip(NEXT) | instid1(SALU_CYCLE_1)
	s_and_saveexec_b32 s9, s0
	s_xor_b32 s0, exec_lo, s9
; %bb.1442:                             ;   in Loop: Header=BB430_1187 Depth=1
	v_bfe_u32 v2, v3, 16, 1
	s_delay_alu instid0(VALU_DEP_1)
	v_add3_u32 v2, v3, v2, 0x7fff
                                        ; implicit-def: $vgpr3
; %bb.1443:                             ;   in Loop: Header=BB430_1187 Depth=1
	s_and_not1_saveexec_b32 s9, s0
; %bb.1444:                             ;   in Loop: Header=BB430_1187 Depth=1
	v_and_b32_e32 v2, 0xffff, v3
	v_or_b32_e32 v7, 0x10000, v3
	s_delay_alu instid0(VALU_DEP_2) | instskip(NEXT) | instid1(VALU_DEP_1)
	v_cmp_eq_u32_e64 s0, 0, v2
	v_cndmask_b32_e64 v2, v7, v3, s0
; %bb.1445:                             ;   in Loop: Header=BB430_1187 Depth=1
	s_or_b32 exec_lo, exec_lo, s9
	v_lshrrev_b32_e32 v6, 16, v6
	v_lshrrev_b32_e32 v7, 16, v34
	;; [unrolled: 1-line block ×8, first 2 shown]
	s_and_saveexec_b32 s9, vcc_lo
	s_cbranch_execz .LBB430_1447
; %bb.1446:                             ;   in Loop: Header=BB430_1187 Depth=1
	v_cmp_lt_i32_e64 s0, v64, v35
	s_delay_alu instid0(VALU_DEP_1) | instskip(SKIP_1) | instid1(VALU_DEP_1)
	v_cndmask_b32_e64 v4, 0, v4, s0
	v_cmp_lt_i32_e64 s0, v70, v35
	v_cndmask_b32_e64 v5, 0, v5, s0
	v_cmp_lt_i32_e64 s0, v69, v35
	s_delay_alu instid0(VALU_DEP_1) | instskip(SKIP_1) | instid1(VALU_DEP_1)
	v_cndmask_b32_e64 v32, 0, v32, s0
	v_cmp_lt_i32_e64 s0, v68, v35
	v_cndmask_b32_e64 v9, 0, v9, s0
	;; [unrolled: 5-line block ×4, first 2 shown]
.LBB430_1447:                           ;   in Loop: Header=BB430_1187 Depth=1
	s_or_b32 exec_lo, exec_lo, s9
	v_lshlrev_b32_e32 v4, 16, v4
                                        ; implicit-def: $vgpr87
	s_delay_alu instid0(VALU_DEP_1) | instskip(NEXT) | instid1(VALU_DEP_1)
	v_mul_f32_e32 v4, v71, v4
	v_and_b32_e32 v33, 0x7f800000, v4
	s_delay_alu instid0(VALU_DEP_1) | instskip(NEXT) | instid1(VALU_DEP_1)
	v_cmp_ne_u32_e64 s0, 0x7f800000, v33
	s_and_saveexec_b32 s9, s0
	s_delay_alu instid0(SALU_CYCLE_1)
	s_xor_b32 s0, exec_lo, s9
; %bb.1448:                             ;   in Loop: Header=BB430_1187 Depth=1
	v_bfe_u32 v33, v4, 16, 1
	s_delay_alu instid0(VALU_DEP_1)
	v_add3_u32 v87, v4, v33, 0x7fff
                                        ; implicit-def: $vgpr4
; %bb.1449:                             ;   in Loop: Header=BB430_1187 Depth=1
	s_and_not1_saveexec_b32 s9, s0
; %bb.1450:                             ;   in Loop: Header=BB430_1187 Depth=1
	v_and_b32_e32 v33, 0xffff, v4
	v_or_b32_e32 v34, 0x10000, v4
	s_delay_alu instid0(VALU_DEP_2) | instskip(NEXT) | instid1(VALU_DEP_1)
	v_cmp_eq_u32_e64 s0, 0, v33
	v_cndmask_b32_e64 v87, v34, v4, s0
; %bb.1451:                             ;   in Loop: Header=BB430_1187 Depth=1
	s_or_b32 exec_lo, exec_lo, s9
	v_lshlrev_b32_e32 v4, 16, v5
                                        ; implicit-def: $vgpr96
	s_delay_alu instid0(VALU_DEP_1) | instskip(NEXT) | instid1(VALU_DEP_1)
	v_mul_f32_e32 v4, v80, v4
	v_and_b32_e32 v5, 0x7f800000, v4
	s_delay_alu instid0(VALU_DEP_1) | instskip(NEXT) | instid1(VALU_DEP_1)
	v_cmp_ne_u32_e64 s0, 0x7f800000, v5
	s_and_saveexec_b32 s9, s0
	s_delay_alu instid0(SALU_CYCLE_1)
	s_xor_b32 s0, exec_lo, s9
; %bb.1452:                             ;   in Loop: Header=BB430_1187 Depth=1
	v_bfe_u32 v5, v4, 16, 1
	s_delay_alu instid0(VALU_DEP_1)
	v_add3_u32 v96, v4, v5, 0x7fff
                                        ; implicit-def: $vgpr4
; %bb.1453:                             ;   in Loop: Header=BB430_1187 Depth=1
	s_and_not1_saveexec_b32 s9, s0
; %bb.1454:                             ;   in Loop: Header=BB430_1187 Depth=1
	v_and_b32_e32 v5, 0xffff, v4
	v_or_b32_e32 v33, 0x10000, v4
	s_delay_alu instid0(VALU_DEP_2) | instskip(NEXT) | instid1(VALU_DEP_1)
	v_cmp_eq_u32_e64 s0, 0, v5
	v_cndmask_b32_e64 v96, v33, v4, s0
; %bb.1455:                             ;   in Loop: Header=BB430_1187 Depth=1
	s_or_b32 exec_lo, exec_lo, s9
	v_lshlrev_b32_e32 v4, 16, v32
                                        ; implicit-def: $vgpr97
	s_delay_alu instid0(VALU_DEP_1) | instskip(NEXT) | instid1(VALU_DEP_1)
	v_mul_f32_e32 v4, v81, v4
	v_and_b32_e32 v5, 0x7f800000, v4
	s_delay_alu instid0(VALU_DEP_1) | instskip(NEXT) | instid1(VALU_DEP_1)
	v_cmp_ne_u32_e64 s0, 0x7f800000, v5
	s_and_saveexec_b32 s9, s0
	s_delay_alu instid0(SALU_CYCLE_1)
	s_xor_b32 s0, exec_lo, s9
; %bb.1456:                             ;   in Loop: Header=BB430_1187 Depth=1
	v_bfe_u32 v5, v4, 16, 1
	s_delay_alu instid0(VALU_DEP_1)
	v_add3_u32 v97, v4, v5, 0x7fff
                                        ; implicit-def: $vgpr4
; %bb.1457:                             ;   in Loop: Header=BB430_1187 Depth=1
	s_and_not1_saveexec_b32 s9, s0
; %bb.1458:                             ;   in Loop: Header=BB430_1187 Depth=1
	v_and_b32_e32 v5, 0xffff, v4
	v_or_b32_e32 v32, 0x10000, v4
	s_delay_alu instid0(VALU_DEP_2) | instskip(NEXT) | instid1(VALU_DEP_1)
	v_cmp_eq_u32_e64 s0, 0, v5
	v_cndmask_b32_e64 v97, v32, v4, s0
; %bb.1459:                             ;   in Loop: Header=BB430_1187 Depth=1
	s_or_b32 exec_lo, exec_lo, s9
	v_lshlrev_b32_e32 v4, 16, v9
                                        ; implicit-def: $vgpr98
	s_delay_alu instid0(VALU_DEP_1) | instskip(NEXT) | instid1(VALU_DEP_1)
	v_mul_f32_e32 v4, v82, v4
	v_and_b32_e32 v5, 0x7f800000, v4
	s_delay_alu instid0(VALU_DEP_1) | instskip(NEXT) | instid1(VALU_DEP_1)
	v_cmp_ne_u32_e64 s0, 0x7f800000, v5
	s_and_saveexec_b32 s9, s0
	s_delay_alu instid0(SALU_CYCLE_1)
	s_xor_b32 s0, exec_lo, s9
; %bb.1460:                             ;   in Loop: Header=BB430_1187 Depth=1
	v_bfe_u32 v5, v4, 16, 1
	s_delay_alu instid0(VALU_DEP_1)
	v_add3_u32 v98, v4, v5, 0x7fff
                                        ; implicit-def: $vgpr4
; %bb.1461:                             ;   in Loop: Header=BB430_1187 Depth=1
	s_and_not1_saveexec_b32 s9, s0
; %bb.1462:                             ;   in Loop: Header=BB430_1187 Depth=1
	v_and_b32_e32 v5, 0xffff, v4
	v_or_b32_e32 v9, 0x10000, v4
	s_delay_alu instid0(VALU_DEP_2) | instskip(NEXT) | instid1(VALU_DEP_1)
	v_cmp_eq_u32_e64 s0, 0, v5
	v_cndmask_b32_e64 v98, v9, v4, s0
; %bb.1463:                             ;   in Loop: Header=BB430_1187 Depth=1
	s_or_b32 exec_lo, exec_lo, s9
	v_lshlrev_b32_e32 v4, 16, v7
                                        ; implicit-def: $vgpr99
	s_delay_alu instid0(VALU_DEP_1) | instskip(NEXT) | instid1(VALU_DEP_1)
	v_mul_f32_e32 v4, v83, v4
	v_and_b32_e32 v5, 0x7f800000, v4
	s_delay_alu instid0(VALU_DEP_1) | instskip(NEXT) | instid1(VALU_DEP_1)
	v_cmp_ne_u32_e64 s0, 0x7f800000, v5
	s_and_saveexec_b32 s9, s0
	s_delay_alu instid0(SALU_CYCLE_1)
	s_xor_b32 s0, exec_lo, s9
; %bb.1464:                             ;   in Loop: Header=BB430_1187 Depth=1
	v_bfe_u32 v5, v4, 16, 1
	s_delay_alu instid0(VALU_DEP_1)
	v_add3_u32 v99, v4, v5, 0x7fff
                                        ; implicit-def: $vgpr4
; %bb.1465:                             ;   in Loop: Header=BB430_1187 Depth=1
	s_and_not1_saveexec_b32 s9, s0
; %bb.1466:                             ;   in Loop: Header=BB430_1187 Depth=1
	v_and_b32_e32 v5, 0xffff, v4
	v_or_b32_e32 v7, 0x10000, v4
	s_delay_alu instid0(VALU_DEP_2) | instskip(NEXT) | instid1(VALU_DEP_1)
	v_cmp_eq_u32_e64 s0, 0, v5
	v_cndmask_b32_e64 v99, v7, v4, s0
; %bb.1467:                             ;   in Loop: Header=BB430_1187 Depth=1
	s_or_b32 exec_lo, exec_lo, s9
	v_lshlrev_b32_e32 v4, 16, v6
                                        ; implicit-def: $vgpr100
	s_delay_alu instid0(VALU_DEP_1) | instskip(NEXT) | instid1(VALU_DEP_1)
	v_mul_f32_e32 v4, v84, v4
	v_and_b32_e32 v5, 0x7f800000, v4
	s_delay_alu instid0(VALU_DEP_1) | instskip(NEXT) | instid1(VALU_DEP_1)
	v_cmp_ne_u32_e64 s0, 0x7f800000, v5
	s_and_saveexec_b32 s9, s0
	s_delay_alu instid0(SALU_CYCLE_1)
	s_xor_b32 s0, exec_lo, s9
; %bb.1468:                             ;   in Loop: Header=BB430_1187 Depth=1
	v_bfe_u32 v5, v4, 16, 1
	s_delay_alu instid0(VALU_DEP_1)
	v_add3_u32 v100, v4, v5, 0x7fff
                                        ; implicit-def: $vgpr4
; %bb.1469:                             ;   in Loop: Header=BB430_1187 Depth=1
	s_and_not1_saveexec_b32 s9, s0
; %bb.1470:                             ;   in Loop: Header=BB430_1187 Depth=1
	v_and_b32_e32 v5, 0xffff, v4
	v_or_b32_e32 v6, 0x10000, v4
	s_delay_alu instid0(VALU_DEP_2) | instskip(NEXT) | instid1(VALU_DEP_1)
	v_cmp_eq_u32_e64 s0, 0, v5
	v_cndmask_b32_e64 v100, v6, v4, s0
; %bb.1471:                             ;   in Loop: Header=BB430_1187 Depth=1
	s_or_b32 exec_lo, exec_lo, s9
	v_lshlrev_b32_e32 v3, 16, v3
                                        ; implicit-def: $vgpr101
	s_delay_alu instid0(VALU_DEP_1) | instskip(NEXT) | instid1(VALU_DEP_1)
	v_mul_f32_e32 v3, v85, v3
	v_and_b32_e32 v4, 0x7f800000, v3
	s_delay_alu instid0(VALU_DEP_1) | instskip(NEXT) | instid1(VALU_DEP_1)
	v_cmp_ne_u32_e64 s0, 0x7f800000, v4
	s_and_saveexec_b32 s9, s0
	s_delay_alu instid0(SALU_CYCLE_1)
	s_xor_b32 s0, exec_lo, s9
; %bb.1472:                             ;   in Loop: Header=BB430_1187 Depth=1
	v_bfe_u32 v4, v3, 16, 1
	s_delay_alu instid0(VALU_DEP_1)
	v_add3_u32 v101, v3, v4, 0x7fff
                                        ; implicit-def: $vgpr3
; %bb.1473:                             ;   in Loop: Header=BB430_1187 Depth=1
	s_and_not1_saveexec_b32 s9, s0
; %bb.1474:                             ;   in Loop: Header=BB430_1187 Depth=1
	v_and_b32_e32 v4, 0xffff, v3
	v_or_b32_e32 v5, 0x10000, v3
	s_delay_alu instid0(VALU_DEP_2) | instskip(NEXT) | instid1(VALU_DEP_1)
	v_cmp_eq_u32_e64 s0, 0, v4
	v_cndmask_b32_e64 v101, v5, v3, s0
; %bb.1475:                             ;   in Loop: Header=BB430_1187 Depth=1
	s_or_b32 exec_lo, exec_lo, s9
	v_lshlrev_b32_e32 v2, 16, v2
                                        ; implicit-def: $vgpr102
	s_delay_alu instid0(VALU_DEP_1) | instskip(NEXT) | instid1(VALU_DEP_1)
	v_mul_f32_e32 v2, v86, v2
	v_and_b32_e32 v3, 0x7f800000, v2
	s_delay_alu instid0(VALU_DEP_1) | instskip(NEXT) | instid1(VALU_DEP_1)
	v_cmp_ne_u32_e64 s0, 0x7f800000, v3
	s_and_saveexec_b32 s9, s0
	s_delay_alu instid0(SALU_CYCLE_1)
	s_xor_b32 s0, exec_lo, s9
; %bb.1476:                             ;   in Loop: Header=BB430_1187 Depth=1
	v_bfe_u32 v3, v2, 16, 1
	s_delay_alu instid0(VALU_DEP_1)
	v_add3_u32 v102, v2, v3, 0x7fff
                                        ; implicit-def: $vgpr2
; %bb.1477:                             ;   in Loop: Header=BB430_1187 Depth=1
	s_and_not1_saveexec_b32 s9, s0
; %bb.1478:                             ;   in Loop: Header=BB430_1187 Depth=1
	v_and_b32_e32 v3, 0xffff, v2
	v_or_b32_e32 v4, 0x10000, v2
	s_delay_alu instid0(VALU_DEP_2) | instskip(NEXT) | instid1(VALU_DEP_1)
	v_cmp_eq_u32_e64 s0, 0, v3
	v_cndmask_b32_e64 v102, v4, v2, s0
; %bb.1479:                             ;   in Loop: Header=BB430_1187 Depth=1
	s_or_b32 exec_lo, exec_lo, s9
	flat_load_b64 v[2:3], v[0:1] offset:512
	s_mov_b32 s9, exec_lo
	s_waitcnt vmcnt(0) lgkmcnt(0)
	v_dual_mov_b32 v4, 0 :: v_dual_and_b32 v5, 0xff, v2
	s_delay_alu instid0(VALU_DEP_1)
	v_cmpx_ne_u16_e32 0, v5
	s_cbranch_execz .LBB430_1487
; %bb.1480:                             ;   in Loop: Header=BB430_1187 Depth=1
	v_bfrev_b32_e32 v4, 1
	s_mov_b32 s12, exec_lo
	v_cmpx_ne_u16_e32 0x80, v5
	s_cbranch_execz .LBB430_1486
; %bb.1481:                             ;   in Loop: Header=BB430_1187 Depth=1
	v_and_b32_e32 v5, 0x7f, v2
	v_mov_b32_e32 v4, 0x7f800001
	s_mov_b32 s13, exec_lo
	s_delay_alu instid0(VALU_DEP_2)
	v_cmpx_ne_u32_e32 0x7f, v5
	s_cbranch_execz .LBB430_1485
; %bb.1482:                             ;   in Loop: Header=BB430_1187 Depth=1
	v_lshrrev_b32_e32 v4, 3, v5
	v_dual_mov_b32 v7, v3 :: v_dual_mov_b32 v6, v2
	s_mov_b32 s15, exec_lo
	v_cmpx_gt_u32_e32 8, v5
; %bb.1483:                             ;   in Loop: Header=BB430_1187 Depth=1
	v_and_b32_e32 v4, 7, v2
	s_delay_alu instid0(VALU_DEP_1) | instskip(NEXT) | instid1(VALU_DEP_1)
	v_clz_i32_u32_e32 v4, v4
	v_min_u32_e32 v4, 32, v4
	s_delay_alu instid0(VALU_DEP_1) | instskip(SKIP_1) | instid1(VALU_DEP_2)
	v_subrev_nc_u32_e32 v5, 28, v4
	v_sub_nc_u32_e32 v4, 29, v4
	v_lshlrev_b64 v[6:7], v5, v[2:3]
; %bb.1484:                             ;   in Loop: Header=BB430_1187 Depth=1
	s_or_b32 exec_lo, exec_lo, s15
	s_delay_alu instid0(VALU_DEP_1) | instskip(SKIP_2) | instid1(VALU_DEP_3)
	v_lshlrev_b32_e32 v5, 20, v6
	v_lshlrev_b32_e32 v6, 24, v2
	v_lshl_add_u32 v4, v4, 23, 0x3c000000
	v_and_b32_e32 v5, 0x700000, v5
	s_delay_alu instid0(VALU_DEP_3) | instskip(NEXT) | instid1(VALU_DEP_1)
	v_and_b32_e32 v6, 0x80000000, v6
	v_or3_b32 v4, v5, v6, v4
.LBB430_1485:                           ;   in Loop: Header=BB430_1187 Depth=1
	s_or_b32 exec_lo, exec_lo, s13
.LBB430_1486:                           ;   in Loop: Header=BB430_1187 Depth=1
	s_delay_alu instid0(SALU_CYCLE_1)
	s_or_b32 exec_lo, exec_lo, s12
.LBB430_1487:                           ;   in Loop: Header=BB430_1187 Depth=1
	s_delay_alu instid0(SALU_CYCLE_1) | instskip(NEXT) | instid1(VALU_DEP_1)
	s_or_b32 exec_lo, exec_lo, s9
	v_mul_f32_e32 v5, v26, v4
	s_delay_alu instid0(VALU_DEP_1) | instskip(NEXT) | instid1(VALU_DEP_1)
	v_and_b32_e32 v4, 0x7f800000, v5
	v_cmp_ne_u32_e64 s0, 0x7f800000, v4
                                        ; implicit-def: $vgpr4
	s_delay_alu instid0(VALU_DEP_1) | instskip(NEXT) | instid1(SALU_CYCLE_1)
	s_and_saveexec_b32 s9, s0
	s_xor_b32 s0, exec_lo, s9
; %bb.1488:                             ;   in Loop: Header=BB430_1187 Depth=1
	v_bfe_u32 v4, v5, 16, 1
	s_delay_alu instid0(VALU_DEP_1)
	v_add3_u32 v4, v5, v4, 0x7fff
                                        ; implicit-def: $vgpr5
; %bb.1489:                             ;   in Loop: Header=BB430_1187 Depth=1
	s_and_not1_saveexec_b32 s9, s0
; %bb.1490:                             ;   in Loop: Header=BB430_1187 Depth=1
	v_and_b32_e32 v4, 0xffff, v5
	v_or_b32_e32 v6, 0x10000, v5
	s_delay_alu instid0(VALU_DEP_2) | instskip(NEXT) | instid1(VALU_DEP_1)
	v_cmp_eq_u32_e64 s0, 0, v4
	v_cndmask_b32_e64 v4, v6, v5, s0
; %bb.1491:                             ;   in Loop: Header=BB430_1187 Depth=1
	s_or_b32 exec_lo, exec_lo, s9
	v_lshrrev_b16 v6, 8, v2
	v_mov_b32_e32 v5, 0
	s_mov_b32 s9, exec_lo
	s_delay_alu instid0(VALU_DEP_2)
	v_cmpx_ne_u16_e32 0, v6
	s_cbranch_execz .LBB430_1499
; %bb.1492:                             ;   in Loop: Header=BB430_1187 Depth=1
	v_bfrev_b32_e32 v5, 1
	s_mov_b32 s12, exec_lo
	v_cmpx_ne_u16_e32 0x80, v6
	s_cbranch_execz .LBB430_1498
; %bb.1493:                             ;   in Loop: Header=BB430_1187 Depth=1
	v_and_b32_e32 v7, 0xffff, v6
	v_mov_b32_e32 v5, 0x7f800001
	s_mov_b32 s13, exec_lo
	s_delay_alu instid0(VALU_DEP_2) | instskip(NEXT) | instid1(VALU_DEP_1)
	v_and_b32_e32 v6, 0x7f, v7
	v_cmpx_ne_u32_e32 0x7f, v6
	s_cbranch_execz .LBB430_1497
; %bb.1494:                             ;   in Loop: Header=BB430_1187 Depth=1
	v_and_b32_e32 v9, 7, v7
	v_lshrrev_b32_e32 v5, 3, v6
	s_mov_b32 s15, exec_lo
	v_cmpx_gt_u32_e32 8, v6
; %bb.1495:                             ;   in Loop: Header=BB430_1187 Depth=1
	s_delay_alu instid0(VALU_DEP_3) | instskip(NEXT) | instid1(VALU_DEP_1)
	v_clz_i32_u32_e32 v5, v9
	v_min_u32_e32 v5, 32, v5
	s_delay_alu instid0(VALU_DEP_1) | instskip(SKIP_1) | instid1(VALU_DEP_2)
	v_subrev_nc_u32_e32 v6, 28, v5
	v_sub_nc_u32_e32 v5, 29, v5
	v_lshlrev_b64 v[6:7], v6, v[9:10]
	s_delay_alu instid0(VALU_DEP_1)
	v_and_b32_e32 v9, 7, v6
; %bb.1496:                             ;   in Loop: Header=BB430_1187 Depth=1
	s_or_b32 exec_lo, exec_lo, s15
	v_lshlrev_b32_e32 v6, 16, v2
	s_delay_alu instid0(VALU_DEP_2) | instskip(SKIP_1) | instid1(VALU_DEP_3)
	v_lshlrev_b32_e32 v7, 20, v9
	v_lshl_add_u32 v5, v5, 23, 0x3c000000
	v_and_b32_e32 v6, 0x80000000, v6
	s_delay_alu instid0(VALU_DEP_1)
	v_or3_b32 v5, v7, v6, v5
.LBB430_1497:                           ;   in Loop: Header=BB430_1187 Depth=1
	s_or_b32 exec_lo, exec_lo, s13
.LBB430_1498:                           ;   in Loop: Header=BB430_1187 Depth=1
	s_delay_alu instid0(SALU_CYCLE_1)
	s_or_b32 exec_lo, exec_lo, s12
.LBB430_1499:                           ;   in Loop: Header=BB430_1187 Depth=1
	s_delay_alu instid0(SALU_CYCLE_1) | instskip(NEXT) | instid1(VALU_DEP_1)
	s_or_b32 exec_lo, exec_lo, s9
	v_mul_f32_e32 v6, v26, v5
	s_delay_alu instid0(VALU_DEP_1) | instskip(NEXT) | instid1(VALU_DEP_1)
	v_and_b32_e32 v5, 0x7f800000, v6
	v_cmp_ne_u32_e64 s0, 0x7f800000, v5
                                        ; implicit-def: $vgpr5
	s_delay_alu instid0(VALU_DEP_1) | instskip(NEXT) | instid1(SALU_CYCLE_1)
	s_and_saveexec_b32 s9, s0
	s_xor_b32 s0, exec_lo, s9
; %bb.1500:                             ;   in Loop: Header=BB430_1187 Depth=1
	v_bfe_u32 v5, v6, 16, 1
	s_delay_alu instid0(VALU_DEP_1)
	v_add3_u32 v5, v6, v5, 0x7fff
                                        ; implicit-def: $vgpr6
; %bb.1501:                             ;   in Loop: Header=BB430_1187 Depth=1
	s_and_not1_saveexec_b32 s9, s0
; %bb.1502:                             ;   in Loop: Header=BB430_1187 Depth=1
	v_and_b32_e32 v5, 0xffff, v6
	v_or_b32_e32 v7, 0x10000, v6
	s_delay_alu instid0(VALU_DEP_2) | instskip(NEXT) | instid1(VALU_DEP_1)
	v_cmp_eq_u32_e64 s0, 0, v5
	v_cndmask_b32_e64 v5, v7, v6, s0
; %bb.1503:                             ;   in Loop: Header=BB430_1187 Depth=1
	s_or_b32 exec_lo, exec_lo, s9
	v_lshrrev_b32_e32 v6, 16, v2
	v_mov_b32_e32 v7, 0
	s_mov_b32 s9, exec_lo
	s_delay_alu instid0(VALU_DEP_2) | instskip(NEXT) | instid1(VALU_DEP_1)
	v_and_b32_e32 v9, 0xff, v6
	v_cmpx_ne_u16_e32 0, v9
	s_cbranch_execz .LBB430_1511
; %bb.1504:                             ;   in Loop: Header=BB430_1187 Depth=1
	v_bfrev_b32_e32 v7, 1
	s_mov_b32 s12, exec_lo
	v_cmpx_ne_u16_e32 0x80, v9
	s_cbranch_execz .LBB430_1510
; %bb.1505:                             ;   in Loop: Header=BB430_1187 Depth=1
	v_bfe_u32 v32, v2, 16, 7
	v_mov_b32_e32 v7, 0x7f800001
	s_mov_b32 s13, exec_lo
	s_delay_alu instid0(VALU_DEP_2)
	v_cmpx_ne_u32_e32 0x7f, v32
	s_cbranch_execz .LBB430_1509
; %bb.1506:                             ;   in Loop: Header=BB430_1187 Depth=1
	v_and_b32_e32 v9, 7, v6
	v_lshrrev_b32_e32 v7, 3, v32
	s_mov_b32 s15, exec_lo
	v_cmpx_gt_u32_e32 8, v32
; %bb.1507:                             ;   in Loop: Header=BB430_1187 Depth=1
	s_delay_alu instid0(VALU_DEP_3) | instskip(NEXT) | instid1(VALU_DEP_1)
	v_clz_i32_u32_e32 v7, v9
	v_min_u32_e32 v7, 32, v7
	s_delay_alu instid0(VALU_DEP_1) | instskip(SKIP_1) | instid1(VALU_DEP_2)
	v_subrev_nc_u32_e32 v32, 28, v7
	v_sub_nc_u32_e32 v7, 29, v7
	v_lshlrev_b64 v[32:33], v32, v[9:10]
	s_delay_alu instid0(VALU_DEP_1)
	v_and_b32_e32 v9, 7, v32
; %bb.1508:                             ;   in Loop: Header=BB430_1187 Depth=1
	s_or_b32 exec_lo, exec_lo, s15
	v_lshlrev_b32_e32 v6, 24, v6
	s_delay_alu instid0(VALU_DEP_2) | instskip(SKIP_1) | instid1(VALU_DEP_3)
	v_lshlrev_b32_e32 v9, 20, v9
	v_lshl_add_u32 v7, v7, 23, 0x3c000000
	v_and_b32_e32 v6, 0x80000000, v6
	s_delay_alu instid0(VALU_DEP_1)
	v_or3_b32 v7, v9, v6, v7
.LBB430_1509:                           ;   in Loop: Header=BB430_1187 Depth=1
	s_or_b32 exec_lo, exec_lo, s13
.LBB430_1510:                           ;   in Loop: Header=BB430_1187 Depth=1
	s_delay_alu instid0(SALU_CYCLE_1)
	s_or_b32 exec_lo, exec_lo, s12
.LBB430_1511:                           ;   in Loop: Header=BB430_1187 Depth=1
	s_delay_alu instid0(SALU_CYCLE_1) | instskip(NEXT) | instid1(VALU_DEP_1)
	s_or_b32 exec_lo, exec_lo, s9
	v_mul_f32_e32 v6, v26, v7
                                        ; implicit-def: $vgpr32
	s_delay_alu instid0(VALU_DEP_1) | instskip(NEXT) | instid1(VALU_DEP_1)
	v_and_b32_e32 v7, 0x7f800000, v6
	v_cmp_ne_u32_e64 s0, 0x7f800000, v7
	s_delay_alu instid0(VALU_DEP_1) | instskip(NEXT) | instid1(SALU_CYCLE_1)
	s_and_saveexec_b32 s9, s0
	s_xor_b32 s0, exec_lo, s9
; %bb.1512:                             ;   in Loop: Header=BB430_1187 Depth=1
	v_bfe_u32 v7, v6, 16, 1
	s_delay_alu instid0(VALU_DEP_1)
	v_add3_u32 v32, v6, v7, 0x7fff
                                        ; implicit-def: $vgpr6
; %bb.1513:                             ;   in Loop: Header=BB430_1187 Depth=1
	s_and_not1_saveexec_b32 s9, s0
; %bb.1514:                             ;   in Loop: Header=BB430_1187 Depth=1
	v_and_b32_e32 v7, 0xffff, v6
	v_or_b32_e32 v9, 0x10000, v6
	s_delay_alu instid0(VALU_DEP_2) | instskip(NEXT) | instid1(VALU_DEP_1)
	v_cmp_eq_u32_e64 s0, 0, v7
	v_cndmask_b32_e64 v32, v9, v6, s0
; %bb.1515:                             ;   in Loop: Header=BB430_1187 Depth=1
	s_or_b32 exec_lo, exec_lo, s9
	v_mov_b32_e32 v7, 0
	s_mov_b32 s9, exec_lo
	v_cmpx_lt_u32_e32 0xffffff, v2
	s_cbranch_execz .LBB430_1523
; %bb.1516:                             ;   in Loop: Header=BB430_1187 Depth=1
	v_lshrrev_b32_e32 v6, 24, v2
	v_bfrev_b32_e32 v7, 1
	s_mov_b32 s12, exec_lo
	s_delay_alu instid0(VALU_DEP_2)
	v_cmpx_ne_u32_e32 0x80, v6
	s_cbranch_execz .LBB430_1522
; %bb.1517:                             ;   in Loop: Header=BB430_1187 Depth=1
	v_bfe_u32 v33, v2, 24, 7
	v_mov_b32_e32 v7, 0x7f800001
	s_mov_b32 s13, exec_lo
	s_delay_alu instid0(VALU_DEP_2)
	v_cmpx_ne_u32_e32 0x7f, v33
	s_cbranch_execz .LBB430_1521
; %bb.1518:                             ;   in Loop: Header=BB430_1187 Depth=1
	v_and_b32_e32 v9, 7, v6
	v_lshrrev_b32_e32 v7, 3, v33
	s_mov_b32 s15, exec_lo
	v_cmpx_gt_u32_e32 8, v33
; %bb.1519:                             ;   in Loop: Header=BB430_1187 Depth=1
	s_delay_alu instid0(VALU_DEP_3) | instskip(NEXT) | instid1(VALU_DEP_1)
	v_clz_i32_u32_e32 v7, v9
	v_min_u32_e32 v7, 32, v7
	s_delay_alu instid0(VALU_DEP_1) | instskip(SKIP_1) | instid1(VALU_DEP_2)
	v_subrev_nc_u32_e32 v33, 28, v7
	v_sub_nc_u32_e32 v7, 29, v7
	v_lshlrev_b64 v[33:34], v33, v[9:10]
	s_delay_alu instid0(VALU_DEP_1)
	v_and_b32_e32 v9, 7, v33
; %bb.1520:                             ;   in Loop: Header=BB430_1187 Depth=1
	s_or_b32 exec_lo, exec_lo, s15
	v_lshlrev_b32_e32 v6, 24, v6
	s_delay_alu instid0(VALU_DEP_2) | instskip(SKIP_1) | instid1(VALU_DEP_3)
	v_lshlrev_b32_e32 v9, 20, v9
	v_lshl_add_u32 v7, v7, 23, 0x3c000000
	v_and_b32_e32 v6, 0x80000000, v6
	s_delay_alu instid0(VALU_DEP_1)
	v_or3_b32 v7, v9, v6, v7
.LBB430_1521:                           ;   in Loop: Header=BB430_1187 Depth=1
	s_or_b32 exec_lo, exec_lo, s13
.LBB430_1522:                           ;   in Loop: Header=BB430_1187 Depth=1
	s_delay_alu instid0(SALU_CYCLE_1)
	s_or_b32 exec_lo, exec_lo, s12
.LBB430_1523:                           ;   in Loop: Header=BB430_1187 Depth=1
	s_delay_alu instid0(SALU_CYCLE_1) | instskip(NEXT) | instid1(VALU_DEP_1)
	s_or_b32 exec_lo, exec_lo, s9
	v_mul_f32_e32 v6, v26, v7
                                        ; implicit-def: $vgpr33
	s_delay_alu instid0(VALU_DEP_1) | instskip(NEXT) | instid1(VALU_DEP_1)
	v_and_b32_e32 v7, 0x7f800000, v6
	v_cmp_ne_u32_e64 s0, 0x7f800000, v7
	s_delay_alu instid0(VALU_DEP_1) | instskip(NEXT) | instid1(SALU_CYCLE_1)
	s_and_saveexec_b32 s9, s0
	s_xor_b32 s0, exec_lo, s9
; %bb.1524:                             ;   in Loop: Header=BB430_1187 Depth=1
	v_bfe_u32 v7, v6, 16, 1
	s_delay_alu instid0(VALU_DEP_1)
	v_add3_u32 v33, v6, v7, 0x7fff
                                        ; implicit-def: $vgpr6
; %bb.1525:                             ;   in Loop: Header=BB430_1187 Depth=1
	s_and_not1_saveexec_b32 s9, s0
; %bb.1526:                             ;   in Loop: Header=BB430_1187 Depth=1
	v_and_b32_e32 v7, 0xffff, v6
	v_or_b32_e32 v9, 0x10000, v6
	s_delay_alu instid0(VALU_DEP_2) | instskip(NEXT) | instid1(VALU_DEP_1)
	v_cmp_eq_u32_e64 s0, 0, v7
	v_cndmask_b32_e64 v33, v9, v6, s0
; %bb.1527:                             ;   in Loop: Header=BB430_1187 Depth=1
	s_or_b32 exec_lo, exec_lo, s9
	v_dual_mov_b32 v6, 0 :: v_dual_and_b32 v7, 0xff, v3
	v_mov_b32_e32 v9, v3
	s_mov_b32 s9, exec_lo
	s_delay_alu instid0(VALU_DEP_2)
	v_cmpx_ne_u16_e32 0, v7
	s_cbranch_execz .LBB430_1535
; %bb.1528:                             ;   in Loop: Header=BB430_1187 Depth=1
	v_bfrev_b32_e32 v6, 1
	s_mov_b32 s12, exec_lo
	v_cmpx_ne_u16_e32 0x80, v7
	s_cbranch_execz .LBB430_1534
; %bb.1529:                             ;   in Loop: Header=BB430_1187 Depth=1
	v_and_b32_e32 v7, 0x7f, v3
	v_mov_b32_e32 v6, 0x7f800001
	s_mov_b32 s13, exec_lo
	s_delay_alu instid0(VALU_DEP_2)
	v_cmpx_ne_u32_e32 0x7f, v7
	s_cbranch_execz .LBB430_1533
; %bb.1530:                             ;   in Loop: Header=BB430_1187 Depth=1
	v_lshrrev_b32_e32 v34, 3, v7
	v_cmp_gt_u32_e64 s0, 8, v7
	v_dual_mov_b32 v6, v9 :: v_dual_mov_b32 v7, v10
	s_delay_alu instid0(VALU_DEP_2)
	s_and_saveexec_b32 s15, s0
; %bb.1531:                             ;   in Loop: Header=BB430_1187 Depth=1
	v_and_b32_e32 v6, 7, v3
	s_delay_alu instid0(VALU_DEP_1) | instskip(NEXT) | instid1(VALU_DEP_1)
	v_clz_i32_u32_e32 v6, v6
	v_min_u32_e32 v34, 32, v6
	s_delay_alu instid0(VALU_DEP_1) | instskip(SKIP_1) | instid1(VALU_DEP_2)
	v_subrev_nc_u32_e32 v6, 28, v34
	v_sub_nc_u32_e32 v34, 29, v34
	v_lshlrev_b64 v[6:7], v6, v[9:10]
; %bb.1532:                             ;   in Loop: Header=BB430_1187 Depth=1
	s_or_b32 exec_lo, exec_lo, s15
	s_delay_alu instid0(VALU_DEP_1) | instskip(SKIP_2) | instid1(VALU_DEP_3)
	v_lshlrev_b32_e32 v6, 20, v6
	v_lshlrev_b32_e32 v7, 24, v9
	v_lshl_add_u32 v34, v34, 23, 0x3c000000
	v_and_b32_e32 v6, 0x700000, v6
	s_delay_alu instid0(VALU_DEP_3) | instskip(NEXT) | instid1(VALU_DEP_1)
	v_and_b32_e32 v7, 0x80000000, v7
	v_or3_b32 v6, v6, v7, v34
.LBB430_1533:                           ;   in Loop: Header=BB430_1187 Depth=1
	s_or_b32 exec_lo, exec_lo, s13
.LBB430_1534:                           ;   in Loop: Header=BB430_1187 Depth=1
	s_delay_alu instid0(SALU_CYCLE_1)
	s_or_b32 exec_lo, exec_lo, s12
.LBB430_1535:                           ;   in Loop: Header=BB430_1187 Depth=1
	s_delay_alu instid0(SALU_CYCLE_1) | instskip(NEXT) | instid1(VALU_DEP_1)
	s_or_b32 exec_lo, exec_lo, s9
	v_mul_f32_e32 v6, v26, v6
                                        ; implicit-def: $vgpr34
	s_delay_alu instid0(VALU_DEP_1) | instskip(NEXT) | instid1(VALU_DEP_1)
	v_and_b32_e32 v7, 0x7f800000, v6
	v_cmp_ne_u32_e64 s0, 0x7f800000, v7
	s_delay_alu instid0(VALU_DEP_1) | instskip(NEXT) | instid1(SALU_CYCLE_1)
	s_and_saveexec_b32 s9, s0
	s_xor_b32 s0, exec_lo, s9
; %bb.1536:                             ;   in Loop: Header=BB430_1187 Depth=1
	v_bfe_u32 v7, v6, 16, 1
	s_delay_alu instid0(VALU_DEP_1)
	v_add3_u32 v34, v6, v7, 0x7fff
                                        ; implicit-def: $vgpr6
; %bb.1537:                             ;   in Loop: Header=BB430_1187 Depth=1
	s_and_not1_saveexec_b32 s9, s0
; %bb.1538:                             ;   in Loop: Header=BB430_1187 Depth=1
	v_and_b32_e32 v7, 0xffff, v6
	v_or_b32_e32 v34, 0x10000, v6
	s_delay_alu instid0(VALU_DEP_2) | instskip(NEXT) | instid1(VALU_DEP_1)
	v_cmp_eq_u32_e64 s0, 0, v7
	v_cndmask_b32_e64 v34, v34, v6, s0
; %bb.1539:                             ;   in Loop: Header=BB430_1187 Depth=1
	s_or_b32 exec_lo, exec_lo, s9
	v_lshrrev_b16 v7, 8, v9
	v_mov_b32_e32 v6, 0
	s_mov_b32 s9, exec_lo
	s_delay_alu instid0(VALU_DEP_2)
	v_cmpx_ne_u16_e32 0, v7
	s_cbranch_execz .LBB430_1547
; %bb.1540:                             ;   in Loop: Header=BB430_1187 Depth=1
	v_bfrev_b32_e32 v6, 1
	s_mov_b32 s12, exec_lo
	v_cmpx_ne_u16_e32 0x80, v7
	s_cbranch_execz .LBB430_1546
; %bb.1541:                             ;   in Loop: Header=BB430_1187 Depth=1
	v_and_b32_e32 v7, 0xffff, v7
	v_mov_b32_e32 v6, 0x7f800001
	s_mov_b32 s13, exec_lo
	s_delay_alu instid0(VALU_DEP_2) | instskip(NEXT) | instid1(VALU_DEP_1)
	v_and_b32_e32 v103, 0x7f, v7
	v_cmpx_ne_u32_e32 0x7f, v103
	s_cbranch_execz .LBB430_1545
; %bb.1542:                             ;   in Loop: Header=BB430_1187 Depth=1
	v_dual_mov_b32 v7, v10 :: v_dual_and_b32 v6, 7, v7
	v_lshrrev_b32_e32 v36, 3, v103
	s_mov_b32 s15, exec_lo
	v_cmpx_gt_u32_e32 8, v103
; %bb.1543:                             ;   in Loop: Header=BB430_1187 Depth=1
	s_delay_alu instid0(VALU_DEP_3) | instskip(NEXT) | instid1(VALU_DEP_1)
	v_clz_i32_u32_e32 v36, v6
	v_min_u32_e32 v36, 32, v36
	s_delay_alu instid0(VALU_DEP_1) | instskip(SKIP_1) | instid1(VALU_DEP_2)
	v_subrev_nc_u32_e32 v103, 28, v36
	v_sub_nc_u32_e32 v36, 29, v36
	v_lshlrev_b64 v[6:7], v103, v[6:7]
	s_delay_alu instid0(VALU_DEP_1)
	v_and_b32_e32 v6, 7, v6
; %bb.1544:                             ;   in Loop: Header=BB430_1187 Depth=1
	s_or_b32 exec_lo, exec_lo, s15
	v_lshlrev_b32_e32 v7, 16, v9
	s_delay_alu instid0(VALU_DEP_2) | instskip(SKIP_1) | instid1(VALU_DEP_3)
	v_lshlrev_b32_e32 v6, 20, v6
	v_lshl_add_u32 v9, v36, 23, 0x3c000000
	v_and_b32_e32 v7, 0x80000000, v7
	s_delay_alu instid0(VALU_DEP_1)
	v_or3_b32 v6, v6, v7, v9
.LBB430_1545:                           ;   in Loop: Header=BB430_1187 Depth=1
	s_or_b32 exec_lo, exec_lo, s13
.LBB430_1546:                           ;   in Loop: Header=BB430_1187 Depth=1
	s_delay_alu instid0(SALU_CYCLE_1)
	s_or_b32 exec_lo, exec_lo, s12
.LBB430_1547:                           ;   in Loop: Header=BB430_1187 Depth=1
	s_delay_alu instid0(SALU_CYCLE_1) | instskip(NEXT) | instid1(VALU_DEP_1)
	s_or_b32 exec_lo, exec_lo, s9
	v_mul_f32_e32 v7, v26, v6
	s_delay_alu instid0(VALU_DEP_1) | instskip(NEXT) | instid1(VALU_DEP_1)
	v_and_b32_e32 v6, 0x7f800000, v7
	v_cmp_ne_u32_e64 s0, 0x7f800000, v6
                                        ; implicit-def: $vgpr6
	s_delay_alu instid0(VALU_DEP_1) | instskip(NEXT) | instid1(SALU_CYCLE_1)
	s_and_saveexec_b32 s9, s0
	s_xor_b32 s0, exec_lo, s9
; %bb.1548:                             ;   in Loop: Header=BB430_1187 Depth=1
	v_bfe_u32 v6, v7, 16, 1
	s_delay_alu instid0(VALU_DEP_1)
	v_add3_u32 v6, v7, v6, 0x7fff
                                        ; implicit-def: $vgpr7
; %bb.1549:                             ;   in Loop: Header=BB430_1187 Depth=1
	s_and_not1_saveexec_b32 s9, s0
; %bb.1550:                             ;   in Loop: Header=BB430_1187 Depth=1
	v_and_b32_e32 v6, 0xffff, v7
	v_or_b32_e32 v9, 0x10000, v7
	s_delay_alu instid0(VALU_DEP_2) | instskip(NEXT) | instid1(VALU_DEP_1)
	v_cmp_eq_u32_e64 s0, 0, v6
	v_cndmask_b32_e64 v6, v9, v7, s0
; %bb.1551:                             ;   in Loop: Header=BB430_1187 Depth=1
	s_or_b32 exec_lo, exec_lo, s9
	v_lshrrev_b32_e32 v7, 16, v3
	s_mov_b32 s9, exec_lo
	s_delay_alu instid0(VALU_DEP_1) | instskip(NEXT) | instid1(VALU_DEP_1)
	v_dual_mov_b32 v9, 0 :: v_dual_and_b32 v36, 0xff, v7
	v_cmpx_ne_u16_e32 0, v36
	s_cbranch_execz .LBB430_1559
; %bb.1552:                             ;   in Loop: Header=BB430_1187 Depth=1
	v_bfrev_b32_e32 v9, 1
	s_mov_b32 s12, exec_lo
	v_cmpx_ne_u16_e32 0x80, v36
	s_cbranch_execz .LBB430_1558
; %bb.1553:                             ;   in Loop: Header=BB430_1187 Depth=1
	v_bfe_u32 v103, v3, 16, 7
	v_mov_b32_e32 v9, 0x7f800001
	s_mov_b32 s13, exec_lo
	s_delay_alu instid0(VALU_DEP_2)
	v_cmpx_ne_u32_e32 0x7f, v103
	s_cbranch_execz .LBB430_1557
; %bb.1554:                             ;   in Loop: Header=BB430_1187 Depth=1
	v_and_b32_e32 v9, 7, v7
	v_lshrrev_b32_e32 v36, 3, v103
	s_mov_b32 s15, exec_lo
	v_cmpx_gt_u32_e32 8, v103
; %bb.1555:                             ;   in Loop: Header=BB430_1187 Depth=1
	s_delay_alu instid0(VALU_DEP_3) | instskip(NEXT) | instid1(VALU_DEP_1)
	v_clz_i32_u32_e32 v36, v9
	v_min_u32_e32 v36, 32, v36
	s_delay_alu instid0(VALU_DEP_1) | instskip(SKIP_1) | instid1(VALU_DEP_2)
	v_subrev_nc_u32_e32 v103, 28, v36
	v_sub_nc_u32_e32 v36, 29, v36
	v_lshlrev_b64 v[112:113], v103, v[9:10]
	s_delay_alu instid0(VALU_DEP_1)
	v_and_b32_e32 v9, 7, v112
; %bb.1556:                             ;   in Loop: Header=BB430_1187 Depth=1
	s_or_b32 exec_lo, exec_lo, s15
	v_lshlrev_b32_e32 v7, 24, v7
	s_delay_alu instid0(VALU_DEP_2) | instskip(SKIP_1) | instid1(VALU_DEP_3)
	v_lshlrev_b32_e32 v9, 20, v9
	v_lshl_add_u32 v36, v36, 23, 0x3c000000
	v_and_b32_e32 v7, 0x80000000, v7
	s_delay_alu instid0(VALU_DEP_1)
	v_or3_b32 v9, v9, v7, v36
.LBB430_1557:                           ;   in Loop: Header=BB430_1187 Depth=1
	s_or_b32 exec_lo, exec_lo, s13
.LBB430_1558:                           ;   in Loop: Header=BB430_1187 Depth=1
	s_delay_alu instid0(SALU_CYCLE_1)
	s_or_b32 exec_lo, exec_lo, s12
.LBB430_1559:                           ;   in Loop: Header=BB430_1187 Depth=1
	s_delay_alu instid0(SALU_CYCLE_1) | instskip(NEXT) | instid1(VALU_DEP_1)
	s_or_b32 exec_lo, exec_lo, s9
	v_mul_f32_e32 v7, v26, v9
                                        ; implicit-def: $vgpr36
	s_delay_alu instid0(VALU_DEP_1) | instskip(NEXT) | instid1(VALU_DEP_1)
	v_and_b32_e32 v9, 0x7f800000, v7
	v_cmp_ne_u32_e64 s0, 0x7f800000, v9
	s_delay_alu instid0(VALU_DEP_1) | instskip(NEXT) | instid1(SALU_CYCLE_1)
	s_and_saveexec_b32 s9, s0
	s_xor_b32 s0, exec_lo, s9
; %bb.1560:                             ;   in Loop: Header=BB430_1187 Depth=1
	v_bfe_u32 v9, v7, 16, 1
	s_delay_alu instid0(VALU_DEP_1)
	v_add3_u32 v36, v7, v9, 0x7fff
                                        ; implicit-def: $vgpr7
; %bb.1561:                             ;   in Loop: Header=BB430_1187 Depth=1
	s_and_not1_saveexec_b32 s9, s0
; %bb.1562:                             ;   in Loop: Header=BB430_1187 Depth=1
	v_and_b32_e32 v9, 0xffff, v7
	v_or_b32_e32 v36, 0x10000, v7
	s_delay_alu instid0(VALU_DEP_2) | instskip(NEXT) | instid1(VALU_DEP_1)
	v_cmp_eq_u32_e64 s0, 0, v9
	v_cndmask_b32_e64 v36, v36, v7, s0
; %bb.1563:                             ;   in Loop: Header=BB430_1187 Depth=1
	s_or_b32 exec_lo, exec_lo, s9
	v_mov_b32_e32 v7, 0
	s_mov_b32 s9, exec_lo
	v_cmpx_lt_u64_e64 s[2:3], v[2:3]
	s_cbranch_execz .LBB430_1571
; %bb.1564:                             ;   in Loop: Header=BB430_1187 Depth=1
	v_lshrrev_b32_e32 v2, 24, v3
	v_bfrev_b32_e32 v7, 1
	s_mov_b32 s12, exec_lo
	s_delay_alu instid0(VALU_DEP_2)
	v_cmpx_ne_u32_e32 0x80, v2
	s_cbranch_execz .LBB430_1570
; %bb.1565:                             ;   in Loop: Header=BB430_1187 Depth=1
	v_bfe_u32 v103, v3, 24, 7
	v_mov_b32_e32 v7, 0x7f800001
	s_mov_b32 s13, exec_lo
	s_delay_alu instid0(VALU_DEP_2)
	v_cmpx_ne_u32_e32 0x7f, v103
	s_cbranch_execz .LBB430_1569
; %bb.1566:                             ;   in Loop: Header=BB430_1187 Depth=1
	v_and_b32_e32 v9, 7, v2
	v_lshrrev_b32_e32 v3, 3, v103
	s_mov_b32 s15, exec_lo
	v_cmpx_gt_u32_e32 8, v103
; %bb.1567:                             ;   in Loop: Header=BB430_1187 Depth=1
	s_delay_alu instid0(VALU_DEP_3) | instskip(NEXT) | instid1(VALU_DEP_1)
	v_clz_i32_u32_e32 v3, v9
	v_min_u32_e32 v3, 32, v3
	s_delay_alu instid0(VALU_DEP_1) | instskip(SKIP_1) | instid1(VALU_DEP_2)
	v_subrev_nc_u32_e32 v7, 28, v3
	v_sub_nc_u32_e32 v3, 29, v3
	v_lshlrev_b64 v[112:113], v7, v[9:10]
	s_delay_alu instid0(VALU_DEP_1)
	v_and_b32_e32 v9, 7, v112
; %bb.1568:                             ;   in Loop: Header=BB430_1187 Depth=1
	s_or_b32 exec_lo, exec_lo, s15
	v_lshlrev_b32_e32 v2, 24, v2
	s_delay_alu instid0(VALU_DEP_2) | instskip(SKIP_1) | instid1(VALU_DEP_3)
	v_lshlrev_b32_e32 v7, 20, v9
	v_lshl_add_u32 v3, v3, 23, 0x3c000000
	v_and_b32_e32 v2, 0x80000000, v2
	s_delay_alu instid0(VALU_DEP_1)
	v_or3_b32 v7, v7, v2, v3
.LBB430_1569:                           ;   in Loop: Header=BB430_1187 Depth=1
	s_or_b32 exec_lo, exec_lo, s13
.LBB430_1570:                           ;   in Loop: Header=BB430_1187 Depth=1
	s_delay_alu instid0(SALU_CYCLE_1)
	s_or_b32 exec_lo, exec_lo, s12
.LBB430_1571:                           ;   in Loop: Header=BB430_1187 Depth=1
	s_delay_alu instid0(SALU_CYCLE_1) | instskip(NEXT) | instid1(VALU_DEP_1)
	s_or_b32 exec_lo, exec_lo, s9
	v_mul_f32_e32 v3, v26, v7
	s_delay_alu instid0(VALU_DEP_1) | instskip(NEXT) | instid1(VALU_DEP_1)
	v_and_b32_e32 v2, 0x7f800000, v3
	v_cmp_ne_u32_e64 s0, 0x7f800000, v2
                                        ; implicit-def: $vgpr2
	s_delay_alu instid0(VALU_DEP_1) | instskip(NEXT) | instid1(SALU_CYCLE_1)
	s_and_saveexec_b32 s9, s0
	s_xor_b32 s0, exec_lo, s9
; %bb.1572:                             ;   in Loop: Header=BB430_1187 Depth=1
	v_bfe_u32 v2, v3, 16, 1
	s_delay_alu instid0(VALU_DEP_1)
	v_add3_u32 v2, v3, v2, 0x7fff
                                        ; implicit-def: $vgpr3
; %bb.1573:                             ;   in Loop: Header=BB430_1187 Depth=1
	s_and_not1_saveexec_b32 s9, s0
; %bb.1574:                             ;   in Loop: Header=BB430_1187 Depth=1
	v_and_b32_e32 v2, 0xffff, v3
	v_or_b32_e32 v7, 0x10000, v3
	s_delay_alu instid0(VALU_DEP_2) | instskip(NEXT) | instid1(VALU_DEP_1)
	v_cmp_eq_u32_e64 s0, 0, v2
	v_cndmask_b32_e64 v2, v7, v3, s0
; %bb.1575:                             ;   in Loop: Header=BB430_1187 Depth=1
	s_or_b32 exec_lo, exec_lo, s9
	v_lshrrev_b32_e32 v6, 16, v6
	v_lshrrev_b32_e32 v7, 16, v34
	v_lshrrev_b32_e32 v9, 16, v33
	v_lshrrev_b32_e32 v32, 16, v32
	v_lshrrev_b32_e32 v5, 16, v5
	v_lshrrev_b32_e32 v4, 16, v4
	v_lshrrev_b32_e32 v3, 16, v36
	v_lshrrev_b32_e32 v2, 16, v2
	s_and_saveexec_b32 s9, vcc_lo
	s_cbranch_execz .LBB430_1577
; %bb.1576:                             ;   in Loop: Header=BB430_1187 Depth=1
	v_cmp_lt_i32_e64 s0, v64, v35
	s_delay_alu instid0(VALU_DEP_1) | instskip(SKIP_1) | instid1(VALU_DEP_1)
	v_cndmask_b32_e64 v4, 0, v4, s0
	v_cmp_lt_i32_e64 s0, v70, v35
	v_cndmask_b32_e64 v5, 0, v5, s0
	v_cmp_lt_i32_e64 s0, v69, v35
	s_delay_alu instid0(VALU_DEP_1) | instskip(SKIP_1) | instid1(VALU_DEP_1)
	v_cndmask_b32_e64 v32, 0, v32, s0
	v_cmp_lt_i32_e64 s0, v68, v35
	v_cndmask_b32_e64 v9, 0, v9, s0
	;; [unrolled: 5-line block ×4, first 2 shown]
.LBB430_1577:                           ;   in Loop: Header=BB430_1187 Depth=1
	s_or_b32 exec_lo, exec_lo, s9
	v_lshlrev_b32_e32 v4, 16, v4
                                        ; implicit-def: $vgpr103
	s_delay_alu instid0(VALU_DEP_1) | instskip(NEXT) | instid1(VALU_DEP_1)
	v_mul_f32_e32 v4, v71, v4
	v_and_b32_e32 v33, 0x7f800000, v4
	s_delay_alu instid0(VALU_DEP_1) | instskip(NEXT) | instid1(VALU_DEP_1)
	v_cmp_ne_u32_e64 s0, 0x7f800000, v33
	s_and_saveexec_b32 s9, s0
	s_delay_alu instid0(SALU_CYCLE_1)
	s_xor_b32 s0, exec_lo, s9
; %bb.1578:                             ;   in Loop: Header=BB430_1187 Depth=1
	v_bfe_u32 v33, v4, 16, 1
	s_delay_alu instid0(VALU_DEP_1)
	v_add3_u32 v103, v4, v33, 0x7fff
                                        ; implicit-def: $vgpr4
; %bb.1579:                             ;   in Loop: Header=BB430_1187 Depth=1
	s_and_not1_saveexec_b32 s9, s0
; %bb.1580:                             ;   in Loop: Header=BB430_1187 Depth=1
	v_and_b32_e32 v33, 0xffff, v4
	v_or_b32_e32 v34, 0x10000, v4
	s_delay_alu instid0(VALU_DEP_2) | instskip(NEXT) | instid1(VALU_DEP_1)
	v_cmp_eq_u32_e64 s0, 0, v33
	v_cndmask_b32_e64 v103, v34, v4, s0
; %bb.1581:                             ;   in Loop: Header=BB430_1187 Depth=1
	s_or_b32 exec_lo, exec_lo, s9
	v_lshlrev_b32_e32 v4, 16, v5
                                        ; implicit-def: $vgpr112
	s_delay_alu instid0(VALU_DEP_1) | instskip(NEXT) | instid1(VALU_DEP_1)
	v_mul_f32_e32 v4, v80, v4
	v_and_b32_e32 v5, 0x7f800000, v4
	s_delay_alu instid0(VALU_DEP_1) | instskip(NEXT) | instid1(VALU_DEP_1)
	v_cmp_ne_u32_e64 s0, 0x7f800000, v5
	s_and_saveexec_b32 s9, s0
	s_delay_alu instid0(SALU_CYCLE_1)
	s_xor_b32 s0, exec_lo, s9
; %bb.1582:                             ;   in Loop: Header=BB430_1187 Depth=1
	v_bfe_u32 v5, v4, 16, 1
	s_delay_alu instid0(VALU_DEP_1)
	v_add3_u32 v112, v4, v5, 0x7fff
                                        ; implicit-def: $vgpr4
; %bb.1583:                             ;   in Loop: Header=BB430_1187 Depth=1
	s_and_not1_saveexec_b32 s9, s0
; %bb.1584:                             ;   in Loop: Header=BB430_1187 Depth=1
	v_and_b32_e32 v5, 0xffff, v4
	v_or_b32_e32 v33, 0x10000, v4
	s_delay_alu instid0(VALU_DEP_2) | instskip(NEXT) | instid1(VALU_DEP_1)
	v_cmp_eq_u32_e64 s0, 0, v5
	v_cndmask_b32_e64 v112, v33, v4, s0
; %bb.1585:                             ;   in Loop: Header=BB430_1187 Depth=1
	s_or_b32 exec_lo, exec_lo, s9
	v_lshlrev_b32_e32 v4, 16, v32
                                        ; implicit-def: $vgpr113
	s_delay_alu instid0(VALU_DEP_1) | instskip(NEXT) | instid1(VALU_DEP_1)
	v_mul_f32_e32 v4, v81, v4
	v_and_b32_e32 v5, 0x7f800000, v4
	s_delay_alu instid0(VALU_DEP_1) | instskip(NEXT) | instid1(VALU_DEP_1)
	v_cmp_ne_u32_e64 s0, 0x7f800000, v5
	s_and_saveexec_b32 s9, s0
	s_delay_alu instid0(SALU_CYCLE_1)
	s_xor_b32 s0, exec_lo, s9
; %bb.1586:                             ;   in Loop: Header=BB430_1187 Depth=1
	v_bfe_u32 v5, v4, 16, 1
	s_delay_alu instid0(VALU_DEP_1)
	v_add3_u32 v113, v4, v5, 0x7fff
                                        ; implicit-def: $vgpr4
; %bb.1587:                             ;   in Loop: Header=BB430_1187 Depth=1
	s_and_not1_saveexec_b32 s9, s0
; %bb.1588:                             ;   in Loop: Header=BB430_1187 Depth=1
	v_and_b32_e32 v5, 0xffff, v4
	v_or_b32_e32 v32, 0x10000, v4
	s_delay_alu instid0(VALU_DEP_2) | instskip(NEXT) | instid1(VALU_DEP_1)
	v_cmp_eq_u32_e64 s0, 0, v5
	v_cndmask_b32_e64 v113, v32, v4, s0
; %bb.1589:                             ;   in Loop: Header=BB430_1187 Depth=1
	s_or_b32 exec_lo, exec_lo, s9
	v_lshlrev_b32_e32 v4, 16, v9
                                        ; implicit-def: $vgpr114
	s_delay_alu instid0(VALU_DEP_1) | instskip(NEXT) | instid1(VALU_DEP_1)
	v_mul_f32_e32 v4, v82, v4
	v_and_b32_e32 v5, 0x7f800000, v4
	s_delay_alu instid0(VALU_DEP_1) | instskip(NEXT) | instid1(VALU_DEP_1)
	v_cmp_ne_u32_e64 s0, 0x7f800000, v5
	s_and_saveexec_b32 s9, s0
	s_delay_alu instid0(SALU_CYCLE_1)
	s_xor_b32 s0, exec_lo, s9
; %bb.1590:                             ;   in Loop: Header=BB430_1187 Depth=1
	v_bfe_u32 v5, v4, 16, 1
	s_delay_alu instid0(VALU_DEP_1)
	v_add3_u32 v114, v4, v5, 0x7fff
                                        ; implicit-def: $vgpr4
; %bb.1591:                             ;   in Loop: Header=BB430_1187 Depth=1
	s_and_not1_saveexec_b32 s9, s0
; %bb.1592:                             ;   in Loop: Header=BB430_1187 Depth=1
	v_and_b32_e32 v5, 0xffff, v4
	v_or_b32_e32 v9, 0x10000, v4
	s_delay_alu instid0(VALU_DEP_2) | instskip(NEXT) | instid1(VALU_DEP_1)
	v_cmp_eq_u32_e64 s0, 0, v5
	v_cndmask_b32_e64 v114, v9, v4, s0
; %bb.1593:                             ;   in Loop: Header=BB430_1187 Depth=1
	s_or_b32 exec_lo, exec_lo, s9
	v_lshlrev_b32_e32 v4, 16, v7
                                        ; implicit-def: $vgpr115
	s_delay_alu instid0(VALU_DEP_1) | instskip(NEXT) | instid1(VALU_DEP_1)
	v_mul_f32_e32 v4, v83, v4
	v_and_b32_e32 v5, 0x7f800000, v4
	s_delay_alu instid0(VALU_DEP_1) | instskip(NEXT) | instid1(VALU_DEP_1)
	v_cmp_ne_u32_e64 s0, 0x7f800000, v5
	s_and_saveexec_b32 s9, s0
	s_delay_alu instid0(SALU_CYCLE_1)
	s_xor_b32 s0, exec_lo, s9
; %bb.1594:                             ;   in Loop: Header=BB430_1187 Depth=1
	v_bfe_u32 v5, v4, 16, 1
	s_delay_alu instid0(VALU_DEP_1)
	v_add3_u32 v115, v4, v5, 0x7fff
                                        ; implicit-def: $vgpr4
; %bb.1595:                             ;   in Loop: Header=BB430_1187 Depth=1
	s_and_not1_saveexec_b32 s9, s0
; %bb.1596:                             ;   in Loop: Header=BB430_1187 Depth=1
	v_and_b32_e32 v5, 0xffff, v4
	v_or_b32_e32 v7, 0x10000, v4
	s_delay_alu instid0(VALU_DEP_2) | instskip(NEXT) | instid1(VALU_DEP_1)
	v_cmp_eq_u32_e64 s0, 0, v5
	v_cndmask_b32_e64 v115, v7, v4, s0
; %bb.1597:                             ;   in Loop: Header=BB430_1187 Depth=1
	s_or_b32 exec_lo, exec_lo, s9
	v_lshlrev_b32_e32 v4, 16, v6
                                        ; implicit-def: $vgpr116
	s_delay_alu instid0(VALU_DEP_1) | instskip(NEXT) | instid1(VALU_DEP_1)
	v_mul_f32_e32 v4, v84, v4
	v_and_b32_e32 v5, 0x7f800000, v4
	s_delay_alu instid0(VALU_DEP_1) | instskip(NEXT) | instid1(VALU_DEP_1)
	v_cmp_ne_u32_e64 s0, 0x7f800000, v5
	s_and_saveexec_b32 s9, s0
	s_delay_alu instid0(SALU_CYCLE_1)
	s_xor_b32 s0, exec_lo, s9
; %bb.1598:                             ;   in Loop: Header=BB430_1187 Depth=1
	v_bfe_u32 v5, v4, 16, 1
	s_delay_alu instid0(VALU_DEP_1)
	v_add3_u32 v116, v4, v5, 0x7fff
                                        ; implicit-def: $vgpr4
; %bb.1599:                             ;   in Loop: Header=BB430_1187 Depth=1
	s_and_not1_saveexec_b32 s9, s0
; %bb.1600:                             ;   in Loop: Header=BB430_1187 Depth=1
	v_and_b32_e32 v5, 0xffff, v4
	v_or_b32_e32 v6, 0x10000, v4
	s_delay_alu instid0(VALU_DEP_2) | instskip(NEXT) | instid1(VALU_DEP_1)
	v_cmp_eq_u32_e64 s0, 0, v5
	v_cndmask_b32_e64 v116, v6, v4, s0
; %bb.1601:                             ;   in Loop: Header=BB430_1187 Depth=1
	s_or_b32 exec_lo, exec_lo, s9
	v_lshlrev_b32_e32 v3, 16, v3
                                        ; implicit-def: $vgpr117
	s_delay_alu instid0(VALU_DEP_1) | instskip(NEXT) | instid1(VALU_DEP_1)
	v_mul_f32_e32 v3, v85, v3
	v_and_b32_e32 v4, 0x7f800000, v3
	s_delay_alu instid0(VALU_DEP_1) | instskip(NEXT) | instid1(VALU_DEP_1)
	v_cmp_ne_u32_e64 s0, 0x7f800000, v4
	s_and_saveexec_b32 s9, s0
	s_delay_alu instid0(SALU_CYCLE_1)
	s_xor_b32 s0, exec_lo, s9
; %bb.1602:                             ;   in Loop: Header=BB430_1187 Depth=1
	v_bfe_u32 v4, v3, 16, 1
	s_delay_alu instid0(VALU_DEP_1)
	v_add3_u32 v117, v3, v4, 0x7fff
                                        ; implicit-def: $vgpr3
; %bb.1603:                             ;   in Loop: Header=BB430_1187 Depth=1
	s_and_not1_saveexec_b32 s9, s0
; %bb.1604:                             ;   in Loop: Header=BB430_1187 Depth=1
	v_and_b32_e32 v4, 0xffff, v3
	v_or_b32_e32 v5, 0x10000, v3
	s_delay_alu instid0(VALU_DEP_2) | instskip(NEXT) | instid1(VALU_DEP_1)
	v_cmp_eq_u32_e64 s0, 0, v4
	v_cndmask_b32_e64 v117, v5, v3, s0
; %bb.1605:                             ;   in Loop: Header=BB430_1187 Depth=1
	s_or_b32 exec_lo, exec_lo, s9
	v_lshlrev_b32_e32 v2, 16, v2
                                        ; implicit-def: $vgpr118
	s_delay_alu instid0(VALU_DEP_1) | instskip(NEXT) | instid1(VALU_DEP_1)
	v_mul_f32_e32 v2, v86, v2
	v_and_b32_e32 v3, 0x7f800000, v2
	s_delay_alu instid0(VALU_DEP_1) | instskip(NEXT) | instid1(VALU_DEP_1)
	v_cmp_ne_u32_e64 s0, 0x7f800000, v3
	s_and_saveexec_b32 s9, s0
	s_delay_alu instid0(SALU_CYCLE_1)
	s_xor_b32 s0, exec_lo, s9
; %bb.1606:                             ;   in Loop: Header=BB430_1187 Depth=1
	v_bfe_u32 v3, v2, 16, 1
	s_delay_alu instid0(VALU_DEP_1)
	v_add3_u32 v118, v2, v3, 0x7fff
                                        ; implicit-def: $vgpr2
; %bb.1607:                             ;   in Loop: Header=BB430_1187 Depth=1
	s_and_not1_saveexec_b32 s9, s0
; %bb.1608:                             ;   in Loop: Header=BB430_1187 Depth=1
	v_and_b32_e32 v3, 0xffff, v2
	v_or_b32_e32 v4, 0x10000, v2
	s_delay_alu instid0(VALU_DEP_2) | instskip(NEXT) | instid1(VALU_DEP_1)
	v_cmp_eq_u32_e64 s0, 0, v3
	v_cndmask_b32_e64 v118, v4, v2, s0
; %bb.1609:                             ;   in Loop: Header=BB430_1187 Depth=1
	s_or_b32 exec_lo, exec_lo, s9
	flat_load_b64 v[2:3], v[0:1] offset:768
	s_mov_b32 s9, exec_lo
	s_waitcnt vmcnt(0) lgkmcnt(0)
	v_dual_mov_b32 v4, 0 :: v_dual_and_b32 v5, 0xff, v2
	s_delay_alu instid0(VALU_DEP_1)
	v_cmpx_ne_u16_e32 0, v5
	s_cbranch_execz .LBB430_1617
; %bb.1610:                             ;   in Loop: Header=BB430_1187 Depth=1
	v_bfrev_b32_e32 v4, 1
	s_mov_b32 s12, exec_lo
	v_cmpx_ne_u16_e32 0x80, v5
	s_cbranch_execz .LBB430_1616
; %bb.1611:                             ;   in Loop: Header=BB430_1187 Depth=1
	v_and_b32_e32 v5, 0x7f, v2
	v_mov_b32_e32 v4, 0x7f800001
	s_mov_b32 s13, exec_lo
	s_delay_alu instid0(VALU_DEP_2)
	v_cmpx_ne_u32_e32 0x7f, v5
	s_cbranch_execz .LBB430_1615
; %bb.1612:                             ;   in Loop: Header=BB430_1187 Depth=1
	v_lshrrev_b32_e32 v4, 3, v5
	v_dual_mov_b32 v7, v3 :: v_dual_mov_b32 v6, v2
	s_mov_b32 s15, exec_lo
	v_cmpx_gt_u32_e32 8, v5
; %bb.1613:                             ;   in Loop: Header=BB430_1187 Depth=1
	v_and_b32_e32 v4, 7, v2
	s_delay_alu instid0(VALU_DEP_1) | instskip(NEXT) | instid1(VALU_DEP_1)
	v_clz_i32_u32_e32 v4, v4
	v_min_u32_e32 v4, 32, v4
	s_delay_alu instid0(VALU_DEP_1) | instskip(SKIP_1) | instid1(VALU_DEP_2)
	v_subrev_nc_u32_e32 v5, 28, v4
	v_sub_nc_u32_e32 v4, 29, v4
	v_lshlrev_b64 v[6:7], v5, v[2:3]
; %bb.1614:                             ;   in Loop: Header=BB430_1187 Depth=1
	s_or_b32 exec_lo, exec_lo, s15
	s_delay_alu instid0(VALU_DEP_1) | instskip(SKIP_2) | instid1(VALU_DEP_3)
	v_lshlrev_b32_e32 v5, 20, v6
	v_lshlrev_b32_e32 v6, 24, v2
	v_lshl_add_u32 v4, v4, 23, 0x3c000000
	v_and_b32_e32 v5, 0x700000, v5
	s_delay_alu instid0(VALU_DEP_3) | instskip(NEXT) | instid1(VALU_DEP_1)
	v_and_b32_e32 v6, 0x80000000, v6
	v_or3_b32 v4, v5, v6, v4
.LBB430_1615:                           ;   in Loop: Header=BB430_1187 Depth=1
	s_or_b32 exec_lo, exec_lo, s13
.LBB430_1616:                           ;   in Loop: Header=BB430_1187 Depth=1
	s_delay_alu instid0(SALU_CYCLE_1)
	s_or_b32 exec_lo, exec_lo, s12
.LBB430_1617:                           ;   in Loop: Header=BB430_1187 Depth=1
	s_delay_alu instid0(SALU_CYCLE_1) | instskip(NEXT) | instid1(VALU_DEP_1)
	s_or_b32 exec_lo, exec_lo, s9
	v_mul_f32_e32 v5, v26, v4
	s_delay_alu instid0(VALU_DEP_1) | instskip(NEXT) | instid1(VALU_DEP_1)
	v_and_b32_e32 v4, 0x7f800000, v5
	v_cmp_ne_u32_e64 s0, 0x7f800000, v4
                                        ; implicit-def: $vgpr4
	s_delay_alu instid0(VALU_DEP_1) | instskip(NEXT) | instid1(SALU_CYCLE_1)
	s_and_saveexec_b32 s9, s0
	s_xor_b32 s0, exec_lo, s9
; %bb.1618:                             ;   in Loop: Header=BB430_1187 Depth=1
	v_bfe_u32 v4, v5, 16, 1
	s_delay_alu instid0(VALU_DEP_1)
	v_add3_u32 v4, v5, v4, 0x7fff
                                        ; implicit-def: $vgpr5
; %bb.1619:                             ;   in Loop: Header=BB430_1187 Depth=1
	s_and_not1_saveexec_b32 s9, s0
; %bb.1620:                             ;   in Loop: Header=BB430_1187 Depth=1
	v_and_b32_e32 v4, 0xffff, v5
	v_or_b32_e32 v6, 0x10000, v5
	s_delay_alu instid0(VALU_DEP_2) | instskip(NEXT) | instid1(VALU_DEP_1)
	v_cmp_eq_u32_e64 s0, 0, v4
	v_cndmask_b32_e64 v4, v6, v5, s0
; %bb.1621:                             ;   in Loop: Header=BB430_1187 Depth=1
	s_or_b32 exec_lo, exec_lo, s9
	v_lshrrev_b16 v6, 8, v2
	v_mov_b32_e32 v5, 0
	s_mov_b32 s9, exec_lo
	s_delay_alu instid0(VALU_DEP_2)
	v_cmpx_ne_u16_e32 0, v6
	s_cbranch_execz .LBB430_1629
; %bb.1622:                             ;   in Loop: Header=BB430_1187 Depth=1
	v_bfrev_b32_e32 v5, 1
	s_mov_b32 s12, exec_lo
	v_cmpx_ne_u16_e32 0x80, v6
	s_cbranch_execz .LBB430_1628
; %bb.1623:                             ;   in Loop: Header=BB430_1187 Depth=1
	v_and_b32_e32 v7, 0xffff, v6
	v_mov_b32_e32 v5, 0x7f800001
	s_mov_b32 s13, exec_lo
	s_delay_alu instid0(VALU_DEP_2) | instskip(NEXT) | instid1(VALU_DEP_1)
	v_and_b32_e32 v6, 0x7f, v7
	v_cmpx_ne_u32_e32 0x7f, v6
	s_cbranch_execz .LBB430_1627
; %bb.1624:                             ;   in Loop: Header=BB430_1187 Depth=1
	v_and_b32_e32 v9, 7, v7
	v_lshrrev_b32_e32 v5, 3, v6
	s_mov_b32 s15, exec_lo
	v_cmpx_gt_u32_e32 8, v6
; %bb.1625:                             ;   in Loop: Header=BB430_1187 Depth=1
	s_delay_alu instid0(VALU_DEP_3) | instskip(NEXT) | instid1(VALU_DEP_1)
	v_clz_i32_u32_e32 v5, v9
	v_min_u32_e32 v5, 32, v5
	s_delay_alu instid0(VALU_DEP_1) | instskip(SKIP_1) | instid1(VALU_DEP_2)
	v_subrev_nc_u32_e32 v6, 28, v5
	v_sub_nc_u32_e32 v5, 29, v5
	v_lshlrev_b64 v[6:7], v6, v[9:10]
	s_delay_alu instid0(VALU_DEP_1)
	v_and_b32_e32 v9, 7, v6
; %bb.1626:                             ;   in Loop: Header=BB430_1187 Depth=1
	s_or_b32 exec_lo, exec_lo, s15
	v_lshlrev_b32_e32 v6, 16, v2
	s_delay_alu instid0(VALU_DEP_2) | instskip(SKIP_1) | instid1(VALU_DEP_3)
	v_lshlrev_b32_e32 v7, 20, v9
	v_lshl_add_u32 v5, v5, 23, 0x3c000000
	v_and_b32_e32 v6, 0x80000000, v6
	s_delay_alu instid0(VALU_DEP_1)
	v_or3_b32 v5, v7, v6, v5
.LBB430_1627:                           ;   in Loop: Header=BB430_1187 Depth=1
	s_or_b32 exec_lo, exec_lo, s13
.LBB430_1628:                           ;   in Loop: Header=BB430_1187 Depth=1
	s_delay_alu instid0(SALU_CYCLE_1)
	s_or_b32 exec_lo, exec_lo, s12
.LBB430_1629:                           ;   in Loop: Header=BB430_1187 Depth=1
	s_delay_alu instid0(SALU_CYCLE_1) | instskip(NEXT) | instid1(VALU_DEP_1)
	s_or_b32 exec_lo, exec_lo, s9
	v_mul_f32_e32 v6, v26, v5
	s_delay_alu instid0(VALU_DEP_1) | instskip(NEXT) | instid1(VALU_DEP_1)
	v_and_b32_e32 v5, 0x7f800000, v6
	v_cmp_ne_u32_e64 s0, 0x7f800000, v5
                                        ; implicit-def: $vgpr5
	s_delay_alu instid0(VALU_DEP_1) | instskip(NEXT) | instid1(SALU_CYCLE_1)
	s_and_saveexec_b32 s9, s0
	s_xor_b32 s0, exec_lo, s9
; %bb.1630:                             ;   in Loop: Header=BB430_1187 Depth=1
	v_bfe_u32 v5, v6, 16, 1
	s_delay_alu instid0(VALU_DEP_1)
	v_add3_u32 v5, v6, v5, 0x7fff
                                        ; implicit-def: $vgpr6
; %bb.1631:                             ;   in Loop: Header=BB430_1187 Depth=1
	s_and_not1_saveexec_b32 s9, s0
; %bb.1632:                             ;   in Loop: Header=BB430_1187 Depth=1
	v_and_b32_e32 v5, 0xffff, v6
	v_or_b32_e32 v7, 0x10000, v6
	s_delay_alu instid0(VALU_DEP_2) | instskip(NEXT) | instid1(VALU_DEP_1)
	v_cmp_eq_u32_e64 s0, 0, v5
	v_cndmask_b32_e64 v5, v7, v6, s0
; %bb.1633:                             ;   in Loop: Header=BB430_1187 Depth=1
	s_or_b32 exec_lo, exec_lo, s9
	v_lshrrev_b32_e32 v6, 16, v2
	v_mov_b32_e32 v7, 0
	s_mov_b32 s9, exec_lo
	s_delay_alu instid0(VALU_DEP_2) | instskip(NEXT) | instid1(VALU_DEP_1)
	v_and_b32_e32 v9, 0xff, v6
	v_cmpx_ne_u16_e32 0, v9
	s_cbranch_execz .LBB430_1641
; %bb.1634:                             ;   in Loop: Header=BB430_1187 Depth=1
	v_bfrev_b32_e32 v7, 1
	s_mov_b32 s12, exec_lo
	v_cmpx_ne_u16_e32 0x80, v9
	s_cbranch_execz .LBB430_1640
; %bb.1635:                             ;   in Loop: Header=BB430_1187 Depth=1
	v_bfe_u32 v32, v2, 16, 7
	v_mov_b32_e32 v7, 0x7f800001
	s_mov_b32 s13, exec_lo
	s_delay_alu instid0(VALU_DEP_2)
	v_cmpx_ne_u32_e32 0x7f, v32
	s_cbranch_execz .LBB430_1639
; %bb.1636:                             ;   in Loop: Header=BB430_1187 Depth=1
	v_and_b32_e32 v9, 7, v6
	v_lshrrev_b32_e32 v7, 3, v32
	s_mov_b32 s15, exec_lo
	v_cmpx_gt_u32_e32 8, v32
; %bb.1637:                             ;   in Loop: Header=BB430_1187 Depth=1
	s_delay_alu instid0(VALU_DEP_3) | instskip(NEXT) | instid1(VALU_DEP_1)
	v_clz_i32_u32_e32 v7, v9
	v_min_u32_e32 v7, 32, v7
	s_delay_alu instid0(VALU_DEP_1) | instskip(SKIP_1) | instid1(VALU_DEP_2)
	v_subrev_nc_u32_e32 v32, 28, v7
	v_sub_nc_u32_e32 v7, 29, v7
	v_lshlrev_b64 v[32:33], v32, v[9:10]
	s_delay_alu instid0(VALU_DEP_1)
	v_and_b32_e32 v9, 7, v32
; %bb.1638:                             ;   in Loop: Header=BB430_1187 Depth=1
	s_or_b32 exec_lo, exec_lo, s15
	v_lshlrev_b32_e32 v6, 24, v6
	s_delay_alu instid0(VALU_DEP_2) | instskip(SKIP_1) | instid1(VALU_DEP_3)
	v_lshlrev_b32_e32 v9, 20, v9
	v_lshl_add_u32 v7, v7, 23, 0x3c000000
	v_and_b32_e32 v6, 0x80000000, v6
	s_delay_alu instid0(VALU_DEP_1)
	v_or3_b32 v7, v9, v6, v7
.LBB430_1639:                           ;   in Loop: Header=BB430_1187 Depth=1
	s_or_b32 exec_lo, exec_lo, s13
.LBB430_1640:                           ;   in Loop: Header=BB430_1187 Depth=1
	s_delay_alu instid0(SALU_CYCLE_1)
	s_or_b32 exec_lo, exec_lo, s12
.LBB430_1641:                           ;   in Loop: Header=BB430_1187 Depth=1
	s_delay_alu instid0(SALU_CYCLE_1) | instskip(NEXT) | instid1(VALU_DEP_1)
	s_or_b32 exec_lo, exec_lo, s9
	v_mul_f32_e32 v6, v26, v7
                                        ; implicit-def: $vgpr32
	s_delay_alu instid0(VALU_DEP_1) | instskip(NEXT) | instid1(VALU_DEP_1)
	v_and_b32_e32 v7, 0x7f800000, v6
	v_cmp_ne_u32_e64 s0, 0x7f800000, v7
	s_delay_alu instid0(VALU_DEP_1) | instskip(NEXT) | instid1(SALU_CYCLE_1)
	s_and_saveexec_b32 s9, s0
	s_xor_b32 s0, exec_lo, s9
; %bb.1642:                             ;   in Loop: Header=BB430_1187 Depth=1
	v_bfe_u32 v7, v6, 16, 1
	s_delay_alu instid0(VALU_DEP_1)
	v_add3_u32 v32, v6, v7, 0x7fff
                                        ; implicit-def: $vgpr6
; %bb.1643:                             ;   in Loop: Header=BB430_1187 Depth=1
	s_and_not1_saveexec_b32 s9, s0
; %bb.1644:                             ;   in Loop: Header=BB430_1187 Depth=1
	v_and_b32_e32 v7, 0xffff, v6
	v_or_b32_e32 v9, 0x10000, v6
	s_delay_alu instid0(VALU_DEP_2) | instskip(NEXT) | instid1(VALU_DEP_1)
	v_cmp_eq_u32_e64 s0, 0, v7
	v_cndmask_b32_e64 v32, v9, v6, s0
; %bb.1645:                             ;   in Loop: Header=BB430_1187 Depth=1
	s_or_b32 exec_lo, exec_lo, s9
	v_mov_b32_e32 v7, 0
	s_mov_b32 s9, exec_lo
	v_cmpx_lt_u32_e32 0xffffff, v2
	s_cbranch_execz .LBB430_1653
; %bb.1646:                             ;   in Loop: Header=BB430_1187 Depth=1
	v_lshrrev_b32_e32 v6, 24, v2
	v_bfrev_b32_e32 v7, 1
	s_mov_b32 s12, exec_lo
	s_delay_alu instid0(VALU_DEP_2)
	v_cmpx_ne_u32_e32 0x80, v6
	s_cbranch_execz .LBB430_1652
; %bb.1647:                             ;   in Loop: Header=BB430_1187 Depth=1
	v_bfe_u32 v33, v2, 24, 7
	v_mov_b32_e32 v7, 0x7f800001
	s_mov_b32 s13, exec_lo
	s_delay_alu instid0(VALU_DEP_2)
	v_cmpx_ne_u32_e32 0x7f, v33
	s_cbranch_execz .LBB430_1651
; %bb.1648:                             ;   in Loop: Header=BB430_1187 Depth=1
	v_and_b32_e32 v9, 7, v6
	v_lshrrev_b32_e32 v7, 3, v33
	s_mov_b32 s15, exec_lo
	v_cmpx_gt_u32_e32 8, v33
; %bb.1649:                             ;   in Loop: Header=BB430_1187 Depth=1
	s_delay_alu instid0(VALU_DEP_3) | instskip(NEXT) | instid1(VALU_DEP_1)
	v_clz_i32_u32_e32 v7, v9
	v_min_u32_e32 v7, 32, v7
	s_delay_alu instid0(VALU_DEP_1) | instskip(SKIP_1) | instid1(VALU_DEP_2)
	v_subrev_nc_u32_e32 v33, 28, v7
	v_sub_nc_u32_e32 v7, 29, v7
	v_lshlrev_b64 v[33:34], v33, v[9:10]
	s_delay_alu instid0(VALU_DEP_1)
	v_and_b32_e32 v9, 7, v33
; %bb.1650:                             ;   in Loop: Header=BB430_1187 Depth=1
	s_or_b32 exec_lo, exec_lo, s15
	v_lshlrev_b32_e32 v6, 24, v6
	s_delay_alu instid0(VALU_DEP_2) | instskip(SKIP_1) | instid1(VALU_DEP_3)
	v_lshlrev_b32_e32 v9, 20, v9
	v_lshl_add_u32 v7, v7, 23, 0x3c000000
	v_and_b32_e32 v6, 0x80000000, v6
	s_delay_alu instid0(VALU_DEP_1)
	v_or3_b32 v7, v9, v6, v7
.LBB430_1651:                           ;   in Loop: Header=BB430_1187 Depth=1
	s_or_b32 exec_lo, exec_lo, s13
.LBB430_1652:                           ;   in Loop: Header=BB430_1187 Depth=1
	s_delay_alu instid0(SALU_CYCLE_1)
	s_or_b32 exec_lo, exec_lo, s12
.LBB430_1653:                           ;   in Loop: Header=BB430_1187 Depth=1
	s_delay_alu instid0(SALU_CYCLE_1) | instskip(NEXT) | instid1(VALU_DEP_1)
	s_or_b32 exec_lo, exec_lo, s9
	v_mul_f32_e32 v6, v26, v7
                                        ; implicit-def: $vgpr33
	s_delay_alu instid0(VALU_DEP_1) | instskip(NEXT) | instid1(VALU_DEP_1)
	v_and_b32_e32 v7, 0x7f800000, v6
	v_cmp_ne_u32_e64 s0, 0x7f800000, v7
	s_delay_alu instid0(VALU_DEP_1) | instskip(NEXT) | instid1(SALU_CYCLE_1)
	s_and_saveexec_b32 s9, s0
	s_xor_b32 s0, exec_lo, s9
; %bb.1654:                             ;   in Loop: Header=BB430_1187 Depth=1
	v_bfe_u32 v7, v6, 16, 1
	s_delay_alu instid0(VALU_DEP_1)
	v_add3_u32 v33, v6, v7, 0x7fff
                                        ; implicit-def: $vgpr6
; %bb.1655:                             ;   in Loop: Header=BB430_1187 Depth=1
	s_and_not1_saveexec_b32 s9, s0
; %bb.1656:                             ;   in Loop: Header=BB430_1187 Depth=1
	v_and_b32_e32 v7, 0xffff, v6
	v_or_b32_e32 v9, 0x10000, v6
	s_delay_alu instid0(VALU_DEP_2) | instskip(NEXT) | instid1(VALU_DEP_1)
	v_cmp_eq_u32_e64 s0, 0, v7
	v_cndmask_b32_e64 v33, v9, v6, s0
; %bb.1657:                             ;   in Loop: Header=BB430_1187 Depth=1
	s_or_b32 exec_lo, exec_lo, s9
	v_dual_mov_b32 v6, 0 :: v_dual_and_b32 v7, 0xff, v3
	v_mov_b32_e32 v9, v3
	s_mov_b32 s9, exec_lo
	s_delay_alu instid0(VALU_DEP_2)
	v_cmpx_ne_u16_e32 0, v7
	s_cbranch_execz .LBB430_1665
; %bb.1658:                             ;   in Loop: Header=BB430_1187 Depth=1
	v_bfrev_b32_e32 v6, 1
	s_mov_b32 s12, exec_lo
	v_cmpx_ne_u16_e32 0x80, v7
	s_cbranch_execz .LBB430_1664
; %bb.1659:                             ;   in Loop: Header=BB430_1187 Depth=1
	v_and_b32_e32 v7, 0x7f, v3
	v_mov_b32_e32 v6, 0x7f800001
	s_mov_b32 s13, exec_lo
	s_delay_alu instid0(VALU_DEP_2)
	v_cmpx_ne_u32_e32 0x7f, v7
	s_cbranch_execz .LBB430_1663
; %bb.1660:                             ;   in Loop: Header=BB430_1187 Depth=1
	v_lshrrev_b32_e32 v34, 3, v7
	v_cmp_gt_u32_e64 s0, 8, v7
	v_dual_mov_b32 v6, v9 :: v_dual_mov_b32 v7, v10
	s_delay_alu instid0(VALU_DEP_2)
	s_and_saveexec_b32 s15, s0
; %bb.1661:                             ;   in Loop: Header=BB430_1187 Depth=1
	v_and_b32_e32 v6, 7, v3
	s_delay_alu instid0(VALU_DEP_1) | instskip(NEXT) | instid1(VALU_DEP_1)
	v_clz_i32_u32_e32 v6, v6
	v_min_u32_e32 v34, 32, v6
	s_delay_alu instid0(VALU_DEP_1) | instskip(SKIP_1) | instid1(VALU_DEP_2)
	v_subrev_nc_u32_e32 v6, 28, v34
	v_sub_nc_u32_e32 v34, 29, v34
	v_lshlrev_b64 v[6:7], v6, v[9:10]
; %bb.1662:                             ;   in Loop: Header=BB430_1187 Depth=1
	s_or_b32 exec_lo, exec_lo, s15
	s_delay_alu instid0(VALU_DEP_1) | instskip(SKIP_2) | instid1(VALU_DEP_3)
	v_lshlrev_b32_e32 v6, 20, v6
	v_lshlrev_b32_e32 v7, 24, v9
	v_lshl_add_u32 v34, v34, 23, 0x3c000000
	v_and_b32_e32 v6, 0x700000, v6
	s_delay_alu instid0(VALU_DEP_3) | instskip(NEXT) | instid1(VALU_DEP_1)
	v_and_b32_e32 v7, 0x80000000, v7
	v_or3_b32 v6, v6, v7, v34
.LBB430_1663:                           ;   in Loop: Header=BB430_1187 Depth=1
	s_or_b32 exec_lo, exec_lo, s13
.LBB430_1664:                           ;   in Loop: Header=BB430_1187 Depth=1
	s_delay_alu instid0(SALU_CYCLE_1)
	s_or_b32 exec_lo, exec_lo, s12
.LBB430_1665:                           ;   in Loop: Header=BB430_1187 Depth=1
	s_delay_alu instid0(SALU_CYCLE_1) | instskip(NEXT) | instid1(VALU_DEP_1)
	s_or_b32 exec_lo, exec_lo, s9
	v_mul_f32_e32 v6, v26, v6
                                        ; implicit-def: $vgpr34
	s_delay_alu instid0(VALU_DEP_1) | instskip(NEXT) | instid1(VALU_DEP_1)
	v_and_b32_e32 v7, 0x7f800000, v6
	v_cmp_ne_u32_e64 s0, 0x7f800000, v7
	s_delay_alu instid0(VALU_DEP_1) | instskip(NEXT) | instid1(SALU_CYCLE_1)
	s_and_saveexec_b32 s9, s0
	s_xor_b32 s0, exec_lo, s9
; %bb.1666:                             ;   in Loop: Header=BB430_1187 Depth=1
	v_bfe_u32 v7, v6, 16, 1
	s_delay_alu instid0(VALU_DEP_1)
	v_add3_u32 v34, v6, v7, 0x7fff
                                        ; implicit-def: $vgpr6
; %bb.1667:                             ;   in Loop: Header=BB430_1187 Depth=1
	s_and_not1_saveexec_b32 s9, s0
; %bb.1668:                             ;   in Loop: Header=BB430_1187 Depth=1
	v_and_b32_e32 v7, 0xffff, v6
	v_or_b32_e32 v34, 0x10000, v6
	s_delay_alu instid0(VALU_DEP_2) | instskip(NEXT) | instid1(VALU_DEP_1)
	v_cmp_eq_u32_e64 s0, 0, v7
	v_cndmask_b32_e64 v34, v34, v6, s0
; %bb.1669:                             ;   in Loop: Header=BB430_1187 Depth=1
	s_or_b32 exec_lo, exec_lo, s9
	v_lshrrev_b16 v7, 8, v9
	v_mov_b32_e32 v6, 0
	s_mov_b32 s9, exec_lo
	s_delay_alu instid0(VALU_DEP_2)
	v_cmpx_ne_u16_e32 0, v7
	s_cbranch_execz .LBB430_1677
; %bb.1670:                             ;   in Loop: Header=BB430_1187 Depth=1
	v_bfrev_b32_e32 v6, 1
	s_mov_b32 s12, exec_lo
	v_cmpx_ne_u16_e32 0x80, v7
	s_cbranch_execz .LBB430_1676
; %bb.1671:                             ;   in Loop: Header=BB430_1187 Depth=1
	v_and_b32_e32 v7, 0xffff, v7
	v_mov_b32_e32 v6, 0x7f800001
	s_mov_b32 s13, exec_lo
	s_delay_alu instid0(VALU_DEP_2) | instskip(NEXT) | instid1(VALU_DEP_1)
	v_and_b32_e32 v119, 0x7f, v7
	v_cmpx_ne_u32_e32 0x7f, v119
	s_cbranch_execz .LBB430_1675
; %bb.1672:                             ;   in Loop: Header=BB430_1187 Depth=1
	v_dual_mov_b32 v7, v10 :: v_dual_and_b32 v6, 7, v7
	v_lshrrev_b32_e32 v36, 3, v119
	s_mov_b32 s15, exec_lo
	v_cmpx_gt_u32_e32 8, v119
; %bb.1673:                             ;   in Loop: Header=BB430_1187 Depth=1
	s_delay_alu instid0(VALU_DEP_3) | instskip(NEXT) | instid1(VALU_DEP_1)
	v_clz_i32_u32_e32 v36, v6
	v_min_u32_e32 v36, 32, v36
	s_delay_alu instid0(VALU_DEP_1) | instskip(SKIP_1) | instid1(VALU_DEP_2)
	v_subrev_nc_u32_e32 v119, 28, v36
	v_sub_nc_u32_e32 v36, 29, v36
	v_lshlrev_b64 v[6:7], v119, v[6:7]
	s_delay_alu instid0(VALU_DEP_1)
	v_and_b32_e32 v6, 7, v6
; %bb.1674:                             ;   in Loop: Header=BB430_1187 Depth=1
	s_or_b32 exec_lo, exec_lo, s15
	v_lshlrev_b32_e32 v7, 16, v9
	s_delay_alu instid0(VALU_DEP_2) | instskip(SKIP_1) | instid1(VALU_DEP_3)
	v_lshlrev_b32_e32 v6, 20, v6
	v_lshl_add_u32 v9, v36, 23, 0x3c000000
	v_and_b32_e32 v7, 0x80000000, v7
	s_delay_alu instid0(VALU_DEP_1)
	v_or3_b32 v6, v6, v7, v9
.LBB430_1675:                           ;   in Loop: Header=BB430_1187 Depth=1
	s_or_b32 exec_lo, exec_lo, s13
.LBB430_1676:                           ;   in Loop: Header=BB430_1187 Depth=1
	s_delay_alu instid0(SALU_CYCLE_1)
	s_or_b32 exec_lo, exec_lo, s12
.LBB430_1677:                           ;   in Loop: Header=BB430_1187 Depth=1
	s_delay_alu instid0(SALU_CYCLE_1) | instskip(NEXT) | instid1(VALU_DEP_1)
	s_or_b32 exec_lo, exec_lo, s9
	v_mul_f32_e32 v7, v26, v6
	s_delay_alu instid0(VALU_DEP_1) | instskip(NEXT) | instid1(VALU_DEP_1)
	v_and_b32_e32 v6, 0x7f800000, v7
	v_cmp_ne_u32_e64 s0, 0x7f800000, v6
                                        ; implicit-def: $vgpr6
	s_delay_alu instid0(VALU_DEP_1) | instskip(NEXT) | instid1(SALU_CYCLE_1)
	s_and_saveexec_b32 s9, s0
	s_xor_b32 s0, exec_lo, s9
; %bb.1678:                             ;   in Loop: Header=BB430_1187 Depth=1
	v_bfe_u32 v6, v7, 16, 1
	s_delay_alu instid0(VALU_DEP_1)
	v_add3_u32 v6, v7, v6, 0x7fff
                                        ; implicit-def: $vgpr7
; %bb.1679:                             ;   in Loop: Header=BB430_1187 Depth=1
	s_and_not1_saveexec_b32 s9, s0
; %bb.1680:                             ;   in Loop: Header=BB430_1187 Depth=1
	v_and_b32_e32 v6, 0xffff, v7
	v_or_b32_e32 v9, 0x10000, v7
	s_delay_alu instid0(VALU_DEP_2) | instskip(NEXT) | instid1(VALU_DEP_1)
	v_cmp_eq_u32_e64 s0, 0, v6
	v_cndmask_b32_e64 v6, v9, v7, s0
; %bb.1681:                             ;   in Loop: Header=BB430_1187 Depth=1
	s_or_b32 exec_lo, exec_lo, s9
	v_lshrrev_b32_e32 v7, 16, v3
	s_mov_b32 s9, exec_lo
	s_delay_alu instid0(VALU_DEP_1) | instskip(NEXT) | instid1(VALU_DEP_1)
	v_dual_mov_b32 v9, 0 :: v_dual_and_b32 v36, 0xff, v7
	v_cmpx_ne_u16_e32 0, v36
	s_cbranch_execz .LBB430_1689
; %bb.1682:                             ;   in Loop: Header=BB430_1187 Depth=1
	v_bfrev_b32_e32 v9, 1
	s_mov_b32 s12, exec_lo
	v_cmpx_ne_u16_e32 0x80, v36
	s_cbranch_execz .LBB430_1688
; %bb.1683:                             ;   in Loop: Header=BB430_1187 Depth=1
	v_bfe_u32 v119, v3, 16, 7
	v_mov_b32_e32 v9, 0x7f800001
	s_mov_b32 s13, exec_lo
	s_delay_alu instid0(VALU_DEP_2)
	v_cmpx_ne_u32_e32 0x7f, v119
	s_cbranch_execz .LBB430_1687
; %bb.1684:                             ;   in Loop: Header=BB430_1187 Depth=1
	v_and_b32_e32 v9, 7, v7
	v_lshrrev_b32_e32 v36, 3, v119
	s_mov_b32 s15, exec_lo
	v_cmpx_gt_u32_e32 8, v119
; %bb.1685:                             ;   in Loop: Header=BB430_1187 Depth=1
	s_delay_alu instid0(VALU_DEP_3) | instskip(NEXT) | instid1(VALU_DEP_1)
	v_clz_i32_u32_e32 v36, v9
	v_min_u32_e32 v36, 32, v36
	s_delay_alu instid0(VALU_DEP_1) | instskip(SKIP_1) | instid1(VALU_DEP_2)
	v_subrev_nc_u32_e32 v119, 28, v36
	v_sub_nc_u32_e32 v36, 29, v36
	v_lshlrev_b64 v[128:129], v119, v[9:10]
	s_delay_alu instid0(VALU_DEP_1)
	v_and_b32_e32 v9, 7, v128
; %bb.1686:                             ;   in Loop: Header=BB430_1187 Depth=1
	s_or_b32 exec_lo, exec_lo, s15
	v_lshlrev_b32_e32 v7, 24, v7
	s_delay_alu instid0(VALU_DEP_2) | instskip(SKIP_1) | instid1(VALU_DEP_3)
	v_lshlrev_b32_e32 v9, 20, v9
	v_lshl_add_u32 v36, v36, 23, 0x3c000000
	v_and_b32_e32 v7, 0x80000000, v7
	s_delay_alu instid0(VALU_DEP_1)
	v_or3_b32 v9, v9, v7, v36
.LBB430_1687:                           ;   in Loop: Header=BB430_1187 Depth=1
	s_or_b32 exec_lo, exec_lo, s13
.LBB430_1688:                           ;   in Loop: Header=BB430_1187 Depth=1
	s_delay_alu instid0(SALU_CYCLE_1)
	s_or_b32 exec_lo, exec_lo, s12
.LBB430_1689:                           ;   in Loop: Header=BB430_1187 Depth=1
	s_delay_alu instid0(SALU_CYCLE_1) | instskip(NEXT) | instid1(VALU_DEP_1)
	s_or_b32 exec_lo, exec_lo, s9
	v_mul_f32_e32 v7, v26, v9
                                        ; implicit-def: $vgpr36
	s_delay_alu instid0(VALU_DEP_1) | instskip(NEXT) | instid1(VALU_DEP_1)
	v_and_b32_e32 v9, 0x7f800000, v7
	v_cmp_ne_u32_e64 s0, 0x7f800000, v9
	s_delay_alu instid0(VALU_DEP_1) | instskip(NEXT) | instid1(SALU_CYCLE_1)
	s_and_saveexec_b32 s9, s0
	s_xor_b32 s0, exec_lo, s9
; %bb.1690:                             ;   in Loop: Header=BB430_1187 Depth=1
	v_bfe_u32 v9, v7, 16, 1
	s_delay_alu instid0(VALU_DEP_1)
	v_add3_u32 v36, v7, v9, 0x7fff
                                        ; implicit-def: $vgpr7
; %bb.1691:                             ;   in Loop: Header=BB430_1187 Depth=1
	s_and_not1_saveexec_b32 s9, s0
; %bb.1692:                             ;   in Loop: Header=BB430_1187 Depth=1
	v_and_b32_e32 v9, 0xffff, v7
	v_or_b32_e32 v36, 0x10000, v7
	s_delay_alu instid0(VALU_DEP_2) | instskip(NEXT) | instid1(VALU_DEP_1)
	v_cmp_eq_u32_e64 s0, 0, v9
	v_cndmask_b32_e64 v36, v36, v7, s0
; %bb.1693:                             ;   in Loop: Header=BB430_1187 Depth=1
	s_or_b32 exec_lo, exec_lo, s9
	v_mov_b32_e32 v7, 0
	s_mov_b32 s9, exec_lo
	v_cmpx_lt_u64_e64 s[2:3], v[2:3]
	s_cbranch_execz .LBB430_1701
; %bb.1694:                             ;   in Loop: Header=BB430_1187 Depth=1
	v_lshrrev_b32_e32 v2, 24, v3
	v_bfrev_b32_e32 v7, 1
	s_mov_b32 s12, exec_lo
	s_delay_alu instid0(VALU_DEP_2)
	v_cmpx_ne_u32_e32 0x80, v2
	s_cbranch_execz .LBB430_1700
; %bb.1695:                             ;   in Loop: Header=BB430_1187 Depth=1
	v_bfe_u32 v119, v3, 24, 7
	v_mov_b32_e32 v7, 0x7f800001
	s_mov_b32 s13, exec_lo
	s_delay_alu instid0(VALU_DEP_2)
	v_cmpx_ne_u32_e32 0x7f, v119
	s_cbranch_execz .LBB430_1699
; %bb.1696:                             ;   in Loop: Header=BB430_1187 Depth=1
	v_and_b32_e32 v9, 7, v2
	v_lshrrev_b32_e32 v3, 3, v119
	s_mov_b32 s15, exec_lo
	v_cmpx_gt_u32_e32 8, v119
; %bb.1697:                             ;   in Loop: Header=BB430_1187 Depth=1
	s_delay_alu instid0(VALU_DEP_3) | instskip(NEXT) | instid1(VALU_DEP_1)
	v_clz_i32_u32_e32 v3, v9
	v_min_u32_e32 v3, 32, v3
	s_delay_alu instid0(VALU_DEP_1) | instskip(SKIP_1) | instid1(VALU_DEP_2)
	v_subrev_nc_u32_e32 v7, 28, v3
	v_sub_nc_u32_e32 v3, 29, v3
	v_lshlrev_b64 v[128:129], v7, v[9:10]
	s_delay_alu instid0(VALU_DEP_1)
	v_and_b32_e32 v9, 7, v128
; %bb.1698:                             ;   in Loop: Header=BB430_1187 Depth=1
	s_or_b32 exec_lo, exec_lo, s15
	v_lshlrev_b32_e32 v2, 24, v2
	s_delay_alu instid0(VALU_DEP_2) | instskip(SKIP_1) | instid1(VALU_DEP_3)
	v_lshlrev_b32_e32 v7, 20, v9
	v_lshl_add_u32 v3, v3, 23, 0x3c000000
	v_and_b32_e32 v2, 0x80000000, v2
	s_delay_alu instid0(VALU_DEP_1)
	v_or3_b32 v7, v7, v2, v3
.LBB430_1699:                           ;   in Loop: Header=BB430_1187 Depth=1
	s_or_b32 exec_lo, exec_lo, s13
.LBB430_1700:                           ;   in Loop: Header=BB430_1187 Depth=1
	s_delay_alu instid0(SALU_CYCLE_1)
	s_or_b32 exec_lo, exec_lo, s12
.LBB430_1701:                           ;   in Loop: Header=BB430_1187 Depth=1
	s_delay_alu instid0(SALU_CYCLE_1) | instskip(NEXT) | instid1(VALU_DEP_1)
	s_or_b32 exec_lo, exec_lo, s9
	v_mul_f32_e32 v3, v26, v7
	s_delay_alu instid0(VALU_DEP_1) | instskip(NEXT) | instid1(VALU_DEP_1)
	v_and_b32_e32 v2, 0x7f800000, v3
	v_cmp_ne_u32_e64 s0, 0x7f800000, v2
                                        ; implicit-def: $vgpr2
	s_delay_alu instid0(VALU_DEP_1) | instskip(NEXT) | instid1(SALU_CYCLE_1)
	s_and_saveexec_b32 s9, s0
	s_xor_b32 s0, exec_lo, s9
; %bb.1702:                             ;   in Loop: Header=BB430_1187 Depth=1
	v_bfe_u32 v2, v3, 16, 1
	s_delay_alu instid0(VALU_DEP_1)
	v_add3_u32 v2, v3, v2, 0x7fff
                                        ; implicit-def: $vgpr3
; %bb.1703:                             ;   in Loop: Header=BB430_1187 Depth=1
	s_and_not1_saveexec_b32 s9, s0
; %bb.1704:                             ;   in Loop: Header=BB430_1187 Depth=1
	v_and_b32_e32 v2, 0xffff, v3
	v_or_b32_e32 v7, 0x10000, v3
	s_delay_alu instid0(VALU_DEP_2) | instskip(NEXT) | instid1(VALU_DEP_1)
	v_cmp_eq_u32_e64 s0, 0, v2
	v_cndmask_b32_e64 v2, v7, v3, s0
; %bb.1705:                             ;   in Loop: Header=BB430_1187 Depth=1
	s_or_b32 exec_lo, exec_lo, s9
	v_lshrrev_b32_e32 v6, 16, v6
	v_lshrrev_b32_e32 v7, 16, v34
	;; [unrolled: 1-line block ×8, first 2 shown]
	s_and_saveexec_b32 s9, vcc_lo
	s_cbranch_execz .LBB430_1707
; %bb.1706:                             ;   in Loop: Header=BB430_1187 Depth=1
	v_cmp_lt_i32_e64 s0, v64, v35
	s_delay_alu instid0(VALU_DEP_1) | instskip(SKIP_1) | instid1(VALU_DEP_1)
	v_cndmask_b32_e64 v4, 0, v4, s0
	v_cmp_lt_i32_e64 s0, v70, v35
	v_cndmask_b32_e64 v5, 0, v5, s0
	v_cmp_lt_i32_e64 s0, v69, v35
	s_delay_alu instid0(VALU_DEP_1) | instskip(SKIP_1) | instid1(VALU_DEP_1)
	v_cndmask_b32_e64 v32, 0, v32, s0
	v_cmp_lt_i32_e64 s0, v68, v35
	v_cndmask_b32_e64 v9, 0, v9, s0
	;; [unrolled: 5-line block ×4, first 2 shown]
.LBB430_1707:                           ;   in Loop: Header=BB430_1187 Depth=1
	s_or_b32 exec_lo, exec_lo, s9
	v_lshlrev_b32_e32 v4, 16, v4
                                        ; implicit-def: $vgpr119
	s_delay_alu instid0(VALU_DEP_1) | instskip(NEXT) | instid1(VALU_DEP_1)
	v_mul_f32_e32 v4, v71, v4
	v_and_b32_e32 v33, 0x7f800000, v4
	s_delay_alu instid0(VALU_DEP_1) | instskip(NEXT) | instid1(VALU_DEP_1)
	v_cmp_ne_u32_e64 s0, 0x7f800000, v33
	s_and_saveexec_b32 s9, s0
	s_delay_alu instid0(SALU_CYCLE_1)
	s_xor_b32 s0, exec_lo, s9
; %bb.1708:                             ;   in Loop: Header=BB430_1187 Depth=1
	v_bfe_u32 v33, v4, 16, 1
	s_delay_alu instid0(VALU_DEP_1)
	v_add3_u32 v119, v4, v33, 0x7fff
                                        ; implicit-def: $vgpr4
; %bb.1709:                             ;   in Loop: Header=BB430_1187 Depth=1
	s_and_not1_saveexec_b32 s9, s0
; %bb.1710:                             ;   in Loop: Header=BB430_1187 Depth=1
	v_and_b32_e32 v33, 0xffff, v4
	v_or_b32_e32 v34, 0x10000, v4
	s_delay_alu instid0(VALU_DEP_2) | instskip(NEXT) | instid1(VALU_DEP_1)
	v_cmp_eq_u32_e64 s0, 0, v33
	v_cndmask_b32_e64 v119, v34, v4, s0
; %bb.1711:                             ;   in Loop: Header=BB430_1187 Depth=1
	s_or_b32 exec_lo, exec_lo, s9
	v_lshlrev_b32_e32 v4, 16, v5
                                        ; implicit-def: $vgpr128
	s_delay_alu instid0(VALU_DEP_1) | instskip(NEXT) | instid1(VALU_DEP_1)
	v_mul_f32_e32 v4, v80, v4
	v_and_b32_e32 v5, 0x7f800000, v4
	s_delay_alu instid0(VALU_DEP_1) | instskip(NEXT) | instid1(VALU_DEP_1)
	v_cmp_ne_u32_e64 s0, 0x7f800000, v5
	s_and_saveexec_b32 s9, s0
	s_delay_alu instid0(SALU_CYCLE_1)
	s_xor_b32 s0, exec_lo, s9
; %bb.1712:                             ;   in Loop: Header=BB430_1187 Depth=1
	v_bfe_u32 v5, v4, 16, 1
	s_delay_alu instid0(VALU_DEP_1)
	v_add3_u32 v128, v4, v5, 0x7fff
                                        ; implicit-def: $vgpr4
; %bb.1713:                             ;   in Loop: Header=BB430_1187 Depth=1
	s_and_not1_saveexec_b32 s9, s0
; %bb.1714:                             ;   in Loop: Header=BB430_1187 Depth=1
	v_and_b32_e32 v5, 0xffff, v4
	v_or_b32_e32 v33, 0x10000, v4
	s_delay_alu instid0(VALU_DEP_2) | instskip(NEXT) | instid1(VALU_DEP_1)
	v_cmp_eq_u32_e64 s0, 0, v5
	v_cndmask_b32_e64 v128, v33, v4, s0
; %bb.1715:                             ;   in Loop: Header=BB430_1187 Depth=1
	s_or_b32 exec_lo, exec_lo, s9
	v_lshlrev_b32_e32 v4, 16, v32
                                        ; implicit-def: $vgpr129
	s_delay_alu instid0(VALU_DEP_1) | instskip(NEXT) | instid1(VALU_DEP_1)
	v_mul_f32_e32 v4, v81, v4
	v_and_b32_e32 v5, 0x7f800000, v4
	s_delay_alu instid0(VALU_DEP_1) | instskip(NEXT) | instid1(VALU_DEP_1)
	v_cmp_ne_u32_e64 s0, 0x7f800000, v5
	s_and_saveexec_b32 s9, s0
	s_delay_alu instid0(SALU_CYCLE_1)
	s_xor_b32 s0, exec_lo, s9
; %bb.1716:                             ;   in Loop: Header=BB430_1187 Depth=1
	v_bfe_u32 v5, v4, 16, 1
	s_delay_alu instid0(VALU_DEP_1)
	v_add3_u32 v129, v4, v5, 0x7fff
                                        ; implicit-def: $vgpr4
; %bb.1717:                             ;   in Loop: Header=BB430_1187 Depth=1
	s_and_not1_saveexec_b32 s9, s0
; %bb.1718:                             ;   in Loop: Header=BB430_1187 Depth=1
	v_and_b32_e32 v5, 0xffff, v4
	v_or_b32_e32 v32, 0x10000, v4
	s_delay_alu instid0(VALU_DEP_2) | instskip(NEXT) | instid1(VALU_DEP_1)
	v_cmp_eq_u32_e64 s0, 0, v5
	v_cndmask_b32_e64 v129, v32, v4, s0
; %bb.1719:                             ;   in Loop: Header=BB430_1187 Depth=1
	s_or_b32 exec_lo, exec_lo, s9
	v_lshlrev_b32_e32 v4, 16, v9
                                        ; implicit-def: $vgpr130
	s_delay_alu instid0(VALU_DEP_1) | instskip(NEXT) | instid1(VALU_DEP_1)
	v_mul_f32_e32 v4, v82, v4
	v_and_b32_e32 v5, 0x7f800000, v4
	s_delay_alu instid0(VALU_DEP_1) | instskip(NEXT) | instid1(VALU_DEP_1)
	v_cmp_ne_u32_e64 s0, 0x7f800000, v5
	s_and_saveexec_b32 s9, s0
	s_delay_alu instid0(SALU_CYCLE_1)
	s_xor_b32 s0, exec_lo, s9
; %bb.1720:                             ;   in Loop: Header=BB430_1187 Depth=1
	v_bfe_u32 v5, v4, 16, 1
	s_delay_alu instid0(VALU_DEP_1)
	v_add3_u32 v130, v4, v5, 0x7fff
                                        ; implicit-def: $vgpr4
; %bb.1721:                             ;   in Loop: Header=BB430_1187 Depth=1
	s_and_not1_saveexec_b32 s9, s0
; %bb.1722:                             ;   in Loop: Header=BB430_1187 Depth=1
	v_and_b32_e32 v5, 0xffff, v4
	v_or_b32_e32 v9, 0x10000, v4
	s_delay_alu instid0(VALU_DEP_2) | instskip(NEXT) | instid1(VALU_DEP_1)
	v_cmp_eq_u32_e64 s0, 0, v5
	v_cndmask_b32_e64 v130, v9, v4, s0
; %bb.1723:                             ;   in Loop: Header=BB430_1187 Depth=1
	s_or_b32 exec_lo, exec_lo, s9
	v_lshlrev_b32_e32 v4, 16, v7
                                        ; implicit-def: $vgpr131
	s_delay_alu instid0(VALU_DEP_1) | instskip(NEXT) | instid1(VALU_DEP_1)
	v_mul_f32_e32 v4, v83, v4
	v_and_b32_e32 v5, 0x7f800000, v4
	s_delay_alu instid0(VALU_DEP_1) | instskip(NEXT) | instid1(VALU_DEP_1)
	v_cmp_ne_u32_e64 s0, 0x7f800000, v5
	s_and_saveexec_b32 s9, s0
	s_delay_alu instid0(SALU_CYCLE_1)
	s_xor_b32 s0, exec_lo, s9
; %bb.1724:                             ;   in Loop: Header=BB430_1187 Depth=1
	v_bfe_u32 v5, v4, 16, 1
	s_delay_alu instid0(VALU_DEP_1)
	v_add3_u32 v131, v4, v5, 0x7fff
                                        ; implicit-def: $vgpr4
; %bb.1725:                             ;   in Loop: Header=BB430_1187 Depth=1
	s_and_not1_saveexec_b32 s9, s0
; %bb.1726:                             ;   in Loop: Header=BB430_1187 Depth=1
	v_and_b32_e32 v5, 0xffff, v4
	v_or_b32_e32 v7, 0x10000, v4
	s_delay_alu instid0(VALU_DEP_2) | instskip(NEXT) | instid1(VALU_DEP_1)
	v_cmp_eq_u32_e64 s0, 0, v5
	v_cndmask_b32_e64 v131, v7, v4, s0
; %bb.1727:                             ;   in Loop: Header=BB430_1187 Depth=1
	s_or_b32 exec_lo, exec_lo, s9
	v_lshlrev_b32_e32 v4, 16, v6
                                        ; implicit-def: $vgpr132
	s_delay_alu instid0(VALU_DEP_1) | instskip(NEXT) | instid1(VALU_DEP_1)
	v_mul_f32_e32 v4, v84, v4
	v_and_b32_e32 v5, 0x7f800000, v4
	s_delay_alu instid0(VALU_DEP_1) | instskip(NEXT) | instid1(VALU_DEP_1)
	v_cmp_ne_u32_e64 s0, 0x7f800000, v5
	s_and_saveexec_b32 s9, s0
	s_delay_alu instid0(SALU_CYCLE_1)
	s_xor_b32 s0, exec_lo, s9
; %bb.1728:                             ;   in Loop: Header=BB430_1187 Depth=1
	v_bfe_u32 v5, v4, 16, 1
	s_delay_alu instid0(VALU_DEP_1)
	v_add3_u32 v132, v4, v5, 0x7fff
                                        ; implicit-def: $vgpr4
; %bb.1729:                             ;   in Loop: Header=BB430_1187 Depth=1
	s_and_not1_saveexec_b32 s9, s0
; %bb.1730:                             ;   in Loop: Header=BB430_1187 Depth=1
	v_and_b32_e32 v5, 0xffff, v4
	v_or_b32_e32 v6, 0x10000, v4
	s_delay_alu instid0(VALU_DEP_2) | instskip(NEXT) | instid1(VALU_DEP_1)
	v_cmp_eq_u32_e64 s0, 0, v5
	v_cndmask_b32_e64 v132, v6, v4, s0
; %bb.1731:                             ;   in Loop: Header=BB430_1187 Depth=1
	s_or_b32 exec_lo, exec_lo, s9
	v_lshlrev_b32_e32 v3, 16, v3
                                        ; implicit-def: $vgpr133
	s_delay_alu instid0(VALU_DEP_1) | instskip(NEXT) | instid1(VALU_DEP_1)
	v_mul_f32_e32 v3, v85, v3
	v_and_b32_e32 v4, 0x7f800000, v3
	s_delay_alu instid0(VALU_DEP_1) | instskip(NEXT) | instid1(VALU_DEP_1)
	v_cmp_ne_u32_e64 s0, 0x7f800000, v4
	s_and_saveexec_b32 s9, s0
	s_delay_alu instid0(SALU_CYCLE_1)
	s_xor_b32 s0, exec_lo, s9
; %bb.1732:                             ;   in Loop: Header=BB430_1187 Depth=1
	v_bfe_u32 v4, v3, 16, 1
	s_delay_alu instid0(VALU_DEP_1)
	v_add3_u32 v133, v3, v4, 0x7fff
                                        ; implicit-def: $vgpr3
; %bb.1733:                             ;   in Loop: Header=BB430_1187 Depth=1
	s_and_not1_saveexec_b32 s9, s0
; %bb.1734:                             ;   in Loop: Header=BB430_1187 Depth=1
	v_and_b32_e32 v4, 0xffff, v3
	v_or_b32_e32 v5, 0x10000, v3
	s_delay_alu instid0(VALU_DEP_2) | instskip(NEXT) | instid1(VALU_DEP_1)
	v_cmp_eq_u32_e64 s0, 0, v4
	v_cndmask_b32_e64 v133, v5, v3, s0
; %bb.1735:                             ;   in Loop: Header=BB430_1187 Depth=1
	s_or_b32 exec_lo, exec_lo, s9
	v_lshlrev_b32_e32 v2, 16, v2
                                        ; implicit-def: $vgpr134
	s_delay_alu instid0(VALU_DEP_1) | instskip(NEXT) | instid1(VALU_DEP_1)
	v_mul_f32_e32 v2, v86, v2
	v_and_b32_e32 v3, 0x7f800000, v2
	s_delay_alu instid0(VALU_DEP_1) | instskip(NEXT) | instid1(VALU_DEP_1)
	v_cmp_ne_u32_e64 s0, 0x7f800000, v3
	s_and_saveexec_b32 s9, s0
	s_delay_alu instid0(SALU_CYCLE_1)
	s_xor_b32 s0, exec_lo, s9
; %bb.1736:                             ;   in Loop: Header=BB430_1187 Depth=1
	v_bfe_u32 v3, v2, 16, 1
	s_delay_alu instid0(VALU_DEP_1)
	v_add3_u32 v134, v2, v3, 0x7fff
                                        ; implicit-def: $vgpr2
; %bb.1737:                             ;   in Loop: Header=BB430_1187 Depth=1
	s_and_not1_saveexec_b32 s9, s0
; %bb.1738:                             ;   in Loop: Header=BB430_1187 Depth=1
	v_and_b32_e32 v3, 0xffff, v2
	v_or_b32_e32 v4, 0x10000, v2
	s_delay_alu instid0(VALU_DEP_2) | instskip(NEXT) | instid1(VALU_DEP_1)
	v_cmp_eq_u32_e64 s0, 0, v3
	v_cndmask_b32_e64 v134, v4, v2, s0
; %bb.1739:                             ;   in Loop: Header=BB430_1187 Depth=1
	s_or_b32 exec_lo, exec_lo, s9
	flat_load_b64 v[2:3], v[0:1] offset:1024
	s_mov_b32 s9, exec_lo
	s_waitcnt vmcnt(0) lgkmcnt(0)
	v_dual_mov_b32 v4, 0 :: v_dual_and_b32 v5, 0xff, v2
	s_delay_alu instid0(VALU_DEP_1)
	v_cmpx_ne_u16_e32 0, v5
	s_cbranch_execz .LBB430_1747
; %bb.1740:                             ;   in Loop: Header=BB430_1187 Depth=1
	v_bfrev_b32_e32 v4, 1
	s_mov_b32 s12, exec_lo
	v_cmpx_ne_u16_e32 0x80, v5
	s_cbranch_execz .LBB430_1746
; %bb.1741:                             ;   in Loop: Header=BB430_1187 Depth=1
	v_and_b32_e32 v5, 0x7f, v2
	v_mov_b32_e32 v4, 0x7f800001
	s_mov_b32 s13, exec_lo
	s_delay_alu instid0(VALU_DEP_2)
	v_cmpx_ne_u32_e32 0x7f, v5
	s_cbranch_execz .LBB430_1745
; %bb.1742:                             ;   in Loop: Header=BB430_1187 Depth=1
	v_lshrrev_b32_e32 v4, 3, v5
	v_dual_mov_b32 v7, v3 :: v_dual_mov_b32 v6, v2
	s_mov_b32 s15, exec_lo
	v_cmpx_gt_u32_e32 8, v5
; %bb.1743:                             ;   in Loop: Header=BB430_1187 Depth=1
	v_and_b32_e32 v4, 7, v2
	s_delay_alu instid0(VALU_DEP_1) | instskip(NEXT) | instid1(VALU_DEP_1)
	v_clz_i32_u32_e32 v4, v4
	v_min_u32_e32 v4, 32, v4
	s_delay_alu instid0(VALU_DEP_1) | instskip(SKIP_1) | instid1(VALU_DEP_2)
	v_subrev_nc_u32_e32 v5, 28, v4
	v_sub_nc_u32_e32 v4, 29, v4
	v_lshlrev_b64 v[6:7], v5, v[2:3]
; %bb.1744:                             ;   in Loop: Header=BB430_1187 Depth=1
	s_or_b32 exec_lo, exec_lo, s15
	s_delay_alu instid0(VALU_DEP_1) | instskip(SKIP_2) | instid1(VALU_DEP_3)
	v_lshlrev_b32_e32 v5, 20, v6
	v_lshlrev_b32_e32 v6, 24, v2
	v_lshl_add_u32 v4, v4, 23, 0x3c000000
	v_and_b32_e32 v5, 0x700000, v5
	s_delay_alu instid0(VALU_DEP_3) | instskip(NEXT) | instid1(VALU_DEP_1)
	v_and_b32_e32 v6, 0x80000000, v6
	v_or3_b32 v4, v5, v6, v4
.LBB430_1745:                           ;   in Loop: Header=BB430_1187 Depth=1
	s_or_b32 exec_lo, exec_lo, s13
.LBB430_1746:                           ;   in Loop: Header=BB430_1187 Depth=1
	s_delay_alu instid0(SALU_CYCLE_1)
	s_or_b32 exec_lo, exec_lo, s12
.LBB430_1747:                           ;   in Loop: Header=BB430_1187 Depth=1
	s_delay_alu instid0(SALU_CYCLE_1) | instskip(NEXT) | instid1(VALU_DEP_1)
	s_or_b32 exec_lo, exec_lo, s9
	v_mul_f32_e32 v5, v26, v4
	s_delay_alu instid0(VALU_DEP_1) | instskip(NEXT) | instid1(VALU_DEP_1)
	v_and_b32_e32 v4, 0x7f800000, v5
	v_cmp_ne_u32_e64 s0, 0x7f800000, v4
                                        ; implicit-def: $vgpr4
	s_delay_alu instid0(VALU_DEP_1) | instskip(NEXT) | instid1(SALU_CYCLE_1)
	s_and_saveexec_b32 s9, s0
	s_xor_b32 s0, exec_lo, s9
; %bb.1748:                             ;   in Loop: Header=BB430_1187 Depth=1
	v_bfe_u32 v4, v5, 16, 1
	s_delay_alu instid0(VALU_DEP_1)
	v_add3_u32 v4, v5, v4, 0x7fff
                                        ; implicit-def: $vgpr5
; %bb.1749:                             ;   in Loop: Header=BB430_1187 Depth=1
	s_and_not1_saveexec_b32 s9, s0
; %bb.1750:                             ;   in Loop: Header=BB430_1187 Depth=1
	v_and_b32_e32 v4, 0xffff, v5
	v_or_b32_e32 v6, 0x10000, v5
	s_delay_alu instid0(VALU_DEP_2) | instskip(NEXT) | instid1(VALU_DEP_1)
	v_cmp_eq_u32_e64 s0, 0, v4
	v_cndmask_b32_e64 v4, v6, v5, s0
; %bb.1751:                             ;   in Loop: Header=BB430_1187 Depth=1
	s_or_b32 exec_lo, exec_lo, s9
	v_lshrrev_b16 v6, 8, v2
	v_mov_b32_e32 v5, 0
	s_mov_b32 s9, exec_lo
	s_delay_alu instid0(VALU_DEP_2)
	v_cmpx_ne_u16_e32 0, v6
	s_cbranch_execz .LBB430_1759
; %bb.1752:                             ;   in Loop: Header=BB430_1187 Depth=1
	v_bfrev_b32_e32 v5, 1
	s_mov_b32 s12, exec_lo
	v_cmpx_ne_u16_e32 0x80, v6
	s_cbranch_execz .LBB430_1758
; %bb.1753:                             ;   in Loop: Header=BB430_1187 Depth=1
	v_and_b32_e32 v7, 0xffff, v6
	v_mov_b32_e32 v5, 0x7f800001
	s_mov_b32 s13, exec_lo
	s_delay_alu instid0(VALU_DEP_2) | instskip(NEXT) | instid1(VALU_DEP_1)
	v_and_b32_e32 v6, 0x7f, v7
	v_cmpx_ne_u32_e32 0x7f, v6
	s_cbranch_execz .LBB430_1757
; %bb.1754:                             ;   in Loop: Header=BB430_1187 Depth=1
	v_and_b32_e32 v9, 7, v7
	v_lshrrev_b32_e32 v5, 3, v6
	s_mov_b32 s15, exec_lo
	v_cmpx_gt_u32_e32 8, v6
; %bb.1755:                             ;   in Loop: Header=BB430_1187 Depth=1
	s_delay_alu instid0(VALU_DEP_3) | instskip(NEXT) | instid1(VALU_DEP_1)
	v_clz_i32_u32_e32 v5, v9
	v_min_u32_e32 v5, 32, v5
	s_delay_alu instid0(VALU_DEP_1) | instskip(SKIP_1) | instid1(VALU_DEP_2)
	v_subrev_nc_u32_e32 v6, 28, v5
	v_sub_nc_u32_e32 v5, 29, v5
	v_lshlrev_b64 v[6:7], v6, v[9:10]
	s_delay_alu instid0(VALU_DEP_1)
	v_and_b32_e32 v9, 7, v6
; %bb.1756:                             ;   in Loop: Header=BB430_1187 Depth=1
	s_or_b32 exec_lo, exec_lo, s15
	v_lshlrev_b32_e32 v6, 16, v2
	s_delay_alu instid0(VALU_DEP_2) | instskip(SKIP_1) | instid1(VALU_DEP_3)
	v_lshlrev_b32_e32 v7, 20, v9
	v_lshl_add_u32 v5, v5, 23, 0x3c000000
	v_and_b32_e32 v6, 0x80000000, v6
	s_delay_alu instid0(VALU_DEP_1)
	v_or3_b32 v5, v7, v6, v5
.LBB430_1757:                           ;   in Loop: Header=BB430_1187 Depth=1
	s_or_b32 exec_lo, exec_lo, s13
.LBB430_1758:                           ;   in Loop: Header=BB430_1187 Depth=1
	s_delay_alu instid0(SALU_CYCLE_1)
	s_or_b32 exec_lo, exec_lo, s12
.LBB430_1759:                           ;   in Loop: Header=BB430_1187 Depth=1
	s_delay_alu instid0(SALU_CYCLE_1) | instskip(NEXT) | instid1(VALU_DEP_1)
	s_or_b32 exec_lo, exec_lo, s9
	v_mul_f32_e32 v6, v26, v5
	s_delay_alu instid0(VALU_DEP_1) | instskip(NEXT) | instid1(VALU_DEP_1)
	v_and_b32_e32 v5, 0x7f800000, v6
	v_cmp_ne_u32_e64 s0, 0x7f800000, v5
                                        ; implicit-def: $vgpr5
	s_delay_alu instid0(VALU_DEP_1) | instskip(NEXT) | instid1(SALU_CYCLE_1)
	s_and_saveexec_b32 s9, s0
	s_xor_b32 s0, exec_lo, s9
; %bb.1760:                             ;   in Loop: Header=BB430_1187 Depth=1
	v_bfe_u32 v5, v6, 16, 1
	s_delay_alu instid0(VALU_DEP_1)
	v_add3_u32 v5, v6, v5, 0x7fff
                                        ; implicit-def: $vgpr6
; %bb.1761:                             ;   in Loop: Header=BB430_1187 Depth=1
	s_and_not1_saveexec_b32 s9, s0
; %bb.1762:                             ;   in Loop: Header=BB430_1187 Depth=1
	v_and_b32_e32 v5, 0xffff, v6
	v_or_b32_e32 v7, 0x10000, v6
	s_delay_alu instid0(VALU_DEP_2) | instskip(NEXT) | instid1(VALU_DEP_1)
	v_cmp_eq_u32_e64 s0, 0, v5
	v_cndmask_b32_e64 v5, v7, v6, s0
; %bb.1763:                             ;   in Loop: Header=BB430_1187 Depth=1
	s_or_b32 exec_lo, exec_lo, s9
	v_lshrrev_b32_e32 v6, 16, v2
	v_mov_b32_e32 v7, 0
	s_mov_b32 s9, exec_lo
	s_delay_alu instid0(VALU_DEP_2) | instskip(NEXT) | instid1(VALU_DEP_1)
	v_and_b32_e32 v9, 0xff, v6
	v_cmpx_ne_u16_e32 0, v9
	s_cbranch_execz .LBB430_1771
; %bb.1764:                             ;   in Loop: Header=BB430_1187 Depth=1
	v_bfrev_b32_e32 v7, 1
	s_mov_b32 s12, exec_lo
	v_cmpx_ne_u16_e32 0x80, v9
	s_cbranch_execz .LBB430_1770
; %bb.1765:                             ;   in Loop: Header=BB430_1187 Depth=1
	v_bfe_u32 v32, v2, 16, 7
	v_mov_b32_e32 v7, 0x7f800001
	s_mov_b32 s13, exec_lo
	s_delay_alu instid0(VALU_DEP_2)
	v_cmpx_ne_u32_e32 0x7f, v32
	s_cbranch_execz .LBB430_1769
; %bb.1766:                             ;   in Loop: Header=BB430_1187 Depth=1
	v_and_b32_e32 v9, 7, v6
	v_lshrrev_b32_e32 v7, 3, v32
	s_mov_b32 s15, exec_lo
	v_cmpx_gt_u32_e32 8, v32
; %bb.1767:                             ;   in Loop: Header=BB430_1187 Depth=1
	s_delay_alu instid0(VALU_DEP_3) | instskip(NEXT) | instid1(VALU_DEP_1)
	v_clz_i32_u32_e32 v7, v9
	v_min_u32_e32 v7, 32, v7
	s_delay_alu instid0(VALU_DEP_1) | instskip(SKIP_1) | instid1(VALU_DEP_2)
	v_subrev_nc_u32_e32 v32, 28, v7
	v_sub_nc_u32_e32 v7, 29, v7
	v_lshlrev_b64 v[32:33], v32, v[9:10]
	s_delay_alu instid0(VALU_DEP_1)
	v_and_b32_e32 v9, 7, v32
; %bb.1768:                             ;   in Loop: Header=BB430_1187 Depth=1
	s_or_b32 exec_lo, exec_lo, s15
	v_lshlrev_b32_e32 v6, 24, v6
	s_delay_alu instid0(VALU_DEP_2) | instskip(SKIP_1) | instid1(VALU_DEP_3)
	v_lshlrev_b32_e32 v9, 20, v9
	v_lshl_add_u32 v7, v7, 23, 0x3c000000
	v_and_b32_e32 v6, 0x80000000, v6
	s_delay_alu instid0(VALU_DEP_1)
	v_or3_b32 v7, v9, v6, v7
.LBB430_1769:                           ;   in Loop: Header=BB430_1187 Depth=1
	s_or_b32 exec_lo, exec_lo, s13
.LBB430_1770:                           ;   in Loop: Header=BB430_1187 Depth=1
	s_delay_alu instid0(SALU_CYCLE_1)
	s_or_b32 exec_lo, exec_lo, s12
.LBB430_1771:                           ;   in Loop: Header=BB430_1187 Depth=1
	s_delay_alu instid0(SALU_CYCLE_1) | instskip(NEXT) | instid1(VALU_DEP_1)
	s_or_b32 exec_lo, exec_lo, s9
	v_mul_f32_e32 v6, v26, v7
                                        ; implicit-def: $vgpr32
	s_delay_alu instid0(VALU_DEP_1) | instskip(NEXT) | instid1(VALU_DEP_1)
	v_and_b32_e32 v7, 0x7f800000, v6
	v_cmp_ne_u32_e64 s0, 0x7f800000, v7
	s_delay_alu instid0(VALU_DEP_1) | instskip(NEXT) | instid1(SALU_CYCLE_1)
	s_and_saveexec_b32 s9, s0
	s_xor_b32 s0, exec_lo, s9
; %bb.1772:                             ;   in Loop: Header=BB430_1187 Depth=1
	v_bfe_u32 v7, v6, 16, 1
	s_delay_alu instid0(VALU_DEP_1)
	v_add3_u32 v32, v6, v7, 0x7fff
                                        ; implicit-def: $vgpr6
; %bb.1773:                             ;   in Loop: Header=BB430_1187 Depth=1
	s_and_not1_saveexec_b32 s9, s0
; %bb.1774:                             ;   in Loop: Header=BB430_1187 Depth=1
	v_and_b32_e32 v7, 0xffff, v6
	v_or_b32_e32 v9, 0x10000, v6
	s_delay_alu instid0(VALU_DEP_2) | instskip(NEXT) | instid1(VALU_DEP_1)
	v_cmp_eq_u32_e64 s0, 0, v7
	v_cndmask_b32_e64 v32, v9, v6, s0
; %bb.1775:                             ;   in Loop: Header=BB430_1187 Depth=1
	s_or_b32 exec_lo, exec_lo, s9
	v_mov_b32_e32 v7, 0
	s_mov_b32 s9, exec_lo
	v_cmpx_lt_u32_e32 0xffffff, v2
	s_cbranch_execz .LBB430_1783
; %bb.1776:                             ;   in Loop: Header=BB430_1187 Depth=1
	v_lshrrev_b32_e32 v6, 24, v2
	v_bfrev_b32_e32 v7, 1
	s_mov_b32 s12, exec_lo
	s_delay_alu instid0(VALU_DEP_2)
	v_cmpx_ne_u32_e32 0x80, v6
	s_cbranch_execz .LBB430_1782
; %bb.1777:                             ;   in Loop: Header=BB430_1187 Depth=1
	v_bfe_u32 v33, v2, 24, 7
	v_mov_b32_e32 v7, 0x7f800001
	s_mov_b32 s13, exec_lo
	s_delay_alu instid0(VALU_DEP_2)
	v_cmpx_ne_u32_e32 0x7f, v33
	s_cbranch_execz .LBB430_1781
; %bb.1778:                             ;   in Loop: Header=BB430_1187 Depth=1
	v_and_b32_e32 v9, 7, v6
	v_lshrrev_b32_e32 v7, 3, v33
	s_mov_b32 s15, exec_lo
	v_cmpx_gt_u32_e32 8, v33
; %bb.1779:                             ;   in Loop: Header=BB430_1187 Depth=1
	s_delay_alu instid0(VALU_DEP_3) | instskip(NEXT) | instid1(VALU_DEP_1)
	v_clz_i32_u32_e32 v7, v9
	v_min_u32_e32 v7, 32, v7
	s_delay_alu instid0(VALU_DEP_1) | instskip(SKIP_1) | instid1(VALU_DEP_2)
	v_subrev_nc_u32_e32 v33, 28, v7
	v_sub_nc_u32_e32 v7, 29, v7
	v_lshlrev_b64 v[33:34], v33, v[9:10]
	s_delay_alu instid0(VALU_DEP_1)
	v_and_b32_e32 v9, 7, v33
; %bb.1780:                             ;   in Loop: Header=BB430_1187 Depth=1
	s_or_b32 exec_lo, exec_lo, s15
	v_lshlrev_b32_e32 v6, 24, v6
	s_delay_alu instid0(VALU_DEP_2) | instskip(SKIP_1) | instid1(VALU_DEP_3)
	v_lshlrev_b32_e32 v9, 20, v9
	v_lshl_add_u32 v7, v7, 23, 0x3c000000
	v_and_b32_e32 v6, 0x80000000, v6
	s_delay_alu instid0(VALU_DEP_1)
	v_or3_b32 v7, v9, v6, v7
.LBB430_1781:                           ;   in Loop: Header=BB430_1187 Depth=1
	s_or_b32 exec_lo, exec_lo, s13
.LBB430_1782:                           ;   in Loop: Header=BB430_1187 Depth=1
	s_delay_alu instid0(SALU_CYCLE_1)
	s_or_b32 exec_lo, exec_lo, s12
.LBB430_1783:                           ;   in Loop: Header=BB430_1187 Depth=1
	s_delay_alu instid0(SALU_CYCLE_1) | instskip(NEXT) | instid1(VALU_DEP_1)
	s_or_b32 exec_lo, exec_lo, s9
	v_mul_f32_e32 v6, v26, v7
                                        ; implicit-def: $vgpr33
	s_delay_alu instid0(VALU_DEP_1) | instskip(NEXT) | instid1(VALU_DEP_1)
	v_and_b32_e32 v7, 0x7f800000, v6
	v_cmp_ne_u32_e64 s0, 0x7f800000, v7
	s_delay_alu instid0(VALU_DEP_1) | instskip(NEXT) | instid1(SALU_CYCLE_1)
	s_and_saveexec_b32 s9, s0
	s_xor_b32 s0, exec_lo, s9
; %bb.1784:                             ;   in Loop: Header=BB430_1187 Depth=1
	v_bfe_u32 v7, v6, 16, 1
	s_delay_alu instid0(VALU_DEP_1)
	v_add3_u32 v33, v6, v7, 0x7fff
                                        ; implicit-def: $vgpr6
; %bb.1785:                             ;   in Loop: Header=BB430_1187 Depth=1
	s_and_not1_saveexec_b32 s9, s0
; %bb.1786:                             ;   in Loop: Header=BB430_1187 Depth=1
	v_and_b32_e32 v7, 0xffff, v6
	v_or_b32_e32 v9, 0x10000, v6
	s_delay_alu instid0(VALU_DEP_2) | instskip(NEXT) | instid1(VALU_DEP_1)
	v_cmp_eq_u32_e64 s0, 0, v7
	v_cndmask_b32_e64 v33, v9, v6, s0
; %bb.1787:                             ;   in Loop: Header=BB430_1187 Depth=1
	s_or_b32 exec_lo, exec_lo, s9
	v_dual_mov_b32 v6, 0 :: v_dual_and_b32 v7, 0xff, v3
	v_mov_b32_e32 v9, v3
	s_mov_b32 s9, exec_lo
	s_delay_alu instid0(VALU_DEP_2)
	v_cmpx_ne_u16_e32 0, v7
	s_cbranch_execz .LBB430_1795
; %bb.1788:                             ;   in Loop: Header=BB430_1187 Depth=1
	v_bfrev_b32_e32 v6, 1
	s_mov_b32 s12, exec_lo
	v_cmpx_ne_u16_e32 0x80, v7
	s_cbranch_execz .LBB430_1794
; %bb.1789:                             ;   in Loop: Header=BB430_1187 Depth=1
	v_and_b32_e32 v7, 0x7f, v3
	v_mov_b32_e32 v6, 0x7f800001
	s_mov_b32 s13, exec_lo
	s_delay_alu instid0(VALU_DEP_2)
	v_cmpx_ne_u32_e32 0x7f, v7
	s_cbranch_execz .LBB430_1793
; %bb.1790:                             ;   in Loop: Header=BB430_1187 Depth=1
	v_lshrrev_b32_e32 v34, 3, v7
	v_cmp_gt_u32_e64 s0, 8, v7
	v_dual_mov_b32 v6, v9 :: v_dual_mov_b32 v7, v10
	s_delay_alu instid0(VALU_DEP_2)
	s_and_saveexec_b32 s15, s0
; %bb.1791:                             ;   in Loop: Header=BB430_1187 Depth=1
	v_and_b32_e32 v6, 7, v3
	s_delay_alu instid0(VALU_DEP_1) | instskip(NEXT) | instid1(VALU_DEP_1)
	v_clz_i32_u32_e32 v6, v6
	v_min_u32_e32 v34, 32, v6
	s_delay_alu instid0(VALU_DEP_1) | instskip(SKIP_1) | instid1(VALU_DEP_2)
	v_subrev_nc_u32_e32 v6, 28, v34
	v_sub_nc_u32_e32 v34, 29, v34
	v_lshlrev_b64 v[6:7], v6, v[9:10]
; %bb.1792:                             ;   in Loop: Header=BB430_1187 Depth=1
	s_or_b32 exec_lo, exec_lo, s15
	s_delay_alu instid0(VALU_DEP_1) | instskip(SKIP_2) | instid1(VALU_DEP_3)
	v_lshlrev_b32_e32 v6, 20, v6
	v_lshlrev_b32_e32 v7, 24, v9
	v_lshl_add_u32 v34, v34, 23, 0x3c000000
	v_and_b32_e32 v6, 0x700000, v6
	s_delay_alu instid0(VALU_DEP_3) | instskip(NEXT) | instid1(VALU_DEP_1)
	v_and_b32_e32 v7, 0x80000000, v7
	v_or3_b32 v6, v6, v7, v34
.LBB430_1793:                           ;   in Loop: Header=BB430_1187 Depth=1
	s_or_b32 exec_lo, exec_lo, s13
.LBB430_1794:                           ;   in Loop: Header=BB430_1187 Depth=1
	s_delay_alu instid0(SALU_CYCLE_1)
	s_or_b32 exec_lo, exec_lo, s12
.LBB430_1795:                           ;   in Loop: Header=BB430_1187 Depth=1
	s_delay_alu instid0(SALU_CYCLE_1) | instskip(NEXT) | instid1(VALU_DEP_1)
	s_or_b32 exec_lo, exec_lo, s9
	v_mul_f32_e32 v6, v26, v6
                                        ; implicit-def: $vgpr34
	s_delay_alu instid0(VALU_DEP_1) | instskip(NEXT) | instid1(VALU_DEP_1)
	v_and_b32_e32 v7, 0x7f800000, v6
	v_cmp_ne_u32_e64 s0, 0x7f800000, v7
	s_delay_alu instid0(VALU_DEP_1) | instskip(NEXT) | instid1(SALU_CYCLE_1)
	s_and_saveexec_b32 s9, s0
	s_xor_b32 s0, exec_lo, s9
; %bb.1796:                             ;   in Loop: Header=BB430_1187 Depth=1
	v_bfe_u32 v7, v6, 16, 1
	s_delay_alu instid0(VALU_DEP_1)
	v_add3_u32 v34, v6, v7, 0x7fff
                                        ; implicit-def: $vgpr6
; %bb.1797:                             ;   in Loop: Header=BB430_1187 Depth=1
	s_and_not1_saveexec_b32 s9, s0
; %bb.1798:                             ;   in Loop: Header=BB430_1187 Depth=1
	v_and_b32_e32 v7, 0xffff, v6
	v_or_b32_e32 v34, 0x10000, v6
	s_delay_alu instid0(VALU_DEP_2) | instskip(NEXT) | instid1(VALU_DEP_1)
	v_cmp_eq_u32_e64 s0, 0, v7
	v_cndmask_b32_e64 v34, v34, v6, s0
; %bb.1799:                             ;   in Loop: Header=BB430_1187 Depth=1
	s_or_b32 exec_lo, exec_lo, s9
	v_lshrrev_b16 v7, 8, v9
	v_mov_b32_e32 v6, 0
	s_mov_b32 s9, exec_lo
	s_delay_alu instid0(VALU_DEP_2)
	v_cmpx_ne_u16_e32 0, v7
	s_cbranch_execz .LBB430_1807
; %bb.1800:                             ;   in Loop: Header=BB430_1187 Depth=1
	v_bfrev_b32_e32 v6, 1
	s_mov_b32 s12, exec_lo
	v_cmpx_ne_u16_e32 0x80, v7
	s_cbranch_execz .LBB430_1806
; %bb.1801:                             ;   in Loop: Header=BB430_1187 Depth=1
	v_and_b32_e32 v7, 0xffff, v7
	v_mov_b32_e32 v6, 0x7f800001
	s_mov_b32 s13, exec_lo
	s_delay_alu instid0(VALU_DEP_2) | instskip(NEXT) | instid1(VALU_DEP_1)
	v_and_b32_e32 v135, 0x7f, v7
	v_cmpx_ne_u32_e32 0x7f, v135
	s_cbranch_execz .LBB430_1805
; %bb.1802:                             ;   in Loop: Header=BB430_1187 Depth=1
	v_dual_mov_b32 v7, v10 :: v_dual_and_b32 v6, 7, v7
	v_lshrrev_b32_e32 v36, 3, v135
	s_mov_b32 s15, exec_lo
	v_cmpx_gt_u32_e32 8, v135
; %bb.1803:                             ;   in Loop: Header=BB430_1187 Depth=1
	s_delay_alu instid0(VALU_DEP_3) | instskip(NEXT) | instid1(VALU_DEP_1)
	v_clz_i32_u32_e32 v36, v6
	v_min_u32_e32 v36, 32, v36
	s_delay_alu instid0(VALU_DEP_1) | instskip(SKIP_1) | instid1(VALU_DEP_2)
	v_subrev_nc_u32_e32 v135, 28, v36
	v_sub_nc_u32_e32 v36, 29, v36
	v_lshlrev_b64 v[6:7], v135, v[6:7]
	s_delay_alu instid0(VALU_DEP_1)
	v_and_b32_e32 v6, 7, v6
; %bb.1804:                             ;   in Loop: Header=BB430_1187 Depth=1
	s_or_b32 exec_lo, exec_lo, s15
	v_lshlrev_b32_e32 v7, 16, v9
	s_delay_alu instid0(VALU_DEP_2) | instskip(SKIP_1) | instid1(VALU_DEP_3)
	v_lshlrev_b32_e32 v6, 20, v6
	v_lshl_add_u32 v9, v36, 23, 0x3c000000
	v_and_b32_e32 v7, 0x80000000, v7
	s_delay_alu instid0(VALU_DEP_1)
	v_or3_b32 v6, v6, v7, v9
.LBB430_1805:                           ;   in Loop: Header=BB430_1187 Depth=1
	s_or_b32 exec_lo, exec_lo, s13
.LBB430_1806:                           ;   in Loop: Header=BB430_1187 Depth=1
	s_delay_alu instid0(SALU_CYCLE_1)
	s_or_b32 exec_lo, exec_lo, s12
.LBB430_1807:                           ;   in Loop: Header=BB430_1187 Depth=1
	s_delay_alu instid0(SALU_CYCLE_1) | instskip(NEXT) | instid1(VALU_DEP_1)
	s_or_b32 exec_lo, exec_lo, s9
	v_mul_f32_e32 v6, v26, v6
                                        ; implicit-def: $vgpr36
	s_delay_alu instid0(VALU_DEP_1) | instskip(NEXT) | instid1(VALU_DEP_1)
	v_and_b32_e32 v7, 0x7f800000, v6
	v_cmp_ne_u32_e64 s0, 0x7f800000, v7
	s_delay_alu instid0(VALU_DEP_1) | instskip(NEXT) | instid1(SALU_CYCLE_1)
	s_and_saveexec_b32 s9, s0
	s_xor_b32 s0, exec_lo, s9
; %bb.1808:                             ;   in Loop: Header=BB430_1187 Depth=1
	v_bfe_u32 v7, v6, 16, 1
	s_delay_alu instid0(VALU_DEP_1)
	v_add3_u32 v36, v6, v7, 0x7fff
                                        ; implicit-def: $vgpr6
; %bb.1809:                             ;   in Loop: Header=BB430_1187 Depth=1
	s_and_not1_saveexec_b32 s9, s0
; %bb.1810:                             ;   in Loop: Header=BB430_1187 Depth=1
	v_and_b32_e32 v7, 0xffff, v6
	v_or_b32_e32 v9, 0x10000, v6
	s_delay_alu instid0(VALU_DEP_2) | instskip(NEXT) | instid1(VALU_DEP_1)
	v_cmp_eq_u32_e64 s0, 0, v7
	v_cndmask_b32_e64 v36, v9, v6, s0
; %bb.1811:                             ;   in Loop: Header=BB430_1187 Depth=1
	s_or_b32 exec_lo, exec_lo, s9
	v_lshrrev_b32_e32 v135, 16, v3
	s_mov_b32 s9, exec_lo
	s_delay_alu instid0(VALU_DEP_1) | instskip(NEXT) | instid1(VALU_DEP_1)
	v_dual_mov_b32 v6, 0 :: v_dual_and_b32 v7, 0xff, v135
	v_cmpx_ne_u16_e32 0, v7
	s_cbranch_execz .LBB430_1819
; %bb.1812:                             ;   in Loop: Header=BB430_1187 Depth=1
	v_bfrev_b32_e32 v6, 1
	s_mov_b32 s12, exec_lo
	v_cmpx_ne_u16_e32 0x80, v7
	s_cbranch_execz .LBB430_1818
; %bb.1813:                             ;   in Loop: Header=BB430_1187 Depth=1
	v_bfe_u32 v7, v3, 16, 7
	v_mov_b32_e32 v6, 0x7f800001
	s_mov_b32 s13, exec_lo
	s_delay_alu instid0(VALU_DEP_2)
	v_cmpx_ne_u32_e32 0x7f, v7
	s_cbranch_execz .LBB430_1817
; %bb.1814:                             ;   in Loop: Header=BB430_1187 Depth=1
	v_and_b32_e32 v9, 7, v135
	v_lshrrev_b32_e32 v144, 3, v7
	v_cmp_gt_u32_e64 s0, 8, v7
	s_delay_alu instid0(VALU_DEP_3) | instskip(NEXT) | instid1(VALU_DEP_2)
	v_dual_mov_b32 v6, v9 :: v_dual_mov_b32 v7, v10
	s_and_saveexec_b32 s15, s0
; %bb.1815:                             ;   in Loop: Header=BB430_1187 Depth=1
	v_clz_i32_u32_e32 v6, v9
	s_delay_alu instid0(VALU_DEP_1) | instskip(NEXT) | instid1(VALU_DEP_1)
	v_min_u32_e32 v144, 32, v6
	v_subrev_nc_u32_e32 v6, 28, v144
	v_sub_nc_u32_e32 v144, 29, v144
	s_delay_alu instid0(VALU_DEP_2) | instskip(NEXT) | instid1(VALU_DEP_1)
	v_lshlrev_b64 v[6:7], v6, v[9:10]
	v_and_b32_e32 v6, 7, v6
; %bb.1816:                             ;   in Loop: Header=BB430_1187 Depth=1
	s_or_b32 exec_lo, exec_lo, s15
	v_lshlrev_b32_e32 v7, 24, v135
	s_delay_alu instid0(VALU_DEP_2) | instskip(SKIP_1) | instid1(VALU_DEP_3)
	v_lshlrev_b32_e32 v6, 20, v6
	v_lshl_add_u32 v9, v144, 23, 0x3c000000
	v_and_b32_e32 v7, 0x80000000, v7
	s_delay_alu instid0(VALU_DEP_1)
	v_or3_b32 v6, v6, v7, v9
.LBB430_1817:                           ;   in Loop: Header=BB430_1187 Depth=1
	s_or_b32 exec_lo, exec_lo, s13
.LBB430_1818:                           ;   in Loop: Header=BB430_1187 Depth=1
	s_delay_alu instid0(SALU_CYCLE_1)
	s_or_b32 exec_lo, exec_lo, s12
.LBB430_1819:                           ;   in Loop: Header=BB430_1187 Depth=1
	s_delay_alu instid0(SALU_CYCLE_1) | instskip(NEXT) | instid1(VALU_DEP_1)
	s_or_b32 exec_lo, exec_lo, s9
	v_mul_f32_e32 v6, v26, v6
                                        ; implicit-def: $vgpr135
	s_delay_alu instid0(VALU_DEP_1) | instskip(NEXT) | instid1(VALU_DEP_1)
	v_and_b32_e32 v7, 0x7f800000, v6
	v_cmp_ne_u32_e64 s0, 0x7f800000, v7
	s_delay_alu instid0(VALU_DEP_1) | instskip(NEXT) | instid1(SALU_CYCLE_1)
	s_and_saveexec_b32 s9, s0
	s_xor_b32 s0, exec_lo, s9
; %bb.1820:                             ;   in Loop: Header=BB430_1187 Depth=1
	v_bfe_u32 v7, v6, 16, 1
	s_delay_alu instid0(VALU_DEP_1)
	v_add3_u32 v135, v6, v7, 0x7fff
                                        ; implicit-def: $vgpr6
; %bb.1821:                             ;   in Loop: Header=BB430_1187 Depth=1
	s_and_not1_saveexec_b32 s9, s0
; %bb.1822:                             ;   in Loop: Header=BB430_1187 Depth=1
	v_and_b32_e32 v7, 0xffff, v6
	v_or_b32_e32 v9, 0x10000, v6
	s_delay_alu instid0(VALU_DEP_2) | instskip(NEXT) | instid1(VALU_DEP_1)
	v_cmp_eq_u32_e64 s0, 0, v7
	v_cndmask_b32_e64 v135, v9, v6, s0
; %bb.1823:                             ;   in Loop: Header=BB430_1187 Depth=1
	s_or_b32 exec_lo, exec_lo, s9
	v_cmp_lt_u64_e64 s0, s[2:3], v[2:3]
	v_mov_b32_e32 v2, 0
	s_delay_alu instid0(VALU_DEP_2)
	s_and_saveexec_b32 s9, s0
	s_cbranch_execz .LBB430_1831
; %bb.1824:                             ;   in Loop: Header=BB430_1187 Depth=1
	v_lshrrev_b32_e32 v6, 24, v3
	v_bfrev_b32_e32 v2, 1
	s_mov_b32 s12, exec_lo
	s_delay_alu instid0(VALU_DEP_2)
	v_cmpx_ne_u32_e32 0x80, v6
	s_cbranch_execz .LBB430_1830
; %bb.1825:                             ;   in Loop: Header=BB430_1187 Depth=1
	v_bfe_u32 v3, v3, 24, 7
	v_mov_b32_e32 v2, 0x7f800001
	s_mov_b32 s13, exec_lo
	s_delay_alu instid0(VALU_DEP_2)
	v_cmpx_ne_u32_e32 0x7f, v3
	s_cbranch_execz .LBB430_1829
; %bb.1826:                             ;   in Loop: Header=BB430_1187 Depth=1
	v_and_b32_e32 v9, 7, v6
	v_lshrrev_b32_e32 v7, 3, v3
	v_cmp_gt_u32_e64 s0, 8, v3
	s_delay_alu instid0(VALU_DEP_3) | instskip(NEXT) | instid1(VALU_DEP_2)
	v_dual_mov_b32 v2, v9 :: v_dual_mov_b32 v3, v10
	s_and_saveexec_b32 s15, s0
; %bb.1827:                             ;   in Loop: Header=BB430_1187 Depth=1
	v_clz_i32_u32_e32 v2, v9
	s_delay_alu instid0(VALU_DEP_1) | instskip(NEXT) | instid1(VALU_DEP_1)
	v_min_u32_e32 v7, 32, v2
	v_subrev_nc_u32_e32 v2, 28, v7
	v_sub_nc_u32_e32 v7, 29, v7
	s_delay_alu instid0(VALU_DEP_2) | instskip(NEXT) | instid1(VALU_DEP_1)
	v_lshlrev_b64 v[2:3], v2, v[9:10]
	v_and_b32_e32 v2, 7, v2
; %bb.1828:                             ;   in Loop: Header=BB430_1187 Depth=1
	s_or_b32 exec_lo, exec_lo, s15
	v_lshlrev_b32_e32 v3, 24, v6
	s_delay_alu instid0(VALU_DEP_2) | instskip(SKIP_1) | instid1(VALU_DEP_3)
	v_lshlrev_b32_e32 v2, 20, v2
	v_lshl_add_u32 v6, v7, 23, 0x3c000000
	v_and_b32_e32 v3, 0x80000000, v3
	s_delay_alu instid0(VALU_DEP_1)
	v_or3_b32 v2, v2, v3, v6
.LBB430_1829:                           ;   in Loop: Header=BB430_1187 Depth=1
	s_or_b32 exec_lo, exec_lo, s13
.LBB430_1830:                           ;   in Loop: Header=BB430_1187 Depth=1
	s_delay_alu instid0(SALU_CYCLE_1)
	s_or_b32 exec_lo, exec_lo, s12
.LBB430_1831:                           ;   in Loop: Header=BB430_1187 Depth=1
	s_delay_alu instid0(SALU_CYCLE_1) | instskip(NEXT) | instid1(VALU_DEP_1)
	s_or_b32 exec_lo, exec_lo, s9
	v_mul_f32_e32 v3, v26, v2
	s_delay_alu instid0(VALU_DEP_1) | instskip(NEXT) | instid1(VALU_DEP_1)
	v_and_b32_e32 v2, 0x7f800000, v3
	v_cmp_ne_u32_e64 s0, 0x7f800000, v2
                                        ; implicit-def: $vgpr2
	s_delay_alu instid0(VALU_DEP_1) | instskip(NEXT) | instid1(SALU_CYCLE_1)
	s_and_saveexec_b32 s9, s0
	s_xor_b32 s0, exec_lo, s9
; %bb.1832:                             ;   in Loop: Header=BB430_1187 Depth=1
	v_bfe_u32 v2, v3, 16, 1
	s_delay_alu instid0(VALU_DEP_1)
	v_add3_u32 v2, v3, v2, 0x7fff
                                        ; implicit-def: $vgpr3
; %bb.1833:                             ;   in Loop: Header=BB430_1187 Depth=1
	s_and_not1_saveexec_b32 s9, s0
; %bb.1834:                             ;   in Loop: Header=BB430_1187 Depth=1
	v_and_b32_e32 v2, 0xffff, v3
	v_or_b32_e32 v6, 0x10000, v3
	s_delay_alu instid0(VALU_DEP_2) | instskip(NEXT) | instid1(VALU_DEP_1)
	v_cmp_eq_u32_e64 s0, 0, v2
	v_cndmask_b32_e64 v2, v6, v3, s0
; %bb.1835:                             ;   in Loop: Header=BB430_1187 Depth=1
	s_or_b32 exec_lo, exec_lo, s9
	v_lshrrev_b32_e32 v6, 16, v36
	v_lshrrev_b32_e32 v7, 16, v34
	;; [unrolled: 1-line block ×8, first 2 shown]
	s_and_saveexec_b32 s9, vcc_lo
	s_cbranch_execz .LBB430_1837
; %bb.1836:                             ;   in Loop: Header=BB430_1187 Depth=1
	v_cmp_lt_i32_e64 s0, v64, v35
	s_delay_alu instid0(VALU_DEP_1) | instskip(SKIP_1) | instid1(VALU_DEP_1)
	v_cndmask_b32_e64 v4, 0, v4, s0
	v_cmp_lt_i32_e64 s0, v70, v35
	v_cndmask_b32_e64 v5, 0, v5, s0
	v_cmp_lt_i32_e64 s0, v69, v35
	s_delay_alu instid0(VALU_DEP_1) | instskip(SKIP_1) | instid1(VALU_DEP_1)
	v_cndmask_b32_e64 v32, 0, v32, s0
	v_cmp_lt_i32_e64 s0, v68, v35
	v_cndmask_b32_e64 v9, 0, v9, s0
	;; [unrolled: 5-line block ×4, first 2 shown]
.LBB430_1837:                           ;   in Loop: Header=BB430_1187 Depth=1
	s_or_b32 exec_lo, exec_lo, s9
	v_lshlrev_b32_e32 v4, 16, v4
                                        ; implicit-def: $vgpr135
	s_delay_alu instid0(VALU_DEP_1) | instskip(NEXT) | instid1(VALU_DEP_1)
	v_mul_f32_e32 v4, v71, v4
	v_and_b32_e32 v33, 0x7f800000, v4
	s_delay_alu instid0(VALU_DEP_1) | instskip(NEXT) | instid1(VALU_DEP_1)
	v_cmp_ne_u32_e64 s0, 0x7f800000, v33
	s_and_saveexec_b32 s9, s0
	s_delay_alu instid0(SALU_CYCLE_1)
	s_xor_b32 s0, exec_lo, s9
; %bb.1838:                             ;   in Loop: Header=BB430_1187 Depth=1
	v_bfe_u32 v33, v4, 16, 1
	s_delay_alu instid0(VALU_DEP_1)
	v_add3_u32 v135, v4, v33, 0x7fff
                                        ; implicit-def: $vgpr4
; %bb.1839:                             ;   in Loop: Header=BB430_1187 Depth=1
	s_and_not1_saveexec_b32 s9, s0
; %bb.1840:                             ;   in Loop: Header=BB430_1187 Depth=1
	v_and_b32_e32 v33, 0xffff, v4
	v_or_b32_e32 v34, 0x10000, v4
	s_delay_alu instid0(VALU_DEP_2) | instskip(NEXT) | instid1(VALU_DEP_1)
	v_cmp_eq_u32_e64 s0, 0, v33
	v_cndmask_b32_e64 v135, v34, v4, s0
; %bb.1841:                             ;   in Loop: Header=BB430_1187 Depth=1
	s_or_b32 exec_lo, exec_lo, s9
	v_lshlrev_b32_e32 v4, 16, v5
                                        ; implicit-def: $vgpr144
	s_delay_alu instid0(VALU_DEP_1) | instskip(NEXT) | instid1(VALU_DEP_1)
	v_mul_f32_e32 v4, v80, v4
	v_and_b32_e32 v5, 0x7f800000, v4
	s_delay_alu instid0(VALU_DEP_1) | instskip(NEXT) | instid1(VALU_DEP_1)
	v_cmp_ne_u32_e64 s0, 0x7f800000, v5
	s_and_saveexec_b32 s9, s0
	s_delay_alu instid0(SALU_CYCLE_1)
	s_xor_b32 s0, exec_lo, s9
; %bb.1842:                             ;   in Loop: Header=BB430_1187 Depth=1
	v_bfe_u32 v5, v4, 16, 1
	s_delay_alu instid0(VALU_DEP_1)
	v_add3_u32 v144, v4, v5, 0x7fff
                                        ; implicit-def: $vgpr4
; %bb.1843:                             ;   in Loop: Header=BB430_1187 Depth=1
	s_and_not1_saveexec_b32 s9, s0
; %bb.1844:                             ;   in Loop: Header=BB430_1187 Depth=1
	v_and_b32_e32 v5, 0xffff, v4
	v_or_b32_e32 v33, 0x10000, v4
	s_delay_alu instid0(VALU_DEP_2) | instskip(NEXT) | instid1(VALU_DEP_1)
	v_cmp_eq_u32_e64 s0, 0, v5
	v_cndmask_b32_e64 v144, v33, v4, s0
; %bb.1845:                             ;   in Loop: Header=BB430_1187 Depth=1
	s_or_b32 exec_lo, exec_lo, s9
	v_lshlrev_b32_e32 v4, 16, v32
                                        ; implicit-def: $vgpr145
	s_delay_alu instid0(VALU_DEP_1) | instskip(NEXT) | instid1(VALU_DEP_1)
	v_mul_f32_e32 v4, v81, v4
	v_and_b32_e32 v5, 0x7f800000, v4
	s_delay_alu instid0(VALU_DEP_1) | instskip(NEXT) | instid1(VALU_DEP_1)
	v_cmp_ne_u32_e64 s0, 0x7f800000, v5
	s_and_saveexec_b32 s9, s0
	s_delay_alu instid0(SALU_CYCLE_1)
	s_xor_b32 s0, exec_lo, s9
; %bb.1846:                             ;   in Loop: Header=BB430_1187 Depth=1
	v_bfe_u32 v5, v4, 16, 1
	s_delay_alu instid0(VALU_DEP_1)
	v_add3_u32 v145, v4, v5, 0x7fff
                                        ; implicit-def: $vgpr4
; %bb.1847:                             ;   in Loop: Header=BB430_1187 Depth=1
	s_and_not1_saveexec_b32 s9, s0
; %bb.1848:                             ;   in Loop: Header=BB430_1187 Depth=1
	v_and_b32_e32 v5, 0xffff, v4
	v_or_b32_e32 v32, 0x10000, v4
	s_delay_alu instid0(VALU_DEP_2) | instskip(NEXT) | instid1(VALU_DEP_1)
	v_cmp_eq_u32_e64 s0, 0, v5
	v_cndmask_b32_e64 v145, v32, v4, s0
; %bb.1849:                             ;   in Loop: Header=BB430_1187 Depth=1
	s_or_b32 exec_lo, exec_lo, s9
	v_lshlrev_b32_e32 v4, 16, v9
                                        ; implicit-def: $vgpr146
	s_delay_alu instid0(VALU_DEP_1) | instskip(NEXT) | instid1(VALU_DEP_1)
	v_mul_f32_e32 v4, v82, v4
	v_and_b32_e32 v5, 0x7f800000, v4
	s_delay_alu instid0(VALU_DEP_1) | instskip(NEXT) | instid1(VALU_DEP_1)
	v_cmp_ne_u32_e64 s0, 0x7f800000, v5
	s_and_saveexec_b32 s9, s0
	s_delay_alu instid0(SALU_CYCLE_1)
	s_xor_b32 s0, exec_lo, s9
; %bb.1850:                             ;   in Loop: Header=BB430_1187 Depth=1
	v_bfe_u32 v5, v4, 16, 1
	s_delay_alu instid0(VALU_DEP_1)
	v_add3_u32 v146, v4, v5, 0x7fff
                                        ; implicit-def: $vgpr4
; %bb.1851:                             ;   in Loop: Header=BB430_1187 Depth=1
	s_and_not1_saveexec_b32 s9, s0
; %bb.1852:                             ;   in Loop: Header=BB430_1187 Depth=1
	v_and_b32_e32 v5, 0xffff, v4
	v_or_b32_e32 v9, 0x10000, v4
	s_delay_alu instid0(VALU_DEP_2) | instskip(NEXT) | instid1(VALU_DEP_1)
	v_cmp_eq_u32_e64 s0, 0, v5
	v_cndmask_b32_e64 v146, v9, v4, s0
; %bb.1853:                             ;   in Loop: Header=BB430_1187 Depth=1
	s_or_b32 exec_lo, exec_lo, s9
	v_lshlrev_b32_e32 v4, 16, v7
                                        ; implicit-def: $vgpr147
	s_delay_alu instid0(VALU_DEP_1) | instskip(NEXT) | instid1(VALU_DEP_1)
	v_mul_f32_e32 v4, v83, v4
	v_and_b32_e32 v5, 0x7f800000, v4
	s_delay_alu instid0(VALU_DEP_1) | instskip(NEXT) | instid1(VALU_DEP_1)
	v_cmp_ne_u32_e64 s0, 0x7f800000, v5
	s_and_saveexec_b32 s9, s0
	s_delay_alu instid0(SALU_CYCLE_1)
	s_xor_b32 s0, exec_lo, s9
; %bb.1854:                             ;   in Loop: Header=BB430_1187 Depth=1
	v_bfe_u32 v5, v4, 16, 1
	s_delay_alu instid0(VALU_DEP_1)
	v_add3_u32 v147, v4, v5, 0x7fff
                                        ; implicit-def: $vgpr4
; %bb.1855:                             ;   in Loop: Header=BB430_1187 Depth=1
	s_and_not1_saveexec_b32 s9, s0
; %bb.1856:                             ;   in Loop: Header=BB430_1187 Depth=1
	v_and_b32_e32 v5, 0xffff, v4
	v_or_b32_e32 v7, 0x10000, v4
	s_delay_alu instid0(VALU_DEP_2) | instskip(NEXT) | instid1(VALU_DEP_1)
	v_cmp_eq_u32_e64 s0, 0, v5
	v_cndmask_b32_e64 v147, v7, v4, s0
; %bb.1857:                             ;   in Loop: Header=BB430_1187 Depth=1
	s_or_b32 exec_lo, exec_lo, s9
	v_lshlrev_b32_e32 v4, 16, v6
                                        ; implicit-def: $vgpr148
	s_delay_alu instid0(VALU_DEP_1) | instskip(NEXT) | instid1(VALU_DEP_1)
	v_mul_f32_e32 v4, v84, v4
	v_and_b32_e32 v5, 0x7f800000, v4
	s_delay_alu instid0(VALU_DEP_1) | instskip(NEXT) | instid1(VALU_DEP_1)
	v_cmp_ne_u32_e64 s0, 0x7f800000, v5
	s_and_saveexec_b32 s9, s0
	s_delay_alu instid0(SALU_CYCLE_1)
	s_xor_b32 s0, exec_lo, s9
; %bb.1858:                             ;   in Loop: Header=BB430_1187 Depth=1
	v_bfe_u32 v5, v4, 16, 1
	s_delay_alu instid0(VALU_DEP_1)
	v_add3_u32 v148, v4, v5, 0x7fff
                                        ; implicit-def: $vgpr4
; %bb.1859:                             ;   in Loop: Header=BB430_1187 Depth=1
	s_and_not1_saveexec_b32 s9, s0
; %bb.1860:                             ;   in Loop: Header=BB430_1187 Depth=1
	v_and_b32_e32 v5, 0xffff, v4
	v_or_b32_e32 v6, 0x10000, v4
	s_delay_alu instid0(VALU_DEP_2) | instskip(NEXT) | instid1(VALU_DEP_1)
	v_cmp_eq_u32_e64 s0, 0, v5
	v_cndmask_b32_e64 v148, v6, v4, s0
; %bb.1861:                             ;   in Loop: Header=BB430_1187 Depth=1
	s_or_b32 exec_lo, exec_lo, s9
	v_lshlrev_b32_e32 v3, 16, v3
                                        ; implicit-def: $vgpr149
	s_delay_alu instid0(VALU_DEP_1) | instskip(NEXT) | instid1(VALU_DEP_1)
	v_mul_f32_e32 v3, v85, v3
	v_and_b32_e32 v4, 0x7f800000, v3
	s_delay_alu instid0(VALU_DEP_1) | instskip(NEXT) | instid1(VALU_DEP_1)
	v_cmp_ne_u32_e64 s0, 0x7f800000, v4
	s_and_saveexec_b32 s9, s0
	s_delay_alu instid0(SALU_CYCLE_1)
	s_xor_b32 s0, exec_lo, s9
; %bb.1862:                             ;   in Loop: Header=BB430_1187 Depth=1
	v_bfe_u32 v4, v3, 16, 1
	s_delay_alu instid0(VALU_DEP_1)
	v_add3_u32 v149, v3, v4, 0x7fff
                                        ; implicit-def: $vgpr3
; %bb.1863:                             ;   in Loop: Header=BB430_1187 Depth=1
	s_and_not1_saveexec_b32 s9, s0
; %bb.1864:                             ;   in Loop: Header=BB430_1187 Depth=1
	v_and_b32_e32 v4, 0xffff, v3
	v_or_b32_e32 v5, 0x10000, v3
	s_delay_alu instid0(VALU_DEP_2) | instskip(NEXT) | instid1(VALU_DEP_1)
	v_cmp_eq_u32_e64 s0, 0, v4
	v_cndmask_b32_e64 v149, v5, v3, s0
; %bb.1865:                             ;   in Loop: Header=BB430_1187 Depth=1
	s_or_b32 exec_lo, exec_lo, s9
	v_lshlrev_b32_e32 v2, 16, v2
                                        ; implicit-def: $vgpr150
	s_delay_alu instid0(VALU_DEP_1) | instskip(NEXT) | instid1(VALU_DEP_1)
	v_mul_f32_e32 v2, v86, v2
	v_and_b32_e32 v3, 0x7f800000, v2
	s_delay_alu instid0(VALU_DEP_1) | instskip(NEXT) | instid1(VALU_DEP_1)
	v_cmp_ne_u32_e64 s0, 0x7f800000, v3
	s_and_saveexec_b32 s9, s0
	s_delay_alu instid0(SALU_CYCLE_1)
	s_xor_b32 s0, exec_lo, s9
; %bb.1866:                             ;   in Loop: Header=BB430_1187 Depth=1
	v_bfe_u32 v3, v2, 16, 1
	s_delay_alu instid0(VALU_DEP_1)
	v_add3_u32 v150, v2, v3, 0x7fff
                                        ; implicit-def: $vgpr2
; %bb.1867:                             ;   in Loop: Header=BB430_1187 Depth=1
	s_and_not1_saveexec_b32 s9, s0
; %bb.1868:                             ;   in Loop: Header=BB430_1187 Depth=1
	v_and_b32_e32 v3, 0xffff, v2
	v_or_b32_e32 v4, 0x10000, v2
	s_delay_alu instid0(VALU_DEP_2) | instskip(NEXT) | instid1(VALU_DEP_1)
	v_cmp_eq_u32_e64 s0, 0, v3
	v_cndmask_b32_e64 v150, v4, v2, s0
; %bb.1869:                             ;   in Loop: Header=BB430_1187 Depth=1
	s_or_b32 exec_lo, exec_lo, s9
	flat_load_b64 v[2:3], v[0:1] offset:1280
	s_mov_b32 s9, exec_lo
	s_waitcnt vmcnt(0) lgkmcnt(0)
	v_dual_mov_b32 v4, 0 :: v_dual_and_b32 v5, 0xff, v2
	s_delay_alu instid0(VALU_DEP_1)
	v_cmpx_ne_u16_e32 0, v5
	s_cbranch_execz .LBB430_1877
; %bb.1870:                             ;   in Loop: Header=BB430_1187 Depth=1
	v_bfrev_b32_e32 v4, 1
	s_mov_b32 s12, exec_lo
	v_cmpx_ne_u16_e32 0x80, v5
	s_cbranch_execz .LBB430_1876
; %bb.1871:                             ;   in Loop: Header=BB430_1187 Depth=1
	v_and_b32_e32 v5, 0x7f, v2
	v_mov_b32_e32 v4, 0x7f800001
	s_mov_b32 s13, exec_lo
	s_delay_alu instid0(VALU_DEP_2)
	v_cmpx_ne_u32_e32 0x7f, v5
	s_cbranch_execz .LBB430_1875
; %bb.1872:                             ;   in Loop: Header=BB430_1187 Depth=1
	v_lshrrev_b32_e32 v4, 3, v5
	v_dual_mov_b32 v7, v3 :: v_dual_mov_b32 v6, v2
	s_mov_b32 s15, exec_lo
	v_cmpx_gt_u32_e32 8, v5
; %bb.1873:                             ;   in Loop: Header=BB430_1187 Depth=1
	v_and_b32_e32 v4, 7, v2
	s_delay_alu instid0(VALU_DEP_1) | instskip(NEXT) | instid1(VALU_DEP_1)
	v_clz_i32_u32_e32 v4, v4
	v_min_u32_e32 v4, 32, v4
	s_delay_alu instid0(VALU_DEP_1) | instskip(SKIP_1) | instid1(VALU_DEP_2)
	v_subrev_nc_u32_e32 v5, 28, v4
	v_sub_nc_u32_e32 v4, 29, v4
	v_lshlrev_b64 v[6:7], v5, v[2:3]
; %bb.1874:                             ;   in Loop: Header=BB430_1187 Depth=1
	s_or_b32 exec_lo, exec_lo, s15
	s_delay_alu instid0(VALU_DEP_1) | instskip(SKIP_2) | instid1(VALU_DEP_3)
	v_lshlrev_b32_e32 v5, 20, v6
	v_lshlrev_b32_e32 v6, 24, v2
	v_lshl_add_u32 v4, v4, 23, 0x3c000000
	v_and_b32_e32 v5, 0x700000, v5
	s_delay_alu instid0(VALU_DEP_3) | instskip(NEXT) | instid1(VALU_DEP_1)
	v_and_b32_e32 v6, 0x80000000, v6
	v_or3_b32 v4, v5, v6, v4
.LBB430_1875:                           ;   in Loop: Header=BB430_1187 Depth=1
	s_or_b32 exec_lo, exec_lo, s13
.LBB430_1876:                           ;   in Loop: Header=BB430_1187 Depth=1
	s_delay_alu instid0(SALU_CYCLE_1)
	s_or_b32 exec_lo, exec_lo, s12
.LBB430_1877:                           ;   in Loop: Header=BB430_1187 Depth=1
	s_delay_alu instid0(SALU_CYCLE_1) | instskip(NEXT) | instid1(VALU_DEP_1)
	s_or_b32 exec_lo, exec_lo, s9
	v_mul_f32_e32 v5, v26, v4
	s_delay_alu instid0(VALU_DEP_1) | instskip(NEXT) | instid1(VALU_DEP_1)
	v_and_b32_e32 v4, 0x7f800000, v5
	v_cmp_ne_u32_e64 s0, 0x7f800000, v4
                                        ; implicit-def: $vgpr4
	s_delay_alu instid0(VALU_DEP_1) | instskip(NEXT) | instid1(SALU_CYCLE_1)
	s_and_saveexec_b32 s9, s0
	s_xor_b32 s0, exec_lo, s9
; %bb.1878:                             ;   in Loop: Header=BB430_1187 Depth=1
	v_bfe_u32 v4, v5, 16, 1
	s_delay_alu instid0(VALU_DEP_1)
	v_add3_u32 v4, v5, v4, 0x7fff
                                        ; implicit-def: $vgpr5
; %bb.1879:                             ;   in Loop: Header=BB430_1187 Depth=1
	s_and_not1_saveexec_b32 s9, s0
; %bb.1880:                             ;   in Loop: Header=BB430_1187 Depth=1
	v_and_b32_e32 v4, 0xffff, v5
	v_or_b32_e32 v6, 0x10000, v5
	s_delay_alu instid0(VALU_DEP_2) | instskip(NEXT) | instid1(VALU_DEP_1)
	v_cmp_eq_u32_e64 s0, 0, v4
	v_cndmask_b32_e64 v4, v6, v5, s0
; %bb.1881:                             ;   in Loop: Header=BB430_1187 Depth=1
	s_or_b32 exec_lo, exec_lo, s9
	v_lshrrev_b16 v6, 8, v2
	v_mov_b32_e32 v5, 0
	s_mov_b32 s9, exec_lo
	s_delay_alu instid0(VALU_DEP_2)
	v_cmpx_ne_u16_e32 0, v6
	s_cbranch_execz .LBB430_1889
; %bb.1882:                             ;   in Loop: Header=BB430_1187 Depth=1
	v_bfrev_b32_e32 v5, 1
	s_mov_b32 s12, exec_lo
	v_cmpx_ne_u16_e32 0x80, v6
	s_cbranch_execz .LBB430_1888
; %bb.1883:                             ;   in Loop: Header=BB430_1187 Depth=1
	v_and_b32_e32 v7, 0xffff, v6
	v_mov_b32_e32 v5, 0x7f800001
	s_mov_b32 s13, exec_lo
	s_delay_alu instid0(VALU_DEP_2) | instskip(NEXT) | instid1(VALU_DEP_1)
	v_and_b32_e32 v6, 0x7f, v7
	v_cmpx_ne_u32_e32 0x7f, v6
	s_cbranch_execz .LBB430_1887
; %bb.1884:                             ;   in Loop: Header=BB430_1187 Depth=1
	v_and_b32_e32 v9, 7, v7
	v_lshrrev_b32_e32 v5, 3, v6
	v_cmp_gt_u32_e64 s0, 8, v6
	s_delay_alu instid0(VALU_DEP_3) | instskip(NEXT) | instid1(VALU_DEP_2)
	v_dual_mov_b32 v6, v9 :: v_dual_mov_b32 v7, v10
	s_and_saveexec_b32 s15, s0
; %bb.1885:                             ;   in Loop: Header=BB430_1187 Depth=1
	v_clz_i32_u32_e32 v5, v9
	s_delay_alu instid0(VALU_DEP_1) | instskip(NEXT) | instid1(VALU_DEP_1)
	v_min_u32_e32 v5, 32, v5
	v_subrev_nc_u32_e32 v6, 28, v5
	v_sub_nc_u32_e32 v5, 29, v5
	s_delay_alu instid0(VALU_DEP_2) | instskip(NEXT) | instid1(VALU_DEP_1)
	v_lshlrev_b64 v[6:7], v6, v[9:10]
	v_and_b32_e32 v6, 7, v6
; %bb.1886:                             ;   in Loop: Header=BB430_1187 Depth=1
	s_or_b32 exec_lo, exec_lo, s15
	v_lshlrev_b32_e32 v7, 16, v2
	s_delay_alu instid0(VALU_DEP_2) | instskip(SKIP_1) | instid1(VALU_DEP_3)
	v_lshlrev_b32_e32 v6, 20, v6
	v_lshl_add_u32 v5, v5, 23, 0x3c000000
	v_and_b32_e32 v7, 0x80000000, v7
	s_delay_alu instid0(VALU_DEP_1)
	v_or3_b32 v5, v6, v7, v5
.LBB430_1887:                           ;   in Loop: Header=BB430_1187 Depth=1
	s_or_b32 exec_lo, exec_lo, s13
.LBB430_1888:                           ;   in Loop: Header=BB430_1187 Depth=1
	s_delay_alu instid0(SALU_CYCLE_1)
	s_or_b32 exec_lo, exec_lo, s12
.LBB430_1889:                           ;   in Loop: Header=BB430_1187 Depth=1
	s_delay_alu instid0(SALU_CYCLE_1) | instskip(NEXT) | instid1(VALU_DEP_1)
	s_or_b32 exec_lo, exec_lo, s9
	v_mul_f32_e32 v6, v26, v5
	s_delay_alu instid0(VALU_DEP_1) | instskip(NEXT) | instid1(VALU_DEP_1)
	v_and_b32_e32 v5, 0x7f800000, v6
	v_cmp_ne_u32_e64 s0, 0x7f800000, v5
                                        ; implicit-def: $vgpr5
	s_delay_alu instid0(VALU_DEP_1) | instskip(NEXT) | instid1(SALU_CYCLE_1)
	s_and_saveexec_b32 s9, s0
	s_xor_b32 s0, exec_lo, s9
; %bb.1890:                             ;   in Loop: Header=BB430_1187 Depth=1
	v_bfe_u32 v5, v6, 16, 1
	s_delay_alu instid0(VALU_DEP_1)
	v_add3_u32 v5, v6, v5, 0x7fff
                                        ; implicit-def: $vgpr6
; %bb.1891:                             ;   in Loop: Header=BB430_1187 Depth=1
	s_and_not1_saveexec_b32 s9, s0
; %bb.1892:                             ;   in Loop: Header=BB430_1187 Depth=1
	v_and_b32_e32 v5, 0xffff, v6
	v_or_b32_e32 v7, 0x10000, v6
	s_delay_alu instid0(VALU_DEP_2) | instskip(NEXT) | instid1(VALU_DEP_1)
	v_cmp_eq_u32_e64 s0, 0, v5
	v_cndmask_b32_e64 v5, v7, v6, s0
; %bb.1893:                             ;   in Loop: Header=BB430_1187 Depth=1
	s_or_b32 exec_lo, exec_lo, s9
	v_lshrrev_b32_e32 v32, 16, v2
	s_mov_b32 s9, exec_lo
	s_delay_alu instid0(VALU_DEP_1) | instskip(NEXT) | instid1(VALU_DEP_1)
	v_dual_mov_b32 v6, 0 :: v_dual_and_b32 v7, 0xff, v32
	v_cmpx_ne_u16_e32 0, v7
	s_cbranch_execz .LBB430_1901
; %bb.1894:                             ;   in Loop: Header=BB430_1187 Depth=1
	v_bfrev_b32_e32 v6, 1
	s_mov_b32 s12, exec_lo
	v_cmpx_ne_u16_e32 0x80, v7
	s_cbranch_execz .LBB430_1900
; %bb.1895:                             ;   in Loop: Header=BB430_1187 Depth=1
	v_bfe_u32 v7, v2, 16, 7
	v_mov_b32_e32 v6, 0x7f800001
	s_mov_b32 s13, exec_lo
	s_delay_alu instid0(VALU_DEP_2)
	v_cmpx_ne_u32_e32 0x7f, v7
	s_cbranch_execz .LBB430_1899
; %bb.1896:                             ;   in Loop: Header=BB430_1187 Depth=1
	v_and_b32_e32 v9, 7, v32
	v_lshrrev_b32_e32 v33, 3, v7
	v_cmp_gt_u32_e64 s0, 8, v7
	s_delay_alu instid0(VALU_DEP_3) | instskip(NEXT) | instid1(VALU_DEP_2)
	v_dual_mov_b32 v6, v9 :: v_dual_mov_b32 v7, v10
	s_and_saveexec_b32 s15, s0
; %bb.1897:                             ;   in Loop: Header=BB430_1187 Depth=1
	v_clz_i32_u32_e32 v6, v9
	s_delay_alu instid0(VALU_DEP_1) | instskip(NEXT) | instid1(VALU_DEP_1)
	v_min_u32_e32 v33, 32, v6
	v_subrev_nc_u32_e32 v6, 28, v33
	v_sub_nc_u32_e32 v33, 29, v33
	s_delay_alu instid0(VALU_DEP_2) | instskip(NEXT) | instid1(VALU_DEP_1)
	v_lshlrev_b64 v[6:7], v6, v[9:10]
	v_and_b32_e32 v6, 7, v6
; %bb.1898:                             ;   in Loop: Header=BB430_1187 Depth=1
	s_or_b32 exec_lo, exec_lo, s15
	v_lshlrev_b32_e32 v7, 24, v32
	s_delay_alu instid0(VALU_DEP_2) | instskip(SKIP_1) | instid1(VALU_DEP_3)
	v_lshlrev_b32_e32 v6, 20, v6
	v_lshl_add_u32 v9, v33, 23, 0x3c000000
	v_and_b32_e32 v7, 0x80000000, v7
	s_delay_alu instid0(VALU_DEP_1)
	v_or3_b32 v6, v6, v7, v9
.LBB430_1899:                           ;   in Loop: Header=BB430_1187 Depth=1
	s_or_b32 exec_lo, exec_lo, s13
.LBB430_1900:                           ;   in Loop: Header=BB430_1187 Depth=1
	s_delay_alu instid0(SALU_CYCLE_1)
	s_or_b32 exec_lo, exec_lo, s12
.LBB430_1901:                           ;   in Loop: Header=BB430_1187 Depth=1
	s_delay_alu instid0(SALU_CYCLE_1) | instskip(NEXT) | instid1(VALU_DEP_1)
	s_or_b32 exec_lo, exec_lo, s9
	v_mul_f32_e32 v6, v26, v6
                                        ; implicit-def: $vgpr32
	s_delay_alu instid0(VALU_DEP_1) | instskip(NEXT) | instid1(VALU_DEP_1)
	v_and_b32_e32 v7, 0x7f800000, v6
	v_cmp_ne_u32_e64 s0, 0x7f800000, v7
	s_delay_alu instid0(VALU_DEP_1) | instskip(NEXT) | instid1(SALU_CYCLE_1)
	s_and_saveexec_b32 s9, s0
	s_xor_b32 s0, exec_lo, s9
; %bb.1902:                             ;   in Loop: Header=BB430_1187 Depth=1
	v_bfe_u32 v7, v6, 16, 1
	s_delay_alu instid0(VALU_DEP_1)
	v_add3_u32 v32, v6, v7, 0x7fff
                                        ; implicit-def: $vgpr6
; %bb.1903:                             ;   in Loop: Header=BB430_1187 Depth=1
	s_and_not1_saveexec_b32 s9, s0
; %bb.1904:                             ;   in Loop: Header=BB430_1187 Depth=1
	v_and_b32_e32 v7, 0xffff, v6
	v_or_b32_e32 v9, 0x10000, v6
	s_delay_alu instid0(VALU_DEP_2) | instskip(NEXT) | instid1(VALU_DEP_1)
	v_cmp_eq_u32_e64 s0, 0, v7
	v_cndmask_b32_e64 v32, v9, v6, s0
; %bb.1905:                             ;   in Loop: Header=BB430_1187 Depth=1
	s_or_b32 exec_lo, exec_lo, s9
	v_mov_b32_e32 v6, 0
	s_mov_b32 s9, exec_lo
	v_cmpx_lt_u32_e32 0xffffff, v2
	s_cbranch_execz .LBB430_1913
; %bb.1906:                             ;   in Loop: Header=BB430_1187 Depth=1
	v_lshrrev_b32_e32 v33, 24, v2
	v_bfrev_b32_e32 v6, 1
	s_mov_b32 s12, exec_lo
	s_delay_alu instid0(VALU_DEP_2)
	v_cmpx_ne_u32_e32 0x80, v33
	s_cbranch_execz .LBB430_1912
; %bb.1907:                             ;   in Loop: Header=BB430_1187 Depth=1
	v_bfe_u32 v7, v2, 24, 7
	v_mov_b32_e32 v6, 0x7f800001
	s_mov_b32 s13, exec_lo
	s_delay_alu instid0(VALU_DEP_2)
	v_cmpx_ne_u32_e32 0x7f, v7
	s_cbranch_execz .LBB430_1911
; %bb.1908:                             ;   in Loop: Header=BB430_1187 Depth=1
	v_and_b32_e32 v9, 7, v33
	v_lshrrev_b32_e32 v34, 3, v7
	v_cmp_gt_u32_e64 s0, 8, v7
	s_delay_alu instid0(VALU_DEP_3) | instskip(NEXT) | instid1(VALU_DEP_2)
	v_dual_mov_b32 v6, v9 :: v_dual_mov_b32 v7, v10
	s_and_saveexec_b32 s15, s0
; %bb.1909:                             ;   in Loop: Header=BB430_1187 Depth=1
	v_clz_i32_u32_e32 v6, v9
	s_delay_alu instid0(VALU_DEP_1) | instskip(NEXT) | instid1(VALU_DEP_1)
	v_min_u32_e32 v34, 32, v6
	v_subrev_nc_u32_e32 v6, 28, v34
	v_sub_nc_u32_e32 v34, 29, v34
	s_delay_alu instid0(VALU_DEP_2) | instskip(NEXT) | instid1(VALU_DEP_1)
	v_lshlrev_b64 v[6:7], v6, v[9:10]
	v_and_b32_e32 v6, 7, v6
; %bb.1910:                             ;   in Loop: Header=BB430_1187 Depth=1
	s_or_b32 exec_lo, exec_lo, s15
	v_lshlrev_b32_e32 v7, 24, v33
	s_delay_alu instid0(VALU_DEP_2) | instskip(SKIP_1) | instid1(VALU_DEP_3)
	v_lshlrev_b32_e32 v6, 20, v6
	v_lshl_add_u32 v9, v34, 23, 0x3c000000
	v_and_b32_e32 v7, 0x80000000, v7
	s_delay_alu instid0(VALU_DEP_1)
	v_or3_b32 v6, v6, v7, v9
.LBB430_1911:                           ;   in Loop: Header=BB430_1187 Depth=1
	s_or_b32 exec_lo, exec_lo, s13
.LBB430_1912:                           ;   in Loop: Header=BB430_1187 Depth=1
	s_delay_alu instid0(SALU_CYCLE_1)
	s_or_b32 exec_lo, exec_lo, s12
.LBB430_1913:                           ;   in Loop: Header=BB430_1187 Depth=1
	s_delay_alu instid0(SALU_CYCLE_1) | instskip(NEXT) | instid1(VALU_DEP_1)
	s_or_b32 exec_lo, exec_lo, s9
	v_mul_f32_e32 v6, v26, v6
                                        ; implicit-def: $vgpr33
	s_delay_alu instid0(VALU_DEP_1) | instskip(NEXT) | instid1(VALU_DEP_1)
	v_and_b32_e32 v7, 0x7f800000, v6
	v_cmp_ne_u32_e64 s0, 0x7f800000, v7
	s_delay_alu instid0(VALU_DEP_1) | instskip(NEXT) | instid1(SALU_CYCLE_1)
	s_and_saveexec_b32 s9, s0
	s_xor_b32 s0, exec_lo, s9
; %bb.1914:                             ;   in Loop: Header=BB430_1187 Depth=1
	v_bfe_u32 v7, v6, 16, 1
	s_delay_alu instid0(VALU_DEP_1)
	v_add3_u32 v33, v6, v7, 0x7fff
                                        ; implicit-def: $vgpr6
; %bb.1915:                             ;   in Loop: Header=BB430_1187 Depth=1
	s_and_not1_saveexec_b32 s9, s0
; %bb.1916:                             ;   in Loop: Header=BB430_1187 Depth=1
	v_and_b32_e32 v7, 0xffff, v6
	v_or_b32_e32 v9, 0x10000, v6
	s_delay_alu instid0(VALU_DEP_2) | instskip(NEXT) | instid1(VALU_DEP_1)
	v_cmp_eq_u32_e64 s0, 0, v7
	v_cndmask_b32_e64 v33, v9, v6, s0
; %bb.1917:                             ;   in Loop: Header=BB430_1187 Depth=1
	s_or_b32 exec_lo, exec_lo, s9
	v_dual_mov_b32 v6, 0 :: v_dual_and_b32 v7, 0xff, v3
	v_mov_b32_e32 v9, v3
	s_mov_b32 s9, exec_lo
	s_delay_alu instid0(VALU_DEP_2)
	v_cmpx_ne_u16_e32 0, v7
	s_cbranch_execz .LBB430_1925
; %bb.1918:                             ;   in Loop: Header=BB430_1187 Depth=1
	v_bfrev_b32_e32 v6, 1
	s_mov_b32 s12, exec_lo
	v_cmpx_ne_u16_e32 0x80, v7
	s_cbranch_execz .LBB430_1924
; %bb.1919:                             ;   in Loop: Header=BB430_1187 Depth=1
	v_and_b32_e32 v7, 0x7f, v3
	v_mov_b32_e32 v6, 0x7f800001
	s_mov_b32 s13, exec_lo
	s_delay_alu instid0(VALU_DEP_2)
	v_cmpx_ne_u32_e32 0x7f, v7
	s_cbranch_execz .LBB430_1923
; %bb.1920:                             ;   in Loop: Header=BB430_1187 Depth=1
	v_lshrrev_b32_e32 v34, 3, v7
	v_cmp_gt_u32_e64 s0, 8, v7
	v_dual_mov_b32 v6, v9 :: v_dual_mov_b32 v7, v10
	s_delay_alu instid0(VALU_DEP_2)
	s_and_saveexec_b32 s15, s0
; %bb.1921:                             ;   in Loop: Header=BB430_1187 Depth=1
	v_and_b32_e32 v6, 7, v3
	s_delay_alu instid0(VALU_DEP_1) | instskip(NEXT) | instid1(VALU_DEP_1)
	v_clz_i32_u32_e32 v6, v6
	v_min_u32_e32 v34, 32, v6
	s_delay_alu instid0(VALU_DEP_1) | instskip(SKIP_1) | instid1(VALU_DEP_2)
	v_subrev_nc_u32_e32 v6, 28, v34
	v_sub_nc_u32_e32 v34, 29, v34
	v_lshlrev_b64 v[6:7], v6, v[9:10]
; %bb.1922:                             ;   in Loop: Header=BB430_1187 Depth=1
	s_or_b32 exec_lo, exec_lo, s15
	s_delay_alu instid0(VALU_DEP_1) | instskip(SKIP_2) | instid1(VALU_DEP_3)
	v_lshlrev_b32_e32 v6, 20, v6
	v_lshlrev_b32_e32 v7, 24, v9
	v_lshl_add_u32 v34, v34, 23, 0x3c000000
	v_and_b32_e32 v6, 0x700000, v6
	s_delay_alu instid0(VALU_DEP_3) | instskip(NEXT) | instid1(VALU_DEP_1)
	v_and_b32_e32 v7, 0x80000000, v7
	v_or3_b32 v6, v6, v7, v34
.LBB430_1923:                           ;   in Loop: Header=BB430_1187 Depth=1
	s_or_b32 exec_lo, exec_lo, s13
.LBB430_1924:                           ;   in Loop: Header=BB430_1187 Depth=1
	s_delay_alu instid0(SALU_CYCLE_1)
	s_or_b32 exec_lo, exec_lo, s12
.LBB430_1925:                           ;   in Loop: Header=BB430_1187 Depth=1
	s_delay_alu instid0(SALU_CYCLE_1) | instskip(NEXT) | instid1(VALU_DEP_1)
	s_or_b32 exec_lo, exec_lo, s9
	v_mul_f32_e32 v6, v26, v6
                                        ; implicit-def: $vgpr34
	s_delay_alu instid0(VALU_DEP_1) | instskip(NEXT) | instid1(VALU_DEP_1)
	v_and_b32_e32 v7, 0x7f800000, v6
	v_cmp_ne_u32_e64 s0, 0x7f800000, v7
	s_delay_alu instid0(VALU_DEP_1) | instskip(NEXT) | instid1(SALU_CYCLE_1)
	s_and_saveexec_b32 s9, s0
	s_xor_b32 s0, exec_lo, s9
; %bb.1926:                             ;   in Loop: Header=BB430_1187 Depth=1
	v_bfe_u32 v7, v6, 16, 1
	s_delay_alu instid0(VALU_DEP_1)
	v_add3_u32 v34, v6, v7, 0x7fff
                                        ; implicit-def: $vgpr6
; %bb.1927:                             ;   in Loop: Header=BB430_1187 Depth=1
	s_and_not1_saveexec_b32 s9, s0
; %bb.1928:                             ;   in Loop: Header=BB430_1187 Depth=1
	v_and_b32_e32 v7, 0xffff, v6
	v_or_b32_e32 v34, 0x10000, v6
	s_delay_alu instid0(VALU_DEP_2) | instskip(NEXT) | instid1(VALU_DEP_1)
	v_cmp_eq_u32_e64 s0, 0, v7
	v_cndmask_b32_e64 v34, v34, v6, s0
; %bb.1929:                             ;   in Loop: Header=BB430_1187 Depth=1
	s_or_b32 exec_lo, exec_lo, s9
	v_lshrrev_b16 v7, 8, v9
	v_mov_b32_e32 v6, 0
	s_mov_b32 s9, exec_lo
	s_delay_alu instid0(VALU_DEP_2)
	v_cmpx_ne_u16_e32 0, v7
	s_cbranch_execz .LBB430_1937
; %bb.1930:                             ;   in Loop: Header=BB430_1187 Depth=1
	v_bfrev_b32_e32 v6, 1
	s_mov_b32 s12, exec_lo
	v_cmpx_ne_u16_e32 0x80, v7
	s_cbranch_execz .LBB430_1936
; %bb.1931:                             ;   in Loop: Header=BB430_1187 Depth=1
	v_and_b32_e32 v7, 0xffff, v7
	v_mov_b32_e32 v6, 0x7f800001
	s_mov_b32 s13, exec_lo
	s_delay_alu instid0(VALU_DEP_2) | instskip(NEXT) | instid1(VALU_DEP_1)
	v_and_b32_e32 v151, 0x7f, v7
	v_cmpx_ne_u32_e32 0x7f, v151
	s_cbranch_execz .LBB430_1935
; %bb.1932:                             ;   in Loop: Header=BB430_1187 Depth=1
	v_dual_mov_b32 v7, v10 :: v_dual_and_b32 v6, 7, v7
	v_lshrrev_b32_e32 v36, 3, v151
	s_mov_b32 s15, exec_lo
	v_cmpx_gt_u32_e32 8, v151
; %bb.1933:                             ;   in Loop: Header=BB430_1187 Depth=1
	s_delay_alu instid0(VALU_DEP_3) | instskip(NEXT) | instid1(VALU_DEP_1)
	v_clz_i32_u32_e32 v36, v6
	v_min_u32_e32 v36, 32, v36
	s_delay_alu instid0(VALU_DEP_1) | instskip(SKIP_1) | instid1(VALU_DEP_2)
	v_subrev_nc_u32_e32 v151, 28, v36
	v_sub_nc_u32_e32 v36, 29, v36
	v_lshlrev_b64 v[6:7], v151, v[6:7]
	s_delay_alu instid0(VALU_DEP_1)
	v_and_b32_e32 v6, 7, v6
; %bb.1934:                             ;   in Loop: Header=BB430_1187 Depth=1
	s_or_b32 exec_lo, exec_lo, s15
	v_lshlrev_b32_e32 v7, 16, v9
	s_delay_alu instid0(VALU_DEP_2) | instskip(SKIP_1) | instid1(VALU_DEP_3)
	v_lshlrev_b32_e32 v6, 20, v6
	v_lshl_add_u32 v9, v36, 23, 0x3c000000
	v_and_b32_e32 v7, 0x80000000, v7
	s_delay_alu instid0(VALU_DEP_1)
	v_or3_b32 v6, v6, v7, v9
.LBB430_1935:                           ;   in Loop: Header=BB430_1187 Depth=1
	s_or_b32 exec_lo, exec_lo, s13
.LBB430_1936:                           ;   in Loop: Header=BB430_1187 Depth=1
	s_delay_alu instid0(SALU_CYCLE_1)
	s_or_b32 exec_lo, exec_lo, s12
.LBB430_1937:                           ;   in Loop: Header=BB430_1187 Depth=1
	s_delay_alu instid0(SALU_CYCLE_1) | instskip(NEXT) | instid1(VALU_DEP_1)
	s_or_b32 exec_lo, exec_lo, s9
	v_mul_f32_e32 v6, v26, v6
                                        ; implicit-def: $vgpr36
	s_delay_alu instid0(VALU_DEP_1) | instskip(NEXT) | instid1(VALU_DEP_1)
	v_and_b32_e32 v7, 0x7f800000, v6
	v_cmp_ne_u32_e64 s0, 0x7f800000, v7
	s_delay_alu instid0(VALU_DEP_1) | instskip(NEXT) | instid1(SALU_CYCLE_1)
	s_and_saveexec_b32 s9, s0
	s_xor_b32 s0, exec_lo, s9
; %bb.1938:                             ;   in Loop: Header=BB430_1187 Depth=1
	v_bfe_u32 v7, v6, 16, 1
	s_delay_alu instid0(VALU_DEP_1)
	v_add3_u32 v36, v6, v7, 0x7fff
                                        ; implicit-def: $vgpr6
; %bb.1939:                             ;   in Loop: Header=BB430_1187 Depth=1
	s_and_not1_saveexec_b32 s9, s0
; %bb.1940:                             ;   in Loop: Header=BB430_1187 Depth=1
	v_and_b32_e32 v7, 0xffff, v6
	v_or_b32_e32 v9, 0x10000, v6
	s_delay_alu instid0(VALU_DEP_2) | instskip(NEXT) | instid1(VALU_DEP_1)
	v_cmp_eq_u32_e64 s0, 0, v7
	v_cndmask_b32_e64 v36, v9, v6, s0
; %bb.1941:                             ;   in Loop: Header=BB430_1187 Depth=1
	s_or_b32 exec_lo, exec_lo, s9
	v_lshrrev_b32_e32 v151, 16, v3
	s_mov_b32 s9, exec_lo
	s_delay_alu instid0(VALU_DEP_1) | instskip(NEXT) | instid1(VALU_DEP_1)
	v_dual_mov_b32 v6, 0 :: v_dual_and_b32 v7, 0xff, v151
	v_cmpx_ne_u16_e32 0, v7
	s_cbranch_execz .LBB430_1949
; %bb.1942:                             ;   in Loop: Header=BB430_1187 Depth=1
	v_bfrev_b32_e32 v6, 1
	s_mov_b32 s12, exec_lo
	v_cmpx_ne_u16_e32 0x80, v7
	s_cbranch_execz .LBB430_1948
; %bb.1943:                             ;   in Loop: Header=BB430_1187 Depth=1
	v_bfe_u32 v7, v3, 16, 7
	v_mov_b32_e32 v6, 0x7f800001
	s_mov_b32 s13, exec_lo
	s_delay_alu instid0(VALU_DEP_2)
	v_cmpx_ne_u32_e32 0x7f, v7
	s_cbranch_execz .LBB430_1947
; %bb.1944:                             ;   in Loop: Header=BB430_1187 Depth=1
	v_and_b32_e32 v9, 7, v151
	v_lshrrev_b32_e32 v160, 3, v7
	v_cmp_gt_u32_e64 s0, 8, v7
	s_delay_alu instid0(VALU_DEP_3) | instskip(NEXT) | instid1(VALU_DEP_2)
	v_dual_mov_b32 v6, v9 :: v_dual_mov_b32 v7, v10
	s_and_saveexec_b32 s15, s0
; %bb.1945:                             ;   in Loop: Header=BB430_1187 Depth=1
	v_clz_i32_u32_e32 v6, v9
	s_delay_alu instid0(VALU_DEP_1) | instskip(NEXT) | instid1(VALU_DEP_1)
	v_min_u32_e32 v160, 32, v6
	v_subrev_nc_u32_e32 v6, 28, v160
	v_sub_nc_u32_e32 v160, 29, v160
	s_delay_alu instid0(VALU_DEP_2) | instskip(NEXT) | instid1(VALU_DEP_1)
	v_lshlrev_b64 v[6:7], v6, v[9:10]
	v_and_b32_e32 v6, 7, v6
; %bb.1946:                             ;   in Loop: Header=BB430_1187 Depth=1
	s_or_b32 exec_lo, exec_lo, s15
	v_lshlrev_b32_e32 v7, 24, v151
	s_delay_alu instid0(VALU_DEP_2) | instskip(SKIP_1) | instid1(VALU_DEP_3)
	v_lshlrev_b32_e32 v6, 20, v6
	v_lshl_add_u32 v9, v160, 23, 0x3c000000
	v_and_b32_e32 v7, 0x80000000, v7
	s_delay_alu instid0(VALU_DEP_1)
	v_or3_b32 v6, v6, v7, v9
.LBB430_1947:                           ;   in Loop: Header=BB430_1187 Depth=1
	s_or_b32 exec_lo, exec_lo, s13
.LBB430_1948:                           ;   in Loop: Header=BB430_1187 Depth=1
	s_delay_alu instid0(SALU_CYCLE_1)
	s_or_b32 exec_lo, exec_lo, s12
.LBB430_1949:                           ;   in Loop: Header=BB430_1187 Depth=1
	s_delay_alu instid0(SALU_CYCLE_1) | instskip(NEXT) | instid1(VALU_DEP_1)
	s_or_b32 exec_lo, exec_lo, s9
	v_mul_f32_e32 v6, v26, v6
                                        ; implicit-def: $vgpr151
	s_delay_alu instid0(VALU_DEP_1) | instskip(NEXT) | instid1(VALU_DEP_1)
	v_and_b32_e32 v7, 0x7f800000, v6
	v_cmp_ne_u32_e64 s0, 0x7f800000, v7
	s_delay_alu instid0(VALU_DEP_1) | instskip(NEXT) | instid1(SALU_CYCLE_1)
	s_and_saveexec_b32 s9, s0
	s_xor_b32 s0, exec_lo, s9
; %bb.1950:                             ;   in Loop: Header=BB430_1187 Depth=1
	v_bfe_u32 v7, v6, 16, 1
	s_delay_alu instid0(VALU_DEP_1)
	v_add3_u32 v151, v6, v7, 0x7fff
                                        ; implicit-def: $vgpr6
; %bb.1951:                             ;   in Loop: Header=BB430_1187 Depth=1
	s_and_not1_saveexec_b32 s9, s0
; %bb.1952:                             ;   in Loop: Header=BB430_1187 Depth=1
	v_and_b32_e32 v7, 0xffff, v6
	v_or_b32_e32 v9, 0x10000, v6
	s_delay_alu instid0(VALU_DEP_2) | instskip(NEXT) | instid1(VALU_DEP_1)
	v_cmp_eq_u32_e64 s0, 0, v7
	v_cndmask_b32_e64 v151, v9, v6, s0
; %bb.1953:                             ;   in Loop: Header=BB430_1187 Depth=1
	s_or_b32 exec_lo, exec_lo, s9
	v_cmp_lt_u64_e64 s0, s[2:3], v[2:3]
	v_mov_b32_e32 v2, 0
	s_delay_alu instid0(VALU_DEP_2)
	s_and_saveexec_b32 s9, s0
	s_cbranch_execz .LBB430_1961
; %bb.1954:                             ;   in Loop: Header=BB430_1187 Depth=1
	v_lshrrev_b32_e32 v6, 24, v3
	v_bfrev_b32_e32 v2, 1
	s_mov_b32 s12, exec_lo
	s_delay_alu instid0(VALU_DEP_2)
	v_cmpx_ne_u32_e32 0x80, v6
	s_cbranch_execz .LBB430_1960
; %bb.1955:                             ;   in Loop: Header=BB430_1187 Depth=1
	v_bfe_u32 v3, v3, 24, 7
	v_mov_b32_e32 v2, 0x7f800001
	s_mov_b32 s13, exec_lo
	s_delay_alu instid0(VALU_DEP_2)
	v_cmpx_ne_u32_e32 0x7f, v3
	s_cbranch_execz .LBB430_1959
; %bb.1956:                             ;   in Loop: Header=BB430_1187 Depth=1
	v_and_b32_e32 v9, 7, v6
	v_lshrrev_b32_e32 v7, 3, v3
	v_cmp_gt_u32_e64 s0, 8, v3
	s_delay_alu instid0(VALU_DEP_3) | instskip(NEXT) | instid1(VALU_DEP_2)
	v_dual_mov_b32 v2, v9 :: v_dual_mov_b32 v3, v10
	s_and_saveexec_b32 s15, s0
; %bb.1957:                             ;   in Loop: Header=BB430_1187 Depth=1
	v_clz_i32_u32_e32 v2, v9
	s_delay_alu instid0(VALU_DEP_1) | instskip(NEXT) | instid1(VALU_DEP_1)
	v_min_u32_e32 v7, 32, v2
	v_subrev_nc_u32_e32 v2, 28, v7
	v_sub_nc_u32_e32 v7, 29, v7
	s_delay_alu instid0(VALU_DEP_2) | instskip(NEXT) | instid1(VALU_DEP_1)
	v_lshlrev_b64 v[2:3], v2, v[9:10]
	v_and_b32_e32 v2, 7, v2
; %bb.1958:                             ;   in Loop: Header=BB430_1187 Depth=1
	s_or_b32 exec_lo, exec_lo, s15
	v_lshlrev_b32_e32 v3, 24, v6
	s_delay_alu instid0(VALU_DEP_2) | instskip(SKIP_1) | instid1(VALU_DEP_3)
	v_lshlrev_b32_e32 v2, 20, v2
	v_lshl_add_u32 v6, v7, 23, 0x3c000000
	v_and_b32_e32 v3, 0x80000000, v3
	s_delay_alu instid0(VALU_DEP_1)
	v_or3_b32 v2, v2, v3, v6
.LBB430_1959:                           ;   in Loop: Header=BB430_1187 Depth=1
	s_or_b32 exec_lo, exec_lo, s13
.LBB430_1960:                           ;   in Loop: Header=BB430_1187 Depth=1
	s_delay_alu instid0(SALU_CYCLE_1)
	s_or_b32 exec_lo, exec_lo, s12
.LBB430_1961:                           ;   in Loop: Header=BB430_1187 Depth=1
	s_delay_alu instid0(SALU_CYCLE_1) | instskip(NEXT) | instid1(VALU_DEP_1)
	s_or_b32 exec_lo, exec_lo, s9
	v_mul_f32_e32 v3, v26, v2
	s_delay_alu instid0(VALU_DEP_1) | instskip(NEXT) | instid1(VALU_DEP_1)
	v_and_b32_e32 v2, 0x7f800000, v3
	v_cmp_ne_u32_e64 s0, 0x7f800000, v2
                                        ; implicit-def: $vgpr2
	s_delay_alu instid0(VALU_DEP_1) | instskip(NEXT) | instid1(SALU_CYCLE_1)
	s_and_saveexec_b32 s9, s0
	s_xor_b32 s0, exec_lo, s9
; %bb.1962:                             ;   in Loop: Header=BB430_1187 Depth=1
	v_bfe_u32 v2, v3, 16, 1
	s_delay_alu instid0(VALU_DEP_1)
	v_add3_u32 v2, v3, v2, 0x7fff
                                        ; implicit-def: $vgpr3
; %bb.1963:                             ;   in Loop: Header=BB430_1187 Depth=1
	s_and_not1_saveexec_b32 s9, s0
; %bb.1964:                             ;   in Loop: Header=BB430_1187 Depth=1
	v_and_b32_e32 v2, 0xffff, v3
	v_or_b32_e32 v6, 0x10000, v3
	s_delay_alu instid0(VALU_DEP_2) | instskip(NEXT) | instid1(VALU_DEP_1)
	v_cmp_eq_u32_e64 s0, 0, v2
	v_cndmask_b32_e64 v2, v6, v3, s0
; %bb.1965:                             ;   in Loop: Header=BB430_1187 Depth=1
	s_or_b32 exec_lo, exec_lo, s9
	v_lshrrev_b32_e32 v6, 16, v36
	v_lshrrev_b32_e32 v7, 16, v34
	;; [unrolled: 1-line block ×8, first 2 shown]
	s_and_saveexec_b32 s9, vcc_lo
	s_cbranch_execz .LBB430_1967
; %bb.1966:                             ;   in Loop: Header=BB430_1187 Depth=1
	v_cmp_lt_i32_e64 s0, v64, v35
	s_delay_alu instid0(VALU_DEP_1) | instskip(SKIP_1) | instid1(VALU_DEP_1)
	v_cndmask_b32_e64 v4, 0, v4, s0
	v_cmp_lt_i32_e64 s0, v70, v35
	v_cndmask_b32_e64 v5, 0, v5, s0
	v_cmp_lt_i32_e64 s0, v69, v35
	s_delay_alu instid0(VALU_DEP_1) | instskip(SKIP_1) | instid1(VALU_DEP_1)
	v_cndmask_b32_e64 v32, 0, v32, s0
	v_cmp_lt_i32_e64 s0, v68, v35
	v_cndmask_b32_e64 v9, 0, v9, s0
	;; [unrolled: 5-line block ×4, first 2 shown]
.LBB430_1967:                           ;   in Loop: Header=BB430_1187 Depth=1
	s_or_b32 exec_lo, exec_lo, s9
	v_lshlrev_b32_e32 v4, 16, v4
                                        ; implicit-def: $vgpr151
	s_delay_alu instid0(VALU_DEP_1) | instskip(NEXT) | instid1(VALU_DEP_1)
	v_mul_f32_e32 v4, v71, v4
	v_and_b32_e32 v33, 0x7f800000, v4
	s_delay_alu instid0(VALU_DEP_1) | instskip(NEXT) | instid1(VALU_DEP_1)
	v_cmp_ne_u32_e64 s0, 0x7f800000, v33
	s_and_saveexec_b32 s9, s0
	s_delay_alu instid0(SALU_CYCLE_1)
	s_xor_b32 s0, exec_lo, s9
; %bb.1968:                             ;   in Loop: Header=BB430_1187 Depth=1
	v_bfe_u32 v33, v4, 16, 1
	s_delay_alu instid0(VALU_DEP_1)
	v_add3_u32 v151, v4, v33, 0x7fff
                                        ; implicit-def: $vgpr4
; %bb.1969:                             ;   in Loop: Header=BB430_1187 Depth=1
	s_and_not1_saveexec_b32 s9, s0
; %bb.1970:                             ;   in Loop: Header=BB430_1187 Depth=1
	v_and_b32_e32 v33, 0xffff, v4
	v_or_b32_e32 v34, 0x10000, v4
	s_delay_alu instid0(VALU_DEP_2) | instskip(NEXT) | instid1(VALU_DEP_1)
	v_cmp_eq_u32_e64 s0, 0, v33
	v_cndmask_b32_e64 v151, v34, v4, s0
; %bb.1971:                             ;   in Loop: Header=BB430_1187 Depth=1
	s_or_b32 exec_lo, exec_lo, s9
	v_lshlrev_b32_e32 v4, 16, v5
                                        ; implicit-def: $vgpr160
	s_delay_alu instid0(VALU_DEP_1) | instskip(NEXT) | instid1(VALU_DEP_1)
	v_mul_f32_e32 v4, v80, v4
	v_and_b32_e32 v5, 0x7f800000, v4
	s_delay_alu instid0(VALU_DEP_1) | instskip(NEXT) | instid1(VALU_DEP_1)
	v_cmp_ne_u32_e64 s0, 0x7f800000, v5
	s_and_saveexec_b32 s9, s0
	s_delay_alu instid0(SALU_CYCLE_1)
	s_xor_b32 s0, exec_lo, s9
; %bb.1972:                             ;   in Loop: Header=BB430_1187 Depth=1
	v_bfe_u32 v5, v4, 16, 1
	s_delay_alu instid0(VALU_DEP_1)
	v_add3_u32 v160, v4, v5, 0x7fff
                                        ; implicit-def: $vgpr4
; %bb.1973:                             ;   in Loop: Header=BB430_1187 Depth=1
	s_and_not1_saveexec_b32 s9, s0
; %bb.1974:                             ;   in Loop: Header=BB430_1187 Depth=1
	v_and_b32_e32 v5, 0xffff, v4
	v_or_b32_e32 v33, 0x10000, v4
	s_delay_alu instid0(VALU_DEP_2) | instskip(NEXT) | instid1(VALU_DEP_1)
	v_cmp_eq_u32_e64 s0, 0, v5
	v_cndmask_b32_e64 v160, v33, v4, s0
; %bb.1975:                             ;   in Loop: Header=BB430_1187 Depth=1
	s_or_b32 exec_lo, exec_lo, s9
	v_lshlrev_b32_e32 v4, 16, v32
                                        ; implicit-def: $vgpr161
	s_delay_alu instid0(VALU_DEP_1) | instskip(NEXT) | instid1(VALU_DEP_1)
	v_mul_f32_e32 v4, v81, v4
	v_and_b32_e32 v5, 0x7f800000, v4
	s_delay_alu instid0(VALU_DEP_1) | instskip(NEXT) | instid1(VALU_DEP_1)
	v_cmp_ne_u32_e64 s0, 0x7f800000, v5
	s_and_saveexec_b32 s9, s0
	s_delay_alu instid0(SALU_CYCLE_1)
	s_xor_b32 s0, exec_lo, s9
; %bb.1976:                             ;   in Loop: Header=BB430_1187 Depth=1
	v_bfe_u32 v5, v4, 16, 1
	s_delay_alu instid0(VALU_DEP_1)
	v_add3_u32 v161, v4, v5, 0x7fff
                                        ; implicit-def: $vgpr4
; %bb.1977:                             ;   in Loop: Header=BB430_1187 Depth=1
	s_and_not1_saveexec_b32 s9, s0
; %bb.1978:                             ;   in Loop: Header=BB430_1187 Depth=1
	v_and_b32_e32 v5, 0xffff, v4
	v_or_b32_e32 v32, 0x10000, v4
	s_delay_alu instid0(VALU_DEP_2) | instskip(NEXT) | instid1(VALU_DEP_1)
	v_cmp_eq_u32_e64 s0, 0, v5
	v_cndmask_b32_e64 v161, v32, v4, s0
; %bb.1979:                             ;   in Loop: Header=BB430_1187 Depth=1
	s_or_b32 exec_lo, exec_lo, s9
	v_lshlrev_b32_e32 v4, 16, v9
                                        ; implicit-def: $vgpr162
	s_delay_alu instid0(VALU_DEP_1) | instskip(NEXT) | instid1(VALU_DEP_1)
	v_mul_f32_e32 v4, v82, v4
	v_and_b32_e32 v5, 0x7f800000, v4
	s_delay_alu instid0(VALU_DEP_1) | instskip(NEXT) | instid1(VALU_DEP_1)
	v_cmp_ne_u32_e64 s0, 0x7f800000, v5
	s_and_saveexec_b32 s9, s0
	s_delay_alu instid0(SALU_CYCLE_1)
	s_xor_b32 s0, exec_lo, s9
; %bb.1980:                             ;   in Loop: Header=BB430_1187 Depth=1
	v_bfe_u32 v5, v4, 16, 1
	s_delay_alu instid0(VALU_DEP_1)
	v_add3_u32 v162, v4, v5, 0x7fff
                                        ; implicit-def: $vgpr4
; %bb.1981:                             ;   in Loop: Header=BB430_1187 Depth=1
	s_and_not1_saveexec_b32 s9, s0
; %bb.1982:                             ;   in Loop: Header=BB430_1187 Depth=1
	v_and_b32_e32 v5, 0xffff, v4
	v_or_b32_e32 v9, 0x10000, v4
	s_delay_alu instid0(VALU_DEP_2) | instskip(NEXT) | instid1(VALU_DEP_1)
	v_cmp_eq_u32_e64 s0, 0, v5
	v_cndmask_b32_e64 v162, v9, v4, s0
; %bb.1983:                             ;   in Loop: Header=BB430_1187 Depth=1
	s_or_b32 exec_lo, exec_lo, s9
	v_lshlrev_b32_e32 v4, 16, v7
                                        ; implicit-def: $vgpr163
	s_delay_alu instid0(VALU_DEP_1) | instskip(NEXT) | instid1(VALU_DEP_1)
	v_mul_f32_e32 v4, v83, v4
	v_and_b32_e32 v5, 0x7f800000, v4
	s_delay_alu instid0(VALU_DEP_1) | instskip(NEXT) | instid1(VALU_DEP_1)
	v_cmp_ne_u32_e64 s0, 0x7f800000, v5
	s_and_saveexec_b32 s9, s0
	s_delay_alu instid0(SALU_CYCLE_1)
	s_xor_b32 s0, exec_lo, s9
; %bb.1984:                             ;   in Loop: Header=BB430_1187 Depth=1
	v_bfe_u32 v5, v4, 16, 1
	s_delay_alu instid0(VALU_DEP_1)
	v_add3_u32 v163, v4, v5, 0x7fff
                                        ; implicit-def: $vgpr4
; %bb.1985:                             ;   in Loop: Header=BB430_1187 Depth=1
	s_and_not1_saveexec_b32 s9, s0
; %bb.1986:                             ;   in Loop: Header=BB430_1187 Depth=1
	v_and_b32_e32 v5, 0xffff, v4
	v_or_b32_e32 v7, 0x10000, v4
	s_delay_alu instid0(VALU_DEP_2) | instskip(NEXT) | instid1(VALU_DEP_1)
	v_cmp_eq_u32_e64 s0, 0, v5
	v_cndmask_b32_e64 v163, v7, v4, s0
; %bb.1987:                             ;   in Loop: Header=BB430_1187 Depth=1
	s_or_b32 exec_lo, exec_lo, s9
	v_lshlrev_b32_e32 v4, 16, v6
                                        ; implicit-def: $vgpr164
	s_delay_alu instid0(VALU_DEP_1) | instskip(NEXT) | instid1(VALU_DEP_1)
	v_mul_f32_e32 v4, v84, v4
	v_and_b32_e32 v5, 0x7f800000, v4
	s_delay_alu instid0(VALU_DEP_1) | instskip(NEXT) | instid1(VALU_DEP_1)
	v_cmp_ne_u32_e64 s0, 0x7f800000, v5
	s_and_saveexec_b32 s9, s0
	s_delay_alu instid0(SALU_CYCLE_1)
	s_xor_b32 s0, exec_lo, s9
; %bb.1988:                             ;   in Loop: Header=BB430_1187 Depth=1
	v_bfe_u32 v5, v4, 16, 1
	s_delay_alu instid0(VALU_DEP_1)
	v_add3_u32 v164, v4, v5, 0x7fff
                                        ; implicit-def: $vgpr4
; %bb.1989:                             ;   in Loop: Header=BB430_1187 Depth=1
	s_and_not1_saveexec_b32 s9, s0
; %bb.1990:                             ;   in Loop: Header=BB430_1187 Depth=1
	v_and_b32_e32 v5, 0xffff, v4
	v_or_b32_e32 v6, 0x10000, v4
	s_delay_alu instid0(VALU_DEP_2) | instskip(NEXT) | instid1(VALU_DEP_1)
	v_cmp_eq_u32_e64 s0, 0, v5
	v_cndmask_b32_e64 v164, v6, v4, s0
; %bb.1991:                             ;   in Loop: Header=BB430_1187 Depth=1
	s_or_b32 exec_lo, exec_lo, s9
	v_lshlrev_b32_e32 v3, 16, v3
                                        ; implicit-def: $vgpr165
	s_delay_alu instid0(VALU_DEP_1) | instskip(NEXT) | instid1(VALU_DEP_1)
	v_mul_f32_e32 v3, v85, v3
	v_and_b32_e32 v4, 0x7f800000, v3
	s_delay_alu instid0(VALU_DEP_1) | instskip(NEXT) | instid1(VALU_DEP_1)
	v_cmp_ne_u32_e64 s0, 0x7f800000, v4
	s_and_saveexec_b32 s9, s0
	s_delay_alu instid0(SALU_CYCLE_1)
	s_xor_b32 s0, exec_lo, s9
; %bb.1992:                             ;   in Loop: Header=BB430_1187 Depth=1
	v_bfe_u32 v4, v3, 16, 1
	s_delay_alu instid0(VALU_DEP_1)
	v_add3_u32 v165, v3, v4, 0x7fff
                                        ; implicit-def: $vgpr3
; %bb.1993:                             ;   in Loop: Header=BB430_1187 Depth=1
	s_and_not1_saveexec_b32 s9, s0
; %bb.1994:                             ;   in Loop: Header=BB430_1187 Depth=1
	v_and_b32_e32 v4, 0xffff, v3
	v_or_b32_e32 v5, 0x10000, v3
	s_delay_alu instid0(VALU_DEP_2) | instskip(NEXT) | instid1(VALU_DEP_1)
	v_cmp_eq_u32_e64 s0, 0, v4
	v_cndmask_b32_e64 v165, v5, v3, s0
; %bb.1995:                             ;   in Loop: Header=BB430_1187 Depth=1
	s_or_b32 exec_lo, exec_lo, s9
	v_lshlrev_b32_e32 v2, 16, v2
                                        ; implicit-def: $vgpr166
	s_delay_alu instid0(VALU_DEP_1) | instskip(NEXT) | instid1(VALU_DEP_1)
	v_mul_f32_e32 v2, v86, v2
	v_and_b32_e32 v3, 0x7f800000, v2
	s_delay_alu instid0(VALU_DEP_1) | instskip(NEXT) | instid1(VALU_DEP_1)
	v_cmp_ne_u32_e64 s0, 0x7f800000, v3
	s_and_saveexec_b32 s9, s0
	s_delay_alu instid0(SALU_CYCLE_1)
	s_xor_b32 s0, exec_lo, s9
; %bb.1996:                             ;   in Loop: Header=BB430_1187 Depth=1
	v_bfe_u32 v3, v2, 16, 1
	s_delay_alu instid0(VALU_DEP_1)
	v_add3_u32 v166, v2, v3, 0x7fff
                                        ; implicit-def: $vgpr2
; %bb.1997:                             ;   in Loop: Header=BB430_1187 Depth=1
	s_and_not1_saveexec_b32 s9, s0
; %bb.1998:                             ;   in Loop: Header=BB430_1187 Depth=1
	v_and_b32_e32 v3, 0xffff, v2
	v_or_b32_e32 v4, 0x10000, v2
	s_delay_alu instid0(VALU_DEP_2) | instskip(NEXT) | instid1(VALU_DEP_1)
	v_cmp_eq_u32_e64 s0, 0, v3
	v_cndmask_b32_e64 v166, v4, v2, s0
; %bb.1999:                             ;   in Loop: Header=BB430_1187 Depth=1
	s_or_b32 exec_lo, exec_lo, s9
	flat_load_b64 v[2:3], v[0:1] offset:1536
	s_mov_b32 s9, exec_lo
	s_waitcnt vmcnt(0) lgkmcnt(0)
	v_dual_mov_b32 v4, 0 :: v_dual_and_b32 v5, 0xff, v2
	s_delay_alu instid0(VALU_DEP_1)
	v_cmpx_ne_u16_e32 0, v5
	s_cbranch_execz .LBB430_2007
; %bb.2000:                             ;   in Loop: Header=BB430_1187 Depth=1
	v_bfrev_b32_e32 v4, 1
	s_mov_b32 s12, exec_lo
	v_cmpx_ne_u16_e32 0x80, v5
	s_cbranch_execz .LBB430_2006
; %bb.2001:                             ;   in Loop: Header=BB430_1187 Depth=1
	v_and_b32_e32 v5, 0x7f, v2
	v_mov_b32_e32 v4, 0x7f800001
	s_mov_b32 s13, exec_lo
	s_delay_alu instid0(VALU_DEP_2)
	v_cmpx_ne_u32_e32 0x7f, v5
	s_cbranch_execz .LBB430_2005
; %bb.2002:                             ;   in Loop: Header=BB430_1187 Depth=1
	v_lshrrev_b32_e32 v4, 3, v5
	v_dual_mov_b32 v7, v3 :: v_dual_mov_b32 v6, v2
	s_mov_b32 s15, exec_lo
	v_cmpx_gt_u32_e32 8, v5
; %bb.2003:                             ;   in Loop: Header=BB430_1187 Depth=1
	v_and_b32_e32 v4, 7, v2
	s_delay_alu instid0(VALU_DEP_1) | instskip(NEXT) | instid1(VALU_DEP_1)
	v_clz_i32_u32_e32 v4, v4
	v_min_u32_e32 v4, 32, v4
	s_delay_alu instid0(VALU_DEP_1) | instskip(SKIP_1) | instid1(VALU_DEP_2)
	v_subrev_nc_u32_e32 v5, 28, v4
	v_sub_nc_u32_e32 v4, 29, v4
	v_lshlrev_b64 v[6:7], v5, v[2:3]
; %bb.2004:                             ;   in Loop: Header=BB430_1187 Depth=1
	s_or_b32 exec_lo, exec_lo, s15
	s_delay_alu instid0(VALU_DEP_1) | instskip(SKIP_2) | instid1(VALU_DEP_3)
	v_lshlrev_b32_e32 v5, 20, v6
	v_lshlrev_b32_e32 v6, 24, v2
	v_lshl_add_u32 v4, v4, 23, 0x3c000000
	v_and_b32_e32 v5, 0x700000, v5
	s_delay_alu instid0(VALU_DEP_3) | instskip(NEXT) | instid1(VALU_DEP_1)
	v_and_b32_e32 v6, 0x80000000, v6
	v_or3_b32 v4, v5, v6, v4
.LBB430_2005:                           ;   in Loop: Header=BB430_1187 Depth=1
	s_or_b32 exec_lo, exec_lo, s13
.LBB430_2006:                           ;   in Loop: Header=BB430_1187 Depth=1
	s_delay_alu instid0(SALU_CYCLE_1)
	s_or_b32 exec_lo, exec_lo, s12
.LBB430_2007:                           ;   in Loop: Header=BB430_1187 Depth=1
	s_delay_alu instid0(SALU_CYCLE_1) | instskip(NEXT) | instid1(VALU_DEP_1)
	s_or_b32 exec_lo, exec_lo, s9
	v_mul_f32_e32 v5, v26, v4
	s_delay_alu instid0(VALU_DEP_1) | instskip(NEXT) | instid1(VALU_DEP_1)
	v_and_b32_e32 v4, 0x7f800000, v5
	v_cmp_ne_u32_e64 s0, 0x7f800000, v4
                                        ; implicit-def: $vgpr4
	s_delay_alu instid0(VALU_DEP_1) | instskip(NEXT) | instid1(SALU_CYCLE_1)
	s_and_saveexec_b32 s9, s0
	s_xor_b32 s0, exec_lo, s9
; %bb.2008:                             ;   in Loop: Header=BB430_1187 Depth=1
	v_bfe_u32 v4, v5, 16, 1
	s_delay_alu instid0(VALU_DEP_1)
	v_add3_u32 v4, v5, v4, 0x7fff
                                        ; implicit-def: $vgpr5
; %bb.2009:                             ;   in Loop: Header=BB430_1187 Depth=1
	s_and_not1_saveexec_b32 s9, s0
; %bb.2010:                             ;   in Loop: Header=BB430_1187 Depth=1
	v_and_b32_e32 v4, 0xffff, v5
	v_or_b32_e32 v6, 0x10000, v5
	s_delay_alu instid0(VALU_DEP_2) | instskip(NEXT) | instid1(VALU_DEP_1)
	v_cmp_eq_u32_e64 s0, 0, v4
	v_cndmask_b32_e64 v4, v6, v5, s0
; %bb.2011:                             ;   in Loop: Header=BB430_1187 Depth=1
	s_or_b32 exec_lo, exec_lo, s9
	v_lshrrev_b16 v6, 8, v2
	v_mov_b32_e32 v5, 0
	s_mov_b32 s9, exec_lo
	s_delay_alu instid0(VALU_DEP_2)
	v_cmpx_ne_u16_e32 0, v6
	s_cbranch_execz .LBB430_2019
; %bb.2012:                             ;   in Loop: Header=BB430_1187 Depth=1
	v_bfrev_b32_e32 v5, 1
	s_mov_b32 s12, exec_lo
	v_cmpx_ne_u16_e32 0x80, v6
	s_cbranch_execz .LBB430_2018
; %bb.2013:                             ;   in Loop: Header=BB430_1187 Depth=1
	v_and_b32_e32 v7, 0xffff, v6
	v_mov_b32_e32 v5, 0x7f800001
	s_mov_b32 s13, exec_lo
	s_delay_alu instid0(VALU_DEP_2) | instskip(NEXT) | instid1(VALU_DEP_1)
	v_and_b32_e32 v6, 0x7f, v7
	v_cmpx_ne_u32_e32 0x7f, v6
	s_cbranch_execz .LBB430_2017
; %bb.2014:                             ;   in Loop: Header=BB430_1187 Depth=1
	v_and_b32_e32 v9, 7, v7
	v_lshrrev_b32_e32 v5, 3, v6
	v_cmp_gt_u32_e64 s0, 8, v6
	s_delay_alu instid0(VALU_DEP_3) | instskip(NEXT) | instid1(VALU_DEP_2)
	v_dual_mov_b32 v6, v9 :: v_dual_mov_b32 v7, v10
	s_and_saveexec_b32 s15, s0
; %bb.2015:                             ;   in Loop: Header=BB430_1187 Depth=1
	v_clz_i32_u32_e32 v5, v9
	s_delay_alu instid0(VALU_DEP_1) | instskip(NEXT) | instid1(VALU_DEP_1)
	v_min_u32_e32 v5, 32, v5
	v_subrev_nc_u32_e32 v6, 28, v5
	v_sub_nc_u32_e32 v5, 29, v5
	s_delay_alu instid0(VALU_DEP_2) | instskip(NEXT) | instid1(VALU_DEP_1)
	v_lshlrev_b64 v[6:7], v6, v[9:10]
	v_and_b32_e32 v6, 7, v6
; %bb.2016:                             ;   in Loop: Header=BB430_1187 Depth=1
	s_or_b32 exec_lo, exec_lo, s15
	v_lshlrev_b32_e32 v7, 16, v2
	s_delay_alu instid0(VALU_DEP_2) | instskip(SKIP_1) | instid1(VALU_DEP_3)
	v_lshlrev_b32_e32 v6, 20, v6
	v_lshl_add_u32 v5, v5, 23, 0x3c000000
	v_and_b32_e32 v7, 0x80000000, v7
	s_delay_alu instid0(VALU_DEP_1)
	v_or3_b32 v5, v6, v7, v5
.LBB430_2017:                           ;   in Loop: Header=BB430_1187 Depth=1
	s_or_b32 exec_lo, exec_lo, s13
.LBB430_2018:                           ;   in Loop: Header=BB430_1187 Depth=1
	s_delay_alu instid0(SALU_CYCLE_1)
	s_or_b32 exec_lo, exec_lo, s12
.LBB430_2019:                           ;   in Loop: Header=BB430_1187 Depth=1
	s_delay_alu instid0(SALU_CYCLE_1) | instskip(NEXT) | instid1(VALU_DEP_1)
	s_or_b32 exec_lo, exec_lo, s9
	v_mul_f32_e32 v6, v26, v5
	s_delay_alu instid0(VALU_DEP_1) | instskip(NEXT) | instid1(VALU_DEP_1)
	v_and_b32_e32 v5, 0x7f800000, v6
	v_cmp_ne_u32_e64 s0, 0x7f800000, v5
                                        ; implicit-def: $vgpr5
	s_delay_alu instid0(VALU_DEP_1) | instskip(NEXT) | instid1(SALU_CYCLE_1)
	s_and_saveexec_b32 s9, s0
	s_xor_b32 s0, exec_lo, s9
; %bb.2020:                             ;   in Loop: Header=BB430_1187 Depth=1
	v_bfe_u32 v5, v6, 16, 1
	s_delay_alu instid0(VALU_DEP_1)
	v_add3_u32 v5, v6, v5, 0x7fff
                                        ; implicit-def: $vgpr6
; %bb.2021:                             ;   in Loop: Header=BB430_1187 Depth=1
	s_and_not1_saveexec_b32 s9, s0
; %bb.2022:                             ;   in Loop: Header=BB430_1187 Depth=1
	v_and_b32_e32 v5, 0xffff, v6
	v_or_b32_e32 v7, 0x10000, v6
	s_delay_alu instid0(VALU_DEP_2) | instskip(NEXT) | instid1(VALU_DEP_1)
	v_cmp_eq_u32_e64 s0, 0, v5
	v_cndmask_b32_e64 v5, v7, v6, s0
; %bb.2023:                             ;   in Loop: Header=BB430_1187 Depth=1
	s_or_b32 exec_lo, exec_lo, s9
	v_lshrrev_b32_e32 v32, 16, v2
	s_mov_b32 s9, exec_lo
	s_delay_alu instid0(VALU_DEP_1) | instskip(NEXT) | instid1(VALU_DEP_1)
	v_dual_mov_b32 v6, 0 :: v_dual_and_b32 v7, 0xff, v32
	v_cmpx_ne_u16_e32 0, v7
	s_cbranch_execz .LBB430_2031
; %bb.2024:                             ;   in Loop: Header=BB430_1187 Depth=1
	v_bfrev_b32_e32 v6, 1
	s_mov_b32 s12, exec_lo
	v_cmpx_ne_u16_e32 0x80, v7
	s_cbranch_execz .LBB430_2030
; %bb.2025:                             ;   in Loop: Header=BB430_1187 Depth=1
	v_bfe_u32 v7, v2, 16, 7
	v_mov_b32_e32 v6, 0x7f800001
	s_mov_b32 s13, exec_lo
	s_delay_alu instid0(VALU_DEP_2)
	v_cmpx_ne_u32_e32 0x7f, v7
	s_cbranch_execz .LBB430_2029
; %bb.2026:                             ;   in Loop: Header=BB430_1187 Depth=1
	v_and_b32_e32 v9, 7, v32
	v_lshrrev_b32_e32 v33, 3, v7
	v_cmp_gt_u32_e64 s0, 8, v7
	s_delay_alu instid0(VALU_DEP_3) | instskip(NEXT) | instid1(VALU_DEP_2)
	v_dual_mov_b32 v6, v9 :: v_dual_mov_b32 v7, v10
	s_and_saveexec_b32 s15, s0
; %bb.2027:                             ;   in Loop: Header=BB430_1187 Depth=1
	v_clz_i32_u32_e32 v6, v9
	s_delay_alu instid0(VALU_DEP_1) | instskip(NEXT) | instid1(VALU_DEP_1)
	v_min_u32_e32 v33, 32, v6
	v_subrev_nc_u32_e32 v6, 28, v33
	v_sub_nc_u32_e32 v33, 29, v33
	s_delay_alu instid0(VALU_DEP_2) | instskip(NEXT) | instid1(VALU_DEP_1)
	v_lshlrev_b64 v[6:7], v6, v[9:10]
	v_and_b32_e32 v6, 7, v6
; %bb.2028:                             ;   in Loop: Header=BB430_1187 Depth=1
	s_or_b32 exec_lo, exec_lo, s15
	v_lshlrev_b32_e32 v7, 24, v32
	s_delay_alu instid0(VALU_DEP_2) | instskip(SKIP_1) | instid1(VALU_DEP_3)
	v_lshlrev_b32_e32 v6, 20, v6
	v_lshl_add_u32 v9, v33, 23, 0x3c000000
	v_and_b32_e32 v7, 0x80000000, v7
	s_delay_alu instid0(VALU_DEP_1)
	v_or3_b32 v6, v6, v7, v9
.LBB430_2029:                           ;   in Loop: Header=BB430_1187 Depth=1
	s_or_b32 exec_lo, exec_lo, s13
.LBB430_2030:                           ;   in Loop: Header=BB430_1187 Depth=1
	s_delay_alu instid0(SALU_CYCLE_1)
	s_or_b32 exec_lo, exec_lo, s12
.LBB430_2031:                           ;   in Loop: Header=BB430_1187 Depth=1
	s_delay_alu instid0(SALU_CYCLE_1) | instskip(NEXT) | instid1(VALU_DEP_1)
	s_or_b32 exec_lo, exec_lo, s9
	v_mul_f32_e32 v6, v26, v6
                                        ; implicit-def: $vgpr32
	s_delay_alu instid0(VALU_DEP_1) | instskip(NEXT) | instid1(VALU_DEP_1)
	v_and_b32_e32 v7, 0x7f800000, v6
	v_cmp_ne_u32_e64 s0, 0x7f800000, v7
	s_delay_alu instid0(VALU_DEP_1) | instskip(NEXT) | instid1(SALU_CYCLE_1)
	s_and_saveexec_b32 s9, s0
	s_xor_b32 s0, exec_lo, s9
; %bb.2032:                             ;   in Loop: Header=BB430_1187 Depth=1
	v_bfe_u32 v7, v6, 16, 1
	s_delay_alu instid0(VALU_DEP_1)
	v_add3_u32 v32, v6, v7, 0x7fff
                                        ; implicit-def: $vgpr6
; %bb.2033:                             ;   in Loop: Header=BB430_1187 Depth=1
	s_and_not1_saveexec_b32 s9, s0
; %bb.2034:                             ;   in Loop: Header=BB430_1187 Depth=1
	v_and_b32_e32 v7, 0xffff, v6
	v_or_b32_e32 v9, 0x10000, v6
	s_delay_alu instid0(VALU_DEP_2) | instskip(NEXT) | instid1(VALU_DEP_1)
	v_cmp_eq_u32_e64 s0, 0, v7
	v_cndmask_b32_e64 v32, v9, v6, s0
; %bb.2035:                             ;   in Loop: Header=BB430_1187 Depth=1
	s_or_b32 exec_lo, exec_lo, s9
	v_mov_b32_e32 v6, 0
	s_mov_b32 s9, exec_lo
	v_cmpx_lt_u32_e32 0xffffff, v2
	s_cbranch_execz .LBB430_2043
; %bb.2036:                             ;   in Loop: Header=BB430_1187 Depth=1
	v_lshrrev_b32_e32 v33, 24, v2
	v_bfrev_b32_e32 v6, 1
	s_mov_b32 s12, exec_lo
	s_delay_alu instid0(VALU_DEP_2)
	v_cmpx_ne_u32_e32 0x80, v33
	s_cbranch_execz .LBB430_2042
; %bb.2037:                             ;   in Loop: Header=BB430_1187 Depth=1
	v_bfe_u32 v7, v2, 24, 7
	v_mov_b32_e32 v6, 0x7f800001
	s_mov_b32 s13, exec_lo
	s_delay_alu instid0(VALU_DEP_2)
	v_cmpx_ne_u32_e32 0x7f, v7
	s_cbranch_execz .LBB430_2041
; %bb.2038:                             ;   in Loop: Header=BB430_1187 Depth=1
	v_and_b32_e32 v9, 7, v33
	v_lshrrev_b32_e32 v34, 3, v7
	v_cmp_gt_u32_e64 s0, 8, v7
	s_delay_alu instid0(VALU_DEP_3) | instskip(NEXT) | instid1(VALU_DEP_2)
	v_dual_mov_b32 v6, v9 :: v_dual_mov_b32 v7, v10
	s_and_saveexec_b32 s15, s0
; %bb.2039:                             ;   in Loop: Header=BB430_1187 Depth=1
	v_clz_i32_u32_e32 v6, v9
	s_delay_alu instid0(VALU_DEP_1) | instskip(NEXT) | instid1(VALU_DEP_1)
	v_min_u32_e32 v34, 32, v6
	v_subrev_nc_u32_e32 v6, 28, v34
	v_sub_nc_u32_e32 v34, 29, v34
	s_delay_alu instid0(VALU_DEP_2) | instskip(NEXT) | instid1(VALU_DEP_1)
	v_lshlrev_b64 v[6:7], v6, v[9:10]
	v_and_b32_e32 v6, 7, v6
; %bb.2040:                             ;   in Loop: Header=BB430_1187 Depth=1
	s_or_b32 exec_lo, exec_lo, s15
	v_lshlrev_b32_e32 v7, 24, v33
	s_delay_alu instid0(VALU_DEP_2) | instskip(SKIP_1) | instid1(VALU_DEP_3)
	v_lshlrev_b32_e32 v6, 20, v6
	v_lshl_add_u32 v9, v34, 23, 0x3c000000
	v_and_b32_e32 v7, 0x80000000, v7
	s_delay_alu instid0(VALU_DEP_1)
	v_or3_b32 v6, v6, v7, v9
.LBB430_2041:                           ;   in Loop: Header=BB430_1187 Depth=1
	s_or_b32 exec_lo, exec_lo, s13
.LBB430_2042:                           ;   in Loop: Header=BB430_1187 Depth=1
	s_delay_alu instid0(SALU_CYCLE_1)
	s_or_b32 exec_lo, exec_lo, s12
.LBB430_2043:                           ;   in Loop: Header=BB430_1187 Depth=1
	s_delay_alu instid0(SALU_CYCLE_1) | instskip(NEXT) | instid1(VALU_DEP_1)
	s_or_b32 exec_lo, exec_lo, s9
	v_mul_f32_e32 v6, v26, v6
                                        ; implicit-def: $vgpr33
	s_delay_alu instid0(VALU_DEP_1) | instskip(NEXT) | instid1(VALU_DEP_1)
	v_and_b32_e32 v7, 0x7f800000, v6
	v_cmp_ne_u32_e64 s0, 0x7f800000, v7
	s_delay_alu instid0(VALU_DEP_1) | instskip(NEXT) | instid1(SALU_CYCLE_1)
	s_and_saveexec_b32 s9, s0
	s_xor_b32 s0, exec_lo, s9
; %bb.2044:                             ;   in Loop: Header=BB430_1187 Depth=1
	v_bfe_u32 v7, v6, 16, 1
	s_delay_alu instid0(VALU_DEP_1)
	v_add3_u32 v33, v6, v7, 0x7fff
                                        ; implicit-def: $vgpr6
; %bb.2045:                             ;   in Loop: Header=BB430_1187 Depth=1
	s_and_not1_saveexec_b32 s9, s0
; %bb.2046:                             ;   in Loop: Header=BB430_1187 Depth=1
	v_and_b32_e32 v7, 0xffff, v6
	v_or_b32_e32 v9, 0x10000, v6
	s_delay_alu instid0(VALU_DEP_2) | instskip(NEXT) | instid1(VALU_DEP_1)
	v_cmp_eq_u32_e64 s0, 0, v7
	v_cndmask_b32_e64 v33, v9, v6, s0
; %bb.2047:                             ;   in Loop: Header=BB430_1187 Depth=1
	s_or_b32 exec_lo, exec_lo, s9
	v_dual_mov_b32 v6, 0 :: v_dual_and_b32 v7, 0xff, v3
	v_mov_b32_e32 v9, v3
	s_mov_b32 s9, exec_lo
	s_delay_alu instid0(VALU_DEP_2)
	v_cmpx_ne_u16_e32 0, v7
	s_cbranch_execz .LBB430_2055
; %bb.2048:                             ;   in Loop: Header=BB430_1187 Depth=1
	v_bfrev_b32_e32 v6, 1
	s_mov_b32 s12, exec_lo
	v_cmpx_ne_u16_e32 0x80, v7
	s_cbranch_execz .LBB430_2054
; %bb.2049:                             ;   in Loop: Header=BB430_1187 Depth=1
	v_and_b32_e32 v7, 0x7f, v3
	v_mov_b32_e32 v6, 0x7f800001
	s_mov_b32 s13, exec_lo
	s_delay_alu instid0(VALU_DEP_2)
	v_cmpx_ne_u32_e32 0x7f, v7
	s_cbranch_execz .LBB430_2053
; %bb.2050:                             ;   in Loop: Header=BB430_1187 Depth=1
	v_lshrrev_b32_e32 v34, 3, v7
	v_cmp_gt_u32_e64 s0, 8, v7
	v_dual_mov_b32 v6, v9 :: v_dual_mov_b32 v7, v10
	s_delay_alu instid0(VALU_DEP_2)
	s_and_saveexec_b32 s15, s0
; %bb.2051:                             ;   in Loop: Header=BB430_1187 Depth=1
	v_and_b32_e32 v6, 7, v3
	s_delay_alu instid0(VALU_DEP_1) | instskip(NEXT) | instid1(VALU_DEP_1)
	v_clz_i32_u32_e32 v6, v6
	v_min_u32_e32 v34, 32, v6
	s_delay_alu instid0(VALU_DEP_1) | instskip(SKIP_1) | instid1(VALU_DEP_2)
	v_subrev_nc_u32_e32 v6, 28, v34
	v_sub_nc_u32_e32 v34, 29, v34
	v_lshlrev_b64 v[6:7], v6, v[9:10]
; %bb.2052:                             ;   in Loop: Header=BB430_1187 Depth=1
	s_or_b32 exec_lo, exec_lo, s15
	s_delay_alu instid0(VALU_DEP_1) | instskip(SKIP_2) | instid1(VALU_DEP_3)
	v_lshlrev_b32_e32 v6, 20, v6
	v_lshlrev_b32_e32 v7, 24, v9
	v_lshl_add_u32 v34, v34, 23, 0x3c000000
	v_and_b32_e32 v6, 0x700000, v6
	s_delay_alu instid0(VALU_DEP_3) | instskip(NEXT) | instid1(VALU_DEP_1)
	v_and_b32_e32 v7, 0x80000000, v7
	v_or3_b32 v6, v6, v7, v34
.LBB430_2053:                           ;   in Loop: Header=BB430_1187 Depth=1
	s_or_b32 exec_lo, exec_lo, s13
.LBB430_2054:                           ;   in Loop: Header=BB430_1187 Depth=1
	s_delay_alu instid0(SALU_CYCLE_1)
	s_or_b32 exec_lo, exec_lo, s12
.LBB430_2055:                           ;   in Loop: Header=BB430_1187 Depth=1
	s_delay_alu instid0(SALU_CYCLE_1) | instskip(NEXT) | instid1(VALU_DEP_1)
	s_or_b32 exec_lo, exec_lo, s9
	v_mul_f32_e32 v6, v26, v6
                                        ; implicit-def: $vgpr34
	s_delay_alu instid0(VALU_DEP_1) | instskip(NEXT) | instid1(VALU_DEP_1)
	v_and_b32_e32 v7, 0x7f800000, v6
	v_cmp_ne_u32_e64 s0, 0x7f800000, v7
	s_delay_alu instid0(VALU_DEP_1) | instskip(NEXT) | instid1(SALU_CYCLE_1)
	s_and_saveexec_b32 s9, s0
	s_xor_b32 s0, exec_lo, s9
; %bb.2056:                             ;   in Loop: Header=BB430_1187 Depth=1
	v_bfe_u32 v7, v6, 16, 1
	s_delay_alu instid0(VALU_DEP_1)
	v_add3_u32 v34, v6, v7, 0x7fff
                                        ; implicit-def: $vgpr6
; %bb.2057:                             ;   in Loop: Header=BB430_1187 Depth=1
	s_and_not1_saveexec_b32 s9, s0
; %bb.2058:                             ;   in Loop: Header=BB430_1187 Depth=1
	v_and_b32_e32 v7, 0xffff, v6
	v_or_b32_e32 v34, 0x10000, v6
	s_delay_alu instid0(VALU_DEP_2) | instskip(NEXT) | instid1(VALU_DEP_1)
	v_cmp_eq_u32_e64 s0, 0, v7
	v_cndmask_b32_e64 v34, v34, v6, s0
; %bb.2059:                             ;   in Loop: Header=BB430_1187 Depth=1
	s_or_b32 exec_lo, exec_lo, s9
	v_lshrrev_b16 v7, 8, v9
	v_mov_b32_e32 v6, 0
	s_mov_b32 s9, exec_lo
	s_delay_alu instid0(VALU_DEP_2)
	v_cmpx_ne_u16_e32 0, v7
	s_cbranch_execz .LBB430_2067
; %bb.2060:                             ;   in Loop: Header=BB430_1187 Depth=1
	v_bfrev_b32_e32 v6, 1
	s_mov_b32 s12, exec_lo
	v_cmpx_ne_u16_e32 0x80, v7
	s_cbranch_execz .LBB430_2066
; %bb.2061:                             ;   in Loop: Header=BB430_1187 Depth=1
	v_and_b32_e32 v7, 0xffff, v7
	v_mov_b32_e32 v6, 0x7f800001
	s_mov_b32 s13, exec_lo
	s_delay_alu instid0(VALU_DEP_2) | instskip(NEXT) | instid1(VALU_DEP_1)
	v_and_b32_e32 v167, 0x7f, v7
	v_cmpx_ne_u32_e32 0x7f, v167
	s_cbranch_execz .LBB430_2065
; %bb.2062:                             ;   in Loop: Header=BB430_1187 Depth=1
	v_dual_mov_b32 v7, v10 :: v_dual_and_b32 v6, 7, v7
	v_lshrrev_b32_e32 v36, 3, v167
	s_mov_b32 s15, exec_lo
	v_cmpx_gt_u32_e32 8, v167
; %bb.2063:                             ;   in Loop: Header=BB430_1187 Depth=1
	s_delay_alu instid0(VALU_DEP_3) | instskip(NEXT) | instid1(VALU_DEP_1)
	v_clz_i32_u32_e32 v36, v6
	v_min_u32_e32 v36, 32, v36
	s_delay_alu instid0(VALU_DEP_1) | instskip(SKIP_1) | instid1(VALU_DEP_2)
	v_subrev_nc_u32_e32 v167, 28, v36
	v_sub_nc_u32_e32 v36, 29, v36
	v_lshlrev_b64 v[6:7], v167, v[6:7]
	s_delay_alu instid0(VALU_DEP_1)
	v_and_b32_e32 v6, 7, v6
; %bb.2064:                             ;   in Loop: Header=BB430_1187 Depth=1
	s_or_b32 exec_lo, exec_lo, s15
	v_lshlrev_b32_e32 v7, 16, v9
	s_delay_alu instid0(VALU_DEP_2) | instskip(SKIP_1) | instid1(VALU_DEP_3)
	v_lshlrev_b32_e32 v6, 20, v6
	v_lshl_add_u32 v9, v36, 23, 0x3c000000
	v_and_b32_e32 v7, 0x80000000, v7
	s_delay_alu instid0(VALU_DEP_1)
	v_or3_b32 v6, v6, v7, v9
.LBB430_2065:                           ;   in Loop: Header=BB430_1187 Depth=1
	s_or_b32 exec_lo, exec_lo, s13
.LBB430_2066:                           ;   in Loop: Header=BB430_1187 Depth=1
	s_delay_alu instid0(SALU_CYCLE_1)
	s_or_b32 exec_lo, exec_lo, s12
.LBB430_2067:                           ;   in Loop: Header=BB430_1187 Depth=1
	s_delay_alu instid0(SALU_CYCLE_1) | instskip(NEXT) | instid1(VALU_DEP_1)
	s_or_b32 exec_lo, exec_lo, s9
	v_mul_f32_e32 v6, v26, v6
                                        ; implicit-def: $vgpr36
	s_delay_alu instid0(VALU_DEP_1) | instskip(NEXT) | instid1(VALU_DEP_1)
	v_and_b32_e32 v7, 0x7f800000, v6
	v_cmp_ne_u32_e64 s0, 0x7f800000, v7
	s_delay_alu instid0(VALU_DEP_1) | instskip(NEXT) | instid1(SALU_CYCLE_1)
	s_and_saveexec_b32 s9, s0
	s_xor_b32 s0, exec_lo, s9
; %bb.2068:                             ;   in Loop: Header=BB430_1187 Depth=1
	v_bfe_u32 v7, v6, 16, 1
	s_delay_alu instid0(VALU_DEP_1)
	v_add3_u32 v36, v6, v7, 0x7fff
                                        ; implicit-def: $vgpr6
; %bb.2069:                             ;   in Loop: Header=BB430_1187 Depth=1
	s_and_not1_saveexec_b32 s9, s0
; %bb.2070:                             ;   in Loop: Header=BB430_1187 Depth=1
	v_and_b32_e32 v7, 0xffff, v6
	v_or_b32_e32 v9, 0x10000, v6
	s_delay_alu instid0(VALU_DEP_2) | instskip(NEXT) | instid1(VALU_DEP_1)
	v_cmp_eq_u32_e64 s0, 0, v7
	v_cndmask_b32_e64 v36, v9, v6, s0
; %bb.2071:                             ;   in Loop: Header=BB430_1187 Depth=1
	s_or_b32 exec_lo, exec_lo, s9
	v_lshrrev_b32_e32 v167, 16, v3
	s_mov_b32 s9, exec_lo
	s_delay_alu instid0(VALU_DEP_1) | instskip(NEXT) | instid1(VALU_DEP_1)
	v_dual_mov_b32 v6, 0 :: v_dual_and_b32 v7, 0xff, v167
	v_cmpx_ne_u16_e32 0, v7
	s_cbranch_execz .LBB430_2079
; %bb.2072:                             ;   in Loop: Header=BB430_1187 Depth=1
	v_bfrev_b32_e32 v6, 1
	s_mov_b32 s12, exec_lo
	v_cmpx_ne_u16_e32 0x80, v7
	s_cbranch_execz .LBB430_2078
; %bb.2073:                             ;   in Loop: Header=BB430_1187 Depth=1
	v_bfe_u32 v7, v3, 16, 7
	v_mov_b32_e32 v6, 0x7f800001
	s_mov_b32 s13, exec_lo
	s_delay_alu instid0(VALU_DEP_2)
	v_cmpx_ne_u32_e32 0x7f, v7
	s_cbranch_execz .LBB430_2077
; %bb.2074:                             ;   in Loop: Header=BB430_1187 Depth=1
	v_and_b32_e32 v9, 7, v167
	v_lshrrev_b32_e32 v176, 3, v7
	v_cmp_gt_u32_e64 s0, 8, v7
	s_delay_alu instid0(VALU_DEP_3) | instskip(NEXT) | instid1(VALU_DEP_2)
	v_dual_mov_b32 v6, v9 :: v_dual_mov_b32 v7, v10
	s_and_saveexec_b32 s15, s0
; %bb.2075:                             ;   in Loop: Header=BB430_1187 Depth=1
	v_clz_i32_u32_e32 v6, v9
	s_delay_alu instid0(VALU_DEP_1) | instskip(NEXT) | instid1(VALU_DEP_1)
	v_min_u32_e32 v176, 32, v6
	v_subrev_nc_u32_e32 v6, 28, v176
	v_sub_nc_u32_e32 v176, 29, v176
	s_delay_alu instid0(VALU_DEP_2) | instskip(NEXT) | instid1(VALU_DEP_1)
	v_lshlrev_b64 v[6:7], v6, v[9:10]
	v_and_b32_e32 v6, 7, v6
; %bb.2076:                             ;   in Loop: Header=BB430_1187 Depth=1
	s_or_b32 exec_lo, exec_lo, s15
	v_lshlrev_b32_e32 v7, 24, v167
	s_delay_alu instid0(VALU_DEP_2) | instskip(SKIP_1) | instid1(VALU_DEP_3)
	v_lshlrev_b32_e32 v6, 20, v6
	v_lshl_add_u32 v9, v176, 23, 0x3c000000
	v_and_b32_e32 v7, 0x80000000, v7
	s_delay_alu instid0(VALU_DEP_1)
	v_or3_b32 v6, v6, v7, v9
.LBB430_2077:                           ;   in Loop: Header=BB430_1187 Depth=1
	s_or_b32 exec_lo, exec_lo, s13
.LBB430_2078:                           ;   in Loop: Header=BB430_1187 Depth=1
	s_delay_alu instid0(SALU_CYCLE_1)
	s_or_b32 exec_lo, exec_lo, s12
.LBB430_2079:                           ;   in Loop: Header=BB430_1187 Depth=1
	s_delay_alu instid0(SALU_CYCLE_1) | instskip(NEXT) | instid1(VALU_DEP_1)
	s_or_b32 exec_lo, exec_lo, s9
	v_mul_f32_e32 v6, v26, v6
                                        ; implicit-def: $vgpr167
	s_delay_alu instid0(VALU_DEP_1) | instskip(NEXT) | instid1(VALU_DEP_1)
	v_and_b32_e32 v7, 0x7f800000, v6
	v_cmp_ne_u32_e64 s0, 0x7f800000, v7
	s_delay_alu instid0(VALU_DEP_1) | instskip(NEXT) | instid1(SALU_CYCLE_1)
	s_and_saveexec_b32 s9, s0
	s_xor_b32 s0, exec_lo, s9
; %bb.2080:                             ;   in Loop: Header=BB430_1187 Depth=1
	v_bfe_u32 v7, v6, 16, 1
	s_delay_alu instid0(VALU_DEP_1)
	v_add3_u32 v167, v6, v7, 0x7fff
                                        ; implicit-def: $vgpr6
; %bb.2081:                             ;   in Loop: Header=BB430_1187 Depth=1
	s_and_not1_saveexec_b32 s9, s0
; %bb.2082:                             ;   in Loop: Header=BB430_1187 Depth=1
	v_and_b32_e32 v7, 0xffff, v6
	v_or_b32_e32 v9, 0x10000, v6
	s_delay_alu instid0(VALU_DEP_2) | instskip(NEXT) | instid1(VALU_DEP_1)
	v_cmp_eq_u32_e64 s0, 0, v7
	v_cndmask_b32_e64 v167, v9, v6, s0
; %bb.2083:                             ;   in Loop: Header=BB430_1187 Depth=1
	s_or_b32 exec_lo, exec_lo, s9
	v_cmp_lt_u64_e64 s0, s[2:3], v[2:3]
	v_mov_b32_e32 v2, 0
	s_delay_alu instid0(VALU_DEP_2)
	s_and_saveexec_b32 s9, s0
	s_cbranch_execz .LBB430_2091
; %bb.2084:                             ;   in Loop: Header=BB430_1187 Depth=1
	v_lshrrev_b32_e32 v6, 24, v3
	v_bfrev_b32_e32 v2, 1
	s_mov_b32 s12, exec_lo
	s_delay_alu instid0(VALU_DEP_2)
	v_cmpx_ne_u32_e32 0x80, v6
	s_cbranch_execz .LBB430_2090
; %bb.2085:                             ;   in Loop: Header=BB430_1187 Depth=1
	v_bfe_u32 v3, v3, 24, 7
	v_mov_b32_e32 v2, 0x7f800001
	s_mov_b32 s13, exec_lo
	s_delay_alu instid0(VALU_DEP_2)
	v_cmpx_ne_u32_e32 0x7f, v3
	s_cbranch_execz .LBB430_2089
; %bb.2086:                             ;   in Loop: Header=BB430_1187 Depth=1
	v_and_b32_e32 v9, 7, v6
	v_lshrrev_b32_e32 v7, 3, v3
	v_cmp_gt_u32_e64 s0, 8, v3
	s_delay_alu instid0(VALU_DEP_3) | instskip(NEXT) | instid1(VALU_DEP_2)
	v_dual_mov_b32 v2, v9 :: v_dual_mov_b32 v3, v10
	s_and_saveexec_b32 s15, s0
; %bb.2087:                             ;   in Loop: Header=BB430_1187 Depth=1
	v_clz_i32_u32_e32 v2, v9
	s_delay_alu instid0(VALU_DEP_1) | instskip(NEXT) | instid1(VALU_DEP_1)
	v_min_u32_e32 v7, 32, v2
	v_subrev_nc_u32_e32 v2, 28, v7
	v_sub_nc_u32_e32 v7, 29, v7
	s_delay_alu instid0(VALU_DEP_2) | instskip(NEXT) | instid1(VALU_DEP_1)
	v_lshlrev_b64 v[2:3], v2, v[9:10]
	v_and_b32_e32 v2, 7, v2
; %bb.2088:                             ;   in Loop: Header=BB430_1187 Depth=1
	s_or_b32 exec_lo, exec_lo, s15
	v_lshlrev_b32_e32 v3, 24, v6
	s_delay_alu instid0(VALU_DEP_2) | instskip(SKIP_1) | instid1(VALU_DEP_3)
	v_lshlrev_b32_e32 v2, 20, v2
	v_lshl_add_u32 v6, v7, 23, 0x3c000000
	v_and_b32_e32 v3, 0x80000000, v3
	s_delay_alu instid0(VALU_DEP_1)
	v_or3_b32 v2, v2, v3, v6
.LBB430_2089:                           ;   in Loop: Header=BB430_1187 Depth=1
	s_or_b32 exec_lo, exec_lo, s13
.LBB430_2090:                           ;   in Loop: Header=BB430_1187 Depth=1
	s_delay_alu instid0(SALU_CYCLE_1)
	s_or_b32 exec_lo, exec_lo, s12
.LBB430_2091:                           ;   in Loop: Header=BB430_1187 Depth=1
	s_delay_alu instid0(SALU_CYCLE_1) | instskip(NEXT) | instid1(VALU_DEP_1)
	s_or_b32 exec_lo, exec_lo, s9
	v_mul_f32_e32 v3, v26, v2
	s_delay_alu instid0(VALU_DEP_1) | instskip(NEXT) | instid1(VALU_DEP_1)
	v_and_b32_e32 v2, 0x7f800000, v3
	v_cmp_ne_u32_e64 s0, 0x7f800000, v2
                                        ; implicit-def: $vgpr2
	s_delay_alu instid0(VALU_DEP_1) | instskip(NEXT) | instid1(SALU_CYCLE_1)
	s_and_saveexec_b32 s9, s0
	s_xor_b32 s0, exec_lo, s9
; %bb.2092:                             ;   in Loop: Header=BB430_1187 Depth=1
	v_bfe_u32 v2, v3, 16, 1
	s_delay_alu instid0(VALU_DEP_1)
	v_add3_u32 v2, v3, v2, 0x7fff
                                        ; implicit-def: $vgpr3
; %bb.2093:                             ;   in Loop: Header=BB430_1187 Depth=1
	s_and_not1_saveexec_b32 s9, s0
; %bb.2094:                             ;   in Loop: Header=BB430_1187 Depth=1
	v_and_b32_e32 v2, 0xffff, v3
	v_or_b32_e32 v6, 0x10000, v3
	s_delay_alu instid0(VALU_DEP_2) | instskip(NEXT) | instid1(VALU_DEP_1)
	v_cmp_eq_u32_e64 s0, 0, v2
	v_cndmask_b32_e64 v2, v6, v3, s0
; %bb.2095:                             ;   in Loop: Header=BB430_1187 Depth=1
	s_or_b32 exec_lo, exec_lo, s9
	v_lshrrev_b32_e32 v6, 16, v36
	v_lshrrev_b32_e32 v7, 16, v34
	;; [unrolled: 1-line block ×8, first 2 shown]
	s_and_saveexec_b32 s9, vcc_lo
	s_cbranch_execz .LBB430_2097
; %bb.2096:                             ;   in Loop: Header=BB430_1187 Depth=1
	v_cmp_lt_i32_e64 s0, v64, v35
	s_delay_alu instid0(VALU_DEP_1) | instskip(SKIP_1) | instid1(VALU_DEP_1)
	v_cndmask_b32_e64 v4, 0, v4, s0
	v_cmp_lt_i32_e64 s0, v70, v35
	v_cndmask_b32_e64 v5, 0, v5, s0
	v_cmp_lt_i32_e64 s0, v69, v35
	s_delay_alu instid0(VALU_DEP_1) | instskip(SKIP_1) | instid1(VALU_DEP_1)
	v_cndmask_b32_e64 v32, 0, v32, s0
	v_cmp_lt_i32_e64 s0, v68, v35
	v_cndmask_b32_e64 v9, 0, v9, s0
	;; [unrolled: 5-line block ×4, first 2 shown]
.LBB430_2097:                           ;   in Loop: Header=BB430_1187 Depth=1
	s_or_b32 exec_lo, exec_lo, s9
	v_lshlrev_b32_e32 v4, 16, v4
                                        ; implicit-def: $vgpr167
	s_delay_alu instid0(VALU_DEP_1) | instskip(NEXT) | instid1(VALU_DEP_1)
	v_mul_f32_e32 v4, v71, v4
	v_and_b32_e32 v33, 0x7f800000, v4
	s_delay_alu instid0(VALU_DEP_1) | instskip(NEXT) | instid1(VALU_DEP_1)
	v_cmp_ne_u32_e64 s0, 0x7f800000, v33
	s_and_saveexec_b32 s9, s0
	s_delay_alu instid0(SALU_CYCLE_1)
	s_xor_b32 s0, exec_lo, s9
; %bb.2098:                             ;   in Loop: Header=BB430_1187 Depth=1
	v_bfe_u32 v33, v4, 16, 1
	s_delay_alu instid0(VALU_DEP_1)
	v_add3_u32 v167, v4, v33, 0x7fff
                                        ; implicit-def: $vgpr4
; %bb.2099:                             ;   in Loop: Header=BB430_1187 Depth=1
	s_and_not1_saveexec_b32 s9, s0
; %bb.2100:                             ;   in Loop: Header=BB430_1187 Depth=1
	v_and_b32_e32 v33, 0xffff, v4
	v_or_b32_e32 v34, 0x10000, v4
	s_delay_alu instid0(VALU_DEP_2) | instskip(NEXT) | instid1(VALU_DEP_1)
	v_cmp_eq_u32_e64 s0, 0, v33
	v_cndmask_b32_e64 v167, v34, v4, s0
; %bb.2101:                             ;   in Loop: Header=BB430_1187 Depth=1
	s_or_b32 exec_lo, exec_lo, s9
	v_lshlrev_b32_e32 v4, 16, v5
                                        ; implicit-def: $vgpr176
	s_delay_alu instid0(VALU_DEP_1) | instskip(NEXT) | instid1(VALU_DEP_1)
	v_mul_f32_e32 v4, v80, v4
	v_and_b32_e32 v5, 0x7f800000, v4
	s_delay_alu instid0(VALU_DEP_1) | instskip(NEXT) | instid1(VALU_DEP_1)
	v_cmp_ne_u32_e64 s0, 0x7f800000, v5
	s_and_saveexec_b32 s9, s0
	s_delay_alu instid0(SALU_CYCLE_1)
	s_xor_b32 s0, exec_lo, s9
; %bb.2102:                             ;   in Loop: Header=BB430_1187 Depth=1
	v_bfe_u32 v5, v4, 16, 1
	s_delay_alu instid0(VALU_DEP_1)
	v_add3_u32 v176, v4, v5, 0x7fff
                                        ; implicit-def: $vgpr4
; %bb.2103:                             ;   in Loop: Header=BB430_1187 Depth=1
	s_and_not1_saveexec_b32 s9, s0
; %bb.2104:                             ;   in Loop: Header=BB430_1187 Depth=1
	v_and_b32_e32 v5, 0xffff, v4
	v_or_b32_e32 v33, 0x10000, v4
	s_delay_alu instid0(VALU_DEP_2) | instskip(NEXT) | instid1(VALU_DEP_1)
	v_cmp_eq_u32_e64 s0, 0, v5
	v_cndmask_b32_e64 v176, v33, v4, s0
; %bb.2105:                             ;   in Loop: Header=BB430_1187 Depth=1
	s_or_b32 exec_lo, exec_lo, s9
	v_lshlrev_b32_e32 v4, 16, v32
                                        ; implicit-def: $vgpr177
	s_delay_alu instid0(VALU_DEP_1) | instskip(NEXT) | instid1(VALU_DEP_1)
	v_mul_f32_e32 v4, v81, v4
	v_and_b32_e32 v5, 0x7f800000, v4
	s_delay_alu instid0(VALU_DEP_1) | instskip(NEXT) | instid1(VALU_DEP_1)
	v_cmp_ne_u32_e64 s0, 0x7f800000, v5
	s_and_saveexec_b32 s9, s0
	s_delay_alu instid0(SALU_CYCLE_1)
	s_xor_b32 s0, exec_lo, s9
; %bb.2106:                             ;   in Loop: Header=BB430_1187 Depth=1
	v_bfe_u32 v5, v4, 16, 1
	s_delay_alu instid0(VALU_DEP_1)
	v_add3_u32 v177, v4, v5, 0x7fff
                                        ; implicit-def: $vgpr4
; %bb.2107:                             ;   in Loop: Header=BB430_1187 Depth=1
	s_and_not1_saveexec_b32 s9, s0
; %bb.2108:                             ;   in Loop: Header=BB430_1187 Depth=1
	v_and_b32_e32 v5, 0xffff, v4
	v_or_b32_e32 v32, 0x10000, v4
	s_delay_alu instid0(VALU_DEP_2) | instskip(NEXT) | instid1(VALU_DEP_1)
	v_cmp_eq_u32_e64 s0, 0, v5
	v_cndmask_b32_e64 v177, v32, v4, s0
; %bb.2109:                             ;   in Loop: Header=BB430_1187 Depth=1
	s_or_b32 exec_lo, exec_lo, s9
	v_lshlrev_b32_e32 v4, 16, v9
                                        ; implicit-def: $vgpr178
	s_delay_alu instid0(VALU_DEP_1) | instskip(NEXT) | instid1(VALU_DEP_1)
	v_mul_f32_e32 v4, v82, v4
	v_and_b32_e32 v5, 0x7f800000, v4
	s_delay_alu instid0(VALU_DEP_1) | instskip(NEXT) | instid1(VALU_DEP_1)
	v_cmp_ne_u32_e64 s0, 0x7f800000, v5
	s_and_saveexec_b32 s9, s0
	s_delay_alu instid0(SALU_CYCLE_1)
	s_xor_b32 s0, exec_lo, s9
; %bb.2110:                             ;   in Loop: Header=BB430_1187 Depth=1
	v_bfe_u32 v5, v4, 16, 1
	s_delay_alu instid0(VALU_DEP_1)
	v_add3_u32 v178, v4, v5, 0x7fff
                                        ; implicit-def: $vgpr4
; %bb.2111:                             ;   in Loop: Header=BB430_1187 Depth=1
	s_and_not1_saveexec_b32 s9, s0
; %bb.2112:                             ;   in Loop: Header=BB430_1187 Depth=1
	v_and_b32_e32 v5, 0xffff, v4
	v_or_b32_e32 v9, 0x10000, v4
	s_delay_alu instid0(VALU_DEP_2) | instskip(NEXT) | instid1(VALU_DEP_1)
	v_cmp_eq_u32_e64 s0, 0, v5
	v_cndmask_b32_e64 v178, v9, v4, s0
; %bb.2113:                             ;   in Loop: Header=BB430_1187 Depth=1
	s_or_b32 exec_lo, exec_lo, s9
	v_lshlrev_b32_e32 v4, 16, v7
                                        ; implicit-def: $vgpr179
	s_delay_alu instid0(VALU_DEP_1) | instskip(NEXT) | instid1(VALU_DEP_1)
	v_mul_f32_e32 v4, v83, v4
	v_and_b32_e32 v5, 0x7f800000, v4
	s_delay_alu instid0(VALU_DEP_1) | instskip(NEXT) | instid1(VALU_DEP_1)
	v_cmp_ne_u32_e64 s0, 0x7f800000, v5
	s_and_saveexec_b32 s9, s0
	s_delay_alu instid0(SALU_CYCLE_1)
	s_xor_b32 s0, exec_lo, s9
; %bb.2114:                             ;   in Loop: Header=BB430_1187 Depth=1
	v_bfe_u32 v5, v4, 16, 1
	s_delay_alu instid0(VALU_DEP_1)
	v_add3_u32 v179, v4, v5, 0x7fff
                                        ; implicit-def: $vgpr4
; %bb.2115:                             ;   in Loop: Header=BB430_1187 Depth=1
	s_and_not1_saveexec_b32 s9, s0
; %bb.2116:                             ;   in Loop: Header=BB430_1187 Depth=1
	v_and_b32_e32 v5, 0xffff, v4
	v_or_b32_e32 v7, 0x10000, v4
	s_delay_alu instid0(VALU_DEP_2) | instskip(NEXT) | instid1(VALU_DEP_1)
	v_cmp_eq_u32_e64 s0, 0, v5
	v_cndmask_b32_e64 v179, v7, v4, s0
; %bb.2117:                             ;   in Loop: Header=BB430_1187 Depth=1
	s_or_b32 exec_lo, exec_lo, s9
	v_lshlrev_b32_e32 v4, 16, v6
                                        ; implicit-def: $vgpr180
	s_delay_alu instid0(VALU_DEP_1) | instskip(NEXT) | instid1(VALU_DEP_1)
	v_mul_f32_e32 v4, v84, v4
	v_and_b32_e32 v5, 0x7f800000, v4
	s_delay_alu instid0(VALU_DEP_1) | instskip(NEXT) | instid1(VALU_DEP_1)
	v_cmp_ne_u32_e64 s0, 0x7f800000, v5
	s_and_saveexec_b32 s9, s0
	s_delay_alu instid0(SALU_CYCLE_1)
	s_xor_b32 s0, exec_lo, s9
; %bb.2118:                             ;   in Loop: Header=BB430_1187 Depth=1
	v_bfe_u32 v5, v4, 16, 1
	s_delay_alu instid0(VALU_DEP_1)
	v_add3_u32 v180, v4, v5, 0x7fff
                                        ; implicit-def: $vgpr4
; %bb.2119:                             ;   in Loop: Header=BB430_1187 Depth=1
	s_and_not1_saveexec_b32 s9, s0
; %bb.2120:                             ;   in Loop: Header=BB430_1187 Depth=1
	v_and_b32_e32 v5, 0xffff, v4
	v_or_b32_e32 v6, 0x10000, v4
	s_delay_alu instid0(VALU_DEP_2) | instskip(NEXT) | instid1(VALU_DEP_1)
	v_cmp_eq_u32_e64 s0, 0, v5
	v_cndmask_b32_e64 v180, v6, v4, s0
; %bb.2121:                             ;   in Loop: Header=BB430_1187 Depth=1
	s_or_b32 exec_lo, exec_lo, s9
	v_lshlrev_b32_e32 v3, 16, v3
                                        ; implicit-def: $vgpr181
	s_delay_alu instid0(VALU_DEP_1) | instskip(NEXT) | instid1(VALU_DEP_1)
	v_mul_f32_e32 v3, v85, v3
	v_and_b32_e32 v4, 0x7f800000, v3
	s_delay_alu instid0(VALU_DEP_1) | instskip(NEXT) | instid1(VALU_DEP_1)
	v_cmp_ne_u32_e64 s0, 0x7f800000, v4
	s_and_saveexec_b32 s9, s0
	s_delay_alu instid0(SALU_CYCLE_1)
	s_xor_b32 s0, exec_lo, s9
; %bb.2122:                             ;   in Loop: Header=BB430_1187 Depth=1
	v_bfe_u32 v4, v3, 16, 1
	s_delay_alu instid0(VALU_DEP_1)
	v_add3_u32 v181, v3, v4, 0x7fff
                                        ; implicit-def: $vgpr3
; %bb.2123:                             ;   in Loop: Header=BB430_1187 Depth=1
	s_and_not1_saveexec_b32 s9, s0
; %bb.2124:                             ;   in Loop: Header=BB430_1187 Depth=1
	v_and_b32_e32 v4, 0xffff, v3
	v_or_b32_e32 v5, 0x10000, v3
	s_delay_alu instid0(VALU_DEP_2) | instskip(NEXT) | instid1(VALU_DEP_1)
	v_cmp_eq_u32_e64 s0, 0, v4
	v_cndmask_b32_e64 v181, v5, v3, s0
; %bb.2125:                             ;   in Loop: Header=BB430_1187 Depth=1
	s_or_b32 exec_lo, exec_lo, s9
	v_lshlrev_b32_e32 v2, 16, v2
                                        ; implicit-def: $vgpr182
	s_delay_alu instid0(VALU_DEP_1) | instskip(NEXT) | instid1(VALU_DEP_1)
	v_mul_f32_e32 v2, v86, v2
	v_and_b32_e32 v3, 0x7f800000, v2
	s_delay_alu instid0(VALU_DEP_1) | instskip(NEXT) | instid1(VALU_DEP_1)
	v_cmp_ne_u32_e64 s0, 0x7f800000, v3
	s_and_saveexec_b32 s9, s0
	s_delay_alu instid0(SALU_CYCLE_1)
	s_xor_b32 s0, exec_lo, s9
; %bb.2126:                             ;   in Loop: Header=BB430_1187 Depth=1
	v_bfe_u32 v3, v2, 16, 1
	s_delay_alu instid0(VALU_DEP_1)
	v_add3_u32 v182, v2, v3, 0x7fff
                                        ; implicit-def: $vgpr2
; %bb.2127:                             ;   in Loop: Header=BB430_1187 Depth=1
	s_and_not1_saveexec_b32 s9, s0
; %bb.2128:                             ;   in Loop: Header=BB430_1187 Depth=1
	v_and_b32_e32 v3, 0xffff, v2
	v_or_b32_e32 v4, 0x10000, v2
	s_delay_alu instid0(VALU_DEP_2) | instskip(NEXT) | instid1(VALU_DEP_1)
	v_cmp_eq_u32_e64 s0, 0, v3
	v_cndmask_b32_e64 v182, v4, v2, s0
; %bb.2129:                             ;   in Loop: Header=BB430_1187 Depth=1
	s_or_b32 exec_lo, exec_lo, s9
	flat_load_b64 v[2:3], v[0:1] offset:1792
	s_mov_b32 s9, exec_lo
	s_waitcnt vmcnt(0) lgkmcnt(0)
	v_dual_mov_b32 v4, 0 :: v_dual_and_b32 v5, 0xff, v2
	s_delay_alu instid0(VALU_DEP_1)
	v_cmpx_ne_u16_e32 0, v5
	s_cbranch_execz .LBB430_2137
; %bb.2130:                             ;   in Loop: Header=BB430_1187 Depth=1
	v_bfrev_b32_e32 v4, 1
	s_mov_b32 s12, exec_lo
	v_cmpx_ne_u16_e32 0x80, v5
	s_cbranch_execz .LBB430_2136
; %bb.2131:                             ;   in Loop: Header=BB430_1187 Depth=1
	v_and_b32_e32 v5, 0x7f, v2
	v_mov_b32_e32 v4, 0x7f800001
	s_mov_b32 s13, exec_lo
	s_delay_alu instid0(VALU_DEP_2)
	v_cmpx_ne_u32_e32 0x7f, v5
	s_cbranch_execz .LBB430_2135
; %bb.2132:                             ;   in Loop: Header=BB430_1187 Depth=1
	v_lshrrev_b32_e32 v4, 3, v5
	v_dual_mov_b32 v7, v3 :: v_dual_mov_b32 v6, v2
	s_mov_b32 s15, exec_lo
	v_cmpx_gt_u32_e32 8, v5
; %bb.2133:                             ;   in Loop: Header=BB430_1187 Depth=1
	v_and_b32_e32 v4, 7, v2
	s_delay_alu instid0(VALU_DEP_1) | instskip(NEXT) | instid1(VALU_DEP_1)
	v_clz_i32_u32_e32 v4, v4
	v_min_u32_e32 v4, 32, v4
	s_delay_alu instid0(VALU_DEP_1) | instskip(SKIP_1) | instid1(VALU_DEP_2)
	v_subrev_nc_u32_e32 v5, 28, v4
	v_sub_nc_u32_e32 v4, 29, v4
	v_lshlrev_b64 v[6:7], v5, v[2:3]
; %bb.2134:                             ;   in Loop: Header=BB430_1187 Depth=1
	s_or_b32 exec_lo, exec_lo, s15
	s_delay_alu instid0(VALU_DEP_1) | instskip(SKIP_2) | instid1(VALU_DEP_3)
	v_lshlrev_b32_e32 v5, 20, v6
	v_lshlrev_b32_e32 v6, 24, v2
	v_lshl_add_u32 v4, v4, 23, 0x3c000000
	v_and_b32_e32 v5, 0x700000, v5
	s_delay_alu instid0(VALU_DEP_3) | instskip(NEXT) | instid1(VALU_DEP_1)
	v_and_b32_e32 v6, 0x80000000, v6
	v_or3_b32 v4, v5, v6, v4
.LBB430_2135:                           ;   in Loop: Header=BB430_1187 Depth=1
	s_or_b32 exec_lo, exec_lo, s13
.LBB430_2136:                           ;   in Loop: Header=BB430_1187 Depth=1
	s_delay_alu instid0(SALU_CYCLE_1)
	s_or_b32 exec_lo, exec_lo, s12
.LBB430_2137:                           ;   in Loop: Header=BB430_1187 Depth=1
	s_delay_alu instid0(SALU_CYCLE_1) | instskip(NEXT) | instid1(VALU_DEP_1)
	s_or_b32 exec_lo, exec_lo, s9
	v_mul_f32_e32 v5, v26, v4
	s_delay_alu instid0(VALU_DEP_1) | instskip(NEXT) | instid1(VALU_DEP_1)
	v_and_b32_e32 v4, 0x7f800000, v5
	v_cmp_ne_u32_e64 s0, 0x7f800000, v4
                                        ; implicit-def: $vgpr4
	s_delay_alu instid0(VALU_DEP_1) | instskip(NEXT) | instid1(SALU_CYCLE_1)
	s_and_saveexec_b32 s9, s0
	s_xor_b32 s0, exec_lo, s9
; %bb.2138:                             ;   in Loop: Header=BB430_1187 Depth=1
	v_bfe_u32 v4, v5, 16, 1
	s_delay_alu instid0(VALU_DEP_1)
	v_add3_u32 v4, v5, v4, 0x7fff
                                        ; implicit-def: $vgpr5
; %bb.2139:                             ;   in Loop: Header=BB430_1187 Depth=1
	s_and_not1_saveexec_b32 s9, s0
; %bb.2140:                             ;   in Loop: Header=BB430_1187 Depth=1
	v_and_b32_e32 v4, 0xffff, v5
	v_or_b32_e32 v6, 0x10000, v5
	s_delay_alu instid0(VALU_DEP_2) | instskip(NEXT) | instid1(VALU_DEP_1)
	v_cmp_eq_u32_e64 s0, 0, v4
	v_cndmask_b32_e64 v4, v6, v5, s0
; %bb.2141:                             ;   in Loop: Header=BB430_1187 Depth=1
	s_or_b32 exec_lo, exec_lo, s9
	v_lshrrev_b16 v6, 8, v2
	v_mov_b32_e32 v5, 0
	s_mov_b32 s9, exec_lo
	s_delay_alu instid0(VALU_DEP_2)
	v_cmpx_ne_u16_e32 0, v6
	s_cbranch_execz .LBB430_2149
; %bb.2142:                             ;   in Loop: Header=BB430_1187 Depth=1
	v_bfrev_b32_e32 v5, 1
	s_mov_b32 s12, exec_lo
	v_cmpx_ne_u16_e32 0x80, v6
	s_cbranch_execz .LBB430_2148
; %bb.2143:                             ;   in Loop: Header=BB430_1187 Depth=1
	v_and_b32_e32 v7, 0xffff, v6
	v_mov_b32_e32 v5, 0x7f800001
	s_mov_b32 s13, exec_lo
	s_delay_alu instid0(VALU_DEP_2) | instskip(NEXT) | instid1(VALU_DEP_1)
	v_and_b32_e32 v6, 0x7f, v7
	v_cmpx_ne_u32_e32 0x7f, v6
	s_cbranch_execz .LBB430_2147
; %bb.2144:                             ;   in Loop: Header=BB430_1187 Depth=1
	v_and_b32_e32 v9, 7, v7
	v_lshrrev_b32_e32 v5, 3, v6
	v_cmp_gt_u32_e64 s0, 8, v6
	s_delay_alu instid0(VALU_DEP_3) | instskip(NEXT) | instid1(VALU_DEP_2)
	v_dual_mov_b32 v6, v9 :: v_dual_mov_b32 v7, v10
	s_and_saveexec_b32 s15, s0
; %bb.2145:                             ;   in Loop: Header=BB430_1187 Depth=1
	v_clz_i32_u32_e32 v5, v9
	s_delay_alu instid0(VALU_DEP_1) | instskip(NEXT) | instid1(VALU_DEP_1)
	v_min_u32_e32 v5, 32, v5
	v_subrev_nc_u32_e32 v6, 28, v5
	v_sub_nc_u32_e32 v5, 29, v5
	s_delay_alu instid0(VALU_DEP_2) | instskip(NEXT) | instid1(VALU_DEP_1)
	v_lshlrev_b64 v[6:7], v6, v[9:10]
	v_and_b32_e32 v6, 7, v6
; %bb.2146:                             ;   in Loop: Header=BB430_1187 Depth=1
	s_or_b32 exec_lo, exec_lo, s15
	v_lshlrev_b32_e32 v7, 16, v2
	s_delay_alu instid0(VALU_DEP_2) | instskip(SKIP_1) | instid1(VALU_DEP_3)
	v_lshlrev_b32_e32 v6, 20, v6
	v_lshl_add_u32 v5, v5, 23, 0x3c000000
	v_and_b32_e32 v7, 0x80000000, v7
	s_delay_alu instid0(VALU_DEP_1)
	v_or3_b32 v5, v6, v7, v5
.LBB430_2147:                           ;   in Loop: Header=BB430_1187 Depth=1
	s_or_b32 exec_lo, exec_lo, s13
.LBB430_2148:                           ;   in Loop: Header=BB430_1187 Depth=1
	s_delay_alu instid0(SALU_CYCLE_1)
	s_or_b32 exec_lo, exec_lo, s12
.LBB430_2149:                           ;   in Loop: Header=BB430_1187 Depth=1
	s_delay_alu instid0(SALU_CYCLE_1) | instskip(NEXT) | instid1(VALU_DEP_1)
	s_or_b32 exec_lo, exec_lo, s9
	v_mul_f32_e32 v6, v26, v5
	s_delay_alu instid0(VALU_DEP_1) | instskip(NEXT) | instid1(VALU_DEP_1)
	v_and_b32_e32 v5, 0x7f800000, v6
	v_cmp_ne_u32_e64 s0, 0x7f800000, v5
                                        ; implicit-def: $vgpr5
	s_delay_alu instid0(VALU_DEP_1) | instskip(NEXT) | instid1(SALU_CYCLE_1)
	s_and_saveexec_b32 s9, s0
	s_xor_b32 s0, exec_lo, s9
; %bb.2150:                             ;   in Loop: Header=BB430_1187 Depth=1
	v_bfe_u32 v5, v6, 16, 1
	s_delay_alu instid0(VALU_DEP_1)
	v_add3_u32 v5, v6, v5, 0x7fff
                                        ; implicit-def: $vgpr6
; %bb.2151:                             ;   in Loop: Header=BB430_1187 Depth=1
	s_and_not1_saveexec_b32 s9, s0
; %bb.2152:                             ;   in Loop: Header=BB430_1187 Depth=1
	v_and_b32_e32 v5, 0xffff, v6
	v_or_b32_e32 v7, 0x10000, v6
	s_delay_alu instid0(VALU_DEP_2) | instskip(NEXT) | instid1(VALU_DEP_1)
	v_cmp_eq_u32_e64 s0, 0, v5
	v_cndmask_b32_e64 v5, v7, v6, s0
; %bb.2153:                             ;   in Loop: Header=BB430_1187 Depth=1
	s_or_b32 exec_lo, exec_lo, s9
	v_lshrrev_b32_e32 v32, 16, v2
	s_mov_b32 s9, exec_lo
	s_delay_alu instid0(VALU_DEP_1) | instskip(NEXT) | instid1(VALU_DEP_1)
	v_dual_mov_b32 v6, 0 :: v_dual_and_b32 v7, 0xff, v32
	v_cmpx_ne_u16_e32 0, v7
	s_cbranch_execz .LBB430_2161
; %bb.2154:                             ;   in Loop: Header=BB430_1187 Depth=1
	v_bfrev_b32_e32 v6, 1
	s_mov_b32 s12, exec_lo
	v_cmpx_ne_u16_e32 0x80, v7
	s_cbranch_execz .LBB430_2160
; %bb.2155:                             ;   in Loop: Header=BB430_1187 Depth=1
	v_bfe_u32 v7, v2, 16, 7
	v_mov_b32_e32 v6, 0x7f800001
	s_mov_b32 s13, exec_lo
	s_delay_alu instid0(VALU_DEP_2)
	v_cmpx_ne_u32_e32 0x7f, v7
	s_cbranch_execz .LBB430_2159
; %bb.2156:                             ;   in Loop: Header=BB430_1187 Depth=1
	v_and_b32_e32 v9, 7, v32
	v_lshrrev_b32_e32 v33, 3, v7
	v_cmp_gt_u32_e64 s0, 8, v7
	s_delay_alu instid0(VALU_DEP_3) | instskip(NEXT) | instid1(VALU_DEP_2)
	v_dual_mov_b32 v6, v9 :: v_dual_mov_b32 v7, v10
	s_and_saveexec_b32 s15, s0
; %bb.2157:                             ;   in Loop: Header=BB430_1187 Depth=1
	v_clz_i32_u32_e32 v6, v9
	s_delay_alu instid0(VALU_DEP_1) | instskip(NEXT) | instid1(VALU_DEP_1)
	v_min_u32_e32 v33, 32, v6
	v_subrev_nc_u32_e32 v6, 28, v33
	v_sub_nc_u32_e32 v33, 29, v33
	s_delay_alu instid0(VALU_DEP_2) | instskip(NEXT) | instid1(VALU_DEP_1)
	v_lshlrev_b64 v[6:7], v6, v[9:10]
	v_and_b32_e32 v6, 7, v6
; %bb.2158:                             ;   in Loop: Header=BB430_1187 Depth=1
	s_or_b32 exec_lo, exec_lo, s15
	v_lshlrev_b32_e32 v7, 24, v32
	s_delay_alu instid0(VALU_DEP_2) | instskip(SKIP_1) | instid1(VALU_DEP_3)
	v_lshlrev_b32_e32 v6, 20, v6
	v_lshl_add_u32 v9, v33, 23, 0x3c000000
	v_and_b32_e32 v7, 0x80000000, v7
	s_delay_alu instid0(VALU_DEP_1)
	v_or3_b32 v6, v6, v7, v9
.LBB430_2159:                           ;   in Loop: Header=BB430_1187 Depth=1
	s_or_b32 exec_lo, exec_lo, s13
.LBB430_2160:                           ;   in Loop: Header=BB430_1187 Depth=1
	s_delay_alu instid0(SALU_CYCLE_1)
	s_or_b32 exec_lo, exec_lo, s12
.LBB430_2161:                           ;   in Loop: Header=BB430_1187 Depth=1
	s_delay_alu instid0(SALU_CYCLE_1) | instskip(NEXT) | instid1(VALU_DEP_1)
	s_or_b32 exec_lo, exec_lo, s9
	v_mul_f32_e32 v6, v26, v6
                                        ; implicit-def: $vgpr32
	s_delay_alu instid0(VALU_DEP_1) | instskip(NEXT) | instid1(VALU_DEP_1)
	v_and_b32_e32 v7, 0x7f800000, v6
	v_cmp_ne_u32_e64 s0, 0x7f800000, v7
	s_delay_alu instid0(VALU_DEP_1) | instskip(NEXT) | instid1(SALU_CYCLE_1)
	s_and_saveexec_b32 s9, s0
	s_xor_b32 s0, exec_lo, s9
; %bb.2162:                             ;   in Loop: Header=BB430_1187 Depth=1
	v_bfe_u32 v7, v6, 16, 1
	s_delay_alu instid0(VALU_DEP_1)
	v_add3_u32 v32, v6, v7, 0x7fff
                                        ; implicit-def: $vgpr6
; %bb.2163:                             ;   in Loop: Header=BB430_1187 Depth=1
	s_and_not1_saveexec_b32 s9, s0
; %bb.2164:                             ;   in Loop: Header=BB430_1187 Depth=1
	v_and_b32_e32 v7, 0xffff, v6
	v_or_b32_e32 v9, 0x10000, v6
	s_delay_alu instid0(VALU_DEP_2) | instskip(NEXT) | instid1(VALU_DEP_1)
	v_cmp_eq_u32_e64 s0, 0, v7
	v_cndmask_b32_e64 v32, v9, v6, s0
; %bb.2165:                             ;   in Loop: Header=BB430_1187 Depth=1
	s_or_b32 exec_lo, exec_lo, s9
	v_mov_b32_e32 v6, 0
	s_mov_b32 s9, exec_lo
	v_cmpx_lt_u32_e32 0xffffff, v2
	s_cbranch_execz .LBB430_2173
; %bb.2166:                             ;   in Loop: Header=BB430_1187 Depth=1
	v_lshrrev_b32_e32 v33, 24, v2
	v_bfrev_b32_e32 v6, 1
	s_mov_b32 s12, exec_lo
	s_delay_alu instid0(VALU_DEP_2)
	v_cmpx_ne_u32_e32 0x80, v33
	s_cbranch_execz .LBB430_2172
; %bb.2167:                             ;   in Loop: Header=BB430_1187 Depth=1
	v_bfe_u32 v7, v2, 24, 7
	v_mov_b32_e32 v6, 0x7f800001
	s_mov_b32 s13, exec_lo
	s_delay_alu instid0(VALU_DEP_2)
	v_cmpx_ne_u32_e32 0x7f, v7
	s_cbranch_execz .LBB430_2171
; %bb.2168:                             ;   in Loop: Header=BB430_1187 Depth=1
	v_and_b32_e32 v9, 7, v33
	v_lshrrev_b32_e32 v34, 3, v7
	v_cmp_gt_u32_e64 s0, 8, v7
	s_delay_alu instid0(VALU_DEP_3) | instskip(NEXT) | instid1(VALU_DEP_2)
	v_dual_mov_b32 v6, v9 :: v_dual_mov_b32 v7, v10
	s_and_saveexec_b32 s15, s0
; %bb.2169:                             ;   in Loop: Header=BB430_1187 Depth=1
	v_clz_i32_u32_e32 v6, v9
	s_delay_alu instid0(VALU_DEP_1) | instskip(NEXT) | instid1(VALU_DEP_1)
	v_min_u32_e32 v34, 32, v6
	v_subrev_nc_u32_e32 v6, 28, v34
	v_sub_nc_u32_e32 v34, 29, v34
	s_delay_alu instid0(VALU_DEP_2) | instskip(NEXT) | instid1(VALU_DEP_1)
	v_lshlrev_b64 v[6:7], v6, v[9:10]
	v_and_b32_e32 v6, 7, v6
; %bb.2170:                             ;   in Loop: Header=BB430_1187 Depth=1
	s_or_b32 exec_lo, exec_lo, s15
	v_lshlrev_b32_e32 v7, 24, v33
	s_delay_alu instid0(VALU_DEP_2) | instskip(SKIP_1) | instid1(VALU_DEP_3)
	v_lshlrev_b32_e32 v6, 20, v6
	v_lshl_add_u32 v9, v34, 23, 0x3c000000
	v_and_b32_e32 v7, 0x80000000, v7
	s_delay_alu instid0(VALU_DEP_1)
	v_or3_b32 v6, v6, v7, v9
.LBB430_2171:                           ;   in Loop: Header=BB430_1187 Depth=1
	s_or_b32 exec_lo, exec_lo, s13
.LBB430_2172:                           ;   in Loop: Header=BB430_1187 Depth=1
	s_delay_alu instid0(SALU_CYCLE_1)
	s_or_b32 exec_lo, exec_lo, s12
.LBB430_2173:                           ;   in Loop: Header=BB430_1187 Depth=1
	s_delay_alu instid0(SALU_CYCLE_1) | instskip(NEXT) | instid1(VALU_DEP_1)
	s_or_b32 exec_lo, exec_lo, s9
	v_mul_f32_e32 v6, v26, v6
                                        ; implicit-def: $vgpr33
	s_delay_alu instid0(VALU_DEP_1) | instskip(NEXT) | instid1(VALU_DEP_1)
	v_and_b32_e32 v7, 0x7f800000, v6
	v_cmp_ne_u32_e64 s0, 0x7f800000, v7
	s_delay_alu instid0(VALU_DEP_1) | instskip(NEXT) | instid1(SALU_CYCLE_1)
	s_and_saveexec_b32 s9, s0
	s_xor_b32 s0, exec_lo, s9
; %bb.2174:                             ;   in Loop: Header=BB430_1187 Depth=1
	v_bfe_u32 v7, v6, 16, 1
	s_delay_alu instid0(VALU_DEP_1)
	v_add3_u32 v33, v6, v7, 0x7fff
                                        ; implicit-def: $vgpr6
; %bb.2175:                             ;   in Loop: Header=BB430_1187 Depth=1
	s_and_not1_saveexec_b32 s9, s0
; %bb.2176:                             ;   in Loop: Header=BB430_1187 Depth=1
	v_and_b32_e32 v7, 0xffff, v6
	v_or_b32_e32 v9, 0x10000, v6
	s_delay_alu instid0(VALU_DEP_2) | instskip(NEXT) | instid1(VALU_DEP_1)
	v_cmp_eq_u32_e64 s0, 0, v7
	v_cndmask_b32_e64 v33, v9, v6, s0
; %bb.2177:                             ;   in Loop: Header=BB430_1187 Depth=1
	s_or_b32 exec_lo, exec_lo, s9
	v_dual_mov_b32 v6, 0 :: v_dual_and_b32 v7, 0xff, v3
	v_mov_b32_e32 v9, v3
	s_mov_b32 s9, exec_lo
	s_delay_alu instid0(VALU_DEP_2)
	v_cmpx_ne_u16_e32 0, v7
	s_cbranch_execz .LBB430_2185
; %bb.2178:                             ;   in Loop: Header=BB430_1187 Depth=1
	v_bfrev_b32_e32 v6, 1
	s_mov_b32 s12, exec_lo
	v_cmpx_ne_u16_e32 0x80, v7
	s_cbranch_execz .LBB430_2184
; %bb.2179:                             ;   in Loop: Header=BB430_1187 Depth=1
	v_and_b32_e32 v7, 0x7f, v3
	v_mov_b32_e32 v6, 0x7f800001
	s_mov_b32 s13, exec_lo
	s_delay_alu instid0(VALU_DEP_2)
	v_cmpx_ne_u32_e32 0x7f, v7
	s_cbranch_execz .LBB430_2183
; %bb.2180:                             ;   in Loop: Header=BB430_1187 Depth=1
	v_lshrrev_b32_e32 v34, 3, v7
	v_cmp_gt_u32_e64 s0, 8, v7
	v_dual_mov_b32 v6, v9 :: v_dual_mov_b32 v7, v10
	s_delay_alu instid0(VALU_DEP_2)
	s_and_saveexec_b32 s15, s0
; %bb.2181:                             ;   in Loop: Header=BB430_1187 Depth=1
	v_and_b32_e32 v6, 7, v3
	s_delay_alu instid0(VALU_DEP_1) | instskip(NEXT) | instid1(VALU_DEP_1)
	v_clz_i32_u32_e32 v6, v6
	v_min_u32_e32 v34, 32, v6
	s_delay_alu instid0(VALU_DEP_1) | instskip(SKIP_1) | instid1(VALU_DEP_2)
	v_subrev_nc_u32_e32 v6, 28, v34
	v_sub_nc_u32_e32 v34, 29, v34
	v_lshlrev_b64 v[6:7], v6, v[9:10]
; %bb.2182:                             ;   in Loop: Header=BB430_1187 Depth=1
	s_or_b32 exec_lo, exec_lo, s15
	s_delay_alu instid0(VALU_DEP_1) | instskip(SKIP_2) | instid1(VALU_DEP_3)
	v_lshlrev_b32_e32 v6, 20, v6
	v_lshlrev_b32_e32 v7, 24, v9
	v_lshl_add_u32 v34, v34, 23, 0x3c000000
	v_and_b32_e32 v6, 0x700000, v6
	s_delay_alu instid0(VALU_DEP_3) | instskip(NEXT) | instid1(VALU_DEP_1)
	v_and_b32_e32 v7, 0x80000000, v7
	v_or3_b32 v6, v6, v7, v34
.LBB430_2183:                           ;   in Loop: Header=BB430_1187 Depth=1
	s_or_b32 exec_lo, exec_lo, s13
.LBB430_2184:                           ;   in Loop: Header=BB430_1187 Depth=1
	s_delay_alu instid0(SALU_CYCLE_1)
	s_or_b32 exec_lo, exec_lo, s12
.LBB430_2185:                           ;   in Loop: Header=BB430_1187 Depth=1
	s_delay_alu instid0(SALU_CYCLE_1) | instskip(NEXT) | instid1(VALU_DEP_1)
	s_or_b32 exec_lo, exec_lo, s9
	v_mul_f32_e32 v6, v26, v6
                                        ; implicit-def: $vgpr34
	s_delay_alu instid0(VALU_DEP_1) | instskip(NEXT) | instid1(VALU_DEP_1)
	v_and_b32_e32 v7, 0x7f800000, v6
	v_cmp_ne_u32_e64 s0, 0x7f800000, v7
	s_delay_alu instid0(VALU_DEP_1) | instskip(NEXT) | instid1(SALU_CYCLE_1)
	s_and_saveexec_b32 s9, s0
	s_xor_b32 s0, exec_lo, s9
; %bb.2186:                             ;   in Loop: Header=BB430_1187 Depth=1
	v_bfe_u32 v7, v6, 16, 1
	s_delay_alu instid0(VALU_DEP_1)
	v_add3_u32 v34, v6, v7, 0x7fff
                                        ; implicit-def: $vgpr6
; %bb.2187:                             ;   in Loop: Header=BB430_1187 Depth=1
	s_and_not1_saveexec_b32 s9, s0
; %bb.2188:                             ;   in Loop: Header=BB430_1187 Depth=1
	v_and_b32_e32 v7, 0xffff, v6
	v_or_b32_e32 v34, 0x10000, v6
	s_delay_alu instid0(VALU_DEP_2) | instskip(NEXT) | instid1(VALU_DEP_1)
	v_cmp_eq_u32_e64 s0, 0, v7
	v_cndmask_b32_e64 v34, v34, v6, s0
; %bb.2189:                             ;   in Loop: Header=BB430_1187 Depth=1
	s_or_b32 exec_lo, exec_lo, s9
	v_lshrrev_b16 v7, 8, v9
	v_mov_b32_e32 v6, 0
	s_mov_b32 s9, exec_lo
	s_delay_alu instid0(VALU_DEP_2)
	v_cmpx_ne_u16_e32 0, v7
	s_cbranch_execz .LBB430_2197
; %bb.2190:                             ;   in Loop: Header=BB430_1187 Depth=1
	v_bfrev_b32_e32 v6, 1
	s_mov_b32 s12, exec_lo
	v_cmpx_ne_u16_e32 0x80, v7
	s_cbranch_execz .LBB430_2196
; %bb.2191:                             ;   in Loop: Header=BB430_1187 Depth=1
	v_and_b32_e32 v7, 0xffff, v7
	v_mov_b32_e32 v6, 0x7f800001
	s_mov_b32 s13, exec_lo
	s_delay_alu instid0(VALU_DEP_2) | instskip(NEXT) | instid1(VALU_DEP_1)
	v_and_b32_e32 v183, 0x7f, v7
	v_cmpx_ne_u32_e32 0x7f, v183
	s_cbranch_execz .LBB430_2195
; %bb.2192:                             ;   in Loop: Header=BB430_1187 Depth=1
	v_dual_mov_b32 v7, v10 :: v_dual_and_b32 v6, 7, v7
	v_lshrrev_b32_e32 v36, 3, v183
	s_mov_b32 s15, exec_lo
	v_cmpx_gt_u32_e32 8, v183
; %bb.2193:                             ;   in Loop: Header=BB430_1187 Depth=1
	s_delay_alu instid0(VALU_DEP_3) | instskip(NEXT) | instid1(VALU_DEP_1)
	v_clz_i32_u32_e32 v36, v6
	v_min_u32_e32 v36, 32, v36
	s_delay_alu instid0(VALU_DEP_1) | instskip(SKIP_1) | instid1(VALU_DEP_2)
	v_subrev_nc_u32_e32 v183, 28, v36
	v_sub_nc_u32_e32 v36, 29, v36
	v_lshlrev_b64 v[6:7], v183, v[6:7]
	s_delay_alu instid0(VALU_DEP_1)
	v_and_b32_e32 v6, 7, v6
; %bb.2194:                             ;   in Loop: Header=BB430_1187 Depth=1
	s_or_b32 exec_lo, exec_lo, s15
	v_lshlrev_b32_e32 v7, 16, v9
	s_delay_alu instid0(VALU_DEP_2) | instskip(SKIP_1) | instid1(VALU_DEP_3)
	v_lshlrev_b32_e32 v6, 20, v6
	v_lshl_add_u32 v9, v36, 23, 0x3c000000
	v_and_b32_e32 v7, 0x80000000, v7
	s_delay_alu instid0(VALU_DEP_1)
	v_or3_b32 v6, v6, v7, v9
.LBB430_2195:                           ;   in Loop: Header=BB430_1187 Depth=1
	s_or_b32 exec_lo, exec_lo, s13
.LBB430_2196:                           ;   in Loop: Header=BB430_1187 Depth=1
	s_delay_alu instid0(SALU_CYCLE_1)
	s_or_b32 exec_lo, exec_lo, s12
.LBB430_2197:                           ;   in Loop: Header=BB430_1187 Depth=1
	s_delay_alu instid0(SALU_CYCLE_1) | instskip(NEXT) | instid1(VALU_DEP_1)
	s_or_b32 exec_lo, exec_lo, s9
	v_mul_f32_e32 v6, v26, v6
                                        ; implicit-def: $vgpr36
	s_delay_alu instid0(VALU_DEP_1) | instskip(NEXT) | instid1(VALU_DEP_1)
	v_and_b32_e32 v7, 0x7f800000, v6
	v_cmp_ne_u32_e64 s0, 0x7f800000, v7
	s_delay_alu instid0(VALU_DEP_1) | instskip(NEXT) | instid1(SALU_CYCLE_1)
	s_and_saveexec_b32 s9, s0
	s_xor_b32 s0, exec_lo, s9
; %bb.2198:                             ;   in Loop: Header=BB430_1187 Depth=1
	v_bfe_u32 v7, v6, 16, 1
	s_delay_alu instid0(VALU_DEP_1)
	v_add3_u32 v36, v6, v7, 0x7fff
                                        ; implicit-def: $vgpr6
; %bb.2199:                             ;   in Loop: Header=BB430_1187 Depth=1
	s_and_not1_saveexec_b32 s9, s0
; %bb.2200:                             ;   in Loop: Header=BB430_1187 Depth=1
	v_and_b32_e32 v7, 0xffff, v6
	v_or_b32_e32 v9, 0x10000, v6
	s_delay_alu instid0(VALU_DEP_2) | instskip(NEXT) | instid1(VALU_DEP_1)
	v_cmp_eq_u32_e64 s0, 0, v7
	v_cndmask_b32_e64 v36, v9, v6, s0
; %bb.2201:                             ;   in Loop: Header=BB430_1187 Depth=1
	s_or_b32 exec_lo, exec_lo, s9
	v_lshrrev_b32_e32 v183, 16, v3
	s_mov_b32 s9, exec_lo
	s_delay_alu instid0(VALU_DEP_1) | instskip(NEXT) | instid1(VALU_DEP_1)
	v_dual_mov_b32 v6, 0 :: v_dual_and_b32 v7, 0xff, v183
	v_cmpx_ne_u16_e32 0, v7
	s_cbranch_execz .LBB430_2209
; %bb.2202:                             ;   in Loop: Header=BB430_1187 Depth=1
	v_bfrev_b32_e32 v6, 1
	s_mov_b32 s12, exec_lo
	v_cmpx_ne_u16_e32 0x80, v7
	s_cbranch_execz .LBB430_2208
; %bb.2203:                             ;   in Loop: Header=BB430_1187 Depth=1
	v_bfe_u32 v7, v3, 16, 7
	v_mov_b32_e32 v6, 0x7f800001
	s_mov_b32 s13, exec_lo
	s_delay_alu instid0(VALU_DEP_2)
	v_cmpx_ne_u32_e32 0x7f, v7
	s_cbranch_execz .LBB430_2207
; %bb.2204:                             ;   in Loop: Header=BB430_1187 Depth=1
	v_and_b32_e32 v9, 7, v183
	v_lshrrev_b32_e32 v40, 3, v7
	v_cmp_gt_u32_e64 s0, 8, v7
	s_delay_alu instid0(VALU_DEP_3) | instskip(NEXT) | instid1(VALU_DEP_2)
	v_dual_mov_b32 v6, v9 :: v_dual_mov_b32 v7, v10
	s_and_saveexec_b32 s15, s0
; %bb.2205:                             ;   in Loop: Header=BB430_1187 Depth=1
	v_clz_i32_u32_e32 v6, v9
	s_delay_alu instid0(VALU_DEP_1) | instskip(NEXT) | instid1(VALU_DEP_1)
	v_min_u32_e32 v40, 32, v6
	v_subrev_nc_u32_e32 v6, 28, v40
	v_sub_nc_u32_e32 v40, 29, v40
	s_delay_alu instid0(VALU_DEP_2) | instskip(NEXT) | instid1(VALU_DEP_1)
	v_lshlrev_b64 v[6:7], v6, v[9:10]
	v_and_b32_e32 v6, 7, v6
; %bb.2206:                             ;   in Loop: Header=BB430_1187 Depth=1
	s_or_b32 exec_lo, exec_lo, s15
	v_lshlrev_b32_e32 v7, 24, v183
	s_delay_alu instid0(VALU_DEP_2) | instskip(SKIP_1) | instid1(VALU_DEP_3)
	v_lshlrev_b32_e32 v6, 20, v6
	v_lshl_add_u32 v9, v40, 23, 0x3c000000
	v_and_b32_e32 v7, 0x80000000, v7
	s_delay_alu instid0(VALU_DEP_1)
	v_or3_b32 v6, v6, v7, v9
.LBB430_2207:                           ;   in Loop: Header=BB430_1187 Depth=1
	s_or_b32 exec_lo, exec_lo, s13
.LBB430_2208:                           ;   in Loop: Header=BB430_1187 Depth=1
	s_delay_alu instid0(SALU_CYCLE_1)
	s_or_b32 exec_lo, exec_lo, s12
.LBB430_2209:                           ;   in Loop: Header=BB430_1187 Depth=1
	s_delay_alu instid0(SALU_CYCLE_1) | instskip(NEXT) | instid1(VALU_DEP_1)
	s_or_b32 exec_lo, exec_lo, s9
	v_mul_f32_e32 v6, v26, v6
                                        ; implicit-def: $vgpr183
	s_delay_alu instid0(VALU_DEP_1) | instskip(NEXT) | instid1(VALU_DEP_1)
	v_and_b32_e32 v7, 0x7f800000, v6
	v_cmp_ne_u32_e64 s0, 0x7f800000, v7
	s_delay_alu instid0(VALU_DEP_1) | instskip(NEXT) | instid1(SALU_CYCLE_1)
	s_and_saveexec_b32 s9, s0
	s_xor_b32 s0, exec_lo, s9
; %bb.2210:                             ;   in Loop: Header=BB430_1187 Depth=1
	v_bfe_u32 v7, v6, 16, 1
	s_delay_alu instid0(VALU_DEP_1)
	v_add3_u32 v183, v6, v7, 0x7fff
                                        ; implicit-def: $vgpr6
; %bb.2211:                             ;   in Loop: Header=BB430_1187 Depth=1
	s_and_not1_saveexec_b32 s9, s0
; %bb.2212:                             ;   in Loop: Header=BB430_1187 Depth=1
	v_and_b32_e32 v7, 0xffff, v6
	v_or_b32_e32 v9, 0x10000, v6
	s_delay_alu instid0(VALU_DEP_2) | instskip(NEXT) | instid1(VALU_DEP_1)
	v_cmp_eq_u32_e64 s0, 0, v7
	v_cndmask_b32_e64 v183, v9, v6, s0
; %bb.2213:                             ;   in Loop: Header=BB430_1187 Depth=1
	s_or_b32 exec_lo, exec_lo, s9
	v_cmp_lt_u64_e64 s0, s[2:3], v[2:3]
	v_mov_b32_e32 v2, 0
	s_delay_alu instid0(VALU_DEP_2)
	s_and_saveexec_b32 s9, s0
	s_cbranch_execz .LBB430_2221
; %bb.2214:                             ;   in Loop: Header=BB430_1187 Depth=1
	v_lshrrev_b32_e32 v6, 24, v3
	v_bfrev_b32_e32 v2, 1
	s_mov_b32 s12, exec_lo
	s_delay_alu instid0(VALU_DEP_2)
	v_cmpx_ne_u32_e32 0x80, v6
	s_cbranch_execz .LBB430_2220
; %bb.2215:                             ;   in Loop: Header=BB430_1187 Depth=1
	v_bfe_u32 v3, v3, 24, 7
	v_mov_b32_e32 v2, 0x7f800001
	s_mov_b32 s13, exec_lo
	s_delay_alu instid0(VALU_DEP_2)
	v_cmpx_ne_u32_e32 0x7f, v3
	s_cbranch_execz .LBB430_2219
; %bb.2216:                             ;   in Loop: Header=BB430_1187 Depth=1
	v_and_b32_e32 v9, 7, v6
	v_lshrrev_b32_e32 v7, 3, v3
	v_cmp_gt_u32_e64 s0, 8, v3
	s_delay_alu instid0(VALU_DEP_3) | instskip(NEXT) | instid1(VALU_DEP_2)
	v_dual_mov_b32 v2, v9 :: v_dual_mov_b32 v3, v10
	s_and_saveexec_b32 s15, s0
; %bb.2217:                             ;   in Loop: Header=BB430_1187 Depth=1
	v_clz_i32_u32_e32 v2, v9
	s_delay_alu instid0(VALU_DEP_1) | instskip(NEXT) | instid1(VALU_DEP_1)
	v_min_u32_e32 v7, 32, v2
	v_subrev_nc_u32_e32 v2, 28, v7
	v_sub_nc_u32_e32 v7, 29, v7
	s_delay_alu instid0(VALU_DEP_2) | instskip(NEXT) | instid1(VALU_DEP_1)
	v_lshlrev_b64 v[2:3], v2, v[9:10]
	v_and_b32_e32 v2, 7, v2
; %bb.2218:                             ;   in Loop: Header=BB430_1187 Depth=1
	s_or_b32 exec_lo, exec_lo, s15
	v_lshlrev_b32_e32 v3, 24, v6
	s_delay_alu instid0(VALU_DEP_2) | instskip(SKIP_1) | instid1(VALU_DEP_3)
	v_lshlrev_b32_e32 v2, 20, v2
	v_lshl_add_u32 v6, v7, 23, 0x3c000000
	v_and_b32_e32 v3, 0x80000000, v3
	s_delay_alu instid0(VALU_DEP_1)
	v_or3_b32 v2, v2, v3, v6
.LBB430_2219:                           ;   in Loop: Header=BB430_1187 Depth=1
	s_or_b32 exec_lo, exec_lo, s13
.LBB430_2220:                           ;   in Loop: Header=BB430_1187 Depth=1
	s_delay_alu instid0(SALU_CYCLE_1)
	s_or_b32 exec_lo, exec_lo, s12
.LBB430_2221:                           ;   in Loop: Header=BB430_1187 Depth=1
	s_delay_alu instid0(SALU_CYCLE_1) | instskip(NEXT) | instid1(VALU_DEP_1)
	s_or_b32 exec_lo, exec_lo, s9
	v_mul_f32_e32 v3, v26, v2
	s_delay_alu instid0(VALU_DEP_1) | instskip(NEXT) | instid1(VALU_DEP_1)
	v_and_b32_e32 v2, 0x7f800000, v3
	v_cmp_ne_u32_e64 s0, 0x7f800000, v2
                                        ; implicit-def: $vgpr2
	s_delay_alu instid0(VALU_DEP_1) | instskip(NEXT) | instid1(SALU_CYCLE_1)
	s_and_saveexec_b32 s9, s0
	s_xor_b32 s0, exec_lo, s9
; %bb.2222:                             ;   in Loop: Header=BB430_1187 Depth=1
	v_bfe_u32 v2, v3, 16, 1
	s_delay_alu instid0(VALU_DEP_1)
	v_add3_u32 v2, v3, v2, 0x7fff
                                        ; implicit-def: $vgpr3
; %bb.2223:                             ;   in Loop: Header=BB430_1187 Depth=1
	s_and_not1_saveexec_b32 s9, s0
; %bb.2224:                             ;   in Loop: Header=BB430_1187 Depth=1
	v_and_b32_e32 v2, 0xffff, v3
	v_or_b32_e32 v6, 0x10000, v3
	s_delay_alu instid0(VALU_DEP_2) | instskip(NEXT) | instid1(VALU_DEP_1)
	v_cmp_eq_u32_e64 s0, 0, v2
	v_cndmask_b32_e64 v2, v6, v3, s0
; %bb.2225:                             ;   in Loop: Header=BB430_1187 Depth=1
	s_or_b32 exec_lo, exec_lo, s9
	v_lshrrev_b32_e32 v6, 16, v36
	v_lshrrev_b32_e32 v7, 16, v34
	;; [unrolled: 1-line block ×8, first 2 shown]
	s_and_saveexec_b32 s9, vcc_lo
	s_cbranch_execz .LBB430_2227
; %bb.2226:                             ;   in Loop: Header=BB430_1187 Depth=1
	v_cmp_lt_i32_e64 s0, v64, v35
	s_delay_alu instid0(VALU_DEP_1) | instskip(SKIP_1) | instid1(VALU_DEP_1)
	v_cndmask_b32_e64 v4, 0, v4, s0
	v_cmp_lt_i32_e64 s0, v70, v35
	v_cndmask_b32_e64 v5, 0, v5, s0
	v_cmp_lt_i32_e64 s0, v69, v35
	s_delay_alu instid0(VALU_DEP_1) | instskip(SKIP_1) | instid1(VALU_DEP_1)
	v_cndmask_b32_e64 v32, 0, v32, s0
	v_cmp_lt_i32_e64 s0, v68, v35
	v_cndmask_b32_e64 v9, 0, v9, s0
	;; [unrolled: 5-line block ×4, first 2 shown]
.LBB430_2227:                           ;   in Loop: Header=BB430_1187 Depth=1
	s_or_b32 exec_lo, exec_lo, s9
	v_lshlrev_b32_e32 v4, 16, v4
	s_delay_alu instid0(VALU_DEP_1) | instskip(NEXT) | instid1(VALU_DEP_1)
	v_mul_f32_e32 v33, v71, v4
	v_and_b32_e32 v4, 0x7f800000, v33
	s_delay_alu instid0(VALU_DEP_1) | instskip(NEXT) | instid1(VALU_DEP_1)
	v_cmp_ne_u32_e64 s0, 0x7f800000, v4
                                        ; implicit-def: $vgpr4
	s_and_saveexec_b32 s9, s0
	s_delay_alu instid0(SALU_CYCLE_1)
	s_xor_b32 s0, exec_lo, s9
; %bb.2228:                             ;   in Loop: Header=BB430_1187 Depth=1
	v_bfe_u32 v4, v33, 16, 1
	s_delay_alu instid0(VALU_DEP_1)
	v_add3_u32 v4, v33, v4, 0x7fff
                                        ; implicit-def: $vgpr33
; %bb.2229:                             ;   in Loop: Header=BB430_1187 Depth=1
	s_and_not1_saveexec_b32 s9, s0
; %bb.2230:                             ;   in Loop: Header=BB430_1187 Depth=1
	v_and_b32_e32 v4, 0xffff, v33
	v_or_b32_e32 v34, 0x10000, v33
	s_delay_alu instid0(VALU_DEP_2) | instskip(NEXT) | instid1(VALU_DEP_1)
	v_cmp_eq_u32_e64 s0, 0, v4
	v_cndmask_b32_e64 v4, v34, v33, s0
; %bb.2231:                             ;   in Loop: Header=BB430_1187 Depth=1
	s_or_b32 exec_lo, exec_lo, s9
	v_lshlrev_b32_e32 v5, 16, v5
	s_delay_alu instid0(VALU_DEP_1) | instskip(NEXT) | instid1(VALU_DEP_1)
	v_mul_f32_e32 v33, v80, v5
	v_and_b32_e32 v5, 0x7f800000, v33
	s_delay_alu instid0(VALU_DEP_1) | instskip(NEXT) | instid1(VALU_DEP_1)
	v_cmp_ne_u32_e64 s0, 0x7f800000, v5
                                        ; implicit-def: $vgpr5
	s_and_saveexec_b32 s9, s0
	s_delay_alu instid0(SALU_CYCLE_1)
	s_xor_b32 s0, exec_lo, s9
; %bb.2232:                             ;   in Loop: Header=BB430_1187 Depth=1
	v_bfe_u32 v5, v33, 16, 1
	s_delay_alu instid0(VALU_DEP_1)
	v_add3_u32 v5, v33, v5, 0x7fff
                                        ; implicit-def: $vgpr33
; %bb.2233:                             ;   in Loop: Header=BB430_1187 Depth=1
	s_and_not1_saveexec_b32 s9, s0
; %bb.2234:                             ;   in Loop: Header=BB430_1187 Depth=1
	v_and_b32_e32 v5, 0xffff, v33
	v_or_b32_e32 v34, 0x10000, v33
	s_delay_alu instid0(VALU_DEP_2) | instskip(NEXT) | instid1(VALU_DEP_1)
	v_cmp_eq_u32_e64 s0, 0, v5
	v_cndmask_b32_e64 v5, v34, v33, s0
; %bb.2235:                             ;   in Loop: Header=BB430_1187 Depth=1
	s_or_b32 exec_lo, exec_lo, s9
	v_lshlrev_b32_e32 v32, 16, v32
	s_delay_alu instid0(VALU_DEP_1) | instskip(NEXT) | instid1(VALU_DEP_1)
	v_mul_f32_e32 v33, v81, v32
	v_and_b32_e32 v32, 0x7f800000, v33
	s_delay_alu instid0(VALU_DEP_1) | instskip(NEXT) | instid1(VALU_DEP_1)
	v_cmp_ne_u32_e64 s0, 0x7f800000, v32
                                        ; implicit-def: $vgpr32
	s_and_saveexec_b32 s9, s0
	s_delay_alu instid0(SALU_CYCLE_1)
	s_xor_b32 s0, exec_lo, s9
; %bb.2236:                             ;   in Loop: Header=BB430_1187 Depth=1
	v_bfe_u32 v32, v33, 16, 1
	s_delay_alu instid0(VALU_DEP_1)
	v_add3_u32 v32, v33, v32, 0x7fff
                                        ; implicit-def: $vgpr33
; %bb.2237:                             ;   in Loop: Header=BB430_1187 Depth=1
	s_and_not1_saveexec_b32 s9, s0
; %bb.2238:                             ;   in Loop: Header=BB430_1187 Depth=1
	v_and_b32_e32 v32, 0xffff, v33
	v_or_b32_e32 v34, 0x10000, v33
	s_delay_alu instid0(VALU_DEP_2) | instskip(NEXT) | instid1(VALU_DEP_1)
	v_cmp_eq_u32_e64 s0, 0, v32
	v_cndmask_b32_e64 v32, v34, v33, s0
; %bb.2239:                             ;   in Loop: Header=BB430_1187 Depth=1
	s_or_b32 exec_lo, exec_lo, s9
	v_lshlrev_b32_e32 v9, 16, v9
                                        ; implicit-def: $vgpr34
	s_delay_alu instid0(VALU_DEP_1) | instskip(NEXT) | instid1(VALU_DEP_1)
	v_mul_f32_e32 v9, v82, v9
	v_and_b32_e32 v33, 0x7f800000, v9
	s_delay_alu instid0(VALU_DEP_1) | instskip(NEXT) | instid1(VALU_DEP_1)
	v_cmp_ne_u32_e64 s0, 0x7f800000, v33
	s_and_saveexec_b32 s9, s0
	s_delay_alu instid0(SALU_CYCLE_1)
	s_xor_b32 s0, exec_lo, s9
; %bb.2240:                             ;   in Loop: Header=BB430_1187 Depth=1
	v_bfe_u32 v33, v9, 16, 1
	s_delay_alu instid0(VALU_DEP_1)
	v_add3_u32 v34, v9, v33, 0x7fff
                                        ; implicit-def: $vgpr9
; %bb.2241:                             ;   in Loop: Header=BB430_1187 Depth=1
	s_and_not1_saveexec_b32 s9, s0
; %bb.2242:                             ;   in Loop: Header=BB430_1187 Depth=1
	v_and_b32_e32 v33, 0xffff, v9
	v_or_b32_e32 v34, 0x10000, v9
	s_delay_alu instid0(VALU_DEP_2) | instskip(NEXT) | instid1(VALU_DEP_1)
	v_cmp_eq_u32_e64 s0, 0, v33
	v_cndmask_b32_e64 v34, v34, v9, s0
; %bb.2243:                             ;   in Loop: Header=BB430_1187 Depth=1
	s_or_b32 exec_lo, exec_lo, s9
	v_lshlrev_b32_e32 v7, 16, v7
                                        ; implicit-def: $vgpr36
	s_delay_alu instid0(VALU_DEP_1) | instskip(NEXT) | instid1(VALU_DEP_1)
	v_mul_f32_e32 v7, v83, v7
	v_and_b32_e32 v9, 0x7f800000, v7
	s_delay_alu instid0(VALU_DEP_1) | instskip(NEXT) | instid1(VALU_DEP_1)
	v_cmp_ne_u32_e64 s0, 0x7f800000, v9
	s_and_saveexec_b32 s9, s0
	s_delay_alu instid0(SALU_CYCLE_1)
	s_xor_b32 s0, exec_lo, s9
; %bb.2244:                             ;   in Loop: Header=BB430_1187 Depth=1
	v_bfe_u32 v9, v7, 16, 1
	s_delay_alu instid0(VALU_DEP_1)
	v_add3_u32 v36, v7, v9, 0x7fff
                                        ; implicit-def: $vgpr7
; %bb.2245:                             ;   in Loop: Header=BB430_1187 Depth=1
	s_and_not1_saveexec_b32 s9, s0
; %bb.2246:                             ;   in Loop: Header=BB430_1187 Depth=1
	v_and_b32_e32 v9, 0xffff, v7
	v_or_b32_e32 v33, 0x10000, v7
	s_delay_alu instid0(VALU_DEP_2) | instskip(NEXT) | instid1(VALU_DEP_1)
	v_cmp_eq_u32_e64 s0, 0, v9
	v_cndmask_b32_e64 v36, v33, v7, s0
; %bb.2247:                             ;   in Loop: Header=BB430_1187 Depth=1
	s_or_b32 exec_lo, exec_lo, s9
	v_lshlrev_b32_e32 v6, 16, v6
                                        ; implicit-def: $vgpr183
	s_delay_alu instid0(VALU_DEP_1) | instskip(NEXT) | instid1(VALU_DEP_1)
	v_mul_f32_e32 v6, v84, v6
	v_and_b32_e32 v7, 0x7f800000, v6
	s_delay_alu instid0(VALU_DEP_1) | instskip(NEXT) | instid1(VALU_DEP_1)
	v_cmp_ne_u32_e64 s0, 0x7f800000, v7
	s_and_saveexec_b32 s9, s0
	s_delay_alu instid0(SALU_CYCLE_1)
	s_xor_b32 s0, exec_lo, s9
; %bb.2248:                             ;   in Loop: Header=BB430_1187 Depth=1
	v_bfe_u32 v7, v6, 16, 1
	s_delay_alu instid0(VALU_DEP_1)
	v_add3_u32 v183, v6, v7, 0x7fff
                                        ; implicit-def: $vgpr6
; %bb.2249:                             ;   in Loop: Header=BB430_1187 Depth=1
	s_and_not1_saveexec_b32 s9, s0
; %bb.2250:                             ;   in Loop: Header=BB430_1187 Depth=1
	v_and_b32_e32 v7, 0xffff, v6
	v_or_b32_e32 v9, 0x10000, v6
	s_delay_alu instid0(VALU_DEP_2) | instskip(NEXT) | instid1(VALU_DEP_1)
	v_cmp_eq_u32_e64 s0, 0, v7
	v_cndmask_b32_e64 v183, v9, v6, s0
; %bb.2251:                             ;   in Loop: Header=BB430_1187 Depth=1
	s_or_b32 exec_lo, exec_lo, s9
	v_lshlrev_b32_e32 v3, 16, v3
                                        ; implicit-def: $vgpr40
	s_delay_alu instid0(VALU_DEP_1) | instskip(NEXT) | instid1(VALU_DEP_1)
	v_mul_f32_e32 v3, v85, v3
	v_and_b32_e32 v6, 0x7f800000, v3
	s_delay_alu instid0(VALU_DEP_1) | instskip(NEXT) | instid1(VALU_DEP_1)
	v_cmp_ne_u32_e64 s0, 0x7f800000, v6
	s_and_saveexec_b32 s9, s0
	s_delay_alu instid0(SALU_CYCLE_1)
	s_xor_b32 s0, exec_lo, s9
; %bb.2252:                             ;   in Loop: Header=BB430_1187 Depth=1
	v_bfe_u32 v6, v3, 16, 1
	s_delay_alu instid0(VALU_DEP_1)
	v_add3_u32 v40, v3, v6, 0x7fff
                                        ; implicit-def: $vgpr3
; %bb.2253:                             ;   in Loop: Header=BB430_1187 Depth=1
	s_and_not1_saveexec_b32 s9, s0
; %bb.2254:                             ;   in Loop: Header=BB430_1187 Depth=1
	v_and_b32_e32 v6, 0xffff, v3
	v_or_b32_e32 v7, 0x10000, v3
	s_delay_alu instid0(VALU_DEP_2) | instskip(NEXT) | instid1(VALU_DEP_1)
	v_cmp_eq_u32_e64 s0, 0, v6
	v_cndmask_b32_e64 v40, v7, v3, s0
; %bb.2255:                             ;   in Loop: Header=BB430_1187 Depth=1
	s_or_b32 exec_lo, exec_lo, s9
	v_lshlrev_b32_e32 v2, 16, v2
                                        ; implicit-def: $vgpr41
	s_delay_alu instid0(VALU_DEP_1) | instskip(NEXT) | instid1(VALU_DEP_1)
	v_mul_f32_e32 v2, v86, v2
	v_and_b32_e32 v3, 0x7f800000, v2
	s_delay_alu instid0(VALU_DEP_1) | instskip(NEXT) | instid1(VALU_DEP_1)
	v_cmp_ne_u32_e64 s0, 0x7f800000, v3
	s_and_saveexec_b32 s9, s0
	s_delay_alu instid0(SALU_CYCLE_1)
	s_xor_b32 s0, exec_lo, s9
; %bb.2256:                             ;   in Loop: Header=BB430_1187 Depth=1
	v_bfe_u32 v3, v2, 16, 1
	s_delay_alu instid0(VALU_DEP_1)
	v_add3_u32 v41, v2, v3, 0x7fff
                                        ; implicit-def: $vgpr2
; %bb.2257:                             ;   in Loop: Header=BB430_1187 Depth=1
	s_and_not1_saveexec_b32 s9, s0
; %bb.2258:                             ;   in Loop: Header=BB430_1187 Depth=1
	v_and_b32_e32 v3, 0xffff, v2
	v_or_b32_e32 v6, 0x10000, v2
	s_delay_alu instid0(VALU_DEP_2) | instskip(NEXT) | instid1(VALU_DEP_1)
	v_cmp_eq_u32_e64 s0, 0, v3
	v_cndmask_b32_e64 v41, v6, v2, s0
; %bb.2259:                             ;   in Loop: Header=BB430_1187 Depth=1
	s_or_b32 exec_lo, exec_lo, s9
	flat_load_b64 v[2:3], v[0:1] offset:2048
	s_mov_b32 s9, exec_lo
	s_waitcnt vmcnt(0) lgkmcnt(0)
	v_dual_mov_b32 v6, 0 :: v_dual_and_b32 v7, 0xff, v2
	s_delay_alu instid0(VALU_DEP_1)
	v_cmpx_ne_u16_e32 0, v7
	s_cbranch_execz .LBB430_2267
; %bb.2260:                             ;   in Loop: Header=BB430_1187 Depth=1
	v_bfrev_b32_e32 v6, 1
	s_mov_b32 s12, exec_lo
	v_cmpx_ne_u16_e32 0x80, v7
	s_cbranch_execz .LBB430_2266
; %bb.2261:                             ;   in Loop: Header=BB430_1187 Depth=1
	v_and_b32_e32 v7, 0x7f, v2
	v_mov_b32_e32 v6, 0x7f800001
	s_mov_b32 s13, exec_lo
	s_delay_alu instid0(VALU_DEP_2)
	v_cmpx_ne_u32_e32 0x7f, v7
	s_cbranch_execz .LBB430_2265
; %bb.2262:                             ;   in Loop: Header=BB430_1187 Depth=1
	v_lshrrev_b32_e32 v9, 3, v7
	v_cmp_gt_u32_e64 s0, 8, v7
	v_dual_mov_b32 v7, v3 :: v_dual_mov_b32 v6, v2
	s_delay_alu instid0(VALU_DEP_2)
	s_and_saveexec_b32 s15, s0
; %bb.2263:                             ;   in Loop: Header=BB430_1187 Depth=1
	v_and_b32_e32 v6, 7, v2
	s_delay_alu instid0(VALU_DEP_1) | instskip(NEXT) | instid1(VALU_DEP_1)
	v_clz_i32_u32_e32 v6, v6
	v_min_u32_e32 v9, 32, v6
	s_delay_alu instid0(VALU_DEP_1) | instskip(SKIP_1) | instid1(VALU_DEP_2)
	v_subrev_nc_u32_e32 v6, 28, v9
	v_sub_nc_u32_e32 v9, 29, v9
	v_lshlrev_b64 v[6:7], v6, v[2:3]
; %bb.2264:                             ;   in Loop: Header=BB430_1187 Depth=1
	s_or_b32 exec_lo, exec_lo, s15
	s_delay_alu instid0(VALU_DEP_1) | instskip(SKIP_2) | instid1(VALU_DEP_3)
	v_lshlrev_b32_e32 v6, 20, v6
	v_lshlrev_b32_e32 v7, 24, v2
	v_lshl_add_u32 v9, v9, 23, 0x3c000000
	v_and_b32_e32 v6, 0x700000, v6
	s_delay_alu instid0(VALU_DEP_3) | instskip(NEXT) | instid1(VALU_DEP_1)
	v_and_b32_e32 v7, 0x80000000, v7
	v_or3_b32 v6, v6, v7, v9
.LBB430_2265:                           ;   in Loop: Header=BB430_1187 Depth=1
	s_or_b32 exec_lo, exec_lo, s13
.LBB430_2266:                           ;   in Loop: Header=BB430_1187 Depth=1
	s_delay_alu instid0(SALU_CYCLE_1)
	s_or_b32 exec_lo, exec_lo, s12
.LBB430_2267:                           ;   in Loop: Header=BB430_1187 Depth=1
	s_delay_alu instid0(SALU_CYCLE_1) | instskip(NEXT) | instid1(VALU_DEP_1)
	s_or_b32 exec_lo, exec_lo, s9
	v_mul_f32_e32 v6, v26, v6
                                        ; implicit-def: $vgpr33
	s_delay_alu instid0(VALU_DEP_1) | instskip(NEXT) | instid1(VALU_DEP_1)
	v_and_b32_e32 v7, 0x7f800000, v6
	v_cmp_ne_u32_e64 s0, 0x7f800000, v7
	s_delay_alu instid0(VALU_DEP_1) | instskip(NEXT) | instid1(SALU_CYCLE_1)
	s_and_saveexec_b32 s9, s0
	s_xor_b32 s0, exec_lo, s9
; %bb.2268:                             ;   in Loop: Header=BB430_1187 Depth=1
	v_bfe_u32 v7, v6, 16, 1
	s_delay_alu instid0(VALU_DEP_1)
	v_add3_u32 v33, v6, v7, 0x7fff
                                        ; implicit-def: $vgpr6
; %bb.2269:                             ;   in Loop: Header=BB430_1187 Depth=1
	s_and_not1_saveexec_b32 s9, s0
; %bb.2270:                             ;   in Loop: Header=BB430_1187 Depth=1
	v_and_b32_e32 v7, 0xffff, v6
	v_or_b32_e32 v9, 0x10000, v6
	s_delay_alu instid0(VALU_DEP_2) | instskip(NEXT) | instid1(VALU_DEP_1)
	v_cmp_eq_u32_e64 s0, 0, v7
	v_cndmask_b32_e64 v33, v9, v6, s0
; %bb.2271:                             ;   in Loop: Header=BB430_1187 Depth=1
	s_or_b32 exec_lo, exec_lo, s9
	v_lshrrev_b16 v7, 8, v2
	v_mov_b32_e32 v6, 0
	s_mov_b32 s9, exec_lo
	s_delay_alu instid0(VALU_DEP_2)
	v_cmpx_ne_u16_e32 0, v7
	s_cbranch_execz .LBB430_2279
; %bb.2272:                             ;   in Loop: Header=BB430_1187 Depth=1
	v_bfrev_b32_e32 v6, 1
	s_mov_b32 s12, exec_lo
	v_cmpx_ne_u16_e32 0x80, v7
	s_cbranch_execz .LBB430_2278
; %bb.2273:                             ;   in Loop: Header=BB430_1187 Depth=1
	v_and_b32_e32 v9, 0xffff, v7
	v_mov_b32_e32 v6, 0x7f800001
	s_mov_b32 s13, exec_lo
	s_delay_alu instid0(VALU_DEP_2) | instskip(NEXT) | instid1(VALU_DEP_1)
	v_and_b32_e32 v7, 0x7f, v9
	v_cmpx_ne_u32_e32 0x7f, v7
	s_cbranch_execz .LBB430_2277
; %bb.2274:                             ;   in Loop: Header=BB430_1187 Depth=1
	v_and_b32_e32 v9, 7, v9
	v_lshrrev_b32_e32 v42, 3, v7
	v_cmp_gt_u32_e64 s0, 8, v7
	s_delay_alu instid0(VALU_DEP_3) | instskip(NEXT) | instid1(VALU_DEP_2)
	v_dual_mov_b32 v6, v9 :: v_dual_mov_b32 v7, v10
	s_and_saveexec_b32 s15, s0
; %bb.2275:                             ;   in Loop: Header=BB430_1187 Depth=1
	v_clz_i32_u32_e32 v6, v9
	s_delay_alu instid0(VALU_DEP_1) | instskip(NEXT) | instid1(VALU_DEP_1)
	v_min_u32_e32 v42, 32, v6
	v_subrev_nc_u32_e32 v6, 28, v42
	v_sub_nc_u32_e32 v42, 29, v42
	s_delay_alu instid0(VALU_DEP_2) | instskip(NEXT) | instid1(VALU_DEP_1)
	v_lshlrev_b64 v[6:7], v6, v[9:10]
	v_and_b32_e32 v6, 7, v6
; %bb.2276:                             ;   in Loop: Header=BB430_1187 Depth=1
	s_or_b32 exec_lo, exec_lo, s15
	v_lshlrev_b32_e32 v7, 16, v2
	s_delay_alu instid0(VALU_DEP_2) | instskip(SKIP_1) | instid1(VALU_DEP_3)
	v_lshlrev_b32_e32 v6, 20, v6
	v_lshl_add_u32 v9, v42, 23, 0x3c000000
	v_and_b32_e32 v7, 0x80000000, v7
	s_delay_alu instid0(VALU_DEP_1)
	v_or3_b32 v6, v6, v7, v9
.LBB430_2277:                           ;   in Loop: Header=BB430_1187 Depth=1
	s_or_b32 exec_lo, exec_lo, s13
.LBB430_2278:                           ;   in Loop: Header=BB430_1187 Depth=1
	s_delay_alu instid0(SALU_CYCLE_1)
	s_or_b32 exec_lo, exec_lo, s12
.LBB430_2279:                           ;   in Loop: Header=BB430_1187 Depth=1
	s_delay_alu instid0(SALU_CYCLE_1) | instskip(NEXT) | instid1(VALU_DEP_1)
	s_or_b32 exec_lo, exec_lo, s9
	v_mul_f32_e32 v6, v26, v6
                                        ; implicit-def: $vgpr42
	s_delay_alu instid0(VALU_DEP_1) | instskip(NEXT) | instid1(VALU_DEP_1)
	v_and_b32_e32 v7, 0x7f800000, v6
	v_cmp_ne_u32_e64 s0, 0x7f800000, v7
	s_delay_alu instid0(VALU_DEP_1) | instskip(NEXT) | instid1(SALU_CYCLE_1)
	s_and_saveexec_b32 s9, s0
	s_xor_b32 s0, exec_lo, s9
; %bb.2280:                             ;   in Loop: Header=BB430_1187 Depth=1
	v_bfe_u32 v7, v6, 16, 1
	s_delay_alu instid0(VALU_DEP_1)
	v_add3_u32 v42, v6, v7, 0x7fff
                                        ; implicit-def: $vgpr6
; %bb.2281:                             ;   in Loop: Header=BB430_1187 Depth=1
	s_and_not1_saveexec_b32 s9, s0
; %bb.2282:                             ;   in Loop: Header=BB430_1187 Depth=1
	v_and_b32_e32 v7, 0xffff, v6
	v_or_b32_e32 v9, 0x10000, v6
	s_delay_alu instid0(VALU_DEP_2) | instskip(NEXT) | instid1(VALU_DEP_1)
	v_cmp_eq_u32_e64 s0, 0, v7
	v_cndmask_b32_e64 v42, v9, v6, s0
; %bb.2283:                             ;   in Loop: Header=BB430_1187 Depth=1
	s_or_b32 exec_lo, exec_lo, s9
	v_lshrrev_b32_e32 v43, 16, v2
	s_mov_b32 s9, exec_lo
	s_delay_alu instid0(VALU_DEP_1) | instskip(NEXT) | instid1(VALU_DEP_1)
	v_dual_mov_b32 v6, 0 :: v_dual_and_b32 v7, 0xff, v43
	v_cmpx_ne_u16_e32 0, v7
	s_cbranch_execz .LBB430_2291
; %bb.2284:                             ;   in Loop: Header=BB430_1187 Depth=1
	v_bfrev_b32_e32 v6, 1
	s_mov_b32 s12, exec_lo
	v_cmpx_ne_u16_e32 0x80, v7
	s_cbranch_execz .LBB430_2290
; %bb.2285:                             ;   in Loop: Header=BB430_1187 Depth=1
	v_bfe_u32 v7, v2, 16, 7
	v_mov_b32_e32 v6, 0x7f800001
	s_mov_b32 s13, exec_lo
	s_delay_alu instid0(VALU_DEP_2)
	v_cmpx_ne_u32_e32 0x7f, v7
	s_cbranch_execz .LBB430_2289
; %bb.2286:                             ;   in Loop: Header=BB430_1187 Depth=1
	v_and_b32_e32 v9, 7, v43
	v_lshrrev_b32_e32 v44, 3, v7
	v_cmp_gt_u32_e64 s0, 8, v7
	s_delay_alu instid0(VALU_DEP_3) | instskip(NEXT) | instid1(VALU_DEP_2)
	v_dual_mov_b32 v6, v9 :: v_dual_mov_b32 v7, v10
	s_and_saveexec_b32 s15, s0
; %bb.2287:                             ;   in Loop: Header=BB430_1187 Depth=1
	v_clz_i32_u32_e32 v6, v9
	s_delay_alu instid0(VALU_DEP_1) | instskip(NEXT) | instid1(VALU_DEP_1)
	v_min_u32_e32 v44, 32, v6
	v_subrev_nc_u32_e32 v6, 28, v44
	v_sub_nc_u32_e32 v44, 29, v44
	s_delay_alu instid0(VALU_DEP_2) | instskip(NEXT) | instid1(VALU_DEP_1)
	v_lshlrev_b64 v[6:7], v6, v[9:10]
	v_and_b32_e32 v6, 7, v6
; %bb.2288:                             ;   in Loop: Header=BB430_1187 Depth=1
	s_or_b32 exec_lo, exec_lo, s15
	v_lshlrev_b32_e32 v7, 24, v43
	s_delay_alu instid0(VALU_DEP_2) | instskip(SKIP_1) | instid1(VALU_DEP_3)
	v_lshlrev_b32_e32 v6, 20, v6
	v_lshl_add_u32 v9, v44, 23, 0x3c000000
	v_and_b32_e32 v7, 0x80000000, v7
	s_delay_alu instid0(VALU_DEP_1)
	v_or3_b32 v6, v6, v7, v9
.LBB430_2289:                           ;   in Loop: Header=BB430_1187 Depth=1
	s_or_b32 exec_lo, exec_lo, s13
.LBB430_2290:                           ;   in Loop: Header=BB430_1187 Depth=1
	s_delay_alu instid0(SALU_CYCLE_1)
	s_or_b32 exec_lo, exec_lo, s12
.LBB430_2291:                           ;   in Loop: Header=BB430_1187 Depth=1
	s_delay_alu instid0(SALU_CYCLE_1) | instskip(NEXT) | instid1(VALU_DEP_1)
	s_or_b32 exec_lo, exec_lo, s9
	v_mul_f32_e32 v6, v26, v6
                                        ; implicit-def: $vgpr43
	s_delay_alu instid0(VALU_DEP_1) | instskip(NEXT) | instid1(VALU_DEP_1)
	v_and_b32_e32 v7, 0x7f800000, v6
	v_cmp_ne_u32_e64 s0, 0x7f800000, v7
	s_delay_alu instid0(VALU_DEP_1) | instskip(NEXT) | instid1(SALU_CYCLE_1)
	s_and_saveexec_b32 s9, s0
	s_xor_b32 s0, exec_lo, s9
; %bb.2292:                             ;   in Loop: Header=BB430_1187 Depth=1
	v_bfe_u32 v7, v6, 16, 1
	s_delay_alu instid0(VALU_DEP_1)
	v_add3_u32 v43, v6, v7, 0x7fff
                                        ; implicit-def: $vgpr6
; %bb.2293:                             ;   in Loop: Header=BB430_1187 Depth=1
	s_and_not1_saveexec_b32 s9, s0
; %bb.2294:                             ;   in Loop: Header=BB430_1187 Depth=1
	v_and_b32_e32 v7, 0xffff, v6
	v_or_b32_e32 v9, 0x10000, v6
	s_delay_alu instid0(VALU_DEP_2) | instskip(NEXT) | instid1(VALU_DEP_1)
	v_cmp_eq_u32_e64 s0, 0, v7
	v_cndmask_b32_e64 v43, v9, v6, s0
; %bb.2295:                             ;   in Loop: Header=BB430_1187 Depth=1
	s_or_b32 exec_lo, exec_lo, s9
	v_mov_b32_e32 v6, 0
	s_mov_b32 s9, exec_lo
	v_cmpx_lt_u32_e32 0xffffff, v2
	s_cbranch_execz .LBB430_2303
; %bb.2296:                             ;   in Loop: Header=BB430_1187 Depth=1
	v_lshrrev_b32_e32 v44, 24, v2
	v_bfrev_b32_e32 v6, 1
	s_mov_b32 s12, exec_lo
	s_delay_alu instid0(VALU_DEP_2)
	v_cmpx_ne_u32_e32 0x80, v44
	s_cbranch_execz .LBB430_2302
; %bb.2297:                             ;   in Loop: Header=BB430_1187 Depth=1
	v_bfe_u32 v7, v2, 24, 7
	v_mov_b32_e32 v6, 0x7f800001
	s_mov_b32 s13, exec_lo
	s_delay_alu instid0(VALU_DEP_2)
	v_cmpx_ne_u32_e32 0x7f, v7
	s_cbranch_execz .LBB430_2301
; %bb.2298:                             ;   in Loop: Header=BB430_1187 Depth=1
	v_and_b32_e32 v9, 7, v44
	v_lshrrev_b32_e32 v45, 3, v7
	v_cmp_gt_u32_e64 s0, 8, v7
	s_delay_alu instid0(VALU_DEP_3) | instskip(NEXT) | instid1(VALU_DEP_2)
	v_dual_mov_b32 v6, v9 :: v_dual_mov_b32 v7, v10
	s_and_saveexec_b32 s15, s0
; %bb.2299:                             ;   in Loop: Header=BB430_1187 Depth=1
	v_clz_i32_u32_e32 v6, v9
	s_delay_alu instid0(VALU_DEP_1) | instskip(NEXT) | instid1(VALU_DEP_1)
	v_min_u32_e32 v45, 32, v6
	v_subrev_nc_u32_e32 v6, 28, v45
	v_sub_nc_u32_e32 v45, 29, v45
	s_delay_alu instid0(VALU_DEP_2) | instskip(NEXT) | instid1(VALU_DEP_1)
	v_lshlrev_b64 v[6:7], v6, v[9:10]
	v_and_b32_e32 v6, 7, v6
; %bb.2300:                             ;   in Loop: Header=BB430_1187 Depth=1
	s_or_b32 exec_lo, exec_lo, s15
	v_lshlrev_b32_e32 v7, 24, v44
	s_delay_alu instid0(VALU_DEP_2) | instskip(SKIP_1) | instid1(VALU_DEP_3)
	v_lshlrev_b32_e32 v6, 20, v6
	v_lshl_add_u32 v9, v45, 23, 0x3c000000
	v_and_b32_e32 v7, 0x80000000, v7
	s_delay_alu instid0(VALU_DEP_1)
	v_or3_b32 v6, v6, v7, v9
.LBB430_2301:                           ;   in Loop: Header=BB430_1187 Depth=1
	s_or_b32 exec_lo, exec_lo, s13
.LBB430_2302:                           ;   in Loop: Header=BB430_1187 Depth=1
	s_delay_alu instid0(SALU_CYCLE_1)
	s_or_b32 exec_lo, exec_lo, s12
.LBB430_2303:                           ;   in Loop: Header=BB430_1187 Depth=1
	s_delay_alu instid0(SALU_CYCLE_1) | instskip(NEXT) | instid1(VALU_DEP_1)
	s_or_b32 exec_lo, exec_lo, s9
	v_mul_f32_e32 v6, v26, v6
                                        ; implicit-def: $vgpr44
	s_delay_alu instid0(VALU_DEP_1) | instskip(NEXT) | instid1(VALU_DEP_1)
	v_and_b32_e32 v7, 0x7f800000, v6
	v_cmp_ne_u32_e64 s0, 0x7f800000, v7
	s_delay_alu instid0(VALU_DEP_1) | instskip(NEXT) | instid1(SALU_CYCLE_1)
	s_and_saveexec_b32 s9, s0
	s_xor_b32 s0, exec_lo, s9
; %bb.2304:                             ;   in Loop: Header=BB430_1187 Depth=1
	v_bfe_u32 v7, v6, 16, 1
	s_delay_alu instid0(VALU_DEP_1)
	v_add3_u32 v44, v6, v7, 0x7fff
                                        ; implicit-def: $vgpr6
; %bb.2305:                             ;   in Loop: Header=BB430_1187 Depth=1
	s_and_not1_saveexec_b32 s9, s0
; %bb.2306:                             ;   in Loop: Header=BB430_1187 Depth=1
	v_and_b32_e32 v7, 0xffff, v6
	v_or_b32_e32 v9, 0x10000, v6
	s_delay_alu instid0(VALU_DEP_2) | instskip(NEXT) | instid1(VALU_DEP_1)
	v_cmp_eq_u32_e64 s0, 0, v7
	v_cndmask_b32_e64 v44, v9, v6, s0
; %bb.2307:                             ;   in Loop: Header=BB430_1187 Depth=1
	s_or_b32 exec_lo, exec_lo, s9
	v_dual_mov_b32 v6, 0 :: v_dual_and_b32 v7, 0xff, v3
	v_mov_b32_e32 v9, v3
	s_mov_b32 s9, exec_lo
	s_delay_alu instid0(VALU_DEP_2)
	v_cmpx_ne_u16_e32 0, v7
	s_cbranch_execz .LBB430_2315
; %bb.2308:                             ;   in Loop: Header=BB430_1187 Depth=1
	v_bfrev_b32_e32 v6, 1
	s_mov_b32 s12, exec_lo
	v_cmpx_ne_u16_e32 0x80, v7
	s_cbranch_execz .LBB430_2314
; %bb.2309:                             ;   in Loop: Header=BB430_1187 Depth=1
	v_and_b32_e32 v7, 0x7f, v3
	v_mov_b32_e32 v6, 0x7f800001
	s_mov_b32 s13, exec_lo
	s_delay_alu instid0(VALU_DEP_2)
	v_cmpx_ne_u32_e32 0x7f, v7
	s_cbranch_execz .LBB430_2313
; %bb.2310:                             ;   in Loop: Header=BB430_1187 Depth=1
	v_lshrrev_b32_e32 v45, 3, v7
	v_cmp_gt_u32_e64 s0, 8, v7
	v_dual_mov_b32 v6, v9 :: v_dual_mov_b32 v7, v10
	s_delay_alu instid0(VALU_DEP_2)
	s_and_saveexec_b32 s15, s0
; %bb.2311:                             ;   in Loop: Header=BB430_1187 Depth=1
	v_and_b32_e32 v6, 7, v3
	s_delay_alu instid0(VALU_DEP_1) | instskip(NEXT) | instid1(VALU_DEP_1)
	v_clz_i32_u32_e32 v6, v6
	v_min_u32_e32 v45, 32, v6
	s_delay_alu instid0(VALU_DEP_1) | instskip(SKIP_1) | instid1(VALU_DEP_2)
	v_subrev_nc_u32_e32 v6, 28, v45
	v_sub_nc_u32_e32 v45, 29, v45
	v_lshlrev_b64 v[6:7], v6, v[9:10]
; %bb.2312:                             ;   in Loop: Header=BB430_1187 Depth=1
	s_or_b32 exec_lo, exec_lo, s15
	s_delay_alu instid0(VALU_DEP_1) | instskip(SKIP_2) | instid1(VALU_DEP_3)
	v_lshlrev_b32_e32 v6, 20, v6
	v_lshlrev_b32_e32 v7, 24, v9
	v_lshl_add_u32 v45, v45, 23, 0x3c000000
	v_and_b32_e32 v6, 0x700000, v6
	s_delay_alu instid0(VALU_DEP_3) | instskip(NEXT) | instid1(VALU_DEP_1)
	v_and_b32_e32 v7, 0x80000000, v7
	v_or3_b32 v6, v6, v7, v45
.LBB430_2313:                           ;   in Loop: Header=BB430_1187 Depth=1
	s_or_b32 exec_lo, exec_lo, s13
.LBB430_2314:                           ;   in Loop: Header=BB430_1187 Depth=1
	s_delay_alu instid0(SALU_CYCLE_1)
	s_or_b32 exec_lo, exec_lo, s12
.LBB430_2315:                           ;   in Loop: Header=BB430_1187 Depth=1
	s_delay_alu instid0(SALU_CYCLE_1) | instskip(NEXT) | instid1(VALU_DEP_1)
	s_or_b32 exec_lo, exec_lo, s9
	v_mul_f32_e32 v6, v26, v6
                                        ; implicit-def: $vgpr45
	s_delay_alu instid0(VALU_DEP_1) | instskip(NEXT) | instid1(VALU_DEP_1)
	v_and_b32_e32 v7, 0x7f800000, v6
	v_cmp_ne_u32_e64 s0, 0x7f800000, v7
	s_delay_alu instid0(VALU_DEP_1) | instskip(NEXT) | instid1(SALU_CYCLE_1)
	s_and_saveexec_b32 s9, s0
	s_xor_b32 s0, exec_lo, s9
; %bb.2316:                             ;   in Loop: Header=BB430_1187 Depth=1
	v_bfe_u32 v7, v6, 16, 1
	s_delay_alu instid0(VALU_DEP_1)
	v_add3_u32 v45, v6, v7, 0x7fff
                                        ; implicit-def: $vgpr6
; %bb.2317:                             ;   in Loop: Header=BB430_1187 Depth=1
	s_and_not1_saveexec_b32 s9, s0
; %bb.2318:                             ;   in Loop: Header=BB430_1187 Depth=1
	v_and_b32_e32 v7, 0xffff, v6
	v_or_b32_e32 v45, 0x10000, v6
	s_delay_alu instid0(VALU_DEP_2) | instskip(NEXT) | instid1(VALU_DEP_1)
	v_cmp_eq_u32_e64 s0, 0, v7
	v_cndmask_b32_e64 v45, v45, v6, s0
; %bb.2319:                             ;   in Loop: Header=BB430_1187 Depth=1
	s_or_b32 exec_lo, exec_lo, s9
	v_lshrrev_b16 v7, 8, v9
	v_mov_b32_e32 v6, 0
	s_mov_b32 s9, exec_lo
	s_delay_alu instid0(VALU_DEP_2)
	v_cmpx_ne_u16_e32 0, v7
	s_cbranch_execz .LBB430_2327
; %bb.2320:                             ;   in Loop: Header=BB430_1187 Depth=1
	v_bfrev_b32_e32 v6, 1
	s_mov_b32 s12, exec_lo
	v_cmpx_ne_u16_e32 0x80, v7
	s_cbranch_execz .LBB430_2326
; %bb.2321:                             ;   in Loop: Header=BB430_1187 Depth=1
	v_and_b32_e32 v7, 0xffff, v7
	v_mov_b32_e32 v6, 0x7f800001
	s_mov_b32 s13, exec_lo
	s_delay_alu instid0(VALU_DEP_2) | instskip(NEXT) | instid1(VALU_DEP_1)
	v_and_b32_e32 v47, 0x7f, v7
	v_cmpx_ne_u32_e32 0x7f, v47
	s_cbranch_execz .LBB430_2325
; %bb.2322:                             ;   in Loop: Header=BB430_1187 Depth=1
	v_dual_mov_b32 v7, v10 :: v_dual_and_b32 v6, 7, v7
	v_lshrrev_b32_e32 v46, 3, v47
	s_mov_b32 s15, exec_lo
	v_cmpx_gt_u32_e32 8, v47
; %bb.2323:                             ;   in Loop: Header=BB430_1187 Depth=1
	s_delay_alu instid0(VALU_DEP_3) | instskip(NEXT) | instid1(VALU_DEP_1)
	v_clz_i32_u32_e32 v46, v6
	v_min_u32_e32 v46, 32, v46
	s_delay_alu instid0(VALU_DEP_1) | instskip(SKIP_1) | instid1(VALU_DEP_2)
	v_subrev_nc_u32_e32 v47, 28, v46
	v_sub_nc_u32_e32 v46, 29, v46
	v_lshlrev_b64 v[6:7], v47, v[6:7]
	s_delay_alu instid0(VALU_DEP_1)
	v_and_b32_e32 v6, 7, v6
; %bb.2324:                             ;   in Loop: Header=BB430_1187 Depth=1
	s_or_b32 exec_lo, exec_lo, s15
	v_lshlrev_b32_e32 v7, 16, v9
	s_delay_alu instid0(VALU_DEP_2) | instskip(SKIP_1) | instid1(VALU_DEP_3)
	v_lshlrev_b32_e32 v6, 20, v6
	v_lshl_add_u32 v9, v46, 23, 0x3c000000
	v_and_b32_e32 v7, 0x80000000, v7
	s_delay_alu instid0(VALU_DEP_1)
	v_or3_b32 v6, v6, v7, v9
.LBB430_2325:                           ;   in Loop: Header=BB430_1187 Depth=1
	s_or_b32 exec_lo, exec_lo, s13
.LBB430_2326:                           ;   in Loop: Header=BB430_1187 Depth=1
	s_delay_alu instid0(SALU_CYCLE_1)
	s_or_b32 exec_lo, exec_lo, s12
.LBB430_2327:                           ;   in Loop: Header=BB430_1187 Depth=1
	s_delay_alu instid0(SALU_CYCLE_1) | instskip(NEXT) | instid1(VALU_DEP_1)
	s_or_b32 exec_lo, exec_lo, s9
	v_mul_f32_e32 v6, v26, v6
                                        ; implicit-def: $vgpr46
	s_delay_alu instid0(VALU_DEP_1) | instskip(NEXT) | instid1(VALU_DEP_1)
	v_and_b32_e32 v7, 0x7f800000, v6
	v_cmp_ne_u32_e64 s0, 0x7f800000, v7
	s_delay_alu instid0(VALU_DEP_1) | instskip(NEXT) | instid1(SALU_CYCLE_1)
	s_and_saveexec_b32 s9, s0
	s_xor_b32 s0, exec_lo, s9
; %bb.2328:                             ;   in Loop: Header=BB430_1187 Depth=1
	v_bfe_u32 v7, v6, 16, 1
	s_delay_alu instid0(VALU_DEP_1)
	v_add3_u32 v46, v6, v7, 0x7fff
                                        ; implicit-def: $vgpr6
; %bb.2329:                             ;   in Loop: Header=BB430_1187 Depth=1
	s_and_not1_saveexec_b32 s9, s0
; %bb.2330:                             ;   in Loop: Header=BB430_1187 Depth=1
	v_and_b32_e32 v7, 0xffff, v6
	v_or_b32_e32 v9, 0x10000, v6
	s_delay_alu instid0(VALU_DEP_2) | instskip(NEXT) | instid1(VALU_DEP_1)
	v_cmp_eq_u32_e64 s0, 0, v7
	v_cndmask_b32_e64 v46, v9, v6, s0
; %bb.2331:                             ;   in Loop: Header=BB430_1187 Depth=1
	s_or_b32 exec_lo, exec_lo, s9
	v_lshrrev_b32_e32 v47, 16, v3
	s_mov_b32 s9, exec_lo
	s_delay_alu instid0(VALU_DEP_1) | instskip(NEXT) | instid1(VALU_DEP_1)
	v_dual_mov_b32 v6, 0 :: v_dual_and_b32 v7, 0xff, v47
	v_cmpx_ne_u16_e32 0, v7
	s_cbranch_execz .LBB430_2339
; %bb.2332:                             ;   in Loop: Header=BB430_1187 Depth=1
	v_bfrev_b32_e32 v6, 1
	s_mov_b32 s12, exec_lo
	v_cmpx_ne_u16_e32 0x80, v7
	s_cbranch_execz .LBB430_2338
; %bb.2333:                             ;   in Loop: Header=BB430_1187 Depth=1
	v_bfe_u32 v7, v3, 16, 7
	v_mov_b32_e32 v6, 0x7f800001
	s_mov_b32 s13, exec_lo
	s_delay_alu instid0(VALU_DEP_2)
	v_cmpx_ne_u32_e32 0x7f, v7
	s_cbranch_execz .LBB430_2337
; %bb.2334:                             ;   in Loop: Header=BB430_1187 Depth=1
	v_and_b32_e32 v9, 7, v47
	v_lshrrev_b32_e32 v56, 3, v7
	v_cmp_gt_u32_e64 s0, 8, v7
	s_delay_alu instid0(VALU_DEP_3) | instskip(NEXT) | instid1(VALU_DEP_2)
	v_dual_mov_b32 v6, v9 :: v_dual_mov_b32 v7, v10
	s_and_saveexec_b32 s15, s0
; %bb.2335:                             ;   in Loop: Header=BB430_1187 Depth=1
	v_clz_i32_u32_e32 v6, v9
	s_delay_alu instid0(VALU_DEP_1) | instskip(NEXT) | instid1(VALU_DEP_1)
	v_min_u32_e32 v56, 32, v6
	v_subrev_nc_u32_e32 v6, 28, v56
	v_sub_nc_u32_e32 v56, 29, v56
	s_delay_alu instid0(VALU_DEP_2) | instskip(NEXT) | instid1(VALU_DEP_1)
	v_lshlrev_b64 v[6:7], v6, v[9:10]
	v_and_b32_e32 v6, 7, v6
; %bb.2336:                             ;   in Loop: Header=BB430_1187 Depth=1
	s_or_b32 exec_lo, exec_lo, s15
	v_lshlrev_b32_e32 v7, 24, v47
	s_delay_alu instid0(VALU_DEP_2) | instskip(SKIP_1) | instid1(VALU_DEP_3)
	v_lshlrev_b32_e32 v6, 20, v6
	v_lshl_add_u32 v9, v56, 23, 0x3c000000
	v_and_b32_e32 v7, 0x80000000, v7
	s_delay_alu instid0(VALU_DEP_1)
	v_or3_b32 v6, v6, v7, v9
.LBB430_2337:                           ;   in Loop: Header=BB430_1187 Depth=1
	s_or_b32 exec_lo, exec_lo, s13
.LBB430_2338:                           ;   in Loop: Header=BB430_1187 Depth=1
	s_delay_alu instid0(SALU_CYCLE_1)
	s_or_b32 exec_lo, exec_lo, s12
.LBB430_2339:                           ;   in Loop: Header=BB430_1187 Depth=1
	s_delay_alu instid0(SALU_CYCLE_1) | instskip(NEXT) | instid1(VALU_DEP_1)
	s_or_b32 exec_lo, exec_lo, s9
	v_mul_f32_e32 v6, v26, v6
                                        ; implicit-def: $vgpr47
	s_delay_alu instid0(VALU_DEP_1) | instskip(NEXT) | instid1(VALU_DEP_1)
	v_and_b32_e32 v7, 0x7f800000, v6
	v_cmp_ne_u32_e64 s0, 0x7f800000, v7
	s_delay_alu instid0(VALU_DEP_1) | instskip(NEXT) | instid1(SALU_CYCLE_1)
	s_and_saveexec_b32 s9, s0
	s_xor_b32 s0, exec_lo, s9
; %bb.2340:                             ;   in Loop: Header=BB430_1187 Depth=1
	v_bfe_u32 v7, v6, 16, 1
	s_delay_alu instid0(VALU_DEP_1)
	v_add3_u32 v47, v6, v7, 0x7fff
                                        ; implicit-def: $vgpr6
; %bb.2341:                             ;   in Loop: Header=BB430_1187 Depth=1
	s_and_not1_saveexec_b32 s9, s0
; %bb.2342:                             ;   in Loop: Header=BB430_1187 Depth=1
	v_and_b32_e32 v7, 0xffff, v6
	v_or_b32_e32 v9, 0x10000, v6
	s_delay_alu instid0(VALU_DEP_2) | instskip(NEXT) | instid1(VALU_DEP_1)
	v_cmp_eq_u32_e64 s0, 0, v7
	v_cndmask_b32_e64 v47, v9, v6, s0
; %bb.2343:                             ;   in Loop: Header=BB430_1187 Depth=1
	s_or_b32 exec_lo, exec_lo, s9
	v_cmp_lt_u64_e64 s0, s[2:3], v[2:3]
	v_mov_b32_e32 v2, 0
	s_delay_alu instid0(VALU_DEP_2)
	s_and_saveexec_b32 s9, s0
	s_cbranch_execz .LBB430_2351
; %bb.2344:                             ;   in Loop: Header=BB430_1187 Depth=1
	v_lshrrev_b32_e32 v6, 24, v3
	v_bfrev_b32_e32 v2, 1
	s_mov_b32 s12, exec_lo
	s_delay_alu instid0(VALU_DEP_2)
	v_cmpx_ne_u32_e32 0x80, v6
	s_cbranch_execz .LBB430_2350
; %bb.2345:                             ;   in Loop: Header=BB430_1187 Depth=1
	v_bfe_u32 v3, v3, 24, 7
	v_mov_b32_e32 v2, 0x7f800001
	s_mov_b32 s13, exec_lo
	s_delay_alu instid0(VALU_DEP_2)
	v_cmpx_ne_u32_e32 0x7f, v3
	s_cbranch_execz .LBB430_2349
; %bb.2346:                             ;   in Loop: Header=BB430_1187 Depth=1
	v_and_b32_e32 v9, 7, v6
	v_lshrrev_b32_e32 v7, 3, v3
	v_cmp_gt_u32_e64 s0, 8, v3
	s_delay_alu instid0(VALU_DEP_3) | instskip(NEXT) | instid1(VALU_DEP_2)
	v_dual_mov_b32 v2, v9 :: v_dual_mov_b32 v3, v10
	s_and_saveexec_b32 s15, s0
; %bb.2347:                             ;   in Loop: Header=BB430_1187 Depth=1
	v_clz_i32_u32_e32 v2, v9
	s_delay_alu instid0(VALU_DEP_1) | instskip(NEXT) | instid1(VALU_DEP_1)
	v_min_u32_e32 v7, 32, v2
	v_subrev_nc_u32_e32 v2, 28, v7
	v_sub_nc_u32_e32 v7, 29, v7
	s_delay_alu instid0(VALU_DEP_2) | instskip(NEXT) | instid1(VALU_DEP_1)
	v_lshlrev_b64 v[2:3], v2, v[9:10]
	v_and_b32_e32 v2, 7, v2
; %bb.2348:                             ;   in Loop: Header=BB430_1187 Depth=1
	s_or_b32 exec_lo, exec_lo, s15
	v_lshlrev_b32_e32 v3, 24, v6
	s_delay_alu instid0(VALU_DEP_2) | instskip(SKIP_1) | instid1(VALU_DEP_3)
	v_lshlrev_b32_e32 v2, 20, v2
	v_lshl_add_u32 v6, v7, 23, 0x3c000000
	v_and_b32_e32 v3, 0x80000000, v3
	s_delay_alu instid0(VALU_DEP_1)
	v_or3_b32 v2, v2, v3, v6
.LBB430_2349:                           ;   in Loop: Header=BB430_1187 Depth=1
	s_or_b32 exec_lo, exec_lo, s13
.LBB430_2350:                           ;   in Loop: Header=BB430_1187 Depth=1
	s_delay_alu instid0(SALU_CYCLE_1)
	s_or_b32 exec_lo, exec_lo, s12
.LBB430_2351:                           ;   in Loop: Header=BB430_1187 Depth=1
	s_delay_alu instid0(SALU_CYCLE_1) | instskip(NEXT) | instid1(VALU_DEP_1)
	s_or_b32 exec_lo, exec_lo, s9
	v_mul_f32_e32 v3, v26, v2
	s_delay_alu instid0(VALU_DEP_1) | instskip(NEXT) | instid1(VALU_DEP_1)
	v_and_b32_e32 v2, 0x7f800000, v3
	v_cmp_ne_u32_e64 s0, 0x7f800000, v2
                                        ; implicit-def: $vgpr2
	s_delay_alu instid0(VALU_DEP_1) | instskip(NEXT) | instid1(SALU_CYCLE_1)
	s_and_saveexec_b32 s9, s0
	s_xor_b32 s0, exec_lo, s9
; %bb.2352:                             ;   in Loop: Header=BB430_1187 Depth=1
	v_bfe_u32 v2, v3, 16, 1
	s_delay_alu instid0(VALU_DEP_1)
	v_add3_u32 v2, v3, v2, 0x7fff
                                        ; implicit-def: $vgpr3
; %bb.2353:                             ;   in Loop: Header=BB430_1187 Depth=1
	s_and_not1_saveexec_b32 s9, s0
; %bb.2354:                             ;   in Loop: Header=BB430_1187 Depth=1
	v_and_b32_e32 v2, 0xffff, v3
	v_or_b32_e32 v6, 0x10000, v3
	s_delay_alu instid0(VALU_DEP_2) | instskip(NEXT) | instid1(VALU_DEP_1)
	v_cmp_eq_u32_e64 s0, 0, v2
	v_cndmask_b32_e64 v2, v6, v3, s0
; %bb.2355:                             ;   in Loop: Header=BB430_1187 Depth=1
	s_or_b32 exec_lo, exec_lo, s9
	v_lshrrev_b32_e32 v6, 16, v46
	v_lshrrev_b32_e32 v7, 16, v45
	;; [unrolled: 1-line block ×8, first 2 shown]
	s_and_saveexec_b32 s9, vcc_lo
	s_cbranch_execz .LBB430_2357
; %bb.2356:                             ;   in Loop: Header=BB430_1187 Depth=1
	v_cmp_lt_i32_e64 s0, v64, v35
	s_delay_alu instid0(VALU_DEP_1) | instskip(SKIP_1) | instid1(VALU_DEP_1)
	v_cndmask_b32_e64 v33, 0, v33, s0
	v_cmp_lt_i32_e64 s0, v70, v35
	v_cndmask_b32_e64 v42, 0, v42, s0
	v_cmp_lt_i32_e64 s0, v69, v35
	s_delay_alu instid0(VALU_DEP_1) | instskip(SKIP_1) | instid1(VALU_DEP_1)
	v_cndmask_b32_e64 v43, 0, v43, s0
	v_cmp_lt_i32_e64 s0, v68, v35
	v_cndmask_b32_e64 v9, 0, v9, s0
	;; [unrolled: 5-line block ×4, first 2 shown]
.LBB430_2357:                           ;   in Loop: Header=BB430_1187 Depth=1
	s_or_b32 exec_lo, exec_lo, s9
	v_lshlrev_b32_e32 v33, 16, v33
	s_delay_alu instid0(VALU_DEP_1) | instskip(NEXT) | instid1(VALU_DEP_1)
	v_mul_f32_e32 v44, v71, v33
	v_and_b32_e32 v33, 0x7f800000, v44
	s_delay_alu instid0(VALU_DEP_1) | instskip(NEXT) | instid1(VALU_DEP_1)
	v_cmp_ne_u32_e64 s0, 0x7f800000, v33
                                        ; implicit-def: $vgpr33
	s_and_saveexec_b32 s9, s0
	s_delay_alu instid0(SALU_CYCLE_1)
	s_xor_b32 s0, exec_lo, s9
; %bb.2358:                             ;   in Loop: Header=BB430_1187 Depth=1
	v_bfe_u32 v33, v44, 16, 1
	s_delay_alu instid0(VALU_DEP_1)
	v_add3_u32 v33, v44, v33, 0x7fff
                                        ; implicit-def: $vgpr44
; %bb.2359:                             ;   in Loop: Header=BB430_1187 Depth=1
	s_and_not1_saveexec_b32 s9, s0
; %bb.2360:                             ;   in Loop: Header=BB430_1187 Depth=1
	v_and_b32_e32 v33, 0xffff, v44
	v_or_b32_e32 v45, 0x10000, v44
	s_delay_alu instid0(VALU_DEP_2) | instskip(NEXT) | instid1(VALU_DEP_1)
	v_cmp_eq_u32_e64 s0, 0, v33
	v_cndmask_b32_e64 v33, v45, v44, s0
; %bb.2361:                             ;   in Loop: Header=BB430_1187 Depth=1
	s_or_b32 exec_lo, exec_lo, s9
	v_lshlrev_b32_e32 v42, 16, v42
	s_delay_alu instid0(VALU_DEP_1) | instskip(NEXT) | instid1(VALU_DEP_1)
	v_mul_f32_e32 v44, v80, v42
	v_and_b32_e32 v42, 0x7f800000, v44
	s_delay_alu instid0(VALU_DEP_1) | instskip(NEXT) | instid1(VALU_DEP_1)
	v_cmp_ne_u32_e64 s0, 0x7f800000, v42
                                        ; implicit-def: $vgpr42
	s_and_saveexec_b32 s9, s0
	s_delay_alu instid0(SALU_CYCLE_1)
	s_xor_b32 s0, exec_lo, s9
; %bb.2362:                             ;   in Loop: Header=BB430_1187 Depth=1
	v_bfe_u32 v42, v44, 16, 1
	s_delay_alu instid0(VALU_DEP_1)
	v_add3_u32 v42, v44, v42, 0x7fff
                                        ; implicit-def: $vgpr44
; %bb.2363:                             ;   in Loop: Header=BB430_1187 Depth=1
	s_and_not1_saveexec_b32 s9, s0
; %bb.2364:                             ;   in Loop: Header=BB430_1187 Depth=1
	v_and_b32_e32 v42, 0xffff, v44
	v_or_b32_e32 v45, 0x10000, v44
	s_delay_alu instid0(VALU_DEP_2) | instskip(NEXT) | instid1(VALU_DEP_1)
	v_cmp_eq_u32_e64 s0, 0, v42
	v_cndmask_b32_e64 v42, v45, v44, s0
; %bb.2365:                             ;   in Loop: Header=BB430_1187 Depth=1
	s_or_b32 exec_lo, exec_lo, s9
	v_lshlrev_b32_e32 v43, 16, v43
	s_delay_alu instid0(VALU_DEP_1) | instskip(NEXT) | instid1(VALU_DEP_1)
	v_mul_f32_e32 v44, v81, v43
	v_and_b32_e32 v43, 0x7f800000, v44
	s_delay_alu instid0(VALU_DEP_1) | instskip(NEXT) | instid1(VALU_DEP_1)
	v_cmp_ne_u32_e64 s0, 0x7f800000, v43
                                        ; implicit-def: $vgpr43
	s_and_saveexec_b32 s9, s0
	s_delay_alu instid0(SALU_CYCLE_1)
	s_xor_b32 s0, exec_lo, s9
; %bb.2366:                             ;   in Loop: Header=BB430_1187 Depth=1
	v_bfe_u32 v43, v44, 16, 1
	s_delay_alu instid0(VALU_DEP_1)
	v_add3_u32 v43, v44, v43, 0x7fff
                                        ; implicit-def: $vgpr44
; %bb.2367:                             ;   in Loop: Header=BB430_1187 Depth=1
	s_and_not1_saveexec_b32 s9, s0
; %bb.2368:                             ;   in Loop: Header=BB430_1187 Depth=1
	v_and_b32_e32 v43, 0xffff, v44
	v_or_b32_e32 v45, 0x10000, v44
	s_delay_alu instid0(VALU_DEP_2) | instskip(NEXT) | instid1(VALU_DEP_1)
	v_cmp_eq_u32_e64 s0, 0, v43
	v_cndmask_b32_e64 v43, v45, v44, s0
; %bb.2369:                             ;   in Loop: Header=BB430_1187 Depth=1
	s_or_b32 exec_lo, exec_lo, s9
	v_lshlrev_b32_e32 v9, 16, v9
	s_delay_alu instid0(VALU_DEP_1) | instskip(NEXT) | instid1(VALU_DEP_1)
	v_mul_f32_e32 v9, v82, v9
	v_and_b32_e32 v44, 0x7f800000, v9
	s_delay_alu instid0(VALU_DEP_1) | instskip(NEXT) | instid1(VALU_DEP_1)
	v_cmp_ne_u32_e64 s0, 0x7f800000, v44
                                        ; implicit-def: $vgpr44
	s_and_saveexec_b32 s9, s0
	s_delay_alu instid0(SALU_CYCLE_1)
	s_xor_b32 s0, exec_lo, s9
; %bb.2370:                             ;   in Loop: Header=BB430_1187 Depth=1
	v_bfe_u32 v44, v9, 16, 1
	s_delay_alu instid0(VALU_DEP_1)
	v_add3_u32 v44, v9, v44, 0x7fff
                                        ; implicit-def: $vgpr9
; %bb.2371:                             ;   in Loop: Header=BB430_1187 Depth=1
	s_and_not1_saveexec_b32 s9, s0
; %bb.2372:                             ;   in Loop: Header=BB430_1187 Depth=1
	v_and_b32_e32 v44, 0xffff, v9
	v_or_b32_e32 v45, 0x10000, v9
	s_delay_alu instid0(VALU_DEP_2) | instskip(NEXT) | instid1(VALU_DEP_1)
	v_cmp_eq_u32_e64 s0, 0, v44
	v_cndmask_b32_e64 v44, v45, v9, s0
; %bb.2373:                             ;   in Loop: Header=BB430_1187 Depth=1
	s_or_b32 exec_lo, exec_lo, s9
	v_lshlrev_b32_e32 v7, 16, v7
                                        ; implicit-def: $vgpr45
	s_delay_alu instid0(VALU_DEP_1) | instskip(NEXT) | instid1(VALU_DEP_1)
	v_mul_f32_e32 v7, v83, v7
	v_and_b32_e32 v9, 0x7f800000, v7
	s_delay_alu instid0(VALU_DEP_1) | instskip(NEXT) | instid1(VALU_DEP_1)
	v_cmp_ne_u32_e64 s0, 0x7f800000, v9
	s_and_saveexec_b32 s9, s0
	s_delay_alu instid0(SALU_CYCLE_1)
	s_xor_b32 s0, exec_lo, s9
; %bb.2374:                             ;   in Loop: Header=BB430_1187 Depth=1
	v_bfe_u32 v9, v7, 16, 1
	s_delay_alu instid0(VALU_DEP_1)
	v_add3_u32 v45, v7, v9, 0x7fff
                                        ; implicit-def: $vgpr7
; %bb.2375:                             ;   in Loop: Header=BB430_1187 Depth=1
	s_and_not1_saveexec_b32 s9, s0
; %bb.2376:                             ;   in Loop: Header=BB430_1187 Depth=1
	v_and_b32_e32 v9, 0xffff, v7
	v_or_b32_e32 v45, 0x10000, v7
	s_delay_alu instid0(VALU_DEP_2) | instskip(NEXT) | instid1(VALU_DEP_1)
	v_cmp_eq_u32_e64 s0, 0, v9
	v_cndmask_b32_e64 v45, v45, v7, s0
; %bb.2377:                             ;   in Loop: Header=BB430_1187 Depth=1
	s_or_b32 exec_lo, exec_lo, s9
	v_lshlrev_b32_e32 v6, 16, v6
                                        ; implicit-def: $vgpr46
	s_delay_alu instid0(VALU_DEP_1) | instskip(NEXT) | instid1(VALU_DEP_1)
	v_mul_f32_e32 v6, v84, v6
	v_and_b32_e32 v7, 0x7f800000, v6
	s_delay_alu instid0(VALU_DEP_1) | instskip(NEXT) | instid1(VALU_DEP_1)
	v_cmp_ne_u32_e64 s0, 0x7f800000, v7
	s_and_saveexec_b32 s9, s0
	s_delay_alu instid0(SALU_CYCLE_1)
	s_xor_b32 s0, exec_lo, s9
; %bb.2378:                             ;   in Loop: Header=BB430_1187 Depth=1
	v_bfe_u32 v7, v6, 16, 1
	s_delay_alu instid0(VALU_DEP_1)
	v_add3_u32 v46, v6, v7, 0x7fff
                                        ; implicit-def: $vgpr6
; %bb.2379:                             ;   in Loop: Header=BB430_1187 Depth=1
	s_and_not1_saveexec_b32 s9, s0
; %bb.2380:                             ;   in Loop: Header=BB430_1187 Depth=1
	v_and_b32_e32 v7, 0xffff, v6
	v_or_b32_e32 v9, 0x10000, v6
	s_delay_alu instid0(VALU_DEP_2) | instskip(NEXT) | instid1(VALU_DEP_1)
	v_cmp_eq_u32_e64 s0, 0, v7
	v_cndmask_b32_e64 v46, v9, v6, s0
; %bb.2381:                             ;   in Loop: Header=BB430_1187 Depth=1
	s_or_b32 exec_lo, exec_lo, s9
	v_lshlrev_b32_e32 v3, 16, v3
                                        ; implicit-def: $vgpr47
	s_delay_alu instid0(VALU_DEP_1) | instskip(NEXT) | instid1(VALU_DEP_1)
	v_mul_f32_e32 v3, v85, v3
	v_and_b32_e32 v6, 0x7f800000, v3
	s_delay_alu instid0(VALU_DEP_1) | instskip(NEXT) | instid1(VALU_DEP_1)
	v_cmp_ne_u32_e64 s0, 0x7f800000, v6
	s_and_saveexec_b32 s9, s0
	s_delay_alu instid0(SALU_CYCLE_1)
	s_xor_b32 s0, exec_lo, s9
; %bb.2382:                             ;   in Loop: Header=BB430_1187 Depth=1
	v_bfe_u32 v6, v3, 16, 1
	s_delay_alu instid0(VALU_DEP_1)
	v_add3_u32 v47, v3, v6, 0x7fff
                                        ; implicit-def: $vgpr3
; %bb.2383:                             ;   in Loop: Header=BB430_1187 Depth=1
	s_and_not1_saveexec_b32 s9, s0
; %bb.2384:                             ;   in Loop: Header=BB430_1187 Depth=1
	v_and_b32_e32 v6, 0xffff, v3
	v_or_b32_e32 v7, 0x10000, v3
	s_delay_alu instid0(VALU_DEP_2) | instskip(NEXT) | instid1(VALU_DEP_1)
	v_cmp_eq_u32_e64 s0, 0, v6
	v_cndmask_b32_e64 v47, v7, v3, s0
; %bb.2385:                             ;   in Loop: Header=BB430_1187 Depth=1
	s_or_b32 exec_lo, exec_lo, s9
	v_lshlrev_b32_e32 v2, 16, v2
                                        ; implicit-def: $vgpr56
	s_delay_alu instid0(VALU_DEP_1) | instskip(NEXT) | instid1(VALU_DEP_1)
	v_mul_f32_e32 v2, v86, v2
	v_and_b32_e32 v3, 0x7f800000, v2
	s_delay_alu instid0(VALU_DEP_1) | instskip(NEXT) | instid1(VALU_DEP_1)
	v_cmp_ne_u32_e64 s0, 0x7f800000, v3
	s_and_saveexec_b32 s9, s0
	s_delay_alu instid0(SALU_CYCLE_1)
	s_xor_b32 s0, exec_lo, s9
; %bb.2386:                             ;   in Loop: Header=BB430_1187 Depth=1
	v_bfe_u32 v3, v2, 16, 1
	s_delay_alu instid0(VALU_DEP_1)
	v_add3_u32 v56, v2, v3, 0x7fff
                                        ; implicit-def: $vgpr2
; %bb.2387:                             ;   in Loop: Header=BB430_1187 Depth=1
	s_and_not1_saveexec_b32 s9, s0
; %bb.2388:                             ;   in Loop: Header=BB430_1187 Depth=1
	v_and_b32_e32 v3, 0xffff, v2
	v_or_b32_e32 v6, 0x10000, v2
	s_delay_alu instid0(VALU_DEP_2) | instskip(NEXT) | instid1(VALU_DEP_1)
	v_cmp_eq_u32_e64 s0, 0, v3
	v_cndmask_b32_e64 v56, v6, v2, s0
; %bb.2389:                             ;   in Loop: Header=BB430_1187 Depth=1
	s_or_b32 exec_lo, exec_lo, s9
	flat_load_b64 v[2:3], v[0:1] offset:2304
	s_mov_b32 s9, exec_lo
	s_waitcnt vmcnt(0) lgkmcnt(0)
	v_dual_mov_b32 v6, 0 :: v_dual_and_b32 v7, 0xff, v2
	s_delay_alu instid0(VALU_DEP_1)
	v_cmpx_ne_u16_e32 0, v7
	s_cbranch_execz .LBB430_2397
; %bb.2390:                             ;   in Loop: Header=BB430_1187 Depth=1
	v_bfrev_b32_e32 v6, 1
	s_mov_b32 s12, exec_lo
	v_cmpx_ne_u16_e32 0x80, v7
	s_cbranch_execz .LBB430_2396
; %bb.2391:                             ;   in Loop: Header=BB430_1187 Depth=1
	v_and_b32_e32 v7, 0x7f, v2
	v_mov_b32_e32 v6, 0x7f800001
	s_mov_b32 s13, exec_lo
	s_delay_alu instid0(VALU_DEP_2)
	v_cmpx_ne_u32_e32 0x7f, v7
	s_cbranch_execz .LBB430_2395
; %bb.2392:                             ;   in Loop: Header=BB430_1187 Depth=1
	v_lshrrev_b32_e32 v9, 3, v7
	v_cmp_gt_u32_e64 s0, 8, v7
	v_dual_mov_b32 v7, v3 :: v_dual_mov_b32 v6, v2
	s_delay_alu instid0(VALU_DEP_2)
	s_and_saveexec_b32 s15, s0
; %bb.2393:                             ;   in Loop: Header=BB430_1187 Depth=1
	v_and_b32_e32 v6, 7, v2
	s_delay_alu instid0(VALU_DEP_1) | instskip(NEXT) | instid1(VALU_DEP_1)
	v_clz_i32_u32_e32 v6, v6
	v_min_u32_e32 v9, 32, v6
	s_delay_alu instid0(VALU_DEP_1) | instskip(SKIP_1) | instid1(VALU_DEP_2)
	v_subrev_nc_u32_e32 v6, 28, v9
	v_sub_nc_u32_e32 v9, 29, v9
	v_lshlrev_b64 v[6:7], v6, v[2:3]
; %bb.2394:                             ;   in Loop: Header=BB430_1187 Depth=1
	s_or_b32 exec_lo, exec_lo, s15
	s_delay_alu instid0(VALU_DEP_1) | instskip(SKIP_2) | instid1(VALU_DEP_3)
	v_lshlrev_b32_e32 v6, 20, v6
	v_lshlrev_b32_e32 v7, 24, v2
	v_lshl_add_u32 v9, v9, 23, 0x3c000000
	v_and_b32_e32 v6, 0x700000, v6
	s_delay_alu instid0(VALU_DEP_3) | instskip(NEXT) | instid1(VALU_DEP_1)
	v_and_b32_e32 v7, 0x80000000, v7
	v_or3_b32 v6, v6, v7, v9
.LBB430_2395:                           ;   in Loop: Header=BB430_1187 Depth=1
	s_or_b32 exec_lo, exec_lo, s13
.LBB430_2396:                           ;   in Loop: Header=BB430_1187 Depth=1
	s_delay_alu instid0(SALU_CYCLE_1)
	s_or_b32 exec_lo, exec_lo, s12
.LBB430_2397:                           ;   in Loop: Header=BB430_1187 Depth=1
	s_delay_alu instid0(SALU_CYCLE_1) | instskip(NEXT) | instid1(VALU_DEP_1)
	s_or_b32 exec_lo, exec_lo, s9
	v_mul_f32_e32 v6, v26, v6
                                        ; implicit-def: $vgpr57
	s_delay_alu instid0(VALU_DEP_1) | instskip(NEXT) | instid1(VALU_DEP_1)
	v_and_b32_e32 v7, 0x7f800000, v6
	v_cmp_ne_u32_e64 s0, 0x7f800000, v7
	s_delay_alu instid0(VALU_DEP_1) | instskip(NEXT) | instid1(SALU_CYCLE_1)
	s_and_saveexec_b32 s9, s0
	s_xor_b32 s0, exec_lo, s9
; %bb.2398:                             ;   in Loop: Header=BB430_1187 Depth=1
	v_bfe_u32 v7, v6, 16, 1
	s_delay_alu instid0(VALU_DEP_1)
	v_add3_u32 v57, v6, v7, 0x7fff
                                        ; implicit-def: $vgpr6
; %bb.2399:                             ;   in Loop: Header=BB430_1187 Depth=1
	s_and_not1_saveexec_b32 s9, s0
; %bb.2400:                             ;   in Loop: Header=BB430_1187 Depth=1
	v_and_b32_e32 v7, 0xffff, v6
	v_or_b32_e32 v9, 0x10000, v6
	s_delay_alu instid0(VALU_DEP_2) | instskip(NEXT) | instid1(VALU_DEP_1)
	v_cmp_eq_u32_e64 s0, 0, v7
	v_cndmask_b32_e64 v57, v9, v6, s0
; %bb.2401:                             ;   in Loop: Header=BB430_1187 Depth=1
	s_or_b32 exec_lo, exec_lo, s9
	v_lshrrev_b16 v7, 8, v2
	v_mov_b32_e32 v6, 0
	s_mov_b32 s9, exec_lo
	s_delay_alu instid0(VALU_DEP_2)
	v_cmpx_ne_u16_e32 0, v7
	s_cbranch_execz .LBB430_2409
; %bb.2402:                             ;   in Loop: Header=BB430_1187 Depth=1
	v_bfrev_b32_e32 v6, 1
	s_mov_b32 s12, exec_lo
	v_cmpx_ne_u16_e32 0x80, v7
	s_cbranch_execz .LBB430_2408
; %bb.2403:                             ;   in Loop: Header=BB430_1187 Depth=1
	v_and_b32_e32 v9, 0xffff, v7
	v_mov_b32_e32 v6, 0x7f800001
	s_mov_b32 s13, exec_lo
	s_delay_alu instid0(VALU_DEP_2) | instskip(NEXT) | instid1(VALU_DEP_1)
	v_and_b32_e32 v7, 0x7f, v9
	v_cmpx_ne_u32_e32 0x7f, v7
	s_cbranch_execz .LBB430_2407
; %bb.2404:                             ;   in Loop: Header=BB430_1187 Depth=1
	v_and_b32_e32 v9, 7, v9
	v_lshrrev_b32_e32 v58, 3, v7
	v_cmp_gt_u32_e64 s0, 8, v7
	s_delay_alu instid0(VALU_DEP_3) | instskip(NEXT) | instid1(VALU_DEP_2)
	v_dual_mov_b32 v6, v9 :: v_dual_mov_b32 v7, v10
	s_and_saveexec_b32 s15, s0
; %bb.2405:                             ;   in Loop: Header=BB430_1187 Depth=1
	v_clz_i32_u32_e32 v6, v9
	s_delay_alu instid0(VALU_DEP_1) | instskip(NEXT) | instid1(VALU_DEP_1)
	v_min_u32_e32 v58, 32, v6
	v_subrev_nc_u32_e32 v6, 28, v58
	v_sub_nc_u32_e32 v58, 29, v58
	s_delay_alu instid0(VALU_DEP_2) | instskip(NEXT) | instid1(VALU_DEP_1)
	v_lshlrev_b64 v[6:7], v6, v[9:10]
	v_and_b32_e32 v6, 7, v6
; %bb.2406:                             ;   in Loop: Header=BB430_1187 Depth=1
	s_or_b32 exec_lo, exec_lo, s15
	v_lshlrev_b32_e32 v7, 16, v2
	s_delay_alu instid0(VALU_DEP_2) | instskip(SKIP_1) | instid1(VALU_DEP_3)
	v_lshlrev_b32_e32 v6, 20, v6
	v_lshl_add_u32 v9, v58, 23, 0x3c000000
	v_and_b32_e32 v7, 0x80000000, v7
	s_delay_alu instid0(VALU_DEP_1)
	v_or3_b32 v6, v6, v7, v9
.LBB430_2407:                           ;   in Loop: Header=BB430_1187 Depth=1
	s_or_b32 exec_lo, exec_lo, s13
.LBB430_2408:                           ;   in Loop: Header=BB430_1187 Depth=1
	s_delay_alu instid0(SALU_CYCLE_1)
	s_or_b32 exec_lo, exec_lo, s12
.LBB430_2409:                           ;   in Loop: Header=BB430_1187 Depth=1
	s_delay_alu instid0(SALU_CYCLE_1) | instskip(NEXT) | instid1(VALU_DEP_1)
	s_or_b32 exec_lo, exec_lo, s9
	v_mul_f32_e32 v6, v26, v6
                                        ; implicit-def: $vgpr58
	s_delay_alu instid0(VALU_DEP_1) | instskip(NEXT) | instid1(VALU_DEP_1)
	v_and_b32_e32 v7, 0x7f800000, v6
	v_cmp_ne_u32_e64 s0, 0x7f800000, v7
	s_delay_alu instid0(VALU_DEP_1) | instskip(NEXT) | instid1(SALU_CYCLE_1)
	s_and_saveexec_b32 s9, s0
	s_xor_b32 s0, exec_lo, s9
; %bb.2410:                             ;   in Loop: Header=BB430_1187 Depth=1
	v_bfe_u32 v7, v6, 16, 1
	s_delay_alu instid0(VALU_DEP_1)
	v_add3_u32 v58, v6, v7, 0x7fff
                                        ; implicit-def: $vgpr6
; %bb.2411:                             ;   in Loop: Header=BB430_1187 Depth=1
	s_and_not1_saveexec_b32 s9, s0
; %bb.2412:                             ;   in Loop: Header=BB430_1187 Depth=1
	v_and_b32_e32 v7, 0xffff, v6
	v_or_b32_e32 v9, 0x10000, v6
	s_delay_alu instid0(VALU_DEP_2) | instskip(NEXT) | instid1(VALU_DEP_1)
	v_cmp_eq_u32_e64 s0, 0, v7
	v_cndmask_b32_e64 v58, v9, v6, s0
; %bb.2413:                             ;   in Loop: Header=BB430_1187 Depth=1
	s_or_b32 exec_lo, exec_lo, s9
	v_lshrrev_b32_e32 v59, 16, v2
	s_mov_b32 s9, exec_lo
	s_delay_alu instid0(VALU_DEP_1) | instskip(NEXT) | instid1(VALU_DEP_1)
	v_dual_mov_b32 v6, 0 :: v_dual_and_b32 v7, 0xff, v59
	v_cmpx_ne_u16_e32 0, v7
	s_cbranch_execz .LBB430_2421
; %bb.2414:                             ;   in Loop: Header=BB430_1187 Depth=1
	v_bfrev_b32_e32 v6, 1
	s_mov_b32 s12, exec_lo
	v_cmpx_ne_u16_e32 0x80, v7
	s_cbranch_execz .LBB430_2420
; %bb.2415:                             ;   in Loop: Header=BB430_1187 Depth=1
	v_bfe_u32 v7, v2, 16, 7
	v_mov_b32_e32 v6, 0x7f800001
	s_mov_b32 s13, exec_lo
	s_delay_alu instid0(VALU_DEP_2)
	v_cmpx_ne_u32_e32 0x7f, v7
	s_cbranch_execz .LBB430_2419
; %bb.2416:                             ;   in Loop: Header=BB430_1187 Depth=1
	v_and_b32_e32 v9, 7, v59
	v_lshrrev_b32_e32 v60, 3, v7
	v_cmp_gt_u32_e64 s0, 8, v7
	s_delay_alu instid0(VALU_DEP_3) | instskip(NEXT) | instid1(VALU_DEP_2)
	v_dual_mov_b32 v6, v9 :: v_dual_mov_b32 v7, v10
	s_and_saveexec_b32 s15, s0
; %bb.2417:                             ;   in Loop: Header=BB430_1187 Depth=1
	v_clz_i32_u32_e32 v6, v9
	s_delay_alu instid0(VALU_DEP_1) | instskip(NEXT) | instid1(VALU_DEP_1)
	v_min_u32_e32 v60, 32, v6
	v_subrev_nc_u32_e32 v6, 28, v60
	v_sub_nc_u32_e32 v60, 29, v60
	s_delay_alu instid0(VALU_DEP_2) | instskip(NEXT) | instid1(VALU_DEP_1)
	v_lshlrev_b64 v[6:7], v6, v[9:10]
	v_and_b32_e32 v6, 7, v6
; %bb.2418:                             ;   in Loop: Header=BB430_1187 Depth=1
	s_or_b32 exec_lo, exec_lo, s15
	v_lshlrev_b32_e32 v7, 24, v59
	s_delay_alu instid0(VALU_DEP_2) | instskip(SKIP_1) | instid1(VALU_DEP_3)
	v_lshlrev_b32_e32 v6, 20, v6
	v_lshl_add_u32 v9, v60, 23, 0x3c000000
	v_and_b32_e32 v7, 0x80000000, v7
	s_delay_alu instid0(VALU_DEP_1)
	v_or3_b32 v6, v6, v7, v9
.LBB430_2419:                           ;   in Loop: Header=BB430_1187 Depth=1
	s_or_b32 exec_lo, exec_lo, s13
.LBB430_2420:                           ;   in Loop: Header=BB430_1187 Depth=1
	s_delay_alu instid0(SALU_CYCLE_1)
	s_or_b32 exec_lo, exec_lo, s12
.LBB430_2421:                           ;   in Loop: Header=BB430_1187 Depth=1
	s_delay_alu instid0(SALU_CYCLE_1) | instskip(NEXT) | instid1(VALU_DEP_1)
	s_or_b32 exec_lo, exec_lo, s9
	v_mul_f32_e32 v6, v26, v6
                                        ; implicit-def: $vgpr59
	s_delay_alu instid0(VALU_DEP_1) | instskip(NEXT) | instid1(VALU_DEP_1)
	v_and_b32_e32 v7, 0x7f800000, v6
	v_cmp_ne_u32_e64 s0, 0x7f800000, v7
	s_delay_alu instid0(VALU_DEP_1) | instskip(NEXT) | instid1(SALU_CYCLE_1)
	s_and_saveexec_b32 s9, s0
	s_xor_b32 s0, exec_lo, s9
; %bb.2422:                             ;   in Loop: Header=BB430_1187 Depth=1
	v_bfe_u32 v7, v6, 16, 1
	s_delay_alu instid0(VALU_DEP_1)
	v_add3_u32 v59, v6, v7, 0x7fff
                                        ; implicit-def: $vgpr6
; %bb.2423:                             ;   in Loop: Header=BB430_1187 Depth=1
	s_and_not1_saveexec_b32 s9, s0
; %bb.2424:                             ;   in Loop: Header=BB430_1187 Depth=1
	v_and_b32_e32 v7, 0xffff, v6
	v_or_b32_e32 v9, 0x10000, v6
	s_delay_alu instid0(VALU_DEP_2) | instskip(NEXT) | instid1(VALU_DEP_1)
	v_cmp_eq_u32_e64 s0, 0, v7
	v_cndmask_b32_e64 v59, v9, v6, s0
; %bb.2425:                             ;   in Loop: Header=BB430_1187 Depth=1
	s_or_b32 exec_lo, exec_lo, s9
	v_mov_b32_e32 v6, 0
	s_mov_b32 s9, exec_lo
	v_cmpx_lt_u32_e32 0xffffff, v2
	s_cbranch_execz .LBB430_2433
; %bb.2426:                             ;   in Loop: Header=BB430_1187 Depth=1
	v_lshrrev_b32_e32 v60, 24, v2
	v_bfrev_b32_e32 v6, 1
	s_mov_b32 s12, exec_lo
	s_delay_alu instid0(VALU_DEP_2)
	v_cmpx_ne_u32_e32 0x80, v60
	s_cbranch_execz .LBB430_2432
; %bb.2427:                             ;   in Loop: Header=BB430_1187 Depth=1
	v_bfe_u32 v7, v2, 24, 7
	v_mov_b32_e32 v6, 0x7f800001
	s_mov_b32 s13, exec_lo
	s_delay_alu instid0(VALU_DEP_2)
	v_cmpx_ne_u32_e32 0x7f, v7
	s_cbranch_execz .LBB430_2431
; %bb.2428:                             ;   in Loop: Header=BB430_1187 Depth=1
	v_and_b32_e32 v9, 7, v60
	v_lshrrev_b32_e32 v61, 3, v7
	v_cmp_gt_u32_e64 s0, 8, v7
	s_delay_alu instid0(VALU_DEP_3) | instskip(NEXT) | instid1(VALU_DEP_2)
	v_dual_mov_b32 v6, v9 :: v_dual_mov_b32 v7, v10
	s_and_saveexec_b32 s15, s0
; %bb.2429:                             ;   in Loop: Header=BB430_1187 Depth=1
	v_clz_i32_u32_e32 v6, v9
	s_delay_alu instid0(VALU_DEP_1) | instskip(NEXT) | instid1(VALU_DEP_1)
	v_min_u32_e32 v61, 32, v6
	v_subrev_nc_u32_e32 v6, 28, v61
	v_sub_nc_u32_e32 v61, 29, v61
	s_delay_alu instid0(VALU_DEP_2) | instskip(NEXT) | instid1(VALU_DEP_1)
	v_lshlrev_b64 v[6:7], v6, v[9:10]
	v_and_b32_e32 v6, 7, v6
; %bb.2430:                             ;   in Loop: Header=BB430_1187 Depth=1
	s_or_b32 exec_lo, exec_lo, s15
	v_lshlrev_b32_e32 v7, 24, v60
	s_delay_alu instid0(VALU_DEP_2) | instskip(SKIP_1) | instid1(VALU_DEP_3)
	v_lshlrev_b32_e32 v6, 20, v6
	v_lshl_add_u32 v9, v61, 23, 0x3c000000
	v_and_b32_e32 v7, 0x80000000, v7
	s_delay_alu instid0(VALU_DEP_1)
	v_or3_b32 v6, v6, v7, v9
.LBB430_2431:                           ;   in Loop: Header=BB430_1187 Depth=1
	s_or_b32 exec_lo, exec_lo, s13
.LBB430_2432:                           ;   in Loop: Header=BB430_1187 Depth=1
	s_delay_alu instid0(SALU_CYCLE_1)
	s_or_b32 exec_lo, exec_lo, s12
.LBB430_2433:                           ;   in Loop: Header=BB430_1187 Depth=1
	s_delay_alu instid0(SALU_CYCLE_1) | instskip(NEXT) | instid1(VALU_DEP_1)
	s_or_b32 exec_lo, exec_lo, s9
	v_mul_f32_e32 v6, v26, v6
                                        ; implicit-def: $vgpr60
	s_delay_alu instid0(VALU_DEP_1) | instskip(NEXT) | instid1(VALU_DEP_1)
	v_and_b32_e32 v7, 0x7f800000, v6
	v_cmp_ne_u32_e64 s0, 0x7f800000, v7
	s_delay_alu instid0(VALU_DEP_1) | instskip(NEXT) | instid1(SALU_CYCLE_1)
	s_and_saveexec_b32 s9, s0
	s_xor_b32 s0, exec_lo, s9
; %bb.2434:                             ;   in Loop: Header=BB430_1187 Depth=1
	v_bfe_u32 v7, v6, 16, 1
	s_delay_alu instid0(VALU_DEP_1)
	v_add3_u32 v60, v6, v7, 0x7fff
                                        ; implicit-def: $vgpr6
; %bb.2435:                             ;   in Loop: Header=BB430_1187 Depth=1
	s_and_not1_saveexec_b32 s9, s0
; %bb.2436:                             ;   in Loop: Header=BB430_1187 Depth=1
	v_and_b32_e32 v7, 0xffff, v6
	v_or_b32_e32 v9, 0x10000, v6
	s_delay_alu instid0(VALU_DEP_2) | instskip(NEXT) | instid1(VALU_DEP_1)
	v_cmp_eq_u32_e64 s0, 0, v7
	v_cndmask_b32_e64 v60, v9, v6, s0
; %bb.2437:                             ;   in Loop: Header=BB430_1187 Depth=1
	s_or_b32 exec_lo, exec_lo, s9
	v_dual_mov_b32 v6, 0 :: v_dual_and_b32 v7, 0xff, v3
	v_mov_b32_e32 v9, v3
	s_mov_b32 s9, exec_lo
	s_delay_alu instid0(VALU_DEP_2)
	v_cmpx_ne_u16_e32 0, v7
	s_cbranch_execz .LBB430_2445
; %bb.2438:                             ;   in Loop: Header=BB430_1187 Depth=1
	v_bfrev_b32_e32 v6, 1
	s_mov_b32 s12, exec_lo
	v_cmpx_ne_u16_e32 0x80, v7
	s_cbranch_execz .LBB430_2444
; %bb.2439:                             ;   in Loop: Header=BB430_1187 Depth=1
	v_and_b32_e32 v7, 0x7f, v3
	v_mov_b32_e32 v6, 0x7f800001
	s_mov_b32 s13, exec_lo
	s_delay_alu instid0(VALU_DEP_2)
	v_cmpx_ne_u32_e32 0x7f, v7
	s_cbranch_execz .LBB430_2443
; %bb.2440:                             ;   in Loop: Header=BB430_1187 Depth=1
	v_lshrrev_b32_e32 v61, 3, v7
	v_cmp_gt_u32_e64 s0, 8, v7
	v_dual_mov_b32 v6, v9 :: v_dual_mov_b32 v7, v10
	s_delay_alu instid0(VALU_DEP_2)
	s_and_saveexec_b32 s15, s0
; %bb.2441:                             ;   in Loop: Header=BB430_1187 Depth=1
	v_and_b32_e32 v6, 7, v3
	s_delay_alu instid0(VALU_DEP_1) | instskip(NEXT) | instid1(VALU_DEP_1)
	v_clz_i32_u32_e32 v6, v6
	v_min_u32_e32 v61, 32, v6
	s_delay_alu instid0(VALU_DEP_1) | instskip(SKIP_1) | instid1(VALU_DEP_2)
	v_subrev_nc_u32_e32 v6, 28, v61
	v_sub_nc_u32_e32 v61, 29, v61
	v_lshlrev_b64 v[6:7], v6, v[9:10]
; %bb.2442:                             ;   in Loop: Header=BB430_1187 Depth=1
	s_or_b32 exec_lo, exec_lo, s15
	s_delay_alu instid0(VALU_DEP_1) | instskip(SKIP_2) | instid1(VALU_DEP_3)
	v_lshlrev_b32_e32 v6, 20, v6
	v_lshlrev_b32_e32 v7, 24, v9
	v_lshl_add_u32 v61, v61, 23, 0x3c000000
	v_and_b32_e32 v6, 0x700000, v6
	s_delay_alu instid0(VALU_DEP_3) | instskip(NEXT) | instid1(VALU_DEP_1)
	v_and_b32_e32 v7, 0x80000000, v7
	v_or3_b32 v6, v6, v7, v61
.LBB430_2443:                           ;   in Loop: Header=BB430_1187 Depth=1
	s_or_b32 exec_lo, exec_lo, s13
.LBB430_2444:                           ;   in Loop: Header=BB430_1187 Depth=1
	s_delay_alu instid0(SALU_CYCLE_1)
	s_or_b32 exec_lo, exec_lo, s12
.LBB430_2445:                           ;   in Loop: Header=BB430_1187 Depth=1
	s_delay_alu instid0(SALU_CYCLE_1) | instskip(NEXT) | instid1(VALU_DEP_1)
	s_or_b32 exec_lo, exec_lo, s9
	v_mul_f32_e32 v6, v26, v6
                                        ; implicit-def: $vgpr61
	s_delay_alu instid0(VALU_DEP_1) | instskip(NEXT) | instid1(VALU_DEP_1)
	v_and_b32_e32 v7, 0x7f800000, v6
	v_cmp_ne_u32_e64 s0, 0x7f800000, v7
	s_delay_alu instid0(VALU_DEP_1) | instskip(NEXT) | instid1(SALU_CYCLE_1)
	s_and_saveexec_b32 s9, s0
	s_xor_b32 s0, exec_lo, s9
; %bb.2446:                             ;   in Loop: Header=BB430_1187 Depth=1
	v_bfe_u32 v7, v6, 16, 1
	s_delay_alu instid0(VALU_DEP_1)
	v_add3_u32 v61, v6, v7, 0x7fff
                                        ; implicit-def: $vgpr6
; %bb.2447:                             ;   in Loop: Header=BB430_1187 Depth=1
	s_and_not1_saveexec_b32 s9, s0
; %bb.2448:                             ;   in Loop: Header=BB430_1187 Depth=1
	v_and_b32_e32 v7, 0xffff, v6
	v_or_b32_e32 v61, 0x10000, v6
	s_delay_alu instid0(VALU_DEP_2) | instskip(NEXT) | instid1(VALU_DEP_1)
	v_cmp_eq_u32_e64 s0, 0, v7
	v_cndmask_b32_e64 v61, v61, v6, s0
; %bb.2449:                             ;   in Loop: Header=BB430_1187 Depth=1
	s_or_b32 exec_lo, exec_lo, s9
	v_lshrrev_b16 v7, 8, v9
	v_mov_b32_e32 v6, 0
	s_mov_b32 s9, exec_lo
	s_delay_alu instid0(VALU_DEP_2)
	v_cmpx_ne_u16_e32 0, v7
	s_cbranch_execz .LBB430_2457
; %bb.2450:                             ;   in Loop: Header=BB430_1187 Depth=1
	v_bfrev_b32_e32 v6, 1
	s_mov_b32 s12, exec_lo
	v_cmpx_ne_u16_e32 0x80, v7
	s_cbranch_execz .LBB430_2456
; %bb.2451:                             ;   in Loop: Header=BB430_1187 Depth=1
	v_and_b32_e32 v7, 0xffff, v7
	v_mov_b32_e32 v6, 0x7f800001
	s_mov_b32 s13, exec_lo
	s_delay_alu instid0(VALU_DEP_2) | instskip(NEXT) | instid1(VALU_DEP_1)
	v_and_b32_e32 v63, 0x7f, v7
	v_cmpx_ne_u32_e32 0x7f, v63
	s_cbranch_execz .LBB430_2455
; %bb.2452:                             ;   in Loop: Header=BB430_1187 Depth=1
	v_dual_mov_b32 v7, v10 :: v_dual_and_b32 v6, 7, v7
	v_lshrrev_b32_e32 v62, 3, v63
	s_mov_b32 s15, exec_lo
	v_cmpx_gt_u32_e32 8, v63
; %bb.2453:                             ;   in Loop: Header=BB430_1187 Depth=1
	s_delay_alu instid0(VALU_DEP_3) | instskip(NEXT) | instid1(VALU_DEP_1)
	v_clz_i32_u32_e32 v62, v6
	v_min_u32_e32 v62, 32, v62
	s_delay_alu instid0(VALU_DEP_1) | instskip(SKIP_1) | instid1(VALU_DEP_2)
	v_subrev_nc_u32_e32 v63, 28, v62
	v_sub_nc_u32_e32 v62, 29, v62
	v_lshlrev_b64 v[6:7], v63, v[6:7]
	s_delay_alu instid0(VALU_DEP_1)
	v_and_b32_e32 v6, 7, v6
; %bb.2454:                             ;   in Loop: Header=BB430_1187 Depth=1
	s_or_b32 exec_lo, exec_lo, s15
	v_lshlrev_b32_e32 v7, 16, v9
	s_delay_alu instid0(VALU_DEP_2) | instskip(SKIP_1) | instid1(VALU_DEP_3)
	v_lshlrev_b32_e32 v6, 20, v6
	v_lshl_add_u32 v9, v62, 23, 0x3c000000
	v_and_b32_e32 v7, 0x80000000, v7
	s_delay_alu instid0(VALU_DEP_1)
	v_or3_b32 v6, v6, v7, v9
.LBB430_2455:                           ;   in Loop: Header=BB430_1187 Depth=1
	s_or_b32 exec_lo, exec_lo, s13
.LBB430_2456:                           ;   in Loop: Header=BB430_1187 Depth=1
	s_delay_alu instid0(SALU_CYCLE_1)
	s_or_b32 exec_lo, exec_lo, s12
.LBB430_2457:                           ;   in Loop: Header=BB430_1187 Depth=1
	s_delay_alu instid0(SALU_CYCLE_1) | instskip(NEXT) | instid1(VALU_DEP_1)
	s_or_b32 exec_lo, exec_lo, s9
	v_mul_f32_e32 v6, v26, v6
                                        ; implicit-def: $vgpr62
	s_delay_alu instid0(VALU_DEP_1) | instskip(NEXT) | instid1(VALU_DEP_1)
	v_and_b32_e32 v7, 0x7f800000, v6
	v_cmp_ne_u32_e64 s0, 0x7f800000, v7
	s_delay_alu instid0(VALU_DEP_1) | instskip(NEXT) | instid1(SALU_CYCLE_1)
	s_and_saveexec_b32 s9, s0
	s_xor_b32 s0, exec_lo, s9
; %bb.2458:                             ;   in Loop: Header=BB430_1187 Depth=1
	v_bfe_u32 v7, v6, 16, 1
	s_delay_alu instid0(VALU_DEP_1)
	v_add3_u32 v62, v6, v7, 0x7fff
                                        ; implicit-def: $vgpr6
; %bb.2459:                             ;   in Loop: Header=BB430_1187 Depth=1
	s_and_not1_saveexec_b32 s9, s0
; %bb.2460:                             ;   in Loop: Header=BB430_1187 Depth=1
	v_and_b32_e32 v7, 0xffff, v6
	v_or_b32_e32 v9, 0x10000, v6
	s_delay_alu instid0(VALU_DEP_2) | instskip(NEXT) | instid1(VALU_DEP_1)
	v_cmp_eq_u32_e64 s0, 0, v7
	v_cndmask_b32_e64 v62, v9, v6, s0
; %bb.2461:                             ;   in Loop: Header=BB430_1187 Depth=1
	s_or_b32 exec_lo, exec_lo, s9
	v_lshrrev_b32_e32 v63, 16, v3
	s_mov_b32 s9, exec_lo
	s_delay_alu instid0(VALU_DEP_1) | instskip(NEXT) | instid1(VALU_DEP_1)
	v_dual_mov_b32 v6, 0 :: v_dual_and_b32 v7, 0xff, v63
	v_cmpx_ne_u16_e32 0, v7
	s_cbranch_execz .LBB430_2469
; %bb.2462:                             ;   in Loop: Header=BB430_1187 Depth=1
	v_bfrev_b32_e32 v6, 1
	s_mov_b32 s12, exec_lo
	v_cmpx_ne_u16_e32 0x80, v7
	s_cbranch_execz .LBB430_2468
; %bb.2463:                             ;   in Loop: Header=BB430_1187 Depth=1
	v_bfe_u32 v7, v3, 16, 7
	v_mov_b32_e32 v6, 0x7f800001
	s_mov_b32 s13, exec_lo
	s_delay_alu instid0(VALU_DEP_2)
	v_cmpx_ne_u32_e32 0x7f, v7
	s_cbranch_execz .LBB430_2467
; %bb.2464:                             ;   in Loop: Header=BB430_1187 Depth=1
	v_and_b32_e32 v9, 7, v63
	v_lshrrev_b32_e32 v72, 3, v7
	v_cmp_gt_u32_e64 s0, 8, v7
	s_delay_alu instid0(VALU_DEP_3) | instskip(NEXT) | instid1(VALU_DEP_2)
	v_dual_mov_b32 v6, v9 :: v_dual_mov_b32 v7, v10
	s_and_saveexec_b32 s15, s0
; %bb.2465:                             ;   in Loop: Header=BB430_1187 Depth=1
	v_clz_i32_u32_e32 v6, v9
	s_delay_alu instid0(VALU_DEP_1) | instskip(NEXT) | instid1(VALU_DEP_1)
	v_min_u32_e32 v72, 32, v6
	v_subrev_nc_u32_e32 v6, 28, v72
	v_sub_nc_u32_e32 v72, 29, v72
	s_delay_alu instid0(VALU_DEP_2) | instskip(NEXT) | instid1(VALU_DEP_1)
	v_lshlrev_b64 v[6:7], v6, v[9:10]
	v_and_b32_e32 v6, 7, v6
; %bb.2466:                             ;   in Loop: Header=BB430_1187 Depth=1
	s_or_b32 exec_lo, exec_lo, s15
	v_lshlrev_b32_e32 v7, 24, v63
	s_delay_alu instid0(VALU_DEP_2) | instskip(SKIP_1) | instid1(VALU_DEP_3)
	v_lshlrev_b32_e32 v6, 20, v6
	v_lshl_add_u32 v9, v72, 23, 0x3c000000
	v_and_b32_e32 v7, 0x80000000, v7
	s_delay_alu instid0(VALU_DEP_1)
	v_or3_b32 v6, v6, v7, v9
.LBB430_2467:                           ;   in Loop: Header=BB430_1187 Depth=1
	s_or_b32 exec_lo, exec_lo, s13
.LBB430_2468:                           ;   in Loop: Header=BB430_1187 Depth=1
	s_delay_alu instid0(SALU_CYCLE_1)
	s_or_b32 exec_lo, exec_lo, s12
.LBB430_2469:                           ;   in Loop: Header=BB430_1187 Depth=1
	s_delay_alu instid0(SALU_CYCLE_1) | instskip(NEXT) | instid1(VALU_DEP_1)
	s_or_b32 exec_lo, exec_lo, s9
	v_mul_f32_e32 v6, v26, v6
                                        ; implicit-def: $vgpr63
	s_delay_alu instid0(VALU_DEP_1) | instskip(NEXT) | instid1(VALU_DEP_1)
	v_and_b32_e32 v7, 0x7f800000, v6
	v_cmp_ne_u32_e64 s0, 0x7f800000, v7
	s_delay_alu instid0(VALU_DEP_1) | instskip(NEXT) | instid1(SALU_CYCLE_1)
	s_and_saveexec_b32 s9, s0
	s_xor_b32 s0, exec_lo, s9
; %bb.2470:                             ;   in Loop: Header=BB430_1187 Depth=1
	v_bfe_u32 v7, v6, 16, 1
	s_delay_alu instid0(VALU_DEP_1)
	v_add3_u32 v63, v6, v7, 0x7fff
                                        ; implicit-def: $vgpr6
; %bb.2471:                             ;   in Loop: Header=BB430_1187 Depth=1
	s_and_not1_saveexec_b32 s9, s0
; %bb.2472:                             ;   in Loop: Header=BB430_1187 Depth=1
	v_and_b32_e32 v7, 0xffff, v6
	v_or_b32_e32 v9, 0x10000, v6
	s_delay_alu instid0(VALU_DEP_2) | instskip(NEXT) | instid1(VALU_DEP_1)
	v_cmp_eq_u32_e64 s0, 0, v7
	v_cndmask_b32_e64 v63, v9, v6, s0
; %bb.2473:                             ;   in Loop: Header=BB430_1187 Depth=1
	s_or_b32 exec_lo, exec_lo, s9
	v_cmp_lt_u64_e64 s0, s[2:3], v[2:3]
	v_mov_b32_e32 v2, 0
	s_delay_alu instid0(VALU_DEP_2)
	s_and_saveexec_b32 s9, s0
	s_cbranch_execz .LBB430_2481
; %bb.2474:                             ;   in Loop: Header=BB430_1187 Depth=1
	v_lshrrev_b32_e32 v6, 24, v3
	v_bfrev_b32_e32 v2, 1
	s_mov_b32 s12, exec_lo
	s_delay_alu instid0(VALU_DEP_2)
	v_cmpx_ne_u32_e32 0x80, v6
	s_cbranch_execz .LBB430_2480
; %bb.2475:                             ;   in Loop: Header=BB430_1187 Depth=1
	v_bfe_u32 v3, v3, 24, 7
	v_mov_b32_e32 v2, 0x7f800001
	s_mov_b32 s13, exec_lo
	s_delay_alu instid0(VALU_DEP_2)
	v_cmpx_ne_u32_e32 0x7f, v3
	s_cbranch_execz .LBB430_2479
; %bb.2476:                             ;   in Loop: Header=BB430_1187 Depth=1
	v_and_b32_e32 v9, 7, v6
	v_lshrrev_b32_e32 v7, 3, v3
	v_cmp_gt_u32_e64 s0, 8, v3
	s_delay_alu instid0(VALU_DEP_3) | instskip(NEXT) | instid1(VALU_DEP_2)
	v_dual_mov_b32 v2, v9 :: v_dual_mov_b32 v3, v10
	s_and_saveexec_b32 s15, s0
; %bb.2477:                             ;   in Loop: Header=BB430_1187 Depth=1
	v_clz_i32_u32_e32 v2, v9
	s_delay_alu instid0(VALU_DEP_1) | instskip(NEXT) | instid1(VALU_DEP_1)
	v_min_u32_e32 v7, 32, v2
	v_subrev_nc_u32_e32 v2, 28, v7
	v_sub_nc_u32_e32 v7, 29, v7
	s_delay_alu instid0(VALU_DEP_2) | instskip(NEXT) | instid1(VALU_DEP_1)
	v_lshlrev_b64 v[2:3], v2, v[9:10]
	v_and_b32_e32 v2, 7, v2
; %bb.2478:                             ;   in Loop: Header=BB430_1187 Depth=1
	s_or_b32 exec_lo, exec_lo, s15
	v_lshlrev_b32_e32 v3, 24, v6
	s_delay_alu instid0(VALU_DEP_2) | instskip(SKIP_1) | instid1(VALU_DEP_3)
	v_lshlrev_b32_e32 v2, 20, v2
	v_lshl_add_u32 v6, v7, 23, 0x3c000000
	v_and_b32_e32 v3, 0x80000000, v3
	s_delay_alu instid0(VALU_DEP_1)
	v_or3_b32 v2, v2, v3, v6
.LBB430_2479:                           ;   in Loop: Header=BB430_1187 Depth=1
	s_or_b32 exec_lo, exec_lo, s13
.LBB430_2480:                           ;   in Loop: Header=BB430_1187 Depth=1
	s_delay_alu instid0(SALU_CYCLE_1)
	s_or_b32 exec_lo, exec_lo, s12
.LBB430_2481:                           ;   in Loop: Header=BB430_1187 Depth=1
	s_delay_alu instid0(SALU_CYCLE_1) | instskip(NEXT) | instid1(VALU_DEP_1)
	s_or_b32 exec_lo, exec_lo, s9
	v_mul_f32_e32 v3, v26, v2
	s_delay_alu instid0(VALU_DEP_1) | instskip(NEXT) | instid1(VALU_DEP_1)
	v_and_b32_e32 v2, 0x7f800000, v3
	v_cmp_ne_u32_e64 s0, 0x7f800000, v2
                                        ; implicit-def: $vgpr2
	s_delay_alu instid0(VALU_DEP_1) | instskip(NEXT) | instid1(SALU_CYCLE_1)
	s_and_saveexec_b32 s9, s0
	s_xor_b32 s0, exec_lo, s9
; %bb.2482:                             ;   in Loop: Header=BB430_1187 Depth=1
	v_bfe_u32 v2, v3, 16, 1
	s_delay_alu instid0(VALU_DEP_1)
	v_add3_u32 v2, v3, v2, 0x7fff
                                        ; implicit-def: $vgpr3
; %bb.2483:                             ;   in Loop: Header=BB430_1187 Depth=1
	s_and_not1_saveexec_b32 s9, s0
; %bb.2484:                             ;   in Loop: Header=BB430_1187 Depth=1
	v_and_b32_e32 v2, 0xffff, v3
	v_or_b32_e32 v6, 0x10000, v3
	s_delay_alu instid0(VALU_DEP_2) | instskip(NEXT) | instid1(VALU_DEP_1)
	v_cmp_eq_u32_e64 s0, 0, v2
	v_cndmask_b32_e64 v2, v6, v3, s0
; %bb.2485:                             ;   in Loop: Header=BB430_1187 Depth=1
	s_or_b32 exec_lo, exec_lo, s9
	v_lshrrev_b32_e32 v6, 16, v62
	v_lshrrev_b32_e32 v7, 16, v61
	;; [unrolled: 1-line block ×8, first 2 shown]
	s_and_saveexec_b32 s9, vcc_lo
	s_cbranch_execz .LBB430_2487
; %bb.2486:                             ;   in Loop: Header=BB430_1187 Depth=1
	v_cmp_lt_i32_e64 s0, v64, v35
	s_delay_alu instid0(VALU_DEP_1) | instskip(SKIP_1) | instid1(VALU_DEP_1)
	v_cndmask_b32_e64 v57, 0, v57, s0
	v_cmp_lt_i32_e64 s0, v70, v35
	v_cndmask_b32_e64 v58, 0, v58, s0
	v_cmp_lt_i32_e64 s0, v69, v35
	s_delay_alu instid0(VALU_DEP_1) | instskip(SKIP_1) | instid1(VALU_DEP_1)
	v_cndmask_b32_e64 v59, 0, v59, s0
	v_cmp_lt_i32_e64 s0, v68, v35
	v_cndmask_b32_e64 v9, 0, v9, s0
	;; [unrolled: 5-line block ×4, first 2 shown]
.LBB430_2487:                           ;   in Loop: Header=BB430_1187 Depth=1
	s_or_b32 exec_lo, exec_lo, s9
	v_lshlrev_b32_e32 v57, 16, v57
	s_delay_alu instid0(VALU_DEP_1) | instskip(NEXT) | instid1(VALU_DEP_1)
	v_mul_f32_e32 v60, v71, v57
	v_and_b32_e32 v57, 0x7f800000, v60
	s_delay_alu instid0(VALU_DEP_1) | instskip(NEXT) | instid1(VALU_DEP_1)
	v_cmp_ne_u32_e64 s0, 0x7f800000, v57
                                        ; implicit-def: $vgpr57
	s_and_saveexec_b32 s9, s0
	s_delay_alu instid0(SALU_CYCLE_1)
	s_xor_b32 s0, exec_lo, s9
; %bb.2488:                             ;   in Loop: Header=BB430_1187 Depth=1
	v_bfe_u32 v57, v60, 16, 1
	s_delay_alu instid0(VALU_DEP_1)
	v_add3_u32 v57, v60, v57, 0x7fff
                                        ; implicit-def: $vgpr60
; %bb.2489:                             ;   in Loop: Header=BB430_1187 Depth=1
	s_and_not1_saveexec_b32 s9, s0
; %bb.2490:                             ;   in Loop: Header=BB430_1187 Depth=1
	v_and_b32_e32 v57, 0xffff, v60
	v_or_b32_e32 v61, 0x10000, v60
	s_delay_alu instid0(VALU_DEP_2) | instskip(NEXT) | instid1(VALU_DEP_1)
	v_cmp_eq_u32_e64 s0, 0, v57
	v_cndmask_b32_e64 v57, v61, v60, s0
; %bb.2491:                             ;   in Loop: Header=BB430_1187 Depth=1
	s_or_b32 exec_lo, exec_lo, s9
	v_lshlrev_b32_e32 v58, 16, v58
	s_delay_alu instid0(VALU_DEP_1) | instskip(NEXT) | instid1(VALU_DEP_1)
	v_mul_f32_e32 v60, v80, v58
	v_and_b32_e32 v58, 0x7f800000, v60
	s_delay_alu instid0(VALU_DEP_1) | instskip(NEXT) | instid1(VALU_DEP_1)
	v_cmp_ne_u32_e64 s0, 0x7f800000, v58
                                        ; implicit-def: $vgpr58
	s_and_saveexec_b32 s9, s0
	s_delay_alu instid0(SALU_CYCLE_1)
	s_xor_b32 s0, exec_lo, s9
; %bb.2492:                             ;   in Loop: Header=BB430_1187 Depth=1
	v_bfe_u32 v58, v60, 16, 1
	s_delay_alu instid0(VALU_DEP_1)
	v_add3_u32 v58, v60, v58, 0x7fff
                                        ; implicit-def: $vgpr60
; %bb.2493:                             ;   in Loop: Header=BB430_1187 Depth=1
	s_and_not1_saveexec_b32 s9, s0
; %bb.2494:                             ;   in Loop: Header=BB430_1187 Depth=1
	v_and_b32_e32 v58, 0xffff, v60
	v_or_b32_e32 v61, 0x10000, v60
	s_delay_alu instid0(VALU_DEP_2) | instskip(NEXT) | instid1(VALU_DEP_1)
	v_cmp_eq_u32_e64 s0, 0, v58
	v_cndmask_b32_e64 v58, v61, v60, s0
; %bb.2495:                             ;   in Loop: Header=BB430_1187 Depth=1
	s_or_b32 exec_lo, exec_lo, s9
	v_lshlrev_b32_e32 v59, 16, v59
	s_delay_alu instid0(VALU_DEP_1) | instskip(NEXT) | instid1(VALU_DEP_1)
	v_mul_f32_e32 v60, v81, v59
	v_and_b32_e32 v59, 0x7f800000, v60
	s_delay_alu instid0(VALU_DEP_1) | instskip(NEXT) | instid1(VALU_DEP_1)
	v_cmp_ne_u32_e64 s0, 0x7f800000, v59
                                        ; implicit-def: $vgpr59
	s_and_saveexec_b32 s9, s0
	s_delay_alu instid0(SALU_CYCLE_1)
	s_xor_b32 s0, exec_lo, s9
; %bb.2496:                             ;   in Loop: Header=BB430_1187 Depth=1
	v_bfe_u32 v59, v60, 16, 1
	s_delay_alu instid0(VALU_DEP_1)
	v_add3_u32 v59, v60, v59, 0x7fff
                                        ; implicit-def: $vgpr60
; %bb.2497:                             ;   in Loop: Header=BB430_1187 Depth=1
	s_and_not1_saveexec_b32 s9, s0
; %bb.2498:                             ;   in Loop: Header=BB430_1187 Depth=1
	v_and_b32_e32 v59, 0xffff, v60
	v_or_b32_e32 v61, 0x10000, v60
	s_delay_alu instid0(VALU_DEP_2) | instskip(NEXT) | instid1(VALU_DEP_1)
	v_cmp_eq_u32_e64 s0, 0, v59
	v_cndmask_b32_e64 v59, v61, v60, s0
; %bb.2499:                             ;   in Loop: Header=BB430_1187 Depth=1
	s_or_b32 exec_lo, exec_lo, s9
	v_lshlrev_b32_e32 v9, 16, v9
	s_delay_alu instid0(VALU_DEP_1) | instskip(NEXT) | instid1(VALU_DEP_1)
	v_mul_f32_e32 v9, v82, v9
	v_and_b32_e32 v60, 0x7f800000, v9
	s_delay_alu instid0(VALU_DEP_1) | instskip(NEXT) | instid1(VALU_DEP_1)
	v_cmp_ne_u32_e64 s0, 0x7f800000, v60
                                        ; implicit-def: $vgpr60
	s_and_saveexec_b32 s9, s0
	s_delay_alu instid0(SALU_CYCLE_1)
	s_xor_b32 s0, exec_lo, s9
; %bb.2500:                             ;   in Loop: Header=BB430_1187 Depth=1
	v_bfe_u32 v60, v9, 16, 1
	s_delay_alu instid0(VALU_DEP_1)
	v_add3_u32 v60, v9, v60, 0x7fff
                                        ; implicit-def: $vgpr9
; %bb.2501:                             ;   in Loop: Header=BB430_1187 Depth=1
	s_and_not1_saveexec_b32 s9, s0
; %bb.2502:                             ;   in Loop: Header=BB430_1187 Depth=1
	v_and_b32_e32 v60, 0xffff, v9
	v_or_b32_e32 v61, 0x10000, v9
	s_delay_alu instid0(VALU_DEP_2) | instskip(NEXT) | instid1(VALU_DEP_1)
	v_cmp_eq_u32_e64 s0, 0, v60
	v_cndmask_b32_e64 v60, v61, v9, s0
; %bb.2503:                             ;   in Loop: Header=BB430_1187 Depth=1
	s_or_b32 exec_lo, exec_lo, s9
	v_lshlrev_b32_e32 v7, 16, v7
                                        ; implicit-def: $vgpr61
	s_delay_alu instid0(VALU_DEP_1) | instskip(NEXT) | instid1(VALU_DEP_1)
	v_mul_f32_e32 v7, v83, v7
	v_and_b32_e32 v9, 0x7f800000, v7
	s_delay_alu instid0(VALU_DEP_1) | instskip(NEXT) | instid1(VALU_DEP_1)
	v_cmp_ne_u32_e64 s0, 0x7f800000, v9
	s_and_saveexec_b32 s9, s0
	s_delay_alu instid0(SALU_CYCLE_1)
	s_xor_b32 s0, exec_lo, s9
; %bb.2504:                             ;   in Loop: Header=BB430_1187 Depth=1
	v_bfe_u32 v9, v7, 16, 1
	s_delay_alu instid0(VALU_DEP_1)
	v_add3_u32 v61, v7, v9, 0x7fff
                                        ; implicit-def: $vgpr7
; %bb.2505:                             ;   in Loop: Header=BB430_1187 Depth=1
	s_and_not1_saveexec_b32 s9, s0
; %bb.2506:                             ;   in Loop: Header=BB430_1187 Depth=1
	v_and_b32_e32 v9, 0xffff, v7
	v_or_b32_e32 v61, 0x10000, v7
	s_delay_alu instid0(VALU_DEP_2) | instskip(NEXT) | instid1(VALU_DEP_1)
	v_cmp_eq_u32_e64 s0, 0, v9
	v_cndmask_b32_e64 v61, v61, v7, s0
; %bb.2507:                             ;   in Loop: Header=BB430_1187 Depth=1
	s_or_b32 exec_lo, exec_lo, s9
	v_lshlrev_b32_e32 v6, 16, v6
                                        ; implicit-def: $vgpr62
	s_delay_alu instid0(VALU_DEP_1) | instskip(NEXT) | instid1(VALU_DEP_1)
	v_mul_f32_e32 v6, v84, v6
	v_and_b32_e32 v7, 0x7f800000, v6
	s_delay_alu instid0(VALU_DEP_1) | instskip(NEXT) | instid1(VALU_DEP_1)
	v_cmp_ne_u32_e64 s0, 0x7f800000, v7
	s_and_saveexec_b32 s9, s0
	s_delay_alu instid0(SALU_CYCLE_1)
	s_xor_b32 s0, exec_lo, s9
; %bb.2508:                             ;   in Loop: Header=BB430_1187 Depth=1
	v_bfe_u32 v7, v6, 16, 1
	s_delay_alu instid0(VALU_DEP_1)
	v_add3_u32 v62, v6, v7, 0x7fff
                                        ; implicit-def: $vgpr6
; %bb.2509:                             ;   in Loop: Header=BB430_1187 Depth=1
	s_and_not1_saveexec_b32 s9, s0
; %bb.2510:                             ;   in Loop: Header=BB430_1187 Depth=1
	v_and_b32_e32 v7, 0xffff, v6
	v_or_b32_e32 v9, 0x10000, v6
	s_delay_alu instid0(VALU_DEP_2) | instskip(NEXT) | instid1(VALU_DEP_1)
	v_cmp_eq_u32_e64 s0, 0, v7
	v_cndmask_b32_e64 v62, v9, v6, s0
; %bb.2511:                             ;   in Loop: Header=BB430_1187 Depth=1
	s_or_b32 exec_lo, exec_lo, s9
	v_lshlrev_b32_e32 v3, 16, v3
                                        ; implicit-def: $vgpr63
	s_delay_alu instid0(VALU_DEP_1) | instskip(NEXT) | instid1(VALU_DEP_1)
	v_mul_f32_e32 v3, v85, v3
	v_and_b32_e32 v6, 0x7f800000, v3
	s_delay_alu instid0(VALU_DEP_1) | instskip(NEXT) | instid1(VALU_DEP_1)
	v_cmp_ne_u32_e64 s0, 0x7f800000, v6
	s_and_saveexec_b32 s9, s0
	s_delay_alu instid0(SALU_CYCLE_1)
	s_xor_b32 s0, exec_lo, s9
; %bb.2512:                             ;   in Loop: Header=BB430_1187 Depth=1
	v_bfe_u32 v6, v3, 16, 1
	s_delay_alu instid0(VALU_DEP_1)
	v_add3_u32 v63, v3, v6, 0x7fff
                                        ; implicit-def: $vgpr3
; %bb.2513:                             ;   in Loop: Header=BB430_1187 Depth=1
	s_and_not1_saveexec_b32 s9, s0
; %bb.2514:                             ;   in Loop: Header=BB430_1187 Depth=1
	v_and_b32_e32 v6, 0xffff, v3
	v_or_b32_e32 v7, 0x10000, v3
	s_delay_alu instid0(VALU_DEP_2) | instskip(NEXT) | instid1(VALU_DEP_1)
	v_cmp_eq_u32_e64 s0, 0, v6
	v_cndmask_b32_e64 v63, v7, v3, s0
; %bb.2515:                             ;   in Loop: Header=BB430_1187 Depth=1
	s_or_b32 exec_lo, exec_lo, s9
	v_lshlrev_b32_e32 v2, 16, v2
                                        ; implicit-def: $vgpr72
	s_delay_alu instid0(VALU_DEP_1) | instskip(NEXT) | instid1(VALU_DEP_1)
	v_mul_f32_e32 v2, v86, v2
	v_and_b32_e32 v3, 0x7f800000, v2
	s_delay_alu instid0(VALU_DEP_1) | instskip(NEXT) | instid1(VALU_DEP_1)
	v_cmp_ne_u32_e64 s0, 0x7f800000, v3
	s_and_saveexec_b32 s9, s0
	s_delay_alu instid0(SALU_CYCLE_1)
	s_xor_b32 s0, exec_lo, s9
; %bb.2516:                             ;   in Loop: Header=BB430_1187 Depth=1
	v_bfe_u32 v3, v2, 16, 1
	s_delay_alu instid0(VALU_DEP_1)
	v_add3_u32 v72, v2, v3, 0x7fff
                                        ; implicit-def: $vgpr2
; %bb.2517:                             ;   in Loop: Header=BB430_1187 Depth=1
	s_and_not1_saveexec_b32 s9, s0
; %bb.2518:                             ;   in Loop: Header=BB430_1187 Depth=1
	v_and_b32_e32 v3, 0xffff, v2
	v_or_b32_e32 v6, 0x10000, v2
	s_delay_alu instid0(VALU_DEP_2) | instskip(NEXT) | instid1(VALU_DEP_1)
	v_cmp_eq_u32_e64 s0, 0, v3
	v_cndmask_b32_e64 v72, v6, v2, s0
; %bb.2519:                             ;   in Loop: Header=BB430_1187 Depth=1
	s_or_b32 exec_lo, exec_lo, s9
	flat_load_b64 v[2:3], v[0:1] offset:2560
	s_mov_b32 s9, exec_lo
	s_waitcnt vmcnt(0) lgkmcnt(0)
	v_dual_mov_b32 v6, 0 :: v_dual_and_b32 v7, 0xff, v2
	s_delay_alu instid0(VALU_DEP_1)
	v_cmpx_ne_u16_e32 0, v7
	s_cbranch_execz .LBB430_2527
; %bb.2520:                             ;   in Loop: Header=BB430_1187 Depth=1
	v_bfrev_b32_e32 v6, 1
	s_mov_b32 s12, exec_lo
	v_cmpx_ne_u16_e32 0x80, v7
	s_cbranch_execz .LBB430_2526
; %bb.2521:                             ;   in Loop: Header=BB430_1187 Depth=1
	v_and_b32_e32 v7, 0x7f, v2
	v_mov_b32_e32 v6, 0x7f800001
	s_mov_b32 s13, exec_lo
	s_delay_alu instid0(VALU_DEP_2)
	v_cmpx_ne_u32_e32 0x7f, v7
	s_cbranch_execz .LBB430_2525
; %bb.2522:                             ;   in Loop: Header=BB430_1187 Depth=1
	v_lshrrev_b32_e32 v9, 3, v7
	v_cmp_gt_u32_e64 s0, 8, v7
	v_dual_mov_b32 v7, v3 :: v_dual_mov_b32 v6, v2
	s_delay_alu instid0(VALU_DEP_2)
	s_and_saveexec_b32 s15, s0
; %bb.2523:                             ;   in Loop: Header=BB430_1187 Depth=1
	v_and_b32_e32 v6, 7, v2
	s_delay_alu instid0(VALU_DEP_1) | instskip(NEXT) | instid1(VALU_DEP_1)
	v_clz_i32_u32_e32 v6, v6
	v_min_u32_e32 v9, 32, v6
	s_delay_alu instid0(VALU_DEP_1) | instskip(SKIP_1) | instid1(VALU_DEP_2)
	v_subrev_nc_u32_e32 v6, 28, v9
	v_sub_nc_u32_e32 v9, 29, v9
	v_lshlrev_b64 v[6:7], v6, v[2:3]
; %bb.2524:                             ;   in Loop: Header=BB430_1187 Depth=1
	s_or_b32 exec_lo, exec_lo, s15
	s_delay_alu instid0(VALU_DEP_1) | instskip(SKIP_2) | instid1(VALU_DEP_3)
	v_lshlrev_b32_e32 v6, 20, v6
	v_lshlrev_b32_e32 v7, 24, v2
	v_lshl_add_u32 v9, v9, 23, 0x3c000000
	v_and_b32_e32 v6, 0x700000, v6
	s_delay_alu instid0(VALU_DEP_3) | instskip(NEXT) | instid1(VALU_DEP_1)
	v_and_b32_e32 v7, 0x80000000, v7
	v_or3_b32 v6, v6, v7, v9
.LBB430_2525:                           ;   in Loop: Header=BB430_1187 Depth=1
	s_or_b32 exec_lo, exec_lo, s13
.LBB430_2526:                           ;   in Loop: Header=BB430_1187 Depth=1
	s_delay_alu instid0(SALU_CYCLE_1)
	s_or_b32 exec_lo, exec_lo, s12
.LBB430_2527:                           ;   in Loop: Header=BB430_1187 Depth=1
	s_delay_alu instid0(SALU_CYCLE_1) | instskip(NEXT) | instid1(VALU_DEP_1)
	s_or_b32 exec_lo, exec_lo, s9
	v_mul_f32_e32 v6, v26, v6
                                        ; implicit-def: $vgpr73
	s_delay_alu instid0(VALU_DEP_1) | instskip(NEXT) | instid1(VALU_DEP_1)
	v_and_b32_e32 v7, 0x7f800000, v6
	v_cmp_ne_u32_e64 s0, 0x7f800000, v7
	s_delay_alu instid0(VALU_DEP_1) | instskip(NEXT) | instid1(SALU_CYCLE_1)
	s_and_saveexec_b32 s9, s0
	s_xor_b32 s0, exec_lo, s9
; %bb.2528:                             ;   in Loop: Header=BB430_1187 Depth=1
	v_bfe_u32 v7, v6, 16, 1
	s_delay_alu instid0(VALU_DEP_1)
	v_add3_u32 v73, v6, v7, 0x7fff
                                        ; implicit-def: $vgpr6
; %bb.2529:                             ;   in Loop: Header=BB430_1187 Depth=1
	s_and_not1_saveexec_b32 s9, s0
; %bb.2530:                             ;   in Loop: Header=BB430_1187 Depth=1
	v_and_b32_e32 v7, 0xffff, v6
	v_or_b32_e32 v9, 0x10000, v6
	s_delay_alu instid0(VALU_DEP_2) | instskip(NEXT) | instid1(VALU_DEP_1)
	v_cmp_eq_u32_e64 s0, 0, v7
	v_cndmask_b32_e64 v73, v9, v6, s0
; %bb.2531:                             ;   in Loop: Header=BB430_1187 Depth=1
	s_or_b32 exec_lo, exec_lo, s9
	v_lshrrev_b16 v7, 8, v2
	v_mov_b32_e32 v6, 0
	s_mov_b32 s9, exec_lo
	s_delay_alu instid0(VALU_DEP_2)
	v_cmpx_ne_u16_e32 0, v7
	s_cbranch_execz .LBB430_2539
; %bb.2532:                             ;   in Loop: Header=BB430_1187 Depth=1
	v_bfrev_b32_e32 v6, 1
	s_mov_b32 s12, exec_lo
	v_cmpx_ne_u16_e32 0x80, v7
	s_cbranch_execz .LBB430_2538
; %bb.2533:                             ;   in Loop: Header=BB430_1187 Depth=1
	v_and_b32_e32 v9, 0xffff, v7
	v_mov_b32_e32 v6, 0x7f800001
	s_mov_b32 s13, exec_lo
	s_delay_alu instid0(VALU_DEP_2) | instskip(NEXT) | instid1(VALU_DEP_1)
	v_and_b32_e32 v7, 0x7f, v9
	v_cmpx_ne_u32_e32 0x7f, v7
	s_cbranch_execz .LBB430_2537
; %bb.2534:                             ;   in Loop: Header=BB430_1187 Depth=1
	v_and_b32_e32 v9, 7, v9
	v_lshrrev_b32_e32 v74, 3, v7
	v_cmp_gt_u32_e64 s0, 8, v7
	s_delay_alu instid0(VALU_DEP_3) | instskip(NEXT) | instid1(VALU_DEP_2)
	v_dual_mov_b32 v6, v9 :: v_dual_mov_b32 v7, v10
	s_and_saveexec_b32 s15, s0
; %bb.2535:                             ;   in Loop: Header=BB430_1187 Depth=1
	v_clz_i32_u32_e32 v6, v9
	s_delay_alu instid0(VALU_DEP_1) | instskip(NEXT) | instid1(VALU_DEP_1)
	v_min_u32_e32 v74, 32, v6
	v_subrev_nc_u32_e32 v6, 28, v74
	v_sub_nc_u32_e32 v74, 29, v74
	s_delay_alu instid0(VALU_DEP_2) | instskip(NEXT) | instid1(VALU_DEP_1)
	v_lshlrev_b64 v[6:7], v6, v[9:10]
	v_and_b32_e32 v6, 7, v6
; %bb.2536:                             ;   in Loop: Header=BB430_1187 Depth=1
	s_or_b32 exec_lo, exec_lo, s15
	v_lshlrev_b32_e32 v7, 16, v2
	s_delay_alu instid0(VALU_DEP_2) | instskip(SKIP_1) | instid1(VALU_DEP_3)
	v_lshlrev_b32_e32 v6, 20, v6
	v_lshl_add_u32 v9, v74, 23, 0x3c000000
	v_and_b32_e32 v7, 0x80000000, v7
	s_delay_alu instid0(VALU_DEP_1)
	v_or3_b32 v6, v6, v7, v9
.LBB430_2537:                           ;   in Loop: Header=BB430_1187 Depth=1
	s_or_b32 exec_lo, exec_lo, s13
.LBB430_2538:                           ;   in Loop: Header=BB430_1187 Depth=1
	s_delay_alu instid0(SALU_CYCLE_1)
	s_or_b32 exec_lo, exec_lo, s12
.LBB430_2539:                           ;   in Loop: Header=BB430_1187 Depth=1
	s_delay_alu instid0(SALU_CYCLE_1) | instskip(NEXT) | instid1(VALU_DEP_1)
	s_or_b32 exec_lo, exec_lo, s9
	v_mul_f32_e32 v6, v26, v6
                                        ; implicit-def: $vgpr74
	s_delay_alu instid0(VALU_DEP_1) | instskip(NEXT) | instid1(VALU_DEP_1)
	v_and_b32_e32 v7, 0x7f800000, v6
	v_cmp_ne_u32_e64 s0, 0x7f800000, v7
	s_delay_alu instid0(VALU_DEP_1) | instskip(NEXT) | instid1(SALU_CYCLE_1)
	s_and_saveexec_b32 s9, s0
	s_xor_b32 s0, exec_lo, s9
; %bb.2540:                             ;   in Loop: Header=BB430_1187 Depth=1
	v_bfe_u32 v7, v6, 16, 1
	s_delay_alu instid0(VALU_DEP_1)
	v_add3_u32 v74, v6, v7, 0x7fff
                                        ; implicit-def: $vgpr6
; %bb.2541:                             ;   in Loop: Header=BB430_1187 Depth=1
	s_and_not1_saveexec_b32 s9, s0
; %bb.2542:                             ;   in Loop: Header=BB430_1187 Depth=1
	v_and_b32_e32 v7, 0xffff, v6
	v_or_b32_e32 v9, 0x10000, v6
	s_delay_alu instid0(VALU_DEP_2) | instskip(NEXT) | instid1(VALU_DEP_1)
	v_cmp_eq_u32_e64 s0, 0, v7
	v_cndmask_b32_e64 v74, v9, v6, s0
; %bb.2543:                             ;   in Loop: Header=BB430_1187 Depth=1
	s_or_b32 exec_lo, exec_lo, s9
	v_lshrrev_b32_e32 v75, 16, v2
	s_mov_b32 s9, exec_lo
	s_delay_alu instid0(VALU_DEP_1) | instskip(NEXT) | instid1(VALU_DEP_1)
	v_dual_mov_b32 v6, 0 :: v_dual_and_b32 v7, 0xff, v75
	v_cmpx_ne_u16_e32 0, v7
	s_cbranch_execz .LBB430_2551
; %bb.2544:                             ;   in Loop: Header=BB430_1187 Depth=1
	v_bfrev_b32_e32 v6, 1
	s_mov_b32 s12, exec_lo
	v_cmpx_ne_u16_e32 0x80, v7
	s_cbranch_execz .LBB430_2550
; %bb.2545:                             ;   in Loop: Header=BB430_1187 Depth=1
	v_bfe_u32 v7, v2, 16, 7
	v_mov_b32_e32 v6, 0x7f800001
	s_mov_b32 s13, exec_lo
	s_delay_alu instid0(VALU_DEP_2)
	v_cmpx_ne_u32_e32 0x7f, v7
	s_cbranch_execz .LBB430_2549
; %bb.2546:                             ;   in Loop: Header=BB430_1187 Depth=1
	v_and_b32_e32 v9, 7, v75
	v_lshrrev_b32_e32 v76, 3, v7
	v_cmp_gt_u32_e64 s0, 8, v7
	s_delay_alu instid0(VALU_DEP_3) | instskip(NEXT) | instid1(VALU_DEP_2)
	v_dual_mov_b32 v6, v9 :: v_dual_mov_b32 v7, v10
	s_and_saveexec_b32 s15, s0
; %bb.2547:                             ;   in Loop: Header=BB430_1187 Depth=1
	v_clz_i32_u32_e32 v6, v9
	s_delay_alu instid0(VALU_DEP_1) | instskip(NEXT) | instid1(VALU_DEP_1)
	v_min_u32_e32 v76, 32, v6
	v_subrev_nc_u32_e32 v6, 28, v76
	v_sub_nc_u32_e32 v76, 29, v76
	s_delay_alu instid0(VALU_DEP_2) | instskip(NEXT) | instid1(VALU_DEP_1)
	v_lshlrev_b64 v[6:7], v6, v[9:10]
	v_and_b32_e32 v6, 7, v6
; %bb.2548:                             ;   in Loop: Header=BB430_1187 Depth=1
	s_or_b32 exec_lo, exec_lo, s15
	v_lshlrev_b32_e32 v7, 24, v75
	s_delay_alu instid0(VALU_DEP_2) | instskip(SKIP_1) | instid1(VALU_DEP_3)
	v_lshlrev_b32_e32 v6, 20, v6
	v_lshl_add_u32 v9, v76, 23, 0x3c000000
	v_and_b32_e32 v7, 0x80000000, v7
	s_delay_alu instid0(VALU_DEP_1)
	v_or3_b32 v6, v6, v7, v9
.LBB430_2549:                           ;   in Loop: Header=BB430_1187 Depth=1
	s_or_b32 exec_lo, exec_lo, s13
.LBB430_2550:                           ;   in Loop: Header=BB430_1187 Depth=1
	s_delay_alu instid0(SALU_CYCLE_1)
	s_or_b32 exec_lo, exec_lo, s12
.LBB430_2551:                           ;   in Loop: Header=BB430_1187 Depth=1
	s_delay_alu instid0(SALU_CYCLE_1) | instskip(NEXT) | instid1(VALU_DEP_1)
	s_or_b32 exec_lo, exec_lo, s9
	v_mul_f32_e32 v6, v26, v6
                                        ; implicit-def: $vgpr75
	s_delay_alu instid0(VALU_DEP_1) | instskip(NEXT) | instid1(VALU_DEP_1)
	v_and_b32_e32 v7, 0x7f800000, v6
	v_cmp_ne_u32_e64 s0, 0x7f800000, v7
	s_delay_alu instid0(VALU_DEP_1) | instskip(NEXT) | instid1(SALU_CYCLE_1)
	s_and_saveexec_b32 s9, s0
	s_xor_b32 s0, exec_lo, s9
; %bb.2552:                             ;   in Loop: Header=BB430_1187 Depth=1
	v_bfe_u32 v7, v6, 16, 1
	s_delay_alu instid0(VALU_DEP_1)
	v_add3_u32 v75, v6, v7, 0x7fff
                                        ; implicit-def: $vgpr6
; %bb.2553:                             ;   in Loop: Header=BB430_1187 Depth=1
	s_and_not1_saveexec_b32 s9, s0
; %bb.2554:                             ;   in Loop: Header=BB430_1187 Depth=1
	v_and_b32_e32 v7, 0xffff, v6
	v_or_b32_e32 v9, 0x10000, v6
	s_delay_alu instid0(VALU_DEP_2) | instskip(NEXT) | instid1(VALU_DEP_1)
	v_cmp_eq_u32_e64 s0, 0, v7
	v_cndmask_b32_e64 v75, v9, v6, s0
; %bb.2555:                             ;   in Loop: Header=BB430_1187 Depth=1
	s_or_b32 exec_lo, exec_lo, s9
	v_mov_b32_e32 v6, 0
	s_mov_b32 s9, exec_lo
	v_cmpx_lt_u32_e32 0xffffff, v2
	s_cbranch_execz .LBB430_2563
; %bb.2556:                             ;   in Loop: Header=BB430_1187 Depth=1
	v_lshrrev_b32_e32 v76, 24, v2
	v_bfrev_b32_e32 v6, 1
	s_mov_b32 s12, exec_lo
	s_delay_alu instid0(VALU_DEP_2)
	v_cmpx_ne_u32_e32 0x80, v76
	s_cbranch_execz .LBB430_2562
; %bb.2557:                             ;   in Loop: Header=BB430_1187 Depth=1
	v_bfe_u32 v7, v2, 24, 7
	v_mov_b32_e32 v6, 0x7f800001
	s_mov_b32 s13, exec_lo
	s_delay_alu instid0(VALU_DEP_2)
	v_cmpx_ne_u32_e32 0x7f, v7
	s_cbranch_execz .LBB430_2561
; %bb.2558:                             ;   in Loop: Header=BB430_1187 Depth=1
	v_and_b32_e32 v9, 7, v76
	v_lshrrev_b32_e32 v77, 3, v7
	v_cmp_gt_u32_e64 s0, 8, v7
	s_delay_alu instid0(VALU_DEP_3) | instskip(NEXT) | instid1(VALU_DEP_2)
	v_dual_mov_b32 v6, v9 :: v_dual_mov_b32 v7, v10
	s_and_saveexec_b32 s15, s0
; %bb.2559:                             ;   in Loop: Header=BB430_1187 Depth=1
	v_clz_i32_u32_e32 v6, v9
	s_delay_alu instid0(VALU_DEP_1) | instskip(NEXT) | instid1(VALU_DEP_1)
	v_min_u32_e32 v77, 32, v6
	v_subrev_nc_u32_e32 v6, 28, v77
	v_sub_nc_u32_e32 v77, 29, v77
	s_delay_alu instid0(VALU_DEP_2) | instskip(NEXT) | instid1(VALU_DEP_1)
	v_lshlrev_b64 v[6:7], v6, v[9:10]
	v_and_b32_e32 v6, 7, v6
; %bb.2560:                             ;   in Loop: Header=BB430_1187 Depth=1
	s_or_b32 exec_lo, exec_lo, s15
	v_lshlrev_b32_e32 v7, 24, v76
	s_delay_alu instid0(VALU_DEP_2) | instskip(SKIP_1) | instid1(VALU_DEP_3)
	v_lshlrev_b32_e32 v6, 20, v6
	v_lshl_add_u32 v9, v77, 23, 0x3c000000
	v_and_b32_e32 v7, 0x80000000, v7
	s_delay_alu instid0(VALU_DEP_1)
	v_or3_b32 v6, v6, v7, v9
.LBB430_2561:                           ;   in Loop: Header=BB430_1187 Depth=1
	s_or_b32 exec_lo, exec_lo, s13
.LBB430_2562:                           ;   in Loop: Header=BB430_1187 Depth=1
	s_delay_alu instid0(SALU_CYCLE_1)
	s_or_b32 exec_lo, exec_lo, s12
.LBB430_2563:                           ;   in Loop: Header=BB430_1187 Depth=1
	s_delay_alu instid0(SALU_CYCLE_1) | instskip(NEXT) | instid1(VALU_DEP_1)
	s_or_b32 exec_lo, exec_lo, s9
	v_mul_f32_e32 v6, v26, v6
                                        ; implicit-def: $vgpr76
	s_delay_alu instid0(VALU_DEP_1) | instskip(NEXT) | instid1(VALU_DEP_1)
	v_and_b32_e32 v7, 0x7f800000, v6
	v_cmp_ne_u32_e64 s0, 0x7f800000, v7
	s_delay_alu instid0(VALU_DEP_1) | instskip(NEXT) | instid1(SALU_CYCLE_1)
	s_and_saveexec_b32 s9, s0
	s_xor_b32 s0, exec_lo, s9
; %bb.2564:                             ;   in Loop: Header=BB430_1187 Depth=1
	v_bfe_u32 v7, v6, 16, 1
	s_delay_alu instid0(VALU_DEP_1)
	v_add3_u32 v76, v6, v7, 0x7fff
                                        ; implicit-def: $vgpr6
; %bb.2565:                             ;   in Loop: Header=BB430_1187 Depth=1
	s_and_not1_saveexec_b32 s9, s0
; %bb.2566:                             ;   in Loop: Header=BB430_1187 Depth=1
	v_and_b32_e32 v7, 0xffff, v6
	v_or_b32_e32 v9, 0x10000, v6
	s_delay_alu instid0(VALU_DEP_2) | instskip(NEXT) | instid1(VALU_DEP_1)
	v_cmp_eq_u32_e64 s0, 0, v7
	v_cndmask_b32_e64 v76, v9, v6, s0
; %bb.2567:                             ;   in Loop: Header=BB430_1187 Depth=1
	s_or_b32 exec_lo, exec_lo, s9
	v_dual_mov_b32 v6, 0 :: v_dual_and_b32 v7, 0xff, v3
	v_mov_b32_e32 v9, v3
	s_mov_b32 s9, exec_lo
	s_delay_alu instid0(VALU_DEP_2)
	v_cmpx_ne_u16_e32 0, v7
	s_cbranch_execz .LBB430_2575
; %bb.2568:                             ;   in Loop: Header=BB430_1187 Depth=1
	v_bfrev_b32_e32 v6, 1
	s_mov_b32 s12, exec_lo
	v_cmpx_ne_u16_e32 0x80, v7
	s_cbranch_execz .LBB430_2574
; %bb.2569:                             ;   in Loop: Header=BB430_1187 Depth=1
	v_and_b32_e32 v7, 0x7f, v3
	v_mov_b32_e32 v6, 0x7f800001
	s_mov_b32 s13, exec_lo
	s_delay_alu instid0(VALU_DEP_2)
	v_cmpx_ne_u32_e32 0x7f, v7
	s_cbranch_execz .LBB430_2573
; %bb.2570:                             ;   in Loop: Header=BB430_1187 Depth=1
	v_lshrrev_b32_e32 v77, 3, v7
	v_cmp_gt_u32_e64 s0, 8, v7
	v_dual_mov_b32 v6, v9 :: v_dual_mov_b32 v7, v10
	s_delay_alu instid0(VALU_DEP_2)
	s_and_saveexec_b32 s15, s0
; %bb.2571:                             ;   in Loop: Header=BB430_1187 Depth=1
	v_and_b32_e32 v6, 7, v3
	s_delay_alu instid0(VALU_DEP_1) | instskip(NEXT) | instid1(VALU_DEP_1)
	v_clz_i32_u32_e32 v6, v6
	v_min_u32_e32 v77, 32, v6
	s_delay_alu instid0(VALU_DEP_1) | instskip(SKIP_1) | instid1(VALU_DEP_2)
	v_subrev_nc_u32_e32 v6, 28, v77
	v_sub_nc_u32_e32 v77, 29, v77
	v_lshlrev_b64 v[6:7], v6, v[9:10]
; %bb.2572:                             ;   in Loop: Header=BB430_1187 Depth=1
	s_or_b32 exec_lo, exec_lo, s15
	s_delay_alu instid0(VALU_DEP_1) | instskip(SKIP_2) | instid1(VALU_DEP_3)
	v_lshlrev_b32_e32 v6, 20, v6
	v_lshlrev_b32_e32 v7, 24, v9
	v_lshl_add_u32 v77, v77, 23, 0x3c000000
	v_and_b32_e32 v6, 0x700000, v6
	s_delay_alu instid0(VALU_DEP_3) | instskip(NEXT) | instid1(VALU_DEP_1)
	v_and_b32_e32 v7, 0x80000000, v7
	v_or3_b32 v6, v6, v7, v77
.LBB430_2573:                           ;   in Loop: Header=BB430_1187 Depth=1
	s_or_b32 exec_lo, exec_lo, s13
.LBB430_2574:                           ;   in Loop: Header=BB430_1187 Depth=1
	s_delay_alu instid0(SALU_CYCLE_1)
	s_or_b32 exec_lo, exec_lo, s12
.LBB430_2575:                           ;   in Loop: Header=BB430_1187 Depth=1
	s_delay_alu instid0(SALU_CYCLE_1) | instskip(NEXT) | instid1(VALU_DEP_1)
	s_or_b32 exec_lo, exec_lo, s9
	v_mul_f32_e32 v6, v26, v6
                                        ; implicit-def: $vgpr77
	s_delay_alu instid0(VALU_DEP_1) | instskip(NEXT) | instid1(VALU_DEP_1)
	v_and_b32_e32 v7, 0x7f800000, v6
	v_cmp_ne_u32_e64 s0, 0x7f800000, v7
	s_delay_alu instid0(VALU_DEP_1) | instskip(NEXT) | instid1(SALU_CYCLE_1)
	s_and_saveexec_b32 s9, s0
	s_xor_b32 s0, exec_lo, s9
; %bb.2576:                             ;   in Loop: Header=BB430_1187 Depth=1
	v_bfe_u32 v7, v6, 16, 1
	s_delay_alu instid0(VALU_DEP_1)
	v_add3_u32 v77, v6, v7, 0x7fff
                                        ; implicit-def: $vgpr6
; %bb.2577:                             ;   in Loop: Header=BB430_1187 Depth=1
	s_and_not1_saveexec_b32 s9, s0
; %bb.2578:                             ;   in Loop: Header=BB430_1187 Depth=1
	v_and_b32_e32 v7, 0xffff, v6
	v_or_b32_e32 v77, 0x10000, v6
	s_delay_alu instid0(VALU_DEP_2) | instskip(NEXT) | instid1(VALU_DEP_1)
	v_cmp_eq_u32_e64 s0, 0, v7
	v_cndmask_b32_e64 v77, v77, v6, s0
; %bb.2579:                             ;   in Loop: Header=BB430_1187 Depth=1
	s_or_b32 exec_lo, exec_lo, s9
	v_lshrrev_b16 v7, 8, v9
	v_mov_b32_e32 v6, 0
	s_mov_b32 s9, exec_lo
	s_delay_alu instid0(VALU_DEP_2)
	v_cmpx_ne_u16_e32 0, v7
	s_cbranch_execz .LBB430_2587
; %bb.2580:                             ;   in Loop: Header=BB430_1187 Depth=1
	v_bfrev_b32_e32 v6, 1
	s_mov_b32 s12, exec_lo
	v_cmpx_ne_u16_e32 0x80, v7
	s_cbranch_execz .LBB430_2586
; %bb.2581:                             ;   in Loop: Header=BB430_1187 Depth=1
	v_and_b32_e32 v7, 0xffff, v7
	v_mov_b32_e32 v6, 0x7f800001
	s_mov_b32 s13, exec_lo
	s_delay_alu instid0(VALU_DEP_2) | instskip(NEXT) | instid1(VALU_DEP_1)
	v_and_b32_e32 v79, 0x7f, v7
	v_cmpx_ne_u32_e32 0x7f, v79
	s_cbranch_execz .LBB430_2585
; %bb.2582:                             ;   in Loop: Header=BB430_1187 Depth=1
	v_dual_mov_b32 v7, v10 :: v_dual_and_b32 v6, 7, v7
	v_lshrrev_b32_e32 v78, 3, v79
	s_mov_b32 s15, exec_lo
	v_cmpx_gt_u32_e32 8, v79
; %bb.2583:                             ;   in Loop: Header=BB430_1187 Depth=1
	s_delay_alu instid0(VALU_DEP_3) | instskip(NEXT) | instid1(VALU_DEP_1)
	v_clz_i32_u32_e32 v78, v6
	v_min_u32_e32 v78, 32, v78
	s_delay_alu instid0(VALU_DEP_1) | instskip(SKIP_1) | instid1(VALU_DEP_2)
	v_subrev_nc_u32_e32 v79, 28, v78
	v_sub_nc_u32_e32 v78, 29, v78
	v_lshlrev_b64 v[6:7], v79, v[6:7]
	s_delay_alu instid0(VALU_DEP_1)
	v_and_b32_e32 v6, 7, v6
; %bb.2584:                             ;   in Loop: Header=BB430_1187 Depth=1
	s_or_b32 exec_lo, exec_lo, s15
	v_lshlrev_b32_e32 v7, 16, v9
	s_delay_alu instid0(VALU_DEP_2) | instskip(SKIP_1) | instid1(VALU_DEP_3)
	v_lshlrev_b32_e32 v6, 20, v6
	v_lshl_add_u32 v9, v78, 23, 0x3c000000
	v_and_b32_e32 v7, 0x80000000, v7
	s_delay_alu instid0(VALU_DEP_1)
	v_or3_b32 v6, v6, v7, v9
.LBB430_2585:                           ;   in Loop: Header=BB430_1187 Depth=1
	s_or_b32 exec_lo, exec_lo, s13
.LBB430_2586:                           ;   in Loop: Header=BB430_1187 Depth=1
	s_delay_alu instid0(SALU_CYCLE_1)
	s_or_b32 exec_lo, exec_lo, s12
.LBB430_2587:                           ;   in Loop: Header=BB430_1187 Depth=1
	s_delay_alu instid0(SALU_CYCLE_1) | instskip(NEXT) | instid1(VALU_DEP_1)
	s_or_b32 exec_lo, exec_lo, s9
	v_mul_f32_e32 v6, v26, v6
                                        ; implicit-def: $vgpr78
	s_delay_alu instid0(VALU_DEP_1) | instskip(NEXT) | instid1(VALU_DEP_1)
	v_and_b32_e32 v7, 0x7f800000, v6
	v_cmp_ne_u32_e64 s0, 0x7f800000, v7
	s_delay_alu instid0(VALU_DEP_1) | instskip(NEXT) | instid1(SALU_CYCLE_1)
	s_and_saveexec_b32 s9, s0
	s_xor_b32 s0, exec_lo, s9
; %bb.2588:                             ;   in Loop: Header=BB430_1187 Depth=1
	v_bfe_u32 v7, v6, 16, 1
	s_delay_alu instid0(VALU_DEP_1)
	v_add3_u32 v78, v6, v7, 0x7fff
                                        ; implicit-def: $vgpr6
; %bb.2589:                             ;   in Loop: Header=BB430_1187 Depth=1
	s_and_not1_saveexec_b32 s9, s0
; %bb.2590:                             ;   in Loop: Header=BB430_1187 Depth=1
	v_and_b32_e32 v7, 0xffff, v6
	v_or_b32_e32 v9, 0x10000, v6
	s_delay_alu instid0(VALU_DEP_2) | instskip(NEXT) | instid1(VALU_DEP_1)
	v_cmp_eq_u32_e64 s0, 0, v7
	v_cndmask_b32_e64 v78, v9, v6, s0
; %bb.2591:                             ;   in Loop: Header=BB430_1187 Depth=1
	s_or_b32 exec_lo, exec_lo, s9
	v_lshrrev_b32_e32 v79, 16, v3
	s_mov_b32 s9, exec_lo
	s_delay_alu instid0(VALU_DEP_1) | instskip(NEXT) | instid1(VALU_DEP_1)
	v_dual_mov_b32 v6, 0 :: v_dual_and_b32 v7, 0xff, v79
	v_cmpx_ne_u16_e32 0, v7
	s_cbranch_execz .LBB430_2599
; %bb.2592:                             ;   in Loop: Header=BB430_1187 Depth=1
	v_bfrev_b32_e32 v6, 1
	s_mov_b32 s12, exec_lo
	v_cmpx_ne_u16_e32 0x80, v7
	s_cbranch_execz .LBB430_2598
; %bb.2593:                             ;   in Loop: Header=BB430_1187 Depth=1
	v_bfe_u32 v7, v3, 16, 7
	v_mov_b32_e32 v6, 0x7f800001
	s_mov_b32 s13, exec_lo
	s_delay_alu instid0(VALU_DEP_2)
	v_cmpx_ne_u32_e32 0x7f, v7
	s_cbranch_execz .LBB430_2597
; %bb.2594:                             ;   in Loop: Header=BB430_1187 Depth=1
	v_and_b32_e32 v9, 7, v79
	v_lshrrev_b32_e32 v88, 3, v7
	v_cmp_gt_u32_e64 s0, 8, v7
	s_delay_alu instid0(VALU_DEP_3) | instskip(NEXT) | instid1(VALU_DEP_2)
	v_dual_mov_b32 v6, v9 :: v_dual_mov_b32 v7, v10
	s_and_saveexec_b32 s15, s0
; %bb.2595:                             ;   in Loop: Header=BB430_1187 Depth=1
	v_clz_i32_u32_e32 v6, v9
	s_delay_alu instid0(VALU_DEP_1) | instskip(NEXT) | instid1(VALU_DEP_1)
	v_min_u32_e32 v88, 32, v6
	v_subrev_nc_u32_e32 v6, 28, v88
	v_sub_nc_u32_e32 v88, 29, v88
	s_delay_alu instid0(VALU_DEP_2) | instskip(NEXT) | instid1(VALU_DEP_1)
	v_lshlrev_b64 v[6:7], v6, v[9:10]
	v_and_b32_e32 v6, 7, v6
; %bb.2596:                             ;   in Loop: Header=BB430_1187 Depth=1
	s_or_b32 exec_lo, exec_lo, s15
	v_lshlrev_b32_e32 v7, 24, v79
	s_delay_alu instid0(VALU_DEP_2) | instskip(SKIP_1) | instid1(VALU_DEP_3)
	v_lshlrev_b32_e32 v6, 20, v6
	v_lshl_add_u32 v9, v88, 23, 0x3c000000
	v_and_b32_e32 v7, 0x80000000, v7
	s_delay_alu instid0(VALU_DEP_1)
	v_or3_b32 v6, v6, v7, v9
.LBB430_2597:                           ;   in Loop: Header=BB430_1187 Depth=1
	s_or_b32 exec_lo, exec_lo, s13
.LBB430_2598:                           ;   in Loop: Header=BB430_1187 Depth=1
	s_delay_alu instid0(SALU_CYCLE_1)
	s_or_b32 exec_lo, exec_lo, s12
.LBB430_2599:                           ;   in Loop: Header=BB430_1187 Depth=1
	s_delay_alu instid0(SALU_CYCLE_1) | instskip(NEXT) | instid1(VALU_DEP_1)
	s_or_b32 exec_lo, exec_lo, s9
	v_mul_f32_e32 v7, v26, v6
	s_delay_alu instid0(VALU_DEP_1) | instskip(NEXT) | instid1(VALU_DEP_1)
	v_and_b32_e32 v6, 0x7f800000, v7
	v_cmp_ne_u32_e64 s0, 0x7f800000, v6
                                        ; implicit-def: $vgpr6
	s_delay_alu instid0(VALU_DEP_1) | instskip(NEXT) | instid1(SALU_CYCLE_1)
	s_and_saveexec_b32 s9, s0
	s_xor_b32 s0, exec_lo, s9
; %bb.2600:                             ;   in Loop: Header=BB430_1187 Depth=1
	v_bfe_u32 v6, v7, 16, 1
	s_delay_alu instid0(VALU_DEP_1)
	v_add3_u32 v6, v7, v6, 0x7fff
                                        ; implicit-def: $vgpr7
; %bb.2601:                             ;   in Loop: Header=BB430_1187 Depth=1
	s_and_not1_saveexec_b32 s9, s0
; %bb.2602:                             ;   in Loop: Header=BB430_1187 Depth=1
	v_and_b32_e32 v6, 0xffff, v7
	v_or_b32_e32 v9, 0x10000, v7
	s_delay_alu instid0(VALU_DEP_2) | instskip(NEXT) | instid1(VALU_DEP_1)
	v_cmp_eq_u32_e64 s0, 0, v6
	v_cndmask_b32_e64 v6, v9, v7, s0
; %bb.2603:                             ;   in Loop: Header=BB430_1187 Depth=1
	s_or_b32 exec_lo, exec_lo, s9
	v_cmp_lt_u64_e64 s0, s[2:3], v[2:3]
	v_mov_b32_e32 v2, 0
	s_delay_alu instid0(VALU_DEP_2)
	s_and_saveexec_b32 s9, s0
	s_cbranch_execz .LBB430_2611
; %bb.2604:                             ;   in Loop: Header=BB430_1187 Depth=1
	v_lshrrev_b32_e32 v7, 24, v3
	v_bfrev_b32_e32 v2, 1
	s_mov_b32 s12, exec_lo
	s_delay_alu instid0(VALU_DEP_2)
	v_cmpx_ne_u32_e32 0x80, v7
	s_cbranch_execz .LBB430_2610
; %bb.2605:                             ;   in Loop: Header=BB430_1187 Depth=1
	v_bfe_u32 v3, v3, 24, 7
	v_mov_b32_e32 v2, 0x7f800001
	s_mov_b32 s13, exec_lo
	s_delay_alu instid0(VALU_DEP_2)
	v_cmpx_ne_u32_e32 0x7f, v3
	s_cbranch_execz .LBB430_2609
; %bb.2606:                             ;   in Loop: Header=BB430_1187 Depth=1
	v_and_b32_e32 v9, 7, v7
	v_lshrrev_b32_e32 v79, 3, v3
	v_cmp_gt_u32_e64 s0, 8, v3
	s_delay_alu instid0(VALU_DEP_3) | instskip(NEXT) | instid1(VALU_DEP_2)
	v_dual_mov_b32 v2, v9 :: v_dual_mov_b32 v3, v10
	s_and_saveexec_b32 s15, s0
; %bb.2607:                             ;   in Loop: Header=BB430_1187 Depth=1
	v_clz_i32_u32_e32 v2, v9
	s_delay_alu instid0(VALU_DEP_1) | instskip(NEXT) | instid1(VALU_DEP_1)
	v_min_u32_e32 v79, 32, v2
	v_subrev_nc_u32_e32 v2, 28, v79
	v_sub_nc_u32_e32 v79, 29, v79
	s_delay_alu instid0(VALU_DEP_2) | instskip(NEXT) | instid1(VALU_DEP_1)
	v_lshlrev_b64 v[2:3], v2, v[9:10]
	v_and_b32_e32 v2, 7, v2
; %bb.2608:                             ;   in Loop: Header=BB430_1187 Depth=1
	s_or_b32 exec_lo, exec_lo, s15
	v_lshlrev_b32_e32 v3, 24, v7
	s_delay_alu instid0(VALU_DEP_2) | instskip(SKIP_1) | instid1(VALU_DEP_3)
	v_lshlrev_b32_e32 v2, 20, v2
	v_lshl_add_u32 v7, v79, 23, 0x3c000000
	v_and_b32_e32 v3, 0x80000000, v3
	s_delay_alu instid0(VALU_DEP_1)
	v_or3_b32 v2, v2, v3, v7
.LBB430_2609:                           ;   in Loop: Header=BB430_1187 Depth=1
	s_or_b32 exec_lo, exec_lo, s13
.LBB430_2610:                           ;   in Loop: Header=BB430_1187 Depth=1
	s_delay_alu instid0(SALU_CYCLE_1)
	s_or_b32 exec_lo, exec_lo, s12
.LBB430_2611:                           ;   in Loop: Header=BB430_1187 Depth=1
	s_delay_alu instid0(SALU_CYCLE_1) | instskip(NEXT) | instid1(VALU_DEP_1)
	s_or_b32 exec_lo, exec_lo, s9
	v_mul_f32_e32 v3, v26, v2
	s_delay_alu instid0(VALU_DEP_1) | instskip(NEXT) | instid1(VALU_DEP_1)
	v_and_b32_e32 v2, 0x7f800000, v3
	v_cmp_ne_u32_e64 s0, 0x7f800000, v2
                                        ; implicit-def: $vgpr2
	s_delay_alu instid0(VALU_DEP_1) | instskip(NEXT) | instid1(SALU_CYCLE_1)
	s_and_saveexec_b32 s9, s0
	s_xor_b32 s0, exec_lo, s9
; %bb.2612:                             ;   in Loop: Header=BB430_1187 Depth=1
	v_bfe_u32 v2, v3, 16, 1
	s_delay_alu instid0(VALU_DEP_1)
	v_add3_u32 v2, v3, v2, 0x7fff
                                        ; implicit-def: $vgpr3
; %bb.2613:                             ;   in Loop: Header=BB430_1187 Depth=1
	s_and_not1_saveexec_b32 s9, s0
; %bb.2614:                             ;   in Loop: Header=BB430_1187 Depth=1
	v_and_b32_e32 v2, 0xffff, v3
	v_or_b32_e32 v7, 0x10000, v3
	s_delay_alu instid0(VALU_DEP_2) | instskip(NEXT) | instid1(VALU_DEP_1)
	v_cmp_eq_u32_e64 s0, 0, v2
	v_cndmask_b32_e64 v2, v7, v3, s0
; %bb.2615:                             ;   in Loop: Header=BB430_1187 Depth=1
	s_or_b32 exec_lo, exec_lo, s9
	v_lshrrev_b32_e32 v9, 16, v78
	v_lshrrev_b32_e32 v77, 16, v77
	;; [unrolled: 1-line block ×8, first 2 shown]
	s_and_saveexec_b32 s9, vcc_lo
	s_cbranch_execz .LBB430_2617
; %bb.2616:                             ;   in Loop: Header=BB430_1187 Depth=1
	v_cmp_lt_i32_e64 s0, v64, v35
	s_delay_alu instid0(VALU_DEP_1) | instskip(SKIP_1) | instid1(VALU_DEP_1)
	v_cndmask_b32_e64 v73, 0, v73, s0
	v_cmp_lt_i32_e64 s0, v70, v35
	v_cndmask_b32_e64 v7, 0, v7, s0
	v_cmp_lt_i32_e64 s0, v69, v35
	s_delay_alu instid0(VALU_DEP_1) | instskip(SKIP_1) | instid1(VALU_DEP_1)
	v_cndmask_b32_e64 v75, 0, v75, s0
	v_cmp_lt_i32_e64 s0, v68, v35
	v_cndmask_b32_e64 v76, 0, v76, s0
	;; [unrolled: 5-line block ×4, first 2 shown]
.LBB430_2617:                           ;   in Loop: Header=BB430_1187 Depth=1
	s_or_b32 exec_lo, exec_lo, s9
	v_lshlrev_b32_e32 v6, 16, v73
	s_delay_alu instid0(VALU_DEP_1) | instskip(NEXT) | instid1(VALU_DEP_1)
	v_mul_f32_e32 v73, v71, v6
	v_and_b32_e32 v6, 0x7f800000, v73
	s_delay_alu instid0(VALU_DEP_1) | instskip(NEXT) | instid1(VALU_DEP_1)
	v_cmp_ne_u32_e64 s0, 0x7f800000, v6
                                        ; implicit-def: $vgpr6
	s_and_saveexec_b32 s9, s0
	s_delay_alu instid0(SALU_CYCLE_1)
	s_xor_b32 s0, exec_lo, s9
; %bb.2618:                             ;   in Loop: Header=BB430_1187 Depth=1
	v_bfe_u32 v6, v73, 16, 1
	s_delay_alu instid0(VALU_DEP_1)
	v_add3_u32 v6, v73, v6, 0x7fff
                                        ; implicit-def: $vgpr73
; %bb.2619:                             ;   in Loop: Header=BB430_1187 Depth=1
	s_and_not1_saveexec_b32 s9, s0
; %bb.2620:                             ;   in Loop: Header=BB430_1187 Depth=1
	v_and_b32_e32 v6, 0xffff, v73
	v_or_b32_e32 v74, 0x10000, v73
	s_delay_alu instid0(VALU_DEP_2) | instskip(NEXT) | instid1(VALU_DEP_1)
	v_cmp_eq_u32_e64 s0, 0, v6
	v_cndmask_b32_e64 v6, v74, v73, s0
; %bb.2621:                             ;   in Loop: Header=BB430_1187 Depth=1
	s_or_b32 exec_lo, exec_lo, s9
	v_lshlrev_b32_e32 v7, 16, v7
	s_delay_alu instid0(VALU_DEP_1) | instskip(NEXT) | instid1(VALU_DEP_1)
	v_mul_f32_e32 v73, v80, v7
	v_and_b32_e32 v7, 0x7f800000, v73
	s_delay_alu instid0(VALU_DEP_1) | instskip(NEXT) | instid1(VALU_DEP_1)
	v_cmp_ne_u32_e64 s0, 0x7f800000, v7
                                        ; implicit-def: $vgpr7
	s_and_saveexec_b32 s9, s0
	s_delay_alu instid0(SALU_CYCLE_1)
	s_xor_b32 s0, exec_lo, s9
; %bb.2622:                             ;   in Loop: Header=BB430_1187 Depth=1
	v_bfe_u32 v7, v73, 16, 1
	s_delay_alu instid0(VALU_DEP_1)
	v_add3_u32 v7, v73, v7, 0x7fff
                                        ; implicit-def: $vgpr73
; %bb.2623:                             ;   in Loop: Header=BB430_1187 Depth=1
	s_and_not1_saveexec_b32 s9, s0
; %bb.2624:                             ;   in Loop: Header=BB430_1187 Depth=1
	v_and_b32_e32 v7, 0xffff, v73
	v_or_b32_e32 v74, 0x10000, v73
	s_delay_alu instid0(VALU_DEP_2) | instskip(NEXT) | instid1(VALU_DEP_1)
	v_cmp_eq_u32_e64 s0, 0, v7
	v_cndmask_b32_e64 v7, v74, v73, s0
; %bb.2625:                             ;   in Loop: Header=BB430_1187 Depth=1
	s_or_b32 exec_lo, exec_lo, s9
	v_lshlrev_b32_e32 v73, 16, v75
	s_delay_alu instid0(VALU_DEP_1) | instskip(NEXT) | instid1(VALU_DEP_1)
	v_mul_f32_e32 v74, v81, v73
	v_and_b32_e32 v73, 0x7f800000, v74
	s_delay_alu instid0(VALU_DEP_1) | instskip(NEXT) | instid1(VALU_DEP_1)
	v_cmp_ne_u32_e64 s0, 0x7f800000, v73
                                        ; implicit-def: $vgpr73
	s_and_saveexec_b32 s9, s0
	s_delay_alu instid0(SALU_CYCLE_1)
	s_xor_b32 s0, exec_lo, s9
; %bb.2626:                             ;   in Loop: Header=BB430_1187 Depth=1
	v_bfe_u32 v73, v74, 16, 1
	s_delay_alu instid0(VALU_DEP_1)
	v_add3_u32 v73, v74, v73, 0x7fff
                                        ; implicit-def: $vgpr74
; %bb.2627:                             ;   in Loop: Header=BB430_1187 Depth=1
	s_and_not1_saveexec_b32 s9, s0
; %bb.2628:                             ;   in Loop: Header=BB430_1187 Depth=1
	v_and_b32_e32 v73, 0xffff, v74
	v_or_b32_e32 v75, 0x10000, v74
	s_delay_alu instid0(VALU_DEP_2) | instskip(NEXT) | instid1(VALU_DEP_1)
	v_cmp_eq_u32_e64 s0, 0, v73
	v_cndmask_b32_e64 v73, v75, v74, s0
; %bb.2629:                             ;   in Loop: Header=BB430_1187 Depth=1
	s_or_b32 exec_lo, exec_lo, s9
	v_lshlrev_b32_e32 v74, 16, v76
	s_delay_alu instid0(VALU_DEP_1) | instskip(NEXT) | instid1(VALU_DEP_1)
	v_mul_f32_e32 v75, v82, v74
	v_and_b32_e32 v74, 0x7f800000, v75
	s_delay_alu instid0(VALU_DEP_1) | instskip(NEXT) | instid1(VALU_DEP_1)
	v_cmp_ne_u32_e64 s0, 0x7f800000, v74
                                        ; implicit-def: $vgpr74
	s_and_saveexec_b32 s9, s0
	s_delay_alu instid0(SALU_CYCLE_1)
	s_xor_b32 s0, exec_lo, s9
; %bb.2630:                             ;   in Loop: Header=BB430_1187 Depth=1
	v_bfe_u32 v74, v75, 16, 1
	s_delay_alu instid0(VALU_DEP_1)
	v_add3_u32 v74, v75, v74, 0x7fff
                                        ; implicit-def: $vgpr75
; %bb.2631:                             ;   in Loop: Header=BB430_1187 Depth=1
	s_and_not1_saveexec_b32 s9, s0
; %bb.2632:                             ;   in Loop: Header=BB430_1187 Depth=1
	v_and_b32_e32 v74, 0xffff, v75
	v_or_b32_e32 v76, 0x10000, v75
	s_delay_alu instid0(VALU_DEP_2) | instskip(NEXT) | instid1(VALU_DEP_1)
	v_cmp_eq_u32_e64 s0, 0, v74
	v_cndmask_b32_e64 v74, v76, v75, s0
; %bb.2633:                             ;   in Loop: Header=BB430_1187 Depth=1
	s_or_b32 exec_lo, exec_lo, s9
	v_lshlrev_b32_e32 v75, 16, v77
	s_delay_alu instid0(VALU_DEP_1) | instskip(NEXT) | instid1(VALU_DEP_1)
	v_mul_f32_e32 v76, v83, v75
	v_and_b32_e32 v75, 0x7f800000, v76
	s_delay_alu instid0(VALU_DEP_1) | instskip(NEXT) | instid1(VALU_DEP_1)
	v_cmp_ne_u32_e64 s0, 0x7f800000, v75
                                        ; implicit-def: $vgpr75
	s_and_saveexec_b32 s9, s0
	s_delay_alu instid0(SALU_CYCLE_1)
	s_xor_b32 s0, exec_lo, s9
; %bb.2634:                             ;   in Loop: Header=BB430_1187 Depth=1
	v_bfe_u32 v75, v76, 16, 1
	s_delay_alu instid0(VALU_DEP_1)
	v_add3_u32 v75, v76, v75, 0x7fff
                                        ; implicit-def: $vgpr76
; %bb.2635:                             ;   in Loop: Header=BB430_1187 Depth=1
	s_and_not1_saveexec_b32 s9, s0
; %bb.2636:                             ;   in Loop: Header=BB430_1187 Depth=1
	v_and_b32_e32 v75, 0xffff, v76
	v_or_b32_e32 v77, 0x10000, v76
	s_delay_alu instid0(VALU_DEP_2) | instskip(NEXT) | instid1(VALU_DEP_1)
	v_cmp_eq_u32_e64 s0, 0, v75
	v_cndmask_b32_e64 v75, v77, v76, s0
; %bb.2637:                             ;   in Loop: Header=BB430_1187 Depth=1
	s_or_b32 exec_lo, exec_lo, s9
	v_lshlrev_b32_e32 v9, 16, v9
	s_delay_alu instid0(VALU_DEP_1) | instskip(NEXT) | instid1(VALU_DEP_1)
	v_mul_f32_e32 v9, v84, v9
	v_and_b32_e32 v76, 0x7f800000, v9
	s_delay_alu instid0(VALU_DEP_1) | instskip(NEXT) | instid1(VALU_DEP_1)
	v_cmp_ne_u32_e64 s0, 0x7f800000, v76
                                        ; implicit-def: $vgpr76
	s_and_saveexec_b32 s9, s0
	s_delay_alu instid0(SALU_CYCLE_1)
	s_xor_b32 s0, exec_lo, s9
; %bb.2638:                             ;   in Loop: Header=BB430_1187 Depth=1
	v_bfe_u32 v76, v9, 16, 1
	s_delay_alu instid0(VALU_DEP_1)
	v_add3_u32 v76, v9, v76, 0x7fff
                                        ; implicit-def: $vgpr9
; %bb.2639:                             ;   in Loop: Header=BB430_1187 Depth=1
	s_and_not1_saveexec_b32 s9, s0
; %bb.2640:                             ;   in Loop: Header=BB430_1187 Depth=1
	v_and_b32_e32 v76, 0xffff, v9
	v_or_b32_e32 v77, 0x10000, v9
	s_delay_alu instid0(VALU_DEP_2) | instskip(NEXT) | instid1(VALU_DEP_1)
	v_cmp_eq_u32_e64 s0, 0, v76
	v_cndmask_b32_e64 v76, v77, v9, s0
; %bb.2641:                             ;   in Loop: Header=BB430_1187 Depth=1
	s_or_b32 exec_lo, exec_lo, s9
	v_lshlrev_b32_e32 v3, 16, v3
                                        ; implicit-def: $vgpr77
	s_delay_alu instid0(VALU_DEP_1) | instskip(NEXT) | instid1(VALU_DEP_1)
	v_mul_f32_e32 v3, v85, v3
	v_and_b32_e32 v9, 0x7f800000, v3
	s_delay_alu instid0(VALU_DEP_1) | instskip(NEXT) | instid1(VALU_DEP_1)
	v_cmp_ne_u32_e64 s0, 0x7f800000, v9
	s_and_saveexec_b32 s9, s0
	s_delay_alu instid0(SALU_CYCLE_1)
	s_xor_b32 s0, exec_lo, s9
; %bb.2642:                             ;   in Loop: Header=BB430_1187 Depth=1
	v_bfe_u32 v9, v3, 16, 1
	s_delay_alu instid0(VALU_DEP_1)
	v_add3_u32 v77, v3, v9, 0x7fff
                                        ; implicit-def: $vgpr3
; %bb.2643:                             ;   in Loop: Header=BB430_1187 Depth=1
	s_and_not1_saveexec_b32 s9, s0
; %bb.2644:                             ;   in Loop: Header=BB430_1187 Depth=1
	v_and_b32_e32 v9, 0xffff, v3
	v_or_b32_e32 v77, 0x10000, v3
	s_delay_alu instid0(VALU_DEP_2) | instskip(NEXT) | instid1(VALU_DEP_1)
	v_cmp_eq_u32_e64 s0, 0, v9
	v_cndmask_b32_e64 v77, v77, v3, s0
; %bb.2645:                             ;   in Loop: Header=BB430_1187 Depth=1
	s_or_b32 exec_lo, exec_lo, s9
	v_lshlrev_b32_e32 v2, 16, v2
                                        ; implicit-def: $vgpr78
	s_delay_alu instid0(VALU_DEP_1) | instskip(NEXT) | instid1(VALU_DEP_1)
	v_mul_f32_e32 v2, v86, v2
	v_and_b32_e32 v3, 0x7f800000, v2
	s_delay_alu instid0(VALU_DEP_1) | instskip(NEXT) | instid1(VALU_DEP_1)
	v_cmp_ne_u32_e64 s0, 0x7f800000, v3
	s_and_saveexec_b32 s9, s0
	s_delay_alu instid0(SALU_CYCLE_1)
	s_xor_b32 s0, exec_lo, s9
; %bb.2646:                             ;   in Loop: Header=BB430_1187 Depth=1
	v_bfe_u32 v3, v2, 16, 1
	s_delay_alu instid0(VALU_DEP_1)
	v_add3_u32 v78, v2, v3, 0x7fff
                                        ; implicit-def: $vgpr2
; %bb.2647:                             ;   in Loop: Header=BB430_1187 Depth=1
	s_and_not1_saveexec_b32 s9, s0
; %bb.2648:                             ;   in Loop: Header=BB430_1187 Depth=1
	v_and_b32_e32 v3, 0xffff, v2
	v_or_b32_e32 v9, 0x10000, v2
	s_delay_alu instid0(VALU_DEP_2) | instskip(NEXT) | instid1(VALU_DEP_1)
	v_cmp_eq_u32_e64 s0, 0, v3
	v_cndmask_b32_e64 v78, v9, v2, s0
; %bb.2649:                             ;   in Loop: Header=BB430_1187 Depth=1
	s_or_b32 exec_lo, exec_lo, s9
	flat_load_b64 v[0:1], v[0:1] offset:2816
	s_mov_b32 s9, exec_lo
	s_waitcnt vmcnt(0) lgkmcnt(0)
	v_dual_mov_b32 v2, 0 :: v_dual_and_b32 v3, 0xff, v0
	s_delay_alu instid0(VALU_DEP_1)
	v_cmpx_ne_u16_e32 0, v3
	s_cbranch_execz .LBB430_2657
; %bb.2650:                             ;   in Loop: Header=BB430_1187 Depth=1
	v_bfrev_b32_e32 v2, 1
	s_mov_b32 s12, exec_lo
	v_cmpx_ne_u16_e32 0x80, v3
	s_cbranch_execz .LBB430_2656
; %bb.2651:                             ;   in Loop: Header=BB430_1187 Depth=1
	v_and_b32_e32 v3, 0x7f, v0
	v_mov_b32_e32 v2, 0x7f800001
	s_mov_b32 s13, exec_lo
	s_delay_alu instid0(VALU_DEP_2)
	v_cmpx_ne_u32_e32 0x7f, v3
	s_cbranch_execz .LBB430_2655
; %bb.2652:                             ;   in Loop: Header=BB430_1187 Depth=1
	v_lshrrev_b32_e32 v9, 3, v3
	v_cmp_gt_u32_e64 s0, 8, v3
	v_dual_mov_b32 v3, v1 :: v_dual_mov_b32 v2, v0
	s_delay_alu instid0(VALU_DEP_2)
	s_and_saveexec_b32 s15, s0
; %bb.2653:                             ;   in Loop: Header=BB430_1187 Depth=1
	v_and_b32_e32 v2, 7, v0
	s_delay_alu instid0(VALU_DEP_1) | instskip(NEXT) | instid1(VALU_DEP_1)
	v_clz_i32_u32_e32 v2, v2
	v_min_u32_e32 v9, 32, v2
	s_delay_alu instid0(VALU_DEP_1) | instskip(SKIP_1) | instid1(VALU_DEP_2)
	v_subrev_nc_u32_e32 v2, 28, v9
	v_sub_nc_u32_e32 v9, 29, v9
	v_lshlrev_b64 v[2:3], v2, v[0:1]
; %bb.2654:                             ;   in Loop: Header=BB430_1187 Depth=1
	s_or_b32 exec_lo, exec_lo, s15
	s_delay_alu instid0(VALU_DEP_1) | instskip(SKIP_2) | instid1(VALU_DEP_3)
	v_lshlrev_b32_e32 v2, 20, v2
	v_lshlrev_b32_e32 v3, 24, v0
	v_lshl_add_u32 v9, v9, 23, 0x3c000000
	v_and_b32_e32 v2, 0x700000, v2
	s_delay_alu instid0(VALU_DEP_3) | instskip(NEXT) | instid1(VALU_DEP_1)
	v_and_b32_e32 v3, 0x80000000, v3
	v_or3_b32 v2, v2, v3, v9
.LBB430_2655:                           ;   in Loop: Header=BB430_1187 Depth=1
	s_or_b32 exec_lo, exec_lo, s13
.LBB430_2656:                           ;   in Loop: Header=BB430_1187 Depth=1
	s_delay_alu instid0(SALU_CYCLE_1)
	s_or_b32 exec_lo, exec_lo, s12
.LBB430_2657:                           ;   in Loop: Header=BB430_1187 Depth=1
	s_delay_alu instid0(SALU_CYCLE_1) | instskip(NEXT) | instid1(VALU_DEP_1)
	s_or_b32 exec_lo, exec_lo, s9
	v_mul_f32_e32 v2, v26, v2
                                        ; implicit-def: $vgpr79
	s_delay_alu instid0(VALU_DEP_1) | instskip(NEXT) | instid1(VALU_DEP_1)
	v_and_b32_e32 v3, 0x7f800000, v2
	v_cmp_ne_u32_e64 s0, 0x7f800000, v3
	s_delay_alu instid0(VALU_DEP_1) | instskip(NEXT) | instid1(SALU_CYCLE_1)
	s_and_saveexec_b32 s9, s0
	s_xor_b32 s0, exec_lo, s9
; %bb.2658:                             ;   in Loop: Header=BB430_1187 Depth=1
	v_bfe_u32 v3, v2, 16, 1
	s_delay_alu instid0(VALU_DEP_1)
	v_add3_u32 v79, v2, v3, 0x7fff
                                        ; implicit-def: $vgpr2
; %bb.2659:                             ;   in Loop: Header=BB430_1187 Depth=1
	s_and_not1_saveexec_b32 s9, s0
; %bb.2660:                             ;   in Loop: Header=BB430_1187 Depth=1
	v_and_b32_e32 v3, 0xffff, v2
	v_or_b32_e32 v9, 0x10000, v2
	s_delay_alu instid0(VALU_DEP_2) | instskip(NEXT) | instid1(VALU_DEP_1)
	v_cmp_eq_u32_e64 s0, 0, v3
	v_cndmask_b32_e64 v79, v9, v2, s0
; %bb.2661:                             ;   in Loop: Header=BB430_1187 Depth=1
	s_or_b32 exec_lo, exec_lo, s9
	v_lshrrev_b16 v3, 8, v0
	v_mov_b32_e32 v2, 0
	s_mov_b32 s9, exec_lo
	s_delay_alu instid0(VALU_DEP_2)
	v_cmpx_ne_u16_e32 0, v3
	s_cbranch_execz .LBB430_2669
; %bb.2662:                             ;   in Loop: Header=BB430_1187 Depth=1
	v_bfrev_b32_e32 v2, 1
	s_mov_b32 s12, exec_lo
	v_cmpx_ne_u16_e32 0x80, v3
	s_cbranch_execz .LBB430_2668
; %bb.2663:                             ;   in Loop: Header=BB430_1187 Depth=1
	v_and_b32_e32 v9, 0xffff, v3
	v_mov_b32_e32 v2, 0x7f800001
	s_mov_b32 s13, exec_lo
	s_delay_alu instid0(VALU_DEP_2) | instskip(NEXT) | instid1(VALU_DEP_1)
	v_and_b32_e32 v3, 0x7f, v9
	v_cmpx_ne_u32_e32 0x7f, v3
	s_cbranch_execz .LBB430_2667
; %bb.2664:                             ;   in Loop: Header=BB430_1187 Depth=1
	v_and_b32_e32 v9, 7, v9
	v_lshrrev_b32_e32 v88, 3, v3
	v_cmp_gt_u32_e64 s0, 8, v3
	s_delay_alu instid0(VALU_DEP_3) | instskip(NEXT) | instid1(VALU_DEP_2)
	v_dual_mov_b32 v2, v9 :: v_dual_mov_b32 v3, v10
	s_and_saveexec_b32 s15, s0
; %bb.2665:                             ;   in Loop: Header=BB430_1187 Depth=1
	v_clz_i32_u32_e32 v2, v9
	s_delay_alu instid0(VALU_DEP_1) | instskip(NEXT) | instid1(VALU_DEP_1)
	v_min_u32_e32 v88, 32, v2
	v_subrev_nc_u32_e32 v2, 28, v88
	v_sub_nc_u32_e32 v88, 29, v88
	s_delay_alu instid0(VALU_DEP_2) | instskip(NEXT) | instid1(VALU_DEP_1)
	v_lshlrev_b64 v[2:3], v2, v[9:10]
	v_and_b32_e32 v2, 7, v2
; %bb.2666:                             ;   in Loop: Header=BB430_1187 Depth=1
	s_or_b32 exec_lo, exec_lo, s15
	v_lshlrev_b32_e32 v3, 16, v0
	s_delay_alu instid0(VALU_DEP_2) | instskip(SKIP_1) | instid1(VALU_DEP_3)
	v_lshlrev_b32_e32 v2, 20, v2
	v_lshl_add_u32 v9, v88, 23, 0x3c000000
	v_and_b32_e32 v3, 0x80000000, v3
	s_delay_alu instid0(VALU_DEP_1)
	v_or3_b32 v2, v2, v3, v9
.LBB430_2667:                           ;   in Loop: Header=BB430_1187 Depth=1
	s_or_b32 exec_lo, exec_lo, s13
.LBB430_2668:                           ;   in Loop: Header=BB430_1187 Depth=1
	s_delay_alu instid0(SALU_CYCLE_1)
	s_or_b32 exec_lo, exec_lo, s12
.LBB430_2669:                           ;   in Loop: Header=BB430_1187 Depth=1
	s_delay_alu instid0(SALU_CYCLE_1) | instskip(NEXT) | instid1(VALU_DEP_1)
	s_or_b32 exec_lo, exec_lo, s9
	v_mul_f32_e32 v2, v26, v2
                                        ; implicit-def: $vgpr88
	s_delay_alu instid0(VALU_DEP_1) | instskip(NEXT) | instid1(VALU_DEP_1)
	v_and_b32_e32 v3, 0x7f800000, v2
	v_cmp_ne_u32_e64 s0, 0x7f800000, v3
	s_delay_alu instid0(VALU_DEP_1) | instskip(NEXT) | instid1(SALU_CYCLE_1)
	s_and_saveexec_b32 s9, s0
	s_xor_b32 s0, exec_lo, s9
; %bb.2670:                             ;   in Loop: Header=BB430_1187 Depth=1
	v_bfe_u32 v3, v2, 16, 1
	s_delay_alu instid0(VALU_DEP_1)
	v_add3_u32 v88, v2, v3, 0x7fff
                                        ; implicit-def: $vgpr2
; %bb.2671:                             ;   in Loop: Header=BB430_1187 Depth=1
	s_and_not1_saveexec_b32 s9, s0
; %bb.2672:                             ;   in Loop: Header=BB430_1187 Depth=1
	v_and_b32_e32 v3, 0xffff, v2
	v_or_b32_e32 v9, 0x10000, v2
	s_delay_alu instid0(VALU_DEP_2) | instskip(NEXT) | instid1(VALU_DEP_1)
	v_cmp_eq_u32_e64 s0, 0, v3
	v_cndmask_b32_e64 v88, v9, v2, s0
; %bb.2673:                             ;   in Loop: Header=BB430_1187 Depth=1
	s_or_b32 exec_lo, exec_lo, s9
	v_lshrrev_b32_e32 v89, 16, v0
	s_mov_b32 s9, exec_lo
	s_delay_alu instid0(VALU_DEP_1) | instskip(NEXT) | instid1(VALU_DEP_1)
	v_dual_mov_b32 v2, 0 :: v_dual_and_b32 v3, 0xff, v89
	v_cmpx_ne_u16_e32 0, v3
	s_cbranch_execz .LBB430_2681
; %bb.2674:                             ;   in Loop: Header=BB430_1187 Depth=1
	v_bfrev_b32_e32 v2, 1
	s_mov_b32 s12, exec_lo
	v_cmpx_ne_u16_e32 0x80, v3
	s_cbranch_execz .LBB430_2680
; %bb.2675:                             ;   in Loop: Header=BB430_1187 Depth=1
	v_bfe_u32 v3, v0, 16, 7
	v_mov_b32_e32 v2, 0x7f800001
	s_mov_b32 s13, exec_lo
	s_delay_alu instid0(VALU_DEP_2)
	v_cmpx_ne_u32_e32 0x7f, v3
	s_cbranch_execz .LBB430_2679
; %bb.2676:                             ;   in Loop: Header=BB430_1187 Depth=1
	v_and_b32_e32 v9, 7, v89
	v_lshrrev_b32_e32 v90, 3, v3
	v_cmp_gt_u32_e64 s0, 8, v3
	s_delay_alu instid0(VALU_DEP_3) | instskip(NEXT) | instid1(VALU_DEP_2)
	v_dual_mov_b32 v2, v9 :: v_dual_mov_b32 v3, v10
	s_and_saveexec_b32 s15, s0
; %bb.2677:                             ;   in Loop: Header=BB430_1187 Depth=1
	v_clz_i32_u32_e32 v2, v9
	s_delay_alu instid0(VALU_DEP_1) | instskip(NEXT) | instid1(VALU_DEP_1)
	v_min_u32_e32 v90, 32, v2
	v_subrev_nc_u32_e32 v2, 28, v90
	v_sub_nc_u32_e32 v90, 29, v90
	s_delay_alu instid0(VALU_DEP_2) | instskip(NEXT) | instid1(VALU_DEP_1)
	v_lshlrev_b64 v[2:3], v2, v[9:10]
	v_and_b32_e32 v2, 7, v2
; %bb.2678:                             ;   in Loop: Header=BB430_1187 Depth=1
	s_or_b32 exec_lo, exec_lo, s15
	v_lshlrev_b32_e32 v3, 24, v89
	s_delay_alu instid0(VALU_DEP_2) | instskip(SKIP_1) | instid1(VALU_DEP_3)
	v_lshlrev_b32_e32 v2, 20, v2
	v_lshl_add_u32 v9, v90, 23, 0x3c000000
	v_and_b32_e32 v3, 0x80000000, v3
	s_delay_alu instid0(VALU_DEP_1)
	v_or3_b32 v2, v2, v3, v9
.LBB430_2679:                           ;   in Loop: Header=BB430_1187 Depth=1
	s_or_b32 exec_lo, exec_lo, s13
.LBB430_2680:                           ;   in Loop: Header=BB430_1187 Depth=1
	s_delay_alu instid0(SALU_CYCLE_1)
	s_or_b32 exec_lo, exec_lo, s12
.LBB430_2681:                           ;   in Loop: Header=BB430_1187 Depth=1
	s_delay_alu instid0(SALU_CYCLE_1) | instskip(NEXT) | instid1(VALU_DEP_1)
	s_or_b32 exec_lo, exec_lo, s9
	v_mul_f32_e32 v2, v26, v2
                                        ; implicit-def: $vgpr89
	s_delay_alu instid0(VALU_DEP_1) | instskip(NEXT) | instid1(VALU_DEP_1)
	v_and_b32_e32 v3, 0x7f800000, v2
	v_cmp_ne_u32_e64 s0, 0x7f800000, v3
	s_delay_alu instid0(VALU_DEP_1) | instskip(NEXT) | instid1(SALU_CYCLE_1)
	s_and_saveexec_b32 s9, s0
	s_xor_b32 s0, exec_lo, s9
; %bb.2682:                             ;   in Loop: Header=BB430_1187 Depth=1
	v_bfe_u32 v3, v2, 16, 1
	s_delay_alu instid0(VALU_DEP_1)
	v_add3_u32 v89, v2, v3, 0x7fff
                                        ; implicit-def: $vgpr2
; %bb.2683:                             ;   in Loop: Header=BB430_1187 Depth=1
	s_and_not1_saveexec_b32 s9, s0
; %bb.2684:                             ;   in Loop: Header=BB430_1187 Depth=1
	v_and_b32_e32 v3, 0xffff, v2
	v_or_b32_e32 v9, 0x10000, v2
	s_delay_alu instid0(VALU_DEP_2) | instskip(NEXT) | instid1(VALU_DEP_1)
	v_cmp_eq_u32_e64 s0, 0, v3
	v_cndmask_b32_e64 v89, v9, v2, s0
; %bb.2685:                             ;   in Loop: Header=BB430_1187 Depth=1
	s_or_b32 exec_lo, exec_lo, s9
	v_mov_b32_e32 v2, 0
	s_mov_b32 s9, exec_lo
	v_cmpx_lt_u32_e32 0xffffff, v0
	s_cbranch_execz .LBB430_2693
; %bb.2686:                             ;   in Loop: Header=BB430_1187 Depth=1
	v_lshrrev_b32_e32 v90, 24, v0
	v_bfrev_b32_e32 v2, 1
	s_mov_b32 s12, exec_lo
	s_delay_alu instid0(VALU_DEP_2)
	v_cmpx_ne_u32_e32 0x80, v90
	s_cbranch_execz .LBB430_2692
; %bb.2687:                             ;   in Loop: Header=BB430_1187 Depth=1
	v_bfe_u32 v3, v0, 24, 7
	v_mov_b32_e32 v2, 0x7f800001
	s_mov_b32 s13, exec_lo
	s_delay_alu instid0(VALU_DEP_2)
	v_cmpx_ne_u32_e32 0x7f, v3
	s_cbranch_execz .LBB430_2691
; %bb.2688:                             ;   in Loop: Header=BB430_1187 Depth=1
	v_and_b32_e32 v9, 7, v90
	v_lshrrev_b32_e32 v91, 3, v3
	v_cmp_gt_u32_e64 s0, 8, v3
	s_delay_alu instid0(VALU_DEP_3) | instskip(NEXT) | instid1(VALU_DEP_2)
	v_dual_mov_b32 v2, v9 :: v_dual_mov_b32 v3, v10
	s_and_saveexec_b32 s15, s0
; %bb.2689:                             ;   in Loop: Header=BB430_1187 Depth=1
	v_clz_i32_u32_e32 v2, v9
	s_delay_alu instid0(VALU_DEP_1) | instskip(NEXT) | instid1(VALU_DEP_1)
	v_min_u32_e32 v91, 32, v2
	v_subrev_nc_u32_e32 v2, 28, v91
	v_sub_nc_u32_e32 v91, 29, v91
	s_delay_alu instid0(VALU_DEP_2) | instskip(NEXT) | instid1(VALU_DEP_1)
	v_lshlrev_b64 v[2:3], v2, v[9:10]
	v_and_b32_e32 v2, 7, v2
; %bb.2690:                             ;   in Loop: Header=BB430_1187 Depth=1
	s_or_b32 exec_lo, exec_lo, s15
	v_lshlrev_b32_e32 v3, 24, v90
	s_delay_alu instid0(VALU_DEP_2) | instskip(SKIP_1) | instid1(VALU_DEP_3)
	v_lshlrev_b32_e32 v2, 20, v2
	v_lshl_add_u32 v9, v91, 23, 0x3c000000
	v_and_b32_e32 v3, 0x80000000, v3
	s_delay_alu instid0(VALU_DEP_1)
	v_or3_b32 v2, v2, v3, v9
.LBB430_2691:                           ;   in Loop: Header=BB430_1187 Depth=1
	s_or_b32 exec_lo, exec_lo, s13
.LBB430_2692:                           ;   in Loop: Header=BB430_1187 Depth=1
	s_delay_alu instid0(SALU_CYCLE_1)
	s_or_b32 exec_lo, exec_lo, s12
.LBB430_2693:                           ;   in Loop: Header=BB430_1187 Depth=1
	s_delay_alu instid0(SALU_CYCLE_1) | instskip(NEXT) | instid1(VALU_DEP_1)
	s_or_b32 exec_lo, exec_lo, s9
	v_mul_f32_e32 v2, v26, v2
                                        ; implicit-def: $vgpr90
	s_delay_alu instid0(VALU_DEP_1) | instskip(NEXT) | instid1(VALU_DEP_1)
	v_and_b32_e32 v3, 0x7f800000, v2
	v_cmp_ne_u32_e64 s0, 0x7f800000, v3
	s_delay_alu instid0(VALU_DEP_1) | instskip(NEXT) | instid1(SALU_CYCLE_1)
	s_and_saveexec_b32 s9, s0
	s_xor_b32 s0, exec_lo, s9
; %bb.2694:                             ;   in Loop: Header=BB430_1187 Depth=1
	v_bfe_u32 v3, v2, 16, 1
	s_delay_alu instid0(VALU_DEP_1)
	v_add3_u32 v90, v2, v3, 0x7fff
                                        ; implicit-def: $vgpr2
; %bb.2695:                             ;   in Loop: Header=BB430_1187 Depth=1
	s_and_not1_saveexec_b32 s9, s0
; %bb.2696:                             ;   in Loop: Header=BB430_1187 Depth=1
	v_and_b32_e32 v3, 0xffff, v2
	v_or_b32_e32 v9, 0x10000, v2
	s_delay_alu instid0(VALU_DEP_2) | instskip(NEXT) | instid1(VALU_DEP_1)
	v_cmp_eq_u32_e64 s0, 0, v3
	v_cndmask_b32_e64 v90, v9, v2, s0
; %bb.2697:                             ;   in Loop: Header=BB430_1187 Depth=1
	s_or_b32 exec_lo, exec_lo, s9
	v_dual_mov_b32 v2, 0 :: v_dual_and_b32 v3, 0xff, v1
	v_mov_b32_e32 v9, v1
	s_mov_b32 s9, exec_lo
	s_delay_alu instid0(VALU_DEP_2)
	v_cmpx_ne_u16_e32 0, v3
	s_cbranch_execz .LBB430_2705
; %bb.2698:                             ;   in Loop: Header=BB430_1187 Depth=1
	v_bfrev_b32_e32 v2, 1
	s_mov_b32 s12, exec_lo
	v_cmpx_ne_u16_e32 0x80, v3
	s_cbranch_execz .LBB430_2704
; %bb.2699:                             ;   in Loop: Header=BB430_1187 Depth=1
	v_and_b32_e32 v3, 0x7f, v1
	v_mov_b32_e32 v2, 0x7f800001
	s_mov_b32 s13, exec_lo
	s_delay_alu instid0(VALU_DEP_2)
	v_cmpx_ne_u32_e32 0x7f, v3
	s_cbranch_execz .LBB430_2703
; %bb.2700:                             ;   in Loop: Header=BB430_1187 Depth=1
	v_lshrrev_b32_e32 v91, 3, v3
	v_cmp_gt_u32_e64 s0, 8, v3
	v_dual_mov_b32 v2, v9 :: v_dual_mov_b32 v3, v10
	s_delay_alu instid0(VALU_DEP_2)
	s_and_saveexec_b32 s15, s0
; %bb.2701:                             ;   in Loop: Header=BB430_1187 Depth=1
	v_and_b32_e32 v2, 7, v1
	s_delay_alu instid0(VALU_DEP_1) | instskip(NEXT) | instid1(VALU_DEP_1)
	v_clz_i32_u32_e32 v2, v2
	v_min_u32_e32 v91, 32, v2
	s_delay_alu instid0(VALU_DEP_1) | instskip(SKIP_1) | instid1(VALU_DEP_2)
	v_subrev_nc_u32_e32 v2, 28, v91
	v_sub_nc_u32_e32 v91, 29, v91
	v_lshlrev_b64 v[2:3], v2, v[9:10]
; %bb.2702:                             ;   in Loop: Header=BB430_1187 Depth=1
	s_or_b32 exec_lo, exec_lo, s15
	s_delay_alu instid0(VALU_DEP_1) | instskip(SKIP_2) | instid1(VALU_DEP_3)
	v_lshlrev_b32_e32 v2, 20, v2
	v_lshlrev_b32_e32 v3, 24, v9
	v_lshl_add_u32 v91, v91, 23, 0x3c000000
	v_and_b32_e32 v2, 0x700000, v2
	s_delay_alu instid0(VALU_DEP_3) | instskip(NEXT) | instid1(VALU_DEP_1)
	v_and_b32_e32 v3, 0x80000000, v3
	v_or3_b32 v2, v2, v3, v91
.LBB430_2703:                           ;   in Loop: Header=BB430_1187 Depth=1
	s_or_b32 exec_lo, exec_lo, s13
.LBB430_2704:                           ;   in Loop: Header=BB430_1187 Depth=1
	s_delay_alu instid0(SALU_CYCLE_1)
	s_or_b32 exec_lo, exec_lo, s12
.LBB430_2705:                           ;   in Loop: Header=BB430_1187 Depth=1
	s_delay_alu instid0(SALU_CYCLE_1) | instskip(NEXT) | instid1(VALU_DEP_1)
	s_or_b32 exec_lo, exec_lo, s9
	v_mul_f32_e32 v2, v26, v2
                                        ; implicit-def: $vgpr91
	s_delay_alu instid0(VALU_DEP_1) | instskip(NEXT) | instid1(VALU_DEP_1)
	v_and_b32_e32 v3, 0x7f800000, v2
	v_cmp_ne_u32_e64 s0, 0x7f800000, v3
	s_delay_alu instid0(VALU_DEP_1) | instskip(NEXT) | instid1(SALU_CYCLE_1)
	s_and_saveexec_b32 s9, s0
	s_xor_b32 s0, exec_lo, s9
; %bb.2706:                             ;   in Loop: Header=BB430_1187 Depth=1
	v_bfe_u32 v3, v2, 16, 1
	s_delay_alu instid0(VALU_DEP_1)
	v_add3_u32 v91, v2, v3, 0x7fff
                                        ; implicit-def: $vgpr2
; %bb.2707:                             ;   in Loop: Header=BB430_1187 Depth=1
	s_and_not1_saveexec_b32 s9, s0
; %bb.2708:                             ;   in Loop: Header=BB430_1187 Depth=1
	v_and_b32_e32 v3, 0xffff, v2
	v_or_b32_e32 v91, 0x10000, v2
	s_delay_alu instid0(VALU_DEP_2) | instskip(NEXT) | instid1(VALU_DEP_1)
	v_cmp_eq_u32_e64 s0, 0, v3
	v_cndmask_b32_e64 v91, v91, v2, s0
; %bb.2709:                             ;   in Loop: Header=BB430_1187 Depth=1
	s_or_b32 exec_lo, exec_lo, s9
	v_lshrrev_b16 v3, 8, v9
	v_mov_b32_e32 v2, 0
	s_mov_b32 s9, exec_lo
	s_delay_alu instid0(VALU_DEP_2)
	v_cmpx_ne_u16_e32 0, v3
	s_cbranch_execz .LBB430_2717
; %bb.2710:                             ;   in Loop: Header=BB430_1187 Depth=1
	v_bfrev_b32_e32 v2, 1
	s_mov_b32 s12, exec_lo
	v_cmpx_ne_u16_e32 0x80, v3
	s_cbranch_execz .LBB430_2716
; %bb.2711:                             ;   in Loop: Header=BB430_1187 Depth=1
	v_and_b32_e32 v3, 0xffff, v3
	v_mov_b32_e32 v2, 0x7f800001
	s_mov_b32 s13, exec_lo
	s_delay_alu instid0(VALU_DEP_2) | instskip(NEXT) | instid1(VALU_DEP_1)
	v_and_b32_e32 v93, 0x7f, v3
	v_cmpx_ne_u32_e32 0x7f, v93
	s_cbranch_execz .LBB430_2715
; %bb.2712:                             ;   in Loop: Header=BB430_1187 Depth=1
	v_dual_mov_b32 v3, v10 :: v_dual_and_b32 v2, 7, v3
	v_lshrrev_b32_e32 v92, 3, v93
	s_mov_b32 s15, exec_lo
	v_cmpx_gt_u32_e32 8, v93
; %bb.2713:                             ;   in Loop: Header=BB430_1187 Depth=1
	s_delay_alu instid0(VALU_DEP_3) | instskip(NEXT) | instid1(VALU_DEP_1)
	v_clz_i32_u32_e32 v92, v2
	v_min_u32_e32 v92, 32, v92
	s_delay_alu instid0(VALU_DEP_1) | instskip(SKIP_1) | instid1(VALU_DEP_2)
	v_subrev_nc_u32_e32 v93, 28, v92
	v_sub_nc_u32_e32 v92, 29, v92
	v_lshlrev_b64 v[2:3], v93, v[2:3]
	s_delay_alu instid0(VALU_DEP_1)
	v_and_b32_e32 v2, 7, v2
; %bb.2714:                             ;   in Loop: Header=BB430_1187 Depth=1
	s_or_b32 exec_lo, exec_lo, s15
	v_lshlrev_b32_e32 v3, 16, v9
	s_delay_alu instid0(VALU_DEP_2) | instskip(SKIP_1) | instid1(VALU_DEP_3)
	v_lshlrev_b32_e32 v2, 20, v2
	v_lshl_add_u32 v9, v92, 23, 0x3c000000
	v_and_b32_e32 v3, 0x80000000, v3
	s_delay_alu instid0(VALU_DEP_1)
	v_or3_b32 v2, v2, v3, v9
.LBB430_2715:                           ;   in Loop: Header=BB430_1187 Depth=1
	s_or_b32 exec_lo, exec_lo, s13
.LBB430_2716:                           ;   in Loop: Header=BB430_1187 Depth=1
	s_delay_alu instid0(SALU_CYCLE_1)
	s_or_b32 exec_lo, exec_lo, s12
.LBB430_2717:                           ;   in Loop: Header=BB430_1187 Depth=1
	s_delay_alu instid0(SALU_CYCLE_1) | instskip(NEXT) | instid1(VALU_DEP_1)
	s_or_b32 exec_lo, exec_lo, s9
	v_mul_f32_e32 v2, v26, v2
                                        ; implicit-def: $vgpr92
	s_delay_alu instid0(VALU_DEP_1) | instskip(NEXT) | instid1(VALU_DEP_1)
	v_and_b32_e32 v3, 0x7f800000, v2
	v_cmp_ne_u32_e64 s0, 0x7f800000, v3
	s_delay_alu instid0(VALU_DEP_1) | instskip(NEXT) | instid1(SALU_CYCLE_1)
	s_and_saveexec_b32 s9, s0
	s_xor_b32 s0, exec_lo, s9
; %bb.2718:                             ;   in Loop: Header=BB430_1187 Depth=1
	v_bfe_u32 v3, v2, 16, 1
	s_delay_alu instid0(VALU_DEP_1)
	v_add3_u32 v92, v2, v3, 0x7fff
                                        ; implicit-def: $vgpr2
; %bb.2719:                             ;   in Loop: Header=BB430_1187 Depth=1
	s_and_not1_saveexec_b32 s9, s0
; %bb.2720:                             ;   in Loop: Header=BB430_1187 Depth=1
	v_and_b32_e32 v3, 0xffff, v2
	v_or_b32_e32 v9, 0x10000, v2
	s_delay_alu instid0(VALU_DEP_2) | instskip(NEXT) | instid1(VALU_DEP_1)
	v_cmp_eq_u32_e64 s0, 0, v3
	v_cndmask_b32_e64 v92, v9, v2, s0
; %bb.2721:                             ;   in Loop: Header=BB430_1187 Depth=1
	s_or_b32 exec_lo, exec_lo, s9
	v_lshrrev_b32_e32 v93, 16, v1
	s_mov_b32 s9, exec_lo
	s_delay_alu instid0(VALU_DEP_1) | instskip(NEXT) | instid1(VALU_DEP_1)
	v_dual_mov_b32 v2, 0 :: v_dual_and_b32 v3, 0xff, v93
	v_cmpx_ne_u16_e32 0, v3
	s_cbranch_execz .LBB430_2729
; %bb.2722:                             ;   in Loop: Header=BB430_1187 Depth=1
	v_bfrev_b32_e32 v2, 1
	s_mov_b32 s12, exec_lo
	v_cmpx_ne_u16_e32 0x80, v3
	s_cbranch_execz .LBB430_2728
; %bb.2723:                             ;   in Loop: Header=BB430_1187 Depth=1
	v_bfe_u32 v3, v1, 16, 7
	v_mov_b32_e32 v2, 0x7f800001
	s_mov_b32 s13, exec_lo
	s_delay_alu instid0(VALU_DEP_2)
	v_cmpx_ne_u32_e32 0x7f, v3
	s_cbranch_execz .LBB430_2727
; %bb.2724:                             ;   in Loop: Header=BB430_1187 Depth=1
	v_and_b32_e32 v9, 7, v93
	v_lshrrev_b32_e32 v94, 3, v3
	v_cmp_gt_u32_e64 s0, 8, v3
	s_delay_alu instid0(VALU_DEP_3) | instskip(NEXT) | instid1(VALU_DEP_2)
	v_dual_mov_b32 v2, v9 :: v_dual_mov_b32 v3, v10
	s_and_saveexec_b32 s15, s0
; %bb.2725:                             ;   in Loop: Header=BB430_1187 Depth=1
	v_clz_i32_u32_e32 v2, v9
	s_delay_alu instid0(VALU_DEP_1) | instskip(NEXT) | instid1(VALU_DEP_1)
	v_min_u32_e32 v94, 32, v2
	v_subrev_nc_u32_e32 v2, 28, v94
	v_sub_nc_u32_e32 v94, 29, v94
	s_delay_alu instid0(VALU_DEP_2) | instskip(NEXT) | instid1(VALU_DEP_1)
	v_lshlrev_b64 v[2:3], v2, v[9:10]
	v_and_b32_e32 v2, 7, v2
; %bb.2726:                             ;   in Loop: Header=BB430_1187 Depth=1
	s_or_b32 exec_lo, exec_lo, s15
	v_lshlrev_b32_e32 v3, 24, v93
	s_delay_alu instid0(VALU_DEP_2) | instskip(SKIP_1) | instid1(VALU_DEP_3)
	v_lshlrev_b32_e32 v2, 20, v2
	v_lshl_add_u32 v9, v94, 23, 0x3c000000
	v_and_b32_e32 v3, 0x80000000, v3
	s_delay_alu instid0(VALU_DEP_1)
	v_or3_b32 v2, v2, v3, v9
.LBB430_2727:                           ;   in Loop: Header=BB430_1187 Depth=1
	s_or_b32 exec_lo, exec_lo, s13
.LBB430_2728:                           ;   in Loop: Header=BB430_1187 Depth=1
	s_delay_alu instid0(SALU_CYCLE_1)
	s_or_b32 exec_lo, exec_lo, s12
.LBB430_2729:                           ;   in Loop: Header=BB430_1187 Depth=1
	s_delay_alu instid0(SALU_CYCLE_1) | instskip(NEXT) | instid1(VALU_DEP_1)
	s_or_b32 exec_lo, exec_lo, s9
	v_mul_f32_e32 v3, v26, v2
	s_delay_alu instid0(VALU_DEP_1) | instskip(NEXT) | instid1(VALU_DEP_1)
	v_and_b32_e32 v2, 0x7f800000, v3
	v_cmp_ne_u32_e64 s0, 0x7f800000, v2
                                        ; implicit-def: $vgpr2
	s_delay_alu instid0(VALU_DEP_1) | instskip(NEXT) | instid1(SALU_CYCLE_1)
	s_and_saveexec_b32 s9, s0
	s_xor_b32 s0, exec_lo, s9
; %bb.2730:                             ;   in Loop: Header=BB430_1187 Depth=1
	v_bfe_u32 v2, v3, 16, 1
	s_delay_alu instid0(VALU_DEP_1)
	v_add3_u32 v2, v3, v2, 0x7fff
                                        ; implicit-def: $vgpr3
; %bb.2731:                             ;   in Loop: Header=BB430_1187 Depth=1
	s_and_not1_saveexec_b32 s9, s0
; %bb.2732:                             ;   in Loop: Header=BB430_1187 Depth=1
	v_and_b32_e32 v2, 0xffff, v3
	v_or_b32_e32 v9, 0x10000, v3
	s_delay_alu instid0(VALU_DEP_2) | instskip(NEXT) | instid1(VALU_DEP_1)
	v_cmp_eq_u32_e64 s0, 0, v2
	v_cndmask_b32_e64 v2, v9, v3, s0
; %bb.2733:                             ;   in Loop: Header=BB430_1187 Depth=1
	s_or_b32 exec_lo, exec_lo, s9
	v_cmp_lt_u64_e64 s0, s[2:3], v[0:1]
	v_mov_b32_e32 v0, 0
	s_delay_alu instid0(VALU_DEP_2)
	s_and_saveexec_b32 s9, s0
	s_cbranch_execz .LBB430_2741
; %bb.2734:                             ;   in Loop: Header=BB430_1187 Depth=1
	v_lshrrev_b32_e32 v3, 24, v1
	v_bfrev_b32_e32 v0, 1
	s_mov_b32 s12, exec_lo
	s_delay_alu instid0(VALU_DEP_2)
	v_cmpx_ne_u32_e32 0x80, v3
	s_cbranch_execz .LBB430_2740
; %bb.2735:                             ;   in Loop: Header=BB430_1187 Depth=1
	v_bfe_u32 v1, v1, 24, 7
	v_mov_b32_e32 v0, 0x7f800001
	s_mov_b32 s13, exec_lo
	s_delay_alu instid0(VALU_DEP_2)
	v_cmpx_ne_u32_e32 0x7f, v1
	s_cbranch_execz .LBB430_2739
; %bb.2736:                             ;   in Loop: Header=BB430_1187 Depth=1
	v_and_b32_e32 v9, 7, v3
	v_lshrrev_b32_e32 v93, 3, v1
	v_cmp_gt_u32_e64 s0, 8, v1
	s_delay_alu instid0(VALU_DEP_3) | instskip(NEXT) | instid1(VALU_DEP_2)
	v_dual_mov_b32 v0, v9 :: v_dual_mov_b32 v1, v10
	s_and_saveexec_b32 s15, s0
; %bb.2737:                             ;   in Loop: Header=BB430_1187 Depth=1
	v_clz_i32_u32_e32 v0, v9
	s_delay_alu instid0(VALU_DEP_1) | instskip(NEXT) | instid1(VALU_DEP_1)
	v_min_u32_e32 v93, 32, v0
	v_subrev_nc_u32_e32 v0, 28, v93
	v_sub_nc_u32_e32 v93, 29, v93
	s_delay_alu instid0(VALU_DEP_2) | instskip(NEXT) | instid1(VALU_DEP_1)
	v_lshlrev_b64 v[0:1], v0, v[9:10]
	v_and_b32_e32 v0, 7, v0
; %bb.2738:                             ;   in Loop: Header=BB430_1187 Depth=1
	s_or_b32 exec_lo, exec_lo, s15
	v_lshlrev_b32_e32 v1, 24, v3
	s_delay_alu instid0(VALU_DEP_2) | instskip(SKIP_1) | instid1(VALU_DEP_3)
	v_lshlrev_b32_e32 v0, 20, v0
	v_lshl_add_u32 v3, v93, 23, 0x3c000000
	v_and_b32_e32 v1, 0x80000000, v1
	s_delay_alu instid0(VALU_DEP_1)
	v_or3_b32 v0, v0, v1, v3
.LBB430_2739:                           ;   in Loop: Header=BB430_1187 Depth=1
	s_or_b32 exec_lo, exec_lo, s13
.LBB430_2740:                           ;   in Loop: Header=BB430_1187 Depth=1
	s_delay_alu instid0(SALU_CYCLE_1)
	s_or_b32 exec_lo, exec_lo, s12
.LBB430_2741:                           ;   in Loop: Header=BB430_1187 Depth=1
	s_delay_alu instid0(SALU_CYCLE_1) | instskip(NEXT) | instid1(VALU_DEP_1)
	s_or_b32 exec_lo, exec_lo, s9
	v_mul_f32_e32 v0, v26, v0
                                        ; implicit-def: $vgpr93
	s_delay_alu instid0(VALU_DEP_1) | instskip(NEXT) | instid1(VALU_DEP_1)
	v_and_b32_e32 v1, 0x7f800000, v0
	v_cmp_ne_u32_e64 s0, 0x7f800000, v1
	s_delay_alu instid0(VALU_DEP_1) | instskip(NEXT) | instid1(SALU_CYCLE_1)
	s_and_saveexec_b32 s9, s0
	s_xor_b32 s0, exec_lo, s9
; %bb.2742:                             ;   in Loop: Header=BB430_1187 Depth=1
	v_bfe_u32 v1, v0, 16, 1
	s_delay_alu instid0(VALU_DEP_1)
	v_add3_u32 v93, v0, v1, 0x7fff
                                        ; implicit-def: $vgpr0
; %bb.2743:                             ;   in Loop: Header=BB430_1187 Depth=1
	s_and_not1_saveexec_b32 s9, s0
; %bb.2744:                             ;   in Loop: Header=BB430_1187 Depth=1
	v_and_b32_e32 v1, 0xffff, v0
	v_or_b32_e32 v3, 0x10000, v0
	s_delay_alu instid0(VALU_DEP_2) | instskip(NEXT) | instid1(VALU_DEP_1)
	v_cmp_eq_u32_e64 s0, 0, v1
	v_cndmask_b32_e64 v93, v3, v0, s0
; %bb.2745:                             ;   in Loop: Header=BB430_1187 Depth=1
	s_or_b32 exec_lo, exec_lo, s9
	v_lshrrev_b32_e32 v92, 16, v92
	v_lshrrev_b32_e32 v9, 16, v91
	;; [unrolled: 1-line block ×8, first 2 shown]
	s_and_saveexec_b32 s0, vcc_lo
	s_cbranch_execz .LBB430_2747
; %bb.2746:                             ;   in Loop: Header=BB430_1187 Depth=1
	v_cmp_lt_i32_e32 vcc_lo, v64, v35
	v_cndmask_b32_e32 v0, 0, v0, vcc_lo
	v_cmp_lt_i32_e32 vcc_lo, v70, v35
	v_cndmask_b32_e32 v1, 0, v1, vcc_lo
	;; [unrolled: 2-line block ×8, first 2 shown]
.LBB430_2747:                           ;   in Loop: Header=BB430_1187 Depth=1
	s_or_b32 exec_lo, exec_lo, s0
	v_lshlrev_b32_e32 v0, 16, v0
	s_delay_alu instid0(VALU_DEP_1) | instskip(NEXT) | instid1(VALU_DEP_1)
	v_mul_f32_e32 v2, v71, v0
	v_and_b32_e32 v0, 0x7f800000, v2
	s_delay_alu instid0(VALU_DEP_1) | instskip(SKIP_1) | instid1(SALU_CYCLE_1)
	v_cmp_ne_u32_e32 vcc_lo, 0x7f800000, v0
                                        ; implicit-def: $vgpr0
	s_and_saveexec_b32 s0, vcc_lo
	s_xor_b32 s0, exec_lo, s0
; %bb.2748:                             ;   in Loop: Header=BB430_1187 Depth=1
	v_bfe_u32 v0, v2, 16, 1
	s_delay_alu instid0(VALU_DEP_1)
	v_add3_u32 v0, v2, v0, 0x7fff
                                        ; implicit-def: $vgpr2
; %bb.2749:                             ;   in Loop: Header=BB430_1187 Depth=1
	s_and_not1_saveexec_b32 s0, s0
; %bb.2750:                             ;   in Loop: Header=BB430_1187 Depth=1
	v_and_b32_e32 v0, 0xffff, v2
	v_or_b32_e32 v64, 0x10000, v2
	s_delay_alu instid0(VALU_DEP_2) | instskip(NEXT) | instid1(VALU_DEP_2)
	v_cmp_eq_u32_e32 vcc_lo, 0, v0
	v_cndmask_b32_e32 v0, v64, v2, vcc_lo
; %bb.2751:                             ;   in Loop: Header=BB430_1187 Depth=1
	s_or_b32 exec_lo, exec_lo, s0
	v_lshlrev_b32_e32 v1, 16, v1
	s_delay_alu instid0(VALU_DEP_1) | instskip(NEXT) | instid1(VALU_DEP_1)
	v_mul_f32_e32 v2, v80, v1
	v_and_b32_e32 v1, 0x7f800000, v2
	s_delay_alu instid0(VALU_DEP_1) | instskip(SKIP_1) | instid1(SALU_CYCLE_1)
	v_cmp_ne_u32_e32 vcc_lo, 0x7f800000, v1
                                        ; implicit-def: $vgpr1
	s_and_saveexec_b32 s0, vcc_lo
	s_xor_b32 s0, exec_lo, s0
; %bb.2752:                             ;   in Loop: Header=BB430_1187 Depth=1
	v_bfe_u32 v1, v2, 16, 1
	s_delay_alu instid0(VALU_DEP_1)
	v_add3_u32 v1, v2, v1, 0x7fff
                                        ; implicit-def: $vgpr2
; %bb.2753:                             ;   in Loop: Header=BB430_1187 Depth=1
	s_and_not1_saveexec_b32 s0, s0
; %bb.2754:                             ;   in Loop: Header=BB430_1187 Depth=1
	v_and_b32_e32 v1, 0xffff, v2
	v_or_b32_e32 v64, 0x10000, v2
	s_delay_alu instid0(VALU_DEP_2) | instskip(NEXT) | instid1(VALU_DEP_2)
	v_cmp_eq_u32_e32 vcc_lo, 0, v1
	v_cndmask_b32_e32 v1, v64, v2, vcc_lo
; %bb.2755:                             ;   in Loop: Header=BB430_1187 Depth=1
	s_or_b32 exec_lo, exec_lo, s0
	v_lshlrev_b32_e32 v2, 16, v89
	s_delay_alu instid0(VALU_DEP_1) | instskip(NEXT) | instid1(VALU_DEP_1)
	v_mul_f32_e32 v64, v81, v2
	v_and_b32_e32 v2, 0x7f800000, v64
	s_delay_alu instid0(VALU_DEP_1) | instskip(SKIP_1) | instid1(SALU_CYCLE_1)
	v_cmp_ne_u32_e32 vcc_lo, 0x7f800000, v2
                                        ; implicit-def: $vgpr2
	s_and_saveexec_b32 s0, vcc_lo
	s_xor_b32 s0, exec_lo, s0
; %bb.2756:                             ;   in Loop: Header=BB430_1187 Depth=1
	v_bfe_u32 v2, v64, 16, 1
	s_delay_alu instid0(VALU_DEP_1)
	v_add3_u32 v2, v64, v2, 0x7fff
                                        ; implicit-def: $vgpr64
; %bb.2757:                             ;   in Loop: Header=BB430_1187 Depth=1
	s_and_not1_saveexec_b32 s0, s0
; %bb.2758:                             ;   in Loop: Header=BB430_1187 Depth=1
	v_and_b32_e32 v2, 0xffff, v64
	v_or_b32_e32 v65, 0x10000, v64
	s_delay_alu instid0(VALU_DEP_2) | instskip(NEXT) | instid1(VALU_DEP_2)
	v_cmp_eq_u32_e32 vcc_lo, 0, v2
	v_cndmask_b32_e32 v2, v65, v64, vcc_lo
; %bb.2759:                             ;   in Loop: Header=BB430_1187 Depth=1
	s_or_b32 exec_lo, exec_lo, s0
	v_lshlrev_b32_e32 v3, 16, v3
	s_delay_alu instid0(VALU_DEP_1) | instskip(NEXT) | instid1(VALU_DEP_1)
	v_mul_f32_e32 v64, v82, v3
	v_and_b32_e32 v3, 0x7f800000, v64
	s_delay_alu instid0(VALU_DEP_1) | instskip(SKIP_1) | instid1(SALU_CYCLE_1)
	v_cmp_ne_u32_e32 vcc_lo, 0x7f800000, v3
                                        ; implicit-def: $vgpr3
	s_and_saveexec_b32 s0, vcc_lo
	s_xor_b32 s0, exec_lo, s0
; %bb.2760:                             ;   in Loop: Header=BB430_1187 Depth=1
	v_bfe_u32 v3, v64, 16, 1
	s_delay_alu instid0(VALU_DEP_1)
	v_add3_u32 v3, v64, v3, 0x7fff
                                        ; implicit-def: $vgpr64
; %bb.2761:                             ;   in Loop: Header=BB430_1187 Depth=1
	s_and_not1_saveexec_b32 s0, s0
; %bb.2762:                             ;   in Loop: Header=BB430_1187 Depth=1
	v_and_b32_e32 v3, 0xffff, v64
	v_or_b32_e32 v65, 0x10000, v64
	s_delay_alu instid0(VALU_DEP_2) | instskip(NEXT) | instid1(VALU_DEP_2)
	v_cmp_eq_u32_e32 vcc_lo, 0, v3
	v_cndmask_b32_e32 v3, v65, v64, vcc_lo
; %bb.2763:                             ;   in Loop: Header=BB430_1187 Depth=1
	s_or_b32 exec_lo, exec_lo, s0
	v_lshlrev_b32_e32 v9, 16, v9
	s_delay_alu instid0(VALU_DEP_1) | instskip(NEXT) | instid1(VALU_DEP_1)
	v_mul_f32_e32 v64, v83, v9
	v_and_b32_e32 v9, 0x7f800000, v64
	s_delay_alu instid0(VALU_DEP_1) | instskip(SKIP_1) | instid1(SALU_CYCLE_1)
	v_cmp_ne_u32_e32 vcc_lo, 0x7f800000, v9
                                        ; implicit-def: $vgpr9
	s_and_saveexec_b32 s0, vcc_lo
	s_xor_b32 s0, exec_lo, s0
; %bb.2764:                             ;   in Loop: Header=BB430_1187 Depth=1
	v_bfe_u32 v9, v64, 16, 1
	s_delay_alu instid0(VALU_DEP_1)
	v_add3_u32 v9, v64, v9, 0x7fff
                                        ; implicit-def: $vgpr64
; %bb.2765:                             ;   in Loop: Header=BB430_1187 Depth=1
	s_and_not1_saveexec_b32 s0, s0
; %bb.2766:                             ;   in Loop: Header=BB430_1187 Depth=1
	v_and_b32_e32 v9, 0xffff, v64
	v_or_b32_e32 v65, 0x10000, v64
	s_delay_alu instid0(VALU_DEP_2) | instskip(NEXT) | instid1(VALU_DEP_2)
	v_cmp_eq_u32_e32 vcc_lo, 0, v9
	v_cndmask_b32_e32 v9, v65, v64, vcc_lo
; %bb.2767:                             ;   in Loop: Header=BB430_1187 Depth=1
	s_or_b32 exec_lo, exec_lo, s0
	v_lshlrev_b32_e32 v64, 16, v92
	s_delay_alu instid0(VALU_DEP_1) | instskip(NEXT) | instid1(VALU_DEP_1)
	v_mul_f32_e32 v65, v84, v64
	v_and_b32_e32 v64, 0x7f800000, v65
	s_delay_alu instid0(VALU_DEP_1) | instskip(SKIP_1) | instid1(SALU_CYCLE_1)
	v_cmp_ne_u32_e32 vcc_lo, 0x7f800000, v64
                                        ; implicit-def: $vgpr64
	s_and_saveexec_b32 s0, vcc_lo
	s_xor_b32 s0, exec_lo, s0
; %bb.2768:                             ;   in Loop: Header=BB430_1187 Depth=1
	v_bfe_u32 v64, v65, 16, 1
	s_delay_alu instid0(VALU_DEP_1)
	v_add3_u32 v64, v65, v64, 0x7fff
                                        ; implicit-def: $vgpr65
; %bb.2769:                             ;   in Loop: Header=BB430_1187 Depth=1
	s_and_not1_saveexec_b32 s0, s0
; %bb.2770:                             ;   in Loop: Header=BB430_1187 Depth=1
	v_and_b32_e32 v64, 0xffff, v65
	v_or_b32_e32 v66, 0x10000, v65
	s_delay_alu instid0(VALU_DEP_2) | instskip(NEXT) | instid1(VALU_DEP_2)
	v_cmp_eq_u32_e32 vcc_lo, 0, v64
	v_cndmask_b32_e32 v64, v66, v65, vcc_lo
; %bb.2771:                             ;   in Loop: Header=BB430_1187 Depth=1
	s_or_b32 exec_lo, exec_lo, s0
	v_lshlrev_b32_e32 v65, 16, v88
	s_delay_alu instid0(VALU_DEP_1) | instskip(NEXT) | instid1(VALU_DEP_1)
	v_mul_f32_e32 v66, v85, v65
	v_and_b32_e32 v65, 0x7f800000, v66
	s_delay_alu instid0(VALU_DEP_1) | instskip(SKIP_1) | instid1(SALU_CYCLE_1)
	v_cmp_ne_u32_e32 vcc_lo, 0x7f800000, v65
                                        ; implicit-def: $vgpr65
	s_and_saveexec_b32 s0, vcc_lo
	s_xor_b32 s0, exec_lo, s0
; %bb.2772:                             ;   in Loop: Header=BB430_1187 Depth=1
	v_bfe_u32 v65, v66, 16, 1
	s_delay_alu instid0(VALU_DEP_1)
	v_add3_u32 v65, v66, v65, 0x7fff
                                        ; implicit-def: $vgpr66
; %bb.2773:                             ;   in Loop: Header=BB430_1187 Depth=1
	s_and_not1_saveexec_b32 s0, s0
; %bb.2774:                             ;   in Loop: Header=BB430_1187 Depth=1
	v_and_b32_e32 v65, 0xffff, v66
	v_or_b32_e32 v67, 0x10000, v66
	s_delay_alu instid0(VALU_DEP_2) | instskip(NEXT) | instid1(VALU_DEP_2)
	v_cmp_eq_u32_e32 vcc_lo, 0, v65
	v_cndmask_b32_e32 v65, v67, v66, vcc_lo
; %bb.2775:                             ;   in Loop: Header=BB430_1187 Depth=1
	s_or_b32 exec_lo, exec_lo, s0
	v_lshlrev_b32_e32 v66, 16, v79
	s_delay_alu instid0(VALU_DEP_1) | instskip(NEXT) | instid1(VALU_DEP_1)
	v_mul_f32_e32 v67, v86, v66
	v_and_b32_e32 v66, 0x7f800000, v67
	s_delay_alu instid0(VALU_DEP_1) | instskip(SKIP_1) | instid1(SALU_CYCLE_1)
	v_cmp_ne_u32_e32 vcc_lo, 0x7f800000, v66
                                        ; implicit-def: $vgpr66
	s_and_saveexec_b32 s0, vcc_lo
	s_xor_b32 s0, exec_lo, s0
; %bb.2776:                             ;   in Loop: Header=BB430_1187 Depth=1
	v_bfe_u32 v66, v67, 16, 1
	s_delay_alu instid0(VALU_DEP_1)
	v_add3_u32 v66, v67, v66, 0x7fff
                                        ; implicit-def: $vgpr67
; %bb.2777:                             ;   in Loop: Header=BB430_1187 Depth=1
	s_and_not1_saveexec_b32 s0, s0
	s_cbranch_execz .LBB430_1186
; %bb.2778:                             ;   in Loop: Header=BB430_1187 Depth=1
	v_and_b32_e32 v66, 0xffff, v67
	v_or_b32_e32 v68, 0x10000, v67
	s_delay_alu instid0(VALU_DEP_2) | instskip(NEXT) | instid1(VALU_DEP_2)
	v_cmp_eq_u32_e32 vcc_lo, 0, v66
	v_cndmask_b32_e32 v66, v68, v67, vcc_lo
	s_branch .LBB430_1186
.LBB430_2779:
	s_or_b32 exec_lo, exec_lo, s8
	v_dual_mov_b32 v0, s10 :: v_dual_mov_b32 v1, s11
.LBB430_2780:
	s_or_b32 exec_lo, exec_lo, s7
	s_delay_alu instid0(VALU_DEP_1)
	v_lshlrev_b64 v[0:1], 2, v[0:1]
	s_getpc_b64 s[2:3]
	s_add_u32 s2, s2, llvm.amdgcn.dynlds.offset.table@rel32@lo+4
	s_addc_u32 s3, s3, llvm.amdgcn.dynlds.offset.table@rel32@hi+12
	s_waitcnt lgkmcnt(0)
	s_waitcnt_vscnt null, 0x0
	s_barrier
	buffer_gl0_inv
	ds_bpermute_b32 v3, v19, v39
	v_add_co_u32 v0, vcc_lo, v0, s2
	v_add_co_ci_u32_e32 v1, vcc_lo, s3, v1, vcc_lo
	ds_bpermute_b32 v6, v19, v29
	ds_bpermute_b32 v14, v19, v25
	;; [unrolled: 1-line block ×3, first 2 shown]
	global_load_b32 v13, v[0:1], off
	scratch_load_b32 v1, off, s32 offset:424 ; 4-byte Folded Reload
	ds_bpermute_b32 v0, v19, v38
	ds_bpermute_b32 v4, v19, v31
	ds_bpermute_b32 v5, v19, v30
	ds_bpermute_b32 v7, v19, v28
	ds_bpermute_b32 v15, v19, v24
	ds_bpermute_b32 v16, v19, v23
	ds_bpermute_b32 v17, v19, v21
	ds_bpermute_b32 v19, v19, v20
	s_waitcnt lgkmcnt(8)
	v_dual_add_f32 v11, v39, v3 :: v_dual_add_f32 v12, v48, v2
	s_waitcnt lgkmcnt(7)
	v_add_f32_e32 v0, v38, v0
	s_waitcnt lgkmcnt(5)
	v_dual_add_f32 v10, v31, v4 :: v_dual_add_f32 v9, v30, v5
	s_waitcnt lgkmcnt(4)
	v_add_f32_e32 v7, v28, v7
	s_waitcnt lgkmcnt(2)
	v_dual_add_f32 v5, v24, v15 :: v_dual_add_f32 v4, v23, v16
	s_waitcnt lgkmcnt(0)
	v_dual_add_f32 v3, v21, v17 :: v_dual_add_f32 v2, v20, v19
	s_waitcnt vmcnt(0)
	v_and_b32_e32 v8, 0x3c1, v1
	v_lshrrev_b32_e32 v1, 1, v18
	s_delay_alu instid0(VALU_DEP_2)
	v_cmp_eq_u32_e32 vcc_lo, 64, v8
	v_add_f32_e32 v8, v29, v6
	v_add_f32_e32 v6, v25, v14
	scratch_load_b32 v14, off, s32 offset:428 ; 4-byte Folded Reload
	s_waitcnt vmcnt(0)
	v_mad_u32_u24 v13, 0x300, v14, v13
	v_lshlrev_b32_e32 v14, 2, v1
	s_and_saveexec_b32 s0, vcc_lo
	s_cbranch_execz .LBB430_2782
; %bb.2781:
	s_delay_alu instid0(VALU_DEP_1)
	v_add3_u32 v15, v13, v14, 0xfffffa00
	ds_store_2addr_b32 v15, v0, v12 offset1:16
	ds_store_2addr_b32 v15, v11, v10 offset0:32 offset1:48
	ds_store_2addr_b32 v15, v9, v8 offset0:64 offset1:80
	;; [unrolled: 1-line block ×5, first 2 shown]
.LBB430_2782:
	s_or_b32 exec_lo, exec_lo, s0
	scratch_load_b32 v15, off, s32 offset:432 ; 4-byte Folded Reload
	s_mov_b32 s2, exec_lo
	s_waitcnt vmcnt(0)
	v_cmp_eq_u32_e32 vcc_lo, 0, v15
	scratch_load_b32 v15, off, s32 offset:424 ; 4-byte Folded Reload
	s_waitcnt vmcnt(0) lgkmcnt(0)
	s_barrier
	buffer_gl0_inv
	v_cmpx_gt_u32_e32 64, v15
	s_cbranch_execz .LBB430_2797
; %bb.2783:
	s_and_saveexec_b32 s0, vcc_lo
	s_cbranch_execnz .LBB430_2866
; %bb.2784:
	s_or_b32 exec_lo, exec_lo, s0
	s_and_saveexec_b32 s0, vcc_lo
	s_cbranch_execnz .LBB430_2867
.LBB430_2785:
	s_or_b32 exec_lo, exec_lo, s0
	s_and_saveexec_b32 s0, vcc_lo
	s_cbranch_execnz .LBB430_2868
.LBB430_2786:
	s_or_b32 exec_lo, exec_lo, s0
	s_and_saveexec_b32 s0, vcc_lo
	s_cbranch_execnz .LBB430_2869
.LBB430_2787:
	s_or_b32 exec_lo, exec_lo, s0
	s_and_saveexec_b32 s0, vcc_lo
	s_cbranch_execnz .LBB430_2870
.LBB430_2788:
	s_or_b32 exec_lo, exec_lo, s0
	s_and_saveexec_b32 s0, vcc_lo
	s_cbranch_execnz .LBB430_2871
.LBB430_2789:
	s_or_b32 exec_lo, exec_lo, s0
	s_and_saveexec_b32 s0, vcc_lo
	s_cbranch_execnz .LBB430_2872
.LBB430_2790:
	s_or_b32 exec_lo, exec_lo, s0
	s_and_saveexec_b32 s0, vcc_lo
	s_cbranch_execnz .LBB430_2873
.LBB430_2791:
	s_or_b32 exec_lo, exec_lo, s0
	s_and_saveexec_b32 s0, vcc_lo
	s_cbranch_execnz .LBB430_2874
.LBB430_2792:
	s_or_b32 exec_lo, exec_lo, s0
	s_and_saveexec_b32 s0, vcc_lo
	s_cbranch_execnz .LBB430_2875
.LBB430_2793:
	s_or_b32 exec_lo, exec_lo, s0
	s_and_saveexec_b32 s0, vcc_lo
	s_cbranch_execnz .LBB430_2876
.LBB430_2794:
	s_or_b32 exec_lo, exec_lo, s0
	s_and_saveexec_b32 s0, vcc_lo
	s_cbranch_execz .LBB430_2796
.LBB430_2795:
	v_lshl_add_u32 v15, v1, 2, v13
	ds_load_b32 v15, v15 offset:704
	s_waitcnt lgkmcnt(0)
	v_add_f32_e32 v2, v15, v2
.LBB430_2796:
	s_or_b32 exec_lo, exec_lo, s0
.LBB430_2797:
	s_delay_alu instid0(SALU_CYCLE_1)
	s_or_b32 exec_lo, exec_lo, s2
	scratch_load_b32 v15, off, s32 offset:424 ; 4-byte Folded Reload
	s_mov_b32 s2, exec_lo
	s_waitcnt vmcnt(0)
	s_barrier
	buffer_gl0_inv
	v_and_b32_e32 v15, 0x3e1, v15
	s_delay_alu instid0(VALU_DEP_1)
	v_cmpx_eq_u32_e32 32, v15
	s_cbranch_execz .LBB430_2799
; %bb.2798:
	v_add3_u32 v14, v13, v14, 0xfffffd00
	ds_store_2addr_b32 v14, v0, v12 offset1:16
	ds_store_2addr_b32 v14, v11, v10 offset0:32 offset1:48
	ds_store_2addr_b32 v14, v9, v8 offset0:64 offset1:80
	;; [unrolled: 1-line block ×5, first 2 shown]
.LBB430_2799:
	s_or_b32 exec_lo, exec_lo, s2
	scratch_load_b32 v14, off, s32 offset:424 ; 4-byte Folded Reload
	s_waitcnt vmcnt(0) lgkmcnt(0)
	s_barrier
	buffer_gl0_inv
	v_cmp_gt_u32_e64 s0, 32, v14
	s_delay_alu instid0(VALU_DEP_1)
	s_and_saveexec_b32 s2, s0
	s_cbranch_execz .LBB430_2814
; %bb.2800:
	v_lshl_add_u32 v1, v1, 2, v13
	s_and_saveexec_b32 s3, vcc_lo
	s_cbranch_execnz .LBB430_2877
; %bb.2801:
	s_or_b32 exec_lo, exec_lo, s3
	s_and_saveexec_b32 s3, vcc_lo
	s_cbranch_execnz .LBB430_2878
.LBB430_2802:
	s_or_b32 exec_lo, exec_lo, s3
	s_and_saveexec_b32 s3, vcc_lo
	s_cbranch_execnz .LBB430_2879
.LBB430_2803:
	s_or_b32 exec_lo, exec_lo, s3
	s_and_saveexec_b32 s3, vcc_lo
	s_cbranch_execnz .LBB430_2880
.LBB430_2804:
	s_or_b32 exec_lo, exec_lo, s3
	s_and_saveexec_b32 s3, vcc_lo
	s_cbranch_execnz .LBB430_2881
.LBB430_2805:
	s_or_b32 exec_lo, exec_lo, s3
	s_and_saveexec_b32 s3, vcc_lo
	s_cbranch_execnz .LBB430_2882
.LBB430_2806:
	s_or_b32 exec_lo, exec_lo, s3
	s_and_saveexec_b32 s3, vcc_lo
	s_cbranch_execnz .LBB430_2883
.LBB430_2807:
	s_or_b32 exec_lo, exec_lo, s3
	s_and_saveexec_b32 s3, vcc_lo
	s_cbranch_execnz .LBB430_2884
.LBB430_2808:
	s_or_b32 exec_lo, exec_lo, s3
	s_and_saveexec_b32 s3, vcc_lo
	s_cbranch_execnz .LBB430_2885
.LBB430_2809:
	s_or_b32 exec_lo, exec_lo, s3
	s_and_saveexec_b32 s3, vcc_lo
	s_cbranch_execnz .LBB430_2886
.LBB430_2810:
	s_or_b32 exec_lo, exec_lo, s3
	s_and_saveexec_b32 s3, vcc_lo
	s_cbranch_execnz .LBB430_2887
.LBB430_2811:
	s_or_b32 exec_lo, exec_lo, s3
	s_and_saveexec_b32 s3, vcc_lo
	s_cbranch_execz .LBB430_2813
.LBB430_2812:
	ds_load_b32 v1, v1 offset:704
	s_waitcnt lgkmcnt(0)
	v_add_f32_e32 v2, v1, v2
.LBB430_2813:
	s_or_b32 exec_lo, exec_lo, s3
.LBB430_2814:
	s_delay_alu instid0(SALU_CYCLE_1)
	s_or_b32 exec_lo, exec_lo, s2
	s_barrier
	buffer_gl0_inv
	s_and_b32 exec_lo, exec_lo, s0
	s_cbranch_execz .LBB430_2865
; %bb.2815:
	s_and_b32 exec_lo, exec_lo, vcc_lo
	s_cbranch_execz .LBB430_2865
; %bb.2816:
	v_and_b32_e32 v1, 0x7f800000, v0
	s_mov_b32 s0, exec_lo
                                        ; implicit-def: $vgpr13
	s_delay_alu instid0(VALU_DEP_1)
	v_cmpx_ne_u32_e32 0x7f800000, v1
	s_xor_b32 s0, exec_lo, s0
; %bb.2817:
	v_bfe_u32 v1, v0, 16, 1
	s_delay_alu instid0(VALU_DEP_1)
	v_add3_u32 v13, v0, v1, 0x7fff
                                        ; implicit-def: $vgpr0
; %bb.2818:
	s_and_not1_saveexec_b32 s0, s0
; %bb.2819:
	v_and_b32_e32 v1, 0xffff, v0
	v_or_b32_e32 v13, 0x10000, v0
	s_delay_alu instid0(VALU_DEP_2) | instskip(NEXT) | instid1(VALU_DEP_2)
	v_cmp_eq_u32_e32 vcc_lo, 0, v1
	v_cndmask_b32_e32 v13, v13, v0, vcc_lo
; %bb.2820:
	s_or_b32 exec_lo, exec_lo, s0
	s_mul_i32 s2, s1, s4
	s_mul_i32 s0, s6, s1
	;; [unrolled: 1-line block ×5, first 2 shown]
	s_ashr_i32 s1, s0, 31
	s_ashr_i32 s3, s2, 31
	;; [unrolled: 1-line block ×3, first 2 shown]
	s_lshl_b64 s[0:1], s[0:1], 1
	s_lshl_b64 s[2:3], s[2:3], 1
	;; [unrolled: 1-line block ×3, first 2 shown]
	s_add_u32 s0, s2, s0
	s_addc_u32 s1, s3, s1
	s_add_u32 s0, s0, s6
	s_addc_u32 s1, s1, s7
	v_lshlrev_b32_e32 v0, 1, v105
	v_add_co_u32 v1, vcc_lo, s0, v104
	v_add_co_ci_u32_e32 v14, vcc_lo, s1, v95, vcc_lo
	v_and_b32_e32 v15, 0x7f800000, v12
	s_delay_alu instid0(VALU_DEP_3) | instskip(NEXT) | instid1(VALU_DEP_3)
	v_add_co_u32 v0, vcc_lo, v1, v0
	v_add_co_ci_u32_e32 v1, vcc_lo, 0, v14, vcc_lo
	s_mov_b32 s0, exec_lo
	flat_store_d16_hi_b16 v[0:1], v13
                                        ; implicit-def: $vgpr13
	v_cmpx_ne_u32_e32 0x7f800000, v15
	s_xor_b32 s0, exec_lo, s0
; %bb.2821:
	v_bfe_u32 v13, v12, 16, 1
	s_delay_alu instid0(VALU_DEP_1)
	v_add3_u32 v13, v12, v13, 0x7fff
                                        ; implicit-def: $vgpr12
; %bb.2822:
	s_and_not1_saveexec_b32 s0, s0
; %bb.2823:
	v_and_b32_e32 v13, 0xffff, v12
	v_or_b32_e32 v14, 0x10000, v12
	s_delay_alu instid0(VALU_DEP_2) | instskip(NEXT) | instid1(VALU_DEP_2)
	v_cmp_eq_u32_e32 vcc_lo, 0, v13
	v_cndmask_b32_e32 v13, v14, v12, vcc_lo
; %bb.2824:
	s_or_b32 exec_lo, exec_lo, s0
	v_and_b32_e32 v12, 0x7f800000, v11
	flat_store_d16_hi_b16 v[0:1], v13 offset:32
	v_cmp_ne_u32_e32 vcc_lo, 0x7f800000, v12
                                        ; implicit-def: $vgpr12
	s_and_saveexec_b32 s0, vcc_lo
	s_delay_alu instid0(SALU_CYCLE_1)
	s_xor_b32 s0, exec_lo, s0
; %bb.2825:
	v_bfe_u32 v12, v11, 16, 1
	s_delay_alu instid0(VALU_DEP_1)
	v_add3_u32 v12, v11, v12, 0x7fff
                                        ; implicit-def: $vgpr11
; %bb.2826:
	s_and_not1_saveexec_b32 s0, s0
; %bb.2827:
	v_and_b32_e32 v12, 0xffff, v11
	v_or_b32_e32 v13, 0x10000, v11
	s_delay_alu instid0(VALU_DEP_2) | instskip(NEXT) | instid1(VALU_DEP_2)
	v_cmp_eq_u32_e32 vcc_lo, 0, v12
	v_cndmask_b32_e32 v12, v13, v11, vcc_lo
; %bb.2828:
	s_or_b32 exec_lo, exec_lo, s0
	v_and_b32_e32 v11, 0x7f800000, v10
	flat_store_d16_hi_b16 v[0:1], v12 offset:64
	v_cmp_ne_u32_e32 vcc_lo, 0x7f800000, v11
                                        ; implicit-def: $vgpr11
	s_and_saveexec_b32 s0, vcc_lo
	s_delay_alu instid0(SALU_CYCLE_1)
	s_xor_b32 s0, exec_lo, s0
; %bb.2829:
	v_bfe_u32 v11, v10, 16, 1
	s_delay_alu instid0(VALU_DEP_1)
	v_add3_u32 v11, v10, v11, 0x7fff
                                        ; implicit-def: $vgpr10
; %bb.2830:
	s_and_not1_saveexec_b32 s0, s0
; %bb.2831:
	v_and_b32_e32 v11, 0xffff, v10
	v_or_b32_e32 v12, 0x10000, v10
	s_delay_alu instid0(VALU_DEP_2) | instskip(NEXT) | instid1(VALU_DEP_2)
	v_cmp_eq_u32_e32 vcc_lo, 0, v11
	v_cndmask_b32_e32 v11, v12, v10, vcc_lo
; %bb.2832:
	s_or_b32 exec_lo, exec_lo, s0
	v_and_b32_e32 v10, 0x7f800000, v9
	flat_store_d16_hi_b16 v[0:1], v11 offset:96
	v_cmp_ne_u32_e32 vcc_lo, 0x7f800000, v10
                                        ; implicit-def: $vgpr10
	s_and_saveexec_b32 s0, vcc_lo
	s_delay_alu instid0(SALU_CYCLE_1)
	s_xor_b32 s0, exec_lo, s0
; %bb.2833:
	v_bfe_u32 v10, v9, 16, 1
	s_delay_alu instid0(VALU_DEP_1)
	v_add3_u32 v10, v9, v10, 0x7fff
                                        ; implicit-def: $vgpr9
; %bb.2834:
	s_and_not1_saveexec_b32 s0, s0
; %bb.2835:
	v_and_b32_e32 v10, 0xffff, v9
	v_or_b32_e32 v11, 0x10000, v9
	s_delay_alu instid0(VALU_DEP_2) | instskip(NEXT) | instid1(VALU_DEP_2)
	v_cmp_eq_u32_e32 vcc_lo, 0, v10
	v_cndmask_b32_e32 v10, v11, v9, vcc_lo
; %bb.2836:
	s_or_b32 exec_lo, exec_lo, s0
	v_and_b32_e32 v9, 0x7f800000, v8
	flat_store_d16_hi_b16 v[0:1], v10 offset:128
	v_cmp_ne_u32_e32 vcc_lo, 0x7f800000, v9
                                        ; implicit-def: $vgpr9
	s_and_saveexec_b32 s0, vcc_lo
	s_delay_alu instid0(SALU_CYCLE_1)
	s_xor_b32 s0, exec_lo, s0
; %bb.2837:
	v_bfe_u32 v9, v8, 16, 1
	s_delay_alu instid0(VALU_DEP_1)
	v_add3_u32 v9, v8, v9, 0x7fff
                                        ; implicit-def: $vgpr8
; %bb.2838:
	s_and_not1_saveexec_b32 s0, s0
; %bb.2839:
	v_and_b32_e32 v9, 0xffff, v8
	v_or_b32_e32 v10, 0x10000, v8
	s_delay_alu instid0(VALU_DEP_2) | instskip(NEXT) | instid1(VALU_DEP_2)
	v_cmp_eq_u32_e32 vcc_lo, 0, v9
	v_cndmask_b32_e32 v9, v10, v8, vcc_lo
; %bb.2840:
	s_or_b32 exec_lo, exec_lo, s0
	v_and_b32_e32 v8, 0x7f800000, v7
	flat_store_d16_hi_b16 v[0:1], v9 offset:160
	v_cmp_ne_u32_e32 vcc_lo, 0x7f800000, v8
                                        ; implicit-def: $vgpr8
	s_and_saveexec_b32 s0, vcc_lo
	s_delay_alu instid0(SALU_CYCLE_1)
	s_xor_b32 s0, exec_lo, s0
; %bb.2841:
	v_bfe_u32 v8, v7, 16, 1
	s_delay_alu instid0(VALU_DEP_1)
	v_add3_u32 v8, v7, v8, 0x7fff
                                        ; implicit-def: $vgpr7
; %bb.2842:
	s_and_not1_saveexec_b32 s0, s0
; %bb.2843:
	v_and_b32_e32 v8, 0xffff, v7
	v_or_b32_e32 v9, 0x10000, v7
	s_delay_alu instid0(VALU_DEP_2) | instskip(NEXT) | instid1(VALU_DEP_2)
	v_cmp_eq_u32_e32 vcc_lo, 0, v8
	v_cndmask_b32_e32 v8, v9, v7, vcc_lo
; %bb.2844:
	s_or_b32 exec_lo, exec_lo, s0
	v_and_b32_e32 v7, 0x7f800000, v6
	flat_store_d16_hi_b16 v[0:1], v8 offset:192
	v_cmp_ne_u32_e32 vcc_lo, 0x7f800000, v7
                                        ; implicit-def: $vgpr7
	s_and_saveexec_b32 s0, vcc_lo
	s_delay_alu instid0(SALU_CYCLE_1)
	s_xor_b32 s0, exec_lo, s0
; %bb.2845:
	v_bfe_u32 v7, v6, 16, 1
	s_delay_alu instid0(VALU_DEP_1)
	v_add3_u32 v7, v6, v7, 0x7fff
                                        ; implicit-def: $vgpr6
; %bb.2846:
	s_and_not1_saveexec_b32 s0, s0
; %bb.2847:
	v_and_b32_e32 v7, 0xffff, v6
	v_or_b32_e32 v8, 0x10000, v6
	s_delay_alu instid0(VALU_DEP_2) | instskip(NEXT) | instid1(VALU_DEP_2)
	v_cmp_eq_u32_e32 vcc_lo, 0, v7
	v_cndmask_b32_e32 v7, v8, v6, vcc_lo
; %bb.2848:
	s_or_b32 exec_lo, exec_lo, s0
	v_and_b32_e32 v6, 0x7f800000, v5
	flat_store_d16_hi_b16 v[0:1], v7 offset:224
	v_cmp_ne_u32_e32 vcc_lo, 0x7f800000, v6
                                        ; implicit-def: $vgpr6
	s_and_saveexec_b32 s0, vcc_lo
	s_delay_alu instid0(SALU_CYCLE_1)
	s_xor_b32 s0, exec_lo, s0
; %bb.2849:
	v_bfe_u32 v6, v5, 16, 1
	s_delay_alu instid0(VALU_DEP_1)
	v_add3_u32 v6, v5, v6, 0x7fff
                                        ; implicit-def: $vgpr5
; %bb.2850:
	s_and_not1_saveexec_b32 s0, s0
; %bb.2851:
	v_and_b32_e32 v6, 0xffff, v5
	v_or_b32_e32 v7, 0x10000, v5
	s_delay_alu instid0(VALU_DEP_2) | instskip(NEXT) | instid1(VALU_DEP_2)
	v_cmp_eq_u32_e32 vcc_lo, 0, v6
	v_cndmask_b32_e32 v6, v7, v5, vcc_lo
; %bb.2852:
	s_or_b32 exec_lo, exec_lo, s0
	v_and_b32_e32 v5, 0x7f800000, v4
	flat_store_d16_hi_b16 v[0:1], v6 offset:256
	v_cmp_ne_u32_e32 vcc_lo, 0x7f800000, v5
                                        ; implicit-def: $vgpr5
	s_and_saveexec_b32 s0, vcc_lo
	s_delay_alu instid0(SALU_CYCLE_1)
	s_xor_b32 s0, exec_lo, s0
; %bb.2853:
	v_bfe_u32 v5, v4, 16, 1
	s_delay_alu instid0(VALU_DEP_1)
	v_add3_u32 v5, v4, v5, 0x7fff
                                        ; implicit-def: $vgpr4
; %bb.2854:
	s_and_not1_saveexec_b32 s0, s0
; %bb.2855:
	v_and_b32_e32 v5, 0xffff, v4
	v_or_b32_e32 v6, 0x10000, v4
	s_delay_alu instid0(VALU_DEP_2) | instskip(NEXT) | instid1(VALU_DEP_2)
	v_cmp_eq_u32_e32 vcc_lo, 0, v5
	v_cndmask_b32_e32 v5, v6, v4, vcc_lo
; %bb.2856:
	s_or_b32 exec_lo, exec_lo, s0
	v_and_b32_e32 v4, 0x7f800000, v3
	flat_store_d16_hi_b16 v[0:1], v5 offset:288
	v_cmp_ne_u32_e32 vcc_lo, 0x7f800000, v4
                                        ; implicit-def: $vgpr4
	s_and_saveexec_b32 s0, vcc_lo
	s_delay_alu instid0(SALU_CYCLE_1)
	s_xor_b32 s0, exec_lo, s0
; %bb.2857:
	v_bfe_u32 v4, v3, 16, 1
	s_delay_alu instid0(VALU_DEP_1)
	v_add3_u32 v4, v3, v4, 0x7fff
                                        ; implicit-def: $vgpr3
; %bb.2858:
	s_and_not1_saveexec_b32 s0, s0
; %bb.2859:
	v_and_b32_e32 v4, 0xffff, v3
	v_or_b32_e32 v5, 0x10000, v3
	s_delay_alu instid0(VALU_DEP_2) | instskip(NEXT) | instid1(VALU_DEP_2)
	v_cmp_eq_u32_e32 vcc_lo, 0, v4
	v_cndmask_b32_e32 v4, v5, v3, vcc_lo
; %bb.2860:
	s_or_b32 exec_lo, exec_lo, s0
	v_and_b32_e32 v3, 0x7f800000, v2
	flat_store_d16_hi_b16 v[0:1], v4 offset:320
	v_cmp_ne_u32_e32 vcc_lo, 0x7f800000, v3
                                        ; implicit-def: $vgpr3
	s_and_saveexec_b32 s0, vcc_lo
	s_delay_alu instid0(SALU_CYCLE_1)
	s_xor_b32 s0, exec_lo, s0
; %bb.2861:
	v_bfe_u32 v3, v2, 16, 1
	s_delay_alu instid0(VALU_DEP_1)
	v_add3_u32 v3, v2, v3, 0x7fff
                                        ; implicit-def: $vgpr2
; %bb.2862:
	s_and_not1_saveexec_b32 s0, s0
; %bb.2863:
	v_and_b32_e32 v3, 0xffff, v2
	v_or_b32_e32 v4, 0x10000, v2
	s_delay_alu instid0(VALU_DEP_2) | instskip(NEXT) | instid1(VALU_DEP_2)
	v_cmp_eq_u32_e32 vcc_lo, 0, v3
	v_cndmask_b32_e32 v3, v4, v2, vcc_lo
; %bb.2864:
	s_or_b32 exec_lo, exec_lo, s0
	flat_store_d16_hi_b16 v[0:1], v3 offset:352
.LBB430_2865:
	s_or_b32 exec_lo, exec_lo, s5
	s_clause 0x1f
	scratch_load_b32 v191, off, s32
	scratch_load_b32 v190, off, s32 offset:4
	scratch_load_b32 v189, off, s32 offset:8
	;; [unrolled: 1-line block ×31, first 2 shown]
	s_clause 0x1f
	scratch_load_b32 v127, off, s32 offset:128
	scratch_load_b32 v126, off, s32 offset:132
	;; [unrolled: 1-line block ×32, first 2 shown]
	s_clause 0xf
	scratch_load_b32 v63, off, s32 offset:256
	scratch_load_b32 v62, off, s32 offset:260
	;; [unrolled: 1-line block ×16, first 2 shown]
	s_waitcnt vmcnt(0) lgkmcnt(0)
	s_setpc_b64 s[30:31]
.LBB430_2866:
	v_lshl_add_u32 v15, v1, 2, v13
	ds_load_b32 v15, v15
	s_waitcnt lgkmcnt(0)
	v_add_f32_e32 v0, v15, v0
	s_or_b32 exec_lo, exec_lo, s0
	s_and_saveexec_b32 s0, vcc_lo
	s_cbranch_execz .LBB430_2785
.LBB430_2867:
	v_lshl_add_u32 v15, v1, 2, v13
	ds_load_b32 v15, v15 offset:64
	s_waitcnt lgkmcnt(0)
	v_add_f32_e32 v12, v15, v12
	s_or_b32 exec_lo, exec_lo, s0
	s_and_saveexec_b32 s0, vcc_lo
	s_cbranch_execz .LBB430_2786
.LBB430_2868:
	v_lshl_add_u32 v15, v1, 2, v13
	ds_load_b32 v15, v15 offset:128
	s_waitcnt lgkmcnt(0)
	v_add_f32_e32 v11, v15, v11
	s_or_b32 exec_lo, exec_lo, s0
	s_and_saveexec_b32 s0, vcc_lo
	s_cbranch_execz .LBB430_2787
.LBB430_2869:
	v_lshl_add_u32 v15, v1, 2, v13
	ds_load_b32 v15, v15 offset:192
	s_waitcnt lgkmcnt(0)
	v_add_f32_e32 v10, v15, v10
	s_or_b32 exec_lo, exec_lo, s0
	s_and_saveexec_b32 s0, vcc_lo
	s_cbranch_execz .LBB430_2788
.LBB430_2870:
	v_lshl_add_u32 v15, v1, 2, v13
	ds_load_b32 v15, v15 offset:256
	s_waitcnt lgkmcnt(0)
	v_add_f32_e32 v9, v15, v9
	s_or_b32 exec_lo, exec_lo, s0
	s_and_saveexec_b32 s0, vcc_lo
	s_cbranch_execz .LBB430_2789
.LBB430_2871:
	v_lshl_add_u32 v15, v1, 2, v13
	ds_load_b32 v15, v15 offset:320
	s_waitcnt lgkmcnt(0)
	v_add_f32_e32 v8, v15, v8
	s_or_b32 exec_lo, exec_lo, s0
	s_and_saveexec_b32 s0, vcc_lo
	s_cbranch_execz .LBB430_2790
.LBB430_2872:
	v_lshl_add_u32 v15, v1, 2, v13
	ds_load_b32 v15, v15 offset:384
	s_waitcnt lgkmcnt(0)
	v_add_f32_e32 v7, v15, v7
	s_or_b32 exec_lo, exec_lo, s0
	s_and_saveexec_b32 s0, vcc_lo
	s_cbranch_execz .LBB430_2791
.LBB430_2873:
	v_lshl_add_u32 v15, v1, 2, v13
	ds_load_b32 v15, v15 offset:448
	s_waitcnt lgkmcnt(0)
	v_add_f32_e32 v6, v15, v6
	s_or_b32 exec_lo, exec_lo, s0
	s_and_saveexec_b32 s0, vcc_lo
	s_cbranch_execz .LBB430_2792
.LBB430_2874:
	v_lshl_add_u32 v15, v1, 2, v13
	ds_load_b32 v15, v15 offset:512
	s_waitcnt lgkmcnt(0)
	v_add_f32_e32 v5, v15, v5
	s_or_b32 exec_lo, exec_lo, s0
	s_and_saveexec_b32 s0, vcc_lo
	s_cbranch_execz .LBB430_2793
.LBB430_2875:
	v_lshl_add_u32 v15, v1, 2, v13
	ds_load_b32 v15, v15 offset:576
	s_waitcnt lgkmcnt(0)
	v_add_f32_e32 v4, v15, v4
	s_or_b32 exec_lo, exec_lo, s0
	s_and_saveexec_b32 s0, vcc_lo
	s_cbranch_execz .LBB430_2794
.LBB430_2876:
	v_lshl_add_u32 v15, v1, 2, v13
	ds_load_b32 v15, v15 offset:640
	s_waitcnt lgkmcnt(0)
	v_add_f32_e32 v3, v15, v3
	s_or_b32 exec_lo, exec_lo, s0
	s_and_saveexec_b32 s0, vcc_lo
	s_cbranch_execnz .LBB430_2795
	s_branch .LBB430_2796
.LBB430_2877:
	ds_load_b32 v13, v1
	s_waitcnt lgkmcnt(0)
	v_add_f32_e32 v0, v13, v0
	s_or_b32 exec_lo, exec_lo, s3
	s_and_saveexec_b32 s3, vcc_lo
	s_cbranch_execz .LBB430_2802
.LBB430_2878:
	ds_load_b32 v13, v1 offset:64
	s_waitcnt lgkmcnt(0)
	v_add_f32_e32 v12, v13, v12
	s_or_b32 exec_lo, exec_lo, s3
	s_and_saveexec_b32 s3, vcc_lo
	s_cbranch_execz .LBB430_2803
.LBB430_2879:
	ds_load_b32 v13, v1 offset:128
	s_waitcnt lgkmcnt(0)
	v_add_f32_e32 v11, v13, v11
	s_or_b32 exec_lo, exec_lo, s3
	s_and_saveexec_b32 s3, vcc_lo
	s_cbranch_execz .LBB430_2804
.LBB430_2880:
	ds_load_b32 v13, v1 offset:192
	s_waitcnt lgkmcnt(0)
	v_add_f32_e32 v10, v13, v10
	s_or_b32 exec_lo, exec_lo, s3
	s_and_saveexec_b32 s3, vcc_lo
	s_cbranch_execz .LBB430_2805
.LBB430_2881:
	ds_load_b32 v13, v1 offset:256
	s_waitcnt lgkmcnt(0)
	v_add_f32_e32 v9, v13, v9
	s_or_b32 exec_lo, exec_lo, s3
	s_and_saveexec_b32 s3, vcc_lo
	s_cbranch_execz .LBB430_2806
.LBB430_2882:
	ds_load_b32 v13, v1 offset:320
	s_waitcnt lgkmcnt(0)
	v_add_f32_e32 v8, v13, v8
	s_or_b32 exec_lo, exec_lo, s3
	s_and_saveexec_b32 s3, vcc_lo
	s_cbranch_execz .LBB430_2807
.LBB430_2883:
	ds_load_b32 v13, v1 offset:384
	s_waitcnt lgkmcnt(0)
	v_add_f32_e32 v7, v13, v7
	s_or_b32 exec_lo, exec_lo, s3
	s_and_saveexec_b32 s3, vcc_lo
	s_cbranch_execz .LBB430_2808
.LBB430_2884:
	ds_load_b32 v13, v1 offset:448
	s_waitcnt lgkmcnt(0)
	v_add_f32_e32 v6, v13, v6
	s_or_b32 exec_lo, exec_lo, s3
	s_and_saveexec_b32 s3, vcc_lo
	s_cbranch_execz .LBB430_2809
.LBB430_2885:
	ds_load_b32 v13, v1 offset:512
	s_waitcnt lgkmcnt(0)
	v_add_f32_e32 v5, v13, v5
	s_or_b32 exec_lo, exec_lo, s3
	s_and_saveexec_b32 s3, vcc_lo
	s_cbranch_execz .LBB430_2810
.LBB430_2886:
	ds_load_b32 v13, v1 offset:576
	s_waitcnt lgkmcnt(0)
	v_add_f32_e32 v4, v13, v4
	s_or_b32 exec_lo, exec_lo, s3
	s_and_saveexec_b32 s3, vcc_lo
	s_cbranch_execz .LBB430_2811
.LBB430_2887:
	ds_load_b32 v13, v1 offset:640
	s_waitcnt lgkmcnt(0)
	v_add_f32_e32 v3, v13, v3
	s_or_b32 exec_lo, exec_lo, s3
	s_and_saveexec_b32 s3, vcc_lo
	s_cbranch_execnz .LBB430_2812
	s_branch .LBB430_2813
.Lfunc_end430:
	.size	_ZN4vllm22paged_attention_kernelI14__hip_bfloat16hLi192ELi16ELi128ELNS_18Fp8KVCacheDataTypeE1ELb0ELi512EEEvPfS3_PT_PKS4_PKT0_SA_ifPKiSC_iPKfiiiSE_SE_iiiii, .Lfunc_end430-_ZN4vllm22paged_attention_kernelI14__hip_bfloat16hLi192ELi16ELi128ELNS_18Fp8KVCacheDataTypeE1ELb0ELi512EEEvPfS3_PT_PKS4_PKT0_SA_ifPKiSC_iPKfiiiSE_SE_iiiii
                                        ; -- End function
	.section	.AMDGPU.csdata,"",@progbits
; Function info:
; codeLenInByte = 88804
; NumSgprs: 35
; NumVgprs: 192
; ScratchSize: 512
; MemoryBound: 0
	.section	.text._ZN4vllm25paged_attention_v2_kernelI14__hip_bfloat16hLi192ELi16ELi128ELNS_18Fp8KVCacheDataTypeE1ELb0ELi512EEEvPfS3_PT_PKS4_PKT0_SA_ifPKiSC_iPKfiiiSE_SE_iiiii,"axG",@progbits,_ZN4vllm25paged_attention_v2_kernelI14__hip_bfloat16hLi192ELi16ELi128ELNS_18Fp8KVCacheDataTypeE1ELb0ELi512EEEvPfS3_PT_PKS4_PKT0_SA_ifPKiSC_iPKfiiiSE_SE_iiiii,comdat
	.protected	_ZN4vllm25paged_attention_v2_kernelI14__hip_bfloat16hLi192ELi16ELi128ELNS_18Fp8KVCacheDataTypeE1ELb0ELi512EEEvPfS3_PT_PKS4_PKT0_SA_ifPKiSC_iPKfiiiSE_SE_iiiii ; -- Begin function _ZN4vllm25paged_attention_v2_kernelI14__hip_bfloat16hLi192ELi16ELi128ELNS_18Fp8KVCacheDataTypeE1ELb0ELi512EEEvPfS3_PT_PKS4_PKT0_SA_ifPKiSC_iPKfiiiSE_SE_iiiii
	.globl	_ZN4vllm25paged_attention_v2_kernelI14__hip_bfloat16hLi192ELi16ELi128ELNS_18Fp8KVCacheDataTypeE1ELb0ELi512EEEvPfS3_PT_PKS4_PKT0_SA_ifPKiSC_iPKfiiiSE_SE_iiiii
	.p2align	8
	.type	_ZN4vllm25paged_attention_v2_kernelI14__hip_bfloat16hLi192ELi16ELi128ELNS_18Fp8KVCacheDataTypeE1ELb0ELi512EEEvPfS3_PT_PKS4_PKT0_SA_ifPKiSC_iPKfiiiSE_SE_iiiii,@function
_ZN4vllm25paged_attention_v2_kernelI14__hip_bfloat16hLi192ELi16ELi128ELNS_18Fp8KVCacheDataTypeE1ELb0ELi512EEEvPfS3_PT_PKS4_PKT0_SA_ifPKiSC_iPKfiiiSE_SE_iiiii: ; @_ZN4vllm25paged_attention_v2_kernelI14__hip_bfloat16hLi192ELi16ELi128ELNS_18Fp8KVCacheDataTypeE1ELb0ELi512EEEvPfS3_PT_PKS4_PKT0_SA_ifPKiSC_iPKfiiiSE_SE_iiiii
; %bb.0:
	s_clause 0x5
	s_load_b256 s[24:31], s[0:1], 0x0
	s_load_b256 s[16:23], s[0:1], 0x20
	s_load_b64 s[2:3], s[0:1], 0x40
	s_load_b64 s[4:5], s[0:1], 0x50
	s_load_b32 s6, s[0:1], 0x48
	s_load_b256 s[36:43], s[0:1], 0x58
	v_mov_b32_e32 v31, v0
	s_add_u32 s8, s0, 0x90
	s_mov_b32 s12, s13
	s_addc_u32 s9, s1, 0
	s_mov_b32 s13, s14
	s_mov_b32 s14, s15
	;; [unrolled: 1-line block ×4, first 2 shown]
	s_getpc_b64 s[0:1]
	s_add_u32 s0, s0, _ZN4vllm22paged_attention_kernelI14__hip_bfloat16hLi192ELi16ELi128ELNS_18Fp8KVCacheDataTypeE1ELb0ELi512EEEvPfS3_PT_PKS4_PKT0_SA_ifPKiSC_iPKfiiiSE_SE_iiiii@rel32@lo+4
	s_addc_u32 s1, s1, _ZN4vllm22paged_attention_kernelI14__hip_bfloat16hLi192ELi16ELi128ELNS_18Fp8KVCacheDataTypeE1ELb0ELi512EEEvPfS3_PT_PKS4_PKT0_SA_ifPKiSC_iPKfiiiSE_SE_iiiii@rel32@hi+12
	s_waitcnt lgkmcnt(0)
	v_dual_mov_b32 v0, s24 :: v_dual_mov_b32 v1, s25
	v_dual_mov_b32 v2, s26 :: v_dual_mov_b32 v3, s27
	;; [unrolled: 1-line block ×14, first 2 shown]
	s_swappc_b64 s[30:31], s[0:1]
	s_endpgm
	.section	.rodata,"a",@progbits
	.p2align	6, 0x0
	.amdhsa_kernel _ZN4vllm25paged_attention_v2_kernelI14__hip_bfloat16hLi192ELi16ELi128ELNS_18Fp8KVCacheDataTypeE1ELb0ELi512EEEvPfS3_PT_PKS4_PKT0_SA_ifPKiSC_iPKfiiiSE_SE_iiiii
		.amdhsa_group_segment_fixed_size 416
		.amdhsa_private_segment_fixed_size 512
		.amdhsa_kernarg_size 400
		.amdhsa_user_sgpr_count 13
		.amdhsa_user_sgpr_dispatch_ptr 0
		.amdhsa_user_sgpr_queue_ptr 0
		.amdhsa_user_sgpr_kernarg_segment_ptr 1
		.amdhsa_user_sgpr_dispatch_id 0
		.amdhsa_user_sgpr_private_segment_size 0
		.amdhsa_wavefront_size32 1
		.amdhsa_uses_dynamic_stack 0
		.amdhsa_enable_private_segment 1
		.amdhsa_system_sgpr_workgroup_id_x 1
		.amdhsa_system_sgpr_workgroup_id_y 1
		.amdhsa_system_sgpr_workgroup_id_z 1
		.amdhsa_system_sgpr_workgroup_info 0
		.amdhsa_system_vgpr_workitem_id 0
		.amdhsa_next_free_vgpr 192
		.amdhsa_next_free_sgpr 44
		.amdhsa_reserve_vcc 1
		.amdhsa_float_round_mode_32 0
		.amdhsa_float_round_mode_16_64 0
		.amdhsa_float_denorm_mode_32 3
		.amdhsa_float_denorm_mode_16_64 3
		.amdhsa_dx10_clamp 1
		.amdhsa_ieee_mode 1
		.amdhsa_fp16_overflow 0
		.amdhsa_workgroup_processor_mode 1
		.amdhsa_memory_ordered 1
		.amdhsa_forward_progress 0
		.amdhsa_shared_vgpr_count 0
		.amdhsa_exception_fp_ieee_invalid_op 0
		.amdhsa_exception_fp_denorm_src 0
		.amdhsa_exception_fp_ieee_div_zero 0
		.amdhsa_exception_fp_ieee_overflow 0
		.amdhsa_exception_fp_ieee_underflow 0
		.amdhsa_exception_fp_ieee_inexact 0
		.amdhsa_exception_int_div_zero 0
	.end_amdhsa_kernel
	.section	.text._ZN4vllm25paged_attention_v2_kernelI14__hip_bfloat16hLi192ELi16ELi128ELNS_18Fp8KVCacheDataTypeE1ELb0ELi512EEEvPfS3_PT_PKS4_PKT0_SA_ifPKiSC_iPKfiiiSE_SE_iiiii,"axG",@progbits,_ZN4vllm25paged_attention_v2_kernelI14__hip_bfloat16hLi192ELi16ELi128ELNS_18Fp8KVCacheDataTypeE1ELb0ELi512EEEvPfS3_PT_PKS4_PKT0_SA_ifPKiSC_iPKfiiiSE_SE_iiiii,comdat
.Lfunc_end431:
	.size	_ZN4vllm25paged_attention_v2_kernelI14__hip_bfloat16hLi192ELi16ELi128ELNS_18Fp8KVCacheDataTypeE1ELb0ELi512EEEvPfS3_PT_PKS4_PKT0_SA_ifPKiSC_iPKfiiiSE_SE_iiiii, .Lfunc_end431-_ZN4vllm25paged_attention_v2_kernelI14__hip_bfloat16hLi192ELi16ELi128ELNS_18Fp8KVCacheDataTypeE1ELb0ELi512EEEvPfS3_PT_PKS4_PKT0_SA_ifPKiSC_iPKfiiiSE_SE_iiiii
                                        ; -- End function
	.section	.AMDGPU.csdata,"",@progbits
; Kernel info:
; codeLenInByte = 232
; NumSgprs: 46
; NumVgprs: 192
; ScratchSize: 512
; MemoryBound: 0
; FloatMode: 240
; IeeeMode: 1
; LDSByteSize: 416 bytes/workgroup (compile time only)
; SGPRBlocks: 5
; VGPRBlocks: 23
; NumSGPRsForWavesPerEU: 46
; NumVGPRsForWavesPerEU: 192
; Occupancy: 8
; WaveLimiterHint : 1
; COMPUTE_PGM_RSRC2:SCRATCH_EN: 1
; COMPUTE_PGM_RSRC2:USER_SGPR: 13
; COMPUTE_PGM_RSRC2:TRAP_HANDLER: 0
; COMPUTE_PGM_RSRC2:TGID_X_EN: 1
; COMPUTE_PGM_RSRC2:TGID_Y_EN: 1
; COMPUTE_PGM_RSRC2:TGID_Z_EN: 1
; COMPUTE_PGM_RSRC2:TIDIG_COMP_CNT: 0
	.text
	.p2align	2                               ; -- Begin function _ZN4vllm22paged_attention_kernelI14__hip_bfloat16hLi256ELi16ELi128ELNS_18Fp8KVCacheDataTypeE1ELb0ELi512EEEvPfS3_PT_PKS4_PKT0_SA_ifPKiSC_iPKfiiiSE_SE_iiiii
	.type	_ZN4vllm22paged_attention_kernelI14__hip_bfloat16hLi256ELi16ELi128ELNS_18Fp8KVCacheDataTypeE1ELb0ELi512EEEvPfS3_PT_PKS4_PKT0_SA_ifPKiSC_iPKfiiiSE_SE_iiiii,@function
_ZN4vllm22paged_attention_kernelI14__hip_bfloat16hLi256ELi16ELi128ELNS_18Fp8KVCacheDataTypeE1ELb0ELi512EEEvPfS3_PT_PKS4_PKT0_SA_ifPKiSC_iPKfiiiSE_SE_iiiii: ; @_ZN4vllm22paged_attention_kernelI14__hip_bfloat16hLi256ELi16ELi128ELNS_18Fp8KVCacheDataTypeE1ELb0ELi512EEEvPfS3_PT_PKS4_PKT0_SA_ifPKiSC_iPKfiiiSE_SE_iiiii
; %bb.0:
	s_waitcnt vmcnt(0) expcnt(0) lgkmcnt(0)
	s_clause 0x1f
	scratch_store_b32 off, v40, s32 offset:316
	; meta instruction
	scratch_store_b32 off, v41, s32 offset:312
	; meta instruction
	;; [unrolled: 2-line block ×31, first 2 shown]
	scratch_store_b32 off, v95, s32 offset:192
	s_clause 0x1f
	scratch_store_b32 off, v104, s32 offset:188
	; meta instruction
	scratch_store_b32 off, v105, s32 offset:184
	; meta instruction
	;; [unrolled: 2-line block ×31, first 2 shown]
	scratch_store_b32 off, v159, s32 offset:64
	s_clause 0xf
	scratch_store_b32 off, v168, s32 offset:60
	; meta instruction
	scratch_store_b32 off, v169, s32 offset:56
	; meta instruction
	;; [unrolled: 2-line block ×15, first 2 shown]
	scratch_store_b32 off, v191, s32
	s_mov_b32 s6, s13
	s_ashr_i32 s7, s13, 31
	v_dual_mov_b32 v30, v3 :: v_dual_mov_b32 v29, v0
	s_lshl_b64 s[0:1], s[6:7], 2
	v_mov_b32_e32 v28, v1
	v_add_co_u32 v0, vcc_lo, v16, s0
	v_add_co_ci_u32_e32 v1, vcc_lo, s1, v17, vcc_lo
	v_mov_b32_e32 v32, v2
	s_lshl_b32 s18, s14, 9
	s_mov_b32 s5, exec_lo
	flat_load_b32 v35, v[0:1]
	s_waitcnt vmcnt(0) lgkmcnt(0)
	v_cmpx_lt_i32_e64 s18, v35
	s_cbranch_execz .LBB432_3793
; %bb.1:
	v_sub_nc_u32_e32 v0, 0, v12
	s_clause 0x1
	scratch_store_b32 off, v4, s32 offset:696
	scratch_store_b32 off, v5, s32 offset:692
	s_clause 0x1
	s_load_b32 s0, s[8:9], 0x10
	s_load_b32 s1, s[8:9], 0x0
	s_mov_b32 s16, s15
	v_max_i32_e32 v0, v12, v0
	v_mov_b32_e32 v39, 0
	s_delay_alu instid0(VALU_DEP_2) | instskip(SKIP_1) | instid1(VALU_DEP_2)
	v_cvt_f32_u32_e32 v1, v0
	v_sub_nc_u32_e32 v2, 0, v0
	v_rcp_iflag_f32_e32 v1, v1
	s_waitcnt lgkmcnt(0)
	s_lshr_b32 s0, s0, 16
	s_delay_alu instid0(SALU_CYCLE_1) | instskip(SKIP_3) | instid1(SALU_CYCLE_1)
	s_cmp_lg_u32 s0, 0
	s_waitcnt_depctr 0xfff
	v_mul_f32_e32 v1, 0x4f7ffffe, v1
	s_cselect_b32 s0, -1, 0
	s_cmp_lg_u32 s0, 0
	s_delay_alu instid0(VALU_DEP_1) | instskip(SKIP_3) | instid1(VALU_DEP_1)
	v_cvt_u32_f32_e32 v1, v1
	s_addc_u32 s7, s1, 0
	s_abs_i32 s1, s12
	s_abs_i32 s0, s7
	v_mul_lo_u32 v2, v2, v1
	s_delay_alu instid0(VALU_DEP_1) | instskip(NEXT) | instid1(VALU_DEP_1)
	v_mul_hi_u32 v2, v1, v2
	v_add_nc_u32_e32 v1, v1, v2
	s_delay_alu instid0(VALU_DEP_1) | instskip(NEXT) | instid1(VALU_DEP_1)
	v_mul_hi_u32 v1, s0, v1
	v_mul_lo_u32 v2, v1, v0
	v_add_nc_u32_e32 v3, 1, v1
	s_delay_alu instid0(VALU_DEP_2) | instskip(SKIP_1) | instid1(VALU_DEP_1)
	v_sub_nc_u32_e32 v2, s0, v2
	s_mov_b32 s0, exec_lo
	v_sub_nc_u32_e32 v4, v2, v0
	v_cmp_ge_u32_e32 vcc_lo, v2, v0
	s_delay_alu instid0(VALU_DEP_2) | instskip(SKIP_1) | instid1(VALU_DEP_2)
	v_dual_cndmask_b32 v1, v1, v3 :: v_dual_cndmask_b32 v2, v2, v4
	v_xor_b32_e32 v3, s7, v12
	v_add_nc_u32_e32 v4, 1, v1
	s_delay_alu instid0(VALU_DEP_3) | instskip(NEXT) | instid1(VALU_DEP_3)
	v_cmp_ge_u32_e32 vcc_lo, v2, v0
	v_ashrrev_i32_e32 v3, 31, v3
	s_delay_alu instid0(VALU_DEP_3) | instskip(NEXT) | instid1(VALU_DEP_1)
	v_cndmask_b32_e32 v0, v1, v4, vcc_lo
	v_xor_b32_e32 v0, v0, v3
	s_delay_alu instid0(VALU_DEP_1) | instskip(NEXT) | instid1(VALU_DEP_1)
	v_sub_nc_u32_e32 v1, v0, v3
	v_sub_nc_u32_e32 v0, 0, v1
	s_delay_alu instid0(VALU_DEP_1) | instskip(NEXT) | instid1(VALU_DEP_1)
	v_max_i32_e32 v0, v1, v0
	v_cvt_f32_u32_e32 v2, v0
	v_sub_nc_u32_e32 v3, 0, v0
	s_delay_alu instid0(VALU_DEP_2) | instskip(SKIP_2) | instid1(VALU_DEP_1)
	v_rcp_iflag_f32_e32 v2, v2
	s_waitcnt_depctr 0xfff
	v_mul_f32_e32 v2, 0x4f7ffffe, v2
	v_cvt_u32_f32_e32 v2, v2
	s_delay_alu instid0(VALU_DEP_1) | instskip(NEXT) | instid1(VALU_DEP_1)
	v_mul_lo_u32 v3, v3, v2
	v_mul_hi_u32 v3, v2, v3
	s_delay_alu instid0(VALU_DEP_1) | instskip(NEXT) | instid1(VALU_DEP_1)
	v_add_nc_u32_e32 v2, v2, v3
	v_mad_u64_u32 v[16:17], null, s1, v2, 0
	v_cmpx_ne_u64_e32 0, v[19:20]
	s_cbranch_execz .LBB432_3
; %bb.2:
	s_ashr_i32 s13, s12, 31
	s_delay_alu instid0(SALU_CYCLE_1) | instskip(NEXT) | instid1(SALU_CYCLE_1)
	s_lshl_b64 s[2:3], s[12:13], 2
	v_add_co_u32 v2, vcc_lo, v19, s2
	v_add_co_ci_u32_e32 v3, vcc_lo, s3, v20, vcc_lo
	flat_load_b32 v39, v[2:3]
.LBB432_3:
	s_or_b32 exec_lo, exec_lo, s0
	v_and_b32_e32 v12, 0x3ff, v31
	v_ashrrev_i32_e32 v1, 31, v1
	s_ashr_i32 s2, s12, 31
	s_lshl_b32 s10, s12, 8
	s_delay_alu instid0(VALU_DEP_2)
	v_lshrrev_b32_e32 v2, 1, v12
	v_cmp_gt_u32_e64 s0, 64, v12
	v_lshlrev_b32_e32 v33, 3, v12
	scratch_store_b32 off, v2, s32 offset:700 ; 4-byte Folded Spill
	v_and_b32_e32 v2, 1, v12
	scratch_store_b32 off, v2, s32 offset:688 ; 4-byte Folded Spill
	s_and_saveexec_b32 s3, s0
	s_cbranch_execz .LBB432_5
; %bb.4:
	v_mul_lo_u32 v2, s6, v21
	s_ashr_i32 s11, s10, 31
	v_lshrrev_b32_e32 v4, 1, v12
	s_lshl_b64 s[20:21], s[10:11], 1
	v_and_b32_e32 v5, 1, v12
	s_delay_alu instid0(VALU_DEP_2) | instskip(NEXT) | instid1(VALU_DEP_4)
	v_lshlrev_b32_e32 v4, 3, v4
	v_ashrrev_i32_e32 v3, 31, v2
	s_delay_alu instid0(VALU_DEP_2) | instskip(NEXT) | instid1(VALU_DEP_2)
	v_lshl_add_u32 v4, v5, 8, v4
	v_lshlrev_b64 v[2:3], 1, v[2:3]
	s_delay_alu instid0(VALU_DEP_1) | instskip(NEXT) | instid1(VALU_DEP_2)
	v_add_co_u32 v2, vcc_lo, v6, v2
	v_add_co_ci_u32_e32 v3, vcc_lo, v7, v3, vcc_lo
	s_delay_alu instid0(VALU_DEP_2) | instskip(NEXT) | instid1(VALU_DEP_2)
	v_add_co_u32 v2, vcc_lo, v2, s20
	v_add_co_ci_u32_e32 v3, vcc_lo, s21, v3, vcc_lo
	s_delay_alu instid0(VALU_DEP_2) | instskip(NEXT) | instid1(VALU_DEP_2)
	v_add_co_u32 v2, vcc_lo, v2, v33
	v_add_co_ci_u32_e32 v3, vcc_lo, 0, v3, vcc_lo
	flat_load_b64 v[2:3], v[2:3]
	s_waitcnt vmcnt(0) lgkmcnt(0)
	ds_store_b64 v4, v[2:3]
.LBB432_5:
	s_or_b32 exec_lo, exec_lo, s3
	v_mul_lo_u32 v2, v17, v0
	v_add_nc_u32_e32 v5, 1, v17
	v_lshrrev_b32_e32 v7, 5, v12
	v_xor_b32_e32 v1, s2, v1
	s_lshl_b32 s13, s14, 5
	scratch_store_b32 off, v12, s32 offset:680 ; 4-byte Folded Spill
	v_mbcnt_lo_u32_b32 v38, -1, 0
	scratch_store_b32 off, v7, s32 offset:684 ; 4-byte Folded Spill
	v_sub_nc_u32_e32 v2, s1, v2
	s_add_i32 s1, s13, 32
	v_or_b32_e32 v16, s13, v7
	s_waitcnt vmcnt(0) lgkmcnt(0)
	s_waitcnt_vscnt null, 0x0
	s_barrier
	v_sub_nc_u32_e32 v6, v2, v0
	v_cmp_ge_u32_e32 vcc_lo, v2, v0
	v_add_nc_u32_e32 v3, 15, v35
	buffer_gl0_inv
                                        ; implicit-def: $sgpr2
                                        ; implicit-def: $vgpr12
	v_cndmask_b32_e32 v2, v2, v6, vcc_lo
	v_ashrrev_i32_e32 v4, 31, v3
	v_cndmask_b32_e32 v5, v17, v5, vcc_lo
	v_mul_lo_u32 v6, s6, v18
	s_delay_alu instid0(VALU_DEP_4) | instskip(NEXT) | instid1(VALU_DEP_4)
	v_cmp_ge_u32_e32 vcc_lo, v2, v0
	v_lshrrev_b32_e32 v4, 28, v4
	s_delay_alu instid0(VALU_DEP_3) | instskip(NEXT) | instid1(VALU_DEP_2)
	v_ashrrev_i32_e32 v7, 31, v6
	v_add_nc_u32_e32 v3, v3, v4
	v_add_nc_u32_e32 v4, 1, v5
	s_delay_alu instid0(VALU_DEP_2) | instskip(NEXT) | instid1(VALU_DEP_2)
	v_ashrrev_i32_e32 v34, 4, v3
	v_cndmask_b32_e32 v0, v5, v4, vcc_lo
	s_delay_alu instid0(VALU_DEP_2) | instskip(NEXT) | instid1(VALU_DEP_2)
	v_min_i32_e32 v37, s1, v34
	v_xor_b32_e32 v0, v0, v1
	s_delay_alu instid0(VALU_DEP_2) | instskip(NEXT) | instid1(VALU_DEP_2)
	v_cmp_ge_i32_e64 s1, v16, v37
	v_sub_nc_u32_e32 v0, v0, v1
	s_delay_alu instid0(VALU_DEP_2) | instskip(NEXT) | instid1(SALU_CYCLE_1)
	s_and_saveexec_b32 s3, s1
	s_xor_b32 s3, exec_lo, s3
; %bb.6:
	v_mbcnt_lo_u32_b32 v38, -1, 0
	v_mov_b32_e32 v12, 32
	s_mov_b32 s2, 0xff7fffff
                                        ; implicit-def: $vgpr39
                                        ; implicit-def: $vgpr13
                                        ; implicit-def: $vgpr24
                                        ; implicit-def: $vgpr8
                                        ; implicit-def: $vgpr9
; %bb.7:
	s_or_saveexec_b32 s15, s3
	s_clause 0x1
	s_load_b32 s19, s[8:9], 0x14
	s_load_b32 s11, s[8:9], 0x8
	v_mul_lo_u32 v36, v0, v23
	v_lshlrev_b64 v[53:54], 2, v[6:7]
	v_mov_b32_e32 v155, s2
	v_ashrrev_i32_e32 v17, 31, v16
	s_delay_alu instid0(VALU_DEP_4)
	v_ashrrev_i32_e32 v55, 31, v36
	s_xor_b32 exec_lo, exec_lo, s15
	s_cbranch_execz .LBB432_1549
; %bb.8:
	s_clause 0x8
	scratch_store_b32 off, v34, s32 offset:748
	scratch_store_b32 off, v33, s32 offset:744
	;; [unrolled: 1-line block ×8, first 2 shown]
	scratch_store_b64 off, v[26:27], s32 offset:712
	scratch_load_b32 v11, off, s32 offset:688 ; 4-byte Folded Reload
	s_ashr_i32 s17, s16, 31
	s_getpc_b64 s[8:9]
	s_add_u32 s8, s8, llvm.amdgcn.dynlds.offset.table@rel32@lo+4
	s_addc_u32 s9, s9, llvm.amdgcn.dynlds.offset.table@rel32@hi+12
	s_lshl_b64 s[20:21], s[16:17], 2
	v_cmp_neq_f32_e64 s2, 0, v39
	s_add_u32 s8, s20, s8
	s_mov_b32 s17, 0
	s_addc_u32 s9, s21, s9
	v_mov_b32_e32 v155, 0xff7fffff
	s_waitcnt vmcnt(0)
	v_dual_mov_b32 v169, v16 :: v_dual_lshlrev_b32 v10, 8, v11
	ds_load_b128 v[0:3], v10
	ds_load_b128 v[4:7], v10 offset:16
	ds_load_b128 v[18:21], v10 offset:32
	ds_load_b128 v[26:29], v10 offset:48
	v_lshlrev_b32_e32 v159, 2, v11
	s_clause 0x4
	scratch_store_b32 off, v15, s32 offset:704
	scratch_store_b32 off, v14, s32 offset:708
	scratch_store_b64 off, v[53:54], s32 offset:752
	scratch_store_b32 off, v36, s32 offset:760
	scratch_store_b32 off, v55, s32 offset:764
	s_waitcnt lgkmcnt(0)
	v_lshlrev_b32_e32 v12, 16, v0
	v_and_b32_e32 v0, 0xffff0000, v0
	scratch_store_b32 off, v12, s32 offset:320 ; 4-byte Folded Spill
	v_and_b32_e32 v12, 0xffff0000, v21
	scratch_store_b32 off, v0, s32 offset:324 ; 4-byte Folded Spill
	v_lshlrev_b32_e32 v0, 16, v1
	scratch_store_b32 off, v12, s32 offset:412 ; 4-byte Folded Spill
	v_lshlrev_b32_e32 v12, 16, v26
	scratch_store_b32 off, v0, s32 offset:328 ; 4-byte Folded Spill
	v_and_b32_e32 v0, 0xffff0000, v1
	scratch_store_b32 off, v12, s32 offset:416 ; 4-byte Folded Spill
	v_and_b32_e32 v12, 0xffff0000, v26
	scratch_store_b32 off, v0, s32 offset:332 ; 4-byte Folded Spill
	v_lshlrev_b32_e32 v0, 16, v2
	scratch_store_b32 off, v12, s32 offset:420 ; 4-byte Folded Spill
	v_lshlrev_b32_e32 v12, 16, v27
	scratch_store_b32 off, v0, s32 offset:336 ; 4-byte Folded Spill
	v_and_b32_e32 v0, 0xffff0000, v2
	scratch_store_b32 off, v12, s32 offset:424 ; 4-byte Folded Spill
	v_and_b32_e32 v12, 0xffff0000, v27
	scratch_store_b32 off, v0, s32 offset:340 ; 4-byte Folded Spill
	v_lshlrev_b32_e32 v0, 16, v3
	scratch_store_b32 off, v12, s32 offset:428 ; 4-byte Folded Spill
	v_lshlrev_b32_e32 v12, 16, v28
	scratch_store_b32 off, v0, s32 offset:344 ; 4-byte Folded Spill
	v_and_b32_e32 v0, 0xffff0000, v3
	scratch_store_b32 off, v12, s32 offset:432 ; 4-byte Folded Spill
	v_and_b32_e32 v12, 0xffff0000, v28
	scratch_store_b32 off, v0, s32 offset:348 ; 4-byte Folded Spill
	v_lshlrev_b32_e32 v0, 16, v4
	scratch_store_b32 off, v12, s32 offset:436 ; 4-byte Folded Spill
	v_lshlrev_b32_e32 v12, 16, v29
	scratch_store_b32 off, v0, s32 offset:352 ; 4-byte Folded Spill
	v_and_b32_e32 v0, 0xffff0000, v4
	v_and_b32_e32 v4, 0xffff0000, v7
	scratch_store_b32 off, v12, s32 offset:440 ; 4-byte Folded Spill
	v_and_b32_e32 v12, 0xffff0000, v29
	s_clause 0x1
	scratch_store_b32 off, v0, s32 offset:356
	scratch_store_b32 off, v4, s32 offset:380
	v_lshlrev_b32_e32 v0, 16, v5
	v_lshlrev_b32_e32 v4, 16, v18
	scratch_store_b32 off, v12, s32 offset:444 ; 4-byte Folded Spill
	ds_load_b128 v[26:29], v10 offset:112
	s_clause 0x1
	scratch_store_b32 off, v0, s32 offset:360
	scratch_store_b32 off, v4, s32 offset:384
	v_and_b32_e32 v0, 0xffff0000, v5
	v_and_b32_e32 v4, 0xffff0000, v18
	s_clause 0x1
	scratch_store_b32 off, v0, s32 offset:364
	scratch_store_b32 off, v4, s32 offset:388
	v_lshlrev_b32_e32 v0, 16, v6
	v_lshlrev_b32_e32 v4, 16, v19
	s_clause 0x1
	scratch_store_b32 off, v0, s32 offset:368
	scratch_store_b32 off, v4, s32 offset:392
	v_and_b32_e32 v0, 0xffff0000, v6
	v_and_b32_e32 v4, 0xffff0000, v19
	s_clause 0x1
	scratch_store_b32 off, v0, s32 offset:372
	scratch_store_b32 off, v4, s32 offset:396
	v_lshlrev_b32_e32 v0, 16, v7
	v_lshlrev_b32_e32 v4, 16, v20
	s_clause 0x1
	scratch_store_b32 off, v0, s32 offset:376
	scratch_store_b32 off, v4, s32 offset:400
	ds_load_b128 v[0:3], v10 offset:64
	v_and_b32_e32 v4, 0xffff0000, v20
	scratch_store_b32 off, v4, s32 offset:404 ; 4-byte Folded Spill
	v_lshlrev_b32_e32 v4, 16, v21
	ds_load_b128 v[18:21], v10 offset:96
	scratch_store_b32 off, v4, s32 offset:408 ; 4-byte Folded Spill
	ds_load_b128 v[4:7], v10 offset:80
	s_waitcnt lgkmcnt(2)
	v_lshlrev_b32_e32 v12, 16, v0
	v_and_b32_e32 v0, 0xffff0000, v0
	scratch_store_b32 off, v12, s32 offset:448 ; 4-byte Folded Spill
	s_waitcnt lgkmcnt(1)
	v_and_b32_e32 v12, 0xffff0000, v20
	scratch_store_b32 off, v0, s32 offset:452 ; 4-byte Folded Spill
	v_lshlrev_b32_e32 v0, 16, v1
	scratch_store_b32 off, v12, s32 offset:532 ; 4-byte Folded Spill
	v_lshlrev_b32_e32 v12, 16, v21
	scratch_store_b32 off, v0, s32 offset:456 ; 4-byte Folded Spill
	v_and_b32_e32 v0, 0xffff0000, v1
	scratch_store_b32 off, v12, s32 offset:536 ; 4-byte Folded Spill
	v_and_b32_e32 v12, 0xffff0000, v21
	scratch_store_b32 off, v0, s32 offset:460 ; 4-byte Folded Spill
	v_lshlrev_b32_e32 v0, 16, v2
	scratch_store_b32 off, v12, s32 offset:540 ; 4-byte Folded Spill
	v_lshlrev_b32_e32 v12, 16, v26
	scratch_store_b32 off, v0, s32 offset:464 ; 4-byte Folded Spill
	v_and_b32_e32 v0, 0xffff0000, v2
	scratch_store_b32 off, v12, s32 offset:544 ; 4-byte Folded Spill
	;; [unrolled: 8-line block ×3, first 2 shown]
	v_and_b32_e32 v12, 0xffff0000, v27
	scratch_store_b32 off, v0, s32 offset:476 ; 4-byte Folded Spill
	s_waitcnt lgkmcnt(0)
	v_lshlrev_b32_e32 v0, 16, v4
	scratch_store_b32 off, v12, s32 offset:556 ; 4-byte Folded Spill
	v_lshlrev_b32_e32 v12, 16, v28
	scratch_store_b32 off, v0, s32 offset:480 ; 4-byte Folded Spill
	v_and_b32_e32 v0, 0xffff0000, v4
	v_and_b32_e32 v4, 0xffff0000, v7
	scratch_store_b32 off, v12, s32 offset:560 ; 4-byte Folded Spill
	v_and_b32_e32 v12, 0xffff0000, v28
	s_clause 0x1
	scratch_store_b32 off, v0, s32 offset:484
	scratch_store_b32 off, v4, s32 offset:508
	v_lshlrev_b32_e32 v0, 16, v5
	v_lshlrev_b32_e32 v4, 16, v18
	scratch_store_b32 off, v12, s32 offset:564 ; 4-byte Folded Spill
	v_lshlrev_b32_e32 v12, 16, v29
	s_clause 0x1
	scratch_store_b32 off, v0, s32 offset:488
	scratch_store_b32 off, v4, s32 offset:512
	v_and_b32_e32 v0, 0xffff0000, v5
	scratch_store_b32 off, v12, s32 offset:568 ; 4-byte Folded Spill
	v_and_b32_e32 v4, 0xffff0000, v18
	v_and_b32_e32 v12, 0xffff0000, v29
	ds_load_b128 v[26:29], v10 offset:176
	scratch_store_b32 off, v0, s32 offset:492 ; 4-byte Folded Spill
	v_lshlrev_b32_e32 v0, 16, v6
	s_clause 0x1
	scratch_store_b32 off, v4, s32 offset:516
	scratch_store_b32 off, v12, s32 offset:572
	v_lshlrev_b32_e32 v4, 16, v19
	scratch_store_b32 off, v0, s32 offset:496 ; 4-byte Folded Spill
	v_and_b32_e32 v0, 0xffff0000, v6
	scratch_store_b32 off, v4, s32 offset:520 ; 4-byte Folded Spill
	v_and_b32_e32 v4, 0xffff0000, v19
	scratch_store_b32 off, v0, s32 offset:500 ; 4-byte Folded Spill
	v_lshlrev_b32_e32 v0, 16, v7
	scratch_store_b32 off, v4, s32 offset:524 ; 4-byte Folded Spill
	v_lshlrev_b32_e32 v4, 16, v20
	ds_load_b128 v[18:21], v10 offset:160
	scratch_store_b32 off, v0, s32 offset:504 ; 4-byte Folded Spill
	ds_load_b128 v[0:3], v10 offset:128
	s_waitcnt lgkmcnt(2)
	v_lshlrev_b32_e32 v77, 16, v27
	scratch_store_b32 off, v4, s32 offset:528 ; 4-byte Folded Spill
	ds_load_b128 v[4:7], v10 offset:144
	v_and_b32_e32 v78, 0xffff0000, v27
	v_lshlrev_b32_e32 v79, 16, v28
	v_and_b32_e32 v88, 0xffff0000, v28
	v_lshlrev_b32_e32 v89, 16, v29
	v_and_b32_e32 v90, 0xffff0000, v29
	s_waitcnt lgkmcnt(1)
	v_lshlrev_b32_e32 v12, 16, v0
	v_and_b32_e32 v0, 0xffff0000, v0
	scratch_store_b32 off, v12, s32 offset:576 ; 4-byte Folded Spill
	v_and_b32_e32 v12, 0xffff0000, v21
	scratch_store_b32 off, v0, s32 offset:580 ; 4-byte Folded Spill
	v_lshlrev_b32_e32 v0, 16, v1
	scratch_store_b32 off, v12, s32 offset:668 ; 4-byte Folded Spill
	v_lshlrev_b32_e32 v12, 16, v26
	scratch_store_b32 off, v0, s32 offset:584 ; 4-byte Folded Spill
	v_and_b32_e32 v0, 0xffff0000, v1
	scratch_store_b32 off, v12, s32 offset:672 ; 4-byte Folded Spill
	v_and_b32_e32 v12, 0xffff0000, v26
	scratch_store_b32 off, v0, s32 offset:588 ; 4-byte Folded Spill
	v_lshlrev_b32_e32 v0, 16, v2
	s_clause 0x1
	scratch_store_b32 off, v12, s32 offset:676
	scratch_store_b32 off, v0, s32 offset:592
	v_and_b32_e32 v0, 0xffff0000, v2
	scratch_store_b32 off, v0, s32 offset:596 ; 4-byte Folded Spill
	v_lshlrev_b32_e32 v0, 16, v3
	scratch_store_b32 off, v0, s32 offset:600 ; 4-byte Folded Spill
	v_and_b32_e32 v0, 0xffff0000, v3
	scratch_store_b32 off, v0, s32 offset:604 ; 4-byte Folded Spill
	s_waitcnt lgkmcnt(0)
	v_lshlrev_b32_e32 v0, 16, v4
	scratch_store_b32 off, v0, s32 offset:608 ; 4-byte Folded Spill
	v_and_b32_e32 v0, 0xffff0000, v4
	v_and_b32_e32 v4, 0xffff0000, v7
	s_clause 0x1
	scratch_store_b32 off, v0, s32 offset:612
	scratch_store_b32 off, v4, s32 offset:636
	v_lshlrev_b32_e32 v0, 16, v5
	v_lshlrev_b32_e32 v4, 16, v18
	s_clause 0x1
	scratch_store_b32 off, v0, s32 offset:616
	scratch_store_b32 off, v4, s32 offset:640
	v_and_b32_e32 v0, 0xffff0000, v5
	v_and_b32_e32 v4, 0xffff0000, v18
	s_clause 0x1
	scratch_store_b32 off, v0, s32 offset:620
	scratch_store_b32 off, v4, s32 offset:644
	v_lshlrev_b32_e32 v0, 16, v6
	v_lshlrev_b32_e32 v4, 16, v19
	s_clause 0x1
	scratch_store_b32 off, v0, s32 offset:624
	scratch_store_b32 off, v4, s32 offset:648
	;; [unrolled: 10-line block ×3, first 2 shown]
	ds_load_b128 v[0:3], v10 offset:192
	v_and_b32_e32 v4, 0xffff0000, v20
	scratch_store_b32 off, v4, s32 offset:660 ; 4-byte Folded Spill
	v_lshlrev_b32_e32 v4, 16, v21
	scratch_store_b32 off, v4, s32 offset:664 ; 4-byte Folded Spill
	ds_load_b128 v[4:7], v10 offset:208
	s_waitcnt lgkmcnt(1)
	v_lshlrev_b32_e32 v95, 16, v2
	v_and_b32_e32 v104, 0xffff0000, v2
	scratch_load_b32 v2, off, s32 offset:680 ; 4-byte Folded Reload
	v_lshlrev_b32_e32 v91, 16, v0
	v_and_b32_e32 v92, 0xffff0000, v0
	v_lshlrev_b32_e32 v93, 16, v1
	v_and_b32_e32 v94, 0xffff0000, v1
	v_lshlrev_b64 v[0:1], 2, v[16:17]
	v_lshlrev_b32_e32 v105, 16, v3
	v_and_b32_e32 v106, 0xffff0000, v3
	s_delay_alu instid0(VALU_DEP_3) | instskip(NEXT) | instid1(VALU_DEP_4)
	v_add_co_u32 v0, vcc_lo, v53, v0
	v_add_co_ci_u32_e32 v1, vcc_lo, v54, v1, vcc_lo
	s_waitcnt lgkmcnt(0)
	v_lshlrev_b32_e32 v107, 16, v4
	v_and_b32_e32 v108, 0xffff0000, v4
	v_add_co_u32 v4, vcc_lo, v8, v36
	v_lshlrev_b32_e32 v109, 16, v5
	v_and_b32_e32 v110, 0xffff0000, v5
	v_add_co_ci_u32_e32 v5, vcc_lo, v9, v55, vcc_lo
	v_lshlrev_b32_e32 v111, 16, v6
	v_and_b32_e32 v120, 0xffff0000, v6
	v_xor_b32_e32 v6, 1, v38
	v_lshlrev_b32_e32 v121, 16, v7
	v_and_b32_e32 v122, 0xffff0000, v7
	s_waitcnt vmcnt(0)
	v_bfe_u32 v2, v2, 1, 4
	s_delay_alu instid0(VALU_DEP_1) | instskip(NEXT) | instid1(VALU_DEP_1)
	v_lshlrev_b32_e32 v3, 4, v2
	v_add_co_u32 v8, vcc_lo, v4, v3
	v_add_co_ci_u32_e32 v9, vcc_lo, 0, v5, vcc_lo
	v_cmp_gt_i32_e32 vcc_lo, 32, v6
	v_cndmask_b32_e32 v3, v38, v6, vcc_lo
	ds_load_b128 v[18:21], v10 offset:224
	ds_load_b128 v[26:29], v10 offset:240
	v_lshlrev_b32_e32 v156, 2, v3
	scratch_load_b32 v3, off, s32 offset:684 ; 4-byte Folded Reload
	s_waitcnt lgkmcnt(1)
	v_lshlrev_b32_e32 v123, 16, v18
	v_and_b32_e32 v124, 0xffff0000, v18
	v_add_co_u32 v18, vcc_lo, v14, v0
	v_lshlrev_b32_e32 v125, 16, v19
	v_and_b32_e32 v126, 0xffff0000, v19
	v_add_co_ci_u32_e32 v19, vcc_lo, v15, v1, vcc_lo
	v_lshlrev_b32_e32 v1, 2, v2
	v_lshlrev_b32_e32 v127, 16, v20
	v_and_b32_e32 v136, 0xffff0000, v20
	v_lshlrev_b32_e32 v137, 16, v21
	v_and_b32_e32 v138, 0xffff0000, v21
	s_waitcnt lgkmcnt(0)
	v_lshlrev_b32_e32 v139, 16, v26
	v_and_b32_e32 v140, 0xffff0000, v26
	v_lshlrev_b32_e32 v141, 16, v27
	v_and_b32_e32 v142, 0xffff0000, v27
	;; [unrolled: 2-line block ×4, first 2 shown]
	v_cmp_eq_u32_e32 vcc_lo, 0, v11
	s_waitcnt vmcnt(0)
	v_dual_mov_b32 v21, 0 :: v_dual_lshlrev_b32 v0, 4, v3
	v_lshl_or_b32 v158, v3, 6, v1
	s_delay_alu instid0(VALU_DEP_2)
	v_add3_u32 v157, s18, v0, v2
	s_branch .LBB432_10
.LBB432_9:                              ;   in Loop: Header=BB432_10 Depth=1
	s_or_b32 exec_lo, exec_lo, s4
	v_add_nc_u32_e32 v169, 4, v169
	v_add_co_u32 v18, s4, v18, 16
	s_delay_alu instid0(VALU_DEP_1) | instskip(NEXT) | instid1(VALU_DEP_3)
	v_add_co_ci_u32_e64 v19, s4, 0, v19, s4
	v_cmp_ge_i32_e64 s3, v169, v37
	v_add_nc_u32_e32 v157, 64, v157
	v_add_nc_u32_e32 v158, 0x100, v158
	s_delay_alu instid0(VALU_DEP_3) | instskip(NEXT) | instid1(SALU_CYCLE_1)
	s_or_b32 s17, s3, s17
	s_and_not1_b32 exec_lo, exec_lo, s17
	s_cbranch_execz .LBB432_1548
.LBB432_10:                             ; =>This Inner Loop Header: Depth=1
	flat_load_b32 v2, v[18:19]
	s_mov_b32 s4, exec_lo
	s_waitcnt vmcnt(0) lgkmcnt(0)
	v_mad_i64_i32 v[0:1], null, v2, v22, v[8:9]
	s_delay_alu instid0(VALU_DEP_1) | instskip(NEXT) | instid1(VALU_DEP_1)
	v_add_co_u32 v28, s3, v0, v159
	v_add_co_ci_u32_e64 v29, s3, 0, v1, s3
	flat_load_b32 v0, v[28:29]
	flat_load_b32 v171, v[24:25]
	s_waitcnt vmcnt(1) lgkmcnt(1)
	v_dual_mov_b32 v1, 0 :: v_dual_and_b32 v2, 0xff, v0
	s_delay_alu instid0(VALU_DEP_1)
	v_cmpx_ne_u16_e32 0, v2
	s_cbranch_execz .LBB432_18
; %bb.11:                               ;   in Loop: Header=BB432_10 Depth=1
	v_bfrev_b32_e32 v1, 1
	s_mov_b32 s20, exec_lo
	v_cmpx_ne_u16_e32 0x80, v2
	s_cbranch_execz .LBB432_17
; %bb.12:                               ;   in Loop: Header=BB432_10 Depth=1
	v_and_b32_e32 v2, 0x7f, v0
	v_mov_b32_e32 v1, 0x7f800001
	s_mov_b32 s21, exec_lo
	s_delay_alu instid0(VALU_DEP_2)
	v_cmpx_ne_u32_e32 0x7f, v2
	s_cbranch_execz .LBB432_16
; %bb.13:                               ;   in Loop: Header=BB432_10 Depth=1
	v_and_b32_e32 v20, 7, v0
	v_lshrrev_b32_e32 v1, 3, v2
	v_mov_b32_e32 v31, v21
	s_mov_b32 s22, exec_lo
	s_delay_alu instid0(VALU_DEP_3)
	v_mov_b32_e32 v30, v20
	v_cmpx_gt_u32_e32 8, v2
; %bb.14:                               ;   in Loop: Header=BB432_10 Depth=1
	v_clz_i32_u32_e32 v1, v20
	s_delay_alu instid0(VALU_DEP_1) | instskip(NEXT) | instid1(VALU_DEP_1)
	v_min_u32_e32 v1, 32, v1
	v_subrev_nc_u32_e32 v2, 28, v1
	v_sub_nc_u32_e32 v1, 29, v1
	s_delay_alu instid0(VALU_DEP_2) | instskip(NEXT) | instid1(VALU_DEP_1)
	v_lshlrev_b64 v[2:3], v2, v[20:21]
	v_and_b32_e32 v30, 7, v2
; %bb.15:                               ;   in Loop: Header=BB432_10 Depth=1
	s_or_b32 exec_lo, exec_lo, s22
	v_lshlrev_b32_e32 v2, 24, v0
	s_delay_alu instid0(VALU_DEP_2) | instskip(SKIP_1) | instid1(VALU_DEP_3)
	v_lshlrev_b32_e32 v3, 20, v30
	v_lshl_add_u32 v1, v1, 23, 0x3c000000
	v_and_b32_e32 v2, 0x80000000, v2
	s_delay_alu instid0(VALU_DEP_1)
	v_or3_b32 v1, v3, v2, v1
.LBB432_16:                             ;   in Loop: Header=BB432_10 Depth=1
	s_or_b32 exec_lo, exec_lo, s21
.LBB432_17:                             ;   in Loop: Header=BB432_10 Depth=1
	s_delay_alu instid0(SALU_CYCLE_1)
	s_or_b32 exec_lo, exec_lo, s20
.LBB432_18:                             ;   in Loop: Header=BB432_10 Depth=1
	s_delay_alu instid0(SALU_CYCLE_1) | instskip(SKIP_2) | instid1(VALU_DEP_1)
	s_or_b32 exec_lo, exec_lo, s4
	s_waitcnt vmcnt(0) lgkmcnt(0)
	v_mul_f32_e32 v1, v171, v1
                                        ; implicit-def: $vgpr170
	v_and_b32_e32 v2, 0x7f800000, v1
	s_delay_alu instid0(VALU_DEP_1) | instskip(NEXT) | instid1(VALU_DEP_1)
	v_cmp_ne_u32_e64 s3, 0x7f800000, v2
	s_and_saveexec_b32 s4, s3
	s_delay_alu instid0(SALU_CYCLE_1)
	s_xor_b32 s3, exec_lo, s4
; %bb.19:                               ;   in Loop: Header=BB432_10 Depth=1
	v_bfe_u32 v2, v1, 16, 1
	s_delay_alu instid0(VALU_DEP_1)
	v_add3_u32 v170, v1, v2, 0x7fff
                                        ; implicit-def: $vgpr1
; %bb.20:                               ;   in Loop: Header=BB432_10 Depth=1
	s_and_not1_saveexec_b32 s4, s3
; %bb.21:                               ;   in Loop: Header=BB432_10 Depth=1
	v_and_b32_e32 v2, 0xffff, v1
	v_or_b32_e32 v3, 0x10000, v1
	s_delay_alu instid0(VALU_DEP_2) | instskip(NEXT) | instid1(VALU_DEP_1)
	v_cmp_eq_u32_e64 s3, 0, v2
	v_cndmask_b32_e64 v170, v3, v1, s3
; %bb.22:                               ;   in Loop: Header=BB432_10 Depth=1
	s_or_b32 exec_lo, exec_lo, s4
	v_lshrrev_b16 v2, 8, v0
	v_mov_b32_e32 v1, 0
	s_mov_b32 s4, exec_lo
	s_delay_alu instid0(VALU_DEP_2)
	v_cmpx_ne_u16_e32 0, v2
	s_cbranch_execz .LBB432_30
; %bb.23:                               ;   in Loop: Header=BB432_10 Depth=1
	v_bfrev_b32_e32 v1, 1
	s_mov_b32 s20, exec_lo
	v_cmpx_ne_u16_e32 0x80, v2
	s_cbranch_execz .LBB432_29
; %bb.24:                               ;   in Loop: Header=BB432_10 Depth=1
	v_and_b32_e32 v3, 0xffff, v2
	v_mov_b32_e32 v1, 0x7f800001
	s_mov_b32 s21, exec_lo
	s_delay_alu instid0(VALU_DEP_2) | instskip(NEXT) | instid1(VALU_DEP_1)
	v_and_b32_e32 v2, 0x7f, v3
	v_cmpx_ne_u32_e32 0x7f, v2
	s_cbranch_execz .LBB432_28
; %bb.25:                               ;   in Loop: Header=BB432_10 Depth=1
	v_and_b32_e32 v20, 7, v3
	v_lshrrev_b32_e32 v1, 3, v2
	v_mov_b32_e32 v31, v21
	s_mov_b32 s22, exec_lo
	s_delay_alu instid0(VALU_DEP_3)
	v_mov_b32_e32 v30, v20
	v_cmpx_gt_u32_e32 8, v2
; %bb.26:                               ;   in Loop: Header=BB432_10 Depth=1
	v_clz_i32_u32_e32 v1, v20
	s_delay_alu instid0(VALU_DEP_1) | instskip(NEXT) | instid1(VALU_DEP_1)
	v_min_u32_e32 v1, 32, v1
	v_subrev_nc_u32_e32 v2, 28, v1
	v_sub_nc_u32_e32 v1, 29, v1
	s_delay_alu instid0(VALU_DEP_2) | instskip(NEXT) | instid1(VALU_DEP_1)
	v_lshlrev_b64 v[2:3], v2, v[20:21]
	v_and_b32_e32 v30, 7, v2
; %bb.27:                               ;   in Loop: Header=BB432_10 Depth=1
	s_or_b32 exec_lo, exec_lo, s22
	v_lshlrev_b32_e32 v2, 16, v0
	s_delay_alu instid0(VALU_DEP_2) | instskip(SKIP_1) | instid1(VALU_DEP_3)
	v_lshlrev_b32_e32 v3, 20, v30
	v_lshl_add_u32 v1, v1, 23, 0x3c000000
	v_and_b32_e32 v2, 0x80000000, v2
	s_delay_alu instid0(VALU_DEP_1)
	v_or3_b32 v1, v3, v2, v1
.LBB432_28:                             ;   in Loop: Header=BB432_10 Depth=1
	s_or_b32 exec_lo, exec_lo, s21
.LBB432_29:                             ;   in Loop: Header=BB432_10 Depth=1
	s_delay_alu instid0(SALU_CYCLE_1)
	s_or_b32 exec_lo, exec_lo, s20
.LBB432_30:                             ;   in Loop: Header=BB432_10 Depth=1
	s_delay_alu instid0(SALU_CYCLE_1) | instskip(NEXT) | instid1(VALU_DEP_1)
	s_or_b32 exec_lo, exec_lo, s4
	v_mul_f32_e32 v1, v171, v1
                                        ; implicit-def: $vgpr172
	s_delay_alu instid0(VALU_DEP_1) | instskip(NEXT) | instid1(VALU_DEP_1)
	v_and_b32_e32 v2, 0x7f800000, v1
	v_cmp_ne_u32_e64 s3, 0x7f800000, v2
	s_delay_alu instid0(VALU_DEP_1) | instskip(NEXT) | instid1(SALU_CYCLE_1)
	s_and_saveexec_b32 s4, s3
	s_xor_b32 s3, exec_lo, s4
; %bb.31:                               ;   in Loop: Header=BB432_10 Depth=1
	v_bfe_u32 v2, v1, 16, 1
	s_delay_alu instid0(VALU_DEP_1)
	v_add3_u32 v172, v1, v2, 0x7fff
                                        ; implicit-def: $vgpr1
; %bb.32:                               ;   in Loop: Header=BB432_10 Depth=1
	s_and_not1_saveexec_b32 s4, s3
; %bb.33:                               ;   in Loop: Header=BB432_10 Depth=1
	v_and_b32_e32 v2, 0xffff, v1
	v_or_b32_e32 v3, 0x10000, v1
	s_delay_alu instid0(VALU_DEP_2) | instskip(NEXT) | instid1(VALU_DEP_1)
	v_cmp_eq_u32_e64 s3, 0, v2
	v_cndmask_b32_e64 v172, v3, v1, s3
; %bb.34:                               ;   in Loop: Header=BB432_10 Depth=1
	s_or_b32 exec_lo, exec_lo, s4
	v_lshrrev_b32_e32 v1, 16, v0
	s_mov_b32 s4, exec_lo
	s_delay_alu instid0(VALU_DEP_1) | instskip(NEXT) | instid1(VALU_DEP_1)
	v_dual_mov_b32 v2, 0 :: v_dual_and_b32 v3, 0xff, v1
	v_cmpx_ne_u16_e32 0, v3
	s_cbranch_execz .LBB432_42
; %bb.35:                               ;   in Loop: Header=BB432_10 Depth=1
	v_bfrev_b32_e32 v2, 1
	s_mov_b32 s20, exec_lo
	v_cmpx_ne_u16_e32 0x80, v3
	s_cbranch_execz .LBB432_41
; %bb.36:                               ;   in Loop: Header=BB432_10 Depth=1
	v_bfe_u32 v3, v0, 16, 7
	v_mov_b32_e32 v2, 0x7f800001
	s_mov_b32 s21, exec_lo
	s_delay_alu instid0(VALU_DEP_2)
	v_cmpx_ne_u32_e32 0x7f, v3
	s_cbranch_execz .LBB432_40
; %bb.37:                               ;   in Loop: Header=BB432_10 Depth=1
	v_and_b32_e32 v20, 7, v1
	v_lshrrev_b32_e32 v2, 3, v3
	v_mov_b32_e32 v31, v21
	s_mov_b32 s22, exec_lo
	s_delay_alu instid0(VALU_DEP_3)
	v_mov_b32_e32 v30, v20
	v_cmpx_gt_u32_e32 8, v3
; %bb.38:                               ;   in Loop: Header=BB432_10 Depth=1
	v_clz_i32_u32_e32 v2, v20
	s_delay_alu instid0(VALU_DEP_1) | instskip(NEXT) | instid1(VALU_DEP_1)
	v_min_u32_e32 v2, 32, v2
	v_subrev_nc_u32_e32 v3, 28, v2
	v_sub_nc_u32_e32 v2, 29, v2
	s_delay_alu instid0(VALU_DEP_2) | instskip(NEXT) | instid1(VALU_DEP_1)
	v_lshlrev_b64 v[3:4], v3, v[20:21]
	v_and_b32_e32 v30, 7, v3
; %bb.39:                               ;   in Loop: Header=BB432_10 Depth=1
	s_or_b32 exec_lo, exec_lo, s22
	v_lshlrev_b32_e32 v1, 24, v1
	s_delay_alu instid0(VALU_DEP_2) | instskip(SKIP_1) | instid1(VALU_DEP_3)
	v_lshlrev_b32_e32 v3, 20, v30
	v_lshl_add_u32 v2, v2, 23, 0x3c000000
	v_and_b32_e32 v1, 0x80000000, v1
	s_delay_alu instid0(VALU_DEP_1)
	v_or3_b32 v2, v3, v1, v2
.LBB432_40:                             ;   in Loop: Header=BB432_10 Depth=1
	s_or_b32 exec_lo, exec_lo, s21
.LBB432_41:                             ;   in Loop: Header=BB432_10 Depth=1
	s_delay_alu instid0(SALU_CYCLE_1)
	s_or_b32 exec_lo, exec_lo, s20
.LBB432_42:                             ;   in Loop: Header=BB432_10 Depth=1
	s_delay_alu instid0(SALU_CYCLE_1) | instskip(NEXT) | instid1(VALU_DEP_1)
	s_or_b32 exec_lo, exec_lo, s4
	v_mul_f32_e32 v1, v171, v2
                                        ; implicit-def: $vgpr173
	s_delay_alu instid0(VALU_DEP_1) | instskip(NEXT) | instid1(VALU_DEP_1)
	v_and_b32_e32 v2, 0x7f800000, v1
	v_cmp_ne_u32_e64 s3, 0x7f800000, v2
	s_delay_alu instid0(VALU_DEP_1) | instskip(NEXT) | instid1(SALU_CYCLE_1)
	s_and_saveexec_b32 s4, s3
	s_xor_b32 s3, exec_lo, s4
; %bb.43:                               ;   in Loop: Header=BB432_10 Depth=1
	v_bfe_u32 v2, v1, 16, 1
	s_delay_alu instid0(VALU_DEP_1)
	v_add3_u32 v173, v1, v2, 0x7fff
                                        ; implicit-def: $vgpr1
; %bb.44:                               ;   in Loop: Header=BB432_10 Depth=1
	s_and_not1_saveexec_b32 s4, s3
; %bb.45:                               ;   in Loop: Header=BB432_10 Depth=1
	v_and_b32_e32 v2, 0xffff, v1
	v_or_b32_e32 v3, 0x10000, v1
	s_delay_alu instid0(VALU_DEP_2) | instskip(NEXT) | instid1(VALU_DEP_1)
	v_cmp_eq_u32_e64 s3, 0, v2
	v_cndmask_b32_e64 v173, v3, v1, s3
; %bb.46:                               ;   in Loop: Header=BB432_10 Depth=1
	s_or_b32 exec_lo, exec_lo, s4
	v_mov_b32_e32 v2, 0
	s_mov_b32 s4, exec_lo
	v_cmpx_lt_u32_e32 0xffffff, v0
	s_cbranch_execz .LBB432_54
; %bb.47:                               ;   in Loop: Header=BB432_10 Depth=1
	v_lshrrev_b32_e32 v1, 24, v0
	v_bfrev_b32_e32 v2, 1
	s_mov_b32 s20, exec_lo
	s_delay_alu instid0(VALU_DEP_2)
	v_cmpx_ne_u32_e32 0x80, v1
	s_cbranch_execz .LBB432_53
; %bb.48:                               ;   in Loop: Header=BB432_10 Depth=1
	v_bfe_u32 v3, v0, 24, 7
	v_mov_b32_e32 v2, 0x7f800001
	s_mov_b32 s21, exec_lo
	s_delay_alu instid0(VALU_DEP_2)
	v_cmpx_ne_u32_e32 0x7f, v3
	s_cbranch_execz .LBB432_52
; %bb.49:                               ;   in Loop: Header=BB432_10 Depth=1
	v_and_b32_e32 v20, 7, v1
	v_lshrrev_b32_e32 v0, 3, v3
	v_mov_b32_e32 v31, v21
	s_mov_b32 s22, exec_lo
	s_delay_alu instid0(VALU_DEP_3)
	v_mov_b32_e32 v30, v20
	v_cmpx_gt_u32_e32 8, v3
; %bb.50:                               ;   in Loop: Header=BB432_10 Depth=1
	v_clz_i32_u32_e32 v0, v20
	s_delay_alu instid0(VALU_DEP_1) | instskip(NEXT) | instid1(VALU_DEP_1)
	v_min_u32_e32 v0, 32, v0
	v_subrev_nc_u32_e32 v2, 28, v0
	v_sub_nc_u32_e32 v0, 29, v0
	s_delay_alu instid0(VALU_DEP_2) | instskip(NEXT) | instid1(VALU_DEP_1)
	v_lshlrev_b64 v[2:3], v2, v[20:21]
	v_and_b32_e32 v30, 7, v2
; %bb.51:                               ;   in Loop: Header=BB432_10 Depth=1
	s_or_b32 exec_lo, exec_lo, s22
	v_lshlrev_b32_e32 v1, 24, v1
	s_delay_alu instid0(VALU_DEP_2) | instskip(SKIP_1) | instid1(VALU_DEP_3)
	v_lshlrev_b32_e32 v2, 20, v30
	v_lshl_add_u32 v0, v0, 23, 0x3c000000
	v_and_b32_e32 v1, 0x80000000, v1
	s_delay_alu instid0(VALU_DEP_1)
	v_or3_b32 v2, v2, v1, v0
.LBB432_52:                             ;   in Loop: Header=BB432_10 Depth=1
	s_or_b32 exec_lo, exec_lo, s21
.LBB432_53:                             ;   in Loop: Header=BB432_10 Depth=1
	s_delay_alu instid0(SALU_CYCLE_1)
	s_or_b32 exec_lo, exec_lo, s20
.LBB432_54:                             ;   in Loop: Header=BB432_10 Depth=1
	s_delay_alu instid0(SALU_CYCLE_1) | instskip(NEXT) | instid1(VALU_DEP_1)
	s_or_b32 exec_lo, exec_lo, s4
	v_mul_f32_e32 v0, v171, v2
                                        ; implicit-def: $vgpr174
	s_delay_alu instid0(VALU_DEP_1) | instskip(NEXT) | instid1(VALU_DEP_1)
	v_and_b32_e32 v1, 0x7f800000, v0
	v_cmp_ne_u32_e64 s3, 0x7f800000, v1
	s_delay_alu instid0(VALU_DEP_1) | instskip(NEXT) | instid1(SALU_CYCLE_1)
	s_and_saveexec_b32 s4, s3
	s_xor_b32 s3, exec_lo, s4
; %bb.55:                               ;   in Loop: Header=BB432_10 Depth=1
	v_bfe_u32 v1, v0, 16, 1
	s_delay_alu instid0(VALU_DEP_1)
	v_add3_u32 v174, v0, v1, 0x7fff
                                        ; implicit-def: $vgpr0
; %bb.56:                               ;   in Loop: Header=BB432_10 Depth=1
	s_and_not1_saveexec_b32 s4, s3
; %bb.57:                               ;   in Loop: Header=BB432_10 Depth=1
	v_and_b32_e32 v1, 0xffff, v0
	v_or_b32_e32 v2, 0x10000, v0
	s_delay_alu instid0(VALU_DEP_2) | instskip(NEXT) | instid1(VALU_DEP_1)
	v_cmp_eq_u32_e64 s3, 0, v1
	v_cndmask_b32_e64 v174, v2, v0, s3
; %bb.58:                               ;   in Loop: Header=BB432_10 Depth=1
	s_or_b32 exec_lo, exec_lo, s4
	flat_load_b32 v0, v[28:29] offset:8
	s_mov_b32 s4, exec_lo
	s_waitcnt vmcnt(0) lgkmcnt(0)
	v_dual_mov_b32 v1, 0 :: v_dual_and_b32 v2, 0xff, v0
	s_delay_alu instid0(VALU_DEP_1)
	v_cmpx_ne_u16_e32 0, v2
	s_cbranch_execz .LBB432_66
; %bb.59:                               ;   in Loop: Header=BB432_10 Depth=1
	v_bfrev_b32_e32 v1, 1
	s_mov_b32 s20, exec_lo
	v_cmpx_ne_u16_e32 0x80, v2
	s_cbranch_execz .LBB432_65
; %bb.60:                               ;   in Loop: Header=BB432_10 Depth=1
	v_and_b32_e32 v2, 0x7f, v0
	v_mov_b32_e32 v1, 0x7f800001
	s_mov_b32 s21, exec_lo
	s_delay_alu instid0(VALU_DEP_2)
	v_cmpx_ne_u32_e32 0x7f, v2
	s_cbranch_execz .LBB432_64
; %bb.61:                               ;   in Loop: Header=BB432_10 Depth=1
	v_and_b32_e32 v20, 7, v0
	v_lshrrev_b32_e32 v1, 3, v2
	v_mov_b32_e32 v31, v21
	s_mov_b32 s22, exec_lo
	s_delay_alu instid0(VALU_DEP_3)
	v_mov_b32_e32 v30, v20
	v_cmpx_gt_u32_e32 8, v2
; %bb.62:                               ;   in Loop: Header=BB432_10 Depth=1
	v_clz_i32_u32_e32 v1, v20
	s_delay_alu instid0(VALU_DEP_1) | instskip(NEXT) | instid1(VALU_DEP_1)
	v_min_u32_e32 v1, 32, v1
	v_subrev_nc_u32_e32 v2, 28, v1
	v_sub_nc_u32_e32 v1, 29, v1
	s_delay_alu instid0(VALU_DEP_2) | instskip(NEXT) | instid1(VALU_DEP_1)
	v_lshlrev_b64 v[2:3], v2, v[20:21]
	v_and_b32_e32 v30, 7, v2
; %bb.63:                               ;   in Loop: Header=BB432_10 Depth=1
	s_or_b32 exec_lo, exec_lo, s22
	v_lshlrev_b32_e32 v2, 24, v0
	s_delay_alu instid0(VALU_DEP_2) | instskip(SKIP_1) | instid1(VALU_DEP_3)
	v_lshlrev_b32_e32 v3, 20, v30
	v_lshl_add_u32 v1, v1, 23, 0x3c000000
	v_and_b32_e32 v2, 0x80000000, v2
	s_delay_alu instid0(VALU_DEP_1)
	v_or3_b32 v1, v3, v2, v1
.LBB432_64:                             ;   in Loop: Header=BB432_10 Depth=1
	s_or_b32 exec_lo, exec_lo, s21
.LBB432_65:                             ;   in Loop: Header=BB432_10 Depth=1
	s_delay_alu instid0(SALU_CYCLE_1)
	s_or_b32 exec_lo, exec_lo, s20
.LBB432_66:                             ;   in Loop: Header=BB432_10 Depth=1
	s_delay_alu instid0(SALU_CYCLE_1) | instskip(NEXT) | instid1(VALU_DEP_1)
	s_or_b32 exec_lo, exec_lo, s4
	v_mul_f32_e32 v1, v171, v1
                                        ; implicit-def: $vgpr175
	s_delay_alu instid0(VALU_DEP_1) | instskip(NEXT) | instid1(VALU_DEP_1)
	v_and_b32_e32 v2, 0x7f800000, v1
	v_cmp_ne_u32_e64 s3, 0x7f800000, v2
	s_delay_alu instid0(VALU_DEP_1) | instskip(NEXT) | instid1(SALU_CYCLE_1)
	s_and_saveexec_b32 s4, s3
	s_xor_b32 s3, exec_lo, s4
; %bb.67:                               ;   in Loop: Header=BB432_10 Depth=1
	v_bfe_u32 v2, v1, 16, 1
	s_delay_alu instid0(VALU_DEP_1)
	v_add3_u32 v175, v1, v2, 0x7fff
                                        ; implicit-def: $vgpr1
; %bb.68:                               ;   in Loop: Header=BB432_10 Depth=1
	s_and_not1_saveexec_b32 s4, s3
; %bb.69:                               ;   in Loop: Header=BB432_10 Depth=1
	v_and_b32_e32 v2, 0xffff, v1
	v_or_b32_e32 v3, 0x10000, v1
	s_delay_alu instid0(VALU_DEP_2) | instskip(NEXT) | instid1(VALU_DEP_1)
	v_cmp_eq_u32_e64 s3, 0, v2
	v_cndmask_b32_e64 v175, v3, v1, s3
; %bb.70:                               ;   in Loop: Header=BB432_10 Depth=1
	s_or_b32 exec_lo, exec_lo, s4
	v_lshrrev_b16 v2, 8, v0
	v_mov_b32_e32 v1, 0
	s_mov_b32 s4, exec_lo
	s_delay_alu instid0(VALU_DEP_2)
	v_cmpx_ne_u16_e32 0, v2
	s_cbranch_execz .LBB432_78
; %bb.71:                               ;   in Loop: Header=BB432_10 Depth=1
	v_bfrev_b32_e32 v1, 1
	s_mov_b32 s20, exec_lo
	v_cmpx_ne_u16_e32 0x80, v2
	s_cbranch_execz .LBB432_77
; %bb.72:                               ;   in Loop: Header=BB432_10 Depth=1
	v_and_b32_e32 v3, 0xffff, v2
	v_mov_b32_e32 v1, 0x7f800001
	s_mov_b32 s21, exec_lo
	s_delay_alu instid0(VALU_DEP_2) | instskip(NEXT) | instid1(VALU_DEP_1)
	v_and_b32_e32 v2, 0x7f, v3
	v_cmpx_ne_u32_e32 0x7f, v2
	s_cbranch_execz .LBB432_76
; %bb.73:                               ;   in Loop: Header=BB432_10 Depth=1
	v_and_b32_e32 v20, 7, v3
	v_lshrrev_b32_e32 v1, 3, v2
	v_mov_b32_e32 v31, v21
	s_mov_b32 s22, exec_lo
	s_delay_alu instid0(VALU_DEP_3)
	v_mov_b32_e32 v30, v20
	v_cmpx_gt_u32_e32 8, v2
; %bb.74:                               ;   in Loop: Header=BB432_10 Depth=1
	v_clz_i32_u32_e32 v1, v20
	s_delay_alu instid0(VALU_DEP_1) | instskip(NEXT) | instid1(VALU_DEP_1)
	v_min_u32_e32 v1, 32, v1
	v_subrev_nc_u32_e32 v2, 28, v1
	v_sub_nc_u32_e32 v1, 29, v1
	s_delay_alu instid0(VALU_DEP_2) | instskip(NEXT) | instid1(VALU_DEP_1)
	v_lshlrev_b64 v[2:3], v2, v[20:21]
	v_and_b32_e32 v30, 7, v2
; %bb.75:                               ;   in Loop: Header=BB432_10 Depth=1
	s_or_b32 exec_lo, exec_lo, s22
	v_lshlrev_b32_e32 v2, 16, v0
	s_delay_alu instid0(VALU_DEP_2) | instskip(SKIP_1) | instid1(VALU_DEP_3)
	v_lshlrev_b32_e32 v3, 20, v30
	v_lshl_add_u32 v1, v1, 23, 0x3c000000
	v_and_b32_e32 v2, 0x80000000, v2
	s_delay_alu instid0(VALU_DEP_1)
	v_or3_b32 v1, v3, v2, v1
.LBB432_76:                             ;   in Loop: Header=BB432_10 Depth=1
	s_or_b32 exec_lo, exec_lo, s21
.LBB432_77:                             ;   in Loop: Header=BB432_10 Depth=1
	s_delay_alu instid0(SALU_CYCLE_1)
	s_or_b32 exec_lo, exec_lo, s20
.LBB432_78:                             ;   in Loop: Header=BB432_10 Depth=1
	s_delay_alu instid0(SALU_CYCLE_1) | instskip(NEXT) | instid1(VALU_DEP_1)
	s_or_b32 exec_lo, exec_lo, s4
	v_mul_f32_e32 v1, v171, v1
                                        ; implicit-def: $vgpr184
	s_delay_alu instid0(VALU_DEP_1) | instskip(NEXT) | instid1(VALU_DEP_1)
	v_and_b32_e32 v2, 0x7f800000, v1
	v_cmp_ne_u32_e64 s3, 0x7f800000, v2
	s_delay_alu instid0(VALU_DEP_1) | instskip(NEXT) | instid1(SALU_CYCLE_1)
	s_and_saveexec_b32 s4, s3
	s_xor_b32 s3, exec_lo, s4
; %bb.79:                               ;   in Loop: Header=BB432_10 Depth=1
	v_bfe_u32 v2, v1, 16, 1
	s_delay_alu instid0(VALU_DEP_1)
	v_add3_u32 v184, v1, v2, 0x7fff
                                        ; implicit-def: $vgpr1
; %bb.80:                               ;   in Loop: Header=BB432_10 Depth=1
	s_and_not1_saveexec_b32 s4, s3
; %bb.81:                               ;   in Loop: Header=BB432_10 Depth=1
	v_and_b32_e32 v2, 0xffff, v1
	v_or_b32_e32 v3, 0x10000, v1
	s_delay_alu instid0(VALU_DEP_2) | instskip(NEXT) | instid1(VALU_DEP_1)
	v_cmp_eq_u32_e64 s3, 0, v2
	v_cndmask_b32_e64 v184, v3, v1, s3
; %bb.82:                               ;   in Loop: Header=BB432_10 Depth=1
	s_or_b32 exec_lo, exec_lo, s4
	v_lshrrev_b32_e32 v1, 16, v0
	s_mov_b32 s4, exec_lo
	s_delay_alu instid0(VALU_DEP_1) | instskip(NEXT) | instid1(VALU_DEP_1)
	v_dual_mov_b32 v2, 0 :: v_dual_and_b32 v3, 0xff, v1
	v_cmpx_ne_u16_e32 0, v3
	s_cbranch_execz .LBB432_90
; %bb.83:                               ;   in Loop: Header=BB432_10 Depth=1
	v_bfrev_b32_e32 v2, 1
	s_mov_b32 s20, exec_lo
	v_cmpx_ne_u16_e32 0x80, v3
	s_cbranch_execz .LBB432_89
; %bb.84:                               ;   in Loop: Header=BB432_10 Depth=1
	v_bfe_u32 v3, v0, 16, 7
	v_mov_b32_e32 v2, 0x7f800001
	s_mov_b32 s21, exec_lo
	s_delay_alu instid0(VALU_DEP_2)
	v_cmpx_ne_u32_e32 0x7f, v3
	s_cbranch_execz .LBB432_88
; %bb.85:                               ;   in Loop: Header=BB432_10 Depth=1
	v_and_b32_e32 v20, 7, v1
	v_lshrrev_b32_e32 v2, 3, v3
	v_mov_b32_e32 v31, v21
	s_mov_b32 s22, exec_lo
	s_delay_alu instid0(VALU_DEP_3)
	v_mov_b32_e32 v30, v20
	v_cmpx_gt_u32_e32 8, v3
; %bb.86:                               ;   in Loop: Header=BB432_10 Depth=1
	v_clz_i32_u32_e32 v2, v20
	s_delay_alu instid0(VALU_DEP_1) | instskip(NEXT) | instid1(VALU_DEP_1)
	v_min_u32_e32 v2, 32, v2
	v_subrev_nc_u32_e32 v3, 28, v2
	v_sub_nc_u32_e32 v2, 29, v2
	s_delay_alu instid0(VALU_DEP_2) | instskip(NEXT) | instid1(VALU_DEP_1)
	v_lshlrev_b64 v[3:4], v3, v[20:21]
	v_and_b32_e32 v30, 7, v3
; %bb.87:                               ;   in Loop: Header=BB432_10 Depth=1
	s_or_b32 exec_lo, exec_lo, s22
	v_lshlrev_b32_e32 v1, 24, v1
	s_delay_alu instid0(VALU_DEP_2) | instskip(SKIP_1) | instid1(VALU_DEP_3)
	v_lshlrev_b32_e32 v3, 20, v30
	v_lshl_add_u32 v2, v2, 23, 0x3c000000
	v_and_b32_e32 v1, 0x80000000, v1
	s_delay_alu instid0(VALU_DEP_1)
	v_or3_b32 v2, v3, v1, v2
.LBB432_88:                             ;   in Loop: Header=BB432_10 Depth=1
	s_or_b32 exec_lo, exec_lo, s21
.LBB432_89:                             ;   in Loop: Header=BB432_10 Depth=1
	s_delay_alu instid0(SALU_CYCLE_1)
	s_or_b32 exec_lo, exec_lo, s20
.LBB432_90:                             ;   in Loop: Header=BB432_10 Depth=1
	s_delay_alu instid0(SALU_CYCLE_1) | instskip(NEXT) | instid1(VALU_DEP_1)
	s_or_b32 exec_lo, exec_lo, s4
	v_mul_f32_e32 v1, v171, v2
                                        ; implicit-def: $vgpr185
	s_delay_alu instid0(VALU_DEP_1) | instskip(NEXT) | instid1(VALU_DEP_1)
	v_and_b32_e32 v2, 0x7f800000, v1
	v_cmp_ne_u32_e64 s3, 0x7f800000, v2
	s_delay_alu instid0(VALU_DEP_1) | instskip(NEXT) | instid1(SALU_CYCLE_1)
	s_and_saveexec_b32 s4, s3
	s_xor_b32 s3, exec_lo, s4
; %bb.91:                               ;   in Loop: Header=BB432_10 Depth=1
	v_bfe_u32 v2, v1, 16, 1
	s_delay_alu instid0(VALU_DEP_1)
	v_add3_u32 v185, v1, v2, 0x7fff
                                        ; implicit-def: $vgpr1
; %bb.92:                               ;   in Loop: Header=BB432_10 Depth=1
	s_and_not1_saveexec_b32 s4, s3
; %bb.93:                               ;   in Loop: Header=BB432_10 Depth=1
	v_and_b32_e32 v2, 0xffff, v1
	v_or_b32_e32 v3, 0x10000, v1
	s_delay_alu instid0(VALU_DEP_2) | instskip(NEXT) | instid1(VALU_DEP_1)
	v_cmp_eq_u32_e64 s3, 0, v2
	v_cndmask_b32_e64 v185, v3, v1, s3
; %bb.94:                               ;   in Loop: Header=BB432_10 Depth=1
	s_or_b32 exec_lo, exec_lo, s4
	v_mov_b32_e32 v2, 0
	s_mov_b32 s4, exec_lo
	v_cmpx_lt_u32_e32 0xffffff, v0
	s_cbranch_execz .LBB432_102
; %bb.95:                               ;   in Loop: Header=BB432_10 Depth=1
	v_lshrrev_b32_e32 v1, 24, v0
	v_bfrev_b32_e32 v2, 1
	s_mov_b32 s20, exec_lo
	s_delay_alu instid0(VALU_DEP_2)
	v_cmpx_ne_u32_e32 0x80, v1
	s_cbranch_execz .LBB432_101
; %bb.96:                               ;   in Loop: Header=BB432_10 Depth=1
	v_bfe_u32 v3, v0, 24, 7
	v_mov_b32_e32 v2, 0x7f800001
	s_mov_b32 s21, exec_lo
	s_delay_alu instid0(VALU_DEP_2)
	v_cmpx_ne_u32_e32 0x7f, v3
	s_cbranch_execz .LBB432_100
; %bb.97:                               ;   in Loop: Header=BB432_10 Depth=1
	v_and_b32_e32 v20, 7, v1
	v_lshrrev_b32_e32 v0, 3, v3
	v_mov_b32_e32 v31, v21
	s_mov_b32 s22, exec_lo
	s_delay_alu instid0(VALU_DEP_3)
	v_mov_b32_e32 v30, v20
	v_cmpx_gt_u32_e32 8, v3
; %bb.98:                               ;   in Loop: Header=BB432_10 Depth=1
	v_clz_i32_u32_e32 v0, v20
	s_delay_alu instid0(VALU_DEP_1) | instskip(NEXT) | instid1(VALU_DEP_1)
	v_min_u32_e32 v0, 32, v0
	v_subrev_nc_u32_e32 v2, 28, v0
	v_sub_nc_u32_e32 v0, 29, v0
	s_delay_alu instid0(VALU_DEP_2) | instskip(NEXT) | instid1(VALU_DEP_1)
	v_lshlrev_b64 v[2:3], v2, v[20:21]
	v_and_b32_e32 v30, 7, v2
; %bb.99:                               ;   in Loop: Header=BB432_10 Depth=1
	s_or_b32 exec_lo, exec_lo, s22
	v_lshlrev_b32_e32 v1, 24, v1
	s_delay_alu instid0(VALU_DEP_2) | instskip(SKIP_1) | instid1(VALU_DEP_3)
	v_lshlrev_b32_e32 v2, 20, v30
	v_lshl_add_u32 v0, v0, 23, 0x3c000000
	v_and_b32_e32 v1, 0x80000000, v1
	s_delay_alu instid0(VALU_DEP_1)
	v_or3_b32 v2, v2, v1, v0
.LBB432_100:                            ;   in Loop: Header=BB432_10 Depth=1
	s_or_b32 exec_lo, exec_lo, s21
.LBB432_101:                            ;   in Loop: Header=BB432_10 Depth=1
	s_delay_alu instid0(SALU_CYCLE_1)
	s_or_b32 exec_lo, exec_lo, s20
.LBB432_102:                            ;   in Loop: Header=BB432_10 Depth=1
	s_delay_alu instid0(SALU_CYCLE_1) | instskip(NEXT) | instid1(VALU_DEP_1)
	s_or_b32 exec_lo, exec_lo, s4
	v_mul_f32_e32 v0, v171, v2
                                        ; implicit-def: $vgpr186
	s_delay_alu instid0(VALU_DEP_1) | instskip(NEXT) | instid1(VALU_DEP_1)
	v_and_b32_e32 v1, 0x7f800000, v0
	v_cmp_ne_u32_e64 s3, 0x7f800000, v1
	s_delay_alu instid0(VALU_DEP_1) | instskip(NEXT) | instid1(SALU_CYCLE_1)
	s_and_saveexec_b32 s4, s3
	s_xor_b32 s3, exec_lo, s4
; %bb.103:                              ;   in Loop: Header=BB432_10 Depth=1
	v_bfe_u32 v1, v0, 16, 1
	s_delay_alu instid0(VALU_DEP_1)
	v_add3_u32 v186, v0, v1, 0x7fff
                                        ; implicit-def: $vgpr0
; %bb.104:                              ;   in Loop: Header=BB432_10 Depth=1
	s_and_not1_saveexec_b32 s4, s3
; %bb.105:                              ;   in Loop: Header=BB432_10 Depth=1
	v_and_b32_e32 v1, 0xffff, v0
	v_or_b32_e32 v2, 0x10000, v0
	s_delay_alu instid0(VALU_DEP_2) | instskip(NEXT) | instid1(VALU_DEP_1)
	v_cmp_eq_u32_e64 s3, 0, v1
	v_cndmask_b32_e64 v186, v2, v0, s3
; %bb.106:                              ;   in Loop: Header=BB432_10 Depth=1
	s_or_b32 exec_lo, exec_lo, s4
	flat_load_b32 v0, v[28:29] offset:256
	s_mov_b32 s4, exec_lo
	s_waitcnt vmcnt(0) lgkmcnt(0)
	v_dual_mov_b32 v1, 0 :: v_dual_and_b32 v2, 0xff, v0
	s_delay_alu instid0(VALU_DEP_1)
	v_cmpx_ne_u16_e32 0, v2
	s_cbranch_execz .LBB432_114
; %bb.107:                              ;   in Loop: Header=BB432_10 Depth=1
	v_bfrev_b32_e32 v1, 1
	s_mov_b32 s20, exec_lo
	v_cmpx_ne_u16_e32 0x80, v2
	s_cbranch_execz .LBB432_113
; %bb.108:                              ;   in Loop: Header=BB432_10 Depth=1
	v_and_b32_e32 v2, 0x7f, v0
	v_mov_b32_e32 v1, 0x7f800001
	s_mov_b32 s21, exec_lo
	s_delay_alu instid0(VALU_DEP_2)
	v_cmpx_ne_u32_e32 0x7f, v2
	s_cbranch_execz .LBB432_112
; %bb.109:                              ;   in Loop: Header=BB432_10 Depth=1
	v_and_b32_e32 v20, 7, v0
	v_lshrrev_b32_e32 v1, 3, v2
	v_mov_b32_e32 v31, v21
	s_mov_b32 s22, exec_lo
	s_delay_alu instid0(VALU_DEP_3)
	v_mov_b32_e32 v30, v20
	v_cmpx_gt_u32_e32 8, v2
; %bb.110:                              ;   in Loop: Header=BB432_10 Depth=1
	v_clz_i32_u32_e32 v1, v20
	s_delay_alu instid0(VALU_DEP_1) | instskip(NEXT) | instid1(VALU_DEP_1)
	v_min_u32_e32 v1, 32, v1
	v_subrev_nc_u32_e32 v2, 28, v1
	v_sub_nc_u32_e32 v1, 29, v1
	s_delay_alu instid0(VALU_DEP_2) | instskip(NEXT) | instid1(VALU_DEP_1)
	v_lshlrev_b64 v[2:3], v2, v[20:21]
	v_and_b32_e32 v30, 7, v2
; %bb.111:                              ;   in Loop: Header=BB432_10 Depth=1
	s_or_b32 exec_lo, exec_lo, s22
	v_lshlrev_b32_e32 v2, 24, v0
	s_delay_alu instid0(VALU_DEP_2) | instskip(SKIP_1) | instid1(VALU_DEP_3)
	v_lshlrev_b32_e32 v3, 20, v30
	v_lshl_add_u32 v1, v1, 23, 0x3c000000
	v_and_b32_e32 v2, 0x80000000, v2
	s_delay_alu instid0(VALU_DEP_1)
	v_or3_b32 v1, v3, v2, v1
.LBB432_112:                            ;   in Loop: Header=BB432_10 Depth=1
	s_or_b32 exec_lo, exec_lo, s21
.LBB432_113:                            ;   in Loop: Header=BB432_10 Depth=1
	s_delay_alu instid0(SALU_CYCLE_1)
	s_or_b32 exec_lo, exec_lo, s20
.LBB432_114:                            ;   in Loop: Header=BB432_10 Depth=1
	s_delay_alu instid0(SALU_CYCLE_1) | instskip(NEXT) | instid1(VALU_DEP_1)
	s_or_b32 exec_lo, exec_lo, s4
	v_mul_f32_e32 v1, v171, v1
                                        ; implicit-def: $vgpr187
	s_delay_alu instid0(VALU_DEP_1) | instskip(NEXT) | instid1(VALU_DEP_1)
	v_and_b32_e32 v2, 0x7f800000, v1
	v_cmp_ne_u32_e64 s3, 0x7f800000, v2
	s_delay_alu instid0(VALU_DEP_1) | instskip(NEXT) | instid1(SALU_CYCLE_1)
	s_and_saveexec_b32 s4, s3
	s_xor_b32 s3, exec_lo, s4
; %bb.115:                              ;   in Loop: Header=BB432_10 Depth=1
	v_bfe_u32 v2, v1, 16, 1
	s_delay_alu instid0(VALU_DEP_1)
	v_add3_u32 v187, v1, v2, 0x7fff
                                        ; implicit-def: $vgpr1
; %bb.116:                              ;   in Loop: Header=BB432_10 Depth=1
	s_and_not1_saveexec_b32 s4, s3
; %bb.117:                              ;   in Loop: Header=BB432_10 Depth=1
	v_and_b32_e32 v2, 0xffff, v1
	v_or_b32_e32 v3, 0x10000, v1
	s_delay_alu instid0(VALU_DEP_2) | instskip(NEXT) | instid1(VALU_DEP_1)
	v_cmp_eq_u32_e64 s3, 0, v2
	v_cndmask_b32_e64 v187, v3, v1, s3
; %bb.118:                              ;   in Loop: Header=BB432_10 Depth=1
	s_or_b32 exec_lo, exec_lo, s4
	v_lshrrev_b16 v2, 8, v0
	v_mov_b32_e32 v1, 0
	s_mov_b32 s4, exec_lo
	s_delay_alu instid0(VALU_DEP_2)
	v_cmpx_ne_u16_e32 0, v2
	s_cbranch_execz .LBB432_126
; %bb.119:                              ;   in Loop: Header=BB432_10 Depth=1
	v_bfrev_b32_e32 v1, 1
	s_mov_b32 s20, exec_lo
	v_cmpx_ne_u16_e32 0x80, v2
	s_cbranch_execz .LBB432_125
; %bb.120:                              ;   in Loop: Header=BB432_10 Depth=1
	v_and_b32_e32 v3, 0xffff, v2
	v_mov_b32_e32 v1, 0x7f800001
	s_mov_b32 s21, exec_lo
	s_delay_alu instid0(VALU_DEP_2) | instskip(NEXT) | instid1(VALU_DEP_1)
	v_and_b32_e32 v2, 0x7f, v3
	v_cmpx_ne_u32_e32 0x7f, v2
	s_cbranch_execz .LBB432_124
; %bb.121:                              ;   in Loop: Header=BB432_10 Depth=1
	v_and_b32_e32 v20, 7, v3
	v_lshrrev_b32_e32 v1, 3, v2
	v_mov_b32_e32 v31, v21
	s_mov_b32 s22, exec_lo
	s_delay_alu instid0(VALU_DEP_3)
	v_mov_b32_e32 v30, v20
	v_cmpx_gt_u32_e32 8, v2
; %bb.122:                              ;   in Loop: Header=BB432_10 Depth=1
	v_clz_i32_u32_e32 v1, v20
	s_delay_alu instid0(VALU_DEP_1) | instskip(NEXT) | instid1(VALU_DEP_1)
	v_min_u32_e32 v1, 32, v1
	v_subrev_nc_u32_e32 v2, 28, v1
	v_sub_nc_u32_e32 v1, 29, v1
	s_delay_alu instid0(VALU_DEP_2) | instskip(NEXT) | instid1(VALU_DEP_1)
	v_lshlrev_b64 v[2:3], v2, v[20:21]
	v_and_b32_e32 v30, 7, v2
; %bb.123:                              ;   in Loop: Header=BB432_10 Depth=1
	s_or_b32 exec_lo, exec_lo, s22
	v_lshlrev_b32_e32 v2, 16, v0
	s_delay_alu instid0(VALU_DEP_2) | instskip(SKIP_1) | instid1(VALU_DEP_3)
	v_lshlrev_b32_e32 v3, 20, v30
	v_lshl_add_u32 v1, v1, 23, 0x3c000000
	v_and_b32_e32 v2, 0x80000000, v2
	s_delay_alu instid0(VALU_DEP_1)
	v_or3_b32 v1, v3, v2, v1
.LBB432_124:                            ;   in Loop: Header=BB432_10 Depth=1
	s_or_b32 exec_lo, exec_lo, s21
.LBB432_125:                            ;   in Loop: Header=BB432_10 Depth=1
	s_delay_alu instid0(SALU_CYCLE_1)
	s_or_b32 exec_lo, exec_lo, s20
.LBB432_126:                            ;   in Loop: Header=BB432_10 Depth=1
	s_delay_alu instid0(SALU_CYCLE_1) | instskip(NEXT) | instid1(VALU_DEP_1)
	s_or_b32 exec_lo, exec_lo, s4
	v_mul_f32_e32 v1, v171, v1
                                        ; implicit-def: $vgpr188
	s_delay_alu instid0(VALU_DEP_1) | instskip(NEXT) | instid1(VALU_DEP_1)
	v_and_b32_e32 v2, 0x7f800000, v1
	v_cmp_ne_u32_e64 s3, 0x7f800000, v2
	s_delay_alu instid0(VALU_DEP_1) | instskip(NEXT) | instid1(SALU_CYCLE_1)
	s_and_saveexec_b32 s4, s3
	s_xor_b32 s3, exec_lo, s4
; %bb.127:                              ;   in Loop: Header=BB432_10 Depth=1
	v_bfe_u32 v2, v1, 16, 1
	s_delay_alu instid0(VALU_DEP_1)
	v_add3_u32 v188, v1, v2, 0x7fff
                                        ; implicit-def: $vgpr1
; %bb.128:                              ;   in Loop: Header=BB432_10 Depth=1
	s_and_not1_saveexec_b32 s4, s3
; %bb.129:                              ;   in Loop: Header=BB432_10 Depth=1
	v_and_b32_e32 v2, 0xffff, v1
	v_or_b32_e32 v3, 0x10000, v1
	s_delay_alu instid0(VALU_DEP_2) | instskip(NEXT) | instid1(VALU_DEP_1)
	v_cmp_eq_u32_e64 s3, 0, v2
	v_cndmask_b32_e64 v188, v3, v1, s3
; %bb.130:                              ;   in Loop: Header=BB432_10 Depth=1
	s_or_b32 exec_lo, exec_lo, s4
	v_lshrrev_b32_e32 v1, 16, v0
	s_mov_b32 s4, exec_lo
	s_delay_alu instid0(VALU_DEP_1) | instskip(NEXT) | instid1(VALU_DEP_1)
	v_dual_mov_b32 v2, 0 :: v_dual_and_b32 v3, 0xff, v1
	v_cmpx_ne_u16_e32 0, v3
	s_cbranch_execz .LBB432_138
; %bb.131:                              ;   in Loop: Header=BB432_10 Depth=1
	v_bfrev_b32_e32 v2, 1
	s_mov_b32 s20, exec_lo
	v_cmpx_ne_u16_e32 0x80, v3
	s_cbranch_execz .LBB432_137
; %bb.132:                              ;   in Loop: Header=BB432_10 Depth=1
	v_bfe_u32 v3, v0, 16, 7
	v_mov_b32_e32 v2, 0x7f800001
	s_mov_b32 s21, exec_lo
	s_delay_alu instid0(VALU_DEP_2)
	v_cmpx_ne_u32_e32 0x7f, v3
	s_cbranch_execz .LBB432_136
; %bb.133:                              ;   in Loop: Header=BB432_10 Depth=1
	v_and_b32_e32 v20, 7, v1
	v_lshrrev_b32_e32 v2, 3, v3
	v_mov_b32_e32 v31, v21
	s_mov_b32 s22, exec_lo
	s_delay_alu instid0(VALU_DEP_3)
	v_mov_b32_e32 v30, v20
	v_cmpx_gt_u32_e32 8, v3
; %bb.134:                              ;   in Loop: Header=BB432_10 Depth=1
	v_clz_i32_u32_e32 v2, v20
	s_delay_alu instid0(VALU_DEP_1) | instskip(NEXT) | instid1(VALU_DEP_1)
	v_min_u32_e32 v2, 32, v2
	v_subrev_nc_u32_e32 v3, 28, v2
	v_sub_nc_u32_e32 v2, 29, v2
	s_delay_alu instid0(VALU_DEP_2) | instskip(NEXT) | instid1(VALU_DEP_1)
	v_lshlrev_b64 v[3:4], v3, v[20:21]
	v_and_b32_e32 v30, 7, v3
; %bb.135:                              ;   in Loop: Header=BB432_10 Depth=1
	s_or_b32 exec_lo, exec_lo, s22
	v_lshlrev_b32_e32 v1, 24, v1
	s_delay_alu instid0(VALU_DEP_2) | instskip(SKIP_1) | instid1(VALU_DEP_3)
	v_lshlrev_b32_e32 v3, 20, v30
	v_lshl_add_u32 v2, v2, 23, 0x3c000000
	v_and_b32_e32 v1, 0x80000000, v1
	s_delay_alu instid0(VALU_DEP_1)
	v_or3_b32 v2, v3, v1, v2
.LBB432_136:                            ;   in Loop: Header=BB432_10 Depth=1
	s_or_b32 exec_lo, exec_lo, s21
.LBB432_137:                            ;   in Loop: Header=BB432_10 Depth=1
	s_delay_alu instid0(SALU_CYCLE_1)
	s_or_b32 exec_lo, exec_lo, s20
.LBB432_138:                            ;   in Loop: Header=BB432_10 Depth=1
	s_delay_alu instid0(SALU_CYCLE_1) | instskip(NEXT) | instid1(VALU_DEP_1)
	s_or_b32 exec_lo, exec_lo, s4
	v_mul_f32_e32 v1, v171, v2
                                        ; implicit-def: $vgpr189
	s_delay_alu instid0(VALU_DEP_1) | instskip(NEXT) | instid1(VALU_DEP_1)
	v_and_b32_e32 v2, 0x7f800000, v1
	v_cmp_ne_u32_e64 s3, 0x7f800000, v2
	s_delay_alu instid0(VALU_DEP_1) | instskip(NEXT) | instid1(SALU_CYCLE_1)
	s_and_saveexec_b32 s4, s3
	s_xor_b32 s3, exec_lo, s4
; %bb.139:                              ;   in Loop: Header=BB432_10 Depth=1
	v_bfe_u32 v2, v1, 16, 1
	s_delay_alu instid0(VALU_DEP_1)
	v_add3_u32 v189, v1, v2, 0x7fff
                                        ; implicit-def: $vgpr1
; %bb.140:                              ;   in Loop: Header=BB432_10 Depth=1
	s_and_not1_saveexec_b32 s4, s3
; %bb.141:                              ;   in Loop: Header=BB432_10 Depth=1
	v_and_b32_e32 v2, 0xffff, v1
	v_or_b32_e32 v3, 0x10000, v1
	s_delay_alu instid0(VALU_DEP_2) | instskip(NEXT) | instid1(VALU_DEP_1)
	v_cmp_eq_u32_e64 s3, 0, v2
	v_cndmask_b32_e64 v189, v3, v1, s3
; %bb.142:                              ;   in Loop: Header=BB432_10 Depth=1
	s_or_b32 exec_lo, exec_lo, s4
	v_mov_b32_e32 v2, 0
	s_mov_b32 s4, exec_lo
	v_cmpx_lt_u32_e32 0xffffff, v0
	s_cbranch_execz .LBB432_150
; %bb.143:                              ;   in Loop: Header=BB432_10 Depth=1
	v_lshrrev_b32_e32 v1, 24, v0
	v_bfrev_b32_e32 v2, 1
	s_mov_b32 s20, exec_lo
	s_delay_alu instid0(VALU_DEP_2)
	v_cmpx_ne_u32_e32 0x80, v1
	s_cbranch_execz .LBB432_149
; %bb.144:                              ;   in Loop: Header=BB432_10 Depth=1
	v_bfe_u32 v3, v0, 24, 7
	v_mov_b32_e32 v2, 0x7f800001
	s_mov_b32 s21, exec_lo
	s_delay_alu instid0(VALU_DEP_2)
	v_cmpx_ne_u32_e32 0x7f, v3
	s_cbranch_execz .LBB432_148
; %bb.145:                              ;   in Loop: Header=BB432_10 Depth=1
	v_and_b32_e32 v20, 7, v1
	v_lshrrev_b32_e32 v0, 3, v3
	v_mov_b32_e32 v31, v21
	s_mov_b32 s22, exec_lo
	s_delay_alu instid0(VALU_DEP_3)
	v_mov_b32_e32 v30, v20
	v_cmpx_gt_u32_e32 8, v3
; %bb.146:                              ;   in Loop: Header=BB432_10 Depth=1
	v_clz_i32_u32_e32 v0, v20
	s_delay_alu instid0(VALU_DEP_1) | instskip(NEXT) | instid1(VALU_DEP_1)
	v_min_u32_e32 v0, 32, v0
	v_subrev_nc_u32_e32 v2, 28, v0
	v_sub_nc_u32_e32 v0, 29, v0
	s_delay_alu instid0(VALU_DEP_2) | instskip(NEXT) | instid1(VALU_DEP_1)
	v_lshlrev_b64 v[2:3], v2, v[20:21]
	v_and_b32_e32 v30, 7, v2
; %bb.147:                              ;   in Loop: Header=BB432_10 Depth=1
	s_or_b32 exec_lo, exec_lo, s22
	v_lshlrev_b32_e32 v1, 24, v1
	s_delay_alu instid0(VALU_DEP_2) | instskip(SKIP_1) | instid1(VALU_DEP_3)
	v_lshlrev_b32_e32 v2, 20, v30
	v_lshl_add_u32 v0, v0, 23, 0x3c000000
	v_and_b32_e32 v1, 0x80000000, v1
	s_delay_alu instid0(VALU_DEP_1)
	v_or3_b32 v2, v2, v1, v0
.LBB432_148:                            ;   in Loop: Header=BB432_10 Depth=1
	s_or_b32 exec_lo, exec_lo, s21
.LBB432_149:                            ;   in Loop: Header=BB432_10 Depth=1
	s_delay_alu instid0(SALU_CYCLE_1)
	s_or_b32 exec_lo, exec_lo, s20
.LBB432_150:                            ;   in Loop: Header=BB432_10 Depth=1
	s_delay_alu instid0(SALU_CYCLE_1) | instskip(NEXT) | instid1(VALU_DEP_1)
	s_or_b32 exec_lo, exec_lo, s4
	v_mul_f32_e32 v0, v171, v2
                                        ; implicit-def: $vgpr190
	s_delay_alu instid0(VALU_DEP_1) | instskip(NEXT) | instid1(VALU_DEP_1)
	v_and_b32_e32 v1, 0x7f800000, v0
	v_cmp_ne_u32_e64 s3, 0x7f800000, v1
	s_delay_alu instid0(VALU_DEP_1) | instskip(NEXT) | instid1(SALU_CYCLE_1)
	s_and_saveexec_b32 s4, s3
	s_xor_b32 s3, exec_lo, s4
; %bb.151:                              ;   in Loop: Header=BB432_10 Depth=1
	v_bfe_u32 v1, v0, 16, 1
	s_delay_alu instid0(VALU_DEP_1)
	v_add3_u32 v190, v0, v1, 0x7fff
                                        ; implicit-def: $vgpr0
; %bb.152:                              ;   in Loop: Header=BB432_10 Depth=1
	s_and_not1_saveexec_b32 s4, s3
; %bb.153:                              ;   in Loop: Header=BB432_10 Depth=1
	v_and_b32_e32 v1, 0xffff, v0
	v_or_b32_e32 v2, 0x10000, v0
	s_delay_alu instid0(VALU_DEP_2) | instskip(NEXT) | instid1(VALU_DEP_1)
	v_cmp_eq_u32_e64 s3, 0, v1
	v_cndmask_b32_e64 v190, v2, v0, s3
; %bb.154:                              ;   in Loop: Header=BB432_10 Depth=1
	s_or_b32 exec_lo, exec_lo, s4
	flat_load_b32 v0, v[28:29] offset:264
	s_mov_b32 s4, exec_lo
	s_waitcnt vmcnt(0) lgkmcnt(0)
	v_dual_mov_b32 v1, 0 :: v_dual_and_b32 v2, 0xff, v0
	s_delay_alu instid0(VALU_DEP_1)
	v_cmpx_ne_u16_e32 0, v2
	s_cbranch_execz .LBB432_162
; %bb.155:                              ;   in Loop: Header=BB432_10 Depth=1
	v_bfrev_b32_e32 v1, 1
	s_mov_b32 s20, exec_lo
	v_cmpx_ne_u16_e32 0x80, v2
	s_cbranch_execz .LBB432_161
; %bb.156:                              ;   in Loop: Header=BB432_10 Depth=1
	v_and_b32_e32 v2, 0x7f, v0
	v_mov_b32_e32 v1, 0x7f800001
	s_mov_b32 s21, exec_lo
	s_delay_alu instid0(VALU_DEP_2)
	v_cmpx_ne_u32_e32 0x7f, v2
	s_cbranch_execz .LBB432_160
; %bb.157:                              ;   in Loop: Header=BB432_10 Depth=1
	v_and_b32_e32 v20, 7, v0
	v_lshrrev_b32_e32 v1, 3, v2
	v_mov_b32_e32 v31, v21
	s_mov_b32 s22, exec_lo
	s_delay_alu instid0(VALU_DEP_3)
	v_mov_b32_e32 v30, v20
	v_cmpx_gt_u32_e32 8, v2
; %bb.158:                              ;   in Loop: Header=BB432_10 Depth=1
	v_clz_i32_u32_e32 v1, v20
	s_delay_alu instid0(VALU_DEP_1) | instskip(NEXT) | instid1(VALU_DEP_1)
	v_min_u32_e32 v1, 32, v1
	v_subrev_nc_u32_e32 v2, 28, v1
	v_sub_nc_u32_e32 v1, 29, v1
	s_delay_alu instid0(VALU_DEP_2) | instskip(NEXT) | instid1(VALU_DEP_1)
	v_lshlrev_b64 v[2:3], v2, v[20:21]
	v_and_b32_e32 v30, 7, v2
; %bb.159:                              ;   in Loop: Header=BB432_10 Depth=1
	s_or_b32 exec_lo, exec_lo, s22
	v_lshlrev_b32_e32 v2, 24, v0
	s_delay_alu instid0(VALU_DEP_2) | instskip(SKIP_1) | instid1(VALU_DEP_3)
	v_lshlrev_b32_e32 v3, 20, v30
	v_lshl_add_u32 v1, v1, 23, 0x3c000000
	v_and_b32_e32 v2, 0x80000000, v2
	s_delay_alu instid0(VALU_DEP_1)
	v_or3_b32 v1, v3, v2, v1
.LBB432_160:                            ;   in Loop: Header=BB432_10 Depth=1
	s_or_b32 exec_lo, exec_lo, s21
.LBB432_161:                            ;   in Loop: Header=BB432_10 Depth=1
	s_delay_alu instid0(SALU_CYCLE_1)
	s_or_b32 exec_lo, exec_lo, s20
.LBB432_162:                            ;   in Loop: Header=BB432_10 Depth=1
	s_delay_alu instid0(SALU_CYCLE_1) | instskip(NEXT) | instid1(VALU_DEP_1)
	s_or_b32 exec_lo, exec_lo, s4
	v_mul_f32_e32 v1, v171, v1
                                        ; implicit-def: $vgpr191
	s_delay_alu instid0(VALU_DEP_1) | instskip(NEXT) | instid1(VALU_DEP_1)
	v_and_b32_e32 v2, 0x7f800000, v1
	v_cmp_ne_u32_e64 s3, 0x7f800000, v2
	s_delay_alu instid0(VALU_DEP_1) | instskip(NEXT) | instid1(SALU_CYCLE_1)
	s_and_saveexec_b32 s4, s3
	s_xor_b32 s3, exec_lo, s4
; %bb.163:                              ;   in Loop: Header=BB432_10 Depth=1
	v_bfe_u32 v2, v1, 16, 1
	s_delay_alu instid0(VALU_DEP_1)
	v_add3_u32 v191, v1, v2, 0x7fff
                                        ; implicit-def: $vgpr1
; %bb.164:                              ;   in Loop: Header=BB432_10 Depth=1
	s_and_not1_saveexec_b32 s4, s3
; %bb.165:                              ;   in Loop: Header=BB432_10 Depth=1
	v_and_b32_e32 v2, 0xffff, v1
	v_or_b32_e32 v3, 0x10000, v1
	s_delay_alu instid0(VALU_DEP_2) | instskip(NEXT) | instid1(VALU_DEP_1)
	v_cmp_eq_u32_e64 s3, 0, v2
	v_cndmask_b32_e64 v191, v3, v1, s3
; %bb.166:                              ;   in Loop: Header=BB432_10 Depth=1
	s_or_b32 exec_lo, exec_lo, s4
	v_lshrrev_b16 v2, 8, v0
	v_mov_b32_e32 v1, 0
	s_mov_b32 s4, exec_lo
	s_delay_alu instid0(VALU_DEP_2)
	v_cmpx_ne_u16_e32 0, v2
	s_cbranch_execz .LBB432_174
; %bb.167:                              ;   in Loop: Header=BB432_10 Depth=1
	v_bfrev_b32_e32 v1, 1
	s_mov_b32 s20, exec_lo
	v_cmpx_ne_u16_e32 0x80, v2
	s_cbranch_execz .LBB432_173
; %bb.168:                              ;   in Loop: Header=BB432_10 Depth=1
	v_and_b32_e32 v3, 0xffff, v2
	v_mov_b32_e32 v1, 0x7f800001
	s_mov_b32 s21, exec_lo
	s_delay_alu instid0(VALU_DEP_2) | instskip(NEXT) | instid1(VALU_DEP_1)
	v_and_b32_e32 v2, 0x7f, v3
	v_cmpx_ne_u32_e32 0x7f, v2
	s_cbranch_execz .LBB432_172
; %bb.169:                              ;   in Loop: Header=BB432_10 Depth=1
	v_and_b32_e32 v20, 7, v3
	v_lshrrev_b32_e32 v1, 3, v2
	v_mov_b32_e32 v31, v21
	s_mov_b32 s22, exec_lo
	s_delay_alu instid0(VALU_DEP_3)
	v_mov_b32_e32 v30, v20
	v_cmpx_gt_u32_e32 8, v2
; %bb.170:                              ;   in Loop: Header=BB432_10 Depth=1
	v_clz_i32_u32_e32 v1, v20
	s_delay_alu instid0(VALU_DEP_1) | instskip(NEXT) | instid1(VALU_DEP_1)
	v_min_u32_e32 v1, 32, v1
	v_subrev_nc_u32_e32 v2, 28, v1
	v_sub_nc_u32_e32 v1, 29, v1
	s_delay_alu instid0(VALU_DEP_2) | instskip(NEXT) | instid1(VALU_DEP_1)
	v_lshlrev_b64 v[2:3], v2, v[20:21]
	v_and_b32_e32 v30, 7, v2
; %bb.171:                              ;   in Loop: Header=BB432_10 Depth=1
	s_or_b32 exec_lo, exec_lo, s22
	v_lshlrev_b32_e32 v2, 16, v0
	s_delay_alu instid0(VALU_DEP_2) | instskip(SKIP_1) | instid1(VALU_DEP_3)
	v_lshlrev_b32_e32 v3, 20, v30
	v_lshl_add_u32 v1, v1, 23, 0x3c000000
	v_and_b32_e32 v2, 0x80000000, v2
	s_delay_alu instid0(VALU_DEP_1)
	v_or3_b32 v1, v3, v2, v1
.LBB432_172:                            ;   in Loop: Header=BB432_10 Depth=1
	s_or_b32 exec_lo, exec_lo, s21
.LBB432_173:                            ;   in Loop: Header=BB432_10 Depth=1
	s_delay_alu instid0(SALU_CYCLE_1)
	s_or_b32 exec_lo, exec_lo, s20
.LBB432_174:                            ;   in Loop: Header=BB432_10 Depth=1
	s_delay_alu instid0(SALU_CYCLE_1) | instskip(NEXT) | instid1(VALU_DEP_1)
	s_or_b32 exec_lo, exec_lo, s4
	v_mul_f32_e32 v1, v171, v1
                                        ; implicit-def: $vgpr32
	s_delay_alu instid0(VALU_DEP_1) | instskip(NEXT) | instid1(VALU_DEP_1)
	v_and_b32_e32 v2, 0x7f800000, v1
	v_cmp_ne_u32_e64 s3, 0x7f800000, v2
	s_delay_alu instid0(VALU_DEP_1) | instskip(NEXT) | instid1(SALU_CYCLE_1)
	s_and_saveexec_b32 s4, s3
	s_xor_b32 s3, exec_lo, s4
; %bb.175:                              ;   in Loop: Header=BB432_10 Depth=1
	v_bfe_u32 v2, v1, 16, 1
	s_delay_alu instid0(VALU_DEP_1)
	v_add3_u32 v32, v1, v2, 0x7fff
                                        ; implicit-def: $vgpr1
; %bb.176:                              ;   in Loop: Header=BB432_10 Depth=1
	s_and_not1_saveexec_b32 s4, s3
; %bb.177:                              ;   in Loop: Header=BB432_10 Depth=1
	v_and_b32_e32 v2, 0xffff, v1
	v_or_b32_e32 v3, 0x10000, v1
	s_delay_alu instid0(VALU_DEP_2) | instskip(NEXT) | instid1(VALU_DEP_1)
	v_cmp_eq_u32_e64 s3, 0, v2
	v_cndmask_b32_e64 v32, v3, v1, s3
; %bb.178:                              ;   in Loop: Header=BB432_10 Depth=1
	s_or_b32 exec_lo, exec_lo, s4
	v_lshrrev_b32_e32 v1, 16, v0
	s_mov_b32 s4, exec_lo
	s_delay_alu instid0(VALU_DEP_1) | instskip(NEXT) | instid1(VALU_DEP_1)
	v_dual_mov_b32 v2, 0 :: v_dual_and_b32 v3, 0xff, v1
	v_cmpx_ne_u16_e32 0, v3
	s_cbranch_execz .LBB432_186
; %bb.179:                              ;   in Loop: Header=BB432_10 Depth=1
	v_bfrev_b32_e32 v2, 1
	s_mov_b32 s20, exec_lo
	v_cmpx_ne_u16_e32 0x80, v3
	s_cbranch_execz .LBB432_185
; %bb.180:                              ;   in Loop: Header=BB432_10 Depth=1
	v_bfe_u32 v3, v0, 16, 7
	v_mov_b32_e32 v2, 0x7f800001
	s_mov_b32 s21, exec_lo
	s_delay_alu instid0(VALU_DEP_2)
	v_cmpx_ne_u32_e32 0x7f, v3
	s_cbranch_execz .LBB432_184
; %bb.181:                              ;   in Loop: Header=BB432_10 Depth=1
	v_and_b32_e32 v20, 7, v1
	v_lshrrev_b32_e32 v2, 3, v3
	v_mov_b32_e32 v31, v21
	s_mov_b32 s22, exec_lo
	s_delay_alu instid0(VALU_DEP_3)
	v_mov_b32_e32 v30, v20
	v_cmpx_gt_u32_e32 8, v3
; %bb.182:                              ;   in Loop: Header=BB432_10 Depth=1
	v_clz_i32_u32_e32 v2, v20
	s_delay_alu instid0(VALU_DEP_1) | instskip(NEXT) | instid1(VALU_DEP_1)
	v_min_u32_e32 v2, 32, v2
	v_subrev_nc_u32_e32 v3, 28, v2
	v_sub_nc_u32_e32 v2, 29, v2
	s_delay_alu instid0(VALU_DEP_2) | instskip(NEXT) | instid1(VALU_DEP_1)
	v_lshlrev_b64 v[3:4], v3, v[20:21]
	v_and_b32_e32 v30, 7, v3
; %bb.183:                              ;   in Loop: Header=BB432_10 Depth=1
	s_or_b32 exec_lo, exec_lo, s22
	v_lshlrev_b32_e32 v1, 24, v1
	s_delay_alu instid0(VALU_DEP_2) | instskip(SKIP_1) | instid1(VALU_DEP_3)
	v_lshlrev_b32_e32 v3, 20, v30
	v_lshl_add_u32 v2, v2, 23, 0x3c000000
	v_and_b32_e32 v1, 0x80000000, v1
	s_delay_alu instid0(VALU_DEP_1)
	v_or3_b32 v2, v3, v1, v2
.LBB432_184:                            ;   in Loop: Header=BB432_10 Depth=1
	s_or_b32 exec_lo, exec_lo, s21
.LBB432_185:                            ;   in Loop: Header=BB432_10 Depth=1
	s_delay_alu instid0(SALU_CYCLE_1)
	s_or_b32 exec_lo, exec_lo, s20
.LBB432_186:                            ;   in Loop: Header=BB432_10 Depth=1
	s_delay_alu instid0(SALU_CYCLE_1) | instskip(NEXT) | instid1(VALU_DEP_1)
	s_or_b32 exec_lo, exec_lo, s4
	v_mul_f32_e32 v1, v171, v2
                                        ; implicit-def: $vgpr34
	s_delay_alu instid0(VALU_DEP_1) | instskip(NEXT) | instid1(VALU_DEP_1)
	v_and_b32_e32 v2, 0x7f800000, v1
	v_cmp_ne_u32_e64 s3, 0x7f800000, v2
	s_delay_alu instid0(VALU_DEP_1) | instskip(NEXT) | instid1(SALU_CYCLE_1)
	s_and_saveexec_b32 s4, s3
	s_xor_b32 s3, exec_lo, s4
; %bb.187:                              ;   in Loop: Header=BB432_10 Depth=1
	v_bfe_u32 v2, v1, 16, 1
	s_delay_alu instid0(VALU_DEP_1)
	v_add3_u32 v34, v1, v2, 0x7fff
                                        ; implicit-def: $vgpr1
; %bb.188:                              ;   in Loop: Header=BB432_10 Depth=1
	s_and_not1_saveexec_b32 s4, s3
; %bb.189:                              ;   in Loop: Header=BB432_10 Depth=1
	v_and_b32_e32 v2, 0xffff, v1
	v_or_b32_e32 v3, 0x10000, v1
	s_delay_alu instid0(VALU_DEP_2) | instskip(NEXT) | instid1(VALU_DEP_1)
	v_cmp_eq_u32_e64 s3, 0, v2
	v_cndmask_b32_e64 v34, v3, v1, s3
; %bb.190:                              ;   in Loop: Header=BB432_10 Depth=1
	s_or_b32 exec_lo, exec_lo, s4
	v_mov_b32_e32 v2, 0
	s_mov_b32 s4, exec_lo
	v_cmpx_lt_u32_e32 0xffffff, v0
	s_cbranch_execz .LBB432_198
; %bb.191:                              ;   in Loop: Header=BB432_10 Depth=1
	v_lshrrev_b32_e32 v1, 24, v0
	v_bfrev_b32_e32 v2, 1
	s_mov_b32 s20, exec_lo
	s_delay_alu instid0(VALU_DEP_2)
	v_cmpx_ne_u32_e32 0x80, v1
	s_cbranch_execz .LBB432_197
; %bb.192:                              ;   in Loop: Header=BB432_10 Depth=1
	v_bfe_u32 v3, v0, 24, 7
	v_mov_b32_e32 v2, 0x7f800001
	s_mov_b32 s21, exec_lo
	s_delay_alu instid0(VALU_DEP_2)
	v_cmpx_ne_u32_e32 0x7f, v3
	s_cbranch_execz .LBB432_196
; %bb.193:                              ;   in Loop: Header=BB432_10 Depth=1
	v_and_b32_e32 v20, 7, v1
	v_lshrrev_b32_e32 v0, 3, v3
	v_mov_b32_e32 v31, v21
	s_mov_b32 s22, exec_lo
	s_delay_alu instid0(VALU_DEP_3)
	v_mov_b32_e32 v30, v20
	v_cmpx_gt_u32_e32 8, v3
; %bb.194:                              ;   in Loop: Header=BB432_10 Depth=1
	v_clz_i32_u32_e32 v0, v20
	s_delay_alu instid0(VALU_DEP_1) | instskip(NEXT) | instid1(VALU_DEP_1)
	v_min_u32_e32 v0, 32, v0
	v_subrev_nc_u32_e32 v2, 28, v0
	v_sub_nc_u32_e32 v0, 29, v0
	s_delay_alu instid0(VALU_DEP_2) | instskip(NEXT) | instid1(VALU_DEP_1)
	v_lshlrev_b64 v[2:3], v2, v[20:21]
	v_and_b32_e32 v30, 7, v2
; %bb.195:                              ;   in Loop: Header=BB432_10 Depth=1
	s_or_b32 exec_lo, exec_lo, s22
	v_lshlrev_b32_e32 v1, 24, v1
	s_delay_alu instid0(VALU_DEP_2) | instskip(SKIP_1) | instid1(VALU_DEP_3)
	v_lshlrev_b32_e32 v2, 20, v30
	v_lshl_add_u32 v0, v0, 23, 0x3c000000
	v_and_b32_e32 v1, 0x80000000, v1
	s_delay_alu instid0(VALU_DEP_1)
	v_or3_b32 v2, v2, v1, v0
.LBB432_196:                            ;   in Loop: Header=BB432_10 Depth=1
	s_or_b32 exec_lo, exec_lo, s21
.LBB432_197:                            ;   in Loop: Header=BB432_10 Depth=1
	s_delay_alu instid0(SALU_CYCLE_1)
	s_or_b32 exec_lo, exec_lo, s20
.LBB432_198:                            ;   in Loop: Header=BB432_10 Depth=1
	s_delay_alu instid0(SALU_CYCLE_1) | instskip(NEXT) | instid1(VALU_DEP_1)
	s_or_b32 exec_lo, exec_lo, s4
	v_mul_f32_e32 v0, v171, v2
                                        ; implicit-def: $vgpr5
	s_delay_alu instid0(VALU_DEP_1) | instskip(NEXT) | instid1(VALU_DEP_1)
	v_and_b32_e32 v1, 0x7f800000, v0
	v_cmp_ne_u32_e64 s3, 0x7f800000, v1
	s_delay_alu instid0(VALU_DEP_1) | instskip(NEXT) | instid1(SALU_CYCLE_1)
	s_and_saveexec_b32 s4, s3
	s_xor_b32 s3, exec_lo, s4
; %bb.199:                              ;   in Loop: Header=BB432_10 Depth=1
	v_bfe_u32 v1, v0, 16, 1
	s_delay_alu instid0(VALU_DEP_1)
	v_add3_u32 v5, v0, v1, 0x7fff
                                        ; implicit-def: $vgpr0
; %bb.200:                              ;   in Loop: Header=BB432_10 Depth=1
	s_and_not1_saveexec_b32 s4, s3
; %bb.201:                              ;   in Loop: Header=BB432_10 Depth=1
	v_and_b32_e32 v1, 0xffff, v0
	v_or_b32_e32 v2, 0x10000, v0
	s_delay_alu instid0(VALU_DEP_2) | instskip(NEXT) | instid1(VALU_DEP_1)
	v_cmp_eq_u32_e64 s3, 0, v1
	v_cndmask_b32_e64 v5, v2, v0, s3
; %bb.202:                              ;   in Loop: Header=BB432_10 Depth=1
	s_or_b32 exec_lo, exec_lo, s4
	flat_load_b32 v0, v[28:29] offset:512
	s_mov_b32 s4, exec_lo
	s_waitcnt vmcnt(0) lgkmcnt(0)
	v_dual_mov_b32 v1, 0 :: v_dual_and_b32 v2, 0xff, v0
	s_delay_alu instid0(VALU_DEP_1)
	v_cmpx_ne_u16_e32 0, v2
	s_cbranch_execz .LBB432_210
; %bb.203:                              ;   in Loop: Header=BB432_10 Depth=1
	v_bfrev_b32_e32 v1, 1
	s_mov_b32 s20, exec_lo
	v_cmpx_ne_u16_e32 0x80, v2
	s_cbranch_execz .LBB432_209
; %bb.204:                              ;   in Loop: Header=BB432_10 Depth=1
	v_and_b32_e32 v2, 0x7f, v0
	v_mov_b32_e32 v1, 0x7f800001
	s_mov_b32 s21, exec_lo
	s_delay_alu instid0(VALU_DEP_2)
	v_cmpx_ne_u32_e32 0x7f, v2
	s_cbranch_execz .LBB432_208
; %bb.205:                              ;   in Loop: Header=BB432_10 Depth=1
	v_and_b32_e32 v20, 7, v0
	v_lshrrev_b32_e32 v1, 3, v2
	v_mov_b32_e32 v31, v21
	s_mov_b32 s22, exec_lo
	s_delay_alu instid0(VALU_DEP_3)
	v_mov_b32_e32 v30, v20
	v_cmpx_gt_u32_e32 8, v2
; %bb.206:                              ;   in Loop: Header=BB432_10 Depth=1
	v_clz_i32_u32_e32 v1, v20
	s_delay_alu instid0(VALU_DEP_1) | instskip(NEXT) | instid1(VALU_DEP_1)
	v_min_u32_e32 v1, 32, v1
	v_subrev_nc_u32_e32 v2, 28, v1
	v_sub_nc_u32_e32 v1, 29, v1
	s_delay_alu instid0(VALU_DEP_2) | instskip(NEXT) | instid1(VALU_DEP_1)
	v_lshlrev_b64 v[2:3], v2, v[20:21]
	v_and_b32_e32 v30, 7, v2
; %bb.207:                              ;   in Loop: Header=BB432_10 Depth=1
	s_or_b32 exec_lo, exec_lo, s22
	v_lshlrev_b32_e32 v2, 24, v0
	s_delay_alu instid0(VALU_DEP_2) | instskip(SKIP_1) | instid1(VALU_DEP_3)
	v_lshlrev_b32_e32 v3, 20, v30
	v_lshl_add_u32 v1, v1, 23, 0x3c000000
	v_and_b32_e32 v2, 0x80000000, v2
	s_delay_alu instid0(VALU_DEP_1)
	v_or3_b32 v1, v3, v2, v1
.LBB432_208:                            ;   in Loop: Header=BB432_10 Depth=1
	s_or_b32 exec_lo, exec_lo, s21
.LBB432_209:                            ;   in Loop: Header=BB432_10 Depth=1
	s_delay_alu instid0(SALU_CYCLE_1)
	s_or_b32 exec_lo, exec_lo, s20
.LBB432_210:                            ;   in Loop: Header=BB432_10 Depth=1
	s_delay_alu instid0(SALU_CYCLE_1) | instskip(NEXT) | instid1(VALU_DEP_1)
	s_or_b32 exec_lo, exec_lo, s4
	v_mul_f32_e32 v1, v171, v1
                                        ; implicit-def: $vgpr4
	s_delay_alu instid0(VALU_DEP_1) | instskip(NEXT) | instid1(VALU_DEP_1)
	v_and_b32_e32 v2, 0x7f800000, v1
	v_cmp_ne_u32_e64 s3, 0x7f800000, v2
	s_delay_alu instid0(VALU_DEP_1) | instskip(NEXT) | instid1(SALU_CYCLE_1)
	s_and_saveexec_b32 s4, s3
	s_xor_b32 s3, exec_lo, s4
; %bb.211:                              ;   in Loop: Header=BB432_10 Depth=1
	v_bfe_u32 v2, v1, 16, 1
	s_delay_alu instid0(VALU_DEP_1)
	v_add3_u32 v4, v1, v2, 0x7fff
                                        ; implicit-def: $vgpr1
; %bb.212:                              ;   in Loop: Header=BB432_10 Depth=1
	s_and_not1_saveexec_b32 s4, s3
; %bb.213:                              ;   in Loop: Header=BB432_10 Depth=1
	v_and_b32_e32 v2, 0xffff, v1
	v_or_b32_e32 v3, 0x10000, v1
	s_delay_alu instid0(VALU_DEP_2) | instskip(NEXT) | instid1(VALU_DEP_1)
	v_cmp_eq_u32_e64 s3, 0, v2
	v_cndmask_b32_e64 v4, v3, v1, s3
; %bb.214:                              ;   in Loop: Header=BB432_10 Depth=1
	s_or_b32 exec_lo, exec_lo, s4
	v_lshrrev_b16 v2, 8, v0
	v_mov_b32_e32 v1, 0
	s_mov_b32 s4, exec_lo
	s_delay_alu instid0(VALU_DEP_2)
	v_cmpx_ne_u16_e32 0, v2
	s_cbranch_execz .LBB432_222
; %bb.215:                              ;   in Loop: Header=BB432_10 Depth=1
	v_bfrev_b32_e32 v1, 1
	s_mov_b32 s20, exec_lo
	v_cmpx_ne_u16_e32 0x80, v2
	s_cbranch_execz .LBB432_221
; %bb.216:                              ;   in Loop: Header=BB432_10 Depth=1
	v_and_b32_e32 v3, 0xffff, v2
	v_mov_b32_e32 v1, 0x7f800001
	s_mov_b32 s21, exec_lo
	s_delay_alu instid0(VALU_DEP_2) | instskip(NEXT) | instid1(VALU_DEP_1)
	v_and_b32_e32 v2, 0x7f, v3
	v_cmpx_ne_u32_e32 0x7f, v2
	s_cbranch_execz .LBB432_220
; %bb.217:                              ;   in Loop: Header=BB432_10 Depth=1
	v_and_b32_e32 v20, 7, v3
	v_lshrrev_b32_e32 v1, 3, v2
	v_mov_b32_e32 v31, v21
	s_mov_b32 s22, exec_lo
	s_delay_alu instid0(VALU_DEP_3)
	v_mov_b32_e32 v30, v20
	v_cmpx_gt_u32_e32 8, v2
; %bb.218:                              ;   in Loop: Header=BB432_10 Depth=1
	v_clz_i32_u32_e32 v1, v20
	s_delay_alu instid0(VALU_DEP_1) | instskip(NEXT) | instid1(VALU_DEP_1)
	v_min_u32_e32 v1, 32, v1
	v_subrev_nc_u32_e32 v2, 28, v1
	v_sub_nc_u32_e32 v1, 29, v1
	s_delay_alu instid0(VALU_DEP_2) | instskip(NEXT) | instid1(VALU_DEP_1)
	v_lshlrev_b64 v[2:3], v2, v[20:21]
	v_and_b32_e32 v30, 7, v2
; %bb.219:                              ;   in Loop: Header=BB432_10 Depth=1
	s_or_b32 exec_lo, exec_lo, s22
	v_lshlrev_b32_e32 v2, 16, v0
	s_delay_alu instid0(VALU_DEP_2) | instskip(SKIP_1) | instid1(VALU_DEP_3)
	v_lshlrev_b32_e32 v3, 20, v30
	v_lshl_add_u32 v1, v1, 23, 0x3c000000
	v_and_b32_e32 v2, 0x80000000, v2
	s_delay_alu instid0(VALU_DEP_1)
	v_or3_b32 v1, v3, v2, v1
.LBB432_220:                            ;   in Loop: Header=BB432_10 Depth=1
	s_or_b32 exec_lo, exec_lo, s21
.LBB432_221:                            ;   in Loop: Header=BB432_10 Depth=1
	s_delay_alu instid0(SALU_CYCLE_1)
	s_or_b32 exec_lo, exec_lo, s20
.LBB432_222:                            ;   in Loop: Header=BB432_10 Depth=1
	s_delay_alu instid0(SALU_CYCLE_1) | instskip(NEXT) | instid1(VALU_DEP_1)
	s_or_b32 exec_lo, exec_lo, s4
	v_mul_f32_e32 v1, v171, v1
                                        ; implicit-def: $vgpr36
	s_delay_alu instid0(VALU_DEP_1) | instskip(NEXT) | instid1(VALU_DEP_1)
	v_and_b32_e32 v2, 0x7f800000, v1
	v_cmp_ne_u32_e64 s3, 0x7f800000, v2
	s_delay_alu instid0(VALU_DEP_1) | instskip(NEXT) | instid1(SALU_CYCLE_1)
	s_and_saveexec_b32 s4, s3
	s_xor_b32 s3, exec_lo, s4
; %bb.223:                              ;   in Loop: Header=BB432_10 Depth=1
	v_bfe_u32 v2, v1, 16, 1
	s_delay_alu instid0(VALU_DEP_1)
	v_add3_u32 v36, v1, v2, 0x7fff
                                        ; implicit-def: $vgpr1
; %bb.224:                              ;   in Loop: Header=BB432_10 Depth=1
	s_and_not1_saveexec_b32 s4, s3
; %bb.225:                              ;   in Loop: Header=BB432_10 Depth=1
	v_and_b32_e32 v2, 0xffff, v1
	v_or_b32_e32 v3, 0x10000, v1
	s_delay_alu instid0(VALU_DEP_2) | instskip(NEXT) | instid1(VALU_DEP_1)
	v_cmp_eq_u32_e64 s3, 0, v2
	v_cndmask_b32_e64 v36, v3, v1, s3
; %bb.226:                              ;   in Loop: Header=BB432_10 Depth=1
	s_or_b32 exec_lo, exec_lo, s4
	v_lshrrev_b32_e32 v1, 16, v0
	s_mov_b32 s4, exec_lo
	s_delay_alu instid0(VALU_DEP_1) | instskip(NEXT) | instid1(VALU_DEP_1)
	v_dual_mov_b32 v2, 0 :: v_dual_and_b32 v3, 0xff, v1
	v_cmpx_ne_u16_e32 0, v3
	s_cbranch_execz .LBB432_234
; %bb.227:                              ;   in Loop: Header=BB432_10 Depth=1
	v_bfrev_b32_e32 v2, 1
	s_mov_b32 s20, exec_lo
	v_cmpx_ne_u16_e32 0x80, v3
	s_cbranch_execz .LBB432_233
; %bb.228:                              ;   in Loop: Header=BB432_10 Depth=1
	v_bfe_u32 v3, v0, 16, 7
	v_mov_b32_e32 v2, 0x7f800001
	s_mov_b32 s21, exec_lo
	s_delay_alu instid0(VALU_DEP_2)
	v_cmpx_ne_u32_e32 0x7f, v3
	s_cbranch_execz .LBB432_232
; %bb.229:                              ;   in Loop: Header=BB432_10 Depth=1
	v_and_b32_e32 v20, 7, v1
	v_lshrrev_b32_e32 v2, 3, v3
	v_mov_b32_e32 v31, v21
	s_mov_b32 s22, exec_lo
	s_delay_alu instid0(VALU_DEP_3)
	v_mov_b32_e32 v30, v20
	v_cmpx_gt_u32_e32 8, v3
; %bb.230:                              ;   in Loop: Header=BB432_10 Depth=1
	v_clz_i32_u32_e32 v2, v20
	s_delay_alu instid0(VALU_DEP_1) | instskip(NEXT) | instid1(VALU_DEP_1)
	v_min_u32_e32 v2, 32, v2
	v_subrev_nc_u32_e32 v3, 28, v2
	v_sub_nc_u32_e32 v2, 29, v2
	s_delay_alu instid0(VALU_DEP_2) | instskip(NEXT) | instid1(VALU_DEP_1)
	v_lshlrev_b64 v[6:7], v3, v[20:21]
	v_and_b32_e32 v30, 7, v6
; %bb.231:                              ;   in Loop: Header=BB432_10 Depth=1
	s_or_b32 exec_lo, exec_lo, s22
	v_lshlrev_b32_e32 v1, 24, v1
	s_delay_alu instid0(VALU_DEP_2) | instskip(SKIP_1) | instid1(VALU_DEP_3)
	v_lshlrev_b32_e32 v3, 20, v30
	v_lshl_add_u32 v2, v2, 23, 0x3c000000
	v_and_b32_e32 v1, 0x80000000, v1
	s_delay_alu instid0(VALU_DEP_1)
	v_or3_b32 v2, v3, v1, v2
.LBB432_232:                            ;   in Loop: Header=BB432_10 Depth=1
	s_or_b32 exec_lo, exec_lo, s21
.LBB432_233:                            ;   in Loop: Header=BB432_10 Depth=1
	s_delay_alu instid0(SALU_CYCLE_1)
	s_or_b32 exec_lo, exec_lo, s20
.LBB432_234:                            ;   in Loop: Header=BB432_10 Depth=1
	s_delay_alu instid0(SALU_CYCLE_1) | instskip(NEXT) | instid1(VALU_DEP_1)
	s_or_b32 exec_lo, exec_lo, s4
	v_mul_f32_e32 v1, v171, v2
                                        ; implicit-def: $vgpr55
	s_delay_alu instid0(VALU_DEP_1) | instskip(NEXT) | instid1(VALU_DEP_1)
	v_and_b32_e32 v2, 0x7f800000, v1
	v_cmp_ne_u32_e64 s3, 0x7f800000, v2
	s_delay_alu instid0(VALU_DEP_1) | instskip(NEXT) | instid1(SALU_CYCLE_1)
	s_and_saveexec_b32 s4, s3
	s_xor_b32 s3, exec_lo, s4
; %bb.235:                              ;   in Loop: Header=BB432_10 Depth=1
	v_bfe_u32 v2, v1, 16, 1
	s_delay_alu instid0(VALU_DEP_1)
	v_add3_u32 v55, v1, v2, 0x7fff
                                        ; implicit-def: $vgpr1
; %bb.236:                              ;   in Loop: Header=BB432_10 Depth=1
	s_and_not1_saveexec_b32 s4, s3
; %bb.237:                              ;   in Loop: Header=BB432_10 Depth=1
	v_and_b32_e32 v2, 0xffff, v1
	v_or_b32_e32 v3, 0x10000, v1
	s_delay_alu instid0(VALU_DEP_2) | instskip(NEXT) | instid1(VALU_DEP_1)
	v_cmp_eq_u32_e64 s3, 0, v2
	v_cndmask_b32_e64 v55, v3, v1, s3
; %bb.238:                              ;   in Loop: Header=BB432_10 Depth=1
	s_or_b32 exec_lo, exec_lo, s4
	v_mov_b32_e32 v2, 0
	s_mov_b32 s4, exec_lo
	v_cmpx_lt_u32_e32 0xffffff, v0
	s_cbranch_execz .LBB432_246
; %bb.239:                              ;   in Loop: Header=BB432_10 Depth=1
	v_lshrrev_b32_e32 v1, 24, v0
	v_bfrev_b32_e32 v2, 1
	s_mov_b32 s20, exec_lo
	s_delay_alu instid0(VALU_DEP_2)
	v_cmpx_ne_u32_e32 0x80, v1
	s_cbranch_execz .LBB432_245
; %bb.240:                              ;   in Loop: Header=BB432_10 Depth=1
	v_bfe_u32 v3, v0, 24, 7
	v_mov_b32_e32 v2, 0x7f800001
	s_mov_b32 s21, exec_lo
	s_delay_alu instid0(VALU_DEP_2)
	v_cmpx_ne_u32_e32 0x7f, v3
	s_cbranch_execz .LBB432_244
; %bb.241:                              ;   in Loop: Header=BB432_10 Depth=1
	v_and_b32_e32 v20, 7, v1
	v_lshrrev_b32_e32 v0, 3, v3
	v_mov_b32_e32 v31, v21
	s_mov_b32 s22, exec_lo
	s_delay_alu instid0(VALU_DEP_3)
	v_mov_b32_e32 v30, v20
	v_cmpx_gt_u32_e32 8, v3
; %bb.242:                              ;   in Loop: Header=BB432_10 Depth=1
	v_clz_i32_u32_e32 v0, v20
	s_delay_alu instid0(VALU_DEP_1) | instskip(NEXT) | instid1(VALU_DEP_1)
	v_min_u32_e32 v0, 32, v0
	v_subrev_nc_u32_e32 v2, 28, v0
	v_sub_nc_u32_e32 v0, 29, v0
	s_delay_alu instid0(VALU_DEP_2) | instskip(NEXT) | instid1(VALU_DEP_1)
	v_lshlrev_b64 v[2:3], v2, v[20:21]
	v_and_b32_e32 v30, 7, v2
; %bb.243:                              ;   in Loop: Header=BB432_10 Depth=1
	s_or_b32 exec_lo, exec_lo, s22
	v_lshlrev_b32_e32 v1, 24, v1
	s_delay_alu instid0(VALU_DEP_2) | instskip(SKIP_1) | instid1(VALU_DEP_3)
	v_lshlrev_b32_e32 v2, 20, v30
	v_lshl_add_u32 v0, v0, 23, 0x3c000000
	v_and_b32_e32 v1, 0x80000000, v1
	s_delay_alu instid0(VALU_DEP_1)
	v_or3_b32 v2, v2, v1, v0
.LBB432_244:                            ;   in Loop: Header=BB432_10 Depth=1
	s_or_b32 exec_lo, exec_lo, s21
.LBB432_245:                            ;   in Loop: Header=BB432_10 Depth=1
	s_delay_alu instid0(SALU_CYCLE_1)
	s_or_b32 exec_lo, exec_lo, s20
.LBB432_246:                            ;   in Loop: Header=BB432_10 Depth=1
	s_delay_alu instid0(SALU_CYCLE_1) | instskip(NEXT) | instid1(VALU_DEP_1)
	s_or_b32 exec_lo, exec_lo, s4
	v_mul_f32_e32 v0, v171, v2
                                        ; implicit-def: $vgpr12
	s_delay_alu instid0(VALU_DEP_1) | instskip(NEXT) | instid1(VALU_DEP_1)
	v_and_b32_e32 v1, 0x7f800000, v0
	v_cmp_ne_u32_e64 s3, 0x7f800000, v1
	s_delay_alu instid0(VALU_DEP_1) | instskip(NEXT) | instid1(SALU_CYCLE_1)
	s_and_saveexec_b32 s4, s3
	s_xor_b32 s3, exec_lo, s4
; %bb.247:                              ;   in Loop: Header=BB432_10 Depth=1
	v_bfe_u32 v1, v0, 16, 1
	s_delay_alu instid0(VALU_DEP_1)
	v_add3_u32 v12, v0, v1, 0x7fff
                                        ; implicit-def: $vgpr0
; %bb.248:                              ;   in Loop: Header=BB432_10 Depth=1
	s_and_not1_saveexec_b32 s4, s3
; %bb.249:                              ;   in Loop: Header=BB432_10 Depth=1
	v_and_b32_e32 v1, 0xffff, v0
	v_or_b32_e32 v2, 0x10000, v0
	s_delay_alu instid0(VALU_DEP_2) | instskip(NEXT) | instid1(VALU_DEP_1)
	v_cmp_eq_u32_e64 s3, 0, v1
	v_cndmask_b32_e64 v12, v2, v0, s3
; %bb.250:                              ;   in Loop: Header=BB432_10 Depth=1
	s_or_b32 exec_lo, exec_lo, s4
	flat_load_b32 v0, v[28:29] offset:520
	s_mov_b32 s4, exec_lo
	s_waitcnt vmcnt(0) lgkmcnt(0)
	v_dual_mov_b32 v1, 0 :: v_dual_and_b32 v2, 0xff, v0
	s_delay_alu instid0(VALU_DEP_1)
	v_cmpx_ne_u16_e32 0, v2
	s_cbranch_execz .LBB432_258
; %bb.251:                              ;   in Loop: Header=BB432_10 Depth=1
	v_bfrev_b32_e32 v1, 1
	s_mov_b32 s20, exec_lo
	v_cmpx_ne_u16_e32 0x80, v2
	s_cbranch_execz .LBB432_257
; %bb.252:                              ;   in Loop: Header=BB432_10 Depth=1
	v_and_b32_e32 v2, 0x7f, v0
	v_mov_b32_e32 v1, 0x7f800001
	s_mov_b32 s21, exec_lo
	s_delay_alu instid0(VALU_DEP_2)
	v_cmpx_ne_u32_e32 0x7f, v2
	s_cbranch_execz .LBB432_256
; %bb.253:                              ;   in Loop: Header=BB432_10 Depth=1
	v_and_b32_e32 v20, 7, v0
	v_lshrrev_b32_e32 v1, 3, v2
	v_mov_b32_e32 v31, v21
	s_mov_b32 s22, exec_lo
	s_delay_alu instid0(VALU_DEP_3)
	v_mov_b32_e32 v30, v20
	v_cmpx_gt_u32_e32 8, v2
; %bb.254:                              ;   in Loop: Header=BB432_10 Depth=1
	v_clz_i32_u32_e32 v1, v20
	s_delay_alu instid0(VALU_DEP_1) | instskip(NEXT) | instid1(VALU_DEP_1)
	v_min_u32_e32 v1, 32, v1
	v_subrev_nc_u32_e32 v2, 28, v1
	v_sub_nc_u32_e32 v1, 29, v1
	s_delay_alu instid0(VALU_DEP_2) | instskip(NEXT) | instid1(VALU_DEP_1)
	v_lshlrev_b64 v[2:3], v2, v[20:21]
	v_and_b32_e32 v30, 7, v2
; %bb.255:                              ;   in Loop: Header=BB432_10 Depth=1
	s_or_b32 exec_lo, exec_lo, s22
	v_lshlrev_b32_e32 v2, 24, v0
	s_delay_alu instid0(VALU_DEP_2) | instskip(SKIP_1) | instid1(VALU_DEP_3)
	v_lshlrev_b32_e32 v3, 20, v30
	v_lshl_add_u32 v1, v1, 23, 0x3c000000
	v_and_b32_e32 v2, 0x80000000, v2
	s_delay_alu instid0(VALU_DEP_1)
	v_or3_b32 v1, v3, v2, v1
.LBB432_256:                            ;   in Loop: Header=BB432_10 Depth=1
	s_or_b32 exec_lo, exec_lo, s21
.LBB432_257:                            ;   in Loop: Header=BB432_10 Depth=1
	s_delay_alu instid0(SALU_CYCLE_1)
	s_or_b32 exec_lo, exec_lo, s20
.LBB432_258:                            ;   in Loop: Header=BB432_10 Depth=1
	s_delay_alu instid0(SALU_CYCLE_1) | instskip(NEXT) | instid1(VALU_DEP_1)
	s_or_b32 exec_lo, exec_lo, s4
	v_mul_f32_e32 v1, v171, v1
                                        ; implicit-def: $vgpr53
	s_delay_alu instid0(VALU_DEP_1) | instskip(NEXT) | instid1(VALU_DEP_1)
	v_and_b32_e32 v2, 0x7f800000, v1
	v_cmp_ne_u32_e64 s3, 0x7f800000, v2
	s_delay_alu instid0(VALU_DEP_1) | instskip(NEXT) | instid1(SALU_CYCLE_1)
	s_and_saveexec_b32 s4, s3
	s_xor_b32 s3, exec_lo, s4
; %bb.259:                              ;   in Loop: Header=BB432_10 Depth=1
	v_bfe_u32 v2, v1, 16, 1
	s_delay_alu instid0(VALU_DEP_1)
	v_add3_u32 v53, v1, v2, 0x7fff
                                        ; implicit-def: $vgpr1
; %bb.260:                              ;   in Loop: Header=BB432_10 Depth=1
	s_and_not1_saveexec_b32 s4, s3
; %bb.261:                              ;   in Loop: Header=BB432_10 Depth=1
	v_and_b32_e32 v2, 0xffff, v1
	v_or_b32_e32 v3, 0x10000, v1
	s_delay_alu instid0(VALU_DEP_2) | instskip(NEXT) | instid1(VALU_DEP_1)
	v_cmp_eq_u32_e64 s3, 0, v2
	v_cndmask_b32_e64 v53, v3, v1, s3
; %bb.262:                              ;   in Loop: Header=BB432_10 Depth=1
	s_or_b32 exec_lo, exec_lo, s4
	v_lshrrev_b16 v2, 8, v0
	v_mov_b32_e32 v1, 0
	s_mov_b32 s4, exec_lo
	s_delay_alu instid0(VALU_DEP_2)
	v_cmpx_ne_u16_e32 0, v2
	s_cbranch_execz .LBB432_270
; %bb.263:                              ;   in Loop: Header=BB432_10 Depth=1
	v_bfrev_b32_e32 v1, 1
	s_mov_b32 s20, exec_lo
	v_cmpx_ne_u16_e32 0x80, v2
	s_cbranch_execz .LBB432_269
; %bb.264:                              ;   in Loop: Header=BB432_10 Depth=1
	v_and_b32_e32 v3, 0xffff, v2
	v_mov_b32_e32 v1, 0x7f800001
	s_mov_b32 s21, exec_lo
	s_delay_alu instid0(VALU_DEP_2) | instskip(NEXT) | instid1(VALU_DEP_1)
	v_and_b32_e32 v2, 0x7f, v3
	v_cmpx_ne_u32_e32 0x7f, v2
	s_cbranch_execz .LBB432_268
; %bb.265:                              ;   in Loop: Header=BB432_10 Depth=1
	v_and_b32_e32 v20, 7, v3
	v_lshrrev_b32_e32 v1, 3, v2
	v_mov_b32_e32 v31, v21
	s_mov_b32 s22, exec_lo
	s_delay_alu instid0(VALU_DEP_3)
	v_mov_b32_e32 v30, v20
	v_cmpx_gt_u32_e32 8, v2
; %bb.266:                              ;   in Loop: Header=BB432_10 Depth=1
	v_clz_i32_u32_e32 v1, v20
	s_delay_alu instid0(VALU_DEP_1) | instskip(NEXT) | instid1(VALU_DEP_1)
	v_min_u32_e32 v1, 32, v1
	v_subrev_nc_u32_e32 v2, 28, v1
	v_sub_nc_u32_e32 v1, 29, v1
	s_delay_alu instid0(VALU_DEP_2) | instskip(NEXT) | instid1(VALU_DEP_1)
	v_lshlrev_b64 v[2:3], v2, v[20:21]
	v_and_b32_e32 v30, 7, v2
; %bb.267:                              ;   in Loop: Header=BB432_10 Depth=1
	s_or_b32 exec_lo, exec_lo, s22
	v_lshlrev_b32_e32 v2, 16, v0
	s_delay_alu instid0(VALU_DEP_2) | instskip(SKIP_1) | instid1(VALU_DEP_3)
	v_lshlrev_b32_e32 v3, 20, v30
	v_lshl_add_u32 v1, v1, 23, 0x3c000000
	v_and_b32_e32 v2, 0x80000000, v2
	s_delay_alu instid0(VALU_DEP_1)
	v_or3_b32 v1, v3, v2, v1
.LBB432_268:                            ;   in Loop: Header=BB432_10 Depth=1
	s_or_b32 exec_lo, exec_lo, s21
.LBB432_269:                            ;   in Loop: Header=BB432_10 Depth=1
	s_delay_alu instid0(SALU_CYCLE_1)
	s_or_b32 exec_lo, exec_lo, s20
.LBB432_270:                            ;   in Loop: Header=BB432_10 Depth=1
	s_delay_alu instid0(SALU_CYCLE_1) | instskip(NEXT) | instid1(VALU_DEP_1)
	s_or_b32 exec_lo, exec_lo, s4
	v_mul_f32_e32 v1, v171, v1
                                        ; implicit-def: $vgpr11
	s_delay_alu instid0(VALU_DEP_1) | instskip(NEXT) | instid1(VALU_DEP_1)
	v_and_b32_e32 v2, 0x7f800000, v1
	v_cmp_ne_u32_e64 s3, 0x7f800000, v2
	s_delay_alu instid0(VALU_DEP_1) | instskip(NEXT) | instid1(SALU_CYCLE_1)
	s_and_saveexec_b32 s4, s3
	s_xor_b32 s3, exec_lo, s4
; %bb.271:                              ;   in Loop: Header=BB432_10 Depth=1
	v_bfe_u32 v2, v1, 16, 1
	s_delay_alu instid0(VALU_DEP_1)
	v_add3_u32 v11, v1, v2, 0x7fff
                                        ; implicit-def: $vgpr1
; %bb.272:                              ;   in Loop: Header=BB432_10 Depth=1
	s_and_not1_saveexec_b32 s4, s3
; %bb.273:                              ;   in Loop: Header=BB432_10 Depth=1
	v_and_b32_e32 v2, 0xffff, v1
	v_or_b32_e32 v3, 0x10000, v1
	s_delay_alu instid0(VALU_DEP_2) | instskip(NEXT) | instid1(VALU_DEP_1)
	v_cmp_eq_u32_e64 s3, 0, v2
	v_cndmask_b32_e64 v11, v3, v1, s3
; %bb.274:                              ;   in Loop: Header=BB432_10 Depth=1
	s_or_b32 exec_lo, exec_lo, s4
	v_lshrrev_b32_e32 v1, 16, v0
	s_mov_b32 s4, exec_lo
	s_delay_alu instid0(VALU_DEP_1) | instskip(NEXT) | instid1(VALU_DEP_1)
	v_dual_mov_b32 v2, 0 :: v_dual_and_b32 v3, 0xff, v1
	v_cmpx_ne_u16_e32 0, v3
	s_cbranch_execz .LBB432_282
; %bb.275:                              ;   in Loop: Header=BB432_10 Depth=1
	v_bfrev_b32_e32 v2, 1
	s_mov_b32 s20, exec_lo
	v_cmpx_ne_u16_e32 0x80, v3
	s_cbranch_execz .LBB432_281
; %bb.276:                              ;   in Loop: Header=BB432_10 Depth=1
	v_bfe_u32 v3, v0, 16, 7
	v_mov_b32_e32 v2, 0x7f800001
	s_mov_b32 s21, exec_lo
	s_delay_alu instid0(VALU_DEP_2)
	v_cmpx_ne_u32_e32 0x7f, v3
	s_cbranch_execz .LBB432_280
; %bb.277:                              ;   in Loop: Header=BB432_10 Depth=1
	v_and_b32_e32 v20, 7, v1
	v_lshrrev_b32_e32 v2, 3, v3
	v_mov_b32_e32 v31, v21
	s_mov_b32 s22, exec_lo
	s_delay_alu instid0(VALU_DEP_3)
	v_mov_b32_e32 v30, v20
	v_cmpx_gt_u32_e32 8, v3
; %bb.278:                              ;   in Loop: Header=BB432_10 Depth=1
	v_clz_i32_u32_e32 v2, v20
	s_delay_alu instid0(VALU_DEP_1) | instskip(NEXT) | instid1(VALU_DEP_1)
	v_min_u32_e32 v2, 32, v2
	v_subrev_nc_u32_e32 v3, 28, v2
	v_sub_nc_u32_e32 v2, 29, v2
	s_delay_alu instid0(VALU_DEP_2) | instskip(NEXT) | instid1(VALU_DEP_1)
	v_lshlrev_b64 v[6:7], v3, v[20:21]
	v_and_b32_e32 v30, 7, v6
; %bb.279:                              ;   in Loop: Header=BB432_10 Depth=1
	s_or_b32 exec_lo, exec_lo, s22
	v_lshlrev_b32_e32 v1, 24, v1
	s_delay_alu instid0(VALU_DEP_2) | instskip(SKIP_1) | instid1(VALU_DEP_3)
	v_lshlrev_b32_e32 v3, 20, v30
	v_lshl_add_u32 v2, v2, 23, 0x3c000000
	v_and_b32_e32 v1, 0x80000000, v1
	s_delay_alu instid0(VALU_DEP_1)
	v_or3_b32 v2, v3, v1, v2
.LBB432_280:                            ;   in Loop: Header=BB432_10 Depth=1
	s_or_b32 exec_lo, exec_lo, s21
.LBB432_281:                            ;   in Loop: Header=BB432_10 Depth=1
	s_delay_alu instid0(SALU_CYCLE_1)
	s_or_b32 exec_lo, exec_lo, s20
.LBB432_282:                            ;   in Loop: Header=BB432_10 Depth=1
	s_delay_alu instid0(SALU_CYCLE_1) | instskip(NEXT) | instid1(VALU_DEP_1)
	s_or_b32 exec_lo, exec_lo, s4
	v_mul_f32_e32 v1, v171, v2
                                        ; implicit-def: $vgpr10
	s_delay_alu instid0(VALU_DEP_1) | instskip(NEXT) | instid1(VALU_DEP_1)
	v_and_b32_e32 v2, 0x7f800000, v1
	v_cmp_ne_u32_e64 s3, 0x7f800000, v2
	s_delay_alu instid0(VALU_DEP_1) | instskip(NEXT) | instid1(SALU_CYCLE_1)
	s_and_saveexec_b32 s4, s3
	s_xor_b32 s3, exec_lo, s4
; %bb.283:                              ;   in Loop: Header=BB432_10 Depth=1
	v_bfe_u32 v2, v1, 16, 1
	s_delay_alu instid0(VALU_DEP_1)
	v_add3_u32 v10, v1, v2, 0x7fff
                                        ; implicit-def: $vgpr1
; %bb.284:                              ;   in Loop: Header=BB432_10 Depth=1
	s_and_not1_saveexec_b32 s4, s3
; %bb.285:                              ;   in Loop: Header=BB432_10 Depth=1
	v_and_b32_e32 v2, 0xffff, v1
	v_or_b32_e32 v3, 0x10000, v1
	s_delay_alu instid0(VALU_DEP_2) | instskip(NEXT) | instid1(VALU_DEP_1)
	v_cmp_eq_u32_e64 s3, 0, v2
	v_cndmask_b32_e64 v10, v3, v1, s3
; %bb.286:                              ;   in Loop: Header=BB432_10 Depth=1
	s_or_b32 exec_lo, exec_lo, s4
	v_mov_b32_e32 v2, 0
	s_mov_b32 s4, exec_lo
	v_cmpx_lt_u32_e32 0xffffff, v0
	s_cbranch_execz .LBB432_294
; %bb.287:                              ;   in Loop: Header=BB432_10 Depth=1
	v_lshrrev_b32_e32 v1, 24, v0
	v_bfrev_b32_e32 v2, 1
	s_mov_b32 s20, exec_lo
	s_delay_alu instid0(VALU_DEP_2)
	v_cmpx_ne_u32_e32 0x80, v1
	s_cbranch_execz .LBB432_293
; %bb.288:                              ;   in Loop: Header=BB432_10 Depth=1
	v_bfe_u32 v3, v0, 24, 7
	v_mov_b32_e32 v2, 0x7f800001
	s_mov_b32 s21, exec_lo
	s_delay_alu instid0(VALU_DEP_2)
	v_cmpx_ne_u32_e32 0x7f, v3
	s_cbranch_execz .LBB432_292
; %bb.289:                              ;   in Loop: Header=BB432_10 Depth=1
	v_and_b32_e32 v20, 7, v1
	v_lshrrev_b32_e32 v0, 3, v3
	v_mov_b32_e32 v31, v21
	s_mov_b32 s22, exec_lo
	s_delay_alu instid0(VALU_DEP_3)
	v_mov_b32_e32 v30, v20
	v_cmpx_gt_u32_e32 8, v3
; %bb.290:                              ;   in Loop: Header=BB432_10 Depth=1
	v_clz_i32_u32_e32 v0, v20
	s_delay_alu instid0(VALU_DEP_1) | instskip(NEXT) | instid1(VALU_DEP_1)
	v_min_u32_e32 v0, 32, v0
	v_subrev_nc_u32_e32 v2, 28, v0
	v_sub_nc_u32_e32 v0, 29, v0
	s_delay_alu instid0(VALU_DEP_2) | instskip(NEXT) | instid1(VALU_DEP_1)
	v_lshlrev_b64 v[2:3], v2, v[20:21]
	v_and_b32_e32 v30, 7, v2
; %bb.291:                              ;   in Loop: Header=BB432_10 Depth=1
	s_or_b32 exec_lo, exec_lo, s22
	v_lshlrev_b32_e32 v1, 24, v1
	s_delay_alu instid0(VALU_DEP_2) | instskip(SKIP_1) | instid1(VALU_DEP_3)
	v_lshlrev_b32_e32 v2, 20, v30
	v_lshl_add_u32 v0, v0, 23, 0x3c000000
	v_and_b32_e32 v1, 0x80000000, v1
	s_delay_alu instid0(VALU_DEP_1)
	v_or3_b32 v2, v2, v1, v0
.LBB432_292:                            ;   in Loop: Header=BB432_10 Depth=1
	s_or_b32 exec_lo, exec_lo, s21
.LBB432_293:                            ;   in Loop: Header=BB432_10 Depth=1
	s_delay_alu instid0(SALU_CYCLE_1)
	s_or_b32 exec_lo, exec_lo, s20
.LBB432_294:                            ;   in Loop: Header=BB432_10 Depth=1
	s_delay_alu instid0(SALU_CYCLE_1) | instskip(NEXT) | instid1(VALU_DEP_1)
	s_or_b32 exec_lo, exec_lo, s4
	v_mul_f32_e32 v0, v171, v2
                                        ; implicit-def: $vgpr6
	s_delay_alu instid0(VALU_DEP_1) | instskip(NEXT) | instid1(VALU_DEP_1)
	v_and_b32_e32 v1, 0x7f800000, v0
	v_cmp_ne_u32_e64 s3, 0x7f800000, v1
	s_delay_alu instid0(VALU_DEP_1) | instskip(NEXT) | instid1(SALU_CYCLE_1)
	s_and_saveexec_b32 s4, s3
	s_xor_b32 s3, exec_lo, s4
; %bb.295:                              ;   in Loop: Header=BB432_10 Depth=1
	v_bfe_u32 v1, v0, 16, 1
	s_delay_alu instid0(VALU_DEP_1)
	v_add3_u32 v6, v0, v1, 0x7fff
                                        ; implicit-def: $vgpr0
; %bb.296:                              ;   in Loop: Header=BB432_10 Depth=1
	s_and_not1_saveexec_b32 s4, s3
; %bb.297:                              ;   in Loop: Header=BB432_10 Depth=1
	v_and_b32_e32 v1, 0xffff, v0
	v_or_b32_e32 v2, 0x10000, v0
	s_delay_alu instid0(VALU_DEP_2) | instskip(NEXT) | instid1(VALU_DEP_1)
	v_cmp_eq_u32_e64 s3, 0, v1
	v_cndmask_b32_e64 v6, v2, v0, s3
; %bb.298:                              ;   in Loop: Header=BB432_10 Depth=1
	s_or_b32 exec_lo, exec_lo, s4
	flat_load_b32 v0, v[28:29] offset:768
	s_mov_b32 s4, exec_lo
	s_waitcnt vmcnt(0) lgkmcnt(0)
	v_dual_mov_b32 v1, 0 :: v_dual_and_b32 v2, 0xff, v0
	s_delay_alu instid0(VALU_DEP_1)
	v_cmpx_ne_u16_e32 0, v2
	s_cbranch_execz .LBB432_306
; %bb.299:                              ;   in Loop: Header=BB432_10 Depth=1
	v_bfrev_b32_e32 v1, 1
	s_mov_b32 s20, exec_lo
	v_cmpx_ne_u16_e32 0x80, v2
	s_cbranch_execz .LBB432_305
; %bb.300:                              ;   in Loop: Header=BB432_10 Depth=1
	v_and_b32_e32 v2, 0x7f, v0
	v_mov_b32_e32 v1, 0x7f800001
	s_mov_b32 s21, exec_lo
	s_delay_alu instid0(VALU_DEP_2)
	v_cmpx_ne_u32_e32 0x7f, v2
	s_cbranch_execz .LBB432_304
; %bb.301:                              ;   in Loop: Header=BB432_10 Depth=1
	v_and_b32_e32 v20, 7, v0
	v_lshrrev_b32_e32 v1, 3, v2
	v_mov_b32_e32 v31, v21
	s_mov_b32 s22, exec_lo
	s_delay_alu instid0(VALU_DEP_3)
	v_mov_b32_e32 v30, v20
	v_cmpx_gt_u32_e32 8, v2
; %bb.302:                              ;   in Loop: Header=BB432_10 Depth=1
	v_clz_i32_u32_e32 v1, v20
	s_delay_alu instid0(VALU_DEP_1) | instskip(NEXT) | instid1(VALU_DEP_1)
	v_min_u32_e32 v1, 32, v1
	v_subrev_nc_u32_e32 v2, 28, v1
	v_sub_nc_u32_e32 v1, 29, v1
	s_delay_alu instid0(VALU_DEP_2) | instskip(NEXT) | instid1(VALU_DEP_1)
	v_lshlrev_b64 v[2:3], v2, v[20:21]
	v_and_b32_e32 v30, 7, v2
; %bb.303:                              ;   in Loop: Header=BB432_10 Depth=1
	s_or_b32 exec_lo, exec_lo, s22
	v_lshlrev_b32_e32 v2, 24, v0
	s_delay_alu instid0(VALU_DEP_2) | instskip(SKIP_1) | instid1(VALU_DEP_3)
	v_lshlrev_b32_e32 v3, 20, v30
	v_lshl_add_u32 v1, v1, 23, 0x3c000000
	v_and_b32_e32 v2, 0x80000000, v2
	s_delay_alu instid0(VALU_DEP_1)
	v_or3_b32 v1, v3, v2, v1
.LBB432_304:                            ;   in Loop: Header=BB432_10 Depth=1
	s_or_b32 exec_lo, exec_lo, s21
.LBB432_305:                            ;   in Loop: Header=BB432_10 Depth=1
	s_delay_alu instid0(SALU_CYCLE_1)
	s_or_b32 exec_lo, exec_lo, s20
.LBB432_306:                            ;   in Loop: Header=BB432_10 Depth=1
	s_delay_alu instid0(SALU_CYCLE_1) | instskip(NEXT) | instid1(VALU_DEP_1)
	s_or_b32 exec_lo, exec_lo, s4
	v_mul_f32_e32 v1, v171, v1
                                        ; implicit-def: $vgpr7
	s_delay_alu instid0(VALU_DEP_1) | instskip(NEXT) | instid1(VALU_DEP_1)
	v_and_b32_e32 v2, 0x7f800000, v1
	v_cmp_ne_u32_e64 s3, 0x7f800000, v2
	s_delay_alu instid0(VALU_DEP_1) | instskip(NEXT) | instid1(SALU_CYCLE_1)
	s_and_saveexec_b32 s4, s3
	s_xor_b32 s3, exec_lo, s4
; %bb.307:                              ;   in Loop: Header=BB432_10 Depth=1
	v_bfe_u32 v2, v1, 16, 1
	s_delay_alu instid0(VALU_DEP_1)
	v_add3_u32 v7, v1, v2, 0x7fff
                                        ; implicit-def: $vgpr1
; %bb.308:                              ;   in Loop: Header=BB432_10 Depth=1
	s_and_not1_saveexec_b32 s4, s3
; %bb.309:                              ;   in Loop: Header=BB432_10 Depth=1
	v_and_b32_e32 v2, 0xffff, v1
	v_or_b32_e32 v3, 0x10000, v1
	s_delay_alu instid0(VALU_DEP_2) | instskip(NEXT) | instid1(VALU_DEP_1)
	v_cmp_eq_u32_e64 s3, 0, v2
	v_cndmask_b32_e64 v7, v3, v1, s3
; %bb.310:                              ;   in Loop: Header=BB432_10 Depth=1
	s_or_b32 exec_lo, exec_lo, s4
	v_lshrrev_b16 v2, 8, v0
	v_mov_b32_e32 v1, 0
	s_mov_b32 s4, exec_lo
	s_delay_alu instid0(VALU_DEP_2)
	v_cmpx_ne_u16_e32 0, v2
	s_cbranch_execz .LBB432_318
; %bb.311:                              ;   in Loop: Header=BB432_10 Depth=1
	v_bfrev_b32_e32 v1, 1
	s_mov_b32 s20, exec_lo
	v_cmpx_ne_u16_e32 0x80, v2
	s_cbranch_execz .LBB432_317
; %bb.312:                              ;   in Loop: Header=BB432_10 Depth=1
	v_and_b32_e32 v3, 0xffff, v2
	v_mov_b32_e32 v1, 0x7f800001
	s_mov_b32 s21, exec_lo
	s_delay_alu instid0(VALU_DEP_2) | instskip(NEXT) | instid1(VALU_DEP_1)
	v_and_b32_e32 v2, 0x7f, v3
	v_cmpx_ne_u32_e32 0x7f, v2
	s_cbranch_execz .LBB432_316
; %bb.313:                              ;   in Loop: Header=BB432_10 Depth=1
	v_and_b32_e32 v20, 7, v3
	v_lshrrev_b32_e32 v1, 3, v2
	v_mov_b32_e32 v31, v21
	s_mov_b32 s22, exec_lo
	s_delay_alu instid0(VALU_DEP_3)
	v_mov_b32_e32 v30, v20
	v_cmpx_gt_u32_e32 8, v2
; %bb.314:                              ;   in Loop: Header=BB432_10 Depth=1
	v_clz_i32_u32_e32 v1, v20
	s_delay_alu instid0(VALU_DEP_1) | instskip(NEXT) | instid1(VALU_DEP_1)
	v_min_u32_e32 v1, 32, v1
	v_subrev_nc_u32_e32 v2, 28, v1
	v_sub_nc_u32_e32 v1, 29, v1
	s_delay_alu instid0(VALU_DEP_2) | instskip(NEXT) | instid1(VALU_DEP_1)
	v_lshlrev_b64 v[2:3], v2, v[20:21]
	v_and_b32_e32 v30, 7, v2
; %bb.315:                              ;   in Loop: Header=BB432_10 Depth=1
	s_or_b32 exec_lo, exec_lo, s22
	v_lshlrev_b32_e32 v2, 16, v0
	s_delay_alu instid0(VALU_DEP_2) | instskip(SKIP_1) | instid1(VALU_DEP_3)
	v_lshlrev_b32_e32 v3, 20, v30
	v_lshl_add_u32 v1, v1, 23, 0x3c000000
	v_and_b32_e32 v2, 0x80000000, v2
	s_delay_alu instid0(VALU_DEP_1)
	v_or3_b32 v1, v3, v2, v1
.LBB432_316:                            ;   in Loop: Header=BB432_10 Depth=1
	s_or_b32 exec_lo, exec_lo, s21
.LBB432_317:                            ;   in Loop: Header=BB432_10 Depth=1
	s_delay_alu instid0(SALU_CYCLE_1)
	s_or_b32 exec_lo, exec_lo, s20
.LBB432_318:                            ;   in Loop: Header=BB432_10 Depth=1
	s_delay_alu instid0(SALU_CYCLE_1) | instskip(NEXT) | instid1(VALU_DEP_1)
	s_or_b32 exec_lo, exec_lo, s4
	v_mul_f32_e32 v1, v171, v1
	s_delay_alu instid0(VALU_DEP_1) | instskip(NEXT) | instid1(VALU_DEP_1)
	v_and_b32_e32 v2, 0x7f800000, v1
	v_cmp_ne_u32_e64 s3, 0x7f800000, v2
                                        ; implicit-def: $vgpr2
	s_delay_alu instid0(VALU_DEP_1) | instskip(NEXT) | instid1(SALU_CYCLE_1)
	s_and_saveexec_b32 s4, s3
	s_xor_b32 s3, exec_lo, s4
; %bb.319:                              ;   in Loop: Header=BB432_10 Depth=1
	v_bfe_u32 v2, v1, 16, 1
	s_delay_alu instid0(VALU_DEP_1)
	v_add3_u32 v2, v1, v2, 0x7fff
                                        ; implicit-def: $vgpr1
; %bb.320:                              ;   in Loop: Header=BB432_10 Depth=1
	s_and_not1_saveexec_b32 s4, s3
; %bb.321:                              ;   in Loop: Header=BB432_10 Depth=1
	v_and_b32_e32 v2, 0xffff, v1
	v_or_b32_e32 v3, 0x10000, v1
	s_delay_alu instid0(VALU_DEP_2) | instskip(NEXT) | instid1(VALU_DEP_1)
	v_cmp_eq_u32_e64 s3, 0, v2
	v_cndmask_b32_e64 v2, v3, v1, s3
; %bb.322:                              ;   in Loop: Header=BB432_10 Depth=1
	s_or_b32 exec_lo, exec_lo, s4
	v_lshrrev_b32_e32 v1, 16, v0
	s_mov_b32 s4, exec_lo
	s_delay_alu instid0(VALU_DEP_1) | instskip(NEXT) | instid1(VALU_DEP_1)
	v_dual_mov_b32 v3, 0 :: v_dual_and_b32 v14, 0xff, v1
	v_cmpx_ne_u16_e32 0, v14
	s_cbranch_execz .LBB432_330
; %bb.323:                              ;   in Loop: Header=BB432_10 Depth=1
	v_bfrev_b32_e32 v3, 1
	s_mov_b32 s20, exec_lo
	v_cmpx_ne_u16_e32 0x80, v14
	s_cbranch_execz .LBB432_329
; %bb.324:                              ;   in Loop: Header=BB432_10 Depth=1
	v_bfe_u32 v14, v0, 16, 7
	v_mov_b32_e32 v3, 0x7f800001
	s_mov_b32 s21, exec_lo
	s_delay_alu instid0(VALU_DEP_2)
	v_cmpx_ne_u32_e32 0x7f, v14
	s_cbranch_execz .LBB432_328
; %bb.325:                              ;   in Loop: Header=BB432_10 Depth=1
	v_and_b32_e32 v20, 7, v1
	v_lshrrev_b32_e32 v3, 3, v14
	v_mov_b32_e32 v31, v21
	s_mov_b32 s22, exec_lo
	s_delay_alu instid0(VALU_DEP_3)
	v_mov_b32_e32 v30, v20
	v_cmpx_gt_u32_e32 8, v14
; %bb.326:                              ;   in Loop: Header=BB432_10 Depth=1
	v_clz_i32_u32_e32 v3, v20
	s_delay_alu instid0(VALU_DEP_1) | instskip(NEXT) | instid1(VALU_DEP_1)
	v_min_u32_e32 v3, 32, v3
	v_subrev_nc_u32_e32 v14, 28, v3
	v_sub_nc_u32_e32 v3, 29, v3
	s_delay_alu instid0(VALU_DEP_2) | instskip(NEXT) | instid1(VALU_DEP_1)
	v_lshlrev_b64 v[14:15], v14, v[20:21]
	v_and_b32_e32 v30, 7, v14
; %bb.327:                              ;   in Loop: Header=BB432_10 Depth=1
	s_or_b32 exec_lo, exec_lo, s22
	v_lshlrev_b32_e32 v1, 24, v1
	s_delay_alu instid0(VALU_DEP_2) | instskip(SKIP_1) | instid1(VALU_DEP_3)
	v_lshlrev_b32_e32 v14, 20, v30
	v_lshl_add_u32 v3, v3, 23, 0x3c000000
	v_and_b32_e32 v1, 0x80000000, v1
	s_delay_alu instid0(VALU_DEP_1)
	v_or3_b32 v3, v14, v1, v3
.LBB432_328:                            ;   in Loop: Header=BB432_10 Depth=1
	s_or_b32 exec_lo, exec_lo, s21
.LBB432_329:                            ;   in Loop: Header=BB432_10 Depth=1
	s_delay_alu instid0(SALU_CYCLE_1)
	s_or_b32 exec_lo, exec_lo, s20
.LBB432_330:                            ;   in Loop: Header=BB432_10 Depth=1
	s_delay_alu instid0(SALU_CYCLE_1) | instskip(NEXT) | instid1(VALU_DEP_1)
	s_or_b32 exec_lo, exec_lo, s4
	v_mul_f32_e32 v1, v171, v3
	s_delay_alu instid0(VALU_DEP_1) | instskip(NEXT) | instid1(VALU_DEP_1)
	v_and_b32_e32 v3, 0x7f800000, v1
	v_cmp_ne_u32_e64 s3, 0x7f800000, v3
                                        ; implicit-def: $vgpr3
	s_delay_alu instid0(VALU_DEP_1) | instskip(NEXT) | instid1(SALU_CYCLE_1)
	s_and_saveexec_b32 s4, s3
	s_xor_b32 s3, exec_lo, s4
; %bb.331:                              ;   in Loop: Header=BB432_10 Depth=1
	v_bfe_u32 v3, v1, 16, 1
	s_delay_alu instid0(VALU_DEP_1)
	v_add3_u32 v3, v1, v3, 0x7fff
                                        ; implicit-def: $vgpr1
; %bb.332:                              ;   in Loop: Header=BB432_10 Depth=1
	s_and_not1_saveexec_b32 s4, s3
; %bb.333:                              ;   in Loop: Header=BB432_10 Depth=1
	v_and_b32_e32 v3, 0xffff, v1
	v_or_b32_e32 v14, 0x10000, v1
	s_delay_alu instid0(VALU_DEP_2) | instskip(NEXT) | instid1(VALU_DEP_1)
	v_cmp_eq_u32_e64 s3, 0, v3
	v_cndmask_b32_e64 v3, v14, v1, s3
; %bb.334:                              ;   in Loop: Header=BB432_10 Depth=1
	s_or_b32 exec_lo, exec_lo, s4
	v_mov_b32_e32 v14, 0
	s_mov_b32 s4, exec_lo
	v_cmpx_lt_u32_e32 0xffffff, v0
	s_cbranch_execz .LBB432_342
; %bb.335:                              ;   in Loop: Header=BB432_10 Depth=1
	v_lshrrev_b32_e32 v1, 24, v0
	v_bfrev_b32_e32 v14, 1
	s_mov_b32 s20, exec_lo
	s_delay_alu instid0(VALU_DEP_2)
	v_cmpx_ne_u32_e32 0x80, v1
	s_cbranch_execz .LBB432_341
; %bb.336:                              ;   in Loop: Header=BB432_10 Depth=1
	v_bfe_u32 v15, v0, 24, 7
	v_mov_b32_e32 v14, 0x7f800001
	s_mov_b32 s21, exec_lo
	s_delay_alu instid0(VALU_DEP_2)
	v_cmpx_ne_u32_e32 0x7f, v15
	s_cbranch_execz .LBB432_340
; %bb.337:                              ;   in Loop: Header=BB432_10 Depth=1
	v_and_b32_e32 v20, 7, v1
	v_lshrrev_b32_e32 v0, 3, v15
	v_mov_b32_e32 v31, v21
	s_mov_b32 s22, exec_lo
	s_delay_alu instid0(VALU_DEP_3)
	v_mov_b32_e32 v30, v20
	v_cmpx_gt_u32_e32 8, v15
; %bb.338:                              ;   in Loop: Header=BB432_10 Depth=1
	v_clz_i32_u32_e32 v0, v20
	s_delay_alu instid0(VALU_DEP_1) | instskip(NEXT) | instid1(VALU_DEP_1)
	v_min_u32_e32 v0, 32, v0
	v_subrev_nc_u32_e32 v14, 28, v0
	v_sub_nc_u32_e32 v0, 29, v0
	s_delay_alu instid0(VALU_DEP_2) | instskip(NEXT) | instid1(VALU_DEP_1)
	v_lshlrev_b64 v[14:15], v14, v[20:21]
	v_and_b32_e32 v30, 7, v14
; %bb.339:                              ;   in Loop: Header=BB432_10 Depth=1
	s_or_b32 exec_lo, exec_lo, s22
	v_lshlrev_b32_e32 v1, 24, v1
	s_delay_alu instid0(VALU_DEP_2) | instskip(SKIP_1) | instid1(VALU_DEP_3)
	v_lshlrev_b32_e32 v14, 20, v30
	v_lshl_add_u32 v0, v0, 23, 0x3c000000
	v_and_b32_e32 v1, 0x80000000, v1
	s_delay_alu instid0(VALU_DEP_1)
	v_or3_b32 v14, v14, v1, v0
.LBB432_340:                            ;   in Loop: Header=BB432_10 Depth=1
	s_or_b32 exec_lo, exec_lo, s21
.LBB432_341:                            ;   in Loop: Header=BB432_10 Depth=1
	s_delay_alu instid0(SALU_CYCLE_1)
	s_or_b32 exec_lo, exec_lo, s20
.LBB432_342:                            ;   in Loop: Header=BB432_10 Depth=1
	s_delay_alu instid0(SALU_CYCLE_1) | instskip(NEXT) | instid1(VALU_DEP_1)
	s_or_b32 exec_lo, exec_lo, s4
	v_mul_f32_e32 v0, v171, v14
                                        ; implicit-def: $vgpr14
	s_delay_alu instid0(VALU_DEP_1) | instskip(NEXT) | instid1(VALU_DEP_1)
	v_and_b32_e32 v1, 0x7f800000, v0
	v_cmp_ne_u32_e64 s3, 0x7f800000, v1
	s_delay_alu instid0(VALU_DEP_1) | instskip(NEXT) | instid1(SALU_CYCLE_1)
	s_and_saveexec_b32 s4, s3
	s_xor_b32 s3, exec_lo, s4
; %bb.343:                              ;   in Loop: Header=BB432_10 Depth=1
	v_bfe_u32 v1, v0, 16, 1
	s_delay_alu instid0(VALU_DEP_1)
	v_add3_u32 v14, v0, v1, 0x7fff
                                        ; implicit-def: $vgpr0
; %bb.344:                              ;   in Loop: Header=BB432_10 Depth=1
	s_and_not1_saveexec_b32 s4, s3
; %bb.345:                              ;   in Loop: Header=BB432_10 Depth=1
	v_and_b32_e32 v1, 0xffff, v0
	v_or_b32_e32 v14, 0x10000, v0
	s_delay_alu instid0(VALU_DEP_2) | instskip(NEXT) | instid1(VALU_DEP_1)
	v_cmp_eq_u32_e64 s3, 0, v1
	v_cndmask_b32_e64 v14, v14, v0, s3
; %bb.346:                              ;   in Loop: Header=BB432_10 Depth=1
	s_or_b32 exec_lo, exec_lo, s4
	flat_load_b32 v0, v[28:29] offset:776
	v_mov_b32_e32 v1, 0
	s_mov_b32 s4, exec_lo
	s_waitcnt vmcnt(0) lgkmcnt(0)
	v_and_b32_e32 v15, 0xff, v0
	s_delay_alu instid0(VALU_DEP_1)
	v_cmpx_ne_u16_e32 0, v15
	s_cbranch_execz .LBB432_354
; %bb.347:                              ;   in Loop: Header=BB432_10 Depth=1
	v_bfrev_b32_e32 v1, 1
	s_mov_b32 s20, exec_lo
	v_cmpx_ne_u16_e32 0x80, v15
	s_cbranch_execz .LBB432_353
; %bb.348:                              ;   in Loop: Header=BB432_10 Depth=1
	v_and_b32_e32 v15, 0x7f, v0
	v_mov_b32_e32 v1, 0x7f800001
	s_mov_b32 s21, exec_lo
	s_delay_alu instid0(VALU_DEP_2)
	v_cmpx_ne_u32_e32 0x7f, v15
	s_cbranch_execz .LBB432_352
; %bb.349:                              ;   in Loop: Header=BB432_10 Depth=1
	v_and_b32_e32 v20, 7, v0
	v_lshrrev_b32_e32 v1, 3, v15
	v_mov_b32_e32 v31, v21
	s_mov_b32 s22, exec_lo
	s_delay_alu instid0(VALU_DEP_3)
	v_mov_b32_e32 v30, v20
	v_cmpx_gt_u32_e32 8, v15
; %bb.350:                              ;   in Loop: Header=BB432_10 Depth=1
	v_clz_i32_u32_e32 v1, v20
	s_delay_alu instid0(VALU_DEP_1) | instskip(NEXT) | instid1(VALU_DEP_1)
	v_min_u32_e32 v1, 32, v1
	v_subrev_nc_u32_e32 v15, 28, v1
	v_sub_nc_u32_e32 v1, 29, v1
	s_delay_alu instid0(VALU_DEP_2) | instskip(NEXT) | instid1(VALU_DEP_1)
	v_lshlrev_b64 v[26:27], v15, v[20:21]
	v_and_b32_e32 v30, 7, v26
; %bb.351:                              ;   in Loop: Header=BB432_10 Depth=1
	s_or_b32 exec_lo, exec_lo, s22
	v_lshlrev_b32_e32 v15, 24, v0
	s_delay_alu instid0(VALU_DEP_2) | instskip(SKIP_1) | instid1(VALU_DEP_3)
	v_lshlrev_b32_e32 v20, 20, v30
	v_lshl_add_u32 v1, v1, 23, 0x3c000000
	v_and_b32_e32 v15, 0x80000000, v15
	s_delay_alu instid0(VALU_DEP_1)
	v_or3_b32 v1, v20, v15, v1
.LBB432_352:                            ;   in Loop: Header=BB432_10 Depth=1
	s_or_b32 exec_lo, exec_lo, s21
.LBB432_353:                            ;   in Loop: Header=BB432_10 Depth=1
	s_delay_alu instid0(SALU_CYCLE_1)
	s_or_b32 exec_lo, exec_lo, s20
.LBB432_354:                            ;   in Loop: Header=BB432_10 Depth=1
	s_delay_alu instid0(SALU_CYCLE_1) | instskip(NEXT) | instid1(VALU_DEP_1)
	s_or_b32 exec_lo, exec_lo, s4
	v_mul_f32_e32 v1, v171, v1
	s_delay_alu instid0(VALU_DEP_1) | instskip(NEXT) | instid1(VALU_DEP_1)
	v_and_b32_e32 v15, 0x7f800000, v1
	v_cmp_ne_u32_e64 s3, 0x7f800000, v15
                                        ; implicit-def: $vgpr15
	s_delay_alu instid0(VALU_DEP_1) | instskip(NEXT) | instid1(SALU_CYCLE_1)
	s_and_saveexec_b32 s4, s3
	s_xor_b32 s3, exec_lo, s4
; %bb.355:                              ;   in Loop: Header=BB432_10 Depth=1
	v_bfe_u32 v15, v1, 16, 1
	s_delay_alu instid0(VALU_DEP_1)
	v_add3_u32 v15, v1, v15, 0x7fff
                                        ; implicit-def: $vgpr1
; %bb.356:                              ;   in Loop: Header=BB432_10 Depth=1
	s_and_not1_saveexec_b32 s4, s3
; %bb.357:                              ;   in Loop: Header=BB432_10 Depth=1
	v_and_b32_e32 v15, 0xffff, v1
	v_or_b32_e32 v20, 0x10000, v1
	s_delay_alu instid0(VALU_DEP_2) | instskip(NEXT) | instid1(VALU_DEP_1)
	v_cmp_eq_u32_e64 s3, 0, v15
	v_cndmask_b32_e64 v15, v20, v1, s3
; %bb.358:                              ;   in Loop: Header=BB432_10 Depth=1
	s_or_b32 exec_lo, exec_lo, s4
	v_lshrrev_b16 v20, 8, v0
	v_mov_b32_e32 v1, 0
	s_mov_b32 s4, exec_lo
	s_delay_alu instid0(VALU_DEP_2)
	v_cmpx_ne_u16_e32 0, v20
	s_cbranch_execz .LBB432_366
; %bb.359:                              ;   in Loop: Header=BB432_10 Depth=1
	v_bfrev_b32_e32 v1, 1
	s_mov_b32 s20, exec_lo
	v_cmpx_ne_u16_e32 0x80, v20
	s_cbranch_execz .LBB432_365
; %bb.360:                              ;   in Loop: Header=BB432_10 Depth=1
	v_and_b32_e32 v20, 0xffff, v20
	v_mov_b32_e32 v1, 0x7f800001
	s_mov_b32 s21, exec_lo
	s_delay_alu instid0(VALU_DEP_2) | instskip(NEXT) | instid1(VALU_DEP_1)
	v_and_b32_e32 v23, 0x7f, v20
	v_cmpx_ne_u32_e32 0x7f, v23
	s_cbranch_execz .LBB432_364
; %bb.361:                              ;   in Loop: Header=BB432_10 Depth=1
	v_and_b32_e32 v20, 7, v20
	v_lshrrev_b32_e32 v1, 3, v23
	v_mov_b32_e32 v31, v21
	s_mov_b32 s22, exec_lo
	s_delay_alu instid0(VALU_DEP_3)
	v_mov_b32_e32 v30, v20
	v_cmpx_gt_u32_e32 8, v23
; %bb.362:                              ;   in Loop: Header=BB432_10 Depth=1
	v_clz_i32_u32_e32 v1, v20
	s_delay_alu instid0(VALU_DEP_1) | instskip(NEXT) | instid1(VALU_DEP_1)
	v_min_u32_e32 v1, 32, v1
	v_subrev_nc_u32_e32 v23, 28, v1
	v_sub_nc_u32_e32 v1, 29, v1
	s_delay_alu instid0(VALU_DEP_2) | instskip(NEXT) | instid1(VALU_DEP_1)
	v_lshlrev_b64 v[26:27], v23, v[20:21]
	v_and_b32_e32 v30, 7, v26
; %bb.363:                              ;   in Loop: Header=BB432_10 Depth=1
	s_or_b32 exec_lo, exec_lo, s22
	v_lshlrev_b32_e32 v20, 16, v0
	s_delay_alu instid0(VALU_DEP_2) | instskip(SKIP_1) | instid1(VALU_DEP_3)
	v_lshlrev_b32_e32 v23, 20, v30
	v_lshl_add_u32 v1, v1, 23, 0x3c000000
	v_and_b32_e32 v20, 0x80000000, v20
	s_delay_alu instid0(VALU_DEP_1)
	v_or3_b32 v1, v23, v20, v1
.LBB432_364:                            ;   in Loop: Header=BB432_10 Depth=1
	s_or_b32 exec_lo, exec_lo, s21
.LBB432_365:                            ;   in Loop: Header=BB432_10 Depth=1
	s_delay_alu instid0(SALU_CYCLE_1)
	s_or_b32 exec_lo, exec_lo, s20
.LBB432_366:                            ;   in Loop: Header=BB432_10 Depth=1
	s_delay_alu instid0(SALU_CYCLE_1) | instskip(NEXT) | instid1(VALU_DEP_1)
	s_or_b32 exec_lo, exec_lo, s4
	v_mul_f32_e32 v1, v171, v1
                                        ; implicit-def: $vgpr54
	s_delay_alu instid0(VALU_DEP_1) | instskip(NEXT) | instid1(VALU_DEP_1)
	v_and_b32_e32 v20, 0x7f800000, v1
	v_cmp_ne_u32_e64 s3, 0x7f800000, v20
	s_delay_alu instid0(VALU_DEP_1) | instskip(NEXT) | instid1(SALU_CYCLE_1)
	s_and_saveexec_b32 s4, s3
	s_xor_b32 s3, exec_lo, s4
; %bb.367:                              ;   in Loop: Header=BB432_10 Depth=1
	v_bfe_u32 v20, v1, 16, 1
	s_delay_alu instid0(VALU_DEP_1)
	v_add3_u32 v54, v1, v20, 0x7fff
                                        ; implicit-def: $vgpr1
; %bb.368:                              ;   in Loop: Header=BB432_10 Depth=1
	s_and_not1_saveexec_b32 s4, s3
; %bb.369:                              ;   in Loop: Header=BB432_10 Depth=1
	v_and_b32_e32 v20, 0xffff, v1
	v_or_b32_e32 v23, 0x10000, v1
	s_delay_alu instid0(VALU_DEP_2) | instskip(NEXT) | instid1(VALU_DEP_1)
	v_cmp_eq_u32_e64 s3, 0, v20
	v_cndmask_b32_e64 v54, v23, v1, s3
; %bb.370:                              ;   in Loop: Header=BB432_10 Depth=1
	s_or_b32 exec_lo, exec_lo, s4
	v_lshrrev_b32_e32 v1, 16, v0
	s_mov_b32 s4, exec_lo
	s_delay_alu instid0(VALU_DEP_1) | instskip(NEXT) | instid1(VALU_DEP_1)
	v_dual_mov_b32 v20, 0 :: v_dual_and_b32 v23, 0xff, v1
	v_cmpx_ne_u16_e32 0, v23
	s_cbranch_execz .LBB432_378
; %bb.371:                              ;   in Loop: Header=BB432_10 Depth=1
	v_bfrev_b32_e32 v20, 1
	s_mov_b32 s20, exec_lo
	v_cmpx_ne_u16_e32 0x80, v23
	s_cbranch_execz .LBB432_377
; %bb.372:                              ;   in Loop: Header=BB432_10 Depth=1
	v_bfe_u32 v26, v0, 16, 7
	v_mov_b32_e32 v20, 0x7f800001
	s_mov_b32 s21, exec_lo
	s_delay_alu instid0(VALU_DEP_2)
	v_cmpx_ne_u32_e32 0x7f, v26
	s_cbranch_execz .LBB432_376
; %bb.373:                              ;   in Loop: Header=BB432_10 Depth=1
	v_and_b32_e32 v20, 7, v1
	v_lshrrev_b32_e32 v23, 3, v26
	v_mov_b32_e32 v31, v21
	s_mov_b32 s22, exec_lo
	s_delay_alu instid0(VALU_DEP_3)
	v_mov_b32_e32 v30, v20
	v_cmpx_gt_u32_e32 8, v26
; %bb.374:                              ;   in Loop: Header=BB432_10 Depth=1
	v_clz_i32_u32_e32 v23, v20
	s_delay_alu instid0(VALU_DEP_1) | instskip(NEXT) | instid1(VALU_DEP_1)
	v_min_u32_e32 v23, 32, v23
	v_subrev_nc_u32_e32 v26, 28, v23
	v_sub_nc_u32_e32 v23, 29, v23
	s_delay_alu instid0(VALU_DEP_2) | instskip(NEXT) | instid1(VALU_DEP_1)
	v_lshlrev_b64 v[26:27], v26, v[20:21]
	v_and_b32_e32 v30, 7, v26
; %bb.375:                              ;   in Loop: Header=BB432_10 Depth=1
	s_or_b32 exec_lo, exec_lo, s22
	v_lshlrev_b32_e32 v1, 24, v1
	s_delay_alu instid0(VALU_DEP_2) | instskip(SKIP_1) | instid1(VALU_DEP_3)
	v_lshlrev_b32_e32 v20, 20, v30
	v_lshl_add_u32 v23, v23, 23, 0x3c000000
	v_and_b32_e32 v1, 0x80000000, v1
	s_delay_alu instid0(VALU_DEP_1)
	v_or3_b32 v20, v20, v1, v23
.LBB432_376:                            ;   in Loop: Header=BB432_10 Depth=1
	s_or_b32 exec_lo, exec_lo, s21
.LBB432_377:                            ;   in Loop: Header=BB432_10 Depth=1
	s_delay_alu instid0(SALU_CYCLE_1)
	s_or_b32 exec_lo, exec_lo, s20
.LBB432_378:                            ;   in Loop: Header=BB432_10 Depth=1
	s_delay_alu instid0(SALU_CYCLE_1) | instskip(NEXT) | instid1(VALU_DEP_1)
	s_or_b32 exec_lo, exec_lo, s4
	v_mul_f32_e32 v1, v171, v20
                                        ; implicit-def: $vgpr33
	s_delay_alu instid0(VALU_DEP_1) | instskip(NEXT) | instid1(VALU_DEP_1)
	v_and_b32_e32 v20, 0x7f800000, v1
	v_cmp_ne_u32_e64 s3, 0x7f800000, v20
	s_delay_alu instid0(VALU_DEP_1) | instskip(NEXT) | instid1(SALU_CYCLE_1)
	s_and_saveexec_b32 s4, s3
	s_xor_b32 s3, exec_lo, s4
; %bb.379:                              ;   in Loop: Header=BB432_10 Depth=1
	v_bfe_u32 v20, v1, 16, 1
	s_delay_alu instid0(VALU_DEP_1)
	v_add3_u32 v33, v1, v20, 0x7fff
                                        ; implicit-def: $vgpr1
; %bb.380:                              ;   in Loop: Header=BB432_10 Depth=1
	s_and_not1_saveexec_b32 s4, s3
; %bb.381:                              ;   in Loop: Header=BB432_10 Depth=1
	v_and_b32_e32 v20, 0xffff, v1
	v_or_b32_e32 v23, 0x10000, v1
	s_delay_alu instid0(VALU_DEP_2) | instskip(NEXT) | instid1(VALU_DEP_1)
	v_cmp_eq_u32_e64 s3, 0, v20
	v_cndmask_b32_e64 v33, v23, v1, s3
; %bb.382:                              ;   in Loop: Header=BB432_10 Depth=1
	s_or_b32 exec_lo, exec_lo, s4
	v_mov_b32_e32 v20, 0
	s_mov_b32 s4, exec_lo
	v_cmpx_lt_u32_e32 0xffffff, v0
	s_cbranch_execz .LBB432_390
; %bb.383:                              ;   in Loop: Header=BB432_10 Depth=1
	v_lshrrev_b32_e32 v1, 24, v0
	v_bfrev_b32_e32 v20, 1
	s_mov_b32 s20, exec_lo
	s_delay_alu instid0(VALU_DEP_2)
	v_cmpx_ne_u32_e32 0x80, v1
	s_cbranch_execz .LBB432_389
; %bb.384:                              ;   in Loop: Header=BB432_10 Depth=1
	v_bfe_u32 v23, v0, 24, 7
	v_mov_b32_e32 v20, 0x7f800001
	s_mov_b32 s21, exec_lo
	s_delay_alu instid0(VALU_DEP_2)
	v_cmpx_ne_u32_e32 0x7f, v23
	s_cbranch_execz .LBB432_388
; %bb.385:                              ;   in Loop: Header=BB432_10 Depth=1
	v_and_b32_e32 v20, 7, v1
	v_lshrrev_b32_e32 v0, 3, v23
	v_mov_b32_e32 v31, v21
	s_mov_b32 s22, exec_lo
	s_delay_alu instid0(VALU_DEP_3)
	v_mov_b32_e32 v30, v20
	v_cmpx_gt_u32_e32 8, v23
; %bb.386:                              ;   in Loop: Header=BB432_10 Depth=1
	v_clz_i32_u32_e32 v0, v20
	s_delay_alu instid0(VALU_DEP_1) | instskip(NEXT) | instid1(VALU_DEP_1)
	v_min_u32_e32 v0, 32, v0
	v_subrev_nc_u32_e32 v23, 28, v0
	v_sub_nc_u32_e32 v0, 29, v0
	s_delay_alu instid0(VALU_DEP_2) | instskip(NEXT) | instid1(VALU_DEP_1)
	v_lshlrev_b64 v[26:27], v23, v[20:21]
	v_and_b32_e32 v30, 7, v26
; %bb.387:                              ;   in Loop: Header=BB432_10 Depth=1
	s_or_b32 exec_lo, exec_lo, s22
	v_lshlrev_b32_e32 v1, 24, v1
	s_delay_alu instid0(VALU_DEP_2) | instskip(SKIP_1) | instid1(VALU_DEP_3)
	v_lshlrev_b32_e32 v20, 20, v30
	v_lshl_add_u32 v0, v0, 23, 0x3c000000
	v_and_b32_e32 v1, 0x80000000, v1
	s_delay_alu instid0(VALU_DEP_1)
	v_or3_b32 v20, v20, v1, v0
.LBB432_388:                            ;   in Loop: Header=BB432_10 Depth=1
	s_or_b32 exec_lo, exec_lo, s21
.LBB432_389:                            ;   in Loop: Header=BB432_10 Depth=1
	s_delay_alu instid0(SALU_CYCLE_1)
	s_or_b32 exec_lo, exec_lo, s20
.LBB432_390:                            ;   in Loop: Header=BB432_10 Depth=1
	s_delay_alu instid0(SALU_CYCLE_1) | instskip(NEXT) | instid1(VALU_DEP_1)
	s_or_b32 exec_lo, exec_lo, s4
	v_mul_f32_e32 v0, v171, v20
                                        ; implicit-def: $vgpr168
	s_delay_alu instid0(VALU_DEP_1) | instskip(NEXT) | instid1(VALU_DEP_1)
	v_and_b32_e32 v1, 0x7f800000, v0
	v_cmp_ne_u32_e64 s3, 0x7f800000, v1
	s_delay_alu instid0(VALU_DEP_1) | instskip(NEXT) | instid1(SALU_CYCLE_1)
	s_and_saveexec_b32 s4, s3
	s_xor_b32 s3, exec_lo, s4
; %bb.391:                              ;   in Loop: Header=BB432_10 Depth=1
	v_bfe_u32 v1, v0, 16, 1
	s_delay_alu instid0(VALU_DEP_1)
	v_add3_u32 v168, v0, v1, 0x7fff
                                        ; implicit-def: $vgpr0
; %bb.392:                              ;   in Loop: Header=BB432_10 Depth=1
	s_and_not1_saveexec_b32 s4, s3
; %bb.393:                              ;   in Loop: Header=BB432_10 Depth=1
	v_and_b32_e32 v1, 0xffff, v0
	v_or_b32_e32 v20, 0x10000, v0
	s_delay_alu instid0(VALU_DEP_2) | instskip(NEXT) | instid1(VALU_DEP_1)
	v_cmp_eq_u32_e64 s3, 0, v1
	v_cndmask_b32_e64 v168, v20, v0, s3
; %bb.394:                              ;   in Loop: Header=BB432_10 Depth=1
	s_or_b32 exec_lo, exec_lo, s4
	flat_load_b32 v23, v[28:29] offset:1024
	s_mov_b32 s4, exec_lo
	s_waitcnt vmcnt(0) lgkmcnt(0)
	v_dual_mov_b32 v0, 0 :: v_dual_and_b32 v1, 0xff, v23
	s_delay_alu instid0(VALU_DEP_1)
	v_cmpx_ne_u16_e32 0, v1
	s_cbranch_execz .LBB432_402
; %bb.395:                              ;   in Loop: Header=BB432_10 Depth=1
	v_bfrev_b32_e32 v0, 1
	s_mov_b32 s20, exec_lo
	v_cmpx_ne_u16_e32 0x80, v1
	s_cbranch_execz .LBB432_401
; %bb.396:                              ;   in Loop: Header=BB432_10 Depth=1
	v_and_b32_e32 v1, 0x7f, v23
	v_mov_b32_e32 v0, 0x7f800001
	s_mov_b32 s21, exec_lo
	s_delay_alu instid0(VALU_DEP_2)
	v_cmpx_ne_u32_e32 0x7f, v1
	s_cbranch_execz .LBB432_400
; %bb.397:                              ;   in Loop: Header=BB432_10 Depth=1
	v_and_b32_e32 v20, 7, v23
	v_lshrrev_b32_e32 v0, 3, v1
	v_mov_b32_e32 v31, v21
	s_mov_b32 s22, exec_lo
	s_delay_alu instid0(VALU_DEP_3)
	v_mov_b32_e32 v30, v20
	v_cmpx_gt_u32_e32 8, v1
; %bb.398:                              ;   in Loop: Header=BB432_10 Depth=1
	v_clz_i32_u32_e32 v0, v20
	s_delay_alu instid0(VALU_DEP_1) | instskip(NEXT) | instid1(VALU_DEP_1)
	v_min_u32_e32 v0, 32, v0
	v_subrev_nc_u32_e32 v1, 28, v0
	v_sub_nc_u32_e32 v0, 29, v0
	s_delay_alu instid0(VALU_DEP_2) | instskip(NEXT) | instid1(VALU_DEP_1)
	v_lshlrev_b64 v[26:27], v1, v[20:21]
	v_and_b32_e32 v30, 7, v26
; %bb.399:                              ;   in Loop: Header=BB432_10 Depth=1
	s_or_b32 exec_lo, exec_lo, s22
	v_lshlrev_b32_e32 v1, 24, v23
	s_delay_alu instid0(VALU_DEP_2) | instskip(SKIP_1) | instid1(VALU_DEP_3)
	v_lshlrev_b32_e32 v20, 20, v30
	v_lshl_add_u32 v0, v0, 23, 0x3c000000
	v_and_b32_e32 v1, 0x80000000, v1
	s_delay_alu instid0(VALU_DEP_1)
	v_or3_b32 v0, v20, v1, v0
.LBB432_400:                            ;   in Loop: Header=BB432_10 Depth=1
	s_or_b32 exec_lo, exec_lo, s21
.LBB432_401:                            ;   in Loop: Header=BB432_10 Depth=1
	s_delay_alu instid0(SALU_CYCLE_1)
	s_or_b32 exec_lo, exec_lo, s20
.LBB432_402:                            ;   in Loop: Header=BB432_10 Depth=1
	s_delay_alu instid0(SALU_CYCLE_1) | instskip(NEXT) | instid1(VALU_DEP_1)
	s_or_b32 exec_lo, exec_lo, s4
	v_mul_f32_e32 v0, v171, v0
	s_delay_alu instid0(VALU_DEP_1) | instskip(NEXT) | instid1(VALU_DEP_1)
	v_and_b32_e32 v1, 0x7f800000, v0
	v_cmp_ne_u32_e64 s3, 0x7f800000, v1
                                        ; implicit-def: $vgpr1
	s_delay_alu instid0(VALU_DEP_1) | instskip(NEXT) | instid1(SALU_CYCLE_1)
	s_and_saveexec_b32 s4, s3
	s_xor_b32 s3, exec_lo, s4
; %bb.403:                              ;   in Loop: Header=BB432_10 Depth=1
	v_bfe_u32 v1, v0, 16, 1
	s_delay_alu instid0(VALU_DEP_1)
	v_add3_u32 v1, v0, v1, 0x7fff
                                        ; implicit-def: $vgpr0
; %bb.404:                              ;   in Loop: Header=BB432_10 Depth=1
	s_and_not1_saveexec_b32 s4, s3
; %bb.405:                              ;   in Loop: Header=BB432_10 Depth=1
	v_and_b32_e32 v1, 0xffff, v0
	v_or_b32_e32 v20, 0x10000, v0
	s_delay_alu instid0(VALU_DEP_2) | instskip(NEXT) | instid1(VALU_DEP_1)
	v_cmp_eq_u32_e64 s3, 0, v1
	v_cndmask_b32_e64 v1, v20, v0, s3
; %bb.406:                              ;   in Loop: Header=BB432_10 Depth=1
	s_or_b32 exec_lo, exec_lo, s4
	v_lshrrev_b16 v20, 8, v23
	v_mov_b32_e32 v0, 0
	s_mov_b32 s4, exec_lo
	s_delay_alu instid0(VALU_DEP_2)
	v_cmpx_ne_u16_e32 0, v20
	s_cbranch_execz .LBB432_414
; %bb.407:                              ;   in Loop: Header=BB432_10 Depth=1
	v_bfrev_b32_e32 v0, 1
	s_mov_b32 s20, exec_lo
	v_cmpx_ne_u16_e32 0x80, v20
	s_cbranch_execz .LBB432_413
; %bb.408:                              ;   in Loop: Header=BB432_10 Depth=1
	v_and_b32_e32 v20, 0xffff, v20
	v_mov_b32_e32 v0, 0x7f800001
	s_mov_b32 s21, exec_lo
	s_delay_alu instid0(VALU_DEP_2) | instskip(NEXT) | instid1(VALU_DEP_1)
	v_and_b32_e32 v26, 0x7f, v20
	v_cmpx_ne_u32_e32 0x7f, v26
	s_cbranch_execz .LBB432_412
; %bb.409:                              ;   in Loop: Header=BB432_10 Depth=1
	v_and_b32_e32 v20, 7, v20
	v_lshrrev_b32_e32 v0, 3, v26
	v_mov_b32_e32 v31, v21
	s_mov_b32 s22, exec_lo
	s_delay_alu instid0(VALU_DEP_3)
	v_mov_b32_e32 v30, v20
	v_cmpx_gt_u32_e32 8, v26
; %bb.410:                              ;   in Loop: Header=BB432_10 Depth=1
	v_clz_i32_u32_e32 v0, v20
	s_delay_alu instid0(VALU_DEP_1) | instskip(NEXT) | instid1(VALU_DEP_1)
	v_min_u32_e32 v0, 32, v0
	v_subrev_nc_u32_e32 v26, 28, v0
	v_sub_nc_u32_e32 v0, 29, v0
	s_delay_alu instid0(VALU_DEP_2) | instskip(NEXT) | instid1(VALU_DEP_1)
	v_lshlrev_b64 v[26:27], v26, v[20:21]
	v_and_b32_e32 v30, 7, v26
; %bb.411:                              ;   in Loop: Header=BB432_10 Depth=1
	s_or_b32 exec_lo, exec_lo, s22
	v_lshlrev_b32_e32 v20, 16, v23
	s_delay_alu instid0(VALU_DEP_2) | instskip(SKIP_1) | instid1(VALU_DEP_3)
	v_lshlrev_b32_e32 v26, 20, v30
	v_lshl_add_u32 v0, v0, 23, 0x3c000000
	v_and_b32_e32 v20, 0x80000000, v20
	s_delay_alu instid0(VALU_DEP_1)
	v_or3_b32 v0, v26, v20, v0
.LBB432_412:                            ;   in Loop: Header=BB432_10 Depth=1
	s_or_b32 exec_lo, exec_lo, s21
.LBB432_413:                            ;   in Loop: Header=BB432_10 Depth=1
	s_delay_alu instid0(SALU_CYCLE_1)
	s_or_b32 exec_lo, exec_lo, s20
.LBB432_414:                            ;   in Loop: Header=BB432_10 Depth=1
	s_delay_alu instid0(SALU_CYCLE_1) | instskip(NEXT) | instid1(VALU_DEP_1)
	s_or_b32 exec_lo, exec_lo, s4
	v_mul_f32_e32 v20, v171, v0
	s_delay_alu instid0(VALU_DEP_1) | instskip(NEXT) | instid1(VALU_DEP_1)
	v_and_b32_e32 v0, 0x7f800000, v20
	v_cmp_ne_u32_e64 s3, 0x7f800000, v0
                                        ; implicit-def: $vgpr0
	s_delay_alu instid0(VALU_DEP_1) | instskip(NEXT) | instid1(SALU_CYCLE_1)
	s_and_saveexec_b32 s4, s3
	s_xor_b32 s3, exec_lo, s4
; %bb.415:                              ;   in Loop: Header=BB432_10 Depth=1
	v_bfe_u32 v0, v20, 16, 1
	s_delay_alu instid0(VALU_DEP_1)
	v_add3_u32 v0, v20, v0, 0x7fff
                                        ; implicit-def: $vgpr20
; %bb.416:                              ;   in Loop: Header=BB432_10 Depth=1
	s_and_not1_saveexec_b32 s4, s3
; %bb.417:                              ;   in Loop: Header=BB432_10 Depth=1
	v_and_b32_e32 v0, 0xffff, v20
	v_or_b32_e32 v26, 0x10000, v20
	s_delay_alu instid0(VALU_DEP_2) | instskip(NEXT) | instid1(VALU_DEP_1)
	v_cmp_eq_u32_e64 s3, 0, v0
	v_cndmask_b32_e64 v0, v26, v20, s3
; %bb.418:                              ;   in Loop: Header=BB432_10 Depth=1
	s_or_b32 exec_lo, exec_lo, s4
	v_lshrrev_b32_e32 v26, 16, v23
	s_mov_b32 s4, exec_lo
	s_delay_alu instid0(VALU_DEP_1) | instskip(NEXT) | instid1(VALU_DEP_1)
	v_dual_mov_b32 v20, 0 :: v_dual_and_b32 v27, 0xff, v26
	v_cmpx_ne_u16_e32 0, v27
	s_cbranch_execz .LBB432_426
; %bb.419:                              ;   in Loop: Header=BB432_10 Depth=1
	v_bfrev_b32_e32 v20, 1
	s_mov_b32 s20, exec_lo
	v_cmpx_ne_u16_e32 0x80, v27
	s_cbranch_execz .LBB432_425
; %bb.420:                              ;   in Loop: Header=BB432_10 Depth=1
	v_bfe_u32 v30, v23, 16, 7
	v_mov_b32_e32 v20, 0x7f800001
	s_mov_b32 s21, exec_lo
	s_delay_alu instid0(VALU_DEP_2)
	v_cmpx_ne_u32_e32 0x7f, v30
	s_cbranch_execz .LBB432_424
; %bb.421:                              ;   in Loop: Header=BB432_10 Depth=1
	v_and_b32_e32 v20, 7, v26
	v_lshrrev_b32_e32 v27, 3, v30
	v_cmp_gt_u32_e64 s3, 8, v30
	s_delay_alu instid0(VALU_DEP_3) | instskip(NEXT) | instid1(VALU_DEP_2)
	v_dual_mov_b32 v31, v21 :: v_dual_mov_b32 v30, v20
	s_and_saveexec_b32 s22, s3
; %bb.422:                              ;   in Loop: Header=BB432_10 Depth=1
	v_clz_i32_u32_e32 v27, v20
	s_delay_alu instid0(VALU_DEP_1) | instskip(NEXT) | instid1(VALU_DEP_1)
	v_min_u32_e32 v27, 32, v27
	v_subrev_nc_u32_e32 v30, 28, v27
	v_sub_nc_u32_e32 v27, 29, v27
	s_delay_alu instid0(VALU_DEP_2) | instskip(NEXT) | instid1(VALU_DEP_1)
	v_lshlrev_b64 v[30:31], v30, v[20:21]
	v_and_b32_e32 v30, 7, v30
; %bb.423:                              ;   in Loop: Header=BB432_10 Depth=1
	s_or_b32 exec_lo, exec_lo, s22
	v_lshlrev_b32_e32 v20, 24, v26
	s_delay_alu instid0(VALU_DEP_2) | instskip(SKIP_1) | instid1(VALU_DEP_3)
	v_lshlrev_b32_e32 v26, 20, v30
	v_lshl_add_u32 v27, v27, 23, 0x3c000000
	v_and_b32_e32 v20, 0x80000000, v20
	s_delay_alu instid0(VALU_DEP_1)
	v_or3_b32 v20, v26, v20, v27
.LBB432_424:                            ;   in Loop: Header=BB432_10 Depth=1
	s_or_b32 exec_lo, exec_lo, s21
.LBB432_425:                            ;   in Loop: Header=BB432_10 Depth=1
	s_delay_alu instid0(SALU_CYCLE_1)
	s_or_b32 exec_lo, exec_lo, s20
.LBB432_426:                            ;   in Loop: Header=BB432_10 Depth=1
	s_delay_alu instid0(SALU_CYCLE_1) | instskip(NEXT) | instid1(VALU_DEP_1)
	s_or_b32 exec_lo, exec_lo, s4
	v_mul_f32_e32 v20, v171, v20
                                        ; implicit-def: $vgpr57
	s_delay_alu instid0(VALU_DEP_1) | instskip(NEXT) | instid1(VALU_DEP_1)
	v_and_b32_e32 v26, 0x7f800000, v20
	v_cmp_ne_u32_e64 s3, 0x7f800000, v26
	s_delay_alu instid0(VALU_DEP_1) | instskip(NEXT) | instid1(SALU_CYCLE_1)
	s_and_saveexec_b32 s4, s3
	s_xor_b32 s3, exec_lo, s4
; %bb.427:                              ;   in Loop: Header=BB432_10 Depth=1
	v_bfe_u32 v26, v20, 16, 1
	s_delay_alu instid0(VALU_DEP_1)
	v_add3_u32 v57, v20, v26, 0x7fff
                                        ; implicit-def: $vgpr20
; %bb.428:                              ;   in Loop: Header=BB432_10 Depth=1
	s_and_not1_saveexec_b32 s4, s3
; %bb.429:                              ;   in Loop: Header=BB432_10 Depth=1
	v_and_b32_e32 v26, 0xffff, v20
	v_or_b32_e32 v27, 0x10000, v20
	s_delay_alu instid0(VALU_DEP_2) | instskip(NEXT) | instid1(VALU_DEP_1)
	v_cmp_eq_u32_e64 s3, 0, v26
	v_cndmask_b32_e64 v57, v27, v20, s3
; %bb.430:                              ;   in Loop: Header=BB432_10 Depth=1
	s_or_b32 exec_lo, exec_lo, s4
	v_mov_b32_e32 v20, 0
	s_mov_b32 s4, exec_lo
	v_cmpx_lt_u32_e32 0xffffff, v23
	s_cbranch_execz .LBB432_438
; %bb.431:                              ;   in Loop: Header=BB432_10 Depth=1
	v_lshrrev_b32_e32 v26, 24, v23
	v_bfrev_b32_e32 v20, 1
	s_mov_b32 s20, exec_lo
	s_delay_alu instid0(VALU_DEP_2)
	v_cmpx_ne_u32_e32 0x80, v26
	s_cbranch_execz .LBB432_437
; %bb.432:                              ;   in Loop: Header=BB432_10 Depth=1
	v_bfe_u32 v27, v23, 24, 7
	v_mov_b32_e32 v20, 0x7f800001
	s_mov_b32 s21, exec_lo
	s_delay_alu instid0(VALU_DEP_2)
	v_cmpx_ne_u32_e32 0x7f, v27
	s_cbranch_execz .LBB432_436
; %bb.433:                              ;   in Loop: Header=BB432_10 Depth=1
	v_and_b32_e32 v20, 7, v26
	v_lshrrev_b32_e32 v23, 3, v27
	v_mov_b32_e32 v31, v21
	s_mov_b32 s22, exec_lo
	s_delay_alu instid0(VALU_DEP_3)
	v_mov_b32_e32 v30, v20
	v_cmpx_gt_u32_e32 8, v27
; %bb.434:                              ;   in Loop: Header=BB432_10 Depth=1
	v_clz_i32_u32_e32 v23, v20
	s_delay_alu instid0(VALU_DEP_1) | instskip(NEXT) | instid1(VALU_DEP_1)
	v_min_u32_e32 v23, 32, v23
	v_subrev_nc_u32_e32 v27, 28, v23
	v_sub_nc_u32_e32 v23, 29, v23
	s_delay_alu instid0(VALU_DEP_2) | instskip(NEXT) | instid1(VALU_DEP_1)
	v_lshlrev_b64 v[30:31], v27, v[20:21]
	v_and_b32_e32 v30, 7, v30
; %bb.435:                              ;   in Loop: Header=BB432_10 Depth=1
	s_or_b32 exec_lo, exec_lo, s22
	v_lshlrev_b32_e32 v20, 24, v26
	s_delay_alu instid0(VALU_DEP_2) | instskip(SKIP_1) | instid1(VALU_DEP_3)
	v_lshlrev_b32_e32 v26, 20, v30
	v_lshl_add_u32 v23, v23, 23, 0x3c000000
	v_and_b32_e32 v20, 0x80000000, v20
	s_delay_alu instid0(VALU_DEP_1)
	v_or3_b32 v20, v26, v20, v23
.LBB432_436:                            ;   in Loop: Header=BB432_10 Depth=1
	s_or_b32 exec_lo, exec_lo, s21
.LBB432_437:                            ;   in Loop: Header=BB432_10 Depth=1
	s_delay_alu instid0(SALU_CYCLE_1)
	s_or_b32 exec_lo, exec_lo, s20
.LBB432_438:                            ;   in Loop: Header=BB432_10 Depth=1
	s_delay_alu instid0(SALU_CYCLE_1) | instskip(NEXT) | instid1(VALU_DEP_1)
	s_or_b32 exec_lo, exec_lo, s4
	v_mul_f32_e32 v20, v171, v20
	s_delay_alu instid0(VALU_DEP_1) | instskip(NEXT) | instid1(VALU_DEP_1)
	v_and_b32_e32 v23, 0x7f800000, v20
	v_cmp_ne_u32_e64 s3, 0x7f800000, v23
                                        ; implicit-def: $vgpr23
	s_delay_alu instid0(VALU_DEP_1) | instskip(NEXT) | instid1(SALU_CYCLE_1)
	s_and_saveexec_b32 s4, s3
	s_xor_b32 s3, exec_lo, s4
; %bb.439:                              ;   in Loop: Header=BB432_10 Depth=1
	v_bfe_u32 v23, v20, 16, 1
	s_delay_alu instid0(VALU_DEP_1)
	v_add3_u32 v23, v20, v23, 0x7fff
                                        ; implicit-def: $vgpr20
; %bb.440:                              ;   in Loop: Header=BB432_10 Depth=1
	s_and_not1_saveexec_b32 s4, s3
; %bb.441:                              ;   in Loop: Header=BB432_10 Depth=1
	v_and_b32_e32 v23, 0xffff, v20
	v_or_b32_e32 v26, 0x10000, v20
	s_delay_alu instid0(VALU_DEP_2) | instskip(NEXT) | instid1(VALU_DEP_1)
	v_cmp_eq_u32_e64 s3, 0, v23
	v_cndmask_b32_e64 v23, v26, v20, s3
; %bb.442:                              ;   in Loop: Header=BB432_10 Depth=1
	s_or_b32 exec_lo, exec_lo, s4
	flat_load_b32 v49, v[28:29] offset:1032
	v_mov_b32_e32 v20, 0
	s_mov_b32 s4, exec_lo
	s_waitcnt vmcnt(0) lgkmcnt(0)
	v_and_b32_e32 v26, 0xff, v49
	s_delay_alu instid0(VALU_DEP_1)
	v_cmpx_ne_u16_e32 0, v26
	s_cbranch_execz .LBB432_450
; %bb.443:                              ;   in Loop: Header=BB432_10 Depth=1
	v_bfrev_b32_e32 v20, 1
	s_mov_b32 s20, exec_lo
	v_cmpx_ne_u16_e32 0x80, v26
	s_cbranch_execz .LBB432_449
; %bb.444:                              ;   in Loop: Header=BB432_10 Depth=1
	v_and_b32_e32 v27, 0x7f, v49
	v_mov_b32_e32 v20, 0x7f800001
	s_mov_b32 s21, exec_lo
	s_delay_alu instid0(VALU_DEP_2)
	v_cmpx_ne_u32_e32 0x7f, v27
	s_cbranch_execz .LBB432_448
; %bb.445:                              ;   in Loop: Header=BB432_10 Depth=1
	v_and_b32_e32 v20, 7, v49
	v_lshrrev_b32_e32 v26, 3, v27
	v_mov_b32_e32 v31, v21
	s_mov_b32 s22, exec_lo
	s_delay_alu instid0(VALU_DEP_3)
	v_mov_b32_e32 v30, v20
	v_cmpx_gt_u32_e32 8, v27
; %bb.446:                              ;   in Loop: Header=BB432_10 Depth=1
	v_clz_i32_u32_e32 v26, v20
	s_delay_alu instid0(VALU_DEP_1) | instskip(NEXT) | instid1(VALU_DEP_1)
	v_min_u32_e32 v26, 32, v26
	v_subrev_nc_u32_e32 v27, 28, v26
	v_sub_nc_u32_e32 v26, 29, v26
	s_delay_alu instid0(VALU_DEP_2) | instskip(NEXT) | instid1(VALU_DEP_1)
	v_lshlrev_b64 v[30:31], v27, v[20:21]
	v_and_b32_e32 v30, 7, v30
; %bb.447:                              ;   in Loop: Header=BB432_10 Depth=1
	s_or_b32 exec_lo, exec_lo, s22
	v_lshlrev_b32_e32 v20, 24, v49
	s_delay_alu instid0(VALU_DEP_2) | instskip(SKIP_1) | instid1(VALU_DEP_3)
	v_lshlrev_b32_e32 v27, 20, v30
	v_lshl_add_u32 v26, v26, 23, 0x3c000000
	v_and_b32_e32 v20, 0x80000000, v20
	s_delay_alu instid0(VALU_DEP_1)
	v_or3_b32 v20, v27, v20, v26
.LBB432_448:                            ;   in Loop: Header=BB432_10 Depth=1
	s_or_b32 exec_lo, exec_lo, s21
.LBB432_449:                            ;   in Loop: Header=BB432_10 Depth=1
	s_delay_alu instid0(SALU_CYCLE_1)
	s_or_b32 exec_lo, exec_lo, s20
.LBB432_450:                            ;   in Loop: Header=BB432_10 Depth=1
	s_delay_alu instid0(SALU_CYCLE_1) | instskip(NEXT) | instid1(VALU_DEP_1)
	s_or_b32 exec_lo, exec_lo, s4
	v_mul_f32_e32 v20, v171, v20
                                        ; implicit-def: $vgpr27
	s_delay_alu instid0(VALU_DEP_1) | instskip(NEXT) | instid1(VALU_DEP_1)
	v_and_b32_e32 v26, 0x7f800000, v20
	v_cmp_ne_u32_e64 s3, 0x7f800000, v26
	s_delay_alu instid0(VALU_DEP_1) | instskip(NEXT) | instid1(SALU_CYCLE_1)
	s_and_saveexec_b32 s4, s3
	s_xor_b32 s3, exec_lo, s4
; %bb.451:                              ;   in Loop: Header=BB432_10 Depth=1
	v_bfe_u32 v26, v20, 16, 1
	s_delay_alu instid0(VALU_DEP_1)
	v_add3_u32 v27, v20, v26, 0x7fff
                                        ; implicit-def: $vgpr20
; %bb.452:                              ;   in Loop: Header=BB432_10 Depth=1
	s_and_not1_saveexec_b32 s4, s3
; %bb.453:                              ;   in Loop: Header=BB432_10 Depth=1
	v_and_b32_e32 v26, 0xffff, v20
	v_or_b32_e32 v27, 0x10000, v20
	s_delay_alu instid0(VALU_DEP_2) | instskip(NEXT) | instid1(VALU_DEP_1)
	v_cmp_eq_u32_e64 s3, 0, v26
	v_cndmask_b32_e64 v27, v27, v20, s3
; %bb.454:                              ;   in Loop: Header=BB432_10 Depth=1
	s_or_b32 exec_lo, exec_lo, s4
	v_lshrrev_b16 v26, 8, v49
	v_mov_b32_e32 v20, 0
	s_mov_b32 s4, exec_lo
	s_delay_alu instid0(VALU_DEP_2)
	v_cmpx_ne_u16_e32 0, v26
	s_cbranch_execz .LBB432_462
; %bb.455:                              ;   in Loop: Header=BB432_10 Depth=1
	v_bfrev_b32_e32 v20, 1
	s_mov_b32 s20, exec_lo
	v_cmpx_ne_u16_e32 0x80, v26
	s_cbranch_execz .LBB432_461
; %bb.456:                              ;   in Loop: Header=BB432_10 Depth=1
	v_and_b32_e32 v26, 0xffff, v26
	v_mov_b32_e32 v20, 0x7f800001
	s_mov_b32 s21, exec_lo
	s_delay_alu instid0(VALU_DEP_2) | instskip(NEXT) | instid1(VALU_DEP_1)
	v_and_b32_e32 v30, 0x7f, v26
	v_cmpx_ne_u32_e32 0x7f, v30
	s_cbranch_execz .LBB432_460
; %bb.457:                              ;   in Loop: Header=BB432_10 Depth=1
	v_and_b32_e32 v20, 7, v26
	v_lshrrev_b32_e32 v26, 3, v30
	v_cmp_gt_u32_e64 s3, 8, v30
	s_delay_alu instid0(VALU_DEP_3) | instskip(NEXT) | instid1(VALU_DEP_2)
	v_dual_mov_b32 v31, v21 :: v_dual_mov_b32 v30, v20
	s_and_saveexec_b32 s22, s3
; %bb.458:                              ;   in Loop: Header=BB432_10 Depth=1
	v_clz_i32_u32_e32 v26, v20
	s_delay_alu instid0(VALU_DEP_1) | instskip(NEXT) | instid1(VALU_DEP_1)
	v_min_u32_e32 v26, 32, v26
	v_subrev_nc_u32_e32 v30, 28, v26
	v_sub_nc_u32_e32 v26, 29, v26
	s_delay_alu instid0(VALU_DEP_2) | instskip(NEXT) | instid1(VALU_DEP_1)
	v_lshlrev_b64 v[30:31], v30, v[20:21]
	v_and_b32_e32 v30, 7, v30
; %bb.459:                              ;   in Loop: Header=BB432_10 Depth=1
	s_or_b32 exec_lo, exec_lo, s22
	v_lshlrev_b32_e32 v20, 16, v49
	s_delay_alu instid0(VALU_DEP_2) | instskip(SKIP_1) | instid1(VALU_DEP_3)
	v_lshlrev_b32_e32 v30, 20, v30
	v_lshl_add_u32 v26, v26, 23, 0x3c000000
	v_and_b32_e32 v20, 0x80000000, v20
	s_delay_alu instid0(VALU_DEP_1)
	v_or3_b32 v20, v30, v20, v26
.LBB432_460:                            ;   in Loop: Header=BB432_10 Depth=1
	s_or_b32 exec_lo, exec_lo, s21
.LBB432_461:                            ;   in Loop: Header=BB432_10 Depth=1
	s_delay_alu instid0(SALU_CYCLE_1)
	s_or_b32 exec_lo, exec_lo, s20
.LBB432_462:                            ;   in Loop: Header=BB432_10 Depth=1
	s_delay_alu instid0(SALU_CYCLE_1) | instskip(NEXT) | instid1(VALU_DEP_1)
	s_or_b32 exec_lo, exec_lo, s4
	v_mul_f32_e32 v20, v171, v20
	s_delay_alu instid0(VALU_DEP_1) | instskip(NEXT) | instid1(VALU_DEP_1)
	v_and_b32_e32 v26, 0x7f800000, v20
	v_cmp_ne_u32_e64 s3, 0x7f800000, v26
                                        ; implicit-def: $vgpr26
	s_delay_alu instid0(VALU_DEP_1) | instskip(NEXT) | instid1(SALU_CYCLE_1)
	s_and_saveexec_b32 s4, s3
	s_xor_b32 s3, exec_lo, s4
; %bb.463:                              ;   in Loop: Header=BB432_10 Depth=1
	v_bfe_u32 v26, v20, 16, 1
	s_delay_alu instid0(VALU_DEP_1)
	v_add3_u32 v26, v20, v26, 0x7fff
                                        ; implicit-def: $vgpr20
; %bb.464:                              ;   in Loop: Header=BB432_10 Depth=1
	s_and_not1_saveexec_b32 s4, s3
; %bb.465:                              ;   in Loop: Header=BB432_10 Depth=1
	v_and_b32_e32 v26, 0xffff, v20
	v_or_b32_e32 v30, 0x10000, v20
	s_delay_alu instid0(VALU_DEP_2) | instskip(NEXT) | instid1(VALU_DEP_1)
	v_cmp_eq_u32_e64 s3, 0, v26
	v_cndmask_b32_e64 v26, v30, v20, s3
; %bb.466:                              ;   in Loop: Header=BB432_10 Depth=1
	s_or_b32 exec_lo, exec_lo, s4
	v_lshrrev_b32_e32 v48, 16, v49
	v_mov_b32_e32 v20, 0
	s_mov_b32 s4, exec_lo
	s_delay_alu instid0(VALU_DEP_2) | instskip(NEXT) | instid1(VALU_DEP_1)
	v_and_b32_e32 v30, 0xff, v48
	v_cmpx_ne_u16_e32 0, v30
	s_cbranch_execz .LBB432_474
; %bb.467:                              ;   in Loop: Header=BB432_10 Depth=1
	v_bfrev_b32_e32 v20, 1
	s_mov_b32 s20, exec_lo
	v_cmpx_ne_u16_e32 0x80, v30
	s_cbranch_execz .LBB432_473
; %bb.468:                              ;   in Loop: Header=BB432_10 Depth=1
	v_bfe_u32 v30, v49, 16, 7
	v_mov_b32_e32 v20, 0x7f800001
	s_mov_b32 s21, exec_lo
	s_delay_alu instid0(VALU_DEP_2)
	v_cmpx_ne_u32_e32 0x7f, v30
	s_cbranch_execz .LBB432_472
; %bb.469:                              ;   in Loop: Header=BB432_10 Depth=1
	v_and_b32_e32 v20, 7, v48
	v_lshrrev_b32_e32 v50, 3, v30
	v_cmp_gt_u32_e64 s3, 8, v30
	s_delay_alu instid0(VALU_DEP_3) | instskip(NEXT) | instid1(VALU_DEP_2)
	v_dual_mov_b32 v31, v21 :: v_dual_mov_b32 v30, v20
	s_and_saveexec_b32 s22, s3
; %bb.470:                              ;   in Loop: Header=BB432_10 Depth=1
	v_clz_i32_u32_e32 v30, v20
	s_delay_alu instid0(VALU_DEP_1) | instskip(NEXT) | instid1(VALU_DEP_1)
	v_min_u32_e32 v50, 32, v30
	v_subrev_nc_u32_e32 v30, 28, v50
	v_sub_nc_u32_e32 v50, 29, v50
	s_delay_alu instid0(VALU_DEP_2) | instskip(NEXT) | instid1(VALU_DEP_1)
	v_lshlrev_b64 v[30:31], v30, v[20:21]
	v_and_b32_e32 v30, 7, v30
; %bb.471:                              ;   in Loop: Header=BB432_10 Depth=1
	s_or_b32 exec_lo, exec_lo, s22
	v_lshlrev_b32_e32 v20, 24, v48
	s_delay_alu instid0(VALU_DEP_2) | instskip(SKIP_1) | instid1(VALU_DEP_3)
	v_lshlrev_b32_e32 v30, 20, v30
	v_lshl_add_u32 v31, v50, 23, 0x3c000000
	v_and_b32_e32 v20, 0x80000000, v20
	s_delay_alu instid0(VALU_DEP_1)
	v_or3_b32 v20, v30, v20, v31
.LBB432_472:                            ;   in Loop: Header=BB432_10 Depth=1
	s_or_b32 exec_lo, exec_lo, s21
.LBB432_473:                            ;   in Loop: Header=BB432_10 Depth=1
	s_delay_alu instid0(SALU_CYCLE_1)
	s_or_b32 exec_lo, exec_lo, s20
.LBB432_474:                            ;   in Loop: Header=BB432_10 Depth=1
	s_delay_alu instid0(SALU_CYCLE_1) | instskip(NEXT) | instid1(VALU_DEP_1)
	s_or_b32 exec_lo, exec_lo, s4
	v_mul_f32_e32 v20, v171, v20
                                        ; implicit-def: $vgpr48
	s_delay_alu instid0(VALU_DEP_1) | instskip(NEXT) | instid1(VALU_DEP_1)
	v_and_b32_e32 v30, 0x7f800000, v20
	v_cmp_ne_u32_e64 s3, 0x7f800000, v30
	s_delay_alu instid0(VALU_DEP_1) | instskip(NEXT) | instid1(SALU_CYCLE_1)
	s_and_saveexec_b32 s4, s3
	s_xor_b32 s3, exec_lo, s4
; %bb.475:                              ;   in Loop: Header=BB432_10 Depth=1
	v_bfe_u32 v30, v20, 16, 1
	s_delay_alu instid0(VALU_DEP_1)
	v_add3_u32 v48, v20, v30, 0x7fff
                                        ; implicit-def: $vgpr20
; %bb.476:                              ;   in Loop: Header=BB432_10 Depth=1
	s_and_not1_saveexec_b32 s4, s3
; %bb.477:                              ;   in Loop: Header=BB432_10 Depth=1
	v_and_b32_e32 v30, 0xffff, v20
	v_or_b32_e32 v31, 0x10000, v20
	s_delay_alu instid0(VALU_DEP_2) | instskip(NEXT) | instid1(VALU_DEP_1)
	v_cmp_eq_u32_e64 s3, 0, v30
	v_cndmask_b32_e64 v48, v31, v20, s3
; %bb.478:                              ;   in Loop: Header=BB432_10 Depth=1
	s_or_b32 exec_lo, exec_lo, s4
	v_mov_b32_e32 v20, 0
	s_mov_b32 s4, exec_lo
	v_cmpx_lt_u32_e32 0xffffff, v49
	s_cbranch_execz .LBB432_486
; %bb.479:                              ;   in Loop: Header=BB432_10 Depth=1
	v_lshrrev_b32_e32 v50, 24, v49
	v_bfrev_b32_e32 v20, 1
	s_mov_b32 s20, exec_lo
	s_delay_alu instid0(VALU_DEP_2)
	v_cmpx_ne_u32_e32 0x80, v50
	s_cbranch_execz .LBB432_485
; %bb.480:                              ;   in Loop: Header=BB432_10 Depth=1
	v_bfe_u32 v30, v49, 24, 7
	v_mov_b32_e32 v20, 0x7f800001
	s_mov_b32 s21, exec_lo
	s_delay_alu instid0(VALU_DEP_2)
	v_cmpx_ne_u32_e32 0x7f, v30
	s_cbranch_execz .LBB432_484
; %bb.481:                              ;   in Loop: Header=BB432_10 Depth=1
	v_and_b32_e32 v20, 7, v50
	v_lshrrev_b32_e32 v49, 3, v30
	v_cmp_gt_u32_e64 s3, 8, v30
	s_delay_alu instid0(VALU_DEP_3) | instskip(NEXT) | instid1(VALU_DEP_2)
	v_dual_mov_b32 v31, v21 :: v_dual_mov_b32 v30, v20
	s_and_saveexec_b32 s22, s3
; %bb.482:                              ;   in Loop: Header=BB432_10 Depth=1
	v_clz_i32_u32_e32 v30, v20
	s_delay_alu instid0(VALU_DEP_1) | instskip(NEXT) | instid1(VALU_DEP_1)
	v_min_u32_e32 v49, 32, v30
	v_subrev_nc_u32_e32 v30, 28, v49
	v_sub_nc_u32_e32 v49, 29, v49
	s_delay_alu instid0(VALU_DEP_2) | instskip(NEXT) | instid1(VALU_DEP_1)
	v_lshlrev_b64 v[30:31], v30, v[20:21]
	v_and_b32_e32 v30, 7, v30
; %bb.483:                              ;   in Loop: Header=BB432_10 Depth=1
	s_or_b32 exec_lo, exec_lo, s22
	v_lshlrev_b32_e32 v20, 24, v50
	s_delay_alu instid0(VALU_DEP_2) | instskip(SKIP_1) | instid1(VALU_DEP_3)
	v_lshlrev_b32_e32 v30, 20, v30
	v_lshl_add_u32 v31, v49, 23, 0x3c000000
	v_and_b32_e32 v20, 0x80000000, v20
	s_delay_alu instid0(VALU_DEP_1)
	v_or3_b32 v20, v30, v20, v31
.LBB432_484:                            ;   in Loop: Header=BB432_10 Depth=1
	s_or_b32 exec_lo, exec_lo, s21
.LBB432_485:                            ;   in Loop: Header=BB432_10 Depth=1
	s_delay_alu instid0(SALU_CYCLE_1)
	s_or_b32 exec_lo, exec_lo, s20
.LBB432_486:                            ;   in Loop: Header=BB432_10 Depth=1
	s_delay_alu instid0(SALU_CYCLE_1) | instskip(NEXT) | instid1(VALU_DEP_1)
	s_or_b32 exec_lo, exec_lo, s4
	v_mul_f32_e32 v20, v171, v20
                                        ; implicit-def: $vgpr49
	s_delay_alu instid0(VALU_DEP_1) | instskip(NEXT) | instid1(VALU_DEP_1)
	v_and_b32_e32 v30, 0x7f800000, v20
	v_cmp_ne_u32_e64 s3, 0x7f800000, v30
	s_delay_alu instid0(VALU_DEP_1) | instskip(NEXT) | instid1(SALU_CYCLE_1)
	s_and_saveexec_b32 s4, s3
	s_xor_b32 s3, exec_lo, s4
; %bb.487:                              ;   in Loop: Header=BB432_10 Depth=1
	v_bfe_u32 v30, v20, 16, 1
	s_delay_alu instid0(VALU_DEP_1)
	v_add3_u32 v49, v20, v30, 0x7fff
                                        ; implicit-def: $vgpr20
; %bb.488:                              ;   in Loop: Header=BB432_10 Depth=1
	s_and_not1_saveexec_b32 s4, s3
; %bb.489:                              ;   in Loop: Header=BB432_10 Depth=1
	v_and_b32_e32 v30, 0xffff, v20
	v_or_b32_e32 v31, 0x10000, v20
	s_delay_alu instid0(VALU_DEP_2) | instskip(NEXT) | instid1(VALU_DEP_1)
	v_cmp_eq_u32_e64 s3, 0, v30
	v_cndmask_b32_e64 v49, v31, v20, s3
; %bb.490:                              ;   in Loop: Header=BB432_10 Depth=1
	s_or_b32 exec_lo, exec_lo, s4
	flat_load_b32 v64, v[28:29] offset:1280
	v_mov_b32_e32 v20, 0
	s_mov_b32 s4, exec_lo
	s_waitcnt vmcnt(0) lgkmcnt(0)
	v_and_b32_e32 v30, 0xff, v64
	s_delay_alu instid0(VALU_DEP_1)
	v_cmpx_ne_u16_e32 0, v30
	s_cbranch_execz .LBB432_498
; %bb.491:                              ;   in Loop: Header=BB432_10 Depth=1
	v_bfrev_b32_e32 v20, 1
	s_mov_b32 s20, exec_lo
	v_cmpx_ne_u16_e32 0x80, v30
	s_cbranch_execz .LBB432_497
; %bb.492:                              ;   in Loop: Header=BB432_10 Depth=1
	v_and_b32_e32 v30, 0x7f, v64
	v_mov_b32_e32 v20, 0x7f800001
	s_mov_b32 s21, exec_lo
	s_delay_alu instid0(VALU_DEP_2)
	v_cmpx_ne_u32_e32 0x7f, v30
	s_cbranch_execz .LBB432_496
; %bb.493:                              ;   in Loop: Header=BB432_10 Depth=1
	v_and_b32_e32 v20, 7, v64
	v_lshrrev_b32_e32 v50, 3, v30
	v_cmp_gt_u32_e64 s3, 8, v30
	s_delay_alu instid0(VALU_DEP_3) | instskip(NEXT) | instid1(VALU_DEP_2)
	v_dual_mov_b32 v31, v21 :: v_dual_mov_b32 v30, v20
	s_and_saveexec_b32 s22, s3
; %bb.494:                              ;   in Loop: Header=BB432_10 Depth=1
	v_clz_i32_u32_e32 v30, v20
	s_delay_alu instid0(VALU_DEP_1) | instskip(NEXT) | instid1(VALU_DEP_1)
	v_min_u32_e32 v50, 32, v30
	v_subrev_nc_u32_e32 v30, 28, v50
	v_sub_nc_u32_e32 v50, 29, v50
	s_delay_alu instid0(VALU_DEP_2) | instskip(NEXT) | instid1(VALU_DEP_1)
	v_lshlrev_b64 v[30:31], v30, v[20:21]
	v_and_b32_e32 v30, 7, v30
; %bb.495:                              ;   in Loop: Header=BB432_10 Depth=1
	s_or_b32 exec_lo, exec_lo, s22
	v_lshlrev_b32_e32 v20, 24, v64
	s_delay_alu instid0(VALU_DEP_2) | instskip(SKIP_1) | instid1(VALU_DEP_3)
	v_lshlrev_b32_e32 v30, 20, v30
	v_lshl_add_u32 v31, v50, 23, 0x3c000000
	v_and_b32_e32 v20, 0x80000000, v20
	s_delay_alu instid0(VALU_DEP_1)
	v_or3_b32 v20, v30, v20, v31
.LBB432_496:                            ;   in Loop: Header=BB432_10 Depth=1
	s_or_b32 exec_lo, exec_lo, s21
.LBB432_497:                            ;   in Loop: Header=BB432_10 Depth=1
	s_delay_alu instid0(SALU_CYCLE_1)
	s_or_b32 exec_lo, exec_lo, s20
.LBB432_498:                            ;   in Loop: Header=BB432_10 Depth=1
	s_delay_alu instid0(SALU_CYCLE_1) | instskip(NEXT) | instid1(VALU_DEP_1)
	s_or_b32 exec_lo, exec_lo, s4
	v_mul_f32_e32 v20, v171, v20
                                        ; implicit-def: $vgpr50
	s_delay_alu instid0(VALU_DEP_1) | instskip(NEXT) | instid1(VALU_DEP_1)
	v_and_b32_e32 v30, 0x7f800000, v20
	v_cmp_ne_u32_e64 s3, 0x7f800000, v30
	s_delay_alu instid0(VALU_DEP_1) | instskip(NEXT) | instid1(SALU_CYCLE_1)
	s_and_saveexec_b32 s4, s3
	s_xor_b32 s3, exec_lo, s4
; %bb.499:                              ;   in Loop: Header=BB432_10 Depth=1
	v_bfe_u32 v30, v20, 16, 1
	s_delay_alu instid0(VALU_DEP_1)
	v_add3_u32 v50, v20, v30, 0x7fff
                                        ; implicit-def: $vgpr20
; %bb.500:                              ;   in Loop: Header=BB432_10 Depth=1
	s_and_not1_saveexec_b32 s4, s3
; %bb.501:                              ;   in Loop: Header=BB432_10 Depth=1
	v_and_b32_e32 v30, 0xffff, v20
	v_or_b32_e32 v31, 0x10000, v20
	s_delay_alu instid0(VALU_DEP_2) | instskip(NEXT) | instid1(VALU_DEP_1)
	v_cmp_eq_u32_e64 s3, 0, v30
	v_cndmask_b32_e64 v50, v31, v20, s3
; %bb.502:                              ;   in Loop: Header=BB432_10 Depth=1
	s_or_b32 exec_lo, exec_lo, s4
	v_lshrrev_b16 v30, 8, v64
	v_mov_b32_e32 v20, 0
	s_mov_b32 s4, exec_lo
	s_delay_alu instid0(VALU_DEP_2)
	v_cmpx_ne_u16_e32 0, v30
	s_cbranch_execz .LBB432_510
; %bb.503:                              ;   in Loop: Header=BB432_10 Depth=1
	v_bfrev_b32_e32 v20, 1
	s_mov_b32 s20, exec_lo
	v_cmpx_ne_u16_e32 0x80, v30
	s_cbranch_execz .LBB432_509
; %bb.504:                              ;   in Loop: Header=BB432_10 Depth=1
	v_and_b32_e32 v31, 0xffff, v30
	v_mov_b32_e32 v20, 0x7f800001
	s_mov_b32 s21, exec_lo
	s_delay_alu instid0(VALU_DEP_2) | instskip(NEXT) | instid1(VALU_DEP_1)
	v_and_b32_e32 v30, 0x7f, v31
	v_cmpx_ne_u32_e32 0x7f, v30
	s_cbranch_execz .LBB432_508
; %bb.505:                              ;   in Loop: Header=BB432_10 Depth=1
	v_and_b32_e32 v20, 7, v31
	v_lshrrev_b32_e32 v51, 3, v30
	v_cmp_gt_u32_e64 s3, 8, v30
	s_delay_alu instid0(VALU_DEP_3) | instskip(NEXT) | instid1(VALU_DEP_2)
	v_dual_mov_b32 v31, v21 :: v_dual_mov_b32 v30, v20
	s_and_saveexec_b32 s22, s3
; %bb.506:                              ;   in Loop: Header=BB432_10 Depth=1
	v_clz_i32_u32_e32 v30, v20
	s_delay_alu instid0(VALU_DEP_1) | instskip(NEXT) | instid1(VALU_DEP_1)
	v_min_u32_e32 v51, 32, v30
	v_subrev_nc_u32_e32 v30, 28, v51
	v_sub_nc_u32_e32 v51, 29, v51
	s_delay_alu instid0(VALU_DEP_2) | instskip(NEXT) | instid1(VALU_DEP_1)
	v_lshlrev_b64 v[30:31], v30, v[20:21]
	v_and_b32_e32 v30, 7, v30
; %bb.507:                              ;   in Loop: Header=BB432_10 Depth=1
	s_or_b32 exec_lo, exec_lo, s22
	v_lshlrev_b32_e32 v20, 16, v64
	s_delay_alu instid0(VALU_DEP_2) | instskip(SKIP_1) | instid1(VALU_DEP_3)
	v_lshlrev_b32_e32 v30, 20, v30
	v_lshl_add_u32 v31, v51, 23, 0x3c000000
	v_and_b32_e32 v20, 0x80000000, v20
	s_delay_alu instid0(VALU_DEP_1)
	v_or3_b32 v20, v30, v20, v31
.LBB432_508:                            ;   in Loop: Header=BB432_10 Depth=1
	s_or_b32 exec_lo, exec_lo, s21
.LBB432_509:                            ;   in Loop: Header=BB432_10 Depth=1
	s_delay_alu instid0(SALU_CYCLE_1)
	s_or_b32 exec_lo, exec_lo, s20
.LBB432_510:                            ;   in Loop: Header=BB432_10 Depth=1
	s_delay_alu instid0(SALU_CYCLE_1) | instskip(NEXT) | instid1(VALU_DEP_1)
	s_or_b32 exec_lo, exec_lo, s4
	v_mul_f32_e32 v20, v171, v20
                                        ; implicit-def: $vgpr51
	s_delay_alu instid0(VALU_DEP_1) | instskip(NEXT) | instid1(VALU_DEP_1)
	v_and_b32_e32 v30, 0x7f800000, v20
	v_cmp_ne_u32_e64 s3, 0x7f800000, v30
	s_delay_alu instid0(VALU_DEP_1) | instskip(NEXT) | instid1(SALU_CYCLE_1)
	s_and_saveexec_b32 s4, s3
	s_xor_b32 s3, exec_lo, s4
; %bb.511:                              ;   in Loop: Header=BB432_10 Depth=1
	v_bfe_u32 v30, v20, 16, 1
	s_delay_alu instid0(VALU_DEP_1)
	v_add3_u32 v51, v20, v30, 0x7fff
                                        ; implicit-def: $vgpr20
; %bb.512:                              ;   in Loop: Header=BB432_10 Depth=1
	s_and_not1_saveexec_b32 s4, s3
; %bb.513:                              ;   in Loop: Header=BB432_10 Depth=1
	v_and_b32_e32 v30, 0xffff, v20
	v_or_b32_e32 v31, 0x10000, v20
	s_delay_alu instid0(VALU_DEP_2) | instskip(NEXT) | instid1(VALU_DEP_1)
	v_cmp_eq_u32_e64 s3, 0, v30
	v_cndmask_b32_e64 v51, v31, v20, s3
; %bb.514:                              ;   in Loop: Header=BB432_10 Depth=1
	s_or_b32 exec_lo, exec_lo, s4
	v_lshrrev_b32_e32 v52, 16, v64
	v_mov_b32_e32 v20, 0
	s_mov_b32 s4, exec_lo
	s_delay_alu instid0(VALU_DEP_2) | instskip(NEXT) | instid1(VALU_DEP_1)
	v_and_b32_e32 v30, 0xff, v52
	v_cmpx_ne_u16_e32 0, v30
	s_cbranch_execz .LBB432_522
; %bb.515:                              ;   in Loop: Header=BB432_10 Depth=1
	v_bfrev_b32_e32 v20, 1
	s_mov_b32 s20, exec_lo
	v_cmpx_ne_u16_e32 0x80, v30
	s_cbranch_execz .LBB432_521
; %bb.516:                              ;   in Loop: Header=BB432_10 Depth=1
	v_bfe_u32 v30, v64, 16, 7
	v_mov_b32_e32 v20, 0x7f800001
	s_mov_b32 s21, exec_lo
	s_delay_alu instid0(VALU_DEP_2)
	v_cmpx_ne_u32_e32 0x7f, v30
	s_cbranch_execz .LBB432_520
; %bb.517:                              ;   in Loop: Header=BB432_10 Depth=1
	v_and_b32_e32 v20, 7, v52
	v_lshrrev_b32_e32 v65, 3, v30
	v_cmp_gt_u32_e64 s3, 8, v30
	s_delay_alu instid0(VALU_DEP_3) | instskip(NEXT) | instid1(VALU_DEP_2)
	v_dual_mov_b32 v31, v21 :: v_dual_mov_b32 v30, v20
	s_and_saveexec_b32 s22, s3
; %bb.518:                              ;   in Loop: Header=BB432_10 Depth=1
	v_clz_i32_u32_e32 v30, v20
	s_delay_alu instid0(VALU_DEP_1) | instskip(NEXT) | instid1(VALU_DEP_1)
	v_min_u32_e32 v65, 32, v30
	v_subrev_nc_u32_e32 v30, 28, v65
	v_sub_nc_u32_e32 v65, 29, v65
	s_delay_alu instid0(VALU_DEP_2) | instskip(NEXT) | instid1(VALU_DEP_1)
	v_lshlrev_b64 v[30:31], v30, v[20:21]
	v_and_b32_e32 v30, 7, v30
; %bb.519:                              ;   in Loop: Header=BB432_10 Depth=1
	s_or_b32 exec_lo, exec_lo, s22
	v_lshlrev_b32_e32 v20, 24, v52
	s_delay_alu instid0(VALU_DEP_2) | instskip(SKIP_1) | instid1(VALU_DEP_3)
	v_lshlrev_b32_e32 v30, 20, v30
	v_lshl_add_u32 v31, v65, 23, 0x3c000000
	v_and_b32_e32 v20, 0x80000000, v20
	s_delay_alu instid0(VALU_DEP_1)
	v_or3_b32 v20, v30, v20, v31
.LBB432_520:                            ;   in Loop: Header=BB432_10 Depth=1
	s_or_b32 exec_lo, exec_lo, s21
.LBB432_521:                            ;   in Loop: Header=BB432_10 Depth=1
	s_delay_alu instid0(SALU_CYCLE_1)
	s_or_b32 exec_lo, exec_lo, s20
.LBB432_522:                            ;   in Loop: Header=BB432_10 Depth=1
	s_delay_alu instid0(SALU_CYCLE_1) | instskip(NEXT) | instid1(VALU_DEP_1)
	s_or_b32 exec_lo, exec_lo, s4
	v_mul_f32_e32 v20, v171, v20
                                        ; implicit-def: $vgpr52
	s_delay_alu instid0(VALU_DEP_1) | instskip(NEXT) | instid1(VALU_DEP_1)
	v_and_b32_e32 v30, 0x7f800000, v20
	v_cmp_ne_u32_e64 s3, 0x7f800000, v30
	s_delay_alu instid0(VALU_DEP_1) | instskip(NEXT) | instid1(SALU_CYCLE_1)
	s_and_saveexec_b32 s4, s3
	s_xor_b32 s3, exec_lo, s4
; %bb.523:                              ;   in Loop: Header=BB432_10 Depth=1
	v_bfe_u32 v30, v20, 16, 1
	s_delay_alu instid0(VALU_DEP_1)
	v_add3_u32 v52, v20, v30, 0x7fff
                                        ; implicit-def: $vgpr20
; %bb.524:                              ;   in Loop: Header=BB432_10 Depth=1
	s_and_not1_saveexec_b32 s4, s3
; %bb.525:                              ;   in Loop: Header=BB432_10 Depth=1
	v_and_b32_e32 v30, 0xffff, v20
	v_or_b32_e32 v31, 0x10000, v20
	s_delay_alu instid0(VALU_DEP_2) | instskip(NEXT) | instid1(VALU_DEP_1)
	v_cmp_eq_u32_e64 s3, 0, v30
	v_cndmask_b32_e64 v52, v31, v20, s3
; %bb.526:                              ;   in Loop: Header=BB432_10 Depth=1
	s_or_b32 exec_lo, exec_lo, s4
	v_mov_b32_e32 v20, 0
	s_mov_b32 s4, exec_lo
	v_cmpx_lt_u32_e32 0xffffff, v64
	s_cbranch_execz .LBB432_534
; %bb.527:                              ;   in Loop: Header=BB432_10 Depth=1
	v_lshrrev_b32_e32 v65, 24, v64
	v_bfrev_b32_e32 v20, 1
	s_mov_b32 s20, exec_lo
	s_delay_alu instid0(VALU_DEP_2)
	v_cmpx_ne_u32_e32 0x80, v65
	s_cbranch_execz .LBB432_533
; %bb.528:                              ;   in Loop: Header=BB432_10 Depth=1
	v_bfe_u32 v30, v64, 24, 7
	v_mov_b32_e32 v20, 0x7f800001
	s_mov_b32 s21, exec_lo
	s_delay_alu instid0(VALU_DEP_2)
	v_cmpx_ne_u32_e32 0x7f, v30
	s_cbranch_execz .LBB432_532
; %bb.529:                              ;   in Loop: Header=BB432_10 Depth=1
	v_and_b32_e32 v20, 7, v65
	v_lshrrev_b32_e32 v64, 3, v30
	v_cmp_gt_u32_e64 s3, 8, v30
	s_delay_alu instid0(VALU_DEP_3) | instskip(NEXT) | instid1(VALU_DEP_2)
	v_dual_mov_b32 v31, v21 :: v_dual_mov_b32 v30, v20
	s_and_saveexec_b32 s22, s3
; %bb.530:                              ;   in Loop: Header=BB432_10 Depth=1
	v_clz_i32_u32_e32 v30, v20
	s_delay_alu instid0(VALU_DEP_1) | instskip(NEXT) | instid1(VALU_DEP_1)
	v_min_u32_e32 v64, 32, v30
	v_subrev_nc_u32_e32 v30, 28, v64
	v_sub_nc_u32_e32 v64, 29, v64
	s_delay_alu instid0(VALU_DEP_2) | instskip(NEXT) | instid1(VALU_DEP_1)
	v_lshlrev_b64 v[30:31], v30, v[20:21]
	v_and_b32_e32 v30, 7, v30
; %bb.531:                              ;   in Loop: Header=BB432_10 Depth=1
	s_or_b32 exec_lo, exec_lo, s22
	v_lshlrev_b32_e32 v20, 24, v65
	s_delay_alu instid0(VALU_DEP_2) | instskip(SKIP_1) | instid1(VALU_DEP_3)
	v_lshlrev_b32_e32 v30, 20, v30
	v_lshl_add_u32 v31, v64, 23, 0x3c000000
	v_and_b32_e32 v20, 0x80000000, v20
	s_delay_alu instid0(VALU_DEP_1)
	v_or3_b32 v20, v30, v20, v31
.LBB432_532:                            ;   in Loop: Header=BB432_10 Depth=1
	s_or_b32 exec_lo, exec_lo, s21
.LBB432_533:                            ;   in Loop: Header=BB432_10 Depth=1
	s_delay_alu instid0(SALU_CYCLE_1)
	s_or_b32 exec_lo, exec_lo, s20
.LBB432_534:                            ;   in Loop: Header=BB432_10 Depth=1
	s_delay_alu instid0(SALU_CYCLE_1) | instskip(NEXT) | instid1(VALU_DEP_1)
	s_or_b32 exec_lo, exec_lo, s4
	v_mul_f32_e32 v20, v171, v20
                                        ; implicit-def: $vgpr64
	s_delay_alu instid0(VALU_DEP_1) | instskip(NEXT) | instid1(VALU_DEP_1)
	v_and_b32_e32 v30, 0x7f800000, v20
	v_cmp_ne_u32_e64 s3, 0x7f800000, v30
	s_delay_alu instid0(VALU_DEP_1) | instskip(NEXT) | instid1(SALU_CYCLE_1)
	s_and_saveexec_b32 s4, s3
	s_xor_b32 s3, exec_lo, s4
; %bb.535:                              ;   in Loop: Header=BB432_10 Depth=1
	v_bfe_u32 v30, v20, 16, 1
	s_delay_alu instid0(VALU_DEP_1)
	v_add3_u32 v64, v20, v30, 0x7fff
                                        ; implicit-def: $vgpr20
; %bb.536:                              ;   in Loop: Header=BB432_10 Depth=1
	s_and_not1_saveexec_b32 s4, s3
; %bb.537:                              ;   in Loop: Header=BB432_10 Depth=1
	v_and_b32_e32 v30, 0xffff, v20
	v_or_b32_e32 v31, 0x10000, v20
	s_delay_alu instid0(VALU_DEP_2) | instskip(NEXT) | instid1(VALU_DEP_1)
	v_cmp_eq_u32_e64 s3, 0, v30
	v_cndmask_b32_e64 v64, v31, v20, s3
; %bb.538:                              ;   in Loop: Header=BB432_10 Depth=1
	s_or_b32 exec_lo, exec_lo, s4
	flat_load_b32 v68, v[28:29] offset:1288
	v_mov_b32_e32 v20, 0
	s_mov_b32 s4, exec_lo
	s_waitcnt vmcnt(0) lgkmcnt(0)
	v_and_b32_e32 v30, 0xff, v68
	s_delay_alu instid0(VALU_DEP_1)
	v_cmpx_ne_u16_e32 0, v30
	s_cbranch_execz .LBB432_546
; %bb.539:                              ;   in Loop: Header=BB432_10 Depth=1
	v_bfrev_b32_e32 v20, 1
	s_mov_b32 s20, exec_lo
	v_cmpx_ne_u16_e32 0x80, v30
	s_cbranch_execz .LBB432_545
; %bb.540:                              ;   in Loop: Header=BB432_10 Depth=1
	v_and_b32_e32 v30, 0x7f, v68
	v_mov_b32_e32 v20, 0x7f800001
	s_mov_b32 s21, exec_lo
	s_delay_alu instid0(VALU_DEP_2)
	v_cmpx_ne_u32_e32 0x7f, v30
	s_cbranch_execz .LBB432_544
; %bb.541:                              ;   in Loop: Header=BB432_10 Depth=1
	v_and_b32_e32 v20, 7, v68
	v_lshrrev_b32_e32 v65, 3, v30
	v_cmp_gt_u32_e64 s3, 8, v30
	s_delay_alu instid0(VALU_DEP_3) | instskip(NEXT) | instid1(VALU_DEP_2)
	v_dual_mov_b32 v31, v21 :: v_dual_mov_b32 v30, v20
	s_and_saveexec_b32 s22, s3
; %bb.542:                              ;   in Loop: Header=BB432_10 Depth=1
	v_clz_i32_u32_e32 v30, v20
	s_delay_alu instid0(VALU_DEP_1) | instskip(NEXT) | instid1(VALU_DEP_1)
	v_min_u32_e32 v65, 32, v30
	v_subrev_nc_u32_e32 v30, 28, v65
	v_sub_nc_u32_e32 v65, 29, v65
	s_delay_alu instid0(VALU_DEP_2) | instskip(NEXT) | instid1(VALU_DEP_1)
	v_lshlrev_b64 v[30:31], v30, v[20:21]
	v_and_b32_e32 v30, 7, v30
; %bb.543:                              ;   in Loop: Header=BB432_10 Depth=1
	s_or_b32 exec_lo, exec_lo, s22
	v_lshlrev_b32_e32 v20, 24, v68
	s_delay_alu instid0(VALU_DEP_2) | instskip(SKIP_1) | instid1(VALU_DEP_3)
	v_lshlrev_b32_e32 v30, 20, v30
	v_lshl_add_u32 v31, v65, 23, 0x3c000000
	v_and_b32_e32 v20, 0x80000000, v20
	s_delay_alu instid0(VALU_DEP_1)
	v_or3_b32 v20, v30, v20, v31
.LBB432_544:                            ;   in Loop: Header=BB432_10 Depth=1
	s_or_b32 exec_lo, exec_lo, s21
.LBB432_545:                            ;   in Loop: Header=BB432_10 Depth=1
	s_delay_alu instid0(SALU_CYCLE_1)
	s_or_b32 exec_lo, exec_lo, s20
.LBB432_546:                            ;   in Loop: Header=BB432_10 Depth=1
	s_delay_alu instid0(SALU_CYCLE_1) | instskip(NEXT) | instid1(VALU_DEP_1)
	s_or_b32 exec_lo, exec_lo, s4
	v_mul_f32_e32 v20, v171, v20
                                        ; implicit-def: $vgpr65
	s_delay_alu instid0(VALU_DEP_1) | instskip(NEXT) | instid1(VALU_DEP_1)
	v_and_b32_e32 v30, 0x7f800000, v20
	v_cmp_ne_u32_e64 s3, 0x7f800000, v30
	s_delay_alu instid0(VALU_DEP_1) | instskip(NEXT) | instid1(SALU_CYCLE_1)
	s_and_saveexec_b32 s4, s3
	s_xor_b32 s3, exec_lo, s4
; %bb.547:                              ;   in Loop: Header=BB432_10 Depth=1
	v_bfe_u32 v30, v20, 16, 1
	s_delay_alu instid0(VALU_DEP_1)
	v_add3_u32 v65, v20, v30, 0x7fff
                                        ; implicit-def: $vgpr20
; %bb.548:                              ;   in Loop: Header=BB432_10 Depth=1
	s_and_not1_saveexec_b32 s4, s3
; %bb.549:                              ;   in Loop: Header=BB432_10 Depth=1
	v_and_b32_e32 v30, 0xffff, v20
	v_or_b32_e32 v31, 0x10000, v20
	s_delay_alu instid0(VALU_DEP_2) | instskip(NEXT) | instid1(VALU_DEP_1)
	v_cmp_eq_u32_e64 s3, 0, v30
	v_cndmask_b32_e64 v65, v31, v20, s3
; %bb.550:                              ;   in Loop: Header=BB432_10 Depth=1
	s_or_b32 exec_lo, exec_lo, s4
	v_lshrrev_b16 v30, 8, v68
	v_mov_b32_e32 v20, 0
	s_mov_b32 s4, exec_lo
	s_delay_alu instid0(VALU_DEP_2)
	v_cmpx_ne_u16_e32 0, v30
	s_cbranch_execz .LBB432_558
; %bb.551:                              ;   in Loop: Header=BB432_10 Depth=1
	v_bfrev_b32_e32 v20, 1
	s_mov_b32 s20, exec_lo
	v_cmpx_ne_u16_e32 0x80, v30
	s_cbranch_execz .LBB432_557
; %bb.552:                              ;   in Loop: Header=BB432_10 Depth=1
	v_and_b32_e32 v31, 0xffff, v30
	v_mov_b32_e32 v20, 0x7f800001
	s_mov_b32 s21, exec_lo
	s_delay_alu instid0(VALU_DEP_2) | instskip(NEXT) | instid1(VALU_DEP_1)
	v_and_b32_e32 v30, 0x7f, v31
	v_cmpx_ne_u32_e32 0x7f, v30
	s_cbranch_execz .LBB432_556
; %bb.553:                              ;   in Loop: Header=BB432_10 Depth=1
	v_and_b32_e32 v20, 7, v31
	v_lshrrev_b32_e32 v66, 3, v30
	v_cmp_gt_u32_e64 s3, 8, v30
	s_delay_alu instid0(VALU_DEP_3) | instskip(NEXT) | instid1(VALU_DEP_2)
	v_dual_mov_b32 v31, v21 :: v_dual_mov_b32 v30, v20
	s_and_saveexec_b32 s22, s3
; %bb.554:                              ;   in Loop: Header=BB432_10 Depth=1
	v_clz_i32_u32_e32 v30, v20
	s_delay_alu instid0(VALU_DEP_1) | instskip(NEXT) | instid1(VALU_DEP_1)
	v_min_u32_e32 v66, 32, v30
	v_subrev_nc_u32_e32 v30, 28, v66
	v_sub_nc_u32_e32 v66, 29, v66
	s_delay_alu instid0(VALU_DEP_2) | instskip(NEXT) | instid1(VALU_DEP_1)
	v_lshlrev_b64 v[30:31], v30, v[20:21]
	v_and_b32_e32 v30, 7, v30
; %bb.555:                              ;   in Loop: Header=BB432_10 Depth=1
	s_or_b32 exec_lo, exec_lo, s22
	v_lshlrev_b32_e32 v20, 16, v68
	s_delay_alu instid0(VALU_DEP_2) | instskip(SKIP_1) | instid1(VALU_DEP_3)
	v_lshlrev_b32_e32 v30, 20, v30
	v_lshl_add_u32 v31, v66, 23, 0x3c000000
	v_and_b32_e32 v20, 0x80000000, v20
	s_delay_alu instid0(VALU_DEP_1)
	v_or3_b32 v20, v30, v20, v31
.LBB432_556:                            ;   in Loop: Header=BB432_10 Depth=1
	s_or_b32 exec_lo, exec_lo, s21
.LBB432_557:                            ;   in Loop: Header=BB432_10 Depth=1
	s_delay_alu instid0(SALU_CYCLE_1)
	s_or_b32 exec_lo, exec_lo, s20
.LBB432_558:                            ;   in Loop: Header=BB432_10 Depth=1
	s_delay_alu instid0(SALU_CYCLE_1) | instskip(NEXT) | instid1(VALU_DEP_1)
	s_or_b32 exec_lo, exec_lo, s4
	v_mul_f32_e32 v20, v171, v20
                                        ; implicit-def: $vgpr66
	s_delay_alu instid0(VALU_DEP_1) | instskip(NEXT) | instid1(VALU_DEP_1)
	v_and_b32_e32 v30, 0x7f800000, v20
	v_cmp_ne_u32_e64 s3, 0x7f800000, v30
	s_delay_alu instid0(VALU_DEP_1) | instskip(NEXT) | instid1(SALU_CYCLE_1)
	s_and_saveexec_b32 s4, s3
	s_xor_b32 s3, exec_lo, s4
; %bb.559:                              ;   in Loop: Header=BB432_10 Depth=1
	v_bfe_u32 v30, v20, 16, 1
	s_delay_alu instid0(VALU_DEP_1)
	v_add3_u32 v66, v20, v30, 0x7fff
                                        ; implicit-def: $vgpr20
; %bb.560:                              ;   in Loop: Header=BB432_10 Depth=1
	s_and_not1_saveexec_b32 s4, s3
; %bb.561:                              ;   in Loop: Header=BB432_10 Depth=1
	v_and_b32_e32 v30, 0xffff, v20
	v_or_b32_e32 v31, 0x10000, v20
	s_delay_alu instid0(VALU_DEP_2) | instskip(NEXT) | instid1(VALU_DEP_1)
	v_cmp_eq_u32_e64 s3, 0, v30
	v_cndmask_b32_e64 v66, v31, v20, s3
; %bb.562:                              ;   in Loop: Header=BB432_10 Depth=1
	s_or_b32 exec_lo, exec_lo, s4
	v_lshrrev_b32_e32 v67, 16, v68
	v_mov_b32_e32 v20, 0
	s_mov_b32 s4, exec_lo
	s_delay_alu instid0(VALU_DEP_2) | instskip(NEXT) | instid1(VALU_DEP_1)
	v_and_b32_e32 v30, 0xff, v67
	v_cmpx_ne_u16_e32 0, v30
	s_cbranch_execz .LBB432_570
; %bb.563:                              ;   in Loop: Header=BB432_10 Depth=1
	v_bfrev_b32_e32 v20, 1
	s_mov_b32 s20, exec_lo
	v_cmpx_ne_u16_e32 0x80, v30
	s_cbranch_execz .LBB432_569
; %bb.564:                              ;   in Loop: Header=BB432_10 Depth=1
	v_bfe_u32 v30, v68, 16, 7
	v_mov_b32_e32 v20, 0x7f800001
	s_mov_b32 s21, exec_lo
	s_delay_alu instid0(VALU_DEP_2)
	v_cmpx_ne_u32_e32 0x7f, v30
	s_cbranch_execz .LBB432_568
; %bb.565:                              ;   in Loop: Header=BB432_10 Depth=1
	v_and_b32_e32 v20, 7, v67
	v_lshrrev_b32_e32 v69, 3, v30
	v_cmp_gt_u32_e64 s3, 8, v30
	s_delay_alu instid0(VALU_DEP_3) | instskip(NEXT) | instid1(VALU_DEP_2)
	v_dual_mov_b32 v31, v21 :: v_dual_mov_b32 v30, v20
	s_and_saveexec_b32 s22, s3
; %bb.566:                              ;   in Loop: Header=BB432_10 Depth=1
	v_clz_i32_u32_e32 v30, v20
	s_delay_alu instid0(VALU_DEP_1) | instskip(NEXT) | instid1(VALU_DEP_1)
	v_min_u32_e32 v69, 32, v30
	v_subrev_nc_u32_e32 v30, 28, v69
	v_sub_nc_u32_e32 v69, 29, v69
	s_delay_alu instid0(VALU_DEP_2) | instskip(NEXT) | instid1(VALU_DEP_1)
	v_lshlrev_b64 v[30:31], v30, v[20:21]
	v_and_b32_e32 v30, 7, v30
; %bb.567:                              ;   in Loop: Header=BB432_10 Depth=1
	s_or_b32 exec_lo, exec_lo, s22
	v_lshlrev_b32_e32 v20, 24, v67
	s_delay_alu instid0(VALU_DEP_2) | instskip(SKIP_1) | instid1(VALU_DEP_3)
	v_lshlrev_b32_e32 v30, 20, v30
	v_lshl_add_u32 v31, v69, 23, 0x3c000000
	v_and_b32_e32 v20, 0x80000000, v20
	s_delay_alu instid0(VALU_DEP_1)
	v_or3_b32 v20, v30, v20, v31
.LBB432_568:                            ;   in Loop: Header=BB432_10 Depth=1
	s_or_b32 exec_lo, exec_lo, s21
.LBB432_569:                            ;   in Loop: Header=BB432_10 Depth=1
	s_delay_alu instid0(SALU_CYCLE_1)
	s_or_b32 exec_lo, exec_lo, s20
.LBB432_570:                            ;   in Loop: Header=BB432_10 Depth=1
	s_delay_alu instid0(SALU_CYCLE_1) | instskip(NEXT) | instid1(VALU_DEP_1)
	s_or_b32 exec_lo, exec_lo, s4
	v_mul_f32_e32 v20, v171, v20
                                        ; implicit-def: $vgpr67
	s_delay_alu instid0(VALU_DEP_1) | instskip(NEXT) | instid1(VALU_DEP_1)
	v_and_b32_e32 v30, 0x7f800000, v20
	v_cmp_ne_u32_e64 s3, 0x7f800000, v30
	s_delay_alu instid0(VALU_DEP_1) | instskip(NEXT) | instid1(SALU_CYCLE_1)
	s_and_saveexec_b32 s4, s3
	s_xor_b32 s3, exec_lo, s4
; %bb.571:                              ;   in Loop: Header=BB432_10 Depth=1
	v_bfe_u32 v30, v20, 16, 1
	s_delay_alu instid0(VALU_DEP_1)
	v_add3_u32 v67, v20, v30, 0x7fff
                                        ; implicit-def: $vgpr20
; %bb.572:                              ;   in Loop: Header=BB432_10 Depth=1
	s_and_not1_saveexec_b32 s4, s3
; %bb.573:                              ;   in Loop: Header=BB432_10 Depth=1
	v_and_b32_e32 v30, 0xffff, v20
	v_or_b32_e32 v31, 0x10000, v20
	s_delay_alu instid0(VALU_DEP_2) | instskip(NEXT) | instid1(VALU_DEP_1)
	v_cmp_eq_u32_e64 s3, 0, v30
	v_cndmask_b32_e64 v67, v31, v20, s3
; %bb.574:                              ;   in Loop: Header=BB432_10 Depth=1
	s_or_b32 exec_lo, exec_lo, s4
	v_mov_b32_e32 v20, 0
	s_mov_b32 s4, exec_lo
	v_cmpx_lt_u32_e32 0xffffff, v68
	s_cbranch_execz .LBB432_582
; %bb.575:                              ;   in Loop: Header=BB432_10 Depth=1
	v_lshrrev_b32_e32 v69, 24, v68
	v_bfrev_b32_e32 v20, 1
	s_mov_b32 s20, exec_lo
	s_delay_alu instid0(VALU_DEP_2)
	v_cmpx_ne_u32_e32 0x80, v69
	s_cbranch_execz .LBB432_581
; %bb.576:                              ;   in Loop: Header=BB432_10 Depth=1
	v_bfe_u32 v30, v68, 24, 7
	v_mov_b32_e32 v20, 0x7f800001
	s_mov_b32 s21, exec_lo
	s_delay_alu instid0(VALU_DEP_2)
	v_cmpx_ne_u32_e32 0x7f, v30
	s_cbranch_execz .LBB432_580
; %bb.577:                              ;   in Loop: Header=BB432_10 Depth=1
	v_and_b32_e32 v20, 7, v69
	v_lshrrev_b32_e32 v68, 3, v30
	v_cmp_gt_u32_e64 s3, 8, v30
	s_delay_alu instid0(VALU_DEP_3) | instskip(NEXT) | instid1(VALU_DEP_2)
	v_dual_mov_b32 v31, v21 :: v_dual_mov_b32 v30, v20
	s_and_saveexec_b32 s22, s3
; %bb.578:                              ;   in Loop: Header=BB432_10 Depth=1
	v_clz_i32_u32_e32 v30, v20
	s_delay_alu instid0(VALU_DEP_1) | instskip(NEXT) | instid1(VALU_DEP_1)
	v_min_u32_e32 v68, 32, v30
	v_subrev_nc_u32_e32 v30, 28, v68
	v_sub_nc_u32_e32 v68, 29, v68
	s_delay_alu instid0(VALU_DEP_2) | instskip(NEXT) | instid1(VALU_DEP_1)
	v_lshlrev_b64 v[30:31], v30, v[20:21]
	v_and_b32_e32 v30, 7, v30
; %bb.579:                              ;   in Loop: Header=BB432_10 Depth=1
	s_or_b32 exec_lo, exec_lo, s22
	v_lshlrev_b32_e32 v20, 24, v69
	s_delay_alu instid0(VALU_DEP_2) | instskip(SKIP_1) | instid1(VALU_DEP_3)
	v_lshlrev_b32_e32 v30, 20, v30
	v_lshl_add_u32 v31, v68, 23, 0x3c000000
	v_and_b32_e32 v20, 0x80000000, v20
	s_delay_alu instid0(VALU_DEP_1)
	v_or3_b32 v20, v30, v20, v31
.LBB432_580:                            ;   in Loop: Header=BB432_10 Depth=1
	s_or_b32 exec_lo, exec_lo, s21
.LBB432_581:                            ;   in Loop: Header=BB432_10 Depth=1
	s_delay_alu instid0(SALU_CYCLE_1)
	s_or_b32 exec_lo, exec_lo, s20
.LBB432_582:                            ;   in Loop: Header=BB432_10 Depth=1
	s_delay_alu instid0(SALU_CYCLE_1) | instskip(NEXT) | instid1(VALU_DEP_1)
	s_or_b32 exec_lo, exec_lo, s4
	v_mul_f32_e32 v20, v171, v20
                                        ; implicit-def: $vgpr68
	s_delay_alu instid0(VALU_DEP_1) | instskip(NEXT) | instid1(VALU_DEP_1)
	v_and_b32_e32 v30, 0x7f800000, v20
	v_cmp_ne_u32_e64 s3, 0x7f800000, v30
	s_delay_alu instid0(VALU_DEP_1) | instskip(NEXT) | instid1(SALU_CYCLE_1)
	s_and_saveexec_b32 s4, s3
	s_xor_b32 s3, exec_lo, s4
; %bb.583:                              ;   in Loop: Header=BB432_10 Depth=1
	v_bfe_u32 v30, v20, 16, 1
	s_delay_alu instid0(VALU_DEP_1)
	v_add3_u32 v68, v20, v30, 0x7fff
                                        ; implicit-def: $vgpr20
; %bb.584:                              ;   in Loop: Header=BB432_10 Depth=1
	s_and_not1_saveexec_b32 s4, s3
; %bb.585:                              ;   in Loop: Header=BB432_10 Depth=1
	v_and_b32_e32 v30, 0xffff, v20
	v_or_b32_e32 v31, 0x10000, v20
	s_delay_alu instid0(VALU_DEP_2) | instskip(NEXT) | instid1(VALU_DEP_1)
	v_cmp_eq_u32_e64 s3, 0, v30
	v_cndmask_b32_e64 v68, v31, v20, s3
; %bb.586:                              ;   in Loop: Header=BB432_10 Depth=1
	s_or_b32 exec_lo, exec_lo, s4
	flat_load_b32 v80, v[28:29] offset:1536
	v_mov_b32_e32 v20, 0
	s_mov_b32 s4, exec_lo
	s_waitcnt vmcnt(0) lgkmcnt(0)
	v_and_b32_e32 v30, 0xff, v80
	s_delay_alu instid0(VALU_DEP_1)
	v_cmpx_ne_u16_e32 0, v30
	s_cbranch_execz .LBB432_594
; %bb.587:                              ;   in Loop: Header=BB432_10 Depth=1
	v_bfrev_b32_e32 v20, 1
	s_mov_b32 s20, exec_lo
	v_cmpx_ne_u16_e32 0x80, v30
	s_cbranch_execz .LBB432_593
; %bb.588:                              ;   in Loop: Header=BB432_10 Depth=1
	v_and_b32_e32 v30, 0x7f, v80
	v_mov_b32_e32 v20, 0x7f800001
	s_mov_b32 s21, exec_lo
	s_delay_alu instid0(VALU_DEP_2)
	v_cmpx_ne_u32_e32 0x7f, v30
	s_cbranch_execz .LBB432_592
; %bb.589:                              ;   in Loop: Header=BB432_10 Depth=1
	v_and_b32_e32 v20, 7, v80
	v_lshrrev_b32_e32 v69, 3, v30
	v_cmp_gt_u32_e64 s3, 8, v30
	s_delay_alu instid0(VALU_DEP_3) | instskip(NEXT) | instid1(VALU_DEP_2)
	v_dual_mov_b32 v31, v21 :: v_dual_mov_b32 v30, v20
	s_and_saveexec_b32 s22, s3
; %bb.590:                              ;   in Loop: Header=BB432_10 Depth=1
	v_clz_i32_u32_e32 v30, v20
	s_delay_alu instid0(VALU_DEP_1) | instskip(NEXT) | instid1(VALU_DEP_1)
	v_min_u32_e32 v69, 32, v30
	v_subrev_nc_u32_e32 v30, 28, v69
	v_sub_nc_u32_e32 v69, 29, v69
	s_delay_alu instid0(VALU_DEP_2) | instskip(NEXT) | instid1(VALU_DEP_1)
	v_lshlrev_b64 v[30:31], v30, v[20:21]
	v_and_b32_e32 v30, 7, v30
; %bb.591:                              ;   in Loop: Header=BB432_10 Depth=1
	s_or_b32 exec_lo, exec_lo, s22
	v_lshlrev_b32_e32 v20, 24, v80
	s_delay_alu instid0(VALU_DEP_2) | instskip(SKIP_1) | instid1(VALU_DEP_3)
	v_lshlrev_b32_e32 v30, 20, v30
	v_lshl_add_u32 v31, v69, 23, 0x3c000000
	v_and_b32_e32 v20, 0x80000000, v20
	s_delay_alu instid0(VALU_DEP_1)
	v_or3_b32 v20, v30, v20, v31
.LBB432_592:                            ;   in Loop: Header=BB432_10 Depth=1
	s_or_b32 exec_lo, exec_lo, s21
.LBB432_593:                            ;   in Loop: Header=BB432_10 Depth=1
	s_delay_alu instid0(SALU_CYCLE_1)
	s_or_b32 exec_lo, exec_lo, s20
.LBB432_594:                            ;   in Loop: Header=BB432_10 Depth=1
	s_delay_alu instid0(SALU_CYCLE_1) | instskip(NEXT) | instid1(VALU_DEP_1)
	s_or_b32 exec_lo, exec_lo, s4
	v_mul_f32_e32 v20, v171, v20
                                        ; implicit-def: $vgpr69
	s_delay_alu instid0(VALU_DEP_1) | instskip(NEXT) | instid1(VALU_DEP_1)
	v_and_b32_e32 v30, 0x7f800000, v20
	v_cmp_ne_u32_e64 s3, 0x7f800000, v30
	s_delay_alu instid0(VALU_DEP_1) | instskip(NEXT) | instid1(SALU_CYCLE_1)
	s_and_saveexec_b32 s4, s3
	s_xor_b32 s3, exec_lo, s4
; %bb.595:                              ;   in Loop: Header=BB432_10 Depth=1
	v_bfe_u32 v30, v20, 16, 1
	s_delay_alu instid0(VALU_DEP_1)
	v_add3_u32 v69, v20, v30, 0x7fff
                                        ; implicit-def: $vgpr20
; %bb.596:                              ;   in Loop: Header=BB432_10 Depth=1
	s_and_not1_saveexec_b32 s4, s3
; %bb.597:                              ;   in Loop: Header=BB432_10 Depth=1
	v_and_b32_e32 v30, 0xffff, v20
	v_or_b32_e32 v31, 0x10000, v20
	s_delay_alu instid0(VALU_DEP_2) | instskip(NEXT) | instid1(VALU_DEP_1)
	v_cmp_eq_u32_e64 s3, 0, v30
	v_cndmask_b32_e64 v69, v31, v20, s3
; %bb.598:                              ;   in Loop: Header=BB432_10 Depth=1
	s_or_b32 exec_lo, exec_lo, s4
	v_lshrrev_b16 v30, 8, v80
	v_mov_b32_e32 v20, 0
	s_mov_b32 s4, exec_lo
	s_delay_alu instid0(VALU_DEP_2)
	v_cmpx_ne_u16_e32 0, v30
	s_cbranch_execz .LBB432_606
; %bb.599:                              ;   in Loop: Header=BB432_10 Depth=1
	v_bfrev_b32_e32 v20, 1
	s_mov_b32 s20, exec_lo
	v_cmpx_ne_u16_e32 0x80, v30
	s_cbranch_execz .LBB432_605
; %bb.600:                              ;   in Loop: Header=BB432_10 Depth=1
	v_and_b32_e32 v31, 0xffff, v30
	v_mov_b32_e32 v20, 0x7f800001
	s_mov_b32 s21, exec_lo
	s_delay_alu instid0(VALU_DEP_2) | instskip(NEXT) | instid1(VALU_DEP_1)
	v_and_b32_e32 v30, 0x7f, v31
	v_cmpx_ne_u32_e32 0x7f, v30
	s_cbranch_execz .LBB432_604
; %bb.601:                              ;   in Loop: Header=BB432_10 Depth=1
	v_and_b32_e32 v20, 7, v31
	v_lshrrev_b32_e32 v70, 3, v30
	v_cmp_gt_u32_e64 s3, 8, v30
	s_delay_alu instid0(VALU_DEP_3) | instskip(NEXT) | instid1(VALU_DEP_2)
	v_dual_mov_b32 v31, v21 :: v_dual_mov_b32 v30, v20
	s_and_saveexec_b32 s22, s3
; %bb.602:                              ;   in Loop: Header=BB432_10 Depth=1
	v_clz_i32_u32_e32 v30, v20
	s_delay_alu instid0(VALU_DEP_1) | instskip(NEXT) | instid1(VALU_DEP_1)
	v_min_u32_e32 v70, 32, v30
	v_subrev_nc_u32_e32 v30, 28, v70
	v_sub_nc_u32_e32 v70, 29, v70
	s_delay_alu instid0(VALU_DEP_2) | instskip(NEXT) | instid1(VALU_DEP_1)
	v_lshlrev_b64 v[30:31], v30, v[20:21]
	v_and_b32_e32 v30, 7, v30
; %bb.603:                              ;   in Loop: Header=BB432_10 Depth=1
	s_or_b32 exec_lo, exec_lo, s22
	v_lshlrev_b32_e32 v20, 16, v80
	s_delay_alu instid0(VALU_DEP_2) | instskip(SKIP_1) | instid1(VALU_DEP_3)
	v_lshlrev_b32_e32 v30, 20, v30
	v_lshl_add_u32 v31, v70, 23, 0x3c000000
	v_and_b32_e32 v20, 0x80000000, v20
	s_delay_alu instid0(VALU_DEP_1)
	v_or3_b32 v20, v30, v20, v31
.LBB432_604:                            ;   in Loop: Header=BB432_10 Depth=1
	s_or_b32 exec_lo, exec_lo, s21
.LBB432_605:                            ;   in Loop: Header=BB432_10 Depth=1
	s_delay_alu instid0(SALU_CYCLE_1)
	s_or_b32 exec_lo, exec_lo, s20
.LBB432_606:                            ;   in Loop: Header=BB432_10 Depth=1
	s_delay_alu instid0(SALU_CYCLE_1) | instskip(NEXT) | instid1(VALU_DEP_1)
	s_or_b32 exec_lo, exec_lo, s4
	v_mul_f32_e32 v20, v171, v20
                                        ; implicit-def: $vgpr70
	s_delay_alu instid0(VALU_DEP_1) | instskip(NEXT) | instid1(VALU_DEP_1)
	v_and_b32_e32 v30, 0x7f800000, v20
	v_cmp_ne_u32_e64 s3, 0x7f800000, v30
	s_delay_alu instid0(VALU_DEP_1) | instskip(NEXT) | instid1(SALU_CYCLE_1)
	s_and_saveexec_b32 s4, s3
	s_xor_b32 s3, exec_lo, s4
; %bb.607:                              ;   in Loop: Header=BB432_10 Depth=1
	v_bfe_u32 v30, v20, 16, 1
	s_delay_alu instid0(VALU_DEP_1)
	v_add3_u32 v70, v20, v30, 0x7fff
                                        ; implicit-def: $vgpr20
; %bb.608:                              ;   in Loop: Header=BB432_10 Depth=1
	s_and_not1_saveexec_b32 s4, s3
; %bb.609:                              ;   in Loop: Header=BB432_10 Depth=1
	v_and_b32_e32 v30, 0xffff, v20
	v_or_b32_e32 v31, 0x10000, v20
	s_delay_alu instid0(VALU_DEP_2) | instskip(NEXT) | instid1(VALU_DEP_1)
	v_cmp_eq_u32_e64 s3, 0, v30
	v_cndmask_b32_e64 v70, v31, v20, s3
; %bb.610:                              ;   in Loop: Header=BB432_10 Depth=1
	s_or_b32 exec_lo, exec_lo, s4
	v_lshrrev_b32_e32 v71, 16, v80
	v_mov_b32_e32 v20, 0
	s_mov_b32 s4, exec_lo
	s_delay_alu instid0(VALU_DEP_2) | instskip(NEXT) | instid1(VALU_DEP_1)
	v_and_b32_e32 v30, 0xff, v71
	v_cmpx_ne_u16_e32 0, v30
	s_cbranch_execz .LBB432_618
; %bb.611:                              ;   in Loop: Header=BB432_10 Depth=1
	v_bfrev_b32_e32 v20, 1
	s_mov_b32 s20, exec_lo
	v_cmpx_ne_u16_e32 0x80, v30
	s_cbranch_execz .LBB432_617
; %bb.612:                              ;   in Loop: Header=BB432_10 Depth=1
	v_bfe_u32 v30, v80, 16, 7
	v_mov_b32_e32 v20, 0x7f800001
	s_mov_b32 s21, exec_lo
	s_delay_alu instid0(VALU_DEP_2)
	v_cmpx_ne_u32_e32 0x7f, v30
	s_cbranch_execz .LBB432_616
; %bb.613:                              ;   in Loop: Header=BB432_10 Depth=1
	v_and_b32_e32 v20, 7, v71
	v_lshrrev_b32_e32 v81, 3, v30
	v_cmp_gt_u32_e64 s3, 8, v30
	s_delay_alu instid0(VALU_DEP_3) | instskip(NEXT) | instid1(VALU_DEP_2)
	v_dual_mov_b32 v31, v21 :: v_dual_mov_b32 v30, v20
	s_and_saveexec_b32 s22, s3
; %bb.614:                              ;   in Loop: Header=BB432_10 Depth=1
	v_clz_i32_u32_e32 v30, v20
	s_delay_alu instid0(VALU_DEP_1) | instskip(NEXT) | instid1(VALU_DEP_1)
	v_min_u32_e32 v81, 32, v30
	v_subrev_nc_u32_e32 v30, 28, v81
	v_sub_nc_u32_e32 v81, 29, v81
	s_delay_alu instid0(VALU_DEP_2) | instskip(NEXT) | instid1(VALU_DEP_1)
	v_lshlrev_b64 v[30:31], v30, v[20:21]
	v_and_b32_e32 v30, 7, v30
; %bb.615:                              ;   in Loop: Header=BB432_10 Depth=1
	s_or_b32 exec_lo, exec_lo, s22
	v_lshlrev_b32_e32 v20, 24, v71
	s_delay_alu instid0(VALU_DEP_2) | instskip(SKIP_1) | instid1(VALU_DEP_3)
	v_lshlrev_b32_e32 v30, 20, v30
	v_lshl_add_u32 v31, v81, 23, 0x3c000000
	v_and_b32_e32 v20, 0x80000000, v20
	s_delay_alu instid0(VALU_DEP_1)
	v_or3_b32 v20, v30, v20, v31
.LBB432_616:                            ;   in Loop: Header=BB432_10 Depth=1
	s_or_b32 exec_lo, exec_lo, s21
.LBB432_617:                            ;   in Loop: Header=BB432_10 Depth=1
	s_delay_alu instid0(SALU_CYCLE_1)
	s_or_b32 exec_lo, exec_lo, s20
.LBB432_618:                            ;   in Loop: Header=BB432_10 Depth=1
	s_delay_alu instid0(SALU_CYCLE_1) | instskip(NEXT) | instid1(VALU_DEP_1)
	s_or_b32 exec_lo, exec_lo, s4
	v_mul_f32_e32 v20, v171, v20
                                        ; implicit-def: $vgpr71
	s_delay_alu instid0(VALU_DEP_1) | instskip(NEXT) | instid1(VALU_DEP_1)
	v_and_b32_e32 v30, 0x7f800000, v20
	v_cmp_ne_u32_e64 s3, 0x7f800000, v30
	s_delay_alu instid0(VALU_DEP_1) | instskip(NEXT) | instid1(SALU_CYCLE_1)
	s_and_saveexec_b32 s4, s3
	s_xor_b32 s3, exec_lo, s4
; %bb.619:                              ;   in Loop: Header=BB432_10 Depth=1
	v_bfe_u32 v30, v20, 16, 1
	s_delay_alu instid0(VALU_DEP_1)
	v_add3_u32 v71, v20, v30, 0x7fff
                                        ; implicit-def: $vgpr20
; %bb.620:                              ;   in Loop: Header=BB432_10 Depth=1
	s_and_not1_saveexec_b32 s4, s3
; %bb.621:                              ;   in Loop: Header=BB432_10 Depth=1
	v_and_b32_e32 v30, 0xffff, v20
	v_or_b32_e32 v31, 0x10000, v20
	s_delay_alu instid0(VALU_DEP_2) | instskip(NEXT) | instid1(VALU_DEP_1)
	v_cmp_eq_u32_e64 s3, 0, v30
	v_cndmask_b32_e64 v71, v31, v20, s3
; %bb.622:                              ;   in Loop: Header=BB432_10 Depth=1
	s_or_b32 exec_lo, exec_lo, s4
	v_mov_b32_e32 v20, 0
	s_mov_b32 s4, exec_lo
	v_cmpx_lt_u32_e32 0xffffff, v80
	s_cbranch_execz .LBB432_630
; %bb.623:                              ;   in Loop: Header=BB432_10 Depth=1
	v_lshrrev_b32_e32 v81, 24, v80
	v_bfrev_b32_e32 v20, 1
	s_mov_b32 s20, exec_lo
	s_delay_alu instid0(VALU_DEP_2)
	v_cmpx_ne_u32_e32 0x80, v81
	s_cbranch_execz .LBB432_629
; %bb.624:                              ;   in Loop: Header=BB432_10 Depth=1
	v_bfe_u32 v30, v80, 24, 7
	v_mov_b32_e32 v20, 0x7f800001
	s_mov_b32 s21, exec_lo
	s_delay_alu instid0(VALU_DEP_2)
	v_cmpx_ne_u32_e32 0x7f, v30
	s_cbranch_execz .LBB432_628
; %bb.625:                              ;   in Loop: Header=BB432_10 Depth=1
	v_and_b32_e32 v20, 7, v81
	v_lshrrev_b32_e32 v80, 3, v30
	v_cmp_gt_u32_e64 s3, 8, v30
	s_delay_alu instid0(VALU_DEP_3) | instskip(NEXT) | instid1(VALU_DEP_2)
	v_dual_mov_b32 v31, v21 :: v_dual_mov_b32 v30, v20
	s_and_saveexec_b32 s22, s3
; %bb.626:                              ;   in Loop: Header=BB432_10 Depth=1
	v_clz_i32_u32_e32 v30, v20
	s_delay_alu instid0(VALU_DEP_1) | instskip(NEXT) | instid1(VALU_DEP_1)
	v_min_u32_e32 v80, 32, v30
	v_subrev_nc_u32_e32 v30, 28, v80
	v_sub_nc_u32_e32 v80, 29, v80
	s_delay_alu instid0(VALU_DEP_2) | instskip(NEXT) | instid1(VALU_DEP_1)
	v_lshlrev_b64 v[30:31], v30, v[20:21]
	v_and_b32_e32 v30, 7, v30
; %bb.627:                              ;   in Loop: Header=BB432_10 Depth=1
	s_or_b32 exec_lo, exec_lo, s22
	v_lshlrev_b32_e32 v20, 24, v81
	s_delay_alu instid0(VALU_DEP_2) | instskip(SKIP_1) | instid1(VALU_DEP_3)
	v_lshlrev_b32_e32 v30, 20, v30
	v_lshl_add_u32 v31, v80, 23, 0x3c000000
	v_and_b32_e32 v20, 0x80000000, v20
	s_delay_alu instid0(VALU_DEP_1)
	v_or3_b32 v20, v30, v20, v31
.LBB432_628:                            ;   in Loop: Header=BB432_10 Depth=1
	s_or_b32 exec_lo, exec_lo, s21
.LBB432_629:                            ;   in Loop: Header=BB432_10 Depth=1
	s_delay_alu instid0(SALU_CYCLE_1)
	s_or_b32 exec_lo, exec_lo, s20
.LBB432_630:                            ;   in Loop: Header=BB432_10 Depth=1
	s_delay_alu instid0(SALU_CYCLE_1) | instskip(NEXT) | instid1(VALU_DEP_1)
	s_or_b32 exec_lo, exec_lo, s4
	v_mul_f32_e32 v20, v171, v20
                                        ; implicit-def: $vgpr80
	s_delay_alu instid0(VALU_DEP_1) | instskip(NEXT) | instid1(VALU_DEP_1)
	v_and_b32_e32 v30, 0x7f800000, v20
	v_cmp_ne_u32_e64 s3, 0x7f800000, v30
	s_delay_alu instid0(VALU_DEP_1) | instskip(NEXT) | instid1(SALU_CYCLE_1)
	s_and_saveexec_b32 s4, s3
	s_xor_b32 s3, exec_lo, s4
; %bb.631:                              ;   in Loop: Header=BB432_10 Depth=1
	v_bfe_u32 v30, v20, 16, 1
	s_delay_alu instid0(VALU_DEP_1)
	v_add3_u32 v80, v20, v30, 0x7fff
                                        ; implicit-def: $vgpr20
; %bb.632:                              ;   in Loop: Header=BB432_10 Depth=1
	s_and_not1_saveexec_b32 s4, s3
; %bb.633:                              ;   in Loop: Header=BB432_10 Depth=1
	v_and_b32_e32 v30, 0xffff, v20
	v_or_b32_e32 v31, 0x10000, v20
	s_delay_alu instid0(VALU_DEP_2) | instskip(NEXT) | instid1(VALU_DEP_1)
	v_cmp_eq_u32_e64 s3, 0, v30
	v_cndmask_b32_e64 v80, v31, v20, s3
; %bb.634:                              ;   in Loop: Header=BB432_10 Depth=1
	s_or_b32 exec_lo, exec_lo, s4
	flat_load_b32 v84, v[28:29] offset:1544
	v_mov_b32_e32 v20, 0
	s_mov_b32 s4, exec_lo
	s_waitcnt vmcnt(0) lgkmcnt(0)
	v_and_b32_e32 v30, 0xff, v84
	s_delay_alu instid0(VALU_DEP_1)
	v_cmpx_ne_u16_e32 0, v30
	s_cbranch_execz .LBB432_642
; %bb.635:                              ;   in Loop: Header=BB432_10 Depth=1
	v_bfrev_b32_e32 v20, 1
	s_mov_b32 s20, exec_lo
	v_cmpx_ne_u16_e32 0x80, v30
	s_cbranch_execz .LBB432_641
; %bb.636:                              ;   in Loop: Header=BB432_10 Depth=1
	v_and_b32_e32 v30, 0x7f, v84
	v_mov_b32_e32 v20, 0x7f800001
	s_mov_b32 s21, exec_lo
	s_delay_alu instid0(VALU_DEP_2)
	v_cmpx_ne_u32_e32 0x7f, v30
	s_cbranch_execz .LBB432_640
; %bb.637:                              ;   in Loop: Header=BB432_10 Depth=1
	v_and_b32_e32 v20, 7, v84
	v_lshrrev_b32_e32 v81, 3, v30
	v_cmp_gt_u32_e64 s3, 8, v30
	s_delay_alu instid0(VALU_DEP_3) | instskip(NEXT) | instid1(VALU_DEP_2)
	v_dual_mov_b32 v31, v21 :: v_dual_mov_b32 v30, v20
	s_and_saveexec_b32 s22, s3
; %bb.638:                              ;   in Loop: Header=BB432_10 Depth=1
	v_clz_i32_u32_e32 v30, v20
	s_delay_alu instid0(VALU_DEP_1) | instskip(NEXT) | instid1(VALU_DEP_1)
	v_min_u32_e32 v81, 32, v30
	v_subrev_nc_u32_e32 v30, 28, v81
	v_sub_nc_u32_e32 v81, 29, v81
	s_delay_alu instid0(VALU_DEP_2) | instskip(NEXT) | instid1(VALU_DEP_1)
	v_lshlrev_b64 v[30:31], v30, v[20:21]
	v_and_b32_e32 v30, 7, v30
; %bb.639:                              ;   in Loop: Header=BB432_10 Depth=1
	s_or_b32 exec_lo, exec_lo, s22
	v_lshlrev_b32_e32 v20, 24, v84
	s_delay_alu instid0(VALU_DEP_2) | instskip(SKIP_1) | instid1(VALU_DEP_3)
	v_lshlrev_b32_e32 v30, 20, v30
	v_lshl_add_u32 v31, v81, 23, 0x3c000000
	v_and_b32_e32 v20, 0x80000000, v20
	s_delay_alu instid0(VALU_DEP_1)
	v_or3_b32 v20, v30, v20, v31
.LBB432_640:                            ;   in Loop: Header=BB432_10 Depth=1
	s_or_b32 exec_lo, exec_lo, s21
.LBB432_641:                            ;   in Loop: Header=BB432_10 Depth=1
	s_delay_alu instid0(SALU_CYCLE_1)
	s_or_b32 exec_lo, exec_lo, s20
.LBB432_642:                            ;   in Loop: Header=BB432_10 Depth=1
	s_delay_alu instid0(SALU_CYCLE_1) | instskip(NEXT) | instid1(VALU_DEP_1)
	s_or_b32 exec_lo, exec_lo, s4
	v_mul_f32_e32 v20, v171, v20
                                        ; implicit-def: $vgpr81
	s_delay_alu instid0(VALU_DEP_1) | instskip(NEXT) | instid1(VALU_DEP_1)
	v_and_b32_e32 v30, 0x7f800000, v20
	v_cmp_ne_u32_e64 s3, 0x7f800000, v30
	s_delay_alu instid0(VALU_DEP_1) | instskip(NEXT) | instid1(SALU_CYCLE_1)
	s_and_saveexec_b32 s4, s3
	s_xor_b32 s3, exec_lo, s4
; %bb.643:                              ;   in Loop: Header=BB432_10 Depth=1
	v_bfe_u32 v30, v20, 16, 1
	s_delay_alu instid0(VALU_DEP_1)
	v_add3_u32 v81, v20, v30, 0x7fff
                                        ; implicit-def: $vgpr20
; %bb.644:                              ;   in Loop: Header=BB432_10 Depth=1
	s_and_not1_saveexec_b32 s4, s3
; %bb.645:                              ;   in Loop: Header=BB432_10 Depth=1
	v_and_b32_e32 v30, 0xffff, v20
	v_or_b32_e32 v31, 0x10000, v20
	s_delay_alu instid0(VALU_DEP_2) | instskip(NEXT) | instid1(VALU_DEP_1)
	v_cmp_eq_u32_e64 s3, 0, v30
	v_cndmask_b32_e64 v81, v31, v20, s3
; %bb.646:                              ;   in Loop: Header=BB432_10 Depth=1
	s_or_b32 exec_lo, exec_lo, s4
	v_lshrrev_b16 v30, 8, v84
	v_mov_b32_e32 v20, 0
	s_mov_b32 s4, exec_lo
	s_delay_alu instid0(VALU_DEP_2)
	v_cmpx_ne_u16_e32 0, v30
	s_cbranch_execz .LBB432_654
; %bb.647:                              ;   in Loop: Header=BB432_10 Depth=1
	v_bfrev_b32_e32 v20, 1
	s_mov_b32 s20, exec_lo
	v_cmpx_ne_u16_e32 0x80, v30
	s_cbranch_execz .LBB432_653
; %bb.648:                              ;   in Loop: Header=BB432_10 Depth=1
	v_and_b32_e32 v31, 0xffff, v30
	v_mov_b32_e32 v20, 0x7f800001
	s_mov_b32 s21, exec_lo
	s_delay_alu instid0(VALU_DEP_2) | instskip(NEXT) | instid1(VALU_DEP_1)
	v_and_b32_e32 v30, 0x7f, v31
	v_cmpx_ne_u32_e32 0x7f, v30
	s_cbranch_execz .LBB432_652
; %bb.649:                              ;   in Loop: Header=BB432_10 Depth=1
	v_and_b32_e32 v20, 7, v31
	v_lshrrev_b32_e32 v82, 3, v30
	v_cmp_gt_u32_e64 s3, 8, v30
	s_delay_alu instid0(VALU_DEP_3) | instskip(NEXT) | instid1(VALU_DEP_2)
	v_dual_mov_b32 v31, v21 :: v_dual_mov_b32 v30, v20
	s_and_saveexec_b32 s22, s3
; %bb.650:                              ;   in Loop: Header=BB432_10 Depth=1
	v_clz_i32_u32_e32 v30, v20
	s_delay_alu instid0(VALU_DEP_1) | instskip(NEXT) | instid1(VALU_DEP_1)
	v_min_u32_e32 v82, 32, v30
	v_subrev_nc_u32_e32 v30, 28, v82
	v_sub_nc_u32_e32 v82, 29, v82
	s_delay_alu instid0(VALU_DEP_2) | instskip(NEXT) | instid1(VALU_DEP_1)
	v_lshlrev_b64 v[30:31], v30, v[20:21]
	v_and_b32_e32 v30, 7, v30
; %bb.651:                              ;   in Loop: Header=BB432_10 Depth=1
	s_or_b32 exec_lo, exec_lo, s22
	v_lshlrev_b32_e32 v20, 16, v84
	s_delay_alu instid0(VALU_DEP_2) | instskip(SKIP_1) | instid1(VALU_DEP_3)
	v_lshlrev_b32_e32 v30, 20, v30
	v_lshl_add_u32 v31, v82, 23, 0x3c000000
	v_and_b32_e32 v20, 0x80000000, v20
	s_delay_alu instid0(VALU_DEP_1)
	v_or3_b32 v20, v30, v20, v31
.LBB432_652:                            ;   in Loop: Header=BB432_10 Depth=1
	s_or_b32 exec_lo, exec_lo, s21
.LBB432_653:                            ;   in Loop: Header=BB432_10 Depth=1
	s_delay_alu instid0(SALU_CYCLE_1)
	s_or_b32 exec_lo, exec_lo, s20
.LBB432_654:                            ;   in Loop: Header=BB432_10 Depth=1
	s_delay_alu instid0(SALU_CYCLE_1) | instskip(NEXT) | instid1(VALU_DEP_1)
	s_or_b32 exec_lo, exec_lo, s4
	v_mul_f32_e32 v20, v171, v20
                                        ; implicit-def: $vgpr82
	s_delay_alu instid0(VALU_DEP_1) | instskip(NEXT) | instid1(VALU_DEP_1)
	v_and_b32_e32 v30, 0x7f800000, v20
	v_cmp_ne_u32_e64 s3, 0x7f800000, v30
	s_delay_alu instid0(VALU_DEP_1) | instskip(NEXT) | instid1(SALU_CYCLE_1)
	s_and_saveexec_b32 s4, s3
	s_xor_b32 s3, exec_lo, s4
; %bb.655:                              ;   in Loop: Header=BB432_10 Depth=1
	v_bfe_u32 v30, v20, 16, 1
	s_delay_alu instid0(VALU_DEP_1)
	v_add3_u32 v82, v20, v30, 0x7fff
                                        ; implicit-def: $vgpr20
; %bb.656:                              ;   in Loop: Header=BB432_10 Depth=1
	s_and_not1_saveexec_b32 s4, s3
; %bb.657:                              ;   in Loop: Header=BB432_10 Depth=1
	v_and_b32_e32 v30, 0xffff, v20
	v_or_b32_e32 v31, 0x10000, v20
	s_delay_alu instid0(VALU_DEP_2) | instskip(NEXT) | instid1(VALU_DEP_1)
	v_cmp_eq_u32_e64 s3, 0, v30
	v_cndmask_b32_e64 v82, v31, v20, s3
; %bb.658:                              ;   in Loop: Header=BB432_10 Depth=1
	s_or_b32 exec_lo, exec_lo, s4
	v_lshrrev_b32_e32 v83, 16, v84
	v_mov_b32_e32 v20, 0
	s_mov_b32 s4, exec_lo
	s_delay_alu instid0(VALU_DEP_2) | instskip(NEXT) | instid1(VALU_DEP_1)
	v_and_b32_e32 v30, 0xff, v83
	v_cmpx_ne_u16_e32 0, v30
	s_cbranch_execz .LBB432_666
; %bb.659:                              ;   in Loop: Header=BB432_10 Depth=1
	v_bfrev_b32_e32 v20, 1
	s_mov_b32 s20, exec_lo
	v_cmpx_ne_u16_e32 0x80, v30
	s_cbranch_execz .LBB432_665
; %bb.660:                              ;   in Loop: Header=BB432_10 Depth=1
	v_bfe_u32 v30, v84, 16, 7
	v_mov_b32_e32 v20, 0x7f800001
	s_mov_b32 s21, exec_lo
	s_delay_alu instid0(VALU_DEP_2)
	v_cmpx_ne_u32_e32 0x7f, v30
	s_cbranch_execz .LBB432_664
; %bb.661:                              ;   in Loop: Header=BB432_10 Depth=1
	v_and_b32_e32 v20, 7, v83
	v_lshrrev_b32_e32 v85, 3, v30
	v_cmp_gt_u32_e64 s3, 8, v30
	s_delay_alu instid0(VALU_DEP_3) | instskip(NEXT) | instid1(VALU_DEP_2)
	v_dual_mov_b32 v31, v21 :: v_dual_mov_b32 v30, v20
	s_and_saveexec_b32 s22, s3
; %bb.662:                              ;   in Loop: Header=BB432_10 Depth=1
	v_clz_i32_u32_e32 v30, v20
	s_delay_alu instid0(VALU_DEP_1) | instskip(NEXT) | instid1(VALU_DEP_1)
	v_min_u32_e32 v85, 32, v30
	v_subrev_nc_u32_e32 v30, 28, v85
	v_sub_nc_u32_e32 v85, 29, v85
	s_delay_alu instid0(VALU_DEP_2) | instskip(NEXT) | instid1(VALU_DEP_1)
	v_lshlrev_b64 v[30:31], v30, v[20:21]
	v_and_b32_e32 v30, 7, v30
; %bb.663:                              ;   in Loop: Header=BB432_10 Depth=1
	s_or_b32 exec_lo, exec_lo, s22
	v_lshlrev_b32_e32 v20, 24, v83
	s_delay_alu instid0(VALU_DEP_2) | instskip(SKIP_1) | instid1(VALU_DEP_3)
	v_lshlrev_b32_e32 v30, 20, v30
	v_lshl_add_u32 v31, v85, 23, 0x3c000000
	v_and_b32_e32 v20, 0x80000000, v20
	s_delay_alu instid0(VALU_DEP_1)
	v_or3_b32 v20, v30, v20, v31
.LBB432_664:                            ;   in Loop: Header=BB432_10 Depth=1
	s_or_b32 exec_lo, exec_lo, s21
.LBB432_665:                            ;   in Loop: Header=BB432_10 Depth=1
	s_delay_alu instid0(SALU_CYCLE_1)
	s_or_b32 exec_lo, exec_lo, s20
.LBB432_666:                            ;   in Loop: Header=BB432_10 Depth=1
	s_delay_alu instid0(SALU_CYCLE_1) | instskip(NEXT) | instid1(VALU_DEP_1)
	s_or_b32 exec_lo, exec_lo, s4
	v_mul_f32_e32 v20, v171, v20
                                        ; implicit-def: $vgpr83
	s_delay_alu instid0(VALU_DEP_1) | instskip(NEXT) | instid1(VALU_DEP_1)
	v_and_b32_e32 v30, 0x7f800000, v20
	v_cmp_ne_u32_e64 s3, 0x7f800000, v30
	s_delay_alu instid0(VALU_DEP_1) | instskip(NEXT) | instid1(SALU_CYCLE_1)
	s_and_saveexec_b32 s4, s3
	s_xor_b32 s3, exec_lo, s4
; %bb.667:                              ;   in Loop: Header=BB432_10 Depth=1
	v_bfe_u32 v30, v20, 16, 1
	s_delay_alu instid0(VALU_DEP_1)
	v_add3_u32 v83, v20, v30, 0x7fff
                                        ; implicit-def: $vgpr20
; %bb.668:                              ;   in Loop: Header=BB432_10 Depth=1
	s_and_not1_saveexec_b32 s4, s3
; %bb.669:                              ;   in Loop: Header=BB432_10 Depth=1
	v_and_b32_e32 v30, 0xffff, v20
	v_or_b32_e32 v31, 0x10000, v20
	s_delay_alu instid0(VALU_DEP_2) | instskip(NEXT) | instid1(VALU_DEP_1)
	v_cmp_eq_u32_e64 s3, 0, v30
	v_cndmask_b32_e64 v83, v31, v20, s3
; %bb.670:                              ;   in Loop: Header=BB432_10 Depth=1
	s_or_b32 exec_lo, exec_lo, s4
	v_mov_b32_e32 v20, 0
	s_mov_b32 s4, exec_lo
	v_cmpx_lt_u32_e32 0xffffff, v84
	s_cbranch_execz .LBB432_678
; %bb.671:                              ;   in Loop: Header=BB432_10 Depth=1
	v_lshrrev_b32_e32 v85, 24, v84
	v_bfrev_b32_e32 v20, 1
	s_mov_b32 s20, exec_lo
	s_delay_alu instid0(VALU_DEP_2)
	v_cmpx_ne_u32_e32 0x80, v85
	s_cbranch_execz .LBB432_677
; %bb.672:                              ;   in Loop: Header=BB432_10 Depth=1
	v_bfe_u32 v30, v84, 24, 7
	v_mov_b32_e32 v20, 0x7f800001
	s_mov_b32 s21, exec_lo
	s_delay_alu instid0(VALU_DEP_2)
	v_cmpx_ne_u32_e32 0x7f, v30
	s_cbranch_execz .LBB432_676
; %bb.673:                              ;   in Loop: Header=BB432_10 Depth=1
	v_and_b32_e32 v20, 7, v85
	v_lshrrev_b32_e32 v84, 3, v30
	v_cmp_gt_u32_e64 s3, 8, v30
	s_delay_alu instid0(VALU_DEP_3) | instskip(NEXT) | instid1(VALU_DEP_2)
	v_dual_mov_b32 v31, v21 :: v_dual_mov_b32 v30, v20
	s_and_saveexec_b32 s22, s3
; %bb.674:                              ;   in Loop: Header=BB432_10 Depth=1
	v_clz_i32_u32_e32 v30, v20
	s_delay_alu instid0(VALU_DEP_1) | instskip(NEXT) | instid1(VALU_DEP_1)
	v_min_u32_e32 v84, 32, v30
	v_subrev_nc_u32_e32 v30, 28, v84
	v_sub_nc_u32_e32 v84, 29, v84
	s_delay_alu instid0(VALU_DEP_2) | instskip(NEXT) | instid1(VALU_DEP_1)
	v_lshlrev_b64 v[30:31], v30, v[20:21]
	v_and_b32_e32 v30, 7, v30
; %bb.675:                              ;   in Loop: Header=BB432_10 Depth=1
	s_or_b32 exec_lo, exec_lo, s22
	v_lshlrev_b32_e32 v20, 24, v85
	s_delay_alu instid0(VALU_DEP_2) | instskip(SKIP_1) | instid1(VALU_DEP_3)
	v_lshlrev_b32_e32 v30, 20, v30
	v_lshl_add_u32 v31, v84, 23, 0x3c000000
	v_and_b32_e32 v20, 0x80000000, v20
	s_delay_alu instid0(VALU_DEP_1)
	v_or3_b32 v20, v30, v20, v31
.LBB432_676:                            ;   in Loop: Header=BB432_10 Depth=1
	s_or_b32 exec_lo, exec_lo, s21
.LBB432_677:                            ;   in Loop: Header=BB432_10 Depth=1
	s_delay_alu instid0(SALU_CYCLE_1)
	s_or_b32 exec_lo, exec_lo, s20
.LBB432_678:                            ;   in Loop: Header=BB432_10 Depth=1
	s_delay_alu instid0(SALU_CYCLE_1) | instskip(NEXT) | instid1(VALU_DEP_1)
	s_or_b32 exec_lo, exec_lo, s4
	v_mul_f32_e32 v20, v171, v20
                                        ; implicit-def: $vgpr84
	s_delay_alu instid0(VALU_DEP_1) | instskip(NEXT) | instid1(VALU_DEP_1)
	v_and_b32_e32 v30, 0x7f800000, v20
	v_cmp_ne_u32_e64 s3, 0x7f800000, v30
	s_delay_alu instid0(VALU_DEP_1) | instskip(NEXT) | instid1(SALU_CYCLE_1)
	s_and_saveexec_b32 s4, s3
	s_xor_b32 s3, exec_lo, s4
; %bb.679:                              ;   in Loop: Header=BB432_10 Depth=1
	v_bfe_u32 v30, v20, 16, 1
	s_delay_alu instid0(VALU_DEP_1)
	v_add3_u32 v84, v20, v30, 0x7fff
                                        ; implicit-def: $vgpr20
; %bb.680:                              ;   in Loop: Header=BB432_10 Depth=1
	s_and_not1_saveexec_b32 s4, s3
; %bb.681:                              ;   in Loop: Header=BB432_10 Depth=1
	v_and_b32_e32 v30, 0xffff, v20
	v_or_b32_e32 v31, 0x10000, v20
	s_delay_alu instid0(VALU_DEP_2) | instskip(NEXT) | instid1(VALU_DEP_1)
	v_cmp_eq_u32_e64 s3, 0, v30
	v_cndmask_b32_e64 v84, v31, v20, s3
; %bb.682:                              ;   in Loop: Header=BB432_10 Depth=1
	s_or_b32 exec_lo, exec_lo, s4
	flat_load_b32 v96, v[28:29] offset:1792
	v_mov_b32_e32 v20, 0
	s_mov_b32 s4, exec_lo
	s_waitcnt vmcnt(0) lgkmcnt(0)
	v_and_b32_e32 v30, 0xff, v96
	s_delay_alu instid0(VALU_DEP_1)
	v_cmpx_ne_u16_e32 0, v30
	s_cbranch_execz .LBB432_690
; %bb.683:                              ;   in Loop: Header=BB432_10 Depth=1
	v_bfrev_b32_e32 v20, 1
	s_mov_b32 s20, exec_lo
	v_cmpx_ne_u16_e32 0x80, v30
	s_cbranch_execz .LBB432_689
; %bb.684:                              ;   in Loop: Header=BB432_10 Depth=1
	v_and_b32_e32 v30, 0x7f, v96
	v_mov_b32_e32 v20, 0x7f800001
	s_mov_b32 s21, exec_lo
	s_delay_alu instid0(VALU_DEP_2)
	v_cmpx_ne_u32_e32 0x7f, v30
	s_cbranch_execz .LBB432_688
; %bb.685:                              ;   in Loop: Header=BB432_10 Depth=1
	v_and_b32_e32 v20, 7, v96
	v_lshrrev_b32_e32 v85, 3, v30
	v_cmp_gt_u32_e64 s3, 8, v30
	s_delay_alu instid0(VALU_DEP_3) | instskip(NEXT) | instid1(VALU_DEP_2)
	v_dual_mov_b32 v31, v21 :: v_dual_mov_b32 v30, v20
	s_and_saveexec_b32 s22, s3
; %bb.686:                              ;   in Loop: Header=BB432_10 Depth=1
	v_clz_i32_u32_e32 v30, v20
	s_delay_alu instid0(VALU_DEP_1) | instskip(NEXT) | instid1(VALU_DEP_1)
	v_min_u32_e32 v85, 32, v30
	v_subrev_nc_u32_e32 v30, 28, v85
	v_sub_nc_u32_e32 v85, 29, v85
	s_delay_alu instid0(VALU_DEP_2) | instskip(NEXT) | instid1(VALU_DEP_1)
	v_lshlrev_b64 v[30:31], v30, v[20:21]
	v_and_b32_e32 v30, 7, v30
; %bb.687:                              ;   in Loop: Header=BB432_10 Depth=1
	s_or_b32 exec_lo, exec_lo, s22
	v_lshlrev_b32_e32 v20, 24, v96
	s_delay_alu instid0(VALU_DEP_2) | instskip(SKIP_1) | instid1(VALU_DEP_3)
	v_lshlrev_b32_e32 v30, 20, v30
	v_lshl_add_u32 v31, v85, 23, 0x3c000000
	v_and_b32_e32 v20, 0x80000000, v20
	s_delay_alu instid0(VALU_DEP_1)
	v_or3_b32 v20, v30, v20, v31
.LBB432_688:                            ;   in Loop: Header=BB432_10 Depth=1
	s_or_b32 exec_lo, exec_lo, s21
.LBB432_689:                            ;   in Loop: Header=BB432_10 Depth=1
	s_delay_alu instid0(SALU_CYCLE_1)
	s_or_b32 exec_lo, exec_lo, s20
.LBB432_690:                            ;   in Loop: Header=BB432_10 Depth=1
	s_delay_alu instid0(SALU_CYCLE_1) | instskip(NEXT) | instid1(VALU_DEP_1)
	s_or_b32 exec_lo, exec_lo, s4
	v_mul_f32_e32 v20, v171, v20
                                        ; implicit-def: $vgpr85
	s_delay_alu instid0(VALU_DEP_1) | instskip(NEXT) | instid1(VALU_DEP_1)
	v_and_b32_e32 v30, 0x7f800000, v20
	v_cmp_ne_u32_e64 s3, 0x7f800000, v30
	s_delay_alu instid0(VALU_DEP_1) | instskip(NEXT) | instid1(SALU_CYCLE_1)
	s_and_saveexec_b32 s4, s3
	s_xor_b32 s3, exec_lo, s4
; %bb.691:                              ;   in Loop: Header=BB432_10 Depth=1
	v_bfe_u32 v30, v20, 16, 1
	s_delay_alu instid0(VALU_DEP_1)
	v_add3_u32 v85, v20, v30, 0x7fff
                                        ; implicit-def: $vgpr20
; %bb.692:                              ;   in Loop: Header=BB432_10 Depth=1
	s_and_not1_saveexec_b32 s4, s3
; %bb.693:                              ;   in Loop: Header=BB432_10 Depth=1
	v_and_b32_e32 v30, 0xffff, v20
	v_or_b32_e32 v31, 0x10000, v20
	s_delay_alu instid0(VALU_DEP_2) | instskip(NEXT) | instid1(VALU_DEP_1)
	v_cmp_eq_u32_e64 s3, 0, v30
	v_cndmask_b32_e64 v85, v31, v20, s3
; %bb.694:                              ;   in Loop: Header=BB432_10 Depth=1
	s_or_b32 exec_lo, exec_lo, s4
	v_lshrrev_b16 v30, 8, v96
	v_mov_b32_e32 v20, 0
	s_mov_b32 s4, exec_lo
	s_delay_alu instid0(VALU_DEP_2)
	v_cmpx_ne_u16_e32 0, v30
	s_cbranch_execz .LBB432_702
; %bb.695:                              ;   in Loop: Header=BB432_10 Depth=1
	v_bfrev_b32_e32 v20, 1
	s_mov_b32 s20, exec_lo
	v_cmpx_ne_u16_e32 0x80, v30
	s_cbranch_execz .LBB432_701
; %bb.696:                              ;   in Loop: Header=BB432_10 Depth=1
	v_and_b32_e32 v31, 0xffff, v30
	v_mov_b32_e32 v20, 0x7f800001
	s_mov_b32 s21, exec_lo
	s_delay_alu instid0(VALU_DEP_2) | instskip(NEXT) | instid1(VALU_DEP_1)
	v_and_b32_e32 v30, 0x7f, v31
	v_cmpx_ne_u32_e32 0x7f, v30
	s_cbranch_execz .LBB432_700
; %bb.697:                              ;   in Loop: Header=BB432_10 Depth=1
	v_and_b32_e32 v20, 7, v31
	v_lshrrev_b32_e32 v86, 3, v30
	v_cmp_gt_u32_e64 s3, 8, v30
	s_delay_alu instid0(VALU_DEP_3) | instskip(NEXT) | instid1(VALU_DEP_2)
	v_dual_mov_b32 v31, v21 :: v_dual_mov_b32 v30, v20
	s_and_saveexec_b32 s22, s3
; %bb.698:                              ;   in Loop: Header=BB432_10 Depth=1
	v_clz_i32_u32_e32 v30, v20
	s_delay_alu instid0(VALU_DEP_1) | instskip(NEXT) | instid1(VALU_DEP_1)
	v_min_u32_e32 v86, 32, v30
	v_subrev_nc_u32_e32 v30, 28, v86
	v_sub_nc_u32_e32 v86, 29, v86
	s_delay_alu instid0(VALU_DEP_2) | instskip(NEXT) | instid1(VALU_DEP_1)
	v_lshlrev_b64 v[30:31], v30, v[20:21]
	v_and_b32_e32 v30, 7, v30
; %bb.699:                              ;   in Loop: Header=BB432_10 Depth=1
	s_or_b32 exec_lo, exec_lo, s22
	v_lshlrev_b32_e32 v20, 16, v96
	s_delay_alu instid0(VALU_DEP_2) | instskip(SKIP_1) | instid1(VALU_DEP_3)
	v_lshlrev_b32_e32 v30, 20, v30
	v_lshl_add_u32 v31, v86, 23, 0x3c000000
	v_and_b32_e32 v20, 0x80000000, v20
	s_delay_alu instid0(VALU_DEP_1)
	v_or3_b32 v20, v30, v20, v31
.LBB432_700:                            ;   in Loop: Header=BB432_10 Depth=1
	s_or_b32 exec_lo, exec_lo, s21
.LBB432_701:                            ;   in Loop: Header=BB432_10 Depth=1
	s_delay_alu instid0(SALU_CYCLE_1)
	s_or_b32 exec_lo, exec_lo, s20
.LBB432_702:                            ;   in Loop: Header=BB432_10 Depth=1
	s_delay_alu instid0(SALU_CYCLE_1) | instskip(NEXT) | instid1(VALU_DEP_1)
	s_or_b32 exec_lo, exec_lo, s4
	v_mul_f32_e32 v20, v171, v20
                                        ; implicit-def: $vgpr86
	s_delay_alu instid0(VALU_DEP_1) | instskip(NEXT) | instid1(VALU_DEP_1)
	v_and_b32_e32 v30, 0x7f800000, v20
	v_cmp_ne_u32_e64 s3, 0x7f800000, v30
	s_delay_alu instid0(VALU_DEP_1) | instskip(NEXT) | instid1(SALU_CYCLE_1)
	s_and_saveexec_b32 s4, s3
	s_xor_b32 s3, exec_lo, s4
; %bb.703:                              ;   in Loop: Header=BB432_10 Depth=1
	v_bfe_u32 v30, v20, 16, 1
	s_delay_alu instid0(VALU_DEP_1)
	v_add3_u32 v86, v20, v30, 0x7fff
                                        ; implicit-def: $vgpr20
; %bb.704:                              ;   in Loop: Header=BB432_10 Depth=1
	s_and_not1_saveexec_b32 s4, s3
; %bb.705:                              ;   in Loop: Header=BB432_10 Depth=1
	v_and_b32_e32 v30, 0xffff, v20
	v_or_b32_e32 v31, 0x10000, v20
	s_delay_alu instid0(VALU_DEP_2) | instskip(NEXT) | instid1(VALU_DEP_1)
	v_cmp_eq_u32_e64 s3, 0, v30
	v_cndmask_b32_e64 v86, v31, v20, s3
; %bb.706:                              ;   in Loop: Header=BB432_10 Depth=1
	s_or_b32 exec_lo, exec_lo, s4
	v_lshrrev_b32_e32 v87, 16, v96
	v_mov_b32_e32 v20, 0
	s_mov_b32 s4, exec_lo
	s_delay_alu instid0(VALU_DEP_2) | instskip(NEXT) | instid1(VALU_DEP_1)
	v_and_b32_e32 v30, 0xff, v87
	v_cmpx_ne_u16_e32 0, v30
	s_cbranch_execz .LBB432_714
; %bb.707:                              ;   in Loop: Header=BB432_10 Depth=1
	v_bfrev_b32_e32 v20, 1
	s_mov_b32 s20, exec_lo
	v_cmpx_ne_u16_e32 0x80, v30
	s_cbranch_execz .LBB432_713
; %bb.708:                              ;   in Loop: Header=BB432_10 Depth=1
	v_bfe_u32 v30, v96, 16, 7
	v_mov_b32_e32 v20, 0x7f800001
	s_mov_b32 s21, exec_lo
	s_delay_alu instid0(VALU_DEP_2)
	v_cmpx_ne_u32_e32 0x7f, v30
	s_cbranch_execz .LBB432_712
; %bb.709:                              ;   in Loop: Header=BB432_10 Depth=1
	v_and_b32_e32 v20, 7, v87
	v_lshrrev_b32_e32 v97, 3, v30
	v_cmp_gt_u32_e64 s3, 8, v30
	s_delay_alu instid0(VALU_DEP_3) | instskip(NEXT) | instid1(VALU_DEP_2)
	v_dual_mov_b32 v31, v21 :: v_dual_mov_b32 v30, v20
	s_and_saveexec_b32 s22, s3
; %bb.710:                              ;   in Loop: Header=BB432_10 Depth=1
	v_clz_i32_u32_e32 v30, v20
	s_delay_alu instid0(VALU_DEP_1) | instskip(NEXT) | instid1(VALU_DEP_1)
	v_min_u32_e32 v97, 32, v30
	v_subrev_nc_u32_e32 v30, 28, v97
	v_sub_nc_u32_e32 v97, 29, v97
	s_delay_alu instid0(VALU_DEP_2) | instskip(NEXT) | instid1(VALU_DEP_1)
	v_lshlrev_b64 v[30:31], v30, v[20:21]
	v_and_b32_e32 v30, 7, v30
; %bb.711:                              ;   in Loop: Header=BB432_10 Depth=1
	s_or_b32 exec_lo, exec_lo, s22
	v_lshlrev_b32_e32 v20, 24, v87
	s_delay_alu instid0(VALU_DEP_2) | instskip(SKIP_1) | instid1(VALU_DEP_3)
	v_lshlrev_b32_e32 v30, 20, v30
	v_lshl_add_u32 v31, v97, 23, 0x3c000000
	v_and_b32_e32 v20, 0x80000000, v20
	s_delay_alu instid0(VALU_DEP_1)
	v_or3_b32 v20, v30, v20, v31
.LBB432_712:                            ;   in Loop: Header=BB432_10 Depth=1
	s_or_b32 exec_lo, exec_lo, s21
.LBB432_713:                            ;   in Loop: Header=BB432_10 Depth=1
	s_delay_alu instid0(SALU_CYCLE_1)
	s_or_b32 exec_lo, exec_lo, s20
.LBB432_714:                            ;   in Loop: Header=BB432_10 Depth=1
	s_delay_alu instid0(SALU_CYCLE_1) | instskip(NEXT) | instid1(VALU_DEP_1)
	s_or_b32 exec_lo, exec_lo, s4
	v_mul_f32_e32 v20, v171, v20
                                        ; implicit-def: $vgpr87
	s_delay_alu instid0(VALU_DEP_1) | instskip(NEXT) | instid1(VALU_DEP_1)
	v_and_b32_e32 v30, 0x7f800000, v20
	v_cmp_ne_u32_e64 s3, 0x7f800000, v30
	s_delay_alu instid0(VALU_DEP_1) | instskip(NEXT) | instid1(SALU_CYCLE_1)
	s_and_saveexec_b32 s4, s3
	s_xor_b32 s3, exec_lo, s4
; %bb.715:                              ;   in Loop: Header=BB432_10 Depth=1
	v_bfe_u32 v30, v20, 16, 1
	s_delay_alu instid0(VALU_DEP_1)
	v_add3_u32 v87, v20, v30, 0x7fff
                                        ; implicit-def: $vgpr20
; %bb.716:                              ;   in Loop: Header=BB432_10 Depth=1
	s_and_not1_saveexec_b32 s4, s3
; %bb.717:                              ;   in Loop: Header=BB432_10 Depth=1
	v_and_b32_e32 v30, 0xffff, v20
	v_or_b32_e32 v31, 0x10000, v20
	s_delay_alu instid0(VALU_DEP_2) | instskip(NEXT) | instid1(VALU_DEP_1)
	v_cmp_eq_u32_e64 s3, 0, v30
	v_cndmask_b32_e64 v87, v31, v20, s3
; %bb.718:                              ;   in Loop: Header=BB432_10 Depth=1
	s_or_b32 exec_lo, exec_lo, s4
	v_mov_b32_e32 v20, 0
	s_mov_b32 s4, exec_lo
	v_cmpx_lt_u32_e32 0xffffff, v96
	s_cbranch_execz .LBB432_726
; %bb.719:                              ;   in Loop: Header=BB432_10 Depth=1
	v_lshrrev_b32_e32 v97, 24, v96
	v_bfrev_b32_e32 v20, 1
	s_mov_b32 s20, exec_lo
	s_delay_alu instid0(VALU_DEP_2)
	v_cmpx_ne_u32_e32 0x80, v97
	s_cbranch_execz .LBB432_725
; %bb.720:                              ;   in Loop: Header=BB432_10 Depth=1
	v_bfe_u32 v30, v96, 24, 7
	v_mov_b32_e32 v20, 0x7f800001
	s_mov_b32 s21, exec_lo
	s_delay_alu instid0(VALU_DEP_2)
	v_cmpx_ne_u32_e32 0x7f, v30
	s_cbranch_execz .LBB432_724
; %bb.721:                              ;   in Loop: Header=BB432_10 Depth=1
	v_and_b32_e32 v20, 7, v97
	v_lshrrev_b32_e32 v96, 3, v30
	v_cmp_gt_u32_e64 s3, 8, v30
	s_delay_alu instid0(VALU_DEP_3) | instskip(NEXT) | instid1(VALU_DEP_2)
	v_dual_mov_b32 v31, v21 :: v_dual_mov_b32 v30, v20
	s_and_saveexec_b32 s22, s3
; %bb.722:                              ;   in Loop: Header=BB432_10 Depth=1
	v_clz_i32_u32_e32 v30, v20
	s_delay_alu instid0(VALU_DEP_1) | instskip(NEXT) | instid1(VALU_DEP_1)
	v_min_u32_e32 v96, 32, v30
	v_subrev_nc_u32_e32 v30, 28, v96
	v_sub_nc_u32_e32 v96, 29, v96
	s_delay_alu instid0(VALU_DEP_2) | instskip(NEXT) | instid1(VALU_DEP_1)
	v_lshlrev_b64 v[30:31], v30, v[20:21]
	v_and_b32_e32 v30, 7, v30
; %bb.723:                              ;   in Loop: Header=BB432_10 Depth=1
	s_or_b32 exec_lo, exec_lo, s22
	v_lshlrev_b32_e32 v20, 24, v97
	s_delay_alu instid0(VALU_DEP_2) | instskip(SKIP_1) | instid1(VALU_DEP_3)
	v_lshlrev_b32_e32 v30, 20, v30
	v_lshl_add_u32 v31, v96, 23, 0x3c000000
	v_and_b32_e32 v20, 0x80000000, v20
	s_delay_alu instid0(VALU_DEP_1)
	v_or3_b32 v20, v30, v20, v31
.LBB432_724:                            ;   in Loop: Header=BB432_10 Depth=1
	s_or_b32 exec_lo, exec_lo, s21
.LBB432_725:                            ;   in Loop: Header=BB432_10 Depth=1
	s_delay_alu instid0(SALU_CYCLE_1)
	s_or_b32 exec_lo, exec_lo, s20
.LBB432_726:                            ;   in Loop: Header=BB432_10 Depth=1
	s_delay_alu instid0(SALU_CYCLE_1) | instskip(NEXT) | instid1(VALU_DEP_1)
	s_or_b32 exec_lo, exec_lo, s4
	v_mul_f32_e32 v20, v171, v20
                                        ; implicit-def: $vgpr96
	s_delay_alu instid0(VALU_DEP_1) | instskip(NEXT) | instid1(VALU_DEP_1)
	v_and_b32_e32 v30, 0x7f800000, v20
	v_cmp_ne_u32_e64 s3, 0x7f800000, v30
	s_delay_alu instid0(VALU_DEP_1) | instskip(NEXT) | instid1(SALU_CYCLE_1)
	s_and_saveexec_b32 s4, s3
	s_xor_b32 s3, exec_lo, s4
; %bb.727:                              ;   in Loop: Header=BB432_10 Depth=1
	v_bfe_u32 v30, v20, 16, 1
	s_delay_alu instid0(VALU_DEP_1)
	v_add3_u32 v96, v20, v30, 0x7fff
                                        ; implicit-def: $vgpr20
; %bb.728:                              ;   in Loop: Header=BB432_10 Depth=1
	s_and_not1_saveexec_b32 s4, s3
; %bb.729:                              ;   in Loop: Header=BB432_10 Depth=1
	v_and_b32_e32 v30, 0xffff, v20
	v_or_b32_e32 v31, 0x10000, v20
	s_delay_alu instid0(VALU_DEP_2) | instskip(NEXT) | instid1(VALU_DEP_1)
	v_cmp_eq_u32_e64 s3, 0, v30
	v_cndmask_b32_e64 v96, v31, v20, s3
; %bb.730:                              ;   in Loop: Header=BB432_10 Depth=1
	s_or_b32 exec_lo, exec_lo, s4
	flat_load_b32 v100, v[28:29] offset:1800
	v_mov_b32_e32 v20, 0
	s_mov_b32 s4, exec_lo
	s_waitcnt vmcnt(0) lgkmcnt(0)
	v_and_b32_e32 v30, 0xff, v100
	s_delay_alu instid0(VALU_DEP_1)
	v_cmpx_ne_u16_e32 0, v30
	s_cbranch_execz .LBB432_738
; %bb.731:                              ;   in Loop: Header=BB432_10 Depth=1
	v_bfrev_b32_e32 v20, 1
	s_mov_b32 s20, exec_lo
	v_cmpx_ne_u16_e32 0x80, v30
	s_cbranch_execz .LBB432_737
; %bb.732:                              ;   in Loop: Header=BB432_10 Depth=1
	v_and_b32_e32 v30, 0x7f, v100
	v_mov_b32_e32 v20, 0x7f800001
	s_mov_b32 s21, exec_lo
	s_delay_alu instid0(VALU_DEP_2)
	v_cmpx_ne_u32_e32 0x7f, v30
	s_cbranch_execz .LBB432_736
; %bb.733:                              ;   in Loop: Header=BB432_10 Depth=1
	v_and_b32_e32 v20, 7, v100
	v_lshrrev_b32_e32 v97, 3, v30
	v_cmp_gt_u32_e64 s3, 8, v30
	s_delay_alu instid0(VALU_DEP_3) | instskip(NEXT) | instid1(VALU_DEP_2)
	v_dual_mov_b32 v31, v21 :: v_dual_mov_b32 v30, v20
	s_and_saveexec_b32 s22, s3
; %bb.734:                              ;   in Loop: Header=BB432_10 Depth=1
	v_clz_i32_u32_e32 v30, v20
	s_delay_alu instid0(VALU_DEP_1) | instskip(NEXT) | instid1(VALU_DEP_1)
	v_min_u32_e32 v97, 32, v30
	v_subrev_nc_u32_e32 v30, 28, v97
	v_sub_nc_u32_e32 v97, 29, v97
	s_delay_alu instid0(VALU_DEP_2) | instskip(NEXT) | instid1(VALU_DEP_1)
	v_lshlrev_b64 v[30:31], v30, v[20:21]
	v_and_b32_e32 v30, 7, v30
; %bb.735:                              ;   in Loop: Header=BB432_10 Depth=1
	s_or_b32 exec_lo, exec_lo, s22
	v_lshlrev_b32_e32 v20, 24, v100
	s_delay_alu instid0(VALU_DEP_2) | instskip(SKIP_1) | instid1(VALU_DEP_3)
	v_lshlrev_b32_e32 v30, 20, v30
	v_lshl_add_u32 v31, v97, 23, 0x3c000000
	v_and_b32_e32 v20, 0x80000000, v20
	s_delay_alu instid0(VALU_DEP_1)
	v_or3_b32 v20, v30, v20, v31
.LBB432_736:                            ;   in Loop: Header=BB432_10 Depth=1
	s_or_b32 exec_lo, exec_lo, s21
.LBB432_737:                            ;   in Loop: Header=BB432_10 Depth=1
	s_delay_alu instid0(SALU_CYCLE_1)
	s_or_b32 exec_lo, exec_lo, s20
.LBB432_738:                            ;   in Loop: Header=BB432_10 Depth=1
	s_delay_alu instid0(SALU_CYCLE_1) | instskip(NEXT) | instid1(VALU_DEP_1)
	s_or_b32 exec_lo, exec_lo, s4
	v_mul_f32_e32 v20, v171, v20
                                        ; implicit-def: $vgpr97
	s_delay_alu instid0(VALU_DEP_1) | instskip(NEXT) | instid1(VALU_DEP_1)
	v_and_b32_e32 v30, 0x7f800000, v20
	v_cmp_ne_u32_e64 s3, 0x7f800000, v30
	s_delay_alu instid0(VALU_DEP_1) | instskip(NEXT) | instid1(SALU_CYCLE_1)
	s_and_saveexec_b32 s4, s3
	s_xor_b32 s3, exec_lo, s4
; %bb.739:                              ;   in Loop: Header=BB432_10 Depth=1
	v_bfe_u32 v30, v20, 16, 1
	s_delay_alu instid0(VALU_DEP_1)
	v_add3_u32 v97, v20, v30, 0x7fff
                                        ; implicit-def: $vgpr20
; %bb.740:                              ;   in Loop: Header=BB432_10 Depth=1
	s_and_not1_saveexec_b32 s4, s3
; %bb.741:                              ;   in Loop: Header=BB432_10 Depth=1
	v_and_b32_e32 v30, 0xffff, v20
	v_or_b32_e32 v31, 0x10000, v20
	s_delay_alu instid0(VALU_DEP_2) | instskip(NEXT) | instid1(VALU_DEP_1)
	v_cmp_eq_u32_e64 s3, 0, v30
	v_cndmask_b32_e64 v97, v31, v20, s3
; %bb.742:                              ;   in Loop: Header=BB432_10 Depth=1
	s_or_b32 exec_lo, exec_lo, s4
	v_lshrrev_b16 v30, 8, v100
	v_mov_b32_e32 v20, 0
	s_mov_b32 s4, exec_lo
	s_delay_alu instid0(VALU_DEP_2)
	v_cmpx_ne_u16_e32 0, v30
	s_cbranch_execz .LBB432_750
; %bb.743:                              ;   in Loop: Header=BB432_10 Depth=1
	v_bfrev_b32_e32 v20, 1
	s_mov_b32 s20, exec_lo
	v_cmpx_ne_u16_e32 0x80, v30
	s_cbranch_execz .LBB432_749
; %bb.744:                              ;   in Loop: Header=BB432_10 Depth=1
	v_and_b32_e32 v31, 0xffff, v30
	v_mov_b32_e32 v20, 0x7f800001
	s_mov_b32 s21, exec_lo
	s_delay_alu instid0(VALU_DEP_2) | instskip(NEXT) | instid1(VALU_DEP_1)
	v_and_b32_e32 v30, 0x7f, v31
	v_cmpx_ne_u32_e32 0x7f, v30
	s_cbranch_execz .LBB432_748
; %bb.745:                              ;   in Loop: Header=BB432_10 Depth=1
	v_and_b32_e32 v20, 7, v31
	v_lshrrev_b32_e32 v98, 3, v30
	v_cmp_gt_u32_e64 s3, 8, v30
	s_delay_alu instid0(VALU_DEP_3) | instskip(NEXT) | instid1(VALU_DEP_2)
	v_dual_mov_b32 v31, v21 :: v_dual_mov_b32 v30, v20
	s_and_saveexec_b32 s22, s3
; %bb.746:                              ;   in Loop: Header=BB432_10 Depth=1
	v_clz_i32_u32_e32 v30, v20
	s_delay_alu instid0(VALU_DEP_1) | instskip(NEXT) | instid1(VALU_DEP_1)
	v_min_u32_e32 v98, 32, v30
	v_subrev_nc_u32_e32 v30, 28, v98
	v_sub_nc_u32_e32 v98, 29, v98
	s_delay_alu instid0(VALU_DEP_2) | instskip(NEXT) | instid1(VALU_DEP_1)
	v_lshlrev_b64 v[30:31], v30, v[20:21]
	v_and_b32_e32 v30, 7, v30
; %bb.747:                              ;   in Loop: Header=BB432_10 Depth=1
	s_or_b32 exec_lo, exec_lo, s22
	v_lshlrev_b32_e32 v20, 16, v100
	s_delay_alu instid0(VALU_DEP_2) | instskip(SKIP_1) | instid1(VALU_DEP_3)
	v_lshlrev_b32_e32 v30, 20, v30
	v_lshl_add_u32 v31, v98, 23, 0x3c000000
	v_and_b32_e32 v20, 0x80000000, v20
	s_delay_alu instid0(VALU_DEP_1)
	v_or3_b32 v20, v30, v20, v31
.LBB432_748:                            ;   in Loop: Header=BB432_10 Depth=1
	s_or_b32 exec_lo, exec_lo, s21
.LBB432_749:                            ;   in Loop: Header=BB432_10 Depth=1
	s_delay_alu instid0(SALU_CYCLE_1)
	s_or_b32 exec_lo, exec_lo, s20
.LBB432_750:                            ;   in Loop: Header=BB432_10 Depth=1
	s_delay_alu instid0(SALU_CYCLE_1) | instskip(NEXT) | instid1(VALU_DEP_1)
	s_or_b32 exec_lo, exec_lo, s4
	v_mul_f32_e32 v20, v171, v20
                                        ; implicit-def: $vgpr98
	s_delay_alu instid0(VALU_DEP_1) | instskip(NEXT) | instid1(VALU_DEP_1)
	v_and_b32_e32 v30, 0x7f800000, v20
	v_cmp_ne_u32_e64 s3, 0x7f800000, v30
	s_delay_alu instid0(VALU_DEP_1) | instskip(NEXT) | instid1(SALU_CYCLE_1)
	s_and_saveexec_b32 s4, s3
	s_xor_b32 s3, exec_lo, s4
; %bb.751:                              ;   in Loop: Header=BB432_10 Depth=1
	v_bfe_u32 v30, v20, 16, 1
	s_delay_alu instid0(VALU_DEP_1)
	v_add3_u32 v98, v20, v30, 0x7fff
                                        ; implicit-def: $vgpr20
; %bb.752:                              ;   in Loop: Header=BB432_10 Depth=1
	s_and_not1_saveexec_b32 s4, s3
; %bb.753:                              ;   in Loop: Header=BB432_10 Depth=1
	v_and_b32_e32 v30, 0xffff, v20
	v_or_b32_e32 v31, 0x10000, v20
	s_delay_alu instid0(VALU_DEP_2) | instskip(NEXT) | instid1(VALU_DEP_1)
	v_cmp_eq_u32_e64 s3, 0, v30
	v_cndmask_b32_e64 v98, v31, v20, s3
; %bb.754:                              ;   in Loop: Header=BB432_10 Depth=1
	s_or_b32 exec_lo, exec_lo, s4
	v_lshrrev_b32_e32 v99, 16, v100
	v_mov_b32_e32 v20, 0
	s_mov_b32 s4, exec_lo
	s_delay_alu instid0(VALU_DEP_2) | instskip(NEXT) | instid1(VALU_DEP_1)
	v_and_b32_e32 v30, 0xff, v99
	v_cmpx_ne_u16_e32 0, v30
	s_cbranch_execz .LBB432_762
; %bb.755:                              ;   in Loop: Header=BB432_10 Depth=1
	v_bfrev_b32_e32 v20, 1
	s_mov_b32 s20, exec_lo
	v_cmpx_ne_u16_e32 0x80, v30
	s_cbranch_execz .LBB432_761
; %bb.756:                              ;   in Loop: Header=BB432_10 Depth=1
	v_bfe_u32 v30, v100, 16, 7
	v_mov_b32_e32 v20, 0x7f800001
	s_mov_b32 s21, exec_lo
	s_delay_alu instid0(VALU_DEP_2)
	v_cmpx_ne_u32_e32 0x7f, v30
	s_cbranch_execz .LBB432_760
; %bb.757:                              ;   in Loop: Header=BB432_10 Depth=1
	v_and_b32_e32 v20, 7, v99
	v_lshrrev_b32_e32 v101, 3, v30
	v_cmp_gt_u32_e64 s3, 8, v30
	s_delay_alu instid0(VALU_DEP_3) | instskip(NEXT) | instid1(VALU_DEP_2)
	v_dual_mov_b32 v31, v21 :: v_dual_mov_b32 v30, v20
	s_and_saveexec_b32 s22, s3
; %bb.758:                              ;   in Loop: Header=BB432_10 Depth=1
	v_clz_i32_u32_e32 v30, v20
	s_delay_alu instid0(VALU_DEP_1) | instskip(NEXT) | instid1(VALU_DEP_1)
	v_min_u32_e32 v101, 32, v30
	v_subrev_nc_u32_e32 v30, 28, v101
	v_sub_nc_u32_e32 v101, 29, v101
	s_delay_alu instid0(VALU_DEP_2) | instskip(NEXT) | instid1(VALU_DEP_1)
	v_lshlrev_b64 v[30:31], v30, v[20:21]
	v_and_b32_e32 v30, 7, v30
; %bb.759:                              ;   in Loop: Header=BB432_10 Depth=1
	s_or_b32 exec_lo, exec_lo, s22
	v_lshlrev_b32_e32 v20, 24, v99
	s_delay_alu instid0(VALU_DEP_2) | instskip(SKIP_1) | instid1(VALU_DEP_3)
	v_lshlrev_b32_e32 v30, 20, v30
	v_lshl_add_u32 v31, v101, 23, 0x3c000000
	v_and_b32_e32 v20, 0x80000000, v20
	s_delay_alu instid0(VALU_DEP_1)
	v_or3_b32 v20, v30, v20, v31
.LBB432_760:                            ;   in Loop: Header=BB432_10 Depth=1
	s_or_b32 exec_lo, exec_lo, s21
.LBB432_761:                            ;   in Loop: Header=BB432_10 Depth=1
	s_delay_alu instid0(SALU_CYCLE_1)
	s_or_b32 exec_lo, exec_lo, s20
.LBB432_762:                            ;   in Loop: Header=BB432_10 Depth=1
	s_delay_alu instid0(SALU_CYCLE_1) | instskip(NEXT) | instid1(VALU_DEP_1)
	s_or_b32 exec_lo, exec_lo, s4
	v_mul_f32_e32 v20, v171, v20
                                        ; implicit-def: $vgpr99
	s_delay_alu instid0(VALU_DEP_1) | instskip(NEXT) | instid1(VALU_DEP_1)
	v_and_b32_e32 v30, 0x7f800000, v20
	v_cmp_ne_u32_e64 s3, 0x7f800000, v30
	s_delay_alu instid0(VALU_DEP_1) | instskip(NEXT) | instid1(SALU_CYCLE_1)
	s_and_saveexec_b32 s4, s3
	s_xor_b32 s3, exec_lo, s4
; %bb.763:                              ;   in Loop: Header=BB432_10 Depth=1
	v_bfe_u32 v30, v20, 16, 1
	s_delay_alu instid0(VALU_DEP_1)
	v_add3_u32 v99, v20, v30, 0x7fff
                                        ; implicit-def: $vgpr20
; %bb.764:                              ;   in Loop: Header=BB432_10 Depth=1
	s_and_not1_saveexec_b32 s4, s3
; %bb.765:                              ;   in Loop: Header=BB432_10 Depth=1
	v_and_b32_e32 v30, 0xffff, v20
	v_or_b32_e32 v31, 0x10000, v20
	s_delay_alu instid0(VALU_DEP_2) | instskip(NEXT) | instid1(VALU_DEP_1)
	v_cmp_eq_u32_e64 s3, 0, v30
	v_cndmask_b32_e64 v99, v31, v20, s3
; %bb.766:                              ;   in Loop: Header=BB432_10 Depth=1
	s_or_b32 exec_lo, exec_lo, s4
	v_mov_b32_e32 v20, 0
	s_mov_b32 s4, exec_lo
	v_cmpx_lt_u32_e32 0xffffff, v100
	s_cbranch_execz .LBB432_774
; %bb.767:                              ;   in Loop: Header=BB432_10 Depth=1
	v_lshrrev_b32_e32 v101, 24, v100
	v_bfrev_b32_e32 v20, 1
	s_mov_b32 s20, exec_lo
	s_delay_alu instid0(VALU_DEP_2)
	v_cmpx_ne_u32_e32 0x80, v101
	s_cbranch_execz .LBB432_773
; %bb.768:                              ;   in Loop: Header=BB432_10 Depth=1
	v_bfe_u32 v30, v100, 24, 7
	v_mov_b32_e32 v20, 0x7f800001
	s_mov_b32 s21, exec_lo
	s_delay_alu instid0(VALU_DEP_2)
	v_cmpx_ne_u32_e32 0x7f, v30
	s_cbranch_execz .LBB432_772
; %bb.769:                              ;   in Loop: Header=BB432_10 Depth=1
	v_and_b32_e32 v20, 7, v101
	v_lshrrev_b32_e32 v100, 3, v30
	v_cmp_gt_u32_e64 s3, 8, v30
	s_delay_alu instid0(VALU_DEP_3) | instskip(NEXT) | instid1(VALU_DEP_2)
	v_dual_mov_b32 v31, v21 :: v_dual_mov_b32 v30, v20
	s_and_saveexec_b32 s22, s3
; %bb.770:                              ;   in Loop: Header=BB432_10 Depth=1
	v_clz_i32_u32_e32 v30, v20
	s_delay_alu instid0(VALU_DEP_1) | instskip(NEXT) | instid1(VALU_DEP_1)
	v_min_u32_e32 v100, 32, v30
	v_subrev_nc_u32_e32 v30, 28, v100
	v_sub_nc_u32_e32 v100, 29, v100
	s_delay_alu instid0(VALU_DEP_2) | instskip(NEXT) | instid1(VALU_DEP_1)
	v_lshlrev_b64 v[30:31], v30, v[20:21]
	v_and_b32_e32 v30, 7, v30
; %bb.771:                              ;   in Loop: Header=BB432_10 Depth=1
	s_or_b32 exec_lo, exec_lo, s22
	v_lshlrev_b32_e32 v20, 24, v101
	s_delay_alu instid0(VALU_DEP_2) | instskip(SKIP_1) | instid1(VALU_DEP_3)
	v_lshlrev_b32_e32 v30, 20, v30
	v_lshl_add_u32 v31, v100, 23, 0x3c000000
	v_and_b32_e32 v20, 0x80000000, v20
	s_delay_alu instid0(VALU_DEP_1)
	v_or3_b32 v20, v30, v20, v31
.LBB432_772:                            ;   in Loop: Header=BB432_10 Depth=1
	s_or_b32 exec_lo, exec_lo, s21
.LBB432_773:                            ;   in Loop: Header=BB432_10 Depth=1
	s_delay_alu instid0(SALU_CYCLE_1)
	s_or_b32 exec_lo, exec_lo, s20
.LBB432_774:                            ;   in Loop: Header=BB432_10 Depth=1
	s_delay_alu instid0(SALU_CYCLE_1) | instskip(NEXT) | instid1(VALU_DEP_1)
	s_or_b32 exec_lo, exec_lo, s4
	v_mul_f32_e32 v20, v171, v20
                                        ; implicit-def: $vgpr100
	s_delay_alu instid0(VALU_DEP_1) | instskip(NEXT) | instid1(VALU_DEP_1)
	v_and_b32_e32 v30, 0x7f800000, v20
	v_cmp_ne_u32_e64 s3, 0x7f800000, v30
	s_delay_alu instid0(VALU_DEP_1) | instskip(NEXT) | instid1(SALU_CYCLE_1)
	s_and_saveexec_b32 s4, s3
	s_xor_b32 s3, exec_lo, s4
; %bb.775:                              ;   in Loop: Header=BB432_10 Depth=1
	v_bfe_u32 v30, v20, 16, 1
	s_delay_alu instid0(VALU_DEP_1)
	v_add3_u32 v100, v20, v30, 0x7fff
                                        ; implicit-def: $vgpr20
; %bb.776:                              ;   in Loop: Header=BB432_10 Depth=1
	s_and_not1_saveexec_b32 s4, s3
; %bb.777:                              ;   in Loop: Header=BB432_10 Depth=1
	v_and_b32_e32 v30, 0xffff, v20
	v_or_b32_e32 v31, 0x10000, v20
	s_delay_alu instid0(VALU_DEP_2) | instskip(NEXT) | instid1(VALU_DEP_1)
	v_cmp_eq_u32_e64 s3, 0, v30
	v_cndmask_b32_e64 v100, v31, v20, s3
; %bb.778:                              ;   in Loop: Header=BB432_10 Depth=1
	s_or_b32 exec_lo, exec_lo, s4
	flat_load_b32 v112, v[28:29] offset:2048
	v_mov_b32_e32 v20, 0
	s_mov_b32 s4, exec_lo
	s_waitcnt vmcnt(0) lgkmcnt(0)
	v_and_b32_e32 v30, 0xff, v112
	s_delay_alu instid0(VALU_DEP_1)
	v_cmpx_ne_u16_e32 0, v30
	s_cbranch_execz .LBB432_786
; %bb.779:                              ;   in Loop: Header=BB432_10 Depth=1
	v_bfrev_b32_e32 v20, 1
	s_mov_b32 s20, exec_lo
	v_cmpx_ne_u16_e32 0x80, v30
	s_cbranch_execz .LBB432_785
; %bb.780:                              ;   in Loop: Header=BB432_10 Depth=1
	v_and_b32_e32 v30, 0x7f, v112
	v_mov_b32_e32 v20, 0x7f800001
	s_mov_b32 s21, exec_lo
	s_delay_alu instid0(VALU_DEP_2)
	v_cmpx_ne_u32_e32 0x7f, v30
	s_cbranch_execz .LBB432_784
; %bb.781:                              ;   in Loop: Header=BB432_10 Depth=1
	v_and_b32_e32 v20, 7, v112
	v_lshrrev_b32_e32 v101, 3, v30
	v_cmp_gt_u32_e64 s3, 8, v30
	s_delay_alu instid0(VALU_DEP_3) | instskip(NEXT) | instid1(VALU_DEP_2)
	v_dual_mov_b32 v31, v21 :: v_dual_mov_b32 v30, v20
	s_and_saveexec_b32 s22, s3
; %bb.782:                              ;   in Loop: Header=BB432_10 Depth=1
	v_clz_i32_u32_e32 v30, v20
	s_delay_alu instid0(VALU_DEP_1) | instskip(NEXT) | instid1(VALU_DEP_1)
	v_min_u32_e32 v101, 32, v30
	v_subrev_nc_u32_e32 v30, 28, v101
	v_sub_nc_u32_e32 v101, 29, v101
	s_delay_alu instid0(VALU_DEP_2) | instskip(NEXT) | instid1(VALU_DEP_1)
	v_lshlrev_b64 v[30:31], v30, v[20:21]
	v_and_b32_e32 v30, 7, v30
; %bb.783:                              ;   in Loop: Header=BB432_10 Depth=1
	s_or_b32 exec_lo, exec_lo, s22
	v_lshlrev_b32_e32 v20, 24, v112
	s_delay_alu instid0(VALU_DEP_2) | instskip(SKIP_1) | instid1(VALU_DEP_3)
	v_lshlrev_b32_e32 v30, 20, v30
	v_lshl_add_u32 v31, v101, 23, 0x3c000000
	v_and_b32_e32 v20, 0x80000000, v20
	s_delay_alu instid0(VALU_DEP_1)
	v_or3_b32 v20, v30, v20, v31
.LBB432_784:                            ;   in Loop: Header=BB432_10 Depth=1
	s_or_b32 exec_lo, exec_lo, s21
.LBB432_785:                            ;   in Loop: Header=BB432_10 Depth=1
	s_delay_alu instid0(SALU_CYCLE_1)
	s_or_b32 exec_lo, exec_lo, s20
.LBB432_786:                            ;   in Loop: Header=BB432_10 Depth=1
	s_delay_alu instid0(SALU_CYCLE_1) | instskip(NEXT) | instid1(VALU_DEP_1)
	s_or_b32 exec_lo, exec_lo, s4
	v_mul_f32_e32 v20, v171, v20
                                        ; implicit-def: $vgpr101
	s_delay_alu instid0(VALU_DEP_1) | instskip(NEXT) | instid1(VALU_DEP_1)
	v_and_b32_e32 v30, 0x7f800000, v20
	v_cmp_ne_u32_e64 s3, 0x7f800000, v30
	s_delay_alu instid0(VALU_DEP_1) | instskip(NEXT) | instid1(SALU_CYCLE_1)
	s_and_saveexec_b32 s4, s3
	s_xor_b32 s3, exec_lo, s4
; %bb.787:                              ;   in Loop: Header=BB432_10 Depth=1
	v_bfe_u32 v30, v20, 16, 1
	s_delay_alu instid0(VALU_DEP_1)
	v_add3_u32 v101, v20, v30, 0x7fff
                                        ; implicit-def: $vgpr20
; %bb.788:                              ;   in Loop: Header=BB432_10 Depth=1
	s_and_not1_saveexec_b32 s4, s3
; %bb.789:                              ;   in Loop: Header=BB432_10 Depth=1
	v_and_b32_e32 v30, 0xffff, v20
	v_or_b32_e32 v31, 0x10000, v20
	s_delay_alu instid0(VALU_DEP_2) | instskip(NEXT) | instid1(VALU_DEP_1)
	v_cmp_eq_u32_e64 s3, 0, v30
	v_cndmask_b32_e64 v101, v31, v20, s3
; %bb.790:                              ;   in Loop: Header=BB432_10 Depth=1
	s_or_b32 exec_lo, exec_lo, s4
	v_lshrrev_b16 v30, 8, v112
	v_mov_b32_e32 v20, 0
	s_mov_b32 s4, exec_lo
	s_delay_alu instid0(VALU_DEP_2)
	v_cmpx_ne_u16_e32 0, v30
	s_cbranch_execz .LBB432_798
; %bb.791:                              ;   in Loop: Header=BB432_10 Depth=1
	v_bfrev_b32_e32 v20, 1
	s_mov_b32 s20, exec_lo
	v_cmpx_ne_u16_e32 0x80, v30
	s_cbranch_execz .LBB432_797
; %bb.792:                              ;   in Loop: Header=BB432_10 Depth=1
	v_and_b32_e32 v31, 0xffff, v30
	v_mov_b32_e32 v20, 0x7f800001
	s_mov_b32 s21, exec_lo
	s_delay_alu instid0(VALU_DEP_2) | instskip(NEXT) | instid1(VALU_DEP_1)
	v_and_b32_e32 v30, 0x7f, v31
	v_cmpx_ne_u32_e32 0x7f, v30
	s_cbranch_execz .LBB432_796
; %bb.793:                              ;   in Loop: Header=BB432_10 Depth=1
	v_and_b32_e32 v20, 7, v31
	v_lshrrev_b32_e32 v102, 3, v30
	v_cmp_gt_u32_e64 s3, 8, v30
	s_delay_alu instid0(VALU_DEP_3) | instskip(NEXT) | instid1(VALU_DEP_2)
	v_dual_mov_b32 v31, v21 :: v_dual_mov_b32 v30, v20
	s_and_saveexec_b32 s22, s3
; %bb.794:                              ;   in Loop: Header=BB432_10 Depth=1
	v_clz_i32_u32_e32 v30, v20
	s_delay_alu instid0(VALU_DEP_1) | instskip(NEXT) | instid1(VALU_DEP_1)
	v_min_u32_e32 v102, 32, v30
	v_subrev_nc_u32_e32 v30, 28, v102
	v_sub_nc_u32_e32 v102, 29, v102
	s_delay_alu instid0(VALU_DEP_2) | instskip(NEXT) | instid1(VALU_DEP_1)
	v_lshlrev_b64 v[30:31], v30, v[20:21]
	v_and_b32_e32 v30, 7, v30
; %bb.795:                              ;   in Loop: Header=BB432_10 Depth=1
	s_or_b32 exec_lo, exec_lo, s22
	v_lshlrev_b32_e32 v20, 16, v112
	s_delay_alu instid0(VALU_DEP_2) | instskip(SKIP_1) | instid1(VALU_DEP_3)
	v_lshlrev_b32_e32 v30, 20, v30
	v_lshl_add_u32 v31, v102, 23, 0x3c000000
	v_and_b32_e32 v20, 0x80000000, v20
	s_delay_alu instid0(VALU_DEP_1)
	v_or3_b32 v20, v30, v20, v31
.LBB432_796:                            ;   in Loop: Header=BB432_10 Depth=1
	s_or_b32 exec_lo, exec_lo, s21
.LBB432_797:                            ;   in Loop: Header=BB432_10 Depth=1
	s_delay_alu instid0(SALU_CYCLE_1)
	s_or_b32 exec_lo, exec_lo, s20
.LBB432_798:                            ;   in Loop: Header=BB432_10 Depth=1
	s_delay_alu instid0(SALU_CYCLE_1) | instskip(NEXT) | instid1(VALU_DEP_1)
	s_or_b32 exec_lo, exec_lo, s4
	v_mul_f32_e32 v20, v171, v20
                                        ; implicit-def: $vgpr102
	s_delay_alu instid0(VALU_DEP_1) | instskip(NEXT) | instid1(VALU_DEP_1)
	v_and_b32_e32 v30, 0x7f800000, v20
	v_cmp_ne_u32_e64 s3, 0x7f800000, v30
	s_delay_alu instid0(VALU_DEP_1) | instskip(NEXT) | instid1(SALU_CYCLE_1)
	s_and_saveexec_b32 s4, s3
	s_xor_b32 s3, exec_lo, s4
; %bb.799:                              ;   in Loop: Header=BB432_10 Depth=1
	v_bfe_u32 v30, v20, 16, 1
	s_delay_alu instid0(VALU_DEP_1)
	v_add3_u32 v102, v20, v30, 0x7fff
                                        ; implicit-def: $vgpr20
; %bb.800:                              ;   in Loop: Header=BB432_10 Depth=1
	s_and_not1_saveexec_b32 s4, s3
; %bb.801:                              ;   in Loop: Header=BB432_10 Depth=1
	v_and_b32_e32 v30, 0xffff, v20
	v_or_b32_e32 v31, 0x10000, v20
	s_delay_alu instid0(VALU_DEP_2) | instskip(NEXT) | instid1(VALU_DEP_1)
	v_cmp_eq_u32_e64 s3, 0, v30
	v_cndmask_b32_e64 v102, v31, v20, s3
; %bb.802:                              ;   in Loop: Header=BB432_10 Depth=1
	s_or_b32 exec_lo, exec_lo, s4
	v_lshrrev_b32_e32 v103, 16, v112
	v_mov_b32_e32 v20, 0
	s_mov_b32 s4, exec_lo
	s_delay_alu instid0(VALU_DEP_2) | instskip(NEXT) | instid1(VALU_DEP_1)
	v_and_b32_e32 v30, 0xff, v103
	v_cmpx_ne_u16_e32 0, v30
	s_cbranch_execz .LBB432_810
; %bb.803:                              ;   in Loop: Header=BB432_10 Depth=1
	v_bfrev_b32_e32 v20, 1
	s_mov_b32 s20, exec_lo
	v_cmpx_ne_u16_e32 0x80, v30
	s_cbranch_execz .LBB432_809
; %bb.804:                              ;   in Loop: Header=BB432_10 Depth=1
	v_bfe_u32 v30, v112, 16, 7
	v_mov_b32_e32 v20, 0x7f800001
	s_mov_b32 s21, exec_lo
	s_delay_alu instid0(VALU_DEP_2)
	v_cmpx_ne_u32_e32 0x7f, v30
	s_cbranch_execz .LBB432_808
; %bb.805:                              ;   in Loop: Header=BB432_10 Depth=1
	v_and_b32_e32 v20, 7, v103
	v_lshrrev_b32_e32 v113, 3, v30
	v_cmp_gt_u32_e64 s3, 8, v30
	s_delay_alu instid0(VALU_DEP_3) | instskip(NEXT) | instid1(VALU_DEP_2)
	v_dual_mov_b32 v31, v21 :: v_dual_mov_b32 v30, v20
	s_and_saveexec_b32 s22, s3
; %bb.806:                              ;   in Loop: Header=BB432_10 Depth=1
	v_clz_i32_u32_e32 v30, v20
	s_delay_alu instid0(VALU_DEP_1) | instskip(NEXT) | instid1(VALU_DEP_1)
	v_min_u32_e32 v113, 32, v30
	v_subrev_nc_u32_e32 v30, 28, v113
	v_sub_nc_u32_e32 v113, 29, v113
	s_delay_alu instid0(VALU_DEP_2) | instskip(NEXT) | instid1(VALU_DEP_1)
	v_lshlrev_b64 v[30:31], v30, v[20:21]
	v_and_b32_e32 v30, 7, v30
; %bb.807:                              ;   in Loop: Header=BB432_10 Depth=1
	s_or_b32 exec_lo, exec_lo, s22
	v_lshlrev_b32_e32 v20, 24, v103
	s_delay_alu instid0(VALU_DEP_2) | instskip(SKIP_1) | instid1(VALU_DEP_3)
	v_lshlrev_b32_e32 v30, 20, v30
	v_lshl_add_u32 v31, v113, 23, 0x3c000000
	v_and_b32_e32 v20, 0x80000000, v20
	s_delay_alu instid0(VALU_DEP_1)
	v_or3_b32 v20, v30, v20, v31
.LBB432_808:                            ;   in Loop: Header=BB432_10 Depth=1
	s_or_b32 exec_lo, exec_lo, s21
.LBB432_809:                            ;   in Loop: Header=BB432_10 Depth=1
	s_delay_alu instid0(SALU_CYCLE_1)
	s_or_b32 exec_lo, exec_lo, s20
.LBB432_810:                            ;   in Loop: Header=BB432_10 Depth=1
	s_delay_alu instid0(SALU_CYCLE_1) | instskip(NEXT) | instid1(VALU_DEP_1)
	s_or_b32 exec_lo, exec_lo, s4
	v_mul_f32_e32 v20, v171, v20
                                        ; implicit-def: $vgpr103
	s_delay_alu instid0(VALU_DEP_1) | instskip(NEXT) | instid1(VALU_DEP_1)
	v_and_b32_e32 v30, 0x7f800000, v20
	v_cmp_ne_u32_e64 s3, 0x7f800000, v30
	s_delay_alu instid0(VALU_DEP_1) | instskip(NEXT) | instid1(SALU_CYCLE_1)
	s_and_saveexec_b32 s4, s3
	s_xor_b32 s3, exec_lo, s4
; %bb.811:                              ;   in Loop: Header=BB432_10 Depth=1
	v_bfe_u32 v30, v20, 16, 1
	s_delay_alu instid0(VALU_DEP_1)
	v_add3_u32 v103, v20, v30, 0x7fff
                                        ; implicit-def: $vgpr20
; %bb.812:                              ;   in Loop: Header=BB432_10 Depth=1
	s_and_not1_saveexec_b32 s4, s3
; %bb.813:                              ;   in Loop: Header=BB432_10 Depth=1
	v_and_b32_e32 v30, 0xffff, v20
	v_or_b32_e32 v31, 0x10000, v20
	s_delay_alu instid0(VALU_DEP_2) | instskip(NEXT) | instid1(VALU_DEP_1)
	v_cmp_eq_u32_e64 s3, 0, v30
	v_cndmask_b32_e64 v103, v31, v20, s3
; %bb.814:                              ;   in Loop: Header=BB432_10 Depth=1
	s_or_b32 exec_lo, exec_lo, s4
	v_mov_b32_e32 v20, 0
	s_mov_b32 s4, exec_lo
	v_cmpx_lt_u32_e32 0xffffff, v112
	s_cbranch_execz .LBB432_822
; %bb.815:                              ;   in Loop: Header=BB432_10 Depth=1
	v_lshrrev_b32_e32 v113, 24, v112
	v_bfrev_b32_e32 v20, 1
	s_mov_b32 s20, exec_lo
	s_delay_alu instid0(VALU_DEP_2)
	v_cmpx_ne_u32_e32 0x80, v113
	s_cbranch_execz .LBB432_821
; %bb.816:                              ;   in Loop: Header=BB432_10 Depth=1
	v_bfe_u32 v30, v112, 24, 7
	v_mov_b32_e32 v20, 0x7f800001
	s_mov_b32 s21, exec_lo
	s_delay_alu instid0(VALU_DEP_2)
	v_cmpx_ne_u32_e32 0x7f, v30
	s_cbranch_execz .LBB432_820
; %bb.817:                              ;   in Loop: Header=BB432_10 Depth=1
	v_and_b32_e32 v20, 7, v113
	v_lshrrev_b32_e32 v112, 3, v30
	v_cmp_gt_u32_e64 s3, 8, v30
	s_delay_alu instid0(VALU_DEP_3) | instskip(NEXT) | instid1(VALU_DEP_2)
	v_dual_mov_b32 v31, v21 :: v_dual_mov_b32 v30, v20
	s_and_saveexec_b32 s22, s3
; %bb.818:                              ;   in Loop: Header=BB432_10 Depth=1
	v_clz_i32_u32_e32 v30, v20
	s_delay_alu instid0(VALU_DEP_1) | instskip(NEXT) | instid1(VALU_DEP_1)
	v_min_u32_e32 v112, 32, v30
	v_subrev_nc_u32_e32 v30, 28, v112
	v_sub_nc_u32_e32 v112, 29, v112
	s_delay_alu instid0(VALU_DEP_2) | instskip(NEXT) | instid1(VALU_DEP_1)
	v_lshlrev_b64 v[30:31], v30, v[20:21]
	v_and_b32_e32 v30, 7, v30
; %bb.819:                              ;   in Loop: Header=BB432_10 Depth=1
	s_or_b32 exec_lo, exec_lo, s22
	v_lshlrev_b32_e32 v20, 24, v113
	s_delay_alu instid0(VALU_DEP_2) | instskip(SKIP_1) | instid1(VALU_DEP_3)
	v_lshlrev_b32_e32 v30, 20, v30
	v_lshl_add_u32 v31, v112, 23, 0x3c000000
	v_and_b32_e32 v20, 0x80000000, v20
	s_delay_alu instid0(VALU_DEP_1)
	v_or3_b32 v20, v30, v20, v31
.LBB432_820:                            ;   in Loop: Header=BB432_10 Depth=1
	s_or_b32 exec_lo, exec_lo, s21
.LBB432_821:                            ;   in Loop: Header=BB432_10 Depth=1
	s_delay_alu instid0(SALU_CYCLE_1)
	s_or_b32 exec_lo, exec_lo, s20
.LBB432_822:                            ;   in Loop: Header=BB432_10 Depth=1
	s_delay_alu instid0(SALU_CYCLE_1) | instskip(NEXT) | instid1(VALU_DEP_1)
	s_or_b32 exec_lo, exec_lo, s4
	v_mul_f32_e32 v20, v171, v20
                                        ; implicit-def: $vgpr112
	s_delay_alu instid0(VALU_DEP_1) | instskip(NEXT) | instid1(VALU_DEP_1)
	v_and_b32_e32 v30, 0x7f800000, v20
	v_cmp_ne_u32_e64 s3, 0x7f800000, v30
	s_delay_alu instid0(VALU_DEP_1) | instskip(NEXT) | instid1(SALU_CYCLE_1)
	s_and_saveexec_b32 s4, s3
	s_xor_b32 s3, exec_lo, s4
; %bb.823:                              ;   in Loop: Header=BB432_10 Depth=1
	v_bfe_u32 v30, v20, 16, 1
	s_delay_alu instid0(VALU_DEP_1)
	v_add3_u32 v112, v20, v30, 0x7fff
                                        ; implicit-def: $vgpr20
; %bb.824:                              ;   in Loop: Header=BB432_10 Depth=1
	s_and_not1_saveexec_b32 s4, s3
; %bb.825:                              ;   in Loop: Header=BB432_10 Depth=1
	v_and_b32_e32 v30, 0xffff, v20
	v_or_b32_e32 v31, 0x10000, v20
	s_delay_alu instid0(VALU_DEP_2) | instskip(NEXT) | instid1(VALU_DEP_1)
	v_cmp_eq_u32_e64 s3, 0, v30
	v_cndmask_b32_e64 v112, v31, v20, s3
; %bb.826:                              ;   in Loop: Header=BB432_10 Depth=1
	s_or_b32 exec_lo, exec_lo, s4
	flat_load_b32 v116, v[28:29] offset:2056
	v_mov_b32_e32 v20, 0
	s_mov_b32 s4, exec_lo
	s_waitcnt vmcnt(0) lgkmcnt(0)
	v_and_b32_e32 v30, 0xff, v116
	s_delay_alu instid0(VALU_DEP_1)
	v_cmpx_ne_u16_e32 0, v30
	s_cbranch_execz .LBB432_834
; %bb.827:                              ;   in Loop: Header=BB432_10 Depth=1
	v_bfrev_b32_e32 v20, 1
	s_mov_b32 s20, exec_lo
	v_cmpx_ne_u16_e32 0x80, v30
	s_cbranch_execz .LBB432_833
; %bb.828:                              ;   in Loop: Header=BB432_10 Depth=1
	v_and_b32_e32 v30, 0x7f, v116
	v_mov_b32_e32 v20, 0x7f800001
	s_mov_b32 s21, exec_lo
	s_delay_alu instid0(VALU_DEP_2)
	v_cmpx_ne_u32_e32 0x7f, v30
	s_cbranch_execz .LBB432_832
; %bb.829:                              ;   in Loop: Header=BB432_10 Depth=1
	v_and_b32_e32 v20, 7, v116
	v_lshrrev_b32_e32 v113, 3, v30
	v_cmp_gt_u32_e64 s3, 8, v30
	s_delay_alu instid0(VALU_DEP_3) | instskip(NEXT) | instid1(VALU_DEP_2)
	v_dual_mov_b32 v31, v21 :: v_dual_mov_b32 v30, v20
	s_and_saveexec_b32 s22, s3
; %bb.830:                              ;   in Loop: Header=BB432_10 Depth=1
	v_clz_i32_u32_e32 v30, v20
	s_delay_alu instid0(VALU_DEP_1) | instskip(NEXT) | instid1(VALU_DEP_1)
	v_min_u32_e32 v113, 32, v30
	v_subrev_nc_u32_e32 v30, 28, v113
	v_sub_nc_u32_e32 v113, 29, v113
	s_delay_alu instid0(VALU_DEP_2) | instskip(NEXT) | instid1(VALU_DEP_1)
	v_lshlrev_b64 v[30:31], v30, v[20:21]
	v_and_b32_e32 v30, 7, v30
; %bb.831:                              ;   in Loop: Header=BB432_10 Depth=1
	s_or_b32 exec_lo, exec_lo, s22
	v_lshlrev_b32_e32 v20, 24, v116
	s_delay_alu instid0(VALU_DEP_2) | instskip(SKIP_1) | instid1(VALU_DEP_3)
	v_lshlrev_b32_e32 v30, 20, v30
	v_lshl_add_u32 v31, v113, 23, 0x3c000000
	v_and_b32_e32 v20, 0x80000000, v20
	s_delay_alu instid0(VALU_DEP_1)
	v_or3_b32 v20, v30, v20, v31
.LBB432_832:                            ;   in Loop: Header=BB432_10 Depth=1
	s_or_b32 exec_lo, exec_lo, s21
.LBB432_833:                            ;   in Loop: Header=BB432_10 Depth=1
	s_delay_alu instid0(SALU_CYCLE_1)
	s_or_b32 exec_lo, exec_lo, s20
.LBB432_834:                            ;   in Loop: Header=BB432_10 Depth=1
	s_delay_alu instid0(SALU_CYCLE_1) | instskip(NEXT) | instid1(VALU_DEP_1)
	s_or_b32 exec_lo, exec_lo, s4
	v_mul_f32_e32 v20, v171, v20
                                        ; implicit-def: $vgpr113
	s_delay_alu instid0(VALU_DEP_1) | instskip(NEXT) | instid1(VALU_DEP_1)
	v_and_b32_e32 v30, 0x7f800000, v20
	v_cmp_ne_u32_e64 s3, 0x7f800000, v30
	s_delay_alu instid0(VALU_DEP_1) | instskip(NEXT) | instid1(SALU_CYCLE_1)
	s_and_saveexec_b32 s4, s3
	s_xor_b32 s3, exec_lo, s4
; %bb.835:                              ;   in Loop: Header=BB432_10 Depth=1
	v_bfe_u32 v30, v20, 16, 1
	s_delay_alu instid0(VALU_DEP_1)
	v_add3_u32 v113, v20, v30, 0x7fff
                                        ; implicit-def: $vgpr20
; %bb.836:                              ;   in Loop: Header=BB432_10 Depth=1
	s_and_not1_saveexec_b32 s4, s3
; %bb.837:                              ;   in Loop: Header=BB432_10 Depth=1
	v_and_b32_e32 v30, 0xffff, v20
	v_or_b32_e32 v31, 0x10000, v20
	s_delay_alu instid0(VALU_DEP_2) | instskip(NEXT) | instid1(VALU_DEP_1)
	v_cmp_eq_u32_e64 s3, 0, v30
	v_cndmask_b32_e64 v113, v31, v20, s3
; %bb.838:                              ;   in Loop: Header=BB432_10 Depth=1
	s_or_b32 exec_lo, exec_lo, s4
	v_lshrrev_b16 v30, 8, v116
	v_mov_b32_e32 v20, 0
	s_mov_b32 s4, exec_lo
	s_delay_alu instid0(VALU_DEP_2)
	v_cmpx_ne_u16_e32 0, v30
	s_cbranch_execz .LBB432_846
; %bb.839:                              ;   in Loop: Header=BB432_10 Depth=1
	v_bfrev_b32_e32 v20, 1
	s_mov_b32 s20, exec_lo
	v_cmpx_ne_u16_e32 0x80, v30
	s_cbranch_execz .LBB432_845
; %bb.840:                              ;   in Loop: Header=BB432_10 Depth=1
	v_and_b32_e32 v31, 0xffff, v30
	v_mov_b32_e32 v20, 0x7f800001
	s_mov_b32 s21, exec_lo
	s_delay_alu instid0(VALU_DEP_2) | instskip(NEXT) | instid1(VALU_DEP_1)
	v_and_b32_e32 v30, 0x7f, v31
	v_cmpx_ne_u32_e32 0x7f, v30
	s_cbranch_execz .LBB432_844
; %bb.841:                              ;   in Loop: Header=BB432_10 Depth=1
	v_and_b32_e32 v20, 7, v31
	v_lshrrev_b32_e32 v114, 3, v30
	v_cmp_gt_u32_e64 s3, 8, v30
	s_delay_alu instid0(VALU_DEP_3) | instskip(NEXT) | instid1(VALU_DEP_2)
	v_dual_mov_b32 v31, v21 :: v_dual_mov_b32 v30, v20
	s_and_saveexec_b32 s22, s3
; %bb.842:                              ;   in Loop: Header=BB432_10 Depth=1
	v_clz_i32_u32_e32 v30, v20
	s_delay_alu instid0(VALU_DEP_1) | instskip(NEXT) | instid1(VALU_DEP_1)
	v_min_u32_e32 v114, 32, v30
	v_subrev_nc_u32_e32 v30, 28, v114
	v_sub_nc_u32_e32 v114, 29, v114
	s_delay_alu instid0(VALU_DEP_2) | instskip(NEXT) | instid1(VALU_DEP_1)
	v_lshlrev_b64 v[30:31], v30, v[20:21]
	v_and_b32_e32 v30, 7, v30
; %bb.843:                              ;   in Loop: Header=BB432_10 Depth=1
	s_or_b32 exec_lo, exec_lo, s22
	v_lshlrev_b32_e32 v20, 16, v116
	s_delay_alu instid0(VALU_DEP_2) | instskip(SKIP_1) | instid1(VALU_DEP_3)
	v_lshlrev_b32_e32 v30, 20, v30
	v_lshl_add_u32 v31, v114, 23, 0x3c000000
	v_and_b32_e32 v20, 0x80000000, v20
	s_delay_alu instid0(VALU_DEP_1)
	v_or3_b32 v20, v30, v20, v31
.LBB432_844:                            ;   in Loop: Header=BB432_10 Depth=1
	s_or_b32 exec_lo, exec_lo, s21
.LBB432_845:                            ;   in Loop: Header=BB432_10 Depth=1
	s_delay_alu instid0(SALU_CYCLE_1)
	s_or_b32 exec_lo, exec_lo, s20
.LBB432_846:                            ;   in Loop: Header=BB432_10 Depth=1
	s_delay_alu instid0(SALU_CYCLE_1) | instskip(NEXT) | instid1(VALU_DEP_1)
	s_or_b32 exec_lo, exec_lo, s4
	v_mul_f32_e32 v20, v171, v20
                                        ; implicit-def: $vgpr114
	s_delay_alu instid0(VALU_DEP_1) | instskip(NEXT) | instid1(VALU_DEP_1)
	v_and_b32_e32 v30, 0x7f800000, v20
	v_cmp_ne_u32_e64 s3, 0x7f800000, v30
	s_delay_alu instid0(VALU_DEP_1) | instskip(NEXT) | instid1(SALU_CYCLE_1)
	s_and_saveexec_b32 s4, s3
	s_xor_b32 s3, exec_lo, s4
; %bb.847:                              ;   in Loop: Header=BB432_10 Depth=1
	v_bfe_u32 v30, v20, 16, 1
	s_delay_alu instid0(VALU_DEP_1)
	v_add3_u32 v114, v20, v30, 0x7fff
                                        ; implicit-def: $vgpr20
; %bb.848:                              ;   in Loop: Header=BB432_10 Depth=1
	s_and_not1_saveexec_b32 s4, s3
; %bb.849:                              ;   in Loop: Header=BB432_10 Depth=1
	v_and_b32_e32 v30, 0xffff, v20
	v_or_b32_e32 v31, 0x10000, v20
	s_delay_alu instid0(VALU_DEP_2) | instskip(NEXT) | instid1(VALU_DEP_1)
	v_cmp_eq_u32_e64 s3, 0, v30
	v_cndmask_b32_e64 v114, v31, v20, s3
; %bb.850:                              ;   in Loop: Header=BB432_10 Depth=1
	s_or_b32 exec_lo, exec_lo, s4
	v_lshrrev_b32_e32 v115, 16, v116
	v_mov_b32_e32 v20, 0
	s_mov_b32 s4, exec_lo
	s_delay_alu instid0(VALU_DEP_2) | instskip(NEXT) | instid1(VALU_DEP_1)
	v_and_b32_e32 v30, 0xff, v115
	v_cmpx_ne_u16_e32 0, v30
	s_cbranch_execz .LBB432_858
; %bb.851:                              ;   in Loop: Header=BB432_10 Depth=1
	v_bfrev_b32_e32 v20, 1
	s_mov_b32 s20, exec_lo
	v_cmpx_ne_u16_e32 0x80, v30
	s_cbranch_execz .LBB432_857
; %bb.852:                              ;   in Loop: Header=BB432_10 Depth=1
	v_bfe_u32 v30, v116, 16, 7
	v_mov_b32_e32 v20, 0x7f800001
	s_mov_b32 s21, exec_lo
	s_delay_alu instid0(VALU_DEP_2)
	v_cmpx_ne_u32_e32 0x7f, v30
	s_cbranch_execz .LBB432_856
; %bb.853:                              ;   in Loop: Header=BB432_10 Depth=1
	v_and_b32_e32 v20, 7, v115
	v_lshrrev_b32_e32 v117, 3, v30
	v_cmp_gt_u32_e64 s3, 8, v30
	s_delay_alu instid0(VALU_DEP_3) | instskip(NEXT) | instid1(VALU_DEP_2)
	v_dual_mov_b32 v31, v21 :: v_dual_mov_b32 v30, v20
	s_and_saveexec_b32 s22, s3
; %bb.854:                              ;   in Loop: Header=BB432_10 Depth=1
	v_clz_i32_u32_e32 v30, v20
	s_delay_alu instid0(VALU_DEP_1) | instskip(NEXT) | instid1(VALU_DEP_1)
	v_min_u32_e32 v117, 32, v30
	v_subrev_nc_u32_e32 v30, 28, v117
	v_sub_nc_u32_e32 v117, 29, v117
	s_delay_alu instid0(VALU_DEP_2) | instskip(NEXT) | instid1(VALU_DEP_1)
	v_lshlrev_b64 v[30:31], v30, v[20:21]
	v_and_b32_e32 v30, 7, v30
; %bb.855:                              ;   in Loop: Header=BB432_10 Depth=1
	s_or_b32 exec_lo, exec_lo, s22
	v_lshlrev_b32_e32 v20, 24, v115
	s_delay_alu instid0(VALU_DEP_2) | instskip(SKIP_1) | instid1(VALU_DEP_3)
	v_lshlrev_b32_e32 v30, 20, v30
	v_lshl_add_u32 v31, v117, 23, 0x3c000000
	v_and_b32_e32 v20, 0x80000000, v20
	s_delay_alu instid0(VALU_DEP_1)
	v_or3_b32 v20, v30, v20, v31
.LBB432_856:                            ;   in Loop: Header=BB432_10 Depth=1
	s_or_b32 exec_lo, exec_lo, s21
.LBB432_857:                            ;   in Loop: Header=BB432_10 Depth=1
	s_delay_alu instid0(SALU_CYCLE_1)
	s_or_b32 exec_lo, exec_lo, s20
.LBB432_858:                            ;   in Loop: Header=BB432_10 Depth=1
	s_delay_alu instid0(SALU_CYCLE_1) | instskip(NEXT) | instid1(VALU_DEP_1)
	s_or_b32 exec_lo, exec_lo, s4
	v_mul_f32_e32 v20, v171, v20
                                        ; implicit-def: $vgpr115
	s_delay_alu instid0(VALU_DEP_1) | instskip(NEXT) | instid1(VALU_DEP_1)
	v_and_b32_e32 v30, 0x7f800000, v20
	v_cmp_ne_u32_e64 s3, 0x7f800000, v30
	s_delay_alu instid0(VALU_DEP_1) | instskip(NEXT) | instid1(SALU_CYCLE_1)
	s_and_saveexec_b32 s4, s3
	s_xor_b32 s3, exec_lo, s4
; %bb.859:                              ;   in Loop: Header=BB432_10 Depth=1
	v_bfe_u32 v30, v20, 16, 1
	s_delay_alu instid0(VALU_DEP_1)
	v_add3_u32 v115, v20, v30, 0x7fff
                                        ; implicit-def: $vgpr20
; %bb.860:                              ;   in Loop: Header=BB432_10 Depth=1
	s_and_not1_saveexec_b32 s4, s3
; %bb.861:                              ;   in Loop: Header=BB432_10 Depth=1
	v_and_b32_e32 v30, 0xffff, v20
	v_or_b32_e32 v31, 0x10000, v20
	s_delay_alu instid0(VALU_DEP_2) | instskip(NEXT) | instid1(VALU_DEP_1)
	v_cmp_eq_u32_e64 s3, 0, v30
	v_cndmask_b32_e64 v115, v31, v20, s3
; %bb.862:                              ;   in Loop: Header=BB432_10 Depth=1
	s_or_b32 exec_lo, exec_lo, s4
	v_mov_b32_e32 v20, 0
	s_mov_b32 s4, exec_lo
	v_cmpx_lt_u32_e32 0xffffff, v116
	s_cbranch_execz .LBB432_870
; %bb.863:                              ;   in Loop: Header=BB432_10 Depth=1
	v_lshrrev_b32_e32 v117, 24, v116
	v_bfrev_b32_e32 v20, 1
	s_mov_b32 s20, exec_lo
	s_delay_alu instid0(VALU_DEP_2)
	v_cmpx_ne_u32_e32 0x80, v117
	s_cbranch_execz .LBB432_869
; %bb.864:                              ;   in Loop: Header=BB432_10 Depth=1
	v_bfe_u32 v30, v116, 24, 7
	v_mov_b32_e32 v20, 0x7f800001
	s_mov_b32 s21, exec_lo
	s_delay_alu instid0(VALU_DEP_2)
	v_cmpx_ne_u32_e32 0x7f, v30
	s_cbranch_execz .LBB432_868
; %bb.865:                              ;   in Loop: Header=BB432_10 Depth=1
	v_and_b32_e32 v20, 7, v117
	v_lshrrev_b32_e32 v116, 3, v30
	v_cmp_gt_u32_e64 s3, 8, v30
	s_delay_alu instid0(VALU_DEP_3) | instskip(NEXT) | instid1(VALU_DEP_2)
	v_dual_mov_b32 v31, v21 :: v_dual_mov_b32 v30, v20
	s_and_saveexec_b32 s22, s3
; %bb.866:                              ;   in Loop: Header=BB432_10 Depth=1
	v_clz_i32_u32_e32 v30, v20
	s_delay_alu instid0(VALU_DEP_1) | instskip(NEXT) | instid1(VALU_DEP_1)
	v_min_u32_e32 v116, 32, v30
	v_subrev_nc_u32_e32 v30, 28, v116
	v_sub_nc_u32_e32 v116, 29, v116
	s_delay_alu instid0(VALU_DEP_2) | instskip(NEXT) | instid1(VALU_DEP_1)
	v_lshlrev_b64 v[30:31], v30, v[20:21]
	v_and_b32_e32 v30, 7, v30
; %bb.867:                              ;   in Loop: Header=BB432_10 Depth=1
	s_or_b32 exec_lo, exec_lo, s22
	v_lshlrev_b32_e32 v20, 24, v117
	s_delay_alu instid0(VALU_DEP_2) | instskip(SKIP_1) | instid1(VALU_DEP_3)
	v_lshlrev_b32_e32 v30, 20, v30
	v_lshl_add_u32 v31, v116, 23, 0x3c000000
	v_and_b32_e32 v20, 0x80000000, v20
	s_delay_alu instid0(VALU_DEP_1)
	v_or3_b32 v20, v30, v20, v31
.LBB432_868:                            ;   in Loop: Header=BB432_10 Depth=1
	s_or_b32 exec_lo, exec_lo, s21
.LBB432_869:                            ;   in Loop: Header=BB432_10 Depth=1
	s_delay_alu instid0(SALU_CYCLE_1)
	s_or_b32 exec_lo, exec_lo, s20
.LBB432_870:                            ;   in Loop: Header=BB432_10 Depth=1
	s_delay_alu instid0(SALU_CYCLE_1) | instskip(NEXT) | instid1(VALU_DEP_1)
	s_or_b32 exec_lo, exec_lo, s4
	v_mul_f32_e32 v20, v171, v20
                                        ; implicit-def: $vgpr116
	s_delay_alu instid0(VALU_DEP_1) | instskip(NEXT) | instid1(VALU_DEP_1)
	v_and_b32_e32 v30, 0x7f800000, v20
	v_cmp_ne_u32_e64 s3, 0x7f800000, v30
	s_delay_alu instid0(VALU_DEP_1) | instskip(NEXT) | instid1(SALU_CYCLE_1)
	s_and_saveexec_b32 s4, s3
	s_xor_b32 s3, exec_lo, s4
; %bb.871:                              ;   in Loop: Header=BB432_10 Depth=1
	v_bfe_u32 v30, v20, 16, 1
	s_delay_alu instid0(VALU_DEP_1)
	v_add3_u32 v116, v20, v30, 0x7fff
                                        ; implicit-def: $vgpr20
; %bb.872:                              ;   in Loop: Header=BB432_10 Depth=1
	s_and_not1_saveexec_b32 s4, s3
; %bb.873:                              ;   in Loop: Header=BB432_10 Depth=1
	v_and_b32_e32 v30, 0xffff, v20
	v_or_b32_e32 v31, 0x10000, v20
	s_delay_alu instid0(VALU_DEP_2) | instskip(NEXT) | instid1(VALU_DEP_1)
	v_cmp_eq_u32_e64 s3, 0, v30
	v_cndmask_b32_e64 v116, v31, v20, s3
; %bb.874:                              ;   in Loop: Header=BB432_10 Depth=1
	s_or_b32 exec_lo, exec_lo, s4
	flat_load_b32 v128, v[28:29] offset:2304
	v_mov_b32_e32 v20, 0
	s_mov_b32 s4, exec_lo
	s_waitcnt vmcnt(0) lgkmcnt(0)
	v_and_b32_e32 v30, 0xff, v128
	s_delay_alu instid0(VALU_DEP_1)
	v_cmpx_ne_u16_e32 0, v30
	s_cbranch_execz .LBB432_882
; %bb.875:                              ;   in Loop: Header=BB432_10 Depth=1
	v_bfrev_b32_e32 v20, 1
	s_mov_b32 s20, exec_lo
	v_cmpx_ne_u16_e32 0x80, v30
	s_cbranch_execz .LBB432_881
; %bb.876:                              ;   in Loop: Header=BB432_10 Depth=1
	v_and_b32_e32 v30, 0x7f, v128
	v_mov_b32_e32 v20, 0x7f800001
	s_mov_b32 s21, exec_lo
	s_delay_alu instid0(VALU_DEP_2)
	v_cmpx_ne_u32_e32 0x7f, v30
	s_cbranch_execz .LBB432_880
; %bb.877:                              ;   in Loop: Header=BB432_10 Depth=1
	v_and_b32_e32 v20, 7, v128
	v_lshrrev_b32_e32 v117, 3, v30
	v_cmp_gt_u32_e64 s3, 8, v30
	s_delay_alu instid0(VALU_DEP_3) | instskip(NEXT) | instid1(VALU_DEP_2)
	v_dual_mov_b32 v31, v21 :: v_dual_mov_b32 v30, v20
	s_and_saveexec_b32 s22, s3
; %bb.878:                              ;   in Loop: Header=BB432_10 Depth=1
	v_clz_i32_u32_e32 v30, v20
	s_delay_alu instid0(VALU_DEP_1) | instskip(NEXT) | instid1(VALU_DEP_1)
	v_min_u32_e32 v117, 32, v30
	v_subrev_nc_u32_e32 v30, 28, v117
	v_sub_nc_u32_e32 v117, 29, v117
	s_delay_alu instid0(VALU_DEP_2) | instskip(NEXT) | instid1(VALU_DEP_1)
	v_lshlrev_b64 v[30:31], v30, v[20:21]
	v_and_b32_e32 v30, 7, v30
; %bb.879:                              ;   in Loop: Header=BB432_10 Depth=1
	s_or_b32 exec_lo, exec_lo, s22
	v_lshlrev_b32_e32 v20, 24, v128
	s_delay_alu instid0(VALU_DEP_2) | instskip(SKIP_1) | instid1(VALU_DEP_3)
	v_lshlrev_b32_e32 v30, 20, v30
	v_lshl_add_u32 v31, v117, 23, 0x3c000000
	v_and_b32_e32 v20, 0x80000000, v20
	s_delay_alu instid0(VALU_DEP_1)
	v_or3_b32 v20, v30, v20, v31
.LBB432_880:                            ;   in Loop: Header=BB432_10 Depth=1
	s_or_b32 exec_lo, exec_lo, s21
.LBB432_881:                            ;   in Loop: Header=BB432_10 Depth=1
	s_delay_alu instid0(SALU_CYCLE_1)
	s_or_b32 exec_lo, exec_lo, s20
.LBB432_882:                            ;   in Loop: Header=BB432_10 Depth=1
	s_delay_alu instid0(SALU_CYCLE_1) | instskip(NEXT) | instid1(VALU_DEP_1)
	s_or_b32 exec_lo, exec_lo, s4
	v_mul_f32_e32 v20, v171, v20
                                        ; implicit-def: $vgpr117
	s_delay_alu instid0(VALU_DEP_1) | instskip(NEXT) | instid1(VALU_DEP_1)
	v_and_b32_e32 v30, 0x7f800000, v20
	v_cmp_ne_u32_e64 s3, 0x7f800000, v30
	s_delay_alu instid0(VALU_DEP_1) | instskip(NEXT) | instid1(SALU_CYCLE_1)
	s_and_saveexec_b32 s4, s3
	s_xor_b32 s3, exec_lo, s4
; %bb.883:                              ;   in Loop: Header=BB432_10 Depth=1
	v_bfe_u32 v30, v20, 16, 1
	s_delay_alu instid0(VALU_DEP_1)
	v_add3_u32 v117, v20, v30, 0x7fff
                                        ; implicit-def: $vgpr20
; %bb.884:                              ;   in Loop: Header=BB432_10 Depth=1
	s_and_not1_saveexec_b32 s4, s3
; %bb.885:                              ;   in Loop: Header=BB432_10 Depth=1
	v_and_b32_e32 v30, 0xffff, v20
	v_or_b32_e32 v31, 0x10000, v20
	s_delay_alu instid0(VALU_DEP_2) | instskip(NEXT) | instid1(VALU_DEP_1)
	v_cmp_eq_u32_e64 s3, 0, v30
	v_cndmask_b32_e64 v117, v31, v20, s3
; %bb.886:                              ;   in Loop: Header=BB432_10 Depth=1
	s_or_b32 exec_lo, exec_lo, s4
	v_lshrrev_b16 v30, 8, v128
	v_mov_b32_e32 v20, 0
	s_mov_b32 s4, exec_lo
	s_delay_alu instid0(VALU_DEP_2)
	v_cmpx_ne_u16_e32 0, v30
	s_cbranch_execz .LBB432_894
; %bb.887:                              ;   in Loop: Header=BB432_10 Depth=1
	v_bfrev_b32_e32 v20, 1
	s_mov_b32 s20, exec_lo
	v_cmpx_ne_u16_e32 0x80, v30
	s_cbranch_execz .LBB432_893
; %bb.888:                              ;   in Loop: Header=BB432_10 Depth=1
	v_and_b32_e32 v31, 0xffff, v30
	v_mov_b32_e32 v20, 0x7f800001
	s_mov_b32 s21, exec_lo
	s_delay_alu instid0(VALU_DEP_2) | instskip(NEXT) | instid1(VALU_DEP_1)
	v_and_b32_e32 v30, 0x7f, v31
	v_cmpx_ne_u32_e32 0x7f, v30
	s_cbranch_execz .LBB432_892
; %bb.889:                              ;   in Loop: Header=BB432_10 Depth=1
	v_and_b32_e32 v20, 7, v31
	v_lshrrev_b32_e32 v118, 3, v30
	v_cmp_gt_u32_e64 s3, 8, v30
	s_delay_alu instid0(VALU_DEP_3) | instskip(NEXT) | instid1(VALU_DEP_2)
	v_dual_mov_b32 v31, v21 :: v_dual_mov_b32 v30, v20
	s_and_saveexec_b32 s22, s3
; %bb.890:                              ;   in Loop: Header=BB432_10 Depth=1
	v_clz_i32_u32_e32 v30, v20
	s_delay_alu instid0(VALU_DEP_1) | instskip(NEXT) | instid1(VALU_DEP_1)
	v_min_u32_e32 v118, 32, v30
	v_subrev_nc_u32_e32 v30, 28, v118
	v_sub_nc_u32_e32 v118, 29, v118
	s_delay_alu instid0(VALU_DEP_2) | instskip(NEXT) | instid1(VALU_DEP_1)
	v_lshlrev_b64 v[30:31], v30, v[20:21]
	v_and_b32_e32 v30, 7, v30
; %bb.891:                              ;   in Loop: Header=BB432_10 Depth=1
	s_or_b32 exec_lo, exec_lo, s22
	v_lshlrev_b32_e32 v20, 16, v128
	s_delay_alu instid0(VALU_DEP_2) | instskip(SKIP_1) | instid1(VALU_DEP_3)
	v_lshlrev_b32_e32 v30, 20, v30
	v_lshl_add_u32 v31, v118, 23, 0x3c000000
	v_and_b32_e32 v20, 0x80000000, v20
	s_delay_alu instid0(VALU_DEP_1)
	v_or3_b32 v20, v30, v20, v31
.LBB432_892:                            ;   in Loop: Header=BB432_10 Depth=1
	s_or_b32 exec_lo, exec_lo, s21
.LBB432_893:                            ;   in Loop: Header=BB432_10 Depth=1
	s_delay_alu instid0(SALU_CYCLE_1)
	s_or_b32 exec_lo, exec_lo, s20
.LBB432_894:                            ;   in Loop: Header=BB432_10 Depth=1
	s_delay_alu instid0(SALU_CYCLE_1) | instskip(NEXT) | instid1(VALU_DEP_1)
	s_or_b32 exec_lo, exec_lo, s4
	v_mul_f32_e32 v20, v171, v20
                                        ; implicit-def: $vgpr118
	s_delay_alu instid0(VALU_DEP_1) | instskip(NEXT) | instid1(VALU_DEP_1)
	v_and_b32_e32 v30, 0x7f800000, v20
	v_cmp_ne_u32_e64 s3, 0x7f800000, v30
	s_delay_alu instid0(VALU_DEP_1) | instskip(NEXT) | instid1(SALU_CYCLE_1)
	s_and_saveexec_b32 s4, s3
	s_xor_b32 s3, exec_lo, s4
; %bb.895:                              ;   in Loop: Header=BB432_10 Depth=1
	v_bfe_u32 v30, v20, 16, 1
	s_delay_alu instid0(VALU_DEP_1)
	v_add3_u32 v118, v20, v30, 0x7fff
                                        ; implicit-def: $vgpr20
; %bb.896:                              ;   in Loop: Header=BB432_10 Depth=1
	s_and_not1_saveexec_b32 s4, s3
; %bb.897:                              ;   in Loop: Header=BB432_10 Depth=1
	v_and_b32_e32 v30, 0xffff, v20
	v_or_b32_e32 v31, 0x10000, v20
	s_delay_alu instid0(VALU_DEP_2) | instskip(NEXT) | instid1(VALU_DEP_1)
	v_cmp_eq_u32_e64 s3, 0, v30
	v_cndmask_b32_e64 v118, v31, v20, s3
; %bb.898:                              ;   in Loop: Header=BB432_10 Depth=1
	s_or_b32 exec_lo, exec_lo, s4
	v_lshrrev_b32_e32 v119, 16, v128
	v_mov_b32_e32 v20, 0
	s_mov_b32 s4, exec_lo
	s_delay_alu instid0(VALU_DEP_2) | instskip(NEXT) | instid1(VALU_DEP_1)
	v_and_b32_e32 v30, 0xff, v119
	v_cmpx_ne_u16_e32 0, v30
	s_cbranch_execz .LBB432_906
; %bb.899:                              ;   in Loop: Header=BB432_10 Depth=1
	v_bfrev_b32_e32 v20, 1
	s_mov_b32 s20, exec_lo
	v_cmpx_ne_u16_e32 0x80, v30
	s_cbranch_execz .LBB432_905
; %bb.900:                              ;   in Loop: Header=BB432_10 Depth=1
	v_bfe_u32 v30, v128, 16, 7
	v_mov_b32_e32 v20, 0x7f800001
	s_mov_b32 s21, exec_lo
	s_delay_alu instid0(VALU_DEP_2)
	v_cmpx_ne_u32_e32 0x7f, v30
	s_cbranch_execz .LBB432_904
; %bb.901:                              ;   in Loop: Header=BB432_10 Depth=1
	v_and_b32_e32 v20, 7, v119
	v_lshrrev_b32_e32 v129, 3, v30
	v_cmp_gt_u32_e64 s3, 8, v30
	s_delay_alu instid0(VALU_DEP_3) | instskip(NEXT) | instid1(VALU_DEP_2)
	v_dual_mov_b32 v31, v21 :: v_dual_mov_b32 v30, v20
	s_and_saveexec_b32 s22, s3
; %bb.902:                              ;   in Loop: Header=BB432_10 Depth=1
	v_clz_i32_u32_e32 v30, v20
	s_delay_alu instid0(VALU_DEP_1) | instskip(NEXT) | instid1(VALU_DEP_1)
	v_min_u32_e32 v129, 32, v30
	v_subrev_nc_u32_e32 v30, 28, v129
	v_sub_nc_u32_e32 v129, 29, v129
	s_delay_alu instid0(VALU_DEP_2) | instskip(NEXT) | instid1(VALU_DEP_1)
	v_lshlrev_b64 v[30:31], v30, v[20:21]
	v_and_b32_e32 v30, 7, v30
; %bb.903:                              ;   in Loop: Header=BB432_10 Depth=1
	s_or_b32 exec_lo, exec_lo, s22
	v_lshlrev_b32_e32 v20, 24, v119
	s_delay_alu instid0(VALU_DEP_2) | instskip(SKIP_1) | instid1(VALU_DEP_3)
	v_lshlrev_b32_e32 v30, 20, v30
	v_lshl_add_u32 v31, v129, 23, 0x3c000000
	v_and_b32_e32 v20, 0x80000000, v20
	s_delay_alu instid0(VALU_DEP_1)
	v_or3_b32 v20, v30, v20, v31
.LBB432_904:                            ;   in Loop: Header=BB432_10 Depth=1
	s_or_b32 exec_lo, exec_lo, s21
.LBB432_905:                            ;   in Loop: Header=BB432_10 Depth=1
	s_delay_alu instid0(SALU_CYCLE_1)
	s_or_b32 exec_lo, exec_lo, s20
.LBB432_906:                            ;   in Loop: Header=BB432_10 Depth=1
	s_delay_alu instid0(SALU_CYCLE_1) | instskip(NEXT) | instid1(VALU_DEP_1)
	s_or_b32 exec_lo, exec_lo, s4
	v_mul_f32_e32 v20, v171, v20
                                        ; implicit-def: $vgpr119
	s_delay_alu instid0(VALU_DEP_1) | instskip(NEXT) | instid1(VALU_DEP_1)
	v_and_b32_e32 v30, 0x7f800000, v20
	v_cmp_ne_u32_e64 s3, 0x7f800000, v30
	s_delay_alu instid0(VALU_DEP_1) | instskip(NEXT) | instid1(SALU_CYCLE_1)
	s_and_saveexec_b32 s4, s3
	s_xor_b32 s3, exec_lo, s4
; %bb.907:                              ;   in Loop: Header=BB432_10 Depth=1
	v_bfe_u32 v30, v20, 16, 1
	s_delay_alu instid0(VALU_DEP_1)
	v_add3_u32 v119, v20, v30, 0x7fff
                                        ; implicit-def: $vgpr20
; %bb.908:                              ;   in Loop: Header=BB432_10 Depth=1
	s_and_not1_saveexec_b32 s4, s3
; %bb.909:                              ;   in Loop: Header=BB432_10 Depth=1
	v_and_b32_e32 v30, 0xffff, v20
	v_or_b32_e32 v31, 0x10000, v20
	s_delay_alu instid0(VALU_DEP_2) | instskip(NEXT) | instid1(VALU_DEP_1)
	v_cmp_eq_u32_e64 s3, 0, v30
	v_cndmask_b32_e64 v119, v31, v20, s3
; %bb.910:                              ;   in Loop: Header=BB432_10 Depth=1
	s_or_b32 exec_lo, exec_lo, s4
	v_mov_b32_e32 v20, 0
	s_mov_b32 s4, exec_lo
	v_cmpx_lt_u32_e32 0xffffff, v128
	s_cbranch_execz .LBB432_918
; %bb.911:                              ;   in Loop: Header=BB432_10 Depth=1
	v_lshrrev_b32_e32 v129, 24, v128
	v_bfrev_b32_e32 v20, 1
	s_mov_b32 s20, exec_lo
	s_delay_alu instid0(VALU_DEP_2)
	v_cmpx_ne_u32_e32 0x80, v129
	s_cbranch_execz .LBB432_917
; %bb.912:                              ;   in Loop: Header=BB432_10 Depth=1
	v_bfe_u32 v30, v128, 24, 7
	v_mov_b32_e32 v20, 0x7f800001
	s_mov_b32 s21, exec_lo
	s_delay_alu instid0(VALU_DEP_2)
	v_cmpx_ne_u32_e32 0x7f, v30
	s_cbranch_execz .LBB432_916
; %bb.913:                              ;   in Loop: Header=BB432_10 Depth=1
	v_and_b32_e32 v20, 7, v129
	v_lshrrev_b32_e32 v128, 3, v30
	v_cmp_gt_u32_e64 s3, 8, v30
	s_delay_alu instid0(VALU_DEP_3) | instskip(NEXT) | instid1(VALU_DEP_2)
	v_dual_mov_b32 v31, v21 :: v_dual_mov_b32 v30, v20
	s_and_saveexec_b32 s22, s3
; %bb.914:                              ;   in Loop: Header=BB432_10 Depth=1
	v_clz_i32_u32_e32 v30, v20
	s_delay_alu instid0(VALU_DEP_1) | instskip(NEXT) | instid1(VALU_DEP_1)
	v_min_u32_e32 v128, 32, v30
	v_subrev_nc_u32_e32 v30, 28, v128
	v_sub_nc_u32_e32 v128, 29, v128
	s_delay_alu instid0(VALU_DEP_2) | instskip(NEXT) | instid1(VALU_DEP_1)
	v_lshlrev_b64 v[30:31], v30, v[20:21]
	v_and_b32_e32 v30, 7, v30
; %bb.915:                              ;   in Loop: Header=BB432_10 Depth=1
	s_or_b32 exec_lo, exec_lo, s22
	v_lshlrev_b32_e32 v20, 24, v129
	s_delay_alu instid0(VALU_DEP_2) | instskip(SKIP_1) | instid1(VALU_DEP_3)
	v_lshlrev_b32_e32 v30, 20, v30
	v_lshl_add_u32 v31, v128, 23, 0x3c000000
	v_and_b32_e32 v20, 0x80000000, v20
	s_delay_alu instid0(VALU_DEP_1)
	v_or3_b32 v20, v30, v20, v31
.LBB432_916:                            ;   in Loop: Header=BB432_10 Depth=1
	s_or_b32 exec_lo, exec_lo, s21
.LBB432_917:                            ;   in Loop: Header=BB432_10 Depth=1
	s_delay_alu instid0(SALU_CYCLE_1)
	s_or_b32 exec_lo, exec_lo, s20
.LBB432_918:                            ;   in Loop: Header=BB432_10 Depth=1
	s_delay_alu instid0(SALU_CYCLE_1) | instskip(NEXT) | instid1(VALU_DEP_1)
	s_or_b32 exec_lo, exec_lo, s4
	v_mul_f32_e32 v20, v171, v20
                                        ; implicit-def: $vgpr128
	s_delay_alu instid0(VALU_DEP_1) | instskip(NEXT) | instid1(VALU_DEP_1)
	v_and_b32_e32 v30, 0x7f800000, v20
	v_cmp_ne_u32_e64 s3, 0x7f800000, v30
	s_delay_alu instid0(VALU_DEP_1) | instskip(NEXT) | instid1(SALU_CYCLE_1)
	s_and_saveexec_b32 s4, s3
	s_xor_b32 s3, exec_lo, s4
; %bb.919:                              ;   in Loop: Header=BB432_10 Depth=1
	v_bfe_u32 v30, v20, 16, 1
	s_delay_alu instid0(VALU_DEP_1)
	v_add3_u32 v128, v20, v30, 0x7fff
                                        ; implicit-def: $vgpr20
; %bb.920:                              ;   in Loop: Header=BB432_10 Depth=1
	s_and_not1_saveexec_b32 s4, s3
; %bb.921:                              ;   in Loop: Header=BB432_10 Depth=1
	v_and_b32_e32 v30, 0xffff, v20
	v_or_b32_e32 v31, 0x10000, v20
	s_delay_alu instid0(VALU_DEP_2) | instskip(NEXT) | instid1(VALU_DEP_1)
	v_cmp_eq_u32_e64 s3, 0, v30
	v_cndmask_b32_e64 v128, v31, v20, s3
; %bb.922:                              ;   in Loop: Header=BB432_10 Depth=1
	s_or_b32 exec_lo, exec_lo, s4
	flat_load_b32 v132, v[28:29] offset:2312
	v_mov_b32_e32 v20, 0
	s_mov_b32 s4, exec_lo
	s_waitcnt vmcnt(0) lgkmcnt(0)
	v_and_b32_e32 v30, 0xff, v132
	s_delay_alu instid0(VALU_DEP_1)
	v_cmpx_ne_u16_e32 0, v30
	s_cbranch_execz .LBB432_930
; %bb.923:                              ;   in Loop: Header=BB432_10 Depth=1
	v_bfrev_b32_e32 v20, 1
	s_mov_b32 s20, exec_lo
	v_cmpx_ne_u16_e32 0x80, v30
	s_cbranch_execz .LBB432_929
; %bb.924:                              ;   in Loop: Header=BB432_10 Depth=1
	v_and_b32_e32 v30, 0x7f, v132
	v_mov_b32_e32 v20, 0x7f800001
	s_mov_b32 s21, exec_lo
	s_delay_alu instid0(VALU_DEP_2)
	v_cmpx_ne_u32_e32 0x7f, v30
	s_cbranch_execz .LBB432_928
; %bb.925:                              ;   in Loop: Header=BB432_10 Depth=1
	v_and_b32_e32 v20, 7, v132
	v_lshrrev_b32_e32 v129, 3, v30
	v_cmp_gt_u32_e64 s3, 8, v30
	s_delay_alu instid0(VALU_DEP_3) | instskip(NEXT) | instid1(VALU_DEP_2)
	v_dual_mov_b32 v31, v21 :: v_dual_mov_b32 v30, v20
	s_and_saveexec_b32 s22, s3
; %bb.926:                              ;   in Loop: Header=BB432_10 Depth=1
	v_clz_i32_u32_e32 v30, v20
	s_delay_alu instid0(VALU_DEP_1) | instskip(NEXT) | instid1(VALU_DEP_1)
	v_min_u32_e32 v129, 32, v30
	v_subrev_nc_u32_e32 v30, 28, v129
	v_sub_nc_u32_e32 v129, 29, v129
	s_delay_alu instid0(VALU_DEP_2) | instskip(NEXT) | instid1(VALU_DEP_1)
	v_lshlrev_b64 v[30:31], v30, v[20:21]
	v_and_b32_e32 v30, 7, v30
; %bb.927:                              ;   in Loop: Header=BB432_10 Depth=1
	s_or_b32 exec_lo, exec_lo, s22
	v_lshlrev_b32_e32 v20, 24, v132
	s_delay_alu instid0(VALU_DEP_2) | instskip(SKIP_1) | instid1(VALU_DEP_3)
	v_lshlrev_b32_e32 v30, 20, v30
	v_lshl_add_u32 v31, v129, 23, 0x3c000000
	v_and_b32_e32 v20, 0x80000000, v20
	s_delay_alu instid0(VALU_DEP_1)
	v_or3_b32 v20, v30, v20, v31
.LBB432_928:                            ;   in Loop: Header=BB432_10 Depth=1
	s_or_b32 exec_lo, exec_lo, s21
.LBB432_929:                            ;   in Loop: Header=BB432_10 Depth=1
	s_delay_alu instid0(SALU_CYCLE_1)
	s_or_b32 exec_lo, exec_lo, s20
.LBB432_930:                            ;   in Loop: Header=BB432_10 Depth=1
	s_delay_alu instid0(SALU_CYCLE_1) | instskip(NEXT) | instid1(VALU_DEP_1)
	s_or_b32 exec_lo, exec_lo, s4
	v_mul_f32_e32 v20, v171, v20
                                        ; implicit-def: $vgpr129
	s_delay_alu instid0(VALU_DEP_1) | instskip(NEXT) | instid1(VALU_DEP_1)
	v_and_b32_e32 v30, 0x7f800000, v20
	v_cmp_ne_u32_e64 s3, 0x7f800000, v30
	s_delay_alu instid0(VALU_DEP_1) | instskip(NEXT) | instid1(SALU_CYCLE_1)
	s_and_saveexec_b32 s4, s3
	s_xor_b32 s3, exec_lo, s4
; %bb.931:                              ;   in Loop: Header=BB432_10 Depth=1
	v_bfe_u32 v30, v20, 16, 1
	s_delay_alu instid0(VALU_DEP_1)
	v_add3_u32 v129, v20, v30, 0x7fff
                                        ; implicit-def: $vgpr20
; %bb.932:                              ;   in Loop: Header=BB432_10 Depth=1
	s_and_not1_saveexec_b32 s4, s3
; %bb.933:                              ;   in Loop: Header=BB432_10 Depth=1
	v_and_b32_e32 v30, 0xffff, v20
	v_or_b32_e32 v31, 0x10000, v20
	s_delay_alu instid0(VALU_DEP_2) | instskip(NEXT) | instid1(VALU_DEP_1)
	v_cmp_eq_u32_e64 s3, 0, v30
	v_cndmask_b32_e64 v129, v31, v20, s3
; %bb.934:                              ;   in Loop: Header=BB432_10 Depth=1
	s_or_b32 exec_lo, exec_lo, s4
	v_lshrrev_b16 v30, 8, v132
	v_mov_b32_e32 v20, 0
	s_mov_b32 s4, exec_lo
	s_delay_alu instid0(VALU_DEP_2)
	v_cmpx_ne_u16_e32 0, v30
	s_cbranch_execz .LBB432_942
; %bb.935:                              ;   in Loop: Header=BB432_10 Depth=1
	v_bfrev_b32_e32 v20, 1
	s_mov_b32 s20, exec_lo
	v_cmpx_ne_u16_e32 0x80, v30
	s_cbranch_execz .LBB432_941
; %bb.936:                              ;   in Loop: Header=BB432_10 Depth=1
	v_and_b32_e32 v31, 0xffff, v30
	v_mov_b32_e32 v20, 0x7f800001
	s_mov_b32 s21, exec_lo
	s_delay_alu instid0(VALU_DEP_2) | instskip(NEXT) | instid1(VALU_DEP_1)
	v_and_b32_e32 v30, 0x7f, v31
	v_cmpx_ne_u32_e32 0x7f, v30
	s_cbranch_execz .LBB432_940
; %bb.937:                              ;   in Loop: Header=BB432_10 Depth=1
	v_and_b32_e32 v20, 7, v31
	v_lshrrev_b32_e32 v130, 3, v30
	v_cmp_gt_u32_e64 s3, 8, v30
	s_delay_alu instid0(VALU_DEP_3) | instskip(NEXT) | instid1(VALU_DEP_2)
	v_dual_mov_b32 v31, v21 :: v_dual_mov_b32 v30, v20
	s_and_saveexec_b32 s22, s3
; %bb.938:                              ;   in Loop: Header=BB432_10 Depth=1
	v_clz_i32_u32_e32 v30, v20
	s_delay_alu instid0(VALU_DEP_1) | instskip(NEXT) | instid1(VALU_DEP_1)
	v_min_u32_e32 v130, 32, v30
	v_subrev_nc_u32_e32 v30, 28, v130
	v_sub_nc_u32_e32 v130, 29, v130
	s_delay_alu instid0(VALU_DEP_2) | instskip(NEXT) | instid1(VALU_DEP_1)
	v_lshlrev_b64 v[30:31], v30, v[20:21]
	v_and_b32_e32 v30, 7, v30
; %bb.939:                              ;   in Loop: Header=BB432_10 Depth=1
	s_or_b32 exec_lo, exec_lo, s22
	v_lshlrev_b32_e32 v20, 16, v132
	s_delay_alu instid0(VALU_DEP_2) | instskip(SKIP_1) | instid1(VALU_DEP_3)
	v_lshlrev_b32_e32 v30, 20, v30
	v_lshl_add_u32 v31, v130, 23, 0x3c000000
	v_and_b32_e32 v20, 0x80000000, v20
	s_delay_alu instid0(VALU_DEP_1)
	v_or3_b32 v20, v30, v20, v31
.LBB432_940:                            ;   in Loop: Header=BB432_10 Depth=1
	s_or_b32 exec_lo, exec_lo, s21
.LBB432_941:                            ;   in Loop: Header=BB432_10 Depth=1
	s_delay_alu instid0(SALU_CYCLE_1)
	s_or_b32 exec_lo, exec_lo, s20
.LBB432_942:                            ;   in Loop: Header=BB432_10 Depth=1
	s_delay_alu instid0(SALU_CYCLE_1) | instskip(NEXT) | instid1(VALU_DEP_1)
	s_or_b32 exec_lo, exec_lo, s4
	v_mul_f32_e32 v20, v171, v20
                                        ; implicit-def: $vgpr130
	s_delay_alu instid0(VALU_DEP_1) | instskip(NEXT) | instid1(VALU_DEP_1)
	v_and_b32_e32 v30, 0x7f800000, v20
	v_cmp_ne_u32_e64 s3, 0x7f800000, v30
	s_delay_alu instid0(VALU_DEP_1) | instskip(NEXT) | instid1(SALU_CYCLE_1)
	s_and_saveexec_b32 s4, s3
	s_xor_b32 s3, exec_lo, s4
; %bb.943:                              ;   in Loop: Header=BB432_10 Depth=1
	v_bfe_u32 v30, v20, 16, 1
	s_delay_alu instid0(VALU_DEP_1)
	v_add3_u32 v130, v20, v30, 0x7fff
                                        ; implicit-def: $vgpr20
; %bb.944:                              ;   in Loop: Header=BB432_10 Depth=1
	s_and_not1_saveexec_b32 s4, s3
; %bb.945:                              ;   in Loop: Header=BB432_10 Depth=1
	v_and_b32_e32 v30, 0xffff, v20
	v_or_b32_e32 v31, 0x10000, v20
	s_delay_alu instid0(VALU_DEP_2) | instskip(NEXT) | instid1(VALU_DEP_1)
	v_cmp_eq_u32_e64 s3, 0, v30
	v_cndmask_b32_e64 v130, v31, v20, s3
; %bb.946:                              ;   in Loop: Header=BB432_10 Depth=1
	s_or_b32 exec_lo, exec_lo, s4
	v_lshrrev_b32_e32 v131, 16, v132
	v_mov_b32_e32 v20, 0
	s_mov_b32 s4, exec_lo
	s_delay_alu instid0(VALU_DEP_2) | instskip(NEXT) | instid1(VALU_DEP_1)
	v_and_b32_e32 v30, 0xff, v131
	v_cmpx_ne_u16_e32 0, v30
	s_cbranch_execz .LBB432_954
; %bb.947:                              ;   in Loop: Header=BB432_10 Depth=1
	v_bfrev_b32_e32 v20, 1
	s_mov_b32 s20, exec_lo
	v_cmpx_ne_u16_e32 0x80, v30
	s_cbranch_execz .LBB432_953
; %bb.948:                              ;   in Loop: Header=BB432_10 Depth=1
	v_bfe_u32 v30, v132, 16, 7
	v_mov_b32_e32 v20, 0x7f800001
	s_mov_b32 s21, exec_lo
	s_delay_alu instid0(VALU_DEP_2)
	v_cmpx_ne_u32_e32 0x7f, v30
	s_cbranch_execz .LBB432_952
; %bb.949:                              ;   in Loop: Header=BB432_10 Depth=1
	v_and_b32_e32 v20, 7, v131
	v_lshrrev_b32_e32 v133, 3, v30
	v_cmp_gt_u32_e64 s3, 8, v30
	s_delay_alu instid0(VALU_DEP_3) | instskip(NEXT) | instid1(VALU_DEP_2)
	v_dual_mov_b32 v31, v21 :: v_dual_mov_b32 v30, v20
	s_and_saveexec_b32 s22, s3
; %bb.950:                              ;   in Loop: Header=BB432_10 Depth=1
	v_clz_i32_u32_e32 v30, v20
	s_delay_alu instid0(VALU_DEP_1) | instskip(NEXT) | instid1(VALU_DEP_1)
	v_min_u32_e32 v133, 32, v30
	v_subrev_nc_u32_e32 v30, 28, v133
	v_sub_nc_u32_e32 v133, 29, v133
	s_delay_alu instid0(VALU_DEP_2) | instskip(NEXT) | instid1(VALU_DEP_1)
	v_lshlrev_b64 v[30:31], v30, v[20:21]
	v_and_b32_e32 v30, 7, v30
; %bb.951:                              ;   in Loop: Header=BB432_10 Depth=1
	s_or_b32 exec_lo, exec_lo, s22
	v_lshlrev_b32_e32 v20, 24, v131
	s_delay_alu instid0(VALU_DEP_2) | instskip(SKIP_1) | instid1(VALU_DEP_3)
	v_lshlrev_b32_e32 v30, 20, v30
	v_lshl_add_u32 v31, v133, 23, 0x3c000000
	v_and_b32_e32 v20, 0x80000000, v20
	s_delay_alu instid0(VALU_DEP_1)
	v_or3_b32 v20, v30, v20, v31
.LBB432_952:                            ;   in Loop: Header=BB432_10 Depth=1
	s_or_b32 exec_lo, exec_lo, s21
.LBB432_953:                            ;   in Loop: Header=BB432_10 Depth=1
	s_delay_alu instid0(SALU_CYCLE_1)
	s_or_b32 exec_lo, exec_lo, s20
.LBB432_954:                            ;   in Loop: Header=BB432_10 Depth=1
	s_delay_alu instid0(SALU_CYCLE_1) | instskip(NEXT) | instid1(VALU_DEP_1)
	s_or_b32 exec_lo, exec_lo, s4
	v_mul_f32_e32 v20, v171, v20
                                        ; implicit-def: $vgpr131
	s_delay_alu instid0(VALU_DEP_1) | instskip(NEXT) | instid1(VALU_DEP_1)
	v_and_b32_e32 v30, 0x7f800000, v20
	v_cmp_ne_u32_e64 s3, 0x7f800000, v30
	s_delay_alu instid0(VALU_DEP_1) | instskip(NEXT) | instid1(SALU_CYCLE_1)
	s_and_saveexec_b32 s4, s3
	s_xor_b32 s3, exec_lo, s4
; %bb.955:                              ;   in Loop: Header=BB432_10 Depth=1
	v_bfe_u32 v30, v20, 16, 1
	s_delay_alu instid0(VALU_DEP_1)
	v_add3_u32 v131, v20, v30, 0x7fff
                                        ; implicit-def: $vgpr20
; %bb.956:                              ;   in Loop: Header=BB432_10 Depth=1
	s_and_not1_saveexec_b32 s4, s3
; %bb.957:                              ;   in Loop: Header=BB432_10 Depth=1
	v_and_b32_e32 v30, 0xffff, v20
	v_or_b32_e32 v31, 0x10000, v20
	s_delay_alu instid0(VALU_DEP_2) | instskip(NEXT) | instid1(VALU_DEP_1)
	v_cmp_eq_u32_e64 s3, 0, v30
	v_cndmask_b32_e64 v131, v31, v20, s3
; %bb.958:                              ;   in Loop: Header=BB432_10 Depth=1
	s_or_b32 exec_lo, exec_lo, s4
	v_mov_b32_e32 v20, 0
	s_mov_b32 s4, exec_lo
	v_cmpx_lt_u32_e32 0xffffff, v132
	s_cbranch_execz .LBB432_966
; %bb.959:                              ;   in Loop: Header=BB432_10 Depth=1
	v_lshrrev_b32_e32 v133, 24, v132
	v_bfrev_b32_e32 v20, 1
	s_mov_b32 s20, exec_lo
	s_delay_alu instid0(VALU_DEP_2)
	v_cmpx_ne_u32_e32 0x80, v133
	s_cbranch_execz .LBB432_965
; %bb.960:                              ;   in Loop: Header=BB432_10 Depth=1
	v_bfe_u32 v30, v132, 24, 7
	v_mov_b32_e32 v20, 0x7f800001
	s_mov_b32 s21, exec_lo
	s_delay_alu instid0(VALU_DEP_2)
	v_cmpx_ne_u32_e32 0x7f, v30
	s_cbranch_execz .LBB432_964
; %bb.961:                              ;   in Loop: Header=BB432_10 Depth=1
	v_and_b32_e32 v20, 7, v133
	v_lshrrev_b32_e32 v132, 3, v30
	v_cmp_gt_u32_e64 s3, 8, v30
	s_delay_alu instid0(VALU_DEP_3) | instskip(NEXT) | instid1(VALU_DEP_2)
	v_dual_mov_b32 v31, v21 :: v_dual_mov_b32 v30, v20
	s_and_saveexec_b32 s22, s3
; %bb.962:                              ;   in Loop: Header=BB432_10 Depth=1
	v_clz_i32_u32_e32 v30, v20
	s_delay_alu instid0(VALU_DEP_1) | instskip(NEXT) | instid1(VALU_DEP_1)
	v_min_u32_e32 v132, 32, v30
	v_subrev_nc_u32_e32 v30, 28, v132
	v_sub_nc_u32_e32 v132, 29, v132
	s_delay_alu instid0(VALU_DEP_2) | instskip(NEXT) | instid1(VALU_DEP_1)
	v_lshlrev_b64 v[30:31], v30, v[20:21]
	v_and_b32_e32 v30, 7, v30
; %bb.963:                              ;   in Loop: Header=BB432_10 Depth=1
	s_or_b32 exec_lo, exec_lo, s22
	v_lshlrev_b32_e32 v20, 24, v133
	s_delay_alu instid0(VALU_DEP_2) | instskip(SKIP_1) | instid1(VALU_DEP_3)
	v_lshlrev_b32_e32 v30, 20, v30
	v_lshl_add_u32 v31, v132, 23, 0x3c000000
	v_and_b32_e32 v20, 0x80000000, v20
	s_delay_alu instid0(VALU_DEP_1)
	v_or3_b32 v20, v30, v20, v31
.LBB432_964:                            ;   in Loop: Header=BB432_10 Depth=1
	s_or_b32 exec_lo, exec_lo, s21
.LBB432_965:                            ;   in Loop: Header=BB432_10 Depth=1
	s_delay_alu instid0(SALU_CYCLE_1)
	s_or_b32 exec_lo, exec_lo, s20
.LBB432_966:                            ;   in Loop: Header=BB432_10 Depth=1
	s_delay_alu instid0(SALU_CYCLE_1) | instskip(NEXT) | instid1(VALU_DEP_1)
	s_or_b32 exec_lo, exec_lo, s4
	v_mul_f32_e32 v20, v171, v20
                                        ; implicit-def: $vgpr132
	s_delay_alu instid0(VALU_DEP_1) | instskip(NEXT) | instid1(VALU_DEP_1)
	v_and_b32_e32 v30, 0x7f800000, v20
	v_cmp_ne_u32_e64 s3, 0x7f800000, v30
	s_delay_alu instid0(VALU_DEP_1) | instskip(NEXT) | instid1(SALU_CYCLE_1)
	s_and_saveexec_b32 s4, s3
	s_xor_b32 s3, exec_lo, s4
; %bb.967:                              ;   in Loop: Header=BB432_10 Depth=1
	v_bfe_u32 v30, v20, 16, 1
	s_delay_alu instid0(VALU_DEP_1)
	v_add3_u32 v132, v20, v30, 0x7fff
                                        ; implicit-def: $vgpr20
; %bb.968:                              ;   in Loop: Header=BB432_10 Depth=1
	s_and_not1_saveexec_b32 s4, s3
; %bb.969:                              ;   in Loop: Header=BB432_10 Depth=1
	v_and_b32_e32 v30, 0xffff, v20
	v_or_b32_e32 v31, 0x10000, v20
	s_delay_alu instid0(VALU_DEP_2) | instskip(NEXT) | instid1(VALU_DEP_1)
	v_cmp_eq_u32_e64 s3, 0, v30
	v_cndmask_b32_e64 v132, v31, v20, s3
; %bb.970:                              ;   in Loop: Header=BB432_10 Depth=1
	s_or_b32 exec_lo, exec_lo, s4
	flat_load_b32 v144, v[28:29] offset:2560
	v_mov_b32_e32 v20, 0
	s_mov_b32 s4, exec_lo
	s_waitcnt vmcnt(0) lgkmcnt(0)
	v_and_b32_e32 v30, 0xff, v144
	s_delay_alu instid0(VALU_DEP_1)
	v_cmpx_ne_u16_e32 0, v30
	s_cbranch_execz .LBB432_978
; %bb.971:                              ;   in Loop: Header=BB432_10 Depth=1
	v_bfrev_b32_e32 v20, 1
	s_mov_b32 s20, exec_lo
	v_cmpx_ne_u16_e32 0x80, v30
	s_cbranch_execz .LBB432_977
; %bb.972:                              ;   in Loop: Header=BB432_10 Depth=1
	v_and_b32_e32 v30, 0x7f, v144
	v_mov_b32_e32 v20, 0x7f800001
	s_mov_b32 s21, exec_lo
	s_delay_alu instid0(VALU_DEP_2)
	v_cmpx_ne_u32_e32 0x7f, v30
	s_cbranch_execz .LBB432_976
; %bb.973:                              ;   in Loop: Header=BB432_10 Depth=1
	v_and_b32_e32 v20, 7, v144
	v_lshrrev_b32_e32 v133, 3, v30
	v_cmp_gt_u32_e64 s3, 8, v30
	s_delay_alu instid0(VALU_DEP_3) | instskip(NEXT) | instid1(VALU_DEP_2)
	v_dual_mov_b32 v31, v21 :: v_dual_mov_b32 v30, v20
	s_and_saveexec_b32 s22, s3
; %bb.974:                              ;   in Loop: Header=BB432_10 Depth=1
	v_clz_i32_u32_e32 v30, v20
	s_delay_alu instid0(VALU_DEP_1) | instskip(NEXT) | instid1(VALU_DEP_1)
	v_min_u32_e32 v133, 32, v30
	v_subrev_nc_u32_e32 v30, 28, v133
	v_sub_nc_u32_e32 v133, 29, v133
	s_delay_alu instid0(VALU_DEP_2) | instskip(NEXT) | instid1(VALU_DEP_1)
	v_lshlrev_b64 v[30:31], v30, v[20:21]
	v_and_b32_e32 v30, 7, v30
; %bb.975:                              ;   in Loop: Header=BB432_10 Depth=1
	s_or_b32 exec_lo, exec_lo, s22
	v_lshlrev_b32_e32 v20, 24, v144
	s_delay_alu instid0(VALU_DEP_2) | instskip(SKIP_1) | instid1(VALU_DEP_3)
	v_lshlrev_b32_e32 v30, 20, v30
	v_lshl_add_u32 v31, v133, 23, 0x3c000000
	v_and_b32_e32 v20, 0x80000000, v20
	s_delay_alu instid0(VALU_DEP_1)
	v_or3_b32 v20, v30, v20, v31
.LBB432_976:                            ;   in Loop: Header=BB432_10 Depth=1
	s_or_b32 exec_lo, exec_lo, s21
.LBB432_977:                            ;   in Loop: Header=BB432_10 Depth=1
	s_delay_alu instid0(SALU_CYCLE_1)
	s_or_b32 exec_lo, exec_lo, s20
.LBB432_978:                            ;   in Loop: Header=BB432_10 Depth=1
	s_delay_alu instid0(SALU_CYCLE_1) | instskip(NEXT) | instid1(VALU_DEP_1)
	s_or_b32 exec_lo, exec_lo, s4
	v_mul_f32_e32 v20, v171, v20
                                        ; implicit-def: $vgpr133
	s_delay_alu instid0(VALU_DEP_1) | instskip(NEXT) | instid1(VALU_DEP_1)
	v_and_b32_e32 v30, 0x7f800000, v20
	v_cmp_ne_u32_e64 s3, 0x7f800000, v30
	s_delay_alu instid0(VALU_DEP_1) | instskip(NEXT) | instid1(SALU_CYCLE_1)
	s_and_saveexec_b32 s4, s3
	s_xor_b32 s3, exec_lo, s4
; %bb.979:                              ;   in Loop: Header=BB432_10 Depth=1
	v_bfe_u32 v30, v20, 16, 1
	s_delay_alu instid0(VALU_DEP_1)
	v_add3_u32 v133, v20, v30, 0x7fff
                                        ; implicit-def: $vgpr20
; %bb.980:                              ;   in Loop: Header=BB432_10 Depth=1
	s_and_not1_saveexec_b32 s4, s3
; %bb.981:                              ;   in Loop: Header=BB432_10 Depth=1
	v_and_b32_e32 v30, 0xffff, v20
	v_or_b32_e32 v31, 0x10000, v20
	s_delay_alu instid0(VALU_DEP_2) | instskip(NEXT) | instid1(VALU_DEP_1)
	v_cmp_eq_u32_e64 s3, 0, v30
	v_cndmask_b32_e64 v133, v31, v20, s3
; %bb.982:                              ;   in Loop: Header=BB432_10 Depth=1
	s_or_b32 exec_lo, exec_lo, s4
	v_lshrrev_b16 v30, 8, v144
	v_mov_b32_e32 v20, 0
	s_mov_b32 s4, exec_lo
	s_delay_alu instid0(VALU_DEP_2)
	v_cmpx_ne_u16_e32 0, v30
	s_cbranch_execz .LBB432_990
; %bb.983:                              ;   in Loop: Header=BB432_10 Depth=1
	v_bfrev_b32_e32 v20, 1
	s_mov_b32 s20, exec_lo
	v_cmpx_ne_u16_e32 0x80, v30
	s_cbranch_execz .LBB432_989
; %bb.984:                              ;   in Loop: Header=BB432_10 Depth=1
	v_and_b32_e32 v31, 0xffff, v30
	v_mov_b32_e32 v20, 0x7f800001
	s_mov_b32 s21, exec_lo
	s_delay_alu instid0(VALU_DEP_2) | instskip(NEXT) | instid1(VALU_DEP_1)
	v_and_b32_e32 v30, 0x7f, v31
	v_cmpx_ne_u32_e32 0x7f, v30
	s_cbranch_execz .LBB432_988
; %bb.985:                              ;   in Loop: Header=BB432_10 Depth=1
	v_and_b32_e32 v20, 7, v31
	v_lshrrev_b32_e32 v134, 3, v30
	v_cmp_gt_u32_e64 s3, 8, v30
	s_delay_alu instid0(VALU_DEP_3) | instskip(NEXT) | instid1(VALU_DEP_2)
	v_dual_mov_b32 v31, v21 :: v_dual_mov_b32 v30, v20
	s_and_saveexec_b32 s22, s3
; %bb.986:                              ;   in Loop: Header=BB432_10 Depth=1
	v_clz_i32_u32_e32 v30, v20
	s_delay_alu instid0(VALU_DEP_1) | instskip(NEXT) | instid1(VALU_DEP_1)
	v_min_u32_e32 v134, 32, v30
	v_subrev_nc_u32_e32 v30, 28, v134
	v_sub_nc_u32_e32 v134, 29, v134
	s_delay_alu instid0(VALU_DEP_2) | instskip(NEXT) | instid1(VALU_DEP_1)
	v_lshlrev_b64 v[30:31], v30, v[20:21]
	v_and_b32_e32 v30, 7, v30
; %bb.987:                              ;   in Loop: Header=BB432_10 Depth=1
	s_or_b32 exec_lo, exec_lo, s22
	v_lshlrev_b32_e32 v20, 16, v144
	s_delay_alu instid0(VALU_DEP_2) | instskip(SKIP_1) | instid1(VALU_DEP_3)
	v_lshlrev_b32_e32 v30, 20, v30
	v_lshl_add_u32 v31, v134, 23, 0x3c000000
	v_and_b32_e32 v20, 0x80000000, v20
	s_delay_alu instid0(VALU_DEP_1)
	v_or3_b32 v20, v30, v20, v31
.LBB432_988:                            ;   in Loop: Header=BB432_10 Depth=1
	s_or_b32 exec_lo, exec_lo, s21
.LBB432_989:                            ;   in Loop: Header=BB432_10 Depth=1
	s_delay_alu instid0(SALU_CYCLE_1)
	s_or_b32 exec_lo, exec_lo, s20
.LBB432_990:                            ;   in Loop: Header=BB432_10 Depth=1
	s_delay_alu instid0(SALU_CYCLE_1) | instskip(NEXT) | instid1(VALU_DEP_1)
	s_or_b32 exec_lo, exec_lo, s4
	v_mul_f32_e32 v20, v171, v20
                                        ; implicit-def: $vgpr134
	s_delay_alu instid0(VALU_DEP_1) | instskip(NEXT) | instid1(VALU_DEP_1)
	v_and_b32_e32 v30, 0x7f800000, v20
	v_cmp_ne_u32_e64 s3, 0x7f800000, v30
	s_delay_alu instid0(VALU_DEP_1) | instskip(NEXT) | instid1(SALU_CYCLE_1)
	s_and_saveexec_b32 s4, s3
	s_xor_b32 s3, exec_lo, s4
; %bb.991:                              ;   in Loop: Header=BB432_10 Depth=1
	v_bfe_u32 v30, v20, 16, 1
	s_delay_alu instid0(VALU_DEP_1)
	v_add3_u32 v134, v20, v30, 0x7fff
                                        ; implicit-def: $vgpr20
; %bb.992:                              ;   in Loop: Header=BB432_10 Depth=1
	s_and_not1_saveexec_b32 s4, s3
; %bb.993:                              ;   in Loop: Header=BB432_10 Depth=1
	v_and_b32_e32 v30, 0xffff, v20
	v_or_b32_e32 v31, 0x10000, v20
	s_delay_alu instid0(VALU_DEP_2) | instskip(NEXT) | instid1(VALU_DEP_1)
	v_cmp_eq_u32_e64 s3, 0, v30
	v_cndmask_b32_e64 v134, v31, v20, s3
; %bb.994:                              ;   in Loop: Header=BB432_10 Depth=1
	s_or_b32 exec_lo, exec_lo, s4
	v_lshrrev_b32_e32 v135, 16, v144
	v_mov_b32_e32 v20, 0
	s_mov_b32 s4, exec_lo
	s_delay_alu instid0(VALU_DEP_2) | instskip(NEXT) | instid1(VALU_DEP_1)
	v_and_b32_e32 v30, 0xff, v135
	v_cmpx_ne_u16_e32 0, v30
	s_cbranch_execz .LBB432_1002
; %bb.995:                              ;   in Loop: Header=BB432_10 Depth=1
	v_bfrev_b32_e32 v20, 1
	s_mov_b32 s20, exec_lo
	v_cmpx_ne_u16_e32 0x80, v30
	s_cbranch_execz .LBB432_1001
; %bb.996:                              ;   in Loop: Header=BB432_10 Depth=1
	v_bfe_u32 v30, v144, 16, 7
	v_mov_b32_e32 v20, 0x7f800001
	s_mov_b32 s21, exec_lo
	s_delay_alu instid0(VALU_DEP_2)
	v_cmpx_ne_u32_e32 0x7f, v30
	s_cbranch_execz .LBB432_1000
; %bb.997:                              ;   in Loop: Header=BB432_10 Depth=1
	v_and_b32_e32 v20, 7, v135
	v_lshrrev_b32_e32 v145, 3, v30
	v_cmp_gt_u32_e64 s3, 8, v30
	s_delay_alu instid0(VALU_DEP_3) | instskip(NEXT) | instid1(VALU_DEP_2)
	v_dual_mov_b32 v31, v21 :: v_dual_mov_b32 v30, v20
	s_and_saveexec_b32 s22, s3
; %bb.998:                              ;   in Loop: Header=BB432_10 Depth=1
	v_clz_i32_u32_e32 v30, v20
	s_delay_alu instid0(VALU_DEP_1) | instskip(NEXT) | instid1(VALU_DEP_1)
	v_min_u32_e32 v145, 32, v30
	v_subrev_nc_u32_e32 v30, 28, v145
	v_sub_nc_u32_e32 v145, 29, v145
	s_delay_alu instid0(VALU_DEP_2) | instskip(NEXT) | instid1(VALU_DEP_1)
	v_lshlrev_b64 v[30:31], v30, v[20:21]
	v_and_b32_e32 v30, 7, v30
; %bb.999:                              ;   in Loop: Header=BB432_10 Depth=1
	s_or_b32 exec_lo, exec_lo, s22
	v_lshlrev_b32_e32 v20, 24, v135
	s_delay_alu instid0(VALU_DEP_2) | instskip(SKIP_1) | instid1(VALU_DEP_3)
	v_lshlrev_b32_e32 v30, 20, v30
	v_lshl_add_u32 v31, v145, 23, 0x3c000000
	v_and_b32_e32 v20, 0x80000000, v20
	s_delay_alu instid0(VALU_DEP_1)
	v_or3_b32 v20, v30, v20, v31
.LBB432_1000:                           ;   in Loop: Header=BB432_10 Depth=1
	s_or_b32 exec_lo, exec_lo, s21
.LBB432_1001:                           ;   in Loop: Header=BB432_10 Depth=1
	s_delay_alu instid0(SALU_CYCLE_1)
	s_or_b32 exec_lo, exec_lo, s20
.LBB432_1002:                           ;   in Loop: Header=BB432_10 Depth=1
	s_delay_alu instid0(SALU_CYCLE_1) | instskip(NEXT) | instid1(VALU_DEP_1)
	s_or_b32 exec_lo, exec_lo, s4
	v_mul_f32_e32 v20, v171, v20
                                        ; implicit-def: $vgpr135
	s_delay_alu instid0(VALU_DEP_1) | instskip(NEXT) | instid1(VALU_DEP_1)
	v_and_b32_e32 v30, 0x7f800000, v20
	v_cmp_ne_u32_e64 s3, 0x7f800000, v30
	s_delay_alu instid0(VALU_DEP_1) | instskip(NEXT) | instid1(SALU_CYCLE_1)
	s_and_saveexec_b32 s4, s3
	s_xor_b32 s3, exec_lo, s4
; %bb.1003:                             ;   in Loop: Header=BB432_10 Depth=1
	v_bfe_u32 v30, v20, 16, 1
	s_delay_alu instid0(VALU_DEP_1)
	v_add3_u32 v135, v20, v30, 0x7fff
                                        ; implicit-def: $vgpr20
; %bb.1004:                             ;   in Loop: Header=BB432_10 Depth=1
	s_and_not1_saveexec_b32 s4, s3
; %bb.1005:                             ;   in Loop: Header=BB432_10 Depth=1
	v_and_b32_e32 v30, 0xffff, v20
	v_or_b32_e32 v31, 0x10000, v20
	s_delay_alu instid0(VALU_DEP_2) | instskip(NEXT) | instid1(VALU_DEP_1)
	v_cmp_eq_u32_e64 s3, 0, v30
	v_cndmask_b32_e64 v135, v31, v20, s3
; %bb.1006:                             ;   in Loop: Header=BB432_10 Depth=1
	s_or_b32 exec_lo, exec_lo, s4
	v_mov_b32_e32 v20, 0
	s_mov_b32 s4, exec_lo
	v_cmpx_lt_u32_e32 0xffffff, v144
	s_cbranch_execz .LBB432_1014
; %bb.1007:                             ;   in Loop: Header=BB432_10 Depth=1
	v_lshrrev_b32_e32 v145, 24, v144
	v_bfrev_b32_e32 v20, 1
	s_mov_b32 s20, exec_lo
	s_delay_alu instid0(VALU_DEP_2)
	v_cmpx_ne_u32_e32 0x80, v145
	s_cbranch_execz .LBB432_1013
; %bb.1008:                             ;   in Loop: Header=BB432_10 Depth=1
	v_bfe_u32 v30, v144, 24, 7
	v_mov_b32_e32 v20, 0x7f800001
	s_mov_b32 s21, exec_lo
	s_delay_alu instid0(VALU_DEP_2)
	v_cmpx_ne_u32_e32 0x7f, v30
	s_cbranch_execz .LBB432_1012
; %bb.1009:                             ;   in Loop: Header=BB432_10 Depth=1
	v_and_b32_e32 v20, 7, v145
	v_lshrrev_b32_e32 v144, 3, v30
	v_cmp_gt_u32_e64 s3, 8, v30
	s_delay_alu instid0(VALU_DEP_3) | instskip(NEXT) | instid1(VALU_DEP_2)
	v_dual_mov_b32 v31, v21 :: v_dual_mov_b32 v30, v20
	s_and_saveexec_b32 s22, s3
; %bb.1010:                             ;   in Loop: Header=BB432_10 Depth=1
	v_clz_i32_u32_e32 v30, v20
	s_delay_alu instid0(VALU_DEP_1) | instskip(NEXT) | instid1(VALU_DEP_1)
	v_min_u32_e32 v144, 32, v30
	v_subrev_nc_u32_e32 v30, 28, v144
	v_sub_nc_u32_e32 v144, 29, v144
	s_delay_alu instid0(VALU_DEP_2) | instskip(NEXT) | instid1(VALU_DEP_1)
	v_lshlrev_b64 v[30:31], v30, v[20:21]
	v_and_b32_e32 v30, 7, v30
; %bb.1011:                             ;   in Loop: Header=BB432_10 Depth=1
	s_or_b32 exec_lo, exec_lo, s22
	v_lshlrev_b32_e32 v20, 24, v145
	s_delay_alu instid0(VALU_DEP_2) | instskip(SKIP_1) | instid1(VALU_DEP_3)
	v_lshlrev_b32_e32 v30, 20, v30
	v_lshl_add_u32 v31, v144, 23, 0x3c000000
	v_and_b32_e32 v20, 0x80000000, v20
	s_delay_alu instid0(VALU_DEP_1)
	v_or3_b32 v20, v30, v20, v31
.LBB432_1012:                           ;   in Loop: Header=BB432_10 Depth=1
	s_or_b32 exec_lo, exec_lo, s21
.LBB432_1013:                           ;   in Loop: Header=BB432_10 Depth=1
	s_delay_alu instid0(SALU_CYCLE_1)
	s_or_b32 exec_lo, exec_lo, s20
.LBB432_1014:                           ;   in Loop: Header=BB432_10 Depth=1
	s_delay_alu instid0(SALU_CYCLE_1) | instskip(NEXT) | instid1(VALU_DEP_1)
	s_or_b32 exec_lo, exec_lo, s4
	v_mul_f32_e32 v20, v171, v20
                                        ; implicit-def: $vgpr144
	s_delay_alu instid0(VALU_DEP_1) | instskip(NEXT) | instid1(VALU_DEP_1)
	v_and_b32_e32 v30, 0x7f800000, v20
	v_cmp_ne_u32_e64 s3, 0x7f800000, v30
	s_delay_alu instid0(VALU_DEP_1) | instskip(NEXT) | instid1(SALU_CYCLE_1)
	s_and_saveexec_b32 s4, s3
	s_xor_b32 s3, exec_lo, s4
; %bb.1015:                             ;   in Loop: Header=BB432_10 Depth=1
	v_bfe_u32 v30, v20, 16, 1
	s_delay_alu instid0(VALU_DEP_1)
	v_add3_u32 v144, v20, v30, 0x7fff
                                        ; implicit-def: $vgpr20
; %bb.1016:                             ;   in Loop: Header=BB432_10 Depth=1
	s_and_not1_saveexec_b32 s4, s3
; %bb.1017:                             ;   in Loop: Header=BB432_10 Depth=1
	v_and_b32_e32 v30, 0xffff, v20
	v_or_b32_e32 v31, 0x10000, v20
	s_delay_alu instid0(VALU_DEP_2) | instskip(NEXT) | instid1(VALU_DEP_1)
	v_cmp_eq_u32_e64 s3, 0, v30
	v_cndmask_b32_e64 v144, v31, v20, s3
; %bb.1018:                             ;   in Loop: Header=BB432_10 Depth=1
	s_or_b32 exec_lo, exec_lo, s4
	flat_load_b32 v148, v[28:29] offset:2568
	v_mov_b32_e32 v20, 0
	s_mov_b32 s4, exec_lo
	s_waitcnt vmcnt(0) lgkmcnt(0)
	v_and_b32_e32 v30, 0xff, v148
	s_delay_alu instid0(VALU_DEP_1)
	v_cmpx_ne_u16_e32 0, v30
	s_cbranch_execz .LBB432_1026
; %bb.1019:                             ;   in Loop: Header=BB432_10 Depth=1
	v_bfrev_b32_e32 v20, 1
	s_mov_b32 s20, exec_lo
	v_cmpx_ne_u16_e32 0x80, v30
	s_cbranch_execz .LBB432_1025
; %bb.1020:                             ;   in Loop: Header=BB432_10 Depth=1
	v_and_b32_e32 v30, 0x7f, v148
	v_mov_b32_e32 v20, 0x7f800001
	s_mov_b32 s21, exec_lo
	s_delay_alu instid0(VALU_DEP_2)
	v_cmpx_ne_u32_e32 0x7f, v30
	s_cbranch_execz .LBB432_1024
; %bb.1021:                             ;   in Loop: Header=BB432_10 Depth=1
	v_and_b32_e32 v20, 7, v148
	v_lshrrev_b32_e32 v145, 3, v30
	v_cmp_gt_u32_e64 s3, 8, v30
	s_delay_alu instid0(VALU_DEP_3) | instskip(NEXT) | instid1(VALU_DEP_2)
	v_dual_mov_b32 v31, v21 :: v_dual_mov_b32 v30, v20
	s_and_saveexec_b32 s22, s3
; %bb.1022:                             ;   in Loop: Header=BB432_10 Depth=1
	v_clz_i32_u32_e32 v30, v20
	s_delay_alu instid0(VALU_DEP_1) | instskip(NEXT) | instid1(VALU_DEP_1)
	v_min_u32_e32 v145, 32, v30
	v_subrev_nc_u32_e32 v30, 28, v145
	v_sub_nc_u32_e32 v145, 29, v145
	s_delay_alu instid0(VALU_DEP_2) | instskip(NEXT) | instid1(VALU_DEP_1)
	v_lshlrev_b64 v[30:31], v30, v[20:21]
	v_and_b32_e32 v30, 7, v30
; %bb.1023:                             ;   in Loop: Header=BB432_10 Depth=1
	s_or_b32 exec_lo, exec_lo, s22
	v_lshlrev_b32_e32 v20, 24, v148
	s_delay_alu instid0(VALU_DEP_2) | instskip(SKIP_1) | instid1(VALU_DEP_3)
	v_lshlrev_b32_e32 v30, 20, v30
	v_lshl_add_u32 v31, v145, 23, 0x3c000000
	v_and_b32_e32 v20, 0x80000000, v20
	s_delay_alu instid0(VALU_DEP_1)
	v_or3_b32 v20, v30, v20, v31
.LBB432_1024:                           ;   in Loop: Header=BB432_10 Depth=1
	s_or_b32 exec_lo, exec_lo, s21
.LBB432_1025:                           ;   in Loop: Header=BB432_10 Depth=1
	s_delay_alu instid0(SALU_CYCLE_1)
	s_or_b32 exec_lo, exec_lo, s20
.LBB432_1026:                           ;   in Loop: Header=BB432_10 Depth=1
	s_delay_alu instid0(SALU_CYCLE_1) | instskip(NEXT) | instid1(VALU_DEP_1)
	s_or_b32 exec_lo, exec_lo, s4
	v_mul_f32_e32 v20, v171, v20
                                        ; implicit-def: $vgpr145
	s_delay_alu instid0(VALU_DEP_1) | instskip(NEXT) | instid1(VALU_DEP_1)
	v_and_b32_e32 v30, 0x7f800000, v20
	v_cmp_ne_u32_e64 s3, 0x7f800000, v30
	s_delay_alu instid0(VALU_DEP_1) | instskip(NEXT) | instid1(SALU_CYCLE_1)
	s_and_saveexec_b32 s4, s3
	s_xor_b32 s3, exec_lo, s4
; %bb.1027:                             ;   in Loop: Header=BB432_10 Depth=1
	v_bfe_u32 v30, v20, 16, 1
	s_delay_alu instid0(VALU_DEP_1)
	v_add3_u32 v145, v20, v30, 0x7fff
                                        ; implicit-def: $vgpr20
; %bb.1028:                             ;   in Loop: Header=BB432_10 Depth=1
	s_and_not1_saveexec_b32 s4, s3
; %bb.1029:                             ;   in Loop: Header=BB432_10 Depth=1
	v_and_b32_e32 v30, 0xffff, v20
	v_or_b32_e32 v31, 0x10000, v20
	s_delay_alu instid0(VALU_DEP_2) | instskip(NEXT) | instid1(VALU_DEP_1)
	v_cmp_eq_u32_e64 s3, 0, v30
	v_cndmask_b32_e64 v145, v31, v20, s3
; %bb.1030:                             ;   in Loop: Header=BB432_10 Depth=1
	s_or_b32 exec_lo, exec_lo, s4
	v_lshrrev_b16 v30, 8, v148
	v_mov_b32_e32 v20, 0
	s_mov_b32 s4, exec_lo
	s_delay_alu instid0(VALU_DEP_2)
	v_cmpx_ne_u16_e32 0, v30
	s_cbranch_execz .LBB432_1038
; %bb.1031:                             ;   in Loop: Header=BB432_10 Depth=1
	v_bfrev_b32_e32 v20, 1
	s_mov_b32 s20, exec_lo
	v_cmpx_ne_u16_e32 0x80, v30
	s_cbranch_execz .LBB432_1037
; %bb.1032:                             ;   in Loop: Header=BB432_10 Depth=1
	v_and_b32_e32 v30, 0xffff, v30
	v_mov_b32_e32 v20, 0x7f800001
	s_mov_b32 s21, exec_lo
	s_delay_alu instid0(VALU_DEP_2) | instskip(NEXT) | instid1(VALU_DEP_1)
	v_and_b32_e32 v146, 0x7f, v30
	v_cmpx_ne_u32_e32 0x7f, v146
	s_cbranch_execz .LBB432_1036
; %bb.1033:                             ;   in Loop: Header=BB432_10 Depth=1
	v_and_b32_e32 v20, 7, v30
	v_mov_b32_e32 v31, v21
	v_lshrrev_b32_e32 v31, 3, v146
	s_mov_b32 s22, exec_lo
	s_delay_alu instid0(VALU_DEP_3)
	v_mov_b32_e32 v30, v20
	v_cmpx_gt_u32_e32 8, v146
; %bb.1034:                             ;   in Loop: Header=BB432_10 Depth=1
	v_clz_i32_u32_e32 v30, v20
	s_delay_alu instid0(VALU_DEP_1) | instskip(NEXT) | instid1(VALU_DEP_1)
	v_min_u32_e32 v146, 32, v30
	v_subrev_nc_u32_e32 v30, 28, v146
	s_delay_alu instid0(VALU_DEP_1) | instskip(SKIP_1) | instid1(VALU_DEP_2)
	v_lshlrev_b64 v[30:31], v30, v[20:21]
	v_sub_nc_u32_e32 v31, 29, v146
	v_and_b32_e32 v30, 7, v30
; %bb.1035:                             ;   in Loop: Header=BB432_10 Depth=1
	s_or_b32 exec_lo, exec_lo, s22
	v_lshlrev_b32_e32 v20, 16, v148
	s_delay_alu instid0(VALU_DEP_2) | instskip(SKIP_1) | instid1(VALU_DEP_3)
	v_lshlrev_b32_e32 v30, 20, v30
	v_lshl_add_u32 v31, v31, 23, 0x3c000000
	v_and_b32_e32 v20, 0x80000000, v20
	s_delay_alu instid0(VALU_DEP_1)
	v_or3_b32 v20, v30, v20, v31
.LBB432_1036:                           ;   in Loop: Header=BB432_10 Depth=1
	s_or_b32 exec_lo, exec_lo, s21
.LBB432_1037:                           ;   in Loop: Header=BB432_10 Depth=1
	s_delay_alu instid0(SALU_CYCLE_1)
	s_or_b32 exec_lo, exec_lo, s20
.LBB432_1038:                           ;   in Loop: Header=BB432_10 Depth=1
	s_delay_alu instid0(SALU_CYCLE_1) | instskip(NEXT) | instid1(VALU_DEP_1)
	s_or_b32 exec_lo, exec_lo, s4
	v_mul_f32_e32 v20, v171, v20
                                        ; implicit-def: $vgpr146
	s_delay_alu instid0(VALU_DEP_1) | instskip(NEXT) | instid1(VALU_DEP_1)
	v_and_b32_e32 v30, 0x7f800000, v20
	v_cmp_ne_u32_e64 s3, 0x7f800000, v30
	s_delay_alu instid0(VALU_DEP_1) | instskip(NEXT) | instid1(SALU_CYCLE_1)
	s_and_saveexec_b32 s4, s3
	s_xor_b32 s3, exec_lo, s4
; %bb.1039:                             ;   in Loop: Header=BB432_10 Depth=1
	v_bfe_u32 v30, v20, 16, 1
	s_delay_alu instid0(VALU_DEP_1)
	v_add3_u32 v146, v20, v30, 0x7fff
                                        ; implicit-def: $vgpr20
; %bb.1040:                             ;   in Loop: Header=BB432_10 Depth=1
	s_and_not1_saveexec_b32 s4, s3
; %bb.1041:                             ;   in Loop: Header=BB432_10 Depth=1
	v_and_b32_e32 v30, 0xffff, v20
	v_or_b32_e32 v31, 0x10000, v20
	s_delay_alu instid0(VALU_DEP_2) | instskip(NEXT) | instid1(VALU_DEP_1)
	v_cmp_eq_u32_e64 s3, 0, v30
	v_cndmask_b32_e64 v146, v31, v20, s3
; %bb.1042:                             ;   in Loop: Header=BB432_10 Depth=1
	s_or_b32 exec_lo, exec_lo, s4
	v_lshrrev_b32_e32 v147, 16, v148
	v_mov_b32_e32 v20, 0
	s_mov_b32 s4, exec_lo
	s_delay_alu instid0(VALU_DEP_2) | instskip(NEXT) | instid1(VALU_DEP_1)
	v_and_b32_e32 v30, 0xff, v147
	v_cmpx_ne_u16_e32 0, v30
	s_cbranch_execz .LBB432_1050
; %bb.1043:                             ;   in Loop: Header=BB432_10 Depth=1
	v_bfrev_b32_e32 v20, 1
	s_mov_b32 s20, exec_lo
	v_cmpx_ne_u16_e32 0x80, v30
	s_cbranch_execz .LBB432_1049
; %bb.1044:                             ;   in Loop: Header=BB432_10 Depth=1
	v_bfe_u32 v149, v148, 16, 7
	v_mov_b32_e32 v20, 0x7f800001
	s_mov_b32 s21, exec_lo
	s_delay_alu instid0(VALU_DEP_2)
	v_cmpx_ne_u32_e32 0x7f, v149
	s_cbranch_execz .LBB432_1048
; %bb.1045:                             ;   in Loop: Header=BB432_10 Depth=1
	v_and_b32_e32 v20, 7, v147
	v_mov_b32_e32 v31, v21
	v_lshrrev_b32_e32 v31, 3, v149
	s_mov_b32 s22, exec_lo
	s_delay_alu instid0(VALU_DEP_3)
	v_mov_b32_e32 v30, v20
	v_cmpx_gt_u32_e32 8, v149
; %bb.1046:                             ;   in Loop: Header=BB432_10 Depth=1
	v_clz_i32_u32_e32 v30, v20
	s_delay_alu instid0(VALU_DEP_1) | instskip(NEXT) | instid1(VALU_DEP_1)
	v_min_u32_e32 v149, 32, v30
	v_subrev_nc_u32_e32 v30, 28, v149
	s_delay_alu instid0(VALU_DEP_1) | instskip(SKIP_1) | instid1(VALU_DEP_2)
	v_lshlrev_b64 v[30:31], v30, v[20:21]
	v_sub_nc_u32_e32 v31, 29, v149
	v_and_b32_e32 v30, 7, v30
; %bb.1047:                             ;   in Loop: Header=BB432_10 Depth=1
	s_or_b32 exec_lo, exec_lo, s22
	v_lshlrev_b32_e32 v20, 24, v147
	s_delay_alu instid0(VALU_DEP_2) | instskip(SKIP_1) | instid1(VALU_DEP_3)
	v_lshlrev_b32_e32 v30, 20, v30
	v_lshl_add_u32 v31, v31, 23, 0x3c000000
	v_and_b32_e32 v20, 0x80000000, v20
	s_delay_alu instid0(VALU_DEP_1)
	v_or3_b32 v20, v30, v20, v31
.LBB432_1048:                           ;   in Loop: Header=BB432_10 Depth=1
	s_or_b32 exec_lo, exec_lo, s21
.LBB432_1049:                           ;   in Loop: Header=BB432_10 Depth=1
	s_delay_alu instid0(SALU_CYCLE_1)
	s_or_b32 exec_lo, exec_lo, s20
.LBB432_1050:                           ;   in Loop: Header=BB432_10 Depth=1
	s_delay_alu instid0(SALU_CYCLE_1) | instskip(NEXT) | instid1(VALU_DEP_1)
	s_or_b32 exec_lo, exec_lo, s4
	v_mul_f32_e32 v20, v171, v20
                                        ; implicit-def: $vgpr147
	s_delay_alu instid0(VALU_DEP_1) | instskip(NEXT) | instid1(VALU_DEP_1)
	v_and_b32_e32 v30, 0x7f800000, v20
	v_cmp_ne_u32_e64 s3, 0x7f800000, v30
	s_delay_alu instid0(VALU_DEP_1) | instskip(NEXT) | instid1(SALU_CYCLE_1)
	s_and_saveexec_b32 s4, s3
	s_xor_b32 s3, exec_lo, s4
; %bb.1051:                             ;   in Loop: Header=BB432_10 Depth=1
	v_bfe_u32 v30, v20, 16, 1
	s_delay_alu instid0(VALU_DEP_1)
	v_add3_u32 v147, v20, v30, 0x7fff
                                        ; implicit-def: $vgpr20
; %bb.1052:                             ;   in Loop: Header=BB432_10 Depth=1
	s_and_not1_saveexec_b32 s4, s3
; %bb.1053:                             ;   in Loop: Header=BB432_10 Depth=1
	v_and_b32_e32 v30, 0xffff, v20
	v_or_b32_e32 v31, 0x10000, v20
	s_delay_alu instid0(VALU_DEP_2) | instskip(NEXT) | instid1(VALU_DEP_1)
	v_cmp_eq_u32_e64 s3, 0, v30
	v_cndmask_b32_e64 v147, v31, v20, s3
; %bb.1054:                             ;   in Loop: Header=BB432_10 Depth=1
	s_or_b32 exec_lo, exec_lo, s4
	v_mov_b32_e32 v20, 0
	s_mov_b32 s4, exec_lo
	v_cmpx_lt_u32_e32 0xffffff, v148
	s_cbranch_execz .LBB432_1062
; %bb.1055:                             ;   in Loop: Header=BB432_10 Depth=1
	v_lshrrev_b32_e32 v149, 24, v148
	v_bfrev_b32_e32 v20, 1
	s_mov_b32 s20, exec_lo
	s_delay_alu instid0(VALU_DEP_2)
	v_cmpx_ne_u32_e32 0x80, v149
	s_cbranch_execz .LBB432_1061
; %bb.1056:                             ;   in Loop: Header=BB432_10 Depth=1
	v_bfe_u32 v148, v148, 24, 7
	v_mov_b32_e32 v20, 0x7f800001
	s_mov_b32 s21, exec_lo
	s_delay_alu instid0(VALU_DEP_2)
	v_cmpx_ne_u32_e32 0x7f, v148
	s_cbranch_execz .LBB432_1060
; %bb.1057:                             ;   in Loop: Header=BB432_10 Depth=1
	v_and_b32_e32 v20, 7, v149
	v_mov_b32_e32 v31, v21
	v_lshrrev_b32_e32 v31, 3, v148
	s_mov_b32 s22, exec_lo
	s_delay_alu instid0(VALU_DEP_3)
	v_mov_b32_e32 v30, v20
	v_cmpx_gt_u32_e32 8, v148
; %bb.1058:                             ;   in Loop: Header=BB432_10 Depth=1
	v_clz_i32_u32_e32 v30, v20
	s_delay_alu instid0(VALU_DEP_1) | instskip(NEXT) | instid1(VALU_DEP_1)
	v_min_u32_e32 v148, 32, v30
	v_subrev_nc_u32_e32 v30, 28, v148
	s_delay_alu instid0(VALU_DEP_1) | instskip(SKIP_1) | instid1(VALU_DEP_2)
	v_lshlrev_b64 v[30:31], v30, v[20:21]
	v_sub_nc_u32_e32 v31, 29, v148
	v_and_b32_e32 v30, 7, v30
; %bb.1059:                             ;   in Loop: Header=BB432_10 Depth=1
	s_or_b32 exec_lo, exec_lo, s22
	v_lshlrev_b32_e32 v20, 24, v149
	s_delay_alu instid0(VALU_DEP_2) | instskip(SKIP_1) | instid1(VALU_DEP_3)
	v_lshlrev_b32_e32 v30, 20, v30
	v_lshl_add_u32 v31, v31, 23, 0x3c000000
	v_and_b32_e32 v20, 0x80000000, v20
	s_delay_alu instid0(VALU_DEP_1)
	v_or3_b32 v20, v30, v20, v31
.LBB432_1060:                           ;   in Loop: Header=BB432_10 Depth=1
	s_or_b32 exec_lo, exec_lo, s21
.LBB432_1061:                           ;   in Loop: Header=BB432_10 Depth=1
	s_delay_alu instid0(SALU_CYCLE_1)
	s_or_b32 exec_lo, exec_lo, s20
.LBB432_1062:                           ;   in Loop: Header=BB432_10 Depth=1
	s_delay_alu instid0(SALU_CYCLE_1) | instskip(NEXT) | instid1(VALU_DEP_1)
	s_or_b32 exec_lo, exec_lo, s4
	v_mul_f32_e32 v20, v171, v20
                                        ; implicit-def: $vgpr148
	s_delay_alu instid0(VALU_DEP_1) | instskip(NEXT) | instid1(VALU_DEP_1)
	v_and_b32_e32 v30, 0x7f800000, v20
	v_cmp_ne_u32_e64 s3, 0x7f800000, v30
	s_delay_alu instid0(VALU_DEP_1) | instskip(NEXT) | instid1(SALU_CYCLE_1)
	s_and_saveexec_b32 s4, s3
	s_xor_b32 s3, exec_lo, s4
; %bb.1063:                             ;   in Loop: Header=BB432_10 Depth=1
	v_bfe_u32 v30, v20, 16, 1
	s_delay_alu instid0(VALU_DEP_1)
	v_add3_u32 v148, v20, v30, 0x7fff
                                        ; implicit-def: $vgpr20
; %bb.1064:                             ;   in Loop: Header=BB432_10 Depth=1
	s_and_not1_saveexec_b32 s4, s3
; %bb.1065:                             ;   in Loop: Header=BB432_10 Depth=1
	v_and_b32_e32 v30, 0xffff, v20
	v_or_b32_e32 v31, 0x10000, v20
	s_delay_alu instid0(VALU_DEP_2) | instskip(NEXT) | instid1(VALU_DEP_1)
	v_cmp_eq_u32_e64 s3, 0, v30
	v_cndmask_b32_e64 v148, v31, v20, s3
; %bb.1066:                             ;   in Loop: Header=BB432_10 Depth=1
	s_or_b32 exec_lo, exec_lo, s4
	flat_load_b32 v160, v[28:29] offset:2816
	v_mov_b32_e32 v20, 0
	s_mov_b32 s4, exec_lo
	s_waitcnt vmcnt(0) lgkmcnt(0)
	v_and_b32_e32 v30, 0xff, v160
	s_delay_alu instid0(VALU_DEP_1)
	v_cmpx_ne_u16_e32 0, v30
	s_cbranch_execz .LBB432_1074
; %bb.1067:                             ;   in Loop: Header=BB432_10 Depth=1
	v_bfrev_b32_e32 v20, 1
	s_mov_b32 s20, exec_lo
	v_cmpx_ne_u16_e32 0x80, v30
	s_cbranch_execz .LBB432_1073
; %bb.1068:                             ;   in Loop: Header=BB432_10 Depth=1
	v_and_b32_e32 v149, 0x7f, v160
	v_mov_b32_e32 v20, 0x7f800001
	s_mov_b32 s21, exec_lo
	s_delay_alu instid0(VALU_DEP_2)
	v_cmpx_ne_u32_e32 0x7f, v149
	s_cbranch_execz .LBB432_1072
; %bb.1069:                             ;   in Loop: Header=BB432_10 Depth=1
	v_and_b32_e32 v20, 7, v160
	v_mov_b32_e32 v31, v21
	v_lshrrev_b32_e32 v31, 3, v149
	s_mov_b32 s22, exec_lo
	s_delay_alu instid0(VALU_DEP_3)
	v_mov_b32_e32 v30, v20
	v_cmpx_gt_u32_e32 8, v149
; %bb.1070:                             ;   in Loop: Header=BB432_10 Depth=1
	v_clz_i32_u32_e32 v30, v20
	s_delay_alu instid0(VALU_DEP_1) | instskip(NEXT) | instid1(VALU_DEP_1)
	v_min_u32_e32 v149, 32, v30
	v_subrev_nc_u32_e32 v30, 28, v149
	s_delay_alu instid0(VALU_DEP_1) | instskip(SKIP_1) | instid1(VALU_DEP_2)
	v_lshlrev_b64 v[30:31], v30, v[20:21]
	v_sub_nc_u32_e32 v31, 29, v149
	v_and_b32_e32 v30, 7, v30
; %bb.1071:                             ;   in Loop: Header=BB432_10 Depth=1
	s_or_b32 exec_lo, exec_lo, s22
	v_lshlrev_b32_e32 v20, 24, v160
	s_delay_alu instid0(VALU_DEP_2) | instskip(SKIP_1) | instid1(VALU_DEP_3)
	v_lshlrev_b32_e32 v30, 20, v30
	v_lshl_add_u32 v31, v31, 23, 0x3c000000
	v_and_b32_e32 v20, 0x80000000, v20
	s_delay_alu instid0(VALU_DEP_1)
	v_or3_b32 v20, v30, v20, v31
.LBB432_1072:                           ;   in Loop: Header=BB432_10 Depth=1
	s_or_b32 exec_lo, exec_lo, s21
.LBB432_1073:                           ;   in Loop: Header=BB432_10 Depth=1
	s_delay_alu instid0(SALU_CYCLE_1)
	s_or_b32 exec_lo, exec_lo, s20
.LBB432_1074:                           ;   in Loop: Header=BB432_10 Depth=1
	s_delay_alu instid0(SALU_CYCLE_1) | instskip(NEXT) | instid1(VALU_DEP_1)
	s_or_b32 exec_lo, exec_lo, s4
	v_mul_f32_e32 v20, v171, v20
                                        ; implicit-def: $vgpr149
	s_delay_alu instid0(VALU_DEP_1) | instskip(NEXT) | instid1(VALU_DEP_1)
	v_and_b32_e32 v30, 0x7f800000, v20
	v_cmp_ne_u32_e64 s3, 0x7f800000, v30
	s_delay_alu instid0(VALU_DEP_1) | instskip(NEXT) | instid1(SALU_CYCLE_1)
	s_and_saveexec_b32 s4, s3
	s_xor_b32 s3, exec_lo, s4
; %bb.1075:                             ;   in Loop: Header=BB432_10 Depth=1
	v_bfe_u32 v30, v20, 16, 1
	s_delay_alu instid0(VALU_DEP_1)
	v_add3_u32 v149, v20, v30, 0x7fff
                                        ; implicit-def: $vgpr20
; %bb.1076:                             ;   in Loop: Header=BB432_10 Depth=1
	s_and_not1_saveexec_b32 s4, s3
; %bb.1077:                             ;   in Loop: Header=BB432_10 Depth=1
	v_and_b32_e32 v30, 0xffff, v20
	v_or_b32_e32 v31, 0x10000, v20
	s_delay_alu instid0(VALU_DEP_2) | instskip(NEXT) | instid1(VALU_DEP_1)
	v_cmp_eq_u32_e64 s3, 0, v30
	v_cndmask_b32_e64 v149, v31, v20, s3
; %bb.1078:                             ;   in Loop: Header=BB432_10 Depth=1
	s_or_b32 exec_lo, exec_lo, s4
	v_lshrrev_b16 v30, 8, v160
	v_mov_b32_e32 v20, 0
	s_mov_b32 s4, exec_lo
	s_delay_alu instid0(VALU_DEP_2)
	v_cmpx_ne_u16_e32 0, v30
	s_cbranch_execz .LBB432_1086
; %bb.1079:                             ;   in Loop: Header=BB432_10 Depth=1
	v_bfrev_b32_e32 v20, 1
	s_mov_b32 s20, exec_lo
	v_cmpx_ne_u16_e32 0x80, v30
	s_cbranch_execz .LBB432_1085
; %bb.1080:                             ;   in Loop: Header=BB432_10 Depth=1
	v_and_b32_e32 v30, 0xffff, v30
	v_mov_b32_e32 v20, 0x7f800001
	s_mov_b32 s21, exec_lo
	s_delay_alu instid0(VALU_DEP_2) | instskip(NEXT) | instid1(VALU_DEP_1)
	v_and_b32_e32 v150, 0x7f, v30
	v_cmpx_ne_u32_e32 0x7f, v150
	s_cbranch_execz .LBB432_1084
; %bb.1081:                             ;   in Loop: Header=BB432_10 Depth=1
	v_and_b32_e32 v20, 7, v30
	v_mov_b32_e32 v31, v21
	v_lshrrev_b32_e32 v31, 3, v150
	s_mov_b32 s22, exec_lo
	s_delay_alu instid0(VALU_DEP_3)
	v_mov_b32_e32 v30, v20
	v_cmpx_gt_u32_e32 8, v150
; %bb.1082:                             ;   in Loop: Header=BB432_10 Depth=1
	v_clz_i32_u32_e32 v30, v20
	s_delay_alu instid0(VALU_DEP_1) | instskip(NEXT) | instid1(VALU_DEP_1)
	v_min_u32_e32 v150, 32, v30
	v_subrev_nc_u32_e32 v30, 28, v150
	s_delay_alu instid0(VALU_DEP_1) | instskip(SKIP_1) | instid1(VALU_DEP_2)
	v_lshlrev_b64 v[30:31], v30, v[20:21]
	v_sub_nc_u32_e32 v31, 29, v150
	v_and_b32_e32 v30, 7, v30
; %bb.1083:                             ;   in Loop: Header=BB432_10 Depth=1
	s_or_b32 exec_lo, exec_lo, s22
	v_lshlrev_b32_e32 v20, 16, v160
	s_delay_alu instid0(VALU_DEP_2) | instskip(SKIP_1) | instid1(VALU_DEP_3)
	v_lshlrev_b32_e32 v30, 20, v30
	v_lshl_add_u32 v31, v31, 23, 0x3c000000
	v_and_b32_e32 v20, 0x80000000, v20
	s_delay_alu instid0(VALU_DEP_1)
	v_or3_b32 v20, v30, v20, v31
.LBB432_1084:                           ;   in Loop: Header=BB432_10 Depth=1
	s_or_b32 exec_lo, exec_lo, s21
.LBB432_1085:                           ;   in Loop: Header=BB432_10 Depth=1
	s_delay_alu instid0(SALU_CYCLE_1)
	s_or_b32 exec_lo, exec_lo, s20
.LBB432_1086:                           ;   in Loop: Header=BB432_10 Depth=1
	s_delay_alu instid0(SALU_CYCLE_1) | instskip(NEXT) | instid1(VALU_DEP_1)
	s_or_b32 exec_lo, exec_lo, s4
	v_mul_f32_e32 v20, v171, v20
                                        ; implicit-def: $vgpr150
	s_delay_alu instid0(VALU_DEP_1) | instskip(NEXT) | instid1(VALU_DEP_1)
	v_and_b32_e32 v30, 0x7f800000, v20
	v_cmp_ne_u32_e64 s3, 0x7f800000, v30
	s_delay_alu instid0(VALU_DEP_1) | instskip(NEXT) | instid1(SALU_CYCLE_1)
	s_and_saveexec_b32 s4, s3
	s_xor_b32 s3, exec_lo, s4
; %bb.1087:                             ;   in Loop: Header=BB432_10 Depth=1
	v_bfe_u32 v30, v20, 16, 1
	s_delay_alu instid0(VALU_DEP_1)
	v_add3_u32 v150, v20, v30, 0x7fff
                                        ; implicit-def: $vgpr20
; %bb.1088:                             ;   in Loop: Header=BB432_10 Depth=1
	s_and_not1_saveexec_b32 s4, s3
; %bb.1089:                             ;   in Loop: Header=BB432_10 Depth=1
	v_and_b32_e32 v30, 0xffff, v20
	v_or_b32_e32 v31, 0x10000, v20
	s_delay_alu instid0(VALU_DEP_2) | instskip(NEXT) | instid1(VALU_DEP_1)
	v_cmp_eq_u32_e64 s3, 0, v30
	v_cndmask_b32_e64 v150, v31, v20, s3
; %bb.1090:                             ;   in Loop: Header=BB432_10 Depth=1
	s_or_b32 exec_lo, exec_lo, s4
	v_lshrrev_b32_e32 v151, 16, v160
	v_mov_b32_e32 v20, 0
	s_mov_b32 s4, exec_lo
	s_delay_alu instid0(VALU_DEP_2) | instskip(NEXT) | instid1(VALU_DEP_1)
	v_and_b32_e32 v30, 0xff, v151
	v_cmpx_ne_u16_e32 0, v30
	s_cbranch_execz .LBB432_1098
; %bb.1091:                             ;   in Loop: Header=BB432_10 Depth=1
	v_bfrev_b32_e32 v20, 1
	s_mov_b32 s20, exec_lo
	v_cmpx_ne_u16_e32 0x80, v30
	s_cbranch_execz .LBB432_1097
; %bb.1092:                             ;   in Loop: Header=BB432_10 Depth=1
	v_bfe_u32 v161, v160, 16, 7
	v_mov_b32_e32 v20, 0x7f800001
	s_mov_b32 s21, exec_lo
	s_delay_alu instid0(VALU_DEP_2)
	v_cmpx_ne_u32_e32 0x7f, v161
	s_cbranch_execz .LBB432_1096
; %bb.1093:                             ;   in Loop: Header=BB432_10 Depth=1
	v_and_b32_e32 v20, 7, v151
	v_mov_b32_e32 v31, v21
	v_lshrrev_b32_e32 v31, 3, v161
	s_mov_b32 s22, exec_lo
	s_delay_alu instid0(VALU_DEP_3)
	v_mov_b32_e32 v30, v20
	v_cmpx_gt_u32_e32 8, v161
; %bb.1094:                             ;   in Loop: Header=BB432_10 Depth=1
	v_clz_i32_u32_e32 v30, v20
	s_delay_alu instid0(VALU_DEP_1) | instskip(NEXT) | instid1(VALU_DEP_1)
	v_min_u32_e32 v161, 32, v30
	v_subrev_nc_u32_e32 v30, 28, v161
	s_delay_alu instid0(VALU_DEP_1) | instskip(SKIP_1) | instid1(VALU_DEP_2)
	v_lshlrev_b64 v[30:31], v30, v[20:21]
	v_sub_nc_u32_e32 v31, 29, v161
	v_and_b32_e32 v30, 7, v30
; %bb.1095:                             ;   in Loop: Header=BB432_10 Depth=1
	s_or_b32 exec_lo, exec_lo, s22
	v_lshlrev_b32_e32 v20, 24, v151
	s_delay_alu instid0(VALU_DEP_2) | instskip(SKIP_1) | instid1(VALU_DEP_3)
	v_lshlrev_b32_e32 v30, 20, v30
	v_lshl_add_u32 v31, v31, 23, 0x3c000000
	v_and_b32_e32 v20, 0x80000000, v20
	s_delay_alu instid0(VALU_DEP_1)
	v_or3_b32 v20, v30, v20, v31
.LBB432_1096:                           ;   in Loop: Header=BB432_10 Depth=1
	s_or_b32 exec_lo, exec_lo, s21
.LBB432_1097:                           ;   in Loop: Header=BB432_10 Depth=1
	s_delay_alu instid0(SALU_CYCLE_1)
	s_or_b32 exec_lo, exec_lo, s20
.LBB432_1098:                           ;   in Loop: Header=BB432_10 Depth=1
	s_delay_alu instid0(SALU_CYCLE_1) | instskip(NEXT) | instid1(VALU_DEP_1)
	s_or_b32 exec_lo, exec_lo, s4
	v_mul_f32_e32 v20, v171, v20
                                        ; implicit-def: $vgpr151
	s_delay_alu instid0(VALU_DEP_1) | instskip(NEXT) | instid1(VALU_DEP_1)
	v_and_b32_e32 v30, 0x7f800000, v20
	v_cmp_ne_u32_e64 s3, 0x7f800000, v30
	s_delay_alu instid0(VALU_DEP_1) | instskip(NEXT) | instid1(SALU_CYCLE_1)
	s_and_saveexec_b32 s4, s3
	s_xor_b32 s3, exec_lo, s4
; %bb.1099:                             ;   in Loop: Header=BB432_10 Depth=1
	v_bfe_u32 v30, v20, 16, 1
	s_delay_alu instid0(VALU_DEP_1)
	v_add3_u32 v151, v20, v30, 0x7fff
                                        ; implicit-def: $vgpr20
; %bb.1100:                             ;   in Loop: Header=BB432_10 Depth=1
	s_and_not1_saveexec_b32 s4, s3
; %bb.1101:                             ;   in Loop: Header=BB432_10 Depth=1
	v_and_b32_e32 v30, 0xffff, v20
	v_or_b32_e32 v31, 0x10000, v20
	s_delay_alu instid0(VALU_DEP_2) | instskip(NEXT) | instid1(VALU_DEP_1)
	v_cmp_eq_u32_e64 s3, 0, v30
	v_cndmask_b32_e64 v151, v31, v20, s3
; %bb.1102:                             ;   in Loop: Header=BB432_10 Depth=1
	s_or_b32 exec_lo, exec_lo, s4
	v_mov_b32_e32 v20, 0
	s_mov_b32 s4, exec_lo
	v_cmpx_lt_u32_e32 0xffffff, v160
	s_cbranch_execz .LBB432_1110
; %bb.1103:                             ;   in Loop: Header=BB432_10 Depth=1
	v_lshrrev_b32_e32 v161, 24, v160
	v_bfrev_b32_e32 v20, 1
	s_mov_b32 s20, exec_lo
	s_delay_alu instid0(VALU_DEP_2)
	v_cmpx_ne_u32_e32 0x80, v161
	s_cbranch_execz .LBB432_1109
; %bb.1104:                             ;   in Loop: Header=BB432_10 Depth=1
	v_bfe_u32 v160, v160, 24, 7
	v_mov_b32_e32 v20, 0x7f800001
	s_mov_b32 s21, exec_lo
	s_delay_alu instid0(VALU_DEP_2)
	v_cmpx_ne_u32_e32 0x7f, v160
	s_cbranch_execz .LBB432_1108
; %bb.1105:                             ;   in Loop: Header=BB432_10 Depth=1
	v_and_b32_e32 v20, 7, v161
	v_mov_b32_e32 v31, v21
	v_lshrrev_b32_e32 v31, 3, v160
	s_mov_b32 s22, exec_lo
	s_delay_alu instid0(VALU_DEP_3)
	v_mov_b32_e32 v30, v20
	v_cmpx_gt_u32_e32 8, v160
; %bb.1106:                             ;   in Loop: Header=BB432_10 Depth=1
	v_clz_i32_u32_e32 v30, v20
	s_delay_alu instid0(VALU_DEP_1) | instskip(NEXT) | instid1(VALU_DEP_1)
	v_min_u32_e32 v160, 32, v30
	v_subrev_nc_u32_e32 v30, 28, v160
	s_delay_alu instid0(VALU_DEP_1) | instskip(SKIP_1) | instid1(VALU_DEP_2)
	v_lshlrev_b64 v[30:31], v30, v[20:21]
	v_sub_nc_u32_e32 v31, 29, v160
	v_and_b32_e32 v30, 7, v30
; %bb.1107:                             ;   in Loop: Header=BB432_10 Depth=1
	s_or_b32 exec_lo, exec_lo, s22
	v_lshlrev_b32_e32 v20, 24, v161
	s_delay_alu instid0(VALU_DEP_2) | instskip(SKIP_1) | instid1(VALU_DEP_3)
	v_lshlrev_b32_e32 v30, 20, v30
	v_lshl_add_u32 v31, v31, 23, 0x3c000000
	v_and_b32_e32 v20, 0x80000000, v20
	s_delay_alu instid0(VALU_DEP_1)
	v_or3_b32 v20, v30, v20, v31
.LBB432_1108:                           ;   in Loop: Header=BB432_10 Depth=1
	s_or_b32 exec_lo, exec_lo, s21
.LBB432_1109:                           ;   in Loop: Header=BB432_10 Depth=1
	s_delay_alu instid0(SALU_CYCLE_1)
	s_or_b32 exec_lo, exec_lo, s20
.LBB432_1110:                           ;   in Loop: Header=BB432_10 Depth=1
	s_delay_alu instid0(SALU_CYCLE_1) | instskip(NEXT) | instid1(VALU_DEP_1)
	s_or_b32 exec_lo, exec_lo, s4
	v_mul_f32_e32 v20, v171, v20
                                        ; implicit-def: $vgpr160
	s_delay_alu instid0(VALU_DEP_1) | instskip(NEXT) | instid1(VALU_DEP_1)
	v_and_b32_e32 v30, 0x7f800000, v20
	v_cmp_ne_u32_e64 s3, 0x7f800000, v30
	s_delay_alu instid0(VALU_DEP_1) | instskip(NEXT) | instid1(SALU_CYCLE_1)
	s_and_saveexec_b32 s4, s3
	s_xor_b32 s3, exec_lo, s4
; %bb.1111:                             ;   in Loop: Header=BB432_10 Depth=1
	v_bfe_u32 v30, v20, 16, 1
	s_delay_alu instid0(VALU_DEP_1)
	v_add3_u32 v160, v20, v30, 0x7fff
                                        ; implicit-def: $vgpr20
; %bb.1112:                             ;   in Loop: Header=BB432_10 Depth=1
	s_and_not1_saveexec_b32 s4, s3
; %bb.1113:                             ;   in Loop: Header=BB432_10 Depth=1
	v_and_b32_e32 v30, 0xffff, v20
	v_or_b32_e32 v31, 0x10000, v20
	s_delay_alu instid0(VALU_DEP_2) | instskip(NEXT) | instid1(VALU_DEP_1)
	v_cmp_eq_u32_e64 s3, 0, v30
	v_cndmask_b32_e64 v160, v31, v20, s3
; %bb.1114:                             ;   in Loop: Header=BB432_10 Depth=1
	s_or_b32 exec_lo, exec_lo, s4
	flat_load_b32 v164, v[28:29] offset:2824
	v_mov_b32_e32 v20, 0
	s_mov_b32 s4, exec_lo
	s_waitcnt vmcnt(0) lgkmcnt(0)
	v_and_b32_e32 v30, 0xff, v164
	s_delay_alu instid0(VALU_DEP_1)
	v_cmpx_ne_u16_e32 0, v30
	s_cbranch_execz .LBB432_1122
; %bb.1115:                             ;   in Loop: Header=BB432_10 Depth=1
	v_bfrev_b32_e32 v20, 1
	s_mov_b32 s20, exec_lo
	v_cmpx_ne_u16_e32 0x80, v30
	s_cbranch_execz .LBB432_1121
; %bb.1116:                             ;   in Loop: Header=BB432_10 Depth=1
	v_and_b32_e32 v161, 0x7f, v164
	v_mov_b32_e32 v20, 0x7f800001
	s_mov_b32 s21, exec_lo
	s_delay_alu instid0(VALU_DEP_2)
	v_cmpx_ne_u32_e32 0x7f, v161
	s_cbranch_execz .LBB432_1120
; %bb.1117:                             ;   in Loop: Header=BB432_10 Depth=1
	v_and_b32_e32 v20, 7, v164
	v_mov_b32_e32 v31, v21
	v_lshrrev_b32_e32 v31, 3, v161
	s_mov_b32 s22, exec_lo
	s_delay_alu instid0(VALU_DEP_3)
	v_mov_b32_e32 v30, v20
	v_cmpx_gt_u32_e32 8, v161
; %bb.1118:                             ;   in Loop: Header=BB432_10 Depth=1
	v_clz_i32_u32_e32 v30, v20
	s_delay_alu instid0(VALU_DEP_1) | instskip(NEXT) | instid1(VALU_DEP_1)
	v_min_u32_e32 v161, 32, v30
	v_subrev_nc_u32_e32 v30, 28, v161
	s_delay_alu instid0(VALU_DEP_1) | instskip(SKIP_1) | instid1(VALU_DEP_2)
	v_lshlrev_b64 v[30:31], v30, v[20:21]
	v_sub_nc_u32_e32 v31, 29, v161
	v_and_b32_e32 v30, 7, v30
; %bb.1119:                             ;   in Loop: Header=BB432_10 Depth=1
	s_or_b32 exec_lo, exec_lo, s22
	v_lshlrev_b32_e32 v20, 24, v164
	s_delay_alu instid0(VALU_DEP_2) | instskip(SKIP_1) | instid1(VALU_DEP_3)
	v_lshlrev_b32_e32 v30, 20, v30
	v_lshl_add_u32 v31, v31, 23, 0x3c000000
	v_and_b32_e32 v20, 0x80000000, v20
	s_delay_alu instid0(VALU_DEP_1)
	v_or3_b32 v20, v30, v20, v31
.LBB432_1120:                           ;   in Loop: Header=BB432_10 Depth=1
	s_or_b32 exec_lo, exec_lo, s21
.LBB432_1121:                           ;   in Loop: Header=BB432_10 Depth=1
	s_delay_alu instid0(SALU_CYCLE_1)
	s_or_b32 exec_lo, exec_lo, s20
.LBB432_1122:                           ;   in Loop: Header=BB432_10 Depth=1
	s_delay_alu instid0(SALU_CYCLE_1) | instskip(NEXT) | instid1(VALU_DEP_1)
	s_or_b32 exec_lo, exec_lo, s4
	v_mul_f32_e32 v20, v171, v20
                                        ; implicit-def: $vgpr161
	s_delay_alu instid0(VALU_DEP_1) | instskip(NEXT) | instid1(VALU_DEP_1)
	v_and_b32_e32 v30, 0x7f800000, v20
	v_cmp_ne_u32_e64 s3, 0x7f800000, v30
	s_delay_alu instid0(VALU_DEP_1) | instskip(NEXT) | instid1(SALU_CYCLE_1)
	s_and_saveexec_b32 s4, s3
	s_xor_b32 s3, exec_lo, s4
; %bb.1123:                             ;   in Loop: Header=BB432_10 Depth=1
	v_bfe_u32 v30, v20, 16, 1
	s_delay_alu instid0(VALU_DEP_1)
	v_add3_u32 v161, v20, v30, 0x7fff
                                        ; implicit-def: $vgpr20
; %bb.1124:                             ;   in Loop: Header=BB432_10 Depth=1
	s_and_not1_saveexec_b32 s4, s3
; %bb.1125:                             ;   in Loop: Header=BB432_10 Depth=1
	v_and_b32_e32 v30, 0xffff, v20
	v_or_b32_e32 v31, 0x10000, v20
	s_delay_alu instid0(VALU_DEP_2) | instskip(NEXT) | instid1(VALU_DEP_1)
	v_cmp_eq_u32_e64 s3, 0, v30
	v_cndmask_b32_e64 v161, v31, v20, s3
; %bb.1126:                             ;   in Loop: Header=BB432_10 Depth=1
	s_or_b32 exec_lo, exec_lo, s4
	v_lshrrev_b16 v30, 8, v164
	v_mov_b32_e32 v20, 0
	s_mov_b32 s4, exec_lo
	s_delay_alu instid0(VALU_DEP_2)
	v_cmpx_ne_u16_e32 0, v30
	s_cbranch_execz .LBB432_1134
; %bb.1127:                             ;   in Loop: Header=BB432_10 Depth=1
	v_bfrev_b32_e32 v20, 1
	s_mov_b32 s20, exec_lo
	v_cmpx_ne_u16_e32 0x80, v30
	s_cbranch_execz .LBB432_1133
; %bb.1128:                             ;   in Loop: Header=BB432_10 Depth=1
	v_and_b32_e32 v30, 0xffff, v30
	v_mov_b32_e32 v20, 0x7f800001
	s_mov_b32 s21, exec_lo
	s_delay_alu instid0(VALU_DEP_2) | instskip(NEXT) | instid1(VALU_DEP_1)
	v_and_b32_e32 v162, 0x7f, v30
	v_cmpx_ne_u32_e32 0x7f, v162
	s_cbranch_execz .LBB432_1132
; %bb.1129:                             ;   in Loop: Header=BB432_10 Depth=1
	v_and_b32_e32 v20, 7, v30
	v_mov_b32_e32 v31, v21
	v_lshrrev_b32_e32 v31, 3, v162
	s_mov_b32 s22, exec_lo
	s_delay_alu instid0(VALU_DEP_3)
	v_mov_b32_e32 v30, v20
	v_cmpx_gt_u32_e32 8, v162
; %bb.1130:                             ;   in Loop: Header=BB432_10 Depth=1
	v_clz_i32_u32_e32 v30, v20
	s_delay_alu instid0(VALU_DEP_1) | instskip(NEXT) | instid1(VALU_DEP_1)
	v_min_u32_e32 v162, 32, v30
	v_subrev_nc_u32_e32 v30, 28, v162
	s_delay_alu instid0(VALU_DEP_1) | instskip(SKIP_1) | instid1(VALU_DEP_2)
	v_lshlrev_b64 v[30:31], v30, v[20:21]
	v_sub_nc_u32_e32 v31, 29, v162
	v_and_b32_e32 v30, 7, v30
; %bb.1131:                             ;   in Loop: Header=BB432_10 Depth=1
	s_or_b32 exec_lo, exec_lo, s22
	v_lshlrev_b32_e32 v20, 16, v164
	s_delay_alu instid0(VALU_DEP_2) | instskip(SKIP_1) | instid1(VALU_DEP_3)
	v_lshlrev_b32_e32 v30, 20, v30
	v_lshl_add_u32 v31, v31, 23, 0x3c000000
	v_and_b32_e32 v20, 0x80000000, v20
	s_delay_alu instid0(VALU_DEP_1)
	v_or3_b32 v20, v30, v20, v31
.LBB432_1132:                           ;   in Loop: Header=BB432_10 Depth=1
	s_or_b32 exec_lo, exec_lo, s21
.LBB432_1133:                           ;   in Loop: Header=BB432_10 Depth=1
	s_delay_alu instid0(SALU_CYCLE_1)
	s_or_b32 exec_lo, exec_lo, s20
.LBB432_1134:                           ;   in Loop: Header=BB432_10 Depth=1
	s_delay_alu instid0(SALU_CYCLE_1) | instskip(NEXT) | instid1(VALU_DEP_1)
	s_or_b32 exec_lo, exec_lo, s4
	v_mul_f32_e32 v20, v171, v20
                                        ; implicit-def: $vgpr162
	s_delay_alu instid0(VALU_DEP_1) | instskip(NEXT) | instid1(VALU_DEP_1)
	v_and_b32_e32 v30, 0x7f800000, v20
	v_cmp_ne_u32_e64 s3, 0x7f800000, v30
	s_delay_alu instid0(VALU_DEP_1) | instskip(NEXT) | instid1(SALU_CYCLE_1)
	s_and_saveexec_b32 s4, s3
	s_xor_b32 s3, exec_lo, s4
; %bb.1135:                             ;   in Loop: Header=BB432_10 Depth=1
	v_bfe_u32 v30, v20, 16, 1
	s_delay_alu instid0(VALU_DEP_1)
	v_add3_u32 v162, v20, v30, 0x7fff
                                        ; implicit-def: $vgpr20
; %bb.1136:                             ;   in Loop: Header=BB432_10 Depth=1
	s_and_not1_saveexec_b32 s4, s3
; %bb.1137:                             ;   in Loop: Header=BB432_10 Depth=1
	v_and_b32_e32 v30, 0xffff, v20
	v_or_b32_e32 v31, 0x10000, v20
	s_delay_alu instid0(VALU_DEP_2) | instskip(NEXT) | instid1(VALU_DEP_1)
	v_cmp_eq_u32_e64 s3, 0, v30
	v_cndmask_b32_e64 v162, v31, v20, s3
; %bb.1138:                             ;   in Loop: Header=BB432_10 Depth=1
	s_or_b32 exec_lo, exec_lo, s4
	v_lshrrev_b32_e32 v163, 16, v164
	v_mov_b32_e32 v20, 0
	s_mov_b32 s4, exec_lo
	s_delay_alu instid0(VALU_DEP_2) | instskip(NEXT) | instid1(VALU_DEP_1)
	v_and_b32_e32 v30, 0xff, v163
	v_cmpx_ne_u16_e32 0, v30
	s_cbranch_execz .LBB432_1146
; %bb.1139:                             ;   in Loop: Header=BB432_10 Depth=1
	v_bfrev_b32_e32 v20, 1
	s_mov_b32 s20, exec_lo
	v_cmpx_ne_u16_e32 0x80, v30
	s_cbranch_execz .LBB432_1145
; %bb.1140:                             ;   in Loop: Header=BB432_10 Depth=1
	v_bfe_u32 v165, v164, 16, 7
	v_mov_b32_e32 v20, 0x7f800001
	s_mov_b32 s21, exec_lo
	s_delay_alu instid0(VALU_DEP_2)
	v_cmpx_ne_u32_e32 0x7f, v165
	s_cbranch_execz .LBB432_1144
; %bb.1141:                             ;   in Loop: Header=BB432_10 Depth=1
	v_and_b32_e32 v20, 7, v163
	v_mov_b32_e32 v31, v21
	v_lshrrev_b32_e32 v31, 3, v165
	s_mov_b32 s22, exec_lo
	s_delay_alu instid0(VALU_DEP_3)
	v_mov_b32_e32 v30, v20
	v_cmpx_gt_u32_e32 8, v165
; %bb.1142:                             ;   in Loop: Header=BB432_10 Depth=1
	v_clz_i32_u32_e32 v30, v20
	s_delay_alu instid0(VALU_DEP_1) | instskip(NEXT) | instid1(VALU_DEP_1)
	v_min_u32_e32 v165, 32, v30
	v_subrev_nc_u32_e32 v30, 28, v165
	s_delay_alu instid0(VALU_DEP_1) | instskip(SKIP_1) | instid1(VALU_DEP_2)
	v_lshlrev_b64 v[30:31], v30, v[20:21]
	v_sub_nc_u32_e32 v31, 29, v165
	v_and_b32_e32 v30, 7, v30
; %bb.1143:                             ;   in Loop: Header=BB432_10 Depth=1
	s_or_b32 exec_lo, exec_lo, s22
	v_lshlrev_b32_e32 v20, 24, v163
	s_delay_alu instid0(VALU_DEP_2) | instskip(SKIP_1) | instid1(VALU_DEP_3)
	v_lshlrev_b32_e32 v30, 20, v30
	v_lshl_add_u32 v31, v31, 23, 0x3c000000
	v_and_b32_e32 v20, 0x80000000, v20
	s_delay_alu instid0(VALU_DEP_1)
	v_or3_b32 v20, v30, v20, v31
.LBB432_1144:                           ;   in Loop: Header=BB432_10 Depth=1
	s_or_b32 exec_lo, exec_lo, s21
.LBB432_1145:                           ;   in Loop: Header=BB432_10 Depth=1
	s_delay_alu instid0(SALU_CYCLE_1)
	s_or_b32 exec_lo, exec_lo, s20
.LBB432_1146:                           ;   in Loop: Header=BB432_10 Depth=1
	s_delay_alu instid0(SALU_CYCLE_1) | instskip(NEXT) | instid1(VALU_DEP_1)
	s_or_b32 exec_lo, exec_lo, s4
	v_mul_f32_e32 v20, v171, v20
                                        ; implicit-def: $vgpr163
	s_delay_alu instid0(VALU_DEP_1) | instskip(NEXT) | instid1(VALU_DEP_1)
	v_and_b32_e32 v30, 0x7f800000, v20
	v_cmp_ne_u32_e64 s3, 0x7f800000, v30
	s_delay_alu instid0(VALU_DEP_1) | instskip(NEXT) | instid1(SALU_CYCLE_1)
	s_and_saveexec_b32 s4, s3
	s_xor_b32 s3, exec_lo, s4
; %bb.1147:                             ;   in Loop: Header=BB432_10 Depth=1
	v_bfe_u32 v30, v20, 16, 1
	s_delay_alu instid0(VALU_DEP_1)
	v_add3_u32 v163, v20, v30, 0x7fff
                                        ; implicit-def: $vgpr20
; %bb.1148:                             ;   in Loop: Header=BB432_10 Depth=1
	s_and_not1_saveexec_b32 s4, s3
; %bb.1149:                             ;   in Loop: Header=BB432_10 Depth=1
	v_and_b32_e32 v30, 0xffff, v20
	v_or_b32_e32 v31, 0x10000, v20
	s_delay_alu instid0(VALU_DEP_2) | instskip(NEXT) | instid1(VALU_DEP_1)
	v_cmp_eq_u32_e64 s3, 0, v30
	v_cndmask_b32_e64 v163, v31, v20, s3
; %bb.1150:                             ;   in Loop: Header=BB432_10 Depth=1
	s_or_b32 exec_lo, exec_lo, s4
	v_mov_b32_e32 v20, 0
	s_mov_b32 s4, exec_lo
	v_cmpx_lt_u32_e32 0xffffff, v164
	s_cbranch_execz .LBB432_1158
; %bb.1151:                             ;   in Loop: Header=BB432_10 Depth=1
	v_lshrrev_b32_e32 v165, 24, v164
	v_bfrev_b32_e32 v20, 1
	s_mov_b32 s20, exec_lo
	s_delay_alu instid0(VALU_DEP_2)
	v_cmpx_ne_u32_e32 0x80, v165
	s_cbranch_execz .LBB432_1157
; %bb.1152:                             ;   in Loop: Header=BB432_10 Depth=1
	v_bfe_u32 v164, v164, 24, 7
	v_mov_b32_e32 v20, 0x7f800001
	s_mov_b32 s21, exec_lo
	s_delay_alu instid0(VALU_DEP_2)
	v_cmpx_ne_u32_e32 0x7f, v164
	s_cbranch_execz .LBB432_1156
; %bb.1153:                             ;   in Loop: Header=BB432_10 Depth=1
	v_and_b32_e32 v20, 7, v165
	v_mov_b32_e32 v31, v21
	v_lshrrev_b32_e32 v31, 3, v164
	s_mov_b32 s22, exec_lo
	s_delay_alu instid0(VALU_DEP_3)
	v_mov_b32_e32 v30, v20
	v_cmpx_gt_u32_e32 8, v164
; %bb.1154:                             ;   in Loop: Header=BB432_10 Depth=1
	v_clz_i32_u32_e32 v30, v20
	s_delay_alu instid0(VALU_DEP_1) | instskip(NEXT) | instid1(VALU_DEP_1)
	v_min_u32_e32 v164, 32, v30
	v_subrev_nc_u32_e32 v30, 28, v164
	s_delay_alu instid0(VALU_DEP_1) | instskip(SKIP_1) | instid1(VALU_DEP_2)
	v_lshlrev_b64 v[30:31], v30, v[20:21]
	v_sub_nc_u32_e32 v31, 29, v164
	v_and_b32_e32 v30, 7, v30
; %bb.1155:                             ;   in Loop: Header=BB432_10 Depth=1
	s_or_b32 exec_lo, exec_lo, s22
	v_lshlrev_b32_e32 v20, 24, v165
	s_delay_alu instid0(VALU_DEP_2) | instskip(SKIP_1) | instid1(VALU_DEP_3)
	v_lshlrev_b32_e32 v30, 20, v30
	v_lshl_add_u32 v31, v31, 23, 0x3c000000
	v_and_b32_e32 v20, 0x80000000, v20
	s_delay_alu instid0(VALU_DEP_1)
	v_or3_b32 v20, v30, v20, v31
.LBB432_1156:                           ;   in Loop: Header=BB432_10 Depth=1
	s_or_b32 exec_lo, exec_lo, s21
.LBB432_1157:                           ;   in Loop: Header=BB432_10 Depth=1
	s_delay_alu instid0(SALU_CYCLE_1)
	s_or_b32 exec_lo, exec_lo, s20
.LBB432_1158:                           ;   in Loop: Header=BB432_10 Depth=1
	s_delay_alu instid0(SALU_CYCLE_1) | instskip(NEXT) | instid1(VALU_DEP_1)
	s_or_b32 exec_lo, exec_lo, s4
	v_mul_f32_e32 v20, v171, v20
                                        ; implicit-def: $vgpr164
	s_delay_alu instid0(VALU_DEP_1) | instskip(NEXT) | instid1(VALU_DEP_1)
	v_and_b32_e32 v30, 0x7f800000, v20
	v_cmp_ne_u32_e64 s3, 0x7f800000, v30
	s_delay_alu instid0(VALU_DEP_1) | instskip(NEXT) | instid1(SALU_CYCLE_1)
	s_and_saveexec_b32 s4, s3
	s_xor_b32 s3, exec_lo, s4
; %bb.1159:                             ;   in Loop: Header=BB432_10 Depth=1
	v_bfe_u32 v30, v20, 16, 1
	s_delay_alu instid0(VALU_DEP_1)
	v_add3_u32 v164, v20, v30, 0x7fff
                                        ; implicit-def: $vgpr20
; %bb.1160:                             ;   in Loop: Header=BB432_10 Depth=1
	s_and_not1_saveexec_b32 s4, s3
; %bb.1161:                             ;   in Loop: Header=BB432_10 Depth=1
	v_and_b32_e32 v30, 0xffff, v20
	v_or_b32_e32 v31, 0x10000, v20
	s_delay_alu instid0(VALU_DEP_2) | instskip(NEXT) | instid1(VALU_DEP_1)
	v_cmp_eq_u32_e64 s3, 0, v30
	v_cndmask_b32_e64 v164, v31, v20, s3
; %bb.1162:                             ;   in Loop: Header=BB432_10 Depth=1
	s_or_b32 exec_lo, exec_lo, s4
	flat_load_b32 v176, v[28:29] offset:3072
	v_mov_b32_e32 v20, 0
	s_mov_b32 s4, exec_lo
	s_waitcnt vmcnt(0) lgkmcnt(0)
	v_and_b32_e32 v30, 0xff, v176
	s_delay_alu instid0(VALU_DEP_1)
	v_cmpx_ne_u16_e32 0, v30
	s_cbranch_execz .LBB432_1170
; %bb.1163:                             ;   in Loop: Header=BB432_10 Depth=1
	v_bfrev_b32_e32 v20, 1
	s_mov_b32 s20, exec_lo
	v_cmpx_ne_u16_e32 0x80, v30
	s_cbranch_execz .LBB432_1169
; %bb.1164:                             ;   in Loop: Header=BB432_10 Depth=1
	v_and_b32_e32 v165, 0x7f, v176
	v_mov_b32_e32 v20, 0x7f800001
	s_mov_b32 s21, exec_lo
	s_delay_alu instid0(VALU_DEP_2)
	v_cmpx_ne_u32_e32 0x7f, v165
	s_cbranch_execz .LBB432_1168
; %bb.1165:                             ;   in Loop: Header=BB432_10 Depth=1
	v_and_b32_e32 v20, 7, v176
	v_mov_b32_e32 v31, v21
	v_lshrrev_b32_e32 v31, 3, v165
	s_mov_b32 s22, exec_lo
	s_delay_alu instid0(VALU_DEP_3)
	v_mov_b32_e32 v30, v20
	v_cmpx_gt_u32_e32 8, v165
; %bb.1166:                             ;   in Loop: Header=BB432_10 Depth=1
	v_clz_i32_u32_e32 v30, v20
	s_delay_alu instid0(VALU_DEP_1) | instskip(NEXT) | instid1(VALU_DEP_1)
	v_min_u32_e32 v165, 32, v30
	v_subrev_nc_u32_e32 v30, 28, v165
	s_delay_alu instid0(VALU_DEP_1) | instskip(SKIP_1) | instid1(VALU_DEP_2)
	v_lshlrev_b64 v[30:31], v30, v[20:21]
	v_sub_nc_u32_e32 v31, 29, v165
	v_and_b32_e32 v30, 7, v30
; %bb.1167:                             ;   in Loop: Header=BB432_10 Depth=1
	s_or_b32 exec_lo, exec_lo, s22
	v_lshlrev_b32_e32 v20, 24, v176
	s_delay_alu instid0(VALU_DEP_2) | instskip(SKIP_1) | instid1(VALU_DEP_3)
	v_lshlrev_b32_e32 v30, 20, v30
	v_lshl_add_u32 v31, v31, 23, 0x3c000000
	v_and_b32_e32 v20, 0x80000000, v20
	s_delay_alu instid0(VALU_DEP_1)
	v_or3_b32 v20, v30, v20, v31
.LBB432_1168:                           ;   in Loop: Header=BB432_10 Depth=1
	s_or_b32 exec_lo, exec_lo, s21
.LBB432_1169:                           ;   in Loop: Header=BB432_10 Depth=1
	s_delay_alu instid0(SALU_CYCLE_1)
	s_or_b32 exec_lo, exec_lo, s20
.LBB432_1170:                           ;   in Loop: Header=BB432_10 Depth=1
	s_delay_alu instid0(SALU_CYCLE_1) | instskip(NEXT) | instid1(VALU_DEP_1)
	s_or_b32 exec_lo, exec_lo, s4
	v_mul_f32_e32 v20, v171, v20
                                        ; implicit-def: $vgpr165
	s_delay_alu instid0(VALU_DEP_1) | instskip(NEXT) | instid1(VALU_DEP_1)
	v_and_b32_e32 v30, 0x7f800000, v20
	v_cmp_ne_u32_e64 s3, 0x7f800000, v30
	s_delay_alu instid0(VALU_DEP_1) | instskip(NEXT) | instid1(SALU_CYCLE_1)
	s_and_saveexec_b32 s4, s3
	s_xor_b32 s3, exec_lo, s4
; %bb.1171:                             ;   in Loop: Header=BB432_10 Depth=1
	v_bfe_u32 v30, v20, 16, 1
	s_delay_alu instid0(VALU_DEP_1)
	v_add3_u32 v165, v20, v30, 0x7fff
                                        ; implicit-def: $vgpr20
; %bb.1172:                             ;   in Loop: Header=BB432_10 Depth=1
	s_and_not1_saveexec_b32 s4, s3
; %bb.1173:                             ;   in Loop: Header=BB432_10 Depth=1
	v_and_b32_e32 v30, 0xffff, v20
	v_or_b32_e32 v31, 0x10000, v20
	s_delay_alu instid0(VALU_DEP_2) | instskip(NEXT) | instid1(VALU_DEP_1)
	v_cmp_eq_u32_e64 s3, 0, v30
	v_cndmask_b32_e64 v165, v31, v20, s3
; %bb.1174:                             ;   in Loop: Header=BB432_10 Depth=1
	s_or_b32 exec_lo, exec_lo, s4
	v_lshrrev_b16 v30, 8, v176
	v_mov_b32_e32 v20, 0
	s_mov_b32 s4, exec_lo
	s_delay_alu instid0(VALU_DEP_2)
	v_cmpx_ne_u16_e32 0, v30
	s_cbranch_execz .LBB432_1182
; %bb.1175:                             ;   in Loop: Header=BB432_10 Depth=1
	v_bfrev_b32_e32 v20, 1
	s_mov_b32 s20, exec_lo
	v_cmpx_ne_u16_e32 0x80, v30
	s_cbranch_execz .LBB432_1181
; %bb.1176:                             ;   in Loop: Header=BB432_10 Depth=1
	v_and_b32_e32 v30, 0xffff, v30
	v_mov_b32_e32 v20, 0x7f800001
	s_mov_b32 s21, exec_lo
	s_delay_alu instid0(VALU_DEP_2) | instskip(NEXT) | instid1(VALU_DEP_1)
	v_and_b32_e32 v166, 0x7f, v30
	v_cmpx_ne_u32_e32 0x7f, v166
	s_cbranch_execz .LBB432_1180
; %bb.1177:                             ;   in Loop: Header=BB432_10 Depth=1
	v_and_b32_e32 v20, 7, v30
	v_mov_b32_e32 v31, v21
	v_lshrrev_b32_e32 v31, 3, v166
	s_mov_b32 s22, exec_lo
	s_delay_alu instid0(VALU_DEP_3)
	v_mov_b32_e32 v30, v20
	v_cmpx_gt_u32_e32 8, v166
; %bb.1178:                             ;   in Loop: Header=BB432_10 Depth=1
	v_clz_i32_u32_e32 v30, v20
	s_delay_alu instid0(VALU_DEP_1) | instskip(NEXT) | instid1(VALU_DEP_1)
	v_min_u32_e32 v166, 32, v30
	v_subrev_nc_u32_e32 v30, 28, v166
	s_delay_alu instid0(VALU_DEP_1) | instskip(SKIP_1) | instid1(VALU_DEP_2)
	v_lshlrev_b64 v[30:31], v30, v[20:21]
	v_sub_nc_u32_e32 v31, 29, v166
	v_and_b32_e32 v30, 7, v30
; %bb.1179:                             ;   in Loop: Header=BB432_10 Depth=1
	s_or_b32 exec_lo, exec_lo, s22
	v_lshlrev_b32_e32 v20, 16, v176
	s_delay_alu instid0(VALU_DEP_2) | instskip(SKIP_1) | instid1(VALU_DEP_3)
	v_lshlrev_b32_e32 v30, 20, v30
	v_lshl_add_u32 v31, v31, 23, 0x3c000000
	v_and_b32_e32 v20, 0x80000000, v20
	s_delay_alu instid0(VALU_DEP_1)
	v_or3_b32 v20, v30, v20, v31
.LBB432_1180:                           ;   in Loop: Header=BB432_10 Depth=1
	s_or_b32 exec_lo, exec_lo, s21
.LBB432_1181:                           ;   in Loop: Header=BB432_10 Depth=1
	s_delay_alu instid0(SALU_CYCLE_1)
	s_or_b32 exec_lo, exec_lo, s20
.LBB432_1182:                           ;   in Loop: Header=BB432_10 Depth=1
	s_delay_alu instid0(SALU_CYCLE_1) | instskip(NEXT) | instid1(VALU_DEP_1)
	s_or_b32 exec_lo, exec_lo, s4
	v_mul_f32_e32 v20, v171, v20
                                        ; implicit-def: $vgpr166
	s_delay_alu instid0(VALU_DEP_1) | instskip(NEXT) | instid1(VALU_DEP_1)
	v_and_b32_e32 v30, 0x7f800000, v20
	v_cmp_ne_u32_e64 s3, 0x7f800000, v30
	s_delay_alu instid0(VALU_DEP_1) | instskip(NEXT) | instid1(SALU_CYCLE_1)
	s_and_saveexec_b32 s4, s3
	s_xor_b32 s3, exec_lo, s4
; %bb.1183:                             ;   in Loop: Header=BB432_10 Depth=1
	v_bfe_u32 v30, v20, 16, 1
	s_delay_alu instid0(VALU_DEP_1)
	v_add3_u32 v166, v20, v30, 0x7fff
                                        ; implicit-def: $vgpr20
; %bb.1184:                             ;   in Loop: Header=BB432_10 Depth=1
	s_and_not1_saveexec_b32 s4, s3
; %bb.1185:                             ;   in Loop: Header=BB432_10 Depth=1
	v_and_b32_e32 v30, 0xffff, v20
	v_or_b32_e32 v31, 0x10000, v20
	s_delay_alu instid0(VALU_DEP_2) | instskip(NEXT) | instid1(VALU_DEP_1)
	v_cmp_eq_u32_e64 s3, 0, v30
	v_cndmask_b32_e64 v166, v31, v20, s3
; %bb.1186:                             ;   in Loop: Header=BB432_10 Depth=1
	s_or_b32 exec_lo, exec_lo, s4
	v_lshrrev_b32_e32 v167, 16, v176
	v_mov_b32_e32 v20, 0
	s_mov_b32 s4, exec_lo
	s_delay_alu instid0(VALU_DEP_2) | instskip(NEXT) | instid1(VALU_DEP_1)
	v_and_b32_e32 v30, 0xff, v167
	v_cmpx_ne_u16_e32 0, v30
	s_cbranch_execz .LBB432_1194
; %bb.1187:                             ;   in Loop: Header=BB432_10 Depth=1
	v_bfrev_b32_e32 v20, 1
	s_mov_b32 s20, exec_lo
	v_cmpx_ne_u16_e32 0x80, v30
	s_cbranch_execz .LBB432_1193
; %bb.1188:                             ;   in Loop: Header=BB432_10 Depth=1
	v_bfe_u32 v177, v176, 16, 7
	v_mov_b32_e32 v20, 0x7f800001
	s_mov_b32 s21, exec_lo
	s_delay_alu instid0(VALU_DEP_2)
	v_cmpx_ne_u32_e32 0x7f, v177
	s_cbranch_execz .LBB432_1192
; %bb.1189:                             ;   in Loop: Header=BB432_10 Depth=1
	v_and_b32_e32 v20, 7, v167
	v_mov_b32_e32 v31, v21
	v_lshrrev_b32_e32 v31, 3, v177
	s_mov_b32 s22, exec_lo
	s_delay_alu instid0(VALU_DEP_3)
	v_mov_b32_e32 v30, v20
	v_cmpx_gt_u32_e32 8, v177
; %bb.1190:                             ;   in Loop: Header=BB432_10 Depth=1
	v_clz_i32_u32_e32 v30, v20
	s_delay_alu instid0(VALU_DEP_1) | instskip(NEXT) | instid1(VALU_DEP_1)
	v_min_u32_e32 v177, 32, v30
	v_subrev_nc_u32_e32 v30, 28, v177
	s_delay_alu instid0(VALU_DEP_1) | instskip(SKIP_1) | instid1(VALU_DEP_2)
	v_lshlrev_b64 v[30:31], v30, v[20:21]
	v_sub_nc_u32_e32 v31, 29, v177
	v_and_b32_e32 v30, 7, v30
; %bb.1191:                             ;   in Loop: Header=BB432_10 Depth=1
	s_or_b32 exec_lo, exec_lo, s22
	v_lshlrev_b32_e32 v20, 24, v167
	s_delay_alu instid0(VALU_DEP_2) | instskip(SKIP_1) | instid1(VALU_DEP_3)
	v_lshlrev_b32_e32 v30, 20, v30
	v_lshl_add_u32 v31, v31, 23, 0x3c000000
	v_and_b32_e32 v20, 0x80000000, v20
	s_delay_alu instid0(VALU_DEP_1)
	v_or3_b32 v20, v30, v20, v31
.LBB432_1192:                           ;   in Loop: Header=BB432_10 Depth=1
	s_or_b32 exec_lo, exec_lo, s21
.LBB432_1193:                           ;   in Loop: Header=BB432_10 Depth=1
	s_delay_alu instid0(SALU_CYCLE_1)
	s_or_b32 exec_lo, exec_lo, s20
.LBB432_1194:                           ;   in Loop: Header=BB432_10 Depth=1
	s_delay_alu instid0(SALU_CYCLE_1) | instskip(NEXT) | instid1(VALU_DEP_1)
	s_or_b32 exec_lo, exec_lo, s4
	v_mul_f32_e32 v20, v171, v20
                                        ; implicit-def: $vgpr167
	s_delay_alu instid0(VALU_DEP_1) | instskip(NEXT) | instid1(VALU_DEP_1)
	v_and_b32_e32 v30, 0x7f800000, v20
	v_cmp_ne_u32_e64 s3, 0x7f800000, v30
	s_delay_alu instid0(VALU_DEP_1) | instskip(NEXT) | instid1(SALU_CYCLE_1)
	s_and_saveexec_b32 s4, s3
	s_xor_b32 s3, exec_lo, s4
; %bb.1195:                             ;   in Loop: Header=BB432_10 Depth=1
	v_bfe_u32 v30, v20, 16, 1
	s_delay_alu instid0(VALU_DEP_1)
	v_add3_u32 v167, v20, v30, 0x7fff
                                        ; implicit-def: $vgpr20
; %bb.1196:                             ;   in Loop: Header=BB432_10 Depth=1
	s_and_not1_saveexec_b32 s4, s3
; %bb.1197:                             ;   in Loop: Header=BB432_10 Depth=1
	v_and_b32_e32 v30, 0xffff, v20
	v_or_b32_e32 v31, 0x10000, v20
	s_delay_alu instid0(VALU_DEP_2) | instskip(NEXT) | instid1(VALU_DEP_1)
	v_cmp_eq_u32_e64 s3, 0, v30
	v_cndmask_b32_e64 v167, v31, v20, s3
; %bb.1198:                             ;   in Loop: Header=BB432_10 Depth=1
	s_or_b32 exec_lo, exec_lo, s4
	v_mov_b32_e32 v20, 0
	s_mov_b32 s4, exec_lo
	v_cmpx_lt_u32_e32 0xffffff, v176
	s_cbranch_execz .LBB432_1206
; %bb.1199:                             ;   in Loop: Header=BB432_10 Depth=1
	v_lshrrev_b32_e32 v177, 24, v176
	v_bfrev_b32_e32 v20, 1
	s_mov_b32 s20, exec_lo
	s_delay_alu instid0(VALU_DEP_2)
	v_cmpx_ne_u32_e32 0x80, v177
	s_cbranch_execz .LBB432_1205
; %bb.1200:                             ;   in Loop: Header=BB432_10 Depth=1
	v_bfe_u32 v176, v176, 24, 7
	v_mov_b32_e32 v20, 0x7f800001
	s_mov_b32 s21, exec_lo
	s_delay_alu instid0(VALU_DEP_2)
	v_cmpx_ne_u32_e32 0x7f, v176
	s_cbranch_execz .LBB432_1204
; %bb.1201:                             ;   in Loop: Header=BB432_10 Depth=1
	v_and_b32_e32 v20, 7, v177
	v_mov_b32_e32 v31, v21
	v_lshrrev_b32_e32 v31, 3, v176
	s_mov_b32 s22, exec_lo
	s_delay_alu instid0(VALU_DEP_3)
	v_mov_b32_e32 v30, v20
	v_cmpx_gt_u32_e32 8, v176
; %bb.1202:                             ;   in Loop: Header=BB432_10 Depth=1
	v_clz_i32_u32_e32 v30, v20
	s_delay_alu instid0(VALU_DEP_1) | instskip(NEXT) | instid1(VALU_DEP_1)
	v_min_u32_e32 v176, 32, v30
	v_subrev_nc_u32_e32 v30, 28, v176
	s_delay_alu instid0(VALU_DEP_1) | instskip(SKIP_1) | instid1(VALU_DEP_2)
	v_lshlrev_b64 v[30:31], v30, v[20:21]
	v_sub_nc_u32_e32 v31, 29, v176
	v_and_b32_e32 v30, 7, v30
; %bb.1203:                             ;   in Loop: Header=BB432_10 Depth=1
	s_or_b32 exec_lo, exec_lo, s22
	v_lshlrev_b32_e32 v20, 24, v177
	s_delay_alu instid0(VALU_DEP_2) | instskip(SKIP_1) | instid1(VALU_DEP_3)
	v_lshlrev_b32_e32 v30, 20, v30
	v_lshl_add_u32 v31, v31, 23, 0x3c000000
	v_and_b32_e32 v20, 0x80000000, v20
	s_delay_alu instid0(VALU_DEP_1)
	v_or3_b32 v20, v30, v20, v31
.LBB432_1204:                           ;   in Loop: Header=BB432_10 Depth=1
	s_or_b32 exec_lo, exec_lo, s21
.LBB432_1205:                           ;   in Loop: Header=BB432_10 Depth=1
	s_delay_alu instid0(SALU_CYCLE_1)
	s_or_b32 exec_lo, exec_lo, s20
.LBB432_1206:                           ;   in Loop: Header=BB432_10 Depth=1
	s_delay_alu instid0(SALU_CYCLE_1) | instskip(NEXT) | instid1(VALU_DEP_1)
	s_or_b32 exec_lo, exec_lo, s4
	v_mul_f32_e32 v20, v171, v20
                                        ; implicit-def: $vgpr176
	s_delay_alu instid0(VALU_DEP_1) | instskip(NEXT) | instid1(VALU_DEP_1)
	v_and_b32_e32 v30, 0x7f800000, v20
	v_cmp_ne_u32_e64 s3, 0x7f800000, v30
	s_delay_alu instid0(VALU_DEP_1) | instskip(NEXT) | instid1(SALU_CYCLE_1)
	s_and_saveexec_b32 s4, s3
	s_xor_b32 s3, exec_lo, s4
; %bb.1207:                             ;   in Loop: Header=BB432_10 Depth=1
	v_bfe_u32 v30, v20, 16, 1
	s_delay_alu instid0(VALU_DEP_1)
	v_add3_u32 v176, v20, v30, 0x7fff
                                        ; implicit-def: $vgpr20
; %bb.1208:                             ;   in Loop: Header=BB432_10 Depth=1
	s_and_not1_saveexec_b32 s4, s3
; %bb.1209:                             ;   in Loop: Header=BB432_10 Depth=1
	v_and_b32_e32 v30, 0xffff, v20
	v_or_b32_e32 v31, 0x10000, v20
	s_delay_alu instid0(VALU_DEP_2) | instskip(NEXT) | instid1(VALU_DEP_1)
	v_cmp_eq_u32_e64 s3, 0, v30
	v_cndmask_b32_e64 v176, v31, v20, s3
; %bb.1210:                             ;   in Loop: Header=BB432_10 Depth=1
	s_or_b32 exec_lo, exec_lo, s4
	flat_load_b32 v180, v[28:29] offset:3080
	v_mov_b32_e32 v20, 0
	s_mov_b32 s4, exec_lo
	s_waitcnt vmcnt(0) lgkmcnt(0)
	v_and_b32_e32 v30, 0xff, v180
	s_delay_alu instid0(VALU_DEP_1)
	v_cmpx_ne_u16_e32 0, v30
	s_cbranch_execz .LBB432_1218
; %bb.1211:                             ;   in Loop: Header=BB432_10 Depth=1
	v_bfrev_b32_e32 v20, 1
	s_mov_b32 s20, exec_lo
	v_cmpx_ne_u16_e32 0x80, v30
	s_cbranch_execz .LBB432_1217
; %bb.1212:                             ;   in Loop: Header=BB432_10 Depth=1
	v_and_b32_e32 v177, 0x7f, v180
	v_mov_b32_e32 v20, 0x7f800001
	s_mov_b32 s21, exec_lo
	s_delay_alu instid0(VALU_DEP_2)
	v_cmpx_ne_u32_e32 0x7f, v177
	s_cbranch_execz .LBB432_1216
; %bb.1213:                             ;   in Loop: Header=BB432_10 Depth=1
	v_and_b32_e32 v20, 7, v180
	v_mov_b32_e32 v31, v21
	v_lshrrev_b32_e32 v31, 3, v177
	s_mov_b32 s22, exec_lo
	s_delay_alu instid0(VALU_DEP_3)
	v_mov_b32_e32 v30, v20
	v_cmpx_gt_u32_e32 8, v177
; %bb.1214:                             ;   in Loop: Header=BB432_10 Depth=1
	v_clz_i32_u32_e32 v30, v20
	s_delay_alu instid0(VALU_DEP_1) | instskip(NEXT) | instid1(VALU_DEP_1)
	v_min_u32_e32 v177, 32, v30
	v_subrev_nc_u32_e32 v30, 28, v177
	s_delay_alu instid0(VALU_DEP_1) | instskip(SKIP_1) | instid1(VALU_DEP_2)
	v_lshlrev_b64 v[30:31], v30, v[20:21]
	v_sub_nc_u32_e32 v31, 29, v177
	v_and_b32_e32 v30, 7, v30
; %bb.1215:                             ;   in Loop: Header=BB432_10 Depth=1
	s_or_b32 exec_lo, exec_lo, s22
	v_lshlrev_b32_e32 v20, 24, v180
	s_delay_alu instid0(VALU_DEP_2) | instskip(SKIP_1) | instid1(VALU_DEP_3)
	v_lshlrev_b32_e32 v30, 20, v30
	v_lshl_add_u32 v31, v31, 23, 0x3c000000
	v_and_b32_e32 v20, 0x80000000, v20
	s_delay_alu instid0(VALU_DEP_1)
	v_or3_b32 v20, v30, v20, v31
.LBB432_1216:                           ;   in Loop: Header=BB432_10 Depth=1
	s_or_b32 exec_lo, exec_lo, s21
.LBB432_1217:                           ;   in Loop: Header=BB432_10 Depth=1
	s_delay_alu instid0(SALU_CYCLE_1)
	s_or_b32 exec_lo, exec_lo, s20
.LBB432_1218:                           ;   in Loop: Header=BB432_10 Depth=1
	s_delay_alu instid0(SALU_CYCLE_1) | instskip(NEXT) | instid1(VALU_DEP_1)
	s_or_b32 exec_lo, exec_lo, s4
	v_mul_f32_e32 v20, v171, v20
                                        ; implicit-def: $vgpr177
	s_delay_alu instid0(VALU_DEP_1) | instskip(NEXT) | instid1(VALU_DEP_1)
	v_and_b32_e32 v30, 0x7f800000, v20
	v_cmp_ne_u32_e64 s3, 0x7f800000, v30
	s_delay_alu instid0(VALU_DEP_1) | instskip(NEXT) | instid1(SALU_CYCLE_1)
	s_and_saveexec_b32 s4, s3
	s_xor_b32 s3, exec_lo, s4
; %bb.1219:                             ;   in Loop: Header=BB432_10 Depth=1
	v_bfe_u32 v30, v20, 16, 1
	s_delay_alu instid0(VALU_DEP_1)
	v_add3_u32 v177, v20, v30, 0x7fff
                                        ; implicit-def: $vgpr20
; %bb.1220:                             ;   in Loop: Header=BB432_10 Depth=1
	s_and_not1_saveexec_b32 s4, s3
; %bb.1221:                             ;   in Loop: Header=BB432_10 Depth=1
	v_and_b32_e32 v30, 0xffff, v20
	v_or_b32_e32 v31, 0x10000, v20
	s_delay_alu instid0(VALU_DEP_2) | instskip(NEXT) | instid1(VALU_DEP_1)
	v_cmp_eq_u32_e64 s3, 0, v30
	v_cndmask_b32_e64 v177, v31, v20, s3
; %bb.1222:                             ;   in Loop: Header=BB432_10 Depth=1
	s_or_b32 exec_lo, exec_lo, s4
	v_lshrrev_b16 v30, 8, v180
	v_mov_b32_e32 v20, 0
	s_mov_b32 s4, exec_lo
	s_delay_alu instid0(VALU_DEP_2)
	v_cmpx_ne_u16_e32 0, v30
	s_cbranch_execz .LBB432_1230
; %bb.1223:                             ;   in Loop: Header=BB432_10 Depth=1
	v_bfrev_b32_e32 v20, 1
	s_mov_b32 s20, exec_lo
	v_cmpx_ne_u16_e32 0x80, v30
	s_cbranch_execz .LBB432_1229
; %bb.1224:                             ;   in Loop: Header=BB432_10 Depth=1
	v_and_b32_e32 v30, 0xffff, v30
	v_mov_b32_e32 v20, 0x7f800001
	s_mov_b32 s21, exec_lo
	s_delay_alu instid0(VALU_DEP_2) | instskip(NEXT) | instid1(VALU_DEP_1)
	v_and_b32_e32 v178, 0x7f, v30
	v_cmpx_ne_u32_e32 0x7f, v178
	s_cbranch_execz .LBB432_1228
; %bb.1225:                             ;   in Loop: Header=BB432_10 Depth=1
	v_and_b32_e32 v20, 7, v30
	v_mov_b32_e32 v31, v21
	v_lshrrev_b32_e32 v31, 3, v178
	s_mov_b32 s22, exec_lo
	s_delay_alu instid0(VALU_DEP_3)
	v_mov_b32_e32 v30, v20
	v_cmpx_gt_u32_e32 8, v178
; %bb.1226:                             ;   in Loop: Header=BB432_10 Depth=1
	v_clz_i32_u32_e32 v30, v20
	s_delay_alu instid0(VALU_DEP_1) | instskip(NEXT) | instid1(VALU_DEP_1)
	v_min_u32_e32 v178, 32, v30
	v_subrev_nc_u32_e32 v30, 28, v178
	s_delay_alu instid0(VALU_DEP_1) | instskip(SKIP_1) | instid1(VALU_DEP_2)
	v_lshlrev_b64 v[30:31], v30, v[20:21]
	v_sub_nc_u32_e32 v31, 29, v178
	v_and_b32_e32 v30, 7, v30
; %bb.1227:                             ;   in Loop: Header=BB432_10 Depth=1
	s_or_b32 exec_lo, exec_lo, s22
	v_lshlrev_b32_e32 v20, 16, v180
	s_delay_alu instid0(VALU_DEP_2) | instskip(SKIP_1) | instid1(VALU_DEP_3)
	v_lshlrev_b32_e32 v30, 20, v30
	v_lshl_add_u32 v31, v31, 23, 0x3c000000
	v_and_b32_e32 v20, 0x80000000, v20
	s_delay_alu instid0(VALU_DEP_1)
	v_or3_b32 v20, v30, v20, v31
.LBB432_1228:                           ;   in Loop: Header=BB432_10 Depth=1
	s_or_b32 exec_lo, exec_lo, s21
.LBB432_1229:                           ;   in Loop: Header=BB432_10 Depth=1
	s_delay_alu instid0(SALU_CYCLE_1)
	s_or_b32 exec_lo, exec_lo, s20
.LBB432_1230:                           ;   in Loop: Header=BB432_10 Depth=1
	s_delay_alu instid0(SALU_CYCLE_1) | instskip(NEXT) | instid1(VALU_DEP_1)
	s_or_b32 exec_lo, exec_lo, s4
	v_mul_f32_e32 v20, v171, v20
                                        ; implicit-def: $vgpr178
	s_delay_alu instid0(VALU_DEP_1) | instskip(NEXT) | instid1(VALU_DEP_1)
	v_and_b32_e32 v30, 0x7f800000, v20
	v_cmp_ne_u32_e64 s3, 0x7f800000, v30
	s_delay_alu instid0(VALU_DEP_1) | instskip(NEXT) | instid1(SALU_CYCLE_1)
	s_and_saveexec_b32 s4, s3
	s_xor_b32 s3, exec_lo, s4
; %bb.1231:                             ;   in Loop: Header=BB432_10 Depth=1
	v_bfe_u32 v30, v20, 16, 1
	s_delay_alu instid0(VALU_DEP_1)
	v_add3_u32 v178, v20, v30, 0x7fff
                                        ; implicit-def: $vgpr20
; %bb.1232:                             ;   in Loop: Header=BB432_10 Depth=1
	s_and_not1_saveexec_b32 s4, s3
; %bb.1233:                             ;   in Loop: Header=BB432_10 Depth=1
	v_and_b32_e32 v30, 0xffff, v20
	v_or_b32_e32 v31, 0x10000, v20
	s_delay_alu instid0(VALU_DEP_2) | instskip(NEXT) | instid1(VALU_DEP_1)
	v_cmp_eq_u32_e64 s3, 0, v30
	v_cndmask_b32_e64 v178, v31, v20, s3
; %bb.1234:                             ;   in Loop: Header=BB432_10 Depth=1
	s_or_b32 exec_lo, exec_lo, s4
	v_lshrrev_b32_e32 v179, 16, v180
	v_mov_b32_e32 v20, 0
	s_mov_b32 s4, exec_lo
	s_delay_alu instid0(VALU_DEP_2) | instskip(NEXT) | instid1(VALU_DEP_1)
	v_and_b32_e32 v30, 0xff, v179
	v_cmpx_ne_u16_e32 0, v30
	s_cbranch_execz .LBB432_1242
; %bb.1235:                             ;   in Loop: Header=BB432_10 Depth=1
	v_bfrev_b32_e32 v20, 1
	s_mov_b32 s20, exec_lo
	v_cmpx_ne_u16_e32 0x80, v30
	s_cbranch_execz .LBB432_1241
; %bb.1236:                             ;   in Loop: Header=BB432_10 Depth=1
	v_bfe_u32 v181, v180, 16, 7
	v_mov_b32_e32 v20, 0x7f800001
	s_mov_b32 s21, exec_lo
	s_delay_alu instid0(VALU_DEP_2)
	v_cmpx_ne_u32_e32 0x7f, v181
	s_cbranch_execz .LBB432_1240
; %bb.1237:                             ;   in Loop: Header=BB432_10 Depth=1
	v_and_b32_e32 v20, 7, v179
	v_mov_b32_e32 v31, v21
	v_lshrrev_b32_e32 v31, 3, v181
	s_mov_b32 s22, exec_lo
	s_delay_alu instid0(VALU_DEP_3)
	v_mov_b32_e32 v30, v20
	v_cmpx_gt_u32_e32 8, v181
; %bb.1238:                             ;   in Loop: Header=BB432_10 Depth=1
	v_clz_i32_u32_e32 v30, v20
	s_delay_alu instid0(VALU_DEP_1) | instskip(NEXT) | instid1(VALU_DEP_1)
	v_min_u32_e32 v181, 32, v30
	v_subrev_nc_u32_e32 v30, 28, v181
	s_delay_alu instid0(VALU_DEP_1) | instskip(SKIP_1) | instid1(VALU_DEP_2)
	v_lshlrev_b64 v[30:31], v30, v[20:21]
	v_sub_nc_u32_e32 v31, 29, v181
	v_and_b32_e32 v30, 7, v30
; %bb.1239:                             ;   in Loop: Header=BB432_10 Depth=1
	s_or_b32 exec_lo, exec_lo, s22
	v_lshlrev_b32_e32 v20, 24, v179
	s_delay_alu instid0(VALU_DEP_2) | instskip(SKIP_1) | instid1(VALU_DEP_3)
	v_lshlrev_b32_e32 v30, 20, v30
	v_lshl_add_u32 v31, v31, 23, 0x3c000000
	v_and_b32_e32 v20, 0x80000000, v20
	s_delay_alu instid0(VALU_DEP_1)
	v_or3_b32 v20, v30, v20, v31
.LBB432_1240:                           ;   in Loop: Header=BB432_10 Depth=1
	s_or_b32 exec_lo, exec_lo, s21
.LBB432_1241:                           ;   in Loop: Header=BB432_10 Depth=1
	s_delay_alu instid0(SALU_CYCLE_1)
	s_or_b32 exec_lo, exec_lo, s20
.LBB432_1242:                           ;   in Loop: Header=BB432_10 Depth=1
	s_delay_alu instid0(SALU_CYCLE_1) | instskip(NEXT) | instid1(VALU_DEP_1)
	s_or_b32 exec_lo, exec_lo, s4
	v_mul_f32_e32 v20, v171, v20
                                        ; implicit-def: $vgpr179
	s_delay_alu instid0(VALU_DEP_1) | instskip(NEXT) | instid1(VALU_DEP_1)
	v_and_b32_e32 v30, 0x7f800000, v20
	v_cmp_ne_u32_e64 s3, 0x7f800000, v30
	s_delay_alu instid0(VALU_DEP_1) | instskip(NEXT) | instid1(SALU_CYCLE_1)
	s_and_saveexec_b32 s4, s3
	s_xor_b32 s3, exec_lo, s4
; %bb.1243:                             ;   in Loop: Header=BB432_10 Depth=1
	v_bfe_u32 v30, v20, 16, 1
	s_delay_alu instid0(VALU_DEP_1)
	v_add3_u32 v179, v20, v30, 0x7fff
                                        ; implicit-def: $vgpr20
; %bb.1244:                             ;   in Loop: Header=BB432_10 Depth=1
	s_and_not1_saveexec_b32 s4, s3
; %bb.1245:                             ;   in Loop: Header=BB432_10 Depth=1
	v_and_b32_e32 v30, 0xffff, v20
	v_or_b32_e32 v31, 0x10000, v20
	s_delay_alu instid0(VALU_DEP_2) | instskip(NEXT) | instid1(VALU_DEP_1)
	v_cmp_eq_u32_e64 s3, 0, v30
	v_cndmask_b32_e64 v179, v31, v20, s3
; %bb.1246:                             ;   in Loop: Header=BB432_10 Depth=1
	s_or_b32 exec_lo, exec_lo, s4
	v_mov_b32_e32 v20, 0
	s_mov_b32 s4, exec_lo
	v_cmpx_lt_u32_e32 0xffffff, v180
	s_cbranch_execz .LBB432_1254
; %bb.1247:                             ;   in Loop: Header=BB432_10 Depth=1
	v_lshrrev_b32_e32 v181, 24, v180
	v_bfrev_b32_e32 v20, 1
	s_mov_b32 s20, exec_lo
	s_delay_alu instid0(VALU_DEP_2)
	v_cmpx_ne_u32_e32 0x80, v181
	s_cbranch_execz .LBB432_1253
; %bb.1248:                             ;   in Loop: Header=BB432_10 Depth=1
	v_bfe_u32 v180, v180, 24, 7
	v_mov_b32_e32 v20, 0x7f800001
	s_mov_b32 s21, exec_lo
	s_delay_alu instid0(VALU_DEP_2)
	v_cmpx_ne_u32_e32 0x7f, v180
	s_cbranch_execz .LBB432_1252
; %bb.1249:                             ;   in Loop: Header=BB432_10 Depth=1
	v_and_b32_e32 v20, 7, v181
	v_mov_b32_e32 v31, v21
	v_lshrrev_b32_e32 v31, 3, v180
	s_mov_b32 s22, exec_lo
	s_delay_alu instid0(VALU_DEP_3)
	v_mov_b32_e32 v30, v20
	v_cmpx_gt_u32_e32 8, v180
; %bb.1250:                             ;   in Loop: Header=BB432_10 Depth=1
	v_clz_i32_u32_e32 v30, v20
	s_delay_alu instid0(VALU_DEP_1) | instskip(NEXT) | instid1(VALU_DEP_1)
	v_min_u32_e32 v180, 32, v30
	v_subrev_nc_u32_e32 v30, 28, v180
	s_delay_alu instid0(VALU_DEP_1) | instskip(SKIP_1) | instid1(VALU_DEP_2)
	v_lshlrev_b64 v[30:31], v30, v[20:21]
	v_sub_nc_u32_e32 v31, 29, v180
	v_and_b32_e32 v30, 7, v30
; %bb.1251:                             ;   in Loop: Header=BB432_10 Depth=1
	s_or_b32 exec_lo, exec_lo, s22
	v_lshlrev_b32_e32 v20, 24, v181
	s_delay_alu instid0(VALU_DEP_2) | instskip(SKIP_1) | instid1(VALU_DEP_3)
	v_lshlrev_b32_e32 v30, 20, v30
	v_lshl_add_u32 v31, v31, 23, 0x3c000000
	v_and_b32_e32 v20, 0x80000000, v20
	s_delay_alu instid0(VALU_DEP_1)
	v_or3_b32 v20, v30, v20, v31
.LBB432_1252:                           ;   in Loop: Header=BB432_10 Depth=1
	s_or_b32 exec_lo, exec_lo, s21
.LBB432_1253:                           ;   in Loop: Header=BB432_10 Depth=1
	s_delay_alu instid0(SALU_CYCLE_1)
	s_or_b32 exec_lo, exec_lo, s20
.LBB432_1254:                           ;   in Loop: Header=BB432_10 Depth=1
	s_delay_alu instid0(SALU_CYCLE_1) | instskip(NEXT) | instid1(VALU_DEP_1)
	s_or_b32 exec_lo, exec_lo, s4
	v_mul_f32_e32 v20, v171, v20
                                        ; implicit-def: $vgpr180
	s_delay_alu instid0(VALU_DEP_1) | instskip(NEXT) | instid1(VALU_DEP_1)
	v_and_b32_e32 v30, 0x7f800000, v20
	v_cmp_ne_u32_e64 s3, 0x7f800000, v30
	s_delay_alu instid0(VALU_DEP_1) | instskip(NEXT) | instid1(SALU_CYCLE_1)
	s_and_saveexec_b32 s4, s3
	s_xor_b32 s3, exec_lo, s4
; %bb.1255:                             ;   in Loop: Header=BB432_10 Depth=1
	v_bfe_u32 v30, v20, 16, 1
	s_delay_alu instid0(VALU_DEP_1)
	v_add3_u32 v180, v20, v30, 0x7fff
                                        ; implicit-def: $vgpr20
; %bb.1256:                             ;   in Loop: Header=BB432_10 Depth=1
	s_and_not1_saveexec_b32 s4, s3
; %bb.1257:                             ;   in Loop: Header=BB432_10 Depth=1
	v_and_b32_e32 v30, 0xffff, v20
	v_or_b32_e32 v31, 0x10000, v20
	s_delay_alu instid0(VALU_DEP_2) | instskip(NEXT) | instid1(VALU_DEP_1)
	v_cmp_eq_u32_e64 s3, 0, v30
	v_cndmask_b32_e64 v180, v31, v20, s3
; %bb.1258:                             ;   in Loop: Header=BB432_10 Depth=1
	s_or_b32 exec_lo, exec_lo, s4
	flat_load_b32 v40, v[28:29] offset:3328
	v_mov_b32_e32 v20, 0
	s_mov_b32 s4, exec_lo
	s_waitcnt vmcnt(0) lgkmcnt(0)
	v_and_b32_e32 v30, 0xff, v40
	s_delay_alu instid0(VALU_DEP_1)
	v_cmpx_ne_u16_e32 0, v30
	s_cbranch_execz .LBB432_1266
; %bb.1259:                             ;   in Loop: Header=BB432_10 Depth=1
	v_bfrev_b32_e32 v20, 1
	s_mov_b32 s20, exec_lo
	v_cmpx_ne_u16_e32 0x80, v30
	s_cbranch_execz .LBB432_1265
; %bb.1260:                             ;   in Loop: Header=BB432_10 Depth=1
	v_and_b32_e32 v181, 0x7f, v40
	v_mov_b32_e32 v20, 0x7f800001
	s_mov_b32 s21, exec_lo
	s_delay_alu instid0(VALU_DEP_2)
	v_cmpx_ne_u32_e32 0x7f, v181
	s_cbranch_execz .LBB432_1264
; %bb.1261:                             ;   in Loop: Header=BB432_10 Depth=1
	v_and_b32_e32 v20, 7, v40
	v_mov_b32_e32 v31, v21
	v_lshrrev_b32_e32 v31, 3, v181
	s_mov_b32 s22, exec_lo
	s_delay_alu instid0(VALU_DEP_3)
	v_mov_b32_e32 v30, v20
	v_cmpx_gt_u32_e32 8, v181
; %bb.1262:                             ;   in Loop: Header=BB432_10 Depth=1
	v_clz_i32_u32_e32 v30, v20
	s_delay_alu instid0(VALU_DEP_1) | instskip(NEXT) | instid1(VALU_DEP_1)
	v_min_u32_e32 v181, 32, v30
	v_subrev_nc_u32_e32 v30, 28, v181
	s_delay_alu instid0(VALU_DEP_1) | instskip(SKIP_1) | instid1(VALU_DEP_2)
	v_lshlrev_b64 v[30:31], v30, v[20:21]
	v_sub_nc_u32_e32 v31, 29, v181
	v_and_b32_e32 v30, 7, v30
; %bb.1263:                             ;   in Loop: Header=BB432_10 Depth=1
	s_or_b32 exec_lo, exec_lo, s22
	v_lshlrev_b32_e32 v20, 24, v40
	s_delay_alu instid0(VALU_DEP_2) | instskip(SKIP_1) | instid1(VALU_DEP_3)
	v_lshlrev_b32_e32 v30, 20, v30
	v_lshl_add_u32 v31, v31, 23, 0x3c000000
	v_and_b32_e32 v20, 0x80000000, v20
	s_delay_alu instid0(VALU_DEP_1)
	v_or3_b32 v20, v30, v20, v31
.LBB432_1264:                           ;   in Loop: Header=BB432_10 Depth=1
	s_or_b32 exec_lo, exec_lo, s21
.LBB432_1265:                           ;   in Loop: Header=BB432_10 Depth=1
	s_delay_alu instid0(SALU_CYCLE_1)
	s_or_b32 exec_lo, exec_lo, s20
.LBB432_1266:                           ;   in Loop: Header=BB432_10 Depth=1
	s_delay_alu instid0(SALU_CYCLE_1) | instskip(NEXT) | instid1(VALU_DEP_1)
	s_or_b32 exec_lo, exec_lo, s4
	v_mul_f32_e32 v20, v171, v20
                                        ; implicit-def: $vgpr181
	s_delay_alu instid0(VALU_DEP_1) | instskip(NEXT) | instid1(VALU_DEP_1)
	v_and_b32_e32 v30, 0x7f800000, v20
	v_cmp_ne_u32_e64 s3, 0x7f800000, v30
	s_delay_alu instid0(VALU_DEP_1) | instskip(NEXT) | instid1(SALU_CYCLE_1)
	s_and_saveexec_b32 s4, s3
	s_xor_b32 s3, exec_lo, s4
; %bb.1267:                             ;   in Loop: Header=BB432_10 Depth=1
	v_bfe_u32 v30, v20, 16, 1
	s_delay_alu instid0(VALU_DEP_1)
	v_add3_u32 v181, v20, v30, 0x7fff
                                        ; implicit-def: $vgpr20
; %bb.1268:                             ;   in Loop: Header=BB432_10 Depth=1
	s_and_not1_saveexec_b32 s4, s3
; %bb.1269:                             ;   in Loop: Header=BB432_10 Depth=1
	v_and_b32_e32 v30, 0xffff, v20
	v_or_b32_e32 v31, 0x10000, v20
	s_delay_alu instid0(VALU_DEP_2) | instskip(NEXT) | instid1(VALU_DEP_1)
	v_cmp_eq_u32_e64 s3, 0, v30
	v_cndmask_b32_e64 v181, v31, v20, s3
; %bb.1270:                             ;   in Loop: Header=BB432_10 Depth=1
	s_or_b32 exec_lo, exec_lo, s4
	v_lshrrev_b16 v30, 8, v40
	v_mov_b32_e32 v20, 0
	s_mov_b32 s4, exec_lo
	s_delay_alu instid0(VALU_DEP_2)
	v_cmpx_ne_u16_e32 0, v30
	s_cbranch_execz .LBB432_1278
; %bb.1271:                             ;   in Loop: Header=BB432_10 Depth=1
	v_bfrev_b32_e32 v20, 1
	s_mov_b32 s20, exec_lo
	v_cmpx_ne_u16_e32 0x80, v30
	s_cbranch_execz .LBB432_1277
; %bb.1272:                             ;   in Loop: Header=BB432_10 Depth=1
	v_and_b32_e32 v30, 0xffff, v30
	v_mov_b32_e32 v20, 0x7f800001
	s_mov_b32 s21, exec_lo
	s_delay_alu instid0(VALU_DEP_2) | instskip(NEXT) | instid1(VALU_DEP_1)
	v_and_b32_e32 v182, 0x7f, v30
	v_cmpx_ne_u32_e32 0x7f, v182
	s_cbranch_execz .LBB432_1276
; %bb.1273:                             ;   in Loop: Header=BB432_10 Depth=1
	v_and_b32_e32 v20, 7, v30
	v_mov_b32_e32 v31, v21
	v_lshrrev_b32_e32 v31, 3, v182
	s_mov_b32 s22, exec_lo
	s_delay_alu instid0(VALU_DEP_3)
	v_mov_b32_e32 v30, v20
	v_cmpx_gt_u32_e32 8, v182
; %bb.1274:                             ;   in Loop: Header=BB432_10 Depth=1
	v_clz_i32_u32_e32 v30, v20
	s_delay_alu instid0(VALU_DEP_1) | instskip(NEXT) | instid1(VALU_DEP_1)
	v_min_u32_e32 v182, 32, v30
	v_subrev_nc_u32_e32 v30, 28, v182
	s_delay_alu instid0(VALU_DEP_1) | instskip(SKIP_1) | instid1(VALU_DEP_2)
	v_lshlrev_b64 v[30:31], v30, v[20:21]
	v_sub_nc_u32_e32 v31, 29, v182
	v_and_b32_e32 v30, 7, v30
; %bb.1275:                             ;   in Loop: Header=BB432_10 Depth=1
	s_or_b32 exec_lo, exec_lo, s22
	v_lshlrev_b32_e32 v20, 16, v40
	s_delay_alu instid0(VALU_DEP_2) | instskip(SKIP_1) | instid1(VALU_DEP_3)
	v_lshlrev_b32_e32 v30, 20, v30
	v_lshl_add_u32 v31, v31, 23, 0x3c000000
	v_and_b32_e32 v20, 0x80000000, v20
	s_delay_alu instid0(VALU_DEP_1)
	v_or3_b32 v20, v30, v20, v31
.LBB432_1276:                           ;   in Loop: Header=BB432_10 Depth=1
	s_or_b32 exec_lo, exec_lo, s21
.LBB432_1277:                           ;   in Loop: Header=BB432_10 Depth=1
	s_delay_alu instid0(SALU_CYCLE_1)
	s_or_b32 exec_lo, exec_lo, s20
.LBB432_1278:                           ;   in Loop: Header=BB432_10 Depth=1
	s_delay_alu instid0(SALU_CYCLE_1) | instskip(NEXT) | instid1(VALU_DEP_1)
	s_or_b32 exec_lo, exec_lo, s4
	v_mul_f32_e32 v20, v171, v20
                                        ; implicit-def: $vgpr182
	s_delay_alu instid0(VALU_DEP_1) | instskip(NEXT) | instid1(VALU_DEP_1)
	v_and_b32_e32 v30, 0x7f800000, v20
	v_cmp_ne_u32_e64 s3, 0x7f800000, v30
	s_delay_alu instid0(VALU_DEP_1) | instskip(NEXT) | instid1(SALU_CYCLE_1)
	s_and_saveexec_b32 s4, s3
	s_xor_b32 s3, exec_lo, s4
; %bb.1279:                             ;   in Loop: Header=BB432_10 Depth=1
	v_bfe_u32 v30, v20, 16, 1
	s_delay_alu instid0(VALU_DEP_1)
	v_add3_u32 v182, v20, v30, 0x7fff
                                        ; implicit-def: $vgpr20
; %bb.1280:                             ;   in Loop: Header=BB432_10 Depth=1
	s_and_not1_saveexec_b32 s4, s3
; %bb.1281:                             ;   in Loop: Header=BB432_10 Depth=1
	v_and_b32_e32 v30, 0xffff, v20
	v_or_b32_e32 v31, 0x10000, v20
	s_delay_alu instid0(VALU_DEP_2) | instskip(NEXT) | instid1(VALU_DEP_1)
	v_cmp_eq_u32_e64 s3, 0, v30
	v_cndmask_b32_e64 v182, v31, v20, s3
; %bb.1282:                             ;   in Loop: Header=BB432_10 Depth=1
	s_or_b32 exec_lo, exec_lo, s4
	v_lshrrev_b32_e32 v183, 16, v40
	v_mov_b32_e32 v20, 0
	s_mov_b32 s4, exec_lo
	s_delay_alu instid0(VALU_DEP_2) | instskip(NEXT) | instid1(VALU_DEP_1)
	v_and_b32_e32 v30, 0xff, v183
	v_cmpx_ne_u16_e32 0, v30
	s_cbranch_execz .LBB432_1290
; %bb.1283:                             ;   in Loop: Header=BB432_10 Depth=1
	v_bfrev_b32_e32 v20, 1
	s_mov_b32 s20, exec_lo
	v_cmpx_ne_u16_e32 0x80, v30
	s_cbranch_execz .LBB432_1289
; %bb.1284:                             ;   in Loop: Header=BB432_10 Depth=1
	v_bfe_u32 v41, v40, 16, 7
	v_mov_b32_e32 v20, 0x7f800001
	s_mov_b32 s21, exec_lo
	s_delay_alu instid0(VALU_DEP_2)
	v_cmpx_ne_u32_e32 0x7f, v41
	s_cbranch_execz .LBB432_1288
; %bb.1285:                             ;   in Loop: Header=BB432_10 Depth=1
	v_and_b32_e32 v20, 7, v183
	v_mov_b32_e32 v31, v21
	v_lshrrev_b32_e32 v31, 3, v41
	s_mov_b32 s22, exec_lo
	s_delay_alu instid0(VALU_DEP_3)
	v_mov_b32_e32 v30, v20
	v_cmpx_gt_u32_e32 8, v41
; %bb.1286:                             ;   in Loop: Header=BB432_10 Depth=1
	v_clz_i32_u32_e32 v30, v20
	s_delay_alu instid0(VALU_DEP_1) | instskip(NEXT) | instid1(VALU_DEP_1)
	v_min_u32_e32 v41, 32, v30
	v_subrev_nc_u32_e32 v30, 28, v41
	s_delay_alu instid0(VALU_DEP_1) | instskip(SKIP_1) | instid1(VALU_DEP_2)
	v_lshlrev_b64 v[30:31], v30, v[20:21]
	v_sub_nc_u32_e32 v31, 29, v41
	v_and_b32_e32 v30, 7, v30
; %bb.1287:                             ;   in Loop: Header=BB432_10 Depth=1
	s_or_b32 exec_lo, exec_lo, s22
	v_lshlrev_b32_e32 v20, 24, v183
	s_delay_alu instid0(VALU_DEP_2) | instskip(SKIP_1) | instid1(VALU_DEP_3)
	v_lshlrev_b32_e32 v30, 20, v30
	v_lshl_add_u32 v31, v31, 23, 0x3c000000
	v_and_b32_e32 v20, 0x80000000, v20
	s_delay_alu instid0(VALU_DEP_1)
	v_or3_b32 v20, v30, v20, v31
.LBB432_1288:                           ;   in Loop: Header=BB432_10 Depth=1
	s_or_b32 exec_lo, exec_lo, s21
.LBB432_1289:                           ;   in Loop: Header=BB432_10 Depth=1
	s_delay_alu instid0(SALU_CYCLE_1)
	s_or_b32 exec_lo, exec_lo, s20
.LBB432_1290:                           ;   in Loop: Header=BB432_10 Depth=1
	s_delay_alu instid0(SALU_CYCLE_1) | instskip(NEXT) | instid1(VALU_DEP_1)
	s_or_b32 exec_lo, exec_lo, s4
	v_mul_f32_e32 v20, v171, v20
                                        ; implicit-def: $vgpr183
	s_delay_alu instid0(VALU_DEP_1) | instskip(NEXT) | instid1(VALU_DEP_1)
	v_and_b32_e32 v30, 0x7f800000, v20
	v_cmp_ne_u32_e64 s3, 0x7f800000, v30
	s_delay_alu instid0(VALU_DEP_1) | instskip(NEXT) | instid1(SALU_CYCLE_1)
	s_and_saveexec_b32 s4, s3
	s_xor_b32 s3, exec_lo, s4
; %bb.1291:                             ;   in Loop: Header=BB432_10 Depth=1
	v_bfe_u32 v30, v20, 16, 1
	s_delay_alu instid0(VALU_DEP_1)
	v_add3_u32 v183, v20, v30, 0x7fff
                                        ; implicit-def: $vgpr20
; %bb.1292:                             ;   in Loop: Header=BB432_10 Depth=1
	s_and_not1_saveexec_b32 s4, s3
; %bb.1293:                             ;   in Loop: Header=BB432_10 Depth=1
	v_and_b32_e32 v30, 0xffff, v20
	v_or_b32_e32 v31, 0x10000, v20
	s_delay_alu instid0(VALU_DEP_2) | instskip(NEXT) | instid1(VALU_DEP_1)
	v_cmp_eq_u32_e64 s3, 0, v30
	v_cndmask_b32_e64 v183, v31, v20, s3
; %bb.1294:                             ;   in Loop: Header=BB432_10 Depth=1
	s_or_b32 exec_lo, exec_lo, s4
	v_mov_b32_e32 v20, 0
	s_mov_b32 s4, exec_lo
	v_cmpx_lt_u32_e32 0xffffff, v40
	s_cbranch_execz .LBB432_1302
; %bb.1295:                             ;   in Loop: Header=BB432_10 Depth=1
	v_lshrrev_b32_e32 v41, 24, v40
	v_bfrev_b32_e32 v20, 1
	s_mov_b32 s20, exec_lo
	s_delay_alu instid0(VALU_DEP_2)
	v_cmpx_ne_u32_e32 0x80, v41
	s_cbranch_execz .LBB432_1301
; %bb.1296:                             ;   in Loop: Header=BB432_10 Depth=1
	v_bfe_u32 v40, v40, 24, 7
	v_mov_b32_e32 v20, 0x7f800001
	s_mov_b32 s21, exec_lo
	s_delay_alu instid0(VALU_DEP_2)
	v_cmpx_ne_u32_e32 0x7f, v40
	s_cbranch_execz .LBB432_1300
; %bb.1297:                             ;   in Loop: Header=BB432_10 Depth=1
	v_and_b32_e32 v20, 7, v41
	v_mov_b32_e32 v31, v21
	v_lshrrev_b32_e32 v31, 3, v40
	s_mov_b32 s22, exec_lo
	s_delay_alu instid0(VALU_DEP_3)
	v_mov_b32_e32 v30, v20
	v_cmpx_gt_u32_e32 8, v40
; %bb.1298:                             ;   in Loop: Header=BB432_10 Depth=1
	v_clz_i32_u32_e32 v30, v20
	s_delay_alu instid0(VALU_DEP_1) | instskip(NEXT) | instid1(VALU_DEP_1)
	v_min_u32_e32 v40, 32, v30
	v_subrev_nc_u32_e32 v30, 28, v40
	s_delay_alu instid0(VALU_DEP_1) | instskip(SKIP_1) | instid1(VALU_DEP_2)
	v_lshlrev_b64 v[30:31], v30, v[20:21]
	v_sub_nc_u32_e32 v31, 29, v40
	v_and_b32_e32 v30, 7, v30
; %bb.1299:                             ;   in Loop: Header=BB432_10 Depth=1
	s_or_b32 exec_lo, exec_lo, s22
	v_lshlrev_b32_e32 v20, 24, v41
	s_delay_alu instid0(VALU_DEP_2) | instskip(SKIP_1) | instid1(VALU_DEP_3)
	v_lshlrev_b32_e32 v30, 20, v30
	v_lshl_add_u32 v31, v31, 23, 0x3c000000
	v_and_b32_e32 v20, 0x80000000, v20
	s_delay_alu instid0(VALU_DEP_1)
	v_or3_b32 v20, v30, v20, v31
.LBB432_1300:                           ;   in Loop: Header=BB432_10 Depth=1
	s_or_b32 exec_lo, exec_lo, s21
.LBB432_1301:                           ;   in Loop: Header=BB432_10 Depth=1
	s_delay_alu instid0(SALU_CYCLE_1)
	s_or_b32 exec_lo, exec_lo, s20
.LBB432_1302:                           ;   in Loop: Header=BB432_10 Depth=1
	s_delay_alu instid0(SALU_CYCLE_1) | instskip(NEXT) | instid1(VALU_DEP_1)
	s_or_b32 exec_lo, exec_lo, s4
	v_mul_f32_e32 v20, v171, v20
                                        ; implicit-def: $vgpr40
	s_delay_alu instid0(VALU_DEP_1) | instskip(NEXT) | instid1(VALU_DEP_1)
	v_and_b32_e32 v30, 0x7f800000, v20
	v_cmp_ne_u32_e64 s3, 0x7f800000, v30
	s_delay_alu instid0(VALU_DEP_1) | instskip(NEXT) | instid1(SALU_CYCLE_1)
	s_and_saveexec_b32 s4, s3
	s_xor_b32 s3, exec_lo, s4
; %bb.1303:                             ;   in Loop: Header=BB432_10 Depth=1
	v_bfe_u32 v30, v20, 16, 1
	s_delay_alu instid0(VALU_DEP_1)
	v_add3_u32 v40, v20, v30, 0x7fff
                                        ; implicit-def: $vgpr20
; %bb.1304:                             ;   in Loop: Header=BB432_10 Depth=1
	s_and_not1_saveexec_b32 s4, s3
; %bb.1305:                             ;   in Loop: Header=BB432_10 Depth=1
	v_and_b32_e32 v30, 0xffff, v20
	v_or_b32_e32 v31, 0x10000, v20
	s_delay_alu instid0(VALU_DEP_2) | instskip(NEXT) | instid1(VALU_DEP_1)
	v_cmp_eq_u32_e64 s3, 0, v30
	v_cndmask_b32_e64 v40, v31, v20, s3
; %bb.1306:                             ;   in Loop: Header=BB432_10 Depth=1
	s_or_b32 exec_lo, exec_lo, s4
	flat_load_b32 v44, v[28:29] offset:3336
	v_mov_b32_e32 v20, 0
	s_mov_b32 s4, exec_lo
	s_waitcnt vmcnt(0) lgkmcnt(0)
	v_and_b32_e32 v30, 0xff, v44
	s_delay_alu instid0(VALU_DEP_1)
	v_cmpx_ne_u16_e32 0, v30
	s_cbranch_execz .LBB432_1314
; %bb.1307:                             ;   in Loop: Header=BB432_10 Depth=1
	v_bfrev_b32_e32 v20, 1
	s_mov_b32 s20, exec_lo
	v_cmpx_ne_u16_e32 0x80, v30
	s_cbranch_execz .LBB432_1313
; %bb.1308:                             ;   in Loop: Header=BB432_10 Depth=1
	v_and_b32_e32 v41, 0x7f, v44
	v_mov_b32_e32 v20, 0x7f800001
	s_mov_b32 s21, exec_lo
	s_delay_alu instid0(VALU_DEP_2)
	v_cmpx_ne_u32_e32 0x7f, v41
	s_cbranch_execz .LBB432_1312
; %bb.1309:                             ;   in Loop: Header=BB432_10 Depth=1
	v_and_b32_e32 v20, 7, v44
	v_mov_b32_e32 v31, v21
	v_lshrrev_b32_e32 v31, 3, v41
	s_mov_b32 s22, exec_lo
	s_delay_alu instid0(VALU_DEP_3)
	v_mov_b32_e32 v30, v20
	v_cmpx_gt_u32_e32 8, v41
; %bb.1310:                             ;   in Loop: Header=BB432_10 Depth=1
	v_clz_i32_u32_e32 v30, v20
	s_delay_alu instid0(VALU_DEP_1) | instskip(NEXT) | instid1(VALU_DEP_1)
	v_min_u32_e32 v41, 32, v30
	v_subrev_nc_u32_e32 v30, 28, v41
	s_delay_alu instid0(VALU_DEP_1) | instskip(SKIP_1) | instid1(VALU_DEP_2)
	v_lshlrev_b64 v[30:31], v30, v[20:21]
	v_sub_nc_u32_e32 v31, 29, v41
	v_and_b32_e32 v30, 7, v30
; %bb.1311:                             ;   in Loop: Header=BB432_10 Depth=1
	s_or_b32 exec_lo, exec_lo, s22
	v_lshlrev_b32_e32 v20, 24, v44
	s_delay_alu instid0(VALU_DEP_2) | instskip(SKIP_1) | instid1(VALU_DEP_3)
	v_lshlrev_b32_e32 v30, 20, v30
	v_lshl_add_u32 v31, v31, 23, 0x3c000000
	v_and_b32_e32 v20, 0x80000000, v20
	s_delay_alu instid0(VALU_DEP_1)
	v_or3_b32 v20, v30, v20, v31
.LBB432_1312:                           ;   in Loop: Header=BB432_10 Depth=1
	s_or_b32 exec_lo, exec_lo, s21
.LBB432_1313:                           ;   in Loop: Header=BB432_10 Depth=1
	s_delay_alu instid0(SALU_CYCLE_1)
	s_or_b32 exec_lo, exec_lo, s20
.LBB432_1314:                           ;   in Loop: Header=BB432_10 Depth=1
	s_delay_alu instid0(SALU_CYCLE_1) | instskip(NEXT) | instid1(VALU_DEP_1)
	s_or_b32 exec_lo, exec_lo, s4
	v_mul_f32_e32 v20, v171, v20
                                        ; implicit-def: $vgpr41
	s_delay_alu instid0(VALU_DEP_1) | instskip(NEXT) | instid1(VALU_DEP_1)
	v_and_b32_e32 v30, 0x7f800000, v20
	v_cmp_ne_u32_e64 s3, 0x7f800000, v30
	s_delay_alu instid0(VALU_DEP_1) | instskip(NEXT) | instid1(SALU_CYCLE_1)
	s_and_saveexec_b32 s4, s3
	s_xor_b32 s3, exec_lo, s4
; %bb.1315:                             ;   in Loop: Header=BB432_10 Depth=1
	v_bfe_u32 v30, v20, 16, 1
	s_delay_alu instid0(VALU_DEP_1)
	v_add3_u32 v41, v20, v30, 0x7fff
                                        ; implicit-def: $vgpr20
; %bb.1316:                             ;   in Loop: Header=BB432_10 Depth=1
	s_and_not1_saveexec_b32 s4, s3
; %bb.1317:                             ;   in Loop: Header=BB432_10 Depth=1
	v_and_b32_e32 v30, 0xffff, v20
	v_or_b32_e32 v31, 0x10000, v20
	s_delay_alu instid0(VALU_DEP_2) | instskip(NEXT) | instid1(VALU_DEP_1)
	v_cmp_eq_u32_e64 s3, 0, v30
	v_cndmask_b32_e64 v41, v31, v20, s3
; %bb.1318:                             ;   in Loop: Header=BB432_10 Depth=1
	s_or_b32 exec_lo, exec_lo, s4
	v_lshrrev_b16 v30, 8, v44
	v_mov_b32_e32 v20, 0
	s_mov_b32 s4, exec_lo
	s_delay_alu instid0(VALU_DEP_2)
	v_cmpx_ne_u16_e32 0, v30
	s_cbranch_execz .LBB432_1326
; %bb.1319:                             ;   in Loop: Header=BB432_10 Depth=1
	v_bfrev_b32_e32 v20, 1
	s_mov_b32 s20, exec_lo
	v_cmpx_ne_u16_e32 0x80, v30
	s_cbranch_execz .LBB432_1325
; %bb.1320:                             ;   in Loop: Header=BB432_10 Depth=1
	v_and_b32_e32 v30, 0xffff, v30
	v_mov_b32_e32 v20, 0x7f800001
	s_mov_b32 s21, exec_lo
	s_delay_alu instid0(VALU_DEP_2) | instskip(NEXT) | instid1(VALU_DEP_1)
	v_and_b32_e32 v42, 0x7f, v30
	v_cmpx_ne_u32_e32 0x7f, v42
	s_cbranch_execz .LBB432_1324
; %bb.1321:                             ;   in Loop: Header=BB432_10 Depth=1
	v_and_b32_e32 v20, 7, v30
	v_mov_b32_e32 v31, v21
	v_lshrrev_b32_e32 v31, 3, v42
	s_mov_b32 s22, exec_lo
	s_delay_alu instid0(VALU_DEP_3)
	v_mov_b32_e32 v30, v20
	v_cmpx_gt_u32_e32 8, v42
; %bb.1322:                             ;   in Loop: Header=BB432_10 Depth=1
	v_clz_i32_u32_e32 v30, v20
	s_delay_alu instid0(VALU_DEP_1) | instskip(NEXT) | instid1(VALU_DEP_1)
	v_min_u32_e32 v42, 32, v30
	v_subrev_nc_u32_e32 v30, 28, v42
	s_delay_alu instid0(VALU_DEP_1) | instskip(SKIP_1) | instid1(VALU_DEP_2)
	v_lshlrev_b64 v[30:31], v30, v[20:21]
	v_sub_nc_u32_e32 v31, 29, v42
	v_and_b32_e32 v30, 7, v30
; %bb.1323:                             ;   in Loop: Header=BB432_10 Depth=1
	s_or_b32 exec_lo, exec_lo, s22
	v_lshlrev_b32_e32 v20, 16, v44
	s_delay_alu instid0(VALU_DEP_2) | instskip(SKIP_1) | instid1(VALU_DEP_3)
	v_lshlrev_b32_e32 v30, 20, v30
	v_lshl_add_u32 v31, v31, 23, 0x3c000000
	v_and_b32_e32 v20, 0x80000000, v20
	s_delay_alu instid0(VALU_DEP_1)
	v_or3_b32 v20, v30, v20, v31
.LBB432_1324:                           ;   in Loop: Header=BB432_10 Depth=1
	s_or_b32 exec_lo, exec_lo, s21
.LBB432_1325:                           ;   in Loop: Header=BB432_10 Depth=1
	s_delay_alu instid0(SALU_CYCLE_1)
	s_or_b32 exec_lo, exec_lo, s20
.LBB432_1326:                           ;   in Loop: Header=BB432_10 Depth=1
	s_delay_alu instid0(SALU_CYCLE_1) | instskip(NEXT) | instid1(VALU_DEP_1)
	s_or_b32 exec_lo, exec_lo, s4
	v_mul_f32_e32 v20, v171, v20
                                        ; implicit-def: $vgpr42
	s_delay_alu instid0(VALU_DEP_1) | instskip(NEXT) | instid1(VALU_DEP_1)
	v_and_b32_e32 v30, 0x7f800000, v20
	v_cmp_ne_u32_e64 s3, 0x7f800000, v30
	s_delay_alu instid0(VALU_DEP_1) | instskip(NEXT) | instid1(SALU_CYCLE_1)
	s_and_saveexec_b32 s4, s3
	s_xor_b32 s3, exec_lo, s4
; %bb.1327:                             ;   in Loop: Header=BB432_10 Depth=1
	v_bfe_u32 v30, v20, 16, 1
	s_delay_alu instid0(VALU_DEP_1)
	v_add3_u32 v42, v20, v30, 0x7fff
                                        ; implicit-def: $vgpr20
; %bb.1328:                             ;   in Loop: Header=BB432_10 Depth=1
	s_and_not1_saveexec_b32 s4, s3
; %bb.1329:                             ;   in Loop: Header=BB432_10 Depth=1
	v_and_b32_e32 v30, 0xffff, v20
	v_or_b32_e32 v31, 0x10000, v20
	s_delay_alu instid0(VALU_DEP_2) | instskip(NEXT) | instid1(VALU_DEP_1)
	v_cmp_eq_u32_e64 s3, 0, v30
	v_cndmask_b32_e64 v42, v31, v20, s3
; %bb.1330:                             ;   in Loop: Header=BB432_10 Depth=1
	s_or_b32 exec_lo, exec_lo, s4
	v_lshrrev_b32_e32 v43, 16, v44
	v_mov_b32_e32 v20, 0
	s_mov_b32 s4, exec_lo
	s_delay_alu instid0(VALU_DEP_2) | instskip(NEXT) | instid1(VALU_DEP_1)
	v_and_b32_e32 v30, 0xff, v43
	v_cmpx_ne_u16_e32 0, v30
	s_cbranch_execz .LBB432_1338
; %bb.1331:                             ;   in Loop: Header=BB432_10 Depth=1
	v_bfrev_b32_e32 v20, 1
	s_mov_b32 s20, exec_lo
	v_cmpx_ne_u16_e32 0x80, v30
	s_cbranch_execz .LBB432_1337
; %bb.1332:                             ;   in Loop: Header=BB432_10 Depth=1
	v_bfe_u32 v45, v44, 16, 7
	v_mov_b32_e32 v20, 0x7f800001
	s_mov_b32 s21, exec_lo
	s_delay_alu instid0(VALU_DEP_2)
	v_cmpx_ne_u32_e32 0x7f, v45
	s_cbranch_execz .LBB432_1336
; %bb.1333:                             ;   in Loop: Header=BB432_10 Depth=1
	v_and_b32_e32 v20, 7, v43
	v_mov_b32_e32 v31, v21
	v_lshrrev_b32_e32 v31, 3, v45
	s_mov_b32 s22, exec_lo
	s_delay_alu instid0(VALU_DEP_3)
	v_mov_b32_e32 v30, v20
	v_cmpx_gt_u32_e32 8, v45
; %bb.1334:                             ;   in Loop: Header=BB432_10 Depth=1
	v_clz_i32_u32_e32 v30, v20
	s_delay_alu instid0(VALU_DEP_1) | instskip(NEXT) | instid1(VALU_DEP_1)
	v_min_u32_e32 v45, 32, v30
	v_subrev_nc_u32_e32 v30, 28, v45
	s_delay_alu instid0(VALU_DEP_1) | instskip(SKIP_1) | instid1(VALU_DEP_2)
	v_lshlrev_b64 v[30:31], v30, v[20:21]
	v_sub_nc_u32_e32 v31, 29, v45
	v_and_b32_e32 v30, 7, v30
; %bb.1335:                             ;   in Loop: Header=BB432_10 Depth=1
	s_or_b32 exec_lo, exec_lo, s22
	v_lshlrev_b32_e32 v20, 24, v43
	s_delay_alu instid0(VALU_DEP_2) | instskip(SKIP_1) | instid1(VALU_DEP_3)
	v_lshlrev_b32_e32 v30, 20, v30
	v_lshl_add_u32 v31, v31, 23, 0x3c000000
	v_and_b32_e32 v20, 0x80000000, v20
	s_delay_alu instid0(VALU_DEP_1)
	v_or3_b32 v20, v30, v20, v31
.LBB432_1336:                           ;   in Loop: Header=BB432_10 Depth=1
	s_or_b32 exec_lo, exec_lo, s21
.LBB432_1337:                           ;   in Loop: Header=BB432_10 Depth=1
	s_delay_alu instid0(SALU_CYCLE_1)
	s_or_b32 exec_lo, exec_lo, s20
.LBB432_1338:                           ;   in Loop: Header=BB432_10 Depth=1
	s_delay_alu instid0(SALU_CYCLE_1) | instskip(NEXT) | instid1(VALU_DEP_1)
	s_or_b32 exec_lo, exec_lo, s4
	v_mul_f32_e32 v20, v171, v20
                                        ; implicit-def: $vgpr43
	s_delay_alu instid0(VALU_DEP_1) | instskip(NEXT) | instid1(VALU_DEP_1)
	v_and_b32_e32 v30, 0x7f800000, v20
	v_cmp_ne_u32_e64 s3, 0x7f800000, v30
	s_delay_alu instid0(VALU_DEP_1) | instskip(NEXT) | instid1(SALU_CYCLE_1)
	s_and_saveexec_b32 s4, s3
	s_xor_b32 s3, exec_lo, s4
; %bb.1339:                             ;   in Loop: Header=BB432_10 Depth=1
	v_bfe_u32 v30, v20, 16, 1
	s_delay_alu instid0(VALU_DEP_1)
	v_add3_u32 v43, v20, v30, 0x7fff
                                        ; implicit-def: $vgpr20
; %bb.1340:                             ;   in Loop: Header=BB432_10 Depth=1
	s_and_not1_saveexec_b32 s4, s3
; %bb.1341:                             ;   in Loop: Header=BB432_10 Depth=1
	v_and_b32_e32 v30, 0xffff, v20
	v_or_b32_e32 v31, 0x10000, v20
	s_delay_alu instid0(VALU_DEP_2) | instskip(NEXT) | instid1(VALU_DEP_1)
	v_cmp_eq_u32_e64 s3, 0, v30
	v_cndmask_b32_e64 v43, v31, v20, s3
; %bb.1342:                             ;   in Loop: Header=BB432_10 Depth=1
	s_or_b32 exec_lo, exec_lo, s4
	v_mov_b32_e32 v20, 0
	s_mov_b32 s4, exec_lo
	v_cmpx_lt_u32_e32 0xffffff, v44
	s_cbranch_execz .LBB432_1350
; %bb.1343:                             ;   in Loop: Header=BB432_10 Depth=1
	v_lshrrev_b32_e32 v45, 24, v44
	v_bfrev_b32_e32 v20, 1
	s_mov_b32 s20, exec_lo
	s_delay_alu instid0(VALU_DEP_2)
	v_cmpx_ne_u32_e32 0x80, v45
	s_cbranch_execz .LBB432_1349
; %bb.1344:                             ;   in Loop: Header=BB432_10 Depth=1
	v_bfe_u32 v44, v44, 24, 7
	v_mov_b32_e32 v20, 0x7f800001
	s_mov_b32 s21, exec_lo
	s_delay_alu instid0(VALU_DEP_2)
	v_cmpx_ne_u32_e32 0x7f, v44
	s_cbranch_execz .LBB432_1348
; %bb.1345:                             ;   in Loop: Header=BB432_10 Depth=1
	v_and_b32_e32 v20, 7, v45
	v_mov_b32_e32 v31, v21
	v_lshrrev_b32_e32 v31, 3, v44
	s_mov_b32 s22, exec_lo
	s_delay_alu instid0(VALU_DEP_3)
	v_mov_b32_e32 v30, v20
	v_cmpx_gt_u32_e32 8, v44
; %bb.1346:                             ;   in Loop: Header=BB432_10 Depth=1
	v_clz_i32_u32_e32 v30, v20
	s_delay_alu instid0(VALU_DEP_1) | instskip(NEXT) | instid1(VALU_DEP_1)
	v_min_u32_e32 v44, 32, v30
	v_subrev_nc_u32_e32 v30, 28, v44
	s_delay_alu instid0(VALU_DEP_1) | instskip(SKIP_1) | instid1(VALU_DEP_2)
	v_lshlrev_b64 v[30:31], v30, v[20:21]
	v_sub_nc_u32_e32 v31, 29, v44
	v_and_b32_e32 v30, 7, v30
; %bb.1347:                             ;   in Loop: Header=BB432_10 Depth=1
	s_or_b32 exec_lo, exec_lo, s22
	v_lshlrev_b32_e32 v20, 24, v45
	s_delay_alu instid0(VALU_DEP_2) | instskip(SKIP_1) | instid1(VALU_DEP_3)
	v_lshlrev_b32_e32 v30, 20, v30
	v_lshl_add_u32 v31, v31, 23, 0x3c000000
	v_and_b32_e32 v20, 0x80000000, v20
	s_delay_alu instid0(VALU_DEP_1)
	v_or3_b32 v20, v30, v20, v31
.LBB432_1348:                           ;   in Loop: Header=BB432_10 Depth=1
	s_or_b32 exec_lo, exec_lo, s21
.LBB432_1349:                           ;   in Loop: Header=BB432_10 Depth=1
	s_delay_alu instid0(SALU_CYCLE_1)
	s_or_b32 exec_lo, exec_lo, s20
.LBB432_1350:                           ;   in Loop: Header=BB432_10 Depth=1
	s_delay_alu instid0(SALU_CYCLE_1) | instskip(NEXT) | instid1(VALU_DEP_1)
	s_or_b32 exec_lo, exec_lo, s4
	v_mul_f32_e32 v20, v171, v20
                                        ; implicit-def: $vgpr44
	s_delay_alu instid0(VALU_DEP_1) | instskip(NEXT) | instid1(VALU_DEP_1)
	v_and_b32_e32 v30, 0x7f800000, v20
	v_cmp_ne_u32_e64 s3, 0x7f800000, v30
	s_delay_alu instid0(VALU_DEP_1) | instskip(NEXT) | instid1(SALU_CYCLE_1)
	s_and_saveexec_b32 s4, s3
	s_xor_b32 s3, exec_lo, s4
; %bb.1351:                             ;   in Loop: Header=BB432_10 Depth=1
	v_bfe_u32 v30, v20, 16, 1
	s_delay_alu instid0(VALU_DEP_1)
	v_add3_u32 v44, v20, v30, 0x7fff
                                        ; implicit-def: $vgpr20
; %bb.1352:                             ;   in Loop: Header=BB432_10 Depth=1
	s_and_not1_saveexec_b32 s4, s3
; %bb.1353:                             ;   in Loop: Header=BB432_10 Depth=1
	v_and_b32_e32 v30, 0xffff, v20
	v_or_b32_e32 v31, 0x10000, v20
	s_delay_alu instid0(VALU_DEP_2) | instskip(NEXT) | instid1(VALU_DEP_1)
	v_cmp_eq_u32_e64 s3, 0, v30
	v_cndmask_b32_e64 v44, v31, v20, s3
; %bb.1354:                             ;   in Loop: Header=BB432_10 Depth=1
	s_or_b32 exec_lo, exec_lo, s4
	flat_load_b32 v56, v[28:29] offset:3584
	v_mov_b32_e32 v20, 0
	s_mov_b32 s4, exec_lo
	s_waitcnt vmcnt(0) lgkmcnt(0)
	v_and_b32_e32 v30, 0xff, v56
	s_delay_alu instid0(VALU_DEP_1)
	v_cmpx_ne_u16_e32 0, v30
	s_cbranch_execz .LBB432_1362
; %bb.1355:                             ;   in Loop: Header=BB432_10 Depth=1
	v_bfrev_b32_e32 v20, 1
	s_mov_b32 s20, exec_lo
	v_cmpx_ne_u16_e32 0x80, v30
	s_cbranch_execz .LBB432_1361
; %bb.1356:                             ;   in Loop: Header=BB432_10 Depth=1
	v_and_b32_e32 v45, 0x7f, v56
	v_mov_b32_e32 v20, 0x7f800001
	s_mov_b32 s21, exec_lo
	s_delay_alu instid0(VALU_DEP_2)
	v_cmpx_ne_u32_e32 0x7f, v45
	s_cbranch_execz .LBB432_1360
; %bb.1357:                             ;   in Loop: Header=BB432_10 Depth=1
	v_and_b32_e32 v20, 7, v56
	v_mov_b32_e32 v31, v21
	v_lshrrev_b32_e32 v31, 3, v45
	s_mov_b32 s22, exec_lo
	s_delay_alu instid0(VALU_DEP_3)
	v_mov_b32_e32 v30, v20
	v_cmpx_gt_u32_e32 8, v45
; %bb.1358:                             ;   in Loop: Header=BB432_10 Depth=1
	v_clz_i32_u32_e32 v30, v20
	s_delay_alu instid0(VALU_DEP_1) | instskip(NEXT) | instid1(VALU_DEP_1)
	v_min_u32_e32 v45, 32, v30
	v_subrev_nc_u32_e32 v30, 28, v45
	s_delay_alu instid0(VALU_DEP_1) | instskip(SKIP_1) | instid1(VALU_DEP_2)
	v_lshlrev_b64 v[30:31], v30, v[20:21]
	v_sub_nc_u32_e32 v31, 29, v45
	v_and_b32_e32 v30, 7, v30
; %bb.1359:                             ;   in Loop: Header=BB432_10 Depth=1
	s_or_b32 exec_lo, exec_lo, s22
	v_lshlrev_b32_e32 v20, 24, v56
	s_delay_alu instid0(VALU_DEP_2) | instskip(SKIP_1) | instid1(VALU_DEP_3)
	v_lshlrev_b32_e32 v30, 20, v30
	v_lshl_add_u32 v31, v31, 23, 0x3c000000
	v_and_b32_e32 v20, 0x80000000, v20
	s_delay_alu instid0(VALU_DEP_1)
	v_or3_b32 v20, v30, v20, v31
.LBB432_1360:                           ;   in Loop: Header=BB432_10 Depth=1
	s_or_b32 exec_lo, exec_lo, s21
.LBB432_1361:                           ;   in Loop: Header=BB432_10 Depth=1
	s_delay_alu instid0(SALU_CYCLE_1)
	s_or_b32 exec_lo, exec_lo, s20
.LBB432_1362:                           ;   in Loop: Header=BB432_10 Depth=1
	s_delay_alu instid0(SALU_CYCLE_1) | instskip(NEXT) | instid1(VALU_DEP_1)
	s_or_b32 exec_lo, exec_lo, s4
	v_mul_f32_e32 v20, v171, v20
                                        ; implicit-def: $vgpr45
	s_delay_alu instid0(VALU_DEP_1) | instskip(NEXT) | instid1(VALU_DEP_1)
	v_and_b32_e32 v30, 0x7f800000, v20
	v_cmp_ne_u32_e64 s3, 0x7f800000, v30
	s_delay_alu instid0(VALU_DEP_1) | instskip(NEXT) | instid1(SALU_CYCLE_1)
	s_and_saveexec_b32 s4, s3
	s_xor_b32 s3, exec_lo, s4
; %bb.1363:                             ;   in Loop: Header=BB432_10 Depth=1
	v_bfe_u32 v30, v20, 16, 1
	s_delay_alu instid0(VALU_DEP_1)
	v_add3_u32 v45, v20, v30, 0x7fff
                                        ; implicit-def: $vgpr20
; %bb.1364:                             ;   in Loop: Header=BB432_10 Depth=1
	s_and_not1_saveexec_b32 s4, s3
; %bb.1365:                             ;   in Loop: Header=BB432_10 Depth=1
	v_and_b32_e32 v30, 0xffff, v20
	v_or_b32_e32 v31, 0x10000, v20
	s_delay_alu instid0(VALU_DEP_2) | instskip(NEXT) | instid1(VALU_DEP_1)
	v_cmp_eq_u32_e64 s3, 0, v30
	v_cndmask_b32_e64 v45, v31, v20, s3
; %bb.1366:                             ;   in Loop: Header=BB432_10 Depth=1
	s_or_b32 exec_lo, exec_lo, s4
	v_lshrrev_b16 v30, 8, v56
	v_mov_b32_e32 v20, 0
	s_mov_b32 s4, exec_lo
	s_delay_alu instid0(VALU_DEP_2)
	v_cmpx_ne_u16_e32 0, v30
	s_cbranch_execz .LBB432_1374
; %bb.1367:                             ;   in Loop: Header=BB432_10 Depth=1
	v_bfrev_b32_e32 v20, 1
	s_mov_b32 s20, exec_lo
	v_cmpx_ne_u16_e32 0x80, v30
	s_cbranch_execz .LBB432_1373
; %bb.1368:                             ;   in Loop: Header=BB432_10 Depth=1
	v_and_b32_e32 v30, 0xffff, v30
	v_mov_b32_e32 v20, 0x7f800001
	s_mov_b32 s21, exec_lo
	s_delay_alu instid0(VALU_DEP_2) | instskip(NEXT) | instid1(VALU_DEP_1)
	v_and_b32_e32 v46, 0x7f, v30
	v_cmpx_ne_u32_e32 0x7f, v46
	s_cbranch_execz .LBB432_1372
; %bb.1369:                             ;   in Loop: Header=BB432_10 Depth=1
	v_and_b32_e32 v20, 7, v30
	v_mov_b32_e32 v31, v21
	v_lshrrev_b32_e32 v31, 3, v46
	s_mov_b32 s22, exec_lo
	s_delay_alu instid0(VALU_DEP_3)
	v_mov_b32_e32 v30, v20
	v_cmpx_gt_u32_e32 8, v46
; %bb.1370:                             ;   in Loop: Header=BB432_10 Depth=1
	v_clz_i32_u32_e32 v30, v20
	s_delay_alu instid0(VALU_DEP_1) | instskip(NEXT) | instid1(VALU_DEP_1)
	v_min_u32_e32 v46, 32, v30
	v_subrev_nc_u32_e32 v30, 28, v46
	s_delay_alu instid0(VALU_DEP_1) | instskip(SKIP_1) | instid1(VALU_DEP_2)
	v_lshlrev_b64 v[30:31], v30, v[20:21]
	v_sub_nc_u32_e32 v31, 29, v46
	v_and_b32_e32 v30, 7, v30
; %bb.1371:                             ;   in Loop: Header=BB432_10 Depth=1
	s_or_b32 exec_lo, exec_lo, s22
	v_lshlrev_b32_e32 v20, 16, v56
	s_delay_alu instid0(VALU_DEP_2) | instskip(SKIP_1) | instid1(VALU_DEP_3)
	v_lshlrev_b32_e32 v30, 20, v30
	v_lshl_add_u32 v31, v31, 23, 0x3c000000
	v_and_b32_e32 v20, 0x80000000, v20
	s_delay_alu instid0(VALU_DEP_1)
	v_or3_b32 v20, v30, v20, v31
.LBB432_1372:                           ;   in Loop: Header=BB432_10 Depth=1
	s_or_b32 exec_lo, exec_lo, s21
.LBB432_1373:                           ;   in Loop: Header=BB432_10 Depth=1
	s_delay_alu instid0(SALU_CYCLE_1)
	s_or_b32 exec_lo, exec_lo, s20
.LBB432_1374:                           ;   in Loop: Header=BB432_10 Depth=1
	s_delay_alu instid0(SALU_CYCLE_1) | instskip(NEXT) | instid1(VALU_DEP_1)
	s_or_b32 exec_lo, exec_lo, s4
	v_mul_f32_e32 v20, v171, v20
                                        ; implicit-def: $vgpr46
	s_delay_alu instid0(VALU_DEP_1) | instskip(NEXT) | instid1(VALU_DEP_1)
	v_and_b32_e32 v30, 0x7f800000, v20
	v_cmp_ne_u32_e64 s3, 0x7f800000, v30
	s_delay_alu instid0(VALU_DEP_1) | instskip(NEXT) | instid1(SALU_CYCLE_1)
	s_and_saveexec_b32 s4, s3
	s_xor_b32 s3, exec_lo, s4
; %bb.1375:                             ;   in Loop: Header=BB432_10 Depth=1
	v_bfe_u32 v30, v20, 16, 1
	s_delay_alu instid0(VALU_DEP_1)
	v_add3_u32 v46, v20, v30, 0x7fff
                                        ; implicit-def: $vgpr20
; %bb.1376:                             ;   in Loop: Header=BB432_10 Depth=1
	s_and_not1_saveexec_b32 s4, s3
; %bb.1377:                             ;   in Loop: Header=BB432_10 Depth=1
	v_and_b32_e32 v30, 0xffff, v20
	v_or_b32_e32 v31, 0x10000, v20
	s_delay_alu instid0(VALU_DEP_2) | instskip(NEXT) | instid1(VALU_DEP_1)
	v_cmp_eq_u32_e64 s3, 0, v30
	v_cndmask_b32_e64 v46, v31, v20, s3
; %bb.1378:                             ;   in Loop: Header=BB432_10 Depth=1
	s_or_b32 exec_lo, exec_lo, s4
	v_lshrrev_b32_e32 v47, 16, v56
	v_mov_b32_e32 v20, 0
	s_mov_b32 s4, exec_lo
	s_delay_alu instid0(VALU_DEP_2) | instskip(NEXT) | instid1(VALU_DEP_1)
	v_and_b32_e32 v30, 0xff, v47
	v_cmpx_ne_u16_e32 0, v30
	s_cbranch_execz .LBB432_1386
; %bb.1379:                             ;   in Loop: Header=BB432_10 Depth=1
	v_bfrev_b32_e32 v20, 1
	s_mov_b32 s20, exec_lo
	v_cmpx_ne_u16_e32 0x80, v30
	s_cbranch_execz .LBB432_1385
; %bb.1380:                             ;   in Loop: Header=BB432_10 Depth=1
	v_bfe_u32 v58, v56, 16, 7
	v_mov_b32_e32 v20, 0x7f800001
	s_mov_b32 s21, exec_lo
	s_delay_alu instid0(VALU_DEP_2)
	v_cmpx_ne_u32_e32 0x7f, v58
	s_cbranch_execz .LBB432_1384
; %bb.1381:                             ;   in Loop: Header=BB432_10 Depth=1
	v_and_b32_e32 v20, 7, v47
	v_mov_b32_e32 v31, v21
	v_lshrrev_b32_e32 v31, 3, v58
	s_mov_b32 s22, exec_lo
	s_delay_alu instid0(VALU_DEP_3)
	v_mov_b32_e32 v30, v20
	v_cmpx_gt_u32_e32 8, v58
; %bb.1382:                             ;   in Loop: Header=BB432_10 Depth=1
	v_clz_i32_u32_e32 v30, v20
	s_delay_alu instid0(VALU_DEP_1) | instskip(NEXT) | instid1(VALU_DEP_1)
	v_min_u32_e32 v58, 32, v30
	v_subrev_nc_u32_e32 v30, 28, v58
	s_delay_alu instid0(VALU_DEP_1) | instskip(SKIP_1) | instid1(VALU_DEP_2)
	v_lshlrev_b64 v[30:31], v30, v[20:21]
	v_sub_nc_u32_e32 v31, 29, v58
	v_and_b32_e32 v30, 7, v30
; %bb.1383:                             ;   in Loop: Header=BB432_10 Depth=1
	s_or_b32 exec_lo, exec_lo, s22
	v_lshlrev_b32_e32 v20, 24, v47
	s_delay_alu instid0(VALU_DEP_2) | instskip(SKIP_1) | instid1(VALU_DEP_3)
	v_lshlrev_b32_e32 v30, 20, v30
	v_lshl_add_u32 v31, v31, 23, 0x3c000000
	v_and_b32_e32 v20, 0x80000000, v20
	s_delay_alu instid0(VALU_DEP_1)
	v_or3_b32 v20, v30, v20, v31
.LBB432_1384:                           ;   in Loop: Header=BB432_10 Depth=1
	s_or_b32 exec_lo, exec_lo, s21
.LBB432_1385:                           ;   in Loop: Header=BB432_10 Depth=1
	s_delay_alu instid0(SALU_CYCLE_1)
	s_or_b32 exec_lo, exec_lo, s20
.LBB432_1386:                           ;   in Loop: Header=BB432_10 Depth=1
	s_delay_alu instid0(SALU_CYCLE_1) | instskip(NEXT) | instid1(VALU_DEP_1)
	s_or_b32 exec_lo, exec_lo, s4
	v_mul_f32_e32 v20, v171, v20
                                        ; implicit-def: $vgpr47
	s_delay_alu instid0(VALU_DEP_1) | instskip(NEXT) | instid1(VALU_DEP_1)
	v_and_b32_e32 v30, 0x7f800000, v20
	v_cmp_ne_u32_e64 s3, 0x7f800000, v30
	s_delay_alu instid0(VALU_DEP_1) | instskip(NEXT) | instid1(SALU_CYCLE_1)
	s_and_saveexec_b32 s4, s3
	s_xor_b32 s3, exec_lo, s4
; %bb.1387:                             ;   in Loop: Header=BB432_10 Depth=1
	v_bfe_u32 v30, v20, 16, 1
	s_delay_alu instid0(VALU_DEP_1)
	v_add3_u32 v47, v20, v30, 0x7fff
                                        ; implicit-def: $vgpr20
; %bb.1388:                             ;   in Loop: Header=BB432_10 Depth=1
	s_and_not1_saveexec_b32 s4, s3
; %bb.1389:                             ;   in Loop: Header=BB432_10 Depth=1
	v_and_b32_e32 v30, 0xffff, v20
	v_or_b32_e32 v31, 0x10000, v20
	s_delay_alu instid0(VALU_DEP_2) | instskip(NEXT) | instid1(VALU_DEP_1)
	v_cmp_eq_u32_e64 s3, 0, v30
	v_cndmask_b32_e64 v47, v31, v20, s3
; %bb.1390:                             ;   in Loop: Header=BB432_10 Depth=1
	s_or_b32 exec_lo, exec_lo, s4
	v_mov_b32_e32 v20, 0
	s_mov_b32 s4, exec_lo
	v_cmpx_lt_u32_e32 0xffffff, v56
	s_cbranch_execz .LBB432_1398
; %bb.1391:                             ;   in Loop: Header=BB432_10 Depth=1
	v_lshrrev_b32_e32 v58, 24, v56
	v_bfrev_b32_e32 v20, 1
	s_mov_b32 s20, exec_lo
	s_delay_alu instid0(VALU_DEP_2)
	v_cmpx_ne_u32_e32 0x80, v58
	s_cbranch_execz .LBB432_1397
; %bb.1392:                             ;   in Loop: Header=BB432_10 Depth=1
	v_bfe_u32 v56, v56, 24, 7
	v_mov_b32_e32 v20, 0x7f800001
	s_mov_b32 s21, exec_lo
	s_delay_alu instid0(VALU_DEP_2)
	v_cmpx_ne_u32_e32 0x7f, v56
	s_cbranch_execz .LBB432_1396
; %bb.1393:                             ;   in Loop: Header=BB432_10 Depth=1
	v_and_b32_e32 v20, 7, v58
	v_mov_b32_e32 v31, v21
	v_lshrrev_b32_e32 v31, 3, v56
	s_mov_b32 s22, exec_lo
	s_delay_alu instid0(VALU_DEP_3)
	v_mov_b32_e32 v30, v20
	v_cmpx_gt_u32_e32 8, v56
; %bb.1394:                             ;   in Loop: Header=BB432_10 Depth=1
	v_clz_i32_u32_e32 v30, v20
	s_delay_alu instid0(VALU_DEP_1) | instskip(NEXT) | instid1(VALU_DEP_1)
	v_min_u32_e32 v56, 32, v30
	v_subrev_nc_u32_e32 v30, 28, v56
	s_delay_alu instid0(VALU_DEP_1) | instskip(SKIP_1) | instid1(VALU_DEP_2)
	v_lshlrev_b64 v[30:31], v30, v[20:21]
	v_sub_nc_u32_e32 v31, 29, v56
	v_and_b32_e32 v30, 7, v30
; %bb.1395:                             ;   in Loop: Header=BB432_10 Depth=1
	s_or_b32 exec_lo, exec_lo, s22
	v_lshlrev_b32_e32 v20, 24, v58
	s_delay_alu instid0(VALU_DEP_2) | instskip(SKIP_1) | instid1(VALU_DEP_3)
	v_lshlrev_b32_e32 v30, 20, v30
	v_lshl_add_u32 v31, v31, 23, 0x3c000000
	v_and_b32_e32 v20, 0x80000000, v20
	s_delay_alu instid0(VALU_DEP_1)
	v_or3_b32 v20, v30, v20, v31
.LBB432_1396:                           ;   in Loop: Header=BB432_10 Depth=1
	s_or_b32 exec_lo, exec_lo, s21
.LBB432_1397:                           ;   in Loop: Header=BB432_10 Depth=1
	s_delay_alu instid0(SALU_CYCLE_1)
	s_or_b32 exec_lo, exec_lo, s20
.LBB432_1398:                           ;   in Loop: Header=BB432_10 Depth=1
	s_delay_alu instid0(SALU_CYCLE_1) | instskip(NEXT) | instid1(VALU_DEP_1)
	s_or_b32 exec_lo, exec_lo, s4
	v_mul_f32_e32 v20, v171, v20
                                        ; implicit-def: $vgpr56
	s_delay_alu instid0(VALU_DEP_1) | instskip(NEXT) | instid1(VALU_DEP_1)
	v_and_b32_e32 v30, 0x7f800000, v20
	v_cmp_ne_u32_e64 s3, 0x7f800000, v30
	s_delay_alu instid0(VALU_DEP_1) | instskip(NEXT) | instid1(SALU_CYCLE_1)
	s_and_saveexec_b32 s4, s3
	s_xor_b32 s3, exec_lo, s4
; %bb.1399:                             ;   in Loop: Header=BB432_10 Depth=1
	v_bfe_u32 v30, v20, 16, 1
	s_delay_alu instid0(VALU_DEP_1)
	v_add3_u32 v56, v20, v30, 0x7fff
                                        ; implicit-def: $vgpr20
; %bb.1400:                             ;   in Loop: Header=BB432_10 Depth=1
	s_and_not1_saveexec_b32 s4, s3
; %bb.1401:                             ;   in Loop: Header=BB432_10 Depth=1
	v_and_b32_e32 v30, 0xffff, v20
	v_or_b32_e32 v31, 0x10000, v20
	s_delay_alu instid0(VALU_DEP_2) | instskip(NEXT) | instid1(VALU_DEP_1)
	v_cmp_eq_u32_e64 s3, 0, v30
	v_cndmask_b32_e64 v56, v31, v20, s3
; %bb.1402:                             ;   in Loop: Header=BB432_10 Depth=1
	s_or_b32 exec_lo, exec_lo, s4
	flat_load_b32 v61, v[28:29] offset:3592
	v_mov_b32_e32 v20, 0
	s_mov_b32 s4, exec_lo
	s_waitcnt vmcnt(0) lgkmcnt(0)
	v_and_b32_e32 v30, 0xff, v61
	s_delay_alu instid0(VALU_DEP_1)
	v_cmpx_ne_u16_e32 0, v30
	s_cbranch_execz .LBB432_1410
; %bb.1403:                             ;   in Loop: Header=BB432_10 Depth=1
	v_bfrev_b32_e32 v20, 1
	s_mov_b32 s20, exec_lo
	v_cmpx_ne_u16_e32 0x80, v30
	s_cbranch_execz .LBB432_1409
; %bb.1404:                             ;   in Loop: Header=BB432_10 Depth=1
	v_and_b32_e32 v58, 0x7f, v61
	v_mov_b32_e32 v20, 0x7f800001
	s_mov_b32 s21, exec_lo
	s_delay_alu instid0(VALU_DEP_2)
	v_cmpx_ne_u32_e32 0x7f, v58
	s_cbranch_execz .LBB432_1408
; %bb.1405:                             ;   in Loop: Header=BB432_10 Depth=1
	v_and_b32_e32 v20, 7, v61
	v_mov_b32_e32 v31, v21
	v_lshrrev_b32_e32 v31, 3, v58
	s_mov_b32 s22, exec_lo
	s_delay_alu instid0(VALU_DEP_3)
	v_mov_b32_e32 v30, v20
	v_cmpx_gt_u32_e32 8, v58
; %bb.1406:                             ;   in Loop: Header=BB432_10 Depth=1
	v_clz_i32_u32_e32 v30, v20
	s_delay_alu instid0(VALU_DEP_1) | instskip(NEXT) | instid1(VALU_DEP_1)
	v_min_u32_e32 v58, 32, v30
	v_subrev_nc_u32_e32 v30, 28, v58
	s_delay_alu instid0(VALU_DEP_1) | instskip(SKIP_1) | instid1(VALU_DEP_2)
	v_lshlrev_b64 v[30:31], v30, v[20:21]
	v_sub_nc_u32_e32 v31, 29, v58
	v_and_b32_e32 v30, 7, v30
; %bb.1407:                             ;   in Loop: Header=BB432_10 Depth=1
	s_or_b32 exec_lo, exec_lo, s22
	v_lshlrev_b32_e32 v20, 24, v61
	s_delay_alu instid0(VALU_DEP_2) | instskip(SKIP_1) | instid1(VALU_DEP_3)
	v_lshlrev_b32_e32 v30, 20, v30
	v_lshl_add_u32 v31, v31, 23, 0x3c000000
	v_and_b32_e32 v20, 0x80000000, v20
	s_delay_alu instid0(VALU_DEP_1)
	v_or3_b32 v20, v30, v20, v31
.LBB432_1408:                           ;   in Loop: Header=BB432_10 Depth=1
	s_or_b32 exec_lo, exec_lo, s21
.LBB432_1409:                           ;   in Loop: Header=BB432_10 Depth=1
	s_delay_alu instid0(SALU_CYCLE_1)
	s_or_b32 exec_lo, exec_lo, s20
.LBB432_1410:                           ;   in Loop: Header=BB432_10 Depth=1
	s_delay_alu instid0(SALU_CYCLE_1) | instskip(NEXT) | instid1(VALU_DEP_1)
	s_or_b32 exec_lo, exec_lo, s4
	v_mul_f32_e32 v20, v171, v20
                                        ; implicit-def: $vgpr58
	s_delay_alu instid0(VALU_DEP_1) | instskip(NEXT) | instid1(VALU_DEP_1)
	v_and_b32_e32 v30, 0x7f800000, v20
	v_cmp_ne_u32_e64 s3, 0x7f800000, v30
	s_delay_alu instid0(VALU_DEP_1) | instskip(NEXT) | instid1(SALU_CYCLE_1)
	s_and_saveexec_b32 s4, s3
	s_xor_b32 s3, exec_lo, s4
; %bb.1411:                             ;   in Loop: Header=BB432_10 Depth=1
	v_bfe_u32 v30, v20, 16, 1
	s_delay_alu instid0(VALU_DEP_1)
	v_add3_u32 v58, v20, v30, 0x7fff
                                        ; implicit-def: $vgpr20
; %bb.1412:                             ;   in Loop: Header=BB432_10 Depth=1
	s_and_not1_saveexec_b32 s4, s3
; %bb.1413:                             ;   in Loop: Header=BB432_10 Depth=1
	v_and_b32_e32 v30, 0xffff, v20
	v_or_b32_e32 v31, 0x10000, v20
	s_delay_alu instid0(VALU_DEP_2) | instskip(NEXT) | instid1(VALU_DEP_1)
	v_cmp_eq_u32_e64 s3, 0, v30
	v_cndmask_b32_e64 v58, v31, v20, s3
; %bb.1414:                             ;   in Loop: Header=BB432_10 Depth=1
	s_or_b32 exec_lo, exec_lo, s4
	v_lshrrev_b16 v30, 8, v61
	v_mov_b32_e32 v20, 0
	s_mov_b32 s4, exec_lo
	s_delay_alu instid0(VALU_DEP_2)
	v_cmpx_ne_u16_e32 0, v30
	s_cbranch_execz .LBB432_1422
; %bb.1415:                             ;   in Loop: Header=BB432_10 Depth=1
	v_bfrev_b32_e32 v20, 1
	s_mov_b32 s20, exec_lo
	v_cmpx_ne_u16_e32 0x80, v30
	s_cbranch_execz .LBB432_1421
; %bb.1416:                             ;   in Loop: Header=BB432_10 Depth=1
	v_and_b32_e32 v30, 0xffff, v30
	v_mov_b32_e32 v20, 0x7f800001
	s_mov_b32 s21, exec_lo
	s_delay_alu instid0(VALU_DEP_2) | instskip(NEXT) | instid1(VALU_DEP_1)
	v_and_b32_e32 v59, 0x7f, v30
	v_cmpx_ne_u32_e32 0x7f, v59
	s_cbranch_execz .LBB432_1420
; %bb.1417:                             ;   in Loop: Header=BB432_10 Depth=1
	v_and_b32_e32 v20, 7, v30
	v_mov_b32_e32 v31, v21
	v_lshrrev_b32_e32 v31, 3, v59
	s_mov_b32 s22, exec_lo
	s_delay_alu instid0(VALU_DEP_3)
	v_mov_b32_e32 v30, v20
	v_cmpx_gt_u32_e32 8, v59
; %bb.1418:                             ;   in Loop: Header=BB432_10 Depth=1
	v_clz_i32_u32_e32 v30, v20
	s_delay_alu instid0(VALU_DEP_1) | instskip(NEXT) | instid1(VALU_DEP_1)
	v_min_u32_e32 v59, 32, v30
	v_subrev_nc_u32_e32 v30, 28, v59
	s_delay_alu instid0(VALU_DEP_1) | instskip(SKIP_1) | instid1(VALU_DEP_2)
	v_lshlrev_b64 v[30:31], v30, v[20:21]
	v_sub_nc_u32_e32 v31, 29, v59
	v_and_b32_e32 v30, 7, v30
; %bb.1419:                             ;   in Loop: Header=BB432_10 Depth=1
	s_or_b32 exec_lo, exec_lo, s22
	v_lshlrev_b32_e32 v20, 16, v61
	s_delay_alu instid0(VALU_DEP_2) | instskip(SKIP_1) | instid1(VALU_DEP_3)
	v_lshlrev_b32_e32 v30, 20, v30
	v_lshl_add_u32 v31, v31, 23, 0x3c000000
	v_and_b32_e32 v20, 0x80000000, v20
	s_delay_alu instid0(VALU_DEP_1)
	v_or3_b32 v20, v30, v20, v31
.LBB432_1420:                           ;   in Loop: Header=BB432_10 Depth=1
	s_or_b32 exec_lo, exec_lo, s21
.LBB432_1421:                           ;   in Loop: Header=BB432_10 Depth=1
	s_delay_alu instid0(SALU_CYCLE_1)
	s_or_b32 exec_lo, exec_lo, s20
.LBB432_1422:                           ;   in Loop: Header=BB432_10 Depth=1
	s_delay_alu instid0(SALU_CYCLE_1) | instskip(NEXT) | instid1(VALU_DEP_1)
	s_or_b32 exec_lo, exec_lo, s4
	v_mul_f32_e32 v20, v171, v20
                                        ; implicit-def: $vgpr59
	s_delay_alu instid0(VALU_DEP_1) | instskip(NEXT) | instid1(VALU_DEP_1)
	v_and_b32_e32 v30, 0x7f800000, v20
	v_cmp_ne_u32_e64 s3, 0x7f800000, v30
	s_delay_alu instid0(VALU_DEP_1) | instskip(NEXT) | instid1(SALU_CYCLE_1)
	s_and_saveexec_b32 s4, s3
	s_xor_b32 s3, exec_lo, s4
; %bb.1423:                             ;   in Loop: Header=BB432_10 Depth=1
	v_bfe_u32 v30, v20, 16, 1
	s_delay_alu instid0(VALU_DEP_1)
	v_add3_u32 v59, v20, v30, 0x7fff
                                        ; implicit-def: $vgpr20
; %bb.1424:                             ;   in Loop: Header=BB432_10 Depth=1
	s_and_not1_saveexec_b32 s4, s3
; %bb.1425:                             ;   in Loop: Header=BB432_10 Depth=1
	v_and_b32_e32 v30, 0xffff, v20
	v_or_b32_e32 v31, 0x10000, v20
	s_delay_alu instid0(VALU_DEP_2) | instskip(NEXT) | instid1(VALU_DEP_1)
	v_cmp_eq_u32_e64 s3, 0, v30
	v_cndmask_b32_e64 v59, v31, v20, s3
; %bb.1426:                             ;   in Loop: Header=BB432_10 Depth=1
	s_or_b32 exec_lo, exec_lo, s4
	v_lshrrev_b32_e32 v60, 16, v61
	v_mov_b32_e32 v20, 0
	s_mov_b32 s4, exec_lo
	s_delay_alu instid0(VALU_DEP_2) | instskip(NEXT) | instid1(VALU_DEP_1)
	v_and_b32_e32 v30, 0xff, v60
	v_cmpx_ne_u16_e32 0, v30
	s_cbranch_execz .LBB432_1434
; %bb.1427:                             ;   in Loop: Header=BB432_10 Depth=1
	v_bfrev_b32_e32 v20, 1
	s_mov_b32 s20, exec_lo
	v_cmpx_ne_u16_e32 0x80, v30
	s_cbranch_execz .LBB432_1433
; %bb.1428:                             ;   in Loop: Header=BB432_10 Depth=1
	v_bfe_u32 v62, v61, 16, 7
	v_mov_b32_e32 v20, 0x7f800001
	s_mov_b32 s21, exec_lo
	s_delay_alu instid0(VALU_DEP_2)
	v_cmpx_ne_u32_e32 0x7f, v62
	s_cbranch_execz .LBB432_1432
; %bb.1429:                             ;   in Loop: Header=BB432_10 Depth=1
	v_and_b32_e32 v20, 7, v60
	v_mov_b32_e32 v31, v21
	v_lshrrev_b32_e32 v31, 3, v62
	s_mov_b32 s22, exec_lo
	s_delay_alu instid0(VALU_DEP_3)
	v_mov_b32_e32 v30, v20
	v_cmpx_gt_u32_e32 8, v62
; %bb.1430:                             ;   in Loop: Header=BB432_10 Depth=1
	v_clz_i32_u32_e32 v30, v20
	s_delay_alu instid0(VALU_DEP_1) | instskip(NEXT) | instid1(VALU_DEP_1)
	v_min_u32_e32 v62, 32, v30
	v_subrev_nc_u32_e32 v30, 28, v62
	s_delay_alu instid0(VALU_DEP_1) | instskip(SKIP_1) | instid1(VALU_DEP_2)
	v_lshlrev_b64 v[30:31], v30, v[20:21]
	v_sub_nc_u32_e32 v31, 29, v62
	v_and_b32_e32 v30, 7, v30
; %bb.1431:                             ;   in Loop: Header=BB432_10 Depth=1
	s_or_b32 exec_lo, exec_lo, s22
	v_lshlrev_b32_e32 v20, 24, v60
	s_delay_alu instid0(VALU_DEP_2) | instskip(SKIP_1) | instid1(VALU_DEP_3)
	v_lshlrev_b32_e32 v30, 20, v30
	v_lshl_add_u32 v31, v31, 23, 0x3c000000
	v_and_b32_e32 v20, 0x80000000, v20
	s_delay_alu instid0(VALU_DEP_1)
	v_or3_b32 v20, v30, v20, v31
.LBB432_1432:                           ;   in Loop: Header=BB432_10 Depth=1
	s_or_b32 exec_lo, exec_lo, s21
.LBB432_1433:                           ;   in Loop: Header=BB432_10 Depth=1
	s_delay_alu instid0(SALU_CYCLE_1)
	s_or_b32 exec_lo, exec_lo, s20
.LBB432_1434:                           ;   in Loop: Header=BB432_10 Depth=1
	s_delay_alu instid0(SALU_CYCLE_1) | instskip(NEXT) | instid1(VALU_DEP_1)
	s_or_b32 exec_lo, exec_lo, s4
	v_mul_f32_e32 v20, v171, v20
                                        ; implicit-def: $vgpr60
	s_delay_alu instid0(VALU_DEP_1) | instskip(NEXT) | instid1(VALU_DEP_1)
	v_and_b32_e32 v30, 0x7f800000, v20
	v_cmp_ne_u32_e64 s3, 0x7f800000, v30
	s_delay_alu instid0(VALU_DEP_1) | instskip(NEXT) | instid1(SALU_CYCLE_1)
	s_and_saveexec_b32 s4, s3
	s_xor_b32 s3, exec_lo, s4
; %bb.1435:                             ;   in Loop: Header=BB432_10 Depth=1
	v_bfe_u32 v30, v20, 16, 1
	s_delay_alu instid0(VALU_DEP_1)
	v_add3_u32 v60, v20, v30, 0x7fff
                                        ; implicit-def: $vgpr20
; %bb.1436:                             ;   in Loop: Header=BB432_10 Depth=1
	s_and_not1_saveexec_b32 s4, s3
; %bb.1437:                             ;   in Loop: Header=BB432_10 Depth=1
	v_and_b32_e32 v30, 0xffff, v20
	v_or_b32_e32 v31, 0x10000, v20
	s_delay_alu instid0(VALU_DEP_2) | instskip(NEXT) | instid1(VALU_DEP_1)
	v_cmp_eq_u32_e64 s3, 0, v30
	v_cndmask_b32_e64 v60, v31, v20, s3
; %bb.1438:                             ;   in Loop: Header=BB432_10 Depth=1
	s_or_b32 exec_lo, exec_lo, s4
	v_mov_b32_e32 v20, 0
	s_mov_b32 s4, exec_lo
	v_cmpx_lt_u32_e32 0xffffff, v61
	s_cbranch_execz .LBB432_1446
; %bb.1439:                             ;   in Loop: Header=BB432_10 Depth=1
	v_lshrrev_b32_e32 v62, 24, v61
	v_bfrev_b32_e32 v20, 1
	s_mov_b32 s20, exec_lo
	s_delay_alu instid0(VALU_DEP_2)
	v_cmpx_ne_u32_e32 0x80, v62
	s_cbranch_execz .LBB432_1445
; %bb.1440:                             ;   in Loop: Header=BB432_10 Depth=1
	v_bfe_u32 v61, v61, 24, 7
	v_mov_b32_e32 v20, 0x7f800001
	s_mov_b32 s21, exec_lo
	s_delay_alu instid0(VALU_DEP_2)
	v_cmpx_ne_u32_e32 0x7f, v61
	s_cbranch_execz .LBB432_1444
; %bb.1441:                             ;   in Loop: Header=BB432_10 Depth=1
	v_and_b32_e32 v20, 7, v62
	v_mov_b32_e32 v31, v21
	v_lshrrev_b32_e32 v31, 3, v61
	s_mov_b32 s22, exec_lo
	s_delay_alu instid0(VALU_DEP_3)
	v_mov_b32_e32 v30, v20
	v_cmpx_gt_u32_e32 8, v61
; %bb.1442:                             ;   in Loop: Header=BB432_10 Depth=1
	v_clz_i32_u32_e32 v30, v20
	s_delay_alu instid0(VALU_DEP_1) | instskip(NEXT) | instid1(VALU_DEP_1)
	v_min_u32_e32 v61, 32, v30
	v_subrev_nc_u32_e32 v30, 28, v61
	s_delay_alu instid0(VALU_DEP_1) | instskip(SKIP_1) | instid1(VALU_DEP_2)
	v_lshlrev_b64 v[30:31], v30, v[20:21]
	v_sub_nc_u32_e32 v31, 29, v61
	v_and_b32_e32 v30, 7, v30
; %bb.1443:                             ;   in Loop: Header=BB432_10 Depth=1
	s_or_b32 exec_lo, exec_lo, s22
	v_lshlrev_b32_e32 v20, 24, v62
	s_delay_alu instid0(VALU_DEP_2) | instskip(SKIP_1) | instid1(VALU_DEP_3)
	v_lshlrev_b32_e32 v30, 20, v30
	v_lshl_add_u32 v31, v31, 23, 0x3c000000
	v_and_b32_e32 v20, 0x80000000, v20
	s_delay_alu instid0(VALU_DEP_1)
	v_or3_b32 v20, v30, v20, v31
.LBB432_1444:                           ;   in Loop: Header=BB432_10 Depth=1
	s_or_b32 exec_lo, exec_lo, s21
.LBB432_1445:                           ;   in Loop: Header=BB432_10 Depth=1
	s_delay_alu instid0(SALU_CYCLE_1)
	s_or_b32 exec_lo, exec_lo, s20
.LBB432_1446:                           ;   in Loop: Header=BB432_10 Depth=1
	s_delay_alu instid0(SALU_CYCLE_1) | instskip(NEXT) | instid1(VALU_DEP_1)
	s_or_b32 exec_lo, exec_lo, s4
	v_mul_f32_e32 v20, v171, v20
                                        ; implicit-def: $vgpr61
	s_delay_alu instid0(VALU_DEP_1) | instskip(NEXT) | instid1(VALU_DEP_1)
	v_and_b32_e32 v30, 0x7f800000, v20
	v_cmp_ne_u32_e64 s3, 0x7f800000, v30
	s_delay_alu instid0(VALU_DEP_1) | instskip(NEXT) | instid1(SALU_CYCLE_1)
	s_and_saveexec_b32 s4, s3
	s_xor_b32 s3, exec_lo, s4
; %bb.1447:                             ;   in Loop: Header=BB432_10 Depth=1
	v_bfe_u32 v30, v20, 16, 1
	s_delay_alu instid0(VALU_DEP_1)
	v_add3_u32 v61, v20, v30, 0x7fff
                                        ; implicit-def: $vgpr20
; %bb.1448:                             ;   in Loop: Header=BB432_10 Depth=1
	s_and_not1_saveexec_b32 s4, s3
; %bb.1449:                             ;   in Loop: Header=BB432_10 Depth=1
	v_and_b32_e32 v30, 0xffff, v20
	v_or_b32_e32 v31, 0x10000, v20
	s_delay_alu instid0(VALU_DEP_2) | instskip(NEXT) | instid1(VALU_DEP_1)
	v_cmp_eq_u32_e64 s3, 0, v30
	v_cndmask_b32_e64 v61, v31, v20, s3
; %bb.1450:                             ;   in Loop: Header=BB432_10 Depth=1
	s_or_b32 exec_lo, exec_lo, s4
	flat_load_b32 v73, v[28:29] offset:3840
	v_mov_b32_e32 v20, 0
	s_mov_b32 s4, exec_lo
	s_waitcnt vmcnt(0) lgkmcnt(0)
	v_and_b32_e32 v30, 0xff, v73
	s_delay_alu instid0(VALU_DEP_1)
	v_cmpx_ne_u16_e32 0, v30
	s_cbranch_execz .LBB432_1458
; %bb.1451:                             ;   in Loop: Header=BB432_10 Depth=1
	v_bfrev_b32_e32 v20, 1
	s_mov_b32 s20, exec_lo
	v_cmpx_ne_u16_e32 0x80, v30
	s_cbranch_execz .LBB432_1457
; %bb.1452:                             ;   in Loop: Header=BB432_10 Depth=1
	v_and_b32_e32 v62, 0x7f, v73
	v_mov_b32_e32 v20, 0x7f800001
	s_mov_b32 s21, exec_lo
	s_delay_alu instid0(VALU_DEP_2)
	v_cmpx_ne_u32_e32 0x7f, v62
	s_cbranch_execz .LBB432_1456
; %bb.1453:                             ;   in Loop: Header=BB432_10 Depth=1
	v_and_b32_e32 v20, 7, v73
	v_mov_b32_e32 v31, v21
	v_lshrrev_b32_e32 v31, 3, v62
	s_mov_b32 s22, exec_lo
	s_delay_alu instid0(VALU_DEP_3)
	v_mov_b32_e32 v30, v20
	v_cmpx_gt_u32_e32 8, v62
; %bb.1454:                             ;   in Loop: Header=BB432_10 Depth=1
	v_clz_i32_u32_e32 v30, v20
	s_delay_alu instid0(VALU_DEP_1) | instskip(NEXT) | instid1(VALU_DEP_1)
	v_min_u32_e32 v62, 32, v30
	v_subrev_nc_u32_e32 v30, 28, v62
	s_delay_alu instid0(VALU_DEP_1) | instskip(SKIP_1) | instid1(VALU_DEP_2)
	v_lshlrev_b64 v[30:31], v30, v[20:21]
	v_sub_nc_u32_e32 v31, 29, v62
	v_and_b32_e32 v30, 7, v30
; %bb.1455:                             ;   in Loop: Header=BB432_10 Depth=1
	s_or_b32 exec_lo, exec_lo, s22
	v_lshlrev_b32_e32 v20, 24, v73
	s_delay_alu instid0(VALU_DEP_2) | instskip(SKIP_1) | instid1(VALU_DEP_3)
	v_lshlrev_b32_e32 v30, 20, v30
	v_lshl_add_u32 v31, v31, 23, 0x3c000000
	v_and_b32_e32 v20, 0x80000000, v20
	s_delay_alu instid0(VALU_DEP_1)
	v_or3_b32 v20, v30, v20, v31
.LBB432_1456:                           ;   in Loop: Header=BB432_10 Depth=1
	s_or_b32 exec_lo, exec_lo, s21
.LBB432_1457:                           ;   in Loop: Header=BB432_10 Depth=1
	s_delay_alu instid0(SALU_CYCLE_1)
	s_or_b32 exec_lo, exec_lo, s20
.LBB432_1458:                           ;   in Loop: Header=BB432_10 Depth=1
	s_delay_alu instid0(SALU_CYCLE_1) | instskip(NEXT) | instid1(VALU_DEP_1)
	s_or_b32 exec_lo, exec_lo, s4
	v_mul_f32_e32 v20, v171, v20
                                        ; implicit-def: $vgpr62
	s_delay_alu instid0(VALU_DEP_1) | instskip(NEXT) | instid1(VALU_DEP_1)
	v_and_b32_e32 v30, 0x7f800000, v20
	v_cmp_ne_u32_e64 s3, 0x7f800000, v30
	s_delay_alu instid0(VALU_DEP_1) | instskip(NEXT) | instid1(SALU_CYCLE_1)
	s_and_saveexec_b32 s4, s3
	s_xor_b32 s3, exec_lo, s4
; %bb.1459:                             ;   in Loop: Header=BB432_10 Depth=1
	v_bfe_u32 v30, v20, 16, 1
	s_delay_alu instid0(VALU_DEP_1)
	v_add3_u32 v62, v20, v30, 0x7fff
                                        ; implicit-def: $vgpr20
; %bb.1460:                             ;   in Loop: Header=BB432_10 Depth=1
	s_and_not1_saveexec_b32 s4, s3
; %bb.1461:                             ;   in Loop: Header=BB432_10 Depth=1
	v_and_b32_e32 v30, 0xffff, v20
	v_or_b32_e32 v31, 0x10000, v20
	s_delay_alu instid0(VALU_DEP_2) | instskip(NEXT) | instid1(VALU_DEP_1)
	v_cmp_eq_u32_e64 s3, 0, v30
	v_cndmask_b32_e64 v62, v31, v20, s3
; %bb.1462:                             ;   in Loop: Header=BB432_10 Depth=1
	s_or_b32 exec_lo, exec_lo, s4
	v_lshrrev_b16 v30, 8, v73
	v_mov_b32_e32 v20, 0
	s_mov_b32 s4, exec_lo
	s_delay_alu instid0(VALU_DEP_2)
	v_cmpx_ne_u16_e32 0, v30
	s_cbranch_execz .LBB432_1470
; %bb.1463:                             ;   in Loop: Header=BB432_10 Depth=1
	v_bfrev_b32_e32 v20, 1
	s_mov_b32 s20, exec_lo
	v_cmpx_ne_u16_e32 0x80, v30
	s_cbranch_execz .LBB432_1469
; %bb.1464:                             ;   in Loop: Header=BB432_10 Depth=1
	v_and_b32_e32 v30, 0xffff, v30
	v_mov_b32_e32 v20, 0x7f800001
	s_mov_b32 s21, exec_lo
	s_delay_alu instid0(VALU_DEP_2) | instskip(NEXT) | instid1(VALU_DEP_1)
	v_and_b32_e32 v63, 0x7f, v30
	v_cmpx_ne_u32_e32 0x7f, v63
	s_cbranch_execz .LBB432_1468
; %bb.1465:                             ;   in Loop: Header=BB432_10 Depth=1
	v_and_b32_e32 v20, 7, v30
	v_mov_b32_e32 v31, v21
	v_lshrrev_b32_e32 v31, 3, v63
	s_mov_b32 s22, exec_lo
	s_delay_alu instid0(VALU_DEP_3)
	v_mov_b32_e32 v30, v20
	v_cmpx_gt_u32_e32 8, v63
; %bb.1466:                             ;   in Loop: Header=BB432_10 Depth=1
	v_clz_i32_u32_e32 v30, v20
	s_delay_alu instid0(VALU_DEP_1) | instskip(NEXT) | instid1(VALU_DEP_1)
	v_min_u32_e32 v63, 32, v30
	v_subrev_nc_u32_e32 v30, 28, v63
	s_delay_alu instid0(VALU_DEP_1) | instskip(SKIP_1) | instid1(VALU_DEP_2)
	v_lshlrev_b64 v[30:31], v30, v[20:21]
	v_sub_nc_u32_e32 v31, 29, v63
	v_and_b32_e32 v30, 7, v30
; %bb.1467:                             ;   in Loop: Header=BB432_10 Depth=1
	s_or_b32 exec_lo, exec_lo, s22
	v_lshlrev_b32_e32 v20, 16, v73
	s_delay_alu instid0(VALU_DEP_2) | instskip(SKIP_1) | instid1(VALU_DEP_3)
	v_lshlrev_b32_e32 v30, 20, v30
	v_lshl_add_u32 v31, v31, 23, 0x3c000000
	v_and_b32_e32 v20, 0x80000000, v20
	s_delay_alu instid0(VALU_DEP_1)
	v_or3_b32 v20, v30, v20, v31
.LBB432_1468:                           ;   in Loop: Header=BB432_10 Depth=1
	s_or_b32 exec_lo, exec_lo, s21
.LBB432_1469:                           ;   in Loop: Header=BB432_10 Depth=1
	s_delay_alu instid0(SALU_CYCLE_1)
	s_or_b32 exec_lo, exec_lo, s20
.LBB432_1470:                           ;   in Loop: Header=BB432_10 Depth=1
	s_delay_alu instid0(SALU_CYCLE_1) | instskip(NEXT) | instid1(VALU_DEP_1)
	s_or_b32 exec_lo, exec_lo, s4
	v_mul_f32_e32 v20, v171, v20
                                        ; implicit-def: $vgpr63
	s_delay_alu instid0(VALU_DEP_1) | instskip(NEXT) | instid1(VALU_DEP_1)
	v_and_b32_e32 v30, 0x7f800000, v20
	v_cmp_ne_u32_e64 s3, 0x7f800000, v30
	s_delay_alu instid0(VALU_DEP_1) | instskip(NEXT) | instid1(SALU_CYCLE_1)
	s_and_saveexec_b32 s4, s3
	s_xor_b32 s3, exec_lo, s4
; %bb.1471:                             ;   in Loop: Header=BB432_10 Depth=1
	v_bfe_u32 v30, v20, 16, 1
	s_delay_alu instid0(VALU_DEP_1)
	v_add3_u32 v63, v20, v30, 0x7fff
                                        ; implicit-def: $vgpr20
; %bb.1472:                             ;   in Loop: Header=BB432_10 Depth=1
	s_and_not1_saveexec_b32 s4, s3
; %bb.1473:                             ;   in Loop: Header=BB432_10 Depth=1
	v_and_b32_e32 v30, 0xffff, v20
	v_or_b32_e32 v31, 0x10000, v20
	s_delay_alu instid0(VALU_DEP_2) | instskip(NEXT) | instid1(VALU_DEP_1)
	v_cmp_eq_u32_e64 s3, 0, v30
	v_cndmask_b32_e64 v63, v31, v20, s3
; %bb.1474:                             ;   in Loop: Header=BB432_10 Depth=1
	s_or_b32 exec_lo, exec_lo, s4
	v_lshrrev_b32_e32 v72, 16, v73
	v_mov_b32_e32 v20, 0
	s_mov_b32 s4, exec_lo
	s_delay_alu instid0(VALU_DEP_2) | instskip(NEXT) | instid1(VALU_DEP_1)
	v_and_b32_e32 v30, 0xff, v72
	v_cmpx_ne_u16_e32 0, v30
	s_cbranch_execz .LBB432_1482
; %bb.1475:                             ;   in Loop: Header=BB432_10 Depth=1
	v_bfrev_b32_e32 v20, 1
	s_mov_b32 s20, exec_lo
	v_cmpx_ne_u16_e32 0x80, v30
	s_cbranch_execz .LBB432_1481
; %bb.1476:                             ;   in Loop: Header=BB432_10 Depth=1
	v_bfe_u32 v74, v73, 16, 7
	v_mov_b32_e32 v20, 0x7f800001
	s_mov_b32 s21, exec_lo
	s_delay_alu instid0(VALU_DEP_2)
	v_cmpx_ne_u32_e32 0x7f, v74
	s_cbranch_execz .LBB432_1480
; %bb.1477:                             ;   in Loop: Header=BB432_10 Depth=1
	v_and_b32_e32 v20, 7, v72
	v_mov_b32_e32 v31, v21
	v_lshrrev_b32_e32 v31, 3, v74
	s_mov_b32 s22, exec_lo
	s_delay_alu instid0(VALU_DEP_3)
	v_mov_b32_e32 v30, v20
	v_cmpx_gt_u32_e32 8, v74
; %bb.1478:                             ;   in Loop: Header=BB432_10 Depth=1
	v_clz_i32_u32_e32 v30, v20
	s_delay_alu instid0(VALU_DEP_1) | instskip(NEXT) | instid1(VALU_DEP_1)
	v_min_u32_e32 v74, 32, v30
	v_subrev_nc_u32_e32 v30, 28, v74
	s_delay_alu instid0(VALU_DEP_1) | instskip(SKIP_1) | instid1(VALU_DEP_2)
	v_lshlrev_b64 v[30:31], v30, v[20:21]
	v_sub_nc_u32_e32 v31, 29, v74
	v_and_b32_e32 v30, 7, v30
; %bb.1479:                             ;   in Loop: Header=BB432_10 Depth=1
	s_or_b32 exec_lo, exec_lo, s22
	v_lshlrev_b32_e32 v20, 24, v72
	s_delay_alu instid0(VALU_DEP_2) | instskip(SKIP_1) | instid1(VALU_DEP_3)
	v_lshlrev_b32_e32 v30, 20, v30
	v_lshl_add_u32 v31, v31, 23, 0x3c000000
	v_and_b32_e32 v20, 0x80000000, v20
	s_delay_alu instid0(VALU_DEP_1)
	v_or3_b32 v20, v30, v20, v31
.LBB432_1480:                           ;   in Loop: Header=BB432_10 Depth=1
	s_or_b32 exec_lo, exec_lo, s21
.LBB432_1481:                           ;   in Loop: Header=BB432_10 Depth=1
	s_delay_alu instid0(SALU_CYCLE_1)
	s_or_b32 exec_lo, exec_lo, s20
.LBB432_1482:                           ;   in Loop: Header=BB432_10 Depth=1
	s_delay_alu instid0(SALU_CYCLE_1) | instskip(NEXT) | instid1(VALU_DEP_1)
	s_or_b32 exec_lo, exec_lo, s4
	v_mul_f32_e32 v20, v171, v20
                                        ; implicit-def: $vgpr72
	s_delay_alu instid0(VALU_DEP_1) | instskip(NEXT) | instid1(VALU_DEP_1)
	v_and_b32_e32 v30, 0x7f800000, v20
	v_cmp_ne_u32_e64 s3, 0x7f800000, v30
	s_delay_alu instid0(VALU_DEP_1) | instskip(NEXT) | instid1(SALU_CYCLE_1)
	s_and_saveexec_b32 s4, s3
	s_xor_b32 s3, exec_lo, s4
; %bb.1483:                             ;   in Loop: Header=BB432_10 Depth=1
	v_bfe_u32 v30, v20, 16, 1
	s_delay_alu instid0(VALU_DEP_1)
	v_add3_u32 v72, v20, v30, 0x7fff
                                        ; implicit-def: $vgpr20
; %bb.1484:                             ;   in Loop: Header=BB432_10 Depth=1
	s_and_not1_saveexec_b32 s4, s3
; %bb.1485:                             ;   in Loop: Header=BB432_10 Depth=1
	v_and_b32_e32 v30, 0xffff, v20
	v_or_b32_e32 v31, 0x10000, v20
	s_delay_alu instid0(VALU_DEP_2) | instskip(NEXT) | instid1(VALU_DEP_1)
	v_cmp_eq_u32_e64 s3, 0, v30
	v_cndmask_b32_e64 v72, v31, v20, s3
; %bb.1486:                             ;   in Loop: Header=BB432_10 Depth=1
	s_or_b32 exec_lo, exec_lo, s4
	v_mov_b32_e32 v20, 0
	s_mov_b32 s4, exec_lo
	v_cmpx_lt_u32_e32 0xffffff, v73
	s_cbranch_execz .LBB432_1494
; %bb.1487:                             ;   in Loop: Header=BB432_10 Depth=1
	v_lshrrev_b32_e32 v74, 24, v73
	v_bfrev_b32_e32 v20, 1
	s_mov_b32 s20, exec_lo
	s_delay_alu instid0(VALU_DEP_2)
	v_cmpx_ne_u32_e32 0x80, v74
	s_cbranch_execz .LBB432_1493
; %bb.1488:                             ;   in Loop: Header=BB432_10 Depth=1
	v_bfe_u32 v73, v73, 24, 7
	v_mov_b32_e32 v20, 0x7f800001
	s_mov_b32 s21, exec_lo
	s_delay_alu instid0(VALU_DEP_2)
	v_cmpx_ne_u32_e32 0x7f, v73
	s_cbranch_execz .LBB432_1492
; %bb.1489:                             ;   in Loop: Header=BB432_10 Depth=1
	v_and_b32_e32 v20, 7, v74
	v_mov_b32_e32 v31, v21
	v_lshrrev_b32_e32 v31, 3, v73
	s_mov_b32 s22, exec_lo
	s_delay_alu instid0(VALU_DEP_3)
	v_mov_b32_e32 v30, v20
	v_cmpx_gt_u32_e32 8, v73
; %bb.1490:                             ;   in Loop: Header=BB432_10 Depth=1
	v_clz_i32_u32_e32 v30, v20
	s_delay_alu instid0(VALU_DEP_1) | instskip(NEXT) | instid1(VALU_DEP_1)
	v_min_u32_e32 v73, 32, v30
	v_subrev_nc_u32_e32 v30, 28, v73
	s_delay_alu instid0(VALU_DEP_1) | instskip(SKIP_1) | instid1(VALU_DEP_2)
	v_lshlrev_b64 v[30:31], v30, v[20:21]
	v_sub_nc_u32_e32 v31, 29, v73
	v_and_b32_e32 v30, 7, v30
; %bb.1491:                             ;   in Loop: Header=BB432_10 Depth=1
	s_or_b32 exec_lo, exec_lo, s22
	v_lshlrev_b32_e32 v20, 24, v74
	s_delay_alu instid0(VALU_DEP_2) | instskip(SKIP_1) | instid1(VALU_DEP_3)
	v_lshlrev_b32_e32 v30, 20, v30
	v_lshl_add_u32 v31, v31, 23, 0x3c000000
	v_and_b32_e32 v20, 0x80000000, v20
	s_delay_alu instid0(VALU_DEP_1)
	v_or3_b32 v20, v30, v20, v31
.LBB432_1492:                           ;   in Loop: Header=BB432_10 Depth=1
	s_or_b32 exec_lo, exec_lo, s21
.LBB432_1493:                           ;   in Loop: Header=BB432_10 Depth=1
	s_delay_alu instid0(SALU_CYCLE_1)
	s_or_b32 exec_lo, exec_lo, s20
.LBB432_1494:                           ;   in Loop: Header=BB432_10 Depth=1
	s_delay_alu instid0(SALU_CYCLE_1) | instskip(NEXT) | instid1(VALU_DEP_1)
	s_or_b32 exec_lo, exec_lo, s4
	v_mul_f32_e32 v20, v171, v20
	s_delay_alu instid0(VALU_DEP_1) | instskip(NEXT) | instid1(VALU_DEP_1)
	v_and_b32_e32 v30, 0x7f800000, v20
	v_cmp_ne_u32_e64 s3, 0x7f800000, v30
                                        ; implicit-def: $vgpr30
	s_delay_alu instid0(VALU_DEP_1) | instskip(NEXT) | instid1(SALU_CYCLE_1)
	s_and_saveexec_b32 s4, s3
	s_xor_b32 s3, exec_lo, s4
; %bb.1495:                             ;   in Loop: Header=BB432_10 Depth=1
	v_bfe_u32 v30, v20, 16, 1
	s_delay_alu instid0(VALU_DEP_1)
	v_add3_u32 v30, v20, v30, 0x7fff
                                        ; implicit-def: $vgpr20
; %bb.1496:                             ;   in Loop: Header=BB432_10 Depth=1
	s_and_not1_saveexec_b32 s4, s3
; %bb.1497:                             ;   in Loop: Header=BB432_10 Depth=1
	v_and_b32_e32 v30, 0xffff, v20
	v_or_b32_e32 v31, 0x10000, v20
	s_delay_alu instid0(VALU_DEP_2) | instskip(NEXT) | instid1(VALU_DEP_1)
	v_cmp_eq_u32_e64 s3, 0, v30
	v_cndmask_b32_e64 v30, v31, v20, s3
; %bb.1498:                             ;   in Loop: Header=BB432_10 Depth=1
	s_or_b32 exec_lo, exec_lo, s4
	flat_load_b32 v75, v[28:29] offset:3848
	v_mov_b32_e32 v20, 0
	s_mov_b32 s4, exec_lo
	s_waitcnt vmcnt(0) lgkmcnt(0)
	v_and_b32_e32 v28, 0xff, v75
	s_delay_alu instid0(VALU_DEP_1)
	v_cmpx_ne_u16_e32 0, v28
	s_cbranch_execz .LBB432_1506
; %bb.1499:                             ;   in Loop: Header=BB432_10 Depth=1
	v_bfrev_b32_e32 v20, 1
	s_mov_b32 s20, exec_lo
	v_cmpx_ne_u16_e32 0x80, v28
	s_cbranch_execz .LBB432_1505
; %bb.1500:                             ;   in Loop: Header=BB432_10 Depth=1
	v_and_b32_e32 v31, 0x7f, v75
	v_mov_b32_e32 v20, 0x7f800001
	s_mov_b32 s21, exec_lo
	s_delay_alu instid0(VALU_DEP_2)
	v_cmpx_ne_u32_e32 0x7f, v31
	s_cbranch_execz .LBB432_1504
; %bb.1501:                             ;   in Loop: Header=BB432_10 Depth=1
	v_and_b32_e32 v20, 7, v75
	v_mov_b32_e32 v29, v21
	v_lshrrev_b32_e32 v29, 3, v31
	s_mov_b32 s22, exec_lo
	s_delay_alu instid0(VALU_DEP_3)
	v_mov_b32_e32 v28, v20
	v_cmpx_gt_u32_e32 8, v31
; %bb.1502:                             ;   in Loop: Header=BB432_10 Depth=1
	v_clz_i32_u32_e32 v28, v20
	s_delay_alu instid0(VALU_DEP_1) | instskip(NEXT) | instid1(VALU_DEP_1)
	v_min_u32_e32 v31, 32, v28
	v_subrev_nc_u32_e32 v28, 28, v31
	s_delay_alu instid0(VALU_DEP_1) | instskip(SKIP_1) | instid1(VALU_DEP_2)
	v_lshlrev_b64 v[28:29], v28, v[20:21]
	v_sub_nc_u32_e32 v29, 29, v31
	v_and_b32_e32 v28, 7, v28
; %bb.1503:                             ;   in Loop: Header=BB432_10 Depth=1
	s_or_b32 exec_lo, exec_lo, s22
	v_lshlrev_b32_e32 v20, 24, v75
	s_delay_alu instid0(VALU_DEP_2) | instskip(SKIP_1) | instid1(VALU_DEP_3)
	v_lshlrev_b32_e32 v28, 20, v28
	v_lshl_add_u32 v29, v29, 23, 0x3c000000
	v_and_b32_e32 v20, 0x80000000, v20
	s_delay_alu instid0(VALU_DEP_1)
	v_or3_b32 v20, v28, v20, v29
.LBB432_1504:                           ;   in Loop: Header=BB432_10 Depth=1
	s_or_b32 exec_lo, exec_lo, s21
.LBB432_1505:                           ;   in Loop: Header=BB432_10 Depth=1
	s_delay_alu instid0(SALU_CYCLE_1)
	s_or_b32 exec_lo, exec_lo, s20
.LBB432_1506:                           ;   in Loop: Header=BB432_10 Depth=1
	s_delay_alu instid0(SALU_CYCLE_1) | instskip(NEXT) | instid1(VALU_DEP_1)
	s_or_b32 exec_lo, exec_lo, s4
	v_mul_f32_e32 v20, v171, v20
                                        ; implicit-def: $vgpr31
	s_delay_alu instid0(VALU_DEP_1) | instskip(NEXT) | instid1(VALU_DEP_1)
	v_and_b32_e32 v28, 0x7f800000, v20
	v_cmp_ne_u32_e64 s3, 0x7f800000, v28
	s_delay_alu instid0(VALU_DEP_1) | instskip(NEXT) | instid1(SALU_CYCLE_1)
	s_and_saveexec_b32 s4, s3
	s_xor_b32 s3, exec_lo, s4
; %bb.1507:                             ;   in Loop: Header=BB432_10 Depth=1
	v_bfe_u32 v28, v20, 16, 1
	s_delay_alu instid0(VALU_DEP_1)
	v_add3_u32 v31, v20, v28, 0x7fff
                                        ; implicit-def: $vgpr20
; %bb.1508:                             ;   in Loop: Header=BB432_10 Depth=1
	s_and_not1_saveexec_b32 s4, s3
; %bb.1509:                             ;   in Loop: Header=BB432_10 Depth=1
	v_and_b32_e32 v28, 0xffff, v20
	v_or_b32_e32 v29, 0x10000, v20
	s_delay_alu instid0(VALU_DEP_2) | instskip(NEXT) | instid1(VALU_DEP_1)
	v_cmp_eq_u32_e64 s3, 0, v28
	v_cndmask_b32_e64 v31, v29, v20, s3
; %bb.1510:                             ;   in Loop: Header=BB432_10 Depth=1
	s_or_b32 exec_lo, exec_lo, s4
	v_lshrrev_b16 v28, 8, v75
	v_mov_b32_e32 v20, 0
	s_mov_b32 s4, exec_lo
	s_delay_alu instid0(VALU_DEP_2)
	v_cmpx_ne_u16_e32 0, v28
	s_cbranch_execz .LBB432_1518
; %bb.1511:                             ;   in Loop: Header=BB432_10 Depth=1
	v_bfrev_b32_e32 v20, 1
	s_mov_b32 s20, exec_lo
	v_cmpx_ne_u16_e32 0x80, v28
	s_cbranch_execz .LBB432_1517
; %bb.1512:                             ;   in Loop: Header=BB432_10 Depth=1
	v_and_b32_e32 v28, 0xffff, v28
	v_mov_b32_e32 v20, 0x7f800001
	s_mov_b32 s21, exec_lo
	s_delay_alu instid0(VALU_DEP_2) | instskip(NEXT) | instid1(VALU_DEP_1)
	v_and_b32_e32 v73, 0x7f, v28
	v_cmpx_ne_u32_e32 0x7f, v73
	s_cbranch_execz .LBB432_1516
; %bb.1513:                             ;   in Loop: Header=BB432_10 Depth=1
	v_and_b32_e32 v20, 7, v28
	v_mov_b32_e32 v29, v21
	v_lshrrev_b32_e32 v29, 3, v73
	s_mov_b32 s22, exec_lo
	s_delay_alu instid0(VALU_DEP_3)
	v_mov_b32_e32 v28, v20
	v_cmpx_gt_u32_e32 8, v73
; %bb.1514:                             ;   in Loop: Header=BB432_10 Depth=1
	v_clz_i32_u32_e32 v28, v20
	s_delay_alu instid0(VALU_DEP_1) | instskip(NEXT) | instid1(VALU_DEP_1)
	v_min_u32_e32 v73, 32, v28
	v_subrev_nc_u32_e32 v28, 28, v73
	s_delay_alu instid0(VALU_DEP_1) | instskip(SKIP_1) | instid1(VALU_DEP_2)
	v_lshlrev_b64 v[28:29], v28, v[20:21]
	v_sub_nc_u32_e32 v29, 29, v73
	v_and_b32_e32 v28, 7, v28
; %bb.1515:                             ;   in Loop: Header=BB432_10 Depth=1
	s_or_b32 exec_lo, exec_lo, s22
	v_lshlrev_b32_e32 v20, 16, v75
	s_delay_alu instid0(VALU_DEP_2) | instskip(SKIP_1) | instid1(VALU_DEP_3)
	v_lshlrev_b32_e32 v28, 20, v28
	v_lshl_add_u32 v29, v29, 23, 0x3c000000
	v_and_b32_e32 v20, 0x80000000, v20
	s_delay_alu instid0(VALU_DEP_1)
	v_or3_b32 v20, v28, v20, v29
.LBB432_1516:                           ;   in Loop: Header=BB432_10 Depth=1
	s_or_b32 exec_lo, exec_lo, s21
.LBB432_1517:                           ;   in Loop: Header=BB432_10 Depth=1
	s_delay_alu instid0(SALU_CYCLE_1)
	s_or_b32 exec_lo, exec_lo, s20
.LBB432_1518:                           ;   in Loop: Header=BB432_10 Depth=1
	s_delay_alu instid0(SALU_CYCLE_1) | instskip(NEXT) | instid1(VALU_DEP_1)
	s_or_b32 exec_lo, exec_lo, s4
	v_mul_f32_e32 v20, v171, v20
                                        ; implicit-def: $vgpr73
	s_delay_alu instid0(VALU_DEP_1) | instskip(NEXT) | instid1(VALU_DEP_1)
	v_and_b32_e32 v28, 0x7f800000, v20
	v_cmp_ne_u32_e64 s3, 0x7f800000, v28
	s_delay_alu instid0(VALU_DEP_1) | instskip(NEXT) | instid1(SALU_CYCLE_1)
	s_and_saveexec_b32 s4, s3
	s_xor_b32 s3, exec_lo, s4
; %bb.1519:                             ;   in Loop: Header=BB432_10 Depth=1
	v_bfe_u32 v28, v20, 16, 1
	s_delay_alu instid0(VALU_DEP_1)
	v_add3_u32 v73, v20, v28, 0x7fff
                                        ; implicit-def: $vgpr20
; %bb.1520:                             ;   in Loop: Header=BB432_10 Depth=1
	s_and_not1_saveexec_b32 s4, s3
; %bb.1521:                             ;   in Loop: Header=BB432_10 Depth=1
	v_and_b32_e32 v28, 0xffff, v20
	v_or_b32_e32 v29, 0x10000, v20
	s_delay_alu instid0(VALU_DEP_2) | instskip(NEXT) | instid1(VALU_DEP_1)
	v_cmp_eq_u32_e64 s3, 0, v28
	v_cndmask_b32_e64 v73, v29, v20, s3
; %bb.1522:                             ;   in Loop: Header=BB432_10 Depth=1
	s_or_b32 exec_lo, exec_lo, s4
	v_lshrrev_b32_e32 v74, 16, v75
	v_mov_b32_e32 v20, 0
	s_mov_b32 s4, exec_lo
	s_delay_alu instid0(VALU_DEP_2) | instskip(NEXT) | instid1(VALU_DEP_1)
	v_and_b32_e32 v28, 0xff, v74
	v_cmpx_ne_u16_e32 0, v28
	s_cbranch_execz .LBB432_1530
; %bb.1523:                             ;   in Loop: Header=BB432_10 Depth=1
	v_bfrev_b32_e32 v20, 1
	s_mov_b32 s20, exec_lo
	v_cmpx_ne_u16_e32 0x80, v28
	s_cbranch_execz .LBB432_1529
; %bb.1524:                             ;   in Loop: Header=BB432_10 Depth=1
	v_bfe_u32 v76, v75, 16, 7
	v_mov_b32_e32 v20, 0x7f800001
	s_mov_b32 s21, exec_lo
	s_delay_alu instid0(VALU_DEP_2)
	v_cmpx_ne_u32_e32 0x7f, v76
	s_cbranch_execz .LBB432_1528
; %bb.1525:                             ;   in Loop: Header=BB432_10 Depth=1
	v_and_b32_e32 v20, 7, v74
	v_mov_b32_e32 v29, v21
	v_lshrrev_b32_e32 v29, 3, v76
	s_mov_b32 s22, exec_lo
	s_delay_alu instid0(VALU_DEP_3)
	v_mov_b32_e32 v28, v20
	v_cmpx_gt_u32_e32 8, v76
; %bb.1526:                             ;   in Loop: Header=BB432_10 Depth=1
	v_clz_i32_u32_e32 v28, v20
	s_delay_alu instid0(VALU_DEP_1) | instskip(NEXT) | instid1(VALU_DEP_1)
	v_min_u32_e32 v76, 32, v28
	v_subrev_nc_u32_e32 v28, 28, v76
	s_delay_alu instid0(VALU_DEP_1) | instskip(SKIP_1) | instid1(VALU_DEP_2)
	v_lshlrev_b64 v[28:29], v28, v[20:21]
	v_sub_nc_u32_e32 v29, 29, v76
	v_and_b32_e32 v28, 7, v28
; %bb.1527:                             ;   in Loop: Header=BB432_10 Depth=1
	s_or_b32 exec_lo, exec_lo, s22
	v_lshlrev_b32_e32 v20, 24, v74
	s_delay_alu instid0(VALU_DEP_2) | instskip(SKIP_1) | instid1(VALU_DEP_3)
	v_lshlrev_b32_e32 v28, 20, v28
	v_lshl_add_u32 v29, v29, 23, 0x3c000000
	v_and_b32_e32 v20, 0x80000000, v20
	s_delay_alu instid0(VALU_DEP_1)
	v_or3_b32 v20, v28, v20, v29
.LBB432_1528:                           ;   in Loop: Header=BB432_10 Depth=1
	s_or_b32 exec_lo, exec_lo, s21
.LBB432_1529:                           ;   in Loop: Header=BB432_10 Depth=1
	s_delay_alu instid0(SALU_CYCLE_1)
	s_or_b32 exec_lo, exec_lo, s20
.LBB432_1530:                           ;   in Loop: Header=BB432_10 Depth=1
	s_delay_alu instid0(SALU_CYCLE_1) | instskip(NEXT) | instid1(VALU_DEP_1)
	s_or_b32 exec_lo, exec_lo, s4
	v_mul_f32_e32 v20, v171, v20
                                        ; implicit-def: $vgpr74
	s_delay_alu instid0(VALU_DEP_1) | instskip(NEXT) | instid1(VALU_DEP_1)
	v_and_b32_e32 v28, 0x7f800000, v20
	v_cmp_ne_u32_e64 s3, 0x7f800000, v28
	s_delay_alu instid0(VALU_DEP_1) | instskip(NEXT) | instid1(SALU_CYCLE_1)
	s_and_saveexec_b32 s4, s3
	s_xor_b32 s3, exec_lo, s4
; %bb.1531:                             ;   in Loop: Header=BB432_10 Depth=1
	v_bfe_u32 v28, v20, 16, 1
	s_delay_alu instid0(VALU_DEP_1)
	v_add3_u32 v74, v20, v28, 0x7fff
                                        ; implicit-def: $vgpr20
; %bb.1532:                             ;   in Loop: Header=BB432_10 Depth=1
	s_and_not1_saveexec_b32 s4, s3
; %bb.1533:                             ;   in Loop: Header=BB432_10 Depth=1
	v_and_b32_e32 v28, 0xffff, v20
	v_or_b32_e32 v29, 0x10000, v20
	s_delay_alu instid0(VALU_DEP_2) | instskip(NEXT) | instid1(VALU_DEP_1)
	v_cmp_eq_u32_e64 s3, 0, v28
	v_cndmask_b32_e64 v74, v29, v20, s3
; %bb.1534:                             ;   in Loop: Header=BB432_10 Depth=1
	s_or_b32 exec_lo, exec_lo, s4
	v_mov_b32_e32 v20, 0
	s_mov_b32 s4, exec_lo
	v_cmpx_lt_u32_e32 0xffffff, v75
	s_cbranch_execz .LBB432_1542
; %bb.1535:                             ;   in Loop: Header=BB432_10 Depth=1
	v_lshrrev_b32_e32 v76, 24, v75
	v_bfrev_b32_e32 v20, 1
	s_mov_b32 s20, exec_lo
	s_delay_alu instid0(VALU_DEP_2)
	v_cmpx_ne_u32_e32 0x80, v76
	s_cbranch_execz .LBB432_1541
; %bb.1536:                             ;   in Loop: Header=BB432_10 Depth=1
	v_bfe_u32 v75, v75, 24, 7
	v_mov_b32_e32 v20, 0x7f800001
	s_mov_b32 s21, exec_lo
	s_delay_alu instid0(VALU_DEP_2)
	v_cmpx_ne_u32_e32 0x7f, v75
	s_cbranch_execz .LBB432_1540
; %bb.1537:                             ;   in Loop: Header=BB432_10 Depth=1
	v_and_b32_e32 v20, 7, v76
	v_mov_b32_e32 v29, v21
	v_lshrrev_b32_e32 v29, 3, v75
	s_mov_b32 s22, exec_lo
	s_delay_alu instid0(VALU_DEP_3)
	v_mov_b32_e32 v28, v20
	v_cmpx_gt_u32_e32 8, v75
; %bb.1538:                             ;   in Loop: Header=BB432_10 Depth=1
	v_clz_i32_u32_e32 v28, v20
	s_delay_alu instid0(VALU_DEP_1) | instskip(NEXT) | instid1(VALU_DEP_1)
	v_min_u32_e32 v75, 32, v28
	v_subrev_nc_u32_e32 v28, 28, v75
	s_delay_alu instid0(VALU_DEP_1) | instskip(SKIP_1) | instid1(VALU_DEP_2)
	v_lshlrev_b64 v[28:29], v28, v[20:21]
	v_sub_nc_u32_e32 v29, 29, v75
	v_and_b32_e32 v28, 7, v28
; %bb.1539:                             ;   in Loop: Header=BB432_10 Depth=1
	s_or_b32 exec_lo, exec_lo, s22
	v_lshlrev_b32_e32 v20, 24, v76
	s_delay_alu instid0(VALU_DEP_2) | instskip(SKIP_1) | instid1(VALU_DEP_3)
	v_lshlrev_b32_e32 v28, 20, v28
	v_lshl_add_u32 v29, v29, 23, 0x3c000000
	v_and_b32_e32 v20, 0x80000000, v20
	s_delay_alu instid0(VALU_DEP_1)
	v_or3_b32 v20, v28, v20, v29
.LBB432_1540:                           ;   in Loop: Header=BB432_10 Depth=1
	s_or_b32 exec_lo, exec_lo, s21
.LBB432_1541:                           ;   in Loop: Header=BB432_10 Depth=1
	s_delay_alu instid0(SALU_CYCLE_1)
	s_or_b32 exec_lo, exec_lo, s20
.LBB432_1542:                           ;   in Loop: Header=BB432_10 Depth=1
	s_delay_alu instid0(SALU_CYCLE_1) | instskip(NEXT) | instid1(VALU_DEP_1)
	s_or_b32 exec_lo, exec_lo, s4
	v_mul_f32_e32 v28, v171, v20
	s_delay_alu instid0(VALU_DEP_1) | instskip(NEXT) | instid1(VALU_DEP_1)
	v_and_b32_e32 v20, 0x7f800000, v28
	v_cmp_ne_u32_e64 s3, 0x7f800000, v20
                                        ; implicit-def: $vgpr20
	s_delay_alu instid0(VALU_DEP_1) | instskip(NEXT) | instid1(SALU_CYCLE_1)
	s_and_saveexec_b32 s4, s3
	s_xor_b32 s3, exec_lo, s4
; %bb.1543:                             ;   in Loop: Header=BB432_10 Depth=1
	v_bfe_u32 v20, v28, 16, 1
	s_delay_alu instid0(VALU_DEP_1)
	v_add3_u32 v20, v28, v20, 0x7fff
                                        ; implicit-def: $vgpr28
; %bb.1544:                             ;   in Loop: Header=BB432_10 Depth=1
	s_and_not1_saveexec_b32 s4, s3
; %bb.1545:                             ;   in Loop: Header=BB432_10 Depth=1
	v_and_b32_e32 v20, 0xffff, v28
	v_or_b32_e32 v29, 0x10000, v28
	s_delay_alu instid0(VALU_DEP_2) | instskip(NEXT) | instid1(VALU_DEP_1)
	v_cmp_eq_u32_e64 s3, 0, v20
	v_cndmask_b32_e64 v20, v29, v28, s3
; %bb.1546:                             ;   in Loop: Header=BB432_10 Depth=1
	s_or_b32 exec_lo, exec_lo, s4
	scratch_load_b32 v75, off, s32 offset:336 ; 4-byte Folded Reload
	v_and_b32_e32 v28, 0xffff0000, v175
	v_and_b32_e32 v29, 0xffff0000, v170
	;; [unrolled: 1-line block ×6, first 2 shown]
	s_clause 0x2
	scratch_load_b32 v76, off, s32 offset:340
	scratch_load_b32 v170, off, s32 offset:344
	;; [unrolled: 1-line block ×3, first 2 shown]
	v_and_b32_e32 v32, 0xffff0000, v32
	s_waitcnt vmcnt(3)
	v_dual_mul_f32 v28, v75, v28 :: v_dual_and_b32 v1, 0xffff0000, v1
	scratch_load_b32 v75, off, s32 offset:320 ; 4-byte Folded Reload
	s_waitcnt vmcnt(0)
	v_dual_fmac_f32 v28, v75, v29 :: v_dual_and_b32 v29, 0xffff0000, v184
	v_and_b32_e32 v75, 0xffff0000, v172
	s_delay_alu instid0(VALU_DEP_2) | instskip(SKIP_4) | instid1(VALU_DEP_1)
	v_mul_f32_e32 v29, v76, v29
	scratch_load_b32 v76, off, s32 offset:324 ; 4-byte Folded Reload
	s_waitcnt vmcnt(0)
	v_dual_fmac_f32 v29, v76, v75 :: v_dual_and_b32 v76, 0xffff0000, v173
	v_and_b32_e32 v75, 0xffff0000, v185
	v_mul_f32_e32 v170, v170, v75
	scratch_load_b32 v75, off, s32 offset:328 ; 4-byte Folded Reload
	s_waitcnt vmcnt(0)
	v_dual_fmac_f32 v170, v75, v76 :: v_dual_and_b32 v75, 0xffff0000, v186
	s_delay_alu instid0(VALU_DEP_1)
	v_dual_mul_f32 v171, v171, v75 :: v_dual_and_b32 v76, 0xffff0000, v174
	scratch_load_b32 v75, off, s32 offset:332 ; 4-byte Folded Reload
	s_waitcnt vmcnt(0)
	v_fmac_f32_e32 v171, v75, v76
	scratch_load_b32 v76, off, s32 offset:352 ; 4-byte Folded Reload
	v_and_b32_e32 v75, 0xffff0000, v187
	s_waitcnt vmcnt(0)
	s_delay_alu instid0(VALU_DEP_1) | instskip(SKIP_3) | instid1(VALU_DEP_1)
	v_fmac_f32_e32 v28, v76, v75
	scratch_load_b32 v76, off, s32 offset:356 ; 4-byte Folded Reload
	v_and_b32_e32 v75, 0xffff0000, v188
	s_waitcnt vmcnt(0)
	v_fmac_f32_e32 v29, v76, v75
	scratch_load_b32 v76, off, s32 offset:360 ; 4-byte Folded Reload
	v_and_b32_e32 v75, 0xffff0000, v189
	s_waitcnt vmcnt(0)
	s_delay_alu instid0(VALU_DEP_1)
	v_dual_fmac_f32 v170, v76, v75 :: v_dual_and_b32 v75, 0xffff0000, v190
	scratch_load_b32 v76, off, s32 offset:364 ; 4-byte Folded Reload
	s_waitcnt vmcnt(0)
	v_fmac_f32_e32 v171, v76, v75
	scratch_load_b32 v76, off, s32 offset:368 ; 4-byte Folded Reload
	v_and_b32_e32 v75, 0xffff0000, v191
	s_waitcnt vmcnt(0)
	s_delay_alu instid0(VALU_DEP_1)
	v_fmac_f32_e32 v28, v76, v75
	scratch_load_b32 v75, off, s32 offset:372 ; 4-byte Folded Reload
	s_waitcnt vmcnt(0)
	v_dual_fmac_f32 v29, v75, v32 :: v_dual_and_b32 v32, 0xffff0000, v34
	scratch_load_b32 v34, off, s32 offset:376 ; 4-byte Folded Reload
	s_waitcnt vmcnt(0)
	v_fmac_f32_e32 v170, v34, v32
	scratch_load_b32 v32, off, s32 offset:380 ; 4-byte Folded Reload
	s_waitcnt vmcnt(0)
	v_fmac_f32_e32 v171, v32, v5
	;; [unrolled: 3-line block ×3, first 2 shown]
	v_and_b32_e32 v4, 0xffff0000, v36
	scratch_load_b32 v5, off, s32 offset:388 ; 4-byte Folded Reload
	s_waitcnt vmcnt(0)
	v_dual_fmac_f32 v29, v5, v4 :: v_dual_and_b32 v4, 0xffff0000, v55
	scratch_load_b32 v5, off, s32 offset:392 ; 4-byte Folded Reload
	s_waitcnt vmcnt(0)
	v_fmac_f32_e32 v170, v5, v4
	scratch_load_b32 v5, off, s32 offset:396 ; 4-byte Folded Reload
	v_and_b32_e32 v4, 0xffff0000, v12
	s_waitcnt vmcnt(0)
	s_delay_alu instid0(VALU_DEP_1)
	v_dual_fmac_f32 v171, v5, v4 :: v_dual_and_b32 v4, 0xffff0000, v53
	scratch_load_b32 v5, off, s32 offset:400 ; 4-byte Folded Reload
	s_waitcnt vmcnt(0)
	v_fmac_f32_e32 v28, v5, v4
	scratch_load_b32 v5, off, s32 offset:404 ; 4-byte Folded Reload
	v_and_b32_e32 v4, 0xffff0000, v11
	s_waitcnt vmcnt(0)
	s_delay_alu instid0(VALU_DEP_1)
	;; [unrolled: 8-line block ×3, first 2 shown]
	v_dual_fmac_f32 v171, v5, v4 :: v_dual_and_b32 v4, 0xffff0000, v7
	scratch_load_b32 v5, off, s32 offset:416 ; 4-byte Folded Reload
	s_waitcnt vmcnt(0)
	v_fmac_f32_e32 v28, v5, v4
	scratch_load_b32 v4, off, s32 offset:420 ; 4-byte Folded Reload
	s_waitcnt vmcnt(0)
	v_dual_fmac_f32 v29, v4, v2 :: v_dual_and_b32 v2, 0xffff0000, v3
	scratch_load_b32 v3, off, s32 offset:424 ; 4-byte Folded Reload
	s_waitcnt vmcnt(0)
	v_fmac_f32_e32 v170, v3, v2
	scratch_load_b32 v3, off, s32 offset:428 ; 4-byte Folded Reload
	v_and_b32_e32 v2, 0xffff0000, v14
	s_waitcnt vmcnt(0)
	s_delay_alu instid0(VALU_DEP_1) | instskip(SKIP_3) | instid1(VALU_DEP_1)
	v_fmac_f32_e32 v171, v3, v2
	scratch_load_b32 v3, off, s32 offset:432 ; 4-byte Folded Reload
	v_and_b32_e32 v2, 0xffff0000, v15
	s_waitcnt vmcnt(0)
	v_fmac_f32_e32 v28, v3, v2
	scratch_load_b32 v3, off, s32 offset:436 ; 4-byte Folded Reload
	v_and_b32_e32 v2, 0xffff0000, v54
	s_waitcnt vmcnt(0)
	s_delay_alu instid0(VALU_DEP_1) | instskip(SKIP_3) | instid1(VALU_DEP_1)
	v_fmac_f32_e32 v29, v3, v2
	scratch_load_b32 v3, off, s32 offset:440 ; 4-byte Folded Reload
	v_and_b32_e32 v2, 0xffff0000, v33
	s_waitcnt vmcnt(0)
	v_fmac_f32_e32 v170, v3, v2
	scratch_load_b32 v3, off, s32 offset:444 ; 4-byte Folded Reload
	v_and_b32_e32 v2, 0xffff0000, v168
	s_waitcnt vmcnt(0)
	s_delay_alu instid0(VALU_DEP_1)
	v_fmac_f32_e32 v171, v3, v2
	scratch_load_b32 v2, off, s32 offset:448 ; 4-byte Folded Reload
	s_waitcnt vmcnt(0)
	v_fmac_f32_e32 v28, v2, v1
	scratch_load_b32 v1, off, s32 offset:452 ; 4-byte Folded Reload
	s_waitcnt vmcnt(0)
	v_fmac_f32_e32 v29, v1, v0
	scratch_load_b32 v1, off, s32 offset:456 ; 4-byte Folded Reload
	v_and_b32_e32 v0, 0xffff0000, v57
	s_waitcnt vmcnt(0)
	s_delay_alu instid0(VALU_DEP_1) | instskip(SKIP_3) | instid1(VALU_DEP_1)
	v_fmac_f32_e32 v170, v1, v0
	scratch_load_b32 v1, off, s32 offset:460 ; 4-byte Folded Reload
	v_and_b32_e32 v0, 0xffff0000, v23
	s_waitcnt vmcnt(0)
	v_fmac_f32_e32 v171, v1, v0
	scratch_load_b32 v1, off, s32 offset:464 ; 4-byte Folded Reload
	v_and_b32_e32 v0, 0xffff0000, v27
	s_waitcnt vmcnt(0)
	s_delay_alu instid0(VALU_DEP_1) | instskip(SKIP_3) | instid1(VALU_DEP_1)
	v_fmac_f32_e32 v28, v1, v0
	scratch_load_b32 v1, off, s32 offset:468 ; 4-byte Folded Reload
	v_and_b32_e32 v0, 0xffff0000, v26
	;; [unrolled: 9-line block ×8, first 2 shown]
	s_waitcnt vmcnt(0)
	v_dual_fmac_f32 v29, v1, v0 :: v_dual_and_b32 v0, 0xffff0000, v71
	scratch_load_b32 v1, off, s32 offset:520 ; 4-byte Folded Reload
	s_waitcnt vmcnt(0)
	v_fmac_f32_e32 v170, v1, v0
	scratch_load_b32 v1, off, s32 offset:524 ; 4-byte Folded Reload
	v_and_b32_e32 v0, 0xffff0000, v80
	s_waitcnt vmcnt(0)
	s_delay_alu instid0(VALU_DEP_1)
	v_dual_fmac_f32 v171, v1, v0 :: v_dual_and_b32 v0, 0xffff0000, v81
	scratch_load_b32 v1, off, s32 offset:528 ; 4-byte Folded Reload
	s_waitcnt vmcnt(0)
	v_fmac_f32_e32 v28, v1, v0
	scratch_load_b32 v1, off, s32 offset:532 ; 4-byte Folded Reload
	v_and_b32_e32 v0, 0xffff0000, v82
	s_waitcnt vmcnt(0)
	s_delay_alu instid0(VALU_DEP_1)
	;; [unrolled: 8-line block ×10, first 2 shown]
	v_dual_fmac_f32 v29, v1, v0 :: v_dual_and_b32 v0, 0xffff0000, v115
	scratch_load_b32 v1, off, s32 offset:600 ; 4-byte Folded Reload
	s_waitcnt vmcnt(0)
	v_fmac_f32_e32 v170, v1, v0
	scratch_load_b32 v1, off, s32 offset:608 ; 4-byte Folded Reload
	v_and_b32_e32 v0, 0xffff0000, v117
	s_waitcnt vmcnt(0)
	s_delay_alu instid0(VALU_DEP_1) | instskip(SKIP_3) | instid1(VALU_DEP_1)
	v_fmac_f32_e32 v28, v1, v0
	scratch_load_b32 v1, off, s32 offset:612 ; 4-byte Folded Reload
	v_and_b32_e32 v0, 0xffff0000, v118
	s_waitcnt vmcnt(0)
	v_fmac_f32_e32 v29, v1, v0
	scratch_load_b32 v1, off, s32 offset:604 ; 4-byte Folded Reload
	v_and_b32_e32 v0, 0xffff0000, v116
	s_waitcnt vmcnt(0)
	s_delay_alu instid0(VALU_DEP_1) | instskip(SKIP_3) | instid1(VALU_DEP_1)
	v_fmac_f32_e32 v171, v1, v0
	scratch_load_b32 v1, off, s32 offset:616 ; 4-byte Folded Reload
	v_and_b32_e32 v0, 0xffff0000, v119
	s_waitcnt vmcnt(0)
	v_fmac_f32_e32 v170, v1, v0
	v_and_b32_e32 v0, 0xffff0000, v129
	scratch_load_b32 v1, off, s32 offset:624 ; 4-byte Folded Reload
	s_waitcnt vmcnt(0)
	v_fmac_f32_e32 v28, v1, v0
	scratch_load_b32 v1, off, s32 offset:628 ; 4-byte Folded Reload
	v_and_b32_e32 v0, 0xffff0000, v130
	s_waitcnt vmcnt(0)
	s_delay_alu instid0(VALU_DEP_1) | instskip(SKIP_3) | instid1(VALU_DEP_1)
	v_fmac_f32_e32 v29, v1, v0
	scratch_load_b32 v1, off, s32 offset:620 ; 4-byte Folded Reload
	v_and_b32_e32 v0, 0xffff0000, v128
	s_waitcnt vmcnt(0)
	v_fmac_f32_e32 v171, v1, v0
	scratch_load_b32 v1, off, s32 offset:632 ; 4-byte Folded Reload
	v_and_b32_e32 v0, 0xffff0000, v131
	s_waitcnt vmcnt(0)
	s_delay_alu instid0(VALU_DEP_1)
	v_fmac_f32_e32 v170, v1, v0
	v_and_b32_e32 v0, 0xffff0000, v133
	scratch_load_b32 v1, off, s32 offset:640 ; 4-byte Folded Reload
	s_waitcnt vmcnt(0)
	v_fmac_f32_e32 v28, v1, v0
	scratch_load_b32 v1, off, s32 offset:644 ; 4-byte Folded Reload
	v_and_b32_e32 v0, 0xffff0000, v134
	s_waitcnt vmcnt(0)
	s_delay_alu instid0(VALU_DEP_1) | instskip(SKIP_3) | instid1(VALU_DEP_1)
	v_fmac_f32_e32 v29, v1, v0
	scratch_load_b32 v1, off, s32 offset:636 ; 4-byte Folded Reload
	v_and_b32_e32 v0, 0xffff0000, v132
	s_waitcnt vmcnt(0)
	v_fmac_f32_e32 v171, v1, v0
	scratch_load_b32 v1, off, s32 offset:648 ; 4-byte Folded Reload
	v_and_b32_e32 v0, 0xffff0000, v135
	s_waitcnt vmcnt(0)
	s_delay_alu instid0(VALU_DEP_1)
	v_fmac_f32_e32 v170, v1, v0
	v_and_b32_e32 v0, 0xffff0000, v145
	scratch_load_b32 v1, off, s32 offset:656 ; 4-byte Folded Reload
	s_waitcnt vmcnt(0)
	v_fmac_f32_e32 v28, v1, v0
	scratch_load_b32 v1, off, s32 offset:660 ; 4-byte Folded Reload
	v_and_b32_e32 v0, 0xffff0000, v146
	s_waitcnt vmcnt(0)
	s_delay_alu instid0(VALU_DEP_1) | instskip(SKIP_3) | instid1(VALU_DEP_1)
	v_fmac_f32_e32 v29, v1, v0
	scratch_load_b32 v1, off, s32 offset:652 ; 4-byte Folded Reload
	v_and_b32_e32 v0, 0xffff0000, v144
	s_waitcnt vmcnt(0)
	v_fmac_f32_e32 v171, v1, v0
	scratch_load_b32 v1, off, s32 offset:664 ; 4-byte Folded Reload
	v_and_b32_e32 v0, 0xffff0000, v147
	s_waitcnt vmcnt(0)
	s_delay_alu instid0(VALU_DEP_1)
	v_fmac_f32_e32 v170, v1, v0
	v_and_b32_e32 v0, 0xffff0000, v149
	scratch_load_b32 v1, off, s32 offset:672 ; 4-byte Folded Reload
	s_waitcnt vmcnt(0)
	v_fmac_f32_e32 v28, v1, v0
	scratch_load_b32 v1, off, s32 offset:676 ; 4-byte Folded Reload
	v_and_b32_e32 v0, 0xffff0000, v150
	s_waitcnt vmcnt(0)
	s_delay_alu instid0(VALU_DEP_1) | instskip(SKIP_3) | instid1(VALU_DEP_1)
	v_fmac_f32_e32 v29, v1, v0
	scratch_load_b32 v1, off, s32 offset:668 ; 4-byte Folded Reload
	v_and_b32_e32 v0, 0xffff0000, v148
	s_waitcnt vmcnt(0)
	v_dual_fmac_f32 v171, v1, v0 :: v_dual_and_b32 v0, 0xffff0000, v151
	v_and_b32_e32 v1, 0xffff0000, v20
	s_delay_alu instid0(VALU_DEP_2) | instskip(SKIP_1) | instid1(VALU_DEP_1)
	v_fmac_f32_e32 v170, v77, v0
	v_and_b32_e32 v0, 0xffff0000, v161
	v_fmac_f32_e32 v28, v79, v0
	v_and_b32_e32 v0, 0xffff0000, v162
	s_delay_alu instid0(VALU_DEP_1) | instskip(SKIP_1) | instid1(VALU_DEP_1)
	v_fmac_f32_e32 v29, v88, v0
	v_and_b32_e32 v0, 0xffff0000, v160
	v_dual_fmac_f32 v171, v78, v0 :: v_dual_and_b32 v0, 0xffff0000, v163
	s_delay_alu instid0(VALU_DEP_1) | instskip(SKIP_1) | instid1(VALU_DEP_1)
	v_fmac_f32_e32 v170, v89, v0
	v_and_b32_e32 v0, 0xffff0000, v165
	v_fmac_f32_e32 v28, v91, v0
	v_and_b32_e32 v0, 0xffff0000, v166
	s_delay_alu instid0(VALU_DEP_1) | instskip(SKIP_1) | instid1(VALU_DEP_1)
	v_fmac_f32_e32 v29, v92, v0
	v_and_b32_e32 v0, 0xffff0000, v164
	v_dual_fmac_f32 v171, v90, v0 :: v_dual_and_b32 v0, 0xffff0000, v167
	s_delay_alu instid0(VALU_DEP_1) | instskip(SKIP_1) | instid1(VALU_DEP_1)
	;; [unrolled: 9-line block ×6, first 2 shown]
	v_fmac_f32_e32 v170, v125, v0
	v_and_b32_e32 v0, 0xffff0000, v58
	v_fmac_f32_e32 v28, v127, v0
	v_and_b32_e32 v0, 0xffff0000, v59
	s_delay_alu instid0(VALU_DEP_1) | instskip(SKIP_1) | instid1(VALU_DEP_1)
	v_fmac_f32_e32 v29, v136, v0
	v_and_b32_e32 v0, 0xffff0000, v56
	v_fmac_f32_e32 v171, v126, v0
	v_and_b32_e32 v0, 0xffff0000, v60
	s_delay_alu instid0(VALU_DEP_1) | instskip(SKIP_1) | instid1(VALU_DEP_1)
	v_fmac_f32_e32 v170, v137, v0
	v_and_b32_e32 v0, 0xffff0000, v62
	v_fmac_f32_e32 v28, v139, v0
	v_and_b32_e32 v0, 0xffff0000, v63
	s_delay_alu instid0(VALU_DEP_1) | instskip(NEXT) | instid1(VALU_DEP_1)
	v_dual_fmac_f32 v29, v140, v0 :: v_dual_and_b32 v0, 0xffff0000, v61
	v_fmac_f32_e32 v171, v138, v0
	v_and_b32_e32 v0, 0xffff0000, v72
	s_delay_alu instid0(VALU_DEP_1) | instskip(SKIP_1) | instid1(VALU_DEP_1)
	v_fmac_f32_e32 v170, v141, v0
	v_and_b32_e32 v0, 0xffff0000, v31
	v_fmac_f32_e32 v28, v143, v0
	v_and_b32_e32 v0, 0xffff0000, v73
	s_delay_alu instid0(VALU_DEP_1) | instskip(NEXT) | instid1(VALU_DEP_1)
	v_dual_fmac_f32 v29, v152, v0 :: v_dual_and_b32 v0, 0xffff0000, v30
	v_dual_fmac_f32 v171, v142, v0 :: v_dual_and_b32 v0, 0xffff0000, v74
	s_delay_alu instid0(VALU_DEP_1) | instskip(NEXT) | instid1(VALU_DEP_3)
	v_dual_fmac_f32 v171, v154, v1 :: v_dual_fmac_f32 v170, v153, v0
	v_add_f32_e32 v0, v28, v29
	s_delay_alu instid0(VALU_DEP_1) | instskip(NEXT) | instid1(VALU_DEP_1)
	v_add_f32_e32 v0, v0, v170
	v_add_f32_e32 v0, v171, v0
	ds_bpermute_b32 v1, v156, v0
	s_and_saveexec_b32 s4, vcc_lo
	s_cbranch_execz .LBB432_9
; %bb.1547:                             ;   in Loop: Header=BB432_10 Depth=1
	v_sub_nc_u32_e32 v2, 1, v35
	s_load_b32 s20, s[8:9], 0x0
	s_waitcnt lgkmcnt(0)
	v_add_f32_e32 v0, v0, v1
	v_cmp_lt_i32_e64 s3, v157, v35
	v_add_nc_u32_e32 v2, v2, v157
	s_delay_alu instid0(VALU_DEP_1) | instskip(NEXT) | instid1(VALU_DEP_1)
	v_cvt_f32_i32_e32 v2, v2
	v_mul_f32_e32 v2, v39, v2
	s_delay_alu instid0(VALU_DEP_1) | instskip(NEXT) | instid1(VALU_DEP_1)
	v_cndmask_b32_e64 v1, 0, v2, s2
	v_dual_max_f32 v2, v155, v155 :: v_dual_fmac_f32 v1, v0, v13
	s_delay_alu instid0(VALU_DEP_1) | instskip(SKIP_2) | instid1(VALU_DEP_3)
	v_max_f32_e32 v0, v2, v1
	v_add_nc_u32_e32 v2, s20, v158
	v_cndmask_b32_e64 v1, 0, v1, s3
	v_cndmask_b32_e64 v155, v155, v0, s3
	ds_store_b32 v2, v1
	s_branch .LBB432_9
.LBB432_1548:
	s_or_b32 exec_lo, exec_lo, s17
	s_clause 0xd
	scratch_load_b32 v15, off, s32 offset:704
	scratch_load_b32 v14, off, s32 offset:708
	scratch_load_b64 v[26:27], off, s32 offset:712
	scratch_load_b32 v11, off, s32 offset:720
	scratch_load_b32 v10, off, s32 offset:724
	;; [unrolled: 1-line block ×8, first 2 shown]
	scratch_load_b64 v[53:54], off, s32 offset:752
	scratch_load_b32 v36, off, s32 offset:760
	scratch_load_b32 v55, off, s32 offset:764
	v_mov_b32_e32 v12, 32
.LBB432_1549:
	s_or_b32 exec_lo, exec_lo, s15
	s_clause 0x1
	scratch_load_b32 v13, off, s32 offset:680
	scratch_load_b32 v6, off, s32 offset:684
	v_xor_b32_e32 v0, 16, v38
	s_waitcnt lgkmcnt(0)
	v_xor_b32_e32 v1, 8, v38
	s_lshr_b32 s8, s19, 16
	v_max_f32_e32 v2, v155, v155
	v_cmp_lt_i32_e32 vcc_lo, v0, v12
	v_cndmask_b32_e32 v0, v38, v0, vcc_lo
	v_cmp_lt_i32_e32 vcc_lo, v1, v12
	s_delay_alu instid0(VALU_DEP_2) | instskip(SKIP_3) | instid1(VALU_DEP_1)
	v_lshlrev_b32_e32 v3, 2, v0
	ds_bpermute_b32 v0, v3, v155
	s_waitcnt lgkmcnt(0)
	v_dual_cndmask_b32 v1, v38, v1 :: v_dual_max_f32 v0, v0, v0
	v_lshlrev_b32_e32 v4, 2, v1
	s_delay_alu instid0(VALU_DEP_2) | instskip(SKIP_1) | instid1(VALU_DEP_1)
	v_max_f32_e32 v0, v2, v0
	v_xor_b32_e32 v2, 4, v38
	v_cmp_lt_i32_e32 vcc_lo, v2, v12
	v_cndmask_b32_e32 v2, v38, v2, vcc_lo
	s_delay_alu instid0(VALU_DEP_1) | instskip(SKIP_2) | instid1(VALU_DEP_1)
	v_lshlrev_b32_e32 v5, 2, v2
	ds_bpermute_b32 v1, v4, v0
	v_xor_b32_e32 v2, 2, v38
	v_cmp_lt_i32_e32 vcc_lo, v2, v12
	v_cndmask_b32_e32 v2, v38, v2, vcc_lo
	s_waitcnt lgkmcnt(0)
	s_delay_alu instid0(VALU_DEP_1) | instskip(NEXT) | instid1(VALU_DEP_1)
	v_dual_max_f32 v1, v1, v1 :: v_dual_lshlrev_b32 v2, 2, v2
	v_max_f32_e32 v0, v0, v1
	ds_bpermute_b32 v1, v5, v0
	s_waitcnt lgkmcnt(0)
	v_max_f32_e32 v1, v1, v1
	s_delay_alu instid0(VALU_DEP_1)
	v_max_f32_e32 v0, v0, v1
	ds_bpermute_b32 v1, v2, v0
	s_waitcnt vmcnt(1)
	v_and_b32_e32 v18, 31, v13
	s_waitcnt vmcnt(0)
	v_lshlrev_b32_e32 v6, 2, v6
	s_delay_alu instid0(VALU_DEP_2)
	v_cmp_eq_u32_e32 vcc_lo, 0, v18
	s_and_saveexec_b32 s2, vcc_lo
	s_cbranch_execz .LBB432_1551
; %bb.1550:
	s_waitcnt lgkmcnt(0)
	v_dual_max_f32 v1, v1, v1 :: v_dual_max_f32 v0, v0, v0
	s_delay_alu instid0(VALU_DEP_1)
	v_max_f32_e32 v0, v0, v1
	ds_store_b32 v6, v0 offset:512
.LBB432_1551:
	s_or_b32 exec_lo, exec_lo, s2
	v_cmp_gt_u32_e64 s2, 4, v18
	v_dual_mov_b32 v0, 0xff7fffff :: v_dual_lshlrev_b32 v7, 2, v18
	s_waitcnt lgkmcnt(0)
	s_waitcnt_vscnt null, 0x0
	s_barrier
	buffer_gl0_inv
	s_and_saveexec_b32 s3, s2
	s_cbranch_execz .LBB432_1553
; %bb.1552:
	ds_load_b32 v0, v7 offset:512
.LBB432_1553:
	s_or_b32 exec_lo, exec_lo, s3
	s_waitcnt lgkmcnt(0)
	ds_bpermute_b32 v1, v2, v0
	v_xor_b32_e32 v8, 1, v38
	v_max_f32_e32 v0, v0, v0
	v_subrev_nc_u32_e32 v9, s13, v37
	s_delay_alu instid0(VALU_DEP_3) | instskip(NEXT) | instid1(VALU_DEP_1)
	v_cmp_lt_i32_e64 s3, v8, v12
	v_cndmask_b32_e64 v8, v38, v8, s3
	s_waitcnt lgkmcnt(0)
	v_max_f32_e32 v1, v1, v1
	s_delay_alu instid0(VALU_DEP_2) | instskip(SKIP_1) | instid1(VALU_DEP_3)
	v_lshlrev_b32_e32 v19, 2, v8
	v_lshlrev_b32_e32 v8, 2, v38
	v_max_f32_e32 v0, v0, v1
	s_delay_alu instid0(VALU_DEP_2) | instskip(SKIP_3) | instid1(VALU_DEP_1)
	v_and_b32_e32 v8, 0xffffff80, v8
	ds_bpermute_b32 v1, v19, v0
	s_waitcnt lgkmcnt(0)
	v_max_f32_e32 v1, v1, v1
	v_max_f32_e32 v0, v0, v1
	v_lshl_add_u32 v1, v9, 4, s18
	v_mov_b32_e32 v9, 0
	ds_bpermute_b32 v0, v8, v0
	v_min_i32_e32 v1, v1, v35
	s_delay_alu instid0(VALU_DEP_1) | instskip(NEXT) | instid1(VALU_DEP_1)
	v_subrev_nc_u32_e32 v1, s18, v1
	v_cmp_lt_i32_e64 s3, v13, v1
	s_delay_alu instid0(VALU_DEP_1)
	s_and_saveexec_b32 s9, s3
	s_cbranch_execz .LBB432_1557
; %bb.1554:
	s_getpc_b64 s[20:21]
	s_add_u32 s20, s20, llvm.amdgcn.dynlds.offset.table@rel32@lo+4
	s_addc_u32 s21, s21, llvm.amdgcn.dynlds.offset.table@rel32@hi+12
	s_ashr_i32 s17, s16, 31
	v_dual_mov_b32 v9, 0 :: v_dual_mov_b32 v20, v13
	s_lshl_b64 s[22:23], s[16:17], 2
	s_mov_b32 s13, 0
	s_add_u32 s20, s22, s20
	s_addc_u32 s21, s23, s21
	s_load_b32 s4, s[20:21], 0x0
	s_waitcnt lgkmcnt(0)
	v_lshl_add_u32 v21, v13, 2, s4
	.p2align	6
.LBB432_1555:                           ; =>This Inner Loop Header: Depth=1
	ds_load_b32 v12, v21
	v_add_nc_u32_e32 v20, 0x80, v20
	s_delay_alu instid0(VALU_DEP_1) | instskip(NEXT) | instid1(VALU_DEP_1)
	v_cmp_ge_i32_e64 s4, v20, v1
	s_or_b32 s13, s4, s13
	s_waitcnt lgkmcnt(0)
	v_sub_f32_e32 v12, v12, v0
	s_delay_alu instid0(VALU_DEP_1) | instskip(NEXT) | instid1(VALU_DEP_1)
	v_mul_f32_e32 v12, 0x3fb8aa3b, v12
	v_exp_f32_e32 v12, v12
	ds_store_b32 v21, v12
	v_add_nc_u32_e32 v21, 0x200, v21
	v_add_f32_e32 v9, v9, v12
	s_and_not1_b32 exec_lo, exec_lo, s13
	s_cbranch_execnz .LBB432_1555
; %bb.1556:
	s_or_b32 exec_lo, exec_lo, s13
.LBB432_1557:
	s_delay_alu instid0(SALU_CYCLE_1)
	s_or_b32 exec_lo, exec_lo, s9
	ds_bpermute_b32 v3, v3, v9
	s_waitcnt lgkmcnt(0)
	v_add_f32_e32 v3, v9, v3
	ds_bpermute_b32 v4, v4, v3
	s_waitcnt lgkmcnt(0)
	v_add_f32_e32 v3, v3, v4
	ds_bpermute_b32 v4, v5, v3
	s_waitcnt lgkmcnt(0)
	v_add_f32_e32 v3, v3, v4
	ds_bpermute_b32 v4, v2, v3
	s_waitcnt lgkmcnt(0)
	v_add_f32_e32 v3, v3, v4
	ds_bpermute_b32 v4, v19, v3
	s_waitcnt lgkmcnt(0)
	v_add_f32_e32 v3, v3, v4
	s_and_saveexec_b32 s4, vcc_lo
	s_cbranch_execz .LBB432_1559
; %bb.1558:
	ds_store_b32 v6, v3 offset:528
.LBB432_1559:
	s_or_b32 exec_lo, exec_lo, s4
	s_waitcnt lgkmcnt(0)
	s_barrier
	buffer_gl0_inv
	s_and_saveexec_b32 s4, s2
	s_cbranch_execz .LBB432_1561
; %bb.1560:
	ds_load_b32 v3, v7 offset:528
.LBB432_1561:
	s_or_b32 exec_lo, exec_lo, s4
	s_waitcnt lgkmcnt(0)
	ds_bpermute_b32 v2, v2, v3
	s_waitcnt lgkmcnt(0)
	v_add_f32_e32 v2, v3, v2
	ds_bpermute_b32 v3, v19, v2
	s_waitcnt lgkmcnt(0)
	v_add_f32_e32 v2, v2, v3
	ds_bpermute_b32 v2, v8, v2
	s_and_saveexec_b32 s2, s3
	s_cbranch_execz .LBB432_1564
; %bb.1562:
	s_waitcnt lgkmcnt(0)
	v_add_f32_e32 v4, 0x358637bd, v2
	s_getpc_b64 s[20:21]
	s_add_u32 s20, s20, llvm.amdgcn.dynlds.offset.table@rel32@lo+4
	s_addc_u32 s21, s21, llvm.amdgcn.dynlds.offset.table@rel32@hi+12
	s_ashr_i32 s17, s16, 31
	s_delay_alu instid0(SALU_CYCLE_1) | instskip(SKIP_4) | instid1(VALU_DEP_1)
	s_lshl_b64 s[22:23], s[16:17], 2
	v_div_scale_f32 v3, null, v4, v4, 1.0
	s_add_u32 s20, s22, s20
	s_addc_u32 s21, s23, s21
	s_load_b32 s3, s[20:21], 0x0
	v_rcp_f32_e32 v5, v3
	s_waitcnt_depctr 0xfff
	v_fma_f32 v6, -v3, v5, 1.0
	s_delay_alu instid0(VALU_DEP_1) | instskip(SKIP_1) | instid1(VALU_DEP_1)
	v_fmac_f32_e32 v5, v6, v5
	v_div_scale_f32 v7, vcc_lo, 1.0, v4, 1.0
	v_mul_f32_e32 v6, v7, v5
	s_delay_alu instid0(VALU_DEP_1) | instskip(NEXT) | instid1(VALU_DEP_1)
	v_fma_f32 v8, -v3, v6, v7
	v_fmac_f32_e32 v6, v8, v5
	s_delay_alu instid0(VALU_DEP_1) | instskip(NEXT) | instid1(VALU_DEP_1)
	v_fma_f32 v3, -v3, v6, v7
	v_div_fmas_f32 v5, v3, v5, v6
	s_waitcnt lgkmcnt(0)
	v_lshl_add_u32 v3, v13, 2, s3
	s_mov_b32 s3, 0
	s_delay_alu instid0(VALU_DEP_2)
	v_div_fixup_f32 v4, v5, v4, 1.0
	v_mov_b32_e32 v5, v13
.LBB432_1563:                           ; =>This Inner Loop Header: Depth=1
	ds_load_b32 v6, v3
	s_waitcnt lgkmcnt(0)
	v_dual_mul_f32 v6, v4, v6 :: v_dual_add_nc_u32 v5, 0x80, v5
	s_delay_alu instid0(VALU_DEP_1) | instskip(SKIP_3) | instid1(SALU_CYCLE_1)
	v_cmp_ge_i32_e32 vcc_lo, v5, v1
	ds_store_b32 v3, v6
	v_add_nc_u32_e32 v3, 0x200, v3
	s_or_b32 s3, vcc_lo, s3
	s_and_not1_b32 exec_lo, exec_lo, s3
	s_cbranch_execnz .LBB432_1563
.LBB432_1564:
	s_or_b32 exec_lo, exec_lo, s2
	v_cmp_ne_u16_e64 s2, s8, 0
	s_waitcnt lgkmcnt(0)
	s_barrier
	buffer_gl0_inv
	s_cmp_lg_u32 s2, 0
	s_mov_b32 s2, exec_lo
	s_addc_u32 s4, s11, 0
	v_cmpx_eq_u32_e32 0, v13
	s_cbranch_execz .LBB432_1566
; %bb.1565:
	s_mul_i32 s3, s4, s6
	s_mul_i32 s8, s4, s12
	;; [unrolled: 1-line block ×3, first 2 shown]
	s_ashr_i32 s9, s8, 31
	s_ashr_i32 s15, s14, 31
	;; [unrolled: 1-line block ×3, first 2 shown]
	s_lshl_b64 s[8:9], s[8:9], 2
	s_lshl_b64 s[20:21], s[14:15], 2
	;; [unrolled: 1-line block ×3, first 2 shown]
	s_add_u32 s3, s20, s8
	s_addc_u32 s8, s21, s9
	s_add_u32 s3, s3, s12
	s_addc_u32 s8, s8, s13
	v_add_co_u32 v3, vcc_lo, s3, v32
	v_add_co_ci_u32_e32 v4, vcc_lo, s8, v30, vcc_lo
	v_add_co_u32 v5, vcc_lo, s3, v29
	v_add_co_ci_u32_e32 v6, vcc_lo, s8, v28, vcc_lo
	flat_store_b32 v[3:4], v0
	flat_store_b32 v[5:6], v2
.LBB432_1566:
	s_or_b32 exec_lo, exec_lo, s2
                                        ; implicit-def: $sgpr2
	s_and_saveexec_b32 s3, s1
	s_delay_alu instid0(SALU_CYCLE_1)
	s_xor_b32 s1, exec_lo, s3
; %bb.1567:
	s_ashr_i32 s17, s16, 31
	s_mov_b32 s2, 0
                                        ; implicit-def: $vgpr35
                                        ; implicit-def: $vgpr34
                                        ; implicit-def: $vgpr37
                                        ; implicit-def: $vgpr16
                                        ; implicit-def: $vgpr10
                                        ; implicit-def: $vgpr11
                                        ; implicit-def: $vgpr14
                                        ; implicit-def: $vgpr15
                                        ; implicit-def: $vgpr22
                                        ; implicit-def: $vgpr26_vgpr27
                                        ; implicit-def: $vgpr36
                                        ; implicit-def: $vgpr55
                                        ; implicit-def: $vgpr53_vgpr54
                                        ; implicit-def: $vgpr33
; %bb.1568:
	s_or_saveexec_b32 s8, s1
	v_dual_mov_b32 v0, s16 :: v_dual_mov_b32 v51, s2
	v_dual_mov_b32 v50, s2 :: v_dual_mov_b32 v1, s17
	;; [unrolled: 1-line block ×9, first 2 shown]
	s_xor_b32 exec_lo, exec_lo, s8
	s_cbranch_execz .LBB432_3684
; %bb.1569:
	v_add_co_u32 v3, vcc_lo, v10, v36
	v_dual_mov_b32 v10, 0 :: v_dual_and_b32 v5, 0xf8, v33
	v_add_co_ci_u32_e32 v4, vcc_lo, v11, v55, vcc_lo
	flat_load_b32 v26, v[26:27]
	v_add_co_u32 v11, vcc_lo, v3, v5
	s_clause 0x1
	scratch_load_b32 v3, off, s32 offset:688
	scratch_load_b32 v5, off, s32 offset:684
	s_getpc_b64 s[2:3]
	s_add_u32 s2, s2, llvm.amdgcn.dynlds.offset.table@rel32@lo+4
	s_addc_u32 s3, s3, llvm.amdgcn.dynlds.offset.table@rel32@hi+12
	s_ashr_i32 s17, s16, 31
	v_lshlrev_b64 v[0:1], 2, v[16:17]
	s_lshl_b64 s[12:13], s[16:17], 2
	v_add_co_ci_u32_e32 v12, vcc_lo, 0, v4, vcc_lo
	s_add_u32 s2, s12, s2
	s_addc_u32 s3, s13, s3
	s_delay_alu instid0(VALU_DEP_2) | instskip(SKIP_3) | instid1(VALU_DEP_3)
	v_add_co_u32 v0, vcc_lo, v53, v0
	s_load_b32 s1, s[2:3], 0x0
	v_dual_mov_b32 v21, 0 :: v_dual_and_b32 v2, 8, v33
	v_add_co_ci_u32_e32 v1, vcc_lo, v54, v1, vcc_lo
	v_add_co_u32 v13, vcc_lo, v14, v0
	v_dual_mov_b32 v20, 0 :: v_dual_add_nc_u32 v27, -1, v34
	s_delay_alu instid0(VALU_DEP_3)
	v_add_co_ci_u32_e32 v14, vcc_lo, v15, v1, vcc_lo
	v_dual_mov_b32 v23, 0 :: v_dual_mov_b32 v30, 0
	v_dual_mov_b32 v25, 0 :: v_dual_mov_b32 v38, 0
	;; [unrolled: 1-line block ×5, first 2 shown]
	v_mov_b32_e32 v49, 0
	v_mov_b32_e32 v51, 0
	s_mov_b32 s2, -1
	s_mov_b32 s3, 0xffffff
	s_mov_b32 s9, 0
	v_mov_b32_e32 v24, 0
	s_waitcnt vmcnt(1)
	v_dual_mov_b32 v28, 0 :: v_dual_lshlrev_b32 v3, 5, v3
	s_waitcnt vmcnt(0)
	v_lshl_add_u32 v4, v5, 4, s18
	s_delay_alu instid0(VALU_DEP_2) | instskip(NEXT) | instid1(VALU_DEP_2)
	v_lshl_or_b32 v3, v5, 6, v3
	v_add3_u32 v15, v4, v2, 7
	s_waitcnt lgkmcnt(0)
	s_delay_alu instid0(VALU_DEP_2)
	v_add_nc_u32_e32 v17, s1, v3
	s_branch .LBB432_1571
.LBB432_1570:                           ;   in Loop: Header=BB432_1571 Depth=1
	s_or_b32 exec_lo, exec_lo, s1
	v_and_b32_e32 v81, 0xffff0000, v152
	v_and_b32_e32 v82, 0xffff0000, v143
	;; [unrolled: 1-line block ×6, first 2 shown]
	v_dual_add_f32 v81, v82, v81 :: v_dual_and_b32 v82, 0xffff0000, v136
	v_and_b32_e32 v7, 0xffff0000, v7
	v_and_b32_e32 v80, 0xffff0000, v141
	;; [unrolled: 1-line block ×6, first 2 shown]
	s_delay_alu instid0(VALU_DEP_4) | instskip(NEXT) | instid1(VALU_DEP_4)
	v_dual_add_f32 v6, v6, v7 :: v_dual_and_b32 v77, 0xffff0000, v77
	v_add_f32_e32 v7, v80, v71
	v_and_b32_e32 v97, 0xffff0000, v88
	v_and_b32_e32 v5, 0xffff0000, v5
	;; [unrolled: 1-line block ×4, first 2 shown]
	v_dual_add_f32 v6, v6, v7 :: v_dual_and_b32 v7, 0xffff0000, v138
	v_and_b32_e32 v80, 0xffff0000, v154
	v_and_b32_e32 v32, 0xffff0000, v32
	;; [unrolled: 1-line block ×3, first 2 shown]
	s_delay_alu instid0(VALU_DEP_4)
	v_add_f32_e32 v6, v6, v81
	v_and_b32_e32 v81, 0xffff0000, v125
	v_and_b32_e32 v71, 0xffff0000, v153
	v_dual_add_f32 v7, v84, v7 :: v_dual_and_b32 v84, 0xffff0000, v121
	v_and_b32_e32 v53, 0xffff0000, v53
	v_and_b32_e32 v8, 0xffff0000, v8
	s_delay_alu instid0(VALU_DEP_4) | instskip(SKIP_3) | instid1(VALU_DEP_4)
	v_dual_add_f32 v71, v71, v80 :: v_dual_and_b32 v80, 0xffff0000, v126
	v_and_b32_e32 v3, 0xffff0000, v3
	v_and_b32_e32 v1, 0xffff0000, v1
	;; [unrolled: 1-line block ×3, first 2 shown]
	v_add_f32_e32 v6, v6, v71
	v_dual_add_f32 v80, v81, v80 :: v_dual_add_f32 v81, v83, v82
	v_and_b32_e32 v82, 0xffff0000, v120
	v_and_b32_e32 v83, 0xffff0000, v110
	;; [unrolled: 1-line block ×4, first 2 shown]
	v_dual_add_f32 v80, v80, v81 :: v_dual_and_b32 v81, 0xffff0000, v122
	s_delay_alu instid0(VALU_DEP_4) | instskip(NEXT) | instid1(VALU_DEP_2)
	v_dual_add_f32 v83, v87, v83 :: v_dual_add_f32 v82, v96, v82
	v_dual_add_f32 v7, v80, v7 :: v_dual_add_nc_u32 v16, 4, v16
	s_delay_alu instid0(VALU_DEP_3) | instskip(NEXT) | instid1(VALU_DEP_3)
	v_dual_add_f32 v81, v84, v81 :: v_dual_and_b32 v84, 0xffff0000, v95
	v_add_f32_e32 v82, v83, v82
	v_add_f32_e32 v80, v85, v86
	;; [unrolled: 1-line block ×3, first 2 shown]
	v_cmp_ge_i32_e32 vcc_lo, v16, v37
	v_add_co_u32 v13, s1, v13, 16
	v_add_f32_e32 v71, v82, v81
	v_and_b32_e32 v81, 0xffff0000, v106
	v_and_b32_e32 v82, 0xffff0000, v105
	v_dual_add_f32 v7, v7, v80 :: v_dual_and_b32 v98, 0xffff0000, v78
	v_add_co_ci_u32_e64 v14, s1, 0, v14, s1
	s_delay_alu instid0(VALU_DEP_3)
	v_add_f32_e32 v81, v82, v81
	v_and_b32_e32 v85, 0xffff0000, v123
	v_and_b32_e32 v82, 0xffff0000, v91
	;; [unrolled: 1-line block ×3, first 2 shown]
	v_add_f32_e32 v23, v23, v7
	v_add_nc_u32_e32 v15, 64, v15
	v_add_nc_u32_e32 v17, 0x100, v17
	s_or_b32 s9, vcc_lo, s9
	v_dual_add_f32 v80, v85, v83 :: v_dual_and_b32 v85, 0xffff0000, v94
	v_and_b32_e32 v86, 0xffff0000, v93
	v_dual_add_f32 v4, v4, v5 :: v_dual_and_b32 v83, 0xffff0000, v104
	s_delay_alu instid0(VALU_DEP_3) | instskip(SKIP_1) | instid1(VALU_DEP_4)
	v_add_f32_e32 v71, v71, v80
	v_dual_add_f32 v5, v32, v34 :: v_dual_and_b32 v32, 0xffff0000, v36
	v_dual_add_f32 v85, v86, v85 :: v_dual_add_f32 v86, v77, v98
	v_and_b32_e32 v78, 0xffff0000, v79
	v_dual_add_f32 v83, v84, v83 :: v_dual_and_b32 v96, 0xffff0000, v108
	v_add_f32_e32 v24, v24, v71
	v_and_b32_e32 v36, 0xffff0000, v149
	s_delay_alu instid0(VALU_DEP_4) | instskip(NEXT) | instid1(VALU_DEP_4)
	v_dual_add_f32 v97, v78, v97 :: v_dual_and_b32 v84, 0xffff0000, v90
	v_dual_add_f32 v83, v85, v83 :: v_dual_add_f32 v4, v4, v5
	s_delay_alu instid0(VALU_DEP_2) | instskip(SKIP_2) | instid1(VALU_DEP_4)
	v_dual_add_f32 v85, v86, v97 :: v_dual_and_b32 v34, 0xffff0000, v147
	v_and_b32_e32 v98, 0xffff0000, v89
	v_and_b32_e32 v86, 0xffff0000, v92
	v_add_f32_e32 v80, v83, v81
	v_add_f32_e32 v8, v8, v53
	;; [unrolled: 1-line block ×5, first 2 shown]
	v_dual_add_f32 v1, v2, v3 :: v_dual_and_b32 v86, 0xffff0000, v76
	s_delay_alu instid0(VALU_DEP_3) | instskip(NEXT) | instid1(VALU_DEP_2)
	v_add_f32_e32 v83, v85, v84
	v_dual_add_f32 v0, v0, v1 :: v_dual_and_b32 v85, 0xffff0000, v75
	v_and_b32_e32 v55, 0xffff0000, v55
	s_delay_alu instid0(VALU_DEP_3) | instskip(SKIP_2) | instid1(VALU_DEP_4)
	v_add_f32_e32 v7, v83, v82
	v_and_b32_e32 v83, 0xffff0000, v63
	v_and_b32_e32 v87, 0xffff0000, v107
	v_dual_add_f32 v53, v54, v55 :: v_dual_and_b32 v54, 0xffff0000, v68
	s_delay_alu instid0(VALU_DEP_2) | instskip(SKIP_1) | instid1(VALU_DEP_3)
	v_add_f32_e32 v81, v87, v96
	v_and_b32_e32 v87, 0xffff0000, v45
	v_add_f32_e32 v3, v8, v53
	s_delay_alu instid0(VALU_DEP_3) | instskip(SKIP_3) | instid1(VALU_DEP_3)
	v_add_f32_e32 v6, v80, v81
	v_and_b32_e32 v80, 0xffff0000, v72
	v_dual_add_f32 v28, v28, v7 :: v_dual_and_b32 v71, 0xffff0000, v74
	v_and_b32_e32 v81, 0xffff0000, v62
	v_dual_add_f32 v25, v25, v6 :: v_dual_add_f32 v80, v83, v80
	v_and_b32_e32 v83, 0xffff0000, v46
	s_delay_alu instid0(VALU_DEP_1) | instskip(NEXT) | instid1(VALU_DEP_1)
	v_dual_add_f32 v83, v87, v83 :: v_dual_and_b32 v84, 0xffff0000, v73
	v_dual_add_f32 v71, v84, v71 :: v_dual_and_b32 v82, 0xffff0000, v61
	v_and_b32_e32 v84, 0xffff0000, v57
	s_delay_alu instid0(VALU_DEP_2) | instskip(NEXT) | instid1(VALU_DEP_1)
	v_add_f32_e32 v81, v82, v81
	v_add_f32_e32 v80, v81, v80
	v_and_b32_e32 v82, 0xffff0000, v56
	v_and_b32_e32 v81, 0xffff0000, v58
	;; [unrolled: 1-line block ×3, first 2 shown]
	s_delay_alu instid0(VALU_DEP_4) | instskip(NEXT) | instid1(VALU_DEP_3)
	v_add_f32_e32 v71, v80, v71
	v_add_f32_e32 v81, v84, v81
	s_delay_alu instid0(VALU_DEP_3) | instskip(SKIP_1) | instid1(VALU_DEP_2)
	v_add_f32_e32 v82, v96, v82
	v_and_b32_e32 v84, 0xffff0000, v176
	v_add_f32_e32 v82, v83, v82
	v_dual_add_f32 v80, v85, v86 :: v_dual_and_b32 v85, 0xffff0000, v59
	v_and_b32_e32 v83, 0xffff0000, v60
	s_delay_alu instid0(VALU_DEP_2) | instskip(NEXT) | instid1(VALU_DEP_2)
	v_dual_add_f32 v7, v82, v81 :: v_dual_add_f32 v6, v71, v80
	v_dual_add_f32 v71, v85, v83 :: v_dual_and_b32 v80, 0xffff0000, v40
	v_and_b32_e32 v82, 0xffff0000, v181
	v_and_b32_e32 v81, 0xffff0000, v182
	s_delay_alu instid0(VALU_DEP_3) | instskip(SKIP_1) | instid1(VALU_DEP_3)
	v_dual_add_f32 v29, v29, v6 :: v_dual_add_f32 v6, v7, v71
	v_and_b32_e32 v7, 0xffff0000, v42
	v_dual_add_f32 v71, v82, v81 :: v_dual_and_b32 v82, 0xffff0000, v44
	s_delay_alu instid0(VALU_DEP_3) | instskip(SKIP_1) | instid1(VALU_DEP_2)
	v_dual_add_f32 v30, v30, v6 :: v_dual_and_b32 v81, 0xffff0000, v41
	v_and_b32_e32 v6, 0xffff0000, v43
	v_add_f32_e32 v7, v81, v7
	s_delay_alu instid0(VALU_DEP_2) | instskip(SKIP_2) | instid1(VALU_DEP_2)
	v_dual_add_f32 v6, v6, v82 :: v_dual_and_b32 v81, 0xffff0000, v167
	v_and_b32_e32 v83, 0xffff0000, v183
	v_and_b32_e32 v82, 0xffff0000, v180
	v_dual_add_f32 v80, v83, v80 :: v_dual_and_b32 v83, 0xffff0000, v166
	s_delay_alu instid0(VALU_DEP_1) | instskip(NEXT) | instid1(VALU_DEP_1)
	v_dual_add_f32 v71, v71, v80 :: v_dual_and_b32 v80, 0xffff0000, v177
	v_add_f32_e32 v7, v71, v7
	s_delay_alu instid0(VALU_DEP_2) | instskip(SKIP_1) | instid1(VALU_DEP_3)
	v_dual_add_f32 v71, v83, v81 :: v_dual_add_f32 v80, v84, v80
	v_and_b32_e32 v81, 0xffff0000, v178
	v_add_f32_e32 v6, v7, v6
	s_delay_alu instid0(VALU_DEP_3) | instskip(NEXT) | instid1(VALU_DEP_3)
	v_add_f32_e32 v71, v71, v80
	v_dual_add_f32 v33, v81, v33 :: v_dual_and_b32 v80, 0xffff0000, v131
	v_and_b32_e32 v7, 0xffff0000, v179
	s_delay_alu instid0(VALU_DEP_4) | instskip(SKIP_1) | instid1(VALU_DEP_4)
	v_add_f32_e32 v31, v31, v6
	v_and_b32_e32 v81, 0xffff0000, v133
	v_add_f32_e32 v33, v71, v33
	s_delay_alu instid0(VALU_DEP_4) | instskip(NEXT) | instid1(VALU_DEP_1)
	v_add_f32_e32 v7, v7, v82
	v_add_f32_e32 v6, v33, v7
	v_and_b32_e32 v71, 0xffff0000, v163
	s_delay_alu instid0(VALU_DEP_2) | instskip(NEXT) | instid1(VALU_DEP_2)
	v_dual_add_f32 v38, v38, v6 :: v_dual_and_b32 v33, 0xffff0000, v148
	v_dual_add_f32 v5, v32, v71 :: v_dual_and_b32 v32, 0xffff0000, v150
	s_delay_alu instid0(VALU_DEP_2) | instskip(NEXT) | instid1(VALU_DEP_2)
	v_dual_add_f32 v33, v34, v33 :: v_dual_and_b32 v34, 0xffff0000, v151
	v_add_f32_e32 v32, v36, v32
	v_and_b32_e32 v36, 0xffff0000, v161
	s_delay_alu instid0(VALU_DEP_4) | instskip(NEXT) | instid1(VALU_DEP_1)
	v_dual_add_f32 v4, v4, v5 :: v_dual_and_b32 v5, 0xffff0000, v160
	v_dual_add_f32 v5, v34, v5 :: v_dual_and_b32 v34, 0xffff0000, v132
	s_delay_alu instid0(VALU_DEP_4) | instskip(NEXT) | instid1(VALU_DEP_1)
	v_dual_add_f32 v32, v33, v32 :: v_dual_and_b32 v33, 0xffff0000, v134
	v_add_f32_e32 v5, v32, v5
	s_delay_alu instid0(VALU_DEP_2) | instskip(NEXT) | instid1(VALU_DEP_1)
	v_dual_add_f32 v34, v80, v34 :: v_dual_add_f32 v33, v81, v33
	v_dual_add_f32 v6, v34, v33 :: v_dual_and_b32 v7, 0xffff0000, v164
	v_and_b32_e32 v71, 0xffff0000, v165
	v_and_b32_e32 v33, 0xffff0000, v115
	s_delay_alu instid0(VALU_DEP_2) | instskip(NEXT) | instid1(VALU_DEP_1)
	v_dual_add_f32 v7, v7, v71 :: v_dual_and_b32 v34, 0xffff0000, v117
	v_add_f32_e32 v4, v4, v7
	s_delay_alu instid0(VALU_DEP_1) | instskip(SKIP_1) | instid1(VALU_DEP_1)
	v_dual_add_f32 v39, v39, v4 :: v_dual_and_b32 v4, 0xffff0000, v145
	v_and_b32_e32 v71, 0xffff0000, v162
	v_add_f32_e32 v32, v36, v71
	v_and_b32_e32 v36, 0xffff0000, v144
	s_delay_alu instid0(VALU_DEP_2) | instskip(SKIP_1) | instid1(VALU_DEP_2)
	v_add_f32_e32 v5, v5, v32
	v_and_b32_e32 v32, 0xffff0000, v116
	v_add_f32_e32 v48, v48, v5
	s_delay_alu instid0(VALU_DEP_2) | instskip(SKIP_1) | instid1(VALU_DEP_1)
	v_dual_add_f32 v32, v33, v32 :: v_dual_and_b32 v33, 0xffff0000, v102
	v_and_b32_e32 v80, 0xffff0000, v101
	v_add_f32_e32 v33, v80, v33
	v_and_b32_e32 v71, 0xffff0000, v135
	s_delay_alu instid0(VALU_DEP_1) | instskip(SKIP_1) | instid1(VALU_DEP_2)
	v_dual_add_f32 v7, v71, v36 :: v_dual_and_b32 v36, 0xffff0000, v119
	v_and_b32_e32 v71, 0xffff0000, v99
	v_dual_add_f32 v6, v6, v7 :: v_dual_and_b32 v7, 0xffff0000, v118
	s_delay_alu instid0(VALU_DEP_1) | instskip(NEXT) | instid1(VALU_DEP_1)
	v_dual_add_f32 v7, v34, v7 :: v_dual_and_b32 v34, 0xffff0000, v100
	v_dual_add_f32 v7, v32, v7 :: v_dual_and_b32 v32, 0xffff0000, v112
	s_delay_alu instid0(VALU_DEP_2) | instskip(NEXT) | instid1(VALU_DEP_1)
	v_dual_add_f32 v34, v71, v34 :: v_dual_and_b32 v71, 0xffff0000, v103
	v_dual_add_f32 v32, v71, v32 :: v_dual_and_b32 v5, 0xffff0000, v146
	s_delay_alu instid0(VALU_DEP_1) | instskip(NEXT) | instid1(VALU_DEP_1)
	v_dual_add_f32 v4, v4, v5 :: v_dual_and_b32 v5, 0xffff0000, v128
	v_dual_add_f32 v4, v6, v4 :: v_dual_add_f32 v5, v36, v5
	v_and_b32_e32 v36, 0xffff0000, v130
	v_add_f32_e32 v6, v34, v33
	v_and_b32_e32 v34, 0xffff0000, v114
	s_delay_alu instid0(VALU_DEP_4)
	v_dual_add_f32 v49, v49, v4 :: v_dual_and_b32 v2, 0xffff0000, v9
	v_add_f32_e32 v5, v7, v5
	v_and_b32_e32 v33, 0xffff0000, v113
	v_dual_add_f32 v6, v6, v32 :: v_dual_and_b32 v81, 0xffff0000, v129
	v_and_b32_e32 v32, 0xffff0000, v65
	v_and_b32_e32 v9, 0xffff0000, v69
	v_add_f32_e32 v1, v2, v54
	s_delay_alu instid0(VALU_DEP_4) | instskip(SKIP_2) | instid1(VALU_DEP_4)
	v_add_f32_e32 v7, v81, v36
	v_and_b32_e32 v36, 0xffff0000, v64
	v_and_b32_e32 v64, 0xffff0000, v66
	v_add_f32_e32 v0, v0, v1
	s_delay_alu instid0(VALU_DEP_3) | instskip(NEXT) | instid1(VALU_DEP_1)
	v_add_f32_e32 v8, v36, v32
	v_dual_add_f32 v3, v3, v8 :: v_dual_and_b32 v2, 0xffff0000, v70
	s_delay_alu instid0(VALU_DEP_1) | instskip(SKIP_3) | instid1(VALU_DEP_4)
	v_add_f32_e32 v1, v9, v2
	v_and_b32_e32 v65, 0xffff0000, v67
	v_add_f32_e32 v2, v5, v7
	v_add_f32_e32 v32, v33, v34
	;; [unrolled: 1-line block ×3, first 2 shown]
	s_delay_alu instid0(VALU_DEP_3) | instskip(NEXT) | instid1(VALU_DEP_3)
	v_dual_add_f32 v8, v64, v65 :: v_dual_add_f32 v51, v51, v2
	v_add_f32_e32 v4, v6, v32
	s_delay_alu instid0(VALU_DEP_3) | instskip(NEXT) | instid1(VALU_DEP_3)
	v_add_f32_e32 v20, v20, v0
	v_add_f32_e32 v3, v3, v8
	s_delay_alu instid0(VALU_DEP_3) | instskip(NEXT) | instid1(VALU_DEP_2)
	v_add_f32_e32 v52, v52, v4
	v_add_f32_e32 v50, v50, v3
	s_and_not1_b32 exec_lo, exec_lo, s9
	s_cbranch_execz .LBB432_3683
.LBB432_1571:                           ; =>This Inner Loop Header: Depth=1
	flat_load_b32 v55, v[13:14]
	ds_load_2addr_b64 v[6:9], v17 offset1:1
	ds_load_2addr_b64 v[0:3], v17 offset0:2 offset1:3
	s_mov_b32 s1, exec_lo
                                        ; implicit-def: $vgpr54
	s_waitcnt lgkmcnt(1)
	v_and_b32_e32 v4, 0x7f800000, v6
	s_delay_alu instid0(VALU_DEP_1)
	v_cmpx_ne_u32_e32 0x7f800000, v4
	s_xor_b32 s1, exec_lo, s1
; %bb.1572:                             ;   in Loop: Header=BB432_1571 Depth=1
	v_bfe_u32 v4, v6, 16, 1
	s_delay_alu instid0(VALU_DEP_1)
	v_add3_u32 v54, v6, v4, 0x7fff
; %bb.1573:                             ;   in Loop: Header=BB432_1571 Depth=1
	s_and_not1_saveexec_b32 s1, s1
; %bb.1574:                             ;   in Loop: Header=BB432_1571 Depth=1
	v_and_b32_e32 v4, 0xffff, v6
	v_or_b32_e32 v5, 0x10000, v6
	s_delay_alu instid0(VALU_DEP_2) | instskip(NEXT) | instid1(VALU_DEP_2)
	v_cmp_eq_u32_e32 vcc_lo, 0, v4
	v_cndmask_b32_e32 v54, v5, v6, vcc_lo
; %bb.1575:                             ;   in Loop: Header=BB432_1571 Depth=1
	s_or_b32 exec_lo, exec_lo, s1
	v_and_b32_e32 v4, 0x7f800000, v7
	s_mov_b32 s1, exec_lo
                                        ; implicit-def: $vgpr53
	s_delay_alu instid0(VALU_DEP_1)
	v_cmpx_ne_u32_e32 0x7f800000, v4
	s_xor_b32 s1, exec_lo, s1
; %bb.1576:                             ;   in Loop: Header=BB432_1571 Depth=1
	v_bfe_u32 v4, v7, 16, 1
	s_delay_alu instid0(VALU_DEP_1)
	v_add3_u32 v53, v7, v4, 0x7fff
; %bb.1577:                             ;   in Loop: Header=BB432_1571 Depth=1
	s_and_not1_saveexec_b32 s1, s1
; %bb.1578:                             ;   in Loop: Header=BB432_1571 Depth=1
	v_and_b32_e32 v4, 0xffff, v7
	v_or_b32_e32 v5, 0x10000, v7
	s_delay_alu instid0(VALU_DEP_2) | instskip(NEXT) | instid1(VALU_DEP_2)
	v_cmp_eq_u32_e32 vcc_lo, 0, v4
	v_cndmask_b32_e32 v53, v5, v7, vcc_lo
; %bb.1579:                             ;   in Loop: Header=BB432_1571 Depth=1
	s_or_b32 exec_lo, exec_lo, s1
	v_and_b32_e32 v4, 0x7f800000, v8
	s_mov_b32 s1, exec_lo
                                        ; implicit-def: $vgpr36
	s_delay_alu instid0(VALU_DEP_1)
	v_cmpx_ne_u32_e32 0x7f800000, v4
	s_xor_b32 s1, exec_lo, s1
; %bb.1580:                             ;   in Loop: Header=BB432_1571 Depth=1
	v_bfe_u32 v4, v8, 16, 1
	s_delay_alu instid0(VALU_DEP_1)
	v_add3_u32 v36, v8, v4, 0x7fff
; %bb.1581:                             ;   in Loop: Header=BB432_1571 Depth=1
	s_and_not1_saveexec_b32 s1, s1
; %bb.1582:                             ;   in Loop: Header=BB432_1571 Depth=1
	v_and_b32_e32 v4, 0xffff, v8
	v_or_b32_e32 v5, 0x10000, v8
	s_delay_alu instid0(VALU_DEP_2) | instskip(NEXT) | instid1(VALU_DEP_2)
	v_cmp_eq_u32_e32 vcc_lo, 0, v4
	v_cndmask_b32_e32 v36, v5, v8, vcc_lo
; %bb.1583:                             ;   in Loop: Header=BB432_1571 Depth=1
	s_or_b32 exec_lo, exec_lo, s1
	v_and_b32_e32 v4, 0x7f800000, v9
	s_mov_b32 s1, exec_lo
                                        ; implicit-def: $vgpr34
	s_delay_alu instid0(VALU_DEP_1)
	v_cmpx_ne_u32_e32 0x7f800000, v4
	s_xor_b32 s1, exec_lo, s1
; %bb.1584:                             ;   in Loop: Header=BB432_1571 Depth=1
	v_bfe_u32 v4, v9, 16, 1
	s_delay_alu instid0(VALU_DEP_1)
	v_add3_u32 v34, v9, v4, 0x7fff
                                        ; implicit-def: $vgpr6_vgpr7_vgpr8_vgpr9
; %bb.1585:                             ;   in Loop: Header=BB432_1571 Depth=1
	s_and_not1_saveexec_b32 s1, s1
; %bb.1586:                             ;   in Loop: Header=BB432_1571 Depth=1
	v_and_b32_e32 v4, 0xffff, v9
	v_or_b32_e32 v5, 0x10000, v9
	s_delay_alu instid0(VALU_DEP_2) | instskip(NEXT) | instid1(VALU_DEP_2)
	v_cmp_eq_u32_e32 vcc_lo, 0, v4
	v_cndmask_b32_e32 v34, v5, v9, vcc_lo
; %bb.1587:                             ;   in Loop: Header=BB432_1571 Depth=1
	s_or_b32 exec_lo, exec_lo, s1
	s_waitcnt lgkmcnt(0)
	v_and_b32_e32 v4, 0x7f800000, v0
	s_mov_b32 s1, exec_lo
                                        ; implicit-def: $vgpr33
	s_delay_alu instid0(VALU_DEP_1)
	v_cmpx_ne_u32_e32 0x7f800000, v4
	s_xor_b32 s1, exec_lo, s1
; %bb.1588:                             ;   in Loop: Header=BB432_1571 Depth=1
	v_bfe_u32 v4, v0, 16, 1
	s_delay_alu instid0(VALU_DEP_1)
	v_add3_u32 v33, v0, v4, 0x7fff
; %bb.1589:                             ;   in Loop: Header=BB432_1571 Depth=1
	s_and_not1_saveexec_b32 s1, s1
; %bb.1590:                             ;   in Loop: Header=BB432_1571 Depth=1
	v_and_b32_e32 v4, 0xffff, v0
	v_or_b32_e32 v5, 0x10000, v0
	s_delay_alu instid0(VALU_DEP_2) | instskip(NEXT) | instid1(VALU_DEP_2)
	v_cmp_eq_u32_e32 vcc_lo, 0, v4
	v_cndmask_b32_e32 v33, v5, v0, vcc_lo
; %bb.1591:                             ;   in Loop: Header=BB432_1571 Depth=1
	s_or_b32 exec_lo, exec_lo, s1
	v_and_b32_e32 v0, 0x7f800000, v1
	s_mov_b32 s1, exec_lo
                                        ; implicit-def: $vgpr32
	s_delay_alu instid0(VALU_DEP_1)
	v_cmpx_ne_u32_e32 0x7f800000, v0
	s_xor_b32 s1, exec_lo, s1
; %bb.1592:                             ;   in Loop: Header=BB432_1571 Depth=1
	v_bfe_u32 v0, v1, 16, 1
	s_delay_alu instid0(VALU_DEP_1)
	v_add3_u32 v32, v1, v0, 0x7fff
; %bb.1593:                             ;   in Loop: Header=BB432_1571 Depth=1
	s_and_not1_saveexec_b32 s1, s1
; %bb.1594:                             ;   in Loop: Header=BB432_1571 Depth=1
	v_and_b32_e32 v0, 0xffff, v1
	v_or_b32_e32 v4, 0x10000, v1
	s_delay_alu instid0(VALU_DEP_2) | instskip(NEXT) | instid1(VALU_DEP_2)
	v_cmp_eq_u32_e32 vcc_lo, 0, v0
	v_cndmask_b32_e32 v32, v4, v1, vcc_lo
; %bb.1595:                             ;   in Loop: Header=BB432_1571 Depth=1
	s_or_b32 exec_lo, exec_lo, s1
	v_and_b32_e32 v0, 0x7f800000, v2
	s_mov_b32 s1, exec_lo
                                        ; implicit-def: $vgpr5
	s_delay_alu instid0(VALU_DEP_1)
	v_cmpx_ne_u32_e32 0x7f800000, v0
	s_xor_b32 s1, exec_lo, s1
; %bb.1596:                             ;   in Loop: Header=BB432_1571 Depth=1
	v_bfe_u32 v0, v2, 16, 1
	s_delay_alu instid0(VALU_DEP_1)
	v_add3_u32 v5, v2, v0, 0x7fff
; %bb.1597:                             ;   in Loop: Header=BB432_1571 Depth=1
	s_and_not1_saveexec_b32 s1, s1
; %bb.1598:                             ;   in Loop: Header=BB432_1571 Depth=1
	v_and_b32_e32 v0, 0xffff, v2
	v_or_b32_e32 v1, 0x10000, v2
	s_delay_alu instid0(VALU_DEP_2) | instskip(NEXT) | instid1(VALU_DEP_2)
	v_cmp_eq_u32_e32 vcc_lo, 0, v0
	v_cndmask_b32_e32 v5, v1, v2, vcc_lo
; %bb.1599:                             ;   in Loop: Header=BB432_1571 Depth=1
	s_or_b32 exec_lo, exec_lo, s1
	v_and_b32_e32 v0, 0x7f800000, v3
	s_mov_b32 s1, exec_lo
                                        ; implicit-def: $vgpr4
	s_delay_alu instid0(VALU_DEP_1)
	v_cmpx_ne_u32_e32 0x7f800000, v0
	s_xor_b32 s1, exec_lo, s1
; %bb.1600:                             ;   in Loop: Header=BB432_1571 Depth=1
	v_bfe_u32 v0, v3, 16, 1
	s_delay_alu instid0(VALU_DEP_1)
	v_add3_u32 v4, v3, v0, 0x7fff
                                        ; implicit-def: $vgpr0_vgpr1_vgpr2_vgpr3
; %bb.1601:                             ;   in Loop: Header=BB432_1571 Depth=1
	s_and_not1_saveexec_b32 s1, s1
; %bb.1602:                             ;   in Loop: Header=BB432_1571 Depth=1
	v_and_b32_e32 v0, 0xffff, v3
	v_or_b32_e32 v1, 0x10000, v3
	s_delay_alu instid0(VALU_DEP_2) | instskip(NEXT) | instid1(VALU_DEP_2)
	v_cmp_eq_u32_e32 vcc_lo, 0, v0
	v_cndmask_b32_e32 v4, v1, v3, vcc_lo
; %bb.1603:                             ;   in Loop: Header=BB432_1571 Depth=1
	s_or_b32 exec_lo, exec_lo, s1
	s_waitcnt vmcnt(0)
	v_mad_i64_i32 v[0:1], null, v55, v22, v[11:12]
	s_mov_b32 s1, exec_lo
	v_mov_b32_e32 v6, 0
	flat_load_b64 v[2:3], v[0:1]
	s_waitcnt vmcnt(0) lgkmcnt(0)
	v_and_b32_e32 v7, 0xff, v2
	s_delay_alu instid0(VALU_DEP_1)
	v_cmpx_ne_u16_e32 0, v7
	s_cbranch_execz .LBB432_1611
; %bb.1604:                             ;   in Loop: Header=BB432_1571 Depth=1
	v_bfrev_b32_e32 v6, 1
	s_mov_b32 s11, exec_lo
	v_cmpx_ne_u16_e32 0x80, v7
	s_cbranch_execz .LBB432_1610
; %bb.1605:                             ;   in Loop: Header=BB432_1571 Depth=1
	v_and_b32_e32 v7, 0x7f, v2
	v_mov_b32_e32 v6, 0x7f800001
	s_mov_b32 s12, exec_lo
	s_delay_alu instid0(VALU_DEP_2)
	v_cmpx_ne_u32_e32 0x7f, v7
	s_cbranch_execz .LBB432_1609
; %bb.1606:                             ;   in Loop: Header=BB432_1571 Depth=1
	v_lshrrev_b32_e32 v8, 3, v7
	v_cmp_gt_u32_e32 vcc_lo, 8, v7
	v_dual_mov_b32 v7, v3 :: v_dual_mov_b32 v6, v2
	s_and_saveexec_b32 s13, vcc_lo
; %bb.1607:                             ;   in Loop: Header=BB432_1571 Depth=1
	v_and_b32_e32 v6, 7, v2
	s_delay_alu instid0(VALU_DEP_1) | instskip(NEXT) | instid1(VALU_DEP_1)
	v_clz_i32_u32_e32 v6, v6
	v_min_u32_e32 v8, 32, v6
	s_delay_alu instid0(VALU_DEP_1) | instskip(SKIP_1) | instid1(VALU_DEP_2)
	v_subrev_nc_u32_e32 v6, 28, v8
	v_sub_nc_u32_e32 v8, 29, v8
	v_lshlrev_b64 v[6:7], v6, v[2:3]
; %bb.1608:                             ;   in Loop: Header=BB432_1571 Depth=1
	s_or_b32 exec_lo, exec_lo, s13
	s_delay_alu instid0(VALU_DEP_1) | instskip(SKIP_2) | instid1(VALU_DEP_3)
	v_lshlrev_b32_e32 v6, 20, v6
	v_lshlrev_b32_e32 v7, 24, v2
	v_lshl_add_u32 v8, v8, 23, 0x3c000000
	v_and_b32_e32 v6, 0x700000, v6
	s_delay_alu instid0(VALU_DEP_3) | instskip(NEXT) | instid1(VALU_DEP_1)
	v_and_b32_e32 v7, 0x80000000, v7
	v_or3_b32 v6, v6, v7, v8
.LBB432_1609:                           ;   in Loop: Header=BB432_1571 Depth=1
	s_or_b32 exec_lo, exec_lo, s12
.LBB432_1610:                           ;   in Loop: Header=BB432_1571 Depth=1
	s_delay_alu instid0(SALU_CYCLE_1)
	s_or_b32 exec_lo, exec_lo, s11
.LBB432_1611:                           ;   in Loop: Header=BB432_1571 Depth=1
	s_delay_alu instid0(SALU_CYCLE_1) | instskip(NEXT) | instid1(VALU_DEP_1)
	s_or_b32 exec_lo, exec_lo, s1
	v_mul_f32_e32 v6, v26, v6
	s_mov_b32 s1, exec_lo
                                        ; implicit-def: $vgpr8
	s_delay_alu instid0(VALU_DEP_1) | instskip(NEXT) | instid1(VALU_DEP_1)
	v_and_b32_e32 v7, 0x7f800000, v6
	v_cmpx_ne_u32_e32 0x7f800000, v7
	s_xor_b32 s1, exec_lo, s1
; %bb.1612:                             ;   in Loop: Header=BB432_1571 Depth=1
	v_bfe_u32 v7, v6, 16, 1
	s_delay_alu instid0(VALU_DEP_1)
	v_add3_u32 v8, v6, v7, 0x7fff
                                        ; implicit-def: $vgpr6
; %bb.1613:                             ;   in Loop: Header=BB432_1571 Depth=1
	s_and_not1_saveexec_b32 s1, s1
; %bb.1614:                             ;   in Loop: Header=BB432_1571 Depth=1
	v_and_b32_e32 v7, 0xffff, v6
	v_or_b32_e32 v8, 0x10000, v6
	s_delay_alu instid0(VALU_DEP_2) | instskip(NEXT) | instid1(VALU_DEP_2)
	v_cmp_eq_u32_e32 vcc_lo, 0, v7
	v_cndmask_b32_e32 v8, v8, v6, vcc_lo
; %bb.1615:                             ;   in Loop: Header=BB432_1571 Depth=1
	s_or_b32 exec_lo, exec_lo, s1
	v_lshrrev_b16 v7, 8, v2
	v_mov_b32_e32 v6, 0
	s_mov_b32 s1, exec_lo
	s_delay_alu instid0(VALU_DEP_2)
	v_cmpx_ne_u16_e32 0, v7
	s_cbranch_execz .LBB432_1623
; %bb.1616:                             ;   in Loop: Header=BB432_1571 Depth=1
	v_bfrev_b32_e32 v6, 1
	s_mov_b32 s11, exec_lo
	v_cmpx_ne_u16_e32 0x80, v7
	s_cbranch_execz .LBB432_1622
; %bb.1617:                             ;   in Loop: Header=BB432_1571 Depth=1
	v_and_b32_e32 v9, 0xffff, v7
	v_mov_b32_e32 v6, 0x7f800001
	s_mov_b32 s12, exec_lo
	s_delay_alu instid0(VALU_DEP_2) | instskip(NEXT) | instid1(VALU_DEP_1)
	v_and_b32_e32 v7, 0x7f, v9
	v_cmpx_ne_u32_e32 0x7f, v7
	s_cbranch_execz .LBB432_1621
; %bb.1618:                             ;   in Loop: Header=BB432_1571 Depth=1
	v_and_b32_e32 v9, 7, v9
	v_lshrrev_b32_e32 v55, 3, v7
	v_cmp_gt_u32_e32 vcc_lo, 8, v7
	s_delay_alu instid0(VALU_DEP_3)
	v_dual_mov_b32 v6, v9 :: v_dual_mov_b32 v7, v10
	s_and_saveexec_b32 s13, vcc_lo
; %bb.1619:                             ;   in Loop: Header=BB432_1571 Depth=1
	v_clz_i32_u32_e32 v6, v9
	s_delay_alu instid0(VALU_DEP_1) | instskip(NEXT) | instid1(VALU_DEP_1)
	v_min_u32_e32 v55, 32, v6
	v_subrev_nc_u32_e32 v6, 28, v55
	v_sub_nc_u32_e32 v55, 29, v55
	s_delay_alu instid0(VALU_DEP_2) | instskip(NEXT) | instid1(VALU_DEP_1)
	v_lshlrev_b64 v[6:7], v6, v[9:10]
	v_and_b32_e32 v6, 7, v6
; %bb.1620:                             ;   in Loop: Header=BB432_1571 Depth=1
	s_or_b32 exec_lo, exec_lo, s13
	v_lshlrev_b32_e32 v7, 16, v2
	s_delay_alu instid0(VALU_DEP_2) | instskip(SKIP_1) | instid1(VALU_DEP_3)
	v_lshlrev_b32_e32 v6, 20, v6
	v_lshl_add_u32 v9, v55, 23, 0x3c000000
	v_and_b32_e32 v7, 0x80000000, v7
	s_delay_alu instid0(VALU_DEP_1)
	v_or3_b32 v6, v6, v7, v9
.LBB432_1621:                           ;   in Loop: Header=BB432_1571 Depth=1
	s_or_b32 exec_lo, exec_lo, s12
.LBB432_1622:                           ;   in Loop: Header=BB432_1571 Depth=1
	s_delay_alu instid0(SALU_CYCLE_1)
	s_or_b32 exec_lo, exec_lo, s11
.LBB432_1623:                           ;   in Loop: Header=BB432_1571 Depth=1
	s_delay_alu instid0(SALU_CYCLE_1) | instskip(NEXT) | instid1(VALU_DEP_1)
	s_or_b32 exec_lo, exec_lo, s1
	v_mul_f32_e32 v6, v26, v6
	s_mov_b32 s1, exec_lo
                                        ; implicit-def: $vgpr55
	s_delay_alu instid0(VALU_DEP_1) | instskip(NEXT) | instid1(VALU_DEP_1)
	v_and_b32_e32 v7, 0x7f800000, v6
	v_cmpx_ne_u32_e32 0x7f800000, v7
	s_xor_b32 s1, exec_lo, s1
; %bb.1624:                             ;   in Loop: Header=BB432_1571 Depth=1
	v_bfe_u32 v7, v6, 16, 1
	s_delay_alu instid0(VALU_DEP_1)
	v_add3_u32 v55, v6, v7, 0x7fff
                                        ; implicit-def: $vgpr6
; %bb.1625:                             ;   in Loop: Header=BB432_1571 Depth=1
	s_and_not1_saveexec_b32 s1, s1
; %bb.1626:                             ;   in Loop: Header=BB432_1571 Depth=1
	v_and_b32_e32 v7, 0xffff, v6
	v_or_b32_e32 v9, 0x10000, v6
	s_delay_alu instid0(VALU_DEP_2) | instskip(NEXT) | instid1(VALU_DEP_2)
	v_cmp_eq_u32_e32 vcc_lo, 0, v7
	v_cndmask_b32_e32 v55, v9, v6, vcc_lo
; %bb.1627:                             ;   in Loop: Header=BB432_1571 Depth=1
	s_or_b32 exec_lo, exec_lo, s1
	v_lshrrev_b32_e32 v64, 16, v2
	s_mov_b32 s1, exec_lo
	s_delay_alu instid0(VALU_DEP_1) | instskip(NEXT) | instid1(VALU_DEP_1)
	v_dual_mov_b32 v6, 0 :: v_dual_and_b32 v7, 0xff, v64
	v_cmpx_ne_u16_e32 0, v7
	s_cbranch_execz .LBB432_1635
; %bb.1628:                             ;   in Loop: Header=BB432_1571 Depth=1
	v_bfrev_b32_e32 v6, 1
	s_mov_b32 s11, exec_lo
	v_cmpx_ne_u16_e32 0x80, v7
	s_cbranch_execz .LBB432_1634
; %bb.1629:                             ;   in Loop: Header=BB432_1571 Depth=1
	v_bfe_u32 v7, v2, 16, 7
	v_mov_b32_e32 v6, 0x7f800001
	s_mov_b32 s12, exec_lo
	s_delay_alu instid0(VALU_DEP_2)
	v_cmpx_ne_u32_e32 0x7f, v7
	s_cbranch_execz .LBB432_1633
; %bb.1630:                             ;   in Loop: Header=BB432_1571 Depth=1
	v_and_b32_e32 v9, 7, v64
	v_lshrrev_b32_e32 v65, 3, v7
	v_cmp_gt_u32_e32 vcc_lo, 8, v7
	s_delay_alu instid0(VALU_DEP_3)
	v_dual_mov_b32 v6, v9 :: v_dual_mov_b32 v7, v10
	s_and_saveexec_b32 s13, vcc_lo
; %bb.1631:                             ;   in Loop: Header=BB432_1571 Depth=1
	v_clz_i32_u32_e32 v6, v9
	s_delay_alu instid0(VALU_DEP_1) | instskip(NEXT) | instid1(VALU_DEP_1)
	v_min_u32_e32 v65, 32, v6
	v_subrev_nc_u32_e32 v6, 28, v65
	v_sub_nc_u32_e32 v65, 29, v65
	s_delay_alu instid0(VALU_DEP_2) | instskip(NEXT) | instid1(VALU_DEP_1)
	v_lshlrev_b64 v[6:7], v6, v[9:10]
	v_and_b32_e32 v6, 7, v6
; %bb.1632:                             ;   in Loop: Header=BB432_1571 Depth=1
	s_or_b32 exec_lo, exec_lo, s13
	v_lshlrev_b32_e32 v7, 24, v64
	s_delay_alu instid0(VALU_DEP_2) | instskip(SKIP_1) | instid1(VALU_DEP_3)
	v_lshlrev_b32_e32 v6, 20, v6
	v_lshl_add_u32 v9, v65, 23, 0x3c000000
	v_and_b32_e32 v7, 0x80000000, v7
	s_delay_alu instid0(VALU_DEP_1)
	v_or3_b32 v6, v6, v7, v9
.LBB432_1633:                           ;   in Loop: Header=BB432_1571 Depth=1
	s_or_b32 exec_lo, exec_lo, s12
.LBB432_1634:                           ;   in Loop: Header=BB432_1571 Depth=1
	s_delay_alu instid0(SALU_CYCLE_1)
	s_or_b32 exec_lo, exec_lo, s11
.LBB432_1635:                           ;   in Loop: Header=BB432_1571 Depth=1
	s_delay_alu instid0(SALU_CYCLE_1) | instskip(NEXT) | instid1(VALU_DEP_1)
	s_or_b32 exec_lo, exec_lo, s1
	v_mul_f32_e32 v6, v26, v6
	s_mov_b32 s1, exec_lo
                                        ; implicit-def: $vgpr64
	s_delay_alu instid0(VALU_DEP_1) | instskip(NEXT) | instid1(VALU_DEP_1)
	v_and_b32_e32 v7, 0x7f800000, v6
	v_cmpx_ne_u32_e32 0x7f800000, v7
	s_xor_b32 s1, exec_lo, s1
; %bb.1636:                             ;   in Loop: Header=BB432_1571 Depth=1
	v_bfe_u32 v7, v6, 16, 1
	s_delay_alu instid0(VALU_DEP_1)
	v_add3_u32 v64, v6, v7, 0x7fff
                                        ; implicit-def: $vgpr6
; %bb.1637:                             ;   in Loop: Header=BB432_1571 Depth=1
	s_and_not1_saveexec_b32 s1, s1
; %bb.1638:                             ;   in Loop: Header=BB432_1571 Depth=1
	v_and_b32_e32 v7, 0xffff, v6
	v_or_b32_e32 v9, 0x10000, v6
	s_delay_alu instid0(VALU_DEP_2) | instskip(NEXT) | instid1(VALU_DEP_2)
	v_cmp_eq_u32_e32 vcc_lo, 0, v7
	v_cndmask_b32_e32 v64, v9, v6, vcc_lo
; %bb.1639:                             ;   in Loop: Header=BB432_1571 Depth=1
	s_or_b32 exec_lo, exec_lo, s1
	v_mov_b32_e32 v6, 0
	s_mov_b32 s1, exec_lo
	v_cmpx_lt_u32_e32 0xffffff, v2
	s_cbranch_execz .LBB432_1647
; %bb.1640:                             ;   in Loop: Header=BB432_1571 Depth=1
	v_lshrrev_b32_e32 v65, 24, v2
	v_bfrev_b32_e32 v6, 1
	s_mov_b32 s11, exec_lo
	s_delay_alu instid0(VALU_DEP_2)
	v_cmpx_ne_u32_e32 0x80, v65
	s_cbranch_execz .LBB432_1646
; %bb.1641:                             ;   in Loop: Header=BB432_1571 Depth=1
	v_bfe_u32 v7, v2, 24, 7
	v_mov_b32_e32 v6, 0x7f800001
	s_mov_b32 s12, exec_lo
	s_delay_alu instid0(VALU_DEP_2)
	v_cmpx_ne_u32_e32 0x7f, v7
	s_cbranch_execz .LBB432_1645
; %bb.1642:                             ;   in Loop: Header=BB432_1571 Depth=1
	v_and_b32_e32 v9, 7, v65
	v_lshrrev_b32_e32 v66, 3, v7
	v_cmp_gt_u32_e32 vcc_lo, 8, v7
	s_delay_alu instid0(VALU_DEP_3)
	v_dual_mov_b32 v6, v9 :: v_dual_mov_b32 v7, v10
	s_and_saveexec_b32 s13, vcc_lo
; %bb.1643:                             ;   in Loop: Header=BB432_1571 Depth=1
	v_clz_i32_u32_e32 v6, v9
	s_delay_alu instid0(VALU_DEP_1) | instskip(NEXT) | instid1(VALU_DEP_1)
	v_min_u32_e32 v66, 32, v6
	v_subrev_nc_u32_e32 v6, 28, v66
	v_sub_nc_u32_e32 v66, 29, v66
	s_delay_alu instid0(VALU_DEP_2) | instskip(NEXT) | instid1(VALU_DEP_1)
	v_lshlrev_b64 v[6:7], v6, v[9:10]
	v_and_b32_e32 v6, 7, v6
; %bb.1644:                             ;   in Loop: Header=BB432_1571 Depth=1
	s_or_b32 exec_lo, exec_lo, s13
	v_lshlrev_b32_e32 v7, 24, v65
	s_delay_alu instid0(VALU_DEP_2) | instskip(SKIP_1) | instid1(VALU_DEP_3)
	v_lshlrev_b32_e32 v6, 20, v6
	v_lshl_add_u32 v9, v66, 23, 0x3c000000
	v_and_b32_e32 v7, 0x80000000, v7
	s_delay_alu instid0(VALU_DEP_1)
	v_or3_b32 v6, v6, v7, v9
.LBB432_1645:                           ;   in Loop: Header=BB432_1571 Depth=1
	s_or_b32 exec_lo, exec_lo, s12
.LBB432_1646:                           ;   in Loop: Header=BB432_1571 Depth=1
	s_delay_alu instid0(SALU_CYCLE_1)
	s_or_b32 exec_lo, exec_lo, s11
.LBB432_1647:                           ;   in Loop: Header=BB432_1571 Depth=1
	s_delay_alu instid0(SALU_CYCLE_1) | instskip(NEXT) | instid1(VALU_DEP_1)
	s_or_b32 exec_lo, exec_lo, s1
	v_mul_f32_e32 v6, v26, v6
	s_mov_b32 s1, exec_lo
                                        ; implicit-def: $vgpr65
	s_delay_alu instid0(VALU_DEP_1) | instskip(NEXT) | instid1(VALU_DEP_1)
	v_and_b32_e32 v7, 0x7f800000, v6
	v_cmpx_ne_u32_e32 0x7f800000, v7
	s_xor_b32 s1, exec_lo, s1
; %bb.1648:                             ;   in Loop: Header=BB432_1571 Depth=1
	v_bfe_u32 v7, v6, 16, 1
	s_delay_alu instid0(VALU_DEP_1)
	v_add3_u32 v65, v6, v7, 0x7fff
                                        ; implicit-def: $vgpr6
; %bb.1649:                             ;   in Loop: Header=BB432_1571 Depth=1
	s_and_not1_saveexec_b32 s1, s1
; %bb.1650:                             ;   in Loop: Header=BB432_1571 Depth=1
	v_and_b32_e32 v7, 0xffff, v6
	v_or_b32_e32 v9, 0x10000, v6
	s_delay_alu instid0(VALU_DEP_2) | instskip(NEXT) | instid1(VALU_DEP_2)
	v_cmp_eq_u32_e32 vcc_lo, 0, v7
	v_cndmask_b32_e32 v65, v9, v6, vcc_lo
; %bb.1651:                             ;   in Loop: Header=BB432_1571 Depth=1
	s_or_b32 exec_lo, exec_lo, s1
	v_dual_mov_b32 v6, 0 :: v_dual_and_b32 v7, 0xff, v3
	v_mov_b32_e32 v9, v3
	s_mov_b32 s1, exec_lo
	s_delay_alu instid0(VALU_DEP_2)
	v_cmpx_ne_u16_e32 0, v7
	s_cbranch_execz .LBB432_1659
; %bb.1652:                             ;   in Loop: Header=BB432_1571 Depth=1
	v_bfrev_b32_e32 v6, 1
	s_mov_b32 s11, exec_lo
	v_cmpx_ne_u16_e32 0x80, v7
	s_cbranch_execz .LBB432_1658
; %bb.1653:                             ;   in Loop: Header=BB432_1571 Depth=1
	v_and_b32_e32 v7, 0x7f, v3
	v_mov_b32_e32 v6, 0x7f800001
	s_mov_b32 s12, exec_lo
	s_delay_alu instid0(VALU_DEP_2)
	v_cmpx_ne_u32_e32 0x7f, v7
	s_cbranch_execz .LBB432_1657
; %bb.1654:                             ;   in Loop: Header=BB432_1571 Depth=1
	v_lshrrev_b32_e32 v66, 3, v7
	v_cmp_gt_u32_e32 vcc_lo, 8, v7
	v_dual_mov_b32 v6, v9 :: v_dual_mov_b32 v7, v10
	s_and_saveexec_b32 s13, vcc_lo
; %bb.1655:                             ;   in Loop: Header=BB432_1571 Depth=1
	v_and_b32_e32 v6, 7, v3
	s_delay_alu instid0(VALU_DEP_1) | instskip(NEXT) | instid1(VALU_DEP_1)
	v_clz_i32_u32_e32 v6, v6
	v_min_u32_e32 v66, 32, v6
	s_delay_alu instid0(VALU_DEP_1) | instskip(SKIP_1) | instid1(VALU_DEP_2)
	v_subrev_nc_u32_e32 v6, 28, v66
	v_sub_nc_u32_e32 v66, 29, v66
	v_lshlrev_b64 v[6:7], v6, v[9:10]
; %bb.1656:                             ;   in Loop: Header=BB432_1571 Depth=1
	s_or_b32 exec_lo, exec_lo, s13
	s_delay_alu instid0(VALU_DEP_1) | instskip(SKIP_2) | instid1(VALU_DEP_3)
	v_lshlrev_b32_e32 v6, 20, v6
	v_lshlrev_b32_e32 v7, 24, v9
	v_lshl_add_u32 v66, v66, 23, 0x3c000000
	v_and_b32_e32 v6, 0x700000, v6
	s_delay_alu instid0(VALU_DEP_3) | instskip(NEXT) | instid1(VALU_DEP_1)
	v_and_b32_e32 v7, 0x80000000, v7
	v_or3_b32 v6, v6, v7, v66
.LBB432_1657:                           ;   in Loop: Header=BB432_1571 Depth=1
	s_or_b32 exec_lo, exec_lo, s12
.LBB432_1658:                           ;   in Loop: Header=BB432_1571 Depth=1
	s_delay_alu instid0(SALU_CYCLE_1)
	s_or_b32 exec_lo, exec_lo, s11
.LBB432_1659:                           ;   in Loop: Header=BB432_1571 Depth=1
	s_delay_alu instid0(SALU_CYCLE_1) | instskip(NEXT) | instid1(VALU_DEP_1)
	s_or_b32 exec_lo, exec_lo, s1
	v_mul_f32_e32 v6, v26, v6
	s_mov_b32 s1, exec_lo
                                        ; implicit-def: $vgpr66
	s_delay_alu instid0(VALU_DEP_1) | instskip(NEXT) | instid1(VALU_DEP_1)
	v_and_b32_e32 v7, 0x7f800000, v6
	v_cmpx_ne_u32_e32 0x7f800000, v7
	s_xor_b32 s1, exec_lo, s1
; %bb.1660:                             ;   in Loop: Header=BB432_1571 Depth=1
	v_bfe_u32 v7, v6, 16, 1
	s_delay_alu instid0(VALU_DEP_1)
	v_add3_u32 v66, v6, v7, 0x7fff
                                        ; implicit-def: $vgpr6
; %bb.1661:                             ;   in Loop: Header=BB432_1571 Depth=1
	s_and_not1_saveexec_b32 s1, s1
; %bb.1662:                             ;   in Loop: Header=BB432_1571 Depth=1
	v_and_b32_e32 v7, 0xffff, v6
	v_or_b32_e32 v66, 0x10000, v6
	s_delay_alu instid0(VALU_DEP_2) | instskip(NEXT) | instid1(VALU_DEP_2)
	v_cmp_eq_u32_e32 vcc_lo, 0, v7
	v_cndmask_b32_e32 v66, v66, v6, vcc_lo
; %bb.1663:                             ;   in Loop: Header=BB432_1571 Depth=1
	s_or_b32 exec_lo, exec_lo, s1
	v_lshrrev_b16 v7, 8, v9
	v_mov_b32_e32 v6, 0
	s_mov_b32 s1, exec_lo
	s_delay_alu instid0(VALU_DEP_2)
	v_cmpx_ne_u16_e32 0, v7
	s_cbranch_execz .LBB432_1671
; %bb.1664:                             ;   in Loop: Header=BB432_1571 Depth=1
	v_bfrev_b32_e32 v6, 1
	s_mov_b32 s11, exec_lo
	v_cmpx_ne_u16_e32 0x80, v7
	s_cbranch_execz .LBB432_1670
; %bb.1665:                             ;   in Loop: Header=BB432_1571 Depth=1
	v_and_b32_e32 v7, 0xffff, v7
	v_mov_b32_e32 v6, 0x7f800001
	s_mov_b32 s12, exec_lo
	s_delay_alu instid0(VALU_DEP_2) | instskip(NEXT) | instid1(VALU_DEP_1)
	v_and_b32_e32 v68, 0x7f, v7
	v_cmpx_ne_u32_e32 0x7f, v68
	s_cbranch_execz .LBB432_1669
; %bb.1666:                             ;   in Loop: Header=BB432_1571 Depth=1
	v_dual_mov_b32 v7, v10 :: v_dual_and_b32 v6, 7, v7
	v_lshrrev_b32_e32 v67, 3, v68
	s_mov_b32 s13, exec_lo
	v_cmpx_gt_u32_e32 8, v68
; %bb.1667:                             ;   in Loop: Header=BB432_1571 Depth=1
	s_delay_alu instid0(VALU_DEP_3) | instskip(NEXT) | instid1(VALU_DEP_1)
	v_clz_i32_u32_e32 v67, v6
	v_min_u32_e32 v67, 32, v67
	s_delay_alu instid0(VALU_DEP_1) | instskip(SKIP_1) | instid1(VALU_DEP_2)
	v_subrev_nc_u32_e32 v68, 28, v67
	v_sub_nc_u32_e32 v67, 29, v67
	v_lshlrev_b64 v[6:7], v68, v[6:7]
	s_delay_alu instid0(VALU_DEP_1)
	v_and_b32_e32 v6, 7, v6
; %bb.1668:                             ;   in Loop: Header=BB432_1571 Depth=1
	s_or_b32 exec_lo, exec_lo, s13
	v_lshlrev_b32_e32 v7, 16, v9
	s_delay_alu instid0(VALU_DEP_2) | instskip(SKIP_1) | instid1(VALU_DEP_3)
	v_lshlrev_b32_e32 v6, 20, v6
	v_lshl_add_u32 v9, v67, 23, 0x3c000000
	v_and_b32_e32 v7, 0x80000000, v7
	s_delay_alu instid0(VALU_DEP_1)
	v_or3_b32 v6, v6, v7, v9
.LBB432_1669:                           ;   in Loop: Header=BB432_1571 Depth=1
	s_or_b32 exec_lo, exec_lo, s12
.LBB432_1670:                           ;   in Loop: Header=BB432_1571 Depth=1
	s_delay_alu instid0(SALU_CYCLE_1)
	s_or_b32 exec_lo, exec_lo, s11
.LBB432_1671:                           ;   in Loop: Header=BB432_1571 Depth=1
	s_delay_alu instid0(SALU_CYCLE_1) | instskip(NEXT) | instid1(VALU_DEP_1)
	s_or_b32 exec_lo, exec_lo, s1
	v_mul_f32_e32 v6, v26, v6
	s_mov_b32 s1, exec_lo
                                        ; implicit-def: $vgpr67
	s_delay_alu instid0(VALU_DEP_1) | instskip(NEXT) | instid1(VALU_DEP_1)
	v_and_b32_e32 v7, 0x7f800000, v6
	v_cmpx_ne_u32_e32 0x7f800000, v7
	s_xor_b32 s1, exec_lo, s1
; %bb.1672:                             ;   in Loop: Header=BB432_1571 Depth=1
	v_bfe_u32 v7, v6, 16, 1
	s_delay_alu instid0(VALU_DEP_1)
	v_add3_u32 v67, v6, v7, 0x7fff
                                        ; implicit-def: $vgpr6
; %bb.1673:                             ;   in Loop: Header=BB432_1571 Depth=1
	s_and_not1_saveexec_b32 s1, s1
; %bb.1674:                             ;   in Loop: Header=BB432_1571 Depth=1
	v_and_b32_e32 v7, 0xffff, v6
	v_or_b32_e32 v9, 0x10000, v6
	s_delay_alu instid0(VALU_DEP_2) | instskip(NEXT) | instid1(VALU_DEP_2)
	v_cmp_eq_u32_e32 vcc_lo, 0, v7
	v_cndmask_b32_e32 v67, v9, v6, vcc_lo
; %bb.1675:                             ;   in Loop: Header=BB432_1571 Depth=1
	s_or_b32 exec_lo, exec_lo, s1
	v_lshrrev_b32_e32 v68, 16, v3
	s_mov_b32 s1, exec_lo
	s_delay_alu instid0(VALU_DEP_1) | instskip(NEXT) | instid1(VALU_DEP_1)
	v_dual_mov_b32 v6, 0 :: v_dual_and_b32 v7, 0xff, v68
	v_cmpx_ne_u16_e32 0, v7
	s_cbranch_execz .LBB432_1683
; %bb.1676:                             ;   in Loop: Header=BB432_1571 Depth=1
	v_bfrev_b32_e32 v6, 1
	s_mov_b32 s11, exec_lo
	v_cmpx_ne_u16_e32 0x80, v7
	s_cbranch_execz .LBB432_1682
; %bb.1677:                             ;   in Loop: Header=BB432_1571 Depth=1
	v_bfe_u32 v7, v3, 16, 7
	v_mov_b32_e32 v6, 0x7f800001
	s_mov_b32 s12, exec_lo
	s_delay_alu instid0(VALU_DEP_2)
	v_cmpx_ne_u32_e32 0x7f, v7
	s_cbranch_execz .LBB432_1681
; %bb.1678:                             ;   in Loop: Header=BB432_1571 Depth=1
	v_and_b32_e32 v9, 7, v68
	v_lshrrev_b32_e32 v69, 3, v7
	v_cmp_gt_u32_e32 vcc_lo, 8, v7
	s_delay_alu instid0(VALU_DEP_3)
	v_dual_mov_b32 v6, v9 :: v_dual_mov_b32 v7, v10
	s_and_saveexec_b32 s13, vcc_lo
; %bb.1679:                             ;   in Loop: Header=BB432_1571 Depth=1
	v_clz_i32_u32_e32 v6, v9
	s_delay_alu instid0(VALU_DEP_1) | instskip(NEXT) | instid1(VALU_DEP_1)
	v_min_u32_e32 v69, 32, v6
	v_subrev_nc_u32_e32 v6, 28, v69
	v_sub_nc_u32_e32 v69, 29, v69
	s_delay_alu instid0(VALU_DEP_2) | instskip(NEXT) | instid1(VALU_DEP_1)
	v_lshlrev_b64 v[6:7], v6, v[9:10]
	v_and_b32_e32 v6, 7, v6
; %bb.1680:                             ;   in Loop: Header=BB432_1571 Depth=1
	s_or_b32 exec_lo, exec_lo, s13
	v_lshlrev_b32_e32 v7, 24, v68
	s_delay_alu instid0(VALU_DEP_2) | instskip(SKIP_1) | instid1(VALU_DEP_3)
	v_lshlrev_b32_e32 v6, 20, v6
	v_lshl_add_u32 v9, v69, 23, 0x3c000000
	v_and_b32_e32 v7, 0x80000000, v7
	s_delay_alu instid0(VALU_DEP_1)
	v_or3_b32 v6, v6, v7, v9
.LBB432_1681:                           ;   in Loop: Header=BB432_1571 Depth=1
	s_or_b32 exec_lo, exec_lo, s12
.LBB432_1682:                           ;   in Loop: Header=BB432_1571 Depth=1
	s_delay_alu instid0(SALU_CYCLE_1)
	s_or_b32 exec_lo, exec_lo, s11
.LBB432_1683:                           ;   in Loop: Header=BB432_1571 Depth=1
	s_delay_alu instid0(SALU_CYCLE_1) | instskip(NEXT) | instid1(VALU_DEP_1)
	s_or_b32 exec_lo, exec_lo, s1
	v_mul_f32_e32 v6, v26, v6
	s_mov_b32 s1, exec_lo
                                        ; implicit-def: $vgpr69
	s_delay_alu instid0(VALU_DEP_1) | instskip(NEXT) | instid1(VALU_DEP_1)
	v_and_b32_e32 v7, 0x7f800000, v6
	v_cmpx_ne_u32_e32 0x7f800000, v7
	s_xor_b32 s1, exec_lo, s1
; %bb.1684:                             ;   in Loop: Header=BB432_1571 Depth=1
	v_bfe_u32 v7, v6, 16, 1
	s_delay_alu instid0(VALU_DEP_1)
	v_add3_u32 v69, v6, v7, 0x7fff
                                        ; implicit-def: $vgpr6
; %bb.1685:                             ;   in Loop: Header=BB432_1571 Depth=1
	s_and_not1_saveexec_b32 s1, s1
; %bb.1686:                             ;   in Loop: Header=BB432_1571 Depth=1
	v_and_b32_e32 v7, 0xffff, v6
	v_or_b32_e32 v9, 0x10000, v6
	s_delay_alu instid0(VALU_DEP_2) | instskip(NEXT) | instid1(VALU_DEP_2)
	v_cmp_eq_u32_e32 vcc_lo, 0, v7
	v_cndmask_b32_e32 v69, v9, v6, vcc_lo
; %bb.1687:                             ;   in Loop: Header=BB432_1571 Depth=1
	s_or_b32 exec_lo, exec_lo, s1
	v_cmp_lt_u64_e32 vcc_lo, s[2:3], v[2:3]
	v_mov_b32_e32 v2, 0
	s_and_saveexec_b32 s1, vcc_lo
	s_cbranch_execz .LBB432_1695
; %bb.1688:                             ;   in Loop: Header=BB432_1571 Depth=1
	v_lshrrev_b32_e32 v6, 24, v3
	v_bfrev_b32_e32 v2, 1
	s_mov_b32 s11, exec_lo
	s_delay_alu instid0(VALU_DEP_2)
	v_cmpx_ne_u32_e32 0x80, v6
	s_cbranch_execz .LBB432_1694
; %bb.1689:                             ;   in Loop: Header=BB432_1571 Depth=1
	v_bfe_u32 v3, v3, 24, 7
	v_mov_b32_e32 v2, 0x7f800001
	s_mov_b32 s12, exec_lo
	s_delay_alu instid0(VALU_DEP_2)
	v_cmpx_ne_u32_e32 0x7f, v3
	s_cbranch_execz .LBB432_1693
; %bb.1690:                             ;   in Loop: Header=BB432_1571 Depth=1
	v_and_b32_e32 v9, 7, v6
	v_lshrrev_b32_e32 v7, 3, v3
	v_cmp_gt_u32_e32 vcc_lo, 8, v3
	s_delay_alu instid0(VALU_DEP_3)
	v_dual_mov_b32 v2, v9 :: v_dual_mov_b32 v3, v10
	s_and_saveexec_b32 s13, vcc_lo
; %bb.1691:                             ;   in Loop: Header=BB432_1571 Depth=1
	v_clz_i32_u32_e32 v2, v9
	s_delay_alu instid0(VALU_DEP_1) | instskip(NEXT) | instid1(VALU_DEP_1)
	v_min_u32_e32 v7, 32, v2
	v_subrev_nc_u32_e32 v2, 28, v7
	v_sub_nc_u32_e32 v7, 29, v7
	s_delay_alu instid0(VALU_DEP_2) | instskip(NEXT) | instid1(VALU_DEP_1)
	v_lshlrev_b64 v[2:3], v2, v[9:10]
	v_and_b32_e32 v2, 7, v2
; %bb.1692:                             ;   in Loop: Header=BB432_1571 Depth=1
	s_or_b32 exec_lo, exec_lo, s13
	v_lshlrev_b32_e32 v3, 24, v6
	s_delay_alu instid0(VALU_DEP_2) | instskip(SKIP_1) | instid1(VALU_DEP_3)
	v_lshlrev_b32_e32 v2, 20, v2
	v_lshl_add_u32 v6, v7, 23, 0x3c000000
	v_and_b32_e32 v3, 0x80000000, v3
	s_delay_alu instid0(VALU_DEP_1)
	v_or3_b32 v2, v2, v3, v6
.LBB432_1693:                           ;   in Loop: Header=BB432_1571 Depth=1
	s_or_b32 exec_lo, exec_lo, s12
.LBB432_1694:                           ;   in Loop: Header=BB432_1571 Depth=1
	s_delay_alu instid0(SALU_CYCLE_1)
	s_or_b32 exec_lo, exec_lo, s11
.LBB432_1695:                           ;   in Loop: Header=BB432_1571 Depth=1
	s_delay_alu instid0(SALU_CYCLE_1) | instskip(NEXT) | instid1(VALU_DEP_1)
	s_or_b32 exec_lo, exec_lo, s1
	v_mul_f32_e32 v3, v26, v2
	s_delay_alu instid0(VALU_DEP_1) | instskip(NEXT) | instid1(VALU_DEP_1)
	v_and_b32_e32 v2, 0x7f800000, v3
	v_cmp_ne_u32_e32 vcc_lo, 0x7f800000, v2
                                        ; implicit-def: $vgpr2
	s_and_saveexec_b32 s1, vcc_lo
	s_delay_alu instid0(SALU_CYCLE_1)
	s_xor_b32 s1, exec_lo, s1
; %bb.1696:                             ;   in Loop: Header=BB432_1571 Depth=1
	v_bfe_u32 v2, v3, 16, 1
	s_delay_alu instid0(VALU_DEP_1)
	v_add3_u32 v2, v3, v2, 0x7fff
                                        ; implicit-def: $vgpr3
; %bb.1697:                             ;   in Loop: Header=BB432_1571 Depth=1
	s_and_not1_saveexec_b32 s1, s1
; %bb.1698:                             ;   in Loop: Header=BB432_1571 Depth=1
	v_and_b32_e32 v2, 0xffff, v3
	v_or_b32_e32 v6, 0x10000, v3
	s_delay_alu instid0(VALU_DEP_2) | instskip(NEXT) | instid1(VALU_DEP_2)
	v_cmp_eq_u32_e32 vcc_lo, 0, v2
	v_cndmask_b32_e32 v2, v6, v3, vcc_lo
; %bb.1699:                             ;   in Loop: Header=BB432_1571 Depth=1
	s_or_b32 exec_lo, exec_lo, s1
	v_cmp_eq_u32_e32 vcc_lo, v27, v16
	v_add_nc_u32_e32 v68, -7, v15
	v_lshrrev_b32_e32 v6, 16, v67
	v_lshrrev_b32_e32 v7, 16, v66
	;; [unrolled: 1-line block ×8, first 2 shown]
	v_add_nc_u32_e32 v82, -6, v15
	v_add_nc_u32_e32 v81, -5, v15
	v_add_nc_u32_e32 v80, -4, v15
	v_add_nc_u32_e32 v71, -3, v15
	v_add_nc_u32_e32 v70, -2, v15
	v_add_nc_u32_e32 v69, -1, v15
	s_and_saveexec_b32 s11, vcc_lo
	s_cbranch_execz .LBB432_1701
; %bb.1700:                             ;   in Loop: Header=BB432_1571 Depth=1
	v_cmp_lt_i32_e64 s1, v68, v35
	s_delay_alu instid0(VALU_DEP_1) | instskip(SKIP_1) | instid1(VALU_DEP_1)
	v_cndmask_b32_e64 v8, 0, v8, s1
	v_cmp_lt_i32_e64 s1, v82, v35
	v_cndmask_b32_e64 v55, 0, v55, s1
	v_cmp_lt_i32_e64 s1, v81, v35
	s_delay_alu instid0(VALU_DEP_1) | instskip(SKIP_1) | instid1(VALU_DEP_1)
	v_cndmask_b32_e64 v64, 0, v64, s1
	v_cmp_lt_i32_e64 s1, v80, v35
	v_cndmask_b32_e64 v9, 0, v9, s1
	;; [unrolled: 5-line block ×4, first 2 shown]
.LBB432_1701:                           ;   in Loop: Header=BB432_1571 Depth=1
	s_or_b32 exec_lo, exec_lo, s11
	v_and_b32_e32 v83, 0xffff0000, v54
	v_lshlrev_b32_e32 v8, 16, v8
	s_delay_alu instid0(VALU_DEP_1) | instskip(NEXT) | instid1(VALU_DEP_1)
	v_mul_f32_e32 v54, v83, v8
	v_and_b32_e32 v8, 0x7f800000, v54
	s_delay_alu instid0(VALU_DEP_1) | instskip(NEXT) | instid1(VALU_DEP_1)
	v_cmp_ne_u32_e64 s1, 0x7f800000, v8
                                        ; implicit-def: $vgpr8
	s_and_saveexec_b32 s11, s1
	s_delay_alu instid0(SALU_CYCLE_1)
	s_xor_b32 s1, exec_lo, s11
; %bb.1702:                             ;   in Loop: Header=BB432_1571 Depth=1
	v_bfe_u32 v8, v54, 16, 1
	s_delay_alu instid0(VALU_DEP_1)
	v_add3_u32 v8, v54, v8, 0x7fff
                                        ; implicit-def: $vgpr54
; %bb.1703:                             ;   in Loop: Header=BB432_1571 Depth=1
	s_and_not1_saveexec_b32 s11, s1
; %bb.1704:                             ;   in Loop: Header=BB432_1571 Depth=1
	v_and_b32_e32 v8, 0xffff, v54
	v_or_b32_e32 v65, 0x10000, v54
	s_delay_alu instid0(VALU_DEP_2) | instskip(NEXT) | instid1(VALU_DEP_1)
	v_cmp_eq_u32_e64 s1, 0, v8
	v_cndmask_b32_e64 v8, v65, v54, s1
; %bb.1705:                             ;   in Loop: Header=BB432_1571 Depth=1
	s_or_b32 exec_lo, exec_lo, s11
	v_and_b32_e32 v84, 0xffff0000, v53
	v_lshlrev_b32_e32 v53, 16, v55
	s_delay_alu instid0(VALU_DEP_1) | instskip(NEXT) | instid1(VALU_DEP_1)
	v_mul_f32_e32 v54, v84, v53
	v_and_b32_e32 v53, 0x7f800000, v54
	s_delay_alu instid0(VALU_DEP_1) | instskip(NEXT) | instid1(VALU_DEP_1)
	v_cmp_ne_u32_e64 s1, 0x7f800000, v53
                                        ; implicit-def: $vgpr53
	s_and_saveexec_b32 s11, s1
	s_delay_alu instid0(SALU_CYCLE_1)
	s_xor_b32 s1, exec_lo, s11
; %bb.1706:                             ;   in Loop: Header=BB432_1571 Depth=1
	v_bfe_u32 v53, v54, 16, 1
	s_delay_alu instid0(VALU_DEP_1)
	v_add3_u32 v53, v54, v53, 0x7fff
                                        ; implicit-def: $vgpr54
; %bb.1707:                             ;   in Loop: Header=BB432_1571 Depth=1
	s_and_not1_saveexec_b32 s11, s1
; %bb.1708:                             ;   in Loop: Header=BB432_1571 Depth=1
	v_and_b32_e32 v53, 0xffff, v54
	v_or_b32_e32 v55, 0x10000, v54
	s_delay_alu instid0(VALU_DEP_2) | instskip(NEXT) | instid1(VALU_DEP_1)
	v_cmp_eq_u32_e64 s1, 0, v53
	v_cndmask_b32_e64 v53, v55, v54, s1
; %bb.1709:                             ;   in Loop: Header=BB432_1571 Depth=1
	s_or_b32 exec_lo, exec_lo, s11
	v_and_b32_e32 v85, 0xffff0000, v36
	v_lshlrev_b32_e32 v36, 16, v64
	s_delay_alu instid0(VALU_DEP_1) | instskip(NEXT) | instid1(VALU_DEP_1)
	v_mul_f32_e32 v36, v85, v36
	v_and_b32_e32 v54, 0x7f800000, v36
	s_delay_alu instid0(VALU_DEP_1) | instskip(NEXT) | instid1(VALU_DEP_1)
	v_cmp_ne_u32_e64 s1, 0x7f800000, v54
                                        ; implicit-def: $vgpr54
	s_and_saveexec_b32 s11, s1
	s_delay_alu instid0(SALU_CYCLE_1)
	s_xor_b32 s1, exec_lo, s11
; %bb.1710:                             ;   in Loop: Header=BB432_1571 Depth=1
	v_bfe_u32 v54, v36, 16, 1
	s_delay_alu instid0(VALU_DEP_1)
	v_add3_u32 v54, v36, v54, 0x7fff
                                        ; implicit-def: $vgpr36
; %bb.1711:                             ;   in Loop: Header=BB432_1571 Depth=1
	s_and_not1_saveexec_b32 s11, s1
; %bb.1712:                             ;   in Loop: Header=BB432_1571 Depth=1
	v_and_b32_e32 v54, 0xffff, v36
	v_or_b32_e32 v55, 0x10000, v36
	s_delay_alu instid0(VALU_DEP_2) | instskip(NEXT) | instid1(VALU_DEP_1)
	v_cmp_eq_u32_e64 s1, 0, v54
	v_cndmask_b32_e64 v54, v55, v36, s1
; %bb.1713:                             ;   in Loop: Header=BB432_1571 Depth=1
	s_or_b32 exec_lo, exec_lo, s11
	v_and_b32_e32 v86, 0xffff0000, v34
	v_lshlrev_b32_e32 v9, 16, v9
                                        ; implicit-def: $vgpr55
	s_delay_alu instid0(VALU_DEP_1) | instskip(NEXT) | instid1(VALU_DEP_1)
	v_mul_f32_e32 v9, v86, v9
	v_and_b32_e32 v34, 0x7f800000, v9
	s_delay_alu instid0(VALU_DEP_1) | instskip(NEXT) | instid1(VALU_DEP_1)
	v_cmp_ne_u32_e64 s1, 0x7f800000, v34
	s_and_saveexec_b32 s11, s1
	s_delay_alu instid0(SALU_CYCLE_1)
	s_xor_b32 s1, exec_lo, s11
; %bb.1714:                             ;   in Loop: Header=BB432_1571 Depth=1
	v_bfe_u32 v34, v9, 16, 1
	s_delay_alu instid0(VALU_DEP_1)
	v_add3_u32 v55, v9, v34, 0x7fff
                                        ; implicit-def: $vgpr9
; %bb.1715:                             ;   in Loop: Header=BB432_1571 Depth=1
	s_and_not1_saveexec_b32 s11, s1
; %bb.1716:                             ;   in Loop: Header=BB432_1571 Depth=1
	v_and_b32_e32 v34, 0xffff, v9
	v_or_b32_e32 v36, 0x10000, v9
	s_delay_alu instid0(VALU_DEP_2) | instskip(NEXT) | instid1(VALU_DEP_1)
	v_cmp_eq_u32_e64 s1, 0, v34
	v_cndmask_b32_e64 v55, v36, v9, s1
; %bb.1717:                             ;   in Loop: Header=BB432_1571 Depth=1
	s_or_b32 exec_lo, exec_lo, s11
	v_and_b32_e32 v87, 0xffff0000, v33
	v_lshlrev_b32_e32 v7, 16, v7
                                        ; implicit-def: $vgpr64
	s_delay_alu instid0(VALU_DEP_1) | instskip(NEXT) | instid1(VALU_DEP_1)
	v_mul_f32_e32 v7, v87, v7
	v_and_b32_e32 v9, 0x7f800000, v7
	s_delay_alu instid0(VALU_DEP_1) | instskip(NEXT) | instid1(VALU_DEP_1)
	v_cmp_ne_u32_e64 s1, 0x7f800000, v9
	s_and_saveexec_b32 s11, s1
	s_delay_alu instid0(SALU_CYCLE_1)
	s_xor_b32 s1, exec_lo, s11
; %bb.1718:                             ;   in Loop: Header=BB432_1571 Depth=1
	v_bfe_u32 v9, v7, 16, 1
	s_delay_alu instid0(VALU_DEP_1)
	v_add3_u32 v64, v7, v9, 0x7fff
                                        ; implicit-def: $vgpr7
; %bb.1719:                             ;   in Loop: Header=BB432_1571 Depth=1
	s_and_not1_saveexec_b32 s11, s1
; %bb.1720:                             ;   in Loop: Header=BB432_1571 Depth=1
	v_and_b32_e32 v9, 0xffff, v7
	v_or_b32_e32 v33, 0x10000, v7
	s_delay_alu instid0(VALU_DEP_2) | instskip(NEXT) | instid1(VALU_DEP_1)
	v_cmp_eq_u32_e64 s1, 0, v9
	v_cndmask_b32_e64 v64, v33, v7, s1
; %bb.1721:                             ;   in Loop: Header=BB432_1571 Depth=1
	s_or_b32 exec_lo, exec_lo, s11
	v_and_b32_e32 v96, 0xffff0000, v32
	v_lshlrev_b32_e32 v6, 16, v6
                                        ; implicit-def: $vgpr65
	s_delay_alu instid0(VALU_DEP_1) | instskip(NEXT) | instid1(VALU_DEP_1)
	v_mul_f32_e32 v6, v96, v6
	v_and_b32_e32 v7, 0x7f800000, v6
	s_delay_alu instid0(VALU_DEP_1) | instskip(NEXT) | instid1(VALU_DEP_1)
	v_cmp_ne_u32_e64 s1, 0x7f800000, v7
	s_and_saveexec_b32 s11, s1
	s_delay_alu instid0(SALU_CYCLE_1)
	s_xor_b32 s1, exec_lo, s11
; %bb.1722:                             ;   in Loop: Header=BB432_1571 Depth=1
	v_bfe_u32 v7, v6, 16, 1
	s_delay_alu instid0(VALU_DEP_1)
	v_add3_u32 v65, v6, v7, 0x7fff
                                        ; implicit-def: $vgpr6
; %bb.1723:                             ;   in Loop: Header=BB432_1571 Depth=1
	s_and_not1_saveexec_b32 s11, s1
; %bb.1724:                             ;   in Loop: Header=BB432_1571 Depth=1
	v_and_b32_e32 v7, 0xffff, v6
	v_or_b32_e32 v9, 0x10000, v6
	s_delay_alu instid0(VALU_DEP_2) | instskip(NEXT) | instid1(VALU_DEP_1)
	v_cmp_eq_u32_e64 s1, 0, v7
	v_cndmask_b32_e64 v65, v9, v6, s1
; %bb.1725:                             ;   in Loop: Header=BB432_1571 Depth=1
	s_or_b32 exec_lo, exec_lo, s11
	v_and_b32_e32 v97, 0xffff0000, v5
	v_lshlrev_b32_e32 v3, 16, v3
                                        ; implicit-def: $vgpr66
	s_delay_alu instid0(VALU_DEP_1) | instskip(NEXT) | instid1(VALU_DEP_1)
	v_mul_f32_e32 v3, v97, v3
	v_and_b32_e32 v5, 0x7f800000, v3
	s_delay_alu instid0(VALU_DEP_1) | instskip(NEXT) | instid1(VALU_DEP_1)
	v_cmp_ne_u32_e64 s1, 0x7f800000, v5
	s_and_saveexec_b32 s11, s1
	s_delay_alu instid0(SALU_CYCLE_1)
	s_xor_b32 s1, exec_lo, s11
; %bb.1726:                             ;   in Loop: Header=BB432_1571 Depth=1
	v_bfe_u32 v5, v3, 16, 1
	s_delay_alu instid0(VALU_DEP_1)
	v_add3_u32 v66, v3, v5, 0x7fff
                                        ; implicit-def: $vgpr3
; %bb.1727:                             ;   in Loop: Header=BB432_1571 Depth=1
	s_and_not1_saveexec_b32 s11, s1
; %bb.1728:                             ;   in Loop: Header=BB432_1571 Depth=1
	v_and_b32_e32 v5, 0xffff, v3
	v_or_b32_e32 v6, 0x10000, v3
	s_delay_alu instid0(VALU_DEP_2) | instskip(NEXT) | instid1(VALU_DEP_1)
	v_cmp_eq_u32_e64 s1, 0, v5
	v_cndmask_b32_e64 v66, v6, v3, s1
; %bb.1729:                             ;   in Loop: Header=BB432_1571 Depth=1
	s_or_b32 exec_lo, exec_lo, s11
	v_and_b32_e32 v98, 0xffff0000, v4
	v_lshlrev_b32_e32 v2, 16, v2
                                        ; implicit-def: $vgpr67
	s_delay_alu instid0(VALU_DEP_1) | instskip(NEXT) | instid1(VALU_DEP_1)
	v_mul_f32_e32 v2, v98, v2
	v_and_b32_e32 v3, 0x7f800000, v2
	s_delay_alu instid0(VALU_DEP_1) | instskip(NEXT) | instid1(VALU_DEP_1)
	v_cmp_ne_u32_e64 s1, 0x7f800000, v3
	s_and_saveexec_b32 s11, s1
	s_delay_alu instid0(SALU_CYCLE_1)
	s_xor_b32 s1, exec_lo, s11
; %bb.1730:                             ;   in Loop: Header=BB432_1571 Depth=1
	v_bfe_u32 v3, v2, 16, 1
	s_delay_alu instid0(VALU_DEP_1)
	v_add3_u32 v67, v2, v3, 0x7fff
                                        ; implicit-def: $vgpr2
; %bb.1731:                             ;   in Loop: Header=BB432_1571 Depth=1
	s_and_not1_saveexec_b32 s11, s1
; %bb.1732:                             ;   in Loop: Header=BB432_1571 Depth=1
	v_and_b32_e32 v3, 0xffff, v2
	v_or_b32_e32 v4, 0x10000, v2
	s_delay_alu instid0(VALU_DEP_2) | instskip(NEXT) | instid1(VALU_DEP_1)
	v_cmp_eq_u32_e64 s1, 0, v3
	v_cndmask_b32_e64 v67, v4, v2, s1
; %bb.1733:                             ;   in Loop: Header=BB432_1571 Depth=1
	s_or_b32 exec_lo, exec_lo, s11
	flat_load_b64 v[2:3], v[0:1] offset:256
	s_mov_b32 s11, exec_lo
	s_waitcnt vmcnt(0) lgkmcnt(0)
	v_dual_mov_b32 v4, 0 :: v_dual_and_b32 v5, 0xff, v2
	s_delay_alu instid0(VALU_DEP_1)
	v_cmpx_ne_u16_e32 0, v5
	s_cbranch_execz .LBB432_1741
; %bb.1734:                             ;   in Loop: Header=BB432_1571 Depth=1
	v_bfrev_b32_e32 v4, 1
	s_mov_b32 s12, exec_lo
	v_cmpx_ne_u16_e32 0x80, v5
	s_cbranch_execz .LBB432_1740
; %bb.1735:                             ;   in Loop: Header=BB432_1571 Depth=1
	v_and_b32_e32 v5, 0x7f, v2
	v_mov_b32_e32 v4, 0x7f800001
	s_mov_b32 s13, exec_lo
	s_delay_alu instid0(VALU_DEP_2)
	v_cmpx_ne_u32_e32 0x7f, v5
	s_cbranch_execz .LBB432_1739
; %bb.1736:                             ;   in Loop: Header=BB432_1571 Depth=1
	v_lshrrev_b32_e32 v4, 3, v5
	v_dual_mov_b32 v7, v3 :: v_dual_mov_b32 v6, v2
	s_mov_b32 s15, exec_lo
	v_cmpx_gt_u32_e32 8, v5
; %bb.1737:                             ;   in Loop: Header=BB432_1571 Depth=1
	v_and_b32_e32 v4, 7, v2
	s_delay_alu instid0(VALU_DEP_1) | instskip(NEXT) | instid1(VALU_DEP_1)
	v_clz_i32_u32_e32 v4, v4
	v_min_u32_e32 v4, 32, v4
	s_delay_alu instid0(VALU_DEP_1) | instskip(SKIP_1) | instid1(VALU_DEP_2)
	v_subrev_nc_u32_e32 v5, 28, v4
	v_sub_nc_u32_e32 v4, 29, v4
	v_lshlrev_b64 v[6:7], v5, v[2:3]
; %bb.1738:                             ;   in Loop: Header=BB432_1571 Depth=1
	s_or_b32 exec_lo, exec_lo, s15
	s_delay_alu instid0(VALU_DEP_1) | instskip(SKIP_2) | instid1(VALU_DEP_3)
	v_lshlrev_b32_e32 v5, 20, v6
	v_lshlrev_b32_e32 v6, 24, v2
	v_lshl_add_u32 v4, v4, 23, 0x3c000000
	v_and_b32_e32 v5, 0x700000, v5
	s_delay_alu instid0(VALU_DEP_3) | instskip(NEXT) | instid1(VALU_DEP_1)
	v_and_b32_e32 v6, 0x80000000, v6
	v_or3_b32 v4, v5, v6, v4
.LBB432_1739:                           ;   in Loop: Header=BB432_1571 Depth=1
	s_or_b32 exec_lo, exec_lo, s13
.LBB432_1740:                           ;   in Loop: Header=BB432_1571 Depth=1
	s_delay_alu instid0(SALU_CYCLE_1)
	s_or_b32 exec_lo, exec_lo, s12
.LBB432_1741:                           ;   in Loop: Header=BB432_1571 Depth=1
	s_delay_alu instid0(SALU_CYCLE_1) | instskip(NEXT) | instid1(VALU_DEP_1)
	s_or_b32 exec_lo, exec_lo, s11
	v_mul_f32_e32 v5, v26, v4
	s_delay_alu instid0(VALU_DEP_1) | instskip(NEXT) | instid1(VALU_DEP_1)
	v_and_b32_e32 v4, 0x7f800000, v5
	v_cmp_ne_u32_e64 s1, 0x7f800000, v4
                                        ; implicit-def: $vgpr4
	s_delay_alu instid0(VALU_DEP_1) | instskip(NEXT) | instid1(SALU_CYCLE_1)
	s_and_saveexec_b32 s11, s1
	s_xor_b32 s1, exec_lo, s11
; %bb.1742:                             ;   in Loop: Header=BB432_1571 Depth=1
	v_bfe_u32 v4, v5, 16, 1
	s_delay_alu instid0(VALU_DEP_1)
	v_add3_u32 v4, v5, v4, 0x7fff
                                        ; implicit-def: $vgpr5
; %bb.1743:                             ;   in Loop: Header=BB432_1571 Depth=1
	s_and_not1_saveexec_b32 s11, s1
; %bb.1744:                             ;   in Loop: Header=BB432_1571 Depth=1
	v_and_b32_e32 v4, 0xffff, v5
	v_or_b32_e32 v6, 0x10000, v5
	s_delay_alu instid0(VALU_DEP_2) | instskip(NEXT) | instid1(VALU_DEP_1)
	v_cmp_eq_u32_e64 s1, 0, v4
	v_cndmask_b32_e64 v4, v6, v5, s1
; %bb.1745:                             ;   in Loop: Header=BB432_1571 Depth=1
	s_or_b32 exec_lo, exec_lo, s11
	v_lshrrev_b16 v6, 8, v2
	v_mov_b32_e32 v5, 0
	s_mov_b32 s11, exec_lo
	s_delay_alu instid0(VALU_DEP_2)
	v_cmpx_ne_u16_e32 0, v6
	s_cbranch_execz .LBB432_1753
; %bb.1746:                             ;   in Loop: Header=BB432_1571 Depth=1
	v_bfrev_b32_e32 v5, 1
	s_mov_b32 s12, exec_lo
	v_cmpx_ne_u16_e32 0x80, v6
	s_cbranch_execz .LBB432_1752
; %bb.1747:                             ;   in Loop: Header=BB432_1571 Depth=1
	v_and_b32_e32 v7, 0xffff, v6
	v_mov_b32_e32 v5, 0x7f800001
	s_mov_b32 s13, exec_lo
	s_delay_alu instid0(VALU_DEP_2) | instskip(NEXT) | instid1(VALU_DEP_1)
	v_and_b32_e32 v6, 0x7f, v7
	v_cmpx_ne_u32_e32 0x7f, v6
	s_cbranch_execz .LBB432_1751
; %bb.1748:                             ;   in Loop: Header=BB432_1571 Depth=1
	v_and_b32_e32 v9, 7, v7
	v_lshrrev_b32_e32 v5, 3, v6
	v_cmp_gt_u32_e64 s1, 8, v6
	s_delay_alu instid0(VALU_DEP_3) | instskip(NEXT) | instid1(VALU_DEP_2)
	v_dual_mov_b32 v6, v9 :: v_dual_mov_b32 v7, v10
	s_and_saveexec_b32 s15, s1
; %bb.1749:                             ;   in Loop: Header=BB432_1571 Depth=1
	v_clz_i32_u32_e32 v5, v9
	s_delay_alu instid0(VALU_DEP_1) | instskip(NEXT) | instid1(VALU_DEP_1)
	v_min_u32_e32 v5, 32, v5
	v_subrev_nc_u32_e32 v6, 28, v5
	v_sub_nc_u32_e32 v5, 29, v5
	s_delay_alu instid0(VALU_DEP_2) | instskip(NEXT) | instid1(VALU_DEP_1)
	v_lshlrev_b64 v[6:7], v6, v[9:10]
	v_and_b32_e32 v6, 7, v6
; %bb.1750:                             ;   in Loop: Header=BB432_1571 Depth=1
	s_or_b32 exec_lo, exec_lo, s15
	v_lshlrev_b32_e32 v7, 16, v2
	s_delay_alu instid0(VALU_DEP_2) | instskip(SKIP_1) | instid1(VALU_DEP_3)
	v_lshlrev_b32_e32 v6, 20, v6
	v_lshl_add_u32 v5, v5, 23, 0x3c000000
	v_and_b32_e32 v7, 0x80000000, v7
	s_delay_alu instid0(VALU_DEP_1)
	v_or3_b32 v5, v6, v7, v5
.LBB432_1751:                           ;   in Loop: Header=BB432_1571 Depth=1
	s_or_b32 exec_lo, exec_lo, s13
.LBB432_1752:                           ;   in Loop: Header=BB432_1571 Depth=1
	s_delay_alu instid0(SALU_CYCLE_1)
	s_or_b32 exec_lo, exec_lo, s12
.LBB432_1753:                           ;   in Loop: Header=BB432_1571 Depth=1
	s_delay_alu instid0(SALU_CYCLE_1) | instskip(NEXT) | instid1(VALU_DEP_1)
	s_or_b32 exec_lo, exec_lo, s11
	v_mul_f32_e32 v6, v26, v5
	s_delay_alu instid0(VALU_DEP_1) | instskip(NEXT) | instid1(VALU_DEP_1)
	v_and_b32_e32 v5, 0x7f800000, v6
	v_cmp_ne_u32_e64 s1, 0x7f800000, v5
                                        ; implicit-def: $vgpr5
	s_delay_alu instid0(VALU_DEP_1) | instskip(NEXT) | instid1(SALU_CYCLE_1)
	s_and_saveexec_b32 s11, s1
	s_xor_b32 s1, exec_lo, s11
; %bb.1754:                             ;   in Loop: Header=BB432_1571 Depth=1
	v_bfe_u32 v5, v6, 16, 1
	s_delay_alu instid0(VALU_DEP_1)
	v_add3_u32 v5, v6, v5, 0x7fff
                                        ; implicit-def: $vgpr6
; %bb.1755:                             ;   in Loop: Header=BB432_1571 Depth=1
	s_and_not1_saveexec_b32 s11, s1
; %bb.1756:                             ;   in Loop: Header=BB432_1571 Depth=1
	v_and_b32_e32 v5, 0xffff, v6
	v_or_b32_e32 v7, 0x10000, v6
	s_delay_alu instid0(VALU_DEP_2) | instskip(NEXT) | instid1(VALU_DEP_1)
	v_cmp_eq_u32_e64 s1, 0, v5
	v_cndmask_b32_e64 v5, v7, v6, s1
; %bb.1757:                             ;   in Loop: Header=BB432_1571 Depth=1
	s_or_b32 exec_lo, exec_lo, s11
	v_lshrrev_b32_e32 v32, 16, v2
	s_mov_b32 s11, exec_lo
	s_delay_alu instid0(VALU_DEP_1) | instskip(NEXT) | instid1(VALU_DEP_1)
	v_dual_mov_b32 v6, 0 :: v_dual_and_b32 v7, 0xff, v32
	v_cmpx_ne_u16_e32 0, v7
	s_cbranch_execz .LBB432_1765
; %bb.1758:                             ;   in Loop: Header=BB432_1571 Depth=1
	v_bfrev_b32_e32 v6, 1
	s_mov_b32 s12, exec_lo
	v_cmpx_ne_u16_e32 0x80, v7
	s_cbranch_execz .LBB432_1764
; %bb.1759:                             ;   in Loop: Header=BB432_1571 Depth=1
	v_bfe_u32 v7, v2, 16, 7
	v_mov_b32_e32 v6, 0x7f800001
	s_mov_b32 s13, exec_lo
	s_delay_alu instid0(VALU_DEP_2)
	v_cmpx_ne_u32_e32 0x7f, v7
	s_cbranch_execz .LBB432_1763
; %bb.1760:                             ;   in Loop: Header=BB432_1571 Depth=1
	v_and_b32_e32 v9, 7, v32
	v_lshrrev_b32_e32 v33, 3, v7
	v_cmp_gt_u32_e64 s1, 8, v7
	s_delay_alu instid0(VALU_DEP_3) | instskip(NEXT) | instid1(VALU_DEP_2)
	v_dual_mov_b32 v6, v9 :: v_dual_mov_b32 v7, v10
	s_and_saveexec_b32 s15, s1
; %bb.1761:                             ;   in Loop: Header=BB432_1571 Depth=1
	v_clz_i32_u32_e32 v6, v9
	s_delay_alu instid0(VALU_DEP_1) | instskip(NEXT) | instid1(VALU_DEP_1)
	v_min_u32_e32 v33, 32, v6
	v_subrev_nc_u32_e32 v6, 28, v33
	v_sub_nc_u32_e32 v33, 29, v33
	s_delay_alu instid0(VALU_DEP_2) | instskip(NEXT) | instid1(VALU_DEP_1)
	v_lshlrev_b64 v[6:7], v6, v[9:10]
	v_and_b32_e32 v6, 7, v6
; %bb.1762:                             ;   in Loop: Header=BB432_1571 Depth=1
	s_or_b32 exec_lo, exec_lo, s15
	v_lshlrev_b32_e32 v7, 24, v32
	s_delay_alu instid0(VALU_DEP_2) | instskip(SKIP_1) | instid1(VALU_DEP_3)
	v_lshlrev_b32_e32 v6, 20, v6
	v_lshl_add_u32 v9, v33, 23, 0x3c000000
	v_and_b32_e32 v7, 0x80000000, v7
	s_delay_alu instid0(VALU_DEP_1)
	v_or3_b32 v6, v6, v7, v9
.LBB432_1763:                           ;   in Loop: Header=BB432_1571 Depth=1
	s_or_b32 exec_lo, exec_lo, s13
.LBB432_1764:                           ;   in Loop: Header=BB432_1571 Depth=1
	s_delay_alu instid0(SALU_CYCLE_1)
	s_or_b32 exec_lo, exec_lo, s12
.LBB432_1765:                           ;   in Loop: Header=BB432_1571 Depth=1
	s_delay_alu instid0(SALU_CYCLE_1) | instskip(NEXT) | instid1(VALU_DEP_1)
	s_or_b32 exec_lo, exec_lo, s11
	v_mul_f32_e32 v6, v26, v6
                                        ; implicit-def: $vgpr32
	s_delay_alu instid0(VALU_DEP_1) | instskip(NEXT) | instid1(VALU_DEP_1)
	v_and_b32_e32 v7, 0x7f800000, v6
	v_cmp_ne_u32_e64 s1, 0x7f800000, v7
	s_delay_alu instid0(VALU_DEP_1) | instskip(NEXT) | instid1(SALU_CYCLE_1)
	s_and_saveexec_b32 s11, s1
	s_xor_b32 s1, exec_lo, s11
; %bb.1766:                             ;   in Loop: Header=BB432_1571 Depth=1
	v_bfe_u32 v7, v6, 16, 1
	s_delay_alu instid0(VALU_DEP_1)
	v_add3_u32 v32, v6, v7, 0x7fff
                                        ; implicit-def: $vgpr6
; %bb.1767:                             ;   in Loop: Header=BB432_1571 Depth=1
	s_and_not1_saveexec_b32 s11, s1
; %bb.1768:                             ;   in Loop: Header=BB432_1571 Depth=1
	v_and_b32_e32 v7, 0xffff, v6
	v_or_b32_e32 v9, 0x10000, v6
	s_delay_alu instid0(VALU_DEP_2) | instskip(NEXT) | instid1(VALU_DEP_1)
	v_cmp_eq_u32_e64 s1, 0, v7
	v_cndmask_b32_e64 v32, v9, v6, s1
; %bb.1769:                             ;   in Loop: Header=BB432_1571 Depth=1
	s_or_b32 exec_lo, exec_lo, s11
	v_mov_b32_e32 v6, 0
	s_mov_b32 s11, exec_lo
	v_cmpx_lt_u32_e32 0xffffff, v2
	s_cbranch_execz .LBB432_1777
; %bb.1770:                             ;   in Loop: Header=BB432_1571 Depth=1
	v_lshrrev_b32_e32 v33, 24, v2
	v_bfrev_b32_e32 v6, 1
	s_mov_b32 s12, exec_lo
	s_delay_alu instid0(VALU_DEP_2)
	v_cmpx_ne_u32_e32 0x80, v33
	s_cbranch_execz .LBB432_1776
; %bb.1771:                             ;   in Loop: Header=BB432_1571 Depth=1
	v_bfe_u32 v7, v2, 24, 7
	v_mov_b32_e32 v6, 0x7f800001
	s_mov_b32 s13, exec_lo
	s_delay_alu instid0(VALU_DEP_2)
	v_cmpx_ne_u32_e32 0x7f, v7
	s_cbranch_execz .LBB432_1775
; %bb.1772:                             ;   in Loop: Header=BB432_1571 Depth=1
	v_and_b32_e32 v9, 7, v33
	v_lshrrev_b32_e32 v34, 3, v7
	v_cmp_gt_u32_e64 s1, 8, v7
	s_delay_alu instid0(VALU_DEP_3) | instskip(NEXT) | instid1(VALU_DEP_2)
	v_dual_mov_b32 v6, v9 :: v_dual_mov_b32 v7, v10
	s_and_saveexec_b32 s15, s1
; %bb.1773:                             ;   in Loop: Header=BB432_1571 Depth=1
	v_clz_i32_u32_e32 v6, v9
	s_delay_alu instid0(VALU_DEP_1) | instskip(NEXT) | instid1(VALU_DEP_1)
	v_min_u32_e32 v34, 32, v6
	v_subrev_nc_u32_e32 v6, 28, v34
	v_sub_nc_u32_e32 v34, 29, v34
	s_delay_alu instid0(VALU_DEP_2) | instskip(NEXT) | instid1(VALU_DEP_1)
	v_lshlrev_b64 v[6:7], v6, v[9:10]
	v_and_b32_e32 v6, 7, v6
; %bb.1774:                             ;   in Loop: Header=BB432_1571 Depth=1
	s_or_b32 exec_lo, exec_lo, s15
	v_lshlrev_b32_e32 v7, 24, v33
	s_delay_alu instid0(VALU_DEP_2) | instskip(SKIP_1) | instid1(VALU_DEP_3)
	v_lshlrev_b32_e32 v6, 20, v6
	v_lshl_add_u32 v9, v34, 23, 0x3c000000
	v_and_b32_e32 v7, 0x80000000, v7
	s_delay_alu instid0(VALU_DEP_1)
	v_or3_b32 v6, v6, v7, v9
.LBB432_1775:                           ;   in Loop: Header=BB432_1571 Depth=1
	s_or_b32 exec_lo, exec_lo, s13
.LBB432_1776:                           ;   in Loop: Header=BB432_1571 Depth=1
	s_delay_alu instid0(SALU_CYCLE_1)
	s_or_b32 exec_lo, exec_lo, s12
.LBB432_1777:                           ;   in Loop: Header=BB432_1571 Depth=1
	s_delay_alu instid0(SALU_CYCLE_1) | instskip(NEXT) | instid1(VALU_DEP_1)
	s_or_b32 exec_lo, exec_lo, s11
	v_mul_f32_e32 v6, v26, v6
                                        ; implicit-def: $vgpr33
	s_delay_alu instid0(VALU_DEP_1) | instskip(NEXT) | instid1(VALU_DEP_1)
	v_and_b32_e32 v7, 0x7f800000, v6
	v_cmp_ne_u32_e64 s1, 0x7f800000, v7
	s_delay_alu instid0(VALU_DEP_1) | instskip(NEXT) | instid1(SALU_CYCLE_1)
	s_and_saveexec_b32 s11, s1
	s_xor_b32 s1, exec_lo, s11
; %bb.1778:                             ;   in Loop: Header=BB432_1571 Depth=1
	v_bfe_u32 v7, v6, 16, 1
	s_delay_alu instid0(VALU_DEP_1)
	v_add3_u32 v33, v6, v7, 0x7fff
                                        ; implicit-def: $vgpr6
; %bb.1779:                             ;   in Loop: Header=BB432_1571 Depth=1
	s_and_not1_saveexec_b32 s11, s1
; %bb.1780:                             ;   in Loop: Header=BB432_1571 Depth=1
	v_and_b32_e32 v7, 0xffff, v6
	v_or_b32_e32 v9, 0x10000, v6
	s_delay_alu instid0(VALU_DEP_2) | instskip(NEXT) | instid1(VALU_DEP_1)
	v_cmp_eq_u32_e64 s1, 0, v7
	v_cndmask_b32_e64 v33, v9, v6, s1
; %bb.1781:                             ;   in Loop: Header=BB432_1571 Depth=1
	s_or_b32 exec_lo, exec_lo, s11
	v_dual_mov_b32 v6, 0 :: v_dual_and_b32 v7, 0xff, v3
	v_mov_b32_e32 v9, v3
	s_mov_b32 s11, exec_lo
	s_delay_alu instid0(VALU_DEP_2)
	v_cmpx_ne_u16_e32 0, v7
	s_cbranch_execz .LBB432_1789
; %bb.1782:                             ;   in Loop: Header=BB432_1571 Depth=1
	v_bfrev_b32_e32 v6, 1
	s_mov_b32 s12, exec_lo
	v_cmpx_ne_u16_e32 0x80, v7
	s_cbranch_execz .LBB432_1788
; %bb.1783:                             ;   in Loop: Header=BB432_1571 Depth=1
	v_and_b32_e32 v7, 0x7f, v3
	v_mov_b32_e32 v6, 0x7f800001
	s_mov_b32 s13, exec_lo
	s_delay_alu instid0(VALU_DEP_2)
	v_cmpx_ne_u32_e32 0x7f, v7
	s_cbranch_execz .LBB432_1787
; %bb.1784:                             ;   in Loop: Header=BB432_1571 Depth=1
	v_lshrrev_b32_e32 v34, 3, v7
	v_cmp_gt_u32_e64 s1, 8, v7
	v_dual_mov_b32 v6, v9 :: v_dual_mov_b32 v7, v10
	s_delay_alu instid0(VALU_DEP_2)
	s_and_saveexec_b32 s15, s1
; %bb.1785:                             ;   in Loop: Header=BB432_1571 Depth=1
	v_and_b32_e32 v6, 7, v3
	s_delay_alu instid0(VALU_DEP_1) | instskip(NEXT) | instid1(VALU_DEP_1)
	v_clz_i32_u32_e32 v6, v6
	v_min_u32_e32 v34, 32, v6
	s_delay_alu instid0(VALU_DEP_1) | instskip(SKIP_1) | instid1(VALU_DEP_2)
	v_subrev_nc_u32_e32 v6, 28, v34
	v_sub_nc_u32_e32 v34, 29, v34
	v_lshlrev_b64 v[6:7], v6, v[9:10]
; %bb.1786:                             ;   in Loop: Header=BB432_1571 Depth=1
	s_or_b32 exec_lo, exec_lo, s15
	s_delay_alu instid0(VALU_DEP_1) | instskip(SKIP_2) | instid1(VALU_DEP_3)
	v_lshlrev_b32_e32 v6, 20, v6
	v_lshlrev_b32_e32 v7, 24, v9
	v_lshl_add_u32 v34, v34, 23, 0x3c000000
	v_and_b32_e32 v6, 0x700000, v6
	s_delay_alu instid0(VALU_DEP_3) | instskip(NEXT) | instid1(VALU_DEP_1)
	v_and_b32_e32 v7, 0x80000000, v7
	v_or3_b32 v6, v6, v7, v34
.LBB432_1787:                           ;   in Loop: Header=BB432_1571 Depth=1
	s_or_b32 exec_lo, exec_lo, s13
.LBB432_1788:                           ;   in Loop: Header=BB432_1571 Depth=1
	s_delay_alu instid0(SALU_CYCLE_1)
	s_or_b32 exec_lo, exec_lo, s12
.LBB432_1789:                           ;   in Loop: Header=BB432_1571 Depth=1
	s_delay_alu instid0(SALU_CYCLE_1) | instskip(NEXT) | instid1(VALU_DEP_1)
	s_or_b32 exec_lo, exec_lo, s11
	v_mul_f32_e32 v6, v26, v6
                                        ; implicit-def: $vgpr34
	s_delay_alu instid0(VALU_DEP_1) | instskip(NEXT) | instid1(VALU_DEP_1)
	v_and_b32_e32 v7, 0x7f800000, v6
	v_cmp_ne_u32_e64 s1, 0x7f800000, v7
	s_delay_alu instid0(VALU_DEP_1) | instskip(NEXT) | instid1(SALU_CYCLE_1)
	s_and_saveexec_b32 s11, s1
	s_xor_b32 s1, exec_lo, s11
; %bb.1790:                             ;   in Loop: Header=BB432_1571 Depth=1
	v_bfe_u32 v7, v6, 16, 1
	s_delay_alu instid0(VALU_DEP_1)
	v_add3_u32 v34, v6, v7, 0x7fff
                                        ; implicit-def: $vgpr6
; %bb.1791:                             ;   in Loop: Header=BB432_1571 Depth=1
	s_and_not1_saveexec_b32 s11, s1
; %bb.1792:                             ;   in Loop: Header=BB432_1571 Depth=1
	v_and_b32_e32 v7, 0xffff, v6
	v_or_b32_e32 v34, 0x10000, v6
	s_delay_alu instid0(VALU_DEP_2) | instskip(NEXT) | instid1(VALU_DEP_1)
	v_cmp_eq_u32_e64 s1, 0, v7
	v_cndmask_b32_e64 v34, v34, v6, s1
; %bb.1793:                             ;   in Loop: Header=BB432_1571 Depth=1
	s_or_b32 exec_lo, exec_lo, s11
	v_lshrrev_b16 v7, 8, v9
	v_mov_b32_e32 v6, 0
	s_mov_b32 s11, exec_lo
	s_delay_alu instid0(VALU_DEP_2)
	v_cmpx_ne_u16_e32 0, v7
	s_cbranch_execz .LBB432_1801
; %bb.1794:                             ;   in Loop: Header=BB432_1571 Depth=1
	v_bfrev_b32_e32 v6, 1
	s_mov_b32 s12, exec_lo
	v_cmpx_ne_u16_e32 0x80, v7
	s_cbranch_execz .LBB432_1800
; %bb.1795:                             ;   in Loop: Header=BB432_1571 Depth=1
	v_and_b32_e32 v7, 0xffff, v7
	v_mov_b32_e32 v6, 0x7f800001
	s_mov_b32 s13, exec_lo
	s_delay_alu instid0(VALU_DEP_2) | instskip(NEXT) | instid1(VALU_DEP_1)
	v_and_b32_e32 v99, 0x7f, v7
	v_cmpx_ne_u32_e32 0x7f, v99
	s_cbranch_execz .LBB432_1799
; %bb.1796:                             ;   in Loop: Header=BB432_1571 Depth=1
	v_dual_mov_b32 v7, v10 :: v_dual_and_b32 v6, 7, v7
	v_lshrrev_b32_e32 v36, 3, v99
	s_mov_b32 s15, exec_lo
	v_cmpx_gt_u32_e32 8, v99
; %bb.1797:                             ;   in Loop: Header=BB432_1571 Depth=1
	s_delay_alu instid0(VALU_DEP_3) | instskip(NEXT) | instid1(VALU_DEP_1)
	v_clz_i32_u32_e32 v36, v6
	v_min_u32_e32 v36, 32, v36
	s_delay_alu instid0(VALU_DEP_1) | instskip(SKIP_1) | instid1(VALU_DEP_2)
	v_subrev_nc_u32_e32 v99, 28, v36
	v_sub_nc_u32_e32 v36, 29, v36
	v_lshlrev_b64 v[6:7], v99, v[6:7]
	s_delay_alu instid0(VALU_DEP_1)
	v_and_b32_e32 v6, 7, v6
; %bb.1798:                             ;   in Loop: Header=BB432_1571 Depth=1
	s_or_b32 exec_lo, exec_lo, s15
	v_lshlrev_b32_e32 v7, 16, v9
	s_delay_alu instid0(VALU_DEP_2) | instskip(SKIP_1) | instid1(VALU_DEP_3)
	v_lshlrev_b32_e32 v6, 20, v6
	v_lshl_add_u32 v9, v36, 23, 0x3c000000
	v_and_b32_e32 v7, 0x80000000, v7
	s_delay_alu instid0(VALU_DEP_1)
	v_or3_b32 v6, v6, v7, v9
.LBB432_1799:                           ;   in Loop: Header=BB432_1571 Depth=1
	s_or_b32 exec_lo, exec_lo, s13
.LBB432_1800:                           ;   in Loop: Header=BB432_1571 Depth=1
	s_delay_alu instid0(SALU_CYCLE_1)
	s_or_b32 exec_lo, exec_lo, s12
.LBB432_1801:                           ;   in Loop: Header=BB432_1571 Depth=1
	s_delay_alu instid0(SALU_CYCLE_1) | instskip(NEXT) | instid1(VALU_DEP_1)
	s_or_b32 exec_lo, exec_lo, s11
	v_mul_f32_e32 v6, v26, v6
                                        ; implicit-def: $vgpr36
	s_delay_alu instid0(VALU_DEP_1) | instskip(NEXT) | instid1(VALU_DEP_1)
	v_and_b32_e32 v7, 0x7f800000, v6
	v_cmp_ne_u32_e64 s1, 0x7f800000, v7
	s_delay_alu instid0(VALU_DEP_1) | instskip(NEXT) | instid1(SALU_CYCLE_1)
	s_and_saveexec_b32 s11, s1
	s_xor_b32 s1, exec_lo, s11
; %bb.1802:                             ;   in Loop: Header=BB432_1571 Depth=1
	v_bfe_u32 v7, v6, 16, 1
	s_delay_alu instid0(VALU_DEP_1)
	v_add3_u32 v36, v6, v7, 0x7fff
                                        ; implicit-def: $vgpr6
; %bb.1803:                             ;   in Loop: Header=BB432_1571 Depth=1
	s_and_not1_saveexec_b32 s11, s1
; %bb.1804:                             ;   in Loop: Header=BB432_1571 Depth=1
	v_and_b32_e32 v7, 0xffff, v6
	v_or_b32_e32 v9, 0x10000, v6
	s_delay_alu instid0(VALU_DEP_2) | instskip(NEXT) | instid1(VALU_DEP_1)
	v_cmp_eq_u32_e64 s1, 0, v7
	v_cndmask_b32_e64 v36, v9, v6, s1
; %bb.1805:                             ;   in Loop: Header=BB432_1571 Depth=1
	s_or_b32 exec_lo, exec_lo, s11
	v_lshrrev_b32_e32 v99, 16, v3
	s_mov_b32 s11, exec_lo
	s_delay_alu instid0(VALU_DEP_1) | instskip(NEXT) | instid1(VALU_DEP_1)
	v_dual_mov_b32 v6, 0 :: v_dual_and_b32 v7, 0xff, v99
	v_cmpx_ne_u16_e32 0, v7
	s_cbranch_execz .LBB432_1813
; %bb.1806:                             ;   in Loop: Header=BB432_1571 Depth=1
	v_bfrev_b32_e32 v6, 1
	s_mov_b32 s12, exec_lo
	v_cmpx_ne_u16_e32 0x80, v7
	s_cbranch_execz .LBB432_1812
; %bb.1807:                             ;   in Loop: Header=BB432_1571 Depth=1
	v_bfe_u32 v7, v3, 16, 7
	v_mov_b32_e32 v6, 0x7f800001
	s_mov_b32 s13, exec_lo
	s_delay_alu instid0(VALU_DEP_2)
	v_cmpx_ne_u32_e32 0x7f, v7
	s_cbranch_execz .LBB432_1811
; %bb.1808:                             ;   in Loop: Header=BB432_1571 Depth=1
	v_and_b32_e32 v9, 7, v99
	v_lshrrev_b32_e32 v100, 3, v7
	v_cmp_gt_u32_e64 s1, 8, v7
	s_delay_alu instid0(VALU_DEP_3) | instskip(NEXT) | instid1(VALU_DEP_2)
	v_dual_mov_b32 v6, v9 :: v_dual_mov_b32 v7, v10
	s_and_saveexec_b32 s15, s1
; %bb.1809:                             ;   in Loop: Header=BB432_1571 Depth=1
	v_clz_i32_u32_e32 v6, v9
	s_delay_alu instid0(VALU_DEP_1) | instskip(NEXT) | instid1(VALU_DEP_1)
	v_min_u32_e32 v100, 32, v6
	v_subrev_nc_u32_e32 v6, 28, v100
	v_sub_nc_u32_e32 v100, 29, v100
	s_delay_alu instid0(VALU_DEP_2) | instskip(NEXT) | instid1(VALU_DEP_1)
	v_lshlrev_b64 v[6:7], v6, v[9:10]
	v_and_b32_e32 v6, 7, v6
; %bb.1810:                             ;   in Loop: Header=BB432_1571 Depth=1
	s_or_b32 exec_lo, exec_lo, s15
	v_lshlrev_b32_e32 v7, 24, v99
	s_delay_alu instid0(VALU_DEP_2) | instskip(SKIP_1) | instid1(VALU_DEP_3)
	v_lshlrev_b32_e32 v6, 20, v6
	v_lshl_add_u32 v9, v100, 23, 0x3c000000
	v_and_b32_e32 v7, 0x80000000, v7
	s_delay_alu instid0(VALU_DEP_1)
	v_or3_b32 v6, v6, v7, v9
.LBB432_1811:                           ;   in Loop: Header=BB432_1571 Depth=1
	s_or_b32 exec_lo, exec_lo, s13
.LBB432_1812:                           ;   in Loop: Header=BB432_1571 Depth=1
	s_delay_alu instid0(SALU_CYCLE_1)
	s_or_b32 exec_lo, exec_lo, s12
.LBB432_1813:                           ;   in Loop: Header=BB432_1571 Depth=1
	s_delay_alu instid0(SALU_CYCLE_1) | instskip(NEXT) | instid1(VALU_DEP_1)
	s_or_b32 exec_lo, exec_lo, s11
	v_mul_f32_e32 v6, v26, v6
                                        ; implicit-def: $vgpr99
	s_delay_alu instid0(VALU_DEP_1) | instskip(NEXT) | instid1(VALU_DEP_1)
	v_and_b32_e32 v7, 0x7f800000, v6
	v_cmp_ne_u32_e64 s1, 0x7f800000, v7
	s_delay_alu instid0(VALU_DEP_1) | instskip(NEXT) | instid1(SALU_CYCLE_1)
	s_and_saveexec_b32 s11, s1
	s_xor_b32 s1, exec_lo, s11
; %bb.1814:                             ;   in Loop: Header=BB432_1571 Depth=1
	v_bfe_u32 v7, v6, 16, 1
	s_delay_alu instid0(VALU_DEP_1)
	v_add3_u32 v99, v6, v7, 0x7fff
                                        ; implicit-def: $vgpr6
; %bb.1815:                             ;   in Loop: Header=BB432_1571 Depth=1
	s_and_not1_saveexec_b32 s11, s1
; %bb.1816:                             ;   in Loop: Header=BB432_1571 Depth=1
	v_and_b32_e32 v7, 0xffff, v6
	v_or_b32_e32 v9, 0x10000, v6
	s_delay_alu instid0(VALU_DEP_2) | instskip(NEXT) | instid1(VALU_DEP_1)
	v_cmp_eq_u32_e64 s1, 0, v7
	v_cndmask_b32_e64 v99, v9, v6, s1
; %bb.1817:                             ;   in Loop: Header=BB432_1571 Depth=1
	s_or_b32 exec_lo, exec_lo, s11
	v_cmp_lt_u64_e64 s1, s[2:3], v[2:3]
	v_mov_b32_e32 v2, 0
	s_delay_alu instid0(VALU_DEP_2)
	s_and_saveexec_b32 s11, s1
	s_cbranch_execz .LBB432_1825
; %bb.1818:                             ;   in Loop: Header=BB432_1571 Depth=1
	v_lshrrev_b32_e32 v6, 24, v3
	v_bfrev_b32_e32 v2, 1
	s_mov_b32 s12, exec_lo
	s_delay_alu instid0(VALU_DEP_2)
	v_cmpx_ne_u32_e32 0x80, v6
	s_cbranch_execz .LBB432_1824
; %bb.1819:                             ;   in Loop: Header=BB432_1571 Depth=1
	v_bfe_u32 v3, v3, 24, 7
	v_mov_b32_e32 v2, 0x7f800001
	s_mov_b32 s13, exec_lo
	s_delay_alu instid0(VALU_DEP_2)
	v_cmpx_ne_u32_e32 0x7f, v3
	s_cbranch_execz .LBB432_1823
; %bb.1820:                             ;   in Loop: Header=BB432_1571 Depth=1
	v_and_b32_e32 v9, 7, v6
	v_lshrrev_b32_e32 v7, 3, v3
	v_cmp_gt_u32_e64 s1, 8, v3
	s_delay_alu instid0(VALU_DEP_3) | instskip(NEXT) | instid1(VALU_DEP_2)
	v_dual_mov_b32 v2, v9 :: v_dual_mov_b32 v3, v10
	s_and_saveexec_b32 s15, s1
; %bb.1821:                             ;   in Loop: Header=BB432_1571 Depth=1
	v_clz_i32_u32_e32 v2, v9
	s_delay_alu instid0(VALU_DEP_1) | instskip(NEXT) | instid1(VALU_DEP_1)
	v_min_u32_e32 v7, 32, v2
	v_subrev_nc_u32_e32 v2, 28, v7
	v_sub_nc_u32_e32 v7, 29, v7
	s_delay_alu instid0(VALU_DEP_2) | instskip(NEXT) | instid1(VALU_DEP_1)
	v_lshlrev_b64 v[2:3], v2, v[9:10]
	v_and_b32_e32 v2, 7, v2
; %bb.1822:                             ;   in Loop: Header=BB432_1571 Depth=1
	s_or_b32 exec_lo, exec_lo, s15
	v_lshlrev_b32_e32 v3, 24, v6
	s_delay_alu instid0(VALU_DEP_2) | instskip(SKIP_1) | instid1(VALU_DEP_3)
	v_lshlrev_b32_e32 v2, 20, v2
	v_lshl_add_u32 v6, v7, 23, 0x3c000000
	v_and_b32_e32 v3, 0x80000000, v3
	s_delay_alu instid0(VALU_DEP_1)
	v_or3_b32 v2, v2, v3, v6
.LBB432_1823:                           ;   in Loop: Header=BB432_1571 Depth=1
	s_or_b32 exec_lo, exec_lo, s13
.LBB432_1824:                           ;   in Loop: Header=BB432_1571 Depth=1
	s_delay_alu instid0(SALU_CYCLE_1)
	s_or_b32 exec_lo, exec_lo, s12
.LBB432_1825:                           ;   in Loop: Header=BB432_1571 Depth=1
	s_delay_alu instid0(SALU_CYCLE_1) | instskip(NEXT) | instid1(VALU_DEP_1)
	s_or_b32 exec_lo, exec_lo, s11
	v_mul_f32_e32 v3, v26, v2
	s_delay_alu instid0(VALU_DEP_1) | instskip(NEXT) | instid1(VALU_DEP_1)
	v_and_b32_e32 v2, 0x7f800000, v3
	v_cmp_ne_u32_e64 s1, 0x7f800000, v2
                                        ; implicit-def: $vgpr2
	s_delay_alu instid0(VALU_DEP_1) | instskip(NEXT) | instid1(SALU_CYCLE_1)
	s_and_saveexec_b32 s11, s1
	s_xor_b32 s1, exec_lo, s11
; %bb.1826:                             ;   in Loop: Header=BB432_1571 Depth=1
	v_bfe_u32 v2, v3, 16, 1
	s_delay_alu instid0(VALU_DEP_1)
	v_add3_u32 v2, v3, v2, 0x7fff
                                        ; implicit-def: $vgpr3
; %bb.1827:                             ;   in Loop: Header=BB432_1571 Depth=1
	s_and_not1_saveexec_b32 s11, s1
; %bb.1828:                             ;   in Loop: Header=BB432_1571 Depth=1
	v_and_b32_e32 v2, 0xffff, v3
	v_or_b32_e32 v6, 0x10000, v3
	s_delay_alu instid0(VALU_DEP_2) | instskip(NEXT) | instid1(VALU_DEP_1)
	v_cmp_eq_u32_e64 s1, 0, v2
	v_cndmask_b32_e64 v2, v6, v3, s1
; %bb.1829:                             ;   in Loop: Header=BB432_1571 Depth=1
	s_or_b32 exec_lo, exec_lo, s11
	v_lshrrev_b32_e32 v6, 16, v36
	v_lshrrev_b32_e32 v7, 16, v34
	;; [unrolled: 1-line block ×8, first 2 shown]
	s_and_saveexec_b32 s11, vcc_lo
	s_cbranch_execz .LBB432_1831
; %bb.1830:                             ;   in Loop: Header=BB432_1571 Depth=1
	v_cmp_lt_i32_e64 s1, v68, v35
	s_delay_alu instid0(VALU_DEP_1) | instskip(SKIP_1) | instid1(VALU_DEP_1)
	v_cndmask_b32_e64 v4, 0, v4, s1
	v_cmp_lt_i32_e64 s1, v82, v35
	v_cndmask_b32_e64 v5, 0, v5, s1
	v_cmp_lt_i32_e64 s1, v81, v35
	s_delay_alu instid0(VALU_DEP_1) | instskip(SKIP_1) | instid1(VALU_DEP_1)
	v_cndmask_b32_e64 v32, 0, v32, s1
	v_cmp_lt_i32_e64 s1, v80, v35
	v_cndmask_b32_e64 v9, 0, v9, s1
	;; [unrolled: 5-line block ×4, first 2 shown]
.LBB432_1831:                           ;   in Loop: Header=BB432_1571 Depth=1
	s_or_b32 exec_lo, exec_lo, s11
	v_lshlrev_b32_e32 v4, 16, v4
                                        ; implicit-def: $vgpr99
	s_delay_alu instid0(VALU_DEP_1) | instskip(NEXT) | instid1(VALU_DEP_1)
	v_mul_f32_e32 v4, v83, v4
	v_and_b32_e32 v33, 0x7f800000, v4
	s_delay_alu instid0(VALU_DEP_1) | instskip(NEXT) | instid1(VALU_DEP_1)
	v_cmp_ne_u32_e64 s1, 0x7f800000, v33
	s_and_saveexec_b32 s11, s1
	s_delay_alu instid0(SALU_CYCLE_1)
	s_xor_b32 s1, exec_lo, s11
; %bb.1832:                             ;   in Loop: Header=BB432_1571 Depth=1
	v_bfe_u32 v33, v4, 16, 1
	s_delay_alu instid0(VALU_DEP_1)
	v_add3_u32 v99, v4, v33, 0x7fff
                                        ; implicit-def: $vgpr4
; %bb.1833:                             ;   in Loop: Header=BB432_1571 Depth=1
	s_and_not1_saveexec_b32 s11, s1
; %bb.1834:                             ;   in Loop: Header=BB432_1571 Depth=1
	v_and_b32_e32 v33, 0xffff, v4
	v_or_b32_e32 v34, 0x10000, v4
	s_delay_alu instid0(VALU_DEP_2) | instskip(NEXT) | instid1(VALU_DEP_1)
	v_cmp_eq_u32_e64 s1, 0, v33
	v_cndmask_b32_e64 v99, v34, v4, s1
; %bb.1835:                             ;   in Loop: Header=BB432_1571 Depth=1
	s_or_b32 exec_lo, exec_lo, s11
	v_lshlrev_b32_e32 v4, 16, v5
                                        ; implicit-def: $vgpr100
	s_delay_alu instid0(VALU_DEP_1) | instskip(NEXT) | instid1(VALU_DEP_1)
	v_mul_f32_e32 v4, v84, v4
	v_and_b32_e32 v5, 0x7f800000, v4
	s_delay_alu instid0(VALU_DEP_1) | instskip(NEXT) | instid1(VALU_DEP_1)
	v_cmp_ne_u32_e64 s1, 0x7f800000, v5
	s_and_saveexec_b32 s11, s1
	s_delay_alu instid0(SALU_CYCLE_1)
	s_xor_b32 s1, exec_lo, s11
; %bb.1836:                             ;   in Loop: Header=BB432_1571 Depth=1
	v_bfe_u32 v5, v4, 16, 1
	s_delay_alu instid0(VALU_DEP_1)
	v_add3_u32 v100, v4, v5, 0x7fff
                                        ; implicit-def: $vgpr4
; %bb.1837:                             ;   in Loop: Header=BB432_1571 Depth=1
	s_and_not1_saveexec_b32 s11, s1
; %bb.1838:                             ;   in Loop: Header=BB432_1571 Depth=1
	v_and_b32_e32 v5, 0xffff, v4
	v_or_b32_e32 v33, 0x10000, v4
	s_delay_alu instid0(VALU_DEP_2) | instskip(NEXT) | instid1(VALU_DEP_1)
	v_cmp_eq_u32_e64 s1, 0, v5
	v_cndmask_b32_e64 v100, v33, v4, s1
; %bb.1839:                             ;   in Loop: Header=BB432_1571 Depth=1
	s_or_b32 exec_lo, exec_lo, s11
	v_lshlrev_b32_e32 v4, 16, v32
                                        ; implicit-def: $vgpr101
	s_delay_alu instid0(VALU_DEP_1) | instskip(NEXT) | instid1(VALU_DEP_1)
	v_mul_f32_e32 v4, v85, v4
	v_and_b32_e32 v5, 0x7f800000, v4
	s_delay_alu instid0(VALU_DEP_1) | instskip(NEXT) | instid1(VALU_DEP_1)
	v_cmp_ne_u32_e64 s1, 0x7f800000, v5
	s_and_saveexec_b32 s11, s1
	s_delay_alu instid0(SALU_CYCLE_1)
	s_xor_b32 s1, exec_lo, s11
; %bb.1840:                             ;   in Loop: Header=BB432_1571 Depth=1
	v_bfe_u32 v5, v4, 16, 1
	s_delay_alu instid0(VALU_DEP_1)
	v_add3_u32 v101, v4, v5, 0x7fff
                                        ; implicit-def: $vgpr4
; %bb.1841:                             ;   in Loop: Header=BB432_1571 Depth=1
	s_and_not1_saveexec_b32 s11, s1
; %bb.1842:                             ;   in Loop: Header=BB432_1571 Depth=1
	v_and_b32_e32 v5, 0xffff, v4
	v_or_b32_e32 v32, 0x10000, v4
	s_delay_alu instid0(VALU_DEP_2) | instskip(NEXT) | instid1(VALU_DEP_1)
	v_cmp_eq_u32_e64 s1, 0, v5
	v_cndmask_b32_e64 v101, v32, v4, s1
; %bb.1843:                             ;   in Loop: Header=BB432_1571 Depth=1
	s_or_b32 exec_lo, exec_lo, s11
	v_lshlrev_b32_e32 v4, 16, v9
                                        ; implicit-def: $vgpr102
	s_delay_alu instid0(VALU_DEP_1) | instskip(NEXT) | instid1(VALU_DEP_1)
	v_mul_f32_e32 v4, v86, v4
	v_and_b32_e32 v5, 0x7f800000, v4
	s_delay_alu instid0(VALU_DEP_1) | instskip(NEXT) | instid1(VALU_DEP_1)
	v_cmp_ne_u32_e64 s1, 0x7f800000, v5
	s_and_saveexec_b32 s11, s1
	s_delay_alu instid0(SALU_CYCLE_1)
	s_xor_b32 s1, exec_lo, s11
; %bb.1844:                             ;   in Loop: Header=BB432_1571 Depth=1
	v_bfe_u32 v5, v4, 16, 1
	s_delay_alu instid0(VALU_DEP_1)
	v_add3_u32 v102, v4, v5, 0x7fff
                                        ; implicit-def: $vgpr4
; %bb.1845:                             ;   in Loop: Header=BB432_1571 Depth=1
	s_and_not1_saveexec_b32 s11, s1
; %bb.1846:                             ;   in Loop: Header=BB432_1571 Depth=1
	v_and_b32_e32 v5, 0xffff, v4
	v_or_b32_e32 v9, 0x10000, v4
	s_delay_alu instid0(VALU_DEP_2) | instskip(NEXT) | instid1(VALU_DEP_1)
	v_cmp_eq_u32_e64 s1, 0, v5
	v_cndmask_b32_e64 v102, v9, v4, s1
; %bb.1847:                             ;   in Loop: Header=BB432_1571 Depth=1
	s_or_b32 exec_lo, exec_lo, s11
	v_lshlrev_b32_e32 v4, 16, v7
                                        ; implicit-def: $vgpr103
	s_delay_alu instid0(VALU_DEP_1) | instskip(NEXT) | instid1(VALU_DEP_1)
	v_mul_f32_e32 v4, v87, v4
	v_and_b32_e32 v5, 0x7f800000, v4
	s_delay_alu instid0(VALU_DEP_1) | instskip(NEXT) | instid1(VALU_DEP_1)
	v_cmp_ne_u32_e64 s1, 0x7f800000, v5
	s_and_saveexec_b32 s11, s1
	s_delay_alu instid0(SALU_CYCLE_1)
	s_xor_b32 s1, exec_lo, s11
; %bb.1848:                             ;   in Loop: Header=BB432_1571 Depth=1
	v_bfe_u32 v5, v4, 16, 1
	s_delay_alu instid0(VALU_DEP_1)
	v_add3_u32 v103, v4, v5, 0x7fff
                                        ; implicit-def: $vgpr4
; %bb.1849:                             ;   in Loop: Header=BB432_1571 Depth=1
	s_and_not1_saveexec_b32 s11, s1
; %bb.1850:                             ;   in Loop: Header=BB432_1571 Depth=1
	v_and_b32_e32 v5, 0xffff, v4
	v_or_b32_e32 v7, 0x10000, v4
	s_delay_alu instid0(VALU_DEP_2) | instskip(NEXT) | instid1(VALU_DEP_1)
	v_cmp_eq_u32_e64 s1, 0, v5
	v_cndmask_b32_e64 v103, v7, v4, s1
; %bb.1851:                             ;   in Loop: Header=BB432_1571 Depth=1
	s_or_b32 exec_lo, exec_lo, s11
	v_lshlrev_b32_e32 v4, 16, v6
                                        ; implicit-def: $vgpr112
	s_delay_alu instid0(VALU_DEP_1) | instskip(NEXT) | instid1(VALU_DEP_1)
	v_mul_f32_e32 v4, v96, v4
	v_and_b32_e32 v5, 0x7f800000, v4
	s_delay_alu instid0(VALU_DEP_1) | instskip(NEXT) | instid1(VALU_DEP_1)
	v_cmp_ne_u32_e64 s1, 0x7f800000, v5
	s_and_saveexec_b32 s11, s1
	s_delay_alu instid0(SALU_CYCLE_1)
	s_xor_b32 s1, exec_lo, s11
; %bb.1852:                             ;   in Loop: Header=BB432_1571 Depth=1
	v_bfe_u32 v5, v4, 16, 1
	s_delay_alu instid0(VALU_DEP_1)
	v_add3_u32 v112, v4, v5, 0x7fff
                                        ; implicit-def: $vgpr4
; %bb.1853:                             ;   in Loop: Header=BB432_1571 Depth=1
	s_and_not1_saveexec_b32 s11, s1
; %bb.1854:                             ;   in Loop: Header=BB432_1571 Depth=1
	v_and_b32_e32 v5, 0xffff, v4
	v_or_b32_e32 v6, 0x10000, v4
	s_delay_alu instid0(VALU_DEP_2) | instskip(NEXT) | instid1(VALU_DEP_1)
	v_cmp_eq_u32_e64 s1, 0, v5
	v_cndmask_b32_e64 v112, v6, v4, s1
; %bb.1855:                             ;   in Loop: Header=BB432_1571 Depth=1
	s_or_b32 exec_lo, exec_lo, s11
	v_lshlrev_b32_e32 v3, 16, v3
                                        ; implicit-def: $vgpr113
	s_delay_alu instid0(VALU_DEP_1) | instskip(NEXT) | instid1(VALU_DEP_1)
	v_mul_f32_e32 v3, v97, v3
	v_and_b32_e32 v4, 0x7f800000, v3
	s_delay_alu instid0(VALU_DEP_1) | instskip(NEXT) | instid1(VALU_DEP_1)
	v_cmp_ne_u32_e64 s1, 0x7f800000, v4
	s_and_saveexec_b32 s11, s1
	s_delay_alu instid0(SALU_CYCLE_1)
	s_xor_b32 s1, exec_lo, s11
; %bb.1856:                             ;   in Loop: Header=BB432_1571 Depth=1
	v_bfe_u32 v4, v3, 16, 1
	s_delay_alu instid0(VALU_DEP_1)
	v_add3_u32 v113, v3, v4, 0x7fff
                                        ; implicit-def: $vgpr3
; %bb.1857:                             ;   in Loop: Header=BB432_1571 Depth=1
	s_and_not1_saveexec_b32 s11, s1
; %bb.1858:                             ;   in Loop: Header=BB432_1571 Depth=1
	v_and_b32_e32 v4, 0xffff, v3
	v_or_b32_e32 v5, 0x10000, v3
	s_delay_alu instid0(VALU_DEP_2) | instskip(NEXT) | instid1(VALU_DEP_1)
	v_cmp_eq_u32_e64 s1, 0, v4
	v_cndmask_b32_e64 v113, v5, v3, s1
; %bb.1859:                             ;   in Loop: Header=BB432_1571 Depth=1
	s_or_b32 exec_lo, exec_lo, s11
	v_lshlrev_b32_e32 v2, 16, v2
                                        ; implicit-def: $vgpr114
	s_delay_alu instid0(VALU_DEP_1) | instskip(NEXT) | instid1(VALU_DEP_1)
	v_mul_f32_e32 v2, v98, v2
	v_and_b32_e32 v3, 0x7f800000, v2
	s_delay_alu instid0(VALU_DEP_1) | instskip(NEXT) | instid1(VALU_DEP_1)
	v_cmp_ne_u32_e64 s1, 0x7f800000, v3
	s_and_saveexec_b32 s11, s1
	s_delay_alu instid0(SALU_CYCLE_1)
	s_xor_b32 s1, exec_lo, s11
; %bb.1860:                             ;   in Loop: Header=BB432_1571 Depth=1
	v_bfe_u32 v3, v2, 16, 1
	s_delay_alu instid0(VALU_DEP_1)
	v_add3_u32 v114, v2, v3, 0x7fff
                                        ; implicit-def: $vgpr2
; %bb.1861:                             ;   in Loop: Header=BB432_1571 Depth=1
	s_and_not1_saveexec_b32 s11, s1
; %bb.1862:                             ;   in Loop: Header=BB432_1571 Depth=1
	v_and_b32_e32 v3, 0xffff, v2
	v_or_b32_e32 v4, 0x10000, v2
	s_delay_alu instid0(VALU_DEP_2) | instskip(NEXT) | instid1(VALU_DEP_1)
	v_cmp_eq_u32_e64 s1, 0, v3
	v_cndmask_b32_e64 v114, v4, v2, s1
; %bb.1863:                             ;   in Loop: Header=BB432_1571 Depth=1
	s_or_b32 exec_lo, exec_lo, s11
	flat_load_b64 v[2:3], v[0:1] offset:512
	s_mov_b32 s11, exec_lo
	s_waitcnt vmcnt(0) lgkmcnt(0)
	v_dual_mov_b32 v4, 0 :: v_dual_and_b32 v5, 0xff, v2
	s_delay_alu instid0(VALU_DEP_1)
	v_cmpx_ne_u16_e32 0, v5
	s_cbranch_execz .LBB432_1871
; %bb.1864:                             ;   in Loop: Header=BB432_1571 Depth=1
	v_bfrev_b32_e32 v4, 1
	s_mov_b32 s12, exec_lo
	v_cmpx_ne_u16_e32 0x80, v5
	s_cbranch_execz .LBB432_1870
; %bb.1865:                             ;   in Loop: Header=BB432_1571 Depth=1
	v_and_b32_e32 v5, 0x7f, v2
	v_mov_b32_e32 v4, 0x7f800001
	s_mov_b32 s13, exec_lo
	s_delay_alu instid0(VALU_DEP_2)
	v_cmpx_ne_u32_e32 0x7f, v5
	s_cbranch_execz .LBB432_1869
; %bb.1866:                             ;   in Loop: Header=BB432_1571 Depth=1
	v_lshrrev_b32_e32 v4, 3, v5
	v_dual_mov_b32 v7, v3 :: v_dual_mov_b32 v6, v2
	s_mov_b32 s15, exec_lo
	v_cmpx_gt_u32_e32 8, v5
; %bb.1867:                             ;   in Loop: Header=BB432_1571 Depth=1
	v_and_b32_e32 v4, 7, v2
	s_delay_alu instid0(VALU_DEP_1) | instskip(NEXT) | instid1(VALU_DEP_1)
	v_clz_i32_u32_e32 v4, v4
	v_min_u32_e32 v4, 32, v4
	s_delay_alu instid0(VALU_DEP_1) | instskip(SKIP_1) | instid1(VALU_DEP_2)
	v_subrev_nc_u32_e32 v5, 28, v4
	v_sub_nc_u32_e32 v4, 29, v4
	v_lshlrev_b64 v[6:7], v5, v[2:3]
; %bb.1868:                             ;   in Loop: Header=BB432_1571 Depth=1
	s_or_b32 exec_lo, exec_lo, s15
	s_delay_alu instid0(VALU_DEP_1) | instskip(SKIP_2) | instid1(VALU_DEP_3)
	v_lshlrev_b32_e32 v5, 20, v6
	v_lshlrev_b32_e32 v6, 24, v2
	v_lshl_add_u32 v4, v4, 23, 0x3c000000
	v_and_b32_e32 v5, 0x700000, v5
	s_delay_alu instid0(VALU_DEP_3) | instskip(NEXT) | instid1(VALU_DEP_1)
	v_and_b32_e32 v6, 0x80000000, v6
	v_or3_b32 v4, v5, v6, v4
.LBB432_1869:                           ;   in Loop: Header=BB432_1571 Depth=1
	s_or_b32 exec_lo, exec_lo, s13
.LBB432_1870:                           ;   in Loop: Header=BB432_1571 Depth=1
	s_delay_alu instid0(SALU_CYCLE_1)
	s_or_b32 exec_lo, exec_lo, s12
.LBB432_1871:                           ;   in Loop: Header=BB432_1571 Depth=1
	s_delay_alu instid0(SALU_CYCLE_1) | instskip(NEXT) | instid1(VALU_DEP_1)
	s_or_b32 exec_lo, exec_lo, s11
	v_mul_f32_e32 v5, v26, v4
	s_delay_alu instid0(VALU_DEP_1) | instskip(NEXT) | instid1(VALU_DEP_1)
	v_and_b32_e32 v4, 0x7f800000, v5
	v_cmp_ne_u32_e64 s1, 0x7f800000, v4
                                        ; implicit-def: $vgpr4
	s_delay_alu instid0(VALU_DEP_1) | instskip(NEXT) | instid1(SALU_CYCLE_1)
	s_and_saveexec_b32 s11, s1
	s_xor_b32 s1, exec_lo, s11
; %bb.1872:                             ;   in Loop: Header=BB432_1571 Depth=1
	v_bfe_u32 v4, v5, 16, 1
	s_delay_alu instid0(VALU_DEP_1)
	v_add3_u32 v4, v5, v4, 0x7fff
                                        ; implicit-def: $vgpr5
; %bb.1873:                             ;   in Loop: Header=BB432_1571 Depth=1
	s_and_not1_saveexec_b32 s11, s1
; %bb.1874:                             ;   in Loop: Header=BB432_1571 Depth=1
	v_and_b32_e32 v4, 0xffff, v5
	v_or_b32_e32 v6, 0x10000, v5
	s_delay_alu instid0(VALU_DEP_2) | instskip(NEXT) | instid1(VALU_DEP_1)
	v_cmp_eq_u32_e64 s1, 0, v4
	v_cndmask_b32_e64 v4, v6, v5, s1
; %bb.1875:                             ;   in Loop: Header=BB432_1571 Depth=1
	s_or_b32 exec_lo, exec_lo, s11
	v_lshrrev_b16 v6, 8, v2
	v_mov_b32_e32 v5, 0
	s_mov_b32 s11, exec_lo
	s_delay_alu instid0(VALU_DEP_2)
	v_cmpx_ne_u16_e32 0, v6
	s_cbranch_execz .LBB432_1883
; %bb.1876:                             ;   in Loop: Header=BB432_1571 Depth=1
	v_bfrev_b32_e32 v5, 1
	s_mov_b32 s12, exec_lo
	v_cmpx_ne_u16_e32 0x80, v6
	s_cbranch_execz .LBB432_1882
; %bb.1877:                             ;   in Loop: Header=BB432_1571 Depth=1
	v_and_b32_e32 v7, 0xffff, v6
	v_mov_b32_e32 v5, 0x7f800001
	s_mov_b32 s13, exec_lo
	s_delay_alu instid0(VALU_DEP_2) | instskip(NEXT) | instid1(VALU_DEP_1)
	v_and_b32_e32 v6, 0x7f, v7
	v_cmpx_ne_u32_e32 0x7f, v6
	s_cbranch_execz .LBB432_1881
; %bb.1878:                             ;   in Loop: Header=BB432_1571 Depth=1
	v_and_b32_e32 v9, 7, v7
	v_lshrrev_b32_e32 v5, 3, v6
	v_cmp_gt_u32_e64 s1, 8, v6
	s_delay_alu instid0(VALU_DEP_3) | instskip(NEXT) | instid1(VALU_DEP_2)
	v_dual_mov_b32 v6, v9 :: v_dual_mov_b32 v7, v10
	s_and_saveexec_b32 s15, s1
; %bb.1879:                             ;   in Loop: Header=BB432_1571 Depth=1
	v_clz_i32_u32_e32 v5, v9
	s_delay_alu instid0(VALU_DEP_1) | instskip(NEXT) | instid1(VALU_DEP_1)
	v_min_u32_e32 v5, 32, v5
	v_subrev_nc_u32_e32 v6, 28, v5
	v_sub_nc_u32_e32 v5, 29, v5
	s_delay_alu instid0(VALU_DEP_2) | instskip(NEXT) | instid1(VALU_DEP_1)
	v_lshlrev_b64 v[6:7], v6, v[9:10]
	v_and_b32_e32 v6, 7, v6
; %bb.1880:                             ;   in Loop: Header=BB432_1571 Depth=1
	s_or_b32 exec_lo, exec_lo, s15
	v_lshlrev_b32_e32 v7, 16, v2
	s_delay_alu instid0(VALU_DEP_2) | instskip(SKIP_1) | instid1(VALU_DEP_3)
	v_lshlrev_b32_e32 v6, 20, v6
	v_lshl_add_u32 v5, v5, 23, 0x3c000000
	v_and_b32_e32 v7, 0x80000000, v7
	s_delay_alu instid0(VALU_DEP_1)
	v_or3_b32 v5, v6, v7, v5
.LBB432_1881:                           ;   in Loop: Header=BB432_1571 Depth=1
	s_or_b32 exec_lo, exec_lo, s13
.LBB432_1882:                           ;   in Loop: Header=BB432_1571 Depth=1
	s_delay_alu instid0(SALU_CYCLE_1)
	s_or_b32 exec_lo, exec_lo, s12
.LBB432_1883:                           ;   in Loop: Header=BB432_1571 Depth=1
	s_delay_alu instid0(SALU_CYCLE_1) | instskip(NEXT) | instid1(VALU_DEP_1)
	s_or_b32 exec_lo, exec_lo, s11
	v_mul_f32_e32 v6, v26, v5
	s_delay_alu instid0(VALU_DEP_1) | instskip(NEXT) | instid1(VALU_DEP_1)
	v_and_b32_e32 v5, 0x7f800000, v6
	v_cmp_ne_u32_e64 s1, 0x7f800000, v5
                                        ; implicit-def: $vgpr5
	s_delay_alu instid0(VALU_DEP_1) | instskip(NEXT) | instid1(SALU_CYCLE_1)
	s_and_saveexec_b32 s11, s1
	s_xor_b32 s1, exec_lo, s11
; %bb.1884:                             ;   in Loop: Header=BB432_1571 Depth=1
	v_bfe_u32 v5, v6, 16, 1
	s_delay_alu instid0(VALU_DEP_1)
	v_add3_u32 v5, v6, v5, 0x7fff
                                        ; implicit-def: $vgpr6
; %bb.1885:                             ;   in Loop: Header=BB432_1571 Depth=1
	s_and_not1_saveexec_b32 s11, s1
; %bb.1886:                             ;   in Loop: Header=BB432_1571 Depth=1
	v_and_b32_e32 v5, 0xffff, v6
	v_or_b32_e32 v7, 0x10000, v6
	s_delay_alu instid0(VALU_DEP_2) | instskip(NEXT) | instid1(VALU_DEP_1)
	v_cmp_eq_u32_e64 s1, 0, v5
	v_cndmask_b32_e64 v5, v7, v6, s1
; %bb.1887:                             ;   in Loop: Header=BB432_1571 Depth=1
	s_or_b32 exec_lo, exec_lo, s11
	v_lshrrev_b32_e32 v32, 16, v2
	s_mov_b32 s11, exec_lo
	s_delay_alu instid0(VALU_DEP_1) | instskip(NEXT) | instid1(VALU_DEP_1)
	v_dual_mov_b32 v6, 0 :: v_dual_and_b32 v7, 0xff, v32
	v_cmpx_ne_u16_e32 0, v7
	s_cbranch_execz .LBB432_1895
; %bb.1888:                             ;   in Loop: Header=BB432_1571 Depth=1
	v_bfrev_b32_e32 v6, 1
	s_mov_b32 s12, exec_lo
	v_cmpx_ne_u16_e32 0x80, v7
	s_cbranch_execz .LBB432_1894
; %bb.1889:                             ;   in Loop: Header=BB432_1571 Depth=1
	v_bfe_u32 v7, v2, 16, 7
	v_mov_b32_e32 v6, 0x7f800001
	s_mov_b32 s13, exec_lo
	s_delay_alu instid0(VALU_DEP_2)
	v_cmpx_ne_u32_e32 0x7f, v7
	s_cbranch_execz .LBB432_1893
; %bb.1890:                             ;   in Loop: Header=BB432_1571 Depth=1
	v_and_b32_e32 v9, 7, v32
	v_lshrrev_b32_e32 v33, 3, v7
	v_cmp_gt_u32_e64 s1, 8, v7
	s_delay_alu instid0(VALU_DEP_3) | instskip(NEXT) | instid1(VALU_DEP_2)
	v_dual_mov_b32 v6, v9 :: v_dual_mov_b32 v7, v10
	s_and_saveexec_b32 s15, s1
; %bb.1891:                             ;   in Loop: Header=BB432_1571 Depth=1
	v_clz_i32_u32_e32 v6, v9
	s_delay_alu instid0(VALU_DEP_1) | instskip(NEXT) | instid1(VALU_DEP_1)
	v_min_u32_e32 v33, 32, v6
	v_subrev_nc_u32_e32 v6, 28, v33
	v_sub_nc_u32_e32 v33, 29, v33
	s_delay_alu instid0(VALU_DEP_2) | instskip(NEXT) | instid1(VALU_DEP_1)
	v_lshlrev_b64 v[6:7], v6, v[9:10]
	v_and_b32_e32 v6, 7, v6
; %bb.1892:                             ;   in Loop: Header=BB432_1571 Depth=1
	s_or_b32 exec_lo, exec_lo, s15
	v_lshlrev_b32_e32 v7, 24, v32
	s_delay_alu instid0(VALU_DEP_2) | instskip(SKIP_1) | instid1(VALU_DEP_3)
	v_lshlrev_b32_e32 v6, 20, v6
	v_lshl_add_u32 v9, v33, 23, 0x3c000000
	v_and_b32_e32 v7, 0x80000000, v7
	s_delay_alu instid0(VALU_DEP_1)
	v_or3_b32 v6, v6, v7, v9
.LBB432_1893:                           ;   in Loop: Header=BB432_1571 Depth=1
	s_or_b32 exec_lo, exec_lo, s13
.LBB432_1894:                           ;   in Loop: Header=BB432_1571 Depth=1
	s_delay_alu instid0(SALU_CYCLE_1)
	s_or_b32 exec_lo, exec_lo, s12
.LBB432_1895:                           ;   in Loop: Header=BB432_1571 Depth=1
	s_delay_alu instid0(SALU_CYCLE_1) | instskip(NEXT) | instid1(VALU_DEP_1)
	s_or_b32 exec_lo, exec_lo, s11
	v_mul_f32_e32 v6, v26, v6
                                        ; implicit-def: $vgpr32
	s_delay_alu instid0(VALU_DEP_1) | instskip(NEXT) | instid1(VALU_DEP_1)
	v_and_b32_e32 v7, 0x7f800000, v6
	v_cmp_ne_u32_e64 s1, 0x7f800000, v7
	s_delay_alu instid0(VALU_DEP_1) | instskip(NEXT) | instid1(SALU_CYCLE_1)
	s_and_saveexec_b32 s11, s1
	s_xor_b32 s1, exec_lo, s11
; %bb.1896:                             ;   in Loop: Header=BB432_1571 Depth=1
	v_bfe_u32 v7, v6, 16, 1
	s_delay_alu instid0(VALU_DEP_1)
	v_add3_u32 v32, v6, v7, 0x7fff
                                        ; implicit-def: $vgpr6
; %bb.1897:                             ;   in Loop: Header=BB432_1571 Depth=1
	s_and_not1_saveexec_b32 s11, s1
; %bb.1898:                             ;   in Loop: Header=BB432_1571 Depth=1
	v_and_b32_e32 v7, 0xffff, v6
	v_or_b32_e32 v9, 0x10000, v6
	s_delay_alu instid0(VALU_DEP_2) | instskip(NEXT) | instid1(VALU_DEP_1)
	v_cmp_eq_u32_e64 s1, 0, v7
	v_cndmask_b32_e64 v32, v9, v6, s1
; %bb.1899:                             ;   in Loop: Header=BB432_1571 Depth=1
	s_or_b32 exec_lo, exec_lo, s11
	v_mov_b32_e32 v6, 0
	s_mov_b32 s11, exec_lo
	v_cmpx_lt_u32_e32 0xffffff, v2
	s_cbranch_execz .LBB432_1907
; %bb.1900:                             ;   in Loop: Header=BB432_1571 Depth=1
	v_lshrrev_b32_e32 v33, 24, v2
	v_bfrev_b32_e32 v6, 1
	s_mov_b32 s12, exec_lo
	s_delay_alu instid0(VALU_DEP_2)
	v_cmpx_ne_u32_e32 0x80, v33
	s_cbranch_execz .LBB432_1906
; %bb.1901:                             ;   in Loop: Header=BB432_1571 Depth=1
	v_bfe_u32 v7, v2, 24, 7
	v_mov_b32_e32 v6, 0x7f800001
	s_mov_b32 s13, exec_lo
	s_delay_alu instid0(VALU_DEP_2)
	v_cmpx_ne_u32_e32 0x7f, v7
	s_cbranch_execz .LBB432_1905
; %bb.1902:                             ;   in Loop: Header=BB432_1571 Depth=1
	v_and_b32_e32 v9, 7, v33
	v_lshrrev_b32_e32 v34, 3, v7
	v_cmp_gt_u32_e64 s1, 8, v7
	s_delay_alu instid0(VALU_DEP_3) | instskip(NEXT) | instid1(VALU_DEP_2)
	v_dual_mov_b32 v6, v9 :: v_dual_mov_b32 v7, v10
	s_and_saveexec_b32 s15, s1
; %bb.1903:                             ;   in Loop: Header=BB432_1571 Depth=1
	v_clz_i32_u32_e32 v6, v9
	s_delay_alu instid0(VALU_DEP_1) | instskip(NEXT) | instid1(VALU_DEP_1)
	v_min_u32_e32 v34, 32, v6
	v_subrev_nc_u32_e32 v6, 28, v34
	v_sub_nc_u32_e32 v34, 29, v34
	s_delay_alu instid0(VALU_DEP_2) | instskip(NEXT) | instid1(VALU_DEP_1)
	v_lshlrev_b64 v[6:7], v6, v[9:10]
	v_and_b32_e32 v6, 7, v6
; %bb.1904:                             ;   in Loop: Header=BB432_1571 Depth=1
	s_or_b32 exec_lo, exec_lo, s15
	v_lshlrev_b32_e32 v7, 24, v33
	s_delay_alu instid0(VALU_DEP_2) | instskip(SKIP_1) | instid1(VALU_DEP_3)
	v_lshlrev_b32_e32 v6, 20, v6
	v_lshl_add_u32 v9, v34, 23, 0x3c000000
	v_and_b32_e32 v7, 0x80000000, v7
	s_delay_alu instid0(VALU_DEP_1)
	v_or3_b32 v6, v6, v7, v9
.LBB432_1905:                           ;   in Loop: Header=BB432_1571 Depth=1
	s_or_b32 exec_lo, exec_lo, s13
.LBB432_1906:                           ;   in Loop: Header=BB432_1571 Depth=1
	s_delay_alu instid0(SALU_CYCLE_1)
	s_or_b32 exec_lo, exec_lo, s12
.LBB432_1907:                           ;   in Loop: Header=BB432_1571 Depth=1
	s_delay_alu instid0(SALU_CYCLE_1) | instskip(NEXT) | instid1(VALU_DEP_1)
	s_or_b32 exec_lo, exec_lo, s11
	v_mul_f32_e32 v6, v26, v6
                                        ; implicit-def: $vgpr33
	s_delay_alu instid0(VALU_DEP_1) | instskip(NEXT) | instid1(VALU_DEP_1)
	v_and_b32_e32 v7, 0x7f800000, v6
	v_cmp_ne_u32_e64 s1, 0x7f800000, v7
	s_delay_alu instid0(VALU_DEP_1) | instskip(NEXT) | instid1(SALU_CYCLE_1)
	s_and_saveexec_b32 s11, s1
	s_xor_b32 s1, exec_lo, s11
; %bb.1908:                             ;   in Loop: Header=BB432_1571 Depth=1
	v_bfe_u32 v7, v6, 16, 1
	s_delay_alu instid0(VALU_DEP_1)
	v_add3_u32 v33, v6, v7, 0x7fff
                                        ; implicit-def: $vgpr6
; %bb.1909:                             ;   in Loop: Header=BB432_1571 Depth=1
	s_and_not1_saveexec_b32 s11, s1
; %bb.1910:                             ;   in Loop: Header=BB432_1571 Depth=1
	v_and_b32_e32 v7, 0xffff, v6
	v_or_b32_e32 v9, 0x10000, v6
	s_delay_alu instid0(VALU_DEP_2) | instskip(NEXT) | instid1(VALU_DEP_1)
	v_cmp_eq_u32_e64 s1, 0, v7
	v_cndmask_b32_e64 v33, v9, v6, s1
; %bb.1911:                             ;   in Loop: Header=BB432_1571 Depth=1
	s_or_b32 exec_lo, exec_lo, s11
	v_dual_mov_b32 v6, 0 :: v_dual_and_b32 v7, 0xff, v3
	v_mov_b32_e32 v9, v3
	s_mov_b32 s11, exec_lo
	s_delay_alu instid0(VALU_DEP_2)
	v_cmpx_ne_u16_e32 0, v7
	s_cbranch_execz .LBB432_1919
; %bb.1912:                             ;   in Loop: Header=BB432_1571 Depth=1
	v_bfrev_b32_e32 v6, 1
	s_mov_b32 s12, exec_lo
	v_cmpx_ne_u16_e32 0x80, v7
	s_cbranch_execz .LBB432_1918
; %bb.1913:                             ;   in Loop: Header=BB432_1571 Depth=1
	v_and_b32_e32 v7, 0x7f, v3
	v_mov_b32_e32 v6, 0x7f800001
	s_mov_b32 s13, exec_lo
	s_delay_alu instid0(VALU_DEP_2)
	v_cmpx_ne_u32_e32 0x7f, v7
	s_cbranch_execz .LBB432_1917
; %bb.1914:                             ;   in Loop: Header=BB432_1571 Depth=1
	v_lshrrev_b32_e32 v34, 3, v7
	v_cmp_gt_u32_e64 s1, 8, v7
	v_dual_mov_b32 v6, v9 :: v_dual_mov_b32 v7, v10
	s_delay_alu instid0(VALU_DEP_2)
	s_and_saveexec_b32 s15, s1
; %bb.1915:                             ;   in Loop: Header=BB432_1571 Depth=1
	v_and_b32_e32 v6, 7, v3
	s_delay_alu instid0(VALU_DEP_1) | instskip(NEXT) | instid1(VALU_DEP_1)
	v_clz_i32_u32_e32 v6, v6
	v_min_u32_e32 v34, 32, v6
	s_delay_alu instid0(VALU_DEP_1) | instskip(SKIP_1) | instid1(VALU_DEP_2)
	v_subrev_nc_u32_e32 v6, 28, v34
	v_sub_nc_u32_e32 v34, 29, v34
	v_lshlrev_b64 v[6:7], v6, v[9:10]
; %bb.1916:                             ;   in Loop: Header=BB432_1571 Depth=1
	s_or_b32 exec_lo, exec_lo, s15
	s_delay_alu instid0(VALU_DEP_1) | instskip(SKIP_2) | instid1(VALU_DEP_3)
	v_lshlrev_b32_e32 v6, 20, v6
	v_lshlrev_b32_e32 v7, 24, v9
	v_lshl_add_u32 v34, v34, 23, 0x3c000000
	v_and_b32_e32 v6, 0x700000, v6
	s_delay_alu instid0(VALU_DEP_3) | instskip(NEXT) | instid1(VALU_DEP_1)
	v_and_b32_e32 v7, 0x80000000, v7
	v_or3_b32 v6, v6, v7, v34
.LBB432_1917:                           ;   in Loop: Header=BB432_1571 Depth=1
	s_or_b32 exec_lo, exec_lo, s13
.LBB432_1918:                           ;   in Loop: Header=BB432_1571 Depth=1
	s_delay_alu instid0(SALU_CYCLE_1)
	s_or_b32 exec_lo, exec_lo, s12
.LBB432_1919:                           ;   in Loop: Header=BB432_1571 Depth=1
	s_delay_alu instid0(SALU_CYCLE_1) | instskip(NEXT) | instid1(VALU_DEP_1)
	s_or_b32 exec_lo, exec_lo, s11
	v_mul_f32_e32 v6, v26, v6
                                        ; implicit-def: $vgpr34
	s_delay_alu instid0(VALU_DEP_1) | instskip(NEXT) | instid1(VALU_DEP_1)
	v_and_b32_e32 v7, 0x7f800000, v6
	v_cmp_ne_u32_e64 s1, 0x7f800000, v7
	s_delay_alu instid0(VALU_DEP_1) | instskip(NEXT) | instid1(SALU_CYCLE_1)
	s_and_saveexec_b32 s11, s1
	s_xor_b32 s1, exec_lo, s11
; %bb.1920:                             ;   in Loop: Header=BB432_1571 Depth=1
	v_bfe_u32 v7, v6, 16, 1
	s_delay_alu instid0(VALU_DEP_1)
	v_add3_u32 v34, v6, v7, 0x7fff
                                        ; implicit-def: $vgpr6
; %bb.1921:                             ;   in Loop: Header=BB432_1571 Depth=1
	s_and_not1_saveexec_b32 s11, s1
; %bb.1922:                             ;   in Loop: Header=BB432_1571 Depth=1
	v_and_b32_e32 v7, 0xffff, v6
	v_or_b32_e32 v34, 0x10000, v6
	s_delay_alu instid0(VALU_DEP_2) | instskip(NEXT) | instid1(VALU_DEP_1)
	v_cmp_eq_u32_e64 s1, 0, v7
	v_cndmask_b32_e64 v34, v34, v6, s1
; %bb.1923:                             ;   in Loop: Header=BB432_1571 Depth=1
	s_or_b32 exec_lo, exec_lo, s11
	v_lshrrev_b16 v7, 8, v9
	v_mov_b32_e32 v6, 0
	s_mov_b32 s11, exec_lo
	s_delay_alu instid0(VALU_DEP_2)
	v_cmpx_ne_u16_e32 0, v7
	s_cbranch_execz .LBB432_1931
; %bb.1924:                             ;   in Loop: Header=BB432_1571 Depth=1
	v_bfrev_b32_e32 v6, 1
	s_mov_b32 s12, exec_lo
	v_cmpx_ne_u16_e32 0x80, v7
	s_cbranch_execz .LBB432_1930
; %bb.1925:                             ;   in Loop: Header=BB432_1571 Depth=1
	v_and_b32_e32 v7, 0xffff, v7
	v_mov_b32_e32 v6, 0x7f800001
	s_mov_b32 s13, exec_lo
	s_delay_alu instid0(VALU_DEP_2) | instskip(NEXT) | instid1(VALU_DEP_1)
	v_and_b32_e32 v115, 0x7f, v7
	v_cmpx_ne_u32_e32 0x7f, v115
	s_cbranch_execz .LBB432_1929
; %bb.1926:                             ;   in Loop: Header=BB432_1571 Depth=1
	v_dual_mov_b32 v7, v10 :: v_dual_and_b32 v6, 7, v7
	v_lshrrev_b32_e32 v36, 3, v115
	s_mov_b32 s15, exec_lo
	v_cmpx_gt_u32_e32 8, v115
; %bb.1927:                             ;   in Loop: Header=BB432_1571 Depth=1
	s_delay_alu instid0(VALU_DEP_3) | instskip(NEXT) | instid1(VALU_DEP_1)
	v_clz_i32_u32_e32 v36, v6
	v_min_u32_e32 v36, 32, v36
	s_delay_alu instid0(VALU_DEP_1) | instskip(SKIP_1) | instid1(VALU_DEP_2)
	v_subrev_nc_u32_e32 v115, 28, v36
	v_sub_nc_u32_e32 v36, 29, v36
	v_lshlrev_b64 v[6:7], v115, v[6:7]
	s_delay_alu instid0(VALU_DEP_1)
	v_and_b32_e32 v6, 7, v6
; %bb.1928:                             ;   in Loop: Header=BB432_1571 Depth=1
	s_or_b32 exec_lo, exec_lo, s15
	v_lshlrev_b32_e32 v7, 16, v9
	s_delay_alu instid0(VALU_DEP_2) | instskip(SKIP_1) | instid1(VALU_DEP_3)
	v_lshlrev_b32_e32 v6, 20, v6
	v_lshl_add_u32 v9, v36, 23, 0x3c000000
	v_and_b32_e32 v7, 0x80000000, v7
	s_delay_alu instid0(VALU_DEP_1)
	v_or3_b32 v6, v6, v7, v9
.LBB432_1929:                           ;   in Loop: Header=BB432_1571 Depth=1
	s_or_b32 exec_lo, exec_lo, s13
.LBB432_1930:                           ;   in Loop: Header=BB432_1571 Depth=1
	s_delay_alu instid0(SALU_CYCLE_1)
	s_or_b32 exec_lo, exec_lo, s12
.LBB432_1931:                           ;   in Loop: Header=BB432_1571 Depth=1
	s_delay_alu instid0(SALU_CYCLE_1) | instskip(NEXT) | instid1(VALU_DEP_1)
	s_or_b32 exec_lo, exec_lo, s11
	v_mul_f32_e32 v6, v26, v6
                                        ; implicit-def: $vgpr36
	s_delay_alu instid0(VALU_DEP_1) | instskip(NEXT) | instid1(VALU_DEP_1)
	v_and_b32_e32 v7, 0x7f800000, v6
	v_cmp_ne_u32_e64 s1, 0x7f800000, v7
	s_delay_alu instid0(VALU_DEP_1) | instskip(NEXT) | instid1(SALU_CYCLE_1)
	s_and_saveexec_b32 s11, s1
	s_xor_b32 s1, exec_lo, s11
; %bb.1932:                             ;   in Loop: Header=BB432_1571 Depth=1
	v_bfe_u32 v7, v6, 16, 1
	s_delay_alu instid0(VALU_DEP_1)
	v_add3_u32 v36, v6, v7, 0x7fff
                                        ; implicit-def: $vgpr6
; %bb.1933:                             ;   in Loop: Header=BB432_1571 Depth=1
	s_and_not1_saveexec_b32 s11, s1
; %bb.1934:                             ;   in Loop: Header=BB432_1571 Depth=1
	v_and_b32_e32 v7, 0xffff, v6
	v_or_b32_e32 v9, 0x10000, v6
	s_delay_alu instid0(VALU_DEP_2) | instskip(NEXT) | instid1(VALU_DEP_1)
	v_cmp_eq_u32_e64 s1, 0, v7
	v_cndmask_b32_e64 v36, v9, v6, s1
; %bb.1935:                             ;   in Loop: Header=BB432_1571 Depth=1
	s_or_b32 exec_lo, exec_lo, s11
	v_lshrrev_b32_e32 v115, 16, v3
	s_mov_b32 s11, exec_lo
	s_delay_alu instid0(VALU_DEP_1) | instskip(NEXT) | instid1(VALU_DEP_1)
	v_dual_mov_b32 v6, 0 :: v_dual_and_b32 v7, 0xff, v115
	v_cmpx_ne_u16_e32 0, v7
	s_cbranch_execz .LBB432_1943
; %bb.1936:                             ;   in Loop: Header=BB432_1571 Depth=1
	v_bfrev_b32_e32 v6, 1
	s_mov_b32 s12, exec_lo
	v_cmpx_ne_u16_e32 0x80, v7
	s_cbranch_execz .LBB432_1942
; %bb.1937:                             ;   in Loop: Header=BB432_1571 Depth=1
	v_bfe_u32 v7, v3, 16, 7
	v_mov_b32_e32 v6, 0x7f800001
	s_mov_b32 s13, exec_lo
	s_delay_alu instid0(VALU_DEP_2)
	v_cmpx_ne_u32_e32 0x7f, v7
	s_cbranch_execz .LBB432_1941
; %bb.1938:                             ;   in Loop: Header=BB432_1571 Depth=1
	v_and_b32_e32 v9, 7, v115
	v_lshrrev_b32_e32 v116, 3, v7
	v_cmp_gt_u32_e64 s1, 8, v7
	s_delay_alu instid0(VALU_DEP_3) | instskip(NEXT) | instid1(VALU_DEP_2)
	v_dual_mov_b32 v6, v9 :: v_dual_mov_b32 v7, v10
	s_and_saveexec_b32 s15, s1
; %bb.1939:                             ;   in Loop: Header=BB432_1571 Depth=1
	v_clz_i32_u32_e32 v6, v9
	s_delay_alu instid0(VALU_DEP_1) | instskip(NEXT) | instid1(VALU_DEP_1)
	v_min_u32_e32 v116, 32, v6
	v_subrev_nc_u32_e32 v6, 28, v116
	v_sub_nc_u32_e32 v116, 29, v116
	s_delay_alu instid0(VALU_DEP_2) | instskip(NEXT) | instid1(VALU_DEP_1)
	v_lshlrev_b64 v[6:7], v6, v[9:10]
	v_and_b32_e32 v6, 7, v6
; %bb.1940:                             ;   in Loop: Header=BB432_1571 Depth=1
	s_or_b32 exec_lo, exec_lo, s15
	v_lshlrev_b32_e32 v7, 24, v115
	s_delay_alu instid0(VALU_DEP_2) | instskip(SKIP_1) | instid1(VALU_DEP_3)
	v_lshlrev_b32_e32 v6, 20, v6
	v_lshl_add_u32 v9, v116, 23, 0x3c000000
	v_and_b32_e32 v7, 0x80000000, v7
	s_delay_alu instid0(VALU_DEP_1)
	v_or3_b32 v6, v6, v7, v9
.LBB432_1941:                           ;   in Loop: Header=BB432_1571 Depth=1
	s_or_b32 exec_lo, exec_lo, s13
.LBB432_1942:                           ;   in Loop: Header=BB432_1571 Depth=1
	s_delay_alu instid0(SALU_CYCLE_1)
	s_or_b32 exec_lo, exec_lo, s12
.LBB432_1943:                           ;   in Loop: Header=BB432_1571 Depth=1
	s_delay_alu instid0(SALU_CYCLE_1) | instskip(NEXT) | instid1(VALU_DEP_1)
	s_or_b32 exec_lo, exec_lo, s11
	v_mul_f32_e32 v6, v26, v6
                                        ; implicit-def: $vgpr115
	s_delay_alu instid0(VALU_DEP_1) | instskip(NEXT) | instid1(VALU_DEP_1)
	v_and_b32_e32 v7, 0x7f800000, v6
	v_cmp_ne_u32_e64 s1, 0x7f800000, v7
	s_delay_alu instid0(VALU_DEP_1) | instskip(NEXT) | instid1(SALU_CYCLE_1)
	s_and_saveexec_b32 s11, s1
	s_xor_b32 s1, exec_lo, s11
; %bb.1944:                             ;   in Loop: Header=BB432_1571 Depth=1
	v_bfe_u32 v7, v6, 16, 1
	s_delay_alu instid0(VALU_DEP_1)
	v_add3_u32 v115, v6, v7, 0x7fff
                                        ; implicit-def: $vgpr6
; %bb.1945:                             ;   in Loop: Header=BB432_1571 Depth=1
	s_and_not1_saveexec_b32 s11, s1
; %bb.1946:                             ;   in Loop: Header=BB432_1571 Depth=1
	v_and_b32_e32 v7, 0xffff, v6
	v_or_b32_e32 v9, 0x10000, v6
	s_delay_alu instid0(VALU_DEP_2) | instskip(NEXT) | instid1(VALU_DEP_1)
	v_cmp_eq_u32_e64 s1, 0, v7
	v_cndmask_b32_e64 v115, v9, v6, s1
; %bb.1947:                             ;   in Loop: Header=BB432_1571 Depth=1
	s_or_b32 exec_lo, exec_lo, s11
	v_cmp_lt_u64_e64 s1, s[2:3], v[2:3]
	v_mov_b32_e32 v2, 0
	s_delay_alu instid0(VALU_DEP_2)
	s_and_saveexec_b32 s11, s1
	s_cbranch_execz .LBB432_1955
; %bb.1948:                             ;   in Loop: Header=BB432_1571 Depth=1
	v_lshrrev_b32_e32 v6, 24, v3
	v_bfrev_b32_e32 v2, 1
	s_mov_b32 s12, exec_lo
	s_delay_alu instid0(VALU_DEP_2)
	v_cmpx_ne_u32_e32 0x80, v6
	s_cbranch_execz .LBB432_1954
; %bb.1949:                             ;   in Loop: Header=BB432_1571 Depth=1
	v_bfe_u32 v3, v3, 24, 7
	v_mov_b32_e32 v2, 0x7f800001
	s_mov_b32 s13, exec_lo
	s_delay_alu instid0(VALU_DEP_2)
	v_cmpx_ne_u32_e32 0x7f, v3
	s_cbranch_execz .LBB432_1953
; %bb.1950:                             ;   in Loop: Header=BB432_1571 Depth=1
	v_and_b32_e32 v9, 7, v6
	v_lshrrev_b32_e32 v7, 3, v3
	v_cmp_gt_u32_e64 s1, 8, v3
	s_delay_alu instid0(VALU_DEP_3) | instskip(NEXT) | instid1(VALU_DEP_2)
	v_dual_mov_b32 v2, v9 :: v_dual_mov_b32 v3, v10
	s_and_saveexec_b32 s15, s1
; %bb.1951:                             ;   in Loop: Header=BB432_1571 Depth=1
	v_clz_i32_u32_e32 v2, v9
	s_delay_alu instid0(VALU_DEP_1) | instskip(NEXT) | instid1(VALU_DEP_1)
	v_min_u32_e32 v7, 32, v2
	v_subrev_nc_u32_e32 v2, 28, v7
	v_sub_nc_u32_e32 v7, 29, v7
	s_delay_alu instid0(VALU_DEP_2) | instskip(NEXT) | instid1(VALU_DEP_1)
	v_lshlrev_b64 v[2:3], v2, v[9:10]
	v_and_b32_e32 v2, 7, v2
; %bb.1952:                             ;   in Loop: Header=BB432_1571 Depth=1
	s_or_b32 exec_lo, exec_lo, s15
	v_lshlrev_b32_e32 v3, 24, v6
	s_delay_alu instid0(VALU_DEP_2) | instskip(SKIP_1) | instid1(VALU_DEP_3)
	v_lshlrev_b32_e32 v2, 20, v2
	v_lshl_add_u32 v6, v7, 23, 0x3c000000
	v_and_b32_e32 v3, 0x80000000, v3
	s_delay_alu instid0(VALU_DEP_1)
	v_or3_b32 v2, v2, v3, v6
.LBB432_1953:                           ;   in Loop: Header=BB432_1571 Depth=1
	s_or_b32 exec_lo, exec_lo, s13
.LBB432_1954:                           ;   in Loop: Header=BB432_1571 Depth=1
	s_delay_alu instid0(SALU_CYCLE_1)
	s_or_b32 exec_lo, exec_lo, s12
.LBB432_1955:                           ;   in Loop: Header=BB432_1571 Depth=1
	s_delay_alu instid0(SALU_CYCLE_1) | instskip(NEXT) | instid1(VALU_DEP_1)
	s_or_b32 exec_lo, exec_lo, s11
	v_mul_f32_e32 v3, v26, v2
	s_delay_alu instid0(VALU_DEP_1) | instskip(NEXT) | instid1(VALU_DEP_1)
	v_and_b32_e32 v2, 0x7f800000, v3
	v_cmp_ne_u32_e64 s1, 0x7f800000, v2
                                        ; implicit-def: $vgpr2
	s_delay_alu instid0(VALU_DEP_1) | instskip(NEXT) | instid1(SALU_CYCLE_1)
	s_and_saveexec_b32 s11, s1
	s_xor_b32 s1, exec_lo, s11
; %bb.1956:                             ;   in Loop: Header=BB432_1571 Depth=1
	v_bfe_u32 v2, v3, 16, 1
	s_delay_alu instid0(VALU_DEP_1)
	v_add3_u32 v2, v3, v2, 0x7fff
                                        ; implicit-def: $vgpr3
; %bb.1957:                             ;   in Loop: Header=BB432_1571 Depth=1
	s_and_not1_saveexec_b32 s11, s1
; %bb.1958:                             ;   in Loop: Header=BB432_1571 Depth=1
	v_and_b32_e32 v2, 0xffff, v3
	v_or_b32_e32 v6, 0x10000, v3
	s_delay_alu instid0(VALU_DEP_2) | instskip(NEXT) | instid1(VALU_DEP_1)
	v_cmp_eq_u32_e64 s1, 0, v2
	v_cndmask_b32_e64 v2, v6, v3, s1
; %bb.1959:                             ;   in Loop: Header=BB432_1571 Depth=1
	s_or_b32 exec_lo, exec_lo, s11
	v_lshrrev_b32_e32 v6, 16, v36
	v_lshrrev_b32_e32 v7, 16, v34
	;; [unrolled: 1-line block ×8, first 2 shown]
	s_and_saveexec_b32 s11, vcc_lo
	s_cbranch_execz .LBB432_1961
; %bb.1960:                             ;   in Loop: Header=BB432_1571 Depth=1
	v_cmp_lt_i32_e64 s1, v68, v35
	s_delay_alu instid0(VALU_DEP_1) | instskip(SKIP_1) | instid1(VALU_DEP_1)
	v_cndmask_b32_e64 v4, 0, v4, s1
	v_cmp_lt_i32_e64 s1, v82, v35
	v_cndmask_b32_e64 v5, 0, v5, s1
	v_cmp_lt_i32_e64 s1, v81, v35
	s_delay_alu instid0(VALU_DEP_1) | instskip(SKIP_1) | instid1(VALU_DEP_1)
	v_cndmask_b32_e64 v32, 0, v32, s1
	v_cmp_lt_i32_e64 s1, v80, v35
	v_cndmask_b32_e64 v9, 0, v9, s1
	;; [unrolled: 5-line block ×4, first 2 shown]
.LBB432_1961:                           ;   in Loop: Header=BB432_1571 Depth=1
	s_or_b32 exec_lo, exec_lo, s11
	v_lshlrev_b32_e32 v4, 16, v4
                                        ; implicit-def: $vgpr115
	s_delay_alu instid0(VALU_DEP_1) | instskip(NEXT) | instid1(VALU_DEP_1)
	v_mul_f32_e32 v4, v83, v4
	v_and_b32_e32 v33, 0x7f800000, v4
	s_delay_alu instid0(VALU_DEP_1) | instskip(NEXT) | instid1(VALU_DEP_1)
	v_cmp_ne_u32_e64 s1, 0x7f800000, v33
	s_and_saveexec_b32 s11, s1
	s_delay_alu instid0(SALU_CYCLE_1)
	s_xor_b32 s1, exec_lo, s11
; %bb.1962:                             ;   in Loop: Header=BB432_1571 Depth=1
	v_bfe_u32 v33, v4, 16, 1
	s_delay_alu instid0(VALU_DEP_1)
	v_add3_u32 v115, v4, v33, 0x7fff
                                        ; implicit-def: $vgpr4
; %bb.1963:                             ;   in Loop: Header=BB432_1571 Depth=1
	s_and_not1_saveexec_b32 s11, s1
; %bb.1964:                             ;   in Loop: Header=BB432_1571 Depth=1
	v_and_b32_e32 v33, 0xffff, v4
	v_or_b32_e32 v34, 0x10000, v4
	s_delay_alu instid0(VALU_DEP_2) | instskip(NEXT) | instid1(VALU_DEP_1)
	v_cmp_eq_u32_e64 s1, 0, v33
	v_cndmask_b32_e64 v115, v34, v4, s1
; %bb.1965:                             ;   in Loop: Header=BB432_1571 Depth=1
	s_or_b32 exec_lo, exec_lo, s11
	v_lshlrev_b32_e32 v4, 16, v5
                                        ; implicit-def: $vgpr116
	s_delay_alu instid0(VALU_DEP_1) | instskip(NEXT) | instid1(VALU_DEP_1)
	v_mul_f32_e32 v4, v84, v4
	v_and_b32_e32 v5, 0x7f800000, v4
	s_delay_alu instid0(VALU_DEP_1) | instskip(NEXT) | instid1(VALU_DEP_1)
	v_cmp_ne_u32_e64 s1, 0x7f800000, v5
	s_and_saveexec_b32 s11, s1
	s_delay_alu instid0(SALU_CYCLE_1)
	s_xor_b32 s1, exec_lo, s11
; %bb.1966:                             ;   in Loop: Header=BB432_1571 Depth=1
	v_bfe_u32 v5, v4, 16, 1
	s_delay_alu instid0(VALU_DEP_1)
	v_add3_u32 v116, v4, v5, 0x7fff
                                        ; implicit-def: $vgpr4
; %bb.1967:                             ;   in Loop: Header=BB432_1571 Depth=1
	s_and_not1_saveexec_b32 s11, s1
; %bb.1968:                             ;   in Loop: Header=BB432_1571 Depth=1
	v_and_b32_e32 v5, 0xffff, v4
	v_or_b32_e32 v33, 0x10000, v4
	s_delay_alu instid0(VALU_DEP_2) | instskip(NEXT) | instid1(VALU_DEP_1)
	v_cmp_eq_u32_e64 s1, 0, v5
	v_cndmask_b32_e64 v116, v33, v4, s1
; %bb.1969:                             ;   in Loop: Header=BB432_1571 Depth=1
	s_or_b32 exec_lo, exec_lo, s11
	v_lshlrev_b32_e32 v4, 16, v32
                                        ; implicit-def: $vgpr117
	s_delay_alu instid0(VALU_DEP_1) | instskip(NEXT) | instid1(VALU_DEP_1)
	v_mul_f32_e32 v4, v85, v4
	v_and_b32_e32 v5, 0x7f800000, v4
	s_delay_alu instid0(VALU_DEP_1) | instskip(NEXT) | instid1(VALU_DEP_1)
	v_cmp_ne_u32_e64 s1, 0x7f800000, v5
	s_and_saveexec_b32 s11, s1
	s_delay_alu instid0(SALU_CYCLE_1)
	s_xor_b32 s1, exec_lo, s11
; %bb.1970:                             ;   in Loop: Header=BB432_1571 Depth=1
	v_bfe_u32 v5, v4, 16, 1
	s_delay_alu instid0(VALU_DEP_1)
	v_add3_u32 v117, v4, v5, 0x7fff
                                        ; implicit-def: $vgpr4
; %bb.1971:                             ;   in Loop: Header=BB432_1571 Depth=1
	s_and_not1_saveexec_b32 s11, s1
; %bb.1972:                             ;   in Loop: Header=BB432_1571 Depth=1
	v_and_b32_e32 v5, 0xffff, v4
	v_or_b32_e32 v32, 0x10000, v4
	s_delay_alu instid0(VALU_DEP_2) | instskip(NEXT) | instid1(VALU_DEP_1)
	v_cmp_eq_u32_e64 s1, 0, v5
	v_cndmask_b32_e64 v117, v32, v4, s1
; %bb.1973:                             ;   in Loop: Header=BB432_1571 Depth=1
	s_or_b32 exec_lo, exec_lo, s11
	v_lshlrev_b32_e32 v4, 16, v9
                                        ; implicit-def: $vgpr118
	s_delay_alu instid0(VALU_DEP_1) | instskip(NEXT) | instid1(VALU_DEP_1)
	v_mul_f32_e32 v4, v86, v4
	v_and_b32_e32 v5, 0x7f800000, v4
	s_delay_alu instid0(VALU_DEP_1) | instskip(NEXT) | instid1(VALU_DEP_1)
	v_cmp_ne_u32_e64 s1, 0x7f800000, v5
	s_and_saveexec_b32 s11, s1
	s_delay_alu instid0(SALU_CYCLE_1)
	s_xor_b32 s1, exec_lo, s11
; %bb.1974:                             ;   in Loop: Header=BB432_1571 Depth=1
	v_bfe_u32 v5, v4, 16, 1
	s_delay_alu instid0(VALU_DEP_1)
	v_add3_u32 v118, v4, v5, 0x7fff
                                        ; implicit-def: $vgpr4
; %bb.1975:                             ;   in Loop: Header=BB432_1571 Depth=1
	s_and_not1_saveexec_b32 s11, s1
; %bb.1976:                             ;   in Loop: Header=BB432_1571 Depth=1
	v_and_b32_e32 v5, 0xffff, v4
	v_or_b32_e32 v9, 0x10000, v4
	s_delay_alu instid0(VALU_DEP_2) | instskip(NEXT) | instid1(VALU_DEP_1)
	v_cmp_eq_u32_e64 s1, 0, v5
	v_cndmask_b32_e64 v118, v9, v4, s1
; %bb.1977:                             ;   in Loop: Header=BB432_1571 Depth=1
	s_or_b32 exec_lo, exec_lo, s11
	v_lshlrev_b32_e32 v4, 16, v7
                                        ; implicit-def: $vgpr119
	s_delay_alu instid0(VALU_DEP_1) | instskip(NEXT) | instid1(VALU_DEP_1)
	v_mul_f32_e32 v4, v87, v4
	v_and_b32_e32 v5, 0x7f800000, v4
	s_delay_alu instid0(VALU_DEP_1) | instskip(NEXT) | instid1(VALU_DEP_1)
	v_cmp_ne_u32_e64 s1, 0x7f800000, v5
	s_and_saveexec_b32 s11, s1
	s_delay_alu instid0(SALU_CYCLE_1)
	s_xor_b32 s1, exec_lo, s11
; %bb.1978:                             ;   in Loop: Header=BB432_1571 Depth=1
	v_bfe_u32 v5, v4, 16, 1
	s_delay_alu instid0(VALU_DEP_1)
	v_add3_u32 v119, v4, v5, 0x7fff
                                        ; implicit-def: $vgpr4
; %bb.1979:                             ;   in Loop: Header=BB432_1571 Depth=1
	s_and_not1_saveexec_b32 s11, s1
; %bb.1980:                             ;   in Loop: Header=BB432_1571 Depth=1
	v_and_b32_e32 v5, 0xffff, v4
	v_or_b32_e32 v7, 0x10000, v4
	s_delay_alu instid0(VALU_DEP_2) | instskip(NEXT) | instid1(VALU_DEP_1)
	v_cmp_eq_u32_e64 s1, 0, v5
	v_cndmask_b32_e64 v119, v7, v4, s1
; %bb.1981:                             ;   in Loop: Header=BB432_1571 Depth=1
	s_or_b32 exec_lo, exec_lo, s11
	v_lshlrev_b32_e32 v4, 16, v6
                                        ; implicit-def: $vgpr128
	s_delay_alu instid0(VALU_DEP_1) | instskip(NEXT) | instid1(VALU_DEP_1)
	v_mul_f32_e32 v4, v96, v4
	v_and_b32_e32 v5, 0x7f800000, v4
	s_delay_alu instid0(VALU_DEP_1) | instskip(NEXT) | instid1(VALU_DEP_1)
	v_cmp_ne_u32_e64 s1, 0x7f800000, v5
	s_and_saveexec_b32 s11, s1
	s_delay_alu instid0(SALU_CYCLE_1)
	s_xor_b32 s1, exec_lo, s11
; %bb.1982:                             ;   in Loop: Header=BB432_1571 Depth=1
	v_bfe_u32 v5, v4, 16, 1
	s_delay_alu instid0(VALU_DEP_1)
	v_add3_u32 v128, v4, v5, 0x7fff
                                        ; implicit-def: $vgpr4
; %bb.1983:                             ;   in Loop: Header=BB432_1571 Depth=1
	s_and_not1_saveexec_b32 s11, s1
; %bb.1984:                             ;   in Loop: Header=BB432_1571 Depth=1
	v_and_b32_e32 v5, 0xffff, v4
	v_or_b32_e32 v6, 0x10000, v4
	s_delay_alu instid0(VALU_DEP_2) | instskip(NEXT) | instid1(VALU_DEP_1)
	v_cmp_eq_u32_e64 s1, 0, v5
	v_cndmask_b32_e64 v128, v6, v4, s1
; %bb.1985:                             ;   in Loop: Header=BB432_1571 Depth=1
	s_or_b32 exec_lo, exec_lo, s11
	v_lshlrev_b32_e32 v3, 16, v3
                                        ; implicit-def: $vgpr129
	s_delay_alu instid0(VALU_DEP_1) | instskip(NEXT) | instid1(VALU_DEP_1)
	v_mul_f32_e32 v3, v97, v3
	v_and_b32_e32 v4, 0x7f800000, v3
	s_delay_alu instid0(VALU_DEP_1) | instskip(NEXT) | instid1(VALU_DEP_1)
	v_cmp_ne_u32_e64 s1, 0x7f800000, v4
	s_and_saveexec_b32 s11, s1
	s_delay_alu instid0(SALU_CYCLE_1)
	s_xor_b32 s1, exec_lo, s11
; %bb.1986:                             ;   in Loop: Header=BB432_1571 Depth=1
	v_bfe_u32 v4, v3, 16, 1
	s_delay_alu instid0(VALU_DEP_1)
	v_add3_u32 v129, v3, v4, 0x7fff
                                        ; implicit-def: $vgpr3
; %bb.1987:                             ;   in Loop: Header=BB432_1571 Depth=1
	s_and_not1_saveexec_b32 s11, s1
; %bb.1988:                             ;   in Loop: Header=BB432_1571 Depth=1
	v_and_b32_e32 v4, 0xffff, v3
	v_or_b32_e32 v5, 0x10000, v3
	s_delay_alu instid0(VALU_DEP_2) | instskip(NEXT) | instid1(VALU_DEP_1)
	v_cmp_eq_u32_e64 s1, 0, v4
	v_cndmask_b32_e64 v129, v5, v3, s1
; %bb.1989:                             ;   in Loop: Header=BB432_1571 Depth=1
	s_or_b32 exec_lo, exec_lo, s11
	v_lshlrev_b32_e32 v2, 16, v2
                                        ; implicit-def: $vgpr130
	s_delay_alu instid0(VALU_DEP_1) | instskip(NEXT) | instid1(VALU_DEP_1)
	v_mul_f32_e32 v2, v98, v2
	v_and_b32_e32 v3, 0x7f800000, v2
	s_delay_alu instid0(VALU_DEP_1) | instskip(NEXT) | instid1(VALU_DEP_1)
	v_cmp_ne_u32_e64 s1, 0x7f800000, v3
	s_and_saveexec_b32 s11, s1
	s_delay_alu instid0(SALU_CYCLE_1)
	s_xor_b32 s1, exec_lo, s11
; %bb.1990:                             ;   in Loop: Header=BB432_1571 Depth=1
	v_bfe_u32 v3, v2, 16, 1
	s_delay_alu instid0(VALU_DEP_1)
	v_add3_u32 v130, v2, v3, 0x7fff
                                        ; implicit-def: $vgpr2
; %bb.1991:                             ;   in Loop: Header=BB432_1571 Depth=1
	s_and_not1_saveexec_b32 s11, s1
; %bb.1992:                             ;   in Loop: Header=BB432_1571 Depth=1
	v_and_b32_e32 v3, 0xffff, v2
	v_or_b32_e32 v4, 0x10000, v2
	s_delay_alu instid0(VALU_DEP_2) | instskip(NEXT) | instid1(VALU_DEP_1)
	v_cmp_eq_u32_e64 s1, 0, v3
	v_cndmask_b32_e64 v130, v4, v2, s1
; %bb.1993:                             ;   in Loop: Header=BB432_1571 Depth=1
	s_or_b32 exec_lo, exec_lo, s11
	flat_load_b64 v[2:3], v[0:1] offset:768
	s_mov_b32 s11, exec_lo
	s_waitcnt vmcnt(0) lgkmcnt(0)
	v_dual_mov_b32 v4, 0 :: v_dual_and_b32 v5, 0xff, v2
	s_delay_alu instid0(VALU_DEP_1)
	v_cmpx_ne_u16_e32 0, v5
	s_cbranch_execz .LBB432_2001
; %bb.1994:                             ;   in Loop: Header=BB432_1571 Depth=1
	v_bfrev_b32_e32 v4, 1
	s_mov_b32 s12, exec_lo
	v_cmpx_ne_u16_e32 0x80, v5
	s_cbranch_execz .LBB432_2000
; %bb.1995:                             ;   in Loop: Header=BB432_1571 Depth=1
	v_and_b32_e32 v5, 0x7f, v2
	v_mov_b32_e32 v4, 0x7f800001
	s_mov_b32 s13, exec_lo
	s_delay_alu instid0(VALU_DEP_2)
	v_cmpx_ne_u32_e32 0x7f, v5
	s_cbranch_execz .LBB432_1999
; %bb.1996:                             ;   in Loop: Header=BB432_1571 Depth=1
	v_lshrrev_b32_e32 v4, 3, v5
	v_dual_mov_b32 v7, v3 :: v_dual_mov_b32 v6, v2
	s_mov_b32 s15, exec_lo
	v_cmpx_gt_u32_e32 8, v5
; %bb.1997:                             ;   in Loop: Header=BB432_1571 Depth=1
	v_and_b32_e32 v4, 7, v2
	s_delay_alu instid0(VALU_DEP_1) | instskip(NEXT) | instid1(VALU_DEP_1)
	v_clz_i32_u32_e32 v4, v4
	v_min_u32_e32 v4, 32, v4
	s_delay_alu instid0(VALU_DEP_1) | instskip(SKIP_1) | instid1(VALU_DEP_2)
	v_subrev_nc_u32_e32 v5, 28, v4
	v_sub_nc_u32_e32 v4, 29, v4
	v_lshlrev_b64 v[6:7], v5, v[2:3]
; %bb.1998:                             ;   in Loop: Header=BB432_1571 Depth=1
	s_or_b32 exec_lo, exec_lo, s15
	s_delay_alu instid0(VALU_DEP_1) | instskip(SKIP_2) | instid1(VALU_DEP_3)
	v_lshlrev_b32_e32 v5, 20, v6
	v_lshlrev_b32_e32 v6, 24, v2
	v_lshl_add_u32 v4, v4, 23, 0x3c000000
	v_and_b32_e32 v5, 0x700000, v5
	s_delay_alu instid0(VALU_DEP_3) | instskip(NEXT) | instid1(VALU_DEP_1)
	v_and_b32_e32 v6, 0x80000000, v6
	v_or3_b32 v4, v5, v6, v4
.LBB432_1999:                           ;   in Loop: Header=BB432_1571 Depth=1
	s_or_b32 exec_lo, exec_lo, s13
.LBB432_2000:                           ;   in Loop: Header=BB432_1571 Depth=1
	s_delay_alu instid0(SALU_CYCLE_1)
	s_or_b32 exec_lo, exec_lo, s12
.LBB432_2001:                           ;   in Loop: Header=BB432_1571 Depth=1
	s_delay_alu instid0(SALU_CYCLE_1) | instskip(NEXT) | instid1(VALU_DEP_1)
	s_or_b32 exec_lo, exec_lo, s11
	v_mul_f32_e32 v5, v26, v4
	s_delay_alu instid0(VALU_DEP_1) | instskip(NEXT) | instid1(VALU_DEP_1)
	v_and_b32_e32 v4, 0x7f800000, v5
	v_cmp_ne_u32_e64 s1, 0x7f800000, v4
                                        ; implicit-def: $vgpr4
	s_delay_alu instid0(VALU_DEP_1) | instskip(NEXT) | instid1(SALU_CYCLE_1)
	s_and_saveexec_b32 s11, s1
	s_xor_b32 s1, exec_lo, s11
; %bb.2002:                             ;   in Loop: Header=BB432_1571 Depth=1
	v_bfe_u32 v4, v5, 16, 1
	s_delay_alu instid0(VALU_DEP_1)
	v_add3_u32 v4, v5, v4, 0x7fff
                                        ; implicit-def: $vgpr5
; %bb.2003:                             ;   in Loop: Header=BB432_1571 Depth=1
	s_and_not1_saveexec_b32 s11, s1
; %bb.2004:                             ;   in Loop: Header=BB432_1571 Depth=1
	v_and_b32_e32 v4, 0xffff, v5
	v_or_b32_e32 v6, 0x10000, v5
	s_delay_alu instid0(VALU_DEP_2) | instskip(NEXT) | instid1(VALU_DEP_1)
	v_cmp_eq_u32_e64 s1, 0, v4
	v_cndmask_b32_e64 v4, v6, v5, s1
; %bb.2005:                             ;   in Loop: Header=BB432_1571 Depth=1
	s_or_b32 exec_lo, exec_lo, s11
	v_lshrrev_b16 v6, 8, v2
	v_mov_b32_e32 v5, 0
	s_mov_b32 s11, exec_lo
	s_delay_alu instid0(VALU_DEP_2)
	v_cmpx_ne_u16_e32 0, v6
	s_cbranch_execz .LBB432_2013
; %bb.2006:                             ;   in Loop: Header=BB432_1571 Depth=1
	v_bfrev_b32_e32 v5, 1
	s_mov_b32 s12, exec_lo
	v_cmpx_ne_u16_e32 0x80, v6
	s_cbranch_execz .LBB432_2012
; %bb.2007:                             ;   in Loop: Header=BB432_1571 Depth=1
	v_and_b32_e32 v7, 0xffff, v6
	v_mov_b32_e32 v5, 0x7f800001
	s_mov_b32 s13, exec_lo
	s_delay_alu instid0(VALU_DEP_2) | instskip(NEXT) | instid1(VALU_DEP_1)
	v_and_b32_e32 v6, 0x7f, v7
	v_cmpx_ne_u32_e32 0x7f, v6
	s_cbranch_execz .LBB432_2011
; %bb.2008:                             ;   in Loop: Header=BB432_1571 Depth=1
	v_and_b32_e32 v9, 7, v7
	v_lshrrev_b32_e32 v5, 3, v6
	v_cmp_gt_u32_e64 s1, 8, v6
	s_delay_alu instid0(VALU_DEP_3) | instskip(NEXT) | instid1(VALU_DEP_2)
	v_dual_mov_b32 v6, v9 :: v_dual_mov_b32 v7, v10
	s_and_saveexec_b32 s15, s1
; %bb.2009:                             ;   in Loop: Header=BB432_1571 Depth=1
	v_clz_i32_u32_e32 v5, v9
	s_delay_alu instid0(VALU_DEP_1) | instskip(NEXT) | instid1(VALU_DEP_1)
	v_min_u32_e32 v5, 32, v5
	v_subrev_nc_u32_e32 v6, 28, v5
	v_sub_nc_u32_e32 v5, 29, v5
	s_delay_alu instid0(VALU_DEP_2) | instskip(NEXT) | instid1(VALU_DEP_1)
	v_lshlrev_b64 v[6:7], v6, v[9:10]
	v_and_b32_e32 v6, 7, v6
; %bb.2010:                             ;   in Loop: Header=BB432_1571 Depth=1
	s_or_b32 exec_lo, exec_lo, s15
	v_lshlrev_b32_e32 v7, 16, v2
	s_delay_alu instid0(VALU_DEP_2) | instskip(SKIP_1) | instid1(VALU_DEP_3)
	v_lshlrev_b32_e32 v6, 20, v6
	v_lshl_add_u32 v5, v5, 23, 0x3c000000
	v_and_b32_e32 v7, 0x80000000, v7
	s_delay_alu instid0(VALU_DEP_1)
	v_or3_b32 v5, v6, v7, v5
.LBB432_2011:                           ;   in Loop: Header=BB432_1571 Depth=1
	s_or_b32 exec_lo, exec_lo, s13
.LBB432_2012:                           ;   in Loop: Header=BB432_1571 Depth=1
	s_delay_alu instid0(SALU_CYCLE_1)
	s_or_b32 exec_lo, exec_lo, s12
.LBB432_2013:                           ;   in Loop: Header=BB432_1571 Depth=1
	s_delay_alu instid0(SALU_CYCLE_1) | instskip(NEXT) | instid1(VALU_DEP_1)
	s_or_b32 exec_lo, exec_lo, s11
	v_mul_f32_e32 v6, v26, v5
	s_delay_alu instid0(VALU_DEP_1) | instskip(NEXT) | instid1(VALU_DEP_1)
	v_and_b32_e32 v5, 0x7f800000, v6
	v_cmp_ne_u32_e64 s1, 0x7f800000, v5
                                        ; implicit-def: $vgpr5
	s_delay_alu instid0(VALU_DEP_1) | instskip(NEXT) | instid1(SALU_CYCLE_1)
	s_and_saveexec_b32 s11, s1
	s_xor_b32 s1, exec_lo, s11
; %bb.2014:                             ;   in Loop: Header=BB432_1571 Depth=1
	v_bfe_u32 v5, v6, 16, 1
	s_delay_alu instid0(VALU_DEP_1)
	v_add3_u32 v5, v6, v5, 0x7fff
                                        ; implicit-def: $vgpr6
; %bb.2015:                             ;   in Loop: Header=BB432_1571 Depth=1
	s_and_not1_saveexec_b32 s11, s1
; %bb.2016:                             ;   in Loop: Header=BB432_1571 Depth=1
	v_and_b32_e32 v5, 0xffff, v6
	v_or_b32_e32 v7, 0x10000, v6
	s_delay_alu instid0(VALU_DEP_2) | instskip(NEXT) | instid1(VALU_DEP_1)
	v_cmp_eq_u32_e64 s1, 0, v5
	v_cndmask_b32_e64 v5, v7, v6, s1
; %bb.2017:                             ;   in Loop: Header=BB432_1571 Depth=1
	s_or_b32 exec_lo, exec_lo, s11
	v_lshrrev_b32_e32 v32, 16, v2
	s_mov_b32 s11, exec_lo
	s_delay_alu instid0(VALU_DEP_1) | instskip(NEXT) | instid1(VALU_DEP_1)
	v_dual_mov_b32 v6, 0 :: v_dual_and_b32 v7, 0xff, v32
	v_cmpx_ne_u16_e32 0, v7
	s_cbranch_execz .LBB432_2025
; %bb.2018:                             ;   in Loop: Header=BB432_1571 Depth=1
	v_bfrev_b32_e32 v6, 1
	s_mov_b32 s12, exec_lo
	v_cmpx_ne_u16_e32 0x80, v7
	s_cbranch_execz .LBB432_2024
; %bb.2019:                             ;   in Loop: Header=BB432_1571 Depth=1
	v_bfe_u32 v7, v2, 16, 7
	v_mov_b32_e32 v6, 0x7f800001
	s_mov_b32 s13, exec_lo
	s_delay_alu instid0(VALU_DEP_2)
	v_cmpx_ne_u32_e32 0x7f, v7
	s_cbranch_execz .LBB432_2023
; %bb.2020:                             ;   in Loop: Header=BB432_1571 Depth=1
	v_and_b32_e32 v9, 7, v32
	v_lshrrev_b32_e32 v33, 3, v7
	v_cmp_gt_u32_e64 s1, 8, v7
	s_delay_alu instid0(VALU_DEP_3) | instskip(NEXT) | instid1(VALU_DEP_2)
	v_dual_mov_b32 v6, v9 :: v_dual_mov_b32 v7, v10
	s_and_saveexec_b32 s15, s1
; %bb.2021:                             ;   in Loop: Header=BB432_1571 Depth=1
	v_clz_i32_u32_e32 v6, v9
	s_delay_alu instid0(VALU_DEP_1) | instskip(NEXT) | instid1(VALU_DEP_1)
	v_min_u32_e32 v33, 32, v6
	v_subrev_nc_u32_e32 v6, 28, v33
	v_sub_nc_u32_e32 v33, 29, v33
	s_delay_alu instid0(VALU_DEP_2) | instskip(NEXT) | instid1(VALU_DEP_1)
	v_lshlrev_b64 v[6:7], v6, v[9:10]
	v_and_b32_e32 v6, 7, v6
; %bb.2022:                             ;   in Loop: Header=BB432_1571 Depth=1
	s_or_b32 exec_lo, exec_lo, s15
	v_lshlrev_b32_e32 v7, 24, v32
	s_delay_alu instid0(VALU_DEP_2) | instskip(SKIP_1) | instid1(VALU_DEP_3)
	v_lshlrev_b32_e32 v6, 20, v6
	v_lshl_add_u32 v9, v33, 23, 0x3c000000
	v_and_b32_e32 v7, 0x80000000, v7
	s_delay_alu instid0(VALU_DEP_1)
	v_or3_b32 v6, v6, v7, v9
.LBB432_2023:                           ;   in Loop: Header=BB432_1571 Depth=1
	s_or_b32 exec_lo, exec_lo, s13
.LBB432_2024:                           ;   in Loop: Header=BB432_1571 Depth=1
	s_delay_alu instid0(SALU_CYCLE_1)
	s_or_b32 exec_lo, exec_lo, s12
.LBB432_2025:                           ;   in Loop: Header=BB432_1571 Depth=1
	s_delay_alu instid0(SALU_CYCLE_1) | instskip(NEXT) | instid1(VALU_DEP_1)
	s_or_b32 exec_lo, exec_lo, s11
	v_mul_f32_e32 v6, v26, v6
                                        ; implicit-def: $vgpr32
	s_delay_alu instid0(VALU_DEP_1) | instskip(NEXT) | instid1(VALU_DEP_1)
	v_and_b32_e32 v7, 0x7f800000, v6
	v_cmp_ne_u32_e64 s1, 0x7f800000, v7
	s_delay_alu instid0(VALU_DEP_1) | instskip(NEXT) | instid1(SALU_CYCLE_1)
	s_and_saveexec_b32 s11, s1
	s_xor_b32 s1, exec_lo, s11
; %bb.2026:                             ;   in Loop: Header=BB432_1571 Depth=1
	v_bfe_u32 v7, v6, 16, 1
	s_delay_alu instid0(VALU_DEP_1)
	v_add3_u32 v32, v6, v7, 0x7fff
                                        ; implicit-def: $vgpr6
; %bb.2027:                             ;   in Loop: Header=BB432_1571 Depth=1
	s_and_not1_saveexec_b32 s11, s1
; %bb.2028:                             ;   in Loop: Header=BB432_1571 Depth=1
	v_and_b32_e32 v7, 0xffff, v6
	v_or_b32_e32 v9, 0x10000, v6
	s_delay_alu instid0(VALU_DEP_2) | instskip(NEXT) | instid1(VALU_DEP_1)
	v_cmp_eq_u32_e64 s1, 0, v7
	v_cndmask_b32_e64 v32, v9, v6, s1
; %bb.2029:                             ;   in Loop: Header=BB432_1571 Depth=1
	s_or_b32 exec_lo, exec_lo, s11
	v_mov_b32_e32 v6, 0
	s_mov_b32 s11, exec_lo
	v_cmpx_lt_u32_e32 0xffffff, v2
	s_cbranch_execz .LBB432_2037
; %bb.2030:                             ;   in Loop: Header=BB432_1571 Depth=1
	v_lshrrev_b32_e32 v33, 24, v2
	v_bfrev_b32_e32 v6, 1
	s_mov_b32 s12, exec_lo
	s_delay_alu instid0(VALU_DEP_2)
	v_cmpx_ne_u32_e32 0x80, v33
	s_cbranch_execz .LBB432_2036
; %bb.2031:                             ;   in Loop: Header=BB432_1571 Depth=1
	v_bfe_u32 v7, v2, 24, 7
	v_mov_b32_e32 v6, 0x7f800001
	s_mov_b32 s13, exec_lo
	s_delay_alu instid0(VALU_DEP_2)
	v_cmpx_ne_u32_e32 0x7f, v7
	s_cbranch_execz .LBB432_2035
; %bb.2032:                             ;   in Loop: Header=BB432_1571 Depth=1
	v_and_b32_e32 v9, 7, v33
	v_lshrrev_b32_e32 v34, 3, v7
	v_cmp_gt_u32_e64 s1, 8, v7
	s_delay_alu instid0(VALU_DEP_3) | instskip(NEXT) | instid1(VALU_DEP_2)
	v_dual_mov_b32 v6, v9 :: v_dual_mov_b32 v7, v10
	s_and_saveexec_b32 s15, s1
; %bb.2033:                             ;   in Loop: Header=BB432_1571 Depth=1
	v_clz_i32_u32_e32 v6, v9
	s_delay_alu instid0(VALU_DEP_1) | instskip(NEXT) | instid1(VALU_DEP_1)
	v_min_u32_e32 v34, 32, v6
	v_subrev_nc_u32_e32 v6, 28, v34
	v_sub_nc_u32_e32 v34, 29, v34
	s_delay_alu instid0(VALU_DEP_2) | instskip(NEXT) | instid1(VALU_DEP_1)
	v_lshlrev_b64 v[6:7], v6, v[9:10]
	v_and_b32_e32 v6, 7, v6
; %bb.2034:                             ;   in Loop: Header=BB432_1571 Depth=1
	s_or_b32 exec_lo, exec_lo, s15
	v_lshlrev_b32_e32 v7, 24, v33
	s_delay_alu instid0(VALU_DEP_2) | instskip(SKIP_1) | instid1(VALU_DEP_3)
	v_lshlrev_b32_e32 v6, 20, v6
	v_lshl_add_u32 v9, v34, 23, 0x3c000000
	v_and_b32_e32 v7, 0x80000000, v7
	s_delay_alu instid0(VALU_DEP_1)
	v_or3_b32 v6, v6, v7, v9
.LBB432_2035:                           ;   in Loop: Header=BB432_1571 Depth=1
	s_or_b32 exec_lo, exec_lo, s13
.LBB432_2036:                           ;   in Loop: Header=BB432_1571 Depth=1
	s_delay_alu instid0(SALU_CYCLE_1)
	s_or_b32 exec_lo, exec_lo, s12
.LBB432_2037:                           ;   in Loop: Header=BB432_1571 Depth=1
	s_delay_alu instid0(SALU_CYCLE_1) | instskip(NEXT) | instid1(VALU_DEP_1)
	s_or_b32 exec_lo, exec_lo, s11
	v_mul_f32_e32 v6, v26, v6
                                        ; implicit-def: $vgpr33
	s_delay_alu instid0(VALU_DEP_1) | instskip(NEXT) | instid1(VALU_DEP_1)
	v_and_b32_e32 v7, 0x7f800000, v6
	v_cmp_ne_u32_e64 s1, 0x7f800000, v7
	s_delay_alu instid0(VALU_DEP_1) | instskip(NEXT) | instid1(SALU_CYCLE_1)
	s_and_saveexec_b32 s11, s1
	s_xor_b32 s1, exec_lo, s11
; %bb.2038:                             ;   in Loop: Header=BB432_1571 Depth=1
	v_bfe_u32 v7, v6, 16, 1
	s_delay_alu instid0(VALU_DEP_1)
	v_add3_u32 v33, v6, v7, 0x7fff
                                        ; implicit-def: $vgpr6
; %bb.2039:                             ;   in Loop: Header=BB432_1571 Depth=1
	s_and_not1_saveexec_b32 s11, s1
; %bb.2040:                             ;   in Loop: Header=BB432_1571 Depth=1
	v_and_b32_e32 v7, 0xffff, v6
	v_or_b32_e32 v9, 0x10000, v6
	s_delay_alu instid0(VALU_DEP_2) | instskip(NEXT) | instid1(VALU_DEP_1)
	v_cmp_eq_u32_e64 s1, 0, v7
	v_cndmask_b32_e64 v33, v9, v6, s1
; %bb.2041:                             ;   in Loop: Header=BB432_1571 Depth=1
	s_or_b32 exec_lo, exec_lo, s11
	v_dual_mov_b32 v6, 0 :: v_dual_and_b32 v7, 0xff, v3
	v_mov_b32_e32 v9, v3
	s_mov_b32 s11, exec_lo
	s_delay_alu instid0(VALU_DEP_2)
	v_cmpx_ne_u16_e32 0, v7
	s_cbranch_execz .LBB432_2049
; %bb.2042:                             ;   in Loop: Header=BB432_1571 Depth=1
	v_bfrev_b32_e32 v6, 1
	s_mov_b32 s12, exec_lo
	v_cmpx_ne_u16_e32 0x80, v7
	s_cbranch_execz .LBB432_2048
; %bb.2043:                             ;   in Loop: Header=BB432_1571 Depth=1
	v_and_b32_e32 v7, 0x7f, v3
	v_mov_b32_e32 v6, 0x7f800001
	s_mov_b32 s13, exec_lo
	s_delay_alu instid0(VALU_DEP_2)
	v_cmpx_ne_u32_e32 0x7f, v7
	s_cbranch_execz .LBB432_2047
; %bb.2044:                             ;   in Loop: Header=BB432_1571 Depth=1
	v_lshrrev_b32_e32 v34, 3, v7
	v_cmp_gt_u32_e64 s1, 8, v7
	v_dual_mov_b32 v6, v9 :: v_dual_mov_b32 v7, v10
	s_delay_alu instid0(VALU_DEP_2)
	s_and_saveexec_b32 s15, s1
; %bb.2045:                             ;   in Loop: Header=BB432_1571 Depth=1
	v_and_b32_e32 v6, 7, v3
	s_delay_alu instid0(VALU_DEP_1) | instskip(NEXT) | instid1(VALU_DEP_1)
	v_clz_i32_u32_e32 v6, v6
	v_min_u32_e32 v34, 32, v6
	s_delay_alu instid0(VALU_DEP_1) | instskip(SKIP_1) | instid1(VALU_DEP_2)
	v_subrev_nc_u32_e32 v6, 28, v34
	v_sub_nc_u32_e32 v34, 29, v34
	v_lshlrev_b64 v[6:7], v6, v[9:10]
; %bb.2046:                             ;   in Loop: Header=BB432_1571 Depth=1
	s_or_b32 exec_lo, exec_lo, s15
	s_delay_alu instid0(VALU_DEP_1) | instskip(SKIP_2) | instid1(VALU_DEP_3)
	v_lshlrev_b32_e32 v6, 20, v6
	v_lshlrev_b32_e32 v7, 24, v9
	v_lshl_add_u32 v34, v34, 23, 0x3c000000
	v_and_b32_e32 v6, 0x700000, v6
	s_delay_alu instid0(VALU_DEP_3) | instskip(NEXT) | instid1(VALU_DEP_1)
	v_and_b32_e32 v7, 0x80000000, v7
	v_or3_b32 v6, v6, v7, v34
.LBB432_2047:                           ;   in Loop: Header=BB432_1571 Depth=1
	s_or_b32 exec_lo, exec_lo, s13
.LBB432_2048:                           ;   in Loop: Header=BB432_1571 Depth=1
	s_delay_alu instid0(SALU_CYCLE_1)
	s_or_b32 exec_lo, exec_lo, s12
.LBB432_2049:                           ;   in Loop: Header=BB432_1571 Depth=1
	s_delay_alu instid0(SALU_CYCLE_1) | instskip(NEXT) | instid1(VALU_DEP_1)
	s_or_b32 exec_lo, exec_lo, s11
	v_mul_f32_e32 v6, v26, v6
                                        ; implicit-def: $vgpr34
	s_delay_alu instid0(VALU_DEP_1) | instskip(NEXT) | instid1(VALU_DEP_1)
	v_and_b32_e32 v7, 0x7f800000, v6
	v_cmp_ne_u32_e64 s1, 0x7f800000, v7
	s_delay_alu instid0(VALU_DEP_1) | instskip(NEXT) | instid1(SALU_CYCLE_1)
	s_and_saveexec_b32 s11, s1
	s_xor_b32 s1, exec_lo, s11
; %bb.2050:                             ;   in Loop: Header=BB432_1571 Depth=1
	v_bfe_u32 v7, v6, 16, 1
	s_delay_alu instid0(VALU_DEP_1)
	v_add3_u32 v34, v6, v7, 0x7fff
                                        ; implicit-def: $vgpr6
; %bb.2051:                             ;   in Loop: Header=BB432_1571 Depth=1
	s_and_not1_saveexec_b32 s11, s1
; %bb.2052:                             ;   in Loop: Header=BB432_1571 Depth=1
	v_and_b32_e32 v7, 0xffff, v6
	v_or_b32_e32 v34, 0x10000, v6
	s_delay_alu instid0(VALU_DEP_2) | instskip(NEXT) | instid1(VALU_DEP_1)
	v_cmp_eq_u32_e64 s1, 0, v7
	v_cndmask_b32_e64 v34, v34, v6, s1
; %bb.2053:                             ;   in Loop: Header=BB432_1571 Depth=1
	s_or_b32 exec_lo, exec_lo, s11
	v_lshrrev_b16 v7, 8, v9
	v_mov_b32_e32 v6, 0
	s_mov_b32 s11, exec_lo
	s_delay_alu instid0(VALU_DEP_2)
	v_cmpx_ne_u16_e32 0, v7
	s_cbranch_execz .LBB432_2061
; %bb.2054:                             ;   in Loop: Header=BB432_1571 Depth=1
	v_bfrev_b32_e32 v6, 1
	s_mov_b32 s12, exec_lo
	v_cmpx_ne_u16_e32 0x80, v7
	s_cbranch_execz .LBB432_2060
; %bb.2055:                             ;   in Loop: Header=BB432_1571 Depth=1
	v_and_b32_e32 v7, 0xffff, v7
	v_mov_b32_e32 v6, 0x7f800001
	s_mov_b32 s13, exec_lo
	s_delay_alu instid0(VALU_DEP_2) | instskip(NEXT) | instid1(VALU_DEP_1)
	v_and_b32_e32 v131, 0x7f, v7
	v_cmpx_ne_u32_e32 0x7f, v131
	s_cbranch_execz .LBB432_2059
; %bb.2056:                             ;   in Loop: Header=BB432_1571 Depth=1
	v_dual_mov_b32 v7, v10 :: v_dual_and_b32 v6, 7, v7
	v_lshrrev_b32_e32 v36, 3, v131
	s_mov_b32 s15, exec_lo
	v_cmpx_gt_u32_e32 8, v131
; %bb.2057:                             ;   in Loop: Header=BB432_1571 Depth=1
	s_delay_alu instid0(VALU_DEP_3) | instskip(NEXT) | instid1(VALU_DEP_1)
	v_clz_i32_u32_e32 v36, v6
	v_min_u32_e32 v36, 32, v36
	s_delay_alu instid0(VALU_DEP_1) | instskip(SKIP_1) | instid1(VALU_DEP_2)
	v_subrev_nc_u32_e32 v131, 28, v36
	v_sub_nc_u32_e32 v36, 29, v36
	v_lshlrev_b64 v[6:7], v131, v[6:7]
	s_delay_alu instid0(VALU_DEP_1)
	v_and_b32_e32 v6, 7, v6
; %bb.2058:                             ;   in Loop: Header=BB432_1571 Depth=1
	s_or_b32 exec_lo, exec_lo, s15
	v_lshlrev_b32_e32 v7, 16, v9
	s_delay_alu instid0(VALU_DEP_2) | instskip(SKIP_1) | instid1(VALU_DEP_3)
	v_lshlrev_b32_e32 v6, 20, v6
	v_lshl_add_u32 v9, v36, 23, 0x3c000000
	v_and_b32_e32 v7, 0x80000000, v7
	s_delay_alu instid0(VALU_DEP_1)
	v_or3_b32 v6, v6, v7, v9
.LBB432_2059:                           ;   in Loop: Header=BB432_1571 Depth=1
	s_or_b32 exec_lo, exec_lo, s13
.LBB432_2060:                           ;   in Loop: Header=BB432_1571 Depth=1
	s_delay_alu instid0(SALU_CYCLE_1)
	s_or_b32 exec_lo, exec_lo, s12
.LBB432_2061:                           ;   in Loop: Header=BB432_1571 Depth=1
	s_delay_alu instid0(SALU_CYCLE_1) | instskip(NEXT) | instid1(VALU_DEP_1)
	s_or_b32 exec_lo, exec_lo, s11
	v_mul_f32_e32 v6, v26, v6
                                        ; implicit-def: $vgpr36
	s_delay_alu instid0(VALU_DEP_1) | instskip(NEXT) | instid1(VALU_DEP_1)
	v_and_b32_e32 v7, 0x7f800000, v6
	v_cmp_ne_u32_e64 s1, 0x7f800000, v7
	s_delay_alu instid0(VALU_DEP_1) | instskip(NEXT) | instid1(SALU_CYCLE_1)
	s_and_saveexec_b32 s11, s1
	s_xor_b32 s1, exec_lo, s11
; %bb.2062:                             ;   in Loop: Header=BB432_1571 Depth=1
	v_bfe_u32 v7, v6, 16, 1
	s_delay_alu instid0(VALU_DEP_1)
	v_add3_u32 v36, v6, v7, 0x7fff
                                        ; implicit-def: $vgpr6
; %bb.2063:                             ;   in Loop: Header=BB432_1571 Depth=1
	s_and_not1_saveexec_b32 s11, s1
; %bb.2064:                             ;   in Loop: Header=BB432_1571 Depth=1
	v_and_b32_e32 v7, 0xffff, v6
	v_or_b32_e32 v9, 0x10000, v6
	s_delay_alu instid0(VALU_DEP_2) | instskip(NEXT) | instid1(VALU_DEP_1)
	v_cmp_eq_u32_e64 s1, 0, v7
	v_cndmask_b32_e64 v36, v9, v6, s1
; %bb.2065:                             ;   in Loop: Header=BB432_1571 Depth=1
	s_or_b32 exec_lo, exec_lo, s11
	v_lshrrev_b32_e32 v131, 16, v3
	s_mov_b32 s11, exec_lo
	s_delay_alu instid0(VALU_DEP_1) | instskip(NEXT) | instid1(VALU_DEP_1)
	v_dual_mov_b32 v6, 0 :: v_dual_and_b32 v7, 0xff, v131
	v_cmpx_ne_u16_e32 0, v7
	s_cbranch_execz .LBB432_2073
; %bb.2066:                             ;   in Loop: Header=BB432_1571 Depth=1
	v_bfrev_b32_e32 v6, 1
	s_mov_b32 s12, exec_lo
	v_cmpx_ne_u16_e32 0x80, v7
	s_cbranch_execz .LBB432_2072
; %bb.2067:                             ;   in Loop: Header=BB432_1571 Depth=1
	v_bfe_u32 v7, v3, 16, 7
	v_mov_b32_e32 v6, 0x7f800001
	s_mov_b32 s13, exec_lo
	s_delay_alu instid0(VALU_DEP_2)
	v_cmpx_ne_u32_e32 0x7f, v7
	s_cbranch_execz .LBB432_2071
; %bb.2068:                             ;   in Loop: Header=BB432_1571 Depth=1
	v_and_b32_e32 v9, 7, v131
	v_lshrrev_b32_e32 v132, 3, v7
	v_cmp_gt_u32_e64 s1, 8, v7
	s_delay_alu instid0(VALU_DEP_3) | instskip(NEXT) | instid1(VALU_DEP_2)
	v_dual_mov_b32 v6, v9 :: v_dual_mov_b32 v7, v10
	s_and_saveexec_b32 s15, s1
; %bb.2069:                             ;   in Loop: Header=BB432_1571 Depth=1
	v_clz_i32_u32_e32 v6, v9
	s_delay_alu instid0(VALU_DEP_1) | instskip(NEXT) | instid1(VALU_DEP_1)
	v_min_u32_e32 v132, 32, v6
	v_subrev_nc_u32_e32 v6, 28, v132
	v_sub_nc_u32_e32 v132, 29, v132
	s_delay_alu instid0(VALU_DEP_2) | instskip(NEXT) | instid1(VALU_DEP_1)
	v_lshlrev_b64 v[6:7], v6, v[9:10]
	v_and_b32_e32 v6, 7, v6
; %bb.2070:                             ;   in Loop: Header=BB432_1571 Depth=1
	s_or_b32 exec_lo, exec_lo, s15
	v_lshlrev_b32_e32 v7, 24, v131
	s_delay_alu instid0(VALU_DEP_2) | instskip(SKIP_1) | instid1(VALU_DEP_3)
	v_lshlrev_b32_e32 v6, 20, v6
	v_lshl_add_u32 v9, v132, 23, 0x3c000000
	v_and_b32_e32 v7, 0x80000000, v7
	s_delay_alu instid0(VALU_DEP_1)
	v_or3_b32 v6, v6, v7, v9
.LBB432_2071:                           ;   in Loop: Header=BB432_1571 Depth=1
	s_or_b32 exec_lo, exec_lo, s13
.LBB432_2072:                           ;   in Loop: Header=BB432_1571 Depth=1
	s_delay_alu instid0(SALU_CYCLE_1)
	s_or_b32 exec_lo, exec_lo, s12
.LBB432_2073:                           ;   in Loop: Header=BB432_1571 Depth=1
	s_delay_alu instid0(SALU_CYCLE_1) | instskip(NEXT) | instid1(VALU_DEP_1)
	s_or_b32 exec_lo, exec_lo, s11
	v_mul_f32_e32 v6, v26, v6
                                        ; implicit-def: $vgpr131
	s_delay_alu instid0(VALU_DEP_1) | instskip(NEXT) | instid1(VALU_DEP_1)
	v_and_b32_e32 v7, 0x7f800000, v6
	v_cmp_ne_u32_e64 s1, 0x7f800000, v7
	s_delay_alu instid0(VALU_DEP_1) | instskip(NEXT) | instid1(SALU_CYCLE_1)
	s_and_saveexec_b32 s11, s1
	s_xor_b32 s1, exec_lo, s11
; %bb.2074:                             ;   in Loop: Header=BB432_1571 Depth=1
	v_bfe_u32 v7, v6, 16, 1
	s_delay_alu instid0(VALU_DEP_1)
	v_add3_u32 v131, v6, v7, 0x7fff
                                        ; implicit-def: $vgpr6
; %bb.2075:                             ;   in Loop: Header=BB432_1571 Depth=1
	s_and_not1_saveexec_b32 s11, s1
; %bb.2076:                             ;   in Loop: Header=BB432_1571 Depth=1
	v_and_b32_e32 v7, 0xffff, v6
	v_or_b32_e32 v9, 0x10000, v6
	s_delay_alu instid0(VALU_DEP_2) | instskip(NEXT) | instid1(VALU_DEP_1)
	v_cmp_eq_u32_e64 s1, 0, v7
	v_cndmask_b32_e64 v131, v9, v6, s1
; %bb.2077:                             ;   in Loop: Header=BB432_1571 Depth=1
	s_or_b32 exec_lo, exec_lo, s11
	v_cmp_lt_u64_e64 s1, s[2:3], v[2:3]
	v_mov_b32_e32 v2, 0
	s_delay_alu instid0(VALU_DEP_2)
	s_and_saveexec_b32 s11, s1
	s_cbranch_execz .LBB432_2085
; %bb.2078:                             ;   in Loop: Header=BB432_1571 Depth=1
	v_lshrrev_b32_e32 v6, 24, v3
	v_bfrev_b32_e32 v2, 1
	s_mov_b32 s12, exec_lo
	s_delay_alu instid0(VALU_DEP_2)
	v_cmpx_ne_u32_e32 0x80, v6
	s_cbranch_execz .LBB432_2084
; %bb.2079:                             ;   in Loop: Header=BB432_1571 Depth=1
	v_bfe_u32 v3, v3, 24, 7
	v_mov_b32_e32 v2, 0x7f800001
	s_mov_b32 s13, exec_lo
	s_delay_alu instid0(VALU_DEP_2)
	v_cmpx_ne_u32_e32 0x7f, v3
	s_cbranch_execz .LBB432_2083
; %bb.2080:                             ;   in Loop: Header=BB432_1571 Depth=1
	v_and_b32_e32 v9, 7, v6
	v_lshrrev_b32_e32 v7, 3, v3
	v_cmp_gt_u32_e64 s1, 8, v3
	s_delay_alu instid0(VALU_DEP_3) | instskip(NEXT) | instid1(VALU_DEP_2)
	v_dual_mov_b32 v2, v9 :: v_dual_mov_b32 v3, v10
	s_and_saveexec_b32 s15, s1
; %bb.2081:                             ;   in Loop: Header=BB432_1571 Depth=1
	v_clz_i32_u32_e32 v2, v9
	s_delay_alu instid0(VALU_DEP_1) | instskip(NEXT) | instid1(VALU_DEP_1)
	v_min_u32_e32 v7, 32, v2
	v_subrev_nc_u32_e32 v2, 28, v7
	v_sub_nc_u32_e32 v7, 29, v7
	s_delay_alu instid0(VALU_DEP_2) | instskip(NEXT) | instid1(VALU_DEP_1)
	v_lshlrev_b64 v[2:3], v2, v[9:10]
	v_and_b32_e32 v2, 7, v2
; %bb.2082:                             ;   in Loop: Header=BB432_1571 Depth=1
	s_or_b32 exec_lo, exec_lo, s15
	v_lshlrev_b32_e32 v3, 24, v6
	s_delay_alu instid0(VALU_DEP_2) | instskip(SKIP_1) | instid1(VALU_DEP_3)
	v_lshlrev_b32_e32 v2, 20, v2
	v_lshl_add_u32 v6, v7, 23, 0x3c000000
	v_and_b32_e32 v3, 0x80000000, v3
	s_delay_alu instid0(VALU_DEP_1)
	v_or3_b32 v2, v2, v3, v6
.LBB432_2083:                           ;   in Loop: Header=BB432_1571 Depth=1
	s_or_b32 exec_lo, exec_lo, s13
.LBB432_2084:                           ;   in Loop: Header=BB432_1571 Depth=1
	s_delay_alu instid0(SALU_CYCLE_1)
	s_or_b32 exec_lo, exec_lo, s12
.LBB432_2085:                           ;   in Loop: Header=BB432_1571 Depth=1
	s_delay_alu instid0(SALU_CYCLE_1) | instskip(NEXT) | instid1(VALU_DEP_1)
	s_or_b32 exec_lo, exec_lo, s11
	v_mul_f32_e32 v3, v26, v2
	s_delay_alu instid0(VALU_DEP_1) | instskip(NEXT) | instid1(VALU_DEP_1)
	v_and_b32_e32 v2, 0x7f800000, v3
	v_cmp_ne_u32_e64 s1, 0x7f800000, v2
                                        ; implicit-def: $vgpr2
	s_delay_alu instid0(VALU_DEP_1) | instskip(NEXT) | instid1(SALU_CYCLE_1)
	s_and_saveexec_b32 s11, s1
	s_xor_b32 s1, exec_lo, s11
; %bb.2086:                             ;   in Loop: Header=BB432_1571 Depth=1
	v_bfe_u32 v2, v3, 16, 1
	s_delay_alu instid0(VALU_DEP_1)
	v_add3_u32 v2, v3, v2, 0x7fff
                                        ; implicit-def: $vgpr3
; %bb.2087:                             ;   in Loop: Header=BB432_1571 Depth=1
	s_and_not1_saveexec_b32 s11, s1
; %bb.2088:                             ;   in Loop: Header=BB432_1571 Depth=1
	v_and_b32_e32 v2, 0xffff, v3
	v_or_b32_e32 v6, 0x10000, v3
	s_delay_alu instid0(VALU_DEP_2) | instskip(NEXT) | instid1(VALU_DEP_1)
	v_cmp_eq_u32_e64 s1, 0, v2
	v_cndmask_b32_e64 v2, v6, v3, s1
; %bb.2089:                             ;   in Loop: Header=BB432_1571 Depth=1
	s_or_b32 exec_lo, exec_lo, s11
	v_lshrrev_b32_e32 v6, 16, v36
	v_lshrrev_b32_e32 v7, 16, v34
	;; [unrolled: 1-line block ×8, first 2 shown]
	s_and_saveexec_b32 s11, vcc_lo
	s_cbranch_execz .LBB432_2091
; %bb.2090:                             ;   in Loop: Header=BB432_1571 Depth=1
	v_cmp_lt_i32_e64 s1, v68, v35
	s_delay_alu instid0(VALU_DEP_1) | instskip(SKIP_1) | instid1(VALU_DEP_1)
	v_cndmask_b32_e64 v4, 0, v4, s1
	v_cmp_lt_i32_e64 s1, v82, v35
	v_cndmask_b32_e64 v5, 0, v5, s1
	v_cmp_lt_i32_e64 s1, v81, v35
	s_delay_alu instid0(VALU_DEP_1) | instskip(SKIP_1) | instid1(VALU_DEP_1)
	v_cndmask_b32_e64 v32, 0, v32, s1
	v_cmp_lt_i32_e64 s1, v80, v35
	v_cndmask_b32_e64 v9, 0, v9, s1
	;; [unrolled: 5-line block ×4, first 2 shown]
.LBB432_2091:                           ;   in Loop: Header=BB432_1571 Depth=1
	s_or_b32 exec_lo, exec_lo, s11
	v_lshlrev_b32_e32 v4, 16, v4
                                        ; implicit-def: $vgpr131
	s_delay_alu instid0(VALU_DEP_1) | instskip(NEXT) | instid1(VALU_DEP_1)
	v_mul_f32_e32 v4, v83, v4
	v_and_b32_e32 v33, 0x7f800000, v4
	s_delay_alu instid0(VALU_DEP_1) | instskip(NEXT) | instid1(VALU_DEP_1)
	v_cmp_ne_u32_e64 s1, 0x7f800000, v33
	s_and_saveexec_b32 s11, s1
	s_delay_alu instid0(SALU_CYCLE_1)
	s_xor_b32 s1, exec_lo, s11
; %bb.2092:                             ;   in Loop: Header=BB432_1571 Depth=1
	v_bfe_u32 v33, v4, 16, 1
	s_delay_alu instid0(VALU_DEP_1)
	v_add3_u32 v131, v4, v33, 0x7fff
                                        ; implicit-def: $vgpr4
; %bb.2093:                             ;   in Loop: Header=BB432_1571 Depth=1
	s_and_not1_saveexec_b32 s11, s1
; %bb.2094:                             ;   in Loop: Header=BB432_1571 Depth=1
	v_and_b32_e32 v33, 0xffff, v4
	v_or_b32_e32 v34, 0x10000, v4
	s_delay_alu instid0(VALU_DEP_2) | instskip(NEXT) | instid1(VALU_DEP_1)
	v_cmp_eq_u32_e64 s1, 0, v33
	v_cndmask_b32_e64 v131, v34, v4, s1
; %bb.2095:                             ;   in Loop: Header=BB432_1571 Depth=1
	s_or_b32 exec_lo, exec_lo, s11
	v_lshlrev_b32_e32 v4, 16, v5
                                        ; implicit-def: $vgpr132
	s_delay_alu instid0(VALU_DEP_1) | instskip(NEXT) | instid1(VALU_DEP_1)
	v_mul_f32_e32 v4, v84, v4
	v_and_b32_e32 v5, 0x7f800000, v4
	s_delay_alu instid0(VALU_DEP_1) | instskip(NEXT) | instid1(VALU_DEP_1)
	v_cmp_ne_u32_e64 s1, 0x7f800000, v5
	s_and_saveexec_b32 s11, s1
	s_delay_alu instid0(SALU_CYCLE_1)
	s_xor_b32 s1, exec_lo, s11
; %bb.2096:                             ;   in Loop: Header=BB432_1571 Depth=1
	v_bfe_u32 v5, v4, 16, 1
	s_delay_alu instid0(VALU_DEP_1)
	v_add3_u32 v132, v4, v5, 0x7fff
                                        ; implicit-def: $vgpr4
; %bb.2097:                             ;   in Loop: Header=BB432_1571 Depth=1
	s_and_not1_saveexec_b32 s11, s1
; %bb.2098:                             ;   in Loop: Header=BB432_1571 Depth=1
	v_and_b32_e32 v5, 0xffff, v4
	v_or_b32_e32 v33, 0x10000, v4
	s_delay_alu instid0(VALU_DEP_2) | instskip(NEXT) | instid1(VALU_DEP_1)
	v_cmp_eq_u32_e64 s1, 0, v5
	v_cndmask_b32_e64 v132, v33, v4, s1
; %bb.2099:                             ;   in Loop: Header=BB432_1571 Depth=1
	s_or_b32 exec_lo, exec_lo, s11
	v_lshlrev_b32_e32 v4, 16, v32
                                        ; implicit-def: $vgpr133
	s_delay_alu instid0(VALU_DEP_1) | instskip(NEXT) | instid1(VALU_DEP_1)
	v_mul_f32_e32 v4, v85, v4
	v_and_b32_e32 v5, 0x7f800000, v4
	s_delay_alu instid0(VALU_DEP_1) | instskip(NEXT) | instid1(VALU_DEP_1)
	v_cmp_ne_u32_e64 s1, 0x7f800000, v5
	s_and_saveexec_b32 s11, s1
	s_delay_alu instid0(SALU_CYCLE_1)
	s_xor_b32 s1, exec_lo, s11
; %bb.2100:                             ;   in Loop: Header=BB432_1571 Depth=1
	v_bfe_u32 v5, v4, 16, 1
	s_delay_alu instid0(VALU_DEP_1)
	v_add3_u32 v133, v4, v5, 0x7fff
                                        ; implicit-def: $vgpr4
; %bb.2101:                             ;   in Loop: Header=BB432_1571 Depth=1
	s_and_not1_saveexec_b32 s11, s1
; %bb.2102:                             ;   in Loop: Header=BB432_1571 Depth=1
	v_and_b32_e32 v5, 0xffff, v4
	v_or_b32_e32 v32, 0x10000, v4
	s_delay_alu instid0(VALU_DEP_2) | instskip(NEXT) | instid1(VALU_DEP_1)
	v_cmp_eq_u32_e64 s1, 0, v5
	v_cndmask_b32_e64 v133, v32, v4, s1
; %bb.2103:                             ;   in Loop: Header=BB432_1571 Depth=1
	s_or_b32 exec_lo, exec_lo, s11
	v_lshlrev_b32_e32 v4, 16, v9
                                        ; implicit-def: $vgpr134
	s_delay_alu instid0(VALU_DEP_1) | instskip(NEXT) | instid1(VALU_DEP_1)
	v_mul_f32_e32 v4, v86, v4
	v_and_b32_e32 v5, 0x7f800000, v4
	s_delay_alu instid0(VALU_DEP_1) | instskip(NEXT) | instid1(VALU_DEP_1)
	v_cmp_ne_u32_e64 s1, 0x7f800000, v5
	s_and_saveexec_b32 s11, s1
	s_delay_alu instid0(SALU_CYCLE_1)
	s_xor_b32 s1, exec_lo, s11
; %bb.2104:                             ;   in Loop: Header=BB432_1571 Depth=1
	v_bfe_u32 v5, v4, 16, 1
	s_delay_alu instid0(VALU_DEP_1)
	v_add3_u32 v134, v4, v5, 0x7fff
                                        ; implicit-def: $vgpr4
; %bb.2105:                             ;   in Loop: Header=BB432_1571 Depth=1
	s_and_not1_saveexec_b32 s11, s1
; %bb.2106:                             ;   in Loop: Header=BB432_1571 Depth=1
	v_and_b32_e32 v5, 0xffff, v4
	v_or_b32_e32 v9, 0x10000, v4
	s_delay_alu instid0(VALU_DEP_2) | instskip(NEXT) | instid1(VALU_DEP_1)
	v_cmp_eq_u32_e64 s1, 0, v5
	v_cndmask_b32_e64 v134, v9, v4, s1
; %bb.2107:                             ;   in Loop: Header=BB432_1571 Depth=1
	s_or_b32 exec_lo, exec_lo, s11
	v_lshlrev_b32_e32 v4, 16, v7
                                        ; implicit-def: $vgpr135
	s_delay_alu instid0(VALU_DEP_1) | instskip(NEXT) | instid1(VALU_DEP_1)
	v_mul_f32_e32 v4, v87, v4
	v_and_b32_e32 v5, 0x7f800000, v4
	s_delay_alu instid0(VALU_DEP_1) | instskip(NEXT) | instid1(VALU_DEP_1)
	v_cmp_ne_u32_e64 s1, 0x7f800000, v5
	s_and_saveexec_b32 s11, s1
	s_delay_alu instid0(SALU_CYCLE_1)
	s_xor_b32 s1, exec_lo, s11
; %bb.2108:                             ;   in Loop: Header=BB432_1571 Depth=1
	v_bfe_u32 v5, v4, 16, 1
	s_delay_alu instid0(VALU_DEP_1)
	v_add3_u32 v135, v4, v5, 0x7fff
                                        ; implicit-def: $vgpr4
; %bb.2109:                             ;   in Loop: Header=BB432_1571 Depth=1
	s_and_not1_saveexec_b32 s11, s1
; %bb.2110:                             ;   in Loop: Header=BB432_1571 Depth=1
	v_and_b32_e32 v5, 0xffff, v4
	v_or_b32_e32 v7, 0x10000, v4
	s_delay_alu instid0(VALU_DEP_2) | instskip(NEXT) | instid1(VALU_DEP_1)
	v_cmp_eq_u32_e64 s1, 0, v5
	v_cndmask_b32_e64 v135, v7, v4, s1
; %bb.2111:                             ;   in Loop: Header=BB432_1571 Depth=1
	s_or_b32 exec_lo, exec_lo, s11
	v_lshlrev_b32_e32 v4, 16, v6
                                        ; implicit-def: $vgpr144
	s_delay_alu instid0(VALU_DEP_1) | instskip(NEXT) | instid1(VALU_DEP_1)
	v_mul_f32_e32 v4, v96, v4
	v_and_b32_e32 v5, 0x7f800000, v4
	s_delay_alu instid0(VALU_DEP_1) | instskip(NEXT) | instid1(VALU_DEP_1)
	v_cmp_ne_u32_e64 s1, 0x7f800000, v5
	s_and_saveexec_b32 s11, s1
	s_delay_alu instid0(SALU_CYCLE_1)
	s_xor_b32 s1, exec_lo, s11
; %bb.2112:                             ;   in Loop: Header=BB432_1571 Depth=1
	v_bfe_u32 v5, v4, 16, 1
	s_delay_alu instid0(VALU_DEP_1)
	v_add3_u32 v144, v4, v5, 0x7fff
                                        ; implicit-def: $vgpr4
; %bb.2113:                             ;   in Loop: Header=BB432_1571 Depth=1
	s_and_not1_saveexec_b32 s11, s1
; %bb.2114:                             ;   in Loop: Header=BB432_1571 Depth=1
	v_and_b32_e32 v5, 0xffff, v4
	v_or_b32_e32 v6, 0x10000, v4
	s_delay_alu instid0(VALU_DEP_2) | instskip(NEXT) | instid1(VALU_DEP_1)
	v_cmp_eq_u32_e64 s1, 0, v5
	v_cndmask_b32_e64 v144, v6, v4, s1
; %bb.2115:                             ;   in Loop: Header=BB432_1571 Depth=1
	s_or_b32 exec_lo, exec_lo, s11
	v_lshlrev_b32_e32 v3, 16, v3
                                        ; implicit-def: $vgpr145
	s_delay_alu instid0(VALU_DEP_1) | instskip(NEXT) | instid1(VALU_DEP_1)
	v_mul_f32_e32 v3, v97, v3
	v_and_b32_e32 v4, 0x7f800000, v3
	s_delay_alu instid0(VALU_DEP_1) | instskip(NEXT) | instid1(VALU_DEP_1)
	v_cmp_ne_u32_e64 s1, 0x7f800000, v4
	s_and_saveexec_b32 s11, s1
	s_delay_alu instid0(SALU_CYCLE_1)
	s_xor_b32 s1, exec_lo, s11
; %bb.2116:                             ;   in Loop: Header=BB432_1571 Depth=1
	v_bfe_u32 v4, v3, 16, 1
	s_delay_alu instid0(VALU_DEP_1)
	v_add3_u32 v145, v3, v4, 0x7fff
                                        ; implicit-def: $vgpr3
; %bb.2117:                             ;   in Loop: Header=BB432_1571 Depth=1
	s_and_not1_saveexec_b32 s11, s1
; %bb.2118:                             ;   in Loop: Header=BB432_1571 Depth=1
	v_and_b32_e32 v4, 0xffff, v3
	v_or_b32_e32 v5, 0x10000, v3
	s_delay_alu instid0(VALU_DEP_2) | instskip(NEXT) | instid1(VALU_DEP_1)
	v_cmp_eq_u32_e64 s1, 0, v4
	v_cndmask_b32_e64 v145, v5, v3, s1
; %bb.2119:                             ;   in Loop: Header=BB432_1571 Depth=1
	s_or_b32 exec_lo, exec_lo, s11
	v_lshlrev_b32_e32 v2, 16, v2
                                        ; implicit-def: $vgpr146
	s_delay_alu instid0(VALU_DEP_1) | instskip(NEXT) | instid1(VALU_DEP_1)
	v_mul_f32_e32 v2, v98, v2
	v_and_b32_e32 v3, 0x7f800000, v2
	s_delay_alu instid0(VALU_DEP_1) | instskip(NEXT) | instid1(VALU_DEP_1)
	v_cmp_ne_u32_e64 s1, 0x7f800000, v3
	s_and_saveexec_b32 s11, s1
	s_delay_alu instid0(SALU_CYCLE_1)
	s_xor_b32 s1, exec_lo, s11
; %bb.2120:                             ;   in Loop: Header=BB432_1571 Depth=1
	v_bfe_u32 v3, v2, 16, 1
	s_delay_alu instid0(VALU_DEP_1)
	v_add3_u32 v146, v2, v3, 0x7fff
                                        ; implicit-def: $vgpr2
; %bb.2121:                             ;   in Loop: Header=BB432_1571 Depth=1
	s_and_not1_saveexec_b32 s11, s1
; %bb.2122:                             ;   in Loop: Header=BB432_1571 Depth=1
	v_and_b32_e32 v3, 0xffff, v2
	v_or_b32_e32 v4, 0x10000, v2
	s_delay_alu instid0(VALU_DEP_2) | instskip(NEXT) | instid1(VALU_DEP_1)
	v_cmp_eq_u32_e64 s1, 0, v3
	v_cndmask_b32_e64 v146, v4, v2, s1
; %bb.2123:                             ;   in Loop: Header=BB432_1571 Depth=1
	s_or_b32 exec_lo, exec_lo, s11
	flat_load_b64 v[2:3], v[0:1] offset:1024
	s_mov_b32 s11, exec_lo
	s_waitcnt vmcnt(0) lgkmcnt(0)
	v_dual_mov_b32 v4, 0 :: v_dual_and_b32 v5, 0xff, v2
	s_delay_alu instid0(VALU_DEP_1)
	v_cmpx_ne_u16_e32 0, v5
	s_cbranch_execz .LBB432_2131
; %bb.2124:                             ;   in Loop: Header=BB432_1571 Depth=1
	v_bfrev_b32_e32 v4, 1
	s_mov_b32 s12, exec_lo
	v_cmpx_ne_u16_e32 0x80, v5
	s_cbranch_execz .LBB432_2130
; %bb.2125:                             ;   in Loop: Header=BB432_1571 Depth=1
	v_and_b32_e32 v5, 0x7f, v2
	v_mov_b32_e32 v4, 0x7f800001
	s_mov_b32 s13, exec_lo
	s_delay_alu instid0(VALU_DEP_2)
	v_cmpx_ne_u32_e32 0x7f, v5
	s_cbranch_execz .LBB432_2129
; %bb.2126:                             ;   in Loop: Header=BB432_1571 Depth=1
	v_lshrrev_b32_e32 v4, 3, v5
	v_dual_mov_b32 v7, v3 :: v_dual_mov_b32 v6, v2
	s_mov_b32 s15, exec_lo
	v_cmpx_gt_u32_e32 8, v5
; %bb.2127:                             ;   in Loop: Header=BB432_1571 Depth=1
	v_and_b32_e32 v4, 7, v2
	s_delay_alu instid0(VALU_DEP_1) | instskip(NEXT) | instid1(VALU_DEP_1)
	v_clz_i32_u32_e32 v4, v4
	v_min_u32_e32 v4, 32, v4
	s_delay_alu instid0(VALU_DEP_1) | instskip(SKIP_1) | instid1(VALU_DEP_2)
	v_subrev_nc_u32_e32 v5, 28, v4
	v_sub_nc_u32_e32 v4, 29, v4
	v_lshlrev_b64 v[6:7], v5, v[2:3]
; %bb.2128:                             ;   in Loop: Header=BB432_1571 Depth=1
	s_or_b32 exec_lo, exec_lo, s15
	s_delay_alu instid0(VALU_DEP_1) | instskip(SKIP_2) | instid1(VALU_DEP_3)
	v_lshlrev_b32_e32 v5, 20, v6
	v_lshlrev_b32_e32 v6, 24, v2
	v_lshl_add_u32 v4, v4, 23, 0x3c000000
	v_and_b32_e32 v5, 0x700000, v5
	s_delay_alu instid0(VALU_DEP_3) | instskip(NEXT) | instid1(VALU_DEP_1)
	v_and_b32_e32 v6, 0x80000000, v6
	v_or3_b32 v4, v5, v6, v4
.LBB432_2129:                           ;   in Loop: Header=BB432_1571 Depth=1
	s_or_b32 exec_lo, exec_lo, s13
.LBB432_2130:                           ;   in Loop: Header=BB432_1571 Depth=1
	s_delay_alu instid0(SALU_CYCLE_1)
	s_or_b32 exec_lo, exec_lo, s12
.LBB432_2131:                           ;   in Loop: Header=BB432_1571 Depth=1
	s_delay_alu instid0(SALU_CYCLE_1) | instskip(NEXT) | instid1(VALU_DEP_1)
	s_or_b32 exec_lo, exec_lo, s11
	v_mul_f32_e32 v5, v26, v4
	s_delay_alu instid0(VALU_DEP_1) | instskip(NEXT) | instid1(VALU_DEP_1)
	v_and_b32_e32 v4, 0x7f800000, v5
	v_cmp_ne_u32_e64 s1, 0x7f800000, v4
                                        ; implicit-def: $vgpr4
	s_delay_alu instid0(VALU_DEP_1) | instskip(NEXT) | instid1(SALU_CYCLE_1)
	s_and_saveexec_b32 s11, s1
	s_xor_b32 s1, exec_lo, s11
; %bb.2132:                             ;   in Loop: Header=BB432_1571 Depth=1
	v_bfe_u32 v4, v5, 16, 1
	s_delay_alu instid0(VALU_DEP_1)
	v_add3_u32 v4, v5, v4, 0x7fff
                                        ; implicit-def: $vgpr5
; %bb.2133:                             ;   in Loop: Header=BB432_1571 Depth=1
	s_and_not1_saveexec_b32 s11, s1
; %bb.2134:                             ;   in Loop: Header=BB432_1571 Depth=1
	v_and_b32_e32 v4, 0xffff, v5
	v_or_b32_e32 v6, 0x10000, v5
	s_delay_alu instid0(VALU_DEP_2) | instskip(NEXT) | instid1(VALU_DEP_1)
	v_cmp_eq_u32_e64 s1, 0, v4
	v_cndmask_b32_e64 v4, v6, v5, s1
; %bb.2135:                             ;   in Loop: Header=BB432_1571 Depth=1
	s_or_b32 exec_lo, exec_lo, s11
	v_lshrrev_b16 v6, 8, v2
	v_mov_b32_e32 v5, 0
	s_mov_b32 s11, exec_lo
	s_delay_alu instid0(VALU_DEP_2)
	v_cmpx_ne_u16_e32 0, v6
	s_cbranch_execz .LBB432_2143
; %bb.2136:                             ;   in Loop: Header=BB432_1571 Depth=1
	v_bfrev_b32_e32 v5, 1
	s_mov_b32 s12, exec_lo
	v_cmpx_ne_u16_e32 0x80, v6
	s_cbranch_execz .LBB432_2142
; %bb.2137:                             ;   in Loop: Header=BB432_1571 Depth=1
	v_and_b32_e32 v7, 0xffff, v6
	v_mov_b32_e32 v5, 0x7f800001
	s_mov_b32 s13, exec_lo
	s_delay_alu instid0(VALU_DEP_2) | instskip(NEXT) | instid1(VALU_DEP_1)
	v_and_b32_e32 v6, 0x7f, v7
	v_cmpx_ne_u32_e32 0x7f, v6
	s_cbranch_execz .LBB432_2141
; %bb.2138:                             ;   in Loop: Header=BB432_1571 Depth=1
	v_and_b32_e32 v9, 7, v7
	v_lshrrev_b32_e32 v5, 3, v6
	v_cmp_gt_u32_e64 s1, 8, v6
	s_delay_alu instid0(VALU_DEP_3) | instskip(NEXT) | instid1(VALU_DEP_2)
	v_dual_mov_b32 v6, v9 :: v_dual_mov_b32 v7, v10
	s_and_saveexec_b32 s15, s1
; %bb.2139:                             ;   in Loop: Header=BB432_1571 Depth=1
	v_clz_i32_u32_e32 v5, v9
	s_delay_alu instid0(VALU_DEP_1) | instskip(NEXT) | instid1(VALU_DEP_1)
	v_min_u32_e32 v5, 32, v5
	v_subrev_nc_u32_e32 v6, 28, v5
	v_sub_nc_u32_e32 v5, 29, v5
	s_delay_alu instid0(VALU_DEP_2) | instskip(NEXT) | instid1(VALU_DEP_1)
	v_lshlrev_b64 v[6:7], v6, v[9:10]
	v_and_b32_e32 v6, 7, v6
; %bb.2140:                             ;   in Loop: Header=BB432_1571 Depth=1
	s_or_b32 exec_lo, exec_lo, s15
	v_lshlrev_b32_e32 v7, 16, v2
	s_delay_alu instid0(VALU_DEP_2) | instskip(SKIP_1) | instid1(VALU_DEP_3)
	v_lshlrev_b32_e32 v6, 20, v6
	v_lshl_add_u32 v5, v5, 23, 0x3c000000
	v_and_b32_e32 v7, 0x80000000, v7
	s_delay_alu instid0(VALU_DEP_1)
	v_or3_b32 v5, v6, v7, v5
.LBB432_2141:                           ;   in Loop: Header=BB432_1571 Depth=1
	s_or_b32 exec_lo, exec_lo, s13
.LBB432_2142:                           ;   in Loop: Header=BB432_1571 Depth=1
	s_delay_alu instid0(SALU_CYCLE_1)
	s_or_b32 exec_lo, exec_lo, s12
.LBB432_2143:                           ;   in Loop: Header=BB432_1571 Depth=1
	s_delay_alu instid0(SALU_CYCLE_1) | instskip(NEXT) | instid1(VALU_DEP_1)
	s_or_b32 exec_lo, exec_lo, s11
	v_mul_f32_e32 v6, v26, v5
	s_delay_alu instid0(VALU_DEP_1) | instskip(NEXT) | instid1(VALU_DEP_1)
	v_and_b32_e32 v5, 0x7f800000, v6
	v_cmp_ne_u32_e64 s1, 0x7f800000, v5
                                        ; implicit-def: $vgpr5
	s_delay_alu instid0(VALU_DEP_1) | instskip(NEXT) | instid1(SALU_CYCLE_1)
	s_and_saveexec_b32 s11, s1
	s_xor_b32 s1, exec_lo, s11
; %bb.2144:                             ;   in Loop: Header=BB432_1571 Depth=1
	v_bfe_u32 v5, v6, 16, 1
	s_delay_alu instid0(VALU_DEP_1)
	v_add3_u32 v5, v6, v5, 0x7fff
                                        ; implicit-def: $vgpr6
; %bb.2145:                             ;   in Loop: Header=BB432_1571 Depth=1
	s_and_not1_saveexec_b32 s11, s1
; %bb.2146:                             ;   in Loop: Header=BB432_1571 Depth=1
	v_and_b32_e32 v5, 0xffff, v6
	v_or_b32_e32 v7, 0x10000, v6
	s_delay_alu instid0(VALU_DEP_2) | instskip(NEXT) | instid1(VALU_DEP_1)
	v_cmp_eq_u32_e64 s1, 0, v5
	v_cndmask_b32_e64 v5, v7, v6, s1
; %bb.2147:                             ;   in Loop: Header=BB432_1571 Depth=1
	s_or_b32 exec_lo, exec_lo, s11
	v_lshrrev_b32_e32 v32, 16, v2
	s_mov_b32 s11, exec_lo
	s_delay_alu instid0(VALU_DEP_1) | instskip(NEXT) | instid1(VALU_DEP_1)
	v_dual_mov_b32 v6, 0 :: v_dual_and_b32 v7, 0xff, v32
	v_cmpx_ne_u16_e32 0, v7
	s_cbranch_execz .LBB432_2155
; %bb.2148:                             ;   in Loop: Header=BB432_1571 Depth=1
	v_bfrev_b32_e32 v6, 1
	s_mov_b32 s12, exec_lo
	v_cmpx_ne_u16_e32 0x80, v7
	s_cbranch_execz .LBB432_2154
; %bb.2149:                             ;   in Loop: Header=BB432_1571 Depth=1
	v_bfe_u32 v7, v2, 16, 7
	v_mov_b32_e32 v6, 0x7f800001
	s_mov_b32 s13, exec_lo
	s_delay_alu instid0(VALU_DEP_2)
	v_cmpx_ne_u32_e32 0x7f, v7
	s_cbranch_execz .LBB432_2153
; %bb.2150:                             ;   in Loop: Header=BB432_1571 Depth=1
	v_and_b32_e32 v9, 7, v32
	v_lshrrev_b32_e32 v33, 3, v7
	v_cmp_gt_u32_e64 s1, 8, v7
	s_delay_alu instid0(VALU_DEP_3) | instskip(NEXT) | instid1(VALU_DEP_2)
	v_dual_mov_b32 v6, v9 :: v_dual_mov_b32 v7, v10
	s_and_saveexec_b32 s15, s1
; %bb.2151:                             ;   in Loop: Header=BB432_1571 Depth=1
	v_clz_i32_u32_e32 v6, v9
	s_delay_alu instid0(VALU_DEP_1) | instskip(NEXT) | instid1(VALU_DEP_1)
	v_min_u32_e32 v33, 32, v6
	v_subrev_nc_u32_e32 v6, 28, v33
	v_sub_nc_u32_e32 v33, 29, v33
	s_delay_alu instid0(VALU_DEP_2) | instskip(NEXT) | instid1(VALU_DEP_1)
	v_lshlrev_b64 v[6:7], v6, v[9:10]
	v_and_b32_e32 v6, 7, v6
; %bb.2152:                             ;   in Loop: Header=BB432_1571 Depth=1
	s_or_b32 exec_lo, exec_lo, s15
	v_lshlrev_b32_e32 v7, 24, v32
	s_delay_alu instid0(VALU_DEP_2) | instskip(SKIP_1) | instid1(VALU_DEP_3)
	v_lshlrev_b32_e32 v6, 20, v6
	v_lshl_add_u32 v9, v33, 23, 0x3c000000
	v_and_b32_e32 v7, 0x80000000, v7
	s_delay_alu instid0(VALU_DEP_1)
	v_or3_b32 v6, v6, v7, v9
.LBB432_2153:                           ;   in Loop: Header=BB432_1571 Depth=1
	s_or_b32 exec_lo, exec_lo, s13
.LBB432_2154:                           ;   in Loop: Header=BB432_1571 Depth=1
	s_delay_alu instid0(SALU_CYCLE_1)
	s_or_b32 exec_lo, exec_lo, s12
.LBB432_2155:                           ;   in Loop: Header=BB432_1571 Depth=1
	s_delay_alu instid0(SALU_CYCLE_1) | instskip(NEXT) | instid1(VALU_DEP_1)
	s_or_b32 exec_lo, exec_lo, s11
	v_mul_f32_e32 v6, v26, v6
                                        ; implicit-def: $vgpr32
	s_delay_alu instid0(VALU_DEP_1) | instskip(NEXT) | instid1(VALU_DEP_1)
	v_and_b32_e32 v7, 0x7f800000, v6
	v_cmp_ne_u32_e64 s1, 0x7f800000, v7
	s_delay_alu instid0(VALU_DEP_1) | instskip(NEXT) | instid1(SALU_CYCLE_1)
	s_and_saveexec_b32 s11, s1
	s_xor_b32 s1, exec_lo, s11
; %bb.2156:                             ;   in Loop: Header=BB432_1571 Depth=1
	v_bfe_u32 v7, v6, 16, 1
	s_delay_alu instid0(VALU_DEP_1)
	v_add3_u32 v32, v6, v7, 0x7fff
                                        ; implicit-def: $vgpr6
; %bb.2157:                             ;   in Loop: Header=BB432_1571 Depth=1
	s_and_not1_saveexec_b32 s11, s1
; %bb.2158:                             ;   in Loop: Header=BB432_1571 Depth=1
	v_and_b32_e32 v7, 0xffff, v6
	v_or_b32_e32 v9, 0x10000, v6
	s_delay_alu instid0(VALU_DEP_2) | instskip(NEXT) | instid1(VALU_DEP_1)
	v_cmp_eq_u32_e64 s1, 0, v7
	v_cndmask_b32_e64 v32, v9, v6, s1
; %bb.2159:                             ;   in Loop: Header=BB432_1571 Depth=1
	s_or_b32 exec_lo, exec_lo, s11
	v_mov_b32_e32 v6, 0
	s_mov_b32 s11, exec_lo
	v_cmpx_lt_u32_e32 0xffffff, v2
	s_cbranch_execz .LBB432_2167
; %bb.2160:                             ;   in Loop: Header=BB432_1571 Depth=1
	v_lshrrev_b32_e32 v33, 24, v2
	v_bfrev_b32_e32 v6, 1
	s_mov_b32 s12, exec_lo
	s_delay_alu instid0(VALU_DEP_2)
	v_cmpx_ne_u32_e32 0x80, v33
	s_cbranch_execz .LBB432_2166
; %bb.2161:                             ;   in Loop: Header=BB432_1571 Depth=1
	v_bfe_u32 v7, v2, 24, 7
	v_mov_b32_e32 v6, 0x7f800001
	s_mov_b32 s13, exec_lo
	s_delay_alu instid0(VALU_DEP_2)
	v_cmpx_ne_u32_e32 0x7f, v7
	s_cbranch_execz .LBB432_2165
; %bb.2162:                             ;   in Loop: Header=BB432_1571 Depth=1
	v_and_b32_e32 v9, 7, v33
	v_lshrrev_b32_e32 v34, 3, v7
	v_cmp_gt_u32_e64 s1, 8, v7
	s_delay_alu instid0(VALU_DEP_3) | instskip(NEXT) | instid1(VALU_DEP_2)
	v_dual_mov_b32 v6, v9 :: v_dual_mov_b32 v7, v10
	s_and_saveexec_b32 s15, s1
; %bb.2163:                             ;   in Loop: Header=BB432_1571 Depth=1
	v_clz_i32_u32_e32 v6, v9
	s_delay_alu instid0(VALU_DEP_1) | instskip(NEXT) | instid1(VALU_DEP_1)
	v_min_u32_e32 v34, 32, v6
	v_subrev_nc_u32_e32 v6, 28, v34
	v_sub_nc_u32_e32 v34, 29, v34
	s_delay_alu instid0(VALU_DEP_2) | instskip(NEXT) | instid1(VALU_DEP_1)
	v_lshlrev_b64 v[6:7], v6, v[9:10]
	v_and_b32_e32 v6, 7, v6
; %bb.2164:                             ;   in Loop: Header=BB432_1571 Depth=1
	s_or_b32 exec_lo, exec_lo, s15
	v_lshlrev_b32_e32 v7, 24, v33
	s_delay_alu instid0(VALU_DEP_2) | instskip(SKIP_1) | instid1(VALU_DEP_3)
	v_lshlrev_b32_e32 v6, 20, v6
	v_lshl_add_u32 v9, v34, 23, 0x3c000000
	v_and_b32_e32 v7, 0x80000000, v7
	s_delay_alu instid0(VALU_DEP_1)
	v_or3_b32 v6, v6, v7, v9
.LBB432_2165:                           ;   in Loop: Header=BB432_1571 Depth=1
	s_or_b32 exec_lo, exec_lo, s13
.LBB432_2166:                           ;   in Loop: Header=BB432_1571 Depth=1
	s_delay_alu instid0(SALU_CYCLE_1)
	s_or_b32 exec_lo, exec_lo, s12
.LBB432_2167:                           ;   in Loop: Header=BB432_1571 Depth=1
	s_delay_alu instid0(SALU_CYCLE_1) | instskip(NEXT) | instid1(VALU_DEP_1)
	s_or_b32 exec_lo, exec_lo, s11
	v_mul_f32_e32 v6, v26, v6
                                        ; implicit-def: $vgpr33
	s_delay_alu instid0(VALU_DEP_1) | instskip(NEXT) | instid1(VALU_DEP_1)
	v_and_b32_e32 v7, 0x7f800000, v6
	v_cmp_ne_u32_e64 s1, 0x7f800000, v7
	s_delay_alu instid0(VALU_DEP_1) | instskip(NEXT) | instid1(SALU_CYCLE_1)
	s_and_saveexec_b32 s11, s1
	s_xor_b32 s1, exec_lo, s11
; %bb.2168:                             ;   in Loop: Header=BB432_1571 Depth=1
	v_bfe_u32 v7, v6, 16, 1
	s_delay_alu instid0(VALU_DEP_1)
	v_add3_u32 v33, v6, v7, 0x7fff
                                        ; implicit-def: $vgpr6
; %bb.2169:                             ;   in Loop: Header=BB432_1571 Depth=1
	s_and_not1_saveexec_b32 s11, s1
; %bb.2170:                             ;   in Loop: Header=BB432_1571 Depth=1
	v_and_b32_e32 v7, 0xffff, v6
	v_or_b32_e32 v9, 0x10000, v6
	s_delay_alu instid0(VALU_DEP_2) | instskip(NEXT) | instid1(VALU_DEP_1)
	v_cmp_eq_u32_e64 s1, 0, v7
	v_cndmask_b32_e64 v33, v9, v6, s1
; %bb.2171:                             ;   in Loop: Header=BB432_1571 Depth=1
	s_or_b32 exec_lo, exec_lo, s11
	v_dual_mov_b32 v6, 0 :: v_dual_and_b32 v7, 0xff, v3
	v_mov_b32_e32 v9, v3
	s_mov_b32 s11, exec_lo
	s_delay_alu instid0(VALU_DEP_2)
	v_cmpx_ne_u16_e32 0, v7
	s_cbranch_execz .LBB432_2179
; %bb.2172:                             ;   in Loop: Header=BB432_1571 Depth=1
	v_bfrev_b32_e32 v6, 1
	s_mov_b32 s12, exec_lo
	v_cmpx_ne_u16_e32 0x80, v7
	s_cbranch_execz .LBB432_2178
; %bb.2173:                             ;   in Loop: Header=BB432_1571 Depth=1
	v_and_b32_e32 v7, 0x7f, v3
	v_mov_b32_e32 v6, 0x7f800001
	s_mov_b32 s13, exec_lo
	s_delay_alu instid0(VALU_DEP_2)
	v_cmpx_ne_u32_e32 0x7f, v7
	s_cbranch_execz .LBB432_2177
; %bb.2174:                             ;   in Loop: Header=BB432_1571 Depth=1
	v_lshrrev_b32_e32 v34, 3, v7
	v_cmp_gt_u32_e64 s1, 8, v7
	v_dual_mov_b32 v6, v9 :: v_dual_mov_b32 v7, v10
	s_delay_alu instid0(VALU_DEP_2)
	s_and_saveexec_b32 s15, s1
; %bb.2175:                             ;   in Loop: Header=BB432_1571 Depth=1
	v_and_b32_e32 v6, 7, v3
	s_delay_alu instid0(VALU_DEP_1) | instskip(NEXT) | instid1(VALU_DEP_1)
	v_clz_i32_u32_e32 v6, v6
	v_min_u32_e32 v34, 32, v6
	s_delay_alu instid0(VALU_DEP_1) | instskip(SKIP_1) | instid1(VALU_DEP_2)
	v_subrev_nc_u32_e32 v6, 28, v34
	v_sub_nc_u32_e32 v34, 29, v34
	v_lshlrev_b64 v[6:7], v6, v[9:10]
; %bb.2176:                             ;   in Loop: Header=BB432_1571 Depth=1
	s_or_b32 exec_lo, exec_lo, s15
	s_delay_alu instid0(VALU_DEP_1) | instskip(SKIP_2) | instid1(VALU_DEP_3)
	v_lshlrev_b32_e32 v6, 20, v6
	v_lshlrev_b32_e32 v7, 24, v9
	v_lshl_add_u32 v34, v34, 23, 0x3c000000
	v_and_b32_e32 v6, 0x700000, v6
	s_delay_alu instid0(VALU_DEP_3) | instskip(NEXT) | instid1(VALU_DEP_1)
	v_and_b32_e32 v7, 0x80000000, v7
	v_or3_b32 v6, v6, v7, v34
.LBB432_2177:                           ;   in Loop: Header=BB432_1571 Depth=1
	s_or_b32 exec_lo, exec_lo, s13
.LBB432_2178:                           ;   in Loop: Header=BB432_1571 Depth=1
	s_delay_alu instid0(SALU_CYCLE_1)
	s_or_b32 exec_lo, exec_lo, s12
.LBB432_2179:                           ;   in Loop: Header=BB432_1571 Depth=1
	s_delay_alu instid0(SALU_CYCLE_1) | instskip(NEXT) | instid1(VALU_DEP_1)
	s_or_b32 exec_lo, exec_lo, s11
	v_mul_f32_e32 v6, v26, v6
                                        ; implicit-def: $vgpr34
	s_delay_alu instid0(VALU_DEP_1) | instskip(NEXT) | instid1(VALU_DEP_1)
	v_and_b32_e32 v7, 0x7f800000, v6
	v_cmp_ne_u32_e64 s1, 0x7f800000, v7
	s_delay_alu instid0(VALU_DEP_1) | instskip(NEXT) | instid1(SALU_CYCLE_1)
	s_and_saveexec_b32 s11, s1
	s_xor_b32 s1, exec_lo, s11
; %bb.2180:                             ;   in Loop: Header=BB432_1571 Depth=1
	v_bfe_u32 v7, v6, 16, 1
	s_delay_alu instid0(VALU_DEP_1)
	v_add3_u32 v34, v6, v7, 0x7fff
                                        ; implicit-def: $vgpr6
; %bb.2181:                             ;   in Loop: Header=BB432_1571 Depth=1
	s_and_not1_saveexec_b32 s11, s1
; %bb.2182:                             ;   in Loop: Header=BB432_1571 Depth=1
	v_and_b32_e32 v7, 0xffff, v6
	v_or_b32_e32 v34, 0x10000, v6
	s_delay_alu instid0(VALU_DEP_2) | instskip(NEXT) | instid1(VALU_DEP_1)
	v_cmp_eq_u32_e64 s1, 0, v7
	v_cndmask_b32_e64 v34, v34, v6, s1
; %bb.2183:                             ;   in Loop: Header=BB432_1571 Depth=1
	s_or_b32 exec_lo, exec_lo, s11
	v_lshrrev_b16 v7, 8, v9
	v_mov_b32_e32 v6, 0
	s_mov_b32 s11, exec_lo
	s_delay_alu instid0(VALU_DEP_2)
	v_cmpx_ne_u16_e32 0, v7
	s_cbranch_execz .LBB432_2191
; %bb.2184:                             ;   in Loop: Header=BB432_1571 Depth=1
	v_bfrev_b32_e32 v6, 1
	s_mov_b32 s12, exec_lo
	v_cmpx_ne_u16_e32 0x80, v7
	s_cbranch_execz .LBB432_2190
; %bb.2185:                             ;   in Loop: Header=BB432_1571 Depth=1
	v_and_b32_e32 v7, 0xffff, v7
	v_mov_b32_e32 v6, 0x7f800001
	s_mov_b32 s13, exec_lo
	s_delay_alu instid0(VALU_DEP_2) | instskip(NEXT) | instid1(VALU_DEP_1)
	v_and_b32_e32 v147, 0x7f, v7
	v_cmpx_ne_u32_e32 0x7f, v147
	s_cbranch_execz .LBB432_2189
; %bb.2186:                             ;   in Loop: Header=BB432_1571 Depth=1
	v_dual_mov_b32 v7, v10 :: v_dual_and_b32 v6, 7, v7
	v_lshrrev_b32_e32 v36, 3, v147
	s_mov_b32 s15, exec_lo
	v_cmpx_gt_u32_e32 8, v147
; %bb.2187:                             ;   in Loop: Header=BB432_1571 Depth=1
	s_delay_alu instid0(VALU_DEP_3) | instskip(NEXT) | instid1(VALU_DEP_1)
	v_clz_i32_u32_e32 v36, v6
	v_min_u32_e32 v36, 32, v36
	s_delay_alu instid0(VALU_DEP_1) | instskip(SKIP_1) | instid1(VALU_DEP_2)
	v_subrev_nc_u32_e32 v147, 28, v36
	v_sub_nc_u32_e32 v36, 29, v36
	v_lshlrev_b64 v[6:7], v147, v[6:7]
	s_delay_alu instid0(VALU_DEP_1)
	v_and_b32_e32 v6, 7, v6
; %bb.2188:                             ;   in Loop: Header=BB432_1571 Depth=1
	s_or_b32 exec_lo, exec_lo, s15
	v_lshlrev_b32_e32 v7, 16, v9
	s_delay_alu instid0(VALU_DEP_2) | instskip(SKIP_1) | instid1(VALU_DEP_3)
	v_lshlrev_b32_e32 v6, 20, v6
	v_lshl_add_u32 v9, v36, 23, 0x3c000000
	v_and_b32_e32 v7, 0x80000000, v7
	s_delay_alu instid0(VALU_DEP_1)
	v_or3_b32 v6, v6, v7, v9
.LBB432_2189:                           ;   in Loop: Header=BB432_1571 Depth=1
	s_or_b32 exec_lo, exec_lo, s13
.LBB432_2190:                           ;   in Loop: Header=BB432_1571 Depth=1
	s_delay_alu instid0(SALU_CYCLE_1)
	s_or_b32 exec_lo, exec_lo, s12
.LBB432_2191:                           ;   in Loop: Header=BB432_1571 Depth=1
	s_delay_alu instid0(SALU_CYCLE_1) | instskip(NEXT) | instid1(VALU_DEP_1)
	s_or_b32 exec_lo, exec_lo, s11
	v_mul_f32_e32 v6, v26, v6
                                        ; implicit-def: $vgpr36
	s_delay_alu instid0(VALU_DEP_1) | instskip(NEXT) | instid1(VALU_DEP_1)
	v_and_b32_e32 v7, 0x7f800000, v6
	v_cmp_ne_u32_e64 s1, 0x7f800000, v7
	s_delay_alu instid0(VALU_DEP_1) | instskip(NEXT) | instid1(SALU_CYCLE_1)
	s_and_saveexec_b32 s11, s1
	s_xor_b32 s1, exec_lo, s11
; %bb.2192:                             ;   in Loop: Header=BB432_1571 Depth=1
	v_bfe_u32 v7, v6, 16, 1
	s_delay_alu instid0(VALU_DEP_1)
	v_add3_u32 v36, v6, v7, 0x7fff
                                        ; implicit-def: $vgpr6
; %bb.2193:                             ;   in Loop: Header=BB432_1571 Depth=1
	s_and_not1_saveexec_b32 s11, s1
; %bb.2194:                             ;   in Loop: Header=BB432_1571 Depth=1
	v_and_b32_e32 v7, 0xffff, v6
	v_or_b32_e32 v9, 0x10000, v6
	s_delay_alu instid0(VALU_DEP_2) | instskip(NEXT) | instid1(VALU_DEP_1)
	v_cmp_eq_u32_e64 s1, 0, v7
	v_cndmask_b32_e64 v36, v9, v6, s1
; %bb.2195:                             ;   in Loop: Header=BB432_1571 Depth=1
	s_or_b32 exec_lo, exec_lo, s11
	v_lshrrev_b32_e32 v147, 16, v3
	s_mov_b32 s11, exec_lo
	s_delay_alu instid0(VALU_DEP_1) | instskip(NEXT) | instid1(VALU_DEP_1)
	v_dual_mov_b32 v6, 0 :: v_dual_and_b32 v7, 0xff, v147
	v_cmpx_ne_u16_e32 0, v7
	s_cbranch_execz .LBB432_2203
; %bb.2196:                             ;   in Loop: Header=BB432_1571 Depth=1
	v_bfrev_b32_e32 v6, 1
	s_mov_b32 s12, exec_lo
	v_cmpx_ne_u16_e32 0x80, v7
	s_cbranch_execz .LBB432_2202
; %bb.2197:                             ;   in Loop: Header=BB432_1571 Depth=1
	v_bfe_u32 v7, v3, 16, 7
	v_mov_b32_e32 v6, 0x7f800001
	s_mov_b32 s13, exec_lo
	s_delay_alu instid0(VALU_DEP_2)
	v_cmpx_ne_u32_e32 0x7f, v7
	s_cbranch_execz .LBB432_2201
; %bb.2198:                             ;   in Loop: Header=BB432_1571 Depth=1
	v_and_b32_e32 v9, 7, v147
	v_lshrrev_b32_e32 v148, 3, v7
	v_cmp_gt_u32_e64 s1, 8, v7
	s_delay_alu instid0(VALU_DEP_3) | instskip(NEXT) | instid1(VALU_DEP_2)
	v_dual_mov_b32 v6, v9 :: v_dual_mov_b32 v7, v10
	s_and_saveexec_b32 s15, s1
; %bb.2199:                             ;   in Loop: Header=BB432_1571 Depth=1
	v_clz_i32_u32_e32 v6, v9
	s_delay_alu instid0(VALU_DEP_1) | instskip(NEXT) | instid1(VALU_DEP_1)
	v_min_u32_e32 v148, 32, v6
	v_subrev_nc_u32_e32 v6, 28, v148
	v_sub_nc_u32_e32 v148, 29, v148
	s_delay_alu instid0(VALU_DEP_2) | instskip(NEXT) | instid1(VALU_DEP_1)
	v_lshlrev_b64 v[6:7], v6, v[9:10]
	v_and_b32_e32 v6, 7, v6
; %bb.2200:                             ;   in Loop: Header=BB432_1571 Depth=1
	s_or_b32 exec_lo, exec_lo, s15
	v_lshlrev_b32_e32 v7, 24, v147
	s_delay_alu instid0(VALU_DEP_2) | instskip(SKIP_1) | instid1(VALU_DEP_3)
	v_lshlrev_b32_e32 v6, 20, v6
	v_lshl_add_u32 v9, v148, 23, 0x3c000000
	v_and_b32_e32 v7, 0x80000000, v7
	s_delay_alu instid0(VALU_DEP_1)
	v_or3_b32 v6, v6, v7, v9
.LBB432_2201:                           ;   in Loop: Header=BB432_1571 Depth=1
	s_or_b32 exec_lo, exec_lo, s13
.LBB432_2202:                           ;   in Loop: Header=BB432_1571 Depth=1
	s_delay_alu instid0(SALU_CYCLE_1)
	s_or_b32 exec_lo, exec_lo, s12
.LBB432_2203:                           ;   in Loop: Header=BB432_1571 Depth=1
	s_delay_alu instid0(SALU_CYCLE_1) | instskip(NEXT) | instid1(VALU_DEP_1)
	s_or_b32 exec_lo, exec_lo, s11
	v_mul_f32_e32 v6, v26, v6
                                        ; implicit-def: $vgpr147
	s_delay_alu instid0(VALU_DEP_1) | instskip(NEXT) | instid1(VALU_DEP_1)
	v_and_b32_e32 v7, 0x7f800000, v6
	v_cmp_ne_u32_e64 s1, 0x7f800000, v7
	s_delay_alu instid0(VALU_DEP_1) | instskip(NEXT) | instid1(SALU_CYCLE_1)
	s_and_saveexec_b32 s11, s1
	s_xor_b32 s1, exec_lo, s11
; %bb.2204:                             ;   in Loop: Header=BB432_1571 Depth=1
	v_bfe_u32 v7, v6, 16, 1
	s_delay_alu instid0(VALU_DEP_1)
	v_add3_u32 v147, v6, v7, 0x7fff
                                        ; implicit-def: $vgpr6
; %bb.2205:                             ;   in Loop: Header=BB432_1571 Depth=1
	s_and_not1_saveexec_b32 s11, s1
; %bb.2206:                             ;   in Loop: Header=BB432_1571 Depth=1
	v_and_b32_e32 v7, 0xffff, v6
	v_or_b32_e32 v9, 0x10000, v6
	s_delay_alu instid0(VALU_DEP_2) | instskip(NEXT) | instid1(VALU_DEP_1)
	v_cmp_eq_u32_e64 s1, 0, v7
	v_cndmask_b32_e64 v147, v9, v6, s1
; %bb.2207:                             ;   in Loop: Header=BB432_1571 Depth=1
	s_or_b32 exec_lo, exec_lo, s11
	v_cmp_lt_u64_e64 s1, s[2:3], v[2:3]
	v_mov_b32_e32 v2, 0
	s_delay_alu instid0(VALU_DEP_2)
	s_and_saveexec_b32 s11, s1
	s_cbranch_execz .LBB432_2215
; %bb.2208:                             ;   in Loop: Header=BB432_1571 Depth=1
	v_lshrrev_b32_e32 v6, 24, v3
	v_bfrev_b32_e32 v2, 1
	s_mov_b32 s12, exec_lo
	s_delay_alu instid0(VALU_DEP_2)
	v_cmpx_ne_u32_e32 0x80, v6
	s_cbranch_execz .LBB432_2214
; %bb.2209:                             ;   in Loop: Header=BB432_1571 Depth=1
	v_bfe_u32 v3, v3, 24, 7
	v_mov_b32_e32 v2, 0x7f800001
	s_mov_b32 s13, exec_lo
	s_delay_alu instid0(VALU_DEP_2)
	v_cmpx_ne_u32_e32 0x7f, v3
	s_cbranch_execz .LBB432_2213
; %bb.2210:                             ;   in Loop: Header=BB432_1571 Depth=1
	v_and_b32_e32 v9, 7, v6
	v_lshrrev_b32_e32 v7, 3, v3
	v_cmp_gt_u32_e64 s1, 8, v3
	s_delay_alu instid0(VALU_DEP_3) | instskip(NEXT) | instid1(VALU_DEP_2)
	v_dual_mov_b32 v2, v9 :: v_dual_mov_b32 v3, v10
	s_and_saveexec_b32 s15, s1
; %bb.2211:                             ;   in Loop: Header=BB432_1571 Depth=1
	v_clz_i32_u32_e32 v2, v9
	s_delay_alu instid0(VALU_DEP_1) | instskip(NEXT) | instid1(VALU_DEP_1)
	v_min_u32_e32 v7, 32, v2
	v_subrev_nc_u32_e32 v2, 28, v7
	v_sub_nc_u32_e32 v7, 29, v7
	s_delay_alu instid0(VALU_DEP_2) | instskip(NEXT) | instid1(VALU_DEP_1)
	v_lshlrev_b64 v[2:3], v2, v[9:10]
	v_and_b32_e32 v2, 7, v2
; %bb.2212:                             ;   in Loop: Header=BB432_1571 Depth=1
	s_or_b32 exec_lo, exec_lo, s15
	v_lshlrev_b32_e32 v3, 24, v6
	s_delay_alu instid0(VALU_DEP_2) | instskip(SKIP_1) | instid1(VALU_DEP_3)
	v_lshlrev_b32_e32 v2, 20, v2
	v_lshl_add_u32 v6, v7, 23, 0x3c000000
	v_and_b32_e32 v3, 0x80000000, v3
	s_delay_alu instid0(VALU_DEP_1)
	v_or3_b32 v2, v2, v3, v6
.LBB432_2213:                           ;   in Loop: Header=BB432_1571 Depth=1
	s_or_b32 exec_lo, exec_lo, s13
.LBB432_2214:                           ;   in Loop: Header=BB432_1571 Depth=1
	s_delay_alu instid0(SALU_CYCLE_1)
	s_or_b32 exec_lo, exec_lo, s12
.LBB432_2215:                           ;   in Loop: Header=BB432_1571 Depth=1
	s_delay_alu instid0(SALU_CYCLE_1) | instskip(NEXT) | instid1(VALU_DEP_1)
	s_or_b32 exec_lo, exec_lo, s11
	v_mul_f32_e32 v3, v26, v2
	s_delay_alu instid0(VALU_DEP_1) | instskip(NEXT) | instid1(VALU_DEP_1)
	v_and_b32_e32 v2, 0x7f800000, v3
	v_cmp_ne_u32_e64 s1, 0x7f800000, v2
                                        ; implicit-def: $vgpr2
	s_delay_alu instid0(VALU_DEP_1) | instskip(NEXT) | instid1(SALU_CYCLE_1)
	s_and_saveexec_b32 s11, s1
	s_xor_b32 s1, exec_lo, s11
; %bb.2216:                             ;   in Loop: Header=BB432_1571 Depth=1
	v_bfe_u32 v2, v3, 16, 1
	s_delay_alu instid0(VALU_DEP_1)
	v_add3_u32 v2, v3, v2, 0x7fff
                                        ; implicit-def: $vgpr3
; %bb.2217:                             ;   in Loop: Header=BB432_1571 Depth=1
	s_and_not1_saveexec_b32 s11, s1
; %bb.2218:                             ;   in Loop: Header=BB432_1571 Depth=1
	v_and_b32_e32 v2, 0xffff, v3
	v_or_b32_e32 v6, 0x10000, v3
	s_delay_alu instid0(VALU_DEP_2) | instskip(NEXT) | instid1(VALU_DEP_1)
	v_cmp_eq_u32_e64 s1, 0, v2
	v_cndmask_b32_e64 v2, v6, v3, s1
; %bb.2219:                             ;   in Loop: Header=BB432_1571 Depth=1
	s_or_b32 exec_lo, exec_lo, s11
	v_lshrrev_b32_e32 v6, 16, v36
	v_lshrrev_b32_e32 v7, 16, v34
	;; [unrolled: 1-line block ×8, first 2 shown]
	s_and_saveexec_b32 s11, vcc_lo
	s_cbranch_execz .LBB432_2221
; %bb.2220:                             ;   in Loop: Header=BB432_1571 Depth=1
	v_cmp_lt_i32_e64 s1, v68, v35
	s_delay_alu instid0(VALU_DEP_1) | instskip(SKIP_1) | instid1(VALU_DEP_1)
	v_cndmask_b32_e64 v4, 0, v4, s1
	v_cmp_lt_i32_e64 s1, v82, v35
	v_cndmask_b32_e64 v5, 0, v5, s1
	v_cmp_lt_i32_e64 s1, v81, v35
	s_delay_alu instid0(VALU_DEP_1) | instskip(SKIP_1) | instid1(VALU_DEP_1)
	v_cndmask_b32_e64 v32, 0, v32, s1
	v_cmp_lt_i32_e64 s1, v80, v35
	v_cndmask_b32_e64 v9, 0, v9, s1
	;; [unrolled: 5-line block ×4, first 2 shown]
.LBB432_2221:                           ;   in Loop: Header=BB432_1571 Depth=1
	s_or_b32 exec_lo, exec_lo, s11
	v_lshlrev_b32_e32 v4, 16, v4
                                        ; implicit-def: $vgpr147
	s_delay_alu instid0(VALU_DEP_1) | instskip(NEXT) | instid1(VALU_DEP_1)
	v_mul_f32_e32 v4, v83, v4
	v_and_b32_e32 v33, 0x7f800000, v4
	s_delay_alu instid0(VALU_DEP_1) | instskip(NEXT) | instid1(VALU_DEP_1)
	v_cmp_ne_u32_e64 s1, 0x7f800000, v33
	s_and_saveexec_b32 s11, s1
	s_delay_alu instid0(SALU_CYCLE_1)
	s_xor_b32 s1, exec_lo, s11
; %bb.2222:                             ;   in Loop: Header=BB432_1571 Depth=1
	v_bfe_u32 v33, v4, 16, 1
	s_delay_alu instid0(VALU_DEP_1)
	v_add3_u32 v147, v4, v33, 0x7fff
                                        ; implicit-def: $vgpr4
; %bb.2223:                             ;   in Loop: Header=BB432_1571 Depth=1
	s_and_not1_saveexec_b32 s11, s1
; %bb.2224:                             ;   in Loop: Header=BB432_1571 Depth=1
	v_and_b32_e32 v33, 0xffff, v4
	v_or_b32_e32 v34, 0x10000, v4
	s_delay_alu instid0(VALU_DEP_2) | instskip(NEXT) | instid1(VALU_DEP_1)
	v_cmp_eq_u32_e64 s1, 0, v33
	v_cndmask_b32_e64 v147, v34, v4, s1
; %bb.2225:                             ;   in Loop: Header=BB432_1571 Depth=1
	s_or_b32 exec_lo, exec_lo, s11
	v_lshlrev_b32_e32 v4, 16, v5
                                        ; implicit-def: $vgpr148
	s_delay_alu instid0(VALU_DEP_1) | instskip(NEXT) | instid1(VALU_DEP_1)
	v_mul_f32_e32 v4, v84, v4
	v_and_b32_e32 v5, 0x7f800000, v4
	s_delay_alu instid0(VALU_DEP_1) | instskip(NEXT) | instid1(VALU_DEP_1)
	v_cmp_ne_u32_e64 s1, 0x7f800000, v5
	s_and_saveexec_b32 s11, s1
	s_delay_alu instid0(SALU_CYCLE_1)
	s_xor_b32 s1, exec_lo, s11
; %bb.2226:                             ;   in Loop: Header=BB432_1571 Depth=1
	v_bfe_u32 v5, v4, 16, 1
	s_delay_alu instid0(VALU_DEP_1)
	v_add3_u32 v148, v4, v5, 0x7fff
                                        ; implicit-def: $vgpr4
; %bb.2227:                             ;   in Loop: Header=BB432_1571 Depth=1
	s_and_not1_saveexec_b32 s11, s1
; %bb.2228:                             ;   in Loop: Header=BB432_1571 Depth=1
	v_and_b32_e32 v5, 0xffff, v4
	v_or_b32_e32 v33, 0x10000, v4
	s_delay_alu instid0(VALU_DEP_2) | instskip(NEXT) | instid1(VALU_DEP_1)
	v_cmp_eq_u32_e64 s1, 0, v5
	v_cndmask_b32_e64 v148, v33, v4, s1
; %bb.2229:                             ;   in Loop: Header=BB432_1571 Depth=1
	s_or_b32 exec_lo, exec_lo, s11
	v_lshlrev_b32_e32 v4, 16, v32
                                        ; implicit-def: $vgpr149
	s_delay_alu instid0(VALU_DEP_1) | instskip(NEXT) | instid1(VALU_DEP_1)
	v_mul_f32_e32 v4, v85, v4
	v_and_b32_e32 v5, 0x7f800000, v4
	s_delay_alu instid0(VALU_DEP_1) | instskip(NEXT) | instid1(VALU_DEP_1)
	v_cmp_ne_u32_e64 s1, 0x7f800000, v5
	s_and_saveexec_b32 s11, s1
	s_delay_alu instid0(SALU_CYCLE_1)
	s_xor_b32 s1, exec_lo, s11
; %bb.2230:                             ;   in Loop: Header=BB432_1571 Depth=1
	v_bfe_u32 v5, v4, 16, 1
	s_delay_alu instid0(VALU_DEP_1)
	v_add3_u32 v149, v4, v5, 0x7fff
                                        ; implicit-def: $vgpr4
; %bb.2231:                             ;   in Loop: Header=BB432_1571 Depth=1
	s_and_not1_saveexec_b32 s11, s1
; %bb.2232:                             ;   in Loop: Header=BB432_1571 Depth=1
	v_and_b32_e32 v5, 0xffff, v4
	v_or_b32_e32 v32, 0x10000, v4
	s_delay_alu instid0(VALU_DEP_2) | instskip(NEXT) | instid1(VALU_DEP_1)
	v_cmp_eq_u32_e64 s1, 0, v5
	v_cndmask_b32_e64 v149, v32, v4, s1
; %bb.2233:                             ;   in Loop: Header=BB432_1571 Depth=1
	s_or_b32 exec_lo, exec_lo, s11
	v_lshlrev_b32_e32 v4, 16, v9
                                        ; implicit-def: $vgpr150
	s_delay_alu instid0(VALU_DEP_1) | instskip(NEXT) | instid1(VALU_DEP_1)
	v_mul_f32_e32 v4, v86, v4
	v_and_b32_e32 v5, 0x7f800000, v4
	s_delay_alu instid0(VALU_DEP_1) | instskip(NEXT) | instid1(VALU_DEP_1)
	v_cmp_ne_u32_e64 s1, 0x7f800000, v5
	s_and_saveexec_b32 s11, s1
	s_delay_alu instid0(SALU_CYCLE_1)
	s_xor_b32 s1, exec_lo, s11
; %bb.2234:                             ;   in Loop: Header=BB432_1571 Depth=1
	v_bfe_u32 v5, v4, 16, 1
	s_delay_alu instid0(VALU_DEP_1)
	v_add3_u32 v150, v4, v5, 0x7fff
                                        ; implicit-def: $vgpr4
; %bb.2235:                             ;   in Loop: Header=BB432_1571 Depth=1
	s_and_not1_saveexec_b32 s11, s1
; %bb.2236:                             ;   in Loop: Header=BB432_1571 Depth=1
	v_and_b32_e32 v5, 0xffff, v4
	v_or_b32_e32 v9, 0x10000, v4
	s_delay_alu instid0(VALU_DEP_2) | instskip(NEXT) | instid1(VALU_DEP_1)
	v_cmp_eq_u32_e64 s1, 0, v5
	v_cndmask_b32_e64 v150, v9, v4, s1
; %bb.2237:                             ;   in Loop: Header=BB432_1571 Depth=1
	s_or_b32 exec_lo, exec_lo, s11
	v_lshlrev_b32_e32 v4, 16, v7
                                        ; implicit-def: $vgpr151
	s_delay_alu instid0(VALU_DEP_1) | instskip(NEXT) | instid1(VALU_DEP_1)
	v_mul_f32_e32 v4, v87, v4
	v_and_b32_e32 v5, 0x7f800000, v4
	s_delay_alu instid0(VALU_DEP_1) | instskip(NEXT) | instid1(VALU_DEP_1)
	v_cmp_ne_u32_e64 s1, 0x7f800000, v5
	s_and_saveexec_b32 s11, s1
	s_delay_alu instid0(SALU_CYCLE_1)
	s_xor_b32 s1, exec_lo, s11
; %bb.2238:                             ;   in Loop: Header=BB432_1571 Depth=1
	v_bfe_u32 v5, v4, 16, 1
	s_delay_alu instid0(VALU_DEP_1)
	v_add3_u32 v151, v4, v5, 0x7fff
                                        ; implicit-def: $vgpr4
; %bb.2239:                             ;   in Loop: Header=BB432_1571 Depth=1
	s_and_not1_saveexec_b32 s11, s1
; %bb.2240:                             ;   in Loop: Header=BB432_1571 Depth=1
	v_and_b32_e32 v5, 0xffff, v4
	v_or_b32_e32 v7, 0x10000, v4
	s_delay_alu instid0(VALU_DEP_2) | instskip(NEXT) | instid1(VALU_DEP_1)
	v_cmp_eq_u32_e64 s1, 0, v5
	v_cndmask_b32_e64 v151, v7, v4, s1
; %bb.2241:                             ;   in Loop: Header=BB432_1571 Depth=1
	s_or_b32 exec_lo, exec_lo, s11
	v_lshlrev_b32_e32 v4, 16, v6
                                        ; implicit-def: $vgpr160
	s_delay_alu instid0(VALU_DEP_1) | instskip(NEXT) | instid1(VALU_DEP_1)
	v_mul_f32_e32 v4, v96, v4
	v_and_b32_e32 v5, 0x7f800000, v4
	s_delay_alu instid0(VALU_DEP_1) | instskip(NEXT) | instid1(VALU_DEP_1)
	v_cmp_ne_u32_e64 s1, 0x7f800000, v5
	s_and_saveexec_b32 s11, s1
	s_delay_alu instid0(SALU_CYCLE_1)
	s_xor_b32 s1, exec_lo, s11
; %bb.2242:                             ;   in Loop: Header=BB432_1571 Depth=1
	v_bfe_u32 v5, v4, 16, 1
	s_delay_alu instid0(VALU_DEP_1)
	v_add3_u32 v160, v4, v5, 0x7fff
                                        ; implicit-def: $vgpr4
; %bb.2243:                             ;   in Loop: Header=BB432_1571 Depth=1
	s_and_not1_saveexec_b32 s11, s1
; %bb.2244:                             ;   in Loop: Header=BB432_1571 Depth=1
	v_and_b32_e32 v5, 0xffff, v4
	v_or_b32_e32 v6, 0x10000, v4
	s_delay_alu instid0(VALU_DEP_2) | instskip(NEXT) | instid1(VALU_DEP_1)
	v_cmp_eq_u32_e64 s1, 0, v5
	v_cndmask_b32_e64 v160, v6, v4, s1
; %bb.2245:                             ;   in Loop: Header=BB432_1571 Depth=1
	s_or_b32 exec_lo, exec_lo, s11
	v_lshlrev_b32_e32 v3, 16, v3
                                        ; implicit-def: $vgpr161
	s_delay_alu instid0(VALU_DEP_1) | instskip(NEXT) | instid1(VALU_DEP_1)
	v_mul_f32_e32 v3, v97, v3
	v_and_b32_e32 v4, 0x7f800000, v3
	s_delay_alu instid0(VALU_DEP_1) | instskip(NEXT) | instid1(VALU_DEP_1)
	v_cmp_ne_u32_e64 s1, 0x7f800000, v4
	s_and_saveexec_b32 s11, s1
	s_delay_alu instid0(SALU_CYCLE_1)
	s_xor_b32 s1, exec_lo, s11
; %bb.2246:                             ;   in Loop: Header=BB432_1571 Depth=1
	v_bfe_u32 v4, v3, 16, 1
	s_delay_alu instid0(VALU_DEP_1)
	v_add3_u32 v161, v3, v4, 0x7fff
                                        ; implicit-def: $vgpr3
; %bb.2247:                             ;   in Loop: Header=BB432_1571 Depth=1
	s_and_not1_saveexec_b32 s11, s1
; %bb.2248:                             ;   in Loop: Header=BB432_1571 Depth=1
	v_and_b32_e32 v4, 0xffff, v3
	v_or_b32_e32 v5, 0x10000, v3
	s_delay_alu instid0(VALU_DEP_2) | instskip(NEXT) | instid1(VALU_DEP_1)
	v_cmp_eq_u32_e64 s1, 0, v4
	v_cndmask_b32_e64 v161, v5, v3, s1
; %bb.2249:                             ;   in Loop: Header=BB432_1571 Depth=1
	s_or_b32 exec_lo, exec_lo, s11
	v_lshlrev_b32_e32 v2, 16, v2
                                        ; implicit-def: $vgpr162
	s_delay_alu instid0(VALU_DEP_1) | instskip(NEXT) | instid1(VALU_DEP_1)
	v_mul_f32_e32 v2, v98, v2
	v_and_b32_e32 v3, 0x7f800000, v2
	s_delay_alu instid0(VALU_DEP_1) | instskip(NEXT) | instid1(VALU_DEP_1)
	v_cmp_ne_u32_e64 s1, 0x7f800000, v3
	s_and_saveexec_b32 s11, s1
	s_delay_alu instid0(SALU_CYCLE_1)
	s_xor_b32 s1, exec_lo, s11
; %bb.2250:                             ;   in Loop: Header=BB432_1571 Depth=1
	v_bfe_u32 v3, v2, 16, 1
	s_delay_alu instid0(VALU_DEP_1)
	v_add3_u32 v162, v2, v3, 0x7fff
                                        ; implicit-def: $vgpr2
; %bb.2251:                             ;   in Loop: Header=BB432_1571 Depth=1
	s_and_not1_saveexec_b32 s11, s1
; %bb.2252:                             ;   in Loop: Header=BB432_1571 Depth=1
	v_and_b32_e32 v3, 0xffff, v2
	v_or_b32_e32 v4, 0x10000, v2
	s_delay_alu instid0(VALU_DEP_2) | instskip(NEXT) | instid1(VALU_DEP_1)
	v_cmp_eq_u32_e64 s1, 0, v3
	v_cndmask_b32_e64 v162, v4, v2, s1
; %bb.2253:                             ;   in Loop: Header=BB432_1571 Depth=1
	s_or_b32 exec_lo, exec_lo, s11
	flat_load_b64 v[2:3], v[0:1] offset:1280
	s_mov_b32 s11, exec_lo
	s_waitcnt vmcnt(0) lgkmcnt(0)
	v_dual_mov_b32 v4, 0 :: v_dual_and_b32 v5, 0xff, v2
	s_delay_alu instid0(VALU_DEP_1)
	v_cmpx_ne_u16_e32 0, v5
	s_cbranch_execz .LBB432_2261
; %bb.2254:                             ;   in Loop: Header=BB432_1571 Depth=1
	v_bfrev_b32_e32 v4, 1
	s_mov_b32 s12, exec_lo
	v_cmpx_ne_u16_e32 0x80, v5
	s_cbranch_execz .LBB432_2260
; %bb.2255:                             ;   in Loop: Header=BB432_1571 Depth=1
	v_and_b32_e32 v5, 0x7f, v2
	v_mov_b32_e32 v4, 0x7f800001
	s_mov_b32 s13, exec_lo
	s_delay_alu instid0(VALU_DEP_2)
	v_cmpx_ne_u32_e32 0x7f, v5
	s_cbranch_execz .LBB432_2259
; %bb.2256:                             ;   in Loop: Header=BB432_1571 Depth=1
	v_lshrrev_b32_e32 v4, 3, v5
	v_dual_mov_b32 v7, v3 :: v_dual_mov_b32 v6, v2
	s_mov_b32 s15, exec_lo
	v_cmpx_gt_u32_e32 8, v5
; %bb.2257:                             ;   in Loop: Header=BB432_1571 Depth=1
	v_and_b32_e32 v4, 7, v2
	s_delay_alu instid0(VALU_DEP_1) | instskip(NEXT) | instid1(VALU_DEP_1)
	v_clz_i32_u32_e32 v4, v4
	v_min_u32_e32 v4, 32, v4
	s_delay_alu instid0(VALU_DEP_1) | instskip(SKIP_1) | instid1(VALU_DEP_2)
	v_subrev_nc_u32_e32 v5, 28, v4
	v_sub_nc_u32_e32 v4, 29, v4
	v_lshlrev_b64 v[6:7], v5, v[2:3]
; %bb.2258:                             ;   in Loop: Header=BB432_1571 Depth=1
	s_or_b32 exec_lo, exec_lo, s15
	s_delay_alu instid0(VALU_DEP_1) | instskip(SKIP_2) | instid1(VALU_DEP_3)
	v_lshlrev_b32_e32 v5, 20, v6
	v_lshlrev_b32_e32 v6, 24, v2
	v_lshl_add_u32 v4, v4, 23, 0x3c000000
	v_and_b32_e32 v5, 0x700000, v5
	s_delay_alu instid0(VALU_DEP_3) | instskip(NEXT) | instid1(VALU_DEP_1)
	v_and_b32_e32 v6, 0x80000000, v6
	v_or3_b32 v4, v5, v6, v4
.LBB432_2259:                           ;   in Loop: Header=BB432_1571 Depth=1
	s_or_b32 exec_lo, exec_lo, s13
.LBB432_2260:                           ;   in Loop: Header=BB432_1571 Depth=1
	s_delay_alu instid0(SALU_CYCLE_1)
	s_or_b32 exec_lo, exec_lo, s12
.LBB432_2261:                           ;   in Loop: Header=BB432_1571 Depth=1
	s_delay_alu instid0(SALU_CYCLE_1) | instskip(NEXT) | instid1(VALU_DEP_1)
	s_or_b32 exec_lo, exec_lo, s11
	v_mul_f32_e32 v5, v26, v4
	s_delay_alu instid0(VALU_DEP_1) | instskip(NEXT) | instid1(VALU_DEP_1)
	v_and_b32_e32 v4, 0x7f800000, v5
	v_cmp_ne_u32_e64 s1, 0x7f800000, v4
                                        ; implicit-def: $vgpr4
	s_delay_alu instid0(VALU_DEP_1) | instskip(NEXT) | instid1(SALU_CYCLE_1)
	s_and_saveexec_b32 s11, s1
	s_xor_b32 s1, exec_lo, s11
; %bb.2262:                             ;   in Loop: Header=BB432_1571 Depth=1
	v_bfe_u32 v4, v5, 16, 1
	s_delay_alu instid0(VALU_DEP_1)
	v_add3_u32 v4, v5, v4, 0x7fff
                                        ; implicit-def: $vgpr5
; %bb.2263:                             ;   in Loop: Header=BB432_1571 Depth=1
	s_and_not1_saveexec_b32 s11, s1
; %bb.2264:                             ;   in Loop: Header=BB432_1571 Depth=1
	v_and_b32_e32 v4, 0xffff, v5
	v_or_b32_e32 v6, 0x10000, v5
	s_delay_alu instid0(VALU_DEP_2) | instskip(NEXT) | instid1(VALU_DEP_1)
	v_cmp_eq_u32_e64 s1, 0, v4
	v_cndmask_b32_e64 v4, v6, v5, s1
; %bb.2265:                             ;   in Loop: Header=BB432_1571 Depth=1
	s_or_b32 exec_lo, exec_lo, s11
	v_lshrrev_b16 v6, 8, v2
	v_mov_b32_e32 v5, 0
	s_mov_b32 s11, exec_lo
	s_delay_alu instid0(VALU_DEP_2)
	v_cmpx_ne_u16_e32 0, v6
	s_cbranch_execz .LBB432_2273
; %bb.2266:                             ;   in Loop: Header=BB432_1571 Depth=1
	v_bfrev_b32_e32 v5, 1
	s_mov_b32 s12, exec_lo
	v_cmpx_ne_u16_e32 0x80, v6
	s_cbranch_execz .LBB432_2272
; %bb.2267:                             ;   in Loop: Header=BB432_1571 Depth=1
	v_and_b32_e32 v7, 0xffff, v6
	v_mov_b32_e32 v5, 0x7f800001
	s_mov_b32 s13, exec_lo
	s_delay_alu instid0(VALU_DEP_2) | instskip(NEXT) | instid1(VALU_DEP_1)
	v_and_b32_e32 v6, 0x7f, v7
	v_cmpx_ne_u32_e32 0x7f, v6
	s_cbranch_execz .LBB432_2271
; %bb.2268:                             ;   in Loop: Header=BB432_1571 Depth=1
	v_and_b32_e32 v9, 7, v7
	v_lshrrev_b32_e32 v5, 3, v6
	v_cmp_gt_u32_e64 s1, 8, v6
	s_delay_alu instid0(VALU_DEP_3) | instskip(NEXT) | instid1(VALU_DEP_2)
	v_dual_mov_b32 v6, v9 :: v_dual_mov_b32 v7, v10
	s_and_saveexec_b32 s15, s1
; %bb.2269:                             ;   in Loop: Header=BB432_1571 Depth=1
	v_clz_i32_u32_e32 v5, v9
	s_delay_alu instid0(VALU_DEP_1) | instskip(NEXT) | instid1(VALU_DEP_1)
	v_min_u32_e32 v5, 32, v5
	v_subrev_nc_u32_e32 v6, 28, v5
	v_sub_nc_u32_e32 v5, 29, v5
	s_delay_alu instid0(VALU_DEP_2) | instskip(NEXT) | instid1(VALU_DEP_1)
	v_lshlrev_b64 v[6:7], v6, v[9:10]
	v_and_b32_e32 v6, 7, v6
; %bb.2270:                             ;   in Loop: Header=BB432_1571 Depth=1
	s_or_b32 exec_lo, exec_lo, s15
	v_lshlrev_b32_e32 v7, 16, v2
	s_delay_alu instid0(VALU_DEP_2) | instskip(SKIP_1) | instid1(VALU_DEP_3)
	v_lshlrev_b32_e32 v6, 20, v6
	v_lshl_add_u32 v5, v5, 23, 0x3c000000
	v_and_b32_e32 v7, 0x80000000, v7
	s_delay_alu instid0(VALU_DEP_1)
	v_or3_b32 v5, v6, v7, v5
.LBB432_2271:                           ;   in Loop: Header=BB432_1571 Depth=1
	s_or_b32 exec_lo, exec_lo, s13
.LBB432_2272:                           ;   in Loop: Header=BB432_1571 Depth=1
	s_delay_alu instid0(SALU_CYCLE_1)
	s_or_b32 exec_lo, exec_lo, s12
.LBB432_2273:                           ;   in Loop: Header=BB432_1571 Depth=1
	s_delay_alu instid0(SALU_CYCLE_1) | instskip(NEXT) | instid1(VALU_DEP_1)
	s_or_b32 exec_lo, exec_lo, s11
	v_mul_f32_e32 v6, v26, v5
	s_delay_alu instid0(VALU_DEP_1) | instskip(NEXT) | instid1(VALU_DEP_1)
	v_and_b32_e32 v5, 0x7f800000, v6
	v_cmp_ne_u32_e64 s1, 0x7f800000, v5
                                        ; implicit-def: $vgpr5
	s_delay_alu instid0(VALU_DEP_1) | instskip(NEXT) | instid1(SALU_CYCLE_1)
	s_and_saveexec_b32 s11, s1
	s_xor_b32 s1, exec_lo, s11
; %bb.2274:                             ;   in Loop: Header=BB432_1571 Depth=1
	v_bfe_u32 v5, v6, 16, 1
	s_delay_alu instid0(VALU_DEP_1)
	v_add3_u32 v5, v6, v5, 0x7fff
                                        ; implicit-def: $vgpr6
; %bb.2275:                             ;   in Loop: Header=BB432_1571 Depth=1
	s_and_not1_saveexec_b32 s11, s1
; %bb.2276:                             ;   in Loop: Header=BB432_1571 Depth=1
	v_and_b32_e32 v5, 0xffff, v6
	v_or_b32_e32 v7, 0x10000, v6
	s_delay_alu instid0(VALU_DEP_2) | instskip(NEXT) | instid1(VALU_DEP_1)
	v_cmp_eq_u32_e64 s1, 0, v5
	v_cndmask_b32_e64 v5, v7, v6, s1
; %bb.2277:                             ;   in Loop: Header=BB432_1571 Depth=1
	s_or_b32 exec_lo, exec_lo, s11
	v_lshrrev_b32_e32 v32, 16, v2
	s_mov_b32 s11, exec_lo
	s_delay_alu instid0(VALU_DEP_1) | instskip(NEXT) | instid1(VALU_DEP_1)
	v_dual_mov_b32 v6, 0 :: v_dual_and_b32 v7, 0xff, v32
	v_cmpx_ne_u16_e32 0, v7
	s_cbranch_execz .LBB432_2285
; %bb.2278:                             ;   in Loop: Header=BB432_1571 Depth=1
	v_bfrev_b32_e32 v6, 1
	s_mov_b32 s12, exec_lo
	v_cmpx_ne_u16_e32 0x80, v7
	s_cbranch_execz .LBB432_2284
; %bb.2279:                             ;   in Loop: Header=BB432_1571 Depth=1
	v_bfe_u32 v7, v2, 16, 7
	v_mov_b32_e32 v6, 0x7f800001
	s_mov_b32 s13, exec_lo
	s_delay_alu instid0(VALU_DEP_2)
	v_cmpx_ne_u32_e32 0x7f, v7
	s_cbranch_execz .LBB432_2283
; %bb.2280:                             ;   in Loop: Header=BB432_1571 Depth=1
	v_and_b32_e32 v9, 7, v32
	v_lshrrev_b32_e32 v33, 3, v7
	v_cmp_gt_u32_e64 s1, 8, v7
	s_delay_alu instid0(VALU_DEP_3) | instskip(NEXT) | instid1(VALU_DEP_2)
	v_dual_mov_b32 v6, v9 :: v_dual_mov_b32 v7, v10
	s_and_saveexec_b32 s15, s1
; %bb.2281:                             ;   in Loop: Header=BB432_1571 Depth=1
	v_clz_i32_u32_e32 v6, v9
	s_delay_alu instid0(VALU_DEP_1) | instskip(NEXT) | instid1(VALU_DEP_1)
	v_min_u32_e32 v33, 32, v6
	v_subrev_nc_u32_e32 v6, 28, v33
	v_sub_nc_u32_e32 v33, 29, v33
	s_delay_alu instid0(VALU_DEP_2) | instskip(NEXT) | instid1(VALU_DEP_1)
	v_lshlrev_b64 v[6:7], v6, v[9:10]
	v_and_b32_e32 v6, 7, v6
; %bb.2282:                             ;   in Loop: Header=BB432_1571 Depth=1
	s_or_b32 exec_lo, exec_lo, s15
	v_lshlrev_b32_e32 v7, 24, v32
	s_delay_alu instid0(VALU_DEP_2) | instskip(SKIP_1) | instid1(VALU_DEP_3)
	v_lshlrev_b32_e32 v6, 20, v6
	v_lshl_add_u32 v9, v33, 23, 0x3c000000
	v_and_b32_e32 v7, 0x80000000, v7
	s_delay_alu instid0(VALU_DEP_1)
	v_or3_b32 v6, v6, v7, v9
.LBB432_2283:                           ;   in Loop: Header=BB432_1571 Depth=1
	s_or_b32 exec_lo, exec_lo, s13
.LBB432_2284:                           ;   in Loop: Header=BB432_1571 Depth=1
	s_delay_alu instid0(SALU_CYCLE_1)
	s_or_b32 exec_lo, exec_lo, s12
.LBB432_2285:                           ;   in Loop: Header=BB432_1571 Depth=1
	s_delay_alu instid0(SALU_CYCLE_1) | instskip(NEXT) | instid1(VALU_DEP_1)
	s_or_b32 exec_lo, exec_lo, s11
	v_mul_f32_e32 v6, v26, v6
                                        ; implicit-def: $vgpr32
	s_delay_alu instid0(VALU_DEP_1) | instskip(NEXT) | instid1(VALU_DEP_1)
	v_and_b32_e32 v7, 0x7f800000, v6
	v_cmp_ne_u32_e64 s1, 0x7f800000, v7
	s_delay_alu instid0(VALU_DEP_1) | instskip(NEXT) | instid1(SALU_CYCLE_1)
	s_and_saveexec_b32 s11, s1
	s_xor_b32 s1, exec_lo, s11
; %bb.2286:                             ;   in Loop: Header=BB432_1571 Depth=1
	v_bfe_u32 v7, v6, 16, 1
	s_delay_alu instid0(VALU_DEP_1)
	v_add3_u32 v32, v6, v7, 0x7fff
                                        ; implicit-def: $vgpr6
; %bb.2287:                             ;   in Loop: Header=BB432_1571 Depth=1
	s_and_not1_saveexec_b32 s11, s1
; %bb.2288:                             ;   in Loop: Header=BB432_1571 Depth=1
	v_and_b32_e32 v7, 0xffff, v6
	v_or_b32_e32 v9, 0x10000, v6
	s_delay_alu instid0(VALU_DEP_2) | instskip(NEXT) | instid1(VALU_DEP_1)
	v_cmp_eq_u32_e64 s1, 0, v7
	v_cndmask_b32_e64 v32, v9, v6, s1
; %bb.2289:                             ;   in Loop: Header=BB432_1571 Depth=1
	s_or_b32 exec_lo, exec_lo, s11
	v_mov_b32_e32 v6, 0
	s_mov_b32 s11, exec_lo
	v_cmpx_lt_u32_e32 0xffffff, v2
	s_cbranch_execz .LBB432_2297
; %bb.2290:                             ;   in Loop: Header=BB432_1571 Depth=1
	v_lshrrev_b32_e32 v33, 24, v2
	v_bfrev_b32_e32 v6, 1
	s_mov_b32 s12, exec_lo
	s_delay_alu instid0(VALU_DEP_2)
	v_cmpx_ne_u32_e32 0x80, v33
	s_cbranch_execz .LBB432_2296
; %bb.2291:                             ;   in Loop: Header=BB432_1571 Depth=1
	v_bfe_u32 v7, v2, 24, 7
	v_mov_b32_e32 v6, 0x7f800001
	s_mov_b32 s13, exec_lo
	s_delay_alu instid0(VALU_DEP_2)
	v_cmpx_ne_u32_e32 0x7f, v7
	s_cbranch_execz .LBB432_2295
; %bb.2292:                             ;   in Loop: Header=BB432_1571 Depth=1
	v_and_b32_e32 v9, 7, v33
	v_lshrrev_b32_e32 v34, 3, v7
	v_cmp_gt_u32_e64 s1, 8, v7
	s_delay_alu instid0(VALU_DEP_3) | instskip(NEXT) | instid1(VALU_DEP_2)
	v_dual_mov_b32 v6, v9 :: v_dual_mov_b32 v7, v10
	s_and_saveexec_b32 s15, s1
; %bb.2293:                             ;   in Loop: Header=BB432_1571 Depth=1
	v_clz_i32_u32_e32 v6, v9
	s_delay_alu instid0(VALU_DEP_1) | instskip(NEXT) | instid1(VALU_DEP_1)
	v_min_u32_e32 v34, 32, v6
	v_subrev_nc_u32_e32 v6, 28, v34
	v_sub_nc_u32_e32 v34, 29, v34
	s_delay_alu instid0(VALU_DEP_2) | instskip(NEXT) | instid1(VALU_DEP_1)
	v_lshlrev_b64 v[6:7], v6, v[9:10]
	v_and_b32_e32 v6, 7, v6
; %bb.2294:                             ;   in Loop: Header=BB432_1571 Depth=1
	s_or_b32 exec_lo, exec_lo, s15
	v_lshlrev_b32_e32 v7, 24, v33
	s_delay_alu instid0(VALU_DEP_2) | instskip(SKIP_1) | instid1(VALU_DEP_3)
	v_lshlrev_b32_e32 v6, 20, v6
	v_lshl_add_u32 v9, v34, 23, 0x3c000000
	v_and_b32_e32 v7, 0x80000000, v7
	s_delay_alu instid0(VALU_DEP_1)
	v_or3_b32 v6, v6, v7, v9
.LBB432_2295:                           ;   in Loop: Header=BB432_1571 Depth=1
	s_or_b32 exec_lo, exec_lo, s13
.LBB432_2296:                           ;   in Loop: Header=BB432_1571 Depth=1
	s_delay_alu instid0(SALU_CYCLE_1)
	s_or_b32 exec_lo, exec_lo, s12
.LBB432_2297:                           ;   in Loop: Header=BB432_1571 Depth=1
	s_delay_alu instid0(SALU_CYCLE_1) | instskip(NEXT) | instid1(VALU_DEP_1)
	s_or_b32 exec_lo, exec_lo, s11
	v_mul_f32_e32 v6, v26, v6
                                        ; implicit-def: $vgpr33
	s_delay_alu instid0(VALU_DEP_1) | instskip(NEXT) | instid1(VALU_DEP_1)
	v_and_b32_e32 v7, 0x7f800000, v6
	v_cmp_ne_u32_e64 s1, 0x7f800000, v7
	s_delay_alu instid0(VALU_DEP_1) | instskip(NEXT) | instid1(SALU_CYCLE_1)
	s_and_saveexec_b32 s11, s1
	s_xor_b32 s1, exec_lo, s11
; %bb.2298:                             ;   in Loop: Header=BB432_1571 Depth=1
	v_bfe_u32 v7, v6, 16, 1
	s_delay_alu instid0(VALU_DEP_1)
	v_add3_u32 v33, v6, v7, 0x7fff
                                        ; implicit-def: $vgpr6
; %bb.2299:                             ;   in Loop: Header=BB432_1571 Depth=1
	s_and_not1_saveexec_b32 s11, s1
; %bb.2300:                             ;   in Loop: Header=BB432_1571 Depth=1
	v_and_b32_e32 v7, 0xffff, v6
	v_or_b32_e32 v9, 0x10000, v6
	s_delay_alu instid0(VALU_DEP_2) | instskip(NEXT) | instid1(VALU_DEP_1)
	v_cmp_eq_u32_e64 s1, 0, v7
	v_cndmask_b32_e64 v33, v9, v6, s1
; %bb.2301:                             ;   in Loop: Header=BB432_1571 Depth=1
	s_or_b32 exec_lo, exec_lo, s11
	v_dual_mov_b32 v6, 0 :: v_dual_and_b32 v7, 0xff, v3
	v_mov_b32_e32 v9, v3
	s_mov_b32 s11, exec_lo
	s_delay_alu instid0(VALU_DEP_2)
	v_cmpx_ne_u16_e32 0, v7
	s_cbranch_execz .LBB432_2309
; %bb.2302:                             ;   in Loop: Header=BB432_1571 Depth=1
	v_bfrev_b32_e32 v6, 1
	s_mov_b32 s12, exec_lo
	v_cmpx_ne_u16_e32 0x80, v7
	s_cbranch_execz .LBB432_2308
; %bb.2303:                             ;   in Loop: Header=BB432_1571 Depth=1
	v_and_b32_e32 v7, 0x7f, v3
	v_mov_b32_e32 v6, 0x7f800001
	s_mov_b32 s13, exec_lo
	s_delay_alu instid0(VALU_DEP_2)
	v_cmpx_ne_u32_e32 0x7f, v7
	s_cbranch_execz .LBB432_2307
; %bb.2304:                             ;   in Loop: Header=BB432_1571 Depth=1
	v_lshrrev_b32_e32 v34, 3, v7
	v_cmp_gt_u32_e64 s1, 8, v7
	v_dual_mov_b32 v6, v9 :: v_dual_mov_b32 v7, v10
	s_delay_alu instid0(VALU_DEP_2)
	s_and_saveexec_b32 s15, s1
; %bb.2305:                             ;   in Loop: Header=BB432_1571 Depth=1
	v_and_b32_e32 v6, 7, v3
	s_delay_alu instid0(VALU_DEP_1) | instskip(NEXT) | instid1(VALU_DEP_1)
	v_clz_i32_u32_e32 v6, v6
	v_min_u32_e32 v34, 32, v6
	s_delay_alu instid0(VALU_DEP_1) | instskip(SKIP_1) | instid1(VALU_DEP_2)
	v_subrev_nc_u32_e32 v6, 28, v34
	v_sub_nc_u32_e32 v34, 29, v34
	v_lshlrev_b64 v[6:7], v6, v[9:10]
; %bb.2306:                             ;   in Loop: Header=BB432_1571 Depth=1
	s_or_b32 exec_lo, exec_lo, s15
	s_delay_alu instid0(VALU_DEP_1) | instskip(SKIP_2) | instid1(VALU_DEP_3)
	v_lshlrev_b32_e32 v6, 20, v6
	v_lshlrev_b32_e32 v7, 24, v9
	v_lshl_add_u32 v34, v34, 23, 0x3c000000
	v_and_b32_e32 v6, 0x700000, v6
	s_delay_alu instid0(VALU_DEP_3) | instskip(NEXT) | instid1(VALU_DEP_1)
	v_and_b32_e32 v7, 0x80000000, v7
	v_or3_b32 v6, v6, v7, v34
.LBB432_2307:                           ;   in Loop: Header=BB432_1571 Depth=1
	s_or_b32 exec_lo, exec_lo, s13
.LBB432_2308:                           ;   in Loop: Header=BB432_1571 Depth=1
	s_delay_alu instid0(SALU_CYCLE_1)
	s_or_b32 exec_lo, exec_lo, s12
.LBB432_2309:                           ;   in Loop: Header=BB432_1571 Depth=1
	s_delay_alu instid0(SALU_CYCLE_1) | instskip(NEXT) | instid1(VALU_DEP_1)
	s_or_b32 exec_lo, exec_lo, s11
	v_mul_f32_e32 v6, v26, v6
                                        ; implicit-def: $vgpr34
	s_delay_alu instid0(VALU_DEP_1) | instskip(NEXT) | instid1(VALU_DEP_1)
	v_and_b32_e32 v7, 0x7f800000, v6
	v_cmp_ne_u32_e64 s1, 0x7f800000, v7
	s_delay_alu instid0(VALU_DEP_1) | instskip(NEXT) | instid1(SALU_CYCLE_1)
	s_and_saveexec_b32 s11, s1
	s_xor_b32 s1, exec_lo, s11
; %bb.2310:                             ;   in Loop: Header=BB432_1571 Depth=1
	v_bfe_u32 v7, v6, 16, 1
	s_delay_alu instid0(VALU_DEP_1)
	v_add3_u32 v34, v6, v7, 0x7fff
                                        ; implicit-def: $vgpr6
; %bb.2311:                             ;   in Loop: Header=BB432_1571 Depth=1
	s_and_not1_saveexec_b32 s11, s1
; %bb.2312:                             ;   in Loop: Header=BB432_1571 Depth=1
	v_and_b32_e32 v7, 0xffff, v6
	v_or_b32_e32 v34, 0x10000, v6
	s_delay_alu instid0(VALU_DEP_2) | instskip(NEXT) | instid1(VALU_DEP_1)
	v_cmp_eq_u32_e64 s1, 0, v7
	v_cndmask_b32_e64 v34, v34, v6, s1
; %bb.2313:                             ;   in Loop: Header=BB432_1571 Depth=1
	s_or_b32 exec_lo, exec_lo, s11
	v_lshrrev_b16 v7, 8, v9
	v_mov_b32_e32 v6, 0
	s_mov_b32 s11, exec_lo
	s_delay_alu instid0(VALU_DEP_2)
	v_cmpx_ne_u16_e32 0, v7
	s_cbranch_execz .LBB432_2321
; %bb.2314:                             ;   in Loop: Header=BB432_1571 Depth=1
	v_bfrev_b32_e32 v6, 1
	s_mov_b32 s12, exec_lo
	v_cmpx_ne_u16_e32 0x80, v7
	s_cbranch_execz .LBB432_2320
; %bb.2315:                             ;   in Loop: Header=BB432_1571 Depth=1
	v_and_b32_e32 v7, 0xffff, v7
	v_mov_b32_e32 v6, 0x7f800001
	s_mov_b32 s13, exec_lo
	s_delay_alu instid0(VALU_DEP_2) | instskip(NEXT) | instid1(VALU_DEP_1)
	v_and_b32_e32 v163, 0x7f, v7
	v_cmpx_ne_u32_e32 0x7f, v163
	s_cbranch_execz .LBB432_2319
; %bb.2316:                             ;   in Loop: Header=BB432_1571 Depth=1
	v_dual_mov_b32 v7, v10 :: v_dual_and_b32 v6, 7, v7
	v_lshrrev_b32_e32 v36, 3, v163
	s_mov_b32 s15, exec_lo
	v_cmpx_gt_u32_e32 8, v163
; %bb.2317:                             ;   in Loop: Header=BB432_1571 Depth=1
	s_delay_alu instid0(VALU_DEP_3) | instskip(NEXT) | instid1(VALU_DEP_1)
	v_clz_i32_u32_e32 v36, v6
	v_min_u32_e32 v36, 32, v36
	s_delay_alu instid0(VALU_DEP_1) | instskip(SKIP_1) | instid1(VALU_DEP_2)
	v_subrev_nc_u32_e32 v163, 28, v36
	v_sub_nc_u32_e32 v36, 29, v36
	v_lshlrev_b64 v[6:7], v163, v[6:7]
	s_delay_alu instid0(VALU_DEP_1)
	v_and_b32_e32 v6, 7, v6
; %bb.2318:                             ;   in Loop: Header=BB432_1571 Depth=1
	s_or_b32 exec_lo, exec_lo, s15
	v_lshlrev_b32_e32 v7, 16, v9
	s_delay_alu instid0(VALU_DEP_2) | instskip(SKIP_1) | instid1(VALU_DEP_3)
	v_lshlrev_b32_e32 v6, 20, v6
	v_lshl_add_u32 v9, v36, 23, 0x3c000000
	v_and_b32_e32 v7, 0x80000000, v7
	s_delay_alu instid0(VALU_DEP_1)
	v_or3_b32 v6, v6, v7, v9
.LBB432_2319:                           ;   in Loop: Header=BB432_1571 Depth=1
	s_or_b32 exec_lo, exec_lo, s13
.LBB432_2320:                           ;   in Loop: Header=BB432_1571 Depth=1
	s_delay_alu instid0(SALU_CYCLE_1)
	s_or_b32 exec_lo, exec_lo, s12
.LBB432_2321:                           ;   in Loop: Header=BB432_1571 Depth=1
	s_delay_alu instid0(SALU_CYCLE_1) | instskip(NEXT) | instid1(VALU_DEP_1)
	s_or_b32 exec_lo, exec_lo, s11
	v_mul_f32_e32 v6, v26, v6
                                        ; implicit-def: $vgpr36
	s_delay_alu instid0(VALU_DEP_1) | instskip(NEXT) | instid1(VALU_DEP_1)
	v_and_b32_e32 v7, 0x7f800000, v6
	v_cmp_ne_u32_e64 s1, 0x7f800000, v7
	s_delay_alu instid0(VALU_DEP_1) | instskip(NEXT) | instid1(SALU_CYCLE_1)
	s_and_saveexec_b32 s11, s1
	s_xor_b32 s1, exec_lo, s11
; %bb.2322:                             ;   in Loop: Header=BB432_1571 Depth=1
	v_bfe_u32 v7, v6, 16, 1
	s_delay_alu instid0(VALU_DEP_1)
	v_add3_u32 v36, v6, v7, 0x7fff
                                        ; implicit-def: $vgpr6
; %bb.2323:                             ;   in Loop: Header=BB432_1571 Depth=1
	s_and_not1_saveexec_b32 s11, s1
; %bb.2324:                             ;   in Loop: Header=BB432_1571 Depth=1
	v_and_b32_e32 v7, 0xffff, v6
	v_or_b32_e32 v9, 0x10000, v6
	s_delay_alu instid0(VALU_DEP_2) | instskip(NEXT) | instid1(VALU_DEP_1)
	v_cmp_eq_u32_e64 s1, 0, v7
	v_cndmask_b32_e64 v36, v9, v6, s1
; %bb.2325:                             ;   in Loop: Header=BB432_1571 Depth=1
	s_or_b32 exec_lo, exec_lo, s11
	v_lshrrev_b32_e32 v163, 16, v3
	s_mov_b32 s11, exec_lo
	s_delay_alu instid0(VALU_DEP_1) | instskip(NEXT) | instid1(VALU_DEP_1)
	v_dual_mov_b32 v6, 0 :: v_dual_and_b32 v7, 0xff, v163
	v_cmpx_ne_u16_e32 0, v7
	s_cbranch_execz .LBB432_2333
; %bb.2326:                             ;   in Loop: Header=BB432_1571 Depth=1
	v_bfrev_b32_e32 v6, 1
	s_mov_b32 s12, exec_lo
	v_cmpx_ne_u16_e32 0x80, v7
	s_cbranch_execz .LBB432_2332
; %bb.2327:                             ;   in Loop: Header=BB432_1571 Depth=1
	v_bfe_u32 v7, v3, 16, 7
	v_mov_b32_e32 v6, 0x7f800001
	s_mov_b32 s13, exec_lo
	s_delay_alu instid0(VALU_DEP_2)
	v_cmpx_ne_u32_e32 0x7f, v7
	s_cbranch_execz .LBB432_2331
; %bb.2328:                             ;   in Loop: Header=BB432_1571 Depth=1
	v_and_b32_e32 v9, 7, v163
	v_lshrrev_b32_e32 v164, 3, v7
	v_cmp_gt_u32_e64 s1, 8, v7
	s_delay_alu instid0(VALU_DEP_3) | instskip(NEXT) | instid1(VALU_DEP_2)
	v_dual_mov_b32 v6, v9 :: v_dual_mov_b32 v7, v10
	s_and_saveexec_b32 s15, s1
; %bb.2329:                             ;   in Loop: Header=BB432_1571 Depth=1
	v_clz_i32_u32_e32 v6, v9
	s_delay_alu instid0(VALU_DEP_1) | instskip(NEXT) | instid1(VALU_DEP_1)
	v_min_u32_e32 v164, 32, v6
	v_subrev_nc_u32_e32 v6, 28, v164
	v_sub_nc_u32_e32 v164, 29, v164
	s_delay_alu instid0(VALU_DEP_2) | instskip(NEXT) | instid1(VALU_DEP_1)
	v_lshlrev_b64 v[6:7], v6, v[9:10]
	v_and_b32_e32 v6, 7, v6
; %bb.2330:                             ;   in Loop: Header=BB432_1571 Depth=1
	s_or_b32 exec_lo, exec_lo, s15
	v_lshlrev_b32_e32 v7, 24, v163
	s_delay_alu instid0(VALU_DEP_2) | instskip(SKIP_1) | instid1(VALU_DEP_3)
	v_lshlrev_b32_e32 v6, 20, v6
	v_lshl_add_u32 v9, v164, 23, 0x3c000000
	v_and_b32_e32 v7, 0x80000000, v7
	s_delay_alu instid0(VALU_DEP_1)
	v_or3_b32 v6, v6, v7, v9
.LBB432_2331:                           ;   in Loop: Header=BB432_1571 Depth=1
	s_or_b32 exec_lo, exec_lo, s13
.LBB432_2332:                           ;   in Loop: Header=BB432_1571 Depth=1
	s_delay_alu instid0(SALU_CYCLE_1)
	s_or_b32 exec_lo, exec_lo, s12
.LBB432_2333:                           ;   in Loop: Header=BB432_1571 Depth=1
	s_delay_alu instid0(SALU_CYCLE_1) | instskip(NEXT) | instid1(VALU_DEP_1)
	s_or_b32 exec_lo, exec_lo, s11
	v_mul_f32_e32 v6, v26, v6
                                        ; implicit-def: $vgpr163
	s_delay_alu instid0(VALU_DEP_1) | instskip(NEXT) | instid1(VALU_DEP_1)
	v_and_b32_e32 v7, 0x7f800000, v6
	v_cmp_ne_u32_e64 s1, 0x7f800000, v7
	s_delay_alu instid0(VALU_DEP_1) | instskip(NEXT) | instid1(SALU_CYCLE_1)
	s_and_saveexec_b32 s11, s1
	s_xor_b32 s1, exec_lo, s11
; %bb.2334:                             ;   in Loop: Header=BB432_1571 Depth=1
	v_bfe_u32 v7, v6, 16, 1
	s_delay_alu instid0(VALU_DEP_1)
	v_add3_u32 v163, v6, v7, 0x7fff
                                        ; implicit-def: $vgpr6
; %bb.2335:                             ;   in Loop: Header=BB432_1571 Depth=1
	s_and_not1_saveexec_b32 s11, s1
; %bb.2336:                             ;   in Loop: Header=BB432_1571 Depth=1
	v_and_b32_e32 v7, 0xffff, v6
	v_or_b32_e32 v9, 0x10000, v6
	s_delay_alu instid0(VALU_DEP_2) | instskip(NEXT) | instid1(VALU_DEP_1)
	v_cmp_eq_u32_e64 s1, 0, v7
	v_cndmask_b32_e64 v163, v9, v6, s1
; %bb.2337:                             ;   in Loop: Header=BB432_1571 Depth=1
	s_or_b32 exec_lo, exec_lo, s11
	v_cmp_lt_u64_e64 s1, s[2:3], v[2:3]
	v_mov_b32_e32 v2, 0
	s_delay_alu instid0(VALU_DEP_2)
	s_and_saveexec_b32 s11, s1
	s_cbranch_execz .LBB432_2345
; %bb.2338:                             ;   in Loop: Header=BB432_1571 Depth=1
	v_lshrrev_b32_e32 v6, 24, v3
	v_bfrev_b32_e32 v2, 1
	s_mov_b32 s12, exec_lo
	s_delay_alu instid0(VALU_DEP_2)
	v_cmpx_ne_u32_e32 0x80, v6
	s_cbranch_execz .LBB432_2344
; %bb.2339:                             ;   in Loop: Header=BB432_1571 Depth=1
	v_bfe_u32 v3, v3, 24, 7
	v_mov_b32_e32 v2, 0x7f800001
	s_mov_b32 s13, exec_lo
	s_delay_alu instid0(VALU_DEP_2)
	v_cmpx_ne_u32_e32 0x7f, v3
	s_cbranch_execz .LBB432_2343
; %bb.2340:                             ;   in Loop: Header=BB432_1571 Depth=1
	v_and_b32_e32 v9, 7, v6
	v_lshrrev_b32_e32 v7, 3, v3
	v_cmp_gt_u32_e64 s1, 8, v3
	s_delay_alu instid0(VALU_DEP_3) | instskip(NEXT) | instid1(VALU_DEP_2)
	v_dual_mov_b32 v2, v9 :: v_dual_mov_b32 v3, v10
	s_and_saveexec_b32 s15, s1
; %bb.2341:                             ;   in Loop: Header=BB432_1571 Depth=1
	v_clz_i32_u32_e32 v2, v9
	s_delay_alu instid0(VALU_DEP_1) | instskip(NEXT) | instid1(VALU_DEP_1)
	v_min_u32_e32 v7, 32, v2
	v_subrev_nc_u32_e32 v2, 28, v7
	v_sub_nc_u32_e32 v7, 29, v7
	s_delay_alu instid0(VALU_DEP_2) | instskip(NEXT) | instid1(VALU_DEP_1)
	v_lshlrev_b64 v[2:3], v2, v[9:10]
	v_and_b32_e32 v2, 7, v2
; %bb.2342:                             ;   in Loop: Header=BB432_1571 Depth=1
	s_or_b32 exec_lo, exec_lo, s15
	v_lshlrev_b32_e32 v3, 24, v6
	s_delay_alu instid0(VALU_DEP_2) | instskip(SKIP_1) | instid1(VALU_DEP_3)
	v_lshlrev_b32_e32 v2, 20, v2
	v_lshl_add_u32 v6, v7, 23, 0x3c000000
	v_and_b32_e32 v3, 0x80000000, v3
	s_delay_alu instid0(VALU_DEP_1)
	v_or3_b32 v2, v2, v3, v6
.LBB432_2343:                           ;   in Loop: Header=BB432_1571 Depth=1
	s_or_b32 exec_lo, exec_lo, s13
.LBB432_2344:                           ;   in Loop: Header=BB432_1571 Depth=1
	s_delay_alu instid0(SALU_CYCLE_1)
	s_or_b32 exec_lo, exec_lo, s12
.LBB432_2345:                           ;   in Loop: Header=BB432_1571 Depth=1
	s_delay_alu instid0(SALU_CYCLE_1) | instskip(NEXT) | instid1(VALU_DEP_1)
	s_or_b32 exec_lo, exec_lo, s11
	v_mul_f32_e32 v3, v26, v2
	s_delay_alu instid0(VALU_DEP_1) | instskip(NEXT) | instid1(VALU_DEP_1)
	v_and_b32_e32 v2, 0x7f800000, v3
	v_cmp_ne_u32_e64 s1, 0x7f800000, v2
                                        ; implicit-def: $vgpr2
	s_delay_alu instid0(VALU_DEP_1) | instskip(NEXT) | instid1(SALU_CYCLE_1)
	s_and_saveexec_b32 s11, s1
	s_xor_b32 s1, exec_lo, s11
; %bb.2346:                             ;   in Loop: Header=BB432_1571 Depth=1
	v_bfe_u32 v2, v3, 16, 1
	s_delay_alu instid0(VALU_DEP_1)
	v_add3_u32 v2, v3, v2, 0x7fff
                                        ; implicit-def: $vgpr3
; %bb.2347:                             ;   in Loop: Header=BB432_1571 Depth=1
	s_and_not1_saveexec_b32 s11, s1
; %bb.2348:                             ;   in Loop: Header=BB432_1571 Depth=1
	v_and_b32_e32 v2, 0xffff, v3
	v_or_b32_e32 v6, 0x10000, v3
	s_delay_alu instid0(VALU_DEP_2) | instskip(NEXT) | instid1(VALU_DEP_1)
	v_cmp_eq_u32_e64 s1, 0, v2
	v_cndmask_b32_e64 v2, v6, v3, s1
; %bb.2349:                             ;   in Loop: Header=BB432_1571 Depth=1
	s_or_b32 exec_lo, exec_lo, s11
	v_lshrrev_b32_e32 v6, 16, v36
	v_lshrrev_b32_e32 v7, 16, v34
	;; [unrolled: 1-line block ×8, first 2 shown]
	s_and_saveexec_b32 s11, vcc_lo
	s_cbranch_execz .LBB432_2351
; %bb.2350:                             ;   in Loop: Header=BB432_1571 Depth=1
	v_cmp_lt_i32_e64 s1, v68, v35
	s_delay_alu instid0(VALU_DEP_1) | instskip(SKIP_1) | instid1(VALU_DEP_1)
	v_cndmask_b32_e64 v4, 0, v4, s1
	v_cmp_lt_i32_e64 s1, v82, v35
	v_cndmask_b32_e64 v5, 0, v5, s1
	v_cmp_lt_i32_e64 s1, v81, v35
	s_delay_alu instid0(VALU_DEP_1) | instskip(SKIP_1) | instid1(VALU_DEP_1)
	v_cndmask_b32_e64 v32, 0, v32, s1
	v_cmp_lt_i32_e64 s1, v80, v35
	v_cndmask_b32_e64 v9, 0, v9, s1
	;; [unrolled: 5-line block ×4, first 2 shown]
.LBB432_2351:                           ;   in Loop: Header=BB432_1571 Depth=1
	s_or_b32 exec_lo, exec_lo, s11
	v_lshlrev_b32_e32 v4, 16, v4
	s_delay_alu instid0(VALU_DEP_1) | instskip(NEXT) | instid1(VALU_DEP_1)
	v_mul_f32_e32 v33, v83, v4
	v_and_b32_e32 v4, 0x7f800000, v33
	s_delay_alu instid0(VALU_DEP_1) | instskip(NEXT) | instid1(VALU_DEP_1)
	v_cmp_ne_u32_e64 s1, 0x7f800000, v4
                                        ; implicit-def: $vgpr4
	s_and_saveexec_b32 s11, s1
	s_delay_alu instid0(SALU_CYCLE_1)
	s_xor_b32 s1, exec_lo, s11
; %bb.2352:                             ;   in Loop: Header=BB432_1571 Depth=1
	v_bfe_u32 v4, v33, 16, 1
	s_delay_alu instid0(VALU_DEP_1)
	v_add3_u32 v4, v33, v4, 0x7fff
                                        ; implicit-def: $vgpr33
; %bb.2353:                             ;   in Loop: Header=BB432_1571 Depth=1
	s_and_not1_saveexec_b32 s11, s1
; %bb.2354:                             ;   in Loop: Header=BB432_1571 Depth=1
	v_and_b32_e32 v4, 0xffff, v33
	v_or_b32_e32 v34, 0x10000, v33
	s_delay_alu instid0(VALU_DEP_2) | instskip(NEXT) | instid1(VALU_DEP_1)
	v_cmp_eq_u32_e64 s1, 0, v4
	v_cndmask_b32_e64 v4, v34, v33, s1
; %bb.2355:                             ;   in Loop: Header=BB432_1571 Depth=1
	s_or_b32 exec_lo, exec_lo, s11
	v_lshlrev_b32_e32 v5, 16, v5
	s_delay_alu instid0(VALU_DEP_1) | instskip(NEXT) | instid1(VALU_DEP_1)
	v_mul_f32_e32 v33, v84, v5
	v_and_b32_e32 v5, 0x7f800000, v33
	s_delay_alu instid0(VALU_DEP_1) | instskip(NEXT) | instid1(VALU_DEP_1)
	v_cmp_ne_u32_e64 s1, 0x7f800000, v5
                                        ; implicit-def: $vgpr5
	s_and_saveexec_b32 s11, s1
	s_delay_alu instid0(SALU_CYCLE_1)
	s_xor_b32 s1, exec_lo, s11
; %bb.2356:                             ;   in Loop: Header=BB432_1571 Depth=1
	v_bfe_u32 v5, v33, 16, 1
	s_delay_alu instid0(VALU_DEP_1)
	v_add3_u32 v5, v33, v5, 0x7fff
                                        ; implicit-def: $vgpr33
; %bb.2357:                             ;   in Loop: Header=BB432_1571 Depth=1
	s_and_not1_saveexec_b32 s11, s1
; %bb.2358:                             ;   in Loop: Header=BB432_1571 Depth=1
	v_and_b32_e32 v5, 0xffff, v33
	v_or_b32_e32 v34, 0x10000, v33
	s_delay_alu instid0(VALU_DEP_2) | instskip(NEXT) | instid1(VALU_DEP_1)
	v_cmp_eq_u32_e64 s1, 0, v5
	v_cndmask_b32_e64 v5, v34, v33, s1
; %bb.2359:                             ;   in Loop: Header=BB432_1571 Depth=1
	s_or_b32 exec_lo, exec_lo, s11
	v_lshlrev_b32_e32 v32, 16, v32
	s_delay_alu instid0(VALU_DEP_1) | instskip(NEXT) | instid1(VALU_DEP_1)
	v_mul_f32_e32 v33, v85, v32
	v_and_b32_e32 v32, 0x7f800000, v33
	s_delay_alu instid0(VALU_DEP_1) | instskip(NEXT) | instid1(VALU_DEP_1)
	v_cmp_ne_u32_e64 s1, 0x7f800000, v32
                                        ; implicit-def: $vgpr32
	s_and_saveexec_b32 s11, s1
	s_delay_alu instid0(SALU_CYCLE_1)
	s_xor_b32 s1, exec_lo, s11
; %bb.2360:                             ;   in Loop: Header=BB432_1571 Depth=1
	v_bfe_u32 v32, v33, 16, 1
	s_delay_alu instid0(VALU_DEP_1)
	v_add3_u32 v32, v33, v32, 0x7fff
                                        ; implicit-def: $vgpr33
; %bb.2361:                             ;   in Loop: Header=BB432_1571 Depth=1
	s_and_not1_saveexec_b32 s11, s1
; %bb.2362:                             ;   in Loop: Header=BB432_1571 Depth=1
	v_and_b32_e32 v32, 0xffff, v33
	v_or_b32_e32 v34, 0x10000, v33
	s_delay_alu instid0(VALU_DEP_2) | instskip(NEXT) | instid1(VALU_DEP_1)
	v_cmp_eq_u32_e64 s1, 0, v32
	v_cndmask_b32_e64 v32, v34, v33, s1
; %bb.2363:                             ;   in Loop: Header=BB432_1571 Depth=1
	s_or_b32 exec_lo, exec_lo, s11
	v_lshlrev_b32_e32 v9, 16, v9
                                        ; implicit-def: $vgpr34
	s_delay_alu instid0(VALU_DEP_1) | instskip(NEXT) | instid1(VALU_DEP_1)
	v_mul_f32_e32 v9, v86, v9
	v_and_b32_e32 v33, 0x7f800000, v9
	s_delay_alu instid0(VALU_DEP_1) | instskip(NEXT) | instid1(VALU_DEP_1)
	v_cmp_ne_u32_e64 s1, 0x7f800000, v33
	s_and_saveexec_b32 s11, s1
	s_delay_alu instid0(SALU_CYCLE_1)
	s_xor_b32 s1, exec_lo, s11
; %bb.2364:                             ;   in Loop: Header=BB432_1571 Depth=1
	v_bfe_u32 v33, v9, 16, 1
	s_delay_alu instid0(VALU_DEP_1)
	v_add3_u32 v34, v9, v33, 0x7fff
                                        ; implicit-def: $vgpr9
; %bb.2365:                             ;   in Loop: Header=BB432_1571 Depth=1
	s_and_not1_saveexec_b32 s11, s1
; %bb.2366:                             ;   in Loop: Header=BB432_1571 Depth=1
	v_and_b32_e32 v33, 0xffff, v9
	v_or_b32_e32 v34, 0x10000, v9
	s_delay_alu instid0(VALU_DEP_2) | instskip(NEXT) | instid1(VALU_DEP_1)
	v_cmp_eq_u32_e64 s1, 0, v33
	v_cndmask_b32_e64 v34, v34, v9, s1
; %bb.2367:                             ;   in Loop: Header=BB432_1571 Depth=1
	s_or_b32 exec_lo, exec_lo, s11
	v_lshlrev_b32_e32 v7, 16, v7
                                        ; implicit-def: $vgpr36
	s_delay_alu instid0(VALU_DEP_1) | instskip(NEXT) | instid1(VALU_DEP_1)
	v_mul_f32_e32 v7, v87, v7
	v_and_b32_e32 v9, 0x7f800000, v7
	s_delay_alu instid0(VALU_DEP_1) | instskip(NEXT) | instid1(VALU_DEP_1)
	v_cmp_ne_u32_e64 s1, 0x7f800000, v9
	s_and_saveexec_b32 s11, s1
	s_delay_alu instid0(SALU_CYCLE_1)
	s_xor_b32 s1, exec_lo, s11
; %bb.2368:                             ;   in Loop: Header=BB432_1571 Depth=1
	v_bfe_u32 v9, v7, 16, 1
	s_delay_alu instid0(VALU_DEP_1)
	v_add3_u32 v36, v7, v9, 0x7fff
                                        ; implicit-def: $vgpr7
; %bb.2369:                             ;   in Loop: Header=BB432_1571 Depth=1
	s_and_not1_saveexec_b32 s11, s1
; %bb.2370:                             ;   in Loop: Header=BB432_1571 Depth=1
	v_and_b32_e32 v9, 0xffff, v7
	v_or_b32_e32 v33, 0x10000, v7
	s_delay_alu instid0(VALU_DEP_2) | instskip(NEXT) | instid1(VALU_DEP_1)
	v_cmp_eq_u32_e64 s1, 0, v9
	v_cndmask_b32_e64 v36, v33, v7, s1
; %bb.2371:                             ;   in Loop: Header=BB432_1571 Depth=1
	s_or_b32 exec_lo, exec_lo, s11
	v_lshlrev_b32_e32 v6, 16, v6
                                        ; implicit-def: $vgpr163
	s_delay_alu instid0(VALU_DEP_1) | instskip(NEXT) | instid1(VALU_DEP_1)
	v_mul_f32_e32 v6, v96, v6
	v_and_b32_e32 v7, 0x7f800000, v6
	s_delay_alu instid0(VALU_DEP_1) | instskip(NEXT) | instid1(VALU_DEP_1)
	v_cmp_ne_u32_e64 s1, 0x7f800000, v7
	s_and_saveexec_b32 s11, s1
	s_delay_alu instid0(SALU_CYCLE_1)
	s_xor_b32 s1, exec_lo, s11
; %bb.2372:                             ;   in Loop: Header=BB432_1571 Depth=1
	v_bfe_u32 v7, v6, 16, 1
	s_delay_alu instid0(VALU_DEP_1)
	v_add3_u32 v163, v6, v7, 0x7fff
                                        ; implicit-def: $vgpr6
; %bb.2373:                             ;   in Loop: Header=BB432_1571 Depth=1
	s_and_not1_saveexec_b32 s11, s1
; %bb.2374:                             ;   in Loop: Header=BB432_1571 Depth=1
	v_and_b32_e32 v7, 0xffff, v6
	v_or_b32_e32 v9, 0x10000, v6
	s_delay_alu instid0(VALU_DEP_2) | instskip(NEXT) | instid1(VALU_DEP_1)
	v_cmp_eq_u32_e64 s1, 0, v7
	v_cndmask_b32_e64 v163, v9, v6, s1
; %bb.2375:                             ;   in Loop: Header=BB432_1571 Depth=1
	s_or_b32 exec_lo, exec_lo, s11
	v_lshlrev_b32_e32 v3, 16, v3
                                        ; implicit-def: $vgpr164
	s_delay_alu instid0(VALU_DEP_1) | instskip(NEXT) | instid1(VALU_DEP_1)
	v_mul_f32_e32 v3, v97, v3
	v_and_b32_e32 v6, 0x7f800000, v3
	s_delay_alu instid0(VALU_DEP_1) | instskip(NEXT) | instid1(VALU_DEP_1)
	v_cmp_ne_u32_e64 s1, 0x7f800000, v6
	s_and_saveexec_b32 s11, s1
	s_delay_alu instid0(SALU_CYCLE_1)
	s_xor_b32 s1, exec_lo, s11
; %bb.2376:                             ;   in Loop: Header=BB432_1571 Depth=1
	v_bfe_u32 v6, v3, 16, 1
	s_delay_alu instid0(VALU_DEP_1)
	v_add3_u32 v164, v3, v6, 0x7fff
                                        ; implicit-def: $vgpr3
; %bb.2377:                             ;   in Loop: Header=BB432_1571 Depth=1
	s_and_not1_saveexec_b32 s11, s1
; %bb.2378:                             ;   in Loop: Header=BB432_1571 Depth=1
	v_and_b32_e32 v6, 0xffff, v3
	v_or_b32_e32 v7, 0x10000, v3
	s_delay_alu instid0(VALU_DEP_2) | instskip(NEXT) | instid1(VALU_DEP_1)
	v_cmp_eq_u32_e64 s1, 0, v6
	v_cndmask_b32_e64 v164, v7, v3, s1
; %bb.2379:                             ;   in Loop: Header=BB432_1571 Depth=1
	s_or_b32 exec_lo, exec_lo, s11
	v_lshlrev_b32_e32 v2, 16, v2
                                        ; implicit-def: $vgpr165
	s_delay_alu instid0(VALU_DEP_1) | instskip(NEXT) | instid1(VALU_DEP_1)
	v_mul_f32_e32 v2, v98, v2
	v_and_b32_e32 v3, 0x7f800000, v2
	s_delay_alu instid0(VALU_DEP_1) | instskip(NEXT) | instid1(VALU_DEP_1)
	v_cmp_ne_u32_e64 s1, 0x7f800000, v3
	s_and_saveexec_b32 s11, s1
	s_delay_alu instid0(SALU_CYCLE_1)
	s_xor_b32 s1, exec_lo, s11
; %bb.2380:                             ;   in Loop: Header=BB432_1571 Depth=1
	v_bfe_u32 v3, v2, 16, 1
	s_delay_alu instid0(VALU_DEP_1)
	v_add3_u32 v165, v2, v3, 0x7fff
                                        ; implicit-def: $vgpr2
; %bb.2381:                             ;   in Loop: Header=BB432_1571 Depth=1
	s_and_not1_saveexec_b32 s11, s1
; %bb.2382:                             ;   in Loop: Header=BB432_1571 Depth=1
	v_and_b32_e32 v3, 0xffff, v2
	v_or_b32_e32 v6, 0x10000, v2
	s_delay_alu instid0(VALU_DEP_2) | instskip(NEXT) | instid1(VALU_DEP_1)
	v_cmp_eq_u32_e64 s1, 0, v3
	v_cndmask_b32_e64 v165, v6, v2, s1
; %bb.2383:                             ;   in Loop: Header=BB432_1571 Depth=1
	s_or_b32 exec_lo, exec_lo, s11
	flat_load_b64 v[2:3], v[0:1] offset:1536
	s_mov_b32 s11, exec_lo
	s_waitcnt vmcnt(0) lgkmcnt(0)
	v_dual_mov_b32 v6, 0 :: v_dual_and_b32 v7, 0xff, v2
	s_delay_alu instid0(VALU_DEP_1)
	v_cmpx_ne_u16_e32 0, v7
	s_cbranch_execz .LBB432_2391
; %bb.2384:                             ;   in Loop: Header=BB432_1571 Depth=1
	v_bfrev_b32_e32 v6, 1
	s_mov_b32 s12, exec_lo
	v_cmpx_ne_u16_e32 0x80, v7
	s_cbranch_execz .LBB432_2390
; %bb.2385:                             ;   in Loop: Header=BB432_1571 Depth=1
	v_and_b32_e32 v7, 0x7f, v2
	v_mov_b32_e32 v6, 0x7f800001
	s_mov_b32 s13, exec_lo
	s_delay_alu instid0(VALU_DEP_2)
	v_cmpx_ne_u32_e32 0x7f, v7
	s_cbranch_execz .LBB432_2389
; %bb.2386:                             ;   in Loop: Header=BB432_1571 Depth=1
	v_lshrrev_b32_e32 v9, 3, v7
	v_cmp_gt_u32_e64 s1, 8, v7
	v_dual_mov_b32 v7, v3 :: v_dual_mov_b32 v6, v2
	s_delay_alu instid0(VALU_DEP_2)
	s_and_saveexec_b32 s15, s1
; %bb.2387:                             ;   in Loop: Header=BB432_1571 Depth=1
	v_and_b32_e32 v6, 7, v2
	s_delay_alu instid0(VALU_DEP_1) | instskip(NEXT) | instid1(VALU_DEP_1)
	v_clz_i32_u32_e32 v6, v6
	v_min_u32_e32 v9, 32, v6
	s_delay_alu instid0(VALU_DEP_1) | instskip(SKIP_1) | instid1(VALU_DEP_2)
	v_subrev_nc_u32_e32 v6, 28, v9
	v_sub_nc_u32_e32 v9, 29, v9
	v_lshlrev_b64 v[6:7], v6, v[2:3]
; %bb.2388:                             ;   in Loop: Header=BB432_1571 Depth=1
	s_or_b32 exec_lo, exec_lo, s15
	s_delay_alu instid0(VALU_DEP_1) | instskip(SKIP_2) | instid1(VALU_DEP_3)
	v_lshlrev_b32_e32 v6, 20, v6
	v_lshlrev_b32_e32 v7, 24, v2
	v_lshl_add_u32 v9, v9, 23, 0x3c000000
	v_and_b32_e32 v6, 0x700000, v6
	s_delay_alu instid0(VALU_DEP_3) | instskip(NEXT) | instid1(VALU_DEP_1)
	v_and_b32_e32 v7, 0x80000000, v7
	v_or3_b32 v6, v6, v7, v9
.LBB432_2389:                           ;   in Loop: Header=BB432_1571 Depth=1
	s_or_b32 exec_lo, exec_lo, s13
.LBB432_2390:                           ;   in Loop: Header=BB432_1571 Depth=1
	s_delay_alu instid0(SALU_CYCLE_1)
	s_or_b32 exec_lo, exec_lo, s12
.LBB432_2391:                           ;   in Loop: Header=BB432_1571 Depth=1
	s_delay_alu instid0(SALU_CYCLE_1) | instskip(NEXT) | instid1(VALU_DEP_1)
	s_or_b32 exec_lo, exec_lo, s11
	v_mul_f32_e32 v6, v26, v6
                                        ; implicit-def: $vgpr33
	s_delay_alu instid0(VALU_DEP_1) | instskip(NEXT) | instid1(VALU_DEP_1)
	v_and_b32_e32 v7, 0x7f800000, v6
	v_cmp_ne_u32_e64 s1, 0x7f800000, v7
	s_delay_alu instid0(VALU_DEP_1) | instskip(NEXT) | instid1(SALU_CYCLE_1)
	s_and_saveexec_b32 s11, s1
	s_xor_b32 s1, exec_lo, s11
; %bb.2392:                             ;   in Loop: Header=BB432_1571 Depth=1
	v_bfe_u32 v7, v6, 16, 1
	s_delay_alu instid0(VALU_DEP_1)
	v_add3_u32 v33, v6, v7, 0x7fff
                                        ; implicit-def: $vgpr6
; %bb.2393:                             ;   in Loop: Header=BB432_1571 Depth=1
	s_and_not1_saveexec_b32 s11, s1
; %bb.2394:                             ;   in Loop: Header=BB432_1571 Depth=1
	v_and_b32_e32 v7, 0xffff, v6
	v_or_b32_e32 v9, 0x10000, v6
	s_delay_alu instid0(VALU_DEP_2) | instskip(NEXT) | instid1(VALU_DEP_1)
	v_cmp_eq_u32_e64 s1, 0, v7
	v_cndmask_b32_e64 v33, v9, v6, s1
; %bb.2395:                             ;   in Loop: Header=BB432_1571 Depth=1
	s_or_b32 exec_lo, exec_lo, s11
	v_lshrrev_b16 v7, 8, v2
	v_mov_b32_e32 v6, 0
	s_mov_b32 s11, exec_lo
	s_delay_alu instid0(VALU_DEP_2)
	v_cmpx_ne_u16_e32 0, v7
	s_cbranch_execz .LBB432_2403
; %bb.2396:                             ;   in Loop: Header=BB432_1571 Depth=1
	v_bfrev_b32_e32 v6, 1
	s_mov_b32 s12, exec_lo
	v_cmpx_ne_u16_e32 0x80, v7
	s_cbranch_execz .LBB432_2402
; %bb.2397:                             ;   in Loop: Header=BB432_1571 Depth=1
	v_and_b32_e32 v9, 0xffff, v7
	v_mov_b32_e32 v6, 0x7f800001
	s_mov_b32 s13, exec_lo
	s_delay_alu instid0(VALU_DEP_2) | instskip(NEXT) | instid1(VALU_DEP_1)
	v_and_b32_e32 v7, 0x7f, v9
	v_cmpx_ne_u32_e32 0x7f, v7
	s_cbranch_execz .LBB432_2401
; %bb.2398:                             ;   in Loop: Header=BB432_1571 Depth=1
	v_and_b32_e32 v9, 7, v9
	v_lshrrev_b32_e32 v166, 3, v7
	v_cmp_gt_u32_e64 s1, 8, v7
	s_delay_alu instid0(VALU_DEP_3) | instskip(NEXT) | instid1(VALU_DEP_2)
	v_dual_mov_b32 v6, v9 :: v_dual_mov_b32 v7, v10
	s_and_saveexec_b32 s15, s1
; %bb.2399:                             ;   in Loop: Header=BB432_1571 Depth=1
	v_clz_i32_u32_e32 v6, v9
	s_delay_alu instid0(VALU_DEP_1) | instskip(NEXT) | instid1(VALU_DEP_1)
	v_min_u32_e32 v166, 32, v6
	v_subrev_nc_u32_e32 v6, 28, v166
	v_sub_nc_u32_e32 v166, 29, v166
	s_delay_alu instid0(VALU_DEP_2) | instskip(NEXT) | instid1(VALU_DEP_1)
	v_lshlrev_b64 v[6:7], v6, v[9:10]
	v_and_b32_e32 v6, 7, v6
; %bb.2400:                             ;   in Loop: Header=BB432_1571 Depth=1
	s_or_b32 exec_lo, exec_lo, s15
	v_lshlrev_b32_e32 v7, 16, v2
	s_delay_alu instid0(VALU_DEP_2) | instskip(SKIP_1) | instid1(VALU_DEP_3)
	v_lshlrev_b32_e32 v6, 20, v6
	v_lshl_add_u32 v9, v166, 23, 0x3c000000
	v_and_b32_e32 v7, 0x80000000, v7
	s_delay_alu instid0(VALU_DEP_1)
	v_or3_b32 v6, v6, v7, v9
.LBB432_2401:                           ;   in Loop: Header=BB432_1571 Depth=1
	s_or_b32 exec_lo, exec_lo, s13
.LBB432_2402:                           ;   in Loop: Header=BB432_1571 Depth=1
	s_delay_alu instid0(SALU_CYCLE_1)
	s_or_b32 exec_lo, exec_lo, s12
.LBB432_2403:                           ;   in Loop: Header=BB432_1571 Depth=1
	s_delay_alu instid0(SALU_CYCLE_1) | instskip(NEXT) | instid1(VALU_DEP_1)
	s_or_b32 exec_lo, exec_lo, s11
	v_mul_f32_e32 v6, v26, v6
                                        ; implicit-def: $vgpr166
	s_delay_alu instid0(VALU_DEP_1) | instskip(NEXT) | instid1(VALU_DEP_1)
	v_and_b32_e32 v7, 0x7f800000, v6
	v_cmp_ne_u32_e64 s1, 0x7f800000, v7
	s_delay_alu instid0(VALU_DEP_1) | instskip(NEXT) | instid1(SALU_CYCLE_1)
	s_and_saveexec_b32 s11, s1
	s_xor_b32 s1, exec_lo, s11
; %bb.2404:                             ;   in Loop: Header=BB432_1571 Depth=1
	v_bfe_u32 v7, v6, 16, 1
	s_delay_alu instid0(VALU_DEP_1)
	v_add3_u32 v166, v6, v7, 0x7fff
                                        ; implicit-def: $vgpr6
; %bb.2405:                             ;   in Loop: Header=BB432_1571 Depth=1
	s_and_not1_saveexec_b32 s11, s1
; %bb.2406:                             ;   in Loop: Header=BB432_1571 Depth=1
	v_and_b32_e32 v7, 0xffff, v6
	v_or_b32_e32 v9, 0x10000, v6
	s_delay_alu instid0(VALU_DEP_2) | instskip(NEXT) | instid1(VALU_DEP_1)
	v_cmp_eq_u32_e64 s1, 0, v7
	v_cndmask_b32_e64 v166, v9, v6, s1
; %bb.2407:                             ;   in Loop: Header=BB432_1571 Depth=1
	s_or_b32 exec_lo, exec_lo, s11
	v_lshrrev_b32_e32 v167, 16, v2
	s_mov_b32 s11, exec_lo
	s_delay_alu instid0(VALU_DEP_1) | instskip(NEXT) | instid1(VALU_DEP_1)
	v_dual_mov_b32 v6, 0 :: v_dual_and_b32 v7, 0xff, v167
	v_cmpx_ne_u16_e32 0, v7
	s_cbranch_execz .LBB432_2415
; %bb.2408:                             ;   in Loop: Header=BB432_1571 Depth=1
	v_bfrev_b32_e32 v6, 1
	s_mov_b32 s12, exec_lo
	v_cmpx_ne_u16_e32 0x80, v7
	s_cbranch_execz .LBB432_2414
; %bb.2409:                             ;   in Loop: Header=BB432_1571 Depth=1
	v_bfe_u32 v7, v2, 16, 7
	v_mov_b32_e32 v6, 0x7f800001
	s_mov_b32 s13, exec_lo
	s_delay_alu instid0(VALU_DEP_2)
	v_cmpx_ne_u32_e32 0x7f, v7
	s_cbranch_execz .LBB432_2413
; %bb.2410:                             ;   in Loop: Header=BB432_1571 Depth=1
	v_and_b32_e32 v9, 7, v167
	v_lshrrev_b32_e32 v176, 3, v7
	v_cmp_gt_u32_e64 s1, 8, v7
	s_delay_alu instid0(VALU_DEP_3) | instskip(NEXT) | instid1(VALU_DEP_2)
	v_dual_mov_b32 v6, v9 :: v_dual_mov_b32 v7, v10
	s_and_saveexec_b32 s15, s1
; %bb.2411:                             ;   in Loop: Header=BB432_1571 Depth=1
	v_clz_i32_u32_e32 v6, v9
	s_delay_alu instid0(VALU_DEP_1) | instskip(NEXT) | instid1(VALU_DEP_1)
	v_min_u32_e32 v176, 32, v6
	v_subrev_nc_u32_e32 v6, 28, v176
	v_sub_nc_u32_e32 v176, 29, v176
	s_delay_alu instid0(VALU_DEP_2) | instskip(NEXT) | instid1(VALU_DEP_1)
	v_lshlrev_b64 v[6:7], v6, v[9:10]
	v_and_b32_e32 v6, 7, v6
; %bb.2412:                             ;   in Loop: Header=BB432_1571 Depth=1
	s_or_b32 exec_lo, exec_lo, s15
	v_lshlrev_b32_e32 v7, 24, v167
	s_delay_alu instid0(VALU_DEP_2) | instskip(SKIP_1) | instid1(VALU_DEP_3)
	v_lshlrev_b32_e32 v6, 20, v6
	v_lshl_add_u32 v9, v176, 23, 0x3c000000
	v_and_b32_e32 v7, 0x80000000, v7
	s_delay_alu instid0(VALU_DEP_1)
	v_or3_b32 v6, v6, v7, v9
.LBB432_2413:                           ;   in Loop: Header=BB432_1571 Depth=1
	s_or_b32 exec_lo, exec_lo, s13
.LBB432_2414:                           ;   in Loop: Header=BB432_1571 Depth=1
	s_delay_alu instid0(SALU_CYCLE_1)
	s_or_b32 exec_lo, exec_lo, s12
.LBB432_2415:                           ;   in Loop: Header=BB432_1571 Depth=1
	s_delay_alu instid0(SALU_CYCLE_1) | instskip(NEXT) | instid1(VALU_DEP_1)
	s_or_b32 exec_lo, exec_lo, s11
	v_mul_f32_e32 v6, v26, v6
                                        ; implicit-def: $vgpr167
	s_delay_alu instid0(VALU_DEP_1) | instskip(NEXT) | instid1(VALU_DEP_1)
	v_and_b32_e32 v7, 0x7f800000, v6
	v_cmp_ne_u32_e64 s1, 0x7f800000, v7
	s_delay_alu instid0(VALU_DEP_1) | instskip(NEXT) | instid1(SALU_CYCLE_1)
	s_and_saveexec_b32 s11, s1
	s_xor_b32 s1, exec_lo, s11
; %bb.2416:                             ;   in Loop: Header=BB432_1571 Depth=1
	v_bfe_u32 v7, v6, 16, 1
	s_delay_alu instid0(VALU_DEP_1)
	v_add3_u32 v167, v6, v7, 0x7fff
                                        ; implicit-def: $vgpr6
; %bb.2417:                             ;   in Loop: Header=BB432_1571 Depth=1
	s_and_not1_saveexec_b32 s11, s1
; %bb.2418:                             ;   in Loop: Header=BB432_1571 Depth=1
	v_and_b32_e32 v7, 0xffff, v6
	v_or_b32_e32 v9, 0x10000, v6
	s_delay_alu instid0(VALU_DEP_2) | instskip(NEXT) | instid1(VALU_DEP_1)
	v_cmp_eq_u32_e64 s1, 0, v7
	v_cndmask_b32_e64 v167, v9, v6, s1
; %bb.2419:                             ;   in Loop: Header=BB432_1571 Depth=1
	s_or_b32 exec_lo, exec_lo, s11
	v_mov_b32_e32 v6, 0
	s_mov_b32 s11, exec_lo
	v_cmpx_lt_u32_e32 0xffffff, v2
	s_cbranch_execz .LBB432_2427
; %bb.2420:                             ;   in Loop: Header=BB432_1571 Depth=1
	v_lshrrev_b32_e32 v176, 24, v2
	v_bfrev_b32_e32 v6, 1
	s_mov_b32 s12, exec_lo
	s_delay_alu instid0(VALU_DEP_2)
	v_cmpx_ne_u32_e32 0x80, v176
	s_cbranch_execz .LBB432_2426
; %bb.2421:                             ;   in Loop: Header=BB432_1571 Depth=1
	v_bfe_u32 v7, v2, 24, 7
	v_mov_b32_e32 v6, 0x7f800001
	s_mov_b32 s13, exec_lo
	s_delay_alu instid0(VALU_DEP_2)
	v_cmpx_ne_u32_e32 0x7f, v7
	s_cbranch_execz .LBB432_2425
; %bb.2422:                             ;   in Loop: Header=BB432_1571 Depth=1
	v_and_b32_e32 v9, 7, v176
	v_lshrrev_b32_e32 v177, 3, v7
	v_cmp_gt_u32_e64 s1, 8, v7
	s_delay_alu instid0(VALU_DEP_3) | instskip(NEXT) | instid1(VALU_DEP_2)
	v_dual_mov_b32 v6, v9 :: v_dual_mov_b32 v7, v10
	s_and_saveexec_b32 s15, s1
; %bb.2423:                             ;   in Loop: Header=BB432_1571 Depth=1
	v_clz_i32_u32_e32 v6, v9
	s_delay_alu instid0(VALU_DEP_1) | instskip(NEXT) | instid1(VALU_DEP_1)
	v_min_u32_e32 v177, 32, v6
	v_subrev_nc_u32_e32 v6, 28, v177
	v_sub_nc_u32_e32 v177, 29, v177
	s_delay_alu instid0(VALU_DEP_2) | instskip(NEXT) | instid1(VALU_DEP_1)
	v_lshlrev_b64 v[6:7], v6, v[9:10]
	v_and_b32_e32 v6, 7, v6
; %bb.2424:                             ;   in Loop: Header=BB432_1571 Depth=1
	s_or_b32 exec_lo, exec_lo, s15
	v_lshlrev_b32_e32 v7, 24, v176
	s_delay_alu instid0(VALU_DEP_2) | instskip(SKIP_1) | instid1(VALU_DEP_3)
	v_lshlrev_b32_e32 v6, 20, v6
	v_lshl_add_u32 v9, v177, 23, 0x3c000000
	v_and_b32_e32 v7, 0x80000000, v7
	s_delay_alu instid0(VALU_DEP_1)
	v_or3_b32 v6, v6, v7, v9
.LBB432_2425:                           ;   in Loop: Header=BB432_1571 Depth=1
	s_or_b32 exec_lo, exec_lo, s13
.LBB432_2426:                           ;   in Loop: Header=BB432_1571 Depth=1
	s_delay_alu instid0(SALU_CYCLE_1)
	s_or_b32 exec_lo, exec_lo, s12
.LBB432_2427:                           ;   in Loop: Header=BB432_1571 Depth=1
	s_delay_alu instid0(SALU_CYCLE_1) | instskip(NEXT) | instid1(VALU_DEP_1)
	s_or_b32 exec_lo, exec_lo, s11
	v_mul_f32_e32 v6, v26, v6
                                        ; implicit-def: $vgpr176
	s_delay_alu instid0(VALU_DEP_1) | instskip(NEXT) | instid1(VALU_DEP_1)
	v_and_b32_e32 v7, 0x7f800000, v6
	v_cmp_ne_u32_e64 s1, 0x7f800000, v7
	s_delay_alu instid0(VALU_DEP_1) | instskip(NEXT) | instid1(SALU_CYCLE_1)
	s_and_saveexec_b32 s11, s1
	s_xor_b32 s1, exec_lo, s11
; %bb.2428:                             ;   in Loop: Header=BB432_1571 Depth=1
	v_bfe_u32 v7, v6, 16, 1
	s_delay_alu instid0(VALU_DEP_1)
	v_add3_u32 v176, v6, v7, 0x7fff
                                        ; implicit-def: $vgpr6
; %bb.2429:                             ;   in Loop: Header=BB432_1571 Depth=1
	s_and_not1_saveexec_b32 s11, s1
; %bb.2430:                             ;   in Loop: Header=BB432_1571 Depth=1
	v_and_b32_e32 v7, 0xffff, v6
	v_or_b32_e32 v9, 0x10000, v6
	s_delay_alu instid0(VALU_DEP_2) | instskip(NEXT) | instid1(VALU_DEP_1)
	v_cmp_eq_u32_e64 s1, 0, v7
	v_cndmask_b32_e64 v176, v9, v6, s1
; %bb.2431:                             ;   in Loop: Header=BB432_1571 Depth=1
	s_or_b32 exec_lo, exec_lo, s11
	v_dual_mov_b32 v6, 0 :: v_dual_and_b32 v7, 0xff, v3
	v_mov_b32_e32 v9, v3
	s_mov_b32 s11, exec_lo
	s_delay_alu instid0(VALU_DEP_2)
	v_cmpx_ne_u16_e32 0, v7
	s_cbranch_execz .LBB432_2439
; %bb.2432:                             ;   in Loop: Header=BB432_1571 Depth=1
	v_bfrev_b32_e32 v6, 1
	s_mov_b32 s12, exec_lo
	v_cmpx_ne_u16_e32 0x80, v7
	s_cbranch_execz .LBB432_2438
; %bb.2433:                             ;   in Loop: Header=BB432_1571 Depth=1
	v_and_b32_e32 v7, 0x7f, v3
	v_mov_b32_e32 v6, 0x7f800001
	s_mov_b32 s13, exec_lo
	s_delay_alu instid0(VALU_DEP_2)
	v_cmpx_ne_u32_e32 0x7f, v7
	s_cbranch_execz .LBB432_2437
; %bb.2434:                             ;   in Loop: Header=BB432_1571 Depth=1
	v_lshrrev_b32_e32 v177, 3, v7
	v_cmp_gt_u32_e64 s1, 8, v7
	v_dual_mov_b32 v6, v9 :: v_dual_mov_b32 v7, v10
	s_delay_alu instid0(VALU_DEP_2)
	s_and_saveexec_b32 s15, s1
; %bb.2435:                             ;   in Loop: Header=BB432_1571 Depth=1
	v_and_b32_e32 v6, 7, v3
	s_delay_alu instid0(VALU_DEP_1) | instskip(NEXT) | instid1(VALU_DEP_1)
	v_clz_i32_u32_e32 v6, v6
	v_min_u32_e32 v177, 32, v6
	s_delay_alu instid0(VALU_DEP_1) | instskip(SKIP_1) | instid1(VALU_DEP_2)
	v_subrev_nc_u32_e32 v6, 28, v177
	v_sub_nc_u32_e32 v177, 29, v177
	v_lshlrev_b64 v[6:7], v6, v[9:10]
; %bb.2436:                             ;   in Loop: Header=BB432_1571 Depth=1
	s_or_b32 exec_lo, exec_lo, s15
	s_delay_alu instid0(VALU_DEP_1) | instskip(SKIP_2) | instid1(VALU_DEP_3)
	v_lshlrev_b32_e32 v6, 20, v6
	v_lshlrev_b32_e32 v7, 24, v9
	v_lshl_add_u32 v177, v177, 23, 0x3c000000
	v_and_b32_e32 v6, 0x700000, v6
	s_delay_alu instid0(VALU_DEP_3) | instskip(NEXT) | instid1(VALU_DEP_1)
	v_and_b32_e32 v7, 0x80000000, v7
	v_or3_b32 v6, v6, v7, v177
.LBB432_2437:                           ;   in Loop: Header=BB432_1571 Depth=1
	s_or_b32 exec_lo, exec_lo, s13
.LBB432_2438:                           ;   in Loop: Header=BB432_1571 Depth=1
	s_delay_alu instid0(SALU_CYCLE_1)
	s_or_b32 exec_lo, exec_lo, s12
.LBB432_2439:                           ;   in Loop: Header=BB432_1571 Depth=1
	s_delay_alu instid0(SALU_CYCLE_1) | instskip(NEXT) | instid1(VALU_DEP_1)
	s_or_b32 exec_lo, exec_lo, s11
	v_mul_f32_e32 v6, v26, v6
                                        ; implicit-def: $vgpr177
	s_delay_alu instid0(VALU_DEP_1) | instskip(NEXT) | instid1(VALU_DEP_1)
	v_and_b32_e32 v7, 0x7f800000, v6
	v_cmp_ne_u32_e64 s1, 0x7f800000, v7
	s_delay_alu instid0(VALU_DEP_1) | instskip(NEXT) | instid1(SALU_CYCLE_1)
	s_and_saveexec_b32 s11, s1
	s_xor_b32 s1, exec_lo, s11
; %bb.2440:                             ;   in Loop: Header=BB432_1571 Depth=1
	v_bfe_u32 v7, v6, 16, 1
	s_delay_alu instid0(VALU_DEP_1)
	v_add3_u32 v177, v6, v7, 0x7fff
                                        ; implicit-def: $vgpr6
; %bb.2441:                             ;   in Loop: Header=BB432_1571 Depth=1
	s_and_not1_saveexec_b32 s11, s1
; %bb.2442:                             ;   in Loop: Header=BB432_1571 Depth=1
	v_and_b32_e32 v7, 0xffff, v6
	v_or_b32_e32 v177, 0x10000, v6
	s_delay_alu instid0(VALU_DEP_2) | instskip(NEXT) | instid1(VALU_DEP_1)
	v_cmp_eq_u32_e64 s1, 0, v7
	v_cndmask_b32_e64 v177, v177, v6, s1
; %bb.2443:                             ;   in Loop: Header=BB432_1571 Depth=1
	s_or_b32 exec_lo, exec_lo, s11
	v_lshrrev_b16 v7, 8, v9
	v_mov_b32_e32 v6, 0
	s_mov_b32 s11, exec_lo
	s_delay_alu instid0(VALU_DEP_2)
	v_cmpx_ne_u16_e32 0, v7
	s_cbranch_execz .LBB432_2451
; %bb.2444:                             ;   in Loop: Header=BB432_1571 Depth=1
	v_bfrev_b32_e32 v6, 1
	s_mov_b32 s12, exec_lo
	v_cmpx_ne_u16_e32 0x80, v7
	s_cbranch_execz .LBB432_2450
; %bb.2445:                             ;   in Loop: Header=BB432_1571 Depth=1
	v_and_b32_e32 v7, 0xffff, v7
	v_mov_b32_e32 v6, 0x7f800001
	s_mov_b32 s13, exec_lo
	s_delay_alu instid0(VALU_DEP_2) | instskip(NEXT) | instid1(VALU_DEP_1)
	v_and_b32_e32 v179, 0x7f, v7
	v_cmpx_ne_u32_e32 0x7f, v179
	s_cbranch_execz .LBB432_2449
; %bb.2446:                             ;   in Loop: Header=BB432_1571 Depth=1
	v_dual_mov_b32 v7, v10 :: v_dual_and_b32 v6, 7, v7
	v_lshrrev_b32_e32 v178, 3, v179
	s_mov_b32 s15, exec_lo
	v_cmpx_gt_u32_e32 8, v179
; %bb.2447:                             ;   in Loop: Header=BB432_1571 Depth=1
	s_delay_alu instid0(VALU_DEP_3) | instskip(NEXT) | instid1(VALU_DEP_1)
	v_clz_i32_u32_e32 v178, v6
	v_min_u32_e32 v178, 32, v178
	s_delay_alu instid0(VALU_DEP_1) | instskip(SKIP_1) | instid1(VALU_DEP_2)
	v_subrev_nc_u32_e32 v179, 28, v178
	v_sub_nc_u32_e32 v178, 29, v178
	v_lshlrev_b64 v[6:7], v179, v[6:7]
	s_delay_alu instid0(VALU_DEP_1)
	v_and_b32_e32 v6, 7, v6
; %bb.2448:                             ;   in Loop: Header=BB432_1571 Depth=1
	s_or_b32 exec_lo, exec_lo, s15
	v_lshlrev_b32_e32 v7, 16, v9
	s_delay_alu instid0(VALU_DEP_2) | instskip(SKIP_1) | instid1(VALU_DEP_3)
	v_lshlrev_b32_e32 v6, 20, v6
	v_lshl_add_u32 v9, v178, 23, 0x3c000000
	v_and_b32_e32 v7, 0x80000000, v7
	s_delay_alu instid0(VALU_DEP_1)
	v_or3_b32 v6, v6, v7, v9
.LBB432_2449:                           ;   in Loop: Header=BB432_1571 Depth=1
	s_or_b32 exec_lo, exec_lo, s13
.LBB432_2450:                           ;   in Loop: Header=BB432_1571 Depth=1
	s_delay_alu instid0(SALU_CYCLE_1)
	s_or_b32 exec_lo, exec_lo, s12
.LBB432_2451:                           ;   in Loop: Header=BB432_1571 Depth=1
	s_delay_alu instid0(SALU_CYCLE_1) | instskip(NEXT) | instid1(VALU_DEP_1)
	s_or_b32 exec_lo, exec_lo, s11
	v_mul_f32_e32 v6, v26, v6
                                        ; implicit-def: $vgpr178
	s_delay_alu instid0(VALU_DEP_1) | instskip(NEXT) | instid1(VALU_DEP_1)
	v_and_b32_e32 v7, 0x7f800000, v6
	v_cmp_ne_u32_e64 s1, 0x7f800000, v7
	s_delay_alu instid0(VALU_DEP_1) | instskip(NEXT) | instid1(SALU_CYCLE_1)
	s_and_saveexec_b32 s11, s1
	s_xor_b32 s1, exec_lo, s11
; %bb.2452:                             ;   in Loop: Header=BB432_1571 Depth=1
	v_bfe_u32 v7, v6, 16, 1
	s_delay_alu instid0(VALU_DEP_1)
	v_add3_u32 v178, v6, v7, 0x7fff
                                        ; implicit-def: $vgpr6
; %bb.2453:                             ;   in Loop: Header=BB432_1571 Depth=1
	s_and_not1_saveexec_b32 s11, s1
; %bb.2454:                             ;   in Loop: Header=BB432_1571 Depth=1
	v_and_b32_e32 v7, 0xffff, v6
	v_or_b32_e32 v9, 0x10000, v6
	s_delay_alu instid0(VALU_DEP_2) | instskip(NEXT) | instid1(VALU_DEP_1)
	v_cmp_eq_u32_e64 s1, 0, v7
	v_cndmask_b32_e64 v178, v9, v6, s1
; %bb.2455:                             ;   in Loop: Header=BB432_1571 Depth=1
	s_or_b32 exec_lo, exec_lo, s11
	v_lshrrev_b32_e32 v179, 16, v3
	s_mov_b32 s11, exec_lo
	s_delay_alu instid0(VALU_DEP_1) | instskip(NEXT) | instid1(VALU_DEP_1)
	v_dual_mov_b32 v6, 0 :: v_dual_and_b32 v7, 0xff, v179
	v_cmpx_ne_u16_e32 0, v7
	s_cbranch_execz .LBB432_2463
; %bb.2456:                             ;   in Loop: Header=BB432_1571 Depth=1
	v_bfrev_b32_e32 v6, 1
	s_mov_b32 s12, exec_lo
	v_cmpx_ne_u16_e32 0x80, v7
	s_cbranch_execz .LBB432_2462
; %bb.2457:                             ;   in Loop: Header=BB432_1571 Depth=1
	v_bfe_u32 v7, v3, 16, 7
	v_mov_b32_e32 v6, 0x7f800001
	s_mov_b32 s13, exec_lo
	s_delay_alu instid0(VALU_DEP_2)
	v_cmpx_ne_u32_e32 0x7f, v7
	s_cbranch_execz .LBB432_2461
; %bb.2458:                             ;   in Loop: Header=BB432_1571 Depth=1
	v_and_b32_e32 v9, 7, v179
	v_lshrrev_b32_e32 v180, 3, v7
	v_cmp_gt_u32_e64 s1, 8, v7
	s_delay_alu instid0(VALU_DEP_3) | instskip(NEXT) | instid1(VALU_DEP_2)
	v_dual_mov_b32 v6, v9 :: v_dual_mov_b32 v7, v10
	s_and_saveexec_b32 s15, s1
; %bb.2459:                             ;   in Loop: Header=BB432_1571 Depth=1
	v_clz_i32_u32_e32 v6, v9
	s_delay_alu instid0(VALU_DEP_1) | instskip(NEXT) | instid1(VALU_DEP_1)
	v_min_u32_e32 v180, 32, v6
	v_subrev_nc_u32_e32 v6, 28, v180
	v_sub_nc_u32_e32 v180, 29, v180
	s_delay_alu instid0(VALU_DEP_2) | instskip(NEXT) | instid1(VALU_DEP_1)
	v_lshlrev_b64 v[6:7], v6, v[9:10]
	v_and_b32_e32 v6, 7, v6
; %bb.2460:                             ;   in Loop: Header=BB432_1571 Depth=1
	s_or_b32 exec_lo, exec_lo, s15
	v_lshlrev_b32_e32 v7, 24, v179
	s_delay_alu instid0(VALU_DEP_2) | instskip(SKIP_1) | instid1(VALU_DEP_3)
	v_lshlrev_b32_e32 v6, 20, v6
	v_lshl_add_u32 v9, v180, 23, 0x3c000000
	v_and_b32_e32 v7, 0x80000000, v7
	s_delay_alu instid0(VALU_DEP_1)
	v_or3_b32 v6, v6, v7, v9
.LBB432_2461:                           ;   in Loop: Header=BB432_1571 Depth=1
	s_or_b32 exec_lo, exec_lo, s13
.LBB432_2462:                           ;   in Loop: Header=BB432_1571 Depth=1
	s_delay_alu instid0(SALU_CYCLE_1)
	s_or_b32 exec_lo, exec_lo, s12
.LBB432_2463:                           ;   in Loop: Header=BB432_1571 Depth=1
	s_delay_alu instid0(SALU_CYCLE_1) | instskip(NEXT) | instid1(VALU_DEP_1)
	s_or_b32 exec_lo, exec_lo, s11
	v_mul_f32_e32 v6, v26, v6
                                        ; implicit-def: $vgpr179
	s_delay_alu instid0(VALU_DEP_1) | instskip(NEXT) | instid1(VALU_DEP_1)
	v_and_b32_e32 v7, 0x7f800000, v6
	v_cmp_ne_u32_e64 s1, 0x7f800000, v7
	s_delay_alu instid0(VALU_DEP_1) | instskip(NEXT) | instid1(SALU_CYCLE_1)
	s_and_saveexec_b32 s11, s1
	s_xor_b32 s1, exec_lo, s11
; %bb.2464:                             ;   in Loop: Header=BB432_1571 Depth=1
	v_bfe_u32 v7, v6, 16, 1
	s_delay_alu instid0(VALU_DEP_1)
	v_add3_u32 v179, v6, v7, 0x7fff
                                        ; implicit-def: $vgpr6
; %bb.2465:                             ;   in Loop: Header=BB432_1571 Depth=1
	s_and_not1_saveexec_b32 s11, s1
; %bb.2466:                             ;   in Loop: Header=BB432_1571 Depth=1
	v_and_b32_e32 v7, 0xffff, v6
	v_or_b32_e32 v9, 0x10000, v6
	s_delay_alu instid0(VALU_DEP_2) | instskip(NEXT) | instid1(VALU_DEP_1)
	v_cmp_eq_u32_e64 s1, 0, v7
	v_cndmask_b32_e64 v179, v9, v6, s1
; %bb.2467:                             ;   in Loop: Header=BB432_1571 Depth=1
	s_or_b32 exec_lo, exec_lo, s11
	v_cmp_lt_u64_e64 s1, s[2:3], v[2:3]
	v_mov_b32_e32 v2, 0
	s_delay_alu instid0(VALU_DEP_2)
	s_and_saveexec_b32 s11, s1
	s_cbranch_execz .LBB432_2475
; %bb.2468:                             ;   in Loop: Header=BB432_1571 Depth=1
	v_lshrrev_b32_e32 v6, 24, v3
	v_bfrev_b32_e32 v2, 1
	s_mov_b32 s12, exec_lo
	s_delay_alu instid0(VALU_DEP_2)
	v_cmpx_ne_u32_e32 0x80, v6
	s_cbranch_execz .LBB432_2474
; %bb.2469:                             ;   in Loop: Header=BB432_1571 Depth=1
	v_bfe_u32 v3, v3, 24, 7
	v_mov_b32_e32 v2, 0x7f800001
	s_mov_b32 s13, exec_lo
	s_delay_alu instid0(VALU_DEP_2)
	v_cmpx_ne_u32_e32 0x7f, v3
	s_cbranch_execz .LBB432_2473
; %bb.2470:                             ;   in Loop: Header=BB432_1571 Depth=1
	v_and_b32_e32 v9, 7, v6
	v_lshrrev_b32_e32 v7, 3, v3
	v_cmp_gt_u32_e64 s1, 8, v3
	s_delay_alu instid0(VALU_DEP_3) | instskip(NEXT) | instid1(VALU_DEP_2)
	v_dual_mov_b32 v2, v9 :: v_dual_mov_b32 v3, v10
	s_and_saveexec_b32 s15, s1
; %bb.2471:                             ;   in Loop: Header=BB432_1571 Depth=1
	v_clz_i32_u32_e32 v2, v9
	s_delay_alu instid0(VALU_DEP_1) | instskip(NEXT) | instid1(VALU_DEP_1)
	v_min_u32_e32 v7, 32, v2
	v_subrev_nc_u32_e32 v2, 28, v7
	v_sub_nc_u32_e32 v7, 29, v7
	s_delay_alu instid0(VALU_DEP_2) | instskip(NEXT) | instid1(VALU_DEP_1)
	v_lshlrev_b64 v[2:3], v2, v[9:10]
	v_and_b32_e32 v2, 7, v2
; %bb.2472:                             ;   in Loop: Header=BB432_1571 Depth=1
	s_or_b32 exec_lo, exec_lo, s15
	v_lshlrev_b32_e32 v3, 24, v6
	s_delay_alu instid0(VALU_DEP_2) | instskip(SKIP_1) | instid1(VALU_DEP_3)
	v_lshlrev_b32_e32 v2, 20, v2
	v_lshl_add_u32 v6, v7, 23, 0x3c000000
	v_and_b32_e32 v3, 0x80000000, v3
	s_delay_alu instid0(VALU_DEP_1)
	v_or3_b32 v2, v2, v3, v6
.LBB432_2473:                           ;   in Loop: Header=BB432_1571 Depth=1
	s_or_b32 exec_lo, exec_lo, s13
.LBB432_2474:                           ;   in Loop: Header=BB432_1571 Depth=1
	s_delay_alu instid0(SALU_CYCLE_1)
	s_or_b32 exec_lo, exec_lo, s12
.LBB432_2475:                           ;   in Loop: Header=BB432_1571 Depth=1
	s_delay_alu instid0(SALU_CYCLE_1) | instskip(NEXT) | instid1(VALU_DEP_1)
	s_or_b32 exec_lo, exec_lo, s11
	v_mul_f32_e32 v3, v26, v2
	s_delay_alu instid0(VALU_DEP_1) | instskip(NEXT) | instid1(VALU_DEP_1)
	v_and_b32_e32 v2, 0x7f800000, v3
	v_cmp_ne_u32_e64 s1, 0x7f800000, v2
                                        ; implicit-def: $vgpr2
	s_delay_alu instid0(VALU_DEP_1) | instskip(NEXT) | instid1(SALU_CYCLE_1)
	s_and_saveexec_b32 s11, s1
	s_xor_b32 s1, exec_lo, s11
; %bb.2476:                             ;   in Loop: Header=BB432_1571 Depth=1
	v_bfe_u32 v2, v3, 16, 1
	s_delay_alu instid0(VALU_DEP_1)
	v_add3_u32 v2, v3, v2, 0x7fff
                                        ; implicit-def: $vgpr3
; %bb.2477:                             ;   in Loop: Header=BB432_1571 Depth=1
	s_and_not1_saveexec_b32 s11, s1
; %bb.2478:                             ;   in Loop: Header=BB432_1571 Depth=1
	v_and_b32_e32 v2, 0xffff, v3
	v_or_b32_e32 v6, 0x10000, v3
	s_delay_alu instid0(VALU_DEP_2) | instskip(NEXT) | instid1(VALU_DEP_1)
	v_cmp_eq_u32_e64 s1, 0, v2
	v_cndmask_b32_e64 v2, v6, v3, s1
; %bb.2479:                             ;   in Loop: Header=BB432_1571 Depth=1
	s_or_b32 exec_lo, exec_lo, s11
	v_lshrrev_b32_e32 v6, 16, v178
	v_lshrrev_b32_e32 v7, 16, v177
	;; [unrolled: 1-line block ×8, first 2 shown]
	s_and_saveexec_b32 s11, vcc_lo
	s_cbranch_execz .LBB432_2481
; %bb.2480:                             ;   in Loop: Header=BB432_1571 Depth=1
	v_cmp_lt_i32_e64 s1, v68, v35
	s_delay_alu instid0(VALU_DEP_1) | instskip(SKIP_1) | instid1(VALU_DEP_1)
	v_cndmask_b32_e64 v33, 0, v33, s1
	v_cmp_lt_i32_e64 s1, v82, v35
	v_cndmask_b32_e64 v167, 0, v167, s1
	v_cmp_lt_i32_e64 s1, v81, v35
	s_delay_alu instid0(VALU_DEP_1) | instskip(SKIP_1) | instid1(VALU_DEP_1)
	v_cndmask_b32_e64 v176, 0, v176, s1
	v_cmp_lt_i32_e64 s1, v80, v35
	v_cndmask_b32_e64 v9, 0, v9, s1
	v_cmp_lt_i32_e64 s1, v71, v35
	s_delay_alu instid0(VALU_DEP_1) | instskip(SKIP_1) | instid1(VALU_DEP_1)
	v_cndmask_b32_e64 v7, 0, v7, s1
	v_cmp_lt_i32_e64 s1, v70, v35
	v_cndmask_b32_e64 v6, 0, v6, s1
	v_cmp_lt_i32_e64 s1, v69, v35
	s_delay_alu instid0(VALU_DEP_1) | instskip(SKIP_1) | instid1(VALU_DEP_1)
	v_cndmask_b32_e64 v3, 0, v3, s1
	v_cmp_lt_i32_e64 s1, v15, v35
	v_cndmask_b32_e64 v2, 0, v2, s1
.LBB432_2481:                           ;   in Loop: Header=BB432_1571 Depth=1
	s_or_b32 exec_lo, exec_lo, s11
	v_lshlrev_b32_e32 v33, 16, v33
	s_delay_alu instid0(VALU_DEP_1) | instskip(NEXT) | instid1(VALU_DEP_1)
	v_mul_f32_e32 v33, v83, v33
	v_and_b32_e32 v166, 0x7f800000, v33
	s_delay_alu instid0(VALU_DEP_1) | instskip(NEXT) | instid1(VALU_DEP_1)
	v_cmp_ne_u32_e64 s1, 0x7f800000, v166
                                        ; implicit-def: $vgpr166
	s_and_saveexec_b32 s11, s1
	s_delay_alu instid0(SALU_CYCLE_1)
	s_xor_b32 s1, exec_lo, s11
; %bb.2482:                             ;   in Loop: Header=BB432_1571 Depth=1
	v_bfe_u32 v166, v33, 16, 1
	s_delay_alu instid0(VALU_DEP_1)
	v_add3_u32 v166, v33, v166, 0x7fff
                                        ; implicit-def: $vgpr33
; %bb.2483:                             ;   in Loop: Header=BB432_1571 Depth=1
	s_and_not1_saveexec_b32 s11, s1
; %bb.2484:                             ;   in Loop: Header=BB432_1571 Depth=1
	v_and_b32_e32 v166, 0xffff, v33
	v_or_b32_e32 v177, 0x10000, v33
	s_delay_alu instid0(VALU_DEP_2) | instskip(NEXT) | instid1(VALU_DEP_1)
	v_cmp_eq_u32_e64 s1, 0, v166
	v_cndmask_b32_e64 v166, v177, v33, s1
; %bb.2485:                             ;   in Loop: Header=BB432_1571 Depth=1
	s_or_b32 exec_lo, exec_lo, s11
	v_lshlrev_b32_e32 v33, 16, v167
	s_delay_alu instid0(VALU_DEP_1) | instskip(NEXT) | instid1(VALU_DEP_1)
	v_mul_f32_e32 v33, v84, v33
	v_and_b32_e32 v167, 0x7f800000, v33
	s_delay_alu instid0(VALU_DEP_1) | instskip(NEXT) | instid1(VALU_DEP_1)
	v_cmp_ne_u32_e64 s1, 0x7f800000, v167
                                        ; implicit-def: $vgpr167
	s_and_saveexec_b32 s11, s1
	s_delay_alu instid0(SALU_CYCLE_1)
	s_xor_b32 s1, exec_lo, s11
; %bb.2486:                             ;   in Loop: Header=BB432_1571 Depth=1
	v_bfe_u32 v167, v33, 16, 1
	s_delay_alu instid0(VALU_DEP_1)
	v_add3_u32 v167, v33, v167, 0x7fff
                                        ; implicit-def: $vgpr33
; %bb.2487:                             ;   in Loop: Header=BB432_1571 Depth=1
	s_and_not1_saveexec_b32 s11, s1
; %bb.2488:                             ;   in Loop: Header=BB432_1571 Depth=1
	v_and_b32_e32 v167, 0xffff, v33
	v_or_b32_e32 v177, 0x10000, v33
	s_delay_alu instid0(VALU_DEP_2) | instskip(NEXT) | instid1(VALU_DEP_1)
	v_cmp_eq_u32_e64 s1, 0, v167
	v_cndmask_b32_e64 v167, v177, v33, s1
; %bb.2489:                             ;   in Loop: Header=BB432_1571 Depth=1
	s_or_b32 exec_lo, exec_lo, s11
	v_lshlrev_b32_e32 v33, 16, v176
	s_delay_alu instid0(VALU_DEP_1) | instskip(NEXT) | instid1(VALU_DEP_1)
	v_mul_f32_e32 v33, v85, v33
	v_and_b32_e32 v176, 0x7f800000, v33
	s_delay_alu instid0(VALU_DEP_1) | instskip(NEXT) | instid1(VALU_DEP_1)
	v_cmp_ne_u32_e64 s1, 0x7f800000, v176
                                        ; implicit-def: $vgpr176
	s_and_saveexec_b32 s11, s1
	s_delay_alu instid0(SALU_CYCLE_1)
	s_xor_b32 s1, exec_lo, s11
; %bb.2490:                             ;   in Loop: Header=BB432_1571 Depth=1
	v_bfe_u32 v176, v33, 16, 1
	s_delay_alu instid0(VALU_DEP_1)
	v_add3_u32 v176, v33, v176, 0x7fff
                                        ; implicit-def: $vgpr33
; %bb.2491:                             ;   in Loop: Header=BB432_1571 Depth=1
	s_and_not1_saveexec_b32 s11, s1
; %bb.2492:                             ;   in Loop: Header=BB432_1571 Depth=1
	v_and_b32_e32 v176, 0xffff, v33
	v_or_b32_e32 v177, 0x10000, v33
	s_delay_alu instid0(VALU_DEP_2) | instskip(NEXT) | instid1(VALU_DEP_1)
	v_cmp_eq_u32_e64 s1, 0, v176
	v_cndmask_b32_e64 v176, v177, v33, s1
; %bb.2493:                             ;   in Loop: Header=BB432_1571 Depth=1
	s_or_b32 exec_lo, exec_lo, s11
	v_lshlrev_b32_e32 v9, 16, v9
                                        ; implicit-def: $vgpr177
	s_delay_alu instid0(VALU_DEP_1) | instskip(NEXT) | instid1(VALU_DEP_1)
	v_mul_f32_e32 v9, v86, v9
	v_and_b32_e32 v33, 0x7f800000, v9
	s_delay_alu instid0(VALU_DEP_1) | instskip(NEXT) | instid1(VALU_DEP_1)
	v_cmp_ne_u32_e64 s1, 0x7f800000, v33
	s_and_saveexec_b32 s11, s1
	s_delay_alu instid0(SALU_CYCLE_1)
	s_xor_b32 s1, exec_lo, s11
; %bb.2494:                             ;   in Loop: Header=BB432_1571 Depth=1
	v_bfe_u32 v33, v9, 16, 1
	s_delay_alu instid0(VALU_DEP_1)
	v_add3_u32 v177, v9, v33, 0x7fff
                                        ; implicit-def: $vgpr9
; %bb.2495:                             ;   in Loop: Header=BB432_1571 Depth=1
	s_and_not1_saveexec_b32 s11, s1
; %bb.2496:                             ;   in Loop: Header=BB432_1571 Depth=1
	v_and_b32_e32 v33, 0xffff, v9
	v_or_b32_e32 v177, 0x10000, v9
	s_delay_alu instid0(VALU_DEP_2) | instskip(NEXT) | instid1(VALU_DEP_1)
	v_cmp_eq_u32_e64 s1, 0, v33
	v_cndmask_b32_e64 v177, v177, v9, s1
; %bb.2497:                             ;   in Loop: Header=BB432_1571 Depth=1
	s_or_b32 exec_lo, exec_lo, s11
	v_lshlrev_b32_e32 v7, 16, v7
                                        ; implicit-def: $vgpr178
	s_delay_alu instid0(VALU_DEP_1) | instskip(NEXT) | instid1(VALU_DEP_1)
	v_mul_f32_e32 v7, v87, v7
	v_and_b32_e32 v9, 0x7f800000, v7
	s_delay_alu instid0(VALU_DEP_1) | instskip(NEXT) | instid1(VALU_DEP_1)
	v_cmp_ne_u32_e64 s1, 0x7f800000, v9
	s_and_saveexec_b32 s11, s1
	s_delay_alu instid0(SALU_CYCLE_1)
	s_xor_b32 s1, exec_lo, s11
; %bb.2498:                             ;   in Loop: Header=BB432_1571 Depth=1
	v_bfe_u32 v9, v7, 16, 1
	s_delay_alu instid0(VALU_DEP_1)
	v_add3_u32 v178, v7, v9, 0x7fff
                                        ; implicit-def: $vgpr7
; %bb.2499:                             ;   in Loop: Header=BB432_1571 Depth=1
	s_and_not1_saveexec_b32 s11, s1
; %bb.2500:                             ;   in Loop: Header=BB432_1571 Depth=1
	v_and_b32_e32 v9, 0xffff, v7
	v_or_b32_e32 v33, 0x10000, v7
	s_delay_alu instid0(VALU_DEP_2) | instskip(NEXT) | instid1(VALU_DEP_1)
	v_cmp_eq_u32_e64 s1, 0, v9
	v_cndmask_b32_e64 v178, v33, v7, s1
; %bb.2501:                             ;   in Loop: Header=BB432_1571 Depth=1
	s_or_b32 exec_lo, exec_lo, s11
	v_lshlrev_b32_e32 v6, 16, v6
                                        ; implicit-def: $vgpr33
	s_delay_alu instid0(VALU_DEP_1) | instskip(NEXT) | instid1(VALU_DEP_1)
	v_mul_f32_e32 v6, v96, v6
	v_and_b32_e32 v7, 0x7f800000, v6
	s_delay_alu instid0(VALU_DEP_1) | instskip(NEXT) | instid1(VALU_DEP_1)
	v_cmp_ne_u32_e64 s1, 0x7f800000, v7
	s_and_saveexec_b32 s11, s1
	s_delay_alu instid0(SALU_CYCLE_1)
	s_xor_b32 s1, exec_lo, s11
; %bb.2502:                             ;   in Loop: Header=BB432_1571 Depth=1
	v_bfe_u32 v7, v6, 16, 1
	s_delay_alu instid0(VALU_DEP_1)
	v_add3_u32 v33, v6, v7, 0x7fff
                                        ; implicit-def: $vgpr6
; %bb.2503:                             ;   in Loop: Header=BB432_1571 Depth=1
	s_and_not1_saveexec_b32 s11, s1
; %bb.2504:                             ;   in Loop: Header=BB432_1571 Depth=1
	v_and_b32_e32 v7, 0xffff, v6
	v_or_b32_e32 v9, 0x10000, v6
	s_delay_alu instid0(VALU_DEP_2) | instskip(NEXT) | instid1(VALU_DEP_1)
	v_cmp_eq_u32_e64 s1, 0, v7
	v_cndmask_b32_e64 v33, v9, v6, s1
; %bb.2505:                             ;   in Loop: Header=BB432_1571 Depth=1
	s_or_b32 exec_lo, exec_lo, s11
	v_lshlrev_b32_e32 v3, 16, v3
                                        ; implicit-def: $vgpr179
	s_delay_alu instid0(VALU_DEP_1) | instskip(NEXT) | instid1(VALU_DEP_1)
	v_mul_f32_e32 v3, v97, v3
	v_and_b32_e32 v6, 0x7f800000, v3
	s_delay_alu instid0(VALU_DEP_1) | instskip(NEXT) | instid1(VALU_DEP_1)
	v_cmp_ne_u32_e64 s1, 0x7f800000, v6
	s_and_saveexec_b32 s11, s1
	s_delay_alu instid0(SALU_CYCLE_1)
	s_xor_b32 s1, exec_lo, s11
; %bb.2506:                             ;   in Loop: Header=BB432_1571 Depth=1
	v_bfe_u32 v6, v3, 16, 1
	s_delay_alu instid0(VALU_DEP_1)
	v_add3_u32 v179, v3, v6, 0x7fff
                                        ; implicit-def: $vgpr3
; %bb.2507:                             ;   in Loop: Header=BB432_1571 Depth=1
	s_and_not1_saveexec_b32 s11, s1
; %bb.2508:                             ;   in Loop: Header=BB432_1571 Depth=1
	v_and_b32_e32 v6, 0xffff, v3
	v_or_b32_e32 v7, 0x10000, v3
	s_delay_alu instid0(VALU_DEP_2) | instskip(NEXT) | instid1(VALU_DEP_1)
	v_cmp_eq_u32_e64 s1, 0, v6
	v_cndmask_b32_e64 v179, v7, v3, s1
; %bb.2509:                             ;   in Loop: Header=BB432_1571 Depth=1
	s_or_b32 exec_lo, exec_lo, s11
	v_lshlrev_b32_e32 v2, 16, v2
                                        ; implicit-def: $vgpr180
	s_delay_alu instid0(VALU_DEP_1) | instskip(NEXT) | instid1(VALU_DEP_1)
	v_mul_f32_e32 v2, v98, v2
	v_and_b32_e32 v3, 0x7f800000, v2
	s_delay_alu instid0(VALU_DEP_1) | instskip(NEXT) | instid1(VALU_DEP_1)
	v_cmp_ne_u32_e64 s1, 0x7f800000, v3
	s_and_saveexec_b32 s11, s1
	s_delay_alu instid0(SALU_CYCLE_1)
	s_xor_b32 s1, exec_lo, s11
; %bb.2510:                             ;   in Loop: Header=BB432_1571 Depth=1
	v_bfe_u32 v3, v2, 16, 1
	s_delay_alu instid0(VALU_DEP_1)
	v_add3_u32 v180, v2, v3, 0x7fff
                                        ; implicit-def: $vgpr2
; %bb.2511:                             ;   in Loop: Header=BB432_1571 Depth=1
	s_and_not1_saveexec_b32 s11, s1
; %bb.2512:                             ;   in Loop: Header=BB432_1571 Depth=1
	v_and_b32_e32 v3, 0xffff, v2
	v_or_b32_e32 v6, 0x10000, v2
	s_delay_alu instid0(VALU_DEP_2) | instskip(NEXT) | instid1(VALU_DEP_1)
	v_cmp_eq_u32_e64 s1, 0, v3
	v_cndmask_b32_e64 v180, v6, v2, s1
; %bb.2513:                             ;   in Loop: Header=BB432_1571 Depth=1
	s_or_b32 exec_lo, exec_lo, s11
	flat_load_b64 v[2:3], v[0:1] offset:1792
	s_mov_b32 s11, exec_lo
	s_waitcnt vmcnt(0) lgkmcnt(0)
	v_dual_mov_b32 v6, 0 :: v_dual_and_b32 v7, 0xff, v2
	s_delay_alu instid0(VALU_DEP_1)
	v_cmpx_ne_u16_e32 0, v7
	s_cbranch_execz .LBB432_2521
; %bb.2514:                             ;   in Loop: Header=BB432_1571 Depth=1
	v_bfrev_b32_e32 v6, 1
	s_mov_b32 s12, exec_lo
	v_cmpx_ne_u16_e32 0x80, v7
	s_cbranch_execz .LBB432_2520
; %bb.2515:                             ;   in Loop: Header=BB432_1571 Depth=1
	v_and_b32_e32 v7, 0x7f, v2
	v_mov_b32_e32 v6, 0x7f800001
	s_mov_b32 s13, exec_lo
	s_delay_alu instid0(VALU_DEP_2)
	v_cmpx_ne_u32_e32 0x7f, v7
	s_cbranch_execz .LBB432_2519
; %bb.2516:                             ;   in Loop: Header=BB432_1571 Depth=1
	v_lshrrev_b32_e32 v9, 3, v7
	v_cmp_gt_u32_e64 s1, 8, v7
	v_dual_mov_b32 v7, v3 :: v_dual_mov_b32 v6, v2
	s_delay_alu instid0(VALU_DEP_2)
	s_and_saveexec_b32 s15, s1
; %bb.2517:                             ;   in Loop: Header=BB432_1571 Depth=1
	v_and_b32_e32 v6, 7, v2
	s_delay_alu instid0(VALU_DEP_1) | instskip(NEXT) | instid1(VALU_DEP_1)
	v_clz_i32_u32_e32 v6, v6
	v_min_u32_e32 v9, 32, v6
	s_delay_alu instid0(VALU_DEP_1) | instskip(SKIP_1) | instid1(VALU_DEP_2)
	v_subrev_nc_u32_e32 v6, 28, v9
	v_sub_nc_u32_e32 v9, 29, v9
	v_lshlrev_b64 v[6:7], v6, v[2:3]
; %bb.2518:                             ;   in Loop: Header=BB432_1571 Depth=1
	s_or_b32 exec_lo, exec_lo, s15
	s_delay_alu instid0(VALU_DEP_1) | instskip(SKIP_2) | instid1(VALU_DEP_3)
	v_lshlrev_b32_e32 v6, 20, v6
	v_lshlrev_b32_e32 v7, 24, v2
	v_lshl_add_u32 v9, v9, 23, 0x3c000000
	v_and_b32_e32 v6, 0x700000, v6
	s_delay_alu instid0(VALU_DEP_3) | instskip(NEXT) | instid1(VALU_DEP_1)
	v_and_b32_e32 v7, 0x80000000, v7
	v_or3_b32 v6, v6, v7, v9
.LBB432_2519:                           ;   in Loop: Header=BB432_1571 Depth=1
	s_or_b32 exec_lo, exec_lo, s13
.LBB432_2520:                           ;   in Loop: Header=BB432_1571 Depth=1
	s_delay_alu instid0(SALU_CYCLE_1)
	s_or_b32 exec_lo, exec_lo, s12
.LBB432_2521:                           ;   in Loop: Header=BB432_1571 Depth=1
	s_delay_alu instid0(SALU_CYCLE_1) | instskip(NEXT) | instid1(VALU_DEP_1)
	s_or_b32 exec_lo, exec_lo, s11
	v_mul_f32_e32 v6, v26, v6
                                        ; implicit-def: $vgpr181
	s_delay_alu instid0(VALU_DEP_1) | instskip(NEXT) | instid1(VALU_DEP_1)
	v_and_b32_e32 v7, 0x7f800000, v6
	v_cmp_ne_u32_e64 s1, 0x7f800000, v7
	s_delay_alu instid0(VALU_DEP_1) | instskip(NEXT) | instid1(SALU_CYCLE_1)
	s_and_saveexec_b32 s11, s1
	s_xor_b32 s1, exec_lo, s11
; %bb.2522:                             ;   in Loop: Header=BB432_1571 Depth=1
	v_bfe_u32 v7, v6, 16, 1
	s_delay_alu instid0(VALU_DEP_1)
	v_add3_u32 v181, v6, v7, 0x7fff
                                        ; implicit-def: $vgpr6
; %bb.2523:                             ;   in Loop: Header=BB432_1571 Depth=1
	s_and_not1_saveexec_b32 s11, s1
; %bb.2524:                             ;   in Loop: Header=BB432_1571 Depth=1
	v_and_b32_e32 v7, 0xffff, v6
	v_or_b32_e32 v9, 0x10000, v6
	s_delay_alu instid0(VALU_DEP_2) | instskip(NEXT) | instid1(VALU_DEP_1)
	v_cmp_eq_u32_e64 s1, 0, v7
	v_cndmask_b32_e64 v181, v9, v6, s1
; %bb.2525:                             ;   in Loop: Header=BB432_1571 Depth=1
	s_or_b32 exec_lo, exec_lo, s11
	v_lshrrev_b16 v7, 8, v2
	v_mov_b32_e32 v6, 0
	s_mov_b32 s11, exec_lo
	s_delay_alu instid0(VALU_DEP_2)
	v_cmpx_ne_u16_e32 0, v7
	s_cbranch_execz .LBB432_2533
; %bb.2526:                             ;   in Loop: Header=BB432_1571 Depth=1
	v_bfrev_b32_e32 v6, 1
	s_mov_b32 s12, exec_lo
	v_cmpx_ne_u16_e32 0x80, v7
	s_cbranch_execz .LBB432_2532
; %bb.2527:                             ;   in Loop: Header=BB432_1571 Depth=1
	v_and_b32_e32 v9, 0xffff, v7
	v_mov_b32_e32 v6, 0x7f800001
	s_mov_b32 s13, exec_lo
	s_delay_alu instid0(VALU_DEP_2) | instskip(NEXT) | instid1(VALU_DEP_1)
	v_and_b32_e32 v7, 0x7f, v9
	v_cmpx_ne_u32_e32 0x7f, v7
	s_cbranch_execz .LBB432_2531
; %bb.2528:                             ;   in Loop: Header=BB432_1571 Depth=1
	v_and_b32_e32 v9, 7, v9
	v_lshrrev_b32_e32 v182, 3, v7
	v_cmp_gt_u32_e64 s1, 8, v7
	s_delay_alu instid0(VALU_DEP_3) | instskip(NEXT) | instid1(VALU_DEP_2)
	v_dual_mov_b32 v6, v9 :: v_dual_mov_b32 v7, v10
	s_and_saveexec_b32 s15, s1
; %bb.2529:                             ;   in Loop: Header=BB432_1571 Depth=1
	v_clz_i32_u32_e32 v6, v9
	s_delay_alu instid0(VALU_DEP_1) | instskip(NEXT) | instid1(VALU_DEP_1)
	v_min_u32_e32 v182, 32, v6
	v_subrev_nc_u32_e32 v6, 28, v182
	v_sub_nc_u32_e32 v182, 29, v182
	s_delay_alu instid0(VALU_DEP_2) | instskip(NEXT) | instid1(VALU_DEP_1)
	v_lshlrev_b64 v[6:7], v6, v[9:10]
	v_and_b32_e32 v6, 7, v6
; %bb.2530:                             ;   in Loop: Header=BB432_1571 Depth=1
	s_or_b32 exec_lo, exec_lo, s15
	v_lshlrev_b32_e32 v7, 16, v2
	s_delay_alu instid0(VALU_DEP_2) | instskip(SKIP_1) | instid1(VALU_DEP_3)
	v_lshlrev_b32_e32 v6, 20, v6
	v_lshl_add_u32 v9, v182, 23, 0x3c000000
	v_and_b32_e32 v7, 0x80000000, v7
	s_delay_alu instid0(VALU_DEP_1)
	v_or3_b32 v6, v6, v7, v9
.LBB432_2531:                           ;   in Loop: Header=BB432_1571 Depth=1
	s_or_b32 exec_lo, exec_lo, s13
.LBB432_2532:                           ;   in Loop: Header=BB432_1571 Depth=1
	s_delay_alu instid0(SALU_CYCLE_1)
	s_or_b32 exec_lo, exec_lo, s12
.LBB432_2533:                           ;   in Loop: Header=BB432_1571 Depth=1
	s_delay_alu instid0(SALU_CYCLE_1) | instskip(NEXT) | instid1(VALU_DEP_1)
	s_or_b32 exec_lo, exec_lo, s11
	v_mul_f32_e32 v6, v26, v6
                                        ; implicit-def: $vgpr182
	s_delay_alu instid0(VALU_DEP_1) | instskip(NEXT) | instid1(VALU_DEP_1)
	v_and_b32_e32 v7, 0x7f800000, v6
	v_cmp_ne_u32_e64 s1, 0x7f800000, v7
	s_delay_alu instid0(VALU_DEP_1) | instskip(NEXT) | instid1(SALU_CYCLE_1)
	s_and_saveexec_b32 s11, s1
	s_xor_b32 s1, exec_lo, s11
; %bb.2534:                             ;   in Loop: Header=BB432_1571 Depth=1
	v_bfe_u32 v7, v6, 16, 1
	s_delay_alu instid0(VALU_DEP_1)
	v_add3_u32 v182, v6, v7, 0x7fff
                                        ; implicit-def: $vgpr6
; %bb.2535:                             ;   in Loop: Header=BB432_1571 Depth=1
	s_and_not1_saveexec_b32 s11, s1
; %bb.2536:                             ;   in Loop: Header=BB432_1571 Depth=1
	v_and_b32_e32 v7, 0xffff, v6
	v_or_b32_e32 v9, 0x10000, v6
	s_delay_alu instid0(VALU_DEP_2) | instskip(NEXT) | instid1(VALU_DEP_1)
	v_cmp_eq_u32_e64 s1, 0, v7
	v_cndmask_b32_e64 v182, v9, v6, s1
; %bb.2537:                             ;   in Loop: Header=BB432_1571 Depth=1
	s_or_b32 exec_lo, exec_lo, s11
	v_lshrrev_b32_e32 v183, 16, v2
	s_mov_b32 s11, exec_lo
	s_delay_alu instid0(VALU_DEP_1) | instskip(NEXT) | instid1(VALU_DEP_1)
	v_dual_mov_b32 v6, 0 :: v_dual_and_b32 v7, 0xff, v183
	v_cmpx_ne_u16_e32 0, v7
	s_cbranch_execz .LBB432_2545
; %bb.2538:                             ;   in Loop: Header=BB432_1571 Depth=1
	v_bfrev_b32_e32 v6, 1
	s_mov_b32 s12, exec_lo
	v_cmpx_ne_u16_e32 0x80, v7
	s_cbranch_execz .LBB432_2544
; %bb.2539:                             ;   in Loop: Header=BB432_1571 Depth=1
	v_bfe_u32 v7, v2, 16, 7
	v_mov_b32_e32 v6, 0x7f800001
	s_mov_b32 s13, exec_lo
	s_delay_alu instid0(VALU_DEP_2)
	v_cmpx_ne_u32_e32 0x7f, v7
	s_cbranch_execz .LBB432_2543
; %bb.2540:                             ;   in Loop: Header=BB432_1571 Depth=1
	v_and_b32_e32 v9, 7, v183
	v_lshrrev_b32_e32 v40, 3, v7
	v_cmp_gt_u32_e64 s1, 8, v7
	s_delay_alu instid0(VALU_DEP_3) | instskip(NEXT) | instid1(VALU_DEP_2)
	v_dual_mov_b32 v6, v9 :: v_dual_mov_b32 v7, v10
	s_and_saveexec_b32 s15, s1
; %bb.2541:                             ;   in Loop: Header=BB432_1571 Depth=1
	v_clz_i32_u32_e32 v6, v9
	s_delay_alu instid0(VALU_DEP_1) | instskip(NEXT) | instid1(VALU_DEP_1)
	v_min_u32_e32 v40, 32, v6
	v_subrev_nc_u32_e32 v6, 28, v40
	v_sub_nc_u32_e32 v40, 29, v40
	s_delay_alu instid0(VALU_DEP_2) | instskip(NEXT) | instid1(VALU_DEP_1)
	v_lshlrev_b64 v[6:7], v6, v[9:10]
	v_and_b32_e32 v6, 7, v6
; %bb.2542:                             ;   in Loop: Header=BB432_1571 Depth=1
	s_or_b32 exec_lo, exec_lo, s15
	v_lshlrev_b32_e32 v7, 24, v183
	s_delay_alu instid0(VALU_DEP_2) | instskip(SKIP_1) | instid1(VALU_DEP_3)
	v_lshlrev_b32_e32 v6, 20, v6
	v_lshl_add_u32 v9, v40, 23, 0x3c000000
	v_and_b32_e32 v7, 0x80000000, v7
	s_delay_alu instid0(VALU_DEP_1)
	v_or3_b32 v6, v6, v7, v9
.LBB432_2543:                           ;   in Loop: Header=BB432_1571 Depth=1
	s_or_b32 exec_lo, exec_lo, s13
.LBB432_2544:                           ;   in Loop: Header=BB432_1571 Depth=1
	s_delay_alu instid0(SALU_CYCLE_1)
	s_or_b32 exec_lo, exec_lo, s12
.LBB432_2545:                           ;   in Loop: Header=BB432_1571 Depth=1
	s_delay_alu instid0(SALU_CYCLE_1) | instskip(NEXT) | instid1(VALU_DEP_1)
	s_or_b32 exec_lo, exec_lo, s11
	v_mul_f32_e32 v6, v26, v6
                                        ; implicit-def: $vgpr183
	s_delay_alu instid0(VALU_DEP_1) | instskip(NEXT) | instid1(VALU_DEP_1)
	v_and_b32_e32 v7, 0x7f800000, v6
	v_cmp_ne_u32_e64 s1, 0x7f800000, v7
	s_delay_alu instid0(VALU_DEP_1) | instskip(NEXT) | instid1(SALU_CYCLE_1)
	s_and_saveexec_b32 s11, s1
	s_xor_b32 s1, exec_lo, s11
; %bb.2546:                             ;   in Loop: Header=BB432_1571 Depth=1
	v_bfe_u32 v7, v6, 16, 1
	s_delay_alu instid0(VALU_DEP_1)
	v_add3_u32 v183, v6, v7, 0x7fff
                                        ; implicit-def: $vgpr6
; %bb.2547:                             ;   in Loop: Header=BB432_1571 Depth=1
	s_and_not1_saveexec_b32 s11, s1
; %bb.2548:                             ;   in Loop: Header=BB432_1571 Depth=1
	v_and_b32_e32 v7, 0xffff, v6
	v_or_b32_e32 v9, 0x10000, v6
	s_delay_alu instid0(VALU_DEP_2) | instskip(NEXT) | instid1(VALU_DEP_1)
	v_cmp_eq_u32_e64 s1, 0, v7
	v_cndmask_b32_e64 v183, v9, v6, s1
; %bb.2549:                             ;   in Loop: Header=BB432_1571 Depth=1
	s_or_b32 exec_lo, exec_lo, s11
	v_mov_b32_e32 v6, 0
	s_mov_b32 s11, exec_lo
	v_cmpx_lt_u32_e32 0xffffff, v2
	s_cbranch_execz .LBB432_2557
; %bb.2550:                             ;   in Loop: Header=BB432_1571 Depth=1
	v_lshrrev_b32_e32 v40, 24, v2
	v_bfrev_b32_e32 v6, 1
	s_mov_b32 s12, exec_lo
	s_delay_alu instid0(VALU_DEP_2)
	v_cmpx_ne_u32_e32 0x80, v40
	s_cbranch_execz .LBB432_2556
; %bb.2551:                             ;   in Loop: Header=BB432_1571 Depth=1
	v_bfe_u32 v7, v2, 24, 7
	v_mov_b32_e32 v6, 0x7f800001
	s_mov_b32 s13, exec_lo
	s_delay_alu instid0(VALU_DEP_2)
	v_cmpx_ne_u32_e32 0x7f, v7
	s_cbranch_execz .LBB432_2555
; %bb.2552:                             ;   in Loop: Header=BB432_1571 Depth=1
	v_and_b32_e32 v9, 7, v40
	v_lshrrev_b32_e32 v41, 3, v7
	v_cmp_gt_u32_e64 s1, 8, v7
	s_delay_alu instid0(VALU_DEP_3) | instskip(NEXT) | instid1(VALU_DEP_2)
	v_dual_mov_b32 v6, v9 :: v_dual_mov_b32 v7, v10
	s_and_saveexec_b32 s15, s1
; %bb.2553:                             ;   in Loop: Header=BB432_1571 Depth=1
	v_clz_i32_u32_e32 v6, v9
	s_delay_alu instid0(VALU_DEP_1) | instskip(NEXT) | instid1(VALU_DEP_1)
	v_min_u32_e32 v41, 32, v6
	v_subrev_nc_u32_e32 v6, 28, v41
	v_sub_nc_u32_e32 v41, 29, v41
	s_delay_alu instid0(VALU_DEP_2) | instskip(NEXT) | instid1(VALU_DEP_1)
	v_lshlrev_b64 v[6:7], v6, v[9:10]
	v_and_b32_e32 v6, 7, v6
; %bb.2554:                             ;   in Loop: Header=BB432_1571 Depth=1
	s_or_b32 exec_lo, exec_lo, s15
	v_lshlrev_b32_e32 v7, 24, v40
	s_delay_alu instid0(VALU_DEP_2) | instskip(SKIP_1) | instid1(VALU_DEP_3)
	v_lshlrev_b32_e32 v6, 20, v6
	v_lshl_add_u32 v9, v41, 23, 0x3c000000
	v_and_b32_e32 v7, 0x80000000, v7
	s_delay_alu instid0(VALU_DEP_1)
	v_or3_b32 v6, v6, v7, v9
.LBB432_2555:                           ;   in Loop: Header=BB432_1571 Depth=1
	s_or_b32 exec_lo, exec_lo, s13
.LBB432_2556:                           ;   in Loop: Header=BB432_1571 Depth=1
	s_delay_alu instid0(SALU_CYCLE_1)
	s_or_b32 exec_lo, exec_lo, s12
.LBB432_2557:                           ;   in Loop: Header=BB432_1571 Depth=1
	s_delay_alu instid0(SALU_CYCLE_1) | instskip(NEXT) | instid1(VALU_DEP_1)
	s_or_b32 exec_lo, exec_lo, s11
	v_mul_f32_e32 v6, v26, v6
                                        ; implicit-def: $vgpr40
	s_delay_alu instid0(VALU_DEP_1) | instskip(NEXT) | instid1(VALU_DEP_1)
	v_and_b32_e32 v7, 0x7f800000, v6
	v_cmp_ne_u32_e64 s1, 0x7f800000, v7
	s_delay_alu instid0(VALU_DEP_1) | instskip(NEXT) | instid1(SALU_CYCLE_1)
	s_and_saveexec_b32 s11, s1
	s_xor_b32 s1, exec_lo, s11
; %bb.2558:                             ;   in Loop: Header=BB432_1571 Depth=1
	v_bfe_u32 v7, v6, 16, 1
	s_delay_alu instid0(VALU_DEP_1)
	v_add3_u32 v40, v6, v7, 0x7fff
                                        ; implicit-def: $vgpr6
; %bb.2559:                             ;   in Loop: Header=BB432_1571 Depth=1
	s_and_not1_saveexec_b32 s11, s1
; %bb.2560:                             ;   in Loop: Header=BB432_1571 Depth=1
	v_and_b32_e32 v7, 0xffff, v6
	v_or_b32_e32 v9, 0x10000, v6
	s_delay_alu instid0(VALU_DEP_2) | instskip(NEXT) | instid1(VALU_DEP_1)
	v_cmp_eq_u32_e64 s1, 0, v7
	v_cndmask_b32_e64 v40, v9, v6, s1
; %bb.2561:                             ;   in Loop: Header=BB432_1571 Depth=1
	s_or_b32 exec_lo, exec_lo, s11
	v_dual_mov_b32 v6, 0 :: v_dual_and_b32 v7, 0xff, v3
	v_mov_b32_e32 v9, v3
	s_mov_b32 s11, exec_lo
	s_delay_alu instid0(VALU_DEP_2)
	v_cmpx_ne_u16_e32 0, v7
	s_cbranch_execz .LBB432_2569
; %bb.2562:                             ;   in Loop: Header=BB432_1571 Depth=1
	v_bfrev_b32_e32 v6, 1
	s_mov_b32 s12, exec_lo
	v_cmpx_ne_u16_e32 0x80, v7
	s_cbranch_execz .LBB432_2568
; %bb.2563:                             ;   in Loop: Header=BB432_1571 Depth=1
	v_and_b32_e32 v7, 0x7f, v3
	v_mov_b32_e32 v6, 0x7f800001
	s_mov_b32 s13, exec_lo
	s_delay_alu instid0(VALU_DEP_2)
	v_cmpx_ne_u32_e32 0x7f, v7
	s_cbranch_execz .LBB432_2567
; %bb.2564:                             ;   in Loop: Header=BB432_1571 Depth=1
	v_lshrrev_b32_e32 v41, 3, v7
	v_cmp_gt_u32_e64 s1, 8, v7
	v_dual_mov_b32 v6, v9 :: v_dual_mov_b32 v7, v10
	s_delay_alu instid0(VALU_DEP_2)
	s_and_saveexec_b32 s15, s1
; %bb.2565:                             ;   in Loop: Header=BB432_1571 Depth=1
	v_and_b32_e32 v6, 7, v3
	s_delay_alu instid0(VALU_DEP_1) | instskip(NEXT) | instid1(VALU_DEP_1)
	v_clz_i32_u32_e32 v6, v6
	v_min_u32_e32 v41, 32, v6
	s_delay_alu instid0(VALU_DEP_1) | instskip(SKIP_1) | instid1(VALU_DEP_2)
	v_subrev_nc_u32_e32 v6, 28, v41
	v_sub_nc_u32_e32 v41, 29, v41
	v_lshlrev_b64 v[6:7], v6, v[9:10]
; %bb.2566:                             ;   in Loop: Header=BB432_1571 Depth=1
	s_or_b32 exec_lo, exec_lo, s15
	s_delay_alu instid0(VALU_DEP_1) | instskip(SKIP_2) | instid1(VALU_DEP_3)
	v_lshlrev_b32_e32 v6, 20, v6
	v_lshlrev_b32_e32 v7, 24, v9
	v_lshl_add_u32 v41, v41, 23, 0x3c000000
	v_and_b32_e32 v6, 0x700000, v6
	s_delay_alu instid0(VALU_DEP_3) | instskip(NEXT) | instid1(VALU_DEP_1)
	v_and_b32_e32 v7, 0x80000000, v7
	v_or3_b32 v6, v6, v7, v41
.LBB432_2567:                           ;   in Loop: Header=BB432_1571 Depth=1
	s_or_b32 exec_lo, exec_lo, s13
.LBB432_2568:                           ;   in Loop: Header=BB432_1571 Depth=1
	s_delay_alu instid0(SALU_CYCLE_1)
	s_or_b32 exec_lo, exec_lo, s12
.LBB432_2569:                           ;   in Loop: Header=BB432_1571 Depth=1
	s_delay_alu instid0(SALU_CYCLE_1) | instskip(NEXT) | instid1(VALU_DEP_1)
	s_or_b32 exec_lo, exec_lo, s11
	v_mul_f32_e32 v6, v26, v6
                                        ; implicit-def: $vgpr41
	s_delay_alu instid0(VALU_DEP_1) | instskip(NEXT) | instid1(VALU_DEP_1)
	v_and_b32_e32 v7, 0x7f800000, v6
	v_cmp_ne_u32_e64 s1, 0x7f800000, v7
	s_delay_alu instid0(VALU_DEP_1) | instskip(NEXT) | instid1(SALU_CYCLE_1)
	s_and_saveexec_b32 s11, s1
	s_xor_b32 s1, exec_lo, s11
; %bb.2570:                             ;   in Loop: Header=BB432_1571 Depth=1
	v_bfe_u32 v7, v6, 16, 1
	s_delay_alu instid0(VALU_DEP_1)
	v_add3_u32 v41, v6, v7, 0x7fff
                                        ; implicit-def: $vgpr6
; %bb.2571:                             ;   in Loop: Header=BB432_1571 Depth=1
	s_and_not1_saveexec_b32 s11, s1
; %bb.2572:                             ;   in Loop: Header=BB432_1571 Depth=1
	v_and_b32_e32 v7, 0xffff, v6
	v_or_b32_e32 v41, 0x10000, v6
	s_delay_alu instid0(VALU_DEP_2) | instskip(NEXT) | instid1(VALU_DEP_1)
	v_cmp_eq_u32_e64 s1, 0, v7
	v_cndmask_b32_e64 v41, v41, v6, s1
; %bb.2573:                             ;   in Loop: Header=BB432_1571 Depth=1
	s_or_b32 exec_lo, exec_lo, s11
	v_lshrrev_b16 v7, 8, v9
	v_mov_b32_e32 v6, 0
	s_mov_b32 s11, exec_lo
	s_delay_alu instid0(VALU_DEP_2)
	v_cmpx_ne_u16_e32 0, v7
	s_cbranch_execz .LBB432_2581
; %bb.2574:                             ;   in Loop: Header=BB432_1571 Depth=1
	v_bfrev_b32_e32 v6, 1
	s_mov_b32 s12, exec_lo
	v_cmpx_ne_u16_e32 0x80, v7
	s_cbranch_execz .LBB432_2580
; %bb.2575:                             ;   in Loop: Header=BB432_1571 Depth=1
	v_and_b32_e32 v7, 0xffff, v7
	v_mov_b32_e32 v6, 0x7f800001
	s_mov_b32 s13, exec_lo
	s_delay_alu instid0(VALU_DEP_2) | instskip(NEXT) | instid1(VALU_DEP_1)
	v_and_b32_e32 v43, 0x7f, v7
	v_cmpx_ne_u32_e32 0x7f, v43
	s_cbranch_execz .LBB432_2579
; %bb.2576:                             ;   in Loop: Header=BB432_1571 Depth=1
	v_dual_mov_b32 v7, v10 :: v_dual_and_b32 v6, 7, v7
	v_lshrrev_b32_e32 v42, 3, v43
	s_mov_b32 s15, exec_lo
	v_cmpx_gt_u32_e32 8, v43
; %bb.2577:                             ;   in Loop: Header=BB432_1571 Depth=1
	s_delay_alu instid0(VALU_DEP_3) | instskip(NEXT) | instid1(VALU_DEP_1)
	v_clz_i32_u32_e32 v42, v6
	v_min_u32_e32 v42, 32, v42
	s_delay_alu instid0(VALU_DEP_1) | instskip(SKIP_1) | instid1(VALU_DEP_2)
	v_subrev_nc_u32_e32 v43, 28, v42
	v_sub_nc_u32_e32 v42, 29, v42
	v_lshlrev_b64 v[6:7], v43, v[6:7]
	s_delay_alu instid0(VALU_DEP_1)
	v_and_b32_e32 v6, 7, v6
; %bb.2578:                             ;   in Loop: Header=BB432_1571 Depth=1
	s_or_b32 exec_lo, exec_lo, s15
	v_lshlrev_b32_e32 v7, 16, v9
	s_delay_alu instid0(VALU_DEP_2) | instskip(SKIP_1) | instid1(VALU_DEP_3)
	v_lshlrev_b32_e32 v6, 20, v6
	v_lshl_add_u32 v9, v42, 23, 0x3c000000
	v_and_b32_e32 v7, 0x80000000, v7
	s_delay_alu instid0(VALU_DEP_1)
	v_or3_b32 v6, v6, v7, v9
.LBB432_2579:                           ;   in Loop: Header=BB432_1571 Depth=1
	s_or_b32 exec_lo, exec_lo, s13
.LBB432_2580:                           ;   in Loop: Header=BB432_1571 Depth=1
	s_delay_alu instid0(SALU_CYCLE_1)
	s_or_b32 exec_lo, exec_lo, s12
.LBB432_2581:                           ;   in Loop: Header=BB432_1571 Depth=1
	s_delay_alu instid0(SALU_CYCLE_1) | instskip(NEXT) | instid1(VALU_DEP_1)
	s_or_b32 exec_lo, exec_lo, s11
	v_mul_f32_e32 v6, v26, v6
                                        ; implicit-def: $vgpr42
	s_delay_alu instid0(VALU_DEP_1) | instskip(NEXT) | instid1(VALU_DEP_1)
	v_and_b32_e32 v7, 0x7f800000, v6
	v_cmp_ne_u32_e64 s1, 0x7f800000, v7
	s_delay_alu instid0(VALU_DEP_1) | instskip(NEXT) | instid1(SALU_CYCLE_1)
	s_and_saveexec_b32 s11, s1
	s_xor_b32 s1, exec_lo, s11
; %bb.2582:                             ;   in Loop: Header=BB432_1571 Depth=1
	v_bfe_u32 v7, v6, 16, 1
	s_delay_alu instid0(VALU_DEP_1)
	v_add3_u32 v42, v6, v7, 0x7fff
                                        ; implicit-def: $vgpr6
; %bb.2583:                             ;   in Loop: Header=BB432_1571 Depth=1
	s_and_not1_saveexec_b32 s11, s1
; %bb.2584:                             ;   in Loop: Header=BB432_1571 Depth=1
	v_and_b32_e32 v7, 0xffff, v6
	v_or_b32_e32 v9, 0x10000, v6
	s_delay_alu instid0(VALU_DEP_2) | instskip(NEXT) | instid1(VALU_DEP_1)
	v_cmp_eq_u32_e64 s1, 0, v7
	v_cndmask_b32_e64 v42, v9, v6, s1
; %bb.2585:                             ;   in Loop: Header=BB432_1571 Depth=1
	s_or_b32 exec_lo, exec_lo, s11
	v_lshrrev_b32_e32 v43, 16, v3
	s_mov_b32 s11, exec_lo
	s_delay_alu instid0(VALU_DEP_1) | instskip(NEXT) | instid1(VALU_DEP_1)
	v_dual_mov_b32 v6, 0 :: v_dual_and_b32 v7, 0xff, v43
	v_cmpx_ne_u16_e32 0, v7
	s_cbranch_execz .LBB432_2593
; %bb.2586:                             ;   in Loop: Header=BB432_1571 Depth=1
	v_bfrev_b32_e32 v6, 1
	s_mov_b32 s12, exec_lo
	v_cmpx_ne_u16_e32 0x80, v7
	s_cbranch_execz .LBB432_2592
; %bb.2587:                             ;   in Loop: Header=BB432_1571 Depth=1
	v_bfe_u32 v7, v3, 16, 7
	v_mov_b32_e32 v6, 0x7f800001
	s_mov_b32 s13, exec_lo
	s_delay_alu instid0(VALU_DEP_2)
	v_cmpx_ne_u32_e32 0x7f, v7
	s_cbranch_execz .LBB432_2591
; %bb.2588:                             ;   in Loop: Header=BB432_1571 Depth=1
	v_and_b32_e32 v9, 7, v43
	v_lshrrev_b32_e32 v44, 3, v7
	v_cmp_gt_u32_e64 s1, 8, v7
	s_delay_alu instid0(VALU_DEP_3) | instskip(NEXT) | instid1(VALU_DEP_2)
	v_dual_mov_b32 v6, v9 :: v_dual_mov_b32 v7, v10
	s_and_saveexec_b32 s15, s1
; %bb.2589:                             ;   in Loop: Header=BB432_1571 Depth=1
	v_clz_i32_u32_e32 v6, v9
	s_delay_alu instid0(VALU_DEP_1) | instskip(NEXT) | instid1(VALU_DEP_1)
	v_min_u32_e32 v44, 32, v6
	v_subrev_nc_u32_e32 v6, 28, v44
	v_sub_nc_u32_e32 v44, 29, v44
	s_delay_alu instid0(VALU_DEP_2) | instskip(NEXT) | instid1(VALU_DEP_1)
	v_lshlrev_b64 v[6:7], v6, v[9:10]
	v_and_b32_e32 v6, 7, v6
; %bb.2590:                             ;   in Loop: Header=BB432_1571 Depth=1
	s_or_b32 exec_lo, exec_lo, s15
	v_lshlrev_b32_e32 v7, 24, v43
	s_delay_alu instid0(VALU_DEP_2) | instskip(SKIP_1) | instid1(VALU_DEP_3)
	v_lshlrev_b32_e32 v6, 20, v6
	v_lshl_add_u32 v9, v44, 23, 0x3c000000
	v_and_b32_e32 v7, 0x80000000, v7
	s_delay_alu instid0(VALU_DEP_1)
	v_or3_b32 v6, v6, v7, v9
.LBB432_2591:                           ;   in Loop: Header=BB432_1571 Depth=1
	s_or_b32 exec_lo, exec_lo, s13
.LBB432_2592:                           ;   in Loop: Header=BB432_1571 Depth=1
	s_delay_alu instid0(SALU_CYCLE_1)
	s_or_b32 exec_lo, exec_lo, s12
.LBB432_2593:                           ;   in Loop: Header=BB432_1571 Depth=1
	s_delay_alu instid0(SALU_CYCLE_1) | instskip(NEXT) | instid1(VALU_DEP_1)
	s_or_b32 exec_lo, exec_lo, s11
	v_mul_f32_e32 v6, v26, v6
                                        ; implicit-def: $vgpr43
	s_delay_alu instid0(VALU_DEP_1) | instskip(NEXT) | instid1(VALU_DEP_1)
	v_and_b32_e32 v7, 0x7f800000, v6
	v_cmp_ne_u32_e64 s1, 0x7f800000, v7
	s_delay_alu instid0(VALU_DEP_1) | instskip(NEXT) | instid1(SALU_CYCLE_1)
	s_and_saveexec_b32 s11, s1
	s_xor_b32 s1, exec_lo, s11
; %bb.2594:                             ;   in Loop: Header=BB432_1571 Depth=1
	v_bfe_u32 v7, v6, 16, 1
	s_delay_alu instid0(VALU_DEP_1)
	v_add3_u32 v43, v6, v7, 0x7fff
                                        ; implicit-def: $vgpr6
; %bb.2595:                             ;   in Loop: Header=BB432_1571 Depth=1
	s_and_not1_saveexec_b32 s11, s1
; %bb.2596:                             ;   in Loop: Header=BB432_1571 Depth=1
	v_and_b32_e32 v7, 0xffff, v6
	v_or_b32_e32 v9, 0x10000, v6
	s_delay_alu instid0(VALU_DEP_2) | instskip(NEXT) | instid1(VALU_DEP_1)
	v_cmp_eq_u32_e64 s1, 0, v7
	v_cndmask_b32_e64 v43, v9, v6, s1
; %bb.2597:                             ;   in Loop: Header=BB432_1571 Depth=1
	s_or_b32 exec_lo, exec_lo, s11
	v_cmp_lt_u64_e64 s1, s[2:3], v[2:3]
	v_mov_b32_e32 v2, 0
	s_delay_alu instid0(VALU_DEP_2)
	s_and_saveexec_b32 s11, s1
	s_cbranch_execz .LBB432_2605
; %bb.2598:                             ;   in Loop: Header=BB432_1571 Depth=1
	v_lshrrev_b32_e32 v6, 24, v3
	v_bfrev_b32_e32 v2, 1
	s_mov_b32 s12, exec_lo
	s_delay_alu instid0(VALU_DEP_2)
	v_cmpx_ne_u32_e32 0x80, v6
	s_cbranch_execz .LBB432_2604
; %bb.2599:                             ;   in Loop: Header=BB432_1571 Depth=1
	v_bfe_u32 v3, v3, 24, 7
	v_mov_b32_e32 v2, 0x7f800001
	s_mov_b32 s13, exec_lo
	s_delay_alu instid0(VALU_DEP_2)
	v_cmpx_ne_u32_e32 0x7f, v3
	s_cbranch_execz .LBB432_2603
; %bb.2600:                             ;   in Loop: Header=BB432_1571 Depth=1
	v_and_b32_e32 v9, 7, v6
	v_lshrrev_b32_e32 v7, 3, v3
	v_cmp_gt_u32_e64 s1, 8, v3
	s_delay_alu instid0(VALU_DEP_3) | instskip(NEXT) | instid1(VALU_DEP_2)
	v_dual_mov_b32 v2, v9 :: v_dual_mov_b32 v3, v10
	s_and_saveexec_b32 s15, s1
; %bb.2601:                             ;   in Loop: Header=BB432_1571 Depth=1
	v_clz_i32_u32_e32 v2, v9
	s_delay_alu instid0(VALU_DEP_1) | instskip(NEXT) | instid1(VALU_DEP_1)
	v_min_u32_e32 v7, 32, v2
	v_subrev_nc_u32_e32 v2, 28, v7
	v_sub_nc_u32_e32 v7, 29, v7
	s_delay_alu instid0(VALU_DEP_2) | instskip(NEXT) | instid1(VALU_DEP_1)
	v_lshlrev_b64 v[2:3], v2, v[9:10]
	v_and_b32_e32 v2, 7, v2
; %bb.2602:                             ;   in Loop: Header=BB432_1571 Depth=1
	s_or_b32 exec_lo, exec_lo, s15
	v_lshlrev_b32_e32 v3, 24, v6
	s_delay_alu instid0(VALU_DEP_2) | instskip(SKIP_1) | instid1(VALU_DEP_3)
	v_lshlrev_b32_e32 v2, 20, v2
	v_lshl_add_u32 v6, v7, 23, 0x3c000000
	v_and_b32_e32 v3, 0x80000000, v3
	s_delay_alu instid0(VALU_DEP_1)
	v_or3_b32 v2, v2, v3, v6
.LBB432_2603:                           ;   in Loop: Header=BB432_1571 Depth=1
	s_or_b32 exec_lo, exec_lo, s13
.LBB432_2604:                           ;   in Loop: Header=BB432_1571 Depth=1
	s_delay_alu instid0(SALU_CYCLE_1)
	s_or_b32 exec_lo, exec_lo, s12
.LBB432_2605:                           ;   in Loop: Header=BB432_1571 Depth=1
	s_delay_alu instid0(SALU_CYCLE_1) | instskip(NEXT) | instid1(VALU_DEP_1)
	s_or_b32 exec_lo, exec_lo, s11
	v_mul_f32_e32 v3, v26, v2
	s_delay_alu instid0(VALU_DEP_1) | instskip(NEXT) | instid1(VALU_DEP_1)
	v_and_b32_e32 v2, 0x7f800000, v3
	v_cmp_ne_u32_e64 s1, 0x7f800000, v2
                                        ; implicit-def: $vgpr2
	s_delay_alu instid0(VALU_DEP_1) | instskip(NEXT) | instid1(SALU_CYCLE_1)
	s_and_saveexec_b32 s11, s1
	s_xor_b32 s1, exec_lo, s11
; %bb.2606:                             ;   in Loop: Header=BB432_1571 Depth=1
	v_bfe_u32 v2, v3, 16, 1
	s_delay_alu instid0(VALU_DEP_1)
	v_add3_u32 v2, v3, v2, 0x7fff
                                        ; implicit-def: $vgpr3
; %bb.2607:                             ;   in Loop: Header=BB432_1571 Depth=1
	s_and_not1_saveexec_b32 s11, s1
; %bb.2608:                             ;   in Loop: Header=BB432_1571 Depth=1
	v_and_b32_e32 v2, 0xffff, v3
	v_or_b32_e32 v6, 0x10000, v3
	s_delay_alu instid0(VALU_DEP_2) | instskip(NEXT) | instid1(VALU_DEP_1)
	v_cmp_eq_u32_e64 s1, 0, v2
	v_cndmask_b32_e64 v2, v6, v3, s1
; %bb.2609:                             ;   in Loop: Header=BB432_1571 Depth=1
	s_or_b32 exec_lo, exec_lo, s11
	v_lshrrev_b32_e32 v6, 16, v42
	v_lshrrev_b32_e32 v7, 16, v41
	;; [unrolled: 1-line block ×8, first 2 shown]
	s_and_saveexec_b32 s11, vcc_lo
	s_cbranch_execz .LBB432_2611
; %bb.2610:                             ;   in Loop: Header=BB432_1571 Depth=1
	v_cmp_lt_i32_e64 s1, v68, v35
	s_delay_alu instid0(VALU_DEP_1) | instskip(SKIP_1) | instid1(VALU_DEP_1)
	v_cndmask_b32_e64 v181, 0, v181, s1
	v_cmp_lt_i32_e64 s1, v82, v35
	v_cndmask_b32_e64 v182, 0, v182, s1
	v_cmp_lt_i32_e64 s1, v81, v35
	s_delay_alu instid0(VALU_DEP_1) | instskip(SKIP_1) | instid1(VALU_DEP_1)
	v_cndmask_b32_e64 v183, 0, v183, s1
	v_cmp_lt_i32_e64 s1, v80, v35
	v_cndmask_b32_e64 v9, 0, v9, s1
	;; [unrolled: 5-line block ×4, first 2 shown]
.LBB432_2611:                           ;   in Loop: Header=BB432_1571 Depth=1
	s_or_b32 exec_lo, exec_lo, s11
	v_lshlrev_b32_e32 v181, 16, v181
	s_delay_alu instid0(VALU_DEP_1) | instskip(NEXT) | instid1(VALU_DEP_1)
	v_mul_f32_e32 v40, v83, v181
	v_and_b32_e32 v181, 0x7f800000, v40
	s_delay_alu instid0(VALU_DEP_1) | instskip(NEXT) | instid1(VALU_DEP_1)
	v_cmp_ne_u32_e64 s1, 0x7f800000, v181
                                        ; implicit-def: $vgpr181
	s_and_saveexec_b32 s11, s1
	s_delay_alu instid0(SALU_CYCLE_1)
	s_xor_b32 s1, exec_lo, s11
; %bb.2612:                             ;   in Loop: Header=BB432_1571 Depth=1
	v_bfe_u32 v181, v40, 16, 1
	s_delay_alu instid0(VALU_DEP_1)
	v_add3_u32 v181, v40, v181, 0x7fff
                                        ; implicit-def: $vgpr40
; %bb.2613:                             ;   in Loop: Header=BB432_1571 Depth=1
	s_and_not1_saveexec_b32 s11, s1
; %bb.2614:                             ;   in Loop: Header=BB432_1571 Depth=1
	v_and_b32_e32 v181, 0xffff, v40
	v_or_b32_e32 v41, 0x10000, v40
	s_delay_alu instid0(VALU_DEP_2) | instskip(NEXT) | instid1(VALU_DEP_1)
	v_cmp_eq_u32_e64 s1, 0, v181
	v_cndmask_b32_e64 v181, v41, v40, s1
; %bb.2615:                             ;   in Loop: Header=BB432_1571 Depth=1
	s_or_b32 exec_lo, exec_lo, s11
	v_lshlrev_b32_e32 v182, 16, v182
	s_delay_alu instid0(VALU_DEP_1) | instskip(NEXT) | instid1(VALU_DEP_1)
	v_mul_f32_e32 v40, v84, v182
	v_and_b32_e32 v182, 0x7f800000, v40
	s_delay_alu instid0(VALU_DEP_1) | instskip(NEXT) | instid1(VALU_DEP_1)
	v_cmp_ne_u32_e64 s1, 0x7f800000, v182
                                        ; implicit-def: $vgpr182
	s_and_saveexec_b32 s11, s1
	s_delay_alu instid0(SALU_CYCLE_1)
	s_xor_b32 s1, exec_lo, s11
; %bb.2616:                             ;   in Loop: Header=BB432_1571 Depth=1
	v_bfe_u32 v182, v40, 16, 1
	s_delay_alu instid0(VALU_DEP_1)
	v_add3_u32 v182, v40, v182, 0x7fff
                                        ; implicit-def: $vgpr40
; %bb.2617:                             ;   in Loop: Header=BB432_1571 Depth=1
	s_and_not1_saveexec_b32 s11, s1
; %bb.2618:                             ;   in Loop: Header=BB432_1571 Depth=1
	v_and_b32_e32 v182, 0xffff, v40
	v_or_b32_e32 v41, 0x10000, v40
	s_delay_alu instid0(VALU_DEP_2) | instskip(NEXT) | instid1(VALU_DEP_1)
	v_cmp_eq_u32_e64 s1, 0, v182
	v_cndmask_b32_e64 v182, v41, v40, s1
; %bb.2619:                             ;   in Loop: Header=BB432_1571 Depth=1
	s_or_b32 exec_lo, exec_lo, s11
	v_lshlrev_b32_e32 v183, 16, v183
	s_delay_alu instid0(VALU_DEP_1) | instskip(NEXT) | instid1(VALU_DEP_1)
	v_mul_f32_e32 v40, v85, v183
	v_and_b32_e32 v183, 0x7f800000, v40
	s_delay_alu instid0(VALU_DEP_1) | instskip(NEXT) | instid1(VALU_DEP_1)
	v_cmp_ne_u32_e64 s1, 0x7f800000, v183
                                        ; implicit-def: $vgpr183
	s_and_saveexec_b32 s11, s1
	s_delay_alu instid0(SALU_CYCLE_1)
	s_xor_b32 s1, exec_lo, s11
; %bb.2620:                             ;   in Loop: Header=BB432_1571 Depth=1
	v_bfe_u32 v183, v40, 16, 1
	s_delay_alu instid0(VALU_DEP_1)
	v_add3_u32 v183, v40, v183, 0x7fff
                                        ; implicit-def: $vgpr40
; %bb.2621:                             ;   in Loop: Header=BB432_1571 Depth=1
	s_and_not1_saveexec_b32 s11, s1
; %bb.2622:                             ;   in Loop: Header=BB432_1571 Depth=1
	v_and_b32_e32 v183, 0xffff, v40
	v_or_b32_e32 v41, 0x10000, v40
	s_delay_alu instid0(VALU_DEP_2) | instskip(NEXT) | instid1(VALU_DEP_1)
	v_cmp_eq_u32_e64 s1, 0, v183
	v_cndmask_b32_e64 v183, v41, v40, s1
; %bb.2623:                             ;   in Loop: Header=BB432_1571 Depth=1
	s_or_b32 exec_lo, exec_lo, s11
	v_lshlrev_b32_e32 v9, 16, v9
	s_delay_alu instid0(VALU_DEP_1) | instskip(NEXT) | instid1(VALU_DEP_1)
	v_mul_f32_e32 v9, v86, v9
	v_and_b32_e32 v40, 0x7f800000, v9
	s_delay_alu instid0(VALU_DEP_1) | instskip(NEXT) | instid1(VALU_DEP_1)
	v_cmp_ne_u32_e64 s1, 0x7f800000, v40
                                        ; implicit-def: $vgpr40
	s_and_saveexec_b32 s11, s1
	s_delay_alu instid0(SALU_CYCLE_1)
	s_xor_b32 s1, exec_lo, s11
; %bb.2624:                             ;   in Loop: Header=BB432_1571 Depth=1
	v_bfe_u32 v40, v9, 16, 1
	s_delay_alu instid0(VALU_DEP_1)
	v_add3_u32 v40, v9, v40, 0x7fff
                                        ; implicit-def: $vgpr9
; %bb.2625:                             ;   in Loop: Header=BB432_1571 Depth=1
	s_and_not1_saveexec_b32 s11, s1
; %bb.2626:                             ;   in Loop: Header=BB432_1571 Depth=1
	v_and_b32_e32 v40, 0xffff, v9
	v_or_b32_e32 v41, 0x10000, v9
	s_delay_alu instid0(VALU_DEP_2) | instskip(NEXT) | instid1(VALU_DEP_1)
	v_cmp_eq_u32_e64 s1, 0, v40
	v_cndmask_b32_e64 v40, v41, v9, s1
; %bb.2627:                             ;   in Loop: Header=BB432_1571 Depth=1
	s_or_b32 exec_lo, exec_lo, s11
	v_lshlrev_b32_e32 v7, 16, v7
                                        ; implicit-def: $vgpr41
	s_delay_alu instid0(VALU_DEP_1) | instskip(NEXT) | instid1(VALU_DEP_1)
	v_mul_f32_e32 v7, v87, v7
	v_and_b32_e32 v9, 0x7f800000, v7
	s_delay_alu instid0(VALU_DEP_1) | instskip(NEXT) | instid1(VALU_DEP_1)
	v_cmp_ne_u32_e64 s1, 0x7f800000, v9
	s_and_saveexec_b32 s11, s1
	s_delay_alu instid0(SALU_CYCLE_1)
	s_xor_b32 s1, exec_lo, s11
; %bb.2628:                             ;   in Loop: Header=BB432_1571 Depth=1
	v_bfe_u32 v9, v7, 16, 1
	s_delay_alu instid0(VALU_DEP_1)
	v_add3_u32 v41, v7, v9, 0x7fff
                                        ; implicit-def: $vgpr7
; %bb.2629:                             ;   in Loop: Header=BB432_1571 Depth=1
	s_and_not1_saveexec_b32 s11, s1
; %bb.2630:                             ;   in Loop: Header=BB432_1571 Depth=1
	v_and_b32_e32 v9, 0xffff, v7
	v_or_b32_e32 v41, 0x10000, v7
	s_delay_alu instid0(VALU_DEP_2) | instskip(NEXT) | instid1(VALU_DEP_1)
	v_cmp_eq_u32_e64 s1, 0, v9
	v_cndmask_b32_e64 v41, v41, v7, s1
; %bb.2631:                             ;   in Loop: Header=BB432_1571 Depth=1
	s_or_b32 exec_lo, exec_lo, s11
	v_lshlrev_b32_e32 v6, 16, v6
                                        ; implicit-def: $vgpr42
	s_delay_alu instid0(VALU_DEP_1) | instskip(NEXT) | instid1(VALU_DEP_1)
	v_mul_f32_e32 v6, v96, v6
	v_and_b32_e32 v7, 0x7f800000, v6
	s_delay_alu instid0(VALU_DEP_1) | instskip(NEXT) | instid1(VALU_DEP_1)
	v_cmp_ne_u32_e64 s1, 0x7f800000, v7
	s_and_saveexec_b32 s11, s1
	s_delay_alu instid0(SALU_CYCLE_1)
	s_xor_b32 s1, exec_lo, s11
; %bb.2632:                             ;   in Loop: Header=BB432_1571 Depth=1
	v_bfe_u32 v7, v6, 16, 1
	s_delay_alu instid0(VALU_DEP_1)
	v_add3_u32 v42, v6, v7, 0x7fff
                                        ; implicit-def: $vgpr6
; %bb.2633:                             ;   in Loop: Header=BB432_1571 Depth=1
	s_and_not1_saveexec_b32 s11, s1
; %bb.2634:                             ;   in Loop: Header=BB432_1571 Depth=1
	v_and_b32_e32 v7, 0xffff, v6
	v_or_b32_e32 v9, 0x10000, v6
	s_delay_alu instid0(VALU_DEP_2) | instskip(NEXT) | instid1(VALU_DEP_1)
	v_cmp_eq_u32_e64 s1, 0, v7
	v_cndmask_b32_e64 v42, v9, v6, s1
; %bb.2635:                             ;   in Loop: Header=BB432_1571 Depth=1
	s_or_b32 exec_lo, exec_lo, s11
	v_lshlrev_b32_e32 v3, 16, v3
                                        ; implicit-def: $vgpr43
	s_delay_alu instid0(VALU_DEP_1) | instskip(NEXT) | instid1(VALU_DEP_1)
	v_mul_f32_e32 v3, v97, v3
	v_and_b32_e32 v6, 0x7f800000, v3
	s_delay_alu instid0(VALU_DEP_1) | instskip(NEXT) | instid1(VALU_DEP_1)
	v_cmp_ne_u32_e64 s1, 0x7f800000, v6
	s_and_saveexec_b32 s11, s1
	s_delay_alu instid0(SALU_CYCLE_1)
	s_xor_b32 s1, exec_lo, s11
; %bb.2636:                             ;   in Loop: Header=BB432_1571 Depth=1
	v_bfe_u32 v6, v3, 16, 1
	s_delay_alu instid0(VALU_DEP_1)
	v_add3_u32 v43, v3, v6, 0x7fff
                                        ; implicit-def: $vgpr3
; %bb.2637:                             ;   in Loop: Header=BB432_1571 Depth=1
	s_and_not1_saveexec_b32 s11, s1
; %bb.2638:                             ;   in Loop: Header=BB432_1571 Depth=1
	v_and_b32_e32 v6, 0xffff, v3
	v_or_b32_e32 v7, 0x10000, v3
	s_delay_alu instid0(VALU_DEP_2) | instskip(NEXT) | instid1(VALU_DEP_1)
	v_cmp_eq_u32_e64 s1, 0, v6
	v_cndmask_b32_e64 v43, v7, v3, s1
; %bb.2639:                             ;   in Loop: Header=BB432_1571 Depth=1
	s_or_b32 exec_lo, exec_lo, s11
	v_lshlrev_b32_e32 v2, 16, v2
                                        ; implicit-def: $vgpr44
	s_delay_alu instid0(VALU_DEP_1) | instskip(NEXT) | instid1(VALU_DEP_1)
	v_mul_f32_e32 v2, v98, v2
	v_and_b32_e32 v3, 0x7f800000, v2
	s_delay_alu instid0(VALU_DEP_1) | instskip(NEXT) | instid1(VALU_DEP_1)
	v_cmp_ne_u32_e64 s1, 0x7f800000, v3
	s_and_saveexec_b32 s11, s1
	s_delay_alu instid0(SALU_CYCLE_1)
	s_xor_b32 s1, exec_lo, s11
; %bb.2640:                             ;   in Loop: Header=BB432_1571 Depth=1
	v_bfe_u32 v3, v2, 16, 1
	s_delay_alu instid0(VALU_DEP_1)
	v_add3_u32 v44, v2, v3, 0x7fff
                                        ; implicit-def: $vgpr2
; %bb.2641:                             ;   in Loop: Header=BB432_1571 Depth=1
	s_and_not1_saveexec_b32 s11, s1
; %bb.2642:                             ;   in Loop: Header=BB432_1571 Depth=1
	v_and_b32_e32 v3, 0xffff, v2
	v_or_b32_e32 v6, 0x10000, v2
	s_delay_alu instid0(VALU_DEP_2) | instskip(NEXT) | instid1(VALU_DEP_1)
	v_cmp_eq_u32_e64 s1, 0, v3
	v_cndmask_b32_e64 v44, v6, v2, s1
; %bb.2643:                             ;   in Loop: Header=BB432_1571 Depth=1
	s_or_b32 exec_lo, exec_lo, s11
	flat_load_b64 v[2:3], v[0:1] offset:2048
	s_mov_b32 s11, exec_lo
	s_waitcnt vmcnt(0) lgkmcnt(0)
	v_dual_mov_b32 v6, 0 :: v_dual_and_b32 v7, 0xff, v2
	s_delay_alu instid0(VALU_DEP_1)
	v_cmpx_ne_u16_e32 0, v7
	s_cbranch_execz .LBB432_2651
; %bb.2644:                             ;   in Loop: Header=BB432_1571 Depth=1
	v_bfrev_b32_e32 v6, 1
	s_mov_b32 s12, exec_lo
	v_cmpx_ne_u16_e32 0x80, v7
	s_cbranch_execz .LBB432_2650
; %bb.2645:                             ;   in Loop: Header=BB432_1571 Depth=1
	v_and_b32_e32 v7, 0x7f, v2
	v_mov_b32_e32 v6, 0x7f800001
	s_mov_b32 s13, exec_lo
	s_delay_alu instid0(VALU_DEP_2)
	v_cmpx_ne_u32_e32 0x7f, v7
	s_cbranch_execz .LBB432_2649
; %bb.2646:                             ;   in Loop: Header=BB432_1571 Depth=1
	v_lshrrev_b32_e32 v9, 3, v7
	v_cmp_gt_u32_e64 s1, 8, v7
	v_dual_mov_b32 v7, v3 :: v_dual_mov_b32 v6, v2
	s_delay_alu instid0(VALU_DEP_2)
	s_and_saveexec_b32 s15, s1
; %bb.2647:                             ;   in Loop: Header=BB432_1571 Depth=1
	v_and_b32_e32 v6, 7, v2
	s_delay_alu instid0(VALU_DEP_1) | instskip(NEXT) | instid1(VALU_DEP_1)
	v_clz_i32_u32_e32 v6, v6
	v_min_u32_e32 v9, 32, v6
	s_delay_alu instid0(VALU_DEP_1) | instskip(SKIP_1) | instid1(VALU_DEP_2)
	v_subrev_nc_u32_e32 v6, 28, v9
	v_sub_nc_u32_e32 v9, 29, v9
	v_lshlrev_b64 v[6:7], v6, v[2:3]
; %bb.2648:                             ;   in Loop: Header=BB432_1571 Depth=1
	s_or_b32 exec_lo, exec_lo, s15
	s_delay_alu instid0(VALU_DEP_1) | instskip(SKIP_2) | instid1(VALU_DEP_3)
	v_lshlrev_b32_e32 v6, 20, v6
	v_lshlrev_b32_e32 v7, 24, v2
	v_lshl_add_u32 v9, v9, 23, 0x3c000000
	v_and_b32_e32 v6, 0x700000, v6
	s_delay_alu instid0(VALU_DEP_3) | instskip(NEXT) | instid1(VALU_DEP_1)
	v_and_b32_e32 v7, 0x80000000, v7
	v_or3_b32 v6, v6, v7, v9
.LBB432_2649:                           ;   in Loop: Header=BB432_1571 Depth=1
	s_or_b32 exec_lo, exec_lo, s13
.LBB432_2650:                           ;   in Loop: Header=BB432_1571 Depth=1
	s_delay_alu instid0(SALU_CYCLE_1)
	s_or_b32 exec_lo, exec_lo, s12
.LBB432_2651:                           ;   in Loop: Header=BB432_1571 Depth=1
	s_delay_alu instid0(SALU_CYCLE_1) | instskip(NEXT) | instid1(VALU_DEP_1)
	s_or_b32 exec_lo, exec_lo, s11
	v_mul_f32_e32 v6, v26, v6
                                        ; implicit-def: $vgpr45
	s_delay_alu instid0(VALU_DEP_1) | instskip(NEXT) | instid1(VALU_DEP_1)
	v_and_b32_e32 v7, 0x7f800000, v6
	v_cmp_ne_u32_e64 s1, 0x7f800000, v7
	s_delay_alu instid0(VALU_DEP_1) | instskip(NEXT) | instid1(SALU_CYCLE_1)
	s_and_saveexec_b32 s11, s1
	s_xor_b32 s1, exec_lo, s11
; %bb.2652:                             ;   in Loop: Header=BB432_1571 Depth=1
	v_bfe_u32 v7, v6, 16, 1
	s_delay_alu instid0(VALU_DEP_1)
	v_add3_u32 v45, v6, v7, 0x7fff
                                        ; implicit-def: $vgpr6
; %bb.2653:                             ;   in Loop: Header=BB432_1571 Depth=1
	s_and_not1_saveexec_b32 s11, s1
; %bb.2654:                             ;   in Loop: Header=BB432_1571 Depth=1
	v_and_b32_e32 v7, 0xffff, v6
	v_or_b32_e32 v9, 0x10000, v6
	s_delay_alu instid0(VALU_DEP_2) | instskip(NEXT) | instid1(VALU_DEP_1)
	v_cmp_eq_u32_e64 s1, 0, v7
	v_cndmask_b32_e64 v45, v9, v6, s1
; %bb.2655:                             ;   in Loop: Header=BB432_1571 Depth=1
	s_or_b32 exec_lo, exec_lo, s11
	v_lshrrev_b16 v7, 8, v2
	v_mov_b32_e32 v6, 0
	s_mov_b32 s11, exec_lo
	s_delay_alu instid0(VALU_DEP_2)
	v_cmpx_ne_u16_e32 0, v7
	s_cbranch_execz .LBB432_2663
; %bb.2656:                             ;   in Loop: Header=BB432_1571 Depth=1
	v_bfrev_b32_e32 v6, 1
	s_mov_b32 s12, exec_lo
	v_cmpx_ne_u16_e32 0x80, v7
	s_cbranch_execz .LBB432_2662
; %bb.2657:                             ;   in Loop: Header=BB432_1571 Depth=1
	v_and_b32_e32 v9, 0xffff, v7
	v_mov_b32_e32 v6, 0x7f800001
	s_mov_b32 s13, exec_lo
	s_delay_alu instid0(VALU_DEP_2) | instskip(NEXT) | instid1(VALU_DEP_1)
	v_and_b32_e32 v7, 0x7f, v9
	v_cmpx_ne_u32_e32 0x7f, v7
	s_cbranch_execz .LBB432_2661
; %bb.2658:                             ;   in Loop: Header=BB432_1571 Depth=1
	v_and_b32_e32 v9, 7, v9
	v_lshrrev_b32_e32 v46, 3, v7
	v_cmp_gt_u32_e64 s1, 8, v7
	s_delay_alu instid0(VALU_DEP_3) | instskip(NEXT) | instid1(VALU_DEP_2)
	v_dual_mov_b32 v6, v9 :: v_dual_mov_b32 v7, v10
	s_and_saveexec_b32 s15, s1
; %bb.2659:                             ;   in Loop: Header=BB432_1571 Depth=1
	v_clz_i32_u32_e32 v6, v9
	s_delay_alu instid0(VALU_DEP_1) | instskip(NEXT) | instid1(VALU_DEP_1)
	v_min_u32_e32 v46, 32, v6
	v_subrev_nc_u32_e32 v6, 28, v46
	v_sub_nc_u32_e32 v46, 29, v46
	s_delay_alu instid0(VALU_DEP_2) | instskip(NEXT) | instid1(VALU_DEP_1)
	v_lshlrev_b64 v[6:7], v6, v[9:10]
	v_and_b32_e32 v6, 7, v6
; %bb.2660:                             ;   in Loop: Header=BB432_1571 Depth=1
	s_or_b32 exec_lo, exec_lo, s15
	v_lshlrev_b32_e32 v7, 16, v2
	s_delay_alu instid0(VALU_DEP_2) | instskip(SKIP_1) | instid1(VALU_DEP_3)
	v_lshlrev_b32_e32 v6, 20, v6
	v_lshl_add_u32 v9, v46, 23, 0x3c000000
	v_and_b32_e32 v7, 0x80000000, v7
	s_delay_alu instid0(VALU_DEP_1)
	v_or3_b32 v6, v6, v7, v9
.LBB432_2661:                           ;   in Loop: Header=BB432_1571 Depth=1
	s_or_b32 exec_lo, exec_lo, s13
.LBB432_2662:                           ;   in Loop: Header=BB432_1571 Depth=1
	s_delay_alu instid0(SALU_CYCLE_1)
	s_or_b32 exec_lo, exec_lo, s12
.LBB432_2663:                           ;   in Loop: Header=BB432_1571 Depth=1
	s_delay_alu instid0(SALU_CYCLE_1) | instskip(NEXT) | instid1(VALU_DEP_1)
	s_or_b32 exec_lo, exec_lo, s11
	v_mul_f32_e32 v6, v26, v6
                                        ; implicit-def: $vgpr46
	s_delay_alu instid0(VALU_DEP_1) | instskip(NEXT) | instid1(VALU_DEP_1)
	v_and_b32_e32 v7, 0x7f800000, v6
	v_cmp_ne_u32_e64 s1, 0x7f800000, v7
	s_delay_alu instid0(VALU_DEP_1) | instskip(NEXT) | instid1(SALU_CYCLE_1)
	s_and_saveexec_b32 s11, s1
	s_xor_b32 s1, exec_lo, s11
; %bb.2664:                             ;   in Loop: Header=BB432_1571 Depth=1
	v_bfe_u32 v7, v6, 16, 1
	s_delay_alu instid0(VALU_DEP_1)
	v_add3_u32 v46, v6, v7, 0x7fff
                                        ; implicit-def: $vgpr6
; %bb.2665:                             ;   in Loop: Header=BB432_1571 Depth=1
	s_and_not1_saveexec_b32 s11, s1
; %bb.2666:                             ;   in Loop: Header=BB432_1571 Depth=1
	v_and_b32_e32 v7, 0xffff, v6
	v_or_b32_e32 v9, 0x10000, v6
	s_delay_alu instid0(VALU_DEP_2) | instskip(NEXT) | instid1(VALU_DEP_1)
	v_cmp_eq_u32_e64 s1, 0, v7
	v_cndmask_b32_e64 v46, v9, v6, s1
; %bb.2667:                             ;   in Loop: Header=BB432_1571 Depth=1
	s_or_b32 exec_lo, exec_lo, s11
	v_lshrrev_b32_e32 v47, 16, v2
	s_mov_b32 s11, exec_lo
	s_delay_alu instid0(VALU_DEP_1) | instskip(NEXT) | instid1(VALU_DEP_1)
	v_dual_mov_b32 v6, 0 :: v_dual_and_b32 v7, 0xff, v47
	v_cmpx_ne_u16_e32 0, v7
	s_cbranch_execz .LBB432_2675
; %bb.2668:                             ;   in Loop: Header=BB432_1571 Depth=1
	v_bfrev_b32_e32 v6, 1
	s_mov_b32 s12, exec_lo
	v_cmpx_ne_u16_e32 0x80, v7
	s_cbranch_execz .LBB432_2674
; %bb.2669:                             ;   in Loop: Header=BB432_1571 Depth=1
	v_bfe_u32 v7, v2, 16, 7
	v_mov_b32_e32 v6, 0x7f800001
	s_mov_b32 s13, exec_lo
	s_delay_alu instid0(VALU_DEP_2)
	v_cmpx_ne_u32_e32 0x7f, v7
	s_cbranch_execz .LBB432_2673
; %bb.2670:                             ;   in Loop: Header=BB432_1571 Depth=1
	v_and_b32_e32 v9, 7, v47
	v_lshrrev_b32_e32 v56, 3, v7
	v_cmp_gt_u32_e64 s1, 8, v7
	s_delay_alu instid0(VALU_DEP_3) | instskip(NEXT) | instid1(VALU_DEP_2)
	v_dual_mov_b32 v6, v9 :: v_dual_mov_b32 v7, v10
	s_and_saveexec_b32 s15, s1
; %bb.2671:                             ;   in Loop: Header=BB432_1571 Depth=1
	v_clz_i32_u32_e32 v6, v9
	s_delay_alu instid0(VALU_DEP_1) | instskip(NEXT) | instid1(VALU_DEP_1)
	v_min_u32_e32 v56, 32, v6
	v_subrev_nc_u32_e32 v6, 28, v56
	v_sub_nc_u32_e32 v56, 29, v56
	s_delay_alu instid0(VALU_DEP_2) | instskip(NEXT) | instid1(VALU_DEP_1)
	v_lshlrev_b64 v[6:7], v6, v[9:10]
	v_and_b32_e32 v6, 7, v6
; %bb.2672:                             ;   in Loop: Header=BB432_1571 Depth=1
	s_or_b32 exec_lo, exec_lo, s15
	v_lshlrev_b32_e32 v7, 24, v47
	s_delay_alu instid0(VALU_DEP_2) | instskip(SKIP_1) | instid1(VALU_DEP_3)
	v_lshlrev_b32_e32 v6, 20, v6
	v_lshl_add_u32 v9, v56, 23, 0x3c000000
	v_and_b32_e32 v7, 0x80000000, v7
	s_delay_alu instid0(VALU_DEP_1)
	v_or3_b32 v6, v6, v7, v9
.LBB432_2673:                           ;   in Loop: Header=BB432_1571 Depth=1
	s_or_b32 exec_lo, exec_lo, s13
.LBB432_2674:                           ;   in Loop: Header=BB432_1571 Depth=1
	s_delay_alu instid0(SALU_CYCLE_1)
	s_or_b32 exec_lo, exec_lo, s12
.LBB432_2675:                           ;   in Loop: Header=BB432_1571 Depth=1
	s_delay_alu instid0(SALU_CYCLE_1) | instskip(NEXT) | instid1(VALU_DEP_1)
	s_or_b32 exec_lo, exec_lo, s11
	v_mul_f32_e32 v6, v26, v6
                                        ; implicit-def: $vgpr47
	s_delay_alu instid0(VALU_DEP_1) | instskip(NEXT) | instid1(VALU_DEP_1)
	v_and_b32_e32 v7, 0x7f800000, v6
	v_cmp_ne_u32_e64 s1, 0x7f800000, v7
	s_delay_alu instid0(VALU_DEP_1) | instskip(NEXT) | instid1(SALU_CYCLE_1)
	s_and_saveexec_b32 s11, s1
	s_xor_b32 s1, exec_lo, s11
; %bb.2676:                             ;   in Loop: Header=BB432_1571 Depth=1
	v_bfe_u32 v7, v6, 16, 1
	s_delay_alu instid0(VALU_DEP_1)
	v_add3_u32 v47, v6, v7, 0x7fff
                                        ; implicit-def: $vgpr6
; %bb.2677:                             ;   in Loop: Header=BB432_1571 Depth=1
	s_and_not1_saveexec_b32 s11, s1
; %bb.2678:                             ;   in Loop: Header=BB432_1571 Depth=1
	v_and_b32_e32 v7, 0xffff, v6
	v_or_b32_e32 v9, 0x10000, v6
	s_delay_alu instid0(VALU_DEP_2) | instskip(NEXT) | instid1(VALU_DEP_1)
	v_cmp_eq_u32_e64 s1, 0, v7
	v_cndmask_b32_e64 v47, v9, v6, s1
; %bb.2679:                             ;   in Loop: Header=BB432_1571 Depth=1
	s_or_b32 exec_lo, exec_lo, s11
	v_mov_b32_e32 v6, 0
	s_mov_b32 s11, exec_lo
	v_cmpx_lt_u32_e32 0xffffff, v2
	s_cbranch_execz .LBB432_2687
; %bb.2680:                             ;   in Loop: Header=BB432_1571 Depth=1
	v_lshrrev_b32_e32 v56, 24, v2
	v_bfrev_b32_e32 v6, 1
	s_mov_b32 s12, exec_lo
	s_delay_alu instid0(VALU_DEP_2)
	v_cmpx_ne_u32_e32 0x80, v56
	s_cbranch_execz .LBB432_2686
; %bb.2681:                             ;   in Loop: Header=BB432_1571 Depth=1
	v_bfe_u32 v7, v2, 24, 7
	v_mov_b32_e32 v6, 0x7f800001
	s_mov_b32 s13, exec_lo
	s_delay_alu instid0(VALU_DEP_2)
	v_cmpx_ne_u32_e32 0x7f, v7
	s_cbranch_execz .LBB432_2685
; %bb.2682:                             ;   in Loop: Header=BB432_1571 Depth=1
	v_and_b32_e32 v9, 7, v56
	v_lshrrev_b32_e32 v57, 3, v7
	v_cmp_gt_u32_e64 s1, 8, v7
	s_delay_alu instid0(VALU_DEP_3) | instskip(NEXT) | instid1(VALU_DEP_2)
	v_dual_mov_b32 v6, v9 :: v_dual_mov_b32 v7, v10
	s_and_saveexec_b32 s15, s1
; %bb.2683:                             ;   in Loop: Header=BB432_1571 Depth=1
	v_clz_i32_u32_e32 v6, v9
	s_delay_alu instid0(VALU_DEP_1) | instskip(NEXT) | instid1(VALU_DEP_1)
	v_min_u32_e32 v57, 32, v6
	v_subrev_nc_u32_e32 v6, 28, v57
	v_sub_nc_u32_e32 v57, 29, v57
	s_delay_alu instid0(VALU_DEP_2) | instskip(NEXT) | instid1(VALU_DEP_1)
	v_lshlrev_b64 v[6:7], v6, v[9:10]
	v_and_b32_e32 v6, 7, v6
; %bb.2684:                             ;   in Loop: Header=BB432_1571 Depth=1
	s_or_b32 exec_lo, exec_lo, s15
	v_lshlrev_b32_e32 v7, 24, v56
	s_delay_alu instid0(VALU_DEP_2) | instskip(SKIP_1) | instid1(VALU_DEP_3)
	v_lshlrev_b32_e32 v6, 20, v6
	v_lshl_add_u32 v9, v57, 23, 0x3c000000
	v_and_b32_e32 v7, 0x80000000, v7
	s_delay_alu instid0(VALU_DEP_1)
	v_or3_b32 v6, v6, v7, v9
.LBB432_2685:                           ;   in Loop: Header=BB432_1571 Depth=1
	s_or_b32 exec_lo, exec_lo, s13
.LBB432_2686:                           ;   in Loop: Header=BB432_1571 Depth=1
	s_delay_alu instid0(SALU_CYCLE_1)
	s_or_b32 exec_lo, exec_lo, s12
.LBB432_2687:                           ;   in Loop: Header=BB432_1571 Depth=1
	s_delay_alu instid0(SALU_CYCLE_1) | instskip(NEXT) | instid1(VALU_DEP_1)
	s_or_b32 exec_lo, exec_lo, s11
	v_mul_f32_e32 v6, v26, v6
                                        ; implicit-def: $vgpr56
	s_delay_alu instid0(VALU_DEP_1) | instskip(NEXT) | instid1(VALU_DEP_1)
	v_and_b32_e32 v7, 0x7f800000, v6
	v_cmp_ne_u32_e64 s1, 0x7f800000, v7
	s_delay_alu instid0(VALU_DEP_1) | instskip(NEXT) | instid1(SALU_CYCLE_1)
	s_and_saveexec_b32 s11, s1
	s_xor_b32 s1, exec_lo, s11
; %bb.2688:                             ;   in Loop: Header=BB432_1571 Depth=1
	v_bfe_u32 v7, v6, 16, 1
	s_delay_alu instid0(VALU_DEP_1)
	v_add3_u32 v56, v6, v7, 0x7fff
                                        ; implicit-def: $vgpr6
; %bb.2689:                             ;   in Loop: Header=BB432_1571 Depth=1
	s_and_not1_saveexec_b32 s11, s1
; %bb.2690:                             ;   in Loop: Header=BB432_1571 Depth=1
	v_and_b32_e32 v7, 0xffff, v6
	v_or_b32_e32 v9, 0x10000, v6
	s_delay_alu instid0(VALU_DEP_2) | instskip(NEXT) | instid1(VALU_DEP_1)
	v_cmp_eq_u32_e64 s1, 0, v7
	v_cndmask_b32_e64 v56, v9, v6, s1
; %bb.2691:                             ;   in Loop: Header=BB432_1571 Depth=1
	s_or_b32 exec_lo, exec_lo, s11
	v_dual_mov_b32 v6, 0 :: v_dual_and_b32 v7, 0xff, v3
	v_mov_b32_e32 v9, v3
	s_mov_b32 s11, exec_lo
	s_delay_alu instid0(VALU_DEP_2)
	v_cmpx_ne_u16_e32 0, v7
	s_cbranch_execz .LBB432_2699
; %bb.2692:                             ;   in Loop: Header=BB432_1571 Depth=1
	v_bfrev_b32_e32 v6, 1
	s_mov_b32 s12, exec_lo
	v_cmpx_ne_u16_e32 0x80, v7
	s_cbranch_execz .LBB432_2698
; %bb.2693:                             ;   in Loop: Header=BB432_1571 Depth=1
	v_and_b32_e32 v7, 0x7f, v3
	v_mov_b32_e32 v6, 0x7f800001
	s_mov_b32 s13, exec_lo
	s_delay_alu instid0(VALU_DEP_2)
	v_cmpx_ne_u32_e32 0x7f, v7
	s_cbranch_execz .LBB432_2697
; %bb.2694:                             ;   in Loop: Header=BB432_1571 Depth=1
	v_lshrrev_b32_e32 v57, 3, v7
	v_cmp_gt_u32_e64 s1, 8, v7
	v_dual_mov_b32 v6, v9 :: v_dual_mov_b32 v7, v10
	s_delay_alu instid0(VALU_DEP_2)
	s_and_saveexec_b32 s15, s1
; %bb.2695:                             ;   in Loop: Header=BB432_1571 Depth=1
	v_and_b32_e32 v6, 7, v3
	s_delay_alu instid0(VALU_DEP_1) | instskip(NEXT) | instid1(VALU_DEP_1)
	v_clz_i32_u32_e32 v6, v6
	v_min_u32_e32 v57, 32, v6
	s_delay_alu instid0(VALU_DEP_1) | instskip(SKIP_1) | instid1(VALU_DEP_2)
	v_subrev_nc_u32_e32 v6, 28, v57
	v_sub_nc_u32_e32 v57, 29, v57
	v_lshlrev_b64 v[6:7], v6, v[9:10]
; %bb.2696:                             ;   in Loop: Header=BB432_1571 Depth=1
	s_or_b32 exec_lo, exec_lo, s15
	s_delay_alu instid0(VALU_DEP_1) | instskip(SKIP_2) | instid1(VALU_DEP_3)
	v_lshlrev_b32_e32 v6, 20, v6
	v_lshlrev_b32_e32 v7, 24, v9
	v_lshl_add_u32 v57, v57, 23, 0x3c000000
	v_and_b32_e32 v6, 0x700000, v6
	s_delay_alu instid0(VALU_DEP_3) | instskip(NEXT) | instid1(VALU_DEP_1)
	v_and_b32_e32 v7, 0x80000000, v7
	v_or3_b32 v6, v6, v7, v57
.LBB432_2697:                           ;   in Loop: Header=BB432_1571 Depth=1
	s_or_b32 exec_lo, exec_lo, s13
.LBB432_2698:                           ;   in Loop: Header=BB432_1571 Depth=1
	s_delay_alu instid0(SALU_CYCLE_1)
	s_or_b32 exec_lo, exec_lo, s12
.LBB432_2699:                           ;   in Loop: Header=BB432_1571 Depth=1
	s_delay_alu instid0(SALU_CYCLE_1) | instskip(NEXT) | instid1(VALU_DEP_1)
	s_or_b32 exec_lo, exec_lo, s11
	v_mul_f32_e32 v6, v26, v6
                                        ; implicit-def: $vgpr57
	s_delay_alu instid0(VALU_DEP_1) | instskip(NEXT) | instid1(VALU_DEP_1)
	v_and_b32_e32 v7, 0x7f800000, v6
	v_cmp_ne_u32_e64 s1, 0x7f800000, v7
	s_delay_alu instid0(VALU_DEP_1) | instskip(NEXT) | instid1(SALU_CYCLE_1)
	s_and_saveexec_b32 s11, s1
	s_xor_b32 s1, exec_lo, s11
; %bb.2700:                             ;   in Loop: Header=BB432_1571 Depth=1
	v_bfe_u32 v7, v6, 16, 1
	s_delay_alu instid0(VALU_DEP_1)
	v_add3_u32 v57, v6, v7, 0x7fff
                                        ; implicit-def: $vgpr6
; %bb.2701:                             ;   in Loop: Header=BB432_1571 Depth=1
	s_and_not1_saveexec_b32 s11, s1
; %bb.2702:                             ;   in Loop: Header=BB432_1571 Depth=1
	v_and_b32_e32 v7, 0xffff, v6
	v_or_b32_e32 v57, 0x10000, v6
	s_delay_alu instid0(VALU_DEP_2) | instskip(NEXT) | instid1(VALU_DEP_1)
	v_cmp_eq_u32_e64 s1, 0, v7
	v_cndmask_b32_e64 v57, v57, v6, s1
; %bb.2703:                             ;   in Loop: Header=BB432_1571 Depth=1
	s_or_b32 exec_lo, exec_lo, s11
	v_lshrrev_b16 v7, 8, v9
	v_mov_b32_e32 v6, 0
	s_mov_b32 s11, exec_lo
	s_delay_alu instid0(VALU_DEP_2)
	v_cmpx_ne_u16_e32 0, v7
	s_cbranch_execz .LBB432_2711
; %bb.2704:                             ;   in Loop: Header=BB432_1571 Depth=1
	v_bfrev_b32_e32 v6, 1
	s_mov_b32 s12, exec_lo
	v_cmpx_ne_u16_e32 0x80, v7
	s_cbranch_execz .LBB432_2710
; %bb.2705:                             ;   in Loop: Header=BB432_1571 Depth=1
	v_and_b32_e32 v7, 0xffff, v7
	v_mov_b32_e32 v6, 0x7f800001
	s_mov_b32 s13, exec_lo
	s_delay_alu instid0(VALU_DEP_2) | instskip(NEXT) | instid1(VALU_DEP_1)
	v_and_b32_e32 v59, 0x7f, v7
	v_cmpx_ne_u32_e32 0x7f, v59
	s_cbranch_execz .LBB432_2709
; %bb.2706:                             ;   in Loop: Header=BB432_1571 Depth=1
	v_dual_mov_b32 v7, v10 :: v_dual_and_b32 v6, 7, v7
	v_lshrrev_b32_e32 v58, 3, v59
	s_mov_b32 s15, exec_lo
	v_cmpx_gt_u32_e32 8, v59
; %bb.2707:                             ;   in Loop: Header=BB432_1571 Depth=1
	s_delay_alu instid0(VALU_DEP_3) | instskip(NEXT) | instid1(VALU_DEP_1)
	v_clz_i32_u32_e32 v58, v6
	v_min_u32_e32 v58, 32, v58
	s_delay_alu instid0(VALU_DEP_1) | instskip(SKIP_1) | instid1(VALU_DEP_2)
	v_subrev_nc_u32_e32 v59, 28, v58
	v_sub_nc_u32_e32 v58, 29, v58
	v_lshlrev_b64 v[6:7], v59, v[6:7]
	s_delay_alu instid0(VALU_DEP_1)
	v_and_b32_e32 v6, 7, v6
; %bb.2708:                             ;   in Loop: Header=BB432_1571 Depth=1
	s_or_b32 exec_lo, exec_lo, s15
	v_lshlrev_b32_e32 v7, 16, v9
	s_delay_alu instid0(VALU_DEP_2) | instskip(SKIP_1) | instid1(VALU_DEP_3)
	v_lshlrev_b32_e32 v6, 20, v6
	v_lshl_add_u32 v9, v58, 23, 0x3c000000
	v_and_b32_e32 v7, 0x80000000, v7
	s_delay_alu instid0(VALU_DEP_1)
	v_or3_b32 v6, v6, v7, v9
.LBB432_2709:                           ;   in Loop: Header=BB432_1571 Depth=1
	s_or_b32 exec_lo, exec_lo, s13
.LBB432_2710:                           ;   in Loop: Header=BB432_1571 Depth=1
	s_delay_alu instid0(SALU_CYCLE_1)
	s_or_b32 exec_lo, exec_lo, s12
.LBB432_2711:                           ;   in Loop: Header=BB432_1571 Depth=1
	s_delay_alu instid0(SALU_CYCLE_1) | instskip(NEXT) | instid1(VALU_DEP_1)
	s_or_b32 exec_lo, exec_lo, s11
	v_mul_f32_e32 v6, v26, v6
                                        ; implicit-def: $vgpr58
	s_delay_alu instid0(VALU_DEP_1) | instskip(NEXT) | instid1(VALU_DEP_1)
	v_and_b32_e32 v7, 0x7f800000, v6
	v_cmp_ne_u32_e64 s1, 0x7f800000, v7
	s_delay_alu instid0(VALU_DEP_1) | instskip(NEXT) | instid1(SALU_CYCLE_1)
	s_and_saveexec_b32 s11, s1
	s_xor_b32 s1, exec_lo, s11
; %bb.2712:                             ;   in Loop: Header=BB432_1571 Depth=1
	v_bfe_u32 v7, v6, 16, 1
	s_delay_alu instid0(VALU_DEP_1)
	v_add3_u32 v58, v6, v7, 0x7fff
                                        ; implicit-def: $vgpr6
; %bb.2713:                             ;   in Loop: Header=BB432_1571 Depth=1
	s_and_not1_saveexec_b32 s11, s1
; %bb.2714:                             ;   in Loop: Header=BB432_1571 Depth=1
	v_and_b32_e32 v7, 0xffff, v6
	v_or_b32_e32 v9, 0x10000, v6
	s_delay_alu instid0(VALU_DEP_2) | instskip(NEXT) | instid1(VALU_DEP_1)
	v_cmp_eq_u32_e64 s1, 0, v7
	v_cndmask_b32_e64 v58, v9, v6, s1
; %bb.2715:                             ;   in Loop: Header=BB432_1571 Depth=1
	s_or_b32 exec_lo, exec_lo, s11
	v_lshrrev_b32_e32 v59, 16, v3
	s_mov_b32 s11, exec_lo
	s_delay_alu instid0(VALU_DEP_1) | instskip(NEXT) | instid1(VALU_DEP_1)
	v_dual_mov_b32 v6, 0 :: v_dual_and_b32 v7, 0xff, v59
	v_cmpx_ne_u16_e32 0, v7
	s_cbranch_execz .LBB432_2723
; %bb.2716:                             ;   in Loop: Header=BB432_1571 Depth=1
	v_bfrev_b32_e32 v6, 1
	s_mov_b32 s12, exec_lo
	v_cmpx_ne_u16_e32 0x80, v7
	s_cbranch_execz .LBB432_2722
; %bb.2717:                             ;   in Loop: Header=BB432_1571 Depth=1
	v_bfe_u32 v7, v3, 16, 7
	v_mov_b32_e32 v6, 0x7f800001
	s_mov_b32 s13, exec_lo
	s_delay_alu instid0(VALU_DEP_2)
	v_cmpx_ne_u32_e32 0x7f, v7
	s_cbranch_execz .LBB432_2721
; %bb.2718:                             ;   in Loop: Header=BB432_1571 Depth=1
	v_and_b32_e32 v9, 7, v59
	v_lshrrev_b32_e32 v60, 3, v7
	v_cmp_gt_u32_e64 s1, 8, v7
	s_delay_alu instid0(VALU_DEP_3) | instskip(NEXT) | instid1(VALU_DEP_2)
	v_dual_mov_b32 v6, v9 :: v_dual_mov_b32 v7, v10
	s_and_saveexec_b32 s15, s1
; %bb.2719:                             ;   in Loop: Header=BB432_1571 Depth=1
	v_clz_i32_u32_e32 v6, v9
	s_delay_alu instid0(VALU_DEP_1) | instskip(NEXT) | instid1(VALU_DEP_1)
	v_min_u32_e32 v60, 32, v6
	v_subrev_nc_u32_e32 v6, 28, v60
	v_sub_nc_u32_e32 v60, 29, v60
	s_delay_alu instid0(VALU_DEP_2) | instskip(NEXT) | instid1(VALU_DEP_1)
	v_lshlrev_b64 v[6:7], v6, v[9:10]
	v_and_b32_e32 v6, 7, v6
; %bb.2720:                             ;   in Loop: Header=BB432_1571 Depth=1
	s_or_b32 exec_lo, exec_lo, s15
	v_lshlrev_b32_e32 v7, 24, v59
	s_delay_alu instid0(VALU_DEP_2) | instskip(SKIP_1) | instid1(VALU_DEP_3)
	v_lshlrev_b32_e32 v6, 20, v6
	v_lshl_add_u32 v9, v60, 23, 0x3c000000
	v_and_b32_e32 v7, 0x80000000, v7
	s_delay_alu instid0(VALU_DEP_1)
	v_or3_b32 v6, v6, v7, v9
.LBB432_2721:                           ;   in Loop: Header=BB432_1571 Depth=1
	s_or_b32 exec_lo, exec_lo, s13
.LBB432_2722:                           ;   in Loop: Header=BB432_1571 Depth=1
	s_delay_alu instid0(SALU_CYCLE_1)
	s_or_b32 exec_lo, exec_lo, s12
.LBB432_2723:                           ;   in Loop: Header=BB432_1571 Depth=1
	s_delay_alu instid0(SALU_CYCLE_1) | instskip(NEXT) | instid1(VALU_DEP_1)
	s_or_b32 exec_lo, exec_lo, s11
	v_mul_f32_e32 v6, v26, v6
                                        ; implicit-def: $vgpr59
	s_delay_alu instid0(VALU_DEP_1) | instskip(NEXT) | instid1(VALU_DEP_1)
	v_and_b32_e32 v7, 0x7f800000, v6
	v_cmp_ne_u32_e64 s1, 0x7f800000, v7
	s_delay_alu instid0(VALU_DEP_1) | instskip(NEXT) | instid1(SALU_CYCLE_1)
	s_and_saveexec_b32 s11, s1
	s_xor_b32 s1, exec_lo, s11
; %bb.2724:                             ;   in Loop: Header=BB432_1571 Depth=1
	v_bfe_u32 v7, v6, 16, 1
	s_delay_alu instid0(VALU_DEP_1)
	v_add3_u32 v59, v6, v7, 0x7fff
                                        ; implicit-def: $vgpr6
; %bb.2725:                             ;   in Loop: Header=BB432_1571 Depth=1
	s_and_not1_saveexec_b32 s11, s1
; %bb.2726:                             ;   in Loop: Header=BB432_1571 Depth=1
	v_and_b32_e32 v7, 0xffff, v6
	v_or_b32_e32 v9, 0x10000, v6
	s_delay_alu instid0(VALU_DEP_2) | instskip(NEXT) | instid1(VALU_DEP_1)
	v_cmp_eq_u32_e64 s1, 0, v7
	v_cndmask_b32_e64 v59, v9, v6, s1
; %bb.2727:                             ;   in Loop: Header=BB432_1571 Depth=1
	s_or_b32 exec_lo, exec_lo, s11
	v_cmp_lt_u64_e64 s1, s[2:3], v[2:3]
	v_mov_b32_e32 v2, 0
	s_delay_alu instid0(VALU_DEP_2)
	s_and_saveexec_b32 s11, s1
	s_cbranch_execz .LBB432_2735
; %bb.2728:                             ;   in Loop: Header=BB432_1571 Depth=1
	v_lshrrev_b32_e32 v6, 24, v3
	v_bfrev_b32_e32 v2, 1
	s_mov_b32 s12, exec_lo
	s_delay_alu instid0(VALU_DEP_2)
	v_cmpx_ne_u32_e32 0x80, v6
	s_cbranch_execz .LBB432_2734
; %bb.2729:                             ;   in Loop: Header=BB432_1571 Depth=1
	v_bfe_u32 v3, v3, 24, 7
	v_mov_b32_e32 v2, 0x7f800001
	s_mov_b32 s13, exec_lo
	s_delay_alu instid0(VALU_DEP_2)
	v_cmpx_ne_u32_e32 0x7f, v3
	s_cbranch_execz .LBB432_2733
; %bb.2730:                             ;   in Loop: Header=BB432_1571 Depth=1
	v_and_b32_e32 v9, 7, v6
	v_lshrrev_b32_e32 v7, 3, v3
	v_cmp_gt_u32_e64 s1, 8, v3
	s_delay_alu instid0(VALU_DEP_3) | instskip(NEXT) | instid1(VALU_DEP_2)
	v_dual_mov_b32 v2, v9 :: v_dual_mov_b32 v3, v10
	s_and_saveexec_b32 s15, s1
; %bb.2731:                             ;   in Loop: Header=BB432_1571 Depth=1
	v_clz_i32_u32_e32 v2, v9
	s_delay_alu instid0(VALU_DEP_1) | instskip(NEXT) | instid1(VALU_DEP_1)
	v_min_u32_e32 v7, 32, v2
	v_subrev_nc_u32_e32 v2, 28, v7
	v_sub_nc_u32_e32 v7, 29, v7
	s_delay_alu instid0(VALU_DEP_2) | instskip(NEXT) | instid1(VALU_DEP_1)
	v_lshlrev_b64 v[2:3], v2, v[9:10]
	v_and_b32_e32 v2, 7, v2
; %bb.2732:                             ;   in Loop: Header=BB432_1571 Depth=1
	s_or_b32 exec_lo, exec_lo, s15
	v_lshlrev_b32_e32 v3, 24, v6
	s_delay_alu instid0(VALU_DEP_2) | instskip(SKIP_1) | instid1(VALU_DEP_3)
	v_lshlrev_b32_e32 v2, 20, v2
	v_lshl_add_u32 v6, v7, 23, 0x3c000000
	v_and_b32_e32 v3, 0x80000000, v3
	s_delay_alu instid0(VALU_DEP_1)
	v_or3_b32 v2, v2, v3, v6
.LBB432_2733:                           ;   in Loop: Header=BB432_1571 Depth=1
	s_or_b32 exec_lo, exec_lo, s13
.LBB432_2734:                           ;   in Loop: Header=BB432_1571 Depth=1
	s_delay_alu instid0(SALU_CYCLE_1)
	s_or_b32 exec_lo, exec_lo, s12
.LBB432_2735:                           ;   in Loop: Header=BB432_1571 Depth=1
	s_delay_alu instid0(SALU_CYCLE_1) | instskip(NEXT) | instid1(VALU_DEP_1)
	s_or_b32 exec_lo, exec_lo, s11
	v_mul_f32_e32 v3, v26, v2
	s_delay_alu instid0(VALU_DEP_1) | instskip(NEXT) | instid1(VALU_DEP_1)
	v_and_b32_e32 v2, 0x7f800000, v3
	v_cmp_ne_u32_e64 s1, 0x7f800000, v2
                                        ; implicit-def: $vgpr2
	s_delay_alu instid0(VALU_DEP_1) | instskip(NEXT) | instid1(SALU_CYCLE_1)
	s_and_saveexec_b32 s11, s1
	s_xor_b32 s1, exec_lo, s11
; %bb.2736:                             ;   in Loop: Header=BB432_1571 Depth=1
	v_bfe_u32 v2, v3, 16, 1
	s_delay_alu instid0(VALU_DEP_1)
	v_add3_u32 v2, v3, v2, 0x7fff
                                        ; implicit-def: $vgpr3
; %bb.2737:                             ;   in Loop: Header=BB432_1571 Depth=1
	s_and_not1_saveexec_b32 s11, s1
; %bb.2738:                             ;   in Loop: Header=BB432_1571 Depth=1
	v_and_b32_e32 v2, 0xffff, v3
	v_or_b32_e32 v6, 0x10000, v3
	s_delay_alu instid0(VALU_DEP_2) | instskip(NEXT) | instid1(VALU_DEP_1)
	v_cmp_eq_u32_e64 s1, 0, v2
	v_cndmask_b32_e64 v2, v6, v3, s1
; %bb.2739:                             ;   in Loop: Header=BB432_1571 Depth=1
	s_or_b32 exec_lo, exec_lo, s11
	v_lshrrev_b32_e32 v6, 16, v58
	v_lshrrev_b32_e32 v7, 16, v57
	v_lshrrev_b32_e32 v9, 16, v56
	v_lshrrev_b32_e32 v47, 16, v47
	v_lshrrev_b32_e32 v46, 16, v46
	v_lshrrev_b32_e32 v45, 16, v45
	v_lshrrev_b32_e32 v3, 16, v59
	v_lshrrev_b32_e32 v2, 16, v2
	s_and_saveexec_b32 s11, vcc_lo
	s_cbranch_execz .LBB432_2741
; %bb.2740:                             ;   in Loop: Header=BB432_1571 Depth=1
	v_cmp_lt_i32_e64 s1, v68, v35
	s_delay_alu instid0(VALU_DEP_1) | instskip(SKIP_1) | instid1(VALU_DEP_1)
	v_cndmask_b32_e64 v45, 0, v45, s1
	v_cmp_lt_i32_e64 s1, v82, v35
	v_cndmask_b32_e64 v46, 0, v46, s1
	v_cmp_lt_i32_e64 s1, v81, v35
	s_delay_alu instid0(VALU_DEP_1) | instskip(SKIP_1) | instid1(VALU_DEP_1)
	v_cndmask_b32_e64 v47, 0, v47, s1
	v_cmp_lt_i32_e64 s1, v80, v35
	v_cndmask_b32_e64 v9, 0, v9, s1
	;; [unrolled: 5-line block ×4, first 2 shown]
.LBB432_2741:                           ;   in Loop: Header=BB432_1571 Depth=1
	s_or_b32 exec_lo, exec_lo, s11
	v_lshlrev_b32_e32 v45, 16, v45
	s_delay_alu instid0(VALU_DEP_1) | instskip(NEXT) | instid1(VALU_DEP_1)
	v_mul_f32_e32 v56, v83, v45
	v_and_b32_e32 v45, 0x7f800000, v56
	s_delay_alu instid0(VALU_DEP_1) | instskip(NEXT) | instid1(VALU_DEP_1)
	v_cmp_ne_u32_e64 s1, 0x7f800000, v45
                                        ; implicit-def: $vgpr45
	s_and_saveexec_b32 s11, s1
	s_delay_alu instid0(SALU_CYCLE_1)
	s_xor_b32 s1, exec_lo, s11
; %bb.2742:                             ;   in Loop: Header=BB432_1571 Depth=1
	v_bfe_u32 v45, v56, 16, 1
	s_delay_alu instid0(VALU_DEP_1)
	v_add3_u32 v45, v56, v45, 0x7fff
                                        ; implicit-def: $vgpr56
; %bb.2743:                             ;   in Loop: Header=BB432_1571 Depth=1
	s_and_not1_saveexec_b32 s11, s1
; %bb.2744:                             ;   in Loop: Header=BB432_1571 Depth=1
	v_and_b32_e32 v45, 0xffff, v56
	v_or_b32_e32 v57, 0x10000, v56
	s_delay_alu instid0(VALU_DEP_2) | instskip(NEXT) | instid1(VALU_DEP_1)
	v_cmp_eq_u32_e64 s1, 0, v45
	v_cndmask_b32_e64 v45, v57, v56, s1
; %bb.2745:                             ;   in Loop: Header=BB432_1571 Depth=1
	s_or_b32 exec_lo, exec_lo, s11
	v_lshlrev_b32_e32 v46, 16, v46
	s_delay_alu instid0(VALU_DEP_1) | instskip(NEXT) | instid1(VALU_DEP_1)
	v_mul_f32_e32 v56, v84, v46
	v_and_b32_e32 v46, 0x7f800000, v56
	s_delay_alu instid0(VALU_DEP_1) | instskip(NEXT) | instid1(VALU_DEP_1)
	v_cmp_ne_u32_e64 s1, 0x7f800000, v46
                                        ; implicit-def: $vgpr46
	s_and_saveexec_b32 s11, s1
	s_delay_alu instid0(SALU_CYCLE_1)
	s_xor_b32 s1, exec_lo, s11
; %bb.2746:                             ;   in Loop: Header=BB432_1571 Depth=1
	v_bfe_u32 v46, v56, 16, 1
	s_delay_alu instid0(VALU_DEP_1)
	v_add3_u32 v46, v56, v46, 0x7fff
                                        ; implicit-def: $vgpr56
; %bb.2747:                             ;   in Loop: Header=BB432_1571 Depth=1
	s_and_not1_saveexec_b32 s11, s1
; %bb.2748:                             ;   in Loop: Header=BB432_1571 Depth=1
	v_and_b32_e32 v46, 0xffff, v56
	v_or_b32_e32 v57, 0x10000, v56
	s_delay_alu instid0(VALU_DEP_2) | instskip(NEXT) | instid1(VALU_DEP_1)
	v_cmp_eq_u32_e64 s1, 0, v46
	v_cndmask_b32_e64 v46, v57, v56, s1
; %bb.2749:                             ;   in Loop: Header=BB432_1571 Depth=1
	s_or_b32 exec_lo, exec_lo, s11
	v_lshlrev_b32_e32 v47, 16, v47
	s_delay_alu instid0(VALU_DEP_1) | instskip(NEXT) | instid1(VALU_DEP_1)
	v_mul_f32_e32 v56, v85, v47
	v_and_b32_e32 v47, 0x7f800000, v56
	s_delay_alu instid0(VALU_DEP_1) | instskip(NEXT) | instid1(VALU_DEP_1)
	v_cmp_ne_u32_e64 s1, 0x7f800000, v47
                                        ; implicit-def: $vgpr47
	s_and_saveexec_b32 s11, s1
	s_delay_alu instid0(SALU_CYCLE_1)
	s_xor_b32 s1, exec_lo, s11
; %bb.2750:                             ;   in Loop: Header=BB432_1571 Depth=1
	v_bfe_u32 v47, v56, 16, 1
	s_delay_alu instid0(VALU_DEP_1)
	v_add3_u32 v47, v56, v47, 0x7fff
                                        ; implicit-def: $vgpr56
; %bb.2751:                             ;   in Loop: Header=BB432_1571 Depth=1
	s_and_not1_saveexec_b32 s11, s1
; %bb.2752:                             ;   in Loop: Header=BB432_1571 Depth=1
	v_and_b32_e32 v47, 0xffff, v56
	v_or_b32_e32 v57, 0x10000, v56
	s_delay_alu instid0(VALU_DEP_2) | instskip(NEXT) | instid1(VALU_DEP_1)
	v_cmp_eq_u32_e64 s1, 0, v47
	v_cndmask_b32_e64 v47, v57, v56, s1
; %bb.2753:                             ;   in Loop: Header=BB432_1571 Depth=1
	s_or_b32 exec_lo, exec_lo, s11
	v_lshlrev_b32_e32 v9, 16, v9
	s_delay_alu instid0(VALU_DEP_1) | instskip(NEXT) | instid1(VALU_DEP_1)
	v_mul_f32_e32 v9, v86, v9
	v_and_b32_e32 v56, 0x7f800000, v9
	s_delay_alu instid0(VALU_DEP_1) | instskip(NEXT) | instid1(VALU_DEP_1)
	v_cmp_ne_u32_e64 s1, 0x7f800000, v56
                                        ; implicit-def: $vgpr56
	s_and_saveexec_b32 s11, s1
	s_delay_alu instid0(SALU_CYCLE_1)
	s_xor_b32 s1, exec_lo, s11
; %bb.2754:                             ;   in Loop: Header=BB432_1571 Depth=1
	v_bfe_u32 v56, v9, 16, 1
	s_delay_alu instid0(VALU_DEP_1)
	v_add3_u32 v56, v9, v56, 0x7fff
                                        ; implicit-def: $vgpr9
; %bb.2755:                             ;   in Loop: Header=BB432_1571 Depth=1
	s_and_not1_saveexec_b32 s11, s1
; %bb.2756:                             ;   in Loop: Header=BB432_1571 Depth=1
	v_and_b32_e32 v56, 0xffff, v9
	v_or_b32_e32 v57, 0x10000, v9
	s_delay_alu instid0(VALU_DEP_2) | instskip(NEXT) | instid1(VALU_DEP_1)
	v_cmp_eq_u32_e64 s1, 0, v56
	v_cndmask_b32_e64 v56, v57, v9, s1
; %bb.2757:                             ;   in Loop: Header=BB432_1571 Depth=1
	s_or_b32 exec_lo, exec_lo, s11
	v_lshlrev_b32_e32 v7, 16, v7
                                        ; implicit-def: $vgpr57
	s_delay_alu instid0(VALU_DEP_1) | instskip(NEXT) | instid1(VALU_DEP_1)
	v_mul_f32_e32 v7, v87, v7
	v_and_b32_e32 v9, 0x7f800000, v7
	s_delay_alu instid0(VALU_DEP_1) | instskip(NEXT) | instid1(VALU_DEP_1)
	v_cmp_ne_u32_e64 s1, 0x7f800000, v9
	s_and_saveexec_b32 s11, s1
	s_delay_alu instid0(SALU_CYCLE_1)
	s_xor_b32 s1, exec_lo, s11
; %bb.2758:                             ;   in Loop: Header=BB432_1571 Depth=1
	v_bfe_u32 v9, v7, 16, 1
	s_delay_alu instid0(VALU_DEP_1)
	v_add3_u32 v57, v7, v9, 0x7fff
                                        ; implicit-def: $vgpr7
; %bb.2759:                             ;   in Loop: Header=BB432_1571 Depth=1
	s_and_not1_saveexec_b32 s11, s1
; %bb.2760:                             ;   in Loop: Header=BB432_1571 Depth=1
	v_and_b32_e32 v9, 0xffff, v7
	v_or_b32_e32 v57, 0x10000, v7
	s_delay_alu instid0(VALU_DEP_2) | instskip(NEXT) | instid1(VALU_DEP_1)
	v_cmp_eq_u32_e64 s1, 0, v9
	v_cndmask_b32_e64 v57, v57, v7, s1
; %bb.2761:                             ;   in Loop: Header=BB432_1571 Depth=1
	s_or_b32 exec_lo, exec_lo, s11
	v_lshlrev_b32_e32 v6, 16, v6
                                        ; implicit-def: $vgpr58
	s_delay_alu instid0(VALU_DEP_1) | instskip(NEXT) | instid1(VALU_DEP_1)
	v_mul_f32_e32 v6, v96, v6
	v_and_b32_e32 v7, 0x7f800000, v6
	s_delay_alu instid0(VALU_DEP_1) | instskip(NEXT) | instid1(VALU_DEP_1)
	v_cmp_ne_u32_e64 s1, 0x7f800000, v7
	s_and_saveexec_b32 s11, s1
	s_delay_alu instid0(SALU_CYCLE_1)
	s_xor_b32 s1, exec_lo, s11
; %bb.2762:                             ;   in Loop: Header=BB432_1571 Depth=1
	v_bfe_u32 v7, v6, 16, 1
	s_delay_alu instid0(VALU_DEP_1)
	v_add3_u32 v58, v6, v7, 0x7fff
                                        ; implicit-def: $vgpr6
; %bb.2763:                             ;   in Loop: Header=BB432_1571 Depth=1
	s_and_not1_saveexec_b32 s11, s1
; %bb.2764:                             ;   in Loop: Header=BB432_1571 Depth=1
	v_and_b32_e32 v7, 0xffff, v6
	v_or_b32_e32 v9, 0x10000, v6
	s_delay_alu instid0(VALU_DEP_2) | instskip(NEXT) | instid1(VALU_DEP_1)
	v_cmp_eq_u32_e64 s1, 0, v7
	v_cndmask_b32_e64 v58, v9, v6, s1
; %bb.2765:                             ;   in Loop: Header=BB432_1571 Depth=1
	s_or_b32 exec_lo, exec_lo, s11
	v_lshlrev_b32_e32 v3, 16, v3
                                        ; implicit-def: $vgpr59
	s_delay_alu instid0(VALU_DEP_1) | instskip(NEXT) | instid1(VALU_DEP_1)
	v_mul_f32_e32 v3, v97, v3
	v_and_b32_e32 v6, 0x7f800000, v3
	s_delay_alu instid0(VALU_DEP_1) | instskip(NEXT) | instid1(VALU_DEP_1)
	v_cmp_ne_u32_e64 s1, 0x7f800000, v6
	s_and_saveexec_b32 s11, s1
	s_delay_alu instid0(SALU_CYCLE_1)
	s_xor_b32 s1, exec_lo, s11
; %bb.2766:                             ;   in Loop: Header=BB432_1571 Depth=1
	v_bfe_u32 v6, v3, 16, 1
	s_delay_alu instid0(VALU_DEP_1)
	v_add3_u32 v59, v3, v6, 0x7fff
                                        ; implicit-def: $vgpr3
; %bb.2767:                             ;   in Loop: Header=BB432_1571 Depth=1
	s_and_not1_saveexec_b32 s11, s1
; %bb.2768:                             ;   in Loop: Header=BB432_1571 Depth=1
	v_and_b32_e32 v6, 0xffff, v3
	v_or_b32_e32 v7, 0x10000, v3
	s_delay_alu instid0(VALU_DEP_2) | instskip(NEXT) | instid1(VALU_DEP_1)
	v_cmp_eq_u32_e64 s1, 0, v6
	v_cndmask_b32_e64 v59, v7, v3, s1
; %bb.2769:                             ;   in Loop: Header=BB432_1571 Depth=1
	s_or_b32 exec_lo, exec_lo, s11
	v_lshlrev_b32_e32 v2, 16, v2
                                        ; implicit-def: $vgpr60
	s_delay_alu instid0(VALU_DEP_1) | instskip(NEXT) | instid1(VALU_DEP_1)
	v_mul_f32_e32 v2, v98, v2
	v_and_b32_e32 v3, 0x7f800000, v2
	s_delay_alu instid0(VALU_DEP_1) | instskip(NEXT) | instid1(VALU_DEP_1)
	v_cmp_ne_u32_e64 s1, 0x7f800000, v3
	s_and_saveexec_b32 s11, s1
	s_delay_alu instid0(SALU_CYCLE_1)
	s_xor_b32 s1, exec_lo, s11
; %bb.2770:                             ;   in Loop: Header=BB432_1571 Depth=1
	v_bfe_u32 v3, v2, 16, 1
	s_delay_alu instid0(VALU_DEP_1)
	v_add3_u32 v60, v2, v3, 0x7fff
                                        ; implicit-def: $vgpr2
; %bb.2771:                             ;   in Loop: Header=BB432_1571 Depth=1
	s_and_not1_saveexec_b32 s11, s1
; %bb.2772:                             ;   in Loop: Header=BB432_1571 Depth=1
	v_and_b32_e32 v3, 0xffff, v2
	v_or_b32_e32 v6, 0x10000, v2
	s_delay_alu instid0(VALU_DEP_2) | instskip(NEXT) | instid1(VALU_DEP_1)
	v_cmp_eq_u32_e64 s1, 0, v3
	v_cndmask_b32_e64 v60, v6, v2, s1
; %bb.2773:                             ;   in Loop: Header=BB432_1571 Depth=1
	s_or_b32 exec_lo, exec_lo, s11
	flat_load_b64 v[2:3], v[0:1] offset:2304
	s_mov_b32 s11, exec_lo
	s_waitcnt vmcnt(0) lgkmcnt(0)
	v_dual_mov_b32 v6, 0 :: v_dual_and_b32 v7, 0xff, v2
	s_delay_alu instid0(VALU_DEP_1)
	v_cmpx_ne_u16_e32 0, v7
	s_cbranch_execz .LBB432_2781
; %bb.2774:                             ;   in Loop: Header=BB432_1571 Depth=1
	v_bfrev_b32_e32 v6, 1
	s_mov_b32 s12, exec_lo
	v_cmpx_ne_u16_e32 0x80, v7
	s_cbranch_execz .LBB432_2780
; %bb.2775:                             ;   in Loop: Header=BB432_1571 Depth=1
	v_and_b32_e32 v7, 0x7f, v2
	v_mov_b32_e32 v6, 0x7f800001
	s_mov_b32 s13, exec_lo
	s_delay_alu instid0(VALU_DEP_2)
	v_cmpx_ne_u32_e32 0x7f, v7
	s_cbranch_execz .LBB432_2779
; %bb.2776:                             ;   in Loop: Header=BB432_1571 Depth=1
	v_lshrrev_b32_e32 v9, 3, v7
	v_cmp_gt_u32_e64 s1, 8, v7
	v_dual_mov_b32 v7, v3 :: v_dual_mov_b32 v6, v2
	s_delay_alu instid0(VALU_DEP_2)
	s_and_saveexec_b32 s15, s1
; %bb.2777:                             ;   in Loop: Header=BB432_1571 Depth=1
	v_and_b32_e32 v6, 7, v2
	s_delay_alu instid0(VALU_DEP_1) | instskip(NEXT) | instid1(VALU_DEP_1)
	v_clz_i32_u32_e32 v6, v6
	v_min_u32_e32 v9, 32, v6
	s_delay_alu instid0(VALU_DEP_1) | instskip(SKIP_1) | instid1(VALU_DEP_2)
	v_subrev_nc_u32_e32 v6, 28, v9
	v_sub_nc_u32_e32 v9, 29, v9
	v_lshlrev_b64 v[6:7], v6, v[2:3]
; %bb.2778:                             ;   in Loop: Header=BB432_1571 Depth=1
	s_or_b32 exec_lo, exec_lo, s15
	s_delay_alu instid0(VALU_DEP_1) | instskip(SKIP_2) | instid1(VALU_DEP_3)
	v_lshlrev_b32_e32 v6, 20, v6
	v_lshlrev_b32_e32 v7, 24, v2
	v_lshl_add_u32 v9, v9, 23, 0x3c000000
	v_and_b32_e32 v6, 0x700000, v6
	s_delay_alu instid0(VALU_DEP_3) | instskip(NEXT) | instid1(VALU_DEP_1)
	v_and_b32_e32 v7, 0x80000000, v7
	v_or3_b32 v6, v6, v7, v9
.LBB432_2779:                           ;   in Loop: Header=BB432_1571 Depth=1
	s_or_b32 exec_lo, exec_lo, s13
.LBB432_2780:                           ;   in Loop: Header=BB432_1571 Depth=1
	s_delay_alu instid0(SALU_CYCLE_1)
	s_or_b32 exec_lo, exec_lo, s12
.LBB432_2781:                           ;   in Loop: Header=BB432_1571 Depth=1
	s_delay_alu instid0(SALU_CYCLE_1) | instskip(NEXT) | instid1(VALU_DEP_1)
	s_or_b32 exec_lo, exec_lo, s11
	v_mul_f32_e32 v6, v26, v6
                                        ; implicit-def: $vgpr61
	s_delay_alu instid0(VALU_DEP_1) | instskip(NEXT) | instid1(VALU_DEP_1)
	v_and_b32_e32 v7, 0x7f800000, v6
	v_cmp_ne_u32_e64 s1, 0x7f800000, v7
	s_delay_alu instid0(VALU_DEP_1) | instskip(NEXT) | instid1(SALU_CYCLE_1)
	s_and_saveexec_b32 s11, s1
	s_xor_b32 s1, exec_lo, s11
; %bb.2782:                             ;   in Loop: Header=BB432_1571 Depth=1
	v_bfe_u32 v7, v6, 16, 1
	s_delay_alu instid0(VALU_DEP_1)
	v_add3_u32 v61, v6, v7, 0x7fff
                                        ; implicit-def: $vgpr6
; %bb.2783:                             ;   in Loop: Header=BB432_1571 Depth=1
	s_and_not1_saveexec_b32 s11, s1
; %bb.2784:                             ;   in Loop: Header=BB432_1571 Depth=1
	v_and_b32_e32 v7, 0xffff, v6
	v_or_b32_e32 v9, 0x10000, v6
	s_delay_alu instid0(VALU_DEP_2) | instskip(NEXT) | instid1(VALU_DEP_1)
	v_cmp_eq_u32_e64 s1, 0, v7
	v_cndmask_b32_e64 v61, v9, v6, s1
; %bb.2785:                             ;   in Loop: Header=BB432_1571 Depth=1
	s_or_b32 exec_lo, exec_lo, s11
	v_lshrrev_b16 v7, 8, v2
	v_mov_b32_e32 v6, 0
	s_mov_b32 s11, exec_lo
	s_delay_alu instid0(VALU_DEP_2)
	v_cmpx_ne_u16_e32 0, v7
	s_cbranch_execz .LBB432_2793
; %bb.2786:                             ;   in Loop: Header=BB432_1571 Depth=1
	v_bfrev_b32_e32 v6, 1
	s_mov_b32 s12, exec_lo
	v_cmpx_ne_u16_e32 0x80, v7
	s_cbranch_execz .LBB432_2792
; %bb.2787:                             ;   in Loop: Header=BB432_1571 Depth=1
	v_and_b32_e32 v9, 0xffff, v7
	v_mov_b32_e32 v6, 0x7f800001
	s_mov_b32 s13, exec_lo
	s_delay_alu instid0(VALU_DEP_2) | instskip(NEXT) | instid1(VALU_DEP_1)
	v_and_b32_e32 v7, 0x7f, v9
	v_cmpx_ne_u32_e32 0x7f, v7
	s_cbranch_execz .LBB432_2791
; %bb.2788:                             ;   in Loop: Header=BB432_1571 Depth=1
	v_and_b32_e32 v9, 7, v9
	v_lshrrev_b32_e32 v62, 3, v7
	v_cmp_gt_u32_e64 s1, 8, v7
	s_delay_alu instid0(VALU_DEP_3) | instskip(NEXT) | instid1(VALU_DEP_2)
	v_dual_mov_b32 v6, v9 :: v_dual_mov_b32 v7, v10
	s_and_saveexec_b32 s15, s1
; %bb.2789:                             ;   in Loop: Header=BB432_1571 Depth=1
	v_clz_i32_u32_e32 v6, v9
	s_delay_alu instid0(VALU_DEP_1) | instskip(NEXT) | instid1(VALU_DEP_1)
	v_min_u32_e32 v62, 32, v6
	v_subrev_nc_u32_e32 v6, 28, v62
	v_sub_nc_u32_e32 v62, 29, v62
	s_delay_alu instid0(VALU_DEP_2) | instskip(NEXT) | instid1(VALU_DEP_1)
	v_lshlrev_b64 v[6:7], v6, v[9:10]
	v_and_b32_e32 v6, 7, v6
; %bb.2790:                             ;   in Loop: Header=BB432_1571 Depth=1
	s_or_b32 exec_lo, exec_lo, s15
	v_lshlrev_b32_e32 v7, 16, v2
	s_delay_alu instid0(VALU_DEP_2) | instskip(SKIP_1) | instid1(VALU_DEP_3)
	v_lshlrev_b32_e32 v6, 20, v6
	v_lshl_add_u32 v9, v62, 23, 0x3c000000
	v_and_b32_e32 v7, 0x80000000, v7
	s_delay_alu instid0(VALU_DEP_1)
	v_or3_b32 v6, v6, v7, v9
.LBB432_2791:                           ;   in Loop: Header=BB432_1571 Depth=1
	s_or_b32 exec_lo, exec_lo, s13
.LBB432_2792:                           ;   in Loop: Header=BB432_1571 Depth=1
	s_delay_alu instid0(SALU_CYCLE_1)
	s_or_b32 exec_lo, exec_lo, s12
.LBB432_2793:                           ;   in Loop: Header=BB432_1571 Depth=1
	s_delay_alu instid0(SALU_CYCLE_1) | instskip(NEXT) | instid1(VALU_DEP_1)
	s_or_b32 exec_lo, exec_lo, s11
	v_mul_f32_e32 v6, v26, v6
                                        ; implicit-def: $vgpr62
	s_delay_alu instid0(VALU_DEP_1) | instskip(NEXT) | instid1(VALU_DEP_1)
	v_and_b32_e32 v7, 0x7f800000, v6
	v_cmp_ne_u32_e64 s1, 0x7f800000, v7
	s_delay_alu instid0(VALU_DEP_1) | instskip(NEXT) | instid1(SALU_CYCLE_1)
	s_and_saveexec_b32 s11, s1
	s_xor_b32 s1, exec_lo, s11
; %bb.2794:                             ;   in Loop: Header=BB432_1571 Depth=1
	v_bfe_u32 v7, v6, 16, 1
	s_delay_alu instid0(VALU_DEP_1)
	v_add3_u32 v62, v6, v7, 0x7fff
                                        ; implicit-def: $vgpr6
; %bb.2795:                             ;   in Loop: Header=BB432_1571 Depth=1
	s_and_not1_saveexec_b32 s11, s1
; %bb.2796:                             ;   in Loop: Header=BB432_1571 Depth=1
	v_and_b32_e32 v7, 0xffff, v6
	v_or_b32_e32 v9, 0x10000, v6
	s_delay_alu instid0(VALU_DEP_2) | instskip(NEXT) | instid1(VALU_DEP_1)
	v_cmp_eq_u32_e64 s1, 0, v7
	v_cndmask_b32_e64 v62, v9, v6, s1
; %bb.2797:                             ;   in Loop: Header=BB432_1571 Depth=1
	s_or_b32 exec_lo, exec_lo, s11
	v_lshrrev_b32_e32 v63, 16, v2
	s_mov_b32 s11, exec_lo
	s_delay_alu instid0(VALU_DEP_1) | instskip(NEXT) | instid1(VALU_DEP_1)
	v_dual_mov_b32 v6, 0 :: v_dual_and_b32 v7, 0xff, v63
	v_cmpx_ne_u16_e32 0, v7
	s_cbranch_execz .LBB432_2805
; %bb.2798:                             ;   in Loop: Header=BB432_1571 Depth=1
	v_bfrev_b32_e32 v6, 1
	s_mov_b32 s12, exec_lo
	v_cmpx_ne_u16_e32 0x80, v7
	s_cbranch_execz .LBB432_2804
; %bb.2799:                             ;   in Loop: Header=BB432_1571 Depth=1
	v_bfe_u32 v7, v2, 16, 7
	v_mov_b32_e32 v6, 0x7f800001
	s_mov_b32 s13, exec_lo
	s_delay_alu instid0(VALU_DEP_2)
	v_cmpx_ne_u32_e32 0x7f, v7
	s_cbranch_execz .LBB432_2803
; %bb.2800:                             ;   in Loop: Header=BB432_1571 Depth=1
	v_and_b32_e32 v9, 7, v63
	v_lshrrev_b32_e32 v72, 3, v7
	v_cmp_gt_u32_e64 s1, 8, v7
	s_delay_alu instid0(VALU_DEP_3) | instskip(NEXT) | instid1(VALU_DEP_2)
	v_dual_mov_b32 v6, v9 :: v_dual_mov_b32 v7, v10
	s_and_saveexec_b32 s15, s1
; %bb.2801:                             ;   in Loop: Header=BB432_1571 Depth=1
	v_clz_i32_u32_e32 v6, v9
	s_delay_alu instid0(VALU_DEP_1) | instskip(NEXT) | instid1(VALU_DEP_1)
	v_min_u32_e32 v72, 32, v6
	v_subrev_nc_u32_e32 v6, 28, v72
	v_sub_nc_u32_e32 v72, 29, v72
	s_delay_alu instid0(VALU_DEP_2) | instskip(NEXT) | instid1(VALU_DEP_1)
	v_lshlrev_b64 v[6:7], v6, v[9:10]
	v_and_b32_e32 v6, 7, v6
; %bb.2802:                             ;   in Loop: Header=BB432_1571 Depth=1
	s_or_b32 exec_lo, exec_lo, s15
	v_lshlrev_b32_e32 v7, 24, v63
	s_delay_alu instid0(VALU_DEP_2) | instskip(SKIP_1) | instid1(VALU_DEP_3)
	v_lshlrev_b32_e32 v6, 20, v6
	v_lshl_add_u32 v9, v72, 23, 0x3c000000
	v_and_b32_e32 v7, 0x80000000, v7
	s_delay_alu instid0(VALU_DEP_1)
	v_or3_b32 v6, v6, v7, v9
.LBB432_2803:                           ;   in Loop: Header=BB432_1571 Depth=1
	s_or_b32 exec_lo, exec_lo, s13
.LBB432_2804:                           ;   in Loop: Header=BB432_1571 Depth=1
	s_delay_alu instid0(SALU_CYCLE_1)
	s_or_b32 exec_lo, exec_lo, s12
.LBB432_2805:                           ;   in Loop: Header=BB432_1571 Depth=1
	s_delay_alu instid0(SALU_CYCLE_1) | instskip(NEXT) | instid1(VALU_DEP_1)
	s_or_b32 exec_lo, exec_lo, s11
	v_mul_f32_e32 v6, v26, v6
                                        ; implicit-def: $vgpr63
	s_delay_alu instid0(VALU_DEP_1) | instskip(NEXT) | instid1(VALU_DEP_1)
	v_and_b32_e32 v7, 0x7f800000, v6
	v_cmp_ne_u32_e64 s1, 0x7f800000, v7
	s_delay_alu instid0(VALU_DEP_1) | instskip(NEXT) | instid1(SALU_CYCLE_1)
	s_and_saveexec_b32 s11, s1
	s_xor_b32 s1, exec_lo, s11
; %bb.2806:                             ;   in Loop: Header=BB432_1571 Depth=1
	v_bfe_u32 v7, v6, 16, 1
	s_delay_alu instid0(VALU_DEP_1)
	v_add3_u32 v63, v6, v7, 0x7fff
                                        ; implicit-def: $vgpr6
; %bb.2807:                             ;   in Loop: Header=BB432_1571 Depth=1
	s_and_not1_saveexec_b32 s11, s1
; %bb.2808:                             ;   in Loop: Header=BB432_1571 Depth=1
	v_and_b32_e32 v7, 0xffff, v6
	v_or_b32_e32 v9, 0x10000, v6
	s_delay_alu instid0(VALU_DEP_2) | instskip(NEXT) | instid1(VALU_DEP_1)
	v_cmp_eq_u32_e64 s1, 0, v7
	v_cndmask_b32_e64 v63, v9, v6, s1
; %bb.2809:                             ;   in Loop: Header=BB432_1571 Depth=1
	s_or_b32 exec_lo, exec_lo, s11
	v_mov_b32_e32 v6, 0
	s_mov_b32 s11, exec_lo
	v_cmpx_lt_u32_e32 0xffffff, v2
	s_cbranch_execz .LBB432_2817
; %bb.2810:                             ;   in Loop: Header=BB432_1571 Depth=1
	v_lshrrev_b32_e32 v72, 24, v2
	v_bfrev_b32_e32 v6, 1
	s_mov_b32 s12, exec_lo
	s_delay_alu instid0(VALU_DEP_2)
	v_cmpx_ne_u32_e32 0x80, v72
	s_cbranch_execz .LBB432_2816
; %bb.2811:                             ;   in Loop: Header=BB432_1571 Depth=1
	v_bfe_u32 v7, v2, 24, 7
	v_mov_b32_e32 v6, 0x7f800001
	s_mov_b32 s13, exec_lo
	s_delay_alu instid0(VALU_DEP_2)
	v_cmpx_ne_u32_e32 0x7f, v7
	s_cbranch_execz .LBB432_2815
; %bb.2812:                             ;   in Loop: Header=BB432_1571 Depth=1
	v_and_b32_e32 v9, 7, v72
	v_lshrrev_b32_e32 v73, 3, v7
	v_cmp_gt_u32_e64 s1, 8, v7
	s_delay_alu instid0(VALU_DEP_3) | instskip(NEXT) | instid1(VALU_DEP_2)
	v_dual_mov_b32 v6, v9 :: v_dual_mov_b32 v7, v10
	s_and_saveexec_b32 s15, s1
; %bb.2813:                             ;   in Loop: Header=BB432_1571 Depth=1
	v_clz_i32_u32_e32 v6, v9
	s_delay_alu instid0(VALU_DEP_1) | instskip(NEXT) | instid1(VALU_DEP_1)
	v_min_u32_e32 v73, 32, v6
	v_subrev_nc_u32_e32 v6, 28, v73
	v_sub_nc_u32_e32 v73, 29, v73
	s_delay_alu instid0(VALU_DEP_2) | instskip(NEXT) | instid1(VALU_DEP_1)
	v_lshlrev_b64 v[6:7], v6, v[9:10]
	v_and_b32_e32 v6, 7, v6
; %bb.2814:                             ;   in Loop: Header=BB432_1571 Depth=1
	s_or_b32 exec_lo, exec_lo, s15
	v_lshlrev_b32_e32 v7, 24, v72
	s_delay_alu instid0(VALU_DEP_2) | instskip(SKIP_1) | instid1(VALU_DEP_3)
	v_lshlrev_b32_e32 v6, 20, v6
	v_lshl_add_u32 v9, v73, 23, 0x3c000000
	v_and_b32_e32 v7, 0x80000000, v7
	s_delay_alu instid0(VALU_DEP_1)
	v_or3_b32 v6, v6, v7, v9
.LBB432_2815:                           ;   in Loop: Header=BB432_1571 Depth=1
	s_or_b32 exec_lo, exec_lo, s13
.LBB432_2816:                           ;   in Loop: Header=BB432_1571 Depth=1
	s_delay_alu instid0(SALU_CYCLE_1)
	s_or_b32 exec_lo, exec_lo, s12
.LBB432_2817:                           ;   in Loop: Header=BB432_1571 Depth=1
	s_delay_alu instid0(SALU_CYCLE_1) | instskip(NEXT) | instid1(VALU_DEP_1)
	s_or_b32 exec_lo, exec_lo, s11
	v_mul_f32_e32 v6, v26, v6
                                        ; implicit-def: $vgpr72
	s_delay_alu instid0(VALU_DEP_1) | instskip(NEXT) | instid1(VALU_DEP_1)
	v_and_b32_e32 v7, 0x7f800000, v6
	v_cmp_ne_u32_e64 s1, 0x7f800000, v7
	s_delay_alu instid0(VALU_DEP_1) | instskip(NEXT) | instid1(SALU_CYCLE_1)
	s_and_saveexec_b32 s11, s1
	s_xor_b32 s1, exec_lo, s11
; %bb.2818:                             ;   in Loop: Header=BB432_1571 Depth=1
	v_bfe_u32 v7, v6, 16, 1
	s_delay_alu instid0(VALU_DEP_1)
	v_add3_u32 v72, v6, v7, 0x7fff
                                        ; implicit-def: $vgpr6
; %bb.2819:                             ;   in Loop: Header=BB432_1571 Depth=1
	s_and_not1_saveexec_b32 s11, s1
; %bb.2820:                             ;   in Loop: Header=BB432_1571 Depth=1
	v_and_b32_e32 v7, 0xffff, v6
	v_or_b32_e32 v9, 0x10000, v6
	s_delay_alu instid0(VALU_DEP_2) | instskip(NEXT) | instid1(VALU_DEP_1)
	v_cmp_eq_u32_e64 s1, 0, v7
	v_cndmask_b32_e64 v72, v9, v6, s1
; %bb.2821:                             ;   in Loop: Header=BB432_1571 Depth=1
	s_or_b32 exec_lo, exec_lo, s11
	v_dual_mov_b32 v6, 0 :: v_dual_and_b32 v7, 0xff, v3
	v_mov_b32_e32 v9, v3
	s_mov_b32 s11, exec_lo
	s_delay_alu instid0(VALU_DEP_2)
	v_cmpx_ne_u16_e32 0, v7
	s_cbranch_execz .LBB432_2829
; %bb.2822:                             ;   in Loop: Header=BB432_1571 Depth=1
	v_bfrev_b32_e32 v6, 1
	s_mov_b32 s12, exec_lo
	v_cmpx_ne_u16_e32 0x80, v7
	s_cbranch_execz .LBB432_2828
; %bb.2823:                             ;   in Loop: Header=BB432_1571 Depth=1
	v_and_b32_e32 v7, 0x7f, v3
	v_mov_b32_e32 v6, 0x7f800001
	s_mov_b32 s13, exec_lo
	s_delay_alu instid0(VALU_DEP_2)
	v_cmpx_ne_u32_e32 0x7f, v7
	s_cbranch_execz .LBB432_2827
; %bb.2824:                             ;   in Loop: Header=BB432_1571 Depth=1
	v_lshrrev_b32_e32 v73, 3, v7
	v_cmp_gt_u32_e64 s1, 8, v7
	v_dual_mov_b32 v6, v9 :: v_dual_mov_b32 v7, v10
	s_delay_alu instid0(VALU_DEP_2)
	s_and_saveexec_b32 s15, s1
; %bb.2825:                             ;   in Loop: Header=BB432_1571 Depth=1
	v_and_b32_e32 v6, 7, v3
	s_delay_alu instid0(VALU_DEP_1) | instskip(NEXT) | instid1(VALU_DEP_1)
	v_clz_i32_u32_e32 v6, v6
	v_min_u32_e32 v73, 32, v6
	s_delay_alu instid0(VALU_DEP_1) | instskip(SKIP_1) | instid1(VALU_DEP_2)
	v_subrev_nc_u32_e32 v6, 28, v73
	v_sub_nc_u32_e32 v73, 29, v73
	v_lshlrev_b64 v[6:7], v6, v[9:10]
; %bb.2826:                             ;   in Loop: Header=BB432_1571 Depth=1
	s_or_b32 exec_lo, exec_lo, s15
	s_delay_alu instid0(VALU_DEP_1) | instskip(SKIP_2) | instid1(VALU_DEP_3)
	v_lshlrev_b32_e32 v6, 20, v6
	v_lshlrev_b32_e32 v7, 24, v9
	v_lshl_add_u32 v73, v73, 23, 0x3c000000
	v_and_b32_e32 v6, 0x700000, v6
	s_delay_alu instid0(VALU_DEP_3) | instskip(NEXT) | instid1(VALU_DEP_1)
	v_and_b32_e32 v7, 0x80000000, v7
	v_or3_b32 v6, v6, v7, v73
.LBB432_2827:                           ;   in Loop: Header=BB432_1571 Depth=1
	s_or_b32 exec_lo, exec_lo, s13
.LBB432_2828:                           ;   in Loop: Header=BB432_1571 Depth=1
	s_delay_alu instid0(SALU_CYCLE_1)
	s_or_b32 exec_lo, exec_lo, s12
.LBB432_2829:                           ;   in Loop: Header=BB432_1571 Depth=1
	s_delay_alu instid0(SALU_CYCLE_1) | instskip(NEXT) | instid1(VALU_DEP_1)
	s_or_b32 exec_lo, exec_lo, s11
	v_mul_f32_e32 v6, v26, v6
                                        ; implicit-def: $vgpr73
	s_delay_alu instid0(VALU_DEP_1) | instskip(NEXT) | instid1(VALU_DEP_1)
	v_and_b32_e32 v7, 0x7f800000, v6
	v_cmp_ne_u32_e64 s1, 0x7f800000, v7
	s_delay_alu instid0(VALU_DEP_1) | instskip(NEXT) | instid1(SALU_CYCLE_1)
	s_and_saveexec_b32 s11, s1
	s_xor_b32 s1, exec_lo, s11
; %bb.2830:                             ;   in Loop: Header=BB432_1571 Depth=1
	v_bfe_u32 v7, v6, 16, 1
	s_delay_alu instid0(VALU_DEP_1)
	v_add3_u32 v73, v6, v7, 0x7fff
                                        ; implicit-def: $vgpr6
; %bb.2831:                             ;   in Loop: Header=BB432_1571 Depth=1
	s_and_not1_saveexec_b32 s11, s1
; %bb.2832:                             ;   in Loop: Header=BB432_1571 Depth=1
	v_and_b32_e32 v7, 0xffff, v6
	v_or_b32_e32 v73, 0x10000, v6
	s_delay_alu instid0(VALU_DEP_2) | instskip(NEXT) | instid1(VALU_DEP_1)
	v_cmp_eq_u32_e64 s1, 0, v7
	v_cndmask_b32_e64 v73, v73, v6, s1
; %bb.2833:                             ;   in Loop: Header=BB432_1571 Depth=1
	s_or_b32 exec_lo, exec_lo, s11
	v_lshrrev_b16 v7, 8, v9
	v_mov_b32_e32 v6, 0
	s_mov_b32 s11, exec_lo
	s_delay_alu instid0(VALU_DEP_2)
	v_cmpx_ne_u16_e32 0, v7
	s_cbranch_execz .LBB432_2841
; %bb.2834:                             ;   in Loop: Header=BB432_1571 Depth=1
	v_bfrev_b32_e32 v6, 1
	s_mov_b32 s12, exec_lo
	v_cmpx_ne_u16_e32 0x80, v7
	s_cbranch_execz .LBB432_2840
; %bb.2835:                             ;   in Loop: Header=BB432_1571 Depth=1
	v_and_b32_e32 v7, 0xffff, v7
	v_mov_b32_e32 v6, 0x7f800001
	s_mov_b32 s13, exec_lo
	s_delay_alu instid0(VALU_DEP_2) | instskip(NEXT) | instid1(VALU_DEP_1)
	v_and_b32_e32 v75, 0x7f, v7
	v_cmpx_ne_u32_e32 0x7f, v75
	s_cbranch_execz .LBB432_2839
; %bb.2836:                             ;   in Loop: Header=BB432_1571 Depth=1
	v_dual_mov_b32 v7, v10 :: v_dual_and_b32 v6, 7, v7
	v_lshrrev_b32_e32 v74, 3, v75
	s_mov_b32 s15, exec_lo
	v_cmpx_gt_u32_e32 8, v75
; %bb.2837:                             ;   in Loop: Header=BB432_1571 Depth=1
	s_delay_alu instid0(VALU_DEP_3) | instskip(NEXT) | instid1(VALU_DEP_1)
	v_clz_i32_u32_e32 v74, v6
	v_min_u32_e32 v74, 32, v74
	s_delay_alu instid0(VALU_DEP_1) | instskip(SKIP_1) | instid1(VALU_DEP_2)
	v_subrev_nc_u32_e32 v75, 28, v74
	v_sub_nc_u32_e32 v74, 29, v74
	v_lshlrev_b64 v[6:7], v75, v[6:7]
	s_delay_alu instid0(VALU_DEP_1)
	v_and_b32_e32 v6, 7, v6
; %bb.2838:                             ;   in Loop: Header=BB432_1571 Depth=1
	s_or_b32 exec_lo, exec_lo, s15
	v_lshlrev_b32_e32 v7, 16, v9
	s_delay_alu instid0(VALU_DEP_2) | instskip(SKIP_1) | instid1(VALU_DEP_3)
	v_lshlrev_b32_e32 v6, 20, v6
	v_lshl_add_u32 v9, v74, 23, 0x3c000000
	v_and_b32_e32 v7, 0x80000000, v7
	s_delay_alu instid0(VALU_DEP_1)
	v_or3_b32 v6, v6, v7, v9
.LBB432_2839:                           ;   in Loop: Header=BB432_1571 Depth=1
	s_or_b32 exec_lo, exec_lo, s13
.LBB432_2840:                           ;   in Loop: Header=BB432_1571 Depth=1
	s_delay_alu instid0(SALU_CYCLE_1)
	s_or_b32 exec_lo, exec_lo, s12
.LBB432_2841:                           ;   in Loop: Header=BB432_1571 Depth=1
	s_delay_alu instid0(SALU_CYCLE_1) | instskip(NEXT) | instid1(VALU_DEP_1)
	s_or_b32 exec_lo, exec_lo, s11
	v_mul_f32_e32 v6, v26, v6
                                        ; implicit-def: $vgpr74
	s_delay_alu instid0(VALU_DEP_1) | instskip(NEXT) | instid1(VALU_DEP_1)
	v_and_b32_e32 v7, 0x7f800000, v6
	v_cmp_ne_u32_e64 s1, 0x7f800000, v7
	s_delay_alu instid0(VALU_DEP_1) | instskip(NEXT) | instid1(SALU_CYCLE_1)
	s_and_saveexec_b32 s11, s1
	s_xor_b32 s1, exec_lo, s11
; %bb.2842:                             ;   in Loop: Header=BB432_1571 Depth=1
	v_bfe_u32 v7, v6, 16, 1
	s_delay_alu instid0(VALU_DEP_1)
	v_add3_u32 v74, v6, v7, 0x7fff
                                        ; implicit-def: $vgpr6
; %bb.2843:                             ;   in Loop: Header=BB432_1571 Depth=1
	s_and_not1_saveexec_b32 s11, s1
; %bb.2844:                             ;   in Loop: Header=BB432_1571 Depth=1
	v_and_b32_e32 v7, 0xffff, v6
	v_or_b32_e32 v9, 0x10000, v6
	s_delay_alu instid0(VALU_DEP_2) | instskip(NEXT) | instid1(VALU_DEP_1)
	v_cmp_eq_u32_e64 s1, 0, v7
	v_cndmask_b32_e64 v74, v9, v6, s1
; %bb.2845:                             ;   in Loop: Header=BB432_1571 Depth=1
	s_or_b32 exec_lo, exec_lo, s11
	v_lshrrev_b32_e32 v75, 16, v3
	s_mov_b32 s11, exec_lo
	s_delay_alu instid0(VALU_DEP_1) | instskip(NEXT) | instid1(VALU_DEP_1)
	v_dual_mov_b32 v6, 0 :: v_dual_and_b32 v7, 0xff, v75
	v_cmpx_ne_u16_e32 0, v7
	s_cbranch_execz .LBB432_2853
; %bb.2846:                             ;   in Loop: Header=BB432_1571 Depth=1
	v_bfrev_b32_e32 v6, 1
	s_mov_b32 s12, exec_lo
	v_cmpx_ne_u16_e32 0x80, v7
	s_cbranch_execz .LBB432_2852
; %bb.2847:                             ;   in Loop: Header=BB432_1571 Depth=1
	v_bfe_u32 v7, v3, 16, 7
	v_mov_b32_e32 v6, 0x7f800001
	s_mov_b32 s13, exec_lo
	s_delay_alu instid0(VALU_DEP_2)
	v_cmpx_ne_u32_e32 0x7f, v7
	s_cbranch_execz .LBB432_2851
; %bb.2848:                             ;   in Loop: Header=BB432_1571 Depth=1
	v_and_b32_e32 v9, 7, v75
	v_lshrrev_b32_e32 v76, 3, v7
	v_cmp_gt_u32_e64 s1, 8, v7
	s_delay_alu instid0(VALU_DEP_3) | instskip(NEXT) | instid1(VALU_DEP_2)
	v_dual_mov_b32 v6, v9 :: v_dual_mov_b32 v7, v10
	s_and_saveexec_b32 s15, s1
; %bb.2849:                             ;   in Loop: Header=BB432_1571 Depth=1
	v_clz_i32_u32_e32 v6, v9
	s_delay_alu instid0(VALU_DEP_1) | instskip(NEXT) | instid1(VALU_DEP_1)
	v_min_u32_e32 v76, 32, v6
	v_subrev_nc_u32_e32 v6, 28, v76
	v_sub_nc_u32_e32 v76, 29, v76
	s_delay_alu instid0(VALU_DEP_2) | instskip(NEXT) | instid1(VALU_DEP_1)
	v_lshlrev_b64 v[6:7], v6, v[9:10]
	v_and_b32_e32 v6, 7, v6
; %bb.2850:                             ;   in Loop: Header=BB432_1571 Depth=1
	s_or_b32 exec_lo, exec_lo, s15
	v_lshlrev_b32_e32 v7, 24, v75
	s_delay_alu instid0(VALU_DEP_2) | instskip(SKIP_1) | instid1(VALU_DEP_3)
	v_lshlrev_b32_e32 v6, 20, v6
	v_lshl_add_u32 v9, v76, 23, 0x3c000000
	v_and_b32_e32 v7, 0x80000000, v7
	s_delay_alu instid0(VALU_DEP_1)
	v_or3_b32 v6, v6, v7, v9
.LBB432_2851:                           ;   in Loop: Header=BB432_1571 Depth=1
	s_or_b32 exec_lo, exec_lo, s13
.LBB432_2852:                           ;   in Loop: Header=BB432_1571 Depth=1
	s_delay_alu instid0(SALU_CYCLE_1)
	s_or_b32 exec_lo, exec_lo, s12
.LBB432_2853:                           ;   in Loop: Header=BB432_1571 Depth=1
	s_delay_alu instid0(SALU_CYCLE_1) | instskip(NEXT) | instid1(VALU_DEP_1)
	s_or_b32 exec_lo, exec_lo, s11
	v_mul_f32_e32 v6, v26, v6
                                        ; implicit-def: $vgpr75
	s_delay_alu instid0(VALU_DEP_1) | instskip(NEXT) | instid1(VALU_DEP_1)
	v_and_b32_e32 v7, 0x7f800000, v6
	v_cmp_ne_u32_e64 s1, 0x7f800000, v7
	s_delay_alu instid0(VALU_DEP_1) | instskip(NEXT) | instid1(SALU_CYCLE_1)
	s_and_saveexec_b32 s11, s1
	s_xor_b32 s1, exec_lo, s11
; %bb.2854:                             ;   in Loop: Header=BB432_1571 Depth=1
	v_bfe_u32 v7, v6, 16, 1
	s_delay_alu instid0(VALU_DEP_1)
	v_add3_u32 v75, v6, v7, 0x7fff
                                        ; implicit-def: $vgpr6
; %bb.2855:                             ;   in Loop: Header=BB432_1571 Depth=1
	s_and_not1_saveexec_b32 s11, s1
; %bb.2856:                             ;   in Loop: Header=BB432_1571 Depth=1
	v_and_b32_e32 v7, 0xffff, v6
	v_or_b32_e32 v9, 0x10000, v6
	s_delay_alu instid0(VALU_DEP_2) | instskip(NEXT) | instid1(VALU_DEP_1)
	v_cmp_eq_u32_e64 s1, 0, v7
	v_cndmask_b32_e64 v75, v9, v6, s1
; %bb.2857:                             ;   in Loop: Header=BB432_1571 Depth=1
	s_or_b32 exec_lo, exec_lo, s11
	v_cmp_lt_u64_e64 s1, s[2:3], v[2:3]
	v_mov_b32_e32 v2, 0
	s_delay_alu instid0(VALU_DEP_2)
	s_and_saveexec_b32 s11, s1
	s_cbranch_execz .LBB432_2865
; %bb.2858:                             ;   in Loop: Header=BB432_1571 Depth=1
	v_lshrrev_b32_e32 v6, 24, v3
	v_bfrev_b32_e32 v2, 1
	s_mov_b32 s12, exec_lo
	s_delay_alu instid0(VALU_DEP_2)
	v_cmpx_ne_u32_e32 0x80, v6
	s_cbranch_execz .LBB432_2864
; %bb.2859:                             ;   in Loop: Header=BB432_1571 Depth=1
	v_bfe_u32 v3, v3, 24, 7
	v_mov_b32_e32 v2, 0x7f800001
	s_mov_b32 s13, exec_lo
	s_delay_alu instid0(VALU_DEP_2)
	v_cmpx_ne_u32_e32 0x7f, v3
	s_cbranch_execz .LBB432_2863
; %bb.2860:                             ;   in Loop: Header=BB432_1571 Depth=1
	v_and_b32_e32 v9, 7, v6
	v_lshrrev_b32_e32 v7, 3, v3
	v_cmp_gt_u32_e64 s1, 8, v3
	s_delay_alu instid0(VALU_DEP_3) | instskip(NEXT) | instid1(VALU_DEP_2)
	v_dual_mov_b32 v2, v9 :: v_dual_mov_b32 v3, v10
	s_and_saveexec_b32 s15, s1
; %bb.2861:                             ;   in Loop: Header=BB432_1571 Depth=1
	v_clz_i32_u32_e32 v2, v9
	s_delay_alu instid0(VALU_DEP_1) | instskip(NEXT) | instid1(VALU_DEP_1)
	v_min_u32_e32 v7, 32, v2
	v_subrev_nc_u32_e32 v2, 28, v7
	v_sub_nc_u32_e32 v7, 29, v7
	s_delay_alu instid0(VALU_DEP_2) | instskip(NEXT) | instid1(VALU_DEP_1)
	v_lshlrev_b64 v[2:3], v2, v[9:10]
	v_and_b32_e32 v2, 7, v2
; %bb.2862:                             ;   in Loop: Header=BB432_1571 Depth=1
	s_or_b32 exec_lo, exec_lo, s15
	v_lshlrev_b32_e32 v3, 24, v6
	s_delay_alu instid0(VALU_DEP_2) | instskip(SKIP_1) | instid1(VALU_DEP_3)
	v_lshlrev_b32_e32 v2, 20, v2
	v_lshl_add_u32 v6, v7, 23, 0x3c000000
	v_and_b32_e32 v3, 0x80000000, v3
	s_delay_alu instid0(VALU_DEP_1)
	v_or3_b32 v2, v2, v3, v6
.LBB432_2863:                           ;   in Loop: Header=BB432_1571 Depth=1
	s_or_b32 exec_lo, exec_lo, s13
.LBB432_2864:                           ;   in Loop: Header=BB432_1571 Depth=1
	s_delay_alu instid0(SALU_CYCLE_1)
	s_or_b32 exec_lo, exec_lo, s12
.LBB432_2865:                           ;   in Loop: Header=BB432_1571 Depth=1
	s_delay_alu instid0(SALU_CYCLE_1) | instskip(NEXT) | instid1(VALU_DEP_1)
	s_or_b32 exec_lo, exec_lo, s11
	v_mul_f32_e32 v3, v26, v2
	s_delay_alu instid0(VALU_DEP_1) | instskip(NEXT) | instid1(VALU_DEP_1)
	v_and_b32_e32 v2, 0x7f800000, v3
	v_cmp_ne_u32_e64 s1, 0x7f800000, v2
                                        ; implicit-def: $vgpr2
	s_delay_alu instid0(VALU_DEP_1) | instskip(NEXT) | instid1(SALU_CYCLE_1)
	s_and_saveexec_b32 s11, s1
	s_xor_b32 s1, exec_lo, s11
; %bb.2866:                             ;   in Loop: Header=BB432_1571 Depth=1
	v_bfe_u32 v2, v3, 16, 1
	s_delay_alu instid0(VALU_DEP_1)
	v_add3_u32 v2, v3, v2, 0x7fff
                                        ; implicit-def: $vgpr3
; %bb.2867:                             ;   in Loop: Header=BB432_1571 Depth=1
	s_and_not1_saveexec_b32 s11, s1
; %bb.2868:                             ;   in Loop: Header=BB432_1571 Depth=1
	v_and_b32_e32 v2, 0xffff, v3
	v_or_b32_e32 v6, 0x10000, v3
	s_delay_alu instid0(VALU_DEP_2) | instskip(NEXT) | instid1(VALU_DEP_1)
	v_cmp_eq_u32_e64 s1, 0, v2
	v_cndmask_b32_e64 v2, v6, v3, s1
; %bb.2869:                             ;   in Loop: Header=BB432_1571 Depth=1
	s_or_b32 exec_lo, exec_lo, s11
	v_lshrrev_b32_e32 v6, 16, v74
	v_lshrrev_b32_e32 v7, 16, v73
	;; [unrolled: 1-line block ×8, first 2 shown]
	s_and_saveexec_b32 s11, vcc_lo
	s_cbranch_execz .LBB432_2871
; %bb.2870:                             ;   in Loop: Header=BB432_1571 Depth=1
	v_cmp_lt_i32_e64 s1, v68, v35
	s_delay_alu instid0(VALU_DEP_1) | instskip(SKIP_1) | instid1(VALU_DEP_1)
	v_cndmask_b32_e64 v61, 0, v61, s1
	v_cmp_lt_i32_e64 s1, v82, v35
	v_cndmask_b32_e64 v62, 0, v62, s1
	v_cmp_lt_i32_e64 s1, v81, v35
	s_delay_alu instid0(VALU_DEP_1) | instskip(SKIP_1) | instid1(VALU_DEP_1)
	v_cndmask_b32_e64 v63, 0, v63, s1
	v_cmp_lt_i32_e64 s1, v80, v35
	v_cndmask_b32_e64 v9, 0, v9, s1
	;; [unrolled: 5-line block ×4, first 2 shown]
.LBB432_2871:                           ;   in Loop: Header=BB432_1571 Depth=1
	s_or_b32 exec_lo, exec_lo, s11
	v_lshlrev_b32_e32 v61, 16, v61
	s_delay_alu instid0(VALU_DEP_1) | instskip(NEXT) | instid1(VALU_DEP_1)
	v_mul_f32_e32 v72, v83, v61
	v_and_b32_e32 v61, 0x7f800000, v72
	s_delay_alu instid0(VALU_DEP_1) | instskip(NEXT) | instid1(VALU_DEP_1)
	v_cmp_ne_u32_e64 s1, 0x7f800000, v61
                                        ; implicit-def: $vgpr61
	s_and_saveexec_b32 s11, s1
	s_delay_alu instid0(SALU_CYCLE_1)
	s_xor_b32 s1, exec_lo, s11
; %bb.2872:                             ;   in Loop: Header=BB432_1571 Depth=1
	v_bfe_u32 v61, v72, 16, 1
	s_delay_alu instid0(VALU_DEP_1)
	v_add3_u32 v61, v72, v61, 0x7fff
                                        ; implicit-def: $vgpr72
; %bb.2873:                             ;   in Loop: Header=BB432_1571 Depth=1
	s_and_not1_saveexec_b32 s11, s1
; %bb.2874:                             ;   in Loop: Header=BB432_1571 Depth=1
	v_and_b32_e32 v61, 0xffff, v72
	v_or_b32_e32 v73, 0x10000, v72
	s_delay_alu instid0(VALU_DEP_2) | instskip(NEXT) | instid1(VALU_DEP_1)
	v_cmp_eq_u32_e64 s1, 0, v61
	v_cndmask_b32_e64 v61, v73, v72, s1
; %bb.2875:                             ;   in Loop: Header=BB432_1571 Depth=1
	s_or_b32 exec_lo, exec_lo, s11
	v_lshlrev_b32_e32 v62, 16, v62
	s_delay_alu instid0(VALU_DEP_1) | instskip(NEXT) | instid1(VALU_DEP_1)
	v_mul_f32_e32 v72, v84, v62
	v_and_b32_e32 v62, 0x7f800000, v72
	s_delay_alu instid0(VALU_DEP_1) | instskip(NEXT) | instid1(VALU_DEP_1)
	v_cmp_ne_u32_e64 s1, 0x7f800000, v62
                                        ; implicit-def: $vgpr62
	s_and_saveexec_b32 s11, s1
	s_delay_alu instid0(SALU_CYCLE_1)
	s_xor_b32 s1, exec_lo, s11
; %bb.2876:                             ;   in Loop: Header=BB432_1571 Depth=1
	v_bfe_u32 v62, v72, 16, 1
	s_delay_alu instid0(VALU_DEP_1)
	v_add3_u32 v62, v72, v62, 0x7fff
                                        ; implicit-def: $vgpr72
; %bb.2877:                             ;   in Loop: Header=BB432_1571 Depth=1
	s_and_not1_saveexec_b32 s11, s1
; %bb.2878:                             ;   in Loop: Header=BB432_1571 Depth=1
	v_and_b32_e32 v62, 0xffff, v72
	v_or_b32_e32 v73, 0x10000, v72
	s_delay_alu instid0(VALU_DEP_2) | instskip(NEXT) | instid1(VALU_DEP_1)
	v_cmp_eq_u32_e64 s1, 0, v62
	v_cndmask_b32_e64 v62, v73, v72, s1
; %bb.2879:                             ;   in Loop: Header=BB432_1571 Depth=1
	s_or_b32 exec_lo, exec_lo, s11
	v_lshlrev_b32_e32 v63, 16, v63
	s_delay_alu instid0(VALU_DEP_1) | instskip(NEXT) | instid1(VALU_DEP_1)
	v_mul_f32_e32 v72, v85, v63
	v_and_b32_e32 v63, 0x7f800000, v72
	s_delay_alu instid0(VALU_DEP_1) | instskip(NEXT) | instid1(VALU_DEP_1)
	v_cmp_ne_u32_e64 s1, 0x7f800000, v63
                                        ; implicit-def: $vgpr63
	s_and_saveexec_b32 s11, s1
	s_delay_alu instid0(SALU_CYCLE_1)
	s_xor_b32 s1, exec_lo, s11
; %bb.2880:                             ;   in Loop: Header=BB432_1571 Depth=1
	v_bfe_u32 v63, v72, 16, 1
	s_delay_alu instid0(VALU_DEP_1)
	v_add3_u32 v63, v72, v63, 0x7fff
                                        ; implicit-def: $vgpr72
; %bb.2881:                             ;   in Loop: Header=BB432_1571 Depth=1
	s_and_not1_saveexec_b32 s11, s1
; %bb.2882:                             ;   in Loop: Header=BB432_1571 Depth=1
	v_and_b32_e32 v63, 0xffff, v72
	v_or_b32_e32 v73, 0x10000, v72
	s_delay_alu instid0(VALU_DEP_2) | instskip(NEXT) | instid1(VALU_DEP_1)
	v_cmp_eq_u32_e64 s1, 0, v63
	v_cndmask_b32_e64 v63, v73, v72, s1
; %bb.2883:                             ;   in Loop: Header=BB432_1571 Depth=1
	s_or_b32 exec_lo, exec_lo, s11
	v_lshlrev_b32_e32 v9, 16, v9
	s_delay_alu instid0(VALU_DEP_1) | instskip(NEXT) | instid1(VALU_DEP_1)
	v_mul_f32_e32 v9, v86, v9
	v_and_b32_e32 v72, 0x7f800000, v9
	s_delay_alu instid0(VALU_DEP_1) | instskip(NEXT) | instid1(VALU_DEP_1)
	v_cmp_ne_u32_e64 s1, 0x7f800000, v72
                                        ; implicit-def: $vgpr72
	s_and_saveexec_b32 s11, s1
	s_delay_alu instid0(SALU_CYCLE_1)
	s_xor_b32 s1, exec_lo, s11
; %bb.2884:                             ;   in Loop: Header=BB432_1571 Depth=1
	v_bfe_u32 v72, v9, 16, 1
	s_delay_alu instid0(VALU_DEP_1)
	v_add3_u32 v72, v9, v72, 0x7fff
                                        ; implicit-def: $vgpr9
; %bb.2885:                             ;   in Loop: Header=BB432_1571 Depth=1
	s_and_not1_saveexec_b32 s11, s1
; %bb.2886:                             ;   in Loop: Header=BB432_1571 Depth=1
	v_and_b32_e32 v72, 0xffff, v9
	v_or_b32_e32 v73, 0x10000, v9
	s_delay_alu instid0(VALU_DEP_2) | instskip(NEXT) | instid1(VALU_DEP_1)
	v_cmp_eq_u32_e64 s1, 0, v72
	v_cndmask_b32_e64 v72, v73, v9, s1
; %bb.2887:                             ;   in Loop: Header=BB432_1571 Depth=1
	s_or_b32 exec_lo, exec_lo, s11
	v_lshlrev_b32_e32 v7, 16, v7
                                        ; implicit-def: $vgpr73
	s_delay_alu instid0(VALU_DEP_1) | instskip(NEXT) | instid1(VALU_DEP_1)
	v_mul_f32_e32 v7, v87, v7
	v_and_b32_e32 v9, 0x7f800000, v7
	s_delay_alu instid0(VALU_DEP_1) | instskip(NEXT) | instid1(VALU_DEP_1)
	v_cmp_ne_u32_e64 s1, 0x7f800000, v9
	s_and_saveexec_b32 s11, s1
	s_delay_alu instid0(SALU_CYCLE_1)
	s_xor_b32 s1, exec_lo, s11
; %bb.2888:                             ;   in Loop: Header=BB432_1571 Depth=1
	v_bfe_u32 v9, v7, 16, 1
	s_delay_alu instid0(VALU_DEP_1)
	v_add3_u32 v73, v7, v9, 0x7fff
                                        ; implicit-def: $vgpr7
; %bb.2889:                             ;   in Loop: Header=BB432_1571 Depth=1
	s_and_not1_saveexec_b32 s11, s1
; %bb.2890:                             ;   in Loop: Header=BB432_1571 Depth=1
	v_and_b32_e32 v9, 0xffff, v7
	v_or_b32_e32 v73, 0x10000, v7
	s_delay_alu instid0(VALU_DEP_2) | instskip(NEXT) | instid1(VALU_DEP_1)
	v_cmp_eq_u32_e64 s1, 0, v9
	v_cndmask_b32_e64 v73, v73, v7, s1
; %bb.2891:                             ;   in Loop: Header=BB432_1571 Depth=1
	s_or_b32 exec_lo, exec_lo, s11
	v_lshlrev_b32_e32 v6, 16, v6
                                        ; implicit-def: $vgpr74
	s_delay_alu instid0(VALU_DEP_1) | instskip(NEXT) | instid1(VALU_DEP_1)
	v_mul_f32_e32 v6, v96, v6
	v_and_b32_e32 v7, 0x7f800000, v6
	s_delay_alu instid0(VALU_DEP_1) | instskip(NEXT) | instid1(VALU_DEP_1)
	v_cmp_ne_u32_e64 s1, 0x7f800000, v7
	s_and_saveexec_b32 s11, s1
	s_delay_alu instid0(SALU_CYCLE_1)
	s_xor_b32 s1, exec_lo, s11
; %bb.2892:                             ;   in Loop: Header=BB432_1571 Depth=1
	v_bfe_u32 v7, v6, 16, 1
	s_delay_alu instid0(VALU_DEP_1)
	v_add3_u32 v74, v6, v7, 0x7fff
                                        ; implicit-def: $vgpr6
; %bb.2893:                             ;   in Loop: Header=BB432_1571 Depth=1
	s_and_not1_saveexec_b32 s11, s1
; %bb.2894:                             ;   in Loop: Header=BB432_1571 Depth=1
	v_and_b32_e32 v7, 0xffff, v6
	v_or_b32_e32 v9, 0x10000, v6
	s_delay_alu instid0(VALU_DEP_2) | instskip(NEXT) | instid1(VALU_DEP_1)
	v_cmp_eq_u32_e64 s1, 0, v7
	v_cndmask_b32_e64 v74, v9, v6, s1
; %bb.2895:                             ;   in Loop: Header=BB432_1571 Depth=1
	s_or_b32 exec_lo, exec_lo, s11
	v_lshlrev_b32_e32 v3, 16, v3
                                        ; implicit-def: $vgpr75
	s_delay_alu instid0(VALU_DEP_1) | instskip(NEXT) | instid1(VALU_DEP_1)
	v_mul_f32_e32 v3, v97, v3
	v_and_b32_e32 v6, 0x7f800000, v3
	s_delay_alu instid0(VALU_DEP_1) | instskip(NEXT) | instid1(VALU_DEP_1)
	v_cmp_ne_u32_e64 s1, 0x7f800000, v6
	s_and_saveexec_b32 s11, s1
	s_delay_alu instid0(SALU_CYCLE_1)
	s_xor_b32 s1, exec_lo, s11
; %bb.2896:                             ;   in Loop: Header=BB432_1571 Depth=1
	v_bfe_u32 v6, v3, 16, 1
	s_delay_alu instid0(VALU_DEP_1)
	v_add3_u32 v75, v3, v6, 0x7fff
                                        ; implicit-def: $vgpr3
; %bb.2897:                             ;   in Loop: Header=BB432_1571 Depth=1
	s_and_not1_saveexec_b32 s11, s1
; %bb.2898:                             ;   in Loop: Header=BB432_1571 Depth=1
	v_and_b32_e32 v6, 0xffff, v3
	v_or_b32_e32 v7, 0x10000, v3
	s_delay_alu instid0(VALU_DEP_2) | instskip(NEXT) | instid1(VALU_DEP_1)
	v_cmp_eq_u32_e64 s1, 0, v6
	v_cndmask_b32_e64 v75, v7, v3, s1
; %bb.2899:                             ;   in Loop: Header=BB432_1571 Depth=1
	s_or_b32 exec_lo, exec_lo, s11
	v_lshlrev_b32_e32 v2, 16, v2
                                        ; implicit-def: $vgpr76
	s_delay_alu instid0(VALU_DEP_1) | instskip(NEXT) | instid1(VALU_DEP_1)
	v_mul_f32_e32 v2, v98, v2
	v_and_b32_e32 v3, 0x7f800000, v2
	s_delay_alu instid0(VALU_DEP_1) | instskip(NEXT) | instid1(VALU_DEP_1)
	v_cmp_ne_u32_e64 s1, 0x7f800000, v3
	s_and_saveexec_b32 s11, s1
	s_delay_alu instid0(SALU_CYCLE_1)
	s_xor_b32 s1, exec_lo, s11
; %bb.2900:                             ;   in Loop: Header=BB432_1571 Depth=1
	v_bfe_u32 v3, v2, 16, 1
	s_delay_alu instid0(VALU_DEP_1)
	v_add3_u32 v76, v2, v3, 0x7fff
                                        ; implicit-def: $vgpr2
; %bb.2901:                             ;   in Loop: Header=BB432_1571 Depth=1
	s_and_not1_saveexec_b32 s11, s1
; %bb.2902:                             ;   in Loop: Header=BB432_1571 Depth=1
	v_and_b32_e32 v3, 0xffff, v2
	v_or_b32_e32 v6, 0x10000, v2
	s_delay_alu instid0(VALU_DEP_2) | instskip(NEXT) | instid1(VALU_DEP_1)
	v_cmp_eq_u32_e64 s1, 0, v3
	v_cndmask_b32_e64 v76, v6, v2, s1
; %bb.2903:                             ;   in Loop: Header=BB432_1571 Depth=1
	s_or_b32 exec_lo, exec_lo, s11
	flat_load_b64 v[2:3], v[0:1] offset:2560
	s_mov_b32 s11, exec_lo
	s_waitcnt vmcnt(0) lgkmcnt(0)
	v_dual_mov_b32 v6, 0 :: v_dual_and_b32 v7, 0xff, v2
	s_delay_alu instid0(VALU_DEP_1)
	v_cmpx_ne_u16_e32 0, v7
	s_cbranch_execz .LBB432_2911
; %bb.2904:                             ;   in Loop: Header=BB432_1571 Depth=1
	v_bfrev_b32_e32 v6, 1
	s_mov_b32 s12, exec_lo
	v_cmpx_ne_u16_e32 0x80, v7
	s_cbranch_execz .LBB432_2910
; %bb.2905:                             ;   in Loop: Header=BB432_1571 Depth=1
	v_and_b32_e32 v7, 0x7f, v2
	v_mov_b32_e32 v6, 0x7f800001
	s_mov_b32 s13, exec_lo
	s_delay_alu instid0(VALU_DEP_2)
	v_cmpx_ne_u32_e32 0x7f, v7
	s_cbranch_execz .LBB432_2909
; %bb.2906:                             ;   in Loop: Header=BB432_1571 Depth=1
	v_lshrrev_b32_e32 v9, 3, v7
	v_cmp_gt_u32_e64 s1, 8, v7
	v_dual_mov_b32 v7, v3 :: v_dual_mov_b32 v6, v2
	s_delay_alu instid0(VALU_DEP_2)
	s_and_saveexec_b32 s15, s1
; %bb.2907:                             ;   in Loop: Header=BB432_1571 Depth=1
	v_and_b32_e32 v6, 7, v2
	s_delay_alu instid0(VALU_DEP_1) | instskip(NEXT) | instid1(VALU_DEP_1)
	v_clz_i32_u32_e32 v6, v6
	v_min_u32_e32 v9, 32, v6
	s_delay_alu instid0(VALU_DEP_1) | instskip(SKIP_1) | instid1(VALU_DEP_2)
	v_subrev_nc_u32_e32 v6, 28, v9
	v_sub_nc_u32_e32 v9, 29, v9
	v_lshlrev_b64 v[6:7], v6, v[2:3]
; %bb.2908:                             ;   in Loop: Header=BB432_1571 Depth=1
	s_or_b32 exec_lo, exec_lo, s15
	s_delay_alu instid0(VALU_DEP_1) | instskip(SKIP_2) | instid1(VALU_DEP_3)
	v_lshlrev_b32_e32 v6, 20, v6
	v_lshlrev_b32_e32 v7, 24, v2
	v_lshl_add_u32 v9, v9, 23, 0x3c000000
	v_and_b32_e32 v6, 0x700000, v6
	s_delay_alu instid0(VALU_DEP_3) | instskip(NEXT) | instid1(VALU_DEP_1)
	v_and_b32_e32 v7, 0x80000000, v7
	v_or3_b32 v6, v6, v7, v9
.LBB432_2909:                           ;   in Loop: Header=BB432_1571 Depth=1
	s_or_b32 exec_lo, exec_lo, s13
.LBB432_2910:                           ;   in Loop: Header=BB432_1571 Depth=1
	s_delay_alu instid0(SALU_CYCLE_1)
	s_or_b32 exec_lo, exec_lo, s12
.LBB432_2911:                           ;   in Loop: Header=BB432_1571 Depth=1
	s_delay_alu instid0(SALU_CYCLE_1) | instskip(NEXT) | instid1(VALU_DEP_1)
	s_or_b32 exec_lo, exec_lo, s11
	v_mul_f32_e32 v6, v26, v6
                                        ; implicit-def: $vgpr77
	s_delay_alu instid0(VALU_DEP_1) | instskip(NEXT) | instid1(VALU_DEP_1)
	v_and_b32_e32 v7, 0x7f800000, v6
	v_cmp_ne_u32_e64 s1, 0x7f800000, v7
	s_delay_alu instid0(VALU_DEP_1) | instskip(NEXT) | instid1(SALU_CYCLE_1)
	s_and_saveexec_b32 s11, s1
	s_xor_b32 s1, exec_lo, s11
; %bb.2912:                             ;   in Loop: Header=BB432_1571 Depth=1
	v_bfe_u32 v7, v6, 16, 1
	s_delay_alu instid0(VALU_DEP_1)
	v_add3_u32 v77, v6, v7, 0x7fff
                                        ; implicit-def: $vgpr6
; %bb.2913:                             ;   in Loop: Header=BB432_1571 Depth=1
	s_and_not1_saveexec_b32 s11, s1
; %bb.2914:                             ;   in Loop: Header=BB432_1571 Depth=1
	v_and_b32_e32 v7, 0xffff, v6
	v_or_b32_e32 v9, 0x10000, v6
	s_delay_alu instid0(VALU_DEP_2) | instskip(NEXT) | instid1(VALU_DEP_1)
	v_cmp_eq_u32_e64 s1, 0, v7
	v_cndmask_b32_e64 v77, v9, v6, s1
; %bb.2915:                             ;   in Loop: Header=BB432_1571 Depth=1
	s_or_b32 exec_lo, exec_lo, s11
	v_lshrrev_b16 v7, 8, v2
	v_mov_b32_e32 v6, 0
	s_mov_b32 s11, exec_lo
	s_delay_alu instid0(VALU_DEP_2)
	v_cmpx_ne_u16_e32 0, v7
	s_cbranch_execz .LBB432_2923
; %bb.2916:                             ;   in Loop: Header=BB432_1571 Depth=1
	v_bfrev_b32_e32 v6, 1
	s_mov_b32 s12, exec_lo
	v_cmpx_ne_u16_e32 0x80, v7
	s_cbranch_execz .LBB432_2922
; %bb.2917:                             ;   in Loop: Header=BB432_1571 Depth=1
	v_and_b32_e32 v9, 0xffff, v7
	v_mov_b32_e32 v6, 0x7f800001
	s_mov_b32 s13, exec_lo
	s_delay_alu instid0(VALU_DEP_2) | instskip(NEXT) | instid1(VALU_DEP_1)
	v_and_b32_e32 v7, 0x7f, v9
	v_cmpx_ne_u32_e32 0x7f, v7
	s_cbranch_execz .LBB432_2921
; %bb.2918:                             ;   in Loop: Header=BB432_1571 Depth=1
	v_and_b32_e32 v9, 7, v9
	v_lshrrev_b32_e32 v78, 3, v7
	v_cmp_gt_u32_e64 s1, 8, v7
	s_delay_alu instid0(VALU_DEP_3) | instskip(NEXT) | instid1(VALU_DEP_2)
	v_dual_mov_b32 v6, v9 :: v_dual_mov_b32 v7, v10
	s_and_saveexec_b32 s15, s1
; %bb.2919:                             ;   in Loop: Header=BB432_1571 Depth=1
	v_clz_i32_u32_e32 v6, v9
	s_delay_alu instid0(VALU_DEP_1) | instskip(NEXT) | instid1(VALU_DEP_1)
	v_min_u32_e32 v78, 32, v6
	v_subrev_nc_u32_e32 v6, 28, v78
	v_sub_nc_u32_e32 v78, 29, v78
	s_delay_alu instid0(VALU_DEP_2) | instskip(NEXT) | instid1(VALU_DEP_1)
	v_lshlrev_b64 v[6:7], v6, v[9:10]
	v_and_b32_e32 v6, 7, v6
; %bb.2920:                             ;   in Loop: Header=BB432_1571 Depth=1
	s_or_b32 exec_lo, exec_lo, s15
	v_lshlrev_b32_e32 v7, 16, v2
	s_delay_alu instid0(VALU_DEP_2) | instskip(SKIP_1) | instid1(VALU_DEP_3)
	v_lshlrev_b32_e32 v6, 20, v6
	v_lshl_add_u32 v9, v78, 23, 0x3c000000
	v_and_b32_e32 v7, 0x80000000, v7
	s_delay_alu instid0(VALU_DEP_1)
	v_or3_b32 v6, v6, v7, v9
.LBB432_2921:                           ;   in Loop: Header=BB432_1571 Depth=1
	s_or_b32 exec_lo, exec_lo, s13
.LBB432_2922:                           ;   in Loop: Header=BB432_1571 Depth=1
	s_delay_alu instid0(SALU_CYCLE_1)
	s_or_b32 exec_lo, exec_lo, s12
.LBB432_2923:                           ;   in Loop: Header=BB432_1571 Depth=1
	s_delay_alu instid0(SALU_CYCLE_1) | instskip(NEXT) | instid1(VALU_DEP_1)
	s_or_b32 exec_lo, exec_lo, s11
	v_mul_f32_e32 v6, v26, v6
                                        ; implicit-def: $vgpr78
	s_delay_alu instid0(VALU_DEP_1) | instskip(NEXT) | instid1(VALU_DEP_1)
	v_and_b32_e32 v7, 0x7f800000, v6
	v_cmp_ne_u32_e64 s1, 0x7f800000, v7
	s_delay_alu instid0(VALU_DEP_1) | instskip(NEXT) | instid1(SALU_CYCLE_1)
	s_and_saveexec_b32 s11, s1
	s_xor_b32 s1, exec_lo, s11
; %bb.2924:                             ;   in Loop: Header=BB432_1571 Depth=1
	v_bfe_u32 v7, v6, 16, 1
	s_delay_alu instid0(VALU_DEP_1)
	v_add3_u32 v78, v6, v7, 0x7fff
                                        ; implicit-def: $vgpr6
; %bb.2925:                             ;   in Loop: Header=BB432_1571 Depth=1
	s_and_not1_saveexec_b32 s11, s1
; %bb.2926:                             ;   in Loop: Header=BB432_1571 Depth=1
	v_and_b32_e32 v7, 0xffff, v6
	v_or_b32_e32 v9, 0x10000, v6
	s_delay_alu instid0(VALU_DEP_2) | instskip(NEXT) | instid1(VALU_DEP_1)
	v_cmp_eq_u32_e64 s1, 0, v7
	v_cndmask_b32_e64 v78, v9, v6, s1
; %bb.2927:                             ;   in Loop: Header=BB432_1571 Depth=1
	s_or_b32 exec_lo, exec_lo, s11
	v_lshrrev_b32_e32 v79, 16, v2
	s_mov_b32 s11, exec_lo
	s_delay_alu instid0(VALU_DEP_1) | instskip(NEXT) | instid1(VALU_DEP_1)
	v_dual_mov_b32 v6, 0 :: v_dual_and_b32 v7, 0xff, v79
	v_cmpx_ne_u16_e32 0, v7
	s_cbranch_execz .LBB432_2935
; %bb.2928:                             ;   in Loop: Header=BB432_1571 Depth=1
	v_bfrev_b32_e32 v6, 1
	s_mov_b32 s12, exec_lo
	v_cmpx_ne_u16_e32 0x80, v7
	s_cbranch_execz .LBB432_2934
; %bb.2929:                             ;   in Loop: Header=BB432_1571 Depth=1
	v_bfe_u32 v7, v2, 16, 7
	v_mov_b32_e32 v6, 0x7f800001
	s_mov_b32 s13, exec_lo
	s_delay_alu instid0(VALU_DEP_2)
	v_cmpx_ne_u32_e32 0x7f, v7
	s_cbranch_execz .LBB432_2933
; %bb.2930:                             ;   in Loop: Header=BB432_1571 Depth=1
	v_and_b32_e32 v9, 7, v79
	v_lshrrev_b32_e32 v88, 3, v7
	v_cmp_gt_u32_e64 s1, 8, v7
	s_delay_alu instid0(VALU_DEP_3) | instskip(NEXT) | instid1(VALU_DEP_2)
	v_dual_mov_b32 v6, v9 :: v_dual_mov_b32 v7, v10
	s_and_saveexec_b32 s15, s1
; %bb.2931:                             ;   in Loop: Header=BB432_1571 Depth=1
	v_clz_i32_u32_e32 v6, v9
	s_delay_alu instid0(VALU_DEP_1) | instskip(NEXT) | instid1(VALU_DEP_1)
	v_min_u32_e32 v88, 32, v6
	v_subrev_nc_u32_e32 v6, 28, v88
	v_sub_nc_u32_e32 v88, 29, v88
	s_delay_alu instid0(VALU_DEP_2) | instskip(NEXT) | instid1(VALU_DEP_1)
	v_lshlrev_b64 v[6:7], v6, v[9:10]
	v_and_b32_e32 v6, 7, v6
; %bb.2932:                             ;   in Loop: Header=BB432_1571 Depth=1
	s_or_b32 exec_lo, exec_lo, s15
	v_lshlrev_b32_e32 v7, 24, v79
	s_delay_alu instid0(VALU_DEP_2) | instskip(SKIP_1) | instid1(VALU_DEP_3)
	v_lshlrev_b32_e32 v6, 20, v6
	v_lshl_add_u32 v9, v88, 23, 0x3c000000
	v_and_b32_e32 v7, 0x80000000, v7
	s_delay_alu instid0(VALU_DEP_1)
	v_or3_b32 v6, v6, v7, v9
.LBB432_2933:                           ;   in Loop: Header=BB432_1571 Depth=1
	s_or_b32 exec_lo, exec_lo, s13
.LBB432_2934:                           ;   in Loop: Header=BB432_1571 Depth=1
	s_delay_alu instid0(SALU_CYCLE_1)
	s_or_b32 exec_lo, exec_lo, s12
.LBB432_2935:                           ;   in Loop: Header=BB432_1571 Depth=1
	s_delay_alu instid0(SALU_CYCLE_1) | instskip(NEXT) | instid1(VALU_DEP_1)
	s_or_b32 exec_lo, exec_lo, s11
	v_mul_f32_e32 v6, v26, v6
                                        ; implicit-def: $vgpr79
	s_delay_alu instid0(VALU_DEP_1) | instskip(NEXT) | instid1(VALU_DEP_1)
	v_and_b32_e32 v7, 0x7f800000, v6
	v_cmp_ne_u32_e64 s1, 0x7f800000, v7
	s_delay_alu instid0(VALU_DEP_1) | instskip(NEXT) | instid1(SALU_CYCLE_1)
	s_and_saveexec_b32 s11, s1
	s_xor_b32 s1, exec_lo, s11
; %bb.2936:                             ;   in Loop: Header=BB432_1571 Depth=1
	v_bfe_u32 v7, v6, 16, 1
	s_delay_alu instid0(VALU_DEP_1)
	v_add3_u32 v79, v6, v7, 0x7fff
                                        ; implicit-def: $vgpr6
; %bb.2937:                             ;   in Loop: Header=BB432_1571 Depth=1
	s_and_not1_saveexec_b32 s11, s1
; %bb.2938:                             ;   in Loop: Header=BB432_1571 Depth=1
	v_and_b32_e32 v7, 0xffff, v6
	v_or_b32_e32 v9, 0x10000, v6
	s_delay_alu instid0(VALU_DEP_2) | instskip(NEXT) | instid1(VALU_DEP_1)
	v_cmp_eq_u32_e64 s1, 0, v7
	v_cndmask_b32_e64 v79, v9, v6, s1
; %bb.2939:                             ;   in Loop: Header=BB432_1571 Depth=1
	s_or_b32 exec_lo, exec_lo, s11
	v_mov_b32_e32 v6, 0
	s_mov_b32 s11, exec_lo
	v_cmpx_lt_u32_e32 0xffffff, v2
	s_cbranch_execz .LBB432_2947
; %bb.2940:                             ;   in Loop: Header=BB432_1571 Depth=1
	v_lshrrev_b32_e32 v88, 24, v2
	v_bfrev_b32_e32 v6, 1
	s_mov_b32 s12, exec_lo
	s_delay_alu instid0(VALU_DEP_2)
	v_cmpx_ne_u32_e32 0x80, v88
	s_cbranch_execz .LBB432_2946
; %bb.2941:                             ;   in Loop: Header=BB432_1571 Depth=1
	v_bfe_u32 v7, v2, 24, 7
	v_mov_b32_e32 v6, 0x7f800001
	s_mov_b32 s13, exec_lo
	s_delay_alu instid0(VALU_DEP_2)
	v_cmpx_ne_u32_e32 0x7f, v7
	s_cbranch_execz .LBB432_2945
; %bb.2942:                             ;   in Loop: Header=BB432_1571 Depth=1
	v_and_b32_e32 v9, 7, v88
	v_lshrrev_b32_e32 v89, 3, v7
	v_cmp_gt_u32_e64 s1, 8, v7
	s_delay_alu instid0(VALU_DEP_3) | instskip(NEXT) | instid1(VALU_DEP_2)
	v_dual_mov_b32 v6, v9 :: v_dual_mov_b32 v7, v10
	s_and_saveexec_b32 s15, s1
; %bb.2943:                             ;   in Loop: Header=BB432_1571 Depth=1
	v_clz_i32_u32_e32 v6, v9
	s_delay_alu instid0(VALU_DEP_1) | instskip(NEXT) | instid1(VALU_DEP_1)
	v_min_u32_e32 v89, 32, v6
	v_subrev_nc_u32_e32 v6, 28, v89
	v_sub_nc_u32_e32 v89, 29, v89
	s_delay_alu instid0(VALU_DEP_2) | instskip(NEXT) | instid1(VALU_DEP_1)
	v_lshlrev_b64 v[6:7], v6, v[9:10]
	v_and_b32_e32 v6, 7, v6
; %bb.2944:                             ;   in Loop: Header=BB432_1571 Depth=1
	s_or_b32 exec_lo, exec_lo, s15
	v_lshlrev_b32_e32 v7, 24, v88
	s_delay_alu instid0(VALU_DEP_2) | instskip(SKIP_1) | instid1(VALU_DEP_3)
	v_lshlrev_b32_e32 v6, 20, v6
	v_lshl_add_u32 v9, v89, 23, 0x3c000000
	v_and_b32_e32 v7, 0x80000000, v7
	s_delay_alu instid0(VALU_DEP_1)
	v_or3_b32 v6, v6, v7, v9
.LBB432_2945:                           ;   in Loop: Header=BB432_1571 Depth=1
	s_or_b32 exec_lo, exec_lo, s13
.LBB432_2946:                           ;   in Loop: Header=BB432_1571 Depth=1
	s_delay_alu instid0(SALU_CYCLE_1)
	s_or_b32 exec_lo, exec_lo, s12
.LBB432_2947:                           ;   in Loop: Header=BB432_1571 Depth=1
	s_delay_alu instid0(SALU_CYCLE_1) | instskip(NEXT) | instid1(VALU_DEP_1)
	s_or_b32 exec_lo, exec_lo, s11
	v_mul_f32_e32 v6, v26, v6
                                        ; implicit-def: $vgpr88
	s_delay_alu instid0(VALU_DEP_1) | instskip(NEXT) | instid1(VALU_DEP_1)
	v_and_b32_e32 v7, 0x7f800000, v6
	v_cmp_ne_u32_e64 s1, 0x7f800000, v7
	s_delay_alu instid0(VALU_DEP_1) | instskip(NEXT) | instid1(SALU_CYCLE_1)
	s_and_saveexec_b32 s11, s1
	s_xor_b32 s1, exec_lo, s11
; %bb.2948:                             ;   in Loop: Header=BB432_1571 Depth=1
	v_bfe_u32 v7, v6, 16, 1
	s_delay_alu instid0(VALU_DEP_1)
	v_add3_u32 v88, v6, v7, 0x7fff
                                        ; implicit-def: $vgpr6
; %bb.2949:                             ;   in Loop: Header=BB432_1571 Depth=1
	s_and_not1_saveexec_b32 s11, s1
; %bb.2950:                             ;   in Loop: Header=BB432_1571 Depth=1
	v_and_b32_e32 v7, 0xffff, v6
	v_or_b32_e32 v9, 0x10000, v6
	s_delay_alu instid0(VALU_DEP_2) | instskip(NEXT) | instid1(VALU_DEP_1)
	v_cmp_eq_u32_e64 s1, 0, v7
	v_cndmask_b32_e64 v88, v9, v6, s1
; %bb.2951:                             ;   in Loop: Header=BB432_1571 Depth=1
	s_or_b32 exec_lo, exec_lo, s11
	v_dual_mov_b32 v6, 0 :: v_dual_and_b32 v7, 0xff, v3
	v_mov_b32_e32 v9, v3
	s_mov_b32 s11, exec_lo
	s_delay_alu instid0(VALU_DEP_2)
	v_cmpx_ne_u16_e32 0, v7
	s_cbranch_execz .LBB432_2959
; %bb.2952:                             ;   in Loop: Header=BB432_1571 Depth=1
	v_bfrev_b32_e32 v6, 1
	s_mov_b32 s12, exec_lo
	v_cmpx_ne_u16_e32 0x80, v7
	s_cbranch_execz .LBB432_2958
; %bb.2953:                             ;   in Loop: Header=BB432_1571 Depth=1
	v_and_b32_e32 v7, 0x7f, v3
	v_mov_b32_e32 v6, 0x7f800001
	s_mov_b32 s13, exec_lo
	s_delay_alu instid0(VALU_DEP_2)
	v_cmpx_ne_u32_e32 0x7f, v7
	s_cbranch_execz .LBB432_2957
; %bb.2954:                             ;   in Loop: Header=BB432_1571 Depth=1
	v_lshrrev_b32_e32 v89, 3, v7
	v_cmp_gt_u32_e64 s1, 8, v7
	v_dual_mov_b32 v6, v9 :: v_dual_mov_b32 v7, v10
	s_delay_alu instid0(VALU_DEP_2)
	s_and_saveexec_b32 s15, s1
; %bb.2955:                             ;   in Loop: Header=BB432_1571 Depth=1
	v_and_b32_e32 v6, 7, v3
	s_delay_alu instid0(VALU_DEP_1) | instskip(NEXT) | instid1(VALU_DEP_1)
	v_clz_i32_u32_e32 v6, v6
	v_min_u32_e32 v89, 32, v6
	s_delay_alu instid0(VALU_DEP_1) | instskip(SKIP_1) | instid1(VALU_DEP_2)
	v_subrev_nc_u32_e32 v6, 28, v89
	v_sub_nc_u32_e32 v89, 29, v89
	v_lshlrev_b64 v[6:7], v6, v[9:10]
; %bb.2956:                             ;   in Loop: Header=BB432_1571 Depth=1
	s_or_b32 exec_lo, exec_lo, s15
	s_delay_alu instid0(VALU_DEP_1) | instskip(SKIP_2) | instid1(VALU_DEP_3)
	v_lshlrev_b32_e32 v6, 20, v6
	v_lshlrev_b32_e32 v7, 24, v9
	v_lshl_add_u32 v89, v89, 23, 0x3c000000
	v_and_b32_e32 v6, 0x700000, v6
	s_delay_alu instid0(VALU_DEP_3) | instskip(NEXT) | instid1(VALU_DEP_1)
	v_and_b32_e32 v7, 0x80000000, v7
	v_or3_b32 v6, v6, v7, v89
.LBB432_2957:                           ;   in Loop: Header=BB432_1571 Depth=1
	s_or_b32 exec_lo, exec_lo, s13
.LBB432_2958:                           ;   in Loop: Header=BB432_1571 Depth=1
	s_delay_alu instid0(SALU_CYCLE_1)
	s_or_b32 exec_lo, exec_lo, s12
.LBB432_2959:                           ;   in Loop: Header=BB432_1571 Depth=1
	s_delay_alu instid0(SALU_CYCLE_1) | instskip(NEXT) | instid1(VALU_DEP_1)
	s_or_b32 exec_lo, exec_lo, s11
	v_mul_f32_e32 v6, v26, v6
                                        ; implicit-def: $vgpr89
	s_delay_alu instid0(VALU_DEP_1) | instskip(NEXT) | instid1(VALU_DEP_1)
	v_and_b32_e32 v7, 0x7f800000, v6
	v_cmp_ne_u32_e64 s1, 0x7f800000, v7
	s_delay_alu instid0(VALU_DEP_1) | instskip(NEXT) | instid1(SALU_CYCLE_1)
	s_and_saveexec_b32 s11, s1
	s_xor_b32 s1, exec_lo, s11
; %bb.2960:                             ;   in Loop: Header=BB432_1571 Depth=1
	v_bfe_u32 v7, v6, 16, 1
	s_delay_alu instid0(VALU_DEP_1)
	v_add3_u32 v89, v6, v7, 0x7fff
                                        ; implicit-def: $vgpr6
; %bb.2961:                             ;   in Loop: Header=BB432_1571 Depth=1
	s_and_not1_saveexec_b32 s11, s1
; %bb.2962:                             ;   in Loop: Header=BB432_1571 Depth=1
	v_and_b32_e32 v7, 0xffff, v6
	v_or_b32_e32 v89, 0x10000, v6
	s_delay_alu instid0(VALU_DEP_2) | instskip(NEXT) | instid1(VALU_DEP_1)
	v_cmp_eq_u32_e64 s1, 0, v7
	v_cndmask_b32_e64 v89, v89, v6, s1
; %bb.2963:                             ;   in Loop: Header=BB432_1571 Depth=1
	s_or_b32 exec_lo, exec_lo, s11
	v_lshrrev_b16 v7, 8, v9
	v_mov_b32_e32 v6, 0
	s_mov_b32 s11, exec_lo
	s_delay_alu instid0(VALU_DEP_2)
	v_cmpx_ne_u16_e32 0, v7
	s_cbranch_execz .LBB432_2971
; %bb.2964:                             ;   in Loop: Header=BB432_1571 Depth=1
	v_bfrev_b32_e32 v6, 1
	s_mov_b32 s12, exec_lo
	v_cmpx_ne_u16_e32 0x80, v7
	s_cbranch_execz .LBB432_2970
; %bb.2965:                             ;   in Loop: Header=BB432_1571 Depth=1
	v_and_b32_e32 v7, 0xffff, v7
	v_mov_b32_e32 v6, 0x7f800001
	s_mov_b32 s13, exec_lo
	s_delay_alu instid0(VALU_DEP_2) | instskip(NEXT) | instid1(VALU_DEP_1)
	v_and_b32_e32 v91, 0x7f, v7
	v_cmpx_ne_u32_e32 0x7f, v91
	s_cbranch_execz .LBB432_2969
; %bb.2966:                             ;   in Loop: Header=BB432_1571 Depth=1
	v_dual_mov_b32 v7, v10 :: v_dual_and_b32 v6, 7, v7
	v_lshrrev_b32_e32 v90, 3, v91
	s_mov_b32 s15, exec_lo
	v_cmpx_gt_u32_e32 8, v91
; %bb.2967:                             ;   in Loop: Header=BB432_1571 Depth=1
	s_delay_alu instid0(VALU_DEP_3) | instskip(NEXT) | instid1(VALU_DEP_1)
	v_clz_i32_u32_e32 v90, v6
	v_min_u32_e32 v90, 32, v90
	s_delay_alu instid0(VALU_DEP_1) | instskip(SKIP_1) | instid1(VALU_DEP_2)
	v_subrev_nc_u32_e32 v91, 28, v90
	v_sub_nc_u32_e32 v90, 29, v90
	v_lshlrev_b64 v[6:7], v91, v[6:7]
	s_delay_alu instid0(VALU_DEP_1)
	v_and_b32_e32 v6, 7, v6
; %bb.2968:                             ;   in Loop: Header=BB432_1571 Depth=1
	s_or_b32 exec_lo, exec_lo, s15
	v_lshlrev_b32_e32 v7, 16, v9
	s_delay_alu instid0(VALU_DEP_2) | instskip(SKIP_1) | instid1(VALU_DEP_3)
	v_lshlrev_b32_e32 v6, 20, v6
	v_lshl_add_u32 v9, v90, 23, 0x3c000000
	v_and_b32_e32 v7, 0x80000000, v7
	s_delay_alu instid0(VALU_DEP_1)
	v_or3_b32 v6, v6, v7, v9
.LBB432_2969:                           ;   in Loop: Header=BB432_1571 Depth=1
	s_or_b32 exec_lo, exec_lo, s13
.LBB432_2970:                           ;   in Loop: Header=BB432_1571 Depth=1
	s_delay_alu instid0(SALU_CYCLE_1)
	s_or_b32 exec_lo, exec_lo, s12
.LBB432_2971:                           ;   in Loop: Header=BB432_1571 Depth=1
	s_delay_alu instid0(SALU_CYCLE_1) | instskip(NEXT) | instid1(VALU_DEP_1)
	s_or_b32 exec_lo, exec_lo, s11
	v_mul_f32_e32 v6, v26, v6
                                        ; implicit-def: $vgpr90
	s_delay_alu instid0(VALU_DEP_1) | instskip(NEXT) | instid1(VALU_DEP_1)
	v_and_b32_e32 v7, 0x7f800000, v6
	v_cmp_ne_u32_e64 s1, 0x7f800000, v7
	s_delay_alu instid0(VALU_DEP_1) | instskip(NEXT) | instid1(SALU_CYCLE_1)
	s_and_saveexec_b32 s11, s1
	s_xor_b32 s1, exec_lo, s11
; %bb.2972:                             ;   in Loop: Header=BB432_1571 Depth=1
	v_bfe_u32 v7, v6, 16, 1
	s_delay_alu instid0(VALU_DEP_1)
	v_add3_u32 v90, v6, v7, 0x7fff
                                        ; implicit-def: $vgpr6
; %bb.2973:                             ;   in Loop: Header=BB432_1571 Depth=1
	s_and_not1_saveexec_b32 s11, s1
; %bb.2974:                             ;   in Loop: Header=BB432_1571 Depth=1
	v_and_b32_e32 v7, 0xffff, v6
	v_or_b32_e32 v9, 0x10000, v6
	s_delay_alu instid0(VALU_DEP_2) | instskip(NEXT) | instid1(VALU_DEP_1)
	v_cmp_eq_u32_e64 s1, 0, v7
	v_cndmask_b32_e64 v90, v9, v6, s1
; %bb.2975:                             ;   in Loop: Header=BB432_1571 Depth=1
	s_or_b32 exec_lo, exec_lo, s11
	v_lshrrev_b32_e32 v91, 16, v3
	s_mov_b32 s11, exec_lo
	s_delay_alu instid0(VALU_DEP_1) | instskip(NEXT) | instid1(VALU_DEP_1)
	v_dual_mov_b32 v6, 0 :: v_dual_and_b32 v7, 0xff, v91
	v_cmpx_ne_u16_e32 0, v7
	s_cbranch_execz .LBB432_2983
; %bb.2976:                             ;   in Loop: Header=BB432_1571 Depth=1
	v_bfrev_b32_e32 v6, 1
	s_mov_b32 s12, exec_lo
	v_cmpx_ne_u16_e32 0x80, v7
	s_cbranch_execz .LBB432_2982
; %bb.2977:                             ;   in Loop: Header=BB432_1571 Depth=1
	v_bfe_u32 v7, v3, 16, 7
	v_mov_b32_e32 v6, 0x7f800001
	s_mov_b32 s13, exec_lo
	s_delay_alu instid0(VALU_DEP_2)
	v_cmpx_ne_u32_e32 0x7f, v7
	s_cbranch_execz .LBB432_2981
; %bb.2978:                             ;   in Loop: Header=BB432_1571 Depth=1
	v_and_b32_e32 v9, 7, v91
	v_lshrrev_b32_e32 v92, 3, v7
	v_cmp_gt_u32_e64 s1, 8, v7
	s_delay_alu instid0(VALU_DEP_3) | instskip(NEXT) | instid1(VALU_DEP_2)
	v_dual_mov_b32 v6, v9 :: v_dual_mov_b32 v7, v10
	s_and_saveexec_b32 s15, s1
; %bb.2979:                             ;   in Loop: Header=BB432_1571 Depth=1
	v_clz_i32_u32_e32 v6, v9
	s_delay_alu instid0(VALU_DEP_1) | instskip(NEXT) | instid1(VALU_DEP_1)
	v_min_u32_e32 v92, 32, v6
	v_subrev_nc_u32_e32 v6, 28, v92
	v_sub_nc_u32_e32 v92, 29, v92
	s_delay_alu instid0(VALU_DEP_2) | instskip(NEXT) | instid1(VALU_DEP_1)
	v_lshlrev_b64 v[6:7], v6, v[9:10]
	v_and_b32_e32 v6, 7, v6
; %bb.2980:                             ;   in Loop: Header=BB432_1571 Depth=1
	s_or_b32 exec_lo, exec_lo, s15
	v_lshlrev_b32_e32 v7, 24, v91
	s_delay_alu instid0(VALU_DEP_2) | instskip(SKIP_1) | instid1(VALU_DEP_3)
	v_lshlrev_b32_e32 v6, 20, v6
	v_lshl_add_u32 v9, v92, 23, 0x3c000000
	v_and_b32_e32 v7, 0x80000000, v7
	s_delay_alu instid0(VALU_DEP_1)
	v_or3_b32 v6, v6, v7, v9
.LBB432_2981:                           ;   in Loop: Header=BB432_1571 Depth=1
	s_or_b32 exec_lo, exec_lo, s13
.LBB432_2982:                           ;   in Loop: Header=BB432_1571 Depth=1
	s_delay_alu instid0(SALU_CYCLE_1)
	s_or_b32 exec_lo, exec_lo, s12
.LBB432_2983:                           ;   in Loop: Header=BB432_1571 Depth=1
	s_delay_alu instid0(SALU_CYCLE_1) | instskip(NEXT) | instid1(VALU_DEP_1)
	s_or_b32 exec_lo, exec_lo, s11
	v_mul_f32_e32 v6, v26, v6
                                        ; implicit-def: $vgpr91
	s_delay_alu instid0(VALU_DEP_1) | instskip(NEXT) | instid1(VALU_DEP_1)
	v_and_b32_e32 v7, 0x7f800000, v6
	v_cmp_ne_u32_e64 s1, 0x7f800000, v7
	s_delay_alu instid0(VALU_DEP_1) | instskip(NEXT) | instid1(SALU_CYCLE_1)
	s_and_saveexec_b32 s11, s1
	s_xor_b32 s1, exec_lo, s11
; %bb.2984:                             ;   in Loop: Header=BB432_1571 Depth=1
	v_bfe_u32 v7, v6, 16, 1
	s_delay_alu instid0(VALU_DEP_1)
	v_add3_u32 v91, v6, v7, 0x7fff
                                        ; implicit-def: $vgpr6
; %bb.2985:                             ;   in Loop: Header=BB432_1571 Depth=1
	s_and_not1_saveexec_b32 s11, s1
; %bb.2986:                             ;   in Loop: Header=BB432_1571 Depth=1
	v_and_b32_e32 v7, 0xffff, v6
	v_or_b32_e32 v9, 0x10000, v6
	s_delay_alu instid0(VALU_DEP_2) | instskip(NEXT) | instid1(VALU_DEP_1)
	v_cmp_eq_u32_e64 s1, 0, v7
	v_cndmask_b32_e64 v91, v9, v6, s1
; %bb.2987:                             ;   in Loop: Header=BB432_1571 Depth=1
	s_or_b32 exec_lo, exec_lo, s11
	v_cmp_lt_u64_e64 s1, s[2:3], v[2:3]
	v_mov_b32_e32 v2, 0
	s_delay_alu instid0(VALU_DEP_2)
	s_and_saveexec_b32 s11, s1
	s_cbranch_execz .LBB432_2995
; %bb.2988:                             ;   in Loop: Header=BB432_1571 Depth=1
	v_lshrrev_b32_e32 v6, 24, v3
	v_bfrev_b32_e32 v2, 1
	s_mov_b32 s12, exec_lo
	s_delay_alu instid0(VALU_DEP_2)
	v_cmpx_ne_u32_e32 0x80, v6
	s_cbranch_execz .LBB432_2994
; %bb.2989:                             ;   in Loop: Header=BB432_1571 Depth=1
	v_bfe_u32 v3, v3, 24, 7
	v_mov_b32_e32 v2, 0x7f800001
	s_mov_b32 s13, exec_lo
	s_delay_alu instid0(VALU_DEP_2)
	v_cmpx_ne_u32_e32 0x7f, v3
	s_cbranch_execz .LBB432_2993
; %bb.2990:                             ;   in Loop: Header=BB432_1571 Depth=1
	v_and_b32_e32 v9, 7, v6
	v_lshrrev_b32_e32 v7, 3, v3
	v_cmp_gt_u32_e64 s1, 8, v3
	s_delay_alu instid0(VALU_DEP_3) | instskip(NEXT) | instid1(VALU_DEP_2)
	v_dual_mov_b32 v2, v9 :: v_dual_mov_b32 v3, v10
	s_and_saveexec_b32 s15, s1
; %bb.2991:                             ;   in Loop: Header=BB432_1571 Depth=1
	v_clz_i32_u32_e32 v2, v9
	s_delay_alu instid0(VALU_DEP_1) | instskip(NEXT) | instid1(VALU_DEP_1)
	v_min_u32_e32 v7, 32, v2
	v_subrev_nc_u32_e32 v2, 28, v7
	v_sub_nc_u32_e32 v7, 29, v7
	s_delay_alu instid0(VALU_DEP_2) | instskip(NEXT) | instid1(VALU_DEP_1)
	v_lshlrev_b64 v[2:3], v2, v[9:10]
	v_and_b32_e32 v2, 7, v2
; %bb.2992:                             ;   in Loop: Header=BB432_1571 Depth=1
	s_or_b32 exec_lo, exec_lo, s15
	v_lshlrev_b32_e32 v3, 24, v6
	s_delay_alu instid0(VALU_DEP_2) | instskip(SKIP_1) | instid1(VALU_DEP_3)
	v_lshlrev_b32_e32 v2, 20, v2
	v_lshl_add_u32 v6, v7, 23, 0x3c000000
	v_and_b32_e32 v3, 0x80000000, v3
	s_delay_alu instid0(VALU_DEP_1)
	v_or3_b32 v2, v2, v3, v6
.LBB432_2993:                           ;   in Loop: Header=BB432_1571 Depth=1
	s_or_b32 exec_lo, exec_lo, s13
.LBB432_2994:                           ;   in Loop: Header=BB432_1571 Depth=1
	s_delay_alu instid0(SALU_CYCLE_1)
	s_or_b32 exec_lo, exec_lo, s12
.LBB432_2995:                           ;   in Loop: Header=BB432_1571 Depth=1
	s_delay_alu instid0(SALU_CYCLE_1) | instskip(NEXT) | instid1(VALU_DEP_1)
	s_or_b32 exec_lo, exec_lo, s11
	v_mul_f32_e32 v3, v26, v2
	s_delay_alu instid0(VALU_DEP_1) | instskip(NEXT) | instid1(VALU_DEP_1)
	v_and_b32_e32 v2, 0x7f800000, v3
	v_cmp_ne_u32_e64 s1, 0x7f800000, v2
                                        ; implicit-def: $vgpr2
	s_delay_alu instid0(VALU_DEP_1) | instskip(NEXT) | instid1(SALU_CYCLE_1)
	s_and_saveexec_b32 s11, s1
	s_xor_b32 s1, exec_lo, s11
; %bb.2996:                             ;   in Loop: Header=BB432_1571 Depth=1
	v_bfe_u32 v2, v3, 16, 1
	s_delay_alu instid0(VALU_DEP_1)
	v_add3_u32 v2, v3, v2, 0x7fff
                                        ; implicit-def: $vgpr3
; %bb.2997:                             ;   in Loop: Header=BB432_1571 Depth=1
	s_and_not1_saveexec_b32 s11, s1
; %bb.2998:                             ;   in Loop: Header=BB432_1571 Depth=1
	v_and_b32_e32 v2, 0xffff, v3
	v_or_b32_e32 v6, 0x10000, v3
	s_delay_alu instid0(VALU_DEP_2) | instskip(NEXT) | instid1(VALU_DEP_1)
	v_cmp_eq_u32_e64 s1, 0, v2
	v_cndmask_b32_e64 v2, v6, v3, s1
; %bb.2999:                             ;   in Loop: Header=BB432_1571 Depth=1
	s_or_b32 exec_lo, exec_lo, s11
	v_lshrrev_b32_e32 v6, 16, v90
	v_lshrrev_b32_e32 v7, 16, v89
	;; [unrolled: 1-line block ×8, first 2 shown]
	s_and_saveexec_b32 s11, vcc_lo
	s_cbranch_execz .LBB432_3001
; %bb.3000:                             ;   in Loop: Header=BB432_1571 Depth=1
	v_cmp_lt_i32_e64 s1, v68, v35
	s_delay_alu instid0(VALU_DEP_1) | instskip(SKIP_1) | instid1(VALU_DEP_1)
	v_cndmask_b32_e64 v77, 0, v77, s1
	v_cmp_lt_i32_e64 s1, v82, v35
	v_cndmask_b32_e64 v78, 0, v78, s1
	v_cmp_lt_i32_e64 s1, v81, v35
	s_delay_alu instid0(VALU_DEP_1) | instskip(SKIP_1) | instid1(VALU_DEP_1)
	v_cndmask_b32_e64 v79, 0, v79, s1
	v_cmp_lt_i32_e64 s1, v80, v35
	v_cndmask_b32_e64 v9, 0, v9, s1
	;; [unrolled: 5-line block ×4, first 2 shown]
.LBB432_3001:                           ;   in Loop: Header=BB432_1571 Depth=1
	s_or_b32 exec_lo, exec_lo, s11
	v_lshlrev_b32_e32 v77, 16, v77
	s_delay_alu instid0(VALU_DEP_1) | instskip(NEXT) | instid1(VALU_DEP_1)
	v_mul_f32_e32 v88, v83, v77
	v_and_b32_e32 v77, 0x7f800000, v88
	s_delay_alu instid0(VALU_DEP_1) | instskip(NEXT) | instid1(VALU_DEP_1)
	v_cmp_ne_u32_e64 s1, 0x7f800000, v77
                                        ; implicit-def: $vgpr77
	s_and_saveexec_b32 s11, s1
	s_delay_alu instid0(SALU_CYCLE_1)
	s_xor_b32 s1, exec_lo, s11
; %bb.3002:                             ;   in Loop: Header=BB432_1571 Depth=1
	v_bfe_u32 v77, v88, 16, 1
	s_delay_alu instid0(VALU_DEP_1)
	v_add3_u32 v77, v88, v77, 0x7fff
                                        ; implicit-def: $vgpr88
; %bb.3003:                             ;   in Loop: Header=BB432_1571 Depth=1
	s_and_not1_saveexec_b32 s11, s1
; %bb.3004:                             ;   in Loop: Header=BB432_1571 Depth=1
	v_and_b32_e32 v77, 0xffff, v88
	v_or_b32_e32 v89, 0x10000, v88
	s_delay_alu instid0(VALU_DEP_2) | instskip(NEXT) | instid1(VALU_DEP_1)
	v_cmp_eq_u32_e64 s1, 0, v77
	v_cndmask_b32_e64 v77, v89, v88, s1
; %bb.3005:                             ;   in Loop: Header=BB432_1571 Depth=1
	s_or_b32 exec_lo, exec_lo, s11
	v_lshlrev_b32_e32 v78, 16, v78
	s_delay_alu instid0(VALU_DEP_1) | instskip(NEXT) | instid1(VALU_DEP_1)
	v_mul_f32_e32 v88, v84, v78
	v_and_b32_e32 v78, 0x7f800000, v88
	s_delay_alu instid0(VALU_DEP_1) | instskip(NEXT) | instid1(VALU_DEP_1)
	v_cmp_ne_u32_e64 s1, 0x7f800000, v78
                                        ; implicit-def: $vgpr78
	s_and_saveexec_b32 s11, s1
	s_delay_alu instid0(SALU_CYCLE_1)
	s_xor_b32 s1, exec_lo, s11
; %bb.3006:                             ;   in Loop: Header=BB432_1571 Depth=1
	v_bfe_u32 v78, v88, 16, 1
	s_delay_alu instid0(VALU_DEP_1)
	v_add3_u32 v78, v88, v78, 0x7fff
                                        ; implicit-def: $vgpr88
; %bb.3007:                             ;   in Loop: Header=BB432_1571 Depth=1
	s_and_not1_saveexec_b32 s11, s1
; %bb.3008:                             ;   in Loop: Header=BB432_1571 Depth=1
	v_and_b32_e32 v78, 0xffff, v88
	v_or_b32_e32 v89, 0x10000, v88
	s_delay_alu instid0(VALU_DEP_2) | instskip(NEXT) | instid1(VALU_DEP_1)
	v_cmp_eq_u32_e64 s1, 0, v78
	v_cndmask_b32_e64 v78, v89, v88, s1
; %bb.3009:                             ;   in Loop: Header=BB432_1571 Depth=1
	s_or_b32 exec_lo, exec_lo, s11
	v_lshlrev_b32_e32 v79, 16, v79
	s_delay_alu instid0(VALU_DEP_1) | instskip(NEXT) | instid1(VALU_DEP_1)
	v_mul_f32_e32 v88, v85, v79
	v_and_b32_e32 v79, 0x7f800000, v88
	s_delay_alu instid0(VALU_DEP_1) | instskip(NEXT) | instid1(VALU_DEP_1)
	v_cmp_ne_u32_e64 s1, 0x7f800000, v79
                                        ; implicit-def: $vgpr79
	s_and_saveexec_b32 s11, s1
	s_delay_alu instid0(SALU_CYCLE_1)
	s_xor_b32 s1, exec_lo, s11
; %bb.3010:                             ;   in Loop: Header=BB432_1571 Depth=1
	v_bfe_u32 v79, v88, 16, 1
	s_delay_alu instid0(VALU_DEP_1)
	v_add3_u32 v79, v88, v79, 0x7fff
                                        ; implicit-def: $vgpr88
; %bb.3011:                             ;   in Loop: Header=BB432_1571 Depth=1
	s_and_not1_saveexec_b32 s11, s1
; %bb.3012:                             ;   in Loop: Header=BB432_1571 Depth=1
	v_and_b32_e32 v79, 0xffff, v88
	v_or_b32_e32 v89, 0x10000, v88
	s_delay_alu instid0(VALU_DEP_2) | instskip(NEXT) | instid1(VALU_DEP_1)
	v_cmp_eq_u32_e64 s1, 0, v79
	v_cndmask_b32_e64 v79, v89, v88, s1
; %bb.3013:                             ;   in Loop: Header=BB432_1571 Depth=1
	s_or_b32 exec_lo, exec_lo, s11
	v_lshlrev_b32_e32 v9, 16, v9
	s_delay_alu instid0(VALU_DEP_1) | instskip(NEXT) | instid1(VALU_DEP_1)
	v_mul_f32_e32 v9, v86, v9
	v_and_b32_e32 v88, 0x7f800000, v9
	s_delay_alu instid0(VALU_DEP_1) | instskip(NEXT) | instid1(VALU_DEP_1)
	v_cmp_ne_u32_e64 s1, 0x7f800000, v88
                                        ; implicit-def: $vgpr88
	s_and_saveexec_b32 s11, s1
	s_delay_alu instid0(SALU_CYCLE_1)
	s_xor_b32 s1, exec_lo, s11
; %bb.3014:                             ;   in Loop: Header=BB432_1571 Depth=1
	v_bfe_u32 v88, v9, 16, 1
	s_delay_alu instid0(VALU_DEP_1)
	v_add3_u32 v88, v9, v88, 0x7fff
                                        ; implicit-def: $vgpr9
; %bb.3015:                             ;   in Loop: Header=BB432_1571 Depth=1
	s_and_not1_saveexec_b32 s11, s1
; %bb.3016:                             ;   in Loop: Header=BB432_1571 Depth=1
	v_and_b32_e32 v88, 0xffff, v9
	v_or_b32_e32 v89, 0x10000, v9
	s_delay_alu instid0(VALU_DEP_2) | instskip(NEXT) | instid1(VALU_DEP_1)
	v_cmp_eq_u32_e64 s1, 0, v88
	v_cndmask_b32_e64 v88, v89, v9, s1
; %bb.3017:                             ;   in Loop: Header=BB432_1571 Depth=1
	s_or_b32 exec_lo, exec_lo, s11
	v_lshlrev_b32_e32 v7, 16, v7
                                        ; implicit-def: $vgpr89
	s_delay_alu instid0(VALU_DEP_1) | instskip(NEXT) | instid1(VALU_DEP_1)
	v_mul_f32_e32 v7, v87, v7
	v_and_b32_e32 v9, 0x7f800000, v7
	s_delay_alu instid0(VALU_DEP_1) | instskip(NEXT) | instid1(VALU_DEP_1)
	v_cmp_ne_u32_e64 s1, 0x7f800000, v9
	s_and_saveexec_b32 s11, s1
	s_delay_alu instid0(SALU_CYCLE_1)
	s_xor_b32 s1, exec_lo, s11
; %bb.3018:                             ;   in Loop: Header=BB432_1571 Depth=1
	v_bfe_u32 v9, v7, 16, 1
	s_delay_alu instid0(VALU_DEP_1)
	v_add3_u32 v89, v7, v9, 0x7fff
                                        ; implicit-def: $vgpr7
; %bb.3019:                             ;   in Loop: Header=BB432_1571 Depth=1
	s_and_not1_saveexec_b32 s11, s1
; %bb.3020:                             ;   in Loop: Header=BB432_1571 Depth=1
	v_and_b32_e32 v9, 0xffff, v7
	v_or_b32_e32 v89, 0x10000, v7
	s_delay_alu instid0(VALU_DEP_2) | instskip(NEXT) | instid1(VALU_DEP_1)
	v_cmp_eq_u32_e64 s1, 0, v9
	v_cndmask_b32_e64 v89, v89, v7, s1
; %bb.3021:                             ;   in Loop: Header=BB432_1571 Depth=1
	s_or_b32 exec_lo, exec_lo, s11
	v_lshlrev_b32_e32 v6, 16, v6
                                        ; implicit-def: $vgpr90
	s_delay_alu instid0(VALU_DEP_1) | instskip(NEXT) | instid1(VALU_DEP_1)
	v_mul_f32_e32 v6, v96, v6
	v_and_b32_e32 v7, 0x7f800000, v6
	s_delay_alu instid0(VALU_DEP_1) | instskip(NEXT) | instid1(VALU_DEP_1)
	v_cmp_ne_u32_e64 s1, 0x7f800000, v7
	s_and_saveexec_b32 s11, s1
	s_delay_alu instid0(SALU_CYCLE_1)
	s_xor_b32 s1, exec_lo, s11
; %bb.3022:                             ;   in Loop: Header=BB432_1571 Depth=1
	v_bfe_u32 v7, v6, 16, 1
	s_delay_alu instid0(VALU_DEP_1)
	v_add3_u32 v90, v6, v7, 0x7fff
                                        ; implicit-def: $vgpr6
; %bb.3023:                             ;   in Loop: Header=BB432_1571 Depth=1
	s_and_not1_saveexec_b32 s11, s1
; %bb.3024:                             ;   in Loop: Header=BB432_1571 Depth=1
	v_and_b32_e32 v7, 0xffff, v6
	v_or_b32_e32 v9, 0x10000, v6
	s_delay_alu instid0(VALU_DEP_2) | instskip(NEXT) | instid1(VALU_DEP_1)
	v_cmp_eq_u32_e64 s1, 0, v7
	v_cndmask_b32_e64 v90, v9, v6, s1
; %bb.3025:                             ;   in Loop: Header=BB432_1571 Depth=1
	s_or_b32 exec_lo, exec_lo, s11
	v_lshlrev_b32_e32 v3, 16, v3
                                        ; implicit-def: $vgpr91
	s_delay_alu instid0(VALU_DEP_1) | instskip(NEXT) | instid1(VALU_DEP_1)
	v_mul_f32_e32 v3, v97, v3
	v_and_b32_e32 v6, 0x7f800000, v3
	s_delay_alu instid0(VALU_DEP_1) | instskip(NEXT) | instid1(VALU_DEP_1)
	v_cmp_ne_u32_e64 s1, 0x7f800000, v6
	s_and_saveexec_b32 s11, s1
	s_delay_alu instid0(SALU_CYCLE_1)
	s_xor_b32 s1, exec_lo, s11
; %bb.3026:                             ;   in Loop: Header=BB432_1571 Depth=1
	v_bfe_u32 v6, v3, 16, 1
	s_delay_alu instid0(VALU_DEP_1)
	v_add3_u32 v91, v3, v6, 0x7fff
                                        ; implicit-def: $vgpr3
; %bb.3027:                             ;   in Loop: Header=BB432_1571 Depth=1
	s_and_not1_saveexec_b32 s11, s1
; %bb.3028:                             ;   in Loop: Header=BB432_1571 Depth=1
	v_and_b32_e32 v6, 0xffff, v3
	v_or_b32_e32 v7, 0x10000, v3
	s_delay_alu instid0(VALU_DEP_2) | instskip(NEXT) | instid1(VALU_DEP_1)
	v_cmp_eq_u32_e64 s1, 0, v6
	v_cndmask_b32_e64 v91, v7, v3, s1
; %bb.3029:                             ;   in Loop: Header=BB432_1571 Depth=1
	s_or_b32 exec_lo, exec_lo, s11
	v_lshlrev_b32_e32 v2, 16, v2
                                        ; implicit-def: $vgpr92
	s_delay_alu instid0(VALU_DEP_1) | instskip(NEXT) | instid1(VALU_DEP_1)
	v_mul_f32_e32 v2, v98, v2
	v_and_b32_e32 v3, 0x7f800000, v2
	s_delay_alu instid0(VALU_DEP_1) | instskip(NEXT) | instid1(VALU_DEP_1)
	v_cmp_ne_u32_e64 s1, 0x7f800000, v3
	s_and_saveexec_b32 s11, s1
	s_delay_alu instid0(SALU_CYCLE_1)
	s_xor_b32 s1, exec_lo, s11
; %bb.3030:                             ;   in Loop: Header=BB432_1571 Depth=1
	v_bfe_u32 v3, v2, 16, 1
	s_delay_alu instid0(VALU_DEP_1)
	v_add3_u32 v92, v2, v3, 0x7fff
                                        ; implicit-def: $vgpr2
; %bb.3031:                             ;   in Loop: Header=BB432_1571 Depth=1
	s_and_not1_saveexec_b32 s11, s1
; %bb.3032:                             ;   in Loop: Header=BB432_1571 Depth=1
	v_and_b32_e32 v3, 0xffff, v2
	v_or_b32_e32 v6, 0x10000, v2
	s_delay_alu instid0(VALU_DEP_2) | instskip(NEXT) | instid1(VALU_DEP_1)
	v_cmp_eq_u32_e64 s1, 0, v3
	v_cndmask_b32_e64 v92, v6, v2, s1
; %bb.3033:                             ;   in Loop: Header=BB432_1571 Depth=1
	s_or_b32 exec_lo, exec_lo, s11
	flat_load_b64 v[2:3], v[0:1] offset:2816
	s_mov_b32 s11, exec_lo
	s_waitcnt vmcnt(0) lgkmcnt(0)
	v_dual_mov_b32 v6, 0 :: v_dual_and_b32 v7, 0xff, v2
	s_delay_alu instid0(VALU_DEP_1)
	v_cmpx_ne_u16_e32 0, v7
	s_cbranch_execz .LBB432_3041
; %bb.3034:                             ;   in Loop: Header=BB432_1571 Depth=1
	v_bfrev_b32_e32 v6, 1
	s_mov_b32 s12, exec_lo
	v_cmpx_ne_u16_e32 0x80, v7
	s_cbranch_execz .LBB432_3040
; %bb.3035:                             ;   in Loop: Header=BB432_1571 Depth=1
	v_and_b32_e32 v7, 0x7f, v2
	v_mov_b32_e32 v6, 0x7f800001
	s_mov_b32 s13, exec_lo
	s_delay_alu instid0(VALU_DEP_2)
	v_cmpx_ne_u32_e32 0x7f, v7
	s_cbranch_execz .LBB432_3039
; %bb.3036:                             ;   in Loop: Header=BB432_1571 Depth=1
	v_lshrrev_b32_e32 v9, 3, v7
	v_cmp_gt_u32_e64 s1, 8, v7
	v_dual_mov_b32 v7, v3 :: v_dual_mov_b32 v6, v2
	s_delay_alu instid0(VALU_DEP_2)
	s_and_saveexec_b32 s15, s1
; %bb.3037:                             ;   in Loop: Header=BB432_1571 Depth=1
	v_and_b32_e32 v6, 7, v2
	s_delay_alu instid0(VALU_DEP_1) | instskip(NEXT) | instid1(VALU_DEP_1)
	v_clz_i32_u32_e32 v6, v6
	v_min_u32_e32 v9, 32, v6
	s_delay_alu instid0(VALU_DEP_1) | instskip(SKIP_1) | instid1(VALU_DEP_2)
	v_subrev_nc_u32_e32 v6, 28, v9
	v_sub_nc_u32_e32 v9, 29, v9
	v_lshlrev_b64 v[6:7], v6, v[2:3]
; %bb.3038:                             ;   in Loop: Header=BB432_1571 Depth=1
	s_or_b32 exec_lo, exec_lo, s15
	s_delay_alu instid0(VALU_DEP_1) | instskip(SKIP_2) | instid1(VALU_DEP_3)
	v_lshlrev_b32_e32 v6, 20, v6
	v_lshlrev_b32_e32 v7, 24, v2
	v_lshl_add_u32 v9, v9, 23, 0x3c000000
	v_and_b32_e32 v6, 0x700000, v6
	s_delay_alu instid0(VALU_DEP_3) | instskip(NEXT) | instid1(VALU_DEP_1)
	v_and_b32_e32 v7, 0x80000000, v7
	v_or3_b32 v6, v6, v7, v9
.LBB432_3039:                           ;   in Loop: Header=BB432_1571 Depth=1
	s_or_b32 exec_lo, exec_lo, s13
.LBB432_3040:                           ;   in Loop: Header=BB432_1571 Depth=1
	s_delay_alu instid0(SALU_CYCLE_1)
	s_or_b32 exec_lo, exec_lo, s12
.LBB432_3041:                           ;   in Loop: Header=BB432_1571 Depth=1
	s_delay_alu instid0(SALU_CYCLE_1) | instskip(NEXT) | instid1(VALU_DEP_1)
	s_or_b32 exec_lo, exec_lo, s11
	v_mul_f32_e32 v6, v26, v6
                                        ; implicit-def: $vgpr93
	s_delay_alu instid0(VALU_DEP_1) | instskip(NEXT) | instid1(VALU_DEP_1)
	v_and_b32_e32 v7, 0x7f800000, v6
	v_cmp_ne_u32_e64 s1, 0x7f800000, v7
	s_delay_alu instid0(VALU_DEP_1) | instskip(NEXT) | instid1(SALU_CYCLE_1)
	s_and_saveexec_b32 s11, s1
	s_xor_b32 s1, exec_lo, s11
; %bb.3042:                             ;   in Loop: Header=BB432_1571 Depth=1
	v_bfe_u32 v7, v6, 16, 1
	s_delay_alu instid0(VALU_DEP_1)
	v_add3_u32 v93, v6, v7, 0x7fff
                                        ; implicit-def: $vgpr6
; %bb.3043:                             ;   in Loop: Header=BB432_1571 Depth=1
	s_and_not1_saveexec_b32 s11, s1
; %bb.3044:                             ;   in Loop: Header=BB432_1571 Depth=1
	v_and_b32_e32 v7, 0xffff, v6
	v_or_b32_e32 v9, 0x10000, v6
	s_delay_alu instid0(VALU_DEP_2) | instskip(NEXT) | instid1(VALU_DEP_1)
	v_cmp_eq_u32_e64 s1, 0, v7
	v_cndmask_b32_e64 v93, v9, v6, s1
; %bb.3045:                             ;   in Loop: Header=BB432_1571 Depth=1
	s_or_b32 exec_lo, exec_lo, s11
	v_lshrrev_b16 v7, 8, v2
	v_mov_b32_e32 v6, 0
	s_mov_b32 s11, exec_lo
	s_delay_alu instid0(VALU_DEP_2)
	v_cmpx_ne_u16_e32 0, v7
	s_cbranch_execz .LBB432_3053
; %bb.3046:                             ;   in Loop: Header=BB432_1571 Depth=1
	v_bfrev_b32_e32 v6, 1
	s_mov_b32 s12, exec_lo
	v_cmpx_ne_u16_e32 0x80, v7
	s_cbranch_execz .LBB432_3052
; %bb.3047:                             ;   in Loop: Header=BB432_1571 Depth=1
	v_and_b32_e32 v9, 0xffff, v7
	v_mov_b32_e32 v6, 0x7f800001
	s_mov_b32 s13, exec_lo
	s_delay_alu instid0(VALU_DEP_2) | instskip(NEXT) | instid1(VALU_DEP_1)
	v_and_b32_e32 v7, 0x7f, v9
	v_cmpx_ne_u32_e32 0x7f, v7
	s_cbranch_execz .LBB432_3051
; %bb.3048:                             ;   in Loop: Header=BB432_1571 Depth=1
	v_and_b32_e32 v9, 7, v9
	v_lshrrev_b32_e32 v94, 3, v7
	v_cmp_gt_u32_e64 s1, 8, v7
	s_delay_alu instid0(VALU_DEP_3) | instskip(NEXT) | instid1(VALU_DEP_2)
	v_dual_mov_b32 v6, v9 :: v_dual_mov_b32 v7, v10
	s_and_saveexec_b32 s15, s1
; %bb.3049:                             ;   in Loop: Header=BB432_1571 Depth=1
	v_clz_i32_u32_e32 v6, v9
	s_delay_alu instid0(VALU_DEP_1) | instskip(NEXT) | instid1(VALU_DEP_1)
	v_min_u32_e32 v94, 32, v6
	v_subrev_nc_u32_e32 v6, 28, v94
	v_sub_nc_u32_e32 v94, 29, v94
	s_delay_alu instid0(VALU_DEP_2) | instskip(NEXT) | instid1(VALU_DEP_1)
	v_lshlrev_b64 v[6:7], v6, v[9:10]
	v_and_b32_e32 v6, 7, v6
; %bb.3050:                             ;   in Loop: Header=BB432_1571 Depth=1
	s_or_b32 exec_lo, exec_lo, s15
	v_lshlrev_b32_e32 v7, 16, v2
	s_delay_alu instid0(VALU_DEP_2) | instskip(SKIP_1) | instid1(VALU_DEP_3)
	v_lshlrev_b32_e32 v6, 20, v6
	v_lshl_add_u32 v9, v94, 23, 0x3c000000
	v_and_b32_e32 v7, 0x80000000, v7
	s_delay_alu instid0(VALU_DEP_1)
	v_or3_b32 v6, v6, v7, v9
.LBB432_3051:                           ;   in Loop: Header=BB432_1571 Depth=1
	s_or_b32 exec_lo, exec_lo, s13
.LBB432_3052:                           ;   in Loop: Header=BB432_1571 Depth=1
	s_delay_alu instid0(SALU_CYCLE_1)
	s_or_b32 exec_lo, exec_lo, s12
.LBB432_3053:                           ;   in Loop: Header=BB432_1571 Depth=1
	s_delay_alu instid0(SALU_CYCLE_1) | instskip(NEXT) | instid1(VALU_DEP_1)
	s_or_b32 exec_lo, exec_lo, s11
	v_mul_f32_e32 v6, v26, v6
                                        ; implicit-def: $vgpr94
	s_delay_alu instid0(VALU_DEP_1) | instskip(NEXT) | instid1(VALU_DEP_1)
	v_and_b32_e32 v7, 0x7f800000, v6
	v_cmp_ne_u32_e64 s1, 0x7f800000, v7
	s_delay_alu instid0(VALU_DEP_1) | instskip(NEXT) | instid1(SALU_CYCLE_1)
	s_and_saveexec_b32 s11, s1
	s_xor_b32 s1, exec_lo, s11
; %bb.3054:                             ;   in Loop: Header=BB432_1571 Depth=1
	v_bfe_u32 v7, v6, 16, 1
	s_delay_alu instid0(VALU_DEP_1)
	v_add3_u32 v94, v6, v7, 0x7fff
                                        ; implicit-def: $vgpr6
; %bb.3055:                             ;   in Loop: Header=BB432_1571 Depth=1
	s_and_not1_saveexec_b32 s11, s1
; %bb.3056:                             ;   in Loop: Header=BB432_1571 Depth=1
	v_and_b32_e32 v7, 0xffff, v6
	v_or_b32_e32 v9, 0x10000, v6
	s_delay_alu instid0(VALU_DEP_2) | instskip(NEXT) | instid1(VALU_DEP_1)
	v_cmp_eq_u32_e64 s1, 0, v7
	v_cndmask_b32_e64 v94, v9, v6, s1
; %bb.3057:                             ;   in Loop: Header=BB432_1571 Depth=1
	s_or_b32 exec_lo, exec_lo, s11
	v_lshrrev_b32_e32 v95, 16, v2
	s_mov_b32 s11, exec_lo
	s_delay_alu instid0(VALU_DEP_1) | instskip(NEXT) | instid1(VALU_DEP_1)
	v_dual_mov_b32 v6, 0 :: v_dual_and_b32 v7, 0xff, v95
	v_cmpx_ne_u16_e32 0, v7
	s_cbranch_execz .LBB432_3065
; %bb.3058:                             ;   in Loop: Header=BB432_1571 Depth=1
	v_bfrev_b32_e32 v6, 1
	s_mov_b32 s12, exec_lo
	v_cmpx_ne_u16_e32 0x80, v7
	s_cbranch_execz .LBB432_3064
; %bb.3059:                             ;   in Loop: Header=BB432_1571 Depth=1
	v_bfe_u32 v7, v2, 16, 7
	v_mov_b32_e32 v6, 0x7f800001
	s_mov_b32 s13, exec_lo
	s_delay_alu instid0(VALU_DEP_2)
	v_cmpx_ne_u32_e32 0x7f, v7
	s_cbranch_execz .LBB432_3063
; %bb.3060:                             ;   in Loop: Header=BB432_1571 Depth=1
	v_and_b32_e32 v9, 7, v95
	v_lshrrev_b32_e32 v104, 3, v7
	v_cmp_gt_u32_e64 s1, 8, v7
	s_delay_alu instid0(VALU_DEP_3) | instskip(NEXT) | instid1(VALU_DEP_2)
	v_dual_mov_b32 v6, v9 :: v_dual_mov_b32 v7, v10
	s_and_saveexec_b32 s15, s1
; %bb.3061:                             ;   in Loop: Header=BB432_1571 Depth=1
	v_clz_i32_u32_e32 v6, v9
	s_delay_alu instid0(VALU_DEP_1) | instskip(NEXT) | instid1(VALU_DEP_1)
	v_min_u32_e32 v104, 32, v6
	v_subrev_nc_u32_e32 v6, 28, v104
	v_sub_nc_u32_e32 v104, 29, v104
	s_delay_alu instid0(VALU_DEP_2) | instskip(NEXT) | instid1(VALU_DEP_1)
	v_lshlrev_b64 v[6:7], v6, v[9:10]
	v_and_b32_e32 v6, 7, v6
; %bb.3062:                             ;   in Loop: Header=BB432_1571 Depth=1
	s_or_b32 exec_lo, exec_lo, s15
	v_lshlrev_b32_e32 v7, 24, v95
	s_delay_alu instid0(VALU_DEP_2) | instskip(SKIP_1) | instid1(VALU_DEP_3)
	v_lshlrev_b32_e32 v6, 20, v6
	v_lshl_add_u32 v9, v104, 23, 0x3c000000
	v_and_b32_e32 v7, 0x80000000, v7
	s_delay_alu instid0(VALU_DEP_1)
	v_or3_b32 v6, v6, v7, v9
.LBB432_3063:                           ;   in Loop: Header=BB432_1571 Depth=1
	s_or_b32 exec_lo, exec_lo, s13
.LBB432_3064:                           ;   in Loop: Header=BB432_1571 Depth=1
	s_delay_alu instid0(SALU_CYCLE_1)
	s_or_b32 exec_lo, exec_lo, s12
.LBB432_3065:                           ;   in Loop: Header=BB432_1571 Depth=1
	s_delay_alu instid0(SALU_CYCLE_1) | instskip(NEXT) | instid1(VALU_DEP_1)
	s_or_b32 exec_lo, exec_lo, s11
	v_mul_f32_e32 v6, v26, v6
                                        ; implicit-def: $vgpr95
	s_delay_alu instid0(VALU_DEP_1) | instskip(NEXT) | instid1(VALU_DEP_1)
	v_and_b32_e32 v7, 0x7f800000, v6
	v_cmp_ne_u32_e64 s1, 0x7f800000, v7
	s_delay_alu instid0(VALU_DEP_1) | instskip(NEXT) | instid1(SALU_CYCLE_1)
	s_and_saveexec_b32 s11, s1
	s_xor_b32 s1, exec_lo, s11
; %bb.3066:                             ;   in Loop: Header=BB432_1571 Depth=1
	v_bfe_u32 v7, v6, 16, 1
	s_delay_alu instid0(VALU_DEP_1)
	v_add3_u32 v95, v6, v7, 0x7fff
                                        ; implicit-def: $vgpr6
; %bb.3067:                             ;   in Loop: Header=BB432_1571 Depth=1
	s_and_not1_saveexec_b32 s11, s1
; %bb.3068:                             ;   in Loop: Header=BB432_1571 Depth=1
	v_and_b32_e32 v7, 0xffff, v6
	v_or_b32_e32 v9, 0x10000, v6
	s_delay_alu instid0(VALU_DEP_2) | instskip(NEXT) | instid1(VALU_DEP_1)
	v_cmp_eq_u32_e64 s1, 0, v7
	v_cndmask_b32_e64 v95, v9, v6, s1
; %bb.3069:                             ;   in Loop: Header=BB432_1571 Depth=1
	s_or_b32 exec_lo, exec_lo, s11
	v_mov_b32_e32 v6, 0
	s_mov_b32 s11, exec_lo
	v_cmpx_lt_u32_e32 0xffffff, v2
	s_cbranch_execz .LBB432_3077
; %bb.3070:                             ;   in Loop: Header=BB432_1571 Depth=1
	v_lshrrev_b32_e32 v104, 24, v2
	v_bfrev_b32_e32 v6, 1
	s_mov_b32 s12, exec_lo
	s_delay_alu instid0(VALU_DEP_2)
	v_cmpx_ne_u32_e32 0x80, v104
	s_cbranch_execz .LBB432_3076
; %bb.3071:                             ;   in Loop: Header=BB432_1571 Depth=1
	v_bfe_u32 v7, v2, 24, 7
	v_mov_b32_e32 v6, 0x7f800001
	s_mov_b32 s13, exec_lo
	s_delay_alu instid0(VALU_DEP_2)
	v_cmpx_ne_u32_e32 0x7f, v7
	s_cbranch_execz .LBB432_3075
; %bb.3072:                             ;   in Loop: Header=BB432_1571 Depth=1
	v_and_b32_e32 v9, 7, v104
	v_lshrrev_b32_e32 v105, 3, v7
	v_cmp_gt_u32_e64 s1, 8, v7
	s_delay_alu instid0(VALU_DEP_3) | instskip(NEXT) | instid1(VALU_DEP_2)
	v_dual_mov_b32 v6, v9 :: v_dual_mov_b32 v7, v10
	s_and_saveexec_b32 s15, s1
; %bb.3073:                             ;   in Loop: Header=BB432_1571 Depth=1
	v_clz_i32_u32_e32 v6, v9
	s_delay_alu instid0(VALU_DEP_1) | instskip(NEXT) | instid1(VALU_DEP_1)
	v_min_u32_e32 v105, 32, v6
	v_subrev_nc_u32_e32 v6, 28, v105
	v_sub_nc_u32_e32 v105, 29, v105
	s_delay_alu instid0(VALU_DEP_2) | instskip(NEXT) | instid1(VALU_DEP_1)
	v_lshlrev_b64 v[6:7], v6, v[9:10]
	v_and_b32_e32 v6, 7, v6
; %bb.3074:                             ;   in Loop: Header=BB432_1571 Depth=1
	s_or_b32 exec_lo, exec_lo, s15
	v_lshlrev_b32_e32 v7, 24, v104
	s_delay_alu instid0(VALU_DEP_2) | instskip(SKIP_1) | instid1(VALU_DEP_3)
	v_lshlrev_b32_e32 v6, 20, v6
	v_lshl_add_u32 v9, v105, 23, 0x3c000000
	v_and_b32_e32 v7, 0x80000000, v7
	s_delay_alu instid0(VALU_DEP_1)
	v_or3_b32 v6, v6, v7, v9
.LBB432_3075:                           ;   in Loop: Header=BB432_1571 Depth=1
	s_or_b32 exec_lo, exec_lo, s13
.LBB432_3076:                           ;   in Loop: Header=BB432_1571 Depth=1
	s_delay_alu instid0(SALU_CYCLE_1)
	s_or_b32 exec_lo, exec_lo, s12
.LBB432_3077:                           ;   in Loop: Header=BB432_1571 Depth=1
	s_delay_alu instid0(SALU_CYCLE_1) | instskip(NEXT) | instid1(VALU_DEP_1)
	s_or_b32 exec_lo, exec_lo, s11
	v_mul_f32_e32 v6, v26, v6
                                        ; implicit-def: $vgpr104
	s_delay_alu instid0(VALU_DEP_1) | instskip(NEXT) | instid1(VALU_DEP_1)
	v_and_b32_e32 v7, 0x7f800000, v6
	v_cmp_ne_u32_e64 s1, 0x7f800000, v7
	s_delay_alu instid0(VALU_DEP_1) | instskip(NEXT) | instid1(SALU_CYCLE_1)
	s_and_saveexec_b32 s11, s1
	s_xor_b32 s1, exec_lo, s11
; %bb.3078:                             ;   in Loop: Header=BB432_1571 Depth=1
	v_bfe_u32 v7, v6, 16, 1
	s_delay_alu instid0(VALU_DEP_1)
	v_add3_u32 v104, v6, v7, 0x7fff
                                        ; implicit-def: $vgpr6
; %bb.3079:                             ;   in Loop: Header=BB432_1571 Depth=1
	s_and_not1_saveexec_b32 s11, s1
; %bb.3080:                             ;   in Loop: Header=BB432_1571 Depth=1
	v_and_b32_e32 v7, 0xffff, v6
	v_or_b32_e32 v9, 0x10000, v6
	s_delay_alu instid0(VALU_DEP_2) | instskip(NEXT) | instid1(VALU_DEP_1)
	v_cmp_eq_u32_e64 s1, 0, v7
	v_cndmask_b32_e64 v104, v9, v6, s1
; %bb.3081:                             ;   in Loop: Header=BB432_1571 Depth=1
	s_or_b32 exec_lo, exec_lo, s11
	v_dual_mov_b32 v6, 0 :: v_dual_and_b32 v7, 0xff, v3
	v_mov_b32_e32 v9, v3
	s_mov_b32 s11, exec_lo
	s_delay_alu instid0(VALU_DEP_2)
	v_cmpx_ne_u16_e32 0, v7
	s_cbranch_execz .LBB432_3089
; %bb.3082:                             ;   in Loop: Header=BB432_1571 Depth=1
	v_bfrev_b32_e32 v6, 1
	s_mov_b32 s12, exec_lo
	v_cmpx_ne_u16_e32 0x80, v7
	s_cbranch_execz .LBB432_3088
; %bb.3083:                             ;   in Loop: Header=BB432_1571 Depth=1
	v_and_b32_e32 v7, 0x7f, v3
	v_mov_b32_e32 v6, 0x7f800001
	s_mov_b32 s13, exec_lo
	s_delay_alu instid0(VALU_DEP_2)
	v_cmpx_ne_u32_e32 0x7f, v7
	s_cbranch_execz .LBB432_3087
; %bb.3084:                             ;   in Loop: Header=BB432_1571 Depth=1
	v_lshrrev_b32_e32 v105, 3, v7
	v_cmp_gt_u32_e64 s1, 8, v7
	v_dual_mov_b32 v6, v9 :: v_dual_mov_b32 v7, v10
	s_delay_alu instid0(VALU_DEP_2)
	s_and_saveexec_b32 s15, s1
; %bb.3085:                             ;   in Loop: Header=BB432_1571 Depth=1
	v_and_b32_e32 v6, 7, v3
	s_delay_alu instid0(VALU_DEP_1) | instskip(NEXT) | instid1(VALU_DEP_1)
	v_clz_i32_u32_e32 v6, v6
	v_min_u32_e32 v105, 32, v6
	s_delay_alu instid0(VALU_DEP_1) | instskip(SKIP_1) | instid1(VALU_DEP_2)
	v_subrev_nc_u32_e32 v6, 28, v105
	v_sub_nc_u32_e32 v105, 29, v105
	v_lshlrev_b64 v[6:7], v6, v[9:10]
; %bb.3086:                             ;   in Loop: Header=BB432_1571 Depth=1
	s_or_b32 exec_lo, exec_lo, s15
	s_delay_alu instid0(VALU_DEP_1) | instskip(SKIP_2) | instid1(VALU_DEP_3)
	v_lshlrev_b32_e32 v6, 20, v6
	v_lshlrev_b32_e32 v7, 24, v9
	v_lshl_add_u32 v105, v105, 23, 0x3c000000
	v_and_b32_e32 v6, 0x700000, v6
	s_delay_alu instid0(VALU_DEP_3) | instskip(NEXT) | instid1(VALU_DEP_1)
	v_and_b32_e32 v7, 0x80000000, v7
	v_or3_b32 v6, v6, v7, v105
.LBB432_3087:                           ;   in Loop: Header=BB432_1571 Depth=1
	s_or_b32 exec_lo, exec_lo, s13
.LBB432_3088:                           ;   in Loop: Header=BB432_1571 Depth=1
	s_delay_alu instid0(SALU_CYCLE_1)
	s_or_b32 exec_lo, exec_lo, s12
.LBB432_3089:                           ;   in Loop: Header=BB432_1571 Depth=1
	s_delay_alu instid0(SALU_CYCLE_1) | instskip(NEXT) | instid1(VALU_DEP_1)
	s_or_b32 exec_lo, exec_lo, s11
	v_mul_f32_e32 v6, v26, v6
                                        ; implicit-def: $vgpr105
	s_delay_alu instid0(VALU_DEP_1) | instskip(NEXT) | instid1(VALU_DEP_1)
	v_and_b32_e32 v7, 0x7f800000, v6
	v_cmp_ne_u32_e64 s1, 0x7f800000, v7
	s_delay_alu instid0(VALU_DEP_1) | instskip(NEXT) | instid1(SALU_CYCLE_1)
	s_and_saveexec_b32 s11, s1
	s_xor_b32 s1, exec_lo, s11
; %bb.3090:                             ;   in Loop: Header=BB432_1571 Depth=1
	v_bfe_u32 v7, v6, 16, 1
	s_delay_alu instid0(VALU_DEP_1)
	v_add3_u32 v105, v6, v7, 0x7fff
                                        ; implicit-def: $vgpr6
; %bb.3091:                             ;   in Loop: Header=BB432_1571 Depth=1
	s_and_not1_saveexec_b32 s11, s1
; %bb.3092:                             ;   in Loop: Header=BB432_1571 Depth=1
	v_and_b32_e32 v7, 0xffff, v6
	v_or_b32_e32 v105, 0x10000, v6
	s_delay_alu instid0(VALU_DEP_2) | instskip(NEXT) | instid1(VALU_DEP_1)
	v_cmp_eq_u32_e64 s1, 0, v7
	v_cndmask_b32_e64 v105, v105, v6, s1
; %bb.3093:                             ;   in Loop: Header=BB432_1571 Depth=1
	s_or_b32 exec_lo, exec_lo, s11
	v_lshrrev_b16 v7, 8, v9
	v_mov_b32_e32 v6, 0
	s_mov_b32 s11, exec_lo
	s_delay_alu instid0(VALU_DEP_2)
	v_cmpx_ne_u16_e32 0, v7
	s_cbranch_execz .LBB432_3101
; %bb.3094:                             ;   in Loop: Header=BB432_1571 Depth=1
	v_bfrev_b32_e32 v6, 1
	s_mov_b32 s12, exec_lo
	v_cmpx_ne_u16_e32 0x80, v7
	s_cbranch_execz .LBB432_3100
; %bb.3095:                             ;   in Loop: Header=BB432_1571 Depth=1
	v_and_b32_e32 v7, 0xffff, v7
	v_mov_b32_e32 v6, 0x7f800001
	s_mov_b32 s13, exec_lo
	s_delay_alu instid0(VALU_DEP_2) | instskip(NEXT) | instid1(VALU_DEP_1)
	v_and_b32_e32 v107, 0x7f, v7
	v_cmpx_ne_u32_e32 0x7f, v107
	s_cbranch_execz .LBB432_3099
; %bb.3096:                             ;   in Loop: Header=BB432_1571 Depth=1
	v_dual_mov_b32 v7, v10 :: v_dual_and_b32 v6, 7, v7
	v_lshrrev_b32_e32 v106, 3, v107
	s_mov_b32 s15, exec_lo
	v_cmpx_gt_u32_e32 8, v107
; %bb.3097:                             ;   in Loop: Header=BB432_1571 Depth=1
	s_delay_alu instid0(VALU_DEP_3) | instskip(NEXT) | instid1(VALU_DEP_1)
	v_clz_i32_u32_e32 v106, v6
	v_min_u32_e32 v106, 32, v106
	s_delay_alu instid0(VALU_DEP_1) | instskip(SKIP_1) | instid1(VALU_DEP_2)
	v_subrev_nc_u32_e32 v107, 28, v106
	v_sub_nc_u32_e32 v106, 29, v106
	v_lshlrev_b64 v[6:7], v107, v[6:7]
	s_delay_alu instid0(VALU_DEP_1)
	v_and_b32_e32 v6, 7, v6
; %bb.3098:                             ;   in Loop: Header=BB432_1571 Depth=1
	s_or_b32 exec_lo, exec_lo, s15
	v_lshlrev_b32_e32 v7, 16, v9
	s_delay_alu instid0(VALU_DEP_2) | instskip(SKIP_1) | instid1(VALU_DEP_3)
	v_lshlrev_b32_e32 v6, 20, v6
	v_lshl_add_u32 v9, v106, 23, 0x3c000000
	v_and_b32_e32 v7, 0x80000000, v7
	s_delay_alu instid0(VALU_DEP_1)
	v_or3_b32 v6, v6, v7, v9
.LBB432_3099:                           ;   in Loop: Header=BB432_1571 Depth=1
	s_or_b32 exec_lo, exec_lo, s13
.LBB432_3100:                           ;   in Loop: Header=BB432_1571 Depth=1
	s_delay_alu instid0(SALU_CYCLE_1)
	s_or_b32 exec_lo, exec_lo, s12
.LBB432_3101:                           ;   in Loop: Header=BB432_1571 Depth=1
	s_delay_alu instid0(SALU_CYCLE_1) | instskip(NEXT) | instid1(VALU_DEP_1)
	s_or_b32 exec_lo, exec_lo, s11
	v_mul_f32_e32 v6, v26, v6
                                        ; implicit-def: $vgpr106
	s_delay_alu instid0(VALU_DEP_1) | instskip(NEXT) | instid1(VALU_DEP_1)
	v_and_b32_e32 v7, 0x7f800000, v6
	v_cmp_ne_u32_e64 s1, 0x7f800000, v7
	s_delay_alu instid0(VALU_DEP_1) | instskip(NEXT) | instid1(SALU_CYCLE_1)
	s_and_saveexec_b32 s11, s1
	s_xor_b32 s1, exec_lo, s11
; %bb.3102:                             ;   in Loop: Header=BB432_1571 Depth=1
	v_bfe_u32 v7, v6, 16, 1
	s_delay_alu instid0(VALU_DEP_1)
	v_add3_u32 v106, v6, v7, 0x7fff
                                        ; implicit-def: $vgpr6
; %bb.3103:                             ;   in Loop: Header=BB432_1571 Depth=1
	s_and_not1_saveexec_b32 s11, s1
; %bb.3104:                             ;   in Loop: Header=BB432_1571 Depth=1
	v_and_b32_e32 v7, 0xffff, v6
	v_or_b32_e32 v9, 0x10000, v6
	s_delay_alu instid0(VALU_DEP_2) | instskip(NEXT) | instid1(VALU_DEP_1)
	v_cmp_eq_u32_e64 s1, 0, v7
	v_cndmask_b32_e64 v106, v9, v6, s1
; %bb.3105:                             ;   in Loop: Header=BB432_1571 Depth=1
	s_or_b32 exec_lo, exec_lo, s11
	v_lshrrev_b32_e32 v107, 16, v3
	s_mov_b32 s11, exec_lo
	s_delay_alu instid0(VALU_DEP_1) | instskip(NEXT) | instid1(VALU_DEP_1)
	v_dual_mov_b32 v6, 0 :: v_dual_and_b32 v7, 0xff, v107
	v_cmpx_ne_u16_e32 0, v7
	s_cbranch_execz .LBB432_3113
; %bb.3106:                             ;   in Loop: Header=BB432_1571 Depth=1
	v_bfrev_b32_e32 v6, 1
	s_mov_b32 s12, exec_lo
	v_cmpx_ne_u16_e32 0x80, v7
	s_cbranch_execz .LBB432_3112
; %bb.3107:                             ;   in Loop: Header=BB432_1571 Depth=1
	v_bfe_u32 v7, v3, 16, 7
	v_mov_b32_e32 v6, 0x7f800001
	s_mov_b32 s13, exec_lo
	s_delay_alu instid0(VALU_DEP_2)
	v_cmpx_ne_u32_e32 0x7f, v7
	s_cbranch_execz .LBB432_3111
; %bb.3108:                             ;   in Loop: Header=BB432_1571 Depth=1
	v_and_b32_e32 v9, 7, v107
	v_lshrrev_b32_e32 v108, 3, v7
	v_cmp_gt_u32_e64 s1, 8, v7
	s_delay_alu instid0(VALU_DEP_3) | instskip(NEXT) | instid1(VALU_DEP_2)
	v_dual_mov_b32 v6, v9 :: v_dual_mov_b32 v7, v10
	s_and_saveexec_b32 s15, s1
; %bb.3109:                             ;   in Loop: Header=BB432_1571 Depth=1
	v_clz_i32_u32_e32 v6, v9
	s_delay_alu instid0(VALU_DEP_1) | instskip(NEXT) | instid1(VALU_DEP_1)
	v_min_u32_e32 v108, 32, v6
	v_subrev_nc_u32_e32 v6, 28, v108
	v_sub_nc_u32_e32 v108, 29, v108
	s_delay_alu instid0(VALU_DEP_2) | instskip(NEXT) | instid1(VALU_DEP_1)
	v_lshlrev_b64 v[6:7], v6, v[9:10]
	v_and_b32_e32 v6, 7, v6
; %bb.3110:                             ;   in Loop: Header=BB432_1571 Depth=1
	s_or_b32 exec_lo, exec_lo, s15
	v_lshlrev_b32_e32 v7, 24, v107
	s_delay_alu instid0(VALU_DEP_2) | instskip(SKIP_1) | instid1(VALU_DEP_3)
	v_lshlrev_b32_e32 v6, 20, v6
	v_lshl_add_u32 v9, v108, 23, 0x3c000000
	v_and_b32_e32 v7, 0x80000000, v7
	s_delay_alu instid0(VALU_DEP_1)
	v_or3_b32 v6, v6, v7, v9
.LBB432_3111:                           ;   in Loop: Header=BB432_1571 Depth=1
	s_or_b32 exec_lo, exec_lo, s13
.LBB432_3112:                           ;   in Loop: Header=BB432_1571 Depth=1
	s_delay_alu instid0(SALU_CYCLE_1)
	s_or_b32 exec_lo, exec_lo, s12
.LBB432_3113:                           ;   in Loop: Header=BB432_1571 Depth=1
	s_delay_alu instid0(SALU_CYCLE_1) | instskip(NEXT) | instid1(VALU_DEP_1)
	s_or_b32 exec_lo, exec_lo, s11
	v_mul_f32_e32 v6, v26, v6
                                        ; implicit-def: $vgpr107
	s_delay_alu instid0(VALU_DEP_1) | instskip(NEXT) | instid1(VALU_DEP_1)
	v_and_b32_e32 v7, 0x7f800000, v6
	v_cmp_ne_u32_e64 s1, 0x7f800000, v7
	s_delay_alu instid0(VALU_DEP_1) | instskip(NEXT) | instid1(SALU_CYCLE_1)
	s_and_saveexec_b32 s11, s1
	s_xor_b32 s1, exec_lo, s11
; %bb.3114:                             ;   in Loop: Header=BB432_1571 Depth=1
	v_bfe_u32 v7, v6, 16, 1
	s_delay_alu instid0(VALU_DEP_1)
	v_add3_u32 v107, v6, v7, 0x7fff
                                        ; implicit-def: $vgpr6
; %bb.3115:                             ;   in Loop: Header=BB432_1571 Depth=1
	s_and_not1_saveexec_b32 s11, s1
; %bb.3116:                             ;   in Loop: Header=BB432_1571 Depth=1
	v_and_b32_e32 v7, 0xffff, v6
	v_or_b32_e32 v9, 0x10000, v6
	s_delay_alu instid0(VALU_DEP_2) | instskip(NEXT) | instid1(VALU_DEP_1)
	v_cmp_eq_u32_e64 s1, 0, v7
	v_cndmask_b32_e64 v107, v9, v6, s1
; %bb.3117:                             ;   in Loop: Header=BB432_1571 Depth=1
	s_or_b32 exec_lo, exec_lo, s11
	v_cmp_lt_u64_e64 s1, s[2:3], v[2:3]
	v_mov_b32_e32 v2, 0
	s_delay_alu instid0(VALU_DEP_2)
	s_and_saveexec_b32 s11, s1
	s_cbranch_execz .LBB432_3125
; %bb.3118:                             ;   in Loop: Header=BB432_1571 Depth=1
	v_lshrrev_b32_e32 v6, 24, v3
	v_bfrev_b32_e32 v2, 1
	s_mov_b32 s12, exec_lo
	s_delay_alu instid0(VALU_DEP_2)
	v_cmpx_ne_u32_e32 0x80, v6
	s_cbranch_execz .LBB432_3124
; %bb.3119:                             ;   in Loop: Header=BB432_1571 Depth=1
	v_bfe_u32 v3, v3, 24, 7
	v_mov_b32_e32 v2, 0x7f800001
	s_mov_b32 s13, exec_lo
	s_delay_alu instid0(VALU_DEP_2)
	v_cmpx_ne_u32_e32 0x7f, v3
	s_cbranch_execz .LBB432_3123
; %bb.3120:                             ;   in Loop: Header=BB432_1571 Depth=1
	v_and_b32_e32 v9, 7, v6
	v_lshrrev_b32_e32 v7, 3, v3
	v_cmp_gt_u32_e64 s1, 8, v3
	s_delay_alu instid0(VALU_DEP_3) | instskip(NEXT) | instid1(VALU_DEP_2)
	v_dual_mov_b32 v2, v9 :: v_dual_mov_b32 v3, v10
	s_and_saveexec_b32 s15, s1
; %bb.3121:                             ;   in Loop: Header=BB432_1571 Depth=1
	v_clz_i32_u32_e32 v2, v9
	s_delay_alu instid0(VALU_DEP_1) | instskip(NEXT) | instid1(VALU_DEP_1)
	v_min_u32_e32 v7, 32, v2
	v_subrev_nc_u32_e32 v2, 28, v7
	v_sub_nc_u32_e32 v7, 29, v7
	s_delay_alu instid0(VALU_DEP_2) | instskip(NEXT) | instid1(VALU_DEP_1)
	v_lshlrev_b64 v[2:3], v2, v[9:10]
	v_and_b32_e32 v2, 7, v2
; %bb.3122:                             ;   in Loop: Header=BB432_1571 Depth=1
	s_or_b32 exec_lo, exec_lo, s15
	v_lshlrev_b32_e32 v3, 24, v6
	s_delay_alu instid0(VALU_DEP_2) | instskip(SKIP_1) | instid1(VALU_DEP_3)
	v_lshlrev_b32_e32 v2, 20, v2
	v_lshl_add_u32 v6, v7, 23, 0x3c000000
	v_and_b32_e32 v3, 0x80000000, v3
	s_delay_alu instid0(VALU_DEP_1)
	v_or3_b32 v2, v2, v3, v6
.LBB432_3123:                           ;   in Loop: Header=BB432_1571 Depth=1
	s_or_b32 exec_lo, exec_lo, s13
.LBB432_3124:                           ;   in Loop: Header=BB432_1571 Depth=1
	s_delay_alu instid0(SALU_CYCLE_1)
	s_or_b32 exec_lo, exec_lo, s12
.LBB432_3125:                           ;   in Loop: Header=BB432_1571 Depth=1
	s_delay_alu instid0(SALU_CYCLE_1) | instskip(NEXT) | instid1(VALU_DEP_1)
	s_or_b32 exec_lo, exec_lo, s11
	v_mul_f32_e32 v3, v26, v2
	s_delay_alu instid0(VALU_DEP_1) | instskip(NEXT) | instid1(VALU_DEP_1)
	v_and_b32_e32 v2, 0x7f800000, v3
	v_cmp_ne_u32_e64 s1, 0x7f800000, v2
                                        ; implicit-def: $vgpr2
	s_delay_alu instid0(VALU_DEP_1) | instskip(NEXT) | instid1(SALU_CYCLE_1)
	s_and_saveexec_b32 s11, s1
	s_xor_b32 s1, exec_lo, s11
; %bb.3126:                             ;   in Loop: Header=BB432_1571 Depth=1
	v_bfe_u32 v2, v3, 16, 1
	s_delay_alu instid0(VALU_DEP_1)
	v_add3_u32 v2, v3, v2, 0x7fff
                                        ; implicit-def: $vgpr3
; %bb.3127:                             ;   in Loop: Header=BB432_1571 Depth=1
	s_and_not1_saveexec_b32 s11, s1
; %bb.3128:                             ;   in Loop: Header=BB432_1571 Depth=1
	v_and_b32_e32 v2, 0xffff, v3
	v_or_b32_e32 v6, 0x10000, v3
	s_delay_alu instid0(VALU_DEP_2) | instskip(NEXT) | instid1(VALU_DEP_1)
	v_cmp_eq_u32_e64 s1, 0, v2
	v_cndmask_b32_e64 v2, v6, v3, s1
; %bb.3129:                             ;   in Loop: Header=BB432_1571 Depth=1
	s_or_b32 exec_lo, exec_lo, s11
	v_lshrrev_b32_e32 v6, 16, v106
	v_lshrrev_b32_e32 v7, 16, v105
	;; [unrolled: 1-line block ×8, first 2 shown]
	s_and_saveexec_b32 s11, vcc_lo
	s_cbranch_execz .LBB432_3131
; %bb.3130:                             ;   in Loop: Header=BB432_1571 Depth=1
	v_cmp_lt_i32_e64 s1, v68, v35
	s_delay_alu instid0(VALU_DEP_1) | instskip(SKIP_1) | instid1(VALU_DEP_1)
	v_cndmask_b32_e64 v93, 0, v93, s1
	v_cmp_lt_i32_e64 s1, v82, v35
	v_cndmask_b32_e64 v94, 0, v94, s1
	v_cmp_lt_i32_e64 s1, v81, v35
	s_delay_alu instid0(VALU_DEP_1) | instskip(SKIP_1) | instid1(VALU_DEP_1)
	v_cndmask_b32_e64 v95, 0, v95, s1
	v_cmp_lt_i32_e64 s1, v80, v35
	v_cndmask_b32_e64 v9, 0, v9, s1
	;; [unrolled: 5-line block ×4, first 2 shown]
.LBB432_3131:                           ;   in Loop: Header=BB432_1571 Depth=1
	s_or_b32 exec_lo, exec_lo, s11
	v_lshlrev_b32_e32 v93, 16, v93
	s_delay_alu instid0(VALU_DEP_1) | instskip(NEXT) | instid1(VALU_DEP_1)
	v_mul_f32_e32 v104, v83, v93
	v_and_b32_e32 v93, 0x7f800000, v104
	s_delay_alu instid0(VALU_DEP_1) | instskip(NEXT) | instid1(VALU_DEP_1)
	v_cmp_ne_u32_e64 s1, 0x7f800000, v93
                                        ; implicit-def: $vgpr93
	s_and_saveexec_b32 s11, s1
	s_delay_alu instid0(SALU_CYCLE_1)
	s_xor_b32 s1, exec_lo, s11
; %bb.3132:                             ;   in Loop: Header=BB432_1571 Depth=1
	v_bfe_u32 v93, v104, 16, 1
	s_delay_alu instid0(VALU_DEP_1)
	v_add3_u32 v93, v104, v93, 0x7fff
                                        ; implicit-def: $vgpr104
; %bb.3133:                             ;   in Loop: Header=BB432_1571 Depth=1
	s_and_not1_saveexec_b32 s11, s1
; %bb.3134:                             ;   in Loop: Header=BB432_1571 Depth=1
	v_and_b32_e32 v93, 0xffff, v104
	v_or_b32_e32 v105, 0x10000, v104
	s_delay_alu instid0(VALU_DEP_2) | instskip(NEXT) | instid1(VALU_DEP_1)
	v_cmp_eq_u32_e64 s1, 0, v93
	v_cndmask_b32_e64 v93, v105, v104, s1
; %bb.3135:                             ;   in Loop: Header=BB432_1571 Depth=1
	s_or_b32 exec_lo, exec_lo, s11
	v_lshlrev_b32_e32 v94, 16, v94
	s_delay_alu instid0(VALU_DEP_1) | instskip(NEXT) | instid1(VALU_DEP_1)
	v_mul_f32_e32 v104, v84, v94
	v_and_b32_e32 v94, 0x7f800000, v104
	s_delay_alu instid0(VALU_DEP_1) | instskip(NEXT) | instid1(VALU_DEP_1)
	v_cmp_ne_u32_e64 s1, 0x7f800000, v94
                                        ; implicit-def: $vgpr94
	s_and_saveexec_b32 s11, s1
	s_delay_alu instid0(SALU_CYCLE_1)
	s_xor_b32 s1, exec_lo, s11
; %bb.3136:                             ;   in Loop: Header=BB432_1571 Depth=1
	v_bfe_u32 v94, v104, 16, 1
	s_delay_alu instid0(VALU_DEP_1)
	v_add3_u32 v94, v104, v94, 0x7fff
                                        ; implicit-def: $vgpr104
; %bb.3137:                             ;   in Loop: Header=BB432_1571 Depth=1
	s_and_not1_saveexec_b32 s11, s1
; %bb.3138:                             ;   in Loop: Header=BB432_1571 Depth=1
	v_and_b32_e32 v94, 0xffff, v104
	v_or_b32_e32 v105, 0x10000, v104
	s_delay_alu instid0(VALU_DEP_2) | instskip(NEXT) | instid1(VALU_DEP_1)
	v_cmp_eq_u32_e64 s1, 0, v94
	v_cndmask_b32_e64 v94, v105, v104, s1
; %bb.3139:                             ;   in Loop: Header=BB432_1571 Depth=1
	s_or_b32 exec_lo, exec_lo, s11
	v_lshlrev_b32_e32 v95, 16, v95
	s_delay_alu instid0(VALU_DEP_1) | instskip(NEXT) | instid1(VALU_DEP_1)
	v_mul_f32_e32 v104, v85, v95
	v_and_b32_e32 v95, 0x7f800000, v104
	s_delay_alu instid0(VALU_DEP_1) | instskip(NEXT) | instid1(VALU_DEP_1)
	v_cmp_ne_u32_e64 s1, 0x7f800000, v95
                                        ; implicit-def: $vgpr95
	s_and_saveexec_b32 s11, s1
	s_delay_alu instid0(SALU_CYCLE_1)
	s_xor_b32 s1, exec_lo, s11
; %bb.3140:                             ;   in Loop: Header=BB432_1571 Depth=1
	v_bfe_u32 v95, v104, 16, 1
	s_delay_alu instid0(VALU_DEP_1)
	v_add3_u32 v95, v104, v95, 0x7fff
                                        ; implicit-def: $vgpr104
; %bb.3141:                             ;   in Loop: Header=BB432_1571 Depth=1
	s_and_not1_saveexec_b32 s11, s1
; %bb.3142:                             ;   in Loop: Header=BB432_1571 Depth=1
	v_and_b32_e32 v95, 0xffff, v104
	v_or_b32_e32 v105, 0x10000, v104
	s_delay_alu instid0(VALU_DEP_2) | instskip(NEXT) | instid1(VALU_DEP_1)
	v_cmp_eq_u32_e64 s1, 0, v95
	v_cndmask_b32_e64 v95, v105, v104, s1
; %bb.3143:                             ;   in Loop: Header=BB432_1571 Depth=1
	s_or_b32 exec_lo, exec_lo, s11
	v_lshlrev_b32_e32 v9, 16, v9
	s_delay_alu instid0(VALU_DEP_1) | instskip(NEXT) | instid1(VALU_DEP_1)
	v_mul_f32_e32 v9, v86, v9
	v_and_b32_e32 v104, 0x7f800000, v9
	s_delay_alu instid0(VALU_DEP_1) | instskip(NEXT) | instid1(VALU_DEP_1)
	v_cmp_ne_u32_e64 s1, 0x7f800000, v104
                                        ; implicit-def: $vgpr104
	s_and_saveexec_b32 s11, s1
	s_delay_alu instid0(SALU_CYCLE_1)
	s_xor_b32 s1, exec_lo, s11
; %bb.3144:                             ;   in Loop: Header=BB432_1571 Depth=1
	v_bfe_u32 v104, v9, 16, 1
	s_delay_alu instid0(VALU_DEP_1)
	v_add3_u32 v104, v9, v104, 0x7fff
                                        ; implicit-def: $vgpr9
; %bb.3145:                             ;   in Loop: Header=BB432_1571 Depth=1
	s_and_not1_saveexec_b32 s11, s1
; %bb.3146:                             ;   in Loop: Header=BB432_1571 Depth=1
	v_and_b32_e32 v104, 0xffff, v9
	v_or_b32_e32 v105, 0x10000, v9
	s_delay_alu instid0(VALU_DEP_2) | instskip(NEXT) | instid1(VALU_DEP_1)
	v_cmp_eq_u32_e64 s1, 0, v104
	v_cndmask_b32_e64 v104, v105, v9, s1
; %bb.3147:                             ;   in Loop: Header=BB432_1571 Depth=1
	s_or_b32 exec_lo, exec_lo, s11
	v_lshlrev_b32_e32 v7, 16, v7
                                        ; implicit-def: $vgpr105
	s_delay_alu instid0(VALU_DEP_1) | instskip(NEXT) | instid1(VALU_DEP_1)
	v_mul_f32_e32 v7, v87, v7
	v_and_b32_e32 v9, 0x7f800000, v7
	s_delay_alu instid0(VALU_DEP_1) | instskip(NEXT) | instid1(VALU_DEP_1)
	v_cmp_ne_u32_e64 s1, 0x7f800000, v9
	s_and_saveexec_b32 s11, s1
	s_delay_alu instid0(SALU_CYCLE_1)
	s_xor_b32 s1, exec_lo, s11
; %bb.3148:                             ;   in Loop: Header=BB432_1571 Depth=1
	v_bfe_u32 v9, v7, 16, 1
	s_delay_alu instid0(VALU_DEP_1)
	v_add3_u32 v105, v7, v9, 0x7fff
                                        ; implicit-def: $vgpr7
; %bb.3149:                             ;   in Loop: Header=BB432_1571 Depth=1
	s_and_not1_saveexec_b32 s11, s1
; %bb.3150:                             ;   in Loop: Header=BB432_1571 Depth=1
	v_and_b32_e32 v9, 0xffff, v7
	v_or_b32_e32 v105, 0x10000, v7
	s_delay_alu instid0(VALU_DEP_2) | instskip(NEXT) | instid1(VALU_DEP_1)
	v_cmp_eq_u32_e64 s1, 0, v9
	v_cndmask_b32_e64 v105, v105, v7, s1
; %bb.3151:                             ;   in Loop: Header=BB432_1571 Depth=1
	s_or_b32 exec_lo, exec_lo, s11
	v_lshlrev_b32_e32 v6, 16, v6
                                        ; implicit-def: $vgpr106
	s_delay_alu instid0(VALU_DEP_1) | instskip(NEXT) | instid1(VALU_DEP_1)
	v_mul_f32_e32 v6, v96, v6
	v_and_b32_e32 v7, 0x7f800000, v6
	s_delay_alu instid0(VALU_DEP_1) | instskip(NEXT) | instid1(VALU_DEP_1)
	v_cmp_ne_u32_e64 s1, 0x7f800000, v7
	s_and_saveexec_b32 s11, s1
	s_delay_alu instid0(SALU_CYCLE_1)
	s_xor_b32 s1, exec_lo, s11
; %bb.3152:                             ;   in Loop: Header=BB432_1571 Depth=1
	v_bfe_u32 v7, v6, 16, 1
	s_delay_alu instid0(VALU_DEP_1)
	v_add3_u32 v106, v6, v7, 0x7fff
                                        ; implicit-def: $vgpr6
; %bb.3153:                             ;   in Loop: Header=BB432_1571 Depth=1
	s_and_not1_saveexec_b32 s11, s1
; %bb.3154:                             ;   in Loop: Header=BB432_1571 Depth=1
	v_and_b32_e32 v7, 0xffff, v6
	v_or_b32_e32 v9, 0x10000, v6
	s_delay_alu instid0(VALU_DEP_2) | instskip(NEXT) | instid1(VALU_DEP_1)
	v_cmp_eq_u32_e64 s1, 0, v7
	v_cndmask_b32_e64 v106, v9, v6, s1
; %bb.3155:                             ;   in Loop: Header=BB432_1571 Depth=1
	s_or_b32 exec_lo, exec_lo, s11
	v_lshlrev_b32_e32 v3, 16, v3
                                        ; implicit-def: $vgpr107
	s_delay_alu instid0(VALU_DEP_1) | instskip(NEXT) | instid1(VALU_DEP_1)
	v_mul_f32_e32 v3, v97, v3
	v_and_b32_e32 v6, 0x7f800000, v3
	s_delay_alu instid0(VALU_DEP_1) | instskip(NEXT) | instid1(VALU_DEP_1)
	v_cmp_ne_u32_e64 s1, 0x7f800000, v6
	s_and_saveexec_b32 s11, s1
	s_delay_alu instid0(SALU_CYCLE_1)
	s_xor_b32 s1, exec_lo, s11
; %bb.3156:                             ;   in Loop: Header=BB432_1571 Depth=1
	v_bfe_u32 v6, v3, 16, 1
	s_delay_alu instid0(VALU_DEP_1)
	v_add3_u32 v107, v3, v6, 0x7fff
                                        ; implicit-def: $vgpr3
; %bb.3157:                             ;   in Loop: Header=BB432_1571 Depth=1
	s_and_not1_saveexec_b32 s11, s1
; %bb.3158:                             ;   in Loop: Header=BB432_1571 Depth=1
	v_and_b32_e32 v6, 0xffff, v3
	v_or_b32_e32 v7, 0x10000, v3
	s_delay_alu instid0(VALU_DEP_2) | instskip(NEXT) | instid1(VALU_DEP_1)
	v_cmp_eq_u32_e64 s1, 0, v6
	v_cndmask_b32_e64 v107, v7, v3, s1
; %bb.3159:                             ;   in Loop: Header=BB432_1571 Depth=1
	s_or_b32 exec_lo, exec_lo, s11
	v_lshlrev_b32_e32 v2, 16, v2
                                        ; implicit-def: $vgpr108
	s_delay_alu instid0(VALU_DEP_1) | instskip(NEXT) | instid1(VALU_DEP_1)
	v_mul_f32_e32 v2, v98, v2
	v_and_b32_e32 v3, 0x7f800000, v2
	s_delay_alu instid0(VALU_DEP_1) | instskip(NEXT) | instid1(VALU_DEP_1)
	v_cmp_ne_u32_e64 s1, 0x7f800000, v3
	s_and_saveexec_b32 s11, s1
	s_delay_alu instid0(SALU_CYCLE_1)
	s_xor_b32 s1, exec_lo, s11
; %bb.3160:                             ;   in Loop: Header=BB432_1571 Depth=1
	v_bfe_u32 v3, v2, 16, 1
	s_delay_alu instid0(VALU_DEP_1)
	v_add3_u32 v108, v2, v3, 0x7fff
                                        ; implicit-def: $vgpr2
; %bb.3161:                             ;   in Loop: Header=BB432_1571 Depth=1
	s_and_not1_saveexec_b32 s11, s1
; %bb.3162:                             ;   in Loop: Header=BB432_1571 Depth=1
	v_and_b32_e32 v3, 0xffff, v2
	v_or_b32_e32 v6, 0x10000, v2
	s_delay_alu instid0(VALU_DEP_2) | instskip(NEXT) | instid1(VALU_DEP_1)
	v_cmp_eq_u32_e64 s1, 0, v3
	v_cndmask_b32_e64 v108, v6, v2, s1
; %bb.3163:                             ;   in Loop: Header=BB432_1571 Depth=1
	s_or_b32 exec_lo, exec_lo, s11
	flat_load_b64 v[2:3], v[0:1] offset:3072
	s_mov_b32 s11, exec_lo
	s_waitcnt vmcnt(0) lgkmcnt(0)
	v_dual_mov_b32 v6, 0 :: v_dual_and_b32 v7, 0xff, v2
	s_delay_alu instid0(VALU_DEP_1)
	v_cmpx_ne_u16_e32 0, v7
	s_cbranch_execz .LBB432_3171
; %bb.3164:                             ;   in Loop: Header=BB432_1571 Depth=1
	v_bfrev_b32_e32 v6, 1
	s_mov_b32 s12, exec_lo
	v_cmpx_ne_u16_e32 0x80, v7
	s_cbranch_execz .LBB432_3170
; %bb.3165:                             ;   in Loop: Header=BB432_1571 Depth=1
	v_and_b32_e32 v7, 0x7f, v2
	v_mov_b32_e32 v6, 0x7f800001
	s_mov_b32 s13, exec_lo
	s_delay_alu instid0(VALU_DEP_2)
	v_cmpx_ne_u32_e32 0x7f, v7
	s_cbranch_execz .LBB432_3169
; %bb.3166:                             ;   in Loop: Header=BB432_1571 Depth=1
	v_lshrrev_b32_e32 v9, 3, v7
	v_cmp_gt_u32_e64 s1, 8, v7
	v_dual_mov_b32 v7, v3 :: v_dual_mov_b32 v6, v2
	s_delay_alu instid0(VALU_DEP_2)
	s_and_saveexec_b32 s15, s1
; %bb.3167:                             ;   in Loop: Header=BB432_1571 Depth=1
	v_and_b32_e32 v6, 7, v2
	s_delay_alu instid0(VALU_DEP_1) | instskip(NEXT) | instid1(VALU_DEP_1)
	v_clz_i32_u32_e32 v6, v6
	v_min_u32_e32 v9, 32, v6
	s_delay_alu instid0(VALU_DEP_1) | instskip(SKIP_1) | instid1(VALU_DEP_2)
	v_subrev_nc_u32_e32 v6, 28, v9
	v_sub_nc_u32_e32 v9, 29, v9
	v_lshlrev_b64 v[6:7], v6, v[2:3]
; %bb.3168:                             ;   in Loop: Header=BB432_1571 Depth=1
	s_or_b32 exec_lo, exec_lo, s15
	s_delay_alu instid0(VALU_DEP_1) | instskip(SKIP_2) | instid1(VALU_DEP_3)
	v_lshlrev_b32_e32 v6, 20, v6
	v_lshlrev_b32_e32 v7, 24, v2
	v_lshl_add_u32 v9, v9, 23, 0x3c000000
	v_and_b32_e32 v6, 0x700000, v6
	s_delay_alu instid0(VALU_DEP_3) | instskip(NEXT) | instid1(VALU_DEP_1)
	v_and_b32_e32 v7, 0x80000000, v7
	v_or3_b32 v6, v6, v7, v9
.LBB432_3169:                           ;   in Loop: Header=BB432_1571 Depth=1
	s_or_b32 exec_lo, exec_lo, s13
.LBB432_3170:                           ;   in Loop: Header=BB432_1571 Depth=1
	s_delay_alu instid0(SALU_CYCLE_1)
	s_or_b32 exec_lo, exec_lo, s12
.LBB432_3171:                           ;   in Loop: Header=BB432_1571 Depth=1
	s_delay_alu instid0(SALU_CYCLE_1) | instskip(NEXT) | instid1(VALU_DEP_1)
	s_or_b32 exec_lo, exec_lo, s11
	v_mul_f32_e32 v6, v26, v6
                                        ; implicit-def: $vgpr109
	s_delay_alu instid0(VALU_DEP_1) | instskip(NEXT) | instid1(VALU_DEP_1)
	v_and_b32_e32 v7, 0x7f800000, v6
	v_cmp_ne_u32_e64 s1, 0x7f800000, v7
	s_delay_alu instid0(VALU_DEP_1) | instskip(NEXT) | instid1(SALU_CYCLE_1)
	s_and_saveexec_b32 s11, s1
	s_xor_b32 s1, exec_lo, s11
; %bb.3172:                             ;   in Loop: Header=BB432_1571 Depth=1
	v_bfe_u32 v7, v6, 16, 1
	s_delay_alu instid0(VALU_DEP_1)
	v_add3_u32 v109, v6, v7, 0x7fff
                                        ; implicit-def: $vgpr6
; %bb.3173:                             ;   in Loop: Header=BB432_1571 Depth=1
	s_and_not1_saveexec_b32 s11, s1
; %bb.3174:                             ;   in Loop: Header=BB432_1571 Depth=1
	v_and_b32_e32 v7, 0xffff, v6
	v_or_b32_e32 v9, 0x10000, v6
	s_delay_alu instid0(VALU_DEP_2) | instskip(NEXT) | instid1(VALU_DEP_1)
	v_cmp_eq_u32_e64 s1, 0, v7
	v_cndmask_b32_e64 v109, v9, v6, s1
; %bb.3175:                             ;   in Loop: Header=BB432_1571 Depth=1
	s_or_b32 exec_lo, exec_lo, s11
	v_lshrrev_b16 v7, 8, v2
	v_mov_b32_e32 v6, 0
	s_mov_b32 s11, exec_lo
	s_delay_alu instid0(VALU_DEP_2)
	v_cmpx_ne_u16_e32 0, v7
	s_cbranch_execz .LBB432_3183
; %bb.3176:                             ;   in Loop: Header=BB432_1571 Depth=1
	v_bfrev_b32_e32 v6, 1
	s_mov_b32 s12, exec_lo
	v_cmpx_ne_u16_e32 0x80, v7
	s_cbranch_execz .LBB432_3182
; %bb.3177:                             ;   in Loop: Header=BB432_1571 Depth=1
	v_and_b32_e32 v9, 0xffff, v7
	v_mov_b32_e32 v6, 0x7f800001
	s_mov_b32 s13, exec_lo
	s_delay_alu instid0(VALU_DEP_2) | instskip(NEXT) | instid1(VALU_DEP_1)
	v_and_b32_e32 v7, 0x7f, v9
	v_cmpx_ne_u32_e32 0x7f, v7
	s_cbranch_execz .LBB432_3181
; %bb.3178:                             ;   in Loop: Header=BB432_1571 Depth=1
	v_and_b32_e32 v9, 7, v9
	v_lshrrev_b32_e32 v110, 3, v7
	v_cmp_gt_u32_e64 s1, 8, v7
	s_delay_alu instid0(VALU_DEP_3) | instskip(NEXT) | instid1(VALU_DEP_2)
	v_dual_mov_b32 v6, v9 :: v_dual_mov_b32 v7, v10
	s_and_saveexec_b32 s15, s1
; %bb.3179:                             ;   in Loop: Header=BB432_1571 Depth=1
	v_clz_i32_u32_e32 v6, v9
	s_delay_alu instid0(VALU_DEP_1) | instskip(NEXT) | instid1(VALU_DEP_1)
	v_min_u32_e32 v110, 32, v6
	v_subrev_nc_u32_e32 v6, 28, v110
	v_sub_nc_u32_e32 v110, 29, v110
	s_delay_alu instid0(VALU_DEP_2) | instskip(NEXT) | instid1(VALU_DEP_1)
	v_lshlrev_b64 v[6:7], v6, v[9:10]
	v_and_b32_e32 v6, 7, v6
; %bb.3180:                             ;   in Loop: Header=BB432_1571 Depth=1
	s_or_b32 exec_lo, exec_lo, s15
	v_lshlrev_b32_e32 v7, 16, v2
	s_delay_alu instid0(VALU_DEP_2) | instskip(SKIP_1) | instid1(VALU_DEP_3)
	v_lshlrev_b32_e32 v6, 20, v6
	v_lshl_add_u32 v9, v110, 23, 0x3c000000
	v_and_b32_e32 v7, 0x80000000, v7
	s_delay_alu instid0(VALU_DEP_1)
	v_or3_b32 v6, v6, v7, v9
.LBB432_3181:                           ;   in Loop: Header=BB432_1571 Depth=1
	s_or_b32 exec_lo, exec_lo, s13
.LBB432_3182:                           ;   in Loop: Header=BB432_1571 Depth=1
	s_delay_alu instid0(SALU_CYCLE_1)
	s_or_b32 exec_lo, exec_lo, s12
.LBB432_3183:                           ;   in Loop: Header=BB432_1571 Depth=1
	s_delay_alu instid0(SALU_CYCLE_1) | instskip(NEXT) | instid1(VALU_DEP_1)
	s_or_b32 exec_lo, exec_lo, s11
	v_mul_f32_e32 v6, v26, v6
                                        ; implicit-def: $vgpr110
	s_delay_alu instid0(VALU_DEP_1) | instskip(NEXT) | instid1(VALU_DEP_1)
	v_and_b32_e32 v7, 0x7f800000, v6
	v_cmp_ne_u32_e64 s1, 0x7f800000, v7
	s_delay_alu instid0(VALU_DEP_1) | instskip(NEXT) | instid1(SALU_CYCLE_1)
	s_and_saveexec_b32 s11, s1
	s_xor_b32 s1, exec_lo, s11
; %bb.3184:                             ;   in Loop: Header=BB432_1571 Depth=1
	v_bfe_u32 v7, v6, 16, 1
	s_delay_alu instid0(VALU_DEP_1)
	v_add3_u32 v110, v6, v7, 0x7fff
                                        ; implicit-def: $vgpr6
; %bb.3185:                             ;   in Loop: Header=BB432_1571 Depth=1
	s_and_not1_saveexec_b32 s11, s1
; %bb.3186:                             ;   in Loop: Header=BB432_1571 Depth=1
	v_and_b32_e32 v7, 0xffff, v6
	v_or_b32_e32 v9, 0x10000, v6
	s_delay_alu instid0(VALU_DEP_2) | instskip(NEXT) | instid1(VALU_DEP_1)
	v_cmp_eq_u32_e64 s1, 0, v7
	v_cndmask_b32_e64 v110, v9, v6, s1
; %bb.3187:                             ;   in Loop: Header=BB432_1571 Depth=1
	s_or_b32 exec_lo, exec_lo, s11
	v_lshrrev_b32_e32 v111, 16, v2
	s_mov_b32 s11, exec_lo
	s_delay_alu instid0(VALU_DEP_1) | instskip(NEXT) | instid1(VALU_DEP_1)
	v_dual_mov_b32 v6, 0 :: v_dual_and_b32 v7, 0xff, v111
	v_cmpx_ne_u16_e32 0, v7
	s_cbranch_execz .LBB432_3195
; %bb.3188:                             ;   in Loop: Header=BB432_1571 Depth=1
	v_bfrev_b32_e32 v6, 1
	s_mov_b32 s12, exec_lo
	v_cmpx_ne_u16_e32 0x80, v7
	s_cbranch_execz .LBB432_3194
; %bb.3189:                             ;   in Loop: Header=BB432_1571 Depth=1
	v_bfe_u32 v7, v2, 16, 7
	v_mov_b32_e32 v6, 0x7f800001
	s_mov_b32 s13, exec_lo
	s_delay_alu instid0(VALU_DEP_2)
	v_cmpx_ne_u32_e32 0x7f, v7
	s_cbranch_execz .LBB432_3193
; %bb.3190:                             ;   in Loop: Header=BB432_1571 Depth=1
	v_and_b32_e32 v9, 7, v111
	v_lshrrev_b32_e32 v120, 3, v7
	v_cmp_gt_u32_e64 s1, 8, v7
	s_delay_alu instid0(VALU_DEP_3) | instskip(NEXT) | instid1(VALU_DEP_2)
	v_dual_mov_b32 v6, v9 :: v_dual_mov_b32 v7, v10
	s_and_saveexec_b32 s15, s1
; %bb.3191:                             ;   in Loop: Header=BB432_1571 Depth=1
	v_clz_i32_u32_e32 v6, v9
	s_delay_alu instid0(VALU_DEP_1) | instskip(NEXT) | instid1(VALU_DEP_1)
	v_min_u32_e32 v120, 32, v6
	v_subrev_nc_u32_e32 v6, 28, v120
	v_sub_nc_u32_e32 v120, 29, v120
	s_delay_alu instid0(VALU_DEP_2) | instskip(NEXT) | instid1(VALU_DEP_1)
	v_lshlrev_b64 v[6:7], v6, v[9:10]
	v_and_b32_e32 v6, 7, v6
; %bb.3192:                             ;   in Loop: Header=BB432_1571 Depth=1
	s_or_b32 exec_lo, exec_lo, s15
	v_lshlrev_b32_e32 v7, 24, v111
	s_delay_alu instid0(VALU_DEP_2) | instskip(SKIP_1) | instid1(VALU_DEP_3)
	v_lshlrev_b32_e32 v6, 20, v6
	v_lshl_add_u32 v9, v120, 23, 0x3c000000
	v_and_b32_e32 v7, 0x80000000, v7
	s_delay_alu instid0(VALU_DEP_1)
	v_or3_b32 v6, v6, v7, v9
.LBB432_3193:                           ;   in Loop: Header=BB432_1571 Depth=1
	s_or_b32 exec_lo, exec_lo, s13
.LBB432_3194:                           ;   in Loop: Header=BB432_1571 Depth=1
	s_delay_alu instid0(SALU_CYCLE_1)
	s_or_b32 exec_lo, exec_lo, s12
.LBB432_3195:                           ;   in Loop: Header=BB432_1571 Depth=1
	s_delay_alu instid0(SALU_CYCLE_1) | instskip(NEXT) | instid1(VALU_DEP_1)
	s_or_b32 exec_lo, exec_lo, s11
	v_mul_f32_e32 v6, v26, v6
                                        ; implicit-def: $vgpr111
	s_delay_alu instid0(VALU_DEP_1) | instskip(NEXT) | instid1(VALU_DEP_1)
	v_and_b32_e32 v7, 0x7f800000, v6
	v_cmp_ne_u32_e64 s1, 0x7f800000, v7
	s_delay_alu instid0(VALU_DEP_1) | instskip(NEXT) | instid1(SALU_CYCLE_1)
	s_and_saveexec_b32 s11, s1
	s_xor_b32 s1, exec_lo, s11
; %bb.3196:                             ;   in Loop: Header=BB432_1571 Depth=1
	v_bfe_u32 v7, v6, 16, 1
	s_delay_alu instid0(VALU_DEP_1)
	v_add3_u32 v111, v6, v7, 0x7fff
                                        ; implicit-def: $vgpr6
; %bb.3197:                             ;   in Loop: Header=BB432_1571 Depth=1
	s_and_not1_saveexec_b32 s11, s1
; %bb.3198:                             ;   in Loop: Header=BB432_1571 Depth=1
	v_and_b32_e32 v7, 0xffff, v6
	v_or_b32_e32 v9, 0x10000, v6
	s_delay_alu instid0(VALU_DEP_2) | instskip(NEXT) | instid1(VALU_DEP_1)
	v_cmp_eq_u32_e64 s1, 0, v7
	v_cndmask_b32_e64 v111, v9, v6, s1
; %bb.3199:                             ;   in Loop: Header=BB432_1571 Depth=1
	s_or_b32 exec_lo, exec_lo, s11
	v_mov_b32_e32 v6, 0
	s_mov_b32 s11, exec_lo
	v_cmpx_lt_u32_e32 0xffffff, v2
	s_cbranch_execz .LBB432_3207
; %bb.3200:                             ;   in Loop: Header=BB432_1571 Depth=1
	v_lshrrev_b32_e32 v120, 24, v2
	v_bfrev_b32_e32 v6, 1
	s_mov_b32 s12, exec_lo
	s_delay_alu instid0(VALU_DEP_2)
	v_cmpx_ne_u32_e32 0x80, v120
	s_cbranch_execz .LBB432_3206
; %bb.3201:                             ;   in Loop: Header=BB432_1571 Depth=1
	v_bfe_u32 v7, v2, 24, 7
	v_mov_b32_e32 v6, 0x7f800001
	s_mov_b32 s13, exec_lo
	s_delay_alu instid0(VALU_DEP_2)
	v_cmpx_ne_u32_e32 0x7f, v7
	s_cbranch_execz .LBB432_3205
; %bb.3202:                             ;   in Loop: Header=BB432_1571 Depth=1
	v_and_b32_e32 v9, 7, v120
	v_lshrrev_b32_e32 v121, 3, v7
	v_cmp_gt_u32_e64 s1, 8, v7
	s_delay_alu instid0(VALU_DEP_3) | instskip(NEXT) | instid1(VALU_DEP_2)
	v_dual_mov_b32 v6, v9 :: v_dual_mov_b32 v7, v10
	s_and_saveexec_b32 s15, s1
; %bb.3203:                             ;   in Loop: Header=BB432_1571 Depth=1
	v_clz_i32_u32_e32 v6, v9
	s_delay_alu instid0(VALU_DEP_1) | instskip(NEXT) | instid1(VALU_DEP_1)
	v_min_u32_e32 v121, 32, v6
	v_subrev_nc_u32_e32 v6, 28, v121
	v_sub_nc_u32_e32 v121, 29, v121
	s_delay_alu instid0(VALU_DEP_2) | instskip(NEXT) | instid1(VALU_DEP_1)
	v_lshlrev_b64 v[6:7], v6, v[9:10]
	v_and_b32_e32 v6, 7, v6
; %bb.3204:                             ;   in Loop: Header=BB432_1571 Depth=1
	s_or_b32 exec_lo, exec_lo, s15
	v_lshlrev_b32_e32 v7, 24, v120
	s_delay_alu instid0(VALU_DEP_2) | instskip(SKIP_1) | instid1(VALU_DEP_3)
	v_lshlrev_b32_e32 v6, 20, v6
	v_lshl_add_u32 v9, v121, 23, 0x3c000000
	v_and_b32_e32 v7, 0x80000000, v7
	s_delay_alu instid0(VALU_DEP_1)
	v_or3_b32 v6, v6, v7, v9
.LBB432_3205:                           ;   in Loop: Header=BB432_1571 Depth=1
	s_or_b32 exec_lo, exec_lo, s13
.LBB432_3206:                           ;   in Loop: Header=BB432_1571 Depth=1
	s_delay_alu instid0(SALU_CYCLE_1)
	s_or_b32 exec_lo, exec_lo, s12
.LBB432_3207:                           ;   in Loop: Header=BB432_1571 Depth=1
	s_delay_alu instid0(SALU_CYCLE_1) | instskip(NEXT) | instid1(VALU_DEP_1)
	s_or_b32 exec_lo, exec_lo, s11
	v_mul_f32_e32 v6, v26, v6
                                        ; implicit-def: $vgpr120
	s_delay_alu instid0(VALU_DEP_1) | instskip(NEXT) | instid1(VALU_DEP_1)
	v_and_b32_e32 v7, 0x7f800000, v6
	v_cmp_ne_u32_e64 s1, 0x7f800000, v7
	s_delay_alu instid0(VALU_DEP_1) | instskip(NEXT) | instid1(SALU_CYCLE_1)
	s_and_saveexec_b32 s11, s1
	s_xor_b32 s1, exec_lo, s11
; %bb.3208:                             ;   in Loop: Header=BB432_1571 Depth=1
	v_bfe_u32 v7, v6, 16, 1
	s_delay_alu instid0(VALU_DEP_1)
	v_add3_u32 v120, v6, v7, 0x7fff
                                        ; implicit-def: $vgpr6
; %bb.3209:                             ;   in Loop: Header=BB432_1571 Depth=1
	s_and_not1_saveexec_b32 s11, s1
; %bb.3210:                             ;   in Loop: Header=BB432_1571 Depth=1
	v_and_b32_e32 v7, 0xffff, v6
	v_or_b32_e32 v9, 0x10000, v6
	s_delay_alu instid0(VALU_DEP_2) | instskip(NEXT) | instid1(VALU_DEP_1)
	v_cmp_eq_u32_e64 s1, 0, v7
	v_cndmask_b32_e64 v120, v9, v6, s1
; %bb.3211:                             ;   in Loop: Header=BB432_1571 Depth=1
	s_or_b32 exec_lo, exec_lo, s11
	v_dual_mov_b32 v6, 0 :: v_dual_and_b32 v7, 0xff, v3
	v_mov_b32_e32 v9, v3
	s_mov_b32 s11, exec_lo
	s_delay_alu instid0(VALU_DEP_2)
	v_cmpx_ne_u16_e32 0, v7
	s_cbranch_execz .LBB432_3219
; %bb.3212:                             ;   in Loop: Header=BB432_1571 Depth=1
	v_bfrev_b32_e32 v6, 1
	s_mov_b32 s12, exec_lo
	v_cmpx_ne_u16_e32 0x80, v7
	s_cbranch_execz .LBB432_3218
; %bb.3213:                             ;   in Loop: Header=BB432_1571 Depth=1
	v_and_b32_e32 v7, 0x7f, v3
	v_mov_b32_e32 v6, 0x7f800001
	s_mov_b32 s13, exec_lo
	s_delay_alu instid0(VALU_DEP_2)
	v_cmpx_ne_u32_e32 0x7f, v7
	s_cbranch_execz .LBB432_3217
; %bb.3214:                             ;   in Loop: Header=BB432_1571 Depth=1
	v_lshrrev_b32_e32 v121, 3, v7
	v_cmp_gt_u32_e64 s1, 8, v7
	v_dual_mov_b32 v6, v9 :: v_dual_mov_b32 v7, v10
	s_delay_alu instid0(VALU_DEP_2)
	s_and_saveexec_b32 s15, s1
; %bb.3215:                             ;   in Loop: Header=BB432_1571 Depth=1
	v_and_b32_e32 v6, 7, v3
	s_delay_alu instid0(VALU_DEP_1) | instskip(NEXT) | instid1(VALU_DEP_1)
	v_clz_i32_u32_e32 v6, v6
	v_min_u32_e32 v121, 32, v6
	s_delay_alu instid0(VALU_DEP_1) | instskip(SKIP_1) | instid1(VALU_DEP_2)
	v_subrev_nc_u32_e32 v6, 28, v121
	v_sub_nc_u32_e32 v121, 29, v121
	v_lshlrev_b64 v[6:7], v6, v[9:10]
; %bb.3216:                             ;   in Loop: Header=BB432_1571 Depth=1
	s_or_b32 exec_lo, exec_lo, s15
	s_delay_alu instid0(VALU_DEP_1) | instskip(SKIP_2) | instid1(VALU_DEP_3)
	v_lshlrev_b32_e32 v6, 20, v6
	v_lshlrev_b32_e32 v7, 24, v9
	v_lshl_add_u32 v121, v121, 23, 0x3c000000
	v_and_b32_e32 v6, 0x700000, v6
	s_delay_alu instid0(VALU_DEP_3) | instskip(NEXT) | instid1(VALU_DEP_1)
	v_and_b32_e32 v7, 0x80000000, v7
	v_or3_b32 v6, v6, v7, v121
.LBB432_3217:                           ;   in Loop: Header=BB432_1571 Depth=1
	s_or_b32 exec_lo, exec_lo, s13
.LBB432_3218:                           ;   in Loop: Header=BB432_1571 Depth=1
	s_delay_alu instid0(SALU_CYCLE_1)
	s_or_b32 exec_lo, exec_lo, s12
.LBB432_3219:                           ;   in Loop: Header=BB432_1571 Depth=1
	s_delay_alu instid0(SALU_CYCLE_1) | instskip(NEXT) | instid1(VALU_DEP_1)
	s_or_b32 exec_lo, exec_lo, s11
	v_mul_f32_e32 v6, v26, v6
                                        ; implicit-def: $vgpr121
	s_delay_alu instid0(VALU_DEP_1) | instskip(NEXT) | instid1(VALU_DEP_1)
	v_and_b32_e32 v7, 0x7f800000, v6
	v_cmp_ne_u32_e64 s1, 0x7f800000, v7
	s_delay_alu instid0(VALU_DEP_1) | instskip(NEXT) | instid1(SALU_CYCLE_1)
	s_and_saveexec_b32 s11, s1
	s_xor_b32 s1, exec_lo, s11
; %bb.3220:                             ;   in Loop: Header=BB432_1571 Depth=1
	v_bfe_u32 v7, v6, 16, 1
	s_delay_alu instid0(VALU_DEP_1)
	v_add3_u32 v121, v6, v7, 0x7fff
                                        ; implicit-def: $vgpr6
; %bb.3221:                             ;   in Loop: Header=BB432_1571 Depth=1
	s_and_not1_saveexec_b32 s11, s1
; %bb.3222:                             ;   in Loop: Header=BB432_1571 Depth=1
	v_and_b32_e32 v7, 0xffff, v6
	v_or_b32_e32 v121, 0x10000, v6
	s_delay_alu instid0(VALU_DEP_2) | instskip(NEXT) | instid1(VALU_DEP_1)
	v_cmp_eq_u32_e64 s1, 0, v7
	v_cndmask_b32_e64 v121, v121, v6, s1
; %bb.3223:                             ;   in Loop: Header=BB432_1571 Depth=1
	s_or_b32 exec_lo, exec_lo, s11
	v_lshrrev_b16 v7, 8, v9
	v_mov_b32_e32 v6, 0
	s_mov_b32 s11, exec_lo
	s_delay_alu instid0(VALU_DEP_2)
	v_cmpx_ne_u16_e32 0, v7
	s_cbranch_execz .LBB432_3231
; %bb.3224:                             ;   in Loop: Header=BB432_1571 Depth=1
	v_bfrev_b32_e32 v6, 1
	s_mov_b32 s12, exec_lo
	v_cmpx_ne_u16_e32 0x80, v7
	s_cbranch_execz .LBB432_3230
; %bb.3225:                             ;   in Loop: Header=BB432_1571 Depth=1
	v_and_b32_e32 v7, 0xffff, v7
	v_mov_b32_e32 v6, 0x7f800001
	s_mov_b32 s13, exec_lo
	s_delay_alu instid0(VALU_DEP_2) | instskip(NEXT) | instid1(VALU_DEP_1)
	v_and_b32_e32 v123, 0x7f, v7
	v_cmpx_ne_u32_e32 0x7f, v123
	s_cbranch_execz .LBB432_3229
; %bb.3226:                             ;   in Loop: Header=BB432_1571 Depth=1
	v_dual_mov_b32 v7, v10 :: v_dual_and_b32 v6, 7, v7
	v_lshrrev_b32_e32 v122, 3, v123
	s_mov_b32 s15, exec_lo
	v_cmpx_gt_u32_e32 8, v123
; %bb.3227:                             ;   in Loop: Header=BB432_1571 Depth=1
	s_delay_alu instid0(VALU_DEP_3) | instskip(NEXT) | instid1(VALU_DEP_1)
	v_clz_i32_u32_e32 v122, v6
	v_min_u32_e32 v122, 32, v122
	s_delay_alu instid0(VALU_DEP_1) | instskip(SKIP_1) | instid1(VALU_DEP_2)
	v_subrev_nc_u32_e32 v123, 28, v122
	v_sub_nc_u32_e32 v122, 29, v122
	v_lshlrev_b64 v[6:7], v123, v[6:7]
	s_delay_alu instid0(VALU_DEP_1)
	v_and_b32_e32 v6, 7, v6
; %bb.3228:                             ;   in Loop: Header=BB432_1571 Depth=1
	s_or_b32 exec_lo, exec_lo, s15
	v_lshlrev_b32_e32 v7, 16, v9
	s_delay_alu instid0(VALU_DEP_2) | instskip(SKIP_1) | instid1(VALU_DEP_3)
	v_lshlrev_b32_e32 v6, 20, v6
	v_lshl_add_u32 v9, v122, 23, 0x3c000000
	v_and_b32_e32 v7, 0x80000000, v7
	s_delay_alu instid0(VALU_DEP_1)
	v_or3_b32 v6, v6, v7, v9
.LBB432_3229:                           ;   in Loop: Header=BB432_1571 Depth=1
	s_or_b32 exec_lo, exec_lo, s13
.LBB432_3230:                           ;   in Loop: Header=BB432_1571 Depth=1
	s_delay_alu instid0(SALU_CYCLE_1)
	s_or_b32 exec_lo, exec_lo, s12
.LBB432_3231:                           ;   in Loop: Header=BB432_1571 Depth=1
	s_delay_alu instid0(SALU_CYCLE_1) | instskip(NEXT) | instid1(VALU_DEP_1)
	s_or_b32 exec_lo, exec_lo, s11
	v_mul_f32_e32 v6, v26, v6
                                        ; implicit-def: $vgpr122
	s_delay_alu instid0(VALU_DEP_1) | instskip(NEXT) | instid1(VALU_DEP_1)
	v_and_b32_e32 v7, 0x7f800000, v6
	v_cmp_ne_u32_e64 s1, 0x7f800000, v7
	s_delay_alu instid0(VALU_DEP_1) | instskip(NEXT) | instid1(SALU_CYCLE_1)
	s_and_saveexec_b32 s11, s1
	s_xor_b32 s1, exec_lo, s11
; %bb.3232:                             ;   in Loop: Header=BB432_1571 Depth=1
	v_bfe_u32 v7, v6, 16, 1
	s_delay_alu instid0(VALU_DEP_1)
	v_add3_u32 v122, v6, v7, 0x7fff
                                        ; implicit-def: $vgpr6
; %bb.3233:                             ;   in Loop: Header=BB432_1571 Depth=1
	s_and_not1_saveexec_b32 s11, s1
; %bb.3234:                             ;   in Loop: Header=BB432_1571 Depth=1
	v_and_b32_e32 v7, 0xffff, v6
	v_or_b32_e32 v9, 0x10000, v6
	s_delay_alu instid0(VALU_DEP_2) | instskip(NEXT) | instid1(VALU_DEP_1)
	v_cmp_eq_u32_e64 s1, 0, v7
	v_cndmask_b32_e64 v122, v9, v6, s1
; %bb.3235:                             ;   in Loop: Header=BB432_1571 Depth=1
	s_or_b32 exec_lo, exec_lo, s11
	v_lshrrev_b32_e32 v123, 16, v3
	s_mov_b32 s11, exec_lo
	s_delay_alu instid0(VALU_DEP_1) | instskip(NEXT) | instid1(VALU_DEP_1)
	v_dual_mov_b32 v6, 0 :: v_dual_and_b32 v7, 0xff, v123
	v_cmpx_ne_u16_e32 0, v7
	s_cbranch_execz .LBB432_3243
; %bb.3236:                             ;   in Loop: Header=BB432_1571 Depth=1
	v_bfrev_b32_e32 v6, 1
	s_mov_b32 s12, exec_lo
	v_cmpx_ne_u16_e32 0x80, v7
	s_cbranch_execz .LBB432_3242
; %bb.3237:                             ;   in Loop: Header=BB432_1571 Depth=1
	v_bfe_u32 v7, v3, 16, 7
	v_mov_b32_e32 v6, 0x7f800001
	s_mov_b32 s13, exec_lo
	s_delay_alu instid0(VALU_DEP_2)
	v_cmpx_ne_u32_e32 0x7f, v7
	s_cbranch_execz .LBB432_3241
; %bb.3238:                             ;   in Loop: Header=BB432_1571 Depth=1
	v_and_b32_e32 v9, 7, v123
	v_lshrrev_b32_e32 v124, 3, v7
	v_cmp_gt_u32_e64 s1, 8, v7
	s_delay_alu instid0(VALU_DEP_3) | instskip(NEXT) | instid1(VALU_DEP_2)
	v_dual_mov_b32 v6, v9 :: v_dual_mov_b32 v7, v10
	s_and_saveexec_b32 s15, s1
; %bb.3239:                             ;   in Loop: Header=BB432_1571 Depth=1
	v_clz_i32_u32_e32 v6, v9
	s_delay_alu instid0(VALU_DEP_1) | instskip(NEXT) | instid1(VALU_DEP_1)
	v_min_u32_e32 v124, 32, v6
	v_subrev_nc_u32_e32 v6, 28, v124
	v_sub_nc_u32_e32 v124, 29, v124
	s_delay_alu instid0(VALU_DEP_2) | instskip(NEXT) | instid1(VALU_DEP_1)
	v_lshlrev_b64 v[6:7], v6, v[9:10]
	v_and_b32_e32 v6, 7, v6
; %bb.3240:                             ;   in Loop: Header=BB432_1571 Depth=1
	s_or_b32 exec_lo, exec_lo, s15
	v_lshlrev_b32_e32 v7, 24, v123
	s_delay_alu instid0(VALU_DEP_2) | instskip(SKIP_1) | instid1(VALU_DEP_3)
	v_lshlrev_b32_e32 v6, 20, v6
	v_lshl_add_u32 v9, v124, 23, 0x3c000000
	v_and_b32_e32 v7, 0x80000000, v7
	s_delay_alu instid0(VALU_DEP_1)
	v_or3_b32 v6, v6, v7, v9
.LBB432_3241:                           ;   in Loop: Header=BB432_1571 Depth=1
	s_or_b32 exec_lo, exec_lo, s13
.LBB432_3242:                           ;   in Loop: Header=BB432_1571 Depth=1
	s_delay_alu instid0(SALU_CYCLE_1)
	s_or_b32 exec_lo, exec_lo, s12
.LBB432_3243:                           ;   in Loop: Header=BB432_1571 Depth=1
	s_delay_alu instid0(SALU_CYCLE_1) | instskip(NEXT) | instid1(VALU_DEP_1)
	s_or_b32 exec_lo, exec_lo, s11
	v_mul_f32_e32 v6, v26, v6
                                        ; implicit-def: $vgpr123
	s_delay_alu instid0(VALU_DEP_1) | instskip(NEXT) | instid1(VALU_DEP_1)
	v_and_b32_e32 v7, 0x7f800000, v6
	v_cmp_ne_u32_e64 s1, 0x7f800000, v7
	s_delay_alu instid0(VALU_DEP_1) | instskip(NEXT) | instid1(SALU_CYCLE_1)
	s_and_saveexec_b32 s11, s1
	s_xor_b32 s1, exec_lo, s11
; %bb.3244:                             ;   in Loop: Header=BB432_1571 Depth=1
	v_bfe_u32 v7, v6, 16, 1
	s_delay_alu instid0(VALU_DEP_1)
	v_add3_u32 v123, v6, v7, 0x7fff
                                        ; implicit-def: $vgpr6
; %bb.3245:                             ;   in Loop: Header=BB432_1571 Depth=1
	s_and_not1_saveexec_b32 s11, s1
; %bb.3246:                             ;   in Loop: Header=BB432_1571 Depth=1
	v_and_b32_e32 v7, 0xffff, v6
	v_or_b32_e32 v9, 0x10000, v6
	s_delay_alu instid0(VALU_DEP_2) | instskip(NEXT) | instid1(VALU_DEP_1)
	v_cmp_eq_u32_e64 s1, 0, v7
	v_cndmask_b32_e64 v123, v9, v6, s1
; %bb.3247:                             ;   in Loop: Header=BB432_1571 Depth=1
	s_or_b32 exec_lo, exec_lo, s11
	v_cmp_lt_u64_e64 s1, s[2:3], v[2:3]
	v_mov_b32_e32 v2, 0
	s_delay_alu instid0(VALU_DEP_2)
	s_and_saveexec_b32 s11, s1
	s_cbranch_execz .LBB432_3255
; %bb.3248:                             ;   in Loop: Header=BB432_1571 Depth=1
	v_lshrrev_b32_e32 v6, 24, v3
	v_bfrev_b32_e32 v2, 1
	s_mov_b32 s12, exec_lo
	s_delay_alu instid0(VALU_DEP_2)
	v_cmpx_ne_u32_e32 0x80, v6
	s_cbranch_execz .LBB432_3254
; %bb.3249:                             ;   in Loop: Header=BB432_1571 Depth=1
	v_bfe_u32 v3, v3, 24, 7
	v_mov_b32_e32 v2, 0x7f800001
	s_mov_b32 s13, exec_lo
	s_delay_alu instid0(VALU_DEP_2)
	v_cmpx_ne_u32_e32 0x7f, v3
	s_cbranch_execz .LBB432_3253
; %bb.3250:                             ;   in Loop: Header=BB432_1571 Depth=1
	v_and_b32_e32 v9, 7, v6
	v_lshrrev_b32_e32 v7, 3, v3
	v_cmp_gt_u32_e64 s1, 8, v3
	s_delay_alu instid0(VALU_DEP_3) | instskip(NEXT) | instid1(VALU_DEP_2)
	v_dual_mov_b32 v2, v9 :: v_dual_mov_b32 v3, v10
	s_and_saveexec_b32 s15, s1
; %bb.3251:                             ;   in Loop: Header=BB432_1571 Depth=1
	v_clz_i32_u32_e32 v2, v9
	s_delay_alu instid0(VALU_DEP_1) | instskip(NEXT) | instid1(VALU_DEP_1)
	v_min_u32_e32 v7, 32, v2
	v_subrev_nc_u32_e32 v2, 28, v7
	v_sub_nc_u32_e32 v7, 29, v7
	s_delay_alu instid0(VALU_DEP_2) | instskip(NEXT) | instid1(VALU_DEP_1)
	v_lshlrev_b64 v[2:3], v2, v[9:10]
	v_and_b32_e32 v2, 7, v2
; %bb.3252:                             ;   in Loop: Header=BB432_1571 Depth=1
	s_or_b32 exec_lo, exec_lo, s15
	v_lshlrev_b32_e32 v3, 24, v6
	s_delay_alu instid0(VALU_DEP_2) | instskip(SKIP_1) | instid1(VALU_DEP_3)
	v_lshlrev_b32_e32 v2, 20, v2
	v_lshl_add_u32 v6, v7, 23, 0x3c000000
	v_and_b32_e32 v3, 0x80000000, v3
	s_delay_alu instid0(VALU_DEP_1)
	v_or3_b32 v2, v2, v3, v6
.LBB432_3253:                           ;   in Loop: Header=BB432_1571 Depth=1
	s_or_b32 exec_lo, exec_lo, s13
.LBB432_3254:                           ;   in Loop: Header=BB432_1571 Depth=1
	s_delay_alu instid0(SALU_CYCLE_1)
	s_or_b32 exec_lo, exec_lo, s12
.LBB432_3255:                           ;   in Loop: Header=BB432_1571 Depth=1
	s_delay_alu instid0(SALU_CYCLE_1) | instskip(NEXT) | instid1(VALU_DEP_1)
	s_or_b32 exec_lo, exec_lo, s11
	v_mul_f32_e32 v3, v26, v2
	s_delay_alu instid0(VALU_DEP_1) | instskip(NEXT) | instid1(VALU_DEP_1)
	v_and_b32_e32 v2, 0x7f800000, v3
	v_cmp_ne_u32_e64 s1, 0x7f800000, v2
                                        ; implicit-def: $vgpr2
	s_delay_alu instid0(VALU_DEP_1) | instskip(NEXT) | instid1(SALU_CYCLE_1)
	s_and_saveexec_b32 s11, s1
	s_xor_b32 s1, exec_lo, s11
; %bb.3256:                             ;   in Loop: Header=BB432_1571 Depth=1
	v_bfe_u32 v2, v3, 16, 1
	s_delay_alu instid0(VALU_DEP_1)
	v_add3_u32 v2, v3, v2, 0x7fff
                                        ; implicit-def: $vgpr3
; %bb.3257:                             ;   in Loop: Header=BB432_1571 Depth=1
	s_and_not1_saveexec_b32 s11, s1
; %bb.3258:                             ;   in Loop: Header=BB432_1571 Depth=1
	v_and_b32_e32 v2, 0xffff, v3
	v_or_b32_e32 v6, 0x10000, v3
	s_delay_alu instid0(VALU_DEP_2) | instskip(NEXT) | instid1(VALU_DEP_1)
	v_cmp_eq_u32_e64 s1, 0, v2
	v_cndmask_b32_e64 v2, v6, v3, s1
; %bb.3259:                             ;   in Loop: Header=BB432_1571 Depth=1
	s_or_b32 exec_lo, exec_lo, s11
	v_lshrrev_b32_e32 v6, 16, v122
	v_lshrrev_b32_e32 v7, 16, v121
	;; [unrolled: 1-line block ×8, first 2 shown]
	s_and_saveexec_b32 s11, vcc_lo
	s_cbranch_execz .LBB432_3261
; %bb.3260:                             ;   in Loop: Header=BB432_1571 Depth=1
	v_cmp_lt_i32_e64 s1, v68, v35
	s_delay_alu instid0(VALU_DEP_1) | instskip(SKIP_1) | instid1(VALU_DEP_1)
	v_cndmask_b32_e64 v109, 0, v109, s1
	v_cmp_lt_i32_e64 s1, v82, v35
	v_cndmask_b32_e64 v110, 0, v110, s1
	v_cmp_lt_i32_e64 s1, v81, v35
	s_delay_alu instid0(VALU_DEP_1) | instskip(SKIP_1) | instid1(VALU_DEP_1)
	v_cndmask_b32_e64 v111, 0, v111, s1
	v_cmp_lt_i32_e64 s1, v80, v35
	v_cndmask_b32_e64 v9, 0, v9, s1
	;; [unrolled: 5-line block ×4, first 2 shown]
.LBB432_3261:                           ;   in Loop: Header=BB432_1571 Depth=1
	s_or_b32 exec_lo, exec_lo, s11
	v_lshlrev_b32_e32 v109, 16, v109
	s_delay_alu instid0(VALU_DEP_1) | instskip(NEXT) | instid1(VALU_DEP_1)
	v_mul_f32_e32 v120, v83, v109
	v_and_b32_e32 v109, 0x7f800000, v120
	s_delay_alu instid0(VALU_DEP_1) | instskip(NEXT) | instid1(VALU_DEP_1)
	v_cmp_ne_u32_e64 s1, 0x7f800000, v109
                                        ; implicit-def: $vgpr109
	s_and_saveexec_b32 s11, s1
	s_delay_alu instid0(SALU_CYCLE_1)
	s_xor_b32 s1, exec_lo, s11
; %bb.3262:                             ;   in Loop: Header=BB432_1571 Depth=1
	v_bfe_u32 v109, v120, 16, 1
	s_delay_alu instid0(VALU_DEP_1)
	v_add3_u32 v109, v120, v109, 0x7fff
                                        ; implicit-def: $vgpr120
; %bb.3263:                             ;   in Loop: Header=BB432_1571 Depth=1
	s_and_not1_saveexec_b32 s11, s1
; %bb.3264:                             ;   in Loop: Header=BB432_1571 Depth=1
	v_and_b32_e32 v109, 0xffff, v120
	v_or_b32_e32 v121, 0x10000, v120
	s_delay_alu instid0(VALU_DEP_2) | instskip(NEXT) | instid1(VALU_DEP_1)
	v_cmp_eq_u32_e64 s1, 0, v109
	v_cndmask_b32_e64 v109, v121, v120, s1
; %bb.3265:                             ;   in Loop: Header=BB432_1571 Depth=1
	s_or_b32 exec_lo, exec_lo, s11
	v_lshlrev_b32_e32 v110, 16, v110
	s_delay_alu instid0(VALU_DEP_1) | instskip(NEXT) | instid1(VALU_DEP_1)
	v_mul_f32_e32 v120, v84, v110
	v_and_b32_e32 v110, 0x7f800000, v120
	s_delay_alu instid0(VALU_DEP_1) | instskip(NEXT) | instid1(VALU_DEP_1)
	v_cmp_ne_u32_e64 s1, 0x7f800000, v110
                                        ; implicit-def: $vgpr110
	s_and_saveexec_b32 s11, s1
	s_delay_alu instid0(SALU_CYCLE_1)
	s_xor_b32 s1, exec_lo, s11
; %bb.3266:                             ;   in Loop: Header=BB432_1571 Depth=1
	v_bfe_u32 v110, v120, 16, 1
	s_delay_alu instid0(VALU_DEP_1)
	v_add3_u32 v110, v120, v110, 0x7fff
                                        ; implicit-def: $vgpr120
; %bb.3267:                             ;   in Loop: Header=BB432_1571 Depth=1
	s_and_not1_saveexec_b32 s11, s1
; %bb.3268:                             ;   in Loop: Header=BB432_1571 Depth=1
	v_and_b32_e32 v110, 0xffff, v120
	v_or_b32_e32 v121, 0x10000, v120
	s_delay_alu instid0(VALU_DEP_2) | instskip(NEXT) | instid1(VALU_DEP_1)
	v_cmp_eq_u32_e64 s1, 0, v110
	v_cndmask_b32_e64 v110, v121, v120, s1
; %bb.3269:                             ;   in Loop: Header=BB432_1571 Depth=1
	s_or_b32 exec_lo, exec_lo, s11
	v_lshlrev_b32_e32 v111, 16, v111
	s_delay_alu instid0(VALU_DEP_1) | instskip(NEXT) | instid1(VALU_DEP_1)
	v_mul_f32_e32 v120, v85, v111
	v_and_b32_e32 v111, 0x7f800000, v120
	s_delay_alu instid0(VALU_DEP_1) | instskip(NEXT) | instid1(VALU_DEP_1)
	v_cmp_ne_u32_e64 s1, 0x7f800000, v111
                                        ; implicit-def: $vgpr111
	s_and_saveexec_b32 s11, s1
	s_delay_alu instid0(SALU_CYCLE_1)
	s_xor_b32 s1, exec_lo, s11
; %bb.3270:                             ;   in Loop: Header=BB432_1571 Depth=1
	v_bfe_u32 v111, v120, 16, 1
	s_delay_alu instid0(VALU_DEP_1)
	v_add3_u32 v111, v120, v111, 0x7fff
                                        ; implicit-def: $vgpr120
; %bb.3271:                             ;   in Loop: Header=BB432_1571 Depth=1
	s_and_not1_saveexec_b32 s11, s1
; %bb.3272:                             ;   in Loop: Header=BB432_1571 Depth=1
	v_and_b32_e32 v111, 0xffff, v120
	v_or_b32_e32 v121, 0x10000, v120
	s_delay_alu instid0(VALU_DEP_2) | instskip(NEXT) | instid1(VALU_DEP_1)
	v_cmp_eq_u32_e64 s1, 0, v111
	v_cndmask_b32_e64 v111, v121, v120, s1
; %bb.3273:                             ;   in Loop: Header=BB432_1571 Depth=1
	s_or_b32 exec_lo, exec_lo, s11
	v_lshlrev_b32_e32 v9, 16, v9
	s_delay_alu instid0(VALU_DEP_1) | instskip(NEXT) | instid1(VALU_DEP_1)
	v_mul_f32_e32 v9, v86, v9
	v_and_b32_e32 v120, 0x7f800000, v9
	s_delay_alu instid0(VALU_DEP_1) | instskip(NEXT) | instid1(VALU_DEP_1)
	v_cmp_ne_u32_e64 s1, 0x7f800000, v120
                                        ; implicit-def: $vgpr120
	s_and_saveexec_b32 s11, s1
	s_delay_alu instid0(SALU_CYCLE_1)
	s_xor_b32 s1, exec_lo, s11
; %bb.3274:                             ;   in Loop: Header=BB432_1571 Depth=1
	v_bfe_u32 v120, v9, 16, 1
	s_delay_alu instid0(VALU_DEP_1)
	v_add3_u32 v120, v9, v120, 0x7fff
                                        ; implicit-def: $vgpr9
; %bb.3275:                             ;   in Loop: Header=BB432_1571 Depth=1
	s_and_not1_saveexec_b32 s11, s1
; %bb.3276:                             ;   in Loop: Header=BB432_1571 Depth=1
	v_and_b32_e32 v120, 0xffff, v9
	v_or_b32_e32 v121, 0x10000, v9
	s_delay_alu instid0(VALU_DEP_2) | instskip(NEXT) | instid1(VALU_DEP_1)
	v_cmp_eq_u32_e64 s1, 0, v120
	v_cndmask_b32_e64 v120, v121, v9, s1
; %bb.3277:                             ;   in Loop: Header=BB432_1571 Depth=1
	s_or_b32 exec_lo, exec_lo, s11
	v_lshlrev_b32_e32 v7, 16, v7
                                        ; implicit-def: $vgpr121
	s_delay_alu instid0(VALU_DEP_1) | instskip(NEXT) | instid1(VALU_DEP_1)
	v_mul_f32_e32 v7, v87, v7
	v_and_b32_e32 v9, 0x7f800000, v7
	s_delay_alu instid0(VALU_DEP_1) | instskip(NEXT) | instid1(VALU_DEP_1)
	v_cmp_ne_u32_e64 s1, 0x7f800000, v9
	s_and_saveexec_b32 s11, s1
	s_delay_alu instid0(SALU_CYCLE_1)
	s_xor_b32 s1, exec_lo, s11
; %bb.3278:                             ;   in Loop: Header=BB432_1571 Depth=1
	v_bfe_u32 v9, v7, 16, 1
	s_delay_alu instid0(VALU_DEP_1)
	v_add3_u32 v121, v7, v9, 0x7fff
                                        ; implicit-def: $vgpr7
; %bb.3279:                             ;   in Loop: Header=BB432_1571 Depth=1
	s_and_not1_saveexec_b32 s11, s1
; %bb.3280:                             ;   in Loop: Header=BB432_1571 Depth=1
	v_and_b32_e32 v9, 0xffff, v7
	v_or_b32_e32 v121, 0x10000, v7
	s_delay_alu instid0(VALU_DEP_2) | instskip(NEXT) | instid1(VALU_DEP_1)
	v_cmp_eq_u32_e64 s1, 0, v9
	v_cndmask_b32_e64 v121, v121, v7, s1
; %bb.3281:                             ;   in Loop: Header=BB432_1571 Depth=1
	s_or_b32 exec_lo, exec_lo, s11
	v_lshlrev_b32_e32 v6, 16, v6
                                        ; implicit-def: $vgpr122
	s_delay_alu instid0(VALU_DEP_1) | instskip(NEXT) | instid1(VALU_DEP_1)
	v_mul_f32_e32 v6, v96, v6
	v_and_b32_e32 v7, 0x7f800000, v6
	s_delay_alu instid0(VALU_DEP_1) | instskip(NEXT) | instid1(VALU_DEP_1)
	v_cmp_ne_u32_e64 s1, 0x7f800000, v7
	s_and_saveexec_b32 s11, s1
	s_delay_alu instid0(SALU_CYCLE_1)
	s_xor_b32 s1, exec_lo, s11
; %bb.3282:                             ;   in Loop: Header=BB432_1571 Depth=1
	v_bfe_u32 v7, v6, 16, 1
	s_delay_alu instid0(VALU_DEP_1)
	v_add3_u32 v122, v6, v7, 0x7fff
                                        ; implicit-def: $vgpr6
; %bb.3283:                             ;   in Loop: Header=BB432_1571 Depth=1
	s_and_not1_saveexec_b32 s11, s1
; %bb.3284:                             ;   in Loop: Header=BB432_1571 Depth=1
	v_and_b32_e32 v7, 0xffff, v6
	v_or_b32_e32 v9, 0x10000, v6
	s_delay_alu instid0(VALU_DEP_2) | instskip(NEXT) | instid1(VALU_DEP_1)
	v_cmp_eq_u32_e64 s1, 0, v7
	v_cndmask_b32_e64 v122, v9, v6, s1
; %bb.3285:                             ;   in Loop: Header=BB432_1571 Depth=1
	s_or_b32 exec_lo, exec_lo, s11
	v_lshlrev_b32_e32 v3, 16, v3
                                        ; implicit-def: $vgpr123
	s_delay_alu instid0(VALU_DEP_1) | instskip(NEXT) | instid1(VALU_DEP_1)
	v_mul_f32_e32 v3, v97, v3
	v_and_b32_e32 v6, 0x7f800000, v3
	s_delay_alu instid0(VALU_DEP_1) | instskip(NEXT) | instid1(VALU_DEP_1)
	v_cmp_ne_u32_e64 s1, 0x7f800000, v6
	s_and_saveexec_b32 s11, s1
	s_delay_alu instid0(SALU_CYCLE_1)
	s_xor_b32 s1, exec_lo, s11
; %bb.3286:                             ;   in Loop: Header=BB432_1571 Depth=1
	v_bfe_u32 v6, v3, 16, 1
	s_delay_alu instid0(VALU_DEP_1)
	v_add3_u32 v123, v3, v6, 0x7fff
                                        ; implicit-def: $vgpr3
; %bb.3287:                             ;   in Loop: Header=BB432_1571 Depth=1
	s_and_not1_saveexec_b32 s11, s1
; %bb.3288:                             ;   in Loop: Header=BB432_1571 Depth=1
	v_and_b32_e32 v6, 0xffff, v3
	v_or_b32_e32 v7, 0x10000, v3
	s_delay_alu instid0(VALU_DEP_2) | instskip(NEXT) | instid1(VALU_DEP_1)
	v_cmp_eq_u32_e64 s1, 0, v6
	v_cndmask_b32_e64 v123, v7, v3, s1
; %bb.3289:                             ;   in Loop: Header=BB432_1571 Depth=1
	s_or_b32 exec_lo, exec_lo, s11
	v_lshlrev_b32_e32 v2, 16, v2
                                        ; implicit-def: $vgpr124
	s_delay_alu instid0(VALU_DEP_1) | instskip(NEXT) | instid1(VALU_DEP_1)
	v_mul_f32_e32 v2, v98, v2
	v_and_b32_e32 v3, 0x7f800000, v2
	s_delay_alu instid0(VALU_DEP_1) | instskip(NEXT) | instid1(VALU_DEP_1)
	v_cmp_ne_u32_e64 s1, 0x7f800000, v3
	s_and_saveexec_b32 s11, s1
	s_delay_alu instid0(SALU_CYCLE_1)
	s_xor_b32 s1, exec_lo, s11
; %bb.3290:                             ;   in Loop: Header=BB432_1571 Depth=1
	v_bfe_u32 v3, v2, 16, 1
	s_delay_alu instid0(VALU_DEP_1)
	v_add3_u32 v124, v2, v3, 0x7fff
                                        ; implicit-def: $vgpr2
; %bb.3291:                             ;   in Loop: Header=BB432_1571 Depth=1
	s_and_not1_saveexec_b32 s11, s1
; %bb.3292:                             ;   in Loop: Header=BB432_1571 Depth=1
	v_and_b32_e32 v3, 0xffff, v2
	v_or_b32_e32 v6, 0x10000, v2
	s_delay_alu instid0(VALU_DEP_2) | instskip(NEXT) | instid1(VALU_DEP_1)
	v_cmp_eq_u32_e64 s1, 0, v3
	v_cndmask_b32_e64 v124, v6, v2, s1
; %bb.3293:                             ;   in Loop: Header=BB432_1571 Depth=1
	s_or_b32 exec_lo, exec_lo, s11
	flat_load_b64 v[2:3], v[0:1] offset:3328
	s_mov_b32 s11, exec_lo
	s_waitcnt vmcnt(0) lgkmcnt(0)
	v_dual_mov_b32 v6, 0 :: v_dual_and_b32 v7, 0xff, v2
	s_delay_alu instid0(VALU_DEP_1)
	v_cmpx_ne_u16_e32 0, v7
	s_cbranch_execz .LBB432_3301
; %bb.3294:                             ;   in Loop: Header=BB432_1571 Depth=1
	v_bfrev_b32_e32 v6, 1
	s_mov_b32 s12, exec_lo
	v_cmpx_ne_u16_e32 0x80, v7
	s_cbranch_execz .LBB432_3300
; %bb.3295:                             ;   in Loop: Header=BB432_1571 Depth=1
	v_and_b32_e32 v7, 0x7f, v2
	v_mov_b32_e32 v6, 0x7f800001
	s_mov_b32 s13, exec_lo
	s_delay_alu instid0(VALU_DEP_2)
	v_cmpx_ne_u32_e32 0x7f, v7
	s_cbranch_execz .LBB432_3299
; %bb.3296:                             ;   in Loop: Header=BB432_1571 Depth=1
	v_lshrrev_b32_e32 v9, 3, v7
	v_cmp_gt_u32_e64 s1, 8, v7
	v_dual_mov_b32 v7, v3 :: v_dual_mov_b32 v6, v2
	s_delay_alu instid0(VALU_DEP_2)
	s_and_saveexec_b32 s15, s1
; %bb.3297:                             ;   in Loop: Header=BB432_1571 Depth=1
	v_and_b32_e32 v6, 7, v2
	s_delay_alu instid0(VALU_DEP_1) | instskip(NEXT) | instid1(VALU_DEP_1)
	v_clz_i32_u32_e32 v6, v6
	v_min_u32_e32 v9, 32, v6
	s_delay_alu instid0(VALU_DEP_1) | instskip(SKIP_1) | instid1(VALU_DEP_2)
	v_subrev_nc_u32_e32 v6, 28, v9
	v_sub_nc_u32_e32 v9, 29, v9
	v_lshlrev_b64 v[6:7], v6, v[2:3]
; %bb.3298:                             ;   in Loop: Header=BB432_1571 Depth=1
	s_or_b32 exec_lo, exec_lo, s15
	s_delay_alu instid0(VALU_DEP_1) | instskip(SKIP_2) | instid1(VALU_DEP_3)
	v_lshlrev_b32_e32 v6, 20, v6
	v_lshlrev_b32_e32 v7, 24, v2
	v_lshl_add_u32 v9, v9, 23, 0x3c000000
	v_and_b32_e32 v6, 0x700000, v6
	s_delay_alu instid0(VALU_DEP_3) | instskip(NEXT) | instid1(VALU_DEP_1)
	v_and_b32_e32 v7, 0x80000000, v7
	v_or3_b32 v6, v6, v7, v9
.LBB432_3299:                           ;   in Loop: Header=BB432_1571 Depth=1
	s_or_b32 exec_lo, exec_lo, s13
.LBB432_3300:                           ;   in Loop: Header=BB432_1571 Depth=1
	s_delay_alu instid0(SALU_CYCLE_1)
	s_or_b32 exec_lo, exec_lo, s12
.LBB432_3301:                           ;   in Loop: Header=BB432_1571 Depth=1
	s_delay_alu instid0(SALU_CYCLE_1) | instskip(NEXT) | instid1(VALU_DEP_1)
	s_or_b32 exec_lo, exec_lo, s11
	v_mul_f32_e32 v6, v26, v6
                                        ; implicit-def: $vgpr125
	s_delay_alu instid0(VALU_DEP_1) | instskip(NEXT) | instid1(VALU_DEP_1)
	v_and_b32_e32 v7, 0x7f800000, v6
	v_cmp_ne_u32_e64 s1, 0x7f800000, v7
	s_delay_alu instid0(VALU_DEP_1) | instskip(NEXT) | instid1(SALU_CYCLE_1)
	s_and_saveexec_b32 s11, s1
	s_xor_b32 s1, exec_lo, s11
; %bb.3302:                             ;   in Loop: Header=BB432_1571 Depth=1
	v_bfe_u32 v7, v6, 16, 1
	s_delay_alu instid0(VALU_DEP_1)
	v_add3_u32 v125, v6, v7, 0x7fff
                                        ; implicit-def: $vgpr6
; %bb.3303:                             ;   in Loop: Header=BB432_1571 Depth=1
	s_and_not1_saveexec_b32 s11, s1
; %bb.3304:                             ;   in Loop: Header=BB432_1571 Depth=1
	v_and_b32_e32 v7, 0xffff, v6
	v_or_b32_e32 v9, 0x10000, v6
	s_delay_alu instid0(VALU_DEP_2) | instskip(NEXT) | instid1(VALU_DEP_1)
	v_cmp_eq_u32_e64 s1, 0, v7
	v_cndmask_b32_e64 v125, v9, v6, s1
; %bb.3305:                             ;   in Loop: Header=BB432_1571 Depth=1
	s_or_b32 exec_lo, exec_lo, s11
	v_lshrrev_b16 v7, 8, v2
	v_mov_b32_e32 v6, 0
	s_mov_b32 s11, exec_lo
	s_delay_alu instid0(VALU_DEP_2)
	v_cmpx_ne_u16_e32 0, v7
	s_cbranch_execz .LBB432_3313
; %bb.3306:                             ;   in Loop: Header=BB432_1571 Depth=1
	v_bfrev_b32_e32 v6, 1
	s_mov_b32 s12, exec_lo
	v_cmpx_ne_u16_e32 0x80, v7
	s_cbranch_execz .LBB432_3312
; %bb.3307:                             ;   in Loop: Header=BB432_1571 Depth=1
	v_and_b32_e32 v9, 0xffff, v7
	v_mov_b32_e32 v6, 0x7f800001
	s_mov_b32 s13, exec_lo
	s_delay_alu instid0(VALU_DEP_2) | instskip(NEXT) | instid1(VALU_DEP_1)
	v_and_b32_e32 v7, 0x7f, v9
	v_cmpx_ne_u32_e32 0x7f, v7
	s_cbranch_execz .LBB432_3311
; %bb.3308:                             ;   in Loop: Header=BB432_1571 Depth=1
	v_and_b32_e32 v9, 7, v9
	v_lshrrev_b32_e32 v126, 3, v7
	v_cmp_gt_u32_e64 s1, 8, v7
	s_delay_alu instid0(VALU_DEP_3) | instskip(NEXT) | instid1(VALU_DEP_2)
	v_dual_mov_b32 v6, v9 :: v_dual_mov_b32 v7, v10
	s_and_saveexec_b32 s15, s1
; %bb.3309:                             ;   in Loop: Header=BB432_1571 Depth=1
	v_clz_i32_u32_e32 v6, v9
	s_delay_alu instid0(VALU_DEP_1) | instskip(NEXT) | instid1(VALU_DEP_1)
	v_min_u32_e32 v126, 32, v6
	v_subrev_nc_u32_e32 v6, 28, v126
	v_sub_nc_u32_e32 v126, 29, v126
	s_delay_alu instid0(VALU_DEP_2) | instskip(NEXT) | instid1(VALU_DEP_1)
	v_lshlrev_b64 v[6:7], v6, v[9:10]
	v_and_b32_e32 v6, 7, v6
; %bb.3310:                             ;   in Loop: Header=BB432_1571 Depth=1
	s_or_b32 exec_lo, exec_lo, s15
	v_lshlrev_b32_e32 v7, 16, v2
	s_delay_alu instid0(VALU_DEP_2) | instskip(SKIP_1) | instid1(VALU_DEP_3)
	v_lshlrev_b32_e32 v6, 20, v6
	v_lshl_add_u32 v9, v126, 23, 0x3c000000
	v_and_b32_e32 v7, 0x80000000, v7
	s_delay_alu instid0(VALU_DEP_1)
	v_or3_b32 v6, v6, v7, v9
.LBB432_3311:                           ;   in Loop: Header=BB432_1571 Depth=1
	s_or_b32 exec_lo, exec_lo, s13
.LBB432_3312:                           ;   in Loop: Header=BB432_1571 Depth=1
	s_delay_alu instid0(SALU_CYCLE_1)
	s_or_b32 exec_lo, exec_lo, s12
.LBB432_3313:                           ;   in Loop: Header=BB432_1571 Depth=1
	s_delay_alu instid0(SALU_CYCLE_1) | instskip(NEXT) | instid1(VALU_DEP_1)
	s_or_b32 exec_lo, exec_lo, s11
	v_mul_f32_e32 v6, v26, v6
                                        ; implicit-def: $vgpr126
	s_delay_alu instid0(VALU_DEP_1) | instskip(NEXT) | instid1(VALU_DEP_1)
	v_and_b32_e32 v7, 0x7f800000, v6
	v_cmp_ne_u32_e64 s1, 0x7f800000, v7
	s_delay_alu instid0(VALU_DEP_1) | instskip(NEXT) | instid1(SALU_CYCLE_1)
	s_and_saveexec_b32 s11, s1
	s_xor_b32 s1, exec_lo, s11
; %bb.3314:                             ;   in Loop: Header=BB432_1571 Depth=1
	v_bfe_u32 v7, v6, 16, 1
	s_delay_alu instid0(VALU_DEP_1)
	v_add3_u32 v126, v6, v7, 0x7fff
                                        ; implicit-def: $vgpr6
; %bb.3315:                             ;   in Loop: Header=BB432_1571 Depth=1
	s_and_not1_saveexec_b32 s11, s1
; %bb.3316:                             ;   in Loop: Header=BB432_1571 Depth=1
	v_and_b32_e32 v7, 0xffff, v6
	v_or_b32_e32 v9, 0x10000, v6
	s_delay_alu instid0(VALU_DEP_2) | instskip(NEXT) | instid1(VALU_DEP_1)
	v_cmp_eq_u32_e64 s1, 0, v7
	v_cndmask_b32_e64 v126, v9, v6, s1
; %bb.3317:                             ;   in Loop: Header=BB432_1571 Depth=1
	s_or_b32 exec_lo, exec_lo, s11
	v_lshrrev_b32_e32 v127, 16, v2
	s_mov_b32 s11, exec_lo
	s_delay_alu instid0(VALU_DEP_1) | instskip(NEXT) | instid1(VALU_DEP_1)
	v_dual_mov_b32 v6, 0 :: v_dual_and_b32 v7, 0xff, v127
	v_cmpx_ne_u16_e32 0, v7
	s_cbranch_execz .LBB432_3325
; %bb.3318:                             ;   in Loop: Header=BB432_1571 Depth=1
	v_bfrev_b32_e32 v6, 1
	s_mov_b32 s12, exec_lo
	v_cmpx_ne_u16_e32 0x80, v7
	s_cbranch_execz .LBB432_3324
; %bb.3319:                             ;   in Loop: Header=BB432_1571 Depth=1
	v_bfe_u32 v7, v2, 16, 7
	v_mov_b32_e32 v6, 0x7f800001
	s_mov_b32 s13, exec_lo
	s_delay_alu instid0(VALU_DEP_2)
	v_cmpx_ne_u32_e32 0x7f, v7
	s_cbranch_execz .LBB432_3323
; %bb.3320:                             ;   in Loop: Header=BB432_1571 Depth=1
	v_and_b32_e32 v9, 7, v127
	v_lshrrev_b32_e32 v136, 3, v7
	v_cmp_gt_u32_e64 s1, 8, v7
	s_delay_alu instid0(VALU_DEP_3) | instskip(NEXT) | instid1(VALU_DEP_2)
	v_dual_mov_b32 v6, v9 :: v_dual_mov_b32 v7, v10
	s_and_saveexec_b32 s15, s1
; %bb.3321:                             ;   in Loop: Header=BB432_1571 Depth=1
	v_clz_i32_u32_e32 v6, v9
	s_delay_alu instid0(VALU_DEP_1) | instskip(NEXT) | instid1(VALU_DEP_1)
	v_min_u32_e32 v136, 32, v6
	v_subrev_nc_u32_e32 v6, 28, v136
	v_sub_nc_u32_e32 v136, 29, v136
	s_delay_alu instid0(VALU_DEP_2) | instskip(NEXT) | instid1(VALU_DEP_1)
	v_lshlrev_b64 v[6:7], v6, v[9:10]
	v_and_b32_e32 v6, 7, v6
; %bb.3322:                             ;   in Loop: Header=BB432_1571 Depth=1
	s_or_b32 exec_lo, exec_lo, s15
	v_lshlrev_b32_e32 v7, 24, v127
	s_delay_alu instid0(VALU_DEP_2) | instskip(SKIP_1) | instid1(VALU_DEP_3)
	v_lshlrev_b32_e32 v6, 20, v6
	v_lshl_add_u32 v9, v136, 23, 0x3c000000
	v_and_b32_e32 v7, 0x80000000, v7
	s_delay_alu instid0(VALU_DEP_1)
	v_or3_b32 v6, v6, v7, v9
.LBB432_3323:                           ;   in Loop: Header=BB432_1571 Depth=1
	s_or_b32 exec_lo, exec_lo, s13
.LBB432_3324:                           ;   in Loop: Header=BB432_1571 Depth=1
	s_delay_alu instid0(SALU_CYCLE_1)
	s_or_b32 exec_lo, exec_lo, s12
.LBB432_3325:                           ;   in Loop: Header=BB432_1571 Depth=1
	s_delay_alu instid0(SALU_CYCLE_1) | instskip(NEXT) | instid1(VALU_DEP_1)
	s_or_b32 exec_lo, exec_lo, s11
	v_mul_f32_e32 v6, v26, v6
                                        ; implicit-def: $vgpr127
	s_delay_alu instid0(VALU_DEP_1) | instskip(NEXT) | instid1(VALU_DEP_1)
	v_and_b32_e32 v7, 0x7f800000, v6
	v_cmp_ne_u32_e64 s1, 0x7f800000, v7
	s_delay_alu instid0(VALU_DEP_1) | instskip(NEXT) | instid1(SALU_CYCLE_1)
	s_and_saveexec_b32 s11, s1
	s_xor_b32 s1, exec_lo, s11
; %bb.3326:                             ;   in Loop: Header=BB432_1571 Depth=1
	v_bfe_u32 v7, v6, 16, 1
	s_delay_alu instid0(VALU_DEP_1)
	v_add3_u32 v127, v6, v7, 0x7fff
                                        ; implicit-def: $vgpr6
; %bb.3327:                             ;   in Loop: Header=BB432_1571 Depth=1
	s_and_not1_saveexec_b32 s11, s1
; %bb.3328:                             ;   in Loop: Header=BB432_1571 Depth=1
	v_and_b32_e32 v7, 0xffff, v6
	v_or_b32_e32 v9, 0x10000, v6
	s_delay_alu instid0(VALU_DEP_2) | instskip(NEXT) | instid1(VALU_DEP_1)
	v_cmp_eq_u32_e64 s1, 0, v7
	v_cndmask_b32_e64 v127, v9, v6, s1
; %bb.3329:                             ;   in Loop: Header=BB432_1571 Depth=1
	s_or_b32 exec_lo, exec_lo, s11
	v_mov_b32_e32 v6, 0
	s_mov_b32 s11, exec_lo
	v_cmpx_lt_u32_e32 0xffffff, v2
	s_cbranch_execz .LBB432_3337
; %bb.3330:                             ;   in Loop: Header=BB432_1571 Depth=1
	v_lshrrev_b32_e32 v136, 24, v2
	v_bfrev_b32_e32 v6, 1
	s_mov_b32 s12, exec_lo
	s_delay_alu instid0(VALU_DEP_2)
	v_cmpx_ne_u32_e32 0x80, v136
	s_cbranch_execz .LBB432_3336
; %bb.3331:                             ;   in Loop: Header=BB432_1571 Depth=1
	v_bfe_u32 v7, v2, 24, 7
	v_mov_b32_e32 v6, 0x7f800001
	s_mov_b32 s13, exec_lo
	s_delay_alu instid0(VALU_DEP_2)
	v_cmpx_ne_u32_e32 0x7f, v7
	s_cbranch_execz .LBB432_3335
; %bb.3332:                             ;   in Loop: Header=BB432_1571 Depth=1
	v_and_b32_e32 v9, 7, v136
	v_lshrrev_b32_e32 v137, 3, v7
	v_cmp_gt_u32_e64 s1, 8, v7
	s_delay_alu instid0(VALU_DEP_3) | instskip(NEXT) | instid1(VALU_DEP_2)
	v_dual_mov_b32 v6, v9 :: v_dual_mov_b32 v7, v10
	s_and_saveexec_b32 s15, s1
; %bb.3333:                             ;   in Loop: Header=BB432_1571 Depth=1
	v_clz_i32_u32_e32 v6, v9
	s_delay_alu instid0(VALU_DEP_1) | instskip(NEXT) | instid1(VALU_DEP_1)
	v_min_u32_e32 v137, 32, v6
	v_subrev_nc_u32_e32 v6, 28, v137
	v_sub_nc_u32_e32 v137, 29, v137
	s_delay_alu instid0(VALU_DEP_2) | instskip(NEXT) | instid1(VALU_DEP_1)
	v_lshlrev_b64 v[6:7], v6, v[9:10]
	v_and_b32_e32 v6, 7, v6
; %bb.3334:                             ;   in Loop: Header=BB432_1571 Depth=1
	s_or_b32 exec_lo, exec_lo, s15
	v_lshlrev_b32_e32 v7, 24, v136
	s_delay_alu instid0(VALU_DEP_2) | instskip(SKIP_1) | instid1(VALU_DEP_3)
	v_lshlrev_b32_e32 v6, 20, v6
	v_lshl_add_u32 v9, v137, 23, 0x3c000000
	v_and_b32_e32 v7, 0x80000000, v7
	s_delay_alu instid0(VALU_DEP_1)
	v_or3_b32 v6, v6, v7, v9
.LBB432_3335:                           ;   in Loop: Header=BB432_1571 Depth=1
	s_or_b32 exec_lo, exec_lo, s13
.LBB432_3336:                           ;   in Loop: Header=BB432_1571 Depth=1
	s_delay_alu instid0(SALU_CYCLE_1)
	s_or_b32 exec_lo, exec_lo, s12
.LBB432_3337:                           ;   in Loop: Header=BB432_1571 Depth=1
	s_delay_alu instid0(SALU_CYCLE_1) | instskip(NEXT) | instid1(VALU_DEP_1)
	s_or_b32 exec_lo, exec_lo, s11
	v_mul_f32_e32 v6, v26, v6
                                        ; implicit-def: $vgpr136
	s_delay_alu instid0(VALU_DEP_1) | instskip(NEXT) | instid1(VALU_DEP_1)
	v_and_b32_e32 v7, 0x7f800000, v6
	v_cmp_ne_u32_e64 s1, 0x7f800000, v7
	s_delay_alu instid0(VALU_DEP_1) | instskip(NEXT) | instid1(SALU_CYCLE_1)
	s_and_saveexec_b32 s11, s1
	s_xor_b32 s1, exec_lo, s11
; %bb.3338:                             ;   in Loop: Header=BB432_1571 Depth=1
	v_bfe_u32 v7, v6, 16, 1
	s_delay_alu instid0(VALU_DEP_1)
	v_add3_u32 v136, v6, v7, 0x7fff
                                        ; implicit-def: $vgpr6
; %bb.3339:                             ;   in Loop: Header=BB432_1571 Depth=1
	s_and_not1_saveexec_b32 s11, s1
; %bb.3340:                             ;   in Loop: Header=BB432_1571 Depth=1
	v_and_b32_e32 v7, 0xffff, v6
	v_or_b32_e32 v9, 0x10000, v6
	s_delay_alu instid0(VALU_DEP_2) | instskip(NEXT) | instid1(VALU_DEP_1)
	v_cmp_eq_u32_e64 s1, 0, v7
	v_cndmask_b32_e64 v136, v9, v6, s1
; %bb.3341:                             ;   in Loop: Header=BB432_1571 Depth=1
	s_or_b32 exec_lo, exec_lo, s11
	v_dual_mov_b32 v6, 0 :: v_dual_and_b32 v7, 0xff, v3
	v_mov_b32_e32 v9, v3
	s_mov_b32 s11, exec_lo
	s_delay_alu instid0(VALU_DEP_2)
	v_cmpx_ne_u16_e32 0, v7
	s_cbranch_execz .LBB432_3349
; %bb.3342:                             ;   in Loop: Header=BB432_1571 Depth=1
	v_bfrev_b32_e32 v6, 1
	s_mov_b32 s12, exec_lo
	v_cmpx_ne_u16_e32 0x80, v7
	s_cbranch_execz .LBB432_3348
; %bb.3343:                             ;   in Loop: Header=BB432_1571 Depth=1
	v_and_b32_e32 v7, 0x7f, v3
	v_mov_b32_e32 v6, 0x7f800001
	s_mov_b32 s13, exec_lo
	s_delay_alu instid0(VALU_DEP_2)
	v_cmpx_ne_u32_e32 0x7f, v7
	s_cbranch_execz .LBB432_3347
; %bb.3344:                             ;   in Loop: Header=BB432_1571 Depth=1
	v_lshrrev_b32_e32 v137, 3, v7
	v_cmp_gt_u32_e64 s1, 8, v7
	v_dual_mov_b32 v6, v9 :: v_dual_mov_b32 v7, v10
	s_delay_alu instid0(VALU_DEP_2)
	s_and_saveexec_b32 s15, s1
; %bb.3345:                             ;   in Loop: Header=BB432_1571 Depth=1
	v_and_b32_e32 v6, 7, v3
	s_delay_alu instid0(VALU_DEP_1) | instskip(NEXT) | instid1(VALU_DEP_1)
	v_clz_i32_u32_e32 v6, v6
	v_min_u32_e32 v137, 32, v6
	s_delay_alu instid0(VALU_DEP_1) | instskip(SKIP_1) | instid1(VALU_DEP_2)
	v_subrev_nc_u32_e32 v6, 28, v137
	v_sub_nc_u32_e32 v137, 29, v137
	v_lshlrev_b64 v[6:7], v6, v[9:10]
; %bb.3346:                             ;   in Loop: Header=BB432_1571 Depth=1
	s_or_b32 exec_lo, exec_lo, s15
	s_delay_alu instid0(VALU_DEP_1) | instskip(SKIP_2) | instid1(VALU_DEP_3)
	v_lshlrev_b32_e32 v6, 20, v6
	v_lshlrev_b32_e32 v7, 24, v9
	v_lshl_add_u32 v137, v137, 23, 0x3c000000
	v_and_b32_e32 v6, 0x700000, v6
	s_delay_alu instid0(VALU_DEP_3) | instskip(NEXT) | instid1(VALU_DEP_1)
	v_and_b32_e32 v7, 0x80000000, v7
	v_or3_b32 v6, v6, v7, v137
.LBB432_3347:                           ;   in Loop: Header=BB432_1571 Depth=1
	s_or_b32 exec_lo, exec_lo, s13
.LBB432_3348:                           ;   in Loop: Header=BB432_1571 Depth=1
	s_delay_alu instid0(SALU_CYCLE_1)
	s_or_b32 exec_lo, exec_lo, s12
.LBB432_3349:                           ;   in Loop: Header=BB432_1571 Depth=1
	s_delay_alu instid0(SALU_CYCLE_1) | instskip(NEXT) | instid1(VALU_DEP_1)
	s_or_b32 exec_lo, exec_lo, s11
	v_mul_f32_e32 v6, v26, v6
                                        ; implicit-def: $vgpr137
	s_delay_alu instid0(VALU_DEP_1) | instskip(NEXT) | instid1(VALU_DEP_1)
	v_and_b32_e32 v7, 0x7f800000, v6
	v_cmp_ne_u32_e64 s1, 0x7f800000, v7
	s_delay_alu instid0(VALU_DEP_1) | instskip(NEXT) | instid1(SALU_CYCLE_1)
	s_and_saveexec_b32 s11, s1
	s_xor_b32 s1, exec_lo, s11
; %bb.3350:                             ;   in Loop: Header=BB432_1571 Depth=1
	v_bfe_u32 v7, v6, 16, 1
	s_delay_alu instid0(VALU_DEP_1)
	v_add3_u32 v137, v6, v7, 0x7fff
                                        ; implicit-def: $vgpr6
; %bb.3351:                             ;   in Loop: Header=BB432_1571 Depth=1
	s_and_not1_saveexec_b32 s11, s1
; %bb.3352:                             ;   in Loop: Header=BB432_1571 Depth=1
	v_and_b32_e32 v7, 0xffff, v6
	v_or_b32_e32 v137, 0x10000, v6
	s_delay_alu instid0(VALU_DEP_2) | instskip(NEXT) | instid1(VALU_DEP_1)
	v_cmp_eq_u32_e64 s1, 0, v7
	v_cndmask_b32_e64 v137, v137, v6, s1
; %bb.3353:                             ;   in Loop: Header=BB432_1571 Depth=1
	s_or_b32 exec_lo, exec_lo, s11
	v_lshrrev_b16 v7, 8, v9
	v_mov_b32_e32 v6, 0
	s_mov_b32 s11, exec_lo
	s_delay_alu instid0(VALU_DEP_2)
	v_cmpx_ne_u16_e32 0, v7
	s_cbranch_execz .LBB432_3361
; %bb.3354:                             ;   in Loop: Header=BB432_1571 Depth=1
	v_bfrev_b32_e32 v6, 1
	s_mov_b32 s12, exec_lo
	v_cmpx_ne_u16_e32 0x80, v7
	s_cbranch_execz .LBB432_3360
; %bb.3355:                             ;   in Loop: Header=BB432_1571 Depth=1
	v_and_b32_e32 v7, 0xffff, v7
	v_mov_b32_e32 v6, 0x7f800001
	s_mov_b32 s13, exec_lo
	s_delay_alu instid0(VALU_DEP_2) | instskip(NEXT) | instid1(VALU_DEP_1)
	v_and_b32_e32 v139, 0x7f, v7
	v_cmpx_ne_u32_e32 0x7f, v139
	s_cbranch_execz .LBB432_3359
; %bb.3356:                             ;   in Loop: Header=BB432_1571 Depth=1
	v_dual_mov_b32 v7, v10 :: v_dual_and_b32 v6, 7, v7
	v_lshrrev_b32_e32 v138, 3, v139
	s_mov_b32 s15, exec_lo
	v_cmpx_gt_u32_e32 8, v139
; %bb.3357:                             ;   in Loop: Header=BB432_1571 Depth=1
	s_delay_alu instid0(VALU_DEP_3) | instskip(NEXT) | instid1(VALU_DEP_1)
	v_clz_i32_u32_e32 v138, v6
	v_min_u32_e32 v138, 32, v138
	s_delay_alu instid0(VALU_DEP_1) | instskip(SKIP_1) | instid1(VALU_DEP_2)
	v_subrev_nc_u32_e32 v139, 28, v138
	v_sub_nc_u32_e32 v138, 29, v138
	v_lshlrev_b64 v[6:7], v139, v[6:7]
	s_delay_alu instid0(VALU_DEP_1)
	v_and_b32_e32 v6, 7, v6
; %bb.3358:                             ;   in Loop: Header=BB432_1571 Depth=1
	s_or_b32 exec_lo, exec_lo, s15
	v_lshlrev_b32_e32 v7, 16, v9
	s_delay_alu instid0(VALU_DEP_2) | instskip(SKIP_1) | instid1(VALU_DEP_3)
	v_lshlrev_b32_e32 v6, 20, v6
	v_lshl_add_u32 v9, v138, 23, 0x3c000000
	v_and_b32_e32 v7, 0x80000000, v7
	s_delay_alu instid0(VALU_DEP_1)
	v_or3_b32 v6, v6, v7, v9
.LBB432_3359:                           ;   in Loop: Header=BB432_1571 Depth=1
	s_or_b32 exec_lo, exec_lo, s13
.LBB432_3360:                           ;   in Loop: Header=BB432_1571 Depth=1
	s_delay_alu instid0(SALU_CYCLE_1)
	s_or_b32 exec_lo, exec_lo, s12
.LBB432_3361:                           ;   in Loop: Header=BB432_1571 Depth=1
	s_delay_alu instid0(SALU_CYCLE_1) | instskip(NEXT) | instid1(VALU_DEP_1)
	s_or_b32 exec_lo, exec_lo, s11
	v_mul_f32_e32 v6, v26, v6
                                        ; implicit-def: $vgpr138
	s_delay_alu instid0(VALU_DEP_1) | instskip(NEXT) | instid1(VALU_DEP_1)
	v_and_b32_e32 v7, 0x7f800000, v6
	v_cmp_ne_u32_e64 s1, 0x7f800000, v7
	s_delay_alu instid0(VALU_DEP_1) | instskip(NEXT) | instid1(SALU_CYCLE_1)
	s_and_saveexec_b32 s11, s1
	s_xor_b32 s1, exec_lo, s11
; %bb.3362:                             ;   in Loop: Header=BB432_1571 Depth=1
	v_bfe_u32 v7, v6, 16, 1
	s_delay_alu instid0(VALU_DEP_1)
	v_add3_u32 v138, v6, v7, 0x7fff
                                        ; implicit-def: $vgpr6
; %bb.3363:                             ;   in Loop: Header=BB432_1571 Depth=1
	s_and_not1_saveexec_b32 s11, s1
; %bb.3364:                             ;   in Loop: Header=BB432_1571 Depth=1
	v_and_b32_e32 v7, 0xffff, v6
	v_or_b32_e32 v9, 0x10000, v6
	s_delay_alu instid0(VALU_DEP_2) | instskip(NEXT) | instid1(VALU_DEP_1)
	v_cmp_eq_u32_e64 s1, 0, v7
	v_cndmask_b32_e64 v138, v9, v6, s1
; %bb.3365:                             ;   in Loop: Header=BB432_1571 Depth=1
	s_or_b32 exec_lo, exec_lo, s11
	v_lshrrev_b32_e32 v139, 16, v3
	s_mov_b32 s11, exec_lo
	s_delay_alu instid0(VALU_DEP_1) | instskip(NEXT) | instid1(VALU_DEP_1)
	v_dual_mov_b32 v6, 0 :: v_dual_and_b32 v7, 0xff, v139
	v_cmpx_ne_u16_e32 0, v7
	s_cbranch_execz .LBB432_3373
; %bb.3366:                             ;   in Loop: Header=BB432_1571 Depth=1
	v_bfrev_b32_e32 v6, 1
	s_mov_b32 s12, exec_lo
	v_cmpx_ne_u16_e32 0x80, v7
	s_cbranch_execz .LBB432_3372
; %bb.3367:                             ;   in Loop: Header=BB432_1571 Depth=1
	v_bfe_u32 v7, v3, 16, 7
	v_mov_b32_e32 v6, 0x7f800001
	s_mov_b32 s13, exec_lo
	s_delay_alu instid0(VALU_DEP_2)
	v_cmpx_ne_u32_e32 0x7f, v7
	s_cbranch_execz .LBB432_3371
; %bb.3368:                             ;   in Loop: Header=BB432_1571 Depth=1
	v_and_b32_e32 v9, 7, v139
	v_lshrrev_b32_e32 v140, 3, v7
	v_cmp_gt_u32_e64 s1, 8, v7
	s_delay_alu instid0(VALU_DEP_3) | instskip(NEXT) | instid1(VALU_DEP_2)
	v_dual_mov_b32 v6, v9 :: v_dual_mov_b32 v7, v10
	s_and_saveexec_b32 s15, s1
; %bb.3369:                             ;   in Loop: Header=BB432_1571 Depth=1
	v_clz_i32_u32_e32 v6, v9
	s_delay_alu instid0(VALU_DEP_1) | instskip(NEXT) | instid1(VALU_DEP_1)
	v_min_u32_e32 v140, 32, v6
	v_subrev_nc_u32_e32 v6, 28, v140
	v_sub_nc_u32_e32 v140, 29, v140
	s_delay_alu instid0(VALU_DEP_2) | instskip(NEXT) | instid1(VALU_DEP_1)
	v_lshlrev_b64 v[6:7], v6, v[9:10]
	v_and_b32_e32 v6, 7, v6
; %bb.3370:                             ;   in Loop: Header=BB432_1571 Depth=1
	s_or_b32 exec_lo, exec_lo, s15
	v_lshlrev_b32_e32 v7, 24, v139
	s_delay_alu instid0(VALU_DEP_2) | instskip(SKIP_1) | instid1(VALU_DEP_3)
	v_lshlrev_b32_e32 v6, 20, v6
	v_lshl_add_u32 v9, v140, 23, 0x3c000000
	v_and_b32_e32 v7, 0x80000000, v7
	s_delay_alu instid0(VALU_DEP_1)
	v_or3_b32 v6, v6, v7, v9
.LBB432_3371:                           ;   in Loop: Header=BB432_1571 Depth=1
	s_or_b32 exec_lo, exec_lo, s13
.LBB432_3372:                           ;   in Loop: Header=BB432_1571 Depth=1
	s_delay_alu instid0(SALU_CYCLE_1)
	s_or_b32 exec_lo, exec_lo, s12
.LBB432_3373:                           ;   in Loop: Header=BB432_1571 Depth=1
	s_delay_alu instid0(SALU_CYCLE_1) | instskip(NEXT) | instid1(VALU_DEP_1)
	s_or_b32 exec_lo, exec_lo, s11
	v_mul_f32_e32 v6, v26, v6
                                        ; implicit-def: $vgpr139
	s_delay_alu instid0(VALU_DEP_1) | instskip(NEXT) | instid1(VALU_DEP_1)
	v_and_b32_e32 v7, 0x7f800000, v6
	v_cmp_ne_u32_e64 s1, 0x7f800000, v7
	s_delay_alu instid0(VALU_DEP_1) | instskip(NEXT) | instid1(SALU_CYCLE_1)
	s_and_saveexec_b32 s11, s1
	s_xor_b32 s1, exec_lo, s11
; %bb.3374:                             ;   in Loop: Header=BB432_1571 Depth=1
	v_bfe_u32 v7, v6, 16, 1
	s_delay_alu instid0(VALU_DEP_1)
	v_add3_u32 v139, v6, v7, 0x7fff
                                        ; implicit-def: $vgpr6
; %bb.3375:                             ;   in Loop: Header=BB432_1571 Depth=1
	s_and_not1_saveexec_b32 s11, s1
; %bb.3376:                             ;   in Loop: Header=BB432_1571 Depth=1
	v_and_b32_e32 v7, 0xffff, v6
	v_or_b32_e32 v9, 0x10000, v6
	s_delay_alu instid0(VALU_DEP_2) | instskip(NEXT) | instid1(VALU_DEP_1)
	v_cmp_eq_u32_e64 s1, 0, v7
	v_cndmask_b32_e64 v139, v9, v6, s1
; %bb.3377:                             ;   in Loop: Header=BB432_1571 Depth=1
	s_or_b32 exec_lo, exec_lo, s11
	v_cmp_lt_u64_e64 s1, s[2:3], v[2:3]
	v_mov_b32_e32 v2, 0
	s_delay_alu instid0(VALU_DEP_2)
	s_and_saveexec_b32 s11, s1
	s_cbranch_execz .LBB432_3385
; %bb.3378:                             ;   in Loop: Header=BB432_1571 Depth=1
	v_lshrrev_b32_e32 v6, 24, v3
	v_bfrev_b32_e32 v2, 1
	s_mov_b32 s12, exec_lo
	s_delay_alu instid0(VALU_DEP_2)
	v_cmpx_ne_u32_e32 0x80, v6
	s_cbranch_execz .LBB432_3384
; %bb.3379:                             ;   in Loop: Header=BB432_1571 Depth=1
	v_bfe_u32 v3, v3, 24, 7
	v_mov_b32_e32 v2, 0x7f800001
	s_mov_b32 s13, exec_lo
	s_delay_alu instid0(VALU_DEP_2)
	v_cmpx_ne_u32_e32 0x7f, v3
	s_cbranch_execz .LBB432_3383
; %bb.3380:                             ;   in Loop: Header=BB432_1571 Depth=1
	v_and_b32_e32 v9, 7, v6
	v_lshrrev_b32_e32 v7, 3, v3
	v_cmp_gt_u32_e64 s1, 8, v3
	s_delay_alu instid0(VALU_DEP_3) | instskip(NEXT) | instid1(VALU_DEP_2)
	v_dual_mov_b32 v2, v9 :: v_dual_mov_b32 v3, v10
	s_and_saveexec_b32 s15, s1
; %bb.3381:                             ;   in Loop: Header=BB432_1571 Depth=1
	v_clz_i32_u32_e32 v2, v9
	s_delay_alu instid0(VALU_DEP_1) | instskip(NEXT) | instid1(VALU_DEP_1)
	v_min_u32_e32 v7, 32, v2
	v_subrev_nc_u32_e32 v2, 28, v7
	v_sub_nc_u32_e32 v7, 29, v7
	s_delay_alu instid0(VALU_DEP_2) | instskip(NEXT) | instid1(VALU_DEP_1)
	v_lshlrev_b64 v[2:3], v2, v[9:10]
	v_and_b32_e32 v2, 7, v2
; %bb.3382:                             ;   in Loop: Header=BB432_1571 Depth=1
	s_or_b32 exec_lo, exec_lo, s15
	v_lshlrev_b32_e32 v3, 24, v6
	s_delay_alu instid0(VALU_DEP_2) | instskip(SKIP_1) | instid1(VALU_DEP_3)
	v_lshlrev_b32_e32 v2, 20, v2
	v_lshl_add_u32 v6, v7, 23, 0x3c000000
	v_and_b32_e32 v3, 0x80000000, v3
	s_delay_alu instid0(VALU_DEP_1)
	v_or3_b32 v2, v2, v3, v6
.LBB432_3383:                           ;   in Loop: Header=BB432_1571 Depth=1
	s_or_b32 exec_lo, exec_lo, s13
.LBB432_3384:                           ;   in Loop: Header=BB432_1571 Depth=1
	s_delay_alu instid0(SALU_CYCLE_1)
	s_or_b32 exec_lo, exec_lo, s12
.LBB432_3385:                           ;   in Loop: Header=BB432_1571 Depth=1
	s_delay_alu instid0(SALU_CYCLE_1) | instskip(NEXT) | instid1(VALU_DEP_1)
	s_or_b32 exec_lo, exec_lo, s11
	v_mul_f32_e32 v3, v26, v2
	s_delay_alu instid0(VALU_DEP_1) | instskip(NEXT) | instid1(VALU_DEP_1)
	v_and_b32_e32 v2, 0x7f800000, v3
	v_cmp_ne_u32_e64 s1, 0x7f800000, v2
                                        ; implicit-def: $vgpr2
	s_delay_alu instid0(VALU_DEP_1) | instskip(NEXT) | instid1(SALU_CYCLE_1)
	s_and_saveexec_b32 s11, s1
	s_xor_b32 s1, exec_lo, s11
; %bb.3386:                             ;   in Loop: Header=BB432_1571 Depth=1
	v_bfe_u32 v2, v3, 16, 1
	s_delay_alu instid0(VALU_DEP_1)
	v_add3_u32 v2, v3, v2, 0x7fff
                                        ; implicit-def: $vgpr3
; %bb.3387:                             ;   in Loop: Header=BB432_1571 Depth=1
	s_and_not1_saveexec_b32 s11, s1
; %bb.3388:                             ;   in Loop: Header=BB432_1571 Depth=1
	v_and_b32_e32 v2, 0xffff, v3
	v_or_b32_e32 v6, 0x10000, v3
	s_delay_alu instid0(VALU_DEP_2) | instskip(NEXT) | instid1(VALU_DEP_1)
	v_cmp_eq_u32_e64 s1, 0, v2
	v_cndmask_b32_e64 v2, v6, v3, s1
; %bb.3389:                             ;   in Loop: Header=BB432_1571 Depth=1
	s_or_b32 exec_lo, exec_lo, s11
	v_lshrrev_b32_e32 v6, 16, v138
	v_lshrrev_b32_e32 v7, 16, v137
	;; [unrolled: 1-line block ×8, first 2 shown]
	s_and_saveexec_b32 s11, vcc_lo
	s_cbranch_execz .LBB432_3391
; %bb.3390:                             ;   in Loop: Header=BB432_1571 Depth=1
	v_cmp_lt_i32_e64 s1, v68, v35
	s_delay_alu instid0(VALU_DEP_1) | instskip(SKIP_1) | instid1(VALU_DEP_1)
	v_cndmask_b32_e64 v125, 0, v125, s1
	v_cmp_lt_i32_e64 s1, v82, v35
	v_cndmask_b32_e64 v126, 0, v126, s1
	v_cmp_lt_i32_e64 s1, v81, v35
	s_delay_alu instid0(VALU_DEP_1) | instskip(SKIP_1) | instid1(VALU_DEP_1)
	v_cndmask_b32_e64 v127, 0, v127, s1
	v_cmp_lt_i32_e64 s1, v80, v35
	v_cndmask_b32_e64 v9, 0, v9, s1
	;; [unrolled: 5-line block ×4, first 2 shown]
.LBB432_3391:                           ;   in Loop: Header=BB432_1571 Depth=1
	s_or_b32 exec_lo, exec_lo, s11
	v_lshlrev_b32_e32 v125, 16, v125
	s_delay_alu instid0(VALU_DEP_1) | instskip(NEXT) | instid1(VALU_DEP_1)
	v_mul_f32_e32 v136, v83, v125
	v_and_b32_e32 v125, 0x7f800000, v136
	s_delay_alu instid0(VALU_DEP_1) | instskip(NEXT) | instid1(VALU_DEP_1)
	v_cmp_ne_u32_e64 s1, 0x7f800000, v125
                                        ; implicit-def: $vgpr125
	s_and_saveexec_b32 s11, s1
	s_delay_alu instid0(SALU_CYCLE_1)
	s_xor_b32 s1, exec_lo, s11
; %bb.3392:                             ;   in Loop: Header=BB432_1571 Depth=1
	v_bfe_u32 v125, v136, 16, 1
	s_delay_alu instid0(VALU_DEP_1)
	v_add3_u32 v125, v136, v125, 0x7fff
                                        ; implicit-def: $vgpr136
; %bb.3393:                             ;   in Loop: Header=BB432_1571 Depth=1
	s_and_not1_saveexec_b32 s11, s1
; %bb.3394:                             ;   in Loop: Header=BB432_1571 Depth=1
	v_and_b32_e32 v125, 0xffff, v136
	v_or_b32_e32 v137, 0x10000, v136
	s_delay_alu instid0(VALU_DEP_2) | instskip(NEXT) | instid1(VALU_DEP_1)
	v_cmp_eq_u32_e64 s1, 0, v125
	v_cndmask_b32_e64 v125, v137, v136, s1
; %bb.3395:                             ;   in Loop: Header=BB432_1571 Depth=1
	s_or_b32 exec_lo, exec_lo, s11
	v_lshlrev_b32_e32 v126, 16, v126
	s_delay_alu instid0(VALU_DEP_1) | instskip(NEXT) | instid1(VALU_DEP_1)
	v_mul_f32_e32 v136, v84, v126
	v_and_b32_e32 v126, 0x7f800000, v136
	s_delay_alu instid0(VALU_DEP_1) | instskip(NEXT) | instid1(VALU_DEP_1)
	v_cmp_ne_u32_e64 s1, 0x7f800000, v126
                                        ; implicit-def: $vgpr126
	s_and_saveexec_b32 s11, s1
	s_delay_alu instid0(SALU_CYCLE_1)
	s_xor_b32 s1, exec_lo, s11
; %bb.3396:                             ;   in Loop: Header=BB432_1571 Depth=1
	v_bfe_u32 v126, v136, 16, 1
	s_delay_alu instid0(VALU_DEP_1)
	v_add3_u32 v126, v136, v126, 0x7fff
                                        ; implicit-def: $vgpr136
; %bb.3397:                             ;   in Loop: Header=BB432_1571 Depth=1
	s_and_not1_saveexec_b32 s11, s1
; %bb.3398:                             ;   in Loop: Header=BB432_1571 Depth=1
	v_and_b32_e32 v126, 0xffff, v136
	v_or_b32_e32 v137, 0x10000, v136
	s_delay_alu instid0(VALU_DEP_2) | instskip(NEXT) | instid1(VALU_DEP_1)
	v_cmp_eq_u32_e64 s1, 0, v126
	v_cndmask_b32_e64 v126, v137, v136, s1
; %bb.3399:                             ;   in Loop: Header=BB432_1571 Depth=1
	s_or_b32 exec_lo, exec_lo, s11
	v_lshlrev_b32_e32 v127, 16, v127
	s_delay_alu instid0(VALU_DEP_1) | instskip(NEXT) | instid1(VALU_DEP_1)
	v_mul_f32_e32 v136, v85, v127
	v_and_b32_e32 v127, 0x7f800000, v136
	s_delay_alu instid0(VALU_DEP_1) | instskip(NEXT) | instid1(VALU_DEP_1)
	v_cmp_ne_u32_e64 s1, 0x7f800000, v127
                                        ; implicit-def: $vgpr127
	s_and_saveexec_b32 s11, s1
	s_delay_alu instid0(SALU_CYCLE_1)
	s_xor_b32 s1, exec_lo, s11
; %bb.3400:                             ;   in Loop: Header=BB432_1571 Depth=1
	v_bfe_u32 v127, v136, 16, 1
	s_delay_alu instid0(VALU_DEP_1)
	v_add3_u32 v127, v136, v127, 0x7fff
                                        ; implicit-def: $vgpr136
; %bb.3401:                             ;   in Loop: Header=BB432_1571 Depth=1
	s_and_not1_saveexec_b32 s11, s1
; %bb.3402:                             ;   in Loop: Header=BB432_1571 Depth=1
	v_and_b32_e32 v127, 0xffff, v136
	v_or_b32_e32 v137, 0x10000, v136
	s_delay_alu instid0(VALU_DEP_2) | instskip(NEXT) | instid1(VALU_DEP_1)
	v_cmp_eq_u32_e64 s1, 0, v127
	v_cndmask_b32_e64 v127, v137, v136, s1
; %bb.3403:                             ;   in Loop: Header=BB432_1571 Depth=1
	s_or_b32 exec_lo, exec_lo, s11
	v_lshlrev_b32_e32 v9, 16, v9
	s_delay_alu instid0(VALU_DEP_1) | instskip(NEXT) | instid1(VALU_DEP_1)
	v_mul_f32_e32 v9, v86, v9
	v_and_b32_e32 v136, 0x7f800000, v9
	s_delay_alu instid0(VALU_DEP_1) | instskip(NEXT) | instid1(VALU_DEP_1)
	v_cmp_ne_u32_e64 s1, 0x7f800000, v136
                                        ; implicit-def: $vgpr136
	s_and_saveexec_b32 s11, s1
	s_delay_alu instid0(SALU_CYCLE_1)
	s_xor_b32 s1, exec_lo, s11
; %bb.3404:                             ;   in Loop: Header=BB432_1571 Depth=1
	v_bfe_u32 v136, v9, 16, 1
	s_delay_alu instid0(VALU_DEP_1)
	v_add3_u32 v136, v9, v136, 0x7fff
                                        ; implicit-def: $vgpr9
; %bb.3405:                             ;   in Loop: Header=BB432_1571 Depth=1
	s_and_not1_saveexec_b32 s11, s1
; %bb.3406:                             ;   in Loop: Header=BB432_1571 Depth=1
	v_and_b32_e32 v136, 0xffff, v9
	v_or_b32_e32 v137, 0x10000, v9
	s_delay_alu instid0(VALU_DEP_2) | instskip(NEXT) | instid1(VALU_DEP_1)
	v_cmp_eq_u32_e64 s1, 0, v136
	v_cndmask_b32_e64 v136, v137, v9, s1
; %bb.3407:                             ;   in Loop: Header=BB432_1571 Depth=1
	s_or_b32 exec_lo, exec_lo, s11
	v_lshlrev_b32_e32 v7, 16, v7
                                        ; implicit-def: $vgpr137
	s_delay_alu instid0(VALU_DEP_1) | instskip(NEXT) | instid1(VALU_DEP_1)
	v_mul_f32_e32 v7, v87, v7
	v_and_b32_e32 v9, 0x7f800000, v7
	s_delay_alu instid0(VALU_DEP_1) | instskip(NEXT) | instid1(VALU_DEP_1)
	v_cmp_ne_u32_e64 s1, 0x7f800000, v9
	s_and_saveexec_b32 s11, s1
	s_delay_alu instid0(SALU_CYCLE_1)
	s_xor_b32 s1, exec_lo, s11
; %bb.3408:                             ;   in Loop: Header=BB432_1571 Depth=1
	v_bfe_u32 v9, v7, 16, 1
	s_delay_alu instid0(VALU_DEP_1)
	v_add3_u32 v137, v7, v9, 0x7fff
                                        ; implicit-def: $vgpr7
; %bb.3409:                             ;   in Loop: Header=BB432_1571 Depth=1
	s_and_not1_saveexec_b32 s11, s1
; %bb.3410:                             ;   in Loop: Header=BB432_1571 Depth=1
	v_and_b32_e32 v9, 0xffff, v7
	v_or_b32_e32 v137, 0x10000, v7
	s_delay_alu instid0(VALU_DEP_2) | instskip(NEXT) | instid1(VALU_DEP_1)
	v_cmp_eq_u32_e64 s1, 0, v9
	v_cndmask_b32_e64 v137, v137, v7, s1
; %bb.3411:                             ;   in Loop: Header=BB432_1571 Depth=1
	s_or_b32 exec_lo, exec_lo, s11
	v_lshlrev_b32_e32 v6, 16, v6
                                        ; implicit-def: $vgpr138
	s_delay_alu instid0(VALU_DEP_1) | instskip(NEXT) | instid1(VALU_DEP_1)
	v_mul_f32_e32 v6, v96, v6
	v_and_b32_e32 v7, 0x7f800000, v6
	s_delay_alu instid0(VALU_DEP_1) | instskip(NEXT) | instid1(VALU_DEP_1)
	v_cmp_ne_u32_e64 s1, 0x7f800000, v7
	s_and_saveexec_b32 s11, s1
	s_delay_alu instid0(SALU_CYCLE_1)
	s_xor_b32 s1, exec_lo, s11
; %bb.3412:                             ;   in Loop: Header=BB432_1571 Depth=1
	v_bfe_u32 v7, v6, 16, 1
	s_delay_alu instid0(VALU_DEP_1)
	v_add3_u32 v138, v6, v7, 0x7fff
                                        ; implicit-def: $vgpr6
; %bb.3413:                             ;   in Loop: Header=BB432_1571 Depth=1
	s_and_not1_saveexec_b32 s11, s1
; %bb.3414:                             ;   in Loop: Header=BB432_1571 Depth=1
	v_and_b32_e32 v7, 0xffff, v6
	v_or_b32_e32 v9, 0x10000, v6
	s_delay_alu instid0(VALU_DEP_2) | instskip(NEXT) | instid1(VALU_DEP_1)
	v_cmp_eq_u32_e64 s1, 0, v7
	v_cndmask_b32_e64 v138, v9, v6, s1
; %bb.3415:                             ;   in Loop: Header=BB432_1571 Depth=1
	s_or_b32 exec_lo, exec_lo, s11
	v_lshlrev_b32_e32 v3, 16, v3
                                        ; implicit-def: $vgpr139
	s_delay_alu instid0(VALU_DEP_1) | instskip(NEXT) | instid1(VALU_DEP_1)
	v_mul_f32_e32 v3, v97, v3
	v_and_b32_e32 v6, 0x7f800000, v3
	s_delay_alu instid0(VALU_DEP_1) | instskip(NEXT) | instid1(VALU_DEP_1)
	v_cmp_ne_u32_e64 s1, 0x7f800000, v6
	s_and_saveexec_b32 s11, s1
	s_delay_alu instid0(SALU_CYCLE_1)
	s_xor_b32 s1, exec_lo, s11
; %bb.3416:                             ;   in Loop: Header=BB432_1571 Depth=1
	v_bfe_u32 v6, v3, 16, 1
	s_delay_alu instid0(VALU_DEP_1)
	v_add3_u32 v139, v3, v6, 0x7fff
                                        ; implicit-def: $vgpr3
; %bb.3417:                             ;   in Loop: Header=BB432_1571 Depth=1
	s_and_not1_saveexec_b32 s11, s1
; %bb.3418:                             ;   in Loop: Header=BB432_1571 Depth=1
	v_and_b32_e32 v6, 0xffff, v3
	v_or_b32_e32 v7, 0x10000, v3
	s_delay_alu instid0(VALU_DEP_2) | instskip(NEXT) | instid1(VALU_DEP_1)
	v_cmp_eq_u32_e64 s1, 0, v6
	v_cndmask_b32_e64 v139, v7, v3, s1
; %bb.3419:                             ;   in Loop: Header=BB432_1571 Depth=1
	s_or_b32 exec_lo, exec_lo, s11
	v_lshlrev_b32_e32 v2, 16, v2
                                        ; implicit-def: $vgpr140
	s_delay_alu instid0(VALU_DEP_1) | instskip(NEXT) | instid1(VALU_DEP_1)
	v_mul_f32_e32 v2, v98, v2
	v_and_b32_e32 v3, 0x7f800000, v2
	s_delay_alu instid0(VALU_DEP_1) | instskip(NEXT) | instid1(VALU_DEP_1)
	v_cmp_ne_u32_e64 s1, 0x7f800000, v3
	s_and_saveexec_b32 s11, s1
	s_delay_alu instid0(SALU_CYCLE_1)
	s_xor_b32 s1, exec_lo, s11
; %bb.3420:                             ;   in Loop: Header=BB432_1571 Depth=1
	v_bfe_u32 v3, v2, 16, 1
	s_delay_alu instid0(VALU_DEP_1)
	v_add3_u32 v140, v2, v3, 0x7fff
                                        ; implicit-def: $vgpr2
; %bb.3421:                             ;   in Loop: Header=BB432_1571 Depth=1
	s_and_not1_saveexec_b32 s11, s1
; %bb.3422:                             ;   in Loop: Header=BB432_1571 Depth=1
	v_and_b32_e32 v3, 0xffff, v2
	v_or_b32_e32 v6, 0x10000, v2
	s_delay_alu instid0(VALU_DEP_2) | instskip(NEXT) | instid1(VALU_DEP_1)
	v_cmp_eq_u32_e64 s1, 0, v3
	v_cndmask_b32_e64 v140, v6, v2, s1
; %bb.3423:                             ;   in Loop: Header=BB432_1571 Depth=1
	s_or_b32 exec_lo, exec_lo, s11
	flat_load_b64 v[2:3], v[0:1] offset:3584
	s_mov_b32 s11, exec_lo
	s_waitcnt vmcnt(0) lgkmcnt(0)
	v_dual_mov_b32 v6, 0 :: v_dual_and_b32 v7, 0xff, v2
	s_delay_alu instid0(VALU_DEP_1)
	v_cmpx_ne_u16_e32 0, v7
	s_cbranch_execz .LBB432_3431
; %bb.3424:                             ;   in Loop: Header=BB432_1571 Depth=1
	v_bfrev_b32_e32 v6, 1
	s_mov_b32 s12, exec_lo
	v_cmpx_ne_u16_e32 0x80, v7
	s_cbranch_execz .LBB432_3430
; %bb.3425:                             ;   in Loop: Header=BB432_1571 Depth=1
	v_and_b32_e32 v7, 0x7f, v2
	v_mov_b32_e32 v6, 0x7f800001
	s_mov_b32 s13, exec_lo
	s_delay_alu instid0(VALU_DEP_2)
	v_cmpx_ne_u32_e32 0x7f, v7
	s_cbranch_execz .LBB432_3429
; %bb.3426:                             ;   in Loop: Header=BB432_1571 Depth=1
	v_lshrrev_b32_e32 v9, 3, v7
	v_cmp_gt_u32_e64 s1, 8, v7
	v_dual_mov_b32 v7, v3 :: v_dual_mov_b32 v6, v2
	s_delay_alu instid0(VALU_DEP_2)
	s_and_saveexec_b32 s15, s1
; %bb.3427:                             ;   in Loop: Header=BB432_1571 Depth=1
	v_and_b32_e32 v6, 7, v2
	s_delay_alu instid0(VALU_DEP_1) | instskip(NEXT) | instid1(VALU_DEP_1)
	v_clz_i32_u32_e32 v6, v6
	v_min_u32_e32 v9, 32, v6
	s_delay_alu instid0(VALU_DEP_1) | instskip(SKIP_1) | instid1(VALU_DEP_2)
	v_subrev_nc_u32_e32 v6, 28, v9
	v_sub_nc_u32_e32 v9, 29, v9
	v_lshlrev_b64 v[6:7], v6, v[2:3]
; %bb.3428:                             ;   in Loop: Header=BB432_1571 Depth=1
	s_or_b32 exec_lo, exec_lo, s15
	s_delay_alu instid0(VALU_DEP_1) | instskip(SKIP_2) | instid1(VALU_DEP_3)
	v_lshlrev_b32_e32 v6, 20, v6
	v_lshlrev_b32_e32 v7, 24, v2
	v_lshl_add_u32 v9, v9, 23, 0x3c000000
	v_and_b32_e32 v6, 0x700000, v6
	s_delay_alu instid0(VALU_DEP_3) | instskip(NEXT) | instid1(VALU_DEP_1)
	v_and_b32_e32 v7, 0x80000000, v7
	v_or3_b32 v6, v6, v7, v9
.LBB432_3429:                           ;   in Loop: Header=BB432_1571 Depth=1
	s_or_b32 exec_lo, exec_lo, s13
.LBB432_3430:                           ;   in Loop: Header=BB432_1571 Depth=1
	s_delay_alu instid0(SALU_CYCLE_1)
	s_or_b32 exec_lo, exec_lo, s12
.LBB432_3431:                           ;   in Loop: Header=BB432_1571 Depth=1
	s_delay_alu instid0(SALU_CYCLE_1) | instskip(NEXT) | instid1(VALU_DEP_1)
	s_or_b32 exec_lo, exec_lo, s11
	v_mul_f32_e32 v6, v26, v6
                                        ; implicit-def: $vgpr141
	s_delay_alu instid0(VALU_DEP_1) | instskip(NEXT) | instid1(VALU_DEP_1)
	v_and_b32_e32 v7, 0x7f800000, v6
	v_cmp_ne_u32_e64 s1, 0x7f800000, v7
	s_delay_alu instid0(VALU_DEP_1) | instskip(NEXT) | instid1(SALU_CYCLE_1)
	s_and_saveexec_b32 s11, s1
	s_xor_b32 s1, exec_lo, s11
; %bb.3432:                             ;   in Loop: Header=BB432_1571 Depth=1
	v_bfe_u32 v7, v6, 16, 1
	s_delay_alu instid0(VALU_DEP_1)
	v_add3_u32 v141, v6, v7, 0x7fff
                                        ; implicit-def: $vgpr6
; %bb.3433:                             ;   in Loop: Header=BB432_1571 Depth=1
	s_and_not1_saveexec_b32 s11, s1
; %bb.3434:                             ;   in Loop: Header=BB432_1571 Depth=1
	v_and_b32_e32 v7, 0xffff, v6
	v_or_b32_e32 v9, 0x10000, v6
	s_delay_alu instid0(VALU_DEP_2) | instskip(NEXT) | instid1(VALU_DEP_1)
	v_cmp_eq_u32_e64 s1, 0, v7
	v_cndmask_b32_e64 v141, v9, v6, s1
; %bb.3435:                             ;   in Loop: Header=BB432_1571 Depth=1
	s_or_b32 exec_lo, exec_lo, s11
	v_lshrrev_b16 v7, 8, v2
	v_mov_b32_e32 v6, 0
	s_mov_b32 s11, exec_lo
	s_delay_alu instid0(VALU_DEP_2)
	v_cmpx_ne_u16_e32 0, v7
	s_cbranch_execz .LBB432_3443
; %bb.3436:                             ;   in Loop: Header=BB432_1571 Depth=1
	v_bfrev_b32_e32 v6, 1
	s_mov_b32 s12, exec_lo
	v_cmpx_ne_u16_e32 0x80, v7
	s_cbranch_execz .LBB432_3442
; %bb.3437:                             ;   in Loop: Header=BB432_1571 Depth=1
	v_and_b32_e32 v9, 0xffff, v7
	v_mov_b32_e32 v6, 0x7f800001
	s_mov_b32 s13, exec_lo
	s_delay_alu instid0(VALU_DEP_2) | instskip(NEXT) | instid1(VALU_DEP_1)
	v_and_b32_e32 v7, 0x7f, v9
	v_cmpx_ne_u32_e32 0x7f, v7
	s_cbranch_execz .LBB432_3441
; %bb.3438:                             ;   in Loop: Header=BB432_1571 Depth=1
	v_and_b32_e32 v9, 7, v9
	v_lshrrev_b32_e32 v142, 3, v7
	v_cmp_gt_u32_e64 s1, 8, v7
	s_delay_alu instid0(VALU_DEP_3) | instskip(NEXT) | instid1(VALU_DEP_2)
	v_dual_mov_b32 v6, v9 :: v_dual_mov_b32 v7, v10
	s_and_saveexec_b32 s15, s1
; %bb.3439:                             ;   in Loop: Header=BB432_1571 Depth=1
	v_clz_i32_u32_e32 v6, v9
	s_delay_alu instid0(VALU_DEP_1) | instskip(NEXT) | instid1(VALU_DEP_1)
	v_min_u32_e32 v142, 32, v6
	v_subrev_nc_u32_e32 v6, 28, v142
	v_sub_nc_u32_e32 v142, 29, v142
	s_delay_alu instid0(VALU_DEP_2) | instskip(NEXT) | instid1(VALU_DEP_1)
	v_lshlrev_b64 v[6:7], v6, v[9:10]
	v_and_b32_e32 v6, 7, v6
; %bb.3440:                             ;   in Loop: Header=BB432_1571 Depth=1
	s_or_b32 exec_lo, exec_lo, s15
	v_lshlrev_b32_e32 v7, 16, v2
	s_delay_alu instid0(VALU_DEP_2) | instskip(SKIP_1) | instid1(VALU_DEP_3)
	v_lshlrev_b32_e32 v6, 20, v6
	v_lshl_add_u32 v9, v142, 23, 0x3c000000
	v_and_b32_e32 v7, 0x80000000, v7
	s_delay_alu instid0(VALU_DEP_1)
	v_or3_b32 v6, v6, v7, v9
.LBB432_3441:                           ;   in Loop: Header=BB432_1571 Depth=1
	s_or_b32 exec_lo, exec_lo, s13
.LBB432_3442:                           ;   in Loop: Header=BB432_1571 Depth=1
	s_delay_alu instid0(SALU_CYCLE_1)
	s_or_b32 exec_lo, exec_lo, s12
.LBB432_3443:                           ;   in Loop: Header=BB432_1571 Depth=1
	s_delay_alu instid0(SALU_CYCLE_1) | instskip(NEXT) | instid1(VALU_DEP_1)
	s_or_b32 exec_lo, exec_lo, s11
	v_mul_f32_e32 v6, v26, v6
                                        ; implicit-def: $vgpr142
	s_delay_alu instid0(VALU_DEP_1) | instskip(NEXT) | instid1(VALU_DEP_1)
	v_and_b32_e32 v7, 0x7f800000, v6
	v_cmp_ne_u32_e64 s1, 0x7f800000, v7
	s_delay_alu instid0(VALU_DEP_1) | instskip(NEXT) | instid1(SALU_CYCLE_1)
	s_and_saveexec_b32 s11, s1
	s_xor_b32 s1, exec_lo, s11
; %bb.3444:                             ;   in Loop: Header=BB432_1571 Depth=1
	v_bfe_u32 v7, v6, 16, 1
	s_delay_alu instid0(VALU_DEP_1)
	v_add3_u32 v142, v6, v7, 0x7fff
                                        ; implicit-def: $vgpr6
; %bb.3445:                             ;   in Loop: Header=BB432_1571 Depth=1
	s_and_not1_saveexec_b32 s11, s1
; %bb.3446:                             ;   in Loop: Header=BB432_1571 Depth=1
	v_and_b32_e32 v7, 0xffff, v6
	v_or_b32_e32 v9, 0x10000, v6
	s_delay_alu instid0(VALU_DEP_2) | instskip(NEXT) | instid1(VALU_DEP_1)
	v_cmp_eq_u32_e64 s1, 0, v7
	v_cndmask_b32_e64 v142, v9, v6, s1
; %bb.3447:                             ;   in Loop: Header=BB432_1571 Depth=1
	s_or_b32 exec_lo, exec_lo, s11
	v_lshrrev_b32_e32 v143, 16, v2
	s_mov_b32 s11, exec_lo
	s_delay_alu instid0(VALU_DEP_1) | instskip(NEXT) | instid1(VALU_DEP_1)
	v_dual_mov_b32 v6, 0 :: v_dual_and_b32 v7, 0xff, v143
	v_cmpx_ne_u16_e32 0, v7
	s_cbranch_execz .LBB432_3455
; %bb.3448:                             ;   in Loop: Header=BB432_1571 Depth=1
	v_bfrev_b32_e32 v6, 1
	s_mov_b32 s12, exec_lo
	v_cmpx_ne_u16_e32 0x80, v7
	s_cbranch_execz .LBB432_3454
; %bb.3449:                             ;   in Loop: Header=BB432_1571 Depth=1
	v_bfe_u32 v7, v2, 16, 7
	v_mov_b32_e32 v6, 0x7f800001
	s_mov_b32 s13, exec_lo
	s_delay_alu instid0(VALU_DEP_2)
	v_cmpx_ne_u32_e32 0x7f, v7
	s_cbranch_execz .LBB432_3453
; %bb.3450:                             ;   in Loop: Header=BB432_1571 Depth=1
	v_and_b32_e32 v9, 7, v143
	v_lshrrev_b32_e32 v152, 3, v7
	v_cmp_gt_u32_e64 s1, 8, v7
	s_delay_alu instid0(VALU_DEP_3) | instskip(NEXT) | instid1(VALU_DEP_2)
	v_dual_mov_b32 v6, v9 :: v_dual_mov_b32 v7, v10
	s_and_saveexec_b32 s15, s1
; %bb.3451:                             ;   in Loop: Header=BB432_1571 Depth=1
	v_clz_i32_u32_e32 v6, v9
	s_delay_alu instid0(VALU_DEP_1) | instskip(NEXT) | instid1(VALU_DEP_1)
	v_min_u32_e32 v152, 32, v6
	v_subrev_nc_u32_e32 v6, 28, v152
	v_sub_nc_u32_e32 v152, 29, v152
	s_delay_alu instid0(VALU_DEP_2) | instskip(NEXT) | instid1(VALU_DEP_1)
	v_lshlrev_b64 v[6:7], v6, v[9:10]
	v_and_b32_e32 v6, 7, v6
; %bb.3452:                             ;   in Loop: Header=BB432_1571 Depth=1
	s_or_b32 exec_lo, exec_lo, s15
	v_lshlrev_b32_e32 v7, 24, v143
	s_delay_alu instid0(VALU_DEP_2) | instskip(SKIP_1) | instid1(VALU_DEP_3)
	v_lshlrev_b32_e32 v6, 20, v6
	v_lshl_add_u32 v9, v152, 23, 0x3c000000
	v_and_b32_e32 v7, 0x80000000, v7
	s_delay_alu instid0(VALU_DEP_1)
	v_or3_b32 v6, v6, v7, v9
.LBB432_3453:                           ;   in Loop: Header=BB432_1571 Depth=1
	s_or_b32 exec_lo, exec_lo, s13
.LBB432_3454:                           ;   in Loop: Header=BB432_1571 Depth=1
	s_delay_alu instid0(SALU_CYCLE_1)
	s_or_b32 exec_lo, exec_lo, s12
.LBB432_3455:                           ;   in Loop: Header=BB432_1571 Depth=1
	s_delay_alu instid0(SALU_CYCLE_1) | instskip(NEXT) | instid1(VALU_DEP_1)
	s_or_b32 exec_lo, exec_lo, s11
	v_mul_f32_e32 v6, v26, v6
                                        ; implicit-def: $vgpr143
	s_delay_alu instid0(VALU_DEP_1) | instskip(NEXT) | instid1(VALU_DEP_1)
	v_and_b32_e32 v7, 0x7f800000, v6
	v_cmp_ne_u32_e64 s1, 0x7f800000, v7
	s_delay_alu instid0(VALU_DEP_1) | instskip(NEXT) | instid1(SALU_CYCLE_1)
	s_and_saveexec_b32 s11, s1
	s_xor_b32 s1, exec_lo, s11
; %bb.3456:                             ;   in Loop: Header=BB432_1571 Depth=1
	v_bfe_u32 v7, v6, 16, 1
	s_delay_alu instid0(VALU_DEP_1)
	v_add3_u32 v143, v6, v7, 0x7fff
                                        ; implicit-def: $vgpr6
; %bb.3457:                             ;   in Loop: Header=BB432_1571 Depth=1
	s_and_not1_saveexec_b32 s11, s1
; %bb.3458:                             ;   in Loop: Header=BB432_1571 Depth=1
	v_and_b32_e32 v7, 0xffff, v6
	v_or_b32_e32 v9, 0x10000, v6
	s_delay_alu instid0(VALU_DEP_2) | instskip(NEXT) | instid1(VALU_DEP_1)
	v_cmp_eq_u32_e64 s1, 0, v7
	v_cndmask_b32_e64 v143, v9, v6, s1
; %bb.3459:                             ;   in Loop: Header=BB432_1571 Depth=1
	s_or_b32 exec_lo, exec_lo, s11
	v_mov_b32_e32 v6, 0
	s_mov_b32 s11, exec_lo
	v_cmpx_lt_u32_e32 0xffffff, v2
	s_cbranch_execz .LBB432_3467
; %bb.3460:                             ;   in Loop: Header=BB432_1571 Depth=1
	v_lshrrev_b32_e32 v152, 24, v2
	v_bfrev_b32_e32 v6, 1
	s_mov_b32 s12, exec_lo
	s_delay_alu instid0(VALU_DEP_2)
	v_cmpx_ne_u32_e32 0x80, v152
	s_cbranch_execz .LBB432_3466
; %bb.3461:                             ;   in Loop: Header=BB432_1571 Depth=1
	v_bfe_u32 v7, v2, 24, 7
	v_mov_b32_e32 v6, 0x7f800001
	s_mov_b32 s13, exec_lo
	s_delay_alu instid0(VALU_DEP_2)
	v_cmpx_ne_u32_e32 0x7f, v7
	s_cbranch_execz .LBB432_3465
; %bb.3462:                             ;   in Loop: Header=BB432_1571 Depth=1
	v_and_b32_e32 v9, 7, v152
	v_lshrrev_b32_e32 v153, 3, v7
	v_cmp_gt_u32_e64 s1, 8, v7
	s_delay_alu instid0(VALU_DEP_3) | instskip(NEXT) | instid1(VALU_DEP_2)
	v_dual_mov_b32 v6, v9 :: v_dual_mov_b32 v7, v10
	s_and_saveexec_b32 s15, s1
; %bb.3463:                             ;   in Loop: Header=BB432_1571 Depth=1
	v_clz_i32_u32_e32 v6, v9
	s_delay_alu instid0(VALU_DEP_1) | instskip(NEXT) | instid1(VALU_DEP_1)
	v_min_u32_e32 v153, 32, v6
	v_subrev_nc_u32_e32 v6, 28, v153
	v_sub_nc_u32_e32 v153, 29, v153
	s_delay_alu instid0(VALU_DEP_2) | instskip(NEXT) | instid1(VALU_DEP_1)
	v_lshlrev_b64 v[6:7], v6, v[9:10]
	v_and_b32_e32 v6, 7, v6
; %bb.3464:                             ;   in Loop: Header=BB432_1571 Depth=1
	s_or_b32 exec_lo, exec_lo, s15
	v_lshlrev_b32_e32 v7, 24, v152
	s_delay_alu instid0(VALU_DEP_2) | instskip(SKIP_1) | instid1(VALU_DEP_3)
	v_lshlrev_b32_e32 v6, 20, v6
	v_lshl_add_u32 v9, v153, 23, 0x3c000000
	v_and_b32_e32 v7, 0x80000000, v7
	s_delay_alu instid0(VALU_DEP_1)
	v_or3_b32 v6, v6, v7, v9
.LBB432_3465:                           ;   in Loop: Header=BB432_1571 Depth=1
	s_or_b32 exec_lo, exec_lo, s13
.LBB432_3466:                           ;   in Loop: Header=BB432_1571 Depth=1
	s_delay_alu instid0(SALU_CYCLE_1)
	s_or_b32 exec_lo, exec_lo, s12
.LBB432_3467:                           ;   in Loop: Header=BB432_1571 Depth=1
	s_delay_alu instid0(SALU_CYCLE_1) | instskip(NEXT) | instid1(VALU_DEP_1)
	s_or_b32 exec_lo, exec_lo, s11
	v_mul_f32_e32 v6, v26, v6
                                        ; implicit-def: $vgpr152
	s_delay_alu instid0(VALU_DEP_1) | instskip(NEXT) | instid1(VALU_DEP_1)
	v_and_b32_e32 v7, 0x7f800000, v6
	v_cmp_ne_u32_e64 s1, 0x7f800000, v7
	s_delay_alu instid0(VALU_DEP_1) | instskip(NEXT) | instid1(SALU_CYCLE_1)
	s_and_saveexec_b32 s11, s1
	s_xor_b32 s1, exec_lo, s11
; %bb.3468:                             ;   in Loop: Header=BB432_1571 Depth=1
	v_bfe_u32 v7, v6, 16, 1
	s_delay_alu instid0(VALU_DEP_1)
	v_add3_u32 v152, v6, v7, 0x7fff
                                        ; implicit-def: $vgpr6
; %bb.3469:                             ;   in Loop: Header=BB432_1571 Depth=1
	s_and_not1_saveexec_b32 s11, s1
; %bb.3470:                             ;   in Loop: Header=BB432_1571 Depth=1
	v_and_b32_e32 v7, 0xffff, v6
	v_or_b32_e32 v9, 0x10000, v6
	s_delay_alu instid0(VALU_DEP_2) | instskip(NEXT) | instid1(VALU_DEP_1)
	v_cmp_eq_u32_e64 s1, 0, v7
	v_cndmask_b32_e64 v152, v9, v6, s1
; %bb.3471:                             ;   in Loop: Header=BB432_1571 Depth=1
	s_or_b32 exec_lo, exec_lo, s11
	v_dual_mov_b32 v6, 0 :: v_dual_and_b32 v7, 0xff, v3
	v_mov_b32_e32 v9, v3
	s_mov_b32 s11, exec_lo
	s_delay_alu instid0(VALU_DEP_2)
	v_cmpx_ne_u16_e32 0, v7
	s_cbranch_execz .LBB432_3479
; %bb.3472:                             ;   in Loop: Header=BB432_1571 Depth=1
	v_bfrev_b32_e32 v6, 1
	s_mov_b32 s12, exec_lo
	v_cmpx_ne_u16_e32 0x80, v7
	s_cbranch_execz .LBB432_3478
; %bb.3473:                             ;   in Loop: Header=BB432_1571 Depth=1
	v_and_b32_e32 v7, 0x7f, v3
	v_mov_b32_e32 v6, 0x7f800001
	s_mov_b32 s13, exec_lo
	s_delay_alu instid0(VALU_DEP_2)
	v_cmpx_ne_u32_e32 0x7f, v7
	s_cbranch_execz .LBB432_3477
; %bb.3474:                             ;   in Loop: Header=BB432_1571 Depth=1
	v_lshrrev_b32_e32 v153, 3, v7
	v_cmp_gt_u32_e64 s1, 8, v7
	v_dual_mov_b32 v6, v9 :: v_dual_mov_b32 v7, v10
	s_delay_alu instid0(VALU_DEP_2)
	s_and_saveexec_b32 s15, s1
; %bb.3475:                             ;   in Loop: Header=BB432_1571 Depth=1
	v_and_b32_e32 v6, 7, v3
	s_delay_alu instid0(VALU_DEP_1) | instskip(NEXT) | instid1(VALU_DEP_1)
	v_clz_i32_u32_e32 v6, v6
	v_min_u32_e32 v153, 32, v6
	s_delay_alu instid0(VALU_DEP_1) | instskip(SKIP_1) | instid1(VALU_DEP_2)
	v_subrev_nc_u32_e32 v6, 28, v153
	v_sub_nc_u32_e32 v153, 29, v153
	v_lshlrev_b64 v[6:7], v6, v[9:10]
; %bb.3476:                             ;   in Loop: Header=BB432_1571 Depth=1
	s_or_b32 exec_lo, exec_lo, s15
	s_delay_alu instid0(VALU_DEP_1) | instskip(SKIP_2) | instid1(VALU_DEP_3)
	v_lshlrev_b32_e32 v6, 20, v6
	v_lshlrev_b32_e32 v7, 24, v9
	v_lshl_add_u32 v153, v153, 23, 0x3c000000
	v_and_b32_e32 v6, 0x700000, v6
	s_delay_alu instid0(VALU_DEP_3) | instskip(NEXT) | instid1(VALU_DEP_1)
	v_and_b32_e32 v7, 0x80000000, v7
	v_or3_b32 v6, v6, v7, v153
.LBB432_3477:                           ;   in Loop: Header=BB432_1571 Depth=1
	s_or_b32 exec_lo, exec_lo, s13
.LBB432_3478:                           ;   in Loop: Header=BB432_1571 Depth=1
	s_delay_alu instid0(SALU_CYCLE_1)
	s_or_b32 exec_lo, exec_lo, s12
.LBB432_3479:                           ;   in Loop: Header=BB432_1571 Depth=1
	s_delay_alu instid0(SALU_CYCLE_1) | instskip(NEXT) | instid1(VALU_DEP_1)
	s_or_b32 exec_lo, exec_lo, s11
	v_mul_f32_e32 v6, v26, v6
                                        ; implicit-def: $vgpr153
	s_delay_alu instid0(VALU_DEP_1) | instskip(NEXT) | instid1(VALU_DEP_1)
	v_and_b32_e32 v7, 0x7f800000, v6
	v_cmp_ne_u32_e64 s1, 0x7f800000, v7
	s_delay_alu instid0(VALU_DEP_1) | instskip(NEXT) | instid1(SALU_CYCLE_1)
	s_and_saveexec_b32 s11, s1
	s_xor_b32 s1, exec_lo, s11
; %bb.3480:                             ;   in Loop: Header=BB432_1571 Depth=1
	v_bfe_u32 v7, v6, 16, 1
	s_delay_alu instid0(VALU_DEP_1)
	v_add3_u32 v153, v6, v7, 0x7fff
                                        ; implicit-def: $vgpr6
; %bb.3481:                             ;   in Loop: Header=BB432_1571 Depth=1
	s_and_not1_saveexec_b32 s11, s1
; %bb.3482:                             ;   in Loop: Header=BB432_1571 Depth=1
	v_and_b32_e32 v7, 0xffff, v6
	v_or_b32_e32 v153, 0x10000, v6
	s_delay_alu instid0(VALU_DEP_2) | instskip(NEXT) | instid1(VALU_DEP_1)
	v_cmp_eq_u32_e64 s1, 0, v7
	v_cndmask_b32_e64 v153, v153, v6, s1
; %bb.3483:                             ;   in Loop: Header=BB432_1571 Depth=1
	s_or_b32 exec_lo, exec_lo, s11
	v_lshrrev_b16 v7, 8, v9
	v_mov_b32_e32 v6, 0
	s_mov_b32 s11, exec_lo
	s_delay_alu instid0(VALU_DEP_2)
	v_cmpx_ne_u16_e32 0, v7
	s_cbranch_execz .LBB432_3491
; %bb.3484:                             ;   in Loop: Header=BB432_1571 Depth=1
	v_bfrev_b32_e32 v6, 1
	s_mov_b32 s12, exec_lo
	v_cmpx_ne_u16_e32 0x80, v7
	s_cbranch_execz .LBB432_3490
; %bb.3485:                             ;   in Loop: Header=BB432_1571 Depth=1
	v_and_b32_e32 v7, 0xffff, v7
	v_mov_b32_e32 v6, 0x7f800001
	s_mov_b32 s13, exec_lo
	s_delay_alu instid0(VALU_DEP_2) | instskip(NEXT) | instid1(VALU_DEP_1)
	v_and_b32_e32 v155, 0x7f, v7
	v_cmpx_ne_u32_e32 0x7f, v155
	s_cbranch_execz .LBB432_3489
; %bb.3486:                             ;   in Loop: Header=BB432_1571 Depth=1
	v_dual_mov_b32 v7, v10 :: v_dual_and_b32 v6, 7, v7
	v_lshrrev_b32_e32 v154, 3, v155
	s_mov_b32 s15, exec_lo
	v_cmpx_gt_u32_e32 8, v155
; %bb.3487:                             ;   in Loop: Header=BB432_1571 Depth=1
	s_delay_alu instid0(VALU_DEP_3) | instskip(NEXT) | instid1(VALU_DEP_1)
	v_clz_i32_u32_e32 v154, v6
	v_min_u32_e32 v154, 32, v154
	s_delay_alu instid0(VALU_DEP_1) | instskip(SKIP_1) | instid1(VALU_DEP_2)
	v_subrev_nc_u32_e32 v155, 28, v154
	v_sub_nc_u32_e32 v154, 29, v154
	v_lshlrev_b64 v[6:7], v155, v[6:7]
	s_delay_alu instid0(VALU_DEP_1)
	v_and_b32_e32 v6, 7, v6
; %bb.3488:                             ;   in Loop: Header=BB432_1571 Depth=1
	s_or_b32 exec_lo, exec_lo, s15
	v_lshlrev_b32_e32 v7, 16, v9
	s_delay_alu instid0(VALU_DEP_2) | instskip(SKIP_1) | instid1(VALU_DEP_3)
	v_lshlrev_b32_e32 v6, 20, v6
	v_lshl_add_u32 v9, v154, 23, 0x3c000000
	v_and_b32_e32 v7, 0x80000000, v7
	s_delay_alu instid0(VALU_DEP_1)
	v_or3_b32 v6, v6, v7, v9
.LBB432_3489:                           ;   in Loop: Header=BB432_1571 Depth=1
	s_or_b32 exec_lo, exec_lo, s13
.LBB432_3490:                           ;   in Loop: Header=BB432_1571 Depth=1
	s_delay_alu instid0(SALU_CYCLE_1)
	s_or_b32 exec_lo, exec_lo, s12
.LBB432_3491:                           ;   in Loop: Header=BB432_1571 Depth=1
	s_delay_alu instid0(SALU_CYCLE_1) | instskip(NEXT) | instid1(VALU_DEP_1)
	s_or_b32 exec_lo, exec_lo, s11
	v_mul_f32_e32 v6, v26, v6
                                        ; implicit-def: $vgpr154
	s_delay_alu instid0(VALU_DEP_1) | instskip(NEXT) | instid1(VALU_DEP_1)
	v_and_b32_e32 v7, 0x7f800000, v6
	v_cmp_ne_u32_e64 s1, 0x7f800000, v7
	s_delay_alu instid0(VALU_DEP_1) | instskip(NEXT) | instid1(SALU_CYCLE_1)
	s_and_saveexec_b32 s11, s1
	s_xor_b32 s1, exec_lo, s11
; %bb.3492:                             ;   in Loop: Header=BB432_1571 Depth=1
	v_bfe_u32 v7, v6, 16, 1
	s_delay_alu instid0(VALU_DEP_1)
	v_add3_u32 v154, v6, v7, 0x7fff
                                        ; implicit-def: $vgpr6
; %bb.3493:                             ;   in Loop: Header=BB432_1571 Depth=1
	s_and_not1_saveexec_b32 s11, s1
; %bb.3494:                             ;   in Loop: Header=BB432_1571 Depth=1
	v_and_b32_e32 v7, 0xffff, v6
	v_or_b32_e32 v9, 0x10000, v6
	s_delay_alu instid0(VALU_DEP_2) | instskip(NEXT) | instid1(VALU_DEP_1)
	v_cmp_eq_u32_e64 s1, 0, v7
	v_cndmask_b32_e64 v154, v9, v6, s1
; %bb.3495:                             ;   in Loop: Header=BB432_1571 Depth=1
	s_or_b32 exec_lo, exec_lo, s11
	v_lshrrev_b32_e32 v155, 16, v3
	s_mov_b32 s11, exec_lo
	s_delay_alu instid0(VALU_DEP_1) | instskip(NEXT) | instid1(VALU_DEP_1)
	v_dual_mov_b32 v6, 0 :: v_dual_and_b32 v7, 0xff, v155
	v_cmpx_ne_u16_e32 0, v7
	s_cbranch_execz .LBB432_3503
; %bb.3496:                             ;   in Loop: Header=BB432_1571 Depth=1
	v_bfrev_b32_e32 v6, 1
	s_mov_b32 s12, exec_lo
	v_cmpx_ne_u16_e32 0x80, v7
	s_cbranch_execz .LBB432_3502
; %bb.3497:                             ;   in Loop: Header=BB432_1571 Depth=1
	v_bfe_u32 v7, v3, 16, 7
	v_mov_b32_e32 v6, 0x7f800001
	s_mov_b32 s13, exec_lo
	s_delay_alu instid0(VALU_DEP_2)
	v_cmpx_ne_u32_e32 0x7f, v7
	s_cbranch_execz .LBB432_3501
; %bb.3498:                             ;   in Loop: Header=BB432_1571 Depth=1
	v_and_b32_e32 v9, 7, v155
	v_lshrrev_b32_e32 v156, 3, v7
	v_cmp_gt_u32_e64 s1, 8, v7
	s_delay_alu instid0(VALU_DEP_3) | instskip(NEXT) | instid1(VALU_DEP_2)
	v_dual_mov_b32 v6, v9 :: v_dual_mov_b32 v7, v10
	s_and_saveexec_b32 s15, s1
; %bb.3499:                             ;   in Loop: Header=BB432_1571 Depth=1
	v_clz_i32_u32_e32 v6, v9
	s_delay_alu instid0(VALU_DEP_1) | instskip(NEXT) | instid1(VALU_DEP_1)
	v_min_u32_e32 v156, 32, v6
	v_subrev_nc_u32_e32 v6, 28, v156
	v_sub_nc_u32_e32 v156, 29, v156
	s_delay_alu instid0(VALU_DEP_2) | instskip(NEXT) | instid1(VALU_DEP_1)
	v_lshlrev_b64 v[6:7], v6, v[9:10]
	v_and_b32_e32 v6, 7, v6
; %bb.3500:                             ;   in Loop: Header=BB432_1571 Depth=1
	s_or_b32 exec_lo, exec_lo, s15
	v_lshlrev_b32_e32 v7, 24, v155
	s_delay_alu instid0(VALU_DEP_2) | instskip(SKIP_1) | instid1(VALU_DEP_3)
	v_lshlrev_b32_e32 v6, 20, v6
	v_lshl_add_u32 v9, v156, 23, 0x3c000000
	v_and_b32_e32 v7, 0x80000000, v7
	s_delay_alu instid0(VALU_DEP_1)
	v_or3_b32 v6, v6, v7, v9
.LBB432_3501:                           ;   in Loop: Header=BB432_1571 Depth=1
	s_or_b32 exec_lo, exec_lo, s13
.LBB432_3502:                           ;   in Loop: Header=BB432_1571 Depth=1
	s_delay_alu instid0(SALU_CYCLE_1)
	s_or_b32 exec_lo, exec_lo, s12
.LBB432_3503:                           ;   in Loop: Header=BB432_1571 Depth=1
	s_delay_alu instid0(SALU_CYCLE_1) | instskip(NEXT) | instid1(VALU_DEP_1)
	s_or_b32 exec_lo, exec_lo, s11
	v_mul_f32_e32 v7, v26, v6
	s_delay_alu instid0(VALU_DEP_1) | instskip(NEXT) | instid1(VALU_DEP_1)
	v_and_b32_e32 v6, 0x7f800000, v7
	v_cmp_ne_u32_e64 s1, 0x7f800000, v6
                                        ; implicit-def: $vgpr6
	s_delay_alu instid0(VALU_DEP_1) | instskip(NEXT) | instid1(SALU_CYCLE_1)
	s_and_saveexec_b32 s11, s1
	s_xor_b32 s1, exec_lo, s11
; %bb.3504:                             ;   in Loop: Header=BB432_1571 Depth=1
	v_bfe_u32 v6, v7, 16, 1
	s_delay_alu instid0(VALU_DEP_1)
	v_add3_u32 v6, v7, v6, 0x7fff
                                        ; implicit-def: $vgpr7
; %bb.3505:                             ;   in Loop: Header=BB432_1571 Depth=1
	s_and_not1_saveexec_b32 s11, s1
; %bb.3506:                             ;   in Loop: Header=BB432_1571 Depth=1
	v_and_b32_e32 v6, 0xffff, v7
	v_or_b32_e32 v9, 0x10000, v7
	s_delay_alu instid0(VALU_DEP_2) | instskip(NEXT) | instid1(VALU_DEP_1)
	v_cmp_eq_u32_e64 s1, 0, v6
	v_cndmask_b32_e64 v6, v9, v7, s1
; %bb.3507:                             ;   in Loop: Header=BB432_1571 Depth=1
	s_or_b32 exec_lo, exec_lo, s11
	v_cmp_lt_u64_e64 s1, s[2:3], v[2:3]
	v_mov_b32_e32 v2, 0
	s_delay_alu instid0(VALU_DEP_2)
	s_and_saveexec_b32 s11, s1
	s_cbranch_execz .LBB432_3515
; %bb.3508:                             ;   in Loop: Header=BB432_1571 Depth=1
	v_lshrrev_b32_e32 v7, 24, v3
	v_bfrev_b32_e32 v2, 1
	s_mov_b32 s12, exec_lo
	s_delay_alu instid0(VALU_DEP_2)
	v_cmpx_ne_u32_e32 0x80, v7
	s_cbranch_execz .LBB432_3514
; %bb.3509:                             ;   in Loop: Header=BB432_1571 Depth=1
	v_bfe_u32 v3, v3, 24, 7
	v_mov_b32_e32 v2, 0x7f800001
	s_mov_b32 s13, exec_lo
	s_delay_alu instid0(VALU_DEP_2)
	v_cmpx_ne_u32_e32 0x7f, v3
	s_cbranch_execz .LBB432_3513
; %bb.3510:                             ;   in Loop: Header=BB432_1571 Depth=1
	v_and_b32_e32 v9, 7, v7
	v_lshrrev_b32_e32 v155, 3, v3
	v_cmp_gt_u32_e64 s1, 8, v3
	s_delay_alu instid0(VALU_DEP_3) | instskip(NEXT) | instid1(VALU_DEP_2)
	v_dual_mov_b32 v2, v9 :: v_dual_mov_b32 v3, v10
	s_and_saveexec_b32 s15, s1
; %bb.3511:                             ;   in Loop: Header=BB432_1571 Depth=1
	v_clz_i32_u32_e32 v2, v9
	s_delay_alu instid0(VALU_DEP_1) | instskip(NEXT) | instid1(VALU_DEP_1)
	v_min_u32_e32 v155, 32, v2
	v_subrev_nc_u32_e32 v2, 28, v155
	v_sub_nc_u32_e32 v155, 29, v155
	s_delay_alu instid0(VALU_DEP_2) | instskip(NEXT) | instid1(VALU_DEP_1)
	v_lshlrev_b64 v[2:3], v2, v[9:10]
	v_and_b32_e32 v2, 7, v2
; %bb.3512:                             ;   in Loop: Header=BB432_1571 Depth=1
	s_or_b32 exec_lo, exec_lo, s15
	v_lshlrev_b32_e32 v3, 24, v7
	s_delay_alu instid0(VALU_DEP_2) | instskip(SKIP_1) | instid1(VALU_DEP_3)
	v_lshlrev_b32_e32 v2, 20, v2
	v_lshl_add_u32 v7, v155, 23, 0x3c000000
	v_and_b32_e32 v3, 0x80000000, v3
	s_delay_alu instid0(VALU_DEP_1)
	v_or3_b32 v2, v2, v3, v7
.LBB432_3513:                           ;   in Loop: Header=BB432_1571 Depth=1
	s_or_b32 exec_lo, exec_lo, s13
.LBB432_3514:                           ;   in Loop: Header=BB432_1571 Depth=1
	s_delay_alu instid0(SALU_CYCLE_1)
	s_or_b32 exec_lo, exec_lo, s12
.LBB432_3515:                           ;   in Loop: Header=BB432_1571 Depth=1
	s_delay_alu instid0(SALU_CYCLE_1) | instskip(NEXT) | instid1(VALU_DEP_1)
	s_or_b32 exec_lo, exec_lo, s11
	v_mul_f32_e32 v3, v26, v2
	s_delay_alu instid0(VALU_DEP_1) | instskip(NEXT) | instid1(VALU_DEP_1)
	v_and_b32_e32 v2, 0x7f800000, v3
	v_cmp_ne_u32_e64 s1, 0x7f800000, v2
                                        ; implicit-def: $vgpr2
	s_delay_alu instid0(VALU_DEP_1) | instskip(NEXT) | instid1(SALU_CYCLE_1)
	s_and_saveexec_b32 s11, s1
	s_xor_b32 s1, exec_lo, s11
; %bb.3516:                             ;   in Loop: Header=BB432_1571 Depth=1
	v_bfe_u32 v2, v3, 16, 1
	s_delay_alu instid0(VALU_DEP_1)
	v_add3_u32 v2, v3, v2, 0x7fff
                                        ; implicit-def: $vgpr3
; %bb.3517:                             ;   in Loop: Header=BB432_1571 Depth=1
	s_and_not1_saveexec_b32 s11, s1
; %bb.3518:                             ;   in Loop: Header=BB432_1571 Depth=1
	v_and_b32_e32 v2, 0xffff, v3
	v_or_b32_e32 v7, 0x10000, v3
	s_delay_alu instid0(VALU_DEP_2) | instskip(NEXT) | instid1(VALU_DEP_1)
	v_cmp_eq_u32_e64 s1, 0, v2
	v_cndmask_b32_e64 v2, v7, v3, s1
; %bb.3519:                             ;   in Loop: Header=BB432_1571 Depth=1
	s_or_b32 exec_lo, exec_lo, s11
	v_lshrrev_b32_e32 v9, 16, v154
	v_lshrrev_b32_e32 v153, 16, v153
	;; [unrolled: 1-line block ×8, first 2 shown]
	s_and_saveexec_b32 s11, vcc_lo
	s_cbranch_execz .LBB432_3521
; %bb.3520:                             ;   in Loop: Header=BB432_1571 Depth=1
	v_cmp_lt_i32_e64 s1, v68, v35
	s_delay_alu instid0(VALU_DEP_1) | instskip(SKIP_1) | instid1(VALU_DEP_1)
	v_cndmask_b32_e64 v141, 0, v141, s1
	v_cmp_lt_i32_e64 s1, v82, v35
	v_cndmask_b32_e64 v7, 0, v7, s1
	v_cmp_lt_i32_e64 s1, v81, v35
	s_delay_alu instid0(VALU_DEP_1) | instskip(SKIP_1) | instid1(VALU_DEP_1)
	v_cndmask_b32_e64 v143, 0, v143, s1
	v_cmp_lt_i32_e64 s1, v80, v35
	v_cndmask_b32_e64 v152, 0, v152, s1
	;; [unrolled: 5-line block ×4, first 2 shown]
.LBB432_3521:                           ;   in Loop: Header=BB432_1571 Depth=1
	s_or_b32 exec_lo, exec_lo, s11
	v_lshlrev_b32_e32 v6, 16, v141
	s_delay_alu instid0(VALU_DEP_1) | instskip(NEXT) | instid1(VALU_DEP_1)
	v_mul_f32_e32 v141, v83, v6
	v_and_b32_e32 v6, 0x7f800000, v141
	s_delay_alu instid0(VALU_DEP_1) | instskip(NEXT) | instid1(VALU_DEP_1)
	v_cmp_ne_u32_e64 s1, 0x7f800000, v6
                                        ; implicit-def: $vgpr6
	s_and_saveexec_b32 s11, s1
	s_delay_alu instid0(SALU_CYCLE_1)
	s_xor_b32 s1, exec_lo, s11
; %bb.3522:                             ;   in Loop: Header=BB432_1571 Depth=1
	v_bfe_u32 v6, v141, 16, 1
	s_delay_alu instid0(VALU_DEP_1)
	v_add3_u32 v6, v141, v6, 0x7fff
                                        ; implicit-def: $vgpr141
; %bb.3523:                             ;   in Loop: Header=BB432_1571 Depth=1
	s_and_not1_saveexec_b32 s11, s1
; %bb.3524:                             ;   in Loop: Header=BB432_1571 Depth=1
	v_and_b32_e32 v6, 0xffff, v141
	v_or_b32_e32 v142, 0x10000, v141
	s_delay_alu instid0(VALU_DEP_2) | instskip(NEXT) | instid1(VALU_DEP_1)
	v_cmp_eq_u32_e64 s1, 0, v6
	v_cndmask_b32_e64 v6, v142, v141, s1
; %bb.3525:                             ;   in Loop: Header=BB432_1571 Depth=1
	s_or_b32 exec_lo, exec_lo, s11
	v_lshlrev_b32_e32 v7, 16, v7
	s_delay_alu instid0(VALU_DEP_1) | instskip(NEXT) | instid1(VALU_DEP_1)
	v_mul_f32_e32 v141, v84, v7
	v_and_b32_e32 v7, 0x7f800000, v141
	s_delay_alu instid0(VALU_DEP_1) | instskip(NEXT) | instid1(VALU_DEP_1)
	v_cmp_ne_u32_e64 s1, 0x7f800000, v7
                                        ; implicit-def: $vgpr7
	s_and_saveexec_b32 s11, s1
	s_delay_alu instid0(SALU_CYCLE_1)
	s_xor_b32 s1, exec_lo, s11
; %bb.3526:                             ;   in Loop: Header=BB432_1571 Depth=1
	v_bfe_u32 v7, v141, 16, 1
	s_delay_alu instid0(VALU_DEP_1)
	v_add3_u32 v7, v141, v7, 0x7fff
                                        ; implicit-def: $vgpr141
; %bb.3527:                             ;   in Loop: Header=BB432_1571 Depth=1
	s_and_not1_saveexec_b32 s11, s1
; %bb.3528:                             ;   in Loop: Header=BB432_1571 Depth=1
	v_and_b32_e32 v7, 0xffff, v141
	v_or_b32_e32 v142, 0x10000, v141
	s_delay_alu instid0(VALU_DEP_2) | instskip(NEXT) | instid1(VALU_DEP_1)
	v_cmp_eq_u32_e64 s1, 0, v7
	v_cndmask_b32_e64 v7, v142, v141, s1
; %bb.3529:                             ;   in Loop: Header=BB432_1571 Depth=1
	s_or_b32 exec_lo, exec_lo, s11
	v_lshlrev_b32_e32 v141, 16, v143
	s_delay_alu instid0(VALU_DEP_1) | instskip(NEXT) | instid1(VALU_DEP_1)
	v_mul_f32_e32 v142, v85, v141
	v_and_b32_e32 v141, 0x7f800000, v142
	s_delay_alu instid0(VALU_DEP_1) | instskip(NEXT) | instid1(VALU_DEP_1)
	v_cmp_ne_u32_e64 s1, 0x7f800000, v141
                                        ; implicit-def: $vgpr141
	s_and_saveexec_b32 s11, s1
	s_delay_alu instid0(SALU_CYCLE_1)
	s_xor_b32 s1, exec_lo, s11
; %bb.3530:                             ;   in Loop: Header=BB432_1571 Depth=1
	v_bfe_u32 v141, v142, 16, 1
	s_delay_alu instid0(VALU_DEP_1)
	v_add3_u32 v141, v142, v141, 0x7fff
                                        ; implicit-def: $vgpr142
; %bb.3531:                             ;   in Loop: Header=BB432_1571 Depth=1
	s_and_not1_saveexec_b32 s11, s1
; %bb.3532:                             ;   in Loop: Header=BB432_1571 Depth=1
	v_and_b32_e32 v141, 0xffff, v142
	v_or_b32_e32 v143, 0x10000, v142
	s_delay_alu instid0(VALU_DEP_2) | instskip(NEXT) | instid1(VALU_DEP_1)
	v_cmp_eq_u32_e64 s1, 0, v141
	v_cndmask_b32_e64 v141, v143, v142, s1
; %bb.3533:                             ;   in Loop: Header=BB432_1571 Depth=1
	s_or_b32 exec_lo, exec_lo, s11
	v_lshlrev_b32_e32 v142, 16, v152
	s_delay_alu instid0(VALU_DEP_1) | instskip(NEXT) | instid1(VALU_DEP_1)
	v_mul_f32_e32 v143, v86, v142
	v_and_b32_e32 v142, 0x7f800000, v143
	s_delay_alu instid0(VALU_DEP_1) | instskip(NEXT) | instid1(VALU_DEP_1)
	v_cmp_ne_u32_e64 s1, 0x7f800000, v142
                                        ; implicit-def: $vgpr142
	s_and_saveexec_b32 s11, s1
	s_delay_alu instid0(SALU_CYCLE_1)
	s_xor_b32 s1, exec_lo, s11
; %bb.3534:                             ;   in Loop: Header=BB432_1571 Depth=1
	v_bfe_u32 v142, v143, 16, 1
	s_delay_alu instid0(VALU_DEP_1)
	v_add3_u32 v142, v143, v142, 0x7fff
                                        ; implicit-def: $vgpr143
; %bb.3535:                             ;   in Loop: Header=BB432_1571 Depth=1
	s_and_not1_saveexec_b32 s11, s1
; %bb.3536:                             ;   in Loop: Header=BB432_1571 Depth=1
	v_and_b32_e32 v142, 0xffff, v143
	v_or_b32_e32 v152, 0x10000, v143
	s_delay_alu instid0(VALU_DEP_2) | instskip(NEXT) | instid1(VALU_DEP_1)
	v_cmp_eq_u32_e64 s1, 0, v142
	v_cndmask_b32_e64 v142, v152, v143, s1
; %bb.3537:                             ;   in Loop: Header=BB432_1571 Depth=1
	s_or_b32 exec_lo, exec_lo, s11
	v_lshlrev_b32_e32 v143, 16, v153
	s_delay_alu instid0(VALU_DEP_1) | instskip(NEXT) | instid1(VALU_DEP_1)
	v_mul_f32_e32 v152, v87, v143
	v_and_b32_e32 v143, 0x7f800000, v152
	s_delay_alu instid0(VALU_DEP_1) | instskip(NEXT) | instid1(VALU_DEP_1)
	v_cmp_ne_u32_e64 s1, 0x7f800000, v143
                                        ; implicit-def: $vgpr143
	s_and_saveexec_b32 s11, s1
	s_delay_alu instid0(SALU_CYCLE_1)
	s_xor_b32 s1, exec_lo, s11
; %bb.3538:                             ;   in Loop: Header=BB432_1571 Depth=1
	v_bfe_u32 v143, v152, 16, 1
	s_delay_alu instid0(VALU_DEP_1)
	v_add3_u32 v143, v152, v143, 0x7fff
                                        ; implicit-def: $vgpr152
; %bb.3539:                             ;   in Loop: Header=BB432_1571 Depth=1
	s_and_not1_saveexec_b32 s11, s1
; %bb.3540:                             ;   in Loop: Header=BB432_1571 Depth=1
	v_and_b32_e32 v143, 0xffff, v152
	v_or_b32_e32 v153, 0x10000, v152
	s_delay_alu instid0(VALU_DEP_2) | instskip(NEXT) | instid1(VALU_DEP_1)
	v_cmp_eq_u32_e64 s1, 0, v143
	v_cndmask_b32_e64 v143, v153, v152, s1
; %bb.3541:                             ;   in Loop: Header=BB432_1571 Depth=1
	s_or_b32 exec_lo, exec_lo, s11
	v_lshlrev_b32_e32 v9, 16, v9
	s_delay_alu instid0(VALU_DEP_1) | instskip(NEXT) | instid1(VALU_DEP_1)
	v_mul_f32_e32 v9, v96, v9
	v_and_b32_e32 v152, 0x7f800000, v9
	s_delay_alu instid0(VALU_DEP_1) | instskip(NEXT) | instid1(VALU_DEP_1)
	v_cmp_ne_u32_e64 s1, 0x7f800000, v152
                                        ; implicit-def: $vgpr152
	s_and_saveexec_b32 s11, s1
	s_delay_alu instid0(SALU_CYCLE_1)
	s_xor_b32 s1, exec_lo, s11
; %bb.3542:                             ;   in Loop: Header=BB432_1571 Depth=1
	v_bfe_u32 v152, v9, 16, 1
	s_delay_alu instid0(VALU_DEP_1)
	v_add3_u32 v152, v9, v152, 0x7fff
                                        ; implicit-def: $vgpr9
; %bb.3543:                             ;   in Loop: Header=BB432_1571 Depth=1
	s_and_not1_saveexec_b32 s11, s1
; %bb.3544:                             ;   in Loop: Header=BB432_1571 Depth=1
	v_and_b32_e32 v152, 0xffff, v9
	v_or_b32_e32 v153, 0x10000, v9
	s_delay_alu instid0(VALU_DEP_2) | instskip(NEXT) | instid1(VALU_DEP_1)
	v_cmp_eq_u32_e64 s1, 0, v152
	v_cndmask_b32_e64 v152, v153, v9, s1
; %bb.3545:                             ;   in Loop: Header=BB432_1571 Depth=1
	s_or_b32 exec_lo, exec_lo, s11
	v_lshlrev_b32_e32 v3, 16, v3
                                        ; implicit-def: $vgpr153
	s_delay_alu instid0(VALU_DEP_1) | instskip(NEXT) | instid1(VALU_DEP_1)
	v_mul_f32_e32 v3, v97, v3
	v_and_b32_e32 v9, 0x7f800000, v3
	s_delay_alu instid0(VALU_DEP_1) | instskip(NEXT) | instid1(VALU_DEP_1)
	v_cmp_ne_u32_e64 s1, 0x7f800000, v9
	s_and_saveexec_b32 s11, s1
	s_delay_alu instid0(SALU_CYCLE_1)
	s_xor_b32 s1, exec_lo, s11
; %bb.3546:                             ;   in Loop: Header=BB432_1571 Depth=1
	v_bfe_u32 v9, v3, 16, 1
	s_delay_alu instid0(VALU_DEP_1)
	v_add3_u32 v153, v3, v9, 0x7fff
                                        ; implicit-def: $vgpr3
; %bb.3547:                             ;   in Loop: Header=BB432_1571 Depth=1
	s_and_not1_saveexec_b32 s11, s1
; %bb.3548:                             ;   in Loop: Header=BB432_1571 Depth=1
	v_and_b32_e32 v9, 0xffff, v3
	v_or_b32_e32 v153, 0x10000, v3
	s_delay_alu instid0(VALU_DEP_2) | instskip(NEXT) | instid1(VALU_DEP_1)
	v_cmp_eq_u32_e64 s1, 0, v9
	v_cndmask_b32_e64 v153, v153, v3, s1
; %bb.3549:                             ;   in Loop: Header=BB432_1571 Depth=1
	s_or_b32 exec_lo, exec_lo, s11
	v_lshlrev_b32_e32 v2, 16, v2
                                        ; implicit-def: $vgpr154
	s_delay_alu instid0(VALU_DEP_1) | instskip(NEXT) | instid1(VALU_DEP_1)
	v_mul_f32_e32 v2, v98, v2
	v_and_b32_e32 v3, 0x7f800000, v2
	s_delay_alu instid0(VALU_DEP_1) | instskip(NEXT) | instid1(VALU_DEP_1)
	v_cmp_ne_u32_e64 s1, 0x7f800000, v3
	s_and_saveexec_b32 s11, s1
	s_delay_alu instid0(SALU_CYCLE_1)
	s_xor_b32 s1, exec_lo, s11
; %bb.3550:                             ;   in Loop: Header=BB432_1571 Depth=1
	v_bfe_u32 v3, v2, 16, 1
	s_delay_alu instid0(VALU_DEP_1)
	v_add3_u32 v154, v2, v3, 0x7fff
                                        ; implicit-def: $vgpr2
; %bb.3551:                             ;   in Loop: Header=BB432_1571 Depth=1
	s_and_not1_saveexec_b32 s11, s1
; %bb.3552:                             ;   in Loop: Header=BB432_1571 Depth=1
	v_and_b32_e32 v3, 0xffff, v2
	v_or_b32_e32 v9, 0x10000, v2
	s_delay_alu instid0(VALU_DEP_2) | instskip(NEXT) | instid1(VALU_DEP_1)
	v_cmp_eq_u32_e64 s1, 0, v3
	v_cndmask_b32_e64 v154, v9, v2, s1
; %bb.3553:                             ;   in Loop: Header=BB432_1571 Depth=1
	s_or_b32 exec_lo, exec_lo, s11
	flat_load_b64 v[0:1], v[0:1] offset:3840
	s_mov_b32 s11, exec_lo
	s_waitcnt vmcnt(0) lgkmcnt(0)
	v_dual_mov_b32 v2, 0 :: v_dual_and_b32 v3, 0xff, v0
	s_delay_alu instid0(VALU_DEP_1)
	v_cmpx_ne_u16_e32 0, v3
	s_cbranch_execz .LBB432_3561
; %bb.3554:                             ;   in Loop: Header=BB432_1571 Depth=1
	v_bfrev_b32_e32 v2, 1
	s_mov_b32 s12, exec_lo
	v_cmpx_ne_u16_e32 0x80, v3
	s_cbranch_execz .LBB432_3560
; %bb.3555:                             ;   in Loop: Header=BB432_1571 Depth=1
	v_and_b32_e32 v3, 0x7f, v0
	v_mov_b32_e32 v2, 0x7f800001
	s_mov_b32 s13, exec_lo
	s_delay_alu instid0(VALU_DEP_2)
	v_cmpx_ne_u32_e32 0x7f, v3
	s_cbranch_execz .LBB432_3559
; %bb.3556:                             ;   in Loop: Header=BB432_1571 Depth=1
	v_lshrrev_b32_e32 v9, 3, v3
	v_cmp_gt_u32_e64 s1, 8, v3
	v_dual_mov_b32 v3, v1 :: v_dual_mov_b32 v2, v0
	s_delay_alu instid0(VALU_DEP_2)
	s_and_saveexec_b32 s15, s1
; %bb.3557:                             ;   in Loop: Header=BB432_1571 Depth=1
	v_and_b32_e32 v2, 7, v0
	s_delay_alu instid0(VALU_DEP_1) | instskip(NEXT) | instid1(VALU_DEP_1)
	v_clz_i32_u32_e32 v2, v2
	v_min_u32_e32 v9, 32, v2
	s_delay_alu instid0(VALU_DEP_1) | instskip(SKIP_1) | instid1(VALU_DEP_2)
	v_subrev_nc_u32_e32 v2, 28, v9
	v_sub_nc_u32_e32 v9, 29, v9
	v_lshlrev_b64 v[2:3], v2, v[0:1]
; %bb.3558:                             ;   in Loop: Header=BB432_1571 Depth=1
	s_or_b32 exec_lo, exec_lo, s15
	s_delay_alu instid0(VALU_DEP_1) | instskip(SKIP_2) | instid1(VALU_DEP_3)
	v_lshlrev_b32_e32 v2, 20, v2
	v_lshlrev_b32_e32 v3, 24, v0
	v_lshl_add_u32 v9, v9, 23, 0x3c000000
	v_and_b32_e32 v2, 0x700000, v2
	s_delay_alu instid0(VALU_DEP_3) | instskip(NEXT) | instid1(VALU_DEP_1)
	v_and_b32_e32 v3, 0x80000000, v3
	v_or3_b32 v2, v2, v3, v9
.LBB432_3559:                           ;   in Loop: Header=BB432_1571 Depth=1
	s_or_b32 exec_lo, exec_lo, s13
.LBB432_3560:                           ;   in Loop: Header=BB432_1571 Depth=1
	s_delay_alu instid0(SALU_CYCLE_1)
	s_or_b32 exec_lo, exec_lo, s12
.LBB432_3561:                           ;   in Loop: Header=BB432_1571 Depth=1
	s_delay_alu instid0(SALU_CYCLE_1) | instskip(NEXT) | instid1(VALU_DEP_1)
	s_or_b32 exec_lo, exec_lo, s11
	v_mul_f32_e32 v2, v26, v2
                                        ; implicit-def: $vgpr155
	s_delay_alu instid0(VALU_DEP_1) | instskip(NEXT) | instid1(VALU_DEP_1)
	v_and_b32_e32 v3, 0x7f800000, v2
	v_cmp_ne_u32_e64 s1, 0x7f800000, v3
	s_delay_alu instid0(VALU_DEP_1) | instskip(NEXT) | instid1(SALU_CYCLE_1)
	s_and_saveexec_b32 s11, s1
	s_xor_b32 s1, exec_lo, s11
; %bb.3562:                             ;   in Loop: Header=BB432_1571 Depth=1
	v_bfe_u32 v3, v2, 16, 1
	s_delay_alu instid0(VALU_DEP_1)
	v_add3_u32 v155, v2, v3, 0x7fff
                                        ; implicit-def: $vgpr2
; %bb.3563:                             ;   in Loop: Header=BB432_1571 Depth=1
	s_and_not1_saveexec_b32 s11, s1
; %bb.3564:                             ;   in Loop: Header=BB432_1571 Depth=1
	v_and_b32_e32 v3, 0xffff, v2
	v_or_b32_e32 v9, 0x10000, v2
	s_delay_alu instid0(VALU_DEP_2) | instskip(NEXT) | instid1(VALU_DEP_1)
	v_cmp_eq_u32_e64 s1, 0, v3
	v_cndmask_b32_e64 v155, v9, v2, s1
; %bb.3565:                             ;   in Loop: Header=BB432_1571 Depth=1
	s_or_b32 exec_lo, exec_lo, s11
	v_lshrrev_b16 v3, 8, v0
	v_mov_b32_e32 v2, 0
	s_mov_b32 s11, exec_lo
	s_delay_alu instid0(VALU_DEP_2)
	v_cmpx_ne_u16_e32 0, v3
	s_cbranch_execz .LBB432_3573
; %bb.3566:                             ;   in Loop: Header=BB432_1571 Depth=1
	v_bfrev_b32_e32 v2, 1
	s_mov_b32 s12, exec_lo
	v_cmpx_ne_u16_e32 0x80, v3
	s_cbranch_execz .LBB432_3572
; %bb.3567:                             ;   in Loop: Header=BB432_1571 Depth=1
	v_and_b32_e32 v3, 0xffff, v3
	v_mov_b32_e32 v2, 0x7f800001
	s_mov_b32 s13, exec_lo
	s_delay_alu instid0(VALU_DEP_2) | instskip(NEXT) | instid1(VALU_DEP_1)
	v_and_b32_e32 v157, 0x7f, v3
	v_cmpx_ne_u32_e32 0x7f, v157
	s_cbranch_execz .LBB432_3571
; %bb.3568:                             ;   in Loop: Header=BB432_1571 Depth=1
	v_and_b32_e32 v9, 7, v3
	v_lshrrev_b32_e32 v156, 3, v157
	s_mov_b32 s15, exec_lo
	s_delay_alu instid0(VALU_DEP_2)
	v_dual_mov_b32 v2, v9 :: v_dual_mov_b32 v3, v10
	v_cmpx_gt_u32_e32 8, v157
; %bb.3569:                             ;   in Loop: Header=BB432_1571 Depth=1
	v_clz_i32_u32_e32 v2, v9
	s_delay_alu instid0(VALU_DEP_1) | instskip(NEXT) | instid1(VALU_DEP_1)
	v_min_u32_e32 v156, 32, v2
	v_subrev_nc_u32_e32 v2, 28, v156
	v_sub_nc_u32_e32 v156, 29, v156
	s_delay_alu instid0(VALU_DEP_2) | instskip(NEXT) | instid1(VALU_DEP_1)
	v_lshlrev_b64 v[2:3], v2, v[9:10]
	v_and_b32_e32 v2, 7, v2
; %bb.3570:                             ;   in Loop: Header=BB432_1571 Depth=1
	s_or_b32 exec_lo, exec_lo, s15
	v_lshlrev_b32_e32 v3, 16, v0
	s_delay_alu instid0(VALU_DEP_2) | instskip(SKIP_1) | instid1(VALU_DEP_3)
	v_lshlrev_b32_e32 v2, 20, v2
	v_lshl_add_u32 v9, v156, 23, 0x3c000000
	v_and_b32_e32 v3, 0x80000000, v3
	s_delay_alu instid0(VALU_DEP_1)
	v_or3_b32 v2, v2, v3, v9
.LBB432_3571:                           ;   in Loop: Header=BB432_1571 Depth=1
	s_or_b32 exec_lo, exec_lo, s13
.LBB432_3572:                           ;   in Loop: Header=BB432_1571 Depth=1
	s_delay_alu instid0(SALU_CYCLE_1)
	s_or_b32 exec_lo, exec_lo, s12
.LBB432_3573:                           ;   in Loop: Header=BB432_1571 Depth=1
	s_delay_alu instid0(SALU_CYCLE_1) | instskip(NEXT) | instid1(VALU_DEP_1)
	s_or_b32 exec_lo, exec_lo, s11
	v_mul_f32_e32 v2, v26, v2
                                        ; implicit-def: $vgpr156
	s_delay_alu instid0(VALU_DEP_1) | instskip(NEXT) | instid1(VALU_DEP_1)
	v_and_b32_e32 v3, 0x7f800000, v2
	v_cmp_ne_u32_e64 s1, 0x7f800000, v3
	s_delay_alu instid0(VALU_DEP_1) | instskip(NEXT) | instid1(SALU_CYCLE_1)
	s_and_saveexec_b32 s11, s1
	s_xor_b32 s1, exec_lo, s11
; %bb.3574:                             ;   in Loop: Header=BB432_1571 Depth=1
	v_bfe_u32 v3, v2, 16, 1
	s_delay_alu instid0(VALU_DEP_1)
	v_add3_u32 v156, v2, v3, 0x7fff
                                        ; implicit-def: $vgpr2
; %bb.3575:                             ;   in Loop: Header=BB432_1571 Depth=1
	s_and_not1_saveexec_b32 s11, s1
; %bb.3576:                             ;   in Loop: Header=BB432_1571 Depth=1
	v_and_b32_e32 v3, 0xffff, v2
	v_or_b32_e32 v9, 0x10000, v2
	s_delay_alu instid0(VALU_DEP_2) | instskip(NEXT) | instid1(VALU_DEP_1)
	v_cmp_eq_u32_e64 s1, 0, v3
	v_cndmask_b32_e64 v156, v9, v2, s1
; %bb.3577:                             ;   in Loop: Header=BB432_1571 Depth=1
	s_or_b32 exec_lo, exec_lo, s11
	v_lshrrev_b32_e32 v157, 16, v0
	s_mov_b32 s11, exec_lo
	s_delay_alu instid0(VALU_DEP_1) | instskip(NEXT) | instid1(VALU_DEP_1)
	v_dual_mov_b32 v2, 0 :: v_dual_and_b32 v3, 0xff, v157
	v_cmpx_ne_u16_e32 0, v3
	s_cbranch_execz .LBB432_3585
; %bb.3578:                             ;   in Loop: Header=BB432_1571 Depth=1
	v_bfrev_b32_e32 v2, 1
	s_mov_b32 s12, exec_lo
	v_cmpx_ne_u16_e32 0x80, v3
	s_cbranch_execz .LBB432_3584
; %bb.3579:                             ;   in Loop: Header=BB432_1571 Depth=1
	v_bfe_u32 v159, v0, 16, 7
	v_mov_b32_e32 v2, 0x7f800001
	s_mov_b32 s13, exec_lo
	s_delay_alu instid0(VALU_DEP_2)
	v_cmpx_ne_u32_e32 0x7f, v159
	s_cbranch_execz .LBB432_3583
; %bb.3580:                             ;   in Loop: Header=BB432_1571 Depth=1
	v_and_b32_e32 v9, 7, v157
	v_lshrrev_b32_e32 v158, 3, v159
	s_mov_b32 s15, exec_lo
	s_delay_alu instid0(VALU_DEP_2)
	v_dual_mov_b32 v2, v9 :: v_dual_mov_b32 v3, v10
	v_cmpx_gt_u32_e32 8, v159
; %bb.3581:                             ;   in Loop: Header=BB432_1571 Depth=1
	v_clz_i32_u32_e32 v2, v9
	s_delay_alu instid0(VALU_DEP_1) | instskip(NEXT) | instid1(VALU_DEP_1)
	v_min_u32_e32 v158, 32, v2
	v_subrev_nc_u32_e32 v2, 28, v158
	v_sub_nc_u32_e32 v158, 29, v158
	s_delay_alu instid0(VALU_DEP_2) | instskip(NEXT) | instid1(VALU_DEP_1)
	v_lshlrev_b64 v[2:3], v2, v[9:10]
	v_and_b32_e32 v2, 7, v2
; %bb.3582:                             ;   in Loop: Header=BB432_1571 Depth=1
	s_or_b32 exec_lo, exec_lo, s15
	v_lshlrev_b32_e32 v3, 24, v157
	s_delay_alu instid0(VALU_DEP_2) | instskip(SKIP_1) | instid1(VALU_DEP_3)
	v_lshlrev_b32_e32 v2, 20, v2
	v_lshl_add_u32 v9, v158, 23, 0x3c000000
	v_and_b32_e32 v3, 0x80000000, v3
	s_delay_alu instid0(VALU_DEP_1)
	v_or3_b32 v2, v2, v3, v9
.LBB432_3583:                           ;   in Loop: Header=BB432_1571 Depth=1
	s_or_b32 exec_lo, exec_lo, s13
.LBB432_3584:                           ;   in Loop: Header=BB432_1571 Depth=1
	s_delay_alu instid0(SALU_CYCLE_1)
	s_or_b32 exec_lo, exec_lo, s12
.LBB432_3585:                           ;   in Loop: Header=BB432_1571 Depth=1
	s_delay_alu instid0(SALU_CYCLE_1) | instskip(NEXT) | instid1(VALU_DEP_1)
	s_or_b32 exec_lo, exec_lo, s11
	v_mul_f32_e32 v2, v26, v2
                                        ; implicit-def: $vgpr157
	s_delay_alu instid0(VALU_DEP_1) | instskip(NEXT) | instid1(VALU_DEP_1)
	v_and_b32_e32 v3, 0x7f800000, v2
	v_cmp_ne_u32_e64 s1, 0x7f800000, v3
	s_delay_alu instid0(VALU_DEP_1) | instskip(NEXT) | instid1(SALU_CYCLE_1)
	s_and_saveexec_b32 s11, s1
	s_xor_b32 s1, exec_lo, s11
; %bb.3586:                             ;   in Loop: Header=BB432_1571 Depth=1
	v_bfe_u32 v3, v2, 16, 1
	s_delay_alu instid0(VALU_DEP_1)
	v_add3_u32 v157, v2, v3, 0x7fff
                                        ; implicit-def: $vgpr2
; %bb.3587:                             ;   in Loop: Header=BB432_1571 Depth=1
	s_and_not1_saveexec_b32 s11, s1
; %bb.3588:                             ;   in Loop: Header=BB432_1571 Depth=1
	v_and_b32_e32 v3, 0xffff, v2
	v_or_b32_e32 v9, 0x10000, v2
	s_delay_alu instid0(VALU_DEP_2) | instskip(NEXT) | instid1(VALU_DEP_1)
	v_cmp_eq_u32_e64 s1, 0, v3
	v_cndmask_b32_e64 v157, v9, v2, s1
; %bb.3589:                             ;   in Loop: Header=BB432_1571 Depth=1
	s_or_b32 exec_lo, exec_lo, s11
	v_mov_b32_e32 v2, 0
	s_mov_b32 s11, exec_lo
	v_cmpx_lt_u32_e32 0xffffff, v0
	s_cbranch_execz .LBB432_3597
; %bb.3590:                             ;   in Loop: Header=BB432_1571 Depth=1
	v_lshrrev_b32_e32 v158, 24, v0
	v_bfrev_b32_e32 v2, 1
	s_mov_b32 s12, exec_lo
	s_delay_alu instid0(VALU_DEP_2)
	v_cmpx_ne_u32_e32 0x80, v158
	s_cbranch_execz .LBB432_3596
; %bb.3591:                             ;   in Loop: Header=BB432_1571 Depth=1
	v_bfe_u32 v168, v0, 24, 7
	v_mov_b32_e32 v2, 0x7f800001
	s_mov_b32 s13, exec_lo
	s_delay_alu instid0(VALU_DEP_2)
	v_cmpx_ne_u32_e32 0x7f, v168
	s_cbranch_execz .LBB432_3595
; %bb.3592:                             ;   in Loop: Header=BB432_1571 Depth=1
	v_and_b32_e32 v9, 7, v158
	v_lshrrev_b32_e32 v159, 3, v168
	s_mov_b32 s15, exec_lo
	s_delay_alu instid0(VALU_DEP_2)
	v_dual_mov_b32 v2, v9 :: v_dual_mov_b32 v3, v10
	v_cmpx_gt_u32_e32 8, v168
; %bb.3593:                             ;   in Loop: Header=BB432_1571 Depth=1
	v_clz_i32_u32_e32 v2, v9
	s_delay_alu instid0(VALU_DEP_1) | instskip(NEXT) | instid1(VALU_DEP_1)
	v_min_u32_e32 v159, 32, v2
	v_subrev_nc_u32_e32 v2, 28, v159
	v_sub_nc_u32_e32 v159, 29, v159
	s_delay_alu instid0(VALU_DEP_2) | instskip(NEXT) | instid1(VALU_DEP_1)
	v_lshlrev_b64 v[2:3], v2, v[9:10]
	v_and_b32_e32 v2, 7, v2
; %bb.3594:                             ;   in Loop: Header=BB432_1571 Depth=1
	s_or_b32 exec_lo, exec_lo, s15
	v_lshlrev_b32_e32 v3, 24, v158
	s_delay_alu instid0(VALU_DEP_2) | instskip(SKIP_1) | instid1(VALU_DEP_3)
	v_lshlrev_b32_e32 v2, 20, v2
	v_lshl_add_u32 v9, v159, 23, 0x3c000000
	v_and_b32_e32 v3, 0x80000000, v3
	s_delay_alu instid0(VALU_DEP_1)
	v_or3_b32 v2, v2, v3, v9
.LBB432_3595:                           ;   in Loop: Header=BB432_1571 Depth=1
	s_or_b32 exec_lo, exec_lo, s13
.LBB432_3596:                           ;   in Loop: Header=BB432_1571 Depth=1
	s_delay_alu instid0(SALU_CYCLE_1)
	s_or_b32 exec_lo, exec_lo, s12
.LBB432_3597:                           ;   in Loop: Header=BB432_1571 Depth=1
	s_delay_alu instid0(SALU_CYCLE_1) | instskip(NEXT) | instid1(VALU_DEP_1)
	s_or_b32 exec_lo, exec_lo, s11
	v_mul_f32_e32 v2, v26, v2
                                        ; implicit-def: $vgpr158
	s_delay_alu instid0(VALU_DEP_1) | instskip(NEXT) | instid1(VALU_DEP_1)
	v_and_b32_e32 v3, 0x7f800000, v2
	v_cmp_ne_u32_e64 s1, 0x7f800000, v3
	s_delay_alu instid0(VALU_DEP_1) | instskip(NEXT) | instid1(SALU_CYCLE_1)
	s_and_saveexec_b32 s11, s1
	s_xor_b32 s1, exec_lo, s11
; %bb.3598:                             ;   in Loop: Header=BB432_1571 Depth=1
	v_bfe_u32 v3, v2, 16, 1
	s_delay_alu instid0(VALU_DEP_1)
	v_add3_u32 v158, v2, v3, 0x7fff
                                        ; implicit-def: $vgpr2
; %bb.3599:                             ;   in Loop: Header=BB432_1571 Depth=1
	s_and_not1_saveexec_b32 s11, s1
; %bb.3600:                             ;   in Loop: Header=BB432_1571 Depth=1
	v_and_b32_e32 v3, 0xffff, v2
	v_or_b32_e32 v9, 0x10000, v2
	s_delay_alu instid0(VALU_DEP_2) | instskip(NEXT) | instid1(VALU_DEP_1)
	v_cmp_eq_u32_e64 s1, 0, v3
	v_cndmask_b32_e64 v158, v9, v2, s1
; %bb.3601:                             ;   in Loop: Header=BB432_1571 Depth=1
	s_or_b32 exec_lo, exec_lo, s11
	v_dual_mov_b32 v2, 0 :: v_dual_and_b32 v3, 0xff, v1
	v_mov_b32_e32 v9, v1
	s_mov_b32 s11, exec_lo
	s_delay_alu instid0(VALU_DEP_2)
	v_cmpx_ne_u16_e32 0, v3
	s_cbranch_execz .LBB432_3609
; %bb.3602:                             ;   in Loop: Header=BB432_1571 Depth=1
	v_bfrev_b32_e32 v2, 1
	s_mov_b32 s12, exec_lo
	v_cmpx_ne_u16_e32 0x80, v3
	s_cbranch_execz .LBB432_3608
; %bb.3603:                             ;   in Loop: Header=BB432_1571 Depth=1
	v_and_b32_e32 v159, 0x7f, v1
	v_mov_b32_e32 v2, 0x7f800001
	s_mov_b32 s13, exec_lo
	s_delay_alu instid0(VALU_DEP_2)
	v_cmpx_ne_u32_e32 0x7f, v159
	s_cbranch_execz .LBB432_3607
; %bb.3604:                             ;   in Loop: Header=BB432_1571 Depth=1
	v_dual_mov_b32 v2, v9 :: v_dual_mov_b32 v3, v10
	v_lshrrev_b32_e32 v3, 3, v159
	s_mov_b32 s15, exec_lo
	v_cmpx_gt_u32_e32 8, v159
; %bb.3605:                             ;   in Loop: Header=BB432_1571 Depth=1
	v_and_b32_e32 v2, 7, v1
	s_delay_alu instid0(VALU_DEP_1) | instskip(NEXT) | instid1(VALU_DEP_1)
	v_clz_i32_u32_e32 v2, v2
	v_min_u32_e32 v159, 32, v2
	s_delay_alu instid0(VALU_DEP_1) | instskip(NEXT) | instid1(VALU_DEP_1)
	v_subrev_nc_u32_e32 v2, 28, v159
	v_lshlrev_b64 v[2:3], v2, v[9:10]
	v_sub_nc_u32_e32 v3, 29, v159
; %bb.3606:                             ;   in Loop: Header=BB432_1571 Depth=1
	s_or_b32 exec_lo, exec_lo, s15
	s_delay_alu instid0(VALU_DEP_2) | instskip(SKIP_1) | instid1(VALU_DEP_3)
	v_lshlrev_b32_e32 v2, 20, v2
	v_lshlrev_b32_e32 v159, 24, v9
	v_lshl_add_u32 v3, v3, 23, 0x3c000000
	s_delay_alu instid0(VALU_DEP_3) | instskip(NEXT) | instid1(VALU_DEP_3)
	v_and_b32_e32 v2, 0x700000, v2
	v_and_b32_e32 v159, 0x80000000, v159
	s_delay_alu instid0(VALU_DEP_1)
	v_or3_b32 v2, v2, v159, v3
.LBB432_3607:                           ;   in Loop: Header=BB432_1571 Depth=1
	s_or_b32 exec_lo, exec_lo, s13
.LBB432_3608:                           ;   in Loop: Header=BB432_1571 Depth=1
	s_delay_alu instid0(SALU_CYCLE_1)
	s_or_b32 exec_lo, exec_lo, s12
.LBB432_3609:                           ;   in Loop: Header=BB432_1571 Depth=1
	s_delay_alu instid0(SALU_CYCLE_1) | instskip(NEXT) | instid1(VALU_DEP_1)
	s_or_b32 exec_lo, exec_lo, s11
	v_mul_f32_e32 v2, v26, v2
                                        ; implicit-def: $vgpr159
	s_delay_alu instid0(VALU_DEP_1) | instskip(NEXT) | instid1(VALU_DEP_1)
	v_and_b32_e32 v3, 0x7f800000, v2
	v_cmp_ne_u32_e64 s1, 0x7f800000, v3
	s_delay_alu instid0(VALU_DEP_1) | instskip(NEXT) | instid1(SALU_CYCLE_1)
	s_and_saveexec_b32 s11, s1
	s_xor_b32 s1, exec_lo, s11
; %bb.3610:                             ;   in Loop: Header=BB432_1571 Depth=1
	v_bfe_u32 v3, v2, 16, 1
	s_delay_alu instid0(VALU_DEP_1)
	v_add3_u32 v159, v2, v3, 0x7fff
                                        ; implicit-def: $vgpr2
; %bb.3611:                             ;   in Loop: Header=BB432_1571 Depth=1
	s_and_not1_saveexec_b32 s11, s1
; %bb.3612:                             ;   in Loop: Header=BB432_1571 Depth=1
	v_and_b32_e32 v3, 0xffff, v2
	v_or_b32_e32 v159, 0x10000, v2
	s_delay_alu instid0(VALU_DEP_2) | instskip(NEXT) | instid1(VALU_DEP_1)
	v_cmp_eq_u32_e64 s1, 0, v3
	v_cndmask_b32_e64 v159, v159, v2, s1
; %bb.3613:                             ;   in Loop: Header=BB432_1571 Depth=1
	s_or_b32 exec_lo, exec_lo, s11
	v_lshrrev_b16 v3, 8, v9
	v_mov_b32_e32 v2, 0
	s_mov_b32 s11, exec_lo
	s_delay_alu instid0(VALU_DEP_2)
	v_cmpx_ne_u16_e32 0, v3
	s_cbranch_execz .LBB432_3621
; %bb.3614:                             ;   in Loop: Header=BB432_1571 Depth=1
	v_bfrev_b32_e32 v2, 1
	s_mov_b32 s12, exec_lo
	v_cmpx_ne_u16_e32 0x80, v3
	s_cbranch_execz .LBB432_3620
; %bb.3615:                             ;   in Loop: Header=BB432_1571 Depth=1
	v_and_b32_e32 v3, 0xffff, v3
	v_mov_b32_e32 v2, 0x7f800001
	s_mov_b32 s13, exec_lo
	s_delay_alu instid0(VALU_DEP_2) | instskip(NEXT) | instid1(VALU_DEP_1)
	v_and_b32_e32 v169, 0x7f, v3
	v_cmpx_ne_u32_e32 0x7f, v169
	s_cbranch_execz .LBB432_3619
; %bb.3616:                             ;   in Loop: Header=BB432_1571 Depth=1
	v_dual_mov_b32 v3, v10 :: v_dual_and_b32 v2, 7, v3
	v_lshrrev_b32_e32 v168, 3, v169
	s_mov_b32 s15, exec_lo
	v_cmpx_gt_u32_e32 8, v169
; %bb.3617:                             ;   in Loop: Header=BB432_1571 Depth=1
	s_delay_alu instid0(VALU_DEP_3) | instskip(NEXT) | instid1(VALU_DEP_1)
	v_clz_i32_u32_e32 v168, v2
	v_min_u32_e32 v168, 32, v168
	s_delay_alu instid0(VALU_DEP_1) | instskip(SKIP_1) | instid1(VALU_DEP_2)
	v_subrev_nc_u32_e32 v169, 28, v168
	v_sub_nc_u32_e32 v168, 29, v168
	v_lshlrev_b64 v[2:3], v169, v[2:3]
	s_delay_alu instid0(VALU_DEP_1)
	v_and_b32_e32 v2, 7, v2
; %bb.3618:                             ;   in Loop: Header=BB432_1571 Depth=1
	s_or_b32 exec_lo, exec_lo, s15
	v_lshlrev_b32_e32 v3, 16, v9
	s_delay_alu instid0(VALU_DEP_2) | instskip(SKIP_1) | instid1(VALU_DEP_3)
	v_lshlrev_b32_e32 v2, 20, v2
	v_lshl_add_u32 v9, v168, 23, 0x3c000000
	v_and_b32_e32 v3, 0x80000000, v3
	s_delay_alu instid0(VALU_DEP_1)
	v_or3_b32 v2, v2, v3, v9
.LBB432_3619:                           ;   in Loop: Header=BB432_1571 Depth=1
	s_or_b32 exec_lo, exec_lo, s13
.LBB432_3620:                           ;   in Loop: Header=BB432_1571 Depth=1
	s_delay_alu instid0(SALU_CYCLE_1)
	s_or_b32 exec_lo, exec_lo, s12
.LBB432_3621:                           ;   in Loop: Header=BB432_1571 Depth=1
	s_delay_alu instid0(SALU_CYCLE_1) | instskip(NEXT) | instid1(VALU_DEP_1)
	s_or_b32 exec_lo, exec_lo, s11
	v_mul_f32_e32 v2, v26, v2
                                        ; implicit-def: $vgpr168
	s_delay_alu instid0(VALU_DEP_1) | instskip(NEXT) | instid1(VALU_DEP_1)
	v_and_b32_e32 v3, 0x7f800000, v2
	v_cmp_ne_u32_e64 s1, 0x7f800000, v3
	s_delay_alu instid0(VALU_DEP_1) | instskip(NEXT) | instid1(SALU_CYCLE_1)
	s_and_saveexec_b32 s11, s1
	s_xor_b32 s1, exec_lo, s11
; %bb.3622:                             ;   in Loop: Header=BB432_1571 Depth=1
	v_bfe_u32 v3, v2, 16, 1
	s_delay_alu instid0(VALU_DEP_1)
	v_add3_u32 v168, v2, v3, 0x7fff
                                        ; implicit-def: $vgpr2
; %bb.3623:                             ;   in Loop: Header=BB432_1571 Depth=1
	s_and_not1_saveexec_b32 s11, s1
; %bb.3624:                             ;   in Loop: Header=BB432_1571 Depth=1
	v_and_b32_e32 v3, 0xffff, v2
	v_or_b32_e32 v9, 0x10000, v2
	s_delay_alu instid0(VALU_DEP_2) | instskip(NEXT) | instid1(VALU_DEP_1)
	v_cmp_eq_u32_e64 s1, 0, v3
	v_cndmask_b32_e64 v168, v9, v2, s1
; %bb.3625:                             ;   in Loop: Header=BB432_1571 Depth=1
	s_or_b32 exec_lo, exec_lo, s11
	v_lshrrev_b32_e32 v169, 16, v1
	s_mov_b32 s11, exec_lo
	s_delay_alu instid0(VALU_DEP_1) | instskip(NEXT) | instid1(VALU_DEP_1)
	v_dual_mov_b32 v2, 0 :: v_dual_and_b32 v3, 0xff, v169
	v_cmpx_ne_u16_e32 0, v3
	s_cbranch_execz .LBB432_3633
; %bb.3626:                             ;   in Loop: Header=BB432_1571 Depth=1
	v_bfrev_b32_e32 v2, 1
	s_mov_b32 s12, exec_lo
	v_cmpx_ne_u16_e32 0x80, v3
	s_cbranch_execz .LBB432_3632
; %bb.3627:                             ;   in Loop: Header=BB432_1571 Depth=1
	v_bfe_u32 v171, v1, 16, 7
	v_mov_b32_e32 v2, 0x7f800001
	s_mov_b32 s13, exec_lo
	s_delay_alu instid0(VALU_DEP_2)
	v_cmpx_ne_u32_e32 0x7f, v171
	s_cbranch_execz .LBB432_3631
; %bb.3628:                             ;   in Loop: Header=BB432_1571 Depth=1
	v_and_b32_e32 v9, 7, v169
	v_lshrrev_b32_e32 v170, 3, v171
	s_mov_b32 s15, exec_lo
	s_delay_alu instid0(VALU_DEP_2)
	v_dual_mov_b32 v2, v9 :: v_dual_mov_b32 v3, v10
	v_cmpx_gt_u32_e32 8, v171
; %bb.3629:                             ;   in Loop: Header=BB432_1571 Depth=1
	v_clz_i32_u32_e32 v2, v9
	s_delay_alu instid0(VALU_DEP_1) | instskip(NEXT) | instid1(VALU_DEP_1)
	v_min_u32_e32 v170, 32, v2
	v_subrev_nc_u32_e32 v2, 28, v170
	v_sub_nc_u32_e32 v170, 29, v170
	s_delay_alu instid0(VALU_DEP_2) | instskip(NEXT) | instid1(VALU_DEP_1)
	v_lshlrev_b64 v[2:3], v2, v[9:10]
	v_and_b32_e32 v2, 7, v2
; %bb.3630:                             ;   in Loop: Header=BB432_1571 Depth=1
	s_or_b32 exec_lo, exec_lo, s15
	v_lshlrev_b32_e32 v3, 24, v169
	s_delay_alu instid0(VALU_DEP_2) | instskip(SKIP_1) | instid1(VALU_DEP_3)
	v_lshlrev_b32_e32 v2, 20, v2
	v_lshl_add_u32 v9, v170, 23, 0x3c000000
	v_and_b32_e32 v3, 0x80000000, v3
	s_delay_alu instid0(VALU_DEP_1)
	v_or3_b32 v2, v2, v3, v9
.LBB432_3631:                           ;   in Loop: Header=BB432_1571 Depth=1
	s_or_b32 exec_lo, exec_lo, s13
.LBB432_3632:                           ;   in Loop: Header=BB432_1571 Depth=1
	s_delay_alu instid0(SALU_CYCLE_1)
	s_or_b32 exec_lo, exec_lo, s12
.LBB432_3633:                           ;   in Loop: Header=BB432_1571 Depth=1
	s_delay_alu instid0(SALU_CYCLE_1) | instskip(NEXT) | instid1(VALU_DEP_1)
	s_or_b32 exec_lo, exec_lo, s11
	v_mul_f32_e32 v3, v26, v2
	s_delay_alu instid0(VALU_DEP_1) | instskip(NEXT) | instid1(VALU_DEP_1)
	v_and_b32_e32 v2, 0x7f800000, v3
	v_cmp_ne_u32_e64 s1, 0x7f800000, v2
                                        ; implicit-def: $vgpr2
	s_delay_alu instid0(VALU_DEP_1) | instskip(NEXT) | instid1(SALU_CYCLE_1)
	s_and_saveexec_b32 s11, s1
	s_xor_b32 s1, exec_lo, s11
; %bb.3634:                             ;   in Loop: Header=BB432_1571 Depth=1
	v_bfe_u32 v2, v3, 16, 1
	s_delay_alu instid0(VALU_DEP_1)
	v_add3_u32 v2, v3, v2, 0x7fff
                                        ; implicit-def: $vgpr3
; %bb.3635:                             ;   in Loop: Header=BB432_1571 Depth=1
	s_and_not1_saveexec_b32 s11, s1
; %bb.3636:                             ;   in Loop: Header=BB432_1571 Depth=1
	v_and_b32_e32 v2, 0xffff, v3
	v_or_b32_e32 v9, 0x10000, v3
	s_delay_alu instid0(VALU_DEP_2) | instskip(NEXT) | instid1(VALU_DEP_1)
	v_cmp_eq_u32_e64 s1, 0, v2
	v_cndmask_b32_e64 v2, v9, v3, s1
; %bb.3637:                             ;   in Loop: Header=BB432_1571 Depth=1
	s_or_b32 exec_lo, exec_lo, s11
	v_cmp_lt_u64_e64 s1, s[2:3], v[0:1]
	v_mov_b32_e32 v0, 0
	s_delay_alu instid0(VALU_DEP_2)
	s_and_saveexec_b32 s11, s1
	s_cbranch_execz .LBB432_3645
; %bb.3638:                             ;   in Loop: Header=BB432_1571 Depth=1
	v_lshrrev_b32_e32 v3, 24, v1
	v_bfrev_b32_e32 v0, 1
	s_mov_b32 s12, exec_lo
	s_delay_alu instid0(VALU_DEP_2)
	v_cmpx_ne_u32_e32 0x80, v3
	s_cbranch_execz .LBB432_3644
; %bb.3639:                             ;   in Loop: Header=BB432_1571 Depth=1
	v_bfe_u32 v170, v1, 24, 7
	v_mov_b32_e32 v0, 0x7f800001
	s_mov_b32 s13, exec_lo
	s_delay_alu instid0(VALU_DEP_2)
	v_cmpx_ne_u32_e32 0x7f, v170
	s_cbranch_execz .LBB432_3643
; %bb.3640:                             ;   in Loop: Header=BB432_1571 Depth=1
	v_and_b32_e32 v9, 7, v3
	v_lshrrev_b32_e32 v169, 3, v170
	s_mov_b32 s15, exec_lo
	s_delay_alu instid0(VALU_DEP_2)
	v_dual_mov_b32 v0, v9 :: v_dual_mov_b32 v1, v10
	v_cmpx_gt_u32_e32 8, v170
; %bb.3641:                             ;   in Loop: Header=BB432_1571 Depth=1
	v_clz_i32_u32_e32 v0, v9
	s_delay_alu instid0(VALU_DEP_1) | instskip(NEXT) | instid1(VALU_DEP_1)
	v_min_u32_e32 v169, 32, v0
	v_subrev_nc_u32_e32 v0, 28, v169
	v_sub_nc_u32_e32 v169, 29, v169
	s_delay_alu instid0(VALU_DEP_2) | instskip(NEXT) | instid1(VALU_DEP_1)
	v_lshlrev_b64 v[0:1], v0, v[9:10]
	v_and_b32_e32 v0, 7, v0
; %bb.3642:                             ;   in Loop: Header=BB432_1571 Depth=1
	s_or_b32 exec_lo, exec_lo, s15
	v_lshlrev_b32_e32 v1, 24, v3
	s_delay_alu instid0(VALU_DEP_2) | instskip(SKIP_1) | instid1(VALU_DEP_3)
	v_lshlrev_b32_e32 v0, 20, v0
	v_lshl_add_u32 v3, v169, 23, 0x3c000000
	v_and_b32_e32 v1, 0x80000000, v1
	s_delay_alu instid0(VALU_DEP_1)
	v_or3_b32 v0, v0, v1, v3
.LBB432_3643:                           ;   in Loop: Header=BB432_1571 Depth=1
	s_or_b32 exec_lo, exec_lo, s13
.LBB432_3644:                           ;   in Loop: Header=BB432_1571 Depth=1
	s_delay_alu instid0(SALU_CYCLE_1)
	s_or_b32 exec_lo, exec_lo, s12
.LBB432_3645:                           ;   in Loop: Header=BB432_1571 Depth=1
	s_delay_alu instid0(SALU_CYCLE_1) | instskip(NEXT) | instid1(VALU_DEP_1)
	s_or_b32 exec_lo, exec_lo, s11
	v_mul_f32_e32 v0, v26, v0
                                        ; implicit-def: $vgpr169
	s_delay_alu instid0(VALU_DEP_1) | instskip(NEXT) | instid1(VALU_DEP_1)
	v_and_b32_e32 v1, 0x7f800000, v0
	v_cmp_ne_u32_e64 s1, 0x7f800000, v1
	s_delay_alu instid0(VALU_DEP_1) | instskip(NEXT) | instid1(SALU_CYCLE_1)
	s_and_saveexec_b32 s11, s1
	s_xor_b32 s1, exec_lo, s11
; %bb.3646:                             ;   in Loop: Header=BB432_1571 Depth=1
	v_bfe_u32 v1, v0, 16, 1
	s_delay_alu instid0(VALU_DEP_1)
	v_add3_u32 v169, v0, v1, 0x7fff
                                        ; implicit-def: $vgpr0
; %bb.3647:                             ;   in Loop: Header=BB432_1571 Depth=1
	s_and_not1_saveexec_b32 s11, s1
; %bb.3648:                             ;   in Loop: Header=BB432_1571 Depth=1
	v_and_b32_e32 v1, 0xffff, v0
	v_or_b32_e32 v3, 0x10000, v0
	s_delay_alu instid0(VALU_DEP_2) | instskip(NEXT) | instid1(VALU_DEP_1)
	v_cmp_eq_u32_e64 s1, 0, v1
	v_cndmask_b32_e64 v169, v3, v0, s1
; %bb.3649:                             ;   in Loop: Header=BB432_1571 Depth=1
	s_or_b32 exec_lo, exec_lo, s11
	v_lshrrev_b32_e32 v168, 16, v168
	v_lshrrev_b32_e32 v9, 16, v159
	;; [unrolled: 1-line block ×8, first 2 shown]
	s_and_saveexec_b32 s1, vcc_lo
	s_cbranch_execz .LBB432_3651
; %bb.3650:                             ;   in Loop: Header=BB432_1571 Depth=1
	v_cmp_lt_i32_e32 vcc_lo, v68, v35
	v_cndmask_b32_e32 v0, 0, v0, vcc_lo
	v_cmp_lt_i32_e32 vcc_lo, v82, v35
	v_cndmask_b32_e32 v1, 0, v1, vcc_lo
	;; [unrolled: 2-line block ×8, first 2 shown]
.LBB432_3651:                           ;   in Loop: Header=BB432_1571 Depth=1
	s_or_b32 exec_lo, exec_lo, s1
	v_lshlrev_b32_e32 v0, 16, v0
	s_delay_alu instid0(VALU_DEP_1) | instskip(NEXT) | instid1(VALU_DEP_1)
	v_mul_f32_e32 v2, v83, v0
	v_and_b32_e32 v0, 0x7f800000, v2
	s_delay_alu instid0(VALU_DEP_1) | instskip(SKIP_1) | instid1(SALU_CYCLE_1)
	v_cmp_ne_u32_e32 vcc_lo, 0x7f800000, v0
                                        ; implicit-def: $vgpr0
	s_and_saveexec_b32 s1, vcc_lo
	s_xor_b32 s1, exec_lo, s1
; %bb.3652:                             ;   in Loop: Header=BB432_1571 Depth=1
	v_bfe_u32 v0, v2, 16, 1
	s_delay_alu instid0(VALU_DEP_1)
	v_add3_u32 v0, v2, v0, 0x7fff
                                        ; implicit-def: $vgpr2
; %bb.3653:                             ;   in Loop: Header=BB432_1571 Depth=1
	s_and_not1_saveexec_b32 s1, s1
; %bb.3654:                             ;   in Loop: Header=BB432_1571 Depth=1
	v_and_b32_e32 v0, 0xffff, v2
	v_or_b32_e32 v68, 0x10000, v2
	s_delay_alu instid0(VALU_DEP_2) | instskip(NEXT) | instid1(VALU_DEP_2)
	v_cmp_eq_u32_e32 vcc_lo, 0, v0
	v_cndmask_b32_e32 v0, v68, v2, vcc_lo
; %bb.3655:                             ;   in Loop: Header=BB432_1571 Depth=1
	s_or_b32 exec_lo, exec_lo, s1
	v_lshlrev_b32_e32 v1, 16, v1
	s_delay_alu instid0(VALU_DEP_1) | instskip(NEXT) | instid1(VALU_DEP_1)
	v_mul_f32_e32 v2, v84, v1
	v_and_b32_e32 v1, 0x7f800000, v2
	s_delay_alu instid0(VALU_DEP_1) | instskip(SKIP_1) | instid1(SALU_CYCLE_1)
	v_cmp_ne_u32_e32 vcc_lo, 0x7f800000, v1
                                        ; implicit-def: $vgpr1
	s_and_saveexec_b32 s1, vcc_lo
	s_xor_b32 s1, exec_lo, s1
; %bb.3656:                             ;   in Loop: Header=BB432_1571 Depth=1
	v_bfe_u32 v1, v2, 16, 1
	s_delay_alu instid0(VALU_DEP_1)
	v_add3_u32 v1, v2, v1, 0x7fff
                                        ; implicit-def: $vgpr2
; %bb.3657:                             ;   in Loop: Header=BB432_1571 Depth=1
	s_and_not1_saveexec_b32 s1, s1
; %bb.3658:                             ;   in Loop: Header=BB432_1571 Depth=1
	v_and_b32_e32 v1, 0xffff, v2
	v_or_b32_e32 v68, 0x10000, v2
	s_delay_alu instid0(VALU_DEP_2) | instskip(NEXT) | instid1(VALU_DEP_2)
	v_cmp_eq_u32_e32 vcc_lo, 0, v1
	v_cndmask_b32_e32 v1, v68, v2, vcc_lo
; %bb.3659:                             ;   in Loop: Header=BB432_1571 Depth=1
	s_or_b32 exec_lo, exec_lo, s1
	v_lshlrev_b32_e32 v2, 16, v157
	s_delay_alu instid0(VALU_DEP_1) | instskip(NEXT) | instid1(VALU_DEP_1)
	v_mul_f32_e32 v68, v85, v2
	v_and_b32_e32 v2, 0x7f800000, v68
	s_delay_alu instid0(VALU_DEP_1) | instskip(SKIP_1) | instid1(SALU_CYCLE_1)
	v_cmp_ne_u32_e32 vcc_lo, 0x7f800000, v2
                                        ; implicit-def: $vgpr2
	s_and_saveexec_b32 s1, vcc_lo
	s_xor_b32 s1, exec_lo, s1
; %bb.3660:                             ;   in Loop: Header=BB432_1571 Depth=1
	v_bfe_u32 v2, v68, 16, 1
	s_delay_alu instid0(VALU_DEP_1)
	v_add3_u32 v2, v68, v2, 0x7fff
                                        ; implicit-def: $vgpr68
; %bb.3661:                             ;   in Loop: Header=BB432_1571 Depth=1
	s_and_not1_saveexec_b32 s1, s1
; %bb.3662:                             ;   in Loop: Header=BB432_1571 Depth=1
	v_and_b32_e32 v2, 0xffff, v68
	v_or_b32_e32 v69, 0x10000, v68
	s_delay_alu instid0(VALU_DEP_2) | instskip(NEXT) | instid1(VALU_DEP_2)
	v_cmp_eq_u32_e32 vcc_lo, 0, v2
	v_cndmask_b32_e32 v2, v69, v68, vcc_lo
; %bb.3663:                             ;   in Loop: Header=BB432_1571 Depth=1
	s_or_b32 exec_lo, exec_lo, s1
	v_lshlrev_b32_e32 v3, 16, v3
	s_delay_alu instid0(VALU_DEP_1) | instskip(NEXT) | instid1(VALU_DEP_1)
	v_mul_f32_e32 v68, v86, v3
	v_and_b32_e32 v3, 0x7f800000, v68
	s_delay_alu instid0(VALU_DEP_1) | instskip(SKIP_1) | instid1(SALU_CYCLE_1)
	v_cmp_ne_u32_e32 vcc_lo, 0x7f800000, v3
                                        ; implicit-def: $vgpr3
	s_and_saveexec_b32 s1, vcc_lo
	s_xor_b32 s1, exec_lo, s1
; %bb.3664:                             ;   in Loop: Header=BB432_1571 Depth=1
	v_bfe_u32 v3, v68, 16, 1
	s_delay_alu instid0(VALU_DEP_1)
	v_add3_u32 v3, v68, v3, 0x7fff
                                        ; implicit-def: $vgpr68
; %bb.3665:                             ;   in Loop: Header=BB432_1571 Depth=1
	s_and_not1_saveexec_b32 s1, s1
; %bb.3666:                             ;   in Loop: Header=BB432_1571 Depth=1
	v_and_b32_e32 v3, 0xffff, v68
	v_or_b32_e32 v69, 0x10000, v68
	s_delay_alu instid0(VALU_DEP_2) | instskip(NEXT) | instid1(VALU_DEP_2)
	v_cmp_eq_u32_e32 vcc_lo, 0, v3
	v_cndmask_b32_e32 v3, v69, v68, vcc_lo
; %bb.3667:                             ;   in Loop: Header=BB432_1571 Depth=1
	s_or_b32 exec_lo, exec_lo, s1
	v_lshlrev_b32_e32 v9, 16, v9
	s_delay_alu instid0(VALU_DEP_1) | instskip(NEXT) | instid1(VALU_DEP_1)
	v_mul_f32_e32 v68, v87, v9
	v_and_b32_e32 v9, 0x7f800000, v68
	s_delay_alu instid0(VALU_DEP_1) | instskip(SKIP_1) | instid1(SALU_CYCLE_1)
	v_cmp_ne_u32_e32 vcc_lo, 0x7f800000, v9
                                        ; implicit-def: $vgpr9
	s_and_saveexec_b32 s1, vcc_lo
	s_xor_b32 s1, exec_lo, s1
; %bb.3668:                             ;   in Loop: Header=BB432_1571 Depth=1
	v_bfe_u32 v9, v68, 16, 1
	s_delay_alu instid0(VALU_DEP_1)
	v_add3_u32 v9, v68, v9, 0x7fff
                                        ; implicit-def: $vgpr68
; %bb.3669:                             ;   in Loop: Header=BB432_1571 Depth=1
	s_and_not1_saveexec_b32 s1, s1
; %bb.3670:                             ;   in Loop: Header=BB432_1571 Depth=1
	v_and_b32_e32 v9, 0xffff, v68
	v_or_b32_e32 v69, 0x10000, v68
	s_delay_alu instid0(VALU_DEP_2) | instskip(NEXT) | instid1(VALU_DEP_2)
	v_cmp_eq_u32_e32 vcc_lo, 0, v9
	v_cndmask_b32_e32 v9, v69, v68, vcc_lo
; %bb.3671:                             ;   in Loop: Header=BB432_1571 Depth=1
	s_or_b32 exec_lo, exec_lo, s1
	v_lshlrev_b32_e32 v68, 16, v168
	s_delay_alu instid0(VALU_DEP_1) | instskip(NEXT) | instid1(VALU_DEP_1)
	v_mul_f32_e32 v69, v96, v68
	v_and_b32_e32 v68, 0x7f800000, v69
	s_delay_alu instid0(VALU_DEP_1) | instskip(SKIP_1) | instid1(SALU_CYCLE_1)
	v_cmp_ne_u32_e32 vcc_lo, 0x7f800000, v68
                                        ; implicit-def: $vgpr68
	s_and_saveexec_b32 s1, vcc_lo
	s_xor_b32 s1, exec_lo, s1
; %bb.3672:                             ;   in Loop: Header=BB432_1571 Depth=1
	v_bfe_u32 v68, v69, 16, 1
	s_delay_alu instid0(VALU_DEP_1)
	v_add3_u32 v68, v69, v68, 0x7fff
                                        ; implicit-def: $vgpr69
; %bb.3673:                             ;   in Loop: Header=BB432_1571 Depth=1
	s_and_not1_saveexec_b32 s1, s1
; %bb.3674:                             ;   in Loop: Header=BB432_1571 Depth=1
	v_and_b32_e32 v68, 0xffff, v69
	v_or_b32_e32 v70, 0x10000, v69
	s_delay_alu instid0(VALU_DEP_2) | instskip(NEXT) | instid1(VALU_DEP_2)
	v_cmp_eq_u32_e32 vcc_lo, 0, v68
	v_cndmask_b32_e32 v68, v70, v69, vcc_lo
; %bb.3675:                             ;   in Loop: Header=BB432_1571 Depth=1
	s_or_b32 exec_lo, exec_lo, s1
	v_lshlrev_b32_e32 v69, 16, v156
	s_delay_alu instid0(VALU_DEP_1) | instskip(NEXT) | instid1(VALU_DEP_1)
	v_mul_f32_e32 v70, v97, v69
	v_and_b32_e32 v69, 0x7f800000, v70
	s_delay_alu instid0(VALU_DEP_1) | instskip(SKIP_1) | instid1(SALU_CYCLE_1)
	v_cmp_ne_u32_e32 vcc_lo, 0x7f800000, v69
                                        ; implicit-def: $vgpr69
	s_and_saveexec_b32 s1, vcc_lo
	s_xor_b32 s1, exec_lo, s1
; %bb.3676:                             ;   in Loop: Header=BB432_1571 Depth=1
	v_bfe_u32 v69, v70, 16, 1
	s_delay_alu instid0(VALU_DEP_1)
	v_add3_u32 v69, v70, v69, 0x7fff
                                        ; implicit-def: $vgpr70
; %bb.3677:                             ;   in Loop: Header=BB432_1571 Depth=1
	s_and_not1_saveexec_b32 s1, s1
; %bb.3678:                             ;   in Loop: Header=BB432_1571 Depth=1
	v_and_b32_e32 v69, 0xffff, v70
	v_or_b32_e32 v71, 0x10000, v70
	s_delay_alu instid0(VALU_DEP_2) | instskip(NEXT) | instid1(VALU_DEP_2)
	v_cmp_eq_u32_e32 vcc_lo, 0, v69
	v_cndmask_b32_e32 v69, v71, v70, vcc_lo
; %bb.3679:                             ;   in Loop: Header=BB432_1571 Depth=1
	s_or_b32 exec_lo, exec_lo, s1
	v_lshlrev_b32_e32 v70, 16, v155
	s_delay_alu instid0(VALU_DEP_1) | instskip(NEXT) | instid1(VALU_DEP_1)
	v_mul_f32_e32 v71, v98, v70
	v_and_b32_e32 v70, 0x7f800000, v71
	s_delay_alu instid0(VALU_DEP_1) | instskip(SKIP_1) | instid1(SALU_CYCLE_1)
	v_cmp_ne_u32_e32 vcc_lo, 0x7f800000, v70
                                        ; implicit-def: $vgpr70
	s_and_saveexec_b32 s1, vcc_lo
	s_xor_b32 s1, exec_lo, s1
; %bb.3680:                             ;   in Loop: Header=BB432_1571 Depth=1
	v_bfe_u32 v70, v71, 16, 1
	s_delay_alu instid0(VALU_DEP_1)
	v_add3_u32 v70, v71, v70, 0x7fff
                                        ; implicit-def: $vgpr71
; %bb.3681:                             ;   in Loop: Header=BB432_1571 Depth=1
	s_and_not1_saveexec_b32 s1, s1
	s_cbranch_execz .LBB432_1570
; %bb.3682:                             ;   in Loop: Header=BB432_1571 Depth=1
	v_and_b32_e32 v70, 0xffff, v71
	v_or_b32_e32 v80, 0x10000, v71
	s_delay_alu instid0(VALU_DEP_2) | instskip(NEXT) | instid1(VALU_DEP_2)
	v_cmp_eq_u32_e32 vcc_lo, 0, v70
	v_cndmask_b32_e32 v70, v80, v71, vcc_lo
	s_branch .LBB432_1570
.LBB432_3683:
	s_or_b32 exec_lo, exec_lo, s9
	scratch_load_b32 v13, off, s32 offset:680 ; 4-byte Folded Reload
	v_dual_mov_b32 v0, s16 :: v_dual_mov_b32 v1, s17
.LBB432_3684:
	s_or_b32 exec_lo, exec_lo, s8
	ds_bpermute_b32 v8, v19, v31
	ds_bpermute_b32 v17, v19, v29
	v_lshlrev_b64 v[0:1], 2, v[0:1]
	s_getpc_b64 s[2:3]
	s_add_u32 s2, s2, llvm.amdgcn.dynlds.offset.table@rel32@lo+4
	s_addc_u32 s3, s3, llvm.amdgcn.dynlds.offset.table@rel32@hi+12
	s_waitcnt vmcnt(0) lgkmcnt(0)
	s_waitcnt_vscnt null, 0x0
	s_barrier
	buffer_gl0_inv
	ds_bpermute_b32 v26, v19, v28
	v_add_co_u32 v0, vcc_lo, v0, s2
	v_add_co_ci_u32_e32 v1, vcc_lo, s3, v1, vcc_lo
	ds_bpermute_b32 v2, v19, v52
	ds_bpermute_b32 v3, v19, v51
	;; [unrolled: 1-line block ×3, first 2 shown]
	global_load_b32 v22, v[0:1], off
	ds_bpermute_b32 v0, v19, v50
	ds_bpermute_b32 v5, v19, v48
	;; [unrolled: 1-line block ×4, first 2 shown]
	v_add_f32_e32 v10, v31, v8
	v_add_f32_e32 v8, v29, v17
	scratch_load_b32 v17, off, s32 offset:684 ; 4-byte Folded Reload
	ds_bpermute_b32 v9, v19, v30
	ds_bpermute_b32 v27, v19, v25
	;; [unrolled: 1-line block ×6, first 2 shown]
	v_lshrrev_b32_e32 v1, 1, v18
	v_and_b32_e32 v18, 0x3c1, v13
	s_mov_b32 s1, exec_lo
	s_waitcnt lgkmcnt(11)
	v_dual_add_f32 v16, v52, v2 :: v_dual_add_f32 v15, v51, v3
	s_waitcnt lgkmcnt(10)
	v_add_f32_e32 v14, v49, v4
	s_waitcnt lgkmcnt(8)
	v_dual_add_f32 v0, v50, v0 :: v_dual_add_f32 v13, v48, v5
	s_waitcnt lgkmcnt(6)
	v_dual_add_f32 v12, v39, v6 :: v_dual_add_f32 v11, v38, v7
	v_add_f32_e32 v7, v28, v26
	s_waitcnt lgkmcnt(4)
	v_dual_add_f32 v9, v30, v9 :: v_dual_add_f32 v6, v25, v27
	s_waitcnt lgkmcnt(2)
	v_dual_add_f32 v5, v24, v32 :: v_dual_add_f32 v4, v23, v33
	;; [unrolled: 2-line block ×3, first 2 shown]
	s_waitcnt vmcnt(0)
	v_lshl_add_u32 v17, v17, 10, v22
	v_cmpx_eq_u32_e32 64, v18
	s_cbranch_execz .LBB432_3686
; %bb.3685:
	v_lshlrev_b32_e32 v18, 2, v1
	s_delay_alu instid0(VALU_DEP_1)
	v_add3_u32 v18, v17, v18, 0xfffff800
	ds_store_2addr_b32 v18, v0, v16 offset1:16
	ds_store_2addr_b32 v18, v15, v14 offset0:32 offset1:48
	ds_store_2addr_b32 v18, v13, v12 offset0:64 offset1:80
	ds_store_2addr_b32 v18, v11, v10 offset0:96 offset1:112
	ds_store_2addr_b32 v18, v9, v8 offset0:128 offset1:144
	ds_store_2addr_b32 v18, v7, v6 offset0:160 offset1:176
	ds_store_2addr_b32 v18, v5, v4 offset0:192 offset1:208
	ds_store_2addr_b32 v18, v3, v2 offset0:224 offset1:240
.LBB432_3686:
	s_or_b32 exec_lo, exec_lo, s1
	scratch_load_b32 v18, off, s32 offset:688 ; 4-byte Folded Reload
	s_waitcnt vmcnt(0) lgkmcnt(0)
	s_barrier
	buffer_gl0_inv
	v_cmp_eq_u32_e32 vcc_lo, 0, v18
	s_mov_b32 s1, exec_lo
	s_clause 0x1
	scratch_load_b32 v19, off, s32 offset:692
	scratch_load_b32 v20, off, s32 offset:696
	s_and_b32 s0, s1, s0
	s_delay_alu instid0(SALU_CYCLE_1)
	s_mov_b32 exec_lo, s0
	s_cbranch_execz .LBB432_3705
; %bb.3687:
	s_and_saveexec_b32 s0, vcc_lo
	s_cbranch_execnz .LBB432_3794
; %bb.3688:
	s_or_b32 exec_lo, exec_lo, s0
	s_and_saveexec_b32 s0, vcc_lo
	s_cbranch_execnz .LBB432_3795
.LBB432_3689:
	s_or_b32 exec_lo, exec_lo, s0
	s_and_saveexec_b32 s0, vcc_lo
	s_cbranch_execnz .LBB432_3796
.LBB432_3690:
	s_or_b32 exec_lo, exec_lo, s0
	s_and_saveexec_b32 s0, vcc_lo
	s_cbranch_execnz .LBB432_3797
.LBB432_3691:
	s_or_b32 exec_lo, exec_lo, s0
	s_and_saveexec_b32 s0, vcc_lo
	s_cbranch_execnz .LBB432_3798
.LBB432_3692:
	s_or_b32 exec_lo, exec_lo, s0
	s_and_saveexec_b32 s0, vcc_lo
	s_cbranch_execnz .LBB432_3799
.LBB432_3693:
	s_or_b32 exec_lo, exec_lo, s0
	s_and_saveexec_b32 s0, vcc_lo
	s_cbranch_execnz .LBB432_3800
.LBB432_3694:
	s_or_b32 exec_lo, exec_lo, s0
	s_and_saveexec_b32 s0, vcc_lo
	s_cbranch_execnz .LBB432_3801
.LBB432_3695:
	s_or_b32 exec_lo, exec_lo, s0
	s_and_saveexec_b32 s0, vcc_lo
	s_cbranch_execnz .LBB432_3802
.LBB432_3696:
	s_or_b32 exec_lo, exec_lo, s0
	s_and_saveexec_b32 s0, vcc_lo
	s_cbranch_execnz .LBB432_3803
.LBB432_3697:
	s_or_b32 exec_lo, exec_lo, s0
	s_and_saveexec_b32 s0, vcc_lo
	s_cbranch_execnz .LBB432_3804
.LBB432_3698:
	s_or_b32 exec_lo, exec_lo, s0
	s_and_saveexec_b32 s0, vcc_lo
	s_cbranch_execnz .LBB432_3805
.LBB432_3699:
	s_or_b32 exec_lo, exec_lo, s0
	s_and_saveexec_b32 s0, vcc_lo
	s_cbranch_execnz .LBB432_3806
.LBB432_3700:
	s_or_b32 exec_lo, exec_lo, s0
	s_and_saveexec_b32 s0, vcc_lo
	s_cbranch_execnz .LBB432_3807
.LBB432_3701:
	s_or_b32 exec_lo, exec_lo, s0
	s_and_saveexec_b32 s0, vcc_lo
	s_cbranch_execnz .LBB432_3808
.LBB432_3702:
	s_or_b32 exec_lo, exec_lo, s0
	s_and_saveexec_b32 s0, vcc_lo
	s_cbranch_execz .LBB432_3704
.LBB432_3703:
	v_lshl_add_u32 v18, v1, 2, v17
	ds_load_b32 v18, v18 offset:960
	s_waitcnt lgkmcnt(0)
	v_add_f32_e32 v2, v18, v2
.LBB432_3704:
	s_or_b32 exec_lo, exec_lo, s0
.LBB432_3705:
	s_delay_alu instid0(SALU_CYCLE_1)
	s_or_b32 exec_lo, exec_lo, s1
	scratch_load_b32 v18, off, s32 offset:680 ; 4-byte Folded Reload
	s_mov_b32 s1, exec_lo
	s_waitcnt vmcnt(0)
	s_barrier
	buffer_gl0_inv
	v_and_b32_e32 v18, 0x3e1, v18
	s_delay_alu instid0(VALU_DEP_1)
	v_cmpx_eq_u32_e32 32, v18
	s_cbranch_execz .LBB432_3707
; %bb.3706:
	v_lshl_add_u32 v18, v1, 2, v22
	ds_store_2addr_b32 v18, v0, v16 offset1:16
	ds_store_2addr_b32 v18, v15, v14 offset0:32 offset1:48
	ds_store_2addr_b32 v18, v13, v12 offset0:64 offset1:80
	;; [unrolled: 1-line block ×7, first 2 shown]
.LBB432_3707:
	s_or_b32 exec_lo, exec_lo, s1
	scratch_load_b32 v18, off, s32 offset:680 ; 4-byte Folded Reload
	s_waitcnt vmcnt(0) lgkmcnt(0)
	s_barrier
	buffer_gl0_inv
	v_cmp_gt_u32_e64 s0, 32, v18
	s_delay_alu instid0(VALU_DEP_1)
	s_and_saveexec_b32 s1, s0
	s_cbranch_execz .LBB432_3726
; %bb.3708:
	v_lshl_add_u32 v1, v1, 2, v17
	s_and_saveexec_b32 s2, vcc_lo
	s_cbranch_execnz .LBB432_3809
; %bb.3709:
	s_or_b32 exec_lo, exec_lo, s2
	s_and_saveexec_b32 s2, vcc_lo
	s_cbranch_execnz .LBB432_3810
.LBB432_3710:
	s_or_b32 exec_lo, exec_lo, s2
	s_and_saveexec_b32 s2, vcc_lo
	s_cbranch_execnz .LBB432_3811
.LBB432_3711:
	s_or_b32 exec_lo, exec_lo, s2
	s_and_saveexec_b32 s2, vcc_lo
	s_cbranch_execnz .LBB432_3812
.LBB432_3712:
	s_or_b32 exec_lo, exec_lo, s2
	s_and_saveexec_b32 s2, vcc_lo
	s_cbranch_execnz .LBB432_3813
.LBB432_3713:
	s_or_b32 exec_lo, exec_lo, s2
	s_and_saveexec_b32 s2, vcc_lo
	s_cbranch_execnz .LBB432_3814
.LBB432_3714:
	s_or_b32 exec_lo, exec_lo, s2
	s_and_saveexec_b32 s2, vcc_lo
	s_cbranch_execnz .LBB432_3815
.LBB432_3715:
	s_or_b32 exec_lo, exec_lo, s2
	s_and_saveexec_b32 s2, vcc_lo
	s_cbranch_execnz .LBB432_3816
.LBB432_3716:
	s_or_b32 exec_lo, exec_lo, s2
	s_and_saveexec_b32 s2, vcc_lo
	s_cbranch_execnz .LBB432_3817
.LBB432_3717:
	s_or_b32 exec_lo, exec_lo, s2
	s_and_saveexec_b32 s2, vcc_lo
	s_cbranch_execnz .LBB432_3818
.LBB432_3718:
	s_or_b32 exec_lo, exec_lo, s2
	s_and_saveexec_b32 s2, vcc_lo
	s_cbranch_execnz .LBB432_3819
.LBB432_3719:
	s_or_b32 exec_lo, exec_lo, s2
	s_and_saveexec_b32 s2, vcc_lo
	s_cbranch_execnz .LBB432_3820
.LBB432_3720:
	s_or_b32 exec_lo, exec_lo, s2
	s_and_saveexec_b32 s2, vcc_lo
	s_cbranch_execnz .LBB432_3821
.LBB432_3721:
	s_or_b32 exec_lo, exec_lo, s2
	s_and_saveexec_b32 s2, vcc_lo
	s_cbranch_execnz .LBB432_3822
.LBB432_3722:
	s_or_b32 exec_lo, exec_lo, s2
	s_and_saveexec_b32 s2, vcc_lo
	s_cbranch_execnz .LBB432_3823
.LBB432_3723:
	s_or_b32 exec_lo, exec_lo, s2
	s_and_saveexec_b32 s2, vcc_lo
	s_cbranch_execz .LBB432_3725
.LBB432_3724:
	ds_load_b32 v1, v1 offset:960
	s_waitcnt lgkmcnt(0)
	v_add_f32_e32 v2, v1, v2
.LBB432_3725:
	s_or_b32 exec_lo, exec_lo, s2
.LBB432_3726:
	s_delay_alu instid0(SALU_CYCLE_1)
	s_or_b32 exec_lo, exec_lo, s1
	s_barrier
	buffer_gl0_inv
	s_and_b32 exec_lo, exec_lo, s0
	s_cbranch_execz .LBB432_3793
; %bb.3727:
	s_and_b32 exec_lo, exec_lo, vcc_lo
	s_cbranch_execz .LBB432_3793
; %bb.3728:
	v_and_b32_e32 v1, 0x7f800000, v0
	s_mov_b32 s0, exec_lo
                                        ; implicit-def: $vgpr17
	s_delay_alu instid0(VALU_DEP_1)
	v_cmpx_ne_u32_e32 0x7f800000, v1
	s_xor_b32 s0, exec_lo, s0
; %bb.3729:
	v_bfe_u32 v1, v0, 16, 1
	s_delay_alu instid0(VALU_DEP_1)
	v_add3_u32 v17, v0, v1, 0x7fff
                                        ; implicit-def: $vgpr0
; %bb.3730:
	s_and_not1_saveexec_b32 s0, s0
; %bb.3731:
	v_and_b32_e32 v1, 0xffff, v0
	v_or_b32_e32 v17, 0x10000, v0
	s_delay_alu instid0(VALU_DEP_2) | instskip(NEXT) | instid1(VALU_DEP_2)
	v_cmp_eq_u32_e32 vcc_lo, 0, v1
	v_cndmask_b32_e32 v17, v17, v0, vcc_lo
; %bb.3732:
	s_or_b32 exec_lo, exec_lo, s0
	scratch_load_b32 v0, off, s32 offset:700 ; 4-byte Folded Reload
	s_mul_i32 s1, s4, s6
	s_mul_i32 s0, s10, s4
	;; [unrolled: 1-line block ×3, first 2 shown]
	s_lshl_b32 s2, s14, 8
	s_lshl_b32 s6, s1, 8
	s_ashr_i32 s1, s0, 31
	s_ashr_i32 s3, s2, 31
	;; [unrolled: 1-line block ×3, first 2 shown]
	s_lshl_b64 s[0:1], s[0:1], 1
	s_lshl_b64 s[2:3], s[2:3], 1
	;; [unrolled: 1-line block ×3, first 2 shown]
	s_add_u32 s0, s2, s0
	s_addc_u32 s1, s3, s1
	s_add_u32 s0, s0, s6
	s_addc_u32 s1, s1, s7
	v_add_co_u32 v1, vcc_lo, s0, v20
	v_add_co_ci_u32_e32 v18, vcc_lo, s1, v19, vcc_lo
	v_and_b32_e32 v19, 0x7f800000, v16
	s_mov_b32 s0, exec_lo
	s_waitcnt vmcnt(0)
	v_lshlrev_b32_e32 v0, 1, v0
	s_delay_alu instid0(VALU_DEP_1)
	v_add_co_u32 v0, vcc_lo, v1, v0
	v_add_co_ci_u32_e32 v1, vcc_lo, 0, v18, vcc_lo
	flat_store_d16_hi_b16 v[0:1], v17
                                        ; implicit-def: $vgpr17
	v_cmpx_ne_u32_e32 0x7f800000, v19
	s_xor_b32 s0, exec_lo, s0
; %bb.3733:
	v_bfe_u32 v17, v16, 16, 1
	s_delay_alu instid0(VALU_DEP_1)
	v_add3_u32 v17, v16, v17, 0x7fff
                                        ; implicit-def: $vgpr16
; %bb.3734:
	s_and_not1_saveexec_b32 s0, s0
; %bb.3735:
	v_and_b32_e32 v17, 0xffff, v16
	v_or_b32_e32 v18, 0x10000, v16
	s_delay_alu instid0(VALU_DEP_2) | instskip(NEXT) | instid1(VALU_DEP_2)
	v_cmp_eq_u32_e32 vcc_lo, 0, v17
	v_cndmask_b32_e32 v17, v18, v16, vcc_lo
; %bb.3736:
	s_or_b32 exec_lo, exec_lo, s0
	v_and_b32_e32 v16, 0x7f800000, v15
	flat_store_d16_hi_b16 v[0:1], v17 offset:32
	v_cmp_ne_u32_e32 vcc_lo, 0x7f800000, v16
                                        ; implicit-def: $vgpr16
	s_and_saveexec_b32 s0, vcc_lo
	s_delay_alu instid0(SALU_CYCLE_1)
	s_xor_b32 s0, exec_lo, s0
; %bb.3737:
	v_bfe_u32 v16, v15, 16, 1
	s_delay_alu instid0(VALU_DEP_1)
	v_add3_u32 v16, v15, v16, 0x7fff
                                        ; implicit-def: $vgpr15
; %bb.3738:
	s_and_not1_saveexec_b32 s0, s0
; %bb.3739:
	v_and_b32_e32 v16, 0xffff, v15
	v_or_b32_e32 v17, 0x10000, v15
	s_delay_alu instid0(VALU_DEP_2) | instskip(NEXT) | instid1(VALU_DEP_2)
	v_cmp_eq_u32_e32 vcc_lo, 0, v16
	v_cndmask_b32_e32 v16, v17, v15, vcc_lo
; %bb.3740:
	s_or_b32 exec_lo, exec_lo, s0
	v_and_b32_e32 v15, 0x7f800000, v14
	flat_store_d16_hi_b16 v[0:1], v16 offset:64
	v_cmp_ne_u32_e32 vcc_lo, 0x7f800000, v15
                                        ; implicit-def: $vgpr15
	s_and_saveexec_b32 s0, vcc_lo
	s_delay_alu instid0(SALU_CYCLE_1)
	s_xor_b32 s0, exec_lo, s0
; %bb.3741:
	v_bfe_u32 v15, v14, 16, 1
	s_delay_alu instid0(VALU_DEP_1)
	v_add3_u32 v15, v14, v15, 0x7fff
                                        ; implicit-def: $vgpr14
; %bb.3742:
	s_and_not1_saveexec_b32 s0, s0
; %bb.3743:
	v_and_b32_e32 v15, 0xffff, v14
	v_or_b32_e32 v16, 0x10000, v14
	s_delay_alu instid0(VALU_DEP_2) | instskip(NEXT) | instid1(VALU_DEP_2)
	v_cmp_eq_u32_e32 vcc_lo, 0, v15
	v_cndmask_b32_e32 v15, v16, v14, vcc_lo
; %bb.3744:
	s_or_b32 exec_lo, exec_lo, s0
	v_and_b32_e32 v14, 0x7f800000, v13
	flat_store_d16_hi_b16 v[0:1], v15 offset:96
	v_cmp_ne_u32_e32 vcc_lo, 0x7f800000, v14
                                        ; implicit-def: $vgpr14
	s_and_saveexec_b32 s0, vcc_lo
	s_delay_alu instid0(SALU_CYCLE_1)
	s_xor_b32 s0, exec_lo, s0
; %bb.3745:
	v_bfe_u32 v14, v13, 16, 1
	s_delay_alu instid0(VALU_DEP_1)
	v_add3_u32 v14, v13, v14, 0x7fff
                                        ; implicit-def: $vgpr13
; %bb.3746:
	s_and_not1_saveexec_b32 s0, s0
; %bb.3747:
	v_and_b32_e32 v14, 0xffff, v13
	v_or_b32_e32 v15, 0x10000, v13
	s_delay_alu instid0(VALU_DEP_2) | instskip(NEXT) | instid1(VALU_DEP_2)
	v_cmp_eq_u32_e32 vcc_lo, 0, v14
	v_cndmask_b32_e32 v14, v15, v13, vcc_lo
; %bb.3748:
	s_or_b32 exec_lo, exec_lo, s0
	v_and_b32_e32 v13, 0x7f800000, v12
	flat_store_d16_hi_b16 v[0:1], v14 offset:128
	v_cmp_ne_u32_e32 vcc_lo, 0x7f800000, v13
                                        ; implicit-def: $vgpr13
	s_and_saveexec_b32 s0, vcc_lo
	s_delay_alu instid0(SALU_CYCLE_1)
	s_xor_b32 s0, exec_lo, s0
; %bb.3749:
	v_bfe_u32 v13, v12, 16, 1
	s_delay_alu instid0(VALU_DEP_1)
	v_add3_u32 v13, v12, v13, 0x7fff
                                        ; implicit-def: $vgpr12
; %bb.3750:
	s_and_not1_saveexec_b32 s0, s0
; %bb.3751:
	v_and_b32_e32 v13, 0xffff, v12
	v_or_b32_e32 v14, 0x10000, v12
	s_delay_alu instid0(VALU_DEP_2) | instskip(NEXT) | instid1(VALU_DEP_2)
	v_cmp_eq_u32_e32 vcc_lo, 0, v13
	v_cndmask_b32_e32 v13, v14, v12, vcc_lo
; %bb.3752:
	s_or_b32 exec_lo, exec_lo, s0
	v_and_b32_e32 v12, 0x7f800000, v11
	flat_store_d16_hi_b16 v[0:1], v13 offset:160
	v_cmp_ne_u32_e32 vcc_lo, 0x7f800000, v12
                                        ; implicit-def: $vgpr12
	s_and_saveexec_b32 s0, vcc_lo
	s_delay_alu instid0(SALU_CYCLE_1)
	s_xor_b32 s0, exec_lo, s0
; %bb.3753:
	v_bfe_u32 v12, v11, 16, 1
	s_delay_alu instid0(VALU_DEP_1)
	v_add3_u32 v12, v11, v12, 0x7fff
                                        ; implicit-def: $vgpr11
; %bb.3754:
	s_and_not1_saveexec_b32 s0, s0
; %bb.3755:
	v_and_b32_e32 v12, 0xffff, v11
	v_or_b32_e32 v13, 0x10000, v11
	s_delay_alu instid0(VALU_DEP_2) | instskip(NEXT) | instid1(VALU_DEP_2)
	v_cmp_eq_u32_e32 vcc_lo, 0, v12
	v_cndmask_b32_e32 v12, v13, v11, vcc_lo
; %bb.3756:
	s_or_b32 exec_lo, exec_lo, s0
	v_and_b32_e32 v11, 0x7f800000, v10
	flat_store_d16_hi_b16 v[0:1], v12 offset:192
	v_cmp_ne_u32_e32 vcc_lo, 0x7f800000, v11
                                        ; implicit-def: $vgpr11
	s_and_saveexec_b32 s0, vcc_lo
	s_delay_alu instid0(SALU_CYCLE_1)
	s_xor_b32 s0, exec_lo, s0
; %bb.3757:
	v_bfe_u32 v11, v10, 16, 1
	s_delay_alu instid0(VALU_DEP_1)
	v_add3_u32 v11, v10, v11, 0x7fff
                                        ; implicit-def: $vgpr10
; %bb.3758:
	s_and_not1_saveexec_b32 s0, s0
; %bb.3759:
	v_and_b32_e32 v11, 0xffff, v10
	v_or_b32_e32 v12, 0x10000, v10
	s_delay_alu instid0(VALU_DEP_2) | instskip(NEXT) | instid1(VALU_DEP_2)
	v_cmp_eq_u32_e32 vcc_lo, 0, v11
	v_cndmask_b32_e32 v11, v12, v10, vcc_lo
; %bb.3760:
	s_or_b32 exec_lo, exec_lo, s0
	v_and_b32_e32 v10, 0x7f800000, v9
	flat_store_d16_hi_b16 v[0:1], v11 offset:224
	v_cmp_ne_u32_e32 vcc_lo, 0x7f800000, v10
                                        ; implicit-def: $vgpr10
	s_and_saveexec_b32 s0, vcc_lo
	s_delay_alu instid0(SALU_CYCLE_1)
	s_xor_b32 s0, exec_lo, s0
; %bb.3761:
	v_bfe_u32 v10, v9, 16, 1
	s_delay_alu instid0(VALU_DEP_1)
	v_add3_u32 v10, v9, v10, 0x7fff
                                        ; implicit-def: $vgpr9
; %bb.3762:
	s_and_not1_saveexec_b32 s0, s0
; %bb.3763:
	v_and_b32_e32 v10, 0xffff, v9
	v_or_b32_e32 v11, 0x10000, v9
	s_delay_alu instid0(VALU_DEP_2) | instskip(NEXT) | instid1(VALU_DEP_2)
	v_cmp_eq_u32_e32 vcc_lo, 0, v10
	v_cndmask_b32_e32 v10, v11, v9, vcc_lo
; %bb.3764:
	s_or_b32 exec_lo, exec_lo, s0
	v_and_b32_e32 v9, 0x7f800000, v8
	flat_store_d16_hi_b16 v[0:1], v10 offset:256
	v_cmp_ne_u32_e32 vcc_lo, 0x7f800000, v9
                                        ; implicit-def: $vgpr9
	s_and_saveexec_b32 s0, vcc_lo
	s_delay_alu instid0(SALU_CYCLE_1)
	s_xor_b32 s0, exec_lo, s0
; %bb.3765:
	v_bfe_u32 v9, v8, 16, 1
	s_delay_alu instid0(VALU_DEP_1)
	v_add3_u32 v9, v8, v9, 0x7fff
                                        ; implicit-def: $vgpr8
; %bb.3766:
	s_and_not1_saveexec_b32 s0, s0
; %bb.3767:
	v_and_b32_e32 v9, 0xffff, v8
	v_or_b32_e32 v10, 0x10000, v8
	s_delay_alu instid0(VALU_DEP_2) | instskip(NEXT) | instid1(VALU_DEP_2)
	v_cmp_eq_u32_e32 vcc_lo, 0, v9
	v_cndmask_b32_e32 v9, v10, v8, vcc_lo
; %bb.3768:
	s_or_b32 exec_lo, exec_lo, s0
	v_and_b32_e32 v8, 0x7f800000, v7
	flat_store_d16_hi_b16 v[0:1], v9 offset:288
	v_cmp_ne_u32_e32 vcc_lo, 0x7f800000, v8
                                        ; implicit-def: $vgpr8
	s_and_saveexec_b32 s0, vcc_lo
	s_delay_alu instid0(SALU_CYCLE_1)
	s_xor_b32 s0, exec_lo, s0
; %bb.3769:
	v_bfe_u32 v8, v7, 16, 1
	s_delay_alu instid0(VALU_DEP_1)
	v_add3_u32 v8, v7, v8, 0x7fff
                                        ; implicit-def: $vgpr7
; %bb.3770:
	s_and_not1_saveexec_b32 s0, s0
; %bb.3771:
	v_and_b32_e32 v8, 0xffff, v7
	v_or_b32_e32 v9, 0x10000, v7
	s_delay_alu instid0(VALU_DEP_2) | instskip(NEXT) | instid1(VALU_DEP_2)
	v_cmp_eq_u32_e32 vcc_lo, 0, v8
	v_cndmask_b32_e32 v8, v9, v7, vcc_lo
; %bb.3772:
	s_or_b32 exec_lo, exec_lo, s0
	v_and_b32_e32 v7, 0x7f800000, v6
	flat_store_d16_hi_b16 v[0:1], v8 offset:320
	v_cmp_ne_u32_e32 vcc_lo, 0x7f800000, v7
                                        ; implicit-def: $vgpr7
	s_and_saveexec_b32 s0, vcc_lo
	s_delay_alu instid0(SALU_CYCLE_1)
	s_xor_b32 s0, exec_lo, s0
; %bb.3773:
	v_bfe_u32 v7, v6, 16, 1
	s_delay_alu instid0(VALU_DEP_1)
	v_add3_u32 v7, v6, v7, 0x7fff
                                        ; implicit-def: $vgpr6
; %bb.3774:
	s_and_not1_saveexec_b32 s0, s0
; %bb.3775:
	v_and_b32_e32 v7, 0xffff, v6
	v_or_b32_e32 v8, 0x10000, v6
	s_delay_alu instid0(VALU_DEP_2) | instskip(NEXT) | instid1(VALU_DEP_2)
	v_cmp_eq_u32_e32 vcc_lo, 0, v7
	v_cndmask_b32_e32 v7, v8, v6, vcc_lo
; %bb.3776:
	s_or_b32 exec_lo, exec_lo, s0
	v_and_b32_e32 v6, 0x7f800000, v5
	flat_store_d16_hi_b16 v[0:1], v7 offset:352
	v_cmp_ne_u32_e32 vcc_lo, 0x7f800000, v6
                                        ; implicit-def: $vgpr6
	s_and_saveexec_b32 s0, vcc_lo
	s_delay_alu instid0(SALU_CYCLE_1)
	s_xor_b32 s0, exec_lo, s0
; %bb.3777:
	v_bfe_u32 v6, v5, 16, 1
	s_delay_alu instid0(VALU_DEP_1)
	v_add3_u32 v6, v5, v6, 0x7fff
                                        ; implicit-def: $vgpr5
; %bb.3778:
	s_and_not1_saveexec_b32 s0, s0
; %bb.3779:
	v_and_b32_e32 v6, 0xffff, v5
	v_or_b32_e32 v7, 0x10000, v5
	s_delay_alu instid0(VALU_DEP_2) | instskip(NEXT) | instid1(VALU_DEP_2)
	v_cmp_eq_u32_e32 vcc_lo, 0, v6
	v_cndmask_b32_e32 v6, v7, v5, vcc_lo
; %bb.3780:
	s_or_b32 exec_lo, exec_lo, s0
	v_and_b32_e32 v5, 0x7f800000, v4
	flat_store_d16_hi_b16 v[0:1], v6 offset:384
	v_cmp_ne_u32_e32 vcc_lo, 0x7f800000, v5
                                        ; implicit-def: $vgpr5
	s_and_saveexec_b32 s0, vcc_lo
	s_delay_alu instid0(SALU_CYCLE_1)
	s_xor_b32 s0, exec_lo, s0
; %bb.3781:
	v_bfe_u32 v5, v4, 16, 1
	s_delay_alu instid0(VALU_DEP_1)
	v_add3_u32 v5, v4, v5, 0x7fff
                                        ; implicit-def: $vgpr4
; %bb.3782:
	s_and_not1_saveexec_b32 s0, s0
; %bb.3783:
	v_and_b32_e32 v5, 0xffff, v4
	v_or_b32_e32 v6, 0x10000, v4
	s_delay_alu instid0(VALU_DEP_2) | instskip(NEXT) | instid1(VALU_DEP_2)
	v_cmp_eq_u32_e32 vcc_lo, 0, v5
	v_cndmask_b32_e32 v5, v6, v4, vcc_lo
; %bb.3784:
	s_or_b32 exec_lo, exec_lo, s0
	v_and_b32_e32 v4, 0x7f800000, v3
	flat_store_d16_hi_b16 v[0:1], v5 offset:416
	v_cmp_ne_u32_e32 vcc_lo, 0x7f800000, v4
                                        ; implicit-def: $vgpr4
	s_and_saveexec_b32 s0, vcc_lo
	s_delay_alu instid0(SALU_CYCLE_1)
	s_xor_b32 s0, exec_lo, s0
; %bb.3785:
	v_bfe_u32 v4, v3, 16, 1
	s_delay_alu instid0(VALU_DEP_1)
	v_add3_u32 v4, v3, v4, 0x7fff
                                        ; implicit-def: $vgpr3
; %bb.3786:
	s_and_not1_saveexec_b32 s0, s0
; %bb.3787:
	v_and_b32_e32 v4, 0xffff, v3
	v_or_b32_e32 v5, 0x10000, v3
	s_delay_alu instid0(VALU_DEP_2) | instskip(NEXT) | instid1(VALU_DEP_2)
	v_cmp_eq_u32_e32 vcc_lo, 0, v4
	v_cndmask_b32_e32 v4, v5, v3, vcc_lo
; %bb.3788:
	s_or_b32 exec_lo, exec_lo, s0
	v_and_b32_e32 v3, 0x7f800000, v2
	flat_store_d16_hi_b16 v[0:1], v4 offset:448
	v_cmp_ne_u32_e32 vcc_lo, 0x7f800000, v3
                                        ; implicit-def: $vgpr3
	s_and_saveexec_b32 s0, vcc_lo
	s_delay_alu instid0(SALU_CYCLE_1)
	s_xor_b32 s0, exec_lo, s0
; %bb.3789:
	v_bfe_u32 v3, v2, 16, 1
	s_delay_alu instid0(VALU_DEP_1)
	v_add3_u32 v3, v2, v3, 0x7fff
                                        ; implicit-def: $vgpr2
; %bb.3790:
	s_and_not1_saveexec_b32 s0, s0
; %bb.3791:
	v_and_b32_e32 v3, 0xffff, v2
	v_or_b32_e32 v4, 0x10000, v2
	s_delay_alu instid0(VALU_DEP_2) | instskip(NEXT) | instid1(VALU_DEP_2)
	v_cmp_eq_u32_e32 vcc_lo, 0, v3
	v_cndmask_b32_e32 v3, v4, v2, vcc_lo
; %bb.3792:
	s_or_b32 exec_lo, exec_lo, s0
	flat_store_d16_hi_b16 v[0:1], v3 offset:480
.LBB432_3793:
	s_or_b32 exec_lo, exec_lo, s5
	s_clause 0x1f
	scratch_load_b32 v191, off, s32
	scratch_load_b32 v190, off, s32 offset:4
	scratch_load_b32 v189, off, s32 offset:8
	;; [unrolled: 1-line block ×31, first 2 shown]
	s_clause 0x1f
	scratch_load_b32 v127, off, s32 offset:128
	scratch_load_b32 v126, off, s32 offset:132
	;; [unrolled: 1-line block ×32, first 2 shown]
	s_clause 0xf
	scratch_load_b32 v63, off, s32 offset:256
	scratch_load_b32 v62, off, s32 offset:260
	;; [unrolled: 1-line block ×16, first 2 shown]
	s_waitcnt vmcnt(0) lgkmcnt(0)
	s_setpc_b64 s[30:31]
.LBB432_3794:
	v_lshl_add_u32 v18, v1, 2, v17
	ds_load_b32 v18, v18
	s_waitcnt lgkmcnt(0)
	v_add_f32_e32 v0, v18, v0
	s_or_b32 exec_lo, exec_lo, s0
	s_and_saveexec_b32 s0, vcc_lo
	s_cbranch_execz .LBB432_3689
.LBB432_3795:
	v_lshl_add_u32 v18, v1, 2, v17
	ds_load_b32 v18, v18 offset:64
	s_waitcnt lgkmcnt(0)
	v_add_f32_e32 v16, v18, v16
	s_or_b32 exec_lo, exec_lo, s0
	s_and_saveexec_b32 s0, vcc_lo
	s_cbranch_execz .LBB432_3690
.LBB432_3796:
	v_lshl_add_u32 v18, v1, 2, v17
	ds_load_b32 v18, v18 offset:128
	s_waitcnt lgkmcnt(0)
	v_add_f32_e32 v15, v18, v15
	s_or_b32 exec_lo, exec_lo, s0
	s_and_saveexec_b32 s0, vcc_lo
	s_cbranch_execz .LBB432_3691
.LBB432_3797:
	v_lshl_add_u32 v18, v1, 2, v17
	ds_load_b32 v18, v18 offset:192
	s_waitcnt lgkmcnt(0)
	v_add_f32_e32 v14, v18, v14
	s_or_b32 exec_lo, exec_lo, s0
	s_and_saveexec_b32 s0, vcc_lo
	s_cbranch_execz .LBB432_3692
.LBB432_3798:
	v_lshl_add_u32 v18, v1, 2, v17
	ds_load_b32 v18, v18 offset:256
	s_waitcnt lgkmcnt(0)
	v_add_f32_e32 v13, v18, v13
	s_or_b32 exec_lo, exec_lo, s0
	s_and_saveexec_b32 s0, vcc_lo
	s_cbranch_execz .LBB432_3693
.LBB432_3799:
	v_lshl_add_u32 v18, v1, 2, v17
	ds_load_b32 v18, v18 offset:320
	s_waitcnt lgkmcnt(0)
	v_add_f32_e32 v12, v18, v12
	s_or_b32 exec_lo, exec_lo, s0
	s_and_saveexec_b32 s0, vcc_lo
	s_cbranch_execz .LBB432_3694
.LBB432_3800:
	v_lshl_add_u32 v18, v1, 2, v17
	ds_load_b32 v18, v18 offset:384
	s_waitcnt lgkmcnt(0)
	v_add_f32_e32 v11, v18, v11
	s_or_b32 exec_lo, exec_lo, s0
	s_and_saveexec_b32 s0, vcc_lo
	s_cbranch_execz .LBB432_3695
.LBB432_3801:
	v_lshl_add_u32 v18, v1, 2, v17
	ds_load_b32 v18, v18 offset:448
	s_waitcnt lgkmcnt(0)
	v_add_f32_e32 v10, v18, v10
	s_or_b32 exec_lo, exec_lo, s0
	s_and_saveexec_b32 s0, vcc_lo
	s_cbranch_execz .LBB432_3696
.LBB432_3802:
	v_lshl_add_u32 v18, v1, 2, v17
	ds_load_b32 v18, v18 offset:512
	s_waitcnt lgkmcnt(0)
	v_add_f32_e32 v9, v18, v9
	s_or_b32 exec_lo, exec_lo, s0
	s_and_saveexec_b32 s0, vcc_lo
	s_cbranch_execz .LBB432_3697
.LBB432_3803:
	v_lshl_add_u32 v18, v1, 2, v17
	ds_load_b32 v18, v18 offset:576
	s_waitcnt lgkmcnt(0)
	v_add_f32_e32 v8, v18, v8
	s_or_b32 exec_lo, exec_lo, s0
	s_and_saveexec_b32 s0, vcc_lo
	s_cbranch_execz .LBB432_3698
.LBB432_3804:
	v_lshl_add_u32 v18, v1, 2, v17
	ds_load_b32 v18, v18 offset:640
	s_waitcnt lgkmcnt(0)
	v_add_f32_e32 v7, v18, v7
	s_or_b32 exec_lo, exec_lo, s0
	s_and_saveexec_b32 s0, vcc_lo
	s_cbranch_execz .LBB432_3699
.LBB432_3805:
	v_lshl_add_u32 v18, v1, 2, v17
	ds_load_b32 v18, v18 offset:704
	s_waitcnt lgkmcnt(0)
	v_add_f32_e32 v6, v18, v6
	s_or_b32 exec_lo, exec_lo, s0
	s_and_saveexec_b32 s0, vcc_lo
	s_cbranch_execz .LBB432_3700
.LBB432_3806:
	v_lshl_add_u32 v18, v1, 2, v17
	ds_load_b32 v18, v18 offset:768
	s_waitcnt lgkmcnt(0)
	v_add_f32_e32 v5, v18, v5
	s_or_b32 exec_lo, exec_lo, s0
	s_and_saveexec_b32 s0, vcc_lo
	s_cbranch_execz .LBB432_3701
.LBB432_3807:
	v_lshl_add_u32 v18, v1, 2, v17
	ds_load_b32 v18, v18 offset:832
	s_waitcnt lgkmcnt(0)
	v_add_f32_e32 v4, v18, v4
	s_or_b32 exec_lo, exec_lo, s0
	s_and_saveexec_b32 s0, vcc_lo
	s_cbranch_execz .LBB432_3702
.LBB432_3808:
	v_lshl_add_u32 v18, v1, 2, v17
	ds_load_b32 v18, v18 offset:896
	s_waitcnt lgkmcnt(0)
	v_add_f32_e32 v3, v18, v3
	s_or_b32 exec_lo, exec_lo, s0
	s_and_saveexec_b32 s0, vcc_lo
	s_cbranch_execnz .LBB432_3703
	s_branch .LBB432_3704
.LBB432_3809:
	ds_load_b32 v17, v1
	s_waitcnt lgkmcnt(0)
	v_add_f32_e32 v0, v17, v0
	s_or_b32 exec_lo, exec_lo, s2
	s_and_saveexec_b32 s2, vcc_lo
	s_cbranch_execz .LBB432_3710
.LBB432_3810:
	ds_load_b32 v17, v1 offset:64
	s_waitcnt lgkmcnt(0)
	v_add_f32_e32 v16, v17, v16
	s_or_b32 exec_lo, exec_lo, s2
	s_and_saveexec_b32 s2, vcc_lo
	s_cbranch_execz .LBB432_3711
.LBB432_3811:
	ds_load_b32 v17, v1 offset:128
	s_waitcnt lgkmcnt(0)
	v_add_f32_e32 v15, v17, v15
	s_or_b32 exec_lo, exec_lo, s2
	s_and_saveexec_b32 s2, vcc_lo
	s_cbranch_execz .LBB432_3712
.LBB432_3812:
	ds_load_b32 v17, v1 offset:192
	s_waitcnt lgkmcnt(0)
	v_add_f32_e32 v14, v17, v14
	s_or_b32 exec_lo, exec_lo, s2
	s_and_saveexec_b32 s2, vcc_lo
	s_cbranch_execz .LBB432_3713
.LBB432_3813:
	ds_load_b32 v17, v1 offset:256
	s_waitcnt lgkmcnt(0)
	v_add_f32_e32 v13, v17, v13
	s_or_b32 exec_lo, exec_lo, s2
	s_and_saveexec_b32 s2, vcc_lo
	s_cbranch_execz .LBB432_3714
.LBB432_3814:
	ds_load_b32 v17, v1 offset:320
	s_waitcnt lgkmcnt(0)
	v_add_f32_e32 v12, v17, v12
	s_or_b32 exec_lo, exec_lo, s2
	s_and_saveexec_b32 s2, vcc_lo
	s_cbranch_execz .LBB432_3715
.LBB432_3815:
	ds_load_b32 v17, v1 offset:384
	s_waitcnt lgkmcnt(0)
	v_add_f32_e32 v11, v17, v11
	s_or_b32 exec_lo, exec_lo, s2
	s_and_saveexec_b32 s2, vcc_lo
	s_cbranch_execz .LBB432_3716
.LBB432_3816:
	ds_load_b32 v17, v1 offset:448
	s_waitcnt lgkmcnt(0)
	v_add_f32_e32 v10, v17, v10
	s_or_b32 exec_lo, exec_lo, s2
	s_and_saveexec_b32 s2, vcc_lo
	s_cbranch_execz .LBB432_3717
.LBB432_3817:
	ds_load_b32 v17, v1 offset:512
	s_waitcnt lgkmcnt(0)
	v_add_f32_e32 v9, v17, v9
	s_or_b32 exec_lo, exec_lo, s2
	s_and_saveexec_b32 s2, vcc_lo
	s_cbranch_execz .LBB432_3718
.LBB432_3818:
	ds_load_b32 v17, v1 offset:576
	s_waitcnt lgkmcnt(0)
	v_add_f32_e32 v8, v17, v8
	s_or_b32 exec_lo, exec_lo, s2
	s_and_saveexec_b32 s2, vcc_lo
	s_cbranch_execz .LBB432_3719
.LBB432_3819:
	ds_load_b32 v17, v1 offset:640
	s_waitcnt lgkmcnt(0)
	v_add_f32_e32 v7, v17, v7
	s_or_b32 exec_lo, exec_lo, s2
	s_and_saveexec_b32 s2, vcc_lo
	s_cbranch_execz .LBB432_3720
.LBB432_3820:
	ds_load_b32 v17, v1 offset:704
	s_waitcnt lgkmcnt(0)
	v_add_f32_e32 v6, v17, v6
	s_or_b32 exec_lo, exec_lo, s2
	s_and_saveexec_b32 s2, vcc_lo
	s_cbranch_execz .LBB432_3721
.LBB432_3821:
	ds_load_b32 v17, v1 offset:768
	s_waitcnt lgkmcnt(0)
	v_add_f32_e32 v5, v17, v5
	s_or_b32 exec_lo, exec_lo, s2
	s_and_saveexec_b32 s2, vcc_lo
	s_cbranch_execz .LBB432_3722
.LBB432_3822:
	ds_load_b32 v17, v1 offset:832
	s_waitcnt lgkmcnt(0)
	v_add_f32_e32 v4, v17, v4
	s_or_b32 exec_lo, exec_lo, s2
	s_and_saveexec_b32 s2, vcc_lo
	s_cbranch_execz .LBB432_3723
.LBB432_3823:
	ds_load_b32 v17, v1 offset:896
	s_waitcnt lgkmcnt(0)
	v_add_f32_e32 v3, v17, v3
	s_or_b32 exec_lo, exec_lo, s2
	s_and_saveexec_b32 s2, vcc_lo
	s_cbranch_execnz .LBB432_3724
	s_branch .LBB432_3725
.Lfunc_end432:
	.size	_ZN4vllm22paged_attention_kernelI14__hip_bfloat16hLi256ELi16ELi128ELNS_18Fp8KVCacheDataTypeE1ELb0ELi512EEEvPfS3_PT_PKS4_PKT0_SA_ifPKiSC_iPKfiiiSE_SE_iiiii, .Lfunc_end432-_ZN4vllm22paged_attention_kernelI14__hip_bfloat16hLi256ELi16ELi128ELNS_18Fp8KVCacheDataTypeE1ELb0ELi512EEEvPfS3_PT_PKS4_PKT0_SA_ifPKiSC_iPKfiiiSE_SE_iiiii
                                        ; -- End function
	.section	.AMDGPU.csdata,"",@progbits
; Function info:
; codeLenInByte = 118036
; NumSgprs: 35
; NumVgprs: 192
; ScratchSize: 772
; MemoryBound: 0
	.section	.text._ZN4vllm25paged_attention_v2_kernelI14__hip_bfloat16hLi256ELi16ELi128ELNS_18Fp8KVCacheDataTypeE1ELb0ELi512EEEvPfS3_PT_PKS4_PKT0_SA_ifPKiSC_iPKfiiiSE_SE_iiiii,"axG",@progbits,_ZN4vllm25paged_attention_v2_kernelI14__hip_bfloat16hLi256ELi16ELi128ELNS_18Fp8KVCacheDataTypeE1ELb0ELi512EEEvPfS3_PT_PKS4_PKT0_SA_ifPKiSC_iPKfiiiSE_SE_iiiii,comdat
	.protected	_ZN4vllm25paged_attention_v2_kernelI14__hip_bfloat16hLi256ELi16ELi128ELNS_18Fp8KVCacheDataTypeE1ELb0ELi512EEEvPfS3_PT_PKS4_PKT0_SA_ifPKiSC_iPKfiiiSE_SE_iiiii ; -- Begin function _ZN4vllm25paged_attention_v2_kernelI14__hip_bfloat16hLi256ELi16ELi128ELNS_18Fp8KVCacheDataTypeE1ELb0ELi512EEEvPfS3_PT_PKS4_PKT0_SA_ifPKiSC_iPKfiiiSE_SE_iiiii
	.globl	_ZN4vllm25paged_attention_v2_kernelI14__hip_bfloat16hLi256ELi16ELi128ELNS_18Fp8KVCacheDataTypeE1ELb0ELi512EEEvPfS3_PT_PKS4_PKT0_SA_ifPKiSC_iPKfiiiSE_SE_iiiii
	.p2align	8
	.type	_ZN4vllm25paged_attention_v2_kernelI14__hip_bfloat16hLi256ELi16ELi128ELNS_18Fp8KVCacheDataTypeE1ELb0ELi512EEEvPfS3_PT_PKS4_PKT0_SA_ifPKiSC_iPKfiiiSE_SE_iiiii,@function
_ZN4vllm25paged_attention_v2_kernelI14__hip_bfloat16hLi256ELi16ELi128ELNS_18Fp8KVCacheDataTypeE1ELb0ELi512EEEvPfS3_PT_PKS4_PKT0_SA_ifPKiSC_iPKfiiiSE_SE_iiiii: ; @_ZN4vllm25paged_attention_v2_kernelI14__hip_bfloat16hLi256ELi16ELi128ELNS_18Fp8KVCacheDataTypeE1ELb0ELi512EEEvPfS3_PT_PKS4_PKT0_SA_ifPKiSC_iPKfiiiSE_SE_iiiii
; %bb.0:
	s_clause 0x5
	s_load_b256 s[24:31], s[0:1], 0x0
	s_load_b256 s[16:23], s[0:1], 0x20
	s_load_b64 s[2:3], s[0:1], 0x40
	s_load_b64 s[4:5], s[0:1], 0x50
	s_load_b32 s6, s[0:1], 0x48
	s_load_b256 s[36:43], s[0:1], 0x58
	v_mov_b32_e32 v31, v0
	s_add_u32 s8, s0, 0x90
	s_mov_b32 s12, s13
	s_addc_u32 s9, s1, 0
	s_mov_b32 s13, s14
	s_mov_b32 s14, s15
	;; [unrolled: 1-line block ×4, first 2 shown]
	s_getpc_b64 s[0:1]
	s_add_u32 s0, s0, _ZN4vllm22paged_attention_kernelI14__hip_bfloat16hLi256ELi16ELi128ELNS_18Fp8KVCacheDataTypeE1ELb0ELi512EEEvPfS3_PT_PKS4_PKT0_SA_ifPKiSC_iPKfiiiSE_SE_iiiii@rel32@lo+4
	s_addc_u32 s1, s1, _ZN4vllm22paged_attention_kernelI14__hip_bfloat16hLi256ELi16ELi128ELNS_18Fp8KVCacheDataTypeE1ELb0ELi512EEEvPfS3_PT_PKS4_PKT0_SA_ifPKiSC_iPKfiiiSE_SE_iiiii@rel32@hi+12
	s_waitcnt lgkmcnt(0)
	v_dual_mov_b32 v0, s24 :: v_dual_mov_b32 v1, s25
	v_dual_mov_b32 v2, s26 :: v_dual_mov_b32 v3, s27
	;; [unrolled: 1-line block ×14, first 2 shown]
	s_swappc_b64 s[30:31], s[0:1]
	s_endpgm
	.section	.rodata,"a",@progbits
	.p2align	6, 0x0
	.amdhsa_kernel _ZN4vllm25paged_attention_v2_kernelI14__hip_bfloat16hLi256ELi16ELi128ELNS_18Fp8KVCacheDataTypeE1ELb0ELi512EEEvPfS3_PT_PKS4_PKT0_SA_ifPKiSC_iPKfiiiSE_SE_iiiii
		.amdhsa_group_segment_fixed_size 544
		.amdhsa_private_segment_fixed_size 772
		.amdhsa_kernarg_size 400
		.amdhsa_user_sgpr_count 13
		.amdhsa_user_sgpr_dispatch_ptr 0
		.amdhsa_user_sgpr_queue_ptr 0
		.amdhsa_user_sgpr_kernarg_segment_ptr 1
		.amdhsa_user_sgpr_dispatch_id 0
		.amdhsa_user_sgpr_private_segment_size 0
		.amdhsa_wavefront_size32 1
		.amdhsa_uses_dynamic_stack 0
		.amdhsa_enable_private_segment 1
		.amdhsa_system_sgpr_workgroup_id_x 1
		.amdhsa_system_sgpr_workgroup_id_y 1
		.amdhsa_system_sgpr_workgroup_id_z 1
		.amdhsa_system_sgpr_workgroup_info 0
		.amdhsa_system_vgpr_workitem_id 0
		.amdhsa_next_free_vgpr 192
		.amdhsa_next_free_sgpr 44
		.amdhsa_reserve_vcc 1
		.amdhsa_float_round_mode_32 0
		.amdhsa_float_round_mode_16_64 0
		.amdhsa_float_denorm_mode_32 3
		.amdhsa_float_denorm_mode_16_64 3
		.amdhsa_dx10_clamp 1
		.amdhsa_ieee_mode 1
		.amdhsa_fp16_overflow 0
		.amdhsa_workgroup_processor_mode 1
		.amdhsa_memory_ordered 1
		.amdhsa_forward_progress 0
		.amdhsa_shared_vgpr_count 0
		.amdhsa_exception_fp_ieee_invalid_op 0
		.amdhsa_exception_fp_denorm_src 0
		.amdhsa_exception_fp_ieee_div_zero 0
		.amdhsa_exception_fp_ieee_overflow 0
		.amdhsa_exception_fp_ieee_underflow 0
		.amdhsa_exception_fp_ieee_inexact 0
		.amdhsa_exception_int_div_zero 0
	.end_amdhsa_kernel
	.section	.text._ZN4vllm25paged_attention_v2_kernelI14__hip_bfloat16hLi256ELi16ELi128ELNS_18Fp8KVCacheDataTypeE1ELb0ELi512EEEvPfS3_PT_PKS4_PKT0_SA_ifPKiSC_iPKfiiiSE_SE_iiiii,"axG",@progbits,_ZN4vllm25paged_attention_v2_kernelI14__hip_bfloat16hLi256ELi16ELi128ELNS_18Fp8KVCacheDataTypeE1ELb0ELi512EEEvPfS3_PT_PKS4_PKT0_SA_ifPKiSC_iPKfiiiSE_SE_iiiii,comdat
.Lfunc_end433:
	.size	_ZN4vllm25paged_attention_v2_kernelI14__hip_bfloat16hLi256ELi16ELi128ELNS_18Fp8KVCacheDataTypeE1ELb0ELi512EEEvPfS3_PT_PKS4_PKT0_SA_ifPKiSC_iPKfiiiSE_SE_iiiii, .Lfunc_end433-_ZN4vllm25paged_attention_v2_kernelI14__hip_bfloat16hLi256ELi16ELi128ELNS_18Fp8KVCacheDataTypeE1ELb0ELi512EEEvPfS3_PT_PKS4_PKT0_SA_ifPKiSC_iPKfiiiSE_SE_iiiii
                                        ; -- End function
	.section	.AMDGPU.csdata,"",@progbits
; Kernel info:
; codeLenInByte = 232
; NumSgprs: 46
; NumVgprs: 192
; ScratchSize: 772
; MemoryBound: 0
; FloatMode: 240
; IeeeMode: 1
; LDSByteSize: 544 bytes/workgroup (compile time only)
; SGPRBlocks: 5
; VGPRBlocks: 23
; NumSGPRsForWavesPerEU: 46
; NumVGPRsForWavesPerEU: 192
; Occupancy: 8
; WaveLimiterHint : 1
; COMPUTE_PGM_RSRC2:SCRATCH_EN: 1
; COMPUTE_PGM_RSRC2:USER_SGPR: 13
; COMPUTE_PGM_RSRC2:TRAP_HANDLER: 0
; COMPUTE_PGM_RSRC2:TGID_X_EN: 1
; COMPUTE_PGM_RSRC2:TGID_Y_EN: 1
; COMPUTE_PGM_RSRC2:TGID_Z_EN: 1
; COMPUTE_PGM_RSRC2:TIDIG_COMP_CNT: 0
	.text
	.p2align	2                               ; -- Begin function _ZN4vllm22paged_attention_kernelI14__hip_bfloat16hLi32ELi32ELi128ELNS_18Fp8KVCacheDataTypeE1ELb1ELi512EEEvPfS3_PT_PKS4_PKT0_SA_ifPKiSC_iPKfiiiSE_SE_iiiii
	.type	_ZN4vllm22paged_attention_kernelI14__hip_bfloat16hLi32ELi32ELi128ELNS_18Fp8KVCacheDataTypeE1ELb1ELi512EEEvPfS3_PT_PKS4_PKT0_SA_ifPKiSC_iPKfiiiSE_SE_iiiii,@function
_ZN4vllm22paged_attention_kernelI14__hip_bfloat16hLi32ELi32ELi128ELNS_18Fp8KVCacheDataTypeE1ELb1ELi512EEEvPfS3_PT_PKS4_PKT0_SA_ifPKiSC_iPKfiiiSE_SE_iiiii: ; @_ZN4vllm22paged_attention_kernelI14__hip_bfloat16hLi32ELi32ELi128ELNS_18Fp8KVCacheDataTypeE1ELb1ELi512EEEvPfS3_PT_PKS4_PKT0_SA_ifPKiSC_iPKfiiiSE_SE_iiiii
; %bb.0:
	s_waitcnt vmcnt(0) expcnt(0) lgkmcnt(0)
	s_clause 0x9
	scratch_store_b32 off, v40, s32 offset:44
	; meta instruction
	scratch_store_b32 off, v41, s32 offset:40
	; meta instruction
	;; [unrolled: 2-line block ×9, first 2 shown]
	scratch_store_b32 off, v57, s32 offset:8
	s_mov_b32 s4, s13
	s_ashr_i32 s5, s13, 31
	s_lshl_b32 s3, s14, 9
	s_lshl_b64 s[0:1], s[4:5], 2
	s_mov_b32 s5, exec_lo
	v_add_co_u32 v16, vcc_lo, v16, s0
	v_add_co_ci_u32_e32 v17, vcc_lo, s1, v17, vcc_lo
	flat_load_b32 v38, v[16:17]
	s_clause 0x1
	scratch_load_b32 v32, off, s32 offset:4
	scratch_load_b32 v33, off, s32
	s_waitcnt vmcnt(2) lgkmcnt(0)
	v_cmpx_lt_i32_e64 s3, v38
	s_cbranch_execz .LBB434_1013
; %bb.1:
	v_sub_nc_u32_e32 v16, 0, v12
	s_clause 0x1
	s_load_b32 s0, s[8:9], 0x10
	s_load_b32 s1, s[8:9], 0x0
	s_mov_b32 s10, s15
	v_mov_b32_e32 v64, 0
	v_max_i32_e32 v16, v12, v16
	s_delay_alu instid0(VALU_DEP_1) | instskip(SKIP_1) | instid1(VALU_DEP_2)
	v_cvt_f32_u32_e32 v17, v16
	v_sub_nc_u32_e32 v34, 0, v16
	v_rcp_iflag_f32_e32 v17, v17
	s_waitcnt lgkmcnt(0)
	s_lshr_b32 s0, s0, 16
	s_delay_alu instid0(SALU_CYCLE_1) | instskip(SKIP_3) | instid1(SALU_CYCLE_1)
	s_cmp_lg_u32 s0, 0
	s_waitcnt_depctr 0xfff
	v_mul_f32_e32 v17, 0x4f7ffffe, v17
	s_cselect_b32 s0, -1, 0
	s_cmp_lg_u32 s0, 0
	s_delay_alu instid0(VALU_DEP_1) | instskip(SKIP_3) | instid1(VALU_DEP_1)
	v_cvt_u32_f32_e32 v17, v17
	s_addc_u32 s18, s1, 0
	s_mov_b32 s1, exec_lo
	s_abs_i32 s0, s18
	v_mul_lo_u32 v34, v34, v17
	s_delay_alu instid0(VALU_DEP_1) | instskip(NEXT) | instid1(VALU_DEP_1)
	v_mul_hi_u32 v34, v17, v34
	v_add_nc_u32_e32 v17, v17, v34
	s_delay_alu instid0(VALU_DEP_1) | instskip(NEXT) | instid1(VALU_DEP_1)
	v_mul_hi_u32 v17, s0, v17
	v_mul_lo_u32 v34, v17, v16
	v_add_nc_u32_e32 v35, 1, v17
	s_delay_alu instid0(VALU_DEP_2) | instskip(SKIP_1) | instid1(VALU_DEP_1)
	v_sub_nc_u32_e32 v34, s0, v34
	s_abs_i32 s0, s12
	v_sub_nc_u32_e32 v36, v34, v16
	v_cmp_ge_u32_e32 vcc_lo, v34, v16
	s_delay_alu instid0(VALU_DEP_2) | instskip(SKIP_1) | instid1(VALU_DEP_2)
	v_dual_cndmask_b32 v17, v17, v35 :: v_dual_cndmask_b32 v34, v34, v36
	v_xor_b32_e32 v35, s18, v12
	v_add_nc_u32_e32 v36, 1, v17
	s_delay_alu instid0(VALU_DEP_3) | instskip(NEXT) | instid1(VALU_DEP_3)
	v_cmp_ge_u32_e32 vcc_lo, v34, v16
	v_ashrrev_i32_e32 v35, 31, v35
	s_delay_alu instid0(VALU_DEP_3) | instskip(NEXT) | instid1(VALU_DEP_1)
	v_cndmask_b32_e32 v16, v17, v36, vcc_lo
	v_xor_b32_e32 v16, v16, v35
	s_delay_alu instid0(VALU_DEP_1) | instskip(NEXT) | instid1(VALU_DEP_1)
	v_sub_nc_u32_e32 v35, v16, v35
	v_sub_nc_u32_e32 v16, 0, v35
	s_delay_alu instid0(VALU_DEP_1) | instskip(NEXT) | instid1(VALU_DEP_1)
	v_max_i32_e32 v34, v35, v16
	v_cvt_f32_u32_e32 v16, v34
	v_sub_nc_u32_e32 v17, 0, v34
	s_delay_alu instid0(VALU_DEP_2) | instskip(SKIP_2) | instid1(VALU_DEP_1)
	v_rcp_iflag_f32_e32 v16, v16
	s_waitcnt_depctr 0xfff
	v_mul_f32_e32 v16, 0x4f7ffffe, v16
	v_cvt_u32_f32_e32 v16, v16
	s_delay_alu instid0(VALU_DEP_1) | instskip(NEXT) | instid1(VALU_DEP_1)
	v_mul_lo_u32 v17, v17, v16
	v_mul_hi_u32 v17, v16, v17
	s_delay_alu instid0(VALU_DEP_1) | instskip(NEXT) | instid1(VALU_DEP_1)
	v_add_nc_u32_e32 v36, v16, v17
	v_mad_u64_u32 v[16:17], null, s0, v36, 0
	v_cmpx_ne_u64_e32 0, v[19:20]
	s_cbranch_execz .LBB434_3
; %bb.2:
	s_ashr_i32 s13, s12, 31
	s_delay_alu instid0(SALU_CYCLE_1) | instskip(NEXT) | instid1(SALU_CYCLE_1)
	s_lshl_b64 s[6:7], s[12:13], 2
	v_add_co_u32 v19, vcc_lo, v19, s6
	v_add_co_ci_u32_e32 v20, vcc_lo, s7, v20, vcc_lo
	flat_load_b32 v64, v[19:20]
.LBB434_3:
	s_or_b32 exec_lo, exec_lo, s1
	v_and_b32_e32 v37, 0x3ff, v31
	v_ashrrev_i32_e32 v16, 31, v35
	s_ashr_i32 s1, s12, 31
	s_lshl_b32 s6, s12, 5
	s_mov_b32 s2, exec_lo
	v_cmpx_gt_u32_e32 4, v37
	s_cbranch_execz .LBB434_5
; %bb.4:
	v_mul_lo_u32 v19, s4, v21
	s_ashr_i32 s7, s6, 31
	v_lshlrev_b32_e32 v21, 4, v37
	s_lshl_b64 s[16:17], s[6:7], 1
	s_delay_alu instid0(VALU_DEP_2) | instskip(NEXT) | instid1(VALU_DEP_1)
	v_ashrrev_i32_e32 v20, 31, v19
	v_lshlrev_b64 v[19:20], 1, v[19:20]
	s_delay_alu instid0(VALU_DEP_1) | instskip(NEXT) | instid1(VALU_DEP_2)
	v_add_co_u32 v6, vcc_lo, v6, v19
	v_add_co_ci_u32_e32 v7, vcc_lo, v7, v20, vcc_lo
	s_delay_alu instid0(VALU_DEP_2) | instskip(NEXT) | instid1(VALU_DEP_2)
	v_add_co_u32 v6, vcc_lo, v6, s16
	v_add_co_ci_u32_e32 v7, vcc_lo, s17, v7, vcc_lo
	s_delay_alu instid0(VALU_DEP_2) | instskip(NEXT) | instid1(VALU_DEP_2)
	v_add_co_u32 v6, vcc_lo, v6, v21
	v_add_co_ci_u32_e32 v7, vcc_lo, 0, v7, vcc_lo
	flat_load_b128 v[48:51], v[6:7]
	s_waitcnt vmcnt(0) lgkmcnt(0)
	ds_store_b128 v21, v[48:51]
.LBB434_5:
	s_or_b32 exec_lo, exec_lo, s2
	s_waitcnt vmcnt(0)
	v_sub_nc_u32_e32 v6, 0, v33
	v_mul_lo_u32 v7, v17, v34
	v_add_nc_u32_e32 v20, 1, v17
	v_xor_b32_e32 v16, s1, v16
	s_waitcnt lgkmcnt(0)
	s_waitcnt_vscnt null, 0x0
	v_max_i32_e32 v21, v33, v6
	s_barrier
	buffer_gl0_inv
	v_sub_nc_u32_e32 v7, s0, v7
	v_cvt_f32_u32_e32 v6, v21
	v_sub_nc_u32_e32 v19, 0, v21
	s_mov_b32 s0, exec_lo
	s_delay_alu instid0(VALU_DEP_3) | instskip(NEXT) | instid1(VALU_DEP_3)
	v_sub_nc_u32_e32 v31, v7, v34
	v_rcp_iflag_f32_e32 v6, v6
	v_cmp_ge_u32_e32 vcc_lo, v7, v34
	v_dual_cndmask_b32 v20, v17, v20 :: v_dual_add_nc_u32 v17, -1, v38
	s_waitcnt_depctr 0xfff
	v_dual_cndmask_b32 v7, v7, v31 :: v_dual_mul_f32 v6, 0x4f7ffffe, v6
	v_add_nc_u32_e32 v31, 1, v20
	s_delay_alu instid0(VALU_DEP_2) | instskip(NEXT) | instid1(VALU_DEP_3)
	v_cmp_ge_u32_e32 vcc_lo, v7, v34
	v_cvt_u32_f32_e32 v6, v6
	s_delay_alu instid0(VALU_DEP_3) | instskip(NEXT) | instid1(VALU_DEP_2)
	v_cndmask_b32_e32 v7, v20, v31, vcc_lo
	v_mul_lo_u32 v19, v19, v6
	s_delay_alu instid0(VALU_DEP_2) | instskip(NEXT) | instid1(VALU_DEP_2)
	v_xor_b32_e32 v20, v7, v16
	v_mul_hi_u32 v35, v6, v19
	v_sub_nc_u32_e32 v19, 0, v17
	s_delay_alu instid0(VALU_DEP_1) | instskip(NEXT) | instid1(VALU_DEP_3)
	v_max_i32_e32 v19, v17, v19
	v_add_nc_u32_e32 v39, v6, v35
	s_delay_alu instid0(VALU_DEP_1)
	v_mad_u64_u32 v[6:7], null, v19, v39, 0
	v_sub_nc_u32_e32 v6, v20, v16
                                        ; implicit-def: $vgpr16
	v_cmpx_gt_i32_e32 0, v32
	s_xor_b32 s0, exec_lo, s0
; %bb.6:
	s_delay_alu instid0(VALU_DEP_2) | instskip(NEXT) | instid1(VALU_DEP_1)
	v_mad_u64_u32 v[34:35], null, v28, v12, v[6:7]
                                        ; implicit-def: $vgpr28
	v_mul_lo_u32 v12, v34, v32
                                        ; implicit-def: $vgpr32
	s_delay_alu instid0(VALU_DEP_1)
	v_sub_nc_u32_e32 v16, 1, v12
; %bb.7:
	s_or_saveexec_b32 s0, s0
	v_ashrrev_i32_e32 v12, 31, v17
	v_ashrrev_i32_e32 v49, 31, v33
	s_xor_b32 exec_lo, exec_lo, s0
; %bb.8:
	v_mad_u64_u32 v[33:34], null, s18, v28, s[12:13]
	s_delay_alu instid0(VALU_DEP_1)
	v_mad_u64_u32 v[16:17], null, v33, v32, 1
; %bb.9:
	s_or_b32 exec_lo, exec_lo, s0
	v_mul_lo_u32 v17, v7, v21
	v_xor_b32_e32 v28, v12, v49
	s_clause 0x1
	s_load_b32 s15, s[8:9], 0x14
	s_load_b32 s7, s[8:9], 0x8
	v_lshrrev_b32_e32 v48, 5, v37
	s_lshl_b32 s13, s14, 4
	v_sub_nc_u32_e32 v54, 0, v30
	s_add_i32 s0, s13, 16
	v_and_b32_e32 v50, 31, v37
	v_sub_nc_u32_e32 v17, v19, v17
	v_mul_lo_u32 v19, s4, v18
	v_add_nc_u32_e32 v18, 1, v7
	s_delay_alu instid0(VALU_DEP_4) | instskip(NEXT) | instid1(VALU_DEP_4)
	v_lshlrev_b32_e32 v65, 2, v50
	v_sub_nc_u32_e32 v31, v17, v21
	v_cmp_ge_u32_e32 vcc_lo, v17, v21
	s_delay_alu instid0(VALU_DEP_2) | instskip(NEXT) | instid1(VALU_DEP_1)
	v_dual_cndmask_b32 v17, v17, v31 :: v_dual_add_nc_u32 v20, 31, v38
	v_ashrrev_i32_e32 v12, 31, v20
	v_cndmask_b32_e32 v7, v7, v18, vcc_lo
	s_delay_alu instid0(VALU_DEP_3) | instskip(NEXT) | instid1(VALU_DEP_3)
	v_cmp_ge_u32_e32 vcc_lo, v17, v21
	v_lshrrev_b32_e32 v12, 27, v12
	s_delay_alu instid0(VALU_DEP_3) | instskip(SKIP_1) | instid1(VALU_DEP_2)
	v_add_nc_u32_e32 v18, 1, v7
	v_dual_mov_b32 v102, 0xff7fffff :: v_dual_add_nc_u32 v17, s13, v48
	v_dual_cndmask_b32 v7, v7, v18 :: v_dual_add_nc_u32 v20, v20, v12
	v_mul_lo_u32 v12, v6, v23
	v_lshl_add_u32 v23, v48, 5, s3
	s_delay_alu instid0(VALU_DEP_4) | instskip(NEXT) | instid1(VALU_DEP_4)
	v_ashrrev_i32_e32 v18, 31, v17
	v_ashrrev_i32_e32 v53, 5, v20
	v_xor_b32_e32 v6, v7, v28
	v_ashrrev_i32_e32 v20, 31, v19
	s_delay_alu instid0(VALU_DEP_3) | instskip(NEXT) | instid1(VALU_DEP_3)
	v_min_i32_e32 v51, s0, v53
	v_sub_nc_u32_e32 v28, v6, v28
	s_delay_alu instid0(VALU_DEP_3) | instskip(SKIP_1) | instid1(VALU_DEP_4)
	v_lshlrev_b64 v[6:7], 2, v[19:20]
	v_ashrrev_i32_e32 v55, 31, v12
	v_cmp_lt_i32_e64 s0, v17, v51
	s_delay_alu instid0(VALU_DEP_4) | instskip(NEXT) | instid1(VALU_DEP_2)
	v_sub_nc_u32_e32 v52, v28, v29
	s_and_saveexec_b32 s19, s0
	s_cbranch_execz .LBB434_401
; %bb.10:
	v_dual_mov_b32 v20, 0 :: v_dual_lshlrev_b32 v19, 4, v50
	v_max_i32_e32 v66, v30, v54
	v_add_co_u32 v8, vcc_lo, v8, v12
	ds_load_b128 v[31:34], v20
	ds_load_b128 v[96:99], v20 offset:16
	ds_load_b128 v[112:115], v20 offset:32
	;; [unrolled: 1-line block ×3, first 2 shown]
	v_cvt_f32_u32_e32 v28, v66
	v_add_co_ci_u32_e32 v9, vcc_lo, v9, v55, vcc_lo
	v_add_co_u32 v8, vcc_lo, v8, v19
	s_delay_alu instid0(VALU_DEP_3)
	v_rcp_iflag_f32_e32 v19, v28
	v_sub_nc_u32_e32 v28, 0, v66
	s_getpc_b64 s[8:9]
	s_add_u32 s8, s8, llvm.amdgcn.dynlds.offset.table@rel32@lo+4
	s_addc_u32 s9, s9, llvm.amdgcn.dynlds.offset.table@rel32@hi+12
	s_ashr_i32 s11, s10, 31
	v_add_co_ci_u32_e32 v9, vcc_lo, 0, v9, vcc_lo
	s_lshl_b64 s[16:17], s[10:11], 2
	v_cmp_neq_f32_e32 vcc_lo, 0, v64
	s_add_u32 s8, s16, s8
	s_addc_u32 s9, s17, s9
	s_waitcnt_depctr 0xfff
	v_mul_f32_e32 v19, 0x4f7ffffe, v19
	s_waitcnt lgkmcnt(0)
	v_dual_mov_b32 v144, 0xff7fffff :: v_dual_lshlrev_b32 v67, 16, v31
	v_lshlrev_b32_e32 v83, 16, v96
	v_and_b32_e32 v84, 0xffff0000, v96
	v_lshlrev_b32_e32 v85, 16, v97
	v_and_b32_e32 v86, 0xffff0000, v97
	;; [unrolled: 2-line block ×5, first 2 shown]
	v_lshlrev_b32_e32 v112, 16, v114
	v_cvt_u32_f32_e32 v19, v19
	v_dual_mov_b32 v145, v17 :: v_dual_and_b32 v68, 0xffff0000, v31
	s_load_b32 s11, s[8:9], 0x0
	v_dual_mov_b32 v102, 0xff7fffff :: v_dual_lshlrev_b32 v69, 16, v32
	s_delay_alu instid0(VALU_DEP_3)
	v_mul_lo_u32 v28, v28, v19
	v_and_b32_e32 v70, 0xffff0000, v32
	v_lshlrev_b32_e32 v71, 16, v33
	v_and_b32_e32 v80, 0xffff0000, v33
	v_lshlrev_b32_e32 v81, 16, v34
	;; [unrolled: 2-line block ×3, first 2 shown]
	v_and_b32_e32 v103, 0xffff0000, v113
	v_mul_hi_u32 v31, v19, v28
	v_lshlrev_b64 v[28:29], 2, v[17:18]
	v_and_b32_e32 v113, 0xffff0000, v114
	v_lshlrev_b32_e32 v114, 16, v115
	v_and_b32_e32 v115, 0xffff0000, v115
	v_lshlrev_b32_e32 v116, 16, v128
	;; [unrolled: 2-line block ×3, first 2 shown]
	v_add_nc_u32_e32 v132, v19, v31
	v_add_co_u32 v19, s1, v6, v28
	s_delay_alu instid0(VALU_DEP_1) | instskip(SKIP_1) | instid1(VALU_DEP_3)
	v_add_co_ci_u32_e64 v29, s1, v7, v29, s1
	v_sub_nc_u32_e32 v31, v50, v38
	v_add_co_u32 v28, s1, v14, v19
	v_and_b32_e32 v119, 0xffff0000, v129
	v_lshlrev_b32_e32 v128, 16, v130
	v_and_b32_e32 v129, 0xffff0000, v130
	v_lshlrev_b32_e32 v130, 16, v131
	v_and_b32_e32 v131, 0xffff0000, v131
	v_add_co_ci_u32_e64 v29, s1, v15, v29, s1
	v_lshl_add_u32 v133, v48, 5, s3
	v_lshl_or_b32 v134, v48, 7, v65
	v_add_nc_u32_e32 v135, 1, v31
	s_mov_b32 s16, -1
	s_mov_b32 s17, 0xffffff
	s_mov_b32 s20, 0
	s_branch .LBB434_13
.LBB434_11:                             ;   in Loop: Header=BB434_13 Depth=1
	s_or_b32 exec_lo, exec_lo, s21
	v_and_b32_e32 v163, 0xffff0000, v163
	v_and_b32_e32 v146, 0xffff0000, v181
	v_and_b32_e32 v148, 0xffff0000, v148
	v_and_b32_e32 v147, 0xffff0000, v147
	s_delay_alu instid0(VALU_DEP_4) | instskip(SKIP_4) | instid1(VALU_DEP_4)
	v_dual_mul_f32 v163, v83, v163 :: v_dual_and_b32 v42, 0xffff0000, v42
	v_and_b32_e32 v164, 0xffff0000, v164
	v_and_b32_e32 v31, 0xffff0000, v35
	;; [unrolled: 1-line block ×4, first 2 shown]
	v_dual_fmac_f32 v163, v67, v147 :: v_dual_mul_f32 v164, v84, v164
	v_and_b32_e32 v35, 0xffff0000, v182
	v_and_b32_e32 v33, 0xffff0000, v33
	;; [unrolled: 1-line block ×3, first 2 shown]
	s_load_b32 s21, s[8:9], 0x0
	v_dual_fmac_f32 v164, v68, v148 :: v_dual_and_b32 v167, 0xffff0000, v167
	s_delay_alu instid0(VALU_DEP_1) | instskip(SKIP_2) | instid1(VALU_DEP_3)
	v_dual_fmac_f32 v164, v100, v180 :: v_dual_and_b32 v19, 0xffff0000, v19
	v_and_b32_e32 v165, 0xffff0000, v165
	v_and_b32_e32 v166, 0xffff0000, v166
	v_fmac_f32_e32 v164, v117, v42
	s_delay_alu instid0(VALU_DEP_3) | instskip(SKIP_2) | instid1(VALU_DEP_3)
	v_dual_mul_f32 v165, v85, v165 :: v_dual_and_b32 v32, 0xffff0000, v183
	v_and_b32_e32 v36, 0xffff0000, v36
	v_and_b32_e32 v183, 0xffff0000, v45
	v_fmac_f32_e32 v165, v69, v149
	v_mul_f32_e32 v149, v87, v167
	v_dual_mul_f32 v148, v86, v166 :: v_dual_and_b32 v179, 0xffff0000, v179
	s_delay_alu instid0(VALU_DEP_3) | instskip(NEXT) | instid1(VALU_DEP_2)
	v_dual_fmac_f32 v165, v101, v146 :: v_dual_and_b32 v176, 0xffff0000, v176
	v_dual_fmac_f32 v163, v99, v179 :: v_dual_and_b32 v178, 0xffff0000, v178
	s_delay_alu instid0(VALU_DEP_2) | instskip(NEXT) | instid1(VALU_DEP_2)
	v_dual_mul_f32 v146, v96, v176 :: v_dual_and_b32 v151, 0xffff0000, v151
	v_dual_fmac_f32 v163, v116, v147 :: v_dual_and_b32 v160, 0xffff0000, v160
	s_delay_alu instid0(VALU_DEP_2) | instskip(NEXT) | instid1(VALU_DEP_2)
	v_dual_fmac_f32 v149, v71, v151 :: v_dual_and_b32 v162, 0xffff0000, v162
	v_dual_fmac_f32 v146, v80, v160 :: v_dual_and_b32 v161, 0xffff0000, v161
	s_delay_alu instid0(VALU_DEP_2) | instskip(NEXT) | instid1(VALU_DEP_2)
	v_dual_fmac_f32 v149, v112, v32 :: v_dual_add_nc_u32 v182, v135, v133
	v_fmac_f32_e32 v146, v113, v31
	v_and_b32_e32 v43, 0xffff0000, v43
	s_delay_alu instid0(VALU_DEP_2) | instskip(NEXT) | instid1(VALU_DEP_2)
	v_dual_fmac_f32 v149, v128, v183 :: v_dual_fmac_f32 v146, v129, v33
	v_dual_fmac_f32 v165, v118, v43 :: v_dual_and_b32 v150, 0xffff0000, v150
	v_and_b32_e32 v181, 0xffff0000, v40
	v_cvt_f32_i32_e32 v33, v182
	s_delay_alu instid0(VALU_DEP_3) | instskip(NEXT) | instid1(VALU_DEP_1)
	v_dual_fmac_f32 v148, v70, v150 :: v_dual_and_b32 v177, 0xffff0000, v177
	v_fmac_f32_e32 v148, v103, v35
	v_add_f32_e32 v35, v163, v164
	s_delay_alu instid0(VALU_DEP_3) | instskip(NEXT) | instid1(VALU_DEP_2)
	v_dual_mul_f32 v147, v97, v177 :: v_dual_and_b32 v40, 0xffff0000, v44
	v_add_f32_e32 v32, v35, v165
	s_delay_alu instid0(VALU_DEP_2) | instskip(SKIP_1) | instid1(VALU_DEP_2)
	v_dual_fmac_f32 v147, v81, v161 :: v_dual_fmac_f32 v148, v119, v40
	v_mul_f32_e32 v35, v98, v178
	v_fmac_f32_e32 v147, v114, v36
	s_delay_alu instid0(VALU_DEP_3) | instskip(NEXT) | instid1(VALU_DEP_1)
	v_dual_add_f32 v31, v148, v32 :: v_dual_and_b32 v32, 0xffff0000, v34
	v_add_f32_e32 v31, v149, v31
	s_delay_alu instid0(VALU_DEP_2) | instskip(SKIP_1) | instid1(VALU_DEP_3)
	v_dual_fmac_f32 v147, v130, v32 :: v_dual_mul_f32 v32, v64, v33
	v_fmac_f32_e32 v35, v82, v162
	v_add_f32_e32 v31, v146, v31
	s_delay_alu instid0(VALU_DEP_2) | instskip(NEXT) | instid1(VALU_DEP_1)
	v_fmac_f32_e32 v35, v115, v181
	v_fmac_f32_e32 v35, v131, v19
	s_delay_alu instid0(VALU_DEP_3) | instskip(SKIP_1) | instid1(VALU_DEP_2)
	v_add_f32_e32 v19, v147, v31
	v_dual_cndmask_b32 v31, 0, v32 :: v_dual_add_nc_u32 v32, v50, v133
	v_add_f32_e32 v19, v35, v19
	s_delay_alu instid0(VALU_DEP_2) | instskip(SKIP_1) | instid1(VALU_DEP_2)
	v_cmp_lt_i32_e64 s1, v32, v38
	s_waitcnt lgkmcnt(0)
	v_dual_fmac_f32 v31, v19, v13 :: v_dual_add_nc_u32 v32, s21, v134
	v_max_f32_e32 v19, v102, v102
	s_delay_alu instid0(VALU_DEP_1) | instskip(SKIP_1) | instid1(VALU_DEP_2)
	v_max_f32_e32 v19, v19, v31
	v_cndmask_b32_e64 v31, 0, v31, s1
	v_cndmask_b32_e64 v102, v102, v19, s1
	ds_store_b32 v32, v31
.LBB434_12:                             ;   in Loop: Header=BB434_13 Depth=1
	s_or_b32 exec_lo, exec_lo, s2
	v_add_nc_u32_e32 v145, 4, v145
	v_add_co_u32 v28, s2, v28, 16
	s_delay_alu instid0(VALU_DEP_1) | instskip(NEXT) | instid1(VALU_DEP_3)
	v_add_co_ci_u32_e64 v29, s2, 0, v29, s2
	v_cmp_ge_i32_e64 s1, v145, v51
	v_add_nc_u32_e32 v133, 0x80, v133
	v_add_nc_u32_e32 v134, 0x200, v134
	s_delay_alu instid0(VALU_DEP_3) | instskip(NEXT) | instid1(SALU_CYCLE_1)
	s_or_b32 s20, s1, s20
	s_and_not1_b32 exec_lo, exec_lo, s20
	s_cbranch_execz .LBB434_400
.LBB434_13:                             ; =>This Inner Loop Header: Depth=1
	v_sub_nc_u32_e32 v19, 0, v133
	s_delay_alu instid0(VALU_DEP_1) | instskip(NEXT) | instid1(VALU_DEP_1)
	v_max_i32_e32 v19, v133, v19
	v_mul_hi_u32 v31, v19, v39
	s_delay_alu instid0(VALU_DEP_1) | instskip(NEXT) | instid1(VALU_DEP_1)
	v_mul_lo_u32 v32, v31, v21
	v_sub_nc_u32_e32 v19, v19, v32
	v_add_nc_u32_e32 v32, 1, v31
	s_delay_alu instid0(VALU_DEP_2) | instskip(SKIP_1) | instid1(VALU_DEP_1)
	v_sub_nc_u32_e32 v33, v19, v21
	v_cmp_ge_u32_e64 s1, v19, v21
	v_cndmask_b32_e64 v31, v31, v32, s1
	s_delay_alu instid0(VALU_DEP_3) | instskip(SKIP_1) | instid1(VALU_DEP_3)
	v_cndmask_b32_e64 v19, v19, v33, s1
	v_ashrrev_i32_e32 v32, 31, v133
	v_add_nc_u32_e32 v33, 1, v31
	s_delay_alu instid0(VALU_DEP_3) | instskip(NEXT) | instid1(VALU_DEP_3)
	v_cmp_ge_u32_e64 s1, v19, v21
	v_xor_b32_e32 v32, v32, v49
	s_delay_alu instid0(VALU_DEP_2) | instskip(NEXT) | instid1(VALU_DEP_1)
	v_cndmask_b32_e64 v19, v31, v33, s1
	v_xor_b32_e32 v19, v19, v32
	s_delay_alu instid0(VALU_DEP_1) | instskip(NEXT) | instid1(VALU_DEP_1)
	v_sub_nc_u32_e32 v19, v19, v32
	v_add_nc_u32_e32 v31, v19, v16
	v_cmp_le_i32_e64 s2, v19, v52
	s_delay_alu instid0(VALU_DEP_2) | instskip(NEXT) | instid1(VALU_DEP_1)
	v_sub_nc_u32_e32 v32, 0, v31
	v_max_i32_e32 v32, v31, v32
	v_ashrrev_i32_e32 v31, 31, v31
	s_delay_alu instid0(VALU_DEP_2) | instskip(NEXT) | instid1(VALU_DEP_1)
	v_mul_hi_u32 v33, v32, v132
	v_mul_lo_u32 v33, v33, v66
	s_delay_alu instid0(VALU_DEP_1) | instskip(NEXT) | instid1(VALU_DEP_1)
	v_sub_nc_u32_e32 v32, v32, v33
	v_sub_nc_u32_e32 v33, v32, v66
	v_cmp_ge_u32_e64 s1, v32, v66
	s_delay_alu instid0(VALU_DEP_1) | instskip(NEXT) | instid1(VALU_DEP_1)
	v_cndmask_b32_e64 v32, v32, v33, s1
	v_sub_nc_u32_e32 v33, v32, v66
	v_cmp_ge_u32_e64 s1, v32, v66
	s_delay_alu instid0(VALU_DEP_1) | instskip(NEXT) | instid1(VALU_DEP_1)
	v_cndmask_b32_e64 v32, v32, v33, s1
	v_xor_b32_e32 v32, v32, v31
	s_delay_alu instid0(VALU_DEP_1) | instskip(NEXT) | instid1(VALU_DEP_1)
	v_sub_nc_u32_e32 v31, v32, v31
	v_cmp_ne_u32_e64 s1, 0, v31
	s_delay_alu instid0(VALU_DEP_1) | instskip(NEXT) | instid1(SALU_CYCLE_1)
	s_and_b32 s1, s1, s2
	s_and_saveexec_b32 s2, s1
	s_delay_alu instid0(SALU_CYCLE_1)
	s_xor_b32 s1, exec_lo, s2
	s_cbranch_execz .LBB434_15
; %bb.14:                               ;   in Loop: Header=BB434_13 Depth=1
	s_waitcnt lgkmcnt(0)
	v_add_nc_u32_e32 v19, s11, v134
	ds_store_b32 v19, v144
.LBB434_15:                             ;   in Loop: Header=BB434_13 Depth=1
	s_and_not1_saveexec_b32 s2, s1
	s_cbranch_execz .LBB434_12
; %bb.16:                               ;   in Loop: Header=BB434_13 Depth=1
	flat_load_b32 v19, v[28:29]
	s_mov_b32 s21, exec_lo
	s_waitcnt vmcnt(0) lgkmcnt(0)
	v_mad_i64_i32 v[31:32], null, v19, v22, v[8:9]
	v_mov_b32_e32 v19, 0
	flat_load_b64 v[33:34], v[31:32]
	flat_load_b32 v146, v[24:25]
	s_waitcnt vmcnt(1) lgkmcnt(1)
	v_and_b32_e32 v35, 0xff, v33
	s_delay_alu instid0(VALU_DEP_1)
	v_cmpx_ne_u16_e32 0, v35
	s_cbranch_execz .LBB434_24
; %bb.17:                               ;   in Loop: Header=BB434_13 Depth=1
	v_bfrev_b32_e32 v19, 1
	s_mov_b32 s22, exec_lo
	v_cmpx_ne_u16_e32 0x80, v35
	s_cbranch_execz .LBB434_23
; %bb.18:                               ;   in Loop: Header=BB434_13 Depth=1
	v_and_b32_e32 v35, 0x7f, v33
	v_mov_b32_e32 v19, 0x7f800001
	s_mov_b32 s23, exec_lo
	s_delay_alu instid0(VALU_DEP_2)
	v_cmpx_ne_u32_e32 0x7f, v35
	s_cbranch_execz .LBB434_22
; %bb.19:                               ;   in Loop: Header=BB434_13 Depth=1
	v_lshrrev_b32_e32 v19, 3, v35
	v_cmp_gt_u32_e64 s1, 8, v35
	v_dual_mov_b32 v36, v34 :: v_dual_mov_b32 v35, v33
	s_delay_alu instid0(VALU_DEP_2)
	s_and_saveexec_b32 s24, s1
; %bb.20:                               ;   in Loop: Header=BB434_13 Depth=1
	v_and_b32_e32 v19, 7, v33
	s_delay_alu instid0(VALU_DEP_1) | instskip(NEXT) | instid1(VALU_DEP_1)
	v_clz_i32_u32_e32 v19, v19
	v_min_u32_e32 v19, 32, v19
	s_delay_alu instid0(VALU_DEP_1) | instskip(SKIP_1) | instid1(VALU_DEP_2)
	v_subrev_nc_u32_e32 v35, 28, v19
	v_sub_nc_u32_e32 v19, 29, v19
	v_lshlrev_b64 v[35:36], v35, v[33:34]
; %bb.21:                               ;   in Loop: Header=BB434_13 Depth=1
	s_or_b32 exec_lo, exec_lo, s24
	s_delay_alu instid0(VALU_DEP_1) | instskip(SKIP_2) | instid1(VALU_DEP_3)
	v_lshlrev_b32_e32 v35, 20, v35
	v_lshlrev_b32_e32 v36, 24, v33
	v_lshl_add_u32 v19, v19, 23, 0x3c000000
	v_and_b32_e32 v35, 0x700000, v35
	s_delay_alu instid0(VALU_DEP_3) | instskip(NEXT) | instid1(VALU_DEP_1)
	v_and_b32_e32 v36, 0x80000000, v36
	v_or3_b32 v19, v35, v36, v19
.LBB434_22:                             ;   in Loop: Header=BB434_13 Depth=1
	s_or_b32 exec_lo, exec_lo, s23
.LBB434_23:                             ;   in Loop: Header=BB434_13 Depth=1
	s_delay_alu instid0(SALU_CYCLE_1)
	s_or_b32 exec_lo, exec_lo, s22
.LBB434_24:                             ;   in Loop: Header=BB434_13 Depth=1
	s_delay_alu instid0(SALU_CYCLE_1) | instskip(SKIP_2) | instid1(VALU_DEP_1)
	s_or_b32 exec_lo, exec_lo, s21
	s_waitcnt vmcnt(0) lgkmcnt(0)
	v_mul_f32_e32 v19, v146, v19
                                        ; implicit-def: $vgpr147
	v_and_b32_e32 v35, 0x7f800000, v19
	s_delay_alu instid0(VALU_DEP_1) | instskip(NEXT) | instid1(VALU_DEP_1)
	v_cmp_ne_u32_e64 s1, 0x7f800000, v35
	s_and_saveexec_b32 s21, s1
	s_delay_alu instid0(SALU_CYCLE_1)
	s_xor_b32 s1, exec_lo, s21
; %bb.25:                               ;   in Loop: Header=BB434_13 Depth=1
	v_bfe_u32 v35, v19, 16, 1
	s_delay_alu instid0(VALU_DEP_1)
	v_add3_u32 v147, v19, v35, 0x7fff
                                        ; implicit-def: $vgpr19
; %bb.26:                               ;   in Loop: Header=BB434_13 Depth=1
	s_and_not1_saveexec_b32 s21, s1
; %bb.27:                               ;   in Loop: Header=BB434_13 Depth=1
	v_and_b32_e32 v35, 0xffff, v19
	v_or_b32_e32 v36, 0x10000, v19
	s_delay_alu instid0(VALU_DEP_2) | instskip(NEXT) | instid1(VALU_DEP_1)
	v_cmp_eq_u32_e64 s1, 0, v35
	v_cndmask_b32_e64 v147, v36, v19, s1
; %bb.28:                               ;   in Loop: Header=BB434_13 Depth=1
	s_or_b32 exec_lo, exec_lo, s21
	v_lshrrev_b16 v35, 8, v33
	v_mov_b32_e32 v19, 0
	s_mov_b32 s21, exec_lo
	s_delay_alu instid0(VALU_DEP_2)
	v_cmpx_ne_u16_e32 0, v35
	s_cbranch_execz .LBB434_36
; %bb.29:                               ;   in Loop: Header=BB434_13 Depth=1
	v_bfrev_b32_e32 v19, 1
	s_mov_b32 s22, exec_lo
	v_cmpx_ne_u16_e32 0x80, v35
	s_cbranch_execz .LBB434_35
; %bb.30:                               ;   in Loop: Header=BB434_13 Depth=1
	v_and_b32_e32 v35, 0xffff, v35
	v_mov_b32_e32 v19, 0x7f800001
	s_mov_b32 s23, exec_lo
	s_delay_alu instid0(VALU_DEP_2) | instskip(NEXT) | instid1(VALU_DEP_1)
	v_and_b32_e32 v36, 0x7f, v35
	v_cmpx_ne_u32_e32 0x7f, v36
	s_cbranch_execz .LBB434_34
; %bb.31:                               ;   in Loop: Header=BB434_13 Depth=1
	v_and_b32_e32 v19, 7, v35
	v_lshrrev_b32_e32 v35, 3, v36
	s_mov_b32 s24, exec_lo
	v_cmpx_gt_u32_e32 8, v36
; %bb.32:                               ;   in Loop: Header=BB434_13 Depth=1
	s_delay_alu instid0(VALU_DEP_3) | instskip(NEXT) | instid1(VALU_DEP_1)
	v_clz_i32_u32_e32 v35, v19
	v_min_u32_e32 v35, 32, v35
	s_delay_alu instid0(VALU_DEP_1) | instskip(SKIP_1) | instid1(VALU_DEP_2)
	v_subrev_nc_u32_e32 v36, 28, v35
	v_sub_nc_u32_e32 v35, 29, v35
	v_lshlrev_b64 v[148:149], v36, v[19:20]
	s_delay_alu instid0(VALU_DEP_1)
	v_and_b32_e32 v19, 7, v148
; %bb.33:                               ;   in Loop: Header=BB434_13 Depth=1
	s_or_b32 exec_lo, exec_lo, s24
	v_lshlrev_b32_e32 v36, 16, v33
	s_delay_alu instid0(VALU_DEP_2) | instskip(SKIP_1) | instid1(VALU_DEP_3)
	v_lshlrev_b32_e32 v19, 20, v19
	v_lshl_add_u32 v35, v35, 23, 0x3c000000
	v_and_b32_e32 v36, 0x80000000, v36
	s_delay_alu instid0(VALU_DEP_1)
	v_or3_b32 v19, v19, v36, v35
.LBB434_34:                             ;   in Loop: Header=BB434_13 Depth=1
	s_or_b32 exec_lo, exec_lo, s23
.LBB434_35:                             ;   in Loop: Header=BB434_13 Depth=1
	s_delay_alu instid0(SALU_CYCLE_1)
	s_or_b32 exec_lo, exec_lo, s22
.LBB434_36:                             ;   in Loop: Header=BB434_13 Depth=1
	s_delay_alu instid0(SALU_CYCLE_1) | instskip(NEXT) | instid1(VALU_DEP_1)
	s_or_b32 exec_lo, exec_lo, s21
	v_mul_f32_e32 v19, v146, v19
                                        ; implicit-def: $vgpr148
	s_delay_alu instid0(VALU_DEP_1) | instskip(NEXT) | instid1(VALU_DEP_1)
	v_and_b32_e32 v35, 0x7f800000, v19
	v_cmp_ne_u32_e64 s1, 0x7f800000, v35
	s_delay_alu instid0(VALU_DEP_1) | instskip(NEXT) | instid1(SALU_CYCLE_1)
	s_and_saveexec_b32 s21, s1
	s_xor_b32 s1, exec_lo, s21
; %bb.37:                               ;   in Loop: Header=BB434_13 Depth=1
	v_bfe_u32 v35, v19, 16, 1
	s_delay_alu instid0(VALU_DEP_1)
	v_add3_u32 v148, v19, v35, 0x7fff
                                        ; implicit-def: $vgpr19
; %bb.38:                               ;   in Loop: Header=BB434_13 Depth=1
	s_and_not1_saveexec_b32 s21, s1
; %bb.39:                               ;   in Loop: Header=BB434_13 Depth=1
	v_and_b32_e32 v35, 0xffff, v19
	v_or_b32_e32 v36, 0x10000, v19
	s_delay_alu instid0(VALU_DEP_2) | instskip(NEXT) | instid1(VALU_DEP_1)
	v_cmp_eq_u32_e64 s1, 0, v35
	v_cndmask_b32_e64 v148, v36, v19, s1
; %bb.40:                               ;   in Loop: Header=BB434_13 Depth=1
	s_or_b32 exec_lo, exec_lo, s21
	v_lshrrev_b32_e32 v35, 16, v33
	s_mov_b32 s21, exec_lo
	s_delay_alu instid0(VALU_DEP_1) | instskip(NEXT) | instid1(VALU_DEP_1)
	v_dual_mov_b32 v19, 0 :: v_dual_and_b32 v36, 0xff, v35
	v_cmpx_ne_u16_e32 0, v36
	s_cbranch_execz .LBB434_48
; %bb.41:                               ;   in Loop: Header=BB434_13 Depth=1
	v_bfrev_b32_e32 v19, 1
	s_mov_b32 s22, exec_lo
	v_cmpx_ne_u16_e32 0x80, v36
	s_cbranch_execz .LBB434_47
; %bb.42:                               ;   in Loop: Header=BB434_13 Depth=1
	v_bfe_u32 v149, v33, 16, 7
	v_mov_b32_e32 v19, 0x7f800001
	s_mov_b32 s23, exec_lo
	s_delay_alu instid0(VALU_DEP_2)
	v_cmpx_ne_u32_e32 0x7f, v149
	s_cbranch_execz .LBB434_46
; %bb.43:                               ;   in Loop: Header=BB434_13 Depth=1
	v_and_b32_e32 v19, 7, v35
	v_lshrrev_b32_e32 v36, 3, v149
	s_mov_b32 s24, exec_lo
	v_cmpx_gt_u32_e32 8, v149
; %bb.44:                               ;   in Loop: Header=BB434_13 Depth=1
	s_delay_alu instid0(VALU_DEP_3) | instskip(NEXT) | instid1(VALU_DEP_1)
	v_clz_i32_u32_e32 v36, v19
	v_min_u32_e32 v36, 32, v36
	s_delay_alu instid0(VALU_DEP_1) | instskip(SKIP_1) | instid1(VALU_DEP_2)
	v_subrev_nc_u32_e32 v149, 28, v36
	v_sub_nc_u32_e32 v36, 29, v36
	v_lshlrev_b64 v[149:150], v149, v[19:20]
	s_delay_alu instid0(VALU_DEP_1)
	v_and_b32_e32 v19, 7, v149
; %bb.45:                               ;   in Loop: Header=BB434_13 Depth=1
	s_or_b32 exec_lo, exec_lo, s24
	v_lshlrev_b32_e32 v35, 24, v35
	s_delay_alu instid0(VALU_DEP_2) | instskip(SKIP_1) | instid1(VALU_DEP_3)
	v_lshlrev_b32_e32 v19, 20, v19
	v_lshl_add_u32 v36, v36, 23, 0x3c000000
	v_and_b32_e32 v35, 0x80000000, v35
	s_delay_alu instid0(VALU_DEP_1)
	v_or3_b32 v19, v19, v35, v36
.LBB434_46:                             ;   in Loop: Header=BB434_13 Depth=1
	s_or_b32 exec_lo, exec_lo, s23
.LBB434_47:                             ;   in Loop: Header=BB434_13 Depth=1
	s_delay_alu instid0(SALU_CYCLE_1)
	s_or_b32 exec_lo, exec_lo, s22
.LBB434_48:                             ;   in Loop: Header=BB434_13 Depth=1
	s_delay_alu instid0(SALU_CYCLE_1) | instskip(NEXT) | instid1(VALU_DEP_1)
	s_or_b32 exec_lo, exec_lo, s21
	v_mul_f32_e32 v19, v146, v19
                                        ; implicit-def: $vgpr149
	s_delay_alu instid0(VALU_DEP_1) | instskip(NEXT) | instid1(VALU_DEP_1)
	v_and_b32_e32 v35, 0x7f800000, v19
	v_cmp_ne_u32_e64 s1, 0x7f800000, v35
	s_delay_alu instid0(VALU_DEP_1) | instskip(NEXT) | instid1(SALU_CYCLE_1)
	s_and_saveexec_b32 s21, s1
	s_xor_b32 s1, exec_lo, s21
; %bb.49:                               ;   in Loop: Header=BB434_13 Depth=1
	v_bfe_u32 v35, v19, 16, 1
	s_delay_alu instid0(VALU_DEP_1)
	v_add3_u32 v149, v19, v35, 0x7fff
                                        ; implicit-def: $vgpr19
; %bb.50:                               ;   in Loop: Header=BB434_13 Depth=1
	s_and_not1_saveexec_b32 s21, s1
; %bb.51:                               ;   in Loop: Header=BB434_13 Depth=1
	v_and_b32_e32 v35, 0xffff, v19
	v_or_b32_e32 v36, 0x10000, v19
	s_delay_alu instid0(VALU_DEP_2) | instskip(NEXT) | instid1(VALU_DEP_1)
	v_cmp_eq_u32_e64 s1, 0, v35
	v_cndmask_b32_e64 v149, v36, v19, s1
; %bb.52:                               ;   in Loop: Header=BB434_13 Depth=1
	s_or_b32 exec_lo, exec_lo, s21
	v_mov_b32_e32 v19, 0
	s_mov_b32 s21, exec_lo
	v_cmpx_lt_u32_e32 0xffffff, v33
	s_cbranch_execz .LBB434_60
; %bb.53:                               ;   in Loop: Header=BB434_13 Depth=1
	v_lshrrev_b32_e32 v35, 24, v33
	v_bfrev_b32_e32 v19, 1
	s_mov_b32 s22, exec_lo
	s_delay_alu instid0(VALU_DEP_2)
	v_cmpx_ne_u32_e32 0x80, v35
	s_cbranch_execz .LBB434_59
; %bb.54:                               ;   in Loop: Header=BB434_13 Depth=1
	v_bfe_u32 v150, v33, 24, 7
	v_mov_b32_e32 v19, 0x7f800001
	s_mov_b32 s23, exec_lo
	s_delay_alu instid0(VALU_DEP_2)
	v_cmpx_ne_u32_e32 0x7f, v150
	s_cbranch_execz .LBB434_58
; %bb.55:                               ;   in Loop: Header=BB434_13 Depth=1
	v_and_b32_e32 v19, 7, v35
	v_lshrrev_b32_e32 v36, 3, v150
	s_mov_b32 s24, exec_lo
	v_cmpx_gt_u32_e32 8, v150
; %bb.56:                               ;   in Loop: Header=BB434_13 Depth=1
	s_delay_alu instid0(VALU_DEP_3) | instskip(NEXT) | instid1(VALU_DEP_1)
	v_clz_i32_u32_e32 v36, v19
	v_min_u32_e32 v36, 32, v36
	s_delay_alu instid0(VALU_DEP_1) | instskip(SKIP_1) | instid1(VALU_DEP_2)
	v_subrev_nc_u32_e32 v150, 28, v36
	v_sub_nc_u32_e32 v36, 29, v36
	v_lshlrev_b64 v[150:151], v150, v[19:20]
	s_delay_alu instid0(VALU_DEP_1)
	v_and_b32_e32 v19, 7, v150
; %bb.57:                               ;   in Loop: Header=BB434_13 Depth=1
	s_or_b32 exec_lo, exec_lo, s24
	v_lshlrev_b32_e32 v35, 24, v35
	s_delay_alu instid0(VALU_DEP_2) | instskip(SKIP_1) | instid1(VALU_DEP_3)
	v_lshlrev_b32_e32 v19, 20, v19
	v_lshl_add_u32 v36, v36, 23, 0x3c000000
	v_and_b32_e32 v35, 0x80000000, v35
	s_delay_alu instid0(VALU_DEP_1)
	v_or3_b32 v19, v19, v35, v36
.LBB434_58:                             ;   in Loop: Header=BB434_13 Depth=1
	s_or_b32 exec_lo, exec_lo, s23
.LBB434_59:                             ;   in Loop: Header=BB434_13 Depth=1
	s_delay_alu instid0(SALU_CYCLE_1)
	s_or_b32 exec_lo, exec_lo, s22
.LBB434_60:                             ;   in Loop: Header=BB434_13 Depth=1
	s_delay_alu instid0(SALU_CYCLE_1) | instskip(NEXT) | instid1(VALU_DEP_1)
	s_or_b32 exec_lo, exec_lo, s21
	v_mul_f32_e32 v19, v146, v19
                                        ; implicit-def: $vgpr150
	s_delay_alu instid0(VALU_DEP_1) | instskip(NEXT) | instid1(VALU_DEP_1)
	v_and_b32_e32 v35, 0x7f800000, v19
	v_cmp_ne_u32_e64 s1, 0x7f800000, v35
	s_delay_alu instid0(VALU_DEP_1) | instskip(NEXT) | instid1(SALU_CYCLE_1)
	s_and_saveexec_b32 s21, s1
	s_xor_b32 s1, exec_lo, s21
; %bb.61:                               ;   in Loop: Header=BB434_13 Depth=1
	v_bfe_u32 v35, v19, 16, 1
	s_delay_alu instid0(VALU_DEP_1)
	v_add3_u32 v150, v19, v35, 0x7fff
                                        ; implicit-def: $vgpr19
; %bb.62:                               ;   in Loop: Header=BB434_13 Depth=1
	s_and_not1_saveexec_b32 s21, s1
; %bb.63:                               ;   in Loop: Header=BB434_13 Depth=1
	v_and_b32_e32 v35, 0xffff, v19
	v_or_b32_e32 v36, 0x10000, v19
	s_delay_alu instid0(VALU_DEP_2) | instskip(NEXT) | instid1(VALU_DEP_1)
	v_cmp_eq_u32_e64 s1, 0, v35
	v_cndmask_b32_e64 v150, v36, v19, s1
; %bb.64:                               ;   in Loop: Header=BB434_13 Depth=1
	s_or_b32 exec_lo, exec_lo, s21
	v_dual_mov_b32 v19, v34 :: v_dual_and_b32 v36, 0xff, v34
	v_mov_b32_e32 v35, 0
	s_mov_b32 s21, exec_lo
	s_delay_alu instid0(VALU_DEP_2)
	v_cmpx_ne_u16_e32 0, v36
	s_cbranch_execz .LBB434_72
; %bb.65:                               ;   in Loop: Header=BB434_13 Depth=1
	v_bfrev_b32_e32 v35, 1
	s_mov_b32 s22, exec_lo
	v_cmpx_ne_u16_e32 0x80, v36
	s_cbranch_execz .LBB434_71
; %bb.66:                               ;   in Loop: Header=BB434_13 Depth=1
	v_and_b32_e32 v36, 0x7f, v34
	v_mov_b32_e32 v35, 0x7f800001
	s_mov_b32 s23, exec_lo
	s_delay_alu instid0(VALU_DEP_2)
	v_cmpx_ne_u32_e32 0x7f, v36
	s_cbranch_execz .LBB434_70
; %bb.67:                               ;   in Loop: Header=BB434_13 Depth=1
	v_lshrrev_b32_e32 v151, 3, v36
	v_cmp_gt_u32_e64 s1, 8, v36
	v_dual_mov_b32 v36, v20 :: v_dual_mov_b32 v35, v19
	s_delay_alu instid0(VALU_DEP_2)
	s_and_saveexec_b32 s24, s1
; %bb.68:                               ;   in Loop: Header=BB434_13 Depth=1
	v_and_b32_e32 v35, 7, v34
	s_delay_alu instid0(VALU_DEP_1) | instskip(NEXT) | instid1(VALU_DEP_1)
	v_clz_i32_u32_e32 v35, v35
	v_min_u32_e32 v151, 32, v35
	s_delay_alu instid0(VALU_DEP_1) | instskip(SKIP_1) | instid1(VALU_DEP_2)
	v_subrev_nc_u32_e32 v35, 28, v151
	v_sub_nc_u32_e32 v151, 29, v151
	v_lshlrev_b64 v[35:36], v35, v[19:20]
; %bb.69:                               ;   in Loop: Header=BB434_13 Depth=1
	s_or_b32 exec_lo, exec_lo, s24
	s_delay_alu instid0(VALU_DEP_1) | instskip(SKIP_2) | instid1(VALU_DEP_3)
	v_lshlrev_b32_e32 v35, 20, v35
	v_lshlrev_b32_e32 v36, 24, v19
	v_lshl_add_u32 v151, v151, 23, 0x3c000000
	v_and_b32_e32 v35, 0x700000, v35
	s_delay_alu instid0(VALU_DEP_3) | instskip(NEXT) | instid1(VALU_DEP_1)
	v_and_b32_e32 v36, 0x80000000, v36
	v_or3_b32 v35, v35, v36, v151
.LBB434_70:                             ;   in Loop: Header=BB434_13 Depth=1
	s_or_b32 exec_lo, exec_lo, s23
.LBB434_71:                             ;   in Loop: Header=BB434_13 Depth=1
	s_delay_alu instid0(SALU_CYCLE_1)
	s_or_b32 exec_lo, exec_lo, s22
.LBB434_72:                             ;   in Loop: Header=BB434_13 Depth=1
	s_delay_alu instid0(SALU_CYCLE_1) | instskip(NEXT) | instid1(VALU_DEP_1)
	s_or_b32 exec_lo, exec_lo, s21
	v_mul_f32_e32 v35, v146, v35
                                        ; implicit-def: $vgpr151
	s_delay_alu instid0(VALU_DEP_1) | instskip(NEXT) | instid1(VALU_DEP_1)
	v_and_b32_e32 v36, 0x7f800000, v35
	v_cmp_ne_u32_e64 s1, 0x7f800000, v36
	s_delay_alu instid0(VALU_DEP_1) | instskip(NEXT) | instid1(SALU_CYCLE_1)
	s_and_saveexec_b32 s21, s1
	s_xor_b32 s1, exec_lo, s21
; %bb.73:                               ;   in Loop: Header=BB434_13 Depth=1
	v_bfe_u32 v36, v35, 16, 1
	s_delay_alu instid0(VALU_DEP_1)
	v_add3_u32 v151, v35, v36, 0x7fff
                                        ; implicit-def: $vgpr35
; %bb.74:                               ;   in Loop: Header=BB434_13 Depth=1
	s_and_not1_saveexec_b32 s21, s1
; %bb.75:                               ;   in Loop: Header=BB434_13 Depth=1
	v_and_b32_e32 v36, 0xffff, v35
	v_or_b32_e32 v151, 0x10000, v35
	s_delay_alu instid0(VALU_DEP_2) | instskip(NEXT) | instid1(VALU_DEP_1)
	v_cmp_eq_u32_e64 s1, 0, v36
	v_cndmask_b32_e64 v151, v151, v35, s1
; %bb.76:                               ;   in Loop: Header=BB434_13 Depth=1
	s_or_b32 exec_lo, exec_lo, s21
	v_lshrrev_b16 v36, 8, v19
	v_mov_b32_e32 v35, 0
	s_mov_b32 s21, exec_lo
	s_delay_alu instid0(VALU_DEP_2)
	v_cmpx_ne_u16_e32 0, v36
	s_cbranch_execz .LBB434_84
; %bb.77:                               ;   in Loop: Header=BB434_13 Depth=1
	v_bfrev_b32_e32 v35, 1
	s_mov_b32 s22, exec_lo
	v_cmpx_ne_u16_e32 0x80, v36
	s_cbranch_execz .LBB434_83
; %bb.78:                               ;   in Loop: Header=BB434_13 Depth=1
	v_and_b32_e32 v36, 0xffff, v36
	v_mov_b32_e32 v35, 0x7f800001
	s_mov_b32 s23, exec_lo
	s_delay_alu instid0(VALU_DEP_2) | instskip(NEXT) | instid1(VALU_DEP_1)
	v_and_b32_e32 v161, 0x7f, v36
	v_cmpx_ne_u32_e32 0x7f, v161
	s_cbranch_execz .LBB434_82
; %bb.79:                               ;   in Loop: Header=BB434_13 Depth=1
	v_dual_mov_b32 v36, v20 :: v_dual_and_b32 v35, 7, v36
	v_lshrrev_b32_e32 v160, 3, v161
	s_mov_b32 s24, exec_lo
	v_cmpx_gt_u32_e32 8, v161
; %bb.80:                               ;   in Loop: Header=BB434_13 Depth=1
	s_delay_alu instid0(VALU_DEP_3) | instskip(NEXT) | instid1(VALU_DEP_1)
	v_clz_i32_u32_e32 v160, v35
	v_min_u32_e32 v160, 32, v160
	s_delay_alu instid0(VALU_DEP_1) | instskip(SKIP_1) | instid1(VALU_DEP_2)
	v_subrev_nc_u32_e32 v161, 28, v160
	v_sub_nc_u32_e32 v160, 29, v160
	v_lshlrev_b64 v[35:36], v161, v[35:36]
	s_delay_alu instid0(VALU_DEP_1)
	v_and_b32_e32 v35, 7, v35
; %bb.81:                               ;   in Loop: Header=BB434_13 Depth=1
	s_or_b32 exec_lo, exec_lo, s24
	v_lshlrev_b32_e32 v19, 16, v19
	s_delay_alu instid0(VALU_DEP_2) | instskip(SKIP_1) | instid1(VALU_DEP_3)
	v_lshlrev_b32_e32 v35, 20, v35
	v_lshl_add_u32 v36, v160, 23, 0x3c000000
	v_and_b32_e32 v19, 0x80000000, v19
	s_delay_alu instid0(VALU_DEP_1)
	v_or3_b32 v35, v35, v19, v36
.LBB434_82:                             ;   in Loop: Header=BB434_13 Depth=1
	s_or_b32 exec_lo, exec_lo, s23
.LBB434_83:                             ;   in Loop: Header=BB434_13 Depth=1
	s_delay_alu instid0(SALU_CYCLE_1)
	s_or_b32 exec_lo, exec_lo, s22
.LBB434_84:                             ;   in Loop: Header=BB434_13 Depth=1
	s_delay_alu instid0(SALU_CYCLE_1) | instskip(NEXT) | instid1(VALU_DEP_1)
	s_or_b32 exec_lo, exec_lo, s21
	v_mul_f32_e32 v19, v146, v35
                                        ; implicit-def: $vgpr160
	s_delay_alu instid0(VALU_DEP_1) | instskip(NEXT) | instid1(VALU_DEP_1)
	v_and_b32_e32 v35, 0x7f800000, v19
	v_cmp_ne_u32_e64 s1, 0x7f800000, v35
	s_delay_alu instid0(VALU_DEP_1) | instskip(NEXT) | instid1(SALU_CYCLE_1)
	s_and_saveexec_b32 s21, s1
	s_xor_b32 s1, exec_lo, s21
; %bb.85:                               ;   in Loop: Header=BB434_13 Depth=1
	v_bfe_u32 v35, v19, 16, 1
	s_delay_alu instid0(VALU_DEP_1)
	v_add3_u32 v160, v19, v35, 0x7fff
                                        ; implicit-def: $vgpr19
; %bb.86:                               ;   in Loop: Header=BB434_13 Depth=1
	s_and_not1_saveexec_b32 s21, s1
; %bb.87:                               ;   in Loop: Header=BB434_13 Depth=1
	v_and_b32_e32 v35, 0xffff, v19
	v_or_b32_e32 v36, 0x10000, v19
	s_delay_alu instid0(VALU_DEP_2) | instskip(NEXT) | instid1(VALU_DEP_1)
	v_cmp_eq_u32_e64 s1, 0, v35
	v_cndmask_b32_e64 v160, v36, v19, s1
; %bb.88:                               ;   in Loop: Header=BB434_13 Depth=1
	s_or_b32 exec_lo, exec_lo, s21
	v_lshrrev_b32_e32 v35, 16, v34
	s_mov_b32 s21, exec_lo
	s_delay_alu instid0(VALU_DEP_1) | instskip(NEXT) | instid1(VALU_DEP_1)
	v_dual_mov_b32 v19, 0 :: v_dual_and_b32 v36, 0xff, v35
	v_cmpx_ne_u16_e32 0, v36
	s_cbranch_execz .LBB434_96
; %bb.89:                               ;   in Loop: Header=BB434_13 Depth=1
	v_bfrev_b32_e32 v19, 1
	s_mov_b32 s22, exec_lo
	v_cmpx_ne_u16_e32 0x80, v36
	s_cbranch_execz .LBB434_95
; %bb.90:                               ;   in Loop: Header=BB434_13 Depth=1
	v_bfe_u32 v161, v34, 16, 7
	v_mov_b32_e32 v19, 0x7f800001
	s_mov_b32 s23, exec_lo
	s_delay_alu instid0(VALU_DEP_2)
	v_cmpx_ne_u32_e32 0x7f, v161
	s_cbranch_execz .LBB434_94
; %bb.91:                               ;   in Loop: Header=BB434_13 Depth=1
	v_and_b32_e32 v19, 7, v35
	v_lshrrev_b32_e32 v36, 3, v161
	s_mov_b32 s24, exec_lo
	v_cmpx_gt_u32_e32 8, v161
; %bb.92:                               ;   in Loop: Header=BB434_13 Depth=1
	s_delay_alu instid0(VALU_DEP_3) | instskip(NEXT) | instid1(VALU_DEP_1)
	v_clz_i32_u32_e32 v36, v19
	v_min_u32_e32 v36, 32, v36
	s_delay_alu instid0(VALU_DEP_1) | instskip(SKIP_1) | instid1(VALU_DEP_2)
	v_subrev_nc_u32_e32 v161, 28, v36
	v_sub_nc_u32_e32 v36, 29, v36
	v_lshlrev_b64 v[161:162], v161, v[19:20]
	s_delay_alu instid0(VALU_DEP_1)
	v_and_b32_e32 v19, 7, v161
; %bb.93:                               ;   in Loop: Header=BB434_13 Depth=1
	s_or_b32 exec_lo, exec_lo, s24
	v_lshlrev_b32_e32 v35, 24, v35
	s_delay_alu instid0(VALU_DEP_2) | instskip(SKIP_1) | instid1(VALU_DEP_3)
	v_lshlrev_b32_e32 v19, 20, v19
	v_lshl_add_u32 v36, v36, 23, 0x3c000000
	v_and_b32_e32 v35, 0x80000000, v35
	s_delay_alu instid0(VALU_DEP_1)
	v_or3_b32 v19, v19, v35, v36
.LBB434_94:                             ;   in Loop: Header=BB434_13 Depth=1
	s_or_b32 exec_lo, exec_lo, s23
.LBB434_95:                             ;   in Loop: Header=BB434_13 Depth=1
	s_delay_alu instid0(SALU_CYCLE_1)
	s_or_b32 exec_lo, exec_lo, s22
.LBB434_96:                             ;   in Loop: Header=BB434_13 Depth=1
	s_delay_alu instid0(SALU_CYCLE_1) | instskip(NEXT) | instid1(VALU_DEP_1)
	s_or_b32 exec_lo, exec_lo, s21
	v_mul_f32_e32 v19, v146, v19
                                        ; implicit-def: $vgpr161
	s_delay_alu instid0(VALU_DEP_1) | instskip(NEXT) | instid1(VALU_DEP_1)
	v_and_b32_e32 v35, 0x7f800000, v19
	v_cmp_ne_u32_e64 s1, 0x7f800000, v35
	s_delay_alu instid0(VALU_DEP_1) | instskip(NEXT) | instid1(SALU_CYCLE_1)
	s_and_saveexec_b32 s21, s1
	s_xor_b32 s1, exec_lo, s21
; %bb.97:                               ;   in Loop: Header=BB434_13 Depth=1
	v_bfe_u32 v35, v19, 16, 1
	s_delay_alu instid0(VALU_DEP_1)
	v_add3_u32 v161, v19, v35, 0x7fff
                                        ; implicit-def: $vgpr19
; %bb.98:                               ;   in Loop: Header=BB434_13 Depth=1
	s_and_not1_saveexec_b32 s21, s1
; %bb.99:                               ;   in Loop: Header=BB434_13 Depth=1
	v_and_b32_e32 v35, 0xffff, v19
	v_or_b32_e32 v36, 0x10000, v19
	s_delay_alu instid0(VALU_DEP_2) | instskip(NEXT) | instid1(VALU_DEP_1)
	v_cmp_eq_u32_e64 s1, 0, v35
	v_cndmask_b32_e64 v161, v36, v19, s1
; %bb.100:                              ;   in Loop: Header=BB434_13 Depth=1
	s_or_b32 exec_lo, exec_lo, s21
	v_mov_b32_e32 v19, 0
	s_mov_b32 s21, exec_lo
	v_cmpx_lt_u64_e64 s[16:17], v[33:34]
	s_cbranch_execz .LBB434_108
; %bb.101:                              ;   in Loop: Header=BB434_13 Depth=1
	v_lshrrev_b32_e32 v33, 24, v34
	v_bfrev_b32_e32 v19, 1
	s_mov_b32 s22, exec_lo
	s_delay_alu instid0(VALU_DEP_2)
	v_cmpx_ne_u32_e32 0x80, v33
	s_cbranch_execz .LBB434_107
; %bb.102:                              ;   in Loop: Header=BB434_13 Depth=1
	v_bfe_u32 v35, v34, 24, 7
	v_mov_b32_e32 v19, 0x7f800001
	s_mov_b32 s23, exec_lo
	s_delay_alu instid0(VALU_DEP_2)
	v_cmpx_ne_u32_e32 0x7f, v35
	s_cbranch_execz .LBB434_106
; %bb.103:                              ;   in Loop: Header=BB434_13 Depth=1
	v_and_b32_e32 v19, 7, v33
	v_lshrrev_b32_e32 v34, 3, v35
	s_mov_b32 s24, exec_lo
	v_cmpx_gt_u32_e32 8, v35
; %bb.104:                              ;   in Loop: Header=BB434_13 Depth=1
	s_delay_alu instid0(VALU_DEP_3) | instskip(NEXT) | instid1(VALU_DEP_1)
	v_clz_i32_u32_e32 v34, v19
	v_min_u32_e32 v34, 32, v34
	s_delay_alu instid0(VALU_DEP_1) | instskip(SKIP_1) | instid1(VALU_DEP_2)
	v_subrev_nc_u32_e32 v35, 28, v34
	v_sub_nc_u32_e32 v34, 29, v34
	v_lshlrev_b64 v[35:36], v35, v[19:20]
	s_delay_alu instid0(VALU_DEP_1)
	v_and_b32_e32 v19, 7, v35
; %bb.105:                              ;   in Loop: Header=BB434_13 Depth=1
	s_or_b32 exec_lo, exec_lo, s24
	v_lshlrev_b32_e32 v33, 24, v33
	s_delay_alu instid0(VALU_DEP_2) | instskip(SKIP_1) | instid1(VALU_DEP_3)
	v_lshlrev_b32_e32 v19, 20, v19
	v_lshl_add_u32 v34, v34, 23, 0x3c000000
	v_and_b32_e32 v33, 0x80000000, v33
	s_delay_alu instid0(VALU_DEP_1)
	v_or3_b32 v19, v19, v33, v34
.LBB434_106:                            ;   in Loop: Header=BB434_13 Depth=1
	s_or_b32 exec_lo, exec_lo, s23
.LBB434_107:                            ;   in Loop: Header=BB434_13 Depth=1
	s_delay_alu instid0(SALU_CYCLE_1)
	s_or_b32 exec_lo, exec_lo, s22
.LBB434_108:                            ;   in Loop: Header=BB434_13 Depth=1
	s_delay_alu instid0(SALU_CYCLE_1) | instskip(NEXT) | instid1(VALU_DEP_1)
	s_or_b32 exec_lo, exec_lo, s21
	v_mul_f32_e32 v19, v146, v19
                                        ; implicit-def: $vgpr162
	s_delay_alu instid0(VALU_DEP_1) | instskip(NEXT) | instid1(VALU_DEP_1)
	v_and_b32_e32 v33, 0x7f800000, v19
	v_cmp_ne_u32_e64 s1, 0x7f800000, v33
	s_delay_alu instid0(VALU_DEP_1) | instskip(NEXT) | instid1(SALU_CYCLE_1)
	s_and_saveexec_b32 s21, s1
	s_xor_b32 s1, exec_lo, s21
; %bb.109:                              ;   in Loop: Header=BB434_13 Depth=1
	v_bfe_u32 v33, v19, 16, 1
	s_delay_alu instid0(VALU_DEP_1)
	v_add3_u32 v162, v19, v33, 0x7fff
                                        ; implicit-def: $vgpr19
; %bb.110:                              ;   in Loop: Header=BB434_13 Depth=1
	s_and_not1_saveexec_b32 s21, s1
; %bb.111:                              ;   in Loop: Header=BB434_13 Depth=1
	v_and_b32_e32 v33, 0xffff, v19
	v_or_b32_e32 v34, 0x10000, v19
	s_delay_alu instid0(VALU_DEP_2) | instskip(NEXT) | instid1(VALU_DEP_1)
	v_cmp_eq_u32_e64 s1, 0, v33
	v_cndmask_b32_e64 v162, v34, v19, s1
; %bb.112:                              ;   in Loop: Header=BB434_13 Depth=1
	s_or_b32 exec_lo, exec_lo, s21
	flat_load_b64 v[33:34], v[31:32] offset:8
	v_mov_b32_e32 v19, 0
	s_mov_b32 s21, exec_lo
	s_waitcnt vmcnt(0) lgkmcnt(0)
	v_and_b32_e32 v35, 0xff, v33
	s_delay_alu instid0(VALU_DEP_1)
	v_cmpx_ne_u16_e32 0, v35
	s_cbranch_execz .LBB434_120
; %bb.113:                              ;   in Loop: Header=BB434_13 Depth=1
	v_bfrev_b32_e32 v19, 1
	s_mov_b32 s22, exec_lo
	v_cmpx_ne_u16_e32 0x80, v35
	s_cbranch_execz .LBB434_119
; %bb.114:                              ;   in Loop: Header=BB434_13 Depth=1
	v_and_b32_e32 v35, 0x7f, v33
	v_mov_b32_e32 v19, 0x7f800001
	s_mov_b32 s23, exec_lo
	s_delay_alu instid0(VALU_DEP_2)
	v_cmpx_ne_u32_e32 0x7f, v35
	s_cbranch_execz .LBB434_118
; %bb.115:                              ;   in Loop: Header=BB434_13 Depth=1
	v_lshrrev_b32_e32 v19, 3, v35
	v_cmp_gt_u32_e64 s1, 8, v35
	v_dual_mov_b32 v36, v34 :: v_dual_mov_b32 v35, v33
	s_delay_alu instid0(VALU_DEP_2)
	s_and_saveexec_b32 s24, s1
; %bb.116:                              ;   in Loop: Header=BB434_13 Depth=1
	v_and_b32_e32 v19, 7, v33
	s_delay_alu instid0(VALU_DEP_1) | instskip(NEXT) | instid1(VALU_DEP_1)
	v_clz_i32_u32_e32 v19, v19
	v_min_u32_e32 v19, 32, v19
	s_delay_alu instid0(VALU_DEP_1) | instskip(SKIP_1) | instid1(VALU_DEP_2)
	v_subrev_nc_u32_e32 v35, 28, v19
	v_sub_nc_u32_e32 v19, 29, v19
	v_lshlrev_b64 v[35:36], v35, v[33:34]
; %bb.117:                              ;   in Loop: Header=BB434_13 Depth=1
	s_or_b32 exec_lo, exec_lo, s24
	s_delay_alu instid0(VALU_DEP_1) | instskip(SKIP_2) | instid1(VALU_DEP_3)
	v_lshlrev_b32_e32 v35, 20, v35
	v_lshlrev_b32_e32 v36, 24, v33
	v_lshl_add_u32 v19, v19, 23, 0x3c000000
	v_and_b32_e32 v35, 0x700000, v35
	s_delay_alu instid0(VALU_DEP_3) | instskip(NEXT) | instid1(VALU_DEP_1)
	v_and_b32_e32 v36, 0x80000000, v36
	v_or3_b32 v19, v35, v36, v19
.LBB434_118:                            ;   in Loop: Header=BB434_13 Depth=1
	s_or_b32 exec_lo, exec_lo, s23
.LBB434_119:                            ;   in Loop: Header=BB434_13 Depth=1
	s_delay_alu instid0(SALU_CYCLE_1)
	s_or_b32 exec_lo, exec_lo, s22
.LBB434_120:                            ;   in Loop: Header=BB434_13 Depth=1
	s_delay_alu instid0(SALU_CYCLE_1) | instskip(NEXT) | instid1(VALU_DEP_1)
	s_or_b32 exec_lo, exec_lo, s21
	v_mul_f32_e32 v19, v146, v19
                                        ; implicit-def: $vgpr163
	s_delay_alu instid0(VALU_DEP_1) | instskip(NEXT) | instid1(VALU_DEP_1)
	v_and_b32_e32 v35, 0x7f800000, v19
	v_cmp_ne_u32_e64 s1, 0x7f800000, v35
	s_delay_alu instid0(VALU_DEP_1) | instskip(NEXT) | instid1(SALU_CYCLE_1)
	s_and_saveexec_b32 s21, s1
	s_xor_b32 s1, exec_lo, s21
; %bb.121:                              ;   in Loop: Header=BB434_13 Depth=1
	v_bfe_u32 v35, v19, 16, 1
	s_delay_alu instid0(VALU_DEP_1)
	v_add3_u32 v163, v19, v35, 0x7fff
                                        ; implicit-def: $vgpr19
; %bb.122:                              ;   in Loop: Header=BB434_13 Depth=1
	s_and_not1_saveexec_b32 s21, s1
; %bb.123:                              ;   in Loop: Header=BB434_13 Depth=1
	v_and_b32_e32 v35, 0xffff, v19
	v_or_b32_e32 v36, 0x10000, v19
	s_delay_alu instid0(VALU_DEP_2) | instskip(NEXT) | instid1(VALU_DEP_1)
	v_cmp_eq_u32_e64 s1, 0, v35
	v_cndmask_b32_e64 v163, v36, v19, s1
; %bb.124:                              ;   in Loop: Header=BB434_13 Depth=1
	s_or_b32 exec_lo, exec_lo, s21
	v_lshrrev_b16 v35, 8, v33
	v_mov_b32_e32 v19, 0
	s_mov_b32 s21, exec_lo
	s_delay_alu instid0(VALU_DEP_2)
	v_cmpx_ne_u16_e32 0, v35
	s_cbranch_execz .LBB434_132
; %bb.125:                              ;   in Loop: Header=BB434_13 Depth=1
	v_bfrev_b32_e32 v19, 1
	s_mov_b32 s22, exec_lo
	v_cmpx_ne_u16_e32 0x80, v35
	s_cbranch_execz .LBB434_131
; %bb.126:                              ;   in Loop: Header=BB434_13 Depth=1
	v_and_b32_e32 v35, 0xffff, v35
	v_mov_b32_e32 v19, 0x7f800001
	s_mov_b32 s23, exec_lo
	s_delay_alu instid0(VALU_DEP_2) | instskip(NEXT) | instid1(VALU_DEP_1)
	v_and_b32_e32 v36, 0x7f, v35
	v_cmpx_ne_u32_e32 0x7f, v36
	s_cbranch_execz .LBB434_130
; %bb.127:                              ;   in Loop: Header=BB434_13 Depth=1
	v_and_b32_e32 v19, 7, v35
	v_lshrrev_b32_e32 v35, 3, v36
	s_mov_b32 s24, exec_lo
	v_cmpx_gt_u32_e32 8, v36
; %bb.128:                              ;   in Loop: Header=BB434_13 Depth=1
	s_delay_alu instid0(VALU_DEP_3) | instskip(NEXT) | instid1(VALU_DEP_1)
	v_clz_i32_u32_e32 v35, v19
	v_min_u32_e32 v35, 32, v35
	s_delay_alu instid0(VALU_DEP_1) | instskip(SKIP_1) | instid1(VALU_DEP_2)
	v_subrev_nc_u32_e32 v36, 28, v35
	v_sub_nc_u32_e32 v35, 29, v35
	v_lshlrev_b64 v[164:165], v36, v[19:20]
	s_delay_alu instid0(VALU_DEP_1)
	v_and_b32_e32 v19, 7, v164
; %bb.129:                              ;   in Loop: Header=BB434_13 Depth=1
	s_or_b32 exec_lo, exec_lo, s24
	v_lshlrev_b32_e32 v36, 16, v33
	s_delay_alu instid0(VALU_DEP_2) | instskip(SKIP_1) | instid1(VALU_DEP_3)
	v_lshlrev_b32_e32 v19, 20, v19
	v_lshl_add_u32 v35, v35, 23, 0x3c000000
	v_and_b32_e32 v36, 0x80000000, v36
	s_delay_alu instid0(VALU_DEP_1)
	v_or3_b32 v19, v19, v36, v35
.LBB434_130:                            ;   in Loop: Header=BB434_13 Depth=1
	s_or_b32 exec_lo, exec_lo, s23
.LBB434_131:                            ;   in Loop: Header=BB434_13 Depth=1
	s_delay_alu instid0(SALU_CYCLE_1)
	s_or_b32 exec_lo, exec_lo, s22
.LBB434_132:                            ;   in Loop: Header=BB434_13 Depth=1
	s_delay_alu instid0(SALU_CYCLE_1) | instskip(NEXT) | instid1(VALU_DEP_1)
	s_or_b32 exec_lo, exec_lo, s21
	v_mul_f32_e32 v19, v146, v19
                                        ; implicit-def: $vgpr164
	s_delay_alu instid0(VALU_DEP_1) | instskip(NEXT) | instid1(VALU_DEP_1)
	v_and_b32_e32 v35, 0x7f800000, v19
	v_cmp_ne_u32_e64 s1, 0x7f800000, v35
	s_delay_alu instid0(VALU_DEP_1) | instskip(NEXT) | instid1(SALU_CYCLE_1)
	s_and_saveexec_b32 s21, s1
	s_xor_b32 s1, exec_lo, s21
; %bb.133:                              ;   in Loop: Header=BB434_13 Depth=1
	v_bfe_u32 v35, v19, 16, 1
	s_delay_alu instid0(VALU_DEP_1)
	v_add3_u32 v164, v19, v35, 0x7fff
                                        ; implicit-def: $vgpr19
; %bb.134:                              ;   in Loop: Header=BB434_13 Depth=1
	s_and_not1_saveexec_b32 s21, s1
; %bb.135:                              ;   in Loop: Header=BB434_13 Depth=1
	v_and_b32_e32 v35, 0xffff, v19
	v_or_b32_e32 v36, 0x10000, v19
	s_delay_alu instid0(VALU_DEP_2) | instskip(NEXT) | instid1(VALU_DEP_1)
	v_cmp_eq_u32_e64 s1, 0, v35
	v_cndmask_b32_e64 v164, v36, v19, s1
; %bb.136:                              ;   in Loop: Header=BB434_13 Depth=1
	s_or_b32 exec_lo, exec_lo, s21
	v_lshrrev_b32_e32 v35, 16, v33
	s_mov_b32 s21, exec_lo
	s_delay_alu instid0(VALU_DEP_1) | instskip(NEXT) | instid1(VALU_DEP_1)
	v_dual_mov_b32 v19, 0 :: v_dual_and_b32 v36, 0xff, v35
	v_cmpx_ne_u16_e32 0, v36
	s_cbranch_execz .LBB434_144
; %bb.137:                              ;   in Loop: Header=BB434_13 Depth=1
	v_bfrev_b32_e32 v19, 1
	s_mov_b32 s22, exec_lo
	v_cmpx_ne_u16_e32 0x80, v36
	s_cbranch_execz .LBB434_143
; %bb.138:                              ;   in Loop: Header=BB434_13 Depth=1
	v_bfe_u32 v165, v33, 16, 7
	v_mov_b32_e32 v19, 0x7f800001
	s_mov_b32 s23, exec_lo
	s_delay_alu instid0(VALU_DEP_2)
	v_cmpx_ne_u32_e32 0x7f, v165
	s_cbranch_execz .LBB434_142
; %bb.139:                              ;   in Loop: Header=BB434_13 Depth=1
	v_and_b32_e32 v19, 7, v35
	v_lshrrev_b32_e32 v36, 3, v165
	s_mov_b32 s24, exec_lo
	v_cmpx_gt_u32_e32 8, v165
; %bb.140:                              ;   in Loop: Header=BB434_13 Depth=1
	s_delay_alu instid0(VALU_DEP_3) | instskip(NEXT) | instid1(VALU_DEP_1)
	v_clz_i32_u32_e32 v36, v19
	v_min_u32_e32 v36, 32, v36
	s_delay_alu instid0(VALU_DEP_1) | instskip(SKIP_1) | instid1(VALU_DEP_2)
	v_subrev_nc_u32_e32 v165, 28, v36
	v_sub_nc_u32_e32 v36, 29, v36
	v_lshlrev_b64 v[165:166], v165, v[19:20]
	s_delay_alu instid0(VALU_DEP_1)
	v_and_b32_e32 v19, 7, v165
; %bb.141:                              ;   in Loop: Header=BB434_13 Depth=1
	s_or_b32 exec_lo, exec_lo, s24
	v_lshlrev_b32_e32 v35, 24, v35
	s_delay_alu instid0(VALU_DEP_2) | instskip(SKIP_1) | instid1(VALU_DEP_3)
	v_lshlrev_b32_e32 v19, 20, v19
	v_lshl_add_u32 v36, v36, 23, 0x3c000000
	v_and_b32_e32 v35, 0x80000000, v35
	s_delay_alu instid0(VALU_DEP_1)
	v_or3_b32 v19, v19, v35, v36
.LBB434_142:                            ;   in Loop: Header=BB434_13 Depth=1
	s_or_b32 exec_lo, exec_lo, s23
.LBB434_143:                            ;   in Loop: Header=BB434_13 Depth=1
	s_delay_alu instid0(SALU_CYCLE_1)
	s_or_b32 exec_lo, exec_lo, s22
.LBB434_144:                            ;   in Loop: Header=BB434_13 Depth=1
	s_delay_alu instid0(SALU_CYCLE_1) | instskip(NEXT) | instid1(VALU_DEP_1)
	s_or_b32 exec_lo, exec_lo, s21
	v_mul_f32_e32 v19, v146, v19
                                        ; implicit-def: $vgpr165
	s_delay_alu instid0(VALU_DEP_1) | instskip(NEXT) | instid1(VALU_DEP_1)
	v_and_b32_e32 v35, 0x7f800000, v19
	v_cmp_ne_u32_e64 s1, 0x7f800000, v35
	s_delay_alu instid0(VALU_DEP_1) | instskip(NEXT) | instid1(SALU_CYCLE_1)
	s_and_saveexec_b32 s21, s1
	s_xor_b32 s1, exec_lo, s21
; %bb.145:                              ;   in Loop: Header=BB434_13 Depth=1
	v_bfe_u32 v35, v19, 16, 1
	s_delay_alu instid0(VALU_DEP_1)
	v_add3_u32 v165, v19, v35, 0x7fff
                                        ; implicit-def: $vgpr19
; %bb.146:                              ;   in Loop: Header=BB434_13 Depth=1
	s_and_not1_saveexec_b32 s21, s1
; %bb.147:                              ;   in Loop: Header=BB434_13 Depth=1
	v_and_b32_e32 v35, 0xffff, v19
	v_or_b32_e32 v36, 0x10000, v19
	s_delay_alu instid0(VALU_DEP_2) | instskip(NEXT) | instid1(VALU_DEP_1)
	v_cmp_eq_u32_e64 s1, 0, v35
	v_cndmask_b32_e64 v165, v36, v19, s1
; %bb.148:                              ;   in Loop: Header=BB434_13 Depth=1
	s_or_b32 exec_lo, exec_lo, s21
	v_mov_b32_e32 v19, 0
	s_mov_b32 s21, exec_lo
	v_cmpx_lt_u32_e32 0xffffff, v33
	s_cbranch_execz .LBB434_156
; %bb.149:                              ;   in Loop: Header=BB434_13 Depth=1
	v_lshrrev_b32_e32 v35, 24, v33
	v_bfrev_b32_e32 v19, 1
	s_mov_b32 s22, exec_lo
	s_delay_alu instid0(VALU_DEP_2)
	v_cmpx_ne_u32_e32 0x80, v35
	s_cbranch_execz .LBB434_155
; %bb.150:                              ;   in Loop: Header=BB434_13 Depth=1
	v_bfe_u32 v166, v33, 24, 7
	v_mov_b32_e32 v19, 0x7f800001
	s_mov_b32 s23, exec_lo
	s_delay_alu instid0(VALU_DEP_2)
	v_cmpx_ne_u32_e32 0x7f, v166
	s_cbranch_execz .LBB434_154
; %bb.151:                              ;   in Loop: Header=BB434_13 Depth=1
	v_and_b32_e32 v19, 7, v35
	v_lshrrev_b32_e32 v36, 3, v166
	s_mov_b32 s24, exec_lo
	v_cmpx_gt_u32_e32 8, v166
; %bb.152:                              ;   in Loop: Header=BB434_13 Depth=1
	s_delay_alu instid0(VALU_DEP_3) | instskip(NEXT) | instid1(VALU_DEP_1)
	v_clz_i32_u32_e32 v36, v19
	v_min_u32_e32 v36, 32, v36
	s_delay_alu instid0(VALU_DEP_1) | instskip(SKIP_1) | instid1(VALU_DEP_2)
	v_subrev_nc_u32_e32 v166, 28, v36
	v_sub_nc_u32_e32 v36, 29, v36
	v_lshlrev_b64 v[166:167], v166, v[19:20]
	s_delay_alu instid0(VALU_DEP_1)
	v_and_b32_e32 v19, 7, v166
; %bb.153:                              ;   in Loop: Header=BB434_13 Depth=1
	s_or_b32 exec_lo, exec_lo, s24
	v_lshlrev_b32_e32 v35, 24, v35
	s_delay_alu instid0(VALU_DEP_2) | instskip(SKIP_1) | instid1(VALU_DEP_3)
	v_lshlrev_b32_e32 v19, 20, v19
	v_lshl_add_u32 v36, v36, 23, 0x3c000000
	v_and_b32_e32 v35, 0x80000000, v35
	s_delay_alu instid0(VALU_DEP_1)
	v_or3_b32 v19, v19, v35, v36
.LBB434_154:                            ;   in Loop: Header=BB434_13 Depth=1
	s_or_b32 exec_lo, exec_lo, s23
.LBB434_155:                            ;   in Loop: Header=BB434_13 Depth=1
	s_delay_alu instid0(SALU_CYCLE_1)
	s_or_b32 exec_lo, exec_lo, s22
.LBB434_156:                            ;   in Loop: Header=BB434_13 Depth=1
	s_delay_alu instid0(SALU_CYCLE_1) | instskip(NEXT) | instid1(VALU_DEP_1)
	s_or_b32 exec_lo, exec_lo, s21
	v_mul_f32_e32 v19, v146, v19
                                        ; implicit-def: $vgpr166
	s_delay_alu instid0(VALU_DEP_1) | instskip(NEXT) | instid1(VALU_DEP_1)
	v_and_b32_e32 v35, 0x7f800000, v19
	v_cmp_ne_u32_e64 s1, 0x7f800000, v35
	s_delay_alu instid0(VALU_DEP_1) | instskip(NEXT) | instid1(SALU_CYCLE_1)
	s_and_saveexec_b32 s21, s1
	s_xor_b32 s1, exec_lo, s21
; %bb.157:                              ;   in Loop: Header=BB434_13 Depth=1
	v_bfe_u32 v35, v19, 16, 1
	s_delay_alu instid0(VALU_DEP_1)
	v_add3_u32 v166, v19, v35, 0x7fff
                                        ; implicit-def: $vgpr19
; %bb.158:                              ;   in Loop: Header=BB434_13 Depth=1
	s_and_not1_saveexec_b32 s21, s1
; %bb.159:                              ;   in Loop: Header=BB434_13 Depth=1
	v_and_b32_e32 v35, 0xffff, v19
	v_or_b32_e32 v36, 0x10000, v19
	s_delay_alu instid0(VALU_DEP_2) | instskip(NEXT) | instid1(VALU_DEP_1)
	v_cmp_eq_u32_e64 s1, 0, v35
	v_cndmask_b32_e64 v166, v36, v19, s1
; %bb.160:                              ;   in Loop: Header=BB434_13 Depth=1
	s_or_b32 exec_lo, exec_lo, s21
	v_dual_mov_b32 v19, v34 :: v_dual_and_b32 v36, 0xff, v34
	v_mov_b32_e32 v35, 0
	s_mov_b32 s21, exec_lo
	s_delay_alu instid0(VALU_DEP_2)
	v_cmpx_ne_u16_e32 0, v36
	s_cbranch_execz .LBB434_168
; %bb.161:                              ;   in Loop: Header=BB434_13 Depth=1
	v_bfrev_b32_e32 v35, 1
	s_mov_b32 s22, exec_lo
	v_cmpx_ne_u16_e32 0x80, v36
	s_cbranch_execz .LBB434_167
; %bb.162:                              ;   in Loop: Header=BB434_13 Depth=1
	v_and_b32_e32 v36, 0x7f, v34
	v_mov_b32_e32 v35, 0x7f800001
	s_mov_b32 s23, exec_lo
	s_delay_alu instid0(VALU_DEP_2)
	v_cmpx_ne_u32_e32 0x7f, v36
	s_cbranch_execz .LBB434_166
; %bb.163:                              ;   in Loop: Header=BB434_13 Depth=1
	v_lshrrev_b32_e32 v167, 3, v36
	v_cmp_gt_u32_e64 s1, 8, v36
	v_dual_mov_b32 v36, v20 :: v_dual_mov_b32 v35, v19
	s_delay_alu instid0(VALU_DEP_2)
	s_and_saveexec_b32 s24, s1
; %bb.164:                              ;   in Loop: Header=BB434_13 Depth=1
	v_and_b32_e32 v35, 7, v34
	s_delay_alu instid0(VALU_DEP_1) | instskip(NEXT) | instid1(VALU_DEP_1)
	v_clz_i32_u32_e32 v35, v35
	v_min_u32_e32 v167, 32, v35
	s_delay_alu instid0(VALU_DEP_1) | instskip(SKIP_1) | instid1(VALU_DEP_2)
	v_subrev_nc_u32_e32 v35, 28, v167
	v_sub_nc_u32_e32 v167, 29, v167
	v_lshlrev_b64 v[35:36], v35, v[19:20]
; %bb.165:                              ;   in Loop: Header=BB434_13 Depth=1
	s_or_b32 exec_lo, exec_lo, s24
	s_delay_alu instid0(VALU_DEP_1) | instskip(SKIP_2) | instid1(VALU_DEP_3)
	v_lshlrev_b32_e32 v35, 20, v35
	v_lshlrev_b32_e32 v36, 24, v19
	v_lshl_add_u32 v167, v167, 23, 0x3c000000
	v_and_b32_e32 v35, 0x700000, v35
	s_delay_alu instid0(VALU_DEP_3) | instskip(NEXT) | instid1(VALU_DEP_1)
	v_and_b32_e32 v36, 0x80000000, v36
	v_or3_b32 v35, v35, v36, v167
.LBB434_166:                            ;   in Loop: Header=BB434_13 Depth=1
	s_or_b32 exec_lo, exec_lo, s23
.LBB434_167:                            ;   in Loop: Header=BB434_13 Depth=1
	s_delay_alu instid0(SALU_CYCLE_1)
	s_or_b32 exec_lo, exec_lo, s22
.LBB434_168:                            ;   in Loop: Header=BB434_13 Depth=1
	s_delay_alu instid0(SALU_CYCLE_1) | instskip(NEXT) | instid1(VALU_DEP_1)
	s_or_b32 exec_lo, exec_lo, s21
	v_mul_f32_e32 v35, v146, v35
                                        ; implicit-def: $vgpr167
	s_delay_alu instid0(VALU_DEP_1) | instskip(NEXT) | instid1(VALU_DEP_1)
	v_and_b32_e32 v36, 0x7f800000, v35
	v_cmp_ne_u32_e64 s1, 0x7f800000, v36
	s_delay_alu instid0(VALU_DEP_1) | instskip(NEXT) | instid1(SALU_CYCLE_1)
	s_and_saveexec_b32 s21, s1
	s_xor_b32 s1, exec_lo, s21
; %bb.169:                              ;   in Loop: Header=BB434_13 Depth=1
	v_bfe_u32 v36, v35, 16, 1
	s_delay_alu instid0(VALU_DEP_1)
	v_add3_u32 v167, v35, v36, 0x7fff
                                        ; implicit-def: $vgpr35
; %bb.170:                              ;   in Loop: Header=BB434_13 Depth=1
	s_and_not1_saveexec_b32 s21, s1
; %bb.171:                              ;   in Loop: Header=BB434_13 Depth=1
	v_and_b32_e32 v36, 0xffff, v35
	v_or_b32_e32 v167, 0x10000, v35
	s_delay_alu instid0(VALU_DEP_2) | instskip(NEXT) | instid1(VALU_DEP_1)
	v_cmp_eq_u32_e64 s1, 0, v36
	v_cndmask_b32_e64 v167, v167, v35, s1
; %bb.172:                              ;   in Loop: Header=BB434_13 Depth=1
	s_or_b32 exec_lo, exec_lo, s21
	v_lshrrev_b16 v36, 8, v19
	v_mov_b32_e32 v35, 0
	s_mov_b32 s21, exec_lo
	s_delay_alu instid0(VALU_DEP_2)
	v_cmpx_ne_u16_e32 0, v36
	s_cbranch_execz .LBB434_180
; %bb.173:                              ;   in Loop: Header=BB434_13 Depth=1
	v_bfrev_b32_e32 v35, 1
	s_mov_b32 s22, exec_lo
	v_cmpx_ne_u16_e32 0x80, v36
	s_cbranch_execz .LBB434_179
; %bb.174:                              ;   in Loop: Header=BB434_13 Depth=1
	v_and_b32_e32 v36, 0xffff, v36
	v_mov_b32_e32 v35, 0x7f800001
	s_mov_b32 s23, exec_lo
	s_delay_alu instid0(VALU_DEP_2) | instskip(NEXT) | instid1(VALU_DEP_1)
	v_and_b32_e32 v177, 0x7f, v36
	v_cmpx_ne_u32_e32 0x7f, v177
	s_cbranch_execz .LBB434_178
; %bb.175:                              ;   in Loop: Header=BB434_13 Depth=1
	v_dual_mov_b32 v36, v20 :: v_dual_and_b32 v35, 7, v36
	v_lshrrev_b32_e32 v176, 3, v177
	s_mov_b32 s24, exec_lo
	v_cmpx_gt_u32_e32 8, v177
; %bb.176:                              ;   in Loop: Header=BB434_13 Depth=1
	s_delay_alu instid0(VALU_DEP_3) | instskip(NEXT) | instid1(VALU_DEP_1)
	v_clz_i32_u32_e32 v176, v35
	v_min_u32_e32 v176, 32, v176
	s_delay_alu instid0(VALU_DEP_1) | instskip(SKIP_1) | instid1(VALU_DEP_2)
	v_subrev_nc_u32_e32 v177, 28, v176
	v_sub_nc_u32_e32 v176, 29, v176
	v_lshlrev_b64 v[35:36], v177, v[35:36]
	s_delay_alu instid0(VALU_DEP_1)
	v_and_b32_e32 v35, 7, v35
; %bb.177:                              ;   in Loop: Header=BB434_13 Depth=1
	s_or_b32 exec_lo, exec_lo, s24
	v_lshlrev_b32_e32 v19, 16, v19
	s_delay_alu instid0(VALU_DEP_2) | instskip(SKIP_1) | instid1(VALU_DEP_3)
	v_lshlrev_b32_e32 v35, 20, v35
	v_lshl_add_u32 v36, v176, 23, 0x3c000000
	v_and_b32_e32 v19, 0x80000000, v19
	s_delay_alu instid0(VALU_DEP_1)
	v_or3_b32 v35, v35, v19, v36
.LBB434_178:                            ;   in Loop: Header=BB434_13 Depth=1
	s_or_b32 exec_lo, exec_lo, s23
.LBB434_179:                            ;   in Loop: Header=BB434_13 Depth=1
	s_delay_alu instid0(SALU_CYCLE_1)
	s_or_b32 exec_lo, exec_lo, s22
.LBB434_180:                            ;   in Loop: Header=BB434_13 Depth=1
	s_delay_alu instid0(SALU_CYCLE_1) | instskip(NEXT) | instid1(VALU_DEP_1)
	s_or_b32 exec_lo, exec_lo, s21
	v_mul_f32_e32 v19, v146, v35
                                        ; implicit-def: $vgpr176
	s_delay_alu instid0(VALU_DEP_1) | instskip(NEXT) | instid1(VALU_DEP_1)
	v_and_b32_e32 v35, 0x7f800000, v19
	v_cmp_ne_u32_e64 s1, 0x7f800000, v35
	s_delay_alu instid0(VALU_DEP_1) | instskip(NEXT) | instid1(SALU_CYCLE_1)
	s_and_saveexec_b32 s21, s1
	s_xor_b32 s1, exec_lo, s21
; %bb.181:                              ;   in Loop: Header=BB434_13 Depth=1
	v_bfe_u32 v35, v19, 16, 1
	s_delay_alu instid0(VALU_DEP_1)
	v_add3_u32 v176, v19, v35, 0x7fff
                                        ; implicit-def: $vgpr19
; %bb.182:                              ;   in Loop: Header=BB434_13 Depth=1
	s_and_not1_saveexec_b32 s21, s1
; %bb.183:                              ;   in Loop: Header=BB434_13 Depth=1
	v_and_b32_e32 v35, 0xffff, v19
	v_or_b32_e32 v36, 0x10000, v19
	s_delay_alu instid0(VALU_DEP_2) | instskip(NEXT) | instid1(VALU_DEP_1)
	v_cmp_eq_u32_e64 s1, 0, v35
	v_cndmask_b32_e64 v176, v36, v19, s1
; %bb.184:                              ;   in Loop: Header=BB434_13 Depth=1
	s_or_b32 exec_lo, exec_lo, s21
	v_lshrrev_b32_e32 v35, 16, v34
	s_mov_b32 s21, exec_lo
	s_delay_alu instid0(VALU_DEP_1) | instskip(NEXT) | instid1(VALU_DEP_1)
	v_dual_mov_b32 v19, 0 :: v_dual_and_b32 v36, 0xff, v35
	v_cmpx_ne_u16_e32 0, v36
	s_cbranch_execz .LBB434_192
; %bb.185:                              ;   in Loop: Header=BB434_13 Depth=1
	v_bfrev_b32_e32 v19, 1
	s_mov_b32 s22, exec_lo
	v_cmpx_ne_u16_e32 0x80, v36
	s_cbranch_execz .LBB434_191
; %bb.186:                              ;   in Loop: Header=BB434_13 Depth=1
	v_bfe_u32 v177, v34, 16, 7
	v_mov_b32_e32 v19, 0x7f800001
	s_mov_b32 s23, exec_lo
	s_delay_alu instid0(VALU_DEP_2)
	v_cmpx_ne_u32_e32 0x7f, v177
	s_cbranch_execz .LBB434_190
; %bb.187:                              ;   in Loop: Header=BB434_13 Depth=1
	v_and_b32_e32 v19, 7, v35
	v_lshrrev_b32_e32 v36, 3, v177
	s_mov_b32 s24, exec_lo
	v_cmpx_gt_u32_e32 8, v177
; %bb.188:                              ;   in Loop: Header=BB434_13 Depth=1
	s_delay_alu instid0(VALU_DEP_3) | instskip(NEXT) | instid1(VALU_DEP_1)
	v_clz_i32_u32_e32 v36, v19
	v_min_u32_e32 v36, 32, v36
	s_delay_alu instid0(VALU_DEP_1) | instskip(SKIP_1) | instid1(VALU_DEP_2)
	v_subrev_nc_u32_e32 v177, 28, v36
	v_sub_nc_u32_e32 v36, 29, v36
	v_lshlrev_b64 v[177:178], v177, v[19:20]
	s_delay_alu instid0(VALU_DEP_1)
	v_and_b32_e32 v19, 7, v177
; %bb.189:                              ;   in Loop: Header=BB434_13 Depth=1
	s_or_b32 exec_lo, exec_lo, s24
	v_lshlrev_b32_e32 v35, 24, v35
	s_delay_alu instid0(VALU_DEP_2) | instskip(SKIP_1) | instid1(VALU_DEP_3)
	v_lshlrev_b32_e32 v19, 20, v19
	v_lshl_add_u32 v36, v36, 23, 0x3c000000
	v_and_b32_e32 v35, 0x80000000, v35
	s_delay_alu instid0(VALU_DEP_1)
	v_or3_b32 v19, v19, v35, v36
.LBB434_190:                            ;   in Loop: Header=BB434_13 Depth=1
	s_or_b32 exec_lo, exec_lo, s23
.LBB434_191:                            ;   in Loop: Header=BB434_13 Depth=1
	s_delay_alu instid0(SALU_CYCLE_1)
	s_or_b32 exec_lo, exec_lo, s22
.LBB434_192:                            ;   in Loop: Header=BB434_13 Depth=1
	s_delay_alu instid0(SALU_CYCLE_1) | instskip(NEXT) | instid1(VALU_DEP_1)
	s_or_b32 exec_lo, exec_lo, s21
	v_mul_f32_e32 v19, v146, v19
                                        ; implicit-def: $vgpr177
	s_delay_alu instid0(VALU_DEP_1) | instskip(NEXT) | instid1(VALU_DEP_1)
	v_and_b32_e32 v35, 0x7f800000, v19
	v_cmp_ne_u32_e64 s1, 0x7f800000, v35
	s_delay_alu instid0(VALU_DEP_1) | instskip(NEXT) | instid1(SALU_CYCLE_1)
	s_and_saveexec_b32 s21, s1
	s_xor_b32 s1, exec_lo, s21
; %bb.193:                              ;   in Loop: Header=BB434_13 Depth=1
	v_bfe_u32 v35, v19, 16, 1
	s_delay_alu instid0(VALU_DEP_1)
	v_add3_u32 v177, v19, v35, 0x7fff
                                        ; implicit-def: $vgpr19
; %bb.194:                              ;   in Loop: Header=BB434_13 Depth=1
	s_and_not1_saveexec_b32 s21, s1
; %bb.195:                              ;   in Loop: Header=BB434_13 Depth=1
	v_and_b32_e32 v35, 0xffff, v19
	v_or_b32_e32 v36, 0x10000, v19
	s_delay_alu instid0(VALU_DEP_2) | instskip(NEXT) | instid1(VALU_DEP_1)
	v_cmp_eq_u32_e64 s1, 0, v35
	v_cndmask_b32_e64 v177, v36, v19, s1
; %bb.196:                              ;   in Loop: Header=BB434_13 Depth=1
	s_or_b32 exec_lo, exec_lo, s21
	v_mov_b32_e32 v19, 0
	s_mov_b32 s21, exec_lo
	v_cmpx_lt_u64_e64 s[16:17], v[33:34]
	s_cbranch_execz .LBB434_204
; %bb.197:                              ;   in Loop: Header=BB434_13 Depth=1
	v_lshrrev_b32_e32 v33, 24, v34
	v_bfrev_b32_e32 v19, 1
	s_mov_b32 s22, exec_lo
	s_delay_alu instid0(VALU_DEP_2)
	v_cmpx_ne_u32_e32 0x80, v33
	s_cbranch_execz .LBB434_203
; %bb.198:                              ;   in Loop: Header=BB434_13 Depth=1
	v_bfe_u32 v35, v34, 24, 7
	v_mov_b32_e32 v19, 0x7f800001
	s_mov_b32 s23, exec_lo
	s_delay_alu instid0(VALU_DEP_2)
	v_cmpx_ne_u32_e32 0x7f, v35
	s_cbranch_execz .LBB434_202
; %bb.199:                              ;   in Loop: Header=BB434_13 Depth=1
	v_and_b32_e32 v19, 7, v33
	v_lshrrev_b32_e32 v34, 3, v35
	s_mov_b32 s24, exec_lo
	v_cmpx_gt_u32_e32 8, v35
; %bb.200:                              ;   in Loop: Header=BB434_13 Depth=1
	s_delay_alu instid0(VALU_DEP_3) | instskip(NEXT) | instid1(VALU_DEP_1)
	v_clz_i32_u32_e32 v34, v19
	v_min_u32_e32 v34, 32, v34
	s_delay_alu instid0(VALU_DEP_1) | instskip(SKIP_1) | instid1(VALU_DEP_2)
	v_subrev_nc_u32_e32 v35, 28, v34
	v_sub_nc_u32_e32 v34, 29, v34
	v_lshlrev_b64 v[35:36], v35, v[19:20]
	s_delay_alu instid0(VALU_DEP_1)
	v_and_b32_e32 v19, 7, v35
; %bb.201:                              ;   in Loop: Header=BB434_13 Depth=1
	s_or_b32 exec_lo, exec_lo, s24
	v_lshlrev_b32_e32 v33, 24, v33
	s_delay_alu instid0(VALU_DEP_2) | instskip(SKIP_1) | instid1(VALU_DEP_3)
	v_lshlrev_b32_e32 v19, 20, v19
	v_lshl_add_u32 v34, v34, 23, 0x3c000000
	v_and_b32_e32 v33, 0x80000000, v33
	s_delay_alu instid0(VALU_DEP_1)
	v_or3_b32 v19, v19, v33, v34
.LBB434_202:                            ;   in Loop: Header=BB434_13 Depth=1
	s_or_b32 exec_lo, exec_lo, s23
.LBB434_203:                            ;   in Loop: Header=BB434_13 Depth=1
	s_delay_alu instid0(SALU_CYCLE_1)
	s_or_b32 exec_lo, exec_lo, s22
.LBB434_204:                            ;   in Loop: Header=BB434_13 Depth=1
	s_delay_alu instid0(SALU_CYCLE_1) | instskip(NEXT) | instid1(VALU_DEP_1)
	s_or_b32 exec_lo, exec_lo, s21
	v_mul_f32_e32 v19, v146, v19
                                        ; implicit-def: $vgpr178
	s_delay_alu instid0(VALU_DEP_1) | instskip(NEXT) | instid1(VALU_DEP_1)
	v_and_b32_e32 v33, 0x7f800000, v19
	v_cmp_ne_u32_e64 s1, 0x7f800000, v33
	s_delay_alu instid0(VALU_DEP_1) | instskip(NEXT) | instid1(SALU_CYCLE_1)
	s_and_saveexec_b32 s21, s1
	s_xor_b32 s1, exec_lo, s21
; %bb.205:                              ;   in Loop: Header=BB434_13 Depth=1
	v_bfe_u32 v33, v19, 16, 1
	s_delay_alu instid0(VALU_DEP_1)
	v_add3_u32 v178, v19, v33, 0x7fff
                                        ; implicit-def: $vgpr19
; %bb.206:                              ;   in Loop: Header=BB434_13 Depth=1
	s_and_not1_saveexec_b32 s21, s1
; %bb.207:                              ;   in Loop: Header=BB434_13 Depth=1
	v_and_b32_e32 v33, 0xffff, v19
	v_or_b32_e32 v34, 0x10000, v19
	s_delay_alu instid0(VALU_DEP_2) | instskip(NEXT) | instid1(VALU_DEP_1)
	v_cmp_eq_u32_e64 s1, 0, v33
	v_cndmask_b32_e64 v178, v34, v19, s1
; %bb.208:                              ;   in Loop: Header=BB434_13 Depth=1
	s_or_b32 exec_lo, exec_lo, s21
	flat_load_b64 v[33:34], v[31:32] offset:512
	v_mov_b32_e32 v19, 0
	s_mov_b32 s21, exec_lo
	s_waitcnt vmcnt(0) lgkmcnt(0)
	v_and_b32_e32 v35, 0xff, v33
	s_delay_alu instid0(VALU_DEP_1)
	v_cmpx_ne_u16_e32 0, v35
	s_cbranch_execz .LBB434_216
; %bb.209:                              ;   in Loop: Header=BB434_13 Depth=1
	v_bfrev_b32_e32 v19, 1
	s_mov_b32 s22, exec_lo
	v_cmpx_ne_u16_e32 0x80, v35
	s_cbranch_execz .LBB434_215
; %bb.210:                              ;   in Loop: Header=BB434_13 Depth=1
	v_and_b32_e32 v35, 0x7f, v33
	v_mov_b32_e32 v19, 0x7f800001
	s_mov_b32 s23, exec_lo
	s_delay_alu instid0(VALU_DEP_2)
	v_cmpx_ne_u32_e32 0x7f, v35
	s_cbranch_execz .LBB434_214
; %bb.211:                              ;   in Loop: Header=BB434_13 Depth=1
	v_lshrrev_b32_e32 v19, 3, v35
	v_cmp_gt_u32_e64 s1, 8, v35
	v_dual_mov_b32 v36, v34 :: v_dual_mov_b32 v35, v33
	s_delay_alu instid0(VALU_DEP_2)
	s_and_saveexec_b32 s24, s1
; %bb.212:                              ;   in Loop: Header=BB434_13 Depth=1
	v_and_b32_e32 v19, 7, v33
	s_delay_alu instid0(VALU_DEP_1) | instskip(NEXT) | instid1(VALU_DEP_1)
	v_clz_i32_u32_e32 v19, v19
	v_min_u32_e32 v19, 32, v19
	s_delay_alu instid0(VALU_DEP_1) | instskip(SKIP_1) | instid1(VALU_DEP_2)
	v_subrev_nc_u32_e32 v35, 28, v19
	v_sub_nc_u32_e32 v19, 29, v19
	v_lshlrev_b64 v[35:36], v35, v[33:34]
; %bb.213:                              ;   in Loop: Header=BB434_13 Depth=1
	s_or_b32 exec_lo, exec_lo, s24
	s_delay_alu instid0(VALU_DEP_1) | instskip(SKIP_2) | instid1(VALU_DEP_3)
	v_lshlrev_b32_e32 v35, 20, v35
	v_lshlrev_b32_e32 v36, 24, v33
	v_lshl_add_u32 v19, v19, 23, 0x3c000000
	v_and_b32_e32 v35, 0x700000, v35
	s_delay_alu instid0(VALU_DEP_3) | instskip(NEXT) | instid1(VALU_DEP_1)
	v_and_b32_e32 v36, 0x80000000, v36
	v_or3_b32 v19, v35, v36, v19
.LBB434_214:                            ;   in Loop: Header=BB434_13 Depth=1
	s_or_b32 exec_lo, exec_lo, s23
.LBB434_215:                            ;   in Loop: Header=BB434_13 Depth=1
	s_delay_alu instid0(SALU_CYCLE_1)
	s_or_b32 exec_lo, exec_lo, s22
.LBB434_216:                            ;   in Loop: Header=BB434_13 Depth=1
	s_delay_alu instid0(SALU_CYCLE_1) | instskip(NEXT) | instid1(VALU_DEP_1)
	s_or_b32 exec_lo, exec_lo, s21
	v_mul_f32_e32 v19, v146, v19
                                        ; implicit-def: $vgpr179
	s_delay_alu instid0(VALU_DEP_1) | instskip(NEXT) | instid1(VALU_DEP_1)
	v_and_b32_e32 v35, 0x7f800000, v19
	v_cmp_ne_u32_e64 s1, 0x7f800000, v35
	s_delay_alu instid0(VALU_DEP_1) | instskip(NEXT) | instid1(SALU_CYCLE_1)
	s_and_saveexec_b32 s21, s1
	s_xor_b32 s1, exec_lo, s21
; %bb.217:                              ;   in Loop: Header=BB434_13 Depth=1
	v_bfe_u32 v35, v19, 16, 1
	s_delay_alu instid0(VALU_DEP_1)
	v_add3_u32 v179, v19, v35, 0x7fff
                                        ; implicit-def: $vgpr19
; %bb.218:                              ;   in Loop: Header=BB434_13 Depth=1
	s_and_not1_saveexec_b32 s21, s1
; %bb.219:                              ;   in Loop: Header=BB434_13 Depth=1
	v_and_b32_e32 v35, 0xffff, v19
	v_or_b32_e32 v36, 0x10000, v19
	s_delay_alu instid0(VALU_DEP_2) | instskip(NEXT) | instid1(VALU_DEP_1)
	v_cmp_eq_u32_e64 s1, 0, v35
	v_cndmask_b32_e64 v179, v36, v19, s1
; %bb.220:                              ;   in Loop: Header=BB434_13 Depth=1
	s_or_b32 exec_lo, exec_lo, s21
	v_lshrrev_b16 v35, 8, v33
	v_mov_b32_e32 v19, 0
	s_mov_b32 s21, exec_lo
	s_delay_alu instid0(VALU_DEP_2)
	v_cmpx_ne_u16_e32 0, v35
	s_cbranch_execz .LBB434_228
; %bb.221:                              ;   in Loop: Header=BB434_13 Depth=1
	v_bfrev_b32_e32 v19, 1
	s_mov_b32 s22, exec_lo
	v_cmpx_ne_u16_e32 0x80, v35
	s_cbranch_execz .LBB434_227
; %bb.222:                              ;   in Loop: Header=BB434_13 Depth=1
	v_and_b32_e32 v35, 0xffff, v35
	v_mov_b32_e32 v19, 0x7f800001
	s_mov_b32 s23, exec_lo
	s_delay_alu instid0(VALU_DEP_2) | instskip(NEXT) | instid1(VALU_DEP_1)
	v_and_b32_e32 v36, 0x7f, v35
	v_cmpx_ne_u32_e32 0x7f, v36
	s_cbranch_execz .LBB434_226
; %bb.223:                              ;   in Loop: Header=BB434_13 Depth=1
	v_and_b32_e32 v19, 7, v35
	v_lshrrev_b32_e32 v35, 3, v36
	s_mov_b32 s24, exec_lo
	v_cmpx_gt_u32_e32 8, v36
; %bb.224:                              ;   in Loop: Header=BB434_13 Depth=1
	s_delay_alu instid0(VALU_DEP_3) | instskip(NEXT) | instid1(VALU_DEP_1)
	v_clz_i32_u32_e32 v35, v19
	v_min_u32_e32 v35, 32, v35
	s_delay_alu instid0(VALU_DEP_1) | instskip(SKIP_1) | instid1(VALU_DEP_2)
	v_subrev_nc_u32_e32 v36, 28, v35
	v_sub_nc_u32_e32 v35, 29, v35
	v_lshlrev_b64 v[180:181], v36, v[19:20]
	s_delay_alu instid0(VALU_DEP_1)
	v_and_b32_e32 v19, 7, v180
; %bb.225:                              ;   in Loop: Header=BB434_13 Depth=1
	s_or_b32 exec_lo, exec_lo, s24
	v_lshlrev_b32_e32 v36, 16, v33
	s_delay_alu instid0(VALU_DEP_2) | instskip(SKIP_1) | instid1(VALU_DEP_3)
	v_lshlrev_b32_e32 v19, 20, v19
	v_lshl_add_u32 v35, v35, 23, 0x3c000000
	v_and_b32_e32 v36, 0x80000000, v36
	s_delay_alu instid0(VALU_DEP_1)
	v_or3_b32 v19, v19, v36, v35
.LBB434_226:                            ;   in Loop: Header=BB434_13 Depth=1
	s_or_b32 exec_lo, exec_lo, s23
.LBB434_227:                            ;   in Loop: Header=BB434_13 Depth=1
	s_delay_alu instid0(SALU_CYCLE_1)
	s_or_b32 exec_lo, exec_lo, s22
.LBB434_228:                            ;   in Loop: Header=BB434_13 Depth=1
	s_delay_alu instid0(SALU_CYCLE_1) | instskip(NEXT) | instid1(VALU_DEP_1)
	s_or_b32 exec_lo, exec_lo, s21
	v_mul_f32_e32 v19, v146, v19
                                        ; implicit-def: $vgpr180
	s_delay_alu instid0(VALU_DEP_1) | instskip(NEXT) | instid1(VALU_DEP_1)
	v_and_b32_e32 v35, 0x7f800000, v19
	v_cmp_ne_u32_e64 s1, 0x7f800000, v35
	s_delay_alu instid0(VALU_DEP_1) | instskip(NEXT) | instid1(SALU_CYCLE_1)
	s_and_saveexec_b32 s21, s1
	s_xor_b32 s1, exec_lo, s21
; %bb.229:                              ;   in Loop: Header=BB434_13 Depth=1
	v_bfe_u32 v35, v19, 16, 1
	s_delay_alu instid0(VALU_DEP_1)
	v_add3_u32 v180, v19, v35, 0x7fff
                                        ; implicit-def: $vgpr19
; %bb.230:                              ;   in Loop: Header=BB434_13 Depth=1
	s_and_not1_saveexec_b32 s21, s1
; %bb.231:                              ;   in Loop: Header=BB434_13 Depth=1
	v_and_b32_e32 v35, 0xffff, v19
	v_or_b32_e32 v36, 0x10000, v19
	s_delay_alu instid0(VALU_DEP_2) | instskip(NEXT) | instid1(VALU_DEP_1)
	v_cmp_eq_u32_e64 s1, 0, v35
	v_cndmask_b32_e64 v180, v36, v19, s1
; %bb.232:                              ;   in Loop: Header=BB434_13 Depth=1
	s_or_b32 exec_lo, exec_lo, s21
	v_lshrrev_b32_e32 v35, 16, v33
	s_mov_b32 s21, exec_lo
	s_delay_alu instid0(VALU_DEP_1) | instskip(NEXT) | instid1(VALU_DEP_1)
	v_dual_mov_b32 v19, 0 :: v_dual_and_b32 v36, 0xff, v35
	v_cmpx_ne_u16_e32 0, v36
	s_cbranch_execz .LBB434_240
; %bb.233:                              ;   in Loop: Header=BB434_13 Depth=1
	v_bfrev_b32_e32 v19, 1
	s_mov_b32 s22, exec_lo
	v_cmpx_ne_u16_e32 0x80, v36
	s_cbranch_execz .LBB434_239
; %bb.234:                              ;   in Loop: Header=BB434_13 Depth=1
	v_bfe_u32 v181, v33, 16, 7
	v_mov_b32_e32 v19, 0x7f800001
	s_mov_b32 s23, exec_lo
	s_delay_alu instid0(VALU_DEP_2)
	v_cmpx_ne_u32_e32 0x7f, v181
	s_cbranch_execz .LBB434_238
; %bb.235:                              ;   in Loop: Header=BB434_13 Depth=1
	v_and_b32_e32 v19, 7, v35
	v_lshrrev_b32_e32 v36, 3, v181
	s_mov_b32 s24, exec_lo
	v_cmpx_gt_u32_e32 8, v181
; %bb.236:                              ;   in Loop: Header=BB434_13 Depth=1
	s_delay_alu instid0(VALU_DEP_3) | instskip(NEXT) | instid1(VALU_DEP_1)
	v_clz_i32_u32_e32 v36, v19
	v_min_u32_e32 v36, 32, v36
	s_delay_alu instid0(VALU_DEP_1) | instskip(SKIP_1) | instid1(VALU_DEP_2)
	v_subrev_nc_u32_e32 v181, 28, v36
	v_sub_nc_u32_e32 v36, 29, v36
	v_lshlrev_b64 v[181:182], v181, v[19:20]
	s_delay_alu instid0(VALU_DEP_1)
	v_and_b32_e32 v19, 7, v181
; %bb.237:                              ;   in Loop: Header=BB434_13 Depth=1
	s_or_b32 exec_lo, exec_lo, s24
	v_lshlrev_b32_e32 v35, 24, v35
	s_delay_alu instid0(VALU_DEP_2) | instskip(SKIP_1) | instid1(VALU_DEP_3)
	v_lshlrev_b32_e32 v19, 20, v19
	v_lshl_add_u32 v36, v36, 23, 0x3c000000
	v_and_b32_e32 v35, 0x80000000, v35
	s_delay_alu instid0(VALU_DEP_1)
	v_or3_b32 v19, v19, v35, v36
.LBB434_238:                            ;   in Loop: Header=BB434_13 Depth=1
	s_or_b32 exec_lo, exec_lo, s23
.LBB434_239:                            ;   in Loop: Header=BB434_13 Depth=1
	s_delay_alu instid0(SALU_CYCLE_1)
	s_or_b32 exec_lo, exec_lo, s22
.LBB434_240:                            ;   in Loop: Header=BB434_13 Depth=1
	s_delay_alu instid0(SALU_CYCLE_1) | instskip(NEXT) | instid1(VALU_DEP_1)
	s_or_b32 exec_lo, exec_lo, s21
	v_mul_f32_e32 v19, v146, v19
                                        ; implicit-def: $vgpr181
	s_delay_alu instid0(VALU_DEP_1) | instskip(NEXT) | instid1(VALU_DEP_1)
	v_and_b32_e32 v35, 0x7f800000, v19
	v_cmp_ne_u32_e64 s1, 0x7f800000, v35
	s_delay_alu instid0(VALU_DEP_1) | instskip(NEXT) | instid1(SALU_CYCLE_1)
	s_and_saveexec_b32 s21, s1
	s_xor_b32 s1, exec_lo, s21
; %bb.241:                              ;   in Loop: Header=BB434_13 Depth=1
	v_bfe_u32 v35, v19, 16, 1
	s_delay_alu instid0(VALU_DEP_1)
	v_add3_u32 v181, v19, v35, 0x7fff
                                        ; implicit-def: $vgpr19
; %bb.242:                              ;   in Loop: Header=BB434_13 Depth=1
	s_and_not1_saveexec_b32 s21, s1
; %bb.243:                              ;   in Loop: Header=BB434_13 Depth=1
	v_and_b32_e32 v35, 0xffff, v19
	v_or_b32_e32 v36, 0x10000, v19
	s_delay_alu instid0(VALU_DEP_2) | instskip(NEXT) | instid1(VALU_DEP_1)
	v_cmp_eq_u32_e64 s1, 0, v35
	v_cndmask_b32_e64 v181, v36, v19, s1
; %bb.244:                              ;   in Loop: Header=BB434_13 Depth=1
	s_or_b32 exec_lo, exec_lo, s21
	v_mov_b32_e32 v19, 0
	s_mov_b32 s21, exec_lo
	v_cmpx_lt_u32_e32 0xffffff, v33
	s_cbranch_execz .LBB434_252
; %bb.245:                              ;   in Loop: Header=BB434_13 Depth=1
	v_lshrrev_b32_e32 v35, 24, v33
	v_bfrev_b32_e32 v19, 1
	s_mov_b32 s22, exec_lo
	s_delay_alu instid0(VALU_DEP_2)
	v_cmpx_ne_u32_e32 0x80, v35
	s_cbranch_execz .LBB434_251
; %bb.246:                              ;   in Loop: Header=BB434_13 Depth=1
	v_bfe_u32 v182, v33, 24, 7
	v_mov_b32_e32 v19, 0x7f800001
	s_mov_b32 s23, exec_lo
	s_delay_alu instid0(VALU_DEP_2)
	v_cmpx_ne_u32_e32 0x7f, v182
	s_cbranch_execz .LBB434_250
; %bb.247:                              ;   in Loop: Header=BB434_13 Depth=1
	v_and_b32_e32 v19, 7, v35
	v_lshrrev_b32_e32 v36, 3, v182
	s_mov_b32 s24, exec_lo
	v_cmpx_gt_u32_e32 8, v182
; %bb.248:                              ;   in Loop: Header=BB434_13 Depth=1
	s_delay_alu instid0(VALU_DEP_3) | instskip(NEXT) | instid1(VALU_DEP_1)
	v_clz_i32_u32_e32 v36, v19
	v_min_u32_e32 v36, 32, v36
	s_delay_alu instid0(VALU_DEP_1) | instskip(SKIP_1) | instid1(VALU_DEP_2)
	v_subrev_nc_u32_e32 v182, 28, v36
	v_sub_nc_u32_e32 v36, 29, v36
	v_lshlrev_b64 v[182:183], v182, v[19:20]
	s_delay_alu instid0(VALU_DEP_1)
	v_and_b32_e32 v19, 7, v182
; %bb.249:                              ;   in Loop: Header=BB434_13 Depth=1
	s_or_b32 exec_lo, exec_lo, s24
	v_lshlrev_b32_e32 v35, 24, v35
	s_delay_alu instid0(VALU_DEP_2) | instskip(SKIP_1) | instid1(VALU_DEP_3)
	v_lshlrev_b32_e32 v19, 20, v19
	v_lshl_add_u32 v36, v36, 23, 0x3c000000
	v_and_b32_e32 v35, 0x80000000, v35
	s_delay_alu instid0(VALU_DEP_1)
	v_or3_b32 v19, v19, v35, v36
.LBB434_250:                            ;   in Loop: Header=BB434_13 Depth=1
	s_or_b32 exec_lo, exec_lo, s23
.LBB434_251:                            ;   in Loop: Header=BB434_13 Depth=1
	s_delay_alu instid0(SALU_CYCLE_1)
	s_or_b32 exec_lo, exec_lo, s22
.LBB434_252:                            ;   in Loop: Header=BB434_13 Depth=1
	s_delay_alu instid0(SALU_CYCLE_1) | instskip(NEXT) | instid1(VALU_DEP_1)
	s_or_b32 exec_lo, exec_lo, s21
	v_mul_f32_e32 v19, v146, v19
                                        ; implicit-def: $vgpr182
	s_delay_alu instid0(VALU_DEP_1) | instskip(NEXT) | instid1(VALU_DEP_1)
	v_and_b32_e32 v35, 0x7f800000, v19
	v_cmp_ne_u32_e64 s1, 0x7f800000, v35
	s_delay_alu instid0(VALU_DEP_1) | instskip(NEXT) | instid1(SALU_CYCLE_1)
	s_and_saveexec_b32 s21, s1
	s_xor_b32 s1, exec_lo, s21
; %bb.253:                              ;   in Loop: Header=BB434_13 Depth=1
	v_bfe_u32 v35, v19, 16, 1
	s_delay_alu instid0(VALU_DEP_1)
	v_add3_u32 v182, v19, v35, 0x7fff
                                        ; implicit-def: $vgpr19
; %bb.254:                              ;   in Loop: Header=BB434_13 Depth=1
	s_and_not1_saveexec_b32 s21, s1
; %bb.255:                              ;   in Loop: Header=BB434_13 Depth=1
	v_and_b32_e32 v35, 0xffff, v19
	v_or_b32_e32 v36, 0x10000, v19
	s_delay_alu instid0(VALU_DEP_2) | instskip(NEXT) | instid1(VALU_DEP_1)
	v_cmp_eq_u32_e64 s1, 0, v35
	v_cndmask_b32_e64 v182, v36, v19, s1
; %bb.256:                              ;   in Loop: Header=BB434_13 Depth=1
	s_or_b32 exec_lo, exec_lo, s21
	v_dual_mov_b32 v19, v34 :: v_dual_and_b32 v36, 0xff, v34
	v_mov_b32_e32 v35, 0
	s_mov_b32 s21, exec_lo
	s_delay_alu instid0(VALU_DEP_2)
	v_cmpx_ne_u16_e32 0, v36
	s_cbranch_execz .LBB434_264
; %bb.257:                              ;   in Loop: Header=BB434_13 Depth=1
	v_bfrev_b32_e32 v35, 1
	s_mov_b32 s22, exec_lo
	v_cmpx_ne_u16_e32 0x80, v36
	s_cbranch_execz .LBB434_263
; %bb.258:                              ;   in Loop: Header=BB434_13 Depth=1
	v_and_b32_e32 v36, 0x7f, v34
	v_mov_b32_e32 v35, 0x7f800001
	s_mov_b32 s23, exec_lo
	s_delay_alu instid0(VALU_DEP_2)
	v_cmpx_ne_u32_e32 0x7f, v36
	s_cbranch_execz .LBB434_262
; %bb.259:                              ;   in Loop: Header=BB434_13 Depth=1
	v_lshrrev_b32_e32 v183, 3, v36
	v_cmp_gt_u32_e64 s1, 8, v36
	v_dual_mov_b32 v36, v20 :: v_dual_mov_b32 v35, v19
	s_delay_alu instid0(VALU_DEP_2)
	s_and_saveexec_b32 s24, s1
; %bb.260:                              ;   in Loop: Header=BB434_13 Depth=1
	v_and_b32_e32 v35, 7, v34
	s_delay_alu instid0(VALU_DEP_1) | instskip(NEXT) | instid1(VALU_DEP_1)
	v_clz_i32_u32_e32 v35, v35
	v_min_u32_e32 v183, 32, v35
	s_delay_alu instid0(VALU_DEP_1) | instskip(SKIP_1) | instid1(VALU_DEP_2)
	v_subrev_nc_u32_e32 v35, 28, v183
	v_sub_nc_u32_e32 v183, 29, v183
	v_lshlrev_b64 v[35:36], v35, v[19:20]
; %bb.261:                              ;   in Loop: Header=BB434_13 Depth=1
	s_or_b32 exec_lo, exec_lo, s24
	s_delay_alu instid0(VALU_DEP_1) | instskip(SKIP_2) | instid1(VALU_DEP_3)
	v_lshlrev_b32_e32 v35, 20, v35
	v_lshlrev_b32_e32 v36, 24, v19
	v_lshl_add_u32 v183, v183, 23, 0x3c000000
	v_and_b32_e32 v35, 0x700000, v35
	s_delay_alu instid0(VALU_DEP_3) | instskip(NEXT) | instid1(VALU_DEP_1)
	v_and_b32_e32 v36, 0x80000000, v36
	v_or3_b32 v35, v35, v36, v183
.LBB434_262:                            ;   in Loop: Header=BB434_13 Depth=1
	s_or_b32 exec_lo, exec_lo, s23
.LBB434_263:                            ;   in Loop: Header=BB434_13 Depth=1
	s_delay_alu instid0(SALU_CYCLE_1)
	s_or_b32 exec_lo, exec_lo, s22
.LBB434_264:                            ;   in Loop: Header=BB434_13 Depth=1
	s_delay_alu instid0(SALU_CYCLE_1) | instskip(NEXT) | instid1(VALU_DEP_1)
	s_or_b32 exec_lo, exec_lo, s21
	v_mul_f32_e32 v35, v146, v35
                                        ; implicit-def: $vgpr183
	s_delay_alu instid0(VALU_DEP_1) | instskip(NEXT) | instid1(VALU_DEP_1)
	v_and_b32_e32 v36, 0x7f800000, v35
	v_cmp_ne_u32_e64 s1, 0x7f800000, v36
	s_delay_alu instid0(VALU_DEP_1) | instskip(NEXT) | instid1(SALU_CYCLE_1)
	s_and_saveexec_b32 s21, s1
	s_xor_b32 s1, exec_lo, s21
; %bb.265:                              ;   in Loop: Header=BB434_13 Depth=1
	v_bfe_u32 v36, v35, 16, 1
	s_delay_alu instid0(VALU_DEP_1)
	v_add3_u32 v183, v35, v36, 0x7fff
                                        ; implicit-def: $vgpr35
; %bb.266:                              ;   in Loop: Header=BB434_13 Depth=1
	s_and_not1_saveexec_b32 s21, s1
; %bb.267:                              ;   in Loop: Header=BB434_13 Depth=1
	v_and_b32_e32 v36, 0xffff, v35
	v_or_b32_e32 v183, 0x10000, v35
	s_delay_alu instid0(VALU_DEP_2) | instskip(NEXT) | instid1(VALU_DEP_1)
	v_cmp_eq_u32_e64 s1, 0, v36
	v_cndmask_b32_e64 v183, v183, v35, s1
; %bb.268:                              ;   in Loop: Header=BB434_13 Depth=1
	s_or_b32 exec_lo, exec_lo, s21
	v_lshrrev_b16 v36, 8, v19
	v_mov_b32_e32 v35, 0
	s_mov_b32 s21, exec_lo
	s_delay_alu instid0(VALU_DEP_2)
	v_cmpx_ne_u16_e32 0, v36
	s_cbranch_execz .LBB434_276
; %bb.269:                              ;   in Loop: Header=BB434_13 Depth=1
	v_bfrev_b32_e32 v35, 1
	s_mov_b32 s22, exec_lo
	v_cmpx_ne_u16_e32 0x80, v36
	s_cbranch_execz .LBB434_275
; %bb.270:                              ;   in Loop: Header=BB434_13 Depth=1
	v_and_b32_e32 v36, 0xffff, v36
	v_mov_b32_e32 v35, 0x7f800001
	s_mov_b32 s23, exec_lo
	s_delay_alu instid0(VALU_DEP_2) | instskip(NEXT) | instid1(VALU_DEP_1)
	v_and_b32_e32 v41, 0x7f, v36
	v_cmpx_ne_u32_e32 0x7f, v41
	s_cbranch_execz .LBB434_274
; %bb.271:                              ;   in Loop: Header=BB434_13 Depth=1
	v_dual_mov_b32 v36, v20 :: v_dual_and_b32 v35, 7, v36
	v_lshrrev_b32_e32 v40, 3, v41
	s_mov_b32 s24, exec_lo
	v_cmpx_gt_u32_e32 8, v41
; %bb.272:                              ;   in Loop: Header=BB434_13 Depth=1
	s_delay_alu instid0(VALU_DEP_3) | instskip(NEXT) | instid1(VALU_DEP_1)
	v_clz_i32_u32_e32 v40, v35
	v_min_u32_e32 v40, 32, v40
	s_delay_alu instid0(VALU_DEP_1) | instskip(SKIP_1) | instid1(VALU_DEP_2)
	v_subrev_nc_u32_e32 v41, 28, v40
	v_sub_nc_u32_e32 v40, 29, v40
	v_lshlrev_b64 v[35:36], v41, v[35:36]
	s_delay_alu instid0(VALU_DEP_1)
	v_and_b32_e32 v35, 7, v35
; %bb.273:                              ;   in Loop: Header=BB434_13 Depth=1
	s_or_b32 exec_lo, exec_lo, s24
	v_lshlrev_b32_e32 v19, 16, v19
	s_delay_alu instid0(VALU_DEP_2) | instskip(SKIP_1) | instid1(VALU_DEP_3)
	v_lshlrev_b32_e32 v35, 20, v35
	v_lshl_add_u32 v36, v40, 23, 0x3c000000
	v_and_b32_e32 v19, 0x80000000, v19
	s_delay_alu instid0(VALU_DEP_1)
	v_or3_b32 v35, v35, v19, v36
.LBB434_274:                            ;   in Loop: Header=BB434_13 Depth=1
	s_or_b32 exec_lo, exec_lo, s23
.LBB434_275:                            ;   in Loop: Header=BB434_13 Depth=1
	s_delay_alu instid0(SALU_CYCLE_1)
	s_or_b32 exec_lo, exec_lo, s22
.LBB434_276:                            ;   in Loop: Header=BB434_13 Depth=1
	s_delay_alu instid0(SALU_CYCLE_1) | instskip(NEXT) | instid1(VALU_DEP_1)
	s_or_b32 exec_lo, exec_lo, s21
	v_mul_f32_e32 v19, v146, v35
	s_delay_alu instid0(VALU_DEP_1) | instskip(NEXT) | instid1(VALU_DEP_1)
	v_and_b32_e32 v35, 0x7f800000, v19
	v_cmp_ne_u32_e64 s1, 0x7f800000, v35
                                        ; implicit-def: $vgpr35
	s_delay_alu instid0(VALU_DEP_1) | instskip(NEXT) | instid1(SALU_CYCLE_1)
	s_and_saveexec_b32 s21, s1
	s_xor_b32 s1, exec_lo, s21
; %bb.277:                              ;   in Loop: Header=BB434_13 Depth=1
	v_bfe_u32 v35, v19, 16, 1
	s_delay_alu instid0(VALU_DEP_1)
	v_add3_u32 v35, v19, v35, 0x7fff
                                        ; implicit-def: $vgpr19
; %bb.278:                              ;   in Loop: Header=BB434_13 Depth=1
	s_and_not1_saveexec_b32 s21, s1
; %bb.279:                              ;   in Loop: Header=BB434_13 Depth=1
	v_and_b32_e32 v35, 0xffff, v19
	v_or_b32_e32 v36, 0x10000, v19
	s_delay_alu instid0(VALU_DEP_2) | instskip(NEXT) | instid1(VALU_DEP_1)
	v_cmp_eq_u32_e64 s1, 0, v35
	v_cndmask_b32_e64 v35, v36, v19, s1
; %bb.280:                              ;   in Loop: Header=BB434_13 Depth=1
	s_or_b32 exec_lo, exec_lo, s21
	v_lshrrev_b32_e32 v36, 16, v34
	s_mov_b32 s21, exec_lo
	s_delay_alu instid0(VALU_DEP_1) | instskip(NEXT) | instid1(VALU_DEP_1)
	v_dual_mov_b32 v19, 0 :: v_dual_and_b32 v40, 0xff, v36
	v_cmpx_ne_u16_e32 0, v40
	s_cbranch_execz .LBB434_288
; %bb.281:                              ;   in Loop: Header=BB434_13 Depth=1
	v_bfrev_b32_e32 v19, 1
	s_mov_b32 s22, exec_lo
	v_cmpx_ne_u16_e32 0x80, v40
	s_cbranch_execz .LBB434_287
; %bb.282:                              ;   in Loop: Header=BB434_13 Depth=1
	v_bfe_u32 v41, v34, 16, 7
	v_mov_b32_e32 v19, 0x7f800001
	s_mov_b32 s23, exec_lo
	s_delay_alu instid0(VALU_DEP_2)
	v_cmpx_ne_u32_e32 0x7f, v41
	s_cbranch_execz .LBB434_286
; %bb.283:                              ;   in Loop: Header=BB434_13 Depth=1
	v_and_b32_e32 v19, 7, v36
	v_lshrrev_b32_e32 v40, 3, v41
	s_mov_b32 s24, exec_lo
	v_cmpx_gt_u32_e32 8, v41
; %bb.284:                              ;   in Loop: Header=BB434_13 Depth=1
	s_delay_alu instid0(VALU_DEP_3) | instskip(NEXT) | instid1(VALU_DEP_1)
	v_clz_i32_u32_e32 v40, v19
	v_min_u32_e32 v40, 32, v40
	s_delay_alu instid0(VALU_DEP_1) | instskip(SKIP_1) | instid1(VALU_DEP_2)
	v_subrev_nc_u32_e32 v41, 28, v40
	v_sub_nc_u32_e32 v40, 29, v40
	v_lshlrev_b64 v[41:42], v41, v[19:20]
	s_delay_alu instid0(VALU_DEP_1)
	v_and_b32_e32 v19, 7, v41
; %bb.285:                              ;   in Loop: Header=BB434_13 Depth=1
	s_or_b32 exec_lo, exec_lo, s24
	v_lshlrev_b32_e32 v36, 24, v36
	s_delay_alu instid0(VALU_DEP_2) | instskip(SKIP_1) | instid1(VALU_DEP_3)
	v_lshlrev_b32_e32 v19, 20, v19
	v_lshl_add_u32 v40, v40, 23, 0x3c000000
	v_and_b32_e32 v36, 0x80000000, v36
	s_delay_alu instid0(VALU_DEP_1)
	v_or3_b32 v19, v19, v36, v40
.LBB434_286:                            ;   in Loop: Header=BB434_13 Depth=1
	s_or_b32 exec_lo, exec_lo, s23
.LBB434_287:                            ;   in Loop: Header=BB434_13 Depth=1
	s_delay_alu instid0(SALU_CYCLE_1)
	s_or_b32 exec_lo, exec_lo, s22
.LBB434_288:                            ;   in Loop: Header=BB434_13 Depth=1
	s_delay_alu instid0(SALU_CYCLE_1) | instskip(NEXT) | instid1(VALU_DEP_1)
	s_or_b32 exec_lo, exec_lo, s21
	v_mul_f32_e32 v19, v146, v19
	s_delay_alu instid0(VALU_DEP_1) | instskip(NEXT) | instid1(VALU_DEP_1)
	v_and_b32_e32 v36, 0x7f800000, v19
	v_cmp_ne_u32_e64 s1, 0x7f800000, v36
                                        ; implicit-def: $vgpr36
	s_delay_alu instid0(VALU_DEP_1) | instskip(NEXT) | instid1(SALU_CYCLE_1)
	s_and_saveexec_b32 s21, s1
	s_xor_b32 s1, exec_lo, s21
; %bb.289:                              ;   in Loop: Header=BB434_13 Depth=1
	v_bfe_u32 v36, v19, 16, 1
	s_delay_alu instid0(VALU_DEP_1)
	v_add3_u32 v36, v19, v36, 0x7fff
                                        ; implicit-def: $vgpr19
; %bb.290:                              ;   in Loop: Header=BB434_13 Depth=1
	s_and_not1_saveexec_b32 s21, s1
; %bb.291:                              ;   in Loop: Header=BB434_13 Depth=1
	v_and_b32_e32 v36, 0xffff, v19
	v_or_b32_e32 v40, 0x10000, v19
	s_delay_alu instid0(VALU_DEP_2) | instskip(NEXT) | instid1(VALU_DEP_1)
	v_cmp_eq_u32_e64 s1, 0, v36
	v_cndmask_b32_e64 v36, v40, v19, s1
; %bb.292:                              ;   in Loop: Header=BB434_13 Depth=1
	s_or_b32 exec_lo, exec_lo, s21
	v_mov_b32_e32 v19, 0
	s_mov_b32 s21, exec_lo
	v_cmpx_lt_u64_e64 s[16:17], v[33:34]
	s_cbranch_execz .LBB434_300
; %bb.293:                              ;   in Loop: Header=BB434_13 Depth=1
	v_lshrrev_b32_e32 v33, 24, v34
	v_bfrev_b32_e32 v19, 1
	s_mov_b32 s22, exec_lo
	s_delay_alu instid0(VALU_DEP_2)
	v_cmpx_ne_u32_e32 0x80, v33
	s_cbranch_execz .LBB434_299
; %bb.294:                              ;   in Loop: Header=BB434_13 Depth=1
	v_bfe_u32 v40, v34, 24, 7
	v_mov_b32_e32 v19, 0x7f800001
	s_mov_b32 s23, exec_lo
	s_delay_alu instid0(VALU_DEP_2)
	v_cmpx_ne_u32_e32 0x7f, v40
	s_cbranch_execz .LBB434_298
; %bb.295:                              ;   in Loop: Header=BB434_13 Depth=1
	v_and_b32_e32 v19, 7, v33
	v_lshrrev_b32_e32 v34, 3, v40
	s_mov_b32 s24, exec_lo
	v_cmpx_gt_u32_e32 8, v40
; %bb.296:                              ;   in Loop: Header=BB434_13 Depth=1
	s_delay_alu instid0(VALU_DEP_3) | instskip(NEXT) | instid1(VALU_DEP_1)
	v_clz_i32_u32_e32 v34, v19
	v_min_u32_e32 v34, 32, v34
	s_delay_alu instid0(VALU_DEP_1) | instskip(SKIP_1) | instid1(VALU_DEP_2)
	v_subrev_nc_u32_e32 v40, 28, v34
	v_sub_nc_u32_e32 v34, 29, v34
	v_lshlrev_b64 v[40:41], v40, v[19:20]
	s_delay_alu instid0(VALU_DEP_1)
	v_and_b32_e32 v19, 7, v40
; %bb.297:                              ;   in Loop: Header=BB434_13 Depth=1
	s_or_b32 exec_lo, exec_lo, s24
	v_lshlrev_b32_e32 v33, 24, v33
	s_delay_alu instid0(VALU_DEP_2) | instskip(SKIP_1) | instid1(VALU_DEP_3)
	v_lshlrev_b32_e32 v19, 20, v19
	v_lshl_add_u32 v34, v34, 23, 0x3c000000
	v_and_b32_e32 v33, 0x80000000, v33
	s_delay_alu instid0(VALU_DEP_1)
	v_or3_b32 v19, v19, v33, v34
.LBB434_298:                            ;   in Loop: Header=BB434_13 Depth=1
	s_or_b32 exec_lo, exec_lo, s23
.LBB434_299:                            ;   in Loop: Header=BB434_13 Depth=1
	s_delay_alu instid0(SALU_CYCLE_1)
	s_or_b32 exec_lo, exec_lo, s22
.LBB434_300:                            ;   in Loop: Header=BB434_13 Depth=1
	s_delay_alu instid0(SALU_CYCLE_1) | instskip(NEXT) | instid1(VALU_DEP_1)
	s_or_b32 exec_lo, exec_lo, s21
	v_mul_f32_e32 v19, v146, v19
                                        ; implicit-def: $vgpr40
	s_delay_alu instid0(VALU_DEP_1) | instskip(NEXT) | instid1(VALU_DEP_1)
	v_and_b32_e32 v33, 0x7f800000, v19
	v_cmp_ne_u32_e64 s1, 0x7f800000, v33
	s_delay_alu instid0(VALU_DEP_1) | instskip(NEXT) | instid1(SALU_CYCLE_1)
	s_and_saveexec_b32 s21, s1
	s_xor_b32 s1, exec_lo, s21
; %bb.301:                              ;   in Loop: Header=BB434_13 Depth=1
	v_bfe_u32 v33, v19, 16, 1
	s_delay_alu instid0(VALU_DEP_1)
	v_add3_u32 v40, v19, v33, 0x7fff
                                        ; implicit-def: $vgpr19
; %bb.302:                              ;   in Loop: Header=BB434_13 Depth=1
	s_and_not1_saveexec_b32 s21, s1
; %bb.303:                              ;   in Loop: Header=BB434_13 Depth=1
	v_and_b32_e32 v33, 0xffff, v19
	v_or_b32_e32 v34, 0x10000, v19
	s_delay_alu instid0(VALU_DEP_2) | instskip(NEXT) | instid1(VALU_DEP_1)
	v_cmp_eq_u32_e64 s1, 0, v33
	v_cndmask_b32_e64 v40, v34, v19, s1
; %bb.304:                              ;   in Loop: Header=BB434_13 Depth=1
	s_or_b32 exec_lo, exec_lo, s21
	flat_load_b64 v[31:32], v[31:32] offset:520
	v_mov_b32_e32 v19, 0
	s_mov_b32 s21, exec_lo
	s_waitcnt vmcnt(0) lgkmcnt(0)
	v_and_b32_e32 v33, 0xff, v31
	s_delay_alu instid0(VALU_DEP_1)
	v_cmpx_ne_u16_e32 0, v33
	s_cbranch_execz .LBB434_312
; %bb.305:                              ;   in Loop: Header=BB434_13 Depth=1
	v_bfrev_b32_e32 v19, 1
	s_mov_b32 s22, exec_lo
	v_cmpx_ne_u16_e32 0x80, v33
	s_cbranch_execz .LBB434_311
; %bb.306:                              ;   in Loop: Header=BB434_13 Depth=1
	v_and_b32_e32 v33, 0x7f, v31
	v_mov_b32_e32 v19, 0x7f800001
	s_mov_b32 s23, exec_lo
	s_delay_alu instid0(VALU_DEP_2)
	v_cmpx_ne_u32_e32 0x7f, v33
	s_cbranch_execz .LBB434_310
; %bb.307:                              ;   in Loop: Header=BB434_13 Depth=1
	v_lshrrev_b32_e32 v19, 3, v33
	v_cmp_gt_u32_e64 s1, 8, v33
	v_dual_mov_b32 v34, v32 :: v_dual_mov_b32 v33, v31
	s_delay_alu instid0(VALU_DEP_2)
	s_and_saveexec_b32 s24, s1
; %bb.308:                              ;   in Loop: Header=BB434_13 Depth=1
	v_and_b32_e32 v19, 7, v31
	s_delay_alu instid0(VALU_DEP_1) | instskip(NEXT) | instid1(VALU_DEP_1)
	v_clz_i32_u32_e32 v19, v19
	v_min_u32_e32 v19, 32, v19
	s_delay_alu instid0(VALU_DEP_1) | instskip(SKIP_1) | instid1(VALU_DEP_2)
	v_subrev_nc_u32_e32 v33, 28, v19
	v_sub_nc_u32_e32 v19, 29, v19
	v_lshlrev_b64 v[33:34], v33, v[31:32]
; %bb.309:                              ;   in Loop: Header=BB434_13 Depth=1
	s_or_b32 exec_lo, exec_lo, s24
	s_delay_alu instid0(VALU_DEP_1) | instskip(SKIP_2) | instid1(VALU_DEP_3)
	v_lshlrev_b32_e32 v33, 20, v33
	v_lshlrev_b32_e32 v34, 24, v31
	v_lshl_add_u32 v19, v19, 23, 0x3c000000
	v_and_b32_e32 v33, 0x700000, v33
	s_delay_alu instid0(VALU_DEP_3) | instskip(NEXT) | instid1(VALU_DEP_1)
	v_and_b32_e32 v34, 0x80000000, v34
	v_or3_b32 v19, v33, v34, v19
.LBB434_310:                            ;   in Loop: Header=BB434_13 Depth=1
	s_or_b32 exec_lo, exec_lo, s23
.LBB434_311:                            ;   in Loop: Header=BB434_13 Depth=1
	s_delay_alu instid0(SALU_CYCLE_1)
	s_or_b32 exec_lo, exec_lo, s22
.LBB434_312:                            ;   in Loop: Header=BB434_13 Depth=1
	s_delay_alu instid0(SALU_CYCLE_1) | instskip(NEXT) | instid1(VALU_DEP_1)
	s_or_b32 exec_lo, exec_lo, s21
	v_mul_f32_e32 v19, v146, v19
                                        ; implicit-def: $vgpr41
	s_delay_alu instid0(VALU_DEP_1) | instskip(NEXT) | instid1(VALU_DEP_1)
	v_and_b32_e32 v33, 0x7f800000, v19
	v_cmp_ne_u32_e64 s1, 0x7f800000, v33
	s_delay_alu instid0(VALU_DEP_1) | instskip(NEXT) | instid1(SALU_CYCLE_1)
	s_and_saveexec_b32 s21, s1
	s_xor_b32 s1, exec_lo, s21
; %bb.313:                              ;   in Loop: Header=BB434_13 Depth=1
	v_bfe_u32 v33, v19, 16, 1
	s_delay_alu instid0(VALU_DEP_1)
	v_add3_u32 v41, v19, v33, 0x7fff
                                        ; implicit-def: $vgpr19
; %bb.314:                              ;   in Loop: Header=BB434_13 Depth=1
	s_and_not1_saveexec_b32 s21, s1
; %bb.315:                              ;   in Loop: Header=BB434_13 Depth=1
	v_and_b32_e32 v33, 0xffff, v19
	v_or_b32_e32 v34, 0x10000, v19
	s_delay_alu instid0(VALU_DEP_2) | instskip(NEXT) | instid1(VALU_DEP_1)
	v_cmp_eq_u32_e64 s1, 0, v33
	v_cndmask_b32_e64 v41, v34, v19, s1
; %bb.316:                              ;   in Loop: Header=BB434_13 Depth=1
	s_or_b32 exec_lo, exec_lo, s21
	v_lshrrev_b16 v33, 8, v31
	v_mov_b32_e32 v19, 0
	s_mov_b32 s21, exec_lo
	s_delay_alu instid0(VALU_DEP_2)
	v_cmpx_ne_u16_e32 0, v33
	s_cbranch_execz .LBB434_324
; %bb.317:                              ;   in Loop: Header=BB434_13 Depth=1
	v_bfrev_b32_e32 v19, 1
	s_mov_b32 s22, exec_lo
	v_cmpx_ne_u16_e32 0x80, v33
	s_cbranch_execz .LBB434_323
; %bb.318:                              ;   in Loop: Header=BB434_13 Depth=1
	v_and_b32_e32 v33, 0xffff, v33
	v_mov_b32_e32 v19, 0x7f800001
	s_mov_b32 s23, exec_lo
	s_delay_alu instid0(VALU_DEP_2) | instskip(NEXT) | instid1(VALU_DEP_1)
	v_and_b32_e32 v34, 0x7f, v33
	v_cmpx_ne_u32_e32 0x7f, v34
	s_cbranch_execz .LBB434_322
; %bb.319:                              ;   in Loop: Header=BB434_13 Depth=1
	v_and_b32_e32 v19, 7, v33
	v_lshrrev_b32_e32 v33, 3, v34
	s_mov_b32 s24, exec_lo
	v_cmpx_gt_u32_e32 8, v34
; %bb.320:                              ;   in Loop: Header=BB434_13 Depth=1
	s_delay_alu instid0(VALU_DEP_3) | instskip(NEXT) | instid1(VALU_DEP_1)
	v_clz_i32_u32_e32 v33, v19
	v_min_u32_e32 v33, 32, v33
	s_delay_alu instid0(VALU_DEP_1) | instskip(SKIP_1) | instid1(VALU_DEP_2)
	v_subrev_nc_u32_e32 v34, 28, v33
	v_sub_nc_u32_e32 v33, 29, v33
	v_lshlrev_b64 v[42:43], v34, v[19:20]
	s_delay_alu instid0(VALU_DEP_1)
	v_and_b32_e32 v19, 7, v42
; %bb.321:                              ;   in Loop: Header=BB434_13 Depth=1
	s_or_b32 exec_lo, exec_lo, s24
	v_lshlrev_b32_e32 v34, 16, v31
	s_delay_alu instid0(VALU_DEP_2) | instskip(SKIP_1) | instid1(VALU_DEP_3)
	v_lshlrev_b32_e32 v19, 20, v19
	v_lshl_add_u32 v33, v33, 23, 0x3c000000
	v_and_b32_e32 v34, 0x80000000, v34
	s_delay_alu instid0(VALU_DEP_1)
	v_or3_b32 v19, v19, v34, v33
.LBB434_322:                            ;   in Loop: Header=BB434_13 Depth=1
	s_or_b32 exec_lo, exec_lo, s23
.LBB434_323:                            ;   in Loop: Header=BB434_13 Depth=1
	s_delay_alu instid0(SALU_CYCLE_1)
	s_or_b32 exec_lo, exec_lo, s22
.LBB434_324:                            ;   in Loop: Header=BB434_13 Depth=1
	s_delay_alu instid0(SALU_CYCLE_1) | instskip(NEXT) | instid1(VALU_DEP_1)
	s_or_b32 exec_lo, exec_lo, s21
	v_mul_f32_e32 v19, v146, v19
                                        ; implicit-def: $vgpr42
	s_delay_alu instid0(VALU_DEP_1) | instskip(NEXT) | instid1(VALU_DEP_1)
	v_and_b32_e32 v33, 0x7f800000, v19
	v_cmp_ne_u32_e64 s1, 0x7f800000, v33
	s_delay_alu instid0(VALU_DEP_1) | instskip(NEXT) | instid1(SALU_CYCLE_1)
	s_and_saveexec_b32 s21, s1
	s_xor_b32 s1, exec_lo, s21
; %bb.325:                              ;   in Loop: Header=BB434_13 Depth=1
	v_bfe_u32 v33, v19, 16, 1
	s_delay_alu instid0(VALU_DEP_1)
	v_add3_u32 v42, v19, v33, 0x7fff
                                        ; implicit-def: $vgpr19
; %bb.326:                              ;   in Loop: Header=BB434_13 Depth=1
	s_and_not1_saveexec_b32 s21, s1
; %bb.327:                              ;   in Loop: Header=BB434_13 Depth=1
	v_and_b32_e32 v33, 0xffff, v19
	v_or_b32_e32 v34, 0x10000, v19
	s_delay_alu instid0(VALU_DEP_2) | instskip(NEXT) | instid1(VALU_DEP_1)
	v_cmp_eq_u32_e64 s1, 0, v33
	v_cndmask_b32_e64 v42, v34, v19, s1
; %bb.328:                              ;   in Loop: Header=BB434_13 Depth=1
	s_or_b32 exec_lo, exec_lo, s21
	v_lshrrev_b32_e32 v33, 16, v31
	s_mov_b32 s21, exec_lo
	s_delay_alu instid0(VALU_DEP_1) | instskip(NEXT) | instid1(VALU_DEP_1)
	v_dual_mov_b32 v19, 0 :: v_dual_and_b32 v34, 0xff, v33
	v_cmpx_ne_u16_e32 0, v34
	s_cbranch_execz .LBB434_336
; %bb.329:                              ;   in Loop: Header=BB434_13 Depth=1
	v_bfrev_b32_e32 v19, 1
	s_mov_b32 s22, exec_lo
	v_cmpx_ne_u16_e32 0x80, v34
	s_cbranch_execz .LBB434_335
; %bb.330:                              ;   in Loop: Header=BB434_13 Depth=1
	v_bfe_u32 v43, v31, 16, 7
	v_mov_b32_e32 v19, 0x7f800001
	s_mov_b32 s23, exec_lo
	s_delay_alu instid0(VALU_DEP_2)
	v_cmpx_ne_u32_e32 0x7f, v43
	s_cbranch_execz .LBB434_334
; %bb.331:                              ;   in Loop: Header=BB434_13 Depth=1
	v_and_b32_e32 v19, 7, v33
	v_lshrrev_b32_e32 v34, 3, v43
	s_mov_b32 s24, exec_lo
	v_cmpx_gt_u32_e32 8, v43
; %bb.332:                              ;   in Loop: Header=BB434_13 Depth=1
	s_delay_alu instid0(VALU_DEP_3) | instskip(NEXT) | instid1(VALU_DEP_1)
	v_clz_i32_u32_e32 v34, v19
	v_min_u32_e32 v34, 32, v34
	s_delay_alu instid0(VALU_DEP_1) | instskip(SKIP_1) | instid1(VALU_DEP_2)
	v_subrev_nc_u32_e32 v43, 28, v34
	v_sub_nc_u32_e32 v34, 29, v34
	v_lshlrev_b64 v[43:44], v43, v[19:20]
	s_delay_alu instid0(VALU_DEP_1)
	v_and_b32_e32 v19, 7, v43
; %bb.333:                              ;   in Loop: Header=BB434_13 Depth=1
	s_or_b32 exec_lo, exec_lo, s24
	v_lshlrev_b32_e32 v33, 24, v33
	s_delay_alu instid0(VALU_DEP_2) | instskip(SKIP_1) | instid1(VALU_DEP_3)
	v_lshlrev_b32_e32 v19, 20, v19
	v_lshl_add_u32 v34, v34, 23, 0x3c000000
	v_and_b32_e32 v33, 0x80000000, v33
	s_delay_alu instid0(VALU_DEP_1)
	v_or3_b32 v19, v19, v33, v34
.LBB434_334:                            ;   in Loop: Header=BB434_13 Depth=1
	s_or_b32 exec_lo, exec_lo, s23
.LBB434_335:                            ;   in Loop: Header=BB434_13 Depth=1
	s_delay_alu instid0(SALU_CYCLE_1)
	s_or_b32 exec_lo, exec_lo, s22
.LBB434_336:                            ;   in Loop: Header=BB434_13 Depth=1
	s_delay_alu instid0(SALU_CYCLE_1) | instskip(NEXT) | instid1(VALU_DEP_1)
	s_or_b32 exec_lo, exec_lo, s21
	v_mul_f32_e32 v19, v146, v19
                                        ; implicit-def: $vgpr43
	s_delay_alu instid0(VALU_DEP_1) | instskip(NEXT) | instid1(VALU_DEP_1)
	v_and_b32_e32 v33, 0x7f800000, v19
	v_cmp_ne_u32_e64 s1, 0x7f800000, v33
	s_delay_alu instid0(VALU_DEP_1) | instskip(NEXT) | instid1(SALU_CYCLE_1)
	s_and_saveexec_b32 s21, s1
	s_xor_b32 s1, exec_lo, s21
; %bb.337:                              ;   in Loop: Header=BB434_13 Depth=1
	v_bfe_u32 v33, v19, 16, 1
	s_delay_alu instid0(VALU_DEP_1)
	v_add3_u32 v43, v19, v33, 0x7fff
                                        ; implicit-def: $vgpr19
; %bb.338:                              ;   in Loop: Header=BB434_13 Depth=1
	s_and_not1_saveexec_b32 s21, s1
; %bb.339:                              ;   in Loop: Header=BB434_13 Depth=1
	v_and_b32_e32 v33, 0xffff, v19
	v_or_b32_e32 v34, 0x10000, v19
	s_delay_alu instid0(VALU_DEP_2) | instskip(NEXT) | instid1(VALU_DEP_1)
	v_cmp_eq_u32_e64 s1, 0, v33
	v_cndmask_b32_e64 v43, v34, v19, s1
; %bb.340:                              ;   in Loop: Header=BB434_13 Depth=1
	s_or_b32 exec_lo, exec_lo, s21
	v_mov_b32_e32 v19, 0
	s_mov_b32 s21, exec_lo
	v_cmpx_lt_u32_e32 0xffffff, v31
	s_cbranch_execz .LBB434_348
; %bb.341:                              ;   in Loop: Header=BB434_13 Depth=1
	v_lshrrev_b32_e32 v33, 24, v31
	v_bfrev_b32_e32 v19, 1
	s_mov_b32 s22, exec_lo
	s_delay_alu instid0(VALU_DEP_2)
	v_cmpx_ne_u32_e32 0x80, v33
	s_cbranch_execz .LBB434_347
; %bb.342:                              ;   in Loop: Header=BB434_13 Depth=1
	v_bfe_u32 v44, v31, 24, 7
	v_mov_b32_e32 v19, 0x7f800001
	s_mov_b32 s23, exec_lo
	s_delay_alu instid0(VALU_DEP_2)
	v_cmpx_ne_u32_e32 0x7f, v44
	s_cbranch_execz .LBB434_346
; %bb.343:                              ;   in Loop: Header=BB434_13 Depth=1
	v_and_b32_e32 v19, 7, v33
	v_lshrrev_b32_e32 v34, 3, v44
	s_mov_b32 s24, exec_lo
	v_cmpx_gt_u32_e32 8, v44
; %bb.344:                              ;   in Loop: Header=BB434_13 Depth=1
	s_delay_alu instid0(VALU_DEP_3) | instskip(NEXT) | instid1(VALU_DEP_1)
	v_clz_i32_u32_e32 v34, v19
	v_min_u32_e32 v34, 32, v34
	s_delay_alu instid0(VALU_DEP_1) | instskip(SKIP_1) | instid1(VALU_DEP_2)
	v_subrev_nc_u32_e32 v44, 28, v34
	v_sub_nc_u32_e32 v34, 29, v34
	v_lshlrev_b64 v[44:45], v44, v[19:20]
	s_delay_alu instid0(VALU_DEP_1)
	v_and_b32_e32 v19, 7, v44
; %bb.345:                              ;   in Loop: Header=BB434_13 Depth=1
	s_or_b32 exec_lo, exec_lo, s24
	v_lshlrev_b32_e32 v33, 24, v33
	s_delay_alu instid0(VALU_DEP_2) | instskip(SKIP_1) | instid1(VALU_DEP_3)
	v_lshlrev_b32_e32 v19, 20, v19
	v_lshl_add_u32 v34, v34, 23, 0x3c000000
	v_and_b32_e32 v33, 0x80000000, v33
	s_delay_alu instid0(VALU_DEP_1)
	v_or3_b32 v19, v19, v33, v34
.LBB434_346:                            ;   in Loop: Header=BB434_13 Depth=1
	s_or_b32 exec_lo, exec_lo, s23
.LBB434_347:                            ;   in Loop: Header=BB434_13 Depth=1
	s_delay_alu instid0(SALU_CYCLE_1)
	s_or_b32 exec_lo, exec_lo, s22
.LBB434_348:                            ;   in Loop: Header=BB434_13 Depth=1
	s_delay_alu instid0(SALU_CYCLE_1) | instskip(NEXT) | instid1(VALU_DEP_1)
	s_or_b32 exec_lo, exec_lo, s21
	v_mul_f32_e32 v19, v146, v19
                                        ; implicit-def: $vgpr44
	s_delay_alu instid0(VALU_DEP_1) | instskip(NEXT) | instid1(VALU_DEP_1)
	v_and_b32_e32 v33, 0x7f800000, v19
	v_cmp_ne_u32_e64 s1, 0x7f800000, v33
	s_delay_alu instid0(VALU_DEP_1) | instskip(NEXT) | instid1(SALU_CYCLE_1)
	s_and_saveexec_b32 s21, s1
	s_xor_b32 s1, exec_lo, s21
; %bb.349:                              ;   in Loop: Header=BB434_13 Depth=1
	v_bfe_u32 v33, v19, 16, 1
	s_delay_alu instid0(VALU_DEP_1)
	v_add3_u32 v44, v19, v33, 0x7fff
                                        ; implicit-def: $vgpr19
; %bb.350:                              ;   in Loop: Header=BB434_13 Depth=1
	s_and_not1_saveexec_b32 s21, s1
; %bb.351:                              ;   in Loop: Header=BB434_13 Depth=1
	v_and_b32_e32 v33, 0xffff, v19
	v_or_b32_e32 v34, 0x10000, v19
	s_delay_alu instid0(VALU_DEP_2) | instskip(NEXT) | instid1(VALU_DEP_1)
	v_cmp_eq_u32_e64 s1, 0, v33
	v_cndmask_b32_e64 v44, v34, v19, s1
; %bb.352:                              ;   in Loop: Header=BB434_13 Depth=1
	s_or_b32 exec_lo, exec_lo, s21
	v_dual_mov_b32 v19, v32 :: v_dual_and_b32 v34, 0xff, v32
	v_mov_b32_e32 v33, 0
	s_mov_b32 s21, exec_lo
	s_delay_alu instid0(VALU_DEP_2)
	v_cmpx_ne_u16_e32 0, v34
	s_cbranch_execz .LBB434_360
; %bb.353:                              ;   in Loop: Header=BB434_13 Depth=1
	v_bfrev_b32_e32 v33, 1
	s_mov_b32 s22, exec_lo
	v_cmpx_ne_u16_e32 0x80, v34
	s_cbranch_execz .LBB434_359
; %bb.354:                              ;   in Loop: Header=BB434_13 Depth=1
	v_and_b32_e32 v34, 0x7f, v32
	v_mov_b32_e32 v33, 0x7f800001
	s_mov_b32 s23, exec_lo
	s_delay_alu instid0(VALU_DEP_2)
	v_cmpx_ne_u32_e32 0x7f, v34
	s_cbranch_execz .LBB434_358
; %bb.355:                              ;   in Loop: Header=BB434_13 Depth=1
	v_lshrrev_b32_e32 v45, 3, v34
	v_cmp_gt_u32_e64 s1, 8, v34
	v_dual_mov_b32 v34, v20 :: v_dual_mov_b32 v33, v19
	s_delay_alu instid0(VALU_DEP_2)
	s_and_saveexec_b32 s24, s1
; %bb.356:                              ;   in Loop: Header=BB434_13 Depth=1
	v_and_b32_e32 v33, 7, v32
	s_delay_alu instid0(VALU_DEP_1) | instskip(NEXT) | instid1(VALU_DEP_1)
	v_clz_i32_u32_e32 v33, v33
	v_min_u32_e32 v45, 32, v33
	s_delay_alu instid0(VALU_DEP_1) | instskip(SKIP_1) | instid1(VALU_DEP_2)
	v_subrev_nc_u32_e32 v33, 28, v45
	v_sub_nc_u32_e32 v45, 29, v45
	v_lshlrev_b64 v[33:34], v33, v[19:20]
; %bb.357:                              ;   in Loop: Header=BB434_13 Depth=1
	s_or_b32 exec_lo, exec_lo, s24
	s_delay_alu instid0(VALU_DEP_1) | instskip(SKIP_2) | instid1(VALU_DEP_3)
	v_lshlrev_b32_e32 v33, 20, v33
	v_lshlrev_b32_e32 v34, 24, v19
	v_lshl_add_u32 v45, v45, 23, 0x3c000000
	v_and_b32_e32 v33, 0x700000, v33
	s_delay_alu instid0(VALU_DEP_3) | instskip(NEXT) | instid1(VALU_DEP_1)
	v_and_b32_e32 v34, 0x80000000, v34
	v_or3_b32 v33, v33, v34, v45
.LBB434_358:                            ;   in Loop: Header=BB434_13 Depth=1
	s_or_b32 exec_lo, exec_lo, s23
.LBB434_359:                            ;   in Loop: Header=BB434_13 Depth=1
	s_delay_alu instid0(SALU_CYCLE_1)
	s_or_b32 exec_lo, exec_lo, s22
.LBB434_360:                            ;   in Loop: Header=BB434_13 Depth=1
	s_delay_alu instid0(SALU_CYCLE_1) | instskip(NEXT) | instid1(VALU_DEP_1)
	s_or_b32 exec_lo, exec_lo, s21
	v_mul_f32_e32 v33, v146, v33
                                        ; implicit-def: $vgpr45
	s_delay_alu instid0(VALU_DEP_1) | instskip(NEXT) | instid1(VALU_DEP_1)
	v_and_b32_e32 v34, 0x7f800000, v33
	v_cmp_ne_u32_e64 s1, 0x7f800000, v34
	s_delay_alu instid0(VALU_DEP_1) | instskip(NEXT) | instid1(SALU_CYCLE_1)
	s_and_saveexec_b32 s21, s1
	s_xor_b32 s1, exec_lo, s21
; %bb.361:                              ;   in Loop: Header=BB434_13 Depth=1
	v_bfe_u32 v34, v33, 16, 1
	s_delay_alu instid0(VALU_DEP_1)
	v_add3_u32 v45, v33, v34, 0x7fff
                                        ; implicit-def: $vgpr33
; %bb.362:                              ;   in Loop: Header=BB434_13 Depth=1
	s_and_not1_saveexec_b32 s21, s1
; %bb.363:                              ;   in Loop: Header=BB434_13 Depth=1
	v_and_b32_e32 v34, 0xffff, v33
	v_or_b32_e32 v45, 0x10000, v33
	s_delay_alu instid0(VALU_DEP_2) | instskip(NEXT) | instid1(VALU_DEP_1)
	v_cmp_eq_u32_e64 s1, 0, v34
	v_cndmask_b32_e64 v45, v45, v33, s1
; %bb.364:                              ;   in Loop: Header=BB434_13 Depth=1
	s_or_b32 exec_lo, exec_lo, s21
	v_lshrrev_b16 v34, 8, v19
	v_mov_b32_e32 v33, 0
	s_mov_b32 s21, exec_lo
	s_delay_alu instid0(VALU_DEP_2)
	v_cmpx_ne_u16_e32 0, v34
	s_cbranch_execz .LBB434_372
; %bb.365:                              ;   in Loop: Header=BB434_13 Depth=1
	v_bfrev_b32_e32 v33, 1
	s_mov_b32 s22, exec_lo
	v_cmpx_ne_u16_e32 0x80, v34
	s_cbranch_execz .LBB434_371
; %bb.366:                              ;   in Loop: Header=BB434_13 Depth=1
	v_and_b32_e32 v34, 0xffff, v34
	v_mov_b32_e32 v33, 0x7f800001
	s_mov_b32 s23, exec_lo
	s_delay_alu instid0(VALU_DEP_2) | instskip(NEXT) | instid1(VALU_DEP_1)
	v_and_b32_e32 v47, 0x7f, v34
	v_cmpx_ne_u32_e32 0x7f, v47
	s_cbranch_execz .LBB434_370
; %bb.367:                              ;   in Loop: Header=BB434_13 Depth=1
	v_dual_mov_b32 v34, v20 :: v_dual_and_b32 v33, 7, v34
	v_lshrrev_b32_e32 v46, 3, v47
	s_mov_b32 s24, exec_lo
	v_cmpx_gt_u32_e32 8, v47
; %bb.368:                              ;   in Loop: Header=BB434_13 Depth=1
	s_delay_alu instid0(VALU_DEP_3) | instskip(NEXT) | instid1(VALU_DEP_1)
	v_clz_i32_u32_e32 v46, v33
	v_min_u32_e32 v46, 32, v46
	s_delay_alu instid0(VALU_DEP_1) | instskip(SKIP_1) | instid1(VALU_DEP_2)
	v_subrev_nc_u32_e32 v47, 28, v46
	v_sub_nc_u32_e32 v46, 29, v46
	v_lshlrev_b64 v[33:34], v47, v[33:34]
	s_delay_alu instid0(VALU_DEP_1)
	v_and_b32_e32 v33, 7, v33
; %bb.369:                              ;   in Loop: Header=BB434_13 Depth=1
	s_or_b32 exec_lo, exec_lo, s24
	v_lshlrev_b32_e32 v19, 16, v19
	s_delay_alu instid0(VALU_DEP_2) | instskip(SKIP_1) | instid1(VALU_DEP_3)
	v_lshlrev_b32_e32 v33, 20, v33
	v_lshl_add_u32 v34, v46, 23, 0x3c000000
	v_and_b32_e32 v19, 0x80000000, v19
	s_delay_alu instid0(VALU_DEP_1)
	v_or3_b32 v33, v33, v19, v34
.LBB434_370:                            ;   in Loop: Header=BB434_13 Depth=1
	s_or_b32 exec_lo, exec_lo, s23
.LBB434_371:                            ;   in Loop: Header=BB434_13 Depth=1
	s_delay_alu instid0(SALU_CYCLE_1)
	s_or_b32 exec_lo, exec_lo, s22
.LBB434_372:                            ;   in Loop: Header=BB434_13 Depth=1
	s_delay_alu instid0(SALU_CYCLE_1) | instskip(NEXT) | instid1(VALU_DEP_1)
	s_or_b32 exec_lo, exec_lo, s21
	v_mul_f32_e32 v19, v146, v33
	s_delay_alu instid0(VALU_DEP_1) | instskip(NEXT) | instid1(VALU_DEP_1)
	v_and_b32_e32 v33, 0x7f800000, v19
	v_cmp_ne_u32_e64 s1, 0x7f800000, v33
                                        ; implicit-def: $vgpr33
	s_delay_alu instid0(VALU_DEP_1) | instskip(NEXT) | instid1(SALU_CYCLE_1)
	s_and_saveexec_b32 s21, s1
	s_xor_b32 s1, exec_lo, s21
; %bb.373:                              ;   in Loop: Header=BB434_13 Depth=1
	v_bfe_u32 v33, v19, 16, 1
	s_delay_alu instid0(VALU_DEP_1)
	v_add3_u32 v33, v19, v33, 0x7fff
                                        ; implicit-def: $vgpr19
; %bb.374:                              ;   in Loop: Header=BB434_13 Depth=1
	s_and_not1_saveexec_b32 s21, s1
; %bb.375:                              ;   in Loop: Header=BB434_13 Depth=1
	v_and_b32_e32 v33, 0xffff, v19
	v_or_b32_e32 v34, 0x10000, v19
	s_delay_alu instid0(VALU_DEP_2) | instskip(NEXT) | instid1(VALU_DEP_1)
	v_cmp_eq_u32_e64 s1, 0, v33
	v_cndmask_b32_e64 v33, v34, v19, s1
; %bb.376:                              ;   in Loop: Header=BB434_13 Depth=1
	s_or_b32 exec_lo, exec_lo, s21
	v_lshrrev_b32_e32 v34, 16, v32
	s_mov_b32 s21, exec_lo
	s_delay_alu instid0(VALU_DEP_1) | instskip(NEXT) | instid1(VALU_DEP_1)
	v_dual_mov_b32 v19, 0 :: v_dual_and_b32 v46, 0xff, v34
	v_cmpx_ne_u16_e32 0, v46
	s_cbranch_execz .LBB434_384
; %bb.377:                              ;   in Loop: Header=BB434_13 Depth=1
	v_bfrev_b32_e32 v19, 1
	s_mov_b32 s22, exec_lo
	v_cmpx_ne_u16_e32 0x80, v46
	s_cbranch_execz .LBB434_383
; %bb.378:                              ;   in Loop: Header=BB434_13 Depth=1
	v_bfe_u32 v47, v32, 16, 7
	v_mov_b32_e32 v19, 0x7f800001
	s_mov_b32 s23, exec_lo
	s_delay_alu instid0(VALU_DEP_2)
	v_cmpx_ne_u32_e32 0x7f, v47
	s_cbranch_execz .LBB434_382
; %bb.379:                              ;   in Loop: Header=BB434_13 Depth=1
	v_and_b32_e32 v19, 7, v34
	v_lshrrev_b32_e32 v46, 3, v47
	s_mov_b32 s24, exec_lo
	v_cmpx_gt_u32_e32 8, v47
; %bb.380:                              ;   in Loop: Header=BB434_13 Depth=1
	s_delay_alu instid0(VALU_DEP_3) | instskip(NEXT) | instid1(VALU_DEP_1)
	v_clz_i32_u32_e32 v46, v19
	v_min_u32_e32 v46, 32, v46
	s_delay_alu instid0(VALU_DEP_1) | instskip(SKIP_1) | instid1(VALU_DEP_2)
	v_subrev_nc_u32_e32 v47, 28, v46
	v_sub_nc_u32_e32 v46, 29, v46
	v_lshlrev_b64 v[56:57], v47, v[19:20]
	s_delay_alu instid0(VALU_DEP_1)
	v_and_b32_e32 v19, 7, v56
; %bb.381:                              ;   in Loop: Header=BB434_13 Depth=1
	s_or_b32 exec_lo, exec_lo, s24
	v_lshlrev_b32_e32 v34, 24, v34
	s_delay_alu instid0(VALU_DEP_2) | instskip(SKIP_1) | instid1(VALU_DEP_3)
	v_lshlrev_b32_e32 v19, 20, v19
	v_lshl_add_u32 v46, v46, 23, 0x3c000000
	v_and_b32_e32 v34, 0x80000000, v34
	s_delay_alu instid0(VALU_DEP_1)
	v_or3_b32 v19, v19, v34, v46
.LBB434_382:                            ;   in Loop: Header=BB434_13 Depth=1
	s_or_b32 exec_lo, exec_lo, s23
.LBB434_383:                            ;   in Loop: Header=BB434_13 Depth=1
	s_delay_alu instid0(SALU_CYCLE_1)
	s_or_b32 exec_lo, exec_lo, s22
.LBB434_384:                            ;   in Loop: Header=BB434_13 Depth=1
	s_delay_alu instid0(SALU_CYCLE_1) | instskip(NEXT) | instid1(VALU_DEP_1)
	s_or_b32 exec_lo, exec_lo, s21
	v_mul_f32_e32 v19, v146, v19
	s_delay_alu instid0(VALU_DEP_1) | instskip(NEXT) | instid1(VALU_DEP_1)
	v_and_b32_e32 v34, 0x7f800000, v19
	v_cmp_ne_u32_e64 s1, 0x7f800000, v34
                                        ; implicit-def: $vgpr34
	s_delay_alu instid0(VALU_DEP_1) | instskip(NEXT) | instid1(SALU_CYCLE_1)
	s_and_saveexec_b32 s21, s1
	s_xor_b32 s1, exec_lo, s21
; %bb.385:                              ;   in Loop: Header=BB434_13 Depth=1
	v_bfe_u32 v34, v19, 16, 1
	s_delay_alu instid0(VALU_DEP_1)
	v_add3_u32 v34, v19, v34, 0x7fff
                                        ; implicit-def: $vgpr19
; %bb.386:                              ;   in Loop: Header=BB434_13 Depth=1
	s_and_not1_saveexec_b32 s21, s1
; %bb.387:                              ;   in Loop: Header=BB434_13 Depth=1
	v_and_b32_e32 v34, 0xffff, v19
	v_or_b32_e32 v46, 0x10000, v19
	s_delay_alu instid0(VALU_DEP_2) | instskip(NEXT) | instid1(VALU_DEP_1)
	v_cmp_eq_u32_e64 s1, 0, v34
	v_cndmask_b32_e64 v34, v46, v19, s1
; %bb.388:                              ;   in Loop: Header=BB434_13 Depth=1
	s_or_b32 exec_lo, exec_lo, s21
	v_mov_b32_e32 v19, 0
	s_mov_b32 s21, exec_lo
	v_cmpx_lt_u64_e64 s[16:17], v[31:32]
	s_cbranch_execz .LBB434_396
; %bb.389:                              ;   in Loop: Header=BB434_13 Depth=1
	v_lshrrev_b32_e32 v31, 24, v32
	v_bfrev_b32_e32 v19, 1
	s_mov_b32 s22, exec_lo
	s_delay_alu instid0(VALU_DEP_2)
	v_cmpx_ne_u32_e32 0x80, v31
	s_cbranch_execz .LBB434_395
; %bb.390:                              ;   in Loop: Header=BB434_13 Depth=1
	v_bfe_u32 v46, v32, 24, 7
	v_mov_b32_e32 v19, 0x7f800001
	s_mov_b32 s23, exec_lo
	s_delay_alu instid0(VALU_DEP_2)
	v_cmpx_ne_u32_e32 0x7f, v46
	s_cbranch_execz .LBB434_394
; %bb.391:                              ;   in Loop: Header=BB434_13 Depth=1
	v_and_b32_e32 v19, 7, v31
	v_lshrrev_b32_e32 v32, 3, v46
	s_mov_b32 s24, exec_lo
	v_cmpx_gt_u32_e32 8, v46
; %bb.392:                              ;   in Loop: Header=BB434_13 Depth=1
	s_delay_alu instid0(VALU_DEP_3) | instskip(NEXT) | instid1(VALU_DEP_1)
	v_clz_i32_u32_e32 v32, v19
	v_min_u32_e32 v32, 32, v32
	s_delay_alu instid0(VALU_DEP_1) | instskip(SKIP_1) | instid1(VALU_DEP_2)
	v_subrev_nc_u32_e32 v46, 28, v32
	v_sub_nc_u32_e32 v32, 29, v32
	v_lshlrev_b64 v[46:47], v46, v[19:20]
	s_delay_alu instid0(VALU_DEP_1)
	v_and_b32_e32 v19, 7, v46
; %bb.393:                              ;   in Loop: Header=BB434_13 Depth=1
	s_or_b32 exec_lo, exec_lo, s24
	v_lshlrev_b32_e32 v31, 24, v31
	s_delay_alu instid0(VALU_DEP_2) | instskip(SKIP_1) | instid1(VALU_DEP_3)
	v_lshlrev_b32_e32 v19, 20, v19
	v_lshl_add_u32 v32, v32, 23, 0x3c000000
	v_and_b32_e32 v31, 0x80000000, v31
	s_delay_alu instid0(VALU_DEP_1)
	v_or3_b32 v19, v19, v31, v32
.LBB434_394:                            ;   in Loop: Header=BB434_13 Depth=1
	s_or_b32 exec_lo, exec_lo, s23
.LBB434_395:                            ;   in Loop: Header=BB434_13 Depth=1
	s_delay_alu instid0(SALU_CYCLE_1)
	s_or_b32 exec_lo, exec_lo, s22
.LBB434_396:                            ;   in Loop: Header=BB434_13 Depth=1
	s_delay_alu instid0(SALU_CYCLE_1) | instskip(NEXT) | instid1(VALU_DEP_1)
	s_or_b32 exec_lo, exec_lo, s21
	v_mul_f32_e32 v31, v146, v19
	s_delay_alu instid0(VALU_DEP_1) | instskip(NEXT) | instid1(VALU_DEP_1)
	v_and_b32_e32 v19, 0x7f800000, v31
	v_cmp_ne_u32_e64 s1, 0x7f800000, v19
                                        ; implicit-def: $vgpr19
	s_delay_alu instid0(VALU_DEP_1) | instskip(NEXT) | instid1(SALU_CYCLE_1)
	s_and_saveexec_b32 s21, s1
	s_xor_b32 s1, exec_lo, s21
; %bb.397:                              ;   in Loop: Header=BB434_13 Depth=1
	v_bfe_u32 v19, v31, 16, 1
	s_delay_alu instid0(VALU_DEP_1)
	v_add3_u32 v19, v31, v19, 0x7fff
                                        ; implicit-def: $vgpr31
; %bb.398:                              ;   in Loop: Header=BB434_13 Depth=1
	s_and_not1_saveexec_b32 s21, s1
	s_cbranch_execz .LBB434_11
; %bb.399:                              ;   in Loop: Header=BB434_13 Depth=1
	v_and_b32_e32 v19, 0xffff, v31
	v_or_b32_e32 v32, 0x10000, v31
	s_delay_alu instid0(VALU_DEP_2) | instskip(NEXT) | instid1(VALU_DEP_1)
	v_cmp_eq_u32_e64 s1, 0, v19
	v_cndmask_b32_e64 v19, v32, v31, s1
	s_branch .LBB434_11
.LBB434_400:
	s_or_b32 exec_lo, exec_lo, s20
.LBB434_401:
	s_delay_alu instid0(SALU_CYCLE_1) | instskip(SKIP_4) | instid1(VALU_DEP_2)
	s_or_b32 exec_lo, exec_lo, s19
	v_mbcnt_lo_u32_b32 v8, -1, 0
	s_waitcnt lgkmcnt(0)
	s_lshr_b32 s8, s15, 16
	v_max_f32_e32 v20, v102, v102
	v_xor_b32_e32 v9, 16, v8
	v_xor_b32_e32 v19, 8, v8
	s_delay_alu instid0(VALU_DEP_2) | instskip(SKIP_1) | instid1(VALU_DEP_3)
	v_cmp_gt_i32_e32 vcc_lo, 32, v9
	v_cndmask_b32_e32 v9, v8, v9, vcc_lo
	v_cmp_gt_i32_e32 vcc_lo, 32, v19
	s_delay_alu instid0(VALU_DEP_2) | instskip(SKIP_4) | instid1(VALU_DEP_1)
	v_lshlrev_b32_e32 v13, 2, v9
	v_cndmask_b32_e32 v19, v8, v19, vcc_lo
	ds_bpermute_b32 v9, v13, v102
	s_waitcnt lgkmcnt(0)
	v_dual_max_f32 v9, v9, v9 :: v_dual_lshlrev_b32 v24, 2, v19
	v_max_f32_e32 v9, v20, v9
	v_xor_b32_e32 v20, 4, v8
	ds_bpermute_b32 v19, v24, v9
	v_cmp_gt_i32_e32 vcc_lo, 32, v20
	v_cndmask_b32_e32 v20, v8, v20, vcc_lo
	s_delay_alu instid0(VALU_DEP_1) | instskip(SKIP_1) | instid1(VALU_DEP_1)
	v_lshlrev_b32_e32 v25, 2, v20
	v_xor_b32_e32 v20, 2, v8
	v_cmp_gt_i32_e32 vcc_lo, 32, v20
	s_waitcnt lgkmcnt(0)
	v_dual_max_f32 v19, v19, v19 :: v_dual_cndmask_b32 v20, v8, v20
	s_delay_alu instid0(VALU_DEP_1) | instskip(SKIP_3) | instid1(VALU_DEP_1)
	v_max_f32_e32 v9, v9, v19
	ds_bpermute_b32 v19, v25, v9
	s_waitcnt lgkmcnt(0)
	v_dual_max_f32 v28, v19, v19 :: v_dual_lshlrev_b32 v19, 2, v20
	v_max_f32_e32 v9, v9, v28
	v_xor_b32_e32 v28, 1, v8
	ds_bpermute_b32 v20, v19, v9
	v_cmp_gt_i32_e32 vcc_lo, 32, v28
	v_cndmask_b32_e32 v28, v8, v28, vcc_lo
	v_cmp_eq_u32_e32 vcc_lo, 0, v50
	s_waitcnt lgkmcnt(0)
	v_max_f32_e32 v20, v20, v20
	s_delay_alu instid0(VALU_DEP_1)
	v_max_f32_e32 v8, v9, v20
	v_lshlrev_b32_e32 v20, 2, v28
	v_lshlrev_b32_e32 v28, 2, v48
	ds_bpermute_b32 v9, v20, v8
	s_and_saveexec_b32 s1, vcc_lo
	s_cbranch_execz .LBB434_403
; %bb.402:
	s_waitcnt lgkmcnt(0)
	v_dual_max_f32 v9, v9, v9 :: v_dual_max_f32 v8, v8, v8
	s_delay_alu instid0(VALU_DEP_1)
	v_max_f32_e32 v8, v8, v9
	ds_store_b32 v28, v8 offset:64
.LBB434_403:
	s_or_b32 exec_lo, exec_lo, s1
	v_cmp_gt_u32_e64 s1, 4, v50
	v_mov_b32_e32 v8, 0xff7fffff
	s_waitcnt lgkmcnt(0)
	s_barrier
	buffer_gl0_inv
	s_and_saveexec_b32 s2, s1
	s_cbranch_execz .LBB434_405
; %bb.404:
	ds_load_b32 v8, v65 offset:64
.LBB434_405:
	s_or_b32 exec_lo, exec_lo, s2
	s_waitcnt lgkmcnt(0)
	ds_bpermute_b32 v9, v19, v8
	v_max_f32_e32 v8, v8, v8
	v_subrev_nc_u32_e32 v31, s13, v51
	v_mov_b32_e32 v29, 0
	s_waitcnt lgkmcnt(0)
	v_max_f32_e32 v9, v9, v9
	s_delay_alu instid0(VALU_DEP_1) | instskip(SKIP_3) | instid1(VALU_DEP_1)
	v_max_f32_e32 v8, v8, v9
	ds_bpermute_b32 v9, v20, v8
	s_waitcnt lgkmcnt(0)
	v_max_f32_e32 v9, v9, v9
	v_max_f32_e32 v8, v8, v9
	v_lshl_add_u32 v9, v31, 5, s3
	ds_bpermute_b32 v8, v29, v8
	v_min_i32_e32 v9, v9, v38
	s_delay_alu instid0(VALU_DEP_1) | instskip(NEXT) | instid1(VALU_DEP_1)
	v_subrev_nc_u32_e32 v9, s3, v9
	v_cmp_lt_i32_e64 s2, v37, v9
	s_delay_alu instid0(VALU_DEP_1)
	s_and_saveexec_b32 s9, s2
	s_cbranch_execz .LBB434_409
; %bb.406:
	s_getpc_b64 s[16:17]
	s_add_u32 s16, s16, llvm.amdgcn.dynlds.offset.table@rel32@lo+4
	s_addc_u32 s17, s17, llvm.amdgcn.dynlds.offset.table@rel32@hi+12
	s_ashr_i32 s11, s10, 31
	v_dual_mov_b32 v29, 0 :: v_dual_mov_b32 v32, v37
	s_lshl_b64 s[20:21], s[10:11], 2
	s_mov_b32 s11, 0
	s_add_u32 s16, s20, s16
	s_addc_u32 s17, s21, s17
	s_load_b32 s3, s[16:17], 0x0
	s_waitcnt lgkmcnt(0)
	v_lshl_add_u32 v31, v37, 2, s3
	.p2align	6
.LBB434_407:                            ; =>This Inner Loop Header: Depth=1
	ds_load_b32 v33, v31
	s_waitcnt lgkmcnt(0)
	v_sub_f32_e32 v33, v33, v8
	s_delay_alu instid0(VALU_DEP_1) | instskip(NEXT) | instid1(VALU_DEP_1)
	v_mul_f32_e32 v33, 0x3fb8aa3b, v33
	v_exp_f32_e32 v33, v33
	s_waitcnt_depctr 0xfff
	v_dual_add_f32 v29, v29, v33 :: v_dual_add_nc_u32 v32, 0x80, v32
	s_delay_alu instid0(VALU_DEP_1) | instskip(SKIP_3) | instid1(SALU_CYCLE_1)
	v_cmp_ge_i32_e64 s3, v32, v9
	ds_store_b32 v31, v33
	v_add_nc_u32_e32 v31, 0x200, v31
	s_or_b32 s11, s3, s11
	s_and_not1_b32 exec_lo, exec_lo, s11
	s_cbranch_execnz .LBB434_407
; %bb.408:
	s_or_b32 exec_lo, exec_lo, s11
.LBB434_409:
	s_delay_alu instid0(SALU_CYCLE_1)
	s_or_b32 exec_lo, exec_lo, s9
	ds_bpermute_b32 v13, v13, v29
	s_waitcnt lgkmcnt(0)
	v_add_f32_e32 v13, v29, v13
	ds_bpermute_b32 v24, v24, v13
	s_waitcnt lgkmcnt(0)
	v_add_f32_e32 v13, v13, v24
	;; [unrolled: 3-line block ×5, first 2 shown]
	s_and_saveexec_b32 s3, vcc_lo
	s_cbranch_execz .LBB434_411
; %bb.410:
	ds_store_b32 v28, v13 offset:80
.LBB434_411:
	s_or_b32 exec_lo, exec_lo, s3
	s_waitcnt lgkmcnt(0)
	s_barrier
	buffer_gl0_inv
	s_and_saveexec_b32 s3, s1
	s_cbranch_execz .LBB434_413
; %bb.412:
	ds_load_b32 v13, v65 offset:80
.LBB434_413:
	s_or_b32 exec_lo, exec_lo, s3
	s_waitcnt lgkmcnt(0)
	ds_bpermute_b32 v24, v19, v13
	s_waitcnt lgkmcnt(0)
	v_add_f32_e32 v13, v13, v24
	ds_bpermute_b32 v24, v20, v13
	s_waitcnt lgkmcnt(0)
	v_dual_add_f32 v13, v13, v24 :: v_dual_mov_b32 v24, 0
	ds_bpermute_b32 v13, v24, v13
	s_and_saveexec_b32 s1, s2
	s_cbranch_execz .LBB434_416
; %bb.414:
	s_waitcnt lgkmcnt(0)
	v_add_f32_e32 v25, 0x358637bd, v13
	s_getpc_b64 s[2:3]
	s_add_u32 s2, s2, llvm.amdgcn.dynlds.offset.table@rel32@lo+4
	s_addc_u32 s3, s3, llvm.amdgcn.dynlds.offset.table@rel32@hi+12
	s_ashr_i32 s11, s10, 31
	s_delay_alu instid0(SALU_CYCLE_1) | instskip(SKIP_4) | instid1(VALU_DEP_1)
	s_lshl_b64 s[16:17], s[10:11], 2
	v_div_scale_f32 v24, null, v25, v25, 1.0
	s_add_u32 s2, s16, s2
	s_addc_u32 s3, s17, s3
	s_load_b32 s2, s[2:3], 0x0
	v_rcp_f32_e32 v28, v24
	s_waitcnt_depctr 0xfff
	v_fma_f32 v29, -v24, v28, 1.0
	s_delay_alu instid0(VALU_DEP_1) | instskip(SKIP_1) | instid1(VALU_DEP_1)
	v_fmac_f32_e32 v28, v29, v28
	v_div_scale_f32 v31, vcc_lo, 1.0, v25, 1.0
	v_mul_f32_e32 v29, v31, v28
	s_delay_alu instid0(VALU_DEP_1) | instskip(NEXT) | instid1(VALU_DEP_1)
	v_fma_f32 v32, -v24, v29, v31
	v_fmac_f32_e32 v29, v32, v28
	s_delay_alu instid0(VALU_DEP_1) | instskip(NEXT) | instid1(VALU_DEP_1)
	v_fma_f32 v24, -v24, v29, v31
	v_div_fmas_f32 v28, v24, v28, v29
	s_waitcnt lgkmcnt(0)
	v_lshl_add_u32 v24, v37, 2, s2
	s_mov_b32 s2, 0
	s_delay_alu instid0(VALU_DEP_2)
	v_div_fixup_f32 v25, v28, v25, 1.0
	v_mov_b32_e32 v28, v37
.LBB434_415:                            ; =>This Inner Loop Header: Depth=1
	ds_load_b32 v29, v24
	s_waitcnt lgkmcnt(0)
	v_dual_mul_f32 v29, v25, v29 :: v_dual_add_nc_u32 v28, 0x80, v28
	s_delay_alu instid0(VALU_DEP_1) | instskip(SKIP_3) | instid1(SALU_CYCLE_1)
	v_cmp_ge_i32_e32 vcc_lo, v28, v9
	ds_store_b32 v24, v29
	v_add_nc_u32_e32 v24, 0x200, v24
	s_or_b32 s2, vcc_lo, s2
	s_and_not1_b32 exec_lo, exec_lo, s2
	s_cbranch_execnz .LBB434_415
.LBB434_416:
	s_or_b32 exec_lo, exec_lo, s1
	v_cmp_ne_u16_e64 s1, s8, 0
	s_mov_b32 s2, exec_lo
	s_waitcnt lgkmcnt(0)
	s_barrier
	buffer_gl0_inv
	s_cmp_lg_u32 s1, 0
	s_addc_u32 s1, s7, 0
	v_cmpx_eq_u32_e32 0, v37
	s_cbranch_execz .LBB434_418
; %bb.417:
	s_mul_i32 s3, s1, s4
	s_mul_i32 s8, s1, s12
	;; [unrolled: 1-line block ×3, first 2 shown]
	s_ashr_i32 s9, s8, 31
	s_ashr_i32 s15, s14, 31
	;; [unrolled: 1-line block ×3, first 2 shown]
	s_lshl_b64 s[8:9], s[8:9], 2
	s_lshl_b64 s[16:17], s[14:15], 2
	;; [unrolled: 1-line block ×3, first 2 shown]
	s_add_u32 s3, s16, s8
	s_addc_u32 s7, s17, s9
	s_add_u32 s3, s3, s12
	s_addc_u32 s7, s7, s13
	v_add_co_u32 v2, vcc_lo, s3, v2
	v_add_co_ci_u32_e32 v3, vcc_lo, s7, v3, vcc_lo
	v_add_co_u32 v0, vcc_lo, s3, v0
	v_add_co_ci_u32_e32 v1, vcc_lo, s7, v1, vcc_lo
	flat_store_b32 v[2:3], v8
	flat_store_b32 v[0:1], v13
.LBB434_418:
	s_or_b32 exec_lo, exec_lo, s2
	s_getpc_b64 s[2:3]
	s_add_u32 s2, s2, llvm.amdgcn.dynlds.offset.table@rel32@lo+4
	s_addc_u32 s3, s3, llvm.amdgcn.dynlds.offset.table@rel32@hi+12
	s_ashr_i32 s11, s10, 31
	v_dual_mov_b32 v32, 0 :: v_dual_mov_b32 v25, 0
	s_lshl_b64 s[8:9], s[10:11], 2
	v_dual_mov_b32 v31, 0 :: v_dual_and_b32 v24, 3, v37
	s_add_u32 s2, s8, s2
	s_addc_u32 s3, s9, s3
	v_mov_b32_e32 v28, 0
	s_load_b32 s11, s[2:3], 0x0
	s_mov_b32 s10, 0
	s_waitcnt lgkmcnt(0)
	v_mov_b32_e32 v8, s11
	s_and_saveexec_b32 s7, s0
	s_cbranch_execz .LBB434_976
; %bb.419:
	v_max_i32_e32 v29, v30, v54
	v_add_co_u32 v3, vcc_lo, v10, v12
	v_add_co_ci_u32_e32 v8, vcc_lo, v11, v55, vcc_lo
	s_delay_alu instid0(VALU_DEP_3) | instskip(SKIP_3) | instid1(VALU_DEP_4)
	v_cvt_f32_u32_e32 v0, v29
	v_sub_nc_u32_e32 v11, 0, v29
	v_lshlrev_b32_e32 v12, 5, v24
	v_dual_mov_b32 v31, 0 :: v_dual_add_nc_u32 v30, -1, v53
	v_rcp_iflag_f32_e32 v0, v0
	v_lshlrev_b32_e32 v2, 3, v37
	s_delay_alu instid0(VALU_DEP_3) | instskip(SKIP_3) | instid1(VALU_DEP_3)
	v_lshl_or_b32 v13, v48, 7, v12
	v_mov_b32_e32 v28, 0
	v_dual_mov_b32 v10, 0 :: v_dual_mov_b32 v25, 0
	s_mov_b32 s8, -1
	v_add_nc_u32_e32 v33, s11, v13
	s_mov_b32 s9, 0xffffff
	s_waitcnt_depctr 0xfff
	v_dual_mov_b32 v32, 0 :: v_dual_mul_f32 v9, 0x4f7ffffe, v0
	v_lshlrev_b64 v[0:1], 2, v[17:18]
	v_and_b32_e32 v18, 24, v2
	v_and_b32_e32 v2, 0xf8, v2
	s_delay_alu instid0(VALU_DEP_4) | instskip(NEXT) | instid1(VALU_DEP_4)
	v_cvt_u32_f32_e32 v9, v9
	v_add_co_u32 v0, vcc_lo, v6, v0
	v_add_co_ci_u32_e32 v1, vcc_lo, v7, v1, vcc_lo
	s_delay_alu instid0(VALU_DEP_3) | instskip(NEXT) | instid1(VALU_DEP_1)
	v_mul_lo_u32 v11, v11, v9
	v_mul_hi_u32 v6, v9, v11
	v_add_co_u32 v11, vcc_lo, v3, v2
	v_add_co_ci_u32_e32 v12, vcc_lo, 0, v8, vcc_lo
	v_add_co_u32 v13, vcc_lo, v14, v0
	v_add_co_ci_u32_e32 v14, vcc_lo, v15, v1, vcc_lo
	v_add_nc_u32_e32 v15, v9, v6
	s_branch .LBB434_422
.LBB434_420:                            ;   in Loop: Header=BB434_422 Depth=1
	s_or_b32 exec_lo, exec_lo, s0
	v_and_b32_e32 v80, 0xffff0000, v98
	v_and_b32_e32 v68, 0xffff0000, v115
	;; [unrolled: 1-line block ×9, first 2 shown]
	s_delay_alu instid0(VALU_DEP_4)
	v_dual_add_f32 v6, v6, v7 :: v_dual_and_b32 v65, 0xffff0000, v65
	v_add_f32_e32 v7, v69, v68
	v_and_b32_e32 v35, 0xffff0000, v35
	v_and_b32_e32 v53, 0xffff0000, v53
	;; [unrolled: 1-line block ×4, first 2 shown]
	v_add_f32_e32 v6, v6, v7
	v_and_b32_e32 v69, 0xffff0000, v99
	v_add_f32_e32 v34, v34, v35
	v_dual_add_f32 v35, v36, v53 :: v_dual_and_b32 v82, 0xffff0000, v118
	v_and_b32_e32 v9, 0xffff0000, v9
	s_delay_alu instid0(VALU_DEP_4) | instskip(SKIP_3) | instid1(VALU_DEP_4)
	v_dual_add_f32 v69, v80, v69 :: v_dual_and_b32 v54, 0xffff0000, v54
	v_and_b32_e32 v7, 0xffff0000, v103
	v_and_b32_e32 v80, 0xffff0000, v102
	v_dual_add_f32 v34, v34, v35 :: v_dual_and_b32 v1, 0xffff0000, v1
	v_dual_add_f32 v35, v54, v55 :: v_dual_and_b32 v70, 0xffff0000, v117
	s_delay_alu instid0(VALU_DEP_3) | instskip(SKIP_2) | instid1(VALU_DEP_4)
	v_dual_add_f32 v7, v80, v7 :: v_dual_and_b32 v8, 0xffff0000, v8
	v_and_b32_e32 v2, 0xffff0000, v2
	v_and_b32_e32 v0, 0xffff0000, v0
	v_dual_add_f32 v70, v71, v70 :: v_dual_and_b32 v71, 0xffff0000, v119
	v_and_b32_e32 v66, 0xffff0000, v66
	s_delay_alu instid0(VALU_DEP_3) | instskip(SKIP_1) | instid1(VALU_DEP_4)
	v_dual_add_f32 v0, v0, v1 :: v_dual_and_b32 v3, 0xffff0000, v3
	v_and_b32_e32 v68, 0xffff0000, v101
	v_add_f32_e32 v6, v6, v70
	s_delay_alu instid0(VALU_DEP_3) | instskip(NEXT) | instid1(VALU_DEP_3)
	v_dual_add_f32 v1, v3, v66 :: v_dual_and_b32 v70, 0xffff0000, v112
	v_add_f32_e32 v68, v81, v68
	s_delay_alu instid0(VALU_DEP_2) | instskip(NEXT) | instid1(VALU_DEP_2)
	v_add_f32_e32 v0, v0, v1
	v_dual_add_f32 v68, v69, v68 :: v_dual_add_f32 v69, v82, v71
	v_and_b32_e32 v3, 0xffff0000, v67
	s_delay_alu instid0(VALU_DEP_2) | instskip(NEXT) | instid1(VALU_DEP_2)
	v_add_f32_e32 v7, v68, v7
	v_add_f32_e32 v1, v3, v9
	v_dual_add_f32 v9, v34, v35 :: v_dual_add_f32 v34, v64, v65
	v_and_b32_e32 v71, 0xffff0000, v113
	s_delay_alu instid0(VALU_DEP_3) | instskip(SKIP_1) | instid1(VALU_DEP_3)
	v_add_f32_e32 v0, v0, v1
	v_dual_add_f32 v1, v8, v2 :: v_dual_add_f32 v2, v6, v69
	v_dual_add_f32 v6, v9, v34 :: v_dual_add_f32 v3, v70, v71
	s_delay_alu instid0(VALU_DEP_2) | instskip(NEXT) | instid1(VALU_DEP_2)
	v_dual_add_f32 v0, v0, v1 :: v_dual_add_f32 v25, v25, v2
	v_add_f32_e32 v31, v31, v6
	s_delay_alu instid0(VALU_DEP_2) | instskip(NEXT) | instid1(VALU_DEP_1)
	v_dual_add_f32 v3, v7, v3 :: v_dual_add_f32 v32, v32, v0
	v_add_f32_e32 v28, v28, v3
.LBB434_421:                            ;   in Loop: Header=BB434_422 Depth=1
	s_or_b32 exec_lo, exec_lo, s11
	v_add_nc_u32_e32 v17, 4, v17
	v_add_co_u32 v13, s0, v13, 16
	s_delay_alu instid0(VALU_DEP_1) | instskip(NEXT) | instid1(VALU_DEP_3)
	v_add_co_ci_u32_e64 v14, s0, 0, v14, s0
	v_cmp_ge_i32_e32 vcc_lo, v17, v51
	v_add_nc_u32_e32 v23, 0x80, v23
	v_add_nc_u32_e32 v33, 0x200, v33
	s_or_b32 s10, vcc_lo, s10
	s_delay_alu instid0(SALU_CYCLE_1)
	s_and_not1_b32 exec_lo, exec_lo, s10
	s_cbranch_execz .LBB434_975
.LBB434_422:                            ; =>This Inner Loop Header: Depth=1
	v_sub_nc_u32_e32 v0, 0, v23
	s_delay_alu instid0(VALU_DEP_1) | instskip(NEXT) | instid1(VALU_DEP_1)
	v_max_i32_e32 v0, v23, v0
	v_mul_hi_u32 v1, v0, v39
	s_delay_alu instid0(VALU_DEP_1) | instskip(NEXT) | instid1(VALU_DEP_1)
	v_mul_lo_u32 v2, v1, v21
	v_sub_nc_u32_e32 v0, v0, v2
	v_add_nc_u32_e32 v2, 1, v1
	s_delay_alu instid0(VALU_DEP_2) | instskip(SKIP_1) | instid1(VALU_DEP_2)
	v_sub_nc_u32_e32 v3, v0, v21
	v_cmp_ge_u32_e32 vcc_lo, v0, v21
	v_dual_cndmask_b32 v1, v1, v2 :: v_dual_cndmask_b32 v0, v0, v3
	v_ashrrev_i32_e32 v2, 31, v23
	s_delay_alu instid0(VALU_DEP_2) | instskip(NEXT) | instid1(VALU_DEP_3)
	v_add_nc_u32_e32 v3, 1, v1
	v_cmp_ge_u32_e32 vcc_lo, v0, v21
	s_delay_alu instid0(VALU_DEP_3) | instskip(NEXT) | instid1(VALU_DEP_3)
	v_xor_b32_e32 v2, v2, v49
	v_cndmask_b32_e32 v0, v1, v3, vcc_lo
	s_delay_alu instid0(VALU_DEP_1) | instskip(NEXT) | instid1(VALU_DEP_1)
	v_xor_b32_e32 v0, v0, v2
	v_sub_nc_u32_e32 v0, v0, v2
	s_delay_alu instid0(VALU_DEP_1) | instskip(SKIP_1) | instid1(VALU_DEP_2)
	v_add_nc_u32_e32 v1, v0, v16
	v_cmp_gt_i32_e64 s0, v0, v52
	v_sub_nc_u32_e32 v2, 0, v1
	s_delay_alu instid0(VALU_DEP_1) | instskip(NEXT) | instid1(VALU_DEP_1)
	v_max_i32_e32 v2, v1, v2
	v_mul_hi_u32 v3, v2, v15
	s_delay_alu instid0(VALU_DEP_1) | instskip(NEXT) | instid1(VALU_DEP_1)
	v_mul_lo_u32 v3, v3, v29
	v_sub_nc_u32_e32 v2, v2, v3
	s_delay_alu instid0(VALU_DEP_1) | instskip(SKIP_1) | instid1(VALU_DEP_2)
	v_sub_nc_u32_e32 v3, v2, v29
	v_cmp_ge_u32_e32 vcc_lo, v2, v29
	v_cndmask_b32_e32 v2, v2, v3, vcc_lo
	v_ashrrev_i32_e32 v1, 31, v1
	s_delay_alu instid0(VALU_DEP_2) | instskip(SKIP_1) | instid1(VALU_DEP_2)
	v_sub_nc_u32_e32 v3, v2, v29
	v_cmp_ge_u32_e32 vcc_lo, v2, v29
	v_cndmask_b32_e32 v2, v2, v3, vcc_lo
	s_delay_alu instid0(VALU_DEP_1) | instskip(NEXT) | instid1(VALU_DEP_1)
	v_xor_b32_e32 v2, v2, v1
	v_sub_nc_u32_e32 v1, v2, v1
	s_delay_alu instid0(VALU_DEP_1) | instskip(SKIP_1) | instid1(SALU_CYCLE_1)
	v_cmp_eq_u32_e32 vcc_lo, 0, v1
	s_or_b32 s0, vcc_lo, s0
	s_and_saveexec_b32 s11, s0
	s_cbranch_execz .LBB434_421
; %bb.423:                              ;   in Loop: Header=BB434_422 Depth=1
	flat_load_b32 v66, v[13:14]
	ds_load_2addr_b64 v[6:9], v33 offset1:1
	ds_load_2addr_b64 v[0:3], v33 offset0:2 offset1:3
	s_waitcnt lgkmcnt(1)
	v_and_b32_e32 v34, 0x7f800000, v6
	s_delay_alu instid0(VALU_DEP_1) | instskip(SKIP_1) | instid1(SALU_CYCLE_1)
	v_cmp_ne_u32_e32 vcc_lo, 0x7f800000, v34
                                        ; implicit-def: $vgpr34
	s_and_saveexec_b32 s0, vcc_lo
	s_xor_b32 s0, exec_lo, s0
; %bb.424:                              ;   in Loop: Header=BB434_422 Depth=1
	v_bfe_u32 v34, v6, 16, 1
	s_delay_alu instid0(VALU_DEP_1)
	v_add3_u32 v34, v6, v34, 0x7fff
; %bb.425:                              ;   in Loop: Header=BB434_422 Depth=1
	s_and_not1_saveexec_b32 s0, s0
; %bb.426:                              ;   in Loop: Header=BB434_422 Depth=1
	v_and_b32_e32 v34, 0xffff, v6
	v_or_b32_e32 v35, 0x10000, v6
	s_delay_alu instid0(VALU_DEP_2) | instskip(NEXT) | instid1(VALU_DEP_2)
	v_cmp_eq_u32_e32 vcc_lo, 0, v34
	v_cndmask_b32_e32 v34, v35, v6, vcc_lo
; %bb.427:                              ;   in Loop: Header=BB434_422 Depth=1
	s_or_b32 exec_lo, exec_lo, s0
	v_and_b32_e32 v6, 0x7f800000, v7
	s_mov_b32 s0, exec_lo
                                        ; implicit-def: $vgpr35
	s_delay_alu instid0(VALU_DEP_1)
	v_cmpx_ne_u32_e32 0x7f800000, v6
	s_xor_b32 s0, exec_lo, s0
; %bb.428:                              ;   in Loop: Header=BB434_422 Depth=1
	v_bfe_u32 v6, v7, 16, 1
	s_delay_alu instid0(VALU_DEP_1)
	v_add3_u32 v35, v7, v6, 0x7fff
; %bb.429:                              ;   in Loop: Header=BB434_422 Depth=1
	s_and_not1_saveexec_b32 s0, s0
; %bb.430:                              ;   in Loop: Header=BB434_422 Depth=1
	v_and_b32_e32 v6, 0xffff, v7
	v_or_b32_e32 v35, 0x10000, v7
	s_delay_alu instid0(VALU_DEP_2) | instskip(NEXT) | instid1(VALU_DEP_2)
	v_cmp_eq_u32_e32 vcc_lo, 0, v6
	v_cndmask_b32_e32 v35, v35, v7, vcc_lo
; %bb.431:                              ;   in Loop: Header=BB434_422 Depth=1
	s_or_b32 exec_lo, exec_lo, s0
	v_and_b32_e32 v6, 0x7f800000, v8
	s_mov_b32 s0, exec_lo
                                        ; implicit-def: $vgpr36
	s_delay_alu instid0(VALU_DEP_1)
	v_cmpx_ne_u32_e32 0x7f800000, v6
	s_xor_b32 s0, exec_lo, s0
; %bb.432:                              ;   in Loop: Header=BB434_422 Depth=1
	v_bfe_u32 v6, v8, 16, 1
	s_delay_alu instid0(VALU_DEP_1)
	v_add3_u32 v36, v8, v6, 0x7fff
; %bb.433:                              ;   in Loop: Header=BB434_422 Depth=1
	s_and_not1_saveexec_b32 s0, s0
; %bb.434:                              ;   in Loop: Header=BB434_422 Depth=1
	v_and_b32_e32 v6, 0xffff, v8
	v_or_b32_e32 v7, 0x10000, v8
	s_delay_alu instid0(VALU_DEP_2) | instskip(NEXT) | instid1(VALU_DEP_2)
	v_cmp_eq_u32_e32 vcc_lo, 0, v6
	v_cndmask_b32_e32 v36, v7, v8, vcc_lo
; %bb.435:                              ;   in Loop: Header=BB434_422 Depth=1
	s_or_b32 exec_lo, exec_lo, s0
	v_and_b32_e32 v6, 0x7f800000, v9
	s_mov_b32 s0, exec_lo
                                        ; implicit-def: $vgpr53
	s_delay_alu instid0(VALU_DEP_1)
	v_cmpx_ne_u32_e32 0x7f800000, v6
	s_xor_b32 s0, exec_lo, s0
; %bb.436:                              ;   in Loop: Header=BB434_422 Depth=1
	v_bfe_u32 v6, v9, 16, 1
	s_delay_alu instid0(VALU_DEP_1)
	v_add3_u32 v53, v9, v6, 0x7fff
                                        ; implicit-def: $vgpr6_vgpr7_vgpr8_vgpr9
; %bb.437:                              ;   in Loop: Header=BB434_422 Depth=1
	s_and_not1_saveexec_b32 s0, s0
; %bb.438:                              ;   in Loop: Header=BB434_422 Depth=1
	v_and_b32_e32 v6, 0xffff, v9
	v_or_b32_e32 v7, 0x10000, v9
	s_delay_alu instid0(VALU_DEP_2) | instskip(NEXT) | instid1(VALU_DEP_2)
	v_cmp_eq_u32_e32 vcc_lo, 0, v6
	v_cndmask_b32_e32 v53, v7, v9, vcc_lo
; %bb.439:                              ;   in Loop: Header=BB434_422 Depth=1
	s_or_b32 exec_lo, exec_lo, s0
	s_waitcnt lgkmcnt(0)
	v_and_b32_e32 v6, 0x7f800000, v0
	s_mov_b32 s0, exec_lo
                                        ; implicit-def: $vgpr54
	s_delay_alu instid0(VALU_DEP_1)
	v_cmpx_ne_u32_e32 0x7f800000, v6
	s_xor_b32 s0, exec_lo, s0
; %bb.440:                              ;   in Loop: Header=BB434_422 Depth=1
	v_bfe_u32 v6, v0, 16, 1
	s_delay_alu instid0(VALU_DEP_1)
	v_add3_u32 v54, v0, v6, 0x7fff
; %bb.441:                              ;   in Loop: Header=BB434_422 Depth=1
	s_and_not1_saveexec_b32 s0, s0
; %bb.442:                              ;   in Loop: Header=BB434_422 Depth=1
	v_and_b32_e32 v6, 0xffff, v0
	v_or_b32_e32 v7, 0x10000, v0
	s_delay_alu instid0(VALU_DEP_2) | instskip(NEXT) | instid1(VALU_DEP_2)
	v_cmp_eq_u32_e32 vcc_lo, 0, v6
	v_cndmask_b32_e32 v54, v7, v0, vcc_lo
; %bb.443:                              ;   in Loop: Header=BB434_422 Depth=1
	s_or_b32 exec_lo, exec_lo, s0
	v_and_b32_e32 v0, 0x7f800000, v1
	s_mov_b32 s0, exec_lo
                                        ; implicit-def: $vgpr55
	s_delay_alu instid0(VALU_DEP_1)
	v_cmpx_ne_u32_e32 0x7f800000, v0
	s_xor_b32 s0, exec_lo, s0
; %bb.444:                              ;   in Loop: Header=BB434_422 Depth=1
	v_bfe_u32 v0, v1, 16, 1
	s_delay_alu instid0(VALU_DEP_1)
	v_add3_u32 v55, v1, v0, 0x7fff
; %bb.445:                              ;   in Loop: Header=BB434_422 Depth=1
	s_and_not1_saveexec_b32 s0, s0
; %bb.446:                              ;   in Loop: Header=BB434_422 Depth=1
	v_and_b32_e32 v0, 0xffff, v1
	v_or_b32_e32 v6, 0x10000, v1
	s_delay_alu instid0(VALU_DEP_2) | instskip(NEXT) | instid1(VALU_DEP_2)
	v_cmp_eq_u32_e32 vcc_lo, 0, v0
	v_cndmask_b32_e32 v55, v6, v1, vcc_lo
; %bb.447:                              ;   in Loop: Header=BB434_422 Depth=1
	s_or_b32 exec_lo, exec_lo, s0
	v_and_b32_e32 v0, 0x7f800000, v2
	s_mov_b32 s0, exec_lo
                                        ; implicit-def: $vgpr64
	s_delay_alu instid0(VALU_DEP_1)
	v_cmpx_ne_u32_e32 0x7f800000, v0
	s_xor_b32 s0, exec_lo, s0
; %bb.448:                              ;   in Loop: Header=BB434_422 Depth=1
	v_bfe_u32 v0, v2, 16, 1
	s_delay_alu instid0(VALU_DEP_1)
	v_add3_u32 v64, v2, v0, 0x7fff
; %bb.449:                              ;   in Loop: Header=BB434_422 Depth=1
	s_and_not1_saveexec_b32 s0, s0
; %bb.450:                              ;   in Loop: Header=BB434_422 Depth=1
	v_and_b32_e32 v0, 0xffff, v2
	v_or_b32_e32 v1, 0x10000, v2
	s_delay_alu instid0(VALU_DEP_2) | instskip(NEXT) | instid1(VALU_DEP_2)
	v_cmp_eq_u32_e32 vcc_lo, 0, v0
	v_cndmask_b32_e32 v64, v1, v2, vcc_lo
; %bb.451:                              ;   in Loop: Header=BB434_422 Depth=1
	s_or_b32 exec_lo, exec_lo, s0
	v_and_b32_e32 v0, 0x7f800000, v3
	s_mov_b32 s0, exec_lo
                                        ; implicit-def: $vgpr65
	s_delay_alu instid0(VALU_DEP_1)
	v_cmpx_ne_u32_e32 0x7f800000, v0
	s_xor_b32 s0, exec_lo, s0
; %bb.452:                              ;   in Loop: Header=BB434_422 Depth=1
	v_bfe_u32 v0, v3, 16, 1
	s_delay_alu instid0(VALU_DEP_1)
	v_add3_u32 v65, v3, v0, 0x7fff
                                        ; implicit-def: $vgpr0_vgpr1_vgpr2_vgpr3
; %bb.453:                              ;   in Loop: Header=BB434_422 Depth=1
	s_and_not1_saveexec_b32 s0, s0
; %bb.454:                              ;   in Loop: Header=BB434_422 Depth=1
	v_and_b32_e32 v0, 0xffff, v3
	v_or_b32_e32 v1, 0x10000, v3
	s_delay_alu instid0(VALU_DEP_2) | instskip(NEXT) | instid1(VALU_DEP_2)
	v_cmp_eq_u32_e32 vcc_lo, 0, v0
	v_cndmask_b32_e32 v65, v1, v3, vcc_lo
; %bb.455:                              ;   in Loop: Header=BB434_422 Depth=1
	s_or_b32 exec_lo, exec_lo, s0
	s_waitcnt vmcnt(0)
	v_mad_i64_i32 v[0:1], null, v66, v22, v[11:12]
	s_mov_b32 s0, exec_lo
	flat_load_b64 v[2:3], v[0:1]
	flat_load_b32 v8, v[26:27]
	s_waitcnt vmcnt(1) lgkmcnt(1)
	v_dual_mov_b32 v6, 0 :: v_dual_and_b32 v7, 0xff, v2
	s_delay_alu instid0(VALU_DEP_1)
	v_cmpx_ne_u16_e32 0, v7
	s_cbranch_execz .LBB434_463
; %bb.456:                              ;   in Loop: Header=BB434_422 Depth=1
	v_bfrev_b32_e32 v6, 1
	s_mov_b32 s12, exec_lo
	v_cmpx_ne_u16_e32 0x80, v7
	s_cbranch_execz .LBB434_462
; %bb.457:                              ;   in Loop: Header=BB434_422 Depth=1
	v_and_b32_e32 v7, 0x7f, v2
	v_mov_b32_e32 v6, 0x7f800001
	s_mov_b32 s13, exec_lo
	s_delay_alu instid0(VALU_DEP_2)
	v_cmpx_ne_u32_e32 0x7f, v7
	s_cbranch_execz .LBB434_461
; %bb.458:                              ;   in Loop: Header=BB434_422 Depth=1
	v_lshrrev_b32_e32 v9, 3, v7
	v_cmp_gt_u32_e32 vcc_lo, 8, v7
	v_dual_mov_b32 v7, v3 :: v_dual_mov_b32 v6, v2
	s_and_saveexec_b32 s15, vcc_lo
; %bb.459:                              ;   in Loop: Header=BB434_422 Depth=1
	v_and_b32_e32 v6, 7, v2
	s_delay_alu instid0(VALU_DEP_1) | instskip(NEXT) | instid1(VALU_DEP_1)
	v_clz_i32_u32_e32 v6, v6
	v_min_u32_e32 v9, 32, v6
	s_delay_alu instid0(VALU_DEP_1) | instskip(SKIP_1) | instid1(VALU_DEP_2)
	v_subrev_nc_u32_e32 v6, 28, v9
	v_sub_nc_u32_e32 v9, 29, v9
	v_lshlrev_b64 v[6:7], v6, v[2:3]
; %bb.460:                              ;   in Loop: Header=BB434_422 Depth=1
	s_or_b32 exec_lo, exec_lo, s15
	s_delay_alu instid0(VALU_DEP_1) | instskip(SKIP_2) | instid1(VALU_DEP_3)
	v_lshlrev_b32_e32 v6, 20, v6
	v_lshlrev_b32_e32 v7, 24, v2
	v_lshl_add_u32 v9, v9, 23, 0x3c000000
	v_and_b32_e32 v6, 0x700000, v6
	s_delay_alu instid0(VALU_DEP_3) | instskip(NEXT) | instid1(VALU_DEP_1)
	v_and_b32_e32 v7, 0x80000000, v7
	v_or3_b32 v6, v6, v7, v9
.LBB434_461:                            ;   in Loop: Header=BB434_422 Depth=1
	s_or_b32 exec_lo, exec_lo, s13
.LBB434_462:                            ;   in Loop: Header=BB434_422 Depth=1
	s_delay_alu instid0(SALU_CYCLE_1)
	s_or_b32 exec_lo, exec_lo, s12
.LBB434_463:                            ;   in Loop: Header=BB434_422 Depth=1
	s_delay_alu instid0(SALU_CYCLE_1) | instskip(SKIP_3) | instid1(VALU_DEP_1)
	s_or_b32 exec_lo, exec_lo, s0
	s_waitcnt vmcnt(0) lgkmcnt(0)
	v_mul_f32_e32 v6, v8, v6
	s_mov_b32 s0, exec_lo
                                        ; implicit-def: $vgpr67
	v_and_b32_e32 v7, 0x7f800000, v6
	s_delay_alu instid0(VALU_DEP_1)
	v_cmpx_ne_u32_e32 0x7f800000, v7
	s_xor_b32 s0, exec_lo, s0
; %bb.464:                              ;   in Loop: Header=BB434_422 Depth=1
	v_bfe_u32 v7, v6, 16, 1
	s_delay_alu instid0(VALU_DEP_1)
	v_add3_u32 v67, v6, v7, 0x7fff
                                        ; implicit-def: $vgpr6
; %bb.465:                              ;   in Loop: Header=BB434_422 Depth=1
	s_and_not1_saveexec_b32 s0, s0
; %bb.466:                              ;   in Loop: Header=BB434_422 Depth=1
	v_and_b32_e32 v7, 0xffff, v6
	v_or_b32_e32 v9, 0x10000, v6
	s_delay_alu instid0(VALU_DEP_2) | instskip(NEXT) | instid1(VALU_DEP_2)
	v_cmp_eq_u32_e32 vcc_lo, 0, v7
	v_cndmask_b32_e32 v67, v9, v6, vcc_lo
; %bb.467:                              ;   in Loop: Header=BB434_422 Depth=1
	s_or_b32 exec_lo, exec_lo, s0
	v_lshrrev_b16 v7, 8, v2
	v_mov_b32_e32 v6, 0
	s_mov_b32 s0, exec_lo
	s_delay_alu instid0(VALU_DEP_2)
	v_cmpx_ne_u16_e32 0, v7
	s_cbranch_execz .LBB434_475
; %bb.468:                              ;   in Loop: Header=BB434_422 Depth=1
	v_bfrev_b32_e32 v6, 1
	s_mov_b32 s12, exec_lo
	v_cmpx_ne_u16_e32 0x80, v7
	s_cbranch_execz .LBB434_474
; %bb.469:                              ;   in Loop: Header=BB434_422 Depth=1
	v_and_b32_e32 v9, 0xffff, v7
	v_mov_b32_e32 v6, 0x7f800001
	s_mov_b32 s13, exec_lo
	s_delay_alu instid0(VALU_DEP_2) | instskip(NEXT) | instid1(VALU_DEP_1)
	v_and_b32_e32 v7, 0x7f, v9
	v_cmpx_ne_u32_e32 0x7f, v7
	s_cbranch_execz .LBB434_473
; %bb.470:                              ;   in Loop: Header=BB434_422 Depth=1
	v_and_b32_e32 v9, 7, v9
	v_lshrrev_b32_e32 v6, 3, v7
	s_mov_b32 s15, exec_lo
	v_cmpx_gt_u32_e32 8, v7
; %bb.471:                              ;   in Loop: Header=BB434_422 Depth=1
	s_delay_alu instid0(VALU_DEP_3) | instskip(NEXT) | instid1(VALU_DEP_1)
	v_clz_i32_u32_e32 v6, v9
	v_min_u32_e32 v6, 32, v6
	s_delay_alu instid0(VALU_DEP_1) | instskip(SKIP_1) | instid1(VALU_DEP_2)
	v_subrev_nc_u32_e32 v7, 28, v6
	v_sub_nc_u32_e32 v6, 29, v6
	v_lshlrev_b64 v[68:69], v7, v[9:10]
	s_delay_alu instid0(VALU_DEP_1)
	v_and_b32_e32 v9, 7, v68
; %bb.472:                              ;   in Loop: Header=BB434_422 Depth=1
	s_or_b32 exec_lo, exec_lo, s15
	v_lshlrev_b32_e32 v7, 16, v2
	s_delay_alu instid0(VALU_DEP_2) | instskip(SKIP_1) | instid1(VALU_DEP_3)
	v_lshlrev_b32_e32 v9, 20, v9
	v_lshl_add_u32 v6, v6, 23, 0x3c000000
	v_and_b32_e32 v7, 0x80000000, v7
	s_delay_alu instid0(VALU_DEP_1)
	v_or3_b32 v6, v9, v7, v6
.LBB434_473:                            ;   in Loop: Header=BB434_422 Depth=1
	s_or_b32 exec_lo, exec_lo, s13
.LBB434_474:                            ;   in Loop: Header=BB434_422 Depth=1
	s_delay_alu instid0(SALU_CYCLE_1)
	s_or_b32 exec_lo, exec_lo, s12
.LBB434_475:                            ;   in Loop: Header=BB434_422 Depth=1
	s_delay_alu instid0(SALU_CYCLE_1) | instskip(NEXT) | instid1(VALU_DEP_1)
	s_or_b32 exec_lo, exec_lo, s0
	v_mul_f32_e32 v6, v8, v6
	s_mov_b32 s0, exec_lo
                                        ; implicit-def: $vgpr68
	s_delay_alu instid0(VALU_DEP_1) | instskip(NEXT) | instid1(VALU_DEP_1)
	v_and_b32_e32 v7, 0x7f800000, v6
	v_cmpx_ne_u32_e32 0x7f800000, v7
	s_xor_b32 s0, exec_lo, s0
; %bb.476:                              ;   in Loop: Header=BB434_422 Depth=1
	v_bfe_u32 v7, v6, 16, 1
	s_delay_alu instid0(VALU_DEP_1)
	v_add3_u32 v68, v6, v7, 0x7fff
                                        ; implicit-def: $vgpr6
; %bb.477:                              ;   in Loop: Header=BB434_422 Depth=1
	s_and_not1_saveexec_b32 s0, s0
; %bb.478:                              ;   in Loop: Header=BB434_422 Depth=1
	v_and_b32_e32 v7, 0xffff, v6
	v_or_b32_e32 v9, 0x10000, v6
	s_delay_alu instid0(VALU_DEP_2) | instskip(NEXT) | instid1(VALU_DEP_2)
	v_cmp_eq_u32_e32 vcc_lo, 0, v7
	v_cndmask_b32_e32 v68, v9, v6, vcc_lo
; %bb.479:                              ;   in Loop: Header=BB434_422 Depth=1
	s_or_b32 exec_lo, exec_lo, s0
	v_lshrrev_b32_e32 v6, 16, v2
	v_mov_b32_e32 v7, 0
	s_mov_b32 s0, exec_lo
	s_delay_alu instid0(VALU_DEP_2) | instskip(NEXT) | instid1(VALU_DEP_1)
	v_and_b32_e32 v9, 0xff, v6
	v_cmpx_ne_u16_e32 0, v9
	s_cbranch_execz .LBB434_487
; %bb.480:                              ;   in Loop: Header=BB434_422 Depth=1
	v_bfrev_b32_e32 v7, 1
	s_mov_b32 s12, exec_lo
	v_cmpx_ne_u16_e32 0x80, v9
	s_cbranch_execz .LBB434_486
; %bb.481:                              ;   in Loop: Header=BB434_422 Depth=1
	v_bfe_u32 v66, v2, 16, 7
	v_mov_b32_e32 v7, 0x7f800001
	s_mov_b32 s13, exec_lo
	s_delay_alu instid0(VALU_DEP_2)
	v_cmpx_ne_u32_e32 0x7f, v66
	s_cbranch_execz .LBB434_485
; %bb.482:                              ;   in Loop: Header=BB434_422 Depth=1
	v_and_b32_e32 v9, 7, v6
	v_lshrrev_b32_e32 v7, 3, v66
	s_mov_b32 s15, exec_lo
	v_cmpx_gt_u32_e32 8, v66
; %bb.483:                              ;   in Loop: Header=BB434_422 Depth=1
	s_delay_alu instid0(VALU_DEP_3) | instskip(NEXT) | instid1(VALU_DEP_1)
	v_clz_i32_u32_e32 v7, v9
	v_min_u32_e32 v7, 32, v7
	s_delay_alu instid0(VALU_DEP_1) | instskip(SKIP_1) | instid1(VALU_DEP_2)
	v_subrev_nc_u32_e32 v66, 28, v7
	v_sub_nc_u32_e32 v7, 29, v7
	v_lshlrev_b64 v[69:70], v66, v[9:10]
	s_delay_alu instid0(VALU_DEP_1)
	v_and_b32_e32 v9, 7, v69
; %bb.484:                              ;   in Loop: Header=BB434_422 Depth=1
	s_or_b32 exec_lo, exec_lo, s15
	v_lshlrev_b32_e32 v6, 24, v6
	s_delay_alu instid0(VALU_DEP_2) | instskip(SKIP_1) | instid1(VALU_DEP_3)
	v_lshlrev_b32_e32 v9, 20, v9
	v_lshl_add_u32 v7, v7, 23, 0x3c000000
	v_and_b32_e32 v6, 0x80000000, v6
	s_delay_alu instid0(VALU_DEP_1)
	v_or3_b32 v7, v9, v6, v7
.LBB434_485:                            ;   in Loop: Header=BB434_422 Depth=1
	s_or_b32 exec_lo, exec_lo, s13
.LBB434_486:                            ;   in Loop: Header=BB434_422 Depth=1
	s_delay_alu instid0(SALU_CYCLE_1)
	s_or_b32 exec_lo, exec_lo, s12
.LBB434_487:                            ;   in Loop: Header=BB434_422 Depth=1
	s_delay_alu instid0(SALU_CYCLE_1) | instskip(NEXT) | instid1(VALU_DEP_1)
	s_or_b32 exec_lo, exec_lo, s0
	v_mul_f32_e32 v6, v8, v7
	s_mov_b32 s0, exec_lo
                                        ; implicit-def: $vgpr69
	s_delay_alu instid0(VALU_DEP_1) | instskip(NEXT) | instid1(VALU_DEP_1)
	v_and_b32_e32 v7, 0x7f800000, v6
	v_cmpx_ne_u32_e32 0x7f800000, v7
	s_xor_b32 s0, exec_lo, s0
; %bb.488:                              ;   in Loop: Header=BB434_422 Depth=1
	v_bfe_u32 v7, v6, 16, 1
	s_delay_alu instid0(VALU_DEP_1)
	v_add3_u32 v69, v6, v7, 0x7fff
                                        ; implicit-def: $vgpr6
; %bb.489:                              ;   in Loop: Header=BB434_422 Depth=1
	s_and_not1_saveexec_b32 s0, s0
; %bb.490:                              ;   in Loop: Header=BB434_422 Depth=1
	v_and_b32_e32 v7, 0xffff, v6
	v_or_b32_e32 v9, 0x10000, v6
	s_delay_alu instid0(VALU_DEP_2) | instskip(NEXT) | instid1(VALU_DEP_2)
	v_cmp_eq_u32_e32 vcc_lo, 0, v7
	v_cndmask_b32_e32 v69, v9, v6, vcc_lo
; %bb.491:                              ;   in Loop: Header=BB434_422 Depth=1
	s_or_b32 exec_lo, exec_lo, s0
	v_mov_b32_e32 v7, 0
	s_mov_b32 s0, exec_lo
	v_cmpx_lt_u32_e32 0xffffff, v2
	s_cbranch_execz .LBB434_499
; %bb.492:                              ;   in Loop: Header=BB434_422 Depth=1
	v_lshrrev_b32_e32 v6, 24, v2
	v_bfrev_b32_e32 v7, 1
	s_mov_b32 s12, exec_lo
	s_delay_alu instid0(VALU_DEP_2)
	v_cmpx_ne_u32_e32 0x80, v6
	s_cbranch_execz .LBB434_498
; %bb.493:                              ;   in Loop: Header=BB434_422 Depth=1
	v_bfe_u32 v66, v2, 24, 7
	v_mov_b32_e32 v7, 0x7f800001
	s_mov_b32 s13, exec_lo
	s_delay_alu instid0(VALU_DEP_2)
	v_cmpx_ne_u32_e32 0x7f, v66
	s_cbranch_execz .LBB434_497
; %bb.494:                              ;   in Loop: Header=BB434_422 Depth=1
	v_and_b32_e32 v9, 7, v6
	v_lshrrev_b32_e32 v7, 3, v66
	s_mov_b32 s15, exec_lo
	v_cmpx_gt_u32_e32 8, v66
; %bb.495:                              ;   in Loop: Header=BB434_422 Depth=1
	s_delay_alu instid0(VALU_DEP_3) | instskip(NEXT) | instid1(VALU_DEP_1)
	v_clz_i32_u32_e32 v7, v9
	v_min_u32_e32 v7, 32, v7
	s_delay_alu instid0(VALU_DEP_1) | instskip(SKIP_1) | instid1(VALU_DEP_2)
	v_subrev_nc_u32_e32 v66, 28, v7
	v_sub_nc_u32_e32 v7, 29, v7
	v_lshlrev_b64 v[70:71], v66, v[9:10]
	s_delay_alu instid0(VALU_DEP_1)
	v_and_b32_e32 v9, 7, v70
; %bb.496:                              ;   in Loop: Header=BB434_422 Depth=1
	s_or_b32 exec_lo, exec_lo, s15
	v_lshlrev_b32_e32 v6, 24, v6
	s_delay_alu instid0(VALU_DEP_2) | instskip(SKIP_1) | instid1(VALU_DEP_3)
	v_lshlrev_b32_e32 v9, 20, v9
	v_lshl_add_u32 v7, v7, 23, 0x3c000000
	v_and_b32_e32 v6, 0x80000000, v6
	s_delay_alu instid0(VALU_DEP_1)
	v_or3_b32 v7, v9, v6, v7
.LBB434_497:                            ;   in Loop: Header=BB434_422 Depth=1
	s_or_b32 exec_lo, exec_lo, s13
.LBB434_498:                            ;   in Loop: Header=BB434_422 Depth=1
	s_delay_alu instid0(SALU_CYCLE_1)
	s_or_b32 exec_lo, exec_lo, s12
.LBB434_499:                            ;   in Loop: Header=BB434_422 Depth=1
	s_delay_alu instid0(SALU_CYCLE_1) | instskip(NEXT) | instid1(VALU_DEP_1)
	s_or_b32 exec_lo, exec_lo, s0
	v_mul_f32_e32 v6, v8, v7
	s_mov_b32 s0, exec_lo
                                        ; implicit-def: $vgpr70
	s_delay_alu instid0(VALU_DEP_1) | instskip(NEXT) | instid1(VALU_DEP_1)
	v_and_b32_e32 v7, 0x7f800000, v6
	v_cmpx_ne_u32_e32 0x7f800000, v7
	s_xor_b32 s0, exec_lo, s0
; %bb.500:                              ;   in Loop: Header=BB434_422 Depth=1
	v_bfe_u32 v7, v6, 16, 1
	s_delay_alu instid0(VALU_DEP_1)
	v_add3_u32 v70, v6, v7, 0x7fff
                                        ; implicit-def: $vgpr6
; %bb.501:                              ;   in Loop: Header=BB434_422 Depth=1
	s_and_not1_saveexec_b32 s0, s0
; %bb.502:                              ;   in Loop: Header=BB434_422 Depth=1
	v_and_b32_e32 v7, 0xffff, v6
	v_or_b32_e32 v9, 0x10000, v6
	s_delay_alu instid0(VALU_DEP_2) | instskip(NEXT) | instid1(VALU_DEP_2)
	v_cmp_eq_u32_e32 vcc_lo, 0, v7
	v_cndmask_b32_e32 v70, v9, v6, vcc_lo
; %bb.503:                              ;   in Loop: Header=BB434_422 Depth=1
	s_or_b32 exec_lo, exec_lo, s0
	v_dual_mov_b32 v6, 0 :: v_dual_and_b32 v7, 0xff, v3
	v_mov_b32_e32 v9, v3
	s_mov_b32 s0, exec_lo
	s_delay_alu instid0(VALU_DEP_2)
	v_cmpx_ne_u16_e32 0, v7
	s_cbranch_execz .LBB434_511
; %bb.504:                              ;   in Loop: Header=BB434_422 Depth=1
	v_bfrev_b32_e32 v6, 1
	s_mov_b32 s12, exec_lo
	v_cmpx_ne_u16_e32 0x80, v7
	s_cbranch_execz .LBB434_510
; %bb.505:                              ;   in Loop: Header=BB434_422 Depth=1
	v_and_b32_e32 v7, 0x7f, v3
	v_mov_b32_e32 v6, 0x7f800001
	s_mov_b32 s13, exec_lo
	s_delay_alu instid0(VALU_DEP_2)
	v_cmpx_ne_u32_e32 0x7f, v7
	s_cbranch_execz .LBB434_509
; %bb.506:                              ;   in Loop: Header=BB434_422 Depth=1
	v_lshrrev_b32_e32 v66, 3, v7
	v_cmp_gt_u32_e32 vcc_lo, 8, v7
	v_dual_mov_b32 v6, v9 :: v_dual_mov_b32 v7, v10
	s_and_saveexec_b32 s15, vcc_lo
; %bb.507:                              ;   in Loop: Header=BB434_422 Depth=1
	v_and_b32_e32 v6, 7, v3
	s_delay_alu instid0(VALU_DEP_1) | instskip(NEXT) | instid1(VALU_DEP_1)
	v_clz_i32_u32_e32 v6, v6
	v_min_u32_e32 v66, 32, v6
	s_delay_alu instid0(VALU_DEP_1) | instskip(SKIP_1) | instid1(VALU_DEP_2)
	v_subrev_nc_u32_e32 v6, 28, v66
	v_sub_nc_u32_e32 v66, 29, v66
	v_lshlrev_b64 v[6:7], v6, v[9:10]
; %bb.508:                              ;   in Loop: Header=BB434_422 Depth=1
	s_or_b32 exec_lo, exec_lo, s15
	s_delay_alu instid0(VALU_DEP_1) | instskip(SKIP_2) | instid1(VALU_DEP_3)
	v_lshlrev_b32_e32 v6, 20, v6
	v_lshlrev_b32_e32 v7, 24, v9
	v_lshl_add_u32 v66, v66, 23, 0x3c000000
	v_and_b32_e32 v6, 0x700000, v6
	s_delay_alu instid0(VALU_DEP_3) | instskip(NEXT) | instid1(VALU_DEP_1)
	v_and_b32_e32 v7, 0x80000000, v7
	v_or3_b32 v6, v6, v7, v66
.LBB434_509:                            ;   in Loop: Header=BB434_422 Depth=1
	s_or_b32 exec_lo, exec_lo, s13
.LBB434_510:                            ;   in Loop: Header=BB434_422 Depth=1
	s_delay_alu instid0(SALU_CYCLE_1)
	s_or_b32 exec_lo, exec_lo, s12
.LBB434_511:                            ;   in Loop: Header=BB434_422 Depth=1
	s_delay_alu instid0(SALU_CYCLE_1) | instskip(NEXT) | instid1(VALU_DEP_1)
	s_or_b32 exec_lo, exec_lo, s0
	v_mul_f32_e32 v6, v8, v6
	s_mov_b32 s0, exec_lo
                                        ; implicit-def: $vgpr71
	s_delay_alu instid0(VALU_DEP_1) | instskip(NEXT) | instid1(VALU_DEP_1)
	v_and_b32_e32 v7, 0x7f800000, v6
	v_cmpx_ne_u32_e32 0x7f800000, v7
	s_xor_b32 s0, exec_lo, s0
; %bb.512:                              ;   in Loop: Header=BB434_422 Depth=1
	v_bfe_u32 v7, v6, 16, 1
	s_delay_alu instid0(VALU_DEP_1)
	v_add3_u32 v71, v6, v7, 0x7fff
                                        ; implicit-def: $vgpr6
; %bb.513:                              ;   in Loop: Header=BB434_422 Depth=1
	s_and_not1_saveexec_b32 s0, s0
; %bb.514:                              ;   in Loop: Header=BB434_422 Depth=1
	v_and_b32_e32 v7, 0xffff, v6
	v_or_b32_e32 v66, 0x10000, v6
	s_delay_alu instid0(VALU_DEP_2) | instskip(NEXT) | instid1(VALU_DEP_2)
	v_cmp_eq_u32_e32 vcc_lo, 0, v7
	v_cndmask_b32_e32 v71, v66, v6, vcc_lo
; %bb.515:                              ;   in Loop: Header=BB434_422 Depth=1
	s_or_b32 exec_lo, exec_lo, s0
	v_lshrrev_b16 v7, 8, v9
	v_mov_b32_e32 v6, 0
	s_mov_b32 s0, exec_lo
	s_delay_alu instid0(VALU_DEP_2)
	v_cmpx_ne_u16_e32 0, v7
	s_cbranch_execz .LBB434_523
; %bb.516:                              ;   in Loop: Header=BB434_422 Depth=1
	v_bfrev_b32_e32 v6, 1
	s_mov_b32 s12, exec_lo
	v_cmpx_ne_u16_e32 0x80, v7
	s_cbranch_execz .LBB434_522
; %bb.517:                              ;   in Loop: Header=BB434_422 Depth=1
	v_and_b32_e32 v7, 0xffff, v7
	v_mov_b32_e32 v6, 0x7f800001
	s_mov_b32 s13, exec_lo
	s_delay_alu instid0(VALU_DEP_2) | instskip(NEXT) | instid1(VALU_DEP_1)
	v_and_b32_e32 v80, 0x7f, v7
	v_cmpx_ne_u32_e32 0x7f, v80
	s_cbranch_execz .LBB434_521
; %bb.518:                              ;   in Loop: Header=BB434_422 Depth=1
	v_dual_mov_b32 v7, v10 :: v_dual_and_b32 v6, 7, v7
	v_lshrrev_b32_e32 v66, 3, v80
	s_mov_b32 s15, exec_lo
	v_cmpx_gt_u32_e32 8, v80
; %bb.519:                              ;   in Loop: Header=BB434_422 Depth=1
	s_delay_alu instid0(VALU_DEP_3) | instskip(NEXT) | instid1(VALU_DEP_1)
	v_clz_i32_u32_e32 v66, v6
	v_min_u32_e32 v66, 32, v66
	s_delay_alu instid0(VALU_DEP_1) | instskip(SKIP_1) | instid1(VALU_DEP_2)
	v_subrev_nc_u32_e32 v80, 28, v66
	v_sub_nc_u32_e32 v66, 29, v66
	v_lshlrev_b64 v[6:7], v80, v[6:7]
	s_delay_alu instid0(VALU_DEP_1)
	v_and_b32_e32 v6, 7, v6
; %bb.520:                              ;   in Loop: Header=BB434_422 Depth=1
	s_or_b32 exec_lo, exec_lo, s15
	v_lshlrev_b32_e32 v7, 16, v9
	s_delay_alu instid0(VALU_DEP_2) | instskip(SKIP_1) | instid1(VALU_DEP_3)
	v_lshlrev_b32_e32 v6, 20, v6
	v_lshl_add_u32 v9, v66, 23, 0x3c000000
	v_and_b32_e32 v7, 0x80000000, v7
	s_delay_alu instid0(VALU_DEP_1)
	v_or3_b32 v6, v6, v7, v9
.LBB434_521:                            ;   in Loop: Header=BB434_422 Depth=1
	s_or_b32 exec_lo, exec_lo, s13
.LBB434_522:                            ;   in Loop: Header=BB434_422 Depth=1
	s_delay_alu instid0(SALU_CYCLE_1)
	s_or_b32 exec_lo, exec_lo, s12
.LBB434_523:                            ;   in Loop: Header=BB434_422 Depth=1
	s_delay_alu instid0(SALU_CYCLE_1) | instskip(NEXT) | instid1(VALU_DEP_1)
	s_or_b32 exec_lo, exec_lo, s0
	v_mul_f32_e32 v7, v8, v6
	s_delay_alu instid0(VALU_DEP_1) | instskip(NEXT) | instid1(VALU_DEP_1)
	v_and_b32_e32 v6, 0x7f800000, v7
	v_cmp_ne_u32_e32 vcc_lo, 0x7f800000, v6
                                        ; implicit-def: $vgpr6
	s_and_saveexec_b32 s0, vcc_lo
	s_delay_alu instid0(SALU_CYCLE_1)
	s_xor_b32 s0, exec_lo, s0
; %bb.524:                              ;   in Loop: Header=BB434_422 Depth=1
	v_bfe_u32 v6, v7, 16, 1
	s_delay_alu instid0(VALU_DEP_1)
	v_add3_u32 v6, v7, v6, 0x7fff
                                        ; implicit-def: $vgpr7
; %bb.525:                              ;   in Loop: Header=BB434_422 Depth=1
	s_and_not1_saveexec_b32 s0, s0
; %bb.526:                              ;   in Loop: Header=BB434_422 Depth=1
	v_and_b32_e32 v6, 0xffff, v7
	v_or_b32_e32 v9, 0x10000, v7
	s_delay_alu instid0(VALU_DEP_2) | instskip(NEXT) | instid1(VALU_DEP_2)
	v_cmp_eq_u32_e32 vcc_lo, 0, v6
	v_cndmask_b32_e32 v6, v9, v7, vcc_lo
; %bb.527:                              ;   in Loop: Header=BB434_422 Depth=1
	s_or_b32 exec_lo, exec_lo, s0
	v_lshrrev_b32_e32 v7, 16, v3
	s_mov_b32 s0, exec_lo
	s_delay_alu instid0(VALU_DEP_1) | instskip(NEXT) | instid1(VALU_DEP_1)
	v_dual_mov_b32 v9, 0 :: v_dual_and_b32 v66, 0xff, v7
	v_cmpx_ne_u16_e32 0, v66
	s_cbranch_execz .LBB434_535
; %bb.528:                              ;   in Loop: Header=BB434_422 Depth=1
	v_bfrev_b32_e32 v9, 1
	s_mov_b32 s12, exec_lo
	v_cmpx_ne_u16_e32 0x80, v66
	s_cbranch_execz .LBB434_534
; %bb.529:                              ;   in Loop: Header=BB434_422 Depth=1
	v_bfe_u32 v80, v3, 16, 7
	v_mov_b32_e32 v9, 0x7f800001
	s_mov_b32 s13, exec_lo
	s_delay_alu instid0(VALU_DEP_2)
	v_cmpx_ne_u32_e32 0x7f, v80
	s_cbranch_execz .LBB434_533
; %bb.530:                              ;   in Loop: Header=BB434_422 Depth=1
	v_and_b32_e32 v9, 7, v7
	v_lshrrev_b32_e32 v66, 3, v80
	s_mov_b32 s15, exec_lo
	v_cmpx_gt_u32_e32 8, v80
; %bb.531:                              ;   in Loop: Header=BB434_422 Depth=1
	s_delay_alu instid0(VALU_DEP_3) | instskip(NEXT) | instid1(VALU_DEP_1)
	v_clz_i32_u32_e32 v66, v9
	v_min_u32_e32 v66, 32, v66
	s_delay_alu instid0(VALU_DEP_1) | instskip(SKIP_1) | instid1(VALU_DEP_2)
	v_subrev_nc_u32_e32 v80, 28, v66
	v_sub_nc_u32_e32 v66, 29, v66
	v_lshlrev_b64 v[80:81], v80, v[9:10]
	s_delay_alu instid0(VALU_DEP_1)
	v_and_b32_e32 v9, 7, v80
; %bb.532:                              ;   in Loop: Header=BB434_422 Depth=1
	s_or_b32 exec_lo, exec_lo, s15
	v_lshlrev_b32_e32 v7, 24, v7
	s_delay_alu instid0(VALU_DEP_2) | instskip(SKIP_1) | instid1(VALU_DEP_3)
	v_lshlrev_b32_e32 v9, 20, v9
	v_lshl_add_u32 v66, v66, 23, 0x3c000000
	v_and_b32_e32 v7, 0x80000000, v7
	s_delay_alu instid0(VALU_DEP_1)
	v_or3_b32 v9, v9, v7, v66
.LBB434_533:                            ;   in Loop: Header=BB434_422 Depth=1
	s_or_b32 exec_lo, exec_lo, s13
.LBB434_534:                            ;   in Loop: Header=BB434_422 Depth=1
	s_delay_alu instid0(SALU_CYCLE_1)
	s_or_b32 exec_lo, exec_lo, s12
.LBB434_535:                            ;   in Loop: Header=BB434_422 Depth=1
	s_delay_alu instid0(SALU_CYCLE_1) | instskip(NEXT) | instid1(VALU_DEP_1)
	s_or_b32 exec_lo, exec_lo, s0
	v_mul_f32_e32 v7, v8, v9
	s_mov_b32 s0, exec_lo
                                        ; implicit-def: $vgpr80
	s_delay_alu instid0(VALU_DEP_1) | instskip(NEXT) | instid1(VALU_DEP_1)
	v_and_b32_e32 v9, 0x7f800000, v7
	v_cmpx_ne_u32_e32 0x7f800000, v9
	s_xor_b32 s0, exec_lo, s0
; %bb.536:                              ;   in Loop: Header=BB434_422 Depth=1
	v_bfe_u32 v9, v7, 16, 1
	s_delay_alu instid0(VALU_DEP_1)
	v_add3_u32 v80, v7, v9, 0x7fff
                                        ; implicit-def: $vgpr7
; %bb.537:                              ;   in Loop: Header=BB434_422 Depth=1
	s_and_not1_saveexec_b32 s0, s0
; %bb.538:                              ;   in Loop: Header=BB434_422 Depth=1
	v_and_b32_e32 v9, 0xffff, v7
	v_or_b32_e32 v66, 0x10000, v7
	s_delay_alu instid0(VALU_DEP_2) | instskip(NEXT) | instid1(VALU_DEP_2)
	v_cmp_eq_u32_e32 vcc_lo, 0, v9
	v_cndmask_b32_e32 v80, v66, v7, vcc_lo
; %bb.539:                              ;   in Loop: Header=BB434_422 Depth=1
	s_or_b32 exec_lo, exec_lo, s0
	v_mov_b32_e32 v7, 0
	s_mov_b32 s0, exec_lo
	v_cmpx_lt_u64_e64 s[8:9], v[2:3]
	s_cbranch_execz .LBB434_547
; %bb.540:                              ;   in Loop: Header=BB434_422 Depth=1
	v_lshrrev_b32_e32 v2, 24, v3
	v_bfrev_b32_e32 v7, 1
	s_mov_b32 s12, exec_lo
	s_delay_alu instid0(VALU_DEP_2)
	v_cmpx_ne_u32_e32 0x80, v2
	s_cbranch_execz .LBB434_546
; %bb.541:                              ;   in Loop: Header=BB434_422 Depth=1
	v_bfe_u32 v66, v3, 24, 7
	v_mov_b32_e32 v7, 0x7f800001
	s_mov_b32 s13, exec_lo
	s_delay_alu instid0(VALU_DEP_2)
	v_cmpx_ne_u32_e32 0x7f, v66
	s_cbranch_execz .LBB434_545
; %bb.542:                              ;   in Loop: Header=BB434_422 Depth=1
	v_and_b32_e32 v9, 7, v2
	v_lshrrev_b32_e32 v3, 3, v66
	s_mov_b32 s15, exec_lo
	v_cmpx_gt_u32_e32 8, v66
; %bb.543:                              ;   in Loop: Header=BB434_422 Depth=1
	s_delay_alu instid0(VALU_DEP_3) | instskip(NEXT) | instid1(VALU_DEP_1)
	v_clz_i32_u32_e32 v3, v9
	v_min_u32_e32 v3, 32, v3
	s_delay_alu instid0(VALU_DEP_1) | instskip(SKIP_1) | instid1(VALU_DEP_2)
	v_subrev_nc_u32_e32 v7, 28, v3
	v_sub_nc_u32_e32 v3, 29, v3
	v_lshlrev_b64 v[81:82], v7, v[9:10]
	s_delay_alu instid0(VALU_DEP_1)
	v_and_b32_e32 v9, 7, v81
; %bb.544:                              ;   in Loop: Header=BB434_422 Depth=1
	s_or_b32 exec_lo, exec_lo, s15
	v_lshlrev_b32_e32 v2, 24, v2
	s_delay_alu instid0(VALU_DEP_2) | instskip(SKIP_1) | instid1(VALU_DEP_3)
	v_lshlrev_b32_e32 v7, 20, v9
	v_lshl_add_u32 v3, v3, 23, 0x3c000000
	v_and_b32_e32 v2, 0x80000000, v2
	s_delay_alu instid0(VALU_DEP_1)
	v_or3_b32 v7, v7, v2, v3
.LBB434_545:                            ;   in Loop: Header=BB434_422 Depth=1
	s_or_b32 exec_lo, exec_lo, s13
.LBB434_546:                            ;   in Loop: Header=BB434_422 Depth=1
	s_delay_alu instid0(SALU_CYCLE_1)
	s_or_b32 exec_lo, exec_lo, s12
.LBB434_547:                            ;   in Loop: Header=BB434_422 Depth=1
	s_delay_alu instid0(SALU_CYCLE_1) | instskip(NEXT) | instid1(VALU_DEP_1)
	s_or_b32 exec_lo, exec_lo, s0
	v_mul_f32_e32 v3, v8, v7
	s_delay_alu instid0(VALU_DEP_1) | instskip(NEXT) | instid1(VALU_DEP_1)
	v_and_b32_e32 v2, 0x7f800000, v3
	v_cmp_ne_u32_e32 vcc_lo, 0x7f800000, v2
                                        ; implicit-def: $vgpr2
	s_and_saveexec_b32 s0, vcc_lo
	s_delay_alu instid0(SALU_CYCLE_1)
	s_xor_b32 s0, exec_lo, s0
; %bb.548:                              ;   in Loop: Header=BB434_422 Depth=1
	v_bfe_u32 v2, v3, 16, 1
	s_delay_alu instid0(VALU_DEP_1)
	v_add3_u32 v2, v3, v2, 0x7fff
                                        ; implicit-def: $vgpr3
; %bb.549:                              ;   in Loop: Header=BB434_422 Depth=1
	s_and_not1_saveexec_b32 s0, s0
; %bb.550:                              ;   in Loop: Header=BB434_422 Depth=1
	v_and_b32_e32 v2, 0xffff, v3
	v_or_b32_e32 v7, 0x10000, v3
	s_delay_alu instid0(VALU_DEP_2) | instskip(NEXT) | instid1(VALU_DEP_2)
	v_cmp_eq_u32_e32 vcc_lo, 0, v2
	v_cndmask_b32_e32 v2, v7, v3, vcc_lo
; %bb.551:                              ;   in Loop: Header=BB434_422 Depth=1
	s_or_b32 exec_lo, exec_lo, s0
	v_add_nc_u32_e32 v66, v18, v23
	v_cmp_eq_u32_e32 vcc_lo, v30, v17
	v_lshrrev_b32_e32 v6, 16, v6
	v_lshrrev_b32_e32 v7, 16, v71
	;; [unrolled: 1-line block ×8, first 2 shown]
	v_add_nc_u32_e32 v81, 1, v66
	v_add_nc_u32_e32 v80, 2, v66
	;; [unrolled: 1-line block ×7, first 2 shown]
	s_and_saveexec_b32 s12, vcc_lo
	s_cbranch_execz .LBB434_553
; %bb.552:                              ;   in Loop: Header=BB434_422 Depth=1
	v_cmp_lt_i32_e64 s0, v66, v38
	s_delay_alu instid0(VALU_DEP_1) | instskip(SKIP_1) | instid1(VALU_DEP_1)
	v_cndmask_b32_e64 v83, 0, v83, s0
	v_cmp_lt_i32_e64 s0, v81, v38
	v_cndmask_b32_e64 v84, 0, v84, s0
	v_cmp_lt_i32_e64 s0, v80, v38
	s_delay_alu instid0(VALU_DEP_1) | instskip(SKIP_1) | instid1(VALU_DEP_1)
	v_cndmask_b32_e64 v85, 0, v85, s0
	v_cmp_lt_i32_e64 s0, v71, v38
	v_cndmask_b32_e64 v9, 0, v9, s0
	;; [unrolled: 5-line block ×4, first 2 shown]
.LBB434_553:                            ;   in Loop: Header=BB434_422 Depth=1
	s_or_b32 exec_lo, exec_lo, s12
	v_and_b32_e32 v82, 0xffff0000, v34
	v_lshlrev_b32_e32 v34, 16, v83
	s_delay_alu instid0(VALU_DEP_1) | instskip(NEXT) | instid1(VALU_DEP_1)
	v_mul_f32_e32 v83, v82, v34
	v_and_b32_e32 v34, 0x7f800000, v83
	s_delay_alu instid0(VALU_DEP_1) | instskip(NEXT) | instid1(VALU_DEP_1)
	v_cmp_ne_u32_e64 s0, 0x7f800000, v34
                                        ; implicit-def: $vgpr34
	s_and_saveexec_b32 s12, s0
	s_delay_alu instid0(SALU_CYCLE_1)
	s_xor_b32 s0, exec_lo, s12
; %bb.554:                              ;   in Loop: Header=BB434_422 Depth=1
	v_bfe_u32 v34, v83, 16, 1
	s_delay_alu instid0(VALU_DEP_1)
	v_add3_u32 v34, v83, v34, 0x7fff
                                        ; implicit-def: $vgpr83
; %bb.555:                              ;   in Loop: Header=BB434_422 Depth=1
	s_and_not1_saveexec_b32 s12, s0
; %bb.556:                              ;   in Loop: Header=BB434_422 Depth=1
	v_and_b32_e32 v34, 0xffff, v83
	v_or_b32_e32 v86, 0x10000, v83
	s_delay_alu instid0(VALU_DEP_2) | instskip(NEXT) | instid1(VALU_DEP_1)
	v_cmp_eq_u32_e64 s0, 0, v34
	v_cndmask_b32_e64 v34, v86, v83, s0
; %bb.557:                              ;   in Loop: Header=BB434_422 Depth=1
	s_or_b32 exec_lo, exec_lo, s12
	v_and_b32_e32 v83, 0xffff0000, v35
	v_lshlrev_b32_e32 v35, 16, v84
	s_delay_alu instid0(VALU_DEP_1) | instskip(NEXT) | instid1(VALU_DEP_1)
	v_mul_f32_e32 v84, v83, v35
	v_and_b32_e32 v35, 0x7f800000, v84
	s_delay_alu instid0(VALU_DEP_1) | instskip(NEXT) | instid1(VALU_DEP_1)
	v_cmp_ne_u32_e64 s0, 0x7f800000, v35
                                        ; implicit-def: $vgpr35
	s_and_saveexec_b32 s12, s0
	s_delay_alu instid0(SALU_CYCLE_1)
	s_xor_b32 s0, exec_lo, s12
; %bb.558:                              ;   in Loop: Header=BB434_422 Depth=1
	v_bfe_u32 v35, v84, 16, 1
	s_delay_alu instid0(VALU_DEP_1)
	v_add3_u32 v35, v84, v35, 0x7fff
                                        ; implicit-def: $vgpr84
; %bb.559:                              ;   in Loop: Header=BB434_422 Depth=1
	s_and_not1_saveexec_b32 s12, s0
; %bb.560:                              ;   in Loop: Header=BB434_422 Depth=1
	v_and_b32_e32 v35, 0xffff, v84
	v_or_b32_e32 v86, 0x10000, v84
	s_delay_alu instid0(VALU_DEP_2) | instskip(NEXT) | instid1(VALU_DEP_1)
	v_cmp_eq_u32_e64 s0, 0, v35
	v_cndmask_b32_e64 v35, v86, v84, s0
; %bb.561:                              ;   in Loop: Header=BB434_422 Depth=1
	s_or_b32 exec_lo, exec_lo, s12
	v_and_b32_e32 v84, 0xffff0000, v36
	v_lshlrev_b32_e32 v36, 16, v85
	s_delay_alu instid0(VALU_DEP_1) | instskip(NEXT) | instid1(VALU_DEP_1)
	v_mul_f32_e32 v85, v84, v36
	v_and_b32_e32 v36, 0x7f800000, v85
	s_delay_alu instid0(VALU_DEP_1) | instskip(NEXT) | instid1(VALU_DEP_1)
	v_cmp_ne_u32_e64 s0, 0x7f800000, v36
                                        ; implicit-def: $vgpr36
	s_and_saveexec_b32 s12, s0
	s_delay_alu instid0(SALU_CYCLE_1)
	s_xor_b32 s0, exec_lo, s12
; %bb.562:                              ;   in Loop: Header=BB434_422 Depth=1
	v_bfe_u32 v36, v85, 16, 1
	s_delay_alu instid0(VALU_DEP_1)
	v_add3_u32 v36, v85, v36, 0x7fff
                                        ; implicit-def: $vgpr85
; %bb.563:                              ;   in Loop: Header=BB434_422 Depth=1
	s_and_not1_saveexec_b32 s12, s0
; %bb.564:                              ;   in Loop: Header=BB434_422 Depth=1
	v_and_b32_e32 v36, 0xffff, v85
	v_or_b32_e32 v86, 0x10000, v85
	s_delay_alu instid0(VALU_DEP_2) | instskip(NEXT) | instid1(VALU_DEP_1)
	v_cmp_eq_u32_e64 s0, 0, v36
	v_cndmask_b32_e64 v36, v86, v85, s0
; %bb.565:                              ;   in Loop: Header=BB434_422 Depth=1
	s_or_b32 exec_lo, exec_lo, s12
	v_and_b32_e32 v85, 0xffff0000, v53
	v_lshlrev_b32_e32 v9, 16, v9
	s_delay_alu instid0(VALU_DEP_1) | instskip(NEXT) | instid1(VALU_DEP_1)
	v_mul_f32_e32 v9, v85, v9
	v_and_b32_e32 v53, 0x7f800000, v9
	s_delay_alu instid0(VALU_DEP_1) | instskip(NEXT) | instid1(VALU_DEP_1)
	v_cmp_ne_u32_e64 s0, 0x7f800000, v53
                                        ; implicit-def: $vgpr53
	s_and_saveexec_b32 s12, s0
	s_delay_alu instid0(SALU_CYCLE_1)
	s_xor_b32 s0, exec_lo, s12
; %bb.566:                              ;   in Loop: Header=BB434_422 Depth=1
	v_bfe_u32 v53, v9, 16, 1
	s_delay_alu instid0(VALU_DEP_1)
	v_add3_u32 v53, v9, v53, 0x7fff
                                        ; implicit-def: $vgpr9
; %bb.567:                              ;   in Loop: Header=BB434_422 Depth=1
	s_and_not1_saveexec_b32 s12, s0
; %bb.568:                              ;   in Loop: Header=BB434_422 Depth=1
	v_and_b32_e32 v53, 0xffff, v9
	v_or_b32_e32 v86, 0x10000, v9
	s_delay_alu instid0(VALU_DEP_2) | instskip(NEXT) | instid1(VALU_DEP_1)
	v_cmp_eq_u32_e64 s0, 0, v53
	v_cndmask_b32_e64 v53, v86, v9, s0
; %bb.569:                              ;   in Loop: Header=BB434_422 Depth=1
	s_or_b32 exec_lo, exec_lo, s12
	v_and_b32_e32 v86, 0xffff0000, v54
	v_lshlrev_b32_e32 v7, 16, v7
                                        ; implicit-def: $vgpr54
	s_delay_alu instid0(VALU_DEP_1) | instskip(NEXT) | instid1(VALU_DEP_1)
	v_mul_f32_e32 v7, v86, v7
	v_and_b32_e32 v9, 0x7f800000, v7
	s_delay_alu instid0(VALU_DEP_1) | instskip(NEXT) | instid1(VALU_DEP_1)
	v_cmp_ne_u32_e64 s0, 0x7f800000, v9
	s_and_saveexec_b32 s12, s0
	s_delay_alu instid0(SALU_CYCLE_1)
	s_xor_b32 s0, exec_lo, s12
; %bb.570:                              ;   in Loop: Header=BB434_422 Depth=1
	v_bfe_u32 v9, v7, 16, 1
	s_delay_alu instid0(VALU_DEP_1)
	v_add3_u32 v54, v7, v9, 0x7fff
                                        ; implicit-def: $vgpr7
; %bb.571:                              ;   in Loop: Header=BB434_422 Depth=1
	s_and_not1_saveexec_b32 s12, s0
; %bb.572:                              ;   in Loop: Header=BB434_422 Depth=1
	v_and_b32_e32 v9, 0xffff, v7
	v_or_b32_e32 v54, 0x10000, v7
	s_delay_alu instid0(VALU_DEP_2) | instskip(NEXT) | instid1(VALU_DEP_1)
	v_cmp_eq_u32_e64 s0, 0, v9
	v_cndmask_b32_e64 v54, v54, v7, s0
; %bb.573:                              ;   in Loop: Header=BB434_422 Depth=1
	s_or_b32 exec_lo, exec_lo, s12
	v_and_b32_e32 v87, 0xffff0000, v55
	v_lshlrev_b32_e32 v6, 16, v6
                                        ; implicit-def: $vgpr55
	s_delay_alu instid0(VALU_DEP_1) | instskip(NEXT) | instid1(VALU_DEP_1)
	v_mul_f32_e32 v6, v87, v6
	v_and_b32_e32 v7, 0x7f800000, v6
	s_delay_alu instid0(VALU_DEP_1) | instskip(NEXT) | instid1(VALU_DEP_1)
	v_cmp_ne_u32_e64 s0, 0x7f800000, v7
	s_and_saveexec_b32 s12, s0
	s_delay_alu instid0(SALU_CYCLE_1)
	s_xor_b32 s0, exec_lo, s12
; %bb.574:                              ;   in Loop: Header=BB434_422 Depth=1
	v_bfe_u32 v7, v6, 16, 1
	s_delay_alu instid0(VALU_DEP_1)
	v_add3_u32 v55, v6, v7, 0x7fff
                                        ; implicit-def: $vgpr6
; %bb.575:                              ;   in Loop: Header=BB434_422 Depth=1
	s_and_not1_saveexec_b32 s12, s0
; %bb.576:                              ;   in Loop: Header=BB434_422 Depth=1
	v_and_b32_e32 v7, 0xffff, v6
	v_or_b32_e32 v9, 0x10000, v6
	s_delay_alu instid0(VALU_DEP_2) | instskip(NEXT) | instid1(VALU_DEP_1)
	v_cmp_eq_u32_e64 s0, 0, v7
	v_cndmask_b32_e64 v55, v9, v6, s0
; %bb.577:                              ;   in Loop: Header=BB434_422 Depth=1
	s_or_b32 exec_lo, exec_lo, s12
	v_and_b32_e32 v96, 0xffff0000, v64
	v_lshlrev_b32_e32 v3, 16, v3
                                        ; implicit-def: $vgpr64
	s_delay_alu instid0(VALU_DEP_1) | instskip(NEXT) | instid1(VALU_DEP_1)
	v_mul_f32_e32 v3, v96, v3
	v_and_b32_e32 v6, 0x7f800000, v3
	s_delay_alu instid0(VALU_DEP_1) | instskip(NEXT) | instid1(VALU_DEP_1)
	v_cmp_ne_u32_e64 s0, 0x7f800000, v6
	s_and_saveexec_b32 s12, s0
	s_delay_alu instid0(SALU_CYCLE_1)
	s_xor_b32 s0, exec_lo, s12
; %bb.578:                              ;   in Loop: Header=BB434_422 Depth=1
	v_bfe_u32 v6, v3, 16, 1
	s_delay_alu instid0(VALU_DEP_1)
	v_add3_u32 v64, v3, v6, 0x7fff
                                        ; implicit-def: $vgpr3
; %bb.579:                              ;   in Loop: Header=BB434_422 Depth=1
	s_and_not1_saveexec_b32 s12, s0
; %bb.580:                              ;   in Loop: Header=BB434_422 Depth=1
	v_and_b32_e32 v6, 0xffff, v3
	v_or_b32_e32 v7, 0x10000, v3
	s_delay_alu instid0(VALU_DEP_2) | instskip(NEXT) | instid1(VALU_DEP_1)
	v_cmp_eq_u32_e64 s0, 0, v6
	v_cndmask_b32_e64 v64, v7, v3, s0
; %bb.581:                              ;   in Loop: Header=BB434_422 Depth=1
	s_or_b32 exec_lo, exec_lo, s12
	v_and_b32_e32 v97, 0xffff0000, v65
	v_lshlrev_b32_e32 v2, 16, v2
                                        ; implicit-def: $vgpr65
	s_delay_alu instid0(VALU_DEP_1) | instskip(NEXT) | instid1(VALU_DEP_1)
	v_mul_f32_e32 v2, v97, v2
	v_and_b32_e32 v3, 0x7f800000, v2
	s_delay_alu instid0(VALU_DEP_1) | instskip(NEXT) | instid1(VALU_DEP_1)
	v_cmp_ne_u32_e64 s0, 0x7f800000, v3
	s_and_saveexec_b32 s12, s0
	s_delay_alu instid0(SALU_CYCLE_1)
	s_xor_b32 s0, exec_lo, s12
; %bb.582:                              ;   in Loop: Header=BB434_422 Depth=1
	v_bfe_u32 v3, v2, 16, 1
	s_delay_alu instid0(VALU_DEP_1)
	v_add3_u32 v65, v2, v3, 0x7fff
                                        ; implicit-def: $vgpr2
; %bb.583:                              ;   in Loop: Header=BB434_422 Depth=1
	s_and_not1_saveexec_b32 s12, s0
; %bb.584:                              ;   in Loop: Header=BB434_422 Depth=1
	v_and_b32_e32 v3, 0xffff, v2
	v_or_b32_e32 v6, 0x10000, v2
	s_delay_alu instid0(VALU_DEP_2) | instskip(NEXT) | instid1(VALU_DEP_1)
	v_cmp_eq_u32_e64 s0, 0, v3
	v_cndmask_b32_e64 v65, v6, v2, s0
; %bb.585:                              ;   in Loop: Header=BB434_422 Depth=1
	s_or_b32 exec_lo, exec_lo, s12
	flat_load_b64 v[2:3], v[0:1] offset:256
	s_mov_b32 s12, exec_lo
	s_waitcnt vmcnt(0) lgkmcnt(0)
	v_dual_mov_b32 v6, 0 :: v_dual_and_b32 v7, 0xff, v2
	s_delay_alu instid0(VALU_DEP_1)
	v_cmpx_ne_u16_e32 0, v7
	s_cbranch_execz .LBB434_593
; %bb.586:                              ;   in Loop: Header=BB434_422 Depth=1
	v_bfrev_b32_e32 v6, 1
	s_mov_b32 s13, exec_lo
	v_cmpx_ne_u16_e32 0x80, v7
	s_cbranch_execz .LBB434_592
; %bb.587:                              ;   in Loop: Header=BB434_422 Depth=1
	v_and_b32_e32 v7, 0x7f, v2
	v_mov_b32_e32 v6, 0x7f800001
	s_mov_b32 s15, exec_lo
	s_delay_alu instid0(VALU_DEP_2)
	v_cmpx_ne_u32_e32 0x7f, v7
	s_cbranch_execz .LBB434_591
; %bb.588:                              ;   in Loop: Header=BB434_422 Depth=1
	v_lshrrev_b32_e32 v9, 3, v7
	v_cmp_gt_u32_e64 s0, 8, v7
	v_dual_mov_b32 v7, v3 :: v_dual_mov_b32 v6, v2
	s_delay_alu instid0(VALU_DEP_2)
	s_and_saveexec_b32 s16, s0
; %bb.589:                              ;   in Loop: Header=BB434_422 Depth=1
	v_and_b32_e32 v6, 7, v2
	s_delay_alu instid0(VALU_DEP_1) | instskip(NEXT) | instid1(VALU_DEP_1)
	v_clz_i32_u32_e32 v6, v6
	v_min_u32_e32 v9, 32, v6
	s_delay_alu instid0(VALU_DEP_1) | instskip(SKIP_1) | instid1(VALU_DEP_2)
	v_subrev_nc_u32_e32 v6, 28, v9
	v_sub_nc_u32_e32 v9, 29, v9
	v_lshlrev_b64 v[6:7], v6, v[2:3]
; %bb.590:                              ;   in Loop: Header=BB434_422 Depth=1
	s_or_b32 exec_lo, exec_lo, s16
	s_delay_alu instid0(VALU_DEP_1) | instskip(SKIP_2) | instid1(VALU_DEP_3)
	v_lshlrev_b32_e32 v6, 20, v6
	v_lshlrev_b32_e32 v7, 24, v2
	v_lshl_add_u32 v9, v9, 23, 0x3c000000
	v_and_b32_e32 v6, 0x700000, v6
	s_delay_alu instid0(VALU_DEP_3) | instskip(NEXT) | instid1(VALU_DEP_1)
	v_and_b32_e32 v7, 0x80000000, v7
	v_or3_b32 v6, v6, v7, v9
.LBB434_591:                            ;   in Loop: Header=BB434_422 Depth=1
	s_or_b32 exec_lo, exec_lo, s15
.LBB434_592:                            ;   in Loop: Header=BB434_422 Depth=1
	s_delay_alu instid0(SALU_CYCLE_1)
	s_or_b32 exec_lo, exec_lo, s13
.LBB434_593:                            ;   in Loop: Header=BB434_422 Depth=1
	s_delay_alu instid0(SALU_CYCLE_1) | instskip(NEXT) | instid1(VALU_DEP_1)
	s_or_b32 exec_lo, exec_lo, s12
	v_mul_f32_e32 v6, v8, v6
                                        ; implicit-def: $vgpr98
	s_delay_alu instid0(VALU_DEP_1) | instskip(NEXT) | instid1(VALU_DEP_1)
	v_and_b32_e32 v7, 0x7f800000, v6
	v_cmp_ne_u32_e64 s0, 0x7f800000, v7
	s_delay_alu instid0(VALU_DEP_1) | instskip(NEXT) | instid1(SALU_CYCLE_1)
	s_and_saveexec_b32 s12, s0
	s_xor_b32 s0, exec_lo, s12
; %bb.594:                              ;   in Loop: Header=BB434_422 Depth=1
	v_bfe_u32 v7, v6, 16, 1
	s_delay_alu instid0(VALU_DEP_1)
	v_add3_u32 v98, v6, v7, 0x7fff
                                        ; implicit-def: $vgpr6
; %bb.595:                              ;   in Loop: Header=BB434_422 Depth=1
	s_and_not1_saveexec_b32 s12, s0
; %bb.596:                              ;   in Loop: Header=BB434_422 Depth=1
	v_and_b32_e32 v7, 0xffff, v6
	v_or_b32_e32 v9, 0x10000, v6
	s_delay_alu instid0(VALU_DEP_2) | instskip(NEXT) | instid1(VALU_DEP_1)
	v_cmp_eq_u32_e64 s0, 0, v7
	v_cndmask_b32_e64 v98, v9, v6, s0
; %bb.597:                              ;   in Loop: Header=BB434_422 Depth=1
	s_or_b32 exec_lo, exec_lo, s12
	v_lshrrev_b16 v7, 8, v2
	v_mov_b32_e32 v6, 0
	s_mov_b32 s12, exec_lo
	s_delay_alu instid0(VALU_DEP_2)
	v_cmpx_ne_u16_e32 0, v7
	s_cbranch_execz .LBB434_605
; %bb.598:                              ;   in Loop: Header=BB434_422 Depth=1
	v_bfrev_b32_e32 v6, 1
	s_mov_b32 s13, exec_lo
	v_cmpx_ne_u16_e32 0x80, v7
	s_cbranch_execz .LBB434_604
; %bb.599:                              ;   in Loop: Header=BB434_422 Depth=1
	v_and_b32_e32 v9, 0xffff, v7
	v_mov_b32_e32 v6, 0x7f800001
	s_mov_b32 s15, exec_lo
	s_delay_alu instid0(VALU_DEP_2) | instskip(NEXT) | instid1(VALU_DEP_1)
	v_and_b32_e32 v7, 0x7f, v9
	v_cmpx_ne_u32_e32 0x7f, v7
	s_cbranch_execz .LBB434_603
; %bb.600:                              ;   in Loop: Header=BB434_422 Depth=1
	v_and_b32_e32 v9, 7, v9
	v_lshrrev_b32_e32 v6, 3, v7
	s_mov_b32 s16, exec_lo
	v_cmpx_gt_u32_e32 8, v7
; %bb.601:                              ;   in Loop: Header=BB434_422 Depth=1
	s_delay_alu instid0(VALU_DEP_3) | instskip(NEXT) | instid1(VALU_DEP_1)
	v_clz_i32_u32_e32 v6, v9
	v_min_u32_e32 v6, 32, v6
	s_delay_alu instid0(VALU_DEP_1) | instskip(SKIP_1) | instid1(VALU_DEP_2)
	v_subrev_nc_u32_e32 v7, 28, v6
	v_sub_nc_u32_e32 v6, 29, v6
	v_lshlrev_b64 v[99:100], v7, v[9:10]
	s_delay_alu instid0(VALU_DEP_1)
	v_and_b32_e32 v9, 7, v99
; %bb.602:                              ;   in Loop: Header=BB434_422 Depth=1
	s_or_b32 exec_lo, exec_lo, s16
	v_lshlrev_b32_e32 v7, 16, v2
	s_delay_alu instid0(VALU_DEP_2) | instskip(SKIP_1) | instid1(VALU_DEP_3)
	v_lshlrev_b32_e32 v9, 20, v9
	v_lshl_add_u32 v6, v6, 23, 0x3c000000
	v_and_b32_e32 v7, 0x80000000, v7
	s_delay_alu instid0(VALU_DEP_1)
	v_or3_b32 v6, v9, v7, v6
.LBB434_603:                            ;   in Loop: Header=BB434_422 Depth=1
	s_or_b32 exec_lo, exec_lo, s15
.LBB434_604:                            ;   in Loop: Header=BB434_422 Depth=1
	s_delay_alu instid0(SALU_CYCLE_1)
	s_or_b32 exec_lo, exec_lo, s13
.LBB434_605:                            ;   in Loop: Header=BB434_422 Depth=1
	s_delay_alu instid0(SALU_CYCLE_1) | instskip(NEXT) | instid1(VALU_DEP_1)
	s_or_b32 exec_lo, exec_lo, s12
	v_mul_f32_e32 v6, v8, v6
                                        ; implicit-def: $vgpr99
	s_delay_alu instid0(VALU_DEP_1) | instskip(NEXT) | instid1(VALU_DEP_1)
	v_and_b32_e32 v7, 0x7f800000, v6
	v_cmp_ne_u32_e64 s0, 0x7f800000, v7
	s_delay_alu instid0(VALU_DEP_1) | instskip(NEXT) | instid1(SALU_CYCLE_1)
	s_and_saveexec_b32 s12, s0
	s_xor_b32 s0, exec_lo, s12
; %bb.606:                              ;   in Loop: Header=BB434_422 Depth=1
	v_bfe_u32 v7, v6, 16, 1
	s_delay_alu instid0(VALU_DEP_1)
	v_add3_u32 v99, v6, v7, 0x7fff
                                        ; implicit-def: $vgpr6
; %bb.607:                              ;   in Loop: Header=BB434_422 Depth=1
	s_and_not1_saveexec_b32 s12, s0
; %bb.608:                              ;   in Loop: Header=BB434_422 Depth=1
	v_and_b32_e32 v7, 0xffff, v6
	v_or_b32_e32 v9, 0x10000, v6
	s_delay_alu instid0(VALU_DEP_2) | instskip(NEXT) | instid1(VALU_DEP_1)
	v_cmp_eq_u32_e64 s0, 0, v7
	v_cndmask_b32_e64 v99, v9, v6, s0
; %bb.609:                              ;   in Loop: Header=BB434_422 Depth=1
	s_or_b32 exec_lo, exec_lo, s12
	v_lshrrev_b32_e32 v6, 16, v2
	v_mov_b32_e32 v7, 0
	s_mov_b32 s12, exec_lo
	s_delay_alu instid0(VALU_DEP_2) | instskip(NEXT) | instid1(VALU_DEP_1)
	v_and_b32_e32 v9, 0xff, v6
	v_cmpx_ne_u16_e32 0, v9
	s_cbranch_execz .LBB434_617
; %bb.610:                              ;   in Loop: Header=BB434_422 Depth=1
	v_bfrev_b32_e32 v7, 1
	s_mov_b32 s13, exec_lo
	v_cmpx_ne_u16_e32 0x80, v9
	s_cbranch_execz .LBB434_616
; %bb.611:                              ;   in Loop: Header=BB434_422 Depth=1
	v_bfe_u32 v100, v2, 16, 7
	v_mov_b32_e32 v7, 0x7f800001
	s_mov_b32 s15, exec_lo
	s_delay_alu instid0(VALU_DEP_2)
	v_cmpx_ne_u32_e32 0x7f, v100
	s_cbranch_execz .LBB434_615
; %bb.612:                              ;   in Loop: Header=BB434_422 Depth=1
	v_and_b32_e32 v9, 7, v6
	v_lshrrev_b32_e32 v7, 3, v100
	s_mov_b32 s16, exec_lo
	v_cmpx_gt_u32_e32 8, v100
; %bb.613:                              ;   in Loop: Header=BB434_422 Depth=1
	s_delay_alu instid0(VALU_DEP_3) | instskip(NEXT) | instid1(VALU_DEP_1)
	v_clz_i32_u32_e32 v7, v9
	v_min_u32_e32 v7, 32, v7
	s_delay_alu instid0(VALU_DEP_1) | instskip(SKIP_1) | instid1(VALU_DEP_2)
	v_subrev_nc_u32_e32 v100, 28, v7
	v_sub_nc_u32_e32 v7, 29, v7
	v_lshlrev_b64 v[100:101], v100, v[9:10]
	s_delay_alu instid0(VALU_DEP_1)
	v_and_b32_e32 v9, 7, v100
; %bb.614:                              ;   in Loop: Header=BB434_422 Depth=1
	s_or_b32 exec_lo, exec_lo, s16
	v_lshlrev_b32_e32 v6, 24, v6
	s_delay_alu instid0(VALU_DEP_2) | instskip(SKIP_1) | instid1(VALU_DEP_3)
	v_lshlrev_b32_e32 v9, 20, v9
	v_lshl_add_u32 v7, v7, 23, 0x3c000000
	v_and_b32_e32 v6, 0x80000000, v6
	s_delay_alu instid0(VALU_DEP_1)
	v_or3_b32 v7, v9, v6, v7
.LBB434_615:                            ;   in Loop: Header=BB434_422 Depth=1
	s_or_b32 exec_lo, exec_lo, s15
.LBB434_616:                            ;   in Loop: Header=BB434_422 Depth=1
	s_delay_alu instid0(SALU_CYCLE_1)
	s_or_b32 exec_lo, exec_lo, s13
.LBB434_617:                            ;   in Loop: Header=BB434_422 Depth=1
	s_delay_alu instid0(SALU_CYCLE_1) | instskip(NEXT) | instid1(VALU_DEP_1)
	s_or_b32 exec_lo, exec_lo, s12
	v_mul_f32_e32 v6, v8, v7
                                        ; implicit-def: $vgpr100
	s_delay_alu instid0(VALU_DEP_1) | instskip(NEXT) | instid1(VALU_DEP_1)
	v_and_b32_e32 v7, 0x7f800000, v6
	v_cmp_ne_u32_e64 s0, 0x7f800000, v7
	s_delay_alu instid0(VALU_DEP_1) | instskip(NEXT) | instid1(SALU_CYCLE_1)
	s_and_saveexec_b32 s12, s0
	s_xor_b32 s0, exec_lo, s12
; %bb.618:                              ;   in Loop: Header=BB434_422 Depth=1
	v_bfe_u32 v7, v6, 16, 1
	s_delay_alu instid0(VALU_DEP_1)
	v_add3_u32 v100, v6, v7, 0x7fff
                                        ; implicit-def: $vgpr6
; %bb.619:                              ;   in Loop: Header=BB434_422 Depth=1
	s_and_not1_saveexec_b32 s12, s0
; %bb.620:                              ;   in Loop: Header=BB434_422 Depth=1
	v_and_b32_e32 v7, 0xffff, v6
	v_or_b32_e32 v9, 0x10000, v6
	s_delay_alu instid0(VALU_DEP_2) | instskip(NEXT) | instid1(VALU_DEP_1)
	v_cmp_eq_u32_e64 s0, 0, v7
	v_cndmask_b32_e64 v100, v9, v6, s0
; %bb.621:                              ;   in Loop: Header=BB434_422 Depth=1
	s_or_b32 exec_lo, exec_lo, s12
	v_mov_b32_e32 v7, 0
	s_mov_b32 s12, exec_lo
	v_cmpx_lt_u32_e32 0xffffff, v2
	s_cbranch_execz .LBB434_629
; %bb.622:                              ;   in Loop: Header=BB434_422 Depth=1
	v_lshrrev_b32_e32 v6, 24, v2
	v_bfrev_b32_e32 v7, 1
	s_mov_b32 s13, exec_lo
	s_delay_alu instid0(VALU_DEP_2)
	v_cmpx_ne_u32_e32 0x80, v6
	s_cbranch_execz .LBB434_628
; %bb.623:                              ;   in Loop: Header=BB434_422 Depth=1
	v_bfe_u32 v101, v2, 24, 7
	v_mov_b32_e32 v7, 0x7f800001
	s_mov_b32 s15, exec_lo
	s_delay_alu instid0(VALU_DEP_2)
	v_cmpx_ne_u32_e32 0x7f, v101
	s_cbranch_execz .LBB434_627
; %bb.624:                              ;   in Loop: Header=BB434_422 Depth=1
	v_and_b32_e32 v9, 7, v6
	v_lshrrev_b32_e32 v7, 3, v101
	s_mov_b32 s16, exec_lo
	v_cmpx_gt_u32_e32 8, v101
; %bb.625:                              ;   in Loop: Header=BB434_422 Depth=1
	s_delay_alu instid0(VALU_DEP_3) | instskip(NEXT) | instid1(VALU_DEP_1)
	v_clz_i32_u32_e32 v7, v9
	v_min_u32_e32 v7, 32, v7
	s_delay_alu instid0(VALU_DEP_1) | instskip(SKIP_1) | instid1(VALU_DEP_2)
	v_subrev_nc_u32_e32 v101, 28, v7
	v_sub_nc_u32_e32 v7, 29, v7
	v_lshlrev_b64 v[101:102], v101, v[9:10]
	s_delay_alu instid0(VALU_DEP_1)
	v_and_b32_e32 v9, 7, v101
; %bb.626:                              ;   in Loop: Header=BB434_422 Depth=1
	s_or_b32 exec_lo, exec_lo, s16
	v_lshlrev_b32_e32 v6, 24, v6
	s_delay_alu instid0(VALU_DEP_2) | instskip(SKIP_1) | instid1(VALU_DEP_3)
	v_lshlrev_b32_e32 v9, 20, v9
	v_lshl_add_u32 v7, v7, 23, 0x3c000000
	v_and_b32_e32 v6, 0x80000000, v6
	s_delay_alu instid0(VALU_DEP_1)
	v_or3_b32 v7, v9, v6, v7
.LBB434_627:                            ;   in Loop: Header=BB434_422 Depth=1
	s_or_b32 exec_lo, exec_lo, s15
.LBB434_628:                            ;   in Loop: Header=BB434_422 Depth=1
	s_delay_alu instid0(SALU_CYCLE_1)
	s_or_b32 exec_lo, exec_lo, s13
.LBB434_629:                            ;   in Loop: Header=BB434_422 Depth=1
	s_delay_alu instid0(SALU_CYCLE_1) | instskip(NEXT) | instid1(VALU_DEP_1)
	s_or_b32 exec_lo, exec_lo, s12
	v_mul_f32_e32 v6, v8, v7
                                        ; implicit-def: $vgpr101
	s_delay_alu instid0(VALU_DEP_1) | instskip(NEXT) | instid1(VALU_DEP_1)
	v_and_b32_e32 v7, 0x7f800000, v6
	v_cmp_ne_u32_e64 s0, 0x7f800000, v7
	s_delay_alu instid0(VALU_DEP_1) | instskip(NEXT) | instid1(SALU_CYCLE_1)
	s_and_saveexec_b32 s12, s0
	s_xor_b32 s0, exec_lo, s12
; %bb.630:                              ;   in Loop: Header=BB434_422 Depth=1
	v_bfe_u32 v7, v6, 16, 1
	s_delay_alu instid0(VALU_DEP_1)
	v_add3_u32 v101, v6, v7, 0x7fff
                                        ; implicit-def: $vgpr6
; %bb.631:                              ;   in Loop: Header=BB434_422 Depth=1
	s_and_not1_saveexec_b32 s12, s0
; %bb.632:                              ;   in Loop: Header=BB434_422 Depth=1
	v_and_b32_e32 v7, 0xffff, v6
	v_or_b32_e32 v9, 0x10000, v6
	s_delay_alu instid0(VALU_DEP_2) | instskip(NEXT) | instid1(VALU_DEP_1)
	v_cmp_eq_u32_e64 s0, 0, v7
	v_cndmask_b32_e64 v101, v9, v6, s0
; %bb.633:                              ;   in Loop: Header=BB434_422 Depth=1
	s_or_b32 exec_lo, exec_lo, s12
	v_dual_mov_b32 v6, 0 :: v_dual_and_b32 v7, 0xff, v3
	v_mov_b32_e32 v9, v3
	s_mov_b32 s12, exec_lo
	s_delay_alu instid0(VALU_DEP_2)
	v_cmpx_ne_u16_e32 0, v7
	s_cbranch_execz .LBB434_641
; %bb.634:                              ;   in Loop: Header=BB434_422 Depth=1
	v_bfrev_b32_e32 v6, 1
	s_mov_b32 s13, exec_lo
	v_cmpx_ne_u16_e32 0x80, v7
	s_cbranch_execz .LBB434_640
; %bb.635:                              ;   in Loop: Header=BB434_422 Depth=1
	v_and_b32_e32 v7, 0x7f, v3
	v_mov_b32_e32 v6, 0x7f800001
	s_mov_b32 s15, exec_lo
	s_delay_alu instid0(VALU_DEP_2)
	v_cmpx_ne_u32_e32 0x7f, v7
	s_cbranch_execz .LBB434_639
; %bb.636:                              ;   in Loop: Header=BB434_422 Depth=1
	v_lshrrev_b32_e32 v102, 3, v7
	v_cmp_gt_u32_e64 s0, 8, v7
	v_dual_mov_b32 v6, v9 :: v_dual_mov_b32 v7, v10
	s_delay_alu instid0(VALU_DEP_2)
	s_and_saveexec_b32 s16, s0
; %bb.637:                              ;   in Loop: Header=BB434_422 Depth=1
	v_and_b32_e32 v6, 7, v3
	s_delay_alu instid0(VALU_DEP_1) | instskip(NEXT) | instid1(VALU_DEP_1)
	v_clz_i32_u32_e32 v6, v6
	v_min_u32_e32 v102, 32, v6
	s_delay_alu instid0(VALU_DEP_1) | instskip(SKIP_1) | instid1(VALU_DEP_2)
	v_subrev_nc_u32_e32 v6, 28, v102
	v_sub_nc_u32_e32 v102, 29, v102
	v_lshlrev_b64 v[6:7], v6, v[9:10]
; %bb.638:                              ;   in Loop: Header=BB434_422 Depth=1
	s_or_b32 exec_lo, exec_lo, s16
	s_delay_alu instid0(VALU_DEP_1) | instskip(SKIP_2) | instid1(VALU_DEP_3)
	v_lshlrev_b32_e32 v6, 20, v6
	v_lshlrev_b32_e32 v7, 24, v9
	v_lshl_add_u32 v102, v102, 23, 0x3c000000
	v_and_b32_e32 v6, 0x700000, v6
	s_delay_alu instid0(VALU_DEP_3) | instskip(NEXT) | instid1(VALU_DEP_1)
	v_and_b32_e32 v7, 0x80000000, v7
	v_or3_b32 v6, v6, v7, v102
.LBB434_639:                            ;   in Loop: Header=BB434_422 Depth=1
	s_or_b32 exec_lo, exec_lo, s15
.LBB434_640:                            ;   in Loop: Header=BB434_422 Depth=1
	s_delay_alu instid0(SALU_CYCLE_1)
	s_or_b32 exec_lo, exec_lo, s13
.LBB434_641:                            ;   in Loop: Header=BB434_422 Depth=1
	s_delay_alu instid0(SALU_CYCLE_1) | instskip(NEXT) | instid1(VALU_DEP_1)
	s_or_b32 exec_lo, exec_lo, s12
	v_mul_f32_e32 v6, v8, v6
                                        ; implicit-def: $vgpr102
	s_delay_alu instid0(VALU_DEP_1) | instskip(NEXT) | instid1(VALU_DEP_1)
	v_and_b32_e32 v7, 0x7f800000, v6
	v_cmp_ne_u32_e64 s0, 0x7f800000, v7
	s_delay_alu instid0(VALU_DEP_1) | instskip(NEXT) | instid1(SALU_CYCLE_1)
	s_and_saveexec_b32 s12, s0
	s_xor_b32 s0, exec_lo, s12
; %bb.642:                              ;   in Loop: Header=BB434_422 Depth=1
	v_bfe_u32 v7, v6, 16, 1
	s_delay_alu instid0(VALU_DEP_1)
	v_add3_u32 v102, v6, v7, 0x7fff
                                        ; implicit-def: $vgpr6
; %bb.643:                              ;   in Loop: Header=BB434_422 Depth=1
	s_and_not1_saveexec_b32 s12, s0
; %bb.644:                              ;   in Loop: Header=BB434_422 Depth=1
	v_and_b32_e32 v7, 0xffff, v6
	v_or_b32_e32 v102, 0x10000, v6
	s_delay_alu instid0(VALU_DEP_2) | instskip(NEXT) | instid1(VALU_DEP_1)
	v_cmp_eq_u32_e64 s0, 0, v7
	v_cndmask_b32_e64 v102, v102, v6, s0
; %bb.645:                              ;   in Loop: Header=BB434_422 Depth=1
	s_or_b32 exec_lo, exec_lo, s12
	v_lshrrev_b16 v7, 8, v9
	v_mov_b32_e32 v6, 0
	s_mov_b32 s12, exec_lo
	s_delay_alu instid0(VALU_DEP_2)
	v_cmpx_ne_u16_e32 0, v7
	s_cbranch_execz .LBB434_653
; %bb.646:                              ;   in Loop: Header=BB434_422 Depth=1
	v_bfrev_b32_e32 v6, 1
	s_mov_b32 s13, exec_lo
	v_cmpx_ne_u16_e32 0x80, v7
	s_cbranch_execz .LBB434_652
; %bb.647:                              ;   in Loop: Header=BB434_422 Depth=1
	v_and_b32_e32 v7, 0xffff, v7
	v_mov_b32_e32 v6, 0x7f800001
	s_mov_b32 s15, exec_lo
	s_delay_alu instid0(VALU_DEP_2) | instskip(NEXT) | instid1(VALU_DEP_1)
	v_and_b32_e32 v112, 0x7f, v7
	v_cmpx_ne_u32_e32 0x7f, v112
	s_cbranch_execz .LBB434_651
; %bb.648:                              ;   in Loop: Header=BB434_422 Depth=1
	v_dual_mov_b32 v7, v10 :: v_dual_and_b32 v6, 7, v7
	v_lshrrev_b32_e32 v103, 3, v112
	s_mov_b32 s16, exec_lo
	v_cmpx_gt_u32_e32 8, v112
; %bb.649:                              ;   in Loop: Header=BB434_422 Depth=1
	s_delay_alu instid0(VALU_DEP_3) | instskip(NEXT) | instid1(VALU_DEP_1)
	v_clz_i32_u32_e32 v103, v6
	v_min_u32_e32 v103, 32, v103
	s_delay_alu instid0(VALU_DEP_1) | instskip(SKIP_1) | instid1(VALU_DEP_2)
	v_subrev_nc_u32_e32 v112, 28, v103
	v_sub_nc_u32_e32 v103, 29, v103
	v_lshlrev_b64 v[6:7], v112, v[6:7]
	s_delay_alu instid0(VALU_DEP_1)
	v_and_b32_e32 v6, 7, v6
; %bb.650:                              ;   in Loop: Header=BB434_422 Depth=1
	s_or_b32 exec_lo, exec_lo, s16
	v_lshlrev_b32_e32 v7, 16, v9
	s_delay_alu instid0(VALU_DEP_2) | instskip(SKIP_1) | instid1(VALU_DEP_3)
	v_lshlrev_b32_e32 v6, 20, v6
	v_lshl_add_u32 v9, v103, 23, 0x3c000000
	v_and_b32_e32 v7, 0x80000000, v7
	s_delay_alu instid0(VALU_DEP_1)
	v_or3_b32 v6, v6, v7, v9
.LBB434_651:                            ;   in Loop: Header=BB434_422 Depth=1
	s_or_b32 exec_lo, exec_lo, s15
.LBB434_652:                            ;   in Loop: Header=BB434_422 Depth=1
	s_delay_alu instid0(SALU_CYCLE_1)
	s_or_b32 exec_lo, exec_lo, s13
.LBB434_653:                            ;   in Loop: Header=BB434_422 Depth=1
	s_delay_alu instid0(SALU_CYCLE_1) | instskip(NEXT) | instid1(VALU_DEP_1)
	s_or_b32 exec_lo, exec_lo, s12
	v_mul_f32_e32 v7, v8, v6
	s_delay_alu instid0(VALU_DEP_1) | instskip(NEXT) | instid1(VALU_DEP_1)
	v_and_b32_e32 v6, 0x7f800000, v7
	v_cmp_ne_u32_e64 s0, 0x7f800000, v6
                                        ; implicit-def: $vgpr6
	s_delay_alu instid0(VALU_DEP_1) | instskip(NEXT) | instid1(SALU_CYCLE_1)
	s_and_saveexec_b32 s12, s0
	s_xor_b32 s0, exec_lo, s12
; %bb.654:                              ;   in Loop: Header=BB434_422 Depth=1
	v_bfe_u32 v6, v7, 16, 1
	s_delay_alu instid0(VALU_DEP_1)
	v_add3_u32 v6, v7, v6, 0x7fff
                                        ; implicit-def: $vgpr7
; %bb.655:                              ;   in Loop: Header=BB434_422 Depth=1
	s_and_not1_saveexec_b32 s12, s0
; %bb.656:                              ;   in Loop: Header=BB434_422 Depth=1
	v_and_b32_e32 v6, 0xffff, v7
	v_or_b32_e32 v9, 0x10000, v7
	s_delay_alu instid0(VALU_DEP_2) | instskip(NEXT) | instid1(VALU_DEP_1)
	v_cmp_eq_u32_e64 s0, 0, v6
	v_cndmask_b32_e64 v6, v9, v7, s0
; %bb.657:                              ;   in Loop: Header=BB434_422 Depth=1
	s_or_b32 exec_lo, exec_lo, s12
	v_lshrrev_b32_e32 v7, 16, v3
	v_mov_b32_e32 v9, 0
	s_mov_b32 s12, exec_lo
	s_delay_alu instid0(VALU_DEP_2) | instskip(NEXT) | instid1(VALU_DEP_1)
	v_and_b32_e32 v103, 0xff, v7
	v_cmpx_ne_u16_e32 0, v103
	s_cbranch_execz .LBB434_665
; %bb.658:                              ;   in Loop: Header=BB434_422 Depth=1
	v_bfrev_b32_e32 v9, 1
	s_mov_b32 s13, exec_lo
	v_cmpx_ne_u16_e32 0x80, v103
	s_cbranch_execz .LBB434_664
; %bb.659:                              ;   in Loop: Header=BB434_422 Depth=1
	v_bfe_u32 v112, v3, 16, 7
	v_mov_b32_e32 v9, 0x7f800001
	s_mov_b32 s15, exec_lo
	s_delay_alu instid0(VALU_DEP_2)
	v_cmpx_ne_u32_e32 0x7f, v112
	s_cbranch_execz .LBB434_663
; %bb.660:                              ;   in Loop: Header=BB434_422 Depth=1
	v_and_b32_e32 v9, 7, v7
	v_lshrrev_b32_e32 v103, 3, v112
	s_mov_b32 s16, exec_lo
	v_cmpx_gt_u32_e32 8, v112
; %bb.661:                              ;   in Loop: Header=BB434_422 Depth=1
	s_delay_alu instid0(VALU_DEP_3) | instskip(NEXT) | instid1(VALU_DEP_1)
	v_clz_i32_u32_e32 v103, v9
	v_min_u32_e32 v103, 32, v103
	s_delay_alu instid0(VALU_DEP_1) | instskip(SKIP_1) | instid1(VALU_DEP_2)
	v_subrev_nc_u32_e32 v112, 28, v103
	v_sub_nc_u32_e32 v103, 29, v103
	v_lshlrev_b64 v[112:113], v112, v[9:10]
	s_delay_alu instid0(VALU_DEP_1)
	v_and_b32_e32 v9, 7, v112
; %bb.662:                              ;   in Loop: Header=BB434_422 Depth=1
	s_or_b32 exec_lo, exec_lo, s16
	v_lshlrev_b32_e32 v7, 24, v7
	s_delay_alu instid0(VALU_DEP_2) | instskip(SKIP_1) | instid1(VALU_DEP_3)
	v_lshlrev_b32_e32 v9, 20, v9
	v_lshl_add_u32 v103, v103, 23, 0x3c000000
	v_and_b32_e32 v7, 0x80000000, v7
	s_delay_alu instid0(VALU_DEP_1)
	v_or3_b32 v9, v9, v7, v103
.LBB434_663:                            ;   in Loop: Header=BB434_422 Depth=1
	s_or_b32 exec_lo, exec_lo, s15
.LBB434_664:                            ;   in Loop: Header=BB434_422 Depth=1
	s_delay_alu instid0(SALU_CYCLE_1)
	s_or_b32 exec_lo, exec_lo, s13
.LBB434_665:                            ;   in Loop: Header=BB434_422 Depth=1
	s_delay_alu instid0(SALU_CYCLE_1) | instskip(NEXT) | instid1(VALU_DEP_1)
	s_or_b32 exec_lo, exec_lo, s12
	v_mul_f32_e32 v7, v8, v9
                                        ; implicit-def: $vgpr103
	s_delay_alu instid0(VALU_DEP_1) | instskip(NEXT) | instid1(VALU_DEP_1)
	v_and_b32_e32 v9, 0x7f800000, v7
	v_cmp_ne_u32_e64 s0, 0x7f800000, v9
	s_delay_alu instid0(VALU_DEP_1) | instskip(NEXT) | instid1(SALU_CYCLE_1)
	s_and_saveexec_b32 s12, s0
	s_xor_b32 s0, exec_lo, s12
; %bb.666:                              ;   in Loop: Header=BB434_422 Depth=1
	v_bfe_u32 v9, v7, 16, 1
	s_delay_alu instid0(VALU_DEP_1)
	v_add3_u32 v103, v7, v9, 0x7fff
                                        ; implicit-def: $vgpr7
; %bb.667:                              ;   in Loop: Header=BB434_422 Depth=1
	s_and_not1_saveexec_b32 s12, s0
; %bb.668:                              ;   in Loop: Header=BB434_422 Depth=1
	v_and_b32_e32 v9, 0xffff, v7
	v_or_b32_e32 v103, 0x10000, v7
	s_delay_alu instid0(VALU_DEP_2) | instskip(NEXT) | instid1(VALU_DEP_1)
	v_cmp_eq_u32_e64 s0, 0, v9
	v_cndmask_b32_e64 v103, v103, v7, s0
; %bb.669:                              ;   in Loop: Header=BB434_422 Depth=1
	s_or_b32 exec_lo, exec_lo, s12
	v_mov_b32_e32 v7, 0
	s_mov_b32 s12, exec_lo
	v_cmpx_lt_u64_e64 s[8:9], v[2:3]
	s_cbranch_execz .LBB434_677
; %bb.670:                              ;   in Loop: Header=BB434_422 Depth=1
	v_lshrrev_b32_e32 v2, 24, v3
	v_bfrev_b32_e32 v7, 1
	s_mov_b32 s13, exec_lo
	s_delay_alu instid0(VALU_DEP_2)
	v_cmpx_ne_u32_e32 0x80, v2
	s_cbranch_execz .LBB434_676
; %bb.671:                              ;   in Loop: Header=BB434_422 Depth=1
	v_bfe_u32 v112, v3, 24, 7
	v_mov_b32_e32 v7, 0x7f800001
	s_mov_b32 s15, exec_lo
	s_delay_alu instid0(VALU_DEP_2)
	v_cmpx_ne_u32_e32 0x7f, v112
	s_cbranch_execz .LBB434_675
; %bb.672:                              ;   in Loop: Header=BB434_422 Depth=1
	v_and_b32_e32 v9, 7, v2
	v_lshrrev_b32_e32 v3, 3, v112
	s_mov_b32 s16, exec_lo
	v_cmpx_gt_u32_e32 8, v112
; %bb.673:                              ;   in Loop: Header=BB434_422 Depth=1
	s_delay_alu instid0(VALU_DEP_3) | instskip(NEXT) | instid1(VALU_DEP_1)
	v_clz_i32_u32_e32 v3, v9
	v_min_u32_e32 v3, 32, v3
	s_delay_alu instid0(VALU_DEP_1) | instskip(SKIP_1) | instid1(VALU_DEP_2)
	v_subrev_nc_u32_e32 v7, 28, v3
	v_sub_nc_u32_e32 v3, 29, v3
	v_lshlrev_b64 v[112:113], v7, v[9:10]
	s_delay_alu instid0(VALU_DEP_1)
	v_and_b32_e32 v9, 7, v112
; %bb.674:                              ;   in Loop: Header=BB434_422 Depth=1
	s_or_b32 exec_lo, exec_lo, s16
	v_lshlrev_b32_e32 v2, 24, v2
	s_delay_alu instid0(VALU_DEP_2) | instskip(SKIP_1) | instid1(VALU_DEP_3)
	v_lshlrev_b32_e32 v7, 20, v9
	v_lshl_add_u32 v3, v3, 23, 0x3c000000
	v_and_b32_e32 v2, 0x80000000, v2
	s_delay_alu instid0(VALU_DEP_1)
	v_or3_b32 v7, v7, v2, v3
.LBB434_675:                            ;   in Loop: Header=BB434_422 Depth=1
	s_or_b32 exec_lo, exec_lo, s15
.LBB434_676:                            ;   in Loop: Header=BB434_422 Depth=1
	s_delay_alu instid0(SALU_CYCLE_1)
	s_or_b32 exec_lo, exec_lo, s13
.LBB434_677:                            ;   in Loop: Header=BB434_422 Depth=1
	s_delay_alu instid0(SALU_CYCLE_1) | instskip(NEXT) | instid1(VALU_DEP_1)
	s_or_b32 exec_lo, exec_lo, s12
	v_mul_f32_e32 v3, v8, v7
	s_delay_alu instid0(VALU_DEP_1) | instskip(NEXT) | instid1(VALU_DEP_1)
	v_and_b32_e32 v2, 0x7f800000, v3
	v_cmp_ne_u32_e64 s0, 0x7f800000, v2
                                        ; implicit-def: $vgpr2
	s_delay_alu instid0(VALU_DEP_1) | instskip(NEXT) | instid1(SALU_CYCLE_1)
	s_and_saveexec_b32 s12, s0
	s_xor_b32 s0, exec_lo, s12
; %bb.678:                              ;   in Loop: Header=BB434_422 Depth=1
	v_bfe_u32 v2, v3, 16, 1
	s_delay_alu instid0(VALU_DEP_1)
	v_add3_u32 v2, v3, v2, 0x7fff
                                        ; implicit-def: $vgpr3
; %bb.679:                              ;   in Loop: Header=BB434_422 Depth=1
	s_and_not1_saveexec_b32 s12, s0
; %bb.680:                              ;   in Loop: Header=BB434_422 Depth=1
	v_and_b32_e32 v2, 0xffff, v3
	v_or_b32_e32 v7, 0x10000, v3
	s_delay_alu instid0(VALU_DEP_2) | instskip(NEXT) | instid1(VALU_DEP_1)
	v_cmp_eq_u32_e64 s0, 0, v2
	v_cndmask_b32_e64 v2, v7, v3, s0
; %bb.681:                              ;   in Loop: Header=BB434_422 Depth=1
	s_or_b32 exec_lo, exec_lo, s12
	v_lshrrev_b32_e32 v6, 16, v6
	v_lshrrev_b32_e32 v7, 16, v102
	;; [unrolled: 1-line block ×8, first 2 shown]
	s_and_saveexec_b32 s12, vcc_lo
	s_cbranch_execz .LBB434_683
; %bb.682:                              ;   in Loop: Header=BB434_422 Depth=1
	v_cmp_lt_i32_e64 s0, v66, v38
	s_delay_alu instid0(VALU_DEP_1) | instskip(SKIP_1) | instid1(VALU_DEP_1)
	v_cndmask_b32_e64 v98, 0, v98, s0
	v_cmp_lt_i32_e64 s0, v81, v38
	v_cndmask_b32_e64 v99, 0, v99, s0
	v_cmp_lt_i32_e64 s0, v80, v38
	s_delay_alu instid0(VALU_DEP_1) | instskip(SKIP_1) | instid1(VALU_DEP_1)
	v_cndmask_b32_e64 v100, 0, v100, s0
	v_cmp_lt_i32_e64 s0, v71, v38
	v_cndmask_b32_e64 v9, 0, v9, s0
	;; [unrolled: 5-line block ×4, first 2 shown]
.LBB434_683:                            ;   in Loop: Header=BB434_422 Depth=1
	s_or_b32 exec_lo, exec_lo, s12
	v_lshlrev_b32_e32 v98, 16, v98
	s_delay_alu instid0(VALU_DEP_1) | instskip(NEXT) | instid1(VALU_DEP_1)
	v_mul_f32_e32 v101, v82, v98
	v_and_b32_e32 v98, 0x7f800000, v101
	s_delay_alu instid0(VALU_DEP_1) | instskip(NEXT) | instid1(VALU_DEP_1)
	v_cmp_ne_u32_e64 s0, 0x7f800000, v98
                                        ; implicit-def: $vgpr98
	s_and_saveexec_b32 s12, s0
	s_delay_alu instid0(SALU_CYCLE_1)
	s_xor_b32 s0, exec_lo, s12
; %bb.684:                              ;   in Loop: Header=BB434_422 Depth=1
	v_bfe_u32 v98, v101, 16, 1
	s_delay_alu instid0(VALU_DEP_1)
	v_add3_u32 v98, v101, v98, 0x7fff
                                        ; implicit-def: $vgpr101
; %bb.685:                              ;   in Loop: Header=BB434_422 Depth=1
	s_and_not1_saveexec_b32 s12, s0
; %bb.686:                              ;   in Loop: Header=BB434_422 Depth=1
	v_and_b32_e32 v98, 0xffff, v101
	v_or_b32_e32 v102, 0x10000, v101
	s_delay_alu instid0(VALU_DEP_2) | instskip(NEXT) | instid1(VALU_DEP_1)
	v_cmp_eq_u32_e64 s0, 0, v98
	v_cndmask_b32_e64 v98, v102, v101, s0
; %bb.687:                              ;   in Loop: Header=BB434_422 Depth=1
	s_or_b32 exec_lo, exec_lo, s12
	v_lshlrev_b32_e32 v99, 16, v99
	s_delay_alu instid0(VALU_DEP_1) | instskip(NEXT) | instid1(VALU_DEP_1)
	v_mul_f32_e32 v101, v83, v99
	v_and_b32_e32 v99, 0x7f800000, v101
	s_delay_alu instid0(VALU_DEP_1) | instskip(NEXT) | instid1(VALU_DEP_1)
	v_cmp_ne_u32_e64 s0, 0x7f800000, v99
                                        ; implicit-def: $vgpr99
	s_and_saveexec_b32 s12, s0
	s_delay_alu instid0(SALU_CYCLE_1)
	s_xor_b32 s0, exec_lo, s12
; %bb.688:                              ;   in Loop: Header=BB434_422 Depth=1
	v_bfe_u32 v99, v101, 16, 1
	s_delay_alu instid0(VALU_DEP_1)
	v_add3_u32 v99, v101, v99, 0x7fff
                                        ; implicit-def: $vgpr101
; %bb.689:                              ;   in Loop: Header=BB434_422 Depth=1
	s_and_not1_saveexec_b32 s12, s0
; %bb.690:                              ;   in Loop: Header=BB434_422 Depth=1
	v_and_b32_e32 v99, 0xffff, v101
	v_or_b32_e32 v102, 0x10000, v101
	s_delay_alu instid0(VALU_DEP_2) | instskip(NEXT) | instid1(VALU_DEP_1)
	v_cmp_eq_u32_e64 s0, 0, v99
	v_cndmask_b32_e64 v99, v102, v101, s0
; %bb.691:                              ;   in Loop: Header=BB434_422 Depth=1
	s_or_b32 exec_lo, exec_lo, s12
	v_lshlrev_b32_e32 v100, 16, v100
	s_delay_alu instid0(VALU_DEP_1) | instskip(NEXT) | instid1(VALU_DEP_1)
	v_mul_f32_e32 v101, v84, v100
	v_and_b32_e32 v100, 0x7f800000, v101
	s_delay_alu instid0(VALU_DEP_1) | instskip(NEXT) | instid1(VALU_DEP_1)
	v_cmp_ne_u32_e64 s0, 0x7f800000, v100
                                        ; implicit-def: $vgpr100
	s_and_saveexec_b32 s12, s0
	s_delay_alu instid0(SALU_CYCLE_1)
	s_xor_b32 s0, exec_lo, s12
; %bb.692:                              ;   in Loop: Header=BB434_422 Depth=1
	v_bfe_u32 v100, v101, 16, 1
	s_delay_alu instid0(VALU_DEP_1)
	v_add3_u32 v100, v101, v100, 0x7fff
                                        ; implicit-def: $vgpr101
; %bb.693:                              ;   in Loop: Header=BB434_422 Depth=1
	s_and_not1_saveexec_b32 s12, s0
; %bb.694:                              ;   in Loop: Header=BB434_422 Depth=1
	v_and_b32_e32 v100, 0xffff, v101
	v_or_b32_e32 v102, 0x10000, v101
	s_delay_alu instid0(VALU_DEP_2) | instskip(NEXT) | instid1(VALU_DEP_1)
	v_cmp_eq_u32_e64 s0, 0, v100
	v_cndmask_b32_e64 v100, v102, v101, s0
; %bb.695:                              ;   in Loop: Header=BB434_422 Depth=1
	s_or_b32 exec_lo, exec_lo, s12
	v_lshlrev_b32_e32 v9, 16, v9
	s_delay_alu instid0(VALU_DEP_1) | instskip(NEXT) | instid1(VALU_DEP_1)
	v_mul_f32_e32 v9, v85, v9
	v_and_b32_e32 v101, 0x7f800000, v9
	s_delay_alu instid0(VALU_DEP_1) | instskip(NEXT) | instid1(VALU_DEP_1)
	v_cmp_ne_u32_e64 s0, 0x7f800000, v101
                                        ; implicit-def: $vgpr101
	s_and_saveexec_b32 s12, s0
	s_delay_alu instid0(SALU_CYCLE_1)
	s_xor_b32 s0, exec_lo, s12
; %bb.696:                              ;   in Loop: Header=BB434_422 Depth=1
	v_bfe_u32 v101, v9, 16, 1
	s_delay_alu instid0(VALU_DEP_1)
	v_add3_u32 v101, v9, v101, 0x7fff
                                        ; implicit-def: $vgpr9
; %bb.697:                              ;   in Loop: Header=BB434_422 Depth=1
	s_and_not1_saveexec_b32 s12, s0
; %bb.698:                              ;   in Loop: Header=BB434_422 Depth=1
	v_and_b32_e32 v101, 0xffff, v9
	v_or_b32_e32 v102, 0x10000, v9
	s_delay_alu instid0(VALU_DEP_2) | instskip(NEXT) | instid1(VALU_DEP_1)
	v_cmp_eq_u32_e64 s0, 0, v101
	v_cndmask_b32_e64 v101, v102, v9, s0
; %bb.699:                              ;   in Loop: Header=BB434_422 Depth=1
	s_or_b32 exec_lo, exec_lo, s12
	v_lshlrev_b32_e32 v7, 16, v7
                                        ; implicit-def: $vgpr102
	s_delay_alu instid0(VALU_DEP_1) | instskip(NEXT) | instid1(VALU_DEP_1)
	v_mul_f32_e32 v7, v86, v7
	v_and_b32_e32 v9, 0x7f800000, v7
	s_delay_alu instid0(VALU_DEP_1) | instskip(NEXT) | instid1(VALU_DEP_1)
	v_cmp_ne_u32_e64 s0, 0x7f800000, v9
	s_and_saveexec_b32 s12, s0
	s_delay_alu instid0(SALU_CYCLE_1)
	s_xor_b32 s0, exec_lo, s12
; %bb.700:                              ;   in Loop: Header=BB434_422 Depth=1
	v_bfe_u32 v9, v7, 16, 1
	s_delay_alu instid0(VALU_DEP_1)
	v_add3_u32 v102, v7, v9, 0x7fff
                                        ; implicit-def: $vgpr7
; %bb.701:                              ;   in Loop: Header=BB434_422 Depth=1
	s_and_not1_saveexec_b32 s12, s0
; %bb.702:                              ;   in Loop: Header=BB434_422 Depth=1
	v_and_b32_e32 v9, 0xffff, v7
	v_or_b32_e32 v102, 0x10000, v7
	s_delay_alu instid0(VALU_DEP_2) | instskip(NEXT) | instid1(VALU_DEP_1)
	v_cmp_eq_u32_e64 s0, 0, v9
	v_cndmask_b32_e64 v102, v102, v7, s0
; %bb.703:                              ;   in Loop: Header=BB434_422 Depth=1
	s_or_b32 exec_lo, exec_lo, s12
	v_lshlrev_b32_e32 v6, 16, v6
                                        ; implicit-def: $vgpr103
	s_delay_alu instid0(VALU_DEP_1) | instskip(NEXT) | instid1(VALU_DEP_1)
	v_mul_f32_e32 v6, v87, v6
	v_and_b32_e32 v7, 0x7f800000, v6
	s_delay_alu instid0(VALU_DEP_1) | instskip(NEXT) | instid1(VALU_DEP_1)
	v_cmp_ne_u32_e64 s0, 0x7f800000, v7
	s_and_saveexec_b32 s12, s0
	s_delay_alu instid0(SALU_CYCLE_1)
	s_xor_b32 s0, exec_lo, s12
; %bb.704:                              ;   in Loop: Header=BB434_422 Depth=1
	v_bfe_u32 v7, v6, 16, 1
	s_delay_alu instid0(VALU_DEP_1)
	v_add3_u32 v103, v6, v7, 0x7fff
                                        ; implicit-def: $vgpr6
; %bb.705:                              ;   in Loop: Header=BB434_422 Depth=1
	s_and_not1_saveexec_b32 s12, s0
; %bb.706:                              ;   in Loop: Header=BB434_422 Depth=1
	v_and_b32_e32 v7, 0xffff, v6
	v_or_b32_e32 v9, 0x10000, v6
	s_delay_alu instid0(VALU_DEP_2) | instskip(NEXT) | instid1(VALU_DEP_1)
	v_cmp_eq_u32_e64 s0, 0, v7
	v_cndmask_b32_e64 v103, v9, v6, s0
; %bb.707:                              ;   in Loop: Header=BB434_422 Depth=1
	s_or_b32 exec_lo, exec_lo, s12
	v_lshlrev_b32_e32 v3, 16, v3
                                        ; implicit-def: $vgpr112
	s_delay_alu instid0(VALU_DEP_1) | instskip(NEXT) | instid1(VALU_DEP_1)
	v_mul_f32_e32 v3, v96, v3
	v_and_b32_e32 v6, 0x7f800000, v3
	s_delay_alu instid0(VALU_DEP_1) | instskip(NEXT) | instid1(VALU_DEP_1)
	v_cmp_ne_u32_e64 s0, 0x7f800000, v6
	s_and_saveexec_b32 s12, s0
	s_delay_alu instid0(SALU_CYCLE_1)
	s_xor_b32 s0, exec_lo, s12
; %bb.708:                              ;   in Loop: Header=BB434_422 Depth=1
	v_bfe_u32 v6, v3, 16, 1
	s_delay_alu instid0(VALU_DEP_1)
	v_add3_u32 v112, v3, v6, 0x7fff
                                        ; implicit-def: $vgpr3
; %bb.709:                              ;   in Loop: Header=BB434_422 Depth=1
	s_and_not1_saveexec_b32 s12, s0
; %bb.710:                              ;   in Loop: Header=BB434_422 Depth=1
	v_and_b32_e32 v6, 0xffff, v3
	v_or_b32_e32 v7, 0x10000, v3
	s_delay_alu instid0(VALU_DEP_2) | instskip(NEXT) | instid1(VALU_DEP_1)
	v_cmp_eq_u32_e64 s0, 0, v6
	v_cndmask_b32_e64 v112, v7, v3, s0
; %bb.711:                              ;   in Loop: Header=BB434_422 Depth=1
	s_or_b32 exec_lo, exec_lo, s12
	v_lshlrev_b32_e32 v2, 16, v2
                                        ; implicit-def: $vgpr113
	s_delay_alu instid0(VALU_DEP_1) | instskip(NEXT) | instid1(VALU_DEP_1)
	v_mul_f32_e32 v2, v97, v2
	v_and_b32_e32 v3, 0x7f800000, v2
	s_delay_alu instid0(VALU_DEP_1) | instskip(NEXT) | instid1(VALU_DEP_1)
	v_cmp_ne_u32_e64 s0, 0x7f800000, v3
	s_and_saveexec_b32 s12, s0
	s_delay_alu instid0(SALU_CYCLE_1)
	s_xor_b32 s0, exec_lo, s12
; %bb.712:                              ;   in Loop: Header=BB434_422 Depth=1
	v_bfe_u32 v3, v2, 16, 1
	s_delay_alu instid0(VALU_DEP_1)
	v_add3_u32 v113, v2, v3, 0x7fff
                                        ; implicit-def: $vgpr2
; %bb.713:                              ;   in Loop: Header=BB434_422 Depth=1
	s_and_not1_saveexec_b32 s12, s0
; %bb.714:                              ;   in Loop: Header=BB434_422 Depth=1
	v_and_b32_e32 v3, 0xffff, v2
	v_or_b32_e32 v6, 0x10000, v2
	s_delay_alu instid0(VALU_DEP_2) | instskip(NEXT) | instid1(VALU_DEP_1)
	v_cmp_eq_u32_e64 s0, 0, v3
	v_cndmask_b32_e64 v113, v6, v2, s0
; %bb.715:                              ;   in Loop: Header=BB434_422 Depth=1
	s_or_b32 exec_lo, exec_lo, s12
	flat_load_b64 v[2:3], v[0:1] offset:512
	s_mov_b32 s12, exec_lo
	s_waitcnt vmcnt(0) lgkmcnt(0)
	v_dual_mov_b32 v6, 0 :: v_dual_and_b32 v7, 0xff, v2
	s_delay_alu instid0(VALU_DEP_1)
	v_cmpx_ne_u16_e32 0, v7
	s_cbranch_execz .LBB434_723
; %bb.716:                              ;   in Loop: Header=BB434_422 Depth=1
	v_bfrev_b32_e32 v6, 1
	s_mov_b32 s13, exec_lo
	v_cmpx_ne_u16_e32 0x80, v7
	s_cbranch_execz .LBB434_722
; %bb.717:                              ;   in Loop: Header=BB434_422 Depth=1
	v_and_b32_e32 v7, 0x7f, v2
	v_mov_b32_e32 v6, 0x7f800001
	s_mov_b32 s15, exec_lo
	s_delay_alu instid0(VALU_DEP_2)
	v_cmpx_ne_u32_e32 0x7f, v7
	s_cbranch_execz .LBB434_721
; %bb.718:                              ;   in Loop: Header=BB434_422 Depth=1
	v_lshrrev_b32_e32 v9, 3, v7
	v_cmp_gt_u32_e64 s0, 8, v7
	v_dual_mov_b32 v7, v3 :: v_dual_mov_b32 v6, v2
	s_delay_alu instid0(VALU_DEP_2)
	s_and_saveexec_b32 s16, s0
; %bb.719:                              ;   in Loop: Header=BB434_422 Depth=1
	v_and_b32_e32 v6, 7, v2
	s_delay_alu instid0(VALU_DEP_1) | instskip(NEXT) | instid1(VALU_DEP_1)
	v_clz_i32_u32_e32 v6, v6
	v_min_u32_e32 v9, 32, v6
	s_delay_alu instid0(VALU_DEP_1) | instskip(SKIP_1) | instid1(VALU_DEP_2)
	v_subrev_nc_u32_e32 v6, 28, v9
	v_sub_nc_u32_e32 v9, 29, v9
	v_lshlrev_b64 v[6:7], v6, v[2:3]
; %bb.720:                              ;   in Loop: Header=BB434_422 Depth=1
	s_or_b32 exec_lo, exec_lo, s16
	s_delay_alu instid0(VALU_DEP_1) | instskip(SKIP_2) | instid1(VALU_DEP_3)
	v_lshlrev_b32_e32 v6, 20, v6
	v_lshlrev_b32_e32 v7, 24, v2
	v_lshl_add_u32 v9, v9, 23, 0x3c000000
	v_and_b32_e32 v6, 0x700000, v6
	s_delay_alu instid0(VALU_DEP_3) | instskip(NEXT) | instid1(VALU_DEP_1)
	v_and_b32_e32 v7, 0x80000000, v7
	v_or3_b32 v6, v6, v7, v9
.LBB434_721:                            ;   in Loop: Header=BB434_422 Depth=1
	s_or_b32 exec_lo, exec_lo, s15
.LBB434_722:                            ;   in Loop: Header=BB434_422 Depth=1
	s_delay_alu instid0(SALU_CYCLE_1)
	s_or_b32 exec_lo, exec_lo, s13
.LBB434_723:                            ;   in Loop: Header=BB434_422 Depth=1
	s_delay_alu instid0(SALU_CYCLE_1) | instskip(NEXT) | instid1(VALU_DEP_1)
	s_or_b32 exec_lo, exec_lo, s12
	v_mul_f32_e32 v6, v8, v6
                                        ; implicit-def: $vgpr114
	s_delay_alu instid0(VALU_DEP_1) | instskip(NEXT) | instid1(VALU_DEP_1)
	v_and_b32_e32 v7, 0x7f800000, v6
	v_cmp_ne_u32_e64 s0, 0x7f800000, v7
	s_delay_alu instid0(VALU_DEP_1) | instskip(NEXT) | instid1(SALU_CYCLE_1)
	s_and_saveexec_b32 s12, s0
	s_xor_b32 s0, exec_lo, s12
; %bb.724:                              ;   in Loop: Header=BB434_422 Depth=1
	v_bfe_u32 v7, v6, 16, 1
	s_delay_alu instid0(VALU_DEP_1)
	v_add3_u32 v114, v6, v7, 0x7fff
                                        ; implicit-def: $vgpr6
; %bb.725:                              ;   in Loop: Header=BB434_422 Depth=1
	s_and_not1_saveexec_b32 s12, s0
; %bb.726:                              ;   in Loop: Header=BB434_422 Depth=1
	v_and_b32_e32 v7, 0xffff, v6
	v_or_b32_e32 v9, 0x10000, v6
	s_delay_alu instid0(VALU_DEP_2) | instskip(NEXT) | instid1(VALU_DEP_1)
	v_cmp_eq_u32_e64 s0, 0, v7
	v_cndmask_b32_e64 v114, v9, v6, s0
; %bb.727:                              ;   in Loop: Header=BB434_422 Depth=1
	s_or_b32 exec_lo, exec_lo, s12
	v_lshrrev_b16 v7, 8, v2
	v_mov_b32_e32 v6, 0
	s_mov_b32 s12, exec_lo
	s_delay_alu instid0(VALU_DEP_2)
	v_cmpx_ne_u16_e32 0, v7
	s_cbranch_execz .LBB434_735
; %bb.728:                              ;   in Loop: Header=BB434_422 Depth=1
	v_bfrev_b32_e32 v6, 1
	s_mov_b32 s13, exec_lo
	v_cmpx_ne_u16_e32 0x80, v7
	s_cbranch_execz .LBB434_734
; %bb.729:                              ;   in Loop: Header=BB434_422 Depth=1
	v_and_b32_e32 v9, 0xffff, v7
	v_mov_b32_e32 v6, 0x7f800001
	s_mov_b32 s15, exec_lo
	s_delay_alu instid0(VALU_DEP_2) | instskip(NEXT) | instid1(VALU_DEP_1)
	v_and_b32_e32 v7, 0x7f, v9
	v_cmpx_ne_u32_e32 0x7f, v7
	s_cbranch_execz .LBB434_733
; %bb.730:                              ;   in Loop: Header=BB434_422 Depth=1
	v_and_b32_e32 v9, 7, v9
	v_lshrrev_b32_e32 v6, 3, v7
	s_mov_b32 s16, exec_lo
	v_cmpx_gt_u32_e32 8, v7
; %bb.731:                              ;   in Loop: Header=BB434_422 Depth=1
	s_delay_alu instid0(VALU_DEP_3) | instskip(NEXT) | instid1(VALU_DEP_1)
	v_clz_i32_u32_e32 v6, v9
	v_min_u32_e32 v6, 32, v6
	s_delay_alu instid0(VALU_DEP_1) | instskip(SKIP_1) | instid1(VALU_DEP_2)
	v_subrev_nc_u32_e32 v7, 28, v6
	v_sub_nc_u32_e32 v6, 29, v6
	v_lshlrev_b64 v[115:116], v7, v[9:10]
	s_delay_alu instid0(VALU_DEP_1)
	v_and_b32_e32 v9, 7, v115
; %bb.732:                              ;   in Loop: Header=BB434_422 Depth=1
	s_or_b32 exec_lo, exec_lo, s16
	v_lshlrev_b32_e32 v7, 16, v2
	s_delay_alu instid0(VALU_DEP_2) | instskip(SKIP_1) | instid1(VALU_DEP_3)
	v_lshlrev_b32_e32 v9, 20, v9
	v_lshl_add_u32 v6, v6, 23, 0x3c000000
	v_and_b32_e32 v7, 0x80000000, v7
	s_delay_alu instid0(VALU_DEP_1)
	v_or3_b32 v6, v9, v7, v6
.LBB434_733:                            ;   in Loop: Header=BB434_422 Depth=1
	s_or_b32 exec_lo, exec_lo, s15
.LBB434_734:                            ;   in Loop: Header=BB434_422 Depth=1
	s_delay_alu instid0(SALU_CYCLE_1)
	s_or_b32 exec_lo, exec_lo, s13
.LBB434_735:                            ;   in Loop: Header=BB434_422 Depth=1
	s_delay_alu instid0(SALU_CYCLE_1) | instskip(NEXT) | instid1(VALU_DEP_1)
	s_or_b32 exec_lo, exec_lo, s12
	v_mul_f32_e32 v6, v8, v6
                                        ; implicit-def: $vgpr115
	s_delay_alu instid0(VALU_DEP_1) | instskip(NEXT) | instid1(VALU_DEP_1)
	v_and_b32_e32 v7, 0x7f800000, v6
	v_cmp_ne_u32_e64 s0, 0x7f800000, v7
	s_delay_alu instid0(VALU_DEP_1) | instskip(NEXT) | instid1(SALU_CYCLE_1)
	s_and_saveexec_b32 s12, s0
	s_xor_b32 s0, exec_lo, s12
; %bb.736:                              ;   in Loop: Header=BB434_422 Depth=1
	v_bfe_u32 v7, v6, 16, 1
	s_delay_alu instid0(VALU_DEP_1)
	v_add3_u32 v115, v6, v7, 0x7fff
                                        ; implicit-def: $vgpr6
; %bb.737:                              ;   in Loop: Header=BB434_422 Depth=1
	s_and_not1_saveexec_b32 s12, s0
; %bb.738:                              ;   in Loop: Header=BB434_422 Depth=1
	v_and_b32_e32 v7, 0xffff, v6
	v_or_b32_e32 v9, 0x10000, v6
	s_delay_alu instid0(VALU_DEP_2) | instskip(NEXT) | instid1(VALU_DEP_1)
	v_cmp_eq_u32_e64 s0, 0, v7
	v_cndmask_b32_e64 v115, v9, v6, s0
; %bb.739:                              ;   in Loop: Header=BB434_422 Depth=1
	s_or_b32 exec_lo, exec_lo, s12
	v_lshrrev_b32_e32 v6, 16, v2
	v_mov_b32_e32 v7, 0
	s_mov_b32 s12, exec_lo
	s_delay_alu instid0(VALU_DEP_2) | instskip(NEXT) | instid1(VALU_DEP_1)
	v_and_b32_e32 v9, 0xff, v6
	v_cmpx_ne_u16_e32 0, v9
	s_cbranch_execz .LBB434_747
; %bb.740:                              ;   in Loop: Header=BB434_422 Depth=1
	v_bfrev_b32_e32 v7, 1
	s_mov_b32 s13, exec_lo
	v_cmpx_ne_u16_e32 0x80, v9
	s_cbranch_execz .LBB434_746
; %bb.741:                              ;   in Loop: Header=BB434_422 Depth=1
	v_bfe_u32 v116, v2, 16, 7
	v_mov_b32_e32 v7, 0x7f800001
	s_mov_b32 s15, exec_lo
	s_delay_alu instid0(VALU_DEP_2)
	v_cmpx_ne_u32_e32 0x7f, v116
	s_cbranch_execz .LBB434_745
; %bb.742:                              ;   in Loop: Header=BB434_422 Depth=1
	v_and_b32_e32 v9, 7, v6
	v_lshrrev_b32_e32 v7, 3, v116
	s_mov_b32 s16, exec_lo
	v_cmpx_gt_u32_e32 8, v116
; %bb.743:                              ;   in Loop: Header=BB434_422 Depth=1
	s_delay_alu instid0(VALU_DEP_3) | instskip(NEXT) | instid1(VALU_DEP_1)
	v_clz_i32_u32_e32 v7, v9
	v_min_u32_e32 v7, 32, v7
	s_delay_alu instid0(VALU_DEP_1) | instskip(SKIP_1) | instid1(VALU_DEP_2)
	v_subrev_nc_u32_e32 v116, 28, v7
	v_sub_nc_u32_e32 v7, 29, v7
	v_lshlrev_b64 v[116:117], v116, v[9:10]
	s_delay_alu instid0(VALU_DEP_1)
	v_and_b32_e32 v9, 7, v116
; %bb.744:                              ;   in Loop: Header=BB434_422 Depth=1
	s_or_b32 exec_lo, exec_lo, s16
	v_lshlrev_b32_e32 v6, 24, v6
	s_delay_alu instid0(VALU_DEP_2) | instskip(SKIP_1) | instid1(VALU_DEP_3)
	v_lshlrev_b32_e32 v9, 20, v9
	v_lshl_add_u32 v7, v7, 23, 0x3c000000
	v_and_b32_e32 v6, 0x80000000, v6
	s_delay_alu instid0(VALU_DEP_1)
	v_or3_b32 v7, v9, v6, v7
.LBB434_745:                            ;   in Loop: Header=BB434_422 Depth=1
	s_or_b32 exec_lo, exec_lo, s15
.LBB434_746:                            ;   in Loop: Header=BB434_422 Depth=1
	s_delay_alu instid0(SALU_CYCLE_1)
	s_or_b32 exec_lo, exec_lo, s13
.LBB434_747:                            ;   in Loop: Header=BB434_422 Depth=1
	s_delay_alu instid0(SALU_CYCLE_1) | instskip(NEXT) | instid1(VALU_DEP_1)
	s_or_b32 exec_lo, exec_lo, s12
	v_mul_f32_e32 v6, v8, v7
                                        ; implicit-def: $vgpr116
	s_delay_alu instid0(VALU_DEP_1) | instskip(NEXT) | instid1(VALU_DEP_1)
	v_and_b32_e32 v7, 0x7f800000, v6
	v_cmp_ne_u32_e64 s0, 0x7f800000, v7
	s_delay_alu instid0(VALU_DEP_1) | instskip(NEXT) | instid1(SALU_CYCLE_1)
	s_and_saveexec_b32 s12, s0
	s_xor_b32 s0, exec_lo, s12
; %bb.748:                              ;   in Loop: Header=BB434_422 Depth=1
	v_bfe_u32 v7, v6, 16, 1
	s_delay_alu instid0(VALU_DEP_1)
	v_add3_u32 v116, v6, v7, 0x7fff
                                        ; implicit-def: $vgpr6
; %bb.749:                              ;   in Loop: Header=BB434_422 Depth=1
	s_and_not1_saveexec_b32 s12, s0
; %bb.750:                              ;   in Loop: Header=BB434_422 Depth=1
	v_and_b32_e32 v7, 0xffff, v6
	v_or_b32_e32 v9, 0x10000, v6
	s_delay_alu instid0(VALU_DEP_2) | instskip(NEXT) | instid1(VALU_DEP_1)
	v_cmp_eq_u32_e64 s0, 0, v7
	v_cndmask_b32_e64 v116, v9, v6, s0
; %bb.751:                              ;   in Loop: Header=BB434_422 Depth=1
	s_or_b32 exec_lo, exec_lo, s12
	v_mov_b32_e32 v7, 0
	s_mov_b32 s12, exec_lo
	v_cmpx_lt_u32_e32 0xffffff, v2
	s_cbranch_execz .LBB434_759
; %bb.752:                              ;   in Loop: Header=BB434_422 Depth=1
	v_lshrrev_b32_e32 v6, 24, v2
	v_bfrev_b32_e32 v7, 1
	s_mov_b32 s13, exec_lo
	s_delay_alu instid0(VALU_DEP_2)
	v_cmpx_ne_u32_e32 0x80, v6
	s_cbranch_execz .LBB434_758
; %bb.753:                              ;   in Loop: Header=BB434_422 Depth=1
	v_bfe_u32 v117, v2, 24, 7
	v_mov_b32_e32 v7, 0x7f800001
	s_mov_b32 s15, exec_lo
	s_delay_alu instid0(VALU_DEP_2)
	v_cmpx_ne_u32_e32 0x7f, v117
	s_cbranch_execz .LBB434_757
; %bb.754:                              ;   in Loop: Header=BB434_422 Depth=1
	v_and_b32_e32 v9, 7, v6
	v_lshrrev_b32_e32 v7, 3, v117
	s_mov_b32 s16, exec_lo
	v_cmpx_gt_u32_e32 8, v117
; %bb.755:                              ;   in Loop: Header=BB434_422 Depth=1
	s_delay_alu instid0(VALU_DEP_3) | instskip(NEXT) | instid1(VALU_DEP_1)
	v_clz_i32_u32_e32 v7, v9
	v_min_u32_e32 v7, 32, v7
	s_delay_alu instid0(VALU_DEP_1) | instskip(SKIP_1) | instid1(VALU_DEP_2)
	v_subrev_nc_u32_e32 v117, 28, v7
	v_sub_nc_u32_e32 v7, 29, v7
	v_lshlrev_b64 v[117:118], v117, v[9:10]
	s_delay_alu instid0(VALU_DEP_1)
	v_and_b32_e32 v9, 7, v117
; %bb.756:                              ;   in Loop: Header=BB434_422 Depth=1
	s_or_b32 exec_lo, exec_lo, s16
	v_lshlrev_b32_e32 v6, 24, v6
	s_delay_alu instid0(VALU_DEP_2) | instskip(SKIP_1) | instid1(VALU_DEP_3)
	v_lshlrev_b32_e32 v9, 20, v9
	v_lshl_add_u32 v7, v7, 23, 0x3c000000
	v_and_b32_e32 v6, 0x80000000, v6
	s_delay_alu instid0(VALU_DEP_1)
	v_or3_b32 v7, v9, v6, v7
.LBB434_757:                            ;   in Loop: Header=BB434_422 Depth=1
	s_or_b32 exec_lo, exec_lo, s15
.LBB434_758:                            ;   in Loop: Header=BB434_422 Depth=1
	s_delay_alu instid0(SALU_CYCLE_1)
	s_or_b32 exec_lo, exec_lo, s13
.LBB434_759:                            ;   in Loop: Header=BB434_422 Depth=1
	s_delay_alu instid0(SALU_CYCLE_1) | instskip(NEXT) | instid1(VALU_DEP_1)
	s_or_b32 exec_lo, exec_lo, s12
	v_mul_f32_e32 v6, v8, v7
                                        ; implicit-def: $vgpr117
	s_delay_alu instid0(VALU_DEP_1) | instskip(NEXT) | instid1(VALU_DEP_1)
	v_and_b32_e32 v7, 0x7f800000, v6
	v_cmp_ne_u32_e64 s0, 0x7f800000, v7
	s_delay_alu instid0(VALU_DEP_1) | instskip(NEXT) | instid1(SALU_CYCLE_1)
	s_and_saveexec_b32 s12, s0
	s_xor_b32 s0, exec_lo, s12
; %bb.760:                              ;   in Loop: Header=BB434_422 Depth=1
	v_bfe_u32 v7, v6, 16, 1
	s_delay_alu instid0(VALU_DEP_1)
	v_add3_u32 v117, v6, v7, 0x7fff
                                        ; implicit-def: $vgpr6
; %bb.761:                              ;   in Loop: Header=BB434_422 Depth=1
	s_and_not1_saveexec_b32 s12, s0
; %bb.762:                              ;   in Loop: Header=BB434_422 Depth=1
	v_and_b32_e32 v7, 0xffff, v6
	v_or_b32_e32 v9, 0x10000, v6
	s_delay_alu instid0(VALU_DEP_2) | instskip(NEXT) | instid1(VALU_DEP_1)
	v_cmp_eq_u32_e64 s0, 0, v7
	v_cndmask_b32_e64 v117, v9, v6, s0
; %bb.763:                              ;   in Loop: Header=BB434_422 Depth=1
	s_or_b32 exec_lo, exec_lo, s12
	v_dual_mov_b32 v6, 0 :: v_dual_and_b32 v7, 0xff, v3
	v_mov_b32_e32 v9, v3
	s_mov_b32 s12, exec_lo
	s_delay_alu instid0(VALU_DEP_2)
	v_cmpx_ne_u16_e32 0, v7
	s_cbranch_execz .LBB434_771
; %bb.764:                              ;   in Loop: Header=BB434_422 Depth=1
	v_bfrev_b32_e32 v6, 1
	s_mov_b32 s13, exec_lo
	v_cmpx_ne_u16_e32 0x80, v7
	s_cbranch_execz .LBB434_770
; %bb.765:                              ;   in Loop: Header=BB434_422 Depth=1
	v_and_b32_e32 v7, 0x7f, v3
	v_mov_b32_e32 v6, 0x7f800001
	s_mov_b32 s15, exec_lo
	s_delay_alu instid0(VALU_DEP_2)
	v_cmpx_ne_u32_e32 0x7f, v7
	s_cbranch_execz .LBB434_769
; %bb.766:                              ;   in Loop: Header=BB434_422 Depth=1
	v_lshrrev_b32_e32 v118, 3, v7
	v_cmp_gt_u32_e64 s0, 8, v7
	v_dual_mov_b32 v6, v9 :: v_dual_mov_b32 v7, v10
	s_delay_alu instid0(VALU_DEP_2)
	s_and_saveexec_b32 s16, s0
; %bb.767:                              ;   in Loop: Header=BB434_422 Depth=1
	v_and_b32_e32 v6, 7, v3
	s_delay_alu instid0(VALU_DEP_1) | instskip(NEXT) | instid1(VALU_DEP_1)
	v_clz_i32_u32_e32 v6, v6
	v_min_u32_e32 v118, 32, v6
	s_delay_alu instid0(VALU_DEP_1) | instskip(SKIP_1) | instid1(VALU_DEP_2)
	v_subrev_nc_u32_e32 v6, 28, v118
	v_sub_nc_u32_e32 v118, 29, v118
	v_lshlrev_b64 v[6:7], v6, v[9:10]
; %bb.768:                              ;   in Loop: Header=BB434_422 Depth=1
	s_or_b32 exec_lo, exec_lo, s16
	s_delay_alu instid0(VALU_DEP_1) | instskip(SKIP_2) | instid1(VALU_DEP_3)
	v_lshlrev_b32_e32 v6, 20, v6
	v_lshlrev_b32_e32 v7, 24, v9
	v_lshl_add_u32 v118, v118, 23, 0x3c000000
	v_and_b32_e32 v6, 0x700000, v6
	s_delay_alu instid0(VALU_DEP_3) | instskip(NEXT) | instid1(VALU_DEP_1)
	v_and_b32_e32 v7, 0x80000000, v7
	v_or3_b32 v6, v6, v7, v118
.LBB434_769:                            ;   in Loop: Header=BB434_422 Depth=1
	s_or_b32 exec_lo, exec_lo, s15
.LBB434_770:                            ;   in Loop: Header=BB434_422 Depth=1
	s_delay_alu instid0(SALU_CYCLE_1)
	s_or_b32 exec_lo, exec_lo, s13
.LBB434_771:                            ;   in Loop: Header=BB434_422 Depth=1
	s_delay_alu instid0(SALU_CYCLE_1) | instskip(NEXT) | instid1(VALU_DEP_1)
	s_or_b32 exec_lo, exec_lo, s12
	v_mul_f32_e32 v6, v8, v6
                                        ; implicit-def: $vgpr118
	s_delay_alu instid0(VALU_DEP_1) | instskip(NEXT) | instid1(VALU_DEP_1)
	v_and_b32_e32 v7, 0x7f800000, v6
	v_cmp_ne_u32_e64 s0, 0x7f800000, v7
	s_delay_alu instid0(VALU_DEP_1) | instskip(NEXT) | instid1(SALU_CYCLE_1)
	s_and_saveexec_b32 s12, s0
	s_xor_b32 s0, exec_lo, s12
; %bb.772:                              ;   in Loop: Header=BB434_422 Depth=1
	v_bfe_u32 v7, v6, 16, 1
	s_delay_alu instid0(VALU_DEP_1)
	v_add3_u32 v118, v6, v7, 0x7fff
                                        ; implicit-def: $vgpr6
; %bb.773:                              ;   in Loop: Header=BB434_422 Depth=1
	s_and_not1_saveexec_b32 s12, s0
; %bb.774:                              ;   in Loop: Header=BB434_422 Depth=1
	v_and_b32_e32 v7, 0xffff, v6
	v_or_b32_e32 v118, 0x10000, v6
	s_delay_alu instid0(VALU_DEP_2) | instskip(NEXT) | instid1(VALU_DEP_1)
	v_cmp_eq_u32_e64 s0, 0, v7
	v_cndmask_b32_e64 v118, v118, v6, s0
; %bb.775:                              ;   in Loop: Header=BB434_422 Depth=1
	s_or_b32 exec_lo, exec_lo, s12
	v_lshrrev_b16 v7, 8, v9
	v_mov_b32_e32 v6, 0
	s_mov_b32 s12, exec_lo
	s_delay_alu instid0(VALU_DEP_2)
	v_cmpx_ne_u16_e32 0, v7
	s_cbranch_execz .LBB434_783
; %bb.776:                              ;   in Loop: Header=BB434_422 Depth=1
	v_bfrev_b32_e32 v6, 1
	s_mov_b32 s13, exec_lo
	v_cmpx_ne_u16_e32 0x80, v7
	s_cbranch_execz .LBB434_782
; %bb.777:                              ;   in Loop: Header=BB434_422 Depth=1
	v_and_b32_e32 v7, 0xffff, v7
	v_mov_b32_e32 v6, 0x7f800001
	s_mov_b32 s15, exec_lo
	s_delay_alu instid0(VALU_DEP_2) | instskip(NEXT) | instid1(VALU_DEP_1)
	v_and_b32_e32 v128, 0x7f, v7
	v_cmpx_ne_u32_e32 0x7f, v128
	s_cbranch_execz .LBB434_781
; %bb.778:                              ;   in Loop: Header=BB434_422 Depth=1
	v_dual_mov_b32 v7, v10 :: v_dual_and_b32 v6, 7, v7
	v_lshrrev_b32_e32 v119, 3, v128
	s_mov_b32 s16, exec_lo
	v_cmpx_gt_u32_e32 8, v128
; %bb.779:                              ;   in Loop: Header=BB434_422 Depth=1
	s_delay_alu instid0(VALU_DEP_3) | instskip(NEXT) | instid1(VALU_DEP_1)
	v_clz_i32_u32_e32 v119, v6
	v_min_u32_e32 v119, 32, v119
	s_delay_alu instid0(VALU_DEP_1) | instskip(SKIP_1) | instid1(VALU_DEP_2)
	v_subrev_nc_u32_e32 v128, 28, v119
	v_sub_nc_u32_e32 v119, 29, v119
	v_lshlrev_b64 v[6:7], v128, v[6:7]
	s_delay_alu instid0(VALU_DEP_1)
	v_and_b32_e32 v6, 7, v6
; %bb.780:                              ;   in Loop: Header=BB434_422 Depth=1
	s_or_b32 exec_lo, exec_lo, s16
	v_lshlrev_b32_e32 v7, 16, v9
	s_delay_alu instid0(VALU_DEP_2) | instskip(SKIP_1) | instid1(VALU_DEP_3)
	v_lshlrev_b32_e32 v6, 20, v6
	v_lshl_add_u32 v9, v119, 23, 0x3c000000
	v_and_b32_e32 v7, 0x80000000, v7
	s_delay_alu instid0(VALU_DEP_1)
	v_or3_b32 v6, v6, v7, v9
.LBB434_781:                            ;   in Loop: Header=BB434_422 Depth=1
	s_or_b32 exec_lo, exec_lo, s15
.LBB434_782:                            ;   in Loop: Header=BB434_422 Depth=1
	s_delay_alu instid0(SALU_CYCLE_1)
	s_or_b32 exec_lo, exec_lo, s13
.LBB434_783:                            ;   in Loop: Header=BB434_422 Depth=1
	s_delay_alu instid0(SALU_CYCLE_1) | instskip(NEXT) | instid1(VALU_DEP_1)
	s_or_b32 exec_lo, exec_lo, s12
	v_mul_f32_e32 v7, v8, v6
	s_delay_alu instid0(VALU_DEP_1) | instskip(NEXT) | instid1(VALU_DEP_1)
	v_and_b32_e32 v6, 0x7f800000, v7
	v_cmp_ne_u32_e64 s0, 0x7f800000, v6
                                        ; implicit-def: $vgpr6
	s_delay_alu instid0(VALU_DEP_1) | instskip(NEXT) | instid1(SALU_CYCLE_1)
	s_and_saveexec_b32 s12, s0
	s_xor_b32 s0, exec_lo, s12
; %bb.784:                              ;   in Loop: Header=BB434_422 Depth=1
	v_bfe_u32 v6, v7, 16, 1
	s_delay_alu instid0(VALU_DEP_1)
	v_add3_u32 v6, v7, v6, 0x7fff
                                        ; implicit-def: $vgpr7
; %bb.785:                              ;   in Loop: Header=BB434_422 Depth=1
	s_and_not1_saveexec_b32 s12, s0
; %bb.786:                              ;   in Loop: Header=BB434_422 Depth=1
	v_and_b32_e32 v6, 0xffff, v7
	v_or_b32_e32 v9, 0x10000, v7
	s_delay_alu instid0(VALU_DEP_2) | instskip(NEXT) | instid1(VALU_DEP_1)
	v_cmp_eq_u32_e64 s0, 0, v6
	v_cndmask_b32_e64 v6, v9, v7, s0
; %bb.787:                              ;   in Loop: Header=BB434_422 Depth=1
	s_or_b32 exec_lo, exec_lo, s12
	v_lshrrev_b32_e32 v7, 16, v3
	v_mov_b32_e32 v9, 0
	s_mov_b32 s12, exec_lo
	s_delay_alu instid0(VALU_DEP_2) | instskip(NEXT) | instid1(VALU_DEP_1)
	v_and_b32_e32 v119, 0xff, v7
	v_cmpx_ne_u16_e32 0, v119
	s_cbranch_execz .LBB434_795
; %bb.788:                              ;   in Loop: Header=BB434_422 Depth=1
	v_bfrev_b32_e32 v9, 1
	s_mov_b32 s13, exec_lo
	v_cmpx_ne_u16_e32 0x80, v119
	s_cbranch_execz .LBB434_794
; %bb.789:                              ;   in Loop: Header=BB434_422 Depth=1
	v_bfe_u32 v128, v3, 16, 7
	v_mov_b32_e32 v9, 0x7f800001
	s_mov_b32 s15, exec_lo
	s_delay_alu instid0(VALU_DEP_2)
	v_cmpx_ne_u32_e32 0x7f, v128
	s_cbranch_execz .LBB434_793
; %bb.790:                              ;   in Loop: Header=BB434_422 Depth=1
	v_and_b32_e32 v9, 7, v7
	v_lshrrev_b32_e32 v119, 3, v128
	s_mov_b32 s16, exec_lo
	v_cmpx_gt_u32_e32 8, v128
; %bb.791:                              ;   in Loop: Header=BB434_422 Depth=1
	s_delay_alu instid0(VALU_DEP_3) | instskip(NEXT) | instid1(VALU_DEP_1)
	v_clz_i32_u32_e32 v119, v9
	v_min_u32_e32 v119, 32, v119
	s_delay_alu instid0(VALU_DEP_1) | instskip(SKIP_1) | instid1(VALU_DEP_2)
	v_subrev_nc_u32_e32 v128, 28, v119
	v_sub_nc_u32_e32 v119, 29, v119
	v_lshlrev_b64 v[128:129], v128, v[9:10]
	s_delay_alu instid0(VALU_DEP_1)
	v_and_b32_e32 v9, 7, v128
; %bb.792:                              ;   in Loop: Header=BB434_422 Depth=1
	s_or_b32 exec_lo, exec_lo, s16
	v_lshlrev_b32_e32 v7, 24, v7
	s_delay_alu instid0(VALU_DEP_2) | instskip(SKIP_1) | instid1(VALU_DEP_3)
	v_lshlrev_b32_e32 v9, 20, v9
	v_lshl_add_u32 v119, v119, 23, 0x3c000000
	v_and_b32_e32 v7, 0x80000000, v7
	s_delay_alu instid0(VALU_DEP_1)
	v_or3_b32 v9, v9, v7, v119
.LBB434_793:                            ;   in Loop: Header=BB434_422 Depth=1
	s_or_b32 exec_lo, exec_lo, s15
.LBB434_794:                            ;   in Loop: Header=BB434_422 Depth=1
	s_delay_alu instid0(SALU_CYCLE_1)
	s_or_b32 exec_lo, exec_lo, s13
.LBB434_795:                            ;   in Loop: Header=BB434_422 Depth=1
	s_delay_alu instid0(SALU_CYCLE_1) | instskip(NEXT) | instid1(VALU_DEP_1)
	s_or_b32 exec_lo, exec_lo, s12
	v_mul_f32_e32 v9, v8, v9
	s_delay_alu instid0(VALU_DEP_1) | instskip(NEXT) | instid1(VALU_DEP_1)
	v_and_b32_e32 v7, 0x7f800000, v9
	v_cmp_ne_u32_e64 s0, 0x7f800000, v7
                                        ; implicit-def: $vgpr7
	s_delay_alu instid0(VALU_DEP_1) | instskip(NEXT) | instid1(SALU_CYCLE_1)
	s_and_saveexec_b32 s12, s0
	s_xor_b32 s0, exec_lo, s12
; %bb.796:                              ;   in Loop: Header=BB434_422 Depth=1
	v_bfe_u32 v7, v9, 16, 1
	s_delay_alu instid0(VALU_DEP_1)
	v_add3_u32 v7, v9, v7, 0x7fff
                                        ; implicit-def: $vgpr9
; %bb.797:                              ;   in Loop: Header=BB434_422 Depth=1
	s_and_not1_saveexec_b32 s12, s0
; %bb.798:                              ;   in Loop: Header=BB434_422 Depth=1
	v_and_b32_e32 v7, 0xffff, v9
	v_or_b32_e32 v119, 0x10000, v9
	s_delay_alu instid0(VALU_DEP_2) | instskip(NEXT) | instid1(VALU_DEP_1)
	v_cmp_eq_u32_e64 s0, 0, v7
	v_cndmask_b32_e64 v7, v119, v9, s0
; %bb.799:                              ;   in Loop: Header=BB434_422 Depth=1
	s_or_b32 exec_lo, exec_lo, s12
	v_mov_b32_e32 v9, 0
	s_mov_b32 s12, exec_lo
	v_cmpx_lt_u64_e64 s[8:9], v[2:3]
	s_cbranch_execz .LBB434_807
; %bb.800:                              ;   in Loop: Header=BB434_422 Depth=1
	v_lshrrev_b32_e32 v2, 24, v3
	v_bfrev_b32_e32 v9, 1
	s_mov_b32 s13, exec_lo
	s_delay_alu instid0(VALU_DEP_2)
	v_cmpx_ne_u32_e32 0x80, v2
	s_cbranch_execz .LBB434_806
; %bb.801:                              ;   in Loop: Header=BB434_422 Depth=1
	v_bfe_u32 v119, v3, 24, 7
	v_mov_b32_e32 v9, 0x7f800001
	s_mov_b32 s15, exec_lo
	s_delay_alu instid0(VALU_DEP_2)
	v_cmpx_ne_u32_e32 0x7f, v119
	s_cbranch_execz .LBB434_805
; %bb.802:                              ;   in Loop: Header=BB434_422 Depth=1
	v_and_b32_e32 v9, 7, v2
	v_lshrrev_b32_e32 v3, 3, v119
	s_mov_b32 s16, exec_lo
	v_cmpx_gt_u32_e32 8, v119
; %bb.803:                              ;   in Loop: Header=BB434_422 Depth=1
	s_delay_alu instid0(VALU_DEP_3) | instskip(NEXT) | instid1(VALU_DEP_1)
	v_clz_i32_u32_e32 v3, v9
	v_min_u32_e32 v3, 32, v3
	s_delay_alu instid0(VALU_DEP_1) | instskip(SKIP_1) | instid1(VALU_DEP_2)
	v_subrev_nc_u32_e32 v119, 28, v3
	v_sub_nc_u32_e32 v3, 29, v3
	v_lshlrev_b64 v[128:129], v119, v[9:10]
	s_delay_alu instid0(VALU_DEP_1)
	v_and_b32_e32 v9, 7, v128
; %bb.804:                              ;   in Loop: Header=BB434_422 Depth=1
	s_or_b32 exec_lo, exec_lo, s16
	v_lshlrev_b32_e32 v2, 24, v2
	s_delay_alu instid0(VALU_DEP_2) | instskip(SKIP_1) | instid1(VALU_DEP_3)
	v_lshlrev_b32_e32 v9, 20, v9
	v_lshl_add_u32 v3, v3, 23, 0x3c000000
	v_and_b32_e32 v2, 0x80000000, v2
	s_delay_alu instid0(VALU_DEP_1)
	v_or3_b32 v9, v9, v2, v3
.LBB434_805:                            ;   in Loop: Header=BB434_422 Depth=1
	s_or_b32 exec_lo, exec_lo, s15
.LBB434_806:                            ;   in Loop: Header=BB434_422 Depth=1
	s_delay_alu instid0(SALU_CYCLE_1)
	s_or_b32 exec_lo, exec_lo, s13
.LBB434_807:                            ;   in Loop: Header=BB434_422 Depth=1
	s_delay_alu instid0(SALU_CYCLE_1) | instskip(NEXT) | instid1(VALU_DEP_1)
	s_or_b32 exec_lo, exec_lo, s12
	v_mul_f32_e32 v3, v8, v9
	s_delay_alu instid0(VALU_DEP_1) | instskip(NEXT) | instid1(VALU_DEP_1)
	v_and_b32_e32 v2, 0x7f800000, v3
	v_cmp_ne_u32_e64 s0, 0x7f800000, v2
                                        ; implicit-def: $vgpr2
	s_delay_alu instid0(VALU_DEP_1) | instskip(NEXT) | instid1(SALU_CYCLE_1)
	s_and_saveexec_b32 s12, s0
	s_xor_b32 s0, exec_lo, s12
; %bb.808:                              ;   in Loop: Header=BB434_422 Depth=1
	v_bfe_u32 v2, v3, 16, 1
	s_delay_alu instid0(VALU_DEP_1)
	v_add3_u32 v2, v3, v2, 0x7fff
                                        ; implicit-def: $vgpr3
; %bb.809:                              ;   in Loop: Header=BB434_422 Depth=1
	s_and_not1_saveexec_b32 s12, s0
; %bb.810:                              ;   in Loop: Header=BB434_422 Depth=1
	v_and_b32_e32 v2, 0xffff, v3
	v_or_b32_e32 v9, 0x10000, v3
	s_delay_alu instid0(VALU_DEP_2) | instskip(NEXT) | instid1(VALU_DEP_1)
	v_cmp_eq_u32_e64 s0, 0, v2
	v_cndmask_b32_e64 v2, v9, v3, s0
; %bb.811:                              ;   in Loop: Header=BB434_422 Depth=1
	s_or_b32 exec_lo, exec_lo, s12
	v_lshrrev_b32_e32 v9, 16, v6
	v_lshrrev_b32_e32 v118, 16, v118
	;; [unrolled: 1-line block ×8, first 2 shown]
	s_and_saveexec_b32 s12, vcc_lo
	s_cbranch_execz .LBB434_813
; %bb.812:                              ;   in Loop: Header=BB434_422 Depth=1
	v_cmp_lt_i32_e64 s0, v66, v38
	s_delay_alu instid0(VALU_DEP_1) | instskip(SKIP_1) | instid1(VALU_DEP_1)
	v_cndmask_b32_e64 v6, 0, v6, s0
	v_cmp_lt_i32_e64 s0, v81, v38
	v_cndmask_b32_e64 v115, 0, v115, s0
	v_cmp_lt_i32_e64 s0, v80, v38
	s_delay_alu instid0(VALU_DEP_1) | instskip(SKIP_1) | instid1(VALU_DEP_1)
	v_cndmask_b32_e64 v116, 0, v116, s0
	v_cmp_lt_i32_e64 s0, v71, v38
	v_cndmask_b32_e64 v117, 0, v117, s0
	;; [unrolled: 5-line block ×4, first 2 shown]
.LBB434_813:                            ;   in Loop: Header=BB434_422 Depth=1
	s_or_b32 exec_lo, exec_lo, s12
	v_lshlrev_b32_e32 v6, 16, v6
	s_delay_alu instid0(VALU_DEP_1) | instskip(NEXT) | instid1(VALU_DEP_1)
	v_mul_f32_e32 v7, v82, v6
	v_and_b32_e32 v6, 0x7f800000, v7
	s_delay_alu instid0(VALU_DEP_1) | instskip(NEXT) | instid1(VALU_DEP_1)
	v_cmp_ne_u32_e64 s0, 0x7f800000, v6
                                        ; implicit-def: $vgpr6
	s_and_saveexec_b32 s12, s0
	s_delay_alu instid0(SALU_CYCLE_1)
	s_xor_b32 s0, exec_lo, s12
; %bb.814:                              ;   in Loop: Header=BB434_422 Depth=1
	v_bfe_u32 v6, v7, 16, 1
	s_delay_alu instid0(VALU_DEP_1)
	v_add3_u32 v6, v7, v6, 0x7fff
                                        ; implicit-def: $vgpr7
; %bb.815:                              ;   in Loop: Header=BB434_422 Depth=1
	s_and_not1_saveexec_b32 s12, s0
; %bb.816:                              ;   in Loop: Header=BB434_422 Depth=1
	v_and_b32_e32 v6, 0xffff, v7
	v_or_b32_e32 v114, 0x10000, v7
	s_delay_alu instid0(VALU_DEP_2) | instskip(NEXT) | instid1(VALU_DEP_1)
	v_cmp_eq_u32_e64 s0, 0, v6
	v_cndmask_b32_e64 v6, v114, v7, s0
; %bb.817:                              ;   in Loop: Header=BB434_422 Depth=1
	s_or_b32 exec_lo, exec_lo, s12
	v_lshlrev_b32_e32 v7, 16, v115
	s_delay_alu instid0(VALU_DEP_1) | instskip(NEXT) | instid1(VALU_DEP_1)
	v_mul_f32_e32 v114, v83, v7
	v_and_b32_e32 v7, 0x7f800000, v114
	s_delay_alu instid0(VALU_DEP_1) | instskip(NEXT) | instid1(VALU_DEP_1)
	v_cmp_ne_u32_e64 s0, 0x7f800000, v7
                                        ; implicit-def: $vgpr7
	s_and_saveexec_b32 s12, s0
	s_delay_alu instid0(SALU_CYCLE_1)
	s_xor_b32 s0, exec_lo, s12
; %bb.818:                              ;   in Loop: Header=BB434_422 Depth=1
	v_bfe_u32 v7, v114, 16, 1
	s_delay_alu instid0(VALU_DEP_1)
	v_add3_u32 v7, v114, v7, 0x7fff
                                        ; implicit-def: $vgpr114
; %bb.819:                              ;   in Loop: Header=BB434_422 Depth=1
	s_and_not1_saveexec_b32 s12, s0
; %bb.820:                              ;   in Loop: Header=BB434_422 Depth=1
	v_and_b32_e32 v7, 0xffff, v114
	v_or_b32_e32 v115, 0x10000, v114
	s_delay_alu instid0(VALU_DEP_2) | instskip(NEXT) | instid1(VALU_DEP_1)
	v_cmp_eq_u32_e64 s0, 0, v7
	v_cndmask_b32_e64 v7, v115, v114, s0
; %bb.821:                              ;   in Loop: Header=BB434_422 Depth=1
	s_or_b32 exec_lo, exec_lo, s12
	v_lshlrev_b32_e32 v114, 16, v116
	s_delay_alu instid0(VALU_DEP_1) | instskip(NEXT) | instid1(VALU_DEP_1)
	v_mul_f32_e32 v115, v84, v114
	v_and_b32_e32 v114, 0x7f800000, v115
	s_delay_alu instid0(VALU_DEP_1) | instskip(NEXT) | instid1(VALU_DEP_1)
	v_cmp_ne_u32_e64 s0, 0x7f800000, v114
                                        ; implicit-def: $vgpr114
	s_and_saveexec_b32 s12, s0
	s_delay_alu instid0(SALU_CYCLE_1)
	s_xor_b32 s0, exec_lo, s12
; %bb.822:                              ;   in Loop: Header=BB434_422 Depth=1
	v_bfe_u32 v114, v115, 16, 1
	s_delay_alu instid0(VALU_DEP_1)
	v_add3_u32 v114, v115, v114, 0x7fff
                                        ; implicit-def: $vgpr115
; %bb.823:                              ;   in Loop: Header=BB434_422 Depth=1
	s_and_not1_saveexec_b32 s12, s0
; %bb.824:                              ;   in Loop: Header=BB434_422 Depth=1
	v_and_b32_e32 v114, 0xffff, v115
	v_or_b32_e32 v116, 0x10000, v115
	s_delay_alu instid0(VALU_DEP_2) | instskip(NEXT) | instid1(VALU_DEP_1)
	v_cmp_eq_u32_e64 s0, 0, v114
	v_cndmask_b32_e64 v114, v116, v115, s0
; %bb.825:                              ;   in Loop: Header=BB434_422 Depth=1
	s_or_b32 exec_lo, exec_lo, s12
	v_lshlrev_b32_e32 v115, 16, v117
	s_delay_alu instid0(VALU_DEP_1) | instskip(NEXT) | instid1(VALU_DEP_1)
	v_mul_f32_e32 v116, v85, v115
	v_and_b32_e32 v115, 0x7f800000, v116
	s_delay_alu instid0(VALU_DEP_1) | instskip(NEXT) | instid1(VALU_DEP_1)
	v_cmp_ne_u32_e64 s0, 0x7f800000, v115
                                        ; implicit-def: $vgpr115
	s_and_saveexec_b32 s12, s0
	s_delay_alu instid0(SALU_CYCLE_1)
	s_xor_b32 s0, exec_lo, s12
; %bb.826:                              ;   in Loop: Header=BB434_422 Depth=1
	v_bfe_u32 v115, v116, 16, 1
	s_delay_alu instid0(VALU_DEP_1)
	v_add3_u32 v115, v116, v115, 0x7fff
                                        ; implicit-def: $vgpr116
; %bb.827:                              ;   in Loop: Header=BB434_422 Depth=1
	s_and_not1_saveexec_b32 s12, s0
; %bb.828:                              ;   in Loop: Header=BB434_422 Depth=1
	v_and_b32_e32 v115, 0xffff, v116
	v_or_b32_e32 v117, 0x10000, v116
	s_delay_alu instid0(VALU_DEP_2) | instskip(NEXT) | instid1(VALU_DEP_1)
	v_cmp_eq_u32_e64 s0, 0, v115
	v_cndmask_b32_e64 v115, v117, v116, s0
; %bb.829:                              ;   in Loop: Header=BB434_422 Depth=1
	s_or_b32 exec_lo, exec_lo, s12
	v_lshlrev_b32_e32 v116, 16, v118
	s_delay_alu instid0(VALU_DEP_1) | instskip(NEXT) | instid1(VALU_DEP_1)
	v_mul_f32_e32 v117, v86, v116
	v_and_b32_e32 v116, 0x7f800000, v117
	s_delay_alu instid0(VALU_DEP_1) | instskip(NEXT) | instid1(VALU_DEP_1)
	v_cmp_ne_u32_e64 s0, 0x7f800000, v116
                                        ; implicit-def: $vgpr116
	s_and_saveexec_b32 s12, s0
	s_delay_alu instid0(SALU_CYCLE_1)
	s_xor_b32 s0, exec_lo, s12
; %bb.830:                              ;   in Loop: Header=BB434_422 Depth=1
	v_bfe_u32 v116, v117, 16, 1
	s_delay_alu instid0(VALU_DEP_1)
	v_add3_u32 v116, v117, v116, 0x7fff
                                        ; implicit-def: $vgpr117
; %bb.831:                              ;   in Loop: Header=BB434_422 Depth=1
	s_and_not1_saveexec_b32 s12, s0
; %bb.832:                              ;   in Loop: Header=BB434_422 Depth=1
	v_and_b32_e32 v116, 0xffff, v117
	v_or_b32_e32 v118, 0x10000, v117
	s_delay_alu instid0(VALU_DEP_2) | instskip(NEXT) | instid1(VALU_DEP_1)
	v_cmp_eq_u32_e64 s0, 0, v116
	v_cndmask_b32_e64 v116, v118, v117, s0
; %bb.833:                              ;   in Loop: Header=BB434_422 Depth=1
	s_or_b32 exec_lo, exec_lo, s12
	v_lshlrev_b32_e32 v9, 16, v9
	s_delay_alu instid0(VALU_DEP_1) | instskip(NEXT) | instid1(VALU_DEP_1)
	v_mul_f32_e32 v9, v87, v9
	v_and_b32_e32 v117, 0x7f800000, v9
	s_delay_alu instid0(VALU_DEP_1) | instskip(NEXT) | instid1(VALU_DEP_1)
	v_cmp_ne_u32_e64 s0, 0x7f800000, v117
                                        ; implicit-def: $vgpr117
	s_and_saveexec_b32 s12, s0
	s_delay_alu instid0(SALU_CYCLE_1)
	s_xor_b32 s0, exec_lo, s12
; %bb.834:                              ;   in Loop: Header=BB434_422 Depth=1
	v_bfe_u32 v117, v9, 16, 1
	s_delay_alu instid0(VALU_DEP_1)
	v_add3_u32 v117, v9, v117, 0x7fff
                                        ; implicit-def: $vgpr9
; %bb.835:                              ;   in Loop: Header=BB434_422 Depth=1
	s_and_not1_saveexec_b32 s12, s0
; %bb.836:                              ;   in Loop: Header=BB434_422 Depth=1
	v_and_b32_e32 v117, 0xffff, v9
	v_or_b32_e32 v118, 0x10000, v9
	s_delay_alu instid0(VALU_DEP_2) | instskip(NEXT) | instid1(VALU_DEP_1)
	v_cmp_eq_u32_e64 s0, 0, v117
	v_cndmask_b32_e64 v117, v118, v9, s0
; %bb.837:                              ;   in Loop: Header=BB434_422 Depth=1
	s_or_b32 exec_lo, exec_lo, s12
	v_lshlrev_b32_e32 v3, 16, v3
                                        ; implicit-def: $vgpr118
	s_delay_alu instid0(VALU_DEP_1) | instskip(NEXT) | instid1(VALU_DEP_1)
	v_mul_f32_e32 v3, v96, v3
	v_and_b32_e32 v9, 0x7f800000, v3
	s_delay_alu instid0(VALU_DEP_1) | instskip(NEXT) | instid1(VALU_DEP_1)
	v_cmp_ne_u32_e64 s0, 0x7f800000, v9
	s_and_saveexec_b32 s12, s0
	s_delay_alu instid0(SALU_CYCLE_1)
	s_xor_b32 s0, exec_lo, s12
; %bb.838:                              ;   in Loop: Header=BB434_422 Depth=1
	v_bfe_u32 v9, v3, 16, 1
	s_delay_alu instid0(VALU_DEP_1)
	v_add3_u32 v118, v3, v9, 0x7fff
                                        ; implicit-def: $vgpr3
; %bb.839:                              ;   in Loop: Header=BB434_422 Depth=1
	s_and_not1_saveexec_b32 s12, s0
; %bb.840:                              ;   in Loop: Header=BB434_422 Depth=1
	v_and_b32_e32 v9, 0xffff, v3
	v_or_b32_e32 v118, 0x10000, v3
	s_delay_alu instid0(VALU_DEP_2) | instskip(NEXT) | instid1(VALU_DEP_1)
	v_cmp_eq_u32_e64 s0, 0, v9
	v_cndmask_b32_e64 v118, v118, v3, s0
; %bb.841:                              ;   in Loop: Header=BB434_422 Depth=1
	s_or_b32 exec_lo, exec_lo, s12
	v_lshlrev_b32_e32 v2, 16, v2
                                        ; implicit-def: $vgpr119
	s_delay_alu instid0(VALU_DEP_1) | instskip(NEXT) | instid1(VALU_DEP_1)
	v_mul_f32_e32 v2, v97, v2
	v_and_b32_e32 v3, 0x7f800000, v2
	s_delay_alu instid0(VALU_DEP_1) | instskip(NEXT) | instid1(VALU_DEP_1)
	v_cmp_ne_u32_e64 s0, 0x7f800000, v3
	s_and_saveexec_b32 s12, s0
	s_delay_alu instid0(SALU_CYCLE_1)
	s_xor_b32 s0, exec_lo, s12
; %bb.842:                              ;   in Loop: Header=BB434_422 Depth=1
	v_bfe_u32 v3, v2, 16, 1
	s_delay_alu instid0(VALU_DEP_1)
	v_add3_u32 v119, v2, v3, 0x7fff
                                        ; implicit-def: $vgpr2
; %bb.843:                              ;   in Loop: Header=BB434_422 Depth=1
	s_and_not1_saveexec_b32 s12, s0
; %bb.844:                              ;   in Loop: Header=BB434_422 Depth=1
	v_and_b32_e32 v3, 0xffff, v2
	v_or_b32_e32 v9, 0x10000, v2
	s_delay_alu instid0(VALU_DEP_2) | instskip(NEXT) | instid1(VALU_DEP_1)
	v_cmp_eq_u32_e64 s0, 0, v3
	v_cndmask_b32_e64 v119, v9, v2, s0
; %bb.845:                              ;   in Loop: Header=BB434_422 Depth=1
	s_or_b32 exec_lo, exec_lo, s12
	flat_load_b64 v[0:1], v[0:1] offset:768
	s_mov_b32 s12, exec_lo
	s_waitcnt vmcnt(0) lgkmcnt(0)
	v_dual_mov_b32 v2, 0 :: v_dual_and_b32 v3, 0xff, v0
	s_delay_alu instid0(VALU_DEP_1)
	v_cmpx_ne_u16_e32 0, v3
	s_cbranch_execz .LBB434_853
; %bb.846:                              ;   in Loop: Header=BB434_422 Depth=1
	v_bfrev_b32_e32 v2, 1
	s_mov_b32 s13, exec_lo
	v_cmpx_ne_u16_e32 0x80, v3
	s_cbranch_execz .LBB434_852
; %bb.847:                              ;   in Loop: Header=BB434_422 Depth=1
	v_and_b32_e32 v3, 0x7f, v0
	v_mov_b32_e32 v2, 0x7f800001
	s_mov_b32 s15, exec_lo
	s_delay_alu instid0(VALU_DEP_2)
	v_cmpx_ne_u32_e32 0x7f, v3
	s_cbranch_execz .LBB434_851
; %bb.848:                              ;   in Loop: Header=BB434_422 Depth=1
	v_lshrrev_b32_e32 v9, 3, v3
	v_cmp_gt_u32_e64 s0, 8, v3
	v_dual_mov_b32 v3, v1 :: v_dual_mov_b32 v2, v0
	s_delay_alu instid0(VALU_DEP_2)
	s_and_saveexec_b32 s16, s0
; %bb.849:                              ;   in Loop: Header=BB434_422 Depth=1
	v_and_b32_e32 v2, 7, v0
	s_delay_alu instid0(VALU_DEP_1) | instskip(NEXT) | instid1(VALU_DEP_1)
	v_clz_i32_u32_e32 v2, v2
	v_min_u32_e32 v9, 32, v2
	s_delay_alu instid0(VALU_DEP_1) | instskip(SKIP_1) | instid1(VALU_DEP_2)
	v_subrev_nc_u32_e32 v2, 28, v9
	v_sub_nc_u32_e32 v9, 29, v9
	v_lshlrev_b64 v[2:3], v2, v[0:1]
; %bb.850:                              ;   in Loop: Header=BB434_422 Depth=1
	s_or_b32 exec_lo, exec_lo, s16
	s_delay_alu instid0(VALU_DEP_1) | instskip(SKIP_2) | instid1(VALU_DEP_3)
	v_lshlrev_b32_e32 v2, 20, v2
	v_lshlrev_b32_e32 v3, 24, v0
	v_lshl_add_u32 v9, v9, 23, 0x3c000000
	v_and_b32_e32 v2, 0x700000, v2
	s_delay_alu instid0(VALU_DEP_3) | instskip(NEXT) | instid1(VALU_DEP_1)
	v_and_b32_e32 v3, 0x80000000, v3
	v_or3_b32 v2, v2, v3, v9
.LBB434_851:                            ;   in Loop: Header=BB434_422 Depth=1
	s_or_b32 exec_lo, exec_lo, s15
.LBB434_852:                            ;   in Loop: Header=BB434_422 Depth=1
	s_delay_alu instid0(SALU_CYCLE_1)
	s_or_b32 exec_lo, exec_lo, s13
.LBB434_853:                            ;   in Loop: Header=BB434_422 Depth=1
	s_delay_alu instid0(SALU_CYCLE_1) | instskip(NEXT) | instid1(VALU_DEP_1)
	s_or_b32 exec_lo, exec_lo, s12
	v_mul_f32_e32 v2, v8, v2
                                        ; implicit-def: $vgpr128
	s_delay_alu instid0(VALU_DEP_1) | instskip(NEXT) | instid1(VALU_DEP_1)
	v_and_b32_e32 v3, 0x7f800000, v2
	v_cmp_ne_u32_e64 s0, 0x7f800000, v3
	s_delay_alu instid0(VALU_DEP_1) | instskip(NEXT) | instid1(SALU_CYCLE_1)
	s_and_saveexec_b32 s12, s0
	s_xor_b32 s0, exec_lo, s12
; %bb.854:                              ;   in Loop: Header=BB434_422 Depth=1
	v_bfe_u32 v3, v2, 16, 1
	s_delay_alu instid0(VALU_DEP_1)
	v_add3_u32 v128, v2, v3, 0x7fff
                                        ; implicit-def: $vgpr2
; %bb.855:                              ;   in Loop: Header=BB434_422 Depth=1
	s_and_not1_saveexec_b32 s12, s0
; %bb.856:                              ;   in Loop: Header=BB434_422 Depth=1
	v_and_b32_e32 v3, 0xffff, v2
	v_or_b32_e32 v9, 0x10000, v2
	s_delay_alu instid0(VALU_DEP_2) | instskip(NEXT) | instid1(VALU_DEP_1)
	v_cmp_eq_u32_e64 s0, 0, v3
	v_cndmask_b32_e64 v128, v9, v2, s0
; %bb.857:                              ;   in Loop: Header=BB434_422 Depth=1
	s_or_b32 exec_lo, exec_lo, s12
	v_lshrrev_b16 v3, 8, v0
	v_mov_b32_e32 v2, 0
	s_mov_b32 s12, exec_lo
	s_delay_alu instid0(VALU_DEP_2)
	v_cmpx_ne_u16_e32 0, v3
	s_cbranch_execz .LBB434_865
; %bb.858:                              ;   in Loop: Header=BB434_422 Depth=1
	v_bfrev_b32_e32 v2, 1
	s_mov_b32 s13, exec_lo
	v_cmpx_ne_u16_e32 0x80, v3
	s_cbranch_execz .LBB434_864
; %bb.859:                              ;   in Loop: Header=BB434_422 Depth=1
	v_and_b32_e32 v9, 0xffff, v3
	v_mov_b32_e32 v2, 0x7f800001
	s_mov_b32 s15, exec_lo
	s_delay_alu instid0(VALU_DEP_2) | instskip(NEXT) | instid1(VALU_DEP_1)
	v_and_b32_e32 v3, 0x7f, v9
	v_cmpx_ne_u32_e32 0x7f, v3
	s_cbranch_execz .LBB434_863
; %bb.860:                              ;   in Loop: Header=BB434_422 Depth=1
	v_and_b32_e32 v9, 7, v9
	v_lshrrev_b32_e32 v2, 3, v3
	s_mov_b32 s16, exec_lo
	v_cmpx_gt_u32_e32 8, v3
; %bb.861:                              ;   in Loop: Header=BB434_422 Depth=1
	s_delay_alu instid0(VALU_DEP_3) | instskip(NEXT) | instid1(VALU_DEP_1)
	v_clz_i32_u32_e32 v2, v9
	v_min_u32_e32 v2, 32, v2
	s_delay_alu instid0(VALU_DEP_1) | instskip(SKIP_1) | instid1(VALU_DEP_2)
	v_subrev_nc_u32_e32 v3, 28, v2
	v_sub_nc_u32_e32 v2, 29, v2
	v_lshlrev_b64 v[129:130], v3, v[9:10]
	s_delay_alu instid0(VALU_DEP_1)
	v_and_b32_e32 v9, 7, v129
; %bb.862:                              ;   in Loop: Header=BB434_422 Depth=1
	s_or_b32 exec_lo, exec_lo, s16
	v_lshlrev_b32_e32 v3, 16, v0
	s_delay_alu instid0(VALU_DEP_2) | instskip(SKIP_1) | instid1(VALU_DEP_3)
	v_lshlrev_b32_e32 v9, 20, v9
	v_lshl_add_u32 v2, v2, 23, 0x3c000000
	v_and_b32_e32 v3, 0x80000000, v3
	s_delay_alu instid0(VALU_DEP_1)
	v_or3_b32 v2, v9, v3, v2
.LBB434_863:                            ;   in Loop: Header=BB434_422 Depth=1
	s_or_b32 exec_lo, exec_lo, s15
.LBB434_864:                            ;   in Loop: Header=BB434_422 Depth=1
	s_delay_alu instid0(SALU_CYCLE_1)
	s_or_b32 exec_lo, exec_lo, s13
.LBB434_865:                            ;   in Loop: Header=BB434_422 Depth=1
	s_delay_alu instid0(SALU_CYCLE_1) | instskip(NEXT) | instid1(VALU_DEP_1)
	s_or_b32 exec_lo, exec_lo, s12
	v_mul_f32_e32 v2, v8, v2
                                        ; implicit-def: $vgpr129
	s_delay_alu instid0(VALU_DEP_1) | instskip(NEXT) | instid1(VALU_DEP_1)
	v_and_b32_e32 v3, 0x7f800000, v2
	v_cmp_ne_u32_e64 s0, 0x7f800000, v3
	s_delay_alu instid0(VALU_DEP_1) | instskip(NEXT) | instid1(SALU_CYCLE_1)
	s_and_saveexec_b32 s12, s0
	s_xor_b32 s0, exec_lo, s12
; %bb.866:                              ;   in Loop: Header=BB434_422 Depth=1
	v_bfe_u32 v3, v2, 16, 1
	s_delay_alu instid0(VALU_DEP_1)
	v_add3_u32 v129, v2, v3, 0x7fff
                                        ; implicit-def: $vgpr2
; %bb.867:                              ;   in Loop: Header=BB434_422 Depth=1
	s_and_not1_saveexec_b32 s12, s0
; %bb.868:                              ;   in Loop: Header=BB434_422 Depth=1
	v_and_b32_e32 v3, 0xffff, v2
	v_or_b32_e32 v9, 0x10000, v2
	s_delay_alu instid0(VALU_DEP_2) | instskip(NEXT) | instid1(VALU_DEP_1)
	v_cmp_eq_u32_e64 s0, 0, v3
	v_cndmask_b32_e64 v129, v9, v2, s0
; %bb.869:                              ;   in Loop: Header=BB434_422 Depth=1
	s_or_b32 exec_lo, exec_lo, s12
	v_lshrrev_b32_e32 v2, 16, v0
	v_mov_b32_e32 v3, 0
	s_mov_b32 s12, exec_lo
	s_delay_alu instid0(VALU_DEP_2) | instskip(NEXT) | instid1(VALU_DEP_1)
	v_and_b32_e32 v9, 0xff, v2
	v_cmpx_ne_u16_e32 0, v9
	s_cbranch_execz .LBB434_877
; %bb.870:                              ;   in Loop: Header=BB434_422 Depth=1
	v_bfrev_b32_e32 v3, 1
	s_mov_b32 s13, exec_lo
	v_cmpx_ne_u16_e32 0x80, v9
	s_cbranch_execz .LBB434_876
; %bb.871:                              ;   in Loop: Header=BB434_422 Depth=1
	v_bfe_u32 v130, v0, 16, 7
	v_mov_b32_e32 v3, 0x7f800001
	s_mov_b32 s15, exec_lo
	s_delay_alu instid0(VALU_DEP_2)
	v_cmpx_ne_u32_e32 0x7f, v130
	s_cbranch_execz .LBB434_875
; %bb.872:                              ;   in Loop: Header=BB434_422 Depth=1
	v_and_b32_e32 v9, 7, v2
	v_lshrrev_b32_e32 v3, 3, v130
	s_mov_b32 s16, exec_lo
	v_cmpx_gt_u32_e32 8, v130
; %bb.873:                              ;   in Loop: Header=BB434_422 Depth=1
	s_delay_alu instid0(VALU_DEP_3) | instskip(NEXT) | instid1(VALU_DEP_1)
	v_clz_i32_u32_e32 v3, v9
	v_min_u32_e32 v3, 32, v3
	s_delay_alu instid0(VALU_DEP_1) | instskip(SKIP_1) | instid1(VALU_DEP_2)
	v_subrev_nc_u32_e32 v130, 28, v3
	v_sub_nc_u32_e32 v3, 29, v3
	v_lshlrev_b64 v[130:131], v130, v[9:10]
	s_delay_alu instid0(VALU_DEP_1)
	v_and_b32_e32 v9, 7, v130
; %bb.874:                              ;   in Loop: Header=BB434_422 Depth=1
	s_or_b32 exec_lo, exec_lo, s16
	v_lshlrev_b32_e32 v2, 24, v2
	s_delay_alu instid0(VALU_DEP_2) | instskip(SKIP_1) | instid1(VALU_DEP_3)
	v_lshlrev_b32_e32 v9, 20, v9
	v_lshl_add_u32 v3, v3, 23, 0x3c000000
	v_and_b32_e32 v2, 0x80000000, v2
	s_delay_alu instid0(VALU_DEP_1)
	v_or3_b32 v3, v9, v2, v3
.LBB434_875:                            ;   in Loop: Header=BB434_422 Depth=1
	s_or_b32 exec_lo, exec_lo, s15
.LBB434_876:                            ;   in Loop: Header=BB434_422 Depth=1
	s_delay_alu instid0(SALU_CYCLE_1)
	s_or_b32 exec_lo, exec_lo, s13
.LBB434_877:                            ;   in Loop: Header=BB434_422 Depth=1
	s_delay_alu instid0(SALU_CYCLE_1) | instskip(NEXT) | instid1(VALU_DEP_1)
	s_or_b32 exec_lo, exec_lo, s12
	v_mul_f32_e32 v2, v8, v3
                                        ; implicit-def: $vgpr130
	s_delay_alu instid0(VALU_DEP_1) | instskip(NEXT) | instid1(VALU_DEP_1)
	v_and_b32_e32 v3, 0x7f800000, v2
	v_cmp_ne_u32_e64 s0, 0x7f800000, v3
	s_delay_alu instid0(VALU_DEP_1) | instskip(NEXT) | instid1(SALU_CYCLE_1)
	s_and_saveexec_b32 s12, s0
	s_xor_b32 s0, exec_lo, s12
; %bb.878:                              ;   in Loop: Header=BB434_422 Depth=1
	v_bfe_u32 v3, v2, 16, 1
	s_delay_alu instid0(VALU_DEP_1)
	v_add3_u32 v130, v2, v3, 0x7fff
                                        ; implicit-def: $vgpr2
; %bb.879:                              ;   in Loop: Header=BB434_422 Depth=1
	s_and_not1_saveexec_b32 s12, s0
; %bb.880:                              ;   in Loop: Header=BB434_422 Depth=1
	v_and_b32_e32 v3, 0xffff, v2
	v_or_b32_e32 v9, 0x10000, v2
	s_delay_alu instid0(VALU_DEP_2) | instskip(NEXT) | instid1(VALU_DEP_1)
	v_cmp_eq_u32_e64 s0, 0, v3
	v_cndmask_b32_e64 v130, v9, v2, s0
; %bb.881:                              ;   in Loop: Header=BB434_422 Depth=1
	s_or_b32 exec_lo, exec_lo, s12
	v_mov_b32_e32 v3, 0
	s_mov_b32 s12, exec_lo
	v_cmpx_lt_u32_e32 0xffffff, v0
	s_cbranch_execz .LBB434_889
; %bb.882:                              ;   in Loop: Header=BB434_422 Depth=1
	v_lshrrev_b32_e32 v2, 24, v0
	v_bfrev_b32_e32 v3, 1
	s_mov_b32 s13, exec_lo
	s_delay_alu instid0(VALU_DEP_2)
	v_cmpx_ne_u32_e32 0x80, v2
	s_cbranch_execz .LBB434_888
; %bb.883:                              ;   in Loop: Header=BB434_422 Depth=1
	v_bfe_u32 v131, v0, 24, 7
	v_mov_b32_e32 v3, 0x7f800001
	s_mov_b32 s15, exec_lo
	s_delay_alu instid0(VALU_DEP_2)
	v_cmpx_ne_u32_e32 0x7f, v131
	s_cbranch_execz .LBB434_887
; %bb.884:                              ;   in Loop: Header=BB434_422 Depth=1
	v_and_b32_e32 v9, 7, v2
	v_lshrrev_b32_e32 v3, 3, v131
	s_mov_b32 s16, exec_lo
	v_cmpx_gt_u32_e32 8, v131
; %bb.885:                              ;   in Loop: Header=BB434_422 Depth=1
	s_delay_alu instid0(VALU_DEP_3) | instskip(NEXT) | instid1(VALU_DEP_1)
	v_clz_i32_u32_e32 v3, v9
	v_min_u32_e32 v3, 32, v3
	s_delay_alu instid0(VALU_DEP_1) | instskip(SKIP_1) | instid1(VALU_DEP_2)
	v_subrev_nc_u32_e32 v131, 28, v3
	v_sub_nc_u32_e32 v3, 29, v3
	v_lshlrev_b64 v[131:132], v131, v[9:10]
	s_delay_alu instid0(VALU_DEP_1)
	v_and_b32_e32 v9, 7, v131
; %bb.886:                              ;   in Loop: Header=BB434_422 Depth=1
	s_or_b32 exec_lo, exec_lo, s16
	v_lshlrev_b32_e32 v2, 24, v2
	s_delay_alu instid0(VALU_DEP_2) | instskip(SKIP_1) | instid1(VALU_DEP_3)
	v_lshlrev_b32_e32 v9, 20, v9
	v_lshl_add_u32 v3, v3, 23, 0x3c000000
	v_and_b32_e32 v2, 0x80000000, v2
	s_delay_alu instid0(VALU_DEP_1)
	v_or3_b32 v3, v9, v2, v3
.LBB434_887:                            ;   in Loop: Header=BB434_422 Depth=1
	s_or_b32 exec_lo, exec_lo, s15
.LBB434_888:                            ;   in Loop: Header=BB434_422 Depth=1
	s_delay_alu instid0(SALU_CYCLE_1)
	s_or_b32 exec_lo, exec_lo, s13
.LBB434_889:                            ;   in Loop: Header=BB434_422 Depth=1
	s_delay_alu instid0(SALU_CYCLE_1) | instskip(NEXT) | instid1(VALU_DEP_1)
	s_or_b32 exec_lo, exec_lo, s12
	v_mul_f32_e32 v2, v8, v3
                                        ; implicit-def: $vgpr131
	s_delay_alu instid0(VALU_DEP_1) | instskip(NEXT) | instid1(VALU_DEP_1)
	v_and_b32_e32 v3, 0x7f800000, v2
	v_cmp_ne_u32_e64 s0, 0x7f800000, v3
	s_delay_alu instid0(VALU_DEP_1) | instskip(NEXT) | instid1(SALU_CYCLE_1)
	s_and_saveexec_b32 s12, s0
	s_xor_b32 s0, exec_lo, s12
; %bb.890:                              ;   in Loop: Header=BB434_422 Depth=1
	v_bfe_u32 v3, v2, 16, 1
	s_delay_alu instid0(VALU_DEP_1)
	v_add3_u32 v131, v2, v3, 0x7fff
                                        ; implicit-def: $vgpr2
; %bb.891:                              ;   in Loop: Header=BB434_422 Depth=1
	s_and_not1_saveexec_b32 s12, s0
; %bb.892:                              ;   in Loop: Header=BB434_422 Depth=1
	v_and_b32_e32 v3, 0xffff, v2
	v_or_b32_e32 v9, 0x10000, v2
	s_delay_alu instid0(VALU_DEP_2) | instskip(NEXT) | instid1(VALU_DEP_1)
	v_cmp_eq_u32_e64 s0, 0, v3
	v_cndmask_b32_e64 v131, v9, v2, s0
; %bb.893:                              ;   in Loop: Header=BB434_422 Depth=1
	s_or_b32 exec_lo, exec_lo, s12
	v_dual_mov_b32 v2, 0 :: v_dual_and_b32 v3, 0xff, v1
	v_mov_b32_e32 v9, v1
	s_mov_b32 s12, exec_lo
	s_delay_alu instid0(VALU_DEP_2)
	v_cmpx_ne_u16_e32 0, v3
	s_cbranch_execz .LBB434_901
; %bb.894:                              ;   in Loop: Header=BB434_422 Depth=1
	v_bfrev_b32_e32 v2, 1
	s_mov_b32 s13, exec_lo
	v_cmpx_ne_u16_e32 0x80, v3
	s_cbranch_execz .LBB434_900
; %bb.895:                              ;   in Loop: Header=BB434_422 Depth=1
	v_and_b32_e32 v3, 0x7f, v1
	v_mov_b32_e32 v2, 0x7f800001
	s_mov_b32 s15, exec_lo
	s_delay_alu instid0(VALU_DEP_2)
	v_cmpx_ne_u32_e32 0x7f, v3
	s_cbranch_execz .LBB434_899
; %bb.896:                              ;   in Loop: Header=BB434_422 Depth=1
	v_lshrrev_b32_e32 v132, 3, v3
	v_cmp_gt_u32_e64 s0, 8, v3
	v_dual_mov_b32 v2, v9 :: v_dual_mov_b32 v3, v10
	s_delay_alu instid0(VALU_DEP_2)
	s_and_saveexec_b32 s16, s0
; %bb.897:                              ;   in Loop: Header=BB434_422 Depth=1
	v_and_b32_e32 v2, 7, v1
	s_delay_alu instid0(VALU_DEP_1) | instskip(NEXT) | instid1(VALU_DEP_1)
	v_clz_i32_u32_e32 v2, v2
	v_min_u32_e32 v132, 32, v2
	s_delay_alu instid0(VALU_DEP_1) | instskip(SKIP_1) | instid1(VALU_DEP_2)
	v_subrev_nc_u32_e32 v2, 28, v132
	v_sub_nc_u32_e32 v132, 29, v132
	v_lshlrev_b64 v[2:3], v2, v[9:10]
; %bb.898:                              ;   in Loop: Header=BB434_422 Depth=1
	s_or_b32 exec_lo, exec_lo, s16
	s_delay_alu instid0(VALU_DEP_1) | instskip(SKIP_2) | instid1(VALU_DEP_3)
	v_lshlrev_b32_e32 v2, 20, v2
	v_lshlrev_b32_e32 v3, 24, v9
	v_lshl_add_u32 v132, v132, 23, 0x3c000000
	v_and_b32_e32 v2, 0x700000, v2
	s_delay_alu instid0(VALU_DEP_3) | instskip(NEXT) | instid1(VALU_DEP_1)
	v_and_b32_e32 v3, 0x80000000, v3
	v_or3_b32 v2, v2, v3, v132
.LBB434_899:                            ;   in Loop: Header=BB434_422 Depth=1
	s_or_b32 exec_lo, exec_lo, s15
.LBB434_900:                            ;   in Loop: Header=BB434_422 Depth=1
	s_delay_alu instid0(SALU_CYCLE_1)
	s_or_b32 exec_lo, exec_lo, s13
.LBB434_901:                            ;   in Loop: Header=BB434_422 Depth=1
	s_delay_alu instid0(SALU_CYCLE_1) | instskip(NEXT) | instid1(VALU_DEP_1)
	s_or_b32 exec_lo, exec_lo, s12
	v_mul_f32_e32 v2, v8, v2
                                        ; implicit-def: $vgpr132
	s_delay_alu instid0(VALU_DEP_1) | instskip(NEXT) | instid1(VALU_DEP_1)
	v_and_b32_e32 v3, 0x7f800000, v2
	v_cmp_ne_u32_e64 s0, 0x7f800000, v3
	s_delay_alu instid0(VALU_DEP_1) | instskip(NEXT) | instid1(SALU_CYCLE_1)
	s_and_saveexec_b32 s12, s0
	s_xor_b32 s0, exec_lo, s12
; %bb.902:                              ;   in Loop: Header=BB434_422 Depth=1
	v_bfe_u32 v3, v2, 16, 1
	s_delay_alu instid0(VALU_DEP_1)
	v_add3_u32 v132, v2, v3, 0x7fff
                                        ; implicit-def: $vgpr2
; %bb.903:                              ;   in Loop: Header=BB434_422 Depth=1
	s_and_not1_saveexec_b32 s12, s0
; %bb.904:                              ;   in Loop: Header=BB434_422 Depth=1
	v_and_b32_e32 v3, 0xffff, v2
	v_or_b32_e32 v132, 0x10000, v2
	s_delay_alu instid0(VALU_DEP_2) | instskip(NEXT) | instid1(VALU_DEP_1)
	v_cmp_eq_u32_e64 s0, 0, v3
	v_cndmask_b32_e64 v132, v132, v2, s0
; %bb.905:                              ;   in Loop: Header=BB434_422 Depth=1
	s_or_b32 exec_lo, exec_lo, s12
	v_lshrrev_b16 v3, 8, v9
	v_mov_b32_e32 v2, 0
	s_mov_b32 s12, exec_lo
	s_delay_alu instid0(VALU_DEP_2)
	v_cmpx_ne_u16_e32 0, v3
	s_cbranch_execz .LBB434_913
; %bb.906:                              ;   in Loop: Header=BB434_422 Depth=1
	v_bfrev_b32_e32 v2, 1
	s_mov_b32 s13, exec_lo
	v_cmpx_ne_u16_e32 0x80, v3
	s_cbranch_execz .LBB434_912
; %bb.907:                              ;   in Loop: Header=BB434_422 Depth=1
	v_and_b32_e32 v3, 0xffff, v3
	v_mov_b32_e32 v2, 0x7f800001
	s_mov_b32 s15, exec_lo
	s_delay_alu instid0(VALU_DEP_2) | instskip(NEXT) | instid1(VALU_DEP_1)
	v_and_b32_e32 v134, 0x7f, v3
	v_cmpx_ne_u32_e32 0x7f, v134
	s_cbranch_execz .LBB434_911
; %bb.908:                              ;   in Loop: Header=BB434_422 Depth=1
	v_dual_mov_b32 v3, v10 :: v_dual_and_b32 v2, 7, v3
	v_lshrrev_b32_e32 v133, 3, v134
	s_mov_b32 s16, exec_lo
	v_cmpx_gt_u32_e32 8, v134
; %bb.909:                              ;   in Loop: Header=BB434_422 Depth=1
	s_delay_alu instid0(VALU_DEP_3) | instskip(NEXT) | instid1(VALU_DEP_1)
	v_clz_i32_u32_e32 v133, v2
	v_min_u32_e32 v133, 32, v133
	s_delay_alu instid0(VALU_DEP_1) | instskip(SKIP_1) | instid1(VALU_DEP_2)
	v_subrev_nc_u32_e32 v134, 28, v133
	v_sub_nc_u32_e32 v133, 29, v133
	v_lshlrev_b64 v[2:3], v134, v[2:3]
	s_delay_alu instid0(VALU_DEP_1)
	v_and_b32_e32 v2, 7, v2
; %bb.910:                              ;   in Loop: Header=BB434_422 Depth=1
	s_or_b32 exec_lo, exec_lo, s16
	v_lshlrev_b32_e32 v3, 16, v9
	s_delay_alu instid0(VALU_DEP_2) | instskip(SKIP_1) | instid1(VALU_DEP_3)
	v_lshlrev_b32_e32 v2, 20, v2
	v_lshl_add_u32 v9, v133, 23, 0x3c000000
	v_and_b32_e32 v3, 0x80000000, v3
	s_delay_alu instid0(VALU_DEP_1)
	v_or3_b32 v2, v2, v3, v9
.LBB434_911:                            ;   in Loop: Header=BB434_422 Depth=1
	s_or_b32 exec_lo, exec_lo, s15
.LBB434_912:                            ;   in Loop: Header=BB434_422 Depth=1
	s_delay_alu instid0(SALU_CYCLE_1)
	s_or_b32 exec_lo, exec_lo, s13
.LBB434_913:                            ;   in Loop: Header=BB434_422 Depth=1
	s_delay_alu instid0(SALU_CYCLE_1) | instskip(NEXT) | instid1(VALU_DEP_1)
	s_or_b32 exec_lo, exec_lo, s12
	v_mul_f32_e32 v3, v8, v2
	s_delay_alu instid0(VALU_DEP_1) | instskip(NEXT) | instid1(VALU_DEP_1)
	v_and_b32_e32 v2, 0x7f800000, v3
	v_cmp_ne_u32_e64 s0, 0x7f800000, v2
                                        ; implicit-def: $vgpr2
	s_delay_alu instid0(VALU_DEP_1) | instskip(NEXT) | instid1(SALU_CYCLE_1)
	s_and_saveexec_b32 s12, s0
	s_xor_b32 s0, exec_lo, s12
; %bb.914:                              ;   in Loop: Header=BB434_422 Depth=1
	v_bfe_u32 v2, v3, 16, 1
	s_delay_alu instid0(VALU_DEP_1)
	v_add3_u32 v2, v3, v2, 0x7fff
                                        ; implicit-def: $vgpr3
; %bb.915:                              ;   in Loop: Header=BB434_422 Depth=1
	s_and_not1_saveexec_b32 s12, s0
; %bb.916:                              ;   in Loop: Header=BB434_422 Depth=1
	v_and_b32_e32 v2, 0xffff, v3
	v_or_b32_e32 v9, 0x10000, v3
	s_delay_alu instid0(VALU_DEP_2) | instskip(NEXT) | instid1(VALU_DEP_1)
	v_cmp_eq_u32_e64 s0, 0, v2
	v_cndmask_b32_e64 v2, v9, v3, s0
; %bb.917:                              ;   in Loop: Header=BB434_422 Depth=1
	s_or_b32 exec_lo, exec_lo, s12
	v_lshrrev_b32_e32 v3, 16, v1
	v_mov_b32_e32 v9, 0
	s_mov_b32 s12, exec_lo
	s_delay_alu instid0(VALU_DEP_2) | instskip(NEXT) | instid1(VALU_DEP_1)
	v_and_b32_e32 v133, 0xff, v3
	v_cmpx_ne_u16_e64 0, v133
	s_cbranch_execz .LBB434_925
; %bb.918:                              ;   in Loop: Header=BB434_422 Depth=1
	v_bfrev_b32_e32 v9, 1
	s_mov_b32 s13, exec_lo
	v_cmpx_ne_u16_e64 0x80, v133
	s_cbranch_execz .LBB434_924
; %bb.919:                              ;   in Loop: Header=BB434_422 Depth=1
	v_bfe_u32 v134, v1, 16, 7
	v_mov_b32_e32 v9, 0x7f800001
	s_mov_b32 s15, exec_lo
	s_delay_alu instid0(VALU_DEP_2)
	v_cmpx_ne_u32_e32 0x7f, v134
	s_cbranch_execz .LBB434_923
; %bb.920:                              ;   in Loop: Header=BB434_422 Depth=1
	v_and_b32_e32 v9, 7, v3
	v_lshrrev_b32_e32 v133, 3, v134
	s_mov_b32 s16, exec_lo
	v_cmpx_gt_u32_e32 8, v134
; %bb.921:                              ;   in Loop: Header=BB434_422 Depth=1
	s_delay_alu instid0(VALU_DEP_3) | instskip(NEXT) | instid1(VALU_DEP_1)
	v_clz_i32_u32_e32 v133, v9
	v_min_u32_e32 v133, 32, v133
	s_delay_alu instid0(VALU_DEP_1) | instskip(SKIP_1) | instid1(VALU_DEP_2)
	v_subrev_nc_u32_e32 v134, 28, v133
	v_sub_nc_u32_e32 v133, 29, v133
	v_lshlrev_b64 v[134:135], v134, v[9:10]
	s_delay_alu instid0(VALU_DEP_1)
	v_and_b32_e32 v9, 7, v134
; %bb.922:                              ;   in Loop: Header=BB434_422 Depth=1
	s_or_b32 exec_lo, exec_lo, s16
	v_lshlrev_b32_e32 v3, 24, v3
	s_delay_alu instid0(VALU_DEP_2) | instskip(SKIP_1) | instid1(VALU_DEP_3)
	v_lshlrev_b32_e32 v9, 20, v9
	v_lshl_add_u32 v133, v133, 23, 0x3c000000
	v_and_b32_e32 v3, 0x80000000, v3
	s_delay_alu instid0(VALU_DEP_1)
	v_or3_b32 v9, v9, v3, v133
.LBB434_923:                            ;   in Loop: Header=BB434_422 Depth=1
	s_or_b32 exec_lo, exec_lo, s15
.LBB434_924:                            ;   in Loop: Header=BB434_422 Depth=1
	s_delay_alu instid0(SALU_CYCLE_1)
	s_or_b32 exec_lo, exec_lo, s13
.LBB434_925:                            ;   in Loop: Header=BB434_422 Depth=1
	s_delay_alu instid0(SALU_CYCLE_1) | instskip(NEXT) | instid1(VALU_DEP_1)
	s_or_b32 exec_lo, exec_lo, s12
	v_mul_f32_e32 v9, v8, v9
	s_delay_alu instid0(VALU_DEP_1) | instskip(NEXT) | instid1(VALU_DEP_1)
	v_and_b32_e32 v3, 0x7f800000, v9
	v_cmp_ne_u32_e64 s0, 0x7f800000, v3
                                        ; implicit-def: $vgpr3
	s_delay_alu instid0(VALU_DEP_1) | instskip(NEXT) | instid1(SALU_CYCLE_1)
	s_and_saveexec_b32 s12, s0
	s_xor_b32 s0, exec_lo, s12
; %bb.926:                              ;   in Loop: Header=BB434_422 Depth=1
	v_bfe_u32 v3, v9, 16, 1
	s_delay_alu instid0(VALU_DEP_1)
	v_add3_u32 v3, v9, v3, 0x7fff
                                        ; implicit-def: $vgpr9
; %bb.927:                              ;   in Loop: Header=BB434_422 Depth=1
	s_and_not1_saveexec_b32 s12, s0
; %bb.928:                              ;   in Loop: Header=BB434_422 Depth=1
	v_and_b32_e32 v3, 0xffff, v9
	v_or_b32_e32 v133, 0x10000, v9
	s_delay_alu instid0(VALU_DEP_2) | instskip(NEXT) | instid1(VALU_DEP_1)
	v_cmp_eq_u32_e64 s0, 0, v3
	v_cndmask_b32_e64 v3, v133, v9, s0
; %bb.929:                              ;   in Loop: Header=BB434_422 Depth=1
	s_or_b32 exec_lo, exec_lo, s12
	v_mov_b32_e32 v9, 0
	s_mov_b32 s12, exec_lo
	v_cmpx_lt_u64_e64 s[8:9], v[0:1]
	s_cbranch_execz .LBB434_937
; %bb.930:                              ;   in Loop: Header=BB434_422 Depth=1
	v_lshrrev_b32_e32 v0, 24, v1
	v_bfrev_b32_e32 v9, 1
	s_mov_b32 s13, exec_lo
	s_delay_alu instid0(VALU_DEP_2)
	v_cmpx_ne_u32_e32 0x80, v0
	s_cbranch_execz .LBB434_936
; %bb.931:                              ;   in Loop: Header=BB434_422 Depth=1
	v_bfe_u32 v133, v1, 24, 7
	v_mov_b32_e32 v9, 0x7f800001
	s_mov_b32 s15, exec_lo
	s_delay_alu instid0(VALU_DEP_2)
	v_cmpx_ne_u32_e32 0x7f, v133
	s_cbranch_execz .LBB434_935
; %bb.932:                              ;   in Loop: Header=BB434_422 Depth=1
	v_and_b32_e32 v9, 7, v0
	v_lshrrev_b32_e32 v1, 3, v133
	s_mov_b32 s16, exec_lo
	v_cmpx_gt_u32_e32 8, v133
; %bb.933:                              ;   in Loop: Header=BB434_422 Depth=1
	s_delay_alu instid0(VALU_DEP_3) | instskip(NEXT) | instid1(VALU_DEP_1)
	v_clz_i32_u32_e32 v1, v9
	v_min_u32_e32 v1, 32, v1
	s_delay_alu instid0(VALU_DEP_1) | instskip(SKIP_1) | instid1(VALU_DEP_2)
	v_subrev_nc_u32_e32 v133, 28, v1
	v_sub_nc_u32_e32 v1, 29, v1
	v_lshlrev_b64 v[133:134], v133, v[9:10]
	s_delay_alu instid0(VALU_DEP_1)
	v_and_b32_e32 v9, 7, v133
; %bb.934:                              ;   in Loop: Header=BB434_422 Depth=1
	s_or_b32 exec_lo, exec_lo, s16
	v_lshlrev_b32_e32 v0, 24, v0
	s_delay_alu instid0(VALU_DEP_2) | instskip(SKIP_1) | instid1(VALU_DEP_3)
	v_lshlrev_b32_e32 v9, 20, v9
	v_lshl_add_u32 v1, v1, 23, 0x3c000000
	v_and_b32_e32 v0, 0x80000000, v0
	s_delay_alu instid0(VALU_DEP_1)
	v_or3_b32 v9, v9, v0, v1
.LBB434_935:                            ;   in Loop: Header=BB434_422 Depth=1
	s_or_b32 exec_lo, exec_lo, s15
.LBB434_936:                            ;   in Loop: Header=BB434_422 Depth=1
	s_delay_alu instid0(SALU_CYCLE_1)
	s_or_b32 exec_lo, exec_lo, s13
.LBB434_937:                            ;   in Loop: Header=BB434_422 Depth=1
	s_delay_alu instid0(SALU_CYCLE_1) | instskip(NEXT) | instid1(VALU_DEP_1)
	s_or_b32 exec_lo, exec_lo, s12
	v_mul_f32_e32 v0, v8, v9
                                        ; implicit-def: $vgpr133
	s_delay_alu instid0(VALU_DEP_1) | instskip(NEXT) | instid1(VALU_DEP_1)
	v_and_b32_e32 v1, 0x7f800000, v0
	v_cmp_ne_u32_e64 s0, 0x7f800000, v1
	s_delay_alu instid0(VALU_DEP_1) | instskip(NEXT) | instid1(SALU_CYCLE_1)
	s_and_saveexec_b32 s12, s0
	s_xor_b32 s0, exec_lo, s12
; %bb.938:                              ;   in Loop: Header=BB434_422 Depth=1
	v_bfe_u32 v1, v0, 16, 1
	s_delay_alu instid0(VALU_DEP_1)
	v_add3_u32 v133, v0, v1, 0x7fff
                                        ; implicit-def: $vgpr0
; %bb.939:                              ;   in Loop: Header=BB434_422 Depth=1
	s_and_not1_saveexec_b32 s12, s0
; %bb.940:                              ;   in Loop: Header=BB434_422 Depth=1
	v_and_b32_e32 v1, 0xffff, v0
	v_or_b32_e32 v8, 0x10000, v0
	s_delay_alu instid0(VALU_DEP_2) | instskip(NEXT) | instid1(VALU_DEP_1)
	v_cmp_eq_u32_e64 s0, 0, v1
	v_cndmask_b32_e64 v133, v8, v0, s0
; %bb.941:                              ;   in Loop: Header=BB434_422 Depth=1
	s_or_b32 exec_lo, exec_lo, s12
	v_lshrrev_b32_e32 v9, 16, v2
	v_lshrrev_b32_e32 v132, 16, v132
	;; [unrolled: 1-line block ×8, first 2 shown]
	s_and_saveexec_b32 s0, vcc_lo
	s_cbranch_execz .LBB434_943
; %bb.942:                              ;   in Loop: Header=BB434_422 Depth=1
	v_cmp_lt_i32_e32 vcc_lo, v66, v38
	v_cndmask_b32_e32 v0, 0, v0, vcc_lo
	v_cmp_lt_i32_e32 vcc_lo, v81, v38
	v_cndmask_b32_e32 v1, 0, v1, vcc_lo
	;; [unrolled: 2-line block ×8, first 2 shown]
.LBB434_943:                            ;   in Loop: Header=BB434_422 Depth=1
	s_or_b32 exec_lo, exec_lo, s0
	v_lshlrev_b32_e32 v0, 16, v0
	s_delay_alu instid0(VALU_DEP_1) | instskip(NEXT) | instid1(VALU_DEP_1)
	v_mul_f32_e32 v3, v82, v0
	v_and_b32_e32 v0, 0x7f800000, v3
	s_delay_alu instid0(VALU_DEP_1) | instskip(SKIP_1) | instid1(SALU_CYCLE_1)
	v_cmp_ne_u32_e32 vcc_lo, 0x7f800000, v0
                                        ; implicit-def: $vgpr0
	s_and_saveexec_b32 s0, vcc_lo
	s_xor_b32 s0, exec_lo, s0
; %bb.944:                              ;   in Loop: Header=BB434_422 Depth=1
	v_bfe_u32 v0, v3, 16, 1
	s_delay_alu instid0(VALU_DEP_1)
	v_add3_u32 v0, v3, v0, 0x7fff
                                        ; implicit-def: $vgpr3
; %bb.945:                              ;   in Loop: Header=BB434_422 Depth=1
	s_and_not1_saveexec_b32 s0, s0
; %bb.946:                              ;   in Loop: Header=BB434_422 Depth=1
	v_and_b32_e32 v0, 0xffff, v3
	v_or_b32_e32 v66, 0x10000, v3
	s_delay_alu instid0(VALU_DEP_2) | instskip(NEXT) | instid1(VALU_DEP_2)
	v_cmp_eq_u32_e32 vcc_lo, 0, v0
	v_cndmask_b32_e32 v0, v66, v3, vcc_lo
; %bb.947:                              ;   in Loop: Header=BB434_422 Depth=1
	s_or_b32 exec_lo, exec_lo, s0
	v_lshlrev_b32_e32 v1, 16, v1
	s_delay_alu instid0(VALU_DEP_1) | instskip(NEXT) | instid1(VALU_DEP_1)
	v_mul_f32_e32 v3, v83, v1
	v_and_b32_e32 v1, 0x7f800000, v3
	s_delay_alu instid0(VALU_DEP_1) | instskip(SKIP_1) | instid1(SALU_CYCLE_1)
	v_cmp_ne_u32_e32 vcc_lo, 0x7f800000, v1
                                        ; implicit-def: $vgpr1
	s_and_saveexec_b32 s0, vcc_lo
	s_xor_b32 s0, exec_lo, s0
; %bb.948:                              ;   in Loop: Header=BB434_422 Depth=1
	v_bfe_u32 v1, v3, 16, 1
	s_delay_alu instid0(VALU_DEP_1)
	v_add3_u32 v1, v3, v1, 0x7fff
                                        ; implicit-def: $vgpr3
; %bb.949:                              ;   in Loop: Header=BB434_422 Depth=1
	s_and_not1_saveexec_b32 s0, s0
; %bb.950:                              ;   in Loop: Header=BB434_422 Depth=1
	v_and_b32_e32 v1, 0xffff, v3
	v_or_b32_e32 v66, 0x10000, v3
	s_delay_alu instid0(VALU_DEP_2) | instskip(NEXT) | instid1(VALU_DEP_2)
	v_cmp_eq_u32_e32 vcc_lo, 0, v1
	v_cndmask_b32_e32 v1, v66, v3, vcc_lo
; %bb.951:                              ;   in Loop: Header=BB434_422 Depth=1
	s_or_b32 exec_lo, exec_lo, s0
	v_lshlrev_b32_e32 v3, 16, v130
	s_delay_alu instid0(VALU_DEP_1) | instskip(NEXT) | instid1(VALU_DEP_1)
	v_mul_f32_e32 v66, v84, v3
	v_and_b32_e32 v3, 0x7f800000, v66
	s_delay_alu instid0(VALU_DEP_1) | instskip(SKIP_1) | instid1(SALU_CYCLE_1)
	v_cmp_ne_u32_e32 vcc_lo, 0x7f800000, v3
                                        ; implicit-def: $vgpr3
	s_and_saveexec_b32 s0, vcc_lo
	s_xor_b32 s0, exec_lo, s0
; %bb.952:                              ;   in Loop: Header=BB434_422 Depth=1
	v_bfe_u32 v3, v66, 16, 1
	s_delay_alu instid0(VALU_DEP_1)
	v_add3_u32 v3, v66, v3, 0x7fff
                                        ; implicit-def: $vgpr66
; %bb.953:                              ;   in Loop: Header=BB434_422 Depth=1
	s_and_not1_saveexec_b32 s0, s0
; %bb.954:                              ;   in Loop: Header=BB434_422 Depth=1
	v_and_b32_e32 v3, 0xffff, v66
	v_or_b32_e32 v67, 0x10000, v66
	s_delay_alu instid0(VALU_DEP_2) | instskip(NEXT) | instid1(VALU_DEP_2)
	v_cmp_eq_u32_e32 vcc_lo, 0, v3
	v_cndmask_b32_e32 v3, v67, v66, vcc_lo
; %bb.955:                              ;   in Loop: Header=BB434_422 Depth=1
	s_or_b32 exec_lo, exec_lo, s0
	v_lshlrev_b32_e32 v66, 16, v131
	s_delay_alu instid0(VALU_DEP_1) | instskip(NEXT) | instid1(VALU_DEP_1)
	v_mul_f32_e32 v67, v85, v66
	v_and_b32_e32 v66, 0x7f800000, v67
	s_delay_alu instid0(VALU_DEP_1) | instskip(SKIP_1) | instid1(SALU_CYCLE_1)
	v_cmp_ne_u32_e32 vcc_lo, 0x7f800000, v66
                                        ; implicit-def: $vgpr66
	s_and_saveexec_b32 s0, vcc_lo
	s_xor_b32 s0, exec_lo, s0
; %bb.956:                              ;   in Loop: Header=BB434_422 Depth=1
	v_bfe_u32 v66, v67, 16, 1
	s_delay_alu instid0(VALU_DEP_1)
	v_add3_u32 v66, v67, v66, 0x7fff
                                        ; implicit-def: $vgpr67
; %bb.957:                              ;   in Loop: Header=BB434_422 Depth=1
	s_and_not1_saveexec_b32 s0, s0
; %bb.958:                              ;   in Loop: Header=BB434_422 Depth=1
	v_and_b32_e32 v66, 0xffff, v67
	v_or_b32_e32 v68, 0x10000, v67
	s_delay_alu instid0(VALU_DEP_2) | instskip(NEXT) | instid1(VALU_DEP_2)
	v_cmp_eq_u32_e32 vcc_lo, 0, v66
	v_cndmask_b32_e32 v66, v68, v67, vcc_lo
; %bb.959:                              ;   in Loop: Header=BB434_422 Depth=1
	s_or_b32 exec_lo, exec_lo, s0
	v_lshlrev_b32_e32 v67, 16, v132
	s_delay_alu instid0(VALU_DEP_1) | instskip(NEXT) | instid1(VALU_DEP_1)
	v_mul_f32_e32 v68, v86, v67
	v_and_b32_e32 v67, 0x7f800000, v68
	s_delay_alu instid0(VALU_DEP_1) | instskip(SKIP_1) | instid1(SALU_CYCLE_1)
	v_cmp_ne_u32_e32 vcc_lo, 0x7f800000, v67
                                        ; implicit-def: $vgpr67
	s_and_saveexec_b32 s0, vcc_lo
	s_xor_b32 s0, exec_lo, s0
; %bb.960:                              ;   in Loop: Header=BB434_422 Depth=1
	v_bfe_u32 v67, v68, 16, 1
	s_delay_alu instid0(VALU_DEP_1)
	v_add3_u32 v67, v68, v67, 0x7fff
                                        ; implicit-def: $vgpr68
; %bb.961:                              ;   in Loop: Header=BB434_422 Depth=1
	s_and_not1_saveexec_b32 s0, s0
; %bb.962:                              ;   in Loop: Header=BB434_422 Depth=1
	v_and_b32_e32 v67, 0xffff, v68
	v_or_b32_e32 v69, 0x10000, v68
	s_delay_alu instid0(VALU_DEP_2) | instskip(NEXT) | instid1(VALU_DEP_2)
	v_cmp_eq_u32_e32 vcc_lo, 0, v67
	v_cndmask_b32_e32 v67, v69, v68, vcc_lo
; %bb.963:                              ;   in Loop: Header=BB434_422 Depth=1
	s_or_b32 exec_lo, exec_lo, s0
	v_lshlrev_b32_e32 v9, 16, v9
	s_delay_alu instid0(VALU_DEP_1) | instskip(NEXT) | instid1(VALU_DEP_1)
	v_mul_f32_e32 v68, v87, v9
	v_and_b32_e32 v9, 0x7f800000, v68
	s_delay_alu instid0(VALU_DEP_1) | instskip(SKIP_1) | instid1(SALU_CYCLE_1)
	v_cmp_ne_u32_e32 vcc_lo, 0x7f800000, v9
                                        ; implicit-def: $vgpr9
	s_and_saveexec_b32 s0, vcc_lo
	s_xor_b32 s0, exec_lo, s0
; %bb.964:                              ;   in Loop: Header=BB434_422 Depth=1
	v_bfe_u32 v9, v68, 16, 1
	s_delay_alu instid0(VALU_DEP_1)
	v_add3_u32 v9, v68, v9, 0x7fff
                                        ; implicit-def: $vgpr68
; %bb.965:                              ;   in Loop: Header=BB434_422 Depth=1
	s_and_not1_saveexec_b32 s0, s0
; %bb.966:                              ;   in Loop: Header=BB434_422 Depth=1
	v_and_b32_e32 v9, 0xffff, v68
	v_or_b32_e32 v69, 0x10000, v68
	s_delay_alu instid0(VALU_DEP_2) | instskip(NEXT) | instid1(VALU_DEP_2)
	v_cmp_eq_u32_e32 vcc_lo, 0, v9
	v_cndmask_b32_e32 v9, v69, v68, vcc_lo
; %bb.967:                              ;   in Loop: Header=BB434_422 Depth=1
	s_or_b32 exec_lo, exec_lo, s0
	v_lshlrev_b32_e32 v8, 16, v8
	s_delay_alu instid0(VALU_DEP_1) | instskip(NEXT) | instid1(VALU_DEP_1)
	v_mul_f32_e32 v68, v96, v8
	v_and_b32_e32 v8, 0x7f800000, v68
	s_delay_alu instid0(VALU_DEP_1) | instskip(SKIP_1) | instid1(SALU_CYCLE_1)
	v_cmp_ne_u32_e32 vcc_lo, 0x7f800000, v8
                                        ; implicit-def: $vgpr8
	s_and_saveexec_b32 s0, vcc_lo
	s_xor_b32 s0, exec_lo, s0
; %bb.968:                              ;   in Loop: Header=BB434_422 Depth=1
	v_bfe_u32 v8, v68, 16, 1
	s_delay_alu instid0(VALU_DEP_1)
	v_add3_u32 v8, v68, v8, 0x7fff
                                        ; implicit-def: $vgpr68
; %bb.969:                              ;   in Loop: Header=BB434_422 Depth=1
	s_and_not1_saveexec_b32 s0, s0
; %bb.970:                              ;   in Loop: Header=BB434_422 Depth=1
	v_and_b32_e32 v8, 0xffff, v68
	v_or_b32_e32 v69, 0x10000, v68
	s_delay_alu instid0(VALU_DEP_2) | instskip(NEXT) | instid1(VALU_DEP_2)
	v_cmp_eq_u32_e32 vcc_lo, 0, v8
	v_cndmask_b32_e32 v8, v69, v68, vcc_lo
; %bb.971:                              ;   in Loop: Header=BB434_422 Depth=1
	s_or_b32 exec_lo, exec_lo, s0
	v_lshlrev_b32_e32 v2, 16, v2
	s_delay_alu instid0(VALU_DEP_1) | instskip(NEXT) | instid1(VALU_DEP_1)
	v_mul_f32_e32 v68, v97, v2
	v_and_b32_e32 v2, 0x7f800000, v68
	s_delay_alu instid0(VALU_DEP_1) | instskip(SKIP_1) | instid1(SALU_CYCLE_1)
	v_cmp_ne_u32_e32 vcc_lo, 0x7f800000, v2
                                        ; implicit-def: $vgpr2
	s_and_saveexec_b32 s0, vcc_lo
	s_xor_b32 s0, exec_lo, s0
; %bb.972:                              ;   in Loop: Header=BB434_422 Depth=1
	v_bfe_u32 v2, v68, 16, 1
	s_delay_alu instid0(VALU_DEP_1)
	v_add3_u32 v2, v68, v2, 0x7fff
                                        ; implicit-def: $vgpr68
; %bb.973:                              ;   in Loop: Header=BB434_422 Depth=1
	s_and_not1_saveexec_b32 s0, s0
	s_cbranch_execz .LBB434_420
; %bb.974:                              ;   in Loop: Header=BB434_422 Depth=1
	v_and_b32_e32 v2, 0xffff, v68
	v_or_b32_e32 v69, 0x10000, v68
	s_delay_alu instid0(VALU_DEP_2) | instskip(NEXT) | instid1(VALU_DEP_2)
	v_cmp_eq_u32_e32 vcc_lo, 0, v2
	v_cndmask_b32_e32 v2, v69, v68, vcc_lo
	s_branch .LBB434_420
.LBB434_975:
	s_or_b32 exec_lo, exec_lo, s10
	s_load_b32 s0, s[2:3], 0x0
	s_waitcnt lgkmcnt(0)
	v_mov_b32_e32 v8, s0
.LBB434_976:
	s_or_b32 exec_lo, exec_lo, s7
	ds_bpermute_b32 v0, v19, v31
	ds_bpermute_b32 v2, v19, v25
	;; [unrolled: 1-line block ×4, first 2 shown]
	v_lshrrev_b32_e32 v6, 2, v50
	s_mov_b32 s0, exec_lo
	s_waitcnt lgkmcnt(0)
	s_waitcnt_vscnt null, 0x0
	s_barrier
	buffer_gl0_inv
	v_and_b32_e32 v12, 0x3c3, v37
	v_dual_add_f32 v0, v31, v0 :: v_dual_add_f32 v7, v25, v2
	v_add_f32_e32 v1, v28, v1
	ds_bpermute_b32 v2, v20, v0
	ds_bpermute_b32 v10, v20, v7
	v_add_f32_e32 v3, v32, v3
	ds_bpermute_b32 v9, v20, v1
	s_waitcnt lgkmcnt(2)
	v_add_f32_e32 v2, v0, v2
	s_waitcnt lgkmcnt(1)
	v_add_f32_e32 v0, v7, v10
	ds_bpermute_b32 v11, v20, v3
	s_waitcnt lgkmcnt(1)
	v_add_f32_e32 v1, v1, v9
	s_waitcnt lgkmcnt(0)
	v_add_f32_e32 v3, v3, v11
	v_cmpx_eq_u32_e32 64, v12
	s_cbranch_execz .LBB434_978
; %bb.977:
	v_lshl_add_u32 v7, v48, 7, v8
	v_lshlrev_b32_e32 v9, 2, v6
	s_delay_alu instid0(VALU_DEP_1)
	v_add3_u32 v7, v7, v9, 0xffffff00
	ds_store_2addr_b32 v7, v2, v1 offset1:8
	ds_store_2addr_b32 v7, v0, v3 offset0:16 offset1:24
.LBB434_978:
	s_or_b32 exec_lo, exec_lo, s0
	v_and_b32_e32 v7, 0x3e0, v37
	v_cmp_eq_u32_e32 vcc_lo, 0, v24
	s_mov_b32 s2, exec_lo
	s_waitcnt lgkmcnt(0)
	s_barrier
	v_lshl_add_u32 v7, v7, 2, v8
	buffer_gl0_inv
	v_cmpx_gt_u32_e32 64, v37
	s_cbranch_execz .LBB434_985
; %bb.979:
	s_and_saveexec_b32 s0, vcc_lo
	s_cbranch_execnz .LBB434_1014
; %bb.980:
	s_or_b32 exec_lo, exec_lo, s0
	s_and_saveexec_b32 s0, vcc_lo
	s_cbranch_execnz .LBB434_1015
.LBB434_981:
	s_or_b32 exec_lo, exec_lo, s0
	s_and_saveexec_b32 s0, vcc_lo
	s_cbranch_execnz .LBB434_1016
.LBB434_982:
	s_or_b32 exec_lo, exec_lo, s0
	s_and_saveexec_b32 s0, vcc_lo
	s_cbranch_execz .LBB434_984
.LBB434_983:
	v_lshl_add_u32 v9, v6, 2, v7
	ds_load_b32 v9, v9 offset:96
	s_waitcnt lgkmcnt(0)
	v_add_f32_e32 v3, v3, v9
.LBB434_984:
	s_or_b32 exec_lo, exec_lo, s0
.LBB434_985:
	s_delay_alu instid0(SALU_CYCLE_1)
	s_or_b32 exec_lo, exec_lo, s2
	v_and_b32_e32 v9, 0x3e3, v37
	s_mov_b32 s2, exec_lo
	s_barrier
	buffer_gl0_inv
	v_cmpx_eq_u32_e32 32, v9
	s_cbranch_execz .LBB434_987
; %bb.986:
	v_lshl_add_u32 v8, v6, 2, v8
	ds_store_2addr_b32 v8, v2, v1 offset1:8
	ds_store_2addr_b32 v8, v0, v3 offset0:16 offset1:24
.LBB434_987:
	s_or_b32 exec_lo, exec_lo, s2
	v_cmp_gt_u32_e64 s0, 32, v37
	s_waitcnt lgkmcnt(0)
	s_barrier
	buffer_gl0_inv
	s_and_saveexec_b32 s2, s0
	s_cbranch_execz .LBB434_994
; %bb.988:
	v_lshl_add_u32 v6, v6, 2, v7
	s_and_saveexec_b32 s3, vcc_lo
	s_cbranch_execnz .LBB434_1017
; %bb.989:
	s_or_b32 exec_lo, exec_lo, s3
	s_and_saveexec_b32 s3, vcc_lo
	s_cbranch_execnz .LBB434_1018
.LBB434_990:
	s_or_b32 exec_lo, exec_lo, s3
	s_and_saveexec_b32 s3, vcc_lo
	s_cbranch_execnz .LBB434_1019
.LBB434_991:
	s_or_b32 exec_lo, exec_lo, s3
	s_and_saveexec_b32 s3, vcc_lo
	s_cbranch_execz .LBB434_993
.LBB434_992:
	ds_load_b32 v6, v6 offset:96
	s_waitcnt lgkmcnt(0)
	v_add_f32_e32 v3, v3, v6
.LBB434_993:
	s_or_b32 exec_lo, exec_lo, s3
.LBB434_994:
	s_delay_alu instid0(SALU_CYCLE_1)
	s_or_b32 exec_lo, exec_lo, s2
	s_barrier
	buffer_gl0_inv
	s_and_b32 exec_lo, exec_lo, s0
	s_cbranch_execz .LBB434_1013
; %bb.995:
	s_and_b32 exec_lo, exec_lo, vcc_lo
	s_cbranch_execz .LBB434_1013
; %bb.996:
	v_and_b32_e32 v6, 0x7f800000, v2
	s_delay_alu instid0(VALU_DEP_1) | instskip(SKIP_1) | instid1(SALU_CYCLE_1)
	v_cmp_ne_u32_e32 vcc_lo, 0x7f800000, v6
                                        ; implicit-def: $vgpr6
	s_and_saveexec_b32 s0, vcc_lo
	s_xor_b32 s0, exec_lo, s0
; %bb.997:
	v_bfe_u32 v6, v2, 16, 1
	s_delay_alu instid0(VALU_DEP_1)
	v_add3_u32 v6, v2, v6, 0x7fff
; %bb.998:
	s_and_not1_saveexec_b32 s0, s0
; %bb.999:
	v_and_b32_e32 v6, 0xffff, v2
	v_or_b32_e32 v7, 0x10000, v2
	s_delay_alu instid0(VALU_DEP_2) | instskip(NEXT) | instid1(VALU_DEP_2)
	v_cmp_eq_u32_e32 vcc_lo, 0, v6
	v_cndmask_b32_e32 v6, v7, v2, vcc_lo
; %bb.1000:
	s_or_b32 exec_lo, exec_lo, s0
	s_mul_i32 s2, s1, s4
	s_mul_i32 s0, s6, s1
	;; [unrolled: 1-line block ×3, first 2 shown]
	s_lshl_b32 s2, s14, 5
	s_lshl_b32 s6, s1, 5
	s_ashr_i32 s1, s0, 31
	s_ashr_i32 s3, s2, 31
	;; [unrolled: 1-line block ×3, first 2 shown]
	s_lshl_b64 s[0:1], s[0:1], 1
	s_lshl_b64 s[2:3], s[2:3], 1
	;; [unrolled: 1-line block ×3, first 2 shown]
	v_lshrrev_b32_e32 v2, 1, v37
	s_add_u32 s0, s2, s0
	s_addc_u32 s1, s3, s1
	s_add_u32 s0, s0, s6
	s_addc_u32 s1, s1, s7
	v_and_b32_e32 v2, 0x1fe, v2
	v_add_co_u32 v4, vcc_lo, s0, v4
	v_add_co_ci_u32_e32 v5, vcc_lo, s1, v5, vcc_lo
	v_and_b32_e32 v7, 0x7f800000, v1
	s_delay_alu instid0(VALU_DEP_3) | instskip(NEXT) | instid1(VALU_DEP_3)
	v_add_co_u32 v4, vcc_lo, v4, v2
	v_add_co_ci_u32_e32 v5, vcc_lo, 0, v5, vcc_lo
	s_mov_b32 s0, exec_lo
                                        ; implicit-def: $vgpr2
	flat_store_d16_hi_b16 v[4:5], v6
	v_cmpx_ne_u32_e32 0x7f800000, v7
	s_xor_b32 s0, exec_lo, s0
; %bb.1001:
	v_bfe_u32 v2, v1, 16, 1
	s_delay_alu instid0(VALU_DEP_1)
	v_add3_u32 v2, v1, v2, 0x7fff
; %bb.1002:
	s_and_not1_saveexec_b32 s0, s0
; %bb.1003:
	v_and_b32_e32 v2, 0xffff, v1
	v_or_b32_e32 v6, 0x10000, v1
	s_delay_alu instid0(VALU_DEP_2) | instskip(NEXT) | instid1(VALU_DEP_2)
	v_cmp_eq_u32_e32 vcc_lo, 0, v2
	v_cndmask_b32_e32 v2, v6, v1, vcc_lo
; %bb.1004:
	s_or_b32 exec_lo, exec_lo, s0
	v_and_b32_e32 v1, 0x7f800000, v0
	flat_store_d16_hi_b16 v[4:5], v2 offset:16
	v_cmp_ne_u32_e32 vcc_lo, 0x7f800000, v1
                                        ; implicit-def: $vgpr1
	s_and_saveexec_b32 s0, vcc_lo
	s_delay_alu instid0(SALU_CYCLE_1)
	s_xor_b32 s0, exec_lo, s0
; %bb.1005:
	v_bfe_u32 v1, v0, 16, 1
	s_delay_alu instid0(VALU_DEP_1)
	v_add3_u32 v1, v0, v1, 0x7fff
; %bb.1006:
	s_and_not1_saveexec_b32 s0, s0
; %bb.1007:
	v_and_b32_e32 v1, 0xffff, v0
	v_or_b32_e32 v2, 0x10000, v0
	s_delay_alu instid0(VALU_DEP_2) | instskip(NEXT) | instid1(VALU_DEP_2)
	v_cmp_eq_u32_e32 vcc_lo, 0, v1
	v_cndmask_b32_e32 v1, v2, v0, vcc_lo
; %bb.1008:
	s_or_b32 exec_lo, exec_lo, s0
	v_and_b32_e32 v0, 0x7f800000, v3
	s_mov_b32 s0, exec_lo
	flat_store_d16_hi_b16 v[4:5], v1 offset:32
                                        ; implicit-def: $vgpr6
	v_cmpx_ne_u32_e32 0x7f800000, v0
	s_xor_b32 s0, exec_lo, s0
; %bb.1009:
	v_bfe_u32 v0, v3, 16, 1
	s_delay_alu instid0(VALU_DEP_1)
	v_add3_u32 v6, v3, v0, 0x7fff
                                        ; implicit-def: $vgpr0_vgpr1_vgpr2_vgpr3
; %bb.1010:
	s_and_not1_saveexec_b32 s0, s0
; %bb.1011:
	v_and_b32_e32 v0, 0xffff, v3
	v_or_b32_e32 v1, 0x10000, v3
	s_delay_alu instid0(VALU_DEP_2) | instskip(NEXT) | instid1(VALU_DEP_2)
	v_cmp_eq_u32_e32 vcc_lo, 0, v0
	v_cndmask_b32_e32 v6, v1, v3, vcc_lo
; %bb.1012:
	s_or_b32 exec_lo, exec_lo, s0
	flat_store_d16_hi_b16 v[4:5], v6 offset:48
.LBB434_1013:
	s_or_b32 exec_lo, exec_lo, s5
	s_clause 0x9
	scratch_load_b32 v57, off, s32 offset:8
	scratch_load_b32 v56, off, s32 offset:12
	;; [unrolled: 1-line block ×10, first 2 shown]
	s_waitcnt vmcnt(0) lgkmcnt(0)
	s_setpc_b64 s[30:31]
.LBB434_1014:
	v_lshl_add_u32 v9, v6, 2, v7
	ds_load_b32 v9, v9
	s_waitcnt lgkmcnt(0)
	v_add_f32_e32 v2, v2, v9
	s_or_b32 exec_lo, exec_lo, s0
	s_and_saveexec_b32 s0, vcc_lo
	s_cbranch_execz .LBB434_981
.LBB434_1015:
	v_lshl_add_u32 v9, v6, 2, v7
	ds_load_b32 v9, v9 offset:32
	s_waitcnt lgkmcnt(0)
	v_add_f32_e32 v1, v1, v9
	s_or_b32 exec_lo, exec_lo, s0
	s_and_saveexec_b32 s0, vcc_lo
	s_cbranch_execz .LBB434_982
.LBB434_1016:
	v_lshl_add_u32 v9, v6, 2, v7
	ds_load_b32 v9, v9 offset:64
	s_waitcnt lgkmcnt(0)
	v_add_f32_e32 v0, v0, v9
	s_or_b32 exec_lo, exec_lo, s0
	s_and_saveexec_b32 s0, vcc_lo
	s_cbranch_execnz .LBB434_983
	s_branch .LBB434_984
.LBB434_1017:
	ds_load_b32 v7, v6
	s_waitcnt lgkmcnt(0)
	v_add_f32_e32 v2, v2, v7
	s_or_b32 exec_lo, exec_lo, s3
	s_and_saveexec_b32 s3, vcc_lo
	s_cbranch_execz .LBB434_990
.LBB434_1018:
	ds_load_b32 v7, v6 offset:32
	s_waitcnt lgkmcnt(0)
	v_add_f32_e32 v1, v1, v7
	s_or_b32 exec_lo, exec_lo, s3
	s_and_saveexec_b32 s3, vcc_lo
	s_cbranch_execz .LBB434_991
.LBB434_1019:
	ds_load_b32 v7, v6 offset:64
	s_waitcnt lgkmcnt(0)
	v_add_f32_e32 v0, v0, v7
	s_or_b32 exec_lo, exec_lo, s3
	s_and_saveexec_b32 s3, vcc_lo
	s_cbranch_execnz .LBB434_992
	s_branch .LBB434_993
.Lfunc_end434:
	.size	_ZN4vllm22paged_attention_kernelI14__hip_bfloat16hLi32ELi32ELi128ELNS_18Fp8KVCacheDataTypeE1ELb1ELi512EEEvPfS3_PT_PKS4_PKT0_SA_ifPKiSC_iPKfiiiSE_SE_iiiii, .Lfunc_end434-_ZN4vllm22paged_attention_kernelI14__hip_bfloat16hLi32ELi32ELi128ELNS_18Fp8KVCacheDataTypeE1ELb1ELi512EEEvPfS3_PT_PKS4_PKT0_SA_ifPKiSC_iPKfiiiSE_SE_iiiii
                                        ; -- End function
	.section	.AMDGPU.csdata,"",@progbits
; Function info:
; codeLenInByte = 31896
; NumSgprs: 35
; NumVgprs: 184
; ScratchSize: 52
; MemoryBound: 0
	.section	.text._ZN4vllm25paged_attention_v2_kernelI14__hip_bfloat16hLi32ELi32ELi128ELNS_18Fp8KVCacheDataTypeE1ELb1ELi512EEEvPfS3_PT_PKS4_PKT0_SA_ifPKiSC_iPKfiiiSE_SE_iiiii,"axG",@progbits,_ZN4vllm25paged_attention_v2_kernelI14__hip_bfloat16hLi32ELi32ELi128ELNS_18Fp8KVCacheDataTypeE1ELb1ELi512EEEvPfS3_PT_PKS4_PKT0_SA_ifPKiSC_iPKfiiiSE_SE_iiiii,comdat
	.protected	_ZN4vllm25paged_attention_v2_kernelI14__hip_bfloat16hLi32ELi32ELi128ELNS_18Fp8KVCacheDataTypeE1ELb1ELi512EEEvPfS3_PT_PKS4_PKT0_SA_ifPKiSC_iPKfiiiSE_SE_iiiii ; -- Begin function _ZN4vllm25paged_attention_v2_kernelI14__hip_bfloat16hLi32ELi32ELi128ELNS_18Fp8KVCacheDataTypeE1ELb1ELi512EEEvPfS3_PT_PKS4_PKT0_SA_ifPKiSC_iPKfiiiSE_SE_iiiii
	.globl	_ZN4vllm25paged_attention_v2_kernelI14__hip_bfloat16hLi32ELi32ELi128ELNS_18Fp8KVCacheDataTypeE1ELb1ELi512EEEvPfS3_PT_PKS4_PKT0_SA_ifPKiSC_iPKfiiiSE_SE_iiiii
	.p2align	8
	.type	_ZN4vllm25paged_attention_v2_kernelI14__hip_bfloat16hLi32ELi32ELi128ELNS_18Fp8KVCacheDataTypeE1ELb1ELi512EEEvPfS3_PT_PKS4_PKT0_SA_ifPKiSC_iPKfiiiSE_SE_iiiii,@function
_ZN4vllm25paged_attention_v2_kernelI14__hip_bfloat16hLi32ELi32ELi128ELNS_18Fp8KVCacheDataTypeE1ELb1ELi512EEEvPfS3_PT_PKS4_PKT0_SA_ifPKiSC_iPKfiiiSE_SE_iiiii: ; @_ZN4vllm25paged_attention_v2_kernelI14__hip_bfloat16hLi32ELi32ELi128ELNS_18Fp8KVCacheDataTypeE1ELb1ELi512EEEvPfS3_PT_PKS4_PKT0_SA_ifPKiSC_iPKfiiiSE_SE_iiiii
; %bb.0:
	s_mov_b32 s12, s13
	s_clause 0x7
	s_load_b128 s[4:7], s[0:1], 0x78
	s_load_b32 s8, s[0:1], 0x88
	s_load_b256 s[24:31], s[0:1], 0x0
	s_load_b256 s[36:43], s[0:1], 0x20
	s_load_b64 s[2:3], s[0:1], 0x40
	s_load_b64 s[10:11], s[0:1], 0x50
	s_load_b32 s13, s[0:1], 0x48
	s_load_b256 s[16:23], s[0:1], 0x58
	s_mov_b32 s32, 0
	v_mov_b32_e32 v31, v0
	s_waitcnt lgkmcnt(0)
	v_dual_mov_b32 v1, s7 :: v_dual_mov_b32 v2, s8
	v_dual_mov_b32 v0, s24 :: v_dual_mov_b32 v3, s27
	;; [unrolled: 1-line block ×3, first 2 shown]
	v_mov_b32_e32 v6, s30
	scratch_store_b64 off, v[1:2], s32
	v_dual_mov_b32 v1, s25 :: v_dual_mov_b32 v2, s26
	v_dual_mov_b32 v7, s31 :: v_dual_mov_b32 v8, s36
	;; [unrolled: 1-line block ×13, first 2 shown]
	s_add_u32 s8, s0, 0x90
	s_addc_u32 s9, s1, 0
	s_mov_b32 s13, s14
	s_mov_b32 s14, s15
	;; [unrolled: 1-line block ×3, first 2 shown]
	s_getpc_b64 s[0:1]
	s_add_u32 s0, s0, _ZN4vllm22paged_attention_kernelI14__hip_bfloat16hLi32ELi32ELi128ELNS_18Fp8KVCacheDataTypeE1ELb1ELi512EEEvPfS3_PT_PKS4_PKT0_SA_ifPKiSC_iPKfiiiSE_SE_iiiii@rel32@lo+4
	s_addc_u32 s1, s1, _ZN4vllm22paged_attention_kernelI14__hip_bfloat16hLi32ELi32ELi128ELNS_18Fp8KVCacheDataTypeE1ELb1ELi512EEEvPfS3_PT_PKS4_PKT0_SA_ifPKiSC_iPKfiiiSE_SE_iiiii@rel32@hi+12
	s_delay_alu instid0(SALU_CYCLE_1)
	s_swappc_b64 s[30:31], s[0:1]
	s_endpgm
	.section	.rodata,"a",@progbits
	.p2align	6, 0x0
	.amdhsa_kernel _ZN4vllm25paged_attention_v2_kernelI14__hip_bfloat16hLi32ELi32ELi128ELNS_18Fp8KVCacheDataTypeE1ELb1ELi512EEEvPfS3_PT_PKS4_PKT0_SA_ifPKiSC_iPKfiiiSE_SE_iiiii
		.amdhsa_group_segment_fixed_size 96
		.amdhsa_private_segment_fixed_size 52
		.amdhsa_kernarg_size 400
		.amdhsa_user_sgpr_count 13
		.amdhsa_user_sgpr_dispatch_ptr 0
		.amdhsa_user_sgpr_queue_ptr 0
		.amdhsa_user_sgpr_kernarg_segment_ptr 1
		.amdhsa_user_sgpr_dispatch_id 0
		.amdhsa_user_sgpr_private_segment_size 0
		.amdhsa_wavefront_size32 1
		.amdhsa_uses_dynamic_stack 0
		.amdhsa_enable_private_segment 1
		.amdhsa_system_sgpr_workgroup_id_x 1
		.amdhsa_system_sgpr_workgroup_id_y 1
		.amdhsa_system_sgpr_workgroup_id_z 1
		.amdhsa_system_sgpr_workgroup_info 0
		.amdhsa_system_vgpr_workitem_id 0
		.amdhsa_next_free_vgpr 184
		.amdhsa_next_free_sgpr 44
		.amdhsa_reserve_vcc 1
		.amdhsa_float_round_mode_32 0
		.amdhsa_float_round_mode_16_64 0
		.amdhsa_float_denorm_mode_32 3
		.amdhsa_float_denorm_mode_16_64 3
		.amdhsa_dx10_clamp 1
		.amdhsa_ieee_mode 1
		.amdhsa_fp16_overflow 0
		.amdhsa_workgroup_processor_mode 1
		.amdhsa_memory_ordered 1
		.amdhsa_forward_progress 0
		.amdhsa_shared_vgpr_count 0
		.amdhsa_exception_fp_ieee_invalid_op 0
		.amdhsa_exception_fp_denorm_src 0
		.amdhsa_exception_fp_ieee_div_zero 0
		.amdhsa_exception_fp_ieee_overflow 0
		.amdhsa_exception_fp_ieee_underflow 0
		.amdhsa_exception_fp_ieee_inexact 0
		.amdhsa_exception_int_div_zero 0
	.end_amdhsa_kernel
	.section	.text._ZN4vllm25paged_attention_v2_kernelI14__hip_bfloat16hLi32ELi32ELi128ELNS_18Fp8KVCacheDataTypeE1ELb1ELi512EEEvPfS3_PT_PKS4_PKT0_SA_ifPKiSC_iPKfiiiSE_SE_iiiii,"axG",@progbits,_ZN4vllm25paged_attention_v2_kernelI14__hip_bfloat16hLi32ELi32ELi128ELNS_18Fp8KVCacheDataTypeE1ELb1ELi512EEEvPfS3_PT_PKS4_PKT0_SA_ifPKiSC_iPKfiiiSE_SE_iiiii,comdat
.Lfunc_end435:
	.size	_ZN4vllm25paged_attention_v2_kernelI14__hip_bfloat16hLi32ELi32ELi128ELNS_18Fp8KVCacheDataTypeE1ELb1ELi512EEEvPfS3_PT_PKS4_PKT0_SA_ifPKiSC_iPKfiiiSE_SE_iiiii, .Lfunc_end435-_ZN4vllm25paged_attention_v2_kernelI14__hip_bfloat16hLi32ELi32ELi128ELNS_18Fp8KVCacheDataTypeE1ELb1ELi512EEEvPfS3_PT_PKS4_PKT0_SA_ifPKiSC_iPKfiiiSE_SE_iiiii
                                        ; -- End function
	.section	.AMDGPU.csdata,"",@progbits
; Kernel info:
; codeLenInByte = 280
; NumSgprs: 46
; NumVgprs: 184
; ScratchSize: 52
; MemoryBound: 0
; FloatMode: 240
; IeeeMode: 1
; LDSByteSize: 96 bytes/workgroup (compile time only)
; SGPRBlocks: 5
; VGPRBlocks: 22
; NumSGPRsForWavesPerEU: 46
; NumVGPRsForWavesPerEU: 184
; Occupancy: 8
; WaveLimiterHint : 1
; COMPUTE_PGM_RSRC2:SCRATCH_EN: 1
; COMPUTE_PGM_RSRC2:USER_SGPR: 13
; COMPUTE_PGM_RSRC2:TRAP_HANDLER: 0
; COMPUTE_PGM_RSRC2:TGID_X_EN: 1
; COMPUTE_PGM_RSRC2:TGID_Y_EN: 1
; COMPUTE_PGM_RSRC2:TGID_Z_EN: 1
; COMPUTE_PGM_RSRC2:TIDIG_COMP_CNT: 0
	.text
	.p2align	2                               ; -- Begin function _ZN4vllm22paged_attention_kernelI14__hip_bfloat16hLi64ELi32ELi128ELNS_18Fp8KVCacheDataTypeE1ELb1ELi512EEEvPfS3_PT_PKS4_PKT0_SA_ifPKiSC_iPKfiiiSE_SE_iiiii
	.type	_ZN4vllm22paged_attention_kernelI14__hip_bfloat16hLi64ELi32ELi128ELNS_18Fp8KVCacheDataTypeE1ELb1ELi512EEEvPfS3_PT_PKS4_PKT0_SA_ifPKiSC_iPKfiiiSE_SE_iiiii,@function
_ZN4vllm22paged_attention_kernelI14__hip_bfloat16hLi64ELi32ELi128ELNS_18Fp8KVCacheDataTypeE1ELb1ELi512EEEvPfS3_PT_PKS4_PKT0_SA_ifPKiSC_iPKfiiiSE_SE_iiiii: ; @_ZN4vllm22paged_attention_kernelI14__hip_bfloat16hLi64ELi32ELi128ELNS_18Fp8KVCacheDataTypeE1ELb1ELi512EEEvPfS3_PT_PKS4_PKT0_SA_ifPKiSC_iPKfiiiSE_SE_iiiii
; %bb.0:
	s_waitcnt vmcnt(0) expcnt(0) lgkmcnt(0)
	s_clause 0x1f
	scratch_store_b32 off, v40, s32 offset:292
	; meta instruction
	scratch_store_b32 off, v41, s32 offset:288
	; meta instruction
	;; [unrolled: 2-line block ×31, first 2 shown]
	scratch_store_b32 off, v95, s32 offset:168
	s_clause 0x1f
	scratch_store_b32 off, v104, s32 offset:164
	; meta instruction
	scratch_store_b32 off, v105, s32 offset:160
	; meta instruction
	;; [unrolled: 2-line block ×31, first 2 shown]
	scratch_store_b32 off, v159, s32 offset:40
	s_clause 0x7
	scratch_store_b32 off, v168, s32 offset:36
	; meta instruction
	scratch_store_b32 off, v169, s32 offset:32
	; meta instruction
	;; [unrolled: 2-line block ×7, first 2 shown]
	scratch_store_b32 off, v175, s32 offset:8
	s_mov_b32 s4, s13
	s_ashr_i32 s5, s13, 31
	s_lshl_b32 s3, s14, 9
	s_lshl_b64 s[0:1], s[4:5], 2
	s_mov_b32 s5, exec_lo
	v_add_co_u32 v16, vcc_lo, v16, s0
	v_add_co_ci_u32_e32 v17, vcc_lo, s1, v17, vcc_lo
	flat_load_b32 v38, v[16:17]
	s_clause 0x1
	scratch_load_b32 v32, off, s32 offset:4
	scratch_load_b32 v33, off, s32
	s_waitcnt vmcnt(2) lgkmcnt(0)
	v_cmpx_lt_i32_e64 s3, v38
	s_cbranch_execz .LBB436_1941
; %bb.1:
	v_sub_nc_u32_e32 v16, 0, v12
	s_clause 0x1
	s_load_b32 s0, s[8:9], 0x10
	s_load_b32 s1, s[8:9], 0x0
	s_mov_b32 s10, s15
	v_mov_b32_e32 v64, 0
	v_max_i32_e32 v16, v12, v16
	s_delay_alu instid0(VALU_DEP_1) | instskip(SKIP_1) | instid1(VALU_DEP_2)
	v_cvt_f32_u32_e32 v17, v16
	v_sub_nc_u32_e32 v34, 0, v16
	v_rcp_iflag_f32_e32 v17, v17
	s_waitcnt lgkmcnt(0)
	s_lshr_b32 s0, s0, 16
	s_delay_alu instid0(SALU_CYCLE_1) | instskip(SKIP_3) | instid1(SALU_CYCLE_1)
	s_cmp_lg_u32 s0, 0
	s_waitcnt_depctr 0xfff
	v_mul_f32_e32 v17, 0x4f7ffffe, v17
	s_cselect_b32 s0, -1, 0
	s_cmp_lg_u32 s0, 0
	s_delay_alu instid0(VALU_DEP_1) | instskip(SKIP_3) | instid1(VALU_DEP_1)
	v_cvt_u32_f32_e32 v17, v17
	s_addc_u32 s18, s1, 0
	s_mov_b32 s1, exec_lo
	s_abs_i32 s0, s18
	v_mul_lo_u32 v34, v34, v17
	s_delay_alu instid0(VALU_DEP_1) | instskip(NEXT) | instid1(VALU_DEP_1)
	v_mul_hi_u32 v34, v17, v34
	v_add_nc_u32_e32 v17, v17, v34
	s_delay_alu instid0(VALU_DEP_1) | instskip(NEXT) | instid1(VALU_DEP_1)
	v_mul_hi_u32 v17, s0, v17
	v_mul_lo_u32 v34, v17, v16
	v_add_nc_u32_e32 v35, 1, v17
	s_delay_alu instid0(VALU_DEP_2) | instskip(SKIP_1) | instid1(VALU_DEP_1)
	v_sub_nc_u32_e32 v34, s0, v34
	s_abs_i32 s0, s12
	v_sub_nc_u32_e32 v36, v34, v16
	v_cmp_ge_u32_e32 vcc_lo, v34, v16
	s_delay_alu instid0(VALU_DEP_2) | instskip(SKIP_1) | instid1(VALU_DEP_2)
	v_dual_cndmask_b32 v17, v17, v35 :: v_dual_cndmask_b32 v34, v34, v36
	v_xor_b32_e32 v35, s18, v12
	v_add_nc_u32_e32 v36, 1, v17
	s_delay_alu instid0(VALU_DEP_3) | instskip(NEXT) | instid1(VALU_DEP_3)
	v_cmp_ge_u32_e32 vcc_lo, v34, v16
	v_ashrrev_i32_e32 v35, 31, v35
	s_delay_alu instid0(VALU_DEP_3) | instskip(NEXT) | instid1(VALU_DEP_1)
	v_cndmask_b32_e32 v16, v17, v36, vcc_lo
	v_xor_b32_e32 v16, v16, v35
	s_delay_alu instid0(VALU_DEP_1) | instskip(NEXT) | instid1(VALU_DEP_1)
	v_sub_nc_u32_e32 v35, v16, v35
	v_sub_nc_u32_e32 v16, 0, v35
	s_delay_alu instid0(VALU_DEP_1) | instskip(NEXT) | instid1(VALU_DEP_1)
	v_max_i32_e32 v34, v35, v16
	v_cvt_f32_u32_e32 v16, v34
	v_sub_nc_u32_e32 v17, 0, v34
	s_delay_alu instid0(VALU_DEP_2) | instskip(SKIP_2) | instid1(VALU_DEP_1)
	v_rcp_iflag_f32_e32 v16, v16
	s_waitcnt_depctr 0xfff
	v_mul_f32_e32 v16, 0x4f7ffffe, v16
	v_cvt_u32_f32_e32 v16, v16
	s_delay_alu instid0(VALU_DEP_1) | instskip(NEXT) | instid1(VALU_DEP_1)
	v_mul_lo_u32 v17, v17, v16
	v_mul_hi_u32 v17, v16, v17
	s_delay_alu instid0(VALU_DEP_1) | instskip(NEXT) | instid1(VALU_DEP_1)
	v_add_nc_u32_e32 v36, v16, v17
	v_mad_u64_u32 v[16:17], null, s0, v36, 0
	v_cmpx_ne_u64_e32 0, v[19:20]
	s_cbranch_execz .LBB436_3
; %bb.2:
	s_ashr_i32 s13, s12, 31
	s_delay_alu instid0(SALU_CYCLE_1) | instskip(NEXT) | instid1(SALU_CYCLE_1)
	s_lshl_b64 s[6:7], s[12:13], 2
	v_add_co_u32 v19, vcc_lo, v19, s6
	v_add_co_ci_u32_e32 v20, vcc_lo, s7, v20, vcc_lo
	flat_load_b32 v64, v[19:20]
.LBB436_3:
	s_or_b32 exec_lo, exec_lo, s1
	v_and_b32_e32 v37, 0x3ff, v31
	v_ashrrev_i32_e32 v16, 31, v35
	s_ashr_i32 s1, s12, 31
	s_lshl_b32 s6, s12, 6
	s_mov_b32 s2, exec_lo
	v_cmpx_gt_u32_e32 8, v37
	s_cbranch_execz .LBB436_5
; %bb.4:
	v_mul_lo_u32 v19, s4, v21
	s_ashr_i32 s7, s6, 31
	v_lshlrev_b32_e32 v21, 4, v37
	s_lshl_b64 s[16:17], s[6:7], 1
	s_delay_alu instid0(VALU_DEP_2) | instskip(NEXT) | instid1(VALU_DEP_1)
	v_ashrrev_i32_e32 v20, 31, v19
	v_lshlrev_b64 v[19:20], 1, v[19:20]
	s_delay_alu instid0(VALU_DEP_1) | instskip(NEXT) | instid1(VALU_DEP_2)
	v_add_co_u32 v6, vcc_lo, v6, v19
	v_add_co_ci_u32_e32 v7, vcc_lo, v7, v20, vcc_lo
	s_delay_alu instid0(VALU_DEP_2) | instskip(NEXT) | instid1(VALU_DEP_2)
	v_add_co_u32 v6, vcc_lo, v6, s16
	v_add_co_ci_u32_e32 v7, vcc_lo, s17, v7, vcc_lo
	s_delay_alu instid0(VALU_DEP_2) | instskip(NEXT) | instid1(VALU_DEP_2)
	v_add_co_u32 v6, vcc_lo, v6, v21
	v_add_co_ci_u32_e32 v7, vcc_lo, 0, v7, vcc_lo
	flat_load_b128 v[48:51], v[6:7]
	s_waitcnt vmcnt(0) lgkmcnt(0)
	ds_store_b128 v21, v[48:51]
.LBB436_5:
	s_or_b32 exec_lo, exec_lo, s2
	s_waitcnt vmcnt(0)
	v_sub_nc_u32_e32 v6, 0, v33
	v_mul_lo_u32 v7, v17, v34
	v_add_nc_u32_e32 v20, 1, v17
	v_xor_b32_e32 v16, s1, v16
	s_waitcnt lgkmcnt(0)
	s_waitcnt_vscnt null, 0x0
	v_max_i32_e32 v21, v33, v6
	s_barrier
	buffer_gl0_inv
	v_sub_nc_u32_e32 v7, s0, v7
	v_cvt_f32_u32_e32 v6, v21
	v_sub_nc_u32_e32 v19, 0, v21
	s_mov_b32 s0, exec_lo
	s_delay_alu instid0(VALU_DEP_3) | instskip(NEXT) | instid1(VALU_DEP_3)
	v_sub_nc_u32_e32 v31, v7, v34
	v_rcp_iflag_f32_e32 v6, v6
	v_cmp_ge_u32_e32 vcc_lo, v7, v34
	v_dual_cndmask_b32 v20, v17, v20 :: v_dual_add_nc_u32 v17, -1, v38
	s_waitcnt_depctr 0xfff
	v_dual_cndmask_b32 v7, v7, v31 :: v_dual_mul_f32 v6, 0x4f7ffffe, v6
	v_add_nc_u32_e32 v31, 1, v20
	s_delay_alu instid0(VALU_DEP_2) | instskip(NEXT) | instid1(VALU_DEP_3)
	v_cmp_ge_u32_e32 vcc_lo, v7, v34
	v_cvt_u32_f32_e32 v6, v6
	s_delay_alu instid0(VALU_DEP_3) | instskip(NEXT) | instid1(VALU_DEP_2)
	v_cndmask_b32_e32 v7, v20, v31, vcc_lo
	v_mul_lo_u32 v19, v19, v6
	s_delay_alu instid0(VALU_DEP_2) | instskip(NEXT) | instid1(VALU_DEP_2)
	v_xor_b32_e32 v20, v7, v16
	v_mul_hi_u32 v35, v6, v19
	v_sub_nc_u32_e32 v19, 0, v17
	s_delay_alu instid0(VALU_DEP_1) | instskip(NEXT) | instid1(VALU_DEP_3)
	v_max_i32_e32 v19, v17, v19
	v_add_nc_u32_e32 v39, v6, v35
	s_delay_alu instid0(VALU_DEP_1)
	v_mad_u64_u32 v[6:7], null, v19, v39, 0
	v_sub_nc_u32_e32 v6, v20, v16
                                        ; implicit-def: $vgpr16
	v_cmpx_gt_i32_e32 0, v32
	s_xor_b32 s0, exec_lo, s0
; %bb.6:
	s_delay_alu instid0(VALU_DEP_2) | instskip(NEXT) | instid1(VALU_DEP_1)
	v_mad_u64_u32 v[34:35], null, v28, v12, v[6:7]
                                        ; implicit-def: $vgpr28
	v_mul_lo_u32 v12, v34, v32
                                        ; implicit-def: $vgpr32
	s_delay_alu instid0(VALU_DEP_1)
	v_sub_nc_u32_e32 v16, 1, v12
; %bb.7:
	s_or_saveexec_b32 s0, s0
	v_ashrrev_i32_e32 v12, 31, v17
	v_ashrrev_i32_e32 v50, 31, v33
	s_xor_b32 exec_lo, exec_lo, s0
; %bb.8:
	v_mad_u64_u32 v[33:34], null, s18, v28, s[12:13]
	s_delay_alu instid0(VALU_DEP_1)
	v_mad_u64_u32 v[16:17], null, v33, v32, 1
; %bb.9:
	s_or_b32 exec_lo, exec_lo, s0
	v_mul_lo_u32 v17, v7, v21
	v_xor_b32_e32 v28, v12, v50
	s_clause 0x1
	s_load_b32 s15, s[8:9], 0x14
	s_load_b32 s7, s[8:9], 0x8
	v_lshrrev_b32_e32 v48, 5, v37
	s_lshl_b32 s13, s14, 4
	v_and_b32_e32 v49, 31, v37
	s_add_i32 s0, s13, 16
	v_sub_nc_u32_e32 v54, 0, v30
	v_sub_nc_u32_e32 v17, v19, v17
	v_mul_lo_u32 v19, s4, v18
	v_add_nc_u32_e32 v18, 1, v7
	v_dual_mov_b32 v166, 0xff7fffff :: v_dual_lshlrev_b32 v65, 2, v49
	s_delay_alu instid0(VALU_DEP_4) | instskip(SKIP_1) | instid1(VALU_DEP_2)
	v_sub_nc_u32_e32 v31, v17, v21
	v_cmp_ge_u32_e32 vcc_lo, v17, v21
	v_dual_cndmask_b32 v17, v17, v31 :: v_dual_add_nc_u32 v20, 31, v38
	s_delay_alu instid0(VALU_DEP_1) | instskip(SKIP_1) | instid1(VALU_DEP_3)
	v_ashrrev_i32_e32 v12, 31, v20
	v_cndmask_b32_e32 v7, v7, v18, vcc_lo
	v_cmp_ge_u32_e32 vcc_lo, v17, v21
	s_delay_alu instid0(VALU_DEP_3) | instskip(NEXT) | instid1(VALU_DEP_3)
	v_lshrrev_b32_e32 v12, 27, v12
	v_add_nc_u32_e32 v18, 1, v7
	v_add_nc_u32_e32 v17, s13, v48
	s_delay_alu instid0(VALU_DEP_2) | instskip(SKIP_2) | instid1(VALU_DEP_4)
	v_dual_cndmask_b32 v7, v7, v18 :: v_dual_add_nc_u32 v20, v20, v12
	v_mul_lo_u32 v12, v6, v23
	v_lshl_add_u32 v23, v48, 5, s3
	v_ashrrev_i32_e32 v18, 31, v17
	s_delay_alu instid0(VALU_DEP_4) | instskip(SKIP_2) | instid1(VALU_DEP_3)
	v_ashrrev_i32_e32 v53, 5, v20
	v_xor_b32_e32 v6, v7, v28
	v_ashrrev_i32_e32 v20, 31, v19
	v_min_i32_e32 v51, s0, v53
	s_delay_alu instid0(VALU_DEP_3) | instskip(NEXT) | instid1(VALU_DEP_3)
	v_sub_nc_u32_e32 v28, v6, v28
	v_lshlrev_b64 v[6:7], 2, v[19:20]
	v_ashrrev_i32_e32 v55, 31, v12
	s_delay_alu instid0(VALU_DEP_4) | instskip(NEXT) | instid1(VALU_DEP_4)
	v_cmp_lt_i32_e64 s0, v17, v51
	v_sub_nc_u32_e32 v52, v28, v29
	s_delay_alu instid0(VALU_DEP_2)
	s_and_saveexec_b32 s19, s0
	s_cbranch_execz .LBB436_785
; %bb.10:
	v_dual_mov_b32 v20, 0 :: v_dual_lshlrev_b32 v19, 4, v49
	v_add_co_u32 v8, vcc_lo, v8, v12
	v_max_i32_e32 v132, v30, v54
	ds_load_b128 v[31:34], v20
	ds_load_b128 v[96:99], v20 offset:16
	v_add_co_ci_u32_e32 v9, vcc_lo, v9, v55, vcc_lo
	v_add_co_u32 v8, vcc_lo, v8, v19
	v_cvt_f32_u32_e32 v19, v132
	ds_load_b128 v[112:115], v20 offset:32
	ds_load_b128 v[128:131], v20 offset:48
	;; [unrolled: 1-line block ×3, first 2 shown]
	v_sub_nc_u32_e32 v28, 0, v132
	v_rcp_iflag_f32_e32 v19, v19
	s_getpc_b64 s[8:9]
	s_add_u32 s8, s8, llvm.amdgcn.dynlds.offset.table@rel32@lo+4
	s_addc_u32 s9, s9, llvm.amdgcn.dynlds.offset.table@rel32@hi+12
	s_ashr_i32 s11, s10, 31
	v_add_co_ci_u32_e32 v9, vcc_lo, 0, v9, vcc_lo
	s_lshl_b64 s[16:17], s[10:11], 2
	v_cmp_neq_f32_e32 vcc_lo, 0, v64
	s_add_u32 s8, s16, s8
	s_addc_u32 s9, s17, s9
	s_waitcnt lgkmcnt(0)
	v_lshlrev_b32_e32 v66, 16, v31
	v_dual_mov_b32 v56, v17 :: v_dual_and_b32 v67, 0xffff0000, v31
	s_waitcnt_depctr 0xfff
	v_dual_mul_f32 v19, 0x4f7ffffe, v19 :: v_dual_lshlrev_b32 v68, 16, v32
	v_and_b32_e32 v69, 0xffff0000, v32
	v_lshlrev_b32_e32 v70, 16, v33
	v_and_b32_e32 v71, 0xffff0000, v33
	v_lshlrev_b32_e32 v80, 16, v34
	v_and_b32_e32 v81, 0xffff0000, v34
	ds_load_b128 v[31:34], v20 offset:64
	ds_load_b128 v[160:163], v20 offset:80
	v_lshlrev_b32_e32 v82, 16, v96
	v_and_b32_e32 v83, 0xffff0000, v96
	v_lshlrev_b32_e32 v84, 16, v97
	v_and_b32_e32 v85, 0xffff0000, v97
	;; [unrolled: 2-line block ×12, first 2 shown]
	s_waitcnt lgkmcnt(1)
	v_lshlrev_b32_e32 v130, 16, v31
	v_and_b32_e32 v131, 0xffff0000, v31
	v_dual_mov_b32 v166, 0xff7fffff :: v_dual_lshlrev_b32 v133, 16, v32
	v_and_b32_e32 v134, 0xffff0000, v32
	v_lshlrev_b32_e32 v135, 16, v33
	v_and_b32_e32 v144, 0xffff0000, v33
	v_lshlrev_b32_e32 v145, 16, v34
	v_and_b32_e32 v146, 0xffff0000, v34
	ds_load_b128 v[31:34], v20 offset:112
	v_cvt_u32_f32_e32 v19, v19
	s_load_b32 s11, s[8:9], 0x0
	s_waitcnt lgkmcnt(0)
	v_lshlrev_b32_e32 v147, 16, v160
	v_and_b32_e32 v148, 0xffff0000, v160
	v_lshlrev_b32_e32 v149, 16, v161
	v_mul_lo_u32 v28, v28, v19
	v_and_b32_e32 v150, 0xffff0000, v161
	v_lshlrev_b32_e32 v151, 16, v162
	v_and_b32_e32 v160, 0xffff0000, v162
	v_lshlrev_b32_e32 v161, 16, v163
	v_and_b32_e32 v162, 0xffff0000, v163
	v_lshlrev_b32_e32 v163, 16, v176
	v_and_b32_e32 v164, 0xffff0000, v176
	v_lshlrev_b32_e32 v165, 16, v177
	v_and_b32_e32 v167, 0xffff0000, v177
	v_lshlrev_b32_e32 v176, 16, v178
	v_and_b32_e32 v177, 0xffff0000, v178
	v_lshlrev_b32_e32 v178, 16, v179
	v_and_b32_e32 v179, 0xffff0000, v179
	v_lshlrev_b32_e32 v180, 16, v31
	v_and_b32_e32 v181, 0xffff0000, v31
	v_mul_hi_u32 v31, v19, v28
	v_lshlrev_b64 v[28:29], 2, v[17:18]
	v_lshlrev_b32_e32 v182, 16, v32
	v_and_b32_e32 v183, 0xffff0000, v32
	v_lshlrev_b32_e32 v40, 16, v33
	v_and_b32_e32 v41, 0xffff0000, v33
	;; [unrolled: 2-line block ×3, first 2 shown]
	v_add_nc_u32_e32 v44, v19, v31
	v_add_co_u32 v19, s1, v6, v28
	s_delay_alu instid0(VALU_DEP_1) | instskip(SKIP_1) | instid1(VALU_DEP_3)
	v_add_co_ci_u32_e64 v29, s1, v7, v29, s1
	v_sub_nc_u32_e32 v31, v49, v38
	v_add_co_u32 v28, s1, v14, v19
	s_delay_alu instid0(VALU_DEP_1)
	v_add_co_ci_u32_e64 v29, s1, v15, v29, s1
	v_lshl_add_u32 v45, v48, 5, s3
	v_lshl_or_b32 v46, v48, 7, v65
	v_add_nc_u32_e32 v47, 1, v31
	s_mov_b32 s16, -1
	s_mov_b32 s17, 0xffffff
	s_mov_b32 s20, 0
	s_branch .LBB436_13
.LBB436_11:                             ;   in Loop: Header=BB436_13 Depth=1
	s_or_b32 exec_lo, exec_lo, s21
	v_and_b32_e32 v75, 0xffff0000, v75
	v_and_b32_e32 v32, 0xffff0000, v158
	v_and_b32_e32 v78, 0xffff0000, v78
	v_and_b32_e32 v74, 0xffff0000, v74
	v_and_b32_e32 v59, 0xffff0000, v59
	v_dual_mul_f32 v75, v83, v75 :: v_dual_and_b32 v168, 0xffff0000, v168
	v_and_b32_e32 v89, 0xffff0000, v89
	s_delay_alu instid0(VALU_DEP_4) | instskip(NEXT) | instid1(VALU_DEP_3)
	v_dual_mul_f32 v74, v82, v74 :: v_dual_and_b32 v31, 0xffff0000, v35
	v_dual_fmac_f32 v75, v67, v59 :: v_dual_and_b32 v58, 0xffff0000, v156
	v_dual_mul_f32 v59, v86, v78 :: v_dual_and_b32 v36, 0xffff0000, v36
	s_delay_alu instid0(VALU_DEP_4)
	v_dual_mul_f32 v78, v97, v89 :: v_dual_and_b32 v139, 0xffff0000, v139
	v_and_b32_e32 v77, 0xffff0000, v77
	v_and_b32_e32 v57, 0xffff0000, v57
	;; [unrolled: 1-line block ×5, first 2 shown]
	s_delay_alu instid0(VALU_DEP_4) | instskip(NEXT) | instid1(VALU_DEP_4)
	v_dual_fmac_f32 v74, v66, v57 :: v_dual_and_b32 v127, 0xffff0000, v127
	v_fmac_f32_e32 v78, v81, v73
	v_and_b32_e32 v61, 0xffff0000, v61
	v_dual_mul_f32 v57, v85, v77 :: v_dual_and_b32 v142, 0xffff0000, v142
	v_and_b32_e32 v62, 0xffff0000, v62
	v_and_b32_e32 v140, 0xffff0000, v140
	s_delay_alu instid0(VALU_DEP_3) | instskip(SKIP_1) | instid1(VALU_DEP_4)
	v_dual_fmac_f32 v57, v69, v61 :: v_dual_and_b32 v90, 0xffff0000, v90
	v_and_b32_e32 v88, 0xffff0000, v88
	v_dual_fmac_f32 v59, v70, v62 :: v_dual_and_b32 v156, 0xffff0000, v159
	v_and_b32_e32 v105, 0xffff0000, v105
	v_and_b32_e32 v111, 0xffff0000, v111
	s_delay_alu instid0(VALU_DEP_4)
	v_mul_f32_e32 v77, v96, v88
	v_and_b32_e32 v169, 0xffff0000, v169
	v_and_b32_e32 v76, 0xffff0000, v76
	v_and_b32_e32 v35, 0xffff0000, v157
	v_and_b32_e32 v158, 0xffff0000, v172
	v_and_b32_e32 v72, 0xffff0000, v72
	v_and_b32_e32 v159, 0xffff0000, v171
	v_and_b32_e32 v60, 0xffff0000, v60
	v_mul_f32_e32 v76, v84, v76
	v_fmac_f32_e32 v78, v113, v105
	v_and_b32_e32 v93, 0xffff0000, v93
	v_and_b32_e32 v143, 0xffff0000, v143
	v_dual_fmac_f32 v77, v80, v72 :: v_dual_and_b32 v138, 0xffff0000, v138
	s_delay_alu instid0(VALU_DEP_3)
	v_dual_fmac_f32 v57, v101, v93 :: v_dual_and_b32 v126, 0xffff0000, v126
	v_dual_fmac_f32 v74, v98, v90 :: v_dual_and_b32 v125, 0xffff0000, v125
	v_and_b32_e32 v92, 0xffff0000, v92
	v_and_b32_e32 v104, 0xffff0000, v104
	v_dual_fmac_f32 v76, v68, v60 :: v_dual_and_b32 v123, 0xffff0000, v123
	v_and_b32_e32 v122, 0xffff0000, v122
	s_load_b32 s21, s[8:9], 0x0
	s_delay_alu instid0(VALU_DEP_3) | instskip(NEXT) | instid1(VALU_DEP_3)
	v_dual_fmac_f32 v77, v112, v104 :: v_dual_and_b32 v94, 0xffff0000, v94
	v_fmac_f32_e32 v76, v100, v92
	v_and_b32_e32 v106, 0xffff0000, v106
	v_and_b32_e32 v109, 0xffff0000, v109
	s_delay_alu instid0(VALU_DEP_4) | instskip(NEXT) | instid1(VALU_DEP_3)
	v_dual_fmac_f32 v59, v102, v94 :: v_dual_and_b32 v124, 0xffff0000, v124
	v_dual_fmac_f32 v74, v114, v106 :: v_dual_and_b32 v19, 0xffff0000, v19
	s_delay_alu instid0(VALU_DEP_3) | instskip(SKIP_1) | instid1(VALU_DEP_3)
	v_dual_fmac_f32 v57, v117, v109 :: v_dual_and_b32 v110, 0xffff0000, v110
	v_and_b32_e32 v108, 0xffff0000, v108
	v_dual_fmac_f32 v74, v130, v122 :: v_dual_and_b32 v121, 0xffff0000, v121
	s_delay_alu instid0(VALU_DEP_3) | instskip(NEXT) | instid1(VALU_DEP_3)
	v_fmac_f32_e32 v59, v118, v110
	v_dual_fmac_f32 v76, v116, v108 :: v_dual_and_b32 v107, 0xffff0000, v107
	v_and_b32_e32 v95, 0xffff0000, v95
	s_delay_alu instid0(VALU_DEP_4) | instskip(NEXT) | instid1(VALU_DEP_3)
	v_dual_fmac_f32 v74, v147, v138 :: v_dual_and_b32 v91, 0xffff0000, v91
	v_dual_fmac_f32 v59, v135, v126 :: v_dual_fmac_f32 v76, v133, v124
	s_delay_alu instid0(VALU_DEP_2) | instskip(SKIP_1) | instid1(VALU_DEP_3)
	v_dual_fmac_f32 v75, v99, v91 :: v_dual_and_b32 v152, 0xffff0000, v152
	v_dual_fmac_f32 v78, v129, v121 :: v_dual_and_b32 v79, 0xffff0000, v79
	v_dual_fmac_f32 v76, v149, v140 :: v_dual_fmac_f32 v59, v151, v142
	s_delay_alu instid0(VALU_DEP_2) | instskip(NEXT) | instid1(VALU_DEP_4)
	v_dual_mul_f32 v60, v87, v79 :: v_dual_and_b32 v141, 0xffff0000, v141
	v_dual_fmac_f32 v75, v115, v107 :: v_dual_and_b32 v136, 0xffff0000, v136
	s_delay_alu instid0(VALU_DEP_3) | instskip(NEXT) | instid1(VALU_DEP_4)
	v_dual_fmac_f32 v59, v176, v32 :: v_dual_and_b32 v170, 0xffff0000, v170
	v_dual_fmac_f32 v76, v165, v58 :: v_dual_and_b32 v63, 0xffff0000, v63
	s_delay_alu instid0(VALU_DEP_3) | instskip(SKIP_1) | instid1(VALU_DEP_3)
	v_dual_fmac_f32 v75, v131, v123 :: v_dual_and_b32 v120, 0xffff0000, v120
	v_fmac_f32_e32 v57, v134, v125
	v_dual_fmac_f32 v76, v182, v170 :: v_dual_and_b32 v153, 0xffff0000, v153
	s_delay_alu instid0(VALU_DEP_4) | instskip(NEXT) | instid1(VALU_DEP_4)
	v_dual_fmac_f32 v60, v71, v63 :: v_dual_and_b32 v137, 0xffff0000, v137
	v_dual_fmac_f32 v75, v148, v139 :: v_dual_fmac_f32 v74, v163, v154
	s_delay_alu instid0(VALU_DEP_2) | instskip(NEXT) | instid1(VALU_DEP_2)
	v_dual_fmac_f32 v77, v128, v120 :: v_dual_fmac_f32 v60, v103, v95
	v_dual_fmac_f32 v78, v146, v137 :: v_dual_fmac_f32 v75, v164, v155
	s_delay_alu instid0(VALU_DEP_3) | instskip(NEXT) | instid1(VALU_DEP_3)
	v_dual_fmac_f32 v57, v150, v141 :: v_dual_fmac_f32 v74, v180, v168
	v_fmac_f32_e32 v60, v119, v111
	s_delay_alu instid0(VALU_DEP_3) | instskip(SKIP_1) | instid1(VALU_DEP_4)
	v_fmac_f32_e32 v78, v162, v153
	v_dual_fmac_f32 v77, v145, v136 :: v_dual_and_b32 v34, 0xffff0000, v34
	v_fmac_f32_e32 v57, v167, v35
	s_delay_alu instid0(VALU_DEP_4) | instskip(NEXT) | instid1(VALU_DEP_4)
	v_fmac_f32_e32 v60, v144, v127
	v_dual_fmac_f32 v78, v179, v156 :: v_dual_fmac_f32 v75, v181, v169
	s_delay_alu instid0(VALU_DEP_4) | instskip(NEXT) | instid1(VALU_DEP_4)
	v_fmac_f32_e32 v77, v161, v152
	v_fmac_f32_e32 v57, v183, v159
	s_delay_alu instid0(VALU_DEP_4) | instskip(SKIP_3) | instid1(VALU_DEP_4)
	v_fmac_f32_e32 v60, v160, v143
	v_fmac_f32_e32 v59, v40, v158
	v_add_f32_e32 v35, v74, v75
	v_fmac_f32_e32 v78, v43, v19
	v_dual_fmac_f32 v60, v177, v31 :: v_dual_add_nc_u32 v157, v47, v45
	s_delay_alu instid0(VALU_DEP_3) | instskip(NEXT) | instid1(VALU_DEP_2)
	v_add_f32_e32 v32, v35, v76
	v_fmac_f32_e32 v60, v41, v34
	s_delay_alu instid0(VALU_DEP_2) | instskip(SKIP_2) | instid1(VALU_DEP_1)
	v_dual_add_f32 v31, v57, v32 :: v_dual_and_b32 v32, 0xffff0000, v33
	v_fmac_f32_e32 v77, v178, v36
	v_cvt_f32_i32_e32 v33, v157
	v_dual_fmac_f32 v77, v42, v32 :: v_dual_mul_f32 v32, v64, v33
	s_delay_alu instid0(VALU_DEP_4) | instskip(NEXT) | instid1(VALU_DEP_1)
	v_add_f32_e32 v31, v59, v31
	v_add_f32_e32 v31, v60, v31
	s_delay_alu instid0(VALU_DEP_1) | instskip(NEXT) | instid1(VALU_DEP_4)
	v_add_f32_e32 v19, v77, v31
	v_dual_cndmask_b32 v31, 0, v32 :: v_dual_add_nc_u32 v32, v49, v45
	s_delay_alu instid0(VALU_DEP_1) | instskip(SKIP_1) | instid1(VALU_DEP_3)
	v_cmp_lt_i32_e64 s1, v32, v38
	s_waitcnt lgkmcnt(0)
	v_dual_add_f32 v19, v78, v19 :: v_dual_add_nc_u32 v32, s21, v46
	s_delay_alu instid0(VALU_DEP_1) | instskip(SKIP_1) | instid1(VALU_DEP_1)
	v_fmac_f32_e32 v31, v19, v13
	v_max_f32_e32 v19, v166, v166
	v_max_f32_e32 v19, v19, v31
	v_cndmask_b32_e64 v31, 0, v31, s1
	s_delay_alu instid0(VALU_DEP_2)
	v_cndmask_b32_e64 v166, v166, v19, s1
	ds_store_b32 v32, v31
.LBB436_12:                             ;   in Loop: Header=BB436_13 Depth=1
	s_or_b32 exec_lo, exec_lo, s2
	v_add_nc_u32_e32 v56, 4, v56
	v_add_co_u32 v28, s2, v28, 16
	s_delay_alu instid0(VALU_DEP_1) | instskip(NEXT) | instid1(VALU_DEP_3)
	v_add_co_ci_u32_e64 v29, s2, 0, v29, s2
	v_cmp_ge_i32_e64 s1, v56, v51
	v_add_nc_u32_e32 v45, 0x80, v45
	v_add_nc_u32_e32 v46, 0x200, v46
	s_delay_alu instid0(VALU_DEP_3) | instskip(NEXT) | instid1(SALU_CYCLE_1)
	s_or_b32 s20, s1, s20
	s_and_not1_b32 exec_lo, exec_lo, s20
	s_cbranch_execz .LBB436_784
.LBB436_13:                             ; =>This Inner Loop Header: Depth=1
	v_sub_nc_u32_e32 v19, 0, v45
	s_delay_alu instid0(VALU_DEP_1) | instskip(NEXT) | instid1(VALU_DEP_1)
	v_max_i32_e32 v19, v45, v19
	v_mul_hi_u32 v31, v19, v39
	s_delay_alu instid0(VALU_DEP_1) | instskip(NEXT) | instid1(VALU_DEP_1)
	v_mul_lo_u32 v32, v31, v21
	v_sub_nc_u32_e32 v19, v19, v32
	v_add_nc_u32_e32 v32, 1, v31
	s_delay_alu instid0(VALU_DEP_2) | instskip(SKIP_1) | instid1(VALU_DEP_1)
	v_sub_nc_u32_e32 v33, v19, v21
	v_cmp_ge_u32_e64 s1, v19, v21
	v_cndmask_b32_e64 v31, v31, v32, s1
	s_delay_alu instid0(VALU_DEP_3) | instskip(SKIP_1) | instid1(VALU_DEP_3)
	v_cndmask_b32_e64 v19, v19, v33, s1
	v_ashrrev_i32_e32 v32, 31, v45
	v_add_nc_u32_e32 v33, 1, v31
	s_delay_alu instid0(VALU_DEP_3) | instskip(NEXT) | instid1(VALU_DEP_3)
	v_cmp_ge_u32_e64 s1, v19, v21
	v_xor_b32_e32 v32, v32, v50
	s_delay_alu instid0(VALU_DEP_2) | instskip(NEXT) | instid1(VALU_DEP_1)
	v_cndmask_b32_e64 v19, v31, v33, s1
	v_xor_b32_e32 v19, v19, v32
	s_delay_alu instid0(VALU_DEP_1) | instskip(NEXT) | instid1(VALU_DEP_1)
	v_sub_nc_u32_e32 v19, v19, v32
	v_add_nc_u32_e32 v31, v19, v16
	v_cmp_le_i32_e64 s2, v19, v52
	s_delay_alu instid0(VALU_DEP_2) | instskip(NEXT) | instid1(VALU_DEP_1)
	v_sub_nc_u32_e32 v32, 0, v31
	v_max_i32_e32 v32, v31, v32
	v_ashrrev_i32_e32 v31, 31, v31
	s_delay_alu instid0(VALU_DEP_2) | instskip(NEXT) | instid1(VALU_DEP_1)
	v_mul_hi_u32 v33, v32, v44
	v_mul_lo_u32 v33, v33, v132
	s_delay_alu instid0(VALU_DEP_1) | instskip(NEXT) | instid1(VALU_DEP_1)
	v_sub_nc_u32_e32 v32, v32, v33
	v_sub_nc_u32_e32 v33, v32, v132
	v_cmp_ge_u32_e64 s1, v32, v132
	s_delay_alu instid0(VALU_DEP_1) | instskip(NEXT) | instid1(VALU_DEP_1)
	v_cndmask_b32_e64 v32, v32, v33, s1
	v_sub_nc_u32_e32 v33, v32, v132
	v_cmp_ge_u32_e64 s1, v32, v132
	s_delay_alu instid0(VALU_DEP_1) | instskip(NEXT) | instid1(VALU_DEP_1)
	v_cndmask_b32_e64 v32, v32, v33, s1
	v_xor_b32_e32 v32, v32, v31
	s_delay_alu instid0(VALU_DEP_1) | instskip(NEXT) | instid1(VALU_DEP_1)
	v_sub_nc_u32_e32 v31, v32, v31
	v_cmp_ne_u32_e64 s1, 0, v31
	s_delay_alu instid0(VALU_DEP_1) | instskip(NEXT) | instid1(SALU_CYCLE_1)
	s_and_b32 s1, s1, s2
	s_and_saveexec_b32 s2, s1
	s_delay_alu instid0(SALU_CYCLE_1)
	s_xor_b32 s1, exec_lo, s2
	s_cbranch_execz .LBB436_15
; %bb.14:                               ;   in Loop: Header=BB436_13 Depth=1
	v_add_nc_u32_e32 v19, s11, v46
	v_mov_b32_e32 v31, 0xff7fffff
	ds_store_b32 v19, v31
.LBB436_15:                             ;   in Loop: Header=BB436_13 Depth=1
	s_and_not1_saveexec_b32 s2, s1
	s_cbranch_execz .LBB436_12
; %bb.16:                               ;   in Loop: Header=BB436_13 Depth=1
	flat_load_b32 v19, v[28:29]
	s_mov_b32 s21, exec_lo
	s_waitcnt vmcnt(0) lgkmcnt(0)
	v_mad_i64_i32 v[31:32], null, v19, v22, v[8:9]
	v_mov_b32_e32 v19, 0
	flat_load_b64 v[33:34], v[31:32]
	flat_load_b32 v58, v[24:25]
	s_waitcnt vmcnt(1) lgkmcnt(1)
	v_and_b32_e32 v35, 0xff, v33
	s_delay_alu instid0(VALU_DEP_1)
	v_cmpx_ne_u16_e32 0, v35
	s_cbranch_execz .LBB436_24
; %bb.17:                               ;   in Loop: Header=BB436_13 Depth=1
	v_bfrev_b32_e32 v19, 1
	s_mov_b32 s22, exec_lo
	v_cmpx_ne_u16_e32 0x80, v35
	s_cbranch_execz .LBB436_23
; %bb.18:                               ;   in Loop: Header=BB436_13 Depth=1
	v_and_b32_e32 v35, 0x7f, v33
	v_mov_b32_e32 v19, 0x7f800001
	s_mov_b32 s23, exec_lo
	s_delay_alu instid0(VALU_DEP_2)
	v_cmpx_ne_u32_e32 0x7f, v35
	s_cbranch_execz .LBB436_22
; %bb.19:                               ;   in Loop: Header=BB436_13 Depth=1
	v_lshrrev_b32_e32 v19, 3, v35
	v_cmp_gt_u32_e64 s1, 8, v35
	v_dual_mov_b32 v36, v34 :: v_dual_mov_b32 v35, v33
	s_delay_alu instid0(VALU_DEP_2)
	s_and_saveexec_b32 s24, s1
; %bb.20:                               ;   in Loop: Header=BB436_13 Depth=1
	v_and_b32_e32 v19, 7, v33
	s_delay_alu instid0(VALU_DEP_1) | instskip(NEXT) | instid1(VALU_DEP_1)
	v_clz_i32_u32_e32 v19, v19
	v_min_u32_e32 v19, 32, v19
	s_delay_alu instid0(VALU_DEP_1) | instskip(SKIP_1) | instid1(VALU_DEP_2)
	v_subrev_nc_u32_e32 v35, 28, v19
	v_sub_nc_u32_e32 v19, 29, v19
	v_lshlrev_b64 v[35:36], v35, v[33:34]
; %bb.21:                               ;   in Loop: Header=BB436_13 Depth=1
	s_or_b32 exec_lo, exec_lo, s24
	s_delay_alu instid0(VALU_DEP_1) | instskip(SKIP_2) | instid1(VALU_DEP_3)
	v_lshlrev_b32_e32 v35, 20, v35
	v_lshlrev_b32_e32 v36, 24, v33
	v_lshl_add_u32 v19, v19, 23, 0x3c000000
	v_and_b32_e32 v35, 0x700000, v35
	s_delay_alu instid0(VALU_DEP_3) | instskip(NEXT) | instid1(VALU_DEP_1)
	v_and_b32_e32 v36, 0x80000000, v36
	v_or3_b32 v19, v35, v36, v19
.LBB436_22:                             ;   in Loop: Header=BB436_13 Depth=1
	s_or_b32 exec_lo, exec_lo, s23
.LBB436_23:                             ;   in Loop: Header=BB436_13 Depth=1
	s_delay_alu instid0(SALU_CYCLE_1)
	s_or_b32 exec_lo, exec_lo, s22
.LBB436_24:                             ;   in Loop: Header=BB436_13 Depth=1
	s_delay_alu instid0(SALU_CYCLE_1) | instskip(SKIP_2) | instid1(VALU_DEP_1)
	s_or_b32 exec_lo, exec_lo, s21
	s_waitcnt vmcnt(0) lgkmcnt(0)
	v_mul_f32_e32 v19, v58, v19
                                        ; implicit-def: $vgpr57
	v_and_b32_e32 v35, 0x7f800000, v19
	s_delay_alu instid0(VALU_DEP_1) | instskip(NEXT) | instid1(VALU_DEP_1)
	v_cmp_ne_u32_e64 s1, 0x7f800000, v35
	s_and_saveexec_b32 s21, s1
	s_delay_alu instid0(SALU_CYCLE_1)
	s_xor_b32 s1, exec_lo, s21
; %bb.25:                               ;   in Loop: Header=BB436_13 Depth=1
	v_bfe_u32 v35, v19, 16, 1
	s_delay_alu instid0(VALU_DEP_1)
	v_add3_u32 v57, v19, v35, 0x7fff
                                        ; implicit-def: $vgpr19
; %bb.26:                               ;   in Loop: Header=BB436_13 Depth=1
	s_and_not1_saveexec_b32 s21, s1
; %bb.27:                               ;   in Loop: Header=BB436_13 Depth=1
	v_and_b32_e32 v35, 0xffff, v19
	v_or_b32_e32 v36, 0x10000, v19
	s_delay_alu instid0(VALU_DEP_2) | instskip(NEXT) | instid1(VALU_DEP_1)
	v_cmp_eq_u32_e64 s1, 0, v35
	v_cndmask_b32_e64 v57, v36, v19, s1
; %bb.28:                               ;   in Loop: Header=BB436_13 Depth=1
	s_or_b32 exec_lo, exec_lo, s21
	v_lshrrev_b16 v35, 8, v33
	v_mov_b32_e32 v19, 0
	s_mov_b32 s21, exec_lo
	s_delay_alu instid0(VALU_DEP_2)
	v_cmpx_ne_u16_e32 0, v35
	s_cbranch_execz .LBB436_36
; %bb.29:                               ;   in Loop: Header=BB436_13 Depth=1
	v_bfrev_b32_e32 v19, 1
	s_mov_b32 s22, exec_lo
	v_cmpx_ne_u16_e32 0x80, v35
	s_cbranch_execz .LBB436_35
; %bb.30:                               ;   in Loop: Header=BB436_13 Depth=1
	v_and_b32_e32 v35, 0xffff, v35
	v_mov_b32_e32 v19, 0x7f800001
	s_mov_b32 s23, exec_lo
	s_delay_alu instid0(VALU_DEP_2) | instskip(NEXT) | instid1(VALU_DEP_1)
	v_and_b32_e32 v36, 0x7f, v35
	v_cmpx_ne_u32_e32 0x7f, v36
	s_cbranch_execz .LBB436_34
; %bb.31:                               ;   in Loop: Header=BB436_13 Depth=1
	v_and_b32_e32 v19, 7, v35
	v_lshrrev_b32_e32 v35, 3, v36
	s_mov_b32 s24, exec_lo
	v_cmpx_gt_u32_e32 8, v36
; %bb.32:                               ;   in Loop: Header=BB436_13 Depth=1
	s_delay_alu instid0(VALU_DEP_3) | instskip(NEXT) | instid1(VALU_DEP_1)
	v_clz_i32_u32_e32 v35, v19
	v_min_u32_e32 v35, 32, v35
	s_delay_alu instid0(VALU_DEP_1) | instskip(SKIP_1) | instid1(VALU_DEP_2)
	v_subrev_nc_u32_e32 v36, 28, v35
	v_sub_nc_u32_e32 v35, 29, v35
	v_lshlrev_b64 v[59:60], v36, v[19:20]
	s_delay_alu instid0(VALU_DEP_1)
	v_and_b32_e32 v19, 7, v59
; %bb.33:                               ;   in Loop: Header=BB436_13 Depth=1
	s_or_b32 exec_lo, exec_lo, s24
	v_lshlrev_b32_e32 v36, 16, v33
	s_delay_alu instid0(VALU_DEP_2) | instskip(SKIP_1) | instid1(VALU_DEP_3)
	v_lshlrev_b32_e32 v19, 20, v19
	v_lshl_add_u32 v35, v35, 23, 0x3c000000
	v_and_b32_e32 v36, 0x80000000, v36
	s_delay_alu instid0(VALU_DEP_1)
	v_or3_b32 v19, v19, v36, v35
.LBB436_34:                             ;   in Loop: Header=BB436_13 Depth=1
	s_or_b32 exec_lo, exec_lo, s23
.LBB436_35:                             ;   in Loop: Header=BB436_13 Depth=1
	s_delay_alu instid0(SALU_CYCLE_1)
	s_or_b32 exec_lo, exec_lo, s22
.LBB436_36:                             ;   in Loop: Header=BB436_13 Depth=1
	s_delay_alu instid0(SALU_CYCLE_1) | instskip(NEXT) | instid1(VALU_DEP_1)
	s_or_b32 exec_lo, exec_lo, s21
	v_mul_f32_e32 v19, v58, v19
                                        ; implicit-def: $vgpr59
	s_delay_alu instid0(VALU_DEP_1) | instskip(NEXT) | instid1(VALU_DEP_1)
	v_and_b32_e32 v35, 0x7f800000, v19
	v_cmp_ne_u32_e64 s1, 0x7f800000, v35
	s_delay_alu instid0(VALU_DEP_1) | instskip(NEXT) | instid1(SALU_CYCLE_1)
	s_and_saveexec_b32 s21, s1
	s_xor_b32 s1, exec_lo, s21
; %bb.37:                               ;   in Loop: Header=BB436_13 Depth=1
	v_bfe_u32 v35, v19, 16, 1
	s_delay_alu instid0(VALU_DEP_1)
	v_add3_u32 v59, v19, v35, 0x7fff
                                        ; implicit-def: $vgpr19
; %bb.38:                               ;   in Loop: Header=BB436_13 Depth=1
	s_and_not1_saveexec_b32 s21, s1
; %bb.39:                               ;   in Loop: Header=BB436_13 Depth=1
	v_and_b32_e32 v35, 0xffff, v19
	v_or_b32_e32 v36, 0x10000, v19
	s_delay_alu instid0(VALU_DEP_2) | instskip(NEXT) | instid1(VALU_DEP_1)
	v_cmp_eq_u32_e64 s1, 0, v35
	v_cndmask_b32_e64 v59, v36, v19, s1
; %bb.40:                               ;   in Loop: Header=BB436_13 Depth=1
	s_or_b32 exec_lo, exec_lo, s21
	v_lshrrev_b32_e32 v35, 16, v33
	s_mov_b32 s21, exec_lo
	s_delay_alu instid0(VALU_DEP_1) | instskip(NEXT) | instid1(VALU_DEP_1)
	v_dual_mov_b32 v19, 0 :: v_dual_and_b32 v36, 0xff, v35
	v_cmpx_ne_u16_e32 0, v36
	s_cbranch_execz .LBB436_48
; %bb.41:                               ;   in Loop: Header=BB436_13 Depth=1
	v_bfrev_b32_e32 v19, 1
	s_mov_b32 s22, exec_lo
	v_cmpx_ne_u16_e32 0x80, v36
	s_cbranch_execz .LBB436_47
; %bb.42:                               ;   in Loop: Header=BB436_13 Depth=1
	v_bfe_u32 v60, v33, 16, 7
	v_mov_b32_e32 v19, 0x7f800001
	s_mov_b32 s23, exec_lo
	s_delay_alu instid0(VALU_DEP_2)
	v_cmpx_ne_u32_e32 0x7f, v60
	s_cbranch_execz .LBB436_46
; %bb.43:                               ;   in Loop: Header=BB436_13 Depth=1
	v_and_b32_e32 v19, 7, v35
	v_lshrrev_b32_e32 v36, 3, v60
	s_mov_b32 s24, exec_lo
	v_cmpx_gt_u32_e32 8, v60
; %bb.44:                               ;   in Loop: Header=BB436_13 Depth=1
	s_delay_alu instid0(VALU_DEP_3) | instskip(NEXT) | instid1(VALU_DEP_1)
	v_clz_i32_u32_e32 v36, v19
	v_min_u32_e32 v36, 32, v36
	s_delay_alu instid0(VALU_DEP_1) | instskip(SKIP_1) | instid1(VALU_DEP_2)
	v_subrev_nc_u32_e32 v60, 28, v36
	v_sub_nc_u32_e32 v36, 29, v36
	v_lshlrev_b64 v[60:61], v60, v[19:20]
	s_delay_alu instid0(VALU_DEP_1)
	v_and_b32_e32 v19, 7, v60
; %bb.45:                               ;   in Loop: Header=BB436_13 Depth=1
	s_or_b32 exec_lo, exec_lo, s24
	v_lshlrev_b32_e32 v35, 24, v35
	s_delay_alu instid0(VALU_DEP_2) | instskip(SKIP_1) | instid1(VALU_DEP_3)
	v_lshlrev_b32_e32 v19, 20, v19
	v_lshl_add_u32 v36, v36, 23, 0x3c000000
	v_and_b32_e32 v35, 0x80000000, v35
	s_delay_alu instid0(VALU_DEP_1)
	v_or3_b32 v19, v19, v35, v36
.LBB436_46:                             ;   in Loop: Header=BB436_13 Depth=1
	s_or_b32 exec_lo, exec_lo, s23
.LBB436_47:                             ;   in Loop: Header=BB436_13 Depth=1
	s_delay_alu instid0(SALU_CYCLE_1)
	s_or_b32 exec_lo, exec_lo, s22
.LBB436_48:                             ;   in Loop: Header=BB436_13 Depth=1
	s_delay_alu instid0(SALU_CYCLE_1) | instskip(NEXT) | instid1(VALU_DEP_1)
	s_or_b32 exec_lo, exec_lo, s21
	v_mul_f32_e32 v19, v58, v19
                                        ; implicit-def: $vgpr60
	s_delay_alu instid0(VALU_DEP_1) | instskip(NEXT) | instid1(VALU_DEP_1)
	v_and_b32_e32 v35, 0x7f800000, v19
	v_cmp_ne_u32_e64 s1, 0x7f800000, v35
	s_delay_alu instid0(VALU_DEP_1) | instskip(NEXT) | instid1(SALU_CYCLE_1)
	s_and_saveexec_b32 s21, s1
	s_xor_b32 s1, exec_lo, s21
; %bb.49:                               ;   in Loop: Header=BB436_13 Depth=1
	v_bfe_u32 v35, v19, 16, 1
	s_delay_alu instid0(VALU_DEP_1)
	v_add3_u32 v60, v19, v35, 0x7fff
                                        ; implicit-def: $vgpr19
; %bb.50:                               ;   in Loop: Header=BB436_13 Depth=1
	s_and_not1_saveexec_b32 s21, s1
; %bb.51:                               ;   in Loop: Header=BB436_13 Depth=1
	v_and_b32_e32 v35, 0xffff, v19
	v_or_b32_e32 v36, 0x10000, v19
	s_delay_alu instid0(VALU_DEP_2) | instskip(NEXT) | instid1(VALU_DEP_1)
	v_cmp_eq_u32_e64 s1, 0, v35
	v_cndmask_b32_e64 v60, v36, v19, s1
; %bb.52:                               ;   in Loop: Header=BB436_13 Depth=1
	s_or_b32 exec_lo, exec_lo, s21
	v_mov_b32_e32 v19, 0
	s_mov_b32 s21, exec_lo
	v_cmpx_lt_u32_e32 0xffffff, v33
	s_cbranch_execz .LBB436_60
; %bb.53:                               ;   in Loop: Header=BB436_13 Depth=1
	v_lshrrev_b32_e32 v35, 24, v33
	v_bfrev_b32_e32 v19, 1
	s_mov_b32 s22, exec_lo
	s_delay_alu instid0(VALU_DEP_2)
	v_cmpx_ne_u32_e32 0x80, v35
	s_cbranch_execz .LBB436_59
; %bb.54:                               ;   in Loop: Header=BB436_13 Depth=1
	v_bfe_u32 v61, v33, 24, 7
	v_mov_b32_e32 v19, 0x7f800001
	s_mov_b32 s23, exec_lo
	s_delay_alu instid0(VALU_DEP_2)
	v_cmpx_ne_u32_e32 0x7f, v61
	s_cbranch_execz .LBB436_58
; %bb.55:                               ;   in Loop: Header=BB436_13 Depth=1
	v_and_b32_e32 v19, 7, v35
	v_lshrrev_b32_e32 v36, 3, v61
	s_mov_b32 s24, exec_lo
	v_cmpx_gt_u32_e32 8, v61
; %bb.56:                               ;   in Loop: Header=BB436_13 Depth=1
	s_delay_alu instid0(VALU_DEP_3) | instskip(NEXT) | instid1(VALU_DEP_1)
	v_clz_i32_u32_e32 v36, v19
	v_min_u32_e32 v36, 32, v36
	s_delay_alu instid0(VALU_DEP_1) | instskip(SKIP_1) | instid1(VALU_DEP_2)
	v_subrev_nc_u32_e32 v61, 28, v36
	v_sub_nc_u32_e32 v36, 29, v36
	v_lshlrev_b64 v[61:62], v61, v[19:20]
	s_delay_alu instid0(VALU_DEP_1)
	v_and_b32_e32 v19, 7, v61
; %bb.57:                               ;   in Loop: Header=BB436_13 Depth=1
	s_or_b32 exec_lo, exec_lo, s24
	v_lshlrev_b32_e32 v35, 24, v35
	s_delay_alu instid0(VALU_DEP_2) | instskip(SKIP_1) | instid1(VALU_DEP_3)
	v_lshlrev_b32_e32 v19, 20, v19
	v_lshl_add_u32 v36, v36, 23, 0x3c000000
	v_and_b32_e32 v35, 0x80000000, v35
	s_delay_alu instid0(VALU_DEP_1)
	v_or3_b32 v19, v19, v35, v36
.LBB436_58:                             ;   in Loop: Header=BB436_13 Depth=1
	s_or_b32 exec_lo, exec_lo, s23
.LBB436_59:                             ;   in Loop: Header=BB436_13 Depth=1
	s_delay_alu instid0(SALU_CYCLE_1)
	s_or_b32 exec_lo, exec_lo, s22
.LBB436_60:                             ;   in Loop: Header=BB436_13 Depth=1
	s_delay_alu instid0(SALU_CYCLE_1) | instskip(NEXT) | instid1(VALU_DEP_1)
	s_or_b32 exec_lo, exec_lo, s21
	v_mul_f32_e32 v19, v58, v19
                                        ; implicit-def: $vgpr61
	s_delay_alu instid0(VALU_DEP_1) | instskip(NEXT) | instid1(VALU_DEP_1)
	v_and_b32_e32 v35, 0x7f800000, v19
	v_cmp_ne_u32_e64 s1, 0x7f800000, v35
	s_delay_alu instid0(VALU_DEP_1) | instskip(NEXT) | instid1(SALU_CYCLE_1)
	s_and_saveexec_b32 s21, s1
	s_xor_b32 s1, exec_lo, s21
; %bb.61:                               ;   in Loop: Header=BB436_13 Depth=1
	v_bfe_u32 v35, v19, 16, 1
	s_delay_alu instid0(VALU_DEP_1)
	v_add3_u32 v61, v19, v35, 0x7fff
                                        ; implicit-def: $vgpr19
; %bb.62:                               ;   in Loop: Header=BB436_13 Depth=1
	s_and_not1_saveexec_b32 s21, s1
; %bb.63:                               ;   in Loop: Header=BB436_13 Depth=1
	v_and_b32_e32 v35, 0xffff, v19
	v_or_b32_e32 v36, 0x10000, v19
	s_delay_alu instid0(VALU_DEP_2) | instskip(NEXT) | instid1(VALU_DEP_1)
	v_cmp_eq_u32_e64 s1, 0, v35
	v_cndmask_b32_e64 v61, v36, v19, s1
; %bb.64:                               ;   in Loop: Header=BB436_13 Depth=1
	s_or_b32 exec_lo, exec_lo, s21
	v_dual_mov_b32 v19, v34 :: v_dual_and_b32 v36, 0xff, v34
	v_mov_b32_e32 v35, 0
	s_mov_b32 s21, exec_lo
	s_delay_alu instid0(VALU_DEP_2)
	v_cmpx_ne_u16_e32 0, v36
	s_cbranch_execz .LBB436_72
; %bb.65:                               ;   in Loop: Header=BB436_13 Depth=1
	v_bfrev_b32_e32 v35, 1
	s_mov_b32 s22, exec_lo
	v_cmpx_ne_u16_e32 0x80, v36
	s_cbranch_execz .LBB436_71
; %bb.66:                               ;   in Loop: Header=BB436_13 Depth=1
	v_and_b32_e32 v36, 0x7f, v34
	v_mov_b32_e32 v35, 0x7f800001
	s_mov_b32 s23, exec_lo
	s_delay_alu instid0(VALU_DEP_2)
	v_cmpx_ne_u32_e32 0x7f, v36
	s_cbranch_execz .LBB436_70
; %bb.67:                               ;   in Loop: Header=BB436_13 Depth=1
	v_lshrrev_b32_e32 v62, 3, v36
	v_cmp_gt_u32_e64 s1, 8, v36
	v_dual_mov_b32 v36, v20 :: v_dual_mov_b32 v35, v19
	s_delay_alu instid0(VALU_DEP_2)
	s_and_saveexec_b32 s24, s1
; %bb.68:                               ;   in Loop: Header=BB436_13 Depth=1
	v_and_b32_e32 v35, 7, v34
	s_delay_alu instid0(VALU_DEP_1) | instskip(NEXT) | instid1(VALU_DEP_1)
	v_clz_i32_u32_e32 v35, v35
	v_min_u32_e32 v62, 32, v35
	s_delay_alu instid0(VALU_DEP_1) | instskip(SKIP_1) | instid1(VALU_DEP_2)
	v_subrev_nc_u32_e32 v35, 28, v62
	v_sub_nc_u32_e32 v62, 29, v62
	v_lshlrev_b64 v[35:36], v35, v[19:20]
; %bb.69:                               ;   in Loop: Header=BB436_13 Depth=1
	s_or_b32 exec_lo, exec_lo, s24
	s_delay_alu instid0(VALU_DEP_1) | instskip(SKIP_2) | instid1(VALU_DEP_3)
	v_lshlrev_b32_e32 v35, 20, v35
	v_lshlrev_b32_e32 v36, 24, v19
	v_lshl_add_u32 v62, v62, 23, 0x3c000000
	v_and_b32_e32 v35, 0x700000, v35
	s_delay_alu instid0(VALU_DEP_3) | instskip(NEXT) | instid1(VALU_DEP_1)
	v_and_b32_e32 v36, 0x80000000, v36
	v_or3_b32 v35, v35, v36, v62
.LBB436_70:                             ;   in Loop: Header=BB436_13 Depth=1
	s_or_b32 exec_lo, exec_lo, s23
.LBB436_71:                             ;   in Loop: Header=BB436_13 Depth=1
	s_delay_alu instid0(SALU_CYCLE_1)
	s_or_b32 exec_lo, exec_lo, s22
.LBB436_72:                             ;   in Loop: Header=BB436_13 Depth=1
	s_delay_alu instid0(SALU_CYCLE_1) | instskip(NEXT) | instid1(VALU_DEP_1)
	s_or_b32 exec_lo, exec_lo, s21
	v_mul_f32_e32 v35, v58, v35
                                        ; implicit-def: $vgpr62
	s_delay_alu instid0(VALU_DEP_1) | instskip(NEXT) | instid1(VALU_DEP_1)
	v_and_b32_e32 v36, 0x7f800000, v35
	v_cmp_ne_u32_e64 s1, 0x7f800000, v36
	s_delay_alu instid0(VALU_DEP_1) | instskip(NEXT) | instid1(SALU_CYCLE_1)
	s_and_saveexec_b32 s21, s1
	s_xor_b32 s1, exec_lo, s21
; %bb.73:                               ;   in Loop: Header=BB436_13 Depth=1
	v_bfe_u32 v36, v35, 16, 1
	s_delay_alu instid0(VALU_DEP_1)
	v_add3_u32 v62, v35, v36, 0x7fff
                                        ; implicit-def: $vgpr35
; %bb.74:                               ;   in Loop: Header=BB436_13 Depth=1
	s_and_not1_saveexec_b32 s21, s1
; %bb.75:                               ;   in Loop: Header=BB436_13 Depth=1
	v_and_b32_e32 v36, 0xffff, v35
	v_or_b32_e32 v62, 0x10000, v35
	s_delay_alu instid0(VALU_DEP_2) | instskip(NEXT) | instid1(VALU_DEP_1)
	v_cmp_eq_u32_e64 s1, 0, v36
	v_cndmask_b32_e64 v62, v62, v35, s1
; %bb.76:                               ;   in Loop: Header=BB436_13 Depth=1
	s_or_b32 exec_lo, exec_lo, s21
	v_lshrrev_b16 v36, 8, v19
	v_mov_b32_e32 v35, 0
	s_mov_b32 s21, exec_lo
	s_delay_alu instid0(VALU_DEP_2)
	v_cmpx_ne_u16_e32 0, v36
	s_cbranch_execz .LBB436_84
; %bb.77:                               ;   in Loop: Header=BB436_13 Depth=1
	v_bfrev_b32_e32 v35, 1
	s_mov_b32 s22, exec_lo
	v_cmpx_ne_u16_e32 0x80, v36
	s_cbranch_execz .LBB436_83
; %bb.78:                               ;   in Loop: Header=BB436_13 Depth=1
	v_and_b32_e32 v36, 0xffff, v36
	v_mov_b32_e32 v35, 0x7f800001
	s_mov_b32 s23, exec_lo
	s_delay_alu instid0(VALU_DEP_2) | instskip(NEXT) | instid1(VALU_DEP_1)
	v_and_b32_e32 v72, 0x7f, v36
	v_cmpx_ne_u32_e32 0x7f, v72
	s_cbranch_execz .LBB436_82
; %bb.79:                               ;   in Loop: Header=BB436_13 Depth=1
	v_dual_mov_b32 v36, v20 :: v_dual_and_b32 v35, 7, v36
	v_lshrrev_b32_e32 v63, 3, v72
	s_mov_b32 s24, exec_lo
	v_cmpx_gt_u32_e32 8, v72
; %bb.80:                               ;   in Loop: Header=BB436_13 Depth=1
	s_delay_alu instid0(VALU_DEP_3) | instskip(NEXT) | instid1(VALU_DEP_1)
	v_clz_i32_u32_e32 v63, v35
	v_min_u32_e32 v63, 32, v63
	s_delay_alu instid0(VALU_DEP_1) | instskip(SKIP_1) | instid1(VALU_DEP_2)
	v_subrev_nc_u32_e32 v72, 28, v63
	v_sub_nc_u32_e32 v63, 29, v63
	v_lshlrev_b64 v[35:36], v72, v[35:36]
	s_delay_alu instid0(VALU_DEP_1)
	v_and_b32_e32 v35, 7, v35
; %bb.81:                               ;   in Loop: Header=BB436_13 Depth=1
	s_or_b32 exec_lo, exec_lo, s24
	v_lshlrev_b32_e32 v19, 16, v19
	s_delay_alu instid0(VALU_DEP_2) | instskip(SKIP_1) | instid1(VALU_DEP_3)
	v_lshlrev_b32_e32 v35, 20, v35
	v_lshl_add_u32 v36, v63, 23, 0x3c000000
	v_and_b32_e32 v19, 0x80000000, v19
	s_delay_alu instid0(VALU_DEP_1)
	v_or3_b32 v35, v35, v19, v36
.LBB436_82:                             ;   in Loop: Header=BB436_13 Depth=1
	s_or_b32 exec_lo, exec_lo, s23
.LBB436_83:                             ;   in Loop: Header=BB436_13 Depth=1
	s_delay_alu instid0(SALU_CYCLE_1)
	s_or_b32 exec_lo, exec_lo, s22
.LBB436_84:                             ;   in Loop: Header=BB436_13 Depth=1
	s_delay_alu instid0(SALU_CYCLE_1) | instskip(NEXT) | instid1(VALU_DEP_1)
	s_or_b32 exec_lo, exec_lo, s21
	v_mul_f32_e32 v19, v58, v35
                                        ; implicit-def: $vgpr63
	s_delay_alu instid0(VALU_DEP_1) | instskip(NEXT) | instid1(VALU_DEP_1)
	v_and_b32_e32 v35, 0x7f800000, v19
	v_cmp_ne_u32_e64 s1, 0x7f800000, v35
	s_delay_alu instid0(VALU_DEP_1) | instskip(NEXT) | instid1(SALU_CYCLE_1)
	s_and_saveexec_b32 s21, s1
	s_xor_b32 s1, exec_lo, s21
; %bb.85:                               ;   in Loop: Header=BB436_13 Depth=1
	v_bfe_u32 v35, v19, 16, 1
	s_delay_alu instid0(VALU_DEP_1)
	v_add3_u32 v63, v19, v35, 0x7fff
                                        ; implicit-def: $vgpr19
; %bb.86:                               ;   in Loop: Header=BB436_13 Depth=1
	s_and_not1_saveexec_b32 s21, s1
; %bb.87:                               ;   in Loop: Header=BB436_13 Depth=1
	v_and_b32_e32 v35, 0xffff, v19
	v_or_b32_e32 v36, 0x10000, v19
	s_delay_alu instid0(VALU_DEP_2) | instskip(NEXT) | instid1(VALU_DEP_1)
	v_cmp_eq_u32_e64 s1, 0, v35
	v_cndmask_b32_e64 v63, v36, v19, s1
; %bb.88:                               ;   in Loop: Header=BB436_13 Depth=1
	s_or_b32 exec_lo, exec_lo, s21
	v_lshrrev_b32_e32 v35, 16, v34
	s_mov_b32 s21, exec_lo
	s_delay_alu instid0(VALU_DEP_1) | instskip(NEXT) | instid1(VALU_DEP_1)
	v_dual_mov_b32 v19, 0 :: v_dual_and_b32 v36, 0xff, v35
	v_cmpx_ne_u16_e32 0, v36
	s_cbranch_execz .LBB436_96
; %bb.89:                               ;   in Loop: Header=BB436_13 Depth=1
	v_bfrev_b32_e32 v19, 1
	s_mov_b32 s22, exec_lo
	v_cmpx_ne_u16_e32 0x80, v36
	s_cbranch_execz .LBB436_95
; %bb.90:                               ;   in Loop: Header=BB436_13 Depth=1
	v_bfe_u32 v72, v34, 16, 7
	v_mov_b32_e32 v19, 0x7f800001
	s_mov_b32 s23, exec_lo
	s_delay_alu instid0(VALU_DEP_2)
	v_cmpx_ne_u32_e32 0x7f, v72
	s_cbranch_execz .LBB436_94
; %bb.91:                               ;   in Loop: Header=BB436_13 Depth=1
	v_and_b32_e32 v19, 7, v35
	v_lshrrev_b32_e32 v36, 3, v72
	s_mov_b32 s24, exec_lo
	v_cmpx_gt_u32_e32 8, v72
; %bb.92:                               ;   in Loop: Header=BB436_13 Depth=1
	s_delay_alu instid0(VALU_DEP_3) | instskip(NEXT) | instid1(VALU_DEP_1)
	v_clz_i32_u32_e32 v36, v19
	v_min_u32_e32 v36, 32, v36
	s_delay_alu instid0(VALU_DEP_1) | instskip(SKIP_1) | instid1(VALU_DEP_2)
	v_subrev_nc_u32_e32 v72, 28, v36
	v_sub_nc_u32_e32 v36, 29, v36
	v_lshlrev_b64 v[72:73], v72, v[19:20]
	s_delay_alu instid0(VALU_DEP_1)
	v_and_b32_e32 v19, 7, v72
; %bb.93:                               ;   in Loop: Header=BB436_13 Depth=1
	s_or_b32 exec_lo, exec_lo, s24
	v_lshlrev_b32_e32 v35, 24, v35
	s_delay_alu instid0(VALU_DEP_2) | instskip(SKIP_1) | instid1(VALU_DEP_3)
	v_lshlrev_b32_e32 v19, 20, v19
	v_lshl_add_u32 v36, v36, 23, 0x3c000000
	v_and_b32_e32 v35, 0x80000000, v35
	s_delay_alu instid0(VALU_DEP_1)
	v_or3_b32 v19, v19, v35, v36
.LBB436_94:                             ;   in Loop: Header=BB436_13 Depth=1
	s_or_b32 exec_lo, exec_lo, s23
.LBB436_95:                             ;   in Loop: Header=BB436_13 Depth=1
	s_delay_alu instid0(SALU_CYCLE_1)
	s_or_b32 exec_lo, exec_lo, s22
.LBB436_96:                             ;   in Loop: Header=BB436_13 Depth=1
	s_delay_alu instid0(SALU_CYCLE_1) | instskip(NEXT) | instid1(VALU_DEP_1)
	s_or_b32 exec_lo, exec_lo, s21
	v_mul_f32_e32 v19, v58, v19
                                        ; implicit-def: $vgpr72
	s_delay_alu instid0(VALU_DEP_1) | instskip(NEXT) | instid1(VALU_DEP_1)
	v_and_b32_e32 v35, 0x7f800000, v19
	v_cmp_ne_u32_e64 s1, 0x7f800000, v35
	s_delay_alu instid0(VALU_DEP_1) | instskip(NEXT) | instid1(SALU_CYCLE_1)
	s_and_saveexec_b32 s21, s1
	s_xor_b32 s1, exec_lo, s21
; %bb.97:                               ;   in Loop: Header=BB436_13 Depth=1
	v_bfe_u32 v35, v19, 16, 1
	s_delay_alu instid0(VALU_DEP_1)
	v_add3_u32 v72, v19, v35, 0x7fff
                                        ; implicit-def: $vgpr19
; %bb.98:                               ;   in Loop: Header=BB436_13 Depth=1
	s_and_not1_saveexec_b32 s21, s1
; %bb.99:                               ;   in Loop: Header=BB436_13 Depth=1
	v_and_b32_e32 v35, 0xffff, v19
	v_or_b32_e32 v36, 0x10000, v19
	s_delay_alu instid0(VALU_DEP_2) | instskip(NEXT) | instid1(VALU_DEP_1)
	v_cmp_eq_u32_e64 s1, 0, v35
	v_cndmask_b32_e64 v72, v36, v19, s1
; %bb.100:                              ;   in Loop: Header=BB436_13 Depth=1
	s_or_b32 exec_lo, exec_lo, s21
	v_mov_b32_e32 v19, 0
	s_mov_b32 s21, exec_lo
	v_cmpx_lt_u64_e64 s[16:17], v[33:34]
	s_cbranch_execz .LBB436_108
; %bb.101:                              ;   in Loop: Header=BB436_13 Depth=1
	v_lshrrev_b32_e32 v33, 24, v34
	v_bfrev_b32_e32 v19, 1
	s_mov_b32 s22, exec_lo
	s_delay_alu instid0(VALU_DEP_2)
	v_cmpx_ne_u32_e32 0x80, v33
	s_cbranch_execz .LBB436_107
; %bb.102:                              ;   in Loop: Header=BB436_13 Depth=1
	v_bfe_u32 v35, v34, 24, 7
	v_mov_b32_e32 v19, 0x7f800001
	s_mov_b32 s23, exec_lo
	s_delay_alu instid0(VALU_DEP_2)
	v_cmpx_ne_u32_e32 0x7f, v35
	s_cbranch_execz .LBB436_106
; %bb.103:                              ;   in Loop: Header=BB436_13 Depth=1
	v_and_b32_e32 v19, 7, v33
	v_lshrrev_b32_e32 v34, 3, v35
	s_mov_b32 s24, exec_lo
	v_cmpx_gt_u32_e32 8, v35
; %bb.104:                              ;   in Loop: Header=BB436_13 Depth=1
	s_delay_alu instid0(VALU_DEP_3) | instskip(NEXT) | instid1(VALU_DEP_1)
	v_clz_i32_u32_e32 v34, v19
	v_min_u32_e32 v34, 32, v34
	s_delay_alu instid0(VALU_DEP_1) | instskip(SKIP_1) | instid1(VALU_DEP_2)
	v_subrev_nc_u32_e32 v35, 28, v34
	v_sub_nc_u32_e32 v34, 29, v34
	v_lshlrev_b64 v[35:36], v35, v[19:20]
	s_delay_alu instid0(VALU_DEP_1)
	v_and_b32_e32 v19, 7, v35
; %bb.105:                              ;   in Loop: Header=BB436_13 Depth=1
	s_or_b32 exec_lo, exec_lo, s24
	v_lshlrev_b32_e32 v33, 24, v33
	s_delay_alu instid0(VALU_DEP_2) | instskip(SKIP_1) | instid1(VALU_DEP_3)
	v_lshlrev_b32_e32 v19, 20, v19
	v_lshl_add_u32 v34, v34, 23, 0x3c000000
	v_and_b32_e32 v33, 0x80000000, v33
	s_delay_alu instid0(VALU_DEP_1)
	v_or3_b32 v19, v19, v33, v34
.LBB436_106:                            ;   in Loop: Header=BB436_13 Depth=1
	s_or_b32 exec_lo, exec_lo, s23
.LBB436_107:                            ;   in Loop: Header=BB436_13 Depth=1
	s_delay_alu instid0(SALU_CYCLE_1)
	s_or_b32 exec_lo, exec_lo, s22
.LBB436_108:                            ;   in Loop: Header=BB436_13 Depth=1
	s_delay_alu instid0(SALU_CYCLE_1) | instskip(NEXT) | instid1(VALU_DEP_1)
	s_or_b32 exec_lo, exec_lo, s21
	v_mul_f32_e32 v19, v58, v19
                                        ; implicit-def: $vgpr73
	s_delay_alu instid0(VALU_DEP_1) | instskip(NEXT) | instid1(VALU_DEP_1)
	v_and_b32_e32 v33, 0x7f800000, v19
	v_cmp_ne_u32_e64 s1, 0x7f800000, v33
	s_delay_alu instid0(VALU_DEP_1) | instskip(NEXT) | instid1(SALU_CYCLE_1)
	s_and_saveexec_b32 s21, s1
	s_xor_b32 s1, exec_lo, s21
; %bb.109:                              ;   in Loop: Header=BB436_13 Depth=1
	v_bfe_u32 v33, v19, 16, 1
	s_delay_alu instid0(VALU_DEP_1)
	v_add3_u32 v73, v19, v33, 0x7fff
                                        ; implicit-def: $vgpr19
; %bb.110:                              ;   in Loop: Header=BB436_13 Depth=1
	s_and_not1_saveexec_b32 s21, s1
; %bb.111:                              ;   in Loop: Header=BB436_13 Depth=1
	v_and_b32_e32 v33, 0xffff, v19
	v_or_b32_e32 v34, 0x10000, v19
	s_delay_alu instid0(VALU_DEP_2) | instskip(NEXT) | instid1(VALU_DEP_1)
	v_cmp_eq_u32_e64 s1, 0, v33
	v_cndmask_b32_e64 v73, v34, v19, s1
; %bb.112:                              ;   in Loop: Header=BB436_13 Depth=1
	s_or_b32 exec_lo, exec_lo, s21
	flat_load_b64 v[33:34], v[31:32] offset:8
	v_mov_b32_e32 v19, 0
	s_mov_b32 s21, exec_lo
	s_waitcnt vmcnt(0) lgkmcnt(0)
	v_and_b32_e32 v35, 0xff, v33
	s_delay_alu instid0(VALU_DEP_1)
	v_cmpx_ne_u16_e32 0, v35
	s_cbranch_execz .LBB436_120
; %bb.113:                              ;   in Loop: Header=BB436_13 Depth=1
	v_bfrev_b32_e32 v19, 1
	s_mov_b32 s22, exec_lo
	v_cmpx_ne_u16_e32 0x80, v35
	s_cbranch_execz .LBB436_119
; %bb.114:                              ;   in Loop: Header=BB436_13 Depth=1
	v_and_b32_e32 v35, 0x7f, v33
	v_mov_b32_e32 v19, 0x7f800001
	s_mov_b32 s23, exec_lo
	s_delay_alu instid0(VALU_DEP_2)
	v_cmpx_ne_u32_e32 0x7f, v35
	s_cbranch_execz .LBB436_118
; %bb.115:                              ;   in Loop: Header=BB436_13 Depth=1
	v_lshrrev_b32_e32 v19, 3, v35
	v_cmp_gt_u32_e64 s1, 8, v35
	v_dual_mov_b32 v36, v34 :: v_dual_mov_b32 v35, v33
	s_delay_alu instid0(VALU_DEP_2)
	s_and_saveexec_b32 s24, s1
; %bb.116:                              ;   in Loop: Header=BB436_13 Depth=1
	v_and_b32_e32 v19, 7, v33
	s_delay_alu instid0(VALU_DEP_1) | instskip(NEXT) | instid1(VALU_DEP_1)
	v_clz_i32_u32_e32 v19, v19
	v_min_u32_e32 v19, 32, v19
	s_delay_alu instid0(VALU_DEP_1) | instskip(SKIP_1) | instid1(VALU_DEP_2)
	v_subrev_nc_u32_e32 v35, 28, v19
	v_sub_nc_u32_e32 v19, 29, v19
	v_lshlrev_b64 v[35:36], v35, v[33:34]
; %bb.117:                              ;   in Loop: Header=BB436_13 Depth=1
	s_or_b32 exec_lo, exec_lo, s24
	s_delay_alu instid0(VALU_DEP_1) | instskip(SKIP_2) | instid1(VALU_DEP_3)
	v_lshlrev_b32_e32 v35, 20, v35
	v_lshlrev_b32_e32 v36, 24, v33
	v_lshl_add_u32 v19, v19, 23, 0x3c000000
	v_and_b32_e32 v35, 0x700000, v35
	s_delay_alu instid0(VALU_DEP_3) | instskip(NEXT) | instid1(VALU_DEP_1)
	v_and_b32_e32 v36, 0x80000000, v36
	v_or3_b32 v19, v35, v36, v19
.LBB436_118:                            ;   in Loop: Header=BB436_13 Depth=1
	s_or_b32 exec_lo, exec_lo, s23
.LBB436_119:                            ;   in Loop: Header=BB436_13 Depth=1
	s_delay_alu instid0(SALU_CYCLE_1)
	s_or_b32 exec_lo, exec_lo, s22
.LBB436_120:                            ;   in Loop: Header=BB436_13 Depth=1
	s_delay_alu instid0(SALU_CYCLE_1) | instskip(NEXT) | instid1(VALU_DEP_1)
	s_or_b32 exec_lo, exec_lo, s21
	v_mul_f32_e32 v19, v58, v19
                                        ; implicit-def: $vgpr74
	s_delay_alu instid0(VALU_DEP_1) | instskip(NEXT) | instid1(VALU_DEP_1)
	v_and_b32_e32 v35, 0x7f800000, v19
	v_cmp_ne_u32_e64 s1, 0x7f800000, v35
	s_delay_alu instid0(VALU_DEP_1) | instskip(NEXT) | instid1(SALU_CYCLE_1)
	s_and_saveexec_b32 s21, s1
	s_xor_b32 s1, exec_lo, s21
; %bb.121:                              ;   in Loop: Header=BB436_13 Depth=1
	v_bfe_u32 v35, v19, 16, 1
	s_delay_alu instid0(VALU_DEP_1)
	v_add3_u32 v74, v19, v35, 0x7fff
                                        ; implicit-def: $vgpr19
; %bb.122:                              ;   in Loop: Header=BB436_13 Depth=1
	s_and_not1_saveexec_b32 s21, s1
; %bb.123:                              ;   in Loop: Header=BB436_13 Depth=1
	v_and_b32_e32 v35, 0xffff, v19
	v_or_b32_e32 v36, 0x10000, v19
	s_delay_alu instid0(VALU_DEP_2) | instskip(NEXT) | instid1(VALU_DEP_1)
	v_cmp_eq_u32_e64 s1, 0, v35
	v_cndmask_b32_e64 v74, v36, v19, s1
; %bb.124:                              ;   in Loop: Header=BB436_13 Depth=1
	s_or_b32 exec_lo, exec_lo, s21
	v_lshrrev_b16 v35, 8, v33
	v_mov_b32_e32 v19, 0
	s_mov_b32 s21, exec_lo
	s_delay_alu instid0(VALU_DEP_2)
	v_cmpx_ne_u16_e32 0, v35
	s_cbranch_execz .LBB436_132
; %bb.125:                              ;   in Loop: Header=BB436_13 Depth=1
	v_bfrev_b32_e32 v19, 1
	s_mov_b32 s22, exec_lo
	v_cmpx_ne_u16_e32 0x80, v35
	s_cbranch_execz .LBB436_131
; %bb.126:                              ;   in Loop: Header=BB436_13 Depth=1
	v_and_b32_e32 v35, 0xffff, v35
	v_mov_b32_e32 v19, 0x7f800001
	s_mov_b32 s23, exec_lo
	s_delay_alu instid0(VALU_DEP_2) | instskip(NEXT) | instid1(VALU_DEP_1)
	v_and_b32_e32 v36, 0x7f, v35
	v_cmpx_ne_u32_e32 0x7f, v36
	s_cbranch_execz .LBB436_130
; %bb.127:                              ;   in Loop: Header=BB436_13 Depth=1
	v_and_b32_e32 v19, 7, v35
	v_lshrrev_b32_e32 v35, 3, v36
	s_mov_b32 s24, exec_lo
	v_cmpx_gt_u32_e32 8, v36
; %bb.128:                              ;   in Loop: Header=BB436_13 Depth=1
	s_delay_alu instid0(VALU_DEP_3) | instskip(NEXT) | instid1(VALU_DEP_1)
	v_clz_i32_u32_e32 v35, v19
	v_min_u32_e32 v35, 32, v35
	s_delay_alu instid0(VALU_DEP_1) | instskip(SKIP_1) | instid1(VALU_DEP_2)
	v_subrev_nc_u32_e32 v36, 28, v35
	v_sub_nc_u32_e32 v35, 29, v35
	v_lshlrev_b64 v[75:76], v36, v[19:20]
	s_delay_alu instid0(VALU_DEP_1)
	v_and_b32_e32 v19, 7, v75
; %bb.129:                              ;   in Loop: Header=BB436_13 Depth=1
	s_or_b32 exec_lo, exec_lo, s24
	v_lshlrev_b32_e32 v36, 16, v33
	s_delay_alu instid0(VALU_DEP_2) | instskip(SKIP_1) | instid1(VALU_DEP_3)
	v_lshlrev_b32_e32 v19, 20, v19
	v_lshl_add_u32 v35, v35, 23, 0x3c000000
	v_and_b32_e32 v36, 0x80000000, v36
	s_delay_alu instid0(VALU_DEP_1)
	v_or3_b32 v19, v19, v36, v35
.LBB436_130:                            ;   in Loop: Header=BB436_13 Depth=1
	s_or_b32 exec_lo, exec_lo, s23
.LBB436_131:                            ;   in Loop: Header=BB436_13 Depth=1
	s_delay_alu instid0(SALU_CYCLE_1)
	s_or_b32 exec_lo, exec_lo, s22
.LBB436_132:                            ;   in Loop: Header=BB436_13 Depth=1
	s_delay_alu instid0(SALU_CYCLE_1) | instskip(NEXT) | instid1(VALU_DEP_1)
	s_or_b32 exec_lo, exec_lo, s21
	v_mul_f32_e32 v19, v58, v19
                                        ; implicit-def: $vgpr75
	s_delay_alu instid0(VALU_DEP_1) | instskip(NEXT) | instid1(VALU_DEP_1)
	v_and_b32_e32 v35, 0x7f800000, v19
	v_cmp_ne_u32_e64 s1, 0x7f800000, v35
	s_delay_alu instid0(VALU_DEP_1) | instskip(NEXT) | instid1(SALU_CYCLE_1)
	s_and_saveexec_b32 s21, s1
	s_xor_b32 s1, exec_lo, s21
; %bb.133:                              ;   in Loop: Header=BB436_13 Depth=1
	v_bfe_u32 v35, v19, 16, 1
	s_delay_alu instid0(VALU_DEP_1)
	v_add3_u32 v75, v19, v35, 0x7fff
                                        ; implicit-def: $vgpr19
; %bb.134:                              ;   in Loop: Header=BB436_13 Depth=1
	s_and_not1_saveexec_b32 s21, s1
; %bb.135:                              ;   in Loop: Header=BB436_13 Depth=1
	v_and_b32_e32 v35, 0xffff, v19
	v_or_b32_e32 v36, 0x10000, v19
	s_delay_alu instid0(VALU_DEP_2) | instskip(NEXT) | instid1(VALU_DEP_1)
	v_cmp_eq_u32_e64 s1, 0, v35
	v_cndmask_b32_e64 v75, v36, v19, s1
; %bb.136:                              ;   in Loop: Header=BB436_13 Depth=1
	s_or_b32 exec_lo, exec_lo, s21
	v_lshrrev_b32_e32 v35, 16, v33
	s_mov_b32 s21, exec_lo
	s_delay_alu instid0(VALU_DEP_1) | instskip(NEXT) | instid1(VALU_DEP_1)
	v_dual_mov_b32 v19, 0 :: v_dual_and_b32 v36, 0xff, v35
	v_cmpx_ne_u16_e32 0, v36
	s_cbranch_execz .LBB436_144
; %bb.137:                              ;   in Loop: Header=BB436_13 Depth=1
	v_bfrev_b32_e32 v19, 1
	s_mov_b32 s22, exec_lo
	v_cmpx_ne_u16_e32 0x80, v36
	s_cbranch_execz .LBB436_143
; %bb.138:                              ;   in Loop: Header=BB436_13 Depth=1
	v_bfe_u32 v76, v33, 16, 7
	v_mov_b32_e32 v19, 0x7f800001
	s_mov_b32 s23, exec_lo
	s_delay_alu instid0(VALU_DEP_2)
	v_cmpx_ne_u32_e32 0x7f, v76
	s_cbranch_execz .LBB436_142
; %bb.139:                              ;   in Loop: Header=BB436_13 Depth=1
	v_and_b32_e32 v19, 7, v35
	v_lshrrev_b32_e32 v36, 3, v76
	s_mov_b32 s24, exec_lo
	v_cmpx_gt_u32_e32 8, v76
; %bb.140:                              ;   in Loop: Header=BB436_13 Depth=1
	s_delay_alu instid0(VALU_DEP_3) | instskip(NEXT) | instid1(VALU_DEP_1)
	v_clz_i32_u32_e32 v36, v19
	v_min_u32_e32 v36, 32, v36
	s_delay_alu instid0(VALU_DEP_1) | instskip(SKIP_1) | instid1(VALU_DEP_2)
	v_subrev_nc_u32_e32 v76, 28, v36
	v_sub_nc_u32_e32 v36, 29, v36
	v_lshlrev_b64 v[76:77], v76, v[19:20]
	s_delay_alu instid0(VALU_DEP_1)
	v_and_b32_e32 v19, 7, v76
; %bb.141:                              ;   in Loop: Header=BB436_13 Depth=1
	s_or_b32 exec_lo, exec_lo, s24
	v_lshlrev_b32_e32 v35, 24, v35
	s_delay_alu instid0(VALU_DEP_2) | instskip(SKIP_1) | instid1(VALU_DEP_3)
	v_lshlrev_b32_e32 v19, 20, v19
	v_lshl_add_u32 v36, v36, 23, 0x3c000000
	v_and_b32_e32 v35, 0x80000000, v35
	s_delay_alu instid0(VALU_DEP_1)
	v_or3_b32 v19, v19, v35, v36
.LBB436_142:                            ;   in Loop: Header=BB436_13 Depth=1
	s_or_b32 exec_lo, exec_lo, s23
.LBB436_143:                            ;   in Loop: Header=BB436_13 Depth=1
	s_delay_alu instid0(SALU_CYCLE_1)
	s_or_b32 exec_lo, exec_lo, s22
.LBB436_144:                            ;   in Loop: Header=BB436_13 Depth=1
	s_delay_alu instid0(SALU_CYCLE_1) | instskip(NEXT) | instid1(VALU_DEP_1)
	s_or_b32 exec_lo, exec_lo, s21
	v_mul_f32_e32 v19, v58, v19
                                        ; implicit-def: $vgpr76
	s_delay_alu instid0(VALU_DEP_1) | instskip(NEXT) | instid1(VALU_DEP_1)
	v_and_b32_e32 v35, 0x7f800000, v19
	v_cmp_ne_u32_e64 s1, 0x7f800000, v35
	s_delay_alu instid0(VALU_DEP_1) | instskip(NEXT) | instid1(SALU_CYCLE_1)
	s_and_saveexec_b32 s21, s1
	s_xor_b32 s1, exec_lo, s21
; %bb.145:                              ;   in Loop: Header=BB436_13 Depth=1
	v_bfe_u32 v35, v19, 16, 1
	s_delay_alu instid0(VALU_DEP_1)
	v_add3_u32 v76, v19, v35, 0x7fff
                                        ; implicit-def: $vgpr19
; %bb.146:                              ;   in Loop: Header=BB436_13 Depth=1
	s_and_not1_saveexec_b32 s21, s1
; %bb.147:                              ;   in Loop: Header=BB436_13 Depth=1
	v_and_b32_e32 v35, 0xffff, v19
	v_or_b32_e32 v36, 0x10000, v19
	s_delay_alu instid0(VALU_DEP_2) | instskip(NEXT) | instid1(VALU_DEP_1)
	v_cmp_eq_u32_e64 s1, 0, v35
	v_cndmask_b32_e64 v76, v36, v19, s1
; %bb.148:                              ;   in Loop: Header=BB436_13 Depth=1
	s_or_b32 exec_lo, exec_lo, s21
	v_mov_b32_e32 v19, 0
	s_mov_b32 s21, exec_lo
	v_cmpx_lt_u32_e32 0xffffff, v33
	s_cbranch_execz .LBB436_156
; %bb.149:                              ;   in Loop: Header=BB436_13 Depth=1
	v_lshrrev_b32_e32 v35, 24, v33
	v_bfrev_b32_e32 v19, 1
	s_mov_b32 s22, exec_lo
	s_delay_alu instid0(VALU_DEP_2)
	v_cmpx_ne_u32_e32 0x80, v35
	s_cbranch_execz .LBB436_155
; %bb.150:                              ;   in Loop: Header=BB436_13 Depth=1
	v_bfe_u32 v77, v33, 24, 7
	v_mov_b32_e32 v19, 0x7f800001
	s_mov_b32 s23, exec_lo
	s_delay_alu instid0(VALU_DEP_2)
	v_cmpx_ne_u32_e32 0x7f, v77
	s_cbranch_execz .LBB436_154
; %bb.151:                              ;   in Loop: Header=BB436_13 Depth=1
	v_and_b32_e32 v19, 7, v35
	v_lshrrev_b32_e32 v36, 3, v77
	s_mov_b32 s24, exec_lo
	v_cmpx_gt_u32_e32 8, v77
; %bb.152:                              ;   in Loop: Header=BB436_13 Depth=1
	s_delay_alu instid0(VALU_DEP_3) | instskip(NEXT) | instid1(VALU_DEP_1)
	v_clz_i32_u32_e32 v36, v19
	v_min_u32_e32 v36, 32, v36
	s_delay_alu instid0(VALU_DEP_1) | instskip(SKIP_1) | instid1(VALU_DEP_2)
	v_subrev_nc_u32_e32 v77, 28, v36
	v_sub_nc_u32_e32 v36, 29, v36
	v_lshlrev_b64 v[77:78], v77, v[19:20]
	s_delay_alu instid0(VALU_DEP_1)
	v_and_b32_e32 v19, 7, v77
; %bb.153:                              ;   in Loop: Header=BB436_13 Depth=1
	s_or_b32 exec_lo, exec_lo, s24
	v_lshlrev_b32_e32 v35, 24, v35
	s_delay_alu instid0(VALU_DEP_2) | instskip(SKIP_1) | instid1(VALU_DEP_3)
	v_lshlrev_b32_e32 v19, 20, v19
	v_lshl_add_u32 v36, v36, 23, 0x3c000000
	v_and_b32_e32 v35, 0x80000000, v35
	s_delay_alu instid0(VALU_DEP_1)
	v_or3_b32 v19, v19, v35, v36
.LBB436_154:                            ;   in Loop: Header=BB436_13 Depth=1
	s_or_b32 exec_lo, exec_lo, s23
.LBB436_155:                            ;   in Loop: Header=BB436_13 Depth=1
	s_delay_alu instid0(SALU_CYCLE_1)
	s_or_b32 exec_lo, exec_lo, s22
.LBB436_156:                            ;   in Loop: Header=BB436_13 Depth=1
	s_delay_alu instid0(SALU_CYCLE_1) | instskip(NEXT) | instid1(VALU_DEP_1)
	s_or_b32 exec_lo, exec_lo, s21
	v_mul_f32_e32 v19, v58, v19
                                        ; implicit-def: $vgpr77
	s_delay_alu instid0(VALU_DEP_1) | instskip(NEXT) | instid1(VALU_DEP_1)
	v_and_b32_e32 v35, 0x7f800000, v19
	v_cmp_ne_u32_e64 s1, 0x7f800000, v35
	s_delay_alu instid0(VALU_DEP_1) | instskip(NEXT) | instid1(SALU_CYCLE_1)
	s_and_saveexec_b32 s21, s1
	s_xor_b32 s1, exec_lo, s21
; %bb.157:                              ;   in Loop: Header=BB436_13 Depth=1
	v_bfe_u32 v35, v19, 16, 1
	s_delay_alu instid0(VALU_DEP_1)
	v_add3_u32 v77, v19, v35, 0x7fff
                                        ; implicit-def: $vgpr19
; %bb.158:                              ;   in Loop: Header=BB436_13 Depth=1
	s_and_not1_saveexec_b32 s21, s1
; %bb.159:                              ;   in Loop: Header=BB436_13 Depth=1
	v_and_b32_e32 v35, 0xffff, v19
	v_or_b32_e32 v36, 0x10000, v19
	s_delay_alu instid0(VALU_DEP_2) | instskip(NEXT) | instid1(VALU_DEP_1)
	v_cmp_eq_u32_e64 s1, 0, v35
	v_cndmask_b32_e64 v77, v36, v19, s1
; %bb.160:                              ;   in Loop: Header=BB436_13 Depth=1
	s_or_b32 exec_lo, exec_lo, s21
	v_dual_mov_b32 v19, v34 :: v_dual_and_b32 v36, 0xff, v34
	v_mov_b32_e32 v35, 0
	s_mov_b32 s21, exec_lo
	s_delay_alu instid0(VALU_DEP_2)
	v_cmpx_ne_u16_e32 0, v36
	s_cbranch_execz .LBB436_168
; %bb.161:                              ;   in Loop: Header=BB436_13 Depth=1
	v_bfrev_b32_e32 v35, 1
	s_mov_b32 s22, exec_lo
	v_cmpx_ne_u16_e32 0x80, v36
	s_cbranch_execz .LBB436_167
; %bb.162:                              ;   in Loop: Header=BB436_13 Depth=1
	v_and_b32_e32 v36, 0x7f, v34
	v_mov_b32_e32 v35, 0x7f800001
	s_mov_b32 s23, exec_lo
	s_delay_alu instid0(VALU_DEP_2)
	v_cmpx_ne_u32_e32 0x7f, v36
	s_cbranch_execz .LBB436_166
; %bb.163:                              ;   in Loop: Header=BB436_13 Depth=1
	v_lshrrev_b32_e32 v78, 3, v36
	v_cmp_gt_u32_e64 s1, 8, v36
	v_dual_mov_b32 v36, v20 :: v_dual_mov_b32 v35, v19
	s_delay_alu instid0(VALU_DEP_2)
	s_and_saveexec_b32 s24, s1
; %bb.164:                              ;   in Loop: Header=BB436_13 Depth=1
	v_and_b32_e32 v35, 7, v34
	s_delay_alu instid0(VALU_DEP_1) | instskip(NEXT) | instid1(VALU_DEP_1)
	v_clz_i32_u32_e32 v35, v35
	v_min_u32_e32 v78, 32, v35
	s_delay_alu instid0(VALU_DEP_1) | instskip(SKIP_1) | instid1(VALU_DEP_2)
	v_subrev_nc_u32_e32 v35, 28, v78
	v_sub_nc_u32_e32 v78, 29, v78
	v_lshlrev_b64 v[35:36], v35, v[19:20]
; %bb.165:                              ;   in Loop: Header=BB436_13 Depth=1
	s_or_b32 exec_lo, exec_lo, s24
	s_delay_alu instid0(VALU_DEP_1) | instskip(SKIP_2) | instid1(VALU_DEP_3)
	v_lshlrev_b32_e32 v35, 20, v35
	v_lshlrev_b32_e32 v36, 24, v19
	v_lshl_add_u32 v78, v78, 23, 0x3c000000
	v_and_b32_e32 v35, 0x700000, v35
	s_delay_alu instid0(VALU_DEP_3) | instskip(NEXT) | instid1(VALU_DEP_1)
	v_and_b32_e32 v36, 0x80000000, v36
	v_or3_b32 v35, v35, v36, v78
.LBB436_166:                            ;   in Loop: Header=BB436_13 Depth=1
	s_or_b32 exec_lo, exec_lo, s23
.LBB436_167:                            ;   in Loop: Header=BB436_13 Depth=1
	s_delay_alu instid0(SALU_CYCLE_1)
	s_or_b32 exec_lo, exec_lo, s22
.LBB436_168:                            ;   in Loop: Header=BB436_13 Depth=1
	s_delay_alu instid0(SALU_CYCLE_1) | instskip(NEXT) | instid1(VALU_DEP_1)
	s_or_b32 exec_lo, exec_lo, s21
	v_mul_f32_e32 v35, v58, v35
                                        ; implicit-def: $vgpr78
	s_delay_alu instid0(VALU_DEP_1) | instskip(NEXT) | instid1(VALU_DEP_1)
	v_and_b32_e32 v36, 0x7f800000, v35
	v_cmp_ne_u32_e64 s1, 0x7f800000, v36
	s_delay_alu instid0(VALU_DEP_1) | instskip(NEXT) | instid1(SALU_CYCLE_1)
	s_and_saveexec_b32 s21, s1
	s_xor_b32 s1, exec_lo, s21
; %bb.169:                              ;   in Loop: Header=BB436_13 Depth=1
	v_bfe_u32 v36, v35, 16, 1
	s_delay_alu instid0(VALU_DEP_1)
	v_add3_u32 v78, v35, v36, 0x7fff
                                        ; implicit-def: $vgpr35
; %bb.170:                              ;   in Loop: Header=BB436_13 Depth=1
	s_and_not1_saveexec_b32 s21, s1
; %bb.171:                              ;   in Loop: Header=BB436_13 Depth=1
	v_and_b32_e32 v36, 0xffff, v35
	v_or_b32_e32 v78, 0x10000, v35
	s_delay_alu instid0(VALU_DEP_2) | instskip(NEXT) | instid1(VALU_DEP_1)
	v_cmp_eq_u32_e64 s1, 0, v36
	v_cndmask_b32_e64 v78, v78, v35, s1
; %bb.172:                              ;   in Loop: Header=BB436_13 Depth=1
	s_or_b32 exec_lo, exec_lo, s21
	v_lshrrev_b16 v36, 8, v19
	v_mov_b32_e32 v35, 0
	s_mov_b32 s21, exec_lo
	s_delay_alu instid0(VALU_DEP_2)
	v_cmpx_ne_u16_e32 0, v36
	s_cbranch_execz .LBB436_180
; %bb.173:                              ;   in Loop: Header=BB436_13 Depth=1
	v_bfrev_b32_e32 v35, 1
	s_mov_b32 s22, exec_lo
	v_cmpx_ne_u16_e32 0x80, v36
	s_cbranch_execz .LBB436_179
; %bb.174:                              ;   in Loop: Header=BB436_13 Depth=1
	v_and_b32_e32 v36, 0xffff, v36
	v_mov_b32_e32 v35, 0x7f800001
	s_mov_b32 s23, exec_lo
	s_delay_alu instid0(VALU_DEP_2) | instskip(NEXT) | instid1(VALU_DEP_1)
	v_and_b32_e32 v88, 0x7f, v36
	v_cmpx_ne_u32_e32 0x7f, v88
	s_cbranch_execz .LBB436_178
; %bb.175:                              ;   in Loop: Header=BB436_13 Depth=1
	v_dual_mov_b32 v36, v20 :: v_dual_and_b32 v35, 7, v36
	v_lshrrev_b32_e32 v79, 3, v88
	s_mov_b32 s24, exec_lo
	v_cmpx_gt_u32_e32 8, v88
; %bb.176:                              ;   in Loop: Header=BB436_13 Depth=1
	s_delay_alu instid0(VALU_DEP_3) | instskip(NEXT) | instid1(VALU_DEP_1)
	v_clz_i32_u32_e32 v79, v35
	v_min_u32_e32 v79, 32, v79
	s_delay_alu instid0(VALU_DEP_1) | instskip(SKIP_1) | instid1(VALU_DEP_2)
	v_subrev_nc_u32_e32 v88, 28, v79
	v_sub_nc_u32_e32 v79, 29, v79
	v_lshlrev_b64 v[35:36], v88, v[35:36]
	s_delay_alu instid0(VALU_DEP_1)
	v_and_b32_e32 v35, 7, v35
; %bb.177:                              ;   in Loop: Header=BB436_13 Depth=1
	s_or_b32 exec_lo, exec_lo, s24
	v_lshlrev_b32_e32 v19, 16, v19
	s_delay_alu instid0(VALU_DEP_2) | instskip(SKIP_1) | instid1(VALU_DEP_3)
	v_lshlrev_b32_e32 v35, 20, v35
	v_lshl_add_u32 v36, v79, 23, 0x3c000000
	v_and_b32_e32 v19, 0x80000000, v19
	s_delay_alu instid0(VALU_DEP_1)
	v_or3_b32 v35, v35, v19, v36
.LBB436_178:                            ;   in Loop: Header=BB436_13 Depth=1
	s_or_b32 exec_lo, exec_lo, s23
.LBB436_179:                            ;   in Loop: Header=BB436_13 Depth=1
	s_delay_alu instid0(SALU_CYCLE_1)
	s_or_b32 exec_lo, exec_lo, s22
.LBB436_180:                            ;   in Loop: Header=BB436_13 Depth=1
	s_delay_alu instid0(SALU_CYCLE_1) | instskip(NEXT) | instid1(VALU_DEP_1)
	s_or_b32 exec_lo, exec_lo, s21
	v_mul_f32_e32 v19, v58, v35
                                        ; implicit-def: $vgpr79
	s_delay_alu instid0(VALU_DEP_1) | instskip(NEXT) | instid1(VALU_DEP_1)
	v_and_b32_e32 v35, 0x7f800000, v19
	v_cmp_ne_u32_e64 s1, 0x7f800000, v35
	s_delay_alu instid0(VALU_DEP_1) | instskip(NEXT) | instid1(SALU_CYCLE_1)
	s_and_saveexec_b32 s21, s1
	s_xor_b32 s1, exec_lo, s21
; %bb.181:                              ;   in Loop: Header=BB436_13 Depth=1
	v_bfe_u32 v35, v19, 16, 1
	s_delay_alu instid0(VALU_DEP_1)
	v_add3_u32 v79, v19, v35, 0x7fff
                                        ; implicit-def: $vgpr19
; %bb.182:                              ;   in Loop: Header=BB436_13 Depth=1
	s_and_not1_saveexec_b32 s21, s1
; %bb.183:                              ;   in Loop: Header=BB436_13 Depth=1
	v_and_b32_e32 v35, 0xffff, v19
	v_or_b32_e32 v36, 0x10000, v19
	s_delay_alu instid0(VALU_DEP_2) | instskip(NEXT) | instid1(VALU_DEP_1)
	v_cmp_eq_u32_e64 s1, 0, v35
	v_cndmask_b32_e64 v79, v36, v19, s1
; %bb.184:                              ;   in Loop: Header=BB436_13 Depth=1
	s_or_b32 exec_lo, exec_lo, s21
	v_lshrrev_b32_e32 v35, 16, v34
	s_mov_b32 s21, exec_lo
	s_delay_alu instid0(VALU_DEP_1) | instskip(NEXT) | instid1(VALU_DEP_1)
	v_dual_mov_b32 v19, 0 :: v_dual_and_b32 v36, 0xff, v35
	v_cmpx_ne_u16_e32 0, v36
	s_cbranch_execz .LBB436_192
; %bb.185:                              ;   in Loop: Header=BB436_13 Depth=1
	v_bfrev_b32_e32 v19, 1
	s_mov_b32 s22, exec_lo
	v_cmpx_ne_u16_e32 0x80, v36
	s_cbranch_execz .LBB436_191
; %bb.186:                              ;   in Loop: Header=BB436_13 Depth=1
	v_bfe_u32 v88, v34, 16, 7
	v_mov_b32_e32 v19, 0x7f800001
	s_mov_b32 s23, exec_lo
	s_delay_alu instid0(VALU_DEP_2)
	v_cmpx_ne_u32_e32 0x7f, v88
	s_cbranch_execz .LBB436_190
; %bb.187:                              ;   in Loop: Header=BB436_13 Depth=1
	v_and_b32_e32 v19, 7, v35
	v_lshrrev_b32_e32 v36, 3, v88
	s_mov_b32 s24, exec_lo
	v_cmpx_gt_u32_e32 8, v88
; %bb.188:                              ;   in Loop: Header=BB436_13 Depth=1
	s_delay_alu instid0(VALU_DEP_3) | instskip(NEXT) | instid1(VALU_DEP_1)
	v_clz_i32_u32_e32 v36, v19
	v_min_u32_e32 v36, 32, v36
	s_delay_alu instid0(VALU_DEP_1) | instskip(SKIP_1) | instid1(VALU_DEP_2)
	v_subrev_nc_u32_e32 v88, 28, v36
	v_sub_nc_u32_e32 v36, 29, v36
	v_lshlrev_b64 v[88:89], v88, v[19:20]
	s_delay_alu instid0(VALU_DEP_1)
	v_and_b32_e32 v19, 7, v88
; %bb.189:                              ;   in Loop: Header=BB436_13 Depth=1
	s_or_b32 exec_lo, exec_lo, s24
	v_lshlrev_b32_e32 v35, 24, v35
	s_delay_alu instid0(VALU_DEP_2) | instskip(SKIP_1) | instid1(VALU_DEP_3)
	v_lshlrev_b32_e32 v19, 20, v19
	v_lshl_add_u32 v36, v36, 23, 0x3c000000
	v_and_b32_e32 v35, 0x80000000, v35
	s_delay_alu instid0(VALU_DEP_1)
	v_or3_b32 v19, v19, v35, v36
.LBB436_190:                            ;   in Loop: Header=BB436_13 Depth=1
	s_or_b32 exec_lo, exec_lo, s23
.LBB436_191:                            ;   in Loop: Header=BB436_13 Depth=1
	s_delay_alu instid0(SALU_CYCLE_1)
	s_or_b32 exec_lo, exec_lo, s22
.LBB436_192:                            ;   in Loop: Header=BB436_13 Depth=1
	s_delay_alu instid0(SALU_CYCLE_1) | instskip(NEXT) | instid1(VALU_DEP_1)
	s_or_b32 exec_lo, exec_lo, s21
	v_mul_f32_e32 v19, v58, v19
                                        ; implicit-def: $vgpr88
	s_delay_alu instid0(VALU_DEP_1) | instskip(NEXT) | instid1(VALU_DEP_1)
	v_and_b32_e32 v35, 0x7f800000, v19
	v_cmp_ne_u32_e64 s1, 0x7f800000, v35
	s_delay_alu instid0(VALU_DEP_1) | instskip(NEXT) | instid1(SALU_CYCLE_1)
	s_and_saveexec_b32 s21, s1
	s_xor_b32 s1, exec_lo, s21
; %bb.193:                              ;   in Loop: Header=BB436_13 Depth=1
	v_bfe_u32 v35, v19, 16, 1
	s_delay_alu instid0(VALU_DEP_1)
	v_add3_u32 v88, v19, v35, 0x7fff
                                        ; implicit-def: $vgpr19
; %bb.194:                              ;   in Loop: Header=BB436_13 Depth=1
	s_and_not1_saveexec_b32 s21, s1
; %bb.195:                              ;   in Loop: Header=BB436_13 Depth=1
	v_and_b32_e32 v35, 0xffff, v19
	v_or_b32_e32 v36, 0x10000, v19
	s_delay_alu instid0(VALU_DEP_2) | instskip(NEXT) | instid1(VALU_DEP_1)
	v_cmp_eq_u32_e64 s1, 0, v35
	v_cndmask_b32_e64 v88, v36, v19, s1
; %bb.196:                              ;   in Loop: Header=BB436_13 Depth=1
	s_or_b32 exec_lo, exec_lo, s21
	v_mov_b32_e32 v19, 0
	s_mov_b32 s21, exec_lo
	v_cmpx_lt_u64_e64 s[16:17], v[33:34]
	s_cbranch_execz .LBB436_204
; %bb.197:                              ;   in Loop: Header=BB436_13 Depth=1
	v_lshrrev_b32_e32 v33, 24, v34
	v_bfrev_b32_e32 v19, 1
	s_mov_b32 s22, exec_lo
	s_delay_alu instid0(VALU_DEP_2)
	v_cmpx_ne_u32_e32 0x80, v33
	s_cbranch_execz .LBB436_203
; %bb.198:                              ;   in Loop: Header=BB436_13 Depth=1
	v_bfe_u32 v35, v34, 24, 7
	v_mov_b32_e32 v19, 0x7f800001
	s_mov_b32 s23, exec_lo
	s_delay_alu instid0(VALU_DEP_2)
	v_cmpx_ne_u32_e32 0x7f, v35
	s_cbranch_execz .LBB436_202
; %bb.199:                              ;   in Loop: Header=BB436_13 Depth=1
	v_and_b32_e32 v19, 7, v33
	v_lshrrev_b32_e32 v34, 3, v35
	s_mov_b32 s24, exec_lo
	v_cmpx_gt_u32_e32 8, v35
; %bb.200:                              ;   in Loop: Header=BB436_13 Depth=1
	s_delay_alu instid0(VALU_DEP_3) | instskip(NEXT) | instid1(VALU_DEP_1)
	v_clz_i32_u32_e32 v34, v19
	v_min_u32_e32 v34, 32, v34
	s_delay_alu instid0(VALU_DEP_1) | instskip(SKIP_1) | instid1(VALU_DEP_2)
	v_subrev_nc_u32_e32 v35, 28, v34
	v_sub_nc_u32_e32 v34, 29, v34
	v_lshlrev_b64 v[35:36], v35, v[19:20]
	s_delay_alu instid0(VALU_DEP_1)
	v_and_b32_e32 v19, 7, v35
; %bb.201:                              ;   in Loop: Header=BB436_13 Depth=1
	s_or_b32 exec_lo, exec_lo, s24
	v_lshlrev_b32_e32 v33, 24, v33
	s_delay_alu instid0(VALU_DEP_2) | instskip(SKIP_1) | instid1(VALU_DEP_3)
	v_lshlrev_b32_e32 v19, 20, v19
	v_lshl_add_u32 v34, v34, 23, 0x3c000000
	v_and_b32_e32 v33, 0x80000000, v33
	s_delay_alu instid0(VALU_DEP_1)
	v_or3_b32 v19, v19, v33, v34
.LBB436_202:                            ;   in Loop: Header=BB436_13 Depth=1
	s_or_b32 exec_lo, exec_lo, s23
.LBB436_203:                            ;   in Loop: Header=BB436_13 Depth=1
	s_delay_alu instid0(SALU_CYCLE_1)
	s_or_b32 exec_lo, exec_lo, s22
.LBB436_204:                            ;   in Loop: Header=BB436_13 Depth=1
	s_delay_alu instid0(SALU_CYCLE_1) | instskip(NEXT) | instid1(VALU_DEP_1)
	s_or_b32 exec_lo, exec_lo, s21
	v_mul_f32_e32 v19, v58, v19
                                        ; implicit-def: $vgpr89
	s_delay_alu instid0(VALU_DEP_1) | instskip(NEXT) | instid1(VALU_DEP_1)
	v_and_b32_e32 v33, 0x7f800000, v19
	v_cmp_ne_u32_e64 s1, 0x7f800000, v33
	s_delay_alu instid0(VALU_DEP_1) | instskip(NEXT) | instid1(SALU_CYCLE_1)
	s_and_saveexec_b32 s21, s1
	s_xor_b32 s1, exec_lo, s21
; %bb.205:                              ;   in Loop: Header=BB436_13 Depth=1
	v_bfe_u32 v33, v19, 16, 1
	s_delay_alu instid0(VALU_DEP_1)
	v_add3_u32 v89, v19, v33, 0x7fff
                                        ; implicit-def: $vgpr19
; %bb.206:                              ;   in Loop: Header=BB436_13 Depth=1
	s_and_not1_saveexec_b32 s21, s1
; %bb.207:                              ;   in Loop: Header=BB436_13 Depth=1
	v_and_b32_e32 v33, 0xffff, v19
	v_or_b32_e32 v34, 0x10000, v19
	s_delay_alu instid0(VALU_DEP_2) | instskip(NEXT) | instid1(VALU_DEP_1)
	v_cmp_eq_u32_e64 s1, 0, v33
	v_cndmask_b32_e64 v89, v34, v19, s1
; %bb.208:                              ;   in Loop: Header=BB436_13 Depth=1
	s_or_b32 exec_lo, exec_lo, s21
	flat_load_b64 v[33:34], v[31:32] offset:512
	v_mov_b32_e32 v19, 0
	s_mov_b32 s21, exec_lo
	s_waitcnt vmcnt(0) lgkmcnt(0)
	v_and_b32_e32 v35, 0xff, v33
	s_delay_alu instid0(VALU_DEP_1)
	v_cmpx_ne_u16_e32 0, v35
	s_cbranch_execz .LBB436_216
; %bb.209:                              ;   in Loop: Header=BB436_13 Depth=1
	v_bfrev_b32_e32 v19, 1
	s_mov_b32 s22, exec_lo
	v_cmpx_ne_u16_e32 0x80, v35
	s_cbranch_execz .LBB436_215
; %bb.210:                              ;   in Loop: Header=BB436_13 Depth=1
	v_and_b32_e32 v35, 0x7f, v33
	v_mov_b32_e32 v19, 0x7f800001
	s_mov_b32 s23, exec_lo
	s_delay_alu instid0(VALU_DEP_2)
	v_cmpx_ne_u32_e32 0x7f, v35
	s_cbranch_execz .LBB436_214
; %bb.211:                              ;   in Loop: Header=BB436_13 Depth=1
	v_lshrrev_b32_e32 v19, 3, v35
	v_cmp_gt_u32_e64 s1, 8, v35
	v_dual_mov_b32 v36, v34 :: v_dual_mov_b32 v35, v33
	s_delay_alu instid0(VALU_DEP_2)
	s_and_saveexec_b32 s24, s1
; %bb.212:                              ;   in Loop: Header=BB436_13 Depth=1
	v_and_b32_e32 v19, 7, v33
	s_delay_alu instid0(VALU_DEP_1) | instskip(NEXT) | instid1(VALU_DEP_1)
	v_clz_i32_u32_e32 v19, v19
	v_min_u32_e32 v19, 32, v19
	s_delay_alu instid0(VALU_DEP_1) | instskip(SKIP_1) | instid1(VALU_DEP_2)
	v_subrev_nc_u32_e32 v35, 28, v19
	v_sub_nc_u32_e32 v19, 29, v19
	v_lshlrev_b64 v[35:36], v35, v[33:34]
; %bb.213:                              ;   in Loop: Header=BB436_13 Depth=1
	s_or_b32 exec_lo, exec_lo, s24
	s_delay_alu instid0(VALU_DEP_1) | instskip(SKIP_2) | instid1(VALU_DEP_3)
	v_lshlrev_b32_e32 v35, 20, v35
	v_lshlrev_b32_e32 v36, 24, v33
	v_lshl_add_u32 v19, v19, 23, 0x3c000000
	v_and_b32_e32 v35, 0x700000, v35
	s_delay_alu instid0(VALU_DEP_3) | instskip(NEXT) | instid1(VALU_DEP_1)
	v_and_b32_e32 v36, 0x80000000, v36
	v_or3_b32 v19, v35, v36, v19
.LBB436_214:                            ;   in Loop: Header=BB436_13 Depth=1
	s_or_b32 exec_lo, exec_lo, s23
.LBB436_215:                            ;   in Loop: Header=BB436_13 Depth=1
	s_delay_alu instid0(SALU_CYCLE_1)
	s_or_b32 exec_lo, exec_lo, s22
.LBB436_216:                            ;   in Loop: Header=BB436_13 Depth=1
	s_delay_alu instid0(SALU_CYCLE_1) | instskip(NEXT) | instid1(VALU_DEP_1)
	s_or_b32 exec_lo, exec_lo, s21
	v_mul_f32_e32 v19, v58, v19
                                        ; implicit-def: $vgpr90
	s_delay_alu instid0(VALU_DEP_1) | instskip(NEXT) | instid1(VALU_DEP_1)
	v_and_b32_e32 v35, 0x7f800000, v19
	v_cmp_ne_u32_e64 s1, 0x7f800000, v35
	s_delay_alu instid0(VALU_DEP_1) | instskip(NEXT) | instid1(SALU_CYCLE_1)
	s_and_saveexec_b32 s21, s1
	s_xor_b32 s1, exec_lo, s21
; %bb.217:                              ;   in Loop: Header=BB436_13 Depth=1
	v_bfe_u32 v35, v19, 16, 1
	s_delay_alu instid0(VALU_DEP_1)
	v_add3_u32 v90, v19, v35, 0x7fff
                                        ; implicit-def: $vgpr19
; %bb.218:                              ;   in Loop: Header=BB436_13 Depth=1
	s_and_not1_saveexec_b32 s21, s1
; %bb.219:                              ;   in Loop: Header=BB436_13 Depth=1
	v_and_b32_e32 v35, 0xffff, v19
	v_or_b32_e32 v36, 0x10000, v19
	s_delay_alu instid0(VALU_DEP_2) | instskip(NEXT) | instid1(VALU_DEP_1)
	v_cmp_eq_u32_e64 s1, 0, v35
	v_cndmask_b32_e64 v90, v36, v19, s1
; %bb.220:                              ;   in Loop: Header=BB436_13 Depth=1
	s_or_b32 exec_lo, exec_lo, s21
	v_lshrrev_b16 v35, 8, v33
	v_mov_b32_e32 v19, 0
	s_mov_b32 s21, exec_lo
	s_delay_alu instid0(VALU_DEP_2)
	v_cmpx_ne_u16_e32 0, v35
	s_cbranch_execz .LBB436_228
; %bb.221:                              ;   in Loop: Header=BB436_13 Depth=1
	v_bfrev_b32_e32 v19, 1
	s_mov_b32 s22, exec_lo
	v_cmpx_ne_u16_e32 0x80, v35
	s_cbranch_execz .LBB436_227
; %bb.222:                              ;   in Loop: Header=BB436_13 Depth=1
	v_and_b32_e32 v35, 0xffff, v35
	v_mov_b32_e32 v19, 0x7f800001
	s_mov_b32 s23, exec_lo
	s_delay_alu instid0(VALU_DEP_2) | instskip(NEXT) | instid1(VALU_DEP_1)
	v_and_b32_e32 v36, 0x7f, v35
	v_cmpx_ne_u32_e32 0x7f, v36
	s_cbranch_execz .LBB436_226
; %bb.223:                              ;   in Loop: Header=BB436_13 Depth=1
	v_and_b32_e32 v19, 7, v35
	v_lshrrev_b32_e32 v35, 3, v36
	s_mov_b32 s24, exec_lo
	v_cmpx_gt_u32_e32 8, v36
; %bb.224:                              ;   in Loop: Header=BB436_13 Depth=1
	s_delay_alu instid0(VALU_DEP_3) | instskip(NEXT) | instid1(VALU_DEP_1)
	v_clz_i32_u32_e32 v35, v19
	v_min_u32_e32 v35, 32, v35
	s_delay_alu instid0(VALU_DEP_1) | instskip(SKIP_1) | instid1(VALU_DEP_2)
	v_subrev_nc_u32_e32 v36, 28, v35
	v_sub_nc_u32_e32 v35, 29, v35
	v_lshlrev_b64 v[91:92], v36, v[19:20]
	s_delay_alu instid0(VALU_DEP_1)
	v_and_b32_e32 v19, 7, v91
; %bb.225:                              ;   in Loop: Header=BB436_13 Depth=1
	s_or_b32 exec_lo, exec_lo, s24
	v_lshlrev_b32_e32 v36, 16, v33
	s_delay_alu instid0(VALU_DEP_2) | instskip(SKIP_1) | instid1(VALU_DEP_3)
	v_lshlrev_b32_e32 v19, 20, v19
	v_lshl_add_u32 v35, v35, 23, 0x3c000000
	v_and_b32_e32 v36, 0x80000000, v36
	s_delay_alu instid0(VALU_DEP_1)
	v_or3_b32 v19, v19, v36, v35
.LBB436_226:                            ;   in Loop: Header=BB436_13 Depth=1
	s_or_b32 exec_lo, exec_lo, s23
.LBB436_227:                            ;   in Loop: Header=BB436_13 Depth=1
	s_delay_alu instid0(SALU_CYCLE_1)
	s_or_b32 exec_lo, exec_lo, s22
.LBB436_228:                            ;   in Loop: Header=BB436_13 Depth=1
	s_delay_alu instid0(SALU_CYCLE_1) | instskip(NEXT) | instid1(VALU_DEP_1)
	s_or_b32 exec_lo, exec_lo, s21
	v_mul_f32_e32 v19, v58, v19
                                        ; implicit-def: $vgpr91
	s_delay_alu instid0(VALU_DEP_1) | instskip(NEXT) | instid1(VALU_DEP_1)
	v_and_b32_e32 v35, 0x7f800000, v19
	v_cmp_ne_u32_e64 s1, 0x7f800000, v35
	s_delay_alu instid0(VALU_DEP_1) | instskip(NEXT) | instid1(SALU_CYCLE_1)
	s_and_saveexec_b32 s21, s1
	s_xor_b32 s1, exec_lo, s21
; %bb.229:                              ;   in Loop: Header=BB436_13 Depth=1
	v_bfe_u32 v35, v19, 16, 1
	s_delay_alu instid0(VALU_DEP_1)
	v_add3_u32 v91, v19, v35, 0x7fff
                                        ; implicit-def: $vgpr19
; %bb.230:                              ;   in Loop: Header=BB436_13 Depth=1
	s_and_not1_saveexec_b32 s21, s1
; %bb.231:                              ;   in Loop: Header=BB436_13 Depth=1
	v_and_b32_e32 v35, 0xffff, v19
	v_or_b32_e32 v36, 0x10000, v19
	s_delay_alu instid0(VALU_DEP_2) | instskip(NEXT) | instid1(VALU_DEP_1)
	v_cmp_eq_u32_e64 s1, 0, v35
	v_cndmask_b32_e64 v91, v36, v19, s1
; %bb.232:                              ;   in Loop: Header=BB436_13 Depth=1
	s_or_b32 exec_lo, exec_lo, s21
	v_lshrrev_b32_e32 v35, 16, v33
	s_mov_b32 s21, exec_lo
	s_delay_alu instid0(VALU_DEP_1) | instskip(NEXT) | instid1(VALU_DEP_1)
	v_dual_mov_b32 v19, 0 :: v_dual_and_b32 v36, 0xff, v35
	v_cmpx_ne_u16_e32 0, v36
	s_cbranch_execz .LBB436_240
; %bb.233:                              ;   in Loop: Header=BB436_13 Depth=1
	v_bfrev_b32_e32 v19, 1
	s_mov_b32 s22, exec_lo
	v_cmpx_ne_u16_e32 0x80, v36
	s_cbranch_execz .LBB436_239
; %bb.234:                              ;   in Loop: Header=BB436_13 Depth=1
	v_bfe_u32 v92, v33, 16, 7
	v_mov_b32_e32 v19, 0x7f800001
	s_mov_b32 s23, exec_lo
	s_delay_alu instid0(VALU_DEP_2)
	v_cmpx_ne_u32_e32 0x7f, v92
	s_cbranch_execz .LBB436_238
; %bb.235:                              ;   in Loop: Header=BB436_13 Depth=1
	v_and_b32_e32 v19, 7, v35
	v_lshrrev_b32_e32 v36, 3, v92
	s_mov_b32 s24, exec_lo
	v_cmpx_gt_u32_e32 8, v92
; %bb.236:                              ;   in Loop: Header=BB436_13 Depth=1
	s_delay_alu instid0(VALU_DEP_3) | instskip(NEXT) | instid1(VALU_DEP_1)
	v_clz_i32_u32_e32 v36, v19
	v_min_u32_e32 v36, 32, v36
	s_delay_alu instid0(VALU_DEP_1) | instskip(SKIP_1) | instid1(VALU_DEP_2)
	v_subrev_nc_u32_e32 v92, 28, v36
	v_sub_nc_u32_e32 v36, 29, v36
	v_lshlrev_b64 v[92:93], v92, v[19:20]
	s_delay_alu instid0(VALU_DEP_1)
	v_and_b32_e32 v19, 7, v92
; %bb.237:                              ;   in Loop: Header=BB436_13 Depth=1
	s_or_b32 exec_lo, exec_lo, s24
	v_lshlrev_b32_e32 v35, 24, v35
	s_delay_alu instid0(VALU_DEP_2) | instskip(SKIP_1) | instid1(VALU_DEP_3)
	v_lshlrev_b32_e32 v19, 20, v19
	v_lshl_add_u32 v36, v36, 23, 0x3c000000
	v_and_b32_e32 v35, 0x80000000, v35
	s_delay_alu instid0(VALU_DEP_1)
	v_or3_b32 v19, v19, v35, v36
.LBB436_238:                            ;   in Loop: Header=BB436_13 Depth=1
	s_or_b32 exec_lo, exec_lo, s23
.LBB436_239:                            ;   in Loop: Header=BB436_13 Depth=1
	s_delay_alu instid0(SALU_CYCLE_1)
	s_or_b32 exec_lo, exec_lo, s22
.LBB436_240:                            ;   in Loop: Header=BB436_13 Depth=1
	s_delay_alu instid0(SALU_CYCLE_1) | instskip(NEXT) | instid1(VALU_DEP_1)
	s_or_b32 exec_lo, exec_lo, s21
	v_mul_f32_e32 v19, v58, v19
                                        ; implicit-def: $vgpr92
	s_delay_alu instid0(VALU_DEP_1) | instskip(NEXT) | instid1(VALU_DEP_1)
	v_and_b32_e32 v35, 0x7f800000, v19
	v_cmp_ne_u32_e64 s1, 0x7f800000, v35
	s_delay_alu instid0(VALU_DEP_1) | instskip(NEXT) | instid1(SALU_CYCLE_1)
	s_and_saveexec_b32 s21, s1
	s_xor_b32 s1, exec_lo, s21
; %bb.241:                              ;   in Loop: Header=BB436_13 Depth=1
	v_bfe_u32 v35, v19, 16, 1
	s_delay_alu instid0(VALU_DEP_1)
	v_add3_u32 v92, v19, v35, 0x7fff
                                        ; implicit-def: $vgpr19
; %bb.242:                              ;   in Loop: Header=BB436_13 Depth=1
	s_and_not1_saveexec_b32 s21, s1
; %bb.243:                              ;   in Loop: Header=BB436_13 Depth=1
	v_and_b32_e32 v35, 0xffff, v19
	v_or_b32_e32 v36, 0x10000, v19
	s_delay_alu instid0(VALU_DEP_2) | instskip(NEXT) | instid1(VALU_DEP_1)
	v_cmp_eq_u32_e64 s1, 0, v35
	v_cndmask_b32_e64 v92, v36, v19, s1
; %bb.244:                              ;   in Loop: Header=BB436_13 Depth=1
	s_or_b32 exec_lo, exec_lo, s21
	v_mov_b32_e32 v19, 0
	s_mov_b32 s21, exec_lo
	v_cmpx_lt_u32_e32 0xffffff, v33
	s_cbranch_execz .LBB436_252
; %bb.245:                              ;   in Loop: Header=BB436_13 Depth=1
	v_lshrrev_b32_e32 v35, 24, v33
	v_bfrev_b32_e32 v19, 1
	s_mov_b32 s22, exec_lo
	s_delay_alu instid0(VALU_DEP_2)
	v_cmpx_ne_u32_e32 0x80, v35
	s_cbranch_execz .LBB436_251
; %bb.246:                              ;   in Loop: Header=BB436_13 Depth=1
	v_bfe_u32 v93, v33, 24, 7
	v_mov_b32_e32 v19, 0x7f800001
	s_mov_b32 s23, exec_lo
	s_delay_alu instid0(VALU_DEP_2)
	v_cmpx_ne_u32_e32 0x7f, v93
	s_cbranch_execz .LBB436_250
; %bb.247:                              ;   in Loop: Header=BB436_13 Depth=1
	v_and_b32_e32 v19, 7, v35
	v_lshrrev_b32_e32 v36, 3, v93
	s_mov_b32 s24, exec_lo
	v_cmpx_gt_u32_e32 8, v93
; %bb.248:                              ;   in Loop: Header=BB436_13 Depth=1
	s_delay_alu instid0(VALU_DEP_3) | instskip(NEXT) | instid1(VALU_DEP_1)
	v_clz_i32_u32_e32 v36, v19
	v_min_u32_e32 v36, 32, v36
	s_delay_alu instid0(VALU_DEP_1) | instskip(SKIP_1) | instid1(VALU_DEP_2)
	v_subrev_nc_u32_e32 v93, 28, v36
	v_sub_nc_u32_e32 v36, 29, v36
	v_lshlrev_b64 v[93:94], v93, v[19:20]
	s_delay_alu instid0(VALU_DEP_1)
	v_and_b32_e32 v19, 7, v93
; %bb.249:                              ;   in Loop: Header=BB436_13 Depth=1
	s_or_b32 exec_lo, exec_lo, s24
	v_lshlrev_b32_e32 v35, 24, v35
	s_delay_alu instid0(VALU_DEP_2) | instskip(SKIP_1) | instid1(VALU_DEP_3)
	v_lshlrev_b32_e32 v19, 20, v19
	v_lshl_add_u32 v36, v36, 23, 0x3c000000
	v_and_b32_e32 v35, 0x80000000, v35
	s_delay_alu instid0(VALU_DEP_1)
	v_or3_b32 v19, v19, v35, v36
.LBB436_250:                            ;   in Loop: Header=BB436_13 Depth=1
	s_or_b32 exec_lo, exec_lo, s23
.LBB436_251:                            ;   in Loop: Header=BB436_13 Depth=1
	s_delay_alu instid0(SALU_CYCLE_1)
	s_or_b32 exec_lo, exec_lo, s22
.LBB436_252:                            ;   in Loop: Header=BB436_13 Depth=1
	s_delay_alu instid0(SALU_CYCLE_1) | instskip(NEXT) | instid1(VALU_DEP_1)
	s_or_b32 exec_lo, exec_lo, s21
	v_mul_f32_e32 v19, v58, v19
                                        ; implicit-def: $vgpr93
	s_delay_alu instid0(VALU_DEP_1) | instskip(NEXT) | instid1(VALU_DEP_1)
	v_and_b32_e32 v35, 0x7f800000, v19
	v_cmp_ne_u32_e64 s1, 0x7f800000, v35
	s_delay_alu instid0(VALU_DEP_1) | instskip(NEXT) | instid1(SALU_CYCLE_1)
	s_and_saveexec_b32 s21, s1
	s_xor_b32 s1, exec_lo, s21
; %bb.253:                              ;   in Loop: Header=BB436_13 Depth=1
	v_bfe_u32 v35, v19, 16, 1
	s_delay_alu instid0(VALU_DEP_1)
	v_add3_u32 v93, v19, v35, 0x7fff
                                        ; implicit-def: $vgpr19
; %bb.254:                              ;   in Loop: Header=BB436_13 Depth=1
	s_and_not1_saveexec_b32 s21, s1
; %bb.255:                              ;   in Loop: Header=BB436_13 Depth=1
	v_and_b32_e32 v35, 0xffff, v19
	v_or_b32_e32 v36, 0x10000, v19
	s_delay_alu instid0(VALU_DEP_2) | instskip(NEXT) | instid1(VALU_DEP_1)
	v_cmp_eq_u32_e64 s1, 0, v35
	v_cndmask_b32_e64 v93, v36, v19, s1
; %bb.256:                              ;   in Loop: Header=BB436_13 Depth=1
	s_or_b32 exec_lo, exec_lo, s21
	v_dual_mov_b32 v19, v34 :: v_dual_and_b32 v36, 0xff, v34
	v_mov_b32_e32 v35, 0
	s_mov_b32 s21, exec_lo
	s_delay_alu instid0(VALU_DEP_2)
	v_cmpx_ne_u16_e32 0, v36
	s_cbranch_execz .LBB436_264
; %bb.257:                              ;   in Loop: Header=BB436_13 Depth=1
	v_bfrev_b32_e32 v35, 1
	s_mov_b32 s22, exec_lo
	v_cmpx_ne_u16_e32 0x80, v36
	s_cbranch_execz .LBB436_263
; %bb.258:                              ;   in Loop: Header=BB436_13 Depth=1
	v_and_b32_e32 v36, 0x7f, v34
	v_mov_b32_e32 v35, 0x7f800001
	s_mov_b32 s23, exec_lo
	s_delay_alu instid0(VALU_DEP_2)
	v_cmpx_ne_u32_e32 0x7f, v36
	s_cbranch_execz .LBB436_262
; %bb.259:                              ;   in Loop: Header=BB436_13 Depth=1
	v_lshrrev_b32_e32 v94, 3, v36
	v_cmp_gt_u32_e64 s1, 8, v36
	v_dual_mov_b32 v36, v20 :: v_dual_mov_b32 v35, v19
	s_delay_alu instid0(VALU_DEP_2)
	s_and_saveexec_b32 s24, s1
; %bb.260:                              ;   in Loop: Header=BB436_13 Depth=1
	v_and_b32_e32 v35, 7, v34
	s_delay_alu instid0(VALU_DEP_1) | instskip(NEXT) | instid1(VALU_DEP_1)
	v_clz_i32_u32_e32 v35, v35
	v_min_u32_e32 v94, 32, v35
	s_delay_alu instid0(VALU_DEP_1) | instskip(SKIP_1) | instid1(VALU_DEP_2)
	v_subrev_nc_u32_e32 v35, 28, v94
	v_sub_nc_u32_e32 v94, 29, v94
	v_lshlrev_b64 v[35:36], v35, v[19:20]
; %bb.261:                              ;   in Loop: Header=BB436_13 Depth=1
	s_or_b32 exec_lo, exec_lo, s24
	s_delay_alu instid0(VALU_DEP_1) | instskip(SKIP_2) | instid1(VALU_DEP_3)
	v_lshlrev_b32_e32 v35, 20, v35
	v_lshlrev_b32_e32 v36, 24, v19
	v_lshl_add_u32 v94, v94, 23, 0x3c000000
	v_and_b32_e32 v35, 0x700000, v35
	s_delay_alu instid0(VALU_DEP_3) | instskip(NEXT) | instid1(VALU_DEP_1)
	v_and_b32_e32 v36, 0x80000000, v36
	v_or3_b32 v35, v35, v36, v94
.LBB436_262:                            ;   in Loop: Header=BB436_13 Depth=1
	s_or_b32 exec_lo, exec_lo, s23
.LBB436_263:                            ;   in Loop: Header=BB436_13 Depth=1
	s_delay_alu instid0(SALU_CYCLE_1)
	s_or_b32 exec_lo, exec_lo, s22
.LBB436_264:                            ;   in Loop: Header=BB436_13 Depth=1
	s_delay_alu instid0(SALU_CYCLE_1) | instskip(NEXT) | instid1(VALU_DEP_1)
	s_or_b32 exec_lo, exec_lo, s21
	v_mul_f32_e32 v35, v58, v35
                                        ; implicit-def: $vgpr94
	s_delay_alu instid0(VALU_DEP_1) | instskip(NEXT) | instid1(VALU_DEP_1)
	v_and_b32_e32 v36, 0x7f800000, v35
	v_cmp_ne_u32_e64 s1, 0x7f800000, v36
	s_delay_alu instid0(VALU_DEP_1) | instskip(NEXT) | instid1(SALU_CYCLE_1)
	s_and_saveexec_b32 s21, s1
	s_xor_b32 s1, exec_lo, s21
; %bb.265:                              ;   in Loop: Header=BB436_13 Depth=1
	v_bfe_u32 v36, v35, 16, 1
	s_delay_alu instid0(VALU_DEP_1)
	v_add3_u32 v94, v35, v36, 0x7fff
                                        ; implicit-def: $vgpr35
; %bb.266:                              ;   in Loop: Header=BB436_13 Depth=1
	s_and_not1_saveexec_b32 s21, s1
; %bb.267:                              ;   in Loop: Header=BB436_13 Depth=1
	v_and_b32_e32 v36, 0xffff, v35
	v_or_b32_e32 v94, 0x10000, v35
	s_delay_alu instid0(VALU_DEP_2) | instskip(NEXT) | instid1(VALU_DEP_1)
	v_cmp_eq_u32_e64 s1, 0, v36
	v_cndmask_b32_e64 v94, v94, v35, s1
; %bb.268:                              ;   in Loop: Header=BB436_13 Depth=1
	s_or_b32 exec_lo, exec_lo, s21
	v_lshrrev_b16 v36, 8, v19
	v_mov_b32_e32 v35, 0
	s_mov_b32 s21, exec_lo
	s_delay_alu instid0(VALU_DEP_2)
	v_cmpx_ne_u16_e32 0, v36
	s_cbranch_execz .LBB436_276
; %bb.269:                              ;   in Loop: Header=BB436_13 Depth=1
	v_bfrev_b32_e32 v35, 1
	s_mov_b32 s22, exec_lo
	v_cmpx_ne_u16_e32 0x80, v36
	s_cbranch_execz .LBB436_275
; %bb.270:                              ;   in Loop: Header=BB436_13 Depth=1
	v_and_b32_e32 v36, 0xffff, v36
	v_mov_b32_e32 v35, 0x7f800001
	s_mov_b32 s23, exec_lo
	s_delay_alu instid0(VALU_DEP_2) | instskip(NEXT) | instid1(VALU_DEP_1)
	v_and_b32_e32 v104, 0x7f, v36
	v_cmpx_ne_u32_e32 0x7f, v104
	s_cbranch_execz .LBB436_274
; %bb.271:                              ;   in Loop: Header=BB436_13 Depth=1
	v_dual_mov_b32 v36, v20 :: v_dual_and_b32 v35, 7, v36
	v_lshrrev_b32_e32 v95, 3, v104
	s_mov_b32 s24, exec_lo
	v_cmpx_gt_u32_e32 8, v104
; %bb.272:                              ;   in Loop: Header=BB436_13 Depth=1
	s_delay_alu instid0(VALU_DEP_3) | instskip(NEXT) | instid1(VALU_DEP_1)
	v_clz_i32_u32_e32 v95, v35
	v_min_u32_e32 v95, 32, v95
	s_delay_alu instid0(VALU_DEP_1) | instskip(SKIP_1) | instid1(VALU_DEP_2)
	v_subrev_nc_u32_e32 v104, 28, v95
	v_sub_nc_u32_e32 v95, 29, v95
	v_lshlrev_b64 v[35:36], v104, v[35:36]
	s_delay_alu instid0(VALU_DEP_1)
	v_and_b32_e32 v35, 7, v35
; %bb.273:                              ;   in Loop: Header=BB436_13 Depth=1
	s_or_b32 exec_lo, exec_lo, s24
	v_lshlrev_b32_e32 v19, 16, v19
	s_delay_alu instid0(VALU_DEP_2) | instskip(SKIP_1) | instid1(VALU_DEP_3)
	v_lshlrev_b32_e32 v35, 20, v35
	v_lshl_add_u32 v36, v95, 23, 0x3c000000
	v_and_b32_e32 v19, 0x80000000, v19
	s_delay_alu instid0(VALU_DEP_1)
	v_or3_b32 v35, v35, v19, v36
.LBB436_274:                            ;   in Loop: Header=BB436_13 Depth=1
	s_or_b32 exec_lo, exec_lo, s23
.LBB436_275:                            ;   in Loop: Header=BB436_13 Depth=1
	s_delay_alu instid0(SALU_CYCLE_1)
	s_or_b32 exec_lo, exec_lo, s22
.LBB436_276:                            ;   in Loop: Header=BB436_13 Depth=1
	s_delay_alu instid0(SALU_CYCLE_1) | instskip(NEXT) | instid1(VALU_DEP_1)
	s_or_b32 exec_lo, exec_lo, s21
	v_mul_f32_e32 v19, v58, v35
                                        ; implicit-def: $vgpr95
	s_delay_alu instid0(VALU_DEP_1) | instskip(NEXT) | instid1(VALU_DEP_1)
	v_and_b32_e32 v35, 0x7f800000, v19
	v_cmp_ne_u32_e64 s1, 0x7f800000, v35
	s_delay_alu instid0(VALU_DEP_1) | instskip(NEXT) | instid1(SALU_CYCLE_1)
	s_and_saveexec_b32 s21, s1
	s_xor_b32 s1, exec_lo, s21
; %bb.277:                              ;   in Loop: Header=BB436_13 Depth=1
	v_bfe_u32 v35, v19, 16, 1
	s_delay_alu instid0(VALU_DEP_1)
	v_add3_u32 v95, v19, v35, 0x7fff
                                        ; implicit-def: $vgpr19
; %bb.278:                              ;   in Loop: Header=BB436_13 Depth=1
	s_and_not1_saveexec_b32 s21, s1
; %bb.279:                              ;   in Loop: Header=BB436_13 Depth=1
	v_and_b32_e32 v35, 0xffff, v19
	v_or_b32_e32 v36, 0x10000, v19
	s_delay_alu instid0(VALU_DEP_2) | instskip(NEXT) | instid1(VALU_DEP_1)
	v_cmp_eq_u32_e64 s1, 0, v35
	v_cndmask_b32_e64 v95, v36, v19, s1
; %bb.280:                              ;   in Loop: Header=BB436_13 Depth=1
	s_or_b32 exec_lo, exec_lo, s21
	v_lshrrev_b32_e32 v35, 16, v34
	s_mov_b32 s21, exec_lo
	s_delay_alu instid0(VALU_DEP_1) | instskip(NEXT) | instid1(VALU_DEP_1)
	v_dual_mov_b32 v19, 0 :: v_dual_and_b32 v36, 0xff, v35
	v_cmpx_ne_u16_e32 0, v36
	s_cbranch_execz .LBB436_288
; %bb.281:                              ;   in Loop: Header=BB436_13 Depth=1
	v_bfrev_b32_e32 v19, 1
	s_mov_b32 s22, exec_lo
	v_cmpx_ne_u16_e32 0x80, v36
	s_cbranch_execz .LBB436_287
; %bb.282:                              ;   in Loop: Header=BB436_13 Depth=1
	v_bfe_u32 v104, v34, 16, 7
	v_mov_b32_e32 v19, 0x7f800001
	s_mov_b32 s23, exec_lo
	s_delay_alu instid0(VALU_DEP_2)
	v_cmpx_ne_u32_e32 0x7f, v104
	s_cbranch_execz .LBB436_286
; %bb.283:                              ;   in Loop: Header=BB436_13 Depth=1
	v_and_b32_e32 v19, 7, v35
	v_lshrrev_b32_e32 v36, 3, v104
	s_mov_b32 s24, exec_lo
	v_cmpx_gt_u32_e32 8, v104
; %bb.284:                              ;   in Loop: Header=BB436_13 Depth=1
	s_delay_alu instid0(VALU_DEP_3) | instskip(NEXT) | instid1(VALU_DEP_1)
	v_clz_i32_u32_e32 v36, v19
	v_min_u32_e32 v36, 32, v36
	s_delay_alu instid0(VALU_DEP_1) | instskip(SKIP_1) | instid1(VALU_DEP_2)
	v_subrev_nc_u32_e32 v104, 28, v36
	v_sub_nc_u32_e32 v36, 29, v36
	v_lshlrev_b64 v[104:105], v104, v[19:20]
	s_delay_alu instid0(VALU_DEP_1)
	v_and_b32_e32 v19, 7, v104
; %bb.285:                              ;   in Loop: Header=BB436_13 Depth=1
	s_or_b32 exec_lo, exec_lo, s24
	v_lshlrev_b32_e32 v35, 24, v35
	s_delay_alu instid0(VALU_DEP_2) | instskip(SKIP_1) | instid1(VALU_DEP_3)
	v_lshlrev_b32_e32 v19, 20, v19
	v_lshl_add_u32 v36, v36, 23, 0x3c000000
	v_and_b32_e32 v35, 0x80000000, v35
	s_delay_alu instid0(VALU_DEP_1)
	v_or3_b32 v19, v19, v35, v36
.LBB436_286:                            ;   in Loop: Header=BB436_13 Depth=1
	s_or_b32 exec_lo, exec_lo, s23
.LBB436_287:                            ;   in Loop: Header=BB436_13 Depth=1
	s_delay_alu instid0(SALU_CYCLE_1)
	s_or_b32 exec_lo, exec_lo, s22
.LBB436_288:                            ;   in Loop: Header=BB436_13 Depth=1
	s_delay_alu instid0(SALU_CYCLE_1) | instskip(NEXT) | instid1(VALU_DEP_1)
	s_or_b32 exec_lo, exec_lo, s21
	v_mul_f32_e32 v19, v58, v19
                                        ; implicit-def: $vgpr104
	s_delay_alu instid0(VALU_DEP_1) | instskip(NEXT) | instid1(VALU_DEP_1)
	v_and_b32_e32 v35, 0x7f800000, v19
	v_cmp_ne_u32_e64 s1, 0x7f800000, v35
	s_delay_alu instid0(VALU_DEP_1) | instskip(NEXT) | instid1(SALU_CYCLE_1)
	s_and_saveexec_b32 s21, s1
	s_xor_b32 s1, exec_lo, s21
; %bb.289:                              ;   in Loop: Header=BB436_13 Depth=1
	v_bfe_u32 v35, v19, 16, 1
	s_delay_alu instid0(VALU_DEP_1)
	v_add3_u32 v104, v19, v35, 0x7fff
                                        ; implicit-def: $vgpr19
; %bb.290:                              ;   in Loop: Header=BB436_13 Depth=1
	s_and_not1_saveexec_b32 s21, s1
; %bb.291:                              ;   in Loop: Header=BB436_13 Depth=1
	v_and_b32_e32 v35, 0xffff, v19
	v_or_b32_e32 v36, 0x10000, v19
	s_delay_alu instid0(VALU_DEP_2) | instskip(NEXT) | instid1(VALU_DEP_1)
	v_cmp_eq_u32_e64 s1, 0, v35
	v_cndmask_b32_e64 v104, v36, v19, s1
; %bb.292:                              ;   in Loop: Header=BB436_13 Depth=1
	s_or_b32 exec_lo, exec_lo, s21
	v_mov_b32_e32 v19, 0
	s_mov_b32 s21, exec_lo
	v_cmpx_lt_u64_e64 s[16:17], v[33:34]
	s_cbranch_execz .LBB436_300
; %bb.293:                              ;   in Loop: Header=BB436_13 Depth=1
	v_lshrrev_b32_e32 v33, 24, v34
	v_bfrev_b32_e32 v19, 1
	s_mov_b32 s22, exec_lo
	s_delay_alu instid0(VALU_DEP_2)
	v_cmpx_ne_u32_e32 0x80, v33
	s_cbranch_execz .LBB436_299
; %bb.294:                              ;   in Loop: Header=BB436_13 Depth=1
	v_bfe_u32 v35, v34, 24, 7
	v_mov_b32_e32 v19, 0x7f800001
	s_mov_b32 s23, exec_lo
	s_delay_alu instid0(VALU_DEP_2)
	v_cmpx_ne_u32_e32 0x7f, v35
	s_cbranch_execz .LBB436_298
; %bb.295:                              ;   in Loop: Header=BB436_13 Depth=1
	v_and_b32_e32 v19, 7, v33
	v_lshrrev_b32_e32 v34, 3, v35
	s_mov_b32 s24, exec_lo
	v_cmpx_gt_u32_e32 8, v35
; %bb.296:                              ;   in Loop: Header=BB436_13 Depth=1
	s_delay_alu instid0(VALU_DEP_3) | instskip(NEXT) | instid1(VALU_DEP_1)
	v_clz_i32_u32_e32 v34, v19
	v_min_u32_e32 v34, 32, v34
	s_delay_alu instid0(VALU_DEP_1) | instskip(SKIP_1) | instid1(VALU_DEP_2)
	v_subrev_nc_u32_e32 v35, 28, v34
	v_sub_nc_u32_e32 v34, 29, v34
	v_lshlrev_b64 v[35:36], v35, v[19:20]
	s_delay_alu instid0(VALU_DEP_1)
	v_and_b32_e32 v19, 7, v35
; %bb.297:                              ;   in Loop: Header=BB436_13 Depth=1
	s_or_b32 exec_lo, exec_lo, s24
	v_lshlrev_b32_e32 v33, 24, v33
	s_delay_alu instid0(VALU_DEP_2) | instskip(SKIP_1) | instid1(VALU_DEP_3)
	v_lshlrev_b32_e32 v19, 20, v19
	v_lshl_add_u32 v34, v34, 23, 0x3c000000
	v_and_b32_e32 v33, 0x80000000, v33
	s_delay_alu instid0(VALU_DEP_1)
	v_or3_b32 v19, v19, v33, v34
.LBB436_298:                            ;   in Loop: Header=BB436_13 Depth=1
	s_or_b32 exec_lo, exec_lo, s23
.LBB436_299:                            ;   in Loop: Header=BB436_13 Depth=1
	s_delay_alu instid0(SALU_CYCLE_1)
	s_or_b32 exec_lo, exec_lo, s22
.LBB436_300:                            ;   in Loop: Header=BB436_13 Depth=1
	s_delay_alu instid0(SALU_CYCLE_1) | instskip(NEXT) | instid1(VALU_DEP_1)
	s_or_b32 exec_lo, exec_lo, s21
	v_mul_f32_e32 v19, v58, v19
                                        ; implicit-def: $vgpr105
	s_delay_alu instid0(VALU_DEP_1) | instskip(NEXT) | instid1(VALU_DEP_1)
	v_and_b32_e32 v33, 0x7f800000, v19
	v_cmp_ne_u32_e64 s1, 0x7f800000, v33
	s_delay_alu instid0(VALU_DEP_1) | instskip(NEXT) | instid1(SALU_CYCLE_1)
	s_and_saveexec_b32 s21, s1
	s_xor_b32 s1, exec_lo, s21
; %bb.301:                              ;   in Loop: Header=BB436_13 Depth=1
	v_bfe_u32 v33, v19, 16, 1
	s_delay_alu instid0(VALU_DEP_1)
	v_add3_u32 v105, v19, v33, 0x7fff
                                        ; implicit-def: $vgpr19
; %bb.302:                              ;   in Loop: Header=BB436_13 Depth=1
	s_and_not1_saveexec_b32 s21, s1
; %bb.303:                              ;   in Loop: Header=BB436_13 Depth=1
	v_and_b32_e32 v33, 0xffff, v19
	v_or_b32_e32 v34, 0x10000, v19
	s_delay_alu instid0(VALU_DEP_2) | instskip(NEXT) | instid1(VALU_DEP_1)
	v_cmp_eq_u32_e64 s1, 0, v33
	v_cndmask_b32_e64 v105, v34, v19, s1
; %bb.304:                              ;   in Loop: Header=BB436_13 Depth=1
	s_or_b32 exec_lo, exec_lo, s21
	flat_load_b64 v[33:34], v[31:32] offset:520
	v_mov_b32_e32 v19, 0
	s_mov_b32 s21, exec_lo
	s_waitcnt vmcnt(0) lgkmcnt(0)
	v_and_b32_e32 v35, 0xff, v33
	s_delay_alu instid0(VALU_DEP_1)
	v_cmpx_ne_u16_e32 0, v35
	s_cbranch_execz .LBB436_312
; %bb.305:                              ;   in Loop: Header=BB436_13 Depth=1
	v_bfrev_b32_e32 v19, 1
	s_mov_b32 s22, exec_lo
	v_cmpx_ne_u16_e32 0x80, v35
	s_cbranch_execz .LBB436_311
; %bb.306:                              ;   in Loop: Header=BB436_13 Depth=1
	v_and_b32_e32 v35, 0x7f, v33
	v_mov_b32_e32 v19, 0x7f800001
	s_mov_b32 s23, exec_lo
	s_delay_alu instid0(VALU_DEP_2)
	v_cmpx_ne_u32_e32 0x7f, v35
	s_cbranch_execz .LBB436_310
; %bb.307:                              ;   in Loop: Header=BB436_13 Depth=1
	v_lshrrev_b32_e32 v19, 3, v35
	v_cmp_gt_u32_e64 s1, 8, v35
	v_dual_mov_b32 v36, v34 :: v_dual_mov_b32 v35, v33
	s_delay_alu instid0(VALU_DEP_2)
	s_and_saveexec_b32 s24, s1
; %bb.308:                              ;   in Loop: Header=BB436_13 Depth=1
	v_and_b32_e32 v19, 7, v33
	s_delay_alu instid0(VALU_DEP_1) | instskip(NEXT) | instid1(VALU_DEP_1)
	v_clz_i32_u32_e32 v19, v19
	v_min_u32_e32 v19, 32, v19
	s_delay_alu instid0(VALU_DEP_1) | instskip(SKIP_1) | instid1(VALU_DEP_2)
	v_subrev_nc_u32_e32 v35, 28, v19
	v_sub_nc_u32_e32 v19, 29, v19
	v_lshlrev_b64 v[35:36], v35, v[33:34]
; %bb.309:                              ;   in Loop: Header=BB436_13 Depth=1
	s_or_b32 exec_lo, exec_lo, s24
	s_delay_alu instid0(VALU_DEP_1) | instskip(SKIP_2) | instid1(VALU_DEP_3)
	v_lshlrev_b32_e32 v35, 20, v35
	v_lshlrev_b32_e32 v36, 24, v33
	v_lshl_add_u32 v19, v19, 23, 0x3c000000
	v_and_b32_e32 v35, 0x700000, v35
	s_delay_alu instid0(VALU_DEP_3) | instskip(NEXT) | instid1(VALU_DEP_1)
	v_and_b32_e32 v36, 0x80000000, v36
	v_or3_b32 v19, v35, v36, v19
.LBB436_310:                            ;   in Loop: Header=BB436_13 Depth=1
	s_or_b32 exec_lo, exec_lo, s23
.LBB436_311:                            ;   in Loop: Header=BB436_13 Depth=1
	s_delay_alu instid0(SALU_CYCLE_1)
	s_or_b32 exec_lo, exec_lo, s22
.LBB436_312:                            ;   in Loop: Header=BB436_13 Depth=1
	s_delay_alu instid0(SALU_CYCLE_1) | instskip(NEXT) | instid1(VALU_DEP_1)
	s_or_b32 exec_lo, exec_lo, s21
	v_mul_f32_e32 v19, v58, v19
                                        ; implicit-def: $vgpr106
	s_delay_alu instid0(VALU_DEP_1) | instskip(NEXT) | instid1(VALU_DEP_1)
	v_and_b32_e32 v35, 0x7f800000, v19
	v_cmp_ne_u32_e64 s1, 0x7f800000, v35
	s_delay_alu instid0(VALU_DEP_1) | instskip(NEXT) | instid1(SALU_CYCLE_1)
	s_and_saveexec_b32 s21, s1
	s_xor_b32 s1, exec_lo, s21
; %bb.313:                              ;   in Loop: Header=BB436_13 Depth=1
	v_bfe_u32 v35, v19, 16, 1
	s_delay_alu instid0(VALU_DEP_1)
	v_add3_u32 v106, v19, v35, 0x7fff
                                        ; implicit-def: $vgpr19
; %bb.314:                              ;   in Loop: Header=BB436_13 Depth=1
	s_and_not1_saveexec_b32 s21, s1
; %bb.315:                              ;   in Loop: Header=BB436_13 Depth=1
	v_and_b32_e32 v35, 0xffff, v19
	v_or_b32_e32 v36, 0x10000, v19
	s_delay_alu instid0(VALU_DEP_2) | instskip(NEXT) | instid1(VALU_DEP_1)
	v_cmp_eq_u32_e64 s1, 0, v35
	v_cndmask_b32_e64 v106, v36, v19, s1
; %bb.316:                              ;   in Loop: Header=BB436_13 Depth=1
	s_or_b32 exec_lo, exec_lo, s21
	v_lshrrev_b16 v35, 8, v33
	v_mov_b32_e32 v19, 0
	s_mov_b32 s21, exec_lo
	s_delay_alu instid0(VALU_DEP_2)
	v_cmpx_ne_u16_e32 0, v35
	s_cbranch_execz .LBB436_324
; %bb.317:                              ;   in Loop: Header=BB436_13 Depth=1
	v_bfrev_b32_e32 v19, 1
	s_mov_b32 s22, exec_lo
	v_cmpx_ne_u16_e32 0x80, v35
	s_cbranch_execz .LBB436_323
; %bb.318:                              ;   in Loop: Header=BB436_13 Depth=1
	v_and_b32_e32 v35, 0xffff, v35
	v_mov_b32_e32 v19, 0x7f800001
	s_mov_b32 s23, exec_lo
	s_delay_alu instid0(VALU_DEP_2) | instskip(NEXT) | instid1(VALU_DEP_1)
	v_and_b32_e32 v36, 0x7f, v35
	v_cmpx_ne_u32_e32 0x7f, v36
	s_cbranch_execz .LBB436_322
; %bb.319:                              ;   in Loop: Header=BB436_13 Depth=1
	v_and_b32_e32 v19, 7, v35
	v_lshrrev_b32_e32 v35, 3, v36
	s_mov_b32 s24, exec_lo
	v_cmpx_gt_u32_e32 8, v36
; %bb.320:                              ;   in Loop: Header=BB436_13 Depth=1
	s_delay_alu instid0(VALU_DEP_3) | instskip(NEXT) | instid1(VALU_DEP_1)
	v_clz_i32_u32_e32 v35, v19
	v_min_u32_e32 v35, 32, v35
	s_delay_alu instid0(VALU_DEP_1) | instskip(SKIP_1) | instid1(VALU_DEP_2)
	v_subrev_nc_u32_e32 v36, 28, v35
	v_sub_nc_u32_e32 v35, 29, v35
	v_lshlrev_b64 v[107:108], v36, v[19:20]
	s_delay_alu instid0(VALU_DEP_1)
	v_and_b32_e32 v19, 7, v107
; %bb.321:                              ;   in Loop: Header=BB436_13 Depth=1
	s_or_b32 exec_lo, exec_lo, s24
	v_lshlrev_b32_e32 v36, 16, v33
	s_delay_alu instid0(VALU_DEP_2) | instskip(SKIP_1) | instid1(VALU_DEP_3)
	v_lshlrev_b32_e32 v19, 20, v19
	v_lshl_add_u32 v35, v35, 23, 0x3c000000
	v_and_b32_e32 v36, 0x80000000, v36
	s_delay_alu instid0(VALU_DEP_1)
	v_or3_b32 v19, v19, v36, v35
.LBB436_322:                            ;   in Loop: Header=BB436_13 Depth=1
	s_or_b32 exec_lo, exec_lo, s23
.LBB436_323:                            ;   in Loop: Header=BB436_13 Depth=1
	s_delay_alu instid0(SALU_CYCLE_1)
	s_or_b32 exec_lo, exec_lo, s22
.LBB436_324:                            ;   in Loop: Header=BB436_13 Depth=1
	s_delay_alu instid0(SALU_CYCLE_1) | instskip(NEXT) | instid1(VALU_DEP_1)
	s_or_b32 exec_lo, exec_lo, s21
	v_mul_f32_e32 v19, v58, v19
                                        ; implicit-def: $vgpr107
	s_delay_alu instid0(VALU_DEP_1) | instskip(NEXT) | instid1(VALU_DEP_1)
	v_and_b32_e32 v35, 0x7f800000, v19
	v_cmp_ne_u32_e64 s1, 0x7f800000, v35
	s_delay_alu instid0(VALU_DEP_1) | instskip(NEXT) | instid1(SALU_CYCLE_1)
	s_and_saveexec_b32 s21, s1
	s_xor_b32 s1, exec_lo, s21
; %bb.325:                              ;   in Loop: Header=BB436_13 Depth=1
	v_bfe_u32 v35, v19, 16, 1
	s_delay_alu instid0(VALU_DEP_1)
	v_add3_u32 v107, v19, v35, 0x7fff
                                        ; implicit-def: $vgpr19
; %bb.326:                              ;   in Loop: Header=BB436_13 Depth=1
	s_and_not1_saveexec_b32 s21, s1
; %bb.327:                              ;   in Loop: Header=BB436_13 Depth=1
	v_and_b32_e32 v35, 0xffff, v19
	v_or_b32_e32 v36, 0x10000, v19
	s_delay_alu instid0(VALU_DEP_2) | instskip(NEXT) | instid1(VALU_DEP_1)
	v_cmp_eq_u32_e64 s1, 0, v35
	v_cndmask_b32_e64 v107, v36, v19, s1
; %bb.328:                              ;   in Loop: Header=BB436_13 Depth=1
	s_or_b32 exec_lo, exec_lo, s21
	v_lshrrev_b32_e32 v35, 16, v33
	s_mov_b32 s21, exec_lo
	s_delay_alu instid0(VALU_DEP_1) | instskip(NEXT) | instid1(VALU_DEP_1)
	v_dual_mov_b32 v19, 0 :: v_dual_and_b32 v36, 0xff, v35
	v_cmpx_ne_u16_e32 0, v36
	s_cbranch_execz .LBB436_336
; %bb.329:                              ;   in Loop: Header=BB436_13 Depth=1
	v_bfrev_b32_e32 v19, 1
	s_mov_b32 s22, exec_lo
	v_cmpx_ne_u16_e32 0x80, v36
	s_cbranch_execz .LBB436_335
; %bb.330:                              ;   in Loop: Header=BB436_13 Depth=1
	v_bfe_u32 v108, v33, 16, 7
	v_mov_b32_e32 v19, 0x7f800001
	s_mov_b32 s23, exec_lo
	s_delay_alu instid0(VALU_DEP_2)
	v_cmpx_ne_u32_e32 0x7f, v108
	s_cbranch_execz .LBB436_334
; %bb.331:                              ;   in Loop: Header=BB436_13 Depth=1
	v_and_b32_e32 v19, 7, v35
	v_lshrrev_b32_e32 v36, 3, v108
	s_mov_b32 s24, exec_lo
	v_cmpx_gt_u32_e32 8, v108
; %bb.332:                              ;   in Loop: Header=BB436_13 Depth=1
	s_delay_alu instid0(VALU_DEP_3) | instskip(NEXT) | instid1(VALU_DEP_1)
	v_clz_i32_u32_e32 v36, v19
	v_min_u32_e32 v36, 32, v36
	s_delay_alu instid0(VALU_DEP_1) | instskip(SKIP_1) | instid1(VALU_DEP_2)
	v_subrev_nc_u32_e32 v108, 28, v36
	v_sub_nc_u32_e32 v36, 29, v36
	v_lshlrev_b64 v[108:109], v108, v[19:20]
	s_delay_alu instid0(VALU_DEP_1)
	v_and_b32_e32 v19, 7, v108
; %bb.333:                              ;   in Loop: Header=BB436_13 Depth=1
	s_or_b32 exec_lo, exec_lo, s24
	v_lshlrev_b32_e32 v35, 24, v35
	s_delay_alu instid0(VALU_DEP_2) | instskip(SKIP_1) | instid1(VALU_DEP_3)
	v_lshlrev_b32_e32 v19, 20, v19
	v_lshl_add_u32 v36, v36, 23, 0x3c000000
	v_and_b32_e32 v35, 0x80000000, v35
	s_delay_alu instid0(VALU_DEP_1)
	v_or3_b32 v19, v19, v35, v36
.LBB436_334:                            ;   in Loop: Header=BB436_13 Depth=1
	s_or_b32 exec_lo, exec_lo, s23
.LBB436_335:                            ;   in Loop: Header=BB436_13 Depth=1
	s_delay_alu instid0(SALU_CYCLE_1)
	s_or_b32 exec_lo, exec_lo, s22
.LBB436_336:                            ;   in Loop: Header=BB436_13 Depth=1
	s_delay_alu instid0(SALU_CYCLE_1) | instskip(NEXT) | instid1(VALU_DEP_1)
	s_or_b32 exec_lo, exec_lo, s21
	v_mul_f32_e32 v19, v58, v19
                                        ; implicit-def: $vgpr108
	s_delay_alu instid0(VALU_DEP_1) | instskip(NEXT) | instid1(VALU_DEP_1)
	v_and_b32_e32 v35, 0x7f800000, v19
	v_cmp_ne_u32_e64 s1, 0x7f800000, v35
	s_delay_alu instid0(VALU_DEP_1) | instskip(NEXT) | instid1(SALU_CYCLE_1)
	s_and_saveexec_b32 s21, s1
	s_xor_b32 s1, exec_lo, s21
; %bb.337:                              ;   in Loop: Header=BB436_13 Depth=1
	v_bfe_u32 v35, v19, 16, 1
	s_delay_alu instid0(VALU_DEP_1)
	v_add3_u32 v108, v19, v35, 0x7fff
                                        ; implicit-def: $vgpr19
; %bb.338:                              ;   in Loop: Header=BB436_13 Depth=1
	s_and_not1_saveexec_b32 s21, s1
; %bb.339:                              ;   in Loop: Header=BB436_13 Depth=1
	v_and_b32_e32 v35, 0xffff, v19
	v_or_b32_e32 v36, 0x10000, v19
	s_delay_alu instid0(VALU_DEP_2) | instskip(NEXT) | instid1(VALU_DEP_1)
	v_cmp_eq_u32_e64 s1, 0, v35
	v_cndmask_b32_e64 v108, v36, v19, s1
; %bb.340:                              ;   in Loop: Header=BB436_13 Depth=1
	s_or_b32 exec_lo, exec_lo, s21
	v_mov_b32_e32 v19, 0
	s_mov_b32 s21, exec_lo
	v_cmpx_lt_u32_e32 0xffffff, v33
	s_cbranch_execz .LBB436_348
; %bb.341:                              ;   in Loop: Header=BB436_13 Depth=1
	v_lshrrev_b32_e32 v35, 24, v33
	v_bfrev_b32_e32 v19, 1
	s_mov_b32 s22, exec_lo
	s_delay_alu instid0(VALU_DEP_2)
	v_cmpx_ne_u32_e32 0x80, v35
	s_cbranch_execz .LBB436_347
; %bb.342:                              ;   in Loop: Header=BB436_13 Depth=1
	v_bfe_u32 v109, v33, 24, 7
	v_mov_b32_e32 v19, 0x7f800001
	s_mov_b32 s23, exec_lo
	s_delay_alu instid0(VALU_DEP_2)
	v_cmpx_ne_u32_e32 0x7f, v109
	s_cbranch_execz .LBB436_346
; %bb.343:                              ;   in Loop: Header=BB436_13 Depth=1
	v_and_b32_e32 v19, 7, v35
	v_lshrrev_b32_e32 v36, 3, v109
	s_mov_b32 s24, exec_lo
	v_cmpx_gt_u32_e32 8, v109
; %bb.344:                              ;   in Loop: Header=BB436_13 Depth=1
	s_delay_alu instid0(VALU_DEP_3) | instskip(NEXT) | instid1(VALU_DEP_1)
	v_clz_i32_u32_e32 v36, v19
	v_min_u32_e32 v36, 32, v36
	s_delay_alu instid0(VALU_DEP_1) | instskip(SKIP_1) | instid1(VALU_DEP_2)
	v_subrev_nc_u32_e32 v109, 28, v36
	v_sub_nc_u32_e32 v36, 29, v36
	v_lshlrev_b64 v[109:110], v109, v[19:20]
	s_delay_alu instid0(VALU_DEP_1)
	v_and_b32_e32 v19, 7, v109
; %bb.345:                              ;   in Loop: Header=BB436_13 Depth=1
	s_or_b32 exec_lo, exec_lo, s24
	v_lshlrev_b32_e32 v35, 24, v35
	s_delay_alu instid0(VALU_DEP_2) | instskip(SKIP_1) | instid1(VALU_DEP_3)
	v_lshlrev_b32_e32 v19, 20, v19
	v_lshl_add_u32 v36, v36, 23, 0x3c000000
	v_and_b32_e32 v35, 0x80000000, v35
	s_delay_alu instid0(VALU_DEP_1)
	v_or3_b32 v19, v19, v35, v36
.LBB436_346:                            ;   in Loop: Header=BB436_13 Depth=1
	s_or_b32 exec_lo, exec_lo, s23
.LBB436_347:                            ;   in Loop: Header=BB436_13 Depth=1
	s_delay_alu instid0(SALU_CYCLE_1)
	s_or_b32 exec_lo, exec_lo, s22
.LBB436_348:                            ;   in Loop: Header=BB436_13 Depth=1
	s_delay_alu instid0(SALU_CYCLE_1) | instskip(NEXT) | instid1(VALU_DEP_1)
	s_or_b32 exec_lo, exec_lo, s21
	v_mul_f32_e32 v19, v58, v19
                                        ; implicit-def: $vgpr109
	s_delay_alu instid0(VALU_DEP_1) | instskip(NEXT) | instid1(VALU_DEP_1)
	v_and_b32_e32 v35, 0x7f800000, v19
	v_cmp_ne_u32_e64 s1, 0x7f800000, v35
	s_delay_alu instid0(VALU_DEP_1) | instskip(NEXT) | instid1(SALU_CYCLE_1)
	s_and_saveexec_b32 s21, s1
	s_xor_b32 s1, exec_lo, s21
; %bb.349:                              ;   in Loop: Header=BB436_13 Depth=1
	v_bfe_u32 v35, v19, 16, 1
	s_delay_alu instid0(VALU_DEP_1)
	v_add3_u32 v109, v19, v35, 0x7fff
                                        ; implicit-def: $vgpr19
; %bb.350:                              ;   in Loop: Header=BB436_13 Depth=1
	s_and_not1_saveexec_b32 s21, s1
; %bb.351:                              ;   in Loop: Header=BB436_13 Depth=1
	v_and_b32_e32 v35, 0xffff, v19
	v_or_b32_e32 v36, 0x10000, v19
	s_delay_alu instid0(VALU_DEP_2) | instskip(NEXT) | instid1(VALU_DEP_1)
	v_cmp_eq_u32_e64 s1, 0, v35
	v_cndmask_b32_e64 v109, v36, v19, s1
; %bb.352:                              ;   in Loop: Header=BB436_13 Depth=1
	s_or_b32 exec_lo, exec_lo, s21
	v_dual_mov_b32 v19, v34 :: v_dual_and_b32 v36, 0xff, v34
	v_mov_b32_e32 v35, 0
	s_mov_b32 s21, exec_lo
	s_delay_alu instid0(VALU_DEP_2)
	v_cmpx_ne_u16_e32 0, v36
	s_cbranch_execz .LBB436_360
; %bb.353:                              ;   in Loop: Header=BB436_13 Depth=1
	v_bfrev_b32_e32 v35, 1
	s_mov_b32 s22, exec_lo
	v_cmpx_ne_u16_e32 0x80, v36
	s_cbranch_execz .LBB436_359
; %bb.354:                              ;   in Loop: Header=BB436_13 Depth=1
	v_and_b32_e32 v36, 0x7f, v34
	v_mov_b32_e32 v35, 0x7f800001
	s_mov_b32 s23, exec_lo
	s_delay_alu instid0(VALU_DEP_2)
	v_cmpx_ne_u32_e32 0x7f, v36
	s_cbranch_execz .LBB436_358
; %bb.355:                              ;   in Loop: Header=BB436_13 Depth=1
	v_lshrrev_b32_e32 v110, 3, v36
	v_cmp_gt_u32_e64 s1, 8, v36
	v_dual_mov_b32 v36, v20 :: v_dual_mov_b32 v35, v19
	s_delay_alu instid0(VALU_DEP_2)
	s_and_saveexec_b32 s24, s1
; %bb.356:                              ;   in Loop: Header=BB436_13 Depth=1
	v_and_b32_e32 v35, 7, v34
	s_delay_alu instid0(VALU_DEP_1) | instskip(NEXT) | instid1(VALU_DEP_1)
	v_clz_i32_u32_e32 v35, v35
	v_min_u32_e32 v110, 32, v35
	s_delay_alu instid0(VALU_DEP_1) | instskip(SKIP_1) | instid1(VALU_DEP_2)
	v_subrev_nc_u32_e32 v35, 28, v110
	v_sub_nc_u32_e32 v110, 29, v110
	v_lshlrev_b64 v[35:36], v35, v[19:20]
; %bb.357:                              ;   in Loop: Header=BB436_13 Depth=1
	s_or_b32 exec_lo, exec_lo, s24
	s_delay_alu instid0(VALU_DEP_1) | instskip(SKIP_2) | instid1(VALU_DEP_3)
	v_lshlrev_b32_e32 v35, 20, v35
	v_lshlrev_b32_e32 v36, 24, v19
	v_lshl_add_u32 v110, v110, 23, 0x3c000000
	v_and_b32_e32 v35, 0x700000, v35
	s_delay_alu instid0(VALU_DEP_3) | instskip(NEXT) | instid1(VALU_DEP_1)
	v_and_b32_e32 v36, 0x80000000, v36
	v_or3_b32 v35, v35, v36, v110
.LBB436_358:                            ;   in Loop: Header=BB436_13 Depth=1
	s_or_b32 exec_lo, exec_lo, s23
.LBB436_359:                            ;   in Loop: Header=BB436_13 Depth=1
	s_delay_alu instid0(SALU_CYCLE_1)
	s_or_b32 exec_lo, exec_lo, s22
.LBB436_360:                            ;   in Loop: Header=BB436_13 Depth=1
	s_delay_alu instid0(SALU_CYCLE_1) | instskip(NEXT) | instid1(VALU_DEP_1)
	s_or_b32 exec_lo, exec_lo, s21
	v_mul_f32_e32 v35, v58, v35
                                        ; implicit-def: $vgpr110
	s_delay_alu instid0(VALU_DEP_1) | instskip(NEXT) | instid1(VALU_DEP_1)
	v_and_b32_e32 v36, 0x7f800000, v35
	v_cmp_ne_u32_e64 s1, 0x7f800000, v36
	s_delay_alu instid0(VALU_DEP_1) | instskip(NEXT) | instid1(SALU_CYCLE_1)
	s_and_saveexec_b32 s21, s1
	s_xor_b32 s1, exec_lo, s21
; %bb.361:                              ;   in Loop: Header=BB436_13 Depth=1
	v_bfe_u32 v36, v35, 16, 1
	s_delay_alu instid0(VALU_DEP_1)
	v_add3_u32 v110, v35, v36, 0x7fff
                                        ; implicit-def: $vgpr35
; %bb.362:                              ;   in Loop: Header=BB436_13 Depth=1
	s_and_not1_saveexec_b32 s21, s1
; %bb.363:                              ;   in Loop: Header=BB436_13 Depth=1
	v_and_b32_e32 v36, 0xffff, v35
	v_or_b32_e32 v110, 0x10000, v35
	s_delay_alu instid0(VALU_DEP_2) | instskip(NEXT) | instid1(VALU_DEP_1)
	v_cmp_eq_u32_e64 s1, 0, v36
	v_cndmask_b32_e64 v110, v110, v35, s1
; %bb.364:                              ;   in Loop: Header=BB436_13 Depth=1
	s_or_b32 exec_lo, exec_lo, s21
	v_lshrrev_b16 v36, 8, v19
	v_mov_b32_e32 v35, 0
	s_mov_b32 s21, exec_lo
	s_delay_alu instid0(VALU_DEP_2)
	v_cmpx_ne_u16_e32 0, v36
	s_cbranch_execz .LBB436_372
; %bb.365:                              ;   in Loop: Header=BB436_13 Depth=1
	v_bfrev_b32_e32 v35, 1
	s_mov_b32 s22, exec_lo
	v_cmpx_ne_u16_e32 0x80, v36
	s_cbranch_execz .LBB436_371
; %bb.366:                              ;   in Loop: Header=BB436_13 Depth=1
	v_and_b32_e32 v36, 0xffff, v36
	v_mov_b32_e32 v35, 0x7f800001
	s_mov_b32 s23, exec_lo
	s_delay_alu instid0(VALU_DEP_2) | instskip(NEXT) | instid1(VALU_DEP_1)
	v_and_b32_e32 v120, 0x7f, v36
	v_cmpx_ne_u32_e32 0x7f, v120
	s_cbranch_execz .LBB436_370
; %bb.367:                              ;   in Loop: Header=BB436_13 Depth=1
	v_dual_mov_b32 v36, v20 :: v_dual_and_b32 v35, 7, v36
	v_lshrrev_b32_e32 v111, 3, v120
	s_mov_b32 s24, exec_lo
	v_cmpx_gt_u32_e32 8, v120
; %bb.368:                              ;   in Loop: Header=BB436_13 Depth=1
	s_delay_alu instid0(VALU_DEP_3) | instskip(NEXT) | instid1(VALU_DEP_1)
	v_clz_i32_u32_e32 v111, v35
	v_min_u32_e32 v111, 32, v111
	s_delay_alu instid0(VALU_DEP_1) | instskip(SKIP_1) | instid1(VALU_DEP_2)
	v_subrev_nc_u32_e32 v120, 28, v111
	v_sub_nc_u32_e32 v111, 29, v111
	v_lshlrev_b64 v[35:36], v120, v[35:36]
	s_delay_alu instid0(VALU_DEP_1)
	v_and_b32_e32 v35, 7, v35
; %bb.369:                              ;   in Loop: Header=BB436_13 Depth=1
	s_or_b32 exec_lo, exec_lo, s24
	v_lshlrev_b32_e32 v19, 16, v19
	s_delay_alu instid0(VALU_DEP_2) | instskip(SKIP_1) | instid1(VALU_DEP_3)
	v_lshlrev_b32_e32 v35, 20, v35
	v_lshl_add_u32 v36, v111, 23, 0x3c000000
	v_and_b32_e32 v19, 0x80000000, v19
	s_delay_alu instid0(VALU_DEP_1)
	v_or3_b32 v35, v35, v19, v36
.LBB436_370:                            ;   in Loop: Header=BB436_13 Depth=1
	s_or_b32 exec_lo, exec_lo, s23
.LBB436_371:                            ;   in Loop: Header=BB436_13 Depth=1
	s_delay_alu instid0(SALU_CYCLE_1)
	s_or_b32 exec_lo, exec_lo, s22
.LBB436_372:                            ;   in Loop: Header=BB436_13 Depth=1
	s_delay_alu instid0(SALU_CYCLE_1) | instskip(NEXT) | instid1(VALU_DEP_1)
	s_or_b32 exec_lo, exec_lo, s21
	v_mul_f32_e32 v19, v58, v35
                                        ; implicit-def: $vgpr111
	s_delay_alu instid0(VALU_DEP_1) | instskip(NEXT) | instid1(VALU_DEP_1)
	v_and_b32_e32 v35, 0x7f800000, v19
	v_cmp_ne_u32_e64 s1, 0x7f800000, v35
	s_delay_alu instid0(VALU_DEP_1) | instskip(NEXT) | instid1(SALU_CYCLE_1)
	s_and_saveexec_b32 s21, s1
	s_xor_b32 s1, exec_lo, s21
; %bb.373:                              ;   in Loop: Header=BB436_13 Depth=1
	v_bfe_u32 v35, v19, 16, 1
	s_delay_alu instid0(VALU_DEP_1)
	v_add3_u32 v111, v19, v35, 0x7fff
                                        ; implicit-def: $vgpr19
; %bb.374:                              ;   in Loop: Header=BB436_13 Depth=1
	s_and_not1_saveexec_b32 s21, s1
; %bb.375:                              ;   in Loop: Header=BB436_13 Depth=1
	v_and_b32_e32 v35, 0xffff, v19
	v_or_b32_e32 v36, 0x10000, v19
	s_delay_alu instid0(VALU_DEP_2) | instskip(NEXT) | instid1(VALU_DEP_1)
	v_cmp_eq_u32_e64 s1, 0, v35
	v_cndmask_b32_e64 v111, v36, v19, s1
; %bb.376:                              ;   in Loop: Header=BB436_13 Depth=1
	s_or_b32 exec_lo, exec_lo, s21
	v_lshrrev_b32_e32 v35, 16, v34
	s_mov_b32 s21, exec_lo
	s_delay_alu instid0(VALU_DEP_1) | instskip(NEXT) | instid1(VALU_DEP_1)
	v_dual_mov_b32 v19, 0 :: v_dual_and_b32 v36, 0xff, v35
	v_cmpx_ne_u16_e32 0, v36
	s_cbranch_execz .LBB436_384
; %bb.377:                              ;   in Loop: Header=BB436_13 Depth=1
	v_bfrev_b32_e32 v19, 1
	s_mov_b32 s22, exec_lo
	v_cmpx_ne_u16_e32 0x80, v36
	s_cbranch_execz .LBB436_383
; %bb.378:                              ;   in Loop: Header=BB436_13 Depth=1
	v_bfe_u32 v120, v34, 16, 7
	v_mov_b32_e32 v19, 0x7f800001
	s_mov_b32 s23, exec_lo
	s_delay_alu instid0(VALU_DEP_2)
	v_cmpx_ne_u32_e32 0x7f, v120
	s_cbranch_execz .LBB436_382
; %bb.379:                              ;   in Loop: Header=BB436_13 Depth=1
	v_and_b32_e32 v19, 7, v35
	v_lshrrev_b32_e32 v36, 3, v120
	s_mov_b32 s24, exec_lo
	v_cmpx_gt_u32_e32 8, v120
; %bb.380:                              ;   in Loop: Header=BB436_13 Depth=1
	s_delay_alu instid0(VALU_DEP_3) | instskip(NEXT) | instid1(VALU_DEP_1)
	v_clz_i32_u32_e32 v36, v19
	v_min_u32_e32 v36, 32, v36
	s_delay_alu instid0(VALU_DEP_1) | instskip(SKIP_1) | instid1(VALU_DEP_2)
	v_subrev_nc_u32_e32 v120, 28, v36
	v_sub_nc_u32_e32 v36, 29, v36
	v_lshlrev_b64 v[120:121], v120, v[19:20]
	s_delay_alu instid0(VALU_DEP_1)
	v_and_b32_e32 v19, 7, v120
; %bb.381:                              ;   in Loop: Header=BB436_13 Depth=1
	s_or_b32 exec_lo, exec_lo, s24
	v_lshlrev_b32_e32 v35, 24, v35
	s_delay_alu instid0(VALU_DEP_2) | instskip(SKIP_1) | instid1(VALU_DEP_3)
	v_lshlrev_b32_e32 v19, 20, v19
	v_lshl_add_u32 v36, v36, 23, 0x3c000000
	v_and_b32_e32 v35, 0x80000000, v35
	s_delay_alu instid0(VALU_DEP_1)
	v_or3_b32 v19, v19, v35, v36
.LBB436_382:                            ;   in Loop: Header=BB436_13 Depth=1
	s_or_b32 exec_lo, exec_lo, s23
.LBB436_383:                            ;   in Loop: Header=BB436_13 Depth=1
	s_delay_alu instid0(SALU_CYCLE_1)
	s_or_b32 exec_lo, exec_lo, s22
.LBB436_384:                            ;   in Loop: Header=BB436_13 Depth=1
	s_delay_alu instid0(SALU_CYCLE_1) | instskip(NEXT) | instid1(VALU_DEP_1)
	s_or_b32 exec_lo, exec_lo, s21
	v_mul_f32_e32 v19, v58, v19
                                        ; implicit-def: $vgpr120
	s_delay_alu instid0(VALU_DEP_1) | instskip(NEXT) | instid1(VALU_DEP_1)
	v_and_b32_e32 v35, 0x7f800000, v19
	v_cmp_ne_u32_e64 s1, 0x7f800000, v35
	s_delay_alu instid0(VALU_DEP_1) | instskip(NEXT) | instid1(SALU_CYCLE_1)
	s_and_saveexec_b32 s21, s1
	s_xor_b32 s1, exec_lo, s21
; %bb.385:                              ;   in Loop: Header=BB436_13 Depth=1
	v_bfe_u32 v35, v19, 16, 1
	s_delay_alu instid0(VALU_DEP_1)
	v_add3_u32 v120, v19, v35, 0x7fff
                                        ; implicit-def: $vgpr19
; %bb.386:                              ;   in Loop: Header=BB436_13 Depth=1
	s_and_not1_saveexec_b32 s21, s1
; %bb.387:                              ;   in Loop: Header=BB436_13 Depth=1
	v_and_b32_e32 v35, 0xffff, v19
	v_or_b32_e32 v36, 0x10000, v19
	s_delay_alu instid0(VALU_DEP_2) | instskip(NEXT) | instid1(VALU_DEP_1)
	v_cmp_eq_u32_e64 s1, 0, v35
	v_cndmask_b32_e64 v120, v36, v19, s1
; %bb.388:                              ;   in Loop: Header=BB436_13 Depth=1
	s_or_b32 exec_lo, exec_lo, s21
	v_mov_b32_e32 v19, 0
	s_mov_b32 s21, exec_lo
	v_cmpx_lt_u64_e64 s[16:17], v[33:34]
	s_cbranch_execz .LBB436_396
; %bb.389:                              ;   in Loop: Header=BB436_13 Depth=1
	v_lshrrev_b32_e32 v33, 24, v34
	v_bfrev_b32_e32 v19, 1
	s_mov_b32 s22, exec_lo
	s_delay_alu instid0(VALU_DEP_2)
	v_cmpx_ne_u32_e32 0x80, v33
	s_cbranch_execz .LBB436_395
; %bb.390:                              ;   in Loop: Header=BB436_13 Depth=1
	v_bfe_u32 v35, v34, 24, 7
	v_mov_b32_e32 v19, 0x7f800001
	s_mov_b32 s23, exec_lo
	s_delay_alu instid0(VALU_DEP_2)
	v_cmpx_ne_u32_e32 0x7f, v35
	s_cbranch_execz .LBB436_394
; %bb.391:                              ;   in Loop: Header=BB436_13 Depth=1
	v_and_b32_e32 v19, 7, v33
	v_lshrrev_b32_e32 v34, 3, v35
	s_mov_b32 s24, exec_lo
	v_cmpx_gt_u32_e32 8, v35
; %bb.392:                              ;   in Loop: Header=BB436_13 Depth=1
	s_delay_alu instid0(VALU_DEP_3) | instskip(NEXT) | instid1(VALU_DEP_1)
	v_clz_i32_u32_e32 v34, v19
	v_min_u32_e32 v34, 32, v34
	s_delay_alu instid0(VALU_DEP_1) | instskip(SKIP_1) | instid1(VALU_DEP_2)
	v_subrev_nc_u32_e32 v35, 28, v34
	v_sub_nc_u32_e32 v34, 29, v34
	v_lshlrev_b64 v[35:36], v35, v[19:20]
	s_delay_alu instid0(VALU_DEP_1)
	v_and_b32_e32 v19, 7, v35
; %bb.393:                              ;   in Loop: Header=BB436_13 Depth=1
	s_or_b32 exec_lo, exec_lo, s24
	v_lshlrev_b32_e32 v33, 24, v33
	s_delay_alu instid0(VALU_DEP_2) | instskip(SKIP_1) | instid1(VALU_DEP_3)
	v_lshlrev_b32_e32 v19, 20, v19
	v_lshl_add_u32 v34, v34, 23, 0x3c000000
	v_and_b32_e32 v33, 0x80000000, v33
	s_delay_alu instid0(VALU_DEP_1)
	v_or3_b32 v19, v19, v33, v34
.LBB436_394:                            ;   in Loop: Header=BB436_13 Depth=1
	s_or_b32 exec_lo, exec_lo, s23
.LBB436_395:                            ;   in Loop: Header=BB436_13 Depth=1
	s_delay_alu instid0(SALU_CYCLE_1)
	s_or_b32 exec_lo, exec_lo, s22
.LBB436_396:                            ;   in Loop: Header=BB436_13 Depth=1
	s_delay_alu instid0(SALU_CYCLE_1) | instskip(NEXT) | instid1(VALU_DEP_1)
	s_or_b32 exec_lo, exec_lo, s21
	v_mul_f32_e32 v19, v58, v19
                                        ; implicit-def: $vgpr121
	s_delay_alu instid0(VALU_DEP_1) | instskip(NEXT) | instid1(VALU_DEP_1)
	v_and_b32_e32 v33, 0x7f800000, v19
	v_cmp_ne_u32_e64 s1, 0x7f800000, v33
	s_delay_alu instid0(VALU_DEP_1) | instskip(NEXT) | instid1(SALU_CYCLE_1)
	s_and_saveexec_b32 s21, s1
	s_xor_b32 s1, exec_lo, s21
; %bb.397:                              ;   in Loop: Header=BB436_13 Depth=1
	v_bfe_u32 v33, v19, 16, 1
	s_delay_alu instid0(VALU_DEP_1)
	v_add3_u32 v121, v19, v33, 0x7fff
                                        ; implicit-def: $vgpr19
; %bb.398:                              ;   in Loop: Header=BB436_13 Depth=1
	s_and_not1_saveexec_b32 s21, s1
; %bb.399:                              ;   in Loop: Header=BB436_13 Depth=1
	v_and_b32_e32 v33, 0xffff, v19
	v_or_b32_e32 v34, 0x10000, v19
	s_delay_alu instid0(VALU_DEP_2) | instskip(NEXT) | instid1(VALU_DEP_1)
	v_cmp_eq_u32_e64 s1, 0, v33
	v_cndmask_b32_e64 v121, v34, v19, s1
; %bb.400:                              ;   in Loop: Header=BB436_13 Depth=1
	s_or_b32 exec_lo, exec_lo, s21
	flat_load_b64 v[33:34], v[31:32] offset:1024
	v_mov_b32_e32 v19, 0
	s_mov_b32 s21, exec_lo
	s_waitcnt vmcnt(0) lgkmcnt(0)
	v_and_b32_e32 v35, 0xff, v33
	s_delay_alu instid0(VALU_DEP_1)
	v_cmpx_ne_u16_e32 0, v35
	s_cbranch_execz .LBB436_408
; %bb.401:                              ;   in Loop: Header=BB436_13 Depth=1
	v_bfrev_b32_e32 v19, 1
	s_mov_b32 s22, exec_lo
	v_cmpx_ne_u16_e32 0x80, v35
	s_cbranch_execz .LBB436_407
; %bb.402:                              ;   in Loop: Header=BB436_13 Depth=1
	v_and_b32_e32 v35, 0x7f, v33
	v_mov_b32_e32 v19, 0x7f800001
	s_mov_b32 s23, exec_lo
	s_delay_alu instid0(VALU_DEP_2)
	v_cmpx_ne_u32_e32 0x7f, v35
	s_cbranch_execz .LBB436_406
; %bb.403:                              ;   in Loop: Header=BB436_13 Depth=1
	v_lshrrev_b32_e32 v19, 3, v35
	v_cmp_gt_u32_e64 s1, 8, v35
	v_dual_mov_b32 v36, v34 :: v_dual_mov_b32 v35, v33
	s_delay_alu instid0(VALU_DEP_2)
	s_and_saveexec_b32 s24, s1
; %bb.404:                              ;   in Loop: Header=BB436_13 Depth=1
	v_and_b32_e32 v19, 7, v33
	s_delay_alu instid0(VALU_DEP_1) | instskip(NEXT) | instid1(VALU_DEP_1)
	v_clz_i32_u32_e32 v19, v19
	v_min_u32_e32 v19, 32, v19
	s_delay_alu instid0(VALU_DEP_1) | instskip(SKIP_1) | instid1(VALU_DEP_2)
	v_subrev_nc_u32_e32 v35, 28, v19
	v_sub_nc_u32_e32 v19, 29, v19
	v_lshlrev_b64 v[35:36], v35, v[33:34]
; %bb.405:                              ;   in Loop: Header=BB436_13 Depth=1
	s_or_b32 exec_lo, exec_lo, s24
	s_delay_alu instid0(VALU_DEP_1) | instskip(SKIP_2) | instid1(VALU_DEP_3)
	v_lshlrev_b32_e32 v35, 20, v35
	v_lshlrev_b32_e32 v36, 24, v33
	v_lshl_add_u32 v19, v19, 23, 0x3c000000
	v_and_b32_e32 v35, 0x700000, v35
	s_delay_alu instid0(VALU_DEP_3) | instskip(NEXT) | instid1(VALU_DEP_1)
	v_and_b32_e32 v36, 0x80000000, v36
	v_or3_b32 v19, v35, v36, v19
.LBB436_406:                            ;   in Loop: Header=BB436_13 Depth=1
	s_or_b32 exec_lo, exec_lo, s23
.LBB436_407:                            ;   in Loop: Header=BB436_13 Depth=1
	s_delay_alu instid0(SALU_CYCLE_1)
	s_or_b32 exec_lo, exec_lo, s22
.LBB436_408:                            ;   in Loop: Header=BB436_13 Depth=1
	s_delay_alu instid0(SALU_CYCLE_1) | instskip(NEXT) | instid1(VALU_DEP_1)
	s_or_b32 exec_lo, exec_lo, s21
	v_mul_f32_e32 v19, v58, v19
                                        ; implicit-def: $vgpr122
	s_delay_alu instid0(VALU_DEP_1) | instskip(NEXT) | instid1(VALU_DEP_1)
	v_and_b32_e32 v35, 0x7f800000, v19
	v_cmp_ne_u32_e64 s1, 0x7f800000, v35
	s_delay_alu instid0(VALU_DEP_1) | instskip(NEXT) | instid1(SALU_CYCLE_1)
	s_and_saveexec_b32 s21, s1
	s_xor_b32 s1, exec_lo, s21
; %bb.409:                              ;   in Loop: Header=BB436_13 Depth=1
	v_bfe_u32 v35, v19, 16, 1
	s_delay_alu instid0(VALU_DEP_1)
	v_add3_u32 v122, v19, v35, 0x7fff
                                        ; implicit-def: $vgpr19
; %bb.410:                              ;   in Loop: Header=BB436_13 Depth=1
	s_and_not1_saveexec_b32 s21, s1
; %bb.411:                              ;   in Loop: Header=BB436_13 Depth=1
	v_and_b32_e32 v35, 0xffff, v19
	v_or_b32_e32 v36, 0x10000, v19
	s_delay_alu instid0(VALU_DEP_2) | instskip(NEXT) | instid1(VALU_DEP_1)
	v_cmp_eq_u32_e64 s1, 0, v35
	v_cndmask_b32_e64 v122, v36, v19, s1
; %bb.412:                              ;   in Loop: Header=BB436_13 Depth=1
	s_or_b32 exec_lo, exec_lo, s21
	v_lshrrev_b16 v35, 8, v33
	v_mov_b32_e32 v19, 0
	s_mov_b32 s21, exec_lo
	s_delay_alu instid0(VALU_DEP_2)
	v_cmpx_ne_u16_e32 0, v35
	s_cbranch_execz .LBB436_420
; %bb.413:                              ;   in Loop: Header=BB436_13 Depth=1
	v_bfrev_b32_e32 v19, 1
	s_mov_b32 s22, exec_lo
	v_cmpx_ne_u16_e32 0x80, v35
	s_cbranch_execz .LBB436_419
; %bb.414:                              ;   in Loop: Header=BB436_13 Depth=1
	v_and_b32_e32 v35, 0xffff, v35
	v_mov_b32_e32 v19, 0x7f800001
	s_mov_b32 s23, exec_lo
	s_delay_alu instid0(VALU_DEP_2) | instskip(NEXT) | instid1(VALU_DEP_1)
	v_and_b32_e32 v36, 0x7f, v35
	v_cmpx_ne_u32_e32 0x7f, v36
	s_cbranch_execz .LBB436_418
; %bb.415:                              ;   in Loop: Header=BB436_13 Depth=1
	v_and_b32_e32 v19, 7, v35
	v_lshrrev_b32_e32 v35, 3, v36
	s_mov_b32 s24, exec_lo
	v_cmpx_gt_u32_e32 8, v36
; %bb.416:                              ;   in Loop: Header=BB436_13 Depth=1
	s_delay_alu instid0(VALU_DEP_3) | instskip(NEXT) | instid1(VALU_DEP_1)
	v_clz_i32_u32_e32 v35, v19
	v_min_u32_e32 v35, 32, v35
	s_delay_alu instid0(VALU_DEP_1) | instskip(SKIP_1) | instid1(VALU_DEP_2)
	v_subrev_nc_u32_e32 v36, 28, v35
	v_sub_nc_u32_e32 v35, 29, v35
	v_lshlrev_b64 v[123:124], v36, v[19:20]
	s_delay_alu instid0(VALU_DEP_1)
	v_and_b32_e32 v19, 7, v123
; %bb.417:                              ;   in Loop: Header=BB436_13 Depth=1
	s_or_b32 exec_lo, exec_lo, s24
	v_lshlrev_b32_e32 v36, 16, v33
	s_delay_alu instid0(VALU_DEP_2) | instskip(SKIP_1) | instid1(VALU_DEP_3)
	v_lshlrev_b32_e32 v19, 20, v19
	v_lshl_add_u32 v35, v35, 23, 0x3c000000
	v_and_b32_e32 v36, 0x80000000, v36
	s_delay_alu instid0(VALU_DEP_1)
	v_or3_b32 v19, v19, v36, v35
.LBB436_418:                            ;   in Loop: Header=BB436_13 Depth=1
	s_or_b32 exec_lo, exec_lo, s23
.LBB436_419:                            ;   in Loop: Header=BB436_13 Depth=1
	s_delay_alu instid0(SALU_CYCLE_1)
	s_or_b32 exec_lo, exec_lo, s22
.LBB436_420:                            ;   in Loop: Header=BB436_13 Depth=1
	s_delay_alu instid0(SALU_CYCLE_1) | instskip(NEXT) | instid1(VALU_DEP_1)
	s_or_b32 exec_lo, exec_lo, s21
	v_mul_f32_e32 v19, v58, v19
                                        ; implicit-def: $vgpr123
	s_delay_alu instid0(VALU_DEP_1) | instskip(NEXT) | instid1(VALU_DEP_1)
	v_and_b32_e32 v35, 0x7f800000, v19
	v_cmp_ne_u32_e64 s1, 0x7f800000, v35
	s_delay_alu instid0(VALU_DEP_1) | instskip(NEXT) | instid1(SALU_CYCLE_1)
	s_and_saveexec_b32 s21, s1
	s_xor_b32 s1, exec_lo, s21
; %bb.421:                              ;   in Loop: Header=BB436_13 Depth=1
	v_bfe_u32 v35, v19, 16, 1
	s_delay_alu instid0(VALU_DEP_1)
	v_add3_u32 v123, v19, v35, 0x7fff
                                        ; implicit-def: $vgpr19
; %bb.422:                              ;   in Loop: Header=BB436_13 Depth=1
	s_and_not1_saveexec_b32 s21, s1
; %bb.423:                              ;   in Loop: Header=BB436_13 Depth=1
	v_and_b32_e32 v35, 0xffff, v19
	v_or_b32_e32 v36, 0x10000, v19
	s_delay_alu instid0(VALU_DEP_2) | instskip(NEXT) | instid1(VALU_DEP_1)
	v_cmp_eq_u32_e64 s1, 0, v35
	v_cndmask_b32_e64 v123, v36, v19, s1
; %bb.424:                              ;   in Loop: Header=BB436_13 Depth=1
	s_or_b32 exec_lo, exec_lo, s21
	v_lshrrev_b32_e32 v35, 16, v33
	s_mov_b32 s21, exec_lo
	s_delay_alu instid0(VALU_DEP_1) | instskip(NEXT) | instid1(VALU_DEP_1)
	v_dual_mov_b32 v19, 0 :: v_dual_and_b32 v36, 0xff, v35
	v_cmpx_ne_u16_e32 0, v36
	s_cbranch_execz .LBB436_432
; %bb.425:                              ;   in Loop: Header=BB436_13 Depth=1
	v_bfrev_b32_e32 v19, 1
	s_mov_b32 s22, exec_lo
	v_cmpx_ne_u16_e32 0x80, v36
	s_cbranch_execz .LBB436_431
; %bb.426:                              ;   in Loop: Header=BB436_13 Depth=1
	v_bfe_u32 v124, v33, 16, 7
	v_mov_b32_e32 v19, 0x7f800001
	s_mov_b32 s23, exec_lo
	s_delay_alu instid0(VALU_DEP_2)
	v_cmpx_ne_u32_e32 0x7f, v124
	s_cbranch_execz .LBB436_430
; %bb.427:                              ;   in Loop: Header=BB436_13 Depth=1
	v_and_b32_e32 v19, 7, v35
	v_lshrrev_b32_e32 v36, 3, v124
	s_mov_b32 s24, exec_lo
	v_cmpx_gt_u32_e32 8, v124
; %bb.428:                              ;   in Loop: Header=BB436_13 Depth=1
	s_delay_alu instid0(VALU_DEP_3) | instskip(NEXT) | instid1(VALU_DEP_1)
	v_clz_i32_u32_e32 v36, v19
	v_min_u32_e32 v36, 32, v36
	s_delay_alu instid0(VALU_DEP_1) | instskip(SKIP_1) | instid1(VALU_DEP_2)
	v_subrev_nc_u32_e32 v124, 28, v36
	v_sub_nc_u32_e32 v36, 29, v36
	v_lshlrev_b64 v[124:125], v124, v[19:20]
	s_delay_alu instid0(VALU_DEP_1)
	v_and_b32_e32 v19, 7, v124
; %bb.429:                              ;   in Loop: Header=BB436_13 Depth=1
	s_or_b32 exec_lo, exec_lo, s24
	v_lshlrev_b32_e32 v35, 24, v35
	s_delay_alu instid0(VALU_DEP_2) | instskip(SKIP_1) | instid1(VALU_DEP_3)
	v_lshlrev_b32_e32 v19, 20, v19
	v_lshl_add_u32 v36, v36, 23, 0x3c000000
	v_and_b32_e32 v35, 0x80000000, v35
	s_delay_alu instid0(VALU_DEP_1)
	v_or3_b32 v19, v19, v35, v36
.LBB436_430:                            ;   in Loop: Header=BB436_13 Depth=1
	s_or_b32 exec_lo, exec_lo, s23
.LBB436_431:                            ;   in Loop: Header=BB436_13 Depth=1
	s_delay_alu instid0(SALU_CYCLE_1)
	s_or_b32 exec_lo, exec_lo, s22
.LBB436_432:                            ;   in Loop: Header=BB436_13 Depth=1
	s_delay_alu instid0(SALU_CYCLE_1) | instskip(NEXT) | instid1(VALU_DEP_1)
	s_or_b32 exec_lo, exec_lo, s21
	v_mul_f32_e32 v19, v58, v19
                                        ; implicit-def: $vgpr124
	s_delay_alu instid0(VALU_DEP_1) | instskip(NEXT) | instid1(VALU_DEP_1)
	v_and_b32_e32 v35, 0x7f800000, v19
	v_cmp_ne_u32_e64 s1, 0x7f800000, v35
	s_delay_alu instid0(VALU_DEP_1) | instskip(NEXT) | instid1(SALU_CYCLE_1)
	s_and_saveexec_b32 s21, s1
	s_xor_b32 s1, exec_lo, s21
; %bb.433:                              ;   in Loop: Header=BB436_13 Depth=1
	v_bfe_u32 v35, v19, 16, 1
	s_delay_alu instid0(VALU_DEP_1)
	v_add3_u32 v124, v19, v35, 0x7fff
                                        ; implicit-def: $vgpr19
; %bb.434:                              ;   in Loop: Header=BB436_13 Depth=1
	s_and_not1_saveexec_b32 s21, s1
; %bb.435:                              ;   in Loop: Header=BB436_13 Depth=1
	v_and_b32_e32 v35, 0xffff, v19
	v_or_b32_e32 v36, 0x10000, v19
	s_delay_alu instid0(VALU_DEP_2) | instskip(NEXT) | instid1(VALU_DEP_1)
	v_cmp_eq_u32_e64 s1, 0, v35
	v_cndmask_b32_e64 v124, v36, v19, s1
; %bb.436:                              ;   in Loop: Header=BB436_13 Depth=1
	s_or_b32 exec_lo, exec_lo, s21
	v_mov_b32_e32 v19, 0
	s_mov_b32 s21, exec_lo
	v_cmpx_lt_u32_e32 0xffffff, v33
	s_cbranch_execz .LBB436_444
; %bb.437:                              ;   in Loop: Header=BB436_13 Depth=1
	v_lshrrev_b32_e32 v35, 24, v33
	v_bfrev_b32_e32 v19, 1
	s_mov_b32 s22, exec_lo
	s_delay_alu instid0(VALU_DEP_2)
	v_cmpx_ne_u32_e32 0x80, v35
	s_cbranch_execz .LBB436_443
; %bb.438:                              ;   in Loop: Header=BB436_13 Depth=1
	v_bfe_u32 v125, v33, 24, 7
	v_mov_b32_e32 v19, 0x7f800001
	s_mov_b32 s23, exec_lo
	s_delay_alu instid0(VALU_DEP_2)
	v_cmpx_ne_u32_e32 0x7f, v125
	s_cbranch_execz .LBB436_442
; %bb.439:                              ;   in Loop: Header=BB436_13 Depth=1
	v_and_b32_e32 v19, 7, v35
	v_lshrrev_b32_e32 v36, 3, v125
	s_mov_b32 s24, exec_lo
	v_cmpx_gt_u32_e32 8, v125
; %bb.440:                              ;   in Loop: Header=BB436_13 Depth=1
	s_delay_alu instid0(VALU_DEP_3) | instskip(NEXT) | instid1(VALU_DEP_1)
	v_clz_i32_u32_e32 v36, v19
	v_min_u32_e32 v36, 32, v36
	s_delay_alu instid0(VALU_DEP_1) | instskip(SKIP_1) | instid1(VALU_DEP_2)
	v_subrev_nc_u32_e32 v125, 28, v36
	v_sub_nc_u32_e32 v36, 29, v36
	v_lshlrev_b64 v[125:126], v125, v[19:20]
	s_delay_alu instid0(VALU_DEP_1)
	v_and_b32_e32 v19, 7, v125
; %bb.441:                              ;   in Loop: Header=BB436_13 Depth=1
	s_or_b32 exec_lo, exec_lo, s24
	v_lshlrev_b32_e32 v35, 24, v35
	s_delay_alu instid0(VALU_DEP_2) | instskip(SKIP_1) | instid1(VALU_DEP_3)
	v_lshlrev_b32_e32 v19, 20, v19
	v_lshl_add_u32 v36, v36, 23, 0x3c000000
	v_and_b32_e32 v35, 0x80000000, v35
	s_delay_alu instid0(VALU_DEP_1)
	v_or3_b32 v19, v19, v35, v36
.LBB436_442:                            ;   in Loop: Header=BB436_13 Depth=1
	s_or_b32 exec_lo, exec_lo, s23
.LBB436_443:                            ;   in Loop: Header=BB436_13 Depth=1
	s_delay_alu instid0(SALU_CYCLE_1)
	s_or_b32 exec_lo, exec_lo, s22
.LBB436_444:                            ;   in Loop: Header=BB436_13 Depth=1
	s_delay_alu instid0(SALU_CYCLE_1) | instskip(NEXT) | instid1(VALU_DEP_1)
	s_or_b32 exec_lo, exec_lo, s21
	v_mul_f32_e32 v19, v58, v19
                                        ; implicit-def: $vgpr125
	s_delay_alu instid0(VALU_DEP_1) | instskip(NEXT) | instid1(VALU_DEP_1)
	v_and_b32_e32 v35, 0x7f800000, v19
	v_cmp_ne_u32_e64 s1, 0x7f800000, v35
	s_delay_alu instid0(VALU_DEP_1) | instskip(NEXT) | instid1(SALU_CYCLE_1)
	s_and_saveexec_b32 s21, s1
	s_xor_b32 s1, exec_lo, s21
; %bb.445:                              ;   in Loop: Header=BB436_13 Depth=1
	v_bfe_u32 v35, v19, 16, 1
	s_delay_alu instid0(VALU_DEP_1)
	v_add3_u32 v125, v19, v35, 0x7fff
                                        ; implicit-def: $vgpr19
; %bb.446:                              ;   in Loop: Header=BB436_13 Depth=1
	s_and_not1_saveexec_b32 s21, s1
; %bb.447:                              ;   in Loop: Header=BB436_13 Depth=1
	v_and_b32_e32 v35, 0xffff, v19
	v_or_b32_e32 v36, 0x10000, v19
	s_delay_alu instid0(VALU_DEP_2) | instskip(NEXT) | instid1(VALU_DEP_1)
	v_cmp_eq_u32_e64 s1, 0, v35
	v_cndmask_b32_e64 v125, v36, v19, s1
; %bb.448:                              ;   in Loop: Header=BB436_13 Depth=1
	s_or_b32 exec_lo, exec_lo, s21
	v_dual_mov_b32 v19, v34 :: v_dual_and_b32 v36, 0xff, v34
	v_mov_b32_e32 v35, 0
	s_mov_b32 s21, exec_lo
	s_delay_alu instid0(VALU_DEP_2)
	v_cmpx_ne_u16_e32 0, v36
	s_cbranch_execz .LBB436_456
; %bb.449:                              ;   in Loop: Header=BB436_13 Depth=1
	v_bfrev_b32_e32 v35, 1
	s_mov_b32 s22, exec_lo
	v_cmpx_ne_u16_e32 0x80, v36
	s_cbranch_execz .LBB436_455
; %bb.450:                              ;   in Loop: Header=BB436_13 Depth=1
	v_and_b32_e32 v36, 0x7f, v34
	v_mov_b32_e32 v35, 0x7f800001
	s_mov_b32 s23, exec_lo
	s_delay_alu instid0(VALU_DEP_2)
	v_cmpx_ne_u32_e32 0x7f, v36
	s_cbranch_execz .LBB436_454
; %bb.451:                              ;   in Loop: Header=BB436_13 Depth=1
	v_lshrrev_b32_e32 v126, 3, v36
	v_cmp_gt_u32_e64 s1, 8, v36
	v_dual_mov_b32 v36, v20 :: v_dual_mov_b32 v35, v19
	s_delay_alu instid0(VALU_DEP_2)
	s_and_saveexec_b32 s24, s1
; %bb.452:                              ;   in Loop: Header=BB436_13 Depth=1
	v_and_b32_e32 v35, 7, v34
	s_delay_alu instid0(VALU_DEP_1) | instskip(NEXT) | instid1(VALU_DEP_1)
	v_clz_i32_u32_e32 v35, v35
	v_min_u32_e32 v126, 32, v35
	s_delay_alu instid0(VALU_DEP_1) | instskip(SKIP_1) | instid1(VALU_DEP_2)
	v_subrev_nc_u32_e32 v35, 28, v126
	v_sub_nc_u32_e32 v126, 29, v126
	v_lshlrev_b64 v[35:36], v35, v[19:20]
; %bb.453:                              ;   in Loop: Header=BB436_13 Depth=1
	s_or_b32 exec_lo, exec_lo, s24
	s_delay_alu instid0(VALU_DEP_1) | instskip(SKIP_2) | instid1(VALU_DEP_3)
	v_lshlrev_b32_e32 v35, 20, v35
	v_lshlrev_b32_e32 v36, 24, v19
	v_lshl_add_u32 v126, v126, 23, 0x3c000000
	v_and_b32_e32 v35, 0x700000, v35
	s_delay_alu instid0(VALU_DEP_3) | instskip(NEXT) | instid1(VALU_DEP_1)
	v_and_b32_e32 v36, 0x80000000, v36
	v_or3_b32 v35, v35, v36, v126
.LBB436_454:                            ;   in Loop: Header=BB436_13 Depth=1
	s_or_b32 exec_lo, exec_lo, s23
.LBB436_455:                            ;   in Loop: Header=BB436_13 Depth=1
	s_delay_alu instid0(SALU_CYCLE_1)
	s_or_b32 exec_lo, exec_lo, s22
.LBB436_456:                            ;   in Loop: Header=BB436_13 Depth=1
	s_delay_alu instid0(SALU_CYCLE_1) | instskip(NEXT) | instid1(VALU_DEP_1)
	s_or_b32 exec_lo, exec_lo, s21
	v_mul_f32_e32 v35, v58, v35
                                        ; implicit-def: $vgpr126
	s_delay_alu instid0(VALU_DEP_1) | instskip(NEXT) | instid1(VALU_DEP_1)
	v_and_b32_e32 v36, 0x7f800000, v35
	v_cmp_ne_u32_e64 s1, 0x7f800000, v36
	s_delay_alu instid0(VALU_DEP_1) | instskip(NEXT) | instid1(SALU_CYCLE_1)
	s_and_saveexec_b32 s21, s1
	s_xor_b32 s1, exec_lo, s21
; %bb.457:                              ;   in Loop: Header=BB436_13 Depth=1
	v_bfe_u32 v36, v35, 16, 1
	s_delay_alu instid0(VALU_DEP_1)
	v_add3_u32 v126, v35, v36, 0x7fff
                                        ; implicit-def: $vgpr35
; %bb.458:                              ;   in Loop: Header=BB436_13 Depth=1
	s_and_not1_saveexec_b32 s21, s1
; %bb.459:                              ;   in Loop: Header=BB436_13 Depth=1
	v_and_b32_e32 v36, 0xffff, v35
	v_or_b32_e32 v126, 0x10000, v35
	s_delay_alu instid0(VALU_DEP_2) | instskip(NEXT) | instid1(VALU_DEP_1)
	v_cmp_eq_u32_e64 s1, 0, v36
	v_cndmask_b32_e64 v126, v126, v35, s1
; %bb.460:                              ;   in Loop: Header=BB436_13 Depth=1
	s_or_b32 exec_lo, exec_lo, s21
	v_lshrrev_b16 v36, 8, v19
	v_mov_b32_e32 v35, 0
	s_mov_b32 s21, exec_lo
	s_delay_alu instid0(VALU_DEP_2)
	v_cmpx_ne_u16_e32 0, v36
	s_cbranch_execz .LBB436_468
; %bb.461:                              ;   in Loop: Header=BB436_13 Depth=1
	v_bfrev_b32_e32 v35, 1
	s_mov_b32 s22, exec_lo
	v_cmpx_ne_u16_e32 0x80, v36
	s_cbranch_execz .LBB436_467
; %bb.462:                              ;   in Loop: Header=BB436_13 Depth=1
	v_and_b32_e32 v36, 0xffff, v36
	v_mov_b32_e32 v35, 0x7f800001
	s_mov_b32 s23, exec_lo
	s_delay_alu instid0(VALU_DEP_2) | instskip(NEXT) | instid1(VALU_DEP_1)
	v_and_b32_e32 v136, 0x7f, v36
	v_cmpx_ne_u32_e32 0x7f, v136
	s_cbranch_execz .LBB436_466
; %bb.463:                              ;   in Loop: Header=BB436_13 Depth=1
	v_dual_mov_b32 v36, v20 :: v_dual_and_b32 v35, 7, v36
	v_lshrrev_b32_e32 v127, 3, v136
	s_mov_b32 s24, exec_lo
	v_cmpx_gt_u32_e32 8, v136
; %bb.464:                              ;   in Loop: Header=BB436_13 Depth=1
	s_delay_alu instid0(VALU_DEP_3) | instskip(NEXT) | instid1(VALU_DEP_1)
	v_clz_i32_u32_e32 v127, v35
	v_min_u32_e32 v127, 32, v127
	s_delay_alu instid0(VALU_DEP_1) | instskip(SKIP_1) | instid1(VALU_DEP_2)
	v_subrev_nc_u32_e32 v136, 28, v127
	v_sub_nc_u32_e32 v127, 29, v127
	v_lshlrev_b64 v[35:36], v136, v[35:36]
	s_delay_alu instid0(VALU_DEP_1)
	v_and_b32_e32 v35, 7, v35
; %bb.465:                              ;   in Loop: Header=BB436_13 Depth=1
	s_or_b32 exec_lo, exec_lo, s24
	v_lshlrev_b32_e32 v19, 16, v19
	s_delay_alu instid0(VALU_DEP_2) | instskip(SKIP_1) | instid1(VALU_DEP_3)
	v_lshlrev_b32_e32 v35, 20, v35
	v_lshl_add_u32 v36, v127, 23, 0x3c000000
	v_and_b32_e32 v19, 0x80000000, v19
	s_delay_alu instid0(VALU_DEP_1)
	v_or3_b32 v35, v35, v19, v36
.LBB436_466:                            ;   in Loop: Header=BB436_13 Depth=1
	s_or_b32 exec_lo, exec_lo, s23
.LBB436_467:                            ;   in Loop: Header=BB436_13 Depth=1
	s_delay_alu instid0(SALU_CYCLE_1)
	s_or_b32 exec_lo, exec_lo, s22
.LBB436_468:                            ;   in Loop: Header=BB436_13 Depth=1
	s_delay_alu instid0(SALU_CYCLE_1) | instskip(NEXT) | instid1(VALU_DEP_1)
	s_or_b32 exec_lo, exec_lo, s21
	v_mul_f32_e32 v19, v58, v35
                                        ; implicit-def: $vgpr127
	s_delay_alu instid0(VALU_DEP_1) | instskip(NEXT) | instid1(VALU_DEP_1)
	v_and_b32_e32 v35, 0x7f800000, v19
	v_cmp_ne_u32_e64 s1, 0x7f800000, v35
	s_delay_alu instid0(VALU_DEP_1) | instskip(NEXT) | instid1(SALU_CYCLE_1)
	s_and_saveexec_b32 s21, s1
	s_xor_b32 s1, exec_lo, s21
; %bb.469:                              ;   in Loop: Header=BB436_13 Depth=1
	v_bfe_u32 v35, v19, 16, 1
	s_delay_alu instid0(VALU_DEP_1)
	v_add3_u32 v127, v19, v35, 0x7fff
                                        ; implicit-def: $vgpr19
; %bb.470:                              ;   in Loop: Header=BB436_13 Depth=1
	s_and_not1_saveexec_b32 s21, s1
; %bb.471:                              ;   in Loop: Header=BB436_13 Depth=1
	v_and_b32_e32 v35, 0xffff, v19
	v_or_b32_e32 v36, 0x10000, v19
	s_delay_alu instid0(VALU_DEP_2) | instskip(NEXT) | instid1(VALU_DEP_1)
	v_cmp_eq_u32_e64 s1, 0, v35
	v_cndmask_b32_e64 v127, v36, v19, s1
; %bb.472:                              ;   in Loop: Header=BB436_13 Depth=1
	s_or_b32 exec_lo, exec_lo, s21
	v_lshrrev_b32_e32 v35, 16, v34
	s_mov_b32 s21, exec_lo
	s_delay_alu instid0(VALU_DEP_1) | instskip(NEXT) | instid1(VALU_DEP_1)
	v_dual_mov_b32 v19, 0 :: v_dual_and_b32 v36, 0xff, v35
	v_cmpx_ne_u16_e32 0, v36
	s_cbranch_execz .LBB436_480
; %bb.473:                              ;   in Loop: Header=BB436_13 Depth=1
	v_bfrev_b32_e32 v19, 1
	s_mov_b32 s22, exec_lo
	v_cmpx_ne_u16_e32 0x80, v36
	s_cbranch_execz .LBB436_479
; %bb.474:                              ;   in Loop: Header=BB436_13 Depth=1
	v_bfe_u32 v136, v34, 16, 7
	v_mov_b32_e32 v19, 0x7f800001
	s_mov_b32 s23, exec_lo
	s_delay_alu instid0(VALU_DEP_2)
	v_cmpx_ne_u32_e32 0x7f, v136
	s_cbranch_execz .LBB436_478
; %bb.475:                              ;   in Loop: Header=BB436_13 Depth=1
	v_and_b32_e32 v19, 7, v35
	v_lshrrev_b32_e32 v36, 3, v136
	s_mov_b32 s24, exec_lo
	v_cmpx_gt_u32_e32 8, v136
; %bb.476:                              ;   in Loop: Header=BB436_13 Depth=1
	s_delay_alu instid0(VALU_DEP_3) | instskip(NEXT) | instid1(VALU_DEP_1)
	v_clz_i32_u32_e32 v36, v19
	v_min_u32_e32 v36, 32, v36
	s_delay_alu instid0(VALU_DEP_1) | instskip(SKIP_1) | instid1(VALU_DEP_2)
	v_subrev_nc_u32_e32 v136, 28, v36
	v_sub_nc_u32_e32 v36, 29, v36
	v_lshlrev_b64 v[136:137], v136, v[19:20]
	s_delay_alu instid0(VALU_DEP_1)
	v_and_b32_e32 v19, 7, v136
; %bb.477:                              ;   in Loop: Header=BB436_13 Depth=1
	s_or_b32 exec_lo, exec_lo, s24
	v_lshlrev_b32_e32 v35, 24, v35
	s_delay_alu instid0(VALU_DEP_2) | instskip(SKIP_1) | instid1(VALU_DEP_3)
	v_lshlrev_b32_e32 v19, 20, v19
	v_lshl_add_u32 v36, v36, 23, 0x3c000000
	v_and_b32_e32 v35, 0x80000000, v35
	s_delay_alu instid0(VALU_DEP_1)
	v_or3_b32 v19, v19, v35, v36
.LBB436_478:                            ;   in Loop: Header=BB436_13 Depth=1
	s_or_b32 exec_lo, exec_lo, s23
.LBB436_479:                            ;   in Loop: Header=BB436_13 Depth=1
	s_delay_alu instid0(SALU_CYCLE_1)
	s_or_b32 exec_lo, exec_lo, s22
.LBB436_480:                            ;   in Loop: Header=BB436_13 Depth=1
	s_delay_alu instid0(SALU_CYCLE_1) | instskip(NEXT) | instid1(VALU_DEP_1)
	s_or_b32 exec_lo, exec_lo, s21
	v_mul_f32_e32 v19, v58, v19
                                        ; implicit-def: $vgpr136
	s_delay_alu instid0(VALU_DEP_1) | instskip(NEXT) | instid1(VALU_DEP_1)
	v_and_b32_e32 v35, 0x7f800000, v19
	v_cmp_ne_u32_e64 s1, 0x7f800000, v35
	s_delay_alu instid0(VALU_DEP_1) | instskip(NEXT) | instid1(SALU_CYCLE_1)
	s_and_saveexec_b32 s21, s1
	s_xor_b32 s1, exec_lo, s21
; %bb.481:                              ;   in Loop: Header=BB436_13 Depth=1
	v_bfe_u32 v35, v19, 16, 1
	s_delay_alu instid0(VALU_DEP_1)
	v_add3_u32 v136, v19, v35, 0x7fff
                                        ; implicit-def: $vgpr19
; %bb.482:                              ;   in Loop: Header=BB436_13 Depth=1
	s_and_not1_saveexec_b32 s21, s1
; %bb.483:                              ;   in Loop: Header=BB436_13 Depth=1
	v_and_b32_e32 v35, 0xffff, v19
	v_or_b32_e32 v36, 0x10000, v19
	s_delay_alu instid0(VALU_DEP_2) | instskip(NEXT) | instid1(VALU_DEP_1)
	v_cmp_eq_u32_e64 s1, 0, v35
	v_cndmask_b32_e64 v136, v36, v19, s1
; %bb.484:                              ;   in Loop: Header=BB436_13 Depth=1
	s_or_b32 exec_lo, exec_lo, s21
	v_mov_b32_e32 v19, 0
	s_mov_b32 s21, exec_lo
	v_cmpx_lt_u64_e64 s[16:17], v[33:34]
	s_cbranch_execz .LBB436_492
; %bb.485:                              ;   in Loop: Header=BB436_13 Depth=1
	v_lshrrev_b32_e32 v33, 24, v34
	v_bfrev_b32_e32 v19, 1
	s_mov_b32 s22, exec_lo
	s_delay_alu instid0(VALU_DEP_2)
	v_cmpx_ne_u32_e32 0x80, v33
	s_cbranch_execz .LBB436_491
; %bb.486:                              ;   in Loop: Header=BB436_13 Depth=1
	v_bfe_u32 v35, v34, 24, 7
	v_mov_b32_e32 v19, 0x7f800001
	s_mov_b32 s23, exec_lo
	s_delay_alu instid0(VALU_DEP_2)
	v_cmpx_ne_u32_e32 0x7f, v35
	s_cbranch_execz .LBB436_490
; %bb.487:                              ;   in Loop: Header=BB436_13 Depth=1
	v_and_b32_e32 v19, 7, v33
	v_lshrrev_b32_e32 v34, 3, v35
	s_mov_b32 s24, exec_lo
	v_cmpx_gt_u32_e32 8, v35
; %bb.488:                              ;   in Loop: Header=BB436_13 Depth=1
	s_delay_alu instid0(VALU_DEP_3) | instskip(NEXT) | instid1(VALU_DEP_1)
	v_clz_i32_u32_e32 v34, v19
	v_min_u32_e32 v34, 32, v34
	s_delay_alu instid0(VALU_DEP_1) | instskip(SKIP_1) | instid1(VALU_DEP_2)
	v_subrev_nc_u32_e32 v35, 28, v34
	v_sub_nc_u32_e32 v34, 29, v34
	v_lshlrev_b64 v[35:36], v35, v[19:20]
	s_delay_alu instid0(VALU_DEP_1)
	v_and_b32_e32 v19, 7, v35
; %bb.489:                              ;   in Loop: Header=BB436_13 Depth=1
	s_or_b32 exec_lo, exec_lo, s24
	v_lshlrev_b32_e32 v33, 24, v33
	s_delay_alu instid0(VALU_DEP_2) | instskip(SKIP_1) | instid1(VALU_DEP_3)
	v_lshlrev_b32_e32 v19, 20, v19
	v_lshl_add_u32 v34, v34, 23, 0x3c000000
	v_and_b32_e32 v33, 0x80000000, v33
	s_delay_alu instid0(VALU_DEP_1)
	v_or3_b32 v19, v19, v33, v34
.LBB436_490:                            ;   in Loop: Header=BB436_13 Depth=1
	s_or_b32 exec_lo, exec_lo, s23
.LBB436_491:                            ;   in Loop: Header=BB436_13 Depth=1
	s_delay_alu instid0(SALU_CYCLE_1)
	s_or_b32 exec_lo, exec_lo, s22
.LBB436_492:                            ;   in Loop: Header=BB436_13 Depth=1
	s_delay_alu instid0(SALU_CYCLE_1) | instskip(NEXT) | instid1(VALU_DEP_1)
	s_or_b32 exec_lo, exec_lo, s21
	v_mul_f32_e32 v19, v58, v19
                                        ; implicit-def: $vgpr137
	s_delay_alu instid0(VALU_DEP_1) | instskip(NEXT) | instid1(VALU_DEP_1)
	v_and_b32_e32 v33, 0x7f800000, v19
	v_cmp_ne_u32_e64 s1, 0x7f800000, v33
	s_delay_alu instid0(VALU_DEP_1) | instskip(NEXT) | instid1(SALU_CYCLE_1)
	s_and_saveexec_b32 s21, s1
	s_xor_b32 s1, exec_lo, s21
; %bb.493:                              ;   in Loop: Header=BB436_13 Depth=1
	v_bfe_u32 v33, v19, 16, 1
	s_delay_alu instid0(VALU_DEP_1)
	v_add3_u32 v137, v19, v33, 0x7fff
                                        ; implicit-def: $vgpr19
; %bb.494:                              ;   in Loop: Header=BB436_13 Depth=1
	s_and_not1_saveexec_b32 s21, s1
; %bb.495:                              ;   in Loop: Header=BB436_13 Depth=1
	v_and_b32_e32 v33, 0xffff, v19
	v_or_b32_e32 v34, 0x10000, v19
	s_delay_alu instid0(VALU_DEP_2) | instskip(NEXT) | instid1(VALU_DEP_1)
	v_cmp_eq_u32_e64 s1, 0, v33
	v_cndmask_b32_e64 v137, v34, v19, s1
; %bb.496:                              ;   in Loop: Header=BB436_13 Depth=1
	s_or_b32 exec_lo, exec_lo, s21
	flat_load_b64 v[33:34], v[31:32] offset:1032
	v_mov_b32_e32 v19, 0
	s_mov_b32 s21, exec_lo
	s_waitcnt vmcnt(0) lgkmcnt(0)
	v_and_b32_e32 v35, 0xff, v33
	s_delay_alu instid0(VALU_DEP_1)
	v_cmpx_ne_u16_e32 0, v35
	s_cbranch_execz .LBB436_504
; %bb.497:                              ;   in Loop: Header=BB436_13 Depth=1
	v_bfrev_b32_e32 v19, 1
	s_mov_b32 s22, exec_lo
	v_cmpx_ne_u16_e32 0x80, v35
	s_cbranch_execz .LBB436_503
; %bb.498:                              ;   in Loop: Header=BB436_13 Depth=1
	v_and_b32_e32 v35, 0x7f, v33
	v_mov_b32_e32 v19, 0x7f800001
	s_mov_b32 s23, exec_lo
	s_delay_alu instid0(VALU_DEP_2)
	v_cmpx_ne_u32_e32 0x7f, v35
	s_cbranch_execz .LBB436_502
; %bb.499:                              ;   in Loop: Header=BB436_13 Depth=1
	v_lshrrev_b32_e32 v19, 3, v35
	v_cmp_gt_u32_e64 s1, 8, v35
	v_dual_mov_b32 v36, v34 :: v_dual_mov_b32 v35, v33
	s_delay_alu instid0(VALU_DEP_2)
	s_and_saveexec_b32 s24, s1
; %bb.500:                              ;   in Loop: Header=BB436_13 Depth=1
	v_and_b32_e32 v19, 7, v33
	s_delay_alu instid0(VALU_DEP_1) | instskip(NEXT) | instid1(VALU_DEP_1)
	v_clz_i32_u32_e32 v19, v19
	v_min_u32_e32 v19, 32, v19
	s_delay_alu instid0(VALU_DEP_1) | instskip(SKIP_1) | instid1(VALU_DEP_2)
	v_subrev_nc_u32_e32 v35, 28, v19
	v_sub_nc_u32_e32 v19, 29, v19
	v_lshlrev_b64 v[35:36], v35, v[33:34]
; %bb.501:                              ;   in Loop: Header=BB436_13 Depth=1
	s_or_b32 exec_lo, exec_lo, s24
	s_delay_alu instid0(VALU_DEP_1) | instskip(SKIP_2) | instid1(VALU_DEP_3)
	v_lshlrev_b32_e32 v35, 20, v35
	v_lshlrev_b32_e32 v36, 24, v33
	v_lshl_add_u32 v19, v19, 23, 0x3c000000
	v_and_b32_e32 v35, 0x700000, v35
	s_delay_alu instid0(VALU_DEP_3) | instskip(NEXT) | instid1(VALU_DEP_1)
	v_and_b32_e32 v36, 0x80000000, v36
	v_or3_b32 v19, v35, v36, v19
.LBB436_502:                            ;   in Loop: Header=BB436_13 Depth=1
	s_or_b32 exec_lo, exec_lo, s23
.LBB436_503:                            ;   in Loop: Header=BB436_13 Depth=1
	s_delay_alu instid0(SALU_CYCLE_1)
	s_or_b32 exec_lo, exec_lo, s22
.LBB436_504:                            ;   in Loop: Header=BB436_13 Depth=1
	s_delay_alu instid0(SALU_CYCLE_1) | instskip(NEXT) | instid1(VALU_DEP_1)
	s_or_b32 exec_lo, exec_lo, s21
	v_mul_f32_e32 v19, v58, v19
                                        ; implicit-def: $vgpr138
	s_delay_alu instid0(VALU_DEP_1) | instskip(NEXT) | instid1(VALU_DEP_1)
	v_and_b32_e32 v35, 0x7f800000, v19
	v_cmp_ne_u32_e64 s1, 0x7f800000, v35
	s_delay_alu instid0(VALU_DEP_1) | instskip(NEXT) | instid1(SALU_CYCLE_1)
	s_and_saveexec_b32 s21, s1
	s_xor_b32 s1, exec_lo, s21
; %bb.505:                              ;   in Loop: Header=BB436_13 Depth=1
	v_bfe_u32 v35, v19, 16, 1
	s_delay_alu instid0(VALU_DEP_1)
	v_add3_u32 v138, v19, v35, 0x7fff
                                        ; implicit-def: $vgpr19
; %bb.506:                              ;   in Loop: Header=BB436_13 Depth=1
	s_and_not1_saveexec_b32 s21, s1
; %bb.507:                              ;   in Loop: Header=BB436_13 Depth=1
	v_and_b32_e32 v35, 0xffff, v19
	v_or_b32_e32 v36, 0x10000, v19
	s_delay_alu instid0(VALU_DEP_2) | instskip(NEXT) | instid1(VALU_DEP_1)
	v_cmp_eq_u32_e64 s1, 0, v35
	v_cndmask_b32_e64 v138, v36, v19, s1
; %bb.508:                              ;   in Loop: Header=BB436_13 Depth=1
	s_or_b32 exec_lo, exec_lo, s21
	v_lshrrev_b16 v35, 8, v33
	v_mov_b32_e32 v19, 0
	s_mov_b32 s21, exec_lo
	s_delay_alu instid0(VALU_DEP_2)
	v_cmpx_ne_u16_e32 0, v35
	s_cbranch_execz .LBB436_516
; %bb.509:                              ;   in Loop: Header=BB436_13 Depth=1
	v_bfrev_b32_e32 v19, 1
	s_mov_b32 s22, exec_lo
	v_cmpx_ne_u16_e32 0x80, v35
	s_cbranch_execz .LBB436_515
; %bb.510:                              ;   in Loop: Header=BB436_13 Depth=1
	v_and_b32_e32 v35, 0xffff, v35
	v_mov_b32_e32 v19, 0x7f800001
	s_mov_b32 s23, exec_lo
	s_delay_alu instid0(VALU_DEP_2) | instskip(NEXT) | instid1(VALU_DEP_1)
	v_and_b32_e32 v36, 0x7f, v35
	v_cmpx_ne_u32_e32 0x7f, v36
	s_cbranch_execz .LBB436_514
; %bb.511:                              ;   in Loop: Header=BB436_13 Depth=1
	v_and_b32_e32 v19, 7, v35
	v_lshrrev_b32_e32 v35, 3, v36
	s_mov_b32 s24, exec_lo
	v_cmpx_gt_u32_e32 8, v36
; %bb.512:                              ;   in Loop: Header=BB436_13 Depth=1
	s_delay_alu instid0(VALU_DEP_3) | instskip(NEXT) | instid1(VALU_DEP_1)
	v_clz_i32_u32_e32 v35, v19
	v_min_u32_e32 v35, 32, v35
	s_delay_alu instid0(VALU_DEP_1) | instskip(SKIP_1) | instid1(VALU_DEP_2)
	v_subrev_nc_u32_e32 v36, 28, v35
	v_sub_nc_u32_e32 v35, 29, v35
	v_lshlrev_b64 v[139:140], v36, v[19:20]
	s_delay_alu instid0(VALU_DEP_1)
	v_and_b32_e32 v19, 7, v139
; %bb.513:                              ;   in Loop: Header=BB436_13 Depth=1
	s_or_b32 exec_lo, exec_lo, s24
	v_lshlrev_b32_e32 v36, 16, v33
	s_delay_alu instid0(VALU_DEP_2) | instskip(SKIP_1) | instid1(VALU_DEP_3)
	v_lshlrev_b32_e32 v19, 20, v19
	v_lshl_add_u32 v35, v35, 23, 0x3c000000
	v_and_b32_e32 v36, 0x80000000, v36
	s_delay_alu instid0(VALU_DEP_1)
	v_or3_b32 v19, v19, v36, v35
.LBB436_514:                            ;   in Loop: Header=BB436_13 Depth=1
	s_or_b32 exec_lo, exec_lo, s23
.LBB436_515:                            ;   in Loop: Header=BB436_13 Depth=1
	s_delay_alu instid0(SALU_CYCLE_1)
	s_or_b32 exec_lo, exec_lo, s22
.LBB436_516:                            ;   in Loop: Header=BB436_13 Depth=1
	s_delay_alu instid0(SALU_CYCLE_1) | instskip(NEXT) | instid1(VALU_DEP_1)
	s_or_b32 exec_lo, exec_lo, s21
	v_mul_f32_e32 v19, v58, v19
                                        ; implicit-def: $vgpr139
	s_delay_alu instid0(VALU_DEP_1) | instskip(NEXT) | instid1(VALU_DEP_1)
	v_and_b32_e32 v35, 0x7f800000, v19
	v_cmp_ne_u32_e64 s1, 0x7f800000, v35
	s_delay_alu instid0(VALU_DEP_1) | instskip(NEXT) | instid1(SALU_CYCLE_1)
	s_and_saveexec_b32 s21, s1
	s_xor_b32 s1, exec_lo, s21
; %bb.517:                              ;   in Loop: Header=BB436_13 Depth=1
	v_bfe_u32 v35, v19, 16, 1
	s_delay_alu instid0(VALU_DEP_1)
	v_add3_u32 v139, v19, v35, 0x7fff
                                        ; implicit-def: $vgpr19
; %bb.518:                              ;   in Loop: Header=BB436_13 Depth=1
	s_and_not1_saveexec_b32 s21, s1
; %bb.519:                              ;   in Loop: Header=BB436_13 Depth=1
	v_and_b32_e32 v35, 0xffff, v19
	v_or_b32_e32 v36, 0x10000, v19
	s_delay_alu instid0(VALU_DEP_2) | instskip(NEXT) | instid1(VALU_DEP_1)
	v_cmp_eq_u32_e64 s1, 0, v35
	v_cndmask_b32_e64 v139, v36, v19, s1
; %bb.520:                              ;   in Loop: Header=BB436_13 Depth=1
	s_or_b32 exec_lo, exec_lo, s21
	v_lshrrev_b32_e32 v35, 16, v33
	s_mov_b32 s21, exec_lo
	s_delay_alu instid0(VALU_DEP_1) | instskip(NEXT) | instid1(VALU_DEP_1)
	v_dual_mov_b32 v19, 0 :: v_dual_and_b32 v36, 0xff, v35
	v_cmpx_ne_u16_e32 0, v36
	s_cbranch_execz .LBB436_528
; %bb.521:                              ;   in Loop: Header=BB436_13 Depth=1
	v_bfrev_b32_e32 v19, 1
	s_mov_b32 s22, exec_lo
	v_cmpx_ne_u16_e32 0x80, v36
	s_cbranch_execz .LBB436_527
; %bb.522:                              ;   in Loop: Header=BB436_13 Depth=1
	v_bfe_u32 v140, v33, 16, 7
	v_mov_b32_e32 v19, 0x7f800001
	s_mov_b32 s23, exec_lo
	s_delay_alu instid0(VALU_DEP_2)
	v_cmpx_ne_u32_e32 0x7f, v140
	s_cbranch_execz .LBB436_526
; %bb.523:                              ;   in Loop: Header=BB436_13 Depth=1
	v_and_b32_e32 v19, 7, v35
	v_lshrrev_b32_e32 v36, 3, v140
	s_mov_b32 s24, exec_lo
	v_cmpx_gt_u32_e32 8, v140
; %bb.524:                              ;   in Loop: Header=BB436_13 Depth=1
	s_delay_alu instid0(VALU_DEP_3) | instskip(NEXT) | instid1(VALU_DEP_1)
	v_clz_i32_u32_e32 v36, v19
	v_min_u32_e32 v36, 32, v36
	s_delay_alu instid0(VALU_DEP_1) | instskip(SKIP_1) | instid1(VALU_DEP_2)
	v_subrev_nc_u32_e32 v140, 28, v36
	v_sub_nc_u32_e32 v36, 29, v36
	v_lshlrev_b64 v[140:141], v140, v[19:20]
	s_delay_alu instid0(VALU_DEP_1)
	v_and_b32_e32 v19, 7, v140
; %bb.525:                              ;   in Loop: Header=BB436_13 Depth=1
	s_or_b32 exec_lo, exec_lo, s24
	v_lshlrev_b32_e32 v35, 24, v35
	s_delay_alu instid0(VALU_DEP_2) | instskip(SKIP_1) | instid1(VALU_DEP_3)
	v_lshlrev_b32_e32 v19, 20, v19
	v_lshl_add_u32 v36, v36, 23, 0x3c000000
	v_and_b32_e32 v35, 0x80000000, v35
	s_delay_alu instid0(VALU_DEP_1)
	v_or3_b32 v19, v19, v35, v36
.LBB436_526:                            ;   in Loop: Header=BB436_13 Depth=1
	s_or_b32 exec_lo, exec_lo, s23
.LBB436_527:                            ;   in Loop: Header=BB436_13 Depth=1
	s_delay_alu instid0(SALU_CYCLE_1)
	s_or_b32 exec_lo, exec_lo, s22
.LBB436_528:                            ;   in Loop: Header=BB436_13 Depth=1
	s_delay_alu instid0(SALU_CYCLE_1) | instskip(NEXT) | instid1(VALU_DEP_1)
	s_or_b32 exec_lo, exec_lo, s21
	v_mul_f32_e32 v19, v58, v19
                                        ; implicit-def: $vgpr140
	s_delay_alu instid0(VALU_DEP_1) | instskip(NEXT) | instid1(VALU_DEP_1)
	v_and_b32_e32 v35, 0x7f800000, v19
	v_cmp_ne_u32_e64 s1, 0x7f800000, v35
	s_delay_alu instid0(VALU_DEP_1) | instskip(NEXT) | instid1(SALU_CYCLE_1)
	s_and_saveexec_b32 s21, s1
	s_xor_b32 s1, exec_lo, s21
; %bb.529:                              ;   in Loop: Header=BB436_13 Depth=1
	v_bfe_u32 v35, v19, 16, 1
	s_delay_alu instid0(VALU_DEP_1)
	v_add3_u32 v140, v19, v35, 0x7fff
                                        ; implicit-def: $vgpr19
; %bb.530:                              ;   in Loop: Header=BB436_13 Depth=1
	s_and_not1_saveexec_b32 s21, s1
; %bb.531:                              ;   in Loop: Header=BB436_13 Depth=1
	v_and_b32_e32 v35, 0xffff, v19
	v_or_b32_e32 v36, 0x10000, v19
	s_delay_alu instid0(VALU_DEP_2) | instskip(NEXT) | instid1(VALU_DEP_1)
	v_cmp_eq_u32_e64 s1, 0, v35
	v_cndmask_b32_e64 v140, v36, v19, s1
; %bb.532:                              ;   in Loop: Header=BB436_13 Depth=1
	s_or_b32 exec_lo, exec_lo, s21
	v_mov_b32_e32 v19, 0
	s_mov_b32 s21, exec_lo
	v_cmpx_lt_u32_e32 0xffffff, v33
	s_cbranch_execz .LBB436_540
; %bb.533:                              ;   in Loop: Header=BB436_13 Depth=1
	v_lshrrev_b32_e32 v35, 24, v33
	v_bfrev_b32_e32 v19, 1
	s_mov_b32 s22, exec_lo
	s_delay_alu instid0(VALU_DEP_2)
	v_cmpx_ne_u32_e32 0x80, v35
	s_cbranch_execz .LBB436_539
; %bb.534:                              ;   in Loop: Header=BB436_13 Depth=1
	v_bfe_u32 v141, v33, 24, 7
	v_mov_b32_e32 v19, 0x7f800001
	s_mov_b32 s23, exec_lo
	s_delay_alu instid0(VALU_DEP_2)
	v_cmpx_ne_u32_e32 0x7f, v141
	s_cbranch_execz .LBB436_538
; %bb.535:                              ;   in Loop: Header=BB436_13 Depth=1
	v_and_b32_e32 v19, 7, v35
	v_lshrrev_b32_e32 v36, 3, v141
	s_mov_b32 s24, exec_lo
	v_cmpx_gt_u32_e32 8, v141
; %bb.536:                              ;   in Loop: Header=BB436_13 Depth=1
	s_delay_alu instid0(VALU_DEP_3) | instskip(NEXT) | instid1(VALU_DEP_1)
	v_clz_i32_u32_e32 v36, v19
	v_min_u32_e32 v36, 32, v36
	s_delay_alu instid0(VALU_DEP_1) | instskip(SKIP_1) | instid1(VALU_DEP_2)
	v_subrev_nc_u32_e32 v141, 28, v36
	v_sub_nc_u32_e32 v36, 29, v36
	v_lshlrev_b64 v[141:142], v141, v[19:20]
	s_delay_alu instid0(VALU_DEP_1)
	v_and_b32_e32 v19, 7, v141
; %bb.537:                              ;   in Loop: Header=BB436_13 Depth=1
	s_or_b32 exec_lo, exec_lo, s24
	v_lshlrev_b32_e32 v35, 24, v35
	s_delay_alu instid0(VALU_DEP_2) | instskip(SKIP_1) | instid1(VALU_DEP_3)
	v_lshlrev_b32_e32 v19, 20, v19
	v_lshl_add_u32 v36, v36, 23, 0x3c000000
	v_and_b32_e32 v35, 0x80000000, v35
	s_delay_alu instid0(VALU_DEP_1)
	v_or3_b32 v19, v19, v35, v36
.LBB436_538:                            ;   in Loop: Header=BB436_13 Depth=1
	s_or_b32 exec_lo, exec_lo, s23
.LBB436_539:                            ;   in Loop: Header=BB436_13 Depth=1
	s_delay_alu instid0(SALU_CYCLE_1)
	s_or_b32 exec_lo, exec_lo, s22
.LBB436_540:                            ;   in Loop: Header=BB436_13 Depth=1
	s_delay_alu instid0(SALU_CYCLE_1) | instskip(NEXT) | instid1(VALU_DEP_1)
	s_or_b32 exec_lo, exec_lo, s21
	v_mul_f32_e32 v19, v58, v19
                                        ; implicit-def: $vgpr141
	s_delay_alu instid0(VALU_DEP_1) | instskip(NEXT) | instid1(VALU_DEP_1)
	v_and_b32_e32 v35, 0x7f800000, v19
	v_cmp_ne_u32_e64 s1, 0x7f800000, v35
	s_delay_alu instid0(VALU_DEP_1) | instskip(NEXT) | instid1(SALU_CYCLE_1)
	s_and_saveexec_b32 s21, s1
	s_xor_b32 s1, exec_lo, s21
; %bb.541:                              ;   in Loop: Header=BB436_13 Depth=1
	v_bfe_u32 v35, v19, 16, 1
	s_delay_alu instid0(VALU_DEP_1)
	v_add3_u32 v141, v19, v35, 0x7fff
                                        ; implicit-def: $vgpr19
; %bb.542:                              ;   in Loop: Header=BB436_13 Depth=1
	s_and_not1_saveexec_b32 s21, s1
; %bb.543:                              ;   in Loop: Header=BB436_13 Depth=1
	v_and_b32_e32 v35, 0xffff, v19
	v_or_b32_e32 v36, 0x10000, v19
	s_delay_alu instid0(VALU_DEP_2) | instskip(NEXT) | instid1(VALU_DEP_1)
	v_cmp_eq_u32_e64 s1, 0, v35
	v_cndmask_b32_e64 v141, v36, v19, s1
; %bb.544:                              ;   in Loop: Header=BB436_13 Depth=1
	s_or_b32 exec_lo, exec_lo, s21
	v_dual_mov_b32 v19, v34 :: v_dual_and_b32 v36, 0xff, v34
	v_mov_b32_e32 v35, 0
	s_mov_b32 s21, exec_lo
	s_delay_alu instid0(VALU_DEP_2)
	v_cmpx_ne_u16_e32 0, v36
	s_cbranch_execz .LBB436_552
; %bb.545:                              ;   in Loop: Header=BB436_13 Depth=1
	v_bfrev_b32_e32 v35, 1
	s_mov_b32 s22, exec_lo
	v_cmpx_ne_u16_e32 0x80, v36
	s_cbranch_execz .LBB436_551
; %bb.546:                              ;   in Loop: Header=BB436_13 Depth=1
	v_and_b32_e32 v36, 0x7f, v34
	v_mov_b32_e32 v35, 0x7f800001
	s_mov_b32 s23, exec_lo
	s_delay_alu instid0(VALU_DEP_2)
	v_cmpx_ne_u32_e32 0x7f, v36
	s_cbranch_execz .LBB436_550
; %bb.547:                              ;   in Loop: Header=BB436_13 Depth=1
	v_lshrrev_b32_e32 v142, 3, v36
	v_cmp_gt_u32_e64 s1, 8, v36
	v_dual_mov_b32 v36, v20 :: v_dual_mov_b32 v35, v19
	s_delay_alu instid0(VALU_DEP_2)
	s_and_saveexec_b32 s24, s1
; %bb.548:                              ;   in Loop: Header=BB436_13 Depth=1
	v_and_b32_e32 v35, 7, v34
	s_delay_alu instid0(VALU_DEP_1) | instskip(NEXT) | instid1(VALU_DEP_1)
	v_clz_i32_u32_e32 v35, v35
	v_min_u32_e32 v142, 32, v35
	s_delay_alu instid0(VALU_DEP_1) | instskip(SKIP_1) | instid1(VALU_DEP_2)
	v_subrev_nc_u32_e32 v35, 28, v142
	v_sub_nc_u32_e32 v142, 29, v142
	v_lshlrev_b64 v[35:36], v35, v[19:20]
; %bb.549:                              ;   in Loop: Header=BB436_13 Depth=1
	s_or_b32 exec_lo, exec_lo, s24
	s_delay_alu instid0(VALU_DEP_1) | instskip(SKIP_2) | instid1(VALU_DEP_3)
	v_lshlrev_b32_e32 v35, 20, v35
	v_lshlrev_b32_e32 v36, 24, v19
	v_lshl_add_u32 v142, v142, 23, 0x3c000000
	v_and_b32_e32 v35, 0x700000, v35
	s_delay_alu instid0(VALU_DEP_3) | instskip(NEXT) | instid1(VALU_DEP_1)
	v_and_b32_e32 v36, 0x80000000, v36
	v_or3_b32 v35, v35, v36, v142
.LBB436_550:                            ;   in Loop: Header=BB436_13 Depth=1
	s_or_b32 exec_lo, exec_lo, s23
.LBB436_551:                            ;   in Loop: Header=BB436_13 Depth=1
	s_delay_alu instid0(SALU_CYCLE_1)
	s_or_b32 exec_lo, exec_lo, s22
.LBB436_552:                            ;   in Loop: Header=BB436_13 Depth=1
	s_delay_alu instid0(SALU_CYCLE_1) | instskip(NEXT) | instid1(VALU_DEP_1)
	s_or_b32 exec_lo, exec_lo, s21
	v_mul_f32_e32 v35, v58, v35
                                        ; implicit-def: $vgpr142
	s_delay_alu instid0(VALU_DEP_1) | instskip(NEXT) | instid1(VALU_DEP_1)
	v_and_b32_e32 v36, 0x7f800000, v35
	v_cmp_ne_u32_e64 s1, 0x7f800000, v36
	s_delay_alu instid0(VALU_DEP_1) | instskip(NEXT) | instid1(SALU_CYCLE_1)
	s_and_saveexec_b32 s21, s1
	s_xor_b32 s1, exec_lo, s21
; %bb.553:                              ;   in Loop: Header=BB436_13 Depth=1
	v_bfe_u32 v36, v35, 16, 1
	s_delay_alu instid0(VALU_DEP_1)
	v_add3_u32 v142, v35, v36, 0x7fff
                                        ; implicit-def: $vgpr35
; %bb.554:                              ;   in Loop: Header=BB436_13 Depth=1
	s_and_not1_saveexec_b32 s21, s1
; %bb.555:                              ;   in Loop: Header=BB436_13 Depth=1
	v_and_b32_e32 v36, 0xffff, v35
	v_or_b32_e32 v142, 0x10000, v35
	s_delay_alu instid0(VALU_DEP_2) | instskip(NEXT) | instid1(VALU_DEP_1)
	v_cmp_eq_u32_e64 s1, 0, v36
	v_cndmask_b32_e64 v142, v142, v35, s1
; %bb.556:                              ;   in Loop: Header=BB436_13 Depth=1
	s_or_b32 exec_lo, exec_lo, s21
	v_lshrrev_b16 v36, 8, v19
	v_mov_b32_e32 v35, 0
	s_mov_b32 s21, exec_lo
	s_delay_alu instid0(VALU_DEP_2)
	v_cmpx_ne_u16_e32 0, v36
	s_cbranch_execz .LBB436_564
; %bb.557:                              ;   in Loop: Header=BB436_13 Depth=1
	v_bfrev_b32_e32 v35, 1
	s_mov_b32 s22, exec_lo
	v_cmpx_ne_u16_e32 0x80, v36
	s_cbranch_execz .LBB436_563
; %bb.558:                              ;   in Loop: Header=BB436_13 Depth=1
	v_and_b32_e32 v36, 0xffff, v36
	v_mov_b32_e32 v35, 0x7f800001
	s_mov_b32 s23, exec_lo
	s_delay_alu instid0(VALU_DEP_2) | instskip(NEXT) | instid1(VALU_DEP_1)
	v_and_b32_e32 v152, 0x7f, v36
	v_cmpx_ne_u32_e32 0x7f, v152
	s_cbranch_execz .LBB436_562
; %bb.559:                              ;   in Loop: Header=BB436_13 Depth=1
	v_dual_mov_b32 v36, v20 :: v_dual_and_b32 v35, 7, v36
	v_lshrrev_b32_e32 v143, 3, v152
	s_mov_b32 s24, exec_lo
	v_cmpx_gt_u32_e32 8, v152
; %bb.560:                              ;   in Loop: Header=BB436_13 Depth=1
	s_delay_alu instid0(VALU_DEP_3) | instskip(NEXT) | instid1(VALU_DEP_1)
	v_clz_i32_u32_e32 v143, v35
	v_min_u32_e32 v143, 32, v143
	s_delay_alu instid0(VALU_DEP_1) | instskip(SKIP_1) | instid1(VALU_DEP_2)
	v_subrev_nc_u32_e32 v152, 28, v143
	v_sub_nc_u32_e32 v143, 29, v143
	v_lshlrev_b64 v[35:36], v152, v[35:36]
	s_delay_alu instid0(VALU_DEP_1)
	v_and_b32_e32 v35, 7, v35
; %bb.561:                              ;   in Loop: Header=BB436_13 Depth=1
	s_or_b32 exec_lo, exec_lo, s24
	v_lshlrev_b32_e32 v19, 16, v19
	s_delay_alu instid0(VALU_DEP_2) | instskip(SKIP_1) | instid1(VALU_DEP_3)
	v_lshlrev_b32_e32 v35, 20, v35
	v_lshl_add_u32 v36, v143, 23, 0x3c000000
	v_and_b32_e32 v19, 0x80000000, v19
	s_delay_alu instid0(VALU_DEP_1)
	v_or3_b32 v35, v35, v19, v36
.LBB436_562:                            ;   in Loop: Header=BB436_13 Depth=1
	s_or_b32 exec_lo, exec_lo, s23
.LBB436_563:                            ;   in Loop: Header=BB436_13 Depth=1
	s_delay_alu instid0(SALU_CYCLE_1)
	s_or_b32 exec_lo, exec_lo, s22
.LBB436_564:                            ;   in Loop: Header=BB436_13 Depth=1
	s_delay_alu instid0(SALU_CYCLE_1) | instskip(NEXT) | instid1(VALU_DEP_1)
	s_or_b32 exec_lo, exec_lo, s21
	v_mul_f32_e32 v19, v58, v35
                                        ; implicit-def: $vgpr143
	s_delay_alu instid0(VALU_DEP_1) | instskip(NEXT) | instid1(VALU_DEP_1)
	v_and_b32_e32 v35, 0x7f800000, v19
	v_cmp_ne_u32_e64 s1, 0x7f800000, v35
	s_delay_alu instid0(VALU_DEP_1) | instskip(NEXT) | instid1(SALU_CYCLE_1)
	s_and_saveexec_b32 s21, s1
	s_xor_b32 s1, exec_lo, s21
; %bb.565:                              ;   in Loop: Header=BB436_13 Depth=1
	v_bfe_u32 v35, v19, 16, 1
	s_delay_alu instid0(VALU_DEP_1)
	v_add3_u32 v143, v19, v35, 0x7fff
                                        ; implicit-def: $vgpr19
; %bb.566:                              ;   in Loop: Header=BB436_13 Depth=1
	s_and_not1_saveexec_b32 s21, s1
; %bb.567:                              ;   in Loop: Header=BB436_13 Depth=1
	v_and_b32_e32 v35, 0xffff, v19
	v_or_b32_e32 v36, 0x10000, v19
	s_delay_alu instid0(VALU_DEP_2) | instskip(NEXT) | instid1(VALU_DEP_1)
	v_cmp_eq_u32_e64 s1, 0, v35
	v_cndmask_b32_e64 v143, v36, v19, s1
; %bb.568:                              ;   in Loop: Header=BB436_13 Depth=1
	s_or_b32 exec_lo, exec_lo, s21
	v_lshrrev_b32_e32 v35, 16, v34
	s_mov_b32 s21, exec_lo
	s_delay_alu instid0(VALU_DEP_1) | instskip(NEXT) | instid1(VALU_DEP_1)
	v_dual_mov_b32 v19, 0 :: v_dual_and_b32 v36, 0xff, v35
	v_cmpx_ne_u16_e32 0, v36
	s_cbranch_execz .LBB436_576
; %bb.569:                              ;   in Loop: Header=BB436_13 Depth=1
	v_bfrev_b32_e32 v19, 1
	s_mov_b32 s22, exec_lo
	v_cmpx_ne_u16_e32 0x80, v36
	s_cbranch_execz .LBB436_575
; %bb.570:                              ;   in Loop: Header=BB436_13 Depth=1
	v_bfe_u32 v152, v34, 16, 7
	v_mov_b32_e32 v19, 0x7f800001
	s_mov_b32 s23, exec_lo
	s_delay_alu instid0(VALU_DEP_2)
	v_cmpx_ne_u32_e32 0x7f, v152
	s_cbranch_execz .LBB436_574
; %bb.571:                              ;   in Loop: Header=BB436_13 Depth=1
	v_and_b32_e32 v19, 7, v35
	v_lshrrev_b32_e32 v36, 3, v152
	s_mov_b32 s24, exec_lo
	v_cmpx_gt_u32_e32 8, v152
; %bb.572:                              ;   in Loop: Header=BB436_13 Depth=1
	s_delay_alu instid0(VALU_DEP_3) | instskip(NEXT) | instid1(VALU_DEP_1)
	v_clz_i32_u32_e32 v36, v19
	v_min_u32_e32 v36, 32, v36
	s_delay_alu instid0(VALU_DEP_1) | instskip(SKIP_1) | instid1(VALU_DEP_2)
	v_subrev_nc_u32_e32 v152, 28, v36
	v_sub_nc_u32_e32 v36, 29, v36
	v_lshlrev_b64 v[152:153], v152, v[19:20]
	s_delay_alu instid0(VALU_DEP_1)
	v_and_b32_e32 v19, 7, v152
; %bb.573:                              ;   in Loop: Header=BB436_13 Depth=1
	s_or_b32 exec_lo, exec_lo, s24
	v_lshlrev_b32_e32 v35, 24, v35
	s_delay_alu instid0(VALU_DEP_2) | instskip(SKIP_1) | instid1(VALU_DEP_3)
	v_lshlrev_b32_e32 v19, 20, v19
	v_lshl_add_u32 v36, v36, 23, 0x3c000000
	v_and_b32_e32 v35, 0x80000000, v35
	s_delay_alu instid0(VALU_DEP_1)
	v_or3_b32 v19, v19, v35, v36
.LBB436_574:                            ;   in Loop: Header=BB436_13 Depth=1
	s_or_b32 exec_lo, exec_lo, s23
.LBB436_575:                            ;   in Loop: Header=BB436_13 Depth=1
	s_delay_alu instid0(SALU_CYCLE_1)
	s_or_b32 exec_lo, exec_lo, s22
.LBB436_576:                            ;   in Loop: Header=BB436_13 Depth=1
	s_delay_alu instid0(SALU_CYCLE_1) | instskip(NEXT) | instid1(VALU_DEP_1)
	s_or_b32 exec_lo, exec_lo, s21
	v_mul_f32_e32 v19, v58, v19
                                        ; implicit-def: $vgpr152
	s_delay_alu instid0(VALU_DEP_1) | instskip(NEXT) | instid1(VALU_DEP_1)
	v_and_b32_e32 v35, 0x7f800000, v19
	v_cmp_ne_u32_e64 s1, 0x7f800000, v35
	s_delay_alu instid0(VALU_DEP_1) | instskip(NEXT) | instid1(SALU_CYCLE_1)
	s_and_saveexec_b32 s21, s1
	s_xor_b32 s1, exec_lo, s21
; %bb.577:                              ;   in Loop: Header=BB436_13 Depth=1
	v_bfe_u32 v35, v19, 16, 1
	s_delay_alu instid0(VALU_DEP_1)
	v_add3_u32 v152, v19, v35, 0x7fff
                                        ; implicit-def: $vgpr19
; %bb.578:                              ;   in Loop: Header=BB436_13 Depth=1
	s_and_not1_saveexec_b32 s21, s1
; %bb.579:                              ;   in Loop: Header=BB436_13 Depth=1
	v_and_b32_e32 v35, 0xffff, v19
	v_or_b32_e32 v36, 0x10000, v19
	s_delay_alu instid0(VALU_DEP_2) | instskip(NEXT) | instid1(VALU_DEP_1)
	v_cmp_eq_u32_e64 s1, 0, v35
	v_cndmask_b32_e64 v152, v36, v19, s1
; %bb.580:                              ;   in Loop: Header=BB436_13 Depth=1
	s_or_b32 exec_lo, exec_lo, s21
	v_mov_b32_e32 v19, 0
	s_mov_b32 s21, exec_lo
	v_cmpx_lt_u64_e64 s[16:17], v[33:34]
	s_cbranch_execz .LBB436_588
; %bb.581:                              ;   in Loop: Header=BB436_13 Depth=1
	v_lshrrev_b32_e32 v33, 24, v34
	v_bfrev_b32_e32 v19, 1
	s_mov_b32 s22, exec_lo
	s_delay_alu instid0(VALU_DEP_2)
	v_cmpx_ne_u32_e32 0x80, v33
	s_cbranch_execz .LBB436_587
; %bb.582:                              ;   in Loop: Header=BB436_13 Depth=1
	v_bfe_u32 v35, v34, 24, 7
	v_mov_b32_e32 v19, 0x7f800001
	s_mov_b32 s23, exec_lo
	s_delay_alu instid0(VALU_DEP_2)
	v_cmpx_ne_u32_e32 0x7f, v35
	s_cbranch_execz .LBB436_586
; %bb.583:                              ;   in Loop: Header=BB436_13 Depth=1
	v_and_b32_e32 v19, 7, v33
	v_lshrrev_b32_e32 v34, 3, v35
	s_mov_b32 s24, exec_lo
	v_cmpx_gt_u32_e32 8, v35
; %bb.584:                              ;   in Loop: Header=BB436_13 Depth=1
	s_delay_alu instid0(VALU_DEP_3) | instskip(NEXT) | instid1(VALU_DEP_1)
	v_clz_i32_u32_e32 v34, v19
	v_min_u32_e32 v34, 32, v34
	s_delay_alu instid0(VALU_DEP_1) | instskip(SKIP_1) | instid1(VALU_DEP_2)
	v_subrev_nc_u32_e32 v35, 28, v34
	v_sub_nc_u32_e32 v34, 29, v34
	v_lshlrev_b64 v[35:36], v35, v[19:20]
	s_delay_alu instid0(VALU_DEP_1)
	v_and_b32_e32 v19, 7, v35
; %bb.585:                              ;   in Loop: Header=BB436_13 Depth=1
	s_or_b32 exec_lo, exec_lo, s24
	v_lshlrev_b32_e32 v33, 24, v33
	s_delay_alu instid0(VALU_DEP_2) | instskip(SKIP_1) | instid1(VALU_DEP_3)
	v_lshlrev_b32_e32 v19, 20, v19
	v_lshl_add_u32 v34, v34, 23, 0x3c000000
	v_and_b32_e32 v33, 0x80000000, v33
	s_delay_alu instid0(VALU_DEP_1)
	v_or3_b32 v19, v19, v33, v34
.LBB436_586:                            ;   in Loop: Header=BB436_13 Depth=1
	s_or_b32 exec_lo, exec_lo, s23
.LBB436_587:                            ;   in Loop: Header=BB436_13 Depth=1
	s_delay_alu instid0(SALU_CYCLE_1)
	s_or_b32 exec_lo, exec_lo, s22
.LBB436_588:                            ;   in Loop: Header=BB436_13 Depth=1
	s_delay_alu instid0(SALU_CYCLE_1) | instskip(NEXT) | instid1(VALU_DEP_1)
	s_or_b32 exec_lo, exec_lo, s21
	v_mul_f32_e32 v19, v58, v19
                                        ; implicit-def: $vgpr153
	s_delay_alu instid0(VALU_DEP_1) | instskip(NEXT) | instid1(VALU_DEP_1)
	v_and_b32_e32 v33, 0x7f800000, v19
	v_cmp_ne_u32_e64 s1, 0x7f800000, v33
	s_delay_alu instid0(VALU_DEP_1) | instskip(NEXT) | instid1(SALU_CYCLE_1)
	s_and_saveexec_b32 s21, s1
	s_xor_b32 s1, exec_lo, s21
; %bb.589:                              ;   in Loop: Header=BB436_13 Depth=1
	v_bfe_u32 v33, v19, 16, 1
	s_delay_alu instid0(VALU_DEP_1)
	v_add3_u32 v153, v19, v33, 0x7fff
                                        ; implicit-def: $vgpr19
; %bb.590:                              ;   in Loop: Header=BB436_13 Depth=1
	s_and_not1_saveexec_b32 s21, s1
; %bb.591:                              ;   in Loop: Header=BB436_13 Depth=1
	v_and_b32_e32 v33, 0xffff, v19
	v_or_b32_e32 v34, 0x10000, v19
	s_delay_alu instid0(VALU_DEP_2) | instskip(NEXT) | instid1(VALU_DEP_1)
	v_cmp_eq_u32_e64 s1, 0, v33
	v_cndmask_b32_e64 v153, v34, v19, s1
; %bb.592:                              ;   in Loop: Header=BB436_13 Depth=1
	s_or_b32 exec_lo, exec_lo, s21
	flat_load_b64 v[33:34], v[31:32] offset:1536
	v_mov_b32_e32 v19, 0
	s_mov_b32 s21, exec_lo
	s_waitcnt vmcnt(0) lgkmcnt(0)
	v_and_b32_e32 v35, 0xff, v33
	s_delay_alu instid0(VALU_DEP_1)
	v_cmpx_ne_u16_e32 0, v35
	s_cbranch_execz .LBB436_600
; %bb.593:                              ;   in Loop: Header=BB436_13 Depth=1
	v_bfrev_b32_e32 v19, 1
	s_mov_b32 s22, exec_lo
	v_cmpx_ne_u16_e32 0x80, v35
	s_cbranch_execz .LBB436_599
; %bb.594:                              ;   in Loop: Header=BB436_13 Depth=1
	v_and_b32_e32 v35, 0x7f, v33
	v_mov_b32_e32 v19, 0x7f800001
	s_mov_b32 s23, exec_lo
	s_delay_alu instid0(VALU_DEP_2)
	v_cmpx_ne_u32_e32 0x7f, v35
	s_cbranch_execz .LBB436_598
; %bb.595:                              ;   in Loop: Header=BB436_13 Depth=1
	v_lshrrev_b32_e32 v19, 3, v35
	v_cmp_gt_u32_e64 s1, 8, v35
	v_dual_mov_b32 v36, v34 :: v_dual_mov_b32 v35, v33
	s_delay_alu instid0(VALU_DEP_2)
	s_and_saveexec_b32 s24, s1
; %bb.596:                              ;   in Loop: Header=BB436_13 Depth=1
	v_and_b32_e32 v19, 7, v33
	s_delay_alu instid0(VALU_DEP_1) | instskip(NEXT) | instid1(VALU_DEP_1)
	v_clz_i32_u32_e32 v19, v19
	v_min_u32_e32 v19, 32, v19
	s_delay_alu instid0(VALU_DEP_1) | instskip(SKIP_1) | instid1(VALU_DEP_2)
	v_subrev_nc_u32_e32 v35, 28, v19
	v_sub_nc_u32_e32 v19, 29, v19
	v_lshlrev_b64 v[35:36], v35, v[33:34]
; %bb.597:                              ;   in Loop: Header=BB436_13 Depth=1
	s_or_b32 exec_lo, exec_lo, s24
	s_delay_alu instid0(VALU_DEP_1) | instskip(SKIP_2) | instid1(VALU_DEP_3)
	v_lshlrev_b32_e32 v35, 20, v35
	v_lshlrev_b32_e32 v36, 24, v33
	v_lshl_add_u32 v19, v19, 23, 0x3c000000
	v_and_b32_e32 v35, 0x700000, v35
	s_delay_alu instid0(VALU_DEP_3) | instskip(NEXT) | instid1(VALU_DEP_1)
	v_and_b32_e32 v36, 0x80000000, v36
	v_or3_b32 v19, v35, v36, v19
.LBB436_598:                            ;   in Loop: Header=BB436_13 Depth=1
	s_or_b32 exec_lo, exec_lo, s23
.LBB436_599:                            ;   in Loop: Header=BB436_13 Depth=1
	s_delay_alu instid0(SALU_CYCLE_1)
	s_or_b32 exec_lo, exec_lo, s22
.LBB436_600:                            ;   in Loop: Header=BB436_13 Depth=1
	s_delay_alu instid0(SALU_CYCLE_1) | instskip(NEXT) | instid1(VALU_DEP_1)
	s_or_b32 exec_lo, exec_lo, s21
	v_mul_f32_e32 v19, v58, v19
                                        ; implicit-def: $vgpr154
	s_delay_alu instid0(VALU_DEP_1) | instskip(NEXT) | instid1(VALU_DEP_1)
	v_and_b32_e32 v35, 0x7f800000, v19
	v_cmp_ne_u32_e64 s1, 0x7f800000, v35
	s_delay_alu instid0(VALU_DEP_1) | instskip(NEXT) | instid1(SALU_CYCLE_1)
	s_and_saveexec_b32 s21, s1
	s_xor_b32 s1, exec_lo, s21
; %bb.601:                              ;   in Loop: Header=BB436_13 Depth=1
	v_bfe_u32 v35, v19, 16, 1
	s_delay_alu instid0(VALU_DEP_1)
	v_add3_u32 v154, v19, v35, 0x7fff
                                        ; implicit-def: $vgpr19
; %bb.602:                              ;   in Loop: Header=BB436_13 Depth=1
	s_and_not1_saveexec_b32 s21, s1
; %bb.603:                              ;   in Loop: Header=BB436_13 Depth=1
	v_and_b32_e32 v35, 0xffff, v19
	v_or_b32_e32 v36, 0x10000, v19
	s_delay_alu instid0(VALU_DEP_2) | instskip(NEXT) | instid1(VALU_DEP_1)
	v_cmp_eq_u32_e64 s1, 0, v35
	v_cndmask_b32_e64 v154, v36, v19, s1
; %bb.604:                              ;   in Loop: Header=BB436_13 Depth=1
	s_or_b32 exec_lo, exec_lo, s21
	v_lshrrev_b16 v35, 8, v33
	v_mov_b32_e32 v19, 0
	s_mov_b32 s21, exec_lo
	s_delay_alu instid0(VALU_DEP_2)
	v_cmpx_ne_u16_e32 0, v35
	s_cbranch_execz .LBB436_612
; %bb.605:                              ;   in Loop: Header=BB436_13 Depth=1
	v_bfrev_b32_e32 v19, 1
	s_mov_b32 s22, exec_lo
	v_cmpx_ne_u16_e32 0x80, v35
	s_cbranch_execz .LBB436_611
; %bb.606:                              ;   in Loop: Header=BB436_13 Depth=1
	v_and_b32_e32 v35, 0xffff, v35
	v_mov_b32_e32 v19, 0x7f800001
	s_mov_b32 s23, exec_lo
	s_delay_alu instid0(VALU_DEP_2) | instskip(NEXT) | instid1(VALU_DEP_1)
	v_and_b32_e32 v36, 0x7f, v35
	v_cmpx_ne_u32_e32 0x7f, v36
	s_cbranch_execz .LBB436_610
; %bb.607:                              ;   in Loop: Header=BB436_13 Depth=1
	v_and_b32_e32 v19, 7, v35
	v_lshrrev_b32_e32 v35, 3, v36
	s_mov_b32 s24, exec_lo
	v_cmpx_gt_u32_e32 8, v36
; %bb.608:                              ;   in Loop: Header=BB436_13 Depth=1
	s_delay_alu instid0(VALU_DEP_3) | instskip(NEXT) | instid1(VALU_DEP_1)
	v_clz_i32_u32_e32 v35, v19
	v_min_u32_e32 v35, 32, v35
	s_delay_alu instid0(VALU_DEP_1) | instskip(SKIP_1) | instid1(VALU_DEP_2)
	v_subrev_nc_u32_e32 v36, 28, v35
	v_sub_nc_u32_e32 v35, 29, v35
	v_lshlrev_b64 v[155:156], v36, v[19:20]
	s_delay_alu instid0(VALU_DEP_1)
	v_and_b32_e32 v19, 7, v155
; %bb.609:                              ;   in Loop: Header=BB436_13 Depth=1
	s_or_b32 exec_lo, exec_lo, s24
	v_lshlrev_b32_e32 v36, 16, v33
	s_delay_alu instid0(VALU_DEP_2) | instskip(SKIP_1) | instid1(VALU_DEP_3)
	v_lshlrev_b32_e32 v19, 20, v19
	v_lshl_add_u32 v35, v35, 23, 0x3c000000
	v_and_b32_e32 v36, 0x80000000, v36
	s_delay_alu instid0(VALU_DEP_1)
	v_or3_b32 v19, v19, v36, v35
.LBB436_610:                            ;   in Loop: Header=BB436_13 Depth=1
	s_or_b32 exec_lo, exec_lo, s23
.LBB436_611:                            ;   in Loop: Header=BB436_13 Depth=1
	s_delay_alu instid0(SALU_CYCLE_1)
	s_or_b32 exec_lo, exec_lo, s22
.LBB436_612:                            ;   in Loop: Header=BB436_13 Depth=1
	s_delay_alu instid0(SALU_CYCLE_1) | instskip(NEXT) | instid1(VALU_DEP_1)
	s_or_b32 exec_lo, exec_lo, s21
	v_mul_f32_e32 v19, v58, v19
                                        ; implicit-def: $vgpr155
	s_delay_alu instid0(VALU_DEP_1) | instskip(NEXT) | instid1(VALU_DEP_1)
	v_and_b32_e32 v35, 0x7f800000, v19
	v_cmp_ne_u32_e64 s1, 0x7f800000, v35
	s_delay_alu instid0(VALU_DEP_1) | instskip(NEXT) | instid1(SALU_CYCLE_1)
	s_and_saveexec_b32 s21, s1
	s_xor_b32 s1, exec_lo, s21
; %bb.613:                              ;   in Loop: Header=BB436_13 Depth=1
	v_bfe_u32 v35, v19, 16, 1
	s_delay_alu instid0(VALU_DEP_1)
	v_add3_u32 v155, v19, v35, 0x7fff
                                        ; implicit-def: $vgpr19
; %bb.614:                              ;   in Loop: Header=BB436_13 Depth=1
	s_and_not1_saveexec_b32 s21, s1
; %bb.615:                              ;   in Loop: Header=BB436_13 Depth=1
	v_and_b32_e32 v35, 0xffff, v19
	v_or_b32_e32 v36, 0x10000, v19
	s_delay_alu instid0(VALU_DEP_2) | instskip(NEXT) | instid1(VALU_DEP_1)
	v_cmp_eq_u32_e64 s1, 0, v35
	v_cndmask_b32_e64 v155, v36, v19, s1
; %bb.616:                              ;   in Loop: Header=BB436_13 Depth=1
	s_or_b32 exec_lo, exec_lo, s21
	v_lshrrev_b32_e32 v35, 16, v33
	s_mov_b32 s21, exec_lo
	s_delay_alu instid0(VALU_DEP_1) | instskip(NEXT) | instid1(VALU_DEP_1)
	v_dual_mov_b32 v19, 0 :: v_dual_and_b32 v36, 0xff, v35
	v_cmpx_ne_u16_e32 0, v36
	s_cbranch_execz .LBB436_624
; %bb.617:                              ;   in Loop: Header=BB436_13 Depth=1
	v_bfrev_b32_e32 v19, 1
	s_mov_b32 s22, exec_lo
	v_cmpx_ne_u16_e32 0x80, v36
	s_cbranch_execz .LBB436_623
; %bb.618:                              ;   in Loop: Header=BB436_13 Depth=1
	v_bfe_u32 v156, v33, 16, 7
	v_mov_b32_e32 v19, 0x7f800001
	s_mov_b32 s23, exec_lo
	s_delay_alu instid0(VALU_DEP_2)
	v_cmpx_ne_u32_e32 0x7f, v156
	s_cbranch_execz .LBB436_622
; %bb.619:                              ;   in Loop: Header=BB436_13 Depth=1
	v_and_b32_e32 v19, 7, v35
	v_lshrrev_b32_e32 v36, 3, v156
	s_mov_b32 s24, exec_lo
	v_cmpx_gt_u32_e32 8, v156
; %bb.620:                              ;   in Loop: Header=BB436_13 Depth=1
	s_delay_alu instid0(VALU_DEP_3) | instskip(NEXT) | instid1(VALU_DEP_1)
	v_clz_i32_u32_e32 v36, v19
	v_min_u32_e32 v36, 32, v36
	s_delay_alu instid0(VALU_DEP_1) | instskip(SKIP_1) | instid1(VALU_DEP_2)
	v_subrev_nc_u32_e32 v156, 28, v36
	v_sub_nc_u32_e32 v36, 29, v36
	v_lshlrev_b64 v[156:157], v156, v[19:20]
	s_delay_alu instid0(VALU_DEP_1)
	v_and_b32_e32 v19, 7, v156
; %bb.621:                              ;   in Loop: Header=BB436_13 Depth=1
	s_or_b32 exec_lo, exec_lo, s24
	v_lshlrev_b32_e32 v35, 24, v35
	s_delay_alu instid0(VALU_DEP_2) | instskip(SKIP_1) | instid1(VALU_DEP_3)
	v_lshlrev_b32_e32 v19, 20, v19
	v_lshl_add_u32 v36, v36, 23, 0x3c000000
	v_and_b32_e32 v35, 0x80000000, v35
	s_delay_alu instid0(VALU_DEP_1)
	v_or3_b32 v19, v19, v35, v36
.LBB436_622:                            ;   in Loop: Header=BB436_13 Depth=1
	s_or_b32 exec_lo, exec_lo, s23
.LBB436_623:                            ;   in Loop: Header=BB436_13 Depth=1
	s_delay_alu instid0(SALU_CYCLE_1)
	s_or_b32 exec_lo, exec_lo, s22
.LBB436_624:                            ;   in Loop: Header=BB436_13 Depth=1
	s_delay_alu instid0(SALU_CYCLE_1) | instskip(NEXT) | instid1(VALU_DEP_1)
	s_or_b32 exec_lo, exec_lo, s21
	v_mul_f32_e32 v19, v58, v19
                                        ; implicit-def: $vgpr156
	s_delay_alu instid0(VALU_DEP_1) | instskip(NEXT) | instid1(VALU_DEP_1)
	v_and_b32_e32 v35, 0x7f800000, v19
	v_cmp_ne_u32_e64 s1, 0x7f800000, v35
	s_delay_alu instid0(VALU_DEP_1) | instskip(NEXT) | instid1(SALU_CYCLE_1)
	s_and_saveexec_b32 s21, s1
	s_xor_b32 s1, exec_lo, s21
; %bb.625:                              ;   in Loop: Header=BB436_13 Depth=1
	v_bfe_u32 v35, v19, 16, 1
	s_delay_alu instid0(VALU_DEP_1)
	v_add3_u32 v156, v19, v35, 0x7fff
                                        ; implicit-def: $vgpr19
; %bb.626:                              ;   in Loop: Header=BB436_13 Depth=1
	s_and_not1_saveexec_b32 s21, s1
; %bb.627:                              ;   in Loop: Header=BB436_13 Depth=1
	v_and_b32_e32 v35, 0xffff, v19
	v_or_b32_e32 v36, 0x10000, v19
	s_delay_alu instid0(VALU_DEP_2) | instskip(NEXT) | instid1(VALU_DEP_1)
	v_cmp_eq_u32_e64 s1, 0, v35
	v_cndmask_b32_e64 v156, v36, v19, s1
; %bb.628:                              ;   in Loop: Header=BB436_13 Depth=1
	s_or_b32 exec_lo, exec_lo, s21
	v_mov_b32_e32 v19, 0
	s_mov_b32 s21, exec_lo
	v_cmpx_lt_u32_e32 0xffffff, v33
	s_cbranch_execz .LBB436_636
; %bb.629:                              ;   in Loop: Header=BB436_13 Depth=1
	v_lshrrev_b32_e32 v35, 24, v33
	v_bfrev_b32_e32 v19, 1
	s_mov_b32 s22, exec_lo
	s_delay_alu instid0(VALU_DEP_2)
	v_cmpx_ne_u32_e32 0x80, v35
	s_cbranch_execz .LBB436_635
; %bb.630:                              ;   in Loop: Header=BB436_13 Depth=1
	v_bfe_u32 v157, v33, 24, 7
	v_mov_b32_e32 v19, 0x7f800001
	s_mov_b32 s23, exec_lo
	s_delay_alu instid0(VALU_DEP_2)
	v_cmpx_ne_u32_e32 0x7f, v157
	s_cbranch_execz .LBB436_634
; %bb.631:                              ;   in Loop: Header=BB436_13 Depth=1
	v_and_b32_e32 v19, 7, v35
	v_lshrrev_b32_e32 v36, 3, v157
	s_mov_b32 s24, exec_lo
	v_cmpx_gt_u32_e32 8, v157
; %bb.632:                              ;   in Loop: Header=BB436_13 Depth=1
	s_delay_alu instid0(VALU_DEP_3) | instskip(NEXT) | instid1(VALU_DEP_1)
	v_clz_i32_u32_e32 v36, v19
	v_min_u32_e32 v36, 32, v36
	s_delay_alu instid0(VALU_DEP_1) | instskip(SKIP_1) | instid1(VALU_DEP_2)
	v_subrev_nc_u32_e32 v157, 28, v36
	v_sub_nc_u32_e32 v36, 29, v36
	v_lshlrev_b64 v[157:158], v157, v[19:20]
	s_delay_alu instid0(VALU_DEP_1)
	v_and_b32_e32 v19, 7, v157
; %bb.633:                              ;   in Loop: Header=BB436_13 Depth=1
	s_or_b32 exec_lo, exec_lo, s24
	v_lshlrev_b32_e32 v35, 24, v35
	s_delay_alu instid0(VALU_DEP_2) | instskip(SKIP_1) | instid1(VALU_DEP_3)
	v_lshlrev_b32_e32 v19, 20, v19
	v_lshl_add_u32 v36, v36, 23, 0x3c000000
	v_and_b32_e32 v35, 0x80000000, v35
	s_delay_alu instid0(VALU_DEP_1)
	v_or3_b32 v19, v19, v35, v36
.LBB436_634:                            ;   in Loop: Header=BB436_13 Depth=1
	s_or_b32 exec_lo, exec_lo, s23
.LBB436_635:                            ;   in Loop: Header=BB436_13 Depth=1
	s_delay_alu instid0(SALU_CYCLE_1)
	s_or_b32 exec_lo, exec_lo, s22
.LBB436_636:                            ;   in Loop: Header=BB436_13 Depth=1
	s_delay_alu instid0(SALU_CYCLE_1) | instskip(NEXT) | instid1(VALU_DEP_1)
	s_or_b32 exec_lo, exec_lo, s21
	v_mul_f32_e32 v19, v58, v19
                                        ; implicit-def: $vgpr157
	s_delay_alu instid0(VALU_DEP_1) | instskip(NEXT) | instid1(VALU_DEP_1)
	v_and_b32_e32 v35, 0x7f800000, v19
	v_cmp_ne_u32_e64 s1, 0x7f800000, v35
	s_delay_alu instid0(VALU_DEP_1) | instskip(NEXT) | instid1(SALU_CYCLE_1)
	s_and_saveexec_b32 s21, s1
	s_xor_b32 s1, exec_lo, s21
; %bb.637:                              ;   in Loop: Header=BB436_13 Depth=1
	v_bfe_u32 v35, v19, 16, 1
	s_delay_alu instid0(VALU_DEP_1)
	v_add3_u32 v157, v19, v35, 0x7fff
                                        ; implicit-def: $vgpr19
; %bb.638:                              ;   in Loop: Header=BB436_13 Depth=1
	s_and_not1_saveexec_b32 s21, s1
; %bb.639:                              ;   in Loop: Header=BB436_13 Depth=1
	v_and_b32_e32 v35, 0xffff, v19
	v_or_b32_e32 v36, 0x10000, v19
	s_delay_alu instid0(VALU_DEP_2) | instskip(NEXT) | instid1(VALU_DEP_1)
	v_cmp_eq_u32_e64 s1, 0, v35
	v_cndmask_b32_e64 v157, v36, v19, s1
; %bb.640:                              ;   in Loop: Header=BB436_13 Depth=1
	s_or_b32 exec_lo, exec_lo, s21
	v_dual_mov_b32 v19, v34 :: v_dual_and_b32 v36, 0xff, v34
	v_mov_b32_e32 v35, 0
	s_mov_b32 s21, exec_lo
	s_delay_alu instid0(VALU_DEP_2)
	v_cmpx_ne_u16_e32 0, v36
	s_cbranch_execz .LBB436_648
; %bb.641:                              ;   in Loop: Header=BB436_13 Depth=1
	v_bfrev_b32_e32 v35, 1
	s_mov_b32 s22, exec_lo
	v_cmpx_ne_u16_e32 0x80, v36
	s_cbranch_execz .LBB436_647
; %bb.642:                              ;   in Loop: Header=BB436_13 Depth=1
	v_and_b32_e32 v36, 0x7f, v34
	v_mov_b32_e32 v35, 0x7f800001
	s_mov_b32 s23, exec_lo
	s_delay_alu instid0(VALU_DEP_2)
	v_cmpx_ne_u32_e32 0x7f, v36
	s_cbranch_execz .LBB436_646
; %bb.643:                              ;   in Loop: Header=BB436_13 Depth=1
	v_lshrrev_b32_e32 v158, 3, v36
	v_cmp_gt_u32_e64 s1, 8, v36
	v_dual_mov_b32 v36, v20 :: v_dual_mov_b32 v35, v19
	s_delay_alu instid0(VALU_DEP_2)
	s_and_saveexec_b32 s24, s1
; %bb.644:                              ;   in Loop: Header=BB436_13 Depth=1
	v_and_b32_e32 v35, 7, v34
	s_delay_alu instid0(VALU_DEP_1) | instskip(NEXT) | instid1(VALU_DEP_1)
	v_clz_i32_u32_e32 v35, v35
	v_min_u32_e32 v158, 32, v35
	s_delay_alu instid0(VALU_DEP_1) | instskip(SKIP_1) | instid1(VALU_DEP_2)
	v_subrev_nc_u32_e32 v35, 28, v158
	v_sub_nc_u32_e32 v158, 29, v158
	v_lshlrev_b64 v[35:36], v35, v[19:20]
; %bb.645:                              ;   in Loop: Header=BB436_13 Depth=1
	s_or_b32 exec_lo, exec_lo, s24
	s_delay_alu instid0(VALU_DEP_1) | instskip(SKIP_2) | instid1(VALU_DEP_3)
	v_lshlrev_b32_e32 v35, 20, v35
	v_lshlrev_b32_e32 v36, 24, v19
	v_lshl_add_u32 v158, v158, 23, 0x3c000000
	v_and_b32_e32 v35, 0x700000, v35
	s_delay_alu instid0(VALU_DEP_3) | instskip(NEXT) | instid1(VALU_DEP_1)
	v_and_b32_e32 v36, 0x80000000, v36
	v_or3_b32 v35, v35, v36, v158
.LBB436_646:                            ;   in Loop: Header=BB436_13 Depth=1
	s_or_b32 exec_lo, exec_lo, s23
.LBB436_647:                            ;   in Loop: Header=BB436_13 Depth=1
	s_delay_alu instid0(SALU_CYCLE_1)
	s_or_b32 exec_lo, exec_lo, s22
.LBB436_648:                            ;   in Loop: Header=BB436_13 Depth=1
	s_delay_alu instid0(SALU_CYCLE_1) | instskip(NEXT) | instid1(VALU_DEP_1)
	s_or_b32 exec_lo, exec_lo, s21
	v_mul_f32_e32 v35, v58, v35
                                        ; implicit-def: $vgpr158
	s_delay_alu instid0(VALU_DEP_1) | instskip(NEXT) | instid1(VALU_DEP_1)
	v_and_b32_e32 v36, 0x7f800000, v35
	v_cmp_ne_u32_e64 s1, 0x7f800000, v36
	s_delay_alu instid0(VALU_DEP_1) | instskip(NEXT) | instid1(SALU_CYCLE_1)
	s_and_saveexec_b32 s21, s1
	s_xor_b32 s1, exec_lo, s21
; %bb.649:                              ;   in Loop: Header=BB436_13 Depth=1
	v_bfe_u32 v36, v35, 16, 1
	s_delay_alu instid0(VALU_DEP_1)
	v_add3_u32 v158, v35, v36, 0x7fff
                                        ; implicit-def: $vgpr35
; %bb.650:                              ;   in Loop: Header=BB436_13 Depth=1
	s_and_not1_saveexec_b32 s21, s1
; %bb.651:                              ;   in Loop: Header=BB436_13 Depth=1
	v_and_b32_e32 v36, 0xffff, v35
	v_or_b32_e32 v158, 0x10000, v35
	s_delay_alu instid0(VALU_DEP_2) | instskip(NEXT) | instid1(VALU_DEP_1)
	v_cmp_eq_u32_e64 s1, 0, v36
	v_cndmask_b32_e64 v158, v158, v35, s1
; %bb.652:                              ;   in Loop: Header=BB436_13 Depth=1
	s_or_b32 exec_lo, exec_lo, s21
	v_lshrrev_b16 v36, 8, v19
	v_mov_b32_e32 v35, 0
	s_mov_b32 s21, exec_lo
	s_delay_alu instid0(VALU_DEP_2)
	v_cmpx_ne_u16_e32 0, v36
	s_cbranch_execz .LBB436_660
; %bb.653:                              ;   in Loop: Header=BB436_13 Depth=1
	v_bfrev_b32_e32 v35, 1
	s_mov_b32 s22, exec_lo
	v_cmpx_ne_u16_e32 0x80, v36
	s_cbranch_execz .LBB436_659
; %bb.654:                              ;   in Loop: Header=BB436_13 Depth=1
	v_and_b32_e32 v36, 0xffff, v36
	v_mov_b32_e32 v35, 0x7f800001
	s_mov_b32 s23, exec_lo
	s_delay_alu instid0(VALU_DEP_2) | instskip(NEXT) | instid1(VALU_DEP_1)
	v_and_b32_e32 v168, 0x7f, v36
	v_cmpx_ne_u32_e32 0x7f, v168
	s_cbranch_execz .LBB436_658
; %bb.655:                              ;   in Loop: Header=BB436_13 Depth=1
	v_dual_mov_b32 v36, v20 :: v_dual_and_b32 v35, 7, v36
	v_lshrrev_b32_e32 v159, 3, v168
	s_mov_b32 s24, exec_lo
	v_cmpx_gt_u32_e32 8, v168
; %bb.656:                              ;   in Loop: Header=BB436_13 Depth=1
	s_delay_alu instid0(VALU_DEP_3) | instskip(NEXT) | instid1(VALU_DEP_1)
	v_clz_i32_u32_e32 v159, v35
	v_min_u32_e32 v159, 32, v159
	s_delay_alu instid0(VALU_DEP_1) | instskip(SKIP_1) | instid1(VALU_DEP_2)
	v_subrev_nc_u32_e32 v168, 28, v159
	v_sub_nc_u32_e32 v159, 29, v159
	v_lshlrev_b64 v[35:36], v168, v[35:36]
	s_delay_alu instid0(VALU_DEP_1)
	v_and_b32_e32 v35, 7, v35
; %bb.657:                              ;   in Loop: Header=BB436_13 Depth=1
	s_or_b32 exec_lo, exec_lo, s24
	v_lshlrev_b32_e32 v19, 16, v19
	s_delay_alu instid0(VALU_DEP_2) | instskip(SKIP_1) | instid1(VALU_DEP_3)
	v_lshlrev_b32_e32 v35, 20, v35
	v_lshl_add_u32 v36, v159, 23, 0x3c000000
	v_and_b32_e32 v19, 0x80000000, v19
	s_delay_alu instid0(VALU_DEP_1)
	v_or3_b32 v35, v35, v19, v36
.LBB436_658:                            ;   in Loop: Header=BB436_13 Depth=1
	s_or_b32 exec_lo, exec_lo, s23
.LBB436_659:                            ;   in Loop: Header=BB436_13 Depth=1
	s_delay_alu instid0(SALU_CYCLE_1)
	s_or_b32 exec_lo, exec_lo, s22
.LBB436_660:                            ;   in Loop: Header=BB436_13 Depth=1
	s_delay_alu instid0(SALU_CYCLE_1) | instskip(NEXT) | instid1(VALU_DEP_1)
	s_or_b32 exec_lo, exec_lo, s21
	v_mul_f32_e32 v19, v58, v35
	s_delay_alu instid0(VALU_DEP_1) | instskip(NEXT) | instid1(VALU_DEP_1)
	v_and_b32_e32 v35, 0x7f800000, v19
	v_cmp_ne_u32_e64 s1, 0x7f800000, v35
                                        ; implicit-def: $vgpr35
	s_delay_alu instid0(VALU_DEP_1) | instskip(NEXT) | instid1(SALU_CYCLE_1)
	s_and_saveexec_b32 s21, s1
	s_xor_b32 s1, exec_lo, s21
; %bb.661:                              ;   in Loop: Header=BB436_13 Depth=1
	v_bfe_u32 v35, v19, 16, 1
	s_delay_alu instid0(VALU_DEP_1)
	v_add3_u32 v35, v19, v35, 0x7fff
                                        ; implicit-def: $vgpr19
; %bb.662:                              ;   in Loop: Header=BB436_13 Depth=1
	s_and_not1_saveexec_b32 s21, s1
; %bb.663:                              ;   in Loop: Header=BB436_13 Depth=1
	v_and_b32_e32 v35, 0xffff, v19
	v_or_b32_e32 v36, 0x10000, v19
	s_delay_alu instid0(VALU_DEP_2) | instskip(NEXT) | instid1(VALU_DEP_1)
	v_cmp_eq_u32_e64 s1, 0, v35
	v_cndmask_b32_e64 v35, v36, v19, s1
; %bb.664:                              ;   in Loop: Header=BB436_13 Depth=1
	s_or_b32 exec_lo, exec_lo, s21
	v_lshrrev_b32_e32 v36, 16, v34
	v_mov_b32_e32 v19, 0
	s_mov_b32 s21, exec_lo
	s_delay_alu instid0(VALU_DEP_2) | instskip(NEXT) | instid1(VALU_DEP_1)
	v_and_b32_e32 v159, 0xff, v36
	v_cmpx_ne_u16_e64 0, v159
	s_cbranch_execz .LBB436_672
; %bb.665:                              ;   in Loop: Header=BB436_13 Depth=1
	v_bfrev_b32_e32 v19, 1
	s_mov_b32 s22, exec_lo
	v_cmpx_ne_u16_e64 0x80, v159
	s_cbranch_execz .LBB436_671
; %bb.666:                              ;   in Loop: Header=BB436_13 Depth=1
	v_bfe_u32 v168, v34, 16, 7
	v_mov_b32_e32 v19, 0x7f800001
	s_mov_b32 s23, exec_lo
	s_delay_alu instid0(VALU_DEP_2)
	v_cmpx_ne_u32_e32 0x7f, v168
	s_cbranch_execz .LBB436_670
; %bb.667:                              ;   in Loop: Header=BB436_13 Depth=1
	v_and_b32_e32 v19, 7, v36
	v_lshrrev_b32_e32 v159, 3, v168
	s_mov_b32 s24, exec_lo
	v_cmpx_gt_u32_e32 8, v168
; %bb.668:                              ;   in Loop: Header=BB436_13 Depth=1
	s_delay_alu instid0(VALU_DEP_3) | instskip(NEXT) | instid1(VALU_DEP_1)
	v_clz_i32_u32_e32 v159, v19
	v_min_u32_e32 v159, 32, v159
	s_delay_alu instid0(VALU_DEP_1) | instskip(SKIP_1) | instid1(VALU_DEP_2)
	v_subrev_nc_u32_e32 v168, 28, v159
	v_sub_nc_u32_e32 v159, 29, v159
	v_lshlrev_b64 v[168:169], v168, v[19:20]
	s_delay_alu instid0(VALU_DEP_1)
	v_and_b32_e32 v19, 7, v168
; %bb.669:                              ;   in Loop: Header=BB436_13 Depth=1
	s_or_b32 exec_lo, exec_lo, s24
	v_lshlrev_b32_e32 v36, 24, v36
	s_delay_alu instid0(VALU_DEP_2) | instskip(SKIP_1) | instid1(VALU_DEP_3)
	v_lshlrev_b32_e32 v19, 20, v19
	v_lshl_add_u32 v159, v159, 23, 0x3c000000
	v_and_b32_e32 v36, 0x80000000, v36
	s_delay_alu instid0(VALU_DEP_1)
	v_or3_b32 v19, v19, v36, v159
.LBB436_670:                            ;   in Loop: Header=BB436_13 Depth=1
	s_or_b32 exec_lo, exec_lo, s23
.LBB436_671:                            ;   in Loop: Header=BB436_13 Depth=1
	s_delay_alu instid0(SALU_CYCLE_1)
	s_or_b32 exec_lo, exec_lo, s22
.LBB436_672:                            ;   in Loop: Header=BB436_13 Depth=1
	s_delay_alu instid0(SALU_CYCLE_1) | instskip(NEXT) | instid1(VALU_DEP_1)
	s_or_b32 exec_lo, exec_lo, s21
	v_mul_f32_e32 v19, v58, v19
	s_delay_alu instid0(VALU_DEP_1) | instskip(NEXT) | instid1(VALU_DEP_1)
	v_and_b32_e32 v36, 0x7f800000, v19
	v_cmp_ne_u32_e64 s1, 0x7f800000, v36
                                        ; implicit-def: $vgpr36
	s_delay_alu instid0(VALU_DEP_1) | instskip(NEXT) | instid1(SALU_CYCLE_1)
	s_and_saveexec_b32 s21, s1
	s_xor_b32 s1, exec_lo, s21
; %bb.673:                              ;   in Loop: Header=BB436_13 Depth=1
	v_bfe_u32 v36, v19, 16, 1
	s_delay_alu instid0(VALU_DEP_1)
	v_add3_u32 v36, v19, v36, 0x7fff
                                        ; implicit-def: $vgpr19
; %bb.674:                              ;   in Loop: Header=BB436_13 Depth=1
	s_and_not1_saveexec_b32 s21, s1
; %bb.675:                              ;   in Loop: Header=BB436_13 Depth=1
	v_and_b32_e32 v36, 0xffff, v19
	v_or_b32_e32 v159, 0x10000, v19
	s_delay_alu instid0(VALU_DEP_2) | instskip(NEXT) | instid1(VALU_DEP_1)
	v_cmp_eq_u32_e64 s1, 0, v36
	v_cndmask_b32_e64 v36, v159, v19, s1
; %bb.676:                              ;   in Loop: Header=BB436_13 Depth=1
	s_or_b32 exec_lo, exec_lo, s21
	v_mov_b32_e32 v19, 0
	s_mov_b32 s21, exec_lo
	v_cmpx_lt_u64_e64 s[16:17], v[33:34]
	s_cbranch_execz .LBB436_684
; %bb.677:                              ;   in Loop: Header=BB436_13 Depth=1
	v_lshrrev_b32_e32 v33, 24, v34
	v_bfrev_b32_e32 v19, 1
	s_mov_b32 s22, exec_lo
	s_delay_alu instid0(VALU_DEP_2)
	v_cmpx_ne_u32_e32 0x80, v33
	s_cbranch_execz .LBB436_683
; %bb.678:                              ;   in Loop: Header=BB436_13 Depth=1
	v_bfe_u32 v159, v34, 24, 7
	v_mov_b32_e32 v19, 0x7f800001
	s_mov_b32 s23, exec_lo
	s_delay_alu instid0(VALU_DEP_2)
	v_cmpx_ne_u32_e32 0x7f, v159
	s_cbranch_execz .LBB436_682
; %bb.679:                              ;   in Loop: Header=BB436_13 Depth=1
	v_and_b32_e32 v19, 7, v33
	v_lshrrev_b32_e32 v34, 3, v159
	s_mov_b32 s24, exec_lo
	v_cmpx_gt_u32_e32 8, v159
; %bb.680:                              ;   in Loop: Header=BB436_13 Depth=1
	s_delay_alu instid0(VALU_DEP_3) | instskip(NEXT) | instid1(VALU_DEP_1)
	v_clz_i32_u32_e32 v34, v19
	v_min_u32_e32 v34, 32, v34
	s_delay_alu instid0(VALU_DEP_1) | instskip(SKIP_1) | instid1(VALU_DEP_2)
	v_subrev_nc_u32_e32 v159, 28, v34
	v_sub_nc_u32_e32 v34, 29, v34
	v_lshlrev_b64 v[168:169], v159, v[19:20]
	s_delay_alu instid0(VALU_DEP_1)
	v_and_b32_e32 v19, 7, v168
; %bb.681:                              ;   in Loop: Header=BB436_13 Depth=1
	s_or_b32 exec_lo, exec_lo, s24
	v_lshlrev_b32_e32 v33, 24, v33
	s_delay_alu instid0(VALU_DEP_2) | instskip(SKIP_1) | instid1(VALU_DEP_3)
	v_lshlrev_b32_e32 v19, 20, v19
	v_lshl_add_u32 v34, v34, 23, 0x3c000000
	v_and_b32_e32 v33, 0x80000000, v33
	s_delay_alu instid0(VALU_DEP_1)
	v_or3_b32 v19, v19, v33, v34
.LBB436_682:                            ;   in Loop: Header=BB436_13 Depth=1
	s_or_b32 exec_lo, exec_lo, s23
.LBB436_683:                            ;   in Loop: Header=BB436_13 Depth=1
	s_delay_alu instid0(SALU_CYCLE_1)
	s_or_b32 exec_lo, exec_lo, s22
.LBB436_684:                            ;   in Loop: Header=BB436_13 Depth=1
	s_delay_alu instid0(SALU_CYCLE_1) | instskip(NEXT) | instid1(VALU_DEP_1)
	s_or_b32 exec_lo, exec_lo, s21
	v_mul_f32_e32 v19, v58, v19
                                        ; implicit-def: $vgpr159
	s_delay_alu instid0(VALU_DEP_1) | instskip(NEXT) | instid1(VALU_DEP_1)
	v_and_b32_e32 v33, 0x7f800000, v19
	v_cmp_ne_u32_e64 s1, 0x7f800000, v33
	s_delay_alu instid0(VALU_DEP_1) | instskip(NEXT) | instid1(SALU_CYCLE_1)
	s_and_saveexec_b32 s21, s1
	s_xor_b32 s1, exec_lo, s21
; %bb.685:                              ;   in Loop: Header=BB436_13 Depth=1
	v_bfe_u32 v33, v19, 16, 1
	s_delay_alu instid0(VALU_DEP_1)
	v_add3_u32 v159, v19, v33, 0x7fff
                                        ; implicit-def: $vgpr19
; %bb.686:                              ;   in Loop: Header=BB436_13 Depth=1
	s_and_not1_saveexec_b32 s21, s1
; %bb.687:                              ;   in Loop: Header=BB436_13 Depth=1
	v_and_b32_e32 v33, 0xffff, v19
	v_or_b32_e32 v34, 0x10000, v19
	s_delay_alu instid0(VALU_DEP_2) | instskip(NEXT) | instid1(VALU_DEP_1)
	v_cmp_eq_u32_e64 s1, 0, v33
	v_cndmask_b32_e64 v159, v34, v19, s1
; %bb.688:                              ;   in Loop: Header=BB436_13 Depth=1
	s_or_b32 exec_lo, exec_lo, s21
	flat_load_b64 v[31:32], v[31:32] offset:1544
	v_mov_b32_e32 v19, 0
	s_mov_b32 s21, exec_lo
	s_waitcnt vmcnt(0) lgkmcnt(0)
	v_and_b32_e32 v33, 0xff, v31
	s_delay_alu instid0(VALU_DEP_1)
	v_cmpx_ne_u16_e32 0, v33
	s_cbranch_execz .LBB436_696
; %bb.689:                              ;   in Loop: Header=BB436_13 Depth=1
	v_bfrev_b32_e32 v19, 1
	s_mov_b32 s22, exec_lo
	v_cmpx_ne_u16_e32 0x80, v33
	s_cbranch_execz .LBB436_695
; %bb.690:                              ;   in Loop: Header=BB436_13 Depth=1
	v_and_b32_e32 v33, 0x7f, v31
	v_mov_b32_e32 v19, 0x7f800001
	s_mov_b32 s23, exec_lo
	s_delay_alu instid0(VALU_DEP_2)
	v_cmpx_ne_u32_e32 0x7f, v33
	s_cbranch_execz .LBB436_694
; %bb.691:                              ;   in Loop: Header=BB436_13 Depth=1
	v_lshrrev_b32_e32 v19, 3, v33
	v_cmp_gt_u32_e64 s1, 8, v33
	v_dual_mov_b32 v34, v32 :: v_dual_mov_b32 v33, v31
	s_delay_alu instid0(VALU_DEP_2)
	s_and_saveexec_b32 s24, s1
; %bb.692:                              ;   in Loop: Header=BB436_13 Depth=1
	v_and_b32_e32 v19, 7, v31
	s_delay_alu instid0(VALU_DEP_1) | instskip(NEXT) | instid1(VALU_DEP_1)
	v_clz_i32_u32_e32 v19, v19
	v_min_u32_e32 v19, 32, v19
	s_delay_alu instid0(VALU_DEP_1) | instskip(SKIP_1) | instid1(VALU_DEP_2)
	v_subrev_nc_u32_e32 v33, 28, v19
	v_sub_nc_u32_e32 v19, 29, v19
	v_lshlrev_b64 v[33:34], v33, v[31:32]
; %bb.693:                              ;   in Loop: Header=BB436_13 Depth=1
	s_or_b32 exec_lo, exec_lo, s24
	s_delay_alu instid0(VALU_DEP_1) | instskip(SKIP_2) | instid1(VALU_DEP_3)
	v_lshlrev_b32_e32 v33, 20, v33
	v_lshlrev_b32_e32 v34, 24, v31
	v_lshl_add_u32 v19, v19, 23, 0x3c000000
	v_and_b32_e32 v33, 0x700000, v33
	s_delay_alu instid0(VALU_DEP_3) | instskip(NEXT) | instid1(VALU_DEP_1)
	v_and_b32_e32 v34, 0x80000000, v34
	v_or3_b32 v19, v33, v34, v19
.LBB436_694:                            ;   in Loop: Header=BB436_13 Depth=1
	s_or_b32 exec_lo, exec_lo, s23
.LBB436_695:                            ;   in Loop: Header=BB436_13 Depth=1
	s_delay_alu instid0(SALU_CYCLE_1)
	s_or_b32 exec_lo, exec_lo, s22
.LBB436_696:                            ;   in Loop: Header=BB436_13 Depth=1
	s_delay_alu instid0(SALU_CYCLE_1) | instskip(NEXT) | instid1(VALU_DEP_1)
	s_or_b32 exec_lo, exec_lo, s21
	v_mul_f32_e32 v19, v58, v19
                                        ; implicit-def: $vgpr168
	s_delay_alu instid0(VALU_DEP_1) | instskip(NEXT) | instid1(VALU_DEP_1)
	v_and_b32_e32 v33, 0x7f800000, v19
	v_cmp_ne_u32_e64 s1, 0x7f800000, v33
	s_delay_alu instid0(VALU_DEP_1) | instskip(NEXT) | instid1(SALU_CYCLE_1)
	s_and_saveexec_b32 s21, s1
	s_xor_b32 s1, exec_lo, s21
; %bb.697:                              ;   in Loop: Header=BB436_13 Depth=1
	v_bfe_u32 v33, v19, 16, 1
	s_delay_alu instid0(VALU_DEP_1)
	v_add3_u32 v168, v19, v33, 0x7fff
                                        ; implicit-def: $vgpr19
; %bb.698:                              ;   in Loop: Header=BB436_13 Depth=1
	s_and_not1_saveexec_b32 s21, s1
; %bb.699:                              ;   in Loop: Header=BB436_13 Depth=1
	v_and_b32_e32 v33, 0xffff, v19
	v_or_b32_e32 v34, 0x10000, v19
	s_delay_alu instid0(VALU_DEP_2) | instskip(NEXT) | instid1(VALU_DEP_1)
	v_cmp_eq_u32_e64 s1, 0, v33
	v_cndmask_b32_e64 v168, v34, v19, s1
; %bb.700:                              ;   in Loop: Header=BB436_13 Depth=1
	s_or_b32 exec_lo, exec_lo, s21
	v_lshrrev_b16 v33, 8, v31
	v_mov_b32_e32 v19, 0
	s_mov_b32 s21, exec_lo
	s_delay_alu instid0(VALU_DEP_2)
	v_cmpx_ne_u16_e32 0, v33
	s_cbranch_execz .LBB436_708
; %bb.701:                              ;   in Loop: Header=BB436_13 Depth=1
	v_bfrev_b32_e32 v19, 1
	s_mov_b32 s22, exec_lo
	v_cmpx_ne_u16_e32 0x80, v33
	s_cbranch_execz .LBB436_707
; %bb.702:                              ;   in Loop: Header=BB436_13 Depth=1
	v_and_b32_e32 v33, 0xffff, v33
	v_mov_b32_e32 v19, 0x7f800001
	s_mov_b32 s23, exec_lo
	s_delay_alu instid0(VALU_DEP_2) | instskip(NEXT) | instid1(VALU_DEP_1)
	v_and_b32_e32 v34, 0x7f, v33
	v_cmpx_ne_u32_e32 0x7f, v34
	s_cbranch_execz .LBB436_706
; %bb.703:                              ;   in Loop: Header=BB436_13 Depth=1
	v_and_b32_e32 v19, 7, v33
	v_lshrrev_b32_e32 v33, 3, v34
	s_mov_b32 s24, exec_lo
	v_cmpx_gt_u32_e32 8, v34
; %bb.704:                              ;   in Loop: Header=BB436_13 Depth=1
	s_delay_alu instid0(VALU_DEP_3) | instskip(NEXT) | instid1(VALU_DEP_1)
	v_clz_i32_u32_e32 v33, v19
	v_min_u32_e32 v33, 32, v33
	s_delay_alu instid0(VALU_DEP_1) | instskip(SKIP_1) | instid1(VALU_DEP_2)
	v_subrev_nc_u32_e32 v34, 28, v33
	v_sub_nc_u32_e32 v33, 29, v33
	v_lshlrev_b64 v[169:170], v34, v[19:20]
	s_delay_alu instid0(VALU_DEP_1)
	v_and_b32_e32 v19, 7, v169
; %bb.705:                              ;   in Loop: Header=BB436_13 Depth=1
	s_or_b32 exec_lo, exec_lo, s24
	v_lshlrev_b32_e32 v34, 16, v31
	s_delay_alu instid0(VALU_DEP_2) | instskip(SKIP_1) | instid1(VALU_DEP_3)
	v_lshlrev_b32_e32 v19, 20, v19
	v_lshl_add_u32 v33, v33, 23, 0x3c000000
	v_and_b32_e32 v34, 0x80000000, v34
	s_delay_alu instid0(VALU_DEP_1)
	v_or3_b32 v19, v19, v34, v33
.LBB436_706:                            ;   in Loop: Header=BB436_13 Depth=1
	s_or_b32 exec_lo, exec_lo, s23
.LBB436_707:                            ;   in Loop: Header=BB436_13 Depth=1
	s_delay_alu instid0(SALU_CYCLE_1)
	s_or_b32 exec_lo, exec_lo, s22
.LBB436_708:                            ;   in Loop: Header=BB436_13 Depth=1
	s_delay_alu instid0(SALU_CYCLE_1) | instskip(NEXT) | instid1(VALU_DEP_1)
	s_or_b32 exec_lo, exec_lo, s21
	v_mul_f32_e32 v19, v58, v19
                                        ; implicit-def: $vgpr169
	s_delay_alu instid0(VALU_DEP_1) | instskip(NEXT) | instid1(VALU_DEP_1)
	v_and_b32_e32 v33, 0x7f800000, v19
	v_cmp_ne_u32_e64 s1, 0x7f800000, v33
	s_delay_alu instid0(VALU_DEP_1) | instskip(NEXT) | instid1(SALU_CYCLE_1)
	s_and_saveexec_b32 s21, s1
	s_xor_b32 s1, exec_lo, s21
; %bb.709:                              ;   in Loop: Header=BB436_13 Depth=1
	v_bfe_u32 v33, v19, 16, 1
	s_delay_alu instid0(VALU_DEP_1)
	v_add3_u32 v169, v19, v33, 0x7fff
                                        ; implicit-def: $vgpr19
; %bb.710:                              ;   in Loop: Header=BB436_13 Depth=1
	s_and_not1_saveexec_b32 s21, s1
; %bb.711:                              ;   in Loop: Header=BB436_13 Depth=1
	v_and_b32_e32 v33, 0xffff, v19
	v_or_b32_e32 v34, 0x10000, v19
	s_delay_alu instid0(VALU_DEP_2) | instskip(NEXT) | instid1(VALU_DEP_1)
	v_cmp_eq_u32_e64 s1, 0, v33
	v_cndmask_b32_e64 v169, v34, v19, s1
; %bb.712:                              ;   in Loop: Header=BB436_13 Depth=1
	s_or_b32 exec_lo, exec_lo, s21
	v_lshrrev_b32_e32 v33, 16, v31
	s_mov_b32 s21, exec_lo
	s_delay_alu instid0(VALU_DEP_1) | instskip(NEXT) | instid1(VALU_DEP_1)
	v_dual_mov_b32 v19, 0 :: v_dual_and_b32 v34, 0xff, v33
	v_cmpx_ne_u16_e32 0, v34
	s_cbranch_execz .LBB436_720
; %bb.713:                              ;   in Loop: Header=BB436_13 Depth=1
	v_bfrev_b32_e32 v19, 1
	s_mov_b32 s22, exec_lo
	v_cmpx_ne_u16_e32 0x80, v34
	s_cbranch_execz .LBB436_719
; %bb.714:                              ;   in Loop: Header=BB436_13 Depth=1
	v_bfe_u32 v170, v31, 16, 7
	v_mov_b32_e32 v19, 0x7f800001
	s_mov_b32 s23, exec_lo
	s_delay_alu instid0(VALU_DEP_2)
	v_cmpx_ne_u32_e32 0x7f, v170
	s_cbranch_execz .LBB436_718
; %bb.715:                              ;   in Loop: Header=BB436_13 Depth=1
	v_and_b32_e32 v19, 7, v33
	v_lshrrev_b32_e32 v34, 3, v170
	s_mov_b32 s24, exec_lo
	v_cmpx_gt_u32_e32 8, v170
; %bb.716:                              ;   in Loop: Header=BB436_13 Depth=1
	s_delay_alu instid0(VALU_DEP_3) | instskip(NEXT) | instid1(VALU_DEP_1)
	v_clz_i32_u32_e32 v34, v19
	v_min_u32_e32 v34, 32, v34
	s_delay_alu instid0(VALU_DEP_1) | instskip(SKIP_1) | instid1(VALU_DEP_2)
	v_subrev_nc_u32_e32 v170, 28, v34
	v_sub_nc_u32_e32 v34, 29, v34
	v_lshlrev_b64 v[170:171], v170, v[19:20]
	s_delay_alu instid0(VALU_DEP_1)
	v_and_b32_e32 v19, 7, v170
; %bb.717:                              ;   in Loop: Header=BB436_13 Depth=1
	s_or_b32 exec_lo, exec_lo, s24
	v_lshlrev_b32_e32 v33, 24, v33
	s_delay_alu instid0(VALU_DEP_2) | instskip(SKIP_1) | instid1(VALU_DEP_3)
	v_lshlrev_b32_e32 v19, 20, v19
	v_lshl_add_u32 v34, v34, 23, 0x3c000000
	v_and_b32_e32 v33, 0x80000000, v33
	s_delay_alu instid0(VALU_DEP_1)
	v_or3_b32 v19, v19, v33, v34
.LBB436_718:                            ;   in Loop: Header=BB436_13 Depth=1
	s_or_b32 exec_lo, exec_lo, s23
.LBB436_719:                            ;   in Loop: Header=BB436_13 Depth=1
	s_delay_alu instid0(SALU_CYCLE_1)
	s_or_b32 exec_lo, exec_lo, s22
.LBB436_720:                            ;   in Loop: Header=BB436_13 Depth=1
	s_delay_alu instid0(SALU_CYCLE_1) | instskip(NEXT) | instid1(VALU_DEP_1)
	s_or_b32 exec_lo, exec_lo, s21
	v_mul_f32_e32 v19, v58, v19
                                        ; implicit-def: $vgpr170
	s_delay_alu instid0(VALU_DEP_1) | instskip(NEXT) | instid1(VALU_DEP_1)
	v_and_b32_e32 v33, 0x7f800000, v19
	v_cmp_ne_u32_e64 s1, 0x7f800000, v33
	s_delay_alu instid0(VALU_DEP_1) | instskip(NEXT) | instid1(SALU_CYCLE_1)
	s_and_saveexec_b32 s21, s1
	s_xor_b32 s1, exec_lo, s21
; %bb.721:                              ;   in Loop: Header=BB436_13 Depth=1
	v_bfe_u32 v33, v19, 16, 1
	s_delay_alu instid0(VALU_DEP_1)
	v_add3_u32 v170, v19, v33, 0x7fff
                                        ; implicit-def: $vgpr19
; %bb.722:                              ;   in Loop: Header=BB436_13 Depth=1
	s_and_not1_saveexec_b32 s21, s1
; %bb.723:                              ;   in Loop: Header=BB436_13 Depth=1
	v_and_b32_e32 v33, 0xffff, v19
	v_or_b32_e32 v34, 0x10000, v19
	s_delay_alu instid0(VALU_DEP_2) | instskip(NEXT) | instid1(VALU_DEP_1)
	v_cmp_eq_u32_e64 s1, 0, v33
	v_cndmask_b32_e64 v170, v34, v19, s1
; %bb.724:                              ;   in Loop: Header=BB436_13 Depth=1
	s_or_b32 exec_lo, exec_lo, s21
	v_mov_b32_e32 v19, 0
	s_mov_b32 s21, exec_lo
	v_cmpx_lt_u32_e32 0xffffff, v31
	s_cbranch_execz .LBB436_732
; %bb.725:                              ;   in Loop: Header=BB436_13 Depth=1
	v_lshrrev_b32_e32 v33, 24, v31
	v_bfrev_b32_e32 v19, 1
	s_mov_b32 s22, exec_lo
	s_delay_alu instid0(VALU_DEP_2)
	v_cmpx_ne_u32_e32 0x80, v33
	s_cbranch_execz .LBB436_731
; %bb.726:                              ;   in Loop: Header=BB436_13 Depth=1
	v_bfe_u32 v171, v31, 24, 7
	v_mov_b32_e32 v19, 0x7f800001
	s_mov_b32 s23, exec_lo
	s_delay_alu instid0(VALU_DEP_2)
	v_cmpx_ne_u32_e32 0x7f, v171
	s_cbranch_execz .LBB436_730
; %bb.727:                              ;   in Loop: Header=BB436_13 Depth=1
	v_and_b32_e32 v19, 7, v33
	v_lshrrev_b32_e32 v34, 3, v171
	s_mov_b32 s24, exec_lo
	v_cmpx_gt_u32_e32 8, v171
; %bb.728:                              ;   in Loop: Header=BB436_13 Depth=1
	s_delay_alu instid0(VALU_DEP_3) | instskip(NEXT) | instid1(VALU_DEP_1)
	v_clz_i32_u32_e32 v34, v19
	v_min_u32_e32 v34, 32, v34
	s_delay_alu instid0(VALU_DEP_1) | instskip(SKIP_1) | instid1(VALU_DEP_2)
	v_subrev_nc_u32_e32 v171, 28, v34
	v_sub_nc_u32_e32 v34, 29, v34
	v_lshlrev_b64 v[171:172], v171, v[19:20]
	s_delay_alu instid0(VALU_DEP_1)
	v_and_b32_e32 v19, 7, v171
; %bb.729:                              ;   in Loop: Header=BB436_13 Depth=1
	s_or_b32 exec_lo, exec_lo, s24
	v_lshlrev_b32_e32 v33, 24, v33
	s_delay_alu instid0(VALU_DEP_2) | instskip(SKIP_1) | instid1(VALU_DEP_3)
	v_lshlrev_b32_e32 v19, 20, v19
	v_lshl_add_u32 v34, v34, 23, 0x3c000000
	v_and_b32_e32 v33, 0x80000000, v33
	s_delay_alu instid0(VALU_DEP_1)
	v_or3_b32 v19, v19, v33, v34
.LBB436_730:                            ;   in Loop: Header=BB436_13 Depth=1
	s_or_b32 exec_lo, exec_lo, s23
.LBB436_731:                            ;   in Loop: Header=BB436_13 Depth=1
	s_delay_alu instid0(SALU_CYCLE_1)
	s_or_b32 exec_lo, exec_lo, s22
.LBB436_732:                            ;   in Loop: Header=BB436_13 Depth=1
	s_delay_alu instid0(SALU_CYCLE_1) | instskip(NEXT) | instid1(VALU_DEP_1)
	s_or_b32 exec_lo, exec_lo, s21
	v_mul_f32_e32 v19, v58, v19
                                        ; implicit-def: $vgpr171
	s_delay_alu instid0(VALU_DEP_1) | instskip(NEXT) | instid1(VALU_DEP_1)
	v_and_b32_e32 v33, 0x7f800000, v19
	v_cmp_ne_u32_e64 s1, 0x7f800000, v33
	s_delay_alu instid0(VALU_DEP_1) | instskip(NEXT) | instid1(SALU_CYCLE_1)
	s_and_saveexec_b32 s21, s1
	s_xor_b32 s1, exec_lo, s21
; %bb.733:                              ;   in Loop: Header=BB436_13 Depth=1
	v_bfe_u32 v33, v19, 16, 1
	s_delay_alu instid0(VALU_DEP_1)
	v_add3_u32 v171, v19, v33, 0x7fff
                                        ; implicit-def: $vgpr19
; %bb.734:                              ;   in Loop: Header=BB436_13 Depth=1
	s_and_not1_saveexec_b32 s21, s1
; %bb.735:                              ;   in Loop: Header=BB436_13 Depth=1
	v_and_b32_e32 v33, 0xffff, v19
	v_or_b32_e32 v34, 0x10000, v19
	s_delay_alu instid0(VALU_DEP_2) | instskip(NEXT) | instid1(VALU_DEP_1)
	v_cmp_eq_u32_e64 s1, 0, v33
	v_cndmask_b32_e64 v171, v34, v19, s1
; %bb.736:                              ;   in Loop: Header=BB436_13 Depth=1
	s_or_b32 exec_lo, exec_lo, s21
	v_dual_mov_b32 v19, v32 :: v_dual_and_b32 v34, 0xff, v32
	v_mov_b32_e32 v33, 0
	s_mov_b32 s21, exec_lo
	s_delay_alu instid0(VALU_DEP_2)
	v_cmpx_ne_u16_e32 0, v34
	s_cbranch_execz .LBB436_744
; %bb.737:                              ;   in Loop: Header=BB436_13 Depth=1
	v_bfrev_b32_e32 v33, 1
	s_mov_b32 s22, exec_lo
	v_cmpx_ne_u16_e32 0x80, v34
	s_cbranch_execz .LBB436_743
; %bb.738:                              ;   in Loop: Header=BB436_13 Depth=1
	v_and_b32_e32 v34, 0x7f, v32
	v_mov_b32_e32 v33, 0x7f800001
	s_mov_b32 s23, exec_lo
	s_delay_alu instid0(VALU_DEP_2)
	v_cmpx_ne_u32_e32 0x7f, v34
	s_cbranch_execz .LBB436_742
; %bb.739:                              ;   in Loop: Header=BB436_13 Depth=1
	v_lshrrev_b32_e32 v172, 3, v34
	v_cmp_gt_u32_e64 s1, 8, v34
	v_dual_mov_b32 v34, v20 :: v_dual_mov_b32 v33, v19
	s_delay_alu instid0(VALU_DEP_2)
	s_and_saveexec_b32 s24, s1
; %bb.740:                              ;   in Loop: Header=BB436_13 Depth=1
	v_and_b32_e32 v33, 7, v32
	s_delay_alu instid0(VALU_DEP_1) | instskip(NEXT) | instid1(VALU_DEP_1)
	v_clz_i32_u32_e32 v33, v33
	v_min_u32_e32 v172, 32, v33
	s_delay_alu instid0(VALU_DEP_1) | instskip(SKIP_1) | instid1(VALU_DEP_2)
	v_subrev_nc_u32_e32 v33, 28, v172
	v_sub_nc_u32_e32 v172, 29, v172
	v_lshlrev_b64 v[33:34], v33, v[19:20]
; %bb.741:                              ;   in Loop: Header=BB436_13 Depth=1
	s_or_b32 exec_lo, exec_lo, s24
	s_delay_alu instid0(VALU_DEP_1) | instskip(SKIP_2) | instid1(VALU_DEP_3)
	v_lshlrev_b32_e32 v33, 20, v33
	v_lshlrev_b32_e32 v34, 24, v19
	v_lshl_add_u32 v172, v172, 23, 0x3c000000
	v_and_b32_e32 v33, 0x700000, v33
	s_delay_alu instid0(VALU_DEP_3) | instskip(NEXT) | instid1(VALU_DEP_1)
	v_and_b32_e32 v34, 0x80000000, v34
	v_or3_b32 v33, v33, v34, v172
.LBB436_742:                            ;   in Loop: Header=BB436_13 Depth=1
	s_or_b32 exec_lo, exec_lo, s23
.LBB436_743:                            ;   in Loop: Header=BB436_13 Depth=1
	s_delay_alu instid0(SALU_CYCLE_1)
	s_or_b32 exec_lo, exec_lo, s22
.LBB436_744:                            ;   in Loop: Header=BB436_13 Depth=1
	s_delay_alu instid0(SALU_CYCLE_1) | instskip(NEXT) | instid1(VALU_DEP_1)
	s_or_b32 exec_lo, exec_lo, s21
	v_mul_f32_e32 v33, v58, v33
                                        ; implicit-def: $vgpr172
	s_delay_alu instid0(VALU_DEP_1) | instskip(NEXT) | instid1(VALU_DEP_1)
	v_and_b32_e32 v34, 0x7f800000, v33
	v_cmp_ne_u32_e64 s1, 0x7f800000, v34
	s_delay_alu instid0(VALU_DEP_1) | instskip(NEXT) | instid1(SALU_CYCLE_1)
	s_and_saveexec_b32 s21, s1
	s_xor_b32 s1, exec_lo, s21
; %bb.745:                              ;   in Loop: Header=BB436_13 Depth=1
	v_bfe_u32 v34, v33, 16, 1
	s_delay_alu instid0(VALU_DEP_1)
	v_add3_u32 v172, v33, v34, 0x7fff
                                        ; implicit-def: $vgpr33
; %bb.746:                              ;   in Loop: Header=BB436_13 Depth=1
	s_and_not1_saveexec_b32 s21, s1
; %bb.747:                              ;   in Loop: Header=BB436_13 Depth=1
	v_and_b32_e32 v34, 0xffff, v33
	v_or_b32_e32 v172, 0x10000, v33
	s_delay_alu instid0(VALU_DEP_2) | instskip(NEXT) | instid1(VALU_DEP_1)
	v_cmp_eq_u32_e64 s1, 0, v34
	v_cndmask_b32_e64 v172, v172, v33, s1
; %bb.748:                              ;   in Loop: Header=BB436_13 Depth=1
	s_or_b32 exec_lo, exec_lo, s21
	v_lshrrev_b16 v34, 8, v19
	v_mov_b32_e32 v33, 0
	s_mov_b32 s21, exec_lo
	s_delay_alu instid0(VALU_DEP_2)
	v_cmpx_ne_u16_e32 0, v34
	s_cbranch_execz .LBB436_756
; %bb.749:                              ;   in Loop: Header=BB436_13 Depth=1
	v_bfrev_b32_e32 v33, 1
	s_mov_b32 s22, exec_lo
	v_cmpx_ne_u16_e32 0x80, v34
	s_cbranch_execz .LBB436_755
; %bb.750:                              ;   in Loop: Header=BB436_13 Depth=1
	v_and_b32_e32 v34, 0xffff, v34
	v_mov_b32_e32 v33, 0x7f800001
	s_mov_b32 s23, exec_lo
	s_delay_alu instid0(VALU_DEP_2) | instskip(NEXT) | instid1(VALU_DEP_1)
	v_and_b32_e32 v174, 0x7f, v34
	v_cmpx_ne_u32_e32 0x7f, v174
	s_cbranch_execz .LBB436_754
; %bb.751:                              ;   in Loop: Header=BB436_13 Depth=1
	v_dual_mov_b32 v34, v20 :: v_dual_and_b32 v33, 7, v34
	v_lshrrev_b32_e32 v173, 3, v174
	s_mov_b32 s24, exec_lo
	v_cmpx_gt_u32_e32 8, v174
; %bb.752:                              ;   in Loop: Header=BB436_13 Depth=1
	s_delay_alu instid0(VALU_DEP_3) | instskip(NEXT) | instid1(VALU_DEP_1)
	v_clz_i32_u32_e32 v173, v33
	v_min_u32_e32 v173, 32, v173
	s_delay_alu instid0(VALU_DEP_1) | instskip(SKIP_1) | instid1(VALU_DEP_2)
	v_subrev_nc_u32_e32 v174, 28, v173
	v_sub_nc_u32_e32 v173, 29, v173
	v_lshlrev_b64 v[33:34], v174, v[33:34]
	s_delay_alu instid0(VALU_DEP_1)
	v_and_b32_e32 v33, 7, v33
; %bb.753:                              ;   in Loop: Header=BB436_13 Depth=1
	s_or_b32 exec_lo, exec_lo, s24
	v_lshlrev_b32_e32 v19, 16, v19
	s_delay_alu instid0(VALU_DEP_2) | instskip(SKIP_1) | instid1(VALU_DEP_3)
	v_lshlrev_b32_e32 v33, 20, v33
	v_lshl_add_u32 v34, v173, 23, 0x3c000000
	v_and_b32_e32 v19, 0x80000000, v19
	s_delay_alu instid0(VALU_DEP_1)
	v_or3_b32 v33, v33, v19, v34
.LBB436_754:                            ;   in Loop: Header=BB436_13 Depth=1
	s_or_b32 exec_lo, exec_lo, s23
.LBB436_755:                            ;   in Loop: Header=BB436_13 Depth=1
	s_delay_alu instid0(SALU_CYCLE_1)
	s_or_b32 exec_lo, exec_lo, s22
.LBB436_756:                            ;   in Loop: Header=BB436_13 Depth=1
	s_delay_alu instid0(SALU_CYCLE_1) | instskip(NEXT) | instid1(VALU_DEP_1)
	s_or_b32 exec_lo, exec_lo, s21
	v_mul_f32_e32 v19, v58, v33
                                        ; implicit-def: $vgpr34
	s_delay_alu instid0(VALU_DEP_1) | instskip(NEXT) | instid1(VALU_DEP_1)
	v_and_b32_e32 v33, 0x7f800000, v19
	v_cmp_ne_u32_e64 s1, 0x7f800000, v33
	s_delay_alu instid0(VALU_DEP_1) | instskip(NEXT) | instid1(SALU_CYCLE_1)
	s_and_saveexec_b32 s21, s1
	s_xor_b32 s1, exec_lo, s21
; %bb.757:                              ;   in Loop: Header=BB436_13 Depth=1
	v_bfe_u32 v33, v19, 16, 1
	s_delay_alu instid0(VALU_DEP_1)
	v_add3_u32 v34, v19, v33, 0x7fff
                                        ; implicit-def: $vgpr19
; %bb.758:                              ;   in Loop: Header=BB436_13 Depth=1
	s_and_not1_saveexec_b32 s21, s1
; %bb.759:                              ;   in Loop: Header=BB436_13 Depth=1
	v_and_b32_e32 v33, 0xffff, v19
	v_or_b32_e32 v34, 0x10000, v19
	s_delay_alu instid0(VALU_DEP_2) | instskip(NEXT) | instid1(VALU_DEP_1)
	v_cmp_eq_u32_e64 s1, 0, v33
	v_cndmask_b32_e64 v34, v34, v19, s1
; %bb.760:                              ;   in Loop: Header=BB436_13 Depth=1
	s_or_b32 exec_lo, exec_lo, s21
	v_lshrrev_b32_e32 v33, 16, v32
	v_mov_b32_e32 v19, 0
	s_mov_b32 s21, exec_lo
	s_delay_alu instid0(VALU_DEP_2) | instskip(NEXT) | instid1(VALU_DEP_1)
	v_and_b32_e32 v173, 0xff, v33
	v_cmpx_ne_u16_e64 0, v173
	s_cbranch_execz .LBB436_768
; %bb.761:                              ;   in Loop: Header=BB436_13 Depth=1
	v_bfrev_b32_e32 v19, 1
	s_mov_b32 s22, exec_lo
	v_cmpx_ne_u16_e64 0x80, v173
	s_cbranch_execz .LBB436_767
; %bb.762:                              ;   in Loop: Header=BB436_13 Depth=1
	v_bfe_u32 v174, v32, 16, 7
	v_mov_b32_e32 v19, 0x7f800001
	s_mov_b32 s23, exec_lo
	s_delay_alu instid0(VALU_DEP_2)
	v_cmpx_ne_u32_e32 0x7f, v174
	s_cbranch_execz .LBB436_766
; %bb.763:                              ;   in Loop: Header=BB436_13 Depth=1
	v_and_b32_e32 v19, 7, v33
	v_lshrrev_b32_e32 v173, 3, v174
	s_mov_b32 s24, exec_lo
	v_cmpx_gt_u32_e32 8, v174
; %bb.764:                              ;   in Loop: Header=BB436_13 Depth=1
	s_delay_alu instid0(VALU_DEP_3) | instskip(NEXT) | instid1(VALU_DEP_1)
	v_clz_i32_u32_e32 v173, v19
	v_min_u32_e32 v173, 32, v173
	s_delay_alu instid0(VALU_DEP_1) | instskip(SKIP_1) | instid1(VALU_DEP_2)
	v_subrev_nc_u32_e32 v174, 28, v173
	v_sub_nc_u32_e32 v173, 29, v173
	v_lshlrev_b64 v[174:175], v174, v[19:20]
	s_delay_alu instid0(VALU_DEP_1)
	v_and_b32_e32 v19, 7, v174
; %bb.765:                              ;   in Loop: Header=BB436_13 Depth=1
	s_or_b32 exec_lo, exec_lo, s24
	v_lshlrev_b32_e32 v33, 24, v33
	s_delay_alu instid0(VALU_DEP_2) | instskip(SKIP_1) | instid1(VALU_DEP_3)
	v_lshlrev_b32_e32 v19, 20, v19
	v_lshl_add_u32 v173, v173, 23, 0x3c000000
	v_and_b32_e32 v33, 0x80000000, v33
	s_delay_alu instid0(VALU_DEP_1)
	v_or3_b32 v19, v19, v33, v173
.LBB436_766:                            ;   in Loop: Header=BB436_13 Depth=1
	s_or_b32 exec_lo, exec_lo, s23
.LBB436_767:                            ;   in Loop: Header=BB436_13 Depth=1
	s_delay_alu instid0(SALU_CYCLE_1)
	s_or_b32 exec_lo, exec_lo, s22
.LBB436_768:                            ;   in Loop: Header=BB436_13 Depth=1
	s_delay_alu instid0(SALU_CYCLE_1) | instskip(NEXT) | instid1(VALU_DEP_1)
	s_or_b32 exec_lo, exec_lo, s21
	v_mul_f32_e32 v19, v58, v19
	s_delay_alu instid0(VALU_DEP_1) | instskip(NEXT) | instid1(VALU_DEP_1)
	v_and_b32_e32 v33, 0x7f800000, v19
	v_cmp_ne_u32_e64 s1, 0x7f800000, v33
                                        ; implicit-def: $vgpr33
	s_delay_alu instid0(VALU_DEP_1) | instskip(NEXT) | instid1(SALU_CYCLE_1)
	s_and_saveexec_b32 s21, s1
	s_xor_b32 s1, exec_lo, s21
; %bb.769:                              ;   in Loop: Header=BB436_13 Depth=1
	v_bfe_u32 v33, v19, 16, 1
	s_delay_alu instid0(VALU_DEP_1)
	v_add3_u32 v33, v19, v33, 0x7fff
                                        ; implicit-def: $vgpr19
; %bb.770:                              ;   in Loop: Header=BB436_13 Depth=1
	s_and_not1_saveexec_b32 s21, s1
; %bb.771:                              ;   in Loop: Header=BB436_13 Depth=1
	v_and_b32_e32 v33, 0xffff, v19
	v_or_b32_e32 v173, 0x10000, v19
	s_delay_alu instid0(VALU_DEP_2) | instskip(NEXT) | instid1(VALU_DEP_1)
	v_cmp_eq_u32_e64 s1, 0, v33
	v_cndmask_b32_e64 v33, v173, v19, s1
; %bb.772:                              ;   in Loop: Header=BB436_13 Depth=1
	s_or_b32 exec_lo, exec_lo, s21
	v_mov_b32_e32 v19, 0
	s_mov_b32 s21, exec_lo
	v_cmpx_lt_u64_e64 s[16:17], v[31:32]
	s_cbranch_execz .LBB436_780
; %bb.773:                              ;   in Loop: Header=BB436_13 Depth=1
	v_lshrrev_b32_e32 v31, 24, v32
	v_bfrev_b32_e32 v19, 1
	s_mov_b32 s22, exec_lo
	s_delay_alu instid0(VALU_DEP_2)
	v_cmpx_ne_u32_e32 0x80, v31
	s_cbranch_execz .LBB436_779
; %bb.774:                              ;   in Loop: Header=BB436_13 Depth=1
	v_bfe_u32 v173, v32, 24, 7
	v_mov_b32_e32 v19, 0x7f800001
	s_mov_b32 s23, exec_lo
	s_delay_alu instid0(VALU_DEP_2)
	v_cmpx_ne_u32_e32 0x7f, v173
	s_cbranch_execz .LBB436_778
; %bb.775:                              ;   in Loop: Header=BB436_13 Depth=1
	v_and_b32_e32 v19, 7, v31
	v_lshrrev_b32_e32 v32, 3, v173
	s_mov_b32 s24, exec_lo
	v_cmpx_gt_u32_e32 8, v173
; %bb.776:                              ;   in Loop: Header=BB436_13 Depth=1
	s_delay_alu instid0(VALU_DEP_3) | instskip(NEXT) | instid1(VALU_DEP_1)
	v_clz_i32_u32_e32 v32, v19
	v_min_u32_e32 v32, 32, v32
	s_delay_alu instid0(VALU_DEP_1) | instskip(SKIP_1) | instid1(VALU_DEP_2)
	v_subrev_nc_u32_e32 v173, 28, v32
	v_sub_nc_u32_e32 v32, 29, v32
	v_lshlrev_b64 v[173:174], v173, v[19:20]
	s_delay_alu instid0(VALU_DEP_1)
	v_and_b32_e32 v19, 7, v173
; %bb.777:                              ;   in Loop: Header=BB436_13 Depth=1
	s_or_b32 exec_lo, exec_lo, s24
	v_lshlrev_b32_e32 v31, 24, v31
	s_delay_alu instid0(VALU_DEP_2) | instskip(SKIP_1) | instid1(VALU_DEP_3)
	v_lshlrev_b32_e32 v19, 20, v19
	v_lshl_add_u32 v32, v32, 23, 0x3c000000
	v_and_b32_e32 v31, 0x80000000, v31
	s_delay_alu instid0(VALU_DEP_1)
	v_or3_b32 v19, v19, v31, v32
.LBB436_778:                            ;   in Loop: Header=BB436_13 Depth=1
	s_or_b32 exec_lo, exec_lo, s23
.LBB436_779:                            ;   in Loop: Header=BB436_13 Depth=1
	s_delay_alu instid0(SALU_CYCLE_1)
	s_or_b32 exec_lo, exec_lo, s22
.LBB436_780:                            ;   in Loop: Header=BB436_13 Depth=1
	s_delay_alu instid0(SALU_CYCLE_1) | instskip(NEXT) | instid1(VALU_DEP_1)
	s_or_b32 exec_lo, exec_lo, s21
	v_mul_f32_e32 v31, v58, v19
	s_delay_alu instid0(VALU_DEP_1) | instskip(NEXT) | instid1(VALU_DEP_1)
	v_and_b32_e32 v19, 0x7f800000, v31
	v_cmp_ne_u32_e64 s1, 0x7f800000, v19
                                        ; implicit-def: $vgpr19
	s_delay_alu instid0(VALU_DEP_1) | instskip(NEXT) | instid1(SALU_CYCLE_1)
	s_and_saveexec_b32 s21, s1
	s_xor_b32 s1, exec_lo, s21
; %bb.781:                              ;   in Loop: Header=BB436_13 Depth=1
	v_bfe_u32 v19, v31, 16, 1
	s_delay_alu instid0(VALU_DEP_1)
	v_add3_u32 v19, v31, v19, 0x7fff
                                        ; implicit-def: $vgpr31
; %bb.782:                              ;   in Loop: Header=BB436_13 Depth=1
	s_and_not1_saveexec_b32 s21, s1
	s_cbranch_execz .LBB436_11
; %bb.783:                              ;   in Loop: Header=BB436_13 Depth=1
	v_and_b32_e32 v19, 0xffff, v31
	v_or_b32_e32 v32, 0x10000, v31
	s_delay_alu instid0(VALU_DEP_2) | instskip(NEXT) | instid1(VALU_DEP_1)
	v_cmp_eq_u32_e64 s1, 0, v19
	v_cndmask_b32_e64 v19, v32, v31, s1
	s_branch .LBB436_11
.LBB436_784:
	s_or_b32 exec_lo, exec_lo, s20
.LBB436_785:
	s_delay_alu instid0(SALU_CYCLE_1) | instskip(SKIP_4) | instid1(VALU_DEP_2)
	s_or_b32 exec_lo, exec_lo, s19
	v_mbcnt_lo_u32_b32 v8, -1, 0
	s_waitcnt lgkmcnt(0)
	s_lshr_b32 s8, s15, 16
	v_max_f32_e32 v20, v166, v166
	v_xor_b32_e32 v9, 16, v8
	v_xor_b32_e32 v19, 8, v8
	;; [unrolled: 1-line block ×3, first 2 shown]
	s_delay_alu instid0(VALU_DEP_3) | instskip(SKIP_1) | instid1(VALU_DEP_4)
	v_cmp_gt_i32_e32 vcc_lo, 32, v9
	v_cndmask_b32_e32 v9, v8, v9, vcc_lo
	v_cmp_gt_i32_e32 vcc_lo, 32, v19
	s_delay_alu instid0(VALU_DEP_2) | instskip(SKIP_4) | instid1(VALU_DEP_1)
	v_lshlrev_b32_e32 v13, 2, v9
	v_cndmask_b32_e32 v19, v8, v19, vcc_lo
	ds_bpermute_b32 v9, v13, v166
	s_waitcnt lgkmcnt(0)
	v_max_f32_e32 v9, v9, v9
	v_max_f32_e32 v9, v20, v9
	v_xor_b32_e32 v20, 4, v8
	s_delay_alu instid0(VALU_DEP_1) | instskip(SKIP_1) | instid1(VALU_DEP_1)
	v_cmp_gt_i32_e32 vcc_lo, 32, v20
	v_cndmask_b32_e32 v20, v8, v20, vcc_lo
	v_lshlrev_b32_e32 v25, 2, v20
	v_xor_b32_e32 v20, 2, v8
	s_delay_alu instid0(VALU_DEP_1) | instskip(SKIP_2) | instid1(VALU_DEP_2)
	v_cmp_gt_i32_e32 vcc_lo, 32, v20
	v_cndmask_b32_e32 v20, v8, v20, vcc_lo
	v_cmp_gt_i32_e32 vcc_lo, 32, v28
	v_lshlrev_b32_e32 v20, 2, v20
	v_lshlrev_b32_e32 v24, 2, v19
	v_cndmask_b32_e32 v28, v8, v28, vcc_lo
	v_cmp_eq_u32_e32 vcc_lo, 0, v49
	ds_bpermute_b32 v19, v24, v9
	s_waitcnt lgkmcnt(0)
	v_max_f32_e32 v19, v19, v19
	s_delay_alu instid0(VALU_DEP_1) | instskip(SKIP_3) | instid1(VALU_DEP_1)
	v_max_f32_e32 v9, v9, v19
	ds_bpermute_b32 v19, v25, v9
	s_waitcnt lgkmcnt(0)
	v_max_f32_e32 v19, v19, v19
	v_max_f32_e32 v9, v9, v19
	ds_bpermute_b32 v19, v20, v9
	s_waitcnt lgkmcnt(0)
	v_max_f32_e32 v19, v19, v19
	s_delay_alu instid0(VALU_DEP_1)
	v_dual_max_f32 v8, v9, v19 :: v_dual_lshlrev_b32 v19, 2, v28
	v_lshlrev_b32_e32 v28, 2, v48
	ds_bpermute_b32 v9, v19, v8
	s_and_saveexec_b32 s1, vcc_lo
	s_cbranch_execz .LBB436_787
; %bb.786:
	s_waitcnt lgkmcnt(0)
	v_dual_max_f32 v9, v9, v9 :: v_dual_max_f32 v8, v8, v8
	s_delay_alu instid0(VALU_DEP_1)
	v_max_f32_e32 v8, v8, v9
	ds_store_b32 v28, v8 offset:128
.LBB436_787:
	s_or_b32 exec_lo, exec_lo, s1
	v_cmp_gt_u32_e64 s1, 4, v49
	v_mov_b32_e32 v8, 0xff7fffff
	s_waitcnt lgkmcnt(0)
	s_barrier
	buffer_gl0_inv
	s_and_saveexec_b32 s2, s1
	s_cbranch_execz .LBB436_789
; %bb.788:
	ds_load_b32 v8, v65 offset:128
.LBB436_789:
	s_or_b32 exec_lo, exec_lo, s2
	s_waitcnt lgkmcnt(0)
	ds_bpermute_b32 v9, v20, v8
	v_max_f32_e32 v8, v8, v8
	v_subrev_nc_u32_e32 v31, s13, v51
	v_mov_b32_e32 v29, 0
	s_waitcnt lgkmcnt(0)
	v_max_f32_e32 v9, v9, v9
	s_delay_alu instid0(VALU_DEP_1) | instskip(SKIP_3) | instid1(VALU_DEP_1)
	v_max_f32_e32 v8, v8, v9
	ds_bpermute_b32 v9, v19, v8
	s_waitcnt lgkmcnt(0)
	v_max_f32_e32 v9, v9, v9
	v_max_f32_e32 v8, v8, v9
	v_lshl_add_u32 v9, v31, 5, s3
	ds_bpermute_b32 v8, v29, v8
	v_min_i32_e32 v9, v9, v38
	s_delay_alu instid0(VALU_DEP_1) | instskip(NEXT) | instid1(VALU_DEP_1)
	v_subrev_nc_u32_e32 v9, s3, v9
	v_cmp_lt_i32_e64 s2, v37, v9
	s_delay_alu instid0(VALU_DEP_1)
	s_and_saveexec_b32 s9, s2
	s_cbranch_execz .LBB436_793
; %bb.790:
	s_getpc_b64 s[16:17]
	s_add_u32 s16, s16, llvm.amdgcn.dynlds.offset.table@rel32@lo+4
	s_addc_u32 s17, s17, llvm.amdgcn.dynlds.offset.table@rel32@hi+12
	s_ashr_i32 s11, s10, 31
	v_dual_mov_b32 v29, 0 :: v_dual_mov_b32 v32, v37
	s_lshl_b64 s[20:21], s[10:11], 2
	s_mov_b32 s11, 0
	s_add_u32 s16, s20, s16
	s_addc_u32 s17, s21, s17
	s_load_b32 s3, s[16:17], 0x0
	s_waitcnt lgkmcnt(0)
	v_lshl_add_u32 v31, v37, 2, s3
	.p2align	6
.LBB436_791:                            ; =>This Inner Loop Header: Depth=1
	ds_load_b32 v33, v31
	s_waitcnt lgkmcnt(0)
	v_sub_f32_e32 v33, v33, v8
	s_delay_alu instid0(VALU_DEP_1) | instskip(NEXT) | instid1(VALU_DEP_1)
	v_mul_f32_e32 v33, 0x3fb8aa3b, v33
	v_exp_f32_e32 v33, v33
	s_waitcnt_depctr 0xfff
	v_dual_add_f32 v29, v29, v33 :: v_dual_add_nc_u32 v32, 0x80, v32
	s_delay_alu instid0(VALU_DEP_1) | instskip(SKIP_3) | instid1(SALU_CYCLE_1)
	v_cmp_ge_i32_e64 s3, v32, v9
	ds_store_b32 v31, v33
	v_add_nc_u32_e32 v31, 0x200, v31
	s_or_b32 s11, s3, s11
	s_and_not1_b32 exec_lo, exec_lo, s11
	s_cbranch_execnz .LBB436_791
; %bb.792:
	s_or_b32 exec_lo, exec_lo, s11
.LBB436_793:
	s_delay_alu instid0(SALU_CYCLE_1)
	s_or_b32 exec_lo, exec_lo, s9
	ds_bpermute_b32 v13, v13, v29
	s_waitcnt lgkmcnt(0)
	v_add_f32_e32 v13, v29, v13
	ds_bpermute_b32 v24, v24, v13
	s_waitcnt lgkmcnt(0)
	v_add_f32_e32 v13, v13, v24
	;; [unrolled: 3-line block ×5, first 2 shown]
	s_and_saveexec_b32 s3, vcc_lo
	s_cbranch_execz .LBB436_795
; %bb.794:
	ds_store_b32 v28, v13 offset:144
.LBB436_795:
	s_or_b32 exec_lo, exec_lo, s3
	s_waitcnt lgkmcnt(0)
	s_barrier
	buffer_gl0_inv
	s_and_saveexec_b32 s3, s1
	s_cbranch_execz .LBB436_797
; %bb.796:
	ds_load_b32 v13, v65 offset:144
.LBB436_797:
	s_or_b32 exec_lo, exec_lo, s3
	s_waitcnt lgkmcnt(0)
	ds_bpermute_b32 v24, v20, v13
	s_waitcnt lgkmcnt(0)
	v_add_f32_e32 v13, v13, v24
	ds_bpermute_b32 v24, v19, v13
	s_waitcnt lgkmcnt(0)
	v_dual_add_f32 v13, v13, v24 :: v_dual_mov_b32 v24, 0
	ds_bpermute_b32 v13, v24, v13
	s_and_saveexec_b32 s1, s2
	s_cbranch_execz .LBB436_800
; %bb.798:
	s_waitcnt lgkmcnt(0)
	v_add_f32_e32 v25, 0x358637bd, v13
	s_getpc_b64 s[2:3]
	s_add_u32 s2, s2, llvm.amdgcn.dynlds.offset.table@rel32@lo+4
	s_addc_u32 s3, s3, llvm.amdgcn.dynlds.offset.table@rel32@hi+12
	s_ashr_i32 s11, s10, 31
	s_delay_alu instid0(SALU_CYCLE_1) | instskip(SKIP_4) | instid1(VALU_DEP_1)
	s_lshl_b64 s[16:17], s[10:11], 2
	v_div_scale_f32 v24, null, v25, v25, 1.0
	s_add_u32 s2, s16, s2
	s_addc_u32 s3, s17, s3
	s_load_b32 s2, s[2:3], 0x0
	v_rcp_f32_e32 v28, v24
	s_waitcnt_depctr 0xfff
	v_fma_f32 v29, -v24, v28, 1.0
	s_delay_alu instid0(VALU_DEP_1) | instskip(SKIP_1) | instid1(VALU_DEP_1)
	v_fmac_f32_e32 v28, v29, v28
	v_div_scale_f32 v31, vcc_lo, 1.0, v25, 1.0
	v_mul_f32_e32 v29, v31, v28
	s_delay_alu instid0(VALU_DEP_1) | instskip(NEXT) | instid1(VALU_DEP_1)
	v_fma_f32 v32, -v24, v29, v31
	v_fmac_f32_e32 v29, v32, v28
	s_delay_alu instid0(VALU_DEP_1) | instskip(NEXT) | instid1(VALU_DEP_1)
	v_fma_f32 v24, -v24, v29, v31
	v_div_fmas_f32 v28, v24, v28, v29
	s_waitcnt lgkmcnt(0)
	v_lshl_add_u32 v24, v37, 2, s2
	s_mov_b32 s2, 0
	s_delay_alu instid0(VALU_DEP_2)
	v_div_fixup_f32 v25, v28, v25, 1.0
	v_mov_b32_e32 v28, v37
.LBB436_799:                            ; =>This Inner Loop Header: Depth=1
	ds_load_b32 v29, v24
	s_waitcnt lgkmcnt(0)
	v_dual_mul_f32 v29, v25, v29 :: v_dual_add_nc_u32 v28, 0x80, v28
	s_delay_alu instid0(VALU_DEP_1) | instskip(SKIP_3) | instid1(SALU_CYCLE_1)
	v_cmp_ge_i32_e32 vcc_lo, v28, v9
	ds_store_b32 v24, v29
	v_add_nc_u32_e32 v24, 0x200, v24
	s_or_b32 s2, vcc_lo, s2
	s_and_not1_b32 exec_lo, exec_lo, s2
	s_cbranch_execnz .LBB436_799
.LBB436_800:
	s_or_b32 exec_lo, exec_lo, s1
	v_cmp_ne_u16_e64 s1, s8, 0
	s_mov_b32 s2, exec_lo
	s_waitcnt lgkmcnt(0)
	s_barrier
	buffer_gl0_inv
	s_cmp_lg_u32 s1, 0
	s_addc_u32 s1, s7, 0
	v_cmpx_eq_u32_e32 0, v37
	s_cbranch_execz .LBB436_802
; %bb.801:
	s_mul_i32 s3, s1, s4
	s_mul_i32 s8, s1, s12
	;; [unrolled: 1-line block ×3, first 2 shown]
	s_ashr_i32 s9, s8, 31
	s_ashr_i32 s15, s14, 31
	;; [unrolled: 1-line block ×3, first 2 shown]
	s_lshl_b64 s[8:9], s[8:9], 2
	s_lshl_b64 s[16:17], s[14:15], 2
	;; [unrolled: 1-line block ×3, first 2 shown]
	s_add_u32 s3, s16, s8
	s_addc_u32 s7, s17, s9
	s_add_u32 s3, s3, s12
	s_addc_u32 s7, s7, s13
	v_add_co_u32 v2, vcc_lo, s3, v2
	v_add_co_ci_u32_e32 v3, vcc_lo, s7, v3, vcc_lo
	v_add_co_u32 v0, vcc_lo, s3, v0
	v_add_co_ci_u32_e32 v1, vcc_lo, s7, v1, vcc_lo
	flat_store_b32 v[2:3], v8
	flat_store_b32 v[0:1], v13
.LBB436_802:
	s_or_b32 exec_lo, exec_lo, s2
	s_getpc_b64 s[2:3]
	s_add_u32 s2, s2, llvm.amdgcn.dynlds.offset.table@rel32@lo+4
	s_addc_u32 s3, s3, llvm.amdgcn.dynlds.offset.table@rel32@hi+12
	s_ashr_i32 s11, s10, 31
	v_dual_mov_b32 v35, 0 :: v_dual_and_b32 v24, 3, v37
	s_lshl_b64 s[8:9], s[10:11], 2
	v_dual_mov_b32 v25, 0 :: v_dual_mov_b32 v28, 0
	s_add_u32 s2, s8, s2
	s_addc_u32 s3, s9, s3
	v_dual_mov_b32 v31, 0 :: v_dual_mov_b32 v32, 0
	s_load_b32 s11, s[2:3], 0x0
	v_dual_mov_b32 v33, 0 :: v_dual_mov_b32 v34, 0
	v_mov_b32_e32 v29, 0
	s_mov_b32 s10, 0
	s_waitcnt lgkmcnt(0)
	v_mov_b32_e32 v9, s11
	s_and_saveexec_b32 s7, s0
	s_cbranch_execz .LBB436_1880
; %bb.803:
	v_max_i32_e32 v30, v30, v54
	v_add_co_u32 v8, vcc_lo, v10, v12
	v_add_co_ci_u32_e32 v9, vcc_lo, v11, v55, vcc_lo
	s_delay_alu instid0(VALU_DEP_3) | instskip(SKIP_3) | instid1(VALU_DEP_4)
	v_cvt_f32_u32_e32 v0, v30
	v_sub_nc_u32_e32 v12, 0, v30
	v_dual_mov_b32 v10, 0 :: v_dual_lshlrev_b32 v11, 5, v24
	v_dual_mov_b32 v29, 0 :: v_dual_add_nc_u32 v36, -1, v53
	v_rcp_iflag_f32_e32 v3, v0
	v_lshlrev_b32_e32 v2, 3, v37
	v_lshlrev_b64 v[0:1], 2, v[17:18]
	v_lshl_or_b32 v13, v48, 7, v11
	v_dual_mov_b32 v34, 0 :: v_dual_mov_b32 v33, 0
	v_dual_mov_b32 v32, 0 :: v_dual_mov_b32 v31, 0
	s_delay_alu instid0(VALU_DEP_4) | instskip(NEXT) | instid1(TRANS32_DEP_1)
	v_add_co_u32 v0, vcc_lo, v6, v0
	v_dual_mul_f32 v3, 0x4f7ffffe, v3 :: v_dual_and_b32 v18, 24, v2
	v_dual_mov_b32 v35, 0 :: v_dual_and_b32 v2, 0xf8, v2
	v_add_co_ci_u32_e32 v1, vcc_lo, v7, v1, vcc_lo
	s_delay_alu instid0(VALU_DEP_3) | instskip(SKIP_1) | instid1(VALU_DEP_4)
	v_cvt_u32_f32_e32 v3, v3
	v_add_nc_u32_e32 v53, s11, v13
	v_add_co_u32 v11, vcc_lo, v8, v2
	v_dual_mov_b32 v28, 0 :: v_dual_mov_b32 v25, 0
	s_delay_alu instid0(VALU_DEP_4) | instskip(SKIP_2) | instid1(VALU_DEP_1)
	v_mul_lo_u32 v12, v12, v3
	s_mov_b32 s8, -1
	s_mov_b32 s9, 0xffffff
	v_mul_hi_u32 v6, v3, v12
	v_add_co_ci_u32_e32 v12, vcc_lo, 0, v9, vcc_lo
	v_add_co_u32 v13, vcc_lo, v14, v0
	v_add_co_ci_u32_e32 v14, vcc_lo, v15, v1, vcc_lo
	s_delay_alu instid0(VALU_DEP_4)
	v_add_nc_u32_e32 v15, v3, v6
	s_branch .LBB436_806
.LBB436_804:                            ;   in Loop: Header=BB436_806 Depth=1
	s_or_b32 exec_lo, exec_lo, s0
	v_and_b32_e32 v82, 0xffff0000, v41
	v_and_b32_e32 v83, 0xffff0000, v40
	;; [unrolled: 1-line block ×6, first 2 shown]
	v_add_f32_e32 v82, v83, v82
	v_and_b32_e32 v81, 0xffff0000, v182
	v_and_b32_e32 v6, 0xffff0000, v6
	;; [unrolled: 1-line block ×5, first 2 shown]
	s_delay_alu instid0(VALU_DEP_4)
	v_dual_add_f32 v6, v6, v7 :: v_dual_and_b32 v1, 0xffff0000, v1
	v_add_f32_e32 v7, v81, v80
	v_and_b32_e32 v0, 0xffff0000, v0
	v_and_b32_e32 v2, 0xffff0000, v2
	;; [unrolled: 1-line block ×4, first 2 shown]
	v_add_f32_e32 v6, v6, v7
	v_dual_add_f32 v0, v0, v1 :: v_dual_and_b32 v81, 0xffff0000, v43
	v_dual_add_f32 v1, v2, v3 :: v_dual_and_b32 v54, 0xffff0000, v54
	s_delay_alu instid0(VALU_DEP_3) | instskip(SKIP_4) | instid1(VALU_DEP_4)
	v_add_f32_e32 v6, v6, v82
	v_and_b32_e32 v82, 0xffff0000, v167
	v_and_b32_e32 v55, 0xffff0000, v55
	;; [unrolled: 1-line block ×3, first 2 shown]
	v_add_f32_e32 v0, v0, v1
	v_dual_add_f32 v82, v84, v82 :: v_dual_and_b32 v65, 0xffff0000, v65
	s_delay_alu instid0(VALU_DEP_4) | instskip(SKIP_4) | instid1(VALU_DEP_4)
	v_add_f32_e32 v54, v54, v55
	v_and_b32_e32 v80, 0xffff0000, v42
	v_and_b32_e32 v7, 0xffff0000, v179
	;; [unrolled: 1-line block ×3, first 2 shown]
	v_dual_add_f32 v55, v64, v65 :: v_dual_and_b32 v64, 0xffff0000, v70
	v_dual_add_f32 v80, v80, v81 :: v_dual_and_b32 v83, 0xffff0000, v178
	s_delay_alu instid0(VALU_DEP_3) | instskip(SKIP_1) | instid1(VALU_DEP_3)
	v_dual_add_f32 v84, v96, v84 :: v_dual_and_b32 v81, 0xffff0000, v177
	v_and_b32_e32 v96, 0xffff0000, v112
	v_add_f32_e32 v6, v6, v80
	s_delay_alu instid0(VALU_DEP_3) | instskip(SKIP_2) | instid1(VALU_DEP_4)
	v_dual_add_f32 v81, v85, v81 :: v_dual_and_b32 v80, 0xffff0000, v180
	v_add_f32_e32 v7, v83, v7
	v_add_f32_e32 v3, v54, v55
	;; [unrolled: 1-line block ×3, first 2 shown]
	v_and_b32_e32 v85, 0xffff0000, v151
	v_dual_add_f32 v81, v82, v81 :: v_dual_and_b32 v82, 0xffff0000, v163
	v_dual_add_f32 v1, v2, v64 :: v_dual_and_b32 v54, 0xffff0000, v71
	s_delay_alu instid0(VALU_DEP_3) | instskip(NEXT) | instid1(VALU_DEP_3)
	v_add_f32_e32 v83, v87, v85
	v_dual_add_f32 v7, v81, v7 :: v_dual_and_b32 v86, 0xffff0000, v181
	v_and_b32_e32 v81, 0xffff0000, v164
	s_delay_alu instid0(VALU_DEP_3) | instskip(NEXT) | instid1(VALU_DEP_3)
	v_dual_add_f32 v83, v83, v84 :: v_dual_and_b32 v2, 0xffff0000, v9
	v_add_f32_e32 v80, v80, v86
	v_and_b32_e32 v84, 0xffff0000, v165
	v_and_b32_e32 v85, 0xffff0000, v162
	;; [unrolled: 1-line block ×3, first 2 shown]
	s_delay_alu instid0(VALU_DEP_4) | instskip(NEXT) | instid1(VALU_DEP_4)
	v_dual_add_f32 v6, v7, v80 :: v_dual_and_b32 v87, 0xffff0000, v102
	v_add_f32_e32 v80, v81, v84
	s_delay_alu instid0(VALU_DEP_4) | instskip(NEXT) | instid1(VALU_DEP_3)
	v_dual_add_f32 v82, v85, v82 :: v_dual_and_b32 v85, 0xffff0000, v128
	v_dual_add_f32 v28, v28, v6 :: v_dual_and_b32 v81, 0xffff0000, v145
	s_delay_alu instid0(VALU_DEP_2) | instskip(SKIP_2) | instid1(VALU_DEP_3)
	v_dual_add_f32 v0, v0, v1 :: v_dual_add_f32 v7, v83, v82
	v_and_b32_e32 v82, 0xffff0000, v135
	v_and_b32_e32 v83, 0xffff0000, v134
	v_dual_add_f32 v1, v54, v2 :: v_dual_add_f32 v6, v7, v80
	s_delay_alu instid0(VALU_DEP_2) | instskip(SKIP_1) | instid1(VALU_DEP_3)
	v_dual_add_f32 v80, v83, v82 :: v_dual_and_b32 v7, 0xffff0000, v147
	v_and_b32_e32 v82, 0xffff0000, v146
	v_dual_add_f32 v0, v0, v1 :: v_dual_add_f32 v31, v31, v6
	s_delay_alu instid0(VALU_DEP_2) | instskip(NEXT) | instid1(VALU_DEP_2)
	v_dual_add_f32 v7, v82, v7 :: v_dual_and_b32 v84, 0xffff0000, v144
	v_dual_add_f32 v35, v35, v0 :: v_dual_and_b32 v82, 0xffff0000, v119
	s_delay_alu instid0(VALU_DEP_2) | instskip(SKIP_1) | instid1(VALU_DEP_2)
	v_dual_add_f32 v81, v84, v81 :: v_dual_and_b32 v84, 0xffff0000, v118
	v_and_b32_e32 v83, 0xffff0000, v149
	v_add_f32_e32 v80, v80, v81
	s_delay_alu instid0(VALU_DEP_3) | instskip(SKIP_1) | instid1(VALU_DEP_1)
	v_add_f32_e32 v82, v84, v82
	v_and_b32_e32 v84, 0xffff0000, v113
	v_dual_add_f32 v84, v96, v84 :: v_dual_and_b32 v81, 0xffff0000, v129
	s_delay_alu instid0(VALU_DEP_1) | instskip(SKIP_2) | instid1(VALU_DEP_3)
	v_dual_add_f32 v81, v85, v81 :: v_dual_and_b32 v6, 0xffff0000, v148
	v_and_b32_e32 v85, 0xffff0000, v103
	v_add_f32_e32 v7, v80, v7
	v_dual_add_f32 v81, v82, v81 :: v_dual_and_b32 v82, 0xffff0000, v115
	v_and_b32_e32 v97, 0xffff0000, v132
	v_and_b32_e32 v80, 0xffff0000, v131
	v_add_f32_e32 v6, v6, v83
	s_delay_alu instid0(VALU_DEP_2) | instskip(SKIP_1) | instid1(VALU_DEP_3)
	v_dual_add_f32 v80, v86, v80 :: v_dual_add_f32 v85, v87, v85
	v_and_b32_e32 v87, 0xffff0000, v114
	v_add_f32_e32 v2, v7, v6
	s_delay_alu instid0(VALU_DEP_3) | instskip(NEXT) | instid1(VALU_DEP_3)
	v_add_f32_e32 v80, v81, v80
	v_dual_add_f32 v83, v85, v84 :: v_dual_add_f32 v82, v87, v82
	v_and_b32_e32 v84, 0xffff0000, v116
	v_and_b32_e32 v85, 0xffff0000, v117
	v_add_f32_e32 v33, v33, v2
	s_delay_alu instid0(VALU_DEP_2) | instskip(NEXT) | instid1(VALU_DEP_1)
	v_dual_add_f32 v82, v83, v82 :: v_dual_add_f32 v9, v84, v85
	v_dual_add_f32 v7, v82, v9 :: v_dual_and_b32 v66, 0xffff0000, v66
	s_delay_alu instid0(VALU_DEP_1) | instskip(SKIP_1) | instid1(VALU_DEP_2)
	v_dual_add_f32 v8, v66, v67 :: v_dual_and_b32 v69, 0xffff0000, v69
	v_and_b32_e32 v86, 0xffff0000, v133
	v_dual_add_f32 v32, v32, v7 :: v_dual_add_f32 v3, v3, v8
	s_delay_alu instid0(VALU_DEP_2) | instskip(NEXT) | instid1(VALU_DEP_1)
	v_add_f32_e32 v81, v97, v86
	v_add_f32_e32 v6, v80, v81
	s_delay_alu instid0(VALU_DEP_1) | instskip(NEXT) | instid1(VALU_DEP_1)
	v_dual_add_f32 v29, v29, v6 :: v_dual_and_b32 v68, 0xffff0000, v68
	v_add_f32_e32 v8, v68, v69
	s_delay_alu instid0(VALU_DEP_1) | instskip(NEXT) | instid1(VALU_DEP_1)
	v_add_f32_e32 v3, v3, v8
	v_add_f32_e32 v34, v34, v3
.LBB436_805:                            ;   in Loop: Header=BB436_806 Depth=1
	s_or_b32 exec_lo, exec_lo, s11
	v_add_nc_u32_e32 v17, 4, v17
	v_add_co_u32 v13, s0, v13, 16
	s_delay_alu instid0(VALU_DEP_1) | instskip(NEXT) | instid1(VALU_DEP_3)
	v_add_co_ci_u32_e64 v14, s0, 0, v14, s0
	v_cmp_ge_i32_e32 vcc_lo, v17, v51
	v_add_nc_u32_e32 v23, 0x80, v23
	v_add_nc_u32_e32 v53, 0x200, v53
	s_or_b32 s10, vcc_lo, s10
	s_delay_alu instid0(SALU_CYCLE_1)
	s_and_not1_b32 exec_lo, exec_lo, s10
	s_cbranch_execz .LBB436_1879
.LBB436_806:                            ; =>This Inner Loop Header: Depth=1
	v_sub_nc_u32_e32 v0, 0, v23
	s_delay_alu instid0(VALU_DEP_1) | instskip(NEXT) | instid1(VALU_DEP_1)
	v_max_i32_e32 v0, v23, v0
	v_mul_hi_u32 v1, v0, v39
	s_delay_alu instid0(VALU_DEP_1) | instskip(NEXT) | instid1(VALU_DEP_1)
	v_mul_lo_u32 v2, v1, v21
	v_sub_nc_u32_e32 v0, v0, v2
	v_add_nc_u32_e32 v2, 1, v1
	s_delay_alu instid0(VALU_DEP_2) | instskip(SKIP_1) | instid1(VALU_DEP_2)
	v_sub_nc_u32_e32 v3, v0, v21
	v_cmp_ge_u32_e32 vcc_lo, v0, v21
	v_dual_cndmask_b32 v1, v1, v2 :: v_dual_cndmask_b32 v0, v0, v3
	v_ashrrev_i32_e32 v2, 31, v23
	s_delay_alu instid0(VALU_DEP_2) | instskip(NEXT) | instid1(VALU_DEP_3)
	v_add_nc_u32_e32 v3, 1, v1
	v_cmp_ge_u32_e32 vcc_lo, v0, v21
	s_delay_alu instid0(VALU_DEP_3) | instskip(NEXT) | instid1(VALU_DEP_3)
	v_xor_b32_e32 v2, v2, v50
	v_cndmask_b32_e32 v0, v1, v3, vcc_lo
	s_delay_alu instid0(VALU_DEP_1) | instskip(NEXT) | instid1(VALU_DEP_1)
	v_xor_b32_e32 v0, v0, v2
	v_sub_nc_u32_e32 v0, v0, v2
	s_delay_alu instid0(VALU_DEP_1) | instskip(SKIP_1) | instid1(VALU_DEP_2)
	v_add_nc_u32_e32 v1, v0, v16
	v_cmp_gt_i32_e64 s0, v0, v52
	v_sub_nc_u32_e32 v2, 0, v1
	s_delay_alu instid0(VALU_DEP_1) | instskip(NEXT) | instid1(VALU_DEP_1)
	v_max_i32_e32 v2, v1, v2
	v_mul_hi_u32 v3, v2, v15
	s_delay_alu instid0(VALU_DEP_1) | instskip(NEXT) | instid1(VALU_DEP_1)
	v_mul_lo_u32 v3, v3, v30
	v_sub_nc_u32_e32 v2, v2, v3
	s_delay_alu instid0(VALU_DEP_1) | instskip(SKIP_1) | instid1(VALU_DEP_2)
	v_sub_nc_u32_e32 v3, v2, v30
	v_cmp_ge_u32_e32 vcc_lo, v2, v30
	v_cndmask_b32_e32 v2, v2, v3, vcc_lo
	v_ashrrev_i32_e32 v1, 31, v1
	s_delay_alu instid0(VALU_DEP_2) | instskip(SKIP_1) | instid1(VALU_DEP_2)
	v_sub_nc_u32_e32 v3, v2, v30
	v_cmp_ge_u32_e32 vcc_lo, v2, v30
	v_cndmask_b32_e32 v2, v2, v3, vcc_lo
	s_delay_alu instid0(VALU_DEP_1) | instskip(NEXT) | instid1(VALU_DEP_1)
	v_xor_b32_e32 v2, v2, v1
	v_sub_nc_u32_e32 v1, v2, v1
	s_delay_alu instid0(VALU_DEP_1) | instskip(SKIP_1) | instid1(SALU_CYCLE_1)
	v_cmp_eq_u32_e32 vcc_lo, 0, v1
	s_or_b32 s0, vcc_lo, s0
	s_and_saveexec_b32 s11, s0
	s_cbranch_execz .LBB436_805
; %bb.807:                              ;   in Loop: Header=BB436_806 Depth=1
	flat_load_b32 v70, v[13:14]
	ds_load_2addr_b64 v[6:9], v53 offset1:1
	ds_load_2addr_b64 v[0:3], v53 offset0:2 offset1:3
	s_waitcnt lgkmcnt(1)
	v_and_b32_e32 v54, 0x7f800000, v6
	s_delay_alu instid0(VALU_DEP_1) | instskip(SKIP_1) | instid1(SALU_CYCLE_1)
	v_cmp_ne_u32_e32 vcc_lo, 0x7f800000, v54
                                        ; implicit-def: $vgpr54
	s_and_saveexec_b32 s0, vcc_lo
	s_xor_b32 s0, exec_lo, s0
; %bb.808:                              ;   in Loop: Header=BB436_806 Depth=1
	v_bfe_u32 v54, v6, 16, 1
	s_delay_alu instid0(VALU_DEP_1)
	v_add3_u32 v54, v6, v54, 0x7fff
; %bb.809:                              ;   in Loop: Header=BB436_806 Depth=1
	s_and_not1_saveexec_b32 s0, s0
; %bb.810:                              ;   in Loop: Header=BB436_806 Depth=1
	v_and_b32_e32 v54, 0xffff, v6
	v_or_b32_e32 v55, 0x10000, v6
	s_delay_alu instid0(VALU_DEP_2) | instskip(NEXT) | instid1(VALU_DEP_2)
	v_cmp_eq_u32_e32 vcc_lo, 0, v54
	v_cndmask_b32_e32 v54, v55, v6, vcc_lo
; %bb.811:                              ;   in Loop: Header=BB436_806 Depth=1
	s_or_b32 exec_lo, exec_lo, s0
	v_and_b32_e32 v6, 0x7f800000, v7
	s_mov_b32 s0, exec_lo
                                        ; implicit-def: $vgpr55
	s_delay_alu instid0(VALU_DEP_1)
	v_cmpx_ne_u32_e32 0x7f800000, v6
	s_xor_b32 s0, exec_lo, s0
; %bb.812:                              ;   in Loop: Header=BB436_806 Depth=1
	v_bfe_u32 v6, v7, 16, 1
	s_delay_alu instid0(VALU_DEP_1)
	v_add3_u32 v55, v7, v6, 0x7fff
; %bb.813:                              ;   in Loop: Header=BB436_806 Depth=1
	s_and_not1_saveexec_b32 s0, s0
; %bb.814:                              ;   in Loop: Header=BB436_806 Depth=1
	v_and_b32_e32 v6, 0xffff, v7
	v_or_b32_e32 v55, 0x10000, v7
	s_delay_alu instid0(VALU_DEP_2) | instskip(NEXT) | instid1(VALU_DEP_2)
	v_cmp_eq_u32_e32 vcc_lo, 0, v6
	v_cndmask_b32_e32 v55, v55, v7, vcc_lo
; %bb.815:                              ;   in Loop: Header=BB436_806 Depth=1
	s_or_b32 exec_lo, exec_lo, s0
	v_and_b32_e32 v6, 0x7f800000, v8
	s_mov_b32 s0, exec_lo
                                        ; implicit-def: $vgpr64
	s_delay_alu instid0(VALU_DEP_1)
	v_cmpx_ne_u32_e32 0x7f800000, v6
	s_xor_b32 s0, exec_lo, s0
; %bb.816:                              ;   in Loop: Header=BB436_806 Depth=1
	v_bfe_u32 v6, v8, 16, 1
	s_delay_alu instid0(VALU_DEP_1)
	v_add3_u32 v64, v8, v6, 0x7fff
; %bb.817:                              ;   in Loop: Header=BB436_806 Depth=1
	s_and_not1_saveexec_b32 s0, s0
; %bb.818:                              ;   in Loop: Header=BB436_806 Depth=1
	v_and_b32_e32 v6, 0xffff, v8
	v_or_b32_e32 v7, 0x10000, v8
	s_delay_alu instid0(VALU_DEP_2) | instskip(NEXT) | instid1(VALU_DEP_2)
	v_cmp_eq_u32_e32 vcc_lo, 0, v6
	v_cndmask_b32_e32 v64, v7, v8, vcc_lo
; %bb.819:                              ;   in Loop: Header=BB436_806 Depth=1
	s_or_b32 exec_lo, exec_lo, s0
	v_and_b32_e32 v6, 0x7f800000, v9
	s_mov_b32 s0, exec_lo
                                        ; implicit-def: $vgpr65
	s_delay_alu instid0(VALU_DEP_1)
	v_cmpx_ne_u32_e32 0x7f800000, v6
	s_xor_b32 s0, exec_lo, s0
; %bb.820:                              ;   in Loop: Header=BB436_806 Depth=1
	v_bfe_u32 v6, v9, 16, 1
	s_delay_alu instid0(VALU_DEP_1)
	v_add3_u32 v65, v9, v6, 0x7fff
                                        ; implicit-def: $vgpr6_vgpr7_vgpr8_vgpr9
; %bb.821:                              ;   in Loop: Header=BB436_806 Depth=1
	s_and_not1_saveexec_b32 s0, s0
; %bb.822:                              ;   in Loop: Header=BB436_806 Depth=1
	v_and_b32_e32 v6, 0xffff, v9
	v_or_b32_e32 v7, 0x10000, v9
	s_delay_alu instid0(VALU_DEP_2) | instskip(NEXT) | instid1(VALU_DEP_2)
	v_cmp_eq_u32_e32 vcc_lo, 0, v6
	v_cndmask_b32_e32 v65, v7, v9, vcc_lo
; %bb.823:                              ;   in Loop: Header=BB436_806 Depth=1
	s_or_b32 exec_lo, exec_lo, s0
	s_waitcnt lgkmcnt(0)
	v_and_b32_e32 v6, 0x7f800000, v0
	s_mov_b32 s0, exec_lo
                                        ; implicit-def: $vgpr66
	s_delay_alu instid0(VALU_DEP_1)
	v_cmpx_ne_u32_e32 0x7f800000, v6
	s_xor_b32 s0, exec_lo, s0
; %bb.824:                              ;   in Loop: Header=BB436_806 Depth=1
	v_bfe_u32 v6, v0, 16, 1
	s_delay_alu instid0(VALU_DEP_1)
	v_add3_u32 v66, v0, v6, 0x7fff
; %bb.825:                              ;   in Loop: Header=BB436_806 Depth=1
	s_and_not1_saveexec_b32 s0, s0
; %bb.826:                              ;   in Loop: Header=BB436_806 Depth=1
	v_and_b32_e32 v6, 0xffff, v0
	v_or_b32_e32 v7, 0x10000, v0
	s_delay_alu instid0(VALU_DEP_2) | instskip(NEXT) | instid1(VALU_DEP_2)
	v_cmp_eq_u32_e32 vcc_lo, 0, v6
	v_cndmask_b32_e32 v66, v7, v0, vcc_lo
; %bb.827:                              ;   in Loop: Header=BB436_806 Depth=1
	s_or_b32 exec_lo, exec_lo, s0
	v_and_b32_e32 v0, 0x7f800000, v1
	s_mov_b32 s0, exec_lo
                                        ; implicit-def: $vgpr67
	s_delay_alu instid0(VALU_DEP_1)
	v_cmpx_ne_u32_e32 0x7f800000, v0
	s_xor_b32 s0, exec_lo, s0
; %bb.828:                              ;   in Loop: Header=BB436_806 Depth=1
	v_bfe_u32 v0, v1, 16, 1
	s_delay_alu instid0(VALU_DEP_1)
	v_add3_u32 v67, v1, v0, 0x7fff
; %bb.829:                              ;   in Loop: Header=BB436_806 Depth=1
	s_and_not1_saveexec_b32 s0, s0
; %bb.830:                              ;   in Loop: Header=BB436_806 Depth=1
	v_and_b32_e32 v0, 0xffff, v1
	v_or_b32_e32 v6, 0x10000, v1
	s_delay_alu instid0(VALU_DEP_2) | instskip(NEXT) | instid1(VALU_DEP_2)
	v_cmp_eq_u32_e32 vcc_lo, 0, v0
	v_cndmask_b32_e32 v67, v6, v1, vcc_lo
; %bb.831:                              ;   in Loop: Header=BB436_806 Depth=1
	s_or_b32 exec_lo, exec_lo, s0
	v_and_b32_e32 v0, 0x7f800000, v2
	s_mov_b32 s0, exec_lo
                                        ; implicit-def: $vgpr68
	s_delay_alu instid0(VALU_DEP_1)
	v_cmpx_ne_u32_e32 0x7f800000, v0
	s_xor_b32 s0, exec_lo, s0
; %bb.832:                              ;   in Loop: Header=BB436_806 Depth=1
	v_bfe_u32 v0, v2, 16, 1
	s_delay_alu instid0(VALU_DEP_1)
	v_add3_u32 v68, v2, v0, 0x7fff
; %bb.833:                              ;   in Loop: Header=BB436_806 Depth=1
	s_and_not1_saveexec_b32 s0, s0
; %bb.834:                              ;   in Loop: Header=BB436_806 Depth=1
	v_and_b32_e32 v0, 0xffff, v2
	v_or_b32_e32 v1, 0x10000, v2
	s_delay_alu instid0(VALU_DEP_2) | instskip(NEXT) | instid1(VALU_DEP_2)
	v_cmp_eq_u32_e32 vcc_lo, 0, v0
	v_cndmask_b32_e32 v68, v1, v2, vcc_lo
; %bb.835:                              ;   in Loop: Header=BB436_806 Depth=1
	s_or_b32 exec_lo, exec_lo, s0
	v_and_b32_e32 v0, 0x7f800000, v3
	s_mov_b32 s0, exec_lo
                                        ; implicit-def: $vgpr69
	s_delay_alu instid0(VALU_DEP_1)
	v_cmpx_ne_u32_e32 0x7f800000, v0
	s_xor_b32 s0, exec_lo, s0
; %bb.836:                              ;   in Loop: Header=BB436_806 Depth=1
	v_bfe_u32 v0, v3, 16, 1
	s_delay_alu instid0(VALU_DEP_1)
	v_add3_u32 v69, v3, v0, 0x7fff
                                        ; implicit-def: $vgpr0_vgpr1_vgpr2_vgpr3
; %bb.837:                              ;   in Loop: Header=BB436_806 Depth=1
	s_and_not1_saveexec_b32 s0, s0
; %bb.838:                              ;   in Loop: Header=BB436_806 Depth=1
	v_and_b32_e32 v0, 0xffff, v3
	v_or_b32_e32 v1, 0x10000, v3
	s_delay_alu instid0(VALU_DEP_2) | instskip(NEXT) | instid1(VALU_DEP_2)
	v_cmp_eq_u32_e32 vcc_lo, 0, v0
	v_cndmask_b32_e32 v69, v1, v3, vcc_lo
; %bb.839:                              ;   in Loop: Header=BB436_806 Depth=1
	s_or_b32 exec_lo, exec_lo, s0
	s_waitcnt vmcnt(0)
	v_mad_i64_i32 v[0:1], null, v70, v22, v[11:12]
	s_mov_b32 s0, exec_lo
	flat_load_b64 v[2:3], v[0:1]
	flat_load_b32 v8, v[26:27]
	s_waitcnt vmcnt(1) lgkmcnt(1)
	v_dual_mov_b32 v6, 0 :: v_dual_and_b32 v7, 0xff, v2
	s_delay_alu instid0(VALU_DEP_1)
	v_cmpx_ne_u16_e32 0, v7
	s_cbranch_execz .LBB436_847
; %bb.840:                              ;   in Loop: Header=BB436_806 Depth=1
	v_bfrev_b32_e32 v6, 1
	s_mov_b32 s12, exec_lo
	v_cmpx_ne_u16_e32 0x80, v7
	s_cbranch_execz .LBB436_846
; %bb.841:                              ;   in Loop: Header=BB436_806 Depth=1
	v_and_b32_e32 v7, 0x7f, v2
	v_mov_b32_e32 v6, 0x7f800001
	s_mov_b32 s13, exec_lo
	s_delay_alu instid0(VALU_DEP_2)
	v_cmpx_ne_u32_e32 0x7f, v7
	s_cbranch_execz .LBB436_845
; %bb.842:                              ;   in Loop: Header=BB436_806 Depth=1
	v_lshrrev_b32_e32 v9, 3, v7
	v_cmp_gt_u32_e32 vcc_lo, 8, v7
	v_dual_mov_b32 v7, v3 :: v_dual_mov_b32 v6, v2
	s_and_saveexec_b32 s15, vcc_lo
; %bb.843:                              ;   in Loop: Header=BB436_806 Depth=1
	v_and_b32_e32 v6, 7, v2
	s_delay_alu instid0(VALU_DEP_1) | instskip(NEXT) | instid1(VALU_DEP_1)
	v_clz_i32_u32_e32 v6, v6
	v_min_u32_e32 v9, 32, v6
	s_delay_alu instid0(VALU_DEP_1) | instskip(SKIP_1) | instid1(VALU_DEP_2)
	v_subrev_nc_u32_e32 v6, 28, v9
	v_sub_nc_u32_e32 v9, 29, v9
	v_lshlrev_b64 v[6:7], v6, v[2:3]
; %bb.844:                              ;   in Loop: Header=BB436_806 Depth=1
	s_or_b32 exec_lo, exec_lo, s15
	s_delay_alu instid0(VALU_DEP_1) | instskip(SKIP_2) | instid1(VALU_DEP_3)
	v_lshlrev_b32_e32 v6, 20, v6
	v_lshlrev_b32_e32 v7, 24, v2
	v_lshl_add_u32 v9, v9, 23, 0x3c000000
	v_and_b32_e32 v6, 0x700000, v6
	s_delay_alu instid0(VALU_DEP_3) | instskip(NEXT) | instid1(VALU_DEP_1)
	v_and_b32_e32 v7, 0x80000000, v7
	v_or3_b32 v6, v6, v7, v9
.LBB436_845:                            ;   in Loop: Header=BB436_806 Depth=1
	s_or_b32 exec_lo, exec_lo, s13
.LBB436_846:                            ;   in Loop: Header=BB436_806 Depth=1
	s_delay_alu instid0(SALU_CYCLE_1)
	s_or_b32 exec_lo, exec_lo, s12
.LBB436_847:                            ;   in Loop: Header=BB436_806 Depth=1
	s_delay_alu instid0(SALU_CYCLE_1) | instskip(SKIP_3) | instid1(VALU_DEP_1)
	s_or_b32 exec_lo, exec_lo, s0
	s_waitcnt vmcnt(0) lgkmcnt(0)
	v_mul_f32_e32 v6, v8, v6
	s_mov_b32 s0, exec_lo
                                        ; implicit-def: $vgpr71
	v_and_b32_e32 v7, 0x7f800000, v6
	s_delay_alu instid0(VALU_DEP_1)
	v_cmpx_ne_u32_e32 0x7f800000, v7
	s_xor_b32 s0, exec_lo, s0
; %bb.848:                              ;   in Loop: Header=BB436_806 Depth=1
	v_bfe_u32 v7, v6, 16, 1
	s_delay_alu instid0(VALU_DEP_1)
	v_add3_u32 v71, v6, v7, 0x7fff
                                        ; implicit-def: $vgpr6
; %bb.849:                              ;   in Loop: Header=BB436_806 Depth=1
	s_and_not1_saveexec_b32 s0, s0
; %bb.850:                              ;   in Loop: Header=BB436_806 Depth=1
	v_and_b32_e32 v7, 0xffff, v6
	v_or_b32_e32 v9, 0x10000, v6
	s_delay_alu instid0(VALU_DEP_2) | instskip(NEXT) | instid1(VALU_DEP_2)
	v_cmp_eq_u32_e32 vcc_lo, 0, v7
	v_cndmask_b32_e32 v71, v9, v6, vcc_lo
; %bb.851:                              ;   in Loop: Header=BB436_806 Depth=1
	s_or_b32 exec_lo, exec_lo, s0
	v_lshrrev_b16 v7, 8, v2
	v_mov_b32_e32 v6, 0
	s_mov_b32 s0, exec_lo
	s_delay_alu instid0(VALU_DEP_2)
	v_cmpx_ne_u16_e32 0, v7
	s_cbranch_execz .LBB436_859
; %bb.852:                              ;   in Loop: Header=BB436_806 Depth=1
	v_bfrev_b32_e32 v6, 1
	s_mov_b32 s12, exec_lo
	v_cmpx_ne_u16_e32 0x80, v7
	s_cbranch_execz .LBB436_858
; %bb.853:                              ;   in Loop: Header=BB436_806 Depth=1
	v_and_b32_e32 v9, 0xffff, v7
	v_mov_b32_e32 v6, 0x7f800001
	s_mov_b32 s13, exec_lo
	s_delay_alu instid0(VALU_DEP_2) | instskip(NEXT) | instid1(VALU_DEP_1)
	v_and_b32_e32 v7, 0x7f, v9
	v_cmpx_ne_u32_e32 0x7f, v7
	s_cbranch_execz .LBB436_857
; %bb.854:                              ;   in Loop: Header=BB436_806 Depth=1
	v_and_b32_e32 v9, 7, v9
	v_lshrrev_b32_e32 v6, 3, v7
	s_mov_b32 s15, exec_lo
	v_cmpx_gt_u32_e32 8, v7
; %bb.855:                              ;   in Loop: Header=BB436_806 Depth=1
	s_delay_alu instid0(VALU_DEP_3) | instskip(NEXT) | instid1(VALU_DEP_1)
	v_clz_i32_u32_e32 v6, v9
	v_min_u32_e32 v6, 32, v6
	s_delay_alu instid0(VALU_DEP_1) | instskip(SKIP_1) | instid1(VALU_DEP_2)
	v_subrev_nc_u32_e32 v7, 28, v6
	v_sub_nc_u32_e32 v6, 29, v6
	v_lshlrev_b64 v[80:81], v7, v[9:10]
	s_delay_alu instid0(VALU_DEP_1)
	v_and_b32_e32 v9, 7, v80
; %bb.856:                              ;   in Loop: Header=BB436_806 Depth=1
	s_or_b32 exec_lo, exec_lo, s15
	v_lshlrev_b32_e32 v7, 16, v2
	s_delay_alu instid0(VALU_DEP_2) | instskip(SKIP_1) | instid1(VALU_DEP_3)
	v_lshlrev_b32_e32 v9, 20, v9
	v_lshl_add_u32 v6, v6, 23, 0x3c000000
	v_and_b32_e32 v7, 0x80000000, v7
	s_delay_alu instid0(VALU_DEP_1)
	v_or3_b32 v6, v9, v7, v6
.LBB436_857:                            ;   in Loop: Header=BB436_806 Depth=1
	s_or_b32 exec_lo, exec_lo, s13
.LBB436_858:                            ;   in Loop: Header=BB436_806 Depth=1
	s_delay_alu instid0(SALU_CYCLE_1)
	s_or_b32 exec_lo, exec_lo, s12
.LBB436_859:                            ;   in Loop: Header=BB436_806 Depth=1
	s_delay_alu instid0(SALU_CYCLE_1) | instskip(NEXT) | instid1(VALU_DEP_1)
	s_or_b32 exec_lo, exec_lo, s0
	v_mul_f32_e32 v6, v8, v6
	s_mov_b32 s0, exec_lo
                                        ; implicit-def: $vgpr80
	s_delay_alu instid0(VALU_DEP_1) | instskip(NEXT) | instid1(VALU_DEP_1)
	v_and_b32_e32 v7, 0x7f800000, v6
	v_cmpx_ne_u32_e32 0x7f800000, v7
	s_xor_b32 s0, exec_lo, s0
; %bb.860:                              ;   in Loop: Header=BB436_806 Depth=1
	v_bfe_u32 v7, v6, 16, 1
	s_delay_alu instid0(VALU_DEP_1)
	v_add3_u32 v80, v6, v7, 0x7fff
                                        ; implicit-def: $vgpr6
; %bb.861:                              ;   in Loop: Header=BB436_806 Depth=1
	s_and_not1_saveexec_b32 s0, s0
; %bb.862:                              ;   in Loop: Header=BB436_806 Depth=1
	v_and_b32_e32 v7, 0xffff, v6
	v_or_b32_e32 v9, 0x10000, v6
	s_delay_alu instid0(VALU_DEP_2) | instskip(NEXT) | instid1(VALU_DEP_2)
	v_cmp_eq_u32_e32 vcc_lo, 0, v7
	v_cndmask_b32_e32 v80, v9, v6, vcc_lo
; %bb.863:                              ;   in Loop: Header=BB436_806 Depth=1
	s_or_b32 exec_lo, exec_lo, s0
	v_lshrrev_b32_e32 v6, 16, v2
	v_mov_b32_e32 v7, 0
	s_mov_b32 s0, exec_lo
	s_delay_alu instid0(VALU_DEP_2) | instskip(NEXT) | instid1(VALU_DEP_1)
	v_and_b32_e32 v9, 0xff, v6
	v_cmpx_ne_u16_e32 0, v9
	s_cbranch_execz .LBB436_871
; %bb.864:                              ;   in Loop: Header=BB436_806 Depth=1
	v_bfrev_b32_e32 v7, 1
	s_mov_b32 s12, exec_lo
	v_cmpx_ne_u16_e32 0x80, v9
	s_cbranch_execz .LBB436_870
; %bb.865:                              ;   in Loop: Header=BB436_806 Depth=1
	v_bfe_u32 v70, v2, 16, 7
	v_mov_b32_e32 v7, 0x7f800001
	s_mov_b32 s13, exec_lo
	s_delay_alu instid0(VALU_DEP_2)
	v_cmpx_ne_u32_e32 0x7f, v70
	s_cbranch_execz .LBB436_869
; %bb.866:                              ;   in Loop: Header=BB436_806 Depth=1
	v_and_b32_e32 v9, 7, v6
	v_lshrrev_b32_e32 v7, 3, v70
	s_mov_b32 s15, exec_lo
	v_cmpx_gt_u32_e32 8, v70
; %bb.867:                              ;   in Loop: Header=BB436_806 Depth=1
	s_delay_alu instid0(VALU_DEP_3) | instskip(NEXT) | instid1(VALU_DEP_1)
	v_clz_i32_u32_e32 v7, v9
	v_min_u32_e32 v7, 32, v7
	s_delay_alu instid0(VALU_DEP_1) | instskip(SKIP_1) | instid1(VALU_DEP_2)
	v_subrev_nc_u32_e32 v70, 28, v7
	v_sub_nc_u32_e32 v7, 29, v7
	v_lshlrev_b64 v[81:82], v70, v[9:10]
	s_delay_alu instid0(VALU_DEP_1)
	v_and_b32_e32 v9, 7, v81
; %bb.868:                              ;   in Loop: Header=BB436_806 Depth=1
	s_or_b32 exec_lo, exec_lo, s15
	v_lshlrev_b32_e32 v6, 24, v6
	s_delay_alu instid0(VALU_DEP_2) | instskip(SKIP_1) | instid1(VALU_DEP_3)
	v_lshlrev_b32_e32 v9, 20, v9
	v_lshl_add_u32 v7, v7, 23, 0x3c000000
	v_and_b32_e32 v6, 0x80000000, v6
	s_delay_alu instid0(VALU_DEP_1)
	v_or3_b32 v7, v9, v6, v7
.LBB436_869:                            ;   in Loop: Header=BB436_806 Depth=1
	s_or_b32 exec_lo, exec_lo, s13
.LBB436_870:                            ;   in Loop: Header=BB436_806 Depth=1
	s_delay_alu instid0(SALU_CYCLE_1)
	s_or_b32 exec_lo, exec_lo, s12
.LBB436_871:                            ;   in Loop: Header=BB436_806 Depth=1
	s_delay_alu instid0(SALU_CYCLE_1) | instskip(NEXT) | instid1(VALU_DEP_1)
	s_or_b32 exec_lo, exec_lo, s0
	v_mul_f32_e32 v6, v8, v7
	s_mov_b32 s0, exec_lo
                                        ; implicit-def: $vgpr81
	s_delay_alu instid0(VALU_DEP_1) | instskip(NEXT) | instid1(VALU_DEP_1)
	v_and_b32_e32 v7, 0x7f800000, v6
	v_cmpx_ne_u32_e32 0x7f800000, v7
	s_xor_b32 s0, exec_lo, s0
; %bb.872:                              ;   in Loop: Header=BB436_806 Depth=1
	v_bfe_u32 v7, v6, 16, 1
	s_delay_alu instid0(VALU_DEP_1)
	v_add3_u32 v81, v6, v7, 0x7fff
                                        ; implicit-def: $vgpr6
; %bb.873:                              ;   in Loop: Header=BB436_806 Depth=1
	s_and_not1_saveexec_b32 s0, s0
; %bb.874:                              ;   in Loop: Header=BB436_806 Depth=1
	v_and_b32_e32 v7, 0xffff, v6
	v_or_b32_e32 v9, 0x10000, v6
	s_delay_alu instid0(VALU_DEP_2) | instskip(NEXT) | instid1(VALU_DEP_2)
	v_cmp_eq_u32_e32 vcc_lo, 0, v7
	v_cndmask_b32_e32 v81, v9, v6, vcc_lo
; %bb.875:                              ;   in Loop: Header=BB436_806 Depth=1
	s_or_b32 exec_lo, exec_lo, s0
	v_mov_b32_e32 v7, 0
	s_mov_b32 s0, exec_lo
	v_cmpx_lt_u32_e32 0xffffff, v2
	s_cbranch_execz .LBB436_883
; %bb.876:                              ;   in Loop: Header=BB436_806 Depth=1
	v_lshrrev_b32_e32 v6, 24, v2
	v_bfrev_b32_e32 v7, 1
	s_mov_b32 s12, exec_lo
	s_delay_alu instid0(VALU_DEP_2)
	v_cmpx_ne_u32_e32 0x80, v6
	s_cbranch_execz .LBB436_882
; %bb.877:                              ;   in Loop: Header=BB436_806 Depth=1
	v_bfe_u32 v70, v2, 24, 7
	v_mov_b32_e32 v7, 0x7f800001
	s_mov_b32 s13, exec_lo
	s_delay_alu instid0(VALU_DEP_2)
	v_cmpx_ne_u32_e32 0x7f, v70
	s_cbranch_execz .LBB436_881
; %bb.878:                              ;   in Loop: Header=BB436_806 Depth=1
	v_and_b32_e32 v9, 7, v6
	v_lshrrev_b32_e32 v7, 3, v70
	s_mov_b32 s15, exec_lo
	v_cmpx_gt_u32_e32 8, v70
; %bb.879:                              ;   in Loop: Header=BB436_806 Depth=1
	s_delay_alu instid0(VALU_DEP_3) | instskip(NEXT) | instid1(VALU_DEP_1)
	v_clz_i32_u32_e32 v7, v9
	v_min_u32_e32 v7, 32, v7
	s_delay_alu instid0(VALU_DEP_1) | instskip(SKIP_1) | instid1(VALU_DEP_2)
	v_subrev_nc_u32_e32 v70, 28, v7
	v_sub_nc_u32_e32 v7, 29, v7
	v_lshlrev_b64 v[82:83], v70, v[9:10]
	s_delay_alu instid0(VALU_DEP_1)
	v_and_b32_e32 v9, 7, v82
; %bb.880:                              ;   in Loop: Header=BB436_806 Depth=1
	s_or_b32 exec_lo, exec_lo, s15
	v_lshlrev_b32_e32 v6, 24, v6
	s_delay_alu instid0(VALU_DEP_2) | instskip(SKIP_1) | instid1(VALU_DEP_3)
	v_lshlrev_b32_e32 v9, 20, v9
	v_lshl_add_u32 v7, v7, 23, 0x3c000000
	v_and_b32_e32 v6, 0x80000000, v6
	s_delay_alu instid0(VALU_DEP_1)
	v_or3_b32 v7, v9, v6, v7
.LBB436_881:                            ;   in Loop: Header=BB436_806 Depth=1
	s_or_b32 exec_lo, exec_lo, s13
.LBB436_882:                            ;   in Loop: Header=BB436_806 Depth=1
	s_delay_alu instid0(SALU_CYCLE_1)
	s_or_b32 exec_lo, exec_lo, s12
.LBB436_883:                            ;   in Loop: Header=BB436_806 Depth=1
	s_delay_alu instid0(SALU_CYCLE_1) | instskip(NEXT) | instid1(VALU_DEP_1)
	s_or_b32 exec_lo, exec_lo, s0
	v_mul_f32_e32 v6, v8, v7
	s_mov_b32 s0, exec_lo
                                        ; implicit-def: $vgpr82
	s_delay_alu instid0(VALU_DEP_1) | instskip(NEXT) | instid1(VALU_DEP_1)
	v_and_b32_e32 v7, 0x7f800000, v6
	v_cmpx_ne_u32_e32 0x7f800000, v7
	s_xor_b32 s0, exec_lo, s0
; %bb.884:                              ;   in Loop: Header=BB436_806 Depth=1
	v_bfe_u32 v7, v6, 16, 1
	s_delay_alu instid0(VALU_DEP_1)
	v_add3_u32 v82, v6, v7, 0x7fff
                                        ; implicit-def: $vgpr6
; %bb.885:                              ;   in Loop: Header=BB436_806 Depth=1
	s_and_not1_saveexec_b32 s0, s0
; %bb.886:                              ;   in Loop: Header=BB436_806 Depth=1
	v_and_b32_e32 v7, 0xffff, v6
	v_or_b32_e32 v9, 0x10000, v6
	s_delay_alu instid0(VALU_DEP_2) | instskip(NEXT) | instid1(VALU_DEP_2)
	v_cmp_eq_u32_e32 vcc_lo, 0, v7
	v_cndmask_b32_e32 v82, v9, v6, vcc_lo
; %bb.887:                              ;   in Loop: Header=BB436_806 Depth=1
	s_or_b32 exec_lo, exec_lo, s0
	v_dual_mov_b32 v6, 0 :: v_dual_and_b32 v7, 0xff, v3
	v_mov_b32_e32 v9, v3
	s_mov_b32 s0, exec_lo
	s_delay_alu instid0(VALU_DEP_2)
	v_cmpx_ne_u16_e32 0, v7
	s_cbranch_execz .LBB436_895
; %bb.888:                              ;   in Loop: Header=BB436_806 Depth=1
	v_bfrev_b32_e32 v6, 1
	s_mov_b32 s12, exec_lo
	v_cmpx_ne_u16_e32 0x80, v7
	s_cbranch_execz .LBB436_894
; %bb.889:                              ;   in Loop: Header=BB436_806 Depth=1
	v_and_b32_e32 v7, 0x7f, v3
	v_mov_b32_e32 v6, 0x7f800001
	s_mov_b32 s13, exec_lo
	s_delay_alu instid0(VALU_DEP_2)
	v_cmpx_ne_u32_e32 0x7f, v7
	s_cbranch_execz .LBB436_893
; %bb.890:                              ;   in Loop: Header=BB436_806 Depth=1
	v_lshrrev_b32_e32 v70, 3, v7
	v_cmp_gt_u32_e32 vcc_lo, 8, v7
	v_dual_mov_b32 v6, v9 :: v_dual_mov_b32 v7, v10
	s_and_saveexec_b32 s15, vcc_lo
; %bb.891:                              ;   in Loop: Header=BB436_806 Depth=1
	v_and_b32_e32 v6, 7, v3
	s_delay_alu instid0(VALU_DEP_1) | instskip(NEXT) | instid1(VALU_DEP_1)
	v_clz_i32_u32_e32 v6, v6
	v_min_u32_e32 v70, 32, v6
	s_delay_alu instid0(VALU_DEP_1) | instskip(SKIP_1) | instid1(VALU_DEP_2)
	v_subrev_nc_u32_e32 v6, 28, v70
	v_sub_nc_u32_e32 v70, 29, v70
	v_lshlrev_b64 v[6:7], v6, v[9:10]
; %bb.892:                              ;   in Loop: Header=BB436_806 Depth=1
	s_or_b32 exec_lo, exec_lo, s15
	s_delay_alu instid0(VALU_DEP_1) | instskip(SKIP_2) | instid1(VALU_DEP_3)
	v_lshlrev_b32_e32 v6, 20, v6
	v_lshlrev_b32_e32 v7, 24, v9
	v_lshl_add_u32 v70, v70, 23, 0x3c000000
	v_and_b32_e32 v6, 0x700000, v6
	s_delay_alu instid0(VALU_DEP_3) | instskip(NEXT) | instid1(VALU_DEP_1)
	v_and_b32_e32 v7, 0x80000000, v7
	v_or3_b32 v6, v6, v7, v70
.LBB436_893:                            ;   in Loop: Header=BB436_806 Depth=1
	s_or_b32 exec_lo, exec_lo, s13
.LBB436_894:                            ;   in Loop: Header=BB436_806 Depth=1
	s_delay_alu instid0(SALU_CYCLE_1)
	s_or_b32 exec_lo, exec_lo, s12
.LBB436_895:                            ;   in Loop: Header=BB436_806 Depth=1
	s_delay_alu instid0(SALU_CYCLE_1) | instskip(NEXT) | instid1(VALU_DEP_1)
	s_or_b32 exec_lo, exec_lo, s0
	v_mul_f32_e32 v6, v8, v6
	s_mov_b32 s0, exec_lo
                                        ; implicit-def: $vgpr83
	s_delay_alu instid0(VALU_DEP_1) | instskip(NEXT) | instid1(VALU_DEP_1)
	v_and_b32_e32 v7, 0x7f800000, v6
	v_cmpx_ne_u32_e32 0x7f800000, v7
	s_xor_b32 s0, exec_lo, s0
; %bb.896:                              ;   in Loop: Header=BB436_806 Depth=1
	v_bfe_u32 v7, v6, 16, 1
	s_delay_alu instid0(VALU_DEP_1)
	v_add3_u32 v83, v6, v7, 0x7fff
                                        ; implicit-def: $vgpr6
; %bb.897:                              ;   in Loop: Header=BB436_806 Depth=1
	s_and_not1_saveexec_b32 s0, s0
; %bb.898:                              ;   in Loop: Header=BB436_806 Depth=1
	v_and_b32_e32 v7, 0xffff, v6
	v_or_b32_e32 v70, 0x10000, v6
	s_delay_alu instid0(VALU_DEP_2) | instskip(NEXT) | instid1(VALU_DEP_2)
	v_cmp_eq_u32_e32 vcc_lo, 0, v7
	v_cndmask_b32_e32 v83, v70, v6, vcc_lo
; %bb.899:                              ;   in Loop: Header=BB436_806 Depth=1
	s_or_b32 exec_lo, exec_lo, s0
	v_lshrrev_b16 v7, 8, v9
	v_mov_b32_e32 v6, 0
	s_mov_b32 s0, exec_lo
	s_delay_alu instid0(VALU_DEP_2)
	v_cmpx_ne_u16_e32 0, v7
	s_cbranch_execz .LBB436_907
; %bb.900:                              ;   in Loop: Header=BB436_806 Depth=1
	v_bfrev_b32_e32 v6, 1
	s_mov_b32 s12, exec_lo
	v_cmpx_ne_u16_e32 0x80, v7
	s_cbranch_execz .LBB436_906
; %bb.901:                              ;   in Loop: Header=BB436_806 Depth=1
	v_and_b32_e32 v7, 0xffff, v7
	v_mov_b32_e32 v6, 0x7f800001
	s_mov_b32 s13, exec_lo
	s_delay_alu instid0(VALU_DEP_2) | instskip(NEXT) | instid1(VALU_DEP_1)
	v_and_b32_e32 v84, 0x7f, v7
	v_cmpx_ne_u32_e32 0x7f, v84
	s_cbranch_execz .LBB436_905
; %bb.902:                              ;   in Loop: Header=BB436_806 Depth=1
	v_dual_mov_b32 v7, v10 :: v_dual_and_b32 v6, 7, v7
	v_lshrrev_b32_e32 v70, 3, v84
	s_mov_b32 s15, exec_lo
	v_cmpx_gt_u32_e32 8, v84
; %bb.903:                              ;   in Loop: Header=BB436_806 Depth=1
	s_delay_alu instid0(VALU_DEP_3) | instskip(NEXT) | instid1(VALU_DEP_1)
	v_clz_i32_u32_e32 v70, v6
	v_min_u32_e32 v70, 32, v70
	s_delay_alu instid0(VALU_DEP_1) | instskip(SKIP_1) | instid1(VALU_DEP_2)
	v_subrev_nc_u32_e32 v84, 28, v70
	v_sub_nc_u32_e32 v70, 29, v70
	v_lshlrev_b64 v[6:7], v84, v[6:7]
	s_delay_alu instid0(VALU_DEP_1)
	v_and_b32_e32 v6, 7, v6
; %bb.904:                              ;   in Loop: Header=BB436_806 Depth=1
	s_or_b32 exec_lo, exec_lo, s15
	v_lshlrev_b32_e32 v7, 16, v9
	s_delay_alu instid0(VALU_DEP_2) | instskip(SKIP_1) | instid1(VALU_DEP_3)
	v_lshlrev_b32_e32 v6, 20, v6
	v_lshl_add_u32 v9, v70, 23, 0x3c000000
	v_and_b32_e32 v7, 0x80000000, v7
	s_delay_alu instid0(VALU_DEP_1)
	v_or3_b32 v6, v6, v7, v9
.LBB436_905:                            ;   in Loop: Header=BB436_806 Depth=1
	s_or_b32 exec_lo, exec_lo, s13
.LBB436_906:                            ;   in Loop: Header=BB436_806 Depth=1
	s_delay_alu instid0(SALU_CYCLE_1)
	s_or_b32 exec_lo, exec_lo, s12
.LBB436_907:                            ;   in Loop: Header=BB436_806 Depth=1
	s_delay_alu instid0(SALU_CYCLE_1) | instskip(NEXT) | instid1(VALU_DEP_1)
	s_or_b32 exec_lo, exec_lo, s0
	v_mul_f32_e32 v7, v8, v6
	s_delay_alu instid0(VALU_DEP_1) | instskip(NEXT) | instid1(VALU_DEP_1)
	v_and_b32_e32 v6, 0x7f800000, v7
	v_cmp_ne_u32_e32 vcc_lo, 0x7f800000, v6
                                        ; implicit-def: $vgpr6
	s_and_saveexec_b32 s0, vcc_lo
	s_delay_alu instid0(SALU_CYCLE_1)
	s_xor_b32 s0, exec_lo, s0
; %bb.908:                              ;   in Loop: Header=BB436_806 Depth=1
	v_bfe_u32 v6, v7, 16, 1
	s_delay_alu instid0(VALU_DEP_1)
	v_add3_u32 v6, v7, v6, 0x7fff
                                        ; implicit-def: $vgpr7
; %bb.909:                              ;   in Loop: Header=BB436_806 Depth=1
	s_and_not1_saveexec_b32 s0, s0
; %bb.910:                              ;   in Loop: Header=BB436_806 Depth=1
	v_and_b32_e32 v6, 0xffff, v7
	v_or_b32_e32 v9, 0x10000, v7
	s_delay_alu instid0(VALU_DEP_2) | instskip(NEXT) | instid1(VALU_DEP_2)
	v_cmp_eq_u32_e32 vcc_lo, 0, v6
	v_cndmask_b32_e32 v6, v9, v7, vcc_lo
; %bb.911:                              ;   in Loop: Header=BB436_806 Depth=1
	s_or_b32 exec_lo, exec_lo, s0
	v_lshrrev_b32_e32 v7, 16, v3
	s_mov_b32 s0, exec_lo
	s_delay_alu instid0(VALU_DEP_1) | instskip(NEXT) | instid1(VALU_DEP_1)
	v_dual_mov_b32 v9, 0 :: v_dual_and_b32 v70, 0xff, v7
	v_cmpx_ne_u16_e32 0, v70
	s_cbranch_execz .LBB436_919
; %bb.912:                              ;   in Loop: Header=BB436_806 Depth=1
	v_bfrev_b32_e32 v9, 1
	s_mov_b32 s12, exec_lo
	v_cmpx_ne_u16_e32 0x80, v70
	s_cbranch_execz .LBB436_918
; %bb.913:                              ;   in Loop: Header=BB436_806 Depth=1
	v_bfe_u32 v84, v3, 16, 7
	v_mov_b32_e32 v9, 0x7f800001
	s_mov_b32 s13, exec_lo
	s_delay_alu instid0(VALU_DEP_2)
	v_cmpx_ne_u32_e32 0x7f, v84
	s_cbranch_execz .LBB436_917
; %bb.914:                              ;   in Loop: Header=BB436_806 Depth=1
	v_and_b32_e32 v9, 7, v7
	v_lshrrev_b32_e32 v70, 3, v84
	s_mov_b32 s15, exec_lo
	v_cmpx_gt_u32_e32 8, v84
; %bb.915:                              ;   in Loop: Header=BB436_806 Depth=1
	s_delay_alu instid0(VALU_DEP_3) | instskip(NEXT) | instid1(VALU_DEP_1)
	v_clz_i32_u32_e32 v70, v9
	v_min_u32_e32 v70, 32, v70
	s_delay_alu instid0(VALU_DEP_1) | instskip(SKIP_1) | instid1(VALU_DEP_2)
	v_subrev_nc_u32_e32 v84, 28, v70
	v_sub_nc_u32_e32 v70, 29, v70
	v_lshlrev_b64 v[84:85], v84, v[9:10]
	s_delay_alu instid0(VALU_DEP_1)
	v_and_b32_e32 v9, 7, v84
; %bb.916:                              ;   in Loop: Header=BB436_806 Depth=1
	s_or_b32 exec_lo, exec_lo, s15
	v_lshlrev_b32_e32 v7, 24, v7
	s_delay_alu instid0(VALU_DEP_2) | instskip(SKIP_1) | instid1(VALU_DEP_3)
	v_lshlrev_b32_e32 v9, 20, v9
	v_lshl_add_u32 v70, v70, 23, 0x3c000000
	v_and_b32_e32 v7, 0x80000000, v7
	s_delay_alu instid0(VALU_DEP_1)
	v_or3_b32 v9, v9, v7, v70
.LBB436_917:                            ;   in Loop: Header=BB436_806 Depth=1
	s_or_b32 exec_lo, exec_lo, s13
.LBB436_918:                            ;   in Loop: Header=BB436_806 Depth=1
	s_delay_alu instid0(SALU_CYCLE_1)
	s_or_b32 exec_lo, exec_lo, s12
.LBB436_919:                            ;   in Loop: Header=BB436_806 Depth=1
	s_delay_alu instid0(SALU_CYCLE_1) | instskip(NEXT) | instid1(VALU_DEP_1)
	s_or_b32 exec_lo, exec_lo, s0
	v_mul_f32_e32 v7, v8, v9
	s_mov_b32 s0, exec_lo
                                        ; implicit-def: $vgpr84
	s_delay_alu instid0(VALU_DEP_1) | instskip(NEXT) | instid1(VALU_DEP_1)
	v_and_b32_e32 v9, 0x7f800000, v7
	v_cmpx_ne_u32_e32 0x7f800000, v9
	s_xor_b32 s0, exec_lo, s0
; %bb.920:                              ;   in Loop: Header=BB436_806 Depth=1
	v_bfe_u32 v9, v7, 16, 1
	s_delay_alu instid0(VALU_DEP_1)
	v_add3_u32 v84, v7, v9, 0x7fff
                                        ; implicit-def: $vgpr7
; %bb.921:                              ;   in Loop: Header=BB436_806 Depth=1
	s_and_not1_saveexec_b32 s0, s0
; %bb.922:                              ;   in Loop: Header=BB436_806 Depth=1
	v_and_b32_e32 v9, 0xffff, v7
	v_or_b32_e32 v70, 0x10000, v7
	s_delay_alu instid0(VALU_DEP_2) | instskip(NEXT) | instid1(VALU_DEP_2)
	v_cmp_eq_u32_e32 vcc_lo, 0, v9
	v_cndmask_b32_e32 v84, v70, v7, vcc_lo
; %bb.923:                              ;   in Loop: Header=BB436_806 Depth=1
	s_or_b32 exec_lo, exec_lo, s0
	v_mov_b32_e32 v7, 0
	s_mov_b32 s0, exec_lo
	v_cmpx_lt_u64_e64 s[8:9], v[2:3]
	s_cbranch_execz .LBB436_931
; %bb.924:                              ;   in Loop: Header=BB436_806 Depth=1
	v_lshrrev_b32_e32 v2, 24, v3
	v_bfrev_b32_e32 v7, 1
	s_mov_b32 s12, exec_lo
	s_delay_alu instid0(VALU_DEP_2)
	v_cmpx_ne_u32_e32 0x80, v2
	s_cbranch_execz .LBB436_930
; %bb.925:                              ;   in Loop: Header=BB436_806 Depth=1
	v_bfe_u32 v70, v3, 24, 7
	v_mov_b32_e32 v7, 0x7f800001
	s_mov_b32 s13, exec_lo
	s_delay_alu instid0(VALU_DEP_2)
	v_cmpx_ne_u32_e32 0x7f, v70
	s_cbranch_execz .LBB436_929
; %bb.926:                              ;   in Loop: Header=BB436_806 Depth=1
	v_and_b32_e32 v9, 7, v2
	v_lshrrev_b32_e32 v3, 3, v70
	s_mov_b32 s15, exec_lo
	v_cmpx_gt_u32_e32 8, v70
; %bb.927:                              ;   in Loop: Header=BB436_806 Depth=1
	s_delay_alu instid0(VALU_DEP_3) | instskip(NEXT) | instid1(VALU_DEP_1)
	v_clz_i32_u32_e32 v3, v9
	v_min_u32_e32 v3, 32, v3
	s_delay_alu instid0(VALU_DEP_1) | instskip(SKIP_1) | instid1(VALU_DEP_2)
	v_subrev_nc_u32_e32 v7, 28, v3
	v_sub_nc_u32_e32 v3, 29, v3
	v_lshlrev_b64 v[85:86], v7, v[9:10]
	s_delay_alu instid0(VALU_DEP_1)
	v_and_b32_e32 v9, 7, v85
; %bb.928:                              ;   in Loop: Header=BB436_806 Depth=1
	s_or_b32 exec_lo, exec_lo, s15
	v_lshlrev_b32_e32 v2, 24, v2
	s_delay_alu instid0(VALU_DEP_2) | instskip(SKIP_1) | instid1(VALU_DEP_3)
	v_lshlrev_b32_e32 v7, 20, v9
	v_lshl_add_u32 v3, v3, 23, 0x3c000000
	v_and_b32_e32 v2, 0x80000000, v2
	s_delay_alu instid0(VALU_DEP_1)
	v_or3_b32 v7, v7, v2, v3
.LBB436_929:                            ;   in Loop: Header=BB436_806 Depth=1
	s_or_b32 exec_lo, exec_lo, s13
.LBB436_930:                            ;   in Loop: Header=BB436_806 Depth=1
	s_delay_alu instid0(SALU_CYCLE_1)
	s_or_b32 exec_lo, exec_lo, s12
.LBB436_931:                            ;   in Loop: Header=BB436_806 Depth=1
	s_delay_alu instid0(SALU_CYCLE_1) | instskip(NEXT) | instid1(VALU_DEP_1)
	s_or_b32 exec_lo, exec_lo, s0
	v_mul_f32_e32 v3, v8, v7
	s_delay_alu instid0(VALU_DEP_1) | instskip(NEXT) | instid1(VALU_DEP_1)
	v_and_b32_e32 v2, 0x7f800000, v3
	v_cmp_ne_u32_e32 vcc_lo, 0x7f800000, v2
                                        ; implicit-def: $vgpr2
	s_and_saveexec_b32 s0, vcc_lo
	s_delay_alu instid0(SALU_CYCLE_1)
	s_xor_b32 s0, exec_lo, s0
; %bb.932:                              ;   in Loop: Header=BB436_806 Depth=1
	v_bfe_u32 v2, v3, 16, 1
	s_delay_alu instid0(VALU_DEP_1)
	v_add3_u32 v2, v3, v2, 0x7fff
                                        ; implicit-def: $vgpr3
; %bb.933:                              ;   in Loop: Header=BB436_806 Depth=1
	s_and_not1_saveexec_b32 s0, s0
; %bb.934:                              ;   in Loop: Header=BB436_806 Depth=1
	v_and_b32_e32 v2, 0xffff, v3
	v_or_b32_e32 v7, 0x10000, v3
	s_delay_alu instid0(VALU_DEP_2) | instskip(NEXT) | instid1(VALU_DEP_2)
	v_cmp_eq_u32_e32 vcc_lo, 0, v2
	v_cndmask_b32_e32 v2, v7, v3, vcc_lo
; %bb.935:                              ;   in Loop: Header=BB436_806 Depth=1
	s_or_b32 exec_lo, exec_lo, s0
	v_add_nc_u32_e32 v70, v18, v23
	v_cmp_eq_u32_e32 vcc_lo, v36, v17
	v_lshrrev_b32_e32 v6, 16, v6
	v_lshrrev_b32_e32 v7, 16, v83
	;; [unrolled: 1-line block ×8, first 2 shown]
	v_add_nc_u32_e32 v85, 1, v70
	v_add_nc_u32_e32 v84, 2, v70
	;; [unrolled: 1-line block ×7, first 2 shown]
	s_and_saveexec_b32 s12, vcc_lo
	s_cbranch_execz .LBB436_937
; %bb.936:                              ;   in Loop: Header=BB436_806 Depth=1
	v_cmp_lt_i32_e64 s0, v70, v38
	s_delay_alu instid0(VALU_DEP_1) | instskip(SKIP_1) | instid1(VALU_DEP_1)
	v_cndmask_b32_e64 v87, 0, v87, s0
	v_cmp_lt_i32_e64 s0, v85, v38
	v_cndmask_b32_e64 v96, 0, v96, s0
	v_cmp_lt_i32_e64 s0, v84, v38
	s_delay_alu instid0(VALU_DEP_1) | instskip(SKIP_1) | instid1(VALU_DEP_1)
	v_cndmask_b32_e64 v97, 0, v97, s0
	v_cmp_lt_i32_e64 s0, v83, v38
	v_cndmask_b32_e64 v9, 0, v9, s0
	;; [unrolled: 5-line block ×4, first 2 shown]
.LBB436_937:                            ;   in Loop: Header=BB436_806 Depth=1
	s_or_b32 exec_lo, exec_lo, s12
	v_and_b32_e32 v86, 0xffff0000, v54
	v_lshlrev_b32_e32 v54, 16, v87
	s_delay_alu instid0(VALU_DEP_1) | instskip(NEXT) | instid1(VALU_DEP_1)
	v_mul_f32_e32 v87, v86, v54
	v_and_b32_e32 v54, 0x7f800000, v87
	s_delay_alu instid0(VALU_DEP_1) | instskip(NEXT) | instid1(VALU_DEP_1)
	v_cmp_ne_u32_e64 s0, 0x7f800000, v54
                                        ; implicit-def: $vgpr54
	s_and_saveexec_b32 s12, s0
	s_delay_alu instid0(SALU_CYCLE_1)
	s_xor_b32 s0, exec_lo, s12
; %bb.938:                              ;   in Loop: Header=BB436_806 Depth=1
	v_bfe_u32 v54, v87, 16, 1
	s_delay_alu instid0(VALU_DEP_1)
	v_add3_u32 v54, v87, v54, 0x7fff
                                        ; implicit-def: $vgpr87
; %bb.939:                              ;   in Loop: Header=BB436_806 Depth=1
	s_and_not1_saveexec_b32 s12, s0
; %bb.940:                              ;   in Loop: Header=BB436_806 Depth=1
	v_and_b32_e32 v54, 0xffff, v87
	v_or_b32_e32 v98, 0x10000, v87
	s_delay_alu instid0(VALU_DEP_2) | instskip(NEXT) | instid1(VALU_DEP_1)
	v_cmp_eq_u32_e64 s0, 0, v54
	v_cndmask_b32_e64 v54, v98, v87, s0
; %bb.941:                              ;   in Loop: Header=BB436_806 Depth=1
	s_or_b32 exec_lo, exec_lo, s12
	v_and_b32_e32 v87, 0xffff0000, v55
	v_lshlrev_b32_e32 v55, 16, v96
	s_delay_alu instid0(VALU_DEP_1) | instskip(NEXT) | instid1(VALU_DEP_1)
	v_mul_f32_e32 v96, v87, v55
	v_and_b32_e32 v55, 0x7f800000, v96
	s_delay_alu instid0(VALU_DEP_1) | instskip(NEXT) | instid1(VALU_DEP_1)
	v_cmp_ne_u32_e64 s0, 0x7f800000, v55
                                        ; implicit-def: $vgpr55
	s_and_saveexec_b32 s12, s0
	s_delay_alu instid0(SALU_CYCLE_1)
	s_xor_b32 s0, exec_lo, s12
; %bb.942:                              ;   in Loop: Header=BB436_806 Depth=1
	v_bfe_u32 v55, v96, 16, 1
	s_delay_alu instid0(VALU_DEP_1)
	v_add3_u32 v55, v96, v55, 0x7fff
                                        ; implicit-def: $vgpr96
; %bb.943:                              ;   in Loop: Header=BB436_806 Depth=1
	s_and_not1_saveexec_b32 s12, s0
; %bb.944:                              ;   in Loop: Header=BB436_806 Depth=1
	v_and_b32_e32 v55, 0xffff, v96
	v_or_b32_e32 v98, 0x10000, v96
	s_delay_alu instid0(VALU_DEP_2) | instskip(NEXT) | instid1(VALU_DEP_1)
	v_cmp_eq_u32_e64 s0, 0, v55
	v_cndmask_b32_e64 v55, v98, v96, s0
; %bb.945:                              ;   in Loop: Header=BB436_806 Depth=1
	s_or_b32 exec_lo, exec_lo, s12
	v_and_b32_e32 v96, 0xffff0000, v64
	v_lshlrev_b32_e32 v64, 16, v97
	s_delay_alu instid0(VALU_DEP_1) | instskip(NEXT) | instid1(VALU_DEP_1)
	v_mul_f32_e32 v97, v96, v64
	v_and_b32_e32 v64, 0x7f800000, v97
	s_delay_alu instid0(VALU_DEP_1) | instskip(NEXT) | instid1(VALU_DEP_1)
	v_cmp_ne_u32_e64 s0, 0x7f800000, v64
                                        ; implicit-def: $vgpr64
	s_and_saveexec_b32 s12, s0
	s_delay_alu instid0(SALU_CYCLE_1)
	s_xor_b32 s0, exec_lo, s12
; %bb.946:                              ;   in Loop: Header=BB436_806 Depth=1
	v_bfe_u32 v64, v97, 16, 1
	s_delay_alu instid0(VALU_DEP_1)
	v_add3_u32 v64, v97, v64, 0x7fff
                                        ; implicit-def: $vgpr97
; %bb.947:                              ;   in Loop: Header=BB436_806 Depth=1
	s_and_not1_saveexec_b32 s12, s0
; %bb.948:                              ;   in Loop: Header=BB436_806 Depth=1
	v_and_b32_e32 v64, 0xffff, v97
	v_or_b32_e32 v98, 0x10000, v97
	s_delay_alu instid0(VALU_DEP_2) | instskip(NEXT) | instid1(VALU_DEP_1)
	v_cmp_eq_u32_e64 s0, 0, v64
	v_cndmask_b32_e64 v64, v98, v97, s0
; %bb.949:                              ;   in Loop: Header=BB436_806 Depth=1
	s_or_b32 exec_lo, exec_lo, s12
	v_and_b32_e32 v97, 0xffff0000, v65
	v_lshlrev_b32_e32 v9, 16, v9
	s_delay_alu instid0(VALU_DEP_1) | instskip(NEXT) | instid1(VALU_DEP_1)
	v_mul_f32_e32 v9, v97, v9
	v_and_b32_e32 v65, 0x7f800000, v9
	s_delay_alu instid0(VALU_DEP_1) | instskip(NEXT) | instid1(VALU_DEP_1)
	v_cmp_ne_u32_e64 s0, 0x7f800000, v65
                                        ; implicit-def: $vgpr65
	s_and_saveexec_b32 s12, s0
	s_delay_alu instid0(SALU_CYCLE_1)
	s_xor_b32 s0, exec_lo, s12
; %bb.950:                              ;   in Loop: Header=BB436_806 Depth=1
	v_bfe_u32 v65, v9, 16, 1
	s_delay_alu instid0(VALU_DEP_1)
	v_add3_u32 v65, v9, v65, 0x7fff
                                        ; implicit-def: $vgpr9
; %bb.951:                              ;   in Loop: Header=BB436_806 Depth=1
	s_and_not1_saveexec_b32 s12, s0
; %bb.952:                              ;   in Loop: Header=BB436_806 Depth=1
	v_and_b32_e32 v65, 0xffff, v9
	v_or_b32_e32 v98, 0x10000, v9
	s_delay_alu instid0(VALU_DEP_2) | instskip(NEXT) | instid1(VALU_DEP_1)
	v_cmp_eq_u32_e64 s0, 0, v65
	v_cndmask_b32_e64 v65, v98, v9, s0
; %bb.953:                              ;   in Loop: Header=BB436_806 Depth=1
	s_or_b32 exec_lo, exec_lo, s12
	v_and_b32_e32 v98, 0xffff0000, v66
	v_lshlrev_b32_e32 v7, 16, v7
                                        ; implicit-def: $vgpr66
	s_delay_alu instid0(VALU_DEP_1) | instskip(NEXT) | instid1(VALU_DEP_1)
	v_mul_f32_e32 v7, v98, v7
	v_and_b32_e32 v9, 0x7f800000, v7
	s_delay_alu instid0(VALU_DEP_1) | instskip(NEXT) | instid1(VALU_DEP_1)
	v_cmp_ne_u32_e64 s0, 0x7f800000, v9
	s_and_saveexec_b32 s12, s0
	s_delay_alu instid0(SALU_CYCLE_1)
	s_xor_b32 s0, exec_lo, s12
; %bb.954:                              ;   in Loop: Header=BB436_806 Depth=1
	v_bfe_u32 v9, v7, 16, 1
	s_delay_alu instid0(VALU_DEP_1)
	v_add3_u32 v66, v7, v9, 0x7fff
                                        ; implicit-def: $vgpr7
; %bb.955:                              ;   in Loop: Header=BB436_806 Depth=1
	s_and_not1_saveexec_b32 s12, s0
; %bb.956:                              ;   in Loop: Header=BB436_806 Depth=1
	v_and_b32_e32 v9, 0xffff, v7
	v_or_b32_e32 v66, 0x10000, v7
	s_delay_alu instid0(VALU_DEP_2) | instskip(NEXT) | instid1(VALU_DEP_1)
	v_cmp_eq_u32_e64 s0, 0, v9
	v_cndmask_b32_e64 v66, v66, v7, s0
; %bb.957:                              ;   in Loop: Header=BB436_806 Depth=1
	s_or_b32 exec_lo, exec_lo, s12
	v_and_b32_e32 v99, 0xffff0000, v67
	v_lshlrev_b32_e32 v6, 16, v6
                                        ; implicit-def: $vgpr67
	s_delay_alu instid0(VALU_DEP_1) | instskip(NEXT) | instid1(VALU_DEP_1)
	v_mul_f32_e32 v6, v99, v6
	v_and_b32_e32 v7, 0x7f800000, v6
	s_delay_alu instid0(VALU_DEP_1) | instskip(NEXT) | instid1(VALU_DEP_1)
	v_cmp_ne_u32_e64 s0, 0x7f800000, v7
	s_and_saveexec_b32 s12, s0
	s_delay_alu instid0(SALU_CYCLE_1)
	s_xor_b32 s0, exec_lo, s12
; %bb.958:                              ;   in Loop: Header=BB436_806 Depth=1
	v_bfe_u32 v7, v6, 16, 1
	s_delay_alu instid0(VALU_DEP_1)
	v_add3_u32 v67, v6, v7, 0x7fff
                                        ; implicit-def: $vgpr6
; %bb.959:                              ;   in Loop: Header=BB436_806 Depth=1
	s_and_not1_saveexec_b32 s12, s0
; %bb.960:                              ;   in Loop: Header=BB436_806 Depth=1
	v_and_b32_e32 v7, 0xffff, v6
	v_or_b32_e32 v9, 0x10000, v6
	s_delay_alu instid0(VALU_DEP_2) | instskip(NEXT) | instid1(VALU_DEP_1)
	v_cmp_eq_u32_e64 s0, 0, v7
	v_cndmask_b32_e64 v67, v9, v6, s0
; %bb.961:                              ;   in Loop: Header=BB436_806 Depth=1
	s_or_b32 exec_lo, exec_lo, s12
	v_and_b32_e32 v100, 0xffff0000, v68
	v_lshlrev_b32_e32 v3, 16, v3
                                        ; implicit-def: $vgpr68
	s_delay_alu instid0(VALU_DEP_1) | instskip(NEXT) | instid1(VALU_DEP_1)
	v_mul_f32_e32 v3, v100, v3
	v_and_b32_e32 v6, 0x7f800000, v3
	s_delay_alu instid0(VALU_DEP_1) | instskip(NEXT) | instid1(VALU_DEP_1)
	v_cmp_ne_u32_e64 s0, 0x7f800000, v6
	s_and_saveexec_b32 s12, s0
	s_delay_alu instid0(SALU_CYCLE_1)
	s_xor_b32 s0, exec_lo, s12
; %bb.962:                              ;   in Loop: Header=BB436_806 Depth=1
	v_bfe_u32 v6, v3, 16, 1
	s_delay_alu instid0(VALU_DEP_1)
	v_add3_u32 v68, v3, v6, 0x7fff
                                        ; implicit-def: $vgpr3
; %bb.963:                              ;   in Loop: Header=BB436_806 Depth=1
	s_and_not1_saveexec_b32 s12, s0
; %bb.964:                              ;   in Loop: Header=BB436_806 Depth=1
	v_and_b32_e32 v6, 0xffff, v3
	v_or_b32_e32 v7, 0x10000, v3
	s_delay_alu instid0(VALU_DEP_2) | instskip(NEXT) | instid1(VALU_DEP_1)
	v_cmp_eq_u32_e64 s0, 0, v6
	v_cndmask_b32_e64 v68, v7, v3, s0
; %bb.965:                              ;   in Loop: Header=BB436_806 Depth=1
	s_or_b32 exec_lo, exec_lo, s12
	v_and_b32_e32 v101, 0xffff0000, v69
	v_lshlrev_b32_e32 v2, 16, v2
                                        ; implicit-def: $vgpr69
	s_delay_alu instid0(VALU_DEP_1) | instskip(NEXT) | instid1(VALU_DEP_1)
	v_mul_f32_e32 v2, v101, v2
	v_and_b32_e32 v3, 0x7f800000, v2
	s_delay_alu instid0(VALU_DEP_1) | instskip(NEXT) | instid1(VALU_DEP_1)
	v_cmp_ne_u32_e64 s0, 0x7f800000, v3
	s_and_saveexec_b32 s12, s0
	s_delay_alu instid0(SALU_CYCLE_1)
	s_xor_b32 s0, exec_lo, s12
; %bb.966:                              ;   in Loop: Header=BB436_806 Depth=1
	v_bfe_u32 v3, v2, 16, 1
	s_delay_alu instid0(VALU_DEP_1)
	v_add3_u32 v69, v2, v3, 0x7fff
                                        ; implicit-def: $vgpr2
; %bb.967:                              ;   in Loop: Header=BB436_806 Depth=1
	s_and_not1_saveexec_b32 s12, s0
; %bb.968:                              ;   in Loop: Header=BB436_806 Depth=1
	v_and_b32_e32 v3, 0xffff, v2
	v_or_b32_e32 v6, 0x10000, v2
	s_delay_alu instid0(VALU_DEP_2) | instskip(NEXT) | instid1(VALU_DEP_1)
	v_cmp_eq_u32_e64 s0, 0, v3
	v_cndmask_b32_e64 v69, v6, v2, s0
; %bb.969:                              ;   in Loop: Header=BB436_806 Depth=1
	s_or_b32 exec_lo, exec_lo, s12
	flat_load_b64 v[2:3], v[0:1] offset:256
	s_mov_b32 s12, exec_lo
	s_waitcnt vmcnt(0) lgkmcnt(0)
	v_dual_mov_b32 v6, 0 :: v_dual_and_b32 v7, 0xff, v2
	s_delay_alu instid0(VALU_DEP_1)
	v_cmpx_ne_u16_e32 0, v7
	s_cbranch_execz .LBB436_977
; %bb.970:                              ;   in Loop: Header=BB436_806 Depth=1
	v_bfrev_b32_e32 v6, 1
	s_mov_b32 s13, exec_lo
	v_cmpx_ne_u16_e32 0x80, v7
	s_cbranch_execz .LBB436_976
; %bb.971:                              ;   in Loop: Header=BB436_806 Depth=1
	v_and_b32_e32 v7, 0x7f, v2
	v_mov_b32_e32 v6, 0x7f800001
	s_mov_b32 s15, exec_lo
	s_delay_alu instid0(VALU_DEP_2)
	v_cmpx_ne_u32_e32 0x7f, v7
	s_cbranch_execz .LBB436_975
; %bb.972:                              ;   in Loop: Header=BB436_806 Depth=1
	v_lshrrev_b32_e32 v9, 3, v7
	v_cmp_gt_u32_e64 s0, 8, v7
	v_dual_mov_b32 v7, v3 :: v_dual_mov_b32 v6, v2
	s_delay_alu instid0(VALU_DEP_2)
	s_and_saveexec_b32 s16, s0
; %bb.973:                              ;   in Loop: Header=BB436_806 Depth=1
	v_and_b32_e32 v6, 7, v2
	s_delay_alu instid0(VALU_DEP_1) | instskip(NEXT) | instid1(VALU_DEP_1)
	v_clz_i32_u32_e32 v6, v6
	v_min_u32_e32 v9, 32, v6
	s_delay_alu instid0(VALU_DEP_1) | instskip(SKIP_1) | instid1(VALU_DEP_2)
	v_subrev_nc_u32_e32 v6, 28, v9
	v_sub_nc_u32_e32 v9, 29, v9
	v_lshlrev_b64 v[6:7], v6, v[2:3]
; %bb.974:                              ;   in Loop: Header=BB436_806 Depth=1
	s_or_b32 exec_lo, exec_lo, s16
	s_delay_alu instid0(VALU_DEP_1) | instskip(SKIP_2) | instid1(VALU_DEP_3)
	v_lshlrev_b32_e32 v6, 20, v6
	v_lshlrev_b32_e32 v7, 24, v2
	v_lshl_add_u32 v9, v9, 23, 0x3c000000
	v_and_b32_e32 v6, 0x700000, v6
	s_delay_alu instid0(VALU_DEP_3) | instskip(NEXT) | instid1(VALU_DEP_1)
	v_and_b32_e32 v7, 0x80000000, v7
	v_or3_b32 v6, v6, v7, v9
.LBB436_975:                            ;   in Loop: Header=BB436_806 Depth=1
	s_or_b32 exec_lo, exec_lo, s15
.LBB436_976:                            ;   in Loop: Header=BB436_806 Depth=1
	s_delay_alu instid0(SALU_CYCLE_1)
	s_or_b32 exec_lo, exec_lo, s13
.LBB436_977:                            ;   in Loop: Header=BB436_806 Depth=1
	s_delay_alu instid0(SALU_CYCLE_1) | instskip(NEXT) | instid1(VALU_DEP_1)
	s_or_b32 exec_lo, exec_lo, s12
	v_mul_f32_e32 v6, v8, v6
                                        ; implicit-def: $vgpr102
	s_delay_alu instid0(VALU_DEP_1) | instskip(NEXT) | instid1(VALU_DEP_1)
	v_and_b32_e32 v7, 0x7f800000, v6
	v_cmp_ne_u32_e64 s0, 0x7f800000, v7
	s_delay_alu instid0(VALU_DEP_1) | instskip(NEXT) | instid1(SALU_CYCLE_1)
	s_and_saveexec_b32 s12, s0
	s_xor_b32 s0, exec_lo, s12
; %bb.978:                              ;   in Loop: Header=BB436_806 Depth=1
	v_bfe_u32 v7, v6, 16, 1
	s_delay_alu instid0(VALU_DEP_1)
	v_add3_u32 v102, v6, v7, 0x7fff
                                        ; implicit-def: $vgpr6
; %bb.979:                              ;   in Loop: Header=BB436_806 Depth=1
	s_and_not1_saveexec_b32 s12, s0
; %bb.980:                              ;   in Loop: Header=BB436_806 Depth=1
	v_and_b32_e32 v7, 0xffff, v6
	v_or_b32_e32 v9, 0x10000, v6
	s_delay_alu instid0(VALU_DEP_2) | instskip(NEXT) | instid1(VALU_DEP_1)
	v_cmp_eq_u32_e64 s0, 0, v7
	v_cndmask_b32_e64 v102, v9, v6, s0
; %bb.981:                              ;   in Loop: Header=BB436_806 Depth=1
	s_or_b32 exec_lo, exec_lo, s12
	v_lshrrev_b16 v7, 8, v2
	v_mov_b32_e32 v6, 0
	s_mov_b32 s12, exec_lo
	s_delay_alu instid0(VALU_DEP_2)
	v_cmpx_ne_u16_e32 0, v7
	s_cbranch_execz .LBB436_989
; %bb.982:                              ;   in Loop: Header=BB436_806 Depth=1
	v_bfrev_b32_e32 v6, 1
	s_mov_b32 s13, exec_lo
	v_cmpx_ne_u16_e32 0x80, v7
	s_cbranch_execz .LBB436_988
; %bb.983:                              ;   in Loop: Header=BB436_806 Depth=1
	v_and_b32_e32 v9, 0xffff, v7
	v_mov_b32_e32 v6, 0x7f800001
	s_mov_b32 s15, exec_lo
	s_delay_alu instid0(VALU_DEP_2) | instskip(NEXT) | instid1(VALU_DEP_1)
	v_and_b32_e32 v7, 0x7f, v9
	v_cmpx_ne_u32_e32 0x7f, v7
	s_cbranch_execz .LBB436_987
; %bb.984:                              ;   in Loop: Header=BB436_806 Depth=1
	v_and_b32_e32 v9, 7, v9
	v_lshrrev_b32_e32 v6, 3, v7
	s_mov_b32 s16, exec_lo
	v_cmpx_gt_u32_e32 8, v7
; %bb.985:                              ;   in Loop: Header=BB436_806 Depth=1
	s_delay_alu instid0(VALU_DEP_3) | instskip(NEXT) | instid1(VALU_DEP_1)
	v_clz_i32_u32_e32 v6, v9
	v_min_u32_e32 v6, 32, v6
	s_delay_alu instid0(VALU_DEP_1) | instskip(SKIP_1) | instid1(VALU_DEP_2)
	v_subrev_nc_u32_e32 v7, 28, v6
	v_sub_nc_u32_e32 v6, 29, v6
	v_lshlrev_b64 v[112:113], v7, v[9:10]
	s_delay_alu instid0(VALU_DEP_1)
	v_and_b32_e32 v9, 7, v112
; %bb.986:                              ;   in Loop: Header=BB436_806 Depth=1
	s_or_b32 exec_lo, exec_lo, s16
	v_lshlrev_b32_e32 v7, 16, v2
	s_delay_alu instid0(VALU_DEP_2) | instskip(SKIP_1) | instid1(VALU_DEP_3)
	v_lshlrev_b32_e32 v9, 20, v9
	v_lshl_add_u32 v6, v6, 23, 0x3c000000
	v_and_b32_e32 v7, 0x80000000, v7
	s_delay_alu instid0(VALU_DEP_1)
	v_or3_b32 v6, v9, v7, v6
.LBB436_987:                            ;   in Loop: Header=BB436_806 Depth=1
	s_or_b32 exec_lo, exec_lo, s15
.LBB436_988:                            ;   in Loop: Header=BB436_806 Depth=1
	s_delay_alu instid0(SALU_CYCLE_1)
	s_or_b32 exec_lo, exec_lo, s13
.LBB436_989:                            ;   in Loop: Header=BB436_806 Depth=1
	s_delay_alu instid0(SALU_CYCLE_1) | instskip(NEXT) | instid1(VALU_DEP_1)
	s_or_b32 exec_lo, exec_lo, s12
	v_mul_f32_e32 v6, v8, v6
                                        ; implicit-def: $vgpr103
	s_delay_alu instid0(VALU_DEP_1) | instskip(NEXT) | instid1(VALU_DEP_1)
	v_and_b32_e32 v7, 0x7f800000, v6
	v_cmp_ne_u32_e64 s0, 0x7f800000, v7
	s_delay_alu instid0(VALU_DEP_1) | instskip(NEXT) | instid1(SALU_CYCLE_1)
	s_and_saveexec_b32 s12, s0
	s_xor_b32 s0, exec_lo, s12
; %bb.990:                              ;   in Loop: Header=BB436_806 Depth=1
	v_bfe_u32 v7, v6, 16, 1
	s_delay_alu instid0(VALU_DEP_1)
	v_add3_u32 v103, v6, v7, 0x7fff
                                        ; implicit-def: $vgpr6
; %bb.991:                              ;   in Loop: Header=BB436_806 Depth=1
	s_and_not1_saveexec_b32 s12, s0
; %bb.992:                              ;   in Loop: Header=BB436_806 Depth=1
	v_and_b32_e32 v7, 0xffff, v6
	v_or_b32_e32 v9, 0x10000, v6
	s_delay_alu instid0(VALU_DEP_2) | instskip(NEXT) | instid1(VALU_DEP_1)
	v_cmp_eq_u32_e64 s0, 0, v7
	v_cndmask_b32_e64 v103, v9, v6, s0
; %bb.993:                              ;   in Loop: Header=BB436_806 Depth=1
	s_or_b32 exec_lo, exec_lo, s12
	v_lshrrev_b32_e32 v6, 16, v2
	v_mov_b32_e32 v7, 0
	s_mov_b32 s12, exec_lo
	s_delay_alu instid0(VALU_DEP_2) | instskip(NEXT) | instid1(VALU_DEP_1)
	v_and_b32_e32 v9, 0xff, v6
	v_cmpx_ne_u16_e32 0, v9
	s_cbranch_execz .LBB436_1001
; %bb.994:                              ;   in Loop: Header=BB436_806 Depth=1
	v_bfrev_b32_e32 v7, 1
	s_mov_b32 s13, exec_lo
	v_cmpx_ne_u16_e32 0x80, v9
	s_cbranch_execz .LBB436_1000
; %bb.995:                              ;   in Loop: Header=BB436_806 Depth=1
	v_bfe_u32 v112, v2, 16, 7
	v_mov_b32_e32 v7, 0x7f800001
	s_mov_b32 s15, exec_lo
	s_delay_alu instid0(VALU_DEP_2)
	v_cmpx_ne_u32_e32 0x7f, v112
	s_cbranch_execz .LBB436_999
; %bb.996:                              ;   in Loop: Header=BB436_806 Depth=1
	v_and_b32_e32 v9, 7, v6
	v_lshrrev_b32_e32 v7, 3, v112
	s_mov_b32 s16, exec_lo
	v_cmpx_gt_u32_e32 8, v112
; %bb.997:                              ;   in Loop: Header=BB436_806 Depth=1
	s_delay_alu instid0(VALU_DEP_3) | instskip(NEXT) | instid1(VALU_DEP_1)
	v_clz_i32_u32_e32 v7, v9
	v_min_u32_e32 v7, 32, v7
	s_delay_alu instid0(VALU_DEP_1) | instskip(SKIP_1) | instid1(VALU_DEP_2)
	v_subrev_nc_u32_e32 v112, 28, v7
	v_sub_nc_u32_e32 v7, 29, v7
	v_lshlrev_b64 v[112:113], v112, v[9:10]
	s_delay_alu instid0(VALU_DEP_1)
	v_and_b32_e32 v9, 7, v112
; %bb.998:                              ;   in Loop: Header=BB436_806 Depth=1
	s_or_b32 exec_lo, exec_lo, s16
	v_lshlrev_b32_e32 v6, 24, v6
	s_delay_alu instid0(VALU_DEP_2) | instskip(SKIP_1) | instid1(VALU_DEP_3)
	v_lshlrev_b32_e32 v9, 20, v9
	v_lshl_add_u32 v7, v7, 23, 0x3c000000
	v_and_b32_e32 v6, 0x80000000, v6
	s_delay_alu instid0(VALU_DEP_1)
	v_or3_b32 v7, v9, v6, v7
.LBB436_999:                            ;   in Loop: Header=BB436_806 Depth=1
	s_or_b32 exec_lo, exec_lo, s15
.LBB436_1000:                           ;   in Loop: Header=BB436_806 Depth=1
	s_delay_alu instid0(SALU_CYCLE_1)
	s_or_b32 exec_lo, exec_lo, s13
.LBB436_1001:                           ;   in Loop: Header=BB436_806 Depth=1
	s_delay_alu instid0(SALU_CYCLE_1) | instskip(NEXT) | instid1(VALU_DEP_1)
	s_or_b32 exec_lo, exec_lo, s12
	v_mul_f32_e32 v6, v8, v7
                                        ; implicit-def: $vgpr112
	s_delay_alu instid0(VALU_DEP_1) | instskip(NEXT) | instid1(VALU_DEP_1)
	v_and_b32_e32 v7, 0x7f800000, v6
	v_cmp_ne_u32_e64 s0, 0x7f800000, v7
	s_delay_alu instid0(VALU_DEP_1) | instskip(NEXT) | instid1(SALU_CYCLE_1)
	s_and_saveexec_b32 s12, s0
	s_xor_b32 s0, exec_lo, s12
; %bb.1002:                             ;   in Loop: Header=BB436_806 Depth=1
	v_bfe_u32 v7, v6, 16, 1
	s_delay_alu instid0(VALU_DEP_1)
	v_add3_u32 v112, v6, v7, 0x7fff
                                        ; implicit-def: $vgpr6
; %bb.1003:                             ;   in Loop: Header=BB436_806 Depth=1
	s_and_not1_saveexec_b32 s12, s0
; %bb.1004:                             ;   in Loop: Header=BB436_806 Depth=1
	v_and_b32_e32 v7, 0xffff, v6
	v_or_b32_e32 v9, 0x10000, v6
	s_delay_alu instid0(VALU_DEP_2) | instskip(NEXT) | instid1(VALU_DEP_1)
	v_cmp_eq_u32_e64 s0, 0, v7
	v_cndmask_b32_e64 v112, v9, v6, s0
; %bb.1005:                             ;   in Loop: Header=BB436_806 Depth=1
	s_or_b32 exec_lo, exec_lo, s12
	v_mov_b32_e32 v7, 0
	s_mov_b32 s12, exec_lo
	v_cmpx_lt_u32_e32 0xffffff, v2
	s_cbranch_execz .LBB436_1013
; %bb.1006:                             ;   in Loop: Header=BB436_806 Depth=1
	v_lshrrev_b32_e32 v6, 24, v2
	v_bfrev_b32_e32 v7, 1
	s_mov_b32 s13, exec_lo
	s_delay_alu instid0(VALU_DEP_2)
	v_cmpx_ne_u32_e32 0x80, v6
	s_cbranch_execz .LBB436_1012
; %bb.1007:                             ;   in Loop: Header=BB436_806 Depth=1
	v_bfe_u32 v113, v2, 24, 7
	v_mov_b32_e32 v7, 0x7f800001
	s_mov_b32 s15, exec_lo
	s_delay_alu instid0(VALU_DEP_2)
	v_cmpx_ne_u32_e32 0x7f, v113
	s_cbranch_execz .LBB436_1011
; %bb.1008:                             ;   in Loop: Header=BB436_806 Depth=1
	v_and_b32_e32 v9, 7, v6
	v_lshrrev_b32_e32 v7, 3, v113
	s_mov_b32 s16, exec_lo
	v_cmpx_gt_u32_e32 8, v113
; %bb.1009:                             ;   in Loop: Header=BB436_806 Depth=1
	s_delay_alu instid0(VALU_DEP_3) | instskip(NEXT) | instid1(VALU_DEP_1)
	v_clz_i32_u32_e32 v7, v9
	v_min_u32_e32 v7, 32, v7
	s_delay_alu instid0(VALU_DEP_1) | instskip(SKIP_1) | instid1(VALU_DEP_2)
	v_subrev_nc_u32_e32 v113, 28, v7
	v_sub_nc_u32_e32 v7, 29, v7
	v_lshlrev_b64 v[113:114], v113, v[9:10]
	s_delay_alu instid0(VALU_DEP_1)
	v_and_b32_e32 v9, 7, v113
; %bb.1010:                             ;   in Loop: Header=BB436_806 Depth=1
	s_or_b32 exec_lo, exec_lo, s16
	v_lshlrev_b32_e32 v6, 24, v6
	s_delay_alu instid0(VALU_DEP_2) | instskip(SKIP_1) | instid1(VALU_DEP_3)
	v_lshlrev_b32_e32 v9, 20, v9
	v_lshl_add_u32 v7, v7, 23, 0x3c000000
	v_and_b32_e32 v6, 0x80000000, v6
	s_delay_alu instid0(VALU_DEP_1)
	v_or3_b32 v7, v9, v6, v7
.LBB436_1011:                           ;   in Loop: Header=BB436_806 Depth=1
	s_or_b32 exec_lo, exec_lo, s15
.LBB436_1012:                           ;   in Loop: Header=BB436_806 Depth=1
	s_delay_alu instid0(SALU_CYCLE_1)
	s_or_b32 exec_lo, exec_lo, s13
.LBB436_1013:                           ;   in Loop: Header=BB436_806 Depth=1
	s_delay_alu instid0(SALU_CYCLE_1) | instskip(NEXT) | instid1(VALU_DEP_1)
	s_or_b32 exec_lo, exec_lo, s12
	v_mul_f32_e32 v6, v8, v7
                                        ; implicit-def: $vgpr113
	s_delay_alu instid0(VALU_DEP_1) | instskip(NEXT) | instid1(VALU_DEP_1)
	v_and_b32_e32 v7, 0x7f800000, v6
	v_cmp_ne_u32_e64 s0, 0x7f800000, v7
	s_delay_alu instid0(VALU_DEP_1) | instskip(NEXT) | instid1(SALU_CYCLE_1)
	s_and_saveexec_b32 s12, s0
	s_xor_b32 s0, exec_lo, s12
; %bb.1014:                             ;   in Loop: Header=BB436_806 Depth=1
	v_bfe_u32 v7, v6, 16, 1
	s_delay_alu instid0(VALU_DEP_1)
	v_add3_u32 v113, v6, v7, 0x7fff
                                        ; implicit-def: $vgpr6
; %bb.1015:                             ;   in Loop: Header=BB436_806 Depth=1
	s_and_not1_saveexec_b32 s12, s0
; %bb.1016:                             ;   in Loop: Header=BB436_806 Depth=1
	v_and_b32_e32 v7, 0xffff, v6
	v_or_b32_e32 v9, 0x10000, v6
	s_delay_alu instid0(VALU_DEP_2) | instskip(NEXT) | instid1(VALU_DEP_1)
	v_cmp_eq_u32_e64 s0, 0, v7
	v_cndmask_b32_e64 v113, v9, v6, s0
; %bb.1017:                             ;   in Loop: Header=BB436_806 Depth=1
	s_or_b32 exec_lo, exec_lo, s12
	v_dual_mov_b32 v6, 0 :: v_dual_and_b32 v7, 0xff, v3
	v_mov_b32_e32 v9, v3
	s_mov_b32 s12, exec_lo
	s_delay_alu instid0(VALU_DEP_2)
	v_cmpx_ne_u16_e32 0, v7
	s_cbranch_execz .LBB436_1025
; %bb.1018:                             ;   in Loop: Header=BB436_806 Depth=1
	v_bfrev_b32_e32 v6, 1
	s_mov_b32 s13, exec_lo
	v_cmpx_ne_u16_e32 0x80, v7
	s_cbranch_execz .LBB436_1024
; %bb.1019:                             ;   in Loop: Header=BB436_806 Depth=1
	v_and_b32_e32 v7, 0x7f, v3
	v_mov_b32_e32 v6, 0x7f800001
	s_mov_b32 s15, exec_lo
	s_delay_alu instid0(VALU_DEP_2)
	v_cmpx_ne_u32_e32 0x7f, v7
	s_cbranch_execz .LBB436_1023
; %bb.1020:                             ;   in Loop: Header=BB436_806 Depth=1
	v_lshrrev_b32_e32 v114, 3, v7
	v_cmp_gt_u32_e64 s0, 8, v7
	v_dual_mov_b32 v6, v9 :: v_dual_mov_b32 v7, v10
	s_delay_alu instid0(VALU_DEP_2)
	s_and_saveexec_b32 s16, s0
; %bb.1021:                             ;   in Loop: Header=BB436_806 Depth=1
	v_and_b32_e32 v6, 7, v3
	s_delay_alu instid0(VALU_DEP_1) | instskip(NEXT) | instid1(VALU_DEP_1)
	v_clz_i32_u32_e32 v6, v6
	v_min_u32_e32 v114, 32, v6
	s_delay_alu instid0(VALU_DEP_1) | instskip(SKIP_1) | instid1(VALU_DEP_2)
	v_subrev_nc_u32_e32 v6, 28, v114
	v_sub_nc_u32_e32 v114, 29, v114
	v_lshlrev_b64 v[6:7], v6, v[9:10]
; %bb.1022:                             ;   in Loop: Header=BB436_806 Depth=1
	s_or_b32 exec_lo, exec_lo, s16
	s_delay_alu instid0(VALU_DEP_1) | instskip(SKIP_2) | instid1(VALU_DEP_3)
	v_lshlrev_b32_e32 v6, 20, v6
	v_lshlrev_b32_e32 v7, 24, v9
	v_lshl_add_u32 v114, v114, 23, 0x3c000000
	v_and_b32_e32 v6, 0x700000, v6
	s_delay_alu instid0(VALU_DEP_3) | instskip(NEXT) | instid1(VALU_DEP_1)
	v_and_b32_e32 v7, 0x80000000, v7
	v_or3_b32 v6, v6, v7, v114
.LBB436_1023:                           ;   in Loop: Header=BB436_806 Depth=1
	s_or_b32 exec_lo, exec_lo, s15
.LBB436_1024:                           ;   in Loop: Header=BB436_806 Depth=1
	s_delay_alu instid0(SALU_CYCLE_1)
	s_or_b32 exec_lo, exec_lo, s13
.LBB436_1025:                           ;   in Loop: Header=BB436_806 Depth=1
	s_delay_alu instid0(SALU_CYCLE_1) | instskip(NEXT) | instid1(VALU_DEP_1)
	s_or_b32 exec_lo, exec_lo, s12
	v_mul_f32_e32 v6, v8, v6
                                        ; implicit-def: $vgpr114
	s_delay_alu instid0(VALU_DEP_1) | instskip(NEXT) | instid1(VALU_DEP_1)
	v_and_b32_e32 v7, 0x7f800000, v6
	v_cmp_ne_u32_e64 s0, 0x7f800000, v7
	s_delay_alu instid0(VALU_DEP_1) | instskip(NEXT) | instid1(SALU_CYCLE_1)
	s_and_saveexec_b32 s12, s0
	s_xor_b32 s0, exec_lo, s12
; %bb.1026:                             ;   in Loop: Header=BB436_806 Depth=1
	v_bfe_u32 v7, v6, 16, 1
	s_delay_alu instid0(VALU_DEP_1)
	v_add3_u32 v114, v6, v7, 0x7fff
                                        ; implicit-def: $vgpr6
; %bb.1027:                             ;   in Loop: Header=BB436_806 Depth=1
	s_and_not1_saveexec_b32 s12, s0
; %bb.1028:                             ;   in Loop: Header=BB436_806 Depth=1
	v_and_b32_e32 v7, 0xffff, v6
	v_or_b32_e32 v114, 0x10000, v6
	s_delay_alu instid0(VALU_DEP_2) | instskip(NEXT) | instid1(VALU_DEP_1)
	v_cmp_eq_u32_e64 s0, 0, v7
	v_cndmask_b32_e64 v114, v114, v6, s0
; %bb.1029:                             ;   in Loop: Header=BB436_806 Depth=1
	s_or_b32 exec_lo, exec_lo, s12
	v_lshrrev_b16 v7, 8, v9
	v_mov_b32_e32 v6, 0
	s_mov_b32 s12, exec_lo
	s_delay_alu instid0(VALU_DEP_2)
	v_cmpx_ne_u16_e32 0, v7
	s_cbranch_execz .LBB436_1037
; %bb.1030:                             ;   in Loop: Header=BB436_806 Depth=1
	v_bfrev_b32_e32 v6, 1
	s_mov_b32 s13, exec_lo
	v_cmpx_ne_u16_e32 0x80, v7
	s_cbranch_execz .LBB436_1036
; %bb.1031:                             ;   in Loop: Header=BB436_806 Depth=1
	v_and_b32_e32 v7, 0xffff, v7
	v_mov_b32_e32 v6, 0x7f800001
	s_mov_b32 s15, exec_lo
	s_delay_alu instid0(VALU_DEP_2) | instskip(NEXT) | instid1(VALU_DEP_1)
	v_and_b32_e32 v116, 0x7f, v7
	v_cmpx_ne_u32_e32 0x7f, v116
	s_cbranch_execz .LBB436_1035
; %bb.1032:                             ;   in Loop: Header=BB436_806 Depth=1
	v_dual_mov_b32 v7, v10 :: v_dual_and_b32 v6, 7, v7
	v_lshrrev_b32_e32 v115, 3, v116
	s_mov_b32 s16, exec_lo
	v_cmpx_gt_u32_e32 8, v116
; %bb.1033:                             ;   in Loop: Header=BB436_806 Depth=1
	s_delay_alu instid0(VALU_DEP_3) | instskip(NEXT) | instid1(VALU_DEP_1)
	v_clz_i32_u32_e32 v115, v6
	v_min_u32_e32 v115, 32, v115
	s_delay_alu instid0(VALU_DEP_1) | instskip(SKIP_1) | instid1(VALU_DEP_2)
	v_subrev_nc_u32_e32 v116, 28, v115
	v_sub_nc_u32_e32 v115, 29, v115
	v_lshlrev_b64 v[6:7], v116, v[6:7]
	s_delay_alu instid0(VALU_DEP_1)
	v_and_b32_e32 v6, 7, v6
; %bb.1034:                             ;   in Loop: Header=BB436_806 Depth=1
	s_or_b32 exec_lo, exec_lo, s16
	v_lshlrev_b32_e32 v7, 16, v9
	s_delay_alu instid0(VALU_DEP_2) | instskip(SKIP_1) | instid1(VALU_DEP_3)
	v_lshlrev_b32_e32 v6, 20, v6
	v_lshl_add_u32 v9, v115, 23, 0x3c000000
	v_and_b32_e32 v7, 0x80000000, v7
	s_delay_alu instid0(VALU_DEP_1)
	v_or3_b32 v6, v6, v7, v9
.LBB436_1035:                           ;   in Loop: Header=BB436_806 Depth=1
	s_or_b32 exec_lo, exec_lo, s15
.LBB436_1036:                           ;   in Loop: Header=BB436_806 Depth=1
	s_delay_alu instid0(SALU_CYCLE_1)
	s_or_b32 exec_lo, exec_lo, s13
.LBB436_1037:                           ;   in Loop: Header=BB436_806 Depth=1
	s_delay_alu instid0(SALU_CYCLE_1) | instskip(NEXT) | instid1(VALU_DEP_1)
	s_or_b32 exec_lo, exec_lo, s12
	v_mul_f32_e32 v7, v8, v6
	s_delay_alu instid0(VALU_DEP_1) | instskip(NEXT) | instid1(VALU_DEP_1)
	v_and_b32_e32 v6, 0x7f800000, v7
	v_cmp_ne_u32_e64 s0, 0x7f800000, v6
                                        ; implicit-def: $vgpr6
	s_delay_alu instid0(VALU_DEP_1) | instskip(NEXT) | instid1(SALU_CYCLE_1)
	s_and_saveexec_b32 s12, s0
	s_xor_b32 s0, exec_lo, s12
; %bb.1038:                             ;   in Loop: Header=BB436_806 Depth=1
	v_bfe_u32 v6, v7, 16, 1
	s_delay_alu instid0(VALU_DEP_1)
	v_add3_u32 v6, v7, v6, 0x7fff
                                        ; implicit-def: $vgpr7
; %bb.1039:                             ;   in Loop: Header=BB436_806 Depth=1
	s_and_not1_saveexec_b32 s12, s0
; %bb.1040:                             ;   in Loop: Header=BB436_806 Depth=1
	v_and_b32_e32 v6, 0xffff, v7
	v_or_b32_e32 v9, 0x10000, v7
	s_delay_alu instid0(VALU_DEP_2) | instskip(NEXT) | instid1(VALU_DEP_1)
	v_cmp_eq_u32_e64 s0, 0, v6
	v_cndmask_b32_e64 v6, v9, v7, s0
; %bb.1041:                             ;   in Loop: Header=BB436_806 Depth=1
	s_or_b32 exec_lo, exec_lo, s12
	v_lshrrev_b32_e32 v7, 16, v3
	v_mov_b32_e32 v9, 0
	s_mov_b32 s12, exec_lo
	s_delay_alu instid0(VALU_DEP_2) | instskip(NEXT) | instid1(VALU_DEP_1)
	v_and_b32_e32 v115, 0xff, v7
	v_cmpx_ne_u16_e32 0, v115
	s_cbranch_execz .LBB436_1049
; %bb.1042:                             ;   in Loop: Header=BB436_806 Depth=1
	v_bfrev_b32_e32 v9, 1
	s_mov_b32 s13, exec_lo
	v_cmpx_ne_u16_e32 0x80, v115
	s_cbranch_execz .LBB436_1048
; %bb.1043:                             ;   in Loop: Header=BB436_806 Depth=1
	v_bfe_u32 v116, v3, 16, 7
	v_mov_b32_e32 v9, 0x7f800001
	s_mov_b32 s15, exec_lo
	s_delay_alu instid0(VALU_DEP_2)
	v_cmpx_ne_u32_e32 0x7f, v116
	s_cbranch_execz .LBB436_1047
; %bb.1044:                             ;   in Loop: Header=BB436_806 Depth=1
	v_and_b32_e32 v9, 7, v7
	v_lshrrev_b32_e32 v115, 3, v116
	s_mov_b32 s16, exec_lo
	v_cmpx_gt_u32_e32 8, v116
; %bb.1045:                             ;   in Loop: Header=BB436_806 Depth=1
	s_delay_alu instid0(VALU_DEP_3) | instskip(NEXT) | instid1(VALU_DEP_1)
	v_clz_i32_u32_e32 v115, v9
	v_min_u32_e32 v115, 32, v115
	s_delay_alu instid0(VALU_DEP_1) | instskip(SKIP_1) | instid1(VALU_DEP_2)
	v_subrev_nc_u32_e32 v116, 28, v115
	v_sub_nc_u32_e32 v115, 29, v115
	v_lshlrev_b64 v[116:117], v116, v[9:10]
	s_delay_alu instid0(VALU_DEP_1)
	v_and_b32_e32 v9, 7, v116
; %bb.1046:                             ;   in Loop: Header=BB436_806 Depth=1
	s_or_b32 exec_lo, exec_lo, s16
	v_lshlrev_b32_e32 v7, 24, v7
	s_delay_alu instid0(VALU_DEP_2) | instskip(SKIP_1) | instid1(VALU_DEP_3)
	v_lshlrev_b32_e32 v9, 20, v9
	v_lshl_add_u32 v115, v115, 23, 0x3c000000
	v_and_b32_e32 v7, 0x80000000, v7
	s_delay_alu instid0(VALU_DEP_1)
	v_or3_b32 v9, v9, v7, v115
.LBB436_1047:                           ;   in Loop: Header=BB436_806 Depth=1
	s_or_b32 exec_lo, exec_lo, s15
.LBB436_1048:                           ;   in Loop: Header=BB436_806 Depth=1
	s_delay_alu instid0(SALU_CYCLE_1)
	s_or_b32 exec_lo, exec_lo, s13
.LBB436_1049:                           ;   in Loop: Header=BB436_806 Depth=1
	s_delay_alu instid0(SALU_CYCLE_1) | instskip(NEXT) | instid1(VALU_DEP_1)
	s_or_b32 exec_lo, exec_lo, s12
	v_mul_f32_e32 v7, v8, v9
                                        ; implicit-def: $vgpr115
	s_delay_alu instid0(VALU_DEP_1) | instskip(NEXT) | instid1(VALU_DEP_1)
	v_and_b32_e32 v9, 0x7f800000, v7
	v_cmp_ne_u32_e64 s0, 0x7f800000, v9
	s_delay_alu instid0(VALU_DEP_1) | instskip(NEXT) | instid1(SALU_CYCLE_1)
	s_and_saveexec_b32 s12, s0
	s_xor_b32 s0, exec_lo, s12
; %bb.1050:                             ;   in Loop: Header=BB436_806 Depth=1
	v_bfe_u32 v9, v7, 16, 1
	s_delay_alu instid0(VALU_DEP_1)
	v_add3_u32 v115, v7, v9, 0x7fff
                                        ; implicit-def: $vgpr7
; %bb.1051:                             ;   in Loop: Header=BB436_806 Depth=1
	s_and_not1_saveexec_b32 s12, s0
; %bb.1052:                             ;   in Loop: Header=BB436_806 Depth=1
	v_and_b32_e32 v9, 0xffff, v7
	v_or_b32_e32 v115, 0x10000, v7
	s_delay_alu instid0(VALU_DEP_2) | instskip(NEXT) | instid1(VALU_DEP_1)
	v_cmp_eq_u32_e64 s0, 0, v9
	v_cndmask_b32_e64 v115, v115, v7, s0
; %bb.1053:                             ;   in Loop: Header=BB436_806 Depth=1
	s_or_b32 exec_lo, exec_lo, s12
	v_mov_b32_e32 v7, 0
	s_mov_b32 s12, exec_lo
	v_cmpx_lt_u64_e64 s[8:9], v[2:3]
	s_cbranch_execz .LBB436_1061
; %bb.1054:                             ;   in Loop: Header=BB436_806 Depth=1
	v_lshrrev_b32_e32 v2, 24, v3
	v_bfrev_b32_e32 v7, 1
	s_mov_b32 s13, exec_lo
	s_delay_alu instid0(VALU_DEP_2)
	v_cmpx_ne_u32_e32 0x80, v2
	s_cbranch_execz .LBB436_1060
; %bb.1055:                             ;   in Loop: Header=BB436_806 Depth=1
	v_bfe_u32 v116, v3, 24, 7
	v_mov_b32_e32 v7, 0x7f800001
	s_mov_b32 s15, exec_lo
	s_delay_alu instid0(VALU_DEP_2)
	v_cmpx_ne_u32_e32 0x7f, v116
	s_cbranch_execz .LBB436_1059
; %bb.1056:                             ;   in Loop: Header=BB436_806 Depth=1
	v_and_b32_e32 v9, 7, v2
	v_lshrrev_b32_e32 v3, 3, v116
	s_mov_b32 s16, exec_lo
	v_cmpx_gt_u32_e32 8, v116
; %bb.1057:                             ;   in Loop: Header=BB436_806 Depth=1
	s_delay_alu instid0(VALU_DEP_3) | instskip(NEXT) | instid1(VALU_DEP_1)
	v_clz_i32_u32_e32 v3, v9
	v_min_u32_e32 v3, 32, v3
	s_delay_alu instid0(VALU_DEP_1) | instskip(SKIP_1) | instid1(VALU_DEP_2)
	v_subrev_nc_u32_e32 v7, 28, v3
	v_sub_nc_u32_e32 v3, 29, v3
	v_lshlrev_b64 v[116:117], v7, v[9:10]
	s_delay_alu instid0(VALU_DEP_1)
	v_and_b32_e32 v9, 7, v116
; %bb.1058:                             ;   in Loop: Header=BB436_806 Depth=1
	s_or_b32 exec_lo, exec_lo, s16
	v_lshlrev_b32_e32 v2, 24, v2
	s_delay_alu instid0(VALU_DEP_2) | instskip(SKIP_1) | instid1(VALU_DEP_3)
	v_lshlrev_b32_e32 v7, 20, v9
	v_lshl_add_u32 v3, v3, 23, 0x3c000000
	v_and_b32_e32 v2, 0x80000000, v2
	s_delay_alu instid0(VALU_DEP_1)
	v_or3_b32 v7, v7, v2, v3
.LBB436_1059:                           ;   in Loop: Header=BB436_806 Depth=1
	s_or_b32 exec_lo, exec_lo, s15
.LBB436_1060:                           ;   in Loop: Header=BB436_806 Depth=1
	s_delay_alu instid0(SALU_CYCLE_1)
	s_or_b32 exec_lo, exec_lo, s13
.LBB436_1061:                           ;   in Loop: Header=BB436_806 Depth=1
	s_delay_alu instid0(SALU_CYCLE_1) | instskip(NEXT) | instid1(VALU_DEP_1)
	s_or_b32 exec_lo, exec_lo, s12
	v_mul_f32_e32 v3, v8, v7
	s_delay_alu instid0(VALU_DEP_1) | instskip(NEXT) | instid1(VALU_DEP_1)
	v_and_b32_e32 v2, 0x7f800000, v3
	v_cmp_ne_u32_e64 s0, 0x7f800000, v2
                                        ; implicit-def: $vgpr2
	s_delay_alu instid0(VALU_DEP_1) | instskip(NEXT) | instid1(SALU_CYCLE_1)
	s_and_saveexec_b32 s12, s0
	s_xor_b32 s0, exec_lo, s12
; %bb.1062:                             ;   in Loop: Header=BB436_806 Depth=1
	v_bfe_u32 v2, v3, 16, 1
	s_delay_alu instid0(VALU_DEP_1)
	v_add3_u32 v2, v3, v2, 0x7fff
                                        ; implicit-def: $vgpr3
; %bb.1063:                             ;   in Loop: Header=BB436_806 Depth=1
	s_and_not1_saveexec_b32 s12, s0
; %bb.1064:                             ;   in Loop: Header=BB436_806 Depth=1
	v_and_b32_e32 v2, 0xffff, v3
	v_or_b32_e32 v7, 0x10000, v3
	s_delay_alu instid0(VALU_DEP_2) | instskip(NEXT) | instid1(VALU_DEP_1)
	v_cmp_eq_u32_e64 s0, 0, v2
	v_cndmask_b32_e64 v2, v7, v3, s0
; %bb.1065:                             ;   in Loop: Header=BB436_806 Depth=1
	s_or_b32 exec_lo, exec_lo, s12
	v_lshrrev_b32_e32 v6, 16, v6
	v_lshrrev_b32_e32 v7, 16, v114
	;; [unrolled: 1-line block ×8, first 2 shown]
	s_and_saveexec_b32 s12, vcc_lo
	s_cbranch_execz .LBB436_1067
; %bb.1066:                             ;   in Loop: Header=BB436_806 Depth=1
	v_cmp_lt_i32_e64 s0, v70, v38
	s_delay_alu instid0(VALU_DEP_1) | instskip(SKIP_1) | instid1(VALU_DEP_1)
	v_cndmask_b32_e64 v102, 0, v102, s0
	v_cmp_lt_i32_e64 s0, v85, v38
	v_cndmask_b32_e64 v103, 0, v103, s0
	v_cmp_lt_i32_e64 s0, v84, v38
	s_delay_alu instid0(VALU_DEP_1) | instskip(SKIP_1) | instid1(VALU_DEP_1)
	v_cndmask_b32_e64 v112, 0, v112, s0
	v_cmp_lt_i32_e64 s0, v83, v38
	v_cndmask_b32_e64 v9, 0, v9, s0
	v_cmp_lt_i32_e64 s0, v82, v38
	s_delay_alu instid0(VALU_DEP_1) | instskip(SKIP_1) | instid1(VALU_DEP_1)
	v_cndmask_b32_e64 v7, 0, v7, s0
	v_cmp_lt_i32_e64 s0, v81, v38
	v_cndmask_b32_e64 v6, 0, v6, s0
	v_cmp_lt_i32_e64 s0, v80, v38
	s_delay_alu instid0(VALU_DEP_1) | instskip(SKIP_1) | instid1(VALU_DEP_1)
	v_cndmask_b32_e64 v3, 0, v3, s0
	v_cmp_lt_i32_e64 s0, v71, v38
	v_cndmask_b32_e64 v2, 0, v2, s0
.LBB436_1067:                           ;   in Loop: Header=BB436_806 Depth=1
	s_or_b32 exec_lo, exec_lo, s12
	v_lshlrev_b32_e32 v102, 16, v102
	s_delay_alu instid0(VALU_DEP_1) | instskip(NEXT) | instid1(VALU_DEP_1)
	v_mul_f32_e32 v113, v86, v102
	v_and_b32_e32 v102, 0x7f800000, v113
	s_delay_alu instid0(VALU_DEP_1) | instskip(NEXT) | instid1(VALU_DEP_1)
	v_cmp_ne_u32_e64 s0, 0x7f800000, v102
                                        ; implicit-def: $vgpr102
	s_and_saveexec_b32 s12, s0
	s_delay_alu instid0(SALU_CYCLE_1)
	s_xor_b32 s0, exec_lo, s12
; %bb.1068:                             ;   in Loop: Header=BB436_806 Depth=1
	v_bfe_u32 v102, v113, 16, 1
	s_delay_alu instid0(VALU_DEP_1)
	v_add3_u32 v102, v113, v102, 0x7fff
                                        ; implicit-def: $vgpr113
; %bb.1069:                             ;   in Loop: Header=BB436_806 Depth=1
	s_and_not1_saveexec_b32 s12, s0
; %bb.1070:                             ;   in Loop: Header=BB436_806 Depth=1
	v_and_b32_e32 v102, 0xffff, v113
	v_or_b32_e32 v114, 0x10000, v113
	s_delay_alu instid0(VALU_DEP_2) | instskip(NEXT) | instid1(VALU_DEP_1)
	v_cmp_eq_u32_e64 s0, 0, v102
	v_cndmask_b32_e64 v102, v114, v113, s0
; %bb.1071:                             ;   in Loop: Header=BB436_806 Depth=1
	s_or_b32 exec_lo, exec_lo, s12
	v_lshlrev_b32_e32 v103, 16, v103
	s_delay_alu instid0(VALU_DEP_1) | instskip(NEXT) | instid1(VALU_DEP_1)
	v_mul_f32_e32 v113, v87, v103
	v_and_b32_e32 v103, 0x7f800000, v113
	s_delay_alu instid0(VALU_DEP_1) | instskip(NEXT) | instid1(VALU_DEP_1)
	v_cmp_ne_u32_e64 s0, 0x7f800000, v103
                                        ; implicit-def: $vgpr103
	s_and_saveexec_b32 s12, s0
	s_delay_alu instid0(SALU_CYCLE_1)
	s_xor_b32 s0, exec_lo, s12
; %bb.1072:                             ;   in Loop: Header=BB436_806 Depth=1
	v_bfe_u32 v103, v113, 16, 1
	s_delay_alu instid0(VALU_DEP_1)
	v_add3_u32 v103, v113, v103, 0x7fff
                                        ; implicit-def: $vgpr113
; %bb.1073:                             ;   in Loop: Header=BB436_806 Depth=1
	s_and_not1_saveexec_b32 s12, s0
; %bb.1074:                             ;   in Loop: Header=BB436_806 Depth=1
	v_and_b32_e32 v103, 0xffff, v113
	v_or_b32_e32 v114, 0x10000, v113
	s_delay_alu instid0(VALU_DEP_2) | instskip(NEXT) | instid1(VALU_DEP_1)
	v_cmp_eq_u32_e64 s0, 0, v103
	v_cndmask_b32_e64 v103, v114, v113, s0
; %bb.1075:                             ;   in Loop: Header=BB436_806 Depth=1
	s_or_b32 exec_lo, exec_lo, s12
	v_lshlrev_b32_e32 v112, 16, v112
	s_delay_alu instid0(VALU_DEP_1) | instskip(NEXT) | instid1(VALU_DEP_1)
	v_mul_f32_e32 v113, v96, v112
	v_and_b32_e32 v112, 0x7f800000, v113
	s_delay_alu instid0(VALU_DEP_1) | instskip(NEXT) | instid1(VALU_DEP_1)
	v_cmp_ne_u32_e64 s0, 0x7f800000, v112
                                        ; implicit-def: $vgpr112
	s_and_saveexec_b32 s12, s0
	s_delay_alu instid0(SALU_CYCLE_1)
	s_xor_b32 s0, exec_lo, s12
; %bb.1076:                             ;   in Loop: Header=BB436_806 Depth=1
	v_bfe_u32 v112, v113, 16, 1
	s_delay_alu instid0(VALU_DEP_1)
	v_add3_u32 v112, v113, v112, 0x7fff
                                        ; implicit-def: $vgpr113
; %bb.1077:                             ;   in Loop: Header=BB436_806 Depth=1
	s_and_not1_saveexec_b32 s12, s0
; %bb.1078:                             ;   in Loop: Header=BB436_806 Depth=1
	v_and_b32_e32 v112, 0xffff, v113
	v_or_b32_e32 v114, 0x10000, v113
	s_delay_alu instid0(VALU_DEP_2) | instskip(NEXT) | instid1(VALU_DEP_1)
	v_cmp_eq_u32_e64 s0, 0, v112
	v_cndmask_b32_e64 v112, v114, v113, s0
; %bb.1079:                             ;   in Loop: Header=BB436_806 Depth=1
	s_or_b32 exec_lo, exec_lo, s12
	v_lshlrev_b32_e32 v9, 16, v9
	s_delay_alu instid0(VALU_DEP_1) | instskip(NEXT) | instid1(VALU_DEP_1)
	v_mul_f32_e32 v9, v97, v9
	v_and_b32_e32 v113, 0x7f800000, v9
	s_delay_alu instid0(VALU_DEP_1) | instskip(NEXT) | instid1(VALU_DEP_1)
	v_cmp_ne_u32_e64 s0, 0x7f800000, v113
                                        ; implicit-def: $vgpr113
	s_and_saveexec_b32 s12, s0
	s_delay_alu instid0(SALU_CYCLE_1)
	s_xor_b32 s0, exec_lo, s12
; %bb.1080:                             ;   in Loop: Header=BB436_806 Depth=1
	v_bfe_u32 v113, v9, 16, 1
	s_delay_alu instid0(VALU_DEP_1)
	v_add3_u32 v113, v9, v113, 0x7fff
                                        ; implicit-def: $vgpr9
; %bb.1081:                             ;   in Loop: Header=BB436_806 Depth=1
	s_and_not1_saveexec_b32 s12, s0
; %bb.1082:                             ;   in Loop: Header=BB436_806 Depth=1
	v_and_b32_e32 v113, 0xffff, v9
	v_or_b32_e32 v114, 0x10000, v9
	s_delay_alu instid0(VALU_DEP_2) | instskip(NEXT) | instid1(VALU_DEP_1)
	v_cmp_eq_u32_e64 s0, 0, v113
	v_cndmask_b32_e64 v113, v114, v9, s0
; %bb.1083:                             ;   in Loop: Header=BB436_806 Depth=1
	s_or_b32 exec_lo, exec_lo, s12
	v_lshlrev_b32_e32 v7, 16, v7
                                        ; implicit-def: $vgpr114
	s_delay_alu instid0(VALU_DEP_1) | instskip(NEXT) | instid1(VALU_DEP_1)
	v_mul_f32_e32 v7, v98, v7
	v_and_b32_e32 v9, 0x7f800000, v7
	s_delay_alu instid0(VALU_DEP_1) | instskip(NEXT) | instid1(VALU_DEP_1)
	v_cmp_ne_u32_e64 s0, 0x7f800000, v9
	s_and_saveexec_b32 s12, s0
	s_delay_alu instid0(SALU_CYCLE_1)
	s_xor_b32 s0, exec_lo, s12
; %bb.1084:                             ;   in Loop: Header=BB436_806 Depth=1
	v_bfe_u32 v9, v7, 16, 1
	s_delay_alu instid0(VALU_DEP_1)
	v_add3_u32 v114, v7, v9, 0x7fff
                                        ; implicit-def: $vgpr7
; %bb.1085:                             ;   in Loop: Header=BB436_806 Depth=1
	s_and_not1_saveexec_b32 s12, s0
; %bb.1086:                             ;   in Loop: Header=BB436_806 Depth=1
	v_and_b32_e32 v9, 0xffff, v7
	v_or_b32_e32 v114, 0x10000, v7
	s_delay_alu instid0(VALU_DEP_2) | instskip(NEXT) | instid1(VALU_DEP_1)
	v_cmp_eq_u32_e64 s0, 0, v9
	v_cndmask_b32_e64 v114, v114, v7, s0
; %bb.1087:                             ;   in Loop: Header=BB436_806 Depth=1
	s_or_b32 exec_lo, exec_lo, s12
	v_lshlrev_b32_e32 v6, 16, v6
                                        ; implicit-def: $vgpr115
	s_delay_alu instid0(VALU_DEP_1) | instskip(NEXT) | instid1(VALU_DEP_1)
	v_mul_f32_e32 v6, v99, v6
	v_and_b32_e32 v7, 0x7f800000, v6
	s_delay_alu instid0(VALU_DEP_1) | instskip(NEXT) | instid1(VALU_DEP_1)
	v_cmp_ne_u32_e64 s0, 0x7f800000, v7
	s_and_saveexec_b32 s12, s0
	s_delay_alu instid0(SALU_CYCLE_1)
	s_xor_b32 s0, exec_lo, s12
; %bb.1088:                             ;   in Loop: Header=BB436_806 Depth=1
	v_bfe_u32 v7, v6, 16, 1
	s_delay_alu instid0(VALU_DEP_1)
	v_add3_u32 v115, v6, v7, 0x7fff
                                        ; implicit-def: $vgpr6
; %bb.1089:                             ;   in Loop: Header=BB436_806 Depth=1
	s_and_not1_saveexec_b32 s12, s0
; %bb.1090:                             ;   in Loop: Header=BB436_806 Depth=1
	v_and_b32_e32 v7, 0xffff, v6
	v_or_b32_e32 v9, 0x10000, v6
	s_delay_alu instid0(VALU_DEP_2) | instskip(NEXT) | instid1(VALU_DEP_1)
	v_cmp_eq_u32_e64 s0, 0, v7
	v_cndmask_b32_e64 v115, v9, v6, s0
; %bb.1091:                             ;   in Loop: Header=BB436_806 Depth=1
	s_or_b32 exec_lo, exec_lo, s12
	v_lshlrev_b32_e32 v3, 16, v3
                                        ; implicit-def: $vgpr116
	s_delay_alu instid0(VALU_DEP_1) | instskip(NEXT) | instid1(VALU_DEP_1)
	v_mul_f32_e32 v3, v100, v3
	v_and_b32_e32 v6, 0x7f800000, v3
	s_delay_alu instid0(VALU_DEP_1) | instskip(NEXT) | instid1(VALU_DEP_1)
	v_cmp_ne_u32_e64 s0, 0x7f800000, v6
	s_and_saveexec_b32 s12, s0
	s_delay_alu instid0(SALU_CYCLE_1)
	s_xor_b32 s0, exec_lo, s12
; %bb.1092:                             ;   in Loop: Header=BB436_806 Depth=1
	v_bfe_u32 v6, v3, 16, 1
	s_delay_alu instid0(VALU_DEP_1)
	v_add3_u32 v116, v3, v6, 0x7fff
                                        ; implicit-def: $vgpr3
; %bb.1093:                             ;   in Loop: Header=BB436_806 Depth=1
	s_and_not1_saveexec_b32 s12, s0
; %bb.1094:                             ;   in Loop: Header=BB436_806 Depth=1
	v_and_b32_e32 v6, 0xffff, v3
	v_or_b32_e32 v7, 0x10000, v3
	s_delay_alu instid0(VALU_DEP_2) | instskip(NEXT) | instid1(VALU_DEP_1)
	v_cmp_eq_u32_e64 s0, 0, v6
	v_cndmask_b32_e64 v116, v7, v3, s0
; %bb.1095:                             ;   in Loop: Header=BB436_806 Depth=1
	s_or_b32 exec_lo, exec_lo, s12
	v_lshlrev_b32_e32 v2, 16, v2
                                        ; implicit-def: $vgpr117
	s_delay_alu instid0(VALU_DEP_1) | instskip(NEXT) | instid1(VALU_DEP_1)
	v_mul_f32_e32 v2, v101, v2
	v_and_b32_e32 v3, 0x7f800000, v2
	s_delay_alu instid0(VALU_DEP_1) | instskip(NEXT) | instid1(VALU_DEP_1)
	v_cmp_ne_u32_e64 s0, 0x7f800000, v3
	s_and_saveexec_b32 s12, s0
	s_delay_alu instid0(SALU_CYCLE_1)
	s_xor_b32 s0, exec_lo, s12
; %bb.1096:                             ;   in Loop: Header=BB436_806 Depth=1
	v_bfe_u32 v3, v2, 16, 1
	s_delay_alu instid0(VALU_DEP_1)
	v_add3_u32 v117, v2, v3, 0x7fff
                                        ; implicit-def: $vgpr2
; %bb.1097:                             ;   in Loop: Header=BB436_806 Depth=1
	s_and_not1_saveexec_b32 s12, s0
; %bb.1098:                             ;   in Loop: Header=BB436_806 Depth=1
	v_and_b32_e32 v3, 0xffff, v2
	v_or_b32_e32 v6, 0x10000, v2
	s_delay_alu instid0(VALU_DEP_2) | instskip(NEXT) | instid1(VALU_DEP_1)
	v_cmp_eq_u32_e64 s0, 0, v3
	v_cndmask_b32_e64 v117, v6, v2, s0
; %bb.1099:                             ;   in Loop: Header=BB436_806 Depth=1
	s_or_b32 exec_lo, exec_lo, s12
	flat_load_b64 v[2:3], v[0:1] offset:512
	s_mov_b32 s12, exec_lo
	s_waitcnt vmcnt(0) lgkmcnt(0)
	v_dual_mov_b32 v6, 0 :: v_dual_and_b32 v7, 0xff, v2
	s_delay_alu instid0(VALU_DEP_1)
	v_cmpx_ne_u16_e32 0, v7
	s_cbranch_execz .LBB436_1107
; %bb.1100:                             ;   in Loop: Header=BB436_806 Depth=1
	v_bfrev_b32_e32 v6, 1
	s_mov_b32 s13, exec_lo
	v_cmpx_ne_u16_e32 0x80, v7
	s_cbranch_execz .LBB436_1106
; %bb.1101:                             ;   in Loop: Header=BB436_806 Depth=1
	v_and_b32_e32 v7, 0x7f, v2
	v_mov_b32_e32 v6, 0x7f800001
	s_mov_b32 s15, exec_lo
	s_delay_alu instid0(VALU_DEP_2)
	v_cmpx_ne_u32_e32 0x7f, v7
	s_cbranch_execz .LBB436_1105
; %bb.1102:                             ;   in Loop: Header=BB436_806 Depth=1
	v_lshrrev_b32_e32 v9, 3, v7
	v_cmp_gt_u32_e64 s0, 8, v7
	v_dual_mov_b32 v7, v3 :: v_dual_mov_b32 v6, v2
	s_delay_alu instid0(VALU_DEP_2)
	s_and_saveexec_b32 s16, s0
; %bb.1103:                             ;   in Loop: Header=BB436_806 Depth=1
	v_and_b32_e32 v6, 7, v2
	s_delay_alu instid0(VALU_DEP_1) | instskip(NEXT) | instid1(VALU_DEP_1)
	v_clz_i32_u32_e32 v6, v6
	v_min_u32_e32 v9, 32, v6
	s_delay_alu instid0(VALU_DEP_1) | instskip(SKIP_1) | instid1(VALU_DEP_2)
	v_subrev_nc_u32_e32 v6, 28, v9
	v_sub_nc_u32_e32 v9, 29, v9
	v_lshlrev_b64 v[6:7], v6, v[2:3]
; %bb.1104:                             ;   in Loop: Header=BB436_806 Depth=1
	s_or_b32 exec_lo, exec_lo, s16
	s_delay_alu instid0(VALU_DEP_1) | instskip(SKIP_2) | instid1(VALU_DEP_3)
	v_lshlrev_b32_e32 v6, 20, v6
	v_lshlrev_b32_e32 v7, 24, v2
	v_lshl_add_u32 v9, v9, 23, 0x3c000000
	v_and_b32_e32 v6, 0x700000, v6
	s_delay_alu instid0(VALU_DEP_3) | instskip(NEXT) | instid1(VALU_DEP_1)
	v_and_b32_e32 v7, 0x80000000, v7
	v_or3_b32 v6, v6, v7, v9
.LBB436_1105:                           ;   in Loop: Header=BB436_806 Depth=1
	s_or_b32 exec_lo, exec_lo, s15
.LBB436_1106:                           ;   in Loop: Header=BB436_806 Depth=1
	s_delay_alu instid0(SALU_CYCLE_1)
	s_or_b32 exec_lo, exec_lo, s13
.LBB436_1107:                           ;   in Loop: Header=BB436_806 Depth=1
	s_delay_alu instid0(SALU_CYCLE_1) | instskip(NEXT) | instid1(VALU_DEP_1)
	s_or_b32 exec_lo, exec_lo, s12
	v_mul_f32_e32 v6, v8, v6
                                        ; implicit-def: $vgpr118
	s_delay_alu instid0(VALU_DEP_1) | instskip(NEXT) | instid1(VALU_DEP_1)
	v_and_b32_e32 v7, 0x7f800000, v6
	v_cmp_ne_u32_e64 s0, 0x7f800000, v7
	s_delay_alu instid0(VALU_DEP_1) | instskip(NEXT) | instid1(SALU_CYCLE_1)
	s_and_saveexec_b32 s12, s0
	s_xor_b32 s0, exec_lo, s12
; %bb.1108:                             ;   in Loop: Header=BB436_806 Depth=1
	v_bfe_u32 v7, v6, 16, 1
	s_delay_alu instid0(VALU_DEP_1)
	v_add3_u32 v118, v6, v7, 0x7fff
                                        ; implicit-def: $vgpr6
; %bb.1109:                             ;   in Loop: Header=BB436_806 Depth=1
	s_and_not1_saveexec_b32 s12, s0
; %bb.1110:                             ;   in Loop: Header=BB436_806 Depth=1
	v_and_b32_e32 v7, 0xffff, v6
	v_or_b32_e32 v9, 0x10000, v6
	s_delay_alu instid0(VALU_DEP_2) | instskip(NEXT) | instid1(VALU_DEP_1)
	v_cmp_eq_u32_e64 s0, 0, v7
	v_cndmask_b32_e64 v118, v9, v6, s0
; %bb.1111:                             ;   in Loop: Header=BB436_806 Depth=1
	s_or_b32 exec_lo, exec_lo, s12
	v_lshrrev_b16 v7, 8, v2
	v_mov_b32_e32 v6, 0
	s_mov_b32 s12, exec_lo
	s_delay_alu instid0(VALU_DEP_2)
	v_cmpx_ne_u16_e32 0, v7
	s_cbranch_execz .LBB436_1119
; %bb.1112:                             ;   in Loop: Header=BB436_806 Depth=1
	v_bfrev_b32_e32 v6, 1
	s_mov_b32 s13, exec_lo
	v_cmpx_ne_u16_e32 0x80, v7
	s_cbranch_execz .LBB436_1118
; %bb.1113:                             ;   in Loop: Header=BB436_806 Depth=1
	v_and_b32_e32 v9, 0xffff, v7
	v_mov_b32_e32 v6, 0x7f800001
	s_mov_b32 s15, exec_lo
	s_delay_alu instid0(VALU_DEP_2) | instskip(NEXT) | instid1(VALU_DEP_1)
	v_and_b32_e32 v7, 0x7f, v9
	v_cmpx_ne_u32_e32 0x7f, v7
	s_cbranch_execz .LBB436_1117
; %bb.1114:                             ;   in Loop: Header=BB436_806 Depth=1
	v_and_b32_e32 v9, 7, v9
	v_lshrrev_b32_e32 v6, 3, v7
	s_mov_b32 s16, exec_lo
	v_cmpx_gt_u32_e32 8, v7
; %bb.1115:                             ;   in Loop: Header=BB436_806 Depth=1
	s_delay_alu instid0(VALU_DEP_3) | instskip(NEXT) | instid1(VALU_DEP_1)
	v_clz_i32_u32_e32 v6, v9
	v_min_u32_e32 v6, 32, v6
	s_delay_alu instid0(VALU_DEP_1) | instskip(SKIP_1) | instid1(VALU_DEP_2)
	v_subrev_nc_u32_e32 v7, 28, v6
	v_sub_nc_u32_e32 v6, 29, v6
	v_lshlrev_b64 v[128:129], v7, v[9:10]
	s_delay_alu instid0(VALU_DEP_1)
	v_and_b32_e32 v9, 7, v128
; %bb.1116:                             ;   in Loop: Header=BB436_806 Depth=1
	s_or_b32 exec_lo, exec_lo, s16
	v_lshlrev_b32_e32 v7, 16, v2
	s_delay_alu instid0(VALU_DEP_2) | instskip(SKIP_1) | instid1(VALU_DEP_3)
	v_lshlrev_b32_e32 v9, 20, v9
	v_lshl_add_u32 v6, v6, 23, 0x3c000000
	v_and_b32_e32 v7, 0x80000000, v7
	s_delay_alu instid0(VALU_DEP_1)
	v_or3_b32 v6, v9, v7, v6
.LBB436_1117:                           ;   in Loop: Header=BB436_806 Depth=1
	s_or_b32 exec_lo, exec_lo, s15
.LBB436_1118:                           ;   in Loop: Header=BB436_806 Depth=1
	s_delay_alu instid0(SALU_CYCLE_1)
	s_or_b32 exec_lo, exec_lo, s13
.LBB436_1119:                           ;   in Loop: Header=BB436_806 Depth=1
	s_delay_alu instid0(SALU_CYCLE_1) | instskip(NEXT) | instid1(VALU_DEP_1)
	s_or_b32 exec_lo, exec_lo, s12
	v_mul_f32_e32 v6, v8, v6
                                        ; implicit-def: $vgpr119
	s_delay_alu instid0(VALU_DEP_1) | instskip(NEXT) | instid1(VALU_DEP_1)
	v_and_b32_e32 v7, 0x7f800000, v6
	v_cmp_ne_u32_e64 s0, 0x7f800000, v7
	s_delay_alu instid0(VALU_DEP_1) | instskip(NEXT) | instid1(SALU_CYCLE_1)
	s_and_saveexec_b32 s12, s0
	s_xor_b32 s0, exec_lo, s12
; %bb.1120:                             ;   in Loop: Header=BB436_806 Depth=1
	v_bfe_u32 v7, v6, 16, 1
	s_delay_alu instid0(VALU_DEP_1)
	v_add3_u32 v119, v6, v7, 0x7fff
                                        ; implicit-def: $vgpr6
; %bb.1121:                             ;   in Loop: Header=BB436_806 Depth=1
	s_and_not1_saveexec_b32 s12, s0
; %bb.1122:                             ;   in Loop: Header=BB436_806 Depth=1
	v_and_b32_e32 v7, 0xffff, v6
	v_or_b32_e32 v9, 0x10000, v6
	s_delay_alu instid0(VALU_DEP_2) | instskip(NEXT) | instid1(VALU_DEP_1)
	v_cmp_eq_u32_e64 s0, 0, v7
	v_cndmask_b32_e64 v119, v9, v6, s0
; %bb.1123:                             ;   in Loop: Header=BB436_806 Depth=1
	s_or_b32 exec_lo, exec_lo, s12
	v_lshrrev_b32_e32 v6, 16, v2
	v_mov_b32_e32 v7, 0
	s_mov_b32 s12, exec_lo
	s_delay_alu instid0(VALU_DEP_2) | instskip(NEXT) | instid1(VALU_DEP_1)
	v_and_b32_e32 v9, 0xff, v6
	v_cmpx_ne_u16_e32 0, v9
	s_cbranch_execz .LBB436_1131
; %bb.1124:                             ;   in Loop: Header=BB436_806 Depth=1
	v_bfrev_b32_e32 v7, 1
	s_mov_b32 s13, exec_lo
	v_cmpx_ne_u16_e32 0x80, v9
	s_cbranch_execz .LBB436_1130
; %bb.1125:                             ;   in Loop: Header=BB436_806 Depth=1
	v_bfe_u32 v128, v2, 16, 7
	v_mov_b32_e32 v7, 0x7f800001
	s_mov_b32 s15, exec_lo
	s_delay_alu instid0(VALU_DEP_2)
	v_cmpx_ne_u32_e32 0x7f, v128
	s_cbranch_execz .LBB436_1129
; %bb.1126:                             ;   in Loop: Header=BB436_806 Depth=1
	v_and_b32_e32 v9, 7, v6
	v_lshrrev_b32_e32 v7, 3, v128
	s_mov_b32 s16, exec_lo
	v_cmpx_gt_u32_e32 8, v128
; %bb.1127:                             ;   in Loop: Header=BB436_806 Depth=1
	s_delay_alu instid0(VALU_DEP_3) | instskip(NEXT) | instid1(VALU_DEP_1)
	v_clz_i32_u32_e32 v7, v9
	v_min_u32_e32 v7, 32, v7
	s_delay_alu instid0(VALU_DEP_1) | instskip(SKIP_1) | instid1(VALU_DEP_2)
	v_subrev_nc_u32_e32 v128, 28, v7
	v_sub_nc_u32_e32 v7, 29, v7
	v_lshlrev_b64 v[128:129], v128, v[9:10]
	s_delay_alu instid0(VALU_DEP_1)
	v_and_b32_e32 v9, 7, v128
; %bb.1128:                             ;   in Loop: Header=BB436_806 Depth=1
	s_or_b32 exec_lo, exec_lo, s16
	v_lshlrev_b32_e32 v6, 24, v6
	s_delay_alu instid0(VALU_DEP_2) | instskip(SKIP_1) | instid1(VALU_DEP_3)
	v_lshlrev_b32_e32 v9, 20, v9
	v_lshl_add_u32 v7, v7, 23, 0x3c000000
	v_and_b32_e32 v6, 0x80000000, v6
	s_delay_alu instid0(VALU_DEP_1)
	v_or3_b32 v7, v9, v6, v7
.LBB436_1129:                           ;   in Loop: Header=BB436_806 Depth=1
	s_or_b32 exec_lo, exec_lo, s15
.LBB436_1130:                           ;   in Loop: Header=BB436_806 Depth=1
	s_delay_alu instid0(SALU_CYCLE_1)
	s_or_b32 exec_lo, exec_lo, s13
.LBB436_1131:                           ;   in Loop: Header=BB436_806 Depth=1
	s_delay_alu instid0(SALU_CYCLE_1) | instskip(NEXT) | instid1(VALU_DEP_1)
	s_or_b32 exec_lo, exec_lo, s12
	v_mul_f32_e32 v6, v8, v7
                                        ; implicit-def: $vgpr128
	s_delay_alu instid0(VALU_DEP_1) | instskip(NEXT) | instid1(VALU_DEP_1)
	v_and_b32_e32 v7, 0x7f800000, v6
	v_cmp_ne_u32_e64 s0, 0x7f800000, v7
	s_delay_alu instid0(VALU_DEP_1) | instskip(NEXT) | instid1(SALU_CYCLE_1)
	s_and_saveexec_b32 s12, s0
	s_xor_b32 s0, exec_lo, s12
; %bb.1132:                             ;   in Loop: Header=BB436_806 Depth=1
	v_bfe_u32 v7, v6, 16, 1
	s_delay_alu instid0(VALU_DEP_1)
	v_add3_u32 v128, v6, v7, 0x7fff
                                        ; implicit-def: $vgpr6
; %bb.1133:                             ;   in Loop: Header=BB436_806 Depth=1
	s_and_not1_saveexec_b32 s12, s0
; %bb.1134:                             ;   in Loop: Header=BB436_806 Depth=1
	v_and_b32_e32 v7, 0xffff, v6
	v_or_b32_e32 v9, 0x10000, v6
	s_delay_alu instid0(VALU_DEP_2) | instskip(NEXT) | instid1(VALU_DEP_1)
	v_cmp_eq_u32_e64 s0, 0, v7
	v_cndmask_b32_e64 v128, v9, v6, s0
; %bb.1135:                             ;   in Loop: Header=BB436_806 Depth=1
	s_or_b32 exec_lo, exec_lo, s12
	v_mov_b32_e32 v7, 0
	s_mov_b32 s12, exec_lo
	v_cmpx_lt_u32_e32 0xffffff, v2
	s_cbranch_execz .LBB436_1143
; %bb.1136:                             ;   in Loop: Header=BB436_806 Depth=1
	v_lshrrev_b32_e32 v6, 24, v2
	v_bfrev_b32_e32 v7, 1
	s_mov_b32 s13, exec_lo
	s_delay_alu instid0(VALU_DEP_2)
	v_cmpx_ne_u32_e32 0x80, v6
	s_cbranch_execz .LBB436_1142
; %bb.1137:                             ;   in Loop: Header=BB436_806 Depth=1
	v_bfe_u32 v129, v2, 24, 7
	v_mov_b32_e32 v7, 0x7f800001
	s_mov_b32 s15, exec_lo
	s_delay_alu instid0(VALU_DEP_2)
	v_cmpx_ne_u32_e32 0x7f, v129
	s_cbranch_execz .LBB436_1141
; %bb.1138:                             ;   in Loop: Header=BB436_806 Depth=1
	v_and_b32_e32 v9, 7, v6
	v_lshrrev_b32_e32 v7, 3, v129
	s_mov_b32 s16, exec_lo
	v_cmpx_gt_u32_e32 8, v129
; %bb.1139:                             ;   in Loop: Header=BB436_806 Depth=1
	s_delay_alu instid0(VALU_DEP_3) | instskip(NEXT) | instid1(VALU_DEP_1)
	v_clz_i32_u32_e32 v7, v9
	v_min_u32_e32 v7, 32, v7
	s_delay_alu instid0(VALU_DEP_1) | instskip(SKIP_1) | instid1(VALU_DEP_2)
	v_subrev_nc_u32_e32 v129, 28, v7
	v_sub_nc_u32_e32 v7, 29, v7
	v_lshlrev_b64 v[129:130], v129, v[9:10]
	s_delay_alu instid0(VALU_DEP_1)
	v_and_b32_e32 v9, 7, v129
; %bb.1140:                             ;   in Loop: Header=BB436_806 Depth=1
	s_or_b32 exec_lo, exec_lo, s16
	v_lshlrev_b32_e32 v6, 24, v6
	s_delay_alu instid0(VALU_DEP_2) | instskip(SKIP_1) | instid1(VALU_DEP_3)
	v_lshlrev_b32_e32 v9, 20, v9
	v_lshl_add_u32 v7, v7, 23, 0x3c000000
	v_and_b32_e32 v6, 0x80000000, v6
	s_delay_alu instid0(VALU_DEP_1)
	v_or3_b32 v7, v9, v6, v7
.LBB436_1141:                           ;   in Loop: Header=BB436_806 Depth=1
	s_or_b32 exec_lo, exec_lo, s15
.LBB436_1142:                           ;   in Loop: Header=BB436_806 Depth=1
	s_delay_alu instid0(SALU_CYCLE_1)
	s_or_b32 exec_lo, exec_lo, s13
.LBB436_1143:                           ;   in Loop: Header=BB436_806 Depth=1
	s_delay_alu instid0(SALU_CYCLE_1) | instskip(NEXT) | instid1(VALU_DEP_1)
	s_or_b32 exec_lo, exec_lo, s12
	v_mul_f32_e32 v6, v8, v7
                                        ; implicit-def: $vgpr129
	s_delay_alu instid0(VALU_DEP_1) | instskip(NEXT) | instid1(VALU_DEP_1)
	v_and_b32_e32 v7, 0x7f800000, v6
	v_cmp_ne_u32_e64 s0, 0x7f800000, v7
	s_delay_alu instid0(VALU_DEP_1) | instskip(NEXT) | instid1(SALU_CYCLE_1)
	s_and_saveexec_b32 s12, s0
	s_xor_b32 s0, exec_lo, s12
; %bb.1144:                             ;   in Loop: Header=BB436_806 Depth=1
	v_bfe_u32 v7, v6, 16, 1
	s_delay_alu instid0(VALU_DEP_1)
	v_add3_u32 v129, v6, v7, 0x7fff
                                        ; implicit-def: $vgpr6
; %bb.1145:                             ;   in Loop: Header=BB436_806 Depth=1
	s_and_not1_saveexec_b32 s12, s0
; %bb.1146:                             ;   in Loop: Header=BB436_806 Depth=1
	v_and_b32_e32 v7, 0xffff, v6
	v_or_b32_e32 v9, 0x10000, v6
	s_delay_alu instid0(VALU_DEP_2) | instskip(NEXT) | instid1(VALU_DEP_1)
	v_cmp_eq_u32_e64 s0, 0, v7
	v_cndmask_b32_e64 v129, v9, v6, s0
; %bb.1147:                             ;   in Loop: Header=BB436_806 Depth=1
	s_or_b32 exec_lo, exec_lo, s12
	v_dual_mov_b32 v6, 0 :: v_dual_and_b32 v7, 0xff, v3
	v_mov_b32_e32 v9, v3
	s_mov_b32 s12, exec_lo
	s_delay_alu instid0(VALU_DEP_2)
	v_cmpx_ne_u16_e32 0, v7
	s_cbranch_execz .LBB436_1155
; %bb.1148:                             ;   in Loop: Header=BB436_806 Depth=1
	v_bfrev_b32_e32 v6, 1
	s_mov_b32 s13, exec_lo
	v_cmpx_ne_u16_e32 0x80, v7
	s_cbranch_execz .LBB436_1154
; %bb.1149:                             ;   in Loop: Header=BB436_806 Depth=1
	v_and_b32_e32 v7, 0x7f, v3
	v_mov_b32_e32 v6, 0x7f800001
	s_mov_b32 s15, exec_lo
	s_delay_alu instid0(VALU_DEP_2)
	v_cmpx_ne_u32_e32 0x7f, v7
	s_cbranch_execz .LBB436_1153
; %bb.1150:                             ;   in Loop: Header=BB436_806 Depth=1
	v_lshrrev_b32_e32 v130, 3, v7
	v_cmp_gt_u32_e64 s0, 8, v7
	v_dual_mov_b32 v6, v9 :: v_dual_mov_b32 v7, v10
	s_delay_alu instid0(VALU_DEP_2)
	s_and_saveexec_b32 s16, s0
; %bb.1151:                             ;   in Loop: Header=BB436_806 Depth=1
	v_and_b32_e32 v6, 7, v3
	s_delay_alu instid0(VALU_DEP_1) | instskip(NEXT) | instid1(VALU_DEP_1)
	v_clz_i32_u32_e32 v6, v6
	v_min_u32_e32 v130, 32, v6
	s_delay_alu instid0(VALU_DEP_1) | instskip(SKIP_1) | instid1(VALU_DEP_2)
	v_subrev_nc_u32_e32 v6, 28, v130
	v_sub_nc_u32_e32 v130, 29, v130
	v_lshlrev_b64 v[6:7], v6, v[9:10]
; %bb.1152:                             ;   in Loop: Header=BB436_806 Depth=1
	s_or_b32 exec_lo, exec_lo, s16
	s_delay_alu instid0(VALU_DEP_1) | instskip(SKIP_2) | instid1(VALU_DEP_3)
	v_lshlrev_b32_e32 v6, 20, v6
	v_lshlrev_b32_e32 v7, 24, v9
	v_lshl_add_u32 v130, v130, 23, 0x3c000000
	v_and_b32_e32 v6, 0x700000, v6
	s_delay_alu instid0(VALU_DEP_3) | instskip(NEXT) | instid1(VALU_DEP_1)
	v_and_b32_e32 v7, 0x80000000, v7
	v_or3_b32 v6, v6, v7, v130
.LBB436_1153:                           ;   in Loop: Header=BB436_806 Depth=1
	s_or_b32 exec_lo, exec_lo, s15
.LBB436_1154:                           ;   in Loop: Header=BB436_806 Depth=1
	s_delay_alu instid0(SALU_CYCLE_1)
	s_or_b32 exec_lo, exec_lo, s13
.LBB436_1155:                           ;   in Loop: Header=BB436_806 Depth=1
	s_delay_alu instid0(SALU_CYCLE_1) | instskip(NEXT) | instid1(VALU_DEP_1)
	s_or_b32 exec_lo, exec_lo, s12
	v_mul_f32_e32 v6, v8, v6
                                        ; implicit-def: $vgpr130
	s_delay_alu instid0(VALU_DEP_1) | instskip(NEXT) | instid1(VALU_DEP_1)
	v_and_b32_e32 v7, 0x7f800000, v6
	v_cmp_ne_u32_e64 s0, 0x7f800000, v7
	s_delay_alu instid0(VALU_DEP_1) | instskip(NEXT) | instid1(SALU_CYCLE_1)
	s_and_saveexec_b32 s12, s0
	s_xor_b32 s0, exec_lo, s12
; %bb.1156:                             ;   in Loop: Header=BB436_806 Depth=1
	v_bfe_u32 v7, v6, 16, 1
	s_delay_alu instid0(VALU_DEP_1)
	v_add3_u32 v130, v6, v7, 0x7fff
                                        ; implicit-def: $vgpr6
; %bb.1157:                             ;   in Loop: Header=BB436_806 Depth=1
	s_and_not1_saveexec_b32 s12, s0
; %bb.1158:                             ;   in Loop: Header=BB436_806 Depth=1
	v_and_b32_e32 v7, 0xffff, v6
	v_or_b32_e32 v130, 0x10000, v6
	s_delay_alu instid0(VALU_DEP_2) | instskip(NEXT) | instid1(VALU_DEP_1)
	v_cmp_eq_u32_e64 s0, 0, v7
	v_cndmask_b32_e64 v130, v130, v6, s0
; %bb.1159:                             ;   in Loop: Header=BB436_806 Depth=1
	s_or_b32 exec_lo, exec_lo, s12
	v_lshrrev_b16 v7, 8, v9
	v_mov_b32_e32 v6, 0
	s_mov_b32 s12, exec_lo
	s_delay_alu instid0(VALU_DEP_2)
	v_cmpx_ne_u16_e32 0, v7
	s_cbranch_execz .LBB436_1167
; %bb.1160:                             ;   in Loop: Header=BB436_806 Depth=1
	v_bfrev_b32_e32 v6, 1
	s_mov_b32 s13, exec_lo
	v_cmpx_ne_u16_e32 0x80, v7
	s_cbranch_execz .LBB436_1166
; %bb.1161:                             ;   in Loop: Header=BB436_806 Depth=1
	v_and_b32_e32 v7, 0xffff, v7
	v_mov_b32_e32 v6, 0x7f800001
	s_mov_b32 s15, exec_lo
	s_delay_alu instid0(VALU_DEP_2) | instskip(NEXT) | instid1(VALU_DEP_1)
	v_and_b32_e32 v132, 0x7f, v7
	v_cmpx_ne_u32_e32 0x7f, v132
	s_cbranch_execz .LBB436_1165
; %bb.1162:                             ;   in Loop: Header=BB436_806 Depth=1
	v_dual_mov_b32 v7, v10 :: v_dual_and_b32 v6, 7, v7
	v_lshrrev_b32_e32 v131, 3, v132
	s_mov_b32 s16, exec_lo
	v_cmpx_gt_u32_e32 8, v132
; %bb.1163:                             ;   in Loop: Header=BB436_806 Depth=1
	s_delay_alu instid0(VALU_DEP_3) | instskip(NEXT) | instid1(VALU_DEP_1)
	v_clz_i32_u32_e32 v131, v6
	v_min_u32_e32 v131, 32, v131
	s_delay_alu instid0(VALU_DEP_1) | instskip(SKIP_1) | instid1(VALU_DEP_2)
	v_subrev_nc_u32_e32 v132, 28, v131
	v_sub_nc_u32_e32 v131, 29, v131
	v_lshlrev_b64 v[6:7], v132, v[6:7]
	s_delay_alu instid0(VALU_DEP_1)
	v_and_b32_e32 v6, 7, v6
; %bb.1164:                             ;   in Loop: Header=BB436_806 Depth=1
	s_or_b32 exec_lo, exec_lo, s16
	v_lshlrev_b32_e32 v7, 16, v9
	s_delay_alu instid0(VALU_DEP_2) | instskip(SKIP_1) | instid1(VALU_DEP_3)
	v_lshlrev_b32_e32 v6, 20, v6
	v_lshl_add_u32 v9, v131, 23, 0x3c000000
	v_and_b32_e32 v7, 0x80000000, v7
	s_delay_alu instid0(VALU_DEP_1)
	v_or3_b32 v6, v6, v7, v9
.LBB436_1165:                           ;   in Loop: Header=BB436_806 Depth=1
	s_or_b32 exec_lo, exec_lo, s15
.LBB436_1166:                           ;   in Loop: Header=BB436_806 Depth=1
	s_delay_alu instid0(SALU_CYCLE_1)
	s_or_b32 exec_lo, exec_lo, s13
.LBB436_1167:                           ;   in Loop: Header=BB436_806 Depth=1
	s_delay_alu instid0(SALU_CYCLE_1) | instskip(NEXT) | instid1(VALU_DEP_1)
	s_or_b32 exec_lo, exec_lo, s12
	v_mul_f32_e32 v7, v8, v6
	s_delay_alu instid0(VALU_DEP_1) | instskip(NEXT) | instid1(VALU_DEP_1)
	v_and_b32_e32 v6, 0x7f800000, v7
	v_cmp_ne_u32_e64 s0, 0x7f800000, v6
                                        ; implicit-def: $vgpr6
	s_delay_alu instid0(VALU_DEP_1) | instskip(NEXT) | instid1(SALU_CYCLE_1)
	s_and_saveexec_b32 s12, s0
	s_xor_b32 s0, exec_lo, s12
; %bb.1168:                             ;   in Loop: Header=BB436_806 Depth=1
	v_bfe_u32 v6, v7, 16, 1
	s_delay_alu instid0(VALU_DEP_1)
	v_add3_u32 v6, v7, v6, 0x7fff
                                        ; implicit-def: $vgpr7
; %bb.1169:                             ;   in Loop: Header=BB436_806 Depth=1
	s_and_not1_saveexec_b32 s12, s0
; %bb.1170:                             ;   in Loop: Header=BB436_806 Depth=1
	v_and_b32_e32 v6, 0xffff, v7
	v_or_b32_e32 v9, 0x10000, v7
	s_delay_alu instid0(VALU_DEP_2) | instskip(NEXT) | instid1(VALU_DEP_1)
	v_cmp_eq_u32_e64 s0, 0, v6
	v_cndmask_b32_e64 v6, v9, v7, s0
; %bb.1171:                             ;   in Loop: Header=BB436_806 Depth=1
	s_or_b32 exec_lo, exec_lo, s12
	v_lshrrev_b32_e32 v7, 16, v3
	v_mov_b32_e32 v9, 0
	s_mov_b32 s12, exec_lo
	s_delay_alu instid0(VALU_DEP_2) | instskip(NEXT) | instid1(VALU_DEP_1)
	v_and_b32_e32 v131, 0xff, v7
	v_cmpx_ne_u16_e64 0, v131
	s_cbranch_execz .LBB436_1179
; %bb.1172:                             ;   in Loop: Header=BB436_806 Depth=1
	v_bfrev_b32_e32 v9, 1
	s_mov_b32 s13, exec_lo
	v_cmpx_ne_u16_e64 0x80, v131
	s_cbranch_execz .LBB436_1178
; %bb.1173:                             ;   in Loop: Header=BB436_806 Depth=1
	v_bfe_u32 v132, v3, 16, 7
	v_mov_b32_e32 v9, 0x7f800001
	s_mov_b32 s15, exec_lo
	s_delay_alu instid0(VALU_DEP_2)
	v_cmpx_ne_u32_e32 0x7f, v132
	s_cbranch_execz .LBB436_1177
; %bb.1174:                             ;   in Loop: Header=BB436_806 Depth=1
	v_and_b32_e32 v9, 7, v7
	v_lshrrev_b32_e32 v131, 3, v132
	s_mov_b32 s16, exec_lo
	v_cmpx_gt_u32_e32 8, v132
; %bb.1175:                             ;   in Loop: Header=BB436_806 Depth=1
	s_delay_alu instid0(VALU_DEP_3) | instskip(NEXT) | instid1(VALU_DEP_1)
	v_clz_i32_u32_e32 v131, v9
	v_min_u32_e32 v131, 32, v131
	s_delay_alu instid0(VALU_DEP_1) | instskip(SKIP_1) | instid1(VALU_DEP_2)
	v_subrev_nc_u32_e32 v132, 28, v131
	v_sub_nc_u32_e32 v131, 29, v131
	v_lshlrev_b64 v[132:133], v132, v[9:10]
	s_delay_alu instid0(VALU_DEP_1)
	v_and_b32_e32 v9, 7, v132
; %bb.1176:                             ;   in Loop: Header=BB436_806 Depth=1
	s_or_b32 exec_lo, exec_lo, s16
	v_lshlrev_b32_e32 v7, 24, v7
	s_delay_alu instid0(VALU_DEP_2) | instskip(SKIP_1) | instid1(VALU_DEP_3)
	v_lshlrev_b32_e32 v9, 20, v9
	v_lshl_add_u32 v131, v131, 23, 0x3c000000
	v_and_b32_e32 v7, 0x80000000, v7
	s_delay_alu instid0(VALU_DEP_1)
	v_or3_b32 v9, v9, v7, v131
.LBB436_1177:                           ;   in Loop: Header=BB436_806 Depth=1
	s_or_b32 exec_lo, exec_lo, s15
.LBB436_1178:                           ;   in Loop: Header=BB436_806 Depth=1
	s_delay_alu instid0(SALU_CYCLE_1)
	s_or_b32 exec_lo, exec_lo, s13
.LBB436_1179:                           ;   in Loop: Header=BB436_806 Depth=1
	s_delay_alu instid0(SALU_CYCLE_1) | instskip(NEXT) | instid1(VALU_DEP_1)
	s_or_b32 exec_lo, exec_lo, s12
	v_mul_f32_e32 v7, v8, v9
                                        ; implicit-def: $vgpr131
	s_delay_alu instid0(VALU_DEP_1) | instskip(NEXT) | instid1(VALU_DEP_1)
	v_and_b32_e32 v9, 0x7f800000, v7
	v_cmp_ne_u32_e64 s0, 0x7f800000, v9
	s_delay_alu instid0(VALU_DEP_1) | instskip(NEXT) | instid1(SALU_CYCLE_1)
	s_and_saveexec_b32 s12, s0
	s_xor_b32 s0, exec_lo, s12
; %bb.1180:                             ;   in Loop: Header=BB436_806 Depth=1
	v_bfe_u32 v9, v7, 16, 1
	s_delay_alu instid0(VALU_DEP_1)
	v_add3_u32 v131, v7, v9, 0x7fff
                                        ; implicit-def: $vgpr7
; %bb.1181:                             ;   in Loop: Header=BB436_806 Depth=1
	s_and_not1_saveexec_b32 s12, s0
; %bb.1182:                             ;   in Loop: Header=BB436_806 Depth=1
	v_and_b32_e32 v9, 0xffff, v7
	v_or_b32_e32 v131, 0x10000, v7
	s_delay_alu instid0(VALU_DEP_2) | instskip(NEXT) | instid1(VALU_DEP_1)
	v_cmp_eq_u32_e64 s0, 0, v9
	v_cndmask_b32_e64 v131, v131, v7, s0
; %bb.1183:                             ;   in Loop: Header=BB436_806 Depth=1
	s_or_b32 exec_lo, exec_lo, s12
	v_mov_b32_e32 v7, 0
	s_mov_b32 s12, exec_lo
	v_cmpx_lt_u64_e64 s[8:9], v[2:3]
	s_cbranch_execz .LBB436_1191
; %bb.1184:                             ;   in Loop: Header=BB436_806 Depth=1
	v_lshrrev_b32_e32 v2, 24, v3
	v_bfrev_b32_e32 v7, 1
	s_mov_b32 s13, exec_lo
	s_delay_alu instid0(VALU_DEP_2)
	v_cmpx_ne_u32_e32 0x80, v2
	s_cbranch_execz .LBB436_1190
; %bb.1185:                             ;   in Loop: Header=BB436_806 Depth=1
	v_bfe_u32 v132, v3, 24, 7
	v_mov_b32_e32 v7, 0x7f800001
	s_mov_b32 s15, exec_lo
	s_delay_alu instid0(VALU_DEP_2)
	v_cmpx_ne_u32_e32 0x7f, v132
	s_cbranch_execz .LBB436_1189
; %bb.1186:                             ;   in Loop: Header=BB436_806 Depth=1
	v_and_b32_e32 v9, 7, v2
	v_lshrrev_b32_e32 v3, 3, v132
	s_mov_b32 s16, exec_lo
	v_cmpx_gt_u32_e32 8, v132
; %bb.1187:                             ;   in Loop: Header=BB436_806 Depth=1
	s_delay_alu instid0(VALU_DEP_3) | instskip(NEXT) | instid1(VALU_DEP_1)
	v_clz_i32_u32_e32 v3, v9
	v_min_u32_e32 v3, 32, v3
	s_delay_alu instid0(VALU_DEP_1) | instskip(SKIP_1) | instid1(VALU_DEP_2)
	v_subrev_nc_u32_e32 v7, 28, v3
	v_sub_nc_u32_e32 v3, 29, v3
	v_lshlrev_b64 v[132:133], v7, v[9:10]
	s_delay_alu instid0(VALU_DEP_1)
	v_and_b32_e32 v9, 7, v132
; %bb.1188:                             ;   in Loop: Header=BB436_806 Depth=1
	s_or_b32 exec_lo, exec_lo, s16
	v_lshlrev_b32_e32 v2, 24, v2
	s_delay_alu instid0(VALU_DEP_2) | instskip(SKIP_1) | instid1(VALU_DEP_3)
	v_lshlrev_b32_e32 v7, 20, v9
	v_lshl_add_u32 v3, v3, 23, 0x3c000000
	v_and_b32_e32 v2, 0x80000000, v2
	s_delay_alu instid0(VALU_DEP_1)
	v_or3_b32 v7, v7, v2, v3
.LBB436_1189:                           ;   in Loop: Header=BB436_806 Depth=1
	s_or_b32 exec_lo, exec_lo, s15
.LBB436_1190:                           ;   in Loop: Header=BB436_806 Depth=1
	s_delay_alu instid0(SALU_CYCLE_1)
	s_or_b32 exec_lo, exec_lo, s13
.LBB436_1191:                           ;   in Loop: Header=BB436_806 Depth=1
	s_delay_alu instid0(SALU_CYCLE_1) | instskip(NEXT) | instid1(VALU_DEP_1)
	s_or_b32 exec_lo, exec_lo, s12
	v_mul_f32_e32 v3, v8, v7
	s_delay_alu instid0(VALU_DEP_1) | instskip(NEXT) | instid1(VALU_DEP_1)
	v_and_b32_e32 v2, 0x7f800000, v3
	v_cmp_ne_u32_e64 s0, 0x7f800000, v2
                                        ; implicit-def: $vgpr2
	s_delay_alu instid0(VALU_DEP_1) | instskip(NEXT) | instid1(SALU_CYCLE_1)
	s_and_saveexec_b32 s12, s0
	s_xor_b32 s0, exec_lo, s12
; %bb.1192:                             ;   in Loop: Header=BB436_806 Depth=1
	v_bfe_u32 v2, v3, 16, 1
	s_delay_alu instid0(VALU_DEP_1)
	v_add3_u32 v2, v3, v2, 0x7fff
                                        ; implicit-def: $vgpr3
; %bb.1193:                             ;   in Loop: Header=BB436_806 Depth=1
	s_and_not1_saveexec_b32 s12, s0
; %bb.1194:                             ;   in Loop: Header=BB436_806 Depth=1
	v_and_b32_e32 v2, 0xffff, v3
	v_or_b32_e32 v7, 0x10000, v3
	s_delay_alu instid0(VALU_DEP_2) | instskip(NEXT) | instid1(VALU_DEP_1)
	v_cmp_eq_u32_e64 s0, 0, v2
	v_cndmask_b32_e64 v2, v7, v3, s0
; %bb.1195:                             ;   in Loop: Header=BB436_806 Depth=1
	s_or_b32 exec_lo, exec_lo, s12
	v_lshrrev_b32_e32 v6, 16, v6
	v_lshrrev_b32_e32 v7, 16, v130
	;; [unrolled: 1-line block ×8, first 2 shown]
	s_and_saveexec_b32 s12, vcc_lo
	s_cbranch_execz .LBB436_1197
; %bb.1196:                             ;   in Loop: Header=BB436_806 Depth=1
	v_cmp_lt_i32_e64 s0, v70, v38
	s_delay_alu instid0(VALU_DEP_1) | instskip(SKIP_1) | instid1(VALU_DEP_1)
	v_cndmask_b32_e64 v118, 0, v118, s0
	v_cmp_lt_i32_e64 s0, v85, v38
	v_cndmask_b32_e64 v119, 0, v119, s0
	v_cmp_lt_i32_e64 s0, v84, v38
	s_delay_alu instid0(VALU_DEP_1) | instskip(SKIP_1) | instid1(VALU_DEP_1)
	v_cndmask_b32_e64 v128, 0, v128, s0
	v_cmp_lt_i32_e64 s0, v83, v38
	v_cndmask_b32_e64 v9, 0, v9, s0
	;; [unrolled: 5-line block ×4, first 2 shown]
.LBB436_1197:                           ;   in Loop: Header=BB436_806 Depth=1
	s_or_b32 exec_lo, exec_lo, s12
	v_lshlrev_b32_e32 v118, 16, v118
	s_delay_alu instid0(VALU_DEP_1) | instskip(NEXT) | instid1(VALU_DEP_1)
	v_mul_f32_e32 v129, v86, v118
	v_and_b32_e32 v118, 0x7f800000, v129
	s_delay_alu instid0(VALU_DEP_1) | instskip(NEXT) | instid1(VALU_DEP_1)
	v_cmp_ne_u32_e64 s0, 0x7f800000, v118
                                        ; implicit-def: $vgpr118
	s_and_saveexec_b32 s12, s0
	s_delay_alu instid0(SALU_CYCLE_1)
	s_xor_b32 s0, exec_lo, s12
; %bb.1198:                             ;   in Loop: Header=BB436_806 Depth=1
	v_bfe_u32 v118, v129, 16, 1
	s_delay_alu instid0(VALU_DEP_1)
	v_add3_u32 v118, v129, v118, 0x7fff
                                        ; implicit-def: $vgpr129
; %bb.1199:                             ;   in Loop: Header=BB436_806 Depth=1
	s_and_not1_saveexec_b32 s12, s0
; %bb.1200:                             ;   in Loop: Header=BB436_806 Depth=1
	v_and_b32_e32 v118, 0xffff, v129
	v_or_b32_e32 v130, 0x10000, v129
	s_delay_alu instid0(VALU_DEP_2) | instskip(NEXT) | instid1(VALU_DEP_1)
	v_cmp_eq_u32_e64 s0, 0, v118
	v_cndmask_b32_e64 v118, v130, v129, s0
; %bb.1201:                             ;   in Loop: Header=BB436_806 Depth=1
	s_or_b32 exec_lo, exec_lo, s12
	v_lshlrev_b32_e32 v119, 16, v119
	s_delay_alu instid0(VALU_DEP_1) | instskip(NEXT) | instid1(VALU_DEP_1)
	v_mul_f32_e32 v129, v87, v119
	v_and_b32_e32 v119, 0x7f800000, v129
	s_delay_alu instid0(VALU_DEP_1) | instskip(NEXT) | instid1(VALU_DEP_1)
	v_cmp_ne_u32_e64 s0, 0x7f800000, v119
                                        ; implicit-def: $vgpr119
	s_and_saveexec_b32 s12, s0
	s_delay_alu instid0(SALU_CYCLE_1)
	s_xor_b32 s0, exec_lo, s12
; %bb.1202:                             ;   in Loop: Header=BB436_806 Depth=1
	v_bfe_u32 v119, v129, 16, 1
	s_delay_alu instid0(VALU_DEP_1)
	v_add3_u32 v119, v129, v119, 0x7fff
                                        ; implicit-def: $vgpr129
; %bb.1203:                             ;   in Loop: Header=BB436_806 Depth=1
	s_and_not1_saveexec_b32 s12, s0
; %bb.1204:                             ;   in Loop: Header=BB436_806 Depth=1
	v_and_b32_e32 v119, 0xffff, v129
	v_or_b32_e32 v130, 0x10000, v129
	s_delay_alu instid0(VALU_DEP_2) | instskip(NEXT) | instid1(VALU_DEP_1)
	v_cmp_eq_u32_e64 s0, 0, v119
	v_cndmask_b32_e64 v119, v130, v129, s0
; %bb.1205:                             ;   in Loop: Header=BB436_806 Depth=1
	s_or_b32 exec_lo, exec_lo, s12
	v_lshlrev_b32_e32 v128, 16, v128
	s_delay_alu instid0(VALU_DEP_1) | instskip(NEXT) | instid1(VALU_DEP_1)
	v_mul_f32_e32 v129, v96, v128
	v_and_b32_e32 v128, 0x7f800000, v129
	s_delay_alu instid0(VALU_DEP_1) | instskip(NEXT) | instid1(VALU_DEP_1)
	v_cmp_ne_u32_e64 s0, 0x7f800000, v128
                                        ; implicit-def: $vgpr128
	s_and_saveexec_b32 s12, s0
	s_delay_alu instid0(SALU_CYCLE_1)
	s_xor_b32 s0, exec_lo, s12
; %bb.1206:                             ;   in Loop: Header=BB436_806 Depth=1
	v_bfe_u32 v128, v129, 16, 1
	s_delay_alu instid0(VALU_DEP_1)
	v_add3_u32 v128, v129, v128, 0x7fff
                                        ; implicit-def: $vgpr129
; %bb.1207:                             ;   in Loop: Header=BB436_806 Depth=1
	s_and_not1_saveexec_b32 s12, s0
; %bb.1208:                             ;   in Loop: Header=BB436_806 Depth=1
	v_and_b32_e32 v128, 0xffff, v129
	v_or_b32_e32 v130, 0x10000, v129
	s_delay_alu instid0(VALU_DEP_2) | instskip(NEXT) | instid1(VALU_DEP_1)
	v_cmp_eq_u32_e64 s0, 0, v128
	v_cndmask_b32_e64 v128, v130, v129, s0
; %bb.1209:                             ;   in Loop: Header=BB436_806 Depth=1
	s_or_b32 exec_lo, exec_lo, s12
	v_lshlrev_b32_e32 v9, 16, v9
	s_delay_alu instid0(VALU_DEP_1) | instskip(NEXT) | instid1(VALU_DEP_1)
	v_mul_f32_e32 v9, v97, v9
	v_and_b32_e32 v129, 0x7f800000, v9
	s_delay_alu instid0(VALU_DEP_1) | instskip(NEXT) | instid1(VALU_DEP_1)
	v_cmp_ne_u32_e64 s0, 0x7f800000, v129
                                        ; implicit-def: $vgpr129
	s_and_saveexec_b32 s12, s0
	s_delay_alu instid0(SALU_CYCLE_1)
	s_xor_b32 s0, exec_lo, s12
; %bb.1210:                             ;   in Loop: Header=BB436_806 Depth=1
	v_bfe_u32 v129, v9, 16, 1
	s_delay_alu instid0(VALU_DEP_1)
	v_add3_u32 v129, v9, v129, 0x7fff
                                        ; implicit-def: $vgpr9
; %bb.1211:                             ;   in Loop: Header=BB436_806 Depth=1
	s_and_not1_saveexec_b32 s12, s0
; %bb.1212:                             ;   in Loop: Header=BB436_806 Depth=1
	v_and_b32_e32 v129, 0xffff, v9
	v_or_b32_e32 v130, 0x10000, v9
	s_delay_alu instid0(VALU_DEP_2) | instskip(NEXT) | instid1(VALU_DEP_1)
	v_cmp_eq_u32_e64 s0, 0, v129
	v_cndmask_b32_e64 v129, v130, v9, s0
; %bb.1213:                             ;   in Loop: Header=BB436_806 Depth=1
	s_or_b32 exec_lo, exec_lo, s12
	v_lshlrev_b32_e32 v7, 16, v7
                                        ; implicit-def: $vgpr130
	s_delay_alu instid0(VALU_DEP_1) | instskip(NEXT) | instid1(VALU_DEP_1)
	v_mul_f32_e32 v7, v98, v7
	v_and_b32_e32 v9, 0x7f800000, v7
	s_delay_alu instid0(VALU_DEP_1) | instskip(NEXT) | instid1(VALU_DEP_1)
	v_cmp_ne_u32_e64 s0, 0x7f800000, v9
	s_and_saveexec_b32 s12, s0
	s_delay_alu instid0(SALU_CYCLE_1)
	s_xor_b32 s0, exec_lo, s12
; %bb.1214:                             ;   in Loop: Header=BB436_806 Depth=1
	v_bfe_u32 v9, v7, 16, 1
	s_delay_alu instid0(VALU_DEP_1)
	v_add3_u32 v130, v7, v9, 0x7fff
                                        ; implicit-def: $vgpr7
; %bb.1215:                             ;   in Loop: Header=BB436_806 Depth=1
	s_and_not1_saveexec_b32 s12, s0
; %bb.1216:                             ;   in Loop: Header=BB436_806 Depth=1
	v_and_b32_e32 v9, 0xffff, v7
	v_or_b32_e32 v130, 0x10000, v7
	s_delay_alu instid0(VALU_DEP_2) | instskip(NEXT) | instid1(VALU_DEP_1)
	v_cmp_eq_u32_e64 s0, 0, v9
	v_cndmask_b32_e64 v130, v130, v7, s0
; %bb.1217:                             ;   in Loop: Header=BB436_806 Depth=1
	s_or_b32 exec_lo, exec_lo, s12
	v_lshlrev_b32_e32 v6, 16, v6
                                        ; implicit-def: $vgpr131
	s_delay_alu instid0(VALU_DEP_1) | instskip(NEXT) | instid1(VALU_DEP_1)
	v_mul_f32_e32 v6, v99, v6
	v_and_b32_e32 v7, 0x7f800000, v6
	s_delay_alu instid0(VALU_DEP_1) | instskip(NEXT) | instid1(VALU_DEP_1)
	v_cmp_ne_u32_e64 s0, 0x7f800000, v7
	s_and_saveexec_b32 s12, s0
	s_delay_alu instid0(SALU_CYCLE_1)
	s_xor_b32 s0, exec_lo, s12
; %bb.1218:                             ;   in Loop: Header=BB436_806 Depth=1
	v_bfe_u32 v7, v6, 16, 1
	s_delay_alu instid0(VALU_DEP_1)
	v_add3_u32 v131, v6, v7, 0x7fff
                                        ; implicit-def: $vgpr6
; %bb.1219:                             ;   in Loop: Header=BB436_806 Depth=1
	s_and_not1_saveexec_b32 s12, s0
; %bb.1220:                             ;   in Loop: Header=BB436_806 Depth=1
	v_and_b32_e32 v7, 0xffff, v6
	v_or_b32_e32 v9, 0x10000, v6
	s_delay_alu instid0(VALU_DEP_2) | instskip(NEXT) | instid1(VALU_DEP_1)
	v_cmp_eq_u32_e64 s0, 0, v7
	v_cndmask_b32_e64 v131, v9, v6, s0
; %bb.1221:                             ;   in Loop: Header=BB436_806 Depth=1
	s_or_b32 exec_lo, exec_lo, s12
	v_lshlrev_b32_e32 v3, 16, v3
                                        ; implicit-def: $vgpr132
	s_delay_alu instid0(VALU_DEP_1) | instskip(NEXT) | instid1(VALU_DEP_1)
	v_mul_f32_e32 v3, v100, v3
	v_and_b32_e32 v6, 0x7f800000, v3
	s_delay_alu instid0(VALU_DEP_1) | instskip(NEXT) | instid1(VALU_DEP_1)
	v_cmp_ne_u32_e64 s0, 0x7f800000, v6
	s_and_saveexec_b32 s12, s0
	s_delay_alu instid0(SALU_CYCLE_1)
	s_xor_b32 s0, exec_lo, s12
; %bb.1222:                             ;   in Loop: Header=BB436_806 Depth=1
	v_bfe_u32 v6, v3, 16, 1
	s_delay_alu instid0(VALU_DEP_1)
	v_add3_u32 v132, v3, v6, 0x7fff
                                        ; implicit-def: $vgpr3
; %bb.1223:                             ;   in Loop: Header=BB436_806 Depth=1
	s_and_not1_saveexec_b32 s12, s0
; %bb.1224:                             ;   in Loop: Header=BB436_806 Depth=1
	v_and_b32_e32 v6, 0xffff, v3
	v_or_b32_e32 v7, 0x10000, v3
	s_delay_alu instid0(VALU_DEP_2) | instskip(NEXT) | instid1(VALU_DEP_1)
	v_cmp_eq_u32_e64 s0, 0, v6
	v_cndmask_b32_e64 v132, v7, v3, s0
; %bb.1225:                             ;   in Loop: Header=BB436_806 Depth=1
	s_or_b32 exec_lo, exec_lo, s12
	v_lshlrev_b32_e32 v2, 16, v2
                                        ; implicit-def: $vgpr133
	s_delay_alu instid0(VALU_DEP_1) | instskip(NEXT) | instid1(VALU_DEP_1)
	v_mul_f32_e32 v2, v101, v2
	v_and_b32_e32 v3, 0x7f800000, v2
	s_delay_alu instid0(VALU_DEP_1) | instskip(NEXT) | instid1(VALU_DEP_1)
	v_cmp_ne_u32_e64 s0, 0x7f800000, v3
	s_and_saveexec_b32 s12, s0
	s_delay_alu instid0(SALU_CYCLE_1)
	s_xor_b32 s0, exec_lo, s12
; %bb.1226:                             ;   in Loop: Header=BB436_806 Depth=1
	v_bfe_u32 v3, v2, 16, 1
	s_delay_alu instid0(VALU_DEP_1)
	v_add3_u32 v133, v2, v3, 0x7fff
                                        ; implicit-def: $vgpr2
; %bb.1227:                             ;   in Loop: Header=BB436_806 Depth=1
	s_and_not1_saveexec_b32 s12, s0
; %bb.1228:                             ;   in Loop: Header=BB436_806 Depth=1
	v_and_b32_e32 v3, 0xffff, v2
	v_or_b32_e32 v6, 0x10000, v2
	s_delay_alu instid0(VALU_DEP_2) | instskip(NEXT) | instid1(VALU_DEP_1)
	v_cmp_eq_u32_e64 s0, 0, v3
	v_cndmask_b32_e64 v133, v6, v2, s0
; %bb.1229:                             ;   in Loop: Header=BB436_806 Depth=1
	s_or_b32 exec_lo, exec_lo, s12
	flat_load_b64 v[2:3], v[0:1] offset:768
	s_mov_b32 s12, exec_lo
	s_waitcnt vmcnt(0) lgkmcnt(0)
	v_dual_mov_b32 v6, 0 :: v_dual_and_b32 v7, 0xff, v2
	s_delay_alu instid0(VALU_DEP_1)
	v_cmpx_ne_u16_e32 0, v7
	s_cbranch_execz .LBB436_1237
; %bb.1230:                             ;   in Loop: Header=BB436_806 Depth=1
	v_bfrev_b32_e32 v6, 1
	s_mov_b32 s13, exec_lo
	v_cmpx_ne_u16_e32 0x80, v7
	s_cbranch_execz .LBB436_1236
; %bb.1231:                             ;   in Loop: Header=BB436_806 Depth=1
	v_and_b32_e32 v7, 0x7f, v2
	v_mov_b32_e32 v6, 0x7f800001
	s_mov_b32 s15, exec_lo
	s_delay_alu instid0(VALU_DEP_2)
	v_cmpx_ne_u32_e32 0x7f, v7
	s_cbranch_execz .LBB436_1235
; %bb.1232:                             ;   in Loop: Header=BB436_806 Depth=1
	v_lshrrev_b32_e32 v9, 3, v7
	v_cmp_gt_u32_e64 s0, 8, v7
	v_dual_mov_b32 v7, v3 :: v_dual_mov_b32 v6, v2
	s_delay_alu instid0(VALU_DEP_2)
	s_and_saveexec_b32 s16, s0
; %bb.1233:                             ;   in Loop: Header=BB436_806 Depth=1
	v_and_b32_e32 v6, 7, v2
	s_delay_alu instid0(VALU_DEP_1) | instskip(NEXT) | instid1(VALU_DEP_1)
	v_clz_i32_u32_e32 v6, v6
	v_min_u32_e32 v9, 32, v6
	s_delay_alu instid0(VALU_DEP_1) | instskip(SKIP_1) | instid1(VALU_DEP_2)
	v_subrev_nc_u32_e32 v6, 28, v9
	v_sub_nc_u32_e32 v9, 29, v9
	v_lshlrev_b64 v[6:7], v6, v[2:3]
; %bb.1234:                             ;   in Loop: Header=BB436_806 Depth=1
	s_or_b32 exec_lo, exec_lo, s16
	s_delay_alu instid0(VALU_DEP_1) | instskip(SKIP_2) | instid1(VALU_DEP_3)
	v_lshlrev_b32_e32 v6, 20, v6
	v_lshlrev_b32_e32 v7, 24, v2
	v_lshl_add_u32 v9, v9, 23, 0x3c000000
	v_and_b32_e32 v6, 0x700000, v6
	s_delay_alu instid0(VALU_DEP_3) | instskip(NEXT) | instid1(VALU_DEP_1)
	v_and_b32_e32 v7, 0x80000000, v7
	v_or3_b32 v6, v6, v7, v9
.LBB436_1235:                           ;   in Loop: Header=BB436_806 Depth=1
	s_or_b32 exec_lo, exec_lo, s15
.LBB436_1236:                           ;   in Loop: Header=BB436_806 Depth=1
	s_delay_alu instid0(SALU_CYCLE_1)
	s_or_b32 exec_lo, exec_lo, s13
.LBB436_1237:                           ;   in Loop: Header=BB436_806 Depth=1
	s_delay_alu instid0(SALU_CYCLE_1) | instskip(NEXT) | instid1(VALU_DEP_1)
	s_or_b32 exec_lo, exec_lo, s12
	v_mul_f32_e32 v6, v8, v6
                                        ; implicit-def: $vgpr134
	s_delay_alu instid0(VALU_DEP_1) | instskip(NEXT) | instid1(VALU_DEP_1)
	v_and_b32_e32 v7, 0x7f800000, v6
	v_cmp_ne_u32_e64 s0, 0x7f800000, v7
	s_delay_alu instid0(VALU_DEP_1) | instskip(NEXT) | instid1(SALU_CYCLE_1)
	s_and_saveexec_b32 s12, s0
	s_xor_b32 s0, exec_lo, s12
; %bb.1238:                             ;   in Loop: Header=BB436_806 Depth=1
	v_bfe_u32 v7, v6, 16, 1
	s_delay_alu instid0(VALU_DEP_1)
	v_add3_u32 v134, v6, v7, 0x7fff
                                        ; implicit-def: $vgpr6
; %bb.1239:                             ;   in Loop: Header=BB436_806 Depth=1
	s_and_not1_saveexec_b32 s12, s0
; %bb.1240:                             ;   in Loop: Header=BB436_806 Depth=1
	v_and_b32_e32 v7, 0xffff, v6
	v_or_b32_e32 v9, 0x10000, v6
	s_delay_alu instid0(VALU_DEP_2) | instskip(NEXT) | instid1(VALU_DEP_1)
	v_cmp_eq_u32_e64 s0, 0, v7
	v_cndmask_b32_e64 v134, v9, v6, s0
; %bb.1241:                             ;   in Loop: Header=BB436_806 Depth=1
	s_or_b32 exec_lo, exec_lo, s12
	v_lshrrev_b16 v7, 8, v2
	v_mov_b32_e32 v6, 0
	s_mov_b32 s12, exec_lo
	s_delay_alu instid0(VALU_DEP_2)
	v_cmpx_ne_u16_e32 0, v7
	s_cbranch_execz .LBB436_1249
; %bb.1242:                             ;   in Loop: Header=BB436_806 Depth=1
	v_bfrev_b32_e32 v6, 1
	s_mov_b32 s13, exec_lo
	v_cmpx_ne_u16_e32 0x80, v7
	s_cbranch_execz .LBB436_1248
; %bb.1243:                             ;   in Loop: Header=BB436_806 Depth=1
	v_and_b32_e32 v9, 0xffff, v7
	v_mov_b32_e32 v6, 0x7f800001
	s_mov_b32 s15, exec_lo
	s_delay_alu instid0(VALU_DEP_2) | instskip(NEXT) | instid1(VALU_DEP_1)
	v_and_b32_e32 v7, 0x7f, v9
	v_cmpx_ne_u32_e32 0x7f, v7
	s_cbranch_execz .LBB436_1247
; %bb.1244:                             ;   in Loop: Header=BB436_806 Depth=1
	v_and_b32_e32 v9, 7, v9
	v_lshrrev_b32_e32 v6, 3, v7
	s_mov_b32 s16, exec_lo
	v_cmpx_gt_u32_e32 8, v7
; %bb.1245:                             ;   in Loop: Header=BB436_806 Depth=1
	s_delay_alu instid0(VALU_DEP_3) | instskip(NEXT) | instid1(VALU_DEP_1)
	v_clz_i32_u32_e32 v6, v9
	v_min_u32_e32 v6, 32, v6
	s_delay_alu instid0(VALU_DEP_1) | instskip(SKIP_1) | instid1(VALU_DEP_2)
	v_subrev_nc_u32_e32 v7, 28, v6
	v_sub_nc_u32_e32 v6, 29, v6
	v_lshlrev_b64 v[144:145], v7, v[9:10]
	s_delay_alu instid0(VALU_DEP_1)
	v_and_b32_e32 v9, 7, v144
; %bb.1246:                             ;   in Loop: Header=BB436_806 Depth=1
	s_or_b32 exec_lo, exec_lo, s16
	v_lshlrev_b32_e32 v7, 16, v2
	s_delay_alu instid0(VALU_DEP_2) | instskip(SKIP_1) | instid1(VALU_DEP_3)
	v_lshlrev_b32_e32 v9, 20, v9
	v_lshl_add_u32 v6, v6, 23, 0x3c000000
	v_and_b32_e32 v7, 0x80000000, v7
	s_delay_alu instid0(VALU_DEP_1)
	v_or3_b32 v6, v9, v7, v6
.LBB436_1247:                           ;   in Loop: Header=BB436_806 Depth=1
	s_or_b32 exec_lo, exec_lo, s15
.LBB436_1248:                           ;   in Loop: Header=BB436_806 Depth=1
	s_delay_alu instid0(SALU_CYCLE_1)
	s_or_b32 exec_lo, exec_lo, s13
.LBB436_1249:                           ;   in Loop: Header=BB436_806 Depth=1
	s_delay_alu instid0(SALU_CYCLE_1) | instskip(NEXT) | instid1(VALU_DEP_1)
	s_or_b32 exec_lo, exec_lo, s12
	v_mul_f32_e32 v6, v8, v6
                                        ; implicit-def: $vgpr135
	s_delay_alu instid0(VALU_DEP_1) | instskip(NEXT) | instid1(VALU_DEP_1)
	v_and_b32_e32 v7, 0x7f800000, v6
	v_cmp_ne_u32_e64 s0, 0x7f800000, v7
	s_delay_alu instid0(VALU_DEP_1) | instskip(NEXT) | instid1(SALU_CYCLE_1)
	s_and_saveexec_b32 s12, s0
	s_xor_b32 s0, exec_lo, s12
; %bb.1250:                             ;   in Loop: Header=BB436_806 Depth=1
	v_bfe_u32 v7, v6, 16, 1
	s_delay_alu instid0(VALU_DEP_1)
	v_add3_u32 v135, v6, v7, 0x7fff
                                        ; implicit-def: $vgpr6
; %bb.1251:                             ;   in Loop: Header=BB436_806 Depth=1
	s_and_not1_saveexec_b32 s12, s0
; %bb.1252:                             ;   in Loop: Header=BB436_806 Depth=1
	v_and_b32_e32 v7, 0xffff, v6
	v_or_b32_e32 v9, 0x10000, v6
	s_delay_alu instid0(VALU_DEP_2) | instskip(NEXT) | instid1(VALU_DEP_1)
	v_cmp_eq_u32_e64 s0, 0, v7
	v_cndmask_b32_e64 v135, v9, v6, s0
; %bb.1253:                             ;   in Loop: Header=BB436_806 Depth=1
	s_or_b32 exec_lo, exec_lo, s12
	v_lshrrev_b32_e32 v6, 16, v2
	v_mov_b32_e32 v7, 0
	s_mov_b32 s12, exec_lo
	s_delay_alu instid0(VALU_DEP_2) | instskip(NEXT) | instid1(VALU_DEP_1)
	v_and_b32_e32 v9, 0xff, v6
	v_cmpx_ne_u16_e32 0, v9
	s_cbranch_execz .LBB436_1261
; %bb.1254:                             ;   in Loop: Header=BB436_806 Depth=1
	v_bfrev_b32_e32 v7, 1
	s_mov_b32 s13, exec_lo
	v_cmpx_ne_u16_e32 0x80, v9
	s_cbranch_execz .LBB436_1260
; %bb.1255:                             ;   in Loop: Header=BB436_806 Depth=1
	v_bfe_u32 v144, v2, 16, 7
	v_mov_b32_e32 v7, 0x7f800001
	s_mov_b32 s15, exec_lo
	s_delay_alu instid0(VALU_DEP_2)
	v_cmpx_ne_u32_e32 0x7f, v144
	s_cbranch_execz .LBB436_1259
; %bb.1256:                             ;   in Loop: Header=BB436_806 Depth=1
	v_and_b32_e32 v9, 7, v6
	v_lshrrev_b32_e32 v7, 3, v144
	s_mov_b32 s16, exec_lo
	v_cmpx_gt_u32_e32 8, v144
; %bb.1257:                             ;   in Loop: Header=BB436_806 Depth=1
	s_delay_alu instid0(VALU_DEP_3) | instskip(NEXT) | instid1(VALU_DEP_1)
	v_clz_i32_u32_e32 v7, v9
	v_min_u32_e32 v7, 32, v7
	s_delay_alu instid0(VALU_DEP_1) | instskip(SKIP_1) | instid1(VALU_DEP_2)
	v_subrev_nc_u32_e32 v144, 28, v7
	v_sub_nc_u32_e32 v7, 29, v7
	v_lshlrev_b64 v[144:145], v144, v[9:10]
	s_delay_alu instid0(VALU_DEP_1)
	v_and_b32_e32 v9, 7, v144
; %bb.1258:                             ;   in Loop: Header=BB436_806 Depth=1
	s_or_b32 exec_lo, exec_lo, s16
	v_lshlrev_b32_e32 v6, 24, v6
	s_delay_alu instid0(VALU_DEP_2) | instskip(SKIP_1) | instid1(VALU_DEP_3)
	v_lshlrev_b32_e32 v9, 20, v9
	v_lshl_add_u32 v7, v7, 23, 0x3c000000
	v_and_b32_e32 v6, 0x80000000, v6
	s_delay_alu instid0(VALU_DEP_1)
	v_or3_b32 v7, v9, v6, v7
.LBB436_1259:                           ;   in Loop: Header=BB436_806 Depth=1
	s_or_b32 exec_lo, exec_lo, s15
.LBB436_1260:                           ;   in Loop: Header=BB436_806 Depth=1
	s_delay_alu instid0(SALU_CYCLE_1)
	s_or_b32 exec_lo, exec_lo, s13
.LBB436_1261:                           ;   in Loop: Header=BB436_806 Depth=1
	s_delay_alu instid0(SALU_CYCLE_1) | instskip(NEXT) | instid1(VALU_DEP_1)
	s_or_b32 exec_lo, exec_lo, s12
	v_mul_f32_e32 v6, v8, v7
                                        ; implicit-def: $vgpr144
	s_delay_alu instid0(VALU_DEP_1) | instskip(NEXT) | instid1(VALU_DEP_1)
	v_and_b32_e32 v7, 0x7f800000, v6
	v_cmp_ne_u32_e64 s0, 0x7f800000, v7
	s_delay_alu instid0(VALU_DEP_1) | instskip(NEXT) | instid1(SALU_CYCLE_1)
	s_and_saveexec_b32 s12, s0
	s_xor_b32 s0, exec_lo, s12
; %bb.1262:                             ;   in Loop: Header=BB436_806 Depth=1
	v_bfe_u32 v7, v6, 16, 1
	s_delay_alu instid0(VALU_DEP_1)
	v_add3_u32 v144, v6, v7, 0x7fff
                                        ; implicit-def: $vgpr6
; %bb.1263:                             ;   in Loop: Header=BB436_806 Depth=1
	s_and_not1_saveexec_b32 s12, s0
; %bb.1264:                             ;   in Loop: Header=BB436_806 Depth=1
	v_and_b32_e32 v7, 0xffff, v6
	v_or_b32_e32 v9, 0x10000, v6
	s_delay_alu instid0(VALU_DEP_2) | instskip(NEXT) | instid1(VALU_DEP_1)
	v_cmp_eq_u32_e64 s0, 0, v7
	v_cndmask_b32_e64 v144, v9, v6, s0
; %bb.1265:                             ;   in Loop: Header=BB436_806 Depth=1
	s_or_b32 exec_lo, exec_lo, s12
	v_mov_b32_e32 v7, 0
	s_mov_b32 s12, exec_lo
	v_cmpx_lt_u32_e32 0xffffff, v2
	s_cbranch_execz .LBB436_1273
; %bb.1266:                             ;   in Loop: Header=BB436_806 Depth=1
	v_lshrrev_b32_e32 v6, 24, v2
	v_bfrev_b32_e32 v7, 1
	s_mov_b32 s13, exec_lo
	s_delay_alu instid0(VALU_DEP_2)
	v_cmpx_ne_u32_e32 0x80, v6
	s_cbranch_execz .LBB436_1272
; %bb.1267:                             ;   in Loop: Header=BB436_806 Depth=1
	v_bfe_u32 v145, v2, 24, 7
	v_mov_b32_e32 v7, 0x7f800001
	s_mov_b32 s15, exec_lo
	s_delay_alu instid0(VALU_DEP_2)
	v_cmpx_ne_u32_e32 0x7f, v145
	s_cbranch_execz .LBB436_1271
; %bb.1268:                             ;   in Loop: Header=BB436_806 Depth=1
	v_and_b32_e32 v9, 7, v6
	v_lshrrev_b32_e32 v7, 3, v145
	s_mov_b32 s16, exec_lo
	v_cmpx_gt_u32_e32 8, v145
; %bb.1269:                             ;   in Loop: Header=BB436_806 Depth=1
	s_delay_alu instid0(VALU_DEP_3) | instskip(NEXT) | instid1(VALU_DEP_1)
	v_clz_i32_u32_e32 v7, v9
	v_min_u32_e32 v7, 32, v7
	s_delay_alu instid0(VALU_DEP_1) | instskip(SKIP_1) | instid1(VALU_DEP_2)
	v_subrev_nc_u32_e32 v145, 28, v7
	v_sub_nc_u32_e32 v7, 29, v7
	v_lshlrev_b64 v[145:146], v145, v[9:10]
	s_delay_alu instid0(VALU_DEP_1)
	v_and_b32_e32 v9, 7, v145
; %bb.1270:                             ;   in Loop: Header=BB436_806 Depth=1
	s_or_b32 exec_lo, exec_lo, s16
	v_lshlrev_b32_e32 v6, 24, v6
	s_delay_alu instid0(VALU_DEP_2) | instskip(SKIP_1) | instid1(VALU_DEP_3)
	v_lshlrev_b32_e32 v9, 20, v9
	v_lshl_add_u32 v7, v7, 23, 0x3c000000
	v_and_b32_e32 v6, 0x80000000, v6
	s_delay_alu instid0(VALU_DEP_1)
	v_or3_b32 v7, v9, v6, v7
.LBB436_1271:                           ;   in Loop: Header=BB436_806 Depth=1
	s_or_b32 exec_lo, exec_lo, s15
.LBB436_1272:                           ;   in Loop: Header=BB436_806 Depth=1
	s_delay_alu instid0(SALU_CYCLE_1)
	s_or_b32 exec_lo, exec_lo, s13
.LBB436_1273:                           ;   in Loop: Header=BB436_806 Depth=1
	s_delay_alu instid0(SALU_CYCLE_1) | instskip(NEXT) | instid1(VALU_DEP_1)
	s_or_b32 exec_lo, exec_lo, s12
	v_mul_f32_e32 v6, v8, v7
                                        ; implicit-def: $vgpr145
	s_delay_alu instid0(VALU_DEP_1) | instskip(NEXT) | instid1(VALU_DEP_1)
	v_and_b32_e32 v7, 0x7f800000, v6
	v_cmp_ne_u32_e64 s0, 0x7f800000, v7
	s_delay_alu instid0(VALU_DEP_1) | instskip(NEXT) | instid1(SALU_CYCLE_1)
	s_and_saveexec_b32 s12, s0
	s_xor_b32 s0, exec_lo, s12
; %bb.1274:                             ;   in Loop: Header=BB436_806 Depth=1
	v_bfe_u32 v7, v6, 16, 1
	s_delay_alu instid0(VALU_DEP_1)
	v_add3_u32 v145, v6, v7, 0x7fff
                                        ; implicit-def: $vgpr6
; %bb.1275:                             ;   in Loop: Header=BB436_806 Depth=1
	s_and_not1_saveexec_b32 s12, s0
; %bb.1276:                             ;   in Loop: Header=BB436_806 Depth=1
	v_and_b32_e32 v7, 0xffff, v6
	v_or_b32_e32 v9, 0x10000, v6
	s_delay_alu instid0(VALU_DEP_2) | instskip(NEXT) | instid1(VALU_DEP_1)
	v_cmp_eq_u32_e64 s0, 0, v7
	v_cndmask_b32_e64 v145, v9, v6, s0
; %bb.1277:                             ;   in Loop: Header=BB436_806 Depth=1
	s_or_b32 exec_lo, exec_lo, s12
	v_dual_mov_b32 v6, 0 :: v_dual_and_b32 v7, 0xff, v3
	v_mov_b32_e32 v9, v3
	s_mov_b32 s12, exec_lo
	s_delay_alu instid0(VALU_DEP_2)
	v_cmpx_ne_u16_e32 0, v7
	s_cbranch_execz .LBB436_1285
; %bb.1278:                             ;   in Loop: Header=BB436_806 Depth=1
	v_bfrev_b32_e32 v6, 1
	s_mov_b32 s13, exec_lo
	v_cmpx_ne_u16_e32 0x80, v7
	s_cbranch_execz .LBB436_1284
; %bb.1279:                             ;   in Loop: Header=BB436_806 Depth=1
	v_and_b32_e32 v7, 0x7f, v3
	v_mov_b32_e32 v6, 0x7f800001
	s_mov_b32 s15, exec_lo
	s_delay_alu instid0(VALU_DEP_2)
	v_cmpx_ne_u32_e32 0x7f, v7
	s_cbranch_execz .LBB436_1283
; %bb.1280:                             ;   in Loop: Header=BB436_806 Depth=1
	v_lshrrev_b32_e32 v146, 3, v7
	v_cmp_gt_u32_e64 s0, 8, v7
	v_dual_mov_b32 v6, v9 :: v_dual_mov_b32 v7, v10
	s_delay_alu instid0(VALU_DEP_2)
	s_and_saveexec_b32 s16, s0
; %bb.1281:                             ;   in Loop: Header=BB436_806 Depth=1
	v_and_b32_e32 v6, 7, v3
	s_delay_alu instid0(VALU_DEP_1) | instskip(NEXT) | instid1(VALU_DEP_1)
	v_clz_i32_u32_e32 v6, v6
	v_min_u32_e32 v146, 32, v6
	s_delay_alu instid0(VALU_DEP_1) | instskip(SKIP_1) | instid1(VALU_DEP_2)
	v_subrev_nc_u32_e32 v6, 28, v146
	v_sub_nc_u32_e32 v146, 29, v146
	v_lshlrev_b64 v[6:7], v6, v[9:10]
; %bb.1282:                             ;   in Loop: Header=BB436_806 Depth=1
	s_or_b32 exec_lo, exec_lo, s16
	s_delay_alu instid0(VALU_DEP_1) | instskip(SKIP_2) | instid1(VALU_DEP_3)
	v_lshlrev_b32_e32 v6, 20, v6
	v_lshlrev_b32_e32 v7, 24, v9
	v_lshl_add_u32 v146, v146, 23, 0x3c000000
	v_and_b32_e32 v6, 0x700000, v6
	s_delay_alu instid0(VALU_DEP_3) | instskip(NEXT) | instid1(VALU_DEP_1)
	v_and_b32_e32 v7, 0x80000000, v7
	v_or3_b32 v6, v6, v7, v146
.LBB436_1283:                           ;   in Loop: Header=BB436_806 Depth=1
	s_or_b32 exec_lo, exec_lo, s15
.LBB436_1284:                           ;   in Loop: Header=BB436_806 Depth=1
	s_delay_alu instid0(SALU_CYCLE_1)
	s_or_b32 exec_lo, exec_lo, s13
.LBB436_1285:                           ;   in Loop: Header=BB436_806 Depth=1
	s_delay_alu instid0(SALU_CYCLE_1) | instskip(NEXT) | instid1(VALU_DEP_1)
	s_or_b32 exec_lo, exec_lo, s12
	v_mul_f32_e32 v6, v8, v6
                                        ; implicit-def: $vgpr146
	s_delay_alu instid0(VALU_DEP_1) | instskip(NEXT) | instid1(VALU_DEP_1)
	v_and_b32_e32 v7, 0x7f800000, v6
	v_cmp_ne_u32_e64 s0, 0x7f800000, v7
	s_delay_alu instid0(VALU_DEP_1) | instskip(NEXT) | instid1(SALU_CYCLE_1)
	s_and_saveexec_b32 s12, s0
	s_xor_b32 s0, exec_lo, s12
; %bb.1286:                             ;   in Loop: Header=BB436_806 Depth=1
	v_bfe_u32 v7, v6, 16, 1
	s_delay_alu instid0(VALU_DEP_1)
	v_add3_u32 v146, v6, v7, 0x7fff
                                        ; implicit-def: $vgpr6
; %bb.1287:                             ;   in Loop: Header=BB436_806 Depth=1
	s_and_not1_saveexec_b32 s12, s0
; %bb.1288:                             ;   in Loop: Header=BB436_806 Depth=1
	v_and_b32_e32 v7, 0xffff, v6
	v_or_b32_e32 v146, 0x10000, v6
	s_delay_alu instid0(VALU_DEP_2) | instskip(NEXT) | instid1(VALU_DEP_1)
	v_cmp_eq_u32_e64 s0, 0, v7
	v_cndmask_b32_e64 v146, v146, v6, s0
; %bb.1289:                             ;   in Loop: Header=BB436_806 Depth=1
	s_or_b32 exec_lo, exec_lo, s12
	v_lshrrev_b16 v7, 8, v9
	v_mov_b32_e32 v6, 0
	s_mov_b32 s12, exec_lo
	s_delay_alu instid0(VALU_DEP_2)
	v_cmpx_ne_u16_e32 0, v7
	s_cbranch_execz .LBB436_1297
; %bb.1290:                             ;   in Loop: Header=BB436_806 Depth=1
	v_bfrev_b32_e32 v6, 1
	s_mov_b32 s13, exec_lo
	v_cmpx_ne_u16_e32 0x80, v7
	s_cbranch_execz .LBB436_1296
; %bb.1291:                             ;   in Loop: Header=BB436_806 Depth=1
	v_and_b32_e32 v7, 0xffff, v7
	v_mov_b32_e32 v6, 0x7f800001
	s_mov_b32 s15, exec_lo
	s_delay_alu instid0(VALU_DEP_2) | instskip(NEXT) | instid1(VALU_DEP_1)
	v_and_b32_e32 v148, 0x7f, v7
	v_cmpx_ne_u32_e32 0x7f, v148
	s_cbranch_execz .LBB436_1295
; %bb.1292:                             ;   in Loop: Header=BB436_806 Depth=1
	v_dual_mov_b32 v7, v10 :: v_dual_and_b32 v6, 7, v7
	v_lshrrev_b32_e32 v147, 3, v148
	s_mov_b32 s16, exec_lo
	v_cmpx_gt_u32_e32 8, v148
; %bb.1293:                             ;   in Loop: Header=BB436_806 Depth=1
	s_delay_alu instid0(VALU_DEP_3) | instskip(NEXT) | instid1(VALU_DEP_1)
	v_clz_i32_u32_e32 v147, v6
	v_min_u32_e32 v147, 32, v147
	s_delay_alu instid0(VALU_DEP_1) | instskip(SKIP_1) | instid1(VALU_DEP_2)
	v_subrev_nc_u32_e32 v148, 28, v147
	v_sub_nc_u32_e32 v147, 29, v147
	v_lshlrev_b64 v[6:7], v148, v[6:7]
	s_delay_alu instid0(VALU_DEP_1)
	v_and_b32_e32 v6, 7, v6
; %bb.1294:                             ;   in Loop: Header=BB436_806 Depth=1
	s_or_b32 exec_lo, exec_lo, s16
	v_lshlrev_b32_e32 v7, 16, v9
	s_delay_alu instid0(VALU_DEP_2) | instskip(SKIP_1) | instid1(VALU_DEP_3)
	v_lshlrev_b32_e32 v6, 20, v6
	v_lshl_add_u32 v9, v147, 23, 0x3c000000
	v_and_b32_e32 v7, 0x80000000, v7
	s_delay_alu instid0(VALU_DEP_1)
	v_or3_b32 v6, v6, v7, v9
.LBB436_1295:                           ;   in Loop: Header=BB436_806 Depth=1
	s_or_b32 exec_lo, exec_lo, s15
.LBB436_1296:                           ;   in Loop: Header=BB436_806 Depth=1
	s_delay_alu instid0(SALU_CYCLE_1)
	s_or_b32 exec_lo, exec_lo, s13
.LBB436_1297:                           ;   in Loop: Header=BB436_806 Depth=1
	s_delay_alu instid0(SALU_CYCLE_1) | instskip(NEXT) | instid1(VALU_DEP_1)
	s_or_b32 exec_lo, exec_lo, s12
	v_mul_f32_e32 v7, v8, v6
	s_delay_alu instid0(VALU_DEP_1) | instskip(NEXT) | instid1(VALU_DEP_1)
	v_and_b32_e32 v6, 0x7f800000, v7
	v_cmp_ne_u32_e64 s0, 0x7f800000, v6
                                        ; implicit-def: $vgpr6
	s_delay_alu instid0(VALU_DEP_1) | instskip(NEXT) | instid1(SALU_CYCLE_1)
	s_and_saveexec_b32 s12, s0
	s_xor_b32 s0, exec_lo, s12
; %bb.1298:                             ;   in Loop: Header=BB436_806 Depth=1
	v_bfe_u32 v6, v7, 16, 1
	s_delay_alu instid0(VALU_DEP_1)
	v_add3_u32 v6, v7, v6, 0x7fff
                                        ; implicit-def: $vgpr7
; %bb.1299:                             ;   in Loop: Header=BB436_806 Depth=1
	s_and_not1_saveexec_b32 s12, s0
; %bb.1300:                             ;   in Loop: Header=BB436_806 Depth=1
	v_and_b32_e32 v6, 0xffff, v7
	v_or_b32_e32 v9, 0x10000, v7
	s_delay_alu instid0(VALU_DEP_2) | instskip(NEXT) | instid1(VALU_DEP_1)
	v_cmp_eq_u32_e64 s0, 0, v6
	v_cndmask_b32_e64 v6, v9, v7, s0
; %bb.1301:                             ;   in Loop: Header=BB436_806 Depth=1
	s_or_b32 exec_lo, exec_lo, s12
	v_lshrrev_b32_e32 v7, 16, v3
	v_mov_b32_e32 v9, 0
	s_mov_b32 s12, exec_lo
	s_delay_alu instid0(VALU_DEP_2) | instskip(NEXT) | instid1(VALU_DEP_1)
	v_and_b32_e32 v147, 0xff, v7
	v_cmpx_ne_u16_e64 0, v147
	s_cbranch_execz .LBB436_1309
; %bb.1302:                             ;   in Loop: Header=BB436_806 Depth=1
	v_bfrev_b32_e32 v9, 1
	s_mov_b32 s13, exec_lo
	v_cmpx_ne_u16_e64 0x80, v147
	s_cbranch_execz .LBB436_1308
; %bb.1303:                             ;   in Loop: Header=BB436_806 Depth=1
	v_bfe_u32 v148, v3, 16, 7
	v_mov_b32_e32 v9, 0x7f800001
	s_mov_b32 s15, exec_lo
	s_delay_alu instid0(VALU_DEP_2)
	v_cmpx_ne_u32_e32 0x7f, v148
	s_cbranch_execz .LBB436_1307
; %bb.1304:                             ;   in Loop: Header=BB436_806 Depth=1
	v_and_b32_e32 v9, 7, v7
	v_lshrrev_b32_e32 v147, 3, v148
	s_mov_b32 s16, exec_lo
	v_cmpx_gt_u32_e32 8, v148
; %bb.1305:                             ;   in Loop: Header=BB436_806 Depth=1
	s_delay_alu instid0(VALU_DEP_3) | instskip(NEXT) | instid1(VALU_DEP_1)
	v_clz_i32_u32_e32 v147, v9
	v_min_u32_e32 v147, 32, v147
	s_delay_alu instid0(VALU_DEP_1) | instskip(SKIP_1) | instid1(VALU_DEP_2)
	v_subrev_nc_u32_e32 v148, 28, v147
	v_sub_nc_u32_e32 v147, 29, v147
	v_lshlrev_b64 v[148:149], v148, v[9:10]
	s_delay_alu instid0(VALU_DEP_1)
	v_and_b32_e32 v9, 7, v148
; %bb.1306:                             ;   in Loop: Header=BB436_806 Depth=1
	s_or_b32 exec_lo, exec_lo, s16
	v_lshlrev_b32_e32 v7, 24, v7
	s_delay_alu instid0(VALU_DEP_2) | instskip(SKIP_1) | instid1(VALU_DEP_3)
	v_lshlrev_b32_e32 v9, 20, v9
	v_lshl_add_u32 v147, v147, 23, 0x3c000000
	v_and_b32_e32 v7, 0x80000000, v7
	s_delay_alu instid0(VALU_DEP_1)
	v_or3_b32 v9, v9, v7, v147
.LBB436_1307:                           ;   in Loop: Header=BB436_806 Depth=1
	s_or_b32 exec_lo, exec_lo, s15
.LBB436_1308:                           ;   in Loop: Header=BB436_806 Depth=1
	s_delay_alu instid0(SALU_CYCLE_1)
	s_or_b32 exec_lo, exec_lo, s13
.LBB436_1309:                           ;   in Loop: Header=BB436_806 Depth=1
	s_delay_alu instid0(SALU_CYCLE_1) | instskip(NEXT) | instid1(VALU_DEP_1)
	s_or_b32 exec_lo, exec_lo, s12
	v_mul_f32_e32 v7, v8, v9
                                        ; implicit-def: $vgpr147
	s_delay_alu instid0(VALU_DEP_1) | instskip(NEXT) | instid1(VALU_DEP_1)
	v_and_b32_e32 v9, 0x7f800000, v7
	v_cmp_ne_u32_e64 s0, 0x7f800000, v9
	s_delay_alu instid0(VALU_DEP_1) | instskip(NEXT) | instid1(SALU_CYCLE_1)
	s_and_saveexec_b32 s12, s0
	s_xor_b32 s0, exec_lo, s12
; %bb.1310:                             ;   in Loop: Header=BB436_806 Depth=1
	v_bfe_u32 v9, v7, 16, 1
	s_delay_alu instid0(VALU_DEP_1)
	v_add3_u32 v147, v7, v9, 0x7fff
                                        ; implicit-def: $vgpr7
; %bb.1311:                             ;   in Loop: Header=BB436_806 Depth=1
	s_and_not1_saveexec_b32 s12, s0
; %bb.1312:                             ;   in Loop: Header=BB436_806 Depth=1
	v_and_b32_e32 v9, 0xffff, v7
	v_or_b32_e32 v147, 0x10000, v7
	s_delay_alu instid0(VALU_DEP_2) | instskip(NEXT) | instid1(VALU_DEP_1)
	v_cmp_eq_u32_e64 s0, 0, v9
	v_cndmask_b32_e64 v147, v147, v7, s0
; %bb.1313:                             ;   in Loop: Header=BB436_806 Depth=1
	s_or_b32 exec_lo, exec_lo, s12
	v_mov_b32_e32 v7, 0
	s_mov_b32 s12, exec_lo
	v_cmpx_lt_u64_e64 s[8:9], v[2:3]
	s_cbranch_execz .LBB436_1321
; %bb.1314:                             ;   in Loop: Header=BB436_806 Depth=1
	v_lshrrev_b32_e32 v2, 24, v3
	v_bfrev_b32_e32 v7, 1
	s_mov_b32 s13, exec_lo
	s_delay_alu instid0(VALU_DEP_2)
	v_cmpx_ne_u32_e32 0x80, v2
	s_cbranch_execz .LBB436_1320
; %bb.1315:                             ;   in Loop: Header=BB436_806 Depth=1
	v_bfe_u32 v148, v3, 24, 7
	v_mov_b32_e32 v7, 0x7f800001
	s_mov_b32 s15, exec_lo
	s_delay_alu instid0(VALU_DEP_2)
	v_cmpx_ne_u32_e32 0x7f, v148
	s_cbranch_execz .LBB436_1319
; %bb.1316:                             ;   in Loop: Header=BB436_806 Depth=1
	v_and_b32_e32 v9, 7, v2
	v_lshrrev_b32_e32 v3, 3, v148
	s_mov_b32 s16, exec_lo
	v_cmpx_gt_u32_e32 8, v148
; %bb.1317:                             ;   in Loop: Header=BB436_806 Depth=1
	s_delay_alu instid0(VALU_DEP_3) | instskip(NEXT) | instid1(VALU_DEP_1)
	v_clz_i32_u32_e32 v3, v9
	v_min_u32_e32 v3, 32, v3
	s_delay_alu instid0(VALU_DEP_1) | instskip(SKIP_1) | instid1(VALU_DEP_2)
	v_subrev_nc_u32_e32 v7, 28, v3
	v_sub_nc_u32_e32 v3, 29, v3
	v_lshlrev_b64 v[148:149], v7, v[9:10]
	s_delay_alu instid0(VALU_DEP_1)
	v_and_b32_e32 v9, 7, v148
; %bb.1318:                             ;   in Loop: Header=BB436_806 Depth=1
	s_or_b32 exec_lo, exec_lo, s16
	v_lshlrev_b32_e32 v2, 24, v2
	s_delay_alu instid0(VALU_DEP_2) | instskip(SKIP_1) | instid1(VALU_DEP_3)
	v_lshlrev_b32_e32 v7, 20, v9
	v_lshl_add_u32 v3, v3, 23, 0x3c000000
	v_and_b32_e32 v2, 0x80000000, v2
	s_delay_alu instid0(VALU_DEP_1)
	v_or3_b32 v7, v7, v2, v3
.LBB436_1319:                           ;   in Loop: Header=BB436_806 Depth=1
	s_or_b32 exec_lo, exec_lo, s15
.LBB436_1320:                           ;   in Loop: Header=BB436_806 Depth=1
	s_delay_alu instid0(SALU_CYCLE_1)
	s_or_b32 exec_lo, exec_lo, s13
.LBB436_1321:                           ;   in Loop: Header=BB436_806 Depth=1
	s_delay_alu instid0(SALU_CYCLE_1) | instskip(NEXT) | instid1(VALU_DEP_1)
	s_or_b32 exec_lo, exec_lo, s12
	v_mul_f32_e32 v3, v8, v7
	s_delay_alu instid0(VALU_DEP_1) | instskip(NEXT) | instid1(VALU_DEP_1)
	v_and_b32_e32 v2, 0x7f800000, v3
	v_cmp_ne_u32_e64 s0, 0x7f800000, v2
                                        ; implicit-def: $vgpr2
	s_delay_alu instid0(VALU_DEP_1) | instskip(NEXT) | instid1(SALU_CYCLE_1)
	s_and_saveexec_b32 s12, s0
	s_xor_b32 s0, exec_lo, s12
; %bb.1322:                             ;   in Loop: Header=BB436_806 Depth=1
	v_bfe_u32 v2, v3, 16, 1
	s_delay_alu instid0(VALU_DEP_1)
	v_add3_u32 v2, v3, v2, 0x7fff
                                        ; implicit-def: $vgpr3
; %bb.1323:                             ;   in Loop: Header=BB436_806 Depth=1
	s_and_not1_saveexec_b32 s12, s0
; %bb.1324:                             ;   in Loop: Header=BB436_806 Depth=1
	v_and_b32_e32 v2, 0xffff, v3
	v_or_b32_e32 v7, 0x10000, v3
	s_delay_alu instid0(VALU_DEP_2) | instskip(NEXT) | instid1(VALU_DEP_1)
	v_cmp_eq_u32_e64 s0, 0, v2
	v_cndmask_b32_e64 v2, v7, v3, s0
; %bb.1325:                             ;   in Loop: Header=BB436_806 Depth=1
	s_or_b32 exec_lo, exec_lo, s12
	v_lshrrev_b32_e32 v6, 16, v6
	v_lshrrev_b32_e32 v7, 16, v146
	;; [unrolled: 1-line block ×8, first 2 shown]
	s_and_saveexec_b32 s12, vcc_lo
	s_cbranch_execz .LBB436_1327
; %bb.1326:                             ;   in Loop: Header=BB436_806 Depth=1
	v_cmp_lt_i32_e64 s0, v70, v38
	s_delay_alu instid0(VALU_DEP_1) | instskip(SKIP_1) | instid1(VALU_DEP_1)
	v_cndmask_b32_e64 v134, 0, v134, s0
	v_cmp_lt_i32_e64 s0, v85, v38
	v_cndmask_b32_e64 v135, 0, v135, s0
	v_cmp_lt_i32_e64 s0, v84, v38
	s_delay_alu instid0(VALU_DEP_1) | instskip(SKIP_1) | instid1(VALU_DEP_1)
	v_cndmask_b32_e64 v144, 0, v144, s0
	v_cmp_lt_i32_e64 s0, v83, v38
	v_cndmask_b32_e64 v9, 0, v9, s0
	;; [unrolled: 5-line block ×4, first 2 shown]
.LBB436_1327:                           ;   in Loop: Header=BB436_806 Depth=1
	s_or_b32 exec_lo, exec_lo, s12
	v_lshlrev_b32_e32 v134, 16, v134
	s_delay_alu instid0(VALU_DEP_1) | instskip(NEXT) | instid1(VALU_DEP_1)
	v_mul_f32_e32 v145, v86, v134
	v_and_b32_e32 v134, 0x7f800000, v145
	s_delay_alu instid0(VALU_DEP_1) | instskip(NEXT) | instid1(VALU_DEP_1)
	v_cmp_ne_u32_e64 s0, 0x7f800000, v134
                                        ; implicit-def: $vgpr134
	s_and_saveexec_b32 s12, s0
	s_delay_alu instid0(SALU_CYCLE_1)
	s_xor_b32 s0, exec_lo, s12
; %bb.1328:                             ;   in Loop: Header=BB436_806 Depth=1
	v_bfe_u32 v134, v145, 16, 1
	s_delay_alu instid0(VALU_DEP_1)
	v_add3_u32 v134, v145, v134, 0x7fff
                                        ; implicit-def: $vgpr145
; %bb.1329:                             ;   in Loop: Header=BB436_806 Depth=1
	s_and_not1_saveexec_b32 s12, s0
; %bb.1330:                             ;   in Loop: Header=BB436_806 Depth=1
	v_and_b32_e32 v134, 0xffff, v145
	v_or_b32_e32 v146, 0x10000, v145
	s_delay_alu instid0(VALU_DEP_2) | instskip(NEXT) | instid1(VALU_DEP_1)
	v_cmp_eq_u32_e64 s0, 0, v134
	v_cndmask_b32_e64 v134, v146, v145, s0
; %bb.1331:                             ;   in Loop: Header=BB436_806 Depth=1
	s_or_b32 exec_lo, exec_lo, s12
	v_lshlrev_b32_e32 v135, 16, v135
	s_delay_alu instid0(VALU_DEP_1) | instskip(NEXT) | instid1(VALU_DEP_1)
	v_mul_f32_e32 v145, v87, v135
	v_and_b32_e32 v135, 0x7f800000, v145
	s_delay_alu instid0(VALU_DEP_1) | instskip(NEXT) | instid1(VALU_DEP_1)
	v_cmp_ne_u32_e64 s0, 0x7f800000, v135
                                        ; implicit-def: $vgpr135
	s_and_saveexec_b32 s12, s0
	s_delay_alu instid0(SALU_CYCLE_1)
	s_xor_b32 s0, exec_lo, s12
; %bb.1332:                             ;   in Loop: Header=BB436_806 Depth=1
	v_bfe_u32 v135, v145, 16, 1
	s_delay_alu instid0(VALU_DEP_1)
	v_add3_u32 v135, v145, v135, 0x7fff
                                        ; implicit-def: $vgpr145
; %bb.1333:                             ;   in Loop: Header=BB436_806 Depth=1
	s_and_not1_saveexec_b32 s12, s0
; %bb.1334:                             ;   in Loop: Header=BB436_806 Depth=1
	v_and_b32_e32 v135, 0xffff, v145
	v_or_b32_e32 v146, 0x10000, v145
	s_delay_alu instid0(VALU_DEP_2) | instskip(NEXT) | instid1(VALU_DEP_1)
	v_cmp_eq_u32_e64 s0, 0, v135
	v_cndmask_b32_e64 v135, v146, v145, s0
; %bb.1335:                             ;   in Loop: Header=BB436_806 Depth=1
	s_or_b32 exec_lo, exec_lo, s12
	v_lshlrev_b32_e32 v144, 16, v144
	s_delay_alu instid0(VALU_DEP_1) | instskip(NEXT) | instid1(VALU_DEP_1)
	v_mul_f32_e32 v145, v96, v144
	v_and_b32_e32 v144, 0x7f800000, v145
	s_delay_alu instid0(VALU_DEP_1) | instskip(NEXT) | instid1(VALU_DEP_1)
	v_cmp_ne_u32_e64 s0, 0x7f800000, v144
                                        ; implicit-def: $vgpr144
	s_and_saveexec_b32 s12, s0
	s_delay_alu instid0(SALU_CYCLE_1)
	s_xor_b32 s0, exec_lo, s12
; %bb.1336:                             ;   in Loop: Header=BB436_806 Depth=1
	v_bfe_u32 v144, v145, 16, 1
	s_delay_alu instid0(VALU_DEP_1)
	v_add3_u32 v144, v145, v144, 0x7fff
                                        ; implicit-def: $vgpr145
; %bb.1337:                             ;   in Loop: Header=BB436_806 Depth=1
	s_and_not1_saveexec_b32 s12, s0
; %bb.1338:                             ;   in Loop: Header=BB436_806 Depth=1
	v_and_b32_e32 v144, 0xffff, v145
	v_or_b32_e32 v146, 0x10000, v145
	s_delay_alu instid0(VALU_DEP_2) | instskip(NEXT) | instid1(VALU_DEP_1)
	v_cmp_eq_u32_e64 s0, 0, v144
	v_cndmask_b32_e64 v144, v146, v145, s0
; %bb.1339:                             ;   in Loop: Header=BB436_806 Depth=1
	s_or_b32 exec_lo, exec_lo, s12
	v_lshlrev_b32_e32 v9, 16, v9
	s_delay_alu instid0(VALU_DEP_1) | instskip(NEXT) | instid1(VALU_DEP_1)
	v_mul_f32_e32 v9, v97, v9
	v_and_b32_e32 v145, 0x7f800000, v9
	s_delay_alu instid0(VALU_DEP_1) | instskip(NEXT) | instid1(VALU_DEP_1)
	v_cmp_ne_u32_e64 s0, 0x7f800000, v145
                                        ; implicit-def: $vgpr145
	s_and_saveexec_b32 s12, s0
	s_delay_alu instid0(SALU_CYCLE_1)
	s_xor_b32 s0, exec_lo, s12
; %bb.1340:                             ;   in Loop: Header=BB436_806 Depth=1
	v_bfe_u32 v145, v9, 16, 1
	s_delay_alu instid0(VALU_DEP_1)
	v_add3_u32 v145, v9, v145, 0x7fff
                                        ; implicit-def: $vgpr9
; %bb.1341:                             ;   in Loop: Header=BB436_806 Depth=1
	s_and_not1_saveexec_b32 s12, s0
; %bb.1342:                             ;   in Loop: Header=BB436_806 Depth=1
	v_and_b32_e32 v145, 0xffff, v9
	v_or_b32_e32 v146, 0x10000, v9
	s_delay_alu instid0(VALU_DEP_2) | instskip(NEXT) | instid1(VALU_DEP_1)
	v_cmp_eq_u32_e64 s0, 0, v145
	v_cndmask_b32_e64 v145, v146, v9, s0
; %bb.1343:                             ;   in Loop: Header=BB436_806 Depth=1
	s_or_b32 exec_lo, exec_lo, s12
	v_lshlrev_b32_e32 v7, 16, v7
                                        ; implicit-def: $vgpr146
	s_delay_alu instid0(VALU_DEP_1) | instskip(NEXT) | instid1(VALU_DEP_1)
	v_mul_f32_e32 v7, v98, v7
	v_and_b32_e32 v9, 0x7f800000, v7
	s_delay_alu instid0(VALU_DEP_1) | instskip(NEXT) | instid1(VALU_DEP_1)
	v_cmp_ne_u32_e64 s0, 0x7f800000, v9
	s_and_saveexec_b32 s12, s0
	s_delay_alu instid0(SALU_CYCLE_1)
	s_xor_b32 s0, exec_lo, s12
; %bb.1344:                             ;   in Loop: Header=BB436_806 Depth=1
	v_bfe_u32 v9, v7, 16, 1
	s_delay_alu instid0(VALU_DEP_1)
	v_add3_u32 v146, v7, v9, 0x7fff
                                        ; implicit-def: $vgpr7
; %bb.1345:                             ;   in Loop: Header=BB436_806 Depth=1
	s_and_not1_saveexec_b32 s12, s0
; %bb.1346:                             ;   in Loop: Header=BB436_806 Depth=1
	v_and_b32_e32 v9, 0xffff, v7
	v_or_b32_e32 v146, 0x10000, v7
	s_delay_alu instid0(VALU_DEP_2) | instskip(NEXT) | instid1(VALU_DEP_1)
	v_cmp_eq_u32_e64 s0, 0, v9
	v_cndmask_b32_e64 v146, v146, v7, s0
; %bb.1347:                             ;   in Loop: Header=BB436_806 Depth=1
	s_or_b32 exec_lo, exec_lo, s12
	v_lshlrev_b32_e32 v6, 16, v6
                                        ; implicit-def: $vgpr147
	s_delay_alu instid0(VALU_DEP_1) | instskip(NEXT) | instid1(VALU_DEP_1)
	v_mul_f32_e32 v6, v99, v6
	v_and_b32_e32 v7, 0x7f800000, v6
	s_delay_alu instid0(VALU_DEP_1) | instskip(NEXT) | instid1(VALU_DEP_1)
	v_cmp_ne_u32_e64 s0, 0x7f800000, v7
	s_and_saveexec_b32 s12, s0
	s_delay_alu instid0(SALU_CYCLE_1)
	s_xor_b32 s0, exec_lo, s12
; %bb.1348:                             ;   in Loop: Header=BB436_806 Depth=1
	v_bfe_u32 v7, v6, 16, 1
	s_delay_alu instid0(VALU_DEP_1)
	v_add3_u32 v147, v6, v7, 0x7fff
                                        ; implicit-def: $vgpr6
; %bb.1349:                             ;   in Loop: Header=BB436_806 Depth=1
	s_and_not1_saveexec_b32 s12, s0
; %bb.1350:                             ;   in Loop: Header=BB436_806 Depth=1
	v_and_b32_e32 v7, 0xffff, v6
	v_or_b32_e32 v9, 0x10000, v6
	s_delay_alu instid0(VALU_DEP_2) | instskip(NEXT) | instid1(VALU_DEP_1)
	v_cmp_eq_u32_e64 s0, 0, v7
	v_cndmask_b32_e64 v147, v9, v6, s0
; %bb.1351:                             ;   in Loop: Header=BB436_806 Depth=1
	s_or_b32 exec_lo, exec_lo, s12
	v_lshlrev_b32_e32 v3, 16, v3
                                        ; implicit-def: $vgpr148
	s_delay_alu instid0(VALU_DEP_1) | instskip(NEXT) | instid1(VALU_DEP_1)
	v_mul_f32_e32 v3, v100, v3
	v_and_b32_e32 v6, 0x7f800000, v3
	s_delay_alu instid0(VALU_DEP_1) | instskip(NEXT) | instid1(VALU_DEP_1)
	v_cmp_ne_u32_e64 s0, 0x7f800000, v6
	s_and_saveexec_b32 s12, s0
	s_delay_alu instid0(SALU_CYCLE_1)
	s_xor_b32 s0, exec_lo, s12
; %bb.1352:                             ;   in Loop: Header=BB436_806 Depth=1
	v_bfe_u32 v6, v3, 16, 1
	s_delay_alu instid0(VALU_DEP_1)
	v_add3_u32 v148, v3, v6, 0x7fff
                                        ; implicit-def: $vgpr3
; %bb.1353:                             ;   in Loop: Header=BB436_806 Depth=1
	s_and_not1_saveexec_b32 s12, s0
; %bb.1354:                             ;   in Loop: Header=BB436_806 Depth=1
	v_and_b32_e32 v6, 0xffff, v3
	v_or_b32_e32 v7, 0x10000, v3
	s_delay_alu instid0(VALU_DEP_2) | instskip(NEXT) | instid1(VALU_DEP_1)
	v_cmp_eq_u32_e64 s0, 0, v6
	v_cndmask_b32_e64 v148, v7, v3, s0
; %bb.1355:                             ;   in Loop: Header=BB436_806 Depth=1
	s_or_b32 exec_lo, exec_lo, s12
	v_lshlrev_b32_e32 v2, 16, v2
                                        ; implicit-def: $vgpr149
	s_delay_alu instid0(VALU_DEP_1) | instskip(NEXT) | instid1(VALU_DEP_1)
	v_mul_f32_e32 v2, v101, v2
	v_and_b32_e32 v3, 0x7f800000, v2
	s_delay_alu instid0(VALU_DEP_1) | instskip(NEXT) | instid1(VALU_DEP_1)
	v_cmp_ne_u32_e64 s0, 0x7f800000, v3
	s_and_saveexec_b32 s12, s0
	s_delay_alu instid0(SALU_CYCLE_1)
	s_xor_b32 s0, exec_lo, s12
; %bb.1356:                             ;   in Loop: Header=BB436_806 Depth=1
	v_bfe_u32 v3, v2, 16, 1
	s_delay_alu instid0(VALU_DEP_1)
	v_add3_u32 v149, v2, v3, 0x7fff
                                        ; implicit-def: $vgpr2
; %bb.1357:                             ;   in Loop: Header=BB436_806 Depth=1
	s_and_not1_saveexec_b32 s12, s0
; %bb.1358:                             ;   in Loop: Header=BB436_806 Depth=1
	v_and_b32_e32 v3, 0xffff, v2
	v_or_b32_e32 v6, 0x10000, v2
	s_delay_alu instid0(VALU_DEP_2) | instskip(NEXT) | instid1(VALU_DEP_1)
	v_cmp_eq_u32_e64 s0, 0, v3
	v_cndmask_b32_e64 v149, v6, v2, s0
; %bb.1359:                             ;   in Loop: Header=BB436_806 Depth=1
	s_or_b32 exec_lo, exec_lo, s12
	flat_load_b64 v[2:3], v[0:1] offset:1024
	s_mov_b32 s12, exec_lo
	s_waitcnt vmcnt(0) lgkmcnt(0)
	v_dual_mov_b32 v6, 0 :: v_dual_and_b32 v7, 0xff, v2
	s_delay_alu instid0(VALU_DEP_1)
	v_cmpx_ne_u16_e32 0, v7
	s_cbranch_execz .LBB436_1367
; %bb.1360:                             ;   in Loop: Header=BB436_806 Depth=1
	v_bfrev_b32_e32 v6, 1
	s_mov_b32 s13, exec_lo
	v_cmpx_ne_u16_e32 0x80, v7
	s_cbranch_execz .LBB436_1366
; %bb.1361:                             ;   in Loop: Header=BB436_806 Depth=1
	v_and_b32_e32 v7, 0x7f, v2
	v_mov_b32_e32 v6, 0x7f800001
	s_mov_b32 s15, exec_lo
	s_delay_alu instid0(VALU_DEP_2)
	v_cmpx_ne_u32_e32 0x7f, v7
	s_cbranch_execz .LBB436_1365
; %bb.1362:                             ;   in Loop: Header=BB436_806 Depth=1
	v_lshrrev_b32_e32 v9, 3, v7
	v_cmp_gt_u32_e64 s0, 8, v7
	v_dual_mov_b32 v7, v3 :: v_dual_mov_b32 v6, v2
	s_delay_alu instid0(VALU_DEP_2)
	s_and_saveexec_b32 s16, s0
; %bb.1363:                             ;   in Loop: Header=BB436_806 Depth=1
	v_and_b32_e32 v6, 7, v2
	s_delay_alu instid0(VALU_DEP_1) | instskip(NEXT) | instid1(VALU_DEP_1)
	v_clz_i32_u32_e32 v6, v6
	v_min_u32_e32 v9, 32, v6
	s_delay_alu instid0(VALU_DEP_1) | instskip(SKIP_1) | instid1(VALU_DEP_2)
	v_subrev_nc_u32_e32 v6, 28, v9
	v_sub_nc_u32_e32 v9, 29, v9
	v_lshlrev_b64 v[6:7], v6, v[2:3]
; %bb.1364:                             ;   in Loop: Header=BB436_806 Depth=1
	s_or_b32 exec_lo, exec_lo, s16
	s_delay_alu instid0(VALU_DEP_1) | instskip(SKIP_2) | instid1(VALU_DEP_3)
	v_lshlrev_b32_e32 v6, 20, v6
	v_lshlrev_b32_e32 v7, 24, v2
	v_lshl_add_u32 v9, v9, 23, 0x3c000000
	v_and_b32_e32 v6, 0x700000, v6
	s_delay_alu instid0(VALU_DEP_3) | instskip(NEXT) | instid1(VALU_DEP_1)
	v_and_b32_e32 v7, 0x80000000, v7
	v_or3_b32 v6, v6, v7, v9
.LBB436_1365:                           ;   in Loop: Header=BB436_806 Depth=1
	s_or_b32 exec_lo, exec_lo, s15
.LBB436_1366:                           ;   in Loop: Header=BB436_806 Depth=1
	s_delay_alu instid0(SALU_CYCLE_1)
	s_or_b32 exec_lo, exec_lo, s13
.LBB436_1367:                           ;   in Loop: Header=BB436_806 Depth=1
	s_delay_alu instid0(SALU_CYCLE_1) | instskip(NEXT) | instid1(VALU_DEP_1)
	s_or_b32 exec_lo, exec_lo, s12
	v_mul_f32_e32 v6, v8, v6
                                        ; implicit-def: $vgpr150
	s_delay_alu instid0(VALU_DEP_1) | instskip(NEXT) | instid1(VALU_DEP_1)
	v_and_b32_e32 v7, 0x7f800000, v6
	v_cmp_ne_u32_e64 s0, 0x7f800000, v7
	s_delay_alu instid0(VALU_DEP_1) | instskip(NEXT) | instid1(SALU_CYCLE_1)
	s_and_saveexec_b32 s12, s0
	s_xor_b32 s0, exec_lo, s12
; %bb.1368:                             ;   in Loop: Header=BB436_806 Depth=1
	v_bfe_u32 v7, v6, 16, 1
	s_delay_alu instid0(VALU_DEP_1)
	v_add3_u32 v150, v6, v7, 0x7fff
                                        ; implicit-def: $vgpr6
; %bb.1369:                             ;   in Loop: Header=BB436_806 Depth=1
	s_and_not1_saveexec_b32 s12, s0
; %bb.1370:                             ;   in Loop: Header=BB436_806 Depth=1
	v_and_b32_e32 v7, 0xffff, v6
	v_or_b32_e32 v9, 0x10000, v6
	s_delay_alu instid0(VALU_DEP_2) | instskip(NEXT) | instid1(VALU_DEP_1)
	v_cmp_eq_u32_e64 s0, 0, v7
	v_cndmask_b32_e64 v150, v9, v6, s0
; %bb.1371:                             ;   in Loop: Header=BB436_806 Depth=1
	s_or_b32 exec_lo, exec_lo, s12
	v_lshrrev_b16 v7, 8, v2
	v_mov_b32_e32 v6, 0
	s_mov_b32 s12, exec_lo
	s_delay_alu instid0(VALU_DEP_2)
	v_cmpx_ne_u16_e32 0, v7
	s_cbranch_execz .LBB436_1379
; %bb.1372:                             ;   in Loop: Header=BB436_806 Depth=1
	v_bfrev_b32_e32 v6, 1
	s_mov_b32 s13, exec_lo
	v_cmpx_ne_u16_e32 0x80, v7
	s_cbranch_execz .LBB436_1378
; %bb.1373:                             ;   in Loop: Header=BB436_806 Depth=1
	v_and_b32_e32 v9, 0xffff, v7
	v_mov_b32_e32 v6, 0x7f800001
	s_mov_b32 s15, exec_lo
	s_delay_alu instid0(VALU_DEP_2) | instskip(NEXT) | instid1(VALU_DEP_1)
	v_and_b32_e32 v7, 0x7f, v9
	v_cmpx_ne_u32_e32 0x7f, v7
	s_cbranch_execz .LBB436_1377
; %bb.1374:                             ;   in Loop: Header=BB436_806 Depth=1
	v_and_b32_e32 v9, 7, v9
	v_lshrrev_b32_e32 v6, 3, v7
	s_mov_b32 s16, exec_lo
	v_cmpx_gt_u32_e32 8, v7
; %bb.1375:                             ;   in Loop: Header=BB436_806 Depth=1
	s_delay_alu instid0(VALU_DEP_3) | instskip(NEXT) | instid1(VALU_DEP_1)
	v_clz_i32_u32_e32 v6, v9
	v_min_u32_e32 v6, 32, v6
	s_delay_alu instid0(VALU_DEP_1) | instskip(SKIP_1) | instid1(VALU_DEP_2)
	v_subrev_nc_u32_e32 v7, 28, v6
	v_sub_nc_u32_e32 v6, 29, v6
	v_lshlrev_b64 v[160:161], v7, v[9:10]
	s_delay_alu instid0(VALU_DEP_1)
	v_and_b32_e32 v9, 7, v160
; %bb.1376:                             ;   in Loop: Header=BB436_806 Depth=1
	s_or_b32 exec_lo, exec_lo, s16
	v_lshlrev_b32_e32 v7, 16, v2
	s_delay_alu instid0(VALU_DEP_2) | instskip(SKIP_1) | instid1(VALU_DEP_3)
	v_lshlrev_b32_e32 v9, 20, v9
	v_lshl_add_u32 v6, v6, 23, 0x3c000000
	v_and_b32_e32 v7, 0x80000000, v7
	s_delay_alu instid0(VALU_DEP_1)
	v_or3_b32 v6, v9, v7, v6
.LBB436_1377:                           ;   in Loop: Header=BB436_806 Depth=1
	s_or_b32 exec_lo, exec_lo, s15
.LBB436_1378:                           ;   in Loop: Header=BB436_806 Depth=1
	s_delay_alu instid0(SALU_CYCLE_1)
	s_or_b32 exec_lo, exec_lo, s13
.LBB436_1379:                           ;   in Loop: Header=BB436_806 Depth=1
	s_delay_alu instid0(SALU_CYCLE_1) | instskip(NEXT) | instid1(VALU_DEP_1)
	s_or_b32 exec_lo, exec_lo, s12
	v_mul_f32_e32 v6, v8, v6
                                        ; implicit-def: $vgpr151
	s_delay_alu instid0(VALU_DEP_1) | instskip(NEXT) | instid1(VALU_DEP_1)
	v_and_b32_e32 v7, 0x7f800000, v6
	v_cmp_ne_u32_e64 s0, 0x7f800000, v7
	s_delay_alu instid0(VALU_DEP_1) | instskip(NEXT) | instid1(SALU_CYCLE_1)
	s_and_saveexec_b32 s12, s0
	s_xor_b32 s0, exec_lo, s12
; %bb.1380:                             ;   in Loop: Header=BB436_806 Depth=1
	v_bfe_u32 v7, v6, 16, 1
	s_delay_alu instid0(VALU_DEP_1)
	v_add3_u32 v151, v6, v7, 0x7fff
                                        ; implicit-def: $vgpr6
; %bb.1381:                             ;   in Loop: Header=BB436_806 Depth=1
	s_and_not1_saveexec_b32 s12, s0
; %bb.1382:                             ;   in Loop: Header=BB436_806 Depth=1
	v_and_b32_e32 v7, 0xffff, v6
	v_or_b32_e32 v9, 0x10000, v6
	s_delay_alu instid0(VALU_DEP_2) | instskip(NEXT) | instid1(VALU_DEP_1)
	v_cmp_eq_u32_e64 s0, 0, v7
	v_cndmask_b32_e64 v151, v9, v6, s0
; %bb.1383:                             ;   in Loop: Header=BB436_806 Depth=1
	s_or_b32 exec_lo, exec_lo, s12
	v_lshrrev_b32_e32 v6, 16, v2
	v_mov_b32_e32 v7, 0
	s_mov_b32 s12, exec_lo
	s_delay_alu instid0(VALU_DEP_2) | instskip(NEXT) | instid1(VALU_DEP_1)
	v_and_b32_e32 v9, 0xff, v6
	v_cmpx_ne_u16_e32 0, v9
	s_cbranch_execz .LBB436_1391
; %bb.1384:                             ;   in Loop: Header=BB436_806 Depth=1
	v_bfrev_b32_e32 v7, 1
	s_mov_b32 s13, exec_lo
	v_cmpx_ne_u16_e32 0x80, v9
	s_cbranch_execz .LBB436_1390
; %bb.1385:                             ;   in Loop: Header=BB436_806 Depth=1
	v_bfe_u32 v160, v2, 16, 7
	v_mov_b32_e32 v7, 0x7f800001
	s_mov_b32 s15, exec_lo
	s_delay_alu instid0(VALU_DEP_2)
	v_cmpx_ne_u32_e32 0x7f, v160
	s_cbranch_execz .LBB436_1389
; %bb.1386:                             ;   in Loop: Header=BB436_806 Depth=1
	v_and_b32_e32 v9, 7, v6
	v_lshrrev_b32_e32 v7, 3, v160
	s_mov_b32 s16, exec_lo
	v_cmpx_gt_u32_e32 8, v160
; %bb.1387:                             ;   in Loop: Header=BB436_806 Depth=1
	s_delay_alu instid0(VALU_DEP_3) | instskip(NEXT) | instid1(VALU_DEP_1)
	v_clz_i32_u32_e32 v7, v9
	v_min_u32_e32 v7, 32, v7
	s_delay_alu instid0(VALU_DEP_1) | instskip(SKIP_1) | instid1(VALU_DEP_2)
	v_subrev_nc_u32_e32 v160, 28, v7
	v_sub_nc_u32_e32 v7, 29, v7
	v_lshlrev_b64 v[160:161], v160, v[9:10]
	s_delay_alu instid0(VALU_DEP_1)
	v_and_b32_e32 v9, 7, v160
; %bb.1388:                             ;   in Loop: Header=BB436_806 Depth=1
	s_or_b32 exec_lo, exec_lo, s16
	v_lshlrev_b32_e32 v6, 24, v6
	s_delay_alu instid0(VALU_DEP_2) | instskip(SKIP_1) | instid1(VALU_DEP_3)
	v_lshlrev_b32_e32 v9, 20, v9
	v_lshl_add_u32 v7, v7, 23, 0x3c000000
	v_and_b32_e32 v6, 0x80000000, v6
	s_delay_alu instid0(VALU_DEP_1)
	v_or3_b32 v7, v9, v6, v7
.LBB436_1389:                           ;   in Loop: Header=BB436_806 Depth=1
	s_or_b32 exec_lo, exec_lo, s15
.LBB436_1390:                           ;   in Loop: Header=BB436_806 Depth=1
	s_delay_alu instid0(SALU_CYCLE_1)
	s_or_b32 exec_lo, exec_lo, s13
.LBB436_1391:                           ;   in Loop: Header=BB436_806 Depth=1
	s_delay_alu instid0(SALU_CYCLE_1) | instskip(NEXT) | instid1(VALU_DEP_1)
	s_or_b32 exec_lo, exec_lo, s12
	v_mul_f32_e32 v6, v8, v7
                                        ; implicit-def: $vgpr160
	s_delay_alu instid0(VALU_DEP_1) | instskip(NEXT) | instid1(VALU_DEP_1)
	v_and_b32_e32 v7, 0x7f800000, v6
	v_cmp_ne_u32_e64 s0, 0x7f800000, v7
	s_delay_alu instid0(VALU_DEP_1) | instskip(NEXT) | instid1(SALU_CYCLE_1)
	s_and_saveexec_b32 s12, s0
	s_xor_b32 s0, exec_lo, s12
; %bb.1392:                             ;   in Loop: Header=BB436_806 Depth=1
	v_bfe_u32 v7, v6, 16, 1
	s_delay_alu instid0(VALU_DEP_1)
	v_add3_u32 v160, v6, v7, 0x7fff
                                        ; implicit-def: $vgpr6
; %bb.1393:                             ;   in Loop: Header=BB436_806 Depth=1
	s_and_not1_saveexec_b32 s12, s0
; %bb.1394:                             ;   in Loop: Header=BB436_806 Depth=1
	v_and_b32_e32 v7, 0xffff, v6
	v_or_b32_e32 v9, 0x10000, v6
	s_delay_alu instid0(VALU_DEP_2) | instskip(NEXT) | instid1(VALU_DEP_1)
	v_cmp_eq_u32_e64 s0, 0, v7
	v_cndmask_b32_e64 v160, v9, v6, s0
; %bb.1395:                             ;   in Loop: Header=BB436_806 Depth=1
	s_or_b32 exec_lo, exec_lo, s12
	v_mov_b32_e32 v7, 0
	s_mov_b32 s12, exec_lo
	v_cmpx_lt_u32_e32 0xffffff, v2
	s_cbranch_execz .LBB436_1403
; %bb.1396:                             ;   in Loop: Header=BB436_806 Depth=1
	v_lshrrev_b32_e32 v6, 24, v2
	v_bfrev_b32_e32 v7, 1
	s_mov_b32 s13, exec_lo
	s_delay_alu instid0(VALU_DEP_2)
	v_cmpx_ne_u32_e32 0x80, v6
	s_cbranch_execz .LBB436_1402
; %bb.1397:                             ;   in Loop: Header=BB436_806 Depth=1
	v_bfe_u32 v161, v2, 24, 7
	v_mov_b32_e32 v7, 0x7f800001
	s_mov_b32 s15, exec_lo
	s_delay_alu instid0(VALU_DEP_2)
	v_cmpx_ne_u32_e32 0x7f, v161
	s_cbranch_execz .LBB436_1401
; %bb.1398:                             ;   in Loop: Header=BB436_806 Depth=1
	v_and_b32_e32 v9, 7, v6
	v_lshrrev_b32_e32 v7, 3, v161
	s_mov_b32 s16, exec_lo
	v_cmpx_gt_u32_e32 8, v161
; %bb.1399:                             ;   in Loop: Header=BB436_806 Depth=1
	s_delay_alu instid0(VALU_DEP_3) | instskip(NEXT) | instid1(VALU_DEP_1)
	v_clz_i32_u32_e32 v7, v9
	v_min_u32_e32 v7, 32, v7
	s_delay_alu instid0(VALU_DEP_1) | instskip(SKIP_1) | instid1(VALU_DEP_2)
	v_subrev_nc_u32_e32 v161, 28, v7
	v_sub_nc_u32_e32 v7, 29, v7
	v_lshlrev_b64 v[161:162], v161, v[9:10]
	s_delay_alu instid0(VALU_DEP_1)
	v_and_b32_e32 v9, 7, v161
; %bb.1400:                             ;   in Loop: Header=BB436_806 Depth=1
	s_or_b32 exec_lo, exec_lo, s16
	v_lshlrev_b32_e32 v6, 24, v6
	s_delay_alu instid0(VALU_DEP_2) | instskip(SKIP_1) | instid1(VALU_DEP_3)
	v_lshlrev_b32_e32 v9, 20, v9
	v_lshl_add_u32 v7, v7, 23, 0x3c000000
	v_and_b32_e32 v6, 0x80000000, v6
	s_delay_alu instid0(VALU_DEP_1)
	v_or3_b32 v7, v9, v6, v7
.LBB436_1401:                           ;   in Loop: Header=BB436_806 Depth=1
	s_or_b32 exec_lo, exec_lo, s15
.LBB436_1402:                           ;   in Loop: Header=BB436_806 Depth=1
	s_delay_alu instid0(SALU_CYCLE_1)
	s_or_b32 exec_lo, exec_lo, s13
.LBB436_1403:                           ;   in Loop: Header=BB436_806 Depth=1
	s_delay_alu instid0(SALU_CYCLE_1) | instskip(NEXT) | instid1(VALU_DEP_1)
	s_or_b32 exec_lo, exec_lo, s12
	v_mul_f32_e32 v6, v8, v7
                                        ; implicit-def: $vgpr161
	s_delay_alu instid0(VALU_DEP_1) | instskip(NEXT) | instid1(VALU_DEP_1)
	v_and_b32_e32 v7, 0x7f800000, v6
	v_cmp_ne_u32_e64 s0, 0x7f800000, v7
	s_delay_alu instid0(VALU_DEP_1) | instskip(NEXT) | instid1(SALU_CYCLE_1)
	s_and_saveexec_b32 s12, s0
	s_xor_b32 s0, exec_lo, s12
; %bb.1404:                             ;   in Loop: Header=BB436_806 Depth=1
	v_bfe_u32 v7, v6, 16, 1
	s_delay_alu instid0(VALU_DEP_1)
	v_add3_u32 v161, v6, v7, 0x7fff
                                        ; implicit-def: $vgpr6
; %bb.1405:                             ;   in Loop: Header=BB436_806 Depth=1
	s_and_not1_saveexec_b32 s12, s0
; %bb.1406:                             ;   in Loop: Header=BB436_806 Depth=1
	v_and_b32_e32 v7, 0xffff, v6
	v_or_b32_e32 v9, 0x10000, v6
	s_delay_alu instid0(VALU_DEP_2) | instskip(NEXT) | instid1(VALU_DEP_1)
	v_cmp_eq_u32_e64 s0, 0, v7
	v_cndmask_b32_e64 v161, v9, v6, s0
; %bb.1407:                             ;   in Loop: Header=BB436_806 Depth=1
	s_or_b32 exec_lo, exec_lo, s12
	v_dual_mov_b32 v6, 0 :: v_dual_and_b32 v7, 0xff, v3
	v_mov_b32_e32 v9, v3
	s_mov_b32 s12, exec_lo
	s_delay_alu instid0(VALU_DEP_2)
	v_cmpx_ne_u16_e32 0, v7
	s_cbranch_execz .LBB436_1415
; %bb.1408:                             ;   in Loop: Header=BB436_806 Depth=1
	v_bfrev_b32_e32 v6, 1
	s_mov_b32 s13, exec_lo
	v_cmpx_ne_u16_e32 0x80, v7
	s_cbranch_execz .LBB436_1414
; %bb.1409:                             ;   in Loop: Header=BB436_806 Depth=1
	v_and_b32_e32 v7, 0x7f, v3
	v_mov_b32_e32 v6, 0x7f800001
	s_mov_b32 s15, exec_lo
	s_delay_alu instid0(VALU_DEP_2)
	v_cmpx_ne_u32_e32 0x7f, v7
	s_cbranch_execz .LBB436_1413
; %bb.1410:                             ;   in Loop: Header=BB436_806 Depth=1
	v_lshrrev_b32_e32 v162, 3, v7
	v_cmp_gt_u32_e64 s0, 8, v7
	v_dual_mov_b32 v6, v9 :: v_dual_mov_b32 v7, v10
	s_delay_alu instid0(VALU_DEP_2)
	s_and_saveexec_b32 s16, s0
; %bb.1411:                             ;   in Loop: Header=BB436_806 Depth=1
	v_and_b32_e32 v6, 7, v3
	s_delay_alu instid0(VALU_DEP_1) | instskip(NEXT) | instid1(VALU_DEP_1)
	v_clz_i32_u32_e32 v6, v6
	v_min_u32_e32 v162, 32, v6
	s_delay_alu instid0(VALU_DEP_1) | instskip(SKIP_1) | instid1(VALU_DEP_2)
	v_subrev_nc_u32_e32 v6, 28, v162
	v_sub_nc_u32_e32 v162, 29, v162
	v_lshlrev_b64 v[6:7], v6, v[9:10]
; %bb.1412:                             ;   in Loop: Header=BB436_806 Depth=1
	s_or_b32 exec_lo, exec_lo, s16
	s_delay_alu instid0(VALU_DEP_1) | instskip(SKIP_2) | instid1(VALU_DEP_3)
	v_lshlrev_b32_e32 v6, 20, v6
	v_lshlrev_b32_e32 v7, 24, v9
	v_lshl_add_u32 v162, v162, 23, 0x3c000000
	v_and_b32_e32 v6, 0x700000, v6
	s_delay_alu instid0(VALU_DEP_3) | instskip(NEXT) | instid1(VALU_DEP_1)
	v_and_b32_e32 v7, 0x80000000, v7
	v_or3_b32 v6, v6, v7, v162
.LBB436_1413:                           ;   in Loop: Header=BB436_806 Depth=1
	s_or_b32 exec_lo, exec_lo, s15
.LBB436_1414:                           ;   in Loop: Header=BB436_806 Depth=1
	s_delay_alu instid0(SALU_CYCLE_1)
	s_or_b32 exec_lo, exec_lo, s13
.LBB436_1415:                           ;   in Loop: Header=BB436_806 Depth=1
	s_delay_alu instid0(SALU_CYCLE_1) | instskip(NEXT) | instid1(VALU_DEP_1)
	s_or_b32 exec_lo, exec_lo, s12
	v_mul_f32_e32 v6, v8, v6
                                        ; implicit-def: $vgpr162
	s_delay_alu instid0(VALU_DEP_1) | instskip(NEXT) | instid1(VALU_DEP_1)
	v_and_b32_e32 v7, 0x7f800000, v6
	v_cmp_ne_u32_e64 s0, 0x7f800000, v7
	s_delay_alu instid0(VALU_DEP_1) | instskip(NEXT) | instid1(SALU_CYCLE_1)
	s_and_saveexec_b32 s12, s0
	s_xor_b32 s0, exec_lo, s12
; %bb.1416:                             ;   in Loop: Header=BB436_806 Depth=1
	v_bfe_u32 v7, v6, 16, 1
	s_delay_alu instid0(VALU_DEP_1)
	v_add3_u32 v162, v6, v7, 0x7fff
                                        ; implicit-def: $vgpr6
; %bb.1417:                             ;   in Loop: Header=BB436_806 Depth=1
	s_and_not1_saveexec_b32 s12, s0
; %bb.1418:                             ;   in Loop: Header=BB436_806 Depth=1
	v_and_b32_e32 v7, 0xffff, v6
	v_or_b32_e32 v162, 0x10000, v6
	s_delay_alu instid0(VALU_DEP_2) | instskip(NEXT) | instid1(VALU_DEP_1)
	v_cmp_eq_u32_e64 s0, 0, v7
	v_cndmask_b32_e64 v162, v162, v6, s0
; %bb.1419:                             ;   in Loop: Header=BB436_806 Depth=1
	s_or_b32 exec_lo, exec_lo, s12
	v_lshrrev_b16 v7, 8, v9
	v_mov_b32_e32 v6, 0
	s_mov_b32 s12, exec_lo
	s_delay_alu instid0(VALU_DEP_2)
	v_cmpx_ne_u16_e32 0, v7
	s_cbranch_execz .LBB436_1427
; %bb.1420:                             ;   in Loop: Header=BB436_806 Depth=1
	v_bfrev_b32_e32 v6, 1
	s_mov_b32 s13, exec_lo
	v_cmpx_ne_u16_e32 0x80, v7
	s_cbranch_execz .LBB436_1426
; %bb.1421:                             ;   in Loop: Header=BB436_806 Depth=1
	v_and_b32_e32 v7, 0xffff, v7
	v_mov_b32_e32 v6, 0x7f800001
	s_mov_b32 s15, exec_lo
	s_delay_alu instid0(VALU_DEP_2) | instskip(NEXT) | instid1(VALU_DEP_1)
	v_and_b32_e32 v164, 0x7f, v7
	v_cmpx_ne_u32_e32 0x7f, v164
	s_cbranch_execz .LBB436_1425
; %bb.1422:                             ;   in Loop: Header=BB436_806 Depth=1
	v_dual_mov_b32 v7, v10 :: v_dual_and_b32 v6, 7, v7
	v_lshrrev_b32_e32 v163, 3, v164
	s_mov_b32 s16, exec_lo
	v_cmpx_gt_u32_e32 8, v164
; %bb.1423:                             ;   in Loop: Header=BB436_806 Depth=1
	s_delay_alu instid0(VALU_DEP_3) | instskip(NEXT) | instid1(VALU_DEP_1)
	v_clz_i32_u32_e32 v163, v6
	v_min_u32_e32 v163, 32, v163
	s_delay_alu instid0(VALU_DEP_1) | instskip(SKIP_1) | instid1(VALU_DEP_2)
	v_subrev_nc_u32_e32 v164, 28, v163
	v_sub_nc_u32_e32 v163, 29, v163
	v_lshlrev_b64 v[6:7], v164, v[6:7]
	s_delay_alu instid0(VALU_DEP_1)
	v_and_b32_e32 v6, 7, v6
; %bb.1424:                             ;   in Loop: Header=BB436_806 Depth=1
	s_or_b32 exec_lo, exec_lo, s16
	v_lshlrev_b32_e32 v7, 16, v9
	s_delay_alu instid0(VALU_DEP_2) | instskip(SKIP_1) | instid1(VALU_DEP_3)
	v_lshlrev_b32_e32 v6, 20, v6
	v_lshl_add_u32 v9, v163, 23, 0x3c000000
	v_and_b32_e32 v7, 0x80000000, v7
	s_delay_alu instid0(VALU_DEP_1)
	v_or3_b32 v6, v6, v7, v9
.LBB436_1425:                           ;   in Loop: Header=BB436_806 Depth=1
	s_or_b32 exec_lo, exec_lo, s15
.LBB436_1426:                           ;   in Loop: Header=BB436_806 Depth=1
	s_delay_alu instid0(SALU_CYCLE_1)
	s_or_b32 exec_lo, exec_lo, s13
.LBB436_1427:                           ;   in Loop: Header=BB436_806 Depth=1
	s_delay_alu instid0(SALU_CYCLE_1) | instskip(NEXT) | instid1(VALU_DEP_1)
	s_or_b32 exec_lo, exec_lo, s12
	v_mul_f32_e32 v7, v8, v6
	s_delay_alu instid0(VALU_DEP_1) | instskip(NEXT) | instid1(VALU_DEP_1)
	v_and_b32_e32 v6, 0x7f800000, v7
	v_cmp_ne_u32_e64 s0, 0x7f800000, v6
                                        ; implicit-def: $vgpr6
	s_delay_alu instid0(VALU_DEP_1) | instskip(NEXT) | instid1(SALU_CYCLE_1)
	s_and_saveexec_b32 s12, s0
	s_xor_b32 s0, exec_lo, s12
; %bb.1428:                             ;   in Loop: Header=BB436_806 Depth=1
	v_bfe_u32 v6, v7, 16, 1
	s_delay_alu instid0(VALU_DEP_1)
	v_add3_u32 v6, v7, v6, 0x7fff
                                        ; implicit-def: $vgpr7
; %bb.1429:                             ;   in Loop: Header=BB436_806 Depth=1
	s_and_not1_saveexec_b32 s12, s0
; %bb.1430:                             ;   in Loop: Header=BB436_806 Depth=1
	v_and_b32_e32 v6, 0xffff, v7
	v_or_b32_e32 v9, 0x10000, v7
	s_delay_alu instid0(VALU_DEP_2) | instskip(NEXT) | instid1(VALU_DEP_1)
	v_cmp_eq_u32_e64 s0, 0, v6
	v_cndmask_b32_e64 v6, v9, v7, s0
; %bb.1431:                             ;   in Loop: Header=BB436_806 Depth=1
	s_or_b32 exec_lo, exec_lo, s12
	v_lshrrev_b32_e32 v7, 16, v3
	v_mov_b32_e32 v9, 0
	s_mov_b32 s12, exec_lo
	s_delay_alu instid0(VALU_DEP_2) | instskip(NEXT) | instid1(VALU_DEP_1)
	v_and_b32_e32 v163, 0xff, v7
	v_cmpx_ne_u16_e64 0, v163
	s_cbranch_execz .LBB436_1439
; %bb.1432:                             ;   in Loop: Header=BB436_806 Depth=1
	v_bfrev_b32_e32 v9, 1
	s_mov_b32 s13, exec_lo
	v_cmpx_ne_u16_e64 0x80, v163
	s_cbranch_execz .LBB436_1438
; %bb.1433:                             ;   in Loop: Header=BB436_806 Depth=1
	v_bfe_u32 v164, v3, 16, 7
	v_mov_b32_e32 v9, 0x7f800001
	s_mov_b32 s15, exec_lo
	s_delay_alu instid0(VALU_DEP_2)
	v_cmpx_ne_u32_e32 0x7f, v164
	s_cbranch_execz .LBB436_1437
; %bb.1434:                             ;   in Loop: Header=BB436_806 Depth=1
	v_and_b32_e32 v9, 7, v7
	v_lshrrev_b32_e32 v163, 3, v164
	s_mov_b32 s16, exec_lo
	v_cmpx_gt_u32_e32 8, v164
; %bb.1435:                             ;   in Loop: Header=BB436_806 Depth=1
	s_delay_alu instid0(VALU_DEP_3) | instskip(NEXT) | instid1(VALU_DEP_1)
	v_clz_i32_u32_e32 v163, v9
	v_min_u32_e32 v163, 32, v163
	s_delay_alu instid0(VALU_DEP_1) | instskip(SKIP_1) | instid1(VALU_DEP_2)
	v_subrev_nc_u32_e32 v164, 28, v163
	v_sub_nc_u32_e32 v163, 29, v163
	v_lshlrev_b64 v[164:165], v164, v[9:10]
	s_delay_alu instid0(VALU_DEP_1)
	v_and_b32_e32 v9, 7, v164
; %bb.1436:                             ;   in Loop: Header=BB436_806 Depth=1
	s_or_b32 exec_lo, exec_lo, s16
	v_lshlrev_b32_e32 v7, 24, v7
	s_delay_alu instid0(VALU_DEP_2) | instskip(SKIP_1) | instid1(VALU_DEP_3)
	v_lshlrev_b32_e32 v9, 20, v9
	v_lshl_add_u32 v163, v163, 23, 0x3c000000
	v_and_b32_e32 v7, 0x80000000, v7
	s_delay_alu instid0(VALU_DEP_1)
	v_or3_b32 v9, v9, v7, v163
.LBB436_1437:                           ;   in Loop: Header=BB436_806 Depth=1
	s_or_b32 exec_lo, exec_lo, s15
.LBB436_1438:                           ;   in Loop: Header=BB436_806 Depth=1
	s_delay_alu instid0(SALU_CYCLE_1)
	s_or_b32 exec_lo, exec_lo, s13
.LBB436_1439:                           ;   in Loop: Header=BB436_806 Depth=1
	s_delay_alu instid0(SALU_CYCLE_1) | instskip(NEXT) | instid1(VALU_DEP_1)
	s_or_b32 exec_lo, exec_lo, s12
	v_mul_f32_e32 v7, v8, v9
                                        ; implicit-def: $vgpr163
	s_delay_alu instid0(VALU_DEP_1) | instskip(NEXT) | instid1(VALU_DEP_1)
	v_and_b32_e32 v9, 0x7f800000, v7
	v_cmp_ne_u32_e64 s0, 0x7f800000, v9
	s_delay_alu instid0(VALU_DEP_1) | instskip(NEXT) | instid1(SALU_CYCLE_1)
	s_and_saveexec_b32 s12, s0
	s_xor_b32 s0, exec_lo, s12
; %bb.1440:                             ;   in Loop: Header=BB436_806 Depth=1
	v_bfe_u32 v9, v7, 16, 1
	s_delay_alu instid0(VALU_DEP_1)
	v_add3_u32 v163, v7, v9, 0x7fff
                                        ; implicit-def: $vgpr7
; %bb.1441:                             ;   in Loop: Header=BB436_806 Depth=1
	s_and_not1_saveexec_b32 s12, s0
; %bb.1442:                             ;   in Loop: Header=BB436_806 Depth=1
	v_and_b32_e32 v9, 0xffff, v7
	v_or_b32_e32 v163, 0x10000, v7
	s_delay_alu instid0(VALU_DEP_2) | instskip(NEXT) | instid1(VALU_DEP_1)
	v_cmp_eq_u32_e64 s0, 0, v9
	v_cndmask_b32_e64 v163, v163, v7, s0
; %bb.1443:                             ;   in Loop: Header=BB436_806 Depth=1
	s_or_b32 exec_lo, exec_lo, s12
	v_mov_b32_e32 v7, 0
	s_mov_b32 s12, exec_lo
	v_cmpx_lt_u64_e64 s[8:9], v[2:3]
	s_cbranch_execz .LBB436_1451
; %bb.1444:                             ;   in Loop: Header=BB436_806 Depth=1
	v_lshrrev_b32_e32 v2, 24, v3
	v_bfrev_b32_e32 v7, 1
	s_mov_b32 s13, exec_lo
	s_delay_alu instid0(VALU_DEP_2)
	v_cmpx_ne_u32_e32 0x80, v2
	s_cbranch_execz .LBB436_1450
; %bb.1445:                             ;   in Loop: Header=BB436_806 Depth=1
	v_bfe_u32 v164, v3, 24, 7
	v_mov_b32_e32 v7, 0x7f800001
	s_mov_b32 s15, exec_lo
	s_delay_alu instid0(VALU_DEP_2)
	v_cmpx_ne_u32_e32 0x7f, v164
	s_cbranch_execz .LBB436_1449
; %bb.1446:                             ;   in Loop: Header=BB436_806 Depth=1
	v_and_b32_e32 v9, 7, v2
	v_lshrrev_b32_e32 v3, 3, v164
	s_mov_b32 s16, exec_lo
	v_cmpx_gt_u32_e32 8, v164
; %bb.1447:                             ;   in Loop: Header=BB436_806 Depth=1
	s_delay_alu instid0(VALU_DEP_3) | instskip(NEXT) | instid1(VALU_DEP_1)
	v_clz_i32_u32_e32 v3, v9
	v_min_u32_e32 v3, 32, v3
	s_delay_alu instid0(VALU_DEP_1) | instskip(SKIP_1) | instid1(VALU_DEP_2)
	v_subrev_nc_u32_e32 v7, 28, v3
	v_sub_nc_u32_e32 v3, 29, v3
	v_lshlrev_b64 v[164:165], v7, v[9:10]
	s_delay_alu instid0(VALU_DEP_1)
	v_and_b32_e32 v9, 7, v164
; %bb.1448:                             ;   in Loop: Header=BB436_806 Depth=1
	s_or_b32 exec_lo, exec_lo, s16
	v_lshlrev_b32_e32 v2, 24, v2
	s_delay_alu instid0(VALU_DEP_2) | instskip(SKIP_1) | instid1(VALU_DEP_3)
	v_lshlrev_b32_e32 v7, 20, v9
	v_lshl_add_u32 v3, v3, 23, 0x3c000000
	v_and_b32_e32 v2, 0x80000000, v2
	s_delay_alu instid0(VALU_DEP_1)
	v_or3_b32 v7, v7, v2, v3
.LBB436_1449:                           ;   in Loop: Header=BB436_806 Depth=1
	s_or_b32 exec_lo, exec_lo, s15
.LBB436_1450:                           ;   in Loop: Header=BB436_806 Depth=1
	s_delay_alu instid0(SALU_CYCLE_1)
	s_or_b32 exec_lo, exec_lo, s13
.LBB436_1451:                           ;   in Loop: Header=BB436_806 Depth=1
	s_delay_alu instid0(SALU_CYCLE_1) | instskip(NEXT) | instid1(VALU_DEP_1)
	s_or_b32 exec_lo, exec_lo, s12
	v_mul_f32_e32 v3, v8, v7
	s_delay_alu instid0(VALU_DEP_1) | instskip(NEXT) | instid1(VALU_DEP_1)
	v_and_b32_e32 v2, 0x7f800000, v3
	v_cmp_ne_u32_e64 s0, 0x7f800000, v2
                                        ; implicit-def: $vgpr2
	s_delay_alu instid0(VALU_DEP_1) | instskip(NEXT) | instid1(SALU_CYCLE_1)
	s_and_saveexec_b32 s12, s0
	s_xor_b32 s0, exec_lo, s12
; %bb.1452:                             ;   in Loop: Header=BB436_806 Depth=1
	v_bfe_u32 v2, v3, 16, 1
	s_delay_alu instid0(VALU_DEP_1)
	v_add3_u32 v2, v3, v2, 0x7fff
                                        ; implicit-def: $vgpr3
; %bb.1453:                             ;   in Loop: Header=BB436_806 Depth=1
	s_and_not1_saveexec_b32 s12, s0
; %bb.1454:                             ;   in Loop: Header=BB436_806 Depth=1
	v_and_b32_e32 v2, 0xffff, v3
	v_or_b32_e32 v7, 0x10000, v3
	s_delay_alu instid0(VALU_DEP_2) | instskip(NEXT) | instid1(VALU_DEP_1)
	v_cmp_eq_u32_e64 s0, 0, v2
	v_cndmask_b32_e64 v2, v7, v3, s0
; %bb.1455:                             ;   in Loop: Header=BB436_806 Depth=1
	s_or_b32 exec_lo, exec_lo, s12
	v_lshrrev_b32_e32 v6, 16, v6
	v_lshrrev_b32_e32 v7, 16, v162
	;; [unrolled: 1-line block ×8, first 2 shown]
	s_and_saveexec_b32 s12, vcc_lo
	s_cbranch_execz .LBB436_1457
; %bb.1456:                             ;   in Loop: Header=BB436_806 Depth=1
	v_cmp_lt_i32_e64 s0, v70, v38
	s_delay_alu instid0(VALU_DEP_1) | instskip(SKIP_1) | instid1(VALU_DEP_1)
	v_cndmask_b32_e64 v150, 0, v150, s0
	v_cmp_lt_i32_e64 s0, v85, v38
	v_cndmask_b32_e64 v151, 0, v151, s0
	v_cmp_lt_i32_e64 s0, v84, v38
	s_delay_alu instid0(VALU_DEP_1) | instskip(SKIP_1) | instid1(VALU_DEP_1)
	v_cndmask_b32_e64 v160, 0, v160, s0
	v_cmp_lt_i32_e64 s0, v83, v38
	v_cndmask_b32_e64 v9, 0, v9, s0
	;; [unrolled: 5-line block ×4, first 2 shown]
.LBB436_1457:                           ;   in Loop: Header=BB436_806 Depth=1
	s_or_b32 exec_lo, exec_lo, s12
	v_lshlrev_b32_e32 v150, 16, v150
	s_delay_alu instid0(VALU_DEP_1) | instskip(NEXT) | instid1(VALU_DEP_1)
	v_mul_f32_e32 v161, v86, v150
	v_and_b32_e32 v150, 0x7f800000, v161
	s_delay_alu instid0(VALU_DEP_1) | instskip(NEXT) | instid1(VALU_DEP_1)
	v_cmp_ne_u32_e64 s0, 0x7f800000, v150
                                        ; implicit-def: $vgpr150
	s_and_saveexec_b32 s12, s0
	s_delay_alu instid0(SALU_CYCLE_1)
	s_xor_b32 s0, exec_lo, s12
; %bb.1458:                             ;   in Loop: Header=BB436_806 Depth=1
	v_bfe_u32 v150, v161, 16, 1
	s_delay_alu instid0(VALU_DEP_1)
	v_add3_u32 v150, v161, v150, 0x7fff
                                        ; implicit-def: $vgpr161
; %bb.1459:                             ;   in Loop: Header=BB436_806 Depth=1
	s_and_not1_saveexec_b32 s12, s0
; %bb.1460:                             ;   in Loop: Header=BB436_806 Depth=1
	v_and_b32_e32 v150, 0xffff, v161
	v_or_b32_e32 v162, 0x10000, v161
	s_delay_alu instid0(VALU_DEP_2) | instskip(NEXT) | instid1(VALU_DEP_1)
	v_cmp_eq_u32_e64 s0, 0, v150
	v_cndmask_b32_e64 v150, v162, v161, s0
; %bb.1461:                             ;   in Loop: Header=BB436_806 Depth=1
	s_or_b32 exec_lo, exec_lo, s12
	v_lshlrev_b32_e32 v151, 16, v151
	s_delay_alu instid0(VALU_DEP_1) | instskip(NEXT) | instid1(VALU_DEP_1)
	v_mul_f32_e32 v161, v87, v151
	v_and_b32_e32 v151, 0x7f800000, v161
	s_delay_alu instid0(VALU_DEP_1) | instskip(NEXT) | instid1(VALU_DEP_1)
	v_cmp_ne_u32_e64 s0, 0x7f800000, v151
                                        ; implicit-def: $vgpr151
	s_and_saveexec_b32 s12, s0
	s_delay_alu instid0(SALU_CYCLE_1)
	s_xor_b32 s0, exec_lo, s12
; %bb.1462:                             ;   in Loop: Header=BB436_806 Depth=1
	v_bfe_u32 v151, v161, 16, 1
	s_delay_alu instid0(VALU_DEP_1)
	v_add3_u32 v151, v161, v151, 0x7fff
                                        ; implicit-def: $vgpr161
; %bb.1463:                             ;   in Loop: Header=BB436_806 Depth=1
	s_and_not1_saveexec_b32 s12, s0
; %bb.1464:                             ;   in Loop: Header=BB436_806 Depth=1
	v_and_b32_e32 v151, 0xffff, v161
	v_or_b32_e32 v162, 0x10000, v161
	s_delay_alu instid0(VALU_DEP_2) | instskip(NEXT) | instid1(VALU_DEP_1)
	v_cmp_eq_u32_e64 s0, 0, v151
	v_cndmask_b32_e64 v151, v162, v161, s0
; %bb.1465:                             ;   in Loop: Header=BB436_806 Depth=1
	s_or_b32 exec_lo, exec_lo, s12
	v_lshlrev_b32_e32 v160, 16, v160
	s_delay_alu instid0(VALU_DEP_1) | instskip(NEXT) | instid1(VALU_DEP_1)
	v_mul_f32_e32 v161, v96, v160
	v_and_b32_e32 v160, 0x7f800000, v161
	s_delay_alu instid0(VALU_DEP_1) | instskip(NEXT) | instid1(VALU_DEP_1)
	v_cmp_ne_u32_e64 s0, 0x7f800000, v160
                                        ; implicit-def: $vgpr160
	s_and_saveexec_b32 s12, s0
	s_delay_alu instid0(SALU_CYCLE_1)
	s_xor_b32 s0, exec_lo, s12
; %bb.1466:                             ;   in Loop: Header=BB436_806 Depth=1
	v_bfe_u32 v160, v161, 16, 1
	s_delay_alu instid0(VALU_DEP_1)
	v_add3_u32 v160, v161, v160, 0x7fff
                                        ; implicit-def: $vgpr161
; %bb.1467:                             ;   in Loop: Header=BB436_806 Depth=1
	s_and_not1_saveexec_b32 s12, s0
; %bb.1468:                             ;   in Loop: Header=BB436_806 Depth=1
	v_and_b32_e32 v160, 0xffff, v161
	v_or_b32_e32 v162, 0x10000, v161
	s_delay_alu instid0(VALU_DEP_2) | instskip(NEXT) | instid1(VALU_DEP_1)
	v_cmp_eq_u32_e64 s0, 0, v160
	v_cndmask_b32_e64 v160, v162, v161, s0
; %bb.1469:                             ;   in Loop: Header=BB436_806 Depth=1
	s_or_b32 exec_lo, exec_lo, s12
	v_lshlrev_b32_e32 v9, 16, v9
	s_delay_alu instid0(VALU_DEP_1) | instskip(NEXT) | instid1(VALU_DEP_1)
	v_mul_f32_e32 v9, v97, v9
	v_and_b32_e32 v161, 0x7f800000, v9
	s_delay_alu instid0(VALU_DEP_1) | instskip(NEXT) | instid1(VALU_DEP_1)
	v_cmp_ne_u32_e64 s0, 0x7f800000, v161
                                        ; implicit-def: $vgpr161
	s_and_saveexec_b32 s12, s0
	s_delay_alu instid0(SALU_CYCLE_1)
	s_xor_b32 s0, exec_lo, s12
; %bb.1470:                             ;   in Loop: Header=BB436_806 Depth=1
	v_bfe_u32 v161, v9, 16, 1
	s_delay_alu instid0(VALU_DEP_1)
	v_add3_u32 v161, v9, v161, 0x7fff
                                        ; implicit-def: $vgpr9
; %bb.1471:                             ;   in Loop: Header=BB436_806 Depth=1
	s_and_not1_saveexec_b32 s12, s0
; %bb.1472:                             ;   in Loop: Header=BB436_806 Depth=1
	v_and_b32_e32 v161, 0xffff, v9
	v_or_b32_e32 v162, 0x10000, v9
	s_delay_alu instid0(VALU_DEP_2) | instskip(NEXT) | instid1(VALU_DEP_1)
	v_cmp_eq_u32_e64 s0, 0, v161
	v_cndmask_b32_e64 v161, v162, v9, s0
; %bb.1473:                             ;   in Loop: Header=BB436_806 Depth=1
	s_or_b32 exec_lo, exec_lo, s12
	v_lshlrev_b32_e32 v7, 16, v7
                                        ; implicit-def: $vgpr162
	s_delay_alu instid0(VALU_DEP_1) | instskip(NEXT) | instid1(VALU_DEP_1)
	v_mul_f32_e32 v7, v98, v7
	v_and_b32_e32 v9, 0x7f800000, v7
	s_delay_alu instid0(VALU_DEP_1) | instskip(NEXT) | instid1(VALU_DEP_1)
	v_cmp_ne_u32_e64 s0, 0x7f800000, v9
	s_and_saveexec_b32 s12, s0
	s_delay_alu instid0(SALU_CYCLE_1)
	s_xor_b32 s0, exec_lo, s12
; %bb.1474:                             ;   in Loop: Header=BB436_806 Depth=1
	v_bfe_u32 v9, v7, 16, 1
	s_delay_alu instid0(VALU_DEP_1)
	v_add3_u32 v162, v7, v9, 0x7fff
                                        ; implicit-def: $vgpr7
; %bb.1475:                             ;   in Loop: Header=BB436_806 Depth=1
	s_and_not1_saveexec_b32 s12, s0
; %bb.1476:                             ;   in Loop: Header=BB436_806 Depth=1
	v_and_b32_e32 v9, 0xffff, v7
	v_or_b32_e32 v162, 0x10000, v7
	s_delay_alu instid0(VALU_DEP_2) | instskip(NEXT) | instid1(VALU_DEP_1)
	v_cmp_eq_u32_e64 s0, 0, v9
	v_cndmask_b32_e64 v162, v162, v7, s0
; %bb.1477:                             ;   in Loop: Header=BB436_806 Depth=1
	s_or_b32 exec_lo, exec_lo, s12
	v_lshlrev_b32_e32 v6, 16, v6
                                        ; implicit-def: $vgpr163
	s_delay_alu instid0(VALU_DEP_1) | instskip(NEXT) | instid1(VALU_DEP_1)
	v_mul_f32_e32 v6, v99, v6
	v_and_b32_e32 v7, 0x7f800000, v6
	s_delay_alu instid0(VALU_DEP_1) | instskip(NEXT) | instid1(VALU_DEP_1)
	v_cmp_ne_u32_e64 s0, 0x7f800000, v7
	s_and_saveexec_b32 s12, s0
	s_delay_alu instid0(SALU_CYCLE_1)
	s_xor_b32 s0, exec_lo, s12
; %bb.1478:                             ;   in Loop: Header=BB436_806 Depth=1
	v_bfe_u32 v7, v6, 16, 1
	s_delay_alu instid0(VALU_DEP_1)
	v_add3_u32 v163, v6, v7, 0x7fff
                                        ; implicit-def: $vgpr6
; %bb.1479:                             ;   in Loop: Header=BB436_806 Depth=1
	s_and_not1_saveexec_b32 s12, s0
; %bb.1480:                             ;   in Loop: Header=BB436_806 Depth=1
	v_and_b32_e32 v7, 0xffff, v6
	v_or_b32_e32 v9, 0x10000, v6
	s_delay_alu instid0(VALU_DEP_2) | instskip(NEXT) | instid1(VALU_DEP_1)
	v_cmp_eq_u32_e64 s0, 0, v7
	v_cndmask_b32_e64 v163, v9, v6, s0
; %bb.1481:                             ;   in Loop: Header=BB436_806 Depth=1
	s_or_b32 exec_lo, exec_lo, s12
	v_lshlrev_b32_e32 v3, 16, v3
                                        ; implicit-def: $vgpr164
	s_delay_alu instid0(VALU_DEP_1) | instskip(NEXT) | instid1(VALU_DEP_1)
	v_mul_f32_e32 v3, v100, v3
	v_and_b32_e32 v6, 0x7f800000, v3
	s_delay_alu instid0(VALU_DEP_1) | instskip(NEXT) | instid1(VALU_DEP_1)
	v_cmp_ne_u32_e64 s0, 0x7f800000, v6
	s_and_saveexec_b32 s12, s0
	s_delay_alu instid0(SALU_CYCLE_1)
	s_xor_b32 s0, exec_lo, s12
; %bb.1482:                             ;   in Loop: Header=BB436_806 Depth=1
	v_bfe_u32 v6, v3, 16, 1
	s_delay_alu instid0(VALU_DEP_1)
	v_add3_u32 v164, v3, v6, 0x7fff
                                        ; implicit-def: $vgpr3
; %bb.1483:                             ;   in Loop: Header=BB436_806 Depth=1
	s_and_not1_saveexec_b32 s12, s0
; %bb.1484:                             ;   in Loop: Header=BB436_806 Depth=1
	v_and_b32_e32 v6, 0xffff, v3
	v_or_b32_e32 v7, 0x10000, v3
	s_delay_alu instid0(VALU_DEP_2) | instskip(NEXT) | instid1(VALU_DEP_1)
	v_cmp_eq_u32_e64 s0, 0, v6
	v_cndmask_b32_e64 v164, v7, v3, s0
; %bb.1485:                             ;   in Loop: Header=BB436_806 Depth=1
	s_or_b32 exec_lo, exec_lo, s12
	v_lshlrev_b32_e32 v2, 16, v2
                                        ; implicit-def: $vgpr165
	s_delay_alu instid0(VALU_DEP_1) | instskip(NEXT) | instid1(VALU_DEP_1)
	v_mul_f32_e32 v2, v101, v2
	v_and_b32_e32 v3, 0x7f800000, v2
	s_delay_alu instid0(VALU_DEP_1) | instskip(NEXT) | instid1(VALU_DEP_1)
	v_cmp_ne_u32_e64 s0, 0x7f800000, v3
	s_and_saveexec_b32 s12, s0
	s_delay_alu instid0(SALU_CYCLE_1)
	s_xor_b32 s0, exec_lo, s12
; %bb.1486:                             ;   in Loop: Header=BB436_806 Depth=1
	v_bfe_u32 v3, v2, 16, 1
	s_delay_alu instid0(VALU_DEP_1)
	v_add3_u32 v165, v2, v3, 0x7fff
                                        ; implicit-def: $vgpr2
; %bb.1487:                             ;   in Loop: Header=BB436_806 Depth=1
	s_and_not1_saveexec_b32 s12, s0
; %bb.1488:                             ;   in Loop: Header=BB436_806 Depth=1
	v_and_b32_e32 v3, 0xffff, v2
	v_or_b32_e32 v6, 0x10000, v2
	s_delay_alu instid0(VALU_DEP_2) | instskip(NEXT) | instid1(VALU_DEP_1)
	v_cmp_eq_u32_e64 s0, 0, v3
	v_cndmask_b32_e64 v165, v6, v2, s0
; %bb.1489:                             ;   in Loop: Header=BB436_806 Depth=1
	s_or_b32 exec_lo, exec_lo, s12
	flat_load_b64 v[2:3], v[0:1] offset:1280
	s_mov_b32 s12, exec_lo
	s_waitcnt vmcnt(0) lgkmcnt(0)
	v_dual_mov_b32 v6, 0 :: v_dual_and_b32 v7, 0xff, v2
	s_delay_alu instid0(VALU_DEP_1)
	v_cmpx_ne_u16_e32 0, v7
	s_cbranch_execz .LBB436_1497
; %bb.1490:                             ;   in Loop: Header=BB436_806 Depth=1
	v_bfrev_b32_e32 v6, 1
	s_mov_b32 s13, exec_lo
	v_cmpx_ne_u16_e32 0x80, v7
	s_cbranch_execz .LBB436_1496
; %bb.1491:                             ;   in Loop: Header=BB436_806 Depth=1
	v_and_b32_e32 v7, 0x7f, v2
	v_mov_b32_e32 v6, 0x7f800001
	s_mov_b32 s15, exec_lo
	s_delay_alu instid0(VALU_DEP_2)
	v_cmpx_ne_u32_e32 0x7f, v7
	s_cbranch_execz .LBB436_1495
; %bb.1492:                             ;   in Loop: Header=BB436_806 Depth=1
	v_lshrrev_b32_e32 v9, 3, v7
	v_cmp_gt_u32_e64 s0, 8, v7
	v_dual_mov_b32 v7, v3 :: v_dual_mov_b32 v6, v2
	s_delay_alu instid0(VALU_DEP_2)
	s_and_saveexec_b32 s16, s0
; %bb.1493:                             ;   in Loop: Header=BB436_806 Depth=1
	v_and_b32_e32 v6, 7, v2
	s_delay_alu instid0(VALU_DEP_1) | instskip(NEXT) | instid1(VALU_DEP_1)
	v_clz_i32_u32_e32 v6, v6
	v_min_u32_e32 v9, 32, v6
	s_delay_alu instid0(VALU_DEP_1) | instskip(SKIP_1) | instid1(VALU_DEP_2)
	v_subrev_nc_u32_e32 v6, 28, v9
	v_sub_nc_u32_e32 v9, 29, v9
	v_lshlrev_b64 v[6:7], v6, v[2:3]
; %bb.1494:                             ;   in Loop: Header=BB436_806 Depth=1
	s_or_b32 exec_lo, exec_lo, s16
	s_delay_alu instid0(VALU_DEP_1) | instskip(SKIP_2) | instid1(VALU_DEP_3)
	v_lshlrev_b32_e32 v6, 20, v6
	v_lshlrev_b32_e32 v7, 24, v2
	v_lshl_add_u32 v9, v9, 23, 0x3c000000
	v_and_b32_e32 v6, 0x700000, v6
	s_delay_alu instid0(VALU_DEP_3) | instskip(NEXT) | instid1(VALU_DEP_1)
	v_and_b32_e32 v7, 0x80000000, v7
	v_or3_b32 v6, v6, v7, v9
.LBB436_1495:                           ;   in Loop: Header=BB436_806 Depth=1
	s_or_b32 exec_lo, exec_lo, s15
.LBB436_1496:                           ;   in Loop: Header=BB436_806 Depth=1
	s_delay_alu instid0(SALU_CYCLE_1)
	s_or_b32 exec_lo, exec_lo, s13
.LBB436_1497:                           ;   in Loop: Header=BB436_806 Depth=1
	s_delay_alu instid0(SALU_CYCLE_1) | instskip(NEXT) | instid1(VALU_DEP_1)
	s_or_b32 exec_lo, exec_lo, s12
	v_mul_f32_e32 v6, v8, v6
                                        ; implicit-def: $vgpr166
	s_delay_alu instid0(VALU_DEP_1) | instskip(NEXT) | instid1(VALU_DEP_1)
	v_and_b32_e32 v7, 0x7f800000, v6
	v_cmp_ne_u32_e64 s0, 0x7f800000, v7
	s_delay_alu instid0(VALU_DEP_1) | instskip(NEXT) | instid1(SALU_CYCLE_1)
	s_and_saveexec_b32 s12, s0
	s_xor_b32 s0, exec_lo, s12
; %bb.1498:                             ;   in Loop: Header=BB436_806 Depth=1
	v_bfe_u32 v7, v6, 16, 1
	s_delay_alu instid0(VALU_DEP_1)
	v_add3_u32 v166, v6, v7, 0x7fff
                                        ; implicit-def: $vgpr6
; %bb.1499:                             ;   in Loop: Header=BB436_806 Depth=1
	s_and_not1_saveexec_b32 s12, s0
; %bb.1500:                             ;   in Loop: Header=BB436_806 Depth=1
	v_and_b32_e32 v7, 0xffff, v6
	v_or_b32_e32 v9, 0x10000, v6
	s_delay_alu instid0(VALU_DEP_2) | instskip(NEXT) | instid1(VALU_DEP_1)
	v_cmp_eq_u32_e64 s0, 0, v7
	v_cndmask_b32_e64 v166, v9, v6, s0
; %bb.1501:                             ;   in Loop: Header=BB436_806 Depth=1
	s_or_b32 exec_lo, exec_lo, s12
	v_lshrrev_b16 v7, 8, v2
	v_mov_b32_e32 v6, 0
	s_mov_b32 s12, exec_lo
	s_delay_alu instid0(VALU_DEP_2)
	v_cmpx_ne_u16_e32 0, v7
	s_cbranch_execz .LBB436_1509
; %bb.1502:                             ;   in Loop: Header=BB436_806 Depth=1
	v_bfrev_b32_e32 v6, 1
	s_mov_b32 s13, exec_lo
	v_cmpx_ne_u16_e32 0x80, v7
	s_cbranch_execz .LBB436_1508
; %bb.1503:                             ;   in Loop: Header=BB436_806 Depth=1
	v_and_b32_e32 v9, 0xffff, v7
	v_mov_b32_e32 v6, 0x7f800001
	s_mov_b32 s15, exec_lo
	s_delay_alu instid0(VALU_DEP_2) | instskip(NEXT) | instid1(VALU_DEP_1)
	v_and_b32_e32 v7, 0x7f, v9
	v_cmpx_ne_u32_e32 0x7f, v7
	s_cbranch_execz .LBB436_1507
; %bb.1504:                             ;   in Loop: Header=BB436_806 Depth=1
	v_and_b32_e32 v9, 7, v9
	v_lshrrev_b32_e32 v6, 3, v7
	s_mov_b32 s16, exec_lo
	v_cmpx_gt_u32_e32 8, v7
; %bb.1505:                             ;   in Loop: Header=BB436_806 Depth=1
	s_delay_alu instid0(VALU_DEP_3) | instskip(NEXT) | instid1(VALU_DEP_1)
	v_clz_i32_u32_e32 v6, v9
	v_min_u32_e32 v6, 32, v6
	s_delay_alu instid0(VALU_DEP_1) | instskip(SKIP_1) | instid1(VALU_DEP_2)
	v_subrev_nc_u32_e32 v7, 28, v6
	v_sub_nc_u32_e32 v6, 29, v6
	v_lshlrev_b64 v[176:177], v7, v[9:10]
	s_delay_alu instid0(VALU_DEP_1)
	v_and_b32_e32 v9, 7, v176
; %bb.1506:                             ;   in Loop: Header=BB436_806 Depth=1
	s_or_b32 exec_lo, exec_lo, s16
	v_lshlrev_b32_e32 v7, 16, v2
	s_delay_alu instid0(VALU_DEP_2) | instskip(SKIP_1) | instid1(VALU_DEP_3)
	v_lshlrev_b32_e32 v9, 20, v9
	v_lshl_add_u32 v6, v6, 23, 0x3c000000
	v_and_b32_e32 v7, 0x80000000, v7
	s_delay_alu instid0(VALU_DEP_1)
	v_or3_b32 v6, v9, v7, v6
.LBB436_1507:                           ;   in Loop: Header=BB436_806 Depth=1
	s_or_b32 exec_lo, exec_lo, s15
.LBB436_1508:                           ;   in Loop: Header=BB436_806 Depth=1
	s_delay_alu instid0(SALU_CYCLE_1)
	s_or_b32 exec_lo, exec_lo, s13
.LBB436_1509:                           ;   in Loop: Header=BB436_806 Depth=1
	s_delay_alu instid0(SALU_CYCLE_1) | instskip(NEXT) | instid1(VALU_DEP_1)
	s_or_b32 exec_lo, exec_lo, s12
	v_mul_f32_e32 v6, v8, v6
                                        ; implicit-def: $vgpr167
	s_delay_alu instid0(VALU_DEP_1) | instskip(NEXT) | instid1(VALU_DEP_1)
	v_and_b32_e32 v7, 0x7f800000, v6
	v_cmp_ne_u32_e64 s0, 0x7f800000, v7
	s_delay_alu instid0(VALU_DEP_1) | instskip(NEXT) | instid1(SALU_CYCLE_1)
	s_and_saveexec_b32 s12, s0
	s_xor_b32 s0, exec_lo, s12
; %bb.1510:                             ;   in Loop: Header=BB436_806 Depth=1
	v_bfe_u32 v7, v6, 16, 1
	s_delay_alu instid0(VALU_DEP_1)
	v_add3_u32 v167, v6, v7, 0x7fff
                                        ; implicit-def: $vgpr6
; %bb.1511:                             ;   in Loop: Header=BB436_806 Depth=1
	s_and_not1_saveexec_b32 s12, s0
; %bb.1512:                             ;   in Loop: Header=BB436_806 Depth=1
	v_and_b32_e32 v7, 0xffff, v6
	v_or_b32_e32 v9, 0x10000, v6
	s_delay_alu instid0(VALU_DEP_2) | instskip(NEXT) | instid1(VALU_DEP_1)
	v_cmp_eq_u32_e64 s0, 0, v7
	v_cndmask_b32_e64 v167, v9, v6, s0
; %bb.1513:                             ;   in Loop: Header=BB436_806 Depth=1
	s_or_b32 exec_lo, exec_lo, s12
	v_lshrrev_b32_e32 v6, 16, v2
	v_mov_b32_e32 v7, 0
	s_mov_b32 s12, exec_lo
	s_delay_alu instid0(VALU_DEP_2) | instskip(NEXT) | instid1(VALU_DEP_1)
	v_and_b32_e32 v9, 0xff, v6
	v_cmpx_ne_u16_e32 0, v9
	s_cbranch_execz .LBB436_1521
; %bb.1514:                             ;   in Loop: Header=BB436_806 Depth=1
	v_bfrev_b32_e32 v7, 1
	s_mov_b32 s13, exec_lo
	v_cmpx_ne_u16_e32 0x80, v9
	s_cbranch_execz .LBB436_1520
; %bb.1515:                             ;   in Loop: Header=BB436_806 Depth=1
	v_bfe_u32 v176, v2, 16, 7
	v_mov_b32_e32 v7, 0x7f800001
	s_mov_b32 s15, exec_lo
	s_delay_alu instid0(VALU_DEP_2)
	v_cmpx_ne_u32_e32 0x7f, v176
	s_cbranch_execz .LBB436_1519
; %bb.1516:                             ;   in Loop: Header=BB436_806 Depth=1
	v_and_b32_e32 v9, 7, v6
	v_lshrrev_b32_e32 v7, 3, v176
	s_mov_b32 s16, exec_lo
	v_cmpx_gt_u32_e32 8, v176
; %bb.1517:                             ;   in Loop: Header=BB436_806 Depth=1
	s_delay_alu instid0(VALU_DEP_3) | instskip(NEXT) | instid1(VALU_DEP_1)
	v_clz_i32_u32_e32 v7, v9
	v_min_u32_e32 v7, 32, v7
	s_delay_alu instid0(VALU_DEP_1) | instskip(SKIP_1) | instid1(VALU_DEP_2)
	v_subrev_nc_u32_e32 v176, 28, v7
	v_sub_nc_u32_e32 v7, 29, v7
	v_lshlrev_b64 v[176:177], v176, v[9:10]
	s_delay_alu instid0(VALU_DEP_1)
	v_and_b32_e32 v9, 7, v176
; %bb.1518:                             ;   in Loop: Header=BB436_806 Depth=1
	s_or_b32 exec_lo, exec_lo, s16
	v_lshlrev_b32_e32 v6, 24, v6
	s_delay_alu instid0(VALU_DEP_2) | instskip(SKIP_1) | instid1(VALU_DEP_3)
	v_lshlrev_b32_e32 v9, 20, v9
	v_lshl_add_u32 v7, v7, 23, 0x3c000000
	v_and_b32_e32 v6, 0x80000000, v6
	s_delay_alu instid0(VALU_DEP_1)
	v_or3_b32 v7, v9, v6, v7
.LBB436_1519:                           ;   in Loop: Header=BB436_806 Depth=1
	s_or_b32 exec_lo, exec_lo, s15
.LBB436_1520:                           ;   in Loop: Header=BB436_806 Depth=1
	s_delay_alu instid0(SALU_CYCLE_1)
	s_or_b32 exec_lo, exec_lo, s13
.LBB436_1521:                           ;   in Loop: Header=BB436_806 Depth=1
	s_delay_alu instid0(SALU_CYCLE_1) | instskip(NEXT) | instid1(VALU_DEP_1)
	s_or_b32 exec_lo, exec_lo, s12
	v_mul_f32_e32 v6, v8, v7
                                        ; implicit-def: $vgpr176
	s_delay_alu instid0(VALU_DEP_1) | instskip(NEXT) | instid1(VALU_DEP_1)
	v_and_b32_e32 v7, 0x7f800000, v6
	v_cmp_ne_u32_e64 s0, 0x7f800000, v7
	s_delay_alu instid0(VALU_DEP_1) | instskip(NEXT) | instid1(SALU_CYCLE_1)
	s_and_saveexec_b32 s12, s0
	s_xor_b32 s0, exec_lo, s12
; %bb.1522:                             ;   in Loop: Header=BB436_806 Depth=1
	v_bfe_u32 v7, v6, 16, 1
	s_delay_alu instid0(VALU_DEP_1)
	v_add3_u32 v176, v6, v7, 0x7fff
                                        ; implicit-def: $vgpr6
; %bb.1523:                             ;   in Loop: Header=BB436_806 Depth=1
	s_and_not1_saveexec_b32 s12, s0
; %bb.1524:                             ;   in Loop: Header=BB436_806 Depth=1
	v_and_b32_e32 v7, 0xffff, v6
	v_or_b32_e32 v9, 0x10000, v6
	s_delay_alu instid0(VALU_DEP_2) | instskip(NEXT) | instid1(VALU_DEP_1)
	v_cmp_eq_u32_e64 s0, 0, v7
	v_cndmask_b32_e64 v176, v9, v6, s0
; %bb.1525:                             ;   in Loop: Header=BB436_806 Depth=1
	s_or_b32 exec_lo, exec_lo, s12
	v_mov_b32_e32 v7, 0
	s_mov_b32 s12, exec_lo
	v_cmpx_lt_u32_e32 0xffffff, v2
	s_cbranch_execz .LBB436_1533
; %bb.1526:                             ;   in Loop: Header=BB436_806 Depth=1
	v_lshrrev_b32_e32 v6, 24, v2
	v_bfrev_b32_e32 v7, 1
	s_mov_b32 s13, exec_lo
	s_delay_alu instid0(VALU_DEP_2)
	v_cmpx_ne_u32_e32 0x80, v6
	s_cbranch_execz .LBB436_1532
; %bb.1527:                             ;   in Loop: Header=BB436_806 Depth=1
	v_bfe_u32 v177, v2, 24, 7
	v_mov_b32_e32 v7, 0x7f800001
	s_mov_b32 s15, exec_lo
	s_delay_alu instid0(VALU_DEP_2)
	v_cmpx_ne_u32_e32 0x7f, v177
	s_cbranch_execz .LBB436_1531
; %bb.1528:                             ;   in Loop: Header=BB436_806 Depth=1
	v_and_b32_e32 v9, 7, v6
	v_lshrrev_b32_e32 v7, 3, v177
	s_mov_b32 s16, exec_lo
	v_cmpx_gt_u32_e32 8, v177
; %bb.1529:                             ;   in Loop: Header=BB436_806 Depth=1
	s_delay_alu instid0(VALU_DEP_3) | instskip(NEXT) | instid1(VALU_DEP_1)
	v_clz_i32_u32_e32 v7, v9
	v_min_u32_e32 v7, 32, v7
	s_delay_alu instid0(VALU_DEP_1) | instskip(SKIP_1) | instid1(VALU_DEP_2)
	v_subrev_nc_u32_e32 v177, 28, v7
	v_sub_nc_u32_e32 v7, 29, v7
	v_lshlrev_b64 v[177:178], v177, v[9:10]
	s_delay_alu instid0(VALU_DEP_1)
	v_and_b32_e32 v9, 7, v177
; %bb.1530:                             ;   in Loop: Header=BB436_806 Depth=1
	s_or_b32 exec_lo, exec_lo, s16
	v_lshlrev_b32_e32 v6, 24, v6
	s_delay_alu instid0(VALU_DEP_2) | instskip(SKIP_1) | instid1(VALU_DEP_3)
	v_lshlrev_b32_e32 v9, 20, v9
	v_lshl_add_u32 v7, v7, 23, 0x3c000000
	v_and_b32_e32 v6, 0x80000000, v6
	s_delay_alu instid0(VALU_DEP_1)
	v_or3_b32 v7, v9, v6, v7
.LBB436_1531:                           ;   in Loop: Header=BB436_806 Depth=1
	s_or_b32 exec_lo, exec_lo, s15
.LBB436_1532:                           ;   in Loop: Header=BB436_806 Depth=1
	s_delay_alu instid0(SALU_CYCLE_1)
	s_or_b32 exec_lo, exec_lo, s13
.LBB436_1533:                           ;   in Loop: Header=BB436_806 Depth=1
	s_delay_alu instid0(SALU_CYCLE_1) | instskip(NEXT) | instid1(VALU_DEP_1)
	s_or_b32 exec_lo, exec_lo, s12
	v_mul_f32_e32 v6, v8, v7
                                        ; implicit-def: $vgpr177
	s_delay_alu instid0(VALU_DEP_1) | instskip(NEXT) | instid1(VALU_DEP_1)
	v_and_b32_e32 v7, 0x7f800000, v6
	v_cmp_ne_u32_e64 s0, 0x7f800000, v7
	s_delay_alu instid0(VALU_DEP_1) | instskip(NEXT) | instid1(SALU_CYCLE_1)
	s_and_saveexec_b32 s12, s0
	s_xor_b32 s0, exec_lo, s12
; %bb.1534:                             ;   in Loop: Header=BB436_806 Depth=1
	v_bfe_u32 v7, v6, 16, 1
	s_delay_alu instid0(VALU_DEP_1)
	v_add3_u32 v177, v6, v7, 0x7fff
                                        ; implicit-def: $vgpr6
; %bb.1535:                             ;   in Loop: Header=BB436_806 Depth=1
	s_and_not1_saveexec_b32 s12, s0
; %bb.1536:                             ;   in Loop: Header=BB436_806 Depth=1
	v_and_b32_e32 v7, 0xffff, v6
	v_or_b32_e32 v9, 0x10000, v6
	s_delay_alu instid0(VALU_DEP_2) | instskip(NEXT) | instid1(VALU_DEP_1)
	v_cmp_eq_u32_e64 s0, 0, v7
	v_cndmask_b32_e64 v177, v9, v6, s0
; %bb.1537:                             ;   in Loop: Header=BB436_806 Depth=1
	s_or_b32 exec_lo, exec_lo, s12
	v_dual_mov_b32 v6, 0 :: v_dual_and_b32 v7, 0xff, v3
	v_mov_b32_e32 v9, v3
	s_mov_b32 s12, exec_lo
	s_delay_alu instid0(VALU_DEP_2)
	v_cmpx_ne_u16_e32 0, v7
	s_cbranch_execz .LBB436_1545
; %bb.1538:                             ;   in Loop: Header=BB436_806 Depth=1
	v_bfrev_b32_e32 v6, 1
	s_mov_b32 s13, exec_lo
	v_cmpx_ne_u16_e32 0x80, v7
	s_cbranch_execz .LBB436_1544
; %bb.1539:                             ;   in Loop: Header=BB436_806 Depth=1
	v_and_b32_e32 v7, 0x7f, v3
	v_mov_b32_e32 v6, 0x7f800001
	s_mov_b32 s15, exec_lo
	s_delay_alu instid0(VALU_DEP_2)
	v_cmpx_ne_u32_e32 0x7f, v7
	s_cbranch_execz .LBB436_1543
; %bb.1540:                             ;   in Loop: Header=BB436_806 Depth=1
	v_lshrrev_b32_e32 v178, 3, v7
	v_cmp_gt_u32_e64 s0, 8, v7
	v_dual_mov_b32 v6, v9 :: v_dual_mov_b32 v7, v10
	s_delay_alu instid0(VALU_DEP_2)
	s_and_saveexec_b32 s16, s0
; %bb.1541:                             ;   in Loop: Header=BB436_806 Depth=1
	v_and_b32_e32 v6, 7, v3
	s_delay_alu instid0(VALU_DEP_1) | instskip(NEXT) | instid1(VALU_DEP_1)
	v_clz_i32_u32_e32 v6, v6
	v_min_u32_e32 v178, 32, v6
	s_delay_alu instid0(VALU_DEP_1) | instskip(SKIP_1) | instid1(VALU_DEP_2)
	v_subrev_nc_u32_e32 v6, 28, v178
	v_sub_nc_u32_e32 v178, 29, v178
	v_lshlrev_b64 v[6:7], v6, v[9:10]
; %bb.1542:                             ;   in Loop: Header=BB436_806 Depth=1
	s_or_b32 exec_lo, exec_lo, s16
	s_delay_alu instid0(VALU_DEP_1) | instskip(SKIP_2) | instid1(VALU_DEP_3)
	v_lshlrev_b32_e32 v6, 20, v6
	v_lshlrev_b32_e32 v7, 24, v9
	v_lshl_add_u32 v178, v178, 23, 0x3c000000
	v_and_b32_e32 v6, 0x700000, v6
	s_delay_alu instid0(VALU_DEP_3) | instskip(NEXT) | instid1(VALU_DEP_1)
	v_and_b32_e32 v7, 0x80000000, v7
	v_or3_b32 v6, v6, v7, v178
.LBB436_1543:                           ;   in Loop: Header=BB436_806 Depth=1
	s_or_b32 exec_lo, exec_lo, s15
.LBB436_1544:                           ;   in Loop: Header=BB436_806 Depth=1
	s_delay_alu instid0(SALU_CYCLE_1)
	s_or_b32 exec_lo, exec_lo, s13
.LBB436_1545:                           ;   in Loop: Header=BB436_806 Depth=1
	s_delay_alu instid0(SALU_CYCLE_1) | instskip(NEXT) | instid1(VALU_DEP_1)
	s_or_b32 exec_lo, exec_lo, s12
	v_mul_f32_e32 v6, v8, v6
                                        ; implicit-def: $vgpr178
	s_delay_alu instid0(VALU_DEP_1) | instskip(NEXT) | instid1(VALU_DEP_1)
	v_and_b32_e32 v7, 0x7f800000, v6
	v_cmp_ne_u32_e64 s0, 0x7f800000, v7
	s_delay_alu instid0(VALU_DEP_1) | instskip(NEXT) | instid1(SALU_CYCLE_1)
	s_and_saveexec_b32 s12, s0
	s_xor_b32 s0, exec_lo, s12
; %bb.1546:                             ;   in Loop: Header=BB436_806 Depth=1
	v_bfe_u32 v7, v6, 16, 1
	s_delay_alu instid0(VALU_DEP_1)
	v_add3_u32 v178, v6, v7, 0x7fff
                                        ; implicit-def: $vgpr6
; %bb.1547:                             ;   in Loop: Header=BB436_806 Depth=1
	s_and_not1_saveexec_b32 s12, s0
; %bb.1548:                             ;   in Loop: Header=BB436_806 Depth=1
	v_and_b32_e32 v7, 0xffff, v6
	v_or_b32_e32 v178, 0x10000, v6
	s_delay_alu instid0(VALU_DEP_2) | instskip(NEXT) | instid1(VALU_DEP_1)
	v_cmp_eq_u32_e64 s0, 0, v7
	v_cndmask_b32_e64 v178, v178, v6, s0
; %bb.1549:                             ;   in Loop: Header=BB436_806 Depth=1
	s_or_b32 exec_lo, exec_lo, s12
	v_lshrrev_b16 v7, 8, v9
	v_mov_b32_e32 v6, 0
	s_mov_b32 s12, exec_lo
	s_delay_alu instid0(VALU_DEP_2)
	v_cmpx_ne_u16_e32 0, v7
	s_cbranch_execz .LBB436_1557
; %bb.1550:                             ;   in Loop: Header=BB436_806 Depth=1
	v_bfrev_b32_e32 v6, 1
	s_mov_b32 s13, exec_lo
	v_cmpx_ne_u16_e32 0x80, v7
	s_cbranch_execz .LBB436_1556
; %bb.1551:                             ;   in Loop: Header=BB436_806 Depth=1
	v_and_b32_e32 v7, 0xffff, v7
	v_mov_b32_e32 v6, 0x7f800001
	s_mov_b32 s15, exec_lo
	s_delay_alu instid0(VALU_DEP_2) | instskip(NEXT) | instid1(VALU_DEP_1)
	v_and_b32_e32 v180, 0x7f, v7
	v_cmpx_ne_u32_e32 0x7f, v180
	s_cbranch_execz .LBB436_1555
; %bb.1552:                             ;   in Loop: Header=BB436_806 Depth=1
	v_dual_mov_b32 v7, v10 :: v_dual_and_b32 v6, 7, v7
	v_lshrrev_b32_e32 v179, 3, v180
	s_mov_b32 s16, exec_lo
	v_cmpx_gt_u32_e32 8, v180
; %bb.1553:                             ;   in Loop: Header=BB436_806 Depth=1
	s_delay_alu instid0(VALU_DEP_3) | instskip(NEXT) | instid1(VALU_DEP_1)
	v_clz_i32_u32_e32 v179, v6
	v_min_u32_e32 v179, 32, v179
	s_delay_alu instid0(VALU_DEP_1) | instskip(SKIP_1) | instid1(VALU_DEP_2)
	v_subrev_nc_u32_e32 v180, 28, v179
	v_sub_nc_u32_e32 v179, 29, v179
	v_lshlrev_b64 v[6:7], v180, v[6:7]
	s_delay_alu instid0(VALU_DEP_1)
	v_and_b32_e32 v6, 7, v6
; %bb.1554:                             ;   in Loop: Header=BB436_806 Depth=1
	s_or_b32 exec_lo, exec_lo, s16
	v_lshlrev_b32_e32 v7, 16, v9
	s_delay_alu instid0(VALU_DEP_2) | instskip(SKIP_1) | instid1(VALU_DEP_3)
	v_lshlrev_b32_e32 v6, 20, v6
	v_lshl_add_u32 v9, v179, 23, 0x3c000000
	v_and_b32_e32 v7, 0x80000000, v7
	s_delay_alu instid0(VALU_DEP_1)
	v_or3_b32 v6, v6, v7, v9
.LBB436_1555:                           ;   in Loop: Header=BB436_806 Depth=1
	s_or_b32 exec_lo, exec_lo, s15
.LBB436_1556:                           ;   in Loop: Header=BB436_806 Depth=1
	s_delay_alu instid0(SALU_CYCLE_1)
	s_or_b32 exec_lo, exec_lo, s13
.LBB436_1557:                           ;   in Loop: Header=BB436_806 Depth=1
	s_delay_alu instid0(SALU_CYCLE_1) | instskip(NEXT) | instid1(VALU_DEP_1)
	s_or_b32 exec_lo, exec_lo, s12
	v_mul_f32_e32 v7, v8, v6
	s_delay_alu instid0(VALU_DEP_1) | instskip(NEXT) | instid1(VALU_DEP_1)
	v_and_b32_e32 v6, 0x7f800000, v7
	v_cmp_ne_u32_e64 s0, 0x7f800000, v6
                                        ; implicit-def: $vgpr6
	s_delay_alu instid0(VALU_DEP_1) | instskip(NEXT) | instid1(SALU_CYCLE_1)
	s_and_saveexec_b32 s12, s0
	s_xor_b32 s0, exec_lo, s12
; %bb.1558:                             ;   in Loop: Header=BB436_806 Depth=1
	v_bfe_u32 v6, v7, 16, 1
	s_delay_alu instid0(VALU_DEP_1)
	v_add3_u32 v6, v7, v6, 0x7fff
                                        ; implicit-def: $vgpr7
; %bb.1559:                             ;   in Loop: Header=BB436_806 Depth=1
	s_and_not1_saveexec_b32 s12, s0
; %bb.1560:                             ;   in Loop: Header=BB436_806 Depth=1
	v_and_b32_e32 v6, 0xffff, v7
	v_or_b32_e32 v9, 0x10000, v7
	s_delay_alu instid0(VALU_DEP_2) | instskip(NEXT) | instid1(VALU_DEP_1)
	v_cmp_eq_u32_e64 s0, 0, v6
	v_cndmask_b32_e64 v6, v9, v7, s0
; %bb.1561:                             ;   in Loop: Header=BB436_806 Depth=1
	s_or_b32 exec_lo, exec_lo, s12
	v_lshrrev_b32_e32 v7, 16, v3
	v_mov_b32_e32 v9, 0
	s_mov_b32 s12, exec_lo
	s_delay_alu instid0(VALU_DEP_2) | instskip(NEXT) | instid1(VALU_DEP_1)
	v_and_b32_e32 v179, 0xff, v7
	v_cmpx_ne_u16_e64 0, v179
	s_cbranch_execz .LBB436_1569
; %bb.1562:                             ;   in Loop: Header=BB436_806 Depth=1
	v_bfrev_b32_e32 v9, 1
	s_mov_b32 s13, exec_lo
	v_cmpx_ne_u16_e64 0x80, v179
	s_cbranch_execz .LBB436_1568
; %bb.1563:                             ;   in Loop: Header=BB436_806 Depth=1
	v_bfe_u32 v180, v3, 16, 7
	v_mov_b32_e32 v9, 0x7f800001
	s_mov_b32 s15, exec_lo
	s_delay_alu instid0(VALU_DEP_2)
	v_cmpx_ne_u32_e32 0x7f, v180
	s_cbranch_execz .LBB436_1567
; %bb.1564:                             ;   in Loop: Header=BB436_806 Depth=1
	v_and_b32_e32 v9, 7, v7
	v_lshrrev_b32_e32 v179, 3, v180
	s_mov_b32 s16, exec_lo
	v_cmpx_gt_u32_e32 8, v180
; %bb.1565:                             ;   in Loop: Header=BB436_806 Depth=1
	s_delay_alu instid0(VALU_DEP_3) | instskip(NEXT) | instid1(VALU_DEP_1)
	v_clz_i32_u32_e32 v179, v9
	v_min_u32_e32 v179, 32, v179
	s_delay_alu instid0(VALU_DEP_1) | instskip(SKIP_1) | instid1(VALU_DEP_2)
	v_subrev_nc_u32_e32 v180, 28, v179
	v_sub_nc_u32_e32 v179, 29, v179
	v_lshlrev_b64 v[180:181], v180, v[9:10]
	s_delay_alu instid0(VALU_DEP_1)
	v_and_b32_e32 v9, 7, v180
; %bb.1566:                             ;   in Loop: Header=BB436_806 Depth=1
	s_or_b32 exec_lo, exec_lo, s16
	v_lshlrev_b32_e32 v7, 24, v7
	s_delay_alu instid0(VALU_DEP_2) | instskip(SKIP_1) | instid1(VALU_DEP_3)
	v_lshlrev_b32_e32 v9, 20, v9
	v_lshl_add_u32 v179, v179, 23, 0x3c000000
	v_and_b32_e32 v7, 0x80000000, v7
	s_delay_alu instid0(VALU_DEP_1)
	v_or3_b32 v9, v9, v7, v179
.LBB436_1567:                           ;   in Loop: Header=BB436_806 Depth=1
	s_or_b32 exec_lo, exec_lo, s15
.LBB436_1568:                           ;   in Loop: Header=BB436_806 Depth=1
	s_delay_alu instid0(SALU_CYCLE_1)
	s_or_b32 exec_lo, exec_lo, s13
.LBB436_1569:                           ;   in Loop: Header=BB436_806 Depth=1
	s_delay_alu instid0(SALU_CYCLE_1) | instskip(NEXT) | instid1(VALU_DEP_1)
	s_or_b32 exec_lo, exec_lo, s12
	v_mul_f32_e32 v7, v8, v9
                                        ; implicit-def: $vgpr179
	s_delay_alu instid0(VALU_DEP_1) | instskip(NEXT) | instid1(VALU_DEP_1)
	v_and_b32_e32 v9, 0x7f800000, v7
	v_cmp_ne_u32_e64 s0, 0x7f800000, v9
	s_delay_alu instid0(VALU_DEP_1) | instskip(NEXT) | instid1(SALU_CYCLE_1)
	s_and_saveexec_b32 s12, s0
	s_xor_b32 s0, exec_lo, s12
; %bb.1570:                             ;   in Loop: Header=BB436_806 Depth=1
	v_bfe_u32 v9, v7, 16, 1
	s_delay_alu instid0(VALU_DEP_1)
	v_add3_u32 v179, v7, v9, 0x7fff
                                        ; implicit-def: $vgpr7
; %bb.1571:                             ;   in Loop: Header=BB436_806 Depth=1
	s_and_not1_saveexec_b32 s12, s0
; %bb.1572:                             ;   in Loop: Header=BB436_806 Depth=1
	v_and_b32_e32 v9, 0xffff, v7
	v_or_b32_e32 v179, 0x10000, v7
	s_delay_alu instid0(VALU_DEP_2) | instskip(NEXT) | instid1(VALU_DEP_1)
	v_cmp_eq_u32_e64 s0, 0, v9
	v_cndmask_b32_e64 v179, v179, v7, s0
; %bb.1573:                             ;   in Loop: Header=BB436_806 Depth=1
	s_or_b32 exec_lo, exec_lo, s12
	v_mov_b32_e32 v7, 0
	s_mov_b32 s12, exec_lo
	v_cmpx_lt_u64_e64 s[8:9], v[2:3]
	s_cbranch_execz .LBB436_1581
; %bb.1574:                             ;   in Loop: Header=BB436_806 Depth=1
	v_lshrrev_b32_e32 v2, 24, v3
	v_bfrev_b32_e32 v7, 1
	s_mov_b32 s13, exec_lo
	s_delay_alu instid0(VALU_DEP_2)
	v_cmpx_ne_u32_e32 0x80, v2
	s_cbranch_execz .LBB436_1580
; %bb.1575:                             ;   in Loop: Header=BB436_806 Depth=1
	v_bfe_u32 v180, v3, 24, 7
	v_mov_b32_e32 v7, 0x7f800001
	s_mov_b32 s15, exec_lo
	s_delay_alu instid0(VALU_DEP_2)
	v_cmpx_ne_u32_e32 0x7f, v180
	s_cbranch_execz .LBB436_1579
; %bb.1576:                             ;   in Loop: Header=BB436_806 Depth=1
	v_and_b32_e32 v9, 7, v2
	v_lshrrev_b32_e32 v3, 3, v180
	s_mov_b32 s16, exec_lo
	v_cmpx_gt_u32_e32 8, v180
; %bb.1577:                             ;   in Loop: Header=BB436_806 Depth=1
	s_delay_alu instid0(VALU_DEP_3) | instskip(NEXT) | instid1(VALU_DEP_1)
	v_clz_i32_u32_e32 v3, v9
	v_min_u32_e32 v3, 32, v3
	s_delay_alu instid0(VALU_DEP_1) | instskip(SKIP_1) | instid1(VALU_DEP_2)
	v_subrev_nc_u32_e32 v7, 28, v3
	v_sub_nc_u32_e32 v3, 29, v3
	v_lshlrev_b64 v[180:181], v7, v[9:10]
	s_delay_alu instid0(VALU_DEP_1)
	v_and_b32_e32 v9, 7, v180
; %bb.1578:                             ;   in Loop: Header=BB436_806 Depth=1
	s_or_b32 exec_lo, exec_lo, s16
	v_lshlrev_b32_e32 v2, 24, v2
	s_delay_alu instid0(VALU_DEP_2) | instskip(SKIP_1) | instid1(VALU_DEP_3)
	v_lshlrev_b32_e32 v7, 20, v9
	v_lshl_add_u32 v3, v3, 23, 0x3c000000
	v_and_b32_e32 v2, 0x80000000, v2
	s_delay_alu instid0(VALU_DEP_1)
	v_or3_b32 v7, v7, v2, v3
.LBB436_1579:                           ;   in Loop: Header=BB436_806 Depth=1
	s_or_b32 exec_lo, exec_lo, s15
.LBB436_1580:                           ;   in Loop: Header=BB436_806 Depth=1
	s_delay_alu instid0(SALU_CYCLE_1)
	s_or_b32 exec_lo, exec_lo, s13
.LBB436_1581:                           ;   in Loop: Header=BB436_806 Depth=1
	s_delay_alu instid0(SALU_CYCLE_1) | instskip(NEXT) | instid1(VALU_DEP_1)
	s_or_b32 exec_lo, exec_lo, s12
	v_mul_f32_e32 v3, v8, v7
	s_delay_alu instid0(VALU_DEP_1) | instskip(NEXT) | instid1(VALU_DEP_1)
	v_and_b32_e32 v2, 0x7f800000, v3
	v_cmp_ne_u32_e64 s0, 0x7f800000, v2
                                        ; implicit-def: $vgpr2
	s_delay_alu instid0(VALU_DEP_1) | instskip(NEXT) | instid1(SALU_CYCLE_1)
	s_and_saveexec_b32 s12, s0
	s_xor_b32 s0, exec_lo, s12
; %bb.1582:                             ;   in Loop: Header=BB436_806 Depth=1
	v_bfe_u32 v2, v3, 16, 1
	s_delay_alu instid0(VALU_DEP_1)
	v_add3_u32 v2, v3, v2, 0x7fff
                                        ; implicit-def: $vgpr3
; %bb.1583:                             ;   in Loop: Header=BB436_806 Depth=1
	s_and_not1_saveexec_b32 s12, s0
; %bb.1584:                             ;   in Loop: Header=BB436_806 Depth=1
	v_and_b32_e32 v2, 0xffff, v3
	v_or_b32_e32 v7, 0x10000, v3
	s_delay_alu instid0(VALU_DEP_2) | instskip(NEXT) | instid1(VALU_DEP_1)
	v_cmp_eq_u32_e64 s0, 0, v2
	v_cndmask_b32_e64 v2, v7, v3, s0
; %bb.1585:                             ;   in Loop: Header=BB436_806 Depth=1
	s_or_b32 exec_lo, exec_lo, s12
	v_lshrrev_b32_e32 v6, 16, v6
	v_lshrrev_b32_e32 v7, 16, v178
	;; [unrolled: 1-line block ×8, first 2 shown]
	s_and_saveexec_b32 s12, vcc_lo
	s_cbranch_execz .LBB436_1587
; %bb.1586:                             ;   in Loop: Header=BB436_806 Depth=1
	v_cmp_lt_i32_e64 s0, v70, v38
	s_delay_alu instid0(VALU_DEP_1) | instskip(SKIP_1) | instid1(VALU_DEP_1)
	v_cndmask_b32_e64 v166, 0, v166, s0
	v_cmp_lt_i32_e64 s0, v85, v38
	v_cndmask_b32_e64 v167, 0, v167, s0
	v_cmp_lt_i32_e64 s0, v84, v38
	s_delay_alu instid0(VALU_DEP_1) | instskip(SKIP_1) | instid1(VALU_DEP_1)
	v_cndmask_b32_e64 v176, 0, v176, s0
	v_cmp_lt_i32_e64 s0, v83, v38
	v_cndmask_b32_e64 v9, 0, v9, s0
	;; [unrolled: 5-line block ×4, first 2 shown]
.LBB436_1587:                           ;   in Loop: Header=BB436_806 Depth=1
	s_or_b32 exec_lo, exec_lo, s12
	v_lshlrev_b32_e32 v166, 16, v166
	s_delay_alu instid0(VALU_DEP_1) | instskip(NEXT) | instid1(VALU_DEP_1)
	v_mul_f32_e32 v177, v86, v166
	v_and_b32_e32 v166, 0x7f800000, v177
	s_delay_alu instid0(VALU_DEP_1) | instskip(NEXT) | instid1(VALU_DEP_1)
	v_cmp_ne_u32_e64 s0, 0x7f800000, v166
                                        ; implicit-def: $vgpr166
	s_and_saveexec_b32 s12, s0
	s_delay_alu instid0(SALU_CYCLE_1)
	s_xor_b32 s0, exec_lo, s12
; %bb.1588:                             ;   in Loop: Header=BB436_806 Depth=1
	v_bfe_u32 v166, v177, 16, 1
	s_delay_alu instid0(VALU_DEP_1)
	v_add3_u32 v166, v177, v166, 0x7fff
                                        ; implicit-def: $vgpr177
; %bb.1589:                             ;   in Loop: Header=BB436_806 Depth=1
	s_and_not1_saveexec_b32 s12, s0
; %bb.1590:                             ;   in Loop: Header=BB436_806 Depth=1
	v_and_b32_e32 v166, 0xffff, v177
	v_or_b32_e32 v178, 0x10000, v177
	s_delay_alu instid0(VALU_DEP_2) | instskip(NEXT) | instid1(VALU_DEP_1)
	v_cmp_eq_u32_e64 s0, 0, v166
	v_cndmask_b32_e64 v166, v178, v177, s0
; %bb.1591:                             ;   in Loop: Header=BB436_806 Depth=1
	s_or_b32 exec_lo, exec_lo, s12
	v_lshlrev_b32_e32 v167, 16, v167
	s_delay_alu instid0(VALU_DEP_1) | instskip(NEXT) | instid1(VALU_DEP_1)
	v_mul_f32_e32 v177, v87, v167
	v_and_b32_e32 v167, 0x7f800000, v177
	s_delay_alu instid0(VALU_DEP_1) | instskip(NEXT) | instid1(VALU_DEP_1)
	v_cmp_ne_u32_e64 s0, 0x7f800000, v167
                                        ; implicit-def: $vgpr167
	s_and_saveexec_b32 s12, s0
	s_delay_alu instid0(SALU_CYCLE_1)
	s_xor_b32 s0, exec_lo, s12
; %bb.1592:                             ;   in Loop: Header=BB436_806 Depth=1
	v_bfe_u32 v167, v177, 16, 1
	s_delay_alu instid0(VALU_DEP_1)
	v_add3_u32 v167, v177, v167, 0x7fff
                                        ; implicit-def: $vgpr177
; %bb.1593:                             ;   in Loop: Header=BB436_806 Depth=1
	s_and_not1_saveexec_b32 s12, s0
; %bb.1594:                             ;   in Loop: Header=BB436_806 Depth=1
	v_and_b32_e32 v167, 0xffff, v177
	v_or_b32_e32 v178, 0x10000, v177
	s_delay_alu instid0(VALU_DEP_2) | instskip(NEXT) | instid1(VALU_DEP_1)
	v_cmp_eq_u32_e64 s0, 0, v167
	v_cndmask_b32_e64 v167, v178, v177, s0
; %bb.1595:                             ;   in Loop: Header=BB436_806 Depth=1
	s_or_b32 exec_lo, exec_lo, s12
	v_lshlrev_b32_e32 v176, 16, v176
	s_delay_alu instid0(VALU_DEP_1) | instskip(NEXT) | instid1(VALU_DEP_1)
	v_mul_f32_e32 v177, v96, v176
	v_and_b32_e32 v176, 0x7f800000, v177
	s_delay_alu instid0(VALU_DEP_1) | instskip(NEXT) | instid1(VALU_DEP_1)
	v_cmp_ne_u32_e64 s0, 0x7f800000, v176
                                        ; implicit-def: $vgpr176
	s_and_saveexec_b32 s12, s0
	s_delay_alu instid0(SALU_CYCLE_1)
	s_xor_b32 s0, exec_lo, s12
; %bb.1596:                             ;   in Loop: Header=BB436_806 Depth=1
	v_bfe_u32 v176, v177, 16, 1
	s_delay_alu instid0(VALU_DEP_1)
	v_add3_u32 v176, v177, v176, 0x7fff
                                        ; implicit-def: $vgpr177
; %bb.1597:                             ;   in Loop: Header=BB436_806 Depth=1
	s_and_not1_saveexec_b32 s12, s0
; %bb.1598:                             ;   in Loop: Header=BB436_806 Depth=1
	v_and_b32_e32 v176, 0xffff, v177
	v_or_b32_e32 v178, 0x10000, v177
	s_delay_alu instid0(VALU_DEP_2) | instskip(NEXT) | instid1(VALU_DEP_1)
	v_cmp_eq_u32_e64 s0, 0, v176
	v_cndmask_b32_e64 v176, v178, v177, s0
; %bb.1599:                             ;   in Loop: Header=BB436_806 Depth=1
	s_or_b32 exec_lo, exec_lo, s12
	v_lshlrev_b32_e32 v9, 16, v9
	s_delay_alu instid0(VALU_DEP_1) | instskip(NEXT) | instid1(VALU_DEP_1)
	v_mul_f32_e32 v9, v97, v9
	v_and_b32_e32 v177, 0x7f800000, v9
	s_delay_alu instid0(VALU_DEP_1) | instskip(NEXT) | instid1(VALU_DEP_1)
	v_cmp_ne_u32_e64 s0, 0x7f800000, v177
                                        ; implicit-def: $vgpr177
	s_and_saveexec_b32 s12, s0
	s_delay_alu instid0(SALU_CYCLE_1)
	s_xor_b32 s0, exec_lo, s12
; %bb.1600:                             ;   in Loop: Header=BB436_806 Depth=1
	v_bfe_u32 v177, v9, 16, 1
	s_delay_alu instid0(VALU_DEP_1)
	v_add3_u32 v177, v9, v177, 0x7fff
                                        ; implicit-def: $vgpr9
; %bb.1601:                             ;   in Loop: Header=BB436_806 Depth=1
	s_and_not1_saveexec_b32 s12, s0
; %bb.1602:                             ;   in Loop: Header=BB436_806 Depth=1
	v_and_b32_e32 v177, 0xffff, v9
	v_or_b32_e32 v178, 0x10000, v9
	s_delay_alu instid0(VALU_DEP_2) | instskip(NEXT) | instid1(VALU_DEP_1)
	v_cmp_eq_u32_e64 s0, 0, v177
	v_cndmask_b32_e64 v177, v178, v9, s0
; %bb.1603:                             ;   in Loop: Header=BB436_806 Depth=1
	s_or_b32 exec_lo, exec_lo, s12
	v_lshlrev_b32_e32 v7, 16, v7
                                        ; implicit-def: $vgpr178
	s_delay_alu instid0(VALU_DEP_1) | instskip(NEXT) | instid1(VALU_DEP_1)
	v_mul_f32_e32 v7, v98, v7
	v_and_b32_e32 v9, 0x7f800000, v7
	s_delay_alu instid0(VALU_DEP_1) | instskip(NEXT) | instid1(VALU_DEP_1)
	v_cmp_ne_u32_e64 s0, 0x7f800000, v9
	s_and_saveexec_b32 s12, s0
	s_delay_alu instid0(SALU_CYCLE_1)
	s_xor_b32 s0, exec_lo, s12
; %bb.1604:                             ;   in Loop: Header=BB436_806 Depth=1
	v_bfe_u32 v9, v7, 16, 1
	s_delay_alu instid0(VALU_DEP_1)
	v_add3_u32 v178, v7, v9, 0x7fff
                                        ; implicit-def: $vgpr7
; %bb.1605:                             ;   in Loop: Header=BB436_806 Depth=1
	s_and_not1_saveexec_b32 s12, s0
; %bb.1606:                             ;   in Loop: Header=BB436_806 Depth=1
	v_and_b32_e32 v9, 0xffff, v7
	v_or_b32_e32 v178, 0x10000, v7
	s_delay_alu instid0(VALU_DEP_2) | instskip(NEXT) | instid1(VALU_DEP_1)
	v_cmp_eq_u32_e64 s0, 0, v9
	v_cndmask_b32_e64 v178, v178, v7, s0
; %bb.1607:                             ;   in Loop: Header=BB436_806 Depth=1
	s_or_b32 exec_lo, exec_lo, s12
	v_lshlrev_b32_e32 v6, 16, v6
                                        ; implicit-def: $vgpr179
	s_delay_alu instid0(VALU_DEP_1) | instskip(NEXT) | instid1(VALU_DEP_1)
	v_mul_f32_e32 v6, v99, v6
	v_and_b32_e32 v7, 0x7f800000, v6
	s_delay_alu instid0(VALU_DEP_1) | instskip(NEXT) | instid1(VALU_DEP_1)
	v_cmp_ne_u32_e64 s0, 0x7f800000, v7
	s_and_saveexec_b32 s12, s0
	s_delay_alu instid0(SALU_CYCLE_1)
	s_xor_b32 s0, exec_lo, s12
; %bb.1608:                             ;   in Loop: Header=BB436_806 Depth=1
	v_bfe_u32 v7, v6, 16, 1
	s_delay_alu instid0(VALU_DEP_1)
	v_add3_u32 v179, v6, v7, 0x7fff
                                        ; implicit-def: $vgpr6
; %bb.1609:                             ;   in Loop: Header=BB436_806 Depth=1
	s_and_not1_saveexec_b32 s12, s0
; %bb.1610:                             ;   in Loop: Header=BB436_806 Depth=1
	v_and_b32_e32 v7, 0xffff, v6
	v_or_b32_e32 v9, 0x10000, v6
	s_delay_alu instid0(VALU_DEP_2) | instskip(NEXT) | instid1(VALU_DEP_1)
	v_cmp_eq_u32_e64 s0, 0, v7
	v_cndmask_b32_e64 v179, v9, v6, s0
; %bb.1611:                             ;   in Loop: Header=BB436_806 Depth=1
	s_or_b32 exec_lo, exec_lo, s12
	v_lshlrev_b32_e32 v3, 16, v3
                                        ; implicit-def: $vgpr180
	s_delay_alu instid0(VALU_DEP_1) | instskip(NEXT) | instid1(VALU_DEP_1)
	v_mul_f32_e32 v3, v100, v3
	v_and_b32_e32 v6, 0x7f800000, v3
	s_delay_alu instid0(VALU_DEP_1) | instskip(NEXT) | instid1(VALU_DEP_1)
	v_cmp_ne_u32_e64 s0, 0x7f800000, v6
	s_and_saveexec_b32 s12, s0
	s_delay_alu instid0(SALU_CYCLE_1)
	s_xor_b32 s0, exec_lo, s12
; %bb.1612:                             ;   in Loop: Header=BB436_806 Depth=1
	v_bfe_u32 v6, v3, 16, 1
	s_delay_alu instid0(VALU_DEP_1)
	v_add3_u32 v180, v3, v6, 0x7fff
                                        ; implicit-def: $vgpr3
; %bb.1613:                             ;   in Loop: Header=BB436_806 Depth=1
	s_and_not1_saveexec_b32 s12, s0
; %bb.1614:                             ;   in Loop: Header=BB436_806 Depth=1
	v_and_b32_e32 v6, 0xffff, v3
	v_or_b32_e32 v7, 0x10000, v3
	s_delay_alu instid0(VALU_DEP_2) | instskip(NEXT) | instid1(VALU_DEP_1)
	v_cmp_eq_u32_e64 s0, 0, v6
	v_cndmask_b32_e64 v180, v7, v3, s0
; %bb.1615:                             ;   in Loop: Header=BB436_806 Depth=1
	s_or_b32 exec_lo, exec_lo, s12
	v_lshlrev_b32_e32 v2, 16, v2
                                        ; implicit-def: $vgpr181
	s_delay_alu instid0(VALU_DEP_1) | instskip(NEXT) | instid1(VALU_DEP_1)
	v_mul_f32_e32 v2, v101, v2
	v_and_b32_e32 v3, 0x7f800000, v2
	s_delay_alu instid0(VALU_DEP_1) | instskip(NEXT) | instid1(VALU_DEP_1)
	v_cmp_ne_u32_e64 s0, 0x7f800000, v3
	s_and_saveexec_b32 s12, s0
	s_delay_alu instid0(SALU_CYCLE_1)
	s_xor_b32 s0, exec_lo, s12
; %bb.1616:                             ;   in Loop: Header=BB436_806 Depth=1
	v_bfe_u32 v3, v2, 16, 1
	s_delay_alu instid0(VALU_DEP_1)
	v_add3_u32 v181, v2, v3, 0x7fff
                                        ; implicit-def: $vgpr2
; %bb.1617:                             ;   in Loop: Header=BB436_806 Depth=1
	s_and_not1_saveexec_b32 s12, s0
; %bb.1618:                             ;   in Loop: Header=BB436_806 Depth=1
	v_and_b32_e32 v3, 0xffff, v2
	v_or_b32_e32 v6, 0x10000, v2
	s_delay_alu instid0(VALU_DEP_2) | instskip(NEXT) | instid1(VALU_DEP_1)
	v_cmp_eq_u32_e64 s0, 0, v3
	v_cndmask_b32_e64 v181, v6, v2, s0
; %bb.1619:                             ;   in Loop: Header=BB436_806 Depth=1
	s_or_b32 exec_lo, exec_lo, s12
	flat_load_b64 v[2:3], v[0:1] offset:1536
	s_mov_b32 s12, exec_lo
	s_waitcnt vmcnt(0) lgkmcnt(0)
	v_dual_mov_b32 v6, 0 :: v_dual_and_b32 v7, 0xff, v2
	s_delay_alu instid0(VALU_DEP_1)
	v_cmpx_ne_u16_e32 0, v7
	s_cbranch_execz .LBB436_1627
; %bb.1620:                             ;   in Loop: Header=BB436_806 Depth=1
	v_bfrev_b32_e32 v6, 1
	s_mov_b32 s13, exec_lo
	v_cmpx_ne_u16_e32 0x80, v7
	s_cbranch_execz .LBB436_1626
; %bb.1621:                             ;   in Loop: Header=BB436_806 Depth=1
	v_and_b32_e32 v7, 0x7f, v2
	v_mov_b32_e32 v6, 0x7f800001
	s_mov_b32 s15, exec_lo
	s_delay_alu instid0(VALU_DEP_2)
	v_cmpx_ne_u32_e32 0x7f, v7
	s_cbranch_execz .LBB436_1625
; %bb.1622:                             ;   in Loop: Header=BB436_806 Depth=1
	v_lshrrev_b32_e32 v9, 3, v7
	v_cmp_gt_u32_e64 s0, 8, v7
	v_dual_mov_b32 v7, v3 :: v_dual_mov_b32 v6, v2
	s_delay_alu instid0(VALU_DEP_2)
	s_and_saveexec_b32 s16, s0
; %bb.1623:                             ;   in Loop: Header=BB436_806 Depth=1
	v_and_b32_e32 v6, 7, v2
	s_delay_alu instid0(VALU_DEP_1) | instskip(NEXT) | instid1(VALU_DEP_1)
	v_clz_i32_u32_e32 v6, v6
	v_min_u32_e32 v9, 32, v6
	s_delay_alu instid0(VALU_DEP_1) | instskip(SKIP_1) | instid1(VALU_DEP_2)
	v_subrev_nc_u32_e32 v6, 28, v9
	v_sub_nc_u32_e32 v9, 29, v9
	v_lshlrev_b64 v[6:7], v6, v[2:3]
; %bb.1624:                             ;   in Loop: Header=BB436_806 Depth=1
	s_or_b32 exec_lo, exec_lo, s16
	s_delay_alu instid0(VALU_DEP_1) | instskip(SKIP_2) | instid1(VALU_DEP_3)
	v_lshlrev_b32_e32 v6, 20, v6
	v_lshlrev_b32_e32 v7, 24, v2
	v_lshl_add_u32 v9, v9, 23, 0x3c000000
	v_and_b32_e32 v6, 0x700000, v6
	s_delay_alu instid0(VALU_DEP_3) | instskip(NEXT) | instid1(VALU_DEP_1)
	v_and_b32_e32 v7, 0x80000000, v7
	v_or3_b32 v6, v6, v7, v9
.LBB436_1625:                           ;   in Loop: Header=BB436_806 Depth=1
	s_or_b32 exec_lo, exec_lo, s15
.LBB436_1626:                           ;   in Loop: Header=BB436_806 Depth=1
	s_delay_alu instid0(SALU_CYCLE_1)
	s_or_b32 exec_lo, exec_lo, s13
.LBB436_1627:                           ;   in Loop: Header=BB436_806 Depth=1
	s_delay_alu instid0(SALU_CYCLE_1) | instskip(NEXT) | instid1(VALU_DEP_1)
	s_or_b32 exec_lo, exec_lo, s12
	v_mul_f32_e32 v6, v8, v6
                                        ; implicit-def: $vgpr182
	s_delay_alu instid0(VALU_DEP_1) | instskip(NEXT) | instid1(VALU_DEP_1)
	v_and_b32_e32 v7, 0x7f800000, v6
	v_cmp_ne_u32_e64 s0, 0x7f800000, v7
	s_delay_alu instid0(VALU_DEP_1) | instskip(NEXT) | instid1(SALU_CYCLE_1)
	s_and_saveexec_b32 s12, s0
	s_xor_b32 s0, exec_lo, s12
; %bb.1628:                             ;   in Loop: Header=BB436_806 Depth=1
	v_bfe_u32 v7, v6, 16, 1
	s_delay_alu instid0(VALU_DEP_1)
	v_add3_u32 v182, v6, v7, 0x7fff
                                        ; implicit-def: $vgpr6
; %bb.1629:                             ;   in Loop: Header=BB436_806 Depth=1
	s_and_not1_saveexec_b32 s12, s0
; %bb.1630:                             ;   in Loop: Header=BB436_806 Depth=1
	v_and_b32_e32 v7, 0xffff, v6
	v_or_b32_e32 v9, 0x10000, v6
	s_delay_alu instid0(VALU_DEP_2) | instskip(NEXT) | instid1(VALU_DEP_1)
	v_cmp_eq_u32_e64 s0, 0, v7
	v_cndmask_b32_e64 v182, v9, v6, s0
; %bb.1631:                             ;   in Loop: Header=BB436_806 Depth=1
	s_or_b32 exec_lo, exec_lo, s12
	v_lshrrev_b16 v7, 8, v2
	v_mov_b32_e32 v6, 0
	s_mov_b32 s12, exec_lo
	s_delay_alu instid0(VALU_DEP_2)
	v_cmpx_ne_u16_e32 0, v7
	s_cbranch_execz .LBB436_1639
; %bb.1632:                             ;   in Loop: Header=BB436_806 Depth=1
	v_bfrev_b32_e32 v6, 1
	s_mov_b32 s13, exec_lo
	v_cmpx_ne_u16_e32 0x80, v7
	s_cbranch_execz .LBB436_1638
; %bb.1633:                             ;   in Loop: Header=BB436_806 Depth=1
	v_and_b32_e32 v9, 0xffff, v7
	v_mov_b32_e32 v6, 0x7f800001
	s_mov_b32 s15, exec_lo
	s_delay_alu instid0(VALU_DEP_2) | instskip(NEXT) | instid1(VALU_DEP_1)
	v_and_b32_e32 v7, 0x7f, v9
	v_cmpx_ne_u32_e32 0x7f, v7
	s_cbranch_execz .LBB436_1637
; %bb.1634:                             ;   in Loop: Header=BB436_806 Depth=1
	v_and_b32_e32 v9, 7, v9
	v_lshrrev_b32_e32 v6, 3, v7
	s_mov_b32 s16, exec_lo
	v_cmpx_gt_u32_e32 8, v7
; %bb.1635:                             ;   in Loop: Header=BB436_806 Depth=1
	s_delay_alu instid0(VALU_DEP_3) | instskip(NEXT) | instid1(VALU_DEP_1)
	v_clz_i32_u32_e32 v6, v9
	v_min_u32_e32 v6, 32, v6
	s_delay_alu instid0(VALU_DEP_1) | instskip(SKIP_1) | instid1(VALU_DEP_2)
	v_subrev_nc_u32_e32 v7, 28, v6
	v_sub_nc_u32_e32 v6, 29, v6
	v_lshlrev_b64 v[40:41], v7, v[9:10]
	s_delay_alu instid0(VALU_DEP_1)
	v_and_b32_e32 v9, 7, v40
; %bb.1636:                             ;   in Loop: Header=BB436_806 Depth=1
	s_or_b32 exec_lo, exec_lo, s16
	v_lshlrev_b32_e32 v7, 16, v2
	s_delay_alu instid0(VALU_DEP_2) | instskip(SKIP_1) | instid1(VALU_DEP_3)
	v_lshlrev_b32_e32 v9, 20, v9
	v_lshl_add_u32 v6, v6, 23, 0x3c000000
	v_and_b32_e32 v7, 0x80000000, v7
	s_delay_alu instid0(VALU_DEP_1)
	v_or3_b32 v6, v9, v7, v6
.LBB436_1637:                           ;   in Loop: Header=BB436_806 Depth=1
	s_or_b32 exec_lo, exec_lo, s15
.LBB436_1638:                           ;   in Loop: Header=BB436_806 Depth=1
	s_delay_alu instid0(SALU_CYCLE_1)
	s_or_b32 exec_lo, exec_lo, s13
.LBB436_1639:                           ;   in Loop: Header=BB436_806 Depth=1
	s_delay_alu instid0(SALU_CYCLE_1) | instskip(NEXT) | instid1(VALU_DEP_1)
	s_or_b32 exec_lo, exec_lo, s12
	v_mul_f32_e32 v6, v8, v6
                                        ; implicit-def: $vgpr183
	s_delay_alu instid0(VALU_DEP_1) | instskip(NEXT) | instid1(VALU_DEP_1)
	v_and_b32_e32 v7, 0x7f800000, v6
	v_cmp_ne_u32_e64 s0, 0x7f800000, v7
	s_delay_alu instid0(VALU_DEP_1) | instskip(NEXT) | instid1(SALU_CYCLE_1)
	s_and_saveexec_b32 s12, s0
	s_xor_b32 s0, exec_lo, s12
; %bb.1640:                             ;   in Loop: Header=BB436_806 Depth=1
	v_bfe_u32 v7, v6, 16, 1
	s_delay_alu instid0(VALU_DEP_1)
	v_add3_u32 v183, v6, v7, 0x7fff
                                        ; implicit-def: $vgpr6
; %bb.1641:                             ;   in Loop: Header=BB436_806 Depth=1
	s_and_not1_saveexec_b32 s12, s0
; %bb.1642:                             ;   in Loop: Header=BB436_806 Depth=1
	v_and_b32_e32 v7, 0xffff, v6
	v_or_b32_e32 v9, 0x10000, v6
	s_delay_alu instid0(VALU_DEP_2) | instskip(NEXT) | instid1(VALU_DEP_1)
	v_cmp_eq_u32_e64 s0, 0, v7
	v_cndmask_b32_e64 v183, v9, v6, s0
; %bb.1643:                             ;   in Loop: Header=BB436_806 Depth=1
	s_or_b32 exec_lo, exec_lo, s12
	v_lshrrev_b32_e32 v6, 16, v2
	v_mov_b32_e32 v7, 0
	s_mov_b32 s12, exec_lo
	s_delay_alu instid0(VALU_DEP_2) | instskip(NEXT) | instid1(VALU_DEP_1)
	v_and_b32_e32 v9, 0xff, v6
	v_cmpx_ne_u16_e32 0, v9
	s_cbranch_execz .LBB436_1651
; %bb.1644:                             ;   in Loop: Header=BB436_806 Depth=1
	v_bfrev_b32_e32 v7, 1
	s_mov_b32 s13, exec_lo
	v_cmpx_ne_u16_e32 0x80, v9
	s_cbranch_execz .LBB436_1650
; %bb.1645:                             ;   in Loop: Header=BB436_806 Depth=1
	v_bfe_u32 v40, v2, 16, 7
	v_mov_b32_e32 v7, 0x7f800001
	s_mov_b32 s15, exec_lo
	s_delay_alu instid0(VALU_DEP_2)
	v_cmpx_ne_u32_e32 0x7f, v40
	s_cbranch_execz .LBB436_1649
; %bb.1646:                             ;   in Loop: Header=BB436_806 Depth=1
	v_and_b32_e32 v9, 7, v6
	v_lshrrev_b32_e32 v7, 3, v40
	s_mov_b32 s16, exec_lo
	v_cmpx_gt_u32_e32 8, v40
; %bb.1647:                             ;   in Loop: Header=BB436_806 Depth=1
	s_delay_alu instid0(VALU_DEP_3) | instskip(NEXT) | instid1(VALU_DEP_1)
	v_clz_i32_u32_e32 v7, v9
	v_min_u32_e32 v7, 32, v7
	s_delay_alu instid0(VALU_DEP_1) | instskip(SKIP_1) | instid1(VALU_DEP_2)
	v_subrev_nc_u32_e32 v40, 28, v7
	v_sub_nc_u32_e32 v7, 29, v7
	v_lshlrev_b64 v[40:41], v40, v[9:10]
	s_delay_alu instid0(VALU_DEP_1)
	v_and_b32_e32 v9, 7, v40
; %bb.1648:                             ;   in Loop: Header=BB436_806 Depth=1
	s_or_b32 exec_lo, exec_lo, s16
	v_lshlrev_b32_e32 v6, 24, v6
	s_delay_alu instid0(VALU_DEP_2) | instskip(SKIP_1) | instid1(VALU_DEP_3)
	v_lshlrev_b32_e32 v9, 20, v9
	v_lshl_add_u32 v7, v7, 23, 0x3c000000
	v_and_b32_e32 v6, 0x80000000, v6
	s_delay_alu instid0(VALU_DEP_1)
	v_or3_b32 v7, v9, v6, v7
.LBB436_1649:                           ;   in Loop: Header=BB436_806 Depth=1
	s_or_b32 exec_lo, exec_lo, s15
.LBB436_1650:                           ;   in Loop: Header=BB436_806 Depth=1
	s_delay_alu instid0(SALU_CYCLE_1)
	s_or_b32 exec_lo, exec_lo, s13
.LBB436_1651:                           ;   in Loop: Header=BB436_806 Depth=1
	s_delay_alu instid0(SALU_CYCLE_1) | instskip(NEXT) | instid1(VALU_DEP_1)
	s_or_b32 exec_lo, exec_lo, s12
	v_mul_f32_e32 v6, v8, v7
                                        ; implicit-def: $vgpr40
	s_delay_alu instid0(VALU_DEP_1) | instskip(NEXT) | instid1(VALU_DEP_1)
	v_and_b32_e32 v7, 0x7f800000, v6
	v_cmp_ne_u32_e64 s0, 0x7f800000, v7
	s_delay_alu instid0(VALU_DEP_1) | instskip(NEXT) | instid1(SALU_CYCLE_1)
	s_and_saveexec_b32 s12, s0
	s_xor_b32 s0, exec_lo, s12
; %bb.1652:                             ;   in Loop: Header=BB436_806 Depth=1
	v_bfe_u32 v7, v6, 16, 1
	s_delay_alu instid0(VALU_DEP_1)
	v_add3_u32 v40, v6, v7, 0x7fff
                                        ; implicit-def: $vgpr6
; %bb.1653:                             ;   in Loop: Header=BB436_806 Depth=1
	s_and_not1_saveexec_b32 s12, s0
; %bb.1654:                             ;   in Loop: Header=BB436_806 Depth=1
	v_and_b32_e32 v7, 0xffff, v6
	v_or_b32_e32 v9, 0x10000, v6
	s_delay_alu instid0(VALU_DEP_2) | instskip(NEXT) | instid1(VALU_DEP_1)
	v_cmp_eq_u32_e64 s0, 0, v7
	v_cndmask_b32_e64 v40, v9, v6, s0
; %bb.1655:                             ;   in Loop: Header=BB436_806 Depth=1
	s_or_b32 exec_lo, exec_lo, s12
	v_mov_b32_e32 v7, 0
	s_mov_b32 s12, exec_lo
	v_cmpx_lt_u32_e32 0xffffff, v2
	s_cbranch_execz .LBB436_1663
; %bb.1656:                             ;   in Loop: Header=BB436_806 Depth=1
	v_lshrrev_b32_e32 v6, 24, v2
	v_bfrev_b32_e32 v7, 1
	s_mov_b32 s13, exec_lo
	s_delay_alu instid0(VALU_DEP_2)
	v_cmpx_ne_u32_e32 0x80, v6
	s_cbranch_execz .LBB436_1662
; %bb.1657:                             ;   in Loop: Header=BB436_806 Depth=1
	v_bfe_u32 v41, v2, 24, 7
	v_mov_b32_e32 v7, 0x7f800001
	s_mov_b32 s15, exec_lo
	s_delay_alu instid0(VALU_DEP_2)
	v_cmpx_ne_u32_e32 0x7f, v41
	s_cbranch_execz .LBB436_1661
; %bb.1658:                             ;   in Loop: Header=BB436_806 Depth=1
	v_and_b32_e32 v9, 7, v6
	v_lshrrev_b32_e32 v7, 3, v41
	s_mov_b32 s16, exec_lo
	v_cmpx_gt_u32_e32 8, v41
; %bb.1659:                             ;   in Loop: Header=BB436_806 Depth=1
	s_delay_alu instid0(VALU_DEP_3) | instskip(NEXT) | instid1(VALU_DEP_1)
	v_clz_i32_u32_e32 v7, v9
	v_min_u32_e32 v7, 32, v7
	s_delay_alu instid0(VALU_DEP_1) | instskip(SKIP_1) | instid1(VALU_DEP_2)
	v_subrev_nc_u32_e32 v41, 28, v7
	v_sub_nc_u32_e32 v7, 29, v7
	v_lshlrev_b64 v[41:42], v41, v[9:10]
	s_delay_alu instid0(VALU_DEP_1)
	v_and_b32_e32 v9, 7, v41
; %bb.1660:                             ;   in Loop: Header=BB436_806 Depth=1
	s_or_b32 exec_lo, exec_lo, s16
	v_lshlrev_b32_e32 v6, 24, v6
	s_delay_alu instid0(VALU_DEP_2) | instskip(SKIP_1) | instid1(VALU_DEP_3)
	v_lshlrev_b32_e32 v9, 20, v9
	v_lshl_add_u32 v7, v7, 23, 0x3c000000
	v_and_b32_e32 v6, 0x80000000, v6
	s_delay_alu instid0(VALU_DEP_1)
	v_or3_b32 v7, v9, v6, v7
.LBB436_1661:                           ;   in Loop: Header=BB436_806 Depth=1
	s_or_b32 exec_lo, exec_lo, s15
.LBB436_1662:                           ;   in Loop: Header=BB436_806 Depth=1
	s_delay_alu instid0(SALU_CYCLE_1)
	s_or_b32 exec_lo, exec_lo, s13
.LBB436_1663:                           ;   in Loop: Header=BB436_806 Depth=1
	s_delay_alu instid0(SALU_CYCLE_1) | instskip(NEXT) | instid1(VALU_DEP_1)
	s_or_b32 exec_lo, exec_lo, s12
	v_mul_f32_e32 v6, v8, v7
                                        ; implicit-def: $vgpr41
	s_delay_alu instid0(VALU_DEP_1) | instskip(NEXT) | instid1(VALU_DEP_1)
	v_and_b32_e32 v7, 0x7f800000, v6
	v_cmp_ne_u32_e64 s0, 0x7f800000, v7
	s_delay_alu instid0(VALU_DEP_1) | instskip(NEXT) | instid1(SALU_CYCLE_1)
	s_and_saveexec_b32 s12, s0
	s_xor_b32 s0, exec_lo, s12
; %bb.1664:                             ;   in Loop: Header=BB436_806 Depth=1
	v_bfe_u32 v7, v6, 16, 1
	s_delay_alu instid0(VALU_DEP_1)
	v_add3_u32 v41, v6, v7, 0x7fff
                                        ; implicit-def: $vgpr6
; %bb.1665:                             ;   in Loop: Header=BB436_806 Depth=1
	s_and_not1_saveexec_b32 s12, s0
; %bb.1666:                             ;   in Loop: Header=BB436_806 Depth=1
	v_and_b32_e32 v7, 0xffff, v6
	v_or_b32_e32 v9, 0x10000, v6
	s_delay_alu instid0(VALU_DEP_2) | instskip(NEXT) | instid1(VALU_DEP_1)
	v_cmp_eq_u32_e64 s0, 0, v7
	v_cndmask_b32_e64 v41, v9, v6, s0
; %bb.1667:                             ;   in Loop: Header=BB436_806 Depth=1
	s_or_b32 exec_lo, exec_lo, s12
	v_dual_mov_b32 v6, 0 :: v_dual_and_b32 v7, 0xff, v3
	v_mov_b32_e32 v9, v3
	s_mov_b32 s12, exec_lo
	s_delay_alu instid0(VALU_DEP_2)
	v_cmpx_ne_u16_e32 0, v7
	s_cbranch_execz .LBB436_1675
; %bb.1668:                             ;   in Loop: Header=BB436_806 Depth=1
	v_bfrev_b32_e32 v6, 1
	s_mov_b32 s13, exec_lo
	v_cmpx_ne_u16_e32 0x80, v7
	s_cbranch_execz .LBB436_1674
; %bb.1669:                             ;   in Loop: Header=BB436_806 Depth=1
	v_and_b32_e32 v7, 0x7f, v3
	v_mov_b32_e32 v6, 0x7f800001
	s_mov_b32 s15, exec_lo
	s_delay_alu instid0(VALU_DEP_2)
	v_cmpx_ne_u32_e32 0x7f, v7
	s_cbranch_execz .LBB436_1673
; %bb.1670:                             ;   in Loop: Header=BB436_806 Depth=1
	v_lshrrev_b32_e32 v42, 3, v7
	v_cmp_gt_u32_e64 s0, 8, v7
	v_dual_mov_b32 v6, v9 :: v_dual_mov_b32 v7, v10
	s_delay_alu instid0(VALU_DEP_2)
	s_and_saveexec_b32 s16, s0
; %bb.1671:                             ;   in Loop: Header=BB436_806 Depth=1
	v_and_b32_e32 v6, 7, v3
	s_delay_alu instid0(VALU_DEP_1) | instskip(NEXT) | instid1(VALU_DEP_1)
	v_clz_i32_u32_e32 v6, v6
	v_min_u32_e32 v42, 32, v6
	s_delay_alu instid0(VALU_DEP_1) | instskip(SKIP_1) | instid1(VALU_DEP_2)
	v_subrev_nc_u32_e32 v6, 28, v42
	v_sub_nc_u32_e32 v42, 29, v42
	v_lshlrev_b64 v[6:7], v6, v[9:10]
; %bb.1672:                             ;   in Loop: Header=BB436_806 Depth=1
	s_or_b32 exec_lo, exec_lo, s16
	s_delay_alu instid0(VALU_DEP_1) | instskip(SKIP_2) | instid1(VALU_DEP_3)
	v_lshlrev_b32_e32 v6, 20, v6
	v_lshlrev_b32_e32 v7, 24, v9
	v_lshl_add_u32 v42, v42, 23, 0x3c000000
	v_and_b32_e32 v6, 0x700000, v6
	s_delay_alu instid0(VALU_DEP_3) | instskip(NEXT) | instid1(VALU_DEP_1)
	v_and_b32_e32 v7, 0x80000000, v7
	v_or3_b32 v6, v6, v7, v42
.LBB436_1673:                           ;   in Loop: Header=BB436_806 Depth=1
	s_or_b32 exec_lo, exec_lo, s15
.LBB436_1674:                           ;   in Loop: Header=BB436_806 Depth=1
	s_delay_alu instid0(SALU_CYCLE_1)
	s_or_b32 exec_lo, exec_lo, s13
.LBB436_1675:                           ;   in Loop: Header=BB436_806 Depth=1
	s_delay_alu instid0(SALU_CYCLE_1) | instskip(NEXT) | instid1(VALU_DEP_1)
	s_or_b32 exec_lo, exec_lo, s12
	v_mul_f32_e32 v6, v8, v6
                                        ; implicit-def: $vgpr42
	s_delay_alu instid0(VALU_DEP_1) | instskip(NEXT) | instid1(VALU_DEP_1)
	v_and_b32_e32 v7, 0x7f800000, v6
	v_cmp_ne_u32_e64 s0, 0x7f800000, v7
	s_delay_alu instid0(VALU_DEP_1) | instskip(NEXT) | instid1(SALU_CYCLE_1)
	s_and_saveexec_b32 s12, s0
	s_xor_b32 s0, exec_lo, s12
; %bb.1676:                             ;   in Loop: Header=BB436_806 Depth=1
	v_bfe_u32 v7, v6, 16, 1
	s_delay_alu instid0(VALU_DEP_1)
	v_add3_u32 v42, v6, v7, 0x7fff
                                        ; implicit-def: $vgpr6
; %bb.1677:                             ;   in Loop: Header=BB436_806 Depth=1
	s_and_not1_saveexec_b32 s12, s0
; %bb.1678:                             ;   in Loop: Header=BB436_806 Depth=1
	v_and_b32_e32 v7, 0xffff, v6
	v_or_b32_e32 v42, 0x10000, v6
	s_delay_alu instid0(VALU_DEP_2) | instskip(NEXT) | instid1(VALU_DEP_1)
	v_cmp_eq_u32_e64 s0, 0, v7
	v_cndmask_b32_e64 v42, v42, v6, s0
; %bb.1679:                             ;   in Loop: Header=BB436_806 Depth=1
	s_or_b32 exec_lo, exec_lo, s12
	v_lshrrev_b16 v7, 8, v9
	v_mov_b32_e32 v6, 0
	s_mov_b32 s12, exec_lo
	s_delay_alu instid0(VALU_DEP_2)
	v_cmpx_ne_u16_e32 0, v7
	s_cbranch_execz .LBB436_1687
; %bb.1680:                             ;   in Loop: Header=BB436_806 Depth=1
	v_bfrev_b32_e32 v6, 1
	s_mov_b32 s13, exec_lo
	v_cmpx_ne_u16_e32 0x80, v7
	s_cbranch_execz .LBB436_1686
; %bb.1681:                             ;   in Loop: Header=BB436_806 Depth=1
	v_and_b32_e32 v7, 0xffff, v7
	v_mov_b32_e32 v6, 0x7f800001
	s_mov_b32 s15, exec_lo
	s_delay_alu instid0(VALU_DEP_2) | instskip(NEXT) | instid1(VALU_DEP_1)
	v_and_b32_e32 v44, 0x7f, v7
	v_cmpx_ne_u32_e32 0x7f, v44
	s_cbranch_execz .LBB436_1685
; %bb.1682:                             ;   in Loop: Header=BB436_806 Depth=1
	v_dual_mov_b32 v7, v10 :: v_dual_and_b32 v6, 7, v7
	v_lshrrev_b32_e32 v43, 3, v44
	s_mov_b32 s16, exec_lo
	v_cmpx_gt_u32_e32 8, v44
; %bb.1683:                             ;   in Loop: Header=BB436_806 Depth=1
	s_delay_alu instid0(VALU_DEP_3) | instskip(NEXT) | instid1(VALU_DEP_1)
	v_clz_i32_u32_e32 v43, v6
	v_min_u32_e32 v43, 32, v43
	s_delay_alu instid0(VALU_DEP_1) | instskip(SKIP_1) | instid1(VALU_DEP_2)
	v_subrev_nc_u32_e32 v44, 28, v43
	v_sub_nc_u32_e32 v43, 29, v43
	v_lshlrev_b64 v[6:7], v44, v[6:7]
	s_delay_alu instid0(VALU_DEP_1)
	v_and_b32_e32 v6, 7, v6
; %bb.1684:                             ;   in Loop: Header=BB436_806 Depth=1
	s_or_b32 exec_lo, exec_lo, s16
	v_lshlrev_b32_e32 v7, 16, v9
	s_delay_alu instid0(VALU_DEP_2) | instskip(SKIP_1) | instid1(VALU_DEP_3)
	v_lshlrev_b32_e32 v6, 20, v6
	v_lshl_add_u32 v9, v43, 23, 0x3c000000
	v_and_b32_e32 v7, 0x80000000, v7
	s_delay_alu instid0(VALU_DEP_1)
	v_or3_b32 v6, v6, v7, v9
.LBB436_1685:                           ;   in Loop: Header=BB436_806 Depth=1
	s_or_b32 exec_lo, exec_lo, s15
.LBB436_1686:                           ;   in Loop: Header=BB436_806 Depth=1
	s_delay_alu instid0(SALU_CYCLE_1)
	s_or_b32 exec_lo, exec_lo, s13
.LBB436_1687:                           ;   in Loop: Header=BB436_806 Depth=1
	s_delay_alu instid0(SALU_CYCLE_1) | instskip(NEXT) | instid1(VALU_DEP_1)
	s_or_b32 exec_lo, exec_lo, s12
	v_mul_f32_e32 v7, v8, v6
	s_delay_alu instid0(VALU_DEP_1) | instskip(NEXT) | instid1(VALU_DEP_1)
	v_and_b32_e32 v6, 0x7f800000, v7
	v_cmp_ne_u32_e64 s0, 0x7f800000, v6
                                        ; implicit-def: $vgpr6
	s_delay_alu instid0(VALU_DEP_1) | instskip(NEXT) | instid1(SALU_CYCLE_1)
	s_and_saveexec_b32 s12, s0
	s_xor_b32 s0, exec_lo, s12
; %bb.1688:                             ;   in Loop: Header=BB436_806 Depth=1
	v_bfe_u32 v6, v7, 16, 1
	s_delay_alu instid0(VALU_DEP_1)
	v_add3_u32 v6, v7, v6, 0x7fff
                                        ; implicit-def: $vgpr7
; %bb.1689:                             ;   in Loop: Header=BB436_806 Depth=1
	s_and_not1_saveexec_b32 s12, s0
; %bb.1690:                             ;   in Loop: Header=BB436_806 Depth=1
	v_and_b32_e32 v6, 0xffff, v7
	v_or_b32_e32 v9, 0x10000, v7
	s_delay_alu instid0(VALU_DEP_2) | instskip(NEXT) | instid1(VALU_DEP_1)
	v_cmp_eq_u32_e64 s0, 0, v6
	v_cndmask_b32_e64 v6, v9, v7, s0
; %bb.1691:                             ;   in Loop: Header=BB436_806 Depth=1
	s_or_b32 exec_lo, exec_lo, s12
	v_lshrrev_b32_e32 v7, 16, v3
	v_mov_b32_e32 v9, 0
	s_mov_b32 s12, exec_lo
	s_delay_alu instid0(VALU_DEP_2) | instskip(NEXT) | instid1(VALU_DEP_1)
	v_and_b32_e32 v43, 0xff, v7
	v_cmpx_ne_u16_e32 0, v43
	s_cbranch_execz .LBB436_1699
; %bb.1692:                             ;   in Loop: Header=BB436_806 Depth=1
	v_bfrev_b32_e32 v9, 1
	s_mov_b32 s13, exec_lo
	v_cmpx_ne_u16_e32 0x80, v43
	s_cbranch_execz .LBB436_1698
; %bb.1693:                             ;   in Loop: Header=BB436_806 Depth=1
	v_bfe_u32 v44, v3, 16, 7
	v_mov_b32_e32 v9, 0x7f800001
	s_mov_b32 s15, exec_lo
	s_delay_alu instid0(VALU_DEP_2)
	v_cmpx_ne_u32_e32 0x7f, v44
	s_cbranch_execz .LBB436_1697
; %bb.1694:                             ;   in Loop: Header=BB436_806 Depth=1
	v_and_b32_e32 v9, 7, v7
	v_lshrrev_b32_e32 v43, 3, v44
	s_mov_b32 s16, exec_lo
	v_cmpx_gt_u32_e32 8, v44
; %bb.1695:                             ;   in Loop: Header=BB436_806 Depth=1
	s_delay_alu instid0(VALU_DEP_3) | instskip(NEXT) | instid1(VALU_DEP_1)
	v_clz_i32_u32_e32 v43, v9
	v_min_u32_e32 v43, 32, v43
	s_delay_alu instid0(VALU_DEP_1) | instskip(SKIP_1) | instid1(VALU_DEP_2)
	v_subrev_nc_u32_e32 v44, 28, v43
	v_sub_nc_u32_e32 v43, 29, v43
	v_lshlrev_b64 v[44:45], v44, v[9:10]
	s_delay_alu instid0(VALU_DEP_1)
	v_and_b32_e32 v9, 7, v44
; %bb.1696:                             ;   in Loop: Header=BB436_806 Depth=1
	s_or_b32 exec_lo, exec_lo, s16
	v_lshlrev_b32_e32 v7, 24, v7
	s_delay_alu instid0(VALU_DEP_2) | instskip(SKIP_1) | instid1(VALU_DEP_3)
	v_lshlrev_b32_e32 v9, 20, v9
	v_lshl_add_u32 v43, v43, 23, 0x3c000000
	v_and_b32_e32 v7, 0x80000000, v7
	s_delay_alu instid0(VALU_DEP_1)
	v_or3_b32 v9, v9, v7, v43
.LBB436_1697:                           ;   in Loop: Header=BB436_806 Depth=1
	s_or_b32 exec_lo, exec_lo, s15
.LBB436_1698:                           ;   in Loop: Header=BB436_806 Depth=1
	s_delay_alu instid0(SALU_CYCLE_1)
	s_or_b32 exec_lo, exec_lo, s13
.LBB436_1699:                           ;   in Loop: Header=BB436_806 Depth=1
	s_delay_alu instid0(SALU_CYCLE_1) | instskip(NEXT) | instid1(VALU_DEP_1)
	s_or_b32 exec_lo, exec_lo, s12
	v_mul_f32_e32 v9, v8, v9
	s_delay_alu instid0(VALU_DEP_1) | instskip(NEXT) | instid1(VALU_DEP_1)
	v_and_b32_e32 v7, 0x7f800000, v9
	v_cmp_ne_u32_e64 s0, 0x7f800000, v7
                                        ; implicit-def: $vgpr7
	s_delay_alu instid0(VALU_DEP_1) | instskip(NEXT) | instid1(SALU_CYCLE_1)
	s_and_saveexec_b32 s12, s0
	s_xor_b32 s0, exec_lo, s12
; %bb.1700:                             ;   in Loop: Header=BB436_806 Depth=1
	v_bfe_u32 v7, v9, 16, 1
	s_delay_alu instid0(VALU_DEP_1)
	v_add3_u32 v7, v9, v7, 0x7fff
                                        ; implicit-def: $vgpr9
; %bb.1701:                             ;   in Loop: Header=BB436_806 Depth=1
	s_and_not1_saveexec_b32 s12, s0
; %bb.1702:                             ;   in Loop: Header=BB436_806 Depth=1
	v_and_b32_e32 v7, 0xffff, v9
	v_or_b32_e32 v43, 0x10000, v9
	s_delay_alu instid0(VALU_DEP_2) | instskip(NEXT) | instid1(VALU_DEP_1)
	v_cmp_eq_u32_e64 s0, 0, v7
	v_cndmask_b32_e64 v7, v43, v9, s0
; %bb.1703:                             ;   in Loop: Header=BB436_806 Depth=1
	s_or_b32 exec_lo, exec_lo, s12
	v_mov_b32_e32 v9, 0
	s_mov_b32 s12, exec_lo
	v_cmpx_lt_u64_e64 s[8:9], v[2:3]
	s_cbranch_execz .LBB436_1711
; %bb.1704:                             ;   in Loop: Header=BB436_806 Depth=1
	v_lshrrev_b32_e32 v2, 24, v3
	v_bfrev_b32_e32 v9, 1
	s_mov_b32 s13, exec_lo
	s_delay_alu instid0(VALU_DEP_2)
	v_cmpx_ne_u32_e32 0x80, v2
	s_cbranch_execz .LBB436_1710
; %bb.1705:                             ;   in Loop: Header=BB436_806 Depth=1
	v_bfe_u32 v43, v3, 24, 7
	v_mov_b32_e32 v9, 0x7f800001
	s_mov_b32 s15, exec_lo
	s_delay_alu instid0(VALU_DEP_2)
	v_cmpx_ne_u32_e32 0x7f, v43
	s_cbranch_execz .LBB436_1709
; %bb.1706:                             ;   in Loop: Header=BB436_806 Depth=1
	v_and_b32_e32 v9, 7, v2
	v_lshrrev_b32_e32 v3, 3, v43
	s_mov_b32 s16, exec_lo
	v_cmpx_gt_u32_e32 8, v43
; %bb.1707:                             ;   in Loop: Header=BB436_806 Depth=1
	s_delay_alu instid0(VALU_DEP_3) | instskip(NEXT) | instid1(VALU_DEP_1)
	v_clz_i32_u32_e32 v3, v9
	v_min_u32_e32 v3, 32, v3
	s_delay_alu instid0(VALU_DEP_1) | instskip(SKIP_1) | instid1(VALU_DEP_2)
	v_subrev_nc_u32_e32 v43, 28, v3
	v_sub_nc_u32_e32 v3, 29, v3
	v_lshlrev_b64 v[43:44], v43, v[9:10]
	s_delay_alu instid0(VALU_DEP_1)
	v_and_b32_e32 v9, 7, v43
; %bb.1708:                             ;   in Loop: Header=BB436_806 Depth=1
	s_or_b32 exec_lo, exec_lo, s16
	v_lshlrev_b32_e32 v2, 24, v2
	s_delay_alu instid0(VALU_DEP_2) | instskip(SKIP_1) | instid1(VALU_DEP_3)
	v_lshlrev_b32_e32 v9, 20, v9
	v_lshl_add_u32 v3, v3, 23, 0x3c000000
	v_and_b32_e32 v2, 0x80000000, v2
	s_delay_alu instid0(VALU_DEP_1)
	v_or3_b32 v9, v9, v2, v3
.LBB436_1709:                           ;   in Loop: Header=BB436_806 Depth=1
	s_or_b32 exec_lo, exec_lo, s15
.LBB436_1710:                           ;   in Loop: Header=BB436_806 Depth=1
	s_delay_alu instid0(SALU_CYCLE_1)
	s_or_b32 exec_lo, exec_lo, s13
.LBB436_1711:                           ;   in Loop: Header=BB436_806 Depth=1
	s_delay_alu instid0(SALU_CYCLE_1) | instskip(NEXT) | instid1(VALU_DEP_1)
	s_or_b32 exec_lo, exec_lo, s12
	v_mul_f32_e32 v3, v8, v9
	s_delay_alu instid0(VALU_DEP_1) | instskip(NEXT) | instid1(VALU_DEP_1)
	v_and_b32_e32 v2, 0x7f800000, v3
	v_cmp_ne_u32_e64 s0, 0x7f800000, v2
                                        ; implicit-def: $vgpr2
	s_delay_alu instid0(VALU_DEP_1) | instskip(NEXT) | instid1(SALU_CYCLE_1)
	s_and_saveexec_b32 s12, s0
	s_xor_b32 s0, exec_lo, s12
; %bb.1712:                             ;   in Loop: Header=BB436_806 Depth=1
	v_bfe_u32 v2, v3, 16, 1
	s_delay_alu instid0(VALU_DEP_1)
	v_add3_u32 v2, v3, v2, 0x7fff
                                        ; implicit-def: $vgpr3
; %bb.1713:                             ;   in Loop: Header=BB436_806 Depth=1
	s_and_not1_saveexec_b32 s12, s0
; %bb.1714:                             ;   in Loop: Header=BB436_806 Depth=1
	v_and_b32_e32 v2, 0xffff, v3
	v_or_b32_e32 v9, 0x10000, v3
	s_delay_alu instid0(VALU_DEP_2) | instskip(NEXT) | instid1(VALU_DEP_1)
	v_cmp_eq_u32_e64 s0, 0, v2
	v_cndmask_b32_e64 v2, v9, v3, s0
; %bb.1715:                             ;   in Loop: Header=BB436_806 Depth=1
	s_or_b32 exec_lo, exec_lo, s12
	v_lshrrev_b32_e32 v9, 16, v6
	v_lshrrev_b32_e32 v42, 16, v42
	;; [unrolled: 1-line block ×8, first 2 shown]
	s_and_saveexec_b32 s12, vcc_lo
	s_cbranch_execz .LBB436_1717
; %bb.1716:                             ;   in Loop: Header=BB436_806 Depth=1
	v_cmp_lt_i32_e64 s0, v70, v38
	s_delay_alu instid0(VALU_DEP_1) | instskip(SKIP_1) | instid1(VALU_DEP_1)
	v_cndmask_b32_e64 v6, 0, v6, s0
	v_cmp_lt_i32_e64 s0, v85, v38
	v_cndmask_b32_e64 v183, 0, v183, s0
	v_cmp_lt_i32_e64 s0, v84, v38
	s_delay_alu instid0(VALU_DEP_1) | instskip(SKIP_1) | instid1(VALU_DEP_1)
	v_cndmask_b32_e64 v40, 0, v40, s0
	v_cmp_lt_i32_e64 s0, v83, v38
	v_cndmask_b32_e64 v41, 0, v41, s0
	;; [unrolled: 5-line block ×4, first 2 shown]
.LBB436_1717:                           ;   in Loop: Header=BB436_806 Depth=1
	s_or_b32 exec_lo, exec_lo, s12
	v_lshlrev_b32_e32 v6, 16, v6
	s_delay_alu instid0(VALU_DEP_1) | instskip(NEXT) | instid1(VALU_DEP_1)
	v_mul_f32_e32 v7, v86, v6
	v_and_b32_e32 v6, 0x7f800000, v7
	s_delay_alu instid0(VALU_DEP_1) | instskip(NEXT) | instid1(VALU_DEP_1)
	v_cmp_ne_u32_e64 s0, 0x7f800000, v6
                                        ; implicit-def: $vgpr6
	s_and_saveexec_b32 s12, s0
	s_delay_alu instid0(SALU_CYCLE_1)
	s_xor_b32 s0, exec_lo, s12
; %bb.1718:                             ;   in Loop: Header=BB436_806 Depth=1
	v_bfe_u32 v6, v7, 16, 1
	s_delay_alu instid0(VALU_DEP_1)
	v_add3_u32 v6, v7, v6, 0x7fff
                                        ; implicit-def: $vgpr7
; %bb.1719:                             ;   in Loop: Header=BB436_806 Depth=1
	s_and_not1_saveexec_b32 s12, s0
; %bb.1720:                             ;   in Loop: Header=BB436_806 Depth=1
	v_and_b32_e32 v6, 0xffff, v7
	v_or_b32_e32 v182, 0x10000, v7
	s_delay_alu instid0(VALU_DEP_2) | instskip(NEXT) | instid1(VALU_DEP_1)
	v_cmp_eq_u32_e64 s0, 0, v6
	v_cndmask_b32_e64 v6, v182, v7, s0
; %bb.1721:                             ;   in Loop: Header=BB436_806 Depth=1
	s_or_b32 exec_lo, exec_lo, s12
	v_lshlrev_b32_e32 v7, 16, v183
	s_delay_alu instid0(VALU_DEP_1) | instskip(NEXT) | instid1(VALU_DEP_1)
	v_mul_f32_e32 v182, v87, v7
	v_and_b32_e32 v7, 0x7f800000, v182
	s_delay_alu instid0(VALU_DEP_1) | instskip(NEXT) | instid1(VALU_DEP_1)
	v_cmp_ne_u32_e64 s0, 0x7f800000, v7
                                        ; implicit-def: $vgpr7
	s_and_saveexec_b32 s12, s0
	s_delay_alu instid0(SALU_CYCLE_1)
	s_xor_b32 s0, exec_lo, s12
; %bb.1722:                             ;   in Loop: Header=BB436_806 Depth=1
	v_bfe_u32 v7, v182, 16, 1
	s_delay_alu instid0(VALU_DEP_1)
	v_add3_u32 v7, v182, v7, 0x7fff
                                        ; implicit-def: $vgpr182
; %bb.1723:                             ;   in Loop: Header=BB436_806 Depth=1
	s_and_not1_saveexec_b32 s12, s0
; %bb.1724:                             ;   in Loop: Header=BB436_806 Depth=1
	v_and_b32_e32 v7, 0xffff, v182
	v_or_b32_e32 v183, 0x10000, v182
	s_delay_alu instid0(VALU_DEP_2) | instskip(NEXT) | instid1(VALU_DEP_1)
	v_cmp_eq_u32_e64 s0, 0, v7
	v_cndmask_b32_e64 v7, v183, v182, s0
; %bb.1725:                             ;   in Loop: Header=BB436_806 Depth=1
	s_or_b32 exec_lo, exec_lo, s12
	v_lshlrev_b32_e32 v182, 16, v40
	s_delay_alu instid0(VALU_DEP_1) | instskip(NEXT) | instid1(VALU_DEP_1)
	v_mul_f32_e32 v183, v96, v182
	v_and_b32_e32 v182, 0x7f800000, v183
	s_delay_alu instid0(VALU_DEP_1) | instskip(NEXT) | instid1(VALU_DEP_1)
	v_cmp_ne_u32_e64 s0, 0x7f800000, v182
                                        ; implicit-def: $vgpr182
	s_and_saveexec_b32 s12, s0
	s_delay_alu instid0(SALU_CYCLE_1)
	s_xor_b32 s0, exec_lo, s12
; %bb.1726:                             ;   in Loop: Header=BB436_806 Depth=1
	v_bfe_u32 v182, v183, 16, 1
	s_delay_alu instid0(VALU_DEP_1)
	v_add3_u32 v182, v183, v182, 0x7fff
                                        ; implicit-def: $vgpr183
; %bb.1727:                             ;   in Loop: Header=BB436_806 Depth=1
	s_and_not1_saveexec_b32 s12, s0
; %bb.1728:                             ;   in Loop: Header=BB436_806 Depth=1
	v_and_b32_e32 v182, 0xffff, v183
	v_or_b32_e32 v40, 0x10000, v183
	s_delay_alu instid0(VALU_DEP_2) | instskip(NEXT) | instid1(VALU_DEP_1)
	v_cmp_eq_u32_e64 s0, 0, v182
	v_cndmask_b32_e64 v182, v40, v183, s0
; %bb.1729:                             ;   in Loop: Header=BB436_806 Depth=1
	s_or_b32 exec_lo, exec_lo, s12
	v_lshlrev_b32_e32 v183, 16, v41
	s_delay_alu instid0(VALU_DEP_1) | instskip(NEXT) | instid1(VALU_DEP_1)
	v_mul_f32_e32 v40, v97, v183
	v_and_b32_e32 v183, 0x7f800000, v40
	s_delay_alu instid0(VALU_DEP_1) | instskip(NEXT) | instid1(VALU_DEP_1)
	v_cmp_ne_u32_e64 s0, 0x7f800000, v183
                                        ; implicit-def: $vgpr183
	s_and_saveexec_b32 s12, s0
	s_delay_alu instid0(SALU_CYCLE_1)
	s_xor_b32 s0, exec_lo, s12
; %bb.1730:                             ;   in Loop: Header=BB436_806 Depth=1
	v_bfe_u32 v183, v40, 16, 1
	s_delay_alu instid0(VALU_DEP_1)
	v_add3_u32 v183, v40, v183, 0x7fff
                                        ; implicit-def: $vgpr40
; %bb.1731:                             ;   in Loop: Header=BB436_806 Depth=1
	s_and_not1_saveexec_b32 s12, s0
; %bb.1732:                             ;   in Loop: Header=BB436_806 Depth=1
	v_and_b32_e32 v183, 0xffff, v40
	v_or_b32_e32 v41, 0x10000, v40
	s_delay_alu instid0(VALU_DEP_2) | instskip(NEXT) | instid1(VALU_DEP_1)
	v_cmp_eq_u32_e64 s0, 0, v183
	v_cndmask_b32_e64 v183, v41, v40, s0
; %bb.1733:                             ;   in Loop: Header=BB436_806 Depth=1
	s_or_b32 exec_lo, exec_lo, s12
	v_lshlrev_b32_e32 v40, 16, v42
	s_delay_alu instid0(VALU_DEP_1) | instskip(NEXT) | instid1(VALU_DEP_1)
	v_mul_f32_e32 v41, v98, v40
	v_and_b32_e32 v40, 0x7f800000, v41
	s_delay_alu instid0(VALU_DEP_1) | instskip(NEXT) | instid1(VALU_DEP_1)
	v_cmp_ne_u32_e64 s0, 0x7f800000, v40
                                        ; implicit-def: $vgpr40
	s_and_saveexec_b32 s12, s0
	s_delay_alu instid0(SALU_CYCLE_1)
	s_xor_b32 s0, exec_lo, s12
; %bb.1734:                             ;   in Loop: Header=BB436_806 Depth=1
	v_bfe_u32 v40, v41, 16, 1
	s_delay_alu instid0(VALU_DEP_1)
	v_add3_u32 v40, v41, v40, 0x7fff
                                        ; implicit-def: $vgpr41
; %bb.1735:                             ;   in Loop: Header=BB436_806 Depth=1
	s_and_not1_saveexec_b32 s12, s0
; %bb.1736:                             ;   in Loop: Header=BB436_806 Depth=1
	v_and_b32_e32 v40, 0xffff, v41
	v_or_b32_e32 v42, 0x10000, v41
	s_delay_alu instid0(VALU_DEP_2) | instskip(NEXT) | instid1(VALU_DEP_1)
	v_cmp_eq_u32_e64 s0, 0, v40
	v_cndmask_b32_e64 v40, v42, v41, s0
; %bb.1737:                             ;   in Loop: Header=BB436_806 Depth=1
	s_or_b32 exec_lo, exec_lo, s12
	v_lshlrev_b32_e32 v9, 16, v9
	s_delay_alu instid0(VALU_DEP_1) | instskip(NEXT) | instid1(VALU_DEP_1)
	v_mul_f32_e32 v9, v99, v9
	v_and_b32_e32 v41, 0x7f800000, v9
	s_delay_alu instid0(VALU_DEP_1) | instskip(NEXT) | instid1(VALU_DEP_1)
	v_cmp_ne_u32_e64 s0, 0x7f800000, v41
                                        ; implicit-def: $vgpr41
	s_and_saveexec_b32 s12, s0
	s_delay_alu instid0(SALU_CYCLE_1)
	s_xor_b32 s0, exec_lo, s12
; %bb.1738:                             ;   in Loop: Header=BB436_806 Depth=1
	v_bfe_u32 v41, v9, 16, 1
	s_delay_alu instid0(VALU_DEP_1)
	v_add3_u32 v41, v9, v41, 0x7fff
                                        ; implicit-def: $vgpr9
; %bb.1739:                             ;   in Loop: Header=BB436_806 Depth=1
	s_and_not1_saveexec_b32 s12, s0
; %bb.1740:                             ;   in Loop: Header=BB436_806 Depth=1
	v_and_b32_e32 v41, 0xffff, v9
	v_or_b32_e32 v42, 0x10000, v9
	s_delay_alu instid0(VALU_DEP_2) | instskip(NEXT) | instid1(VALU_DEP_1)
	v_cmp_eq_u32_e64 s0, 0, v41
	v_cndmask_b32_e64 v41, v42, v9, s0
; %bb.1741:                             ;   in Loop: Header=BB436_806 Depth=1
	s_or_b32 exec_lo, exec_lo, s12
	v_lshlrev_b32_e32 v3, 16, v3
                                        ; implicit-def: $vgpr42
	s_delay_alu instid0(VALU_DEP_1) | instskip(NEXT) | instid1(VALU_DEP_1)
	v_mul_f32_e32 v3, v100, v3
	v_and_b32_e32 v9, 0x7f800000, v3
	s_delay_alu instid0(VALU_DEP_1) | instskip(NEXT) | instid1(VALU_DEP_1)
	v_cmp_ne_u32_e64 s0, 0x7f800000, v9
	s_and_saveexec_b32 s12, s0
	s_delay_alu instid0(SALU_CYCLE_1)
	s_xor_b32 s0, exec_lo, s12
; %bb.1742:                             ;   in Loop: Header=BB436_806 Depth=1
	v_bfe_u32 v9, v3, 16, 1
	s_delay_alu instid0(VALU_DEP_1)
	v_add3_u32 v42, v3, v9, 0x7fff
                                        ; implicit-def: $vgpr3
; %bb.1743:                             ;   in Loop: Header=BB436_806 Depth=1
	s_and_not1_saveexec_b32 s12, s0
; %bb.1744:                             ;   in Loop: Header=BB436_806 Depth=1
	v_and_b32_e32 v9, 0xffff, v3
	v_or_b32_e32 v42, 0x10000, v3
	s_delay_alu instid0(VALU_DEP_2) | instskip(NEXT) | instid1(VALU_DEP_1)
	v_cmp_eq_u32_e64 s0, 0, v9
	v_cndmask_b32_e64 v42, v42, v3, s0
; %bb.1745:                             ;   in Loop: Header=BB436_806 Depth=1
	s_or_b32 exec_lo, exec_lo, s12
	v_lshlrev_b32_e32 v2, 16, v2
                                        ; implicit-def: $vgpr43
	s_delay_alu instid0(VALU_DEP_1) | instskip(NEXT) | instid1(VALU_DEP_1)
	v_mul_f32_e32 v2, v101, v2
	v_and_b32_e32 v3, 0x7f800000, v2
	s_delay_alu instid0(VALU_DEP_1) | instskip(NEXT) | instid1(VALU_DEP_1)
	v_cmp_ne_u32_e64 s0, 0x7f800000, v3
	s_and_saveexec_b32 s12, s0
	s_delay_alu instid0(SALU_CYCLE_1)
	s_xor_b32 s0, exec_lo, s12
; %bb.1746:                             ;   in Loop: Header=BB436_806 Depth=1
	v_bfe_u32 v3, v2, 16, 1
	s_delay_alu instid0(VALU_DEP_1)
	v_add3_u32 v43, v2, v3, 0x7fff
                                        ; implicit-def: $vgpr2
; %bb.1747:                             ;   in Loop: Header=BB436_806 Depth=1
	s_and_not1_saveexec_b32 s12, s0
; %bb.1748:                             ;   in Loop: Header=BB436_806 Depth=1
	v_and_b32_e32 v3, 0xffff, v2
	v_or_b32_e32 v9, 0x10000, v2
	s_delay_alu instid0(VALU_DEP_2) | instskip(NEXT) | instid1(VALU_DEP_1)
	v_cmp_eq_u32_e64 s0, 0, v3
	v_cndmask_b32_e64 v43, v9, v2, s0
; %bb.1749:                             ;   in Loop: Header=BB436_806 Depth=1
	s_or_b32 exec_lo, exec_lo, s12
	flat_load_b64 v[0:1], v[0:1] offset:1792
	s_mov_b32 s12, exec_lo
	s_waitcnt vmcnt(0) lgkmcnt(0)
	v_dual_mov_b32 v2, 0 :: v_dual_and_b32 v3, 0xff, v0
	s_delay_alu instid0(VALU_DEP_1)
	v_cmpx_ne_u16_e32 0, v3
	s_cbranch_execz .LBB436_1757
; %bb.1750:                             ;   in Loop: Header=BB436_806 Depth=1
	v_bfrev_b32_e32 v2, 1
	s_mov_b32 s13, exec_lo
	v_cmpx_ne_u16_e32 0x80, v3
	s_cbranch_execz .LBB436_1756
; %bb.1751:                             ;   in Loop: Header=BB436_806 Depth=1
	v_and_b32_e32 v3, 0x7f, v0
	v_mov_b32_e32 v2, 0x7f800001
	s_mov_b32 s15, exec_lo
	s_delay_alu instid0(VALU_DEP_2)
	v_cmpx_ne_u32_e32 0x7f, v3
	s_cbranch_execz .LBB436_1755
; %bb.1752:                             ;   in Loop: Header=BB436_806 Depth=1
	v_lshrrev_b32_e32 v9, 3, v3
	v_cmp_gt_u32_e64 s0, 8, v3
	v_dual_mov_b32 v3, v1 :: v_dual_mov_b32 v2, v0
	s_delay_alu instid0(VALU_DEP_2)
	s_and_saveexec_b32 s16, s0
; %bb.1753:                             ;   in Loop: Header=BB436_806 Depth=1
	v_and_b32_e32 v2, 7, v0
	s_delay_alu instid0(VALU_DEP_1) | instskip(NEXT) | instid1(VALU_DEP_1)
	v_clz_i32_u32_e32 v2, v2
	v_min_u32_e32 v9, 32, v2
	s_delay_alu instid0(VALU_DEP_1) | instskip(SKIP_1) | instid1(VALU_DEP_2)
	v_subrev_nc_u32_e32 v2, 28, v9
	v_sub_nc_u32_e32 v9, 29, v9
	v_lshlrev_b64 v[2:3], v2, v[0:1]
; %bb.1754:                             ;   in Loop: Header=BB436_806 Depth=1
	s_or_b32 exec_lo, exec_lo, s16
	s_delay_alu instid0(VALU_DEP_1) | instskip(SKIP_2) | instid1(VALU_DEP_3)
	v_lshlrev_b32_e32 v2, 20, v2
	v_lshlrev_b32_e32 v3, 24, v0
	v_lshl_add_u32 v9, v9, 23, 0x3c000000
	v_and_b32_e32 v2, 0x700000, v2
	s_delay_alu instid0(VALU_DEP_3) | instskip(NEXT) | instid1(VALU_DEP_1)
	v_and_b32_e32 v3, 0x80000000, v3
	v_or3_b32 v2, v2, v3, v9
.LBB436_1755:                           ;   in Loop: Header=BB436_806 Depth=1
	s_or_b32 exec_lo, exec_lo, s15
.LBB436_1756:                           ;   in Loop: Header=BB436_806 Depth=1
	s_delay_alu instid0(SALU_CYCLE_1)
	s_or_b32 exec_lo, exec_lo, s13
.LBB436_1757:                           ;   in Loop: Header=BB436_806 Depth=1
	s_delay_alu instid0(SALU_CYCLE_1) | instskip(NEXT) | instid1(VALU_DEP_1)
	s_or_b32 exec_lo, exec_lo, s12
	v_mul_f32_e32 v2, v8, v2
                                        ; implicit-def: $vgpr44
	s_delay_alu instid0(VALU_DEP_1) | instskip(NEXT) | instid1(VALU_DEP_1)
	v_and_b32_e32 v3, 0x7f800000, v2
	v_cmp_ne_u32_e64 s0, 0x7f800000, v3
	s_delay_alu instid0(VALU_DEP_1) | instskip(NEXT) | instid1(SALU_CYCLE_1)
	s_and_saveexec_b32 s12, s0
	s_xor_b32 s0, exec_lo, s12
; %bb.1758:                             ;   in Loop: Header=BB436_806 Depth=1
	v_bfe_u32 v3, v2, 16, 1
	s_delay_alu instid0(VALU_DEP_1)
	v_add3_u32 v44, v2, v3, 0x7fff
                                        ; implicit-def: $vgpr2
; %bb.1759:                             ;   in Loop: Header=BB436_806 Depth=1
	s_and_not1_saveexec_b32 s12, s0
; %bb.1760:                             ;   in Loop: Header=BB436_806 Depth=1
	v_and_b32_e32 v3, 0xffff, v2
	v_or_b32_e32 v9, 0x10000, v2
	s_delay_alu instid0(VALU_DEP_2) | instskip(NEXT) | instid1(VALU_DEP_1)
	v_cmp_eq_u32_e64 s0, 0, v3
	v_cndmask_b32_e64 v44, v9, v2, s0
; %bb.1761:                             ;   in Loop: Header=BB436_806 Depth=1
	s_or_b32 exec_lo, exec_lo, s12
	v_lshrrev_b16 v3, 8, v0
	v_mov_b32_e32 v2, 0
	s_mov_b32 s12, exec_lo
	s_delay_alu instid0(VALU_DEP_2)
	v_cmpx_ne_u16_e32 0, v3
	s_cbranch_execz .LBB436_1769
; %bb.1762:                             ;   in Loop: Header=BB436_806 Depth=1
	v_bfrev_b32_e32 v2, 1
	s_mov_b32 s13, exec_lo
	v_cmpx_ne_u16_e32 0x80, v3
	s_cbranch_execz .LBB436_1768
; %bb.1763:                             ;   in Loop: Header=BB436_806 Depth=1
	v_and_b32_e32 v9, 0xffff, v3
	v_mov_b32_e32 v2, 0x7f800001
	s_mov_b32 s15, exec_lo
	s_delay_alu instid0(VALU_DEP_2) | instskip(NEXT) | instid1(VALU_DEP_1)
	v_and_b32_e32 v3, 0x7f, v9
	v_cmpx_ne_u32_e32 0x7f, v3
	s_cbranch_execz .LBB436_1767
; %bb.1764:                             ;   in Loop: Header=BB436_806 Depth=1
	v_and_b32_e32 v9, 7, v9
	v_lshrrev_b32_e32 v2, 3, v3
	s_mov_b32 s16, exec_lo
	v_cmpx_gt_u32_e32 8, v3
; %bb.1765:                             ;   in Loop: Header=BB436_806 Depth=1
	s_delay_alu instid0(VALU_DEP_3) | instskip(NEXT) | instid1(VALU_DEP_1)
	v_clz_i32_u32_e32 v2, v9
	v_min_u32_e32 v2, 32, v2
	s_delay_alu instid0(VALU_DEP_1) | instskip(SKIP_1) | instid1(VALU_DEP_2)
	v_subrev_nc_u32_e32 v3, 28, v2
	v_sub_nc_u32_e32 v2, 29, v2
	v_lshlrev_b64 v[45:46], v3, v[9:10]
	s_delay_alu instid0(VALU_DEP_1)
	v_and_b32_e32 v9, 7, v45
; %bb.1766:                             ;   in Loop: Header=BB436_806 Depth=1
	s_or_b32 exec_lo, exec_lo, s16
	v_lshlrev_b32_e32 v3, 16, v0
	s_delay_alu instid0(VALU_DEP_2) | instskip(SKIP_1) | instid1(VALU_DEP_3)
	v_lshlrev_b32_e32 v9, 20, v9
	v_lshl_add_u32 v2, v2, 23, 0x3c000000
	v_and_b32_e32 v3, 0x80000000, v3
	s_delay_alu instid0(VALU_DEP_1)
	v_or3_b32 v2, v9, v3, v2
.LBB436_1767:                           ;   in Loop: Header=BB436_806 Depth=1
	s_or_b32 exec_lo, exec_lo, s15
.LBB436_1768:                           ;   in Loop: Header=BB436_806 Depth=1
	s_delay_alu instid0(SALU_CYCLE_1)
	s_or_b32 exec_lo, exec_lo, s13
.LBB436_1769:                           ;   in Loop: Header=BB436_806 Depth=1
	s_delay_alu instid0(SALU_CYCLE_1) | instskip(NEXT) | instid1(VALU_DEP_1)
	s_or_b32 exec_lo, exec_lo, s12
	v_mul_f32_e32 v2, v8, v2
                                        ; implicit-def: $vgpr45
	s_delay_alu instid0(VALU_DEP_1) | instskip(NEXT) | instid1(VALU_DEP_1)
	v_and_b32_e32 v3, 0x7f800000, v2
	v_cmp_ne_u32_e64 s0, 0x7f800000, v3
	s_delay_alu instid0(VALU_DEP_1) | instskip(NEXT) | instid1(SALU_CYCLE_1)
	s_and_saveexec_b32 s12, s0
	s_xor_b32 s0, exec_lo, s12
; %bb.1770:                             ;   in Loop: Header=BB436_806 Depth=1
	v_bfe_u32 v3, v2, 16, 1
	s_delay_alu instid0(VALU_DEP_1)
	v_add3_u32 v45, v2, v3, 0x7fff
                                        ; implicit-def: $vgpr2
; %bb.1771:                             ;   in Loop: Header=BB436_806 Depth=1
	s_and_not1_saveexec_b32 s12, s0
; %bb.1772:                             ;   in Loop: Header=BB436_806 Depth=1
	v_and_b32_e32 v3, 0xffff, v2
	v_or_b32_e32 v9, 0x10000, v2
	s_delay_alu instid0(VALU_DEP_2) | instskip(NEXT) | instid1(VALU_DEP_1)
	v_cmp_eq_u32_e64 s0, 0, v3
	v_cndmask_b32_e64 v45, v9, v2, s0
; %bb.1773:                             ;   in Loop: Header=BB436_806 Depth=1
	s_or_b32 exec_lo, exec_lo, s12
	v_lshrrev_b32_e32 v2, 16, v0
	v_mov_b32_e32 v3, 0
	s_mov_b32 s12, exec_lo
	s_delay_alu instid0(VALU_DEP_2) | instskip(NEXT) | instid1(VALU_DEP_1)
	v_and_b32_e32 v9, 0xff, v2
	v_cmpx_ne_u16_e32 0, v9
	s_cbranch_execz .LBB436_1781
; %bb.1774:                             ;   in Loop: Header=BB436_806 Depth=1
	v_bfrev_b32_e32 v3, 1
	s_mov_b32 s13, exec_lo
	v_cmpx_ne_u16_e32 0x80, v9
	s_cbranch_execz .LBB436_1780
; %bb.1775:                             ;   in Loop: Header=BB436_806 Depth=1
	v_bfe_u32 v46, v0, 16, 7
	v_mov_b32_e32 v3, 0x7f800001
	s_mov_b32 s15, exec_lo
	s_delay_alu instid0(VALU_DEP_2)
	v_cmpx_ne_u32_e32 0x7f, v46
	s_cbranch_execz .LBB436_1779
; %bb.1776:                             ;   in Loop: Header=BB436_806 Depth=1
	v_and_b32_e32 v9, 7, v2
	v_lshrrev_b32_e32 v3, 3, v46
	s_mov_b32 s16, exec_lo
	v_cmpx_gt_u32_e32 8, v46
; %bb.1777:                             ;   in Loop: Header=BB436_806 Depth=1
	s_delay_alu instid0(VALU_DEP_3) | instskip(NEXT) | instid1(VALU_DEP_1)
	v_clz_i32_u32_e32 v3, v9
	v_min_u32_e32 v3, 32, v3
	s_delay_alu instid0(VALU_DEP_1) | instskip(SKIP_1) | instid1(VALU_DEP_2)
	v_subrev_nc_u32_e32 v46, 28, v3
	v_sub_nc_u32_e32 v3, 29, v3
	v_lshlrev_b64 v[46:47], v46, v[9:10]
	s_delay_alu instid0(VALU_DEP_1)
	v_and_b32_e32 v9, 7, v46
; %bb.1778:                             ;   in Loop: Header=BB436_806 Depth=1
	s_or_b32 exec_lo, exec_lo, s16
	v_lshlrev_b32_e32 v2, 24, v2
	s_delay_alu instid0(VALU_DEP_2) | instskip(SKIP_1) | instid1(VALU_DEP_3)
	v_lshlrev_b32_e32 v9, 20, v9
	v_lshl_add_u32 v3, v3, 23, 0x3c000000
	v_and_b32_e32 v2, 0x80000000, v2
	s_delay_alu instid0(VALU_DEP_1)
	v_or3_b32 v3, v9, v2, v3
.LBB436_1779:                           ;   in Loop: Header=BB436_806 Depth=1
	s_or_b32 exec_lo, exec_lo, s15
.LBB436_1780:                           ;   in Loop: Header=BB436_806 Depth=1
	s_delay_alu instid0(SALU_CYCLE_1)
	s_or_b32 exec_lo, exec_lo, s13
.LBB436_1781:                           ;   in Loop: Header=BB436_806 Depth=1
	s_delay_alu instid0(SALU_CYCLE_1) | instskip(NEXT) | instid1(VALU_DEP_1)
	s_or_b32 exec_lo, exec_lo, s12
	v_mul_f32_e32 v2, v8, v3
                                        ; implicit-def: $vgpr46
	s_delay_alu instid0(VALU_DEP_1) | instskip(NEXT) | instid1(VALU_DEP_1)
	v_and_b32_e32 v3, 0x7f800000, v2
	v_cmp_ne_u32_e64 s0, 0x7f800000, v3
	s_delay_alu instid0(VALU_DEP_1) | instskip(NEXT) | instid1(SALU_CYCLE_1)
	s_and_saveexec_b32 s12, s0
	s_xor_b32 s0, exec_lo, s12
; %bb.1782:                             ;   in Loop: Header=BB436_806 Depth=1
	v_bfe_u32 v3, v2, 16, 1
	s_delay_alu instid0(VALU_DEP_1)
	v_add3_u32 v46, v2, v3, 0x7fff
                                        ; implicit-def: $vgpr2
; %bb.1783:                             ;   in Loop: Header=BB436_806 Depth=1
	s_and_not1_saveexec_b32 s12, s0
; %bb.1784:                             ;   in Loop: Header=BB436_806 Depth=1
	v_and_b32_e32 v3, 0xffff, v2
	v_or_b32_e32 v9, 0x10000, v2
	s_delay_alu instid0(VALU_DEP_2) | instskip(NEXT) | instid1(VALU_DEP_1)
	v_cmp_eq_u32_e64 s0, 0, v3
	v_cndmask_b32_e64 v46, v9, v2, s0
; %bb.1785:                             ;   in Loop: Header=BB436_806 Depth=1
	s_or_b32 exec_lo, exec_lo, s12
	v_mov_b32_e32 v3, 0
	s_mov_b32 s12, exec_lo
	v_cmpx_lt_u32_e32 0xffffff, v0
	s_cbranch_execz .LBB436_1793
; %bb.1786:                             ;   in Loop: Header=BB436_806 Depth=1
	v_lshrrev_b32_e32 v2, 24, v0
	v_bfrev_b32_e32 v3, 1
	s_mov_b32 s13, exec_lo
	s_delay_alu instid0(VALU_DEP_2)
	v_cmpx_ne_u32_e32 0x80, v2
	s_cbranch_execz .LBB436_1792
; %bb.1787:                             ;   in Loop: Header=BB436_806 Depth=1
	v_bfe_u32 v47, v0, 24, 7
	v_mov_b32_e32 v3, 0x7f800001
	s_mov_b32 s15, exec_lo
	s_delay_alu instid0(VALU_DEP_2)
	v_cmpx_ne_u32_e32 0x7f, v47
	s_cbranch_execz .LBB436_1791
; %bb.1788:                             ;   in Loop: Header=BB436_806 Depth=1
	v_and_b32_e32 v9, 7, v2
	v_lshrrev_b32_e32 v3, 3, v47
	s_mov_b32 s16, exec_lo
	v_cmpx_gt_u32_e32 8, v47
; %bb.1789:                             ;   in Loop: Header=BB436_806 Depth=1
	s_delay_alu instid0(VALU_DEP_3) | instskip(NEXT) | instid1(VALU_DEP_1)
	v_clz_i32_u32_e32 v3, v9
	v_min_u32_e32 v3, 32, v3
	s_delay_alu instid0(VALU_DEP_1) | instskip(SKIP_1) | instid1(VALU_DEP_2)
	v_subrev_nc_u32_e32 v47, 28, v3
	v_sub_nc_u32_e32 v3, 29, v3
	v_lshlrev_b64 v[56:57], v47, v[9:10]
	s_delay_alu instid0(VALU_DEP_1)
	v_and_b32_e32 v9, 7, v56
; %bb.1790:                             ;   in Loop: Header=BB436_806 Depth=1
	s_or_b32 exec_lo, exec_lo, s16
	v_lshlrev_b32_e32 v2, 24, v2
	s_delay_alu instid0(VALU_DEP_2) | instskip(SKIP_1) | instid1(VALU_DEP_3)
	v_lshlrev_b32_e32 v9, 20, v9
	v_lshl_add_u32 v3, v3, 23, 0x3c000000
	v_and_b32_e32 v2, 0x80000000, v2
	s_delay_alu instid0(VALU_DEP_1)
	v_or3_b32 v3, v9, v2, v3
.LBB436_1791:                           ;   in Loop: Header=BB436_806 Depth=1
	s_or_b32 exec_lo, exec_lo, s15
.LBB436_1792:                           ;   in Loop: Header=BB436_806 Depth=1
	s_delay_alu instid0(SALU_CYCLE_1)
	s_or_b32 exec_lo, exec_lo, s13
.LBB436_1793:                           ;   in Loop: Header=BB436_806 Depth=1
	s_delay_alu instid0(SALU_CYCLE_1) | instskip(NEXT) | instid1(VALU_DEP_1)
	s_or_b32 exec_lo, exec_lo, s12
	v_mul_f32_e32 v2, v8, v3
                                        ; implicit-def: $vgpr47
	s_delay_alu instid0(VALU_DEP_1) | instskip(NEXT) | instid1(VALU_DEP_1)
	v_and_b32_e32 v3, 0x7f800000, v2
	v_cmp_ne_u32_e64 s0, 0x7f800000, v3
	s_delay_alu instid0(VALU_DEP_1) | instskip(NEXT) | instid1(SALU_CYCLE_1)
	s_and_saveexec_b32 s12, s0
	s_xor_b32 s0, exec_lo, s12
; %bb.1794:                             ;   in Loop: Header=BB436_806 Depth=1
	v_bfe_u32 v3, v2, 16, 1
	s_delay_alu instid0(VALU_DEP_1)
	v_add3_u32 v47, v2, v3, 0x7fff
                                        ; implicit-def: $vgpr2
; %bb.1795:                             ;   in Loop: Header=BB436_806 Depth=1
	s_and_not1_saveexec_b32 s12, s0
; %bb.1796:                             ;   in Loop: Header=BB436_806 Depth=1
	v_and_b32_e32 v3, 0xffff, v2
	v_or_b32_e32 v9, 0x10000, v2
	s_delay_alu instid0(VALU_DEP_2) | instskip(NEXT) | instid1(VALU_DEP_1)
	v_cmp_eq_u32_e64 s0, 0, v3
	v_cndmask_b32_e64 v47, v9, v2, s0
; %bb.1797:                             ;   in Loop: Header=BB436_806 Depth=1
	s_or_b32 exec_lo, exec_lo, s12
	v_dual_mov_b32 v2, 0 :: v_dual_and_b32 v3, 0xff, v1
	v_mov_b32_e32 v9, v1
	s_mov_b32 s12, exec_lo
	s_delay_alu instid0(VALU_DEP_2)
	v_cmpx_ne_u16_e32 0, v3
	s_cbranch_execz .LBB436_1805
; %bb.1798:                             ;   in Loop: Header=BB436_806 Depth=1
	v_bfrev_b32_e32 v2, 1
	s_mov_b32 s13, exec_lo
	v_cmpx_ne_u16_e32 0x80, v3
	s_cbranch_execz .LBB436_1804
; %bb.1799:                             ;   in Loop: Header=BB436_806 Depth=1
	v_and_b32_e32 v3, 0x7f, v1
	v_mov_b32_e32 v2, 0x7f800001
	s_mov_b32 s15, exec_lo
	s_delay_alu instid0(VALU_DEP_2)
	v_cmpx_ne_u32_e32 0x7f, v3
	s_cbranch_execz .LBB436_1803
; %bb.1800:                             ;   in Loop: Header=BB436_806 Depth=1
	v_lshrrev_b32_e32 v56, 3, v3
	v_cmp_gt_u32_e64 s0, 8, v3
	v_dual_mov_b32 v2, v9 :: v_dual_mov_b32 v3, v10
	s_delay_alu instid0(VALU_DEP_2)
	s_and_saveexec_b32 s16, s0
; %bb.1801:                             ;   in Loop: Header=BB436_806 Depth=1
	v_and_b32_e32 v2, 7, v1
	s_delay_alu instid0(VALU_DEP_1) | instskip(NEXT) | instid1(VALU_DEP_1)
	v_clz_i32_u32_e32 v2, v2
	v_min_u32_e32 v56, 32, v2
	s_delay_alu instid0(VALU_DEP_1) | instskip(SKIP_1) | instid1(VALU_DEP_2)
	v_subrev_nc_u32_e32 v2, 28, v56
	v_sub_nc_u32_e32 v56, 29, v56
	v_lshlrev_b64 v[2:3], v2, v[9:10]
; %bb.1802:                             ;   in Loop: Header=BB436_806 Depth=1
	s_or_b32 exec_lo, exec_lo, s16
	s_delay_alu instid0(VALU_DEP_1) | instskip(SKIP_2) | instid1(VALU_DEP_3)
	v_lshlrev_b32_e32 v2, 20, v2
	v_lshlrev_b32_e32 v3, 24, v9
	v_lshl_add_u32 v56, v56, 23, 0x3c000000
	v_and_b32_e32 v2, 0x700000, v2
	s_delay_alu instid0(VALU_DEP_3) | instskip(NEXT) | instid1(VALU_DEP_1)
	v_and_b32_e32 v3, 0x80000000, v3
	v_or3_b32 v2, v2, v3, v56
.LBB436_1803:                           ;   in Loop: Header=BB436_806 Depth=1
	s_or_b32 exec_lo, exec_lo, s15
.LBB436_1804:                           ;   in Loop: Header=BB436_806 Depth=1
	s_delay_alu instid0(SALU_CYCLE_1)
	s_or_b32 exec_lo, exec_lo, s13
.LBB436_1805:                           ;   in Loop: Header=BB436_806 Depth=1
	s_delay_alu instid0(SALU_CYCLE_1) | instskip(NEXT) | instid1(VALU_DEP_1)
	s_or_b32 exec_lo, exec_lo, s12
	v_mul_f32_e32 v2, v8, v2
                                        ; implicit-def: $vgpr56
	s_delay_alu instid0(VALU_DEP_1) | instskip(NEXT) | instid1(VALU_DEP_1)
	v_and_b32_e32 v3, 0x7f800000, v2
	v_cmp_ne_u32_e64 s0, 0x7f800000, v3
	s_delay_alu instid0(VALU_DEP_1) | instskip(NEXT) | instid1(SALU_CYCLE_1)
	s_and_saveexec_b32 s12, s0
	s_xor_b32 s0, exec_lo, s12
; %bb.1806:                             ;   in Loop: Header=BB436_806 Depth=1
	v_bfe_u32 v3, v2, 16, 1
	s_delay_alu instid0(VALU_DEP_1)
	v_add3_u32 v56, v2, v3, 0x7fff
                                        ; implicit-def: $vgpr2
; %bb.1807:                             ;   in Loop: Header=BB436_806 Depth=1
	s_and_not1_saveexec_b32 s12, s0
; %bb.1808:                             ;   in Loop: Header=BB436_806 Depth=1
	v_and_b32_e32 v3, 0xffff, v2
	v_or_b32_e32 v56, 0x10000, v2
	s_delay_alu instid0(VALU_DEP_2) | instskip(NEXT) | instid1(VALU_DEP_1)
	v_cmp_eq_u32_e64 s0, 0, v3
	v_cndmask_b32_e64 v56, v56, v2, s0
; %bb.1809:                             ;   in Loop: Header=BB436_806 Depth=1
	s_or_b32 exec_lo, exec_lo, s12
	v_lshrrev_b16 v3, 8, v9
	v_mov_b32_e32 v2, 0
	s_mov_b32 s12, exec_lo
	s_delay_alu instid0(VALU_DEP_2)
	v_cmpx_ne_u16_e32 0, v3
	s_cbranch_execz .LBB436_1817
; %bb.1810:                             ;   in Loop: Header=BB436_806 Depth=1
	v_bfrev_b32_e32 v2, 1
	s_mov_b32 s13, exec_lo
	v_cmpx_ne_u16_e32 0x80, v3
	s_cbranch_execz .LBB436_1816
; %bb.1811:                             ;   in Loop: Header=BB436_806 Depth=1
	v_and_b32_e32 v3, 0xffff, v3
	v_mov_b32_e32 v2, 0x7f800001
	s_mov_b32 s15, exec_lo
	s_delay_alu instid0(VALU_DEP_2) | instskip(NEXT) | instid1(VALU_DEP_1)
	v_and_b32_e32 v58, 0x7f, v3
	v_cmpx_ne_u32_e32 0x7f, v58
	s_cbranch_execz .LBB436_1815
; %bb.1812:                             ;   in Loop: Header=BB436_806 Depth=1
	v_dual_mov_b32 v3, v10 :: v_dual_and_b32 v2, 7, v3
	v_lshrrev_b32_e32 v57, 3, v58
	s_mov_b32 s16, exec_lo
	v_cmpx_gt_u32_e32 8, v58
; %bb.1813:                             ;   in Loop: Header=BB436_806 Depth=1
	s_delay_alu instid0(VALU_DEP_3) | instskip(NEXT) | instid1(VALU_DEP_1)
	v_clz_i32_u32_e32 v57, v2
	v_min_u32_e32 v57, 32, v57
	s_delay_alu instid0(VALU_DEP_1) | instskip(SKIP_1) | instid1(VALU_DEP_2)
	v_subrev_nc_u32_e32 v58, 28, v57
	v_sub_nc_u32_e32 v57, 29, v57
	v_lshlrev_b64 v[2:3], v58, v[2:3]
	s_delay_alu instid0(VALU_DEP_1)
	v_and_b32_e32 v2, 7, v2
; %bb.1814:                             ;   in Loop: Header=BB436_806 Depth=1
	s_or_b32 exec_lo, exec_lo, s16
	v_lshlrev_b32_e32 v3, 16, v9
	s_delay_alu instid0(VALU_DEP_2) | instskip(SKIP_1) | instid1(VALU_DEP_3)
	v_lshlrev_b32_e32 v2, 20, v2
	v_lshl_add_u32 v9, v57, 23, 0x3c000000
	v_and_b32_e32 v3, 0x80000000, v3
	s_delay_alu instid0(VALU_DEP_1)
	v_or3_b32 v2, v2, v3, v9
.LBB436_1815:                           ;   in Loop: Header=BB436_806 Depth=1
	s_or_b32 exec_lo, exec_lo, s15
.LBB436_1816:                           ;   in Loop: Header=BB436_806 Depth=1
	s_delay_alu instid0(SALU_CYCLE_1)
	s_or_b32 exec_lo, exec_lo, s13
.LBB436_1817:                           ;   in Loop: Header=BB436_806 Depth=1
	s_delay_alu instid0(SALU_CYCLE_1) | instskip(NEXT) | instid1(VALU_DEP_1)
	s_or_b32 exec_lo, exec_lo, s12
	v_mul_f32_e32 v3, v8, v2
	s_delay_alu instid0(VALU_DEP_1) | instskip(NEXT) | instid1(VALU_DEP_1)
	v_and_b32_e32 v2, 0x7f800000, v3
	v_cmp_ne_u32_e64 s0, 0x7f800000, v2
                                        ; implicit-def: $vgpr2
	s_delay_alu instid0(VALU_DEP_1) | instskip(NEXT) | instid1(SALU_CYCLE_1)
	s_and_saveexec_b32 s12, s0
	s_xor_b32 s0, exec_lo, s12
; %bb.1818:                             ;   in Loop: Header=BB436_806 Depth=1
	v_bfe_u32 v2, v3, 16, 1
	s_delay_alu instid0(VALU_DEP_1)
	v_add3_u32 v2, v3, v2, 0x7fff
                                        ; implicit-def: $vgpr3
; %bb.1819:                             ;   in Loop: Header=BB436_806 Depth=1
	s_and_not1_saveexec_b32 s12, s0
; %bb.1820:                             ;   in Loop: Header=BB436_806 Depth=1
	v_and_b32_e32 v2, 0xffff, v3
	v_or_b32_e32 v9, 0x10000, v3
	s_delay_alu instid0(VALU_DEP_2) | instskip(NEXT) | instid1(VALU_DEP_1)
	v_cmp_eq_u32_e64 s0, 0, v2
	v_cndmask_b32_e64 v2, v9, v3, s0
; %bb.1821:                             ;   in Loop: Header=BB436_806 Depth=1
	s_or_b32 exec_lo, exec_lo, s12
	v_lshrrev_b32_e32 v3, 16, v1
	v_mov_b32_e32 v9, 0
	s_mov_b32 s12, exec_lo
	s_delay_alu instid0(VALU_DEP_2) | instskip(NEXT) | instid1(VALU_DEP_1)
	v_and_b32_e32 v57, 0xff, v3
	v_cmpx_ne_u16_e32 0, v57
	s_cbranch_execz .LBB436_1829
; %bb.1822:                             ;   in Loop: Header=BB436_806 Depth=1
	v_bfrev_b32_e32 v9, 1
	s_mov_b32 s13, exec_lo
	v_cmpx_ne_u16_e32 0x80, v57
	s_cbranch_execz .LBB436_1828
; %bb.1823:                             ;   in Loop: Header=BB436_806 Depth=1
	v_bfe_u32 v58, v1, 16, 7
	v_mov_b32_e32 v9, 0x7f800001
	s_mov_b32 s15, exec_lo
	s_delay_alu instid0(VALU_DEP_2)
	v_cmpx_ne_u32_e32 0x7f, v58
	s_cbranch_execz .LBB436_1827
; %bb.1824:                             ;   in Loop: Header=BB436_806 Depth=1
	v_and_b32_e32 v9, 7, v3
	v_lshrrev_b32_e32 v57, 3, v58
	s_mov_b32 s16, exec_lo
	v_cmpx_gt_u32_e32 8, v58
; %bb.1825:                             ;   in Loop: Header=BB436_806 Depth=1
	s_delay_alu instid0(VALU_DEP_3) | instskip(NEXT) | instid1(VALU_DEP_1)
	v_clz_i32_u32_e32 v57, v9
	v_min_u32_e32 v57, 32, v57
	s_delay_alu instid0(VALU_DEP_1) | instskip(SKIP_1) | instid1(VALU_DEP_2)
	v_subrev_nc_u32_e32 v58, 28, v57
	v_sub_nc_u32_e32 v57, 29, v57
	v_lshlrev_b64 v[58:59], v58, v[9:10]
	s_delay_alu instid0(VALU_DEP_1)
	v_and_b32_e32 v9, 7, v58
; %bb.1826:                             ;   in Loop: Header=BB436_806 Depth=1
	s_or_b32 exec_lo, exec_lo, s16
	v_lshlrev_b32_e32 v3, 24, v3
	s_delay_alu instid0(VALU_DEP_2) | instskip(SKIP_1) | instid1(VALU_DEP_3)
	v_lshlrev_b32_e32 v9, 20, v9
	v_lshl_add_u32 v57, v57, 23, 0x3c000000
	v_and_b32_e32 v3, 0x80000000, v3
	s_delay_alu instid0(VALU_DEP_1)
	v_or3_b32 v9, v9, v3, v57
.LBB436_1827:                           ;   in Loop: Header=BB436_806 Depth=1
	s_or_b32 exec_lo, exec_lo, s15
.LBB436_1828:                           ;   in Loop: Header=BB436_806 Depth=1
	s_delay_alu instid0(SALU_CYCLE_1)
	s_or_b32 exec_lo, exec_lo, s13
.LBB436_1829:                           ;   in Loop: Header=BB436_806 Depth=1
	s_delay_alu instid0(SALU_CYCLE_1) | instskip(NEXT) | instid1(VALU_DEP_1)
	s_or_b32 exec_lo, exec_lo, s12
	v_mul_f32_e32 v3, v8, v9
                                        ; implicit-def: $vgpr58
	s_delay_alu instid0(VALU_DEP_1) | instskip(NEXT) | instid1(VALU_DEP_1)
	v_and_b32_e32 v9, 0x7f800000, v3
	v_cmp_ne_u32_e64 s0, 0x7f800000, v9
	s_delay_alu instid0(VALU_DEP_1) | instskip(NEXT) | instid1(SALU_CYCLE_1)
	s_and_saveexec_b32 s12, s0
	s_xor_b32 s0, exec_lo, s12
; %bb.1830:                             ;   in Loop: Header=BB436_806 Depth=1
	v_bfe_u32 v9, v3, 16, 1
	s_delay_alu instid0(VALU_DEP_1)
	v_add3_u32 v58, v3, v9, 0x7fff
                                        ; implicit-def: $vgpr3
; %bb.1831:                             ;   in Loop: Header=BB436_806 Depth=1
	s_and_not1_saveexec_b32 s12, s0
; %bb.1832:                             ;   in Loop: Header=BB436_806 Depth=1
	v_and_b32_e32 v9, 0xffff, v3
	v_or_b32_e32 v57, 0x10000, v3
	s_delay_alu instid0(VALU_DEP_2) | instskip(NEXT) | instid1(VALU_DEP_1)
	v_cmp_eq_u32_e64 s0, 0, v9
	v_cndmask_b32_e64 v58, v57, v3, s0
; %bb.1833:                             ;   in Loop: Header=BB436_806 Depth=1
	s_or_b32 exec_lo, exec_lo, s12
	v_mov_b32_e32 v3, 0
	s_mov_b32 s12, exec_lo
	v_cmpx_lt_u64_e64 s[8:9], v[0:1]
	s_cbranch_execz .LBB436_1841
; %bb.1834:                             ;   in Loop: Header=BB436_806 Depth=1
	v_lshrrev_b32_e32 v0, 24, v1
	v_bfrev_b32_e32 v3, 1
	s_mov_b32 s13, exec_lo
	s_delay_alu instid0(VALU_DEP_2)
	v_cmpx_ne_u32_e32 0x80, v0
	s_cbranch_execz .LBB436_1840
; %bb.1835:                             ;   in Loop: Header=BB436_806 Depth=1
	v_bfe_u32 v57, v1, 24, 7
	v_mov_b32_e32 v3, 0x7f800001
	s_mov_b32 s15, exec_lo
	s_delay_alu instid0(VALU_DEP_2)
	v_cmpx_ne_u32_e32 0x7f, v57
	s_cbranch_execz .LBB436_1839
; %bb.1836:                             ;   in Loop: Header=BB436_806 Depth=1
	v_and_b32_e32 v9, 7, v0
	v_lshrrev_b32_e32 v1, 3, v57
	s_mov_b32 s16, exec_lo
	v_cmpx_gt_u32_e32 8, v57
; %bb.1837:                             ;   in Loop: Header=BB436_806 Depth=1
	s_delay_alu instid0(VALU_DEP_3) | instskip(NEXT) | instid1(VALU_DEP_1)
	v_clz_i32_u32_e32 v1, v9
	v_min_u32_e32 v1, 32, v1
	s_delay_alu instid0(VALU_DEP_1) | instskip(SKIP_1) | instid1(VALU_DEP_2)
	v_subrev_nc_u32_e32 v3, 28, v1
	v_sub_nc_u32_e32 v1, 29, v1
	v_lshlrev_b64 v[59:60], v3, v[9:10]
	s_delay_alu instid0(VALU_DEP_1)
	v_and_b32_e32 v9, 7, v59
; %bb.1838:                             ;   in Loop: Header=BB436_806 Depth=1
	s_or_b32 exec_lo, exec_lo, s16
	v_lshlrev_b32_e32 v0, 24, v0
	s_delay_alu instid0(VALU_DEP_2) | instskip(SKIP_1) | instid1(VALU_DEP_3)
	v_lshlrev_b32_e32 v3, 20, v9
	v_lshl_add_u32 v1, v1, 23, 0x3c000000
	v_and_b32_e32 v0, 0x80000000, v0
	s_delay_alu instid0(VALU_DEP_1)
	v_or3_b32 v3, v3, v0, v1
.LBB436_1839:                           ;   in Loop: Header=BB436_806 Depth=1
	s_or_b32 exec_lo, exec_lo, s15
.LBB436_1840:                           ;   in Loop: Header=BB436_806 Depth=1
	s_delay_alu instid0(SALU_CYCLE_1)
	s_or_b32 exec_lo, exec_lo, s13
.LBB436_1841:                           ;   in Loop: Header=BB436_806 Depth=1
	s_delay_alu instid0(SALU_CYCLE_1) | instskip(NEXT) | instid1(VALU_DEP_1)
	s_or_b32 exec_lo, exec_lo, s12
	v_mul_f32_e32 v0, v8, v3
                                        ; implicit-def: $vgpr9
	s_delay_alu instid0(VALU_DEP_1) | instskip(NEXT) | instid1(VALU_DEP_1)
	v_and_b32_e32 v1, 0x7f800000, v0
	v_cmp_ne_u32_e64 s0, 0x7f800000, v1
	s_delay_alu instid0(VALU_DEP_1) | instskip(NEXT) | instid1(SALU_CYCLE_1)
	s_and_saveexec_b32 s12, s0
	s_xor_b32 s0, exec_lo, s12
; %bb.1842:                             ;   in Loop: Header=BB436_806 Depth=1
	v_bfe_u32 v1, v0, 16, 1
	s_delay_alu instid0(VALU_DEP_1)
	v_add3_u32 v9, v0, v1, 0x7fff
                                        ; implicit-def: $vgpr0
; %bb.1843:                             ;   in Loop: Header=BB436_806 Depth=1
	s_and_not1_saveexec_b32 s12, s0
; %bb.1844:                             ;   in Loop: Header=BB436_806 Depth=1
	v_and_b32_e32 v1, 0xffff, v0
	v_or_b32_e32 v3, 0x10000, v0
	s_delay_alu instid0(VALU_DEP_2) | instskip(NEXT) | instid1(VALU_DEP_1)
	v_cmp_eq_u32_e64 s0, 0, v1
	v_cndmask_b32_e64 v9, v3, v0, s0
; %bb.1845:                             ;   in Loop: Header=BB436_806 Depth=1
	s_or_b32 exec_lo, exec_lo, s12
	v_lshrrev_b32_e32 v57, 16, v2
	v_lshrrev_b32_e32 v8, 16, v56
	v_lshrrev_b32_e32 v3, 16, v47
	v_lshrrev_b32_e32 v2, 16, v46
	v_lshrrev_b32_e32 v1, 16, v45
	v_lshrrev_b32_e32 v0, 16, v44
	v_lshrrev_b32_e32 v44, 16, v58
	v_lshrrev_b32_e32 v9, 16, v9
	s_and_saveexec_b32 s0, vcc_lo
	s_cbranch_execz .LBB436_1847
; %bb.1846:                             ;   in Loop: Header=BB436_806 Depth=1
	v_cmp_lt_i32_e32 vcc_lo, v70, v38
	v_cndmask_b32_e32 v0, 0, v0, vcc_lo
	v_cmp_lt_i32_e32 vcc_lo, v85, v38
	v_cndmask_b32_e32 v1, 0, v1, vcc_lo
	;; [unrolled: 2-line block ×8, first 2 shown]
.LBB436_1847:                           ;   in Loop: Header=BB436_806 Depth=1
	s_or_b32 exec_lo, exec_lo, s0
	v_lshlrev_b32_e32 v0, 16, v0
	s_delay_alu instid0(VALU_DEP_1) | instskip(NEXT) | instid1(VALU_DEP_1)
	v_mul_f32_e32 v70, v86, v0
	v_and_b32_e32 v0, 0x7f800000, v70
	s_delay_alu instid0(VALU_DEP_1) | instskip(SKIP_1) | instid1(SALU_CYCLE_1)
	v_cmp_ne_u32_e32 vcc_lo, 0x7f800000, v0
                                        ; implicit-def: $vgpr0
	s_and_saveexec_b32 s0, vcc_lo
	s_xor_b32 s0, exec_lo, s0
; %bb.1848:                             ;   in Loop: Header=BB436_806 Depth=1
	v_bfe_u32 v0, v70, 16, 1
	s_delay_alu instid0(VALU_DEP_1)
	v_add3_u32 v0, v70, v0, 0x7fff
                                        ; implicit-def: $vgpr70
; %bb.1849:                             ;   in Loop: Header=BB436_806 Depth=1
	s_and_not1_saveexec_b32 s0, s0
; %bb.1850:                             ;   in Loop: Header=BB436_806 Depth=1
	v_and_b32_e32 v0, 0xffff, v70
	v_or_b32_e32 v71, 0x10000, v70
	s_delay_alu instid0(VALU_DEP_2) | instskip(NEXT) | instid1(VALU_DEP_2)
	v_cmp_eq_u32_e32 vcc_lo, 0, v0
	v_cndmask_b32_e32 v0, v71, v70, vcc_lo
; %bb.1851:                             ;   in Loop: Header=BB436_806 Depth=1
	s_or_b32 exec_lo, exec_lo, s0
	v_lshlrev_b32_e32 v1, 16, v1
	s_delay_alu instid0(VALU_DEP_1) | instskip(NEXT) | instid1(VALU_DEP_1)
	v_mul_f32_e32 v70, v87, v1
	v_and_b32_e32 v1, 0x7f800000, v70
	s_delay_alu instid0(VALU_DEP_1) | instskip(SKIP_1) | instid1(SALU_CYCLE_1)
	v_cmp_ne_u32_e32 vcc_lo, 0x7f800000, v1
                                        ; implicit-def: $vgpr1
	s_and_saveexec_b32 s0, vcc_lo
	s_xor_b32 s0, exec_lo, s0
; %bb.1852:                             ;   in Loop: Header=BB436_806 Depth=1
	v_bfe_u32 v1, v70, 16, 1
	s_delay_alu instid0(VALU_DEP_1)
	v_add3_u32 v1, v70, v1, 0x7fff
                                        ; implicit-def: $vgpr70
; %bb.1853:                             ;   in Loop: Header=BB436_806 Depth=1
	s_and_not1_saveexec_b32 s0, s0
; %bb.1854:                             ;   in Loop: Header=BB436_806 Depth=1
	v_and_b32_e32 v1, 0xffff, v70
	v_or_b32_e32 v71, 0x10000, v70
	s_delay_alu instid0(VALU_DEP_2) | instskip(NEXT) | instid1(VALU_DEP_2)
	v_cmp_eq_u32_e32 vcc_lo, 0, v1
	v_cndmask_b32_e32 v1, v71, v70, vcc_lo
; %bb.1855:                             ;   in Loop: Header=BB436_806 Depth=1
	s_or_b32 exec_lo, exec_lo, s0
	v_lshlrev_b32_e32 v2, 16, v2
	s_delay_alu instid0(VALU_DEP_1) | instskip(NEXT) | instid1(VALU_DEP_1)
	v_mul_f32_e32 v70, v96, v2
	v_and_b32_e32 v2, 0x7f800000, v70
	s_delay_alu instid0(VALU_DEP_1) | instskip(SKIP_1) | instid1(SALU_CYCLE_1)
	v_cmp_ne_u32_e32 vcc_lo, 0x7f800000, v2
                                        ; implicit-def: $vgpr2
	s_and_saveexec_b32 s0, vcc_lo
	s_xor_b32 s0, exec_lo, s0
; %bb.1856:                             ;   in Loop: Header=BB436_806 Depth=1
	v_bfe_u32 v2, v70, 16, 1
	s_delay_alu instid0(VALU_DEP_1)
	v_add3_u32 v2, v70, v2, 0x7fff
                                        ; implicit-def: $vgpr70
; %bb.1857:                             ;   in Loop: Header=BB436_806 Depth=1
	s_and_not1_saveexec_b32 s0, s0
; %bb.1858:                             ;   in Loop: Header=BB436_806 Depth=1
	v_and_b32_e32 v2, 0xffff, v70
	v_or_b32_e32 v71, 0x10000, v70
	s_delay_alu instid0(VALU_DEP_2) | instskip(NEXT) | instid1(VALU_DEP_2)
	v_cmp_eq_u32_e32 vcc_lo, 0, v2
	v_cndmask_b32_e32 v2, v71, v70, vcc_lo
; %bb.1859:                             ;   in Loop: Header=BB436_806 Depth=1
	s_or_b32 exec_lo, exec_lo, s0
	v_lshlrev_b32_e32 v3, 16, v3
	s_delay_alu instid0(VALU_DEP_1) | instskip(NEXT) | instid1(VALU_DEP_1)
	v_mul_f32_e32 v70, v97, v3
	v_and_b32_e32 v3, 0x7f800000, v70
	s_delay_alu instid0(VALU_DEP_1) | instskip(SKIP_1) | instid1(SALU_CYCLE_1)
	v_cmp_ne_u32_e32 vcc_lo, 0x7f800000, v3
                                        ; implicit-def: $vgpr3
	s_and_saveexec_b32 s0, vcc_lo
	s_xor_b32 s0, exec_lo, s0
; %bb.1860:                             ;   in Loop: Header=BB436_806 Depth=1
	v_bfe_u32 v3, v70, 16, 1
	s_delay_alu instid0(VALU_DEP_1)
	v_add3_u32 v3, v70, v3, 0x7fff
                                        ; implicit-def: $vgpr70
; %bb.1861:                             ;   in Loop: Header=BB436_806 Depth=1
	s_and_not1_saveexec_b32 s0, s0
; %bb.1862:                             ;   in Loop: Header=BB436_806 Depth=1
	v_and_b32_e32 v3, 0xffff, v70
	v_or_b32_e32 v71, 0x10000, v70
	s_delay_alu instid0(VALU_DEP_2) | instskip(NEXT) | instid1(VALU_DEP_2)
	v_cmp_eq_u32_e32 vcc_lo, 0, v3
	v_cndmask_b32_e32 v3, v71, v70, vcc_lo
; %bb.1863:                             ;   in Loop: Header=BB436_806 Depth=1
	s_or_b32 exec_lo, exec_lo, s0
	v_lshlrev_b32_e32 v8, 16, v8
	s_delay_alu instid0(VALU_DEP_1) | instskip(NEXT) | instid1(VALU_DEP_1)
	v_mul_f32_e32 v70, v98, v8
	v_and_b32_e32 v8, 0x7f800000, v70
	s_delay_alu instid0(VALU_DEP_1) | instskip(SKIP_1) | instid1(SALU_CYCLE_1)
	v_cmp_ne_u32_e32 vcc_lo, 0x7f800000, v8
                                        ; implicit-def: $vgpr8
	s_and_saveexec_b32 s0, vcc_lo
	s_xor_b32 s0, exec_lo, s0
; %bb.1864:                             ;   in Loop: Header=BB436_806 Depth=1
	v_bfe_u32 v8, v70, 16, 1
	s_delay_alu instid0(VALU_DEP_1)
	v_add3_u32 v8, v70, v8, 0x7fff
                                        ; implicit-def: $vgpr70
; %bb.1865:                             ;   in Loop: Header=BB436_806 Depth=1
	s_and_not1_saveexec_b32 s0, s0
; %bb.1866:                             ;   in Loop: Header=BB436_806 Depth=1
	v_and_b32_e32 v8, 0xffff, v70
	v_or_b32_e32 v71, 0x10000, v70
	s_delay_alu instid0(VALU_DEP_2) | instskip(NEXT) | instid1(VALU_DEP_2)
	v_cmp_eq_u32_e32 vcc_lo, 0, v8
	v_cndmask_b32_e32 v8, v71, v70, vcc_lo
; %bb.1867:                             ;   in Loop: Header=BB436_806 Depth=1
	s_or_b32 exec_lo, exec_lo, s0
	v_lshlrev_b32_e32 v70, 16, v57
	s_delay_alu instid0(VALU_DEP_1) | instskip(NEXT) | instid1(VALU_DEP_1)
	v_mul_f32_e32 v71, v99, v70
	v_and_b32_e32 v70, 0x7f800000, v71
	s_delay_alu instid0(VALU_DEP_1) | instskip(SKIP_1) | instid1(SALU_CYCLE_1)
	v_cmp_ne_u32_e32 vcc_lo, 0x7f800000, v70
                                        ; implicit-def: $vgpr70
	s_and_saveexec_b32 s0, vcc_lo
	s_xor_b32 s0, exec_lo, s0
; %bb.1868:                             ;   in Loop: Header=BB436_806 Depth=1
	v_bfe_u32 v70, v71, 16, 1
	s_delay_alu instid0(VALU_DEP_1)
	v_add3_u32 v70, v71, v70, 0x7fff
                                        ; implicit-def: $vgpr71
; %bb.1869:                             ;   in Loop: Header=BB436_806 Depth=1
	s_and_not1_saveexec_b32 s0, s0
; %bb.1870:                             ;   in Loop: Header=BB436_806 Depth=1
	v_and_b32_e32 v70, 0xffff, v71
	v_or_b32_e32 v80, 0x10000, v71
	s_delay_alu instid0(VALU_DEP_2) | instskip(NEXT) | instid1(VALU_DEP_2)
	v_cmp_eq_u32_e32 vcc_lo, 0, v70
	v_cndmask_b32_e32 v70, v80, v71, vcc_lo
; %bb.1871:                             ;   in Loop: Header=BB436_806 Depth=1
	s_or_b32 exec_lo, exec_lo, s0
	v_lshlrev_b32_e32 v71, 16, v44
	s_delay_alu instid0(VALU_DEP_1) | instskip(NEXT) | instid1(VALU_DEP_1)
	v_mul_f32_e32 v80, v100, v71
	v_and_b32_e32 v71, 0x7f800000, v80
	s_delay_alu instid0(VALU_DEP_1) | instskip(SKIP_1) | instid1(SALU_CYCLE_1)
	v_cmp_ne_u32_e32 vcc_lo, 0x7f800000, v71
                                        ; implicit-def: $vgpr71
	s_and_saveexec_b32 s0, vcc_lo
	s_xor_b32 s0, exec_lo, s0
; %bb.1872:                             ;   in Loop: Header=BB436_806 Depth=1
	v_bfe_u32 v71, v80, 16, 1
	s_delay_alu instid0(VALU_DEP_1)
	v_add3_u32 v71, v80, v71, 0x7fff
                                        ; implicit-def: $vgpr80
; %bb.1873:                             ;   in Loop: Header=BB436_806 Depth=1
	s_and_not1_saveexec_b32 s0, s0
; %bb.1874:                             ;   in Loop: Header=BB436_806 Depth=1
	v_and_b32_e32 v71, 0xffff, v80
	v_or_b32_e32 v81, 0x10000, v80
	s_delay_alu instid0(VALU_DEP_2) | instskip(NEXT) | instid1(VALU_DEP_2)
	v_cmp_eq_u32_e32 vcc_lo, 0, v71
	v_cndmask_b32_e32 v71, v81, v80, vcc_lo
; %bb.1875:                             ;   in Loop: Header=BB436_806 Depth=1
	s_or_b32 exec_lo, exec_lo, s0
	v_lshlrev_b32_e32 v9, 16, v9
	s_delay_alu instid0(VALU_DEP_1) | instskip(NEXT) | instid1(VALU_DEP_1)
	v_mul_f32_e32 v80, v101, v9
	v_and_b32_e32 v9, 0x7f800000, v80
	s_delay_alu instid0(VALU_DEP_1) | instskip(SKIP_1) | instid1(SALU_CYCLE_1)
	v_cmp_ne_u32_e32 vcc_lo, 0x7f800000, v9
                                        ; implicit-def: $vgpr9
	s_and_saveexec_b32 s0, vcc_lo
	s_xor_b32 s0, exec_lo, s0
; %bb.1876:                             ;   in Loop: Header=BB436_806 Depth=1
	v_bfe_u32 v9, v80, 16, 1
	s_delay_alu instid0(VALU_DEP_1)
	v_add3_u32 v9, v80, v9, 0x7fff
                                        ; implicit-def: $vgpr80
; %bb.1877:                             ;   in Loop: Header=BB436_806 Depth=1
	s_and_not1_saveexec_b32 s0, s0
	s_cbranch_execz .LBB436_804
; %bb.1878:                             ;   in Loop: Header=BB436_806 Depth=1
	v_and_b32_e32 v9, 0xffff, v80
	v_or_b32_e32 v81, 0x10000, v80
	s_delay_alu instid0(VALU_DEP_2) | instskip(NEXT) | instid1(VALU_DEP_2)
	v_cmp_eq_u32_e32 vcc_lo, 0, v9
	v_cndmask_b32_e32 v9, v81, v80, vcc_lo
	s_branch .LBB436_804
.LBB436_1879:
	s_or_b32 exec_lo, exec_lo, s10
	s_load_b32 s0, s[2:3], 0x0
	s_waitcnt lgkmcnt(0)
	v_mov_b32_e32 v9, s0
.LBB436_1880:
	s_or_b32 exec_lo, exec_lo, s7
	ds_bpermute_b32 v0, v20, v34
	ds_bpermute_b32 v2, v20, v29
	;; [unrolled: 1-line block ×8, first 2 shown]
	v_lshrrev_b32_e32 v11, 2, v49
	v_lshl_add_u32 v12, v48, 8, v9
	s_mov_b32 s0, exec_lo
	s_waitcnt lgkmcnt(0)
	s_waitcnt_vscnt null, 0x0
	s_barrier
	buffer_gl0_inv
	v_and_b32_e32 v22, 0x3c3, v37
	v_add_f32_e32 v0, v34, v0
	v_dual_add_f32 v2, v29, v2 :: v_dual_add_f32 v1, v32, v1
	v_add_f32_e32 v13, v31, v6
	v_add_f32_e32 v7, v28, v7
	ds_bpermute_b32 v6, v19, v0
	v_add_f32_e32 v14, v25, v8
	ds_bpermute_b32 v16, v19, v2
	v_add_f32_e32 v3, v33, v3
	v_add_f32_e32 v15, v35, v10
	ds_bpermute_b32 v10, v19, v1
	ds_bpermute_b32 v18, v19, v13
	;; [unrolled: 1-line block ×5, first 2 shown]
	s_waitcnt lgkmcnt(6)
	v_add_f32_e32 v8, v0, v6
	s_waitcnt lgkmcnt(5)
	v_add_f32_e32 v6, v2, v16
	ds_bpermute_b32 v19, v19, v15
	s_waitcnt lgkmcnt(5)
	v_add_f32_e32 v10, v1, v10
	s_waitcnt lgkmcnt(3)
	v_dual_add_f32 v2, v13, v18 :: v_dual_add_f32 v1, v7, v20
	s_waitcnt lgkmcnt(2)
	v_add_f32_e32 v3, v3, v17
	s_waitcnt lgkmcnt(0)
	v_dual_add_f32 v0, v14, v21 :: v_dual_add_f32 v7, v15, v19
	v_cmpx_eq_u32_e32 64, v22
	s_cbranch_execz .LBB436_1882
; %bb.1881:
	v_lshlrev_b32_e32 v13, 2, v11
	s_delay_alu instid0(VALU_DEP_1)
	v_add3_u32 v13, v12, v13, 0xfffffe00
	ds_store_2addr_b32 v13, v8, v10 offset1:8
	ds_store_2addr_b32 v13, v6, v3 offset0:16 offset1:24
	ds_store_2addr_b32 v13, v2, v1 offset0:32 offset1:40
	;; [unrolled: 1-line block ×3, first 2 shown]
.LBB436_1882:
	s_or_b32 exec_lo, exec_lo, s0
	v_cmp_eq_u32_e32 vcc_lo, 0, v24
	s_mov_b32 s2, exec_lo
	s_waitcnt lgkmcnt(0)
	s_barrier
	buffer_gl0_inv
	v_cmpx_gt_u32_e32 64, v37
	s_cbranch_execz .LBB436_1893
; %bb.1883:
	s_and_saveexec_b32 s0, vcc_lo
	s_cbranch_execnz .LBB436_1942
; %bb.1884:
	s_or_b32 exec_lo, exec_lo, s0
	s_and_saveexec_b32 s0, vcc_lo
	s_cbranch_execnz .LBB436_1943
.LBB436_1885:
	s_or_b32 exec_lo, exec_lo, s0
	s_and_saveexec_b32 s0, vcc_lo
	s_cbranch_execnz .LBB436_1944
.LBB436_1886:
	s_or_b32 exec_lo, exec_lo, s0
	s_and_saveexec_b32 s0, vcc_lo
	s_cbranch_execnz .LBB436_1945
.LBB436_1887:
	s_or_b32 exec_lo, exec_lo, s0
	s_and_saveexec_b32 s0, vcc_lo
	s_cbranch_execnz .LBB436_1946
.LBB436_1888:
	s_or_b32 exec_lo, exec_lo, s0
	s_and_saveexec_b32 s0, vcc_lo
	s_cbranch_execnz .LBB436_1947
.LBB436_1889:
	s_or_b32 exec_lo, exec_lo, s0
	s_and_saveexec_b32 s0, vcc_lo
	s_cbranch_execnz .LBB436_1948
.LBB436_1890:
	s_or_b32 exec_lo, exec_lo, s0
	s_and_saveexec_b32 s0, vcc_lo
	s_cbranch_execz .LBB436_1892
.LBB436_1891:
	v_lshl_add_u32 v13, v11, 2, v12
	ds_load_b32 v13, v13 offset:224
	s_waitcnt lgkmcnt(0)
	v_add_f32_e32 v7, v7, v13
.LBB436_1892:
	s_or_b32 exec_lo, exec_lo, s0
.LBB436_1893:
	s_delay_alu instid0(SALU_CYCLE_1)
	s_or_b32 exec_lo, exec_lo, s2
	v_and_b32_e32 v13, 0x3e3, v37
	s_mov_b32 s2, exec_lo
	s_barrier
	buffer_gl0_inv
	v_cmpx_eq_u32_e32 32, v13
	s_cbranch_execz .LBB436_1895
; %bb.1894:
	v_lshl_add_u32 v9, v11, 2, v9
	ds_store_2addr_b32 v9, v8, v10 offset1:8
	ds_store_2addr_b32 v9, v6, v3 offset0:16 offset1:24
	ds_store_2addr_b32 v9, v2, v1 offset0:32 offset1:40
	;; [unrolled: 1-line block ×3, first 2 shown]
.LBB436_1895:
	s_or_b32 exec_lo, exec_lo, s2
	v_cmp_gt_u32_e64 s0, 32, v37
	s_waitcnt lgkmcnt(0)
	s_barrier
	buffer_gl0_inv
	s_and_saveexec_b32 s2, s0
	s_cbranch_execz .LBB436_1906
; %bb.1896:
	v_lshl_add_u32 v9, v11, 2, v12
	s_and_saveexec_b32 s3, vcc_lo
	s_cbranch_execnz .LBB436_1949
; %bb.1897:
	s_or_b32 exec_lo, exec_lo, s3
	s_and_saveexec_b32 s3, vcc_lo
	s_cbranch_execnz .LBB436_1950
.LBB436_1898:
	s_or_b32 exec_lo, exec_lo, s3
	s_and_saveexec_b32 s3, vcc_lo
	s_cbranch_execnz .LBB436_1951
.LBB436_1899:
	s_or_b32 exec_lo, exec_lo, s3
	s_and_saveexec_b32 s3, vcc_lo
	s_cbranch_execnz .LBB436_1952
.LBB436_1900:
	s_or_b32 exec_lo, exec_lo, s3
	s_and_saveexec_b32 s3, vcc_lo
	s_cbranch_execnz .LBB436_1953
.LBB436_1901:
	s_or_b32 exec_lo, exec_lo, s3
	s_and_saveexec_b32 s3, vcc_lo
	s_cbranch_execnz .LBB436_1954
.LBB436_1902:
	s_or_b32 exec_lo, exec_lo, s3
	s_and_saveexec_b32 s3, vcc_lo
	s_cbranch_execnz .LBB436_1955
.LBB436_1903:
	s_or_b32 exec_lo, exec_lo, s3
	s_and_saveexec_b32 s3, vcc_lo
	s_cbranch_execz .LBB436_1905
.LBB436_1904:
	ds_load_b32 v9, v9 offset:224
	s_waitcnt lgkmcnt(0)
	v_add_f32_e32 v7, v7, v9
.LBB436_1905:
	s_or_b32 exec_lo, exec_lo, s3
.LBB436_1906:
	s_delay_alu instid0(SALU_CYCLE_1)
	s_or_b32 exec_lo, exec_lo, s2
	s_barrier
	buffer_gl0_inv
	s_and_b32 exec_lo, exec_lo, s0
	s_cbranch_execz .LBB436_1941
; %bb.1907:
	s_and_b32 exec_lo, exec_lo, vcc_lo
	s_cbranch_execz .LBB436_1941
; %bb.1908:
	v_and_b32_e32 v9, 0x7f800000, v8
	s_mov_b32 s0, exec_lo
                                        ; implicit-def: $vgpr11
	s_delay_alu instid0(VALU_DEP_1)
	v_cmpx_ne_u32_e32 0x7f800000, v9
	s_xor_b32 s0, exec_lo, s0
; %bb.1909:
	v_bfe_u32 v9, v8, 16, 1
	s_delay_alu instid0(VALU_DEP_1)
	v_add3_u32 v11, v8, v9, 0x7fff
; %bb.1910:
	s_and_not1_saveexec_b32 s0, s0
; %bb.1911:
	v_and_b32_e32 v9, 0xffff, v8
	v_or_b32_e32 v11, 0x10000, v8
	s_delay_alu instid0(VALU_DEP_2) | instskip(NEXT) | instid1(VALU_DEP_2)
	v_cmp_eq_u32_e32 vcc_lo, 0, v9
	v_cndmask_b32_e32 v11, v11, v8, vcc_lo
; %bb.1912:
	s_or_b32 exec_lo, exec_lo, s0
	s_mul_i32 s2, s1, s4
	s_mul_i32 s0, s6, s1
	;; [unrolled: 1-line block ×3, first 2 shown]
	s_lshl_b32 s2, s14, 6
	s_lshl_b32 s6, s1, 6
	s_ashr_i32 s1, s0, 31
	s_ashr_i32 s3, s2, 31
	;; [unrolled: 1-line block ×3, first 2 shown]
	s_lshl_b64 s[0:1], s[0:1], 1
	s_lshl_b64 s[2:3], s[2:3], 1
	;; [unrolled: 1-line block ×3, first 2 shown]
	v_lshrrev_b32_e32 v8, 1, v37
	s_add_u32 s0, s2, s0
	s_addc_u32 s1, s3, s1
	s_add_u32 s0, s0, s6
	s_addc_u32 s1, s1, s7
	v_and_b32_e32 v8, 0x1fe, v8
	v_add_co_u32 v4, vcc_lo, s0, v4
	v_add_co_ci_u32_e32 v5, vcc_lo, s1, v5, vcc_lo
	v_and_b32_e32 v12, 0x7f800000, v10
	s_delay_alu instid0(VALU_DEP_3) | instskip(NEXT) | instid1(VALU_DEP_3)
	v_add_co_u32 v8, vcc_lo, v4, v8
	v_add_co_ci_u32_e32 v9, vcc_lo, 0, v5, vcc_lo
	s_mov_b32 s0, exec_lo
                                        ; implicit-def: $vgpr4
	flat_store_d16_hi_b16 v[8:9], v11
	v_cmpx_ne_u32_e32 0x7f800000, v12
	s_xor_b32 s0, exec_lo, s0
; %bb.1913:
	v_bfe_u32 v4, v10, 16, 1
	s_delay_alu instid0(VALU_DEP_1)
	v_add3_u32 v4, v10, v4, 0x7fff
; %bb.1914:
	s_and_not1_saveexec_b32 s0, s0
; %bb.1915:
	v_and_b32_e32 v4, 0xffff, v10
	v_or_b32_e32 v5, 0x10000, v10
	s_delay_alu instid0(VALU_DEP_2) | instskip(NEXT) | instid1(VALU_DEP_2)
	v_cmp_eq_u32_e32 vcc_lo, 0, v4
	v_cndmask_b32_e32 v4, v5, v10, vcc_lo
; %bb.1916:
	s_or_b32 exec_lo, exec_lo, s0
	v_and_b32_e32 v5, 0x7f800000, v6
	s_mov_b32 s0, exec_lo
	flat_store_d16_hi_b16 v[8:9], v4 offset:16
                                        ; implicit-def: $vgpr4
	v_cmpx_ne_u32_e32 0x7f800000, v5
	s_xor_b32 s0, exec_lo, s0
; %bb.1917:
	v_bfe_u32 v4, v6, 16, 1
	s_delay_alu instid0(VALU_DEP_1)
	v_add3_u32 v4, v6, v4, 0x7fff
; %bb.1918:
	s_and_not1_saveexec_b32 s0, s0
; %bb.1919:
	v_and_b32_e32 v4, 0xffff, v6
	v_or_b32_e32 v5, 0x10000, v6
	s_delay_alu instid0(VALU_DEP_2) | instskip(NEXT) | instid1(VALU_DEP_2)
	v_cmp_eq_u32_e32 vcc_lo, 0, v4
	v_cndmask_b32_e32 v4, v5, v6, vcc_lo
; %bb.1920:
	s_or_b32 exec_lo, exec_lo, s0
	v_and_b32_e32 v5, 0x7f800000, v3
	s_mov_b32 s0, exec_lo
	flat_store_d16_hi_b16 v[8:9], v4 offset:32
                                        ; implicit-def: $vgpr4
	v_cmpx_ne_u32_e32 0x7f800000, v5
	s_xor_b32 s0, exec_lo, s0
; %bb.1921:
	v_bfe_u32 v4, v3, 16, 1
	s_delay_alu instid0(VALU_DEP_1)
	v_add3_u32 v4, v3, v4, 0x7fff
; %bb.1922:
	s_and_not1_saveexec_b32 s0, s0
; %bb.1923:
	v_and_b32_e32 v4, 0xffff, v3
	v_or_b32_e32 v5, 0x10000, v3
	s_delay_alu instid0(VALU_DEP_2) | instskip(NEXT) | instid1(VALU_DEP_2)
	v_cmp_eq_u32_e32 vcc_lo, 0, v4
	v_cndmask_b32_e32 v4, v5, v3, vcc_lo
; %bb.1924:
	s_or_b32 exec_lo, exec_lo, s0
	v_and_b32_e32 v3, 0x7f800000, v2
	flat_store_d16_hi_b16 v[8:9], v4 offset:48
	v_cmp_ne_u32_e32 vcc_lo, 0x7f800000, v3
                                        ; implicit-def: $vgpr3
	s_and_saveexec_b32 s0, vcc_lo
	s_delay_alu instid0(SALU_CYCLE_1)
	s_xor_b32 s0, exec_lo, s0
; %bb.1925:
	v_bfe_u32 v3, v2, 16, 1
	s_delay_alu instid0(VALU_DEP_1)
	v_add3_u32 v3, v2, v3, 0x7fff
; %bb.1926:
	s_and_not1_saveexec_b32 s0, s0
; %bb.1927:
	v_and_b32_e32 v3, 0xffff, v2
	v_or_b32_e32 v4, 0x10000, v2
	s_delay_alu instid0(VALU_DEP_2) | instskip(NEXT) | instid1(VALU_DEP_2)
	v_cmp_eq_u32_e32 vcc_lo, 0, v3
	v_cndmask_b32_e32 v3, v4, v2, vcc_lo
; %bb.1928:
	s_or_b32 exec_lo, exec_lo, s0
	v_and_b32_e32 v2, 0x7f800000, v1
	flat_store_d16_hi_b16 v[8:9], v3 offset:64
	v_cmp_ne_u32_e32 vcc_lo, 0x7f800000, v2
                                        ; implicit-def: $vgpr2
	s_and_saveexec_b32 s0, vcc_lo
	s_delay_alu instid0(SALU_CYCLE_1)
	s_xor_b32 s0, exec_lo, s0
; %bb.1929:
	v_bfe_u32 v2, v1, 16, 1
	s_delay_alu instid0(VALU_DEP_1)
	v_add3_u32 v2, v1, v2, 0x7fff
; %bb.1930:
	s_and_not1_saveexec_b32 s0, s0
; %bb.1931:
	v_and_b32_e32 v2, 0xffff, v1
	v_or_b32_e32 v3, 0x10000, v1
	s_delay_alu instid0(VALU_DEP_2) | instskip(NEXT) | instid1(VALU_DEP_2)
	v_cmp_eq_u32_e32 vcc_lo, 0, v2
	v_cndmask_b32_e32 v2, v3, v1, vcc_lo
; %bb.1932:
	s_or_b32 exec_lo, exec_lo, s0
	v_and_b32_e32 v1, 0x7f800000, v0
	flat_store_d16_hi_b16 v[8:9], v2 offset:80
	v_cmp_ne_u32_e32 vcc_lo, 0x7f800000, v1
                                        ; implicit-def: $vgpr1
	s_and_saveexec_b32 s0, vcc_lo
	s_delay_alu instid0(SALU_CYCLE_1)
	s_xor_b32 s0, exec_lo, s0
; %bb.1933:
	v_bfe_u32 v1, v0, 16, 1
	s_delay_alu instid0(VALU_DEP_1)
	v_add3_u32 v1, v0, v1, 0x7fff
; %bb.1934:
	s_and_not1_saveexec_b32 s0, s0
; %bb.1935:
	v_and_b32_e32 v1, 0xffff, v0
	v_or_b32_e32 v2, 0x10000, v0
	s_delay_alu instid0(VALU_DEP_2) | instskip(NEXT) | instid1(VALU_DEP_2)
	v_cmp_eq_u32_e32 vcc_lo, 0, v1
	v_cndmask_b32_e32 v1, v2, v0, vcc_lo
; %bb.1936:
	s_or_b32 exec_lo, exec_lo, s0
	v_and_b32_e32 v0, 0x7f800000, v7
	s_mov_b32 s0, exec_lo
	flat_store_d16_hi_b16 v[8:9], v1 offset:96
                                        ; implicit-def: $vgpr10
	v_cmpx_ne_u32_e32 0x7f800000, v0
	s_xor_b32 s0, exec_lo, s0
; %bb.1937:
	v_bfe_u32 v0, v7, 16, 1
	s_delay_alu instid0(VALU_DEP_1)
	v_add3_u32 v10, v7, v0, 0x7fff
                                        ; implicit-def: $vgpr0_vgpr1_vgpr2_vgpr3_vgpr4_vgpr5_vgpr6_vgpr7
; %bb.1938:
	s_and_not1_saveexec_b32 s0, s0
; %bb.1939:
	v_and_b32_e32 v0, 0xffff, v7
	v_or_b32_e32 v1, 0x10000, v7
	s_delay_alu instid0(VALU_DEP_2) | instskip(NEXT) | instid1(VALU_DEP_2)
	v_cmp_eq_u32_e32 vcc_lo, 0, v0
	v_cndmask_b32_e32 v10, v1, v7, vcc_lo
; %bb.1940:
	s_or_b32 exec_lo, exec_lo, s0
	flat_store_d16_hi_b16 v[8:9], v10 offset:112
.LBB436_1941:
	s_or_b32 exec_lo, exec_lo, s5
	s_clause 0x1f
	scratch_load_b32 v175, off, s32 offset:8
	scratch_load_b32 v174, off, s32 offset:12
	;; [unrolled: 1-line block ×32, first 2 shown]
	s_clause 0x1f
	scratch_load_b32 v111, off, s32 offset:136
	scratch_load_b32 v110, off, s32 offset:140
	;; [unrolled: 1-line block ×32, first 2 shown]
	s_clause 0x7
	scratch_load_b32 v47, off, s32 offset:264
	scratch_load_b32 v46, off, s32 offset:268
	;; [unrolled: 1-line block ×8, first 2 shown]
	s_waitcnt vmcnt(0) lgkmcnt(0)
	s_setpc_b64 s[30:31]
.LBB436_1942:
	v_lshl_add_u32 v13, v11, 2, v12
	ds_load_b32 v13, v13
	s_waitcnt lgkmcnt(0)
	v_add_f32_e32 v8, v8, v13
	s_or_b32 exec_lo, exec_lo, s0
	s_and_saveexec_b32 s0, vcc_lo
	s_cbranch_execz .LBB436_1885
.LBB436_1943:
	v_lshl_add_u32 v13, v11, 2, v12
	ds_load_b32 v13, v13 offset:32
	s_waitcnt lgkmcnt(0)
	v_add_f32_e32 v10, v10, v13
	s_or_b32 exec_lo, exec_lo, s0
	s_and_saveexec_b32 s0, vcc_lo
	s_cbranch_execz .LBB436_1886
.LBB436_1944:
	v_lshl_add_u32 v13, v11, 2, v12
	ds_load_b32 v13, v13 offset:64
	s_waitcnt lgkmcnt(0)
	v_add_f32_e32 v6, v6, v13
	s_or_b32 exec_lo, exec_lo, s0
	s_and_saveexec_b32 s0, vcc_lo
	s_cbranch_execz .LBB436_1887
.LBB436_1945:
	v_lshl_add_u32 v13, v11, 2, v12
	ds_load_b32 v13, v13 offset:96
	s_waitcnt lgkmcnt(0)
	v_add_f32_e32 v3, v3, v13
	s_or_b32 exec_lo, exec_lo, s0
	s_and_saveexec_b32 s0, vcc_lo
	s_cbranch_execz .LBB436_1888
.LBB436_1946:
	v_lshl_add_u32 v13, v11, 2, v12
	ds_load_b32 v13, v13 offset:128
	s_waitcnt lgkmcnt(0)
	v_add_f32_e32 v2, v2, v13
	s_or_b32 exec_lo, exec_lo, s0
	s_and_saveexec_b32 s0, vcc_lo
	s_cbranch_execz .LBB436_1889
.LBB436_1947:
	v_lshl_add_u32 v13, v11, 2, v12
	ds_load_b32 v13, v13 offset:160
	s_waitcnt lgkmcnt(0)
	v_add_f32_e32 v1, v1, v13
	s_or_b32 exec_lo, exec_lo, s0
	s_and_saveexec_b32 s0, vcc_lo
	s_cbranch_execz .LBB436_1890
.LBB436_1948:
	v_lshl_add_u32 v13, v11, 2, v12
	ds_load_b32 v13, v13 offset:192
	s_waitcnt lgkmcnt(0)
	v_add_f32_e32 v0, v0, v13
	s_or_b32 exec_lo, exec_lo, s0
	s_and_saveexec_b32 s0, vcc_lo
	s_cbranch_execnz .LBB436_1891
	s_branch .LBB436_1892
.LBB436_1949:
	ds_load_b32 v11, v9
	s_waitcnt lgkmcnt(0)
	v_add_f32_e32 v8, v8, v11
	s_or_b32 exec_lo, exec_lo, s3
	s_and_saveexec_b32 s3, vcc_lo
	s_cbranch_execz .LBB436_1898
.LBB436_1950:
	ds_load_b32 v11, v9 offset:32
	s_waitcnt lgkmcnt(0)
	v_add_f32_e32 v10, v10, v11
	s_or_b32 exec_lo, exec_lo, s3
	s_and_saveexec_b32 s3, vcc_lo
	s_cbranch_execz .LBB436_1899
.LBB436_1951:
	ds_load_b32 v11, v9 offset:64
	s_waitcnt lgkmcnt(0)
	v_add_f32_e32 v6, v6, v11
	s_or_b32 exec_lo, exec_lo, s3
	s_and_saveexec_b32 s3, vcc_lo
	s_cbranch_execz .LBB436_1900
.LBB436_1952:
	ds_load_b32 v11, v9 offset:96
	s_waitcnt lgkmcnt(0)
	v_add_f32_e32 v3, v3, v11
	s_or_b32 exec_lo, exec_lo, s3
	s_and_saveexec_b32 s3, vcc_lo
	s_cbranch_execz .LBB436_1901
.LBB436_1953:
	ds_load_b32 v11, v9 offset:128
	s_waitcnt lgkmcnt(0)
	v_add_f32_e32 v2, v2, v11
	s_or_b32 exec_lo, exec_lo, s3
	s_and_saveexec_b32 s3, vcc_lo
	s_cbranch_execz .LBB436_1902
.LBB436_1954:
	ds_load_b32 v11, v9 offset:160
	s_waitcnt lgkmcnt(0)
	v_add_f32_e32 v1, v1, v11
	s_or_b32 exec_lo, exec_lo, s3
	s_and_saveexec_b32 s3, vcc_lo
	s_cbranch_execz .LBB436_1903
.LBB436_1955:
	ds_load_b32 v11, v9 offset:192
	s_waitcnt lgkmcnt(0)
	v_add_f32_e32 v0, v0, v11
	s_or_b32 exec_lo, exec_lo, s3
	s_and_saveexec_b32 s3, vcc_lo
	s_cbranch_execnz .LBB436_1904
	s_branch .LBB436_1905
.Lfunc_end436:
	.size	_ZN4vllm22paged_attention_kernelI14__hip_bfloat16hLi64ELi32ELi128ELNS_18Fp8KVCacheDataTypeE1ELb1ELi512EEEvPfS3_PT_PKS4_PKT0_SA_ifPKiSC_iPKfiiiSE_SE_iiiii, .Lfunc_end436-_ZN4vllm22paged_attention_kernelI14__hip_bfloat16hLi64ELi32ELi128ELNS_18Fp8KVCacheDataTypeE1ELb1ELi512EEEvPfS3_PT_PKS4_PKT0_SA_ifPKiSC_iPKfiiiSE_SE_iiiii
                                        ; -- End function
	.section	.AMDGPU.csdata,"",@progbits
; Function info:
; codeLenInByte = 60212
; NumSgprs: 35
; NumVgprs: 184
; ScratchSize: 300
; MemoryBound: 0
	.section	.text._ZN4vllm25paged_attention_v2_kernelI14__hip_bfloat16hLi64ELi32ELi128ELNS_18Fp8KVCacheDataTypeE1ELb1ELi512EEEvPfS3_PT_PKS4_PKT0_SA_ifPKiSC_iPKfiiiSE_SE_iiiii,"axG",@progbits,_ZN4vllm25paged_attention_v2_kernelI14__hip_bfloat16hLi64ELi32ELi128ELNS_18Fp8KVCacheDataTypeE1ELb1ELi512EEEvPfS3_PT_PKS4_PKT0_SA_ifPKiSC_iPKfiiiSE_SE_iiiii,comdat
	.protected	_ZN4vllm25paged_attention_v2_kernelI14__hip_bfloat16hLi64ELi32ELi128ELNS_18Fp8KVCacheDataTypeE1ELb1ELi512EEEvPfS3_PT_PKS4_PKT0_SA_ifPKiSC_iPKfiiiSE_SE_iiiii ; -- Begin function _ZN4vllm25paged_attention_v2_kernelI14__hip_bfloat16hLi64ELi32ELi128ELNS_18Fp8KVCacheDataTypeE1ELb1ELi512EEEvPfS3_PT_PKS4_PKT0_SA_ifPKiSC_iPKfiiiSE_SE_iiiii
	.globl	_ZN4vllm25paged_attention_v2_kernelI14__hip_bfloat16hLi64ELi32ELi128ELNS_18Fp8KVCacheDataTypeE1ELb1ELi512EEEvPfS3_PT_PKS4_PKT0_SA_ifPKiSC_iPKfiiiSE_SE_iiiii
	.p2align	8
	.type	_ZN4vllm25paged_attention_v2_kernelI14__hip_bfloat16hLi64ELi32ELi128ELNS_18Fp8KVCacheDataTypeE1ELb1ELi512EEEvPfS3_PT_PKS4_PKT0_SA_ifPKiSC_iPKfiiiSE_SE_iiiii,@function
_ZN4vllm25paged_attention_v2_kernelI14__hip_bfloat16hLi64ELi32ELi128ELNS_18Fp8KVCacheDataTypeE1ELb1ELi512EEEvPfS3_PT_PKS4_PKT0_SA_ifPKiSC_iPKfiiiSE_SE_iiiii: ; @_ZN4vllm25paged_attention_v2_kernelI14__hip_bfloat16hLi64ELi32ELi128ELNS_18Fp8KVCacheDataTypeE1ELb1ELi512EEEvPfS3_PT_PKS4_PKT0_SA_ifPKiSC_iPKfiiiSE_SE_iiiii
; %bb.0:
	s_mov_b32 s12, s13
	s_clause 0x7
	s_load_b128 s[4:7], s[0:1], 0x78
	s_load_b32 s8, s[0:1], 0x88
	s_load_b256 s[24:31], s[0:1], 0x0
	s_load_b256 s[36:43], s[0:1], 0x20
	s_load_b64 s[2:3], s[0:1], 0x40
	s_load_b64 s[10:11], s[0:1], 0x50
	s_load_b32 s13, s[0:1], 0x48
	s_load_b256 s[16:23], s[0:1], 0x58
	s_mov_b32 s32, 0
	v_mov_b32_e32 v31, v0
	s_waitcnt lgkmcnt(0)
	v_dual_mov_b32 v1, s7 :: v_dual_mov_b32 v2, s8
	v_dual_mov_b32 v0, s24 :: v_dual_mov_b32 v3, s27
	;; [unrolled: 1-line block ×3, first 2 shown]
	v_mov_b32_e32 v6, s30
	scratch_store_b64 off, v[1:2], s32
	v_dual_mov_b32 v1, s25 :: v_dual_mov_b32 v2, s26
	v_dual_mov_b32 v7, s31 :: v_dual_mov_b32 v8, s36
	;; [unrolled: 1-line block ×13, first 2 shown]
	s_add_u32 s8, s0, 0x90
	s_addc_u32 s9, s1, 0
	s_mov_b32 s13, s14
	s_mov_b32 s14, s15
	s_mov_b32 s15, 44
	s_getpc_b64 s[0:1]
	s_add_u32 s0, s0, _ZN4vllm22paged_attention_kernelI14__hip_bfloat16hLi64ELi32ELi128ELNS_18Fp8KVCacheDataTypeE1ELb1ELi512EEEvPfS3_PT_PKS4_PKT0_SA_ifPKiSC_iPKfiiiSE_SE_iiiii@rel32@lo+4
	s_addc_u32 s1, s1, _ZN4vllm22paged_attention_kernelI14__hip_bfloat16hLi64ELi32ELi128ELNS_18Fp8KVCacheDataTypeE1ELb1ELi512EEEvPfS3_PT_PKS4_PKT0_SA_ifPKiSC_iPKfiiiSE_SE_iiiii@rel32@hi+12
	s_delay_alu instid0(SALU_CYCLE_1)
	s_swappc_b64 s[30:31], s[0:1]
	s_endpgm
	.section	.rodata,"a",@progbits
	.p2align	6, 0x0
	.amdhsa_kernel _ZN4vllm25paged_attention_v2_kernelI14__hip_bfloat16hLi64ELi32ELi128ELNS_18Fp8KVCacheDataTypeE1ELb1ELi512EEEvPfS3_PT_PKS4_PKT0_SA_ifPKiSC_iPKfiiiSE_SE_iiiii
		.amdhsa_group_segment_fixed_size 160
		.amdhsa_private_segment_fixed_size 300
		.amdhsa_kernarg_size 400
		.amdhsa_user_sgpr_count 13
		.amdhsa_user_sgpr_dispatch_ptr 0
		.amdhsa_user_sgpr_queue_ptr 0
		.amdhsa_user_sgpr_kernarg_segment_ptr 1
		.amdhsa_user_sgpr_dispatch_id 0
		.amdhsa_user_sgpr_private_segment_size 0
		.amdhsa_wavefront_size32 1
		.amdhsa_uses_dynamic_stack 0
		.amdhsa_enable_private_segment 1
		.amdhsa_system_sgpr_workgroup_id_x 1
		.amdhsa_system_sgpr_workgroup_id_y 1
		.amdhsa_system_sgpr_workgroup_id_z 1
		.amdhsa_system_sgpr_workgroup_info 0
		.amdhsa_system_vgpr_workitem_id 0
		.amdhsa_next_free_vgpr 184
		.amdhsa_next_free_sgpr 44
		.amdhsa_reserve_vcc 1
		.amdhsa_float_round_mode_32 0
		.amdhsa_float_round_mode_16_64 0
		.amdhsa_float_denorm_mode_32 3
		.amdhsa_float_denorm_mode_16_64 3
		.amdhsa_dx10_clamp 1
		.amdhsa_ieee_mode 1
		.amdhsa_fp16_overflow 0
		.amdhsa_workgroup_processor_mode 1
		.amdhsa_memory_ordered 1
		.amdhsa_forward_progress 0
		.amdhsa_shared_vgpr_count 0
		.amdhsa_exception_fp_ieee_invalid_op 0
		.amdhsa_exception_fp_denorm_src 0
		.amdhsa_exception_fp_ieee_div_zero 0
		.amdhsa_exception_fp_ieee_overflow 0
		.amdhsa_exception_fp_ieee_underflow 0
		.amdhsa_exception_fp_ieee_inexact 0
		.amdhsa_exception_int_div_zero 0
	.end_amdhsa_kernel
	.section	.text._ZN4vllm25paged_attention_v2_kernelI14__hip_bfloat16hLi64ELi32ELi128ELNS_18Fp8KVCacheDataTypeE1ELb1ELi512EEEvPfS3_PT_PKS4_PKT0_SA_ifPKiSC_iPKfiiiSE_SE_iiiii,"axG",@progbits,_ZN4vllm25paged_attention_v2_kernelI14__hip_bfloat16hLi64ELi32ELi128ELNS_18Fp8KVCacheDataTypeE1ELb1ELi512EEEvPfS3_PT_PKS4_PKT0_SA_ifPKiSC_iPKfiiiSE_SE_iiiii,comdat
.Lfunc_end437:
	.size	_ZN4vllm25paged_attention_v2_kernelI14__hip_bfloat16hLi64ELi32ELi128ELNS_18Fp8KVCacheDataTypeE1ELb1ELi512EEEvPfS3_PT_PKS4_PKT0_SA_ifPKiSC_iPKfiiiSE_SE_iiiii, .Lfunc_end437-_ZN4vllm25paged_attention_v2_kernelI14__hip_bfloat16hLi64ELi32ELi128ELNS_18Fp8KVCacheDataTypeE1ELb1ELi512EEEvPfS3_PT_PKS4_PKT0_SA_ifPKiSC_iPKfiiiSE_SE_iiiii
                                        ; -- End function
	.section	.AMDGPU.csdata,"",@progbits
; Kernel info:
; codeLenInByte = 280
; NumSgprs: 46
; NumVgprs: 184
; ScratchSize: 300
; MemoryBound: 0
; FloatMode: 240
; IeeeMode: 1
; LDSByteSize: 160 bytes/workgroup (compile time only)
; SGPRBlocks: 5
; VGPRBlocks: 22
; NumSGPRsForWavesPerEU: 46
; NumVGPRsForWavesPerEU: 184
; Occupancy: 8
; WaveLimiterHint : 1
; COMPUTE_PGM_RSRC2:SCRATCH_EN: 1
; COMPUTE_PGM_RSRC2:USER_SGPR: 13
; COMPUTE_PGM_RSRC2:TRAP_HANDLER: 0
; COMPUTE_PGM_RSRC2:TGID_X_EN: 1
; COMPUTE_PGM_RSRC2:TGID_Y_EN: 1
; COMPUTE_PGM_RSRC2:TGID_Z_EN: 1
; COMPUTE_PGM_RSRC2:TIDIG_COMP_CNT: 0
	.text
	.p2align	2                               ; -- Begin function _ZN4vllm22paged_attention_kernelI14__hip_bfloat16hLi80ELi32ELi128ELNS_18Fp8KVCacheDataTypeE1ELb1ELi512EEEvPfS3_PT_PKS4_PKT0_SA_ifPKiSC_iPKfiiiSE_SE_iiiii
	.type	_ZN4vllm22paged_attention_kernelI14__hip_bfloat16hLi80ELi32ELi128ELNS_18Fp8KVCacheDataTypeE1ELb1ELi512EEEvPfS3_PT_PKS4_PKT0_SA_ifPKiSC_iPKfiiiSE_SE_iiiii,@function
_ZN4vllm22paged_attention_kernelI14__hip_bfloat16hLi80ELi32ELi128ELNS_18Fp8KVCacheDataTypeE1ELb1ELi512EEEvPfS3_PT_PKS4_PKT0_SA_ifPKiSC_iPKfiiiSE_SE_iiiii: ; @_ZN4vllm22paged_attention_kernelI14__hip_bfloat16hLi80ELi32ELi128ELNS_18Fp8KVCacheDataTypeE1ELb1ELi512EEEvPfS3_PT_PKS4_PKT0_SA_ifPKiSC_iPKfiiiSE_SE_iiiii
; %bb.0:
	s_waitcnt vmcnt(0) expcnt(0) lgkmcnt(0)
	s_clause 0x1f
	scratch_store_b32 off, v40, s32 offset:324
	; meta instruction
	scratch_store_b32 off, v41, s32 offset:320
	; meta instruction
	;; [unrolled: 2-line block ×31, first 2 shown]
	scratch_store_b32 off, v95, s32 offset:200
	s_clause 0x1f
	scratch_store_b32 off, v104, s32 offset:196
	; meta instruction
	scratch_store_b32 off, v105, s32 offset:192
	; meta instruction
	;; [unrolled: 2-line block ×31, first 2 shown]
	scratch_store_b32 off, v159, s32 offset:72
	s_clause 0xf
	scratch_store_b32 off, v168, s32 offset:68
	; meta instruction
	scratch_store_b32 off, v169, s32 offset:64
	; meta instruction
	;; [unrolled: 2-line block ×15, first 2 shown]
	scratch_store_b32 off, v191, s32 offset:8
	s_mov_b32 s4, s13
	s_ashr_i32 s5, s13, 31
	v_dual_mov_b32 v34, v3 :: v_dual_mov_b32 v33, v0
	s_lshl_b64 s[0:1], s[4:5], 2
	v_mov_b32_e32 v32, v1
	v_add_co_u32 v0, vcc_lo, v16, s0
	v_add_co_ci_u32_e32 v1, vcc_lo, s1, v17, vcc_lo
	v_dual_mov_b32 v90, v5 :: v_dual_mov_b32 v35, v2
	flat_load_b32 v38, v[0:1]
	s_clause 0x1
	scratch_load_b32 v0, off, s32 offset:4
	scratch_load_b32 v1, off, s32
	s_lshl_b32 s3, s14, 9
	s_mov_b32 s5, exec_lo
	s_waitcnt vmcnt(2) lgkmcnt(0)
	v_cmpx_lt_i32_e64 s3, v38
	s_cbranch_execz .LBB438_2405
; %bb.1:
	v_sub_nc_u32_e32 v2, 0, v12
	s_clause 0x1
	s_load_b32 s0, s[8:9], 0x10
	s_load_b32 s1, s[8:9], 0x0
	scratch_store_b32 off, v4, s32 offset:356 ; 4-byte Folded Spill
	s_mov_b32 s10, s15
	v_max_i32_e32 v2, v12, v2
	v_mov_b32_e32 v53, 0
	s_delay_alu instid0(VALU_DEP_2) | instskip(SKIP_1) | instid1(VALU_DEP_2)
	v_cvt_f32_u32_e32 v3, v2
	v_sub_nc_u32_e32 v4, 0, v2
	v_rcp_iflag_f32_e32 v3, v3
	s_waitcnt lgkmcnt(0)
	s_lshr_b32 s0, s0, 16
	s_delay_alu instid0(SALU_CYCLE_1) | instskip(SKIP_3) | instid1(SALU_CYCLE_1)
	s_cmp_lg_u32 s0, 0
	s_waitcnt_depctr 0xfff
	v_mul_f32_e32 v3, 0x4f7ffffe, v3
	s_cselect_b32 s0, -1, 0
	s_cmp_lg_u32 s0, 0
	s_delay_alu instid0(VALU_DEP_1) | instskip(SKIP_3) | instid1(VALU_DEP_1)
	v_cvt_u32_f32_e32 v3, v3
	s_addc_u32 s18, s1, 0
	s_mov_b32 s1, exec_lo
	s_abs_i32 s0, s18
	v_mul_lo_u32 v4, v4, v3
	s_delay_alu instid0(VALU_DEP_1) | instskip(NEXT) | instid1(VALU_DEP_1)
	v_mul_hi_u32 v4, v3, v4
	v_add_nc_u32_e32 v3, v3, v4
	s_delay_alu instid0(VALU_DEP_1) | instskip(NEXT) | instid1(VALU_DEP_1)
	v_mul_hi_u32 v3, s0, v3
	v_mul_lo_u32 v4, v3, v2
	v_add_nc_u32_e32 v5, 1, v3
	s_delay_alu instid0(VALU_DEP_2) | instskip(SKIP_1) | instid1(VALU_DEP_1)
	v_sub_nc_u32_e32 v4, s0, v4
	s_abs_i32 s0, s12
	v_sub_nc_u32_e32 v16, v4, v2
	v_cmp_ge_u32_e32 vcc_lo, v4, v2
	s_delay_alu instid0(VALU_DEP_2) | instskip(SKIP_1) | instid1(VALU_DEP_2)
	v_dual_cndmask_b32 v3, v3, v5 :: v_dual_cndmask_b32 v4, v4, v16
	v_xor_b32_e32 v5, s18, v12
	v_add_nc_u32_e32 v16, 1, v3
	s_delay_alu instid0(VALU_DEP_3) | instskip(NEXT) | instid1(VALU_DEP_3)
	v_cmp_ge_u32_e32 vcc_lo, v4, v2
	v_ashrrev_i32_e32 v5, 31, v5
	s_delay_alu instid0(VALU_DEP_3) | instskip(NEXT) | instid1(VALU_DEP_1)
	v_cndmask_b32_e32 v2, v3, v16, vcc_lo
	v_xor_b32_e32 v2, v2, v5
	s_delay_alu instid0(VALU_DEP_1) | instskip(NEXT) | instid1(VALU_DEP_1)
	v_sub_nc_u32_e32 v3, v2, v5
	v_sub_nc_u32_e32 v2, 0, v3
	s_delay_alu instid0(VALU_DEP_1) | instskip(NEXT) | instid1(VALU_DEP_1)
	v_max_i32_e32 v2, v3, v2
	v_cvt_f32_u32_e32 v4, v2
	v_sub_nc_u32_e32 v5, 0, v2
	s_delay_alu instid0(VALU_DEP_2) | instskip(SKIP_2) | instid1(VALU_DEP_1)
	v_rcp_iflag_f32_e32 v4, v4
	s_waitcnt_depctr 0xfff
	v_mul_f32_e32 v4, 0x4f7ffffe, v4
	v_cvt_u32_f32_e32 v4, v4
	s_delay_alu instid0(VALU_DEP_1) | instskip(NEXT) | instid1(VALU_DEP_1)
	v_mul_lo_u32 v5, v5, v4
	v_mul_hi_u32 v5, v4, v5
	s_delay_alu instid0(VALU_DEP_1) | instskip(NEXT) | instid1(VALU_DEP_1)
	v_add_nc_u32_e32 v4, v4, v5
	v_mad_u64_u32 v[16:17], null, s0, v4, 0
	v_cmpx_ne_u64_e32 0, v[19:20]
	s_cbranch_execz .LBB438_3
; %bb.2:
	s_ashr_i32 s13, s12, 31
	s_delay_alu instid0(SALU_CYCLE_1) | instskip(NEXT) | instid1(SALU_CYCLE_1)
	s_lshl_b64 s[6:7], s[12:13], 2
	v_add_co_u32 v4, vcc_lo, v19, s6
	v_add_co_ci_u32_e32 v5, vcc_lo, s7, v20, vcc_lo
	flat_load_b32 v53, v[4:5]
.LBB438_3:
	s_or_b32 exec_lo, exec_lo, s1
	v_and_b32_e32 v88, 0x3ff, v31
	v_ashrrev_i32_e32 v3, 31, v3
	s_ashr_i32 s1, s12, 31
	s_mul_i32 s6, s12, 0x50
	s_mov_b32 s2, exec_lo
	v_cmpx_gt_u32_e32 10, v88
	s_cbranch_execz .LBB438_5
; %bb.4:
	v_mul_lo_u32 v4, s4, v21
	s_ashr_i32 s7, s6, 31
	v_lshlrev_b32_e32 v16, 4, v88
	s_lshl_b64 s[16:17], s[6:7], 1
	s_delay_alu instid0(VALU_DEP_2) | instskip(NEXT) | instid1(VALU_DEP_1)
	v_ashrrev_i32_e32 v5, 31, v4
	v_lshlrev_b64 v[4:5], 1, v[4:5]
	s_delay_alu instid0(VALU_DEP_1) | instskip(NEXT) | instid1(VALU_DEP_2)
	v_add_co_u32 v4, vcc_lo, v6, v4
	v_add_co_ci_u32_e32 v5, vcc_lo, v7, v5, vcc_lo
	s_delay_alu instid0(VALU_DEP_2) | instskip(NEXT) | instid1(VALU_DEP_2)
	v_add_co_u32 v4, vcc_lo, v4, s16
	v_add_co_ci_u32_e32 v5, vcc_lo, s17, v5, vcc_lo
	s_delay_alu instid0(VALU_DEP_2) | instskip(NEXT) | instid1(VALU_DEP_2)
	v_add_co_u32 v4, vcc_lo, v4, v16
	v_add_co_ci_u32_e32 v5, vcc_lo, 0, v5, vcc_lo
	flat_load_b128 v[4:7], v[4:5]
	s_waitcnt vmcnt(0) lgkmcnt(0)
	ds_store_b128 v16, v[4:7]
.LBB438_5:
	s_or_b32 exec_lo, exec_lo, s2
	s_waitcnt vmcnt(0)
	v_sub_nc_u32_e32 v4, 0, v1
	v_mul_lo_u32 v5, v17, v2
	v_xor_b32_e32 v3, s1, v3
	s_waitcnt lgkmcnt(0)
	s_waitcnt_vscnt null, 0x0
	s_barrier
	v_max_i32_e32 v21, v1, v4
	buffer_gl0_inv
	v_add_nc_u32_e32 v7, 1, v17
	v_sub_nc_u32_e32 v5, s0, v5
	v_cvt_f32_u32_e32 v4, v21
	s_mov_b32 s0, exec_lo
	s_delay_alu instid0(VALU_DEP_2) | instskip(NEXT) | instid1(VALU_DEP_2)
	v_sub_nc_u32_e32 v19, v5, v2
	v_rcp_iflag_f32_e32 v4, v4
	v_cmp_ge_u32_e32 vcc_lo, v5, v2
	s_delay_alu instid0(VALU_DEP_2) | instskip(SKIP_3) | instid1(VALU_DEP_2)
	v_cndmask_b32_e32 v5, v5, v19, vcc_lo
	s_waitcnt_depctr 0xfff
	v_dual_cndmask_b32 v7, v17, v7 :: v_dual_mul_f32 v4, 0x4f7ffffe, v4
	v_cmp_ge_u32_e32 vcc_lo, v5, v2
	v_cvt_u32_f32_e32 v6, v4
	v_sub_nc_u32_e32 v4, 0, v21
	s_delay_alu instid0(VALU_DEP_1) | instskip(SKIP_2) | instid1(VALU_DEP_1)
	v_mul_lo_u32 v16, v4, v6
	v_add_nc_u32_e32 v4, -1, v38
	v_add_nc_u32_e32 v19, 1, v7
	v_cndmask_b32_e32 v5, v7, v19, vcc_lo
	s_delay_alu instid0(VALU_DEP_4) | instskip(NEXT) | instid1(VALU_DEP_4)
	v_mul_hi_u32 v17, v6, v16
	v_sub_nc_u32_e32 v16, 0, v4
	s_delay_alu instid0(VALU_DEP_3) | instskip(NEXT) | instid1(VALU_DEP_2)
	v_xor_b32_e32 v5, v5, v3
	v_max_i32_e32 v2, v4, v16
                                        ; implicit-def: $vgpr16
	s_delay_alu instid0(VALU_DEP_4) | instskip(NEXT) | instid1(VALU_DEP_1)
	v_add_nc_u32_e32 v49, v6, v17
	v_mad_u64_u32 v[6:7], null, v2, v49, 0
	s_delay_alu instid0(VALU_DEP_4)
	v_sub_nc_u32_e32 v6, v5, v3
	v_cmpx_gt_i32_e32 0, v0
	s_xor_b32 s0, exec_lo, s0
; %bb.6:
	s_delay_alu instid0(VALU_DEP_2) | instskip(NEXT) | instid1(VALU_DEP_1)
	v_mad_u64_u32 v[16:17], null, v28, v12, v[6:7]
                                        ; implicit-def: $vgpr28
	v_mul_lo_u32 v0, v16, v0
	s_delay_alu instid0(VALU_DEP_1)
	v_sub_nc_u32_e32 v16, 1, v0
                                        ; implicit-def: $vgpr0
; %bb.7:
	s_or_saveexec_b32 s0, s0
	v_ashrrev_i32_e32 v3, 31, v4
	v_ashrrev_i32_e32 v50, 31, v1
	s_xor_b32 exec_lo, exec_lo, s0
; %bb.8:
	v_mad_u64_u32 v[4:5], null, s18, v28, s[12:13]
	s_delay_alu instid0(VALU_DEP_1)
	v_mad_u64_u32 v[16:17], null, v4, v0, 1
; %bb.9:
	s_or_b32 exec_lo, exec_lo, s0
	v_mul_lo_u32 v0, v7, v21
	v_dual_mov_b32 v61, 0xff7fffff :: v_dual_add_nc_u32 v4, 1, v7
	s_clause 0x1
	s_load_b32 s15, s[8:9], 0x14
	s_load_b32 s7, s[8:9], 0x8
	v_xor_b32_e32 v3, v3, v50
	s_lshl_b32 s13, s14, 4
	v_lshrrev_b32_e32 v89, 5, v88
	v_mul_lo_u32 v37, v6, v23
	v_sub_nc_u32_e32 v2, v2, v0
	v_mul_lo_u32 v0, s4, v18
	s_add_i32 s0, s13, 16
	v_sub_nc_u32_e32 v48, 0, v30
	v_lshl_add_u32 v23, v89, 5, s3
	v_cmp_ge_u32_e32 vcc_lo, v2, v21
	v_add_nc_u32_e32 v1, 31, v38
	v_sub_nc_u32_e32 v12, v2, v21
	v_ashrrev_i32_e32 v54, 31, v37
	v_dual_cndmask_b32 v4, v7, v4 :: v_dual_add_nc_u32 v17, s13, v89
	s_delay_alu instid0(VALU_DEP_4) | instskip(NEXT) | instid1(VALU_DEP_2)
	v_ashrrev_i32_e32 v5, 31, v1
	v_ashrrev_i32_e32 v18, 31, v17
	s_delay_alu instid0(VALU_DEP_3) | instskip(NEXT) | instid1(VALU_DEP_3)
	v_add_nc_u32_e32 v7, 1, v4
	v_lshrrev_b32_e32 v5, 27, v5
	v_cndmask_b32_e32 v2, v2, v12, vcc_lo
	v_and_b32_e32 v12, 31, v88
	s_delay_alu instid0(VALU_DEP_3) | instskip(NEXT) | instid1(VALU_DEP_3)
	v_add_nc_u32_e32 v1, v1, v5
	v_cmp_ge_u32_e32 vcc_lo, v2, v21
	scratch_store_b32 off, v12, s32 offset:328 ; 4-byte Folded Spill
	v_lshlrev_b32_e32 v12, 2, v12
	v_ashrrev_i32_e32 v39, 5, v1
	v_cndmask_b32_e32 v2, v4, v7, vcc_lo
	v_ashrrev_i32_e32 v1, 31, v0
	s_delay_alu instid0(VALU_DEP_3) | instskip(NEXT) | instid1(VALU_DEP_3)
	v_min_i32_e32 v51, s0, v39
	v_xor_b32_e32 v2, v2, v3
	s_delay_alu instid0(VALU_DEP_3) | instskip(NEXT) | instid1(VALU_DEP_3)
	v_lshlrev_b64 v[68:69], 2, v[0:1]
	v_cmp_lt_i32_e64 s0, v17, v51
	s_delay_alu instid0(VALU_DEP_3) | instskip(NEXT) | instid1(VALU_DEP_1)
	v_sub_nc_u32_e32 v2, v2, v3
	v_sub_nc_u32_e32 v52, v2, v29
	s_mov_b32 s19, exec_lo
	s_delay_alu instid0(VALU_DEP_3) | instid1(SALU_CYCLE_1)
	s_and_b32 s1, s19, s0
	s_clause 0x1
	scratch_store_b32 off, v88, s32 offset:348
	scratch_store_b32 off, v89, s32 offset:352
	s_mov_b32 exec_lo, s1
	s_cbranch_execz .LBB438_977
; %bb.10:
	v_mov_b32_e32 v20, 0
	s_clause 0x7
	scratch_store_b32 off, v39, s32 offset:412
	scratch_store_b32 off, v35, s32 offset:396
	;; [unrolled: 1-line block ×8, first 2 shown]
	v_lshl_add_u32 v78, v89, 5, s3
	v_lshl_or_b32 v79, v89, 7, v12
	v_max_i32_e32 v182, v30, v48
	ds_load_b128 v[0:3], v20
	ds_load_b128 v[4:7], v20 offset:16
	ds_load_b128 v[64:67], v20 offset:32
	;; [unrolled: 1-line block ×3, first 2 shown]
	s_getpc_b64 s[8:9]
	s_add_u32 s8, s8, llvm.amdgcn.dynlds.offset.table@rel32@lo+4
	s_addc_u32 s9, s9, llvm.amdgcn.dynlds.offset.table@rel32@hi+12
	s_ashr_i32 s11, s10, 31
	s_mov_b32 s20, 0
	s_lshl_b64 s[16:17], s[10:11], 2
	v_mov_b32_e32 v61, 0xff7fffff
	v_mov_b32_e32 v89, v17
	s_add_u32 s8, s16, s8
	s_addc_u32 s9, s17, s9
	s_mov_b32 s16, -1
	s_mov_b32 s17, 0xffffff
	v_mov_b32_e32 v88, 0xff7fffff
	s_waitcnt lgkmcnt(0)
	v_and_b32_e32 v71, 0xffff0000, v2
	v_lshlrev_b32_e32 v10, 16, v0
	v_and_b32_e32 v0, 0xffff0000, v0
	v_lshlrev_b32_e32 v70, 16, v2
	v_lshlrev_b32_e32 v80, 16, v3
	v_and_b32_e32 v81, 0xffff0000, v3
	s_clause 0x1
	scratch_store_b32 off, v10, s32 offset:332
	scratch_store_b32 off, v0, s32 offset:336
	v_lshlrev_b32_e32 v0, 16, v1
	v_lshlrev_b32_e32 v82, 16, v4
	v_and_b32_e32 v83, 0xffff0000, v4
	v_lshlrev_b32_e32 v84, 16, v5
	v_and_b32_e32 v85, 0xffff0000, v5
	scratch_store_b32 off, v0, s32 offset:340 ; 4-byte Folded Spill
	v_and_b32_e32 v0, 0xffff0000, v1
	v_lshlrev_b32_e32 v86, 16, v6
	v_and_b32_e32 v87, 0xffff0000, v6
	v_lshlrev_b32_e32 v96, 16, v7
	v_and_b32_e32 v97, 0xffff0000, v7
	scratch_store_b32 off, v0, s32 offset:344 ; 4-byte Folded Spill
	ds_load_b128 v[0:3], v20 offset:64
	ds_load_b128 v[4:7], v20 offset:80
	v_lshlrev_b32_e32 v98, 16, v64
	v_and_b32_e32 v99, 0xffff0000, v64
	v_lshlrev_b32_e32 v100, 16, v65
	v_and_b32_e32 v101, 0xffff0000, v65
	;; [unrolled: 2-line block ×7, first 2 shown]
	v_lshlrev_b32_e32 v128, 16, v35
	ds_load_b128 v[64:67], v20 offset:96
	v_and_b32_e32 v129, 0xffff0000, v35
	ds_load_b128 v[32:35], v20 offset:112
	s_waitcnt lgkmcnt(3)
	v_lshlrev_b32_e32 v130, 16, v0
	v_and_b32_e32 v131, 0xffff0000, v0
	v_lshlrev_b32_e32 v132, 16, v1
	v_and_b32_e32 v133, 0xffff0000, v1
	;; [unrolled: 2-line block ×4, first 2 shown]
	s_waitcnt lgkmcnt(2)
	v_lshlrev_b32_e32 v146, 16, v4
	v_and_b32_e32 v147, 0xffff0000, v4
	v_lshlrev_b32_e32 v148, 16, v5
	v_and_b32_e32 v149, 0xffff0000, v5
	;; [unrolled: 2-line block ×4, first 2 shown]
	ds_load_b128 v[0:3], v20 offset:128
	ds_load_b128 v[4:7], v20 offset:144
	s_clause 0x1
	scratch_store_b32 off, v30, s32 offset:372
	scratch_store_b32 off, v48, s32 offset:416
	v_cvt_f32_u32_e32 v10, v182
	s_load_b32 s11, s[8:9], 0x0
	s_waitcnt lgkmcnt(0)
	v_lshlrev_b32_e32 v162, 16, v64
	v_and_b32_e32 v163, 0xffff0000, v64
	v_lshlrev_b32_e32 v164, 16, v65
	v_and_b32_e32 v165, 0xffff0000, v65
	v_lshlrev_b32_e32 v166, 16, v66
	v_and_b32_e32 v167, 0xffff0000, v66
	v_lshlrev_b32_e32 v176, 16, v67
	v_and_b32_e32 v177, 0xffff0000, v67
	v_lshlrev_b32_e32 v178, 16, v32
	v_and_b32_e32 v179, 0xffff0000, v32
	v_lshlrev_b32_e32 v180, 16, v33
	v_and_b32_e32 v181, 0xffff0000, v33
	v_and_b32_e32 v40, 0xffff0000, v34
	v_lshlrev_b32_e32 v41, 16, v35
	v_and_b32_e32 v42, 0xffff0000, v35
	v_lshlrev_b32_e32 v43, 16, v0
	v_lshlrev_b32_e32 v72, 16, v6
	v_and_b32_e32 v73, 0xffff0000, v6
	scratch_load_b32 v6, off, s32 offset:328 ; 4-byte Folded Reload
	v_and_b32_e32 v44, 0xffff0000, v0
	v_rcp_iflag_f32_e32 v0, v10
	v_lshlrev_b32_e32 v183, 16, v34
	v_lshlrev_b32_e32 v47, 16, v2
	v_and_b32_e32 v56, 0xffff0000, v2
	v_lshlrev_b32_e32 v62, 16, v5
	v_and_b32_e32 v63, 0xffff0000, v5
	;; [unrolled: 2-line block ×4, first 2 shown]
	v_mul_f32_e32 v0, 0x4f7ffffe, v0
	v_add_co_u32 v3, vcc_lo, v8, v37
	v_lshlrev_b32_e32 v59, 16, v4
	v_and_b32_e32 v60, 0xffff0000, v4
	s_delay_alu instid0(VALU_DEP_4) | instskip(SKIP_4) | instid1(VALU_DEP_4)
	v_cvt_u32_f32_e32 v2, v0
	v_sub_nc_u32_e32 v0, 0, v182
	v_add_co_ci_u32_e32 v4, vcc_lo, v9, v54, vcc_lo
	v_lshlrev_b32_e32 v74, 16, v7
	v_and_b32_e32 v75, 0xffff0000, v7
	v_mul_lo_u32 v5, v0, v2
	s_clause 0x5
	scratch_store_b32 off, v37, s32 offset:408
	scratch_store_b32 off, v54, s32 offset:420
	;; [unrolled: 1-line block ×3, first 2 shown]
	scratch_store_b64 off, v[68:69], s32 offset:400
	scratch_store_b32 off, v14, s32 offset:368
	scratch_store_b32 off, v15, s32 offset:364
	s_waitcnt vmcnt(0)
	v_lshlrev_b32_e32 v1, 4, v6
	s_delay_alu instid0(VALU_DEP_1) | instskip(SKIP_3) | instid1(VALU_DEP_3)
	v_add_co_u32 v8, vcc_lo, v3, v1
	v_lshlrev_b64 v[0:1], 2, v[17:18]
	v_mul_hi_u32 v3, v2, v5
	v_add_co_ci_u32_e32 v9, vcc_lo, 0, v4, vcc_lo
	v_add_co_u32 v0, vcc_lo, v68, v0
	s_delay_alu instid0(VALU_DEP_4) | instskip(NEXT) | instid1(VALU_DEP_4)
	v_add_co_ci_u32_e32 v1, vcc_lo, v69, v1, vcc_lo
	v_add_nc_u32_e32 v76, v2, v3
	v_sub_nc_u32_e32 v2, v6, v38
	s_delay_alu instid0(VALU_DEP_4) | instskip(NEXT) | instid1(VALU_DEP_4)
	v_add_co_u32 v28, vcc_lo, v14, v0
	v_add_co_ci_u32_e32 v29, vcc_lo, v15, v1, vcc_lo
	v_cmp_neq_f32_e32 vcc_lo, 0, v53
	s_delay_alu instid0(VALU_DEP_4)
	v_add_nc_u32_e32 v77, 1, v2
	s_branch .LBB438_13
.LBB438_11:                             ;   in Loop: Header=BB438_13 Depth=1
	s_or_b32 exec_lo, exec_lo, s21
	s_clause 0x2
	scratch_load_b32 v67, off, s32 offset:332
	scratch_load_b32 v68, off, s32 offset:336
	;; [unrolled: 1-line block ×3, first 2 shown]
	v_and_b32_e32 v31, 0xffff0000, v107
	v_and_b32_e32 v32, 0xffff0000, v90
	scratch_load_b32 v90, off, s32 offset:344 ; 4-byte Folded Reload
	v_and_b32_e32 v11, 0xffff0000, v11
	v_dual_mul_f32 v31, v82, v31 :: v_dual_and_b32 v64, 0xffff0000, v64
	v_and_b32_e32 v54, 0xffff0000, v54
	v_and_b32_e32 v39, 0xffff0000, v39
	;; [unrolled: 1-line block ×4, first 2 shown]
	s_load_b32 s21, s[8:9], 0x0
	v_and_b32_e32 v3, 0xffff0000, v3
	v_and_b32_e32 v1, 0xffff0000, v1
	;; [unrolled: 1-line block ×3, first 2 shown]
	s_waitcnt vmcnt(3)
	v_fmac_f32_e32 v31, v67, v32
	v_and_b32_e32 v32, 0xffff0000, v108
	v_and_b32_e32 v67, 0xffff0000, v92
	;; [unrolled: 1-line block ×3, first 2 shown]
	s_delay_alu instid0(VALU_DEP_3) | instskip(SKIP_1) | instid1(VALU_DEP_1)
	v_mul_f32_e32 v32, v83, v32
	s_waitcnt vmcnt(2)
	v_dual_fmac_f32 v32, v68, v67 :: v_dual_and_b32 v67, 0xffff0000, v109
	v_and_b32_e32 v68, 0xffff0000, v93
	v_and_b32_e32 v93, 0xffff0000, v106
	;; [unrolled: 1-line block ×3, first 2 shown]
	s_delay_alu instid0(VALU_DEP_4) | instskip(SKIP_1) | instid1(VALU_DEP_1)
	v_mul_f32_e32 v67, v84, v67
	s_waitcnt vmcnt(1)
	v_dual_fmac_f32 v67, v69, v68 :: v_dual_and_b32 v68, 0xffff0000, v110
	s_delay_alu instid0(VALU_DEP_1) | instskip(SKIP_1) | instid1(VALU_DEP_1)
	v_dual_mul_f32 v68, v85, v68 :: v_dual_and_b32 v69, 0xffff0000, v94
	s_waitcnt vmcnt(0)
	v_dual_fmac_f32 v68, v90, v69 :: v_dual_and_b32 v69, 0xffff0000, v111
	s_delay_alu instid0(VALU_DEP_1) | instskip(NEXT) | instid1(VALU_DEP_1)
	v_dual_mul_f32 v69, v86, v69 :: v_dual_and_b32 v90, 0xffff0000, v95
	v_dual_fmac_f32 v69, v70, v90 :: v_dual_and_b32 v90, 0xffff0000, v120
	s_delay_alu instid0(VALU_DEP_1) | instskip(NEXT) | instid1(VALU_DEP_1)
	v_mul_f32_e32 v90, v87, v90
	v_dual_fmac_f32 v90, v71, v91 :: v_dual_and_b32 v91, 0xffff0000, v121
	s_delay_alu instid0(VALU_DEP_1) | instskip(NEXT) | instid1(VALU_DEP_1)
	v_mul_f32_e32 v91, v96, v91
	;; [unrolled: 3-line block ×3, first 2 shown]
	v_dual_fmac_f32 v92, v81, v93 :: v_dual_and_b32 v93, 0xffff0000, v123
	s_delay_alu instid0(VALU_DEP_1) | instskip(SKIP_1) | instid1(VALU_DEP_1)
	v_fmac_f32_e32 v31, v98, v93
	v_and_b32_e32 v93, 0xffff0000, v124
	v_fmac_f32_e32 v32, v99, v93
	v_and_b32_e32 v93, 0xffff0000, v125
	s_delay_alu instid0(VALU_DEP_1) | instskip(SKIP_1) | instid1(VALU_DEP_1)
	v_fmac_f32_e32 v67, v100, v93
	v_and_b32_e32 v93, 0xffff0000, v126
	v_dual_fmac_f32 v68, v101, v93 :: v_dual_and_b32 v93, 0xffff0000, v127
	s_delay_alu instid0(VALU_DEP_1) | instskip(SKIP_1) | instid1(VALU_DEP_1)
	v_fmac_f32_e32 v69, v102, v93
	v_and_b32_e32 v93, 0xffff0000, v136
	v_fmac_f32_e32 v90, v103, v93
	v_and_b32_e32 v93, 0xffff0000, v137
	s_delay_alu instid0(VALU_DEP_1) | instskip(SKIP_1) | instid1(VALU_DEP_1)
	v_fmac_f32_e32 v91, v112, v93
	v_and_b32_e32 v93, 0xffff0000, v138
	v_dual_fmac_f32 v92, v113, v93 :: v_dual_and_b32 v93, 0xffff0000, v139
	s_delay_alu instid0(VALU_DEP_1) | instskip(SKIP_1) | instid1(VALU_DEP_1)
	v_fmac_f32_e32 v31, v114, v93
	v_and_b32_e32 v93, 0xffff0000, v140
	v_fmac_f32_e32 v32, v115, v93
	v_and_b32_e32 v93, 0xffff0000, v141
	s_delay_alu instid0(VALU_DEP_1) | instskip(SKIP_1) | instid1(VALU_DEP_1)
	v_fmac_f32_e32 v67, v116, v93
	v_and_b32_e32 v93, 0xffff0000, v142
	v_dual_fmac_f32 v68, v117, v93 :: v_dual_and_b32 v93, 0xffff0000, v143
	s_delay_alu instid0(VALU_DEP_1) | instskip(SKIP_1) | instid1(VALU_DEP_1)
	v_fmac_f32_e32 v69, v118, v93
	v_and_b32_e32 v93, 0xffff0000, v152
	v_fmac_f32_e32 v90, v119, v93
	v_and_b32_e32 v93, 0xffff0000, v153
	s_delay_alu instid0(VALU_DEP_1) | instskip(SKIP_1) | instid1(VALU_DEP_1)
	v_fmac_f32_e32 v91, v128, v93
	v_and_b32_e32 v93, 0xffff0000, v154
	v_dual_fmac_f32 v92, v129, v93 :: v_dual_and_b32 v93, 0xffff0000, v155
	s_delay_alu instid0(VALU_DEP_1) | instskip(SKIP_1) | instid1(VALU_DEP_1)
	v_fmac_f32_e32 v31, v130, v93
	v_and_b32_e32 v93, 0xffff0000, v156
	v_fmac_f32_e32 v32, v131, v93
	v_and_b32_e32 v93, 0xffff0000, v157
	s_delay_alu instid0(VALU_DEP_1) | instskip(SKIP_1) | instid1(VALU_DEP_1)
	v_fmac_f32_e32 v67, v132, v93
	v_and_b32_e32 v93, 0xffff0000, v158
	v_dual_fmac_f32 v68, v133, v93 :: v_dual_and_b32 v93, 0xffff0000, v159
	s_delay_alu instid0(VALU_DEP_1) | instskip(SKIP_1) | instid1(VALU_DEP_1)
	v_fmac_f32_e32 v69, v134, v93
	v_and_b32_e32 v93, 0xffff0000, v168
	v_fmac_f32_e32 v90, v135, v93
	v_and_b32_e32 v93, 0xffff0000, v169
	s_delay_alu instid0(VALU_DEP_1) | instskip(SKIP_1) | instid1(VALU_DEP_1)
	v_fmac_f32_e32 v91, v144, v93
	v_and_b32_e32 v93, 0xffff0000, v170
	v_dual_fmac_f32 v92, v145, v93 :: v_dual_and_b32 v93, 0xffff0000, v171
	s_delay_alu instid0(VALU_DEP_1) | instskip(SKIP_1) | instid1(VALU_DEP_1)
	v_fmac_f32_e32 v31, v146, v93
	v_and_b32_e32 v93, 0xffff0000, v172
	v_fmac_f32_e32 v32, v147, v93
	v_and_b32_e32 v93, 0xffff0000, v173
	s_delay_alu instid0(VALU_DEP_1) | instskip(SKIP_1) | instid1(VALU_DEP_1)
	v_fmac_f32_e32 v67, v148, v93
	v_and_b32_e32 v93, 0xffff0000, v174
	v_dual_fmac_f32 v68, v149, v93 :: v_dual_and_b32 v93, 0xffff0000, v175
	s_delay_alu instid0(VALU_DEP_1) | instskip(SKIP_1) | instid1(VALU_DEP_1)
	v_fmac_f32_e32 v69, v150, v93
	v_and_b32_e32 v93, 0xffff0000, v187
	v_fmac_f32_e32 v31, v162, v93
	v_and_b32_e32 v93, 0xffff0000, v188
	s_delay_alu instid0(VALU_DEP_1) | instskip(NEXT) | instid1(VALU_DEP_1)
	v_dual_fmac_f32 v32, v163, v93 :: v_dual_and_b32 v93, 0xffff0000, v184
	v_fmac_f32_e32 v32, v179, v54
	v_and_b32_e32 v54, 0xffff0000, v186
	s_delay_alu instid0(VALU_DEP_1) | instskip(SKIP_1) | instid1(VALU_DEP_1)
	v_fmac_f32_e32 v92, v161, v54
	v_and_b32_e32 v54, 0xffff0000, v190
	v_fmac_f32_e32 v68, v165, v54
	v_and_b32_e32 v54, 0xffff0000, v65
	v_fmac_f32_e32 v90, v151, v93
	s_delay_alu instid0(VALU_DEP_3) | instskip(NEXT) | instid1(VALU_DEP_1)
	v_dual_fmac_f32 v68, v181, v39 :: v_dual_and_b32 v93, 0xffff0000, v185
	v_fmac_f32_e32 v91, v160, v93
	v_and_b32_e32 v93, 0xffff0000, v189
	s_delay_alu instid0(VALU_DEP_1) | instskip(NEXT) | instid1(VALU_DEP_1)
	v_fmac_f32_e32 v67, v164, v93
	v_fmac_f32_e32 v67, v180, v54
	s_delay_alu instid0(VALU_DEP_1) | instskip(SKIP_1) | instid1(VALU_DEP_1)
	v_fmac_f32_e32 v67, v45, v11
	v_fmac_f32_e32 v31, v178, v64
	v_dual_fmac_f32 v31, v43, v48 :: v_dual_and_b32 v48, 0xffff0000, v66
	s_delay_alu instid0(VALU_DEP_1) | instskip(SKIP_2) | instid1(VALU_DEP_2)
	v_dual_fmac_f32 v31, v59, v3 :: v_dual_fmac_f32 v32, v44, v48
	v_and_b32_e32 v3, 0xffff0000, v5
	v_and_b32_e32 v48, 0xffff0000, v191
	v_fmac_f32_e32 v91, v176, v3
	s_delay_alu instid0(VALU_DEP_4) | instskip(NEXT) | instid1(VALU_DEP_3)
	v_fmac_f32_e32 v32, v60, v2
	v_dual_fmac_f32 v69, v166, v48 :: v_dual_and_b32 v2, 0xffff0000, v55
	s_delay_alu instid0(VALU_DEP_1) | instskip(SKIP_1) | instid1(VALU_DEP_1)
	v_dual_fmac_f32 v90, v167, v2 :: v_dual_and_b32 v3, 0xffff0000, v7
	v_and_b32_e32 v2, 0xffff0000, v6
	v_dual_fmac_f32 v90, v40, v3 :: v_dual_fmac_f32 v69, v183, v2
	s_delay_alu instid0(VALU_DEP_1) | instskip(NEXT) | instid1(VALU_DEP_1)
	v_dual_fmac_f32 v69, v47, v1 :: v_dual_and_b32 v2, 0xffff0000, v10
	v_fmac_f32_e32 v68, v46, v2
	v_and_b32_e32 v2, 0xffff0000, v15
	v_and_b32_e32 v1, 0xffff0000, v14
	s_delay_alu instid0(VALU_DEP_2) | instskip(NEXT) | instid1(VALU_DEP_1)
	v_dual_fmac_f32 v67, v62, v2 :: v_dual_add_f32 v2, v31, v32
	v_dual_fmac_f32 v68, v63, v1 :: v_dual_add_f32 v1, v2, v67
	s_delay_alu instid0(VALU_DEP_1) | instskip(NEXT) | instid1(VALU_DEP_1)
	v_dual_add_f32 v1, v68, v1 :: v_dual_and_b32 v2, 0xffff0000, v4
	v_fmac_f32_e32 v92, v177, v2
	v_and_b32_e32 v2, 0xffff0000, v12
	s_delay_alu instid0(VALU_DEP_1) | instskip(NEXT) | instid1(VALU_DEP_1)
	v_dual_fmac_f32 v91, v41, v2 :: v_dual_and_b32 v2, 0xffff0000, v35
	v_fmac_f32_e32 v90, v56, v2
	v_and_b32_e32 v2, 0xffff0000, v30
	s_delay_alu instid0(VALU_DEP_1) | instskip(NEXT) | instid1(VALU_DEP_1)
	v_dual_fmac_f32 v69, v72, v2 :: v_dual_and_b32 v2, 0xffff0000, v37
	v_dual_add_f32 v1, v69, v1 :: v_dual_fmac_f32 v92, v42, v2
	v_and_b32_e32 v2, 0xffff0000, v36
	s_delay_alu instid0(VALU_DEP_1) | instskip(SKIP_2) | instid1(VALU_DEP_1)
	v_dual_fmac_f32 v92, v58, v0 :: v_dual_fmac_f32 v91, v57, v2
	v_and_b32_e32 v2, 0xffff0000, v33
	v_and_b32_e32 v0, 0xffff0000, v34
	v_dual_fmac_f32 v90, v73, v2 :: v_dual_fmac_f32 v91, v74, v0
	s_delay_alu instid0(VALU_DEP_1) | instskip(NEXT) | instid1(VALU_DEP_1)
	v_dual_add_f32 v0, v90, v1 :: v_dual_and_b32 v1, 0xffff0000, v19
	v_add_f32_e32 v0, v91, v0
	s_delay_alu instid0(VALU_DEP_2) | instskip(NEXT) | instid1(VALU_DEP_1)
	v_dual_fmac_f32 v92, v75, v1 :: v_dual_add_nc_u32 v1, v77, v78
	v_add_f32_e32 v0, v92, v0
	s_delay_alu instid0(VALU_DEP_2) | instskip(NEXT) | instid1(VALU_DEP_1)
	v_cvt_f32_i32_e32 v1, v1
	v_mul_f32_e32 v1, v53, v1
	s_delay_alu instid0(VALU_DEP_1) | instskip(NEXT) | instid1(VALU_DEP_1)
	v_cndmask_b32_e32 v1, 0, v1, vcc_lo
	v_fmac_f32_e32 v1, v0, v13
	scratch_load_b32 v0, off, s32 offset:328 ; 4-byte Folded Reload
	s_waitcnt vmcnt(0)
	v_add_nc_u32_e32 v0, v0, v78
	s_delay_alu instid0(VALU_DEP_1) | instskip(SKIP_2) | instid1(VALU_DEP_2)
	v_cmp_lt_i32_e64 s1, v0, v38
	s_waitcnt lgkmcnt(0)
	v_add_nc_u32_e32 v0, s21, v79
	v_cndmask_b32_e64 v2, 0, v1, s1
	ds_store_b32 v0, v2
	v_max_f32_e32 v0, v61, v61
	s_delay_alu instid0(VALU_DEP_1) | instskip(NEXT) | instid1(VALU_DEP_1)
	v_max_f32_e32 v0, v0, v1
	v_cndmask_b32_e64 v61, v61, v0, s1
.LBB438_12:                             ;   in Loop: Header=BB438_13 Depth=1
	s_or_b32 exec_lo, exec_lo, s2
	v_add_nc_u32_e32 v89, 4, v89
	v_add_co_u32 v28, s2, v28, 16
	s_delay_alu instid0(VALU_DEP_1) | instskip(NEXT) | instid1(VALU_DEP_3)
	v_add_co_ci_u32_e64 v29, s2, 0, v29, s2
	v_cmp_ge_i32_e64 s1, v89, v51
	v_add_nc_u32_e32 v78, 0x80, v78
	v_add_nc_u32_e32 v79, 0x200, v79
	s_delay_alu instid0(VALU_DEP_3) | instskip(NEXT) | instid1(SALU_CYCLE_1)
	s_or_b32 s20, s1, s20
	s_and_not1_b32 exec_lo, exec_lo, s20
	s_cbranch_execz .LBB438_976
.LBB438_13:                             ; =>This Inner Loop Header: Depth=1
	v_sub_nc_u32_e32 v0, 0, v78
	s_delay_alu instid0(VALU_DEP_1) | instskip(NEXT) | instid1(VALU_DEP_1)
	v_max_i32_e32 v0, v78, v0
	v_mul_hi_u32 v1, v0, v49
	s_delay_alu instid0(VALU_DEP_1) | instskip(NEXT) | instid1(VALU_DEP_1)
	v_mul_lo_u32 v2, v1, v21
	v_sub_nc_u32_e32 v0, v0, v2
	v_add_nc_u32_e32 v2, 1, v1
	s_delay_alu instid0(VALU_DEP_2) | instskip(SKIP_1) | instid1(VALU_DEP_1)
	v_sub_nc_u32_e32 v3, v0, v21
	v_cmp_ge_u32_e64 s1, v0, v21
	v_cndmask_b32_e64 v1, v1, v2, s1
	s_delay_alu instid0(VALU_DEP_3) | instskip(SKIP_1) | instid1(VALU_DEP_3)
	v_cndmask_b32_e64 v0, v0, v3, s1
	v_ashrrev_i32_e32 v2, 31, v78
	v_add_nc_u32_e32 v3, 1, v1
	s_delay_alu instid0(VALU_DEP_3) | instskip(NEXT) | instid1(VALU_DEP_3)
	v_cmp_ge_u32_e64 s1, v0, v21
	v_xor_b32_e32 v2, v2, v50
	s_delay_alu instid0(VALU_DEP_2) | instskip(NEXT) | instid1(VALU_DEP_1)
	v_cndmask_b32_e64 v0, v1, v3, s1
	v_xor_b32_e32 v0, v0, v2
	s_delay_alu instid0(VALU_DEP_1) | instskip(NEXT) | instid1(VALU_DEP_1)
	v_sub_nc_u32_e32 v0, v0, v2
	v_add_nc_u32_e32 v1, v0, v16
	v_cmp_le_i32_e64 s2, v0, v52
	s_delay_alu instid0(VALU_DEP_2) | instskip(NEXT) | instid1(VALU_DEP_1)
	v_sub_nc_u32_e32 v2, 0, v1
	v_max_i32_e32 v2, v1, v2
	v_ashrrev_i32_e32 v1, 31, v1
	s_delay_alu instid0(VALU_DEP_2) | instskip(NEXT) | instid1(VALU_DEP_1)
	v_mul_hi_u32 v3, v2, v76
	v_mul_lo_u32 v3, v3, v182
	s_delay_alu instid0(VALU_DEP_1) | instskip(NEXT) | instid1(VALU_DEP_1)
	v_sub_nc_u32_e32 v2, v2, v3
	v_sub_nc_u32_e32 v3, v2, v182
	v_cmp_ge_u32_e64 s1, v2, v182
	s_delay_alu instid0(VALU_DEP_1) | instskip(NEXT) | instid1(VALU_DEP_1)
	v_cndmask_b32_e64 v2, v2, v3, s1
	v_sub_nc_u32_e32 v3, v2, v182
	v_cmp_ge_u32_e64 s1, v2, v182
	s_delay_alu instid0(VALU_DEP_1) | instskip(NEXT) | instid1(VALU_DEP_1)
	v_cndmask_b32_e64 v2, v2, v3, s1
	v_xor_b32_e32 v2, v2, v1
	s_delay_alu instid0(VALU_DEP_1) | instskip(NEXT) | instid1(VALU_DEP_1)
	v_sub_nc_u32_e32 v1, v2, v1
	v_cmp_ne_u32_e64 s1, 0, v1
	s_delay_alu instid0(VALU_DEP_1) | instskip(NEXT) | instid1(SALU_CYCLE_1)
	s_and_b32 s1, s1, s2
	s_and_saveexec_b32 s2, s1
	s_delay_alu instid0(SALU_CYCLE_1)
	s_xor_b32 s1, exec_lo, s2
	s_cbranch_execz .LBB438_15
; %bb.14:                               ;   in Loop: Header=BB438_13 Depth=1
	v_add_nc_u32_e32 v0, s11, v79
	ds_store_b32 v0, v88
.LBB438_15:                             ;   in Loop: Header=BB438_13 Depth=1
	s_and_not1_saveexec_b32 s2, s1
	s_cbranch_execz .LBB438_12
; %bb.16:                               ;   in Loop: Header=BB438_13 Depth=1
	flat_load_b32 v0, v[28:29]
	s_mov_b32 s21, exec_lo
	s_waitcnt vmcnt(0) lgkmcnt(0)
	v_mad_i64_i32 v[31:32], null, v0, v22, v[8:9]
	flat_load_b64 v[33:34], v[31:32]
	flat_load_b32 v91, v[24:25]
	s_waitcnt vmcnt(1) lgkmcnt(1)
	v_dual_mov_b32 v0, 0 :: v_dual_and_b32 v1, 0xff, v33
	s_delay_alu instid0(VALU_DEP_1)
	v_cmpx_ne_u16_e32 0, v1
	s_cbranch_execz .LBB438_24
; %bb.17:                               ;   in Loop: Header=BB438_13 Depth=1
	v_bfrev_b32_e32 v0, 1
	s_mov_b32 s22, exec_lo
	v_cmpx_ne_u16_e32 0x80, v1
	s_cbranch_execz .LBB438_23
; %bb.18:                               ;   in Loop: Header=BB438_13 Depth=1
	v_and_b32_e32 v1, 0x7f, v33
	v_mov_b32_e32 v0, 0x7f800001
	s_mov_b32 s23, exec_lo
	s_delay_alu instid0(VALU_DEP_2)
	v_cmpx_ne_u32_e32 0x7f, v1
	s_cbranch_execz .LBB438_22
; %bb.19:                               ;   in Loop: Header=BB438_13 Depth=1
	v_lshrrev_b32_e32 v0, 3, v1
	v_dual_mov_b32 v36, v34 :: v_dual_mov_b32 v35, v33
	s_mov_b32 s24, exec_lo
	v_cmpx_gt_u32_e32 8, v1
; %bb.20:                               ;   in Loop: Header=BB438_13 Depth=1
	v_and_b32_e32 v0, 7, v33
	s_delay_alu instid0(VALU_DEP_1) | instskip(NEXT) | instid1(VALU_DEP_1)
	v_clz_i32_u32_e32 v0, v0
	v_min_u32_e32 v0, 32, v0
	s_delay_alu instid0(VALU_DEP_1) | instskip(SKIP_1) | instid1(VALU_DEP_2)
	v_subrev_nc_u32_e32 v1, 28, v0
	v_sub_nc_u32_e32 v0, 29, v0
	v_lshlrev_b64 v[35:36], v1, v[33:34]
; %bb.21:                               ;   in Loop: Header=BB438_13 Depth=1
	s_or_b32 exec_lo, exec_lo, s24
	s_delay_alu instid0(VALU_DEP_1) | instskip(SKIP_2) | instid1(VALU_DEP_3)
	v_lshlrev_b32_e32 v1, 20, v35
	v_lshlrev_b32_e32 v2, 24, v33
	v_lshl_add_u32 v0, v0, 23, 0x3c000000
	v_and_b32_e32 v1, 0x700000, v1
	s_delay_alu instid0(VALU_DEP_3) | instskip(NEXT) | instid1(VALU_DEP_1)
	v_and_b32_e32 v2, 0x80000000, v2
	v_or3_b32 v0, v1, v2, v0
.LBB438_22:                             ;   in Loop: Header=BB438_13 Depth=1
	s_or_b32 exec_lo, exec_lo, s23
.LBB438_23:                             ;   in Loop: Header=BB438_13 Depth=1
	s_delay_alu instid0(SALU_CYCLE_1)
	s_or_b32 exec_lo, exec_lo, s22
.LBB438_24:                             ;   in Loop: Header=BB438_13 Depth=1
	s_delay_alu instid0(SALU_CYCLE_1) | instskip(SKIP_2) | instid1(VALU_DEP_1)
	s_or_b32 exec_lo, exec_lo, s21
	s_waitcnt vmcnt(0) lgkmcnt(0)
	v_mul_f32_e32 v0, v91, v0
                                        ; implicit-def: $vgpr90
	v_and_b32_e32 v1, 0x7f800000, v0
	s_delay_alu instid0(VALU_DEP_1) | instskip(NEXT) | instid1(VALU_DEP_1)
	v_cmp_ne_u32_e64 s1, 0x7f800000, v1
	s_and_saveexec_b32 s21, s1
	s_delay_alu instid0(SALU_CYCLE_1)
	s_xor_b32 s1, exec_lo, s21
; %bb.25:                               ;   in Loop: Header=BB438_13 Depth=1
	v_bfe_u32 v1, v0, 16, 1
	s_delay_alu instid0(VALU_DEP_1)
	v_add3_u32 v90, v0, v1, 0x7fff
                                        ; implicit-def: $vgpr0
; %bb.26:                               ;   in Loop: Header=BB438_13 Depth=1
	s_and_not1_saveexec_b32 s21, s1
; %bb.27:                               ;   in Loop: Header=BB438_13 Depth=1
	v_and_b32_e32 v1, 0xffff, v0
	v_or_b32_e32 v2, 0x10000, v0
	s_delay_alu instid0(VALU_DEP_2) | instskip(NEXT) | instid1(VALU_DEP_1)
	v_cmp_eq_u32_e64 s1, 0, v1
	v_cndmask_b32_e64 v90, v2, v0, s1
; %bb.28:                               ;   in Loop: Header=BB438_13 Depth=1
	s_or_b32 exec_lo, exec_lo, s21
	v_lshrrev_b16 v1, 8, v33
	v_mov_b32_e32 v0, 0
	s_mov_b32 s21, exec_lo
	s_delay_alu instid0(VALU_DEP_2)
	v_cmpx_ne_u16_e32 0, v1
	s_cbranch_execz .LBB438_36
; %bb.29:                               ;   in Loop: Header=BB438_13 Depth=1
	v_bfrev_b32_e32 v0, 1
	s_mov_b32 s22, exec_lo
	v_cmpx_ne_u16_e32 0x80, v1
	s_cbranch_execz .LBB438_35
; %bb.30:                               ;   in Loop: Header=BB438_13 Depth=1
	v_and_b32_e32 v2, 0xffff, v1
	v_mov_b32_e32 v0, 0x7f800001
	s_mov_b32 s23, exec_lo
	s_delay_alu instid0(VALU_DEP_2) | instskip(NEXT) | instid1(VALU_DEP_1)
	v_and_b32_e32 v1, 0x7f, v2
	v_cmpx_ne_u32_e32 0x7f, v1
	s_cbranch_execz .LBB438_34
; %bb.31:                               ;   in Loop: Header=BB438_13 Depth=1
	v_and_b32_e32 v19, 7, v2
	v_lshrrev_b32_e32 v0, 3, v1
	s_mov_b32 s24, exec_lo
	v_cmpx_gt_u32_e32 8, v1
; %bb.32:                               ;   in Loop: Header=BB438_13 Depth=1
	s_delay_alu instid0(VALU_DEP_3) | instskip(NEXT) | instid1(VALU_DEP_1)
	v_clz_i32_u32_e32 v0, v19
	v_min_u32_e32 v0, 32, v0
	s_delay_alu instid0(VALU_DEP_1) | instskip(SKIP_1) | instid1(VALU_DEP_2)
	v_subrev_nc_u32_e32 v1, 28, v0
	v_sub_nc_u32_e32 v0, 29, v0
	v_lshlrev_b64 v[1:2], v1, v[19:20]
	s_delay_alu instid0(VALU_DEP_1)
	v_and_b32_e32 v19, 7, v1
; %bb.33:                               ;   in Loop: Header=BB438_13 Depth=1
	s_or_b32 exec_lo, exec_lo, s24
	v_lshlrev_b32_e32 v1, 16, v33
	s_delay_alu instid0(VALU_DEP_2) | instskip(SKIP_1) | instid1(VALU_DEP_3)
	v_lshlrev_b32_e32 v2, 20, v19
	v_lshl_add_u32 v0, v0, 23, 0x3c000000
	v_and_b32_e32 v1, 0x80000000, v1
	s_delay_alu instid0(VALU_DEP_1)
	v_or3_b32 v0, v2, v1, v0
.LBB438_34:                             ;   in Loop: Header=BB438_13 Depth=1
	s_or_b32 exec_lo, exec_lo, s23
.LBB438_35:                             ;   in Loop: Header=BB438_13 Depth=1
	s_delay_alu instid0(SALU_CYCLE_1)
	s_or_b32 exec_lo, exec_lo, s22
.LBB438_36:                             ;   in Loop: Header=BB438_13 Depth=1
	s_delay_alu instid0(SALU_CYCLE_1) | instskip(NEXT) | instid1(VALU_DEP_1)
	s_or_b32 exec_lo, exec_lo, s21
	v_mul_f32_e32 v0, v91, v0
                                        ; implicit-def: $vgpr92
	s_delay_alu instid0(VALU_DEP_1) | instskip(NEXT) | instid1(VALU_DEP_1)
	v_and_b32_e32 v1, 0x7f800000, v0
	v_cmp_ne_u32_e64 s1, 0x7f800000, v1
	s_delay_alu instid0(VALU_DEP_1) | instskip(NEXT) | instid1(SALU_CYCLE_1)
	s_and_saveexec_b32 s21, s1
	s_xor_b32 s1, exec_lo, s21
; %bb.37:                               ;   in Loop: Header=BB438_13 Depth=1
	v_bfe_u32 v1, v0, 16, 1
	s_delay_alu instid0(VALU_DEP_1)
	v_add3_u32 v92, v0, v1, 0x7fff
                                        ; implicit-def: $vgpr0
; %bb.38:                               ;   in Loop: Header=BB438_13 Depth=1
	s_and_not1_saveexec_b32 s21, s1
; %bb.39:                               ;   in Loop: Header=BB438_13 Depth=1
	v_and_b32_e32 v1, 0xffff, v0
	v_or_b32_e32 v2, 0x10000, v0
	s_delay_alu instid0(VALU_DEP_2) | instskip(NEXT) | instid1(VALU_DEP_1)
	v_cmp_eq_u32_e64 s1, 0, v1
	v_cndmask_b32_e64 v92, v2, v0, s1
; %bb.40:                               ;   in Loop: Header=BB438_13 Depth=1
	s_or_b32 exec_lo, exec_lo, s21
	v_lshrrev_b32_e32 v0, 16, v33
	s_mov_b32 s21, exec_lo
	s_delay_alu instid0(VALU_DEP_1) | instskip(NEXT) | instid1(VALU_DEP_1)
	v_dual_mov_b32 v1, 0 :: v_dual_and_b32 v2, 0xff, v0
	v_cmpx_ne_u16_e32 0, v2
	s_cbranch_execz .LBB438_48
; %bb.41:                               ;   in Loop: Header=BB438_13 Depth=1
	v_bfrev_b32_e32 v1, 1
	s_mov_b32 s22, exec_lo
	v_cmpx_ne_u16_e32 0x80, v2
	s_cbranch_execz .LBB438_47
; %bb.42:                               ;   in Loop: Header=BB438_13 Depth=1
	v_bfe_u32 v2, v33, 16, 7
	v_mov_b32_e32 v1, 0x7f800001
	s_mov_b32 s23, exec_lo
	s_delay_alu instid0(VALU_DEP_2)
	v_cmpx_ne_u32_e32 0x7f, v2
	s_cbranch_execz .LBB438_46
; %bb.43:                               ;   in Loop: Header=BB438_13 Depth=1
	v_and_b32_e32 v19, 7, v0
	v_lshrrev_b32_e32 v1, 3, v2
	s_mov_b32 s24, exec_lo
	v_cmpx_gt_u32_e32 8, v2
; %bb.44:                               ;   in Loop: Header=BB438_13 Depth=1
	s_delay_alu instid0(VALU_DEP_3) | instskip(NEXT) | instid1(VALU_DEP_1)
	v_clz_i32_u32_e32 v1, v19
	v_min_u32_e32 v1, 32, v1
	s_delay_alu instid0(VALU_DEP_1) | instskip(SKIP_1) | instid1(VALU_DEP_2)
	v_subrev_nc_u32_e32 v2, 28, v1
	v_sub_nc_u32_e32 v1, 29, v1
	v_lshlrev_b64 v[2:3], v2, v[19:20]
	s_delay_alu instid0(VALU_DEP_1)
	v_and_b32_e32 v19, 7, v2
; %bb.45:                               ;   in Loop: Header=BB438_13 Depth=1
	s_or_b32 exec_lo, exec_lo, s24
	v_lshlrev_b32_e32 v0, 24, v0
	s_delay_alu instid0(VALU_DEP_2) | instskip(SKIP_1) | instid1(VALU_DEP_3)
	v_lshlrev_b32_e32 v2, 20, v19
	v_lshl_add_u32 v1, v1, 23, 0x3c000000
	v_and_b32_e32 v0, 0x80000000, v0
	s_delay_alu instid0(VALU_DEP_1)
	v_or3_b32 v1, v2, v0, v1
.LBB438_46:                             ;   in Loop: Header=BB438_13 Depth=1
	s_or_b32 exec_lo, exec_lo, s23
.LBB438_47:                             ;   in Loop: Header=BB438_13 Depth=1
	s_delay_alu instid0(SALU_CYCLE_1)
	s_or_b32 exec_lo, exec_lo, s22
.LBB438_48:                             ;   in Loop: Header=BB438_13 Depth=1
	s_delay_alu instid0(SALU_CYCLE_1) | instskip(NEXT) | instid1(VALU_DEP_1)
	s_or_b32 exec_lo, exec_lo, s21
	v_mul_f32_e32 v0, v91, v1
                                        ; implicit-def: $vgpr93
	s_delay_alu instid0(VALU_DEP_1) | instskip(NEXT) | instid1(VALU_DEP_1)
	v_and_b32_e32 v1, 0x7f800000, v0
	v_cmp_ne_u32_e64 s1, 0x7f800000, v1
	s_delay_alu instid0(VALU_DEP_1) | instskip(NEXT) | instid1(SALU_CYCLE_1)
	s_and_saveexec_b32 s21, s1
	s_xor_b32 s1, exec_lo, s21
; %bb.49:                               ;   in Loop: Header=BB438_13 Depth=1
	v_bfe_u32 v1, v0, 16, 1
	s_delay_alu instid0(VALU_DEP_1)
	v_add3_u32 v93, v0, v1, 0x7fff
                                        ; implicit-def: $vgpr0
; %bb.50:                               ;   in Loop: Header=BB438_13 Depth=1
	s_and_not1_saveexec_b32 s21, s1
; %bb.51:                               ;   in Loop: Header=BB438_13 Depth=1
	v_and_b32_e32 v1, 0xffff, v0
	v_or_b32_e32 v2, 0x10000, v0
	s_delay_alu instid0(VALU_DEP_2) | instskip(NEXT) | instid1(VALU_DEP_1)
	v_cmp_eq_u32_e64 s1, 0, v1
	v_cndmask_b32_e64 v93, v2, v0, s1
; %bb.52:                               ;   in Loop: Header=BB438_13 Depth=1
	s_or_b32 exec_lo, exec_lo, s21
	v_mov_b32_e32 v1, 0
	s_mov_b32 s21, exec_lo
	v_cmpx_lt_u32_e32 0xffffff, v33
	s_cbranch_execz .LBB438_60
; %bb.53:                               ;   in Loop: Header=BB438_13 Depth=1
	v_lshrrev_b32_e32 v0, 24, v33
	v_bfrev_b32_e32 v1, 1
	s_mov_b32 s22, exec_lo
	s_delay_alu instid0(VALU_DEP_2)
	v_cmpx_ne_u32_e32 0x80, v0
	s_cbranch_execz .LBB438_59
; %bb.54:                               ;   in Loop: Header=BB438_13 Depth=1
	v_bfe_u32 v2, v33, 24, 7
	v_mov_b32_e32 v1, 0x7f800001
	s_mov_b32 s23, exec_lo
	s_delay_alu instid0(VALU_DEP_2)
	v_cmpx_ne_u32_e32 0x7f, v2
	s_cbranch_execz .LBB438_58
; %bb.55:                               ;   in Loop: Header=BB438_13 Depth=1
	v_and_b32_e32 v19, 7, v0
	v_lshrrev_b32_e32 v1, 3, v2
	s_mov_b32 s24, exec_lo
	v_cmpx_gt_u32_e32 8, v2
; %bb.56:                               ;   in Loop: Header=BB438_13 Depth=1
	s_delay_alu instid0(VALU_DEP_3) | instskip(NEXT) | instid1(VALU_DEP_1)
	v_clz_i32_u32_e32 v1, v19
	v_min_u32_e32 v1, 32, v1
	s_delay_alu instid0(VALU_DEP_1) | instskip(SKIP_1) | instid1(VALU_DEP_2)
	v_subrev_nc_u32_e32 v2, 28, v1
	v_sub_nc_u32_e32 v1, 29, v1
	v_lshlrev_b64 v[2:3], v2, v[19:20]
	s_delay_alu instid0(VALU_DEP_1)
	v_and_b32_e32 v19, 7, v2
; %bb.57:                               ;   in Loop: Header=BB438_13 Depth=1
	s_or_b32 exec_lo, exec_lo, s24
	v_lshlrev_b32_e32 v0, 24, v0
	s_delay_alu instid0(VALU_DEP_2) | instskip(SKIP_1) | instid1(VALU_DEP_3)
	v_lshlrev_b32_e32 v2, 20, v19
	v_lshl_add_u32 v1, v1, 23, 0x3c000000
	v_and_b32_e32 v0, 0x80000000, v0
	s_delay_alu instid0(VALU_DEP_1)
	v_or3_b32 v1, v2, v0, v1
.LBB438_58:                             ;   in Loop: Header=BB438_13 Depth=1
	s_or_b32 exec_lo, exec_lo, s23
.LBB438_59:                             ;   in Loop: Header=BB438_13 Depth=1
	s_delay_alu instid0(SALU_CYCLE_1)
	s_or_b32 exec_lo, exec_lo, s22
.LBB438_60:                             ;   in Loop: Header=BB438_13 Depth=1
	s_delay_alu instid0(SALU_CYCLE_1) | instskip(NEXT) | instid1(VALU_DEP_1)
	s_or_b32 exec_lo, exec_lo, s21
	v_mul_f32_e32 v0, v91, v1
                                        ; implicit-def: $vgpr94
	s_delay_alu instid0(VALU_DEP_1) | instskip(NEXT) | instid1(VALU_DEP_1)
	v_and_b32_e32 v1, 0x7f800000, v0
	v_cmp_ne_u32_e64 s1, 0x7f800000, v1
	s_delay_alu instid0(VALU_DEP_1) | instskip(NEXT) | instid1(SALU_CYCLE_1)
	s_and_saveexec_b32 s21, s1
	s_xor_b32 s1, exec_lo, s21
; %bb.61:                               ;   in Loop: Header=BB438_13 Depth=1
	v_bfe_u32 v1, v0, 16, 1
	s_delay_alu instid0(VALU_DEP_1)
	v_add3_u32 v94, v0, v1, 0x7fff
                                        ; implicit-def: $vgpr0
; %bb.62:                               ;   in Loop: Header=BB438_13 Depth=1
	s_and_not1_saveexec_b32 s21, s1
; %bb.63:                               ;   in Loop: Header=BB438_13 Depth=1
	v_and_b32_e32 v1, 0xffff, v0
	v_or_b32_e32 v2, 0x10000, v0
	s_delay_alu instid0(VALU_DEP_2) | instskip(NEXT) | instid1(VALU_DEP_1)
	v_cmp_eq_u32_e64 s1, 0, v1
	v_cndmask_b32_e64 v94, v2, v0, s1
; %bb.64:                               ;   in Loop: Header=BB438_13 Depth=1
	s_or_b32 exec_lo, exec_lo, s21
	v_dual_mov_b32 v0, 0 :: v_dual_and_b32 v1, 0xff, v34
	v_mov_b32_e32 v19, v34
	s_mov_b32 s21, exec_lo
	s_delay_alu instid0(VALU_DEP_2)
	v_cmpx_ne_u16_e32 0, v1
	s_cbranch_execz .LBB438_72
; %bb.65:                               ;   in Loop: Header=BB438_13 Depth=1
	v_bfrev_b32_e32 v0, 1
	s_mov_b32 s22, exec_lo
	v_cmpx_ne_u16_e32 0x80, v1
	s_cbranch_execz .LBB438_71
; %bb.66:                               ;   in Loop: Header=BB438_13 Depth=1
	v_and_b32_e32 v1, 0x7f, v34
	v_mov_b32_e32 v0, 0x7f800001
	s_mov_b32 s23, exec_lo
	s_delay_alu instid0(VALU_DEP_2)
	v_cmpx_ne_u32_e32 0x7f, v1
	s_cbranch_execz .LBB438_70
; %bb.67:                               ;   in Loop: Header=BB438_13 Depth=1
	v_lshrrev_b32_e32 v0, 3, v1
	v_dual_mov_b32 v36, v20 :: v_dual_mov_b32 v35, v19
	s_mov_b32 s24, exec_lo
	v_cmpx_gt_u32_e32 8, v1
; %bb.68:                               ;   in Loop: Header=BB438_13 Depth=1
	v_and_b32_e32 v0, 7, v34
	s_delay_alu instid0(VALU_DEP_1) | instskip(NEXT) | instid1(VALU_DEP_1)
	v_clz_i32_u32_e32 v0, v0
	v_min_u32_e32 v0, 32, v0
	s_delay_alu instid0(VALU_DEP_1) | instskip(SKIP_1) | instid1(VALU_DEP_2)
	v_subrev_nc_u32_e32 v1, 28, v0
	v_sub_nc_u32_e32 v0, 29, v0
	v_lshlrev_b64 v[35:36], v1, v[19:20]
; %bb.69:                               ;   in Loop: Header=BB438_13 Depth=1
	s_or_b32 exec_lo, exec_lo, s24
	s_delay_alu instid0(VALU_DEP_1) | instskip(SKIP_2) | instid1(VALU_DEP_3)
	v_lshlrev_b32_e32 v1, 20, v35
	v_lshlrev_b32_e32 v2, 24, v19
	v_lshl_add_u32 v0, v0, 23, 0x3c000000
	v_and_b32_e32 v1, 0x700000, v1
	s_delay_alu instid0(VALU_DEP_3) | instskip(NEXT) | instid1(VALU_DEP_1)
	v_and_b32_e32 v2, 0x80000000, v2
	v_or3_b32 v0, v1, v2, v0
.LBB438_70:                             ;   in Loop: Header=BB438_13 Depth=1
	s_or_b32 exec_lo, exec_lo, s23
.LBB438_71:                             ;   in Loop: Header=BB438_13 Depth=1
	s_delay_alu instid0(SALU_CYCLE_1)
	s_or_b32 exec_lo, exec_lo, s22
.LBB438_72:                             ;   in Loop: Header=BB438_13 Depth=1
	s_delay_alu instid0(SALU_CYCLE_1) | instskip(NEXT) | instid1(VALU_DEP_1)
	s_or_b32 exec_lo, exec_lo, s21
	v_mul_f32_e32 v0, v91, v0
                                        ; implicit-def: $vgpr95
	s_delay_alu instid0(VALU_DEP_1) | instskip(NEXT) | instid1(VALU_DEP_1)
	v_and_b32_e32 v1, 0x7f800000, v0
	v_cmp_ne_u32_e64 s1, 0x7f800000, v1
	s_delay_alu instid0(VALU_DEP_1) | instskip(NEXT) | instid1(SALU_CYCLE_1)
	s_and_saveexec_b32 s21, s1
	s_xor_b32 s1, exec_lo, s21
; %bb.73:                               ;   in Loop: Header=BB438_13 Depth=1
	v_bfe_u32 v1, v0, 16, 1
	s_delay_alu instid0(VALU_DEP_1)
	v_add3_u32 v95, v0, v1, 0x7fff
                                        ; implicit-def: $vgpr0
; %bb.74:                               ;   in Loop: Header=BB438_13 Depth=1
	s_and_not1_saveexec_b32 s21, s1
; %bb.75:                               ;   in Loop: Header=BB438_13 Depth=1
	v_and_b32_e32 v1, 0xffff, v0
	v_or_b32_e32 v2, 0x10000, v0
	s_delay_alu instid0(VALU_DEP_2) | instskip(NEXT) | instid1(VALU_DEP_1)
	v_cmp_eq_u32_e64 s1, 0, v1
	v_cndmask_b32_e64 v95, v2, v0, s1
; %bb.76:                               ;   in Loop: Header=BB438_13 Depth=1
	s_or_b32 exec_lo, exec_lo, s21
	v_lshrrev_b16 v1, 8, v19
	v_mov_b32_e32 v0, 0
	s_mov_b32 s21, exec_lo
	s_delay_alu instid0(VALU_DEP_2)
	v_cmpx_ne_u16_e32 0, v1
	s_cbranch_execz .LBB438_84
; %bb.77:                               ;   in Loop: Header=BB438_13 Depth=1
	v_bfrev_b32_e32 v0, 1
	s_mov_b32 s22, exec_lo
	v_cmpx_ne_u16_e32 0x80, v1
	s_cbranch_execz .LBB438_83
; %bb.78:                               ;   in Loop: Header=BB438_13 Depth=1
	v_and_b32_e32 v2, 0xffff, v1
	v_mov_b32_e32 v0, 0x7f800001
	s_mov_b32 s23, exec_lo
	s_delay_alu instid0(VALU_DEP_2) | instskip(NEXT) | instid1(VALU_DEP_1)
	v_and_b32_e32 v1, 0x7f, v2
	v_cmpx_ne_u32_e32 0x7f, v1
	s_cbranch_execz .LBB438_82
; %bb.79:                               ;   in Loop: Header=BB438_13 Depth=1
	v_dual_mov_b32 v36, v20 :: v_dual_and_b32 v35, 7, v2
	v_lshrrev_b32_e32 v0, 3, v1
	s_mov_b32 s24, exec_lo
	v_cmpx_gt_u32_e32 8, v1
; %bb.80:                               ;   in Loop: Header=BB438_13 Depth=1
	s_delay_alu instid0(VALU_DEP_3) | instskip(NEXT) | instid1(VALU_DEP_1)
	v_clz_i32_u32_e32 v0, v35
	v_min_u32_e32 v0, 32, v0
	s_delay_alu instid0(VALU_DEP_1) | instskip(SKIP_1) | instid1(VALU_DEP_2)
	v_subrev_nc_u32_e32 v1, 28, v0
	v_sub_nc_u32_e32 v0, 29, v0
	v_lshlrev_b64 v[1:2], v1, v[35:36]
	s_delay_alu instid0(VALU_DEP_1)
	v_and_b32_e32 v35, 7, v1
; %bb.81:                               ;   in Loop: Header=BB438_13 Depth=1
	s_or_b32 exec_lo, exec_lo, s24
	v_lshlrev_b32_e32 v1, 16, v19
	s_delay_alu instid0(VALU_DEP_2) | instskip(SKIP_1) | instid1(VALU_DEP_3)
	v_lshlrev_b32_e32 v2, 20, v35
	v_lshl_add_u32 v0, v0, 23, 0x3c000000
	v_and_b32_e32 v1, 0x80000000, v1
	s_delay_alu instid0(VALU_DEP_1)
	v_or3_b32 v0, v2, v1, v0
.LBB438_82:                             ;   in Loop: Header=BB438_13 Depth=1
	s_or_b32 exec_lo, exec_lo, s23
.LBB438_83:                             ;   in Loop: Header=BB438_13 Depth=1
	s_delay_alu instid0(SALU_CYCLE_1)
	s_or_b32 exec_lo, exec_lo, s22
.LBB438_84:                             ;   in Loop: Header=BB438_13 Depth=1
	s_delay_alu instid0(SALU_CYCLE_1) | instskip(NEXT) | instid1(VALU_DEP_1)
	s_or_b32 exec_lo, exec_lo, s21
	v_mul_f32_e32 v0, v91, v0
                                        ; implicit-def: $vgpr104
	s_delay_alu instid0(VALU_DEP_1) | instskip(NEXT) | instid1(VALU_DEP_1)
	v_and_b32_e32 v1, 0x7f800000, v0
	v_cmp_ne_u32_e64 s1, 0x7f800000, v1
	s_delay_alu instid0(VALU_DEP_1) | instskip(NEXT) | instid1(SALU_CYCLE_1)
	s_and_saveexec_b32 s21, s1
	s_xor_b32 s1, exec_lo, s21
; %bb.85:                               ;   in Loop: Header=BB438_13 Depth=1
	v_bfe_u32 v1, v0, 16, 1
	s_delay_alu instid0(VALU_DEP_1)
	v_add3_u32 v104, v0, v1, 0x7fff
                                        ; implicit-def: $vgpr0
; %bb.86:                               ;   in Loop: Header=BB438_13 Depth=1
	s_and_not1_saveexec_b32 s21, s1
; %bb.87:                               ;   in Loop: Header=BB438_13 Depth=1
	v_and_b32_e32 v1, 0xffff, v0
	v_or_b32_e32 v2, 0x10000, v0
	s_delay_alu instid0(VALU_DEP_2) | instskip(NEXT) | instid1(VALU_DEP_1)
	v_cmp_eq_u32_e64 s1, 0, v1
	v_cndmask_b32_e64 v104, v2, v0, s1
; %bb.88:                               ;   in Loop: Header=BB438_13 Depth=1
	s_or_b32 exec_lo, exec_lo, s21
	v_lshrrev_b32_e32 v0, 16, v34
	s_mov_b32 s21, exec_lo
	s_delay_alu instid0(VALU_DEP_1) | instskip(NEXT) | instid1(VALU_DEP_1)
	v_dual_mov_b32 v1, 0 :: v_dual_and_b32 v2, 0xff, v0
	v_cmpx_ne_u16_e32 0, v2
	s_cbranch_execz .LBB438_96
; %bb.89:                               ;   in Loop: Header=BB438_13 Depth=1
	v_bfrev_b32_e32 v1, 1
	s_mov_b32 s22, exec_lo
	v_cmpx_ne_u16_e32 0x80, v2
	s_cbranch_execz .LBB438_95
; %bb.90:                               ;   in Loop: Header=BB438_13 Depth=1
	v_bfe_u32 v2, v34, 16, 7
	v_mov_b32_e32 v1, 0x7f800001
	s_mov_b32 s23, exec_lo
	s_delay_alu instid0(VALU_DEP_2)
	v_cmpx_ne_u32_e32 0x7f, v2
	s_cbranch_execz .LBB438_94
; %bb.91:                               ;   in Loop: Header=BB438_13 Depth=1
	v_and_b32_e32 v19, 7, v0
	v_lshrrev_b32_e32 v1, 3, v2
	s_mov_b32 s24, exec_lo
	v_cmpx_gt_u32_e32 8, v2
; %bb.92:                               ;   in Loop: Header=BB438_13 Depth=1
	s_delay_alu instid0(VALU_DEP_3) | instskip(NEXT) | instid1(VALU_DEP_1)
	v_clz_i32_u32_e32 v1, v19
	v_min_u32_e32 v1, 32, v1
	s_delay_alu instid0(VALU_DEP_1) | instskip(SKIP_1) | instid1(VALU_DEP_2)
	v_subrev_nc_u32_e32 v2, 28, v1
	v_sub_nc_u32_e32 v1, 29, v1
	v_lshlrev_b64 v[2:3], v2, v[19:20]
	s_delay_alu instid0(VALU_DEP_1)
	v_and_b32_e32 v19, 7, v2
; %bb.93:                               ;   in Loop: Header=BB438_13 Depth=1
	s_or_b32 exec_lo, exec_lo, s24
	v_lshlrev_b32_e32 v0, 24, v0
	s_delay_alu instid0(VALU_DEP_2) | instskip(SKIP_1) | instid1(VALU_DEP_3)
	v_lshlrev_b32_e32 v2, 20, v19
	v_lshl_add_u32 v1, v1, 23, 0x3c000000
	v_and_b32_e32 v0, 0x80000000, v0
	s_delay_alu instid0(VALU_DEP_1)
	v_or3_b32 v1, v2, v0, v1
.LBB438_94:                             ;   in Loop: Header=BB438_13 Depth=1
	s_or_b32 exec_lo, exec_lo, s23
.LBB438_95:                             ;   in Loop: Header=BB438_13 Depth=1
	s_delay_alu instid0(SALU_CYCLE_1)
	s_or_b32 exec_lo, exec_lo, s22
.LBB438_96:                             ;   in Loop: Header=BB438_13 Depth=1
	s_delay_alu instid0(SALU_CYCLE_1) | instskip(NEXT) | instid1(VALU_DEP_1)
	s_or_b32 exec_lo, exec_lo, s21
	v_mul_f32_e32 v0, v91, v1
                                        ; implicit-def: $vgpr105
	s_delay_alu instid0(VALU_DEP_1) | instskip(NEXT) | instid1(VALU_DEP_1)
	v_and_b32_e32 v1, 0x7f800000, v0
	v_cmp_ne_u32_e64 s1, 0x7f800000, v1
	s_delay_alu instid0(VALU_DEP_1) | instskip(NEXT) | instid1(SALU_CYCLE_1)
	s_and_saveexec_b32 s21, s1
	s_xor_b32 s1, exec_lo, s21
; %bb.97:                               ;   in Loop: Header=BB438_13 Depth=1
	v_bfe_u32 v1, v0, 16, 1
	s_delay_alu instid0(VALU_DEP_1)
	v_add3_u32 v105, v0, v1, 0x7fff
                                        ; implicit-def: $vgpr0
; %bb.98:                               ;   in Loop: Header=BB438_13 Depth=1
	s_and_not1_saveexec_b32 s21, s1
; %bb.99:                               ;   in Loop: Header=BB438_13 Depth=1
	v_and_b32_e32 v1, 0xffff, v0
	v_or_b32_e32 v2, 0x10000, v0
	s_delay_alu instid0(VALU_DEP_2) | instskip(NEXT) | instid1(VALU_DEP_1)
	v_cmp_eq_u32_e64 s1, 0, v1
	v_cndmask_b32_e64 v105, v2, v0, s1
; %bb.100:                              ;   in Loop: Header=BB438_13 Depth=1
	s_or_b32 exec_lo, exec_lo, s21
	v_mov_b32_e32 v1, 0
	s_mov_b32 s21, exec_lo
	v_cmpx_lt_u64_e64 s[16:17], v[33:34]
	s_cbranch_execz .LBB438_108
; %bb.101:                              ;   in Loop: Header=BB438_13 Depth=1
	v_lshrrev_b32_e32 v0, 24, v34
	v_bfrev_b32_e32 v1, 1
	s_mov_b32 s22, exec_lo
	s_delay_alu instid0(VALU_DEP_2)
	v_cmpx_ne_u32_e32 0x80, v0
	s_cbranch_execz .LBB438_107
; %bb.102:                              ;   in Loop: Header=BB438_13 Depth=1
	v_bfe_u32 v2, v34, 24, 7
	v_mov_b32_e32 v1, 0x7f800001
	s_mov_b32 s23, exec_lo
	s_delay_alu instid0(VALU_DEP_2)
	v_cmpx_ne_u32_e32 0x7f, v2
	s_cbranch_execz .LBB438_106
; %bb.103:                              ;   in Loop: Header=BB438_13 Depth=1
	v_and_b32_e32 v19, 7, v0
	v_lshrrev_b32_e32 v1, 3, v2
	s_mov_b32 s24, exec_lo
	v_cmpx_gt_u32_e32 8, v2
; %bb.104:                              ;   in Loop: Header=BB438_13 Depth=1
	s_delay_alu instid0(VALU_DEP_3) | instskip(NEXT) | instid1(VALU_DEP_1)
	v_clz_i32_u32_e32 v1, v19
	v_min_u32_e32 v1, 32, v1
	s_delay_alu instid0(VALU_DEP_1) | instskip(SKIP_1) | instid1(VALU_DEP_2)
	v_subrev_nc_u32_e32 v2, 28, v1
	v_sub_nc_u32_e32 v1, 29, v1
	v_lshlrev_b64 v[2:3], v2, v[19:20]
	s_delay_alu instid0(VALU_DEP_1)
	v_and_b32_e32 v19, 7, v2
; %bb.105:                              ;   in Loop: Header=BB438_13 Depth=1
	s_or_b32 exec_lo, exec_lo, s24
	v_lshlrev_b32_e32 v0, 24, v0
	s_delay_alu instid0(VALU_DEP_2) | instskip(SKIP_1) | instid1(VALU_DEP_3)
	v_lshlrev_b32_e32 v2, 20, v19
	v_lshl_add_u32 v1, v1, 23, 0x3c000000
	v_and_b32_e32 v0, 0x80000000, v0
	s_delay_alu instid0(VALU_DEP_1)
	v_or3_b32 v1, v2, v0, v1
.LBB438_106:                            ;   in Loop: Header=BB438_13 Depth=1
	s_or_b32 exec_lo, exec_lo, s23
.LBB438_107:                            ;   in Loop: Header=BB438_13 Depth=1
	s_delay_alu instid0(SALU_CYCLE_1)
	s_or_b32 exec_lo, exec_lo, s22
.LBB438_108:                            ;   in Loop: Header=BB438_13 Depth=1
	s_delay_alu instid0(SALU_CYCLE_1) | instskip(NEXT) | instid1(VALU_DEP_1)
	s_or_b32 exec_lo, exec_lo, s21
	v_mul_f32_e32 v0, v91, v1
                                        ; implicit-def: $vgpr106
	s_delay_alu instid0(VALU_DEP_1) | instskip(NEXT) | instid1(VALU_DEP_1)
	v_and_b32_e32 v1, 0x7f800000, v0
	v_cmp_ne_u32_e64 s1, 0x7f800000, v1
	s_delay_alu instid0(VALU_DEP_1) | instskip(NEXT) | instid1(SALU_CYCLE_1)
	s_and_saveexec_b32 s21, s1
	s_xor_b32 s1, exec_lo, s21
; %bb.109:                              ;   in Loop: Header=BB438_13 Depth=1
	v_bfe_u32 v1, v0, 16, 1
	s_delay_alu instid0(VALU_DEP_1)
	v_add3_u32 v106, v0, v1, 0x7fff
                                        ; implicit-def: $vgpr0
; %bb.110:                              ;   in Loop: Header=BB438_13 Depth=1
	s_and_not1_saveexec_b32 s21, s1
; %bb.111:                              ;   in Loop: Header=BB438_13 Depth=1
	v_and_b32_e32 v1, 0xffff, v0
	v_or_b32_e32 v2, 0x10000, v0
	s_delay_alu instid0(VALU_DEP_2) | instskip(NEXT) | instid1(VALU_DEP_1)
	v_cmp_eq_u32_e64 s1, 0, v1
	v_cndmask_b32_e64 v106, v2, v0, s1
; %bb.112:                              ;   in Loop: Header=BB438_13 Depth=1
	s_or_b32 exec_lo, exec_lo, s21
	flat_load_b64 v[33:34], v[31:32] offset:8
	s_mov_b32 s21, exec_lo
	s_waitcnt vmcnt(0) lgkmcnt(0)
	v_dual_mov_b32 v0, 0 :: v_dual_and_b32 v1, 0xff, v33
	s_delay_alu instid0(VALU_DEP_1)
	v_cmpx_ne_u16_e32 0, v1
	s_cbranch_execz .LBB438_120
; %bb.113:                              ;   in Loop: Header=BB438_13 Depth=1
	v_bfrev_b32_e32 v0, 1
	s_mov_b32 s22, exec_lo
	v_cmpx_ne_u16_e32 0x80, v1
	s_cbranch_execz .LBB438_119
; %bb.114:                              ;   in Loop: Header=BB438_13 Depth=1
	v_and_b32_e32 v1, 0x7f, v33
	v_mov_b32_e32 v0, 0x7f800001
	s_mov_b32 s23, exec_lo
	s_delay_alu instid0(VALU_DEP_2)
	v_cmpx_ne_u32_e32 0x7f, v1
	s_cbranch_execz .LBB438_118
; %bb.115:                              ;   in Loop: Header=BB438_13 Depth=1
	v_lshrrev_b32_e32 v0, 3, v1
	v_dual_mov_b32 v36, v34 :: v_dual_mov_b32 v35, v33
	s_mov_b32 s24, exec_lo
	v_cmpx_gt_u32_e32 8, v1
; %bb.116:                              ;   in Loop: Header=BB438_13 Depth=1
	v_and_b32_e32 v0, 7, v33
	s_delay_alu instid0(VALU_DEP_1) | instskip(NEXT) | instid1(VALU_DEP_1)
	v_clz_i32_u32_e32 v0, v0
	v_min_u32_e32 v0, 32, v0
	s_delay_alu instid0(VALU_DEP_1) | instskip(SKIP_1) | instid1(VALU_DEP_2)
	v_subrev_nc_u32_e32 v1, 28, v0
	v_sub_nc_u32_e32 v0, 29, v0
	v_lshlrev_b64 v[35:36], v1, v[33:34]
; %bb.117:                              ;   in Loop: Header=BB438_13 Depth=1
	s_or_b32 exec_lo, exec_lo, s24
	s_delay_alu instid0(VALU_DEP_1) | instskip(SKIP_2) | instid1(VALU_DEP_3)
	v_lshlrev_b32_e32 v1, 20, v35
	v_lshlrev_b32_e32 v2, 24, v33
	v_lshl_add_u32 v0, v0, 23, 0x3c000000
	v_and_b32_e32 v1, 0x700000, v1
	s_delay_alu instid0(VALU_DEP_3) | instskip(NEXT) | instid1(VALU_DEP_1)
	v_and_b32_e32 v2, 0x80000000, v2
	v_or3_b32 v0, v1, v2, v0
.LBB438_118:                            ;   in Loop: Header=BB438_13 Depth=1
	s_or_b32 exec_lo, exec_lo, s23
.LBB438_119:                            ;   in Loop: Header=BB438_13 Depth=1
	s_delay_alu instid0(SALU_CYCLE_1)
	s_or_b32 exec_lo, exec_lo, s22
.LBB438_120:                            ;   in Loop: Header=BB438_13 Depth=1
	s_delay_alu instid0(SALU_CYCLE_1) | instskip(NEXT) | instid1(VALU_DEP_1)
	s_or_b32 exec_lo, exec_lo, s21
	v_mul_f32_e32 v0, v91, v0
                                        ; implicit-def: $vgpr107
	s_delay_alu instid0(VALU_DEP_1) | instskip(NEXT) | instid1(VALU_DEP_1)
	v_and_b32_e32 v1, 0x7f800000, v0
	v_cmp_ne_u32_e64 s1, 0x7f800000, v1
	s_delay_alu instid0(VALU_DEP_1) | instskip(NEXT) | instid1(SALU_CYCLE_1)
	s_and_saveexec_b32 s21, s1
	s_xor_b32 s1, exec_lo, s21
; %bb.121:                              ;   in Loop: Header=BB438_13 Depth=1
	v_bfe_u32 v1, v0, 16, 1
	s_delay_alu instid0(VALU_DEP_1)
	v_add3_u32 v107, v0, v1, 0x7fff
                                        ; implicit-def: $vgpr0
; %bb.122:                              ;   in Loop: Header=BB438_13 Depth=1
	s_and_not1_saveexec_b32 s21, s1
; %bb.123:                              ;   in Loop: Header=BB438_13 Depth=1
	v_and_b32_e32 v1, 0xffff, v0
	v_or_b32_e32 v2, 0x10000, v0
	s_delay_alu instid0(VALU_DEP_2) | instskip(NEXT) | instid1(VALU_DEP_1)
	v_cmp_eq_u32_e64 s1, 0, v1
	v_cndmask_b32_e64 v107, v2, v0, s1
; %bb.124:                              ;   in Loop: Header=BB438_13 Depth=1
	s_or_b32 exec_lo, exec_lo, s21
	v_lshrrev_b16 v1, 8, v33
	v_mov_b32_e32 v0, 0
	s_mov_b32 s21, exec_lo
	s_delay_alu instid0(VALU_DEP_2)
	v_cmpx_ne_u16_e32 0, v1
	s_cbranch_execz .LBB438_132
; %bb.125:                              ;   in Loop: Header=BB438_13 Depth=1
	v_bfrev_b32_e32 v0, 1
	s_mov_b32 s22, exec_lo
	v_cmpx_ne_u16_e32 0x80, v1
	s_cbranch_execz .LBB438_131
; %bb.126:                              ;   in Loop: Header=BB438_13 Depth=1
	v_and_b32_e32 v2, 0xffff, v1
	v_mov_b32_e32 v0, 0x7f800001
	s_mov_b32 s23, exec_lo
	s_delay_alu instid0(VALU_DEP_2) | instskip(NEXT) | instid1(VALU_DEP_1)
	v_and_b32_e32 v1, 0x7f, v2
	v_cmpx_ne_u32_e32 0x7f, v1
	s_cbranch_execz .LBB438_130
; %bb.127:                              ;   in Loop: Header=BB438_13 Depth=1
	v_and_b32_e32 v19, 7, v2
	v_lshrrev_b32_e32 v0, 3, v1
	s_mov_b32 s24, exec_lo
	v_cmpx_gt_u32_e32 8, v1
; %bb.128:                              ;   in Loop: Header=BB438_13 Depth=1
	s_delay_alu instid0(VALU_DEP_3) | instskip(NEXT) | instid1(VALU_DEP_1)
	v_clz_i32_u32_e32 v0, v19
	v_min_u32_e32 v0, 32, v0
	s_delay_alu instid0(VALU_DEP_1) | instskip(SKIP_1) | instid1(VALU_DEP_2)
	v_subrev_nc_u32_e32 v1, 28, v0
	v_sub_nc_u32_e32 v0, 29, v0
	v_lshlrev_b64 v[1:2], v1, v[19:20]
	s_delay_alu instid0(VALU_DEP_1)
	v_and_b32_e32 v19, 7, v1
; %bb.129:                              ;   in Loop: Header=BB438_13 Depth=1
	s_or_b32 exec_lo, exec_lo, s24
	v_lshlrev_b32_e32 v1, 16, v33
	s_delay_alu instid0(VALU_DEP_2) | instskip(SKIP_1) | instid1(VALU_DEP_3)
	v_lshlrev_b32_e32 v2, 20, v19
	v_lshl_add_u32 v0, v0, 23, 0x3c000000
	v_and_b32_e32 v1, 0x80000000, v1
	s_delay_alu instid0(VALU_DEP_1)
	v_or3_b32 v0, v2, v1, v0
.LBB438_130:                            ;   in Loop: Header=BB438_13 Depth=1
	s_or_b32 exec_lo, exec_lo, s23
.LBB438_131:                            ;   in Loop: Header=BB438_13 Depth=1
	s_delay_alu instid0(SALU_CYCLE_1)
	s_or_b32 exec_lo, exec_lo, s22
.LBB438_132:                            ;   in Loop: Header=BB438_13 Depth=1
	s_delay_alu instid0(SALU_CYCLE_1) | instskip(NEXT) | instid1(VALU_DEP_1)
	s_or_b32 exec_lo, exec_lo, s21
	v_mul_f32_e32 v0, v91, v0
                                        ; implicit-def: $vgpr108
	s_delay_alu instid0(VALU_DEP_1) | instskip(NEXT) | instid1(VALU_DEP_1)
	v_and_b32_e32 v1, 0x7f800000, v0
	v_cmp_ne_u32_e64 s1, 0x7f800000, v1
	s_delay_alu instid0(VALU_DEP_1) | instskip(NEXT) | instid1(SALU_CYCLE_1)
	s_and_saveexec_b32 s21, s1
	s_xor_b32 s1, exec_lo, s21
; %bb.133:                              ;   in Loop: Header=BB438_13 Depth=1
	v_bfe_u32 v1, v0, 16, 1
	s_delay_alu instid0(VALU_DEP_1)
	v_add3_u32 v108, v0, v1, 0x7fff
                                        ; implicit-def: $vgpr0
; %bb.134:                              ;   in Loop: Header=BB438_13 Depth=1
	s_and_not1_saveexec_b32 s21, s1
; %bb.135:                              ;   in Loop: Header=BB438_13 Depth=1
	v_and_b32_e32 v1, 0xffff, v0
	v_or_b32_e32 v2, 0x10000, v0
	s_delay_alu instid0(VALU_DEP_2) | instskip(NEXT) | instid1(VALU_DEP_1)
	v_cmp_eq_u32_e64 s1, 0, v1
	v_cndmask_b32_e64 v108, v2, v0, s1
; %bb.136:                              ;   in Loop: Header=BB438_13 Depth=1
	s_or_b32 exec_lo, exec_lo, s21
	v_lshrrev_b32_e32 v0, 16, v33
	s_mov_b32 s21, exec_lo
	s_delay_alu instid0(VALU_DEP_1) | instskip(NEXT) | instid1(VALU_DEP_1)
	v_dual_mov_b32 v1, 0 :: v_dual_and_b32 v2, 0xff, v0
	v_cmpx_ne_u16_e32 0, v2
	s_cbranch_execz .LBB438_144
; %bb.137:                              ;   in Loop: Header=BB438_13 Depth=1
	v_bfrev_b32_e32 v1, 1
	s_mov_b32 s22, exec_lo
	v_cmpx_ne_u16_e32 0x80, v2
	s_cbranch_execz .LBB438_143
; %bb.138:                              ;   in Loop: Header=BB438_13 Depth=1
	v_bfe_u32 v2, v33, 16, 7
	v_mov_b32_e32 v1, 0x7f800001
	s_mov_b32 s23, exec_lo
	s_delay_alu instid0(VALU_DEP_2)
	v_cmpx_ne_u32_e32 0x7f, v2
	s_cbranch_execz .LBB438_142
; %bb.139:                              ;   in Loop: Header=BB438_13 Depth=1
	v_and_b32_e32 v19, 7, v0
	v_lshrrev_b32_e32 v1, 3, v2
	s_mov_b32 s24, exec_lo
	v_cmpx_gt_u32_e32 8, v2
; %bb.140:                              ;   in Loop: Header=BB438_13 Depth=1
	s_delay_alu instid0(VALU_DEP_3) | instskip(NEXT) | instid1(VALU_DEP_1)
	v_clz_i32_u32_e32 v1, v19
	v_min_u32_e32 v1, 32, v1
	s_delay_alu instid0(VALU_DEP_1) | instskip(SKIP_1) | instid1(VALU_DEP_2)
	v_subrev_nc_u32_e32 v2, 28, v1
	v_sub_nc_u32_e32 v1, 29, v1
	v_lshlrev_b64 v[2:3], v2, v[19:20]
	s_delay_alu instid0(VALU_DEP_1)
	v_and_b32_e32 v19, 7, v2
; %bb.141:                              ;   in Loop: Header=BB438_13 Depth=1
	s_or_b32 exec_lo, exec_lo, s24
	v_lshlrev_b32_e32 v0, 24, v0
	s_delay_alu instid0(VALU_DEP_2) | instskip(SKIP_1) | instid1(VALU_DEP_3)
	v_lshlrev_b32_e32 v2, 20, v19
	v_lshl_add_u32 v1, v1, 23, 0x3c000000
	v_and_b32_e32 v0, 0x80000000, v0
	s_delay_alu instid0(VALU_DEP_1)
	v_or3_b32 v1, v2, v0, v1
.LBB438_142:                            ;   in Loop: Header=BB438_13 Depth=1
	s_or_b32 exec_lo, exec_lo, s23
.LBB438_143:                            ;   in Loop: Header=BB438_13 Depth=1
	s_delay_alu instid0(SALU_CYCLE_1)
	s_or_b32 exec_lo, exec_lo, s22
.LBB438_144:                            ;   in Loop: Header=BB438_13 Depth=1
	s_delay_alu instid0(SALU_CYCLE_1) | instskip(NEXT) | instid1(VALU_DEP_1)
	s_or_b32 exec_lo, exec_lo, s21
	v_mul_f32_e32 v0, v91, v1
                                        ; implicit-def: $vgpr109
	s_delay_alu instid0(VALU_DEP_1) | instskip(NEXT) | instid1(VALU_DEP_1)
	v_and_b32_e32 v1, 0x7f800000, v0
	v_cmp_ne_u32_e64 s1, 0x7f800000, v1
	s_delay_alu instid0(VALU_DEP_1) | instskip(NEXT) | instid1(SALU_CYCLE_1)
	s_and_saveexec_b32 s21, s1
	s_xor_b32 s1, exec_lo, s21
; %bb.145:                              ;   in Loop: Header=BB438_13 Depth=1
	v_bfe_u32 v1, v0, 16, 1
	s_delay_alu instid0(VALU_DEP_1)
	v_add3_u32 v109, v0, v1, 0x7fff
                                        ; implicit-def: $vgpr0
; %bb.146:                              ;   in Loop: Header=BB438_13 Depth=1
	s_and_not1_saveexec_b32 s21, s1
; %bb.147:                              ;   in Loop: Header=BB438_13 Depth=1
	v_and_b32_e32 v1, 0xffff, v0
	v_or_b32_e32 v2, 0x10000, v0
	s_delay_alu instid0(VALU_DEP_2) | instskip(NEXT) | instid1(VALU_DEP_1)
	v_cmp_eq_u32_e64 s1, 0, v1
	v_cndmask_b32_e64 v109, v2, v0, s1
; %bb.148:                              ;   in Loop: Header=BB438_13 Depth=1
	s_or_b32 exec_lo, exec_lo, s21
	v_mov_b32_e32 v1, 0
	s_mov_b32 s21, exec_lo
	v_cmpx_lt_u32_e32 0xffffff, v33
	s_cbranch_execz .LBB438_156
; %bb.149:                              ;   in Loop: Header=BB438_13 Depth=1
	v_lshrrev_b32_e32 v0, 24, v33
	v_bfrev_b32_e32 v1, 1
	s_mov_b32 s22, exec_lo
	s_delay_alu instid0(VALU_DEP_2)
	v_cmpx_ne_u32_e32 0x80, v0
	s_cbranch_execz .LBB438_155
; %bb.150:                              ;   in Loop: Header=BB438_13 Depth=1
	v_bfe_u32 v2, v33, 24, 7
	v_mov_b32_e32 v1, 0x7f800001
	s_mov_b32 s23, exec_lo
	s_delay_alu instid0(VALU_DEP_2)
	v_cmpx_ne_u32_e32 0x7f, v2
	s_cbranch_execz .LBB438_154
; %bb.151:                              ;   in Loop: Header=BB438_13 Depth=1
	v_and_b32_e32 v19, 7, v0
	v_lshrrev_b32_e32 v1, 3, v2
	s_mov_b32 s24, exec_lo
	v_cmpx_gt_u32_e32 8, v2
; %bb.152:                              ;   in Loop: Header=BB438_13 Depth=1
	s_delay_alu instid0(VALU_DEP_3) | instskip(NEXT) | instid1(VALU_DEP_1)
	v_clz_i32_u32_e32 v1, v19
	v_min_u32_e32 v1, 32, v1
	s_delay_alu instid0(VALU_DEP_1) | instskip(SKIP_1) | instid1(VALU_DEP_2)
	v_subrev_nc_u32_e32 v2, 28, v1
	v_sub_nc_u32_e32 v1, 29, v1
	v_lshlrev_b64 v[2:3], v2, v[19:20]
	s_delay_alu instid0(VALU_DEP_1)
	v_and_b32_e32 v19, 7, v2
; %bb.153:                              ;   in Loop: Header=BB438_13 Depth=1
	s_or_b32 exec_lo, exec_lo, s24
	v_lshlrev_b32_e32 v0, 24, v0
	s_delay_alu instid0(VALU_DEP_2) | instskip(SKIP_1) | instid1(VALU_DEP_3)
	v_lshlrev_b32_e32 v2, 20, v19
	v_lshl_add_u32 v1, v1, 23, 0x3c000000
	v_and_b32_e32 v0, 0x80000000, v0
	s_delay_alu instid0(VALU_DEP_1)
	v_or3_b32 v1, v2, v0, v1
.LBB438_154:                            ;   in Loop: Header=BB438_13 Depth=1
	s_or_b32 exec_lo, exec_lo, s23
.LBB438_155:                            ;   in Loop: Header=BB438_13 Depth=1
	s_delay_alu instid0(SALU_CYCLE_1)
	s_or_b32 exec_lo, exec_lo, s22
.LBB438_156:                            ;   in Loop: Header=BB438_13 Depth=1
	s_delay_alu instid0(SALU_CYCLE_1) | instskip(NEXT) | instid1(VALU_DEP_1)
	s_or_b32 exec_lo, exec_lo, s21
	v_mul_f32_e32 v0, v91, v1
                                        ; implicit-def: $vgpr110
	s_delay_alu instid0(VALU_DEP_1) | instskip(NEXT) | instid1(VALU_DEP_1)
	v_and_b32_e32 v1, 0x7f800000, v0
	v_cmp_ne_u32_e64 s1, 0x7f800000, v1
	s_delay_alu instid0(VALU_DEP_1) | instskip(NEXT) | instid1(SALU_CYCLE_1)
	s_and_saveexec_b32 s21, s1
	s_xor_b32 s1, exec_lo, s21
; %bb.157:                              ;   in Loop: Header=BB438_13 Depth=1
	v_bfe_u32 v1, v0, 16, 1
	s_delay_alu instid0(VALU_DEP_1)
	v_add3_u32 v110, v0, v1, 0x7fff
                                        ; implicit-def: $vgpr0
; %bb.158:                              ;   in Loop: Header=BB438_13 Depth=1
	s_and_not1_saveexec_b32 s21, s1
; %bb.159:                              ;   in Loop: Header=BB438_13 Depth=1
	v_and_b32_e32 v1, 0xffff, v0
	v_or_b32_e32 v2, 0x10000, v0
	s_delay_alu instid0(VALU_DEP_2) | instskip(NEXT) | instid1(VALU_DEP_1)
	v_cmp_eq_u32_e64 s1, 0, v1
	v_cndmask_b32_e64 v110, v2, v0, s1
; %bb.160:                              ;   in Loop: Header=BB438_13 Depth=1
	s_or_b32 exec_lo, exec_lo, s21
	v_dual_mov_b32 v0, 0 :: v_dual_and_b32 v1, 0xff, v34
	v_mov_b32_e32 v19, v34
	s_mov_b32 s21, exec_lo
	s_delay_alu instid0(VALU_DEP_2)
	v_cmpx_ne_u16_e32 0, v1
	s_cbranch_execz .LBB438_168
; %bb.161:                              ;   in Loop: Header=BB438_13 Depth=1
	v_bfrev_b32_e32 v0, 1
	s_mov_b32 s22, exec_lo
	v_cmpx_ne_u16_e32 0x80, v1
	s_cbranch_execz .LBB438_167
; %bb.162:                              ;   in Loop: Header=BB438_13 Depth=1
	v_and_b32_e32 v1, 0x7f, v34
	v_mov_b32_e32 v0, 0x7f800001
	s_mov_b32 s23, exec_lo
	s_delay_alu instid0(VALU_DEP_2)
	v_cmpx_ne_u32_e32 0x7f, v1
	s_cbranch_execz .LBB438_166
; %bb.163:                              ;   in Loop: Header=BB438_13 Depth=1
	v_lshrrev_b32_e32 v0, 3, v1
	v_dual_mov_b32 v36, v20 :: v_dual_mov_b32 v35, v19
	s_mov_b32 s24, exec_lo
	v_cmpx_gt_u32_e32 8, v1
; %bb.164:                              ;   in Loop: Header=BB438_13 Depth=1
	v_and_b32_e32 v0, 7, v34
	s_delay_alu instid0(VALU_DEP_1) | instskip(NEXT) | instid1(VALU_DEP_1)
	v_clz_i32_u32_e32 v0, v0
	v_min_u32_e32 v0, 32, v0
	s_delay_alu instid0(VALU_DEP_1) | instskip(SKIP_1) | instid1(VALU_DEP_2)
	v_subrev_nc_u32_e32 v1, 28, v0
	v_sub_nc_u32_e32 v0, 29, v0
	v_lshlrev_b64 v[35:36], v1, v[19:20]
; %bb.165:                              ;   in Loop: Header=BB438_13 Depth=1
	s_or_b32 exec_lo, exec_lo, s24
	s_delay_alu instid0(VALU_DEP_1) | instskip(SKIP_2) | instid1(VALU_DEP_3)
	v_lshlrev_b32_e32 v1, 20, v35
	v_lshlrev_b32_e32 v2, 24, v19
	v_lshl_add_u32 v0, v0, 23, 0x3c000000
	v_and_b32_e32 v1, 0x700000, v1
	s_delay_alu instid0(VALU_DEP_3) | instskip(NEXT) | instid1(VALU_DEP_1)
	v_and_b32_e32 v2, 0x80000000, v2
	v_or3_b32 v0, v1, v2, v0
.LBB438_166:                            ;   in Loop: Header=BB438_13 Depth=1
	s_or_b32 exec_lo, exec_lo, s23
.LBB438_167:                            ;   in Loop: Header=BB438_13 Depth=1
	s_delay_alu instid0(SALU_CYCLE_1)
	s_or_b32 exec_lo, exec_lo, s22
.LBB438_168:                            ;   in Loop: Header=BB438_13 Depth=1
	s_delay_alu instid0(SALU_CYCLE_1) | instskip(NEXT) | instid1(VALU_DEP_1)
	s_or_b32 exec_lo, exec_lo, s21
	v_mul_f32_e32 v0, v91, v0
                                        ; implicit-def: $vgpr111
	s_delay_alu instid0(VALU_DEP_1) | instskip(NEXT) | instid1(VALU_DEP_1)
	v_and_b32_e32 v1, 0x7f800000, v0
	v_cmp_ne_u32_e64 s1, 0x7f800000, v1
	s_delay_alu instid0(VALU_DEP_1) | instskip(NEXT) | instid1(SALU_CYCLE_1)
	s_and_saveexec_b32 s21, s1
	s_xor_b32 s1, exec_lo, s21
; %bb.169:                              ;   in Loop: Header=BB438_13 Depth=1
	v_bfe_u32 v1, v0, 16, 1
	s_delay_alu instid0(VALU_DEP_1)
	v_add3_u32 v111, v0, v1, 0x7fff
                                        ; implicit-def: $vgpr0
; %bb.170:                              ;   in Loop: Header=BB438_13 Depth=1
	s_and_not1_saveexec_b32 s21, s1
; %bb.171:                              ;   in Loop: Header=BB438_13 Depth=1
	v_and_b32_e32 v1, 0xffff, v0
	v_or_b32_e32 v2, 0x10000, v0
	s_delay_alu instid0(VALU_DEP_2) | instskip(NEXT) | instid1(VALU_DEP_1)
	v_cmp_eq_u32_e64 s1, 0, v1
	v_cndmask_b32_e64 v111, v2, v0, s1
; %bb.172:                              ;   in Loop: Header=BB438_13 Depth=1
	s_or_b32 exec_lo, exec_lo, s21
	v_lshrrev_b16 v1, 8, v19
	v_mov_b32_e32 v0, 0
	s_mov_b32 s21, exec_lo
	s_delay_alu instid0(VALU_DEP_2)
	v_cmpx_ne_u16_e32 0, v1
	s_cbranch_execz .LBB438_180
; %bb.173:                              ;   in Loop: Header=BB438_13 Depth=1
	v_bfrev_b32_e32 v0, 1
	s_mov_b32 s22, exec_lo
	v_cmpx_ne_u16_e32 0x80, v1
	s_cbranch_execz .LBB438_179
; %bb.174:                              ;   in Loop: Header=BB438_13 Depth=1
	v_and_b32_e32 v2, 0xffff, v1
	v_mov_b32_e32 v0, 0x7f800001
	s_mov_b32 s23, exec_lo
	s_delay_alu instid0(VALU_DEP_2) | instskip(NEXT) | instid1(VALU_DEP_1)
	v_and_b32_e32 v1, 0x7f, v2
	v_cmpx_ne_u32_e32 0x7f, v1
	s_cbranch_execz .LBB438_178
; %bb.175:                              ;   in Loop: Header=BB438_13 Depth=1
	v_dual_mov_b32 v36, v20 :: v_dual_and_b32 v35, 7, v2
	v_lshrrev_b32_e32 v0, 3, v1
	s_mov_b32 s24, exec_lo
	v_cmpx_gt_u32_e32 8, v1
; %bb.176:                              ;   in Loop: Header=BB438_13 Depth=1
	s_delay_alu instid0(VALU_DEP_3) | instskip(NEXT) | instid1(VALU_DEP_1)
	v_clz_i32_u32_e32 v0, v35
	v_min_u32_e32 v0, 32, v0
	s_delay_alu instid0(VALU_DEP_1) | instskip(SKIP_1) | instid1(VALU_DEP_2)
	v_subrev_nc_u32_e32 v1, 28, v0
	v_sub_nc_u32_e32 v0, 29, v0
	v_lshlrev_b64 v[1:2], v1, v[35:36]
	s_delay_alu instid0(VALU_DEP_1)
	v_and_b32_e32 v35, 7, v1
; %bb.177:                              ;   in Loop: Header=BB438_13 Depth=1
	s_or_b32 exec_lo, exec_lo, s24
	v_lshlrev_b32_e32 v1, 16, v19
	s_delay_alu instid0(VALU_DEP_2) | instskip(SKIP_1) | instid1(VALU_DEP_3)
	v_lshlrev_b32_e32 v2, 20, v35
	v_lshl_add_u32 v0, v0, 23, 0x3c000000
	v_and_b32_e32 v1, 0x80000000, v1
	s_delay_alu instid0(VALU_DEP_1)
	v_or3_b32 v0, v2, v1, v0
.LBB438_178:                            ;   in Loop: Header=BB438_13 Depth=1
	s_or_b32 exec_lo, exec_lo, s23
.LBB438_179:                            ;   in Loop: Header=BB438_13 Depth=1
	s_delay_alu instid0(SALU_CYCLE_1)
	s_or_b32 exec_lo, exec_lo, s22
.LBB438_180:                            ;   in Loop: Header=BB438_13 Depth=1
	s_delay_alu instid0(SALU_CYCLE_1) | instskip(NEXT) | instid1(VALU_DEP_1)
	s_or_b32 exec_lo, exec_lo, s21
	v_mul_f32_e32 v0, v91, v0
                                        ; implicit-def: $vgpr120
	s_delay_alu instid0(VALU_DEP_1) | instskip(NEXT) | instid1(VALU_DEP_1)
	v_and_b32_e32 v1, 0x7f800000, v0
	v_cmp_ne_u32_e64 s1, 0x7f800000, v1
	s_delay_alu instid0(VALU_DEP_1) | instskip(NEXT) | instid1(SALU_CYCLE_1)
	s_and_saveexec_b32 s21, s1
	s_xor_b32 s1, exec_lo, s21
; %bb.181:                              ;   in Loop: Header=BB438_13 Depth=1
	v_bfe_u32 v1, v0, 16, 1
	s_delay_alu instid0(VALU_DEP_1)
	v_add3_u32 v120, v0, v1, 0x7fff
                                        ; implicit-def: $vgpr0
; %bb.182:                              ;   in Loop: Header=BB438_13 Depth=1
	s_and_not1_saveexec_b32 s21, s1
; %bb.183:                              ;   in Loop: Header=BB438_13 Depth=1
	v_and_b32_e32 v1, 0xffff, v0
	v_or_b32_e32 v2, 0x10000, v0
	s_delay_alu instid0(VALU_DEP_2) | instskip(NEXT) | instid1(VALU_DEP_1)
	v_cmp_eq_u32_e64 s1, 0, v1
	v_cndmask_b32_e64 v120, v2, v0, s1
; %bb.184:                              ;   in Loop: Header=BB438_13 Depth=1
	s_or_b32 exec_lo, exec_lo, s21
	v_lshrrev_b32_e32 v0, 16, v34
	s_mov_b32 s21, exec_lo
	s_delay_alu instid0(VALU_DEP_1) | instskip(NEXT) | instid1(VALU_DEP_1)
	v_dual_mov_b32 v1, 0 :: v_dual_and_b32 v2, 0xff, v0
	v_cmpx_ne_u16_e32 0, v2
	s_cbranch_execz .LBB438_192
; %bb.185:                              ;   in Loop: Header=BB438_13 Depth=1
	v_bfrev_b32_e32 v1, 1
	s_mov_b32 s22, exec_lo
	v_cmpx_ne_u16_e32 0x80, v2
	s_cbranch_execz .LBB438_191
; %bb.186:                              ;   in Loop: Header=BB438_13 Depth=1
	v_bfe_u32 v2, v34, 16, 7
	v_mov_b32_e32 v1, 0x7f800001
	s_mov_b32 s23, exec_lo
	s_delay_alu instid0(VALU_DEP_2)
	v_cmpx_ne_u32_e32 0x7f, v2
	s_cbranch_execz .LBB438_190
; %bb.187:                              ;   in Loop: Header=BB438_13 Depth=1
	v_and_b32_e32 v19, 7, v0
	v_lshrrev_b32_e32 v1, 3, v2
	s_mov_b32 s24, exec_lo
	v_cmpx_gt_u32_e32 8, v2
; %bb.188:                              ;   in Loop: Header=BB438_13 Depth=1
	s_delay_alu instid0(VALU_DEP_3) | instskip(NEXT) | instid1(VALU_DEP_1)
	v_clz_i32_u32_e32 v1, v19
	v_min_u32_e32 v1, 32, v1
	s_delay_alu instid0(VALU_DEP_1) | instskip(SKIP_1) | instid1(VALU_DEP_2)
	v_subrev_nc_u32_e32 v2, 28, v1
	v_sub_nc_u32_e32 v1, 29, v1
	v_lshlrev_b64 v[2:3], v2, v[19:20]
	s_delay_alu instid0(VALU_DEP_1)
	v_and_b32_e32 v19, 7, v2
; %bb.189:                              ;   in Loop: Header=BB438_13 Depth=1
	s_or_b32 exec_lo, exec_lo, s24
	v_lshlrev_b32_e32 v0, 24, v0
	s_delay_alu instid0(VALU_DEP_2) | instskip(SKIP_1) | instid1(VALU_DEP_3)
	v_lshlrev_b32_e32 v2, 20, v19
	v_lshl_add_u32 v1, v1, 23, 0x3c000000
	v_and_b32_e32 v0, 0x80000000, v0
	s_delay_alu instid0(VALU_DEP_1)
	v_or3_b32 v1, v2, v0, v1
.LBB438_190:                            ;   in Loop: Header=BB438_13 Depth=1
	s_or_b32 exec_lo, exec_lo, s23
.LBB438_191:                            ;   in Loop: Header=BB438_13 Depth=1
	s_delay_alu instid0(SALU_CYCLE_1)
	s_or_b32 exec_lo, exec_lo, s22
.LBB438_192:                            ;   in Loop: Header=BB438_13 Depth=1
	s_delay_alu instid0(SALU_CYCLE_1) | instskip(NEXT) | instid1(VALU_DEP_1)
	s_or_b32 exec_lo, exec_lo, s21
	v_mul_f32_e32 v0, v91, v1
                                        ; implicit-def: $vgpr121
	s_delay_alu instid0(VALU_DEP_1) | instskip(NEXT) | instid1(VALU_DEP_1)
	v_and_b32_e32 v1, 0x7f800000, v0
	v_cmp_ne_u32_e64 s1, 0x7f800000, v1
	s_delay_alu instid0(VALU_DEP_1) | instskip(NEXT) | instid1(SALU_CYCLE_1)
	s_and_saveexec_b32 s21, s1
	s_xor_b32 s1, exec_lo, s21
; %bb.193:                              ;   in Loop: Header=BB438_13 Depth=1
	v_bfe_u32 v1, v0, 16, 1
	s_delay_alu instid0(VALU_DEP_1)
	v_add3_u32 v121, v0, v1, 0x7fff
                                        ; implicit-def: $vgpr0
; %bb.194:                              ;   in Loop: Header=BB438_13 Depth=1
	s_and_not1_saveexec_b32 s21, s1
; %bb.195:                              ;   in Loop: Header=BB438_13 Depth=1
	v_and_b32_e32 v1, 0xffff, v0
	v_or_b32_e32 v2, 0x10000, v0
	s_delay_alu instid0(VALU_DEP_2) | instskip(NEXT) | instid1(VALU_DEP_1)
	v_cmp_eq_u32_e64 s1, 0, v1
	v_cndmask_b32_e64 v121, v2, v0, s1
; %bb.196:                              ;   in Loop: Header=BB438_13 Depth=1
	s_or_b32 exec_lo, exec_lo, s21
	v_mov_b32_e32 v1, 0
	s_mov_b32 s21, exec_lo
	v_cmpx_lt_u64_e64 s[16:17], v[33:34]
	s_cbranch_execz .LBB438_204
; %bb.197:                              ;   in Loop: Header=BB438_13 Depth=1
	v_lshrrev_b32_e32 v0, 24, v34
	v_bfrev_b32_e32 v1, 1
	s_mov_b32 s22, exec_lo
	s_delay_alu instid0(VALU_DEP_2)
	v_cmpx_ne_u32_e32 0x80, v0
	s_cbranch_execz .LBB438_203
; %bb.198:                              ;   in Loop: Header=BB438_13 Depth=1
	v_bfe_u32 v2, v34, 24, 7
	v_mov_b32_e32 v1, 0x7f800001
	s_mov_b32 s23, exec_lo
	s_delay_alu instid0(VALU_DEP_2)
	v_cmpx_ne_u32_e32 0x7f, v2
	s_cbranch_execz .LBB438_202
; %bb.199:                              ;   in Loop: Header=BB438_13 Depth=1
	v_and_b32_e32 v19, 7, v0
	v_lshrrev_b32_e32 v1, 3, v2
	s_mov_b32 s24, exec_lo
	v_cmpx_gt_u32_e32 8, v2
; %bb.200:                              ;   in Loop: Header=BB438_13 Depth=1
	s_delay_alu instid0(VALU_DEP_3) | instskip(NEXT) | instid1(VALU_DEP_1)
	v_clz_i32_u32_e32 v1, v19
	v_min_u32_e32 v1, 32, v1
	s_delay_alu instid0(VALU_DEP_1) | instskip(SKIP_1) | instid1(VALU_DEP_2)
	v_subrev_nc_u32_e32 v2, 28, v1
	v_sub_nc_u32_e32 v1, 29, v1
	v_lshlrev_b64 v[2:3], v2, v[19:20]
	s_delay_alu instid0(VALU_DEP_1)
	v_and_b32_e32 v19, 7, v2
; %bb.201:                              ;   in Loop: Header=BB438_13 Depth=1
	s_or_b32 exec_lo, exec_lo, s24
	v_lshlrev_b32_e32 v0, 24, v0
	s_delay_alu instid0(VALU_DEP_2) | instskip(SKIP_1) | instid1(VALU_DEP_3)
	v_lshlrev_b32_e32 v2, 20, v19
	v_lshl_add_u32 v1, v1, 23, 0x3c000000
	v_and_b32_e32 v0, 0x80000000, v0
	s_delay_alu instid0(VALU_DEP_1)
	v_or3_b32 v1, v2, v0, v1
.LBB438_202:                            ;   in Loop: Header=BB438_13 Depth=1
	s_or_b32 exec_lo, exec_lo, s23
.LBB438_203:                            ;   in Loop: Header=BB438_13 Depth=1
	s_delay_alu instid0(SALU_CYCLE_1)
	s_or_b32 exec_lo, exec_lo, s22
.LBB438_204:                            ;   in Loop: Header=BB438_13 Depth=1
	s_delay_alu instid0(SALU_CYCLE_1) | instskip(NEXT) | instid1(VALU_DEP_1)
	s_or_b32 exec_lo, exec_lo, s21
	v_mul_f32_e32 v0, v91, v1
                                        ; implicit-def: $vgpr122
	s_delay_alu instid0(VALU_DEP_1) | instskip(NEXT) | instid1(VALU_DEP_1)
	v_and_b32_e32 v1, 0x7f800000, v0
	v_cmp_ne_u32_e64 s1, 0x7f800000, v1
	s_delay_alu instid0(VALU_DEP_1) | instskip(NEXT) | instid1(SALU_CYCLE_1)
	s_and_saveexec_b32 s21, s1
	s_xor_b32 s1, exec_lo, s21
; %bb.205:                              ;   in Loop: Header=BB438_13 Depth=1
	v_bfe_u32 v1, v0, 16, 1
	s_delay_alu instid0(VALU_DEP_1)
	v_add3_u32 v122, v0, v1, 0x7fff
                                        ; implicit-def: $vgpr0
; %bb.206:                              ;   in Loop: Header=BB438_13 Depth=1
	s_and_not1_saveexec_b32 s21, s1
; %bb.207:                              ;   in Loop: Header=BB438_13 Depth=1
	v_and_b32_e32 v1, 0xffff, v0
	v_or_b32_e32 v2, 0x10000, v0
	s_delay_alu instid0(VALU_DEP_2) | instskip(NEXT) | instid1(VALU_DEP_1)
	v_cmp_eq_u32_e64 s1, 0, v1
	v_cndmask_b32_e64 v122, v2, v0, s1
; %bb.208:                              ;   in Loop: Header=BB438_13 Depth=1
	s_or_b32 exec_lo, exec_lo, s21
	flat_load_b64 v[33:34], v[31:32] offset:512
	s_mov_b32 s21, exec_lo
	s_waitcnt vmcnt(0) lgkmcnt(0)
	v_dual_mov_b32 v0, 0 :: v_dual_and_b32 v1, 0xff, v33
	s_delay_alu instid0(VALU_DEP_1)
	v_cmpx_ne_u16_e32 0, v1
	s_cbranch_execz .LBB438_216
; %bb.209:                              ;   in Loop: Header=BB438_13 Depth=1
	v_bfrev_b32_e32 v0, 1
	s_mov_b32 s22, exec_lo
	v_cmpx_ne_u16_e32 0x80, v1
	s_cbranch_execz .LBB438_215
; %bb.210:                              ;   in Loop: Header=BB438_13 Depth=1
	v_and_b32_e32 v1, 0x7f, v33
	v_mov_b32_e32 v0, 0x7f800001
	s_mov_b32 s23, exec_lo
	s_delay_alu instid0(VALU_DEP_2)
	v_cmpx_ne_u32_e32 0x7f, v1
	s_cbranch_execz .LBB438_214
; %bb.211:                              ;   in Loop: Header=BB438_13 Depth=1
	v_lshrrev_b32_e32 v0, 3, v1
	v_dual_mov_b32 v36, v34 :: v_dual_mov_b32 v35, v33
	s_mov_b32 s24, exec_lo
	v_cmpx_gt_u32_e32 8, v1
; %bb.212:                              ;   in Loop: Header=BB438_13 Depth=1
	v_and_b32_e32 v0, 7, v33
	s_delay_alu instid0(VALU_DEP_1) | instskip(NEXT) | instid1(VALU_DEP_1)
	v_clz_i32_u32_e32 v0, v0
	v_min_u32_e32 v0, 32, v0
	s_delay_alu instid0(VALU_DEP_1) | instskip(SKIP_1) | instid1(VALU_DEP_2)
	v_subrev_nc_u32_e32 v1, 28, v0
	v_sub_nc_u32_e32 v0, 29, v0
	v_lshlrev_b64 v[35:36], v1, v[33:34]
; %bb.213:                              ;   in Loop: Header=BB438_13 Depth=1
	s_or_b32 exec_lo, exec_lo, s24
	s_delay_alu instid0(VALU_DEP_1) | instskip(SKIP_2) | instid1(VALU_DEP_3)
	v_lshlrev_b32_e32 v1, 20, v35
	v_lshlrev_b32_e32 v2, 24, v33
	v_lshl_add_u32 v0, v0, 23, 0x3c000000
	v_and_b32_e32 v1, 0x700000, v1
	s_delay_alu instid0(VALU_DEP_3) | instskip(NEXT) | instid1(VALU_DEP_1)
	v_and_b32_e32 v2, 0x80000000, v2
	v_or3_b32 v0, v1, v2, v0
.LBB438_214:                            ;   in Loop: Header=BB438_13 Depth=1
	s_or_b32 exec_lo, exec_lo, s23
.LBB438_215:                            ;   in Loop: Header=BB438_13 Depth=1
	s_delay_alu instid0(SALU_CYCLE_1)
	s_or_b32 exec_lo, exec_lo, s22
.LBB438_216:                            ;   in Loop: Header=BB438_13 Depth=1
	s_delay_alu instid0(SALU_CYCLE_1) | instskip(NEXT) | instid1(VALU_DEP_1)
	s_or_b32 exec_lo, exec_lo, s21
	v_mul_f32_e32 v0, v91, v0
                                        ; implicit-def: $vgpr123
	s_delay_alu instid0(VALU_DEP_1) | instskip(NEXT) | instid1(VALU_DEP_1)
	v_and_b32_e32 v1, 0x7f800000, v0
	v_cmp_ne_u32_e64 s1, 0x7f800000, v1
	s_delay_alu instid0(VALU_DEP_1) | instskip(NEXT) | instid1(SALU_CYCLE_1)
	s_and_saveexec_b32 s21, s1
	s_xor_b32 s1, exec_lo, s21
; %bb.217:                              ;   in Loop: Header=BB438_13 Depth=1
	v_bfe_u32 v1, v0, 16, 1
	s_delay_alu instid0(VALU_DEP_1)
	v_add3_u32 v123, v0, v1, 0x7fff
                                        ; implicit-def: $vgpr0
; %bb.218:                              ;   in Loop: Header=BB438_13 Depth=1
	s_and_not1_saveexec_b32 s21, s1
; %bb.219:                              ;   in Loop: Header=BB438_13 Depth=1
	v_and_b32_e32 v1, 0xffff, v0
	v_or_b32_e32 v2, 0x10000, v0
	s_delay_alu instid0(VALU_DEP_2) | instskip(NEXT) | instid1(VALU_DEP_1)
	v_cmp_eq_u32_e64 s1, 0, v1
	v_cndmask_b32_e64 v123, v2, v0, s1
; %bb.220:                              ;   in Loop: Header=BB438_13 Depth=1
	s_or_b32 exec_lo, exec_lo, s21
	v_lshrrev_b16 v1, 8, v33
	v_mov_b32_e32 v0, 0
	s_mov_b32 s21, exec_lo
	s_delay_alu instid0(VALU_DEP_2)
	v_cmpx_ne_u16_e32 0, v1
	s_cbranch_execz .LBB438_228
; %bb.221:                              ;   in Loop: Header=BB438_13 Depth=1
	v_bfrev_b32_e32 v0, 1
	s_mov_b32 s22, exec_lo
	v_cmpx_ne_u16_e32 0x80, v1
	s_cbranch_execz .LBB438_227
; %bb.222:                              ;   in Loop: Header=BB438_13 Depth=1
	v_and_b32_e32 v2, 0xffff, v1
	v_mov_b32_e32 v0, 0x7f800001
	s_mov_b32 s23, exec_lo
	s_delay_alu instid0(VALU_DEP_2) | instskip(NEXT) | instid1(VALU_DEP_1)
	v_and_b32_e32 v1, 0x7f, v2
	v_cmpx_ne_u32_e32 0x7f, v1
	s_cbranch_execz .LBB438_226
; %bb.223:                              ;   in Loop: Header=BB438_13 Depth=1
	v_and_b32_e32 v19, 7, v2
	v_lshrrev_b32_e32 v0, 3, v1
	s_mov_b32 s24, exec_lo
	v_cmpx_gt_u32_e32 8, v1
; %bb.224:                              ;   in Loop: Header=BB438_13 Depth=1
	s_delay_alu instid0(VALU_DEP_3) | instskip(NEXT) | instid1(VALU_DEP_1)
	v_clz_i32_u32_e32 v0, v19
	v_min_u32_e32 v0, 32, v0
	s_delay_alu instid0(VALU_DEP_1) | instskip(SKIP_1) | instid1(VALU_DEP_2)
	v_subrev_nc_u32_e32 v1, 28, v0
	v_sub_nc_u32_e32 v0, 29, v0
	v_lshlrev_b64 v[1:2], v1, v[19:20]
	s_delay_alu instid0(VALU_DEP_1)
	v_and_b32_e32 v19, 7, v1
; %bb.225:                              ;   in Loop: Header=BB438_13 Depth=1
	s_or_b32 exec_lo, exec_lo, s24
	v_lshlrev_b32_e32 v1, 16, v33
	s_delay_alu instid0(VALU_DEP_2) | instskip(SKIP_1) | instid1(VALU_DEP_3)
	v_lshlrev_b32_e32 v2, 20, v19
	v_lshl_add_u32 v0, v0, 23, 0x3c000000
	v_and_b32_e32 v1, 0x80000000, v1
	s_delay_alu instid0(VALU_DEP_1)
	v_or3_b32 v0, v2, v1, v0
.LBB438_226:                            ;   in Loop: Header=BB438_13 Depth=1
	s_or_b32 exec_lo, exec_lo, s23
.LBB438_227:                            ;   in Loop: Header=BB438_13 Depth=1
	s_delay_alu instid0(SALU_CYCLE_1)
	s_or_b32 exec_lo, exec_lo, s22
.LBB438_228:                            ;   in Loop: Header=BB438_13 Depth=1
	s_delay_alu instid0(SALU_CYCLE_1) | instskip(NEXT) | instid1(VALU_DEP_1)
	s_or_b32 exec_lo, exec_lo, s21
	v_mul_f32_e32 v0, v91, v0
                                        ; implicit-def: $vgpr124
	s_delay_alu instid0(VALU_DEP_1) | instskip(NEXT) | instid1(VALU_DEP_1)
	v_and_b32_e32 v1, 0x7f800000, v0
	v_cmp_ne_u32_e64 s1, 0x7f800000, v1
	s_delay_alu instid0(VALU_DEP_1) | instskip(NEXT) | instid1(SALU_CYCLE_1)
	s_and_saveexec_b32 s21, s1
	s_xor_b32 s1, exec_lo, s21
; %bb.229:                              ;   in Loop: Header=BB438_13 Depth=1
	v_bfe_u32 v1, v0, 16, 1
	s_delay_alu instid0(VALU_DEP_1)
	v_add3_u32 v124, v0, v1, 0x7fff
                                        ; implicit-def: $vgpr0
; %bb.230:                              ;   in Loop: Header=BB438_13 Depth=1
	s_and_not1_saveexec_b32 s21, s1
; %bb.231:                              ;   in Loop: Header=BB438_13 Depth=1
	v_and_b32_e32 v1, 0xffff, v0
	v_or_b32_e32 v2, 0x10000, v0
	s_delay_alu instid0(VALU_DEP_2) | instskip(NEXT) | instid1(VALU_DEP_1)
	v_cmp_eq_u32_e64 s1, 0, v1
	v_cndmask_b32_e64 v124, v2, v0, s1
; %bb.232:                              ;   in Loop: Header=BB438_13 Depth=1
	s_or_b32 exec_lo, exec_lo, s21
	v_lshrrev_b32_e32 v0, 16, v33
	s_mov_b32 s21, exec_lo
	s_delay_alu instid0(VALU_DEP_1) | instskip(NEXT) | instid1(VALU_DEP_1)
	v_dual_mov_b32 v1, 0 :: v_dual_and_b32 v2, 0xff, v0
	v_cmpx_ne_u16_e32 0, v2
	s_cbranch_execz .LBB438_240
; %bb.233:                              ;   in Loop: Header=BB438_13 Depth=1
	v_bfrev_b32_e32 v1, 1
	s_mov_b32 s22, exec_lo
	v_cmpx_ne_u16_e32 0x80, v2
	s_cbranch_execz .LBB438_239
; %bb.234:                              ;   in Loop: Header=BB438_13 Depth=1
	v_bfe_u32 v2, v33, 16, 7
	v_mov_b32_e32 v1, 0x7f800001
	s_mov_b32 s23, exec_lo
	s_delay_alu instid0(VALU_DEP_2)
	v_cmpx_ne_u32_e32 0x7f, v2
	s_cbranch_execz .LBB438_238
; %bb.235:                              ;   in Loop: Header=BB438_13 Depth=1
	v_and_b32_e32 v19, 7, v0
	v_lshrrev_b32_e32 v1, 3, v2
	s_mov_b32 s24, exec_lo
	v_cmpx_gt_u32_e32 8, v2
; %bb.236:                              ;   in Loop: Header=BB438_13 Depth=1
	s_delay_alu instid0(VALU_DEP_3) | instskip(NEXT) | instid1(VALU_DEP_1)
	v_clz_i32_u32_e32 v1, v19
	v_min_u32_e32 v1, 32, v1
	s_delay_alu instid0(VALU_DEP_1) | instskip(SKIP_1) | instid1(VALU_DEP_2)
	v_subrev_nc_u32_e32 v2, 28, v1
	v_sub_nc_u32_e32 v1, 29, v1
	v_lshlrev_b64 v[2:3], v2, v[19:20]
	s_delay_alu instid0(VALU_DEP_1)
	v_and_b32_e32 v19, 7, v2
; %bb.237:                              ;   in Loop: Header=BB438_13 Depth=1
	s_or_b32 exec_lo, exec_lo, s24
	v_lshlrev_b32_e32 v0, 24, v0
	s_delay_alu instid0(VALU_DEP_2) | instskip(SKIP_1) | instid1(VALU_DEP_3)
	v_lshlrev_b32_e32 v2, 20, v19
	v_lshl_add_u32 v1, v1, 23, 0x3c000000
	v_and_b32_e32 v0, 0x80000000, v0
	s_delay_alu instid0(VALU_DEP_1)
	v_or3_b32 v1, v2, v0, v1
.LBB438_238:                            ;   in Loop: Header=BB438_13 Depth=1
	s_or_b32 exec_lo, exec_lo, s23
.LBB438_239:                            ;   in Loop: Header=BB438_13 Depth=1
	s_delay_alu instid0(SALU_CYCLE_1)
	s_or_b32 exec_lo, exec_lo, s22
.LBB438_240:                            ;   in Loop: Header=BB438_13 Depth=1
	s_delay_alu instid0(SALU_CYCLE_1) | instskip(NEXT) | instid1(VALU_DEP_1)
	s_or_b32 exec_lo, exec_lo, s21
	v_mul_f32_e32 v0, v91, v1
                                        ; implicit-def: $vgpr125
	s_delay_alu instid0(VALU_DEP_1) | instskip(NEXT) | instid1(VALU_DEP_1)
	v_and_b32_e32 v1, 0x7f800000, v0
	v_cmp_ne_u32_e64 s1, 0x7f800000, v1
	s_delay_alu instid0(VALU_DEP_1) | instskip(NEXT) | instid1(SALU_CYCLE_1)
	s_and_saveexec_b32 s21, s1
	s_xor_b32 s1, exec_lo, s21
; %bb.241:                              ;   in Loop: Header=BB438_13 Depth=1
	v_bfe_u32 v1, v0, 16, 1
	s_delay_alu instid0(VALU_DEP_1)
	v_add3_u32 v125, v0, v1, 0x7fff
                                        ; implicit-def: $vgpr0
; %bb.242:                              ;   in Loop: Header=BB438_13 Depth=1
	s_and_not1_saveexec_b32 s21, s1
; %bb.243:                              ;   in Loop: Header=BB438_13 Depth=1
	v_and_b32_e32 v1, 0xffff, v0
	v_or_b32_e32 v2, 0x10000, v0
	s_delay_alu instid0(VALU_DEP_2) | instskip(NEXT) | instid1(VALU_DEP_1)
	v_cmp_eq_u32_e64 s1, 0, v1
	v_cndmask_b32_e64 v125, v2, v0, s1
; %bb.244:                              ;   in Loop: Header=BB438_13 Depth=1
	s_or_b32 exec_lo, exec_lo, s21
	v_mov_b32_e32 v1, 0
	s_mov_b32 s21, exec_lo
	v_cmpx_lt_u32_e32 0xffffff, v33
	s_cbranch_execz .LBB438_252
; %bb.245:                              ;   in Loop: Header=BB438_13 Depth=1
	v_lshrrev_b32_e32 v0, 24, v33
	v_bfrev_b32_e32 v1, 1
	s_mov_b32 s22, exec_lo
	s_delay_alu instid0(VALU_DEP_2)
	v_cmpx_ne_u32_e32 0x80, v0
	s_cbranch_execz .LBB438_251
; %bb.246:                              ;   in Loop: Header=BB438_13 Depth=1
	v_bfe_u32 v2, v33, 24, 7
	v_mov_b32_e32 v1, 0x7f800001
	s_mov_b32 s23, exec_lo
	s_delay_alu instid0(VALU_DEP_2)
	v_cmpx_ne_u32_e32 0x7f, v2
	s_cbranch_execz .LBB438_250
; %bb.247:                              ;   in Loop: Header=BB438_13 Depth=1
	v_and_b32_e32 v19, 7, v0
	v_lshrrev_b32_e32 v1, 3, v2
	s_mov_b32 s24, exec_lo
	v_cmpx_gt_u32_e32 8, v2
; %bb.248:                              ;   in Loop: Header=BB438_13 Depth=1
	s_delay_alu instid0(VALU_DEP_3) | instskip(NEXT) | instid1(VALU_DEP_1)
	v_clz_i32_u32_e32 v1, v19
	v_min_u32_e32 v1, 32, v1
	s_delay_alu instid0(VALU_DEP_1) | instskip(SKIP_1) | instid1(VALU_DEP_2)
	v_subrev_nc_u32_e32 v2, 28, v1
	v_sub_nc_u32_e32 v1, 29, v1
	v_lshlrev_b64 v[2:3], v2, v[19:20]
	s_delay_alu instid0(VALU_DEP_1)
	v_and_b32_e32 v19, 7, v2
; %bb.249:                              ;   in Loop: Header=BB438_13 Depth=1
	s_or_b32 exec_lo, exec_lo, s24
	v_lshlrev_b32_e32 v0, 24, v0
	s_delay_alu instid0(VALU_DEP_2) | instskip(SKIP_1) | instid1(VALU_DEP_3)
	v_lshlrev_b32_e32 v2, 20, v19
	v_lshl_add_u32 v1, v1, 23, 0x3c000000
	v_and_b32_e32 v0, 0x80000000, v0
	s_delay_alu instid0(VALU_DEP_1)
	v_or3_b32 v1, v2, v0, v1
.LBB438_250:                            ;   in Loop: Header=BB438_13 Depth=1
	s_or_b32 exec_lo, exec_lo, s23
.LBB438_251:                            ;   in Loop: Header=BB438_13 Depth=1
	s_delay_alu instid0(SALU_CYCLE_1)
	s_or_b32 exec_lo, exec_lo, s22
.LBB438_252:                            ;   in Loop: Header=BB438_13 Depth=1
	s_delay_alu instid0(SALU_CYCLE_1) | instskip(NEXT) | instid1(VALU_DEP_1)
	s_or_b32 exec_lo, exec_lo, s21
	v_mul_f32_e32 v0, v91, v1
                                        ; implicit-def: $vgpr126
	s_delay_alu instid0(VALU_DEP_1) | instskip(NEXT) | instid1(VALU_DEP_1)
	v_and_b32_e32 v1, 0x7f800000, v0
	v_cmp_ne_u32_e64 s1, 0x7f800000, v1
	s_delay_alu instid0(VALU_DEP_1) | instskip(NEXT) | instid1(SALU_CYCLE_1)
	s_and_saveexec_b32 s21, s1
	s_xor_b32 s1, exec_lo, s21
; %bb.253:                              ;   in Loop: Header=BB438_13 Depth=1
	v_bfe_u32 v1, v0, 16, 1
	s_delay_alu instid0(VALU_DEP_1)
	v_add3_u32 v126, v0, v1, 0x7fff
                                        ; implicit-def: $vgpr0
; %bb.254:                              ;   in Loop: Header=BB438_13 Depth=1
	s_and_not1_saveexec_b32 s21, s1
; %bb.255:                              ;   in Loop: Header=BB438_13 Depth=1
	v_and_b32_e32 v1, 0xffff, v0
	v_or_b32_e32 v2, 0x10000, v0
	s_delay_alu instid0(VALU_DEP_2) | instskip(NEXT) | instid1(VALU_DEP_1)
	v_cmp_eq_u32_e64 s1, 0, v1
	v_cndmask_b32_e64 v126, v2, v0, s1
; %bb.256:                              ;   in Loop: Header=BB438_13 Depth=1
	s_or_b32 exec_lo, exec_lo, s21
	v_dual_mov_b32 v0, 0 :: v_dual_and_b32 v1, 0xff, v34
	v_mov_b32_e32 v19, v34
	s_mov_b32 s21, exec_lo
	s_delay_alu instid0(VALU_DEP_2)
	v_cmpx_ne_u16_e32 0, v1
	s_cbranch_execz .LBB438_264
; %bb.257:                              ;   in Loop: Header=BB438_13 Depth=1
	v_bfrev_b32_e32 v0, 1
	s_mov_b32 s22, exec_lo
	v_cmpx_ne_u16_e32 0x80, v1
	s_cbranch_execz .LBB438_263
; %bb.258:                              ;   in Loop: Header=BB438_13 Depth=1
	v_and_b32_e32 v1, 0x7f, v34
	v_mov_b32_e32 v0, 0x7f800001
	s_mov_b32 s23, exec_lo
	s_delay_alu instid0(VALU_DEP_2)
	v_cmpx_ne_u32_e32 0x7f, v1
	s_cbranch_execz .LBB438_262
; %bb.259:                              ;   in Loop: Header=BB438_13 Depth=1
	v_lshrrev_b32_e32 v0, 3, v1
	v_dual_mov_b32 v36, v20 :: v_dual_mov_b32 v35, v19
	s_mov_b32 s24, exec_lo
	v_cmpx_gt_u32_e32 8, v1
; %bb.260:                              ;   in Loop: Header=BB438_13 Depth=1
	v_and_b32_e32 v0, 7, v34
	s_delay_alu instid0(VALU_DEP_1) | instskip(NEXT) | instid1(VALU_DEP_1)
	v_clz_i32_u32_e32 v0, v0
	v_min_u32_e32 v0, 32, v0
	s_delay_alu instid0(VALU_DEP_1) | instskip(SKIP_1) | instid1(VALU_DEP_2)
	v_subrev_nc_u32_e32 v1, 28, v0
	v_sub_nc_u32_e32 v0, 29, v0
	v_lshlrev_b64 v[35:36], v1, v[19:20]
; %bb.261:                              ;   in Loop: Header=BB438_13 Depth=1
	s_or_b32 exec_lo, exec_lo, s24
	s_delay_alu instid0(VALU_DEP_1) | instskip(SKIP_2) | instid1(VALU_DEP_3)
	v_lshlrev_b32_e32 v1, 20, v35
	v_lshlrev_b32_e32 v2, 24, v19
	v_lshl_add_u32 v0, v0, 23, 0x3c000000
	v_and_b32_e32 v1, 0x700000, v1
	s_delay_alu instid0(VALU_DEP_3) | instskip(NEXT) | instid1(VALU_DEP_1)
	v_and_b32_e32 v2, 0x80000000, v2
	v_or3_b32 v0, v1, v2, v0
.LBB438_262:                            ;   in Loop: Header=BB438_13 Depth=1
	s_or_b32 exec_lo, exec_lo, s23
.LBB438_263:                            ;   in Loop: Header=BB438_13 Depth=1
	s_delay_alu instid0(SALU_CYCLE_1)
	s_or_b32 exec_lo, exec_lo, s22
.LBB438_264:                            ;   in Loop: Header=BB438_13 Depth=1
	s_delay_alu instid0(SALU_CYCLE_1) | instskip(NEXT) | instid1(VALU_DEP_1)
	s_or_b32 exec_lo, exec_lo, s21
	v_mul_f32_e32 v0, v91, v0
                                        ; implicit-def: $vgpr127
	s_delay_alu instid0(VALU_DEP_1) | instskip(NEXT) | instid1(VALU_DEP_1)
	v_and_b32_e32 v1, 0x7f800000, v0
	v_cmp_ne_u32_e64 s1, 0x7f800000, v1
	s_delay_alu instid0(VALU_DEP_1) | instskip(NEXT) | instid1(SALU_CYCLE_1)
	s_and_saveexec_b32 s21, s1
	s_xor_b32 s1, exec_lo, s21
; %bb.265:                              ;   in Loop: Header=BB438_13 Depth=1
	v_bfe_u32 v1, v0, 16, 1
	s_delay_alu instid0(VALU_DEP_1)
	v_add3_u32 v127, v0, v1, 0x7fff
                                        ; implicit-def: $vgpr0
; %bb.266:                              ;   in Loop: Header=BB438_13 Depth=1
	s_and_not1_saveexec_b32 s21, s1
; %bb.267:                              ;   in Loop: Header=BB438_13 Depth=1
	v_and_b32_e32 v1, 0xffff, v0
	v_or_b32_e32 v2, 0x10000, v0
	s_delay_alu instid0(VALU_DEP_2) | instskip(NEXT) | instid1(VALU_DEP_1)
	v_cmp_eq_u32_e64 s1, 0, v1
	v_cndmask_b32_e64 v127, v2, v0, s1
; %bb.268:                              ;   in Loop: Header=BB438_13 Depth=1
	s_or_b32 exec_lo, exec_lo, s21
	v_lshrrev_b16 v1, 8, v19
	v_mov_b32_e32 v0, 0
	s_mov_b32 s21, exec_lo
	s_delay_alu instid0(VALU_DEP_2)
	v_cmpx_ne_u16_e32 0, v1
	s_cbranch_execz .LBB438_276
; %bb.269:                              ;   in Loop: Header=BB438_13 Depth=1
	v_bfrev_b32_e32 v0, 1
	s_mov_b32 s22, exec_lo
	v_cmpx_ne_u16_e32 0x80, v1
	s_cbranch_execz .LBB438_275
; %bb.270:                              ;   in Loop: Header=BB438_13 Depth=1
	v_and_b32_e32 v2, 0xffff, v1
	v_mov_b32_e32 v0, 0x7f800001
	s_mov_b32 s23, exec_lo
	s_delay_alu instid0(VALU_DEP_2) | instskip(NEXT) | instid1(VALU_DEP_1)
	v_and_b32_e32 v1, 0x7f, v2
	v_cmpx_ne_u32_e32 0x7f, v1
	s_cbranch_execz .LBB438_274
; %bb.271:                              ;   in Loop: Header=BB438_13 Depth=1
	v_dual_mov_b32 v36, v20 :: v_dual_and_b32 v35, 7, v2
	v_lshrrev_b32_e32 v0, 3, v1
	s_mov_b32 s24, exec_lo
	v_cmpx_gt_u32_e32 8, v1
; %bb.272:                              ;   in Loop: Header=BB438_13 Depth=1
	s_delay_alu instid0(VALU_DEP_3) | instskip(NEXT) | instid1(VALU_DEP_1)
	v_clz_i32_u32_e32 v0, v35
	v_min_u32_e32 v0, 32, v0
	s_delay_alu instid0(VALU_DEP_1) | instskip(SKIP_1) | instid1(VALU_DEP_2)
	v_subrev_nc_u32_e32 v1, 28, v0
	v_sub_nc_u32_e32 v0, 29, v0
	v_lshlrev_b64 v[1:2], v1, v[35:36]
	s_delay_alu instid0(VALU_DEP_1)
	v_and_b32_e32 v35, 7, v1
; %bb.273:                              ;   in Loop: Header=BB438_13 Depth=1
	s_or_b32 exec_lo, exec_lo, s24
	v_lshlrev_b32_e32 v1, 16, v19
	s_delay_alu instid0(VALU_DEP_2) | instskip(SKIP_1) | instid1(VALU_DEP_3)
	v_lshlrev_b32_e32 v2, 20, v35
	v_lshl_add_u32 v0, v0, 23, 0x3c000000
	v_and_b32_e32 v1, 0x80000000, v1
	s_delay_alu instid0(VALU_DEP_1)
	v_or3_b32 v0, v2, v1, v0
.LBB438_274:                            ;   in Loop: Header=BB438_13 Depth=1
	s_or_b32 exec_lo, exec_lo, s23
.LBB438_275:                            ;   in Loop: Header=BB438_13 Depth=1
	s_delay_alu instid0(SALU_CYCLE_1)
	s_or_b32 exec_lo, exec_lo, s22
.LBB438_276:                            ;   in Loop: Header=BB438_13 Depth=1
	s_delay_alu instid0(SALU_CYCLE_1) | instskip(NEXT) | instid1(VALU_DEP_1)
	s_or_b32 exec_lo, exec_lo, s21
	v_mul_f32_e32 v0, v91, v0
                                        ; implicit-def: $vgpr136
	s_delay_alu instid0(VALU_DEP_1) | instskip(NEXT) | instid1(VALU_DEP_1)
	v_and_b32_e32 v1, 0x7f800000, v0
	v_cmp_ne_u32_e64 s1, 0x7f800000, v1
	s_delay_alu instid0(VALU_DEP_1) | instskip(NEXT) | instid1(SALU_CYCLE_1)
	s_and_saveexec_b32 s21, s1
	s_xor_b32 s1, exec_lo, s21
; %bb.277:                              ;   in Loop: Header=BB438_13 Depth=1
	v_bfe_u32 v1, v0, 16, 1
	s_delay_alu instid0(VALU_DEP_1)
	v_add3_u32 v136, v0, v1, 0x7fff
                                        ; implicit-def: $vgpr0
; %bb.278:                              ;   in Loop: Header=BB438_13 Depth=1
	s_and_not1_saveexec_b32 s21, s1
; %bb.279:                              ;   in Loop: Header=BB438_13 Depth=1
	v_and_b32_e32 v1, 0xffff, v0
	v_or_b32_e32 v2, 0x10000, v0
	s_delay_alu instid0(VALU_DEP_2) | instskip(NEXT) | instid1(VALU_DEP_1)
	v_cmp_eq_u32_e64 s1, 0, v1
	v_cndmask_b32_e64 v136, v2, v0, s1
; %bb.280:                              ;   in Loop: Header=BB438_13 Depth=1
	s_or_b32 exec_lo, exec_lo, s21
	v_lshrrev_b32_e32 v0, 16, v34
	s_mov_b32 s21, exec_lo
	s_delay_alu instid0(VALU_DEP_1) | instskip(NEXT) | instid1(VALU_DEP_1)
	v_dual_mov_b32 v1, 0 :: v_dual_and_b32 v2, 0xff, v0
	v_cmpx_ne_u16_e32 0, v2
	s_cbranch_execz .LBB438_288
; %bb.281:                              ;   in Loop: Header=BB438_13 Depth=1
	v_bfrev_b32_e32 v1, 1
	s_mov_b32 s22, exec_lo
	v_cmpx_ne_u16_e32 0x80, v2
	s_cbranch_execz .LBB438_287
; %bb.282:                              ;   in Loop: Header=BB438_13 Depth=1
	v_bfe_u32 v2, v34, 16, 7
	v_mov_b32_e32 v1, 0x7f800001
	s_mov_b32 s23, exec_lo
	s_delay_alu instid0(VALU_DEP_2)
	v_cmpx_ne_u32_e32 0x7f, v2
	s_cbranch_execz .LBB438_286
; %bb.283:                              ;   in Loop: Header=BB438_13 Depth=1
	v_and_b32_e32 v19, 7, v0
	v_lshrrev_b32_e32 v1, 3, v2
	s_mov_b32 s24, exec_lo
	v_cmpx_gt_u32_e32 8, v2
; %bb.284:                              ;   in Loop: Header=BB438_13 Depth=1
	s_delay_alu instid0(VALU_DEP_3) | instskip(NEXT) | instid1(VALU_DEP_1)
	v_clz_i32_u32_e32 v1, v19
	v_min_u32_e32 v1, 32, v1
	s_delay_alu instid0(VALU_DEP_1) | instskip(SKIP_1) | instid1(VALU_DEP_2)
	v_subrev_nc_u32_e32 v2, 28, v1
	v_sub_nc_u32_e32 v1, 29, v1
	v_lshlrev_b64 v[2:3], v2, v[19:20]
	s_delay_alu instid0(VALU_DEP_1)
	v_and_b32_e32 v19, 7, v2
; %bb.285:                              ;   in Loop: Header=BB438_13 Depth=1
	s_or_b32 exec_lo, exec_lo, s24
	v_lshlrev_b32_e32 v0, 24, v0
	s_delay_alu instid0(VALU_DEP_2) | instskip(SKIP_1) | instid1(VALU_DEP_3)
	v_lshlrev_b32_e32 v2, 20, v19
	v_lshl_add_u32 v1, v1, 23, 0x3c000000
	v_and_b32_e32 v0, 0x80000000, v0
	s_delay_alu instid0(VALU_DEP_1)
	v_or3_b32 v1, v2, v0, v1
.LBB438_286:                            ;   in Loop: Header=BB438_13 Depth=1
	s_or_b32 exec_lo, exec_lo, s23
.LBB438_287:                            ;   in Loop: Header=BB438_13 Depth=1
	s_delay_alu instid0(SALU_CYCLE_1)
	s_or_b32 exec_lo, exec_lo, s22
.LBB438_288:                            ;   in Loop: Header=BB438_13 Depth=1
	s_delay_alu instid0(SALU_CYCLE_1) | instskip(NEXT) | instid1(VALU_DEP_1)
	s_or_b32 exec_lo, exec_lo, s21
	v_mul_f32_e32 v0, v91, v1
                                        ; implicit-def: $vgpr137
	s_delay_alu instid0(VALU_DEP_1) | instskip(NEXT) | instid1(VALU_DEP_1)
	v_and_b32_e32 v1, 0x7f800000, v0
	v_cmp_ne_u32_e64 s1, 0x7f800000, v1
	s_delay_alu instid0(VALU_DEP_1) | instskip(NEXT) | instid1(SALU_CYCLE_1)
	s_and_saveexec_b32 s21, s1
	s_xor_b32 s1, exec_lo, s21
; %bb.289:                              ;   in Loop: Header=BB438_13 Depth=1
	v_bfe_u32 v1, v0, 16, 1
	s_delay_alu instid0(VALU_DEP_1)
	v_add3_u32 v137, v0, v1, 0x7fff
                                        ; implicit-def: $vgpr0
; %bb.290:                              ;   in Loop: Header=BB438_13 Depth=1
	s_and_not1_saveexec_b32 s21, s1
; %bb.291:                              ;   in Loop: Header=BB438_13 Depth=1
	v_and_b32_e32 v1, 0xffff, v0
	v_or_b32_e32 v2, 0x10000, v0
	s_delay_alu instid0(VALU_DEP_2) | instskip(NEXT) | instid1(VALU_DEP_1)
	v_cmp_eq_u32_e64 s1, 0, v1
	v_cndmask_b32_e64 v137, v2, v0, s1
; %bb.292:                              ;   in Loop: Header=BB438_13 Depth=1
	s_or_b32 exec_lo, exec_lo, s21
	v_mov_b32_e32 v1, 0
	s_mov_b32 s21, exec_lo
	v_cmpx_lt_u64_e64 s[16:17], v[33:34]
	s_cbranch_execz .LBB438_300
; %bb.293:                              ;   in Loop: Header=BB438_13 Depth=1
	v_lshrrev_b32_e32 v0, 24, v34
	v_bfrev_b32_e32 v1, 1
	s_mov_b32 s22, exec_lo
	s_delay_alu instid0(VALU_DEP_2)
	v_cmpx_ne_u32_e32 0x80, v0
	s_cbranch_execz .LBB438_299
; %bb.294:                              ;   in Loop: Header=BB438_13 Depth=1
	v_bfe_u32 v2, v34, 24, 7
	v_mov_b32_e32 v1, 0x7f800001
	s_mov_b32 s23, exec_lo
	s_delay_alu instid0(VALU_DEP_2)
	v_cmpx_ne_u32_e32 0x7f, v2
	s_cbranch_execz .LBB438_298
; %bb.295:                              ;   in Loop: Header=BB438_13 Depth=1
	v_and_b32_e32 v19, 7, v0
	v_lshrrev_b32_e32 v1, 3, v2
	s_mov_b32 s24, exec_lo
	v_cmpx_gt_u32_e32 8, v2
; %bb.296:                              ;   in Loop: Header=BB438_13 Depth=1
	s_delay_alu instid0(VALU_DEP_3) | instskip(NEXT) | instid1(VALU_DEP_1)
	v_clz_i32_u32_e32 v1, v19
	v_min_u32_e32 v1, 32, v1
	s_delay_alu instid0(VALU_DEP_1) | instskip(SKIP_1) | instid1(VALU_DEP_2)
	v_subrev_nc_u32_e32 v2, 28, v1
	v_sub_nc_u32_e32 v1, 29, v1
	v_lshlrev_b64 v[2:3], v2, v[19:20]
	s_delay_alu instid0(VALU_DEP_1)
	v_and_b32_e32 v19, 7, v2
; %bb.297:                              ;   in Loop: Header=BB438_13 Depth=1
	s_or_b32 exec_lo, exec_lo, s24
	v_lshlrev_b32_e32 v0, 24, v0
	s_delay_alu instid0(VALU_DEP_2) | instskip(SKIP_1) | instid1(VALU_DEP_3)
	v_lshlrev_b32_e32 v2, 20, v19
	v_lshl_add_u32 v1, v1, 23, 0x3c000000
	v_and_b32_e32 v0, 0x80000000, v0
	s_delay_alu instid0(VALU_DEP_1)
	v_or3_b32 v1, v2, v0, v1
.LBB438_298:                            ;   in Loop: Header=BB438_13 Depth=1
	s_or_b32 exec_lo, exec_lo, s23
.LBB438_299:                            ;   in Loop: Header=BB438_13 Depth=1
	s_delay_alu instid0(SALU_CYCLE_1)
	s_or_b32 exec_lo, exec_lo, s22
.LBB438_300:                            ;   in Loop: Header=BB438_13 Depth=1
	s_delay_alu instid0(SALU_CYCLE_1) | instskip(NEXT) | instid1(VALU_DEP_1)
	s_or_b32 exec_lo, exec_lo, s21
	v_mul_f32_e32 v0, v91, v1
                                        ; implicit-def: $vgpr138
	s_delay_alu instid0(VALU_DEP_1) | instskip(NEXT) | instid1(VALU_DEP_1)
	v_and_b32_e32 v1, 0x7f800000, v0
	v_cmp_ne_u32_e64 s1, 0x7f800000, v1
	s_delay_alu instid0(VALU_DEP_1) | instskip(NEXT) | instid1(SALU_CYCLE_1)
	s_and_saveexec_b32 s21, s1
	s_xor_b32 s1, exec_lo, s21
; %bb.301:                              ;   in Loop: Header=BB438_13 Depth=1
	v_bfe_u32 v1, v0, 16, 1
	s_delay_alu instid0(VALU_DEP_1)
	v_add3_u32 v138, v0, v1, 0x7fff
                                        ; implicit-def: $vgpr0
; %bb.302:                              ;   in Loop: Header=BB438_13 Depth=1
	s_and_not1_saveexec_b32 s21, s1
; %bb.303:                              ;   in Loop: Header=BB438_13 Depth=1
	v_and_b32_e32 v1, 0xffff, v0
	v_or_b32_e32 v2, 0x10000, v0
	s_delay_alu instid0(VALU_DEP_2) | instskip(NEXT) | instid1(VALU_DEP_1)
	v_cmp_eq_u32_e64 s1, 0, v1
	v_cndmask_b32_e64 v138, v2, v0, s1
; %bb.304:                              ;   in Loop: Header=BB438_13 Depth=1
	s_or_b32 exec_lo, exec_lo, s21
	flat_load_b64 v[33:34], v[31:32] offset:520
	s_mov_b32 s21, exec_lo
	s_waitcnt vmcnt(0) lgkmcnt(0)
	v_dual_mov_b32 v0, 0 :: v_dual_and_b32 v1, 0xff, v33
	s_delay_alu instid0(VALU_DEP_1)
	v_cmpx_ne_u16_e32 0, v1
	s_cbranch_execz .LBB438_312
; %bb.305:                              ;   in Loop: Header=BB438_13 Depth=1
	v_bfrev_b32_e32 v0, 1
	s_mov_b32 s22, exec_lo
	v_cmpx_ne_u16_e32 0x80, v1
	s_cbranch_execz .LBB438_311
; %bb.306:                              ;   in Loop: Header=BB438_13 Depth=1
	v_and_b32_e32 v1, 0x7f, v33
	v_mov_b32_e32 v0, 0x7f800001
	s_mov_b32 s23, exec_lo
	s_delay_alu instid0(VALU_DEP_2)
	v_cmpx_ne_u32_e32 0x7f, v1
	s_cbranch_execz .LBB438_310
; %bb.307:                              ;   in Loop: Header=BB438_13 Depth=1
	v_lshrrev_b32_e32 v0, 3, v1
	v_dual_mov_b32 v36, v34 :: v_dual_mov_b32 v35, v33
	s_mov_b32 s24, exec_lo
	v_cmpx_gt_u32_e32 8, v1
; %bb.308:                              ;   in Loop: Header=BB438_13 Depth=1
	v_and_b32_e32 v0, 7, v33
	s_delay_alu instid0(VALU_DEP_1) | instskip(NEXT) | instid1(VALU_DEP_1)
	v_clz_i32_u32_e32 v0, v0
	v_min_u32_e32 v0, 32, v0
	s_delay_alu instid0(VALU_DEP_1) | instskip(SKIP_1) | instid1(VALU_DEP_2)
	v_subrev_nc_u32_e32 v1, 28, v0
	v_sub_nc_u32_e32 v0, 29, v0
	v_lshlrev_b64 v[35:36], v1, v[33:34]
; %bb.309:                              ;   in Loop: Header=BB438_13 Depth=1
	s_or_b32 exec_lo, exec_lo, s24
	s_delay_alu instid0(VALU_DEP_1) | instskip(SKIP_2) | instid1(VALU_DEP_3)
	v_lshlrev_b32_e32 v1, 20, v35
	v_lshlrev_b32_e32 v2, 24, v33
	v_lshl_add_u32 v0, v0, 23, 0x3c000000
	v_and_b32_e32 v1, 0x700000, v1
	s_delay_alu instid0(VALU_DEP_3) | instskip(NEXT) | instid1(VALU_DEP_1)
	v_and_b32_e32 v2, 0x80000000, v2
	v_or3_b32 v0, v1, v2, v0
.LBB438_310:                            ;   in Loop: Header=BB438_13 Depth=1
	s_or_b32 exec_lo, exec_lo, s23
.LBB438_311:                            ;   in Loop: Header=BB438_13 Depth=1
	s_delay_alu instid0(SALU_CYCLE_1)
	s_or_b32 exec_lo, exec_lo, s22
.LBB438_312:                            ;   in Loop: Header=BB438_13 Depth=1
	s_delay_alu instid0(SALU_CYCLE_1) | instskip(NEXT) | instid1(VALU_DEP_1)
	s_or_b32 exec_lo, exec_lo, s21
	v_mul_f32_e32 v0, v91, v0
                                        ; implicit-def: $vgpr139
	s_delay_alu instid0(VALU_DEP_1) | instskip(NEXT) | instid1(VALU_DEP_1)
	v_and_b32_e32 v1, 0x7f800000, v0
	v_cmp_ne_u32_e64 s1, 0x7f800000, v1
	s_delay_alu instid0(VALU_DEP_1) | instskip(NEXT) | instid1(SALU_CYCLE_1)
	s_and_saveexec_b32 s21, s1
	s_xor_b32 s1, exec_lo, s21
; %bb.313:                              ;   in Loop: Header=BB438_13 Depth=1
	v_bfe_u32 v1, v0, 16, 1
	s_delay_alu instid0(VALU_DEP_1)
	v_add3_u32 v139, v0, v1, 0x7fff
                                        ; implicit-def: $vgpr0
; %bb.314:                              ;   in Loop: Header=BB438_13 Depth=1
	s_and_not1_saveexec_b32 s21, s1
; %bb.315:                              ;   in Loop: Header=BB438_13 Depth=1
	v_and_b32_e32 v1, 0xffff, v0
	v_or_b32_e32 v2, 0x10000, v0
	s_delay_alu instid0(VALU_DEP_2) | instskip(NEXT) | instid1(VALU_DEP_1)
	v_cmp_eq_u32_e64 s1, 0, v1
	v_cndmask_b32_e64 v139, v2, v0, s1
; %bb.316:                              ;   in Loop: Header=BB438_13 Depth=1
	s_or_b32 exec_lo, exec_lo, s21
	v_lshrrev_b16 v1, 8, v33
	v_mov_b32_e32 v0, 0
	s_mov_b32 s21, exec_lo
	s_delay_alu instid0(VALU_DEP_2)
	v_cmpx_ne_u16_e32 0, v1
	s_cbranch_execz .LBB438_324
; %bb.317:                              ;   in Loop: Header=BB438_13 Depth=1
	v_bfrev_b32_e32 v0, 1
	s_mov_b32 s22, exec_lo
	v_cmpx_ne_u16_e32 0x80, v1
	s_cbranch_execz .LBB438_323
; %bb.318:                              ;   in Loop: Header=BB438_13 Depth=1
	v_and_b32_e32 v2, 0xffff, v1
	v_mov_b32_e32 v0, 0x7f800001
	s_mov_b32 s23, exec_lo
	s_delay_alu instid0(VALU_DEP_2) | instskip(NEXT) | instid1(VALU_DEP_1)
	v_and_b32_e32 v1, 0x7f, v2
	v_cmpx_ne_u32_e32 0x7f, v1
	s_cbranch_execz .LBB438_322
; %bb.319:                              ;   in Loop: Header=BB438_13 Depth=1
	v_and_b32_e32 v19, 7, v2
	v_lshrrev_b32_e32 v0, 3, v1
	s_mov_b32 s24, exec_lo
	v_cmpx_gt_u32_e32 8, v1
; %bb.320:                              ;   in Loop: Header=BB438_13 Depth=1
	s_delay_alu instid0(VALU_DEP_3) | instskip(NEXT) | instid1(VALU_DEP_1)
	v_clz_i32_u32_e32 v0, v19
	v_min_u32_e32 v0, 32, v0
	s_delay_alu instid0(VALU_DEP_1) | instskip(SKIP_1) | instid1(VALU_DEP_2)
	v_subrev_nc_u32_e32 v1, 28, v0
	v_sub_nc_u32_e32 v0, 29, v0
	v_lshlrev_b64 v[1:2], v1, v[19:20]
	s_delay_alu instid0(VALU_DEP_1)
	v_and_b32_e32 v19, 7, v1
; %bb.321:                              ;   in Loop: Header=BB438_13 Depth=1
	s_or_b32 exec_lo, exec_lo, s24
	v_lshlrev_b32_e32 v1, 16, v33
	s_delay_alu instid0(VALU_DEP_2) | instskip(SKIP_1) | instid1(VALU_DEP_3)
	v_lshlrev_b32_e32 v2, 20, v19
	v_lshl_add_u32 v0, v0, 23, 0x3c000000
	v_and_b32_e32 v1, 0x80000000, v1
	s_delay_alu instid0(VALU_DEP_1)
	v_or3_b32 v0, v2, v1, v0
.LBB438_322:                            ;   in Loop: Header=BB438_13 Depth=1
	s_or_b32 exec_lo, exec_lo, s23
.LBB438_323:                            ;   in Loop: Header=BB438_13 Depth=1
	s_delay_alu instid0(SALU_CYCLE_1)
	s_or_b32 exec_lo, exec_lo, s22
.LBB438_324:                            ;   in Loop: Header=BB438_13 Depth=1
	s_delay_alu instid0(SALU_CYCLE_1) | instskip(NEXT) | instid1(VALU_DEP_1)
	s_or_b32 exec_lo, exec_lo, s21
	v_mul_f32_e32 v0, v91, v0
                                        ; implicit-def: $vgpr140
	s_delay_alu instid0(VALU_DEP_1) | instskip(NEXT) | instid1(VALU_DEP_1)
	v_and_b32_e32 v1, 0x7f800000, v0
	v_cmp_ne_u32_e64 s1, 0x7f800000, v1
	s_delay_alu instid0(VALU_DEP_1) | instskip(NEXT) | instid1(SALU_CYCLE_1)
	s_and_saveexec_b32 s21, s1
	s_xor_b32 s1, exec_lo, s21
; %bb.325:                              ;   in Loop: Header=BB438_13 Depth=1
	v_bfe_u32 v1, v0, 16, 1
	s_delay_alu instid0(VALU_DEP_1)
	v_add3_u32 v140, v0, v1, 0x7fff
                                        ; implicit-def: $vgpr0
; %bb.326:                              ;   in Loop: Header=BB438_13 Depth=1
	s_and_not1_saveexec_b32 s21, s1
; %bb.327:                              ;   in Loop: Header=BB438_13 Depth=1
	v_and_b32_e32 v1, 0xffff, v0
	v_or_b32_e32 v2, 0x10000, v0
	s_delay_alu instid0(VALU_DEP_2) | instskip(NEXT) | instid1(VALU_DEP_1)
	v_cmp_eq_u32_e64 s1, 0, v1
	v_cndmask_b32_e64 v140, v2, v0, s1
; %bb.328:                              ;   in Loop: Header=BB438_13 Depth=1
	s_or_b32 exec_lo, exec_lo, s21
	v_lshrrev_b32_e32 v0, 16, v33
	s_mov_b32 s21, exec_lo
	s_delay_alu instid0(VALU_DEP_1) | instskip(NEXT) | instid1(VALU_DEP_1)
	v_dual_mov_b32 v1, 0 :: v_dual_and_b32 v2, 0xff, v0
	v_cmpx_ne_u16_e32 0, v2
	s_cbranch_execz .LBB438_336
; %bb.329:                              ;   in Loop: Header=BB438_13 Depth=1
	v_bfrev_b32_e32 v1, 1
	s_mov_b32 s22, exec_lo
	v_cmpx_ne_u16_e32 0x80, v2
	s_cbranch_execz .LBB438_335
; %bb.330:                              ;   in Loop: Header=BB438_13 Depth=1
	v_bfe_u32 v2, v33, 16, 7
	v_mov_b32_e32 v1, 0x7f800001
	s_mov_b32 s23, exec_lo
	s_delay_alu instid0(VALU_DEP_2)
	v_cmpx_ne_u32_e32 0x7f, v2
	s_cbranch_execz .LBB438_334
; %bb.331:                              ;   in Loop: Header=BB438_13 Depth=1
	v_and_b32_e32 v19, 7, v0
	v_lshrrev_b32_e32 v1, 3, v2
	s_mov_b32 s24, exec_lo
	v_cmpx_gt_u32_e32 8, v2
; %bb.332:                              ;   in Loop: Header=BB438_13 Depth=1
	s_delay_alu instid0(VALU_DEP_3) | instskip(NEXT) | instid1(VALU_DEP_1)
	v_clz_i32_u32_e32 v1, v19
	v_min_u32_e32 v1, 32, v1
	s_delay_alu instid0(VALU_DEP_1) | instskip(SKIP_1) | instid1(VALU_DEP_2)
	v_subrev_nc_u32_e32 v2, 28, v1
	v_sub_nc_u32_e32 v1, 29, v1
	v_lshlrev_b64 v[2:3], v2, v[19:20]
	s_delay_alu instid0(VALU_DEP_1)
	v_and_b32_e32 v19, 7, v2
; %bb.333:                              ;   in Loop: Header=BB438_13 Depth=1
	s_or_b32 exec_lo, exec_lo, s24
	v_lshlrev_b32_e32 v0, 24, v0
	s_delay_alu instid0(VALU_DEP_2) | instskip(SKIP_1) | instid1(VALU_DEP_3)
	v_lshlrev_b32_e32 v2, 20, v19
	v_lshl_add_u32 v1, v1, 23, 0x3c000000
	v_and_b32_e32 v0, 0x80000000, v0
	s_delay_alu instid0(VALU_DEP_1)
	v_or3_b32 v1, v2, v0, v1
.LBB438_334:                            ;   in Loop: Header=BB438_13 Depth=1
	s_or_b32 exec_lo, exec_lo, s23
.LBB438_335:                            ;   in Loop: Header=BB438_13 Depth=1
	s_delay_alu instid0(SALU_CYCLE_1)
	s_or_b32 exec_lo, exec_lo, s22
.LBB438_336:                            ;   in Loop: Header=BB438_13 Depth=1
	s_delay_alu instid0(SALU_CYCLE_1) | instskip(NEXT) | instid1(VALU_DEP_1)
	s_or_b32 exec_lo, exec_lo, s21
	v_mul_f32_e32 v0, v91, v1
                                        ; implicit-def: $vgpr141
	s_delay_alu instid0(VALU_DEP_1) | instskip(NEXT) | instid1(VALU_DEP_1)
	v_and_b32_e32 v1, 0x7f800000, v0
	v_cmp_ne_u32_e64 s1, 0x7f800000, v1
	s_delay_alu instid0(VALU_DEP_1) | instskip(NEXT) | instid1(SALU_CYCLE_1)
	s_and_saveexec_b32 s21, s1
	s_xor_b32 s1, exec_lo, s21
; %bb.337:                              ;   in Loop: Header=BB438_13 Depth=1
	v_bfe_u32 v1, v0, 16, 1
	s_delay_alu instid0(VALU_DEP_1)
	v_add3_u32 v141, v0, v1, 0x7fff
                                        ; implicit-def: $vgpr0
; %bb.338:                              ;   in Loop: Header=BB438_13 Depth=1
	s_and_not1_saveexec_b32 s21, s1
; %bb.339:                              ;   in Loop: Header=BB438_13 Depth=1
	v_and_b32_e32 v1, 0xffff, v0
	v_or_b32_e32 v2, 0x10000, v0
	s_delay_alu instid0(VALU_DEP_2) | instskip(NEXT) | instid1(VALU_DEP_1)
	v_cmp_eq_u32_e64 s1, 0, v1
	v_cndmask_b32_e64 v141, v2, v0, s1
; %bb.340:                              ;   in Loop: Header=BB438_13 Depth=1
	s_or_b32 exec_lo, exec_lo, s21
	v_mov_b32_e32 v1, 0
	s_mov_b32 s21, exec_lo
	v_cmpx_lt_u32_e32 0xffffff, v33
	s_cbranch_execz .LBB438_348
; %bb.341:                              ;   in Loop: Header=BB438_13 Depth=1
	v_lshrrev_b32_e32 v0, 24, v33
	v_bfrev_b32_e32 v1, 1
	s_mov_b32 s22, exec_lo
	s_delay_alu instid0(VALU_DEP_2)
	v_cmpx_ne_u32_e32 0x80, v0
	s_cbranch_execz .LBB438_347
; %bb.342:                              ;   in Loop: Header=BB438_13 Depth=1
	v_bfe_u32 v2, v33, 24, 7
	v_mov_b32_e32 v1, 0x7f800001
	s_mov_b32 s23, exec_lo
	s_delay_alu instid0(VALU_DEP_2)
	v_cmpx_ne_u32_e32 0x7f, v2
	s_cbranch_execz .LBB438_346
; %bb.343:                              ;   in Loop: Header=BB438_13 Depth=1
	v_and_b32_e32 v19, 7, v0
	v_lshrrev_b32_e32 v1, 3, v2
	s_mov_b32 s24, exec_lo
	v_cmpx_gt_u32_e32 8, v2
; %bb.344:                              ;   in Loop: Header=BB438_13 Depth=1
	s_delay_alu instid0(VALU_DEP_3) | instskip(NEXT) | instid1(VALU_DEP_1)
	v_clz_i32_u32_e32 v1, v19
	v_min_u32_e32 v1, 32, v1
	s_delay_alu instid0(VALU_DEP_1) | instskip(SKIP_1) | instid1(VALU_DEP_2)
	v_subrev_nc_u32_e32 v2, 28, v1
	v_sub_nc_u32_e32 v1, 29, v1
	v_lshlrev_b64 v[2:3], v2, v[19:20]
	s_delay_alu instid0(VALU_DEP_1)
	v_and_b32_e32 v19, 7, v2
; %bb.345:                              ;   in Loop: Header=BB438_13 Depth=1
	s_or_b32 exec_lo, exec_lo, s24
	v_lshlrev_b32_e32 v0, 24, v0
	s_delay_alu instid0(VALU_DEP_2) | instskip(SKIP_1) | instid1(VALU_DEP_3)
	v_lshlrev_b32_e32 v2, 20, v19
	v_lshl_add_u32 v1, v1, 23, 0x3c000000
	v_and_b32_e32 v0, 0x80000000, v0
	s_delay_alu instid0(VALU_DEP_1)
	v_or3_b32 v1, v2, v0, v1
.LBB438_346:                            ;   in Loop: Header=BB438_13 Depth=1
	s_or_b32 exec_lo, exec_lo, s23
.LBB438_347:                            ;   in Loop: Header=BB438_13 Depth=1
	s_delay_alu instid0(SALU_CYCLE_1)
	s_or_b32 exec_lo, exec_lo, s22
.LBB438_348:                            ;   in Loop: Header=BB438_13 Depth=1
	s_delay_alu instid0(SALU_CYCLE_1) | instskip(NEXT) | instid1(VALU_DEP_1)
	s_or_b32 exec_lo, exec_lo, s21
	v_mul_f32_e32 v0, v91, v1
                                        ; implicit-def: $vgpr142
	s_delay_alu instid0(VALU_DEP_1) | instskip(NEXT) | instid1(VALU_DEP_1)
	v_and_b32_e32 v1, 0x7f800000, v0
	v_cmp_ne_u32_e64 s1, 0x7f800000, v1
	s_delay_alu instid0(VALU_DEP_1) | instskip(NEXT) | instid1(SALU_CYCLE_1)
	s_and_saveexec_b32 s21, s1
	s_xor_b32 s1, exec_lo, s21
; %bb.349:                              ;   in Loop: Header=BB438_13 Depth=1
	v_bfe_u32 v1, v0, 16, 1
	s_delay_alu instid0(VALU_DEP_1)
	v_add3_u32 v142, v0, v1, 0x7fff
                                        ; implicit-def: $vgpr0
; %bb.350:                              ;   in Loop: Header=BB438_13 Depth=1
	s_and_not1_saveexec_b32 s21, s1
; %bb.351:                              ;   in Loop: Header=BB438_13 Depth=1
	v_and_b32_e32 v1, 0xffff, v0
	v_or_b32_e32 v2, 0x10000, v0
	s_delay_alu instid0(VALU_DEP_2) | instskip(NEXT) | instid1(VALU_DEP_1)
	v_cmp_eq_u32_e64 s1, 0, v1
	v_cndmask_b32_e64 v142, v2, v0, s1
; %bb.352:                              ;   in Loop: Header=BB438_13 Depth=1
	s_or_b32 exec_lo, exec_lo, s21
	v_dual_mov_b32 v0, 0 :: v_dual_and_b32 v1, 0xff, v34
	v_mov_b32_e32 v19, v34
	s_mov_b32 s21, exec_lo
	s_delay_alu instid0(VALU_DEP_2)
	v_cmpx_ne_u16_e32 0, v1
	s_cbranch_execz .LBB438_360
; %bb.353:                              ;   in Loop: Header=BB438_13 Depth=1
	v_bfrev_b32_e32 v0, 1
	s_mov_b32 s22, exec_lo
	v_cmpx_ne_u16_e32 0x80, v1
	s_cbranch_execz .LBB438_359
; %bb.354:                              ;   in Loop: Header=BB438_13 Depth=1
	v_and_b32_e32 v1, 0x7f, v34
	v_mov_b32_e32 v0, 0x7f800001
	s_mov_b32 s23, exec_lo
	s_delay_alu instid0(VALU_DEP_2)
	v_cmpx_ne_u32_e32 0x7f, v1
	s_cbranch_execz .LBB438_358
; %bb.355:                              ;   in Loop: Header=BB438_13 Depth=1
	v_lshrrev_b32_e32 v0, 3, v1
	v_dual_mov_b32 v36, v20 :: v_dual_mov_b32 v35, v19
	s_mov_b32 s24, exec_lo
	v_cmpx_gt_u32_e32 8, v1
; %bb.356:                              ;   in Loop: Header=BB438_13 Depth=1
	v_and_b32_e32 v0, 7, v34
	s_delay_alu instid0(VALU_DEP_1) | instskip(NEXT) | instid1(VALU_DEP_1)
	v_clz_i32_u32_e32 v0, v0
	v_min_u32_e32 v0, 32, v0
	s_delay_alu instid0(VALU_DEP_1) | instskip(SKIP_1) | instid1(VALU_DEP_2)
	v_subrev_nc_u32_e32 v1, 28, v0
	v_sub_nc_u32_e32 v0, 29, v0
	v_lshlrev_b64 v[35:36], v1, v[19:20]
; %bb.357:                              ;   in Loop: Header=BB438_13 Depth=1
	s_or_b32 exec_lo, exec_lo, s24
	s_delay_alu instid0(VALU_DEP_1) | instskip(SKIP_2) | instid1(VALU_DEP_3)
	v_lshlrev_b32_e32 v1, 20, v35
	v_lshlrev_b32_e32 v2, 24, v19
	v_lshl_add_u32 v0, v0, 23, 0x3c000000
	v_and_b32_e32 v1, 0x700000, v1
	s_delay_alu instid0(VALU_DEP_3) | instskip(NEXT) | instid1(VALU_DEP_1)
	v_and_b32_e32 v2, 0x80000000, v2
	v_or3_b32 v0, v1, v2, v0
.LBB438_358:                            ;   in Loop: Header=BB438_13 Depth=1
	s_or_b32 exec_lo, exec_lo, s23
.LBB438_359:                            ;   in Loop: Header=BB438_13 Depth=1
	s_delay_alu instid0(SALU_CYCLE_1)
	s_or_b32 exec_lo, exec_lo, s22
.LBB438_360:                            ;   in Loop: Header=BB438_13 Depth=1
	s_delay_alu instid0(SALU_CYCLE_1) | instskip(NEXT) | instid1(VALU_DEP_1)
	s_or_b32 exec_lo, exec_lo, s21
	v_mul_f32_e32 v0, v91, v0
                                        ; implicit-def: $vgpr143
	s_delay_alu instid0(VALU_DEP_1) | instskip(NEXT) | instid1(VALU_DEP_1)
	v_and_b32_e32 v1, 0x7f800000, v0
	v_cmp_ne_u32_e64 s1, 0x7f800000, v1
	s_delay_alu instid0(VALU_DEP_1) | instskip(NEXT) | instid1(SALU_CYCLE_1)
	s_and_saveexec_b32 s21, s1
	s_xor_b32 s1, exec_lo, s21
; %bb.361:                              ;   in Loop: Header=BB438_13 Depth=1
	v_bfe_u32 v1, v0, 16, 1
	s_delay_alu instid0(VALU_DEP_1)
	v_add3_u32 v143, v0, v1, 0x7fff
                                        ; implicit-def: $vgpr0
; %bb.362:                              ;   in Loop: Header=BB438_13 Depth=1
	s_and_not1_saveexec_b32 s21, s1
; %bb.363:                              ;   in Loop: Header=BB438_13 Depth=1
	v_and_b32_e32 v1, 0xffff, v0
	v_or_b32_e32 v2, 0x10000, v0
	s_delay_alu instid0(VALU_DEP_2) | instskip(NEXT) | instid1(VALU_DEP_1)
	v_cmp_eq_u32_e64 s1, 0, v1
	v_cndmask_b32_e64 v143, v2, v0, s1
; %bb.364:                              ;   in Loop: Header=BB438_13 Depth=1
	s_or_b32 exec_lo, exec_lo, s21
	v_lshrrev_b16 v1, 8, v19
	v_mov_b32_e32 v0, 0
	s_mov_b32 s21, exec_lo
	s_delay_alu instid0(VALU_DEP_2)
	v_cmpx_ne_u16_e32 0, v1
	s_cbranch_execz .LBB438_372
; %bb.365:                              ;   in Loop: Header=BB438_13 Depth=1
	v_bfrev_b32_e32 v0, 1
	s_mov_b32 s22, exec_lo
	v_cmpx_ne_u16_e32 0x80, v1
	s_cbranch_execz .LBB438_371
; %bb.366:                              ;   in Loop: Header=BB438_13 Depth=1
	v_and_b32_e32 v2, 0xffff, v1
	v_mov_b32_e32 v0, 0x7f800001
	s_mov_b32 s23, exec_lo
	s_delay_alu instid0(VALU_DEP_2) | instskip(NEXT) | instid1(VALU_DEP_1)
	v_and_b32_e32 v1, 0x7f, v2
	v_cmpx_ne_u32_e32 0x7f, v1
	s_cbranch_execz .LBB438_370
; %bb.367:                              ;   in Loop: Header=BB438_13 Depth=1
	v_dual_mov_b32 v36, v20 :: v_dual_and_b32 v35, 7, v2
	v_lshrrev_b32_e32 v0, 3, v1
	s_mov_b32 s24, exec_lo
	v_cmpx_gt_u32_e32 8, v1
; %bb.368:                              ;   in Loop: Header=BB438_13 Depth=1
	s_delay_alu instid0(VALU_DEP_3) | instskip(NEXT) | instid1(VALU_DEP_1)
	v_clz_i32_u32_e32 v0, v35
	v_min_u32_e32 v0, 32, v0
	s_delay_alu instid0(VALU_DEP_1) | instskip(SKIP_1) | instid1(VALU_DEP_2)
	v_subrev_nc_u32_e32 v1, 28, v0
	v_sub_nc_u32_e32 v0, 29, v0
	v_lshlrev_b64 v[1:2], v1, v[35:36]
	s_delay_alu instid0(VALU_DEP_1)
	v_and_b32_e32 v35, 7, v1
; %bb.369:                              ;   in Loop: Header=BB438_13 Depth=1
	s_or_b32 exec_lo, exec_lo, s24
	v_lshlrev_b32_e32 v1, 16, v19
	s_delay_alu instid0(VALU_DEP_2) | instskip(SKIP_1) | instid1(VALU_DEP_3)
	v_lshlrev_b32_e32 v2, 20, v35
	v_lshl_add_u32 v0, v0, 23, 0x3c000000
	v_and_b32_e32 v1, 0x80000000, v1
	s_delay_alu instid0(VALU_DEP_1)
	v_or3_b32 v0, v2, v1, v0
.LBB438_370:                            ;   in Loop: Header=BB438_13 Depth=1
	s_or_b32 exec_lo, exec_lo, s23
.LBB438_371:                            ;   in Loop: Header=BB438_13 Depth=1
	s_delay_alu instid0(SALU_CYCLE_1)
	s_or_b32 exec_lo, exec_lo, s22
.LBB438_372:                            ;   in Loop: Header=BB438_13 Depth=1
	s_delay_alu instid0(SALU_CYCLE_1) | instskip(NEXT) | instid1(VALU_DEP_1)
	s_or_b32 exec_lo, exec_lo, s21
	v_mul_f32_e32 v0, v91, v0
                                        ; implicit-def: $vgpr152
	s_delay_alu instid0(VALU_DEP_1) | instskip(NEXT) | instid1(VALU_DEP_1)
	v_and_b32_e32 v1, 0x7f800000, v0
	v_cmp_ne_u32_e64 s1, 0x7f800000, v1
	s_delay_alu instid0(VALU_DEP_1) | instskip(NEXT) | instid1(SALU_CYCLE_1)
	s_and_saveexec_b32 s21, s1
	s_xor_b32 s1, exec_lo, s21
; %bb.373:                              ;   in Loop: Header=BB438_13 Depth=1
	v_bfe_u32 v1, v0, 16, 1
	s_delay_alu instid0(VALU_DEP_1)
	v_add3_u32 v152, v0, v1, 0x7fff
                                        ; implicit-def: $vgpr0
; %bb.374:                              ;   in Loop: Header=BB438_13 Depth=1
	s_and_not1_saveexec_b32 s21, s1
; %bb.375:                              ;   in Loop: Header=BB438_13 Depth=1
	v_and_b32_e32 v1, 0xffff, v0
	v_or_b32_e32 v2, 0x10000, v0
	s_delay_alu instid0(VALU_DEP_2) | instskip(NEXT) | instid1(VALU_DEP_1)
	v_cmp_eq_u32_e64 s1, 0, v1
	v_cndmask_b32_e64 v152, v2, v0, s1
; %bb.376:                              ;   in Loop: Header=BB438_13 Depth=1
	s_or_b32 exec_lo, exec_lo, s21
	v_lshrrev_b32_e32 v0, 16, v34
	s_mov_b32 s21, exec_lo
	s_delay_alu instid0(VALU_DEP_1) | instskip(NEXT) | instid1(VALU_DEP_1)
	v_dual_mov_b32 v1, 0 :: v_dual_and_b32 v2, 0xff, v0
	v_cmpx_ne_u16_e32 0, v2
	s_cbranch_execz .LBB438_384
; %bb.377:                              ;   in Loop: Header=BB438_13 Depth=1
	v_bfrev_b32_e32 v1, 1
	s_mov_b32 s22, exec_lo
	v_cmpx_ne_u16_e32 0x80, v2
	s_cbranch_execz .LBB438_383
; %bb.378:                              ;   in Loop: Header=BB438_13 Depth=1
	v_bfe_u32 v2, v34, 16, 7
	v_mov_b32_e32 v1, 0x7f800001
	s_mov_b32 s23, exec_lo
	s_delay_alu instid0(VALU_DEP_2)
	v_cmpx_ne_u32_e32 0x7f, v2
	s_cbranch_execz .LBB438_382
; %bb.379:                              ;   in Loop: Header=BB438_13 Depth=1
	v_and_b32_e32 v19, 7, v0
	v_lshrrev_b32_e32 v1, 3, v2
	s_mov_b32 s24, exec_lo
	v_cmpx_gt_u32_e32 8, v2
; %bb.380:                              ;   in Loop: Header=BB438_13 Depth=1
	s_delay_alu instid0(VALU_DEP_3) | instskip(NEXT) | instid1(VALU_DEP_1)
	v_clz_i32_u32_e32 v1, v19
	v_min_u32_e32 v1, 32, v1
	s_delay_alu instid0(VALU_DEP_1) | instskip(SKIP_1) | instid1(VALU_DEP_2)
	v_subrev_nc_u32_e32 v2, 28, v1
	v_sub_nc_u32_e32 v1, 29, v1
	v_lshlrev_b64 v[2:3], v2, v[19:20]
	s_delay_alu instid0(VALU_DEP_1)
	v_and_b32_e32 v19, 7, v2
; %bb.381:                              ;   in Loop: Header=BB438_13 Depth=1
	s_or_b32 exec_lo, exec_lo, s24
	v_lshlrev_b32_e32 v0, 24, v0
	s_delay_alu instid0(VALU_DEP_2) | instskip(SKIP_1) | instid1(VALU_DEP_3)
	v_lshlrev_b32_e32 v2, 20, v19
	v_lshl_add_u32 v1, v1, 23, 0x3c000000
	v_and_b32_e32 v0, 0x80000000, v0
	s_delay_alu instid0(VALU_DEP_1)
	v_or3_b32 v1, v2, v0, v1
.LBB438_382:                            ;   in Loop: Header=BB438_13 Depth=1
	s_or_b32 exec_lo, exec_lo, s23
.LBB438_383:                            ;   in Loop: Header=BB438_13 Depth=1
	s_delay_alu instid0(SALU_CYCLE_1)
	s_or_b32 exec_lo, exec_lo, s22
.LBB438_384:                            ;   in Loop: Header=BB438_13 Depth=1
	s_delay_alu instid0(SALU_CYCLE_1) | instskip(NEXT) | instid1(VALU_DEP_1)
	s_or_b32 exec_lo, exec_lo, s21
	v_mul_f32_e32 v0, v91, v1
                                        ; implicit-def: $vgpr153
	s_delay_alu instid0(VALU_DEP_1) | instskip(NEXT) | instid1(VALU_DEP_1)
	v_and_b32_e32 v1, 0x7f800000, v0
	v_cmp_ne_u32_e64 s1, 0x7f800000, v1
	s_delay_alu instid0(VALU_DEP_1) | instskip(NEXT) | instid1(SALU_CYCLE_1)
	s_and_saveexec_b32 s21, s1
	s_xor_b32 s1, exec_lo, s21
; %bb.385:                              ;   in Loop: Header=BB438_13 Depth=1
	v_bfe_u32 v1, v0, 16, 1
	s_delay_alu instid0(VALU_DEP_1)
	v_add3_u32 v153, v0, v1, 0x7fff
                                        ; implicit-def: $vgpr0
; %bb.386:                              ;   in Loop: Header=BB438_13 Depth=1
	s_and_not1_saveexec_b32 s21, s1
; %bb.387:                              ;   in Loop: Header=BB438_13 Depth=1
	v_and_b32_e32 v1, 0xffff, v0
	v_or_b32_e32 v2, 0x10000, v0
	s_delay_alu instid0(VALU_DEP_2) | instskip(NEXT) | instid1(VALU_DEP_1)
	v_cmp_eq_u32_e64 s1, 0, v1
	v_cndmask_b32_e64 v153, v2, v0, s1
; %bb.388:                              ;   in Loop: Header=BB438_13 Depth=1
	s_or_b32 exec_lo, exec_lo, s21
	v_mov_b32_e32 v1, 0
	s_mov_b32 s21, exec_lo
	v_cmpx_lt_u64_e64 s[16:17], v[33:34]
	s_cbranch_execz .LBB438_396
; %bb.389:                              ;   in Loop: Header=BB438_13 Depth=1
	v_lshrrev_b32_e32 v0, 24, v34
	v_bfrev_b32_e32 v1, 1
	s_mov_b32 s22, exec_lo
	s_delay_alu instid0(VALU_DEP_2)
	v_cmpx_ne_u32_e32 0x80, v0
	s_cbranch_execz .LBB438_395
; %bb.390:                              ;   in Loop: Header=BB438_13 Depth=1
	v_bfe_u32 v2, v34, 24, 7
	v_mov_b32_e32 v1, 0x7f800001
	s_mov_b32 s23, exec_lo
	s_delay_alu instid0(VALU_DEP_2)
	v_cmpx_ne_u32_e32 0x7f, v2
	s_cbranch_execz .LBB438_394
; %bb.391:                              ;   in Loop: Header=BB438_13 Depth=1
	v_and_b32_e32 v19, 7, v0
	v_lshrrev_b32_e32 v1, 3, v2
	s_mov_b32 s24, exec_lo
	v_cmpx_gt_u32_e32 8, v2
; %bb.392:                              ;   in Loop: Header=BB438_13 Depth=1
	s_delay_alu instid0(VALU_DEP_3) | instskip(NEXT) | instid1(VALU_DEP_1)
	v_clz_i32_u32_e32 v1, v19
	v_min_u32_e32 v1, 32, v1
	s_delay_alu instid0(VALU_DEP_1) | instskip(SKIP_1) | instid1(VALU_DEP_2)
	v_subrev_nc_u32_e32 v2, 28, v1
	v_sub_nc_u32_e32 v1, 29, v1
	v_lshlrev_b64 v[2:3], v2, v[19:20]
	s_delay_alu instid0(VALU_DEP_1)
	v_and_b32_e32 v19, 7, v2
; %bb.393:                              ;   in Loop: Header=BB438_13 Depth=1
	s_or_b32 exec_lo, exec_lo, s24
	v_lshlrev_b32_e32 v0, 24, v0
	s_delay_alu instid0(VALU_DEP_2) | instskip(SKIP_1) | instid1(VALU_DEP_3)
	v_lshlrev_b32_e32 v2, 20, v19
	v_lshl_add_u32 v1, v1, 23, 0x3c000000
	v_and_b32_e32 v0, 0x80000000, v0
	s_delay_alu instid0(VALU_DEP_1)
	v_or3_b32 v1, v2, v0, v1
.LBB438_394:                            ;   in Loop: Header=BB438_13 Depth=1
	s_or_b32 exec_lo, exec_lo, s23
.LBB438_395:                            ;   in Loop: Header=BB438_13 Depth=1
	s_delay_alu instid0(SALU_CYCLE_1)
	s_or_b32 exec_lo, exec_lo, s22
.LBB438_396:                            ;   in Loop: Header=BB438_13 Depth=1
	s_delay_alu instid0(SALU_CYCLE_1) | instskip(NEXT) | instid1(VALU_DEP_1)
	s_or_b32 exec_lo, exec_lo, s21
	v_mul_f32_e32 v0, v91, v1
                                        ; implicit-def: $vgpr154
	s_delay_alu instid0(VALU_DEP_1) | instskip(NEXT) | instid1(VALU_DEP_1)
	v_and_b32_e32 v1, 0x7f800000, v0
	v_cmp_ne_u32_e64 s1, 0x7f800000, v1
	s_delay_alu instid0(VALU_DEP_1) | instskip(NEXT) | instid1(SALU_CYCLE_1)
	s_and_saveexec_b32 s21, s1
	s_xor_b32 s1, exec_lo, s21
; %bb.397:                              ;   in Loop: Header=BB438_13 Depth=1
	v_bfe_u32 v1, v0, 16, 1
	s_delay_alu instid0(VALU_DEP_1)
	v_add3_u32 v154, v0, v1, 0x7fff
                                        ; implicit-def: $vgpr0
; %bb.398:                              ;   in Loop: Header=BB438_13 Depth=1
	s_and_not1_saveexec_b32 s21, s1
; %bb.399:                              ;   in Loop: Header=BB438_13 Depth=1
	v_and_b32_e32 v1, 0xffff, v0
	v_or_b32_e32 v2, 0x10000, v0
	s_delay_alu instid0(VALU_DEP_2) | instskip(NEXT) | instid1(VALU_DEP_1)
	v_cmp_eq_u32_e64 s1, 0, v1
	v_cndmask_b32_e64 v154, v2, v0, s1
; %bb.400:                              ;   in Loop: Header=BB438_13 Depth=1
	s_or_b32 exec_lo, exec_lo, s21
	flat_load_b64 v[33:34], v[31:32] offset:1024
	s_mov_b32 s21, exec_lo
	s_waitcnt vmcnt(0) lgkmcnt(0)
	v_dual_mov_b32 v0, 0 :: v_dual_and_b32 v1, 0xff, v33
	s_delay_alu instid0(VALU_DEP_1)
	v_cmpx_ne_u16_e32 0, v1
	s_cbranch_execz .LBB438_408
; %bb.401:                              ;   in Loop: Header=BB438_13 Depth=1
	v_bfrev_b32_e32 v0, 1
	s_mov_b32 s22, exec_lo
	v_cmpx_ne_u16_e32 0x80, v1
	s_cbranch_execz .LBB438_407
; %bb.402:                              ;   in Loop: Header=BB438_13 Depth=1
	v_and_b32_e32 v1, 0x7f, v33
	v_mov_b32_e32 v0, 0x7f800001
	s_mov_b32 s23, exec_lo
	s_delay_alu instid0(VALU_DEP_2)
	v_cmpx_ne_u32_e32 0x7f, v1
	s_cbranch_execz .LBB438_406
; %bb.403:                              ;   in Loop: Header=BB438_13 Depth=1
	v_lshrrev_b32_e32 v0, 3, v1
	v_dual_mov_b32 v36, v34 :: v_dual_mov_b32 v35, v33
	s_mov_b32 s24, exec_lo
	v_cmpx_gt_u32_e32 8, v1
; %bb.404:                              ;   in Loop: Header=BB438_13 Depth=1
	v_and_b32_e32 v0, 7, v33
	s_delay_alu instid0(VALU_DEP_1) | instskip(NEXT) | instid1(VALU_DEP_1)
	v_clz_i32_u32_e32 v0, v0
	v_min_u32_e32 v0, 32, v0
	s_delay_alu instid0(VALU_DEP_1) | instskip(SKIP_1) | instid1(VALU_DEP_2)
	v_subrev_nc_u32_e32 v1, 28, v0
	v_sub_nc_u32_e32 v0, 29, v0
	v_lshlrev_b64 v[35:36], v1, v[33:34]
; %bb.405:                              ;   in Loop: Header=BB438_13 Depth=1
	s_or_b32 exec_lo, exec_lo, s24
	s_delay_alu instid0(VALU_DEP_1) | instskip(SKIP_2) | instid1(VALU_DEP_3)
	v_lshlrev_b32_e32 v1, 20, v35
	v_lshlrev_b32_e32 v2, 24, v33
	v_lshl_add_u32 v0, v0, 23, 0x3c000000
	v_and_b32_e32 v1, 0x700000, v1
	s_delay_alu instid0(VALU_DEP_3) | instskip(NEXT) | instid1(VALU_DEP_1)
	v_and_b32_e32 v2, 0x80000000, v2
	v_or3_b32 v0, v1, v2, v0
.LBB438_406:                            ;   in Loop: Header=BB438_13 Depth=1
	s_or_b32 exec_lo, exec_lo, s23
.LBB438_407:                            ;   in Loop: Header=BB438_13 Depth=1
	s_delay_alu instid0(SALU_CYCLE_1)
	s_or_b32 exec_lo, exec_lo, s22
.LBB438_408:                            ;   in Loop: Header=BB438_13 Depth=1
	s_delay_alu instid0(SALU_CYCLE_1) | instskip(NEXT) | instid1(VALU_DEP_1)
	s_or_b32 exec_lo, exec_lo, s21
	v_mul_f32_e32 v0, v91, v0
                                        ; implicit-def: $vgpr155
	s_delay_alu instid0(VALU_DEP_1) | instskip(NEXT) | instid1(VALU_DEP_1)
	v_and_b32_e32 v1, 0x7f800000, v0
	v_cmp_ne_u32_e64 s1, 0x7f800000, v1
	s_delay_alu instid0(VALU_DEP_1) | instskip(NEXT) | instid1(SALU_CYCLE_1)
	s_and_saveexec_b32 s21, s1
	s_xor_b32 s1, exec_lo, s21
; %bb.409:                              ;   in Loop: Header=BB438_13 Depth=1
	v_bfe_u32 v1, v0, 16, 1
	s_delay_alu instid0(VALU_DEP_1)
	v_add3_u32 v155, v0, v1, 0x7fff
                                        ; implicit-def: $vgpr0
; %bb.410:                              ;   in Loop: Header=BB438_13 Depth=1
	s_and_not1_saveexec_b32 s21, s1
; %bb.411:                              ;   in Loop: Header=BB438_13 Depth=1
	v_and_b32_e32 v1, 0xffff, v0
	v_or_b32_e32 v2, 0x10000, v0
	s_delay_alu instid0(VALU_DEP_2) | instskip(NEXT) | instid1(VALU_DEP_1)
	v_cmp_eq_u32_e64 s1, 0, v1
	v_cndmask_b32_e64 v155, v2, v0, s1
; %bb.412:                              ;   in Loop: Header=BB438_13 Depth=1
	s_or_b32 exec_lo, exec_lo, s21
	v_lshrrev_b16 v1, 8, v33
	v_mov_b32_e32 v0, 0
	s_mov_b32 s21, exec_lo
	s_delay_alu instid0(VALU_DEP_2)
	v_cmpx_ne_u16_e32 0, v1
	s_cbranch_execz .LBB438_420
; %bb.413:                              ;   in Loop: Header=BB438_13 Depth=1
	v_bfrev_b32_e32 v0, 1
	s_mov_b32 s22, exec_lo
	v_cmpx_ne_u16_e32 0x80, v1
	s_cbranch_execz .LBB438_419
; %bb.414:                              ;   in Loop: Header=BB438_13 Depth=1
	v_and_b32_e32 v2, 0xffff, v1
	v_mov_b32_e32 v0, 0x7f800001
	s_mov_b32 s23, exec_lo
	s_delay_alu instid0(VALU_DEP_2) | instskip(NEXT) | instid1(VALU_DEP_1)
	v_and_b32_e32 v1, 0x7f, v2
	v_cmpx_ne_u32_e32 0x7f, v1
	s_cbranch_execz .LBB438_418
; %bb.415:                              ;   in Loop: Header=BB438_13 Depth=1
	v_and_b32_e32 v19, 7, v2
	v_lshrrev_b32_e32 v0, 3, v1
	s_mov_b32 s24, exec_lo
	v_cmpx_gt_u32_e32 8, v1
; %bb.416:                              ;   in Loop: Header=BB438_13 Depth=1
	s_delay_alu instid0(VALU_DEP_3) | instskip(NEXT) | instid1(VALU_DEP_1)
	v_clz_i32_u32_e32 v0, v19
	v_min_u32_e32 v0, 32, v0
	s_delay_alu instid0(VALU_DEP_1) | instskip(SKIP_1) | instid1(VALU_DEP_2)
	v_subrev_nc_u32_e32 v1, 28, v0
	v_sub_nc_u32_e32 v0, 29, v0
	v_lshlrev_b64 v[1:2], v1, v[19:20]
	s_delay_alu instid0(VALU_DEP_1)
	v_and_b32_e32 v19, 7, v1
; %bb.417:                              ;   in Loop: Header=BB438_13 Depth=1
	s_or_b32 exec_lo, exec_lo, s24
	v_lshlrev_b32_e32 v1, 16, v33
	s_delay_alu instid0(VALU_DEP_2) | instskip(SKIP_1) | instid1(VALU_DEP_3)
	v_lshlrev_b32_e32 v2, 20, v19
	v_lshl_add_u32 v0, v0, 23, 0x3c000000
	v_and_b32_e32 v1, 0x80000000, v1
	s_delay_alu instid0(VALU_DEP_1)
	v_or3_b32 v0, v2, v1, v0
.LBB438_418:                            ;   in Loop: Header=BB438_13 Depth=1
	s_or_b32 exec_lo, exec_lo, s23
.LBB438_419:                            ;   in Loop: Header=BB438_13 Depth=1
	s_delay_alu instid0(SALU_CYCLE_1)
	s_or_b32 exec_lo, exec_lo, s22
.LBB438_420:                            ;   in Loop: Header=BB438_13 Depth=1
	s_delay_alu instid0(SALU_CYCLE_1) | instskip(NEXT) | instid1(VALU_DEP_1)
	s_or_b32 exec_lo, exec_lo, s21
	v_mul_f32_e32 v0, v91, v0
                                        ; implicit-def: $vgpr156
	s_delay_alu instid0(VALU_DEP_1) | instskip(NEXT) | instid1(VALU_DEP_1)
	v_and_b32_e32 v1, 0x7f800000, v0
	v_cmp_ne_u32_e64 s1, 0x7f800000, v1
	s_delay_alu instid0(VALU_DEP_1) | instskip(NEXT) | instid1(SALU_CYCLE_1)
	s_and_saveexec_b32 s21, s1
	s_xor_b32 s1, exec_lo, s21
; %bb.421:                              ;   in Loop: Header=BB438_13 Depth=1
	v_bfe_u32 v1, v0, 16, 1
	s_delay_alu instid0(VALU_DEP_1)
	v_add3_u32 v156, v0, v1, 0x7fff
                                        ; implicit-def: $vgpr0
; %bb.422:                              ;   in Loop: Header=BB438_13 Depth=1
	s_and_not1_saveexec_b32 s21, s1
; %bb.423:                              ;   in Loop: Header=BB438_13 Depth=1
	v_and_b32_e32 v1, 0xffff, v0
	v_or_b32_e32 v2, 0x10000, v0
	s_delay_alu instid0(VALU_DEP_2) | instskip(NEXT) | instid1(VALU_DEP_1)
	v_cmp_eq_u32_e64 s1, 0, v1
	v_cndmask_b32_e64 v156, v2, v0, s1
; %bb.424:                              ;   in Loop: Header=BB438_13 Depth=1
	s_or_b32 exec_lo, exec_lo, s21
	v_lshrrev_b32_e32 v0, 16, v33
	s_mov_b32 s21, exec_lo
	s_delay_alu instid0(VALU_DEP_1) | instskip(NEXT) | instid1(VALU_DEP_1)
	v_dual_mov_b32 v1, 0 :: v_dual_and_b32 v2, 0xff, v0
	v_cmpx_ne_u16_e32 0, v2
	s_cbranch_execz .LBB438_432
; %bb.425:                              ;   in Loop: Header=BB438_13 Depth=1
	v_bfrev_b32_e32 v1, 1
	s_mov_b32 s22, exec_lo
	v_cmpx_ne_u16_e32 0x80, v2
	s_cbranch_execz .LBB438_431
; %bb.426:                              ;   in Loop: Header=BB438_13 Depth=1
	v_bfe_u32 v2, v33, 16, 7
	v_mov_b32_e32 v1, 0x7f800001
	s_mov_b32 s23, exec_lo
	s_delay_alu instid0(VALU_DEP_2)
	v_cmpx_ne_u32_e32 0x7f, v2
	s_cbranch_execz .LBB438_430
; %bb.427:                              ;   in Loop: Header=BB438_13 Depth=1
	v_and_b32_e32 v19, 7, v0
	v_lshrrev_b32_e32 v1, 3, v2
	s_mov_b32 s24, exec_lo
	v_cmpx_gt_u32_e32 8, v2
; %bb.428:                              ;   in Loop: Header=BB438_13 Depth=1
	s_delay_alu instid0(VALU_DEP_3) | instskip(NEXT) | instid1(VALU_DEP_1)
	v_clz_i32_u32_e32 v1, v19
	v_min_u32_e32 v1, 32, v1
	s_delay_alu instid0(VALU_DEP_1) | instskip(SKIP_1) | instid1(VALU_DEP_2)
	v_subrev_nc_u32_e32 v2, 28, v1
	v_sub_nc_u32_e32 v1, 29, v1
	v_lshlrev_b64 v[2:3], v2, v[19:20]
	s_delay_alu instid0(VALU_DEP_1)
	v_and_b32_e32 v19, 7, v2
; %bb.429:                              ;   in Loop: Header=BB438_13 Depth=1
	s_or_b32 exec_lo, exec_lo, s24
	v_lshlrev_b32_e32 v0, 24, v0
	s_delay_alu instid0(VALU_DEP_2) | instskip(SKIP_1) | instid1(VALU_DEP_3)
	v_lshlrev_b32_e32 v2, 20, v19
	v_lshl_add_u32 v1, v1, 23, 0x3c000000
	v_and_b32_e32 v0, 0x80000000, v0
	s_delay_alu instid0(VALU_DEP_1)
	v_or3_b32 v1, v2, v0, v1
.LBB438_430:                            ;   in Loop: Header=BB438_13 Depth=1
	s_or_b32 exec_lo, exec_lo, s23
.LBB438_431:                            ;   in Loop: Header=BB438_13 Depth=1
	s_delay_alu instid0(SALU_CYCLE_1)
	s_or_b32 exec_lo, exec_lo, s22
.LBB438_432:                            ;   in Loop: Header=BB438_13 Depth=1
	s_delay_alu instid0(SALU_CYCLE_1) | instskip(NEXT) | instid1(VALU_DEP_1)
	s_or_b32 exec_lo, exec_lo, s21
	v_mul_f32_e32 v0, v91, v1
                                        ; implicit-def: $vgpr157
	s_delay_alu instid0(VALU_DEP_1) | instskip(NEXT) | instid1(VALU_DEP_1)
	v_and_b32_e32 v1, 0x7f800000, v0
	v_cmp_ne_u32_e64 s1, 0x7f800000, v1
	s_delay_alu instid0(VALU_DEP_1) | instskip(NEXT) | instid1(SALU_CYCLE_1)
	s_and_saveexec_b32 s21, s1
	s_xor_b32 s1, exec_lo, s21
; %bb.433:                              ;   in Loop: Header=BB438_13 Depth=1
	v_bfe_u32 v1, v0, 16, 1
	s_delay_alu instid0(VALU_DEP_1)
	v_add3_u32 v157, v0, v1, 0x7fff
                                        ; implicit-def: $vgpr0
; %bb.434:                              ;   in Loop: Header=BB438_13 Depth=1
	s_and_not1_saveexec_b32 s21, s1
; %bb.435:                              ;   in Loop: Header=BB438_13 Depth=1
	v_and_b32_e32 v1, 0xffff, v0
	v_or_b32_e32 v2, 0x10000, v0
	s_delay_alu instid0(VALU_DEP_2) | instskip(NEXT) | instid1(VALU_DEP_1)
	v_cmp_eq_u32_e64 s1, 0, v1
	v_cndmask_b32_e64 v157, v2, v0, s1
; %bb.436:                              ;   in Loop: Header=BB438_13 Depth=1
	s_or_b32 exec_lo, exec_lo, s21
	v_mov_b32_e32 v1, 0
	s_mov_b32 s21, exec_lo
	v_cmpx_lt_u32_e32 0xffffff, v33
	s_cbranch_execz .LBB438_444
; %bb.437:                              ;   in Loop: Header=BB438_13 Depth=1
	v_lshrrev_b32_e32 v0, 24, v33
	v_bfrev_b32_e32 v1, 1
	s_mov_b32 s22, exec_lo
	s_delay_alu instid0(VALU_DEP_2)
	v_cmpx_ne_u32_e32 0x80, v0
	s_cbranch_execz .LBB438_443
; %bb.438:                              ;   in Loop: Header=BB438_13 Depth=1
	v_bfe_u32 v2, v33, 24, 7
	v_mov_b32_e32 v1, 0x7f800001
	s_mov_b32 s23, exec_lo
	s_delay_alu instid0(VALU_DEP_2)
	v_cmpx_ne_u32_e32 0x7f, v2
	s_cbranch_execz .LBB438_442
; %bb.439:                              ;   in Loop: Header=BB438_13 Depth=1
	v_and_b32_e32 v19, 7, v0
	v_lshrrev_b32_e32 v1, 3, v2
	s_mov_b32 s24, exec_lo
	v_cmpx_gt_u32_e32 8, v2
; %bb.440:                              ;   in Loop: Header=BB438_13 Depth=1
	s_delay_alu instid0(VALU_DEP_3) | instskip(NEXT) | instid1(VALU_DEP_1)
	v_clz_i32_u32_e32 v1, v19
	v_min_u32_e32 v1, 32, v1
	s_delay_alu instid0(VALU_DEP_1) | instskip(SKIP_1) | instid1(VALU_DEP_2)
	v_subrev_nc_u32_e32 v2, 28, v1
	v_sub_nc_u32_e32 v1, 29, v1
	v_lshlrev_b64 v[2:3], v2, v[19:20]
	s_delay_alu instid0(VALU_DEP_1)
	v_and_b32_e32 v19, 7, v2
; %bb.441:                              ;   in Loop: Header=BB438_13 Depth=1
	s_or_b32 exec_lo, exec_lo, s24
	v_lshlrev_b32_e32 v0, 24, v0
	s_delay_alu instid0(VALU_DEP_2) | instskip(SKIP_1) | instid1(VALU_DEP_3)
	v_lshlrev_b32_e32 v2, 20, v19
	v_lshl_add_u32 v1, v1, 23, 0x3c000000
	v_and_b32_e32 v0, 0x80000000, v0
	s_delay_alu instid0(VALU_DEP_1)
	v_or3_b32 v1, v2, v0, v1
.LBB438_442:                            ;   in Loop: Header=BB438_13 Depth=1
	s_or_b32 exec_lo, exec_lo, s23
.LBB438_443:                            ;   in Loop: Header=BB438_13 Depth=1
	s_delay_alu instid0(SALU_CYCLE_1)
	s_or_b32 exec_lo, exec_lo, s22
.LBB438_444:                            ;   in Loop: Header=BB438_13 Depth=1
	s_delay_alu instid0(SALU_CYCLE_1) | instskip(NEXT) | instid1(VALU_DEP_1)
	s_or_b32 exec_lo, exec_lo, s21
	v_mul_f32_e32 v0, v91, v1
                                        ; implicit-def: $vgpr158
	s_delay_alu instid0(VALU_DEP_1) | instskip(NEXT) | instid1(VALU_DEP_1)
	v_and_b32_e32 v1, 0x7f800000, v0
	v_cmp_ne_u32_e64 s1, 0x7f800000, v1
	s_delay_alu instid0(VALU_DEP_1) | instskip(NEXT) | instid1(SALU_CYCLE_1)
	s_and_saveexec_b32 s21, s1
	s_xor_b32 s1, exec_lo, s21
; %bb.445:                              ;   in Loop: Header=BB438_13 Depth=1
	v_bfe_u32 v1, v0, 16, 1
	s_delay_alu instid0(VALU_DEP_1)
	v_add3_u32 v158, v0, v1, 0x7fff
                                        ; implicit-def: $vgpr0
; %bb.446:                              ;   in Loop: Header=BB438_13 Depth=1
	s_and_not1_saveexec_b32 s21, s1
; %bb.447:                              ;   in Loop: Header=BB438_13 Depth=1
	v_and_b32_e32 v1, 0xffff, v0
	v_or_b32_e32 v2, 0x10000, v0
	s_delay_alu instid0(VALU_DEP_2) | instskip(NEXT) | instid1(VALU_DEP_1)
	v_cmp_eq_u32_e64 s1, 0, v1
	v_cndmask_b32_e64 v158, v2, v0, s1
; %bb.448:                              ;   in Loop: Header=BB438_13 Depth=1
	s_or_b32 exec_lo, exec_lo, s21
	v_dual_mov_b32 v0, 0 :: v_dual_and_b32 v1, 0xff, v34
	v_mov_b32_e32 v19, v34
	s_mov_b32 s21, exec_lo
	s_delay_alu instid0(VALU_DEP_2)
	v_cmpx_ne_u16_e32 0, v1
	s_cbranch_execz .LBB438_456
; %bb.449:                              ;   in Loop: Header=BB438_13 Depth=1
	v_bfrev_b32_e32 v0, 1
	s_mov_b32 s22, exec_lo
	v_cmpx_ne_u16_e32 0x80, v1
	s_cbranch_execz .LBB438_455
; %bb.450:                              ;   in Loop: Header=BB438_13 Depth=1
	v_and_b32_e32 v1, 0x7f, v34
	v_mov_b32_e32 v0, 0x7f800001
	s_mov_b32 s23, exec_lo
	s_delay_alu instid0(VALU_DEP_2)
	v_cmpx_ne_u32_e32 0x7f, v1
	s_cbranch_execz .LBB438_454
; %bb.451:                              ;   in Loop: Header=BB438_13 Depth=1
	v_lshrrev_b32_e32 v0, 3, v1
	v_dual_mov_b32 v36, v20 :: v_dual_mov_b32 v35, v19
	s_mov_b32 s24, exec_lo
	v_cmpx_gt_u32_e32 8, v1
; %bb.452:                              ;   in Loop: Header=BB438_13 Depth=1
	v_and_b32_e32 v0, 7, v34
	s_delay_alu instid0(VALU_DEP_1) | instskip(NEXT) | instid1(VALU_DEP_1)
	v_clz_i32_u32_e32 v0, v0
	v_min_u32_e32 v0, 32, v0
	s_delay_alu instid0(VALU_DEP_1) | instskip(SKIP_1) | instid1(VALU_DEP_2)
	v_subrev_nc_u32_e32 v1, 28, v0
	v_sub_nc_u32_e32 v0, 29, v0
	v_lshlrev_b64 v[35:36], v1, v[19:20]
; %bb.453:                              ;   in Loop: Header=BB438_13 Depth=1
	s_or_b32 exec_lo, exec_lo, s24
	s_delay_alu instid0(VALU_DEP_1) | instskip(SKIP_2) | instid1(VALU_DEP_3)
	v_lshlrev_b32_e32 v1, 20, v35
	v_lshlrev_b32_e32 v2, 24, v19
	v_lshl_add_u32 v0, v0, 23, 0x3c000000
	v_and_b32_e32 v1, 0x700000, v1
	s_delay_alu instid0(VALU_DEP_3) | instskip(NEXT) | instid1(VALU_DEP_1)
	v_and_b32_e32 v2, 0x80000000, v2
	v_or3_b32 v0, v1, v2, v0
.LBB438_454:                            ;   in Loop: Header=BB438_13 Depth=1
	s_or_b32 exec_lo, exec_lo, s23
.LBB438_455:                            ;   in Loop: Header=BB438_13 Depth=1
	s_delay_alu instid0(SALU_CYCLE_1)
	s_or_b32 exec_lo, exec_lo, s22
.LBB438_456:                            ;   in Loop: Header=BB438_13 Depth=1
	s_delay_alu instid0(SALU_CYCLE_1) | instskip(NEXT) | instid1(VALU_DEP_1)
	s_or_b32 exec_lo, exec_lo, s21
	v_mul_f32_e32 v0, v91, v0
                                        ; implicit-def: $vgpr159
	s_delay_alu instid0(VALU_DEP_1) | instskip(NEXT) | instid1(VALU_DEP_1)
	v_and_b32_e32 v1, 0x7f800000, v0
	v_cmp_ne_u32_e64 s1, 0x7f800000, v1
	s_delay_alu instid0(VALU_DEP_1) | instskip(NEXT) | instid1(SALU_CYCLE_1)
	s_and_saveexec_b32 s21, s1
	s_xor_b32 s1, exec_lo, s21
; %bb.457:                              ;   in Loop: Header=BB438_13 Depth=1
	v_bfe_u32 v1, v0, 16, 1
	s_delay_alu instid0(VALU_DEP_1)
	v_add3_u32 v159, v0, v1, 0x7fff
                                        ; implicit-def: $vgpr0
; %bb.458:                              ;   in Loop: Header=BB438_13 Depth=1
	s_and_not1_saveexec_b32 s21, s1
; %bb.459:                              ;   in Loop: Header=BB438_13 Depth=1
	v_and_b32_e32 v1, 0xffff, v0
	v_or_b32_e32 v2, 0x10000, v0
	s_delay_alu instid0(VALU_DEP_2) | instskip(NEXT) | instid1(VALU_DEP_1)
	v_cmp_eq_u32_e64 s1, 0, v1
	v_cndmask_b32_e64 v159, v2, v0, s1
; %bb.460:                              ;   in Loop: Header=BB438_13 Depth=1
	s_or_b32 exec_lo, exec_lo, s21
	v_lshrrev_b16 v1, 8, v19
	v_mov_b32_e32 v0, 0
	s_mov_b32 s21, exec_lo
	s_delay_alu instid0(VALU_DEP_2)
	v_cmpx_ne_u16_e32 0, v1
	s_cbranch_execz .LBB438_468
; %bb.461:                              ;   in Loop: Header=BB438_13 Depth=1
	v_bfrev_b32_e32 v0, 1
	s_mov_b32 s22, exec_lo
	v_cmpx_ne_u16_e32 0x80, v1
	s_cbranch_execz .LBB438_467
; %bb.462:                              ;   in Loop: Header=BB438_13 Depth=1
	v_and_b32_e32 v2, 0xffff, v1
	v_mov_b32_e32 v0, 0x7f800001
	s_mov_b32 s23, exec_lo
	s_delay_alu instid0(VALU_DEP_2) | instskip(NEXT) | instid1(VALU_DEP_1)
	v_and_b32_e32 v1, 0x7f, v2
	v_cmpx_ne_u32_e32 0x7f, v1
	s_cbranch_execz .LBB438_466
; %bb.463:                              ;   in Loop: Header=BB438_13 Depth=1
	v_dual_mov_b32 v36, v20 :: v_dual_and_b32 v35, 7, v2
	v_lshrrev_b32_e32 v0, 3, v1
	s_mov_b32 s24, exec_lo
	v_cmpx_gt_u32_e32 8, v1
; %bb.464:                              ;   in Loop: Header=BB438_13 Depth=1
	s_delay_alu instid0(VALU_DEP_3) | instskip(NEXT) | instid1(VALU_DEP_1)
	v_clz_i32_u32_e32 v0, v35
	v_min_u32_e32 v0, 32, v0
	s_delay_alu instid0(VALU_DEP_1) | instskip(SKIP_1) | instid1(VALU_DEP_2)
	v_subrev_nc_u32_e32 v1, 28, v0
	v_sub_nc_u32_e32 v0, 29, v0
	v_lshlrev_b64 v[1:2], v1, v[35:36]
	s_delay_alu instid0(VALU_DEP_1)
	v_and_b32_e32 v35, 7, v1
; %bb.465:                              ;   in Loop: Header=BB438_13 Depth=1
	s_or_b32 exec_lo, exec_lo, s24
	v_lshlrev_b32_e32 v1, 16, v19
	s_delay_alu instid0(VALU_DEP_2) | instskip(SKIP_1) | instid1(VALU_DEP_3)
	v_lshlrev_b32_e32 v2, 20, v35
	v_lshl_add_u32 v0, v0, 23, 0x3c000000
	v_and_b32_e32 v1, 0x80000000, v1
	s_delay_alu instid0(VALU_DEP_1)
	v_or3_b32 v0, v2, v1, v0
.LBB438_466:                            ;   in Loop: Header=BB438_13 Depth=1
	s_or_b32 exec_lo, exec_lo, s23
.LBB438_467:                            ;   in Loop: Header=BB438_13 Depth=1
	s_delay_alu instid0(SALU_CYCLE_1)
	s_or_b32 exec_lo, exec_lo, s22
.LBB438_468:                            ;   in Loop: Header=BB438_13 Depth=1
	s_delay_alu instid0(SALU_CYCLE_1) | instskip(NEXT) | instid1(VALU_DEP_1)
	s_or_b32 exec_lo, exec_lo, s21
	v_mul_f32_e32 v0, v91, v0
                                        ; implicit-def: $vgpr168
	s_delay_alu instid0(VALU_DEP_1) | instskip(NEXT) | instid1(VALU_DEP_1)
	v_and_b32_e32 v1, 0x7f800000, v0
	v_cmp_ne_u32_e64 s1, 0x7f800000, v1
	s_delay_alu instid0(VALU_DEP_1) | instskip(NEXT) | instid1(SALU_CYCLE_1)
	s_and_saveexec_b32 s21, s1
	s_xor_b32 s1, exec_lo, s21
; %bb.469:                              ;   in Loop: Header=BB438_13 Depth=1
	v_bfe_u32 v1, v0, 16, 1
	s_delay_alu instid0(VALU_DEP_1)
	v_add3_u32 v168, v0, v1, 0x7fff
                                        ; implicit-def: $vgpr0
; %bb.470:                              ;   in Loop: Header=BB438_13 Depth=1
	s_and_not1_saveexec_b32 s21, s1
; %bb.471:                              ;   in Loop: Header=BB438_13 Depth=1
	v_and_b32_e32 v1, 0xffff, v0
	v_or_b32_e32 v2, 0x10000, v0
	s_delay_alu instid0(VALU_DEP_2) | instskip(NEXT) | instid1(VALU_DEP_1)
	v_cmp_eq_u32_e64 s1, 0, v1
	v_cndmask_b32_e64 v168, v2, v0, s1
; %bb.472:                              ;   in Loop: Header=BB438_13 Depth=1
	s_or_b32 exec_lo, exec_lo, s21
	v_lshrrev_b32_e32 v0, 16, v34
	s_mov_b32 s21, exec_lo
	s_delay_alu instid0(VALU_DEP_1) | instskip(NEXT) | instid1(VALU_DEP_1)
	v_dual_mov_b32 v1, 0 :: v_dual_and_b32 v2, 0xff, v0
	v_cmpx_ne_u16_e32 0, v2
	s_cbranch_execz .LBB438_480
; %bb.473:                              ;   in Loop: Header=BB438_13 Depth=1
	v_bfrev_b32_e32 v1, 1
	s_mov_b32 s22, exec_lo
	v_cmpx_ne_u16_e32 0x80, v2
	s_cbranch_execz .LBB438_479
; %bb.474:                              ;   in Loop: Header=BB438_13 Depth=1
	v_bfe_u32 v2, v34, 16, 7
	v_mov_b32_e32 v1, 0x7f800001
	s_mov_b32 s23, exec_lo
	s_delay_alu instid0(VALU_DEP_2)
	v_cmpx_ne_u32_e32 0x7f, v2
	s_cbranch_execz .LBB438_478
; %bb.475:                              ;   in Loop: Header=BB438_13 Depth=1
	v_and_b32_e32 v19, 7, v0
	v_lshrrev_b32_e32 v1, 3, v2
	s_mov_b32 s24, exec_lo
	v_cmpx_gt_u32_e32 8, v2
; %bb.476:                              ;   in Loop: Header=BB438_13 Depth=1
	s_delay_alu instid0(VALU_DEP_3) | instskip(NEXT) | instid1(VALU_DEP_1)
	v_clz_i32_u32_e32 v1, v19
	v_min_u32_e32 v1, 32, v1
	s_delay_alu instid0(VALU_DEP_1) | instskip(SKIP_1) | instid1(VALU_DEP_2)
	v_subrev_nc_u32_e32 v2, 28, v1
	v_sub_nc_u32_e32 v1, 29, v1
	v_lshlrev_b64 v[2:3], v2, v[19:20]
	s_delay_alu instid0(VALU_DEP_1)
	v_and_b32_e32 v19, 7, v2
; %bb.477:                              ;   in Loop: Header=BB438_13 Depth=1
	s_or_b32 exec_lo, exec_lo, s24
	v_lshlrev_b32_e32 v0, 24, v0
	s_delay_alu instid0(VALU_DEP_2) | instskip(SKIP_1) | instid1(VALU_DEP_3)
	v_lshlrev_b32_e32 v2, 20, v19
	v_lshl_add_u32 v1, v1, 23, 0x3c000000
	v_and_b32_e32 v0, 0x80000000, v0
	s_delay_alu instid0(VALU_DEP_1)
	v_or3_b32 v1, v2, v0, v1
.LBB438_478:                            ;   in Loop: Header=BB438_13 Depth=1
	s_or_b32 exec_lo, exec_lo, s23
.LBB438_479:                            ;   in Loop: Header=BB438_13 Depth=1
	s_delay_alu instid0(SALU_CYCLE_1)
	s_or_b32 exec_lo, exec_lo, s22
.LBB438_480:                            ;   in Loop: Header=BB438_13 Depth=1
	s_delay_alu instid0(SALU_CYCLE_1) | instskip(NEXT) | instid1(VALU_DEP_1)
	s_or_b32 exec_lo, exec_lo, s21
	v_mul_f32_e32 v0, v91, v1
                                        ; implicit-def: $vgpr169
	s_delay_alu instid0(VALU_DEP_1) | instskip(NEXT) | instid1(VALU_DEP_1)
	v_and_b32_e32 v1, 0x7f800000, v0
	v_cmp_ne_u32_e64 s1, 0x7f800000, v1
	s_delay_alu instid0(VALU_DEP_1) | instskip(NEXT) | instid1(SALU_CYCLE_1)
	s_and_saveexec_b32 s21, s1
	s_xor_b32 s1, exec_lo, s21
; %bb.481:                              ;   in Loop: Header=BB438_13 Depth=1
	v_bfe_u32 v1, v0, 16, 1
	s_delay_alu instid0(VALU_DEP_1)
	v_add3_u32 v169, v0, v1, 0x7fff
                                        ; implicit-def: $vgpr0
; %bb.482:                              ;   in Loop: Header=BB438_13 Depth=1
	s_and_not1_saveexec_b32 s21, s1
; %bb.483:                              ;   in Loop: Header=BB438_13 Depth=1
	v_and_b32_e32 v1, 0xffff, v0
	v_or_b32_e32 v2, 0x10000, v0
	s_delay_alu instid0(VALU_DEP_2) | instskip(NEXT) | instid1(VALU_DEP_1)
	v_cmp_eq_u32_e64 s1, 0, v1
	v_cndmask_b32_e64 v169, v2, v0, s1
; %bb.484:                              ;   in Loop: Header=BB438_13 Depth=1
	s_or_b32 exec_lo, exec_lo, s21
	v_mov_b32_e32 v1, 0
	s_mov_b32 s21, exec_lo
	v_cmpx_lt_u64_e64 s[16:17], v[33:34]
	s_cbranch_execz .LBB438_492
; %bb.485:                              ;   in Loop: Header=BB438_13 Depth=1
	v_lshrrev_b32_e32 v0, 24, v34
	v_bfrev_b32_e32 v1, 1
	s_mov_b32 s22, exec_lo
	s_delay_alu instid0(VALU_DEP_2)
	v_cmpx_ne_u32_e32 0x80, v0
	s_cbranch_execz .LBB438_491
; %bb.486:                              ;   in Loop: Header=BB438_13 Depth=1
	v_bfe_u32 v2, v34, 24, 7
	v_mov_b32_e32 v1, 0x7f800001
	s_mov_b32 s23, exec_lo
	s_delay_alu instid0(VALU_DEP_2)
	v_cmpx_ne_u32_e32 0x7f, v2
	s_cbranch_execz .LBB438_490
; %bb.487:                              ;   in Loop: Header=BB438_13 Depth=1
	v_and_b32_e32 v19, 7, v0
	v_lshrrev_b32_e32 v1, 3, v2
	s_mov_b32 s24, exec_lo
	v_cmpx_gt_u32_e32 8, v2
; %bb.488:                              ;   in Loop: Header=BB438_13 Depth=1
	s_delay_alu instid0(VALU_DEP_3) | instskip(NEXT) | instid1(VALU_DEP_1)
	v_clz_i32_u32_e32 v1, v19
	v_min_u32_e32 v1, 32, v1
	s_delay_alu instid0(VALU_DEP_1) | instskip(SKIP_1) | instid1(VALU_DEP_2)
	v_subrev_nc_u32_e32 v2, 28, v1
	v_sub_nc_u32_e32 v1, 29, v1
	v_lshlrev_b64 v[2:3], v2, v[19:20]
	s_delay_alu instid0(VALU_DEP_1)
	v_and_b32_e32 v19, 7, v2
; %bb.489:                              ;   in Loop: Header=BB438_13 Depth=1
	s_or_b32 exec_lo, exec_lo, s24
	v_lshlrev_b32_e32 v0, 24, v0
	s_delay_alu instid0(VALU_DEP_2) | instskip(SKIP_1) | instid1(VALU_DEP_3)
	v_lshlrev_b32_e32 v2, 20, v19
	v_lshl_add_u32 v1, v1, 23, 0x3c000000
	v_and_b32_e32 v0, 0x80000000, v0
	s_delay_alu instid0(VALU_DEP_1)
	v_or3_b32 v1, v2, v0, v1
.LBB438_490:                            ;   in Loop: Header=BB438_13 Depth=1
	s_or_b32 exec_lo, exec_lo, s23
.LBB438_491:                            ;   in Loop: Header=BB438_13 Depth=1
	s_delay_alu instid0(SALU_CYCLE_1)
	s_or_b32 exec_lo, exec_lo, s22
.LBB438_492:                            ;   in Loop: Header=BB438_13 Depth=1
	s_delay_alu instid0(SALU_CYCLE_1) | instskip(NEXT) | instid1(VALU_DEP_1)
	s_or_b32 exec_lo, exec_lo, s21
	v_mul_f32_e32 v0, v91, v1
                                        ; implicit-def: $vgpr170
	s_delay_alu instid0(VALU_DEP_1) | instskip(NEXT) | instid1(VALU_DEP_1)
	v_and_b32_e32 v1, 0x7f800000, v0
	v_cmp_ne_u32_e64 s1, 0x7f800000, v1
	s_delay_alu instid0(VALU_DEP_1) | instskip(NEXT) | instid1(SALU_CYCLE_1)
	s_and_saveexec_b32 s21, s1
	s_xor_b32 s1, exec_lo, s21
; %bb.493:                              ;   in Loop: Header=BB438_13 Depth=1
	v_bfe_u32 v1, v0, 16, 1
	s_delay_alu instid0(VALU_DEP_1)
	v_add3_u32 v170, v0, v1, 0x7fff
                                        ; implicit-def: $vgpr0
; %bb.494:                              ;   in Loop: Header=BB438_13 Depth=1
	s_and_not1_saveexec_b32 s21, s1
; %bb.495:                              ;   in Loop: Header=BB438_13 Depth=1
	v_and_b32_e32 v1, 0xffff, v0
	v_or_b32_e32 v2, 0x10000, v0
	s_delay_alu instid0(VALU_DEP_2) | instskip(NEXT) | instid1(VALU_DEP_1)
	v_cmp_eq_u32_e64 s1, 0, v1
	v_cndmask_b32_e64 v170, v2, v0, s1
; %bb.496:                              ;   in Loop: Header=BB438_13 Depth=1
	s_or_b32 exec_lo, exec_lo, s21
	flat_load_b64 v[33:34], v[31:32] offset:1032
	s_mov_b32 s21, exec_lo
	s_waitcnt vmcnt(0) lgkmcnt(0)
	v_dual_mov_b32 v0, 0 :: v_dual_and_b32 v1, 0xff, v33
	s_delay_alu instid0(VALU_DEP_1)
	v_cmpx_ne_u16_e32 0, v1
	s_cbranch_execz .LBB438_504
; %bb.497:                              ;   in Loop: Header=BB438_13 Depth=1
	v_bfrev_b32_e32 v0, 1
	s_mov_b32 s22, exec_lo
	v_cmpx_ne_u16_e32 0x80, v1
	s_cbranch_execz .LBB438_503
; %bb.498:                              ;   in Loop: Header=BB438_13 Depth=1
	v_and_b32_e32 v1, 0x7f, v33
	v_mov_b32_e32 v0, 0x7f800001
	s_mov_b32 s23, exec_lo
	s_delay_alu instid0(VALU_DEP_2)
	v_cmpx_ne_u32_e32 0x7f, v1
	s_cbranch_execz .LBB438_502
; %bb.499:                              ;   in Loop: Header=BB438_13 Depth=1
	v_lshrrev_b32_e32 v0, 3, v1
	v_dual_mov_b32 v36, v34 :: v_dual_mov_b32 v35, v33
	s_mov_b32 s24, exec_lo
	v_cmpx_gt_u32_e32 8, v1
; %bb.500:                              ;   in Loop: Header=BB438_13 Depth=1
	v_and_b32_e32 v0, 7, v33
	s_delay_alu instid0(VALU_DEP_1) | instskip(NEXT) | instid1(VALU_DEP_1)
	v_clz_i32_u32_e32 v0, v0
	v_min_u32_e32 v0, 32, v0
	s_delay_alu instid0(VALU_DEP_1) | instskip(SKIP_1) | instid1(VALU_DEP_2)
	v_subrev_nc_u32_e32 v1, 28, v0
	v_sub_nc_u32_e32 v0, 29, v0
	v_lshlrev_b64 v[35:36], v1, v[33:34]
; %bb.501:                              ;   in Loop: Header=BB438_13 Depth=1
	s_or_b32 exec_lo, exec_lo, s24
	s_delay_alu instid0(VALU_DEP_1) | instskip(SKIP_2) | instid1(VALU_DEP_3)
	v_lshlrev_b32_e32 v1, 20, v35
	v_lshlrev_b32_e32 v2, 24, v33
	v_lshl_add_u32 v0, v0, 23, 0x3c000000
	v_and_b32_e32 v1, 0x700000, v1
	s_delay_alu instid0(VALU_DEP_3) | instskip(NEXT) | instid1(VALU_DEP_1)
	v_and_b32_e32 v2, 0x80000000, v2
	v_or3_b32 v0, v1, v2, v0
.LBB438_502:                            ;   in Loop: Header=BB438_13 Depth=1
	s_or_b32 exec_lo, exec_lo, s23
.LBB438_503:                            ;   in Loop: Header=BB438_13 Depth=1
	s_delay_alu instid0(SALU_CYCLE_1)
	s_or_b32 exec_lo, exec_lo, s22
.LBB438_504:                            ;   in Loop: Header=BB438_13 Depth=1
	s_delay_alu instid0(SALU_CYCLE_1) | instskip(NEXT) | instid1(VALU_DEP_1)
	s_or_b32 exec_lo, exec_lo, s21
	v_mul_f32_e32 v0, v91, v0
                                        ; implicit-def: $vgpr171
	s_delay_alu instid0(VALU_DEP_1) | instskip(NEXT) | instid1(VALU_DEP_1)
	v_and_b32_e32 v1, 0x7f800000, v0
	v_cmp_ne_u32_e64 s1, 0x7f800000, v1
	s_delay_alu instid0(VALU_DEP_1) | instskip(NEXT) | instid1(SALU_CYCLE_1)
	s_and_saveexec_b32 s21, s1
	s_xor_b32 s1, exec_lo, s21
; %bb.505:                              ;   in Loop: Header=BB438_13 Depth=1
	v_bfe_u32 v1, v0, 16, 1
	s_delay_alu instid0(VALU_DEP_1)
	v_add3_u32 v171, v0, v1, 0x7fff
                                        ; implicit-def: $vgpr0
; %bb.506:                              ;   in Loop: Header=BB438_13 Depth=1
	s_and_not1_saveexec_b32 s21, s1
; %bb.507:                              ;   in Loop: Header=BB438_13 Depth=1
	v_and_b32_e32 v1, 0xffff, v0
	v_or_b32_e32 v2, 0x10000, v0
	s_delay_alu instid0(VALU_DEP_2) | instskip(NEXT) | instid1(VALU_DEP_1)
	v_cmp_eq_u32_e64 s1, 0, v1
	v_cndmask_b32_e64 v171, v2, v0, s1
; %bb.508:                              ;   in Loop: Header=BB438_13 Depth=1
	s_or_b32 exec_lo, exec_lo, s21
	v_lshrrev_b16 v1, 8, v33
	v_mov_b32_e32 v0, 0
	s_mov_b32 s21, exec_lo
	s_delay_alu instid0(VALU_DEP_2)
	v_cmpx_ne_u16_e32 0, v1
	s_cbranch_execz .LBB438_516
; %bb.509:                              ;   in Loop: Header=BB438_13 Depth=1
	v_bfrev_b32_e32 v0, 1
	s_mov_b32 s22, exec_lo
	v_cmpx_ne_u16_e32 0x80, v1
	s_cbranch_execz .LBB438_515
; %bb.510:                              ;   in Loop: Header=BB438_13 Depth=1
	v_and_b32_e32 v2, 0xffff, v1
	v_mov_b32_e32 v0, 0x7f800001
	s_mov_b32 s23, exec_lo
	s_delay_alu instid0(VALU_DEP_2) | instskip(NEXT) | instid1(VALU_DEP_1)
	v_and_b32_e32 v1, 0x7f, v2
	v_cmpx_ne_u32_e32 0x7f, v1
	s_cbranch_execz .LBB438_514
; %bb.511:                              ;   in Loop: Header=BB438_13 Depth=1
	v_and_b32_e32 v19, 7, v2
	v_lshrrev_b32_e32 v0, 3, v1
	s_mov_b32 s24, exec_lo
	v_cmpx_gt_u32_e32 8, v1
; %bb.512:                              ;   in Loop: Header=BB438_13 Depth=1
	s_delay_alu instid0(VALU_DEP_3) | instskip(NEXT) | instid1(VALU_DEP_1)
	v_clz_i32_u32_e32 v0, v19
	v_min_u32_e32 v0, 32, v0
	s_delay_alu instid0(VALU_DEP_1) | instskip(SKIP_1) | instid1(VALU_DEP_2)
	v_subrev_nc_u32_e32 v1, 28, v0
	v_sub_nc_u32_e32 v0, 29, v0
	v_lshlrev_b64 v[1:2], v1, v[19:20]
	s_delay_alu instid0(VALU_DEP_1)
	v_and_b32_e32 v19, 7, v1
; %bb.513:                              ;   in Loop: Header=BB438_13 Depth=1
	s_or_b32 exec_lo, exec_lo, s24
	v_lshlrev_b32_e32 v1, 16, v33
	s_delay_alu instid0(VALU_DEP_2) | instskip(SKIP_1) | instid1(VALU_DEP_3)
	v_lshlrev_b32_e32 v2, 20, v19
	v_lshl_add_u32 v0, v0, 23, 0x3c000000
	v_and_b32_e32 v1, 0x80000000, v1
	s_delay_alu instid0(VALU_DEP_1)
	v_or3_b32 v0, v2, v1, v0
.LBB438_514:                            ;   in Loop: Header=BB438_13 Depth=1
	s_or_b32 exec_lo, exec_lo, s23
.LBB438_515:                            ;   in Loop: Header=BB438_13 Depth=1
	s_delay_alu instid0(SALU_CYCLE_1)
	s_or_b32 exec_lo, exec_lo, s22
.LBB438_516:                            ;   in Loop: Header=BB438_13 Depth=1
	s_delay_alu instid0(SALU_CYCLE_1) | instskip(NEXT) | instid1(VALU_DEP_1)
	s_or_b32 exec_lo, exec_lo, s21
	v_mul_f32_e32 v0, v91, v0
                                        ; implicit-def: $vgpr172
	s_delay_alu instid0(VALU_DEP_1) | instskip(NEXT) | instid1(VALU_DEP_1)
	v_and_b32_e32 v1, 0x7f800000, v0
	v_cmp_ne_u32_e64 s1, 0x7f800000, v1
	s_delay_alu instid0(VALU_DEP_1) | instskip(NEXT) | instid1(SALU_CYCLE_1)
	s_and_saveexec_b32 s21, s1
	s_xor_b32 s1, exec_lo, s21
; %bb.517:                              ;   in Loop: Header=BB438_13 Depth=1
	v_bfe_u32 v1, v0, 16, 1
	s_delay_alu instid0(VALU_DEP_1)
	v_add3_u32 v172, v0, v1, 0x7fff
                                        ; implicit-def: $vgpr0
; %bb.518:                              ;   in Loop: Header=BB438_13 Depth=1
	s_and_not1_saveexec_b32 s21, s1
; %bb.519:                              ;   in Loop: Header=BB438_13 Depth=1
	v_and_b32_e32 v1, 0xffff, v0
	v_or_b32_e32 v2, 0x10000, v0
	s_delay_alu instid0(VALU_DEP_2) | instskip(NEXT) | instid1(VALU_DEP_1)
	v_cmp_eq_u32_e64 s1, 0, v1
	v_cndmask_b32_e64 v172, v2, v0, s1
; %bb.520:                              ;   in Loop: Header=BB438_13 Depth=1
	s_or_b32 exec_lo, exec_lo, s21
	v_lshrrev_b32_e32 v0, 16, v33
	s_mov_b32 s21, exec_lo
	s_delay_alu instid0(VALU_DEP_1) | instskip(NEXT) | instid1(VALU_DEP_1)
	v_dual_mov_b32 v1, 0 :: v_dual_and_b32 v2, 0xff, v0
	v_cmpx_ne_u16_e32 0, v2
	s_cbranch_execz .LBB438_528
; %bb.521:                              ;   in Loop: Header=BB438_13 Depth=1
	v_bfrev_b32_e32 v1, 1
	s_mov_b32 s22, exec_lo
	v_cmpx_ne_u16_e32 0x80, v2
	s_cbranch_execz .LBB438_527
; %bb.522:                              ;   in Loop: Header=BB438_13 Depth=1
	v_bfe_u32 v2, v33, 16, 7
	v_mov_b32_e32 v1, 0x7f800001
	s_mov_b32 s23, exec_lo
	s_delay_alu instid0(VALU_DEP_2)
	v_cmpx_ne_u32_e32 0x7f, v2
	s_cbranch_execz .LBB438_526
; %bb.523:                              ;   in Loop: Header=BB438_13 Depth=1
	v_and_b32_e32 v19, 7, v0
	v_lshrrev_b32_e32 v1, 3, v2
	s_mov_b32 s24, exec_lo
	v_cmpx_gt_u32_e32 8, v2
; %bb.524:                              ;   in Loop: Header=BB438_13 Depth=1
	s_delay_alu instid0(VALU_DEP_3) | instskip(NEXT) | instid1(VALU_DEP_1)
	v_clz_i32_u32_e32 v1, v19
	v_min_u32_e32 v1, 32, v1
	s_delay_alu instid0(VALU_DEP_1) | instskip(SKIP_1) | instid1(VALU_DEP_2)
	v_subrev_nc_u32_e32 v2, 28, v1
	v_sub_nc_u32_e32 v1, 29, v1
	v_lshlrev_b64 v[2:3], v2, v[19:20]
	s_delay_alu instid0(VALU_DEP_1)
	v_and_b32_e32 v19, 7, v2
; %bb.525:                              ;   in Loop: Header=BB438_13 Depth=1
	s_or_b32 exec_lo, exec_lo, s24
	v_lshlrev_b32_e32 v0, 24, v0
	s_delay_alu instid0(VALU_DEP_2) | instskip(SKIP_1) | instid1(VALU_DEP_3)
	v_lshlrev_b32_e32 v2, 20, v19
	v_lshl_add_u32 v1, v1, 23, 0x3c000000
	v_and_b32_e32 v0, 0x80000000, v0
	s_delay_alu instid0(VALU_DEP_1)
	v_or3_b32 v1, v2, v0, v1
.LBB438_526:                            ;   in Loop: Header=BB438_13 Depth=1
	s_or_b32 exec_lo, exec_lo, s23
.LBB438_527:                            ;   in Loop: Header=BB438_13 Depth=1
	s_delay_alu instid0(SALU_CYCLE_1)
	s_or_b32 exec_lo, exec_lo, s22
.LBB438_528:                            ;   in Loop: Header=BB438_13 Depth=1
	s_delay_alu instid0(SALU_CYCLE_1) | instskip(NEXT) | instid1(VALU_DEP_1)
	s_or_b32 exec_lo, exec_lo, s21
	v_mul_f32_e32 v0, v91, v1
                                        ; implicit-def: $vgpr173
	s_delay_alu instid0(VALU_DEP_1) | instskip(NEXT) | instid1(VALU_DEP_1)
	v_and_b32_e32 v1, 0x7f800000, v0
	v_cmp_ne_u32_e64 s1, 0x7f800000, v1
	s_delay_alu instid0(VALU_DEP_1) | instskip(NEXT) | instid1(SALU_CYCLE_1)
	s_and_saveexec_b32 s21, s1
	s_xor_b32 s1, exec_lo, s21
; %bb.529:                              ;   in Loop: Header=BB438_13 Depth=1
	v_bfe_u32 v1, v0, 16, 1
	s_delay_alu instid0(VALU_DEP_1)
	v_add3_u32 v173, v0, v1, 0x7fff
                                        ; implicit-def: $vgpr0
; %bb.530:                              ;   in Loop: Header=BB438_13 Depth=1
	s_and_not1_saveexec_b32 s21, s1
; %bb.531:                              ;   in Loop: Header=BB438_13 Depth=1
	v_and_b32_e32 v1, 0xffff, v0
	v_or_b32_e32 v2, 0x10000, v0
	s_delay_alu instid0(VALU_DEP_2) | instskip(NEXT) | instid1(VALU_DEP_1)
	v_cmp_eq_u32_e64 s1, 0, v1
	v_cndmask_b32_e64 v173, v2, v0, s1
; %bb.532:                              ;   in Loop: Header=BB438_13 Depth=1
	s_or_b32 exec_lo, exec_lo, s21
	v_mov_b32_e32 v1, 0
	s_mov_b32 s21, exec_lo
	v_cmpx_lt_u32_e32 0xffffff, v33
	s_cbranch_execz .LBB438_540
; %bb.533:                              ;   in Loop: Header=BB438_13 Depth=1
	v_lshrrev_b32_e32 v0, 24, v33
	v_bfrev_b32_e32 v1, 1
	s_mov_b32 s22, exec_lo
	s_delay_alu instid0(VALU_DEP_2)
	v_cmpx_ne_u32_e32 0x80, v0
	s_cbranch_execz .LBB438_539
; %bb.534:                              ;   in Loop: Header=BB438_13 Depth=1
	v_bfe_u32 v2, v33, 24, 7
	v_mov_b32_e32 v1, 0x7f800001
	s_mov_b32 s23, exec_lo
	s_delay_alu instid0(VALU_DEP_2)
	v_cmpx_ne_u32_e32 0x7f, v2
	s_cbranch_execz .LBB438_538
; %bb.535:                              ;   in Loop: Header=BB438_13 Depth=1
	v_and_b32_e32 v19, 7, v0
	v_lshrrev_b32_e32 v1, 3, v2
	s_mov_b32 s24, exec_lo
	v_cmpx_gt_u32_e32 8, v2
; %bb.536:                              ;   in Loop: Header=BB438_13 Depth=1
	s_delay_alu instid0(VALU_DEP_3) | instskip(NEXT) | instid1(VALU_DEP_1)
	v_clz_i32_u32_e32 v1, v19
	v_min_u32_e32 v1, 32, v1
	s_delay_alu instid0(VALU_DEP_1) | instskip(SKIP_1) | instid1(VALU_DEP_2)
	v_subrev_nc_u32_e32 v2, 28, v1
	v_sub_nc_u32_e32 v1, 29, v1
	v_lshlrev_b64 v[2:3], v2, v[19:20]
	s_delay_alu instid0(VALU_DEP_1)
	v_and_b32_e32 v19, 7, v2
; %bb.537:                              ;   in Loop: Header=BB438_13 Depth=1
	s_or_b32 exec_lo, exec_lo, s24
	v_lshlrev_b32_e32 v0, 24, v0
	s_delay_alu instid0(VALU_DEP_2) | instskip(SKIP_1) | instid1(VALU_DEP_3)
	v_lshlrev_b32_e32 v2, 20, v19
	v_lshl_add_u32 v1, v1, 23, 0x3c000000
	v_and_b32_e32 v0, 0x80000000, v0
	s_delay_alu instid0(VALU_DEP_1)
	v_or3_b32 v1, v2, v0, v1
.LBB438_538:                            ;   in Loop: Header=BB438_13 Depth=1
	s_or_b32 exec_lo, exec_lo, s23
.LBB438_539:                            ;   in Loop: Header=BB438_13 Depth=1
	s_delay_alu instid0(SALU_CYCLE_1)
	s_or_b32 exec_lo, exec_lo, s22
.LBB438_540:                            ;   in Loop: Header=BB438_13 Depth=1
	s_delay_alu instid0(SALU_CYCLE_1) | instskip(NEXT) | instid1(VALU_DEP_1)
	s_or_b32 exec_lo, exec_lo, s21
	v_mul_f32_e32 v0, v91, v1
                                        ; implicit-def: $vgpr174
	s_delay_alu instid0(VALU_DEP_1) | instskip(NEXT) | instid1(VALU_DEP_1)
	v_and_b32_e32 v1, 0x7f800000, v0
	v_cmp_ne_u32_e64 s1, 0x7f800000, v1
	s_delay_alu instid0(VALU_DEP_1) | instskip(NEXT) | instid1(SALU_CYCLE_1)
	s_and_saveexec_b32 s21, s1
	s_xor_b32 s1, exec_lo, s21
; %bb.541:                              ;   in Loop: Header=BB438_13 Depth=1
	v_bfe_u32 v1, v0, 16, 1
	s_delay_alu instid0(VALU_DEP_1)
	v_add3_u32 v174, v0, v1, 0x7fff
                                        ; implicit-def: $vgpr0
; %bb.542:                              ;   in Loop: Header=BB438_13 Depth=1
	s_and_not1_saveexec_b32 s21, s1
; %bb.543:                              ;   in Loop: Header=BB438_13 Depth=1
	v_and_b32_e32 v1, 0xffff, v0
	v_or_b32_e32 v2, 0x10000, v0
	s_delay_alu instid0(VALU_DEP_2) | instskip(NEXT) | instid1(VALU_DEP_1)
	v_cmp_eq_u32_e64 s1, 0, v1
	v_cndmask_b32_e64 v174, v2, v0, s1
; %bb.544:                              ;   in Loop: Header=BB438_13 Depth=1
	s_or_b32 exec_lo, exec_lo, s21
	v_dual_mov_b32 v0, 0 :: v_dual_and_b32 v1, 0xff, v34
	v_mov_b32_e32 v19, v34
	s_mov_b32 s21, exec_lo
	s_delay_alu instid0(VALU_DEP_2)
	v_cmpx_ne_u16_e32 0, v1
	s_cbranch_execz .LBB438_552
; %bb.545:                              ;   in Loop: Header=BB438_13 Depth=1
	v_bfrev_b32_e32 v0, 1
	s_mov_b32 s22, exec_lo
	v_cmpx_ne_u16_e32 0x80, v1
	s_cbranch_execz .LBB438_551
; %bb.546:                              ;   in Loop: Header=BB438_13 Depth=1
	v_and_b32_e32 v1, 0x7f, v34
	v_mov_b32_e32 v0, 0x7f800001
	s_mov_b32 s23, exec_lo
	s_delay_alu instid0(VALU_DEP_2)
	v_cmpx_ne_u32_e32 0x7f, v1
	s_cbranch_execz .LBB438_550
; %bb.547:                              ;   in Loop: Header=BB438_13 Depth=1
	v_lshrrev_b32_e32 v0, 3, v1
	v_dual_mov_b32 v36, v20 :: v_dual_mov_b32 v35, v19
	s_mov_b32 s24, exec_lo
	v_cmpx_gt_u32_e32 8, v1
; %bb.548:                              ;   in Loop: Header=BB438_13 Depth=1
	v_and_b32_e32 v0, 7, v34
	s_delay_alu instid0(VALU_DEP_1) | instskip(NEXT) | instid1(VALU_DEP_1)
	v_clz_i32_u32_e32 v0, v0
	v_min_u32_e32 v0, 32, v0
	s_delay_alu instid0(VALU_DEP_1) | instskip(SKIP_1) | instid1(VALU_DEP_2)
	v_subrev_nc_u32_e32 v1, 28, v0
	v_sub_nc_u32_e32 v0, 29, v0
	v_lshlrev_b64 v[35:36], v1, v[19:20]
; %bb.549:                              ;   in Loop: Header=BB438_13 Depth=1
	s_or_b32 exec_lo, exec_lo, s24
	s_delay_alu instid0(VALU_DEP_1) | instskip(SKIP_2) | instid1(VALU_DEP_3)
	v_lshlrev_b32_e32 v1, 20, v35
	v_lshlrev_b32_e32 v2, 24, v19
	v_lshl_add_u32 v0, v0, 23, 0x3c000000
	v_and_b32_e32 v1, 0x700000, v1
	s_delay_alu instid0(VALU_DEP_3) | instskip(NEXT) | instid1(VALU_DEP_1)
	v_and_b32_e32 v2, 0x80000000, v2
	v_or3_b32 v0, v1, v2, v0
.LBB438_550:                            ;   in Loop: Header=BB438_13 Depth=1
	s_or_b32 exec_lo, exec_lo, s23
.LBB438_551:                            ;   in Loop: Header=BB438_13 Depth=1
	s_delay_alu instid0(SALU_CYCLE_1)
	s_or_b32 exec_lo, exec_lo, s22
.LBB438_552:                            ;   in Loop: Header=BB438_13 Depth=1
	s_delay_alu instid0(SALU_CYCLE_1) | instskip(NEXT) | instid1(VALU_DEP_1)
	s_or_b32 exec_lo, exec_lo, s21
	v_mul_f32_e32 v0, v91, v0
                                        ; implicit-def: $vgpr175
	s_delay_alu instid0(VALU_DEP_1) | instskip(NEXT) | instid1(VALU_DEP_1)
	v_and_b32_e32 v1, 0x7f800000, v0
	v_cmp_ne_u32_e64 s1, 0x7f800000, v1
	s_delay_alu instid0(VALU_DEP_1) | instskip(NEXT) | instid1(SALU_CYCLE_1)
	s_and_saveexec_b32 s21, s1
	s_xor_b32 s1, exec_lo, s21
; %bb.553:                              ;   in Loop: Header=BB438_13 Depth=1
	v_bfe_u32 v1, v0, 16, 1
	s_delay_alu instid0(VALU_DEP_1)
	v_add3_u32 v175, v0, v1, 0x7fff
                                        ; implicit-def: $vgpr0
; %bb.554:                              ;   in Loop: Header=BB438_13 Depth=1
	s_and_not1_saveexec_b32 s21, s1
; %bb.555:                              ;   in Loop: Header=BB438_13 Depth=1
	v_and_b32_e32 v1, 0xffff, v0
	v_or_b32_e32 v2, 0x10000, v0
	s_delay_alu instid0(VALU_DEP_2) | instskip(NEXT) | instid1(VALU_DEP_1)
	v_cmp_eq_u32_e64 s1, 0, v1
	v_cndmask_b32_e64 v175, v2, v0, s1
; %bb.556:                              ;   in Loop: Header=BB438_13 Depth=1
	s_or_b32 exec_lo, exec_lo, s21
	v_lshrrev_b16 v1, 8, v19
	v_mov_b32_e32 v0, 0
	s_mov_b32 s21, exec_lo
	s_delay_alu instid0(VALU_DEP_2)
	v_cmpx_ne_u16_e32 0, v1
	s_cbranch_execz .LBB438_564
; %bb.557:                              ;   in Loop: Header=BB438_13 Depth=1
	v_bfrev_b32_e32 v0, 1
	s_mov_b32 s22, exec_lo
	v_cmpx_ne_u16_e32 0x80, v1
	s_cbranch_execz .LBB438_563
; %bb.558:                              ;   in Loop: Header=BB438_13 Depth=1
	v_and_b32_e32 v2, 0xffff, v1
	v_mov_b32_e32 v0, 0x7f800001
	s_mov_b32 s23, exec_lo
	s_delay_alu instid0(VALU_DEP_2) | instskip(NEXT) | instid1(VALU_DEP_1)
	v_and_b32_e32 v1, 0x7f, v2
	v_cmpx_ne_u32_e32 0x7f, v1
	s_cbranch_execz .LBB438_562
; %bb.559:                              ;   in Loop: Header=BB438_13 Depth=1
	v_dual_mov_b32 v36, v20 :: v_dual_and_b32 v35, 7, v2
	v_lshrrev_b32_e32 v0, 3, v1
	s_mov_b32 s24, exec_lo
	v_cmpx_gt_u32_e32 8, v1
; %bb.560:                              ;   in Loop: Header=BB438_13 Depth=1
	s_delay_alu instid0(VALU_DEP_3) | instskip(NEXT) | instid1(VALU_DEP_1)
	v_clz_i32_u32_e32 v0, v35
	v_min_u32_e32 v0, 32, v0
	s_delay_alu instid0(VALU_DEP_1) | instskip(SKIP_1) | instid1(VALU_DEP_2)
	v_subrev_nc_u32_e32 v1, 28, v0
	v_sub_nc_u32_e32 v0, 29, v0
	v_lshlrev_b64 v[1:2], v1, v[35:36]
	s_delay_alu instid0(VALU_DEP_1)
	v_and_b32_e32 v35, 7, v1
; %bb.561:                              ;   in Loop: Header=BB438_13 Depth=1
	s_or_b32 exec_lo, exec_lo, s24
	v_lshlrev_b32_e32 v1, 16, v19
	s_delay_alu instid0(VALU_DEP_2) | instskip(SKIP_1) | instid1(VALU_DEP_3)
	v_lshlrev_b32_e32 v2, 20, v35
	v_lshl_add_u32 v0, v0, 23, 0x3c000000
	v_and_b32_e32 v1, 0x80000000, v1
	s_delay_alu instid0(VALU_DEP_1)
	v_or3_b32 v0, v2, v1, v0
.LBB438_562:                            ;   in Loop: Header=BB438_13 Depth=1
	s_or_b32 exec_lo, exec_lo, s23
.LBB438_563:                            ;   in Loop: Header=BB438_13 Depth=1
	s_delay_alu instid0(SALU_CYCLE_1)
	s_or_b32 exec_lo, exec_lo, s22
.LBB438_564:                            ;   in Loop: Header=BB438_13 Depth=1
	s_delay_alu instid0(SALU_CYCLE_1) | instskip(NEXT) | instid1(VALU_DEP_1)
	s_or_b32 exec_lo, exec_lo, s21
	v_mul_f32_e32 v0, v91, v0
                                        ; implicit-def: $vgpr184
	s_delay_alu instid0(VALU_DEP_1) | instskip(NEXT) | instid1(VALU_DEP_1)
	v_and_b32_e32 v1, 0x7f800000, v0
	v_cmp_ne_u32_e64 s1, 0x7f800000, v1
	s_delay_alu instid0(VALU_DEP_1) | instskip(NEXT) | instid1(SALU_CYCLE_1)
	s_and_saveexec_b32 s21, s1
	s_xor_b32 s1, exec_lo, s21
; %bb.565:                              ;   in Loop: Header=BB438_13 Depth=1
	v_bfe_u32 v1, v0, 16, 1
	s_delay_alu instid0(VALU_DEP_1)
	v_add3_u32 v184, v0, v1, 0x7fff
                                        ; implicit-def: $vgpr0
; %bb.566:                              ;   in Loop: Header=BB438_13 Depth=1
	s_and_not1_saveexec_b32 s21, s1
; %bb.567:                              ;   in Loop: Header=BB438_13 Depth=1
	v_and_b32_e32 v1, 0xffff, v0
	v_or_b32_e32 v2, 0x10000, v0
	s_delay_alu instid0(VALU_DEP_2) | instskip(NEXT) | instid1(VALU_DEP_1)
	v_cmp_eq_u32_e64 s1, 0, v1
	v_cndmask_b32_e64 v184, v2, v0, s1
; %bb.568:                              ;   in Loop: Header=BB438_13 Depth=1
	s_or_b32 exec_lo, exec_lo, s21
	v_lshrrev_b32_e32 v0, 16, v34
	s_mov_b32 s21, exec_lo
	s_delay_alu instid0(VALU_DEP_1) | instskip(NEXT) | instid1(VALU_DEP_1)
	v_dual_mov_b32 v1, 0 :: v_dual_and_b32 v2, 0xff, v0
	v_cmpx_ne_u16_e32 0, v2
	s_cbranch_execz .LBB438_576
; %bb.569:                              ;   in Loop: Header=BB438_13 Depth=1
	v_bfrev_b32_e32 v1, 1
	s_mov_b32 s22, exec_lo
	v_cmpx_ne_u16_e32 0x80, v2
	s_cbranch_execz .LBB438_575
; %bb.570:                              ;   in Loop: Header=BB438_13 Depth=1
	v_bfe_u32 v2, v34, 16, 7
	v_mov_b32_e32 v1, 0x7f800001
	s_mov_b32 s23, exec_lo
	s_delay_alu instid0(VALU_DEP_2)
	v_cmpx_ne_u32_e32 0x7f, v2
	s_cbranch_execz .LBB438_574
; %bb.571:                              ;   in Loop: Header=BB438_13 Depth=1
	v_and_b32_e32 v19, 7, v0
	v_lshrrev_b32_e32 v1, 3, v2
	s_mov_b32 s24, exec_lo
	v_cmpx_gt_u32_e32 8, v2
; %bb.572:                              ;   in Loop: Header=BB438_13 Depth=1
	s_delay_alu instid0(VALU_DEP_3) | instskip(NEXT) | instid1(VALU_DEP_1)
	v_clz_i32_u32_e32 v1, v19
	v_min_u32_e32 v1, 32, v1
	s_delay_alu instid0(VALU_DEP_1) | instskip(SKIP_1) | instid1(VALU_DEP_2)
	v_subrev_nc_u32_e32 v2, 28, v1
	v_sub_nc_u32_e32 v1, 29, v1
	v_lshlrev_b64 v[2:3], v2, v[19:20]
	s_delay_alu instid0(VALU_DEP_1)
	v_and_b32_e32 v19, 7, v2
; %bb.573:                              ;   in Loop: Header=BB438_13 Depth=1
	s_or_b32 exec_lo, exec_lo, s24
	v_lshlrev_b32_e32 v0, 24, v0
	s_delay_alu instid0(VALU_DEP_2) | instskip(SKIP_1) | instid1(VALU_DEP_3)
	v_lshlrev_b32_e32 v2, 20, v19
	v_lshl_add_u32 v1, v1, 23, 0x3c000000
	v_and_b32_e32 v0, 0x80000000, v0
	s_delay_alu instid0(VALU_DEP_1)
	v_or3_b32 v1, v2, v0, v1
.LBB438_574:                            ;   in Loop: Header=BB438_13 Depth=1
	s_or_b32 exec_lo, exec_lo, s23
.LBB438_575:                            ;   in Loop: Header=BB438_13 Depth=1
	s_delay_alu instid0(SALU_CYCLE_1)
	s_or_b32 exec_lo, exec_lo, s22
.LBB438_576:                            ;   in Loop: Header=BB438_13 Depth=1
	s_delay_alu instid0(SALU_CYCLE_1) | instskip(NEXT) | instid1(VALU_DEP_1)
	s_or_b32 exec_lo, exec_lo, s21
	v_mul_f32_e32 v0, v91, v1
                                        ; implicit-def: $vgpr185
	s_delay_alu instid0(VALU_DEP_1) | instskip(NEXT) | instid1(VALU_DEP_1)
	v_and_b32_e32 v1, 0x7f800000, v0
	v_cmp_ne_u32_e64 s1, 0x7f800000, v1
	s_delay_alu instid0(VALU_DEP_1) | instskip(NEXT) | instid1(SALU_CYCLE_1)
	s_and_saveexec_b32 s21, s1
	s_xor_b32 s1, exec_lo, s21
; %bb.577:                              ;   in Loop: Header=BB438_13 Depth=1
	v_bfe_u32 v1, v0, 16, 1
	s_delay_alu instid0(VALU_DEP_1)
	v_add3_u32 v185, v0, v1, 0x7fff
                                        ; implicit-def: $vgpr0
; %bb.578:                              ;   in Loop: Header=BB438_13 Depth=1
	s_and_not1_saveexec_b32 s21, s1
; %bb.579:                              ;   in Loop: Header=BB438_13 Depth=1
	v_and_b32_e32 v1, 0xffff, v0
	v_or_b32_e32 v2, 0x10000, v0
	s_delay_alu instid0(VALU_DEP_2) | instskip(NEXT) | instid1(VALU_DEP_1)
	v_cmp_eq_u32_e64 s1, 0, v1
	v_cndmask_b32_e64 v185, v2, v0, s1
; %bb.580:                              ;   in Loop: Header=BB438_13 Depth=1
	s_or_b32 exec_lo, exec_lo, s21
	v_mov_b32_e32 v1, 0
	s_mov_b32 s21, exec_lo
	v_cmpx_lt_u64_e64 s[16:17], v[33:34]
	s_cbranch_execz .LBB438_588
; %bb.581:                              ;   in Loop: Header=BB438_13 Depth=1
	v_lshrrev_b32_e32 v0, 24, v34
	v_bfrev_b32_e32 v1, 1
	s_mov_b32 s22, exec_lo
	s_delay_alu instid0(VALU_DEP_2)
	v_cmpx_ne_u32_e32 0x80, v0
	s_cbranch_execz .LBB438_587
; %bb.582:                              ;   in Loop: Header=BB438_13 Depth=1
	v_bfe_u32 v2, v34, 24, 7
	v_mov_b32_e32 v1, 0x7f800001
	s_mov_b32 s23, exec_lo
	s_delay_alu instid0(VALU_DEP_2)
	v_cmpx_ne_u32_e32 0x7f, v2
	s_cbranch_execz .LBB438_586
; %bb.583:                              ;   in Loop: Header=BB438_13 Depth=1
	v_and_b32_e32 v19, 7, v0
	v_lshrrev_b32_e32 v1, 3, v2
	s_mov_b32 s24, exec_lo
	v_cmpx_gt_u32_e32 8, v2
; %bb.584:                              ;   in Loop: Header=BB438_13 Depth=1
	s_delay_alu instid0(VALU_DEP_3) | instskip(NEXT) | instid1(VALU_DEP_1)
	v_clz_i32_u32_e32 v1, v19
	v_min_u32_e32 v1, 32, v1
	s_delay_alu instid0(VALU_DEP_1) | instskip(SKIP_1) | instid1(VALU_DEP_2)
	v_subrev_nc_u32_e32 v2, 28, v1
	v_sub_nc_u32_e32 v1, 29, v1
	v_lshlrev_b64 v[2:3], v2, v[19:20]
	s_delay_alu instid0(VALU_DEP_1)
	v_and_b32_e32 v19, 7, v2
; %bb.585:                              ;   in Loop: Header=BB438_13 Depth=1
	s_or_b32 exec_lo, exec_lo, s24
	v_lshlrev_b32_e32 v0, 24, v0
	s_delay_alu instid0(VALU_DEP_2) | instskip(SKIP_1) | instid1(VALU_DEP_3)
	v_lshlrev_b32_e32 v2, 20, v19
	v_lshl_add_u32 v1, v1, 23, 0x3c000000
	v_and_b32_e32 v0, 0x80000000, v0
	s_delay_alu instid0(VALU_DEP_1)
	v_or3_b32 v1, v2, v0, v1
.LBB438_586:                            ;   in Loop: Header=BB438_13 Depth=1
	s_or_b32 exec_lo, exec_lo, s23
.LBB438_587:                            ;   in Loop: Header=BB438_13 Depth=1
	s_delay_alu instid0(SALU_CYCLE_1)
	s_or_b32 exec_lo, exec_lo, s22
.LBB438_588:                            ;   in Loop: Header=BB438_13 Depth=1
	s_delay_alu instid0(SALU_CYCLE_1) | instskip(NEXT) | instid1(VALU_DEP_1)
	s_or_b32 exec_lo, exec_lo, s21
	v_mul_f32_e32 v0, v91, v1
                                        ; implicit-def: $vgpr186
	s_delay_alu instid0(VALU_DEP_1) | instskip(NEXT) | instid1(VALU_DEP_1)
	v_and_b32_e32 v1, 0x7f800000, v0
	v_cmp_ne_u32_e64 s1, 0x7f800000, v1
	s_delay_alu instid0(VALU_DEP_1) | instskip(NEXT) | instid1(SALU_CYCLE_1)
	s_and_saveexec_b32 s21, s1
	s_xor_b32 s1, exec_lo, s21
; %bb.589:                              ;   in Loop: Header=BB438_13 Depth=1
	v_bfe_u32 v1, v0, 16, 1
	s_delay_alu instid0(VALU_DEP_1)
	v_add3_u32 v186, v0, v1, 0x7fff
                                        ; implicit-def: $vgpr0
; %bb.590:                              ;   in Loop: Header=BB438_13 Depth=1
	s_and_not1_saveexec_b32 s21, s1
; %bb.591:                              ;   in Loop: Header=BB438_13 Depth=1
	v_and_b32_e32 v1, 0xffff, v0
	v_or_b32_e32 v2, 0x10000, v0
	s_delay_alu instid0(VALU_DEP_2) | instskip(NEXT) | instid1(VALU_DEP_1)
	v_cmp_eq_u32_e64 s1, 0, v1
	v_cndmask_b32_e64 v186, v2, v0, s1
; %bb.592:                              ;   in Loop: Header=BB438_13 Depth=1
	s_or_b32 exec_lo, exec_lo, s21
	flat_load_b64 v[33:34], v[31:32] offset:1536
	s_mov_b32 s21, exec_lo
	s_waitcnt vmcnt(0) lgkmcnt(0)
	v_dual_mov_b32 v0, 0 :: v_dual_and_b32 v1, 0xff, v33
	s_delay_alu instid0(VALU_DEP_1)
	v_cmpx_ne_u16_e32 0, v1
	s_cbranch_execz .LBB438_600
; %bb.593:                              ;   in Loop: Header=BB438_13 Depth=1
	v_bfrev_b32_e32 v0, 1
	s_mov_b32 s22, exec_lo
	v_cmpx_ne_u16_e32 0x80, v1
	s_cbranch_execz .LBB438_599
; %bb.594:                              ;   in Loop: Header=BB438_13 Depth=1
	v_and_b32_e32 v1, 0x7f, v33
	v_mov_b32_e32 v0, 0x7f800001
	s_mov_b32 s23, exec_lo
	s_delay_alu instid0(VALU_DEP_2)
	v_cmpx_ne_u32_e32 0x7f, v1
	s_cbranch_execz .LBB438_598
; %bb.595:                              ;   in Loop: Header=BB438_13 Depth=1
	v_lshrrev_b32_e32 v0, 3, v1
	v_dual_mov_b32 v36, v34 :: v_dual_mov_b32 v35, v33
	s_mov_b32 s24, exec_lo
	v_cmpx_gt_u32_e32 8, v1
; %bb.596:                              ;   in Loop: Header=BB438_13 Depth=1
	v_and_b32_e32 v0, 7, v33
	s_delay_alu instid0(VALU_DEP_1) | instskip(NEXT) | instid1(VALU_DEP_1)
	v_clz_i32_u32_e32 v0, v0
	v_min_u32_e32 v0, 32, v0
	s_delay_alu instid0(VALU_DEP_1) | instskip(SKIP_1) | instid1(VALU_DEP_2)
	v_subrev_nc_u32_e32 v1, 28, v0
	v_sub_nc_u32_e32 v0, 29, v0
	v_lshlrev_b64 v[35:36], v1, v[33:34]
; %bb.597:                              ;   in Loop: Header=BB438_13 Depth=1
	s_or_b32 exec_lo, exec_lo, s24
	s_delay_alu instid0(VALU_DEP_1) | instskip(SKIP_2) | instid1(VALU_DEP_3)
	v_lshlrev_b32_e32 v1, 20, v35
	v_lshlrev_b32_e32 v2, 24, v33
	v_lshl_add_u32 v0, v0, 23, 0x3c000000
	v_and_b32_e32 v1, 0x700000, v1
	s_delay_alu instid0(VALU_DEP_3) | instskip(NEXT) | instid1(VALU_DEP_1)
	v_and_b32_e32 v2, 0x80000000, v2
	v_or3_b32 v0, v1, v2, v0
.LBB438_598:                            ;   in Loop: Header=BB438_13 Depth=1
	s_or_b32 exec_lo, exec_lo, s23
.LBB438_599:                            ;   in Loop: Header=BB438_13 Depth=1
	s_delay_alu instid0(SALU_CYCLE_1)
	s_or_b32 exec_lo, exec_lo, s22
.LBB438_600:                            ;   in Loop: Header=BB438_13 Depth=1
	s_delay_alu instid0(SALU_CYCLE_1) | instskip(NEXT) | instid1(VALU_DEP_1)
	s_or_b32 exec_lo, exec_lo, s21
	v_mul_f32_e32 v0, v91, v0
                                        ; implicit-def: $vgpr187
	s_delay_alu instid0(VALU_DEP_1) | instskip(NEXT) | instid1(VALU_DEP_1)
	v_and_b32_e32 v1, 0x7f800000, v0
	v_cmp_ne_u32_e64 s1, 0x7f800000, v1
	s_delay_alu instid0(VALU_DEP_1) | instskip(NEXT) | instid1(SALU_CYCLE_1)
	s_and_saveexec_b32 s21, s1
	s_xor_b32 s1, exec_lo, s21
; %bb.601:                              ;   in Loop: Header=BB438_13 Depth=1
	v_bfe_u32 v1, v0, 16, 1
	s_delay_alu instid0(VALU_DEP_1)
	v_add3_u32 v187, v0, v1, 0x7fff
                                        ; implicit-def: $vgpr0
; %bb.602:                              ;   in Loop: Header=BB438_13 Depth=1
	s_and_not1_saveexec_b32 s21, s1
; %bb.603:                              ;   in Loop: Header=BB438_13 Depth=1
	v_and_b32_e32 v1, 0xffff, v0
	v_or_b32_e32 v2, 0x10000, v0
	s_delay_alu instid0(VALU_DEP_2) | instskip(NEXT) | instid1(VALU_DEP_1)
	v_cmp_eq_u32_e64 s1, 0, v1
	v_cndmask_b32_e64 v187, v2, v0, s1
; %bb.604:                              ;   in Loop: Header=BB438_13 Depth=1
	s_or_b32 exec_lo, exec_lo, s21
	v_lshrrev_b16 v1, 8, v33
	v_mov_b32_e32 v0, 0
	s_mov_b32 s21, exec_lo
	s_delay_alu instid0(VALU_DEP_2)
	v_cmpx_ne_u16_e32 0, v1
	s_cbranch_execz .LBB438_612
; %bb.605:                              ;   in Loop: Header=BB438_13 Depth=1
	v_bfrev_b32_e32 v0, 1
	s_mov_b32 s22, exec_lo
	v_cmpx_ne_u16_e32 0x80, v1
	s_cbranch_execz .LBB438_611
; %bb.606:                              ;   in Loop: Header=BB438_13 Depth=1
	v_and_b32_e32 v2, 0xffff, v1
	v_mov_b32_e32 v0, 0x7f800001
	s_mov_b32 s23, exec_lo
	s_delay_alu instid0(VALU_DEP_2) | instskip(NEXT) | instid1(VALU_DEP_1)
	v_and_b32_e32 v1, 0x7f, v2
	v_cmpx_ne_u32_e32 0x7f, v1
	s_cbranch_execz .LBB438_610
; %bb.607:                              ;   in Loop: Header=BB438_13 Depth=1
	v_and_b32_e32 v19, 7, v2
	v_lshrrev_b32_e32 v0, 3, v1
	s_mov_b32 s24, exec_lo
	v_cmpx_gt_u32_e32 8, v1
; %bb.608:                              ;   in Loop: Header=BB438_13 Depth=1
	s_delay_alu instid0(VALU_DEP_3) | instskip(NEXT) | instid1(VALU_DEP_1)
	v_clz_i32_u32_e32 v0, v19
	v_min_u32_e32 v0, 32, v0
	s_delay_alu instid0(VALU_DEP_1) | instskip(SKIP_1) | instid1(VALU_DEP_2)
	v_subrev_nc_u32_e32 v1, 28, v0
	v_sub_nc_u32_e32 v0, 29, v0
	v_lshlrev_b64 v[1:2], v1, v[19:20]
	s_delay_alu instid0(VALU_DEP_1)
	v_and_b32_e32 v19, 7, v1
; %bb.609:                              ;   in Loop: Header=BB438_13 Depth=1
	s_or_b32 exec_lo, exec_lo, s24
	v_lshlrev_b32_e32 v1, 16, v33
	s_delay_alu instid0(VALU_DEP_2) | instskip(SKIP_1) | instid1(VALU_DEP_3)
	v_lshlrev_b32_e32 v2, 20, v19
	v_lshl_add_u32 v0, v0, 23, 0x3c000000
	v_and_b32_e32 v1, 0x80000000, v1
	s_delay_alu instid0(VALU_DEP_1)
	v_or3_b32 v0, v2, v1, v0
.LBB438_610:                            ;   in Loop: Header=BB438_13 Depth=1
	s_or_b32 exec_lo, exec_lo, s23
.LBB438_611:                            ;   in Loop: Header=BB438_13 Depth=1
	s_delay_alu instid0(SALU_CYCLE_1)
	s_or_b32 exec_lo, exec_lo, s22
.LBB438_612:                            ;   in Loop: Header=BB438_13 Depth=1
	s_delay_alu instid0(SALU_CYCLE_1) | instskip(NEXT) | instid1(VALU_DEP_1)
	s_or_b32 exec_lo, exec_lo, s21
	v_mul_f32_e32 v0, v91, v0
                                        ; implicit-def: $vgpr188
	s_delay_alu instid0(VALU_DEP_1) | instskip(NEXT) | instid1(VALU_DEP_1)
	v_and_b32_e32 v1, 0x7f800000, v0
	v_cmp_ne_u32_e64 s1, 0x7f800000, v1
	s_delay_alu instid0(VALU_DEP_1) | instskip(NEXT) | instid1(SALU_CYCLE_1)
	s_and_saveexec_b32 s21, s1
	s_xor_b32 s1, exec_lo, s21
; %bb.613:                              ;   in Loop: Header=BB438_13 Depth=1
	v_bfe_u32 v1, v0, 16, 1
	s_delay_alu instid0(VALU_DEP_1)
	v_add3_u32 v188, v0, v1, 0x7fff
                                        ; implicit-def: $vgpr0
; %bb.614:                              ;   in Loop: Header=BB438_13 Depth=1
	s_and_not1_saveexec_b32 s21, s1
; %bb.615:                              ;   in Loop: Header=BB438_13 Depth=1
	v_and_b32_e32 v1, 0xffff, v0
	v_or_b32_e32 v2, 0x10000, v0
	s_delay_alu instid0(VALU_DEP_2) | instskip(NEXT) | instid1(VALU_DEP_1)
	v_cmp_eq_u32_e64 s1, 0, v1
	v_cndmask_b32_e64 v188, v2, v0, s1
; %bb.616:                              ;   in Loop: Header=BB438_13 Depth=1
	s_or_b32 exec_lo, exec_lo, s21
	v_lshrrev_b32_e32 v0, 16, v33
	s_mov_b32 s21, exec_lo
	s_delay_alu instid0(VALU_DEP_1) | instskip(NEXT) | instid1(VALU_DEP_1)
	v_dual_mov_b32 v1, 0 :: v_dual_and_b32 v2, 0xff, v0
	v_cmpx_ne_u16_e32 0, v2
	s_cbranch_execz .LBB438_624
; %bb.617:                              ;   in Loop: Header=BB438_13 Depth=1
	v_bfrev_b32_e32 v1, 1
	s_mov_b32 s22, exec_lo
	v_cmpx_ne_u16_e32 0x80, v2
	s_cbranch_execz .LBB438_623
; %bb.618:                              ;   in Loop: Header=BB438_13 Depth=1
	v_bfe_u32 v2, v33, 16, 7
	v_mov_b32_e32 v1, 0x7f800001
	s_mov_b32 s23, exec_lo
	s_delay_alu instid0(VALU_DEP_2)
	v_cmpx_ne_u32_e32 0x7f, v2
	s_cbranch_execz .LBB438_622
; %bb.619:                              ;   in Loop: Header=BB438_13 Depth=1
	v_and_b32_e32 v19, 7, v0
	v_lshrrev_b32_e32 v1, 3, v2
	s_mov_b32 s24, exec_lo
	v_cmpx_gt_u32_e32 8, v2
; %bb.620:                              ;   in Loop: Header=BB438_13 Depth=1
	s_delay_alu instid0(VALU_DEP_3) | instskip(NEXT) | instid1(VALU_DEP_1)
	v_clz_i32_u32_e32 v1, v19
	v_min_u32_e32 v1, 32, v1
	s_delay_alu instid0(VALU_DEP_1) | instskip(SKIP_1) | instid1(VALU_DEP_2)
	v_subrev_nc_u32_e32 v2, 28, v1
	v_sub_nc_u32_e32 v1, 29, v1
	v_lshlrev_b64 v[2:3], v2, v[19:20]
	s_delay_alu instid0(VALU_DEP_1)
	v_and_b32_e32 v19, 7, v2
; %bb.621:                              ;   in Loop: Header=BB438_13 Depth=1
	s_or_b32 exec_lo, exec_lo, s24
	v_lshlrev_b32_e32 v0, 24, v0
	s_delay_alu instid0(VALU_DEP_2) | instskip(SKIP_1) | instid1(VALU_DEP_3)
	v_lshlrev_b32_e32 v2, 20, v19
	v_lshl_add_u32 v1, v1, 23, 0x3c000000
	v_and_b32_e32 v0, 0x80000000, v0
	s_delay_alu instid0(VALU_DEP_1)
	v_or3_b32 v1, v2, v0, v1
.LBB438_622:                            ;   in Loop: Header=BB438_13 Depth=1
	s_or_b32 exec_lo, exec_lo, s23
.LBB438_623:                            ;   in Loop: Header=BB438_13 Depth=1
	s_delay_alu instid0(SALU_CYCLE_1)
	s_or_b32 exec_lo, exec_lo, s22
.LBB438_624:                            ;   in Loop: Header=BB438_13 Depth=1
	s_delay_alu instid0(SALU_CYCLE_1) | instskip(NEXT) | instid1(VALU_DEP_1)
	s_or_b32 exec_lo, exec_lo, s21
	v_mul_f32_e32 v0, v91, v1
                                        ; implicit-def: $vgpr189
	s_delay_alu instid0(VALU_DEP_1) | instskip(NEXT) | instid1(VALU_DEP_1)
	v_and_b32_e32 v1, 0x7f800000, v0
	v_cmp_ne_u32_e64 s1, 0x7f800000, v1
	s_delay_alu instid0(VALU_DEP_1) | instskip(NEXT) | instid1(SALU_CYCLE_1)
	s_and_saveexec_b32 s21, s1
	s_xor_b32 s1, exec_lo, s21
; %bb.625:                              ;   in Loop: Header=BB438_13 Depth=1
	v_bfe_u32 v1, v0, 16, 1
	s_delay_alu instid0(VALU_DEP_1)
	v_add3_u32 v189, v0, v1, 0x7fff
                                        ; implicit-def: $vgpr0
; %bb.626:                              ;   in Loop: Header=BB438_13 Depth=1
	s_and_not1_saveexec_b32 s21, s1
; %bb.627:                              ;   in Loop: Header=BB438_13 Depth=1
	v_and_b32_e32 v1, 0xffff, v0
	v_or_b32_e32 v2, 0x10000, v0
	s_delay_alu instid0(VALU_DEP_2) | instskip(NEXT) | instid1(VALU_DEP_1)
	v_cmp_eq_u32_e64 s1, 0, v1
	v_cndmask_b32_e64 v189, v2, v0, s1
; %bb.628:                              ;   in Loop: Header=BB438_13 Depth=1
	s_or_b32 exec_lo, exec_lo, s21
	v_mov_b32_e32 v1, 0
	s_mov_b32 s21, exec_lo
	v_cmpx_lt_u32_e32 0xffffff, v33
	s_cbranch_execz .LBB438_636
; %bb.629:                              ;   in Loop: Header=BB438_13 Depth=1
	v_lshrrev_b32_e32 v0, 24, v33
	v_bfrev_b32_e32 v1, 1
	s_mov_b32 s22, exec_lo
	s_delay_alu instid0(VALU_DEP_2)
	v_cmpx_ne_u32_e32 0x80, v0
	s_cbranch_execz .LBB438_635
; %bb.630:                              ;   in Loop: Header=BB438_13 Depth=1
	v_bfe_u32 v2, v33, 24, 7
	v_mov_b32_e32 v1, 0x7f800001
	s_mov_b32 s23, exec_lo
	s_delay_alu instid0(VALU_DEP_2)
	v_cmpx_ne_u32_e32 0x7f, v2
	s_cbranch_execz .LBB438_634
; %bb.631:                              ;   in Loop: Header=BB438_13 Depth=1
	v_and_b32_e32 v19, 7, v0
	v_lshrrev_b32_e32 v1, 3, v2
	s_mov_b32 s24, exec_lo
	v_cmpx_gt_u32_e32 8, v2
; %bb.632:                              ;   in Loop: Header=BB438_13 Depth=1
	s_delay_alu instid0(VALU_DEP_3) | instskip(NEXT) | instid1(VALU_DEP_1)
	v_clz_i32_u32_e32 v1, v19
	v_min_u32_e32 v1, 32, v1
	s_delay_alu instid0(VALU_DEP_1) | instskip(SKIP_1) | instid1(VALU_DEP_2)
	v_subrev_nc_u32_e32 v2, 28, v1
	v_sub_nc_u32_e32 v1, 29, v1
	v_lshlrev_b64 v[2:3], v2, v[19:20]
	s_delay_alu instid0(VALU_DEP_1)
	v_and_b32_e32 v19, 7, v2
; %bb.633:                              ;   in Loop: Header=BB438_13 Depth=1
	s_or_b32 exec_lo, exec_lo, s24
	v_lshlrev_b32_e32 v0, 24, v0
	s_delay_alu instid0(VALU_DEP_2) | instskip(SKIP_1) | instid1(VALU_DEP_3)
	v_lshlrev_b32_e32 v2, 20, v19
	v_lshl_add_u32 v1, v1, 23, 0x3c000000
	v_and_b32_e32 v0, 0x80000000, v0
	s_delay_alu instid0(VALU_DEP_1)
	v_or3_b32 v1, v2, v0, v1
.LBB438_634:                            ;   in Loop: Header=BB438_13 Depth=1
	s_or_b32 exec_lo, exec_lo, s23
.LBB438_635:                            ;   in Loop: Header=BB438_13 Depth=1
	s_delay_alu instid0(SALU_CYCLE_1)
	s_or_b32 exec_lo, exec_lo, s22
.LBB438_636:                            ;   in Loop: Header=BB438_13 Depth=1
	s_delay_alu instid0(SALU_CYCLE_1) | instskip(NEXT) | instid1(VALU_DEP_1)
	s_or_b32 exec_lo, exec_lo, s21
	v_mul_f32_e32 v0, v91, v1
                                        ; implicit-def: $vgpr190
	s_delay_alu instid0(VALU_DEP_1) | instskip(NEXT) | instid1(VALU_DEP_1)
	v_and_b32_e32 v1, 0x7f800000, v0
	v_cmp_ne_u32_e64 s1, 0x7f800000, v1
	s_delay_alu instid0(VALU_DEP_1) | instskip(NEXT) | instid1(SALU_CYCLE_1)
	s_and_saveexec_b32 s21, s1
	s_xor_b32 s1, exec_lo, s21
; %bb.637:                              ;   in Loop: Header=BB438_13 Depth=1
	v_bfe_u32 v1, v0, 16, 1
	s_delay_alu instid0(VALU_DEP_1)
	v_add3_u32 v190, v0, v1, 0x7fff
                                        ; implicit-def: $vgpr0
; %bb.638:                              ;   in Loop: Header=BB438_13 Depth=1
	s_and_not1_saveexec_b32 s21, s1
; %bb.639:                              ;   in Loop: Header=BB438_13 Depth=1
	v_and_b32_e32 v1, 0xffff, v0
	v_or_b32_e32 v2, 0x10000, v0
	s_delay_alu instid0(VALU_DEP_2) | instskip(NEXT) | instid1(VALU_DEP_1)
	v_cmp_eq_u32_e64 s1, 0, v1
	v_cndmask_b32_e64 v190, v2, v0, s1
; %bb.640:                              ;   in Loop: Header=BB438_13 Depth=1
	s_or_b32 exec_lo, exec_lo, s21
	v_dual_mov_b32 v0, 0 :: v_dual_and_b32 v1, 0xff, v34
	v_mov_b32_e32 v19, v34
	s_mov_b32 s21, exec_lo
	s_delay_alu instid0(VALU_DEP_2)
	v_cmpx_ne_u16_e32 0, v1
	s_cbranch_execz .LBB438_648
; %bb.641:                              ;   in Loop: Header=BB438_13 Depth=1
	v_bfrev_b32_e32 v0, 1
	s_mov_b32 s22, exec_lo
	v_cmpx_ne_u16_e32 0x80, v1
	s_cbranch_execz .LBB438_647
; %bb.642:                              ;   in Loop: Header=BB438_13 Depth=1
	v_and_b32_e32 v1, 0x7f, v34
	v_mov_b32_e32 v0, 0x7f800001
	s_mov_b32 s23, exec_lo
	s_delay_alu instid0(VALU_DEP_2)
	v_cmpx_ne_u32_e32 0x7f, v1
	s_cbranch_execz .LBB438_646
; %bb.643:                              ;   in Loop: Header=BB438_13 Depth=1
	v_lshrrev_b32_e32 v0, 3, v1
	v_dual_mov_b32 v36, v20 :: v_dual_mov_b32 v35, v19
	s_mov_b32 s24, exec_lo
	v_cmpx_gt_u32_e32 8, v1
; %bb.644:                              ;   in Loop: Header=BB438_13 Depth=1
	v_and_b32_e32 v0, 7, v34
	s_delay_alu instid0(VALU_DEP_1) | instskip(NEXT) | instid1(VALU_DEP_1)
	v_clz_i32_u32_e32 v0, v0
	v_min_u32_e32 v0, 32, v0
	s_delay_alu instid0(VALU_DEP_1) | instskip(SKIP_1) | instid1(VALU_DEP_2)
	v_subrev_nc_u32_e32 v1, 28, v0
	v_sub_nc_u32_e32 v0, 29, v0
	v_lshlrev_b64 v[35:36], v1, v[19:20]
; %bb.645:                              ;   in Loop: Header=BB438_13 Depth=1
	s_or_b32 exec_lo, exec_lo, s24
	s_delay_alu instid0(VALU_DEP_1) | instskip(SKIP_2) | instid1(VALU_DEP_3)
	v_lshlrev_b32_e32 v1, 20, v35
	v_lshlrev_b32_e32 v2, 24, v19
	v_lshl_add_u32 v0, v0, 23, 0x3c000000
	v_and_b32_e32 v1, 0x700000, v1
	s_delay_alu instid0(VALU_DEP_3) | instskip(NEXT) | instid1(VALU_DEP_1)
	v_and_b32_e32 v2, 0x80000000, v2
	v_or3_b32 v0, v1, v2, v0
.LBB438_646:                            ;   in Loop: Header=BB438_13 Depth=1
	s_or_b32 exec_lo, exec_lo, s23
.LBB438_647:                            ;   in Loop: Header=BB438_13 Depth=1
	s_delay_alu instid0(SALU_CYCLE_1)
	s_or_b32 exec_lo, exec_lo, s22
.LBB438_648:                            ;   in Loop: Header=BB438_13 Depth=1
	s_delay_alu instid0(SALU_CYCLE_1) | instskip(NEXT) | instid1(VALU_DEP_1)
	s_or_b32 exec_lo, exec_lo, s21
	v_mul_f32_e32 v0, v91, v0
                                        ; implicit-def: $vgpr191
	s_delay_alu instid0(VALU_DEP_1) | instskip(NEXT) | instid1(VALU_DEP_1)
	v_and_b32_e32 v1, 0x7f800000, v0
	v_cmp_ne_u32_e64 s1, 0x7f800000, v1
	s_delay_alu instid0(VALU_DEP_1) | instskip(NEXT) | instid1(SALU_CYCLE_1)
	s_and_saveexec_b32 s21, s1
	s_xor_b32 s1, exec_lo, s21
; %bb.649:                              ;   in Loop: Header=BB438_13 Depth=1
	v_bfe_u32 v1, v0, 16, 1
	s_delay_alu instid0(VALU_DEP_1)
	v_add3_u32 v191, v0, v1, 0x7fff
                                        ; implicit-def: $vgpr0
; %bb.650:                              ;   in Loop: Header=BB438_13 Depth=1
	s_and_not1_saveexec_b32 s21, s1
; %bb.651:                              ;   in Loop: Header=BB438_13 Depth=1
	v_and_b32_e32 v1, 0xffff, v0
	v_or_b32_e32 v2, 0x10000, v0
	s_delay_alu instid0(VALU_DEP_2) | instskip(NEXT) | instid1(VALU_DEP_1)
	v_cmp_eq_u32_e64 s1, 0, v1
	v_cndmask_b32_e64 v191, v2, v0, s1
; %bb.652:                              ;   in Loop: Header=BB438_13 Depth=1
	s_or_b32 exec_lo, exec_lo, s21
	v_lshrrev_b16 v1, 8, v19
	v_mov_b32_e32 v0, 0
	s_mov_b32 s21, exec_lo
	s_delay_alu instid0(VALU_DEP_2)
	v_cmpx_ne_u16_e32 0, v1
	s_cbranch_execz .LBB438_660
; %bb.653:                              ;   in Loop: Header=BB438_13 Depth=1
	v_bfrev_b32_e32 v0, 1
	s_mov_b32 s22, exec_lo
	v_cmpx_ne_u16_e32 0x80, v1
	s_cbranch_execz .LBB438_659
; %bb.654:                              ;   in Loop: Header=BB438_13 Depth=1
	v_and_b32_e32 v2, 0xffff, v1
	v_mov_b32_e32 v0, 0x7f800001
	s_mov_b32 s23, exec_lo
	s_delay_alu instid0(VALU_DEP_2) | instskip(NEXT) | instid1(VALU_DEP_1)
	v_and_b32_e32 v1, 0x7f, v2
	v_cmpx_ne_u32_e32 0x7f, v1
	s_cbranch_execz .LBB438_658
; %bb.655:                              ;   in Loop: Header=BB438_13 Depth=1
	v_dual_mov_b32 v36, v20 :: v_dual_and_b32 v35, 7, v2
	v_lshrrev_b32_e32 v0, 3, v1
	s_mov_b32 s24, exec_lo
	v_cmpx_gt_u32_e32 8, v1
; %bb.656:                              ;   in Loop: Header=BB438_13 Depth=1
	s_delay_alu instid0(VALU_DEP_3) | instskip(NEXT) | instid1(VALU_DEP_1)
	v_clz_i32_u32_e32 v0, v35
	v_min_u32_e32 v0, 32, v0
	s_delay_alu instid0(VALU_DEP_1) | instskip(SKIP_1) | instid1(VALU_DEP_2)
	v_subrev_nc_u32_e32 v1, 28, v0
	v_sub_nc_u32_e32 v0, 29, v0
	v_lshlrev_b64 v[1:2], v1, v[35:36]
	s_delay_alu instid0(VALU_DEP_1)
	v_and_b32_e32 v35, 7, v1
; %bb.657:                              ;   in Loop: Header=BB438_13 Depth=1
	s_or_b32 exec_lo, exec_lo, s24
	v_lshlrev_b32_e32 v1, 16, v19
	s_delay_alu instid0(VALU_DEP_2) | instskip(SKIP_1) | instid1(VALU_DEP_3)
	v_lshlrev_b32_e32 v2, 20, v35
	v_lshl_add_u32 v0, v0, 23, 0x3c000000
	v_and_b32_e32 v1, 0x80000000, v1
	s_delay_alu instid0(VALU_DEP_1)
	v_or3_b32 v0, v2, v1, v0
.LBB438_658:                            ;   in Loop: Header=BB438_13 Depth=1
	s_or_b32 exec_lo, exec_lo, s23
.LBB438_659:                            ;   in Loop: Header=BB438_13 Depth=1
	s_delay_alu instid0(SALU_CYCLE_1)
	s_or_b32 exec_lo, exec_lo, s22
.LBB438_660:                            ;   in Loop: Header=BB438_13 Depth=1
	s_delay_alu instid0(SALU_CYCLE_1) | instskip(NEXT) | instid1(VALU_DEP_1)
	s_or_b32 exec_lo, exec_lo, s21
	v_mul_f32_e32 v0, v91, v0
                                        ; implicit-def: $vgpr55
	s_delay_alu instid0(VALU_DEP_1) | instskip(NEXT) | instid1(VALU_DEP_1)
	v_and_b32_e32 v1, 0x7f800000, v0
	v_cmp_ne_u32_e64 s1, 0x7f800000, v1
	s_delay_alu instid0(VALU_DEP_1) | instskip(NEXT) | instid1(SALU_CYCLE_1)
	s_and_saveexec_b32 s21, s1
	s_xor_b32 s1, exec_lo, s21
; %bb.661:                              ;   in Loop: Header=BB438_13 Depth=1
	v_bfe_u32 v1, v0, 16, 1
	s_delay_alu instid0(VALU_DEP_1)
	v_add3_u32 v55, v0, v1, 0x7fff
                                        ; implicit-def: $vgpr0
; %bb.662:                              ;   in Loop: Header=BB438_13 Depth=1
	s_and_not1_saveexec_b32 s21, s1
; %bb.663:                              ;   in Loop: Header=BB438_13 Depth=1
	v_and_b32_e32 v1, 0xffff, v0
	v_or_b32_e32 v2, 0x10000, v0
	s_delay_alu instid0(VALU_DEP_2) | instskip(NEXT) | instid1(VALU_DEP_1)
	v_cmp_eq_u32_e64 s1, 0, v1
	v_cndmask_b32_e64 v55, v2, v0, s1
; %bb.664:                              ;   in Loop: Header=BB438_13 Depth=1
	s_or_b32 exec_lo, exec_lo, s21
	v_lshrrev_b32_e32 v0, 16, v34
	s_mov_b32 s21, exec_lo
	s_delay_alu instid0(VALU_DEP_1) | instskip(NEXT) | instid1(VALU_DEP_1)
	v_dual_mov_b32 v1, 0 :: v_dual_and_b32 v2, 0xff, v0
	v_cmpx_ne_u16_e32 0, v2
	s_cbranch_execz .LBB438_672
; %bb.665:                              ;   in Loop: Header=BB438_13 Depth=1
	v_bfrev_b32_e32 v1, 1
	s_mov_b32 s22, exec_lo
	v_cmpx_ne_u16_e32 0x80, v2
	s_cbranch_execz .LBB438_671
; %bb.666:                              ;   in Loop: Header=BB438_13 Depth=1
	v_bfe_u32 v2, v34, 16, 7
	v_mov_b32_e32 v1, 0x7f800001
	s_mov_b32 s23, exec_lo
	s_delay_alu instid0(VALU_DEP_2)
	v_cmpx_ne_u32_e32 0x7f, v2
	s_cbranch_execz .LBB438_670
; %bb.667:                              ;   in Loop: Header=BB438_13 Depth=1
	v_and_b32_e32 v19, 7, v0
	v_lshrrev_b32_e32 v1, 3, v2
	s_mov_b32 s24, exec_lo
	v_cmpx_gt_u32_e32 8, v2
; %bb.668:                              ;   in Loop: Header=BB438_13 Depth=1
	s_delay_alu instid0(VALU_DEP_3) | instskip(NEXT) | instid1(VALU_DEP_1)
	v_clz_i32_u32_e32 v1, v19
	v_min_u32_e32 v1, 32, v1
	s_delay_alu instid0(VALU_DEP_1) | instskip(SKIP_1) | instid1(VALU_DEP_2)
	v_subrev_nc_u32_e32 v2, 28, v1
	v_sub_nc_u32_e32 v1, 29, v1
	v_lshlrev_b64 v[2:3], v2, v[19:20]
	s_delay_alu instid0(VALU_DEP_1)
	v_and_b32_e32 v19, 7, v2
; %bb.669:                              ;   in Loop: Header=BB438_13 Depth=1
	s_or_b32 exec_lo, exec_lo, s24
	v_lshlrev_b32_e32 v0, 24, v0
	s_delay_alu instid0(VALU_DEP_2) | instskip(SKIP_1) | instid1(VALU_DEP_3)
	v_lshlrev_b32_e32 v2, 20, v19
	v_lshl_add_u32 v1, v1, 23, 0x3c000000
	v_and_b32_e32 v0, 0x80000000, v0
	s_delay_alu instid0(VALU_DEP_1)
	v_or3_b32 v1, v2, v0, v1
.LBB438_670:                            ;   in Loop: Header=BB438_13 Depth=1
	s_or_b32 exec_lo, exec_lo, s23
.LBB438_671:                            ;   in Loop: Header=BB438_13 Depth=1
	s_delay_alu instid0(SALU_CYCLE_1)
	s_or_b32 exec_lo, exec_lo, s22
.LBB438_672:                            ;   in Loop: Header=BB438_13 Depth=1
	s_delay_alu instid0(SALU_CYCLE_1) | instskip(NEXT) | instid1(VALU_DEP_1)
	s_or_b32 exec_lo, exec_lo, s21
	v_mul_f32_e32 v0, v91, v1
                                        ; implicit-def: $vgpr5
	s_delay_alu instid0(VALU_DEP_1) | instskip(NEXT) | instid1(VALU_DEP_1)
	v_and_b32_e32 v1, 0x7f800000, v0
	v_cmp_ne_u32_e64 s1, 0x7f800000, v1
	s_delay_alu instid0(VALU_DEP_1) | instskip(NEXT) | instid1(SALU_CYCLE_1)
	s_and_saveexec_b32 s21, s1
	s_xor_b32 s1, exec_lo, s21
; %bb.673:                              ;   in Loop: Header=BB438_13 Depth=1
	v_bfe_u32 v1, v0, 16, 1
	s_delay_alu instid0(VALU_DEP_1)
	v_add3_u32 v5, v0, v1, 0x7fff
                                        ; implicit-def: $vgpr0
; %bb.674:                              ;   in Loop: Header=BB438_13 Depth=1
	s_and_not1_saveexec_b32 s21, s1
; %bb.675:                              ;   in Loop: Header=BB438_13 Depth=1
	v_and_b32_e32 v1, 0xffff, v0
	v_or_b32_e32 v2, 0x10000, v0
	s_delay_alu instid0(VALU_DEP_2) | instskip(NEXT) | instid1(VALU_DEP_1)
	v_cmp_eq_u32_e64 s1, 0, v1
	v_cndmask_b32_e64 v5, v2, v0, s1
; %bb.676:                              ;   in Loop: Header=BB438_13 Depth=1
	s_or_b32 exec_lo, exec_lo, s21
	v_mov_b32_e32 v1, 0
	s_mov_b32 s21, exec_lo
	v_cmpx_lt_u64_e64 s[16:17], v[33:34]
	s_cbranch_execz .LBB438_684
; %bb.677:                              ;   in Loop: Header=BB438_13 Depth=1
	v_lshrrev_b32_e32 v0, 24, v34
	v_bfrev_b32_e32 v1, 1
	s_mov_b32 s22, exec_lo
	s_delay_alu instid0(VALU_DEP_2)
	v_cmpx_ne_u32_e32 0x80, v0
	s_cbranch_execz .LBB438_683
; %bb.678:                              ;   in Loop: Header=BB438_13 Depth=1
	v_bfe_u32 v2, v34, 24, 7
	v_mov_b32_e32 v1, 0x7f800001
	s_mov_b32 s23, exec_lo
	s_delay_alu instid0(VALU_DEP_2)
	v_cmpx_ne_u32_e32 0x7f, v2
	s_cbranch_execz .LBB438_682
; %bb.679:                              ;   in Loop: Header=BB438_13 Depth=1
	v_and_b32_e32 v19, 7, v0
	v_lshrrev_b32_e32 v1, 3, v2
	s_mov_b32 s24, exec_lo
	v_cmpx_gt_u32_e32 8, v2
; %bb.680:                              ;   in Loop: Header=BB438_13 Depth=1
	s_delay_alu instid0(VALU_DEP_3) | instskip(NEXT) | instid1(VALU_DEP_1)
	v_clz_i32_u32_e32 v1, v19
	v_min_u32_e32 v1, 32, v1
	s_delay_alu instid0(VALU_DEP_1) | instskip(SKIP_1) | instid1(VALU_DEP_2)
	v_subrev_nc_u32_e32 v2, 28, v1
	v_sub_nc_u32_e32 v1, 29, v1
	v_lshlrev_b64 v[2:3], v2, v[19:20]
	s_delay_alu instid0(VALU_DEP_1)
	v_and_b32_e32 v19, 7, v2
; %bb.681:                              ;   in Loop: Header=BB438_13 Depth=1
	s_or_b32 exec_lo, exec_lo, s24
	v_lshlrev_b32_e32 v0, 24, v0
	s_delay_alu instid0(VALU_DEP_2) | instskip(SKIP_1) | instid1(VALU_DEP_3)
	v_lshlrev_b32_e32 v2, 20, v19
	v_lshl_add_u32 v1, v1, 23, 0x3c000000
	v_and_b32_e32 v0, 0x80000000, v0
	s_delay_alu instid0(VALU_DEP_1)
	v_or3_b32 v1, v2, v0, v1
.LBB438_682:                            ;   in Loop: Header=BB438_13 Depth=1
	s_or_b32 exec_lo, exec_lo, s23
.LBB438_683:                            ;   in Loop: Header=BB438_13 Depth=1
	s_delay_alu instid0(SALU_CYCLE_1)
	s_or_b32 exec_lo, exec_lo, s22
.LBB438_684:                            ;   in Loop: Header=BB438_13 Depth=1
	s_delay_alu instid0(SALU_CYCLE_1) | instskip(NEXT) | instid1(VALU_DEP_1)
	s_or_b32 exec_lo, exec_lo, s21
	v_mul_f32_e32 v0, v91, v1
                                        ; implicit-def: $vgpr4
	s_delay_alu instid0(VALU_DEP_1) | instskip(NEXT) | instid1(VALU_DEP_1)
	v_and_b32_e32 v1, 0x7f800000, v0
	v_cmp_ne_u32_e64 s1, 0x7f800000, v1
	s_delay_alu instid0(VALU_DEP_1) | instskip(NEXT) | instid1(SALU_CYCLE_1)
	s_and_saveexec_b32 s21, s1
	s_xor_b32 s1, exec_lo, s21
; %bb.685:                              ;   in Loop: Header=BB438_13 Depth=1
	v_bfe_u32 v1, v0, 16, 1
	s_delay_alu instid0(VALU_DEP_1)
	v_add3_u32 v4, v0, v1, 0x7fff
                                        ; implicit-def: $vgpr0
; %bb.686:                              ;   in Loop: Header=BB438_13 Depth=1
	s_and_not1_saveexec_b32 s21, s1
; %bb.687:                              ;   in Loop: Header=BB438_13 Depth=1
	v_and_b32_e32 v1, 0xffff, v0
	v_or_b32_e32 v2, 0x10000, v0
	s_delay_alu instid0(VALU_DEP_2) | instskip(NEXT) | instid1(VALU_DEP_1)
	v_cmp_eq_u32_e64 s1, 0, v1
	v_cndmask_b32_e64 v4, v2, v0, s1
; %bb.688:                              ;   in Loop: Header=BB438_13 Depth=1
	s_or_b32 exec_lo, exec_lo, s21
	flat_load_b64 v[33:34], v[31:32] offset:1544
	s_mov_b32 s21, exec_lo
	s_waitcnt vmcnt(0) lgkmcnt(0)
	v_dual_mov_b32 v0, 0 :: v_dual_and_b32 v1, 0xff, v33
	s_delay_alu instid0(VALU_DEP_1)
	v_cmpx_ne_u16_e32 0, v1
	s_cbranch_execz .LBB438_696
; %bb.689:                              ;   in Loop: Header=BB438_13 Depth=1
	v_bfrev_b32_e32 v0, 1
	s_mov_b32 s22, exec_lo
	v_cmpx_ne_u16_e32 0x80, v1
	s_cbranch_execz .LBB438_695
; %bb.690:                              ;   in Loop: Header=BB438_13 Depth=1
	v_and_b32_e32 v1, 0x7f, v33
	v_mov_b32_e32 v0, 0x7f800001
	s_mov_b32 s23, exec_lo
	s_delay_alu instid0(VALU_DEP_2)
	v_cmpx_ne_u32_e32 0x7f, v1
	s_cbranch_execz .LBB438_694
; %bb.691:                              ;   in Loop: Header=BB438_13 Depth=1
	v_lshrrev_b32_e32 v0, 3, v1
	v_dual_mov_b32 v36, v34 :: v_dual_mov_b32 v35, v33
	s_mov_b32 s24, exec_lo
	v_cmpx_gt_u32_e32 8, v1
; %bb.692:                              ;   in Loop: Header=BB438_13 Depth=1
	v_and_b32_e32 v0, 7, v33
	s_delay_alu instid0(VALU_DEP_1) | instskip(NEXT) | instid1(VALU_DEP_1)
	v_clz_i32_u32_e32 v0, v0
	v_min_u32_e32 v0, 32, v0
	s_delay_alu instid0(VALU_DEP_1) | instskip(SKIP_1) | instid1(VALU_DEP_2)
	v_subrev_nc_u32_e32 v1, 28, v0
	v_sub_nc_u32_e32 v0, 29, v0
	v_lshlrev_b64 v[35:36], v1, v[33:34]
; %bb.693:                              ;   in Loop: Header=BB438_13 Depth=1
	s_or_b32 exec_lo, exec_lo, s24
	s_delay_alu instid0(VALU_DEP_1) | instskip(SKIP_2) | instid1(VALU_DEP_3)
	v_lshlrev_b32_e32 v1, 20, v35
	v_lshlrev_b32_e32 v2, 24, v33
	v_lshl_add_u32 v0, v0, 23, 0x3c000000
	v_and_b32_e32 v1, 0x700000, v1
	s_delay_alu instid0(VALU_DEP_3) | instskip(NEXT) | instid1(VALU_DEP_1)
	v_and_b32_e32 v2, 0x80000000, v2
	v_or3_b32 v0, v1, v2, v0
.LBB438_694:                            ;   in Loop: Header=BB438_13 Depth=1
	s_or_b32 exec_lo, exec_lo, s23
.LBB438_695:                            ;   in Loop: Header=BB438_13 Depth=1
	s_delay_alu instid0(SALU_CYCLE_1)
	s_or_b32 exec_lo, exec_lo, s22
.LBB438_696:                            ;   in Loop: Header=BB438_13 Depth=1
	s_delay_alu instid0(SALU_CYCLE_1) | instskip(NEXT) | instid1(VALU_DEP_1)
	s_or_b32 exec_lo, exec_lo, s21
	v_mul_f32_e32 v0, v91, v0
                                        ; implicit-def: $vgpr64
	s_delay_alu instid0(VALU_DEP_1) | instskip(NEXT) | instid1(VALU_DEP_1)
	v_and_b32_e32 v1, 0x7f800000, v0
	v_cmp_ne_u32_e64 s1, 0x7f800000, v1
	s_delay_alu instid0(VALU_DEP_1) | instskip(NEXT) | instid1(SALU_CYCLE_1)
	s_and_saveexec_b32 s21, s1
	s_xor_b32 s1, exec_lo, s21
; %bb.697:                              ;   in Loop: Header=BB438_13 Depth=1
	v_bfe_u32 v1, v0, 16, 1
	s_delay_alu instid0(VALU_DEP_1)
	v_add3_u32 v64, v0, v1, 0x7fff
                                        ; implicit-def: $vgpr0
; %bb.698:                              ;   in Loop: Header=BB438_13 Depth=1
	s_and_not1_saveexec_b32 s21, s1
; %bb.699:                              ;   in Loop: Header=BB438_13 Depth=1
	v_and_b32_e32 v1, 0xffff, v0
	v_or_b32_e32 v2, 0x10000, v0
	s_delay_alu instid0(VALU_DEP_2) | instskip(NEXT) | instid1(VALU_DEP_1)
	v_cmp_eq_u32_e64 s1, 0, v1
	v_cndmask_b32_e64 v64, v2, v0, s1
; %bb.700:                              ;   in Loop: Header=BB438_13 Depth=1
	s_or_b32 exec_lo, exec_lo, s21
	v_lshrrev_b16 v1, 8, v33
	v_mov_b32_e32 v0, 0
	s_mov_b32 s21, exec_lo
	s_delay_alu instid0(VALU_DEP_2)
	v_cmpx_ne_u16_e32 0, v1
	s_cbranch_execz .LBB438_708
; %bb.701:                              ;   in Loop: Header=BB438_13 Depth=1
	v_bfrev_b32_e32 v0, 1
	s_mov_b32 s22, exec_lo
	v_cmpx_ne_u16_e32 0x80, v1
	s_cbranch_execz .LBB438_707
; %bb.702:                              ;   in Loop: Header=BB438_13 Depth=1
	v_and_b32_e32 v2, 0xffff, v1
	v_mov_b32_e32 v0, 0x7f800001
	s_mov_b32 s23, exec_lo
	s_delay_alu instid0(VALU_DEP_2) | instskip(NEXT) | instid1(VALU_DEP_1)
	v_and_b32_e32 v1, 0x7f, v2
	v_cmpx_ne_u32_e32 0x7f, v1
	s_cbranch_execz .LBB438_706
; %bb.703:                              ;   in Loop: Header=BB438_13 Depth=1
	v_and_b32_e32 v19, 7, v2
	v_lshrrev_b32_e32 v0, 3, v1
	s_mov_b32 s24, exec_lo
	v_cmpx_gt_u32_e32 8, v1
; %bb.704:                              ;   in Loop: Header=BB438_13 Depth=1
	s_delay_alu instid0(VALU_DEP_3) | instskip(NEXT) | instid1(VALU_DEP_1)
	v_clz_i32_u32_e32 v0, v19
	v_min_u32_e32 v0, 32, v0
	s_delay_alu instid0(VALU_DEP_1) | instskip(SKIP_1) | instid1(VALU_DEP_2)
	v_subrev_nc_u32_e32 v1, 28, v0
	v_sub_nc_u32_e32 v0, 29, v0
	v_lshlrev_b64 v[1:2], v1, v[19:20]
	s_delay_alu instid0(VALU_DEP_1)
	v_and_b32_e32 v19, 7, v1
; %bb.705:                              ;   in Loop: Header=BB438_13 Depth=1
	s_or_b32 exec_lo, exec_lo, s24
	v_lshlrev_b32_e32 v1, 16, v33
	s_delay_alu instid0(VALU_DEP_2) | instskip(SKIP_1) | instid1(VALU_DEP_3)
	v_lshlrev_b32_e32 v2, 20, v19
	v_lshl_add_u32 v0, v0, 23, 0x3c000000
	v_and_b32_e32 v1, 0x80000000, v1
	s_delay_alu instid0(VALU_DEP_1)
	v_or3_b32 v0, v2, v1, v0
.LBB438_706:                            ;   in Loop: Header=BB438_13 Depth=1
	s_or_b32 exec_lo, exec_lo, s23
.LBB438_707:                            ;   in Loop: Header=BB438_13 Depth=1
	s_delay_alu instid0(SALU_CYCLE_1)
	s_or_b32 exec_lo, exec_lo, s22
.LBB438_708:                            ;   in Loop: Header=BB438_13 Depth=1
	s_delay_alu instid0(SALU_CYCLE_1) | instskip(NEXT) | instid1(VALU_DEP_1)
	s_or_b32 exec_lo, exec_lo, s21
	v_mul_f32_e32 v0, v91, v0
                                        ; implicit-def: $vgpr54
	s_delay_alu instid0(VALU_DEP_1) | instskip(NEXT) | instid1(VALU_DEP_1)
	v_and_b32_e32 v1, 0x7f800000, v0
	v_cmp_ne_u32_e64 s1, 0x7f800000, v1
	s_delay_alu instid0(VALU_DEP_1) | instskip(NEXT) | instid1(SALU_CYCLE_1)
	s_and_saveexec_b32 s21, s1
	s_xor_b32 s1, exec_lo, s21
; %bb.709:                              ;   in Loop: Header=BB438_13 Depth=1
	v_bfe_u32 v1, v0, 16, 1
	s_delay_alu instid0(VALU_DEP_1)
	v_add3_u32 v54, v0, v1, 0x7fff
                                        ; implicit-def: $vgpr0
; %bb.710:                              ;   in Loop: Header=BB438_13 Depth=1
	s_and_not1_saveexec_b32 s21, s1
; %bb.711:                              ;   in Loop: Header=BB438_13 Depth=1
	v_and_b32_e32 v1, 0xffff, v0
	v_or_b32_e32 v2, 0x10000, v0
	s_delay_alu instid0(VALU_DEP_2) | instskip(NEXT) | instid1(VALU_DEP_1)
	v_cmp_eq_u32_e64 s1, 0, v1
	v_cndmask_b32_e64 v54, v2, v0, s1
; %bb.712:                              ;   in Loop: Header=BB438_13 Depth=1
	s_or_b32 exec_lo, exec_lo, s21
	v_lshrrev_b32_e32 v0, 16, v33
	s_mov_b32 s21, exec_lo
	s_delay_alu instid0(VALU_DEP_1) | instskip(NEXT) | instid1(VALU_DEP_1)
	v_dual_mov_b32 v1, 0 :: v_dual_and_b32 v2, 0xff, v0
	v_cmpx_ne_u16_e32 0, v2
	s_cbranch_execz .LBB438_720
; %bb.713:                              ;   in Loop: Header=BB438_13 Depth=1
	v_bfrev_b32_e32 v1, 1
	s_mov_b32 s22, exec_lo
	v_cmpx_ne_u16_e32 0x80, v2
	s_cbranch_execz .LBB438_719
; %bb.714:                              ;   in Loop: Header=BB438_13 Depth=1
	v_bfe_u32 v2, v33, 16, 7
	v_mov_b32_e32 v1, 0x7f800001
	s_mov_b32 s23, exec_lo
	s_delay_alu instid0(VALU_DEP_2)
	v_cmpx_ne_u32_e32 0x7f, v2
	s_cbranch_execz .LBB438_718
; %bb.715:                              ;   in Loop: Header=BB438_13 Depth=1
	v_and_b32_e32 v19, 7, v0
	v_lshrrev_b32_e32 v1, 3, v2
	s_mov_b32 s24, exec_lo
	v_cmpx_gt_u32_e32 8, v2
; %bb.716:                              ;   in Loop: Header=BB438_13 Depth=1
	s_delay_alu instid0(VALU_DEP_3) | instskip(NEXT) | instid1(VALU_DEP_1)
	v_clz_i32_u32_e32 v1, v19
	v_min_u32_e32 v1, 32, v1
	s_delay_alu instid0(VALU_DEP_1) | instskip(SKIP_1) | instid1(VALU_DEP_2)
	v_subrev_nc_u32_e32 v2, 28, v1
	v_sub_nc_u32_e32 v1, 29, v1
	v_lshlrev_b64 v[2:3], v2, v[19:20]
	s_delay_alu instid0(VALU_DEP_1)
	v_and_b32_e32 v19, 7, v2
; %bb.717:                              ;   in Loop: Header=BB438_13 Depth=1
	s_or_b32 exec_lo, exec_lo, s24
	v_lshlrev_b32_e32 v0, 24, v0
	s_delay_alu instid0(VALU_DEP_2) | instskip(SKIP_1) | instid1(VALU_DEP_3)
	v_lshlrev_b32_e32 v2, 20, v19
	v_lshl_add_u32 v1, v1, 23, 0x3c000000
	v_and_b32_e32 v0, 0x80000000, v0
	s_delay_alu instid0(VALU_DEP_1)
	v_or3_b32 v1, v2, v0, v1
.LBB438_718:                            ;   in Loop: Header=BB438_13 Depth=1
	s_or_b32 exec_lo, exec_lo, s23
.LBB438_719:                            ;   in Loop: Header=BB438_13 Depth=1
	s_delay_alu instid0(SALU_CYCLE_1)
	s_or_b32 exec_lo, exec_lo, s22
.LBB438_720:                            ;   in Loop: Header=BB438_13 Depth=1
	s_delay_alu instid0(SALU_CYCLE_1) | instskip(NEXT) | instid1(VALU_DEP_1)
	s_or_b32 exec_lo, exec_lo, s21
	v_mul_f32_e32 v0, v91, v1
                                        ; implicit-def: $vgpr65
	s_delay_alu instid0(VALU_DEP_1) | instskip(NEXT) | instid1(VALU_DEP_1)
	v_and_b32_e32 v1, 0x7f800000, v0
	v_cmp_ne_u32_e64 s1, 0x7f800000, v1
	s_delay_alu instid0(VALU_DEP_1) | instskip(NEXT) | instid1(SALU_CYCLE_1)
	s_and_saveexec_b32 s21, s1
	s_xor_b32 s1, exec_lo, s21
; %bb.721:                              ;   in Loop: Header=BB438_13 Depth=1
	v_bfe_u32 v1, v0, 16, 1
	s_delay_alu instid0(VALU_DEP_1)
	v_add3_u32 v65, v0, v1, 0x7fff
                                        ; implicit-def: $vgpr0
; %bb.722:                              ;   in Loop: Header=BB438_13 Depth=1
	s_and_not1_saveexec_b32 s21, s1
; %bb.723:                              ;   in Loop: Header=BB438_13 Depth=1
	v_and_b32_e32 v1, 0xffff, v0
	v_or_b32_e32 v2, 0x10000, v0
	s_delay_alu instid0(VALU_DEP_2) | instskip(NEXT) | instid1(VALU_DEP_1)
	v_cmp_eq_u32_e64 s1, 0, v1
	v_cndmask_b32_e64 v65, v2, v0, s1
; %bb.724:                              ;   in Loop: Header=BB438_13 Depth=1
	s_or_b32 exec_lo, exec_lo, s21
	v_mov_b32_e32 v1, 0
	s_mov_b32 s21, exec_lo
	v_cmpx_lt_u32_e32 0xffffff, v33
	s_cbranch_execz .LBB438_732
; %bb.725:                              ;   in Loop: Header=BB438_13 Depth=1
	v_lshrrev_b32_e32 v0, 24, v33
	v_bfrev_b32_e32 v1, 1
	s_mov_b32 s22, exec_lo
	s_delay_alu instid0(VALU_DEP_2)
	v_cmpx_ne_u32_e32 0x80, v0
	s_cbranch_execz .LBB438_731
; %bb.726:                              ;   in Loop: Header=BB438_13 Depth=1
	v_bfe_u32 v2, v33, 24, 7
	v_mov_b32_e32 v1, 0x7f800001
	s_mov_b32 s23, exec_lo
	s_delay_alu instid0(VALU_DEP_2)
	v_cmpx_ne_u32_e32 0x7f, v2
	s_cbranch_execz .LBB438_730
; %bb.727:                              ;   in Loop: Header=BB438_13 Depth=1
	v_and_b32_e32 v19, 7, v0
	v_lshrrev_b32_e32 v1, 3, v2
	s_mov_b32 s24, exec_lo
	v_cmpx_gt_u32_e32 8, v2
; %bb.728:                              ;   in Loop: Header=BB438_13 Depth=1
	s_delay_alu instid0(VALU_DEP_3) | instskip(NEXT) | instid1(VALU_DEP_1)
	v_clz_i32_u32_e32 v1, v19
	v_min_u32_e32 v1, 32, v1
	s_delay_alu instid0(VALU_DEP_1) | instskip(SKIP_1) | instid1(VALU_DEP_2)
	v_subrev_nc_u32_e32 v2, 28, v1
	v_sub_nc_u32_e32 v1, 29, v1
	v_lshlrev_b64 v[2:3], v2, v[19:20]
	s_delay_alu instid0(VALU_DEP_1)
	v_and_b32_e32 v19, 7, v2
; %bb.729:                              ;   in Loop: Header=BB438_13 Depth=1
	s_or_b32 exec_lo, exec_lo, s24
	v_lshlrev_b32_e32 v0, 24, v0
	s_delay_alu instid0(VALU_DEP_2) | instskip(SKIP_1) | instid1(VALU_DEP_3)
	v_lshlrev_b32_e32 v2, 20, v19
	v_lshl_add_u32 v1, v1, 23, 0x3c000000
	v_and_b32_e32 v0, 0x80000000, v0
	s_delay_alu instid0(VALU_DEP_1)
	v_or3_b32 v1, v2, v0, v1
.LBB438_730:                            ;   in Loop: Header=BB438_13 Depth=1
	s_or_b32 exec_lo, exec_lo, s23
.LBB438_731:                            ;   in Loop: Header=BB438_13 Depth=1
	s_delay_alu instid0(SALU_CYCLE_1)
	s_or_b32 exec_lo, exec_lo, s22
.LBB438_732:                            ;   in Loop: Header=BB438_13 Depth=1
	s_delay_alu instid0(SALU_CYCLE_1) | instskip(NEXT) | instid1(VALU_DEP_1)
	s_or_b32 exec_lo, exec_lo, s21
	v_mul_f32_e32 v0, v91, v1
                                        ; implicit-def: $vgpr39
	s_delay_alu instid0(VALU_DEP_1) | instskip(NEXT) | instid1(VALU_DEP_1)
	v_and_b32_e32 v1, 0x7f800000, v0
	v_cmp_ne_u32_e64 s1, 0x7f800000, v1
	s_delay_alu instid0(VALU_DEP_1) | instskip(NEXT) | instid1(SALU_CYCLE_1)
	s_and_saveexec_b32 s21, s1
	s_xor_b32 s1, exec_lo, s21
; %bb.733:                              ;   in Loop: Header=BB438_13 Depth=1
	v_bfe_u32 v1, v0, 16, 1
	s_delay_alu instid0(VALU_DEP_1)
	v_add3_u32 v39, v0, v1, 0x7fff
                                        ; implicit-def: $vgpr0
; %bb.734:                              ;   in Loop: Header=BB438_13 Depth=1
	s_and_not1_saveexec_b32 s21, s1
; %bb.735:                              ;   in Loop: Header=BB438_13 Depth=1
	v_and_b32_e32 v1, 0xffff, v0
	v_or_b32_e32 v2, 0x10000, v0
	s_delay_alu instid0(VALU_DEP_2) | instskip(NEXT) | instid1(VALU_DEP_1)
	v_cmp_eq_u32_e64 s1, 0, v1
	v_cndmask_b32_e64 v39, v2, v0, s1
; %bb.736:                              ;   in Loop: Header=BB438_13 Depth=1
	s_or_b32 exec_lo, exec_lo, s21
	v_dual_mov_b32 v0, 0 :: v_dual_and_b32 v1, 0xff, v34
	v_mov_b32_e32 v19, v34
	s_mov_b32 s21, exec_lo
	s_delay_alu instid0(VALU_DEP_2)
	v_cmpx_ne_u16_e32 0, v1
	s_cbranch_execz .LBB438_744
; %bb.737:                              ;   in Loop: Header=BB438_13 Depth=1
	v_bfrev_b32_e32 v0, 1
	s_mov_b32 s22, exec_lo
	v_cmpx_ne_u16_e32 0x80, v1
	s_cbranch_execz .LBB438_743
; %bb.738:                              ;   in Loop: Header=BB438_13 Depth=1
	v_and_b32_e32 v1, 0x7f, v34
	v_mov_b32_e32 v0, 0x7f800001
	s_mov_b32 s23, exec_lo
	s_delay_alu instid0(VALU_DEP_2)
	v_cmpx_ne_u32_e32 0x7f, v1
	s_cbranch_execz .LBB438_742
; %bb.739:                              ;   in Loop: Header=BB438_13 Depth=1
	v_lshrrev_b32_e32 v0, 3, v1
	v_dual_mov_b32 v36, v20 :: v_dual_mov_b32 v35, v19
	s_mov_b32 s24, exec_lo
	v_cmpx_gt_u32_e32 8, v1
; %bb.740:                              ;   in Loop: Header=BB438_13 Depth=1
	v_and_b32_e32 v0, 7, v34
	s_delay_alu instid0(VALU_DEP_1) | instskip(NEXT) | instid1(VALU_DEP_1)
	v_clz_i32_u32_e32 v0, v0
	v_min_u32_e32 v0, 32, v0
	s_delay_alu instid0(VALU_DEP_1) | instskip(SKIP_1) | instid1(VALU_DEP_2)
	v_subrev_nc_u32_e32 v1, 28, v0
	v_sub_nc_u32_e32 v0, 29, v0
	v_lshlrev_b64 v[35:36], v1, v[19:20]
; %bb.741:                              ;   in Loop: Header=BB438_13 Depth=1
	s_or_b32 exec_lo, exec_lo, s24
	s_delay_alu instid0(VALU_DEP_1) | instskip(SKIP_2) | instid1(VALU_DEP_3)
	v_lshlrev_b32_e32 v1, 20, v35
	v_lshlrev_b32_e32 v2, 24, v19
	v_lshl_add_u32 v0, v0, 23, 0x3c000000
	v_and_b32_e32 v1, 0x700000, v1
	s_delay_alu instid0(VALU_DEP_3) | instskip(NEXT) | instid1(VALU_DEP_1)
	v_and_b32_e32 v2, 0x80000000, v2
	v_or3_b32 v0, v1, v2, v0
.LBB438_742:                            ;   in Loop: Header=BB438_13 Depth=1
	s_or_b32 exec_lo, exec_lo, s23
.LBB438_743:                            ;   in Loop: Header=BB438_13 Depth=1
	s_delay_alu instid0(SALU_CYCLE_1)
	s_or_b32 exec_lo, exec_lo, s22
.LBB438_744:                            ;   in Loop: Header=BB438_13 Depth=1
	s_delay_alu instid0(SALU_CYCLE_1) | instskip(NEXT) | instid1(VALU_DEP_1)
	s_or_b32 exec_lo, exec_lo, s21
	v_mul_f32_e32 v0, v91, v0
                                        ; implicit-def: $vgpr6
	s_delay_alu instid0(VALU_DEP_1) | instskip(NEXT) | instid1(VALU_DEP_1)
	v_and_b32_e32 v1, 0x7f800000, v0
	v_cmp_ne_u32_e64 s1, 0x7f800000, v1
	s_delay_alu instid0(VALU_DEP_1) | instskip(NEXT) | instid1(SALU_CYCLE_1)
	s_and_saveexec_b32 s21, s1
	s_xor_b32 s1, exec_lo, s21
; %bb.745:                              ;   in Loop: Header=BB438_13 Depth=1
	v_bfe_u32 v1, v0, 16, 1
	s_delay_alu instid0(VALU_DEP_1)
	v_add3_u32 v6, v0, v1, 0x7fff
                                        ; implicit-def: $vgpr0
; %bb.746:                              ;   in Loop: Header=BB438_13 Depth=1
	s_and_not1_saveexec_b32 s21, s1
; %bb.747:                              ;   in Loop: Header=BB438_13 Depth=1
	v_and_b32_e32 v1, 0xffff, v0
	v_or_b32_e32 v2, 0x10000, v0
	s_delay_alu instid0(VALU_DEP_2) | instskip(NEXT) | instid1(VALU_DEP_1)
	v_cmp_eq_u32_e64 s1, 0, v1
	v_cndmask_b32_e64 v6, v2, v0, s1
; %bb.748:                              ;   in Loop: Header=BB438_13 Depth=1
	s_or_b32 exec_lo, exec_lo, s21
	v_lshrrev_b16 v1, 8, v19
	v_mov_b32_e32 v0, 0
	s_mov_b32 s21, exec_lo
	s_delay_alu instid0(VALU_DEP_2)
	v_cmpx_ne_u16_e32 0, v1
	s_cbranch_execz .LBB438_756
; %bb.749:                              ;   in Loop: Header=BB438_13 Depth=1
	v_bfrev_b32_e32 v0, 1
	s_mov_b32 s22, exec_lo
	v_cmpx_ne_u16_e32 0x80, v1
	s_cbranch_execz .LBB438_755
; %bb.750:                              ;   in Loop: Header=BB438_13 Depth=1
	v_and_b32_e32 v2, 0xffff, v1
	v_mov_b32_e32 v0, 0x7f800001
	s_mov_b32 s23, exec_lo
	s_delay_alu instid0(VALU_DEP_2) | instskip(NEXT) | instid1(VALU_DEP_1)
	v_and_b32_e32 v1, 0x7f, v2
	v_cmpx_ne_u32_e32 0x7f, v1
	s_cbranch_execz .LBB438_754
; %bb.751:                              ;   in Loop: Header=BB438_13 Depth=1
	v_dual_mov_b32 v36, v20 :: v_dual_and_b32 v35, 7, v2
	v_lshrrev_b32_e32 v0, 3, v1
	s_mov_b32 s24, exec_lo
	v_cmpx_gt_u32_e32 8, v1
; %bb.752:                              ;   in Loop: Header=BB438_13 Depth=1
	s_delay_alu instid0(VALU_DEP_3) | instskip(NEXT) | instid1(VALU_DEP_1)
	v_clz_i32_u32_e32 v0, v35
	v_min_u32_e32 v0, 32, v0
	s_delay_alu instid0(VALU_DEP_1) | instskip(SKIP_1) | instid1(VALU_DEP_2)
	v_subrev_nc_u32_e32 v1, 28, v0
	v_sub_nc_u32_e32 v0, 29, v0
	v_lshlrev_b64 v[1:2], v1, v[35:36]
	s_delay_alu instid0(VALU_DEP_1)
	v_and_b32_e32 v35, 7, v1
; %bb.753:                              ;   in Loop: Header=BB438_13 Depth=1
	s_or_b32 exec_lo, exec_lo, s24
	v_lshlrev_b32_e32 v1, 16, v19
	s_delay_alu instid0(VALU_DEP_2) | instskip(SKIP_1) | instid1(VALU_DEP_3)
	v_lshlrev_b32_e32 v2, 20, v35
	v_lshl_add_u32 v0, v0, 23, 0x3c000000
	v_and_b32_e32 v1, 0x80000000, v1
	s_delay_alu instid0(VALU_DEP_1)
	v_or3_b32 v0, v2, v1, v0
.LBB438_754:                            ;   in Loop: Header=BB438_13 Depth=1
	s_or_b32 exec_lo, exec_lo, s23
.LBB438_755:                            ;   in Loop: Header=BB438_13 Depth=1
	s_delay_alu instid0(SALU_CYCLE_1)
	s_or_b32 exec_lo, exec_lo, s22
.LBB438_756:                            ;   in Loop: Header=BB438_13 Depth=1
	s_delay_alu instid0(SALU_CYCLE_1) | instskip(NEXT) | instid1(VALU_DEP_1)
	s_or_b32 exec_lo, exec_lo, s21
	v_mul_f32_e32 v0, v91, v0
                                        ; implicit-def: $vgpr7
	s_delay_alu instid0(VALU_DEP_1) | instskip(NEXT) | instid1(VALU_DEP_1)
	v_and_b32_e32 v1, 0x7f800000, v0
	v_cmp_ne_u32_e64 s1, 0x7f800000, v1
	s_delay_alu instid0(VALU_DEP_1) | instskip(NEXT) | instid1(SALU_CYCLE_1)
	s_and_saveexec_b32 s21, s1
	s_xor_b32 s1, exec_lo, s21
; %bb.757:                              ;   in Loop: Header=BB438_13 Depth=1
	v_bfe_u32 v1, v0, 16, 1
	s_delay_alu instid0(VALU_DEP_1)
	v_add3_u32 v7, v0, v1, 0x7fff
                                        ; implicit-def: $vgpr0
; %bb.758:                              ;   in Loop: Header=BB438_13 Depth=1
	s_and_not1_saveexec_b32 s21, s1
; %bb.759:                              ;   in Loop: Header=BB438_13 Depth=1
	v_and_b32_e32 v1, 0xffff, v0
	v_or_b32_e32 v2, 0x10000, v0
	s_delay_alu instid0(VALU_DEP_2) | instskip(NEXT) | instid1(VALU_DEP_1)
	v_cmp_eq_u32_e64 s1, 0, v1
	v_cndmask_b32_e64 v7, v2, v0, s1
; %bb.760:                              ;   in Loop: Header=BB438_13 Depth=1
	s_or_b32 exec_lo, exec_lo, s21
	v_lshrrev_b32_e32 v0, 16, v34
	s_mov_b32 s21, exec_lo
	s_delay_alu instid0(VALU_DEP_1) | instskip(NEXT) | instid1(VALU_DEP_1)
	v_dual_mov_b32 v1, 0 :: v_dual_and_b32 v2, 0xff, v0
	v_cmpx_ne_u16_e32 0, v2
	s_cbranch_execz .LBB438_768
; %bb.761:                              ;   in Loop: Header=BB438_13 Depth=1
	v_bfrev_b32_e32 v1, 1
	s_mov_b32 s22, exec_lo
	v_cmpx_ne_u16_e32 0x80, v2
	s_cbranch_execz .LBB438_767
; %bb.762:                              ;   in Loop: Header=BB438_13 Depth=1
	v_bfe_u32 v2, v34, 16, 7
	v_mov_b32_e32 v1, 0x7f800001
	s_mov_b32 s23, exec_lo
	s_delay_alu instid0(VALU_DEP_2)
	v_cmpx_ne_u32_e32 0x7f, v2
	s_cbranch_execz .LBB438_766
; %bb.763:                              ;   in Loop: Header=BB438_13 Depth=1
	v_and_b32_e32 v19, 7, v0
	v_lshrrev_b32_e32 v1, 3, v2
	s_mov_b32 s24, exec_lo
	v_cmpx_gt_u32_e32 8, v2
; %bb.764:                              ;   in Loop: Header=BB438_13 Depth=1
	s_delay_alu instid0(VALU_DEP_3) | instskip(NEXT) | instid1(VALU_DEP_1)
	v_clz_i32_u32_e32 v1, v19
	v_min_u32_e32 v1, 32, v1
	s_delay_alu instid0(VALU_DEP_1) | instskip(SKIP_1) | instid1(VALU_DEP_2)
	v_subrev_nc_u32_e32 v2, 28, v1
	v_sub_nc_u32_e32 v1, 29, v1
	v_lshlrev_b64 v[2:3], v2, v[19:20]
	s_delay_alu instid0(VALU_DEP_1)
	v_and_b32_e32 v19, 7, v2
; %bb.765:                              ;   in Loop: Header=BB438_13 Depth=1
	s_or_b32 exec_lo, exec_lo, s24
	v_lshlrev_b32_e32 v0, 24, v0
	s_delay_alu instid0(VALU_DEP_2) | instskip(SKIP_1) | instid1(VALU_DEP_3)
	v_lshlrev_b32_e32 v2, 20, v19
	v_lshl_add_u32 v1, v1, 23, 0x3c000000
	v_and_b32_e32 v0, 0x80000000, v0
	s_delay_alu instid0(VALU_DEP_1)
	v_or3_b32 v1, v2, v0, v1
.LBB438_766:                            ;   in Loop: Header=BB438_13 Depth=1
	s_or_b32 exec_lo, exec_lo, s23
.LBB438_767:                            ;   in Loop: Header=BB438_13 Depth=1
	s_delay_alu instid0(SALU_CYCLE_1)
	s_or_b32 exec_lo, exec_lo, s22
.LBB438_768:                            ;   in Loop: Header=BB438_13 Depth=1
	s_delay_alu instid0(SALU_CYCLE_1) | instskip(NEXT) | instid1(VALU_DEP_1)
	s_or_b32 exec_lo, exec_lo, s21
	v_mul_f32_e32 v0, v91, v1
                                        ; implicit-def: $vgpr12
	s_delay_alu instid0(VALU_DEP_1) | instskip(NEXT) | instid1(VALU_DEP_1)
	v_and_b32_e32 v1, 0x7f800000, v0
	v_cmp_ne_u32_e64 s1, 0x7f800000, v1
	s_delay_alu instid0(VALU_DEP_1) | instskip(NEXT) | instid1(SALU_CYCLE_1)
	s_and_saveexec_b32 s21, s1
	s_xor_b32 s1, exec_lo, s21
; %bb.769:                              ;   in Loop: Header=BB438_13 Depth=1
	v_bfe_u32 v1, v0, 16, 1
	s_delay_alu instid0(VALU_DEP_1)
	v_add3_u32 v12, v0, v1, 0x7fff
                                        ; implicit-def: $vgpr0
; %bb.770:                              ;   in Loop: Header=BB438_13 Depth=1
	s_and_not1_saveexec_b32 s21, s1
; %bb.771:                              ;   in Loop: Header=BB438_13 Depth=1
	v_and_b32_e32 v1, 0xffff, v0
	v_or_b32_e32 v2, 0x10000, v0
	s_delay_alu instid0(VALU_DEP_2) | instskip(NEXT) | instid1(VALU_DEP_1)
	v_cmp_eq_u32_e64 s1, 0, v1
	v_cndmask_b32_e64 v12, v2, v0, s1
; %bb.772:                              ;   in Loop: Header=BB438_13 Depth=1
	s_or_b32 exec_lo, exec_lo, s21
	v_mov_b32_e32 v1, 0
	s_mov_b32 s21, exec_lo
	v_cmpx_lt_u64_e64 s[16:17], v[33:34]
	s_cbranch_execz .LBB438_780
; %bb.773:                              ;   in Loop: Header=BB438_13 Depth=1
	v_lshrrev_b32_e32 v0, 24, v34
	v_bfrev_b32_e32 v1, 1
	s_mov_b32 s22, exec_lo
	s_delay_alu instid0(VALU_DEP_2)
	v_cmpx_ne_u32_e32 0x80, v0
	s_cbranch_execz .LBB438_779
; %bb.774:                              ;   in Loop: Header=BB438_13 Depth=1
	v_bfe_u32 v2, v34, 24, 7
	v_mov_b32_e32 v1, 0x7f800001
	s_mov_b32 s23, exec_lo
	s_delay_alu instid0(VALU_DEP_2)
	v_cmpx_ne_u32_e32 0x7f, v2
	s_cbranch_execz .LBB438_778
; %bb.775:                              ;   in Loop: Header=BB438_13 Depth=1
	v_and_b32_e32 v19, 7, v0
	v_lshrrev_b32_e32 v1, 3, v2
	s_mov_b32 s24, exec_lo
	v_cmpx_gt_u32_e32 8, v2
; %bb.776:                              ;   in Loop: Header=BB438_13 Depth=1
	s_delay_alu instid0(VALU_DEP_3) | instskip(NEXT) | instid1(VALU_DEP_1)
	v_clz_i32_u32_e32 v1, v19
	v_min_u32_e32 v1, 32, v1
	s_delay_alu instid0(VALU_DEP_1) | instskip(SKIP_1) | instid1(VALU_DEP_2)
	v_subrev_nc_u32_e32 v2, 28, v1
	v_sub_nc_u32_e32 v1, 29, v1
	v_lshlrev_b64 v[2:3], v2, v[19:20]
	s_delay_alu instid0(VALU_DEP_1)
	v_and_b32_e32 v19, 7, v2
; %bb.777:                              ;   in Loop: Header=BB438_13 Depth=1
	s_or_b32 exec_lo, exec_lo, s24
	v_lshlrev_b32_e32 v0, 24, v0
	s_delay_alu instid0(VALU_DEP_2) | instskip(SKIP_1) | instid1(VALU_DEP_3)
	v_lshlrev_b32_e32 v2, 20, v19
	v_lshl_add_u32 v1, v1, 23, 0x3c000000
	v_and_b32_e32 v0, 0x80000000, v0
	s_delay_alu instid0(VALU_DEP_1)
	v_or3_b32 v1, v2, v0, v1
.LBB438_778:                            ;   in Loop: Header=BB438_13 Depth=1
	s_or_b32 exec_lo, exec_lo, s23
.LBB438_779:                            ;   in Loop: Header=BB438_13 Depth=1
	s_delay_alu instid0(SALU_CYCLE_1)
	s_or_b32 exec_lo, exec_lo, s22
.LBB438_780:                            ;   in Loop: Header=BB438_13 Depth=1
	s_delay_alu instid0(SALU_CYCLE_1) | instskip(NEXT) | instid1(VALU_DEP_1)
	s_or_b32 exec_lo, exec_lo, s21
	v_mul_f32_e32 v0, v91, v1
                                        ; implicit-def: $vgpr37
	s_delay_alu instid0(VALU_DEP_1) | instskip(NEXT) | instid1(VALU_DEP_1)
	v_and_b32_e32 v1, 0x7f800000, v0
	v_cmp_ne_u32_e64 s1, 0x7f800000, v1
	s_delay_alu instid0(VALU_DEP_1) | instskip(NEXT) | instid1(SALU_CYCLE_1)
	s_and_saveexec_b32 s21, s1
	s_xor_b32 s1, exec_lo, s21
; %bb.781:                              ;   in Loop: Header=BB438_13 Depth=1
	v_bfe_u32 v1, v0, 16, 1
	s_delay_alu instid0(VALU_DEP_1)
	v_add3_u32 v37, v0, v1, 0x7fff
                                        ; implicit-def: $vgpr0
; %bb.782:                              ;   in Loop: Header=BB438_13 Depth=1
	s_and_not1_saveexec_b32 s21, s1
; %bb.783:                              ;   in Loop: Header=BB438_13 Depth=1
	v_and_b32_e32 v1, 0xffff, v0
	v_or_b32_e32 v2, 0x10000, v0
	s_delay_alu instid0(VALU_DEP_2) | instskip(NEXT) | instid1(VALU_DEP_1)
	v_cmp_eq_u32_e64 s1, 0, v1
	v_cndmask_b32_e64 v37, v2, v0, s1
; %bb.784:                              ;   in Loop: Header=BB438_13 Depth=1
	s_or_b32 exec_lo, exec_lo, s21
	flat_load_b64 v[33:34], v[31:32] offset:2048
	s_mov_b32 s21, exec_lo
	s_waitcnt vmcnt(0) lgkmcnt(0)
	v_dual_mov_b32 v0, 0 :: v_dual_and_b32 v1, 0xff, v33
	s_delay_alu instid0(VALU_DEP_1)
	v_cmpx_ne_u16_e32 0, v1
	s_cbranch_execz .LBB438_792
; %bb.785:                              ;   in Loop: Header=BB438_13 Depth=1
	v_bfrev_b32_e32 v0, 1
	s_mov_b32 s22, exec_lo
	v_cmpx_ne_u16_e32 0x80, v1
	s_cbranch_execz .LBB438_791
; %bb.786:                              ;   in Loop: Header=BB438_13 Depth=1
	v_and_b32_e32 v1, 0x7f, v33
	v_mov_b32_e32 v0, 0x7f800001
	s_mov_b32 s23, exec_lo
	s_delay_alu instid0(VALU_DEP_2)
	v_cmpx_ne_u32_e32 0x7f, v1
	s_cbranch_execz .LBB438_790
; %bb.787:                              ;   in Loop: Header=BB438_13 Depth=1
	v_lshrrev_b32_e32 v0, 3, v1
	v_dual_mov_b32 v36, v34 :: v_dual_mov_b32 v35, v33
	s_mov_b32 s24, exec_lo
	v_cmpx_gt_u32_e32 8, v1
; %bb.788:                              ;   in Loop: Header=BB438_13 Depth=1
	v_and_b32_e32 v0, 7, v33
	s_delay_alu instid0(VALU_DEP_1) | instskip(NEXT) | instid1(VALU_DEP_1)
	v_clz_i32_u32_e32 v0, v0
	v_min_u32_e32 v0, 32, v0
	s_delay_alu instid0(VALU_DEP_1) | instskip(SKIP_1) | instid1(VALU_DEP_2)
	v_subrev_nc_u32_e32 v1, 28, v0
	v_sub_nc_u32_e32 v0, 29, v0
	v_lshlrev_b64 v[35:36], v1, v[33:34]
; %bb.789:                              ;   in Loop: Header=BB438_13 Depth=1
	s_or_b32 exec_lo, exec_lo, s24
	s_delay_alu instid0(VALU_DEP_1) | instskip(SKIP_2) | instid1(VALU_DEP_3)
	v_lshlrev_b32_e32 v1, 20, v35
	v_lshlrev_b32_e32 v2, 24, v33
	v_lshl_add_u32 v0, v0, 23, 0x3c000000
	v_and_b32_e32 v1, 0x700000, v1
	s_delay_alu instid0(VALU_DEP_3) | instskip(NEXT) | instid1(VALU_DEP_1)
	v_and_b32_e32 v2, 0x80000000, v2
	v_or3_b32 v0, v1, v2, v0
.LBB438_790:                            ;   in Loop: Header=BB438_13 Depth=1
	s_or_b32 exec_lo, exec_lo, s23
.LBB438_791:                            ;   in Loop: Header=BB438_13 Depth=1
	s_delay_alu instid0(SALU_CYCLE_1)
	s_or_b32 exec_lo, exec_lo, s22
.LBB438_792:                            ;   in Loop: Header=BB438_13 Depth=1
	s_delay_alu instid0(SALU_CYCLE_1) | instskip(NEXT) | instid1(VALU_DEP_1)
	s_or_b32 exec_lo, exec_lo, s21
	v_mul_f32_e32 v0, v91, v0
                                        ; implicit-def: $vgpr48
	s_delay_alu instid0(VALU_DEP_1) | instskip(NEXT) | instid1(VALU_DEP_1)
	v_and_b32_e32 v1, 0x7f800000, v0
	v_cmp_ne_u32_e64 s1, 0x7f800000, v1
	s_delay_alu instid0(VALU_DEP_1) | instskip(NEXT) | instid1(SALU_CYCLE_1)
	s_and_saveexec_b32 s21, s1
	s_xor_b32 s1, exec_lo, s21
; %bb.793:                              ;   in Loop: Header=BB438_13 Depth=1
	v_bfe_u32 v1, v0, 16, 1
	s_delay_alu instid0(VALU_DEP_1)
	v_add3_u32 v48, v0, v1, 0x7fff
                                        ; implicit-def: $vgpr0
; %bb.794:                              ;   in Loop: Header=BB438_13 Depth=1
	s_and_not1_saveexec_b32 s21, s1
; %bb.795:                              ;   in Loop: Header=BB438_13 Depth=1
	v_and_b32_e32 v1, 0xffff, v0
	v_or_b32_e32 v2, 0x10000, v0
	s_delay_alu instid0(VALU_DEP_2) | instskip(NEXT) | instid1(VALU_DEP_1)
	v_cmp_eq_u32_e64 s1, 0, v1
	v_cndmask_b32_e64 v48, v2, v0, s1
; %bb.796:                              ;   in Loop: Header=BB438_13 Depth=1
	s_or_b32 exec_lo, exec_lo, s21
	v_lshrrev_b16 v1, 8, v33
	v_mov_b32_e32 v0, 0
	s_mov_b32 s21, exec_lo
	s_delay_alu instid0(VALU_DEP_2)
	v_cmpx_ne_u16_e32 0, v1
	s_cbranch_execz .LBB438_804
; %bb.797:                              ;   in Loop: Header=BB438_13 Depth=1
	v_bfrev_b32_e32 v0, 1
	s_mov_b32 s22, exec_lo
	v_cmpx_ne_u16_e32 0x80, v1
	s_cbranch_execz .LBB438_803
; %bb.798:                              ;   in Loop: Header=BB438_13 Depth=1
	v_and_b32_e32 v2, 0xffff, v1
	v_mov_b32_e32 v0, 0x7f800001
	s_mov_b32 s23, exec_lo
	s_delay_alu instid0(VALU_DEP_2) | instskip(NEXT) | instid1(VALU_DEP_1)
	v_and_b32_e32 v1, 0x7f, v2
	v_cmpx_ne_u32_e32 0x7f, v1
	s_cbranch_execz .LBB438_802
; %bb.799:                              ;   in Loop: Header=BB438_13 Depth=1
	v_and_b32_e32 v19, 7, v2
	v_lshrrev_b32_e32 v0, 3, v1
	s_mov_b32 s24, exec_lo
	v_cmpx_gt_u32_e32 8, v1
; %bb.800:                              ;   in Loop: Header=BB438_13 Depth=1
	s_delay_alu instid0(VALU_DEP_3) | instskip(NEXT) | instid1(VALU_DEP_1)
	v_clz_i32_u32_e32 v0, v19
	v_min_u32_e32 v0, 32, v0
	s_delay_alu instid0(VALU_DEP_1) | instskip(SKIP_1) | instid1(VALU_DEP_2)
	v_subrev_nc_u32_e32 v1, 28, v0
	v_sub_nc_u32_e32 v0, 29, v0
	v_lshlrev_b64 v[1:2], v1, v[19:20]
	s_delay_alu instid0(VALU_DEP_1)
	v_and_b32_e32 v19, 7, v1
; %bb.801:                              ;   in Loop: Header=BB438_13 Depth=1
	s_or_b32 exec_lo, exec_lo, s24
	v_lshlrev_b32_e32 v1, 16, v33
	s_delay_alu instid0(VALU_DEP_2) | instskip(SKIP_1) | instid1(VALU_DEP_3)
	v_lshlrev_b32_e32 v2, 20, v19
	v_lshl_add_u32 v0, v0, 23, 0x3c000000
	v_and_b32_e32 v1, 0x80000000, v1
	s_delay_alu instid0(VALU_DEP_1)
	v_or3_b32 v0, v2, v1, v0
.LBB438_802:                            ;   in Loop: Header=BB438_13 Depth=1
	s_or_b32 exec_lo, exec_lo, s23
.LBB438_803:                            ;   in Loop: Header=BB438_13 Depth=1
	s_delay_alu instid0(SALU_CYCLE_1)
	s_or_b32 exec_lo, exec_lo, s22
.LBB438_804:                            ;   in Loop: Header=BB438_13 Depth=1
	s_delay_alu instid0(SALU_CYCLE_1) | instskip(NEXT) | instid1(VALU_DEP_1)
	s_or_b32 exec_lo, exec_lo, s21
	v_mul_f32_e32 v0, v91, v0
                                        ; implicit-def: $vgpr66
	s_delay_alu instid0(VALU_DEP_1) | instskip(NEXT) | instid1(VALU_DEP_1)
	v_and_b32_e32 v1, 0x7f800000, v0
	v_cmp_ne_u32_e64 s1, 0x7f800000, v1
	s_delay_alu instid0(VALU_DEP_1) | instskip(NEXT) | instid1(SALU_CYCLE_1)
	s_and_saveexec_b32 s21, s1
	s_xor_b32 s1, exec_lo, s21
; %bb.805:                              ;   in Loop: Header=BB438_13 Depth=1
	v_bfe_u32 v1, v0, 16, 1
	s_delay_alu instid0(VALU_DEP_1)
	v_add3_u32 v66, v0, v1, 0x7fff
                                        ; implicit-def: $vgpr0
; %bb.806:                              ;   in Loop: Header=BB438_13 Depth=1
	s_and_not1_saveexec_b32 s21, s1
; %bb.807:                              ;   in Loop: Header=BB438_13 Depth=1
	v_and_b32_e32 v1, 0xffff, v0
	v_or_b32_e32 v2, 0x10000, v0
	s_delay_alu instid0(VALU_DEP_2) | instskip(NEXT) | instid1(VALU_DEP_1)
	v_cmp_eq_u32_e64 s1, 0, v1
	v_cndmask_b32_e64 v66, v2, v0, s1
; %bb.808:                              ;   in Loop: Header=BB438_13 Depth=1
	s_or_b32 exec_lo, exec_lo, s21
	v_lshrrev_b32_e32 v0, 16, v33
	s_mov_b32 s21, exec_lo
	s_delay_alu instid0(VALU_DEP_1) | instskip(NEXT) | instid1(VALU_DEP_1)
	v_dual_mov_b32 v1, 0 :: v_dual_and_b32 v2, 0xff, v0
	v_cmpx_ne_u16_e32 0, v2
	s_cbranch_execz .LBB438_816
; %bb.809:                              ;   in Loop: Header=BB438_13 Depth=1
	v_bfrev_b32_e32 v1, 1
	s_mov_b32 s22, exec_lo
	v_cmpx_ne_u16_e32 0x80, v2
	s_cbranch_execz .LBB438_815
; %bb.810:                              ;   in Loop: Header=BB438_13 Depth=1
	v_bfe_u32 v2, v33, 16, 7
	v_mov_b32_e32 v1, 0x7f800001
	s_mov_b32 s23, exec_lo
	s_delay_alu instid0(VALU_DEP_2)
	v_cmpx_ne_u32_e32 0x7f, v2
	s_cbranch_execz .LBB438_814
; %bb.811:                              ;   in Loop: Header=BB438_13 Depth=1
	v_and_b32_e32 v19, 7, v0
	v_lshrrev_b32_e32 v1, 3, v2
	s_mov_b32 s24, exec_lo
	v_cmpx_gt_u32_e32 8, v2
; %bb.812:                              ;   in Loop: Header=BB438_13 Depth=1
	s_delay_alu instid0(VALU_DEP_3) | instskip(NEXT) | instid1(VALU_DEP_1)
	v_clz_i32_u32_e32 v1, v19
	v_min_u32_e32 v1, 32, v1
	s_delay_alu instid0(VALU_DEP_1) | instskip(SKIP_1) | instid1(VALU_DEP_2)
	v_subrev_nc_u32_e32 v2, 28, v1
	v_sub_nc_u32_e32 v1, 29, v1
	v_lshlrev_b64 v[2:3], v2, v[19:20]
	s_delay_alu instid0(VALU_DEP_1)
	v_and_b32_e32 v19, 7, v2
; %bb.813:                              ;   in Loop: Header=BB438_13 Depth=1
	s_or_b32 exec_lo, exec_lo, s24
	v_lshlrev_b32_e32 v0, 24, v0
	s_delay_alu instid0(VALU_DEP_2) | instskip(SKIP_1) | instid1(VALU_DEP_3)
	v_lshlrev_b32_e32 v2, 20, v19
	v_lshl_add_u32 v1, v1, 23, 0x3c000000
	v_and_b32_e32 v0, 0x80000000, v0
	s_delay_alu instid0(VALU_DEP_1)
	v_or3_b32 v1, v2, v0, v1
.LBB438_814:                            ;   in Loop: Header=BB438_13 Depth=1
	s_or_b32 exec_lo, exec_lo, s23
.LBB438_815:                            ;   in Loop: Header=BB438_13 Depth=1
	s_delay_alu instid0(SALU_CYCLE_1)
	s_or_b32 exec_lo, exec_lo, s22
.LBB438_816:                            ;   in Loop: Header=BB438_13 Depth=1
	s_delay_alu instid0(SALU_CYCLE_1) | instskip(NEXT) | instid1(VALU_DEP_1)
	s_or_b32 exec_lo, exec_lo, s21
	v_mul_f32_e32 v0, v91, v1
                                        ; implicit-def: $vgpr11
	s_delay_alu instid0(VALU_DEP_1) | instskip(NEXT) | instid1(VALU_DEP_1)
	v_and_b32_e32 v1, 0x7f800000, v0
	v_cmp_ne_u32_e64 s1, 0x7f800000, v1
	s_delay_alu instid0(VALU_DEP_1) | instskip(NEXT) | instid1(SALU_CYCLE_1)
	s_and_saveexec_b32 s21, s1
	s_xor_b32 s1, exec_lo, s21
; %bb.817:                              ;   in Loop: Header=BB438_13 Depth=1
	v_bfe_u32 v1, v0, 16, 1
	s_delay_alu instid0(VALU_DEP_1)
	v_add3_u32 v11, v0, v1, 0x7fff
                                        ; implicit-def: $vgpr0
; %bb.818:                              ;   in Loop: Header=BB438_13 Depth=1
	s_and_not1_saveexec_b32 s21, s1
; %bb.819:                              ;   in Loop: Header=BB438_13 Depth=1
	v_and_b32_e32 v1, 0xffff, v0
	v_or_b32_e32 v2, 0x10000, v0
	s_delay_alu instid0(VALU_DEP_2) | instskip(NEXT) | instid1(VALU_DEP_1)
	v_cmp_eq_u32_e64 s1, 0, v1
	v_cndmask_b32_e64 v11, v2, v0, s1
; %bb.820:                              ;   in Loop: Header=BB438_13 Depth=1
	s_or_b32 exec_lo, exec_lo, s21
	v_mov_b32_e32 v1, 0
	s_mov_b32 s21, exec_lo
	v_cmpx_lt_u32_e32 0xffffff, v33
	s_cbranch_execz .LBB438_828
; %bb.821:                              ;   in Loop: Header=BB438_13 Depth=1
	v_lshrrev_b32_e32 v0, 24, v33
	v_bfrev_b32_e32 v1, 1
	s_mov_b32 s22, exec_lo
	s_delay_alu instid0(VALU_DEP_2)
	v_cmpx_ne_u32_e32 0x80, v0
	s_cbranch_execz .LBB438_827
; %bb.822:                              ;   in Loop: Header=BB438_13 Depth=1
	v_bfe_u32 v2, v33, 24, 7
	v_mov_b32_e32 v1, 0x7f800001
	s_mov_b32 s23, exec_lo
	s_delay_alu instid0(VALU_DEP_2)
	v_cmpx_ne_u32_e32 0x7f, v2
	s_cbranch_execz .LBB438_826
; %bb.823:                              ;   in Loop: Header=BB438_13 Depth=1
	v_and_b32_e32 v19, 7, v0
	v_lshrrev_b32_e32 v1, 3, v2
	s_mov_b32 s24, exec_lo
	v_cmpx_gt_u32_e32 8, v2
; %bb.824:                              ;   in Loop: Header=BB438_13 Depth=1
	s_delay_alu instid0(VALU_DEP_3) | instskip(NEXT) | instid1(VALU_DEP_1)
	v_clz_i32_u32_e32 v1, v19
	v_min_u32_e32 v1, 32, v1
	s_delay_alu instid0(VALU_DEP_1) | instskip(SKIP_1) | instid1(VALU_DEP_2)
	v_subrev_nc_u32_e32 v2, 28, v1
	v_sub_nc_u32_e32 v1, 29, v1
	v_lshlrev_b64 v[2:3], v2, v[19:20]
	s_delay_alu instid0(VALU_DEP_1)
	v_and_b32_e32 v19, 7, v2
; %bb.825:                              ;   in Loop: Header=BB438_13 Depth=1
	s_or_b32 exec_lo, exec_lo, s24
	v_lshlrev_b32_e32 v0, 24, v0
	s_delay_alu instid0(VALU_DEP_2) | instskip(SKIP_1) | instid1(VALU_DEP_3)
	v_lshlrev_b32_e32 v2, 20, v19
	v_lshl_add_u32 v1, v1, 23, 0x3c000000
	v_and_b32_e32 v0, 0x80000000, v0
	s_delay_alu instid0(VALU_DEP_1)
	v_or3_b32 v1, v2, v0, v1
.LBB438_826:                            ;   in Loop: Header=BB438_13 Depth=1
	s_or_b32 exec_lo, exec_lo, s23
.LBB438_827:                            ;   in Loop: Header=BB438_13 Depth=1
	s_delay_alu instid0(SALU_CYCLE_1)
	s_or_b32 exec_lo, exec_lo, s22
.LBB438_828:                            ;   in Loop: Header=BB438_13 Depth=1
	s_delay_alu instid0(SALU_CYCLE_1) | instskip(NEXT) | instid1(VALU_DEP_1)
	s_or_b32 exec_lo, exec_lo, s21
	v_mul_f32_e32 v0, v91, v1
                                        ; implicit-def: $vgpr10
	s_delay_alu instid0(VALU_DEP_1) | instskip(NEXT) | instid1(VALU_DEP_1)
	v_and_b32_e32 v1, 0x7f800000, v0
	v_cmp_ne_u32_e64 s1, 0x7f800000, v1
	s_delay_alu instid0(VALU_DEP_1) | instskip(NEXT) | instid1(SALU_CYCLE_1)
	s_and_saveexec_b32 s21, s1
	s_xor_b32 s1, exec_lo, s21
; %bb.829:                              ;   in Loop: Header=BB438_13 Depth=1
	v_bfe_u32 v1, v0, 16, 1
	s_delay_alu instid0(VALU_DEP_1)
	v_add3_u32 v10, v0, v1, 0x7fff
                                        ; implicit-def: $vgpr0
; %bb.830:                              ;   in Loop: Header=BB438_13 Depth=1
	s_and_not1_saveexec_b32 s21, s1
; %bb.831:                              ;   in Loop: Header=BB438_13 Depth=1
	v_and_b32_e32 v1, 0xffff, v0
	v_or_b32_e32 v2, 0x10000, v0
	s_delay_alu instid0(VALU_DEP_2) | instskip(NEXT) | instid1(VALU_DEP_1)
	v_cmp_eq_u32_e64 s1, 0, v1
	v_cndmask_b32_e64 v10, v2, v0, s1
; %bb.832:                              ;   in Loop: Header=BB438_13 Depth=1
	s_or_b32 exec_lo, exec_lo, s21
	v_dual_mov_b32 v0, 0 :: v_dual_and_b32 v1, 0xff, v34
	v_mov_b32_e32 v19, v34
	s_mov_b32 s21, exec_lo
	s_delay_alu instid0(VALU_DEP_2)
	v_cmpx_ne_u16_e32 0, v1
	s_cbranch_execz .LBB438_840
; %bb.833:                              ;   in Loop: Header=BB438_13 Depth=1
	v_bfrev_b32_e32 v0, 1
	s_mov_b32 s22, exec_lo
	v_cmpx_ne_u16_e32 0x80, v1
	s_cbranch_execz .LBB438_839
; %bb.834:                              ;   in Loop: Header=BB438_13 Depth=1
	v_and_b32_e32 v1, 0x7f, v34
	v_mov_b32_e32 v0, 0x7f800001
	s_mov_b32 s23, exec_lo
	s_delay_alu instid0(VALU_DEP_2)
	v_cmpx_ne_u32_e32 0x7f, v1
	s_cbranch_execz .LBB438_838
; %bb.835:                              ;   in Loop: Header=BB438_13 Depth=1
	v_lshrrev_b32_e32 v0, 3, v1
	v_dual_mov_b32 v36, v20 :: v_dual_mov_b32 v35, v19
	s_mov_b32 s24, exec_lo
	v_cmpx_gt_u32_e32 8, v1
; %bb.836:                              ;   in Loop: Header=BB438_13 Depth=1
	v_and_b32_e32 v0, 7, v34
	s_delay_alu instid0(VALU_DEP_1) | instskip(NEXT) | instid1(VALU_DEP_1)
	v_clz_i32_u32_e32 v0, v0
	v_min_u32_e32 v0, 32, v0
	s_delay_alu instid0(VALU_DEP_1) | instskip(SKIP_1) | instid1(VALU_DEP_2)
	v_subrev_nc_u32_e32 v1, 28, v0
	v_sub_nc_u32_e32 v0, 29, v0
	v_lshlrev_b64 v[35:36], v1, v[19:20]
; %bb.837:                              ;   in Loop: Header=BB438_13 Depth=1
	s_or_b32 exec_lo, exec_lo, s24
	s_delay_alu instid0(VALU_DEP_1) | instskip(SKIP_2) | instid1(VALU_DEP_3)
	v_lshlrev_b32_e32 v1, 20, v35
	v_lshlrev_b32_e32 v2, 24, v19
	v_lshl_add_u32 v0, v0, 23, 0x3c000000
	v_and_b32_e32 v1, 0x700000, v1
	s_delay_alu instid0(VALU_DEP_3) | instskip(NEXT) | instid1(VALU_DEP_1)
	v_and_b32_e32 v2, 0x80000000, v2
	v_or3_b32 v0, v1, v2, v0
.LBB438_838:                            ;   in Loop: Header=BB438_13 Depth=1
	s_or_b32 exec_lo, exec_lo, s23
.LBB438_839:                            ;   in Loop: Header=BB438_13 Depth=1
	s_delay_alu instid0(SALU_CYCLE_1)
	s_or_b32 exec_lo, exec_lo, s22
.LBB438_840:                            ;   in Loop: Header=BB438_13 Depth=1
	s_delay_alu instid0(SALU_CYCLE_1) | instskip(NEXT) | instid1(VALU_DEP_1)
	s_or_b32 exec_lo, exec_lo, s21
	v_mul_f32_e32 v0, v91, v0
	s_delay_alu instid0(VALU_DEP_1) | instskip(NEXT) | instid1(VALU_DEP_1)
	v_and_b32_e32 v1, 0x7f800000, v0
	v_cmp_ne_u32_e64 s1, 0x7f800000, v1
                                        ; implicit-def: $vgpr1
	s_delay_alu instid0(VALU_DEP_1) | instskip(NEXT) | instid1(SALU_CYCLE_1)
	s_and_saveexec_b32 s21, s1
	s_xor_b32 s1, exec_lo, s21
; %bb.841:                              ;   in Loop: Header=BB438_13 Depth=1
	v_bfe_u32 v1, v0, 16, 1
	s_delay_alu instid0(VALU_DEP_1)
	v_add3_u32 v1, v0, v1, 0x7fff
                                        ; implicit-def: $vgpr0
; %bb.842:                              ;   in Loop: Header=BB438_13 Depth=1
	s_and_not1_saveexec_b32 s21, s1
; %bb.843:                              ;   in Loop: Header=BB438_13 Depth=1
	v_and_b32_e32 v1, 0xffff, v0
	v_or_b32_e32 v2, 0x10000, v0
	s_delay_alu instid0(VALU_DEP_2) | instskip(NEXT) | instid1(VALU_DEP_1)
	v_cmp_eq_u32_e64 s1, 0, v1
	v_cndmask_b32_e64 v1, v2, v0, s1
; %bb.844:                              ;   in Loop: Header=BB438_13 Depth=1
	s_or_b32 exec_lo, exec_lo, s21
	v_lshrrev_b16 v2, 8, v19
	v_mov_b32_e32 v0, 0
	s_mov_b32 s21, exec_lo
	s_delay_alu instid0(VALU_DEP_2)
	v_cmpx_ne_u16_e32 0, v2
	s_cbranch_execz .LBB438_852
; %bb.845:                              ;   in Loop: Header=BB438_13 Depth=1
	v_bfrev_b32_e32 v0, 1
	s_mov_b32 s22, exec_lo
	v_cmpx_ne_u16_e32 0x80, v2
	s_cbranch_execz .LBB438_851
; %bb.846:                              ;   in Loop: Header=BB438_13 Depth=1
	v_and_b32_e32 v3, 0xffff, v2
	v_mov_b32_e32 v0, 0x7f800001
	s_mov_b32 s23, exec_lo
	s_delay_alu instid0(VALU_DEP_2) | instskip(NEXT) | instid1(VALU_DEP_1)
	v_and_b32_e32 v2, 0x7f, v3
	v_cmpx_ne_u32_e32 0x7f, v2
	s_cbranch_execz .LBB438_850
; %bb.847:                              ;   in Loop: Header=BB438_13 Depth=1
	v_dual_mov_b32 v36, v20 :: v_dual_and_b32 v35, 7, v3
	v_lshrrev_b32_e32 v0, 3, v2
	s_mov_b32 s24, exec_lo
	v_cmpx_gt_u32_e32 8, v2
; %bb.848:                              ;   in Loop: Header=BB438_13 Depth=1
	s_delay_alu instid0(VALU_DEP_3) | instskip(NEXT) | instid1(VALU_DEP_1)
	v_clz_i32_u32_e32 v0, v35
	v_min_u32_e32 v0, 32, v0
	s_delay_alu instid0(VALU_DEP_1) | instskip(SKIP_1) | instid1(VALU_DEP_2)
	v_subrev_nc_u32_e32 v2, 28, v0
	v_sub_nc_u32_e32 v0, 29, v0
	v_lshlrev_b64 v[2:3], v2, v[35:36]
	s_delay_alu instid0(VALU_DEP_1)
	v_and_b32_e32 v35, 7, v2
; %bb.849:                              ;   in Loop: Header=BB438_13 Depth=1
	s_or_b32 exec_lo, exec_lo, s24
	v_lshlrev_b32_e32 v2, 16, v19
	s_delay_alu instid0(VALU_DEP_2) | instskip(SKIP_1) | instid1(VALU_DEP_3)
	v_lshlrev_b32_e32 v3, 20, v35
	v_lshl_add_u32 v0, v0, 23, 0x3c000000
	v_and_b32_e32 v2, 0x80000000, v2
	s_delay_alu instid0(VALU_DEP_1)
	v_or3_b32 v0, v3, v2, v0
.LBB438_850:                            ;   in Loop: Header=BB438_13 Depth=1
	s_or_b32 exec_lo, exec_lo, s23
.LBB438_851:                            ;   in Loop: Header=BB438_13 Depth=1
	s_delay_alu instid0(SALU_CYCLE_1)
	s_or_b32 exec_lo, exec_lo, s22
.LBB438_852:                            ;   in Loop: Header=BB438_13 Depth=1
	s_delay_alu instid0(SALU_CYCLE_1) | instskip(NEXT) | instid1(VALU_DEP_1)
	s_or_b32 exec_lo, exec_lo, s21
	v_mul_f32_e32 v0, v91, v0
                                        ; implicit-def: $vgpr35
	s_delay_alu instid0(VALU_DEP_1) | instskip(NEXT) | instid1(VALU_DEP_1)
	v_and_b32_e32 v2, 0x7f800000, v0
	v_cmp_ne_u32_e64 s1, 0x7f800000, v2
	s_delay_alu instid0(VALU_DEP_1) | instskip(NEXT) | instid1(SALU_CYCLE_1)
	s_and_saveexec_b32 s21, s1
	s_xor_b32 s1, exec_lo, s21
; %bb.853:                              ;   in Loop: Header=BB438_13 Depth=1
	v_bfe_u32 v2, v0, 16, 1
	s_delay_alu instid0(VALU_DEP_1)
	v_add3_u32 v35, v0, v2, 0x7fff
                                        ; implicit-def: $vgpr0
; %bb.854:                              ;   in Loop: Header=BB438_13 Depth=1
	s_and_not1_saveexec_b32 s21, s1
; %bb.855:                              ;   in Loop: Header=BB438_13 Depth=1
	v_and_b32_e32 v2, 0xffff, v0
	v_or_b32_e32 v3, 0x10000, v0
	s_delay_alu instid0(VALU_DEP_2) | instskip(NEXT) | instid1(VALU_DEP_1)
	v_cmp_eq_u32_e64 s1, 0, v2
	v_cndmask_b32_e64 v35, v3, v0, s1
; %bb.856:                              ;   in Loop: Header=BB438_13 Depth=1
	s_or_b32 exec_lo, exec_lo, s21
	v_lshrrev_b32_e32 v0, 16, v34
	s_mov_b32 s21, exec_lo
	s_delay_alu instid0(VALU_DEP_1) | instskip(NEXT) | instid1(VALU_DEP_1)
	v_dual_mov_b32 v2, 0 :: v_dual_and_b32 v3, 0xff, v0
	v_cmpx_ne_u16_e32 0, v3
	s_cbranch_execz .LBB438_864
; %bb.857:                              ;   in Loop: Header=BB438_13 Depth=1
	v_bfrev_b32_e32 v2, 1
	s_mov_b32 s22, exec_lo
	v_cmpx_ne_u16_e32 0x80, v3
	s_cbranch_execz .LBB438_863
; %bb.858:                              ;   in Loop: Header=BB438_13 Depth=1
	v_bfe_u32 v3, v34, 16, 7
	v_mov_b32_e32 v2, 0x7f800001
	s_mov_b32 s23, exec_lo
	s_delay_alu instid0(VALU_DEP_2)
	v_cmpx_ne_u32_e32 0x7f, v3
	s_cbranch_execz .LBB438_862
; %bb.859:                              ;   in Loop: Header=BB438_13 Depth=1
	v_and_b32_e32 v19, 7, v0
	v_lshrrev_b32_e32 v2, 3, v3
	s_mov_b32 s24, exec_lo
	v_cmpx_gt_u32_e32 8, v3
; %bb.860:                              ;   in Loop: Header=BB438_13 Depth=1
	s_delay_alu instid0(VALU_DEP_3) | instskip(NEXT) | instid1(VALU_DEP_1)
	v_clz_i32_u32_e32 v2, v19
	v_min_u32_e32 v2, 32, v2
	s_delay_alu instid0(VALU_DEP_1) | instskip(SKIP_1) | instid1(VALU_DEP_2)
	v_subrev_nc_u32_e32 v3, 28, v2
	v_sub_nc_u32_e32 v2, 29, v2
	v_lshlrev_b64 v[14:15], v3, v[19:20]
	s_delay_alu instid0(VALU_DEP_1)
	v_and_b32_e32 v19, 7, v14
; %bb.861:                              ;   in Loop: Header=BB438_13 Depth=1
	s_or_b32 exec_lo, exec_lo, s24
	v_lshlrev_b32_e32 v0, 24, v0
	s_delay_alu instid0(VALU_DEP_2) | instskip(SKIP_1) | instid1(VALU_DEP_3)
	v_lshlrev_b32_e32 v3, 20, v19
	v_lshl_add_u32 v2, v2, 23, 0x3c000000
	v_and_b32_e32 v0, 0x80000000, v0
	s_delay_alu instid0(VALU_DEP_1)
	v_or3_b32 v2, v3, v0, v2
.LBB438_862:                            ;   in Loop: Header=BB438_13 Depth=1
	s_or_b32 exec_lo, exec_lo, s23
.LBB438_863:                            ;   in Loop: Header=BB438_13 Depth=1
	s_delay_alu instid0(SALU_CYCLE_1)
	s_or_b32 exec_lo, exec_lo, s22
.LBB438_864:                            ;   in Loop: Header=BB438_13 Depth=1
	s_delay_alu instid0(SALU_CYCLE_1) | instskip(NEXT) | instid1(VALU_DEP_1)
	s_or_b32 exec_lo, exec_lo, s21
	v_mul_f32_e32 v0, v91, v2
                                        ; implicit-def: $vgpr36
	s_delay_alu instid0(VALU_DEP_1) | instskip(NEXT) | instid1(VALU_DEP_1)
	v_and_b32_e32 v2, 0x7f800000, v0
	v_cmp_ne_u32_e64 s1, 0x7f800000, v2
	s_delay_alu instid0(VALU_DEP_1) | instskip(NEXT) | instid1(SALU_CYCLE_1)
	s_and_saveexec_b32 s21, s1
	s_xor_b32 s1, exec_lo, s21
; %bb.865:                              ;   in Loop: Header=BB438_13 Depth=1
	v_bfe_u32 v2, v0, 16, 1
	s_delay_alu instid0(VALU_DEP_1)
	v_add3_u32 v36, v0, v2, 0x7fff
                                        ; implicit-def: $vgpr0
; %bb.866:                              ;   in Loop: Header=BB438_13 Depth=1
	s_and_not1_saveexec_b32 s21, s1
; %bb.867:                              ;   in Loop: Header=BB438_13 Depth=1
	v_and_b32_e32 v2, 0xffff, v0
	v_or_b32_e32 v3, 0x10000, v0
	s_delay_alu instid0(VALU_DEP_2) | instskip(NEXT) | instid1(VALU_DEP_1)
	v_cmp_eq_u32_e64 s1, 0, v2
	v_cndmask_b32_e64 v36, v3, v0, s1
; %bb.868:                              ;   in Loop: Header=BB438_13 Depth=1
	s_or_b32 exec_lo, exec_lo, s21
	v_mov_b32_e32 v2, 0
	s_mov_b32 s21, exec_lo
	v_cmpx_lt_u64_e64 s[16:17], v[33:34]
	s_cbranch_execz .LBB438_876
; %bb.869:                              ;   in Loop: Header=BB438_13 Depth=1
	v_lshrrev_b32_e32 v0, 24, v34
	v_bfrev_b32_e32 v2, 1
	s_mov_b32 s22, exec_lo
	s_delay_alu instid0(VALU_DEP_2)
	v_cmpx_ne_u32_e32 0x80, v0
	s_cbranch_execz .LBB438_875
; %bb.870:                              ;   in Loop: Header=BB438_13 Depth=1
	v_bfe_u32 v3, v34, 24, 7
	v_mov_b32_e32 v2, 0x7f800001
	s_mov_b32 s23, exec_lo
	s_delay_alu instid0(VALU_DEP_2)
	v_cmpx_ne_u32_e32 0x7f, v3
	s_cbranch_execz .LBB438_874
; %bb.871:                              ;   in Loop: Header=BB438_13 Depth=1
	v_and_b32_e32 v19, 7, v0
	v_lshrrev_b32_e32 v2, 3, v3
	s_mov_b32 s24, exec_lo
	v_cmpx_gt_u32_e32 8, v3
; %bb.872:                              ;   in Loop: Header=BB438_13 Depth=1
	s_delay_alu instid0(VALU_DEP_3) | instskip(NEXT) | instid1(VALU_DEP_1)
	v_clz_i32_u32_e32 v2, v19
	v_min_u32_e32 v2, 32, v2
	s_delay_alu instid0(VALU_DEP_1) | instskip(SKIP_1) | instid1(VALU_DEP_2)
	v_subrev_nc_u32_e32 v3, 28, v2
	v_sub_nc_u32_e32 v2, 29, v2
	v_lshlrev_b64 v[14:15], v3, v[19:20]
	s_delay_alu instid0(VALU_DEP_1)
	v_and_b32_e32 v19, 7, v14
; %bb.873:                              ;   in Loop: Header=BB438_13 Depth=1
	s_or_b32 exec_lo, exec_lo, s24
	v_lshlrev_b32_e32 v0, 24, v0
	s_delay_alu instid0(VALU_DEP_2) | instskip(SKIP_1) | instid1(VALU_DEP_3)
	v_lshlrev_b32_e32 v3, 20, v19
	v_lshl_add_u32 v2, v2, 23, 0x3c000000
	v_and_b32_e32 v0, 0x80000000, v0
	s_delay_alu instid0(VALU_DEP_1)
	v_or3_b32 v2, v3, v0, v2
.LBB438_874:                            ;   in Loop: Header=BB438_13 Depth=1
	s_or_b32 exec_lo, exec_lo, s23
.LBB438_875:                            ;   in Loop: Header=BB438_13 Depth=1
	s_delay_alu instid0(SALU_CYCLE_1)
	s_or_b32 exec_lo, exec_lo, s22
.LBB438_876:                            ;   in Loop: Header=BB438_13 Depth=1
	s_delay_alu instid0(SALU_CYCLE_1) | instskip(NEXT) | instid1(VALU_DEP_1)
	s_or_b32 exec_lo, exec_lo, s21
	v_mul_f32_e32 v2, v91, v2
	s_delay_alu instid0(VALU_DEP_1) | instskip(NEXT) | instid1(VALU_DEP_1)
	v_and_b32_e32 v0, 0x7f800000, v2
	v_cmp_ne_u32_e64 s1, 0x7f800000, v0
                                        ; implicit-def: $vgpr0
	s_delay_alu instid0(VALU_DEP_1) | instskip(NEXT) | instid1(SALU_CYCLE_1)
	s_and_saveexec_b32 s21, s1
	s_xor_b32 s1, exec_lo, s21
; %bb.877:                              ;   in Loop: Header=BB438_13 Depth=1
	v_bfe_u32 v0, v2, 16, 1
	s_delay_alu instid0(VALU_DEP_1)
	v_add3_u32 v0, v2, v0, 0x7fff
                                        ; implicit-def: $vgpr2
; %bb.878:                              ;   in Loop: Header=BB438_13 Depth=1
	s_and_not1_saveexec_b32 s21, s1
; %bb.879:                              ;   in Loop: Header=BB438_13 Depth=1
	v_and_b32_e32 v0, 0xffff, v2
	v_or_b32_e32 v3, 0x10000, v2
	s_delay_alu instid0(VALU_DEP_2) | instskip(NEXT) | instid1(VALU_DEP_1)
	v_cmp_eq_u32_e64 s1, 0, v0
	v_cndmask_b32_e64 v0, v3, v2, s1
; %bb.880:                              ;   in Loop: Header=BB438_13 Depth=1
	s_or_b32 exec_lo, exec_lo, s21
	flat_load_b64 v[31:32], v[31:32] offset:2056
	s_mov_b32 s21, exec_lo
	s_waitcnt vmcnt(0) lgkmcnt(0)
	v_dual_mov_b32 v2, 0 :: v_dual_and_b32 v3, 0xff, v31
	s_delay_alu instid0(VALU_DEP_1)
	v_cmpx_ne_u16_e32 0, v3
	s_cbranch_execz .LBB438_888
; %bb.881:                              ;   in Loop: Header=BB438_13 Depth=1
	v_bfrev_b32_e32 v2, 1
	s_mov_b32 s22, exec_lo
	v_cmpx_ne_u16_e32 0x80, v3
	s_cbranch_execz .LBB438_887
; %bb.882:                              ;   in Loop: Header=BB438_13 Depth=1
	v_and_b32_e32 v3, 0x7f, v31
	v_mov_b32_e32 v2, 0x7f800001
	s_mov_b32 s23, exec_lo
	s_delay_alu instid0(VALU_DEP_2)
	v_cmpx_ne_u32_e32 0x7f, v3
	s_cbranch_execz .LBB438_886
; %bb.883:                              ;   in Loop: Header=BB438_13 Depth=1
	v_lshrrev_b32_e32 v2, 3, v3
	v_dual_mov_b32 v34, v32 :: v_dual_mov_b32 v33, v31
	s_mov_b32 s24, exec_lo
	v_cmpx_gt_u32_e32 8, v3
; %bb.884:                              ;   in Loop: Header=BB438_13 Depth=1
	v_and_b32_e32 v2, 7, v31
	s_delay_alu instid0(VALU_DEP_1) | instskip(NEXT) | instid1(VALU_DEP_1)
	v_clz_i32_u32_e32 v2, v2
	v_min_u32_e32 v2, 32, v2
	s_delay_alu instid0(VALU_DEP_1) | instskip(SKIP_1) | instid1(VALU_DEP_2)
	v_subrev_nc_u32_e32 v3, 28, v2
	v_sub_nc_u32_e32 v2, 29, v2
	v_lshlrev_b64 v[33:34], v3, v[31:32]
; %bb.885:                              ;   in Loop: Header=BB438_13 Depth=1
	s_or_b32 exec_lo, exec_lo, s24
	s_delay_alu instid0(VALU_DEP_1) | instskip(SKIP_2) | instid1(VALU_DEP_3)
	v_lshlrev_b32_e32 v3, 20, v33
	v_lshlrev_b32_e32 v14, 24, v31
	v_lshl_add_u32 v2, v2, 23, 0x3c000000
	v_and_b32_e32 v3, 0x700000, v3
	s_delay_alu instid0(VALU_DEP_3) | instskip(NEXT) | instid1(VALU_DEP_1)
	v_and_b32_e32 v14, 0x80000000, v14
	v_or3_b32 v2, v3, v14, v2
.LBB438_886:                            ;   in Loop: Header=BB438_13 Depth=1
	s_or_b32 exec_lo, exec_lo, s23
.LBB438_887:                            ;   in Loop: Header=BB438_13 Depth=1
	s_delay_alu instid0(SALU_CYCLE_1)
	s_or_b32 exec_lo, exec_lo, s22
.LBB438_888:                            ;   in Loop: Header=BB438_13 Depth=1
	s_delay_alu instid0(SALU_CYCLE_1) | instskip(NEXT) | instid1(VALU_DEP_1)
	s_or_b32 exec_lo, exec_lo, s21
	v_mul_f32_e32 v2, v91, v2
	s_delay_alu instid0(VALU_DEP_1) | instskip(NEXT) | instid1(VALU_DEP_1)
	v_and_b32_e32 v3, 0x7f800000, v2
	v_cmp_ne_u32_e64 s1, 0x7f800000, v3
                                        ; implicit-def: $vgpr3
	s_delay_alu instid0(VALU_DEP_1) | instskip(NEXT) | instid1(SALU_CYCLE_1)
	s_and_saveexec_b32 s21, s1
	s_xor_b32 s1, exec_lo, s21
; %bb.889:                              ;   in Loop: Header=BB438_13 Depth=1
	v_bfe_u32 v3, v2, 16, 1
	s_delay_alu instid0(VALU_DEP_1)
	v_add3_u32 v3, v2, v3, 0x7fff
                                        ; implicit-def: $vgpr2
; %bb.890:                              ;   in Loop: Header=BB438_13 Depth=1
	s_and_not1_saveexec_b32 s21, s1
; %bb.891:                              ;   in Loop: Header=BB438_13 Depth=1
	v_and_b32_e32 v3, 0xffff, v2
	v_or_b32_e32 v14, 0x10000, v2
	s_delay_alu instid0(VALU_DEP_2) | instskip(NEXT) | instid1(VALU_DEP_1)
	v_cmp_eq_u32_e64 s1, 0, v3
	v_cndmask_b32_e64 v3, v14, v2, s1
; %bb.892:                              ;   in Loop: Header=BB438_13 Depth=1
	s_or_b32 exec_lo, exec_lo, s21
	v_lshrrev_b16 v14, 8, v31
	v_mov_b32_e32 v2, 0
	s_mov_b32 s21, exec_lo
	s_delay_alu instid0(VALU_DEP_2)
	v_cmpx_ne_u16_e32 0, v14
	s_cbranch_execz .LBB438_900
; %bb.893:                              ;   in Loop: Header=BB438_13 Depth=1
	v_bfrev_b32_e32 v2, 1
	s_mov_b32 s22, exec_lo
	v_cmpx_ne_u16_e32 0x80, v14
	s_cbranch_execz .LBB438_899
; %bb.894:                              ;   in Loop: Header=BB438_13 Depth=1
	v_and_b32_e32 v15, 0xffff, v14
	v_mov_b32_e32 v2, 0x7f800001
	s_mov_b32 s23, exec_lo
	s_delay_alu instid0(VALU_DEP_2) | instskip(NEXT) | instid1(VALU_DEP_1)
	v_and_b32_e32 v14, 0x7f, v15
	v_cmpx_ne_u32_e32 0x7f, v14
	s_cbranch_execz .LBB438_898
; %bb.895:                              ;   in Loop: Header=BB438_13 Depth=1
	v_and_b32_e32 v19, 7, v15
	v_lshrrev_b32_e32 v2, 3, v14
	s_mov_b32 s24, exec_lo
	v_cmpx_gt_u32_e32 8, v14
; %bb.896:                              ;   in Loop: Header=BB438_13 Depth=1
	s_delay_alu instid0(VALU_DEP_3) | instskip(NEXT) | instid1(VALU_DEP_1)
	v_clz_i32_u32_e32 v2, v19
	v_min_u32_e32 v2, 32, v2
	s_delay_alu instid0(VALU_DEP_1) | instskip(SKIP_1) | instid1(VALU_DEP_2)
	v_subrev_nc_u32_e32 v14, 28, v2
	v_sub_nc_u32_e32 v2, 29, v2
	v_lshlrev_b64 v[14:15], v14, v[19:20]
	s_delay_alu instid0(VALU_DEP_1)
	v_and_b32_e32 v19, 7, v14
; %bb.897:                              ;   in Loop: Header=BB438_13 Depth=1
	s_or_b32 exec_lo, exec_lo, s24
	v_lshlrev_b32_e32 v14, 16, v31
	s_delay_alu instid0(VALU_DEP_2) | instskip(SKIP_1) | instid1(VALU_DEP_3)
	v_lshlrev_b32_e32 v15, 20, v19
	v_lshl_add_u32 v2, v2, 23, 0x3c000000
	v_and_b32_e32 v14, 0x80000000, v14
	s_delay_alu instid0(VALU_DEP_1)
	v_or3_b32 v2, v15, v14, v2
.LBB438_898:                            ;   in Loop: Header=BB438_13 Depth=1
	s_or_b32 exec_lo, exec_lo, s23
.LBB438_899:                            ;   in Loop: Header=BB438_13 Depth=1
	s_delay_alu instid0(SALU_CYCLE_1)
	s_or_b32 exec_lo, exec_lo, s22
.LBB438_900:                            ;   in Loop: Header=BB438_13 Depth=1
	s_delay_alu instid0(SALU_CYCLE_1) | instskip(NEXT) | instid1(VALU_DEP_1)
	s_or_b32 exec_lo, exec_lo, s21
	v_mul_f32_e32 v14, v91, v2
	s_delay_alu instid0(VALU_DEP_1) | instskip(NEXT) | instid1(VALU_DEP_1)
	v_and_b32_e32 v2, 0x7f800000, v14
	v_cmp_ne_u32_e64 s1, 0x7f800000, v2
                                        ; implicit-def: $vgpr2
	s_delay_alu instid0(VALU_DEP_1) | instskip(NEXT) | instid1(SALU_CYCLE_1)
	s_and_saveexec_b32 s21, s1
	s_xor_b32 s1, exec_lo, s21
; %bb.901:                              ;   in Loop: Header=BB438_13 Depth=1
	v_bfe_u32 v2, v14, 16, 1
	s_delay_alu instid0(VALU_DEP_1)
	v_add3_u32 v2, v14, v2, 0x7fff
                                        ; implicit-def: $vgpr14
; %bb.902:                              ;   in Loop: Header=BB438_13 Depth=1
	s_and_not1_saveexec_b32 s21, s1
; %bb.903:                              ;   in Loop: Header=BB438_13 Depth=1
	v_and_b32_e32 v2, 0xffff, v14
	v_or_b32_e32 v15, 0x10000, v14
	s_delay_alu instid0(VALU_DEP_2) | instskip(NEXT) | instid1(VALU_DEP_1)
	v_cmp_eq_u32_e64 s1, 0, v2
	v_cndmask_b32_e64 v2, v15, v14, s1
; %bb.904:                              ;   in Loop: Header=BB438_13 Depth=1
	s_or_b32 exec_lo, exec_lo, s21
	v_lshrrev_b32_e32 v14, 16, v31
	v_mov_b32_e32 v15, 0
	s_mov_b32 s21, exec_lo
	s_delay_alu instid0(VALU_DEP_2) | instskip(NEXT) | instid1(VALU_DEP_1)
	v_and_b32_e32 v19, 0xff, v14
	v_cmpx_ne_u16_e32 0, v19
	s_cbranch_execz .LBB438_912
; %bb.905:                              ;   in Loop: Header=BB438_13 Depth=1
	v_bfrev_b32_e32 v15, 1
	s_mov_b32 s22, exec_lo
	v_cmpx_ne_u16_e32 0x80, v19
	s_cbranch_execz .LBB438_911
; %bb.906:                              ;   in Loop: Header=BB438_13 Depth=1
	v_bfe_u32 v30, v31, 16, 7
	v_mov_b32_e32 v15, 0x7f800001
	s_mov_b32 s23, exec_lo
	s_delay_alu instid0(VALU_DEP_2)
	v_cmpx_ne_u32_e32 0x7f, v30
	s_cbranch_execz .LBB438_910
; %bb.907:                              ;   in Loop: Header=BB438_13 Depth=1
	v_and_b32_e32 v19, 7, v14
	v_lshrrev_b32_e32 v15, 3, v30
	s_mov_b32 s24, exec_lo
	v_cmpx_gt_u32_e32 8, v30
; %bb.908:                              ;   in Loop: Header=BB438_13 Depth=1
	s_delay_alu instid0(VALU_DEP_3) | instskip(NEXT) | instid1(VALU_DEP_1)
	v_clz_i32_u32_e32 v15, v19
	v_min_u32_e32 v15, 32, v15
	s_delay_alu instid0(VALU_DEP_1) | instskip(SKIP_1) | instid1(VALU_DEP_2)
	v_subrev_nc_u32_e32 v30, 28, v15
	v_sub_nc_u32_e32 v15, 29, v15
	v_lshlrev_b64 v[33:34], v30, v[19:20]
	s_delay_alu instid0(VALU_DEP_1)
	v_and_b32_e32 v19, 7, v33
; %bb.909:                              ;   in Loop: Header=BB438_13 Depth=1
	s_or_b32 exec_lo, exec_lo, s24
	v_lshlrev_b32_e32 v14, 24, v14
	s_delay_alu instid0(VALU_DEP_2) | instskip(SKIP_1) | instid1(VALU_DEP_3)
	v_lshlrev_b32_e32 v19, 20, v19
	v_lshl_add_u32 v15, v15, 23, 0x3c000000
	v_and_b32_e32 v14, 0x80000000, v14
	s_delay_alu instid0(VALU_DEP_1)
	v_or3_b32 v15, v19, v14, v15
.LBB438_910:                            ;   in Loop: Header=BB438_13 Depth=1
	s_or_b32 exec_lo, exec_lo, s23
.LBB438_911:                            ;   in Loop: Header=BB438_13 Depth=1
	s_delay_alu instid0(SALU_CYCLE_1)
	s_or_b32 exec_lo, exec_lo, s22
.LBB438_912:                            ;   in Loop: Header=BB438_13 Depth=1
	s_delay_alu instid0(SALU_CYCLE_1) | instskip(NEXT) | instid1(VALU_DEP_1)
	s_or_b32 exec_lo, exec_lo, s21
	v_mul_f32_e32 v14, v91, v15
	s_delay_alu instid0(VALU_DEP_1) | instskip(NEXT) | instid1(VALU_DEP_1)
	v_and_b32_e32 v15, 0x7f800000, v14
	v_cmp_ne_u32_e64 s1, 0x7f800000, v15
                                        ; implicit-def: $vgpr15
	s_delay_alu instid0(VALU_DEP_1) | instskip(NEXT) | instid1(SALU_CYCLE_1)
	s_and_saveexec_b32 s21, s1
	s_xor_b32 s1, exec_lo, s21
; %bb.913:                              ;   in Loop: Header=BB438_13 Depth=1
	v_bfe_u32 v15, v14, 16, 1
	s_delay_alu instid0(VALU_DEP_1)
	v_add3_u32 v15, v14, v15, 0x7fff
                                        ; implicit-def: $vgpr14
; %bb.914:                              ;   in Loop: Header=BB438_13 Depth=1
	s_and_not1_saveexec_b32 s21, s1
; %bb.915:                              ;   in Loop: Header=BB438_13 Depth=1
	v_and_b32_e32 v15, 0xffff, v14
	v_or_b32_e32 v19, 0x10000, v14
	s_delay_alu instid0(VALU_DEP_2) | instskip(NEXT) | instid1(VALU_DEP_1)
	v_cmp_eq_u32_e64 s1, 0, v15
	v_cndmask_b32_e64 v15, v19, v14, s1
; %bb.916:                              ;   in Loop: Header=BB438_13 Depth=1
	s_or_b32 exec_lo, exec_lo, s21
	v_mov_b32_e32 v19, 0
	s_mov_b32 s21, exec_lo
	v_cmpx_lt_u32_e32 0xffffff, v31
	s_cbranch_execz .LBB438_924
; %bb.917:                              ;   in Loop: Header=BB438_13 Depth=1
	v_lshrrev_b32_e32 v14, 24, v31
	v_bfrev_b32_e32 v19, 1
	s_mov_b32 s22, exec_lo
	s_delay_alu instid0(VALU_DEP_2)
	v_cmpx_ne_u32_e32 0x80, v14
	s_cbranch_execz .LBB438_923
; %bb.918:                              ;   in Loop: Header=BB438_13 Depth=1
	v_bfe_u32 v33, v31, 24, 7
	v_mov_b32_e32 v19, 0x7f800001
	s_mov_b32 s23, exec_lo
	s_delay_alu instid0(VALU_DEP_2)
	v_cmpx_ne_u32_e32 0x7f, v33
	s_cbranch_execz .LBB438_922
; %bb.919:                              ;   in Loop: Header=BB438_13 Depth=1
	v_and_b32_e32 v19, 7, v14
	v_lshrrev_b32_e32 v30, 3, v33
	s_mov_b32 s24, exec_lo
	v_cmpx_gt_u32_e32 8, v33
; %bb.920:                              ;   in Loop: Header=BB438_13 Depth=1
	s_delay_alu instid0(VALU_DEP_3) | instskip(NEXT) | instid1(VALU_DEP_1)
	v_clz_i32_u32_e32 v30, v19
	v_min_u32_e32 v30, 32, v30
	s_delay_alu instid0(VALU_DEP_1) | instskip(SKIP_1) | instid1(VALU_DEP_2)
	v_subrev_nc_u32_e32 v33, 28, v30
	v_sub_nc_u32_e32 v30, 29, v30
	v_lshlrev_b64 v[33:34], v33, v[19:20]
	s_delay_alu instid0(VALU_DEP_1)
	v_and_b32_e32 v19, 7, v33
; %bb.921:                              ;   in Loop: Header=BB438_13 Depth=1
	s_or_b32 exec_lo, exec_lo, s24
	v_lshlrev_b32_e32 v14, 24, v14
	s_delay_alu instid0(VALU_DEP_2) | instskip(SKIP_1) | instid1(VALU_DEP_3)
	v_lshlrev_b32_e32 v19, 20, v19
	v_lshl_add_u32 v30, v30, 23, 0x3c000000
	v_and_b32_e32 v14, 0x80000000, v14
	s_delay_alu instid0(VALU_DEP_1)
	v_or3_b32 v19, v19, v14, v30
.LBB438_922:                            ;   in Loop: Header=BB438_13 Depth=1
	s_or_b32 exec_lo, exec_lo, s23
.LBB438_923:                            ;   in Loop: Header=BB438_13 Depth=1
	s_delay_alu instid0(SALU_CYCLE_1)
	s_or_b32 exec_lo, exec_lo, s22
.LBB438_924:                            ;   in Loop: Header=BB438_13 Depth=1
	s_delay_alu instid0(SALU_CYCLE_1) | instskip(NEXT) | instid1(VALU_DEP_1)
	s_or_b32 exec_lo, exec_lo, s21
	v_mul_f32_e32 v19, v91, v19
	s_delay_alu instid0(VALU_DEP_1) | instskip(NEXT) | instid1(VALU_DEP_1)
	v_and_b32_e32 v14, 0x7f800000, v19
	v_cmp_ne_u32_e64 s1, 0x7f800000, v14
                                        ; implicit-def: $vgpr14
	s_delay_alu instid0(VALU_DEP_1) | instskip(NEXT) | instid1(SALU_CYCLE_1)
	s_and_saveexec_b32 s21, s1
	s_xor_b32 s1, exec_lo, s21
; %bb.925:                              ;   in Loop: Header=BB438_13 Depth=1
	v_bfe_u32 v14, v19, 16, 1
	s_delay_alu instid0(VALU_DEP_1)
	v_add3_u32 v14, v19, v14, 0x7fff
                                        ; implicit-def: $vgpr19
; %bb.926:                              ;   in Loop: Header=BB438_13 Depth=1
	s_and_not1_saveexec_b32 s21, s1
; %bb.927:                              ;   in Loop: Header=BB438_13 Depth=1
	v_and_b32_e32 v14, 0xffff, v19
	v_or_b32_e32 v30, 0x10000, v19
	s_delay_alu instid0(VALU_DEP_2) | instskip(NEXT) | instid1(VALU_DEP_1)
	v_cmp_eq_u32_e64 s1, 0, v14
	v_cndmask_b32_e64 v14, v30, v19, s1
; %bb.928:                              ;   in Loop: Header=BB438_13 Depth=1
	s_or_b32 exec_lo, exec_lo, s21
	v_dual_mov_b32 v30, 0 :: v_dual_and_b32 v33, 0xff, v32
	v_mov_b32_e32 v19, v32
	s_mov_b32 s21, exec_lo
	s_delay_alu instid0(VALU_DEP_2)
	v_cmpx_ne_u16_e32 0, v33
	s_cbranch_execz .LBB438_936
; %bb.929:                              ;   in Loop: Header=BB438_13 Depth=1
	v_bfrev_b32_e32 v30, 1
	s_mov_b32 s22, exec_lo
	v_cmpx_ne_u16_e32 0x80, v33
	s_cbranch_execz .LBB438_935
; %bb.930:                              ;   in Loop: Header=BB438_13 Depth=1
	v_and_b32_e32 v33, 0x7f, v32
	v_mov_b32_e32 v30, 0x7f800001
	s_mov_b32 s23, exec_lo
	s_delay_alu instid0(VALU_DEP_2)
	v_cmpx_ne_u32_e32 0x7f, v33
	s_cbranch_execz .LBB438_934
; %bb.931:                              ;   in Loop: Header=BB438_13 Depth=1
	v_lshrrev_b32_e32 v30, 3, v33
	v_cmp_gt_u32_e64 s1, 8, v33
	v_dual_mov_b32 v34, v20 :: v_dual_mov_b32 v33, v19
	s_delay_alu instid0(VALU_DEP_2)
	s_and_saveexec_b32 s24, s1
; %bb.932:                              ;   in Loop: Header=BB438_13 Depth=1
	v_and_b32_e32 v30, 7, v32
	s_delay_alu instid0(VALU_DEP_1) | instskip(NEXT) | instid1(VALU_DEP_1)
	v_clz_i32_u32_e32 v30, v30
	v_min_u32_e32 v30, 32, v30
	s_delay_alu instid0(VALU_DEP_1) | instskip(SKIP_1) | instid1(VALU_DEP_2)
	v_subrev_nc_u32_e32 v33, 28, v30
	v_sub_nc_u32_e32 v30, 29, v30
	v_lshlrev_b64 v[33:34], v33, v[19:20]
; %bb.933:                              ;   in Loop: Header=BB438_13 Depth=1
	s_or_b32 exec_lo, exec_lo, s24
	s_delay_alu instid0(VALU_DEP_1) | instskip(SKIP_2) | instid1(VALU_DEP_3)
	v_lshlrev_b32_e32 v33, 20, v33
	v_lshlrev_b32_e32 v34, 24, v19
	v_lshl_add_u32 v30, v30, 23, 0x3c000000
	v_and_b32_e32 v33, 0x700000, v33
	s_delay_alu instid0(VALU_DEP_3) | instskip(NEXT) | instid1(VALU_DEP_1)
	v_and_b32_e32 v34, 0x80000000, v34
	v_or3_b32 v30, v33, v34, v30
.LBB438_934:                            ;   in Loop: Header=BB438_13 Depth=1
	s_or_b32 exec_lo, exec_lo, s23
.LBB438_935:                            ;   in Loop: Header=BB438_13 Depth=1
	s_delay_alu instid0(SALU_CYCLE_1)
	s_or_b32 exec_lo, exec_lo, s22
.LBB438_936:                            ;   in Loop: Header=BB438_13 Depth=1
	s_delay_alu instid0(SALU_CYCLE_1) | instskip(NEXT) | instid1(VALU_DEP_1)
	s_or_b32 exec_lo, exec_lo, s21
	v_mul_f32_e32 v33, v91, v30
	s_delay_alu instid0(VALU_DEP_1) | instskip(NEXT) | instid1(VALU_DEP_1)
	v_and_b32_e32 v30, 0x7f800000, v33
	v_cmp_ne_u32_e64 s1, 0x7f800000, v30
                                        ; implicit-def: $vgpr30
	s_delay_alu instid0(VALU_DEP_1) | instskip(NEXT) | instid1(SALU_CYCLE_1)
	s_and_saveexec_b32 s21, s1
	s_xor_b32 s1, exec_lo, s21
; %bb.937:                              ;   in Loop: Header=BB438_13 Depth=1
	v_bfe_u32 v30, v33, 16, 1
	s_delay_alu instid0(VALU_DEP_1)
	v_add3_u32 v30, v33, v30, 0x7fff
                                        ; implicit-def: $vgpr33
; %bb.938:                              ;   in Loop: Header=BB438_13 Depth=1
	s_and_not1_saveexec_b32 s21, s1
; %bb.939:                              ;   in Loop: Header=BB438_13 Depth=1
	v_and_b32_e32 v30, 0xffff, v33
	v_or_b32_e32 v34, 0x10000, v33
	s_delay_alu instid0(VALU_DEP_2) | instskip(NEXT) | instid1(VALU_DEP_1)
	v_cmp_eq_u32_e64 s1, 0, v30
	v_cndmask_b32_e64 v30, v34, v33, s1
; %bb.940:                              ;   in Loop: Header=BB438_13 Depth=1
	s_or_b32 exec_lo, exec_lo, s21
	v_lshrrev_b16 v34, 8, v19
	v_mov_b32_e32 v33, 0
	s_mov_b32 s21, exec_lo
	s_delay_alu instid0(VALU_DEP_2)
	v_cmpx_ne_u16_e32 0, v34
	s_cbranch_execz .LBB438_948
; %bb.941:                              ;   in Loop: Header=BB438_13 Depth=1
	v_bfrev_b32_e32 v33, 1
	s_mov_b32 s22, exec_lo
	v_cmpx_ne_u16_e32 0x80, v34
	s_cbranch_execz .LBB438_947
; %bb.942:                              ;   in Loop: Header=BB438_13 Depth=1
	v_and_b32_e32 v34, 0xffff, v34
	v_mov_b32_e32 v33, 0x7f800001
	s_mov_b32 s23, exec_lo
	s_delay_alu instid0(VALU_DEP_2) | instskip(NEXT) | instid1(VALU_DEP_1)
	v_and_b32_e32 v68, 0x7f, v34
	v_cmpx_ne_u32_e32 0x7f, v68
	s_cbranch_execz .LBB438_946
; %bb.943:                              ;   in Loop: Header=BB438_13 Depth=1
	v_dual_mov_b32 v34, v20 :: v_dual_and_b32 v33, 7, v34
	v_lshrrev_b32_e32 v67, 3, v68
	s_mov_b32 s24, exec_lo
	v_cmpx_gt_u32_e32 8, v68
; %bb.944:                              ;   in Loop: Header=BB438_13 Depth=1
	s_delay_alu instid0(VALU_DEP_3) | instskip(NEXT) | instid1(VALU_DEP_1)
	v_clz_i32_u32_e32 v67, v33
	v_min_u32_e32 v67, 32, v67
	s_delay_alu instid0(VALU_DEP_1) | instskip(SKIP_1) | instid1(VALU_DEP_2)
	v_subrev_nc_u32_e32 v68, 28, v67
	v_sub_nc_u32_e32 v67, 29, v67
	v_lshlrev_b64 v[33:34], v68, v[33:34]
	s_delay_alu instid0(VALU_DEP_1)
	v_and_b32_e32 v33, 7, v33
; %bb.945:                              ;   in Loop: Header=BB438_13 Depth=1
	s_or_b32 exec_lo, exec_lo, s24
	v_lshlrev_b32_e32 v19, 16, v19
	s_delay_alu instid0(VALU_DEP_2) | instskip(SKIP_1) | instid1(VALU_DEP_3)
	v_lshlrev_b32_e32 v33, 20, v33
	v_lshl_add_u32 v34, v67, 23, 0x3c000000
	v_and_b32_e32 v19, 0x80000000, v19
	s_delay_alu instid0(VALU_DEP_1)
	v_or3_b32 v33, v33, v19, v34
.LBB438_946:                            ;   in Loop: Header=BB438_13 Depth=1
	s_or_b32 exec_lo, exec_lo, s23
.LBB438_947:                            ;   in Loop: Header=BB438_13 Depth=1
	s_delay_alu instid0(SALU_CYCLE_1)
	s_or_b32 exec_lo, exec_lo, s22
.LBB438_948:                            ;   in Loop: Header=BB438_13 Depth=1
	s_delay_alu instid0(SALU_CYCLE_1) | instskip(NEXT) | instid1(VALU_DEP_1)
	s_or_b32 exec_lo, exec_lo, s21
	v_mul_f32_e32 v19, v91, v33
	s_delay_alu instid0(VALU_DEP_1) | instskip(NEXT) | instid1(VALU_DEP_1)
	v_and_b32_e32 v33, 0x7f800000, v19
	v_cmp_ne_u32_e64 s1, 0x7f800000, v33
                                        ; implicit-def: $vgpr33
	s_delay_alu instid0(VALU_DEP_1) | instskip(NEXT) | instid1(SALU_CYCLE_1)
	s_and_saveexec_b32 s21, s1
	s_xor_b32 s1, exec_lo, s21
; %bb.949:                              ;   in Loop: Header=BB438_13 Depth=1
	v_bfe_u32 v33, v19, 16, 1
	s_delay_alu instid0(VALU_DEP_1)
	v_add3_u32 v33, v19, v33, 0x7fff
                                        ; implicit-def: $vgpr19
; %bb.950:                              ;   in Loop: Header=BB438_13 Depth=1
	s_and_not1_saveexec_b32 s21, s1
; %bb.951:                              ;   in Loop: Header=BB438_13 Depth=1
	v_and_b32_e32 v33, 0xffff, v19
	v_or_b32_e32 v34, 0x10000, v19
	s_delay_alu instid0(VALU_DEP_2) | instskip(NEXT) | instid1(VALU_DEP_1)
	v_cmp_eq_u32_e64 s1, 0, v33
	v_cndmask_b32_e64 v33, v34, v19, s1
; %bb.952:                              ;   in Loop: Header=BB438_13 Depth=1
	s_or_b32 exec_lo, exec_lo, s21
	v_lshrrev_b32_e32 v34, 16, v32
	v_mov_b32_e32 v19, 0
	s_mov_b32 s21, exec_lo
	s_delay_alu instid0(VALU_DEP_2) | instskip(NEXT) | instid1(VALU_DEP_1)
	v_and_b32_e32 v67, 0xff, v34
	v_cmpx_ne_u16_e32 0, v67
	s_cbranch_execz .LBB438_960
; %bb.953:                              ;   in Loop: Header=BB438_13 Depth=1
	v_bfrev_b32_e32 v19, 1
	s_mov_b32 s22, exec_lo
	v_cmpx_ne_u16_e32 0x80, v67
	s_cbranch_execz .LBB438_959
; %bb.954:                              ;   in Loop: Header=BB438_13 Depth=1
	v_bfe_u32 v68, v32, 16, 7
	v_mov_b32_e32 v19, 0x7f800001
	s_mov_b32 s23, exec_lo
	s_delay_alu instid0(VALU_DEP_2)
	v_cmpx_ne_u32_e32 0x7f, v68
	s_cbranch_execz .LBB438_958
; %bb.955:                              ;   in Loop: Header=BB438_13 Depth=1
	v_and_b32_e32 v19, 7, v34
	v_lshrrev_b32_e32 v67, 3, v68
	s_mov_b32 s24, exec_lo
	v_cmpx_gt_u32_e32 8, v68
; %bb.956:                              ;   in Loop: Header=BB438_13 Depth=1
	s_delay_alu instid0(VALU_DEP_3) | instskip(NEXT) | instid1(VALU_DEP_1)
	v_clz_i32_u32_e32 v67, v19
	v_min_u32_e32 v67, 32, v67
	s_delay_alu instid0(VALU_DEP_1) | instskip(SKIP_1) | instid1(VALU_DEP_2)
	v_subrev_nc_u32_e32 v68, 28, v67
	v_sub_nc_u32_e32 v67, 29, v67
	v_lshlrev_b64 v[68:69], v68, v[19:20]
	s_delay_alu instid0(VALU_DEP_1)
	v_and_b32_e32 v19, 7, v68
; %bb.957:                              ;   in Loop: Header=BB438_13 Depth=1
	s_or_b32 exec_lo, exec_lo, s24
	v_lshlrev_b32_e32 v34, 24, v34
	s_delay_alu instid0(VALU_DEP_2) | instskip(SKIP_1) | instid1(VALU_DEP_3)
	v_lshlrev_b32_e32 v19, 20, v19
	v_lshl_add_u32 v67, v67, 23, 0x3c000000
	v_and_b32_e32 v34, 0x80000000, v34
	s_delay_alu instid0(VALU_DEP_1)
	v_or3_b32 v19, v19, v34, v67
.LBB438_958:                            ;   in Loop: Header=BB438_13 Depth=1
	s_or_b32 exec_lo, exec_lo, s23
.LBB438_959:                            ;   in Loop: Header=BB438_13 Depth=1
	s_delay_alu instid0(SALU_CYCLE_1)
	s_or_b32 exec_lo, exec_lo, s22
.LBB438_960:                            ;   in Loop: Header=BB438_13 Depth=1
	s_delay_alu instid0(SALU_CYCLE_1) | instskip(NEXT) | instid1(VALU_DEP_1)
	s_or_b32 exec_lo, exec_lo, s21
	v_mul_f32_e32 v19, v91, v19
	s_delay_alu instid0(VALU_DEP_1) | instskip(NEXT) | instid1(VALU_DEP_1)
	v_and_b32_e32 v34, 0x7f800000, v19
	v_cmp_ne_u32_e64 s1, 0x7f800000, v34
                                        ; implicit-def: $vgpr34
	s_delay_alu instid0(VALU_DEP_1) | instskip(NEXT) | instid1(SALU_CYCLE_1)
	s_and_saveexec_b32 s21, s1
	s_xor_b32 s1, exec_lo, s21
; %bb.961:                              ;   in Loop: Header=BB438_13 Depth=1
	v_bfe_u32 v34, v19, 16, 1
	s_delay_alu instid0(VALU_DEP_1)
	v_add3_u32 v34, v19, v34, 0x7fff
                                        ; implicit-def: $vgpr19
; %bb.962:                              ;   in Loop: Header=BB438_13 Depth=1
	s_and_not1_saveexec_b32 s21, s1
; %bb.963:                              ;   in Loop: Header=BB438_13 Depth=1
	v_and_b32_e32 v34, 0xffff, v19
	v_or_b32_e32 v67, 0x10000, v19
	s_delay_alu instid0(VALU_DEP_2) | instskip(NEXT) | instid1(VALU_DEP_1)
	v_cmp_eq_u32_e64 s1, 0, v34
	v_cndmask_b32_e64 v34, v67, v19, s1
; %bb.964:                              ;   in Loop: Header=BB438_13 Depth=1
	s_or_b32 exec_lo, exec_lo, s21
	v_mov_b32_e32 v19, 0
	s_mov_b32 s21, exec_lo
	v_cmpx_lt_u64_e64 s[16:17], v[31:32]
	s_cbranch_execz .LBB438_972
; %bb.965:                              ;   in Loop: Header=BB438_13 Depth=1
	v_lshrrev_b32_e32 v31, 24, v32
	v_bfrev_b32_e32 v19, 1
	s_mov_b32 s22, exec_lo
	s_delay_alu instid0(VALU_DEP_2)
	v_cmpx_ne_u32_e32 0x80, v31
	s_cbranch_execz .LBB438_971
; %bb.966:                              ;   in Loop: Header=BB438_13 Depth=1
	v_bfe_u32 v67, v32, 24, 7
	v_mov_b32_e32 v19, 0x7f800001
	s_mov_b32 s23, exec_lo
	s_delay_alu instid0(VALU_DEP_2)
	v_cmpx_ne_u32_e32 0x7f, v67
	s_cbranch_execz .LBB438_970
; %bb.967:                              ;   in Loop: Header=BB438_13 Depth=1
	v_and_b32_e32 v19, 7, v31
	v_lshrrev_b32_e32 v32, 3, v67
	s_mov_b32 s24, exec_lo
	v_cmpx_gt_u32_e32 8, v67
; %bb.968:                              ;   in Loop: Header=BB438_13 Depth=1
	s_delay_alu instid0(VALU_DEP_3) | instskip(NEXT) | instid1(VALU_DEP_1)
	v_clz_i32_u32_e32 v32, v19
	v_min_u32_e32 v32, 32, v32
	s_delay_alu instid0(VALU_DEP_1) | instskip(SKIP_1) | instid1(VALU_DEP_2)
	v_subrev_nc_u32_e32 v67, 28, v32
	v_sub_nc_u32_e32 v32, 29, v32
	v_lshlrev_b64 v[67:68], v67, v[19:20]
	s_delay_alu instid0(VALU_DEP_1)
	v_and_b32_e32 v19, 7, v67
; %bb.969:                              ;   in Loop: Header=BB438_13 Depth=1
	s_or_b32 exec_lo, exec_lo, s24
	v_lshlrev_b32_e32 v31, 24, v31
	s_delay_alu instid0(VALU_DEP_2) | instskip(SKIP_1) | instid1(VALU_DEP_3)
	v_lshlrev_b32_e32 v19, 20, v19
	v_lshl_add_u32 v32, v32, 23, 0x3c000000
	v_and_b32_e32 v31, 0x80000000, v31
	s_delay_alu instid0(VALU_DEP_1)
	v_or3_b32 v19, v19, v31, v32
.LBB438_970:                            ;   in Loop: Header=BB438_13 Depth=1
	s_or_b32 exec_lo, exec_lo, s23
.LBB438_971:                            ;   in Loop: Header=BB438_13 Depth=1
	s_delay_alu instid0(SALU_CYCLE_1)
	s_or_b32 exec_lo, exec_lo, s22
.LBB438_972:                            ;   in Loop: Header=BB438_13 Depth=1
	s_delay_alu instid0(SALU_CYCLE_1) | instskip(NEXT) | instid1(VALU_DEP_1)
	s_or_b32 exec_lo, exec_lo, s21
	v_mul_f32_e32 v31, v91, v19
	s_delay_alu instid0(VALU_DEP_1) | instskip(NEXT) | instid1(VALU_DEP_1)
	v_and_b32_e32 v19, 0x7f800000, v31
	v_cmp_ne_u32_e64 s1, 0x7f800000, v19
                                        ; implicit-def: $vgpr19
	s_delay_alu instid0(VALU_DEP_1) | instskip(NEXT) | instid1(SALU_CYCLE_1)
	s_and_saveexec_b32 s21, s1
	s_xor_b32 s1, exec_lo, s21
; %bb.973:                              ;   in Loop: Header=BB438_13 Depth=1
	v_bfe_u32 v19, v31, 16, 1
	s_delay_alu instid0(VALU_DEP_1)
	v_add3_u32 v19, v31, v19, 0x7fff
                                        ; implicit-def: $vgpr31
; %bb.974:                              ;   in Loop: Header=BB438_13 Depth=1
	s_and_not1_saveexec_b32 s21, s1
	s_cbranch_execz .LBB438_11
; %bb.975:                              ;   in Loop: Header=BB438_13 Depth=1
	v_and_b32_e32 v19, 0xffff, v31
	v_or_b32_e32 v32, 0x10000, v31
	s_delay_alu instid0(VALU_DEP_2) | instskip(NEXT) | instid1(VALU_DEP_1)
	v_cmp_eq_u32_e64 s1, 0, v19
	v_cndmask_b32_e64 v19, v32, v31, s1
	s_branch .LBB438_11
.LBB438_976:
	s_or_b32 exec_lo, exec_lo, s20
	s_clause 0x11
	scratch_load_b32 v90, off, s32 offset:360
	scratch_load_b32 v88, off, s32 offset:348
	;; [unrolled: 1-line block ×12, first 2 shown]
	scratch_load_b64 v[68:69], off, s32 offset:400
	scratch_load_b32 v37, off, s32 offset:408
	scratch_load_b32 v39, off, s32 offset:412
	;; [unrolled: 1-line block ×5, first 2 shown]
.LBB438_977:
	s_or_b32 exec_lo, exec_lo, s19
	v_mbcnt_lo_u32_b32 v0, -1, 0
	s_waitcnt lgkmcnt(0)
	s_lshr_b32 s8, s15, 16
	s_delay_alu instid0(VALU_DEP_1) | instskip(SKIP_2) | instid1(VALU_DEP_3)
	v_xor_b32_e32 v1, 16, v0
	v_xor_b32_e32 v3, 8, v0
	;; [unrolled: 1-line block ×3, first 2 shown]
	v_cmp_gt_i32_e32 vcc_lo, 32, v1
	v_cndmask_b32_e32 v1, v0, v1, vcc_lo
	s_delay_alu instid0(VALU_DEP_4) | instskip(NEXT) | instid1(VALU_DEP_2)
	v_cmp_gt_i32_e32 vcc_lo, 32, v3
	v_dual_cndmask_b32 v3, v0, v3 :: v_dual_lshlrev_b32 v2, 2, v1
	v_max_f32_e32 v4, v61, v61
	v_cmp_gt_i32_e32 vcc_lo, 32, v5
	ds_bpermute_b32 v1, v2, v61
	v_lshlrev_b32_e32 v3, 2, v3
	v_cndmask_b32_e32 v5, v0, v5, vcc_lo
	s_waitcnt lgkmcnt(0)
	v_max_f32_e32 v1, v1, v1
	s_delay_alu instid0(VALU_DEP_1) | instskip(SKIP_3) | instid1(VALU_DEP_1)
	v_max_f32_e32 v1, v4, v1
	ds_bpermute_b32 v4, v3, v1
	s_waitcnt lgkmcnt(0)
	v_max_f32_e32 v6, v4, v4
	v_dual_max_f32 v1, v1, v6 :: v_dual_lshlrev_b32 v4, 2, v5
	v_xor_b32_e32 v6, 2, v0
	ds_bpermute_b32 v5, v4, v1
	v_cmp_gt_i32_e32 vcc_lo, 32, v6
	s_waitcnt lgkmcnt(0)
	v_dual_cndmask_b32 v6, v0, v6 :: v_dual_max_f32 v5, v5, v5
	s_delay_alu instid0(VALU_DEP_1) | instskip(SKIP_1) | instid1(VALU_DEP_1)
	v_lshlrev_b32_e32 v20, 2, v6
	v_xor_b32_e32 v6, 1, v0
	v_cmp_gt_i32_e32 vcc_lo, 32, v6
	s_delay_alu instid0(VALU_DEP_4) | instskip(SKIP_4) | instid1(VALU_DEP_1)
	v_dual_max_f32 v1, v1, v5 :: v_dual_cndmask_b32 v6, v0, v6
	ds_bpermute_b32 v5, v20, v1
	v_lshlrev_b32_e32 v19, 2, v6
	s_waitcnt lgkmcnt(0)
	v_max_f32_e32 v5, v5, v5
	v_max_f32_e32 v0, v1, v5
	scratch_load_b32 v5, off, s32 offset:328 ; 4-byte Folded Reload
	ds_bpermute_b32 v1, v19, v0
	s_waitcnt vmcnt(0)
	v_cmp_eq_u32_e32 vcc_lo, 0, v5
	v_lshlrev_b32_e32 v5, 2, v89
	s_and_saveexec_b32 s1, vcc_lo
	s_cbranch_execz .LBB438_979
; %bb.978:
	s_waitcnt lgkmcnt(0)
	v_dual_max_f32 v1, v1, v1 :: v_dual_max_f32 v0, v0, v0
	s_delay_alu instid0(VALU_DEP_1)
	v_max_f32_e32 v0, v0, v1
	ds_store_b32 v5, v0 offset:160
.LBB438_979:
	s_or_b32 exec_lo, exec_lo, s1
	scratch_load_b32 v0, off, s32 offset:328 ; 4-byte Folded Reload
	s_waitcnt vmcnt(0) lgkmcnt(0)
	s_waitcnt_vscnt null, 0x0
	s_barrier
	buffer_gl0_inv
	v_cmp_gt_u32_e64 s1, 4, v0
	v_mov_b32_e32 v0, 0xff7fffff
	s_delay_alu instid0(VALU_DEP_2)
	s_and_saveexec_b32 s2, s1
	s_cbranch_execz .LBB438_981
; %bb.980:
	ds_load_b32 v0, v12 offset:160
.LBB438_981:
	s_or_b32 exec_lo, exec_lo, s2
	s_waitcnt lgkmcnt(0)
	ds_bpermute_b32 v1, v20, v0
	v_max_f32_e32 v0, v0, v0
	v_subrev_nc_u32_e32 v7, s13, v51
	s_waitcnt lgkmcnt(0)
	v_dual_mov_b32 v6, 0 :: v_dual_max_f32 v1, v1, v1
	s_delay_alu instid0(VALU_DEP_1) | instskip(SKIP_3) | instid1(VALU_DEP_1)
	v_max_f32_e32 v0, v0, v1
	ds_bpermute_b32 v1, v19, v0
	s_waitcnt lgkmcnt(0)
	v_max_f32_e32 v1, v1, v1
	v_max_f32_e32 v0, v0, v1
	v_lshl_add_u32 v1, v7, 5, s3
	ds_bpermute_b32 v0, v6, v0
	v_min_i32_e32 v1, v1, v38
	s_delay_alu instid0(VALU_DEP_1) | instskip(NEXT) | instid1(VALU_DEP_1)
	v_subrev_nc_u32_e32 v1, s3, v1
	v_cmp_lt_i32_e64 s2, v88, v1
	s_delay_alu instid0(VALU_DEP_1)
	s_and_saveexec_b32 s9, s2
	s_cbranch_execz .LBB438_985
; %bb.982:
	s_getpc_b64 s[16:17]
	s_add_u32 s16, s16, llvm.amdgcn.dynlds.offset.table@rel32@lo+4
	s_addc_u32 s17, s17, llvm.amdgcn.dynlds.offset.table@rel32@hi+12
	s_ashr_i32 s11, s10, 31
	v_mov_b32_e32 v6, 0
	s_lshl_b64 s[20:21], s[10:11], 2
	v_mov_b32_e32 v8, v88
	s_add_u32 s16, s20, s16
	s_addc_u32 s17, s21, s17
	s_mov_b32 s11, 0
	s_load_b32 s3, s[16:17], 0x0
	s_waitcnt lgkmcnt(0)
	v_lshl_add_u32 v7, v88, 2, s3
	.p2align	6
.LBB438_983:                            ; =>This Inner Loop Header: Depth=1
	ds_load_b32 v9, v7
	v_add_nc_u32_e32 v8, 0x80, v8
	s_delay_alu instid0(VALU_DEP_1) | instskip(NEXT) | instid1(VALU_DEP_1)
	v_cmp_ge_i32_e64 s3, v8, v1
	s_or_b32 s11, s3, s11
	s_waitcnt lgkmcnt(0)
	v_sub_f32_e32 v9, v9, v0
	s_delay_alu instid0(VALU_DEP_1) | instskip(NEXT) | instid1(VALU_DEP_1)
	v_mul_f32_e32 v9, 0x3fb8aa3b, v9
	v_exp_f32_e32 v9, v9
	ds_store_b32 v7, v9
	v_dual_add_f32 v6, v6, v9 :: v_dual_add_nc_u32 v7, 0x200, v7
	s_and_not1_b32 exec_lo, exec_lo, s11
	s_cbranch_execnz .LBB438_983
; %bb.984:
	s_or_b32 exec_lo, exec_lo, s11
.LBB438_985:
	s_delay_alu instid0(SALU_CYCLE_1)
	s_or_b32 exec_lo, exec_lo, s9
	ds_bpermute_b32 v2, v2, v6
	s_waitcnt lgkmcnt(0)
	v_add_f32_e32 v2, v6, v2
	ds_bpermute_b32 v3, v3, v2
	s_waitcnt lgkmcnt(0)
	v_add_f32_e32 v2, v2, v3
	;; [unrolled: 3-line block ×5, first 2 shown]
	s_and_saveexec_b32 s3, vcc_lo
	s_cbranch_execz .LBB438_987
; %bb.986:
	ds_store_b32 v5, v2 offset:176
.LBB438_987:
	s_or_b32 exec_lo, exec_lo, s3
	s_waitcnt lgkmcnt(0)
	s_barrier
	buffer_gl0_inv
	s_and_saveexec_b32 s3, s1
	s_cbranch_execz .LBB438_989
; %bb.988:
	ds_load_b32 v2, v12 offset:176
.LBB438_989:
	s_or_b32 exec_lo, exec_lo, s3
	s_waitcnt lgkmcnt(0)
	ds_bpermute_b32 v3, v20, v2
	s_waitcnt lgkmcnt(0)
	v_add_f32_e32 v2, v2, v3
	ds_bpermute_b32 v3, v19, v2
	s_waitcnt lgkmcnt(0)
	v_dual_add_f32 v2, v2, v3 :: v_dual_mov_b32 v3, 0
	ds_bpermute_b32 v2, v3, v2
	s_and_saveexec_b32 s1, s2
	s_cbranch_execz .LBB438_992
; %bb.990:
	s_waitcnt lgkmcnt(0)
	v_add_f32_e32 v4, 0x358637bd, v2
	s_getpc_b64 s[2:3]
	s_add_u32 s2, s2, llvm.amdgcn.dynlds.offset.table@rel32@lo+4
	s_addc_u32 s3, s3, llvm.amdgcn.dynlds.offset.table@rel32@hi+12
	s_ashr_i32 s11, s10, 31
	s_delay_alu instid0(SALU_CYCLE_1) | instskip(SKIP_4) | instid1(VALU_DEP_1)
	s_lshl_b64 s[16:17], s[10:11], 2
	v_div_scale_f32 v3, null, v4, v4, 1.0
	s_add_u32 s2, s16, s2
	s_addc_u32 s3, s17, s3
	s_load_b32 s2, s[2:3], 0x0
	v_rcp_f32_e32 v5, v3
	s_waitcnt_depctr 0xfff
	v_fma_f32 v6, -v3, v5, 1.0
	s_delay_alu instid0(VALU_DEP_1) | instskip(SKIP_1) | instid1(VALU_DEP_1)
	v_fmac_f32_e32 v5, v6, v5
	v_div_scale_f32 v7, vcc_lo, 1.0, v4, 1.0
	v_mul_f32_e32 v6, v7, v5
	s_delay_alu instid0(VALU_DEP_1) | instskip(NEXT) | instid1(VALU_DEP_1)
	v_fma_f32 v8, -v3, v6, v7
	v_fmac_f32_e32 v6, v8, v5
	s_delay_alu instid0(VALU_DEP_1) | instskip(NEXT) | instid1(VALU_DEP_1)
	v_fma_f32 v3, -v3, v6, v7
	v_div_fmas_f32 v5, v3, v5, v6
	s_waitcnt lgkmcnt(0)
	v_lshl_add_u32 v3, v88, 2, s2
	s_mov_b32 s2, 0
	s_delay_alu instid0(VALU_DEP_2)
	v_div_fixup_f32 v4, v5, v4, 1.0
	v_mov_b32_e32 v5, v88
.LBB438_991:                            ; =>This Inner Loop Header: Depth=1
	ds_load_b32 v6, v3
	s_waitcnt lgkmcnt(0)
	v_dual_mul_f32 v6, v4, v6 :: v_dual_add_nc_u32 v5, 0x80, v5
	s_delay_alu instid0(VALU_DEP_1) | instskip(SKIP_3) | instid1(SALU_CYCLE_1)
	v_cmp_ge_i32_e32 vcc_lo, v5, v1
	ds_store_b32 v3, v6
	v_add_nc_u32_e32 v3, 0x200, v3
	s_or_b32 s2, vcc_lo, s2
	s_and_not1_b32 exec_lo, exec_lo, s2
	s_cbranch_execnz .LBB438_991
.LBB438_992:
	s_or_b32 exec_lo, exec_lo, s1
	v_cmp_ne_u16_e64 s1, s8, 0
	s_mov_b32 s2, exec_lo
	s_waitcnt lgkmcnt(0)
	s_barrier
	buffer_gl0_inv
	s_cmp_lg_u32 s1, 0
	s_addc_u32 s1, s7, 0
	v_cmpx_eq_u32_e32 0, v88
	s_cbranch_execz .LBB438_994
; %bb.993:
	s_mul_i32 s3, s1, s4
	s_mul_i32 s8, s1, s12
	s_mul_i32 s12, s3, s18
	s_ashr_i32 s9, s8, 31
	s_ashr_i32 s15, s14, 31
	;; [unrolled: 1-line block ×3, first 2 shown]
	s_lshl_b64 s[8:9], s[8:9], 2
	s_lshl_b64 s[16:17], s[14:15], 2
	;; [unrolled: 1-line block ×3, first 2 shown]
	s_add_u32 s3, s16, s8
	s_addc_u32 s7, s17, s9
	s_add_u32 s3, s3, s12
	s_addc_u32 s7, s7, s13
	v_add_co_u32 v3, vcc_lo, s3, v35
	v_add_co_ci_u32_e32 v4, vcc_lo, s7, v34, vcc_lo
	v_add_co_u32 v5, vcc_lo, s3, v33
	v_add_co_ci_u32_e32 v6, vcc_lo, s7, v32, vcc_lo
	flat_store_b32 v[3:4], v0
	flat_store_b32 v[5:6], v2
.LBB438_994:
	s_or_b32 exec_lo, exec_lo, s2
	s_ashr_i32 s11, s10, 31
	s_getpc_b64 s[2:3]
	s_add_u32 s2, s2, llvm.amdgcn.dynlds.offset.table@rel32@lo+4
	s_addc_u32 s3, s3, llvm.amdgcn.dynlds.offset.table@rel32@hi+12
	s_lshl_b64 s[8:9], s[10:11], 2
	v_dual_mov_b32 v53, 0 :: v_dual_and_b32 v24, 3, v88
	v_dual_mov_b32 v36, 0 :: v_dual_mov_b32 v35, 0
	v_dual_mov_b32 v34, 0 :: v_dual_mov_b32 v33, 0
	;; [unrolled: 1-line block ×4, first 2 shown]
	v_mov_b32_e32 v25, 0
	s_add_u32 s2, s8, s2
	s_addc_u32 s3, s9, s3
	s_mov_b32 s10, 0
	s_and_saveexec_b32 s7, s0
	s_cbranch_execz .LBB438_2332
; %bb.995:
	v_max_i32_e32 v30, v30, v48
	v_add_co_u32 v4, vcc_lo, v10, v37
	s_load_b32 s0, s[2:3], 0x0
	v_dual_mov_b32 v25, 0 :: v_dual_lshlrev_b32 v2, 3, v88
	s_delay_alu instid0(VALU_DEP_3) | instskip(SKIP_3) | instid1(VALU_DEP_4)
	v_cvt_f32_u32_e32 v0, v30
	v_sub_nc_u32_e32 v7, 0, v30
	v_dual_mov_b32 v31, 0 :: v_dual_lshlrev_b32 v6, 5, v24
	v_add_co_ci_u32_e32 v5, vcc_lo, v11, v54, vcc_lo
	v_rcp_iflag_f32_e32 v3, v0
	v_mov_b32_e32 v10, 0
	v_lshlrev_b64 v[0:1], 2, v[17:18]
	v_dual_mov_b32 v53, 0 :: v_dual_and_b32 v18, 24, v2
	v_and_b32_e32 v2, 0xf8, v2
	v_lshl_or_b32 v6, v89, 7, v6
	v_dual_mov_b32 v29, 0 :: v_dual_add_nc_u32 v54, -1, v39
	v_add_co_u32 v0, vcc_lo, v68, v0
	s_delay_alu instid0(TRANS32_DEP_1) | instskip(SKIP_2) | instid1(VALU_DEP_3)
	v_mul_f32_e32 v3, 0x4f7ffffe, v3
	v_add_co_ci_u32_e32 v1, vcc_lo, v69, v1, vcc_lo
	v_add_co_u32 v11, vcc_lo, v4, v2
	v_cvt_u32_f32_e32 v3, v3
	v_add_co_ci_u32_e32 v12, vcc_lo, 0, v5, vcc_lo
	v_add_co_u32 v13, vcc_lo, v14, v0
	s_delay_alu instid0(VALU_DEP_3)
	v_mul_lo_u32 v7, v7, v3
	v_dual_mov_b32 v28, 0 :: v_dual_mov_b32 v33, 0
	v_dual_mov_b32 v32, 0 :: v_dual_mov_b32 v35, 0
	v_mov_b32_e32 v34, 0
	v_add_co_ci_u32_e32 v14, vcc_lo, v15, v1, vcc_lo
	s_waitcnt lgkmcnt(0)
	v_add_nc_u32_e32 v15, s0, v6
	v_mul_hi_u32 v7, v3, v7
	v_mov_b32_e32 v36, 0
	s_mov_b32 s8, -1
	s_mov_b32 s9, 0xffffff
	s_delay_alu instid0(VALU_DEP_2)
	v_add_nc_u32_e32 v55, v3, v7
	s_branch .LBB438_998
.LBB438_996:                            ;   in Loop: Header=BB438_998 Depth=1
	s_or_b32 exec_lo, exec_lo, s0
	v_and_b32_e32 v82, 0xffff0000, v62
	v_and_b32_e32 v83, 0xffff0000, v61
	;; [unrolled: 1-line block ×5, first 2 shown]
	s_delay_alu instid0(VALU_DEP_4) | instskip(SKIP_1) | instid1(VALU_DEP_4)
	v_dual_add_f32 v82, v83, v82 :: v_dual_and_b32 v7, 0xffff0000, v7
	v_and_b32_e32 v37, 0xffff0000, v37
	v_dual_add_f32 v85, v96, v85 :: v_dual_and_b32 v6, 0xffff0000, v6
	v_and_b32_e32 v4, 0xffff0000, v4
	v_and_b32_e32 v84, 0xffff0000, v60
	;; [unrolled: 1-line block ×4, first 2 shown]
	v_dual_add_f32 v6, v6, v7 :: v_dual_add_f32 v7, v37, v48
	v_and_b32_e32 v1, 0xffff0000, v1
	v_and_b32_e32 v0, 0xffff0000, v0
	;; [unrolled: 1-line block ×4, first 2 shown]
	v_add_f32_e32 v6, v6, v7
	v_and_b32_e32 v37, 0xffff0000, v63
	v_and_b32_e32 v65, 0xffff0000, v65
	;; [unrolled: 1-line block ×3, first 2 shown]
	s_delay_alu instid0(VALU_DEP_4)
	v_dual_add_f32 v6, v6, v82 :: v_dual_and_b32 v9, 0xffff0000, v9
	v_and_b32_e32 v82, 0xffff0000, v56
	v_and_b32_e32 v86, 0xffff0000, v41
	v_and_b32_e32 v87, 0xffff0000, v40
	v_and_b32_e32 v5, 0xffff0000, v5
	v_dual_add_f32 v0, v0, v1 :: v_dual_and_b32 v7, 0xffff0000, v59
	v_dual_add_f32 v1, v2, v3 :: v_dual_and_b32 v2, 0xffff0000, v8
	s_delay_alu instid0(VALU_DEP_3)
	v_dual_add_f32 v4, v4, v5 :: v_dual_and_b32 v83, 0xffff0000, v58
	v_and_b32_e32 v48, 0xffff0000, v72
	v_and_b32_e32 v66, 0xffff0000, v66
	v_add_f32_e32 v64, v64, v65
	v_add_f32_e32 v0, v0, v1
	;; [unrolled: 1-line block ×3, first 2 shown]
	v_dual_add_f32 v37, v37, v48 :: v_dual_and_b32 v48, 0xffff0000, v57
	v_and_b32_e32 v67, 0xffff0000, v67
	v_and_b32_e32 v2, 0xffff0000, v81
	s_delay_alu instid0(VALU_DEP_4) | instskip(NEXT) | instid1(VALU_DEP_4)
	v_add_f32_e32 v0, v0, v1
	v_add_f32_e32 v6, v6, v37
	v_dual_add_f32 v5, v82, v48 :: v_dual_and_b32 v48, 0xffff0000, v45
	v_add_f32_e32 v82, v87, v86
	v_and_b32_e32 v86, 0xffff0000, v44
	s_delay_alu instid0(VALU_DEP_4) | instskip(NEXT) | instid1(VALU_DEP_4)
	v_add_f32_e32 v28, v28, v6
	v_dual_add_f32 v4, v4, v5 :: v_dual_add_f32 v5, v83, v7
	s_delay_alu instid0(VALU_DEP_4) | instskip(NEXT) | instid1(VALU_DEP_4)
	v_dual_add_f32 v82, v82, v85 :: v_dual_and_b32 v7, 0xffff0000, v46
	v_dual_add_f32 v48, v86, v48 :: v_dual_and_b32 v83, 0xffff0000, v47
	s_delay_alu instid0(VALU_DEP_3) | instskip(SKIP_1) | instid1(VALU_DEP_3)
	v_add_f32_e32 v4, v4, v5
	v_add_f32_e32 v5, v84, v39
	v_dual_add_f32 v37, v82, v48 :: v_dual_and_b32 v84, 0xffff0000, v183
	s_delay_alu instid0(VALU_DEP_4) | instskip(NEXT) | instid1(VALU_DEP_3)
	v_add_f32_e32 v7, v7, v83
	v_dual_add_f32 v4, v4, v5 :: v_dual_and_b32 v85, 0xffff0000, v160
	v_and_b32_e32 v83, 0xffff0000, v182
	s_delay_alu instid0(VALU_DEP_3) | instskip(SKIP_3) | instid1(VALU_DEP_4)
	v_dual_add_f32 v5, v37, v7 :: v_dual_and_b32 v48, 0xffff0000, v178
	v_and_b32_e32 v7, 0xffff0000, v179
	v_and_b32_e32 v39, 0xffff0000, v176
	v_dual_add_f32 v29, v29, v4 :: v_dual_and_b32 v86, 0xffff0000, v162
	v_add_f32_e32 v31, v31, v5
	s_delay_alu instid0(VALU_DEP_4) | instskip(NEXT) | instid1(VALU_DEP_1)
	v_dual_add_f32 v7, v48, v7 :: v_dual_and_b32 v48, 0xffff0000, v161
	v_dual_add_f32 v65, v66, v67 :: v_dual_add_f32 v48, v85, v48
	v_and_b32_e32 v82, 0xffff0000, v180
	v_and_b32_e32 v37, 0xffff0000, v177
	;; [unrolled: 1-line block ×3, first 2 shown]
	s_delay_alu instid0(VALU_DEP_4) | instskip(NEXT) | instid1(VALU_DEP_3)
	v_add_f32_e32 v3, v64, v65
	v_add_f32_e32 v37, v39, v37
	v_and_b32_e32 v39, 0xffff0000, v163
	s_delay_alu instid0(VALU_DEP_2) | instskip(NEXT) | instid1(VALU_DEP_2)
	v_dual_add_f32 v7, v37, v7 :: v_dual_and_b32 v6, 0xffff0000, v181
	v_add_f32_e32 v39, v86, v39
	v_and_b32_e32 v37, 0xffff0000, v165
	s_delay_alu instid0(VALU_DEP_2) | instskip(NEXT) | instid1(VALU_DEP_4)
	v_dual_add_f32 v39, v48, v39 :: v_dual_and_b32 v86, 0xffff0000, v134
	v_add_f32_e32 v6, v82, v6
	v_and_b32_e32 v82, 0xffff0000, v164
	v_and_b32_e32 v48, 0xffff0000, v167
	s_delay_alu instid0(VALU_DEP_2) | instskip(SKIP_1) | instid1(VALU_DEP_2)
	v_dual_add_f32 v6, v7, v6 :: v_dual_add_f32 v37, v82, v37
	v_add_f32_e32 v7, v83, v84
	v_dual_add_f32 v5, v39, v37 :: v_dual_and_b32 v84, 0xffff0000, v112
	v_and_b32_e32 v37, 0xffff0000, v145
	v_and_b32_e32 v39, 0xffff0000, v144
	s_delay_alu instid0(VALU_DEP_4) | instskip(NEXT) | instid1(VALU_DEP_1)
	v_dual_add_f32 v4, v6, v7 :: v_dual_and_b32 v83, 0xffff0000, v166
	v_dual_add_f32 v6, v83, v48 :: v_dual_and_b32 v7, 0xffff0000, v147
	s_delay_alu instid0(VALU_DEP_2) | instskip(NEXT) | instid1(VALU_DEP_2)
	v_add_f32_e32 v32, v32, v4
	v_dual_add_f32 v4, v5, v6 :: v_dual_and_b32 v83, 0xffff0000, v132
	v_and_b32_e32 v5, 0xffff0000, v149
	v_dual_add_f32 v6, v39, v37 :: v_dual_and_b32 v37, 0xffff0000, v148
	s_delay_alu instid0(VALU_DEP_3) | instskip(NEXT) | instid1(VALU_DEP_2)
	v_dual_add_f32 v33, v33, v4 :: v_dual_and_b32 v48, 0xffff0000, v146
	v_dual_add_f32 v5, v37, v5 :: v_dual_and_b32 v4, 0xffff0000, v150
	s_delay_alu instid0(VALU_DEP_2) | instskip(NEXT) | instid1(VALU_DEP_1)
	v_add_f32_e32 v7, v48, v7
	v_dual_add_f32 v6, v6, v7 :: v_dual_and_b32 v37, 0xffff0000, v129
	v_and_b32_e32 v7, 0xffff0000, v131
	s_delay_alu instid0(VALU_DEP_2) | instskip(NEXT) | instid1(VALU_DEP_1)
	v_dual_add_f32 v5, v6, v5 :: v_dual_and_b32 v48, 0xffff0000, v128
	v_dual_add_f32 v37, v48, v37 :: v_dual_and_b32 v82, 0xffff0000, v130
	s_delay_alu instid0(VALU_DEP_1) | instskip(SKIP_1) | instid1(VALU_DEP_2)
	v_dual_add_f32 v7, v82, v7 :: v_dual_and_b32 v6, 0xffff0000, v133
	v_and_b32_e32 v82, 0xffff0000, v113
	v_dual_add_f32 v6, v83, v6 :: v_dual_and_b32 v83, 0xffff0000, v135
	s_delay_alu instid0(VALU_DEP_3) | instskip(SKIP_1) | instid1(VALU_DEP_2)
	v_add_f32_e32 v7, v37, v7
	v_and_b32_e32 v39, 0xffff0000, v151
	v_dual_add_f32 v6, v7, v6 :: v_dual_and_b32 v37, 0xffff0000, v117
	s_delay_alu instid0(VALU_DEP_4) | instskip(SKIP_3) | instid1(VALU_DEP_2)
	v_dual_add_f32 v7, v86, v83 :: v_dual_add_f32 v82, v84, v82
	v_and_b32_e32 v84, 0xffff0000, v116
	v_and_b32_e32 v48, 0xffff0000, v115
	v_add_f32_e32 v4, v4, v39
	v_dual_add_f32 v37, v84, v37 :: v_dual_add_f32 v48, v85, v48
	s_delay_alu instid0(VALU_DEP_1) | instskip(NEXT) | instid1(VALU_DEP_1)
	v_dual_add_f32 v39, v82, v48 :: v_dual_and_b32 v48, 0xffff0000, v118
	v_dual_add_f32 v37, v39, v37 :: v_dual_and_b32 v82, 0xffff0000, v119
	v_and_b32_e32 v39, 0xffff0000, v69
	s_delay_alu instid0(VALU_DEP_2) | instskip(NEXT) | instid1(VALU_DEP_2)
	v_add_f32_e32 v9, v48, v82
	v_dual_add_f32 v8, v68, v39 :: v_dual_and_b32 v39, 0xffff0000, v80
	s_delay_alu instid0(VALU_DEP_1) | instskip(NEXT) | instid1(VALU_DEP_2)
	v_add_f32_e32 v3, v3, v8
	v_add_f32_e32 v1, v39, v2
	v_and_b32_e32 v69, 0xffff0000, v70
	v_and_b32_e32 v70, 0xffff0000, v71
	v_add_f32_e32 v2, v5, v4
	v_add_f32_e32 v4, v6, v7
	;; [unrolled: 1-line block ×5, first 2 shown]
	s_delay_alu instid0(VALU_DEP_4) | instskip(NEXT) | instid1(VALU_DEP_3)
	v_dual_add_f32 v34, v34, v2 :: v_dual_add_f32 v35, v35, v4
	v_dual_add_f32 v25, v25, v0 :: v_dual_add_f32 v36, v36, v5
	s_delay_alu instid0(VALU_DEP_3) | instskip(NEXT) | instid1(VALU_DEP_1)
	v_add_f32_e32 v3, v3, v8
	v_add_f32_e32 v53, v53, v3
.LBB438_997:                            ;   in Loop: Header=BB438_998 Depth=1
	s_or_b32 exec_lo, exec_lo, s11
	v_add_nc_u32_e32 v17, 4, v17
	v_add_co_u32 v13, s0, v13, 16
	s_delay_alu instid0(VALU_DEP_1) | instskip(NEXT) | instid1(VALU_DEP_3)
	v_add_co_ci_u32_e64 v14, s0, 0, v14, s0
	v_cmp_ge_i32_e32 vcc_lo, v17, v51
	v_add_nc_u32_e32 v23, 0x80, v23
	v_add_nc_u32_e32 v15, 0x200, v15
	s_or_b32 s10, vcc_lo, s10
	s_delay_alu instid0(SALU_CYCLE_1)
	s_and_not1_b32 exec_lo, exec_lo, s10
	s_cbranch_execz .LBB438_2331
.LBB438_998:                            ; =>This Inner Loop Header: Depth=1
	v_sub_nc_u32_e32 v0, 0, v23
	s_delay_alu instid0(VALU_DEP_1) | instskip(NEXT) | instid1(VALU_DEP_1)
	v_max_i32_e32 v0, v23, v0
	v_mul_hi_u32 v1, v0, v49
	s_delay_alu instid0(VALU_DEP_1) | instskip(NEXT) | instid1(VALU_DEP_1)
	v_mul_lo_u32 v2, v1, v21
	v_sub_nc_u32_e32 v0, v0, v2
	v_add_nc_u32_e32 v2, 1, v1
	s_delay_alu instid0(VALU_DEP_2) | instskip(SKIP_1) | instid1(VALU_DEP_2)
	v_sub_nc_u32_e32 v3, v0, v21
	v_cmp_ge_u32_e32 vcc_lo, v0, v21
	v_dual_cndmask_b32 v1, v1, v2 :: v_dual_cndmask_b32 v0, v0, v3
	v_ashrrev_i32_e32 v2, 31, v23
	s_delay_alu instid0(VALU_DEP_2) | instskip(NEXT) | instid1(VALU_DEP_3)
	v_add_nc_u32_e32 v3, 1, v1
	v_cmp_ge_u32_e32 vcc_lo, v0, v21
	s_delay_alu instid0(VALU_DEP_3) | instskip(NEXT) | instid1(VALU_DEP_3)
	v_xor_b32_e32 v2, v2, v50
	v_cndmask_b32_e32 v0, v1, v3, vcc_lo
	s_delay_alu instid0(VALU_DEP_1) | instskip(NEXT) | instid1(VALU_DEP_1)
	v_xor_b32_e32 v0, v0, v2
	v_sub_nc_u32_e32 v0, v0, v2
	s_delay_alu instid0(VALU_DEP_1) | instskip(SKIP_1) | instid1(VALU_DEP_2)
	v_add_nc_u32_e32 v1, v0, v16
	v_cmp_gt_i32_e64 s0, v0, v52
	v_sub_nc_u32_e32 v2, 0, v1
	s_delay_alu instid0(VALU_DEP_1) | instskip(NEXT) | instid1(VALU_DEP_1)
	v_max_i32_e32 v2, v1, v2
	v_mul_hi_u32 v3, v2, v55
	s_delay_alu instid0(VALU_DEP_1) | instskip(NEXT) | instid1(VALU_DEP_1)
	v_mul_lo_u32 v3, v3, v30
	v_sub_nc_u32_e32 v2, v2, v3
	s_delay_alu instid0(VALU_DEP_1) | instskip(SKIP_1) | instid1(VALU_DEP_2)
	v_sub_nc_u32_e32 v3, v2, v30
	v_cmp_ge_u32_e32 vcc_lo, v2, v30
	v_cndmask_b32_e32 v2, v2, v3, vcc_lo
	v_ashrrev_i32_e32 v1, 31, v1
	s_delay_alu instid0(VALU_DEP_2) | instskip(SKIP_1) | instid1(VALU_DEP_2)
	v_sub_nc_u32_e32 v3, v2, v30
	v_cmp_ge_u32_e32 vcc_lo, v2, v30
	v_cndmask_b32_e32 v2, v2, v3, vcc_lo
	s_delay_alu instid0(VALU_DEP_1) | instskip(NEXT) | instid1(VALU_DEP_1)
	v_xor_b32_e32 v2, v2, v1
	v_sub_nc_u32_e32 v1, v2, v1
	s_delay_alu instid0(VALU_DEP_1) | instskip(SKIP_1) | instid1(SALU_CYCLE_1)
	v_cmp_eq_u32_e32 vcc_lo, 0, v1
	s_or_b32 s0, vcc_lo, s0
	s_and_saveexec_b32 s11, s0
	s_cbranch_execz .LBB438_997
; %bb.999:                              ;   in Loop: Header=BB438_998 Depth=1
	flat_load_b32 v67, v[13:14]
	ds_load_2addr_b64 v[6:9], v15 offset1:1
	ds_load_2addr_b64 v[0:3], v15 offset0:2 offset1:3
	s_mov_b32 s0, exec_lo
                                        ; implicit-def: $vgpr64
	s_waitcnt lgkmcnt(1)
	v_and_b32_e32 v4, 0x7f800000, v6
	s_delay_alu instid0(VALU_DEP_1)
	v_cmpx_ne_u32_e32 0x7f800000, v4
	s_xor_b32 s0, exec_lo, s0
; %bb.1000:                             ;   in Loop: Header=BB438_998 Depth=1
	v_bfe_u32 v4, v6, 16, 1
	s_delay_alu instid0(VALU_DEP_1)
	v_add3_u32 v64, v6, v4, 0x7fff
; %bb.1001:                             ;   in Loop: Header=BB438_998 Depth=1
	s_and_not1_saveexec_b32 s0, s0
; %bb.1002:                             ;   in Loop: Header=BB438_998 Depth=1
	v_and_b32_e32 v4, 0xffff, v6
	v_or_b32_e32 v5, 0x10000, v6
	s_delay_alu instid0(VALU_DEP_2) | instskip(NEXT) | instid1(VALU_DEP_2)
	v_cmp_eq_u32_e32 vcc_lo, 0, v4
	v_cndmask_b32_e32 v64, v5, v6, vcc_lo
; %bb.1003:                             ;   in Loop: Header=BB438_998 Depth=1
	s_or_b32 exec_lo, exec_lo, s0
	v_and_b32_e32 v4, 0x7f800000, v7
	s_mov_b32 s0, exec_lo
                                        ; implicit-def: $vgpr65
	s_delay_alu instid0(VALU_DEP_1)
	v_cmpx_ne_u32_e32 0x7f800000, v4
	s_xor_b32 s0, exec_lo, s0
; %bb.1004:                             ;   in Loop: Header=BB438_998 Depth=1
	v_bfe_u32 v4, v7, 16, 1
	s_delay_alu instid0(VALU_DEP_1)
	v_add3_u32 v65, v7, v4, 0x7fff
; %bb.1005:                             ;   in Loop: Header=BB438_998 Depth=1
	s_and_not1_saveexec_b32 s0, s0
; %bb.1006:                             ;   in Loop: Header=BB438_998 Depth=1
	v_and_b32_e32 v4, 0xffff, v7
	v_or_b32_e32 v5, 0x10000, v7
	s_delay_alu instid0(VALU_DEP_2) | instskip(NEXT) | instid1(VALU_DEP_2)
	v_cmp_eq_u32_e32 vcc_lo, 0, v4
	v_cndmask_b32_e32 v65, v5, v7, vcc_lo
; %bb.1007:                             ;   in Loop: Header=BB438_998 Depth=1
	s_or_b32 exec_lo, exec_lo, s0
	v_and_b32_e32 v4, 0x7f800000, v8
	s_mov_b32 s0, exec_lo
                                        ; implicit-def: $vgpr66
	s_delay_alu instid0(VALU_DEP_1)
	v_cmpx_ne_u32_e32 0x7f800000, v4
	s_xor_b32 s0, exec_lo, s0
; %bb.1008:                             ;   in Loop: Header=BB438_998 Depth=1
	v_bfe_u32 v4, v8, 16, 1
	s_delay_alu instid0(VALU_DEP_1)
	v_add3_u32 v66, v8, v4, 0x7fff
; %bb.1009:                             ;   in Loop: Header=BB438_998 Depth=1
	s_and_not1_saveexec_b32 s0, s0
; %bb.1010:                             ;   in Loop: Header=BB438_998 Depth=1
	v_and_b32_e32 v4, 0xffff, v8
	v_or_b32_e32 v5, 0x10000, v8
	s_delay_alu instid0(VALU_DEP_2) | instskip(NEXT) | instid1(VALU_DEP_2)
	v_cmp_eq_u32_e32 vcc_lo, 0, v4
	v_cndmask_b32_e32 v66, v5, v8, vcc_lo
; %bb.1011:                             ;   in Loop: Header=BB438_998 Depth=1
	s_or_b32 exec_lo, exec_lo, s0
	v_and_b32_e32 v4, 0x7f800000, v9
	s_mov_b32 s0, exec_lo
                                        ; implicit-def: $vgpr48
	s_delay_alu instid0(VALU_DEP_1)
	v_cmpx_ne_u32_e32 0x7f800000, v4
	s_xor_b32 s0, exec_lo, s0
; %bb.1012:                             ;   in Loop: Header=BB438_998 Depth=1
	v_bfe_u32 v4, v9, 16, 1
	s_delay_alu instid0(VALU_DEP_1)
	v_add3_u32 v48, v9, v4, 0x7fff
                                        ; implicit-def: $vgpr6_vgpr7_vgpr8_vgpr9
; %bb.1013:                             ;   in Loop: Header=BB438_998 Depth=1
	s_and_not1_saveexec_b32 s0, s0
; %bb.1014:                             ;   in Loop: Header=BB438_998 Depth=1
	v_and_b32_e32 v4, 0xffff, v9
	v_or_b32_e32 v5, 0x10000, v9
	s_delay_alu instid0(VALU_DEP_2) | instskip(NEXT) | instid1(VALU_DEP_2)
	v_cmp_eq_u32_e32 vcc_lo, 0, v4
	v_cndmask_b32_e32 v48, v5, v9, vcc_lo
; %bb.1015:                             ;   in Loop: Header=BB438_998 Depth=1
	s_or_b32 exec_lo, exec_lo, s0
	s_waitcnt lgkmcnt(0)
	v_and_b32_e32 v4, 0x7f800000, v0
	s_mov_b32 s0, exec_lo
                                        ; implicit-def: $vgpr39
	s_delay_alu instid0(VALU_DEP_1)
	v_cmpx_ne_u32_e32 0x7f800000, v4
	s_xor_b32 s0, exec_lo, s0
; %bb.1016:                             ;   in Loop: Header=BB438_998 Depth=1
	v_bfe_u32 v4, v0, 16, 1
	s_delay_alu instid0(VALU_DEP_1)
	v_add3_u32 v39, v0, v4, 0x7fff
; %bb.1017:                             ;   in Loop: Header=BB438_998 Depth=1
	s_and_not1_saveexec_b32 s0, s0
; %bb.1018:                             ;   in Loop: Header=BB438_998 Depth=1
	v_and_b32_e32 v4, 0xffff, v0
	v_or_b32_e32 v5, 0x10000, v0
	s_delay_alu instid0(VALU_DEP_2) | instskip(NEXT) | instid1(VALU_DEP_2)
	v_cmp_eq_u32_e32 vcc_lo, 0, v4
	v_cndmask_b32_e32 v39, v5, v0, vcc_lo
; %bb.1019:                             ;   in Loop: Header=BB438_998 Depth=1
	s_or_b32 exec_lo, exec_lo, s0
	v_and_b32_e32 v0, 0x7f800000, v1
	s_mov_b32 s0, exec_lo
                                        ; implicit-def: $vgpr37
	s_delay_alu instid0(VALU_DEP_1)
	v_cmpx_ne_u32_e32 0x7f800000, v0
	s_xor_b32 s0, exec_lo, s0
; %bb.1020:                             ;   in Loop: Header=BB438_998 Depth=1
	v_bfe_u32 v0, v1, 16, 1
	s_delay_alu instid0(VALU_DEP_1)
	v_add3_u32 v37, v1, v0, 0x7fff
; %bb.1021:                             ;   in Loop: Header=BB438_998 Depth=1
	s_and_not1_saveexec_b32 s0, s0
; %bb.1022:                             ;   in Loop: Header=BB438_998 Depth=1
	v_and_b32_e32 v0, 0xffff, v1
	v_or_b32_e32 v4, 0x10000, v1
	s_delay_alu instid0(VALU_DEP_2) | instskip(NEXT) | instid1(VALU_DEP_2)
	v_cmp_eq_u32_e32 vcc_lo, 0, v0
	v_cndmask_b32_e32 v37, v4, v1, vcc_lo
; %bb.1023:                             ;   in Loop: Header=BB438_998 Depth=1
	s_or_b32 exec_lo, exec_lo, s0
	v_and_b32_e32 v0, 0x7f800000, v2
	s_mov_b32 s0, exec_lo
                                        ; implicit-def: $vgpr5
	s_delay_alu instid0(VALU_DEP_1)
	v_cmpx_ne_u32_e32 0x7f800000, v0
	s_xor_b32 s0, exec_lo, s0
; %bb.1024:                             ;   in Loop: Header=BB438_998 Depth=1
	v_bfe_u32 v0, v2, 16, 1
	s_delay_alu instid0(VALU_DEP_1)
	v_add3_u32 v5, v2, v0, 0x7fff
; %bb.1025:                             ;   in Loop: Header=BB438_998 Depth=1
	s_and_not1_saveexec_b32 s0, s0
; %bb.1026:                             ;   in Loop: Header=BB438_998 Depth=1
	v_and_b32_e32 v0, 0xffff, v2
	v_or_b32_e32 v1, 0x10000, v2
	s_delay_alu instid0(VALU_DEP_2) | instskip(NEXT) | instid1(VALU_DEP_2)
	v_cmp_eq_u32_e32 vcc_lo, 0, v0
	v_cndmask_b32_e32 v5, v1, v2, vcc_lo
; %bb.1027:                             ;   in Loop: Header=BB438_998 Depth=1
	s_or_b32 exec_lo, exec_lo, s0
	v_and_b32_e32 v0, 0x7f800000, v3
	s_mov_b32 s0, exec_lo
                                        ; implicit-def: $vgpr4
	s_delay_alu instid0(VALU_DEP_1)
	v_cmpx_ne_u32_e32 0x7f800000, v0
	s_xor_b32 s0, exec_lo, s0
; %bb.1028:                             ;   in Loop: Header=BB438_998 Depth=1
	v_bfe_u32 v0, v3, 16, 1
	s_delay_alu instid0(VALU_DEP_1)
	v_add3_u32 v4, v3, v0, 0x7fff
                                        ; implicit-def: $vgpr0_vgpr1_vgpr2_vgpr3
; %bb.1029:                             ;   in Loop: Header=BB438_998 Depth=1
	s_and_not1_saveexec_b32 s0, s0
; %bb.1030:                             ;   in Loop: Header=BB438_998 Depth=1
	v_and_b32_e32 v0, 0xffff, v3
	v_or_b32_e32 v1, 0x10000, v3
	s_delay_alu instid0(VALU_DEP_2) | instskip(NEXT) | instid1(VALU_DEP_2)
	v_cmp_eq_u32_e32 vcc_lo, 0, v0
	v_cndmask_b32_e32 v4, v1, v3, vcc_lo
; %bb.1031:                             ;   in Loop: Header=BB438_998 Depth=1
	s_or_b32 exec_lo, exec_lo, s0
	s_waitcnt vmcnt(0)
	v_mad_i64_i32 v[0:1], null, v67, v22, v[11:12]
	s_mov_b32 s0, exec_lo
	flat_load_b64 v[2:3], v[0:1]
	flat_load_b32 v8, v[26:27]
	s_waitcnt vmcnt(1) lgkmcnt(1)
	v_dual_mov_b32 v6, 0 :: v_dual_and_b32 v7, 0xff, v2
	s_delay_alu instid0(VALU_DEP_1)
	v_cmpx_ne_u16_e32 0, v7
	s_cbranch_execz .LBB438_1039
; %bb.1032:                             ;   in Loop: Header=BB438_998 Depth=1
	v_bfrev_b32_e32 v6, 1
	s_mov_b32 s12, exec_lo
	v_cmpx_ne_u16_e32 0x80, v7
	s_cbranch_execz .LBB438_1038
; %bb.1033:                             ;   in Loop: Header=BB438_998 Depth=1
	v_and_b32_e32 v7, 0x7f, v2
	v_mov_b32_e32 v6, 0x7f800001
	s_mov_b32 s13, exec_lo
	s_delay_alu instid0(VALU_DEP_2)
	v_cmpx_ne_u32_e32 0x7f, v7
	s_cbranch_execz .LBB438_1037
; %bb.1034:                             ;   in Loop: Header=BB438_998 Depth=1
	v_lshrrev_b32_e32 v9, 3, v7
	v_cmp_gt_u32_e32 vcc_lo, 8, v7
	v_dual_mov_b32 v7, v3 :: v_dual_mov_b32 v6, v2
	s_and_saveexec_b32 s15, vcc_lo
; %bb.1035:                             ;   in Loop: Header=BB438_998 Depth=1
	v_and_b32_e32 v6, 7, v2
	s_delay_alu instid0(VALU_DEP_1) | instskip(NEXT) | instid1(VALU_DEP_1)
	v_clz_i32_u32_e32 v6, v6
	v_min_u32_e32 v9, 32, v6
	s_delay_alu instid0(VALU_DEP_1) | instskip(SKIP_1) | instid1(VALU_DEP_2)
	v_subrev_nc_u32_e32 v6, 28, v9
	v_sub_nc_u32_e32 v9, 29, v9
	v_lshlrev_b64 v[6:7], v6, v[2:3]
; %bb.1036:                             ;   in Loop: Header=BB438_998 Depth=1
	s_or_b32 exec_lo, exec_lo, s15
	s_delay_alu instid0(VALU_DEP_1) | instskip(SKIP_2) | instid1(VALU_DEP_3)
	v_lshlrev_b32_e32 v6, 20, v6
	v_lshlrev_b32_e32 v7, 24, v2
	v_lshl_add_u32 v9, v9, 23, 0x3c000000
	v_and_b32_e32 v6, 0x700000, v6
	s_delay_alu instid0(VALU_DEP_3) | instskip(NEXT) | instid1(VALU_DEP_1)
	v_and_b32_e32 v7, 0x80000000, v7
	v_or3_b32 v6, v6, v7, v9
.LBB438_1037:                           ;   in Loop: Header=BB438_998 Depth=1
	s_or_b32 exec_lo, exec_lo, s13
.LBB438_1038:                           ;   in Loop: Header=BB438_998 Depth=1
	s_delay_alu instid0(SALU_CYCLE_1)
	s_or_b32 exec_lo, exec_lo, s12
.LBB438_1039:                           ;   in Loop: Header=BB438_998 Depth=1
	s_delay_alu instid0(SALU_CYCLE_1) | instskip(SKIP_3) | instid1(VALU_DEP_1)
	s_or_b32 exec_lo, exec_lo, s0
	s_waitcnt vmcnt(0) lgkmcnt(0)
	v_mul_f32_e32 v6, v8, v6
	s_mov_b32 s0, exec_lo
                                        ; implicit-def: $vgpr67
	v_and_b32_e32 v7, 0x7f800000, v6
	s_delay_alu instid0(VALU_DEP_1)
	v_cmpx_ne_u32_e32 0x7f800000, v7
	s_xor_b32 s0, exec_lo, s0
; %bb.1040:                             ;   in Loop: Header=BB438_998 Depth=1
	v_bfe_u32 v7, v6, 16, 1
	s_delay_alu instid0(VALU_DEP_1)
	v_add3_u32 v67, v6, v7, 0x7fff
                                        ; implicit-def: $vgpr6
; %bb.1041:                             ;   in Loop: Header=BB438_998 Depth=1
	s_and_not1_saveexec_b32 s0, s0
; %bb.1042:                             ;   in Loop: Header=BB438_998 Depth=1
	v_and_b32_e32 v7, 0xffff, v6
	v_or_b32_e32 v9, 0x10000, v6
	s_delay_alu instid0(VALU_DEP_2) | instskip(NEXT) | instid1(VALU_DEP_2)
	v_cmp_eq_u32_e32 vcc_lo, 0, v7
	v_cndmask_b32_e32 v67, v9, v6, vcc_lo
; %bb.1043:                             ;   in Loop: Header=BB438_998 Depth=1
	s_or_b32 exec_lo, exec_lo, s0
	v_lshrrev_b16 v7, 8, v2
	v_mov_b32_e32 v6, 0
	s_mov_b32 s0, exec_lo
	s_delay_alu instid0(VALU_DEP_2)
	v_cmpx_ne_u16_e32 0, v7
	s_cbranch_execz .LBB438_1051
; %bb.1044:                             ;   in Loop: Header=BB438_998 Depth=1
	v_bfrev_b32_e32 v6, 1
	s_mov_b32 s12, exec_lo
	v_cmpx_ne_u16_e32 0x80, v7
	s_cbranch_execz .LBB438_1050
; %bb.1045:                             ;   in Loop: Header=BB438_998 Depth=1
	v_and_b32_e32 v9, 0xffff, v7
	v_mov_b32_e32 v6, 0x7f800001
	s_mov_b32 s13, exec_lo
	s_delay_alu instid0(VALU_DEP_2) | instskip(NEXT) | instid1(VALU_DEP_1)
	v_and_b32_e32 v7, 0x7f, v9
	v_cmpx_ne_u32_e32 0x7f, v7
	s_cbranch_execz .LBB438_1049
; %bb.1046:                             ;   in Loop: Header=BB438_998 Depth=1
	v_and_b32_e32 v9, 7, v9
	v_lshrrev_b32_e32 v6, 3, v7
	s_mov_b32 s15, exec_lo
	v_cmpx_gt_u32_e32 8, v7
; %bb.1047:                             ;   in Loop: Header=BB438_998 Depth=1
	s_delay_alu instid0(VALU_DEP_3) | instskip(NEXT) | instid1(VALU_DEP_1)
	v_clz_i32_u32_e32 v6, v9
	v_min_u32_e32 v6, 32, v6
	s_delay_alu instid0(VALU_DEP_1) | instskip(SKIP_1) | instid1(VALU_DEP_2)
	v_subrev_nc_u32_e32 v7, 28, v6
	v_sub_nc_u32_e32 v6, 29, v6
	v_lshlrev_b64 v[68:69], v7, v[9:10]
	s_delay_alu instid0(VALU_DEP_1)
	v_and_b32_e32 v9, 7, v68
; %bb.1048:                             ;   in Loop: Header=BB438_998 Depth=1
	s_or_b32 exec_lo, exec_lo, s15
	v_lshlrev_b32_e32 v7, 16, v2
	s_delay_alu instid0(VALU_DEP_2) | instskip(SKIP_1) | instid1(VALU_DEP_3)
	v_lshlrev_b32_e32 v9, 20, v9
	v_lshl_add_u32 v6, v6, 23, 0x3c000000
	v_and_b32_e32 v7, 0x80000000, v7
	s_delay_alu instid0(VALU_DEP_1)
	v_or3_b32 v6, v9, v7, v6
.LBB438_1049:                           ;   in Loop: Header=BB438_998 Depth=1
	s_or_b32 exec_lo, exec_lo, s13
.LBB438_1050:                           ;   in Loop: Header=BB438_998 Depth=1
	s_delay_alu instid0(SALU_CYCLE_1)
	s_or_b32 exec_lo, exec_lo, s12
.LBB438_1051:                           ;   in Loop: Header=BB438_998 Depth=1
	s_delay_alu instid0(SALU_CYCLE_1) | instskip(NEXT) | instid1(VALU_DEP_1)
	s_or_b32 exec_lo, exec_lo, s0
	v_mul_f32_e32 v6, v8, v6
	s_mov_b32 s0, exec_lo
                                        ; implicit-def: $vgpr68
	s_delay_alu instid0(VALU_DEP_1) | instskip(NEXT) | instid1(VALU_DEP_1)
	v_and_b32_e32 v7, 0x7f800000, v6
	v_cmpx_ne_u32_e32 0x7f800000, v7
	s_xor_b32 s0, exec_lo, s0
; %bb.1052:                             ;   in Loop: Header=BB438_998 Depth=1
	v_bfe_u32 v7, v6, 16, 1
	s_delay_alu instid0(VALU_DEP_1)
	v_add3_u32 v68, v6, v7, 0x7fff
                                        ; implicit-def: $vgpr6
; %bb.1053:                             ;   in Loop: Header=BB438_998 Depth=1
	s_and_not1_saveexec_b32 s0, s0
; %bb.1054:                             ;   in Loop: Header=BB438_998 Depth=1
	v_and_b32_e32 v7, 0xffff, v6
	v_or_b32_e32 v9, 0x10000, v6
	s_delay_alu instid0(VALU_DEP_2) | instskip(NEXT) | instid1(VALU_DEP_2)
	v_cmp_eq_u32_e32 vcc_lo, 0, v7
	v_cndmask_b32_e32 v68, v9, v6, vcc_lo
; %bb.1055:                             ;   in Loop: Header=BB438_998 Depth=1
	s_or_b32 exec_lo, exec_lo, s0
	v_lshrrev_b32_e32 v6, 16, v2
	v_mov_b32_e32 v7, 0
	s_mov_b32 s0, exec_lo
	s_delay_alu instid0(VALU_DEP_2) | instskip(NEXT) | instid1(VALU_DEP_1)
	v_and_b32_e32 v9, 0xff, v6
	v_cmpx_ne_u16_e32 0, v9
	s_cbranch_execz .LBB438_1063
; %bb.1056:                             ;   in Loop: Header=BB438_998 Depth=1
	v_bfrev_b32_e32 v7, 1
	s_mov_b32 s12, exec_lo
	v_cmpx_ne_u16_e32 0x80, v9
	s_cbranch_execz .LBB438_1062
; %bb.1057:                             ;   in Loop: Header=BB438_998 Depth=1
	v_bfe_u32 v69, v2, 16, 7
	v_mov_b32_e32 v7, 0x7f800001
	s_mov_b32 s13, exec_lo
	s_delay_alu instid0(VALU_DEP_2)
	v_cmpx_ne_u32_e32 0x7f, v69
	s_cbranch_execz .LBB438_1061
; %bb.1058:                             ;   in Loop: Header=BB438_998 Depth=1
	v_and_b32_e32 v9, 7, v6
	v_lshrrev_b32_e32 v7, 3, v69
	s_mov_b32 s15, exec_lo
	v_cmpx_gt_u32_e32 8, v69
; %bb.1059:                             ;   in Loop: Header=BB438_998 Depth=1
	s_delay_alu instid0(VALU_DEP_3) | instskip(NEXT) | instid1(VALU_DEP_1)
	v_clz_i32_u32_e32 v7, v9
	v_min_u32_e32 v7, 32, v7
	s_delay_alu instid0(VALU_DEP_1) | instskip(SKIP_1) | instid1(VALU_DEP_2)
	v_subrev_nc_u32_e32 v69, 28, v7
	v_sub_nc_u32_e32 v7, 29, v7
	v_lshlrev_b64 v[69:70], v69, v[9:10]
	s_delay_alu instid0(VALU_DEP_1)
	v_and_b32_e32 v9, 7, v69
; %bb.1060:                             ;   in Loop: Header=BB438_998 Depth=1
	s_or_b32 exec_lo, exec_lo, s15
	v_lshlrev_b32_e32 v6, 24, v6
	s_delay_alu instid0(VALU_DEP_2) | instskip(SKIP_1) | instid1(VALU_DEP_3)
	v_lshlrev_b32_e32 v9, 20, v9
	v_lshl_add_u32 v7, v7, 23, 0x3c000000
	v_and_b32_e32 v6, 0x80000000, v6
	s_delay_alu instid0(VALU_DEP_1)
	v_or3_b32 v7, v9, v6, v7
.LBB438_1061:                           ;   in Loop: Header=BB438_998 Depth=1
	s_or_b32 exec_lo, exec_lo, s13
.LBB438_1062:                           ;   in Loop: Header=BB438_998 Depth=1
	s_delay_alu instid0(SALU_CYCLE_1)
	s_or_b32 exec_lo, exec_lo, s12
.LBB438_1063:                           ;   in Loop: Header=BB438_998 Depth=1
	s_delay_alu instid0(SALU_CYCLE_1) | instskip(NEXT) | instid1(VALU_DEP_1)
	s_or_b32 exec_lo, exec_lo, s0
	v_mul_f32_e32 v6, v8, v7
	s_mov_b32 s0, exec_lo
                                        ; implicit-def: $vgpr69
	s_delay_alu instid0(VALU_DEP_1) | instskip(NEXT) | instid1(VALU_DEP_1)
	v_and_b32_e32 v7, 0x7f800000, v6
	v_cmpx_ne_u32_e32 0x7f800000, v7
	s_xor_b32 s0, exec_lo, s0
; %bb.1064:                             ;   in Loop: Header=BB438_998 Depth=1
	v_bfe_u32 v7, v6, 16, 1
	s_delay_alu instid0(VALU_DEP_1)
	v_add3_u32 v69, v6, v7, 0x7fff
                                        ; implicit-def: $vgpr6
; %bb.1065:                             ;   in Loop: Header=BB438_998 Depth=1
	s_and_not1_saveexec_b32 s0, s0
; %bb.1066:                             ;   in Loop: Header=BB438_998 Depth=1
	v_and_b32_e32 v7, 0xffff, v6
	v_or_b32_e32 v9, 0x10000, v6
	s_delay_alu instid0(VALU_DEP_2) | instskip(NEXT) | instid1(VALU_DEP_2)
	v_cmp_eq_u32_e32 vcc_lo, 0, v7
	v_cndmask_b32_e32 v69, v9, v6, vcc_lo
; %bb.1067:                             ;   in Loop: Header=BB438_998 Depth=1
	s_or_b32 exec_lo, exec_lo, s0
	v_mov_b32_e32 v7, 0
	s_mov_b32 s0, exec_lo
	v_cmpx_lt_u32_e32 0xffffff, v2
	s_cbranch_execz .LBB438_1075
; %bb.1068:                             ;   in Loop: Header=BB438_998 Depth=1
	v_lshrrev_b32_e32 v6, 24, v2
	v_bfrev_b32_e32 v7, 1
	s_mov_b32 s12, exec_lo
	s_delay_alu instid0(VALU_DEP_2)
	v_cmpx_ne_u32_e32 0x80, v6
	s_cbranch_execz .LBB438_1074
; %bb.1069:                             ;   in Loop: Header=BB438_998 Depth=1
	v_bfe_u32 v70, v2, 24, 7
	v_mov_b32_e32 v7, 0x7f800001
	s_mov_b32 s13, exec_lo
	s_delay_alu instid0(VALU_DEP_2)
	v_cmpx_ne_u32_e32 0x7f, v70
	s_cbranch_execz .LBB438_1073
; %bb.1070:                             ;   in Loop: Header=BB438_998 Depth=1
	v_and_b32_e32 v9, 7, v6
	v_lshrrev_b32_e32 v7, 3, v70
	s_mov_b32 s15, exec_lo
	v_cmpx_gt_u32_e32 8, v70
; %bb.1071:                             ;   in Loop: Header=BB438_998 Depth=1
	s_delay_alu instid0(VALU_DEP_3) | instskip(NEXT) | instid1(VALU_DEP_1)
	v_clz_i32_u32_e32 v7, v9
	v_min_u32_e32 v7, 32, v7
	s_delay_alu instid0(VALU_DEP_1) | instskip(SKIP_1) | instid1(VALU_DEP_2)
	v_subrev_nc_u32_e32 v70, 28, v7
	v_sub_nc_u32_e32 v7, 29, v7
	v_lshlrev_b64 v[70:71], v70, v[9:10]
	s_delay_alu instid0(VALU_DEP_1)
	v_and_b32_e32 v9, 7, v70
; %bb.1072:                             ;   in Loop: Header=BB438_998 Depth=1
	s_or_b32 exec_lo, exec_lo, s15
	v_lshlrev_b32_e32 v6, 24, v6
	s_delay_alu instid0(VALU_DEP_2) | instskip(SKIP_1) | instid1(VALU_DEP_3)
	v_lshlrev_b32_e32 v9, 20, v9
	v_lshl_add_u32 v7, v7, 23, 0x3c000000
	v_and_b32_e32 v6, 0x80000000, v6
	s_delay_alu instid0(VALU_DEP_1)
	v_or3_b32 v7, v9, v6, v7
.LBB438_1073:                           ;   in Loop: Header=BB438_998 Depth=1
	s_or_b32 exec_lo, exec_lo, s13
.LBB438_1074:                           ;   in Loop: Header=BB438_998 Depth=1
	s_delay_alu instid0(SALU_CYCLE_1)
	s_or_b32 exec_lo, exec_lo, s12
.LBB438_1075:                           ;   in Loop: Header=BB438_998 Depth=1
	s_delay_alu instid0(SALU_CYCLE_1) | instskip(NEXT) | instid1(VALU_DEP_1)
	s_or_b32 exec_lo, exec_lo, s0
	v_mul_f32_e32 v6, v8, v7
	s_mov_b32 s0, exec_lo
                                        ; implicit-def: $vgpr70
	s_delay_alu instid0(VALU_DEP_1) | instskip(NEXT) | instid1(VALU_DEP_1)
	v_and_b32_e32 v7, 0x7f800000, v6
	v_cmpx_ne_u32_e32 0x7f800000, v7
	s_xor_b32 s0, exec_lo, s0
; %bb.1076:                             ;   in Loop: Header=BB438_998 Depth=1
	v_bfe_u32 v7, v6, 16, 1
	s_delay_alu instid0(VALU_DEP_1)
	v_add3_u32 v70, v6, v7, 0x7fff
                                        ; implicit-def: $vgpr6
; %bb.1077:                             ;   in Loop: Header=BB438_998 Depth=1
	s_and_not1_saveexec_b32 s0, s0
; %bb.1078:                             ;   in Loop: Header=BB438_998 Depth=1
	v_and_b32_e32 v7, 0xffff, v6
	v_or_b32_e32 v9, 0x10000, v6
	s_delay_alu instid0(VALU_DEP_2) | instskip(NEXT) | instid1(VALU_DEP_2)
	v_cmp_eq_u32_e32 vcc_lo, 0, v7
	v_cndmask_b32_e32 v70, v9, v6, vcc_lo
; %bb.1079:                             ;   in Loop: Header=BB438_998 Depth=1
	s_or_b32 exec_lo, exec_lo, s0
	v_dual_mov_b32 v6, 0 :: v_dual_and_b32 v7, 0xff, v3
	v_mov_b32_e32 v9, v3
	s_mov_b32 s0, exec_lo
	s_delay_alu instid0(VALU_DEP_2)
	v_cmpx_ne_u16_e32 0, v7
	s_cbranch_execz .LBB438_1087
; %bb.1080:                             ;   in Loop: Header=BB438_998 Depth=1
	v_bfrev_b32_e32 v6, 1
	s_mov_b32 s12, exec_lo
	v_cmpx_ne_u16_e32 0x80, v7
	s_cbranch_execz .LBB438_1086
; %bb.1081:                             ;   in Loop: Header=BB438_998 Depth=1
	v_and_b32_e32 v7, 0x7f, v3
	v_mov_b32_e32 v6, 0x7f800001
	s_mov_b32 s13, exec_lo
	s_delay_alu instid0(VALU_DEP_2)
	v_cmpx_ne_u32_e32 0x7f, v7
	s_cbranch_execz .LBB438_1085
; %bb.1082:                             ;   in Loop: Header=BB438_998 Depth=1
	v_lshrrev_b32_e32 v71, 3, v7
	v_cmp_gt_u32_e32 vcc_lo, 8, v7
	v_dual_mov_b32 v6, v9 :: v_dual_mov_b32 v7, v10
	s_and_saveexec_b32 s15, vcc_lo
; %bb.1083:                             ;   in Loop: Header=BB438_998 Depth=1
	v_and_b32_e32 v6, 7, v3
	s_delay_alu instid0(VALU_DEP_1) | instskip(NEXT) | instid1(VALU_DEP_1)
	v_clz_i32_u32_e32 v6, v6
	v_min_u32_e32 v71, 32, v6
	s_delay_alu instid0(VALU_DEP_1) | instskip(SKIP_1) | instid1(VALU_DEP_2)
	v_subrev_nc_u32_e32 v6, 28, v71
	v_sub_nc_u32_e32 v71, 29, v71
	v_lshlrev_b64 v[6:7], v6, v[9:10]
; %bb.1084:                             ;   in Loop: Header=BB438_998 Depth=1
	s_or_b32 exec_lo, exec_lo, s15
	s_delay_alu instid0(VALU_DEP_1) | instskip(SKIP_2) | instid1(VALU_DEP_3)
	v_lshlrev_b32_e32 v6, 20, v6
	v_lshlrev_b32_e32 v7, 24, v9
	v_lshl_add_u32 v71, v71, 23, 0x3c000000
	v_and_b32_e32 v6, 0x700000, v6
	s_delay_alu instid0(VALU_DEP_3) | instskip(NEXT) | instid1(VALU_DEP_1)
	v_and_b32_e32 v7, 0x80000000, v7
	v_or3_b32 v6, v6, v7, v71
.LBB438_1085:                           ;   in Loop: Header=BB438_998 Depth=1
	s_or_b32 exec_lo, exec_lo, s13
.LBB438_1086:                           ;   in Loop: Header=BB438_998 Depth=1
	s_delay_alu instid0(SALU_CYCLE_1)
	s_or_b32 exec_lo, exec_lo, s12
.LBB438_1087:                           ;   in Loop: Header=BB438_998 Depth=1
	s_delay_alu instid0(SALU_CYCLE_1) | instskip(NEXT) | instid1(VALU_DEP_1)
	s_or_b32 exec_lo, exec_lo, s0
	v_mul_f32_e32 v6, v8, v6
	s_mov_b32 s0, exec_lo
                                        ; implicit-def: $vgpr71
	s_delay_alu instid0(VALU_DEP_1) | instskip(NEXT) | instid1(VALU_DEP_1)
	v_and_b32_e32 v7, 0x7f800000, v6
	v_cmpx_ne_u32_e32 0x7f800000, v7
	s_xor_b32 s0, exec_lo, s0
; %bb.1088:                             ;   in Loop: Header=BB438_998 Depth=1
	v_bfe_u32 v7, v6, 16, 1
	s_delay_alu instid0(VALU_DEP_1)
	v_add3_u32 v71, v6, v7, 0x7fff
                                        ; implicit-def: $vgpr6
; %bb.1089:                             ;   in Loop: Header=BB438_998 Depth=1
	s_and_not1_saveexec_b32 s0, s0
; %bb.1090:                             ;   in Loop: Header=BB438_998 Depth=1
	v_and_b32_e32 v7, 0xffff, v6
	v_or_b32_e32 v71, 0x10000, v6
	s_delay_alu instid0(VALU_DEP_2) | instskip(NEXT) | instid1(VALU_DEP_2)
	v_cmp_eq_u32_e32 vcc_lo, 0, v7
	v_cndmask_b32_e32 v71, v71, v6, vcc_lo
; %bb.1091:                             ;   in Loop: Header=BB438_998 Depth=1
	s_or_b32 exec_lo, exec_lo, s0
	v_lshrrev_b16 v7, 8, v9
	v_mov_b32_e32 v6, 0
	s_mov_b32 s0, exec_lo
	s_delay_alu instid0(VALU_DEP_2)
	v_cmpx_ne_u16_e32 0, v7
	s_cbranch_execz .LBB438_1099
; %bb.1092:                             ;   in Loop: Header=BB438_998 Depth=1
	v_bfrev_b32_e32 v6, 1
	s_mov_b32 s12, exec_lo
	v_cmpx_ne_u16_e32 0x80, v7
	s_cbranch_execz .LBB438_1098
; %bb.1093:                             ;   in Loop: Header=BB438_998 Depth=1
	v_and_b32_e32 v7, 0xffff, v7
	v_mov_b32_e32 v6, 0x7f800001
	s_mov_b32 s13, exec_lo
	s_delay_alu instid0(VALU_DEP_2) | instskip(NEXT) | instid1(VALU_DEP_1)
	v_and_b32_e32 v81, 0x7f, v7
	v_cmpx_ne_u32_e32 0x7f, v81
	s_cbranch_execz .LBB438_1097
; %bb.1094:                             ;   in Loop: Header=BB438_998 Depth=1
	v_dual_mov_b32 v7, v10 :: v_dual_and_b32 v6, 7, v7
	v_lshrrev_b32_e32 v80, 3, v81
	s_mov_b32 s15, exec_lo
	v_cmpx_gt_u32_e32 8, v81
; %bb.1095:                             ;   in Loop: Header=BB438_998 Depth=1
	s_delay_alu instid0(VALU_DEP_3) | instskip(NEXT) | instid1(VALU_DEP_1)
	v_clz_i32_u32_e32 v80, v6
	v_min_u32_e32 v80, 32, v80
	s_delay_alu instid0(VALU_DEP_1) | instskip(SKIP_1) | instid1(VALU_DEP_2)
	v_subrev_nc_u32_e32 v81, 28, v80
	v_sub_nc_u32_e32 v80, 29, v80
	v_lshlrev_b64 v[6:7], v81, v[6:7]
	s_delay_alu instid0(VALU_DEP_1)
	v_and_b32_e32 v6, 7, v6
; %bb.1096:                             ;   in Loop: Header=BB438_998 Depth=1
	s_or_b32 exec_lo, exec_lo, s15
	v_lshlrev_b32_e32 v7, 16, v9
	s_delay_alu instid0(VALU_DEP_2) | instskip(SKIP_1) | instid1(VALU_DEP_3)
	v_lshlrev_b32_e32 v6, 20, v6
	v_lshl_add_u32 v9, v80, 23, 0x3c000000
	v_and_b32_e32 v7, 0x80000000, v7
	s_delay_alu instid0(VALU_DEP_1)
	v_or3_b32 v6, v6, v7, v9
.LBB438_1097:                           ;   in Loop: Header=BB438_998 Depth=1
	s_or_b32 exec_lo, exec_lo, s13
.LBB438_1098:                           ;   in Loop: Header=BB438_998 Depth=1
	s_delay_alu instid0(SALU_CYCLE_1)
	s_or_b32 exec_lo, exec_lo, s12
.LBB438_1099:                           ;   in Loop: Header=BB438_998 Depth=1
	s_delay_alu instid0(SALU_CYCLE_1) | instskip(NEXT) | instid1(VALU_DEP_1)
	s_or_b32 exec_lo, exec_lo, s0
	v_mul_f32_e32 v7, v8, v6
	s_delay_alu instid0(VALU_DEP_1) | instskip(NEXT) | instid1(VALU_DEP_1)
	v_and_b32_e32 v6, 0x7f800000, v7
	v_cmp_ne_u32_e32 vcc_lo, 0x7f800000, v6
                                        ; implicit-def: $vgpr6
	s_and_saveexec_b32 s0, vcc_lo
	s_delay_alu instid0(SALU_CYCLE_1)
	s_xor_b32 s0, exec_lo, s0
; %bb.1100:                             ;   in Loop: Header=BB438_998 Depth=1
	v_bfe_u32 v6, v7, 16, 1
	s_delay_alu instid0(VALU_DEP_1)
	v_add3_u32 v6, v7, v6, 0x7fff
                                        ; implicit-def: $vgpr7
; %bb.1101:                             ;   in Loop: Header=BB438_998 Depth=1
	s_and_not1_saveexec_b32 s0, s0
; %bb.1102:                             ;   in Loop: Header=BB438_998 Depth=1
	v_and_b32_e32 v6, 0xffff, v7
	v_or_b32_e32 v9, 0x10000, v7
	s_delay_alu instid0(VALU_DEP_2) | instskip(NEXT) | instid1(VALU_DEP_2)
	v_cmp_eq_u32_e32 vcc_lo, 0, v6
	v_cndmask_b32_e32 v6, v9, v7, vcc_lo
; %bb.1103:                             ;   in Loop: Header=BB438_998 Depth=1
	s_or_b32 exec_lo, exec_lo, s0
	v_lshrrev_b32_e32 v7, 16, v3
	s_mov_b32 s0, exec_lo
	s_delay_alu instid0(VALU_DEP_1) | instskip(NEXT) | instid1(VALU_DEP_1)
	v_dual_mov_b32 v9, 0 :: v_dual_and_b32 v80, 0xff, v7
	v_cmpx_ne_u16_e32 0, v80
	s_cbranch_execz .LBB438_1111
; %bb.1104:                             ;   in Loop: Header=BB438_998 Depth=1
	v_bfrev_b32_e32 v9, 1
	s_mov_b32 s12, exec_lo
	v_cmpx_ne_u16_e32 0x80, v80
	s_cbranch_execz .LBB438_1110
; %bb.1105:                             ;   in Loop: Header=BB438_998 Depth=1
	v_bfe_u32 v81, v3, 16, 7
	v_mov_b32_e32 v9, 0x7f800001
	s_mov_b32 s13, exec_lo
	s_delay_alu instid0(VALU_DEP_2)
	v_cmpx_ne_u32_e32 0x7f, v81
	s_cbranch_execz .LBB438_1109
; %bb.1106:                             ;   in Loop: Header=BB438_998 Depth=1
	v_and_b32_e32 v9, 7, v7
	v_lshrrev_b32_e32 v80, 3, v81
	s_mov_b32 s15, exec_lo
	v_cmpx_gt_u32_e32 8, v81
; %bb.1107:                             ;   in Loop: Header=BB438_998 Depth=1
	s_delay_alu instid0(VALU_DEP_3) | instskip(NEXT) | instid1(VALU_DEP_1)
	v_clz_i32_u32_e32 v80, v9
	v_min_u32_e32 v80, 32, v80
	s_delay_alu instid0(VALU_DEP_1) | instskip(SKIP_1) | instid1(VALU_DEP_2)
	v_subrev_nc_u32_e32 v81, 28, v80
	v_sub_nc_u32_e32 v80, 29, v80
	v_lshlrev_b64 v[81:82], v81, v[9:10]
	s_delay_alu instid0(VALU_DEP_1)
	v_and_b32_e32 v9, 7, v81
; %bb.1108:                             ;   in Loop: Header=BB438_998 Depth=1
	s_or_b32 exec_lo, exec_lo, s15
	v_lshlrev_b32_e32 v7, 24, v7
	s_delay_alu instid0(VALU_DEP_2) | instskip(SKIP_1) | instid1(VALU_DEP_3)
	v_lshlrev_b32_e32 v9, 20, v9
	v_lshl_add_u32 v80, v80, 23, 0x3c000000
	v_and_b32_e32 v7, 0x80000000, v7
	s_delay_alu instid0(VALU_DEP_1)
	v_or3_b32 v9, v9, v7, v80
.LBB438_1109:                           ;   in Loop: Header=BB438_998 Depth=1
	s_or_b32 exec_lo, exec_lo, s13
.LBB438_1110:                           ;   in Loop: Header=BB438_998 Depth=1
	s_delay_alu instid0(SALU_CYCLE_1)
	s_or_b32 exec_lo, exec_lo, s12
.LBB438_1111:                           ;   in Loop: Header=BB438_998 Depth=1
	s_delay_alu instid0(SALU_CYCLE_1) | instskip(NEXT) | instid1(VALU_DEP_1)
	s_or_b32 exec_lo, exec_lo, s0
	v_mul_f32_e32 v7, v8, v9
	s_mov_b32 s0, exec_lo
                                        ; implicit-def: $vgpr81
	s_delay_alu instid0(VALU_DEP_1) | instskip(NEXT) | instid1(VALU_DEP_1)
	v_and_b32_e32 v9, 0x7f800000, v7
	v_cmpx_ne_u32_e32 0x7f800000, v9
	s_xor_b32 s0, exec_lo, s0
; %bb.1112:                             ;   in Loop: Header=BB438_998 Depth=1
	v_bfe_u32 v9, v7, 16, 1
	s_delay_alu instid0(VALU_DEP_1)
	v_add3_u32 v81, v7, v9, 0x7fff
                                        ; implicit-def: $vgpr7
; %bb.1113:                             ;   in Loop: Header=BB438_998 Depth=1
	s_and_not1_saveexec_b32 s0, s0
; %bb.1114:                             ;   in Loop: Header=BB438_998 Depth=1
	v_and_b32_e32 v9, 0xffff, v7
	v_or_b32_e32 v80, 0x10000, v7
	s_delay_alu instid0(VALU_DEP_2) | instskip(NEXT) | instid1(VALU_DEP_2)
	v_cmp_eq_u32_e32 vcc_lo, 0, v9
	v_cndmask_b32_e32 v81, v80, v7, vcc_lo
; %bb.1115:                             ;   in Loop: Header=BB438_998 Depth=1
	s_or_b32 exec_lo, exec_lo, s0
	v_mov_b32_e32 v7, 0
	s_mov_b32 s0, exec_lo
	v_cmpx_lt_u64_e64 s[8:9], v[2:3]
	s_cbranch_execz .LBB438_1123
; %bb.1116:                             ;   in Loop: Header=BB438_998 Depth=1
	v_lshrrev_b32_e32 v2, 24, v3
	v_bfrev_b32_e32 v7, 1
	s_mov_b32 s12, exec_lo
	s_delay_alu instid0(VALU_DEP_2)
	v_cmpx_ne_u32_e32 0x80, v2
	s_cbranch_execz .LBB438_1122
; %bb.1117:                             ;   in Loop: Header=BB438_998 Depth=1
	v_bfe_u32 v80, v3, 24, 7
	v_mov_b32_e32 v7, 0x7f800001
	s_mov_b32 s13, exec_lo
	s_delay_alu instid0(VALU_DEP_2)
	v_cmpx_ne_u32_e32 0x7f, v80
	s_cbranch_execz .LBB438_1121
; %bb.1118:                             ;   in Loop: Header=BB438_998 Depth=1
	v_and_b32_e32 v9, 7, v2
	v_lshrrev_b32_e32 v3, 3, v80
	s_mov_b32 s15, exec_lo
	v_cmpx_gt_u32_e32 8, v80
; %bb.1119:                             ;   in Loop: Header=BB438_998 Depth=1
	s_delay_alu instid0(VALU_DEP_3) | instskip(NEXT) | instid1(VALU_DEP_1)
	v_clz_i32_u32_e32 v3, v9
	v_min_u32_e32 v3, 32, v3
	s_delay_alu instid0(VALU_DEP_1) | instskip(SKIP_1) | instid1(VALU_DEP_2)
	v_subrev_nc_u32_e32 v7, 28, v3
	v_sub_nc_u32_e32 v3, 29, v3
	v_lshlrev_b64 v[82:83], v7, v[9:10]
	s_delay_alu instid0(VALU_DEP_1)
	v_and_b32_e32 v9, 7, v82
; %bb.1120:                             ;   in Loop: Header=BB438_998 Depth=1
	s_or_b32 exec_lo, exec_lo, s15
	v_lshlrev_b32_e32 v2, 24, v2
	s_delay_alu instid0(VALU_DEP_2) | instskip(SKIP_1) | instid1(VALU_DEP_3)
	v_lshlrev_b32_e32 v7, 20, v9
	v_lshl_add_u32 v3, v3, 23, 0x3c000000
	v_and_b32_e32 v2, 0x80000000, v2
	s_delay_alu instid0(VALU_DEP_1)
	v_or3_b32 v7, v7, v2, v3
.LBB438_1121:                           ;   in Loop: Header=BB438_998 Depth=1
	s_or_b32 exec_lo, exec_lo, s13
.LBB438_1122:                           ;   in Loop: Header=BB438_998 Depth=1
	s_delay_alu instid0(SALU_CYCLE_1)
	s_or_b32 exec_lo, exec_lo, s12
.LBB438_1123:                           ;   in Loop: Header=BB438_998 Depth=1
	s_delay_alu instid0(SALU_CYCLE_1) | instskip(NEXT) | instid1(VALU_DEP_1)
	s_or_b32 exec_lo, exec_lo, s0
	v_mul_f32_e32 v3, v8, v7
	s_delay_alu instid0(VALU_DEP_1) | instskip(NEXT) | instid1(VALU_DEP_1)
	v_and_b32_e32 v2, 0x7f800000, v3
	v_cmp_ne_u32_e32 vcc_lo, 0x7f800000, v2
                                        ; implicit-def: $vgpr2
	s_and_saveexec_b32 s0, vcc_lo
	s_delay_alu instid0(SALU_CYCLE_1)
	s_xor_b32 s0, exec_lo, s0
; %bb.1124:                             ;   in Loop: Header=BB438_998 Depth=1
	v_bfe_u32 v2, v3, 16, 1
	s_delay_alu instid0(VALU_DEP_1)
	v_add3_u32 v2, v3, v2, 0x7fff
                                        ; implicit-def: $vgpr3
; %bb.1125:                             ;   in Loop: Header=BB438_998 Depth=1
	s_and_not1_saveexec_b32 s0, s0
; %bb.1126:                             ;   in Loop: Header=BB438_998 Depth=1
	v_and_b32_e32 v2, 0xffff, v3
	v_or_b32_e32 v7, 0x10000, v3
	s_delay_alu instid0(VALU_DEP_2) | instskip(NEXT) | instid1(VALU_DEP_2)
	v_cmp_eq_u32_e32 vcc_lo, 0, v2
	v_cndmask_b32_e32 v2, v7, v3, vcc_lo
; %bb.1127:                             ;   in Loop: Header=BB438_998 Depth=1
	s_or_b32 exec_lo, exec_lo, s0
	v_add_nc_u32_e32 v80, v18, v23
	v_cmp_eq_u32_e32 vcc_lo, v54, v17
	v_lshrrev_b32_e32 v6, 16, v6
	v_lshrrev_b32_e32 v7, 16, v71
	;; [unrolled: 1-line block ×8, first 2 shown]
	v_add_nc_u32_e32 v87, 1, v80
	v_add_nc_u32_e32 v86, 2, v80
	;; [unrolled: 1-line block ×7, first 2 shown]
	s_and_saveexec_b32 s12, vcc_lo
	s_cbranch_execz .LBB438_1129
; %bb.1128:                             ;   in Loop: Header=BB438_998 Depth=1
	v_cmp_lt_i32_e64 s0, v80, v38
	s_delay_alu instid0(VALU_DEP_1) | instskip(SKIP_1) | instid1(VALU_DEP_1)
	v_cndmask_b32_e64 v67, 0, v67, s0
	v_cmp_lt_i32_e64 s0, v87, v38
	v_cndmask_b32_e64 v68, 0, v68, s0
	v_cmp_lt_i32_e64 s0, v86, v38
	s_delay_alu instid0(VALU_DEP_1) | instskip(SKIP_1) | instid1(VALU_DEP_1)
	v_cndmask_b32_e64 v69, 0, v69, s0
	v_cmp_lt_i32_e64 s0, v85, v38
	v_cndmask_b32_e64 v9, 0, v9, s0
	;; [unrolled: 5-line block ×4, first 2 shown]
.LBB438_1129:                           ;   in Loop: Header=BB438_998 Depth=1
	s_or_b32 exec_lo, exec_lo, s12
	v_and_b32_e32 v96, 0xffff0000, v64
	v_lshlrev_b32_e32 v64, 16, v67
	s_delay_alu instid0(VALU_DEP_1) | instskip(NEXT) | instid1(VALU_DEP_1)
	v_mul_f32_e32 v67, v96, v64
	v_and_b32_e32 v64, 0x7f800000, v67
	s_delay_alu instid0(VALU_DEP_1) | instskip(NEXT) | instid1(VALU_DEP_1)
	v_cmp_ne_u32_e64 s0, 0x7f800000, v64
                                        ; implicit-def: $vgpr64
	s_and_saveexec_b32 s12, s0
	s_delay_alu instid0(SALU_CYCLE_1)
	s_xor_b32 s0, exec_lo, s12
; %bb.1130:                             ;   in Loop: Header=BB438_998 Depth=1
	v_bfe_u32 v64, v67, 16, 1
	s_delay_alu instid0(VALU_DEP_1)
	v_add3_u32 v64, v67, v64, 0x7fff
                                        ; implicit-def: $vgpr67
; %bb.1131:                             ;   in Loop: Header=BB438_998 Depth=1
	s_and_not1_saveexec_b32 s12, s0
; %bb.1132:                             ;   in Loop: Header=BB438_998 Depth=1
	v_and_b32_e32 v64, 0xffff, v67
	v_or_b32_e32 v70, 0x10000, v67
	s_delay_alu instid0(VALU_DEP_2) | instskip(NEXT) | instid1(VALU_DEP_1)
	v_cmp_eq_u32_e64 s0, 0, v64
	v_cndmask_b32_e64 v64, v70, v67, s0
; %bb.1133:                             ;   in Loop: Header=BB438_998 Depth=1
	s_or_b32 exec_lo, exec_lo, s12
	v_and_b32_e32 v97, 0xffff0000, v65
	v_lshlrev_b32_e32 v65, 16, v68
	s_delay_alu instid0(VALU_DEP_1) | instskip(NEXT) | instid1(VALU_DEP_1)
	v_mul_f32_e32 v67, v97, v65
	v_and_b32_e32 v65, 0x7f800000, v67
	s_delay_alu instid0(VALU_DEP_1) | instskip(NEXT) | instid1(VALU_DEP_1)
	v_cmp_ne_u32_e64 s0, 0x7f800000, v65
                                        ; implicit-def: $vgpr65
	s_and_saveexec_b32 s12, s0
	s_delay_alu instid0(SALU_CYCLE_1)
	s_xor_b32 s0, exec_lo, s12
; %bb.1134:                             ;   in Loop: Header=BB438_998 Depth=1
	v_bfe_u32 v65, v67, 16, 1
	s_delay_alu instid0(VALU_DEP_1)
	v_add3_u32 v65, v67, v65, 0x7fff
                                        ; implicit-def: $vgpr67
; %bb.1135:                             ;   in Loop: Header=BB438_998 Depth=1
	s_and_not1_saveexec_b32 s12, s0
; %bb.1136:                             ;   in Loop: Header=BB438_998 Depth=1
	v_and_b32_e32 v65, 0xffff, v67
	v_or_b32_e32 v68, 0x10000, v67
	s_delay_alu instid0(VALU_DEP_2) | instskip(NEXT) | instid1(VALU_DEP_1)
	v_cmp_eq_u32_e64 s0, 0, v65
	v_cndmask_b32_e64 v65, v68, v67, s0
; %bb.1137:                             ;   in Loop: Header=BB438_998 Depth=1
	s_or_b32 exec_lo, exec_lo, s12
	v_and_b32_e32 v98, 0xffff0000, v66
	v_lshlrev_b32_e32 v66, 16, v69
	s_delay_alu instid0(VALU_DEP_1) | instskip(NEXT) | instid1(VALU_DEP_1)
	v_mul_f32_e32 v67, v98, v66
	v_and_b32_e32 v66, 0x7f800000, v67
	s_delay_alu instid0(VALU_DEP_1) | instskip(NEXT) | instid1(VALU_DEP_1)
	v_cmp_ne_u32_e64 s0, 0x7f800000, v66
                                        ; implicit-def: $vgpr66
	s_and_saveexec_b32 s12, s0
	s_delay_alu instid0(SALU_CYCLE_1)
	s_xor_b32 s0, exec_lo, s12
; %bb.1138:                             ;   in Loop: Header=BB438_998 Depth=1
	v_bfe_u32 v66, v67, 16, 1
	s_delay_alu instid0(VALU_DEP_1)
	v_add3_u32 v66, v67, v66, 0x7fff
                                        ; implicit-def: $vgpr67
; %bb.1139:                             ;   in Loop: Header=BB438_998 Depth=1
	s_and_not1_saveexec_b32 s12, s0
; %bb.1140:                             ;   in Loop: Header=BB438_998 Depth=1
	v_and_b32_e32 v66, 0xffff, v67
	v_or_b32_e32 v68, 0x10000, v67
	s_delay_alu instid0(VALU_DEP_2) | instskip(NEXT) | instid1(VALU_DEP_1)
	v_cmp_eq_u32_e64 s0, 0, v66
	v_cndmask_b32_e64 v66, v68, v67, s0
; %bb.1141:                             ;   in Loop: Header=BB438_998 Depth=1
	s_or_b32 exec_lo, exec_lo, s12
	v_and_b32_e32 v99, 0xffff0000, v48
	v_lshlrev_b32_e32 v9, 16, v9
                                        ; implicit-def: $vgpr67
	s_delay_alu instid0(VALU_DEP_1) | instskip(NEXT) | instid1(VALU_DEP_1)
	v_mul_f32_e32 v9, v99, v9
	v_and_b32_e32 v48, 0x7f800000, v9
	s_delay_alu instid0(VALU_DEP_1) | instskip(NEXT) | instid1(VALU_DEP_1)
	v_cmp_ne_u32_e64 s0, 0x7f800000, v48
	s_and_saveexec_b32 s12, s0
	s_delay_alu instid0(SALU_CYCLE_1)
	s_xor_b32 s0, exec_lo, s12
; %bb.1142:                             ;   in Loop: Header=BB438_998 Depth=1
	v_bfe_u32 v48, v9, 16, 1
	s_delay_alu instid0(VALU_DEP_1)
	v_add3_u32 v67, v9, v48, 0x7fff
                                        ; implicit-def: $vgpr9
; %bb.1143:                             ;   in Loop: Header=BB438_998 Depth=1
	s_and_not1_saveexec_b32 s12, s0
; %bb.1144:                             ;   in Loop: Header=BB438_998 Depth=1
	v_and_b32_e32 v48, 0xffff, v9
	v_or_b32_e32 v67, 0x10000, v9
	s_delay_alu instid0(VALU_DEP_2) | instskip(NEXT) | instid1(VALU_DEP_1)
	v_cmp_eq_u32_e64 s0, 0, v48
	v_cndmask_b32_e64 v67, v67, v9, s0
; %bb.1145:                             ;   in Loop: Header=BB438_998 Depth=1
	s_or_b32 exec_lo, exec_lo, s12
	v_and_b32_e32 v100, 0xffff0000, v39
	v_lshlrev_b32_e32 v7, 16, v7
                                        ; implicit-def: $vgpr68
	s_delay_alu instid0(VALU_DEP_1) | instskip(NEXT) | instid1(VALU_DEP_1)
	v_mul_f32_e32 v7, v100, v7
	v_and_b32_e32 v9, 0x7f800000, v7
	s_delay_alu instid0(VALU_DEP_1) | instskip(NEXT) | instid1(VALU_DEP_1)
	v_cmp_ne_u32_e64 s0, 0x7f800000, v9
	s_and_saveexec_b32 s12, s0
	s_delay_alu instid0(SALU_CYCLE_1)
	s_xor_b32 s0, exec_lo, s12
; %bb.1146:                             ;   in Loop: Header=BB438_998 Depth=1
	v_bfe_u32 v9, v7, 16, 1
	s_delay_alu instid0(VALU_DEP_1)
	v_add3_u32 v68, v7, v9, 0x7fff
                                        ; implicit-def: $vgpr7
; %bb.1147:                             ;   in Loop: Header=BB438_998 Depth=1
	s_and_not1_saveexec_b32 s12, s0
; %bb.1148:                             ;   in Loop: Header=BB438_998 Depth=1
	v_and_b32_e32 v9, 0xffff, v7
	v_or_b32_e32 v39, 0x10000, v7
	s_delay_alu instid0(VALU_DEP_2) | instskip(NEXT) | instid1(VALU_DEP_1)
	v_cmp_eq_u32_e64 s0, 0, v9
	v_cndmask_b32_e64 v68, v39, v7, s0
; %bb.1149:                             ;   in Loop: Header=BB438_998 Depth=1
	s_or_b32 exec_lo, exec_lo, s12
	v_and_b32_e32 v101, 0xffff0000, v37
	v_lshlrev_b32_e32 v6, 16, v6
                                        ; implicit-def: $vgpr69
	s_delay_alu instid0(VALU_DEP_1) | instskip(NEXT) | instid1(VALU_DEP_1)
	v_mul_f32_e32 v6, v101, v6
	v_and_b32_e32 v7, 0x7f800000, v6
	s_delay_alu instid0(VALU_DEP_1) | instskip(NEXT) | instid1(VALU_DEP_1)
	v_cmp_ne_u32_e64 s0, 0x7f800000, v7
	s_and_saveexec_b32 s12, s0
	s_delay_alu instid0(SALU_CYCLE_1)
	s_xor_b32 s0, exec_lo, s12
; %bb.1150:                             ;   in Loop: Header=BB438_998 Depth=1
	v_bfe_u32 v7, v6, 16, 1
	s_delay_alu instid0(VALU_DEP_1)
	v_add3_u32 v69, v6, v7, 0x7fff
                                        ; implicit-def: $vgpr6
; %bb.1151:                             ;   in Loop: Header=BB438_998 Depth=1
	s_and_not1_saveexec_b32 s12, s0
; %bb.1152:                             ;   in Loop: Header=BB438_998 Depth=1
	v_and_b32_e32 v7, 0xffff, v6
	v_or_b32_e32 v9, 0x10000, v6
	s_delay_alu instid0(VALU_DEP_2) | instskip(NEXT) | instid1(VALU_DEP_1)
	v_cmp_eq_u32_e64 s0, 0, v7
	v_cndmask_b32_e64 v69, v9, v6, s0
; %bb.1153:                             ;   in Loop: Header=BB438_998 Depth=1
	s_or_b32 exec_lo, exec_lo, s12
	v_and_b32_e32 v102, 0xffff0000, v5
	v_lshlrev_b32_e32 v3, 16, v3
                                        ; implicit-def: $vgpr70
	s_delay_alu instid0(VALU_DEP_1) | instskip(NEXT) | instid1(VALU_DEP_1)
	v_mul_f32_e32 v3, v102, v3
	v_and_b32_e32 v5, 0x7f800000, v3
	s_delay_alu instid0(VALU_DEP_1) | instskip(NEXT) | instid1(VALU_DEP_1)
	v_cmp_ne_u32_e64 s0, 0x7f800000, v5
	s_and_saveexec_b32 s12, s0
	s_delay_alu instid0(SALU_CYCLE_1)
	s_xor_b32 s0, exec_lo, s12
; %bb.1154:                             ;   in Loop: Header=BB438_998 Depth=1
	v_bfe_u32 v5, v3, 16, 1
	s_delay_alu instid0(VALU_DEP_1)
	v_add3_u32 v70, v3, v5, 0x7fff
                                        ; implicit-def: $vgpr3
; %bb.1155:                             ;   in Loop: Header=BB438_998 Depth=1
	s_and_not1_saveexec_b32 s12, s0
; %bb.1156:                             ;   in Loop: Header=BB438_998 Depth=1
	v_and_b32_e32 v5, 0xffff, v3
	v_or_b32_e32 v6, 0x10000, v3
	s_delay_alu instid0(VALU_DEP_2) | instskip(NEXT) | instid1(VALU_DEP_1)
	v_cmp_eq_u32_e64 s0, 0, v5
	v_cndmask_b32_e64 v70, v6, v3, s0
; %bb.1157:                             ;   in Loop: Header=BB438_998 Depth=1
	s_or_b32 exec_lo, exec_lo, s12
	v_and_b32_e32 v103, 0xffff0000, v4
	v_lshlrev_b32_e32 v2, 16, v2
                                        ; implicit-def: $vgpr71
	s_delay_alu instid0(VALU_DEP_1) | instskip(NEXT) | instid1(VALU_DEP_1)
	v_mul_f32_e32 v2, v103, v2
	v_and_b32_e32 v3, 0x7f800000, v2
	s_delay_alu instid0(VALU_DEP_1) | instskip(NEXT) | instid1(VALU_DEP_1)
	v_cmp_ne_u32_e64 s0, 0x7f800000, v3
	s_and_saveexec_b32 s12, s0
	s_delay_alu instid0(SALU_CYCLE_1)
	s_xor_b32 s0, exec_lo, s12
; %bb.1158:                             ;   in Loop: Header=BB438_998 Depth=1
	v_bfe_u32 v3, v2, 16, 1
	s_delay_alu instid0(VALU_DEP_1)
	v_add3_u32 v71, v2, v3, 0x7fff
                                        ; implicit-def: $vgpr2
; %bb.1159:                             ;   in Loop: Header=BB438_998 Depth=1
	s_and_not1_saveexec_b32 s12, s0
; %bb.1160:                             ;   in Loop: Header=BB438_998 Depth=1
	v_and_b32_e32 v3, 0xffff, v2
	v_or_b32_e32 v4, 0x10000, v2
	s_delay_alu instid0(VALU_DEP_2) | instskip(NEXT) | instid1(VALU_DEP_1)
	v_cmp_eq_u32_e64 s0, 0, v3
	v_cndmask_b32_e64 v71, v4, v2, s0
; %bb.1161:                             ;   in Loop: Header=BB438_998 Depth=1
	s_or_b32 exec_lo, exec_lo, s12
	flat_load_b64 v[2:3], v[0:1] offset:256
	s_mov_b32 s12, exec_lo
	s_waitcnt vmcnt(0) lgkmcnt(0)
	v_dual_mov_b32 v4, 0 :: v_dual_and_b32 v5, 0xff, v2
	s_delay_alu instid0(VALU_DEP_1)
	v_cmpx_ne_u16_e32 0, v5
	s_cbranch_execz .LBB438_1169
; %bb.1162:                             ;   in Loop: Header=BB438_998 Depth=1
	v_bfrev_b32_e32 v4, 1
	s_mov_b32 s13, exec_lo
	v_cmpx_ne_u16_e32 0x80, v5
	s_cbranch_execz .LBB438_1168
; %bb.1163:                             ;   in Loop: Header=BB438_998 Depth=1
	v_and_b32_e32 v5, 0x7f, v2
	v_mov_b32_e32 v4, 0x7f800001
	s_mov_b32 s15, exec_lo
	s_delay_alu instid0(VALU_DEP_2)
	v_cmpx_ne_u32_e32 0x7f, v5
	s_cbranch_execz .LBB438_1167
; %bb.1164:                             ;   in Loop: Header=BB438_998 Depth=1
	v_lshrrev_b32_e32 v4, 3, v5
	v_dual_mov_b32 v7, v3 :: v_dual_mov_b32 v6, v2
	s_mov_b32 s16, exec_lo
	v_cmpx_gt_u32_e32 8, v5
; %bb.1165:                             ;   in Loop: Header=BB438_998 Depth=1
	v_and_b32_e32 v4, 7, v2
	s_delay_alu instid0(VALU_DEP_1) | instskip(NEXT) | instid1(VALU_DEP_1)
	v_clz_i32_u32_e32 v4, v4
	v_min_u32_e32 v4, 32, v4
	s_delay_alu instid0(VALU_DEP_1) | instskip(SKIP_1) | instid1(VALU_DEP_2)
	v_subrev_nc_u32_e32 v5, 28, v4
	v_sub_nc_u32_e32 v4, 29, v4
	v_lshlrev_b64 v[6:7], v5, v[2:3]
; %bb.1166:                             ;   in Loop: Header=BB438_998 Depth=1
	s_or_b32 exec_lo, exec_lo, s16
	s_delay_alu instid0(VALU_DEP_1) | instskip(SKIP_2) | instid1(VALU_DEP_3)
	v_lshlrev_b32_e32 v5, 20, v6
	v_lshlrev_b32_e32 v6, 24, v2
	v_lshl_add_u32 v4, v4, 23, 0x3c000000
	v_and_b32_e32 v5, 0x700000, v5
	s_delay_alu instid0(VALU_DEP_3) | instskip(NEXT) | instid1(VALU_DEP_1)
	v_and_b32_e32 v6, 0x80000000, v6
	v_or3_b32 v4, v5, v6, v4
.LBB438_1167:                           ;   in Loop: Header=BB438_998 Depth=1
	s_or_b32 exec_lo, exec_lo, s15
.LBB438_1168:                           ;   in Loop: Header=BB438_998 Depth=1
	s_delay_alu instid0(SALU_CYCLE_1)
	s_or_b32 exec_lo, exec_lo, s13
.LBB438_1169:                           ;   in Loop: Header=BB438_998 Depth=1
	s_delay_alu instid0(SALU_CYCLE_1) | instskip(NEXT) | instid1(VALU_DEP_1)
	s_or_b32 exec_lo, exec_lo, s12
	v_mul_f32_e32 v5, v8, v4
	s_delay_alu instid0(VALU_DEP_1) | instskip(NEXT) | instid1(VALU_DEP_1)
	v_and_b32_e32 v4, 0x7f800000, v5
	v_cmp_ne_u32_e64 s0, 0x7f800000, v4
                                        ; implicit-def: $vgpr4
	s_delay_alu instid0(VALU_DEP_1) | instskip(NEXT) | instid1(SALU_CYCLE_1)
	s_and_saveexec_b32 s12, s0
	s_xor_b32 s0, exec_lo, s12
; %bb.1170:                             ;   in Loop: Header=BB438_998 Depth=1
	v_bfe_u32 v4, v5, 16, 1
	s_delay_alu instid0(VALU_DEP_1)
	v_add3_u32 v4, v5, v4, 0x7fff
                                        ; implicit-def: $vgpr5
; %bb.1171:                             ;   in Loop: Header=BB438_998 Depth=1
	s_and_not1_saveexec_b32 s12, s0
; %bb.1172:                             ;   in Loop: Header=BB438_998 Depth=1
	v_and_b32_e32 v4, 0xffff, v5
	v_or_b32_e32 v6, 0x10000, v5
	s_delay_alu instid0(VALU_DEP_2) | instskip(NEXT) | instid1(VALU_DEP_1)
	v_cmp_eq_u32_e64 s0, 0, v4
	v_cndmask_b32_e64 v4, v6, v5, s0
; %bb.1173:                             ;   in Loop: Header=BB438_998 Depth=1
	s_or_b32 exec_lo, exec_lo, s12
	v_lshrrev_b16 v6, 8, v2
	v_mov_b32_e32 v5, 0
	s_mov_b32 s12, exec_lo
	s_delay_alu instid0(VALU_DEP_2)
	v_cmpx_ne_u16_e32 0, v6
	s_cbranch_execz .LBB438_1181
; %bb.1174:                             ;   in Loop: Header=BB438_998 Depth=1
	v_bfrev_b32_e32 v5, 1
	s_mov_b32 s13, exec_lo
	v_cmpx_ne_u16_e32 0x80, v6
	s_cbranch_execz .LBB438_1180
; %bb.1175:                             ;   in Loop: Header=BB438_998 Depth=1
	v_and_b32_e32 v7, 0xffff, v6
	v_mov_b32_e32 v5, 0x7f800001
	s_mov_b32 s15, exec_lo
	s_delay_alu instid0(VALU_DEP_2) | instskip(NEXT) | instid1(VALU_DEP_1)
	v_and_b32_e32 v6, 0x7f, v7
	v_cmpx_ne_u32_e32 0x7f, v6
	s_cbranch_execz .LBB438_1179
; %bb.1176:                             ;   in Loop: Header=BB438_998 Depth=1
	v_and_b32_e32 v9, 7, v7
	v_lshrrev_b32_e32 v5, 3, v6
	s_mov_b32 s16, exec_lo
	v_cmpx_gt_u32_e32 8, v6
; %bb.1177:                             ;   in Loop: Header=BB438_998 Depth=1
	s_delay_alu instid0(VALU_DEP_3) | instskip(NEXT) | instid1(VALU_DEP_1)
	v_clz_i32_u32_e32 v5, v9
	v_min_u32_e32 v5, 32, v5
	s_delay_alu instid0(VALU_DEP_1) | instskip(SKIP_1) | instid1(VALU_DEP_2)
	v_subrev_nc_u32_e32 v6, 28, v5
	v_sub_nc_u32_e32 v5, 29, v5
	v_lshlrev_b64 v[6:7], v6, v[9:10]
	s_delay_alu instid0(VALU_DEP_1)
	v_and_b32_e32 v9, 7, v6
; %bb.1178:                             ;   in Loop: Header=BB438_998 Depth=1
	s_or_b32 exec_lo, exec_lo, s16
	v_lshlrev_b32_e32 v6, 16, v2
	s_delay_alu instid0(VALU_DEP_2) | instskip(SKIP_1) | instid1(VALU_DEP_3)
	v_lshlrev_b32_e32 v7, 20, v9
	v_lshl_add_u32 v5, v5, 23, 0x3c000000
	v_and_b32_e32 v6, 0x80000000, v6
	s_delay_alu instid0(VALU_DEP_1)
	v_or3_b32 v5, v7, v6, v5
.LBB438_1179:                           ;   in Loop: Header=BB438_998 Depth=1
	s_or_b32 exec_lo, exec_lo, s15
.LBB438_1180:                           ;   in Loop: Header=BB438_998 Depth=1
	s_delay_alu instid0(SALU_CYCLE_1)
	s_or_b32 exec_lo, exec_lo, s13
.LBB438_1181:                           ;   in Loop: Header=BB438_998 Depth=1
	s_delay_alu instid0(SALU_CYCLE_1) | instskip(NEXT) | instid1(VALU_DEP_1)
	s_or_b32 exec_lo, exec_lo, s12
	v_mul_f32_e32 v6, v8, v5
	s_delay_alu instid0(VALU_DEP_1) | instskip(NEXT) | instid1(VALU_DEP_1)
	v_and_b32_e32 v5, 0x7f800000, v6
	v_cmp_ne_u32_e64 s0, 0x7f800000, v5
                                        ; implicit-def: $vgpr5
	s_delay_alu instid0(VALU_DEP_1) | instskip(NEXT) | instid1(SALU_CYCLE_1)
	s_and_saveexec_b32 s12, s0
	s_xor_b32 s0, exec_lo, s12
; %bb.1182:                             ;   in Loop: Header=BB438_998 Depth=1
	v_bfe_u32 v5, v6, 16, 1
	s_delay_alu instid0(VALU_DEP_1)
	v_add3_u32 v5, v6, v5, 0x7fff
                                        ; implicit-def: $vgpr6
; %bb.1183:                             ;   in Loop: Header=BB438_998 Depth=1
	s_and_not1_saveexec_b32 s12, s0
; %bb.1184:                             ;   in Loop: Header=BB438_998 Depth=1
	v_and_b32_e32 v5, 0xffff, v6
	v_or_b32_e32 v7, 0x10000, v6
	s_delay_alu instid0(VALU_DEP_2) | instskip(NEXT) | instid1(VALU_DEP_1)
	v_cmp_eq_u32_e64 s0, 0, v5
	v_cndmask_b32_e64 v5, v7, v6, s0
; %bb.1185:                             ;   in Loop: Header=BB438_998 Depth=1
	s_or_b32 exec_lo, exec_lo, s12
	v_lshrrev_b32_e32 v6, 16, v2
	v_mov_b32_e32 v7, 0
	s_mov_b32 s12, exec_lo
	s_delay_alu instid0(VALU_DEP_2) | instskip(NEXT) | instid1(VALU_DEP_1)
	v_and_b32_e32 v9, 0xff, v6
	v_cmpx_ne_u16_e32 0, v9
	s_cbranch_execz .LBB438_1193
; %bb.1186:                             ;   in Loop: Header=BB438_998 Depth=1
	v_bfrev_b32_e32 v7, 1
	s_mov_b32 s13, exec_lo
	v_cmpx_ne_u16_e32 0x80, v9
	s_cbranch_execz .LBB438_1192
; %bb.1187:                             ;   in Loop: Header=BB438_998 Depth=1
	v_bfe_u32 v37, v2, 16, 7
	v_mov_b32_e32 v7, 0x7f800001
	s_mov_b32 s15, exec_lo
	s_delay_alu instid0(VALU_DEP_2)
	v_cmpx_ne_u32_e32 0x7f, v37
	s_cbranch_execz .LBB438_1191
; %bb.1188:                             ;   in Loop: Header=BB438_998 Depth=1
	v_and_b32_e32 v9, 7, v6
	v_lshrrev_b32_e32 v7, 3, v37
	s_mov_b32 s16, exec_lo
	v_cmpx_gt_u32_e32 8, v37
; %bb.1189:                             ;   in Loop: Header=BB438_998 Depth=1
	s_delay_alu instid0(VALU_DEP_3) | instskip(NEXT) | instid1(VALU_DEP_1)
	v_clz_i32_u32_e32 v7, v9
	v_min_u32_e32 v7, 32, v7
	s_delay_alu instid0(VALU_DEP_1) | instskip(SKIP_1) | instid1(VALU_DEP_2)
	v_subrev_nc_u32_e32 v37, 28, v7
	v_sub_nc_u32_e32 v7, 29, v7
	v_lshlrev_b64 v[112:113], v37, v[9:10]
	s_delay_alu instid0(VALU_DEP_1)
	v_and_b32_e32 v9, 7, v112
; %bb.1190:                             ;   in Loop: Header=BB438_998 Depth=1
	s_or_b32 exec_lo, exec_lo, s16
	v_lshlrev_b32_e32 v6, 24, v6
	s_delay_alu instid0(VALU_DEP_2) | instskip(SKIP_1) | instid1(VALU_DEP_3)
	v_lshlrev_b32_e32 v9, 20, v9
	v_lshl_add_u32 v7, v7, 23, 0x3c000000
	v_and_b32_e32 v6, 0x80000000, v6
	s_delay_alu instid0(VALU_DEP_1)
	v_or3_b32 v7, v9, v6, v7
.LBB438_1191:                           ;   in Loop: Header=BB438_998 Depth=1
	s_or_b32 exec_lo, exec_lo, s15
.LBB438_1192:                           ;   in Loop: Header=BB438_998 Depth=1
	s_delay_alu instid0(SALU_CYCLE_1)
	s_or_b32 exec_lo, exec_lo, s13
.LBB438_1193:                           ;   in Loop: Header=BB438_998 Depth=1
	s_delay_alu instid0(SALU_CYCLE_1) | instskip(NEXT) | instid1(VALU_DEP_1)
	s_or_b32 exec_lo, exec_lo, s12
	v_mul_f32_e32 v6, v8, v7
                                        ; implicit-def: $vgpr37
	s_delay_alu instid0(VALU_DEP_1) | instskip(NEXT) | instid1(VALU_DEP_1)
	v_and_b32_e32 v7, 0x7f800000, v6
	v_cmp_ne_u32_e64 s0, 0x7f800000, v7
	s_delay_alu instid0(VALU_DEP_1) | instskip(NEXT) | instid1(SALU_CYCLE_1)
	s_and_saveexec_b32 s12, s0
	s_xor_b32 s0, exec_lo, s12
; %bb.1194:                             ;   in Loop: Header=BB438_998 Depth=1
	v_bfe_u32 v7, v6, 16, 1
	s_delay_alu instid0(VALU_DEP_1)
	v_add3_u32 v37, v6, v7, 0x7fff
                                        ; implicit-def: $vgpr6
; %bb.1195:                             ;   in Loop: Header=BB438_998 Depth=1
	s_and_not1_saveexec_b32 s12, s0
; %bb.1196:                             ;   in Loop: Header=BB438_998 Depth=1
	v_and_b32_e32 v7, 0xffff, v6
	v_or_b32_e32 v9, 0x10000, v6
	s_delay_alu instid0(VALU_DEP_2) | instskip(NEXT) | instid1(VALU_DEP_1)
	v_cmp_eq_u32_e64 s0, 0, v7
	v_cndmask_b32_e64 v37, v9, v6, s0
; %bb.1197:                             ;   in Loop: Header=BB438_998 Depth=1
	s_or_b32 exec_lo, exec_lo, s12
	v_mov_b32_e32 v7, 0
	s_mov_b32 s12, exec_lo
	v_cmpx_lt_u32_e32 0xffffff, v2
	s_cbranch_execz .LBB438_1205
; %bb.1198:                             ;   in Loop: Header=BB438_998 Depth=1
	v_lshrrev_b32_e32 v6, 24, v2
	v_bfrev_b32_e32 v7, 1
	s_mov_b32 s13, exec_lo
	s_delay_alu instid0(VALU_DEP_2)
	v_cmpx_ne_u32_e32 0x80, v6
	s_cbranch_execz .LBB438_1204
; %bb.1199:                             ;   in Loop: Header=BB438_998 Depth=1
	v_bfe_u32 v39, v2, 24, 7
	v_mov_b32_e32 v7, 0x7f800001
	s_mov_b32 s15, exec_lo
	s_delay_alu instid0(VALU_DEP_2)
	v_cmpx_ne_u32_e32 0x7f, v39
	s_cbranch_execz .LBB438_1203
; %bb.1200:                             ;   in Loop: Header=BB438_998 Depth=1
	v_and_b32_e32 v9, 7, v6
	v_lshrrev_b32_e32 v7, 3, v39
	s_mov_b32 s16, exec_lo
	v_cmpx_gt_u32_e32 8, v39
; %bb.1201:                             ;   in Loop: Header=BB438_998 Depth=1
	s_delay_alu instid0(VALU_DEP_3) | instskip(NEXT) | instid1(VALU_DEP_1)
	v_clz_i32_u32_e32 v7, v9
	v_min_u32_e32 v7, 32, v7
	s_delay_alu instid0(VALU_DEP_1) | instskip(SKIP_1) | instid1(VALU_DEP_2)
	v_subrev_nc_u32_e32 v39, 28, v7
	v_sub_nc_u32_e32 v7, 29, v7
	v_lshlrev_b64 v[112:113], v39, v[9:10]
	s_delay_alu instid0(VALU_DEP_1)
	v_and_b32_e32 v9, 7, v112
; %bb.1202:                             ;   in Loop: Header=BB438_998 Depth=1
	s_or_b32 exec_lo, exec_lo, s16
	v_lshlrev_b32_e32 v6, 24, v6
	s_delay_alu instid0(VALU_DEP_2) | instskip(SKIP_1) | instid1(VALU_DEP_3)
	v_lshlrev_b32_e32 v9, 20, v9
	v_lshl_add_u32 v7, v7, 23, 0x3c000000
	v_and_b32_e32 v6, 0x80000000, v6
	s_delay_alu instid0(VALU_DEP_1)
	v_or3_b32 v7, v9, v6, v7
.LBB438_1203:                           ;   in Loop: Header=BB438_998 Depth=1
	s_or_b32 exec_lo, exec_lo, s15
.LBB438_1204:                           ;   in Loop: Header=BB438_998 Depth=1
	s_delay_alu instid0(SALU_CYCLE_1)
	s_or_b32 exec_lo, exec_lo, s13
.LBB438_1205:                           ;   in Loop: Header=BB438_998 Depth=1
	s_delay_alu instid0(SALU_CYCLE_1) | instskip(NEXT) | instid1(VALU_DEP_1)
	s_or_b32 exec_lo, exec_lo, s12
	v_mul_f32_e32 v6, v8, v7
                                        ; implicit-def: $vgpr39
	s_delay_alu instid0(VALU_DEP_1) | instskip(NEXT) | instid1(VALU_DEP_1)
	v_and_b32_e32 v7, 0x7f800000, v6
	v_cmp_ne_u32_e64 s0, 0x7f800000, v7
	s_delay_alu instid0(VALU_DEP_1) | instskip(NEXT) | instid1(SALU_CYCLE_1)
	s_and_saveexec_b32 s12, s0
	s_xor_b32 s0, exec_lo, s12
; %bb.1206:                             ;   in Loop: Header=BB438_998 Depth=1
	v_bfe_u32 v7, v6, 16, 1
	s_delay_alu instid0(VALU_DEP_1)
	v_add3_u32 v39, v6, v7, 0x7fff
                                        ; implicit-def: $vgpr6
; %bb.1207:                             ;   in Loop: Header=BB438_998 Depth=1
	s_and_not1_saveexec_b32 s12, s0
; %bb.1208:                             ;   in Loop: Header=BB438_998 Depth=1
	v_and_b32_e32 v7, 0xffff, v6
	v_or_b32_e32 v9, 0x10000, v6
	s_delay_alu instid0(VALU_DEP_2) | instskip(NEXT) | instid1(VALU_DEP_1)
	v_cmp_eq_u32_e64 s0, 0, v7
	v_cndmask_b32_e64 v39, v9, v6, s0
; %bb.1209:                             ;   in Loop: Header=BB438_998 Depth=1
	s_or_b32 exec_lo, exec_lo, s12
	v_dual_mov_b32 v6, 0 :: v_dual_and_b32 v7, 0xff, v3
	v_mov_b32_e32 v9, v3
	s_mov_b32 s12, exec_lo
	s_delay_alu instid0(VALU_DEP_2)
	v_cmpx_ne_u16_e32 0, v7
	s_cbranch_execz .LBB438_1217
; %bb.1210:                             ;   in Loop: Header=BB438_998 Depth=1
	v_bfrev_b32_e32 v6, 1
	s_mov_b32 s13, exec_lo
	v_cmpx_ne_u16_e32 0x80, v7
	s_cbranch_execz .LBB438_1216
; %bb.1211:                             ;   in Loop: Header=BB438_998 Depth=1
	v_and_b32_e32 v7, 0x7f, v3
	v_mov_b32_e32 v6, 0x7f800001
	s_mov_b32 s15, exec_lo
	s_delay_alu instid0(VALU_DEP_2)
	v_cmpx_ne_u32_e32 0x7f, v7
	s_cbranch_execz .LBB438_1215
; %bb.1212:                             ;   in Loop: Header=BB438_998 Depth=1
	v_lshrrev_b32_e32 v48, 3, v7
	v_cmp_gt_u32_e64 s0, 8, v7
	v_dual_mov_b32 v6, v9 :: v_dual_mov_b32 v7, v10
	s_delay_alu instid0(VALU_DEP_2)
	s_and_saveexec_b32 s16, s0
; %bb.1213:                             ;   in Loop: Header=BB438_998 Depth=1
	v_and_b32_e32 v6, 7, v3
	s_delay_alu instid0(VALU_DEP_1) | instskip(NEXT) | instid1(VALU_DEP_1)
	v_clz_i32_u32_e32 v6, v6
	v_min_u32_e32 v48, 32, v6
	s_delay_alu instid0(VALU_DEP_1) | instskip(SKIP_1) | instid1(VALU_DEP_2)
	v_subrev_nc_u32_e32 v6, 28, v48
	v_sub_nc_u32_e32 v48, 29, v48
	v_lshlrev_b64 v[6:7], v6, v[9:10]
; %bb.1214:                             ;   in Loop: Header=BB438_998 Depth=1
	s_or_b32 exec_lo, exec_lo, s16
	s_delay_alu instid0(VALU_DEP_1) | instskip(SKIP_2) | instid1(VALU_DEP_3)
	v_lshlrev_b32_e32 v6, 20, v6
	v_lshlrev_b32_e32 v7, 24, v9
	v_lshl_add_u32 v48, v48, 23, 0x3c000000
	v_and_b32_e32 v6, 0x700000, v6
	s_delay_alu instid0(VALU_DEP_3) | instskip(NEXT) | instid1(VALU_DEP_1)
	v_and_b32_e32 v7, 0x80000000, v7
	v_or3_b32 v6, v6, v7, v48
.LBB438_1215:                           ;   in Loop: Header=BB438_998 Depth=1
	s_or_b32 exec_lo, exec_lo, s15
.LBB438_1216:                           ;   in Loop: Header=BB438_998 Depth=1
	s_delay_alu instid0(SALU_CYCLE_1)
	s_or_b32 exec_lo, exec_lo, s13
.LBB438_1217:                           ;   in Loop: Header=BB438_998 Depth=1
	s_delay_alu instid0(SALU_CYCLE_1) | instskip(NEXT) | instid1(VALU_DEP_1)
	s_or_b32 exec_lo, exec_lo, s12
	v_mul_f32_e32 v6, v8, v6
                                        ; implicit-def: $vgpr48
	s_delay_alu instid0(VALU_DEP_1) | instskip(NEXT) | instid1(VALU_DEP_1)
	v_and_b32_e32 v7, 0x7f800000, v6
	v_cmp_ne_u32_e64 s0, 0x7f800000, v7
	s_delay_alu instid0(VALU_DEP_1) | instskip(NEXT) | instid1(SALU_CYCLE_1)
	s_and_saveexec_b32 s12, s0
	s_xor_b32 s0, exec_lo, s12
; %bb.1218:                             ;   in Loop: Header=BB438_998 Depth=1
	v_bfe_u32 v7, v6, 16, 1
	s_delay_alu instid0(VALU_DEP_1)
	v_add3_u32 v48, v6, v7, 0x7fff
                                        ; implicit-def: $vgpr6
; %bb.1219:                             ;   in Loop: Header=BB438_998 Depth=1
	s_and_not1_saveexec_b32 s12, s0
; %bb.1220:                             ;   in Loop: Header=BB438_998 Depth=1
	v_and_b32_e32 v7, 0xffff, v6
	v_or_b32_e32 v48, 0x10000, v6
	s_delay_alu instid0(VALU_DEP_2) | instskip(NEXT) | instid1(VALU_DEP_1)
	v_cmp_eq_u32_e64 s0, 0, v7
	v_cndmask_b32_e64 v48, v48, v6, s0
; %bb.1221:                             ;   in Loop: Header=BB438_998 Depth=1
	s_or_b32 exec_lo, exec_lo, s12
	v_lshrrev_b16 v7, 8, v9
	v_mov_b32_e32 v6, 0
	s_mov_b32 s12, exec_lo
	s_delay_alu instid0(VALU_DEP_2)
	v_cmpx_ne_u16_e32 0, v7
	s_cbranch_execz .LBB438_1229
; %bb.1222:                             ;   in Loop: Header=BB438_998 Depth=1
	v_bfrev_b32_e32 v6, 1
	s_mov_b32 s13, exec_lo
	v_cmpx_ne_u16_e32 0x80, v7
	s_cbranch_execz .LBB438_1228
; %bb.1223:                             ;   in Loop: Header=BB438_998 Depth=1
	v_and_b32_e32 v7, 0xffff, v7
	v_mov_b32_e32 v6, 0x7f800001
	s_mov_b32 s15, exec_lo
	s_delay_alu instid0(VALU_DEP_2) | instskip(NEXT) | instid1(VALU_DEP_1)
	v_and_b32_e32 v113, 0x7f, v7
	v_cmpx_ne_u32_e32 0x7f, v113
	s_cbranch_execz .LBB438_1227
; %bb.1224:                             ;   in Loop: Header=BB438_998 Depth=1
	v_dual_mov_b32 v7, v10 :: v_dual_and_b32 v6, 7, v7
	v_lshrrev_b32_e32 v112, 3, v113
	s_mov_b32 s16, exec_lo
	v_cmpx_gt_u32_e32 8, v113
; %bb.1225:                             ;   in Loop: Header=BB438_998 Depth=1
	s_delay_alu instid0(VALU_DEP_3) | instskip(NEXT) | instid1(VALU_DEP_1)
	v_clz_i32_u32_e32 v112, v6
	v_min_u32_e32 v112, 32, v112
	s_delay_alu instid0(VALU_DEP_1) | instskip(SKIP_1) | instid1(VALU_DEP_2)
	v_subrev_nc_u32_e32 v113, 28, v112
	v_sub_nc_u32_e32 v112, 29, v112
	v_lshlrev_b64 v[6:7], v113, v[6:7]
	s_delay_alu instid0(VALU_DEP_1)
	v_and_b32_e32 v6, 7, v6
; %bb.1226:                             ;   in Loop: Header=BB438_998 Depth=1
	s_or_b32 exec_lo, exec_lo, s16
	v_lshlrev_b32_e32 v7, 16, v9
	s_delay_alu instid0(VALU_DEP_2) | instskip(SKIP_1) | instid1(VALU_DEP_3)
	v_lshlrev_b32_e32 v6, 20, v6
	v_lshl_add_u32 v9, v112, 23, 0x3c000000
	v_and_b32_e32 v7, 0x80000000, v7
	s_delay_alu instid0(VALU_DEP_1)
	v_or3_b32 v6, v6, v7, v9
.LBB438_1227:                           ;   in Loop: Header=BB438_998 Depth=1
	s_or_b32 exec_lo, exec_lo, s15
.LBB438_1228:                           ;   in Loop: Header=BB438_998 Depth=1
	s_delay_alu instid0(SALU_CYCLE_1)
	s_or_b32 exec_lo, exec_lo, s13
.LBB438_1229:                           ;   in Loop: Header=BB438_998 Depth=1
	s_delay_alu instid0(SALU_CYCLE_1) | instskip(NEXT) | instid1(VALU_DEP_1)
	s_or_b32 exec_lo, exec_lo, s12
	v_mul_f32_e32 v7, v8, v6
	s_delay_alu instid0(VALU_DEP_1) | instskip(NEXT) | instid1(VALU_DEP_1)
	v_and_b32_e32 v6, 0x7f800000, v7
	v_cmp_ne_u32_e64 s0, 0x7f800000, v6
                                        ; implicit-def: $vgpr6
	s_delay_alu instid0(VALU_DEP_1) | instskip(NEXT) | instid1(SALU_CYCLE_1)
	s_and_saveexec_b32 s12, s0
	s_xor_b32 s0, exec_lo, s12
; %bb.1230:                             ;   in Loop: Header=BB438_998 Depth=1
	v_bfe_u32 v6, v7, 16, 1
	s_delay_alu instid0(VALU_DEP_1)
	v_add3_u32 v6, v7, v6, 0x7fff
                                        ; implicit-def: $vgpr7
; %bb.1231:                             ;   in Loop: Header=BB438_998 Depth=1
	s_and_not1_saveexec_b32 s12, s0
; %bb.1232:                             ;   in Loop: Header=BB438_998 Depth=1
	v_and_b32_e32 v6, 0xffff, v7
	v_or_b32_e32 v9, 0x10000, v7
	s_delay_alu instid0(VALU_DEP_2) | instskip(NEXT) | instid1(VALU_DEP_1)
	v_cmp_eq_u32_e64 s0, 0, v6
	v_cndmask_b32_e64 v6, v9, v7, s0
; %bb.1233:                             ;   in Loop: Header=BB438_998 Depth=1
	s_or_b32 exec_lo, exec_lo, s12
	v_lshrrev_b32_e32 v7, 16, v3
	s_mov_b32 s12, exec_lo
	s_delay_alu instid0(VALU_DEP_1) | instskip(NEXT) | instid1(VALU_DEP_1)
	v_dual_mov_b32 v9, 0 :: v_dual_and_b32 v112, 0xff, v7
	v_cmpx_ne_u16_e32 0, v112
	s_cbranch_execz .LBB438_1241
; %bb.1234:                             ;   in Loop: Header=BB438_998 Depth=1
	v_bfrev_b32_e32 v9, 1
	s_mov_b32 s13, exec_lo
	v_cmpx_ne_u16_e32 0x80, v112
	s_cbranch_execz .LBB438_1240
; %bb.1235:                             ;   in Loop: Header=BB438_998 Depth=1
	v_bfe_u32 v113, v3, 16, 7
	v_mov_b32_e32 v9, 0x7f800001
	s_mov_b32 s15, exec_lo
	s_delay_alu instid0(VALU_DEP_2)
	v_cmpx_ne_u32_e32 0x7f, v113
	s_cbranch_execz .LBB438_1239
; %bb.1236:                             ;   in Loop: Header=BB438_998 Depth=1
	v_and_b32_e32 v9, 7, v7
	v_lshrrev_b32_e32 v112, 3, v113
	s_mov_b32 s16, exec_lo
	v_cmpx_gt_u32_e32 8, v113
; %bb.1237:                             ;   in Loop: Header=BB438_998 Depth=1
	s_delay_alu instid0(VALU_DEP_3) | instskip(NEXT) | instid1(VALU_DEP_1)
	v_clz_i32_u32_e32 v112, v9
	v_min_u32_e32 v112, 32, v112
	s_delay_alu instid0(VALU_DEP_1) | instskip(SKIP_1) | instid1(VALU_DEP_2)
	v_subrev_nc_u32_e32 v113, 28, v112
	v_sub_nc_u32_e32 v112, 29, v112
	v_lshlrev_b64 v[113:114], v113, v[9:10]
	s_delay_alu instid0(VALU_DEP_1)
	v_and_b32_e32 v9, 7, v113
; %bb.1238:                             ;   in Loop: Header=BB438_998 Depth=1
	s_or_b32 exec_lo, exec_lo, s16
	v_lshlrev_b32_e32 v7, 24, v7
	s_delay_alu instid0(VALU_DEP_2) | instskip(SKIP_1) | instid1(VALU_DEP_3)
	v_lshlrev_b32_e32 v9, 20, v9
	v_lshl_add_u32 v112, v112, 23, 0x3c000000
	v_and_b32_e32 v7, 0x80000000, v7
	s_delay_alu instid0(VALU_DEP_1)
	v_or3_b32 v9, v9, v7, v112
.LBB438_1239:                           ;   in Loop: Header=BB438_998 Depth=1
	s_or_b32 exec_lo, exec_lo, s15
.LBB438_1240:                           ;   in Loop: Header=BB438_998 Depth=1
	s_delay_alu instid0(SALU_CYCLE_1)
	s_or_b32 exec_lo, exec_lo, s13
.LBB438_1241:                           ;   in Loop: Header=BB438_998 Depth=1
	s_delay_alu instid0(SALU_CYCLE_1) | instskip(NEXT) | instid1(VALU_DEP_1)
	s_or_b32 exec_lo, exec_lo, s12
	v_mul_f32_e32 v7, v8, v9
                                        ; implicit-def: $vgpr112
	s_delay_alu instid0(VALU_DEP_1) | instskip(NEXT) | instid1(VALU_DEP_1)
	v_and_b32_e32 v9, 0x7f800000, v7
	v_cmp_ne_u32_e64 s0, 0x7f800000, v9
	s_delay_alu instid0(VALU_DEP_1) | instskip(NEXT) | instid1(SALU_CYCLE_1)
	s_and_saveexec_b32 s12, s0
	s_xor_b32 s0, exec_lo, s12
; %bb.1242:                             ;   in Loop: Header=BB438_998 Depth=1
	v_bfe_u32 v9, v7, 16, 1
	s_delay_alu instid0(VALU_DEP_1)
	v_add3_u32 v112, v7, v9, 0x7fff
                                        ; implicit-def: $vgpr7
; %bb.1243:                             ;   in Loop: Header=BB438_998 Depth=1
	s_and_not1_saveexec_b32 s12, s0
; %bb.1244:                             ;   in Loop: Header=BB438_998 Depth=1
	v_and_b32_e32 v9, 0xffff, v7
	v_or_b32_e32 v112, 0x10000, v7
	s_delay_alu instid0(VALU_DEP_2) | instskip(NEXT) | instid1(VALU_DEP_1)
	v_cmp_eq_u32_e64 s0, 0, v9
	v_cndmask_b32_e64 v112, v112, v7, s0
; %bb.1245:                             ;   in Loop: Header=BB438_998 Depth=1
	s_or_b32 exec_lo, exec_lo, s12
	v_mov_b32_e32 v7, 0
	s_mov_b32 s12, exec_lo
	v_cmpx_lt_u64_e64 s[8:9], v[2:3]
	s_cbranch_execz .LBB438_1253
; %bb.1246:                             ;   in Loop: Header=BB438_998 Depth=1
	v_lshrrev_b32_e32 v2, 24, v3
	v_bfrev_b32_e32 v7, 1
	s_mov_b32 s13, exec_lo
	s_delay_alu instid0(VALU_DEP_2)
	v_cmpx_ne_u32_e32 0x80, v2
	s_cbranch_execz .LBB438_1252
; %bb.1247:                             ;   in Loop: Header=BB438_998 Depth=1
	v_bfe_u32 v113, v3, 24, 7
	v_mov_b32_e32 v7, 0x7f800001
	s_mov_b32 s15, exec_lo
	s_delay_alu instid0(VALU_DEP_2)
	v_cmpx_ne_u32_e32 0x7f, v113
	s_cbranch_execz .LBB438_1251
; %bb.1248:                             ;   in Loop: Header=BB438_998 Depth=1
	v_and_b32_e32 v9, 7, v2
	v_lshrrev_b32_e32 v3, 3, v113
	s_mov_b32 s16, exec_lo
	v_cmpx_gt_u32_e32 8, v113
; %bb.1249:                             ;   in Loop: Header=BB438_998 Depth=1
	s_delay_alu instid0(VALU_DEP_3) | instskip(NEXT) | instid1(VALU_DEP_1)
	v_clz_i32_u32_e32 v3, v9
	v_min_u32_e32 v3, 32, v3
	s_delay_alu instid0(VALU_DEP_1) | instskip(SKIP_1) | instid1(VALU_DEP_2)
	v_subrev_nc_u32_e32 v7, 28, v3
	v_sub_nc_u32_e32 v3, 29, v3
	v_lshlrev_b64 v[113:114], v7, v[9:10]
	s_delay_alu instid0(VALU_DEP_1)
	v_and_b32_e32 v9, 7, v113
; %bb.1250:                             ;   in Loop: Header=BB438_998 Depth=1
	s_or_b32 exec_lo, exec_lo, s16
	v_lshlrev_b32_e32 v2, 24, v2
	s_delay_alu instid0(VALU_DEP_2) | instskip(SKIP_1) | instid1(VALU_DEP_3)
	v_lshlrev_b32_e32 v7, 20, v9
	v_lshl_add_u32 v3, v3, 23, 0x3c000000
	v_and_b32_e32 v2, 0x80000000, v2
	s_delay_alu instid0(VALU_DEP_1)
	v_or3_b32 v7, v7, v2, v3
.LBB438_1251:                           ;   in Loop: Header=BB438_998 Depth=1
	s_or_b32 exec_lo, exec_lo, s15
.LBB438_1252:                           ;   in Loop: Header=BB438_998 Depth=1
	s_delay_alu instid0(SALU_CYCLE_1)
	s_or_b32 exec_lo, exec_lo, s13
.LBB438_1253:                           ;   in Loop: Header=BB438_998 Depth=1
	s_delay_alu instid0(SALU_CYCLE_1) | instskip(NEXT) | instid1(VALU_DEP_1)
	s_or_b32 exec_lo, exec_lo, s12
	v_mul_f32_e32 v3, v8, v7
	s_delay_alu instid0(VALU_DEP_1) | instskip(NEXT) | instid1(VALU_DEP_1)
	v_and_b32_e32 v2, 0x7f800000, v3
	v_cmp_ne_u32_e64 s0, 0x7f800000, v2
                                        ; implicit-def: $vgpr2
	s_delay_alu instid0(VALU_DEP_1) | instskip(NEXT) | instid1(SALU_CYCLE_1)
	s_and_saveexec_b32 s12, s0
	s_xor_b32 s0, exec_lo, s12
; %bb.1254:                             ;   in Loop: Header=BB438_998 Depth=1
	v_bfe_u32 v2, v3, 16, 1
	s_delay_alu instid0(VALU_DEP_1)
	v_add3_u32 v2, v3, v2, 0x7fff
                                        ; implicit-def: $vgpr3
; %bb.1255:                             ;   in Loop: Header=BB438_998 Depth=1
	s_and_not1_saveexec_b32 s12, s0
; %bb.1256:                             ;   in Loop: Header=BB438_998 Depth=1
	v_and_b32_e32 v2, 0xffff, v3
	v_or_b32_e32 v7, 0x10000, v3
	s_delay_alu instid0(VALU_DEP_2) | instskip(NEXT) | instid1(VALU_DEP_1)
	v_cmp_eq_u32_e64 s0, 0, v2
	v_cndmask_b32_e64 v2, v7, v3, s0
; %bb.1257:                             ;   in Loop: Header=BB438_998 Depth=1
	s_or_b32 exec_lo, exec_lo, s12
	v_lshrrev_b32_e32 v6, 16, v6
	v_lshrrev_b32_e32 v7, 16, v48
	v_lshrrev_b32_e32 v9, 16, v39
	v_lshrrev_b32_e32 v37, 16, v37
	v_lshrrev_b32_e32 v5, 16, v5
	v_lshrrev_b32_e32 v4, 16, v4
	v_lshrrev_b32_e32 v3, 16, v112
	v_lshrrev_b32_e32 v2, 16, v2
	s_and_saveexec_b32 s12, vcc_lo
	s_cbranch_execz .LBB438_1259
; %bb.1258:                             ;   in Loop: Header=BB438_998 Depth=1
	v_cmp_lt_i32_e64 s0, v80, v38
	s_delay_alu instid0(VALU_DEP_1) | instskip(SKIP_1) | instid1(VALU_DEP_1)
	v_cndmask_b32_e64 v4, 0, v4, s0
	v_cmp_lt_i32_e64 s0, v87, v38
	v_cndmask_b32_e64 v5, 0, v5, s0
	v_cmp_lt_i32_e64 s0, v86, v38
	s_delay_alu instid0(VALU_DEP_1) | instskip(SKIP_1) | instid1(VALU_DEP_1)
	v_cndmask_b32_e64 v37, 0, v37, s0
	v_cmp_lt_i32_e64 s0, v85, v38
	v_cndmask_b32_e64 v9, 0, v9, s0
	;; [unrolled: 5-line block ×4, first 2 shown]
.LBB438_1259:                           ;   in Loop: Header=BB438_998 Depth=1
	s_or_b32 exec_lo, exec_lo, s12
	v_lshlrev_b32_e32 v4, 16, v4
                                        ; implicit-def: $vgpr112
	s_delay_alu instid0(VALU_DEP_1) | instskip(NEXT) | instid1(VALU_DEP_1)
	v_mul_f32_e32 v4, v96, v4
	v_and_b32_e32 v39, 0x7f800000, v4
	s_delay_alu instid0(VALU_DEP_1) | instskip(NEXT) | instid1(VALU_DEP_1)
	v_cmp_ne_u32_e64 s0, 0x7f800000, v39
	s_and_saveexec_b32 s12, s0
	s_delay_alu instid0(SALU_CYCLE_1)
	s_xor_b32 s0, exec_lo, s12
; %bb.1260:                             ;   in Loop: Header=BB438_998 Depth=1
	v_bfe_u32 v39, v4, 16, 1
	s_delay_alu instid0(VALU_DEP_1)
	v_add3_u32 v112, v4, v39, 0x7fff
                                        ; implicit-def: $vgpr4
; %bb.1261:                             ;   in Loop: Header=BB438_998 Depth=1
	s_and_not1_saveexec_b32 s12, s0
; %bb.1262:                             ;   in Loop: Header=BB438_998 Depth=1
	v_and_b32_e32 v39, 0xffff, v4
	v_or_b32_e32 v48, 0x10000, v4
	s_delay_alu instid0(VALU_DEP_2) | instskip(NEXT) | instid1(VALU_DEP_1)
	v_cmp_eq_u32_e64 s0, 0, v39
	v_cndmask_b32_e64 v112, v48, v4, s0
; %bb.1263:                             ;   in Loop: Header=BB438_998 Depth=1
	s_or_b32 exec_lo, exec_lo, s12
	v_lshlrev_b32_e32 v4, 16, v5
                                        ; implicit-def: $vgpr113
	s_delay_alu instid0(VALU_DEP_1) | instskip(NEXT) | instid1(VALU_DEP_1)
	v_mul_f32_e32 v4, v97, v4
	v_and_b32_e32 v5, 0x7f800000, v4
	s_delay_alu instid0(VALU_DEP_1) | instskip(NEXT) | instid1(VALU_DEP_1)
	v_cmp_ne_u32_e64 s0, 0x7f800000, v5
	s_and_saveexec_b32 s12, s0
	s_delay_alu instid0(SALU_CYCLE_1)
	s_xor_b32 s0, exec_lo, s12
; %bb.1264:                             ;   in Loop: Header=BB438_998 Depth=1
	v_bfe_u32 v5, v4, 16, 1
	s_delay_alu instid0(VALU_DEP_1)
	v_add3_u32 v113, v4, v5, 0x7fff
                                        ; implicit-def: $vgpr4
; %bb.1265:                             ;   in Loop: Header=BB438_998 Depth=1
	s_and_not1_saveexec_b32 s12, s0
; %bb.1266:                             ;   in Loop: Header=BB438_998 Depth=1
	v_and_b32_e32 v5, 0xffff, v4
	v_or_b32_e32 v39, 0x10000, v4
	s_delay_alu instid0(VALU_DEP_2) | instskip(NEXT) | instid1(VALU_DEP_1)
	v_cmp_eq_u32_e64 s0, 0, v5
	v_cndmask_b32_e64 v113, v39, v4, s0
; %bb.1267:                             ;   in Loop: Header=BB438_998 Depth=1
	s_or_b32 exec_lo, exec_lo, s12
	v_lshlrev_b32_e32 v4, 16, v37
                                        ; implicit-def: $vgpr114
	s_delay_alu instid0(VALU_DEP_1) | instskip(NEXT) | instid1(VALU_DEP_1)
	v_mul_f32_e32 v4, v98, v4
	v_and_b32_e32 v5, 0x7f800000, v4
	s_delay_alu instid0(VALU_DEP_1) | instskip(NEXT) | instid1(VALU_DEP_1)
	v_cmp_ne_u32_e64 s0, 0x7f800000, v5
	s_and_saveexec_b32 s12, s0
	s_delay_alu instid0(SALU_CYCLE_1)
	s_xor_b32 s0, exec_lo, s12
; %bb.1268:                             ;   in Loop: Header=BB438_998 Depth=1
	v_bfe_u32 v5, v4, 16, 1
	s_delay_alu instid0(VALU_DEP_1)
	v_add3_u32 v114, v4, v5, 0x7fff
                                        ; implicit-def: $vgpr4
; %bb.1269:                             ;   in Loop: Header=BB438_998 Depth=1
	s_and_not1_saveexec_b32 s12, s0
; %bb.1270:                             ;   in Loop: Header=BB438_998 Depth=1
	v_and_b32_e32 v5, 0xffff, v4
	v_or_b32_e32 v37, 0x10000, v4
	s_delay_alu instid0(VALU_DEP_2) | instskip(NEXT) | instid1(VALU_DEP_1)
	v_cmp_eq_u32_e64 s0, 0, v5
	v_cndmask_b32_e64 v114, v37, v4, s0
; %bb.1271:                             ;   in Loop: Header=BB438_998 Depth=1
	s_or_b32 exec_lo, exec_lo, s12
	v_lshlrev_b32_e32 v4, 16, v9
                                        ; implicit-def: $vgpr115
	s_delay_alu instid0(VALU_DEP_1) | instskip(NEXT) | instid1(VALU_DEP_1)
	v_mul_f32_e32 v4, v99, v4
	v_and_b32_e32 v5, 0x7f800000, v4
	s_delay_alu instid0(VALU_DEP_1) | instskip(NEXT) | instid1(VALU_DEP_1)
	v_cmp_ne_u32_e64 s0, 0x7f800000, v5
	s_and_saveexec_b32 s12, s0
	s_delay_alu instid0(SALU_CYCLE_1)
	s_xor_b32 s0, exec_lo, s12
; %bb.1272:                             ;   in Loop: Header=BB438_998 Depth=1
	v_bfe_u32 v5, v4, 16, 1
	s_delay_alu instid0(VALU_DEP_1)
	v_add3_u32 v115, v4, v5, 0x7fff
                                        ; implicit-def: $vgpr4
; %bb.1273:                             ;   in Loop: Header=BB438_998 Depth=1
	s_and_not1_saveexec_b32 s12, s0
; %bb.1274:                             ;   in Loop: Header=BB438_998 Depth=1
	v_and_b32_e32 v5, 0xffff, v4
	v_or_b32_e32 v9, 0x10000, v4
	s_delay_alu instid0(VALU_DEP_2) | instskip(NEXT) | instid1(VALU_DEP_1)
	v_cmp_eq_u32_e64 s0, 0, v5
	v_cndmask_b32_e64 v115, v9, v4, s0
; %bb.1275:                             ;   in Loop: Header=BB438_998 Depth=1
	s_or_b32 exec_lo, exec_lo, s12
	v_lshlrev_b32_e32 v4, 16, v7
                                        ; implicit-def: $vgpr116
	s_delay_alu instid0(VALU_DEP_1) | instskip(NEXT) | instid1(VALU_DEP_1)
	v_mul_f32_e32 v4, v100, v4
	v_and_b32_e32 v5, 0x7f800000, v4
	s_delay_alu instid0(VALU_DEP_1) | instskip(NEXT) | instid1(VALU_DEP_1)
	v_cmp_ne_u32_e64 s0, 0x7f800000, v5
	s_and_saveexec_b32 s12, s0
	s_delay_alu instid0(SALU_CYCLE_1)
	s_xor_b32 s0, exec_lo, s12
; %bb.1276:                             ;   in Loop: Header=BB438_998 Depth=1
	v_bfe_u32 v5, v4, 16, 1
	s_delay_alu instid0(VALU_DEP_1)
	v_add3_u32 v116, v4, v5, 0x7fff
                                        ; implicit-def: $vgpr4
; %bb.1277:                             ;   in Loop: Header=BB438_998 Depth=1
	s_and_not1_saveexec_b32 s12, s0
; %bb.1278:                             ;   in Loop: Header=BB438_998 Depth=1
	v_and_b32_e32 v5, 0xffff, v4
	v_or_b32_e32 v7, 0x10000, v4
	s_delay_alu instid0(VALU_DEP_2) | instskip(NEXT) | instid1(VALU_DEP_1)
	v_cmp_eq_u32_e64 s0, 0, v5
	v_cndmask_b32_e64 v116, v7, v4, s0
; %bb.1279:                             ;   in Loop: Header=BB438_998 Depth=1
	s_or_b32 exec_lo, exec_lo, s12
	v_lshlrev_b32_e32 v4, 16, v6
                                        ; implicit-def: $vgpr117
	s_delay_alu instid0(VALU_DEP_1) | instskip(NEXT) | instid1(VALU_DEP_1)
	v_mul_f32_e32 v4, v101, v4
	v_and_b32_e32 v5, 0x7f800000, v4
	s_delay_alu instid0(VALU_DEP_1) | instskip(NEXT) | instid1(VALU_DEP_1)
	v_cmp_ne_u32_e64 s0, 0x7f800000, v5
	s_and_saveexec_b32 s12, s0
	s_delay_alu instid0(SALU_CYCLE_1)
	s_xor_b32 s0, exec_lo, s12
; %bb.1280:                             ;   in Loop: Header=BB438_998 Depth=1
	v_bfe_u32 v5, v4, 16, 1
	s_delay_alu instid0(VALU_DEP_1)
	v_add3_u32 v117, v4, v5, 0x7fff
                                        ; implicit-def: $vgpr4
; %bb.1281:                             ;   in Loop: Header=BB438_998 Depth=1
	s_and_not1_saveexec_b32 s12, s0
; %bb.1282:                             ;   in Loop: Header=BB438_998 Depth=1
	v_and_b32_e32 v5, 0xffff, v4
	v_or_b32_e32 v6, 0x10000, v4
	s_delay_alu instid0(VALU_DEP_2) | instskip(NEXT) | instid1(VALU_DEP_1)
	v_cmp_eq_u32_e64 s0, 0, v5
	v_cndmask_b32_e64 v117, v6, v4, s0
; %bb.1283:                             ;   in Loop: Header=BB438_998 Depth=1
	s_or_b32 exec_lo, exec_lo, s12
	v_lshlrev_b32_e32 v3, 16, v3
                                        ; implicit-def: $vgpr118
	s_delay_alu instid0(VALU_DEP_1) | instskip(NEXT) | instid1(VALU_DEP_1)
	v_mul_f32_e32 v3, v102, v3
	v_and_b32_e32 v4, 0x7f800000, v3
	s_delay_alu instid0(VALU_DEP_1) | instskip(NEXT) | instid1(VALU_DEP_1)
	v_cmp_ne_u32_e64 s0, 0x7f800000, v4
	s_and_saveexec_b32 s12, s0
	s_delay_alu instid0(SALU_CYCLE_1)
	s_xor_b32 s0, exec_lo, s12
; %bb.1284:                             ;   in Loop: Header=BB438_998 Depth=1
	v_bfe_u32 v4, v3, 16, 1
	s_delay_alu instid0(VALU_DEP_1)
	v_add3_u32 v118, v3, v4, 0x7fff
                                        ; implicit-def: $vgpr3
; %bb.1285:                             ;   in Loop: Header=BB438_998 Depth=1
	s_and_not1_saveexec_b32 s12, s0
; %bb.1286:                             ;   in Loop: Header=BB438_998 Depth=1
	v_and_b32_e32 v4, 0xffff, v3
	v_or_b32_e32 v5, 0x10000, v3
	s_delay_alu instid0(VALU_DEP_2) | instskip(NEXT) | instid1(VALU_DEP_1)
	v_cmp_eq_u32_e64 s0, 0, v4
	v_cndmask_b32_e64 v118, v5, v3, s0
; %bb.1287:                             ;   in Loop: Header=BB438_998 Depth=1
	s_or_b32 exec_lo, exec_lo, s12
	v_lshlrev_b32_e32 v2, 16, v2
                                        ; implicit-def: $vgpr119
	s_delay_alu instid0(VALU_DEP_1) | instskip(NEXT) | instid1(VALU_DEP_1)
	v_mul_f32_e32 v2, v103, v2
	v_and_b32_e32 v3, 0x7f800000, v2
	s_delay_alu instid0(VALU_DEP_1) | instskip(NEXT) | instid1(VALU_DEP_1)
	v_cmp_ne_u32_e64 s0, 0x7f800000, v3
	s_and_saveexec_b32 s12, s0
	s_delay_alu instid0(SALU_CYCLE_1)
	s_xor_b32 s0, exec_lo, s12
; %bb.1288:                             ;   in Loop: Header=BB438_998 Depth=1
	v_bfe_u32 v3, v2, 16, 1
	s_delay_alu instid0(VALU_DEP_1)
	v_add3_u32 v119, v2, v3, 0x7fff
                                        ; implicit-def: $vgpr2
; %bb.1289:                             ;   in Loop: Header=BB438_998 Depth=1
	s_and_not1_saveexec_b32 s12, s0
; %bb.1290:                             ;   in Loop: Header=BB438_998 Depth=1
	v_and_b32_e32 v3, 0xffff, v2
	v_or_b32_e32 v4, 0x10000, v2
	s_delay_alu instid0(VALU_DEP_2) | instskip(NEXT) | instid1(VALU_DEP_1)
	v_cmp_eq_u32_e64 s0, 0, v3
	v_cndmask_b32_e64 v119, v4, v2, s0
; %bb.1291:                             ;   in Loop: Header=BB438_998 Depth=1
	s_or_b32 exec_lo, exec_lo, s12
	flat_load_b64 v[2:3], v[0:1] offset:512
	s_mov_b32 s12, exec_lo
	s_waitcnt vmcnt(0) lgkmcnt(0)
	v_dual_mov_b32 v4, 0 :: v_dual_and_b32 v5, 0xff, v2
	s_delay_alu instid0(VALU_DEP_1)
	v_cmpx_ne_u16_e32 0, v5
	s_cbranch_execz .LBB438_1299
; %bb.1292:                             ;   in Loop: Header=BB438_998 Depth=1
	v_bfrev_b32_e32 v4, 1
	s_mov_b32 s13, exec_lo
	v_cmpx_ne_u16_e32 0x80, v5
	s_cbranch_execz .LBB438_1298
; %bb.1293:                             ;   in Loop: Header=BB438_998 Depth=1
	v_and_b32_e32 v5, 0x7f, v2
	v_mov_b32_e32 v4, 0x7f800001
	s_mov_b32 s15, exec_lo
	s_delay_alu instid0(VALU_DEP_2)
	v_cmpx_ne_u32_e32 0x7f, v5
	s_cbranch_execz .LBB438_1297
; %bb.1294:                             ;   in Loop: Header=BB438_998 Depth=1
	v_lshrrev_b32_e32 v4, 3, v5
	v_dual_mov_b32 v7, v3 :: v_dual_mov_b32 v6, v2
	s_mov_b32 s16, exec_lo
	v_cmpx_gt_u32_e32 8, v5
; %bb.1295:                             ;   in Loop: Header=BB438_998 Depth=1
	v_and_b32_e32 v4, 7, v2
	s_delay_alu instid0(VALU_DEP_1) | instskip(NEXT) | instid1(VALU_DEP_1)
	v_clz_i32_u32_e32 v4, v4
	v_min_u32_e32 v4, 32, v4
	s_delay_alu instid0(VALU_DEP_1) | instskip(SKIP_1) | instid1(VALU_DEP_2)
	v_subrev_nc_u32_e32 v5, 28, v4
	v_sub_nc_u32_e32 v4, 29, v4
	v_lshlrev_b64 v[6:7], v5, v[2:3]
; %bb.1296:                             ;   in Loop: Header=BB438_998 Depth=1
	s_or_b32 exec_lo, exec_lo, s16
	s_delay_alu instid0(VALU_DEP_1) | instskip(SKIP_2) | instid1(VALU_DEP_3)
	v_lshlrev_b32_e32 v5, 20, v6
	v_lshlrev_b32_e32 v6, 24, v2
	v_lshl_add_u32 v4, v4, 23, 0x3c000000
	v_and_b32_e32 v5, 0x700000, v5
	s_delay_alu instid0(VALU_DEP_3) | instskip(NEXT) | instid1(VALU_DEP_1)
	v_and_b32_e32 v6, 0x80000000, v6
	v_or3_b32 v4, v5, v6, v4
.LBB438_1297:                           ;   in Loop: Header=BB438_998 Depth=1
	s_or_b32 exec_lo, exec_lo, s15
.LBB438_1298:                           ;   in Loop: Header=BB438_998 Depth=1
	s_delay_alu instid0(SALU_CYCLE_1)
	s_or_b32 exec_lo, exec_lo, s13
.LBB438_1299:                           ;   in Loop: Header=BB438_998 Depth=1
	s_delay_alu instid0(SALU_CYCLE_1) | instskip(NEXT) | instid1(VALU_DEP_1)
	s_or_b32 exec_lo, exec_lo, s12
	v_mul_f32_e32 v5, v8, v4
	s_delay_alu instid0(VALU_DEP_1) | instskip(NEXT) | instid1(VALU_DEP_1)
	v_and_b32_e32 v4, 0x7f800000, v5
	v_cmp_ne_u32_e64 s0, 0x7f800000, v4
                                        ; implicit-def: $vgpr4
	s_delay_alu instid0(VALU_DEP_1) | instskip(NEXT) | instid1(SALU_CYCLE_1)
	s_and_saveexec_b32 s12, s0
	s_xor_b32 s0, exec_lo, s12
; %bb.1300:                             ;   in Loop: Header=BB438_998 Depth=1
	v_bfe_u32 v4, v5, 16, 1
	s_delay_alu instid0(VALU_DEP_1)
	v_add3_u32 v4, v5, v4, 0x7fff
                                        ; implicit-def: $vgpr5
; %bb.1301:                             ;   in Loop: Header=BB438_998 Depth=1
	s_and_not1_saveexec_b32 s12, s0
; %bb.1302:                             ;   in Loop: Header=BB438_998 Depth=1
	v_and_b32_e32 v4, 0xffff, v5
	v_or_b32_e32 v6, 0x10000, v5
	s_delay_alu instid0(VALU_DEP_2) | instskip(NEXT) | instid1(VALU_DEP_1)
	v_cmp_eq_u32_e64 s0, 0, v4
	v_cndmask_b32_e64 v4, v6, v5, s0
; %bb.1303:                             ;   in Loop: Header=BB438_998 Depth=1
	s_or_b32 exec_lo, exec_lo, s12
	v_lshrrev_b16 v6, 8, v2
	v_mov_b32_e32 v5, 0
	s_mov_b32 s12, exec_lo
	s_delay_alu instid0(VALU_DEP_2)
	v_cmpx_ne_u16_e32 0, v6
	s_cbranch_execz .LBB438_1311
; %bb.1304:                             ;   in Loop: Header=BB438_998 Depth=1
	v_bfrev_b32_e32 v5, 1
	s_mov_b32 s13, exec_lo
	v_cmpx_ne_u16_e32 0x80, v6
	s_cbranch_execz .LBB438_1310
; %bb.1305:                             ;   in Loop: Header=BB438_998 Depth=1
	v_and_b32_e32 v7, 0xffff, v6
	v_mov_b32_e32 v5, 0x7f800001
	s_mov_b32 s15, exec_lo
	s_delay_alu instid0(VALU_DEP_2) | instskip(NEXT) | instid1(VALU_DEP_1)
	v_and_b32_e32 v6, 0x7f, v7
	v_cmpx_ne_u32_e32 0x7f, v6
	s_cbranch_execz .LBB438_1309
; %bb.1306:                             ;   in Loop: Header=BB438_998 Depth=1
	v_and_b32_e32 v9, 7, v7
	v_lshrrev_b32_e32 v5, 3, v6
	s_mov_b32 s16, exec_lo
	v_cmpx_gt_u32_e32 8, v6
; %bb.1307:                             ;   in Loop: Header=BB438_998 Depth=1
	s_delay_alu instid0(VALU_DEP_3) | instskip(NEXT) | instid1(VALU_DEP_1)
	v_clz_i32_u32_e32 v5, v9
	v_min_u32_e32 v5, 32, v5
	s_delay_alu instid0(VALU_DEP_1) | instskip(SKIP_1) | instid1(VALU_DEP_2)
	v_subrev_nc_u32_e32 v6, 28, v5
	v_sub_nc_u32_e32 v5, 29, v5
	v_lshlrev_b64 v[6:7], v6, v[9:10]
	s_delay_alu instid0(VALU_DEP_1)
	v_and_b32_e32 v9, 7, v6
; %bb.1308:                             ;   in Loop: Header=BB438_998 Depth=1
	s_or_b32 exec_lo, exec_lo, s16
	v_lshlrev_b32_e32 v6, 16, v2
	s_delay_alu instid0(VALU_DEP_2) | instskip(SKIP_1) | instid1(VALU_DEP_3)
	v_lshlrev_b32_e32 v7, 20, v9
	v_lshl_add_u32 v5, v5, 23, 0x3c000000
	v_and_b32_e32 v6, 0x80000000, v6
	s_delay_alu instid0(VALU_DEP_1)
	v_or3_b32 v5, v7, v6, v5
.LBB438_1309:                           ;   in Loop: Header=BB438_998 Depth=1
	s_or_b32 exec_lo, exec_lo, s15
.LBB438_1310:                           ;   in Loop: Header=BB438_998 Depth=1
	s_delay_alu instid0(SALU_CYCLE_1)
	s_or_b32 exec_lo, exec_lo, s13
.LBB438_1311:                           ;   in Loop: Header=BB438_998 Depth=1
	s_delay_alu instid0(SALU_CYCLE_1) | instskip(NEXT) | instid1(VALU_DEP_1)
	s_or_b32 exec_lo, exec_lo, s12
	v_mul_f32_e32 v6, v8, v5
	s_delay_alu instid0(VALU_DEP_1) | instskip(NEXT) | instid1(VALU_DEP_1)
	v_and_b32_e32 v5, 0x7f800000, v6
	v_cmp_ne_u32_e64 s0, 0x7f800000, v5
                                        ; implicit-def: $vgpr5
	s_delay_alu instid0(VALU_DEP_1) | instskip(NEXT) | instid1(SALU_CYCLE_1)
	s_and_saveexec_b32 s12, s0
	s_xor_b32 s0, exec_lo, s12
; %bb.1312:                             ;   in Loop: Header=BB438_998 Depth=1
	v_bfe_u32 v5, v6, 16, 1
	s_delay_alu instid0(VALU_DEP_1)
	v_add3_u32 v5, v6, v5, 0x7fff
                                        ; implicit-def: $vgpr6
; %bb.1313:                             ;   in Loop: Header=BB438_998 Depth=1
	s_and_not1_saveexec_b32 s12, s0
; %bb.1314:                             ;   in Loop: Header=BB438_998 Depth=1
	v_and_b32_e32 v5, 0xffff, v6
	v_or_b32_e32 v7, 0x10000, v6
	s_delay_alu instid0(VALU_DEP_2) | instskip(NEXT) | instid1(VALU_DEP_1)
	v_cmp_eq_u32_e64 s0, 0, v5
	v_cndmask_b32_e64 v5, v7, v6, s0
; %bb.1315:                             ;   in Loop: Header=BB438_998 Depth=1
	s_or_b32 exec_lo, exec_lo, s12
	v_lshrrev_b32_e32 v6, 16, v2
	v_mov_b32_e32 v7, 0
	s_mov_b32 s12, exec_lo
	s_delay_alu instid0(VALU_DEP_2) | instskip(NEXT) | instid1(VALU_DEP_1)
	v_and_b32_e32 v9, 0xff, v6
	v_cmpx_ne_u16_e32 0, v9
	s_cbranch_execz .LBB438_1323
; %bb.1316:                             ;   in Loop: Header=BB438_998 Depth=1
	v_bfrev_b32_e32 v7, 1
	s_mov_b32 s13, exec_lo
	v_cmpx_ne_u16_e32 0x80, v9
	s_cbranch_execz .LBB438_1322
; %bb.1317:                             ;   in Loop: Header=BB438_998 Depth=1
	v_bfe_u32 v37, v2, 16, 7
	v_mov_b32_e32 v7, 0x7f800001
	s_mov_b32 s15, exec_lo
	s_delay_alu instid0(VALU_DEP_2)
	v_cmpx_ne_u32_e32 0x7f, v37
	s_cbranch_execz .LBB438_1321
; %bb.1318:                             ;   in Loop: Header=BB438_998 Depth=1
	v_and_b32_e32 v9, 7, v6
	v_lshrrev_b32_e32 v7, 3, v37
	s_mov_b32 s16, exec_lo
	v_cmpx_gt_u32_e32 8, v37
; %bb.1319:                             ;   in Loop: Header=BB438_998 Depth=1
	s_delay_alu instid0(VALU_DEP_3) | instskip(NEXT) | instid1(VALU_DEP_1)
	v_clz_i32_u32_e32 v7, v9
	v_min_u32_e32 v7, 32, v7
	s_delay_alu instid0(VALU_DEP_1) | instskip(SKIP_1) | instid1(VALU_DEP_2)
	v_subrev_nc_u32_e32 v37, 28, v7
	v_sub_nc_u32_e32 v7, 29, v7
	v_lshlrev_b64 v[128:129], v37, v[9:10]
	s_delay_alu instid0(VALU_DEP_1)
	v_and_b32_e32 v9, 7, v128
; %bb.1320:                             ;   in Loop: Header=BB438_998 Depth=1
	s_or_b32 exec_lo, exec_lo, s16
	v_lshlrev_b32_e32 v6, 24, v6
	s_delay_alu instid0(VALU_DEP_2) | instskip(SKIP_1) | instid1(VALU_DEP_3)
	v_lshlrev_b32_e32 v9, 20, v9
	v_lshl_add_u32 v7, v7, 23, 0x3c000000
	v_and_b32_e32 v6, 0x80000000, v6
	s_delay_alu instid0(VALU_DEP_1)
	v_or3_b32 v7, v9, v6, v7
.LBB438_1321:                           ;   in Loop: Header=BB438_998 Depth=1
	s_or_b32 exec_lo, exec_lo, s15
.LBB438_1322:                           ;   in Loop: Header=BB438_998 Depth=1
	s_delay_alu instid0(SALU_CYCLE_1)
	s_or_b32 exec_lo, exec_lo, s13
.LBB438_1323:                           ;   in Loop: Header=BB438_998 Depth=1
	s_delay_alu instid0(SALU_CYCLE_1) | instskip(NEXT) | instid1(VALU_DEP_1)
	s_or_b32 exec_lo, exec_lo, s12
	v_mul_f32_e32 v6, v8, v7
                                        ; implicit-def: $vgpr37
	s_delay_alu instid0(VALU_DEP_1) | instskip(NEXT) | instid1(VALU_DEP_1)
	v_and_b32_e32 v7, 0x7f800000, v6
	v_cmp_ne_u32_e64 s0, 0x7f800000, v7
	s_delay_alu instid0(VALU_DEP_1) | instskip(NEXT) | instid1(SALU_CYCLE_1)
	s_and_saveexec_b32 s12, s0
	s_xor_b32 s0, exec_lo, s12
; %bb.1324:                             ;   in Loop: Header=BB438_998 Depth=1
	v_bfe_u32 v7, v6, 16, 1
	s_delay_alu instid0(VALU_DEP_1)
	v_add3_u32 v37, v6, v7, 0x7fff
                                        ; implicit-def: $vgpr6
; %bb.1325:                             ;   in Loop: Header=BB438_998 Depth=1
	s_and_not1_saveexec_b32 s12, s0
; %bb.1326:                             ;   in Loop: Header=BB438_998 Depth=1
	v_and_b32_e32 v7, 0xffff, v6
	v_or_b32_e32 v9, 0x10000, v6
	s_delay_alu instid0(VALU_DEP_2) | instskip(NEXT) | instid1(VALU_DEP_1)
	v_cmp_eq_u32_e64 s0, 0, v7
	v_cndmask_b32_e64 v37, v9, v6, s0
; %bb.1327:                             ;   in Loop: Header=BB438_998 Depth=1
	s_or_b32 exec_lo, exec_lo, s12
	v_mov_b32_e32 v7, 0
	s_mov_b32 s12, exec_lo
	v_cmpx_lt_u32_e32 0xffffff, v2
	s_cbranch_execz .LBB438_1335
; %bb.1328:                             ;   in Loop: Header=BB438_998 Depth=1
	v_lshrrev_b32_e32 v6, 24, v2
	v_bfrev_b32_e32 v7, 1
	s_mov_b32 s13, exec_lo
	s_delay_alu instid0(VALU_DEP_2)
	v_cmpx_ne_u32_e32 0x80, v6
	s_cbranch_execz .LBB438_1334
; %bb.1329:                             ;   in Loop: Header=BB438_998 Depth=1
	v_bfe_u32 v39, v2, 24, 7
	v_mov_b32_e32 v7, 0x7f800001
	s_mov_b32 s15, exec_lo
	s_delay_alu instid0(VALU_DEP_2)
	v_cmpx_ne_u32_e32 0x7f, v39
	s_cbranch_execz .LBB438_1333
; %bb.1330:                             ;   in Loop: Header=BB438_998 Depth=1
	v_and_b32_e32 v9, 7, v6
	v_lshrrev_b32_e32 v7, 3, v39
	s_mov_b32 s16, exec_lo
	v_cmpx_gt_u32_e32 8, v39
; %bb.1331:                             ;   in Loop: Header=BB438_998 Depth=1
	s_delay_alu instid0(VALU_DEP_3) | instskip(NEXT) | instid1(VALU_DEP_1)
	v_clz_i32_u32_e32 v7, v9
	v_min_u32_e32 v7, 32, v7
	s_delay_alu instid0(VALU_DEP_1) | instskip(SKIP_1) | instid1(VALU_DEP_2)
	v_subrev_nc_u32_e32 v39, 28, v7
	v_sub_nc_u32_e32 v7, 29, v7
	v_lshlrev_b64 v[128:129], v39, v[9:10]
	s_delay_alu instid0(VALU_DEP_1)
	v_and_b32_e32 v9, 7, v128
; %bb.1332:                             ;   in Loop: Header=BB438_998 Depth=1
	s_or_b32 exec_lo, exec_lo, s16
	v_lshlrev_b32_e32 v6, 24, v6
	s_delay_alu instid0(VALU_DEP_2) | instskip(SKIP_1) | instid1(VALU_DEP_3)
	v_lshlrev_b32_e32 v9, 20, v9
	v_lshl_add_u32 v7, v7, 23, 0x3c000000
	v_and_b32_e32 v6, 0x80000000, v6
	s_delay_alu instid0(VALU_DEP_1)
	v_or3_b32 v7, v9, v6, v7
.LBB438_1333:                           ;   in Loop: Header=BB438_998 Depth=1
	s_or_b32 exec_lo, exec_lo, s15
.LBB438_1334:                           ;   in Loop: Header=BB438_998 Depth=1
	s_delay_alu instid0(SALU_CYCLE_1)
	s_or_b32 exec_lo, exec_lo, s13
.LBB438_1335:                           ;   in Loop: Header=BB438_998 Depth=1
	s_delay_alu instid0(SALU_CYCLE_1) | instskip(NEXT) | instid1(VALU_DEP_1)
	s_or_b32 exec_lo, exec_lo, s12
	v_mul_f32_e32 v6, v8, v7
                                        ; implicit-def: $vgpr39
	s_delay_alu instid0(VALU_DEP_1) | instskip(NEXT) | instid1(VALU_DEP_1)
	v_and_b32_e32 v7, 0x7f800000, v6
	v_cmp_ne_u32_e64 s0, 0x7f800000, v7
	s_delay_alu instid0(VALU_DEP_1) | instskip(NEXT) | instid1(SALU_CYCLE_1)
	s_and_saveexec_b32 s12, s0
	s_xor_b32 s0, exec_lo, s12
; %bb.1336:                             ;   in Loop: Header=BB438_998 Depth=1
	v_bfe_u32 v7, v6, 16, 1
	s_delay_alu instid0(VALU_DEP_1)
	v_add3_u32 v39, v6, v7, 0x7fff
                                        ; implicit-def: $vgpr6
; %bb.1337:                             ;   in Loop: Header=BB438_998 Depth=1
	s_and_not1_saveexec_b32 s12, s0
; %bb.1338:                             ;   in Loop: Header=BB438_998 Depth=1
	v_and_b32_e32 v7, 0xffff, v6
	v_or_b32_e32 v9, 0x10000, v6
	s_delay_alu instid0(VALU_DEP_2) | instskip(NEXT) | instid1(VALU_DEP_1)
	v_cmp_eq_u32_e64 s0, 0, v7
	v_cndmask_b32_e64 v39, v9, v6, s0
; %bb.1339:                             ;   in Loop: Header=BB438_998 Depth=1
	s_or_b32 exec_lo, exec_lo, s12
	v_dual_mov_b32 v6, 0 :: v_dual_and_b32 v7, 0xff, v3
	v_mov_b32_e32 v9, v3
	s_mov_b32 s12, exec_lo
	s_delay_alu instid0(VALU_DEP_2)
	v_cmpx_ne_u16_e32 0, v7
	s_cbranch_execz .LBB438_1347
; %bb.1340:                             ;   in Loop: Header=BB438_998 Depth=1
	v_bfrev_b32_e32 v6, 1
	s_mov_b32 s13, exec_lo
	v_cmpx_ne_u16_e32 0x80, v7
	s_cbranch_execz .LBB438_1346
; %bb.1341:                             ;   in Loop: Header=BB438_998 Depth=1
	v_and_b32_e32 v7, 0x7f, v3
	v_mov_b32_e32 v6, 0x7f800001
	s_mov_b32 s15, exec_lo
	s_delay_alu instid0(VALU_DEP_2)
	v_cmpx_ne_u32_e32 0x7f, v7
	s_cbranch_execz .LBB438_1345
; %bb.1342:                             ;   in Loop: Header=BB438_998 Depth=1
	v_lshrrev_b32_e32 v48, 3, v7
	v_cmp_gt_u32_e64 s0, 8, v7
	v_dual_mov_b32 v6, v9 :: v_dual_mov_b32 v7, v10
	s_delay_alu instid0(VALU_DEP_2)
	s_and_saveexec_b32 s16, s0
; %bb.1343:                             ;   in Loop: Header=BB438_998 Depth=1
	v_and_b32_e32 v6, 7, v3
	s_delay_alu instid0(VALU_DEP_1) | instskip(NEXT) | instid1(VALU_DEP_1)
	v_clz_i32_u32_e32 v6, v6
	v_min_u32_e32 v48, 32, v6
	s_delay_alu instid0(VALU_DEP_1) | instskip(SKIP_1) | instid1(VALU_DEP_2)
	v_subrev_nc_u32_e32 v6, 28, v48
	v_sub_nc_u32_e32 v48, 29, v48
	v_lshlrev_b64 v[6:7], v6, v[9:10]
; %bb.1344:                             ;   in Loop: Header=BB438_998 Depth=1
	s_or_b32 exec_lo, exec_lo, s16
	s_delay_alu instid0(VALU_DEP_1) | instskip(SKIP_2) | instid1(VALU_DEP_3)
	v_lshlrev_b32_e32 v6, 20, v6
	v_lshlrev_b32_e32 v7, 24, v9
	v_lshl_add_u32 v48, v48, 23, 0x3c000000
	v_and_b32_e32 v6, 0x700000, v6
	s_delay_alu instid0(VALU_DEP_3) | instskip(NEXT) | instid1(VALU_DEP_1)
	v_and_b32_e32 v7, 0x80000000, v7
	v_or3_b32 v6, v6, v7, v48
.LBB438_1345:                           ;   in Loop: Header=BB438_998 Depth=1
	s_or_b32 exec_lo, exec_lo, s15
.LBB438_1346:                           ;   in Loop: Header=BB438_998 Depth=1
	s_delay_alu instid0(SALU_CYCLE_1)
	s_or_b32 exec_lo, exec_lo, s13
.LBB438_1347:                           ;   in Loop: Header=BB438_998 Depth=1
	s_delay_alu instid0(SALU_CYCLE_1) | instskip(NEXT) | instid1(VALU_DEP_1)
	s_or_b32 exec_lo, exec_lo, s12
	v_mul_f32_e32 v6, v8, v6
                                        ; implicit-def: $vgpr48
	s_delay_alu instid0(VALU_DEP_1) | instskip(NEXT) | instid1(VALU_DEP_1)
	v_and_b32_e32 v7, 0x7f800000, v6
	v_cmp_ne_u32_e64 s0, 0x7f800000, v7
	s_delay_alu instid0(VALU_DEP_1) | instskip(NEXT) | instid1(SALU_CYCLE_1)
	s_and_saveexec_b32 s12, s0
	s_xor_b32 s0, exec_lo, s12
; %bb.1348:                             ;   in Loop: Header=BB438_998 Depth=1
	v_bfe_u32 v7, v6, 16, 1
	s_delay_alu instid0(VALU_DEP_1)
	v_add3_u32 v48, v6, v7, 0x7fff
                                        ; implicit-def: $vgpr6
; %bb.1349:                             ;   in Loop: Header=BB438_998 Depth=1
	s_and_not1_saveexec_b32 s12, s0
; %bb.1350:                             ;   in Loop: Header=BB438_998 Depth=1
	v_and_b32_e32 v7, 0xffff, v6
	v_or_b32_e32 v48, 0x10000, v6
	s_delay_alu instid0(VALU_DEP_2) | instskip(NEXT) | instid1(VALU_DEP_1)
	v_cmp_eq_u32_e64 s0, 0, v7
	v_cndmask_b32_e64 v48, v48, v6, s0
; %bb.1351:                             ;   in Loop: Header=BB438_998 Depth=1
	s_or_b32 exec_lo, exec_lo, s12
	v_lshrrev_b16 v7, 8, v9
	v_mov_b32_e32 v6, 0
	s_mov_b32 s12, exec_lo
	s_delay_alu instid0(VALU_DEP_2)
	v_cmpx_ne_u16_e32 0, v7
	s_cbranch_execz .LBB438_1359
; %bb.1352:                             ;   in Loop: Header=BB438_998 Depth=1
	v_bfrev_b32_e32 v6, 1
	s_mov_b32 s13, exec_lo
	v_cmpx_ne_u16_e32 0x80, v7
	s_cbranch_execz .LBB438_1358
; %bb.1353:                             ;   in Loop: Header=BB438_998 Depth=1
	v_and_b32_e32 v7, 0xffff, v7
	v_mov_b32_e32 v6, 0x7f800001
	s_mov_b32 s15, exec_lo
	s_delay_alu instid0(VALU_DEP_2) | instskip(NEXT) | instid1(VALU_DEP_1)
	v_and_b32_e32 v129, 0x7f, v7
	v_cmpx_ne_u32_e32 0x7f, v129
	s_cbranch_execz .LBB438_1357
; %bb.1354:                             ;   in Loop: Header=BB438_998 Depth=1
	v_dual_mov_b32 v7, v10 :: v_dual_and_b32 v6, 7, v7
	v_lshrrev_b32_e32 v128, 3, v129
	s_mov_b32 s16, exec_lo
	v_cmpx_gt_u32_e32 8, v129
; %bb.1355:                             ;   in Loop: Header=BB438_998 Depth=1
	s_delay_alu instid0(VALU_DEP_3) | instskip(NEXT) | instid1(VALU_DEP_1)
	v_clz_i32_u32_e32 v128, v6
	v_min_u32_e32 v128, 32, v128
	s_delay_alu instid0(VALU_DEP_1) | instskip(SKIP_1) | instid1(VALU_DEP_2)
	v_subrev_nc_u32_e32 v129, 28, v128
	v_sub_nc_u32_e32 v128, 29, v128
	v_lshlrev_b64 v[6:7], v129, v[6:7]
	s_delay_alu instid0(VALU_DEP_1)
	v_and_b32_e32 v6, 7, v6
; %bb.1356:                             ;   in Loop: Header=BB438_998 Depth=1
	s_or_b32 exec_lo, exec_lo, s16
	v_lshlrev_b32_e32 v7, 16, v9
	s_delay_alu instid0(VALU_DEP_2) | instskip(SKIP_1) | instid1(VALU_DEP_3)
	v_lshlrev_b32_e32 v6, 20, v6
	v_lshl_add_u32 v9, v128, 23, 0x3c000000
	v_and_b32_e32 v7, 0x80000000, v7
	s_delay_alu instid0(VALU_DEP_1)
	v_or3_b32 v6, v6, v7, v9
.LBB438_1357:                           ;   in Loop: Header=BB438_998 Depth=1
	s_or_b32 exec_lo, exec_lo, s15
.LBB438_1358:                           ;   in Loop: Header=BB438_998 Depth=1
	s_delay_alu instid0(SALU_CYCLE_1)
	s_or_b32 exec_lo, exec_lo, s13
.LBB438_1359:                           ;   in Loop: Header=BB438_998 Depth=1
	s_delay_alu instid0(SALU_CYCLE_1) | instskip(NEXT) | instid1(VALU_DEP_1)
	s_or_b32 exec_lo, exec_lo, s12
	v_mul_f32_e32 v7, v8, v6
	s_delay_alu instid0(VALU_DEP_1) | instskip(NEXT) | instid1(VALU_DEP_1)
	v_and_b32_e32 v6, 0x7f800000, v7
	v_cmp_ne_u32_e64 s0, 0x7f800000, v6
                                        ; implicit-def: $vgpr6
	s_delay_alu instid0(VALU_DEP_1) | instskip(NEXT) | instid1(SALU_CYCLE_1)
	s_and_saveexec_b32 s12, s0
	s_xor_b32 s0, exec_lo, s12
; %bb.1360:                             ;   in Loop: Header=BB438_998 Depth=1
	v_bfe_u32 v6, v7, 16, 1
	s_delay_alu instid0(VALU_DEP_1)
	v_add3_u32 v6, v7, v6, 0x7fff
                                        ; implicit-def: $vgpr7
; %bb.1361:                             ;   in Loop: Header=BB438_998 Depth=1
	s_and_not1_saveexec_b32 s12, s0
; %bb.1362:                             ;   in Loop: Header=BB438_998 Depth=1
	v_and_b32_e32 v6, 0xffff, v7
	v_or_b32_e32 v9, 0x10000, v7
	s_delay_alu instid0(VALU_DEP_2) | instskip(NEXT) | instid1(VALU_DEP_1)
	v_cmp_eq_u32_e64 s0, 0, v6
	v_cndmask_b32_e64 v6, v9, v7, s0
; %bb.1363:                             ;   in Loop: Header=BB438_998 Depth=1
	s_or_b32 exec_lo, exec_lo, s12
	v_lshrrev_b32_e32 v7, 16, v3
	s_mov_b32 s12, exec_lo
	s_delay_alu instid0(VALU_DEP_1) | instskip(NEXT) | instid1(VALU_DEP_1)
	v_dual_mov_b32 v9, 0 :: v_dual_and_b32 v128, 0xff, v7
	v_cmpx_ne_u16_e64 0, v128
	s_cbranch_execz .LBB438_1371
; %bb.1364:                             ;   in Loop: Header=BB438_998 Depth=1
	v_bfrev_b32_e32 v9, 1
	s_mov_b32 s13, exec_lo
	v_cmpx_ne_u16_e64 0x80, v128
	s_cbranch_execz .LBB438_1370
; %bb.1365:                             ;   in Loop: Header=BB438_998 Depth=1
	v_bfe_u32 v129, v3, 16, 7
	v_mov_b32_e32 v9, 0x7f800001
	s_mov_b32 s15, exec_lo
	s_delay_alu instid0(VALU_DEP_2)
	v_cmpx_ne_u32_e32 0x7f, v129
	s_cbranch_execz .LBB438_1369
; %bb.1366:                             ;   in Loop: Header=BB438_998 Depth=1
	v_and_b32_e32 v9, 7, v7
	v_lshrrev_b32_e32 v128, 3, v129
	s_mov_b32 s16, exec_lo
	v_cmpx_gt_u32_e32 8, v129
; %bb.1367:                             ;   in Loop: Header=BB438_998 Depth=1
	s_delay_alu instid0(VALU_DEP_3) | instskip(NEXT) | instid1(VALU_DEP_1)
	v_clz_i32_u32_e32 v128, v9
	v_min_u32_e32 v128, 32, v128
	s_delay_alu instid0(VALU_DEP_1) | instskip(SKIP_1) | instid1(VALU_DEP_2)
	v_subrev_nc_u32_e32 v129, 28, v128
	v_sub_nc_u32_e32 v128, 29, v128
	v_lshlrev_b64 v[129:130], v129, v[9:10]
	s_delay_alu instid0(VALU_DEP_1)
	v_and_b32_e32 v9, 7, v129
; %bb.1368:                             ;   in Loop: Header=BB438_998 Depth=1
	s_or_b32 exec_lo, exec_lo, s16
	v_lshlrev_b32_e32 v7, 24, v7
	s_delay_alu instid0(VALU_DEP_2) | instskip(SKIP_1) | instid1(VALU_DEP_3)
	v_lshlrev_b32_e32 v9, 20, v9
	v_lshl_add_u32 v128, v128, 23, 0x3c000000
	v_and_b32_e32 v7, 0x80000000, v7
	s_delay_alu instid0(VALU_DEP_1)
	v_or3_b32 v9, v9, v7, v128
.LBB438_1369:                           ;   in Loop: Header=BB438_998 Depth=1
	s_or_b32 exec_lo, exec_lo, s15
.LBB438_1370:                           ;   in Loop: Header=BB438_998 Depth=1
	s_delay_alu instid0(SALU_CYCLE_1)
	s_or_b32 exec_lo, exec_lo, s13
.LBB438_1371:                           ;   in Loop: Header=BB438_998 Depth=1
	s_delay_alu instid0(SALU_CYCLE_1) | instskip(NEXT) | instid1(VALU_DEP_1)
	s_or_b32 exec_lo, exec_lo, s12
	v_mul_f32_e32 v7, v8, v9
                                        ; implicit-def: $vgpr128
	s_delay_alu instid0(VALU_DEP_1) | instskip(NEXT) | instid1(VALU_DEP_1)
	v_and_b32_e32 v9, 0x7f800000, v7
	v_cmp_ne_u32_e64 s0, 0x7f800000, v9
	s_delay_alu instid0(VALU_DEP_1) | instskip(NEXT) | instid1(SALU_CYCLE_1)
	s_and_saveexec_b32 s12, s0
	s_xor_b32 s0, exec_lo, s12
; %bb.1372:                             ;   in Loop: Header=BB438_998 Depth=1
	v_bfe_u32 v9, v7, 16, 1
	s_delay_alu instid0(VALU_DEP_1)
	v_add3_u32 v128, v7, v9, 0x7fff
                                        ; implicit-def: $vgpr7
; %bb.1373:                             ;   in Loop: Header=BB438_998 Depth=1
	s_and_not1_saveexec_b32 s12, s0
; %bb.1374:                             ;   in Loop: Header=BB438_998 Depth=1
	v_and_b32_e32 v9, 0xffff, v7
	v_or_b32_e32 v128, 0x10000, v7
	s_delay_alu instid0(VALU_DEP_2) | instskip(NEXT) | instid1(VALU_DEP_1)
	v_cmp_eq_u32_e64 s0, 0, v9
	v_cndmask_b32_e64 v128, v128, v7, s0
; %bb.1375:                             ;   in Loop: Header=BB438_998 Depth=1
	s_or_b32 exec_lo, exec_lo, s12
	v_mov_b32_e32 v7, 0
	s_mov_b32 s12, exec_lo
	v_cmpx_lt_u64_e64 s[8:9], v[2:3]
	s_cbranch_execz .LBB438_1383
; %bb.1376:                             ;   in Loop: Header=BB438_998 Depth=1
	v_lshrrev_b32_e32 v2, 24, v3
	v_bfrev_b32_e32 v7, 1
	s_mov_b32 s13, exec_lo
	s_delay_alu instid0(VALU_DEP_2)
	v_cmpx_ne_u32_e32 0x80, v2
	s_cbranch_execz .LBB438_1382
; %bb.1377:                             ;   in Loop: Header=BB438_998 Depth=1
	v_bfe_u32 v129, v3, 24, 7
	v_mov_b32_e32 v7, 0x7f800001
	s_mov_b32 s15, exec_lo
	s_delay_alu instid0(VALU_DEP_2)
	v_cmpx_ne_u32_e32 0x7f, v129
	s_cbranch_execz .LBB438_1381
; %bb.1378:                             ;   in Loop: Header=BB438_998 Depth=1
	v_and_b32_e32 v9, 7, v2
	v_lshrrev_b32_e32 v3, 3, v129
	s_mov_b32 s16, exec_lo
	v_cmpx_gt_u32_e32 8, v129
; %bb.1379:                             ;   in Loop: Header=BB438_998 Depth=1
	s_delay_alu instid0(VALU_DEP_3) | instskip(NEXT) | instid1(VALU_DEP_1)
	v_clz_i32_u32_e32 v3, v9
	v_min_u32_e32 v3, 32, v3
	s_delay_alu instid0(VALU_DEP_1) | instskip(SKIP_1) | instid1(VALU_DEP_2)
	v_subrev_nc_u32_e32 v7, 28, v3
	v_sub_nc_u32_e32 v3, 29, v3
	v_lshlrev_b64 v[129:130], v7, v[9:10]
	s_delay_alu instid0(VALU_DEP_1)
	v_and_b32_e32 v9, 7, v129
; %bb.1380:                             ;   in Loop: Header=BB438_998 Depth=1
	s_or_b32 exec_lo, exec_lo, s16
	v_lshlrev_b32_e32 v2, 24, v2
	s_delay_alu instid0(VALU_DEP_2) | instskip(SKIP_1) | instid1(VALU_DEP_3)
	v_lshlrev_b32_e32 v7, 20, v9
	v_lshl_add_u32 v3, v3, 23, 0x3c000000
	v_and_b32_e32 v2, 0x80000000, v2
	s_delay_alu instid0(VALU_DEP_1)
	v_or3_b32 v7, v7, v2, v3
.LBB438_1381:                           ;   in Loop: Header=BB438_998 Depth=1
	s_or_b32 exec_lo, exec_lo, s15
.LBB438_1382:                           ;   in Loop: Header=BB438_998 Depth=1
	s_delay_alu instid0(SALU_CYCLE_1)
	s_or_b32 exec_lo, exec_lo, s13
.LBB438_1383:                           ;   in Loop: Header=BB438_998 Depth=1
	s_delay_alu instid0(SALU_CYCLE_1) | instskip(NEXT) | instid1(VALU_DEP_1)
	s_or_b32 exec_lo, exec_lo, s12
	v_mul_f32_e32 v3, v8, v7
	s_delay_alu instid0(VALU_DEP_1) | instskip(NEXT) | instid1(VALU_DEP_1)
	v_and_b32_e32 v2, 0x7f800000, v3
	v_cmp_ne_u32_e64 s0, 0x7f800000, v2
                                        ; implicit-def: $vgpr2
	s_delay_alu instid0(VALU_DEP_1) | instskip(NEXT) | instid1(SALU_CYCLE_1)
	s_and_saveexec_b32 s12, s0
	s_xor_b32 s0, exec_lo, s12
; %bb.1384:                             ;   in Loop: Header=BB438_998 Depth=1
	v_bfe_u32 v2, v3, 16, 1
	s_delay_alu instid0(VALU_DEP_1)
	v_add3_u32 v2, v3, v2, 0x7fff
                                        ; implicit-def: $vgpr3
; %bb.1385:                             ;   in Loop: Header=BB438_998 Depth=1
	s_and_not1_saveexec_b32 s12, s0
; %bb.1386:                             ;   in Loop: Header=BB438_998 Depth=1
	v_and_b32_e32 v2, 0xffff, v3
	v_or_b32_e32 v7, 0x10000, v3
	s_delay_alu instid0(VALU_DEP_2) | instskip(NEXT) | instid1(VALU_DEP_1)
	v_cmp_eq_u32_e64 s0, 0, v2
	v_cndmask_b32_e64 v2, v7, v3, s0
; %bb.1387:                             ;   in Loop: Header=BB438_998 Depth=1
	s_or_b32 exec_lo, exec_lo, s12
	v_lshrrev_b32_e32 v6, 16, v6
	v_lshrrev_b32_e32 v7, 16, v48
	;; [unrolled: 1-line block ×8, first 2 shown]
	s_and_saveexec_b32 s12, vcc_lo
	s_cbranch_execz .LBB438_1389
; %bb.1388:                             ;   in Loop: Header=BB438_998 Depth=1
	v_cmp_lt_i32_e64 s0, v80, v38
	s_delay_alu instid0(VALU_DEP_1) | instskip(SKIP_1) | instid1(VALU_DEP_1)
	v_cndmask_b32_e64 v4, 0, v4, s0
	v_cmp_lt_i32_e64 s0, v87, v38
	v_cndmask_b32_e64 v5, 0, v5, s0
	v_cmp_lt_i32_e64 s0, v86, v38
	s_delay_alu instid0(VALU_DEP_1) | instskip(SKIP_1) | instid1(VALU_DEP_1)
	v_cndmask_b32_e64 v37, 0, v37, s0
	v_cmp_lt_i32_e64 s0, v85, v38
	v_cndmask_b32_e64 v9, 0, v9, s0
	;; [unrolled: 5-line block ×4, first 2 shown]
.LBB438_1389:                           ;   in Loop: Header=BB438_998 Depth=1
	s_or_b32 exec_lo, exec_lo, s12
	v_lshlrev_b32_e32 v4, 16, v4
                                        ; implicit-def: $vgpr128
	s_delay_alu instid0(VALU_DEP_1) | instskip(NEXT) | instid1(VALU_DEP_1)
	v_mul_f32_e32 v4, v96, v4
	v_and_b32_e32 v39, 0x7f800000, v4
	s_delay_alu instid0(VALU_DEP_1) | instskip(NEXT) | instid1(VALU_DEP_1)
	v_cmp_ne_u32_e64 s0, 0x7f800000, v39
	s_and_saveexec_b32 s12, s0
	s_delay_alu instid0(SALU_CYCLE_1)
	s_xor_b32 s0, exec_lo, s12
; %bb.1390:                             ;   in Loop: Header=BB438_998 Depth=1
	v_bfe_u32 v39, v4, 16, 1
	s_delay_alu instid0(VALU_DEP_1)
	v_add3_u32 v128, v4, v39, 0x7fff
                                        ; implicit-def: $vgpr4
; %bb.1391:                             ;   in Loop: Header=BB438_998 Depth=1
	s_and_not1_saveexec_b32 s12, s0
; %bb.1392:                             ;   in Loop: Header=BB438_998 Depth=1
	v_and_b32_e32 v39, 0xffff, v4
	v_or_b32_e32 v48, 0x10000, v4
	s_delay_alu instid0(VALU_DEP_2) | instskip(NEXT) | instid1(VALU_DEP_1)
	v_cmp_eq_u32_e64 s0, 0, v39
	v_cndmask_b32_e64 v128, v48, v4, s0
; %bb.1393:                             ;   in Loop: Header=BB438_998 Depth=1
	s_or_b32 exec_lo, exec_lo, s12
	v_lshlrev_b32_e32 v4, 16, v5
                                        ; implicit-def: $vgpr129
	s_delay_alu instid0(VALU_DEP_1) | instskip(NEXT) | instid1(VALU_DEP_1)
	v_mul_f32_e32 v4, v97, v4
	v_and_b32_e32 v5, 0x7f800000, v4
	s_delay_alu instid0(VALU_DEP_1) | instskip(NEXT) | instid1(VALU_DEP_1)
	v_cmp_ne_u32_e64 s0, 0x7f800000, v5
	s_and_saveexec_b32 s12, s0
	s_delay_alu instid0(SALU_CYCLE_1)
	s_xor_b32 s0, exec_lo, s12
; %bb.1394:                             ;   in Loop: Header=BB438_998 Depth=1
	v_bfe_u32 v5, v4, 16, 1
	s_delay_alu instid0(VALU_DEP_1)
	v_add3_u32 v129, v4, v5, 0x7fff
                                        ; implicit-def: $vgpr4
; %bb.1395:                             ;   in Loop: Header=BB438_998 Depth=1
	s_and_not1_saveexec_b32 s12, s0
; %bb.1396:                             ;   in Loop: Header=BB438_998 Depth=1
	v_and_b32_e32 v5, 0xffff, v4
	v_or_b32_e32 v39, 0x10000, v4
	s_delay_alu instid0(VALU_DEP_2) | instskip(NEXT) | instid1(VALU_DEP_1)
	v_cmp_eq_u32_e64 s0, 0, v5
	v_cndmask_b32_e64 v129, v39, v4, s0
; %bb.1397:                             ;   in Loop: Header=BB438_998 Depth=1
	s_or_b32 exec_lo, exec_lo, s12
	v_lshlrev_b32_e32 v4, 16, v37
                                        ; implicit-def: $vgpr130
	s_delay_alu instid0(VALU_DEP_1) | instskip(NEXT) | instid1(VALU_DEP_1)
	v_mul_f32_e32 v4, v98, v4
	v_and_b32_e32 v5, 0x7f800000, v4
	s_delay_alu instid0(VALU_DEP_1) | instskip(NEXT) | instid1(VALU_DEP_1)
	v_cmp_ne_u32_e64 s0, 0x7f800000, v5
	s_and_saveexec_b32 s12, s0
	s_delay_alu instid0(SALU_CYCLE_1)
	s_xor_b32 s0, exec_lo, s12
; %bb.1398:                             ;   in Loop: Header=BB438_998 Depth=1
	v_bfe_u32 v5, v4, 16, 1
	s_delay_alu instid0(VALU_DEP_1)
	v_add3_u32 v130, v4, v5, 0x7fff
                                        ; implicit-def: $vgpr4
; %bb.1399:                             ;   in Loop: Header=BB438_998 Depth=1
	s_and_not1_saveexec_b32 s12, s0
; %bb.1400:                             ;   in Loop: Header=BB438_998 Depth=1
	v_and_b32_e32 v5, 0xffff, v4
	v_or_b32_e32 v37, 0x10000, v4
	s_delay_alu instid0(VALU_DEP_2) | instskip(NEXT) | instid1(VALU_DEP_1)
	v_cmp_eq_u32_e64 s0, 0, v5
	v_cndmask_b32_e64 v130, v37, v4, s0
; %bb.1401:                             ;   in Loop: Header=BB438_998 Depth=1
	s_or_b32 exec_lo, exec_lo, s12
	v_lshlrev_b32_e32 v4, 16, v9
                                        ; implicit-def: $vgpr131
	s_delay_alu instid0(VALU_DEP_1) | instskip(NEXT) | instid1(VALU_DEP_1)
	v_mul_f32_e32 v4, v99, v4
	v_and_b32_e32 v5, 0x7f800000, v4
	s_delay_alu instid0(VALU_DEP_1) | instskip(NEXT) | instid1(VALU_DEP_1)
	v_cmp_ne_u32_e64 s0, 0x7f800000, v5
	s_and_saveexec_b32 s12, s0
	s_delay_alu instid0(SALU_CYCLE_1)
	s_xor_b32 s0, exec_lo, s12
; %bb.1402:                             ;   in Loop: Header=BB438_998 Depth=1
	v_bfe_u32 v5, v4, 16, 1
	s_delay_alu instid0(VALU_DEP_1)
	v_add3_u32 v131, v4, v5, 0x7fff
                                        ; implicit-def: $vgpr4
; %bb.1403:                             ;   in Loop: Header=BB438_998 Depth=1
	s_and_not1_saveexec_b32 s12, s0
; %bb.1404:                             ;   in Loop: Header=BB438_998 Depth=1
	v_and_b32_e32 v5, 0xffff, v4
	v_or_b32_e32 v9, 0x10000, v4
	s_delay_alu instid0(VALU_DEP_2) | instskip(NEXT) | instid1(VALU_DEP_1)
	v_cmp_eq_u32_e64 s0, 0, v5
	v_cndmask_b32_e64 v131, v9, v4, s0
; %bb.1405:                             ;   in Loop: Header=BB438_998 Depth=1
	s_or_b32 exec_lo, exec_lo, s12
	v_lshlrev_b32_e32 v4, 16, v7
                                        ; implicit-def: $vgpr132
	s_delay_alu instid0(VALU_DEP_1) | instskip(NEXT) | instid1(VALU_DEP_1)
	v_mul_f32_e32 v4, v100, v4
	v_and_b32_e32 v5, 0x7f800000, v4
	s_delay_alu instid0(VALU_DEP_1) | instskip(NEXT) | instid1(VALU_DEP_1)
	v_cmp_ne_u32_e64 s0, 0x7f800000, v5
	s_and_saveexec_b32 s12, s0
	s_delay_alu instid0(SALU_CYCLE_1)
	s_xor_b32 s0, exec_lo, s12
; %bb.1406:                             ;   in Loop: Header=BB438_998 Depth=1
	v_bfe_u32 v5, v4, 16, 1
	s_delay_alu instid0(VALU_DEP_1)
	v_add3_u32 v132, v4, v5, 0x7fff
                                        ; implicit-def: $vgpr4
; %bb.1407:                             ;   in Loop: Header=BB438_998 Depth=1
	s_and_not1_saveexec_b32 s12, s0
; %bb.1408:                             ;   in Loop: Header=BB438_998 Depth=1
	v_and_b32_e32 v5, 0xffff, v4
	v_or_b32_e32 v7, 0x10000, v4
	s_delay_alu instid0(VALU_DEP_2) | instskip(NEXT) | instid1(VALU_DEP_1)
	v_cmp_eq_u32_e64 s0, 0, v5
	v_cndmask_b32_e64 v132, v7, v4, s0
; %bb.1409:                             ;   in Loop: Header=BB438_998 Depth=1
	s_or_b32 exec_lo, exec_lo, s12
	v_lshlrev_b32_e32 v4, 16, v6
                                        ; implicit-def: $vgpr133
	s_delay_alu instid0(VALU_DEP_1) | instskip(NEXT) | instid1(VALU_DEP_1)
	v_mul_f32_e32 v4, v101, v4
	v_and_b32_e32 v5, 0x7f800000, v4
	s_delay_alu instid0(VALU_DEP_1) | instskip(NEXT) | instid1(VALU_DEP_1)
	v_cmp_ne_u32_e64 s0, 0x7f800000, v5
	s_and_saveexec_b32 s12, s0
	s_delay_alu instid0(SALU_CYCLE_1)
	s_xor_b32 s0, exec_lo, s12
; %bb.1410:                             ;   in Loop: Header=BB438_998 Depth=1
	v_bfe_u32 v5, v4, 16, 1
	s_delay_alu instid0(VALU_DEP_1)
	v_add3_u32 v133, v4, v5, 0x7fff
                                        ; implicit-def: $vgpr4
; %bb.1411:                             ;   in Loop: Header=BB438_998 Depth=1
	s_and_not1_saveexec_b32 s12, s0
; %bb.1412:                             ;   in Loop: Header=BB438_998 Depth=1
	v_and_b32_e32 v5, 0xffff, v4
	v_or_b32_e32 v6, 0x10000, v4
	s_delay_alu instid0(VALU_DEP_2) | instskip(NEXT) | instid1(VALU_DEP_1)
	v_cmp_eq_u32_e64 s0, 0, v5
	v_cndmask_b32_e64 v133, v6, v4, s0
; %bb.1413:                             ;   in Loop: Header=BB438_998 Depth=1
	s_or_b32 exec_lo, exec_lo, s12
	v_lshlrev_b32_e32 v3, 16, v3
                                        ; implicit-def: $vgpr134
	s_delay_alu instid0(VALU_DEP_1) | instskip(NEXT) | instid1(VALU_DEP_1)
	v_mul_f32_e32 v3, v102, v3
	v_and_b32_e32 v4, 0x7f800000, v3
	s_delay_alu instid0(VALU_DEP_1) | instskip(NEXT) | instid1(VALU_DEP_1)
	v_cmp_ne_u32_e64 s0, 0x7f800000, v4
	s_and_saveexec_b32 s12, s0
	s_delay_alu instid0(SALU_CYCLE_1)
	s_xor_b32 s0, exec_lo, s12
; %bb.1414:                             ;   in Loop: Header=BB438_998 Depth=1
	v_bfe_u32 v4, v3, 16, 1
	s_delay_alu instid0(VALU_DEP_1)
	v_add3_u32 v134, v3, v4, 0x7fff
                                        ; implicit-def: $vgpr3
; %bb.1415:                             ;   in Loop: Header=BB438_998 Depth=1
	s_and_not1_saveexec_b32 s12, s0
; %bb.1416:                             ;   in Loop: Header=BB438_998 Depth=1
	v_and_b32_e32 v4, 0xffff, v3
	v_or_b32_e32 v5, 0x10000, v3
	s_delay_alu instid0(VALU_DEP_2) | instskip(NEXT) | instid1(VALU_DEP_1)
	v_cmp_eq_u32_e64 s0, 0, v4
	v_cndmask_b32_e64 v134, v5, v3, s0
; %bb.1417:                             ;   in Loop: Header=BB438_998 Depth=1
	s_or_b32 exec_lo, exec_lo, s12
	v_lshlrev_b32_e32 v2, 16, v2
                                        ; implicit-def: $vgpr135
	s_delay_alu instid0(VALU_DEP_1) | instskip(NEXT) | instid1(VALU_DEP_1)
	v_mul_f32_e32 v2, v103, v2
	v_and_b32_e32 v3, 0x7f800000, v2
	s_delay_alu instid0(VALU_DEP_1) | instskip(NEXT) | instid1(VALU_DEP_1)
	v_cmp_ne_u32_e64 s0, 0x7f800000, v3
	s_and_saveexec_b32 s12, s0
	s_delay_alu instid0(SALU_CYCLE_1)
	s_xor_b32 s0, exec_lo, s12
; %bb.1418:                             ;   in Loop: Header=BB438_998 Depth=1
	v_bfe_u32 v3, v2, 16, 1
	s_delay_alu instid0(VALU_DEP_1)
	v_add3_u32 v135, v2, v3, 0x7fff
                                        ; implicit-def: $vgpr2
; %bb.1419:                             ;   in Loop: Header=BB438_998 Depth=1
	s_and_not1_saveexec_b32 s12, s0
; %bb.1420:                             ;   in Loop: Header=BB438_998 Depth=1
	v_and_b32_e32 v3, 0xffff, v2
	v_or_b32_e32 v4, 0x10000, v2
	s_delay_alu instid0(VALU_DEP_2) | instskip(NEXT) | instid1(VALU_DEP_1)
	v_cmp_eq_u32_e64 s0, 0, v3
	v_cndmask_b32_e64 v135, v4, v2, s0
; %bb.1421:                             ;   in Loop: Header=BB438_998 Depth=1
	s_or_b32 exec_lo, exec_lo, s12
	flat_load_b64 v[2:3], v[0:1] offset:768
	s_mov_b32 s12, exec_lo
	s_waitcnt vmcnt(0) lgkmcnt(0)
	v_dual_mov_b32 v4, 0 :: v_dual_and_b32 v5, 0xff, v2
	s_delay_alu instid0(VALU_DEP_1)
	v_cmpx_ne_u16_e32 0, v5
	s_cbranch_execz .LBB438_1429
; %bb.1422:                             ;   in Loop: Header=BB438_998 Depth=1
	v_bfrev_b32_e32 v4, 1
	s_mov_b32 s13, exec_lo
	v_cmpx_ne_u16_e32 0x80, v5
	s_cbranch_execz .LBB438_1428
; %bb.1423:                             ;   in Loop: Header=BB438_998 Depth=1
	v_and_b32_e32 v5, 0x7f, v2
	v_mov_b32_e32 v4, 0x7f800001
	s_mov_b32 s15, exec_lo
	s_delay_alu instid0(VALU_DEP_2)
	v_cmpx_ne_u32_e32 0x7f, v5
	s_cbranch_execz .LBB438_1427
; %bb.1424:                             ;   in Loop: Header=BB438_998 Depth=1
	v_lshrrev_b32_e32 v4, 3, v5
	v_dual_mov_b32 v7, v3 :: v_dual_mov_b32 v6, v2
	s_mov_b32 s16, exec_lo
	v_cmpx_gt_u32_e32 8, v5
; %bb.1425:                             ;   in Loop: Header=BB438_998 Depth=1
	v_and_b32_e32 v4, 7, v2
	s_delay_alu instid0(VALU_DEP_1) | instskip(NEXT) | instid1(VALU_DEP_1)
	v_clz_i32_u32_e32 v4, v4
	v_min_u32_e32 v4, 32, v4
	s_delay_alu instid0(VALU_DEP_1) | instskip(SKIP_1) | instid1(VALU_DEP_2)
	v_subrev_nc_u32_e32 v5, 28, v4
	v_sub_nc_u32_e32 v4, 29, v4
	v_lshlrev_b64 v[6:7], v5, v[2:3]
; %bb.1426:                             ;   in Loop: Header=BB438_998 Depth=1
	s_or_b32 exec_lo, exec_lo, s16
	s_delay_alu instid0(VALU_DEP_1) | instskip(SKIP_2) | instid1(VALU_DEP_3)
	v_lshlrev_b32_e32 v5, 20, v6
	v_lshlrev_b32_e32 v6, 24, v2
	v_lshl_add_u32 v4, v4, 23, 0x3c000000
	v_and_b32_e32 v5, 0x700000, v5
	s_delay_alu instid0(VALU_DEP_3) | instskip(NEXT) | instid1(VALU_DEP_1)
	v_and_b32_e32 v6, 0x80000000, v6
	v_or3_b32 v4, v5, v6, v4
.LBB438_1427:                           ;   in Loop: Header=BB438_998 Depth=1
	s_or_b32 exec_lo, exec_lo, s15
.LBB438_1428:                           ;   in Loop: Header=BB438_998 Depth=1
	s_delay_alu instid0(SALU_CYCLE_1)
	s_or_b32 exec_lo, exec_lo, s13
.LBB438_1429:                           ;   in Loop: Header=BB438_998 Depth=1
	s_delay_alu instid0(SALU_CYCLE_1) | instskip(NEXT) | instid1(VALU_DEP_1)
	s_or_b32 exec_lo, exec_lo, s12
	v_mul_f32_e32 v5, v8, v4
	s_delay_alu instid0(VALU_DEP_1) | instskip(NEXT) | instid1(VALU_DEP_1)
	v_and_b32_e32 v4, 0x7f800000, v5
	v_cmp_ne_u32_e64 s0, 0x7f800000, v4
                                        ; implicit-def: $vgpr4
	s_delay_alu instid0(VALU_DEP_1) | instskip(NEXT) | instid1(SALU_CYCLE_1)
	s_and_saveexec_b32 s12, s0
	s_xor_b32 s0, exec_lo, s12
; %bb.1430:                             ;   in Loop: Header=BB438_998 Depth=1
	v_bfe_u32 v4, v5, 16, 1
	s_delay_alu instid0(VALU_DEP_1)
	v_add3_u32 v4, v5, v4, 0x7fff
                                        ; implicit-def: $vgpr5
; %bb.1431:                             ;   in Loop: Header=BB438_998 Depth=1
	s_and_not1_saveexec_b32 s12, s0
; %bb.1432:                             ;   in Loop: Header=BB438_998 Depth=1
	v_and_b32_e32 v4, 0xffff, v5
	v_or_b32_e32 v6, 0x10000, v5
	s_delay_alu instid0(VALU_DEP_2) | instskip(NEXT) | instid1(VALU_DEP_1)
	v_cmp_eq_u32_e64 s0, 0, v4
	v_cndmask_b32_e64 v4, v6, v5, s0
; %bb.1433:                             ;   in Loop: Header=BB438_998 Depth=1
	s_or_b32 exec_lo, exec_lo, s12
	v_lshrrev_b16 v6, 8, v2
	v_mov_b32_e32 v5, 0
	s_mov_b32 s12, exec_lo
	s_delay_alu instid0(VALU_DEP_2)
	v_cmpx_ne_u16_e32 0, v6
	s_cbranch_execz .LBB438_1441
; %bb.1434:                             ;   in Loop: Header=BB438_998 Depth=1
	v_bfrev_b32_e32 v5, 1
	s_mov_b32 s13, exec_lo
	v_cmpx_ne_u16_e32 0x80, v6
	s_cbranch_execz .LBB438_1440
; %bb.1435:                             ;   in Loop: Header=BB438_998 Depth=1
	v_and_b32_e32 v7, 0xffff, v6
	v_mov_b32_e32 v5, 0x7f800001
	s_mov_b32 s15, exec_lo
	s_delay_alu instid0(VALU_DEP_2) | instskip(NEXT) | instid1(VALU_DEP_1)
	v_and_b32_e32 v6, 0x7f, v7
	v_cmpx_ne_u32_e32 0x7f, v6
	s_cbranch_execz .LBB438_1439
; %bb.1436:                             ;   in Loop: Header=BB438_998 Depth=1
	v_and_b32_e32 v9, 7, v7
	v_lshrrev_b32_e32 v5, 3, v6
	s_mov_b32 s16, exec_lo
	v_cmpx_gt_u32_e32 8, v6
; %bb.1437:                             ;   in Loop: Header=BB438_998 Depth=1
	s_delay_alu instid0(VALU_DEP_3) | instskip(NEXT) | instid1(VALU_DEP_1)
	v_clz_i32_u32_e32 v5, v9
	v_min_u32_e32 v5, 32, v5
	s_delay_alu instid0(VALU_DEP_1) | instskip(SKIP_1) | instid1(VALU_DEP_2)
	v_subrev_nc_u32_e32 v6, 28, v5
	v_sub_nc_u32_e32 v5, 29, v5
	v_lshlrev_b64 v[6:7], v6, v[9:10]
	s_delay_alu instid0(VALU_DEP_1)
	v_and_b32_e32 v9, 7, v6
; %bb.1438:                             ;   in Loop: Header=BB438_998 Depth=1
	s_or_b32 exec_lo, exec_lo, s16
	v_lshlrev_b32_e32 v6, 16, v2
	s_delay_alu instid0(VALU_DEP_2) | instskip(SKIP_1) | instid1(VALU_DEP_3)
	v_lshlrev_b32_e32 v7, 20, v9
	v_lshl_add_u32 v5, v5, 23, 0x3c000000
	v_and_b32_e32 v6, 0x80000000, v6
	s_delay_alu instid0(VALU_DEP_1)
	v_or3_b32 v5, v7, v6, v5
.LBB438_1439:                           ;   in Loop: Header=BB438_998 Depth=1
	s_or_b32 exec_lo, exec_lo, s15
.LBB438_1440:                           ;   in Loop: Header=BB438_998 Depth=1
	s_delay_alu instid0(SALU_CYCLE_1)
	s_or_b32 exec_lo, exec_lo, s13
.LBB438_1441:                           ;   in Loop: Header=BB438_998 Depth=1
	s_delay_alu instid0(SALU_CYCLE_1) | instskip(NEXT) | instid1(VALU_DEP_1)
	s_or_b32 exec_lo, exec_lo, s12
	v_mul_f32_e32 v6, v8, v5
	s_delay_alu instid0(VALU_DEP_1) | instskip(NEXT) | instid1(VALU_DEP_1)
	v_and_b32_e32 v5, 0x7f800000, v6
	v_cmp_ne_u32_e64 s0, 0x7f800000, v5
                                        ; implicit-def: $vgpr5
	s_delay_alu instid0(VALU_DEP_1) | instskip(NEXT) | instid1(SALU_CYCLE_1)
	s_and_saveexec_b32 s12, s0
	s_xor_b32 s0, exec_lo, s12
; %bb.1442:                             ;   in Loop: Header=BB438_998 Depth=1
	v_bfe_u32 v5, v6, 16, 1
	s_delay_alu instid0(VALU_DEP_1)
	v_add3_u32 v5, v6, v5, 0x7fff
                                        ; implicit-def: $vgpr6
; %bb.1443:                             ;   in Loop: Header=BB438_998 Depth=1
	s_and_not1_saveexec_b32 s12, s0
; %bb.1444:                             ;   in Loop: Header=BB438_998 Depth=1
	v_and_b32_e32 v5, 0xffff, v6
	v_or_b32_e32 v7, 0x10000, v6
	s_delay_alu instid0(VALU_DEP_2) | instskip(NEXT) | instid1(VALU_DEP_1)
	v_cmp_eq_u32_e64 s0, 0, v5
	v_cndmask_b32_e64 v5, v7, v6, s0
; %bb.1445:                             ;   in Loop: Header=BB438_998 Depth=1
	s_or_b32 exec_lo, exec_lo, s12
	v_lshrrev_b32_e32 v6, 16, v2
	v_mov_b32_e32 v7, 0
	s_mov_b32 s12, exec_lo
	s_delay_alu instid0(VALU_DEP_2) | instskip(NEXT) | instid1(VALU_DEP_1)
	v_and_b32_e32 v9, 0xff, v6
	v_cmpx_ne_u16_e32 0, v9
	s_cbranch_execz .LBB438_1453
; %bb.1446:                             ;   in Loop: Header=BB438_998 Depth=1
	v_bfrev_b32_e32 v7, 1
	s_mov_b32 s13, exec_lo
	v_cmpx_ne_u16_e32 0x80, v9
	s_cbranch_execz .LBB438_1452
; %bb.1447:                             ;   in Loop: Header=BB438_998 Depth=1
	v_bfe_u32 v37, v2, 16, 7
	v_mov_b32_e32 v7, 0x7f800001
	s_mov_b32 s15, exec_lo
	s_delay_alu instid0(VALU_DEP_2)
	v_cmpx_ne_u32_e32 0x7f, v37
	s_cbranch_execz .LBB438_1451
; %bb.1448:                             ;   in Loop: Header=BB438_998 Depth=1
	v_and_b32_e32 v9, 7, v6
	v_lshrrev_b32_e32 v7, 3, v37
	s_mov_b32 s16, exec_lo
	v_cmpx_gt_u32_e32 8, v37
; %bb.1449:                             ;   in Loop: Header=BB438_998 Depth=1
	s_delay_alu instid0(VALU_DEP_3) | instskip(NEXT) | instid1(VALU_DEP_1)
	v_clz_i32_u32_e32 v7, v9
	v_min_u32_e32 v7, 32, v7
	s_delay_alu instid0(VALU_DEP_1) | instskip(SKIP_1) | instid1(VALU_DEP_2)
	v_subrev_nc_u32_e32 v37, 28, v7
	v_sub_nc_u32_e32 v7, 29, v7
	v_lshlrev_b64 v[144:145], v37, v[9:10]
	s_delay_alu instid0(VALU_DEP_1)
	v_and_b32_e32 v9, 7, v144
; %bb.1450:                             ;   in Loop: Header=BB438_998 Depth=1
	s_or_b32 exec_lo, exec_lo, s16
	v_lshlrev_b32_e32 v6, 24, v6
	s_delay_alu instid0(VALU_DEP_2) | instskip(SKIP_1) | instid1(VALU_DEP_3)
	v_lshlrev_b32_e32 v9, 20, v9
	v_lshl_add_u32 v7, v7, 23, 0x3c000000
	v_and_b32_e32 v6, 0x80000000, v6
	s_delay_alu instid0(VALU_DEP_1)
	v_or3_b32 v7, v9, v6, v7
.LBB438_1451:                           ;   in Loop: Header=BB438_998 Depth=1
	s_or_b32 exec_lo, exec_lo, s15
.LBB438_1452:                           ;   in Loop: Header=BB438_998 Depth=1
	s_delay_alu instid0(SALU_CYCLE_1)
	s_or_b32 exec_lo, exec_lo, s13
.LBB438_1453:                           ;   in Loop: Header=BB438_998 Depth=1
	s_delay_alu instid0(SALU_CYCLE_1) | instskip(NEXT) | instid1(VALU_DEP_1)
	s_or_b32 exec_lo, exec_lo, s12
	v_mul_f32_e32 v6, v8, v7
                                        ; implicit-def: $vgpr37
	s_delay_alu instid0(VALU_DEP_1) | instskip(NEXT) | instid1(VALU_DEP_1)
	v_and_b32_e32 v7, 0x7f800000, v6
	v_cmp_ne_u32_e64 s0, 0x7f800000, v7
	s_delay_alu instid0(VALU_DEP_1) | instskip(NEXT) | instid1(SALU_CYCLE_1)
	s_and_saveexec_b32 s12, s0
	s_xor_b32 s0, exec_lo, s12
; %bb.1454:                             ;   in Loop: Header=BB438_998 Depth=1
	v_bfe_u32 v7, v6, 16, 1
	s_delay_alu instid0(VALU_DEP_1)
	v_add3_u32 v37, v6, v7, 0x7fff
                                        ; implicit-def: $vgpr6
; %bb.1455:                             ;   in Loop: Header=BB438_998 Depth=1
	s_and_not1_saveexec_b32 s12, s0
; %bb.1456:                             ;   in Loop: Header=BB438_998 Depth=1
	v_and_b32_e32 v7, 0xffff, v6
	v_or_b32_e32 v9, 0x10000, v6
	s_delay_alu instid0(VALU_DEP_2) | instskip(NEXT) | instid1(VALU_DEP_1)
	v_cmp_eq_u32_e64 s0, 0, v7
	v_cndmask_b32_e64 v37, v9, v6, s0
; %bb.1457:                             ;   in Loop: Header=BB438_998 Depth=1
	s_or_b32 exec_lo, exec_lo, s12
	v_mov_b32_e32 v7, 0
	s_mov_b32 s12, exec_lo
	v_cmpx_lt_u32_e32 0xffffff, v2
	s_cbranch_execz .LBB438_1465
; %bb.1458:                             ;   in Loop: Header=BB438_998 Depth=1
	v_lshrrev_b32_e32 v6, 24, v2
	v_bfrev_b32_e32 v7, 1
	s_mov_b32 s13, exec_lo
	s_delay_alu instid0(VALU_DEP_2)
	v_cmpx_ne_u32_e32 0x80, v6
	s_cbranch_execz .LBB438_1464
; %bb.1459:                             ;   in Loop: Header=BB438_998 Depth=1
	v_bfe_u32 v39, v2, 24, 7
	v_mov_b32_e32 v7, 0x7f800001
	s_mov_b32 s15, exec_lo
	s_delay_alu instid0(VALU_DEP_2)
	v_cmpx_ne_u32_e32 0x7f, v39
	s_cbranch_execz .LBB438_1463
; %bb.1460:                             ;   in Loop: Header=BB438_998 Depth=1
	v_and_b32_e32 v9, 7, v6
	v_lshrrev_b32_e32 v7, 3, v39
	s_mov_b32 s16, exec_lo
	v_cmpx_gt_u32_e32 8, v39
; %bb.1461:                             ;   in Loop: Header=BB438_998 Depth=1
	s_delay_alu instid0(VALU_DEP_3) | instskip(NEXT) | instid1(VALU_DEP_1)
	v_clz_i32_u32_e32 v7, v9
	v_min_u32_e32 v7, 32, v7
	s_delay_alu instid0(VALU_DEP_1) | instskip(SKIP_1) | instid1(VALU_DEP_2)
	v_subrev_nc_u32_e32 v39, 28, v7
	v_sub_nc_u32_e32 v7, 29, v7
	v_lshlrev_b64 v[144:145], v39, v[9:10]
	s_delay_alu instid0(VALU_DEP_1)
	v_and_b32_e32 v9, 7, v144
; %bb.1462:                             ;   in Loop: Header=BB438_998 Depth=1
	s_or_b32 exec_lo, exec_lo, s16
	v_lshlrev_b32_e32 v6, 24, v6
	s_delay_alu instid0(VALU_DEP_2) | instskip(SKIP_1) | instid1(VALU_DEP_3)
	v_lshlrev_b32_e32 v9, 20, v9
	v_lshl_add_u32 v7, v7, 23, 0x3c000000
	v_and_b32_e32 v6, 0x80000000, v6
	s_delay_alu instid0(VALU_DEP_1)
	v_or3_b32 v7, v9, v6, v7
.LBB438_1463:                           ;   in Loop: Header=BB438_998 Depth=1
	s_or_b32 exec_lo, exec_lo, s15
.LBB438_1464:                           ;   in Loop: Header=BB438_998 Depth=1
	s_delay_alu instid0(SALU_CYCLE_1)
	s_or_b32 exec_lo, exec_lo, s13
.LBB438_1465:                           ;   in Loop: Header=BB438_998 Depth=1
	s_delay_alu instid0(SALU_CYCLE_1) | instskip(NEXT) | instid1(VALU_DEP_1)
	s_or_b32 exec_lo, exec_lo, s12
	v_mul_f32_e32 v6, v8, v7
                                        ; implicit-def: $vgpr39
	s_delay_alu instid0(VALU_DEP_1) | instskip(NEXT) | instid1(VALU_DEP_1)
	v_and_b32_e32 v7, 0x7f800000, v6
	v_cmp_ne_u32_e64 s0, 0x7f800000, v7
	s_delay_alu instid0(VALU_DEP_1) | instskip(NEXT) | instid1(SALU_CYCLE_1)
	s_and_saveexec_b32 s12, s0
	s_xor_b32 s0, exec_lo, s12
; %bb.1466:                             ;   in Loop: Header=BB438_998 Depth=1
	v_bfe_u32 v7, v6, 16, 1
	s_delay_alu instid0(VALU_DEP_1)
	v_add3_u32 v39, v6, v7, 0x7fff
                                        ; implicit-def: $vgpr6
; %bb.1467:                             ;   in Loop: Header=BB438_998 Depth=1
	s_and_not1_saveexec_b32 s12, s0
; %bb.1468:                             ;   in Loop: Header=BB438_998 Depth=1
	v_and_b32_e32 v7, 0xffff, v6
	v_or_b32_e32 v9, 0x10000, v6
	s_delay_alu instid0(VALU_DEP_2) | instskip(NEXT) | instid1(VALU_DEP_1)
	v_cmp_eq_u32_e64 s0, 0, v7
	v_cndmask_b32_e64 v39, v9, v6, s0
; %bb.1469:                             ;   in Loop: Header=BB438_998 Depth=1
	s_or_b32 exec_lo, exec_lo, s12
	v_dual_mov_b32 v6, 0 :: v_dual_and_b32 v7, 0xff, v3
	v_mov_b32_e32 v9, v3
	s_mov_b32 s12, exec_lo
	s_delay_alu instid0(VALU_DEP_2)
	v_cmpx_ne_u16_e32 0, v7
	s_cbranch_execz .LBB438_1477
; %bb.1470:                             ;   in Loop: Header=BB438_998 Depth=1
	v_bfrev_b32_e32 v6, 1
	s_mov_b32 s13, exec_lo
	v_cmpx_ne_u16_e32 0x80, v7
	s_cbranch_execz .LBB438_1476
; %bb.1471:                             ;   in Loop: Header=BB438_998 Depth=1
	v_and_b32_e32 v7, 0x7f, v3
	v_mov_b32_e32 v6, 0x7f800001
	s_mov_b32 s15, exec_lo
	s_delay_alu instid0(VALU_DEP_2)
	v_cmpx_ne_u32_e32 0x7f, v7
	s_cbranch_execz .LBB438_1475
; %bb.1472:                             ;   in Loop: Header=BB438_998 Depth=1
	v_lshrrev_b32_e32 v48, 3, v7
	v_cmp_gt_u32_e64 s0, 8, v7
	v_dual_mov_b32 v6, v9 :: v_dual_mov_b32 v7, v10
	s_delay_alu instid0(VALU_DEP_2)
	s_and_saveexec_b32 s16, s0
; %bb.1473:                             ;   in Loop: Header=BB438_998 Depth=1
	v_and_b32_e32 v6, 7, v3
	s_delay_alu instid0(VALU_DEP_1) | instskip(NEXT) | instid1(VALU_DEP_1)
	v_clz_i32_u32_e32 v6, v6
	v_min_u32_e32 v48, 32, v6
	s_delay_alu instid0(VALU_DEP_1) | instskip(SKIP_1) | instid1(VALU_DEP_2)
	v_subrev_nc_u32_e32 v6, 28, v48
	v_sub_nc_u32_e32 v48, 29, v48
	v_lshlrev_b64 v[6:7], v6, v[9:10]
; %bb.1474:                             ;   in Loop: Header=BB438_998 Depth=1
	s_or_b32 exec_lo, exec_lo, s16
	s_delay_alu instid0(VALU_DEP_1) | instskip(SKIP_2) | instid1(VALU_DEP_3)
	v_lshlrev_b32_e32 v6, 20, v6
	v_lshlrev_b32_e32 v7, 24, v9
	v_lshl_add_u32 v48, v48, 23, 0x3c000000
	v_and_b32_e32 v6, 0x700000, v6
	s_delay_alu instid0(VALU_DEP_3) | instskip(NEXT) | instid1(VALU_DEP_1)
	v_and_b32_e32 v7, 0x80000000, v7
	v_or3_b32 v6, v6, v7, v48
.LBB438_1475:                           ;   in Loop: Header=BB438_998 Depth=1
	s_or_b32 exec_lo, exec_lo, s15
.LBB438_1476:                           ;   in Loop: Header=BB438_998 Depth=1
	s_delay_alu instid0(SALU_CYCLE_1)
	s_or_b32 exec_lo, exec_lo, s13
.LBB438_1477:                           ;   in Loop: Header=BB438_998 Depth=1
	s_delay_alu instid0(SALU_CYCLE_1) | instskip(NEXT) | instid1(VALU_DEP_1)
	s_or_b32 exec_lo, exec_lo, s12
	v_mul_f32_e32 v6, v8, v6
                                        ; implicit-def: $vgpr48
	s_delay_alu instid0(VALU_DEP_1) | instskip(NEXT) | instid1(VALU_DEP_1)
	v_and_b32_e32 v7, 0x7f800000, v6
	v_cmp_ne_u32_e64 s0, 0x7f800000, v7
	s_delay_alu instid0(VALU_DEP_1) | instskip(NEXT) | instid1(SALU_CYCLE_1)
	s_and_saveexec_b32 s12, s0
	s_xor_b32 s0, exec_lo, s12
; %bb.1478:                             ;   in Loop: Header=BB438_998 Depth=1
	v_bfe_u32 v7, v6, 16, 1
	s_delay_alu instid0(VALU_DEP_1)
	v_add3_u32 v48, v6, v7, 0x7fff
                                        ; implicit-def: $vgpr6
; %bb.1479:                             ;   in Loop: Header=BB438_998 Depth=1
	s_and_not1_saveexec_b32 s12, s0
; %bb.1480:                             ;   in Loop: Header=BB438_998 Depth=1
	v_and_b32_e32 v7, 0xffff, v6
	v_or_b32_e32 v48, 0x10000, v6
	s_delay_alu instid0(VALU_DEP_2) | instskip(NEXT) | instid1(VALU_DEP_1)
	v_cmp_eq_u32_e64 s0, 0, v7
	v_cndmask_b32_e64 v48, v48, v6, s0
; %bb.1481:                             ;   in Loop: Header=BB438_998 Depth=1
	s_or_b32 exec_lo, exec_lo, s12
	v_lshrrev_b16 v7, 8, v9
	v_mov_b32_e32 v6, 0
	s_mov_b32 s12, exec_lo
	s_delay_alu instid0(VALU_DEP_2)
	v_cmpx_ne_u16_e32 0, v7
	s_cbranch_execz .LBB438_1489
; %bb.1482:                             ;   in Loop: Header=BB438_998 Depth=1
	v_bfrev_b32_e32 v6, 1
	s_mov_b32 s13, exec_lo
	v_cmpx_ne_u16_e32 0x80, v7
	s_cbranch_execz .LBB438_1488
; %bb.1483:                             ;   in Loop: Header=BB438_998 Depth=1
	v_and_b32_e32 v7, 0xffff, v7
	v_mov_b32_e32 v6, 0x7f800001
	s_mov_b32 s15, exec_lo
	s_delay_alu instid0(VALU_DEP_2) | instskip(NEXT) | instid1(VALU_DEP_1)
	v_and_b32_e32 v145, 0x7f, v7
	v_cmpx_ne_u32_e32 0x7f, v145
	s_cbranch_execz .LBB438_1487
; %bb.1484:                             ;   in Loop: Header=BB438_998 Depth=1
	v_dual_mov_b32 v7, v10 :: v_dual_and_b32 v6, 7, v7
	v_lshrrev_b32_e32 v144, 3, v145
	s_mov_b32 s16, exec_lo
	v_cmpx_gt_u32_e32 8, v145
; %bb.1485:                             ;   in Loop: Header=BB438_998 Depth=1
	s_delay_alu instid0(VALU_DEP_3) | instskip(NEXT) | instid1(VALU_DEP_1)
	v_clz_i32_u32_e32 v144, v6
	v_min_u32_e32 v144, 32, v144
	s_delay_alu instid0(VALU_DEP_1) | instskip(SKIP_1) | instid1(VALU_DEP_2)
	v_subrev_nc_u32_e32 v145, 28, v144
	v_sub_nc_u32_e32 v144, 29, v144
	v_lshlrev_b64 v[6:7], v145, v[6:7]
	s_delay_alu instid0(VALU_DEP_1)
	v_and_b32_e32 v6, 7, v6
; %bb.1486:                             ;   in Loop: Header=BB438_998 Depth=1
	s_or_b32 exec_lo, exec_lo, s16
	v_lshlrev_b32_e32 v7, 16, v9
	s_delay_alu instid0(VALU_DEP_2) | instskip(SKIP_1) | instid1(VALU_DEP_3)
	v_lshlrev_b32_e32 v6, 20, v6
	v_lshl_add_u32 v9, v144, 23, 0x3c000000
	v_and_b32_e32 v7, 0x80000000, v7
	s_delay_alu instid0(VALU_DEP_1)
	v_or3_b32 v6, v6, v7, v9
.LBB438_1487:                           ;   in Loop: Header=BB438_998 Depth=1
	s_or_b32 exec_lo, exec_lo, s15
.LBB438_1488:                           ;   in Loop: Header=BB438_998 Depth=1
	s_delay_alu instid0(SALU_CYCLE_1)
	s_or_b32 exec_lo, exec_lo, s13
.LBB438_1489:                           ;   in Loop: Header=BB438_998 Depth=1
	s_delay_alu instid0(SALU_CYCLE_1) | instskip(NEXT) | instid1(VALU_DEP_1)
	s_or_b32 exec_lo, exec_lo, s12
	v_mul_f32_e32 v7, v8, v6
	s_delay_alu instid0(VALU_DEP_1) | instskip(NEXT) | instid1(VALU_DEP_1)
	v_and_b32_e32 v6, 0x7f800000, v7
	v_cmp_ne_u32_e64 s0, 0x7f800000, v6
                                        ; implicit-def: $vgpr6
	s_delay_alu instid0(VALU_DEP_1) | instskip(NEXT) | instid1(SALU_CYCLE_1)
	s_and_saveexec_b32 s12, s0
	s_xor_b32 s0, exec_lo, s12
; %bb.1490:                             ;   in Loop: Header=BB438_998 Depth=1
	v_bfe_u32 v6, v7, 16, 1
	s_delay_alu instid0(VALU_DEP_1)
	v_add3_u32 v6, v7, v6, 0x7fff
                                        ; implicit-def: $vgpr7
; %bb.1491:                             ;   in Loop: Header=BB438_998 Depth=1
	s_and_not1_saveexec_b32 s12, s0
; %bb.1492:                             ;   in Loop: Header=BB438_998 Depth=1
	v_and_b32_e32 v6, 0xffff, v7
	v_or_b32_e32 v9, 0x10000, v7
	s_delay_alu instid0(VALU_DEP_2) | instskip(NEXT) | instid1(VALU_DEP_1)
	v_cmp_eq_u32_e64 s0, 0, v6
	v_cndmask_b32_e64 v6, v9, v7, s0
; %bb.1493:                             ;   in Loop: Header=BB438_998 Depth=1
	s_or_b32 exec_lo, exec_lo, s12
	v_lshrrev_b32_e32 v7, 16, v3
	s_mov_b32 s12, exec_lo
	s_delay_alu instid0(VALU_DEP_1) | instskip(NEXT) | instid1(VALU_DEP_1)
	v_dual_mov_b32 v9, 0 :: v_dual_and_b32 v144, 0xff, v7
	v_cmpx_ne_u16_e64 0, v144
	s_cbranch_execz .LBB438_1501
; %bb.1494:                             ;   in Loop: Header=BB438_998 Depth=1
	v_bfrev_b32_e32 v9, 1
	s_mov_b32 s13, exec_lo
	v_cmpx_ne_u16_e64 0x80, v144
	s_cbranch_execz .LBB438_1500
; %bb.1495:                             ;   in Loop: Header=BB438_998 Depth=1
	v_bfe_u32 v145, v3, 16, 7
	v_mov_b32_e32 v9, 0x7f800001
	s_mov_b32 s15, exec_lo
	s_delay_alu instid0(VALU_DEP_2)
	v_cmpx_ne_u32_e32 0x7f, v145
	s_cbranch_execz .LBB438_1499
; %bb.1496:                             ;   in Loop: Header=BB438_998 Depth=1
	v_and_b32_e32 v9, 7, v7
	v_lshrrev_b32_e32 v144, 3, v145
	s_mov_b32 s16, exec_lo
	v_cmpx_gt_u32_e32 8, v145
; %bb.1497:                             ;   in Loop: Header=BB438_998 Depth=1
	s_delay_alu instid0(VALU_DEP_3) | instskip(NEXT) | instid1(VALU_DEP_1)
	v_clz_i32_u32_e32 v144, v9
	v_min_u32_e32 v144, 32, v144
	s_delay_alu instid0(VALU_DEP_1) | instskip(SKIP_1) | instid1(VALU_DEP_2)
	v_subrev_nc_u32_e32 v145, 28, v144
	v_sub_nc_u32_e32 v144, 29, v144
	v_lshlrev_b64 v[145:146], v145, v[9:10]
	s_delay_alu instid0(VALU_DEP_1)
	v_and_b32_e32 v9, 7, v145
; %bb.1498:                             ;   in Loop: Header=BB438_998 Depth=1
	s_or_b32 exec_lo, exec_lo, s16
	v_lshlrev_b32_e32 v7, 24, v7
	s_delay_alu instid0(VALU_DEP_2) | instskip(SKIP_1) | instid1(VALU_DEP_3)
	v_lshlrev_b32_e32 v9, 20, v9
	v_lshl_add_u32 v144, v144, 23, 0x3c000000
	v_and_b32_e32 v7, 0x80000000, v7
	s_delay_alu instid0(VALU_DEP_1)
	v_or3_b32 v9, v9, v7, v144
.LBB438_1499:                           ;   in Loop: Header=BB438_998 Depth=1
	s_or_b32 exec_lo, exec_lo, s15
.LBB438_1500:                           ;   in Loop: Header=BB438_998 Depth=1
	s_delay_alu instid0(SALU_CYCLE_1)
	s_or_b32 exec_lo, exec_lo, s13
.LBB438_1501:                           ;   in Loop: Header=BB438_998 Depth=1
	s_delay_alu instid0(SALU_CYCLE_1) | instskip(NEXT) | instid1(VALU_DEP_1)
	s_or_b32 exec_lo, exec_lo, s12
	v_mul_f32_e32 v7, v8, v9
                                        ; implicit-def: $vgpr144
	s_delay_alu instid0(VALU_DEP_1) | instskip(NEXT) | instid1(VALU_DEP_1)
	v_and_b32_e32 v9, 0x7f800000, v7
	v_cmp_ne_u32_e64 s0, 0x7f800000, v9
	s_delay_alu instid0(VALU_DEP_1) | instskip(NEXT) | instid1(SALU_CYCLE_1)
	s_and_saveexec_b32 s12, s0
	s_xor_b32 s0, exec_lo, s12
; %bb.1502:                             ;   in Loop: Header=BB438_998 Depth=1
	v_bfe_u32 v9, v7, 16, 1
	s_delay_alu instid0(VALU_DEP_1)
	v_add3_u32 v144, v7, v9, 0x7fff
                                        ; implicit-def: $vgpr7
; %bb.1503:                             ;   in Loop: Header=BB438_998 Depth=1
	s_and_not1_saveexec_b32 s12, s0
; %bb.1504:                             ;   in Loop: Header=BB438_998 Depth=1
	v_and_b32_e32 v9, 0xffff, v7
	v_or_b32_e32 v144, 0x10000, v7
	s_delay_alu instid0(VALU_DEP_2) | instskip(NEXT) | instid1(VALU_DEP_1)
	v_cmp_eq_u32_e64 s0, 0, v9
	v_cndmask_b32_e64 v144, v144, v7, s0
; %bb.1505:                             ;   in Loop: Header=BB438_998 Depth=1
	s_or_b32 exec_lo, exec_lo, s12
	v_mov_b32_e32 v7, 0
	s_mov_b32 s12, exec_lo
	v_cmpx_lt_u64_e64 s[8:9], v[2:3]
	s_cbranch_execz .LBB438_1513
; %bb.1506:                             ;   in Loop: Header=BB438_998 Depth=1
	v_lshrrev_b32_e32 v2, 24, v3
	v_bfrev_b32_e32 v7, 1
	s_mov_b32 s13, exec_lo
	s_delay_alu instid0(VALU_DEP_2)
	v_cmpx_ne_u32_e32 0x80, v2
	s_cbranch_execz .LBB438_1512
; %bb.1507:                             ;   in Loop: Header=BB438_998 Depth=1
	v_bfe_u32 v145, v3, 24, 7
	v_mov_b32_e32 v7, 0x7f800001
	s_mov_b32 s15, exec_lo
	s_delay_alu instid0(VALU_DEP_2)
	v_cmpx_ne_u32_e32 0x7f, v145
	s_cbranch_execz .LBB438_1511
; %bb.1508:                             ;   in Loop: Header=BB438_998 Depth=1
	v_and_b32_e32 v9, 7, v2
	v_lshrrev_b32_e32 v3, 3, v145
	s_mov_b32 s16, exec_lo
	v_cmpx_gt_u32_e32 8, v145
; %bb.1509:                             ;   in Loop: Header=BB438_998 Depth=1
	s_delay_alu instid0(VALU_DEP_3) | instskip(NEXT) | instid1(VALU_DEP_1)
	v_clz_i32_u32_e32 v3, v9
	v_min_u32_e32 v3, 32, v3
	s_delay_alu instid0(VALU_DEP_1) | instskip(SKIP_1) | instid1(VALU_DEP_2)
	v_subrev_nc_u32_e32 v7, 28, v3
	v_sub_nc_u32_e32 v3, 29, v3
	v_lshlrev_b64 v[145:146], v7, v[9:10]
	s_delay_alu instid0(VALU_DEP_1)
	v_and_b32_e32 v9, 7, v145
; %bb.1510:                             ;   in Loop: Header=BB438_998 Depth=1
	s_or_b32 exec_lo, exec_lo, s16
	v_lshlrev_b32_e32 v2, 24, v2
	s_delay_alu instid0(VALU_DEP_2) | instskip(SKIP_1) | instid1(VALU_DEP_3)
	v_lshlrev_b32_e32 v7, 20, v9
	v_lshl_add_u32 v3, v3, 23, 0x3c000000
	v_and_b32_e32 v2, 0x80000000, v2
	s_delay_alu instid0(VALU_DEP_1)
	v_or3_b32 v7, v7, v2, v3
.LBB438_1511:                           ;   in Loop: Header=BB438_998 Depth=1
	s_or_b32 exec_lo, exec_lo, s15
.LBB438_1512:                           ;   in Loop: Header=BB438_998 Depth=1
	s_delay_alu instid0(SALU_CYCLE_1)
	s_or_b32 exec_lo, exec_lo, s13
.LBB438_1513:                           ;   in Loop: Header=BB438_998 Depth=1
	s_delay_alu instid0(SALU_CYCLE_1) | instskip(NEXT) | instid1(VALU_DEP_1)
	s_or_b32 exec_lo, exec_lo, s12
	v_mul_f32_e32 v3, v8, v7
	s_delay_alu instid0(VALU_DEP_1) | instskip(NEXT) | instid1(VALU_DEP_1)
	v_and_b32_e32 v2, 0x7f800000, v3
	v_cmp_ne_u32_e64 s0, 0x7f800000, v2
                                        ; implicit-def: $vgpr2
	s_delay_alu instid0(VALU_DEP_1) | instskip(NEXT) | instid1(SALU_CYCLE_1)
	s_and_saveexec_b32 s12, s0
	s_xor_b32 s0, exec_lo, s12
; %bb.1514:                             ;   in Loop: Header=BB438_998 Depth=1
	v_bfe_u32 v2, v3, 16, 1
	s_delay_alu instid0(VALU_DEP_1)
	v_add3_u32 v2, v3, v2, 0x7fff
                                        ; implicit-def: $vgpr3
; %bb.1515:                             ;   in Loop: Header=BB438_998 Depth=1
	s_and_not1_saveexec_b32 s12, s0
; %bb.1516:                             ;   in Loop: Header=BB438_998 Depth=1
	v_and_b32_e32 v2, 0xffff, v3
	v_or_b32_e32 v7, 0x10000, v3
	s_delay_alu instid0(VALU_DEP_2) | instskip(NEXT) | instid1(VALU_DEP_1)
	v_cmp_eq_u32_e64 s0, 0, v2
	v_cndmask_b32_e64 v2, v7, v3, s0
; %bb.1517:                             ;   in Loop: Header=BB438_998 Depth=1
	s_or_b32 exec_lo, exec_lo, s12
	v_lshrrev_b32_e32 v6, 16, v6
	v_lshrrev_b32_e32 v7, 16, v48
	;; [unrolled: 1-line block ×8, first 2 shown]
	s_and_saveexec_b32 s12, vcc_lo
	s_cbranch_execz .LBB438_1519
; %bb.1518:                             ;   in Loop: Header=BB438_998 Depth=1
	v_cmp_lt_i32_e64 s0, v80, v38
	s_delay_alu instid0(VALU_DEP_1) | instskip(SKIP_1) | instid1(VALU_DEP_1)
	v_cndmask_b32_e64 v4, 0, v4, s0
	v_cmp_lt_i32_e64 s0, v87, v38
	v_cndmask_b32_e64 v5, 0, v5, s0
	v_cmp_lt_i32_e64 s0, v86, v38
	s_delay_alu instid0(VALU_DEP_1) | instskip(SKIP_1) | instid1(VALU_DEP_1)
	v_cndmask_b32_e64 v37, 0, v37, s0
	v_cmp_lt_i32_e64 s0, v85, v38
	v_cndmask_b32_e64 v9, 0, v9, s0
	;; [unrolled: 5-line block ×4, first 2 shown]
.LBB438_1519:                           ;   in Loop: Header=BB438_998 Depth=1
	s_or_b32 exec_lo, exec_lo, s12
	v_lshlrev_b32_e32 v4, 16, v4
                                        ; implicit-def: $vgpr144
	s_delay_alu instid0(VALU_DEP_1) | instskip(NEXT) | instid1(VALU_DEP_1)
	v_mul_f32_e32 v4, v96, v4
	v_and_b32_e32 v39, 0x7f800000, v4
	s_delay_alu instid0(VALU_DEP_1) | instskip(NEXT) | instid1(VALU_DEP_1)
	v_cmp_ne_u32_e64 s0, 0x7f800000, v39
	s_and_saveexec_b32 s12, s0
	s_delay_alu instid0(SALU_CYCLE_1)
	s_xor_b32 s0, exec_lo, s12
; %bb.1520:                             ;   in Loop: Header=BB438_998 Depth=1
	v_bfe_u32 v39, v4, 16, 1
	s_delay_alu instid0(VALU_DEP_1)
	v_add3_u32 v144, v4, v39, 0x7fff
                                        ; implicit-def: $vgpr4
; %bb.1521:                             ;   in Loop: Header=BB438_998 Depth=1
	s_and_not1_saveexec_b32 s12, s0
; %bb.1522:                             ;   in Loop: Header=BB438_998 Depth=1
	v_and_b32_e32 v39, 0xffff, v4
	v_or_b32_e32 v48, 0x10000, v4
	s_delay_alu instid0(VALU_DEP_2) | instskip(NEXT) | instid1(VALU_DEP_1)
	v_cmp_eq_u32_e64 s0, 0, v39
	v_cndmask_b32_e64 v144, v48, v4, s0
; %bb.1523:                             ;   in Loop: Header=BB438_998 Depth=1
	s_or_b32 exec_lo, exec_lo, s12
	v_lshlrev_b32_e32 v4, 16, v5
                                        ; implicit-def: $vgpr145
	s_delay_alu instid0(VALU_DEP_1) | instskip(NEXT) | instid1(VALU_DEP_1)
	v_mul_f32_e32 v4, v97, v4
	v_and_b32_e32 v5, 0x7f800000, v4
	s_delay_alu instid0(VALU_DEP_1) | instskip(NEXT) | instid1(VALU_DEP_1)
	v_cmp_ne_u32_e64 s0, 0x7f800000, v5
	s_and_saveexec_b32 s12, s0
	s_delay_alu instid0(SALU_CYCLE_1)
	s_xor_b32 s0, exec_lo, s12
; %bb.1524:                             ;   in Loop: Header=BB438_998 Depth=1
	v_bfe_u32 v5, v4, 16, 1
	s_delay_alu instid0(VALU_DEP_1)
	v_add3_u32 v145, v4, v5, 0x7fff
                                        ; implicit-def: $vgpr4
; %bb.1525:                             ;   in Loop: Header=BB438_998 Depth=1
	s_and_not1_saveexec_b32 s12, s0
; %bb.1526:                             ;   in Loop: Header=BB438_998 Depth=1
	v_and_b32_e32 v5, 0xffff, v4
	v_or_b32_e32 v39, 0x10000, v4
	s_delay_alu instid0(VALU_DEP_2) | instskip(NEXT) | instid1(VALU_DEP_1)
	v_cmp_eq_u32_e64 s0, 0, v5
	v_cndmask_b32_e64 v145, v39, v4, s0
; %bb.1527:                             ;   in Loop: Header=BB438_998 Depth=1
	s_or_b32 exec_lo, exec_lo, s12
	v_lshlrev_b32_e32 v4, 16, v37
                                        ; implicit-def: $vgpr146
	s_delay_alu instid0(VALU_DEP_1) | instskip(NEXT) | instid1(VALU_DEP_1)
	v_mul_f32_e32 v4, v98, v4
	v_and_b32_e32 v5, 0x7f800000, v4
	s_delay_alu instid0(VALU_DEP_1) | instskip(NEXT) | instid1(VALU_DEP_1)
	v_cmp_ne_u32_e64 s0, 0x7f800000, v5
	s_and_saveexec_b32 s12, s0
	s_delay_alu instid0(SALU_CYCLE_1)
	s_xor_b32 s0, exec_lo, s12
; %bb.1528:                             ;   in Loop: Header=BB438_998 Depth=1
	v_bfe_u32 v5, v4, 16, 1
	s_delay_alu instid0(VALU_DEP_1)
	v_add3_u32 v146, v4, v5, 0x7fff
                                        ; implicit-def: $vgpr4
; %bb.1529:                             ;   in Loop: Header=BB438_998 Depth=1
	s_and_not1_saveexec_b32 s12, s0
; %bb.1530:                             ;   in Loop: Header=BB438_998 Depth=1
	v_and_b32_e32 v5, 0xffff, v4
	v_or_b32_e32 v37, 0x10000, v4
	s_delay_alu instid0(VALU_DEP_2) | instskip(NEXT) | instid1(VALU_DEP_1)
	v_cmp_eq_u32_e64 s0, 0, v5
	v_cndmask_b32_e64 v146, v37, v4, s0
; %bb.1531:                             ;   in Loop: Header=BB438_998 Depth=1
	s_or_b32 exec_lo, exec_lo, s12
	v_lshlrev_b32_e32 v4, 16, v9
                                        ; implicit-def: $vgpr147
	s_delay_alu instid0(VALU_DEP_1) | instskip(NEXT) | instid1(VALU_DEP_1)
	v_mul_f32_e32 v4, v99, v4
	v_and_b32_e32 v5, 0x7f800000, v4
	s_delay_alu instid0(VALU_DEP_1) | instskip(NEXT) | instid1(VALU_DEP_1)
	v_cmp_ne_u32_e64 s0, 0x7f800000, v5
	s_and_saveexec_b32 s12, s0
	s_delay_alu instid0(SALU_CYCLE_1)
	s_xor_b32 s0, exec_lo, s12
; %bb.1532:                             ;   in Loop: Header=BB438_998 Depth=1
	v_bfe_u32 v5, v4, 16, 1
	s_delay_alu instid0(VALU_DEP_1)
	v_add3_u32 v147, v4, v5, 0x7fff
                                        ; implicit-def: $vgpr4
; %bb.1533:                             ;   in Loop: Header=BB438_998 Depth=1
	s_and_not1_saveexec_b32 s12, s0
; %bb.1534:                             ;   in Loop: Header=BB438_998 Depth=1
	v_and_b32_e32 v5, 0xffff, v4
	v_or_b32_e32 v9, 0x10000, v4
	s_delay_alu instid0(VALU_DEP_2) | instskip(NEXT) | instid1(VALU_DEP_1)
	v_cmp_eq_u32_e64 s0, 0, v5
	v_cndmask_b32_e64 v147, v9, v4, s0
; %bb.1535:                             ;   in Loop: Header=BB438_998 Depth=1
	s_or_b32 exec_lo, exec_lo, s12
	v_lshlrev_b32_e32 v4, 16, v7
                                        ; implicit-def: $vgpr148
	s_delay_alu instid0(VALU_DEP_1) | instskip(NEXT) | instid1(VALU_DEP_1)
	v_mul_f32_e32 v4, v100, v4
	v_and_b32_e32 v5, 0x7f800000, v4
	s_delay_alu instid0(VALU_DEP_1) | instskip(NEXT) | instid1(VALU_DEP_1)
	v_cmp_ne_u32_e64 s0, 0x7f800000, v5
	s_and_saveexec_b32 s12, s0
	s_delay_alu instid0(SALU_CYCLE_1)
	s_xor_b32 s0, exec_lo, s12
; %bb.1536:                             ;   in Loop: Header=BB438_998 Depth=1
	v_bfe_u32 v5, v4, 16, 1
	s_delay_alu instid0(VALU_DEP_1)
	v_add3_u32 v148, v4, v5, 0x7fff
                                        ; implicit-def: $vgpr4
; %bb.1537:                             ;   in Loop: Header=BB438_998 Depth=1
	s_and_not1_saveexec_b32 s12, s0
; %bb.1538:                             ;   in Loop: Header=BB438_998 Depth=1
	v_and_b32_e32 v5, 0xffff, v4
	v_or_b32_e32 v7, 0x10000, v4
	s_delay_alu instid0(VALU_DEP_2) | instskip(NEXT) | instid1(VALU_DEP_1)
	v_cmp_eq_u32_e64 s0, 0, v5
	v_cndmask_b32_e64 v148, v7, v4, s0
; %bb.1539:                             ;   in Loop: Header=BB438_998 Depth=1
	s_or_b32 exec_lo, exec_lo, s12
	v_lshlrev_b32_e32 v4, 16, v6
                                        ; implicit-def: $vgpr149
	s_delay_alu instid0(VALU_DEP_1) | instskip(NEXT) | instid1(VALU_DEP_1)
	v_mul_f32_e32 v4, v101, v4
	v_and_b32_e32 v5, 0x7f800000, v4
	s_delay_alu instid0(VALU_DEP_1) | instskip(NEXT) | instid1(VALU_DEP_1)
	v_cmp_ne_u32_e64 s0, 0x7f800000, v5
	s_and_saveexec_b32 s12, s0
	s_delay_alu instid0(SALU_CYCLE_1)
	s_xor_b32 s0, exec_lo, s12
; %bb.1540:                             ;   in Loop: Header=BB438_998 Depth=1
	v_bfe_u32 v5, v4, 16, 1
	s_delay_alu instid0(VALU_DEP_1)
	v_add3_u32 v149, v4, v5, 0x7fff
                                        ; implicit-def: $vgpr4
; %bb.1541:                             ;   in Loop: Header=BB438_998 Depth=1
	s_and_not1_saveexec_b32 s12, s0
; %bb.1542:                             ;   in Loop: Header=BB438_998 Depth=1
	v_and_b32_e32 v5, 0xffff, v4
	v_or_b32_e32 v6, 0x10000, v4
	s_delay_alu instid0(VALU_DEP_2) | instskip(NEXT) | instid1(VALU_DEP_1)
	v_cmp_eq_u32_e64 s0, 0, v5
	v_cndmask_b32_e64 v149, v6, v4, s0
; %bb.1543:                             ;   in Loop: Header=BB438_998 Depth=1
	s_or_b32 exec_lo, exec_lo, s12
	v_lshlrev_b32_e32 v3, 16, v3
                                        ; implicit-def: $vgpr150
	s_delay_alu instid0(VALU_DEP_1) | instskip(NEXT) | instid1(VALU_DEP_1)
	v_mul_f32_e32 v3, v102, v3
	v_and_b32_e32 v4, 0x7f800000, v3
	s_delay_alu instid0(VALU_DEP_1) | instskip(NEXT) | instid1(VALU_DEP_1)
	v_cmp_ne_u32_e64 s0, 0x7f800000, v4
	s_and_saveexec_b32 s12, s0
	s_delay_alu instid0(SALU_CYCLE_1)
	s_xor_b32 s0, exec_lo, s12
; %bb.1544:                             ;   in Loop: Header=BB438_998 Depth=1
	v_bfe_u32 v4, v3, 16, 1
	s_delay_alu instid0(VALU_DEP_1)
	v_add3_u32 v150, v3, v4, 0x7fff
                                        ; implicit-def: $vgpr3
; %bb.1545:                             ;   in Loop: Header=BB438_998 Depth=1
	s_and_not1_saveexec_b32 s12, s0
; %bb.1546:                             ;   in Loop: Header=BB438_998 Depth=1
	v_and_b32_e32 v4, 0xffff, v3
	v_or_b32_e32 v5, 0x10000, v3
	s_delay_alu instid0(VALU_DEP_2) | instskip(NEXT) | instid1(VALU_DEP_1)
	v_cmp_eq_u32_e64 s0, 0, v4
	v_cndmask_b32_e64 v150, v5, v3, s0
; %bb.1547:                             ;   in Loop: Header=BB438_998 Depth=1
	s_or_b32 exec_lo, exec_lo, s12
	v_lshlrev_b32_e32 v2, 16, v2
                                        ; implicit-def: $vgpr151
	s_delay_alu instid0(VALU_DEP_1) | instskip(NEXT) | instid1(VALU_DEP_1)
	v_mul_f32_e32 v2, v103, v2
	v_and_b32_e32 v3, 0x7f800000, v2
	s_delay_alu instid0(VALU_DEP_1) | instskip(NEXT) | instid1(VALU_DEP_1)
	v_cmp_ne_u32_e64 s0, 0x7f800000, v3
	s_and_saveexec_b32 s12, s0
	s_delay_alu instid0(SALU_CYCLE_1)
	s_xor_b32 s0, exec_lo, s12
; %bb.1548:                             ;   in Loop: Header=BB438_998 Depth=1
	v_bfe_u32 v3, v2, 16, 1
	s_delay_alu instid0(VALU_DEP_1)
	v_add3_u32 v151, v2, v3, 0x7fff
                                        ; implicit-def: $vgpr2
; %bb.1549:                             ;   in Loop: Header=BB438_998 Depth=1
	s_and_not1_saveexec_b32 s12, s0
; %bb.1550:                             ;   in Loop: Header=BB438_998 Depth=1
	v_and_b32_e32 v3, 0xffff, v2
	v_or_b32_e32 v4, 0x10000, v2
	s_delay_alu instid0(VALU_DEP_2) | instskip(NEXT) | instid1(VALU_DEP_1)
	v_cmp_eq_u32_e64 s0, 0, v3
	v_cndmask_b32_e64 v151, v4, v2, s0
; %bb.1551:                             ;   in Loop: Header=BB438_998 Depth=1
	s_or_b32 exec_lo, exec_lo, s12
	flat_load_b64 v[2:3], v[0:1] offset:1024
	s_mov_b32 s12, exec_lo
	s_waitcnt vmcnt(0) lgkmcnt(0)
	v_dual_mov_b32 v4, 0 :: v_dual_and_b32 v5, 0xff, v2
	s_delay_alu instid0(VALU_DEP_1)
	v_cmpx_ne_u16_e32 0, v5
	s_cbranch_execz .LBB438_1559
; %bb.1552:                             ;   in Loop: Header=BB438_998 Depth=1
	v_bfrev_b32_e32 v4, 1
	s_mov_b32 s13, exec_lo
	v_cmpx_ne_u16_e32 0x80, v5
	s_cbranch_execz .LBB438_1558
; %bb.1553:                             ;   in Loop: Header=BB438_998 Depth=1
	v_and_b32_e32 v5, 0x7f, v2
	v_mov_b32_e32 v4, 0x7f800001
	s_mov_b32 s15, exec_lo
	s_delay_alu instid0(VALU_DEP_2)
	v_cmpx_ne_u32_e32 0x7f, v5
	s_cbranch_execz .LBB438_1557
; %bb.1554:                             ;   in Loop: Header=BB438_998 Depth=1
	v_lshrrev_b32_e32 v4, 3, v5
	v_dual_mov_b32 v7, v3 :: v_dual_mov_b32 v6, v2
	s_mov_b32 s16, exec_lo
	v_cmpx_gt_u32_e32 8, v5
; %bb.1555:                             ;   in Loop: Header=BB438_998 Depth=1
	v_and_b32_e32 v4, 7, v2
	s_delay_alu instid0(VALU_DEP_1) | instskip(NEXT) | instid1(VALU_DEP_1)
	v_clz_i32_u32_e32 v4, v4
	v_min_u32_e32 v4, 32, v4
	s_delay_alu instid0(VALU_DEP_1) | instskip(SKIP_1) | instid1(VALU_DEP_2)
	v_subrev_nc_u32_e32 v5, 28, v4
	v_sub_nc_u32_e32 v4, 29, v4
	v_lshlrev_b64 v[6:7], v5, v[2:3]
; %bb.1556:                             ;   in Loop: Header=BB438_998 Depth=1
	s_or_b32 exec_lo, exec_lo, s16
	s_delay_alu instid0(VALU_DEP_1) | instskip(SKIP_2) | instid1(VALU_DEP_3)
	v_lshlrev_b32_e32 v5, 20, v6
	v_lshlrev_b32_e32 v6, 24, v2
	v_lshl_add_u32 v4, v4, 23, 0x3c000000
	v_and_b32_e32 v5, 0x700000, v5
	s_delay_alu instid0(VALU_DEP_3) | instskip(NEXT) | instid1(VALU_DEP_1)
	v_and_b32_e32 v6, 0x80000000, v6
	v_or3_b32 v4, v5, v6, v4
.LBB438_1557:                           ;   in Loop: Header=BB438_998 Depth=1
	s_or_b32 exec_lo, exec_lo, s15
.LBB438_1558:                           ;   in Loop: Header=BB438_998 Depth=1
	s_delay_alu instid0(SALU_CYCLE_1)
	s_or_b32 exec_lo, exec_lo, s13
.LBB438_1559:                           ;   in Loop: Header=BB438_998 Depth=1
	s_delay_alu instid0(SALU_CYCLE_1) | instskip(NEXT) | instid1(VALU_DEP_1)
	s_or_b32 exec_lo, exec_lo, s12
	v_mul_f32_e32 v5, v8, v4
	s_delay_alu instid0(VALU_DEP_1) | instskip(NEXT) | instid1(VALU_DEP_1)
	v_and_b32_e32 v4, 0x7f800000, v5
	v_cmp_ne_u32_e64 s0, 0x7f800000, v4
                                        ; implicit-def: $vgpr4
	s_delay_alu instid0(VALU_DEP_1) | instskip(NEXT) | instid1(SALU_CYCLE_1)
	s_and_saveexec_b32 s12, s0
	s_xor_b32 s0, exec_lo, s12
; %bb.1560:                             ;   in Loop: Header=BB438_998 Depth=1
	v_bfe_u32 v4, v5, 16, 1
	s_delay_alu instid0(VALU_DEP_1)
	v_add3_u32 v4, v5, v4, 0x7fff
                                        ; implicit-def: $vgpr5
; %bb.1561:                             ;   in Loop: Header=BB438_998 Depth=1
	s_and_not1_saveexec_b32 s12, s0
; %bb.1562:                             ;   in Loop: Header=BB438_998 Depth=1
	v_and_b32_e32 v4, 0xffff, v5
	v_or_b32_e32 v6, 0x10000, v5
	s_delay_alu instid0(VALU_DEP_2) | instskip(NEXT) | instid1(VALU_DEP_1)
	v_cmp_eq_u32_e64 s0, 0, v4
	v_cndmask_b32_e64 v4, v6, v5, s0
; %bb.1563:                             ;   in Loop: Header=BB438_998 Depth=1
	s_or_b32 exec_lo, exec_lo, s12
	v_lshrrev_b16 v6, 8, v2
	v_mov_b32_e32 v5, 0
	s_mov_b32 s12, exec_lo
	s_delay_alu instid0(VALU_DEP_2)
	v_cmpx_ne_u16_e32 0, v6
	s_cbranch_execz .LBB438_1571
; %bb.1564:                             ;   in Loop: Header=BB438_998 Depth=1
	v_bfrev_b32_e32 v5, 1
	s_mov_b32 s13, exec_lo
	v_cmpx_ne_u16_e32 0x80, v6
	s_cbranch_execz .LBB438_1570
; %bb.1565:                             ;   in Loop: Header=BB438_998 Depth=1
	v_and_b32_e32 v7, 0xffff, v6
	v_mov_b32_e32 v5, 0x7f800001
	s_mov_b32 s15, exec_lo
	s_delay_alu instid0(VALU_DEP_2) | instskip(NEXT) | instid1(VALU_DEP_1)
	v_and_b32_e32 v6, 0x7f, v7
	v_cmpx_ne_u32_e32 0x7f, v6
	s_cbranch_execz .LBB438_1569
; %bb.1566:                             ;   in Loop: Header=BB438_998 Depth=1
	v_and_b32_e32 v9, 7, v7
	v_lshrrev_b32_e32 v5, 3, v6
	s_mov_b32 s16, exec_lo
	v_cmpx_gt_u32_e32 8, v6
; %bb.1567:                             ;   in Loop: Header=BB438_998 Depth=1
	s_delay_alu instid0(VALU_DEP_3) | instskip(NEXT) | instid1(VALU_DEP_1)
	v_clz_i32_u32_e32 v5, v9
	v_min_u32_e32 v5, 32, v5
	s_delay_alu instid0(VALU_DEP_1) | instskip(SKIP_1) | instid1(VALU_DEP_2)
	v_subrev_nc_u32_e32 v6, 28, v5
	v_sub_nc_u32_e32 v5, 29, v5
	v_lshlrev_b64 v[6:7], v6, v[9:10]
	s_delay_alu instid0(VALU_DEP_1)
	v_and_b32_e32 v9, 7, v6
; %bb.1568:                             ;   in Loop: Header=BB438_998 Depth=1
	s_or_b32 exec_lo, exec_lo, s16
	v_lshlrev_b32_e32 v6, 16, v2
	s_delay_alu instid0(VALU_DEP_2) | instskip(SKIP_1) | instid1(VALU_DEP_3)
	v_lshlrev_b32_e32 v7, 20, v9
	v_lshl_add_u32 v5, v5, 23, 0x3c000000
	v_and_b32_e32 v6, 0x80000000, v6
	s_delay_alu instid0(VALU_DEP_1)
	v_or3_b32 v5, v7, v6, v5
.LBB438_1569:                           ;   in Loop: Header=BB438_998 Depth=1
	s_or_b32 exec_lo, exec_lo, s15
.LBB438_1570:                           ;   in Loop: Header=BB438_998 Depth=1
	s_delay_alu instid0(SALU_CYCLE_1)
	s_or_b32 exec_lo, exec_lo, s13
.LBB438_1571:                           ;   in Loop: Header=BB438_998 Depth=1
	s_delay_alu instid0(SALU_CYCLE_1) | instskip(NEXT) | instid1(VALU_DEP_1)
	s_or_b32 exec_lo, exec_lo, s12
	v_mul_f32_e32 v6, v8, v5
	s_delay_alu instid0(VALU_DEP_1) | instskip(NEXT) | instid1(VALU_DEP_1)
	v_and_b32_e32 v5, 0x7f800000, v6
	v_cmp_ne_u32_e64 s0, 0x7f800000, v5
                                        ; implicit-def: $vgpr5
	s_delay_alu instid0(VALU_DEP_1) | instskip(NEXT) | instid1(SALU_CYCLE_1)
	s_and_saveexec_b32 s12, s0
	s_xor_b32 s0, exec_lo, s12
; %bb.1572:                             ;   in Loop: Header=BB438_998 Depth=1
	v_bfe_u32 v5, v6, 16, 1
	s_delay_alu instid0(VALU_DEP_1)
	v_add3_u32 v5, v6, v5, 0x7fff
                                        ; implicit-def: $vgpr6
; %bb.1573:                             ;   in Loop: Header=BB438_998 Depth=1
	s_and_not1_saveexec_b32 s12, s0
; %bb.1574:                             ;   in Loop: Header=BB438_998 Depth=1
	v_and_b32_e32 v5, 0xffff, v6
	v_or_b32_e32 v7, 0x10000, v6
	s_delay_alu instid0(VALU_DEP_2) | instskip(NEXT) | instid1(VALU_DEP_1)
	v_cmp_eq_u32_e64 s0, 0, v5
	v_cndmask_b32_e64 v5, v7, v6, s0
; %bb.1575:                             ;   in Loop: Header=BB438_998 Depth=1
	s_or_b32 exec_lo, exec_lo, s12
	v_lshrrev_b32_e32 v6, 16, v2
	v_mov_b32_e32 v7, 0
	s_mov_b32 s12, exec_lo
	s_delay_alu instid0(VALU_DEP_2) | instskip(NEXT) | instid1(VALU_DEP_1)
	v_and_b32_e32 v9, 0xff, v6
	v_cmpx_ne_u16_e32 0, v9
	s_cbranch_execz .LBB438_1583
; %bb.1576:                             ;   in Loop: Header=BB438_998 Depth=1
	v_bfrev_b32_e32 v7, 1
	s_mov_b32 s13, exec_lo
	v_cmpx_ne_u16_e32 0x80, v9
	s_cbranch_execz .LBB438_1582
; %bb.1577:                             ;   in Loop: Header=BB438_998 Depth=1
	v_bfe_u32 v37, v2, 16, 7
	v_mov_b32_e32 v7, 0x7f800001
	s_mov_b32 s15, exec_lo
	s_delay_alu instid0(VALU_DEP_2)
	v_cmpx_ne_u32_e32 0x7f, v37
	s_cbranch_execz .LBB438_1581
; %bb.1578:                             ;   in Loop: Header=BB438_998 Depth=1
	v_and_b32_e32 v9, 7, v6
	v_lshrrev_b32_e32 v7, 3, v37
	s_mov_b32 s16, exec_lo
	v_cmpx_gt_u32_e32 8, v37
; %bb.1579:                             ;   in Loop: Header=BB438_998 Depth=1
	s_delay_alu instid0(VALU_DEP_3) | instskip(NEXT) | instid1(VALU_DEP_1)
	v_clz_i32_u32_e32 v7, v9
	v_min_u32_e32 v7, 32, v7
	s_delay_alu instid0(VALU_DEP_1) | instskip(SKIP_1) | instid1(VALU_DEP_2)
	v_subrev_nc_u32_e32 v37, 28, v7
	v_sub_nc_u32_e32 v7, 29, v7
	v_lshlrev_b64 v[160:161], v37, v[9:10]
	s_delay_alu instid0(VALU_DEP_1)
	v_and_b32_e32 v9, 7, v160
; %bb.1580:                             ;   in Loop: Header=BB438_998 Depth=1
	s_or_b32 exec_lo, exec_lo, s16
	v_lshlrev_b32_e32 v6, 24, v6
	s_delay_alu instid0(VALU_DEP_2) | instskip(SKIP_1) | instid1(VALU_DEP_3)
	v_lshlrev_b32_e32 v9, 20, v9
	v_lshl_add_u32 v7, v7, 23, 0x3c000000
	v_and_b32_e32 v6, 0x80000000, v6
	s_delay_alu instid0(VALU_DEP_1)
	v_or3_b32 v7, v9, v6, v7
.LBB438_1581:                           ;   in Loop: Header=BB438_998 Depth=1
	s_or_b32 exec_lo, exec_lo, s15
.LBB438_1582:                           ;   in Loop: Header=BB438_998 Depth=1
	s_delay_alu instid0(SALU_CYCLE_1)
	s_or_b32 exec_lo, exec_lo, s13
.LBB438_1583:                           ;   in Loop: Header=BB438_998 Depth=1
	s_delay_alu instid0(SALU_CYCLE_1) | instskip(NEXT) | instid1(VALU_DEP_1)
	s_or_b32 exec_lo, exec_lo, s12
	v_mul_f32_e32 v6, v8, v7
                                        ; implicit-def: $vgpr37
	s_delay_alu instid0(VALU_DEP_1) | instskip(NEXT) | instid1(VALU_DEP_1)
	v_and_b32_e32 v7, 0x7f800000, v6
	v_cmp_ne_u32_e64 s0, 0x7f800000, v7
	s_delay_alu instid0(VALU_DEP_1) | instskip(NEXT) | instid1(SALU_CYCLE_1)
	s_and_saveexec_b32 s12, s0
	s_xor_b32 s0, exec_lo, s12
; %bb.1584:                             ;   in Loop: Header=BB438_998 Depth=1
	v_bfe_u32 v7, v6, 16, 1
	s_delay_alu instid0(VALU_DEP_1)
	v_add3_u32 v37, v6, v7, 0x7fff
                                        ; implicit-def: $vgpr6
; %bb.1585:                             ;   in Loop: Header=BB438_998 Depth=1
	s_and_not1_saveexec_b32 s12, s0
; %bb.1586:                             ;   in Loop: Header=BB438_998 Depth=1
	v_and_b32_e32 v7, 0xffff, v6
	v_or_b32_e32 v9, 0x10000, v6
	s_delay_alu instid0(VALU_DEP_2) | instskip(NEXT) | instid1(VALU_DEP_1)
	v_cmp_eq_u32_e64 s0, 0, v7
	v_cndmask_b32_e64 v37, v9, v6, s0
; %bb.1587:                             ;   in Loop: Header=BB438_998 Depth=1
	s_or_b32 exec_lo, exec_lo, s12
	v_mov_b32_e32 v7, 0
	s_mov_b32 s12, exec_lo
	v_cmpx_lt_u32_e32 0xffffff, v2
	s_cbranch_execz .LBB438_1595
; %bb.1588:                             ;   in Loop: Header=BB438_998 Depth=1
	v_lshrrev_b32_e32 v6, 24, v2
	v_bfrev_b32_e32 v7, 1
	s_mov_b32 s13, exec_lo
	s_delay_alu instid0(VALU_DEP_2)
	v_cmpx_ne_u32_e32 0x80, v6
	s_cbranch_execz .LBB438_1594
; %bb.1589:                             ;   in Loop: Header=BB438_998 Depth=1
	v_bfe_u32 v39, v2, 24, 7
	v_mov_b32_e32 v7, 0x7f800001
	s_mov_b32 s15, exec_lo
	s_delay_alu instid0(VALU_DEP_2)
	v_cmpx_ne_u32_e32 0x7f, v39
	s_cbranch_execz .LBB438_1593
; %bb.1590:                             ;   in Loop: Header=BB438_998 Depth=1
	v_and_b32_e32 v9, 7, v6
	v_lshrrev_b32_e32 v7, 3, v39
	s_mov_b32 s16, exec_lo
	v_cmpx_gt_u32_e32 8, v39
; %bb.1591:                             ;   in Loop: Header=BB438_998 Depth=1
	s_delay_alu instid0(VALU_DEP_3) | instskip(NEXT) | instid1(VALU_DEP_1)
	v_clz_i32_u32_e32 v7, v9
	v_min_u32_e32 v7, 32, v7
	s_delay_alu instid0(VALU_DEP_1) | instskip(SKIP_1) | instid1(VALU_DEP_2)
	v_subrev_nc_u32_e32 v39, 28, v7
	v_sub_nc_u32_e32 v7, 29, v7
	v_lshlrev_b64 v[160:161], v39, v[9:10]
	s_delay_alu instid0(VALU_DEP_1)
	v_and_b32_e32 v9, 7, v160
; %bb.1592:                             ;   in Loop: Header=BB438_998 Depth=1
	s_or_b32 exec_lo, exec_lo, s16
	v_lshlrev_b32_e32 v6, 24, v6
	s_delay_alu instid0(VALU_DEP_2) | instskip(SKIP_1) | instid1(VALU_DEP_3)
	v_lshlrev_b32_e32 v9, 20, v9
	v_lshl_add_u32 v7, v7, 23, 0x3c000000
	v_and_b32_e32 v6, 0x80000000, v6
	s_delay_alu instid0(VALU_DEP_1)
	v_or3_b32 v7, v9, v6, v7
.LBB438_1593:                           ;   in Loop: Header=BB438_998 Depth=1
	s_or_b32 exec_lo, exec_lo, s15
.LBB438_1594:                           ;   in Loop: Header=BB438_998 Depth=1
	s_delay_alu instid0(SALU_CYCLE_1)
	s_or_b32 exec_lo, exec_lo, s13
.LBB438_1595:                           ;   in Loop: Header=BB438_998 Depth=1
	s_delay_alu instid0(SALU_CYCLE_1) | instskip(NEXT) | instid1(VALU_DEP_1)
	s_or_b32 exec_lo, exec_lo, s12
	v_mul_f32_e32 v6, v8, v7
                                        ; implicit-def: $vgpr39
	s_delay_alu instid0(VALU_DEP_1) | instskip(NEXT) | instid1(VALU_DEP_1)
	v_and_b32_e32 v7, 0x7f800000, v6
	v_cmp_ne_u32_e64 s0, 0x7f800000, v7
	s_delay_alu instid0(VALU_DEP_1) | instskip(NEXT) | instid1(SALU_CYCLE_1)
	s_and_saveexec_b32 s12, s0
	s_xor_b32 s0, exec_lo, s12
; %bb.1596:                             ;   in Loop: Header=BB438_998 Depth=1
	v_bfe_u32 v7, v6, 16, 1
	s_delay_alu instid0(VALU_DEP_1)
	v_add3_u32 v39, v6, v7, 0x7fff
                                        ; implicit-def: $vgpr6
; %bb.1597:                             ;   in Loop: Header=BB438_998 Depth=1
	s_and_not1_saveexec_b32 s12, s0
; %bb.1598:                             ;   in Loop: Header=BB438_998 Depth=1
	v_and_b32_e32 v7, 0xffff, v6
	v_or_b32_e32 v9, 0x10000, v6
	s_delay_alu instid0(VALU_DEP_2) | instskip(NEXT) | instid1(VALU_DEP_1)
	v_cmp_eq_u32_e64 s0, 0, v7
	v_cndmask_b32_e64 v39, v9, v6, s0
; %bb.1599:                             ;   in Loop: Header=BB438_998 Depth=1
	s_or_b32 exec_lo, exec_lo, s12
	v_dual_mov_b32 v6, 0 :: v_dual_and_b32 v7, 0xff, v3
	v_mov_b32_e32 v9, v3
	s_mov_b32 s12, exec_lo
	s_delay_alu instid0(VALU_DEP_2)
	v_cmpx_ne_u16_e32 0, v7
	s_cbranch_execz .LBB438_1607
; %bb.1600:                             ;   in Loop: Header=BB438_998 Depth=1
	v_bfrev_b32_e32 v6, 1
	s_mov_b32 s13, exec_lo
	v_cmpx_ne_u16_e32 0x80, v7
	s_cbranch_execz .LBB438_1606
; %bb.1601:                             ;   in Loop: Header=BB438_998 Depth=1
	v_and_b32_e32 v7, 0x7f, v3
	v_mov_b32_e32 v6, 0x7f800001
	s_mov_b32 s15, exec_lo
	s_delay_alu instid0(VALU_DEP_2)
	v_cmpx_ne_u32_e32 0x7f, v7
	s_cbranch_execz .LBB438_1605
; %bb.1602:                             ;   in Loop: Header=BB438_998 Depth=1
	v_lshrrev_b32_e32 v48, 3, v7
	v_cmp_gt_u32_e64 s0, 8, v7
	v_dual_mov_b32 v6, v9 :: v_dual_mov_b32 v7, v10
	s_delay_alu instid0(VALU_DEP_2)
	s_and_saveexec_b32 s16, s0
; %bb.1603:                             ;   in Loop: Header=BB438_998 Depth=1
	v_and_b32_e32 v6, 7, v3
	s_delay_alu instid0(VALU_DEP_1) | instskip(NEXT) | instid1(VALU_DEP_1)
	v_clz_i32_u32_e32 v6, v6
	v_min_u32_e32 v48, 32, v6
	s_delay_alu instid0(VALU_DEP_1) | instskip(SKIP_1) | instid1(VALU_DEP_2)
	v_subrev_nc_u32_e32 v6, 28, v48
	v_sub_nc_u32_e32 v48, 29, v48
	v_lshlrev_b64 v[6:7], v6, v[9:10]
; %bb.1604:                             ;   in Loop: Header=BB438_998 Depth=1
	s_or_b32 exec_lo, exec_lo, s16
	s_delay_alu instid0(VALU_DEP_1) | instskip(SKIP_2) | instid1(VALU_DEP_3)
	v_lshlrev_b32_e32 v6, 20, v6
	v_lshlrev_b32_e32 v7, 24, v9
	v_lshl_add_u32 v48, v48, 23, 0x3c000000
	v_and_b32_e32 v6, 0x700000, v6
	s_delay_alu instid0(VALU_DEP_3) | instskip(NEXT) | instid1(VALU_DEP_1)
	v_and_b32_e32 v7, 0x80000000, v7
	v_or3_b32 v6, v6, v7, v48
.LBB438_1605:                           ;   in Loop: Header=BB438_998 Depth=1
	s_or_b32 exec_lo, exec_lo, s15
.LBB438_1606:                           ;   in Loop: Header=BB438_998 Depth=1
	s_delay_alu instid0(SALU_CYCLE_1)
	s_or_b32 exec_lo, exec_lo, s13
.LBB438_1607:                           ;   in Loop: Header=BB438_998 Depth=1
	s_delay_alu instid0(SALU_CYCLE_1) | instskip(NEXT) | instid1(VALU_DEP_1)
	s_or_b32 exec_lo, exec_lo, s12
	v_mul_f32_e32 v6, v8, v6
                                        ; implicit-def: $vgpr48
	s_delay_alu instid0(VALU_DEP_1) | instskip(NEXT) | instid1(VALU_DEP_1)
	v_and_b32_e32 v7, 0x7f800000, v6
	v_cmp_ne_u32_e64 s0, 0x7f800000, v7
	s_delay_alu instid0(VALU_DEP_1) | instskip(NEXT) | instid1(SALU_CYCLE_1)
	s_and_saveexec_b32 s12, s0
	s_xor_b32 s0, exec_lo, s12
; %bb.1608:                             ;   in Loop: Header=BB438_998 Depth=1
	v_bfe_u32 v7, v6, 16, 1
	s_delay_alu instid0(VALU_DEP_1)
	v_add3_u32 v48, v6, v7, 0x7fff
                                        ; implicit-def: $vgpr6
; %bb.1609:                             ;   in Loop: Header=BB438_998 Depth=1
	s_and_not1_saveexec_b32 s12, s0
; %bb.1610:                             ;   in Loop: Header=BB438_998 Depth=1
	v_and_b32_e32 v7, 0xffff, v6
	v_or_b32_e32 v48, 0x10000, v6
	s_delay_alu instid0(VALU_DEP_2) | instskip(NEXT) | instid1(VALU_DEP_1)
	v_cmp_eq_u32_e64 s0, 0, v7
	v_cndmask_b32_e64 v48, v48, v6, s0
; %bb.1611:                             ;   in Loop: Header=BB438_998 Depth=1
	s_or_b32 exec_lo, exec_lo, s12
	v_lshrrev_b16 v7, 8, v9
	v_mov_b32_e32 v6, 0
	s_mov_b32 s12, exec_lo
	s_delay_alu instid0(VALU_DEP_2)
	v_cmpx_ne_u16_e32 0, v7
	s_cbranch_execz .LBB438_1619
; %bb.1612:                             ;   in Loop: Header=BB438_998 Depth=1
	v_bfrev_b32_e32 v6, 1
	s_mov_b32 s13, exec_lo
	v_cmpx_ne_u16_e32 0x80, v7
	s_cbranch_execz .LBB438_1618
; %bb.1613:                             ;   in Loop: Header=BB438_998 Depth=1
	v_and_b32_e32 v7, 0xffff, v7
	v_mov_b32_e32 v6, 0x7f800001
	s_mov_b32 s15, exec_lo
	s_delay_alu instid0(VALU_DEP_2) | instskip(NEXT) | instid1(VALU_DEP_1)
	v_and_b32_e32 v161, 0x7f, v7
	v_cmpx_ne_u32_e32 0x7f, v161
	s_cbranch_execz .LBB438_1617
; %bb.1614:                             ;   in Loop: Header=BB438_998 Depth=1
	v_dual_mov_b32 v7, v10 :: v_dual_and_b32 v6, 7, v7
	v_lshrrev_b32_e32 v160, 3, v161
	s_mov_b32 s16, exec_lo
	v_cmpx_gt_u32_e32 8, v161
; %bb.1615:                             ;   in Loop: Header=BB438_998 Depth=1
	s_delay_alu instid0(VALU_DEP_3) | instskip(NEXT) | instid1(VALU_DEP_1)
	v_clz_i32_u32_e32 v160, v6
	v_min_u32_e32 v160, 32, v160
	s_delay_alu instid0(VALU_DEP_1) | instskip(SKIP_1) | instid1(VALU_DEP_2)
	v_subrev_nc_u32_e32 v161, 28, v160
	v_sub_nc_u32_e32 v160, 29, v160
	v_lshlrev_b64 v[6:7], v161, v[6:7]
	s_delay_alu instid0(VALU_DEP_1)
	v_and_b32_e32 v6, 7, v6
; %bb.1616:                             ;   in Loop: Header=BB438_998 Depth=1
	s_or_b32 exec_lo, exec_lo, s16
	v_lshlrev_b32_e32 v7, 16, v9
	s_delay_alu instid0(VALU_DEP_2) | instskip(SKIP_1) | instid1(VALU_DEP_3)
	v_lshlrev_b32_e32 v6, 20, v6
	v_lshl_add_u32 v9, v160, 23, 0x3c000000
	v_and_b32_e32 v7, 0x80000000, v7
	s_delay_alu instid0(VALU_DEP_1)
	v_or3_b32 v6, v6, v7, v9
.LBB438_1617:                           ;   in Loop: Header=BB438_998 Depth=1
	s_or_b32 exec_lo, exec_lo, s15
.LBB438_1618:                           ;   in Loop: Header=BB438_998 Depth=1
	s_delay_alu instid0(SALU_CYCLE_1)
	s_or_b32 exec_lo, exec_lo, s13
.LBB438_1619:                           ;   in Loop: Header=BB438_998 Depth=1
	s_delay_alu instid0(SALU_CYCLE_1) | instskip(NEXT) | instid1(VALU_DEP_1)
	s_or_b32 exec_lo, exec_lo, s12
	v_mul_f32_e32 v7, v8, v6
	s_delay_alu instid0(VALU_DEP_1) | instskip(NEXT) | instid1(VALU_DEP_1)
	v_and_b32_e32 v6, 0x7f800000, v7
	v_cmp_ne_u32_e64 s0, 0x7f800000, v6
                                        ; implicit-def: $vgpr6
	s_delay_alu instid0(VALU_DEP_1) | instskip(NEXT) | instid1(SALU_CYCLE_1)
	s_and_saveexec_b32 s12, s0
	s_xor_b32 s0, exec_lo, s12
; %bb.1620:                             ;   in Loop: Header=BB438_998 Depth=1
	v_bfe_u32 v6, v7, 16, 1
	s_delay_alu instid0(VALU_DEP_1)
	v_add3_u32 v6, v7, v6, 0x7fff
                                        ; implicit-def: $vgpr7
; %bb.1621:                             ;   in Loop: Header=BB438_998 Depth=1
	s_and_not1_saveexec_b32 s12, s0
; %bb.1622:                             ;   in Loop: Header=BB438_998 Depth=1
	v_and_b32_e32 v6, 0xffff, v7
	v_or_b32_e32 v9, 0x10000, v7
	s_delay_alu instid0(VALU_DEP_2) | instskip(NEXT) | instid1(VALU_DEP_1)
	v_cmp_eq_u32_e64 s0, 0, v6
	v_cndmask_b32_e64 v6, v9, v7, s0
; %bb.1623:                             ;   in Loop: Header=BB438_998 Depth=1
	s_or_b32 exec_lo, exec_lo, s12
	v_lshrrev_b32_e32 v7, 16, v3
	s_mov_b32 s12, exec_lo
	s_delay_alu instid0(VALU_DEP_1) | instskip(NEXT) | instid1(VALU_DEP_1)
	v_dual_mov_b32 v9, 0 :: v_dual_and_b32 v160, 0xff, v7
	v_cmpx_ne_u16_e64 0, v160
	s_cbranch_execz .LBB438_1631
; %bb.1624:                             ;   in Loop: Header=BB438_998 Depth=1
	v_bfrev_b32_e32 v9, 1
	s_mov_b32 s13, exec_lo
	v_cmpx_ne_u16_e64 0x80, v160
	s_cbranch_execz .LBB438_1630
; %bb.1625:                             ;   in Loop: Header=BB438_998 Depth=1
	v_bfe_u32 v161, v3, 16, 7
	v_mov_b32_e32 v9, 0x7f800001
	s_mov_b32 s15, exec_lo
	s_delay_alu instid0(VALU_DEP_2)
	v_cmpx_ne_u32_e32 0x7f, v161
	s_cbranch_execz .LBB438_1629
; %bb.1626:                             ;   in Loop: Header=BB438_998 Depth=1
	v_and_b32_e32 v9, 7, v7
	v_lshrrev_b32_e32 v160, 3, v161
	s_mov_b32 s16, exec_lo
	v_cmpx_gt_u32_e32 8, v161
; %bb.1627:                             ;   in Loop: Header=BB438_998 Depth=1
	s_delay_alu instid0(VALU_DEP_3) | instskip(NEXT) | instid1(VALU_DEP_1)
	v_clz_i32_u32_e32 v160, v9
	v_min_u32_e32 v160, 32, v160
	s_delay_alu instid0(VALU_DEP_1) | instskip(SKIP_1) | instid1(VALU_DEP_2)
	v_subrev_nc_u32_e32 v161, 28, v160
	v_sub_nc_u32_e32 v160, 29, v160
	v_lshlrev_b64 v[161:162], v161, v[9:10]
	s_delay_alu instid0(VALU_DEP_1)
	v_and_b32_e32 v9, 7, v161
; %bb.1628:                             ;   in Loop: Header=BB438_998 Depth=1
	s_or_b32 exec_lo, exec_lo, s16
	v_lshlrev_b32_e32 v7, 24, v7
	s_delay_alu instid0(VALU_DEP_2) | instskip(SKIP_1) | instid1(VALU_DEP_3)
	v_lshlrev_b32_e32 v9, 20, v9
	v_lshl_add_u32 v160, v160, 23, 0x3c000000
	v_and_b32_e32 v7, 0x80000000, v7
	s_delay_alu instid0(VALU_DEP_1)
	v_or3_b32 v9, v9, v7, v160
.LBB438_1629:                           ;   in Loop: Header=BB438_998 Depth=1
	s_or_b32 exec_lo, exec_lo, s15
.LBB438_1630:                           ;   in Loop: Header=BB438_998 Depth=1
	s_delay_alu instid0(SALU_CYCLE_1)
	s_or_b32 exec_lo, exec_lo, s13
.LBB438_1631:                           ;   in Loop: Header=BB438_998 Depth=1
	s_delay_alu instid0(SALU_CYCLE_1) | instskip(NEXT) | instid1(VALU_DEP_1)
	s_or_b32 exec_lo, exec_lo, s12
	v_mul_f32_e32 v7, v8, v9
                                        ; implicit-def: $vgpr160
	s_delay_alu instid0(VALU_DEP_1) | instskip(NEXT) | instid1(VALU_DEP_1)
	v_and_b32_e32 v9, 0x7f800000, v7
	v_cmp_ne_u32_e64 s0, 0x7f800000, v9
	s_delay_alu instid0(VALU_DEP_1) | instskip(NEXT) | instid1(SALU_CYCLE_1)
	s_and_saveexec_b32 s12, s0
	s_xor_b32 s0, exec_lo, s12
; %bb.1632:                             ;   in Loop: Header=BB438_998 Depth=1
	v_bfe_u32 v9, v7, 16, 1
	s_delay_alu instid0(VALU_DEP_1)
	v_add3_u32 v160, v7, v9, 0x7fff
                                        ; implicit-def: $vgpr7
; %bb.1633:                             ;   in Loop: Header=BB438_998 Depth=1
	s_and_not1_saveexec_b32 s12, s0
; %bb.1634:                             ;   in Loop: Header=BB438_998 Depth=1
	v_and_b32_e32 v9, 0xffff, v7
	v_or_b32_e32 v160, 0x10000, v7
	s_delay_alu instid0(VALU_DEP_2) | instskip(NEXT) | instid1(VALU_DEP_1)
	v_cmp_eq_u32_e64 s0, 0, v9
	v_cndmask_b32_e64 v160, v160, v7, s0
; %bb.1635:                             ;   in Loop: Header=BB438_998 Depth=1
	s_or_b32 exec_lo, exec_lo, s12
	v_mov_b32_e32 v7, 0
	s_mov_b32 s12, exec_lo
	v_cmpx_lt_u64_e64 s[8:9], v[2:3]
	s_cbranch_execz .LBB438_1643
; %bb.1636:                             ;   in Loop: Header=BB438_998 Depth=1
	v_lshrrev_b32_e32 v2, 24, v3
	v_bfrev_b32_e32 v7, 1
	s_mov_b32 s13, exec_lo
	s_delay_alu instid0(VALU_DEP_2)
	v_cmpx_ne_u32_e32 0x80, v2
	s_cbranch_execz .LBB438_1642
; %bb.1637:                             ;   in Loop: Header=BB438_998 Depth=1
	v_bfe_u32 v161, v3, 24, 7
	v_mov_b32_e32 v7, 0x7f800001
	s_mov_b32 s15, exec_lo
	s_delay_alu instid0(VALU_DEP_2)
	v_cmpx_ne_u32_e32 0x7f, v161
	s_cbranch_execz .LBB438_1641
; %bb.1638:                             ;   in Loop: Header=BB438_998 Depth=1
	v_and_b32_e32 v9, 7, v2
	v_lshrrev_b32_e32 v3, 3, v161
	s_mov_b32 s16, exec_lo
	v_cmpx_gt_u32_e32 8, v161
; %bb.1639:                             ;   in Loop: Header=BB438_998 Depth=1
	s_delay_alu instid0(VALU_DEP_3) | instskip(NEXT) | instid1(VALU_DEP_1)
	v_clz_i32_u32_e32 v3, v9
	v_min_u32_e32 v3, 32, v3
	s_delay_alu instid0(VALU_DEP_1) | instskip(SKIP_1) | instid1(VALU_DEP_2)
	v_subrev_nc_u32_e32 v7, 28, v3
	v_sub_nc_u32_e32 v3, 29, v3
	v_lshlrev_b64 v[161:162], v7, v[9:10]
	s_delay_alu instid0(VALU_DEP_1)
	v_and_b32_e32 v9, 7, v161
; %bb.1640:                             ;   in Loop: Header=BB438_998 Depth=1
	s_or_b32 exec_lo, exec_lo, s16
	v_lshlrev_b32_e32 v2, 24, v2
	s_delay_alu instid0(VALU_DEP_2) | instskip(SKIP_1) | instid1(VALU_DEP_3)
	v_lshlrev_b32_e32 v7, 20, v9
	v_lshl_add_u32 v3, v3, 23, 0x3c000000
	v_and_b32_e32 v2, 0x80000000, v2
	s_delay_alu instid0(VALU_DEP_1)
	v_or3_b32 v7, v7, v2, v3
.LBB438_1641:                           ;   in Loop: Header=BB438_998 Depth=1
	s_or_b32 exec_lo, exec_lo, s15
.LBB438_1642:                           ;   in Loop: Header=BB438_998 Depth=1
	s_delay_alu instid0(SALU_CYCLE_1)
	s_or_b32 exec_lo, exec_lo, s13
.LBB438_1643:                           ;   in Loop: Header=BB438_998 Depth=1
	s_delay_alu instid0(SALU_CYCLE_1) | instskip(NEXT) | instid1(VALU_DEP_1)
	s_or_b32 exec_lo, exec_lo, s12
	v_mul_f32_e32 v3, v8, v7
	s_delay_alu instid0(VALU_DEP_1) | instskip(NEXT) | instid1(VALU_DEP_1)
	v_and_b32_e32 v2, 0x7f800000, v3
	v_cmp_ne_u32_e64 s0, 0x7f800000, v2
                                        ; implicit-def: $vgpr2
	s_delay_alu instid0(VALU_DEP_1) | instskip(NEXT) | instid1(SALU_CYCLE_1)
	s_and_saveexec_b32 s12, s0
	s_xor_b32 s0, exec_lo, s12
; %bb.1644:                             ;   in Loop: Header=BB438_998 Depth=1
	v_bfe_u32 v2, v3, 16, 1
	s_delay_alu instid0(VALU_DEP_1)
	v_add3_u32 v2, v3, v2, 0x7fff
                                        ; implicit-def: $vgpr3
; %bb.1645:                             ;   in Loop: Header=BB438_998 Depth=1
	s_and_not1_saveexec_b32 s12, s0
; %bb.1646:                             ;   in Loop: Header=BB438_998 Depth=1
	v_and_b32_e32 v2, 0xffff, v3
	v_or_b32_e32 v7, 0x10000, v3
	s_delay_alu instid0(VALU_DEP_2) | instskip(NEXT) | instid1(VALU_DEP_1)
	v_cmp_eq_u32_e64 s0, 0, v2
	v_cndmask_b32_e64 v2, v7, v3, s0
; %bb.1647:                             ;   in Loop: Header=BB438_998 Depth=1
	s_or_b32 exec_lo, exec_lo, s12
	v_lshrrev_b32_e32 v6, 16, v6
	v_lshrrev_b32_e32 v7, 16, v48
	;; [unrolled: 1-line block ×8, first 2 shown]
	s_and_saveexec_b32 s12, vcc_lo
	s_cbranch_execz .LBB438_1649
; %bb.1648:                             ;   in Loop: Header=BB438_998 Depth=1
	v_cmp_lt_i32_e64 s0, v80, v38
	s_delay_alu instid0(VALU_DEP_1) | instskip(SKIP_1) | instid1(VALU_DEP_1)
	v_cndmask_b32_e64 v4, 0, v4, s0
	v_cmp_lt_i32_e64 s0, v87, v38
	v_cndmask_b32_e64 v5, 0, v5, s0
	v_cmp_lt_i32_e64 s0, v86, v38
	s_delay_alu instid0(VALU_DEP_1) | instskip(SKIP_1) | instid1(VALU_DEP_1)
	v_cndmask_b32_e64 v37, 0, v37, s0
	v_cmp_lt_i32_e64 s0, v85, v38
	v_cndmask_b32_e64 v9, 0, v9, s0
	;; [unrolled: 5-line block ×4, first 2 shown]
.LBB438_1649:                           ;   in Loop: Header=BB438_998 Depth=1
	s_or_b32 exec_lo, exec_lo, s12
	v_lshlrev_b32_e32 v4, 16, v4
                                        ; implicit-def: $vgpr160
	s_delay_alu instid0(VALU_DEP_1) | instskip(NEXT) | instid1(VALU_DEP_1)
	v_mul_f32_e32 v4, v96, v4
	v_and_b32_e32 v39, 0x7f800000, v4
	s_delay_alu instid0(VALU_DEP_1) | instskip(NEXT) | instid1(VALU_DEP_1)
	v_cmp_ne_u32_e64 s0, 0x7f800000, v39
	s_and_saveexec_b32 s12, s0
	s_delay_alu instid0(SALU_CYCLE_1)
	s_xor_b32 s0, exec_lo, s12
; %bb.1650:                             ;   in Loop: Header=BB438_998 Depth=1
	v_bfe_u32 v39, v4, 16, 1
	s_delay_alu instid0(VALU_DEP_1)
	v_add3_u32 v160, v4, v39, 0x7fff
                                        ; implicit-def: $vgpr4
; %bb.1651:                             ;   in Loop: Header=BB438_998 Depth=1
	s_and_not1_saveexec_b32 s12, s0
; %bb.1652:                             ;   in Loop: Header=BB438_998 Depth=1
	v_and_b32_e32 v39, 0xffff, v4
	v_or_b32_e32 v48, 0x10000, v4
	s_delay_alu instid0(VALU_DEP_2) | instskip(NEXT) | instid1(VALU_DEP_1)
	v_cmp_eq_u32_e64 s0, 0, v39
	v_cndmask_b32_e64 v160, v48, v4, s0
; %bb.1653:                             ;   in Loop: Header=BB438_998 Depth=1
	s_or_b32 exec_lo, exec_lo, s12
	v_lshlrev_b32_e32 v4, 16, v5
                                        ; implicit-def: $vgpr161
	s_delay_alu instid0(VALU_DEP_1) | instskip(NEXT) | instid1(VALU_DEP_1)
	v_mul_f32_e32 v4, v97, v4
	v_and_b32_e32 v5, 0x7f800000, v4
	s_delay_alu instid0(VALU_DEP_1) | instskip(NEXT) | instid1(VALU_DEP_1)
	v_cmp_ne_u32_e64 s0, 0x7f800000, v5
	s_and_saveexec_b32 s12, s0
	s_delay_alu instid0(SALU_CYCLE_1)
	s_xor_b32 s0, exec_lo, s12
; %bb.1654:                             ;   in Loop: Header=BB438_998 Depth=1
	v_bfe_u32 v5, v4, 16, 1
	s_delay_alu instid0(VALU_DEP_1)
	v_add3_u32 v161, v4, v5, 0x7fff
                                        ; implicit-def: $vgpr4
; %bb.1655:                             ;   in Loop: Header=BB438_998 Depth=1
	s_and_not1_saveexec_b32 s12, s0
; %bb.1656:                             ;   in Loop: Header=BB438_998 Depth=1
	v_and_b32_e32 v5, 0xffff, v4
	v_or_b32_e32 v39, 0x10000, v4
	s_delay_alu instid0(VALU_DEP_2) | instskip(NEXT) | instid1(VALU_DEP_1)
	v_cmp_eq_u32_e64 s0, 0, v5
	v_cndmask_b32_e64 v161, v39, v4, s0
; %bb.1657:                             ;   in Loop: Header=BB438_998 Depth=1
	s_or_b32 exec_lo, exec_lo, s12
	v_lshlrev_b32_e32 v4, 16, v37
                                        ; implicit-def: $vgpr162
	s_delay_alu instid0(VALU_DEP_1) | instskip(NEXT) | instid1(VALU_DEP_1)
	v_mul_f32_e32 v4, v98, v4
	v_and_b32_e32 v5, 0x7f800000, v4
	s_delay_alu instid0(VALU_DEP_1) | instskip(NEXT) | instid1(VALU_DEP_1)
	v_cmp_ne_u32_e64 s0, 0x7f800000, v5
	s_and_saveexec_b32 s12, s0
	s_delay_alu instid0(SALU_CYCLE_1)
	s_xor_b32 s0, exec_lo, s12
; %bb.1658:                             ;   in Loop: Header=BB438_998 Depth=1
	v_bfe_u32 v5, v4, 16, 1
	s_delay_alu instid0(VALU_DEP_1)
	v_add3_u32 v162, v4, v5, 0x7fff
                                        ; implicit-def: $vgpr4
; %bb.1659:                             ;   in Loop: Header=BB438_998 Depth=1
	s_and_not1_saveexec_b32 s12, s0
; %bb.1660:                             ;   in Loop: Header=BB438_998 Depth=1
	v_and_b32_e32 v5, 0xffff, v4
	v_or_b32_e32 v37, 0x10000, v4
	s_delay_alu instid0(VALU_DEP_2) | instskip(NEXT) | instid1(VALU_DEP_1)
	v_cmp_eq_u32_e64 s0, 0, v5
	v_cndmask_b32_e64 v162, v37, v4, s0
; %bb.1661:                             ;   in Loop: Header=BB438_998 Depth=1
	s_or_b32 exec_lo, exec_lo, s12
	v_lshlrev_b32_e32 v4, 16, v9
                                        ; implicit-def: $vgpr163
	s_delay_alu instid0(VALU_DEP_1) | instskip(NEXT) | instid1(VALU_DEP_1)
	v_mul_f32_e32 v4, v99, v4
	v_and_b32_e32 v5, 0x7f800000, v4
	s_delay_alu instid0(VALU_DEP_1) | instskip(NEXT) | instid1(VALU_DEP_1)
	v_cmp_ne_u32_e64 s0, 0x7f800000, v5
	s_and_saveexec_b32 s12, s0
	s_delay_alu instid0(SALU_CYCLE_1)
	s_xor_b32 s0, exec_lo, s12
; %bb.1662:                             ;   in Loop: Header=BB438_998 Depth=1
	v_bfe_u32 v5, v4, 16, 1
	s_delay_alu instid0(VALU_DEP_1)
	v_add3_u32 v163, v4, v5, 0x7fff
                                        ; implicit-def: $vgpr4
; %bb.1663:                             ;   in Loop: Header=BB438_998 Depth=1
	s_and_not1_saveexec_b32 s12, s0
; %bb.1664:                             ;   in Loop: Header=BB438_998 Depth=1
	v_and_b32_e32 v5, 0xffff, v4
	v_or_b32_e32 v9, 0x10000, v4
	s_delay_alu instid0(VALU_DEP_2) | instskip(NEXT) | instid1(VALU_DEP_1)
	v_cmp_eq_u32_e64 s0, 0, v5
	v_cndmask_b32_e64 v163, v9, v4, s0
; %bb.1665:                             ;   in Loop: Header=BB438_998 Depth=1
	s_or_b32 exec_lo, exec_lo, s12
	v_lshlrev_b32_e32 v4, 16, v7
                                        ; implicit-def: $vgpr164
	s_delay_alu instid0(VALU_DEP_1) | instskip(NEXT) | instid1(VALU_DEP_1)
	v_mul_f32_e32 v4, v100, v4
	v_and_b32_e32 v5, 0x7f800000, v4
	s_delay_alu instid0(VALU_DEP_1) | instskip(NEXT) | instid1(VALU_DEP_1)
	v_cmp_ne_u32_e64 s0, 0x7f800000, v5
	s_and_saveexec_b32 s12, s0
	s_delay_alu instid0(SALU_CYCLE_1)
	s_xor_b32 s0, exec_lo, s12
; %bb.1666:                             ;   in Loop: Header=BB438_998 Depth=1
	v_bfe_u32 v5, v4, 16, 1
	s_delay_alu instid0(VALU_DEP_1)
	v_add3_u32 v164, v4, v5, 0x7fff
                                        ; implicit-def: $vgpr4
; %bb.1667:                             ;   in Loop: Header=BB438_998 Depth=1
	s_and_not1_saveexec_b32 s12, s0
; %bb.1668:                             ;   in Loop: Header=BB438_998 Depth=1
	v_and_b32_e32 v5, 0xffff, v4
	v_or_b32_e32 v7, 0x10000, v4
	s_delay_alu instid0(VALU_DEP_2) | instskip(NEXT) | instid1(VALU_DEP_1)
	v_cmp_eq_u32_e64 s0, 0, v5
	v_cndmask_b32_e64 v164, v7, v4, s0
; %bb.1669:                             ;   in Loop: Header=BB438_998 Depth=1
	s_or_b32 exec_lo, exec_lo, s12
	v_lshlrev_b32_e32 v4, 16, v6
                                        ; implicit-def: $vgpr165
	s_delay_alu instid0(VALU_DEP_1) | instskip(NEXT) | instid1(VALU_DEP_1)
	v_mul_f32_e32 v4, v101, v4
	v_and_b32_e32 v5, 0x7f800000, v4
	s_delay_alu instid0(VALU_DEP_1) | instskip(NEXT) | instid1(VALU_DEP_1)
	v_cmp_ne_u32_e64 s0, 0x7f800000, v5
	s_and_saveexec_b32 s12, s0
	s_delay_alu instid0(SALU_CYCLE_1)
	s_xor_b32 s0, exec_lo, s12
; %bb.1670:                             ;   in Loop: Header=BB438_998 Depth=1
	v_bfe_u32 v5, v4, 16, 1
	s_delay_alu instid0(VALU_DEP_1)
	v_add3_u32 v165, v4, v5, 0x7fff
                                        ; implicit-def: $vgpr4
; %bb.1671:                             ;   in Loop: Header=BB438_998 Depth=1
	s_and_not1_saveexec_b32 s12, s0
; %bb.1672:                             ;   in Loop: Header=BB438_998 Depth=1
	v_and_b32_e32 v5, 0xffff, v4
	v_or_b32_e32 v6, 0x10000, v4
	s_delay_alu instid0(VALU_DEP_2) | instskip(NEXT) | instid1(VALU_DEP_1)
	v_cmp_eq_u32_e64 s0, 0, v5
	v_cndmask_b32_e64 v165, v6, v4, s0
; %bb.1673:                             ;   in Loop: Header=BB438_998 Depth=1
	s_or_b32 exec_lo, exec_lo, s12
	v_lshlrev_b32_e32 v3, 16, v3
                                        ; implicit-def: $vgpr166
	s_delay_alu instid0(VALU_DEP_1) | instskip(NEXT) | instid1(VALU_DEP_1)
	v_mul_f32_e32 v3, v102, v3
	v_and_b32_e32 v4, 0x7f800000, v3
	s_delay_alu instid0(VALU_DEP_1) | instskip(NEXT) | instid1(VALU_DEP_1)
	v_cmp_ne_u32_e64 s0, 0x7f800000, v4
	s_and_saveexec_b32 s12, s0
	s_delay_alu instid0(SALU_CYCLE_1)
	s_xor_b32 s0, exec_lo, s12
; %bb.1674:                             ;   in Loop: Header=BB438_998 Depth=1
	v_bfe_u32 v4, v3, 16, 1
	s_delay_alu instid0(VALU_DEP_1)
	v_add3_u32 v166, v3, v4, 0x7fff
                                        ; implicit-def: $vgpr3
; %bb.1675:                             ;   in Loop: Header=BB438_998 Depth=1
	s_and_not1_saveexec_b32 s12, s0
; %bb.1676:                             ;   in Loop: Header=BB438_998 Depth=1
	v_and_b32_e32 v4, 0xffff, v3
	v_or_b32_e32 v5, 0x10000, v3
	s_delay_alu instid0(VALU_DEP_2) | instskip(NEXT) | instid1(VALU_DEP_1)
	v_cmp_eq_u32_e64 s0, 0, v4
	v_cndmask_b32_e64 v166, v5, v3, s0
; %bb.1677:                             ;   in Loop: Header=BB438_998 Depth=1
	s_or_b32 exec_lo, exec_lo, s12
	v_lshlrev_b32_e32 v2, 16, v2
                                        ; implicit-def: $vgpr167
	s_delay_alu instid0(VALU_DEP_1) | instskip(NEXT) | instid1(VALU_DEP_1)
	v_mul_f32_e32 v2, v103, v2
	v_and_b32_e32 v3, 0x7f800000, v2
	s_delay_alu instid0(VALU_DEP_1) | instskip(NEXT) | instid1(VALU_DEP_1)
	v_cmp_ne_u32_e64 s0, 0x7f800000, v3
	s_and_saveexec_b32 s12, s0
	s_delay_alu instid0(SALU_CYCLE_1)
	s_xor_b32 s0, exec_lo, s12
; %bb.1678:                             ;   in Loop: Header=BB438_998 Depth=1
	v_bfe_u32 v3, v2, 16, 1
	s_delay_alu instid0(VALU_DEP_1)
	v_add3_u32 v167, v2, v3, 0x7fff
                                        ; implicit-def: $vgpr2
; %bb.1679:                             ;   in Loop: Header=BB438_998 Depth=1
	s_and_not1_saveexec_b32 s12, s0
; %bb.1680:                             ;   in Loop: Header=BB438_998 Depth=1
	v_and_b32_e32 v3, 0xffff, v2
	v_or_b32_e32 v4, 0x10000, v2
	s_delay_alu instid0(VALU_DEP_2) | instskip(NEXT) | instid1(VALU_DEP_1)
	v_cmp_eq_u32_e64 s0, 0, v3
	v_cndmask_b32_e64 v167, v4, v2, s0
; %bb.1681:                             ;   in Loop: Header=BB438_998 Depth=1
	s_or_b32 exec_lo, exec_lo, s12
	flat_load_b64 v[2:3], v[0:1] offset:1280
	s_mov_b32 s12, exec_lo
	s_waitcnt vmcnt(0) lgkmcnt(0)
	v_dual_mov_b32 v4, 0 :: v_dual_and_b32 v5, 0xff, v2
	s_delay_alu instid0(VALU_DEP_1)
	v_cmpx_ne_u16_e32 0, v5
	s_cbranch_execz .LBB438_1689
; %bb.1682:                             ;   in Loop: Header=BB438_998 Depth=1
	v_bfrev_b32_e32 v4, 1
	s_mov_b32 s13, exec_lo
	v_cmpx_ne_u16_e32 0x80, v5
	s_cbranch_execz .LBB438_1688
; %bb.1683:                             ;   in Loop: Header=BB438_998 Depth=1
	v_and_b32_e32 v5, 0x7f, v2
	v_mov_b32_e32 v4, 0x7f800001
	s_mov_b32 s15, exec_lo
	s_delay_alu instid0(VALU_DEP_2)
	v_cmpx_ne_u32_e32 0x7f, v5
	s_cbranch_execz .LBB438_1687
; %bb.1684:                             ;   in Loop: Header=BB438_998 Depth=1
	v_lshrrev_b32_e32 v4, 3, v5
	v_dual_mov_b32 v7, v3 :: v_dual_mov_b32 v6, v2
	s_mov_b32 s16, exec_lo
	v_cmpx_gt_u32_e32 8, v5
; %bb.1685:                             ;   in Loop: Header=BB438_998 Depth=1
	v_and_b32_e32 v4, 7, v2
	s_delay_alu instid0(VALU_DEP_1) | instskip(NEXT) | instid1(VALU_DEP_1)
	v_clz_i32_u32_e32 v4, v4
	v_min_u32_e32 v4, 32, v4
	s_delay_alu instid0(VALU_DEP_1) | instskip(SKIP_1) | instid1(VALU_DEP_2)
	v_subrev_nc_u32_e32 v5, 28, v4
	v_sub_nc_u32_e32 v4, 29, v4
	v_lshlrev_b64 v[6:7], v5, v[2:3]
; %bb.1686:                             ;   in Loop: Header=BB438_998 Depth=1
	s_or_b32 exec_lo, exec_lo, s16
	s_delay_alu instid0(VALU_DEP_1) | instskip(SKIP_2) | instid1(VALU_DEP_3)
	v_lshlrev_b32_e32 v5, 20, v6
	v_lshlrev_b32_e32 v6, 24, v2
	v_lshl_add_u32 v4, v4, 23, 0x3c000000
	v_and_b32_e32 v5, 0x700000, v5
	s_delay_alu instid0(VALU_DEP_3) | instskip(NEXT) | instid1(VALU_DEP_1)
	v_and_b32_e32 v6, 0x80000000, v6
	v_or3_b32 v4, v5, v6, v4
.LBB438_1687:                           ;   in Loop: Header=BB438_998 Depth=1
	s_or_b32 exec_lo, exec_lo, s15
.LBB438_1688:                           ;   in Loop: Header=BB438_998 Depth=1
	s_delay_alu instid0(SALU_CYCLE_1)
	s_or_b32 exec_lo, exec_lo, s13
.LBB438_1689:                           ;   in Loop: Header=BB438_998 Depth=1
	s_delay_alu instid0(SALU_CYCLE_1) | instskip(NEXT) | instid1(VALU_DEP_1)
	s_or_b32 exec_lo, exec_lo, s12
	v_mul_f32_e32 v5, v8, v4
	s_delay_alu instid0(VALU_DEP_1) | instskip(NEXT) | instid1(VALU_DEP_1)
	v_and_b32_e32 v4, 0x7f800000, v5
	v_cmp_ne_u32_e64 s0, 0x7f800000, v4
                                        ; implicit-def: $vgpr4
	s_delay_alu instid0(VALU_DEP_1) | instskip(NEXT) | instid1(SALU_CYCLE_1)
	s_and_saveexec_b32 s12, s0
	s_xor_b32 s0, exec_lo, s12
; %bb.1690:                             ;   in Loop: Header=BB438_998 Depth=1
	v_bfe_u32 v4, v5, 16, 1
	s_delay_alu instid0(VALU_DEP_1)
	v_add3_u32 v4, v5, v4, 0x7fff
                                        ; implicit-def: $vgpr5
; %bb.1691:                             ;   in Loop: Header=BB438_998 Depth=1
	s_and_not1_saveexec_b32 s12, s0
; %bb.1692:                             ;   in Loop: Header=BB438_998 Depth=1
	v_and_b32_e32 v4, 0xffff, v5
	v_or_b32_e32 v6, 0x10000, v5
	s_delay_alu instid0(VALU_DEP_2) | instskip(NEXT) | instid1(VALU_DEP_1)
	v_cmp_eq_u32_e64 s0, 0, v4
	v_cndmask_b32_e64 v4, v6, v5, s0
; %bb.1693:                             ;   in Loop: Header=BB438_998 Depth=1
	s_or_b32 exec_lo, exec_lo, s12
	v_lshrrev_b16 v6, 8, v2
	v_mov_b32_e32 v5, 0
	s_mov_b32 s12, exec_lo
	s_delay_alu instid0(VALU_DEP_2)
	v_cmpx_ne_u16_e32 0, v6
	s_cbranch_execz .LBB438_1701
; %bb.1694:                             ;   in Loop: Header=BB438_998 Depth=1
	v_bfrev_b32_e32 v5, 1
	s_mov_b32 s13, exec_lo
	v_cmpx_ne_u16_e32 0x80, v6
	s_cbranch_execz .LBB438_1700
; %bb.1695:                             ;   in Loop: Header=BB438_998 Depth=1
	v_and_b32_e32 v7, 0xffff, v6
	v_mov_b32_e32 v5, 0x7f800001
	s_mov_b32 s15, exec_lo
	s_delay_alu instid0(VALU_DEP_2) | instskip(NEXT) | instid1(VALU_DEP_1)
	v_and_b32_e32 v6, 0x7f, v7
	v_cmpx_ne_u32_e32 0x7f, v6
	s_cbranch_execz .LBB438_1699
; %bb.1696:                             ;   in Loop: Header=BB438_998 Depth=1
	v_and_b32_e32 v9, 7, v7
	v_lshrrev_b32_e32 v5, 3, v6
	s_mov_b32 s16, exec_lo
	v_cmpx_gt_u32_e32 8, v6
; %bb.1697:                             ;   in Loop: Header=BB438_998 Depth=1
	s_delay_alu instid0(VALU_DEP_3) | instskip(NEXT) | instid1(VALU_DEP_1)
	v_clz_i32_u32_e32 v5, v9
	v_min_u32_e32 v5, 32, v5
	s_delay_alu instid0(VALU_DEP_1) | instskip(SKIP_1) | instid1(VALU_DEP_2)
	v_subrev_nc_u32_e32 v6, 28, v5
	v_sub_nc_u32_e32 v5, 29, v5
	v_lshlrev_b64 v[6:7], v6, v[9:10]
	s_delay_alu instid0(VALU_DEP_1)
	v_and_b32_e32 v9, 7, v6
; %bb.1698:                             ;   in Loop: Header=BB438_998 Depth=1
	s_or_b32 exec_lo, exec_lo, s16
	v_lshlrev_b32_e32 v6, 16, v2
	s_delay_alu instid0(VALU_DEP_2) | instskip(SKIP_1) | instid1(VALU_DEP_3)
	v_lshlrev_b32_e32 v7, 20, v9
	v_lshl_add_u32 v5, v5, 23, 0x3c000000
	v_and_b32_e32 v6, 0x80000000, v6
	s_delay_alu instid0(VALU_DEP_1)
	v_or3_b32 v5, v7, v6, v5
.LBB438_1699:                           ;   in Loop: Header=BB438_998 Depth=1
	s_or_b32 exec_lo, exec_lo, s15
.LBB438_1700:                           ;   in Loop: Header=BB438_998 Depth=1
	s_delay_alu instid0(SALU_CYCLE_1)
	s_or_b32 exec_lo, exec_lo, s13
.LBB438_1701:                           ;   in Loop: Header=BB438_998 Depth=1
	s_delay_alu instid0(SALU_CYCLE_1) | instskip(NEXT) | instid1(VALU_DEP_1)
	s_or_b32 exec_lo, exec_lo, s12
	v_mul_f32_e32 v6, v8, v5
	s_delay_alu instid0(VALU_DEP_1) | instskip(NEXT) | instid1(VALU_DEP_1)
	v_and_b32_e32 v5, 0x7f800000, v6
	v_cmp_ne_u32_e64 s0, 0x7f800000, v5
                                        ; implicit-def: $vgpr5
	s_delay_alu instid0(VALU_DEP_1) | instskip(NEXT) | instid1(SALU_CYCLE_1)
	s_and_saveexec_b32 s12, s0
	s_xor_b32 s0, exec_lo, s12
; %bb.1702:                             ;   in Loop: Header=BB438_998 Depth=1
	v_bfe_u32 v5, v6, 16, 1
	s_delay_alu instid0(VALU_DEP_1)
	v_add3_u32 v5, v6, v5, 0x7fff
                                        ; implicit-def: $vgpr6
; %bb.1703:                             ;   in Loop: Header=BB438_998 Depth=1
	s_and_not1_saveexec_b32 s12, s0
; %bb.1704:                             ;   in Loop: Header=BB438_998 Depth=1
	v_and_b32_e32 v5, 0xffff, v6
	v_or_b32_e32 v7, 0x10000, v6
	s_delay_alu instid0(VALU_DEP_2) | instskip(NEXT) | instid1(VALU_DEP_1)
	v_cmp_eq_u32_e64 s0, 0, v5
	v_cndmask_b32_e64 v5, v7, v6, s0
; %bb.1705:                             ;   in Loop: Header=BB438_998 Depth=1
	s_or_b32 exec_lo, exec_lo, s12
	v_lshrrev_b32_e32 v6, 16, v2
	v_mov_b32_e32 v7, 0
	s_mov_b32 s12, exec_lo
	s_delay_alu instid0(VALU_DEP_2) | instskip(NEXT) | instid1(VALU_DEP_1)
	v_and_b32_e32 v9, 0xff, v6
	v_cmpx_ne_u16_e32 0, v9
	s_cbranch_execz .LBB438_1713
; %bb.1706:                             ;   in Loop: Header=BB438_998 Depth=1
	v_bfrev_b32_e32 v7, 1
	s_mov_b32 s13, exec_lo
	v_cmpx_ne_u16_e32 0x80, v9
	s_cbranch_execz .LBB438_1712
; %bb.1707:                             ;   in Loop: Header=BB438_998 Depth=1
	v_bfe_u32 v37, v2, 16, 7
	v_mov_b32_e32 v7, 0x7f800001
	s_mov_b32 s15, exec_lo
	s_delay_alu instid0(VALU_DEP_2)
	v_cmpx_ne_u32_e32 0x7f, v37
	s_cbranch_execz .LBB438_1711
; %bb.1708:                             ;   in Loop: Header=BB438_998 Depth=1
	v_and_b32_e32 v9, 7, v6
	v_lshrrev_b32_e32 v7, 3, v37
	s_mov_b32 s16, exec_lo
	v_cmpx_gt_u32_e32 8, v37
; %bb.1709:                             ;   in Loop: Header=BB438_998 Depth=1
	s_delay_alu instid0(VALU_DEP_3) | instskip(NEXT) | instid1(VALU_DEP_1)
	v_clz_i32_u32_e32 v7, v9
	v_min_u32_e32 v7, 32, v7
	s_delay_alu instid0(VALU_DEP_1) | instskip(SKIP_1) | instid1(VALU_DEP_2)
	v_subrev_nc_u32_e32 v37, 28, v7
	v_sub_nc_u32_e32 v7, 29, v7
	v_lshlrev_b64 v[176:177], v37, v[9:10]
	s_delay_alu instid0(VALU_DEP_1)
	v_and_b32_e32 v9, 7, v176
; %bb.1710:                             ;   in Loop: Header=BB438_998 Depth=1
	s_or_b32 exec_lo, exec_lo, s16
	v_lshlrev_b32_e32 v6, 24, v6
	s_delay_alu instid0(VALU_DEP_2) | instskip(SKIP_1) | instid1(VALU_DEP_3)
	v_lshlrev_b32_e32 v9, 20, v9
	v_lshl_add_u32 v7, v7, 23, 0x3c000000
	v_and_b32_e32 v6, 0x80000000, v6
	s_delay_alu instid0(VALU_DEP_1)
	v_or3_b32 v7, v9, v6, v7
.LBB438_1711:                           ;   in Loop: Header=BB438_998 Depth=1
	s_or_b32 exec_lo, exec_lo, s15
.LBB438_1712:                           ;   in Loop: Header=BB438_998 Depth=1
	s_delay_alu instid0(SALU_CYCLE_1)
	s_or_b32 exec_lo, exec_lo, s13
.LBB438_1713:                           ;   in Loop: Header=BB438_998 Depth=1
	s_delay_alu instid0(SALU_CYCLE_1) | instskip(NEXT) | instid1(VALU_DEP_1)
	s_or_b32 exec_lo, exec_lo, s12
	v_mul_f32_e32 v6, v8, v7
                                        ; implicit-def: $vgpr37
	s_delay_alu instid0(VALU_DEP_1) | instskip(NEXT) | instid1(VALU_DEP_1)
	v_and_b32_e32 v7, 0x7f800000, v6
	v_cmp_ne_u32_e64 s0, 0x7f800000, v7
	s_delay_alu instid0(VALU_DEP_1) | instskip(NEXT) | instid1(SALU_CYCLE_1)
	s_and_saveexec_b32 s12, s0
	s_xor_b32 s0, exec_lo, s12
; %bb.1714:                             ;   in Loop: Header=BB438_998 Depth=1
	v_bfe_u32 v7, v6, 16, 1
	s_delay_alu instid0(VALU_DEP_1)
	v_add3_u32 v37, v6, v7, 0x7fff
                                        ; implicit-def: $vgpr6
; %bb.1715:                             ;   in Loop: Header=BB438_998 Depth=1
	s_and_not1_saveexec_b32 s12, s0
; %bb.1716:                             ;   in Loop: Header=BB438_998 Depth=1
	v_and_b32_e32 v7, 0xffff, v6
	v_or_b32_e32 v9, 0x10000, v6
	s_delay_alu instid0(VALU_DEP_2) | instskip(NEXT) | instid1(VALU_DEP_1)
	v_cmp_eq_u32_e64 s0, 0, v7
	v_cndmask_b32_e64 v37, v9, v6, s0
; %bb.1717:                             ;   in Loop: Header=BB438_998 Depth=1
	s_or_b32 exec_lo, exec_lo, s12
	v_mov_b32_e32 v7, 0
	s_mov_b32 s12, exec_lo
	v_cmpx_lt_u32_e32 0xffffff, v2
	s_cbranch_execz .LBB438_1725
; %bb.1718:                             ;   in Loop: Header=BB438_998 Depth=1
	v_lshrrev_b32_e32 v6, 24, v2
	v_bfrev_b32_e32 v7, 1
	s_mov_b32 s13, exec_lo
	s_delay_alu instid0(VALU_DEP_2)
	v_cmpx_ne_u32_e32 0x80, v6
	s_cbranch_execz .LBB438_1724
; %bb.1719:                             ;   in Loop: Header=BB438_998 Depth=1
	v_bfe_u32 v39, v2, 24, 7
	v_mov_b32_e32 v7, 0x7f800001
	s_mov_b32 s15, exec_lo
	s_delay_alu instid0(VALU_DEP_2)
	v_cmpx_ne_u32_e32 0x7f, v39
	s_cbranch_execz .LBB438_1723
; %bb.1720:                             ;   in Loop: Header=BB438_998 Depth=1
	v_and_b32_e32 v9, 7, v6
	v_lshrrev_b32_e32 v7, 3, v39
	s_mov_b32 s16, exec_lo
	v_cmpx_gt_u32_e32 8, v39
; %bb.1721:                             ;   in Loop: Header=BB438_998 Depth=1
	s_delay_alu instid0(VALU_DEP_3) | instskip(NEXT) | instid1(VALU_DEP_1)
	v_clz_i32_u32_e32 v7, v9
	v_min_u32_e32 v7, 32, v7
	s_delay_alu instid0(VALU_DEP_1) | instskip(SKIP_1) | instid1(VALU_DEP_2)
	v_subrev_nc_u32_e32 v39, 28, v7
	v_sub_nc_u32_e32 v7, 29, v7
	v_lshlrev_b64 v[176:177], v39, v[9:10]
	s_delay_alu instid0(VALU_DEP_1)
	v_and_b32_e32 v9, 7, v176
; %bb.1722:                             ;   in Loop: Header=BB438_998 Depth=1
	s_or_b32 exec_lo, exec_lo, s16
	v_lshlrev_b32_e32 v6, 24, v6
	s_delay_alu instid0(VALU_DEP_2) | instskip(SKIP_1) | instid1(VALU_DEP_3)
	v_lshlrev_b32_e32 v9, 20, v9
	v_lshl_add_u32 v7, v7, 23, 0x3c000000
	v_and_b32_e32 v6, 0x80000000, v6
	s_delay_alu instid0(VALU_DEP_1)
	v_or3_b32 v7, v9, v6, v7
.LBB438_1723:                           ;   in Loop: Header=BB438_998 Depth=1
	s_or_b32 exec_lo, exec_lo, s15
.LBB438_1724:                           ;   in Loop: Header=BB438_998 Depth=1
	s_delay_alu instid0(SALU_CYCLE_1)
	s_or_b32 exec_lo, exec_lo, s13
.LBB438_1725:                           ;   in Loop: Header=BB438_998 Depth=1
	s_delay_alu instid0(SALU_CYCLE_1) | instskip(NEXT) | instid1(VALU_DEP_1)
	s_or_b32 exec_lo, exec_lo, s12
	v_mul_f32_e32 v6, v8, v7
                                        ; implicit-def: $vgpr39
	s_delay_alu instid0(VALU_DEP_1) | instskip(NEXT) | instid1(VALU_DEP_1)
	v_and_b32_e32 v7, 0x7f800000, v6
	v_cmp_ne_u32_e64 s0, 0x7f800000, v7
	s_delay_alu instid0(VALU_DEP_1) | instskip(NEXT) | instid1(SALU_CYCLE_1)
	s_and_saveexec_b32 s12, s0
	s_xor_b32 s0, exec_lo, s12
; %bb.1726:                             ;   in Loop: Header=BB438_998 Depth=1
	v_bfe_u32 v7, v6, 16, 1
	s_delay_alu instid0(VALU_DEP_1)
	v_add3_u32 v39, v6, v7, 0x7fff
                                        ; implicit-def: $vgpr6
; %bb.1727:                             ;   in Loop: Header=BB438_998 Depth=1
	s_and_not1_saveexec_b32 s12, s0
; %bb.1728:                             ;   in Loop: Header=BB438_998 Depth=1
	v_and_b32_e32 v7, 0xffff, v6
	v_or_b32_e32 v9, 0x10000, v6
	s_delay_alu instid0(VALU_DEP_2) | instskip(NEXT) | instid1(VALU_DEP_1)
	v_cmp_eq_u32_e64 s0, 0, v7
	v_cndmask_b32_e64 v39, v9, v6, s0
; %bb.1729:                             ;   in Loop: Header=BB438_998 Depth=1
	s_or_b32 exec_lo, exec_lo, s12
	v_dual_mov_b32 v6, 0 :: v_dual_and_b32 v7, 0xff, v3
	v_mov_b32_e32 v9, v3
	s_mov_b32 s12, exec_lo
	s_delay_alu instid0(VALU_DEP_2)
	v_cmpx_ne_u16_e32 0, v7
	s_cbranch_execz .LBB438_1737
; %bb.1730:                             ;   in Loop: Header=BB438_998 Depth=1
	v_bfrev_b32_e32 v6, 1
	s_mov_b32 s13, exec_lo
	v_cmpx_ne_u16_e32 0x80, v7
	s_cbranch_execz .LBB438_1736
; %bb.1731:                             ;   in Loop: Header=BB438_998 Depth=1
	v_and_b32_e32 v7, 0x7f, v3
	v_mov_b32_e32 v6, 0x7f800001
	s_mov_b32 s15, exec_lo
	s_delay_alu instid0(VALU_DEP_2)
	v_cmpx_ne_u32_e32 0x7f, v7
	s_cbranch_execz .LBB438_1735
; %bb.1732:                             ;   in Loop: Header=BB438_998 Depth=1
	v_lshrrev_b32_e32 v48, 3, v7
	v_cmp_gt_u32_e64 s0, 8, v7
	v_dual_mov_b32 v6, v9 :: v_dual_mov_b32 v7, v10
	s_delay_alu instid0(VALU_DEP_2)
	s_and_saveexec_b32 s16, s0
; %bb.1733:                             ;   in Loop: Header=BB438_998 Depth=1
	v_and_b32_e32 v6, 7, v3
	s_delay_alu instid0(VALU_DEP_1) | instskip(NEXT) | instid1(VALU_DEP_1)
	v_clz_i32_u32_e32 v6, v6
	v_min_u32_e32 v48, 32, v6
	s_delay_alu instid0(VALU_DEP_1) | instskip(SKIP_1) | instid1(VALU_DEP_2)
	v_subrev_nc_u32_e32 v6, 28, v48
	v_sub_nc_u32_e32 v48, 29, v48
	v_lshlrev_b64 v[6:7], v6, v[9:10]
; %bb.1734:                             ;   in Loop: Header=BB438_998 Depth=1
	s_or_b32 exec_lo, exec_lo, s16
	s_delay_alu instid0(VALU_DEP_1) | instskip(SKIP_2) | instid1(VALU_DEP_3)
	v_lshlrev_b32_e32 v6, 20, v6
	v_lshlrev_b32_e32 v7, 24, v9
	v_lshl_add_u32 v48, v48, 23, 0x3c000000
	v_and_b32_e32 v6, 0x700000, v6
	s_delay_alu instid0(VALU_DEP_3) | instskip(NEXT) | instid1(VALU_DEP_1)
	v_and_b32_e32 v7, 0x80000000, v7
	v_or3_b32 v6, v6, v7, v48
.LBB438_1735:                           ;   in Loop: Header=BB438_998 Depth=1
	s_or_b32 exec_lo, exec_lo, s15
.LBB438_1736:                           ;   in Loop: Header=BB438_998 Depth=1
	s_delay_alu instid0(SALU_CYCLE_1)
	s_or_b32 exec_lo, exec_lo, s13
.LBB438_1737:                           ;   in Loop: Header=BB438_998 Depth=1
	s_delay_alu instid0(SALU_CYCLE_1) | instskip(NEXT) | instid1(VALU_DEP_1)
	s_or_b32 exec_lo, exec_lo, s12
	v_mul_f32_e32 v6, v8, v6
                                        ; implicit-def: $vgpr48
	s_delay_alu instid0(VALU_DEP_1) | instskip(NEXT) | instid1(VALU_DEP_1)
	v_and_b32_e32 v7, 0x7f800000, v6
	v_cmp_ne_u32_e64 s0, 0x7f800000, v7
	s_delay_alu instid0(VALU_DEP_1) | instskip(NEXT) | instid1(SALU_CYCLE_1)
	s_and_saveexec_b32 s12, s0
	s_xor_b32 s0, exec_lo, s12
; %bb.1738:                             ;   in Loop: Header=BB438_998 Depth=1
	v_bfe_u32 v7, v6, 16, 1
	s_delay_alu instid0(VALU_DEP_1)
	v_add3_u32 v48, v6, v7, 0x7fff
                                        ; implicit-def: $vgpr6
; %bb.1739:                             ;   in Loop: Header=BB438_998 Depth=1
	s_and_not1_saveexec_b32 s12, s0
; %bb.1740:                             ;   in Loop: Header=BB438_998 Depth=1
	v_and_b32_e32 v7, 0xffff, v6
	v_or_b32_e32 v48, 0x10000, v6
	s_delay_alu instid0(VALU_DEP_2) | instskip(NEXT) | instid1(VALU_DEP_1)
	v_cmp_eq_u32_e64 s0, 0, v7
	v_cndmask_b32_e64 v48, v48, v6, s0
; %bb.1741:                             ;   in Loop: Header=BB438_998 Depth=1
	s_or_b32 exec_lo, exec_lo, s12
	v_lshrrev_b16 v7, 8, v9
	v_mov_b32_e32 v6, 0
	s_mov_b32 s12, exec_lo
	s_delay_alu instid0(VALU_DEP_2)
	v_cmpx_ne_u16_e32 0, v7
	s_cbranch_execz .LBB438_1749
; %bb.1742:                             ;   in Loop: Header=BB438_998 Depth=1
	v_bfrev_b32_e32 v6, 1
	s_mov_b32 s13, exec_lo
	v_cmpx_ne_u16_e32 0x80, v7
	s_cbranch_execz .LBB438_1748
; %bb.1743:                             ;   in Loop: Header=BB438_998 Depth=1
	v_and_b32_e32 v7, 0xffff, v7
	v_mov_b32_e32 v6, 0x7f800001
	s_mov_b32 s15, exec_lo
	s_delay_alu instid0(VALU_DEP_2) | instskip(NEXT) | instid1(VALU_DEP_1)
	v_and_b32_e32 v177, 0x7f, v7
	v_cmpx_ne_u32_e32 0x7f, v177
	s_cbranch_execz .LBB438_1747
; %bb.1744:                             ;   in Loop: Header=BB438_998 Depth=1
	v_dual_mov_b32 v7, v10 :: v_dual_and_b32 v6, 7, v7
	v_lshrrev_b32_e32 v176, 3, v177
	s_mov_b32 s16, exec_lo
	v_cmpx_gt_u32_e32 8, v177
; %bb.1745:                             ;   in Loop: Header=BB438_998 Depth=1
	s_delay_alu instid0(VALU_DEP_3) | instskip(NEXT) | instid1(VALU_DEP_1)
	v_clz_i32_u32_e32 v176, v6
	v_min_u32_e32 v176, 32, v176
	s_delay_alu instid0(VALU_DEP_1) | instskip(SKIP_1) | instid1(VALU_DEP_2)
	v_subrev_nc_u32_e32 v177, 28, v176
	v_sub_nc_u32_e32 v176, 29, v176
	v_lshlrev_b64 v[6:7], v177, v[6:7]
	s_delay_alu instid0(VALU_DEP_1)
	v_and_b32_e32 v6, 7, v6
; %bb.1746:                             ;   in Loop: Header=BB438_998 Depth=1
	s_or_b32 exec_lo, exec_lo, s16
	v_lshlrev_b32_e32 v7, 16, v9
	s_delay_alu instid0(VALU_DEP_2) | instskip(SKIP_1) | instid1(VALU_DEP_3)
	v_lshlrev_b32_e32 v6, 20, v6
	v_lshl_add_u32 v9, v176, 23, 0x3c000000
	v_and_b32_e32 v7, 0x80000000, v7
	s_delay_alu instid0(VALU_DEP_1)
	v_or3_b32 v6, v6, v7, v9
.LBB438_1747:                           ;   in Loop: Header=BB438_998 Depth=1
	s_or_b32 exec_lo, exec_lo, s15
.LBB438_1748:                           ;   in Loop: Header=BB438_998 Depth=1
	s_delay_alu instid0(SALU_CYCLE_1)
	s_or_b32 exec_lo, exec_lo, s13
.LBB438_1749:                           ;   in Loop: Header=BB438_998 Depth=1
	s_delay_alu instid0(SALU_CYCLE_1) | instskip(NEXT) | instid1(VALU_DEP_1)
	s_or_b32 exec_lo, exec_lo, s12
	v_mul_f32_e32 v7, v8, v6
	s_delay_alu instid0(VALU_DEP_1) | instskip(NEXT) | instid1(VALU_DEP_1)
	v_and_b32_e32 v6, 0x7f800000, v7
	v_cmp_ne_u32_e64 s0, 0x7f800000, v6
                                        ; implicit-def: $vgpr6
	s_delay_alu instid0(VALU_DEP_1) | instskip(NEXT) | instid1(SALU_CYCLE_1)
	s_and_saveexec_b32 s12, s0
	s_xor_b32 s0, exec_lo, s12
; %bb.1750:                             ;   in Loop: Header=BB438_998 Depth=1
	v_bfe_u32 v6, v7, 16, 1
	s_delay_alu instid0(VALU_DEP_1)
	v_add3_u32 v6, v7, v6, 0x7fff
                                        ; implicit-def: $vgpr7
; %bb.1751:                             ;   in Loop: Header=BB438_998 Depth=1
	s_and_not1_saveexec_b32 s12, s0
; %bb.1752:                             ;   in Loop: Header=BB438_998 Depth=1
	v_and_b32_e32 v6, 0xffff, v7
	v_or_b32_e32 v9, 0x10000, v7
	s_delay_alu instid0(VALU_DEP_2) | instskip(NEXT) | instid1(VALU_DEP_1)
	v_cmp_eq_u32_e64 s0, 0, v6
	v_cndmask_b32_e64 v6, v9, v7, s0
; %bb.1753:                             ;   in Loop: Header=BB438_998 Depth=1
	s_or_b32 exec_lo, exec_lo, s12
	v_lshrrev_b32_e32 v7, 16, v3
	s_mov_b32 s12, exec_lo
	s_delay_alu instid0(VALU_DEP_1) | instskip(NEXT) | instid1(VALU_DEP_1)
	v_dual_mov_b32 v9, 0 :: v_dual_and_b32 v176, 0xff, v7
	v_cmpx_ne_u16_e64 0, v176
	s_cbranch_execz .LBB438_1761
; %bb.1754:                             ;   in Loop: Header=BB438_998 Depth=1
	v_bfrev_b32_e32 v9, 1
	s_mov_b32 s13, exec_lo
	v_cmpx_ne_u16_e64 0x80, v176
	s_cbranch_execz .LBB438_1760
; %bb.1755:                             ;   in Loop: Header=BB438_998 Depth=1
	v_bfe_u32 v177, v3, 16, 7
	v_mov_b32_e32 v9, 0x7f800001
	s_mov_b32 s15, exec_lo
	s_delay_alu instid0(VALU_DEP_2)
	v_cmpx_ne_u32_e32 0x7f, v177
	s_cbranch_execz .LBB438_1759
; %bb.1756:                             ;   in Loop: Header=BB438_998 Depth=1
	v_and_b32_e32 v9, 7, v7
	v_lshrrev_b32_e32 v176, 3, v177
	s_mov_b32 s16, exec_lo
	v_cmpx_gt_u32_e32 8, v177
; %bb.1757:                             ;   in Loop: Header=BB438_998 Depth=1
	s_delay_alu instid0(VALU_DEP_3) | instskip(NEXT) | instid1(VALU_DEP_1)
	v_clz_i32_u32_e32 v176, v9
	v_min_u32_e32 v176, 32, v176
	s_delay_alu instid0(VALU_DEP_1) | instskip(SKIP_1) | instid1(VALU_DEP_2)
	v_subrev_nc_u32_e32 v177, 28, v176
	v_sub_nc_u32_e32 v176, 29, v176
	v_lshlrev_b64 v[177:178], v177, v[9:10]
	s_delay_alu instid0(VALU_DEP_1)
	v_and_b32_e32 v9, 7, v177
; %bb.1758:                             ;   in Loop: Header=BB438_998 Depth=1
	s_or_b32 exec_lo, exec_lo, s16
	v_lshlrev_b32_e32 v7, 24, v7
	s_delay_alu instid0(VALU_DEP_2) | instskip(SKIP_1) | instid1(VALU_DEP_3)
	v_lshlrev_b32_e32 v9, 20, v9
	v_lshl_add_u32 v176, v176, 23, 0x3c000000
	v_and_b32_e32 v7, 0x80000000, v7
	s_delay_alu instid0(VALU_DEP_1)
	v_or3_b32 v9, v9, v7, v176
.LBB438_1759:                           ;   in Loop: Header=BB438_998 Depth=1
	s_or_b32 exec_lo, exec_lo, s15
.LBB438_1760:                           ;   in Loop: Header=BB438_998 Depth=1
	s_delay_alu instid0(SALU_CYCLE_1)
	s_or_b32 exec_lo, exec_lo, s13
.LBB438_1761:                           ;   in Loop: Header=BB438_998 Depth=1
	s_delay_alu instid0(SALU_CYCLE_1) | instskip(NEXT) | instid1(VALU_DEP_1)
	s_or_b32 exec_lo, exec_lo, s12
	v_mul_f32_e32 v7, v8, v9
                                        ; implicit-def: $vgpr176
	s_delay_alu instid0(VALU_DEP_1) | instskip(NEXT) | instid1(VALU_DEP_1)
	v_and_b32_e32 v9, 0x7f800000, v7
	v_cmp_ne_u32_e64 s0, 0x7f800000, v9
	s_delay_alu instid0(VALU_DEP_1) | instskip(NEXT) | instid1(SALU_CYCLE_1)
	s_and_saveexec_b32 s12, s0
	s_xor_b32 s0, exec_lo, s12
; %bb.1762:                             ;   in Loop: Header=BB438_998 Depth=1
	v_bfe_u32 v9, v7, 16, 1
	s_delay_alu instid0(VALU_DEP_1)
	v_add3_u32 v176, v7, v9, 0x7fff
                                        ; implicit-def: $vgpr7
; %bb.1763:                             ;   in Loop: Header=BB438_998 Depth=1
	s_and_not1_saveexec_b32 s12, s0
; %bb.1764:                             ;   in Loop: Header=BB438_998 Depth=1
	v_and_b32_e32 v9, 0xffff, v7
	v_or_b32_e32 v176, 0x10000, v7
	s_delay_alu instid0(VALU_DEP_2) | instskip(NEXT) | instid1(VALU_DEP_1)
	v_cmp_eq_u32_e64 s0, 0, v9
	v_cndmask_b32_e64 v176, v176, v7, s0
; %bb.1765:                             ;   in Loop: Header=BB438_998 Depth=1
	s_or_b32 exec_lo, exec_lo, s12
	v_mov_b32_e32 v7, 0
	s_mov_b32 s12, exec_lo
	v_cmpx_lt_u64_e64 s[8:9], v[2:3]
	s_cbranch_execz .LBB438_1773
; %bb.1766:                             ;   in Loop: Header=BB438_998 Depth=1
	v_lshrrev_b32_e32 v2, 24, v3
	v_bfrev_b32_e32 v7, 1
	s_mov_b32 s13, exec_lo
	s_delay_alu instid0(VALU_DEP_2)
	v_cmpx_ne_u32_e32 0x80, v2
	s_cbranch_execz .LBB438_1772
; %bb.1767:                             ;   in Loop: Header=BB438_998 Depth=1
	v_bfe_u32 v177, v3, 24, 7
	v_mov_b32_e32 v7, 0x7f800001
	s_mov_b32 s15, exec_lo
	s_delay_alu instid0(VALU_DEP_2)
	v_cmpx_ne_u32_e32 0x7f, v177
	s_cbranch_execz .LBB438_1771
; %bb.1768:                             ;   in Loop: Header=BB438_998 Depth=1
	v_and_b32_e32 v9, 7, v2
	v_lshrrev_b32_e32 v3, 3, v177
	s_mov_b32 s16, exec_lo
	v_cmpx_gt_u32_e32 8, v177
; %bb.1769:                             ;   in Loop: Header=BB438_998 Depth=1
	s_delay_alu instid0(VALU_DEP_3) | instskip(NEXT) | instid1(VALU_DEP_1)
	v_clz_i32_u32_e32 v3, v9
	v_min_u32_e32 v3, 32, v3
	s_delay_alu instid0(VALU_DEP_1) | instskip(SKIP_1) | instid1(VALU_DEP_2)
	v_subrev_nc_u32_e32 v7, 28, v3
	v_sub_nc_u32_e32 v3, 29, v3
	v_lshlrev_b64 v[177:178], v7, v[9:10]
	s_delay_alu instid0(VALU_DEP_1)
	v_and_b32_e32 v9, 7, v177
; %bb.1770:                             ;   in Loop: Header=BB438_998 Depth=1
	s_or_b32 exec_lo, exec_lo, s16
	v_lshlrev_b32_e32 v2, 24, v2
	s_delay_alu instid0(VALU_DEP_2) | instskip(SKIP_1) | instid1(VALU_DEP_3)
	v_lshlrev_b32_e32 v7, 20, v9
	v_lshl_add_u32 v3, v3, 23, 0x3c000000
	v_and_b32_e32 v2, 0x80000000, v2
	s_delay_alu instid0(VALU_DEP_1)
	v_or3_b32 v7, v7, v2, v3
.LBB438_1771:                           ;   in Loop: Header=BB438_998 Depth=1
	s_or_b32 exec_lo, exec_lo, s15
.LBB438_1772:                           ;   in Loop: Header=BB438_998 Depth=1
	s_delay_alu instid0(SALU_CYCLE_1)
	s_or_b32 exec_lo, exec_lo, s13
.LBB438_1773:                           ;   in Loop: Header=BB438_998 Depth=1
	s_delay_alu instid0(SALU_CYCLE_1) | instskip(NEXT) | instid1(VALU_DEP_1)
	s_or_b32 exec_lo, exec_lo, s12
	v_mul_f32_e32 v3, v8, v7
	s_delay_alu instid0(VALU_DEP_1) | instskip(NEXT) | instid1(VALU_DEP_1)
	v_and_b32_e32 v2, 0x7f800000, v3
	v_cmp_ne_u32_e64 s0, 0x7f800000, v2
                                        ; implicit-def: $vgpr2
	s_delay_alu instid0(VALU_DEP_1) | instskip(NEXT) | instid1(SALU_CYCLE_1)
	s_and_saveexec_b32 s12, s0
	s_xor_b32 s0, exec_lo, s12
; %bb.1774:                             ;   in Loop: Header=BB438_998 Depth=1
	v_bfe_u32 v2, v3, 16, 1
	s_delay_alu instid0(VALU_DEP_1)
	v_add3_u32 v2, v3, v2, 0x7fff
                                        ; implicit-def: $vgpr3
; %bb.1775:                             ;   in Loop: Header=BB438_998 Depth=1
	s_and_not1_saveexec_b32 s12, s0
; %bb.1776:                             ;   in Loop: Header=BB438_998 Depth=1
	v_and_b32_e32 v2, 0xffff, v3
	v_or_b32_e32 v7, 0x10000, v3
	s_delay_alu instid0(VALU_DEP_2) | instskip(NEXT) | instid1(VALU_DEP_1)
	v_cmp_eq_u32_e64 s0, 0, v2
	v_cndmask_b32_e64 v2, v7, v3, s0
; %bb.1777:                             ;   in Loop: Header=BB438_998 Depth=1
	s_or_b32 exec_lo, exec_lo, s12
	v_lshrrev_b32_e32 v6, 16, v6
	v_lshrrev_b32_e32 v7, 16, v48
	;; [unrolled: 1-line block ×8, first 2 shown]
	s_and_saveexec_b32 s12, vcc_lo
	s_cbranch_execz .LBB438_1779
; %bb.1778:                             ;   in Loop: Header=BB438_998 Depth=1
	v_cmp_lt_i32_e64 s0, v80, v38
	s_delay_alu instid0(VALU_DEP_1) | instskip(SKIP_1) | instid1(VALU_DEP_1)
	v_cndmask_b32_e64 v4, 0, v4, s0
	v_cmp_lt_i32_e64 s0, v87, v38
	v_cndmask_b32_e64 v5, 0, v5, s0
	v_cmp_lt_i32_e64 s0, v86, v38
	s_delay_alu instid0(VALU_DEP_1) | instskip(SKIP_1) | instid1(VALU_DEP_1)
	v_cndmask_b32_e64 v37, 0, v37, s0
	v_cmp_lt_i32_e64 s0, v85, v38
	v_cndmask_b32_e64 v9, 0, v9, s0
	;; [unrolled: 5-line block ×4, first 2 shown]
.LBB438_1779:                           ;   in Loop: Header=BB438_998 Depth=1
	s_or_b32 exec_lo, exec_lo, s12
	v_lshlrev_b32_e32 v4, 16, v4
                                        ; implicit-def: $vgpr176
	s_delay_alu instid0(VALU_DEP_1) | instskip(NEXT) | instid1(VALU_DEP_1)
	v_mul_f32_e32 v4, v96, v4
	v_and_b32_e32 v39, 0x7f800000, v4
	s_delay_alu instid0(VALU_DEP_1) | instskip(NEXT) | instid1(VALU_DEP_1)
	v_cmp_ne_u32_e64 s0, 0x7f800000, v39
	s_and_saveexec_b32 s12, s0
	s_delay_alu instid0(SALU_CYCLE_1)
	s_xor_b32 s0, exec_lo, s12
; %bb.1780:                             ;   in Loop: Header=BB438_998 Depth=1
	v_bfe_u32 v39, v4, 16, 1
	s_delay_alu instid0(VALU_DEP_1)
	v_add3_u32 v176, v4, v39, 0x7fff
                                        ; implicit-def: $vgpr4
; %bb.1781:                             ;   in Loop: Header=BB438_998 Depth=1
	s_and_not1_saveexec_b32 s12, s0
; %bb.1782:                             ;   in Loop: Header=BB438_998 Depth=1
	v_and_b32_e32 v39, 0xffff, v4
	v_or_b32_e32 v48, 0x10000, v4
	s_delay_alu instid0(VALU_DEP_2) | instskip(NEXT) | instid1(VALU_DEP_1)
	v_cmp_eq_u32_e64 s0, 0, v39
	v_cndmask_b32_e64 v176, v48, v4, s0
; %bb.1783:                             ;   in Loop: Header=BB438_998 Depth=1
	s_or_b32 exec_lo, exec_lo, s12
	v_lshlrev_b32_e32 v4, 16, v5
                                        ; implicit-def: $vgpr177
	s_delay_alu instid0(VALU_DEP_1) | instskip(NEXT) | instid1(VALU_DEP_1)
	v_mul_f32_e32 v4, v97, v4
	v_and_b32_e32 v5, 0x7f800000, v4
	s_delay_alu instid0(VALU_DEP_1) | instskip(NEXT) | instid1(VALU_DEP_1)
	v_cmp_ne_u32_e64 s0, 0x7f800000, v5
	s_and_saveexec_b32 s12, s0
	s_delay_alu instid0(SALU_CYCLE_1)
	s_xor_b32 s0, exec_lo, s12
; %bb.1784:                             ;   in Loop: Header=BB438_998 Depth=1
	v_bfe_u32 v5, v4, 16, 1
	s_delay_alu instid0(VALU_DEP_1)
	v_add3_u32 v177, v4, v5, 0x7fff
                                        ; implicit-def: $vgpr4
; %bb.1785:                             ;   in Loop: Header=BB438_998 Depth=1
	s_and_not1_saveexec_b32 s12, s0
; %bb.1786:                             ;   in Loop: Header=BB438_998 Depth=1
	v_and_b32_e32 v5, 0xffff, v4
	v_or_b32_e32 v39, 0x10000, v4
	s_delay_alu instid0(VALU_DEP_2) | instskip(NEXT) | instid1(VALU_DEP_1)
	v_cmp_eq_u32_e64 s0, 0, v5
	v_cndmask_b32_e64 v177, v39, v4, s0
; %bb.1787:                             ;   in Loop: Header=BB438_998 Depth=1
	s_or_b32 exec_lo, exec_lo, s12
	v_lshlrev_b32_e32 v4, 16, v37
                                        ; implicit-def: $vgpr178
	s_delay_alu instid0(VALU_DEP_1) | instskip(NEXT) | instid1(VALU_DEP_1)
	v_mul_f32_e32 v4, v98, v4
	v_and_b32_e32 v5, 0x7f800000, v4
	s_delay_alu instid0(VALU_DEP_1) | instskip(NEXT) | instid1(VALU_DEP_1)
	v_cmp_ne_u32_e64 s0, 0x7f800000, v5
	s_and_saveexec_b32 s12, s0
	s_delay_alu instid0(SALU_CYCLE_1)
	s_xor_b32 s0, exec_lo, s12
; %bb.1788:                             ;   in Loop: Header=BB438_998 Depth=1
	v_bfe_u32 v5, v4, 16, 1
	s_delay_alu instid0(VALU_DEP_1)
	v_add3_u32 v178, v4, v5, 0x7fff
                                        ; implicit-def: $vgpr4
; %bb.1789:                             ;   in Loop: Header=BB438_998 Depth=1
	s_and_not1_saveexec_b32 s12, s0
; %bb.1790:                             ;   in Loop: Header=BB438_998 Depth=1
	v_and_b32_e32 v5, 0xffff, v4
	v_or_b32_e32 v37, 0x10000, v4
	s_delay_alu instid0(VALU_DEP_2) | instskip(NEXT) | instid1(VALU_DEP_1)
	v_cmp_eq_u32_e64 s0, 0, v5
	v_cndmask_b32_e64 v178, v37, v4, s0
; %bb.1791:                             ;   in Loop: Header=BB438_998 Depth=1
	s_or_b32 exec_lo, exec_lo, s12
	v_lshlrev_b32_e32 v4, 16, v9
                                        ; implicit-def: $vgpr179
	s_delay_alu instid0(VALU_DEP_1) | instskip(NEXT) | instid1(VALU_DEP_1)
	v_mul_f32_e32 v4, v99, v4
	v_and_b32_e32 v5, 0x7f800000, v4
	s_delay_alu instid0(VALU_DEP_1) | instskip(NEXT) | instid1(VALU_DEP_1)
	v_cmp_ne_u32_e64 s0, 0x7f800000, v5
	s_and_saveexec_b32 s12, s0
	s_delay_alu instid0(SALU_CYCLE_1)
	s_xor_b32 s0, exec_lo, s12
; %bb.1792:                             ;   in Loop: Header=BB438_998 Depth=1
	v_bfe_u32 v5, v4, 16, 1
	s_delay_alu instid0(VALU_DEP_1)
	v_add3_u32 v179, v4, v5, 0x7fff
                                        ; implicit-def: $vgpr4
; %bb.1793:                             ;   in Loop: Header=BB438_998 Depth=1
	s_and_not1_saveexec_b32 s12, s0
; %bb.1794:                             ;   in Loop: Header=BB438_998 Depth=1
	v_and_b32_e32 v5, 0xffff, v4
	v_or_b32_e32 v9, 0x10000, v4
	s_delay_alu instid0(VALU_DEP_2) | instskip(NEXT) | instid1(VALU_DEP_1)
	v_cmp_eq_u32_e64 s0, 0, v5
	v_cndmask_b32_e64 v179, v9, v4, s0
; %bb.1795:                             ;   in Loop: Header=BB438_998 Depth=1
	s_or_b32 exec_lo, exec_lo, s12
	v_lshlrev_b32_e32 v4, 16, v7
                                        ; implicit-def: $vgpr180
	s_delay_alu instid0(VALU_DEP_1) | instskip(NEXT) | instid1(VALU_DEP_1)
	v_mul_f32_e32 v4, v100, v4
	v_and_b32_e32 v5, 0x7f800000, v4
	s_delay_alu instid0(VALU_DEP_1) | instskip(NEXT) | instid1(VALU_DEP_1)
	v_cmp_ne_u32_e64 s0, 0x7f800000, v5
	s_and_saveexec_b32 s12, s0
	s_delay_alu instid0(SALU_CYCLE_1)
	s_xor_b32 s0, exec_lo, s12
; %bb.1796:                             ;   in Loop: Header=BB438_998 Depth=1
	v_bfe_u32 v5, v4, 16, 1
	s_delay_alu instid0(VALU_DEP_1)
	v_add3_u32 v180, v4, v5, 0x7fff
                                        ; implicit-def: $vgpr4
; %bb.1797:                             ;   in Loop: Header=BB438_998 Depth=1
	s_and_not1_saveexec_b32 s12, s0
; %bb.1798:                             ;   in Loop: Header=BB438_998 Depth=1
	v_and_b32_e32 v5, 0xffff, v4
	v_or_b32_e32 v7, 0x10000, v4
	s_delay_alu instid0(VALU_DEP_2) | instskip(NEXT) | instid1(VALU_DEP_1)
	v_cmp_eq_u32_e64 s0, 0, v5
	v_cndmask_b32_e64 v180, v7, v4, s0
; %bb.1799:                             ;   in Loop: Header=BB438_998 Depth=1
	s_or_b32 exec_lo, exec_lo, s12
	v_lshlrev_b32_e32 v4, 16, v6
                                        ; implicit-def: $vgpr181
	s_delay_alu instid0(VALU_DEP_1) | instskip(NEXT) | instid1(VALU_DEP_1)
	v_mul_f32_e32 v4, v101, v4
	v_and_b32_e32 v5, 0x7f800000, v4
	s_delay_alu instid0(VALU_DEP_1) | instskip(NEXT) | instid1(VALU_DEP_1)
	v_cmp_ne_u32_e64 s0, 0x7f800000, v5
	s_and_saveexec_b32 s12, s0
	s_delay_alu instid0(SALU_CYCLE_1)
	s_xor_b32 s0, exec_lo, s12
; %bb.1800:                             ;   in Loop: Header=BB438_998 Depth=1
	v_bfe_u32 v5, v4, 16, 1
	s_delay_alu instid0(VALU_DEP_1)
	v_add3_u32 v181, v4, v5, 0x7fff
                                        ; implicit-def: $vgpr4
; %bb.1801:                             ;   in Loop: Header=BB438_998 Depth=1
	s_and_not1_saveexec_b32 s12, s0
; %bb.1802:                             ;   in Loop: Header=BB438_998 Depth=1
	v_and_b32_e32 v5, 0xffff, v4
	v_or_b32_e32 v6, 0x10000, v4
	s_delay_alu instid0(VALU_DEP_2) | instskip(NEXT) | instid1(VALU_DEP_1)
	v_cmp_eq_u32_e64 s0, 0, v5
	v_cndmask_b32_e64 v181, v6, v4, s0
; %bb.1803:                             ;   in Loop: Header=BB438_998 Depth=1
	s_or_b32 exec_lo, exec_lo, s12
	v_lshlrev_b32_e32 v3, 16, v3
                                        ; implicit-def: $vgpr182
	s_delay_alu instid0(VALU_DEP_1) | instskip(NEXT) | instid1(VALU_DEP_1)
	v_mul_f32_e32 v3, v102, v3
	v_and_b32_e32 v4, 0x7f800000, v3
	s_delay_alu instid0(VALU_DEP_1) | instskip(NEXT) | instid1(VALU_DEP_1)
	v_cmp_ne_u32_e64 s0, 0x7f800000, v4
	s_and_saveexec_b32 s12, s0
	s_delay_alu instid0(SALU_CYCLE_1)
	s_xor_b32 s0, exec_lo, s12
; %bb.1804:                             ;   in Loop: Header=BB438_998 Depth=1
	v_bfe_u32 v4, v3, 16, 1
	s_delay_alu instid0(VALU_DEP_1)
	v_add3_u32 v182, v3, v4, 0x7fff
                                        ; implicit-def: $vgpr3
; %bb.1805:                             ;   in Loop: Header=BB438_998 Depth=1
	s_and_not1_saveexec_b32 s12, s0
; %bb.1806:                             ;   in Loop: Header=BB438_998 Depth=1
	v_and_b32_e32 v4, 0xffff, v3
	v_or_b32_e32 v5, 0x10000, v3
	s_delay_alu instid0(VALU_DEP_2) | instskip(NEXT) | instid1(VALU_DEP_1)
	v_cmp_eq_u32_e64 s0, 0, v4
	v_cndmask_b32_e64 v182, v5, v3, s0
; %bb.1807:                             ;   in Loop: Header=BB438_998 Depth=1
	s_or_b32 exec_lo, exec_lo, s12
	v_lshlrev_b32_e32 v2, 16, v2
                                        ; implicit-def: $vgpr183
	s_delay_alu instid0(VALU_DEP_1) | instskip(NEXT) | instid1(VALU_DEP_1)
	v_mul_f32_e32 v2, v103, v2
	v_and_b32_e32 v3, 0x7f800000, v2
	s_delay_alu instid0(VALU_DEP_1) | instskip(NEXT) | instid1(VALU_DEP_1)
	v_cmp_ne_u32_e64 s0, 0x7f800000, v3
	s_and_saveexec_b32 s12, s0
	s_delay_alu instid0(SALU_CYCLE_1)
	s_xor_b32 s0, exec_lo, s12
; %bb.1808:                             ;   in Loop: Header=BB438_998 Depth=1
	v_bfe_u32 v3, v2, 16, 1
	s_delay_alu instid0(VALU_DEP_1)
	v_add3_u32 v183, v2, v3, 0x7fff
                                        ; implicit-def: $vgpr2
; %bb.1809:                             ;   in Loop: Header=BB438_998 Depth=1
	s_and_not1_saveexec_b32 s12, s0
; %bb.1810:                             ;   in Loop: Header=BB438_998 Depth=1
	v_and_b32_e32 v3, 0xffff, v2
	v_or_b32_e32 v4, 0x10000, v2
	s_delay_alu instid0(VALU_DEP_2) | instskip(NEXT) | instid1(VALU_DEP_1)
	v_cmp_eq_u32_e64 s0, 0, v3
	v_cndmask_b32_e64 v183, v4, v2, s0
; %bb.1811:                             ;   in Loop: Header=BB438_998 Depth=1
	s_or_b32 exec_lo, exec_lo, s12
	flat_load_b64 v[2:3], v[0:1] offset:1536
	s_mov_b32 s12, exec_lo
	s_waitcnt vmcnt(0) lgkmcnt(0)
	v_dual_mov_b32 v4, 0 :: v_dual_and_b32 v5, 0xff, v2
	s_delay_alu instid0(VALU_DEP_1)
	v_cmpx_ne_u16_e32 0, v5
	s_cbranch_execz .LBB438_1819
; %bb.1812:                             ;   in Loop: Header=BB438_998 Depth=1
	v_bfrev_b32_e32 v4, 1
	s_mov_b32 s13, exec_lo
	v_cmpx_ne_u16_e32 0x80, v5
	s_cbranch_execz .LBB438_1818
; %bb.1813:                             ;   in Loop: Header=BB438_998 Depth=1
	v_and_b32_e32 v5, 0x7f, v2
	v_mov_b32_e32 v4, 0x7f800001
	s_mov_b32 s15, exec_lo
	s_delay_alu instid0(VALU_DEP_2)
	v_cmpx_ne_u32_e32 0x7f, v5
	s_cbranch_execz .LBB438_1817
; %bb.1814:                             ;   in Loop: Header=BB438_998 Depth=1
	v_lshrrev_b32_e32 v4, 3, v5
	v_dual_mov_b32 v7, v3 :: v_dual_mov_b32 v6, v2
	s_mov_b32 s16, exec_lo
	v_cmpx_gt_u32_e32 8, v5
; %bb.1815:                             ;   in Loop: Header=BB438_998 Depth=1
	v_and_b32_e32 v4, 7, v2
	s_delay_alu instid0(VALU_DEP_1) | instskip(NEXT) | instid1(VALU_DEP_1)
	v_clz_i32_u32_e32 v4, v4
	v_min_u32_e32 v4, 32, v4
	s_delay_alu instid0(VALU_DEP_1) | instskip(SKIP_1) | instid1(VALU_DEP_2)
	v_subrev_nc_u32_e32 v5, 28, v4
	v_sub_nc_u32_e32 v4, 29, v4
	v_lshlrev_b64 v[6:7], v5, v[2:3]
; %bb.1816:                             ;   in Loop: Header=BB438_998 Depth=1
	s_or_b32 exec_lo, exec_lo, s16
	s_delay_alu instid0(VALU_DEP_1) | instskip(SKIP_2) | instid1(VALU_DEP_3)
	v_lshlrev_b32_e32 v5, 20, v6
	v_lshlrev_b32_e32 v6, 24, v2
	v_lshl_add_u32 v4, v4, 23, 0x3c000000
	v_and_b32_e32 v5, 0x700000, v5
	s_delay_alu instid0(VALU_DEP_3) | instskip(NEXT) | instid1(VALU_DEP_1)
	v_and_b32_e32 v6, 0x80000000, v6
	v_or3_b32 v4, v5, v6, v4
.LBB438_1817:                           ;   in Loop: Header=BB438_998 Depth=1
	s_or_b32 exec_lo, exec_lo, s15
.LBB438_1818:                           ;   in Loop: Header=BB438_998 Depth=1
	s_delay_alu instid0(SALU_CYCLE_1)
	s_or_b32 exec_lo, exec_lo, s13
.LBB438_1819:                           ;   in Loop: Header=BB438_998 Depth=1
	s_delay_alu instid0(SALU_CYCLE_1) | instskip(NEXT) | instid1(VALU_DEP_1)
	s_or_b32 exec_lo, exec_lo, s12
	v_mul_f32_e32 v5, v8, v4
	s_delay_alu instid0(VALU_DEP_1) | instskip(NEXT) | instid1(VALU_DEP_1)
	v_and_b32_e32 v4, 0x7f800000, v5
	v_cmp_ne_u32_e64 s0, 0x7f800000, v4
                                        ; implicit-def: $vgpr4
	s_delay_alu instid0(VALU_DEP_1) | instskip(NEXT) | instid1(SALU_CYCLE_1)
	s_and_saveexec_b32 s12, s0
	s_xor_b32 s0, exec_lo, s12
; %bb.1820:                             ;   in Loop: Header=BB438_998 Depth=1
	v_bfe_u32 v4, v5, 16, 1
	s_delay_alu instid0(VALU_DEP_1)
	v_add3_u32 v4, v5, v4, 0x7fff
                                        ; implicit-def: $vgpr5
; %bb.1821:                             ;   in Loop: Header=BB438_998 Depth=1
	s_and_not1_saveexec_b32 s12, s0
; %bb.1822:                             ;   in Loop: Header=BB438_998 Depth=1
	v_and_b32_e32 v4, 0xffff, v5
	v_or_b32_e32 v6, 0x10000, v5
	s_delay_alu instid0(VALU_DEP_2) | instskip(NEXT) | instid1(VALU_DEP_1)
	v_cmp_eq_u32_e64 s0, 0, v4
	v_cndmask_b32_e64 v4, v6, v5, s0
; %bb.1823:                             ;   in Loop: Header=BB438_998 Depth=1
	s_or_b32 exec_lo, exec_lo, s12
	v_lshrrev_b16 v6, 8, v2
	v_mov_b32_e32 v5, 0
	s_mov_b32 s12, exec_lo
	s_delay_alu instid0(VALU_DEP_2)
	v_cmpx_ne_u16_e32 0, v6
	s_cbranch_execz .LBB438_1831
; %bb.1824:                             ;   in Loop: Header=BB438_998 Depth=1
	v_bfrev_b32_e32 v5, 1
	s_mov_b32 s13, exec_lo
	v_cmpx_ne_u16_e32 0x80, v6
	s_cbranch_execz .LBB438_1830
; %bb.1825:                             ;   in Loop: Header=BB438_998 Depth=1
	v_and_b32_e32 v7, 0xffff, v6
	v_mov_b32_e32 v5, 0x7f800001
	s_mov_b32 s15, exec_lo
	s_delay_alu instid0(VALU_DEP_2) | instskip(NEXT) | instid1(VALU_DEP_1)
	v_and_b32_e32 v6, 0x7f, v7
	v_cmpx_ne_u32_e32 0x7f, v6
	s_cbranch_execz .LBB438_1829
; %bb.1826:                             ;   in Loop: Header=BB438_998 Depth=1
	v_and_b32_e32 v9, 7, v7
	v_lshrrev_b32_e32 v5, 3, v6
	s_mov_b32 s16, exec_lo
	v_cmpx_gt_u32_e32 8, v6
; %bb.1827:                             ;   in Loop: Header=BB438_998 Depth=1
	s_delay_alu instid0(VALU_DEP_3) | instskip(NEXT) | instid1(VALU_DEP_1)
	v_clz_i32_u32_e32 v5, v9
	v_min_u32_e32 v5, 32, v5
	s_delay_alu instid0(VALU_DEP_1) | instskip(SKIP_1) | instid1(VALU_DEP_2)
	v_subrev_nc_u32_e32 v6, 28, v5
	v_sub_nc_u32_e32 v5, 29, v5
	v_lshlrev_b64 v[6:7], v6, v[9:10]
	s_delay_alu instid0(VALU_DEP_1)
	v_and_b32_e32 v9, 7, v6
; %bb.1828:                             ;   in Loop: Header=BB438_998 Depth=1
	s_or_b32 exec_lo, exec_lo, s16
	v_lshlrev_b32_e32 v6, 16, v2
	s_delay_alu instid0(VALU_DEP_2) | instskip(SKIP_1) | instid1(VALU_DEP_3)
	v_lshlrev_b32_e32 v7, 20, v9
	v_lshl_add_u32 v5, v5, 23, 0x3c000000
	v_and_b32_e32 v6, 0x80000000, v6
	s_delay_alu instid0(VALU_DEP_1)
	v_or3_b32 v5, v7, v6, v5
.LBB438_1829:                           ;   in Loop: Header=BB438_998 Depth=1
	s_or_b32 exec_lo, exec_lo, s15
.LBB438_1830:                           ;   in Loop: Header=BB438_998 Depth=1
	s_delay_alu instid0(SALU_CYCLE_1)
	s_or_b32 exec_lo, exec_lo, s13
.LBB438_1831:                           ;   in Loop: Header=BB438_998 Depth=1
	s_delay_alu instid0(SALU_CYCLE_1) | instskip(NEXT) | instid1(VALU_DEP_1)
	s_or_b32 exec_lo, exec_lo, s12
	v_mul_f32_e32 v6, v8, v5
	s_delay_alu instid0(VALU_DEP_1) | instskip(NEXT) | instid1(VALU_DEP_1)
	v_and_b32_e32 v5, 0x7f800000, v6
	v_cmp_ne_u32_e64 s0, 0x7f800000, v5
                                        ; implicit-def: $vgpr5
	s_delay_alu instid0(VALU_DEP_1) | instskip(NEXT) | instid1(SALU_CYCLE_1)
	s_and_saveexec_b32 s12, s0
	s_xor_b32 s0, exec_lo, s12
; %bb.1832:                             ;   in Loop: Header=BB438_998 Depth=1
	v_bfe_u32 v5, v6, 16, 1
	s_delay_alu instid0(VALU_DEP_1)
	v_add3_u32 v5, v6, v5, 0x7fff
                                        ; implicit-def: $vgpr6
; %bb.1833:                             ;   in Loop: Header=BB438_998 Depth=1
	s_and_not1_saveexec_b32 s12, s0
; %bb.1834:                             ;   in Loop: Header=BB438_998 Depth=1
	v_and_b32_e32 v5, 0xffff, v6
	v_or_b32_e32 v7, 0x10000, v6
	s_delay_alu instid0(VALU_DEP_2) | instskip(NEXT) | instid1(VALU_DEP_1)
	v_cmp_eq_u32_e64 s0, 0, v5
	v_cndmask_b32_e64 v5, v7, v6, s0
; %bb.1835:                             ;   in Loop: Header=BB438_998 Depth=1
	s_or_b32 exec_lo, exec_lo, s12
	v_lshrrev_b32_e32 v6, 16, v2
	v_mov_b32_e32 v7, 0
	s_mov_b32 s12, exec_lo
	s_delay_alu instid0(VALU_DEP_2) | instskip(NEXT) | instid1(VALU_DEP_1)
	v_and_b32_e32 v9, 0xff, v6
	v_cmpx_ne_u16_e32 0, v9
	s_cbranch_execz .LBB438_1843
; %bb.1836:                             ;   in Loop: Header=BB438_998 Depth=1
	v_bfrev_b32_e32 v7, 1
	s_mov_b32 s13, exec_lo
	v_cmpx_ne_u16_e32 0x80, v9
	s_cbranch_execz .LBB438_1842
; %bb.1837:                             ;   in Loop: Header=BB438_998 Depth=1
	v_bfe_u32 v37, v2, 16, 7
	v_mov_b32_e32 v7, 0x7f800001
	s_mov_b32 s15, exec_lo
	s_delay_alu instid0(VALU_DEP_2)
	v_cmpx_ne_u32_e32 0x7f, v37
	s_cbranch_execz .LBB438_1841
; %bb.1838:                             ;   in Loop: Header=BB438_998 Depth=1
	v_and_b32_e32 v9, 7, v6
	v_lshrrev_b32_e32 v7, 3, v37
	s_mov_b32 s16, exec_lo
	v_cmpx_gt_u32_e32 8, v37
; %bb.1839:                             ;   in Loop: Header=BB438_998 Depth=1
	s_delay_alu instid0(VALU_DEP_3) | instskip(NEXT) | instid1(VALU_DEP_1)
	v_clz_i32_u32_e32 v7, v9
	v_min_u32_e32 v7, 32, v7
	s_delay_alu instid0(VALU_DEP_1) | instskip(SKIP_1) | instid1(VALU_DEP_2)
	v_subrev_nc_u32_e32 v37, 28, v7
	v_sub_nc_u32_e32 v7, 29, v7
	v_lshlrev_b64 v[39:40], v37, v[9:10]
	s_delay_alu instid0(VALU_DEP_1)
	v_and_b32_e32 v9, 7, v39
; %bb.1840:                             ;   in Loop: Header=BB438_998 Depth=1
	s_or_b32 exec_lo, exec_lo, s16
	v_lshlrev_b32_e32 v6, 24, v6
	s_delay_alu instid0(VALU_DEP_2) | instskip(SKIP_1) | instid1(VALU_DEP_3)
	v_lshlrev_b32_e32 v9, 20, v9
	v_lshl_add_u32 v7, v7, 23, 0x3c000000
	v_and_b32_e32 v6, 0x80000000, v6
	s_delay_alu instid0(VALU_DEP_1)
	v_or3_b32 v7, v9, v6, v7
.LBB438_1841:                           ;   in Loop: Header=BB438_998 Depth=1
	s_or_b32 exec_lo, exec_lo, s15
.LBB438_1842:                           ;   in Loop: Header=BB438_998 Depth=1
	s_delay_alu instid0(SALU_CYCLE_1)
	s_or_b32 exec_lo, exec_lo, s13
.LBB438_1843:                           ;   in Loop: Header=BB438_998 Depth=1
	s_delay_alu instid0(SALU_CYCLE_1) | instskip(NEXT) | instid1(VALU_DEP_1)
	s_or_b32 exec_lo, exec_lo, s12
	v_mul_f32_e32 v6, v8, v7
                                        ; implicit-def: $vgpr37
	s_delay_alu instid0(VALU_DEP_1) | instskip(NEXT) | instid1(VALU_DEP_1)
	v_and_b32_e32 v7, 0x7f800000, v6
	v_cmp_ne_u32_e64 s0, 0x7f800000, v7
	s_delay_alu instid0(VALU_DEP_1) | instskip(NEXT) | instid1(SALU_CYCLE_1)
	s_and_saveexec_b32 s12, s0
	s_xor_b32 s0, exec_lo, s12
; %bb.1844:                             ;   in Loop: Header=BB438_998 Depth=1
	v_bfe_u32 v7, v6, 16, 1
	s_delay_alu instid0(VALU_DEP_1)
	v_add3_u32 v37, v6, v7, 0x7fff
                                        ; implicit-def: $vgpr6
; %bb.1845:                             ;   in Loop: Header=BB438_998 Depth=1
	s_and_not1_saveexec_b32 s12, s0
; %bb.1846:                             ;   in Loop: Header=BB438_998 Depth=1
	v_and_b32_e32 v7, 0xffff, v6
	v_or_b32_e32 v9, 0x10000, v6
	s_delay_alu instid0(VALU_DEP_2) | instskip(NEXT) | instid1(VALU_DEP_1)
	v_cmp_eq_u32_e64 s0, 0, v7
	v_cndmask_b32_e64 v37, v9, v6, s0
; %bb.1847:                             ;   in Loop: Header=BB438_998 Depth=1
	s_or_b32 exec_lo, exec_lo, s12
	v_mov_b32_e32 v7, 0
	s_mov_b32 s12, exec_lo
	v_cmpx_lt_u32_e32 0xffffff, v2
	s_cbranch_execz .LBB438_1855
; %bb.1848:                             ;   in Loop: Header=BB438_998 Depth=1
	v_lshrrev_b32_e32 v6, 24, v2
	v_bfrev_b32_e32 v7, 1
	s_mov_b32 s13, exec_lo
	s_delay_alu instid0(VALU_DEP_2)
	v_cmpx_ne_u32_e32 0x80, v6
	s_cbranch_execz .LBB438_1854
; %bb.1849:                             ;   in Loop: Header=BB438_998 Depth=1
	v_bfe_u32 v39, v2, 24, 7
	v_mov_b32_e32 v7, 0x7f800001
	s_mov_b32 s15, exec_lo
	s_delay_alu instid0(VALU_DEP_2)
	v_cmpx_ne_u32_e32 0x7f, v39
	s_cbranch_execz .LBB438_1853
; %bb.1850:                             ;   in Loop: Header=BB438_998 Depth=1
	v_and_b32_e32 v9, 7, v6
	v_lshrrev_b32_e32 v7, 3, v39
	s_mov_b32 s16, exec_lo
	v_cmpx_gt_u32_e32 8, v39
; %bb.1851:                             ;   in Loop: Header=BB438_998 Depth=1
	s_delay_alu instid0(VALU_DEP_3) | instskip(NEXT) | instid1(VALU_DEP_1)
	v_clz_i32_u32_e32 v7, v9
	v_min_u32_e32 v7, 32, v7
	s_delay_alu instid0(VALU_DEP_1) | instskip(SKIP_1) | instid1(VALU_DEP_2)
	v_subrev_nc_u32_e32 v39, 28, v7
	v_sub_nc_u32_e32 v7, 29, v7
	v_lshlrev_b64 v[39:40], v39, v[9:10]
	s_delay_alu instid0(VALU_DEP_1)
	v_and_b32_e32 v9, 7, v39
; %bb.1852:                             ;   in Loop: Header=BB438_998 Depth=1
	s_or_b32 exec_lo, exec_lo, s16
	v_lshlrev_b32_e32 v6, 24, v6
	s_delay_alu instid0(VALU_DEP_2) | instskip(SKIP_1) | instid1(VALU_DEP_3)
	v_lshlrev_b32_e32 v9, 20, v9
	v_lshl_add_u32 v7, v7, 23, 0x3c000000
	v_and_b32_e32 v6, 0x80000000, v6
	s_delay_alu instid0(VALU_DEP_1)
	v_or3_b32 v7, v9, v6, v7
.LBB438_1853:                           ;   in Loop: Header=BB438_998 Depth=1
	s_or_b32 exec_lo, exec_lo, s15
.LBB438_1854:                           ;   in Loop: Header=BB438_998 Depth=1
	s_delay_alu instid0(SALU_CYCLE_1)
	s_or_b32 exec_lo, exec_lo, s13
.LBB438_1855:                           ;   in Loop: Header=BB438_998 Depth=1
	s_delay_alu instid0(SALU_CYCLE_1) | instskip(NEXT) | instid1(VALU_DEP_1)
	s_or_b32 exec_lo, exec_lo, s12
	v_mul_f32_e32 v6, v8, v7
                                        ; implicit-def: $vgpr39
	s_delay_alu instid0(VALU_DEP_1) | instskip(NEXT) | instid1(VALU_DEP_1)
	v_and_b32_e32 v7, 0x7f800000, v6
	v_cmp_ne_u32_e64 s0, 0x7f800000, v7
	s_delay_alu instid0(VALU_DEP_1) | instskip(NEXT) | instid1(SALU_CYCLE_1)
	s_and_saveexec_b32 s12, s0
	s_xor_b32 s0, exec_lo, s12
; %bb.1856:                             ;   in Loop: Header=BB438_998 Depth=1
	v_bfe_u32 v7, v6, 16, 1
	s_delay_alu instid0(VALU_DEP_1)
	v_add3_u32 v39, v6, v7, 0x7fff
                                        ; implicit-def: $vgpr6
; %bb.1857:                             ;   in Loop: Header=BB438_998 Depth=1
	s_and_not1_saveexec_b32 s12, s0
; %bb.1858:                             ;   in Loop: Header=BB438_998 Depth=1
	v_and_b32_e32 v7, 0xffff, v6
	v_or_b32_e32 v9, 0x10000, v6
	s_delay_alu instid0(VALU_DEP_2) | instskip(NEXT) | instid1(VALU_DEP_1)
	v_cmp_eq_u32_e64 s0, 0, v7
	v_cndmask_b32_e64 v39, v9, v6, s0
; %bb.1859:                             ;   in Loop: Header=BB438_998 Depth=1
	s_or_b32 exec_lo, exec_lo, s12
	v_dual_mov_b32 v6, 0 :: v_dual_and_b32 v7, 0xff, v3
	v_mov_b32_e32 v9, v3
	s_mov_b32 s12, exec_lo
	s_delay_alu instid0(VALU_DEP_2)
	v_cmpx_ne_u16_e32 0, v7
	s_cbranch_execz .LBB438_1867
; %bb.1860:                             ;   in Loop: Header=BB438_998 Depth=1
	v_bfrev_b32_e32 v6, 1
	s_mov_b32 s13, exec_lo
	v_cmpx_ne_u16_e32 0x80, v7
	s_cbranch_execz .LBB438_1866
; %bb.1861:                             ;   in Loop: Header=BB438_998 Depth=1
	v_and_b32_e32 v7, 0x7f, v3
	v_mov_b32_e32 v6, 0x7f800001
	s_mov_b32 s15, exec_lo
	s_delay_alu instid0(VALU_DEP_2)
	v_cmpx_ne_u32_e32 0x7f, v7
	s_cbranch_execz .LBB438_1865
; %bb.1862:                             ;   in Loop: Header=BB438_998 Depth=1
	v_lshrrev_b32_e32 v48, 3, v7
	v_cmp_gt_u32_e64 s0, 8, v7
	v_dual_mov_b32 v6, v9 :: v_dual_mov_b32 v7, v10
	s_delay_alu instid0(VALU_DEP_2)
	s_and_saveexec_b32 s16, s0
; %bb.1863:                             ;   in Loop: Header=BB438_998 Depth=1
	v_and_b32_e32 v6, 7, v3
	s_delay_alu instid0(VALU_DEP_1) | instskip(NEXT) | instid1(VALU_DEP_1)
	v_clz_i32_u32_e32 v6, v6
	v_min_u32_e32 v48, 32, v6
	s_delay_alu instid0(VALU_DEP_1) | instskip(SKIP_1) | instid1(VALU_DEP_2)
	v_subrev_nc_u32_e32 v6, 28, v48
	v_sub_nc_u32_e32 v48, 29, v48
	v_lshlrev_b64 v[6:7], v6, v[9:10]
; %bb.1864:                             ;   in Loop: Header=BB438_998 Depth=1
	s_or_b32 exec_lo, exec_lo, s16
	s_delay_alu instid0(VALU_DEP_1) | instskip(SKIP_2) | instid1(VALU_DEP_3)
	v_lshlrev_b32_e32 v6, 20, v6
	v_lshlrev_b32_e32 v7, 24, v9
	v_lshl_add_u32 v48, v48, 23, 0x3c000000
	v_and_b32_e32 v6, 0x700000, v6
	s_delay_alu instid0(VALU_DEP_3) | instskip(NEXT) | instid1(VALU_DEP_1)
	v_and_b32_e32 v7, 0x80000000, v7
	v_or3_b32 v6, v6, v7, v48
.LBB438_1865:                           ;   in Loop: Header=BB438_998 Depth=1
	s_or_b32 exec_lo, exec_lo, s15
.LBB438_1866:                           ;   in Loop: Header=BB438_998 Depth=1
	s_delay_alu instid0(SALU_CYCLE_1)
	s_or_b32 exec_lo, exec_lo, s13
.LBB438_1867:                           ;   in Loop: Header=BB438_998 Depth=1
	s_delay_alu instid0(SALU_CYCLE_1) | instskip(NEXT) | instid1(VALU_DEP_1)
	s_or_b32 exec_lo, exec_lo, s12
	v_mul_f32_e32 v6, v8, v6
                                        ; implicit-def: $vgpr48
	s_delay_alu instid0(VALU_DEP_1) | instskip(NEXT) | instid1(VALU_DEP_1)
	v_and_b32_e32 v7, 0x7f800000, v6
	v_cmp_ne_u32_e64 s0, 0x7f800000, v7
	s_delay_alu instid0(VALU_DEP_1) | instskip(NEXT) | instid1(SALU_CYCLE_1)
	s_and_saveexec_b32 s12, s0
	s_xor_b32 s0, exec_lo, s12
; %bb.1868:                             ;   in Loop: Header=BB438_998 Depth=1
	v_bfe_u32 v7, v6, 16, 1
	s_delay_alu instid0(VALU_DEP_1)
	v_add3_u32 v48, v6, v7, 0x7fff
                                        ; implicit-def: $vgpr6
; %bb.1869:                             ;   in Loop: Header=BB438_998 Depth=1
	s_and_not1_saveexec_b32 s12, s0
; %bb.1870:                             ;   in Loop: Header=BB438_998 Depth=1
	v_and_b32_e32 v7, 0xffff, v6
	v_or_b32_e32 v48, 0x10000, v6
	s_delay_alu instid0(VALU_DEP_2) | instskip(NEXT) | instid1(VALU_DEP_1)
	v_cmp_eq_u32_e64 s0, 0, v7
	v_cndmask_b32_e64 v48, v48, v6, s0
; %bb.1871:                             ;   in Loop: Header=BB438_998 Depth=1
	s_or_b32 exec_lo, exec_lo, s12
	v_lshrrev_b16 v7, 8, v9
	v_mov_b32_e32 v6, 0
	s_mov_b32 s12, exec_lo
	s_delay_alu instid0(VALU_DEP_2)
	v_cmpx_ne_u16_e32 0, v7
	s_cbranch_execz .LBB438_1879
; %bb.1872:                             ;   in Loop: Header=BB438_998 Depth=1
	v_bfrev_b32_e32 v6, 1
	s_mov_b32 s13, exec_lo
	v_cmpx_ne_u16_e32 0x80, v7
	s_cbranch_execz .LBB438_1878
; %bb.1873:                             ;   in Loop: Header=BB438_998 Depth=1
	v_and_b32_e32 v7, 0xffff, v7
	v_mov_b32_e32 v6, 0x7f800001
	s_mov_b32 s15, exec_lo
	s_delay_alu instid0(VALU_DEP_2) | instskip(NEXT) | instid1(VALU_DEP_1)
	v_and_b32_e32 v41, 0x7f, v7
	v_cmpx_ne_u32_e32 0x7f, v41
	s_cbranch_execz .LBB438_1877
; %bb.1874:                             ;   in Loop: Header=BB438_998 Depth=1
	v_dual_mov_b32 v7, v10 :: v_dual_and_b32 v6, 7, v7
	v_lshrrev_b32_e32 v40, 3, v41
	s_mov_b32 s16, exec_lo
	v_cmpx_gt_u32_e32 8, v41
; %bb.1875:                             ;   in Loop: Header=BB438_998 Depth=1
	s_delay_alu instid0(VALU_DEP_3) | instskip(NEXT) | instid1(VALU_DEP_1)
	v_clz_i32_u32_e32 v40, v6
	v_min_u32_e32 v40, 32, v40
	s_delay_alu instid0(VALU_DEP_1) | instskip(SKIP_1) | instid1(VALU_DEP_2)
	v_subrev_nc_u32_e32 v41, 28, v40
	v_sub_nc_u32_e32 v40, 29, v40
	v_lshlrev_b64 v[6:7], v41, v[6:7]
	s_delay_alu instid0(VALU_DEP_1)
	v_and_b32_e32 v6, 7, v6
; %bb.1876:                             ;   in Loop: Header=BB438_998 Depth=1
	s_or_b32 exec_lo, exec_lo, s16
	v_lshlrev_b32_e32 v7, 16, v9
	s_delay_alu instid0(VALU_DEP_2) | instskip(SKIP_1) | instid1(VALU_DEP_3)
	v_lshlrev_b32_e32 v6, 20, v6
	v_lshl_add_u32 v9, v40, 23, 0x3c000000
	v_and_b32_e32 v7, 0x80000000, v7
	s_delay_alu instid0(VALU_DEP_1)
	v_or3_b32 v6, v6, v7, v9
.LBB438_1877:                           ;   in Loop: Header=BB438_998 Depth=1
	s_or_b32 exec_lo, exec_lo, s15
.LBB438_1878:                           ;   in Loop: Header=BB438_998 Depth=1
	s_delay_alu instid0(SALU_CYCLE_1)
	s_or_b32 exec_lo, exec_lo, s13
.LBB438_1879:                           ;   in Loop: Header=BB438_998 Depth=1
	s_delay_alu instid0(SALU_CYCLE_1) | instskip(NEXT) | instid1(VALU_DEP_1)
	s_or_b32 exec_lo, exec_lo, s12
	v_mul_f32_e32 v7, v8, v6
	s_delay_alu instid0(VALU_DEP_1) | instskip(NEXT) | instid1(VALU_DEP_1)
	v_and_b32_e32 v6, 0x7f800000, v7
	v_cmp_ne_u32_e64 s0, 0x7f800000, v6
                                        ; implicit-def: $vgpr6
	s_delay_alu instid0(VALU_DEP_1) | instskip(NEXT) | instid1(SALU_CYCLE_1)
	s_and_saveexec_b32 s12, s0
	s_xor_b32 s0, exec_lo, s12
; %bb.1880:                             ;   in Loop: Header=BB438_998 Depth=1
	v_bfe_u32 v6, v7, 16, 1
	s_delay_alu instid0(VALU_DEP_1)
	v_add3_u32 v6, v7, v6, 0x7fff
                                        ; implicit-def: $vgpr7
; %bb.1881:                             ;   in Loop: Header=BB438_998 Depth=1
	s_and_not1_saveexec_b32 s12, s0
; %bb.1882:                             ;   in Loop: Header=BB438_998 Depth=1
	v_and_b32_e32 v6, 0xffff, v7
	v_or_b32_e32 v9, 0x10000, v7
	s_delay_alu instid0(VALU_DEP_2) | instskip(NEXT) | instid1(VALU_DEP_1)
	v_cmp_eq_u32_e64 s0, 0, v6
	v_cndmask_b32_e64 v6, v9, v7, s0
; %bb.1883:                             ;   in Loop: Header=BB438_998 Depth=1
	s_or_b32 exec_lo, exec_lo, s12
	v_lshrrev_b32_e32 v7, 16, v3
	s_mov_b32 s12, exec_lo
	s_delay_alu instid0(VALU_DEP_1) | instskip(NEXT) | instid1(VALU_DEP_1)
	v_dual_mov_b32 v9, 0 :: v_dual_and_b32 v40, 0xff, v7
	v_cmpx_ne_u16_e32 0, v40
	s_cbranch_execz .LBB438_1891
; %bb.1884:                             ;   in Loop: Header=BB438_998 Depth=1
	v_bfrev_b32_e32 v9, 1
	s_mov_b32 s13, exec_lo
	v_cmpx_ne_u16_e32 0x80, v40
	s_cbranch_execz .LBB438_1890
; %bb.1885:                             ;   in Loop: Header=BB438_998 Depth=1
	v_bfe_u32 v41, v3, 16, 7
	v_mov_b32_e32 v9, 0x7f800001
	s_mov_b32 s15, exec_lo
	s_delay_alu instid0(VALU_DEP_2)
	v_cmpx_ne_u32_e32 0x7f, v41
	s_cbranch_execz .LBB438_1889
; %bb.1886:                             ;   in Loop: Header=BB438_998 Depth=1
	v_and_b32_e32 v9, 7, v7
	v_lshrrev_b32_e32 v40, 3, v41
	s_mov_b32 s16, exec_lo
	v_cmpx_gt_u32_e32 8, v41
; %bb.1887:                             ;   in Loop: Header=BB438_998 Depth=1
	s_delay_alu instid0(VALU_DEP_3) | instskip(NEXT) | instid1(VALU_DEP_1)
	v_clz_i32_u32_e32 v40, v9
	v_min_u32_e32 v40, 32, v40
	s_delay_alu instid0(VALU_DEP_1) | instskip(SKIP_1) | instid1(VALU_DEP_2)
	v_subrev_nc_u32_e32 v41, 28, v40
	v_sub_nc_u32_e32 v40, 29, v40
	v_lshlrev_b64 v[41:42], v41, v[9:10]
	s_delay_alu instid0(VALU_DEP_1)
	v_and_b32_e32 v9, 7, v41
; %bb.1888:                             ;   in Loop: Header=BB438_998 Depth=1
	s_or_b32 exec_lo, exec_lo, s16
	v_lshlrev_b32_e32 v7, 24, v7
	s_delay_alu instid0(VALU_DEP_2) | instskip(SKIP_1) | instid1(VALU_DEP_3)
	v_lshlrev_b32_e32 v9, 20, v9
	v_lshl_add_u32 v40, v40, 23, 0x3c000000
	v_and_b32_e32 v7, 0x80000000, v7
	s_delay_alu instid0(VALU_DEP_1)
	v_or3_b32 v9, v9, v7, v40
.LBB438_1889:                           ;   in Loop: Header=BB438_998 Depth=1
	s_or_b32 exec_lo, exec_lo, s15
.LBB438_1890:                           ;   in Loop: Header=BB438_998 Depth=1
	s_delay_alu instid0(SALU_CYCLE_1)
	s_or_b32 exec_lo, exec_lo, s13
.LBB438_1891:                           ;   in Loop: Header=BB438_998 Depth=1
	s_delay_alu instid0(SALU_CYCLE_1) | instskip(NEXT) | instid1(VALU_DEP_1)
	s_or_b32 exec_lo, exec_lo, s12
	v_mul_f32_e32 v7, v8, v9
                                        ; implicit-def: $vgpr40
	s_delay_alu instid0(VALU_DEP_1) | instskip(NEXT) | instid1(VALU_DEP_1)
	v_and_b32_e32 v9, 0x7f800000, v7
	v_cmp_ne_u32_e64 s0, 0x7f800000, v9
	s_delay_alu instid0(VALU_DEP_1) | instskip(NEXT) | instid1(SALU_CYCLE_1)
	s_and_saveexec_b32 s12, s0
	s_xor_b32 s0, exec_lo, s12
; %bb.1892:                             ;   in Loop: Header=BB438_998 Depth=1
	v_bfe_u32 v9, v7, 16, 1
	s_delay_alu instid0(VALU_DEP_1)
	v_add3_u32 v40, v7, v9, 0x7fff
                                        ; implicit-def: $vgpr7
; %bb.1893:                             ;   in Loop: Header=BB438_998 Depth=1
	s_and_not1_saveexec_b32 s12, s0
; %bb.1894:                             ;   in Loop: Header=BB438_998 Depth=1
	v_and_b32_e32 v9, 0xffff, v7
	v_or_b32_e32 v40, 0x10000, v7
	s_delay_alu instid0(VALU_DEP_2) | instskip(NEXT) | instid1(VALU_DEP_1)
	v_cmp_eq_u32_e64 s0, 0, v9
	v_cndmask_b32_e64 v40, v40, v7, s0
; %bb.1895:                             ;   in Loop: Header=BB438_998 Depth=1
	s_or_b32 exec_lo, exec_lo, s12
	v_mov_b32_e32 v7, 0
	s_mov_b32 s12, exec_lo
	v_cmpx_lt_u64_e64 s[8:9], v[2:3]
	s_cbranch_execz .LBB438_1903
; %bb.1896:                             ;   in Loop: Header=BB438_998 Depth=1
	v_lshrrev_b32_e32 v2, 24, v3
	v_bfrev_b32_e32 v7, 1
	s_mov_b32 s13, exec_lo
	s_delay_alu instid0(VALU_DEP_2)
	v_cmpx_ne_u32_e32 0x80, v2
	s_cbranch_execz .LBB438_1902
; %bb.1897:                             ;   in Loop: Header=BB438_998 Depth=1
	v_bfe_u32 v41, v3, 24, 7
	v_mov_b32_e32 v7, 0x7f800001
	s_mov_b32 s15, exec_lo
	s_delay_alu instid0(VALU_DEP_2)
	v_cmpx_ne_u32_e32 0x7f, v41
	s_cbranch_execz .LBB438_1901
; %bb.1898:                             ;   in Loop: Header=BB438_998 Depth=1
	v_and_b32_e32 v9, 7, v2
	v_lshrrev_b32_e32 v3, 3, v41
	s_mov_b32 s16, exec_lo
	v_cmpx_gt_u32_e32 8, v41
; %bb.1899:                             ;   in Loop: Header=BB438_998 Depth=1
	s_delay_alu instid0(VALU_DEP_3) | instskip(NEXT) | instid1(VALU_DEP_1)
	v_clz_i32_u32_e32 v3, v9
	v_min_u32_e32 v3, 32, v3
	s_delay_alu instid0(VALU_DEP_1) | instskip(SKIP_1) | instid1(VALU_DEP_2)
	v_subrev_nc_u32_e32 v7, 28, v3
	v_sub_nc_u32_e32 v3, 29, v3
	v_lshlrev_b64 v[41:42], v7, v[9:10]
	s_delay_alu instid0(VALU_DEP_1)
	v_and_b32_e32 v9, 7, v41
; %bb.1900:                             ;   in Loop: Header=BB438_998 Depth=1
	s_or_b32 exec_lo, exec_lo, s16
	v_lshlrev_b32_e32 v2, 24, v2
	s_delay_alu instid0(VALU_DEP_2) | instskip(SKIP_1) | instid1(VALU_DEP_3)
	v_lshlrev_b32_e32 v7, 20, v9
	v_lshl_add_u32 v3, v3, 23, 0x3c000000
	v_and_b32_e32 v2, 0x80000000, v2
	s_delay_alu instid0(VALU_DEP_1)
	v_or3_b32 v7, v7, v2, v3
.LBB438_1901:                           ;   in Loop: Header=BB438_998 Depth=1
	s_or_b32 exec_lo, exec_lo, s15
.LBB438_1902:                           ;   in Loop: Header=BB438_998 Depth=1
	s_delay_alu instid0(SALU_CYCLE_1)
	s_or_b32 exec_lo, exec_lo, s13
.LBB438_1903:                           ;   in Loop: Header=BB438_998 Depth=1
	s_delay_alu instid0(SALU_CYCLE_1) | instskip(NEXT) | instid1(VALU_DEP_1)
	s_or_b32 exec_lo, exec_lo, s12
	v_mul_f32_e32 v3, v8, v7
	s_delay_alu instid0(VALU_DEP_1) | instskip(NEXT) | instid1(VALU_DEP_1)
	v_and_b32_e32 v2, 0x7f800000, v3
	v_cmp_ne_u32_e64 s0, 0x7f800000, v2
                                        ; implicit-def: $vgpr2
	s_delay_alu instid0(VALU_DEP_1) | instskip(NEXT) | instid1(SALU_CYCLE_1)
	s_and_saveexec_b32 s12, s0
	s_xor_b32 s0, exec_lo, s12
; %bb.1904:                             ;   in Loop: Header=BB438_998 Depth=1
	v_bfe_u32 v2, v3, 16, 1
	s_delay_alu instid0(VALU_DEP_1)
	v_add3_u32 v2, v3, v2, 0x7fff
                                        ; implicit-def: $vgpr3
; %bb.1905:                             ;   in Loop: Header=BB438_998 Depth=1
	s_and_not1_saveexec_b32 s12, s0
; %bb.1906:                             ;   in Loop: Header=BB438_998 Depth=1
	v_and_b32_e32 v2, 0xffff, v3
	v_or_b32_e32 v7, 0x10000, v3
	s_delay_alu instid0(VALU_DEP_2) | instskip(NEXT) | instid1(VALU_DEP_1)
	v_cmp_eq_u32_e64 s0, 0, v2
	v_cndmask_b32_e64 v2, v7, v3, s0
; %bb.1907:                             ;   in Loop: Header=BB438_998 Depth=1
	s_or_b32 exec_lo, exec_lo, s12
	v_lshrrev_b32_e32 v6, 16, v6
	v_lshrrev_b32_e32 v7, 16, v48
	;; [unrolled: 1-line block ×8, first 2 shown]
	s_and_saveexec_b32 s12, vcc_lo
	s_cbranch_execz .LBB438_1909
; %bb.1908:                             ;   in Loop: Header=BB438_998 Depth=1
	v_cmp_lt_i32_e64 s0, v80, v38
	s_delay_alu instid0(VALU_DEP_1) | instskip(SKIP_1) | instid1(VALU_DEP_1)
	v_cndmask_b32_e64 v4, 0, v4, s0
	v_cmp_lt_i32_e64 s0, v87, v38
	v_cndmask_b32_e64 v5, 0, v5, s0
	v_cmp_lt_i32_e64 s0, v86, v38
	s_delay_alu instid0(VALU_DEP_1) | instskip(SKIP_1) | instid1(VALU_DEP_1)
	v_cndmask_b32_e64 v37, 0, v37, s0
	v_cmp_lt_i32_e64 s0, v85, v38
	v_cndmask_b32_e64 v9, 0, v9, s0
	v_cmp_lt_i32_e64 s0, v84, v38
	s_delay_alu instid0(VALU_DEP_1) | instskip(SKIP_1) | instid1(VALU_DEP_1)
	v_cndmask_b32_e64 v7, 0, v7, s0
	v_cmp_lt_i32_e64 s0, v83, v38
	v_cndmask_b32_e64 v6, 0, v6, s0
	v_cmp_lt_i32_e64 s0, v82, v38
	s_delay_alu instid0(VALU_DEP_1) | instskip(SKIP_1) | instid1(VALU_DEP_1)
	v_cndmask_b32_e64 v3, 0, v3, s0
	v_cmp_lt_i32_e64 s0, v81, v38
	v_cndmask_b32_e64 v2, 0, v2, s0
.LBB438_1909:                           ;   in Loop: Header=BB438_998 Depth=1
	s_or_b32 exec_lo, exec_lo, s12
	v_lshlrev_b32_e32 v4, 16, v4
                                        ; implicit-def: $vgpr40
	s_delay_alu instid0(VALU_DEP_1) | instskip(NEXT) | instid1(VALU_DEP_1)
	v_mul_f32_e32 v4, v96, v4
	v_and_b32_e32 v39, 0x7f800000, v4
	s_delay_alu instid0(VALU_DEP_1) | instskip(NEXT) | instid1(VALU_DEP_1)
	v_cmp_ne_u32_e64 s0, 0x7f800000, v39
	s_and_saveexec_b32 s12, s0
	s_delay_alu instid0(SALU_CYCLE_1)
	s_xor_b32 s0, exec_lo, s12
; %bb.1910:                             ;   in Loop: Header=BB438_998 Depth=1
	v_bfe_u32 v39, v4, 16, 1
	s_delay_alu instid0(VALU_DEP_1)
	v_add3_u32 v40, v4, v39, 0x7fff
                                        ; implicit-def: $vgpr4
; %bb.1911:                             ;   in Loop: Header=BB438_998 Depth=1
	s_and_not1_saveexec_b32 s12, s0
; %bb.1912:                             ;   in Loop: Header=BB438_998 Depth=1
	v_and_b32_e32 v39, 0xffff, v4
	v_or_b32_e32 v48, 0x10000, v4
	s_delay_alu instid0(VALU_DEP_2) | instskip(NEXT) | instid1(VALU_DEP_1)
	v_cmp_eq_u32_e64 s0, 0, v39
	v_cndmask_b32_e64 v40, v48, v4, s0
; %bb.1913:                             ;   in Loop: Header=BB438_998 Depth=1
	s_or_b32 exec_lo, exec_lo, s12
	v_lshlrev_b32_e32 v4, 16, v5
                                        ; implicit-def: $vgpr41
	s_delay_alu instid0(VALU_DEP_1) | instskip(NEXT) | instid1(VALU_DEP_1)
	v_mul_f32_e32 v4, v97, v4
	v_and_b32_e32 v5, 0x7f800000, v4
	s_delay_alu instid0(VALU_DEP_1) | instskip(NEXT) | instid1(VALU_DEP_1)
	v_cmp_ne_u32_e64 s0, 0x7f800000, v5
	s_and_saveexec_b32 s12, s0
	s_delay_alu instid0(SALU_CYCLE_1)
	s_xor_b32 s0, exec_lo, s12
; %bb.1914:                             ;   in Loop: Header=BB438_998 Depth=1
	v_bfe_u32 v5, v4, 16, 1
	s_delay_alu instid0(VALU_DEP_1)
	v_add3_u32 v41, v4, v5, 0x7fff
                                        ; implicit-def: $vgpr4
; %bb.1915:                             ;   in Loop: Header=BB438_998 Depth=1
	s_and_not1_saveexec_b32 s12, s0
; %bb.1916:                             ;   in Loop: Header=BB438_998 Depth=1
	v_and_b32_e32 v5, 0xffff, v4
	v_or_b32_e32 v39, 0x10000, v4
	s_delay_alu instid0(VALU_DEP_2) | instskip(NEXT) | instid1(VALU_DEP_1)
	v_cmp_eq_u32_e64 s0, 0, v5
	v_cndmask_b32_e64 v41, v39, v4, s0
; %bb.1917:                             ;   in Loop: Header=BB438_998 Depth=1
	s_or_b32 exec_lo, exec_lo, s12
	v_lshlrev_b32_e32 v4, 16, v37
                                        ; implicit-def: $vgpr42
	s_delay_alu instid0(VALU_DEP_1) | instskip(NEXT) | instid1(VALU_DEP_1)
	v_mul_f32_e32 v4, v98, v4
	v_and_b32_e32 v5, 0x7f800000, v4
	s_delay_alu instid0(VALU_DEP_1) | instskip(NEXT) | instid1(VALU_DEP_1)
	v_cmp_ne_u32_e64 s0, 0x7f800000, v5
	s_and_saveexec_b32 s12, s0
	s_delay_alu instid0(SALU_CYCLE_1)
	s_xor_b32 s0, exec_lo, s12
; %bb.1918:                             ;   in Loop: Header=BB438_998 Depth=1
	v_bfe_u32 v5, v4, 16, 1
	s_delay_alu instid0(VALU_DEP_1)
	v_add3_u32 v42, v4, v5, 0x7fff
                                        ; implicit-def: $vgpr4
; %bb.1919:                             ;   in Loop: Header=BB438_998 Depth=1
	s_and_not1_saveexec_b32 s12, s0
; %bb.1920:                             ;   in Loop: Header=BB438_998 Depth=1
	v_and_b32_e32 v5, 0xffff, v4
	v_or_b32_e32 v37, 0x10000, v4
	s_delay_alu instid0(VALU_DEP_2) | instskip(NEXT) | instid1(VALU_DEP_1)
	v_cmp_eq_u32_e64 s0, 0, v5
	v_cndmask_b32_e64 v42, v37, v4, s0
; %bb.1921:                             ;   in Loop: Header=BB438_998 Depth=1
	s_or_b32 exec_lo, exec_lo, s12
	v_lshlrev_b32_e32 v4, 16, v9
                                        ; implicit-def: $vgpr43
	s_delay_alu instid0(VALU_DEP_1) | instskip(NEXT) | instid1(VALU_DEP_1)
	v_mul_f32_e32 v4, v99, v4
	v_and_b32_e32 v5, 0x7f800000, v4
	s_delay_alu instid0(VALU_DEP_1) | instskip(NEXT) | instid1(VALU_DEP_1)
	v_cmp_ne_u32_e64 s0, 0x7f800000, v5
	s_and_saveexec_b32 s12, s0
	s_delay_alu instid0(SALU_CYCLE_1)
	s_xor_b32 s0, exec_lo, s12
; %bb.1922:                             ;   in Loop: Header=BB438_998 Depth=1
	v_bfe_u32 v5, v4, 16, 1
	s_delay_alu instid0(VALU_DEP_1)
	v_add3_u32 v43, v4, v5, 0x7fff
                                        ; implicit-def: $vgpr4
; %bb.1923:                             ;   in Loop: Header=BB438_998 Depth=1
	s_and_not1_saveexec_b32 s12, s0
; %bb.1924:                             ;   in Loop: Header=BB438_998 Depth=1
	v_and_b32_e32 v5, 0xffff, v4
	v_or_b32_e32 v9, 0x10000, v4
	s_delay_alu instid0(VALU_DEP_2) | instskip(NEXT) | instid1(VALU_DEP_1)
	v_cmp_eq_u32_e64 s0, 0, v5
	v_cndmask_b32_e64 v43, v9, v4, s0
; %bb.1925:                             ;   in Loop: Header=BB438_998 Depth=1
	s_or_b32 exec_lo, exec_lo, s12
	v_lshlrev_b32_e32 v4, 16, v7
                                        ; implicit-def: $vgpr44
	s_delay_alu instid0(VALU_DEP_1) | instskip(NEXT) | instid1(VALU_DEP_1)
	v_mul_f32_e32 v4, v100, v4
	v_and_b32_e32 v5, 0x7f800000, v4
	s_delay_alu instid0(VALU_DEP_1) | instskip(NEXT) | instid1(VALU_DEP_1)
	v_cmp_ne_u32_e64 s0, 0x7f800000, v5
	s_and_saveexec_b32 s12, s0
	s_delay_alu instid0(SALU_CYCLE_1)
	s_xor_b32 s0, exec_lo, s12
; %bb.1926:                             ;   in Loop: Header=BB438_998 Depth=1
	v_bfe_u32 v5, v4, 16, 1
	s_delay_alu instid0(VALU_DEP_1)
	v_add3_u32 v44, v4, v5, 0x7fff
                                        ; implicit-def: $vgpr4
; %bb.1927:                             ;   in Loop: Header=BB438_998 Depth=1
	s_and_not1_saveexec_b32 s12, s0
; %bb.1928:                             ;   in Loop: Header=BB438_998 Depth=1
	v_and_b32_e32 v5, 0xffff, v4
	v_or_b32_e32 v7, 0x10000, v4
	s_delay_alu instid0(VALU_DEP_2) | instskip(NEXT) | instid1(VALU_DEP_1)
	v_cmp_eq_u32_e64 s0, 0, v5
	v_cndmask_b32_e64 v44, v7, v4, s0
; %bb.1929:                             ;   in Loop: Header=BB438_998 Depth=1
	s_or_b32 exec_lo, exec_lo, s12
	v_lshlrev_b32_e32 v4, 16, v6
                                        ; implicit-def: $vgpr45
	s_delay_alu instid0(VALU_DEP_1) | instskip(NEXT) | instid1(VALU_DEP_1)
	v_mul_f32_e32 v4, v101, v4
	v_and_b32_e32 v5, 0x7f800000, v4
	s_delay_alu instid0(VALU_DEP_1) | instskip(NEXT) | instid1(VALU_DEP_1)
	v_cmp_ne_u32_e64 s0, 0x7f800000, v5
	s_and_saveexec_b32 s12, s0
	s_delay_alu instid0(SALU_CYCLE_1)
	s_xor_b32 s0, exec_lo, s12
; %bb.1930:                             ;   in Loop: Header=BB438_998 Depth=1
	v_bfe_u32 v5, v4, 16, 1
	s_delay_alu instid0(VALU_DEP_1)
	v_add3_u32 v45, v4, v5, 0x7fff
                                        ; implicit-def: $vgpr4
; %bb.1931:                             ;   in Loop: Header=BB438_998 Depth=1
	s_and_not1_saveexec_b32 s12, s0
; %bb.1932:                             ;   in Loop: Header=BB438_998 Depth=1
	v_and_b32_e32 v5, 0xffff, v4
	v_or_b32_e32 v6, 0x10000, v4
	s_delay_alu instid0(VALU_DEP_2) | instskip(NEXT) | instid1(VALU_DEP_1)
	v_cmp_eq_u32_e64 s0, 0, v5
	v_cndmask_b32_e64 v45, v6, v4, s0
; %bb.1933:                             ;   in Loop: Header=BB438_998 Depth=1
	s_or_b32 exec_lo, exec_lo, s12
	v_lshlrev_b32_e32 v3, 16, v3
                                        ; implicit-def: $vgpr46
	s_delay_alu instid0(VALU_DEP_1) | instskip(NEXT) | instid1(VALU_DEP_1)
	v_mul_f32_e32 v3, v102, v3
	v_and_b32_e32 v4, 0x7f800000, v3
	s_delay_alu instid0(VALU_DEP_1) | instskip(NEXT) | instid1(VALU_DEP_1)
	v_cmp_ne_u32_e64 s0, 0x7f800000, v4
	s_and_saveexec_b32 s12, s0
	s_delay_alu instid0(SALU_CYCLE_1)
	s_xor_b32 s0, exec_lo, s12
; %bb.1934:                             ;   in Loop: Header=BB438_998 Depth=1
	v_bfe_u32 v4, v3, 16, 1
	s_delay_alu instid0(VALU_DEP_1)
	v_add3_u32 v46, v3, v4, 0x7fff
                                        ; implicit-def: $vgpr3
; %bb.1935:                             ;   in Loop: Header=BB438_998 Depth=1
	s_and_not1_saveexec_b32 s12, s0
; %bb.1936:                             ;   in Loop: Header=BB438_998 Depth=1
	v_and_b32_e32 v4, 0xffff, v3
	v_or_b32_e32 v5, 0x10000, v3
	s_delay_alu instid0(VALU_DEP_2) | instskip(NEXT) | instid1(VALU_DEP_1)
	v_cmp_eq_u32_e64 s0, 0, v4
	v_cndmask_b32_e64 v46, v5, v3, s0
; %bb.1937:                             ;   in Loop: Header=BB438_998 Depth=1
	s_or_b32 exec_lo, exec_lo, s12
	v_lshlrev_b32_e32 v2, 16, v2
                                        ; implicit-def: $vgpr47
	s_delay_alu instid0(VALU_DEP_1) | instskip(NEXT) | instid1(VALU_DEP_1)
	v_mul_f32_e32 v2, v103, v2
	v_and_b32_e32 v3, 0x7f800000, v2
	s_delay_alu instid0(VALU_DEP_1) | instskip(NEXT) | instid1(VALU_DEP_1)
	v_cmp_ne_u32_e64 s0, 0x7f800000, v3
	s_and_saveexec_b32 s12, s0
	s_delay_alu instid0(SALU_CYCLE_1)
	s_xor_b32 s0, exec_lo, s12
; %bb.1938:                             ;   in Loop: Header=BB438_998 Depth=1
	v_bfe_u32 v3, v2, 16, 1
	s_delay_alu instid0(VALU_DEP_1)
	v_add3_u32 v47, v2, v3, 0x7fff
                                        ; implicit-def: $vgpr2
; %bb.1939:                             ;   in Loop: Header=BB438_998 Depth=1
	s_and_not1_saveexec_b32 s12, s0
; %bb.1940:                             ;   in Loop: Header=BB438_998 Depth=1
	v_and_b32_e32 v3, 0xffff, v2
	v_or_b32_e32 v4, 0x10000, v2
	s_delay_alu instid0(VALU_DEP_2) | instskip(NEXT) | instid1(VALU_DEP_1)
	v_cmp_eq_u32_e64 s0, 0, v3
	v_cndmask_b32_e64 v47, v4, v2, s0
; %bb.1941:                             ;   in Loop: Header=BB438_998 Depth=1
	s_or_b32 exec_lo, exec_lo, s12
	flat_load_b64 v[2:3], v[0:1] offset:1792
	s_mov_b32 s12, exec_lo
	s_waitcnt vmcnt(0) lgkmcnt(0)
	v_dual_mov_b32 v4, 0 :: v_dual_and_b32 v5, 0xff, v2
	s_delay_alu instid0(VALU_DEP_1)
	v_cmpx_ne_u16_e32 0, v5
	s_cbranch_execz .LBB438_1949
; %bb.1942:                             ;   in Loop: Header=BB438_998 Depth=1
	v_bfrev_b32_e32 v4, 1
	s_mov_b32 s13, exec_lo
	v_cmpx_ne_u16_e32 0x80, v5
	s_cbranch_execz .LBB438_1948
; %bb.1943:                             ;   in Loop: Header=BB438_998 Depth=1
	v_and_b32_e32 v5, 0x7f, v2
	v_mov_b32_e32 v4, 0x7f800001
	s_mov_b32 s15, exec_lo
	s_delay_alu instid0(VALU_DEP_2)
	v_cmpx_ne_u32_e32 0x7f, v5
	s_cbranch_execz .LBB438_1947
; %bb.1944:                             ;   in Loop: Header=BB438_998 Depth=1
	v_lshrrev_b32_e32 v4, 3, v5
	v_dual_mov_b32 v7, v3 :: v_dual_mov_b32 v6, v2
	s_mov_b32 s16, exec_lo
	v_cmpx_gt_u32_e32 8, v5
; %bb.1945:                             ;   in Loop: Header=BB438_998 Depth=1
	v_and_b32_e32 v4, 7, v2
	s_delay_alu instid0(VALU_DEP_1) | instskip(NEXT) | instid1(VALU_DEP_1)
	v_clz_i32_u32_e32 v4, v4
	v_min_u32_e32 v4, 32, v4
	s_delay_alu instid0(VALU_DEP_1) | instskip(SKIP_1) | instid1(VALU_DEP_2)
	v_subrev_nc_u32_e32 v5, 28, v4
	v_sub_nc_u32_e32 v4, 29, v4
	v_lshlrev_b64 v[6:7], v5, v[2:3]
; %bb.1946:                             ;   in Loop: Header=BB438_998 Depth=1
	s_or_b32 exec_lo, exec_lo, s16
	s_delay_alu instid0(VALU_DEP_1) | instskip(SKIP_2) | instid1(VALU_DEP_3)
	v_lshlrev_b32_e32 v5, 20, v6
	v_lshlrev_b32_e32 v6, 24, v2
	v_lshl_add_u32 v4, v4, 23, 0x3c000000
	v_and_b32_e32 v5, 0x700000, v5
	s_delay_alu instid0(VALU_DEP_3) | instskip(NEXT) | instid1(VALU_DEP_1)
	v_and_b32_e32 v6, 0x80000000, v6
	v_or3_b32 v4, v5, v6, v4
.LBB438_1947:                           ;   in Loop: Header=BB438_998 Depth=1
	s_or_b32 exec_lo, exec_lo, s15
.LBB438_1948:                           ;   in Loop: Header=BB438_998 Depth=1
	s_delay_alu instid0(SALU_CYCLE_1)
	s_or_b32 exec_lo, exec_lo, s13
.LBB438_1949:                           ;   in Loop: Header=BB438_998 Depth=1
	s_delay_alu instid0(SALU_CYCLE_1) | instskip(NEXT) | instid1(VALU_DEP_1)
	s_or_b32 exec_lo, exec_lo, s12
	v_mul_f32_e32 v5, v8, v4
	s_delay_alu instid0(VALU_DEP_1) | instskip(NEXT) | instid1(VALU_DEP_1)
	v_and_b32_e32 v4, 0x7f800000, v5
	v_cmp_ne_u32_e64 s0, 0x7f800000, v4
                                        ; implicit-def: $vgpr4
	s_delay_alu instid0(VALU_DEP_1) | instskip(NEXT) | instid1(SALU_CYCLE_1)
	s_and_saveexec_b32 s12, s0
	s_xor_b32 s0, exec_lo, s12
; %bb.1950:                             ;   in Loop: Header=BB438_998 Depth=1
	v_bfe_u32 v4, v5, 16, 1
	s_delay_alu instid0(VALU_DEP_1)
	v_add3_u32 v4, v5, v4, 0x7fff
                                        ; implicit-def: $vgpr5
; %bb.1951:                             ;   in Loop: Header=BB438_998 Depth=1
	s_and_not1_saveexec_b32 s12, s0
; %bb.1952:                             ;   in Loop: Header=BB438_998 Depth=1
	v_and_b32_e32 v4, 0xffff, v5
	v_or_b32_e32 v6, 0x10000, v5
	s_delay_alu instid0(VALU_DEP_2) | instskip(NEXT) | instid1(VALU_DEP_1)
	v_cmp_eq_u32_e64 s0, 0, v4
	v_cndmask_b32_e64 v4, v6, v5, s0
; %bb.1953:                             ;   in Loop: Header=BB438_998 Depth=1
	s_or_b32 exec_lo, exec_lo, s12
	v_lshrrev_b16 v6, 8, v2
	v_mov_b32_e32 v5, 0
	s_mov_b32 s12, exec_lo
	s_delay_alu instid0(VALU_DEP_2)
	v_cmpx_ne_u16_e32 0, v6
	s_cbranch_execz .LBB438_1961
; %bb.1954:                             ;   in Loop: Header=BB438_998 Depth=1
	v_bfrev_b32_e32 v5, 1
	s_mov_b32 s13, exec_lo
	v_cmpx_ne_u16_e32 0x80, v6
	s_cbranch_execz .LBB438_1960
; %bb.1955:                             ;   in Loop: Header=BB438_998 Depth=1
	v_and_b32_e32 v7, 0xffff, v6
	v_mov_b32_e32 v5, 0x7f800001
	s_mov_b32 s15, exec_lo
	s_delay_alu instid0(VALU_DEP_2) | instskip(NEXT) | instid1(VALU_DEP_1)
	v_and_b32_e32 v6, 0x7f, v7
	v_cmpx_ne_u32_e32 0x7f, v6
	s_cbranch_execz .LBB438_1959
; %bb.1956:                             ;   in Loop: Header=BB438_998 Depth=1
	v_and_b32_e32 v9, 7, v7
	v_lshrrev_b32_e32 v5, 3, v6
	s_mov_b32 s16, exec_lo
	v_cmpx_gt_u32_e32 8, v6
; %bb.1957:                             ;   in Loop: Header=BB438_998 Depth=1
	s_delay_alu instid0(VALU_DEP_3) | instskip(NEXT) | instid1(VALU_DEP_1)
	v_clz_i32_u32_e32 v5, v9
	v_min_u32_e32 v5, 32, v5
	s_delay_alu instid0(VALU_DEP_1) | instskip(SKIP_1) | instid1(VALU_DEP_2)
	v_subrev_nc_u32_e32 v6, 28, v5
	v_sub_nc_u32_e32 v5, 29, v5
	v_lshlrev_b64 v[6:7], v6, v[9:10]
	s_delay_alu instid0(VALU_DEP_1)
	v_and_b32_e32 v9, 7, v6
; %bb.1958:                             ;   in Loop: Header=BB438_998 Depth=1
	s_or_b32 exec_lo, exec_lo, s16
	v_lshlrev_b32_e32 v6, 16, v2
	s_delay_alu instid0(VALU_DEP_2) | instskip(SKIP_1) | instid1(VALU_DEP_3)
	v_lshlrev_b32_e32 v7, 20, v9
	v_lshl_add_u32 v5, v5, 23, 0x3c000000
	v_and_b32_e32 v6, 0x80000000, v6
	s_delay_alu instid0(VALU_DEP_1)
	v_or3_b32 v5, v7, v6, v5
.LBB438_1959:                           ;   in Loop: Header=BB438_998 Depth=1
	s_or_b32 exec_lo, exec_lo, s15
.LBB438_1960:                           ;   in Loop: Header=BB438_998 Depth=1
	s_delay_alu instid0(SALU_CYCLE_1)
	s_or_b32 exec_lo, exec_lo, s13
.LBB438_1961:                           ;   in Loop: Header=BB438_998 Depth=1
	s_delay_alu instid0(SALU_CYCLE_1) | instskip(NEXT) | instid1(VALU_DEP_1)
	s_or_b32 exec_lo, exec_lo, s12
	v_mul_f32_e32 v6, v8, v5
	s_delay_alu instid0(VALU_DEP_1) | instskip(NEXT) | instid1(VALU_DEP_1)
	v_and_b32_e32 v5, 0x7f800000, v6
	v_cmp_ne_u32_e64 s0, 0x7f800000, v5
                                        ; implicit-def: $vgpr5
	s_delay_alu instid0(VALU_DEP_1) | instskip(NEXT) | instid1(SALU_CYCLE_1)
	s_and_saveexec_b32 s12, s0
	s_xor_b32 s0, exec_lo, s12
; %bb.1962:                             ;   in Loop: Header=BB438_998 Depth=1
	v_bfe_u32 v5, v6, 16, 1
	s_delay_alu instid0(VALU_DEP_1)
	v_add3_u32 v5, v6, v5, 0x7fff
                                        ; implicit-def: $vgpr6
; %bb.1963:                             ;   in Loop: Header=BB438_998 Depth=1
	s_and_not1_saveexec_b32 s12, s0
; %bb.1964:                             ;   in Loop: Header=BB438_998 Depth=1
	v_and_b32_e32 v5, 0xffff, v6
	v_or_b32_e32 v7, 0x10000, v6
	s_delay_alu instid0(VALU_DEP_2) | instskip(NEXT) | instid1(VALU_DEP_1)
	v_cmp_eq_u32_e64 s0, 0, v5
	v_cndmask_b32_e64 v5, v7, v6, s0
; %bb.1965:                             ;   in Loop: Header=BB438_998 Depth=1
	s_or_b32 exec_lo, exec_lo, s12
	v_lshrrev_b32_e32 v6, 16, v2
	v_mov_b32_e32 v7, 0
	s_mov_b32 s12, exec_lo
	s_delay_alu instid0(VALU_DEP_2) | instskip(NEXT) | instid1(VALU_DEP_1)
	v_and_b32_e32 v9, 0xff, v6
	v_cmpx_ne_u16_e32 0, v9
	s_cbranch_execz .LBB438_1973
; %bb.1966:                             ;   in Loop: Header=BB438_998 Depth=1
	v_bfrev_b32_e32 v7, 1
	s_mov_b32 s13, exec_lo
	v_cmpx_ne_u16_e32 0x80, v9
	s_cbranch_execz .LBB438_1972
; %bb.1967:                             ;   in Loop: Header=BB438_998 Depth=1
	v_bfe_u32 v37, v2, 16, 7
	v_mov_b32_e32 v7, 0x7f800001
	s_mov_b32 s15, exec_lo
	s_delay_alu instid0(VALU_DEP_2)
	v_cmpx_ne_u32_e32 0x7f, v37
	s_cbranch_execz .LBB438_1971
; %bb.1968:                             ;   in Loop: Header=BB438_998 Depth=1
	v_and_b32_e32 v9, 7, v6
	v_lshrrev_b32_e32 v7, 3, v37
	s_mov_b32 s16, exec_lo
	v_cmpx_gt_u32_e32 8, v37
; %bb.1969:                             ;   in Loop: Header=BB438_998 Depth=1
	s_delay_alu instid0(VALU_DEP_3) | instskip(NEXT) | instid1(VALU_DEP_1)
	v_clz_i32_u32_e32 v7, v9
	v_min_u32_e32 v7, 32, v7
	s_delay_alu instid0(VALU_DEP_1) | instskip(SKIP_1) | instid1(VALU_DEP_2)
	v_subrev_nc_u32_e32 v37, 28, v7
	v_sub_nc_u32_e32 v7, 29, v7
	v_lshlrev_b64 v[56:57], v37, v[9:10]
	s_delay_alu instid0(VALU_DEP_1)
	v_and_b32_e32 v9, 7, v56
; %bb.1970:                             ;   in Loop: Header=BB438_998 Depth=1
	s_or_b32 exec_lo, exec_lo, s16
	v_lshlrev_b32_e32 v6, 24, v6
	s_delay_alu instid0(VALU_DEP_2) | instskip(SKIP_1) | instid1(VALU_DEP_3)
	v_lshlrev_b32_e32 v9, 20, v9
	v_lshl_add_u32 v7, v7, 23, 0x3c000000
	v_and_b32_e32 v6, 0x80000000, v6
	s_delay_alu instid0(VALU_DEP_1)
	v_or3_b32 v7, v9, v6, v7
.LBB438_1971:                           ;   in Loop: Header=BB438_998 Depth=1
	s_or_b32 exec_lo, exec_lo, s15
.LBB438_1972:                           ;   in Loop: Header=BB438_998 Depth=1
	s_delay_alu instid0(SALU_CYCLE_1)
	s_or_b32 exec_lo, exec_lo, s13
.LBB438_1973:                           ;   in Loop: Header=BB438_998 Depth=1
	s_delay_alu instid0(SALU_CYCLE_1) | instskip(NEXT) | instid1(VALU_DEP_1)
	s_or_b32 exec_lo, exec_lo, s12
	v_mul_f32_e32 v6, v8, v7
                                        ; implicit-def: $vgpr37
	s_delay_alu instid0(VALU_DEP_1) | instskip(NEXT) | instid1(VALU_DEP_1)
	v_and_b32_e32 v7, 0x7f800000, v6
	v_cmp_ne_u32_e64 s0, 0x7f800000, v7
	s_delay_alu instid0(VALU_DEP_1) | instskip(NEXT) | instid1(SALU_CYCLE_1)
	s_and_saveexec_b32 s12, s0
	s_xor_b32 s0, exec_lo, s12
; %bb.1974:                             ;   in Loop: Header=BB438_998 Depth=1
	v_bfe_u32 v7, v6, 16, 1
	s_delay_alu instid0(VALU_DEP_1)
	v_add3_u32 v37, v6, v7, 0x7fff
                                        ; implicit-def: $vgpr6
; %bb.1975:                             ;   in Loop: Header=BB438_998 Depth=1
	s_and_not1_saveexec_b32 s12, s0
; %bb.1976:                             ;   in Loop: Header=BB438_998 Depth=1
	v_and_b32_e32 v7, 0xffff, v6
	v_or_b32_e32 v9, 0x10000, v6
	s_delay_alu instid0(VALU_DEP_2) | instskip(NEXT) | instid1(VALU_DEP_1)
	v_cmp_eq_u32_e64 s0, 0, v7
	v_cndmask_b32_e64 v37, v9, v6, s0
; %bb.1977:                             ;   in Loop: Header=BB438_998 Depth=1
	s_or_b32 exec_lo, exec_lo, s12
	v_mov_b32_e32 v7, 0
	s_mov_b32 s12, exec_lo
	v_cmpx_lt_u32_e32 0xffffff, v2
	s_cbranch_execz .LBB438_1985
; %bb.1978:                             ;   in Loop: Header=BB438_998 Depth=1
	v_lshrrev_b32_e32 v6, 24, v2
	v_bfrev_b32_e32 v7, 1
	s_mov_b32 s13, exec_lo
	s_delay_alu instid0(VALU_DEP_2)
	v_cmpx_ne_u32_e32 0x80, v6
	s_cbranch_execz .LBB438_1984
; %bb.1979:                             ;   in Loop: Header=BB438_998 Depth=1
	v_bfe_u32 v39, v2, 24, 7
	v_mov_b32_e32 v7, 0x7f800001
	s_mov_b32 s15, exec_lo
	s_delay_alu instid0(VALU_DEP_2)
	v_cmpx_ne_u32_e32 0x7f, v39
	s_cbranch_execz .LBB438_1983
; %bb.1980:                             ;   in Loop: Header=BB438_998 Depth=1
	v_and_b32_e32 v9, 7, v6
	v_lshrrev_b32_e32 v7, 3, v39
	s_mov_b32 s16, exec_lo
	v_cmpx_gt_u32_e32 8, v39
; %bb.1981:                             ;   in Loop: Header=BB438_998 Depth=1
	s_delay_alu instid0(VALU_DEP_3) | instskip(NEXT) | instid1(VALU_DEP_1)
	v_clz_i32_u32_e32 v7, v9
	v_min_u32_e32 v7, 32, v7
	s_delay_alu instid0(VALU_DEP_1) | instskip(SKIP_1) | instid1(VALU_DEP_2)
	v_subrev_nc_u32_e32 v39, 28, v7
	v_sub_nc_u32_e32 v7, 29, v7
	v_lshlrev_b64 v[56:57], v39, v[9:10]
	s_delay_alu instid0(VALU_DEP_1)
	v_and_b32_e32 v9, 7, v56
; %bb.1982:                             ;   in Loop: Header=BB438_998 Depth=1
	s_or_b32 exec_lo, exec_lo, s16
	v_lshlrev_b32_e32 v6, 24, v6
	s_delay_alu instid0(VALU_DEP_2) | instskip(SKIP_1) | instid1(VALU_DEP_3)
	v_lshlrev_b32_e32 v9, 20, v9
	v_lshl_add_u32 v7, v7, 23, 0x3c000000
	v_and_b32_e32 v6, 0x80000000, v6
	s_delay_alu instid0(VALU_DEP_1)
	v_or3_b32 v7, v9, v6, v7
.LBB438_1983:                           ;   in Loop: Header=BB438_998 Depth=1
	s_or_b32 exec_lo, exec_lo, s15
.LBB438_1984:                           ;   in Loop: Header=BB438_998 Depth=1
	s_delay_alu instid0(SALU_CYCLE_1)
	s_or_b32 exec_lo, exec_lo, s13
.LBB438_1985:                           ;   in Loop: Header=BB438_998 Depth=1
	s_delay_alu instid0(SALU_CYCLE_1) | instskip(NEXT) | instid1(VALU_DEP_1)
	s_or_b32 exec_lo, exec_lo, s12
	v_mul_f32_e32 v6, v8, v7
                                        ; implicit-def: $vgpr39
	s_delay_alu instid0(VALU_DEP_1) | instskip(NEXT) | instid1(VALU_DEP_1)
	v_and_b32_e32 v7, 0x7f800000, v6
	v_cmp_ne_u32_e64 s0, 0x7f800000, v7
	s_delay_alu instid0(VALU_DEP_1) | instskip(NEXT) | instid1(SALU_CYCLE_1)
	s_and_saveexec_b32 s12, s0
	s_xor_b32 s0, exec_lo, s12
; %bb.1986:                             ;   in Loop: Header=BB438_998 Depth=1
	v_bfe_u32 v7, v6, 16, 1
	s_delay_alu instid0(VALU_DEP_1)
	v_add3_u32 v39, v6, v7, 0x7fff
                                        ; implicit-def: $vgpr6
; %bb.1987:                             ;   in Loop: Header=BB438_998 Depth=1
	s_and_not1_saveexec_b32 s12, s0
; %bb.1988:                             ;   in Loop: Header=BB438_998 Depth=1
	v_and_b32_e32 v7, 0xffff, v6
	v_or_b32_e32 v9, 0x10000, v6
	s_delay_alu instid0(VALU_DEP_2) | instskip(NEXT) | instid1(VALU_DEP_1)
	v_cmp_eq_u32_e64 s0, 0, v7
	v_cndmask_b32_e64 v39, v9, v6, s0
; %bb.1989:                             ;   in Loop: Header=BB438_998 Depth=1
	s_or_b32 exec_lo, exec_lo, s12
	v_dual_mov_b32 v6, 0 :: v_dual_and_b32 v7, 0xff, v3
	v_mov_b32_e32 v9, v3
	s_mov_b32 s12, exec_lo
	s_delay_alu instid0(VALU_DEP_2)
	v_cmpx_ne_u16_e32 0, v7
	s_cbranch_execz .LBB438_1997
; %bb.1990:                             ;   in Loop: Header=BB438_998 Depth=1
	v_bfrev_b32_e32 v6, 1
	s_mov_b32 s13, exec_lo
	v_cmpx_ne_u16_e32 0x80, v7
	s_cbranch_execz .LBB438_1996
; %bb.1991:                             ;   in Loop: Header=BB438_998 Depth=1
	v_and_b32_e32 v7, 0x7f, v3
	v_mov_b32_e32 v6, 0x7f800001
	s_mov_b32 s15, exec_lo
	s_delay_alu instid0(VALU_DEP_2)
	v_cmpx_ne_u32_e32 0x7f, v7
	s_cbranch_execz .LBB438_1995
; %bb.1992:                             ;   in Loop: Header=BB438_998 Depth=1
	v_lshrrev_b32_e32 v48, 3, v7
	v_cmp_gt_u32_e64 s0, 8, v7
	v_dual_mov_b32 v6, v9 :: v_dual_mov_b32 v7, v10
	s_delay_alu instid0(VALU_DEP_2)
	s_and_saveexec_b32 s16, s0
; %bb.1993:                             ;   in Loop: Header=BB438_998 Depth=1
	v_and_b32_e32 v6, 7, v3
	s_delay_alu instid0(VALU_DEP_1) | instskip(NEXT) | instid1(VALU_DEP_1)
	v_clz_i32_u32_e32 v6, v6
	v_min_u32_e32 v48, 32, v6
	s_delay_alu instid0(VALU_DEP_1) | instskip(SKIP_1) | instid1(VALU_DEP_2)
	v_subrev_nc_u32_e32 v6, 28, v48
	v_sub_nc_u32_e32 v48, 29, v48
	v_lshlrev_b64 v[6:7], v6, v[9:10]
; %bb.1994:                             ;   in Loop: Header=BB438_998 Depth=1
	s_or_b32 exec_lo, exec_lo, s16
	s_delay_alu instid0(VALU_DEP_1) | instskip(SKIP_2) | instid1(VALU_DEP_3)
	v_lshlrev_b32_e32 v6, 20, v6
	v_lshlrev_b32_e32 v7, 24, v9
	v_lshl_add_u32 v48, v48, 23, 0x3c000000
	v_and_b32_e32 v6, 0x700000, v6
	s_delay_alu instid0(VALU_DEP_3) | instskip(NEXT) | instid1(VALU_DEP_1)
	v_and_b32_e32 v7, 0x80000000, v7
	v_or3_b32 v6, v6, v7, v48
.LBB438_1995:                           ;   in Loop: Header=BB438_998 Depth=1
	s_or_b32 exec_lo, exec_lo, s15
.LBB438_1996:                           ;   in Loop: Header=BB438_998 Depth=1
	s_delay_alu instid0(SALU_CYCLE_1)
	s_or_b32 exec_lo, exec_lo, s13
.LBB438_1997:                           ;   in Loop: Header=BB438_998 Depth=1
	s_delay_alu instid0(SALU_CYCLE_1) | instskip(NEXT) | instid1(VALU_DEP_1)
	s_or_b32 exec_lo, exec_lo, s12
	v_mul_f32_e32 v6, v8, v6
                                        ; implicit-def: $vgpr48
	s_delay_alu instid0(VALU_DEP_1) | instskip(NEXT) | instid1(VALU_DEP_1)
	v_and_b32_e32 v7, 0x7f800000, v6
	v_cmp_ne_u32_e64 s0, 0x7f800000, v7
	s_delay_alu instid0(VALU_DEP_1) | instskip(NEXT) | instid1(SALU_CYCLE_1)
	s_and_saveexec_b32 s12, s0
	s_xor_b32 s0, exec_lo, s12
; %bb.1998:                             ;   in Loop: Header=BB438_998 Depth=1
	v_bfe_u32 v7, v6, 16, 1
	s_delay_alu instid0(VALU_DEP_1)
	v_add3_u32 v48, v6, v7, 0x7fff
                                        ; implicit-def: $vgpr6
; %bb.1999:                             ;   in Loop: Header=BB438_998 Depth=1
	s_and_not1_saveexec_b32 s12, s0
; %bb.2000:                             ;   in Loop: Header=BB438_998 Depth=1
	v_and_b32_e32 v7, 0xffff, v6
	v_or_b32_e32 v48, 0x10000, v6
	s_delay_alu instid0(VALU_DEP_2) | instskip(NEXT) | instid1(VALU_DEP_1)
	v_cmp_eq_u32_e64 s0, 0, v7
	v_cndmask_b32_e64 v48, v48, v6, s0
; %bb.2001:                             ;   in Loop: Header=BB438_998 Depth=1
	s_or_b32 exec_lo, exec_lo, s12
	v_lshrrev_b16 v7, 8, v9
	v_mov_b32_e32 v6, 0
	s_mov_b32 s12, exec_lo
	s_delay_alu instid0(VALU_DEP_2)
	v_cmpx_ne_u16_e32 0, v7
	s_cbranch_execz .LBB438_2009
; %bb.2002:                             ;   in Loop: Header=BB438_998 Depth=1
	v_bfrev_b32_e32 v6, 1
	s_mov_b32 s13, exec_lo
	v_cmpx_ne_u16_e32 0x80, v7
	s_cbranch_execz .LBB438_2008
; %bb.2003:                             ;   in Loop: Header=BB438_998 Depth=1
	v_and_b32_e32 v7, 0xffff, v7
	v_mov_b32_e32 v6, 0x7f800001
	s_mov_b32 s15, exec_lo
	s_delay_alu instid0(VALU_DEP_2) | instskip(NEXT) | instid1(VALU_DEP_1)
	v_and_b32_e32 v57, 0x7f, v7
	v_cmpx_ne_u32_e32 0x7f, v57
	s_cbranch_execz .LBB438_2007
; %bb.2004:                             ;   in Loop: Header=BB438_998 Depth=1
	v_dual_mov_b32 v7, v10 :: v_dual_and_b32 v6, 7, v7
	v_lshrrev_b32_e32 v56, 3, v57
	s_mov_b32 s16, exec_lo
	v_cmpx_gt_u32_e32 8, v57
; %bb.2005:                             ;   in Loop: Header=BB438_998 Depth=1
	s_delay_alu instid0(VALU_DEP_3) | instskip(NEXT) | instid1(VALU_DEP_1)
	v_clz_i32_u32_e32 v56, v6
	v_min_u32_e32 v56, 32, v56
	s_delay_alu instid0(VALU_DEP_1) | instskip(SKIP_1) | instid1(VALU_DEP_2)
	v_subrev_nc_u32_e32 v57, 28, v56
	v_sub_nc_u32_e32 v56, 29, v56
	v_lshlrev_b64 v[6:7], v57, v[6:7]
	s_delay_alu instid0(VALU_DEP_1)
	v_and_b32_e32 v6, 7, v6
; %bb.2006:                             ;   in Loop: Header=BB438_998 Depth=1
	s_or_b32 exec_lo, exec_lo, s16
	v_lshlrev_b32_e32 v7, 16, v9
	s_delay_alu instid0(VALU_DEP_2) | instskip(SKIP_1) | instid1(VALU_DEP_3)
	v_lshlrev_b32_e32 v6, 20, v6
	v_lshl_add_u32 v9, v56, 23, 0x3c000000
	v_and_b32_e32 v7, 0x80000000, v7
	s_delay_alu instid0(VALU_DEP_1)
	v_or3_b32 v6, v6, v7, v9
.LBB438_2007:                           ;   in Loop: Header=BB438_998 Depth=1
	s_or_b32 exec_lo, exec_lo, s15
.LBB438_2008:                           ;   in Loop: Header=BB438_998 Depth=1
	s_delay_alu instid0(SALU_CYCLE_1)
	s_or_b32 exec_lo, exec_lo, s13
.LBB438_2009:                           ;   in Loop: Header=BB438_998 Depth=1
	s_delay_alu instid0(SALU_CYCLE_1) | instskip(NEXT) | instid1(VALU_DEP_1)
	s_or_b32 exec_lo, exec_lo, s12
	v_mul_f32_e32 v7, v8, v6
	s_delay_alu instid0(VALU_DEP_1) | instskip(NEXT) | instid1(VALU_DEP_1)
	v_and_b32_e32 v6, 0x7f800000, v7
	v_cmp_ne_u32_e64 s0, 0x7f800000, v6
                                        ; implicit-def: $vgpr6
	s_delay_alu instid0(VALU_DEP_1) | instskip(NEXT) | instid1(SALU_CYCLE_1)
	s_and_saveexec_b32 s12, s0
	s_xor_b32 s0, exec_lo, s12
; %bb.2010:                             ;   in Loop: Header=BB438_998 Depth=1
	v_bfe_u32 v6, v7, 16, 1
	s_delay_alu instid0(VALU_DEP_1)
	v_add3_u32 v6, v7, v6, 0x7fff
                                        ; implicit-def: $vgpr7
; %bb.2011:                             ;   in Loop: Header=BB438_998 Depth=1
	s_and_not1_saveexec_b32 s12, s0
; %bb.2012:                             ;   in Loop: Header=BB438_998 Depth=1
	v_and_b32_e32 v6, 0xffff, v7
	v_or_b32_e32 v9, 0x10000, v7
	s_delay_alu instid0(VALU_DEP_2) | instskip(NEXT) | instid1(VALU_DEP_1)
	v_cmp_eq_u32_e64 s0, 0, v6
	v_cndmask_b32_e64 v6, v9, v7, s0
; %bb.2013:                             ;   in Loop: Header=BB438_998 Depth=1
	s_or_b32 exec_lo, exec_lo, s12
	v_lshrrev_b32_e32 v7, 16, v3
	s_mov_b32 s12, exec_lo
	s_delay_alu instid0(VALU_DEP_1) | instskip(NEXT) | instid1(VALU_DEP_1)
	v_dual_mov_b32 v9, 0 :: v_dual_and_b32 v56, 0xff, v7
	v_cmpx_ne_u16_e32 0, v56
	s_cbranch_execz .LBB438_2021
; %bb.2014:                             ;   in Loop: Header=BB438_998 Depth=1
	v_bfrev_b32_e32 v9, 1
	s_mov_b32 s13, exec_lo
	v_cmpx_ne_u16_e32 0x80, v56
	s_cbranch_execz .LBB438_2020
; %bb.2015:                             ;   in Loop: Header=BB438_998 Depth=1
	v_bfe_u32 v57, v3, 16, 7
	v_mov_b32_e32 v9, 0x7f800001
	s_mov_b32 s15, exec_lo
	s_delay_alu instid0(VALU_DEP_2)
	v_cmpx_ne_u32_e32 0x7f, v57
	s_cbranch_execz .LBB438_2019
; %bb.2016:                             ;   in Loop: Header=BB438_998 Depth=1
	v_and_b32_e32 v9, 7, v7
	v_lshrrev_b32_e32 v56, 3, v57
	s_mov_b32 s16, exec_lo
	v_cmpx_gt_u32_e32 8, v57
; %bb.2017:                             ;   in Loop: Header=BB438_998 Depth=1
	s_delay_alu instid0(VALU_DEP_3) | instskip(NEXT) | instid1(VALU_DEP_1)
	v_clz_i32_u32_e32 v56, v9
	v_min_u32_e32 v56, 32, v56
	s_delay_alu instid0(VALU_DEP_1) | instskip(SKIP_1) | instid1(VALU_DEP_2)
	v_subrev_nc_u32_e32 v57, 28, v56
	v_sub_nc_u32_e32 v56, 29, v56
	v_lshlrev_b64 v[57:58], v57, v[9:10]
	s_delay_alu instid0(VALU_DEP_1)
	v_and_b32_e32 v9, 7, v57
; %bb.2018:                             ;   in Loop: Header=BB438_998 Depth=1
	s_or_b32 exec_lo, exec_lo, s16
	v_lshlrev_b32_e32 v7, 24, v7
	s_delay_alu instid0(VALU_DEP_2) | instskip(SKIP_1) | instid1(VALU_DEP_3)
	v_lshlrev_b32_e32 v9, 20, v9
	v_lshl_add_u32 v56, v56, 23, 0x3c000000
	v_and_b32_e32 v7, 0x80000000, v7
	s_delay_alu instid0(VALU_DEP_1)
	v_or3_b32 v9, v9, v7, v56
.LBB438_2019:                           ;   in Loop: Header=BB438_998 Depth=1
	s_or_b32 exec_lo, exec_lo, s15
.LBB438_2020:                           ;   in Loop: Header=BB438_998 Depth=1
	s_delay_alu instid0(SALU_CYCLE_1)
	s_or_b32 exec_lo, exec_lo, s13
.LBB438_2021:                           ;   in Loop: Header=BB438_998 Depth=1
	s_delay_alu instid0(SALU_CYCLE_1) | instskip(NEXT) | instid1(VALU_DEP_1)
	s_or_b32 exec_lo, exec_lo, s12
	v_mul_f32_e32 v7, v8, v9
                                        ; implicit-def: $vgpr56
	s_delay_alu instid0(VALU_DEP_1) | instskip(NEXT) | instid1(VALU_DEP_1)
	v_and_b32_e32 v9, 0x7f800000, v7
	v_cmp_ne_u32_e64 s0, 0x7f800000, v9
	s_delay_alu instid0(VALU_DEP_1) | instskip(NEXT) | instid1(SALU_CYCLE_1)
	s_and_saveexec_b32 s12, s0
	s_xor_b32 s0, exec_lo, s12
; %bb.2022:                             ;   in Loop: Header=BB438_998 Depth=1
	v_bfe_u32 v9, v7, 16, 1
	s_delay_alu instid0(VALU_DEP_1)
	v_add3_u32 v56, v7, v9, 0x7fff
                                        ; implicit-def: $vgpr7
; %bb.2023:                             ;   in Loop: Header=BB438_998 Depth=1
	s_and_not1_saveexec_b32 s12, s0
; %bb.2024:                             ;   in Loop: Header=BB438_998 Depth=1
	v_and_b32_e32 v9, 0xffff, v7
	v_or_b32_e32 v56, 0x10000, v7
	s_delay_alu instid0(VALU_DEP_2) | instskip(NEXT) | instid1(VALU_DEP_1)
	v_cmp_eq_u32_e64 s0, 0, v9
	v_cndmask_b32_e64 v56, v56, v7, s0
; %bb.2025:                             ;   in Loop: Header=BB438_998 Depth=1
	s_or_b32 exec_lo, exec_lo, s12
	v_mov_b32_e32 v7, 0
	s_mov_b32 s12, exec_lo
	v_cmpx_lt_u64_e64 s[8:9], v[2:3]
	s_cbranch_execz .LBB438_2033
; %bb.2026:                             ;   in Loop: Header=BB438_998 Depth=1
	v_lshrrev_b32_e32 v2, 24, v3
	v_bfrev_b32_e32 v7, 1
	s_mov_b32 s13, exec_lo
	s_delay_alu instid0(VALU_DEP_2)
	v_cmpx_ne_u32_e32 0x80, v2
	s_cbranch_execz .LBB438_2032
; %bb.2027:                             ;   in Loop: Header=BB438_998 Depth=1
	v_bfe_u32 v57, v3, 24, 7
	v_mov_b32_e32 v7, 0x7f800001
	s_mov_b32 s15, exec_lo
	s_delay_alu instid0(VALU_DEP_2)
	v_cmpx_ne_u32_e32 0x7f, v57
	s_cbranch_execz .LBB438_2031
; %bb.2028:                             ;   in Loop: Header=BB438_998 Depth=1
	v_and_b32_e32 v9, 7, v2
	v_lshrrev_b32_e32 v3, 3, v57
	s_mov_b32 s16, exec_lo
	v_cmpx_gt_u32_e32 8, v57
; %bb.2029:                             ;   in Loop: Header=BB438_998 Depth=1
	s_delay_alu instid0(VALU_DEP_3) | instskip(NEXT) | instid1(VALU_DEP_1)
	v_clz_i32_u32_e32 v3, v9
	v_min_u32_e32 v3, 32, v3
	s_delay_alu instid0(VALU_DEP_1) | instskip(SKIP_1) | instid1(VALU_DEP_2)
	v_subrev_nc_u32_e32 v7, 28, v3
	v_sub_nc_u32_e32 v3, 29, v3
	v_lshlrev_b64 v[57:58], v7, v[9:10]
	s_delay_alu instid0(VALU_DEP_1)
	v_and_b32_e32 v9, 7, v57
; %bb.2030:                             ;   in Loop: Header=BB438_998 Depth=1
	s_or_b32 exec_lo, exec_lo, s16
	v_lshlrev_b32_e32 v2, 24, v2
	s_delay_alu instid0(VALU_DEP_2) | instskip(SKIP_1) | instid1(VALU_DEP_3)
	v_lshlrev_b32_e32 v7, 20, v9
	v_lshl_add_u32 v3, v3, 23, 0x3c000000
	v_and_b32_e32 v2, 0x80000000, v2
	s_delay_alu instid0(VALU_DEP_1)
	v_or3_b32 v7, v7, v2, v3
.LBB438_2031:                           ;   in Loop: Header=BB438_998 Depth=1
	s_or_b32 exec_lo, exec_lo, s15
.LBB438_2032:                           ;   in Loop: Header=BB438_998 Depth=1
	s_delay_alu instid0(SALU_CYCLE_1)
	s_or_b32 exec_lo, exec_lo, s13
.LBB438_2033:                           ;   in Loop: Header=BB438_998 Depth=1
	s_delay_alu instid0(SALU_CYCLE_1) | instskip(NEXT) | instid1(VALU_DEP_1)
	s_or_b32 exec_lo, exec_lo, s12
	v_mul_f32_e32 v3, v8, v7
	s_delay_alu instid0(VALU_DEP_1) | instskip(NEXT) | instid1(VALU_DEP_1)
	v_and_b32_e32 v2, 0x7f800000, v3
	v_cmp_ne_u32_e64 s0, 0x7f800000, v2
                                        ; implicit-def: $vgpr2
	s_delay_alu instid0(VALU_DEP_1) | instskip(NEXT) | instid1(SALU_CYCLE_1)
	s_and_saveexec_b32 s12, s0
	s_xor_b32 s0, exec_lo, s12
; %bb.2034:                             ;   in Loop: Header=BB438_998 Depth=1
	v_bfe_u32 v2, v3, 16, 1
	s_delay_alu instid0(VALU_DEP_1)
	v_add3_u32 v2, v3, v2, 0x7fff
                                        ; implicit-def: $vgpr3
; %bb.2035:                             ;   in Loop: Header=BB438_998 Depth=1
	s_and_not1_saveexec_b32 s12, s0
; %bb.2036:                             ;   in Loop: Header=BB438_998 Depth=1
	v_and_b32_e32 v2, 0xffff, v3
	v_or_b32_e32 v7, 0x10000, v3
	s_delay_alu instid0(VALU_DEP_2) | instskip(NEXT) | instid1(VALU_DEP_1)
	v_cmp_eq_u32_e64 s0, 0, v2
	v_cndmask_b32_e64 v2, v7, v3, s0
; %bb.2037:                             ;   in Loop: Header=BB438_998 Depth=1
	s_or_b32 exec_lo, exec_lo, s12
	v_lshrrev_b32_e32 v6, 16, v6
	v_lshrrev_b32_e32 v7, 16, v48
	;; [unrolled: 1-line block ×8, first 2 shown]
	s_and_saveexec_b32 s12, vcc_lo
	s_cbranch_execz .LBB438_2039
; %bb.2038:                             ;   in Loop: Header=BB438_998 Depth=1
	v_cmp_lt_i32_e64 s0, v80, v38
	s_delay_alu instid0(VALU_DEP_1) | instskip(SKIP_1) | instid1(VALU_DEP_1)
	v_cndmask_b32_e64 v4, 0, v4, s0
	v_cmp_lt_i32_e64 s0, v87, v38
	v_cndmask_b32_e64 v5, 0, v5, s0
	v_cmp_lt_i32_e64 s0, v86, v38
	s_delay_alu instid0(VALU_DEP_1) | instskip(SKIP_1) | instid1(VALU_DEP_1)
	v_cndmask_b32_e64 v37, 0, v37, s0
	v_cmp_lt_i32_e64 s0, v85, v38
	v_cndmask_b32_e64 v9, 0, v9, s0
	;; [unrolled: 5-line block ×4, first 2 shown]
.LBB438_2039:                           ;   in Loop: Header=BB438_998 Depth=1
	s_or_b32 exec_lo, exec_lo, s12
	v_lshlrev_b32_e32 v4, 16, v4
	s_delay_alu instid0(VALU_DEP_1) | instskip(NEXT) | instid1(VALU_DEP_1)
	v_mul_f32_e32 v39, v96, v4
	v_and_b32_e32 v4, 0x7f800000, v39
	s_delay_alu instid0(VALU_DEP_1) | instskip(NEXT) | instid1(VALU_DEP_1)
	v_cmp_ne_u32_e64 s0, 0x7f800000, v4
                                        ; implicit-def: $vgpr4
	s_and_saveexec_b32 s12, s0
	s_delay_alu instid0(SALU_CYCLE_1)
	s_xor_b32 s0, exec_lo, s12
; %bb.2040:                             ;   in Loop: Header=BB438_998 Depth=1
	v_bfe_u32 v4, v39, 16, 1
	s_delay_alu instid0(VALU_DEP_1)
	v_add3_u32 v4, v39, v4, 0x7fff
                                        ; implicit-def: $vgpr39
; %bb.2041:                             ;   in Loop: Header=BB438_998 Depth=1
	s_and_not1_saveexec_b32 s12, s0
; %bb.2042:                             ;   in Loop: Header=BB438_998 Depth=1
	v_and_b32_e32 v4, 0xffff, v39
	v_or_b32_e32 v48, 0x10000, v39
	s_delay_alu instid0(VALU_DEP_2) | instskip(NEXT) | instid1(VALU_DEP_1)
	v_cmp_eq_u32_e64 s0, 0, v4
	v_cndmask_b32_e64 v4, v48, v39, s0
; %bb.2043:                             ;   in Loop: Header=BB438_998 Depth=1
	s_or_b32 exec_lo, exec_lo, s12
	v_lshlrev_b32_e32 v5, 16, v5
	s_delay_alu instid0(VALU_DEP_1) | instskip(NEXT) | instid1(VALU_DEP_1)
	v_mul_f32_e32 v39, v97, v5
	v_and_b32_e32 v5, 0x7f800000, v39
	s_delay_alu instid0(VALU_DEP_1) | instskip(NEXT) | instid1(VALU_DEP_1)
	v_cmp_ne_u32_e64 s0, 0x7f800000, v5
                                        ; implicit-def: $vgpr5
	s_and_saveexec_b32 s12, s0
	s_delay_alu instid0(SALU_CYCLE_1)
	s_xor_b32 s0, exec_lo, s12
; %bb.2044:                             ;   in Loop: Header=BB438_998 Depth=1
	v_bfe_u32 v5, v39, 16, 1
	s_delay_alu instid0(VALU_DEP_1)
	v_add3_u32 v5, v39, v5, 0x7fff
                                        ; implicit-def: $vgpr39
; %bb.2045:                             ;   in Loop: Header=BB438_998 Depth=1
	s_and_not1_saveexec_b32 s12, s0
; %bb.2046:                             ;   in Loop: Header=BB438_998 Depth=1
	v_and_b32_e32 v5, 0xffff, v39
	v_or_b32_e32 v48, 0x10000, v39
	s_delay_alu instid0(VALU_DEP_2) | instskip(NEXT) | instid1(VALU_DEP_1)
	v_cmp_eq_u32_e64 s0, 0, v5
	v_cndmask_b32_e64 v5, v48, v39, s0
; %bb.2047:                             ;   in Loop: Header=BB438_998 Depth=1
	s_or_b32 exec_lo, exec_lo, s12
	v_lshlrev_b32_e32 v37, 16, v37
                                        ; implicit-def: $vgpr56
	s_delay_alu instid0(VALU_DEP_1) | instskip(NEXT) | instid1(VALU_DEP_1)
	v_mul_f32_e32 v37, v98, v37
	v_and_b32_e32 v39, 0x7f800000, v37
	s_delay_alu instid0(VALU_DEP_1) | instskip(NEXT) | instid1(VALU_DEP_1)
	v_cmp_ne_u32_e64 s0, 0x7f800000, v39
	s_and_saveexec_b32 s12, s0
	s_delay_alu instid0(SALU_CYCLE_1)
	s_xor_b32 s0, exec_lo, s12
; %bb.2048:                             ;   in Loop: Header=BB438_998 Depth=1
	v_bfe_u32 v39, v37, 16, 1
	s_delay_alu instid0(VALU_DEP_1)
	v_add3_u32 v56, v37, v39, 0x7fff
                                        ; implicit-def: $vgpr37
; %bb.2049:                             ;   in Loop: Header=BB438_998 Depth=1
	s_and_not1_saveexec_b32 s12, s0
; %bb.2050:                             ;   in Loop: Header=BB438_998 Depth=1
	v_and_b32_e32 v39, 0xffff, v37
	v_or_b32_e32 v48, 0x10000, v37
	s_delay_alu instid0(VALU_DEP_2) | instskip(NEXT) | instid1(VALU_DEP_1)
	v_cmp_eq_u32_e64 s0, 0, v39
	v_cndmask_b32_e64 v56, v48, v37, s0
; %bb.2051:                             ;   in Loop: Header=BB438_998 Depth=1
	s_or_b32 exec_lo, exec_lo, s12
	v_lshlrev_b32_e32 v9, 16, v9
                                        ; implicit-def: $vgpr57
	s_delay_alu instid0(VALU_DEP_1) | instskip(NEXT) | instid1(VALU_DEP_1)
	v_mul_f32_e32 v9, v99, v9
	v_and_b32_e32 v37, 0x7f800000, v9
	s_delay_alu instid0(VALU_DEP_1) | instskip(NEXT) | instid1(VALU_DEP_1)
	v_cmp_ne_u32_e64 s0, 0x7f800000, v37
	s_and_saveexec_b32 s12, s0
	s_delay_alu instid0(SALU_CYCLE_1)
	s_xor_b32 s0, exec_lo, s12
; %bb.2052:                             ;   in Loop: Header=BB438_998 Depth=1
	v_bfe_u32 v37, v9, 16, 1
	s_delay_alu instid0(VALU_DEP_1)
	v_add3_u32 v57, v9, v37, 0x7fff
                                        ; implicit-def: $vgpr9
; %bb.2053:                             ;   in Loop: Header=BB438_998 Depth=1
	s_and_not1_saveexec_b32 s12, s0
; %bb.2054:                             ;   in Loop: Header=BB438_998 Depth=1
	v_and_b32_e32 v37, 0xffff, v9
	v_or_b32_e32 v39, 0x10000, v9
	s_delay_alu instid0(VALU_DEP_2) | instskip(NEXT) | instid1(VALU_DEP_1)
	v_cmp_eq_u32_e64 s0, 0, v37
	v_cndmask_b32_e64 v57, v39, v9, s0
; %bb.2055:                             ;   in Loop: Header=BB438_998 Depth=1
	s_or_b32 exec_lo, exec_lo, s12
	v_lshlrev_b32_e32 v7, 16, v7
                                        ; implicit-def: $vgpr58
	s_delay_alu instid0(VALU_DEP_1) | instskip(NEXT) | instid1(VALU_DEP_1)
	v_mul_f32_e32 v7, v100, v7
	v_and_b32_e32 v9, 0x7f800000, v7
	s_delay_alu instid0(VALU_DEP_1) | instskip(NEXT) | instid1(VALU_DEP_1)
	v_cmp_ne_u32_e64 s0, 0x7f800000, v9
	s_and_saveexec_b32 s12, s0
	s_delay_alu instid0(SALU_CYCLE_1)
	s_xor_b32 s0, exec_lo, s12
; %bb.2056:                             ;   in Loop: Header=BB438_998 Depth=1
	v_bfe_u32 v9, v7, 16, 1
	s_delay_alu instid0(VALU_DEP_1)
	v_add3_u32 v58, v7, v9, 0x7fff
                                        ; implicit-def: $vgpr7
; %bb.2057:                             ;   in Loop: Header=BB438_998 Depth=1
	s_and_not1_saveexec_b32 s12, s0
; %bb.2058:                             ;   in Loop: Header=BB438_998 Depth=1
	v_and_b32_e32 v9, 0xffff, v7
	v_or_b32_e32 v37, 0x10000, v7
	s_delay_alu instid0(VALU_DEP_2) | instskip(NEXT) | instid1(VALU_DEP_1)
	v_cmp_eq_u32_e64 s0, 0, v9
	v_cndmask_b32_e64 v58, v37, v7, s0
; %bb.2059:                             ;   in Loop: Header=BB438_998 Depth=1
	s_or_b32 exec_lo, exec_lo, s12
	v_lshlrev_b32_e32 v6, 16, v6
                                        ; implicit-def: $vgpr59
	s_delay_alu instid0(VALU_DEP_1) | instskip(NEXT) | instid1(VALU_DEP_1)
	v_mul_f32_e32 v6, v101, v6
	v_and_b32_e32 v7, 0x7f800000, v6
	s_delay_alu instid0(VALU_DEP_1) | instskip(NEXT) | instid1(VALU_DEP_1)
	v_cmp_ne_u32_e64 s0, 0x7f800000, v7
	s_and_saveexec_b32 s12, s0
	s_delay_alu instid0(SALU_CYCLE_1)
	s_xor_b32 s0, exec_lo, s12
; %bb.2060:                             ;   in Loop: Header=BB438_998 Depth=1
	v_bfe_u32 v7, v6, 16, 1
	s_delay_alu instid0(VALU_DEP_1)
	v_add3_u32 v59, v6, v7, 0x7fff
                                        ; implicit-def: $vgpr6
; %bb.2061:                             ;   in Loop: Header=BB438_998 Depth=1
	s_and_not1_saveexec_b32 s12, s0
; %bb.2062:                             ;   in Loop: Header=BB438_998 Depth=1
	v_and_b32_e32 v7, 0xffff, v6
	v_or_b32_e32 v9, 0x10000, v6
	s_delay_alu instid0(VALU_DEP_2) | instskip(NEXT) | instid1(VALU_DEP_1)
	v_cmp_eq_u32_e64 s0, 0, v7
	v_cndmask_b32_e64 v59, v9, v6, s0
; %bb.2063:                             ;   in Loop: Header=BB438_998 Depth=1
	s_or_b32 exec_lo, exec_lo, s12
	v_lshlrev_b32_e32 v3, 16, v3
                                        ; implicit-def: $vgpr60
	s_delay_alu instid0(VALU_DEP_1) | instskip(NEXT) | instid1(VALU_DEP_1)
	v_mul_f32_e32 v3, v102, v3
	v_and_b32_e32 v6, 0x7f800000, v3
	s_delay_alu instid0(VALU_DEP_1) | instskip(NEXT) | instid1(VALU_DEP_1)
	v_cmp_ne_u32_e64 s0, 0x7f800000, v6
	s_and_saveexec_b32 s12, s0
	s_delay_alu instid0(SALU_CYCLE_1)
	s_xor_b32 s0, exec_lo, s12
; %bb.2064:                             ;   in Loop: Header=BB438_998 Depth=1
	v_bfe_u32 v6, v3, 16, 1
	s_delay_alu instid0(VALU_DEP_1)
	v_add3_u32 v60, v3, v6, 0x7fff
                                        ; implicit-def: $vgpr3
; %bb.2065:                             ;   in Loop: Header=BB438_998 Depth=1
	s_and_not1_saveexec_b32 s12, s0
; %bb.2066:                             ;   in Loop: Header=BB438_998 Depth=1
	v_and_b32_e32 v6, 0xffff, v3
	v_or_b32_e32 v7, 0x10000, v3
	s_delay_alu instid0(VALU_DEP_2) | instskip(NEXT) | instid1(VALU_DEP_1)
	v_cmp_eq_u32_e64 s0, 0, v6
	v_cndmask_b32_e64 v60, v7, v3, s0
; %bb.2067:                             ;   in Loop: Header=BB438_998 Depth=1
	s_or_b32 exec_lo, exec_lo, s12
	v_lshlrev_b32_e32 v2, 16, v2
                                        ; implicit-def: $vgpr39
	s_delay_alu instid0(VALU_DEP_1) | instskip(NEXT) | instid1(VALU_DEP_1)
	v_mul_f32_e32 v2, v103, v2
	v_and_b32_e32 v3, 0x7f800000, v2
	s_delay_alu instid0(VALU_DEP_1) | instskip(NEXT) | instid1(VALU_DEP_1)
	v_cmp_ne_u32_e64 s0, 0x7f800000, v3
	s_and_saveexec_b32 s12, s0
	s_delay_alu instid0(SALU_CYCLE_1)
	s_xor_b32 s0, exec_lo, s12
; %bb.2068:                             ;   in Loop: Header=BB438_998 Depth=1
	v_bfe_u32 v3, v2, 16, 1
	s_delay_alu instid0(VALU_DEP_1)
	v_add3_u32 v39, v2, v3, 0x7fff
                                        ; implicit-def: $vgpr2
; %bb.2069:                             ;   in Loop: Header=BB438_998 Depth=1
	s_and_not1_saveexec_b32 s12, s0
; %bb.2070:                             ;   in Loop: Header=BB438_998 Depth=1
	v_and_b32_e32 v3, 0xffff, v2
	v_or_b32_e32 v6, 0x10000, v2
	s_delay_alu instid0(VALU_DEP_2) | instskip(NEXT) | instid1(VALU_DEP_1)
	v_cmp_eq_u32_e64 s0, 0, v3
	v_cndmask_b32_e64 v39, v6, v2, s0
; %bb.2071:                             ;   in Loop: Header=BB438_998 Depth=1
	s_or_b32 exec_lo, exec_lo, s12
	flat_load_b64 v[2:3], v[0:1] offset:2048
	s_mov_b32 s12, exec_lo
	s_waitcnt vmcnt(0) lgkmcnt(0)
	v_dual_mov_b32 v6, 0 :: v_dual_and_b32 v7, 0xff, v2
	s_delay_alu instid0(VALU_DEP_1)
	v_cmpx_ne_u16_e32 0, v7
	s_cbranch_execz .LBB438_2079
; %bb.2072:                             ;   in Loop: Header=BB438_998 Depth=1
	v_bfrev_b32_e32 v6, 1
	s_mov_b32 s13, exec_lo
	v_cmpx_ne_u16_e32 0x80, v7
	s_cbranch_execz .LBB438_2078
; %bb.2073:                             ;   in Loop: Header=BB438_998 Depth=1
	v_and_b32_e32 v7, 0x7f, v2
	v_mov_b32_e32 v6, 0x7f800001
	s_mov_b32 s15, exec_lo
	s_delay_alu instid0(VALU_DEP_2)
	v_cmpx_ne_u32_e32 0x7f, v7
	s_cbranch_execz .LBB438_2077
; %bb.2074:                             ;   in Loop: Header=BB438_998 Depth=1
	v_lshrrev_b32_e32 v9, 3, v7
	v_cmp_gt_u32_e64 s0, 8, v7
	v_dual_mov_b32 v7, v3 :: v_dual_mov_b32 v6, v2
	s_delay_alu instid0(VALU_DEP_2)
	s_and_saveexec_b32 s16, s0
; %bb.2075:                             ;   in Loop: Header=BB438_998 Depth=1
	v_and_b32_e32 v6, 7, v2
	s_delay_alu instid0(VALU_DEP_1) | instskip(NEXT) | instid1(VALU_DEP_1)
	v_clz_i32_u32_e32 v6, v6
	v_min_u32_e32 v9, 32, v6
	s_delay_alu instid0(VALU_DEP_1) | instskip(SKIP_1) | instid1(VALU_DEP_2)
	v_subrev_nc_u32_e32 v6, 28, v9
	v_sub_nc_u32_e32 v9, 29, v9
	v_lshlrev_b64 v[6:7], v6, v[2:3]
; %bb.2076:                             ;   in Loop: Header=BB438_998 Depth=1
	s_or_b32 exec_lo, exec_lo, s16
	s_delay_alu instid0(VALU_DEP_1) | instskip(SKIP_2) | instid1(VALU_DEP_3)
	v_lshlrev_b32_e32 v6, 20, v6
	v_lshlrev_b32_e32 v7, 24, v2
	v_lshl_add_u32 v9, v9, 23, 0x3c000000
	v_and_b32_e32 v6, 0x700000, v6
	s_delay_alu instid0(VALU_DEP_3) | instskip(NEXT) | instid1(VALU_DEP_1)
	v_and_b32_e32 v7, 0x80000000, v7
	v_or3_b32 v6, v6, v7, v9
.LBB438_2077:                           ;   in Loop: Header=BB438_998 Depth=1
	s_or_b32 exec_lo, exec_lo, s15
.LBB438_2078:                           ;   in Loop: Header=BB438_998 Depth=1
	s_delay_alu instid0(SALU_CYCLE_1)
	s_or_b32 exec_lo, exec_lo, s13
.LBB438_2079:                           ;   in Loop: Header=BB438_998 Depth=1
	s_delay_alu instid0(SALU_CYCLE_1) | instskip(NEXT) | instid1(VALU_DEP_1)
	s_or_b32 exec_lo, exec_lo, s12
	v_mul_f32_e32 v6, v8, v6
                                        ; implicit-def: $vgpr37
	s_delay_alu instid0(VALU_DEP_1) | instskip(NEXT) | instid1(VALU_DEP_1)
	v_and_b32_e32 v7, 0x7f800000, v6
	v_cmp_ne_u32_e64 s0, 0x7f800000, v7
	s_delay_alu instid0(VALU_DEP_1) | instskip(NEXT) | instid1(SALU_CYCLE_1)
	s_and_saveexec_b32 s12, s0
	s_xor_b32 s0, exec_lo, s12
; %bb.2080:                             ;   in Loop: Header=BB438_998 Depth=1
	v_bfe_u32 v7, v6, 16, 1
	s_delay_alu instid0(VALU_DEP_1)
	v_add3_u32 v37, v6, v7, 0x7fff
                                        ; implicit-def: $vgpr6
; %bb.2081:                             ;   in Loop: Header=BB438_998 Depth=1
	s_and_not1_saveexec_b32 s12, s0
; %bb.2082:                             ;   in Loop: Header=BB438_998 Depth=1
	v_and_b32_e32 v7, 0xffff, v6
	v_or_b32_e32 v9, 0x10000, v6
	s_delay_alu instid0(VALU_DEP_2) | instskip(NEXT) | instid1(VALU_DEP_1)
	v_cmp_eq_u32_e64 s0, 0, v7
	v_cndmask_b32_e64 v37, v9, v6, s0
; %bb.2083:                             ;   in Loop: Header=BB438_998 Depth=1
	s_or_b32 exec_lo, exec_lo, s12
	v_lshrrev_b16 v7, 8, v2
	v_mov_b32_e32 v6, 0
	s_mov_b32 s12, exec_lo
	s_delay_alu instid0(VALU_DEP_2)
	v_cmpx_ne_u16_e32 0, v7
	s_cbranch_execz .LBB438_2091
; %bb.2084:                             ;   in Loop: Header=BB438_998 Depth=1
	v_bfrev_b32_e32 v6, 1
	s_mov_b32 s13, exec_lo
	v_cmpx_ne_u16_e32 0x80, v7
	s_cbranch_execz .LBB438_2090
; %bb.2085:                             ;   in Loop: Header=BB438_998 Depth=1
	v_and_b32_e32 v9, 0xffff, v7
	v_mov_b32_e32 v6, 0x7f800001
	s_mov_b32 s15, exec_lo
	s_delay_alu instid0(VALU_DEP_2) | instskip(NEXT) | instid1(VALU_DEP_1)
	v_and_b32_e32 v7, 0x7f, v9
	v_cmpx_ne_u32_e32 0x7f, v7
	s_cbranch_execz .LBB438_2089
; %bb.2086:                             ;   in Loop: Header=BB438_998 Depth=1
	v_and_b32_e32 v9, 7, v9
	v_lshrrev_b32_e32 v6, 3, v7
	s_mov_b32 s16, exec_lo
	v_cmpx_gt_u32_e32 8, v7
; %bb.2087:                             ;   in Loop: Header=BB438_998 Depth=1
	s_delay_alu instid0(VALU_DEP_3) | instskip(NEXT) | instid1(VALU_DEP_1)
	v_clz_i32_u32_e32 v6, v9
	v_min_u32_e32 v6, 32, v6
	s_delay_alu instid0(VALU_DEP_1) | instskip(SKIP_1) | instid1(VALU_DEP_2)
	v_subrev_nc_u32_e32 v7, 28, v6
	v_sub_nc_u32_e32 v6, 29, v6
	v_lshlrev_b64 v[61:62], v7, v[9:10]
	s_delay_alu instid0(VALU_DEP_1)
	v_and_b32_e32 v9, 7, v61
; %bb.2088:                             ;   in Loop: Header=BB438_998 Depth=1
	s_or_b32 exec_lo, exec_lo, s16
	v_lshlrev_b32_e32 v7, 16, v2
	s_delay_alu instid0(VALU_DEP_2) | instskip(SKIP_1) | instid1(VALU_DEP_3)
	v_lshlrev_b32_e32 v9, 20, v9
	v_lshl_add_u32 v6, v6, 23, 0x3c000000
	v_and_b32_e32 v7, 0x80000000, v7
	s_delay_alu instid0(VALU_DEP_1)
	v_or3_b32 v6, v9, v7, v6
.LBB438_2089:                           ;   in Loop: Header=BB438_998 Depth=1
	s_or_b32 exec_lo, exec_lo, s15
.LBB438_2090:                           ;   in Loop: Header=BB438_998 Depth=1
	s_delay_alu instid0(SALU_CYCLE_1)
	s_or_b32 exec_lo, exec_lo, s13
.LBB438_2091:                           ;   in Loop: Header=BB438_998 Depth=1
	s_delay_alu instid0(SALU_CYCLE_1) | instskip(NEXT) | instid1(VALU_DEP_1)
	s_or_b32 exec_lo, exec_lo, s12
	v_mul_f32_e32 v6, v8, v6
                                        ; implicit-def: $vgpr48
	s_delay_alu instid0(VALU_DEP_1) | instskip(NEXT) | instid1(VALU_DEP_1)
	v_and_b32_e32 v7, 0x7f800000, v6
	v_cmp_ne_u32_e64 s0, 0x7f800000, v7
	s_delay_alu instid0(VALU_DEP_1) | instskip(NEXT) | instid1(SALU_CYCLE_1)
	s_and_saveexec_b32 s12, s0
	s_xor_b32 s0, exec_lo, s12
; %bb.2092:                             ;   in Loop: Header=BB438_998 Depth=1
	v_bfe_u32 v7, v6, 16, 1
	s_delay_alu instid0(VALU_DEP_1)
	v_add3_u32 v48, v6, v7, 0x7fff
                                        ; implicit-def: $vgpr6
; %bb.2093:                             ;   in Loop: Header=BB438_998 Depth=1
	s_and_not1_saveexec_b32 s12, s0
; %bb.2094:                             ;   in Loop: Header=BB438_998 Depth=1
	v_and_b32_e32 v7, 0xffff, v6
	v_or_b32_e32 v9, 0x10000, v6
	s_delay_alu instid0(VALU_DEP_2) | instskip(NEXT) | instid1(VALU_DEP_1)
	v_cmp_eq_u32_e64 s0, 0, v7
	v_cndmask_b32_e64 v48, v9, v6, s0
; %bb.2095:                             ;   in Loop: Header=BB438_998 Depth=1
	s_or_b32 exec_lo, exec_lo, s12
	v_lshrrev_b32_e32 v6, 16, v2
	v_mov_b32_e32 v7, 0
	s_mov_b32 s12, exec_lo
	s_delay_alu instid0(VALU_DEP_2) | instskip(NEXT) | instid1(VALU_DEP_1)
	v_and_b32_e32 v9, 0xff, v6
	v_cmpx_ne_u16_e32 0, v9
	s_cbranch_execz .LBB438_2103
; %bb.2096:                             ;   in Loop: Header=BB438_998 Depth=1
	v_bfrev_b32_e32 v7, 1
	s_mov_b32 s13, exec_lo
	v_cmpx_ne_u16_e32 0x80, v9
	s_cbranch_execz .LBB438_2102
; %bb.2097:                             ;   in Loop: Header=BB438_998 Depth=1
	v_bfe_u32 v61, v2, 16, 7
	v_mov_b32_e32 v7, 0x7f800001
	s_mov_b32 s15, exec_lo
	s_delay_alu instid0(VALU_DEP_2)
	v_cmpx_ne_u32_e32 0x7f, v61
	s_cbranch_execz .LBB438_2101
; %bb.2098:                             ;   in Loop: Header=BB438_998 Depth=1
	v_and_b32_e32 v9, 7, v6
	v_lshrrev_b32_e32 v7, 3, v61
	s_mov_b32 s16, exec_lo
	v_cmpx_gt_u32_e32 8, v61
; %bb.2099:                             ;   in Loop: Header=BB438_998 Depth=1
	s_delay_alu instid0(VALU_DEP_3) | instskip(NEXT) | instid1(VALU_DEP_1)
	v_clz_i32_u32_e32 v7, v9
	v_min_u32_e32 v7, 32, v7
	s_delay_alu instid0(VALU_DEP_1) | instskip(SKIP_1) | instid1(VALU_DEP_2)
	v_subrev_nc_u32_e32 v61, 28, v7
	v_sub_nc_u32_e32 v7, 29, v7
	v_lshlrev_b64 v[61:62], v61, v[9:10]
	s_delay_alu instid0(VALU_DEP_1)
	v_and_b32_e32 v9, 7, v61
; %bb.2100:                             ;   in Loop: Header=BB438_998 Depth=1
	s_or_b32 exec_lo, exec_lo, s16
	v_lshlrev_b32_e32 v6, 24, v6
	s_delay_alu instid0(VALU_DEP_2) | instskip(SKIP_1) | instid1(VALU_DEP_3)
	v_lshlrev_b32_e32 v9, 20, v9
	v_lshl_add_u32 v7, v7, 23, 0x3c000000
	v_and_b32_e32 v6, 0x80000000, v6
	s_delay_alu instid0(VALU_DEP_1)
	v_or3_b32 v7, v9, v6, v7
.LBB438_2101:                           ;   in Loop: Header=BB438_998 Depth=1
	s_or_b32 exec_lo, exec_lo, s15
.LBB438_2102:                           ;   in Loop: Header=BB438_998 Depth=1
	s_delay_alu instid0(SALU_CYCLE_1)
	s_or_b32 exec_lo, exec_lo, s13
.LBB438_2103:                           ;   in Loop: Header=BB438_998 Depth=1
	s_delay_alu instid0(SALU_CYCLE_1) | instskip(NEXT) | instid1(VALU_DEP_1)
	s_or_b32 exec_lo, exec_lo, s12
	v_mul_f32_e32 v6, v8, v7
                                        ; implicit-def: $vgpr61
	s_delay_alu instid0(VALU_DEP_1) | instskip(NEXT) | instid1(VALU_DEP_1)
	v_and_b32_e32 v7, 0x7f800000, v6
	v_cmp_ne_u32_e64 s0, 0x7f800000, v7
	s_delay_alu instid0(VALU_DEP_1) | instskip(NEXT) | instid1(SALU_CYCLE_1)
	s_and_saveexec_b32 s12, s0
	s_xor_b32 s0, exec_lo, s12
; %bb.2104:                             ;   in Loop: Header=BB438_998 Depth=1
	v_bfe_u32 v7, v6, 16, 1
	s_delay_alu instid0(VALU_DEP_1)
	v_add3_u32 v61, v6, v7, 0x7fff
                                        ; implicit-def: $vgpr6
; %bb.2105:                             ;   in Loop: Header=BB438_998 Depth=1
	s_and_not1_saveexec_b32 s12, s0
; %bb.2106:                             ;   in Loop: Header=BB438_998 Depth=1
	v_and_b32_e32 v7, 0xffff, v6
	v_or_b32_e32 v9, 0x10000, v6
	s_delay_alu instid0(VALU_DEP_2) | instskip(NEXT) | instid1(VALU_DEP_1)
	v_cmp_eq_u32_e64 s0, 0, v7
	v_cndmask_b32_e64 v61, v9, v6, s0
; %bb.2107:                             ;   in Loop: Header=BB438_998 Depth=1
	s_or_b32 exec_lo, exec_lo, s12
	v_mov_b32_e32 v7, 0
	s_mov_b32 s12, exec_lo
	v_cmpx_lt_u32_e32 0xffffff, v2
	s_cbranch_execz .LBB438_2115
; %bb.2108:                             ;   in Loop: Header=BB438_998 Depth=1
	v_lshrrev_b32_e32 v6, 24, v2
	v_bfrev_b32_e32 v7, 1
	s_mov_b32 s13, exec_lo
	s_delay_alu instid0(VALU_DEP_2)
	v_cmpx_ne_u32_e32 0x80, v6
	s_cbranch_execz .LBB438_2114
; %bb.2109:                             ;   in Loop: Header=BB438_998 Depth=1
	v_bfe_u32 v62, v2, 24, 7
	v_mov_b32_e32 v7, 0x7f800001
	s_mov_b32 s15, exec_lo
	s_delay_alu instid0(VALU_DEP_2)
	v_cmpx_ne_u32_e32 0x7f, v62
	s_cbranch_execz .LBB438_2113
; %bb.2110:                             ;   in Loop: Header=BB438_998 Depth=1
	v_and_b32_e32 v9, 7, v6
	v_lshrrev_b32_e32 v7, 3, v62
	s_mov_b32 s16, exec_lo
	v_cmpx_gt_u32_e32 8, v62
; %bb.2111:                             ;   in Loop: Header=BB438_998 Depth=1
	s_delay_alu instid0(VALU_DEP_3) | instskip(NEXT) | instid1(VALU_DEP_1)
	v_clz_i32_u32_e32 v7, v9
	v_min_u32_e32 v7, 32, v7
	s_delay_alu instid0(VALU_DEP_1) | instskip(SKIP_1) | instid1(VALU_DEP_2)
	v_subrev_nc_u32_e32 v62, 28, v7
	v_sub_nc_u32_e32 v7, 29, v7
	v_lshlrev_b64 v[62:63], v62, v[9:10]
	s_delay_alu instid0(VALU_DEP_1)
	v_and_b32_e32 v9, 7, v62
; %bb.2112:                             ;   in Loop: Header=BB438_998 Depth=1
	s_or_b32 exec_lo, exec_lo, s16
	v_lshlrev_b32_e32 v6, 24, v6
	s_delay_alu instid0(VALU_DEP_2) | instskip(SKIP_1) | instid1(VALU_DEP_3)
	v_lshlrev_b32_e32 v9, 20, v9
	v_lshl_add_u32 v7, v7, 23, 0x3c000000
	v_and_b32_e32 v6, 0x80000000, v6
	s_delay_alu instid0(VALU_DEP_1)
	v_or3_b32 v7, v9, v6, v7
.LBB438_2113:                           ;   in Loop: Header=BB438_998 Depth=1
	s_or_b32 exec_lo, exec_lo, s15
.LBB438_2114:                           ;   in Loop: Header=BB438_998 Depth=1
	s_delay_alu instid0(SALU_CYCLE_1)
	s_or_b32 exec_lo, exec_lo, s13
.LBB438_2115:                           ;   in Loop: Header=BB438_998 Depth=1
	s_delay_alu instid0(SALU_CYCLE_1) | instskip(NEXT) | instid1(VALU_DEP_1)
	s_or_b32 exec_lo, exec_lo, s12
	v_mul_f32_e32 v6, v8, v7
                                        ; implicit-def: $vgpr62
	s_delay_alu instid0(VALU_DEP_1) | instskip(NEXT) | instid1(VALU_DEP_1)
	v_and_b32_e32 v7, 0x7f800000, v6
	v_cmp_ne_u32_e64 s0, 0x7f800000, v7
	s_delay_alu instid0(VALU_DEP_1) | instskip(NEXT) | instid1(SALU_CYCLE_1)
	s_and_saveexec_b32 s12, s0
	s_xor_b32 s0, exec_lo, s12
; %bb.2116:                             ;   in Loop: Header=BB438_998 Depth=1
	v_bfe_u32 v7, v6, 16, 1
	s_delay_alu instid0(VALU_DEP_1)
	v_add3_u32 v62, v6, v7, 0x7fff
                                        ; implicit-def: $vgpr6
; %bb.2117:                             ;   in Loop: Header=BB438_998 Depth=1
	s_and_not1_saveexec_b32 s12, s0
; %bb.2118:                             ;   in Loop: Header=BB438_998 Depth=1
	v_and_b32_e32 v7, 0xffff, v6
	v_or_b32_e32 v9, 0x10000, v6
	s_delay_alu instid0(VALU_DEP_2) | instskip(NEXT) | instid1(VALU_DEP_1)
	v_cmp_eq_u32_e64 s0, 0, v7
	v_cndmask_b32_e64 v62, v9, v6, s0
; %bb.2119:                             ;   in Loop: Header=BB438_998 Depth=1
	s_or_b32 exec_lo, exec_lo, s12
	v_dual_mov_b32 v6, 0 :: v_dual_and_b32 v7, 0xff, v3
	v_mov_b32_e32 v9, v3
	s_mov_b32 s12, exec_lo
	s_delay_alu instid0(VALU_DEP_2)
	v_cmpx_ne_u16_e32 0, v7
	s_cbranch_execz .LBB438_2127
; %bb.2120:                             ;   in Loop: Header=BB438_998 Depth=1
	v_bfrev_b32_e32 v6, 1
	s_mov_b32 s13, exec_lo
	v_cmpx_ne_u16_e32 0x80, v7
	s_cbranch_execz .LBB438_2126
; %bb.2121:                             ;   in Loop: Header=BB438_998 Depth=1
	v_and_b32_e32 v7, 0x7f, v3
	v_mov_b32_e32 v6, 0x7f800001
	s_mov_b32 s15, exec_lo
	s_delay_alu instid0(VALU_DEP_2)
	v_cmpx_ne_u32_e32 0x7f, v7
	s_cbranch_execz .LBB438_2125
; %bb.2122:                             ;   in Loop: Header=BB438_998 Depth=1
	v_lshrrev_b32_e32 v63, 3, v7
	v_cmp_gt_u32_e64 s0, 8, v7
	v_dual_mov_b32 v6, v9 :: v_dual_mov_b32 v7, v10
	s_delay_alu instid0(VALU_DEP_2)
	s_and_saveexec_b32 s16, s0
; %bb.2123:                             ;   in Loop: Header=BB438_998 Depth=1
	v_and_b32_e32 v6, 7, v3
	s_delay_alu instid0(VALU_DEP_1) | instskip(NEXT) | instid1(VALU_DEP_1)
	v_clz_i32_u32_e32 v6, v6
	v_min_u32_e32 v63, 32, v6
	s_delay_alu instid0(VALU_DEP_1) | instskip(SKIP_1) | instid1(VALU_DEP_2)
	v_subrev_nc_u32_e32 v6, 28, v63
	v_sub_nc_u32_e32 v63, 29, v63
	v_lshlrev_b64 v[6:7], v6, v[9:10]
; %bb.2124:                             ;   in Loop: Header=BB438_998 Depth=1
	s_or_b32 exec_lo, exec_lo, s16
	s_delay_alu instid0(VALU_DEP_1) | instskip(SKIP_2) | instid1(VALU_DEP_3)
	v_lshlrev_b32_e32 v6, 20, v6
	v_lshlrev_b32_e32 v7, 24, v9
	v_lshl_add_u32 v63, v63, 23, 0x3c000000
	v_and_b32_e32 v6, 0x700000, v6
	s_delay_alu instid0(VALU_DEP_3) | instskip(NEXT) | instid1(VALU_DEP_1)
	v_and_b32_e32 v7, 0x80000000, v7
	v_or3_b32 v6, v6, v7, v63
.LBB438_2125:                           ;   in Loop: Header=BB438_998 Depth=1
	s_or_b32 exec_lo, exec_lo, s15
.LBB438_2126:                           ;   in Loop: Header=BB438_998 Depth=1
	s_delay_alu instid0(SALU_CYCLE_1)
	s_or_b32 exec_lo, exec_lo, s13
.LBB438_2127:                           ;   in Loop: Header=BB438_998 Depth=1
	s_delay_alu instid0(SALU_CYCLE_1) | instskip(NEXT) | instid1(VALU_DEP_1)
	s_or_b32 exec_lo, exec_lo, s12
	v_mul_f32_e32 v6, v8, v6
                                        ; implicit-def: $vgpr63
	s_delay_alu instid0(VALU_DEP_1) | instskip(NEXT) | instid1(VALU_DEP_1)
	v_and_b32_e32 v7, 0x7f800000, v6
	v_cmp_ne_u32_e64 s0, 0x7f800000, v7
	s_delay_alu instid0(VALU_DEP_1) | instskip(NEXT) | instid1(SALU_CYCLE_1)
	s_and_saveexec_b32 s12, s0
	s_xor_b32 s0, exec_lo, s12
; %bb.2128:                             ;   in Loop: Header=BB438_998 Depth=1
	v_bfe_u32 v7, v6, 16, 1
	s_delay_alu instid0(VALU_DEP_1)
	v_add3_u32 v63, v6, v7, 0x7fff
                                        ; implicit-def: $vgpr6
; %bb.2129:                             ;   in Loop: Header=BB438_998 Depth=1
	s_and_not1_saveexec_b32 s12, s0
; %bb.2130:                             ;   in Loop: Header=BB438_998 Depth=1
	v_and_b32_e32 v7, 0xffff, v6
	v_or_b32_e32 v63, 0x10000, v6
	s_delay_alu instid0(VALU_DEP_2) | instskip(NEXT) | instid1(VALU_DEP_1)
	v_cmp_eq_u32_e64 s0, 0, v7
	v_cndmask_b32_e64 v63, v63, v6, s0
; %bb.2131:                             ;   in Loop: Header=BB438_998 Depth=1
	s_or_b32 exec_lo, exec_lo, s12
	v_lshrrev_b16 v7, 8, v9
	v_mov_b32_e32 v6, 0
	s_mov_b32 s12, exec_lo
	s_delay_alu instid0(VALU_DEP_2)
	v_cmpx_ne_u16_e32 0, v7
	s_cbranch_execz .LBB438_2139
; %bb.2132:                             ;   in Loop: Header=BB438_998 Depth=1
	v_bfrev_b32_e32 v6, 1
	s_mov_b32 s13, exec_lo
	v_cmpx_ne_u16_e32 0x80, v7
	s_cbranch_execz .LBB438_2138
; %bb.2133:                             ;   in Loop: Header=BB438_998 Depth=1
	v_and_b32_e32 v7, 0xffff, v7
	v_mov_b32_e32 v6, 0x7f800001
	s_mov_b32 s15, exec_lo
	s_delay_alu instid0(VALU_DEP_2) | instskip(NEXT) | instid1(VALU_DEP_1)
	v_and_b32_e32 v73, 0x7f, v7
	v_cmpx_ne_u32_e32 0x7f, v73
	s_cbranch_execz .LBB438_2137
; %bb.2134:                             ;   in Loop: Header=BB438_998 Depth=1
	v_dual_mov_b32 v7, v10 :: v_dual_and_b32 v6, 7, v7
	v_lshrrev_b32_e32 v72, 3, v73
	s_mov_b32 s16, exec_lo
	v_cmpx_gt_u32_e32 8, v73
; %bb.2135:                             ;   in Loop: Header=BB438_998 Depth=1
	s_delay_alu instid0(VALU_DEP_3) | instskip(NEXT) | instid1(VALU_DEP_1)
	v_clz_i32_u32_e32 v72, v6
	v_min_u32_e32 v72, 32, v72
	s_delay_alu instid0(VALU_DEP_1) | instskip(SKIP_1) | instid1(VALU_DEP_2)
	v_subrev_nc_u32_e32 v73, 28, v72
	v_sub_nc_u32_e32 v72, 29, v72
	v_lshlrev_b64 v[6:7], v73, v[6:7]
	s_delay_alu instid0(VALU_DEP_1)
	v_and_b32_e32 v6, 7, v6
; %bb.2136:                             ;   in Loop: Header=BB438_998 Depth=1
	s_or_b32 exec_lo, exec_lo, s16
	v_lshlrev_b32_e32 v7, 16, v9
	s_delay_alu instid0(VALU_DEP_2) | instskip(SKIP_1) | instid1(VALU_DEP_3)
	v_lshlrev_b32_e32 v6, 20, v6
	v_lshl_add_u32 v9, v72, 23, 0x3c000000
	v_and_b32_e32 v7, 0x80000000, v7
	s_delay_alu instid0(VALU_DEP_1)
	v_or3_b32 v6, v6, v7, v9
.LBB438_2137:                           ;   in Loop: Header=BB438_998 Depth=1
	s_or_b32 exec_lo, exec_lo, s15
.LBB438_2138:                           ;   in Loop: Header=BB438_998 Depth=1
	s_delay_alu instid0(SALU_CYCLE_1)
	s_or_b32 exec_lo, exec_lo, s13
.LBB438_2139:                           ;   in Loop: Header=BB438_998 Depth=1
	s_delay_alu instid0(SALU_CYCLE_1) | instskip(NEXT) | instid1(VALU_DEP_1)
	s_or_b32 exec_lo, exec_lo, s12
	v_mul_f32_e32 v7, v8, v6
	s_delay_alu instid0(VALU_DEP_1) | instskip(NEXT) | instid1(VALU_DEP_1)
	v_and_b32_e32 v6, 0x7f800000, v7
	v_cmp_ne_u32_e64 s0, 0x7f800000, v6
                                        ; implicit-def: $vgpr6
	s_delay_alu instid0(VALU_DEP_1) | instskip(NEXT) | instid1(SALU_CYCLE_1)
	s_and_saveexec_b32 s12, s0
	s_xor_b32 s0, exec_lo, s12
; %bb.2140:                             ;   in Loop: Header=BB438_998 Depth=1
	v_bfe_u32 v6, v7, 16, 1
	s_delay_alu instid0(VALU_DEP_1)
	v_add3_u32 v6, v7, v6, 0x7fff
                                        ; implicit-def: $vgpr7
; %bb.2141:                             ;   in Loop: Header=BB438_998 Depth=1
	s_and_not1_saveexec_b32 s12, s0
; %bb.2142:                             ;   in Loop: Header=BB438_998 Depth=1
	v_and_b32_e32 v6, 0xffff, v7
	v_or_b32_e32 v9, 0x10000, v7
	s_delay_alu instid0(VALU_DEP_2) | instskip(NEXT) | instid1(VALU_DEP_1)
	v_cmp_eq_u32_e64 s0, 0, v6
	v_cndmask_b32_e64 v6, v9, v7, s0
; %bb.2143:                             ;   in Loop: Header=BB438_998 Depth=1
	s_or_b32 exec_lo, exec_lo, s12
	v_lshrrev_b32_e32 v7, 16, v3
	s_mov_b32 s12, exec_lo
	s_delay_alu instid0(VALU_DEP_1) | instskip(NEXT) | instid1(VALU_DEP_1)
	v_dual_mov_b32 v9, 0 :: v_dual_and_b32 v72, 0xff, v7
	v_cmpx_ne_u16_e32 0, v72
	s_cbranch_execz .LBB438_2151
; %bb.2144:                             ;   in Loop: Header=BB438_998 Depth=1
	v_bfrev_b32_e32 v9, 1
	s_mov_b32 s13, exec_lo
	v_cmpx_ne_u16_e32 0x80, v72
	s_cbranch_execz .LBB438_2150
; %bb.2145:                             ;   in Loop: Header=BB438_998 Depth=1
	v_bfe_u32 v73, v3, 16, 7
	v_mov_b32_e32 v9, 0x7f800001
	s_mov_b32 s15, exec_lo
	s_delay_alu instid0(VALU_DEP_2)
	v_cmpx_ne_u32_e32 0x7f, v73
	s_cbranch_execz .LBB438_2149
; %bb.2146:                             ;   in Loop: Header=BB438_998 Depth=1
	v_and_b32_e32 v9, 7, v7
	v_lshrrev_b32_e32 v72, 3, v73
	s_mov_b32 s16, exec_lo
	v_cmpx_gt_u32_e32 8, v73
; %bb.2147:                             ;   in Loop: Header=BB438_998 Depth=1
	s_delay_alu instid0(VALU_DEP_3) | instskip(NEXT) | instid1(VALU_DEP_1)
	v_clz_i32_u32_e32 v72, v9
	v_min_u32_e32 v72, 32, v72
	s_delay_alu instid0(VALU_DEP_1) | instskip(SKIP_1) | instid1(VALU_DEP_2)
	v_subrev_nc_u32_e32 v73, 28, v72
	v_sub_nc_u32_e32 v72, 29, v72
	v_lshlrev_b64 v[73:74], v73, v[9:10]
	s_delay_alu instid0(VALU_DEP_1)
	v_and_b32_e32 v9, 7, v73
; %bb.2148:                             ;   in Loop: Header=BB438_998 Depth=1
	s_or_b32 exec_lo, exec_lo, s16
	v_lshlrev_b32_e32 v7, 24, v7
	s_delay_alu instid0(VALU_DEP_2) | instskip(SKIP_1) | instid1(VALU_DEP_3)
	v_lshlrev_b32_e32 v9, 20, v9
	v_lshl_add_u32 v72, v72, 23, 0x3c000000
	v_and_b32_e32 v7, 0x80000000, v7
	s_delay_alu instid0(VALU_DEP_1)
	v_or3_b32 v9, v9, v7, v72
.LBB438_2149:                           ;   in Loop: Header=BB438_998 Depth=1
	s_or_b32 exec_lo, exec_lo, s15
.LBB438_2150:                           ;   in Loop: Header=BB438_998 Depth=1
	s_delay_alu instid0(SALU_CYCLE_1)
	s_or_b32 exec_lo, exec_lo, s13
.LBB438_2151:                           ;   in Loop: Header=BB438_998 Depth=1
	s_delay_alu instid0(SALU_CYCLE_1) | instskip(NEXT) | instid1(VALU_DEP_1)
	s_or_b32 exec_lo, exec_lo, s12
	v_mul_f32_e32 v9, v8, v9
	s_delay_alu instid0(VALU_DEP_1) | instskip(NEXT) | instid1(VALU_DEP_1)
	v_and_b32_e32 v7, 0x7f800000, v9
	v_cmp_ne_u32_e64 s0, 0x7f800000, v7
                                        ; implicit-def: $vgpr7
	s_delay_alu instid0(VALU_DEP_1) | instskip(NEXT) | instid1(SALU_CYCLE_1)
	s_and_saveexec_b32 s12, s0
	s_xor_b32 s0, exec_lo, s12
; %bb.2152:                             ;   in Loop: Header=BB438_998 Depth=1
	v_bfe_u32 v7, v9, 16, 1
	s_delay_alu instid0(VALU_DEP_1)
	v_add3_u32 v7, v9, v7, 0x7fff
                                        ; implicit-def: $vgpr9
; %bb.2153:                             ;   in Loop: Header=BB438_998 Depth=1
	s_and_not1_saveexec_b32 s12, s0
; %bb.2154:                             ;   in Loop: Header=BB438_998 Depth=1
	v_and_b32_e32 v7, 0xffff, v9
	v_or_b32_e32 v72, 0x10000, v9
	s_delay_alu instid0(VALU_DEP_2) | instskip(NEXT) | instid1(VALU_DEP_1)
	v_cmp_eq_u32_e64 s0, 0, v7
	v_cndmask_b32_e64 v7, v72, v9, s0
; %bb.2155:                             ;   in Loop: Header=BB438_998 Depth=1
	s_or_b32 exec_lo, exec_lo, s12
	v_mov_b32_e32 v9, 0
	s_mov_b32 s12, exec_lo
	v_cmpx_lt_u64_e64 s[8:9], v[2:3]
	s_cbranch_execz .LBB438_2163
; %bb.2156:                             ;   in Loop: Header=BB438_998 Depth=1
	v_lshrrev_b32_e32 v2, 24, v3
	v_bfrev_b32_e32 v9, 1
	s_mov_b32 s13, exec_lo
	s_delay_alu instid0(VALU_DEP_2)
	v_cmpx_ne_u32_e32 0x80, v2
	s_cbranch_execz .LBB438_2162
; %bb.2157:                             ;   in Loop: Header=BB438_998 Depth=1
	v_bfe_u32 v72, v3, 24, 7
	v_mov_b32_e32 v9, 0x7f800001
	s_mov_b32 s15, exec_lo
	s_delay_alu instid0(VALU_DEP_2)
	v_cmpx_ne_u32_e32 0x7f, v72
	s_cbranch_execz .LBB438_2161
; %bb.2158:                             ;   in Loop: Header=BB438_998 Depth=1
	v_and_b32_e32 v9, 7, v2
	v_lshrrev_b32_e32 v3, 3, v72
	s_mov_b32 s16, exec_lo
	v_cmpx_gt_u32_e32 8, v72
; %bb.2159:                             ;   in Loop: Header=BB438_998 Depth=1
	s_delay_alu instid0(VALU_DEP_3) | instskip(NEXT) | instid1(VALU_DEP_1)
	v_clz_i32_u32_e32 v3, v9
	v_min_u32_e32 v3, 32, v3
	s_delay_alu instid0(VALU_DEP_1) | instskip(SKIP_1) | instid1(VALU_DEP_2)
	v_subrev_nc_u32_e32 v72, 28, v3
	v_sub_nc_u32_e32 v3, 29, v3
	v_lshlrev_b64 v[72:73], v72, v[9:10]
	s_delay_alu instid0(VALU_DEP_1)
	v_and_b32_e32 v9, 7, v72
; %bb.2160:                             ;   in Loop: Header=BB438_998 Depth=1
	s_or_b32 exec_lo, exec_lo, s16
	v_lshlrev_b32_e32 v2, 24, v2
	s_delay_alu instid0(VALU_DEP_2) | instskip(SKIP_1) | instid1(VALU_DEP_3)
	v_lshlrev_b32_e32 v9, 20, v9
	v_lshl_add_u32 v3, v3, 23, 0x3c000000
	v_and_b32_e32 v2, 0x80000000, v2
	s_delay_alu instid0(VALU_DEP_1)
	v_or3_b32 v9, v9, v2, v3
.LBB438_2161:                           ;   in Loop: Header=BB438_998 Depth=1
	s_or_b32 exec_lo, exec_lo, s15
.LBB438_2162:                           ;   in Loop: Header=BB438_998 Depth=1
	s_delay_alu instid0(SALU_CYCLE_1)
	s_or_b32 exec_lo, exec_lo, s13
.LBB438_2163:                           ;   in Loop: Header=BB438_998 Depth=1
	s_delay_alu instid0(SALU_CYCLE_1) | instskip(NEXT) | instid1(VALU_DEP_1)
	s_or_b32 exec_lo, exec_lo, s12
	v_mul_f32_e32 v3, v8, v9
	s_delay_alu instid0(VALU_DEP_1) | instskip(NEXT) | instid1(VALU_DEP_1)
	v_and_b32_e32 v2, 0x7f800000, v3
	v_cmp_ne_u32_e64 s0, 0x7f800000, v2
                                        ; implicit-def: $vgpr2
	s_delay_alu instid0(VALU_DEP_1) | instskip(NEXT) | instid1(SALU_CYCLE_1)
	s_and_saveexec_b32 s12, s0
	s_xor_b32 s0, exec_lo, s12
; %bb.2164:                             ;   in Loop: Header=BB438_998 Depth=1
	v_bfe_u32 v2, v3, 16, 1
	s_delay_alu instid0(VALU_DEP_1)
	v_add3_u32 v2, v3, v2, 0x7fff
                                        ; implicit-def: $vgpr3
; %bb.2165:                             ;   in Loop: Header=BB438_998 Depth=1
	s_and_not1_saveexec_b32 s12, s0
; %bb.2166:                             ;   in Loop: Header=BB438_998 Depth=1
	v_and_b32_e32 v2, 0xffff, v3
	v_or_b32_e32 v9, 0x10000, v3
	s_delay_alu instid0(VALU_DEP_2) | instskip(NEXT) | instid1(VALU_DEP_1)
	v_cmp_eq_u32_e64 s0, 0, v2
	v_cndmask_b32_e64 v2, v9, v3, s0
; %bb.2167:                             ;   in Loop: Header=BB438_998 Depth=1
	s_or_b32 exec_lo, exec_lo, s12
	v_lshrrev_b32_e32 v9, 16, v6
	v_lshrrev_b32_e32 v63, 16, v63
	v_lshrrev_b32_e32 v62, 16, v62
	v_lshrrev_b32_e32 v61, 16, v61
	v_lshrrev_b32_e32 v48, 16, v48
	v_lshrrev_b32_e32 v6, 16, v37
	v_lshrrev_b32_e32 v3, 16, v7
	v_lshrrev_b32_e32 v2, 16, v2
	s_and_saveexec_b32 s12, vcc_lo
	s_cbranch_execz .LBB438_2169
; %bb.2168:                             ;   in Loop: Header=BB438_998 Depth=1
	v_cmp_lt_i32_e64 s0, v80, v38
	s_delay_alu instid0(VALU_DEP_1) | instskip(SKIP_1) | instid1(VALU_DEP_1)
	v_cndmask_b32_e64 v6, 0, v6, s0
	v_cmp_lt_i32_e64 s0, v87, v38
	v_cndmask_b32_e64 v48, 0, v48, s0
	v_cmp_lt_i32_e64 s0, v86, v38
	s_delay_alu instid0(VALU_DEP_1) | instskip(SKIP_1) | instid1(VALU_DEP_1)
	v_cndmask_b32_e64 v61, 0, v61, s0
	v_cmp_lt_i32_e64 s0, v85, v38
	v_cndmask_b32_e64 v62, 0, v62, s0
	;; [unrolled: 5-line block ×4, first 2 shown]
.LBB438_2169:                           ;   in Loop: Header=BB438_998 Depth=1
	s_or_b32 exec_lo, exec_lo, s12
	v_lshlrev_b32_e32 v6, 16, v6
	s_delay_alu instid0(VALU_DEP_1) | instskip(NEXT) | instid1(VALU_DEP_1)
	v_mul_f32_e32 v7, v96, v6
	v_and_b32_e32 v6, 0x7f800000, v7
	s_delay_alu instid0(VALU_DEP_1) | instskip(NEXT) | instid1(VALU_DEP_1)
	v_cmp_ne_u32_e64 s0, 0x7f800000, v6
                                        ; implicit-def: $vgpr6
	s_and_saveexec_b32 s12, s0
	s_delay_alu instid0(SALU_CYCLE_1)
	s_xor_b32 s0, exec_lo, s12
; %bb.2170:                             ;   in Loop: Header=BB438_998 Depth=1
	v_bfe_u32 v6, v7, 16, 1
	s_delay_alu instid0(VALU_DEP_1)
	v_add3_u32 v6, v7, v6, 0x7fff
                                        ; implicit-def: $vgpr7
; %bb.2171:                             ;   in Loop: Header=BB438_998 Depth=1
	s_and_not1_saveexec_b32 s12, s0
; %bb.2172:                             ;   in Loop: Header=BB438_998 Depth=1
	v_and_b32_e32 v6, 0xffff, v7
	v_or_b32_e32 v37, 0x10000, v7
	s_delay_alu instid0(VALU_DEP_2) | instskip(NEXT) | instid1(VALU_DEP_1)
	v_cmp_eq_u32_e64 s0, 0, v6
	v_cndmask_b32_e64 v6, v37, v7, s0
; %bb.2173:                             ;   in Loop: Header=BB438_998 Depth=1
	s_or_b32 exec_lo, exec_lo, s12
	v_lshlrev_b32_e32 v7, 16, v48
	s_delay_alu instid0(VALU_DEP_1) | instskip(NEXT) | instid1(VALU_DEP_1)
	v_mul_f32_e32 v37, v97, v7
	v_and_b32_e32 v7, 0x7f800000, v37
	s_delay_alu instid0(VALU_DEP_1) | instskip(NEXT) | instid1(VALU_DEP_1)
	v_cmp_ne_u32_e64 s0, 0x7f800000, v7
                                        ; implicit-def: $vgpr7
	s_and_saveexec_b32 s12, s0
	s_delay_alu instid0(SALU_CYCLE_1)
	s_xor_b32 s0, exec_lo, s12
; %bb.2174:                             ;   in Loop: Header=BB438_998 Depth=1
	v_bfe_u32 v7, v37, 16, 1
	s_delay_alu instid0(VALU_DEP_1)
	v_add3_u32 v7, v37, v7, 0x7fff
                                        ; implicit-def: $vgpr37
; %bb.2175:                             ;   in Loop: Header=BB438_998 Depth=1
	s_and_not1_saveexec_b32 s12, s0
; %bb.2176:                             ;   in Loop: Header=BB438_998 Depth=1
	v_and_b32_e32 v7, 0xffff, v37
	v_or_b32_e32 v48, 0x10000, v37
	s_delay_alu instid0(VALU_DEP_2) | instskip(NEXT) | instid1(VALU_DEP_1)
	v_cmp_eq_u32_e64 s0, 0, v7
	v_cndmask_b32_e64 v7, v48, v37, s0
; %bb.2177:                             ;   in Loop: Header=BB438_998 Depth=1
	s_or_b32 exec_lo, exec_lo, s12
	v_lshlrev_b32_e32 v37, 16, v61
	s_delay_alu instid0(VALU_DEP_1) | instskip(NEXT) | instid1(VALU_DEP_1)
	v_mul_f32_e32 v48, v98, v37
	v_and_b32_e32 v37, 0x7f800000, v48
	s_delay_alu instid0(VALU_DEP_1) | instskip(NEXT) | instid1(VALU_DEP_1)
	v_cmp_ne_u32_e64 s0, 0x7f800000, v37
                                        ; implicit-def: $vgpr37
	s_and_saveexec_b32 s12, s0
	s_delay_alu instid0(SALU_CYCLE_1)
	s_xor_b32 s0, exec_lo, s12
; %bb.2178:                             ;   in Loop: Header=BB438_998 Depth=1
	v_bfe_u32 v37, v48, 16, 1
	s_delay_alu instid0(VALU_DEP_1)
	v_add3_u32 v37, v48, v37, 0x7fff
                                        ; implicit-def: $vgpr48
; %bb.2179:                             ;   in Loop: Header=BB438_998 Depth=1
	s_and_not1_saveexec_b32 s12, s0
; %bb.2180:                             ;   in Loop: Header=BB438_998 Depth=1
	v_and_b32_e32 v37, 0xffff, v48
	v_or_b32_e32 v61, 0x10000, v48
	s_delay_alu instid0(VALU_DEP_2) | instskip(NEXT) | instid1(VALU_DEP_1)
	v_cmp_eq_u32_e64 s0, 0, v37
	v_cndmask_b32_e64 v37, v61, v48, s0
; %bb.2181:                             ;   in Loop: Header=BB438_998 Depth=1
	s_or_b32 exec_lo, exec_lo, s12
	v_lshlrev_b32_e32 v48, 16, v62
	s_delay_alu instid0(VALU_DEP_1) | instskip(NEXT) | instid1(VALU_DEP_1)
	v_mul_f32_e32 v61, v99, v48
	v_and_b32_e32 v48, 0x7f800000, v61
	s_delay_alu instid0(VALU_DEP_1) | instskip(NEXT) | instid1(VALU_DEP_1)
	v_cmp_ne_u32_e64 s0, 0x7f800000, v48
                                        ; implicit-def: $vgpr48
	s_and_saveexec_b32 s12, s0
	s_delay_alu instid0(SALU_CYCLE_1)
	s_xor_b32 s0, exec_lo, s12
; %bb.2182:                             ;   in Loop: Header=BB438_998 Depth=1
	v_bfe_u32 v48, v61, 16, 1
	s_delay_alu instid0(VALU_DEP_1)
	v_add3_u32 v48, v61, v48, 0x7fff
                                        ; implicit-def: $vgpr61
; %bb.2183:                             ;   in Loop: Header=BB438_998 Depth=1
	s_and_not1_saveexec_b32 s12, s0
; %bb.2184:                             ;   in Loop: Header=BB438_998 Depth=1
	v_and_b32_e32 v48, 0xffff, v61
	v_or_b32_e32 v62, 0x10000, v61
	s_delay_alu instid0(VALU_DEP_2) | instskip(NEXT) | instid1(VALU_DEP_1)
	v_cmp_eq_u32_e64 s0, 0, v48
	v_cndmask_b32_e64 v48, v62, v61, s0
; %bb.2185:                             ;   in Loop: Header=BB438_998 Depth=1
	s_or_b32 exec_lo, exec_lo, s12
	v_lshlrev_b32_e32 v61, 16, v63
	s_delay_alu instid0(VALU_DEP_1) | instskip(NEXT) | instid1(VALU_DEP_1)
	v_mul_f32_e32 v62, v100, v61
	v_and_b32_e32 v61, 0x7f800000, v62
	s_delay_alu instid0(VALU_DEP_1) | instskip(NEXT) | instid1(VALU_DEP_1)
	v_cmp_ne_u32_e64 s0, 0x7f800000, v61
                                        ; implicit-def: $vgpr61
	s_and_saveexec_b32 s12, s0
	s_delay_alu instid0(SALU_CYCLE_1)
	s_xor_b32 s0, exec_lo, s12
; %bb.2186:                             ;   in Loop: Header=BB438_998 Depth=1
	v_bfe_u32 v61, v62, 16, 1
	s_delay_alu instid0(VALU_DEP_1)
	v_add3_u32 v61, v62, v61, 0x7fff
                                        ; implicit-def: $vgpr62
; %bb.2187:                             ;   in Loop: Header=BB438_998 Depth=1
	s_and_not1_saveexec_b32 s12, s0
; %bb.2188:                             ;   in Loop: Header=BB438_998 Depth=1
	v_and_b32_e32 v61, 0xffff, v62
	v_or_b32_e32 v63, 0x10000, v62
	s_delay_alu instid0(VALU_DEP_2) | instskip(NEXT) | instid1(VALU_DEP_1)
	v_cmp_eq_u32_e64 s0, 0, v61
	v_cndmask_b32_e64 v61, v63, v62, s0
; %bb.2189:                             ;   in Loop: Header=BB438_998 Depth=1
	s_or_b32 exec_lo, exec_lo, s12
	v_lshlrev_b32_e32 v9, 16, v9
	s_delay_alu instid0(VALU_DEP_1) | instskip(NEXT) | instid1(VALU_DEP_1)
	v_mul_f32_e32 v9, v101, v9
	v_and_b32_e32 v62, 0x7f800000, v9
	s_delay_alu instid0(VALU_DEP_1) | instskip(NEXT) | instid1(VALU_DEP_1)
	v_cmp_ne_u32_e64 s0, 0x7f800000, v62
                                        ; implicit-def: $vgpr62
	s_and_saveexec_b32 s12, s0
	s_delay_alu instid0(SALU_CYCLE_1)
	s_xor_b32 s0, exec_lo, s12
; %bb.2190:                             ;   in Loop: Header=BB438_998 Depth=1
	v_bfe_u32 v62, v9, 16, 1
	s_delay_alu instid0(VALU_DEP_1)
	v_add3_u32 v62, v9, v62, 0x7fff
                                        ; implicit-def: $vgpr9
; %bb.2191:                             ;   in Loop: Header=BB438_998 Depth=1
	s_and_not1_saveexec_b32 s12, s0
; %bb.2192:                             ;   in Loop: Header=BB438_998 Depth=1
	v_and_b32_e32 v62, 0xffff, v9
	v_or_b32_e32 v63, 0x10000, v9
	s_delay_alu instid0(VALU_DEP_2) | instskip(NEXT) | instid1(VALU_DEP_1)
	v_cmp_eq_u32_e64 s0, 0, v62
	v_cndmask_b32_e64 v62, v63, v9, s0
; %bb.2193:                             ;   in Loop: Header=BB438_998 Depth=1
	s_or_b32 exec_lo, exec_lo, s12
	v_lshlrev_b32_e32 v3, 16, v3
                                        ; implicit-def: $vgpr63
	s_delay_alu instid0(VALU_DEP_1) | instskip(NEXT) | instid1(VALU_DEP_1)
	v_mul_f32_e32 v3, v102, v3
	v_and_b32_e32 v9, 0x7f800000, v3
	s_delay_alu instid0(VALU_DEP_1) | instskip(NEXT) | instid1(VALU_DEP_1)
	v_cmp_ne_u32_e64 s0, 0x7f800000, v9
	s_and_saveexec_b32 s12, s0
	s_delay_alu instid0(SALU_CYCLE_1)
	s_xor_b32 s0, exec_lo, s12
; %bb.2194:                             ;   in Loop: Header=BB438_998 Depth=1
	v_bfe_u32 v9, v3, 16, 1
	s_delay_alu instid0(VALU_DEP_1)
	v_add3_u32 v63, v3, v9, 0x7fff
                                        ; implicit-def: $vgpr3
; %bb.2195:                             ;   in Loop: Header=BB438_998 Depth=1
	s_and_not1_saveexec_b32 s12, s0
; %bb.2196:                             ;   in Loop: Header=BB438_998 Depth=1
	v_and_b32_e32 v9, 0xffff, v3
	v_or_b32_e32 v63, 0x10000, v3
	s_delay_alu instid0(VALU_DEP_2) | instskip(NEXT) | instid1(VALU_DEP_1)
	v_cmp_eq_u32_e64 s0, 0, v9
	v_cndmask_b32_e64 v63, v63, v3, s0
; %bb.2197:                             ;   in Loop: Header=BB438_998 Depth=1
	s_or_b32 exec_lo, exec_lo, s12
	v_lshlrev_b32_e32 v2, 16, v2
                                        ; implicit-def: $vgpr72
	s_delay_alu instid0(VALU_DEP_1) | instskip(NEXT) | instid1(VALU_DEP_1)
	v_mul_f32_e32 v2, v103, v2
	v_and_b32_e32 v3, 0x7f800000, v2
	s_delay_alu instid0(VALU_DEP_1) | instskip(NEXT) | instid1(VALU_DEP_1)
	v_cmp_ne_u32_e64 s0, 0x7f800000, v3
	s_and_saveexec_b32 s12, s0
	s_delay_alu instid0(SALU_CYCLE_1)
	s_xor_b32 s0, exec_lo, s12
; %bb.2198:                             ;   in Loop: Header=BB438_998 Depth=1
	v_bfe_u32 v3, v2, 16, 1
	s_delay_alu instid0(VALU_DEP_1)
	v_add3_u32 v72, v2, v3, 0x7fff
                                        ; implicit-def: $vgpr2
; %bb.2199:                             ;   in Loop: Header=BB438_998 Depth=1
	s_and_not1_saveexec_b32 s12, s0
; %bb.2200:                             ;   in Loop: Header=BB438_998 Depth=1
	v_and_b32_e32 v3, 0xffff, v2
	v_or_b32_e32 v9, 0x10000, v2
	s_delay_alu instid0(VALU_DEP_2) | instskip(NEXT) | instid1(VALU_DEP_1)
	v_cmp_eq_u32_e64 s0, 0, v3
	v_cndmask_b32_e64 v72, v9, v2, s0
; %bb.2201:                             ;   in Loop: Header=BB438_998 Depth=1
	s_or_b32 exec_lo, exec_lo, s12
	flat_load_b64 v[0:1], v[0:1] offset:2304
	s_mov_b32 s12, exec_lo
	s_waitcnt vmcnt(0) lgkmcnt(0)
	v_dual_mov_b32 v2, 0 :: v_dual_and_b32 v3, 0xff, v0
	s_delay_alu instid0(VALU_DEP_1)
	v_cmpx_ne_u16_e32 0, v3
	s_cbranch_execz .LBB438_2209
; %bb.2202:                             ;   in Loop: Header=BB438_998 Depth=1
	v_bfrev_b32_e32 v2, 1
	s_mov_b32 s13, exec_lo
	v_cmpx_ne_u16_e32 0x80, v3
	s_cbranch_execz .LBB438_2208
; %bb.2203:                             ;   in Loop: Header=BB438_998 Depth=1
	v_and_b32_e32 v3, 0x7f, v0
	v_mov_b32_e32 v2, 0x7f800001
	s_mov_b32 s15, exec_lo
	s_delay_alu instid0(VALU_DEP_2)
	v_cmpx_ne_u32_e32 0x7f, v3
	s_cbranch_execz .LBB438_2207
; %bb.2204:                             ;   in Loop: Header=BB438_998 Depth=1
	v_lshrrev_b32_e32 v9, 3, v3
	v_cmp_gt_u32_e64 s0, 8, v3
	v_dual_mov_b32 v3, v1 :: v_dual_mov_b32 v2, v0
	s_delay_alu instid0(VALU_DEP_2)
	s_and_saveexec_b32 s16, s0
; %bb.2205:                             ;   in Loop: Header=BB438_998 Depth=1
	v_and_b32_e32 v2, 7, v0
	s_delay_alu instid0(VALU_DEP_1) | instskip(NEXT) | instid1(VALU_DEP_1)
	v_clz_i32_u32_e32 v2, v2
	v_min_u32_e32 v9, 32, v2
	s_delay_alu instid0(VALU_DEP_1) | instskip(SKIP_1) | instid1(VALU_DEP_2)
	v_subrev_nc_u32_e32 v2, 28, v9
	v_sub_nc_u32_e32 v9, 29, v9
	v_lshlrev_b64 v[2:3], v2, v[0:1]
; %bb.2206:                             ;   in Loop: Header=BB438_998 Depth=1
	s_or_b32 exec_lo, exec_lo, s16
	s_delay_alu instid0(VALU_DEP_1) | instskip(SKIP_2) | instid1(VALU_DEP_3)
	v_lshlrev_b32_e32 v2, 20, v2
	v_lshlrev_b32_e32 v3, 24, v0
	v_lshl_add_u32 v9, v9, 23, 0x3c000000
	v_and_b32_e32 v2, 0x700000, v2
	s_delay_alu instid0(VALU_DEP_3) | instskip(NEXT) | instid1(VALU_DEP_1)
	v_and_b32_e32 v3, 0x80000000, v3
	v_or3_b32 v2, v2, v3, v9
.LBB438_2207:                           ;   in Loop: Header=BB438_998 Depth=1
	s_or_b32 exec_lo, exec_lo, s15
.LBB438_2208:                           ;   in Loop: Header=BB438_998 Depth=1
	s_delay_alu instid0(SALU_CYCLE_1)
	s_or_b32 exec_lo, exec_lo, s13
.LBB438_2209:                           ;   in Loop: Header=BB438_998 Depth=1
	s_delay_alu instid0(SALU_CYCLE_1) | instskip(NEXT) | instid1(VALU_DEP_1)
	s_or_b32 exec_lo, exec_lo, s12
	v_mul_f32_e32 v2, v8, v2
                                        ; implicit-def: $vgpr73
	s_delay_alu instid0(VALU_DEP_1) | instskip(NEXT) | instid1(VALU_DEP_1)
	v_and_b32_e32 v3, 0x7f800000, v2
	v_cmp_ne_u32_e64 s0, 0x7f800000, v3
	s_delay_alu instid0(VALU_DEP_1) | instskip(NEXT) | instid1(SALU_CYCLE_1)
	s_and_saveexec_b32 s12, s0
	s_xor_b32 s0, exec_lo, s12
; %bb.2210:                             ;   in Loop: Header=BB438_998 Depth=1
	v_bfe_u32 v3, v2, 16, 1
	s_delay_alu instid0(VALU_DEP_1)
	v_add3_u32 v73, v2, v3, 0x7fff
                                        ; implicit-def: $vgpr2
; %bb.2211:                             ;   in Loop: Header=BB438_998 Depth=1
	s_and_not1_saveexec_b32 s12, s0
; %bb.2212:                             ;   in Loop: Header=BB438_998 Depth=1
	v_and_b32_e32 v3, 0xffff, v2
	v_or_b32_e32 v9, 0x10000, v2
	s_delay_alu instid0(VALU_DEP_2) | instskip(NEXT) | instid1(VALU_DEP_1)
	v_cmp_eq_u32_e64 s0, 0, v3
	v_cndmask_b32_e64 v73, v9, v2, s0
; %bb.2213:                             ;   in Loop: Header=BB438_998 Depth=1
	s_or_b32 exec_lo, exec_lo, s12
	v_lshrrev_b16 v3, 8, v0
	v_mov_b32_e32 v2, 0
	s_mov_b32 s12, exec_lo
	s_delay_alu instid0(VALU_DEP_2)
	v_cmpx_ne_u16_e32 0, v3
	s_cbranch_execz .LBB438_2221
; %bb.2214:                             ;   in Loop: Header=BB438_998 Depth=1
	v_bfrev_b32_e32 v2, 1
	s_mov_b32 s13, exec_lo
	v_cmpx_ne_u16_e32 0x80, v3
	s_cbranch_execz .LBB438_2220
; %bb.2215:                             ;   in Loop: Header=BB438_998 Depth=1
	v_and_b32_e32 v9, 0xffff, v3
	v_mov_b32_e32 v2, 0x7f800001
	s_mov_b32 s15, exec_lo
	s_delay_alu instid0(VALU_DEP_2) | instskip(NEXT) | instid1(VALU_DEP_1)
	v_and_b32_e32 v3, 0x7f, v9
	v_cmpx_ne_u32_e32 0x7f, v3
	s_cbranch_execz .LBB438_2219
; %bb.2216:                             ;   in Loop: Header=BB438_998 Depth=1
	v_and_b32_e32 v9, 7, v9
	v_lshrrev_b32_e32 v2, 3, v3
	s_mov_b32 s16, exec_lo
	v_cmpx_gt_u32_e32 8, v3
; %bb.2217:                             ;   in Loop: Header=BB438_998 Depth=1
	s_delay_alu instid0(VALU_DEP_3) | instskip(NEXT) | instid1(VALU_DEP_1)
	v_clz_i32_u32_e32 v2, v9
	v_min_u32_e32 v2, 32, v2
	s_delay_alu instid0(VALU_DEP_1) | instskip(SKIP_1) | instid1(VALU_DEP_2)
	v_subrev_nc_u32_e32 v3, 28, v2
	v_sub_nc_u32_e32 v2, 29, v2
	v_lshlrev_b64 v[74:75], v3, v[9:10]
	s_delay_alu instid0(VALU_DEP_1)
	v_and_b32_e32 v9, 7, v74
; %bb.2218:                             ;   in Loop: Header=BB438_998 Depth=1
	s_or_b32 exec_lo, exec_lo, s16
	v_lshlrev_b32_e32 v3, 16, v0
	s_delay_alu instid0(VALU_DEP_2) | instskip(SKIP_1) | instid1(VALU_DEP_3)
	v_lshlrev_b32_e32 v9, 20, v9
	v_lshl_add_u32 v2, v2, 23, 0x3c000000
	v_and_b32_e32 v3, 0x80000000, v3
	s_delay_alu instid0(VALU_DEP_1)
	v_or3_b32 v2, v9, v3, v2
.LBB438_2219:                           ;   in Loop: Header=BB438_998 Depth=1
	s_or_b32 exec_lo, exec_lo, s15
.LBB438_2220:                           ;   in Loop: Header=BB438_998 Depth=1
	s_delay_alu instid0(SALU_CYCLE_1)
	s_or_b32 exec_lo, exec_lo, s13
.LBB438_2221:                           ;   in Loop: Header=BB438_998 Depth=1
	s_delay_alu instid0(SALU_CYCLE_1) | instskip(NEXT) | instid1(VALU_DEP_1)
	s_or_b32 exec_lo, exec_lo, s12
	v_mul_f32_e32 v2, v8, v2
                                        ; implicit-def: $vgpr74
	s_delay_alu instid0(VALU_DEP_1) | instskip(NEXT) | instid1(VALU_DEP_1)
	v_and_b32_e32 v3, 0x7f800000, v2
	v_cmp_ne_u32_e64 s0, 0x7f800000, v3
	s_delay_alu instid0(VALU_DEP_1) | instskip(NEXT) | instid1(SALU_CYCLE_1)
	s_and_saveexec_b32 s12, s0
	s_xor_b32 s0, exec_lo, s12
; %bb.2222:                             ;   in Loop: Header=BB438_998 Depth=1
	v_bfe_u32 v3, v2, 16, 1
	s_delay_alu instid0(VALU_DEP_1)
	v_add3_u32 v74, v2, v3, 0x7fff
                                        ; implicit-def: $vgpr2
; %bb.2223:                             ;   in Loop: Header=BB438_998 Depth=1
	s_and_not1_saveexec_b32 s12, s0
; %bb.2224:                             ;   in Loop: Header=BB438_998 Depth=1
	v_and_b32_e32 v3, 0xffff, v2
	v_or_b32_e32 v9, 0x10000, v2
	s_delay_alu instid0(VALU_DEP_2) | instskip(NEXT) | instid1(VALU_DEP_1)
	v_cmp_eq_u32_e64 s0, 0, v3
	v_cndmask_b32_e64 v74, v9, v2, s0
; %bb.2225:                             ;   in Loop: Header=BB438_998 Depth=1
	s_or_b32 exec_lo, exec_lo, s12
	v_lshrrev_b32_e32 v2, 16, v0
	v_mov_b32_e32 v3, 0
	s_mov_b32 s12, exec_lo
	s_delay_alu instid0(VALU_DEP_2) | instskip(NEXT) | instid1(VALU_DEP_1)
	v_and_b32_e32 v9, 0xff, v2
	v_cmpx_ne_u16_e32 0, v9
	s_cbranch_execz .LBB438_2233
; %bb.2226:                             ;   in Loop: Header=BB438_998 Depth=1
	v_bfrev_b32_e32 v3, 1
	s_mov_b32 s13, exec_lo
	v_cmpx_ne_u16_e32 0x80, v9
	s_cbranch_execz .LBB438_2232
; %bb.2227:                             ;   in Loop: Header=BB438_998 Depth=1
	v_bfe_u32 v75, v0, 16, 7
	v_mov_b32_e32 v3, 0x7f800001
	s_mov_b32 s15, exec_lo
	s_delay_alu instid0(VALU_DEP_2)
	v_cmpx_ne_u32_e32 0x7f, v75
	s_cbranch_execz .LBB438_2231
; %bb.2228:                             ;   in Loop: Header=BB438_998 Depth=1
	v_and_b32_e32 v9, 7, v2
	v_lshrrev_b32_e32 v3, 3, v75
	s_mov_b32 s16, exec_lo
	v_cmpx_gt_u32_e32 8, v75
; %bb.2229:                             ;   in Loop: Header=BB438_998 Depth=1
	s_delay_alu instid0(VALU_DEP_3) | instskip(NEXT) | instid1(VALU_DEP_1)
	v_clz_i32_u32_e32 v3, v9
	v_min_u32_e32 v3, 32, v3
	s_delay_alu instid0(VALU_DEP_1) | instskip(SKIP_1) | instid1(VALU_DEP_2)
	v_subrev_nc_u32_e32 v75, 28, v3
	v_sub_nc_u32_e32 v3, 29, v3
	v_lshlrev_b64 v[75:76], v75, v[9:10]
	s_delay_alu instid0(VALU_DEP_1)
	v_and_b32_e32 v9, 7, v75
; %bb.2230:                             ;   in Loop: Header=BB438_998 Depth=1
	s_or_b32 exec_lo, exec_lo, s16
	v_lshlrev_b32_e32 v2, 24, v2
	s_delay_alu instid0(VALU_DEP_2) | instskip(SKIP_1) | instid1(VALU_DEP_3)
	v_lshlrev_b32_e32 v9, 20, v9
	v_lshl_add_u32 v3, v3, 23, 0x3c000000
	v_and_b32_e32 v2, 0x80000000, v2
	s_delay_alu instid0(VALU_DEP_1)
	v_or3_b32 v3, v9, v2, v3
.LBB438_2231:                           ;   in Loop: Header=BB438_998 Depth=1
	s_or_b32 exec_lo, exec_lo, s15
.LBB438_2232:                           ;   in Loop: Header=BB438_998 Depth=1
	s_delay_alu instid0(SALU_CYCLE_1)
	s_or_b32 exec_lo, exec_lo, s13
.LBB438_2233:                           ;   in Loop: Header=BB438_998 Depth=1
	s_delay_alu instid0(SALU_CYCLE_1) | instskip(NEXT) | instid1(VALU_DEP_1)
	s_or_b32 exec_lo, exec_lo, s12
	v_mul_f32_e32 v2, v8, v3
                                        ; implicit-def: $vgpr75
	s_delay_alu instid0(VALU_DEP_1) | instskip(NEXT) | instid1(VALU_DEP_1)
	v_and_b32_e32 v3, 0x7f800000, v2
	v_cmp_ne_u32_e64 s0, 0x7f800000, v3
	s_delay_alu instid0(VALU_DEP_1) | instskip(NEXT) | instid1(SALU_CYCLE_1)
	s_and_saveexec_b32 s12, s0
	s_xor_b32 s0, exec_lo, s12
; %bb.2234:                             ;   in Loop: Header=BB438_998 Depth=1
	v_bfe_u32 v3, v2, 16, 1
	s_delay_alu instid0(VALU_DEP_1)
	v_add3_u32 v75, v2, v3, 0x7fff
                                        ; implicit-def: $vgpr2
; %bb.2235:                             ;   in Loop: Header=BB438_998 Depth=1
	s_and_not1_saveexec_b32 s12, s0
; %bb.2236:                             ;   in Loop: Header=BB438_998 Depth=1
	v_and_b32_e32 v3, 0xffff, v2
	v_or_b32_e32 v9, 0x10000, v2
	s_delay_alu instid0(VALU_DEP_2) | instskip(NEXT) | instid1(VALU_DEP_1)
	v_cmp_eq_u32_e64 s0, 0, v3
	v_cndmask_b32_e64 v75, v9, v2, s0
; %bb.2237:                             ;   in Loop: Header=BB438_998 Depth=1
	s_or_b32 exec_lo, exec_lo, s12
	v_mov_b32_e32 v3, 0
	s_mov_b32 s12, exec_lo
	v_cmpx_lt_u32_e32 0xffffff, v0
	s_cbranch_execz .LBB438_2245
; %bb.2238:                             ;   in Loop: Header=BB438_998 Depth=1
	v_lshrrev_b32_e32 v2, 24, v0
	v_bfrev_b32_e32 v3, 1
	s_mov_b32 s13, exec_lo
	s_delay_alu instid0(VALU_DEP_2)
	v_cmpx_ne_u32_e32 0x80, v2
	s_cbranch_execz .LBB438_2244
; %bb.2239:                             ;   in Loop: Header=BB438_998 Depth=1
	v_bfe_u32 v76, v0, 24, 7
	v_mov_b32_e32 v3, 0x7f800001
	s_mov_b32 s15, exec_lo
	s_delay_alu instid0(VALU_DEP_2)
	v_cmpx_ne_u32_e32 0x7f, v76
	s_cbranch_execz .LBB438_2243
; %bb.2240:                             ;   in Loop: Header=BB438_998 Depth=1
	v_and_b32_e32 v9, 7, v2
	v_lshrrev_b32_e32 v3, 3, v76
	s_mov_b32 s16, exec_lo
	v_cmpx_gt_u32_e32 8, v76
; %bb.2241:                             ;   in Loop: Header=BB438_998 Depth=1
	s_delay_alu instid0(VALU_DEP_3) | instskip(NEXT) | instid1(VALU_DEP_1)
	v_clz_i32_u32_e32 v3, v9
	v_min_u32_e32 v3, 32, v3
	s_delay_alu instid0(VALU_DEP_1) | instskip(SKIP_1) | instid1(VALU_DEP_2)
	v_subrev_nc_u32_e32 v76, 28, v3
	v_sub_nc_u32_e32 v3, 29, v3
	v_lshlrev_b64 v[76:77], v76, v[9:10]
	s_delay_alu instid0(VALU_DEP_1)
	v_and_b32_e32 v9, 7, v76
; %bb.2242:                             ;   in Loop: Header=BB438_998 Depth=1
	s_or_b32 exec_lo, exec_lo, s16
	v_lshlrev_b32_e32 v2, 24, v2
	s_delay_alu instid0(VALU_DEP_2) | instskip(SKIP_1) | instid1(VALU_DEP_3)
	v_lshlrev_b32_e32 v9, 20, v9
	v_lshl_add_u32 v3, v3, 23, 0x3c000000
	v_and_b32_e32 v2, 0x80000000, v2
	s_delay_alu instid0(VALU_DEP_1)
	v_or3_b32 v3, v9, v2, v3
.LBB438_2243:                           ;   in Loop: Header=BB438_998 Depth=1
	s_or_b32 exec_lo, exec_lo, s15
.LBB438_2244:                           ;   in Loop: Header=BB438_998 Depth=1
	s_delay_alu instid0(SALU_CYCLE_1)
	s_or_b32 exec_lo, exec_lo, s13
.LBB438_2245:                           ;   in Loop: Header=BB438_998 Depth=1
	s_delay_alu instid0(SALU_CYCLE_1) | instskip(NEXT) | instid1(VALU_DEP_1)
	s_or_b32 exec_lo, exec_lo, s12
	v_mul_f32_e32 v2, v8, v3
                                        ; implicit-def: $vgpr76
	s_delay_alu instid0(VALU_DEP_1) | instskip(NEXT) | instid1(VALU_DEP_1)
	v_and_b32_e32 v3, 0x7f800000, v2
	v_cmp_ne_u32_e64 s0, 0x7f800000, v3
	s_delay_alu instid0(VALU_DEP_1) | instskip(NEXT) | instid1(SALU_CYCLE_1)
	s_and_saveexec_b32 s12, s0
	s_xor_b32 s0, exec_lo, s12
; %bb.2246:                             ;   in Loop: Header=BB438_998 Depth=1
	v_bfe_u32 v3, v2, 16, 1
	s_delay_alu instid0(VALU_DEP_1)
	v_add3_u32 v76, v2, v3, 0x7fff
                                        ; implicit-def: $vgpr2
; %bb.2247:                             ;   in Loop: Header=BB438_998 Depth=1
	s_and_not1_saveexec_b32 s12, s0
; %bb.2248:                             ;   in Loop: Header=BB438_998 Depth=1
	v_and_b32_e32 v3, 0xffff, v2
	v_or_b32_e32 v9, 0x10000, v2
	s_delay_alu instid0(VALU_DEP_2) | instskip(NEXT) | instid1(VALU_DEP_1)
	v_cmp_eq_u32_e64 s0, 0, v3
	v_cndmask_b32_e64 v76, v9, v2, s0
; %bb.2249:                             ;   in Loop: Header=BB438_998 Depth=1
	s_or_b32 exec_lo, exec_lo, s12
	v_dual_mov_b32 v2, 0 :: v_dual_and_b32 v3, 0xff, v1
	v_mov_b32_e32 v9, v1
	s_mov_b32 s12, exec_lo
	s_delay_alu instid0(VALU_DEP_2)
	v_cmpx_ne_u16_e32 0, v3
	s_cbranch_execz .LBB438_2257
; %bb.2250:                             ;   in Loop: Header=BB438_998 Depth=1
	v_bfrev_b32_e32 v2, 1
	s_mov_b32 s13, exec_lo
	v_cmpx_ne_u16_e32 0x80, v3
	s_cbranch_execz .LBB438_2256
; %bb.2251:                             ;   in Loop: Header=BB438_998 Depth=1
	v_and_b32_e32 v3, 0x7f, v1
	v_mov_b32_e32 v2, 0x7f800001
	s_mov_b32 s15, exec_lo
	s_delay_alu instid0(VALU_DEP_2)
	v_cmpx_ne_u32_e32 0x7f, v3
	s_cbranch_execz .LBB438_2255
; %bb.2252:                             ;   in Loop: Header=BB438_998 Depth=1
	v_lshrrev_b32_e32 v77, 3, v3
	v_cmp_gt_u32_e64 s0, 8, v3
	v_dual_mov_b32 v2, v9 :: v_dual_mov_b32 v3, v10
	s_delay_alu instid0(VALU_DEP_2)
	s_and_saveexec_b32 s16, s0
; %bb.2253:                             ;   in Loop: Header=BB438_998 Depth=1
	v_and_b32_e32 v2, 7, v1
	s_delay_alu instid0(VALU_DEP_1) | instskip(NEXT) | instid1(VALU_DEP_1)
	v_clz_i32_u32_e32 v2, v2
	v_min_u32_e32 v77, 32, v2
	s_delay_alu instid0(VALU_DEP_1) | instskip(SKIP_1) | instid1(VALU_DEP_2)
	v_subrev_nc_u32_e32 v2, 28, v77
	v_sub_nc_u32_e32 v77, 29, v77
	v_lshlrev_b64 v[2:3], v2, v[9:10]
; %bb.2254:                             ;   in Loop: Header=BB438_998 Depth=1
	s_or_b32 exec_lo, exec_lo, s16
	s_delay_alu instid0(VALU_DEP_1) | instskip(SKIP_2) | instid1(VALU_DEP_3)
	v_lshlrev_b32_e32 v2, 20, v2
	v_lshlrev_b32_e32 v3, 24, v9
	v_lshl_add_u32 v77, v77, 23, 0x3c000000
	v_and_b32_e32 v2, 0x700000, v2
	s_delay_alu instid0(VALU_DEP_3) | instskip(NEXT) | instid1(VALU_DEP_1)
	v_and_b32_e32 v3, 0x80000000, v3
	v_or3_b32 v2, v2, v3, v77
.LBB438_2255:                           ;   in Loop: Header=BB438_998 Depth=1
	s_or_b32 exec_lo, exec_lo, s15
.LBB438_2256:                           ;   in Loop: Header=BB438_998 Depth=1
	s_delay_alu instid0(SALU_CYCLE_1)
	s_or_b32 exec_lo, exec_lo, s13
.LBB438_2257:                           ;   in Loop: Header=BB438_998 Depth=1
	s_delay_alu instid0(SALU_CYCLE_1) | instskip(NEXT) | instid1(VALU_DEP_1)
	s_or_b32 exec_lo, exec_lo, s12
	v_mul_f32_e32 v2, v8, v2
                                        ; implicit-def: $vgpr77
	s_delay_alu instid0(VALU_DEP_1) | instskip(NEXT) | instid1(VALU_DEP_1)
	v_and_b32_e32 v3, 0x7f800000, v2
	v_cmp_ne_u32_e64 s0, 0x7f800000, v3
	s_delay_alu instid0(VALU_DEP_1) | instskip(NEXT) | instid1(SALU_CYCLE_1)
	s_and_saveexec_b32 s12, s0
	s_xor_b32 s0, exec_lo, s12
; %bb.2258:                             ;   in Loop: Header=BB438_998 Depth=1
	v_bfe_u32 v3, v2, 16, 1
	s_delay_alu instid0(VALU_DEP_1)
	v_add3_u32 v77, v2, v3, 0x7fff
                                        ; implicit-def: $vgpr2
; %bb.2259:                             ;   in Loop: Header=BB438_998 Depth=1
	s_and_not1_saveexec_b32 s12, s0
; %bb.2260:                             ;   in Loop: Header=BB438_998 Depth=1
	v_and_b32_e32 v3, 0xffff, v2
	v_or_b32_e32 v77, 0x10000, v2
	s_delay_alu instid0(VALU_DEP_2) | instskip(NEXT) | instid1(VALU_DEP_1)
	v_cmp_eq_u32_e64 s0, 0, v3
	v_cndmask_b32_e64 v77, v77, v2, s0
; %bb.2261:                             ;   in Loop: Header=BB438_998 Depth=1
	s_or_b32 exec_lo, exec_lo, s12
	v_lshrrev_b16 v3, 8, v9
	v_mov_b32_e32 v2, 0
	s_mov_b32 s12, exec_lo
	s_delay_alu instid0(VALU_DEP_2)
	v_cmpx_ne_u16_e32 0, v3
	s_cbranch_execz .LBB438_2269
; %bb.2262:                             ;   in Loop: Header=BB438_998 Depth=1
	v_bfrev_b32_e32 v2, 1
	s_mov_b32 s13, exec_lo
	v_cmpx_ne_u16_e32 0x80, v3
	s_cbranch_execz .LBB438_2268
; %bb.2263:                             ;   in Loop: Header=BB438_998 Depth=1
	v_and_b32_e32 v3, 0xffff, v3
	v_mov_b32_e32 v2, 0x7f800001
	s_mov_b32 s15, exec_lo
	s_delay_alu instid0(VALU_DEP_2) | instskip(NEXT) | instid1(VALU_DEP_1)
	v_and_b32_e32 v79, 0x7f, v3
	v_cmpx_ne_u32_e32 0x7f, v79
	s_cbranch_execz .LBB438_2267
; %bb.2264:                             ;   in Loop: Header=BB438_998 Depth=1
	v_dual_mov_b32 v3, v10 :: v_dual_and_b32 v2, 7, v3
	v_lshrrev_b32_e32 v78, 3, v79
	s_mov_b32 s16, exec_lo
	v_cmpx_gt_u32_e32 8, v79
; %bb.2265:                             ;   in Loop: Header=BB438_998 Depth=1
	s_delay_alu instid0(VALU_DEP_3) | instskip(NEXT) | instid1(VALU_DEP_1)
	v_clz_i32_u32_e32 v78, v2
	v_min_u32_e32 v78, 32, v78
	s_delay_alu instid0(VALU_DEP_1) | instskip(SKIP_1) | instid1(VALU_DEP_2)
	v_subrev_nc_u32_e32 v79, 28, v78
	v_sub_nc_u32_e32 v78, 29, v78
	v_lshlrev_b64 v[2:3], v79, v[2:3]
	s_delay_alu instid0(VALU_DEP_1)
	v_and_b32_e32 v2, 7, v2
; %bb.2266:                             ;   in Loop: Header=BB438_998 Depth=1
	s_or_b32 exec_lo, exec_lo, s16
	v_lshlrev_b32_e32 v3, 16, v9
	s_delay_alu instid0(VALU_DEP_2) | instskip(SKIP_1) | instid1(VALU_DEP_3)
	v_lshlrev_b32_e32 v2, 20, v2
	v_lshl_add_u32 v9, v78, 23, 0x3c000000
	v_and_b32_e32 v3, 0x80000000, v3
	s_delay_alu instid0(VALU_DEP_1)
	v_or3_b32 v2, v2, v3, v9
.LBB438_2267:                           ;   in Loop: Header=BB438_998 Depth=1
	s_or_b32 exec_lo, exec_lo, s15
.LBB438_2268:                           ;   in Loop: Header=BB438_998 Depth=1
	s_delay_alu instid0(SALU_CYCLE_1)
	s_or_b32 exec_lo, exec_lo, s13
.LBB438_2269:                           ;   in Loop: Header=BB438_998 Depth=1
	s_delay_alu instid0(SALU_CYCLE_1) | instskip(NEXT) | instid1(VALU_DEP_1)
	s_or_b32 exec_lo, exec_lo, s12
	v_mul_f32_e32 v3, v8, v2
	s_delay_alu instid0(VALU_DEP_1) | instskip(NEXT) | instid1(VALU_DEP_1)
	v_and_b32_e32 v2, 0x7f800000, v3
	v_cmp_ne_u32_e64 s0, 0x7f800000, v2
                                        ; implicit-def: $vgpr2
	s_delay_alu instid0(VALU_DEP_1) | instskip(NEXT) | instid1(SALU_CYCLE_1)
	s_and_saveexec_b32 s12, s0
	s_xor_b32 s0, exec_lo, s12
; %bb.2270:                             ;   in Loop: Header=BB438_998 Depth=1
	v_bfe_u32 v2, v3, 16, 1
	s_delay_alu instid0(VALU_DEP_1)
	v_add3_u32 v2, v3, v2, 0x7fff
                                        ; implicit-def: $vgpr3
; %bb.2271:                             ;   in Loop: Header=BB438_998 Depth=1
	s_and_not1_saveexec_b32 s12, s0
; %bb.2272:                             ;   in Loop: Header=BB438_998 Depth=1
	v_and_b32_e32 v2, 0xffff, v3
	v_or_b32_e32 v9, 0x10000, v3
	s_delay_alu instid0(VALU_DEP_2) | instskip(NEXT) | instid1(VALU_DEP_1)
	v_cmp_eq_u32_e64 s0, 0, v2
	v_cndmask_b32_e64 v2, v9, v3, s0
; %bb.2273:                             ;   in Loop: Header=BB438_998 Depth=1
	s_or_b32 exec_lo, exec_lo, s12
	v_lshrrev_b32_e32 v3, 16, v1
	s_mov_b32 s12, exec_lo
	s_delay_alu instid0(VALU_DEP_1) | instskip(NEXT) | instid1(VALU_DEP_1)
	v_dual_mov_b32 v9, 0 :: v_dual_and_b32 v78, 0xff, v3
	v_cmpx_ne_u16_e32 0, v78
	s_cbranch_execz .LBB438_2281
; %bb.2274:                             ;   in Loop: Header=BB438_998 Depth=1
	v_bfrev_b32_e32 v9, 1
	s_mov_b32 s13, exec_lo
	v_cmpx_ne_u16_e32 0x80, v78
	s_cbranch_execz .LBB438_2280
; %bb.2275:                             ;   in Loop: Header=BB438_998 Depth=1
	v_bfe_u32 v79, v1, 16, 7
	v_mov_b32_e32 v9, 0x7f800001
	s_mov_b32 s15, exec_lo
	s_delay_alu instid0(VALU_DEP_2)
	v_cmpx_ne_u32_e32 0x7f, v79
	s_cbranch_execz .LBB438_2279
; %bb.2276:                             ;   in Loop: Header=BB438_998 Depth=1
	v_and_b32_e32 v9, 7, v3
	v_lshrrev_b32_e32 v78, 3, v79
	s_mov_b32 s16, exec_lo
	v_cmpx_gt_u32_e32 8, v79
	s_cbranch_execz .LBB438_2278
; %bb.2277:                             ;   in Loop: Header=BB438_998 Depth=1
	v_clz_i32_u32_e32 v78, v9
	s_delay_alu instid0(VALU_DEP_1) | instskip(NEXT) | instid1(VALU_DEP_1)
	v_min_u32_e32 v78, 32, v78
	v_subrev_nc_u32_e32 v79, 28, v78
	v_sub_nc_u32_e32 v78, 29, v78
	s_delay_alu instid0(VALU_DEP_2)
	v_lshlrev_b64 v[88:89], v79, v[9:10]
	scratch_load_b32 v89, off, s32 offset:352 ; 4-byte Folded Reload
	v_and_b32_e32 v9, 7, v88
	scratch_load_b32 v88, off, s32 offset:348 ; 4-byte Folded Reload
.LBB438_2278:                           ;   in Loop: Header=BB438_998 Depth=1
	s_or_b32 exec_lo, exec_lo, s16
	v_lshlrev_b32_e32 v3, 24, v3
	v_lshlrev_b32_e32 v9, 20, v9
	v_lshl_add_u32 v78, v78, 23, 0x3c000000
	s_delay_alu instid0(VALU_DEP_3) | instskip(NEXT) | instid1(VALU_DEP_1)
	v_and_b32_e32 v3, 0x80000000, v3
	v_or3_b32 v9, v9, v3, v78
.LBB438_2279:                           ;   in Loop: Header=BB438_998 Depth=1
	s_or_b32 exec_lo, exec_lo, s15
.LBB438_2280:                           ;   in Loop: Header=BB438_998 Depth=1
	s_delay_alu instid0(SALU_CYCLE_1)
	s_or_b32 exec_lo, exec_lo, s13
.LBB438_2281:                           ;   in Loop: Header=BB438_998 Depth=1
	s_delay_alu instid0(SALU_CYCLE_1) | instskip(NEXT) | instid1(VALU_DEP_1)
	s_or_b32 exec_lo, exec_lo, s12
	v_mul_f32_e32 v3, v8, v9
                                        ; implicit-def: $vgpr78
	s_delay_alu instid0(VALU_DEP_1) | instskip(NEXT) | instid1(VALU_DEP_1)
	v_and_b32_e32 v9, 0x7f800000, v3
	v_cmp_ne_u32_e64 s0, 0x7f800000, v9
	s_delay_alu instid0(VALU_DEP_1) | instskip(NEXT) | instid1(SALU_CYCLE_1)
	s_and_saveexec_b32 s12, s0
	s_xor_b32 s0, exec_lo, s12
; %bb.2282:                             ;   in Loop: Header=BB438_998 Depth=1
	v_bfe_u32 v9, v3, 16, 1
	s_delay_alu instid0(VALU_DEP_1)
	v_add3_u32 v78, v3, v9, 0x7fff
                                        ; implicit-def: $vgpr3
; %bb.2283:                             ;   in Loop: Header=BB438_998 Depth=1
	s_and_not1_saveexec_b32 s12, s0
; %bb.2284:                             ;   in Loop: Header=BB438_998 Depth=1
	v_and_b32_e32 v9, 0xffff, v3
	v_or_b32_e32 v78, 0x10000, v3
	s_delay_alu instid0(VALU_DEP_2) | instskip(NEXT) | instid1(VALU_DEP_1)
	v_cmp_eq_u32_e64 s0, 0, v9
	v_cndmask_b32_e64 v78, v78, v3, s0
; %bb.2285:                             ;   in Loop: Header=BB438_998 Depth=1
	s_or_b32 exec_lo, exec_lo, s12
	v_mov_b32_e32 v3, 0
	s_mov_b32 s12, exec_lo
	v_cmpx_lt_u64_e64 s[8:9], v[0:1]
	s_cbranch_execz .LBB438_2293
; %bb.2286:                             ;   in Loop: Header=BB438_998 Depth=1
	v_lshrrev_b32_e32 v0, 24, v1
	v_bfrev_b32_e32 v3, 1
	s_mov_b32 s13, exec_lo
	s_delay_alu instid0(VALU_DEP_2)
	v_cmpx_ne_u32_e32 0x80, v0
	s_cbranch_execz .LBB438_2292
; %bb.2287:                             ;   in Loop: Header=BB438_998 Depth=1
	v_bfe_u32 v79, v1, 24, 7
	v_mov_b32_e32 v3, 0x7f800001
	s_mov_b32 s15, exec_lo
	s_delay_alu instid0(VALU_DEP_2)
	v_cmpx_ne_u32_e32 0x7f, v79
	s_cbranch_execz .LBB438_2291
; %bb.2288:                             ;   in Loop: Header=BB438_998 Depth=1
	v_and_b32_e32 v9, 7, v0
	v_lshrrev_b32_e32 v1, 3, v79
	s_mov_b32 s16, exec_lo
	v_cmpx_gt_u32_e32 8, v79
	s_cbranch_execz .LBB438_2290
; %bb.2289:                             ;   in Loop: Header=BB438_998 Depth=1
	v_clz_i32_u32_e32 v1, v9
	s_delay_alu instid0(VALU_DEP_1) | instskip(NEXT) | instid1(VALU_DEP_1)
	v_min_u32_e32 v1, 32, v1
	v_subrev_nc_u32_e32 v3, 28, v1
	v_sub_nc_u32_e32 v1, 29, v1
	s_waitcnt vmcnt(0)
	s_delay_alu instid0(VALU_DEP_2)
	v_lshlrev_b64 v[88:89], v3, v[9:10]
	scratch_load_b32 v89, off, s32 offset:352 ; 4-byte Folded Reload
	v_and_b32_e32 v9, 7, v88
	scratch_load_b32 v88, off, s32 offset:348 ; 4-byte Folded Reload
.LBB438_2290:                           ;   in Loop: Header=BB438_998 Depth=1
	s_or_b32 exec_lo, exec_lo, s16
	v_lshlrev_b32_e32 v0, 24, v0
	v_lshlrev_b32_e32 v3, 20, v9
	v_lshl_add_u32 v1, v1, 23, 0x3c000000
	s_delay_alu instid0(VALU_DEP_3) | instskip(NEXT) | instid1(VALU_DEP_1)
	v_and_b32_e32 v0, 0x80000000, v0
	v_or3_b32 v3, v3, v0, v1
.LBB438_2291:                           ;   in Loop: Header=BB438_998 Depth=1
	s_or_b32 exec_lo, exec_lo, s15
.LBB438_2292:                           ;   in Loop: Header=BB438_998 Depth=1
	s_delay_alu instid0(SALU_CYCLE_1)
	s_or_b32 exec_lo, exec_lo, s13
.LBB438_2293:                           ;   in Loop: Header=BB438_998 Depth=1
	s_delay_alu instid0(SALU_CYCLE_1) | instskip(NEXT) | instid1(VALU_DEP_1)
	s_or_b32 exec_lo, exec_lo, s12
	v_mul_f32_e32 v0, v8, v3
                                        ; implicit-def: $vgpr79
	s_delay_alu instid0(VALU_DEP_1) | instskip(NEXT) | instid1(VALU_DEP_1)
	v_and_b32_e32 v1, 0x7f800000, v0
	v_cmp_ne_u32_e64 s0, 0x7f800000, v1
	s_delay_alu instid0(VALU_DEP_1) | instskip(NEXT) | instid1(SALU_CYCLE_1)
	s_and_saveexec_b32 s12, s0
	s_xor_b32 s0, exec_lo, s12
; %bb.2294:                             ;   in Loop: Header=BB438_998 Depth=1
	v_bfe_u32 v1, v0, 16, 1
	s_delay_alu instid0(VALU_DEP_1)
	v_add3_u32 v79, v0, v1, 0x7fff
                                        ; implicit-def: $vgpr0
; %bb.2295:                             ;   in Loop: Header=BB438_998 Depth=1
	s_and_not1_saveexec_b32 s12, s0
; %bb.2296:                             ;   in Loop: Header=BB438_998 Depth=1
	v_and_b32_e32 v1, 0xffff, v0
	v_or_b32_e32 v3, 0x10000, v0
	s_delay_alu instid0(VALU_DEP_2) | instskip(NEXT) | instid1(VALU_DEP_1)
	v_cmp_eq_u32_e64 s0, 0, v1
	v_cndmask_b32_e64 v79, v3, v0, s0
; %bb.2297:                             ;   in Loop: Header=BB438_998 Depth=1
	s_or_b32 exec_lo, exec_lo, s12
	v_lshrrev_b32_e32 v9, 16, v2
	v_lshrrev_b32_e32 v8, 16, v77
	;; [unrolled: 1-line block ×8, first 2 shown]
	s_and_saveexec_b32 s0, vcc_lo
	s_cbranch_execz .LBB438_2299
; %bb.2298:                             ;   in Loop: Header=BB438_998 Depth=1
	v_cmp_lt_i32_e32 vcc_lo, v80, v38
	v_cndmask_b32_e32 v0, 0, v0, vcc_lo
	v_cmp_lt_i32_e32 vcc_lo, v87, v38
	v_cndmask_b32_e32 v1, 0, v1, vcc_lo
	;; [unrolled: 2-line block ×8, first 2 shown]
.LBB438_2299:                           ;   in Loop: Header=BB438_998 Depth=1
	s_or_b32 exec_lo, exec_lo, s0
	v_lshlrev_b32_e32 v0, 16, v0
	s_delay_alu instid0(VALU_DEP_1) | instskip(NEXT) | instid1(VALU_DEP_1)
	v_mul_f32_e32 v80, v96, v0
	v_and_b32_e32 v0, 0x7f800000, v80
	s_delay_alu instid0(VALU_DEP_1) | instskip(SKIP_1) | instid1(SALU_CYCLE_1)
	v_cmp_ne_u32_e32 vcc_lo, 0x7f800000, v0
                                        ; implicit-def: $vgpr0
	s_and_saveexec_b32 s0, vcc_lo
	s_xor_b32 s0, exec_lo, s0
; %bb.2300:                             ;   in Loop: Header=BB438_998 Depth=1
	v_bfe_u32 v0, v80, 16, 1
	s_delay_alu instid0(VALU_DEP_1)
	v_add3_u32 v0, v80, v0, 0x7fff
                                        ; implicit-def: $vgpr80
; %bb.2301:                             ;   in Loop: Header=BB438_998 Depth=1
	s_and_not1_saveexec_b32 s0, s0
; %bb.2302:                             ;   in Loop: Header=BB438_998 Depth=1
	v_and_b32_e32 v0, 0xffff, v80
	v_or_b32_e32 v81, 0x10000, v80
	s_delay_alu instid0(VALU_DEP_2) | instskip(NEXT) | instid1(VALU_DEP_2)
	v_cmp_eq_u32_e32 vcc_lo, 0, v0
	v_cndmask_b32_e32 v0, v81, v80, vcc_lo
; %bb.2303:                             ;   in Loop: Header=BB438_998 Depth=1
	s_or_b32 exec_lo, exec_lo, s0
	v_lshlrev_b32_e32 v1, 16, v1
	s_delay_alu instid0(VALU_DEP_1) | instskip(NEXT) | instid1(VALU_DEP_1)
	v_mul_f32_e32 v80, v97, v1
	v_and_b32_e32 v1, 0x7f800000, v80
	s_delay_alu instid0(VALU_DEP_1) | instskip(SKIP_1) | instid1(SALU_CYCLE_1)
	v_cmp_ne_u32_e32 vcc_lo, 0x7f800000, v1
                                        ; implicit-def: $vgpr1
	s_and_saveexec_b32 s0, vcc_lo
	s_xor_b32 s0, exec_lo, s0
; %bb.2304:                             ;   in Loop: Header=BB438_998 Depth=1
	v_bfe_u32 v1, v80, 16, 1
	s_delay_alu instid0(VALU_DEP_1)
	v_add3_u32 v1, v80, v1, 0x7fff
                                        ; implicit-def: $vgpr80
; %bb.2305:                             ;   in Loop: Header=BB438_998 Depth=1
	s_and_not1_saveexec_b32 s0, s0
; %bb.2306:                             ;   in Loop: Header=BB438_998 Depth=1
	v_and_b32_e32 v1, 0xffff, v80
	v_or_b32_e32 v81, 0x10000, v80
	s_delay_alu instid0(VALU_DEP_2) | instskip(NEXT) | instid1(VALU_DEP_2)
	v_cmp_eq_u32_e32 vcc_lo, 0, v1
	v_cndmask_b32_e32 v1, v81, v80, vcc_lo
; %bb.2307:                             ;   in Loop: Header=BB438_998 Depth=1
	s_or_b32 exec_lo, exec_lo, s0
	v_lshlrev_b32_e32 v2, 16, v2
	s_delay_alu instid0(VALU_DEP_1) | instskip(NEXT) | instid1(VALU_DEP_1)
	v_mul_f32_e32 v80, v98, v2
	v_and_b32_e32 v2, 0x7f800000, v80
	s_delay_alu instid0(VALU_DEP_1) | instskip(SKIP_1) | instid1(SALU_CYCLE_1)
	v_cmp_ne_u32_e32 vcc_lo, 0x7f800000, v2
                                        ; implicit-def: $vgpr2
	s_and_saveexec_b32 s0, vcc_lo
	s_xor_b32 s0, exec_lo, s0
; %bb.2308:                             ;   in Loop: Header=BB438_998 Depth=1
	v_bfe_u32 v2, v80, 16, 1
	s_delay_alu instid0(VALU_DEP_1)
	v_add3_u32 v2, v80, v2, 0x7fff
                                        ; implicit-def: $vgpr80
; %bb.2309:                             ;   in Loop: Header=BB438_998 Depth=1
	s_and_not1_saveexec_b32 s0, s0
; %bb.2310:                             ;   in Loop: Header=BB438_998 Depth=1
	v_and_b32_e32 v2, 0xffff, v80
	v_or_b32_e32 v81, 0x10000, v80
	s_delay_alu instid0(VALU_DEP_2) | instskip(NEXT) | instid1(VALU_DEP_2)
	v_cmp_eq_u32_e32 vcc_lo, 0, v2
	v_cndmask_b32_e32 v2, v81, v80, vcc_lo
; %bb.2311:                             ;   in Loop: Header=BB438_998 Depth=1
	s_or_b32 exec_lo, exec_lo, s0
	v_lshlrev_b32_e32 v3, 16, v3
	s_delay_alu instid0(VALU_DEP_1) | instskip(NEXT) | instid1(VALU_DEP_1)
	v_mul_f32_e32 v80, v99, v3
	v_and_b32_e32 v3, 0x7f800000, v80
	s_delay_alu instid0(VALU_DEP_1) | instskip(SKIP_1) | instid1(SALU_CYCLE_1)
	v_cmp_ne_u32_e32 vcc_lo, 0x7f800000, v3
                                        ; implicit-def: $vgpr3
	s_and_saveexec_b32 s0, vcc_lo
	s_xor_b32 s0, exec_lo, s0
; %bb.2312:                             ;   in Loop: Header=BB438_998 Depth=1
	v_bfe_u32 v3, v80, 16, 1
	s_delay_alu instid0(VALU_DEP_1)
	v_add3_u32 v3, v80, v3, 0x7fff
                                        ; implicit-def: $vgpr80
; %bb.2313:                             ;   in Loop: Header=BB438_998 Depth=1
	s_and_not1_saveexec_b32 s0, s0
; %bb.2314:                             ;   in Loop: Header=BB438_998 Depth=1
	v_and_b32_e32 v3, 0xffff, v80
	v_or_b32_e32 v81, 0x10000, v80
	s_delay_alu instid0(VALU_DEP_2) | instskip(NEXT) | instid1(VALU_DEP_2)
	v_cmp_eq_u32_e32 vcc_lo, 0, v3
	v_cndmask_b32_e32 v3, v81, v80, vcc_lo
; %bb.2315:                             ;   in Loop: Header=BB438_998 Depth=1
	s_or_b32 exec_lo, exec_lo, s0
	v_lshlrev_b32_e32 v8, 16, v8
	s_delay_alu instid0(VALU_DEP_1) | instskip(NEXT) | instid1(VALU_DEP_1)
	v_mul_f32_e32 v80, v100, v8
	v_and_b32_e32 v8, 0x7f800000, v80
	s_delay_alu instid0(VALU_DEP_1) | instskip(SKIP_1) | instid1(SALU_CYCLE_1)
	v_cmp_ne_u32_e32 vcc_lo, 0x7f800000, v8
                                        ; implicit-def: $vgpr8
	s_and_saveexec_b32 s0, vcc_lo
	s_xor_b32 s0, exec_lo, s0
; %bb.2316:                             ;   in Loop: Header=BB438_998 Depth=1
	v_bfe_u32 v8, v80, 16, 1
	s_delay_alu instid0(VALU_DEP_1)
	v_add3_u32 v8, v80, v8, 0x7fff
                                        ; implicit-def: $vgpr80
; %bb.2317:                             ;   in Loop: Header=BB438_998 Depth=1
	s_and_not1_saveexec_b32 s0, s0
; %bb.2318:                             ;   in Loop: Header=BB438_998 Depth=1
	v_and_b32_e32 v8, 0xffff, v80
	v_or_b32_e32 v81, 0x10000, v80
	s_delay_alu instid0(VALU_DEP_2) | instskip(NEXT) | instid1(VALU_DEP_2)
	v_cmp_eq_u32_e32 vcc_lo, 0, v8
	v_cndmask_b32_e32 v8, v81, v80, vcc_lo
; %bb.2319:                             ;   in Loop: Header=BB438_998 Depth=1
	s_or_b32 exec_lo, exec_lo, s0
	v_lshlrev_b32_e32 v9, 16, v9
	s_delay_alu instid0(VALU_DEP_1) | instskip(NEXT) | instid1(VALU_DEP_1)
	v_mul_f32_e32 v80, v101, v9
	v_and_b32_e32 v9, 0x7f800000, v80
	s_delay_alu instid0(VALU_DEP_1) | instskip(SKIP_1) | instid1(SALU_CYCLE_1)
	v_cmp_ne_u32_e32 vcc_lo, 0x7f800000, v9
                                        ; implicit-def: $vgpr9
	s_and_saveexec_b32 s0, vcc_lo
	s_xor_b32 s0, exec_lo, s0
; %bb.2320:                             ;   in Loop: Header=BB438_998 Depth=1
	v_bfe_u32 v9, v80, 16, 1
	s_delay_alu instid0(VALU_DEP_1)
	v_add3_u32 v9, v80, v9, 0x7fff
                                        ; implicit-def: $vgpr80
; %bb.2321:                             ;   in Loop: Header=BB438_998 Depth=1
	s_and_not1_saveexec_b32 s0, s0
; %bb.2322:                             ;   in Loop: Header=BB438_998 Depth=1
	v_and_b32_e32 v9, 0xffff, v80
	v_or_b32_e32 v81, 0x10000, v80
	s_delay_alu instid0(VALU_DEP_2) | instskip(NEXT) | instid1(VALU_DEP_2)
	v_cmp_eq_u32_e32 vcc_lo, 0, v9
	v_cndmask_b32_e32 v9, v81, v80, vcc_lo
; %bb.2323:                             ;   in Loop: Header=BB438_998 Depth=1
	s_or_b32 exec_lo, exec_lo, s0
	v_lshlrev_b32_e32 v80, 16, v74
	s_delay_alu instid0(VALU_DEP_1) | instskip(NEXT) | instid1(VALU_DEP_1)
	v_mul_f32_e32 v81, v102, v80
	v_and_b32_e32 v80, 0x7f800000, v81
	s_delay_alu instid0(VALU_DEP_1) | instskip(SKIP_1) | instid1(SALU_CYCLE_1)
	v_cmp_ne_u32_e32 vcc_lo, 0x7f800000, v80
                                        ; implicit-def: $vgpr80
	s_and_saveexec_b32 s0, vcc_lo
	s_xor_b32 s0, exec_lo, s0
; %bb.2324:                             ;   in Loop: Header=BB438_998 Depth=1
	v_bfe_u32 v80, v81, 16, 1
	s_delay_alu instid0(VALU_DEP_1)
	v_add3_u32 v80, v81, v80, 0x7fff
                                        ; implicit-def: $vgpr81
; %bb.2325:                             ;   in Loop: Header=BB438_998 Depth=1
	s_and_not1_saveexec_b32 s0, s0
; %bb.2326:                             ;   in Loop: Header=BB438_998 Depth=1
	v_and_b32_e32 v80, 0xffff, v81
	v_or_b32_e32 v82, 0x10000, v81
	s_delay_alu instid0(VALU_DEP_2) | instskip(NEXT) | instid1(VALU_DEP_2)
	v_cmp_eq_u32_e32 vcc_lo, 0, v80
	v_cndmask_b32_e32 v80, v82, v81, vcc_lo
; %bb.2327:                             ;   in Loop: Header=BB438_998 Depth=1
	s_or_b32 exec_lo, exec_lo, s0
	v_lshlrev_b32_e32 v81, 16, v73
	s_delay_alu instid0(VALU_DEP_1) | instskip(NEXT) | instid1(VALU_DEP_1)
	v_mul_f32_e32 v82, v103, v81
	v_and_b32_e32 v81, 0x7f800000, v82
	s_delay_alu instid0(VALU_DEP_1) | instskip(SKIP_1) | instid1(SALU_CYCLE_1)
	v_cmp_ne_u32_e32 vcc_lo, 0x7f800000, v81
                                        ; implicit-def: $vgpr81
	s_and_saveexec_b32 s0, vcc_lo
	s_xor_b32 s0, exec_lo, s0
; %bb.2328:                             ;   in Loop: Header=BB438_998 Depth=1
	v_bfe_u32 v81, v82, 16, 1
	s_delay_alu instid0(VALU_DEP_1)
	v_add3_u32 v81, v82, v81, 0x7fff
                                        ; implicit-def: $vgpr82
; %bb.2329:                             ;   in Loop: Header=BB438_998 Depth=1
	s_and_not1_saveexec_b32 s0, s0
	s_cbranch_execz .LBB438_996
; %bb.2330:                             ;   in Loop: Header=BB438_998 Depth=1
	v_and_b32_e32 v81, 0xffff, v82
	v_or_b32_e32 v83, 0x10000, v82
	s_delay_alu instid0(VALU_DEP_2) | instskip(NEXT) | instid1(VALU_DEP_2)
	v_cmp_eq_u32_e32 vcc_lo, 0, v81
	v_cndmask_b32_e32 v81, v83, v82, vcc_lo
	s_branch .LBB438_996
.LBB438_2331:
	s_or_b32 exec_lo, exec_lo, s10
.LBB438_2332:
	s_delay_alu instid0(SALU_CYCLE_1)
	s_or_b32 exec_lo, exec_lo, s7
	ds_bpermute_b32 v1, v20, v36
	ds_bpermute_b32 v6, v20, v31
	s_waitcnt vmcnt(0) lgkmcnt(0)
	s_waitcnt_vscnt null, 0x0
	s_barrier
	buffer_gl0_inv
	ds_bpermute_b32 v0, v20, v53
	ds_bpermute_b32 v2, v20, v35
	;; [unrolled: 1-line block ×8, first 2 shown]
	s_load_b32 s0, s[2:3], 0x0
	v_dual_add_f32 v10, v36, v1 :: v_dual_add_f32 v11, v31, v6
	scratch_load_b32 v1, off, s32 offset:328 ; 4-byte Folded Reload
	s_waitcnt lgkmcnt(0)
	v_add_f32_e32 v0, v53, v0
	v_dual_add_f32 v2, v35, v2 :: v_dual_add_f32 v5, v32, v5
	v_add_f32_e32 v3, v34, v3
	v_dual_add_f32 v12, v29, v7 :: v_dual_add_f32 v13, v28, v8
	ds_bpermute_b32 v6, v19, v0
	ds_bpermute_b32 v8, v19, v2
	;; [unrolled: 1-line block ×4, first 2 shown]
	v_add_f32_e32 v4, v33, v4
	v_add_f32_e32 v14, v25, v9
	ds_bpermute_b32 v7, v19, v10
	ds_bpermute_b32 v15, v19, v3
	ds_bpermute_b32 v20, v19, v12
	ds_bpermute_b32 v21, v19, v13
	v_and_b32_e32 v22, 0x3c3, v88
	s_waitcnt lgkmcnt(6)
	v_dual_add_f32 v0, v0, v6 :: v_dual_add_f32 v9, v2, v8
	s_waitcnt lgkmcnt(4)
	v_dual_add_f32 v6, v5, v17 :: v_dual_add_f32 v5, v11, v18
	ds_bpermute_b32 v16, v19, v4
	ds_bpermute_b32 v19, v19, v14
	s_waitcnt lgkmcnt(5)
	v_add_f32_e32 v10, v10, v7
	s_waitcnt lgkmcnt(4)
	v_add_f32_e32 v8, v3, v15
	v_mad_u32_u24 v11, 0x140, v89, s0
	s_waitcnt lgkmcnt(2)
	v_add_f32_e32 v3, v13, v21
	s_mov_b32 s0, exec_lo
	s_waitcnt lgkmcnt(1)
	v_add_f32_e32 v7, v4, v16
	v_add_f32_e32 v4, v12, v20
	s_waitcnt lgkmcnt(0)
	v_add_f32_e32 v2, v14, v19
	s_waitcnt vmcnt(0)
	v_lshrrev_b32_e32 v1, 2, v1
	s_delay_alu instid0(VALU_DEP_1)
	v_lshlrev_b32_e32 v12, 2, v1
	v_cmpx_eq_u32_e32 64, v22
	s_cbranch_execz .LBB438_2334
; %bb.2333:
	s_delay_alu instid0(VALU_DEP_2)
	v_add3_u32 v13, v11, v12, 0xfffffd80
	ds_store_2addr_b32 v13, v0, v10 offset1:8
	ds_store_2addr_b32 v13, v9, v8 offset0:16 offset1:24
	ds_store_2addr_b32 v13, v7, v6 offset0:32 offset1:40
	;; [unrolled: 1-line block ×4, first 2 shown]
.LBB438_2334:
	s_or_b32 exec_lo, exec_lo, s0
	v_cmp_eq_u32_e32 vcc_lo, 0, v24
	v_cmp_gt_u32_e64 s0, 64, v88
	s_waitcnt lgkmcnt(0)
	s_barrier
	buffer_gl0_inv
	s_mov_b32 s2, exec_lo
	scratch_load_b32 v14, off, s32 offset:356 ; 4-byte Folded Reload
	s_and_b32 s0, s2, s0
	s_delay_alu instid0(SALU_CYCLE_1)
	s_mov_b32 exec_lo, s0
	s_cbranch_execz .LBB438_2347
; %bb.2335:
	s_and_saveexec_b32 s0, vcc_lo
	s_cbranch_execnz .LBB438_2406
; %bb.2336:
	s_or_b32 exec_lo, exec_lo, s0
	s_and_saveexec_b32 s0, vcc_lo
	s_cbranch_execnz .LBB438_2407
.LBB438_2337:
	s_or_b32 exec_lo, exec_lo, s0
	s_and_saveexec_b32 s0, vcc_lo
	s_cbranch_execnz .LBB438_2408
.LBB438_2338:
	s_or_b32 exec_lo, exec_lo, s0
	s_and_saveexec_b32 s0, vcc_lo
	s_cbranch_execnz .LBB438_2409
.LBB438_2339:
	s_or_b32 exec_lo, exec_lo, s0
	s_and_saveexec_b32 s0, vcc_lo
	s_cbranch_execnz .LBB438_2410
.LBB438_2340:
	s_or_b32 exec_lo, exec_lo, s0
	s_and_saveexec_b32 s0, vcc_lo
	s_cbranch_execnz .LBB438_2411
.LBB438_2341:
	s_or_b32 exec_lo, exec_lo, s0
	s_and_saveexec_b32 s0, vcc_lo
	s_cbranch_execnz .LBB438_2412
.LBB438_2342:
	s_or_b32 exec_lo, exec_lo, s0
	s_and_saveexec_b32 s0, vcc_lo
	s_cbranch_execnz .LBB438_2413
.LBB438_2343:
	s_or_b32 exec_lo, exec_lo, s0
	s_and_saveexec_b32 s0, vcc_lo
	s_cbranch_execnz .LBB438_2414
.LBB438_2344:
	s_or_b32 exec_lo, exec_lo, s0
	s_and_saveexec_b32 s0, vcc_lo
	s_cbranch_execz .LBB438_2346
.LBB438_2345:
	v_lshl_add_u32 v13, v1, 2, v11
	ds_load_b32 v13, v13 offset:288
	s_waitcnt lgkmcnt(0)
	v_add_f32_e32 v2, v13, v2
.LBB438_2346:
	s_or_b32 exec_lo, exec_lo, s0
.LBB438_2347:
	s_delay_alu instid0(SALU_CYCLE_1)
	s_or_b32 exec_lo, exec_lo, s2
	v_and_b32_e32 v13, 0x3e3, v88
	s_mov_b32 s2, exec_lo
	s_waitcnt vmcnt(0)
	s_barrier
	buffer_gl0_inv
	v_cmpx_eq_u32_e32 32, v13
	s_cbranch_execz .LBB438_2349
; %bb.2348:
	v_add3_u32 v12, v11, v12, 0xfffffec0
	ds_store_2addr_b32 v12, v0, v10 offset1:8
	ds_store_2addr_b32 v12, v9, v8 offset0:16 offset1:24
	ds_store_2addr_b32 v12, v7, v6 offset0:32 offset1:40
	;; [unrolled: 1-line block ×4, first 2 shown]
.LBB438_2349:
	s_or_b32 exec_lo, exec_lo, s2
	v_cmp_gt_u32_e64 s0, 32, v88
	s_waitcnt lgkmcnt(0)
	s_barrier
	buffer_gl0_inv
	s_and_saveexec_b32 s2, s0
	s_cbranch_execz .LBB438_2362
; %bb.2350:
	v_lshl_add_u32 v1, v1, 2, v11
	s_and_saveexec_b32 s3, vcc_lo
	s_cbranch_execnz .LBB438_2415
; %bb.2351:
	s_or_b32 exec_lo, exec_lo, s3
	s_and_saveexec_b32 s3, vcc_lo
	s_cbranch_execnz .LBB438_2416
.LBB438_2352:
	s_or_b32 exec_lo, exec_lo, s3
	s_and_saveexec_b32 s3, vcc_lo
	s_cbranch_execnz .LBB438_2417
.LBB438_2353:
	s_or_b32 exec_lo, exec_lo, s3
	s_and_saveexec_b32 s3, vcc_lo
	s_cbranch_execnz .LBB438_2418
.LBB438_2354:
	s_or_b32 exec_lo, exec_lo, s3
	s_and_saveexec_b32 s3, vcc_lo
	s_cbranch_execnz .LBB438_2419
.LBB438_2355:
	s_or_b32 exec_lo, exec_lo, s3
	s_and_saveexec_b32 s3, vcc_lo
	s_cbranch_execnz .LBB438_2420
.LBB438_2356:
	s_or_b32 exec_lo, exec_lo, s3
	s_and_saveexec_b32 s3, vcc_lo
	s_cbranch_execnz .LBB438_2421
.LBB438_2357:
	s_or_b32 exec_lo, exec_lo, s3
	s_and_saveexec_b32 s3, vcc_lo
	s_cbranch_execnz .LBB438_2422
.LBB438_2358:
	s_or_b32 exec_lo, exec_lo, s3
	s_and_saveexec_b32 s3, vcc_lo
	s_cbranch_execnz .LBB438_2423
.LBB438_2359:
	s_or_b32 exec_lo, exec_lo, s3
	s_and_saveexec_b32 s3, vcc_lo
	s_cbranch_execz .LBB438_2361
.LBB438_2360:
	ds_load_b32 v1, v1 offset:288
	s_waitcnt lgkmcnt(0)
	v_add_f32_e32 v2, v1, v2
.LBB438_2361:
	s_or_b32 exec_lo, exec_lo, s3
.LBB438_2362:
	s_delay_alu instid0(SALU_CYCLE_1)
	s_or_b32 exec_lo, exec_lo, s2
	s_barrier
	buffer_gl0_inv
	s_and_b32 exec_lo, exec_lo, s0
	s_cbranch_execz .LBB438_2405
; %bb.2363:
	s_and_b32 exec_lo, exec_lo, vcc_lo
	s_cbranch_execz .LBB438_2405
; %bb.2364:
	v_and_b32_e32 v1, 0x7f800000, v0
	s_mov_b32 s0, exec_lo
                                        ; implicit-def: $vgpr11
	s_delay_alu instid0(VALU_DEP_1)
	v_cmpx_ne_u32_e32 0x7f800000, v1
	s_xor_b32 s0, exec_lo, s0
; %bb.2365:
	v_bfe_u32 v1, v0, 16, 1
	s_delay_alu instid0(VALU_DEP_1)
	v_add3_u32 v11, v0, v1, 0x7fff
                                        ; implicit-def: $vgpr0
; %bb.2366:
	s_and_not1_saveexec_b32 s0, s0
; %bb.2367:
	v_and_b32_e32 v1, 0xffff, v0
	v_or_b32_e32 v11, 0x10000, v0
	s_delay_alu instid0(VALU_DEP_2) | instskip(NEXT) | instid1(VALU_DEP_2)
	v_cmp_eq_u32_e32 vcc_lo, 0, v1
	v_cndmask_b32_e32 v11, v11, v0, vcc_lo
; %bb.2368:
	s_or_b32 exec_lo, exec_lo, s0
	s_mul_i32 s2, s1, s4
	s_mul_i32 s0, s6, s1
	;; [unrolled: 1-line block ×5, first 2 shown]
	s_ashr_i32 s1, s0, 31
	s_ashr_i32 s3, s2, 31
	s_ashr_i32 s7, s6, 31
	s_lshl_b64 s[0:1], s[0:1], 1
	s_lshl_b64 s[2:3], s[2:3], 1
	s_lshl_b64 s[6:7], s[6:7], 1
	v_lshrrev_b32_e32 v0, 1, v88
	s_add_u32 s0, s2, s0
	s_addc_u32 s1, s3, s1
	s_add_u32 s0, s0, s6
	s_addc_u32 s1, s1, s7
	v_and_b32_e32 v0, 0x1fe, v0
	v_add_co_u32 v1, vcc_lo, s0, v14
	v_add_co_ci_u32_e32 v12, vcc_lo, s1, v90, vcc_lo
	v_and_b32_e32 v13, 0x7f800000, v10
	s_delay_alu instid0(VALU_DEP_3) | instskip(NEXT) | instid1(VALU_DEP_3)
	v_add_co_u32 v0, vcc_lo, v1, v0
	v_add_co_ci_u32_e32 v1, vcc_lo, 0, v12, vcc_lo
	s_mov_b32 s0, exec_lo
	flat_store_d16_hi_b16 v[0:1], v11
                                        ; implicit-def: $vgpr11
	v_cmpx_ne_u32_e32 0x7f800000, v13
	s_xor_b32 s0, exec_lo, s0
; %bb.2369:
	v_bfe_u32 v11, v10, 16, 1
	s_delay_alu instid0(VALU_DEP_1)
	v_add3_u32 v11, v10, v11, 0x7fff
                                        ; implicit-def: $vgpr10
; %bb.2370:
	s_and_not1_saveexec_b32 s0, s0
; %bb.2371:
	v_and_b32_e32 v11, 0xffff, v10
	v_or_b32_e32 v12, 0x10000, v10
	s_delay_alu instid0(VALU_DEP_2) | instskip(NEXT) | instid1(VALU_DEP_2)
	v_cmp_eq_u32_e32 vcc_lo, 0, v11
	v_cndmask_b32_e32 v11, v12, v10, vcc_lo
; %bb.2372:
	s_or_b32 exec_lo, exec_lo, s0
	v_and_b32_e32 v10, 0x7f800000, v9
	flat_store_d16_hi_b16 v[0:1], v11 offset:16
	v_cmp_ne_u32_e32 vcc_lo, 0x7f800000, v10
                                        ; implicit-def: $vgpr10
	s_and_saveexec_b32 s0, vcc_lo
	s_delay_alu instid0(SALU_CYCLE_1)
	s_xor_b32 s0, exec_lo, s0
; %bb.2373:
	v_bfe_u32 v10, v9, 16, 1
	s_delay_alu instid0(VALU_DEP_1)
	v_add3_u32 v10, v9, v10, 0x7fff
                                        ; implicit-def: $vgpr9
; %bb.2374:
	s_and_not1_saveexec_b32 s0, s0
; %bb.2375:
	v_and_b32_e32 v10, 0xffff, v9
	v_or_b32_e32 v11, 0x10000, v9
	s_delay_alu instid0(VALU_DEP_2) | instskip(NEXT) | instid1(VALU_DEP_2)
	v_cmp_eq_u32_e32 vcc_lo, 0, v10
	v_cndmask_b32_e32 v10, v11, v9, vcc_lo
; %bb.2376:
	s_or_b32 exec_lo, exec_lo, s0
	v_and_b32_e32 v9, 0x7f800000, v8
	flat_store_d16_hi_b16 v[0:1], v10 offset:32
	v_cmp_ne_u32_e32 vcc_lo, 0x7f800000, v9
                                        ; implicit-def: $vgpr9
	s_and_saveexec_b32 s0, vcc_lo
	s_delay_alu instid0(SALU_CYCLE_1)
	s_xor_b32 s0, exec_lo, s0
; %bb.2377:
	v_bfe_u32 v9, v8, 16, 1
	s_delay_alu instid0(VALU_DEP_1)
	v_add3_u32 v9, v8, v9, 0x7fff
                                        ; implicit-def: $vgpr8
; %bb.2378:
	s_and_not1_saveexec_b32 s0, s0
; %bb.2379:
	v_and_b32_e32 v9, 0xffff, v8
	v_or_b32_e32 v10, 0x10000, v8
	s_delay_alu instid0(VALU_DEP_2) | instskip(NEXT) | instid1(VALU_DEP_2)
	v_cmp_eq_u32_e32 vcc_lo, 0, v9
	v_cndmask_b32_e32 v9, v10, v8, vcc_lo
; %bb.2380:
	s_or_b32 exec_lo, exec_lo, s0
	v_and_b32_e32 v8, 0x7f800000, v7
	flat_store_d16_hi_b16 v[0:1], v9 offset:48
	v_cmp_ne_u32_e32 vcc_lo, 0x7f800000, v8
                                        ; implicit-def: $vgpr8
	s_and_saveexec_b32 s0, vcc_lo
	s_delay_alu instid0(SALU_CYCLE_1)
	s_xor_b32 s0, exec_lo, s0
; %bb.2381:
	v_bfe_u32 v8, v7, 16, 1
	s_delay_alu instid0(VALU_DEP_1)
	v_add3_u32 v8, v7, v8, 0x7fff
                                        ; implicit-def: $vgpr7
; %bb.2382:
	s_and_not1_saveexec_b32 s0, s0
; %bb.2383:
	v_and_b32_e32 v8, 0xffff, v7
	v_or_b32_e32 v9, 0x10000, v7
	s_delay_alu instid0(VALU_DEP_2) | instskip(NEXT) | instid1(VALU_DEP_2)
	v_cmp_eq_u32_e32 vcc_lo, 0, v8
	v_cndmask_b32_e32 v8, v9, v7, vcc_lo
; %bb.2384:
	s_or_b32 exec_lo, exec_lo, s0
	v_and_b32_e32 v7, 0x7f800000, v6
	flat_store_d16_hi_b16 v[0:1], v8 offset:64
	v_cmp_ne_u32_e32 vcc_lo, 0x7f800000, v7
                                        ; implicit-def: $vgpr7
	s_and_saveexec_b32 s0, vcc_lo
	s_delay_alu instid0(SALU_CYCLE_1)
	s_xor_b32 s0, exec_lo, s0
; %bb.2385:
	v_bfe_u32 v7, v6, 16, 1
	s_delay_alu instid0(VALU_DEP_1)
	v_add3_u32 v7, v6, v7, 0x7fff
                                        ; implicit-def: $vgpr6
; %bb.2386:
	s_and_not1_saveexec_b32 s0, s0
; %bb.2387:
	v_and_b32_e32 v7, 0xffff, v6
	v_or_b32_e32 v8, 0x10000, v6
	s_delay_alu instid0(VALU_DEP_2) | instskip(NEXT) | instid1(VALU_DEP_2)
	v_cmp_eq_u32_e32 vcc_lo, 0, v7
	v_cndmask_b32_e32 v7, v8, v6, vcc_lo
; %bb.2388:
	s_or_b32 exec_lo, exec_lo, s0
	v_and_b32_e32 v6, 0x7f800000, v5
	flat_store_d16_hi_b16 v[0:1], v7 offset:80
	v_cmp_ne_u32_e32 vcc_lo, 0x7f800000, v6
                                        ; implicit-def: $vgpr6
	s_and_saveexec_b32 s0, vcc_lo
	s_delay_alu instid0(SALU_CYCLE_1)
	s_xor_b32 s0, exec_lo, s0
; %bb.2389:
	v_bfe_u32 v6, v5, 16, 1
	s_delay_alu instid0(VALU_DEP_1)
	v_add3_u32 v6, v5, v6, 0x7fff
                                        ; implicit-def: $vgpr5
; %bb.2390:
	s_and_not1_saveexec_b32 s0, s0
; %bb.2391:
	v_and_b32_e32 v6, 0xffff, v5
	v_or_b32_e32 v7, 0x10000, v5
	s_delay_alu instid0(VALU_DEP_2) | instskip(NEXT) | instid1(VALU_DEP_2)
	v_cmp_eq_u32_e32 vcc_lo, 0, v6
	v_cndmask_b32_e32 v6, v7, v5, vcc_lo
; %bb.2392:
	s_or_b32 exec_lo, exec_lo, s0
	v_and_b32_e32 v5, 0x7f800000, v4
	flat_store_d16_hi_b16 v[0:1], v6 offset:96
	v_cmp_ne_u32_e32 vcc_lo, 0x7f800000, v5
                                        ; implicit-def: $vgpr5
	s_and_saveexec_b32 s0, vcc_lo
	s_delay_alu instid0(SALU_CYCLE_1)
	s_xor_b32 s0, exec_lo, s0
; %bb.2393:
	v_bfe_u32 v5, v4, 16, 1
	s_delay_alu instid0(VALU_DEP_1)
	v_add3_u32 v5, v4, v5, 0x7fff
                                        ; implicit-def: $vgpr4
; %bb.2394:
	s_and_not1_saveexec_b32 s0, s0
; %bb.2395:
	v_and_b32_e32 v5, 0xffff, v4
	v_or_b32_e32 v6, 0x10000, v4
	s_delay_alu instid0(VALU_DEP_2) | instskip(NEXT) | instid1(VALU_DEP_2)
	v_cmp_eq_u32_e32 vcc_lo, 0, v5
	v_cndmask_b32_e32 v5, v6, v4, vcc_lo
; %bb.2396:
	s_or_b32 exec_lo, exec_lo, s0
	v_and_b32_e32 v4, 0x7f800000, v3
	flat_store_d16_hi_b16 v[0:1], v5 offset:112
	v_cmp_ne_u32_e32 vcc_lo, 0x7f800000, v4
                                        ; implicit-def: $vgpr4
	s_and_saveexec_b32 s0, vcc_lo
	s_delay_alu instid0(SALU_CYCLE_1)
	s_xor_b32 s0, exec_lo, s0
; %bb.2397:
	v_bfe_u32 v4, v3, 16, 1
	s_delay_alu instid0(VALU_DEP_1)
	v_add3_u32 v4, v3, v4, 0x7fff
                                        ; implicit-def: $vgpr3
; %bb.2398:
	s_and_not1_saveexec_b32 s0, s0
; %bb.2399:
	v_and_b32_e32 v4, 0xffff, v3
	v_or_b32_e32 v5, 0x10000, v3
	s_delay_alu instid0(VALU_DEP_2) | instskip(NEXT) | instid1(VALU_DEP_2)
	v_cmp_eq_u32_e32 vcc_lo, 0, v4
	v_cndmask_b32_e32 v4, v5, v3, vcc_lo
; %bb.2400:
	s_or_b32 exec_lo, exec_lo, s0
	v_and_b32_e32 v3, 0x7f800000, v2
	flat_store_d16_hi_b16 v[0:1], v4 offset:128
	v_cmp_ne_u32_e32 vcc_lo, 0x7f800000, v3
                                        ; implicit-def: $vgpr3
	s_and_saveexec_b32 s0, vcc_lo
	s_delay_alu instid0(SALU_CYCLE_1)
	s_xor_b32 s0, exec_lo, s0
; %bb.2401:
	v_bfe_u32 v3, v2, 16, 1
	s_delay_alu instid0(VALU_DEP_1)
	v_add3_u32 v3, v2, v3, 0x7fff
                                        ; implicit-def: $vgpr2
; %bb.2402:
	s_and_not1_saveexec_b32 s0, s0
; %bb.2403:
	v_and_b32_e32 v3, 0xffff, v2
	v_or_b32_e32 v4, 0x10000, v2
	s_delay_alu instid0(VALU_DEP_2) | instskip(NEXT) | instid1(VALU_DEP_2)
	v_cmp_eq_u32_e32 vcc_lo, 0, v3
	v_cndmask_b32_e32 v3, v4, v2, vcc_lo
; %bb.2404:
	s_or_b32 exec_lo, exec_lo, s0
	flat_store_d16_hi_b16 v[0:1], v3 offset:144
.LBB438_2405:
	s_or_b32 exec_lo, exec_lo, s5
	s_clause 0x1f
	scratch_load_b32 v191, off, s32 offset:8
	scratch_load_b32 v190, off, s32 offset:12
	;; [unrolled: 1-line block ×32, first 2 shown]
	s_clause 0x1f
	scratch_load_b32 v127, off, s32 offset:136
	scratch_load_b32 v126, off, s32 offset:140
	;; [unrolled: 1-line block ×32, first 2 shown]
	s_clause 0xf
	scratch_load_b32 v63, off, s32 offset:264
	scratch_load_b32 v62, off, s32 offset:268
	;; [unrolled: 1-line block ×16, first 2 shown]
	s_waitcnt vmcnt(0) lgkmcnt(0)
	s_setpc_b64 s[30:31]
.LBB438_2406:
	v_lshl_add_u32 v13, v1, 2, v11
	ds_load_b32 v13, v13
	s_waitcnt lgkmcnt(0)
	v_add_f32_e32 v0, v13, v0
	s_or_b32 exec_lo, exec_lo, s0
	s_and_saveexec_b32 s0, vcc_lo
	s_cbranch_execz .LBB438_2337
.LBB438_2407:
	v_lshl_add_u32 v13, v1, 2, v11
	ds_load_b32 v13, v13 offset:32
	s_waitcnt lgkmcnt(0)
	v_add_f32_e32 v10, v13, v10
	s_or_b32 exec_lo, exec_lo, s0
	s_and_saveexec_b32 s0, vcc_lo
	s_cbranch_execz .LBB438_2338
.LBB438_2408:
	v_lshl_add_u32 v13, v1, 2, v11
	ds_load_b32 v13, v13 offset:64
	s_waitcnt lgkmcnt(0)
	v_add_f32_e32 v9, v13, v9
	s_or_b32 exec_lo, exec_lo, s0
	s_and_saveexec_b32 s0, vcc_lo
	s_cbranch_execz .LBB438_2339
.LBB438_2409:
	v_lshl_add_u32 v13, v1, 2, v11
	ds_load_b32 v13, v13 offset:96
	s_waitcnt lgkmcnt(0)
	v_add_f32_e32 v8, v13, v8
	s_or_b32 exec_lo, exec_lo, s0
	s_and_saveexec_b32 s0, vcc_lo
	s_cbranch_execz .LBB438_2340
.LBB438_2410:
	v_lshl_add_u32 v13, v1, 2, v11
	ds_load_b32 v13, v13 offset:128
	s_waitcnt lgkmcnt(0)
	v_add_f32_e32 v7, v13, v7
	s_or_b32 exec_lo, exec_lo, s0
	s_and_saveexec_b32 s0, vcc_lo
	s_cbranch_execz .LBB438_2341
.LBB438_2411:
	v_lshl_add_u32 v13, v1, 2, v11
	ds_load_b32 v13, v13 offset:160
	s_waitcnt lgkmcnt(0)
	v_add_f32_e32 v6, v13, v6
	s_or_b32 exec_lo, exec_lo, s0
	s_and_saveexec_b32 s0, vcc_lo
	s_cbranch_execz .LBB438_2342
.LBB438_2412:
	v_lshl_add_u32 v13, v1, 2, v11
	ds_load_b32 v13, v13 offset:192
	s_waitcnt lgkmcnt(0)
	v_add_f32_e32 v5, v13, v5
	s_or_b32 exec_lo, exec_lo, s0
	s_and_saveexec_b32 s0, vcc_lo
	s_cbranch_execz .LBB438_2343
.LBB438_2413:
	v_lshl_add_u32 v13, v1, 2, v11
	ds_load_b32 v13, v13 offset:224
	s_waitcnt lgkmcnt(0)
	v_add_f32_e32 v4, v13, v4
	s_or_b32 exec_lo, exec_lo, s0
	s_and_saveexec_b32 s0, vcc_lo
	s_cbranch_execz .LBB438_2344
.LBB438_2414:
	v_lshl_add_u32 v13, v1, 2, v11
	ds_load_b32 v13, v13 offset:256
	s_waitcnt lgkmcnt(0)
	v_add_f32_e32 v3, v13, v3
	s_or_b32 exec_lo, exec_lo, s0
	s_and_saveexec_b32 s0, vcc_lo
	s_cbranch_execnz .LBB438_2345
	s_branch .LBB438_2346
.LBB438_2415:
	ds_load_b32 v11, v1
	s_waitcnt lgkmcnt(0)
	v_add_f32_e32 v0, v11, v0
	s_or_b32 exec_lo, exec_lo, s3
	s_and_saveexec_b32 s3, vcc_lo
	s_cbranch_execz .LBB438_2352
.LBB438_2416:
	ds_load_b32 v11, v1 offset:32
	s_waitcnt lgkmcnt(0)
	v_add_f32_e32 v10, v11, v10
	s_or_b32 exec_lo, exec_lo, s3
	s_and_saveexec_b32 s3, vcc_lo
	s_cbranch_execz .LBB438_2353
.LBB438_2417:
	ds_load_b32 v11, v1 offset:64
	s_waitcnt lgkmcnt(0)
	v_add_f32_e32 v9, v11, v9
	s_or_b32 exec_lo, exec_lo, s3
	s_and_saveexec_b32 s3, vcc_lo
	s_cbranch_execz .LBB438_2354
.LBB438_2418:
	ds_load_b32 v11, v1 offset:96
	s_waitcnt lgkmcnt(0)
	v_add_f32_e32 v8, v11, v8
	s_or_b32 exec_lo, exec_lo, s3
	s_and_saveexec_b32 s3, vcc_lo
	s_cbranch_execz .LBB438_2355
.LBB438_2419:
	ds_load_b32 v11, v1 offset:128
	s_waitcnt lgkmcnt(0)
	v_add_f32_e32 v7, v11, v7
	s_or_b32 exec_lo, exec_lo, s3
	s_and_saveexec_b32 s3, vcc_lo
	s_cbranch_execz .LBB438_2356
.LBB438_2420:
	ds_load_b32 v11, v1 offset:160
	s_waitcnt lgkmcnt(0)
	v_add_f32_e32 v6, v11, v6
	s_or_b32 exec_lo, exec_lo, s3
	s_and_saveexec_b32 s3, vcc_lo
	s_cbranch_execz .LBB438_2357
.LBB438_2421:
	ds_load_b32 v11, v1 offset:192
	s_waitcnt lgkmcnt(0)
	v_add_f32_e32 v5, v11, v5
	s_or_b32 exec_lo, exec_lo, s3
	s_and_saveexec_b32 s3, vcc_lo
	s_cbranch_execz .LBB438_2358
.LBB438_2422:
	ds_load_b32 v11, v1 offset:224
	s_waitcnt lgkmcnt(0)
	v_add_f32_e32 v4, v11, v4
	s_or_b32 exec_lo, exec_lo, s3
	s_and_saveexec_b32 s3, vcc_lo
	s_cbranch_execz .LBB438_2359
.LBB438_2423:
	ds_load_b32 v11, v1 offset:256
	s_waitcnt lgkmcnt(0)
	v_add_f32_e32 v3, v11, v3
	s_or_b32 exec_lo, exec_lo, s3
	s_and_saveexec_b32 s3, vcc_lo
	s_cbranch_execnz .LBB438_2360
	s_branch .LBB438_2361
.Lfunc_end438:
	.size	_ZN4vllm22paged_attention_kernelI14__hip_bfloat16hLi80ELi32ELi128ELNS_18Fp8KVCacheDataTypeE1ELb1ELi512EEEvPfS3_PT_PKS4_PKT0_SA_ifPKiSC_iPKfiiiSE_SE_iiiii, .Lfunc_end438-_ZN4vllm22paged_attention_kernelI14__hip_bfloat16hLi80ELi32ELi128ELNS_18Fp8KVCacheDataTypeE1ELb1ELi512EEEvPfS3_PT_PKS4_PKT0_SA_ifPKiSC_iPKfiiiSE_SE_iiiii
                                        ; -- End function
	.section	.AMDGPU.csdata,"",@progbits
; Function info:
; codeLenInByte = 74364
; NumSgprs: 35
; NumVgprs: 192
; ScratchSize: 432
; MemoryBound: 0
	.section	.text._ZN4vllm25paged_attention_v2_kernelI14__hip_bfloat16hLi80ELi32ELi128ELNS_18Fp8KVCacheDataTypeE1ELb1ELi512EEEvPfS3_PT_PKS4_PKT0_SA_ifPKiSC_iPKfiiiSE_SE_iiiii,"axG",@progbits,_ZN4vllm25paged_attention_v2_kernelI14__hip_bfloat16hLi80ELi32ELi128ELNS_18Fp8KVCacheDataTypeE1ELb1ELi512EEEvPfS3_PT_PKS4_PKT0_SA_ifPKiSC_iPKfiiiSE_SE_iiiii,comdat
	.protected	_ZN4vllm25paged_attention_v2_kernelI14__hip_bfloat16hLi80ELi32ELi128ELNS_18Fp8KVCacheDataTypeE1ELb1ELi512EEEvPfS3_PT_PKS4_PKT0_SA_ifPKiSC_iPKfiiiSE_SE_iiiii ; -- Begin function _ZN4vllm25paged_attention_v2_kernelI14__hip_bfloat16hLi80ELi32ELi128ELNS_18Fp8KVCacheDataTypeE1ELb1ELi512EEEvPfS3_PT_PKS4_PKT0_SA_ifPKiSC_iPKfiiiSE_SE_iiiii
	.globl	_ZN4vllm25paged_attention_v2_kernelI14__hip_bfloat16hLi80ELi32ELi128ELNS_18Fp8KVCacheDataTypeE1ELb1ELi512EEEvPfS3_PT_PKS4_PKT0_SA_ifPKiSC_iPKfiiiSE_SE_iiiii
	.p2align	8
	.type	_ZN4vllm25paged_attention_v2_kernelI14__hip_bfloat16hLi80ELi32ELi128ELNS_18Fp8KVCacheDataTypeE1ELb1ELi512EEEvPfS3_PT_PKS4_PKT0_SA_ifPKiSC_iPKfiiiSE_SE_iiiii,@function
_ZN4vllm25paged_attention_v2_kernelI14__hip_bfloat16hLi80ELi32ELi128ELNS_18Fp8KVCacheDataTypeE1ELb1ELi512EEEvPfS3_PT_PKS4_PKT0_SA_ifPKiSC_iPKfiiiSE_SE_iiiii: ; @_ZN4vllm25paged_attention_v2_kernelI14__hip_bfloat16hLi80ELi32ELi128ELNS_18Fp8KVCacheDataTypeE1ELb1ELi512EEEvPfS3_PT_PKS4_PKT0_SA_ifPKiSC_iPKfiiiSE_SE_iiiii
; %bb.0:
	s_mov_b32 s12, s13
	s_clause 0x7
	s_load_b128 s[4:7], s[0:1], 0x78
	s_load_b32 s8, s[0:1], 0x88
	s_load_b256 s[24:31], s[0:1], 0x0
	s_load_b256 s[36:43], s[0:1], 0x20
	s_load_b64 s[2:3], s[0:1], 0x40
	s_load_b64 s[10:11], s[0:1], 0x50
	s_load_b32 s13, s[0:1], 0x48
	s_load_b256 s[16:23], s[0:1], 0x58
	s_mov_b32 s32, 0
	v_mov_b32_e32 v31, v0
	s_waitcnt lgkmcnt(0)
	v_dual_mov_b32 v1, s7 :: v_dual_mov_b32 v2, s8
	v_dual_mov_b32 v0, s24 :: v_dual_mov_b32 v3, s27
	;; [unrolled: 1-line block ×3, first 2 shown]
	v_mov_b32_e32 v6, s30
	scratch_store_b64 off, v[1:2], s32
	v_dual_mov_b32 v1, s25 :: v_dual_mov_b32 v2, s26
	v_dual_mov_b32 v7, s31 :: v_dual_mov_b32 v8, s36
	;; [unrolled: 1-line block ×13, first 2 shown]
	s_add_u32 s8, s0, 0x90
	s_addc_u32 s9, s1, 0
	s_mov_b32 s13, s14
	s_mov_b32 s14, s15
	;; [unrolled: 1-line block ×3, first 2 shown]
	s_getpc_b64 s[0:1]
	s_add_u32 s0, s0, _ZN4vllm22paged_attention_kernelI14__hip_bfloat16hLi80ELi32ELi128ELNS_18Fp8KVCacheDataTypeE1ELb1ELi512EEEvPfS3_PT_PKS4_PKT0_SA_ifPKiSC_iPKfiiiSE_SE_iiiii@rel32@lo+4
	s_addc_u32 s1, s1, _ZN4vllm22paged_attention_kernelI14__hip_bfloat16hLi80ELi32ELi128ELNS_18Fp8KVCacheDataTypeE1ELb1ELi512EEEvPfS3_PT_PKS4_PKT0_SA_ifPKiSC_iPKfiiiSE_SE_iiiii@rel32@hi+12
	s_delay_alu instid0(SALU_CYCLE_1)
	s_swappc_b64 s[30:31], s[0:1]
	s_endpgm
	.section	.rodata,"a",@progbits
	.p2align	6, 0x0
	.amdhsa_kernel _ZN4vllm25paged_attention_v2_kernelI14__hip_bfloat16hLi80ELi32ELi128ELNS_18Fp8KVCacheDataTypeE1ELb1ELi512EEEvPfS3_PT_PKS4_PKT0_SA_ifPKiSC_iPKfiiiSE_SE_iiiii
		.amdhsa_group_segment_fixed_size 192
		.amdhsa_private_segment_fixed_size 432
		.amdhsa_kernarg_size 400
		.amdhsa_user_sgpr_count 13
		.amdhsa_user_sgpr_dispatch_ptr 0
		.amdhsa_user_sgpr_queue_ptr 0
		.amdhsa_user_sgpr_kernarg_segment_ptr 1
		.amdhsa_user_sgpr_dispatch_id 0
		.amdhsa_user_sgpr_private_segment_size 0
		.amdhsa_wavefront_size32 1
		.amdhsa_uses_dynamic_stack 0
		.amdhsa_enable_private_segment 1
		.amdhsa_system_sgpr_workgroup_id_x 1
		.amdhsa_system_sgpr_workgroup_id_y 1
		.amdhsa_system_sgpr_workgroup_id_z 1
		.amdhsa_system_sgpr_workgroup_info 0
		.amdhsa_system_vgpr_workitem_id 0
		.amdhsa_next_free_vgpr 192
		.amdhsa_next_free_sgpr 44
		.amdhsa_reserve_vcc 1
		.amdhsa_float_round_mode_32 0
		.amdhsa_float_round_mode_16_64 0
		.amdhsa_float_denorm_mode_32 3
		.amdhsa_float_denorm_mode_16_64 3
		.amdhsa_dx10_clamp 1
		.amdhsa_ieee_mode 1
		.amdhsa_fp16_overflow 0
		.amdhsa_workgroup_processor_mode 1
		.amdhsa_memory_ordered 1
		.amdhsa_forward_progress 0
		.amdhsa_shared_vgpr_count 0
		.amdhsa_exception_fp_ieee_invalid_op 0
		.amdhsa_exception_fp_denorm_src 0
		.amdhsa_exception_fp_ieee_div_zero 0
		.amdhsa_exception_fp_ieee_overflow 0
		.amdhsa_exception_fp_ieee_underflow 0
		.amdhsa_exception_fp_ieee_inexact 0
		.amdhsa_exception_int_div_zero 0
	.end_amdhsa_kernel
	.section	.text._ZN4vllm25paged_attention_v2_kernelI14__hip_bfloat16hLi80ELi32ELi128ELNS_18Fp8KVCacheDataTypeE1ELb1ELi512EEEvPfS3_PT_PKS4_PKT0_SA_ifPKiSC_iPKfiiiSE_SE_iiiii,"axG",@progbits,_ZN4vllm25paged_attention_v2_kernelI14__hip_bfloat16hLi80ELi32ELi128ELNS_18Fp8KVCacheDataTypeE1ELb1ELi512EEEvPfS3_PT_PKS4_PKT0_SA_ifPKiSC_iPKfiiiSE_SE_iiiii,comdat
.Lfunc_end439:
	.size	_ZN4vllm25paged_attention_v2_kernelI14__hip_bfloat16hLi80ELi32ELi128ELNS_18Fp8KVCacheDataTypeE1ELb1ELi512EEEvPfS3_PT_PKS4_PKT0_SA_ifPKiSC_iPKfiiiSE_SE_iiiii, .Lfunc_end439-_ZN4vllm25paged_attention_v2_kernelI14__hip_bfloat16hLi80ELi32ELi128ELNS_18Fp8KVCacheDataTypeE1ELb1ELi512EEEvPfS3_PT_PKS4_PKT0_SA_ifPKiSC_iPKfiiiSE_SE_iiiii
                                        ; -- End function
	.section	.AMDGPU.csdata,"",@progbits
; Kernel info:
; codeLenInByte = 280
; NumSgprs: 46
; NumVgprs: 192
; ScratchSize: 432
; MemoryBound: 0
; FloatMode: 240
; IeeeMode: 1
; LDSByteSize: 192 bytes/workgroup (compile time only)
; SGPRBlocks: 5
; VGPRBlocks: 23
; NumSGPRsForWavesPerEU: 46
; NumVGPRsForWavesPerEU: 192
; Occupancy: 8
; WaveLimiterHint : 1
; COMPUTE_PGM_RSRC2:SCRATCH_EN: 1
; COMPUTE_PGM_RSRC2:USER_SGPR: 13
; COMPUTE_PGM_RSRC2:TRAP_HANDLER: 0
; COMPUTE_PGM_RSRC2:TGID_X_EN: 1
; COMPUTE_PGM_RSRC2:TGID_Y_EN: 1
; COMPUTE_PGM_RSRC2:TGID_Z_EN: 1
; COMPUTE_PGM_RSRC2:TIDIG_COMP_CNT: 0
	.text
	.p2align	2                               ; -- Begin function _ZN4vllm22paged_attention_kernelI14__hip_bfloat16hLi96ELi32ELi128ELNS_18Fp8KVCacheDataTypeE1ELb1ELi512EEEvPfS3_PT_PKS4_PKT0_SA_ifPKiSC_iPKfiiiSE_SE_iiiii
	.type	_ZN4vllm22paged_attention_kernelI14__hip_bfloat16hLi96ELi32ELi128ELNS_18Fp8KVCacheDataTypeE1ELb1ELi512EEEvPfS3_PT_PKS4_PKT0_SA_ifPKiSC_iPKfiiiSE_SE_iiiii,@function
_ZN4vllm22paged_attention_kernelI14__hip_bfloat16hLi96ELi32ELi128ELNS_18Fp8KVCacheDataTypeE1ELb1ELi512EEEvPfS3_PT_PKS4_PKT0_SA_ifPKiSC_iPKfiiiSE_SE_iiiii: ; @_ZN4vllm22paged_attention_kernelI14__hip_bfloat16hLi96ELi32ELi128ELNS_18Fp8KVCacheDataTypeE1ELb1ELi512EEEvPfS3_PT_PKS4_PKT0_SA_ifPKiSC_iPKfiiiSE_SE_iiiii
; %bb.0:
	s_waitcnt vmcnt(0) expcnt(0) lgkmcnt(0)
	s_clause 0x1f
	scratch_store_b32 off, v40, s32 offset:324
	; meta instruction
	scratch_store_b32 off, v41, s32 offset:320
	; meta instruction
	;; [unrolled: 2-line block ×31, first 2 shown]
	scratch_store_b32 off, v95, s32 offset:200
	s_clause 0x1f
	scratch_store_b32 off, v104, s32 offset:196
	; meta instruction
	scratch_store_b32 off, v105, s32 offset:192
	; meta instruction
	;; [unrolled: 2-line block ×31, first 2 shown]
	scratch_store_b32 off, v159, s32 offset:72
	s_clause 0xf
	scratch_store_b32 off, v168, s32 offset:68
	; meta instruction
	scratch_store_b32 off, v169, s32 offset:64
	; meta instruction
	;; [unrolled: 2-line block ×15, first 2 shown]
	scratch_store_b32 off, v191, s32 offset:8
	s_mov_b32 s4, s13
	s_ashr_i32 s5, s13, 31
	v_mov_b32_e32 v33, v0
	s_lshl_b64 s[0:1], s[4:5], 2
	v_dual_mov_b32 v35, v2 :: v_dual_mov_b32 v32, v1
	v_add_co_u32 v0, vcc_lo, v16, s0
	v_add_co_ci_u32_e32 v1, vcc_lo, s1, v17, vcc_lo
	v_dual_mov_b32 v123, v5 :: v_dual_mov_b32 v34, v3
	flat_load_b32 v38, v[0:1]
	s_clause 0x1
	scratch_load_b32 v0, off, s32 offset:4
	scratch_load_b32 v1, off, s32
	s_lshl_b32 s3, s14, 9
	s_mov_b32 s5, exec_lo
	s_waitcnt vmcnt(2) lgkmcnt(0)
	v_cmpx_lt_i32_e64 s3, v38
	s_cbranch_execz .LBB440_2869
; %bb.1:
	v_sub_nc_u32_e32 v2, 0, v12
	s_clause 0x1
	s_load_b32 s0, s[8:9], 0x10
	s_load_b32 s1, s[8:9], 0x0
	scratch_store_b32 off, v4, s32 offset:480 ; 4-byte Folded Spill
	s_mov_b32 s10, s15
	v_max_i32_e32 v2, v12, v2
	v_mov_b32_e32 v53, 0
	s_delay_alu instid0(VALU_DEP_2) | instskip(SKIP_1) | instid1(VALU_DEP_2)
	v_cvt_f32_u32_e32 v3, v2
	v_sub_nc_u32_e32 v4, 0, v2
	v_rcp_iflag_f32_e32 v3, v3
	s_waitcnt lgkmcnt(0)
	s_lshr_b32 s0, s0, 16
	s_delay_alu instid0(SALU_CYCLE_1) | instskip(SKIP_3) | instid1(SALU_CYCLE_1)
	s_cmp_lg_u32 s0, 0
	s_waitcnt_depctr 0xfff
	v_mul_f32_e32 v3, 0x4f7ffffe, v3
	s_cselect_b32 s0, -1, 0
	s_cmp_lg_u32 s0, 0
	s_delay_alu instid0(VALU_DEP_1) | instskip(SKIP_3) | instid1(VALU_DEP_1)
	v_cvt_u32_f32_e32 v3, v3
	s_addc_u32 s18, s1, 0
	s_mov_b32 s1, exec_lo
	s_abs_i32 s0, s18
	v_mul_lo_u32 v4, v4, v3
	s_delay_alu instid0(VALU_DEP_1) | instskip(NEXT) | instid1(VALU_DEP_1)
	v_mul_hi_u32 v4, v3, v4
	v_add_nc_u32_e32 v3, v3, v4
	s_delay_alu instid0(VALU_DEP_1) | instskip(NEXT) | instid1(VALU_DEP_1)
	v_mul_hi_u32 v3, s0, v3
	v_mul_lo_u32 v4, v3, v2
	v_add_nc_u32_e32 v5, 1, v3
	s_delay_alu instid0(VALU_DEP_2) | instskip(SKIP_1) | instid1(VALU_DEP_1)
	v_sub_nc_u32_e32 v4, s0, v4
	s_abs_i32 s0, s12
	v_sub_nc_u32_e32 v16, v4, v2
	v_cmp_ge_u32_e32 vcc_lo, v4, v2
	s_delay_alu instid0(VALU_DEP_2) | instskip(SKIP_1) | instid1(VALU_DEP_2)
	v_dual_cndmask_b32 v3, v3, v5 :: v_dual_cndmask_b32 v4, v4, v16
	v_xor_b32_e32 v5, s18, v12
	v_add_nc_u32_e32 v16, 1, v3
	s_delay_alu instid0(VALU_DEP_3) | instskip(NEXT) | instid1(VALU_DEP_3)
	v_cmp_ge_u32_e32 vcc_lo, v4, v2
	v_ashrrev_i32_e32 v5, 31, v5
	s_delay_alu instid0(VALU_DEP_3) | instskip(NEXT) | instid1(VALU_DEP_1)
	v_cndmask_b32_e32 v2, v3, v16, vcc_lo
	v_xor_b32_e32 v2, v2, v5
	s_delay_alu instid0(VALU_DEP_1) | instskip(NEXT) | instid1(VALU_DEP_1)
	v_sub_nc_u32_e32 v3, v2, v5
	v_sub_nc_u32_e32 v2, 0, v3
	s_delay_alu instid0(VALU_DEP_1) | instskip(NEXT) | instid1(VALU_DEP_1)
	v_max_i32_e32 v2, v3, v2
	v_cvt_f32_u32_e32 v4, v2
	v_sub_nc_u32_e32 v5, 0, v2
	s_delay_alu instid0(VALU_DEP_2) | instskip(SKIP_2) | instid1(VALU_DEP_1)
	v_rcp_iflag_f32_e32 v4, v4
	s_waitcnt_depctr 0xfff
	v_mul_f32_e32 v4, 0x4f7ffffe, v4
	v_cvt_u32_f32_e32 v4, v4
	s_delay_alu instid0(VALU_DEP_1) | instskip(NEXT) | instid1(VALU_DEP_1)
	v_mul_lo_u32 v5, v5, v4
	v_mul_hi_u32 v5, v4, v5
	s_delay_alu instid0(VALU_DEP_1) | instskip(NEXT) | instid1(VALU_DEP_1)
	v_add_nc_u32_e32 v4, v4, v5
	v_mad_u64_u32 v[16:17], null, s0, v4, 0
	v_cmpx_ne_u64_e32 0, v[19:20]
	s_cbranch_execz .LBB440_3
; %bb.2:
	s_ashr_i32 s13, s12, 31
	s_delay_alu instid0(SALU_CYCLE_1) | instskip(NEXT) | instid1(SALU_CYCLE_1)
	s_lshl_b64 s[6:7], s[12:13], 2
	v_add_co_u32 v4, vcc_lo, v19, s6
	v_add_co_ci_u32_e32 v5, vcc_lo, s7, v20, vcc_lo
	flat_load_b32 v53, v[4:5]
.LBB440_3:
	s_or_b32 exec_lo, exec_lo, s1
	v_and_b32_e32 v31, 0x3ff, v31
	v_ashrrev_i32_e32 v3, 31, v3
	s_ashr_i32 s1, s12, 31
	s_mul_i32 s6, s12, 0x60
	s_mov_b32 s2, exec_lo
	v_cmpx_gt_u32_e32 12, v31
	s_cbranch_execz .LBB440_5
; %bb.4:
	v_mul_lo_u32 v4, s4, v21
	s_ashr_i32 s7, s6, 31
	v_lshlrev_b32_e32 v16, 4, v31
	s_lshl_b64 s[16:17], s[6:7], 1
	s_delay_alu instid0(VALU_DEP_2) | instskip(NEXT) | instid1(VALU_DEP_1)
	v_ashrrev_i32_e32 v5, 31, v4
	v_lshlrev_b64 v[4:5], 1, v[4:5]
	s_delay_alu instid0(VALU_DEP_1) | instskip(NEXT) | instid1(VALU_DEP_2)
	v_add_co_u32 v4, vcc_lo, v6, v4
	v_add_co_ci_u32_e32 v5, vcc_lo, v7, v5, vcc_lo
	s_delay_alu instid0(VALU_DEP_2) | instskip(NEXT) | instid1(VALU_DEP_2)
	v_add_co_u32 v4, vcc_lo, v4, s16
	v_add_co_ci_u32_e32 v5, vcc_lo, s17, v5, vcc_lo
	s_delay_alu instid0(VALU_DEP_2) | instskip(NEXT) | instid1(VALU_DEP_2)
	v_add_co_u32 v4, vcc_lo, v4, v16
	v_add_co_ci_u32_e32 v5, vcc_lo, 0, v5, vcc_lo
	flat_load_b128 v[4:7], v[4:5]
	s_waitcnt vmcnt(0) lgkmcnt(0)
	ds_store_b128 v16, v[4:7]
.LBB440_5:
	s_or_b32 exec_lo, exec_lo, s2
	s_waitcnt vmcnt(0)
	v_sub_nc_u32_e32 v4, 0, v1
	v_mul_lo_u32 v5, v17, v2
	v_xor_b32_e32 v3, s1, v3
	s_waitcnt lgkmcnt(0)
	s_waitcnt_vscnt null, 0x0
	s_barrier
	v_max_i32_e32 v48, v1, v4
	buffer_gl0_inv
	v_add_nc_u32_e32 v7, 1, v17
	v_sub_nc_u32_e32 v5, s0, v5
	v_cvt_f32_u32_e32 v4, v48
	s_mov_b32 s0, exec_lo
	s_delay_alu instid0(VALU_DEP_2) | instskip(NEXT) | instid1(VALU_DEP_2)
	v_sub_nc_u32_e32 v19, v5, v2
	v_rcp_iflag_f32_e32 v4, v4
	v_cmp_ge_u32_e32 vcc_lo, v5, v2
	s_delay_alu instid0(VALU_DEP_2) | instskip(SKIP_3) | instid1(VALU_DEP_2)
	v_cndmask_b32_e32 v5, v5, v19, vcc_lo
	s_waitcnt_depctr 0xfff
	v_dual_cndmask_b32 v7, v17, v7 :: v_dual_mul_f32 v4, 0x4f7ffffe, v4
	v_cmp_ge_u32_e32 vcc_lo, v5, v2
	v_cvt_u32_f32_e32 v6, v4
	v_sub_nc_u32_e32 v4, 0, v48
	s_delay_alu instid0(VALU_DEP_1) | instskip(SKIP_2) | instid1(VALU_DEP_1)
	v_mul_lo_u32 v16, v4, v6
	v_add_nc_u32_e32 v4, -1, v38
	v_add_nc_u32_e32 v19, 1, v7
	v_cndmask_b32_e32 v5, v7, v19, vcc_lo
	s_delay_alu instid0(VALU_DEP_4) | instskip(NEXT) | instid1(VALU_DEP_4)
	v_mul_hi_u32 v17, v6, v16
	v_sub_nc_u32_e32 v16, 0, v4
	s_delay_alu instid0(VALU_DEP_3) | instskip(NEXT) | instid1(VALU_DEP_2)
	v_xor_b32_e32 v5, v5, v3
	v_max_i32_e32 v2, v4, v16
                                        ; implicit-def: $vgpr16
	s_delay_alu instid0(VALU_DEP_4) | instskip(NEXT) | instid1(VALU_DEP_1)
	v_add_nc_u32_e32 v49, v6, v17
	v_mad_u64_u32 v[6:7], null, v2, v49, 0
	s_delay_alu instid0(VALU_DEP_4)
	v_sub_nc_u32_e32 v6, v5, v3
	v_cmpx_gt_i32_e32 0, v0
	s_xor_b32 s0, exec_lo, s0
; %bb.6:
	s_delay_alu instid0(VALU_DEP_2) | instskip(NEXT) | instid1(VALU_DEP_1)
	v_mad_u64_u32 v[16:17], null, v28, v12, v[6:7]
                                        ; implicit-def: $vgpr28
	v_mul_lo_u32 v0, v16, v0
	s_delay_alu instid0(VALU_DEP_1)
	v_sub_nc_u32_e32 v16, 1, v0
                                        ; implicit-def: $vgpr0
; %bb.7:
	s_or_saveexec_b32 s0, s0
	v_ashrrev_i32_e32 v3, 31, v4
	v_ashrrev_i32_e32 v50, 31, v1
	s_xor_b32 exec_lo, exec_lo, s0
; %bb.8:
	v_mad_u64_u32 v[4:5], null, s18, v28, s[12:13]
	s_delay_alu instid0(VALU_DEP_1)
	v_mad_u64_u32 v[16:17], null, v4, v0, 1
; %bb.9:
	s_or_b32 exec_lo, exec_lo, s0
	v_mul_lo_u32 v0, v7, v48
	v_dual_mov_b32 v93, 0xff7fffff :: v_dual_add_nc_u32 v4, 1, v7
	s_clause 0x1
	s_load_b32 s15, s[8:9], 0x14
	s_load_b32 s7, s[8:9], 0x8
	v_xor_b32_e32 v3, v3, v50
	v_lshrrev_b32_e32 v12, 5, v31
	s_lshl_b32 s13, s14, 4
	v_mul_lo_u32 v21, v6, v23
	v_sub_nc_u32_e32 v2, v2, v0
	v_mul_lo_u32 v0, s4, v18
	s_add_i32 s0, s13, 16
	v_and_b32_e32 v19, 31, v31
	v_sub_nc_u32_e32 v39, 0, v30
	v_sub_nc_u32_e32 v17, v2, v48
	v_cmp_ge_u32_e32 vcc_lo, v2, v48
	v_add_nc_u32_e32 v1, 31, v38
	s_clause 0x1
	scratch_store_b32 off, v12, s32 offset:476
	scratch_store_b32 off, v19, s32 offset:328
	v_lshl_add_u32 v23, v12, 5, s3
	v_cndmask_b32_e32 v4, v7, v4, vcc_lo
	v_ashrrev_i32_e32 v5, 31, v1
	v_dual_cndmask_b32 v2, v2, v17 :: v_dual_add_nc_u32 v17, s13, v12
	v_ashrrev_i32_e32 v12, 31, v21
	s_delay_alu instid0(VALU_DEP_4) | instskip(NEXT) | instid1(VALU_DEP_4)
	v_add_nc_u32_e32 v7, 1, v4
	v_lshrrev_b32_e32 v5, 27, v5
	s_delay_alu instid0(VALU_DEP_4) | instskip(SKIP_2) | instid1(VALU_DEP_4)
	v_cmp_ge_u32_e32 vcc_lo, v2, v48
	v_ashrrev_i32_e32 v18, 31, v17
	v_lshlrev_b32_e32 v36, 2, v19
	v_dual_cndmask_b32 v2, v4, v7 :: v_dual_add_nc_u32 v1, v1, v5
	s_delay_alu instid0(VALU_DEP_1) | instskip(NEXT) | instid1(VALU_DEP_2)
	v_ashrrev_i32_e32 v37, 5, v1
	v_xor_b32_e32 v2, v2, v3
	v_ashrrev_i32_e32 v1, 31, v0
	s_delay_alu instid0(VALU_DEP_3) | instskip(NEXT) | instid1(VALU_DEP_3)
	v_min_i32_e32 v51, s0, v37
	v_sub_nc_u32_e32 v2, v2, v3
	s_delay_alu instid0(VALU_DEP_3) | instskip(NEXT) | instid1(VALU_DEP_3)
	v_lshlrev_b64 v[68:69], 2, v[0:1]
	v_cmp_lt_i32_e64 s0, v17, v51
	s_delay_alu instid0(VALU_DEP_3) | instskip(NEXT) | instid1(VALU_DEP_2)
	v_sub_nc_u32_e32 v52, v2, v29
	s_and_saveexec_b32 s19, s0
	s_cbranch_execz .LBB440_1169
; %bb.10:
	v_mov_b32_e32 v20, 0
	s_clause 0x8
	scratch_store_b32 off, v37, s32 offset:540
	scratch_store_b32 off, v35, s32 offset:524
	;; [unrolled: 1-line block ×9, first 2 shown]
	v_max_i32_e32 v62, v30, v39
	s_getpc_b64 s[8:9]
	s_add_u32 s8, s8, llvm.amdgcn.dynlds.offset.table@rel32@lo+4
	s_addc_u32 s9, s9, llvm.amdgcn.dynlds.offset.table@rel32@hi+12
	s_ashr_i32 s11, s10, 31
	ds_load_b128 v[0:3], v20
	ds_load_b128 v[4:7], v20 offset:16
	ds_load_b128 v[64:67], v20 offset:32
	;; [unrolled: 1-line block ×3, first 2 shown]
	s_lshl_b64 s[16:17], s[10:11], 2
	s_mov_b32 s20, 0
	s_add_u32 s8, s16, s8
	s_addc_u32 s9, s17, s9
	s_mov_b32 s16, -1
	s_mov_b32 s17, 0xffffff
	v_mov_b32_e32 v93, 0xff7fffff
	v_dual_mov_b32 v121, v17 :: v_dual_mov_b32 v120, 0xff7fffff
	s_waitcnt lgkmcnt(0)
	v_lshlrev_b32_e32 v10, 16, v0
	v_and_b32_e32 v0, 0xffff0000, v0
	scratch_store_b32 off, v10, s32 offset:332 ; 4-byte Folded Spill
	v_and_b32_e32 v10, 0xffff0000, v67
	scratch_store_b32 off, v0, s32 offset:336 ; 4-byte Folded Spill
	v_lshlrev_b32_e32 v0, 16, v1
	scratch_store_b32 off, v10, s32 offset:424 ; 4-byte Folded Spill
	v_lshlrev_b32_e32 v10, 16, v32
	scratch_store_b32 off, v0, s32 offset:340 ; 4-byte Folded Spill
	v_and_b32_e32 v0, 0xffff0000, v1
	scratch_store_b32 off, v10, s32 offset:428 ; 4-byte Folded Spill
	v_and_b32_e32 v10, 0xffff0000, v32
	scratch_store_b32 off, v0, s32 offset:344 ; 4-byte Folded Spill
	v_lshlrev_b32_e32 v0, 16, v2
	scratch_store_b32 off, v10, s32 offset:432 ; 4-byte Folded Spill
	v_lshlrev_b32_e32 v10, 16, v33
	scratch_store_b32 off, v0, s32 offset:348 ; 4-byte Folded Spill
	;; [unrolled: 8-line block ×4, first 2 shown]
	v_and_b32_e32 v0, 0xffff0000, v4
	v_and_b32_e32 v4, 0xffff0000, v7
	scratch_store_b32 off, v10, s32 offset:452 ; 4-byte Folded Spill
	v_and_b32_e32 v10, 0xffff0000, v35
	s_clause 0x1
	scratch_store_b32 off, v0, s32 offset:368
	scratch_store_b32 off, v4, s32 offset:392
	v_lshlrev_b32_e32 v0, 16, v5
	v_lshlrev_b32_e32 v4, 16, v64
	s_clause 0x2
	scratch_store_b32 off, v10, s32 offset:456
	scratch_store_b32 off, v0, s32 offset:372
	scratch_store_b32 off, v4, s32 offset:396
	v_and_b32_e32 v0, 0xffff0000, v5
	v_and_b32_e32 v4, 0xffff0000, v64
	s_clause 0x1
	scratch_store_b32 off, v0, s32 offset:376
	scratch_store_b32 off, v4, s32 offset:400
	v_lshlrev_b32_e32 v0, 16, v6
	v_lshlrev_b32_e32 v4, 16, v65
	s_clause 0x1
	scratch_store_b32 off, v0, s32 offset:380
	scratch_store_b32 off, v4, s32 offset:404
	v_and_b32_e32 v0, 0xffff0000, v6
	v_and_b32_e32 v4, 0xffff0000, v65
	s_clause 0x1
	scratch_store_b32 off, v0, s32 offset:384
	scratch_store_b32 off, v4, s32 offset:408
	v_lshlrev_b32_e32 v0, 16, v7
	v_lshlrev_b32_e32 v4, 16, v66
	s_clause 0x1
	scratch_store_b32 off, v0, s32 offset:388
	scratch_store_b32 off, v4, s32 offset:412
	ds_load_b128 v[0:3], v20 offset:64
	v_and_b32_e32 v4, 0xffff0000, v66
	scratch_store_b32 off, v4, s32 offset:416 ; 4-byte Folded Spill
	v_lshlrev_b32_e32 v4, 16, v67
	scratch_store_b32 off, v4, s32 offset:420 ; 4-byte Folded Spill
	ds_load_b128 v[4:7], v20 offset:80
	s_waitcnt lgkmcnt(1)
	v_lshlrev_b32_e32 v10, 16, v0
	v_and_b32_e32 v0, 0xffff0000, v0
	v_lshlrev_b32_e32 v134, 16, v2
	v_and_b32_e32 v135, 0xffff0000, v2
	v_lshlrev_b32_e32 v144, 16, v3
	s_clause 0x1
	scratch_store_b32 off, v10, s32 offset:460
	scratch_store_b32 off, v0, s32 offset:464
	v_lshlrev_b32_e32 v0, 16, v1
	v_and_b32_e32 v145, 0xffff0000, v3
	ds_load_b128 v[64:67], v20 offset:96
	ds_load_b128 v[32:35], v20 offset:112
	scratch_store_b32 off, v0, s32 offset:468 ; 4-byte Folded Spill
	v_and_b32_e32 v0, 0xffff0000, v1
	s_waitcnt lgkmcnt(2)
	v_lshlrev_b32_e32 v146, 16, v4
	v_and_b32_e32 v147, 0xffff0000, v4
	v_lshlrev_b32_e32 v148, 16, v5
	v_and_b32_e32 v149, 0xffff0000, v5
	scratch_store_b32 off, v0, s32 offset:472 ; 4-byte Folded Spill
	v_lshlrev_b32_e32 v150, 16, v6
	v_and_b32_e32 v151, 0xffff0000, v6
	v_lshlrev_b32_e32 v160, 16, v7
	ds_load_b128 v[0:3], v20 offset:128
	v_and_b32_e32 v161, 0xffff0000, v7
	ds_load_b128 v[4:7], v20 offset:144
	s_waitcnt lgkmcnt(3)
	v_lshlrev_b32_e32 v162, 16, v64
	s_waitcnt lgkmcnt(2)
	v_lshlrev_b32_e32 v178, 16, v32
	v_and_b32_e32 v179, 0xffff0000, v32
	v_lshlrev_b32_e32 v180, 16, v33
	v_and_b32_e32 v181, 0xffff0000, v33
	v_lshlrev_b32_e32 v182, 16, v34
	v_and_b32_e32 v183, 0xffff0000, v34
	ds_load_b128 v[31:34], v20 offset:160
	v_and_b32_e32 v163, 0xffff0000, v64
	v_lshlrev_b32_e32 v164, 16, v65
	v_and_b32_e32 v165, 0xffff0000, v65
	v_lshlrev_b32_e32 v166, 16, v66
	v_and_b32_e32 v167, 0xffff0000, v66
	s_waitcnt lgkmcnt(2)
	v_lshlrev_b32_e32 v42, 16, v0
	v_and_b32_e32 v43, 0xffff0000, v0
	s_waitcnt lgkmcnt(1)
	v_lshlrev_b32_e32 v58, 16, v4
	v_and_b32_e32 v59, 0xffff0000, v4
	v_cvt_f32_u32_e32 v4, v62
	v_lshlrev_b32_e32 v44, 16, v1
	v_and_b32_e32 v45, 0xffff0000, v1
	v_lshlrev_b32_e32 v46, 16, v2
	v_and_b32_e32 v47, 0xffff0000, v2
	;; [unrolled: 2-line block ×3, first 2 shown]
	ds_load_b128 v[0:3], v20 offset:176
	s_clause 0x1
	scratch_store_b32 off, v30, s32 offset:500
	scratch_store_b32 off, v39, s32 offset:544
	v_and_b32_e32 v72, 0xffff0000, v6
	v_rcp_iflag_f32_e32 v4, v4
	v_lshlrev_b32_e32 v63, 16, v6
	scratch_load_b32 v6, off, s32 offset:328 ; 4-byte Folded Reload
	v_lshlrev_b32_e32 v60, 16, v5
	v_and_b32_e32 v61, 0xffff0000, v5
	s_load_b32 s11, s[8:9], 0x0
	v_lshlrev_b32_e32 v176, 16, v67
	v_and_b32_e32 v177, 0xffff0000, v67
	v_lshlrev_b32_e32 v40, 16, v35
	v_and_b32_e32 v41, 0xffff0000, v35
	;; [unrolled: 2-line block ×3, first 2 shown]
	s_waitcnt lgkmcnt(0)
	v_lshlrev_b32_e32 v75, 16, v31
	v_and_b32_e32 v76, 0xffff0000, v31
	v_lshlrev_b32_e32 v77, 16, v32
	v_and_b32_e32 v78, 0xffff0000, v32
	v_lshlrev_b32_e32 v79, 16, v33
	v_lshlrev_b32_e32 v91, 16, v0
	v_and_b32_e32 v92, 0xffff0000, v0
	v_mul_f32_e32 v0, 0x4f7ffffe, v4
	v_lshlrev_b32_e32 v94, 16, v1
	v_and_b32_e32 v95, 0xffff0000, v1
	v_lshlrev_b32_e32 v104, 16, v2
	v_and_b32_e32 v105, 0xffff0000, v2
	;; [unrolled: 2-line block ×3, first 2 shown]
	v_cvt_u32_f32_e32 v2, v0
	v_sub_nc_u32_e32 v0, 0, v62
	v_add_co_u32 v3, vcc_lo, v8, v21
	v_add_co_ci_u32_e32 v4, vcc_lo, v9, v12, vcc_lo
	s_delay_alu instid0(VALU_DEP_3)
	v_mul_lo_u32 v5, v0, v2
	v_and_b32_e32 v88, 0xffff0000, v33
	v_lshlrev_b32_e32 v89, 16, v34
	v_and_b32_e32 v90, 0xffff0000, v34
	s_clause 0x5
	scratch_store_b32 off, v21, s32 offset:536
	scratch_store_b32 off, v12, s32 offset:548
	;; [unrolled: 1-line block ×3, first 2 shown]
	scratch_store_b64 off, v[68:69], s32 offset:528
	scratch_store_b32 off, v14, s32 offset:496
	scratch_store_b32 off, v15, s32 offset:492
	s_waitcnt vmcnt(0)
	v_lshlrev_b32_e32 v1, 4, v6
	s_delay_alu instid0(VALU_DEP_1) | instskip(SKIP_3) | instid1(VALU_DEP_3)
	v_add_co_u32 v8, vcc_lo, v3, v1
	v_lshlrev_b64 v[0:1], 2, v[17:18]
	v_add_co_ci_u32_e32 v9, vcc_lo, 0, v4, vcc_lo
	v_mul_hi_u32 v3, v2, v5
	v_add_co_u32 v0, vcc_lo, v68, v0
	s_delay_alu instid0(VALU_DEP_4) | instskip(NEXT) | instid1(VALU_DEP_2)
	v_add_co_ci_u32_e32 v1, vcc_lo, v69, v1, vcc_lo
	v_add_co_u32 v28, vcc_lo, v14, v0
	scratch_load_b32 v0, off, s32 offset:476 ; 4-byte Folded Reload
	v_add_nc_u32_e32 v108, v2, v3
	v_sub_nc_u32_e32 v2, v6, v38
	v_add_co_ci_u32_e32 v29, vcc_lo, v15, v1, vcc_lo
	v_cmp_neq_f32_e32 vcc_lo, 0, v53
	s_delay_alu instid0(VALU_DEP_3)
	v_add_nc_u32_e32 v109, 1, v2
	s_waitcnt vmcnt(0)
	v_lshl_add_u32 v110, v0, 5, s3
	v_lshl_or_b32 v111, v0, 7, v36
	s_branch .LBB440_13
.LBB440_11:                             ;   in Loop: Header=BB440_13 Depth=1
	s_or_b32 exec_lo, exec_lo, s21
	scratch_load_b32 v34, off, s32 offset:364 ; 4-byte Folded Reload
	v_and_b32_e32 v31, 0xffff0000, v139
	v_and_b32_e32 v32, 0xffff0000, v122
	;; [unrolled: 1-line block ×6, first 2 shown]
	s_load_b32 s21, s[8:9], 0x0
	scratch_load_b32 v132, off, s32 offset:388 ; 4-byte Folded Reload
	v_and_b32_e32 v1, 0xffff0000, v1
	scratch_load_b32 v133, off, s32 offset:392 ; 4-byte Folded Reload
	s_waitcnt vmcnt(2)
	v_mul_f32_e32 v139, v34, v31
	s_clause 0x1
	scratch_load_b32 v31, off, s32 offset:332
	scratch_load_b32 v34, off, s32 offset:368
	s_waitcnt vmcnt(1)
	v_fmac_f32_e32 v139, v31, v32
	v_and_b32_e32 v31, 0xffff0000, v140
	v_and_b32_e32 v32, 0xffff0000, v124
	s_waitcnt vmcnt(0)
	s_delay_alu instid0(VALU_DEP_2)
	v_mul_f32_e32 v140, v34, v31
	s_clause 0x1
	scratch_load_b32 v31, off, s32 offset:336
	scratch_load_b32 v34, off, s32 offset:372
	s_waitcnt vmcnt(1)
	v_dual_fmac_f32 v140, v31, v32 :: v_dual_and_b32 v31, 0xffff0000, v141
	v_and_b32_e32 v32, 0xffff0000, v125
	s_waitcnt vmcnt(0)
	s_delay_alu instid0(VALU_DEP_2)
	v_mul_f32_e32 v124, v34, v31
	s_clause 0x1
	scratch_load_b32 v31, off, s32 offset:340
	scratch_load_b32 v34, off, s32 offset:376
	s_waitcnt vmcnt(1)
	v_dual_fmac_f32 v124, v31, v32 :: v_dual_and_b32 v31, 0xffff0000, v142
	s_waitcnt vmcnt(0)
	s_delay_alu instid0(VALU_DEP_1)
	v_dual_mul_f32 v123, v34, v31 :: v_dual_and_b32 v32, 0xffff0000, v126
	s_clause 0x1
	scratch_load_b32 v31, off, s32 offset:344
	scratch_load_b32 v34, off, s32 offset:380
	s_waitcnt vmcnt(1)
	v_dual_fmac_f32 v123, v31, v32 :: v_dual_and_b32 v32, 0xffff0000, v127
	v_and_b32_e32 v31, 0xffff0000, v143
	s_waitcnt vmcnt(0)
	s_delay_alu instid0(VALU_DEP_1)
	v_mul_f32_e32 v122, v34, v31
	s_clause 0x1
	scratch_load_b32 v31, off, s32 offset:348
	scratch_load_b32 v34, off, s32 offset:384
	s_waitcnt vmcnt(1)
	v_fmac_f32_e32 v122, v31, v32
	v_and_b32_e32 v31, 0xffff0000, v152
	v_and_b32_e32 v32, 0xffff0000, v136
	s_waitcnt vmcnt(0)
	s_delay_alu instid0(VALU_DEP_2) | instskip(SKIP_3) | instid1(VALU_DEP_1)
	v_mul_f32_e32 v34, v34, v31
	scratch_load_b32 v31, off, s32 offset:352 ; 4-byte Folded Reload
	s_waitcnt vmcnt(0)
	v_dual_fmac_f32 v34, v31, v32 :: v_dual_and_b32 v31, 0xffff0000, v153
	v_dual_mul_f32 v31, v132, v31 :: v_dual_and_b32 v32, 0xffff0000, v137
	scratch_load_b32 v132, off, s32 offset:356 ; 4-byte Folded Reload
	s_waitcnt vmcnt(0)
	v_dual_fmac_f32 v31, v132, v32 :: v_dual_and_b32 v32, 0xffff0000, v154
	v_and_b32_e32 v132, 0xffff0000, v138
	s_delay_alu instid0(VALU_DEP_2)
	v_mul_f32_e32 v32, v133, v32
	scratch_load_b32 v133, off, s32 offset:360 ; 4-byte Folded Reload
	s_waitcnt vmcnt(0)
	v_fmac_f32_e32 v32, v133, v132
	scratch_load_b32 v133, off, s32 offset:396 ; 4-byte Folded Reload
	v_and_b32_e32 v132, 0xffff0000, v155
	s_waitcnt vmcnt(0)
	s_delay_alu instid0(VALU_DEP_1) | instskip(SKIP_3) | instid1(VALU_DEP_1)
	v_fmac_f32_e32 v139, v133, v132
	scratch_load_b32 v133, off, s32 offset:400 ; 4-byte Folded Reload
	v_and_b32_e32 v132, 0xffff0000, v156
	s_waitcnt vmcnt(0)
	v_fmac_f32_e32 v140, v133, v132
	scratch_load_b32 v133, off, s32 offset:404 ; 4-byte Folded Reload
	v_and_b32_e32 v132, 0xffff0000, v157
	s_waitcnt vmcnt(0)
	s_delay_alu instid0(VALU_DEP_1) | instskip(SKIP_3) | instid1(VALU_DEP_1)
	v_fmac_f32_e32 v124, v133, v132
	scratch_load_b32 v133, off, s32 offset:408 ; 4-byte Folded Reload
	v_and_b32_e32 v132, 0xffff0000, v159
	;; [unrolled: 9-line block ×6, first 2 shown]
	s_waitcnt vmcnt(0)
	v_dual_fmac_f32 v123, v133, v132 :: v_dual_and_b32 v132, 0xffff0000, v175
	scratch_load_b32 v133, off, s32 offset:444 ; 4-byte Folded Reload
	s_waitcnt vmcnt(0)
	v_fmac_f32_e32 v122, v133, v132
	scratch_load_b32 v133, off, s32 offset:448 ; 4-byte Folded Reload
	v_and_b32_e32 v132, 0xffff0000, v184
	s_waitcnt vmcnt(0)
	s_delay_alu instid0(VALU_DEP_1) | instskip(SKIP_3) | instid1(VALU_DEP_1)
	v_fmac_f32_e32 v34, v133, v132
	scratch_load_b32 v133, off, s32 offset:452 ; 4-byte Folded Reload
	v_and_b32_e32 v132, 0xffff0000, v185
	s_waitcnt vmcnt(0)
	v_dual_fmac_f32 v31, v133, v132 :: v_dual_and_b32 v132, 0xffff0000, v186
	scratch_load_b32 v133, off, s32 offset:456 ; 4-byte Folded Reload
	s_waitcnt vmcnt(0)
	v_fmac_f32_e32 v32, v133, v132
	scratch_load_b32 v133, off, s32 offset:460 ; 4-byte Folded Reload
	v_and_b32_e32 v132, 0xffff0000, v187
	v_fmac_f32_e32 v32, v145, v4
	v_and_b32_e32 v4, 0xffff0000, v66
	s_waitcnt vmcnt(0)
	s_delay_alu instid0(VALU_DEP_3) | instskip(SKIP_3) | instid1(VALU_DEP_1)
	v_dual_fmac_f32 v34, v135, v65 :: v_dual_fmac_f32 v139, v133, v132
	scratch_load_b32 v133, off, s32 offset:464 ; 4-byte Folded Reload
	v_and_b32_e32 v132, 0xffff0000, v188
	s_waitcnt vmcnt(0)
	v_fmac_f32_e32 v140, v133, v132
	scratch_load_b32 v133, off, s32 offset:468 ; 4-byte Folded Reload
	v_dual_fmac_f32 v139, v146, v4 :: v_dual_and_b32 v132, 0xffff0000, v189
	v_and_b32_e32 v4, 0xffff0000, v64
	s_delay_alu instid0(VALU_DEP_1)
	v_fmac_f32_e32 v140, v147, v4
	v_dual_fmac_f32 v31, v144, v5 :: v_dual_and_b32 v4, 0xffff0000, v54
	s_waitcnt vmcnt(0)
	v_fmac_f32_e32 v124, v133, v132
	scratch_load_b32 v133, off, s32 offset:472 ; 4-byte Folded Reload
	v_and_b32_e32 v132, 0xffff0000, v190
	v_fmac_f32_e32 v124, v148, v4
	s_waitcnt vmcnt(0)
	s_delay_alu instid0(VALU_DEP_2) | instskip(NEXT) | instid1(VALU_DEP_1)
	v_dual_fmac_f32 v123, v133, v132 :: v_dual_and_b32 v4, 0xffff0000, v21
	v_dual_fmac_f32 v123, v149, v4 :: v_dual_and_b32 v132, 0xffff0000, v191
	s_delay_alu instid0(VALU_DEP_1) | instskip(SKIP_1) | instid1(VALU_DEP_1)
	v_fmac_f32_e32 v122, v134, v132
	v_and_b32_e32 v4, 0xffff0000, v6
	v_fmac_f32_e32 v122, v150, v4
	v_and_b32_e32 v4, 0xffff0000, v7
	s_delay_alu instid0(VALU_DEP_2) | instskip(NEXT) | instid1(VALU_DEP_2)
	v_fmac_f32_e32 v122, v166, v1
	v_fmac_f32_e32 v34, v151, v4
	v_and_b32_e32 v4, 0xffff0000, v12
	s_delay_alu instid0(VALU_DEP_2) | instskip(NEXT) | instid1(VALU_DEP_2)
	v_dual_fmac_f32 v34, v167, v0 :: v_dual_and_b32 v1, 0xffff0000, v86
	v_dual_fmac_f32 v31, v160, v4 :: v_dual_and_b32 v4, 0xffff0000, v39
	v_and_b32_e32 v0, 0xffff0000, v3
	s_delay_alu instid0(VALU_DEP_2) | instskip(NEXT) | instid1(VALU_DEP_2)
	v_fmac_f32_e32 v32, v161, v4
	v_dual_fmac_f32 v31, v176, v0 :: v_dual_and_b32 v4, 0xffff0000, v37
	s_delay_alu instid0(VALU_DEP_1) | instskip(SKIP_1) | instid1(VALU_DEP_2)
	v_dual_fmac_f32 v139, v162, v4 :: v_dual_and_b32 v0, 0xffff0000, v2
	v_and_b32_e32 v4, 0xffff0000, v55
	v_fmac_f32_e32 v32, v177, v0
	v_and_b32_e32 v0, 0xffff0000, v15
	s_delay_alu instid0(VALU_DEP_3) | instskip(NEXT) | instid1(VALU_DEP_2)
	v_fmac_f32_e32 v140, v163, v4
	v_dual_fmac_f32 v139, v178, v0 :: v_dual_and_b32 v4, 0xffff0000, v11
	v_and_b32_e32 v0, 0xffff0000, v14
	s_delay_alu instid0(VALU_DEP_2) | instskip(SKIP_1) | instid1(VALU_DEP_3)
	v_fmac_f32_e32 v124, v164, v4
	v_and_b32_e32 v4, 0xffff0000, v10
	v_fmac_f32_e32 v140, v179, v0
	s_delay_alu instid0(VALU_DEP_2) | instskip(NEXT) | instid1(VALU_DEP_1)
	v_dual_fmac_f32 v123, v165, v4 :: v_dual_and_b32 v0, 0xffff0000, v30
	v_fmac_f32_e32 v124, v180, v0
	v_and_b32_e32 v0, 0xffff0000, v67
	s_delay_alu instid0(VALU_DEP_1) | instskip(SKIP_1) | instid1(VALU_DEP_1)
	v_fmac_f32_e32 v123, v181, v0
	v_and_b32_e32 v0, 0xffff0000, v68
	v_fmac_f32_e32 v122, v182, v0
	v_and_b32_e32 v0, 0xffff0000, v80
	s_delay_alu instid0(VALU_DEP_1) | instskip(NEXT) | instid1(VALU_DEP_1)
	v_dual_fmac_f32 v139, v42, v0 :: v_dual_and_b32 v0, 0xffff0000, v81
	v_fmac_f32_e32 v140, v43, v0
	v_and_b32_e32 v0, 0xffff0000, v69
	s_delay_alu instid0(VALU_DEP_1) | instskip(SKIP_1) | instid1(VALU_DEP_1)
	v_fmac_f32_e32 v34, v183, v0
	v_and_b32_e32 v0, 0xffff0000, v70
	v_dual_fmac_f32 v31, v40, v0 :: v_dual_and_b32 v0, 0xffff0000, v82
	s_delay_alu instid0(VALU_DEP_1) | instskip(NEXT) | instid1(VALU_DEP_2)
	v_fmac_f32_e32 v31, v56, v1
	v_fmac_f32_e32 v124, v44, v0
	v_and_b32_e32 v0, 0xffff0000, v96
	v_and_b32_e32 v1, 0xffff0000, v101
	s_delay_alu instid0(VALU_DEP_2) | instskip(NEXT) | instid1(VALU_DEP_1)
	v_dual_fmac_f32 v139, v58, v0 :: v_dual_and_b32 v0, 0xffff0000, v97
	v_fmac_f32_e32 v140, v59, v0
	v_and_b32_e32 v0, 0xffff0000, v71
	s_delay_alu instid0(VALU_DEP_1) | instskip(SKIP_1) | instid1(VALU_DEP_1)
	v_fmac_f32_e32 v32, v41, v0
	v_and_b32_e32 v0, 0xffff0000, v83
	v_dual_fmac_f32 v123, v45, v0 :: v_dual_and_b32 v0, 0xffff0000, v98
	s_delay_alu instid0(VALU_DEP_1) | instskip(SKIP_1) | instid1(VALU_DEP_1)
	v_fmac_f32_e32 v124, v60, v0
	v_and_b32_e32 v0, 0xffff0000, v112
	v_dual_fmac_f32 v139, v75, v0 :: v_dual_and_b32 v0, 0xffff0000, v113
	s_delay_alu instid0(VALU_DEP_1) | instskip(SKIP_1) | instid1(VALU_DEP_1)
	v_fmac_f32_e32 v140, v76, v0
	v_and_b32_e32 v0, 0xffff0000, v84
	v_fmac_f32_e32 v122, v46, v0
	v_and_b32_e32 v0, 0xffff0000, v99
	s_delay_alu instid0(VALU_DEP_1) | instskip(NEXT) | instid1(VALU_DEP_1)
	v_dual_fmac_f32 v123, v61, v0 :: v_dual_and_b32 v0, 0xffff0000, v114
	v_fmac_f32_e32 v124, v77, v0
	v_and_b32_e32 v0, 0xffff0000, v118
	s_delay_alu instid0(VALU_DEP_1) | instskip(NEXT) | instid1(VALU_DEP_1)
	v_dual_fmac_f32 v139, v91, v0 :: v_dual_and_b32 v0, 0xffff0000, v119
	v_fmac_f32_e32 v140, v92, v0
	v_and_b32_e32 v0, 0xffff0000, v85
	s_delay_alu instid0(VALU_DEP_1) | instskip(SKIP_1) | instid1(VALU_DEP_2)
	v_fmac_f32_e32 v34, v47, v0
	v_and_b32_e32 v0, 0xffff0000, v100
	v_fmac_f32_e32 v34, v72, v1
	s_delay_alu instid0(VALU_DEP_2) | instskip(SKIP_2) | instid1(VALU_DEP_1)
	v_fmac_f32_e32 v122, v63, v0
	v_and_b32_e32 v0, 0xffff0000, v115
	v_and_b32_e32 v1, 0xffff0000, v116
	v_dual_fmac_f32 v123, v78, v0 :: v_dual_fmac_f32 v122, v79, v1
	v_and_b32_e32 v1, 0xffff0000, v129
	s_delay_alu instid0(VALU_DEP_1) | instskip(NEXT) | instid1(VALU_DEP_1)
	v_dual_fmac_f32 v123, v95, v1 :: v_dual_and_b32 v0, 0xffff0000, v128
	v_dual_fmac_f32 v124, v94, v0 :: v_dual_and_b32 v1, 0xffff0000, v87
	v_add_f32_e32 v0, v139, v140
	s_delay_alu instid0(VALU_DEP_2) | instskip(NEXT) | instid1(VALU_DEP_1)
	v_dual_fmac_f32 v32, v57, v1 :: v_dual_and_b32 v1, 0xffff0000, v102
	v_dual_add_f32 v0, v0, v124 :: v_dual_fmac_f32 v31, v73, v1
	s_delay_alu instid0(VALU_DEP_1) | instskip(NEXT) | instid1(VALU_DEP_1)
	v_dual_add_f32 v0, v123, v0 :: v_dual_and_b32 v1, 0xffff0000, v117
	v_dual_fmac_f32 v34, v88, v1 :: v_dual_and_b32 v1, 0xffff0000, v130
	s_delay_alu instid0(VALU_DEP_1) | instskip(NEXT) | instid1(VALU_DEP_1)
	v_dual_fmac_f32 v122, v104, v1 :: v_dual_and_b32 v1, 0xffff0000, v103
	v_add_f32_e32 v0, v122, v0
	s_delay_alu instid0(VALU_DEP_2) | instskip(NEXT) | instid1(VALU_DEP_1)
	v_dual_fmac_f32 v32, v74, v1 :: v_dual_and_b32 v1, 0xffff0000, v35
	v_fmac_f32_e32 v31, v89, v1
	v_and_b32_e32 v1, 0xffff0000, v131
	s_delay_alu instid0(VALU_DEP_1) | instskip(NEXT) | instid1(VALU_DEP_1)
	v_dual_fmac_f32 v34, v105, v1 :: v_dual_and_b32 v1, 0xffff0000, v36
	v_add_f32_e32 v0, v34, v0
	s_delay_alu instid0(VALU_DEP_2) | instskip(SKIP_1) | instid1(VALU_DEP_1)
	v_fmac_f32_e32 v32, v90, v1
	v_and_b32_e32 v1, 0xffff0000, v33
	v_fmac_f32_e32 v31, v106, v1
	s_delay_alu instid0(VALU_DEP_1) | instskip(NEXT) | instid1(VALU_DEP_1)
	v_dual_add_f32 v0, v31, v0 :: v_dual_and_b32 v1, 0xffff0000, v19
	v_dual_fmac_f32 v32, v107, v1 :: v_dual_add_nc_u32 v1, v109, v110
	s_delay_alu instid0(VALU_DEP_1) | instskip(NEXT) | instid1(VALU_DEP_2)
	v_add_f32_e32 v0, v32, v0
	v_cvt_f32_i32_e32 v1, v1
	s_delay_alu instid0(VALU_DEP_1) | instskip(NEXT) | instid1(VALU_DEP_1)
	v_mul_f32_e32 v1, v53, v1
	v_cndmask_b32_e32 v1, 0, v1, vcc_lo
	s_delay_alu instid0(VALU_DEP_1) | instskip(SKIP_3) | instid1(VALU_DEP_1)
	v_fmac_f32_e32 v1, v0, v13
	scratch_load_b32 v0, off, s32 offset:328 ; 4-byte Folded Reload
	s_waitcnt vmcnt(0)
	v_add_nc_u32_e32 v0, v0, v110
	v_cmp_lt_i32_e64 s1, v0, v38
	s_waitcnt lgkmcnt(0)
	v_add_nc_u32_e32 v0, s21, v111
	s_delay_alu instid0(VALU_DEP_2) | instskip(SKIP_2) | instid1(VALU_DEP_1)
	v_cndmask_b32_e64 v2, 0, v1, s1
	ds_store_b32 v0, v2
	v_max_f32_e32 v0, v93, v93
	v_max_f32_e32 v0, v0, v1
	s_delay_alu instid0(VALU_DEP_1)
	v_cndmask_b32_e64 v93, v93, v0, s1
.LBB440_12:                             ;   in Loop: Header=BB440_13 Depth=1
	s_or_b32 exec_lo, exec_lo, s2
	v_add_nc_u32_e32 v121, 4, v121
	v_add_co_u32 v28, s2, v28, 16
	s_delay_alu instid0(VALU_DEP_1) | instskip(NEXT) | instid1(VALU_DEP_3)
	v_add_co_ci_u32_e64 v29, s2, 0, v29, s2
	v_cmp_ge_i32_e64 s1, v121, v51
	v_add_nc_u32_e32 v110, 0x80, v110
	v_add_nc_u32_e32 v111, 0x200, v111
	s_delay_alu instid0(VALU_DEP_3) | instskip(NEXT) | instid1(SALU_CYCLE_1)
	s_or_b32 s20, s1, s20
	s_and_not1_b32 exec_lo, exec_lo, s20
	s_cbranch_execz .LBB440_1168
.LBB440_13:                             ; =>This Inner Loop Header: Depth=1
	s_delay_alu instid0(VALU_DEP_2) | instskip(NEXT) | instid1(VALU_DEP_1)
	v_sub_nc_u32_e32 v0, 0, v110
	v_max_i32_e32 v0, v110, v0
	s_delay_alu instid0(VALU_DEP_1) | instskip(NEXT) | instid1(VALU_DEP_1)
	v_mul_hi_u32 v1, v0, v49
	v_mul_lo_u32 v2, v1, v48
	s_delay_alu instid0(VALU_DEP_1) | instskip(SKIP_1) | instid1(VALU_DEP_2)
	v_sub_nc_u32_e32 v0, v0, v2
	v_add_nc_u32_e32 v2, 1, v1
	v_sub_nc_u32_e32 v3, v0, v48
	v_cmp_ge_u32_e64 s1, v0, v48
	s_delay_alu instid0(VALU_DEP_1) | instskip(NEXT) | instid1(VALU_DEP_3)
	v_cndmask_b32_e64 v1, v1, v2, s1
	v_cndmask_b32_e64 v0, v0, v3, s1
	v_ashrrev_i32_e32 v2, 31, v110
	s_delay_alu instid0(VALU_DEP_3) | instskip(NEXT) | instid1(VALU_DEP_3)
	v_add_nc_u32_e32 v3, 1, v1
	v_cmp_ge_u32_e64 s1, v0, v48
	s_delay_alu instid0(VALU_DEP_3) | instskip(NEXT) | instid1(VALU_DEP_2)
	v_xor_b32_e32 v2, v2, v50
	v_cndmask_b32_e64 v0, v1, v3, s1
	s_delay_alu instid0(VALU_DEP_1) | instskip(NEXT) | instid1(VALU_DEP_1)
	v_xor_b32_e32 v0, v0, v2
	v_sub_nc_u32_e32 v0, v0, v2
	s_delay_alu instid0(VALU_DEP_1) | instskip(SKIP_1) | instid1(VALU_DEP_2)
	v_add_nc_u32_e32 v1, v0, v16
	v_cmp_le_i32_e64 s2, v0, v52
	v_sub_nc_u32_e32 v2, 0, v1
	s_delay_alu instid0(VALU_DEP_1) | instskip(SKIP_1) | instid1(VALU_DEP_2)
	v_max_i32_e32 v2, v1, v2
	v_ashrrev_i32_e32 v1, 31, v1
	v_mul_hi_u32 v3, v2, v108
	s_delay_alu instid0(VALU_DEP_1) | instskip(NEXT) | instid1(VALU_DEP_1)
	v_mul_lo_u32 v3, v3, v62
	v_sub_nc_u32_e32 v2, v2, v3
	s_delay_alu instid0(VALU_DEP_1) | instskip(SKIP_1) | instid1(VALU_DEP_1)
	v_sub_nc_u32_e32 v3, v2, v62
	v_cmp_ge_u32_e64 s1, v2, v62
	v_cndmask_b32_e64 v2, v2, v3, s1
	s_delay_alu instid0(VALU_DEP_1) | instskip(SKIP_1) | instid1(VALU_DEP_1)
	v_sub_nc_u32_e32 v3, v2, v62
	v_cmp_ge_u32_e64 s1, v2, v62
	v_cndmask_b32_e64 v2, v2, v3, s1
	s_delay_alu instid0(VALU_DEP_1) | instskip(NEXT) | instid1(VALU_DEP_1)
	v_xor_b32_e32 v2, v2, v1
	v_sub_nc_u32_e32 v1, v2, v1
	s_delay_alu instid0(VALU_DEP_1) | instskip(NEXT) | instid1(VALU_DEP_1)
	v_cmp_ne_u32_e64 s1, 0, v1
	s_and_b32 s1, s1, s2
	s_delay_alu instid0(SALU_CYCLE_1) | instskip(NEXT) | instid1(SALU_CYCLE_1)
	s_and_saveexec_b32 s2, s1
	s_xor_b32 s1, exec_lo, s2
	s_cbranch_execz .LBB440_15
; %bb.14:                               ;   in Loop: Header=BB440_13 Depth=1
	v_add_nc_u32_e32 v0, s11, v111
	ds_store_b32 v0, v120
.LBB440_15:                             ;   in Loop: Header=BB440_13 Depth=1
	s_and_not1_saveexec_b32 s2, s1
	s_cbranch_execz .LBB440_12
; %bb.16:                               ;   in Loop: Header=BB440_13 Depth=1
	flat_load_b32 v0, v[28:29]
	s_mov_b32 s21, exec_lo
	s_waitcnt vmcnt(0) lgkmcnt(0)
	v_mad_i64_i32 v[31:32], null, v0, v22, v[8:9]
	flat_load_b64 v[33:34], v[31:32]
	flat_load_b32 v123, v[24:25]
	s_waitcnt vmcnt(1) lgkmcnt(1)
	v_dual_mov_b32 v0, 0 :: v_dual_and_b32 v1, 0xff, v33
	s_delay_alu instid0(VALU_DEP_1)
	v_cmpx_ne_u16_e32 0, v1
	s_cbranch_execz .LBB440_24
; %bb.17:                               ;   in Loop: Header=BB440_13 Depth=1
	v_bfrev_b32_e32 v0, 1
	s_mov_b32 s22, exec_lo
	v_cmpx_ne_u16_e32 0x80, v1
	s_cbranch_execz .LBB440_23
; %bb.18:                               ;   in Loop: Header=BB440_13 Depth=1
	v_and_b32_e32 v1, 0x7f, v33
	v_mov_b32_e32 v0, 0x7f800001
	s_mov_b32 s23, exec_lo
	s_delay_alu instid0(VALU_DEP_2)
	v_cmpx_ne_u32_e32 0x7f, v1
	s_cbranch_execz .LBB440_22
; %bb.19:                               ;   in Loop: Header=BB440_13 Depth=1
	v_lshrrev_b32_e32 v0, 3, v1
	v_dual_mov_b32 v36, v34 :: v_dual_mov_b32 v35, v33
	s_mov_b32 s24, exec_lo
	v_cmpx_gt_u32_e32 8, v1
; %bb.20:                               ;   in Loop: Header=BB440_13 Depth=1
	v_and_b32_e32 v0, 7, v33
	s_delay_alu instid0(VALU_DEP_1) | instskip(NEXT) | instid1(VALU_DEP_1)
	v_clz_i32_u32_e32 v0, v0
	v_min_u32_e32 v0, 32, v0
	s_delay_alu instid0(VALU_DEP_1) | instskip(SKIP_1) | instid1(VALU_DEP_2)
	v_subrev_nc_u32_e32 v1, 28, v0
	v_sub_nc_u32_e32 v0, 29, v0
	v_lshlrev_b64 v[35:36], v1, v[33:34]
; %bb.21:                               ;   in Loop: Header=BB440_13 Depth=1
	s_or_b32 exec_lo, exec_lo, s24
	s_delay_alu instid0(VALU_DEP_1) | instskip(SKIP_2) | instid1(VALU_DEP_3)
	v_lshlrev_b32_e32 v1, 20, v35
	v_lshlrev_b32_e32 v2, 24, v33
	v_lshl_add_u32 v0, v0, 23, 0x3c000000
	v_and_b32_e32 v1, 0x700000, v1
	s_delay_alu instid0(VALU_DEP_3) | instskip(NEXT) | instid1(VALU_DEP_1)
	v_and_b32_e32 v2, 0x80000000, v2
	v_or3_b32 v0, v1, v2, v0
.LBB440_22:                             ;   in Loop: Header=BB440_13 Depth=1
	s_or_b32 exec_lo, exec_lo, s23
.LBB440_23:                             ;   in Loop: Header=BB440_13 Depth=1
	s_delay_alu instid0(SALU_CYCLE_1)
	s_or_b32 exec_lo, exec_lo, s22
.LBB440_24:                             ;   in Loop: Header=BB440_13 Depth=1
	s_delay_alu instid0(SALU_CYCLE_1) | instskip(SKIP_2) | instid1(VALU_DEP_1)
	s_or_b32 exec_lo, exec_lo, s21
	s_waitcnt vmcnt(0) lgkmcnt(0)
	v_mul_f32_e32 v0, v123, v0
                                        ; implicit-def: $vgpr122
	v_and_b32_e32 v1, 0x7f800000, v0
	s_delay_alu instid0(VALU_DEP_1) | instskip(NEXT) | instid1(VALU_DEP_1)
	v_cmp_ne_u32_e64 s1, 0x7f800000, v1
	s_and_saveexec_b32 s21, s1
	s_delay_alu instid0(SALU_CYCLE_1)
	s_xor_b32 s1, exec_lo, s21
; %bb.25:                               ;   in Loop: Header=BB440_13 Depth=1
	v_bfe_u32 v1, v0, 16, 1
	s_delay_alu instid0(VALU_DEP_1)
	v_add3_u32 v122, v0, v1, 0x7fff
                                        ; implicit-def: $vgpr0
; %bb.26:                               ;   in Loop: Header=BB440_13 Depth=1
	s_and_not1_saveexec_b32 s21, s1
; %bb.27:                               ;   in Loop: Header=BB440_13 Depth=1
	v_and_b32_e32 v1, 0xffff, v0
	v_or_b32_e32 v2, 0x10000, v0
	s_delay_alu instid0(VALU_DEP_2) | instskip(NEXT) | instid1(VALU_DEP_1)
	v_cmp_eq_u32_e64 s1, 0, v1
	v_cndmask_b32_e64 v122, v2, v0, s1
; %bb.28:                               ;   in Loop: Header=BB440_13 Depth=1
	s_or_b32 exec_lo, exec_lo, s21
	v_lshrrev_b16 v1, 8, v33
	v_mov_b32_e32 v0, 0
	s_mov_b32 s21, exec_lo
	s_delay_alu instid0(VALU_DEP_2)
	v_cmpx_ne_u16_e32 0, v1
	s_cbranch_execz .LBB440_36
; %bb.29:                               ;   in Loop: Header=BB440_13 Depth=1
	v_bfrev_b32_e32 v0, 1
	s_mov_b32 s22, exec_lo
	v_cmpx_ne_u16_e32 0x80, v1
	s_cbranch_execz .LBB440_35
; %bb.30:                               ;   in Loop: Header=BB440_13 Depth=1
	v_and_b32_e32 v2, 0xffff, v1
	v_mov_b32_e32 v0, 0x7f800001
	s_mov_b32 s23, exec_lo
	s_delay_alu instid0(VALU_DEP_2) | instskip(NEXT) | instid1(VALU_DEP_1)
	v_and_b32_e32 v1, 0x7f, v2
	v_cmpx_ne_u32_e32 0x7f, v1
	s_cbranch_execz .LBB440_34
; %bb.31:                               ;   in Loop: Header=BB440_13 Depth=1
	v_and_b32_e32 v19, 7, v2
	v_lshrrev_b32_e32 v0, 3, v1
	s_mov_b32 s24, exec_lo
	v_cmpx_gt_u32_e32 8, v1
; %bb.32:                               ;   in Loop: Header=BB440_13 Depth=1
	s_delay_alu instid0(VALU_DEP_3) | instskip(NEXT) | instid1(VALU_DEP_1)
	v_clz_i32_u32_e32 v0, v19
	v_min_u32_e32 v0, 32, v0
	s_delay_alu instid0(VALU_DEP_1) | instskip(SKIP_1) | instid1(VALU_DEP_2)
	v_subrev_nc_u32_e32 v1, 28, v0
	v_sub_nc_u32_e32 v0, 29, v0
	v_lshlrev_b64 v[1:2], v1, v[19:20]
	s_delay_alu instid0(VALU_DEP_1)
	v_and_b32_e32 v19, 7, v1
; %bb.33:                               ;   in Loop: Header=BB440_13 Depth=1
	s_or_b32 exec_lo, exec_lo, s24
	v_lshlrev_b32_e32 v1, 16, v33
	s_delay_alu instid0(VALU_DEP_2) | instskip(SKIP_1) | instid1(VALU_DEP_3)
	v_lshlrev_b32_e32 v2, 20, v19
	v_lshl_add_u32 v0, v0, 23, 0x3c000000
	v_and_b32_e32 v1, 0x80000000, v1
	s_delay_alu instid0(VALU_DEP_1)
	v_or3_b32 v0, v2, v1, v0
.LBB440_34:                             ;   in Loop: Header=BB440_13 Depth=1
	s_or_b32 exec_lo, exec_lo, s23
.LBB440_35:                             ;   in Loop: Header=BB440_13 Depth=1
	s_delay_alu instid0(SALU_CYCLE_1)
	s_or_b32 exec_lo, exec_lo, s22
.LBB440_36:                             ;   in Loop: Header=BB440_13 Depth=1
	s_delay_alu instid0(SALU_CYCLE_1) | instskip(NEXT) | instid1(VALU_DEP_1)
	s_or_b32 exec_lo, exec_lo, s21
	v_mul_f32_e32 v0, v123, v0
                                        ; implicit-def: $vgpr124
	s_delay_alu instid0(VALU_DEP_1) | instskip(NEXT) | instid1(VALU_DEP_1)
	v_and_b32_e32 v1, 0x7f800000, v0
	v_cmp_ne_u32_e64 s1, 0x7f800000, v1
	s_delay_alu instid0(VALU_DEP_1) | instskip(NEXT) | instid1(SALU_CYCLE_1)
	s_and_saveexec_b32 s21, s1
	s_xor_b32 s1, exec_lo, s21
; %bb.37:                               ;   in Loop: Header=BB440_13 Depth=1
	v_bfe_u32 v1, v0, 16, 1
	s_delay_alu instid0(VALU_DEP_1)
	v_add3_u32 v124, v0, v1, 0x7fff
                                        ; implicit-def: $vgpr0
; %bb.38:                               ;   in Loop: Header=BB440_13 Depth=1
	s_and_not1_saveexec_b32 s21, s1
; %bb.39:                               ;   in Loop: Header=BB440_13 Depth=1
	v_and_b32_e32 v1, 0xffff, v0
	v_or_b32_e32 v2, 0x10000, v0
	s_delay_alu instid0(VALU_DEP_2) | instskip(NEXT) | instid1(VALU_DEP_1)
	v_cmp_eq_u32_e64 s1, 0, v1
	v_cndmask_b32_e64 v124, v2, v0, s1
; %bb.40:                               ;   in Loop: Header=BB440_13 Depth=1
	s_or_b32 exec_lo, exec_lo, s21
	v_lshrrev_b32_e32 v0, 16, v33
	s_mov_b32 s21, exec_lo
	s_delay_alu instid0(VALU_DEP_1) | instskip(NEXT) | instid1(VALU_DEP_1)
	v_dual_mov_b32 v1, 0 :: v_dual_and_b32 v2, 0xff, v0
	v_cmpx_ne_u16_e32 0, v2
	s_cbranch_execz .LBB440_48
; %bb.41:                               ;   in Loop: Header=BB440_13 Depth=1
	v_bfrev_b32_e32 v1, 1
	s_mov_b32 s22, exec_lo
	v_cmpx_ne_u16_e32 0x80, v2
	s_cbranch_execz .LBB440_47
; %bb.42:                               ;   in Loop: Header=BB440_13 Depth=1
	v_bfe_u32 v2, v33, 16, 7
	v_mov_b32_e32 v1, 0x7f800001
	s_mov_b32 s23, exec_lo
	s_delay_alu instid0(VALU_DEP_2)
	v_cmpx_ne_u32_e32 0x7f, v2
	s_cbranch_execz .LBB440_46
; %bb.43:                               ;   in Loop: Header=BB440_13 Depth=1
	v_and_b32_e32 v19, 7, v0
	v_lshrrev_b32_e32 v1, 3, v2
	s_mov_b32 s24, exec_lo
	v_cmpx_gt_u32_e32 8, v2
; %bb.44:                               ;   in Loop: Header=BB440_13 Depth=1
	s_delay_alu instid0(VALU_DEP_3) | instskip(NEXT) | instid1(VALU_DEP_1)
	v_clz_i32_u32_e32 v1, v19
	v_min_u32_e32 v1, 32, v1
	s_delay_alu instid0(VALU_DEP_1) | instskip(SKIP_1) | instid1(VALU_DEP_2)
	v_subrev_nc_u32_e32 v2, 28, v1
	v_sub_nc_u32_e32 v1, 29, v1
	v_lshlrev_b64 v[2:3], v2, v[19:20]
	s_delay_alu instid0(VALU_DEP_1)
	v_and_b32_e32 v19, 7, v2
; %bb.45:                               ;   in Loop: Header=BB440_13 Depth=1
	s_or_b32 exec_lo, exec_lo, s24
	v_lshlrev_b32_e32 v0, 24, v0
	s_delay_alu instid0(VALU_DEP_2) | instskip(SKIP_1) | instid1(VALU_DEP_3)
	v_lshlrev_b32_e32 v2, 20, v19
	v_lshl_add_u32 v1, v1, 23, 0x3c000000
	v_and_b32_e32 v0, 0x80000000, v0
	s_delay_alu instid0(VALU_DEP_1)
	v_or3_b32 v1, v2, v0, v1
.LBB440_46:                             ;   in Loop: Header=BB440_13 Depth=1
	s_or_b32 exec_lo, exec_lo, s23
.LBB440_47:                             ;   in Loop: Header=BB440_13 Depth=1
	s_delay_alu instid0(SALU_CYCLE_1)
	s_or_b32 exec_lo, exec_lo, s22
.LBB440_48:                             ;   in Loop: Header=BB440_13 Depth=1
	s_delay_alu instid0(SALU_CYCLE_1) | instskip(NEXT) | instid1(VALU_DEP_1)
	s_or_b32 exec_lo, exec_lo, s21
	v_mul_f32_e32 v0, v123, v1
                                        ; implicit-def: $vgpr125
	s_delay_alu instid0(VALU_DEP_1) | instskip(NEXT) | instid1(VALU_DEP_1)
	v_and_b32_e32 v1, 0x7f800000, v0
	v_cmp_ne_u32_e64 s1, 0x7f800000, v1
	s_delay_alu instid0(VALU_DEP_1) | instskip(NEXT) | instid1(SALU_CYCLE_1)
	s_and_saveexec_b32 s21, s1
	s_xor_b32 s1, exec_lo, s21
; %bb.49:                               ;   in Loop: Header=BB440_13 Depth=1
	v_bfe_u32 v1, v0, 16, 1
	s_delay_alu instid0(VALU_DEP_1)
	v_add3_u32 v125, v0, v1, 0x7fff
                                        ; implicit-def: $vgpr0
; %bb.50:                               ;   in Loop: Header=BB440_13 Depth=1
	s_and_not1_saveexec_b32 s21, s1
; %bb.51:                               ;   in Loop: Header=BB440_13 Depth=1
	v_and_b32_e32 v1, 0xffff, v0
	v_or_b32_e32 v2, 0x10000, v0
	s_delay_alu instid0(VALU_DEP_2) | instskip(NEXT) | instid1(VALU_DEP_1)
	v_cmp_eq_u32_e64 s1, 0, v1
	v_cndmask_b32_e64 v125, v2, v0, s1
; %bb.52:                               ;   in Loop: Header=BB440_13 Depth=1
	s_or_b32 exec_lo, exec_lo, s21
	v_mov_b32_e32 v1, 0
	s_mov_b32 s21, exec_lo
	v_cmpx_lt_u32_e32 0xffffff, v33
	s_cbranch_execz .LBB440_60
; %bb.53:                               ;   in Loop: Header=BB440_13 Depth=1
	v_lshrrev_b32_e32 v0, 24, v33
	v_bfrev_b32_e32 v1, 1
	s_mov_b32 s22, exec_lo
	s_delay_alu instid0(VALU_DEP_2)
	v_cmpx_ne_u32_e32 0x80, v0
	s_cbranch_execz .LBB440_59
; %bb.54:                               ;   in Loop: Header=BB440_13 Depth=1
	v_bfe_u32 v2, v33, 24, 7
	v_mov_b32_e32 v1, 0x7f800001
	s_mov_b32 s23, exec_lo
	s_delay_alu instid0(VALU_DEP_2)
	v_cmpx_ne_u32_e32 0x7f, v2
	s_cbranch_execz .LBB440_58
; %bb.55:                               ;   in Loop: Header=BB440_13 Depth=1
	v_and_b32_e32 v19, 7, v0
	v_lshrrev_b32_e32 v1, 3, v2
	s_mov_b32 s24, exec_lo
	v_cmpx_gt_u32_e32 8, v2
; %bb.56:                               ;   in Loop: Header=BB440_13 Depth=1
	s_delay_alu instid0(VALU_DEP_3) | instskip(NEXT) | instid1(VALU_DEP_1)
	v_clz_i32_u32_e32 v1, v19
	v_min_u32_e32 v1, 32, v1
	s_delay_alu instid0(VALU_DEP_1) | instskip(SKIP_1) | instid1(VALU_DEP_2)
	v_subrev_nc_u32_e32 v2, 28, v1
	v_sub_nc_u32_e32 v1, 29, v1
	v_lshlrev_b64 v[2:3], v2, v[19:20]
	s_delay_alu instid0(VALU_DEP_1)
	v_and_b32_e32 v19, 7, v2
; %bb.57:                               ;   in Loop: Header=BB440_13 Depth=1
	s_or_b32 exec_lo, exec_lo, s24
	v_lshlrev_b32_e32 v0, 24, v0
	s_delay_alu instid0(VALU_DEP_2) | instskip(SKIP_1) | instid1(VALU_DEP_3)
	v_lshlrev_b32_e32 v2, 20, v19
	v_lshl_add_u32 v1, v1, 23, 0x3c000000
	v_and_b32_e32 v0, 0x80000000, v0
	s_delay_alu instid0(VALU_DEP_1)
	v_or3_b32 v1, v2, v0, v1
.LBB440_58:                             ;   in Loop: Header=BB440_13 Depth=1
	s_or_b32 exec_lo, exec_lo, s23
.LBB440_59:                             ;   in Loop: Header=BB440_13 Depth=1
	s_delay_alu instid0(SALU_CYCLE_1)
	s_or_b32 exec_lo, exec_lo, s22
.LBB440_60:                             ;   in Loop: Header=BB440_13 Depth=1
	s_delay_alu instid0(SALU_CYCLE_1) | instskip(NEXT) | instid1(VALU_DEP_1)
	s_or_b32 exec_lo, exec_lo, s21
	v_mul_f32_e32 v0, v123, v1
                                        ; implicit-def: $vgpr126
	s_delay_alu instid0(VALU_DEP_1) | instskip(NEXT) | instid1(VALU_DEP_1)
	v_and_b32_e32 v1, 0x7f800000, v0
	v_cmp_ne_u32_e64 s1, 0x7f800000, v1
	s_delay_alu instid0(VALU_DEP_1) | instskip(NEXT) | instid1(SALU_CYCLE_1)
	s_and_saveexec_b32 s21, s1
	s_xor_b32 s1, exec_lo, s21
; %bb.61:                               ;   in Loop: Header=BB440_13 Depth=1
	v_bfe_u32 v1, v0, 16, 1
	s_delay_alu instid0(VALU_DEP_1)
	v_add3_u32 v126, v0, v1, 0x7fff
                                        ; implicit-def: $vgpr0
; %bb.62:                               ;   in Loop: Header=BB440_13 Depth=1
	s_and_not1_saveexec_b32 s21, s1
; %bb.63:                               ;   in Loop: Header=BB440_13 Depth=1
	v_and_b32_e32 v1, 0xffff, v0
	v_or_b32_e32 v2, 0x10000, v0
	s_delay_alu instid0(VALU_DEP_2) | instskip(NEXT) | instid1(VALU_DEP_1)
	v_cmp_eq_u32_e64 s1, 0, v1
	v_cndmask_b32_e64 v126, v2, v0, s1
; %bb.64:                               ;   in Loop: Header=BB440_13 Depth=1
	s_or_b32 exec_lo, exec_lo, s21
	v_dual_mov_b32 v0, 0 :: v_dual_and_b32 v1, 0xff, v34
	v_mov_b32_e32 v19, v34
	s_mov_b32 s21, exec_lo
	s_delay_alu instid0(VALU_DEP_2)
	v_cmpx_ne_u16_e32 0, v1
	s_cbranch_execz .LBB440_72
; %bb.65:                               ;   in Loop: Header=BB440_13 Depth=1
	v_bfrev_b32_e32 v0, 1
	s_mov_b32 s22, exec_lo
	v_cmpx_ne_u16_e32 0x80, v1
	s_cbranch_execz .LBB440_71
; %bb.66:                               ;   in Loop: Header=BB440_13 Depth=1
	v_and_b32_e32 v1, 0x7f, v34
	v_mov_b32_e32 v0, 0x7f800001
	s_mov_b32 s23, exec_lo
	s_delay_alu instid0(VALU_DEP_2)
	v_cmpx_ne_u32_e32 0x7f, v1
	s_cbranch_execz .LBB440_70
; %bb.67:                               ;   in Loop: Header=BB440_13 Depth=1
	v_lshrrev_b32_e32 v0, 3, v1
	v_dual_mov_b32 v36, v20 :: v_dual_mov_b32 v35, v19
	s_mov_b32 s24, exec_lo
	v_cmpx_gt_u32_e32 8, v1
; %bb.68:                               ;   in Loop: Header=BB440_13 Depth=1
	v_and_b32_e32 v0, 7, v34
	s_delay_alu instid0(VALU_DEP_1) | instskip(NEXT) | instid1(VALU_DEP_1)
	v_clz_i32_u32_e32 v0, v0
	v_min_u32_e32 v0, 32, v0
	s_delay_alu instid0(VALU_DEP_1) | instskip(SKIP_1) | instid1(VALU_DEP_2)
	v_subrev_nc_u32_e32 v1, 28, v0
	v_sub_nc_u32_e32 v0, 29, v0
	v_lshlrev_b64 v[35:36], v1, v[19:20]
; %bb.69:                               ;   in Loop: Header=BB440_13 Depth=1
	s_or_b32 exec_lo, exec_lo, s24
	s_delay_alu instid0(VALU_DEP_1) | instskip(SKIP_2) | instid1(VALU_DEP_3)
	v_lshlrev_b32_e32 v1, 20, v35
	v_lshlrev_b32_e32 v2, 24, v19
	v_lshl_add_u32 v0, v0, 23, 0x3c000000
	v_and_b32_e32 v1, 0x700000, v1
	s_delay_alu instid0(VALU_DEP_3) | instskip(NEXT) | instid1(VALU_DEP_1)
	v_and_b32_e32 v2, 0x80000000, v2
	v_or3_b32 v0, v1, v2, v0
.LBB440_70:                             ;   in Loop: Header=BB440_13 Depth=1
	s_or_b32 exec_lo, exec_lo, s23
.LBB440_71:                             ;   in Loop: Header=BB440_13 Depth=1
	s_delay_alu instid0(SALU_CYCLE_1)
	s_or_b32 exec_lo, exec_lo, s22
.LBB440_72:                             ;   in Loop: Header=BB440_13 Depth=1
	s_delay_alu instid0(SALU_CYCLE_1) | instskip(NEXT) | instid1(VALU_DEP_1)
	s_or_b32 exec_lo, exec_lo, s21
	v_mul_f32_e32 v0, v123, v0
                                        ; implicit-def: $vgpr127
	s_delay_alu instid0(VALU_DEP_1) | instskip(NEXT) | instid1(VALU_DEP_1)
	v_and_b32_e32 v1, 0x7f800000, v0
	v_cmp_ne_u32_e64 s1, 0x7f800000, v1
	s_delay_alu instid0(VALU_DEP_1) | instskip(NEXT) | instid1(SALU_CYCLE_1)
	s_and_saveexec_b32 s21, s1
	s_xor_b32 s1, exec_lo, s21
; %bb.73:                               ;   in Loop: Header=BB440_13 Depth=1
	v_bfe_u32 v1, v0, 16, 1
	s_delay_alu instid0(VALU_DEP_1)
	v_add3_u32 v127, v0, v1, 0x7fff
                                        ; implicit-def: $vgpr0
; %bb.74:                               ;   in Loop: Header=BB440_13 Depth=1
	s_and_not1_saveexec_b32 s21, s1
; %bb.75:                               ;   in Loop: Header=BB440_13 Depth=1
	v_and_b32_e32 v1, 0xffff, v0
	v_or_b32_e32 v2, 0x10000, v0
	s_delay_alu instid0(VALU_DEP_2) | instskip(NEXT) | instid1(VALU_DEP_1)
	v_cmp_eq_u32_e64 s1, 0, v1
	v_cndmask_b32_e64 v127, v2, v0, s1
; %bb.76:                               ;   in Loop: Header=BB440_13 Depth=1
	s_or_b32 exec_lo, exec_lo, s21
	v_lshrrev_b16 v1, 8, v19
	v_mov_b32_e32 v0, 0
	s_mov_b32 s21, exec_lo
	s_delay_alu instid0(VALU_DEP_2)
	v_cmpx_ne_u16_e32 0, v1
	s_cbranch_execz .LBB440_84
; %bb.77:                               ;   in Loop: Header=BB440_13 Depth=1
	v_bfrev_b32_e32 v0, 1
	s_mov_b32 s22, exec_lo
	v_cmpx_ne_u16_e32 0x80, v1
	s_cbranch_execz .LBB440_83
; %bb.78:                               ;   in Loop: Header=BB440_13 Depth=1
	v_and_b32_e32 v2, 0xffff, v1
	v_mov_b32_e32 v0, 0x7f800001
	s_mov_b32 s23, exec_lo
	s_delay_alu instid0(VALU_DEP_2) | instskip(NEXT) | instid1(VALU_DEP_1)
	v_and_b32_e32 v1, 0x7f, v2
	v_cmpx_ne_u32_e32 0x7f, v1
	s_cbranch_execz .LBB440_82
; %bb.79:                               ;   in Loop: Header=BB440_13 Depth=1
	v_dual_mov_b32 v36, v20 :: v_dual_and_b32 v35, 7, v2
	v_lshrrev_b32_e32 v0, 3, v1
	s_mov_b32 s24, exec_lo
	v_cmpx_gt_u32_e32 8, v1
; %bb.80:                               ;   in Loop: Header=BB440_13 Depth=1
	s_delay_alu instid0(VALU_DEP_3) | instskip(NEXT) | instid1(VALU_DEP_1)
	v_clz_i32_u32_e32 v0, v35
	v_min_u32_e32 v0, 32, v0
	s_delay_alu instid0(VALU_DEP_1) | instskip(SKIP_1) | instid1(VALU_DEP_2)
	v_subrev_nc_u32_e32 v1, 28, v0
	v_sub_nc_u32_e32 v0, 29, v0
	v_lshlrev_b64 v[1:2], v1, v[35:36]
	s_delay_alu instid0(VALU_DEP_1)
	v_and_b32_e32 v35, 7, v1
; %bb.81:                               ;   in Loop: Header=BB440_13 Depth=1
	s_or_b32 exec_lo, exec_lo, s24
	v_lshlrev_b32_e32 v1, 16, v19
	s_delay_alu instid0(VALU_DEP_2) | instskip(SKIP_1) | instid1(VALU_DEP_3)
	v_lshlrev_b32_e32 v2, 20, v35
	v_lshl_add_u32 v0, v0, 23, 0x3c000000
	v_and_b32_e32 v1, 0x80000000, v1
	s_delay_alu instid0(VALU_DEP_1)
	v_or3_b32 v0, v2, v1, v0
.LBB440_82:                             ;   in Loop: Header=BB440_13 Depth=1
	s_or_b32 exec_lo, exec_lo, s23
.LBB440_83:                             ;   in Loop: Header=BB440_13 Depth=1
	s_delay_alu instid0(SALU_CYCLE_1)
	s_or_b32 exec_lo, exec_lo, s22
.LBB440_84:                             ;   in Loop: Header=BB440_13 Depth=1
	s_delay_alu instid0(SALU_CYCLE_1) | instskip(NEXT) | instid1(VALU_DEP_1)
	s_or_b32 exec_lo, exec_lo, s21
	v_mul_f32_e32 v0, v123, v0
                                        ; implicit-def: $vgpr136
	s_delay_alu instid0(VALU_DEP_1) | instskip(NEXT) | instid1(VALU_DEP_1)
	v_and_b32_e32 v1, 0x7f800000, v0
	v_cmp_ne_u32_e64 s1, 0x7f800000, v1
	s_delay_alu instid0(VALU_DEP_1) | instskip(NEXT) | instid1(SALU_CYCLE_1)
	s_and_saveexec_b32 s21, s1
	s_xor_b32 s1, exec_lo, s21
; %bb.85:                               ;   in Loop: Header=BB440_13 Depth=1
	v_bfe_u32 v1, v0, 16, 1
	s_delay_alu instid0(VALU_DEP_1)
	v_add3_u32 v136, v0, v1, 0x7fff
                                        ; implicit-def: $vgpr0
; %bb.86:                               ;   in Loop: Header=BB440_13 Depth=1
	s_and_not1_saveexec_b32 s21, s1
; %bb.87:                               ;   in Loop: Header=BB440_13 Depth=1
	v_and_b32_e32 v1, 0xffff, v0
	v_or_b32_e32 v2, 0x10000, v0
	s_delay_alu instid0(VALU_DEP_2) | instskip(NEXT) | instid1(VALU_DEP_1)
	v_cmp_eq_u32_e64 s1, 0, v1
	v_cndmask_b32_e64 v136, v2, v0, s1
; %bb.88:                               ;   in Loop: Header=BB440_13 Depth=1
	s_or_b32 exec_lo, exec_lo, s21
	v_lshrrev_b32_e32 v0, 16, v34
	s_mov_b32 s21, exec_lo
	s_delay_alu instid0(VALU_DEP_1) | instskip(NEXT) | instid1(VALU_DEP_1)
	v_dual_mov_b32 v1, 0 :: v_dual_and_b32 v2, 0xff, v0
	v_cmpx_ne_u16_e32 0, v2
	s_cbranch_execz .LBB440_96
; %bb.89:                               ;   in Loop: Header=BB440_13 Depth=1
	v_bfrev_b32_e32 v1, 1
	s_mov_b32 s22, exec_lo
	v_cmpx_ne_u16_e32 0x80, v2
	s_cbranch_execz .LBB440_95
; %bb.90:                               ;   in Loop: Header=BB440_13 Depth=1
	v_bfe_u32 v2, v34, 16, 7
	v_mov_b32_e32 v1, 0x7f800001
	s_mov_b32 s23, exec_lo
	s_delay_alu instid0(VALU_DEP_2)
	v_cmpx_ne_u32_e32 0x7f, v2
	s_cbranch_execz .LBB440_94
; %bb.91:                               ;   in Loop: Header=BB440_13 Depth=1
	v_and_b32_e32 v19, 7, v0
	v_lshrrev_b32_e32 v1, 3, v2
	s_mov_b32 s24, exec_lo
	v_cmpx_gt_u32_e32 8, v2
; %bb.92:                               ;   in Loop: Header=BB440_13 Depth=1
	s_delay_alu instid0(VALU_DEP_3) | instskip(NEXT) | instid1(VALU_DEP_1)
	v_clz_i32_u32_e32 v1, v19
	v_min_u32_e32 v1, 32, v1
	s_delay_alu instid0(VALU_DEP_1) | instskip(SKIP_1) | instid1(VALU_DEP_2)
	v_subrev_nc_u32_e32 v2, 28, v1
	v_sub_nc_u32_e32 v1, 29, v1
	v_lshlrev_b64 v[2:3], v2, v[19:20]
	s_delay_alu instid0(VALU_DEP_1)
	v_and_b32_e32 v19, 7, v2
; %bb.93:                               ;   in Loop: Header=BB440_13 Depth=1
	s_or_b32 exec_lo, exec_lo, s24
	v_lshlrev_b32_e32 v0, 24, v0
	s_delay_alu instid0(VALU_DEP_2) | instskip(SKIP_1) | instid1(VALU_DEP_3)
	v_lshlrev_b32_e32 v2, 20, v19
	v_lshl_add_u32 v1, v1, 23, 0x3c000000
	v_and_b32_e32 v0, 0x80000000, v0
	s_delay_alu instid0(VALU_DEP_1)
	v_or3_b32 v1, v2, v0, v1
.LBB440_94:                             ;   in Loop: Header=BB440_13 Depth=1
	s_or_b32 exec_lo, exec_lo, s23
.LBB440_95:                             ;   in Loop: Header=BB440_13 Depth=1
	s_delay_alu instid0(SALU_CYCLE_1)
	s_or_b32 exec_lo, exec_lo, s22
.LBB440_96:                             ;   in Loop: Header=BB440_13 Depth=1
	s_delay_alu instid0(SALU_CYCLE_1) | instskip(NEXT) | instid1(VALU_DEP_1)
	s_or_b32 exec_lo, exec_lo, s21
	v_mul_f32_e32 v0, v123, v1
                                        ; implicit-def: $vgpr137
	s_delay_alu instid0(VALU_DEP_1) | instskip(NEXT) | instid1(VALU_DEP_1)
	v_and_b32_e32 v1, 0x7f800000, v0
	v_cmp_ne_u32_e64 s1, 0x7f800000, v1
	s_delay_alu instid0(VALU_DEP_1) | instskip(NEXT) | instid1(SALU_CYCLE_1)
	s_and_saveexec_b32 s21, s1
	s_xor_b32 s1, exec_lo, s21
; %bb.97:                               ;   in Loop: Header=BB440_13 Depth=1
	v_bfe_u32 v1, v0, 16, 1
	s_delay_alu instid0(VALU_DEP_1)
	v_add3_u32 v137, v0, v1, 0x7fff
                                        ; implicit-def: $vgpr0
; %bb.98:                               ;   in Loop: Header=BB440_13 Depth=1
	s_and_not1_saveexec_b32 s21, s1
; %bb.99:                               ;   in Loop: Header=BB440_13 Depth=1
	v_and_b32_e32 v1, 0xffff, v0
	v_or_b32_e32 v2, 0x10000, v0
	s_delay_alu instid0(VALU_DEP_2) | instskip(NEXT) | instid1(VALU_DEP_1)
	v_cmp_eq_u32_e64 s1, 0, v1
	v_cndmask_b32_e64 v137, v2, v0, s1
; %bb.100:                              ;   in Loop: Header=BB440_13 Depth=1
	s_or_b32 exec_lo, exec_lo, s21
	v_mov_b32_e32 v1, 0
	s_mov_b32 s21, exec_lo
	v_cmpx_lt_u64_e64 s[16:17], v[33:34]
	s_cbranch_execz .LBB440_108
; %bb.101:                              ;   in Loop: Header=BB440_13 Depth=1
	v_lshrrev_b32_e32 v0, 24, v34
	v_bfrev_b32_e32 v1, 1
	s_mov_b32 s22, exec_lo
	s_delay_alu instid0(VALU_DEP_2)
	v_cmpx_ne_u32_e32 0x80, v0
	s_cbranch_execz .LBB440_107
; %bb.102:                              ;   in Loop: Header=BB440_13 Depth=1
	v_bfe_u32 v2, v34, 24, 7
	v_mov_b32_e32 v1, 0x7f800001
	s_mov_b32 s23, exec_lo
	s_delay_alu instid0(VALU_DEP_2)
	v_cmpx_ne_u32_e32 0x7f, v2
	s_cbranch_execz .LBB440_106
; %bb.103:                              ;   in Loop: Header=BB440_13 Depth=1
	v_and_b32_e32 v19, 7, v0
	v_lshrrev_b32_e32 v1, 3, v2
	s_mov_b32 s24, exec_lo
	v_cmpx_gt_u32_e32 8, v2
; %bb.104:                              ;   in Loop: Header=BB440_13 Depth=1
	s_delay_alu instid0(VALU_DEP_3) | instskip(NEXT) | instid1(VALU_DEP_1)
	v_clz_i32_u32_e32 v1, v19
	v_min_u32_e32 v1, 32, v1
	s_delay_alu instid0(VALU_DEP_1) | instskip(SKIP_1) | instid1(VALU_DEP_2)
	v_subrev_nc_u32_e32 v2, 28, v1
	v_sub_nc_u32_e32 v1, 29, v1
	v_lshlrev_b64 v[2:3], v2, v[19:20]
	s_delay_alu instid0(VALU_DEP_1)
	v_and_b32_e32 v19, 7, v2
; %bb.105:                              ;   in Loop: Header=BB440_13 Depth=1
	s_or_b32 exec_lo, exec_lo, s24
	v_lshlrev_b32_e32 v0, 24, v0
	s_delay_alu instid0(VALU_DEP_2) | instskip(SKIP_1) | instid1(VALU_DEP_3)
	v_lshlrev_b32_e32 v2, 20, v19
	v_lshl_add_u32 v1, v1, 23, 0x3c000000
	v_and_b32_e32 v0, 0x80000000, v0
	s_delay_alu instid0(VALU_DEP_1)
	v_or3_b32 v1, v2, v0, v1
.LBB440_106:                            ;   in Loop: Header=BB440_13 Depth=1
	s_or_b32 exec_lo, exec_lo, s23
.LBB440_107:                            ;   in Loop: Header=BB440_13 Depth=1
	s_delay_alu instid0(SALU_CYCLE_1)
	s_or_b32 exec_lo, exec_lo, s22
.LBB440_108:                            ;   in Loop: Header=BB440_13 Depth=1
	s_delay_alu instid0(SALU_CYCLE_1) | instskip(NEXT) | instid1(VALU_DEP_1)
	s_or_b32 exec_lo, exec_lo, s21
	v_mul_f32_e32 v0, v123, v1
                                        ; implicit-def: $vgpr138
	s_delay_alu instid0(VALU_DEP_1) | instskip(NEXT) | instid1(VALU_DEP_1)
	v_and_b32_e32 v1, 0x7f800000, v0
	v_cmp_ne_u32_e64 s1, 0x7f800000, v1
	s_delay_alu instid0(VALU_DEP_1) | instskip(NEXT) | instid1(SALU_CYCLE_1)
	s_and_saveexec_b32 s21, s1
	s_xor_b32 s1, exec_lo, s21
; %bb.109:                              ;   in Loop: Header=BB440_13 Depth=1
	v_bfe_u32 v1, v0, 16, 1
	s_delay_alu instid0(VALU_DEP_1)
	v_add3_u32 v138, v0, v1, 0x7fff
                                        ; implicit-def: $vgpr0
; %bb.110:                              ;   in Loop: Header=BB440_13 Depth=1
	s_and_not1_saveexec_b32 s21, s1
; %bb.111:                              ;   in Loop: Header=BB440_13 Depth=1
	v_and_b32_e32 v1, 0xffff, v0
	v_or_b32_e32 v2, 0x10000, v0
	s_delay_alu instid0(VALU_DEP_2) | instskip(NEXT) | instid1(VALU_DEP_1)
	v_cmp_eq_u32_e64 s1, 0, v1
	v_cndmask_b32_e64 v138, v2, v0, s1
; %bb.112:                              ;   in Loop: Header=BB440_13 Depth=1
	s_or_b32 exec_lo, exec_lo, s21
	flat_load_b64 v[33:34], v[31:32] offset:8
	s_mov_b32 s21, exec_lo
	s_waitcnt vmcnt(0) lgkmcnt(0)
	v_dual_mov_b32 v0, 0 :: v_dual_and_b32 v1, 0xff, v33
	s_delay_alu instid0(VALU_DEP_1)
	v_cmpx_ne_u16_e32 0, v1
	s_cbranch_execz .LBB440_120
; %bb.113:                              ;   in Loop: Header=BB440_13 Depth=1
	v_bfrev_b32_e32 v0, 1
	s_mov_b32 s22, exec_lo
	v_cmpx_ne_u16_e32 0x80, v1
	s_cbranch_execz .LBB440_119
; %bb.114:                              ;   in Loop: Header=BB440_13 Depth=1
	v_and_b32_e32 v1, 0x7f, v33
	v_mov_b32_e32 v0, 0x7f800001
	s_mov_b32 s23, exec_lo
	s_delay_alu instid0(VALU_DEP_2)
	v_cmpx_ne_u32_e32 0x7f, v1
	s_cbranch_execz .LBB440_118
; %bb.115:                              ;   in Loop: Header=BB440_13 Depth=1
	v_lshrrev_b32_e32 v0, 3, v1
	v_dual_mov_b32 v36, v34 :: v_dual_mov_b32 v35, v33
	s_mov_b32 s24, exec_lo
	v_cmpx_gt_u32_e32 8, v1
; %bb.116:                              ;   in Loop: Header=BB440_13 Depth=1
	v_and_b32_e32 v0, 7, v33
	s_delay_alu instid0(VALU_DEP_1) | instskip(NEXT) | instid1(VALU_DEP_1)
	v_clz_i32_u32_e32 v0, v0
	v_min_u32_e32 v0, 32, v0
	s_delay_alu instid0(VALU_DEP_1) | instskip(SKIP_1) | instid1(VALU_DEP_2)
	v_subrev_nc_u32_e32 v1, 28, v0
	v_sub_nc_u32_e32 v0, 29, v0
	v_lshlrev_b64 v[35:36], v1, v[33:34]
; %bb.117:                              ;   in Loop: Header=BB440_13 Depth=1
	s_or_b32 exec_lo, exec_lo, s24
	s_delay_alu instid0(VALU_DEP_1) | instskip(SKIP_2) | instid1(VALU_DEP_3)
	v_lshlrev_b32_e32 v1, 20, v35
	v_lshlrev_b32_e32 v2, 24, v33
	v_lshl_add_u32 v0, v0, 23, 0x3c000000
	v_and_b32_e32 v1, 0x700000, v1
	s_delay_alu instid0(VALU_DEP_3) | instskip(NEXT) | instid1(VALU_DEP_1)
	v_and_b32_e32 v2, 0x80000000, v2
	v_or3_b32 v0, v1, v2, v0
.LBB440_118:                            ;   in Loop: Header=BB440_13 Depth=1
	s_or_b32 exec_lo, exec_lo, s23
.LBB440_119:                            ;   in Loop: Header=BB440_13 Depth=1
	s_delay_alu instid0(SALU_CYCLE_1)
	s_or_b32 exec_lo, exec_lo, s22
.LBB440_120:                            ;   in Loop: Header=BB440_13 Depth=1
	s_delay_alu instid0(SALU_CYCLE_1) | instskip(NEXT) | instid1(VALU_DEP_1)
	s_or_b32 exec_lo, exec_lo, s21
	v_mul_f32_e32 v0, v123, v0
                                        ; implicit-def: $vgpr139
	s_delay_alu instid0(VALU_DEP_1) | instskip(NEXT) | instid1(VALU_DEP_1)
	v_and_b32_e32 v1, 0x7f800000, v0
	v_cmp_ne_u32_e64 s1, 0x7f800000, v1
	s_delay_alu instid0(VALU_DEP_1) | instskip(NEXT) | instid1(SALU_CYCLE_1)
	s_and_saveexec_b32 s21, s1
	s_xor_b32 s1, exec_lo, s21
; %bb.121:                              ;   in Loop: Header=BB440_13 Depth=1
	v_bfe_u32 v1, v0, 16, 1
	s_delay_alu instid0(VALU_DEP_1)
	v_add3_u32 v139, v0, v1, 0x7fff
                                        ; implicit-def: $vgpr0
; %bb.122:                              ;   in Loop: Header=BB440_13 Depth=1
	s_and_not1_saveexec_b32 s21, s1
; %bb.123:                              ;   in Loop: Header=BB440_13 Depth=1
	v_and_b32_e32 v1, 0xffff, v0
	v_or_b32_e32 v2, 0x10000, v0
	s_delay_alu instid0(VALU_DEP_2) | instskip(NEXT) | instid1(VALU_DEP_1)
	v_cmp_eq_u32_e64 s1, 0, v1
	v_cndmask_b32_e64 v139, v2, v0, s1
; %bb.124:                              ;   in Loop: Header=BB440_13 Depth=1
	s_or_b32 exec_lo, exec_lo, s21
	v_lshrrev_b16 v1, 8, v33
	v_mov_b32_e32 v0, 0
	s_mov_b32 s21, exec_lo
	s_delay_alu instid0(VALU_DEP_2)
	v_cmpx_ne_u16_e32 0, v1
	s_cbranch_execz .LBB440_132
; %bb.125:                              ;   in Loop: Header=BB440_13 Depth=1
	v_bfrev_b32_e32 v0, 1
	s_mov_b32 s22, exec_lo
	v_cmpx_ne_u16_e32 0x80, v1
	s_cbranch_execz .LBB440_131
; %bb.126:                              ;   in Loop: Header=BB440_13 Depth=1
	v_and_b32_e32 v2, 0xffff, v1
	v_mov_b32_e32 v0, 0x7f800001
	s_mov_b32 s23, exec_lo
	s_delay_alu instid0(VALU_DEP_2) | instskip(NEXT) | instid1(VALU_DEP_1)
	v_and_b32_e32 v1, 0x7f, v2
	v_cmpx_ne_u32_e32 0x7f, v1
	s_cbranch_execz .LBB440_130
; %bb.127:                              ;   in Loop: Header=BB440_13 Depth=1
	v_and_b32_e32 v19, 7, v2
	v_lshrrev_b32_e32 v0, 3, v1
	s_mov_b32 s24, exec_lo
	v_cmpx_gt_u32_e32 8, v1
; %bb.128:                              ;   in Loop: Header=BB440_13 Depth=1
	s_delay_alu instid0(VALU_DEP_3) | instskip(NEXT) | instid1(VALU_DEP_1)
	v_clz_i32_u32_e32 v0, v19
	v_min_u32_e32 v0, 32, v0
	s_delay_alu instid0(VALU_DEP_1) | instskip(SKIP_1) | instid1(VALU_DEP_2)
	v_subrev_nc_u32_e32 v1, 28, v0
	v_sub_nc_u32_e32 v0, 29, v0
	v_lshlrev_b64 v[1:2], v1, v[19:20]
	s_delay_alu instid0(VALU_DEP_1)
	v_and_b32_e32 v19, 7, v1
; %bb.129:                              ;   in Loop: Header=BB440_13 Depth=1
	s_or_b32 exec_lo, exec_lo, s24
	v_lshlrev_b32_e32 v1, 16, v33
	s_delay_alu instid0(VALU_DEP_2) | instskip(SKIP_1) | instid1(VALU_DEP_3)
	v_lshlrev_b32_e32 v2, 20, v19
	v_lshl_add_u32 v0, v0, 23, 0x3c000000
	v_and_b32_e32 v1, 0x80000000, v1
	s_delay_alu instid0(VALU_DEP_1)
	v_or3_b32 v0, v2, v1, v0
.LBB440_130:                            ;   in Loop: Header=BB440_13 Depth=1
	s_or_b32 exec_lo, exec_lo, s23
.LBB440_131:                            ;   in Loop: Header=BB440_13 Depth=1
	s_delay_alu instid0(SALU_CYCLE_1)
	s_or_b32 exec_lo, exec_lo, s22
.LBB440_132:                            ;   in Loop: Header=BB440_13 Depth=1
	s_delay_alu instid0(SALU_CYCLE_1) | instskip(NEXT) | instid1(VALU_DEP_1)
	s_or_b32 exec_lo, exec_lo, s21
	v_mul_f32_e32 v0, v123, v0
                                        ; implicit-def: $vgpr140
	s_delay_alu instid0(VALU_DEP_1) | instskip(NEXT) | instid1(VALU_DEP_1)
	v_and_b32_e32 v1, 0x7f800000, v0
	v_cmp_ne_u32_e64 s1, 0x7f800000, v1
	s_delay_alu instid0(VALU_DEP_1) | instskip(NEXT) | instid1(SALU_CYCLE_1)
	s_and_saveexec_b32 s21, s1
	s_xor_b32 s1, exec_lo, s21
; %bb.133:                              ;   in Loop: Header=BB440_13 Depth=1
	v_bfe_u32 v1, v0, 16, 1
	s_delay_alu instid0(VALU_DEP_1)
	v_add3_u32 v140, v0, v1, 0x7fff
                                        ; implicit-def: $vgpr0
; %bb.134:                              ;   in Loop: Header=BB440_13 Depth=1
	s_and_not1_saveexec_b32 s21, s1
; %bb.135:                              ;   in Loop: Header=BB440_13 Depth=1
	v_and_b32_e32 v1, 0xffff, v0
	v_or_b32_e32 v2, 0x10000, v0
	s_delay_alu instid0(VALU_DEP_2) | instskip(NEXT) | instid1(VALU_DEP_1)
	v_cmp_eq_u32_e64 s1, 0, v1
	v_cndmask_b32_e64 v140, v2, v0, s1
; %bb.136:                              ;   in Loop: Header=BB440_13 Depth=1
	s_or_b32 exec_lo, exec_lo, s21
	v_lshrrev_b32_e32 v0, 16, v33
	s_mov_b32 s21, exec_lo
	s_delay_alu instid0(VALU_DEP_1) | instskip(NEXT) | instid1(VALU_DEP_1)
	v_dual_mov_b32 v1, 0 :: v_dual_and_b32 v2, 0xff, v0
	v_cmpx_ne_u16_e32 0, v2
	s_cbranch_execz .LBB440_144
; %bb.137:                              ;   in Loop: Header=BB440_13 Depth=1
	v_bfrev_b32_e32 v1, 1
	s_mov_b32 s22, exec_lo
	v_cmpx_ne_u16_e32 0x80, v2
	s_cbranch_execz .LBB440_143
; %bb.138:                              ;   in Loop: Header=BB440_13 Depth=1
	v_bfe_u32 v2, v33, 16, 7
	v_mov_b32_e32 v1, 0x7f800001
	s_mov_b32 s23, exec_lo
	s_delay_alu instid0(VALU_DEP_2)
	v_cmpx_ne_u32_e32 0x7f, v2
	s_cbranch_execz .LBB440_142
; %bb.139:                              ;   in Loop: Header=BB440_13 Depth=1
	v_and_b32_e32 v19, 7, v0
	v_lshrrev_b32_e32 v1, 3, v2
	s_mov_b32 s24, exec_lo
	v_cmpx_gt_u32_e32 8, v2
; %bb.140:                              ;   in Loop: Header=BB440_13 Depth=1
	s_delay_alu instid0(VALU_DEP_3) | instskip(NEXT) | instid1(VALU_DEP_1)
	v_clz_i32_u32_e32 v1, v19
	v_min_u32_e32 v1, 32, v1
	s_delay_alu instid0(VALU_DEP_1) | instskip(SKIP_1) | instid1(VALU_DEP_2)
	v_subrev_nc_u32_e32 v2, 28, v1
	v_sub_nc_u32_e32 v1, 29, v1
	v_lshlrev_b64 v[2:3], v2, v[19:20]
	s_delay_alu instid0(VALU_DEP_1)
	v_and_b32_e32 v19, 7, v2
; %bb.141:                              ;   in Loop: Header=BB440_13 Depth=1
	s_or_b32 exec_lo, exec_lo, s24
	v_lshlrev_b32_e32 v0, 24, v0
	s_delay_alu instid0(VALU_DEP_2) | instskip(SKIP_1) | instid1(VALU_DEP_3)
	v_lshlrev_b32_e32 v2, 20, v19
	v_lshl_add_u32 v1, v1, 23, 0x3c000000
	v_and_b32_e32 v0, 0x80000000, v0
	s_delay_alu instid0(VALU_DEP_1)
	v_or3_b32 v1, v2, v0, v1
.LBB440_142:                            ;   in Loop: Header=BB440_13 Depth=1
	s_or_b32 exec_lo, exec_lo, s23
.LBB440_143:                            ;   in Loop: Header=BB440_13 Depth=1
	s_delay_alu instid0(SALU_CYCLE_1)
	s_or_b32 exec_lo, exec_lo, s22
.LBB440_144:                            ;   in Loop: Header=BB440_13 Depth=1
	s_delay_alu instid0(SALU_CYCLE_1) | instskip(NEXT) | instid1(VALU_DEP_1)
	s_or_b32 exec_lo, exec_lo, s21
	v_mul_f32_e32 v0, v123, v1
                                        ; implicit-def: $vgpr141
	s_delay_alu instid0(VALU_DEP_1) | instskip(NEXT) | instid1(VALU_DEP_1)
	v_and_b32_e32 v1, 0x7f800000, v0
	v_cmp_ne_u32_e64 s1, 0x7f800000, v1
	s_delay_alu instid0(VALU_DEP_1) | instskip(NEXT) | instid1(SALU_CYCLE_1)
	s_and_saveexec_b32 s21, s1
	s_xor_b32 s1, exec_lo, s21
; %bb.145:                              ;   in Loop: Header=BB440_13 Depth=1
	v_bfe_u32 v1, v0, 16, 1
	s_delay_alu instid0(VALU_DEP_1)
	v_add3_u32 v141, v0, v1, 0x7fff
                                        ; implicit-def: $vgpr0
; %bb.146:                              ;   in Loop: Header=BB440_13 Depth=1
	s_and_not1_saveexec_b32 s21, s1
; %bb.147:                              ;   in Loop: Header=BB440_13 Depth=1
	v_and_b32_e32 v1, 0xffff, v0
	v_or_b32_e32 v2, 0x10000, v0
	s_delay_alu instid0(VALU_DEP_2) | instskip(NEXT) | instid1(VALU_DEP_1)
	v_cmp_eq_u32_e64 s1, 0, v1
	v_cndmask_b32_e64 v141, v2, v0, s1
; %bb.148:                              ;   in Loop: Header=BB440_13 Depth=1
	s_or_b32 exec_lo, exec_lo, s21
	v_mov_b32_e32 v1, 0
	s_mov_b32 s21, exec_lo
	v_cmpx_lt_u32_e32 0xffffff, v33
	s_cbranch_execz .LBB440_156
; %bb.149:                              ;   in Loop: Header=BB440_13 Depth=1
	v_lshrrev_b32_e32 v0, 24, v33
	v_bfrev_b32_e32 v1, 1
	s_mov_b32 s22, exec_lo
	s_delay_alu instid0(VALU_DEP_2)
	v_cmpx_ne_u32_e32 0x80, v0
	s_cbranch_execz .LBB440_155
; %bb.150:                              ;   in Loop: Header=BB440_13 Depth=1
	v_bfe_u32 v2, v33, 24, 7
	v_mov_b32_e32 v1, 0x7f800001
	s_mov_b32 s23, exec_lo
	s_delay_alu instid0(VALU_DEP_2)
	v_cmpx_ne_u32_e32 0x7f, v2
	s_cbranch_execz .LBB440_154
; %bb.151:                              ;   in Loop: Header=BB440_13 Depth=1
	v_and_b32_e32 v19, 7, v0
	v_lshrrev_b32_e32 v1, 3, v2
	s_mov_b32 s24, exec_lo
	v_cmpx_gt_u32_e32 8, v2
; %bb.152:                              ;   in Loop: Header=BB440_13 Depth=1
	s_delay_alu instid0(VALU_DEP_3) | instskip(NEXT) | instid1(VALU_DEP_1)
	v_clz_i32_u32_e32 v1, v19
	v_min_u32_e32 v1, 32, v1
	s_delay_alu instid0(VALU_DEP_1) | instskip(SKIP_1) | instid1(VALU_DEP_2)
	v_subrev_nc_u32_e32 v2, 28, v1
	v_sub_nc_u32_e32 v1, 29, v1
	v_lshlrev_b64 v[2:3], v2, v[19:20]
	s_delay_alu instid0(VALU_DEP_1)
	v_and_b32_e32 v19, 7, v2
; %bb.153:                              ;   in Loop: Header=BB440_13 Depth=1
	s_or_b32 exec_lo, exec_lo, s24
	v_lshlrev_b32_e32 v0, 24, v0
	s_delay_alu instid0(VALU_DEP_2) | instskip(SKIP_1) | instid1(VALU_DEP_3)
	v_lshlrev_b32_e32 v2, 20, v19
	v_lshl_add_u32 v1, v1, 23, 0x3c000000
	v_and_b32_e32 v0, 0x80000000, v0
	s_delay_alu instid0(VALU_DEP_1)
	v_or3_b32 v1, v2, v0, v1
.LBB440_154:                            ;   in Loop: Header=BB440_13 Depth=1
	s_or_b32 exec_lo, exec_lo, s23
.LBB440_155:                            ;   in Loop: Header=BB440_13 Depth=1
	s_delay_alu instid0(SALU_CYCLE_1)
	s_or_b32 exec_lo, exec_lo, s22
.LBB440_156:                            ;   in Loop: Header=BB440_13 Depth=1
	s_delay_alu instid0(SALU_CYCLE_1) | instskip(NEXT) | instid1(VALU_DEP_1)
	s_or_b32 exec_lo, exec_lo, s21
	v_mul_f32_e32 v0, v123, v1
                                        ; implicit-def: $vgpr142
	s_delay_alu instid0(VALU_DEP_1) | instskip(NEXT) | instid1(VALU_DEP_1)
	v_and_b32_e32 v1, 0x7f800000, v0
	v_cmp_ne_u32_e64 s1, 0x7f800000, v1
	s_delay_alu instid0(VALU_DEP_1) | instskip(NEXT) | instid1(SALU_CYCLE_1)
	s_and_saveexec_b32 s21, s1
	s_xor_b32 s1, exec_lo, s21
; %bb.157:                              ;   in Loop: Header=BB440_13 Depth=1
	v_bfe_u32 v1, v0, 16, 1
	s_delay_alu instid0(VALU_DEP_1)
	v_add3_u32 v142, v0, v1, 0x7fff
                                        ; implicit-def: $vgpr0
; %bb.158:                              ;   in Loop: Header=BB440_13 Depth=1
	s_and_not1_saveexec_b32 s21, s1
; %bb.159:                              ;   in Loop: Header=BB440_13 Depth=1
	v_and_b32_e32 v1, 0xffff, v0
	v_or_b32_e32 v2, 0x10000, v0
	s_delay_alu instid0(VALU_DEP_2) | instskip(NEXT) | instid1(VALU_DEP_1)
	v_cmp_eq_u32_e64 s1, 0, v1
	v_cndmask_b32_e64 v142, v2, v0, s1
; %bb.160:                              ;   in Loop: Header=BB440_13 Depth=1
	s_or_b32 exec_lo, exec_lo, s21
	v_dual_mov_b32 v0, 0 :: v_dual_and_b32 v1, 0xff, v34
	v_mov_b32_e32 v19, v34
	s_mov_b32 s21, exec_lo
	s_delay_alu instid0(VALU_DEP_2)
	v_cmpx_ne_u16_e32 0, v1
	s_cbranch_execz .LBB440_168
; %bb.161:                              ;   in Loop: Header=BB440_13 Depth=1
	v_bfrev_b32_e32 v0, 1
	s_mov_b32 s22, exec_lo
	v_cmpx_ne_u16_e32 0x80, v1
	s_cbranch_execz .LBB440_167
; %bb.162:                              ;   in Loop: Header=BB440_13 Depth=1
	v_and_b32_e32 v1, 0x7f, v34
	v_mov_b32_e32 v0, 0x7f800001
	s_mov_b32 s23, exec_lo
	s_delay_alu instid0(VALU_DEP_2)
	v_cmpx_ne_u32_e32 0x7f, v1
	s_cbranch_execz .LBB440_166
; %bb.163:                              ;   in Loop: Header=BB440_13 Depth=1
	v_lshrrev_b32_e32 v0, 3, v1
	v_dual_mov_b32 v36, v20 :: v_dual_mov_b32 v35, v19
	s_mov_b32 s24, exec_lo
	v_cmpx_gt_u32_e32 8, v1
; %bb.164:                              ;   in Loop: Header=BB440_13 Depth=1
	v_and_b32_e32 v0, 7, v34
	s_delay_alu instid0(VALU_DEP_1) | instskip(NEXT) | instid1(VALU_DEP_1)
	v_clz_i32_u32_e32 v0, v0
	v_min_u32_e32 v0, 32, v0
	s_delay_alu instid0(VALU_DEP_1) | instskip(SKIP_1) | instid1(VALU_DEP_2)
	v_subrev_nc_u32_e32 v1, 28, v0
	v_sub_nc_u32_e32 v0, 29, v0
	v_lshlrev_b64 v[35:36], v1, v[19:20]
; %bb.165:                              ;   in Loop: Header=BB440_13 Depth=1
	s_or_b32 exec_lo, exec_lo, s24
	s_delay_alu instid0(VALU_DEP_1) | instskip(SKIP_2) | instid1(VALU_DEP_3)
	v_lshlrev_b32_e32 v1, 20, v35
	v_lshlrev_b32_e32 v2, 24, v19
	v_lshl_add_u32 v0, v0, 23, 0x3c000000
	v_and_b32_e32 v1, 0x700000, v1
	s_delay_alu instid0(VALU_DEP_3) | instskip(NEXT) | instid1(VALU_DEP_1)
	v_and_b32_e32 v2, 0x80000000, v2
	v_or3_b32 v0, v1, v2, v0
.LBB440_166:                            ;   in Loop: Header=BB440_13 Depth=1
	s_or_b32 exec_lo, exec_lo, s23
.LBB440_167:                            ;   in Loop: Header=BB440_13 Depth=1
	s_delay_alu instid0(SALU_CYCLE_1)
	s_or_b32 exec_lo, exec_lo, s22
.LBB440_168:                            ;   in Loop: Header=BB440_13 Depth=1
	s_delay_alu instid0(SALU_CYCLE_1) | instskip(NEXT) | instid1(VALU_DEP_1)
	s_or_b32 exec_lo, exec_lo, s21
	v_mul_f32_e32 v0, v123, v0
                                        ; implicit-def: $vgpr143
	s_delay_alu instid0(VALU_DEP_1) | instskip(NEXT) | instid1(VALU_DEP_1)
	v_and_b32_e32 v1, 0x7f800000, v0
	v_cmp_ne_u32_e64 s1, 0x7f800000, v1
	s_delay_alu instid0(VALU_DEP_1) | instskip(NEXT) | instid1(SALU_CYCLE_1)
	s_and_saveexec_b32 s21, s1
	s_xor_b32 s1, exec_lo, s21
; %bb.169:                              ;   in Loop: Header=BB440_13 Depth=1
	v_bfe_u32 v1, v0, 16, 1
	s_delay_alu instid0(VALU_DEP_1)
	v_add3_u32 v143, v0, v1, 0x7fff
                                        ; implicit-def: $vgpr0
; %bb.170:                              ;   in Loop: Header=BB440_13 Depth=1
	s_and_not1_saveexec_b32 s21, s1
; %bb.171:                              ;   in Loop: Header=BB440_13 Depth=1
	v_and_b32_e32 v1, 0xffff, v0
	v_or_b32_e32 v2, 0x10000, v0
	s_delay_alu instid0(VALU_DEP_2) | instskip(NEXT) | instid1(VALU_DEP_1)
	v_cmp_eq_u32_e64 s1, 0, v1
	v_cndmask_b32_e64 v143, v2, v0, s1
; %bb.172:                              ;   in Loop: Header=BB440_13 Depth=1
	s_or_b32 exec_lo, exec_lo, s21
	v_lshrrev_b16 v1, 8, v19
	v_mov_b32_e32 v0, 0
	s_mov_b32 s21, exec_lo
	s_delay_alu instid0(VALU_DEP_2)
	v_cmpx_ne_u16_e32 0, v1
	s_cbranch_execz .LBB440_180
; %bb.173:                              ;   in Loop: Header=BB440_13 Depth=1
	v_bfrev_b32_e32 v0, 1
	s_mov_b32 s22, exec_lo
	v_cmpx_ne_u16_e32 0x80, v1
	s_cbranch_execz .LBB440_179
; %bb.174:                              ;   in Loop: Header=BB440_13 Depth=1
	v_and_b32_e32 v2, 0xffff, v1
	v_mov_b32_e32 v0, 0x7f800001
	s_mov_b32 s23, exec_lo
	s_delay_alu instid0(VALU_DEP_2) | instskip(NEXT) | instid1(VALU_DEP_1)
	v_and_b32_e32 v1, 0x7f, v2
	v_cmpx_ne_u32_e32 0x7f, v1
	s_cbranch_execz .LBB440_178
; %bb.175:                              ;   in Loop: Header=BB440_13 Depth=1
	v_dual_mov_b32 v36, v20 :: v_dual_and_b32 v35, 7, v2
	v_lshrrev_b32_e32 v0, 3, v1
	s_mov_b32 s24, exec_lo
	v_cmpx_gt_u32_e32 8, v1
; %bb.176:                              ;   in Loop: Header=BB440_13 Depth=1
	s_delay_alu instid0(VALU_DEP_3) | instskip(NEXT) | instid1(VALU_DEP_1)
	v_clz_i32_u32_e32 v0, v35
	v_min_u32_e32 v0, 32, v0
	s_delay_alu instid0(VALU_DEP_1) | instskip(SKIP_1) | instid1(VALU_DEP_2)
	v_subrev_nc_u32_e32 v1, 28, v0
	v_sub_nc_u32_e32 v0, 29, v0
	v_lshlrev_b64 v[1:2], v1, v[35:36]
	s_delay_alu instid0(VALU_DEP_1)
	v_and_b32_e32 v35, 7, v1
; %bb.177:                              ;   in Loop: Header=BB440_13 Depth=1
	s_or_b32 exec_lo, exec_lo, s24
	v_lshlrev_b32_e32 v1, 16, v19
	s_delay_alu instid0(VALU_DEP_2) | instskip(SKIP_1) | instid1(VALU_DEP_3)
	v_lshlrev_b32_e32 v2, 20, v35
	v_lshl_add_u32 v0, v0, 23, 0x3c000000
	v_and_b32_e32 v1, 0x80000000, v1
	s_delay_alu instid0(VALU_DEP_1)
	v_or3_b32 v0, v2, v1, v0
.LBB440_178:                            ;   in Loop: Header=BB440_13 Depth=1
	s_or_b32 exec_lo, exec_lo, s23
.LBB440_179:                            ;   in Loop: Header=BB440_13 Depth=1
	s_delay_alu instid0(SALU_CYCLE_1)
	s_or_b32 exec_lo, exec_lo, s22
.LBB440_180:                            ;   in Loop: Header=BB440_13 Depth=1
	s_delay_alu instid0(SALU_CYCLE_1) | instskip(NEXT) | instid1(VALU_DEP_1)
	s_or_b32 exec_lo, exec_lo, s21
	v_mul_f32_e32 v0, v123, v0
                                        ; implicit-def: $vgpr152
	s_delay_alu instid0(VALU_DEP_1) | instskip(NEXT) | instid1(VALU_DEP_1)
	v_and_b32_e32 v1, 0x7f800000, v0
	v_cmp_ne_u32_e64 s1, 0x7f800000, v1
	s_delay_alu instid0(VALU_DEP_1) | instskip(NEXT) | instid1(SALU_CYCLE_1)
	s_and_saveexec_b32 s21, s1
	s_xor_b32 s1, exec_lo, s21
; %bb.181:                              ;   in Loop: Header=BB440_13 Depth=1
	v_bfe_u32 v1, v0, 16, 1
	s_delay_alu instid0(VALU_DEP_1)
	v_add3_u32 v152, v0, v1, 0x7fff
                                        ; implicit-def: $vgpr0
; %bb.182:                              ;   in Loop: Header=BB440_13 Depth=1
	s_and_not1_saveexec_b32 s21, s1
; %bb.183:                              ;   in Loop: Header=BB440_13 Depth=1
	v_and_b32_e32 v1, 0xffff, v0
	v_or_b32_e32 v2, 0x10000, v0
	s_delay_alu instid0(VALU_DEP_2) | instskip(NEXT) | instid1(VALU_DEP_1)
	v_cmp_eq_u32_e64 s1, 0, v1
	v_cndmask_b32_e64 v152, v2, v0, s1
; %bb.184:                              ;   in Loop: Header=BB440_13 Depth=1
	s_or_b32 exec_lo, exec_lo, s21
	v_lshrrev_b32_e32 v0, 16, v34
	s_mov_b32 s21, exec_lo
	s_delay_alu instid0(VALU_DEP_1) | instskip(NEXT) | instid1(VALU_DEP_1)
	v_dual_mov_b32 v1, 0 :: v_dual_and_b32 v2, 0xff, v0
	v_cmpx_ne_u16_e32 0, v2
	s_cbranch_execz .LBB440_192
; %bb.185:                              ;   in Loop: Header=BB440_13 Depth=1
	v_bfrev_b32_e32 v1, 1
	s_mov_b32 s22, exec_lo
	v_cmpx_ne_u16_e32 0x80, v2
	s_cbranch_execz .LBB440_191
; %bb.186:                              ;   in Loop: Header=BB440_13 Depth=1
	v_bfe_u32 v2, v34, 16, 7
	v_mov_b32_e32 v1, 0x7f800001
	s_mov_b32 s23, exec_lo
	s_delay_alu instid0(VALU_DEP_2)
	v_cmpx_ne_u32_e32 0x7f, v2
	s_cbranch_execz .LBB440_190
; %bb.187:                              ;   in Loop: Header=BB440_13 Depth=1
	v_and_b32_e32 v19, 7, v0
	v_lshrrev_b32_e32 v1, 3, v2
	s_mov_b32 s24, exec_lo
	v_cmpx_gt_u32_e32 8, v2
; %bb.188:                              ;   in Loop: Header=BB440_13 Depth=1
	s_delay_alu instid0(VALU_DEP_3) | instskip(NEXT) | instid1(VALU_DEP_1)
	v_clz_i32_u32_e32 v1, v19
	v_min_u32_e32 v1, 32, v1
	s_delay_alu instid0(VALU_DEP_1) | instskip(SKIP_1) | instid1(VALU_DEP_2)
	v_subrev_nc_u32_e32 v2, 28, v1
	v_sub_nc_u32_e32 v1, 29, v1
	v_lshlrev_b64 v[2:3], v2, v[19:20]
	s_delay_alu instid0(VALU_DEP_1)
	v_and_b32_e32 v19, 7, v2
; %bb.189:                              ;   in Loop: Header=BB440_13 Depth=1
	s_or_b32 exec_lo, exec_lo, s24
	v_lshlrev_b32_e32 v0, 24, v0
	s_delay_alu instid0(VALU_DEP_2) | instskip(SKIP_1) | instid1(VALU_DEP_3)
	v_lshlrev_b32_e32 v2, 20, v19
	v_lshl_add_u32 v1, v1, 23, 0x3c000000
	v_and_b32_e32 v0, 0x80000000, v0
	s_delay_alu instid0(VALU_DEP_1)
	v_or3_b32 v1, v2, v0, v1
.LBB440_190:                            ;   in Loop: Header=BB440_13 Depth=1
	s_or_b32 exec_lo, exec_lo, s23
.LBB440_191:                            ;   in Loop: Header=BB440_13 Depth=1
	s_delay_alu instid0(SALU_CYCLE_1)
	s_or_b32 exec_lo, exec_lo, s22
.LBB440_192:                            ;   in Loop: Header=BB440_13 Depth=1
	s_delay_alu instid0(SALU_CYCLE_1) | instskip(NEXT) | instid1(VALU_DEP_1)
	s_or_b32 exec_lo, exec_lo, s21
	v_mul_f32_e32 v0, v123, v1
                                        ; implicit-def: $vgpr153
	s_delay_alu instid0(VALU_DEP_1) | instskip(NEXT) | instid1(VALU_DEP_1)
	v_and_b32_e32 v1, 0x7f800000, v0
	v_cmp_ne_u32_e64 s1, 0x7f800000, v1
	s_delay_alu instid0(VALU_DEP_1) | instskip(NEXT) | instid1(SALU_CYCLE_1)
	s_and_saveexec_b32 s21, s1
	s_xor_b32 s1, exec_lo, s21
; %bb.193:                              ;   in Loop: Header=BB440_13 Depth=1
	v_bfe_u32 v1, v0, 16, 1
	s_delay_alu instid0(VALU_DEP_1)
	v_add3_u32 v153, v0, v1, 0x7fff
                                        ; implicit-def: $vgpr0
; %bb.194:                              ;   in Loop: Header=BB440_13 Depth=1
	s_and_not1_saveexec_b32 s21, s1
; %bb.195:                              ;   in Loop: Header=BB440_13 Depth=1
	v_and_b32_e32 v1, 0xffff, v0
	v_or_b32_e32 v2, 0x10000, v0
	s_delay_alu instid0(VALU_DEP_2) | instskip(NEXT) | instid1(VALU_DEP_1)
	v_cmp_eq_u32_e64 s1, 0, v1
	v_cndmask_b32_e64 v153, v2, v0, s1
; %bb.196:                              ;   in Loop: Header=BB440_13 Depth=1
	s_or_b32 exec_lo, exec_lo, s21
	v_mov_b32_e32 v1, 0
	s_mov_b32 s21, exec_lo
	v_cmpx_lt_u64_e64 s[16:17], v[33:34]
	s_cbranch_execz .LBB440_204
; %bb.197:                              ;   in Loop: Header=BB440_13 Depth=1
	v_lshrrev_b32_e32 v0, 24, v34
	v_bfrev_b32_e32 v1, 1
	s_mov_b32 s22, exec_lo
	s_delay_alu instid0(VALU_DEP_2)
	v_cmpx_ne_u32_e32 0x80, v0
	s_cbranch_execz .LBB440_203
; %bb.198:                              ;   in Loop: Header=BB440_13 Depth=1
	v_bfe_u32 v2, v34, 24, 7
	v_mov_b32_e32 v1, 0x7f800001
	s_mov_b32 s23, exec_lo
	s_delay_alu instid0(VALU_DEP_2)
	v_cmpx_ne_u32_e32 0x7f, v2
	s_cbranch_execz .LBB440_202
; %bb.199:                              ;   in Loop: Header=BB440_13 Depth=1
	v_and_b32_e32 v19, 7, v0
	v_lshrrev_b32_e32 v1, 3, v2
	s_mov_b32 s24, exec_lo
	v_cmpx_gt_u32_e32 8, v2
; %bb.200:                              ;   in Loop: Header=BB440_13 Depth=1
	s_delay_alu instid0(VALU_DEP_3) | instskip(NEXT) | instid1(VALU_DEP_1)
	v_clz_i32_u32_e32 v1, v19
	v_min_u32_e32 v1, 32, v1
	s_delay_alu instid0(VALU_DEP_1) | instskip(SKIP_1) | instid1(VALU_DEP_2)
	v_subrev_nc_u32_e32 v2, 28, v1
	v_sub_nc_u32_e32 v1, 29, v1
	v_lshlrev_b64 v[2:3], v2, v[19:20]
	s_delay_alu instid0(VALU_DEP_1)
	v_and_b32_e32 v19, 7, v2
; %bb.201:                              ;   in Loop: Header=BB440_13 Depth=1
	s_or_b32 exec_lo, exec_lo, s24
	v_lshlrev_b32_e32 v0, 24, v0
	s_delay_alu instid0(VALU_DEP_2) | instskip(SKIP_1) | instid1(VALU_DEP_3)
	v_lshlrev_b32_e32 v2, 20, v19
	v_lshl_add_u32 v1, v1, 23, 0x3c000000
	v_and_b32_e32 v0, 0x80000000, v0
	s_delay_alu instid0(VALU_DEP_1)
	v_or3_b32 v1, v2, v0, v1
.LBB440_202:                            ;   in Loop: Header=BB440_13 Depth=1
	s_or_b32 exec_lo, exec_lo, s23
.LBB440_203:                            ;   in Loop: Header=BB440_13 Depth=1
	s_delay_alu instid0(SALU_CYCLE_1)
	s_or_b32 exec_lo, exec_lo, s22
.LBB440_204:                            ;   in Loop: Header=BB440_13 Depth=1
	s_delay_alu instid0(SALU_CYCLE_1) | instskip(NEXT) | instid1(VALU_DEP_1)
	s_or_b32 exec_lo, exec_lo, s21
	v_mul_f32_e32 v0, v123, v1
                                        ; implicit-def: $vgpr154
	s_delay_alu instid0(VALU_DEP_1) | instskip(NEXT) | instid1(VALU_DEP_1)
	v_and_b32_e32 v1, 0x7f800000, v0
	v_cmp_ne_u32_e64 s1, 0x7f800000, v1
	s_delay_alu instid0(VALU_DEP_1) | instskip(NEXT) | instid1(SALU_CYCLE_1)
	s_and_saveexec_b32 s21, s1
	s_xor_b32 s1, exec_lo, s21
; %bb.205:                              ;   in Loop: Header=BB440_13 Depth=1
	v_bfe_u32 v1, v0, 16, 1
	s_delay_alu instid0(VALU_DEP_1)
	v_add3_u32 v154, v0, v1, 0x7fff
                                        ; implicit-def: $vgpr0
; %bb.206:                              ;   in Loop: Header=BB440_13 Depth=1
	s_and_not1_saveexec_b32 s21, s1
; %bb.207:                              ;   in Loop: Header=BB440_13 Depth=1
	v_and_b32_e32 v1, 0xffff, v0
	v_or_b32_e32 v2, 0x10000, v0
	s_delay_alu instid0(VALU_DEP_2) | instskip(NEXT) | instid1(VALU_DEP_1)
	v_cmp_eq_u32_e64 s1, 0, v1
	v_cndmask_b32_e64 v154, v2, v0, s1
; %bb.208:                              ;   in Loop: Header=BB440_13 Depth=1
	s_or_b32 exec_lo, exec_lo, s21
	flat_load_b64 v[33:34], v[31:32] offset:512
	s_mov_b32 s21, exec_lo
	s_waitcnt vmcnt(0) lgkmcnt(0)
	v_dual_mov_b32 v0, 0 :: v_dual_and_b32 v1, 0xff, v33
	s_delay_alu instid0(VALU_DEP_1)
	v_cmpx_ne_u16_e32 0, v1
	s_cbranch_execz .LBB440_216
; %bb.209:                              ;   in Loop: Header=BB440_13 Depth=1
	v_bfrev_b32_e32 v0, 1
	s_mov_b32 s22, exec_lo
	v_cmpx_ne_u16_e32 0x80, v1
	s_cbranch_execz .LBB440_215
; %bb.210:                              ;   in Loop: Header=BB440_13 Depth=1
	v_and_b32_e32 v1, 0x7f, v33
	v_mov_b32_e32 v0, 0x7f800001
	s_mov_b32 s23, exec_lo
	s_delay_alu instid0(VALU_DEP_2)
	v_cmpx_ne_u32_e32 0x7f, v1
	s_cbranch_execz .LBB440_214
; %bb.211:                              ;   in Loop: Header=BB440_13 Depth=1
	v_lshrrev_b32_e32 v0, 3, v1
	v_dual_mov_b32 v36, v34 :: v_dual_mov_b32 v35, v33
	s_mov_b32 s24, exec_lo
	v_cmpx_gt_u32_e32 8, v1
; %bb.212:                              ;   in Loop: Header=BB440_13 Depth=1
	v_and_b32_e32 v0, 7, v33
	s_delay_alu instid0(VALU_DEP_1) | instskip(NEXT) | instid1(VALU_DEP_1)
	v_clz_i32_u32_e32 v0, v0
	v_min_u32_e32 v0, 32, v0
	s_delay_alu instid0(VALU_DEP_1) | instskip(SKIP_1) | instid1(VALU_DEP_2)
	v_subrev_nc_u32_e32 v1, 28, v0
	v_sub_nc_u32_e32 v0, 29, v0
	v_lshlrev_b64 v[35:36], v1, v[33:34]
; %bb.213:                              ;   in Loop: Header=BB440_13 Depth=1
	s_or_b32 exec_lo, exec_lo, s24
	s_delay_alu instid0(VALU_DEP_1) | instskip(SKIP_2) | instid1(VALU_DEP_3)
	v_lshlrev_b32_e32 v1, 20, v35
	v_lshlrev_b32_e32 v2, 24, v33
	v_lshl_add_u32 v0, v0, 23, 0x3c000000
	v_and_b32_e32 v1, 0x700000, v1
	s_delay_alu instid0(VALU_DEP_3) | instskip(NEXT) | instid1(VALU_DEP_1)
	v_and_b32_e32 v2, 0x80000000, v2
	v_or3_b32 v0, v1, v2, v0
.LBB440_214:                            ;   in Loop: Header=BB440_13 Depth=1
	s_or_b32 exec_lo, exec_lo, s23
.LBB440_215:                            ;   in Loop: Header=BB440_13 Depth=1
	s_delay_alu instid0(SALU_CYCLE_1)
	s_or_b32 exec_lo, exec_lo, s22
.LBB440_216:                            ;   in Loop: Header=BB440_13 Depth=1
	s_delay_alu instid0(SALU_CYCLE_1) | instskip(NEXT) | instid1(VALU_DEP_1)
	s_or_b32 exec_lo, exec_lo, s21
	v_mul_f32_e32 v0, v123, v0
                                        ; implicit-def: $vgpr155
	s_delay_alu instid0(VALU_DEP_1) | instskip(NEXT) | instid1(VALU_DEP_1)
	v_and_b32_e32 v1, 0x7f800000, v0
	v_cmp_ne_u32_e64 s1, 0x7f800000, v1
	s_delay_alu instid0(VALU_DEP_1) | instskip(NEXT) | instid1(SALU_CYCLE_1)
	s_and_saveexec_b32 s21, s1
	s_xor_b32 s1, exec_lo, s21
; %bb.217:                              ;   in Loop: Header=BB440_13 Depth=1
	v_bfe_u32 v1, v0, 16, 1
	s_delay_alu instid0(VALU_DEP_1)
	v_add3_u32 v155, v0, v1, 0x7fff
                                        ; implicit-def: $vgpr0
; %bb.218:                              ;   in Loop: Header=BB440_13 Depth=1
	s_and_not1_saveexec_b32 s21, s1
; %bb.219:                              ;   in Loop: Header=BB440_13 Depth=1
	v_and_b32_e32 v1, 0xffff, v0
	v_or_b32_e32 v2, 0x10000, v0
	s_delay_alu instid0(VALU_DEP_2) | instskip(NEXT) | instid1(VALU_DEP_1)
	v_cmp_eq_u32_e64 s1, 0, v1
	v_cndmask_b32_e64 v155, v2, v0, s1
; %bb.220:                              ;   in Loop: Header=BB440_13 Depth=1
	s_or_b32 exec_lo, exec_lo, s21
	v_lshrrev_b16 v1, 8, v33
	v_mov_b32_e32 v0, 0
	s_mov_b32 s21, exec_lo
	s_delay_alu instid0(VALU_DEP_2)
	v_cmpx_ne_u16_e32 0, v1
	s_cbranch_execz .LBB440_228
; %bb.221:                              ;   in Loop: Header=BB440_13 Depth=1
	v_bfrev_b32_e32 v0, 1
	s_mov_b32 s22, exec_lo
	v_cmpx_ne_u16_e32 0x80, v1
	s_cbranch_execz .LBB440_227
; %bb.222:                              ;   in Loop: Header=BB440_13 Depth=1
	v_and_b32_e32 v2, 0xffff, v1
	v_mov_b32_e32 v0, 0x7f800001
	s_mov_b32 s23, exec_lo
	s_delay_alu instid0(VALU_DEP_2) | instskip(NEXT) | instid1(VALU_DEP_1)
	v_and_b32_e32 v1, 0x7f, v2
	v_cmpx_ne_u32_e32 0x7f, v1
	s_cbranch_execz .LBB440_226
; %bb.223:                              ;   in Loop: Header=BB440_13 Depth=1
	v_and_b32_e32 v19, 7, v2
	v_lshrrev_b32_e32 v0, 3, v1
	s_mov_b32 s24, exec_lo
	v_cmpx_gt_u32_e32 8, v1
; %bb.224:                              ;   in Loop: Header=BB440_13 Depth=1
	s_delay_alu instid0(VALU_DEP_3) | instskip(NEXT) | instid1(VALU_DEP_1)
	v_clz_i32_u32_e32 v0, v19
	v_min_u32_e32 v0, 32, v0
	s_delay_alu instid0(VALU_DEP_1) | instskip(SKIP_1) | instid1(VALU_DEP_2)
	v_subrev_nc_u32_e32 v1, 28, v0
	v_sub_nc_u32_e32 v0, 29, v0
	v_lshlrev_b64 v[1:2], v1, v[19:20]
	s_delay_alu instid0(VALU_DEP_1)
	v_and_b32_e32 v19, 7, v1
; %bb.225:                              ;   in Loop: Header=BB440_13 Depth=1
	s_or_b32 exec_lo, exec_lo, s24
	v_lshlrev_b32_e32 v1, 16, v33
	s_delay_alu instid0(VALU_DEP_2) | instskip(SKIP_1) | instid1(VALU_DEP_3)
	v_lshlrev_b32_e32 v2, 20, v19
	v_lshl_add_u32 v0, v0, 23, 0x3c000000
	v_and_b32_e32 v1, 0x80000000, v1
	s_delay_alu instid0(VALU_DEP_1)
	v_or3_b32 v0, v2, v1, v0
.LBB440_226:                            ;   in Loop: Header=BB440_13 Depth=1
	s_or_b32 exec_lo, exec_lo, s23
.LBB440_227:                            ;   in Loop: Header=BB440_13 Depth=1
	s_delay_alu instid0(SALU_CYCLE_1)
	s_or_b32 exec_lo, exec_lo, s22
.LBB440_228:                            ;   in Loop: Header=BB440_13 Depth=1
	s_delay_alu instid0(SALU_CYCLE_1) | instskip(NEXT) | instid1(VALU_DEP_1)
	s_or_b32 exec_lo, exec_lo, s21
	v_mul_f32_e32 v0, v123, v0
                                        ; implicit-def: $vgpr156
	s_delay_alu instid0(VALU_DEP_1) | instskip(NEXT) | instid1(VALU_DEP_1)
	v_and_b32_e32 v1, 0x7f800000, v0
	v_cmp_ne_u32_e64 s1, 0x7f800000, v1
	s_delay_alu instid0(VALU_DEP_1) | instskip(NEXT) | instid1(SALU_CYCLE_1)
	s_and_saveexec_b32 s21, s1
	s_xor_b32 s1, exec_lo, s21
; %bb.229:                              ;   in Loop: Header=BB440_13 Depth=1
	v_bfe_u32 v1, v0, 16, 1
	s_delay_alu instid0(VALU_DEP_1)
	v_add3_u32 v156, v0, v1, 0x7fff
                                        ; implicit-def: $vgpr0
; %bb.230:                              ;   in Loop: Header=BB440_13 Depth=1
	s_and_not1_saveexec_b32 s21, s1
; %bb.231:                              ;   in Loop: Header=BB440_13 Depth=1
	v_and_b32_e32 v1, 0xffff, v0
	v_or_b32_e32 v2, 0x10000, v0
	s_delay_alu instid0(VALU_DEP_2) | instskip(NEXT) | instid1(VALU_DEP_1)
	v_cmp_eq_u32_e64 s1, 0, v1
	v_cndmask_b32_e64 v156, v2, v0, s1
; %bb.232:                              ;   in Loop: Header=BB440_13 Depth=1
	s_or_b32 exec_lo, exec_lo, s21
	v_lshrrev_b32_e32 v0, 16, v33
	s_mov_b32 s21, exec_lo
	s_delay_alu instid0(VALU_DEP_1) | instskip(NEXT) | instid1(VALU_DEP_1)
	v_dual_mov_b32 v1, 0 :: v_dual_and_b32 v2, 0xff, v0
	v_cmpx_ne_u16_e32 0, v2
	s_cbranch_execz .LBB440_240
; %bb.233:                              ;   in Loop: Header=BB440_13 Depth=1
	v_bfrev_b32_e32 v1, 1
	s_mov_b32 s22, exec_lo
	v_cmpx_ne_u16_e32 0x80, v2
	s_cbranch_execz .LBB440_239
; %bb.234:                              ;   in Loop: Header=BB440_13 Depth=1
	v_bfe_u32 v2, v33, 16, 7
	v_mov_b32_e32 v1, 0x7f800001
	s_mov_b32 s23, exec_lo
	s_delay_alu instid0(VALU_DEP_2)
	v_cmpx_ne_u32_e32 0x7f, v2
	s_cbranch_execz .LBB440_238
; %bb.235:                              ;   in Loop: Header=BB440_13 Depth=1
	v_and_b32_e32 v19, 7, v0
	v_lshrrev_b32_e32 v1, 3, v2
	s_mov_b32 s24, exec_lo
	v_cmpx_gt_u32_e32 8, v2
; %bb.236:                              ;   in Loop: Header=BB440_13 Depth=1
	s_delay_alu instid0(VALU_DEP_3) | instskip(NEXT) | instid1(VALU_DEP_1)
	v_clz_i32_u32_e32 v1, v19
	v_min_u32_e32 v1, 32, v1
	s_delay_alu instid0(VALU_DEP_1) | instskip(SKIP_1) | instid1(VALU_DEP_2)
	v_subrev_nc_u32_e32 v2, 28, v1
	v_sub_nc_u32_e32 v1, 29, v1
	v_lshlrev_b64 v[2:3], v2, v[19:20]
	s_delay_alu instid0(VALU_DEP_1)
	v_and_b32_e32 v19, 7, v2
; %bb.237:                              ;   in Loop: Header=BB440_13 Depth=1
	s_or_b32 exec_lo, exec_lo, s24
	v_lshlrev_b32_e32 v0, 24, v0
	s_delay_alu instid0(VALU_DEP_2) | instskip(SKIP_1) | instid1(VALU_DEP_3)
	v_lshlrev_b32_e32 v2, 20, v19
	v_lshl_add_u32 v1, v1, 23, 0x3c000000
	v_and_b32_e32 v0, 0x80000000, v0
	s_delay_alu instid0(VALU_DEP_1)
	v_or3_b32 v1, v2, v0, v1
.LBB440_238:                            ;   in Loop: Header=BB440_13 Depth=1
	s_or_b32 exec_lo, exec_lo, s23
.LBB440_239:                            ;   in Loop: Header=BB440_13 Depth=1
	s_delay_alu instid0(SALU_CYCLE_1)
	s_or_b32 exec_lo, exec_lo, s22
.LBB440_240:                            ;   in Loop: Header=BB440_13 Depth=1
	s_delay_alu instid0(SALU_CYCLE_1) | instskip(NEXT) | instid1(VALU_DEP_1)
	s_or_b32 exec_lo, exec_lo, s21
	v_mul_f32_e32 v0, v123, v1
                                        ; implicit-def: $vgpr157
	s_delay_alu instid0(VALU_DEP_1) | instskip(NEXT) | instid1(VALU_DEP_1)
	v_and_b32_e32 v1, 0x7f800000, v0
	v_cmp_ne_u32_e64 s1, 0x7f800000, v1
	s_delay_alu instid0(VALU_DEP_1) | instskip(NEXT) | instid1(SALU_CYCLE_1)
	s_and_saveexec_b32 s21, s1
	s_xor_b32 s1, exec_lo, s21
; %bb.241:                              ;   in Loop: Header=BB440_13 Depth=1
	v_bfe_u32 v1, v0, 16, 1
	s_delay_alu instid0(VALU_DEP_1)
	v_add3_u32 v157, v0, v1, 0x7fff
                                        ; implicit-def: $vgpr0
; %bb.242:                              ;   in Loop: Header=BB440_13 Depth=1
	s_and_not1_saveexec_b32 s21, s1
; %bb.243:                              ;   in Loop: Header=BB440_13 Depth=1
	v_and_b32_e32 v1, 0xffff, v0
	v_or_b32_e32 v2, 0x10000, v0
	s_delay_alu instid0(VALU_DEP_2) | instskip(NEXT) | instid1(VALU_DEP_1)
	v_cmp_eq_u32_e64 s1, 0, v1
	v_cndmask_b32_e64 v157, v2, v0, s1
; %bb.244:                              ;   in Loop: Header=BB440_13 Depth=1
	s_or_b32 exec_lo, exec_lo, s21
	v_mov_b32_e32 v1, 0
	s_mov_b32 s21, exec_lo
	v_cmpx_lt_u32_e32 0xffffff, v33
	s_cbranch_execz .LBB440_252
; %bb.245:                              ;   in Loop: Header=BB440_13 Depth=1
	v_lshrrev_b32_e32 v0, 24, v33
	v_bfrev_b32_e32 v1, 1
	s_mov_b32 s22, exec_lo
	s_delay_alu instid0(VALU_DEP_2)
	v_cmpx_ne_u32_e32 0x80, v0
	s_cbranch_execz .LBB440_251
; %bb.246:                              ;   in Loop: Header=BB440_13 Depth=1
	v_bfe_u32 v2, v33, 24, 7
	v_mov_b32_e32 v1, 0x7f800001
	s_mov_b32 s23, exec_lo
	s_delay_alu instid0(VALU_DEP_2)
	v_cmpx_ne_u32_e32 0x7f, v2
	s_cbranch_execz .LBB440_250
; %bb.247:                              ;   in Loop: Header=BB440_13 Depth=1
	v_and_b32_e32 v19, 7, v0
	v_lshrrev_b32_e32 v1, 3, v2
	s_mov_b32 s24, exec_lo
	v_cmpx_gt_u32_e32 8, v2
; %bb.248:                              ;   in Loop: Header=BB440_13 Depth=1
	s_delay_alu instid0(VALU_DEP_3) | instskip(NEXT) | instid1(VALU_DEP_1)
	v_clz_i32_u32_e32 v1, v19
	v_min_u32_e32 v1, 32, v1
	s_delay_alu instid0(VALU_DEP_1) | instskip(SKIP_1) | instid1(VALU_DEP_2)
	v_subrev_nc_u32_e32 v2, 28, v1
	v_sub_nc_u32_e32 v1, 29, v1
	v_lshlrev_b64 v[2:3], v2, v[19:20]
	s_delay_alu instid0(VALU_DEP_1)
	v_and_b32_e32 v19, 7, v2
; %bb.249:                              ;   in Loop: Header=BB440_13 Depth=1
	s_or_b32 exec_lo, exec_lo, s24
	v_lshlrev_b32_e32 v0, 24, v0
	s_delay_alu instid0(VALU_DEP_2) | instskip(SKIP_1) | instid1(VALU_DEP_3)
	v_lshlrev_b32_e32 v2, 20, v19
	v_lshl_add_u32 v1, v1, 23, 0x3c000000
	v_and_b32_e32 v0, 0x80000000, v0
	s_delay_alu instid0(VALU_DEP_1)
	v_or3_b32 v1, v2, v0, v1
.LBB440_250:                            ;   in Loop: Header=BB440_13 Depth=1
	s_or_b32 exec_lo, exec_lo, s23
.LBB440_251:                            ;   in Loop: Header=BB440_13 Depth=1
	s_delay_alu instid0(SALU_CYCLE_1)
	s_or_b32 exec_lo, exec_lo, s22
.LBB440_252:                            ;   in Loop: Header=BB440_13 Depth=1
	s_delay_alu instid0(SALU_CYCLE_1) | instskip(NEXT) | instid1(VALU_DEP_1)
	s_or_b32 exec_lo, exec_lo, s21
	v_mul_f32_e32 v0, v123, v1
                                        ; implicit-def: $vgpr159
	s_delay_alu instid0(VALU_DEP_1) | instskip(NEXT) | instid1(VALU_DEP_1)
	v_and_b32_e32 v1, 0x7f800000, v0
	v_cmp_ne_u32_e64 s1, 0x7f800000, v1
	s_delay_alu instid0(VALU_DEP_1) | instskip(NEXT) | instid1(SALU_CYCLE_1)
	s_and_saveexec_b32 s21, s1
	s_xor_b32 s1, exec_lo, s21
; %bb.253:                              ;   in Loop: Header=BB440_13 Depth=1
	v_bfe_u32 v1, v0, 16, 1
	s_delay_alu instid0(VALU_DEP_1)
	v_add3_u32 v159, v0, v1, 0x7fff
                                        ; implicit-def: $vgpr0
; %bb.254:                              ;   in Loop: Header=BB440_13 Depth=1
	s_and_not1_saveexec_b32 s21, s1
; %bb.255:                              ;   in Loop: Header=BB440_13 Depth=1
	v_and_b32_e32 v1, 0xffff, v0
	v_or_b32_e32 v2, 0x10000, v0
	s_delay_alu instid0(VALU_DEP_2) | instskip(NEXT) | instid1(VALU_DEP_1)
	v_cmp_eq_u32_e64 s1, 0, v1
	v_cndmask_b32_e64 v159, v2, v0, s1
; %bb.256:                              ;   in Loop: Header=BB440_13 Depth=1
	s_or_b32 exec_lo, exec_lo, s21
	v_dual_mov_b32 v0, 0 :: v_dual_and_b32 v1, 0xff, v34
	v_mov_b32_e32 v19, v34
	s_mov_b32 s21, exec_lo
	s_delay_alu instid0(VALU_DEP_2)
	v_cmpx_ne_u16_e32 0, v1
	s_cbranch_execz .LBB440_264
; %bb.257:                              ;   in Loop: Header=BB440_13 Depth=1
	v_bfrev_b32_e32 v0, 1
	s_mov_b32 s22, exec_lo
	v_cmpx_ne_u16_e32 0x80, v1
	s_cbranch_execz .LBB440_263
; %bb.258:                              ;   in Loop: Header=BB440_13 Depth=1
	v_and_b32_e32 v1, 0x7f, v34
	v_mov_b32_e32 v0, 0x7f800001
	s_mov_b32 s23, exec_lo
	s_delay_alu instid0(VALU_DEP_2)
	v_cmpx_ne_u32_e32 0x7f, v1
	s_cbranch_execz .LBB440_262
; %bb.259:                              ;   in Loop: Header=BB440_13 Depth=1
	v_lshrrev_b32_e32 v0, 3, v1
	v_dual_mov_b32 v36, v20 :: v_dual_mov_b32 v35, v19
	s_mov_b32 s24, exec_lo
	v_cmpx_gt_u32_e32 8, v1
; %bb.260:                              ;   in Loop: Header=BB440_13 Depth=1
	v_and_b32_e32 v0, 7, v34
	s_delay_alu instid0(VALU_DEP_1) | instskip(NEXT) | instid1(VALU_DEP_1)
	v_clz_i32_u32_e32 v0, v0
	v_min_u32_e32 v0, 32, v0
	s_delay_alu instid0(VALU_DEP_1) | instskip(SKIP_1) | instid1(VALU_DEP_2)
	v_subrev_nc_u32_e32 v1, 28, v0
	v_sub_nc_u32_e32 v0, 29, v0
	v_lshlrev_b64 v[35:36], v1, v[19:20]
; %bb.261:                              ;   in Loop: Header=BB440_13 Depth=1
	s_or_b32 exec_lo, exec_lo, s24
	s_delay_alu instid0(VALU_DEP_1) | instskip(SKIP_2) | instid1(VALU_DEP_3)
	v_lshlrev_b32_e32 v1, 20, v35
	v_lshlrev_b32_e32 v2, 24, v19
	v_lshl_add_u32 v0, v0, 23, 0x3c000000
	v_and_b32_e32 v1, 0x700000, v1
	s_delay_alu instid0(VALU_DEP_3) | instskip(NEXT) | instid1(VALU_DEP_1)
	v_and_b32_e32 v2, 0x80000000, v2
	v_or3_b32 v0, v1, v2, v0
.LBB440_262:                            ;   in Loop: Header=BB440_13 Depth=1
	s_or_b32 exec_lo, exec_lo, s23
.LBB440_263:                            ;   in Loop: Header=BB440_13 Depth=1
	s_delay_alu instid0(SALU_CYCLE_1)
	s_or_b32 exec_lo, exec_lo, s22
.LBB440_264:                            ;   in Loop: Header=BB440_13 Depth=1
	s_delay_alu instid0(SALU_CYCLE_1) | instskip(NEXT) | instid1(VALU_DEP_1)
	s_or_b32 exec_lo, exec_lo, s21
	v_mul_f32_e32 v0, v123, v0
                                        ; implicit-def: $vgpr158
	s_delay_alu instid0(VALU_DEP_1) | instskip(NEXT) | instid1(VALU_DEP_1)
	v_and_b32_e32 v1, 0x7f800000, v0
	v_cmp_ne_u32_e64 s1, 0x7f800000, v1
	s_delay_alu instid0(VALU_DEP_1) | instskip(NEXT) | instid1(SALU_CYCLE_1)
	s_and_saveexec_b32 s21, s1
	s_xor_b32 s1, exec_lo, s21
; %bb.265:                              ;   in Loop: Header=BB440_13 Depth=1
	v_bfe_u32 v1, v0, 16, 1
	s_delay_alu instid0(VALU_DEP_1)
	v_add3_u32 v158, v0, v1, 0x7fff
                                        ; implicit-def: $vgpr0
; %bb.266:                              ;   in Loop: Header=BB440_13 Depth=1
	s_and_not1_saveexec_b32 s21, s1
; %bb.267:                              ;   in Loop: Header=BB440_13 Depth=1
	v_and_b32_e32 v1, 0xffff, v0
	v_or_b32_e32 v2, 0x10000, v0
	s_delay_alu instid0(VALU_DEP_2) | instskip(NEXT) | instid1(VALU_DEP_1)
	v_cmp_eq_u32_e64 s1, 0, v1
	v_cndmask_b32_e64 v158, v2, v0, s1
; %bb.268:                              ;   in Loop: Header=BB440_13 Depth=1
	s_or_b32 exec_lo, exec_lo, s21
	v_lshrrev_b16 v1, 8, v19
	v_mov_b32_e32 v0, 0
	s_mov_b32 s21, exec_lo
	s_delay_alu instid0(VALU_DEP_2)
	v_cmpx_ne_u16_e32 0, v1
	s_cbranch_execz .LBB440_276
; %bb.269:                              ;   in Loop: Header=BB440_13 Depth=1
	v_bfrev_b32_e32 v0, 1
	s_mov_b32 s22, exec_lo
	v_cmpx_ne_u16_e32 0x80, v1
	s_cbranch_execz .LBB440_275
; %bb.270:                              ;   in Loop: Header=BB440_13 Depth=1
	v_and_b32_e32 v2, 0xffff, v1
	v_mov_b32_e32 v0, 0x7f800001
	s_mov_b32 s23, exec_lo
	s_delay_alu instid0(VALU_DEP_2) | instskip(NEXT) | instid1(VALU_DEP_1)
	v_and_b32_e32 v1, 0x7f, v2
	v_cmpx_ne_u32_e32 0x7f, v1
	s_cbranch_execz .LBB440_274
; %bb.271:                              ;   in Loop: Header=BB440_13 Depth=1
	v_dual_mov_b32 v36, v20 :: v_dual_and_b32 v35, 7, v2
	v_lshrrev_b32_e32 v0, 3, v1
	s_mov_b32 s24, exec_lo
	v_cmpx_gt_u32_e32 8, v1
; %bb.272:                              ;   in Loop: Header=BB440_13 Depth=1
	s_delay_alu instid0(VALU_DEP_3) | instskip(NEXT) | instid1(VALU_DEP_1)
	v_clz_i32_u32_e32 v0, v35
	v_min_u32_e32 v0, 32, v0
	s_delay_alu instid0(VALU_DEP_1) | instskip(SKIP_1) | instid1(VALU_DEP_2)
	v_subrev_nc_u32_e32 v1, 28, v0
	v_sub_nc_u32_e32 v0, 29, v0
	v_lshlrev_b64 v[1:2], v1, v[35:36]
	s_delay_alu instid0(VALU_DEP_1)
	v_and_b32_e32 v35, 7, v1
; %bb.273:                              ;   in Loop: Header=BB440_13 Depth=1
	s_or_b32 exec_lo, exec_lo, s24
	v_lshlrev_b32_e32 v1, 16, v19
	s_delay_alu instid0(VALU_DEP_2) | instskip(SKIP_1) | instid1(VALU_DEP_3)
	v_lshlrev_b32_e32 v2, 20, v35
	v_lshl_add_u32 v0, v0, 23, 0x3c000000
	v_and_b32_e32 v1, 0x80000000, v1
	s_delay_alu instid0(VALU_DEP_1)
	v_or3_b32 v0, v2, v1, v0
.LBB440_274:                            ;   in Loop: Header=BB440_13 Depth=1
	s_or_b32 exec_lo, exec_lo, s23
.LBB440_275:                            ;   in Loop: Header=BB440_13 Depth=1
	s_delay_alu instid0(SALU_CYCLE_1)
	s_or_b32 exec_lo, exec_lo, s22
.LBB440_276:                            ;   in Loop: Header=BB440_13 Depth=1
	s_delay_alu instid0(SALU_CYCLE_1) | instskip(NEXT) | instid1(VALU_DEP_1)
	s_or_b32 exec_lo, exec_lo, s21
	v_mul_f32_e32 v0, v123, v0
                                        ; implicit-def: $vgpr168
	s_delay_alu instid0(VALU_DEP_1) | instskip(NEXT) | instid1(VALU_DEP_1)
	v_and_b32_e32 v1, 0x7f800000, v0
	v_cmp_ne_u32_e64 s1, 0x7f800000, v1
	s_delay_alu instid0(VALU_DEP_1) | instskip(NEXT) | instid1(SALU_CYCLE_1)
	s_and_saveexec_b32 s21, s1
	s_xor_b32 s1, exec_lo, s21
; %bb.277:                              ;   in Loop: Header=BB440_13 Depth=1
	v_bfe_u32 v1, v0, 16, 1
	s_delay_alu instid0(VALU_DEP_1)
	v_add3_u32 v168, v0, v1, 0x7fff
                                        ; implicit-def: $vgpr0
; %bb.278:                              ;   in Loop: Header=BB440_13 Depth=1
	s_and_not1_saveexec_b32 s21, s1
; %bb.279:                              ;   in Loop: Header=BB440_13 Depth=1
	v_and_b32_e32 v1, 0xffff, v0
	v_or_b32_e32 v2, 0x10000, v0
	s_delay_alu instid0(VALU_DEP_2) | instskip(NEXT) | instid1(VALU_DEP_1)
	v_cmp_eq_u32_e64 s1, 0, v1
	v_cndmask_b32_e64 v168, v2, v0, s1
; %bb.280:                              ;   in Loop: Header=BB440_13 Depth=1
	s_or_b32 exec_lo, exec_lo, s21
	v_lshrrev_b32_e32 v0, 16, v34
	s_mov_b32 s21, exec_lo
	s_delay_alu instid0(VALU_DEP_1) | instskip(NEXT) | instid1(VALU_DEP_1)
	v_dual_mov_b32 v1, 0 :: v_dual_and_b32 v2, 0xff, v0
	v_cmpx_ne_u16_e32 0, v2
	s_cbranch_execz .LBB440_288
; %bb.281:                              ;   in Loop: Header=BB440_13 Depth=1
	v_bfrev_b32_e32 v1, 1
	s_mov_b32 s22, exec_lo
	v_cmpx_ne_u16_e32 0x80, v2
	s_cbranch_execz .LBB440_287
; %bb.282:                              ;   in Loop: Header=BB440_13 Depth=1
	v_bfe_u32 v2, v34, 16, 7
	v_mov_b32_e32 v1, 0x7f800001
	s_mov_b32 s23, exec_lo
	s_delay_alu instid0(VALU_DEP_2)
	v_cmpx_ne_u32_e32 0x7f, v2
	s_cbranch_execz .LBB440_286
; %bb.283:                              ;   in Loop: Header=BB440_13 Depth=1
	v_and_b32_e32 v19, 7, v0
	v_lshrrev_b32_e32 v1, 3, v2
	s_mov_b32 s24, exec_lo
	v_cmpx_gt_u32_e32 8, v2
; %bb.284:                              ;   in Loop: Header=BB440_13 Depth=1
	s_delay_alu instid0(VALU_DEP_3) | instskip(NEXT) | instid1(VALU_DEP_1)
	v_clz_i32_u32_e32 v1, v19
	v_min_u32_e32 v1, 32, v1
	s_delay_alu instid0(VALU_DEP_1) | instskip(SKIP_1) | instid1(VALU_DEP_2)
	v_subrev_nc_u32_e32 v2, 28, v1
	v_sub_nc_u32_e32 v1, 29, v1
	v_lshlrev_b64 v[2:3], v2, v[19:20]
	s_delay_alu instid0(VALU_DEP_1)
	v_and_b32_e32 v19, 7, v2
; %bb.285:                              ;   in Loop: Header=BB440_13 Depth=1
	s_or_b32 exec_lo, exec_lo, s24
	v_lshlrev_b32_e32 v0, 24, v0
	s_delay_alu instid0(VALU_DEP_2) | instskip(SKIP_1) | instid1(VALU_DEP_3)
	v_lshlrev_b32_e32 v2, 20, v19
	v_lshl_add_u32 v1, v1, 23, 0x3c000000
	v_and_b32_e32 v0, 0x80000000, v0
	s_delay_alu instid0(VALU_DEP_1)
	v_or3_b32 v1, v2, v0, v1
.LBB440_286:                            ;   in Loop: Header=BB440_13 Depth=1
	s_or_b32 exec_lo, exec_lo, s23
.LBB440_287:                            ;   in Loop: Header=BB440_13 Depth=1
	s_delay_alu instid0(SALU_CYCLE_1)
	s_or_b32 exec_lo, exec_lo, s22
.LBB440_288:                            ;   in Loop: Header=BB440_13 Depth=1
	s_delay_alu instid0(SALU_CYCLE_1) | instskip(NEXT) | instid1(VALU_DEP_1)
	s_or_b32 exec_lo, exec_lo, s21
	v_mul_f32_e32 v0, v123, v1
                                        ; implicit-def: $vgpr169
	s_delay_alu instid0(VALU_DEP_1) | instskip(NEXT) | instid1(VALU_DEP_1)
	v_and_b32_e32 v1, 0x7f800000, v0
	v_cmp_ne_u32_e64 s1, 0x7f800000, v1
	s_delay_alu instid0(VALU_DEP_1) | instskip(NEXT) | instid1(SALU_CYCLE_1)
	s_and_saveexec_b32 s21, s1
	s_xor_b32 s1, exec_lo, s21
; %bb.289:                              ;   in Loop: Header=BB440_13 Depth=1
	v_bfe_u32 v1, v0, 16, 1
	s_delay_alu instid0(VALU_DEP_1)
	v_add3_u32 v169, v0, v1, 0x7fff
                                        ; implicit-def: $vgpr0
; %bb.290:                              ;   in Loop: Header=BB440_13 Depth=1
	s_and_not1_saveexec_b32 s21, s1
; %bb.291:                              ;   in Loop: Header=BB440_13 Depth=1
	v_and_b32_e32 v1, 0xffff, v0
	v_or_b32_e32 v2, 0x10000, v0
	s_delay_alu instid0(VALU_DEP_2) | instskip(NEXT) | instid1(VALU_DEP_1)
	v_cmp_eq_u32_e64 s1, 0, v1
	v_cndmask_b32_e64 v169, v2, v0, s1
; %bb.292:                              ;   in Loop: Header=BB440_13 Depth=1
	s_or_b32 exec_lo, exec_lo, s21
	v_mov_b32_e32 v1, 0
	s_mov_b32 s21, exec_lo
	v_cmpx_lt_u64_e64 s[16:17], v[33:34]
	s_cbranch_execz .LBB440_300
; %bb.293:                              ;   in Loop: Header=BB440_13 Depth=1
	v_lshrrev_b32_e32 v0, 24, v34
	v_bfrev_b32_e32 v1, 1
	s_mov_b32 s22, exec_lo
	s_delay_alu instid0(VALU_DEP_2)
	v_cmpx_ne_u32_e32 0x80, v0
	s_cbranch_execz .LBB440_299
; %bb.294:                              ;   in Loop: Header=BB440_13 Depth=1
	v_bfe_u32 v2, v34, 24, 7
	v_mov_b32_e32 v1, 0x7f800001
	s_mov_b32 s23, exec_lo
	s_delay_alu instid0(VALU_DEP_2)
	v_cmpx_ne_u32_e32 0x7f, v2
	s_cbranch_execz .LBB440_298
; %bb.295:                              ;   in Loop: Header=BB440_13 Depth=1
	v_and_b32_e32 v19, 7, v0
	v_lshrrev_b32_e32 v1, 3, v2
	s_mov_b32 s24, exec_lo
	v_cmpx_gt_u32_e32 8, v2
; %bb.296:                              ;   in Loop: Header=BB440_13 Depth=1
	s_delay_alu instid0(VALU_DEP_3) | instskip(NEXT) | instid1(VALU_DEP_1)
	v_clz_i32_u32_e32 v1, v19
	v_min_u32_e32 v1, 32, v1
	s_delay_alu instid0(VALU_DEP_1) | instskip(SKIP_1) | instid1(VALU_DEP_2)
	v_subrev_nc_u32_e32 v2, 28, v1
	v_sub_nc_u32_e32 v1, 29, v1
	v_lshlrev_b64 v[2:3], v2, v[19:20]
	s_delay_alu instid0(VALU_DEP_1)
	v_and_b32_e32 v19, 7, v2
; %bb.297:                              ;   in Loop: Header=BB440_13 Depth=1
	s_or_b32 exec_lo, exec_lo, s24
	v_lshlrev_b32_e32 v0, 24, v0
	s_delay_alu instid0(VALU_DEP_2) | instskip(SKIP_1) | instid1(VALU_DEP_3)
	v_lshlrev_b32_e32 v2, 20, v19
	v_lshl_add_u32 v1, v1, 23, 0x3c000000
	v_and_b32_e32 v0, 0x80000000, v0
	s_delay_alu instid0(VALU_DEP_1)
	v_or3_b32 v1, v2, v0, v1
.LBB440_298:                            ;   in Loop: Header=BB440_13 Depth=1
	s_or_b32 exec_lo, exec_lo, s23
.LBB440_299:                            ;   in Loop: Header=BB440_13 Depth=1
	s_delay_alu instid0(SALU_CYCLE_1)
	s_or_b32 exec_lo, exec_lo, s22
.LBB440_300:                            ;   in Loop: Header=BB440_13 Depth=1
	s_delay_alu instid0(SALU_CYCLE_1) | instskip(NEXT) | instid1(VALU_DEP_1)
	s_or_b32 exec_lo, exec_lo, s21
	v_mul_f32_e32 v0, v123, v1
                                        ; implicit-def: $vgpr170
	s_delay_alu instid0(VALU_DEP_1) | instskip(NEXT) | instid1(VALU_DEP_1)
	v_and_b32_e32 v1, 0x7f800000, v0
	v_cmp_ne_u32_e64 s1, 0x7f800000, v1
	s_delay_alu instid0(VALU_DEP_1) | instskip(NEXT) | instid1(SALU_CYCLE_1)
	s_and_saveexec_b32 s21, s1
	s_xor_b32 s1, exec_lo, s21
; %bb.301:                              ;   in Loop: Header=BB440_13 Depth=1
	v_bfe_u32 v1, v0, 16, 1
	s_delay_alu instid0(VALU_DEP_1)
	v_add3_u32 v170, v0, v1, 0x7fff
                                        ; implicit-def: $vgpr0
; %bb.302:                              ;   in Loop: Header=BB440_13 Depth=1
	s_and_not1_saveexec_b32 s21, s1
; %bb.303:                              ;   in Loop: Header=BB440_13 Depth=1
	v_and_b32_e32 v1, 0xffff, v0
	v_or_b32_e32 v2, 0x10000, v0
	s_delay_alu instid0(VALU_DEP_2) | instskip(NEXT) | instid1(VALU_DEP_1)
	v_cmp_eq_u32_e64 s1, 0, v1
	v_cndmask_b32_e64 v170, v2, v0, s1
; %bb.304:                              ;   in Loop: Header=BB440_13 Depth=1
	s_or_b32 exec_lo, exec_lo, s21
	flat_load_b64 v[33:34], v[31:32] offset:520
	s_mov_b32 s21, exec_lo
	s_waitcnt vmcnt(0) lgkmcnt(0)
	v_dual_mov_b32 v0, 0 :: v_dual_and_b32 v1, 0xff, v33
	s_delay_alu instid0(VALU_DEP_1)
	v_cmpx_ne_u16_e32 0, v1
	s_cbranch_execz .LBB440_312
; %bb.305:                              ;   in Loop: Header=BB440_13 Depth=1
	v_bfrev_b32_e32 v0, 1
	s_mov_b32 s22, exec_lo
	v_cmpx_ne_u16_e32 0x80, v1
	s_cbranch_execz .LBB440_311
; %bb.306:                              ;   in Loop: Header=BB440_13 Depth=1
	v_and_b32_e32 v1, 0x7f, v33
	v_mov_b32_e32 v0, 0x7f800001
	s_mov_b32 s23, exec_lo
	s_delay_alu instid0(VALU_DEP_2)
	v_cmpx_ne_u32_e32 0x7f, v1
	s_cbranch_execz .LBB440_310
; %bb.307:                              ;   in Loop: Header=BB440_13 Depth=1
	v_lshrrev_b32_e32 v0, 3, v1
	v_dual_mov_b32 v36, v34 :: v_dual_mov_b32 v35, v33
	s_mov_b32 s24, exec_lo
	v_cmpx_gt_u32_e32 8, v1
; %bb.308:                              ;   in Loop: Header=BB440_13 Depth=1
	v_and_b32_e32 v0, 7, v33
	s_delay_alu instid0(VALU_DEP_1) | instskip(NEXT) | instid1(VALU_DEP_1)
	v_clz_i32_u32_e32 v0, v0
	v_min_u32_e32 v0, 32, v0
	s_delay_alu instid0(VALU_DEP_1) | instskip(SKIP_1) | instid1(VALU_DEP_2)
	v_subrev_nc_u32_e32 v1, 28, v0
	v_sub_nc_u32_e32 v0, 29, v0
	v_lshlrev_b64 v[35:36], v1, v[33:34]
; %bb.309:                              ;   in Loop: Header=BB440_13 Depth=1
	s_or_b32 exec_lo, exec_lo, s24
	s_delay_alu instid0(VALU_DEP_1) | instskip(SKIP_2) | instid1(VALU_DEP_3)
	v_lshlrev_b32_e32 v1, 20, v35
	v_lshlrev_b32_e32 v2, 24, v33
	v_lshl_add_u32 v0, v0, 23, 0x3c000000
	v_and_b32_e32 v1, 0x700000, v1
	s_delay_alu instid0(VALU_DEP_3) | instskip(NEXT) | instid1(VALU_DEP_1)
	v_and_b32_e32 v2, 0x80000000, v2
	v_or3_b32 v0, v1, v2, v0
.LBB440_310:                            ;   in Loop: Header=BB440_13 Depth=1
	s_or_b32 exec_lo, exec_lo, s23
.LBB440_311:                            ;   in Loop: Header=BB440_13 Depth=1
	s_delay_alu instid0(SALU_CYCLE_1)
	s_or_b32 exec_lo, exec_lo, s22
.LBB440_312:                            ;   in Loop: Header=BB440_13 Depth=1
	s_delay_alu instid0(SALU_CYCLE_1) | instskip(NEXT) | instid1(VALU_DEP_1)
	s_or_b32 exec_lo, exec_lo, s21
	v_mul_f32_e32 v0, v123, v0
                                        ; implicit-def: $vgpr171
	s_delay_alu instid0(VALU_DEP_1) | instskip(NEXT) | instid1(VALU_DEP_1)
	v_and_b32_e32 v1, 0x7f800000, v0
	v_cmp_ne_u32_e64 s1, 0x7f800000, v1
	s_delay_alu instid0(VALU_DEP_1) | instskip(NEXT) | instid1(SALU_CYCLE_1)
	s_and_saveexec_b32 s21, s1
	s_xor_b32 s1, exec_lo, s21
; %bb.313:                              ;   in Loop: Header=BB440_13 Depth=1
	v_bfe_u32 v1, v0, 16, 1
	s_delay_alu instid0(VALU_DEP_1)
	v_add3_u32 v171, v0, v1, 0x7fff
                                        ; implicit-def: $vgpr0
; %bb.314:                              ;   in Loop: Header=BB440_13 Depth=1
	s_and_not1_saveexec_b32 s21, s1
; %bb.315:                              ;   in Loop: Header=BB440_13 Depth=1
	v_and_b32_e32 v1, 0xffff, v0
	v_or_b32_e32 v2, 0x10000, v0
	s_delay_alu instid0(VALU_DEP_2) | instskip(NEXT) | instid1(VALU_DEP_1)
	v_cmp_eq_u32_e64 s1, 0, v1
	v_cndmask_b32_e64 v171, v2, v0, s1
; %bb.316:                              ;   in Loop: Header=BB440_13 Depth=1
	s_or_b32 exec_lo, exec_lo, s21
	v_lshrrev_b16 v1, 8, v33
	v_mov_b32_e32 v0, 0
	s_mov_b32 s21, exec_lo
	s_delay_alu instid0(VALU_DEP_2)
	v_cmpx_ne_u16_e32 0, v1
	s_cbranch_execz .LBB440_324
; %bb.317:                              ;   in Loop: Header=BB440_13 Depth=1
	v_bfrev_b32_e32 v0, 1
	s_mov_b32 s22, exec_lo
	v_cmpx_ne_u16_e32 0x80, v1
	s_cbranch_execz .LBB440_323
; %bb.318:                              ;   in Loop: Header=BB440_13 Depth=1
	v_and_b32_e32 v2, 0xffff, v1
	v_mov_b32_e32 v0, 0x7f800001
	s_mov_b32 s23, exec_lo
	s_delay_alu instid0(VALU_DEP_2) | instskip(NEXT) | instid1(VALU_DEP_1)
	v_and_b32_e32 v1, 0x7f, v2
	v_cmpx_ne_u32_e32 0x7f, v1
	s_cbranch_execz .LBB440_322
; %bb.319:                              ;   in Loop: Header=BB440_13 Depth=1
	v_and_b32_e32 v19, 7, v2
	v_lshrrev_b32_e32 v0, 3, v1
	s_mov_b32 s24, exec_lo
	v_cmpx_gt_u32_e32 8, v1
; %bb.320:                              ;   in Loop: Header=BB440_13 Depth=1
	s_delay_alu instid0(VALU_DEP_3) | instskip(NEXT) | instid1(VALU_DEP_1)
	v_clz_i32_u32_e32 v0, v19
	v_min_u32_e32 v0, 32, v0
	s_delay_alu instid0(VALU_DEP_1) | instskip(SKIP_1) | instid1(VALU_DEP_2)
	v_subrev_nc_u32_e32 v1, 28, v0
	v_sub_nc_u32_e32 v0, 29, v0
	v_lshlrev_b64 v[1:2], v1, v[19:20]
	s_delay_alu instid0(VALU_DEP_1)
	v_and_b32_e32 v19, 7, v1
; %bb.321:                              ;   in Loop: Header=BB440_13 Depth=1
	s_or_b32 exec_lo, exec_lo, s24
	v_lshlrev_b32_e32 v1, 16, v33
	s_delay_alu instid0(VALU_DEP_2) | instskip(SKIP_1) | instid1(VALU_DEP_3)
	v_lshlrev_b32_e32 v2, 20, v19
	v_lshl_add_u32 v0, v0, 23, 0x3c000000
	v_and_b32_e32 v1, 0x80000000, v1
	s_delay_alu instid0(VALU_DEP_1)
	v_or3_b32 v0, v2, v1, v0
.LBB440_322:                            ;   in Loop: Header=BB440_13 Depth=1
	s_or_b32 exec_lo, exec_lo, s23
.LBB440_323:                            ;   in Loop: Header=BB440_13 Depth=1
	s_delay_alu instid0(SALU_CYCLE_1)
	s_or_b32 exec_lo, exec_lo, s22
.LBB440_324:                            ;   in Loop: Header=BB440_13 Depth=1
	s_delay_alu instid0(SALU_CYCLE_1) | instskip(NEXT) | instid1(VALU_DEP_1)
	s_or_b32 exec_lo, exec_lo, s21
	v_mul_f32_e32 v0, v123, v0
                                        ; implicit-def: $vgpr172
	s_delay_alu instid0(VALU_DEP_1) | instskip(NEXT) | instid1(VALU_DEP_1)
	v_and_b32_e32 v1, 0x7f800000, v0
	v_cmp_ne_u32_e64 s1, 0x7f800000, v1
	s_delay_alu instid0(VALU_DEP_1) | instskip(NEXT) | instid1(SALU_CYCLE_1)
	s_and_saveexec_b32 s21, s1
	s_xor_b32 s1, exec_lo, s21
; %bb.325:                              ;   in Loop: Header=BB440_13 Depth=1
	v_bfe_u32 v1, v0, 16, 1
	s_delay_alu instid0(VALU_DEP_1)
	v_add3_u32 v172, v0, v1, 0x7fff
                                        ; implicit-def: $vgpr0
; %bb.326:                              ;   in Loop: Header=BB440_13 Depth=1
	s_and_not1_saveexec_b32 s21, s1
; %bb.327:                              ;   in Loop: Header=BB440_13 Depth=1
	v_and_b32_e32 v1, 0xffff, v0
	v_or_b32_e32 v2, 0x10000, v0
	s_delay_alu instid0(VALU_DEP_2) | instskip(NEXT) | instid1(VALU_DEP_1)
	v_cmp_eq_u32_e64 s1, 0, v1
	v_cndmask_b32_e64 v172, v2, v0, s1
; %bb.328:                              ;   in Loop: Header=BB440_13 Depth=1
	s_or_b32 exec_lo, exec_lo, s21
	v_lshrrev_b32_e32 v0, 16, v33
	s_mov_b32 s21, exec_lo
	s_delay_alu instid0(VALU_DEP_1) | instskip(NEXT) | instid1(VALU_DEP_1)
	v_dual_mov_b32 v1, 0 :: v_dual_and_b32 v2, 0xff, v0
	v_cmpx_ne_u16_e32 0, v2
	s_cbranch_execz .LBB440_336
; %bb.329:                              ;   in Loop: Header=BB440_13 Depth=1
	v_bfrev_b32_e32 v1, 1
	s_mov_b32 s22, exec_lo
	v_cmpx_ne_u16_e32 0x80, v2
	s_cbranch_execz .LBB440_335
; %bb.330:                              ;   in Loop: Header=BB440_13 Depth=1
	v_bfe_u32 v2, v33, 16, 7
	v_mov_b32_e32 v1, 0x7f800001
	s_mov_b32 s23, exec_lo
	s_delay_alu instid0(VALU_DEP_2)
	v_cmpx_ne_u32_e32 0x7f, v2
	s_cbranch_execz .LBB440_334
; %bb.331:                              ;   in Loop: Header=BB440_13 Depth=1
	v_and_b32_e32 v19, 7, v0
	v_lshrrev_b32_e32 v1, 3, v2
	s_mov_b32 s24, exec_lo
	v_cmpx_gt_u32_e32 8, v2
; %bb.332:                              ;   in Loop: Header=BB440_13 Depth=1
	s_delay_alu instid0(VALU_DEP_3) | instskip(NEXT) | instid1(VALU_DEP_1)
	v_clz_i32_u32_e32 v1, v19
	v_min_u32_e32 v1, 32, v1
	s_delay_alu instid0(VALU_DEP_1) | instskip(SKIP_1) | instid1(VALU_DEP_2)
	v_subrev_nc_u32_e32 v2, 28, v1
	v_sub_nc_u32_e32 v1, 29, v1
	v_lshlrev_b64 v[2:3], v2, v[19:20]
	s_delay_alu instid0(VALU_DEP_1)
	v_and_b32_e32 v19, 7, v2
; %bb.333:                              ;   in Loop: Header=BB440_13 Depth=1
	s_or_b32 exec_lo, exec_lo, s24
	v_lshlrev_b32_e32 v0, 24, v0
	s_delay_alu instid0(VALU_DEP_2) | instskip(SKIP_1) | instid1(VALU_DEP_3)
	v_lshlrev_b32_e32 v2, 20, v19
	v_lshl_add_u32 v1, v1, 23, 0x3c000000
	v_and_b32_e32 v0, 0x80000000, v0
	s_delay_alu instid0(VALU_DEP_1)
	v_or3_b32 v1, v2, v0, v1
.LBB440_334:                            ;   in Loop: Header=BB440_13 Depth=1
	s_or_b32 exec_lo, exec_lo, s23
.LBB440_335:                            ;   in Loop: Header=BB440_13 Depth=1
	s_delay_alu instid0(SALU_CYCLE_1)
	s_or_b32 exec_lo, exec_lo, s22
.LBB440_336:                            ;   in Loop: Header=BB440_13 Depth=1
	s_delay_alu instid0(SALU_CYCLE_1) | instskip(NEXT) | instid1(VALU_DEP_1)
	s_or_b32 exec_lo, exec_lo, s21
	v_mul_f32_e32 v0, v123, v1
                                        ; implicit-def: $vgpr173
	s_delay_alu instid0(VALU_DEP_1) | instskip(NEXT) | instid1(VALU_DEP_1)
	v_and_b32_e32 v1, 0x7f800000, v0
	v_cmp_ne_u32_e64 s1, 0x7f800000, v1
	s_delay_alu instid0(VALU_DEP_1) | instskip(NEXT) | instid1(SALU_CYCLE_1)
	s_and_saveexec_b32 s21, s1
	s_xor_b32 s1, exec_lo, s21
; %bb.337:                              ;   in Loop: Header=BB440_13 Depth=1
	v_bfe_u32 v1, v0, 16, 1
	s_delay_alu instid0(VALU_DEP_1)
	v_add3_u32 v173, v0, v1, 0x7fff
                                        ; implicit-def: $vgpr0
; %bb.338:                              ;   in Loop: Header=BB440_13 Depth=1
	s_and_not1_saveexec_b32 s21, s1
; %bb.339:                              ;   in Loop: Header=BB440_13 Depth=1
	v_and_b32_e32 v1, 0xffff, v0
	v_or_b32_e32 v2, 0x10000, v0
	s_delay_alu instid0(VALU_DEP_2) | instskip(NEXT) | instid1(VALU_DEP_1)
	v_cmp_eq_u32_e64 s1, 0, v1
	v_cndmask_b32_e64 v173, v2, v0, s1
; %bb.340:                              ;   in Loop: Header=BB440_13 Depth=1
	s_or_b32 exec_lo, exec_lo, s21
	v_mov_b32_e32 v1, 0
	s_mov_b32 s21, exec_lo
	v_cmpx_lt_u32_e32 0xffffff, v33
	s_cbranch_execz .LBB440_348
; %bb.341:                              ;   in Loop: Header=BB440_13 Depth=1
	v_lshrrev_b32_e32 v0, 24, v33
	v_bfrev_b32_e32 v1, 1
	s_mov_b32 s22, exec_lo
	s_delay_alu instid0(VALU_DEP_2)
	v_cmpx_ne_u32_e32 0x80, v0
	s_cbranch_execz .LBB440_347
; %bb.342:                              ;   in Loop: Header=BB440_13 Depth=1
	v_bfe_u32 v2, v33, 24, 7
	v_mov_b32_e32 v1, 0x7f800001
	s_mov_b32 s23, exec_lo
	s_delay_alu instid0(VALU_DEP_2)
	v_cmpx_ne_u32_e32 0x7f, v2
	s_cbranch_execz .LBB440_346
; %bb.343:                              ;   in Loop: Header=BB440_13 Depth=1
	v_and_b32_e32 v19, 7, v0
	v_lshrrev_b32_e32 v1, 3, v2
	s_mov_b32 s24, exec_lo
	v_cmpx_gt_u32_e32 8, v2
; %bb.344:                              ;   in Loop: Header=BB440_13 Depth=1
	s_delay_alu instid0(VALU_DEP_3) | instskip(NEXT) | instid1(VALU_DEP_1)
	v_clz_i32_u32_e32 v1, v19
	v_min_u32_e32 v1, 32, v1
	s_delay_alu instid0(VALU_DEP_1) | instskip(SKIP_1) | instid1(VALU_DEP_2)
	v_subrev_nc_u32_e32 v2, 28, v1
	v_sub_nc_u32_e32 v1, 29, v1
	v_lshlrev_b64 v[2:3], v2, v[19:20]
	s_delay_alu instid0(VALU_DEP_1)
	v_and_b32_e32 v19, 7, v2
; %bb.345:                              ;   in Loop: Header=BB440_13 Depth=1
	s_or_b32 exec_lo, exec_lo, s24
	v_lshlrev_b32_e32 v0, 24, v0
	s_delay_alu instid0(VALU_DEP_2) | instskip(SKIP_1) | instid1(VALU_DEP_3)
	v_lshlrev_b32_e32 v2, 20, v19
	v_lshl_add_u32 v1, v1, 23, 0x3c000000
	v_and_b32_e32 v0, 0x80000000, v0
	s_delay_alu instid0(VALU_DEP_1)
	v_or3_b32 v1, v2, v0, v1
.LBB440_346:                            ;   in Loop: Header=BB440_13 Depth=1
	s_or_b32 exec_lo, exec_lo, s23
.LBB440_347:                            ;   in Loop: Header=BB440_13 Depth=1
	s_delay_alu instid0(SALU_CYCLE_1)
	s_or_b32 exec_lo, exec_lo, s22
.LBB440_348:                            ;   in Loop: Header=BB440_13 Depth=1
	s_delay_alu instid0(SALU_CYCLE_1) | instskip(NEXT) | instid1(VALU_DEP_1)
	s_or_b32 exec_lo, exec_lo, s21
	v_mul_f32_e32 v0, v123, v1
                                        ; implicit-def: $vgpr174
	s_delay_alu instid0(VALU_DEP_1) | instskip(NEXT) | instid1(VALU_DEP_1)
	v_and_b32_e32 v1, 0x7f800000, v0
	v_cmp_ne_u32_e64 s1, 0x7f800000, v1
	s_delay_alu instid0(VALU_DEP_1) | instskip(NEXT) | instid1(SALU_CYCLE_1)
	s_and_saveexec_b32 s21, s1
	s_xor_b32 s1, exec_lo, s21
; %bb.349:                              ;   in Loop: Header=BB440_13 Depth=1
	v_bfe_u32 v1, v0, 16, 1
	s_delay_alu instid0(VALU_DEP_1)
	v_add3_u32 v174, v0, v1, 0x7fff
                                        ; implicit-def: $vgpr0
; %bb.350:                              ;   in Loop: Header=BB440_13 Depth=1
	s_and_not1_saveexec_b32 s21, s1
; %bb.351:                              ;   in Loop: Header=BB440_13 Depth=1
	v_and_b32_e32 v1, 0xffff, v0
	v_or_b32_e32 v2, 0x10000, v0
	s_delay_alu instid0(VALU_DEP_2) | instskip(NEXT) | instid1(VALU_DEP_1)
	v_cmp_eq_u32_e64 s1, 0, v1
	v_cndmask_b32_e64 v174, v2, v0, s1
; %bb.352:                              ;   in Loop: Header=BB440_13 Depth=1
	s_or_b32 exec_lo, exec_lo, s21
	v_dual_mov_b32 v0, 0 :: v_dual_and_b32 v1, 0xff, v34
	v_mov_b32_e32 v19, v34
	s_mov_b32 s21, exec_lo
	s_delay_alu instid0(VALU_DEP_2)
	v_cmpx_ne_u16_e32 0, v1
	s_cbranch_execz .LBB440_360
; %bb.353:                              ;   in Loop: Header=BB440_13 Depth=1
	v_bfrev_b32_e32 v0, 1
	s_mov_b32 s22, exec_lo
	v_cmpx_ne_u16_e32 0x80, v1
	s_cbranch_execz .LBB440_359
; %bb.354:                              ;   in Loop: Header=BB440_13 Depth=1
	v_and_b32_e32 v1, 0x7f, v34
	v_mov_b32_e32 v0, 0x7f800001
	s_mov_b32 s23, exec_lo
	s_delay_alu instid0(VALU_DEP_2)
	v_cmpx_ne_u32_e32 0x7f, v1
	s_cbranch_execz .LBB440_358
; %bb.355:                              ;   in Loop: Header=BB440_13 Depth=1
	v_lshrrev_b32_e32 v0, 3, v1
	v_dual_mov_b32 v36, v20 :: v_dual_mov_b32 v35, v19
	s_mov_b32 s24, exec_lo
	v_cmpx_gt_u32_e32 8, v1
; %bb.356:                              ;   in Loop: Header=BB440_13 Depth=1
	v_and_b32_e32 v0, 7, v34
	s_delay_alu instid0(VALU_DEP_1) | instskip(NEXT) | instid1(VALU_DEP_1)
	v_clz_i32_u32_e32 v0, v0
	v_min_u32_e32 v0, 32, v0
	s_delay_alu instid0(VALU_DEP_1) | instskip(SKIP_1) | instid1(VALU_DEP_2)
	v_subrev_nc_u32_e32 v1, 28, v0
	v_sub_nc_u32_e32 v0, 29, v0
	v_lshlrev_b64 v[35:36], v1, v[19:20]
; %bb.357:                              ;   in Loop: Header=BB440_13 Depth=1
	s_or_b32 exec_lo, exec_lo, s24
	s_delay_alu instid0(VALU_DEP_1) | instskip(SKIP_2) | instid1(VALU_DEP_3)
	v_lshlrev_b32_e32 v1, 20, v35
	v_lshlrev_b32_e32 v2, 24, v19
	v_lshl_add_u32 v0, v0, 23, 0x3c000000
	v_and_b32_e32 v1, 0x700000, v1
	s_delay_alu instid0(VALU_DEP_3) | instskip(NEXT) | instid1(VALU_DEP_1)
	v_and_b32_e32 v2, 0x80000000, v2
	v_or3_b32 v0, v1, v2, v0
.LBB440_358:                            ;   in Loop: Header=BB440_13 Depth=1
	s_or_b32 exec_lo, exec_lo, s23
.LBB440_359:                            ;   in Loop: Header=BB440_13 Depth=1
	s_delay_alu instid0(SALU_CYCLE_1)
	s_or_b32 exec_lo, exec_lo, s22
.LBB440_360:                            ;   in Loop: Header=BB440_13 Depth=1
	s_delay_alu instid0(SALU_CYCLE_1) | instskip(NEXT) | instid1(VALU_DEP_1)
	s_or_b32 exec_lo, exec_lo, s21
	v_mul_f32_e32 v0, v123, v0
                                        ; implicit-def: $vgpr175
	s_delay_alu instid0(VALU_DEP_1) | instskip(NEXT) | instid1(VALU_DEP_1)
	v_and_b32_e32 v1, 0x7f800000, v0
	v_cmp_ne_u32_e64 s1, 0x7f800000, v1
	s_delay_alu instid0(VALU_DEP_1) | instskip(NEXT) | instid1(SALU_CYCLE_1)
	s_and_saveexec_b32 s21, s1
	s_xor_b32 s1, exec_lo, s21
; %bb.361:                              ;   in Loop: Header=BB440_13 Depth=1
	v_bfe_u32 v1, v0, 16, 1
	s_delay_alu instid0(VALU_DEP_1)
	v_add3_u32 v175, v0, v1, 0x7fff
                                        ; implicit-def: $vgpr0
; %bb.362:                              ;   in Loop: Header=BB440_13 Depth=1
	s_and_not1_saveexec_b32 s21, s1
; %bb.363:                              ;   in Loop: Header=BB440_13 Depth=1
	v_and_b32_e32 v1, 0xffff, v0
	v_or_b32_e32 v2, 0x10000, v0
	s_delay_alu instid0(VALU_DEP_2) | instskip(NEXT) | instid1(VALU_DEP_1)
	v_cmp_eq_u32_e64 s1, 0, v1
	v_cndmask_b32_e64 v175, v2, v0, s1
; %bb.364:                              ;   in Loop: Header=BB440_13 Depth=1
	s_or_b32 exec_lo, exec_lo, s21
	v_lshrrev_b16 v1, 8, v19
	v_mov_b32_e32 v0, 0
	s_mov_b32 s21, exec_lo
	s_delay_alu instid0(VALU_DEP_2)
	v_cmpx_ne_u16_e32 0, v1
	s_cbranch_execz .LBB440_372
; %bb.365:                              ;   in Loop: Header=BB440_13 Depth=1
	v_bfrev_b32_e32 v0, 1
	s_mov_b32 s22, exec_lo
	v_cmpx_ne_u16_e32 0x80, v1
	s_cbranch_execz .LBB440_371
; %bb.366:                              ;   in Loop: Header=BB440_13 Depth=1
	v_and_b32_e32 v2, 0xffff, v1
	v_mov_b32_e32 v0, 0x7f800001
	s_mov_b32 s23, exec_lo
	s_delay_alu instid0(VALU_DEP_2) | instskip(NEXT) | instid1(VALU_DEP_1)
	v_and_b32_e32 v1, 0x7f, v2
	v_cmpx_ne_u32_e32 0x7f, v1
	s_cbranch_execz .LBB440_370
; %bb.367:                              ;   in Loop: Header=BB440_13 Depth=1
	v_dual_mov_b32 v36, v20 :: v_dual_and_b32 v35, 7, v2
	v_lshrrev_b32_e32 v0, 3, v1
	s_mov_b32 s24, exec_lo
	v_cmpx_gt_u32_e32 8, v1
; %bb.368:                              ;   in Loop: Header=BB440_13 Depth=1
	s_delay_alu instid0(VALU_DEP_3) | instskip(NEXT) | instid1(VALU_DEP_1)
	v_clz_i32_u32_e32 v0, v35
	v_min_u32_e32 v0, 32, v0
	s_delay_alu instid0(VALU_DEP_1) | instskip(SKIP_1) | instid1(VALU_DEP_2)
	v_subrev_nc_u32_e32 v1, 28, v0
	v_sub_nc_u32_e32 v0, 29, v0
	v_lshlrev_b64 v[1:2], v1, v[35:36]
	s_delay_alu instid0(VALU_DEP_1)
	v_and_b32_e32 v35, 7, v1
; %bb.369:                              ;   in Loop: Header=BB440_13 Depth=1
	s_or_b32 exec_lo, exec_lo, s24
	v_lshlrev_b32_e32 v1, 16, v19
	s_delay_alu instid0(VALU_DEP_2) | instskip(SKIP_1) | instid1(VALU_DEP_3)
	v_lshlrev_b32_e32 v2, 20, v35
	v_lshl_add_u32 v0, v0, 23, 0x3c000000
	v_and_b32_e32 v1, 0x80000000, v1
	s_delay_alu instid0(VALU_DEP_1)
	v_or3_b32 v0, v2, v1, v0
.LBB440_370:                            ;   in Loop: Header=BB440_13 Depth=1
	s_or_b32 exec_lo, exec_lo, s23
.LBB440_371:                            ;   in Loop: Header=BB440_13 Depth=1
	s_delay_alu instid0(SALU_CYCLE_1)
	s_or_b32 exec_lo, exec_lo, s22
.LBB440_372:                            ;   in Loop: Header=BB440_13 Depth=1
	s_delay_alu instid0(SALU_CYCLE_1) | instskip(NEXT) | instid1(VALU_DEP_1)
	s_or_b32 exec_lo, exec_lo, s21
	v_mul_f32_e32 v0, v123, v0
                                        ; implicit-def: $vgpr184
	s_delay_alu instid0(VALU_DEP_1) | instskip(NEXT) | instid1(VALU_DEP_1)
	v_and_b32_e32 v1, 0x7f800000, v0
	v_cmp_ne_u32_e64 s1, 0x7f800000, v1
	s_delay_alu instid0(VALU_DEP_1) | instskip(NEXT) | instid1(SALU_CYCLE_1)
	s_and_saveexec_b32 s21, s1
	s_xor_b32 s1, exec_lo, s21
; %bb.373:                              ;   in Loop: Header=BB440_13 Depth=1
	v_bfe_u32 v1, v0, 16, 1
	s_delay_alu instid0(VALU_DEP_1)
	v_add3_u32 v184, v0, v1, 0x7fff
                                        ; implicit-def: $vgpr0
; %bb.374:                              ;   in Loop: Header=BB440_13 Depth=1
	s_and_not1_saveexec_b32 s21, s1
; %bb.375:                              ;   in Loop: Header=BB440_13 Depth=1
	v_and_b32_e32 v1, 0xffff, v0
	v_or_b32_e32 v2, 0x10000, v0
	s_delay_alu instid0(VALU_DEP_2) | instskip(NEXT) | instid1(VALU_DEP_1)
	v_cmp_eq_u32_e64 s1, 0, v1
	v_cndmask_b32_e64 v184, v2, v0, s1
; %bb.376:                              ;   in Loop: Header=BB440_13 Depth=1
	s_or_b32 exec_lo, exec_lo, s21
	v_lshrrev_b32_e32 v0, 16, v34
	s_mov_b32 s21, exec_lo
	s_delay_alu instid0(VALU_DEP_1) | instskip(NEXT) | instid1(VALU_DEP_1)
	v_dual_mov_b32 v1, 0 :: v_dual_and_b32 v2, 0xff, v0
	v_cmpx_ne_u16_e32 0, v2
	s_cbranch_execz .LBB440_384
; %bb.377:                              ;   in Loop: Header=BB440_13 Depth=1
	v_bfrev_b32_e32 v1, 1
	s_mov_b32 s22, exec_lo
	v_cmpx_ne_u16_e32 0x80, v2
	s_cbranch_execz .LBB440_383
; %bb.378:                              ;   in Loop: Header=BB440_13 Depth=1
	v_bfe_u32 v2, v34, 16, 7
	v_mov_b32_e32 v1, 0x7f800001
	s_mov_b32 s23, exec_lo
	s_delay_alu instid0(VALU_DEP_2)
	v_cmpx_ne_u32_e32 0x7f, v2
	s_cbranch_execz .LBB440_382
; %bb.379:                              ;   in Loop: Header=BB440_13 Depth=1
	v_and_b32_e32 v19, 7, v0
	v_lshrrev_b32_e32 v1, 3, v2
	s_mov_b32 s24, exec_lo
	v_cmpx_gt_u32_e32 8, v2
; %bb.380:                              ;   in Loop: Header=BB440_13 Depth=1
	s_delay_alu instid0(VALU_DEP_3) | instskip(NEXT) | instid1(VALU_DEP_1)
	v_clz_i32_u32_e32 v1, v19
	v_min_u32_e32 v1, 32, v1
	s_delay_alu instid0(VALU_DEP_1) | instskip(SKIP_1) | instid1(VALU_DEP_2)
	v_subrev_nc_u32_e32 v2, 28, v1
	v_sub_nc_u32_e32 v1, 29, v1
	v_lshlrev_b64 v[2:3], v2, v[19:20]
	s_delay_alu instid0(VALU_DEP_1)
	v_and_b32_e32 v19, 7, v2
; %bb.381:                              ;   in Loop: Header=BB440_13 Depth=1
	s_or_b32 exec_lo, exec_lo, s24
	v_lshlrev_b32_e32 v0, 24, v0
	s_delay_alu instid0(VALU_DEP_2) | instskip(SKIP_1) | instid1(VALU_DEP_3)
	v_lshlrev_b32_e32 v2, 20, v19
	v_lshl_add_u32 v1, v1, 23, 0x3c000000
	v_and_b32_e32 v0, 0x80000000, v0
	s_delay_alu instid0(VALU_DEP_1)
	v_or3_b32 v1, v2, v0, v1
.LBB440_382:                            ;   in Loop: Header=BB440_13 Depth=1
	s_or_b32 exec_lo, exec_lo, s23
.LBB440_383:                            ;   in Loop: Header=BB440_13 Depth=1
	s_delay_alu instid0(SALU_CYCLE_1)
	s_or_b32 exec_lo, exec_lo, s22
.LBB440_384:                            ;   in Loop: Header=BB440_13 Depth=1
	s_delay_alu instid0(SALU_CYCLE_1) | instskip(NEXT) | instid1(VALU_DEP_1)
	s_or_b32 exec_lo, exec_lo, s21
	v_mul_f32_e32 v0, v123, v1
                                        ; implicit-def: $vgpr185
	s_delay_alu instid0(VALU_DEP_1) | instskip(NEXT) | instid1(VALU_DEP_1)
	v_and_b32_e32 v1, 0x7f800000, v0
	v_cmp_ne_u32_e64 s1, 0x7f800000, v1
	s_delay_alu instid0(VALU_DEP_1) | instskip(NEXT) | instid1(SALU_CYCLE_1)
	s_and_saveexec_b32 s21, s1
	s_xor_b32 s1, exec_lo, s21
; %bb.385:                              ;   in Loop: Header=BB440_13 Depth=1
	v_bfe_u32 v1, v0, 16, 1
	s_delay_alu instid0(VALU_DEP_1)
	v_add3_u32 v185, v0, v1, 0x7fff
                                        ; implicit-def: $vgpr0
; %bb.386:                              ;   in Loop: Header=BB440_13 Depth=1
	s_and_not1_saveexec_b32 s21, s1
; %bb.387:                              ;   in Loop: Header=BB440_13 Depth=1
	v_and_b32_e32 v1, 0xffff, v0
	v_or_b32_e32 v2, 0x10000, v0
	s_delay_alu instid0(VALU_DEP_2) | instskip(NEXT) | instid1(VALU_DEP_1)
	v_cmp_eq_u32_e64 s1, 0, v1
	v_cndmask_b32_e64 v185, v2, v0, s1
; %bb.388:                              ;   in Loop: Header=BB440_13 Depth=1
	s_or_b32 exec_lo, exec_lo, s21
	v_mov_b32_e32 v1, 0
	s_mov_b32 s21, exec_lo
	v_cmpx_lt_u64_e64 s[16:17], v[33:34]
	s_cbranch_execz .LBB440_396
; %bb.389:                              ;   in Loop: Header=BB440_13 Depth=1
	v_lshrrev_b32_e32 v0, 24, v34
	v_bfrev_b32_e32 v1, 1
	s_mov_b32 s22, exec_lo
	s_delay_alu instid0(VALU_DEP_2)
	v_cmpx_ne_u32_e32 0x80, v0
	s_cbranch_execz .LBB440_395
; %bb.390:                              ;   in Loop: Header=BB440_13 Depth=1
	v_bfe_u32 v2, v34, 24, 7
	v_mov_b32_e32 v1, 0x7f800001
	s_mov_b32 s23, exec_lo
	s_delay_alu instid0(VALU_DEP_2)
	v_cmpx_ne_u32_e32 0x7f, v2
	s_cbranch_execz .LBB440_394
; %bb.391:                              ;   in Loop: Header=BB440_13 Depth=1
	v_and_b32_e32 v19, 7, v0
	v_lshrrev_b32_e32 v1, 3, v2
	s_mov_b32 s24, exec_lo
	v_cmpx_gt_u32_e32 8, v2
; %bb.392:                              ;   in Loop: Header=BB440_13 Depth=1
	s_delay_alu instid0(VALU_DEP_3) | instskip(NEXT) | instid1(VALU_DEP_1)
	v_clz_i32_u32_e32 v1, v19
	v_min_u32_e32 v1, 32, v1
	s_delay_alu instid0(VALU_DEP_1) | instskip(SKIP_1) | instid1(VALU_DEP_2)
	v_subrev_nc_u32_e32 v2, 28, v1
	v_sub_nc_u32_e32 v1, 29, v1
	v_lshlrev_b64 v[2:3], v2, v[19:20]
	s_delay_alu instid0(VALU_DEP_1)
	v_and_b32_e32 v19, 7, v2
; %bb.393:                              ;   in Loop: Header=BB440_13 Depth=1
	s_or_b32 exec_lo, exec_lo, s24
	v_lshlrev_b32_e32 v0, 24, v0
	s_delay_alu instid0(VALU_DEP_2) | instskip(SKIP_1) | instid1(VALU_DEP_3)
	v_lshlrev_b32_e32 v2, 20, v19
	v_lshl_add_u32 v1, v1, 23, 0x3c000000
	v_and_b32_e32 v0, 0x80000000, v0
	s_delay_alu instid0(VALU_DEP_1)
	v_or3_b32 v1, v2, v0, v1
.LBB440_394:                            ;   in Loop: Header=BB440_13 Depth=1
	s_or_b32 exec_lo, exec_lo, s23
.LBB440_395:                            ;   in Loop: Header=BB440_13 Depth=1
	s_delay_alu instid0(SALU_CYCLE_1)
	s_or_b32 exec_lo, exec_lo, s22
.LBB440_396:                            ;   in Loop: Header=BB440_13 Depth=1
	s_delay_alu instid0(SALU_CYCLE_1) | instskip(NEXT) | instid1(VALU_DEP_1)
	s_or_b32 exec_lo, exec_lo, s21
	v_mul_f32_e32 v0, v123, v1
                                        ; implicit-def: $vgpr186
	s_delay_alu instid0(VALU_DEP_1) | instskip(NEXT) | instid1(VALU_DEP_1)
	v_and_b32_e32 v1, 0x7f800000, v0
	v_cmp_ne_u32_e64 s1, 0x7f800000, v1
	s_delay_alu instid0(VALU_DEP_1) | instskip(NEXT) | instid1(SALU_CYCLE_1)
	s_and_saveexec_b32 s21, s1
	s_xor_b32 s1, exec_lo, s21
; %bb.397:                              ;   in Loop: Header=BB440_13 Depth=1
	v_bfe_u32 v1, v0, 16, 1
	s_delay_alu instid0(VALU_DEP_1)
	v_add3_u32 v186, v0, v1, 0x7fff
                                        ; implicit-def: $vgpr0
; %bb.398:                              ;   in Loop: Header=BB440_13 Depth=1
	s_and_not1_saveexec_b32 s21, s1
; %bb.399:                              ;   in Loop: Header=BB440_13 Depth=1
	v_and_b32_e32 v1, 0xffff, v0
	v_or_b32_e32 v2, 0x10000, v0
	s_delay_alu instid0(VALU_DEP_2) | instskip(NEXT) | instid1(VALU_DEP_1)
	v_cmp_eq_u32_e64 s1, 0, v1
	v_cndmask_b32_e64 v186, v2, v0, s1
; %bb.400:                              ;   in Loop: Header=BB440_13 Depth=1
	s_or_b32 exec_lo, exec_lo, s21
	flat_load_b64 v[33:34], v[31:32] offset:1024
	s_mov_b32 s21, exec_lo
	s_waitcnt vmcnt(0) lgkmcnt(0)
	v_dual_mov_b32 v0, 0 :: v_dual_and_b32 v1, 0xff, v33
	s_delay_alu instid0(VALU_DEP_1)
	v_cmpx_ne_u16_e32 0, v1
	s_cbranch_execz .LBB440_408
; %bb.401:                              ;   in Loop: Header=BB440_13 Depth=1
	v_bfrev_b32_e32 v0, 1
	s_mov_b32 s22, exec_lo
	v_cmpx_ne_u16_e32 0x80, v1
	s_cbranch_execz .LBB440_407
; %bb.402:                              ;   in Loop: Header=BB440_13 Depth=1
	v_and_b32_e32 v1, 0x7f, v33
	v_mov_b32_e32 v0, 0x7f800001
	s_mov_b32 s23, exec_lo
	s_delay_alu instid0(VALU_DEP_2)
	v_cmpx_ne_u32_e32 0x7f, v1
	s_cbranch_execz .LBB440_406
; %bb.403:                              ;   in Loop: Header=BB440_13 Depth=1
	v_lshrrev_b32_e32 v0, 3, v1
	v_dual_mov_b32 v36, v34 :: v_dual_mov_b32 v35, v33
	s_mov_b32 s24, exec_lo
	v_cmpx_gt_u32_e32 8, v1
; %bb.404:                              ;   in Loop: Header=BB440_13 Depth=1
	v_and_b32_e32 v0, 7, v33
	s_delay_alu instid0(VALU_DEP_1) | instskip(NEXT) | instid1(VALU_DEP_1)
	v_clz_i32_u32_e32 v0, v0
	v_min_u32_e32 v0, 32, v0
	s_delay_alu instid0(VALU_DEP_1) | instskip(SKIP_1) | instid1(VALU_DEP_2)
	v_subrev_nc_u32_e32 v1, 28, v0
	v_sub_nc_u32_e32 v0, 29, v0
	v_lshlrev_b64 v[35:36], v1, v[33:34]
; %bb.405:                              ;   in Loop: Header=BB440_13 Depth=1
	s_or_b32 exec_lo, exec_lo, s24
	s_delay_alu instid0(VALU_DEP_1) | instskip(SKIP_2) | instid1(VALU_DEP_3)
	v_lshlrev_b32_e32 v1, 20, v35
	v_lshlrev_b32_e32 v2, 24, v33
	v_lshl_add_u32 v0, v0, 23, 0x3c000000
	v_and_b32_e32 v1, 0x700000, v1
	s_delay_alu instid0(VALU_DEP_3) | instskip(NEXT) | instid1(VALU_DEP_1)
	v_and_b32_e32 v2, 0x80000000, v2
	v_or3_b32 v0, v1, v2, v0
.LBB440_406:                            ;   in Loop: Header=BB440_13 Depth=1
	s_or_b32 exec_lo, exec_lo, s23
.LBB440_407:                            ;   in Loop: Header=BB440_13 Depth=1
	s_delay_alu instid0(SALU_CYCLE_1)
	s_or_b32 exec_lo, exec_lo, s22
.LBB440_408:                            ;   in Loop: Header=BB440_13 Depth=1
	s_delay_alu instid0(SALU_CYCLE_1) | instskip(NEXT) | instid1(VALU_DEP_1)
	s_or_b32 exec_lo, exec_lo, s21
	v_mul_f32_e32 v0, v123, v0
                                        ; implicit-def: $vgpr187
	s_delay_alu instid0(VALU_DEP_1) | instskip(NEXT) | instid1(VALU_DEP_1)
	v_and_b32_e32 v1, 0x7f800000, v0
	v_cmp_ne_u32_e64 s1, 0x7f800000, v1
	s_delay_alu instid0(VALU_DEP_1) | instskip(NEXT) | instid1(SALU_CYCLE_1)
	s_and_saveexec_b32 s21, s1
	s_xor_b32 s1, exec_lo, s21
; %bb.409:                              ;   in Loop: Header=BB440_13 Depth=1
	v_bfe_u32 v1, v0, 16, 1
	s_delay_alu instid0(VALU_DEP_1)
	v_add3_u32 v187, v0, v1, 0x7fff
                                        ; implicit-def: $vgpr0
; %bb.410:                              ;   in Loop: Header=BB440_13 Depth=1
	s_and_not1_saveexec_b32 s21, s1
; %bb.411:                              ;   in Loop: Header=BB440_13 Depth=1
	v_and_b32_e32 v1, 0xffff, v0
	v_or_b32_e32 v2, 0x10000, v0
	s_delay_alu instid0(VALU_DEP_2) | instskip(NEXT) | instid1(VALU_DEP_1)
	v_cmp_eq_u32_e64 s1, 0, v1
	v_cndmask_b32_e64 v187, v2, v0, s1
; %bb.412:                              ;   in Loop: Header=BB440_13 Depth=1
	s_or_b32 exec_lo, exec_lo, s21
	v_lshrrev_b16 v1, 8, v33
	v_mov_b32_e32 v0, 0
	s_mov_b32 s21, exec_lo
	s_delay_alu instid0(VALU_DEP_2)
	v_cmpx_ne_u16_e32 0, v1
	s_cbranch_execz .LBB440_420
; %bb.413:                              ;   in Loop: Header=BB440_13 Depth=1
	v_bfrev_b32_e32 v0, 1
	s_mov_b32 s22, exec_lo
	v_cmpx_ne_u16_e32 0x80, v1
	s_cbranch_execz .LBB440_419
; %bb.414:                              ;   in Loop: Header=BB440_13 Depth=1
	v_and_b32_e32 v2, 0xffff, v1
	v_mov_b32_e32 v0, 0x7f800001
	s_mov_b32 s23, exec_lo
	s_delay_alu instid0(VALU_DEP_2) | instskip(NEXT) | instid1(VALU_DEP_1)
	v_and_b32_e32 v1, 0x7f, v2
	v_cmpx_ne_u32_e32 0x7f, v1
	s_cbranch_execz .LBB440_418
; %bb.415:                              ;   in Loop: Header=BB440_13 Depth=1
	v_and_b32_e32 v19, 7, v2
	v_lshrrev_b32_e32 v0, 3, v1
	s_mov_b32 s24, exec_lo
	v_cmpx_gt_u32_e32 8, v1
; %bb.416:                              ;   in Loop: Header=BB440_13 Depth=1
	s_delay_alu instid0(VALU_DEP_3) | instskip(NEXT) | instid1(VALU_DEP_1)
	v_clz_i32_u32_e32 v0, v19
	v_min_u32_e32 v0, 32, v0
	s_delay_alu instid0(VALU_DEP_1) | instskip(SKIP_1) | instid1(VALU_DEP_2)
	v_subrev_nc_u32_e32 v1, 28, v0
	v_sub_nc_u32_e32 v0, 29, v0
	v_lshlrev_b64 v[1:2], v1, v[19:20]
	s_delay_alu instid0(VALU_DEP_1)
	v_and_b32_e32 v19, 7, v1
; %bb.417:                              ;   in Loop: Header=BB440_13 Depth=1
	s_or_b32 exec_lo, exec_lo, s24
	v_lshlrev_b32_e32 v1, 16, v33
	s_delay_alu instid0(VALU_DEP_2) | instskip(SKIP_1) | instid1(VALU_DEP_3)
	v_lshlrev_b32_e32 v2, 20, v19
	v_lshl_add_u32 v0, v0, 23, 0x3c000000
	v_and_b32_e32 v1, 0x80000000, v1
	s_delay_alu instid0(VALU_DEP_1)
	v_or3_b32 v0, v2, v1, v0
.LBB440_418:                            ;   in Loop: Header=BB440_13 Depth=1
	s_or_b32 exec_lo, exec_lo, s23
.LBB440_419:                            ;   in Loop: Header=BB440_13 Depth=1
	s_delay_alu instid0(SALU_CYCLE_1)
	s_or_b32 exec_lo, exec_lo, s22
.LBB440_420:                            ;   in Loop: Header=BB440_13 Depth=1
	s_delay_alu instid0(SALU_CYCLE_1) | instskip(NEXT) | instid1(VALU_DEP_1)
	s_or_b32 exec_lo, exec_lo, s21
	v_mul_f32_e32 v0, v123, v0
                                        ; implicit-def: $vgpr188
	s_delay_alu instid0(VALU_DEP_1) | instskip(NEXT) | instid1(VALU_DEP_1)
	v_and_b32_e32 v1, 0x7f800000, v0
	v_cmp_ne_u32_e64 s1, 0x7f800000, v1
	s_delay_alu instid0(VALU_DEP_1) | instskip(NEXT) | instid1(SALU_CYCLE_1)
	s_and_saveexec_b32 s21, s1
	s_xor_b32 s1, exec_lo, s21
; %bb.421:                              ;   in Loop: Header=BB440_13 Depth=1
	v_bfe_u32 v1, v0, 16, 1
	s_delay_alu instid0(VALU_DEP_1)
	v_add3_u32 v188, v0, v1, 0x7fff
                                        ; implicit-def: $vgpr0
; %bb.422:                              ;   in Loop: Header=BB440_13 Depth=1
	s_and_not1_saveexec_b32 s21, s1
; %bb.423:                              ;   in Loop: Header=BB440_13 Depth=1
	v_and_b32_e32 v1, 0xffff, v0
	v_or_b32_e32 v2, 0x10000, v0
	s_delay_alu instid0(VALU_DEP_2) | instskip(NEXT) | instid1(VALU_DEP_1)
	v_cmp_eq_u32_e64 s1, 0, v1
	v_cndmask_b32_e64 v188, v2, v0, s1
; %bb.424:                              ;   in Loop: Header=BB440_13 Depth=1
	s_or_b32 exec_lo, exec_lo, s21
	v_lshrrev_b32_e32 v0, 16, v33
	s_mov_b32 s21, exec_lo
	s_delay_alu instid0(VALU_DEP_1) | instskip(NEXT) | instid1(VALU_DEP_1)
	v_dual_mov_b32 v1, 0 :: v_dual_and_b32 v2, 0xff, v0
	v_cmpx_ne_u16_e32 0, v2
	s_cbranch_execz .LBB440_432
; %bb.425:                              ;   in Loop: Header=BB440_13 Depth=1
	v_bfrev_b32_e32 v1, 1
	s_mov_b32 s22, exec_lo
	v_cmpx_ne_u16_e32 0x80, v2
	s_cbranch_execz .LBB440_431
; %bb.426:                              ;   in Loop: Header=BB440_13 Depth=1
	v_bfe_u32 v2, v33, 16, 7
	v_mov_b32_e32 v1, 0x7f800001
	s_mov_b32 s23, exec_lo
	s_delay_alu instid0(VALU_DEP_2)
	v_cmpx_ne_u32_e32 0x7f, v2
	s_cbranch_execz .LBB440_430
; %bb.427:                              ;   in Loop: Header=BB440_13 Depth=1
	v_and_b32_e32 v19, 7, v0
	v_lshrrev_b32_e32 v1, 3, v2
	s_mov_b32 s24, exec_lo
	v_cmpx_gt_u32_e32 8, v2
; %bb.428:                              ;   in Loop: Header=BB440_13 Depth=1
	s_delay_alu instid0(VALU_DEP_3) | instskip(NEXT) | instid1(VALU_DEP_1)
	v_clz_i32_u32_e32 v1, v19
	v_min_u32_e32 v1, 32, v1
	s_delay_alu instid0(VALU_DEP_1) | instskip(SKIP_1) | instid1(VALU_DEP_2)
	v_subrev_nc_u32_e32 v2, 28, v1
	v_sub_nc_u32_e32 v1, 29, v1
	v_lshlrev_b64 v[2:3], v2, v[19:20]
	s_delay_alu instid0(VALU_DEP_1)
	v_and_b32_e32 v19, 7, v2
; %bb.429:                              ;   in Loop: Header=BB440_13 Depth=1
	s_or_b32 exec_lo, exec_lo, s24
	v_lshlrev_b32_e32 v0, 24, v0
	s_delay_alu instid0(VALU_DEP_2) | instskip(SKIP_1) | instid1(VALU_DEP_3)
	v_lshlrev_b32_e32 v2, 20, v19
	v_lshl_add_u32 v1, v1, 23, 0x3c000000
	v_and_b32_e32 v0, 0x80000000, v0
	s_delay_alu instid0(VALU_DEP_1)
	v_or3_b32 v1, v2, v0, v1
.LBB440_430:                            ;   in Loop: Header=BB440_13 Depth=1
	s_or_b32 exec_lo, exec_lo, s23
.LBB440_431:                            ;   in Loop: Header=BB440_13 Depth=1
	s_delay_alu instid0(SALU_CYCLE_1)
	s_or_b32 exec_lo, exec_lo, s22
.LBB440_432:                            ;   in Loop: Header=BB440_13 Depth=1
	s_delay_alu instid0(SALU_CYCLE_1) | instskip(NEXT) | instid1(VALU_DEP_1)
	s_or_b32 exec_lo, exec_lo, s21
	v_mul_f32_e32 v0, v123, v1
                                        ; implicit-def: $vgpr189
	s_delay_alu instid0(VALU_DEP_1) | instskip(NEXT) | instid1(VALU_DEP_1)
	v_and_b32_e32 v1, 0x7f800000, v0
	v_cmp_ne_u32_e64 s1, 0x7f800000, v1
	s_delay_alu instid0(VALU_DEP_1) | instskip(NEXT) | instid1(SALU_CYCLE_1)
	s_and_saveexec_b32 s21, s1
	s_xor_b32 s1, exec_lo, s21
; %bb.433:                              ;   in Loop: Header=BB440_13 Depth=1
	v_bfe_u32 v1, v0, 16, 1
	s_delay_alu instid0(VALU_DEP_1)
	v_add3_u32 v189, v0, v1, 0x7fff
                                        ; implicit-def: $vgpr0
; %bb.434:                              ;   in Loop: Header=BB440_13 Depth=1
	s_and_not1_saveexec_b32 s21, s1
; %bb.435:                              ;   in Loop: Header=BB440_13 Depth=1
	v_and_b32_e32 v1, 0xffff, v0
	v_or_b32_e32 v2, 0x10000, v0
	s_delay_alu instid0(VALU_DEP_2) | instskip(NEXT) | instid1(VALU_DEP_1)
	v_cmp_eq_u32_e64 s1, 0, v1
	v_cndmask_b32_e64 v189, v2, v0, s1
; %bb.436:                              ;   in Loop: Header=BB440_13 Depth=1
	s_or_b32 exec_lo, exec_lo, s21
	v_mov_b32_e32 v1, 0
	s_mov_b32 s21, exec_lo
	v_cmpx_lt_u32_e32 0xffffff, v33
	s_cbranch_execz .LBB440_444
; %bb.437:                              ;   in Loop: Header=BB440_13 Depth=1
	v_lshrrev_b32_e32 v0, 24, v33
	v_bfrev_b32_e32 v1, 1
	s_mov_b32 s22, exec_lo
	s_delay_alu instid0(VALU_DEP_2)
	v_cmpx_ne_u32_e32 0x80, v0
	s_cbranch_execz .LBB440_443
; %bb.438:                              ;   in Loop: Header=BB440_13 Depth=1
	v_bfe_u32 v2, v33, 24, 7
	v_mov_b32_e32 v1, 0x7f800001
	s_mov_b32 s23, exec_lo
	s_delay_alu instid0(VALU_DEP_2)
	v_cmpx_ne_u32_e32 0x7f, v2
	s_cbranch_execz .LBB440_442
; %bb.439:                              ;   in Loop: Header=BB440_13 Depth=1
	v_and_b32_e32 v19, 7, v0
	v_lshrrev_b32_e32 v1, 3, v2
	s_mov_b32 s24, exec_lo
	v_cmpx_gt_u32_e32 8, v2
; %bb.440:                              ;   in Loop: Header=BB440_13 Depth=1
	s_delay_alu instid0(VALU_DEP_3) | instskip(NEXT) | instid1(VALU_DEP_1)
	v_clz_i32_u32_e32 v1, v19
	v_min_u32_e32 v1, 32, v1
	s_delay_alu instid0(VALU_DEP_1) | instskip(SKIP_1) | instid1(VALU_DEP_2)
	v_subrev_nc_u32_e32 v2, 28, v1
	v_sub_nc_u32_e32 v1, 29, v1
	v_lshlrev_b64 v[2:3], v2, v[19:20]
	s_delay_alu instid0(VALU_DEP_1)
	v_and_b32_e32 v19, 7, v2
; %bb.441:                              ;   in Loop: Header=BB440_13 Depth=1
	s_or_b32 exec_lo, exec_lo, s24
	v_lshlrev_b32_e32 v0, 24, v0
	s_delay_alu instid0(VALU_DEP_2) | instskip(SKIP_1) | instid1(VALU_DEP_3)
	v_lshlrev_b32_e32 v2, 20, v19
	v_lshl_add_u32 v1, v1, 23, 0x3c000000
	v_and_b32_e32 v0, 0x80000000, v0
	s_delay_alu instid0(VALU_DEP_1)
	v_or3_b32 v1, v2, v0, v1
.LBB440_442:                            ;   in Loop: Header=BB440_13 Depth=1
	s_or_b32 exec_lo, exec_lo, s23
.LBB440_443:                            ;   in Loop: Header=BB440_13 Depth=1
	s_delay_alu instid0(SALU_CYCLE_1)
	s_or_b32 exec_lo, exec_lo, s22
.LBB440_444:                            ;   in Loop: Header=BB440_13 Depth=1
	s_delay_alu instid0(SALU_CYCLE_1) | instskip(NEXT) | instid1(VALU_DEP_1)
	s_or_b32 exec_lo, exec_lo, s21
	v_mul_f32_e32 v0, v123, v1
                                        ; implicit-def: $vgpr190
	s_delay_alu instid0(VALU_DEP_1) | instskip(NEXT) | instid1(VALU_DEP_1)
	v_and_b32_e32 v1, 0x7f800000, v0
	v_cmp_ne_u32_e64 s1, 0x7f800000, v1
	s_delay_alu instid0(VALU_DEP_1) | instskip(NEXT) | instid1(SALU_CYCLE_1)
	s_and_saveexec_b32 s21, s1
	s_xor_b32 s1, exec_lo, s21
; %bb.445:                              ;   in Loop: Header=BB440_13 Depth=1
	v_bfe_u32 v1, v0, 16, 1
	s_delay_alu instid0(VALU_DEP_1)
	v_add3_u32 v190, v0, v1, 0x7fff
                                        ; implicit-def: $vgpr0
; %bb.446:                              ;   in Loop: Header=BB440_13 Depth=1
	s_and_not1_saveexec_b32 s21, s1
; %bb.447:                              ;   in Loop: Header=BB440_13 Depth=1
	v_and_b32_e32 v1, 0xffff, v0
	v_or_b32_e32 v2, 0x10000, v0
	s_delay_alu instid0(VALU_DEP_2) | instskip(NEXT) | instid1(VALU_DEP_1)
	v_cmp_eq_u32_e64 s1, 0, v1
	v_cndmask_b32_e64 v190, v2, v0, s1
; %bb.448:                              ;   in Loop: Header=BB440_13 Depth=1
	s_or_b32 exec_lo, exec_lo, s21
	v_dual_mov_b32 v0, 0 :: v_dual_and_b32 v1, 0xff, v34
	v_mov_b32_e32 v19, v34
	s_mov_b32 s21, exec_lo
	s_delay_alu instid0(VALU_DEP_2)
	v_cmpx_ne_u16_e32 0, v1
	s_cbranch_execz .LBB440_456
; %bb.449:                              ;   in Loop: Header=BB440_13 Depth=1
	v_bfrev_b32_e32 v0, 1
	s_mov_b32 s22, exec_lo
	v_cmpx_ne_u16_e32 0x80, v1
	s_cbranch_execz .LBB440_455
; %bb.450:                              ;   in Loop: Header=BB440_13 Depth=1
	v_and_b32_e32 v1, 0x7f, v34
	v_mov_b32_e32 v0, 0x7f800001
	s_mov_b32 s23, exec_lo
	s_delay_alu instid0(VALU_DEP_2)
	v_cmpx_ne_u32_e32 0x7f, v1
	s_cbranch_execz .LBB440_454
; %bb.451:                              ;   in Loop: Header=BB440_13 Depth=1
	v_lshrrev_b32_e32 v0, 3, v1
	v_dual_mov_b32 v36, v20 :: v_dual_mov_b32 v35, v19
	s_mov_b32 s24, exec_lo
	v_cmpx_gt_u32_e32 8, v1
; %bb.452:                              ;   in Loop: Header=BB440_13 Depth=1
	v_and_b32_e32 v0, 7, v34
	s_delay_alu instid0(VALU_DEP_1) | instskip(NEXT) | instid1(VALU_DEP_1)
	v_clz_i32_u32_e32 v0, v0
	v_min_u32_e32 v0, 32, v0
	s_delay_alu instid0(VALU_DEP_1) | instskip(SKIP_1) | instid1(VALU_DEP_2)
	v_subrev_nc_u32_e32 v1, 28, v0
	v_sub_nc_u32_e32 v0, 29, v0
	v_lshlrev_b64 v[35:36], v1, v[19:20]
; %bb.453:                              ;   in Loop: Header=BB440_13 Depth=1
	s_or_b32 exec_lo, exec_lo, s24
	s_delay_alu instid0(VALU_DEP_1) | instskip(SKIP_2) | instid1(VALU_DEP_3)
	v_lshlrev_b32_e32 v1, 20, v35
	v_lshlrev_b32_e32 v2, 24, v19
	v_lshl_add_u32 v0, v0, 23, 0x3c000000
	v_and_b32_e32 v1, 0x700000, v1
	s_delay_alu instid0(VALU_DEP_3) | instskip(NEXT) | instid1(VALU_DEP_1)
	v_and_b32_e32 v2, 0x80000000, v2
	v_or3_b32 v0, v1, v2, v0
.LBB440_454:                            ;   in Loop: Header=BB440_13 Depth=1
	s_or_b32 exec_lo, exec_lo, s23
.LBB440_455:                            ;   in Loop: Header=BB440_13 Depth=1
	s_delay_alu instid0(SALU_CYCLE_1)
	s_or_b32 exec_lo, exec_lo, s22
.LBB440_456:                            ;   in Loop: Header=BB440_13 Depth=1
	s_delay_alu instid0(SALU_CYCLE_1) | instskip(NEXT) | instid1(VALU_DEP_1)
	s_or_b32 exec_lo, exec_lo, s21
	v_mul_f32_e32 v0, v123, v0
                                        ; implicit-def: $vgpr191
	s_delay_alu instid0(VALU_DEP_1) | instskip(NEXT) | instid1(VALU_DEP_1)
	v_and_b32_e32 v1, 0x7f800000, v0
	v_cmp_ne_u32_e64 s1, 0x7f800000, v1
	s_delay_alu instid0(VALU_DEP_1) | instskip(NEXT) | instid1(SALU_CYCLE_1)
	s_and_saveexec_b32 s21, s1
	s_xor_b32 s1, exec_lo, s21
; %bb.457:                              ;   in Loop: Header=BB440_13 Depth=1
	v_bfe_u32 v1, v0, 16, 1
	s_delay_alu instid0(VALU_DEP_1)
	v_add3_u32 v191, v0, v1, 0x7fff
                                        ; implicit-def: $vgpr0
; %bb.458:                              ;   in Loop: Header=BB440_13 Depth=1
	s_and_not1_saveexec_b32 s21, s1
; %bb.459:                              ;   in Loop: Header=BB440_13 Depth=1
	v_and_b32_e32 v1, 0xffff, v0
	v_or_b32_e32 v2, 0x10000, v0
	s_delay_alu instid0(VALU_DEP_2) | instskip(NEXT) | instid1(VALU_DEP_1)
	v_cmp_eq_u32_e64 s1, 0, v1
	v_cndmask_b32_e64 v191, v2, v0, s1
; %bb.460:                              ;   in Loop: Header=BB440_13 Depth=1
	s_or_b32 exec_lo, exec_lo, s21
	v_lshrrev_b16 v1, 8, v19
	v_mov_b32_e32 v0, 0
	s_mov_b32 s21, exec_lo
	s_delay_alu instid0(VALU_DEP_2)
	v_cmpx_ne_u16_e32 0, v1
	s_cbranch_execz .LBB440_468
; %bb.461:                              ;   in Loop: Header=BB440_13 Depth=1
	v_bfrev_b32_e32 v0, 1
	s_mov_b32 s22, exec_lo
	v_cmpx_ne_u16_e32 0x80, v1
	s_cbranch_execz .LBB440_467
; %bb.462:                              ;   in Loop: Header=BB440_13 Depth=1
	v_and_b32_e32 v2, 0xffff, v1
	v_mov_b32_e32 v0, 0x7f800001
	s_mov_b32 s23, exec_lo
	s_delay_alu instid0(VALU_DEP_2) | instskip(NEXT) | instid1(VALU_DEP_1)
	v_and_b32_e32 v1, 0x7f, v2
	v_cmpx_ne_u32_e32 0x7f, v1
	s_cbranch_execz .LBB440_466
; %bb.463:                              ;   in Loop: Header=BB440_13 Depth=1
	v_dual_mov_b32 v36, v20 :: v_dual_and_b32 v35, 7, v2
	v_lshrrev_b32_e32 v0, 3, v1
	s_mov_b32 s24, exec_lo
	v_cmpx_gt_u32_e32 8, v1
; %bb.464:                              ;   in Loop: Header=BB440_13 Depth=1
	s_delay_alu instid0(VALU_DEP_3) | instskip(NEXT) | instid1(VALU_DEP_1)
	v_clz_i32_u32_e32 v0, v35
	v_min_u32_e32 v0, 32, v0
	s_delay_alu instid0(VALU_DEP_1) | instskip(SKIP_1) | instid1(VALU_DEP_2)
	v_subrev_nc_u32_e32 v1, 28, v0
	v_sub_nc_u32_e32 v0, 29, v0
	v_lshlrev_b64 v[1:2], v1, v[35:36]
	s_delay_alu instid0(VALU_DEP_1)
	v_and_b32_e32 v35, 7, v1
; %bb.465:                              ;   in Loop: Header=BB440_13 Depth=1
	s_or_b32 exec_lo, exec_lo, s24
	v_lshlrev_b32_e32 v1, 16, v19
	s_delay_alu instid0(VALU_DEP_2) | instskip(SKIP_1) | instid1(VALU_DEP_3)
	v_lshlrev_b32_e32 v2, 20, v35
	v_lshl_add_u32 v0, v0, 23, 0x3c000000
	v_and_b32_e32 v1, 0x80000000, v1
	s_delay_alu instid0(VALU_DEP_1)
	v_or3_b32 v0, v2, v1, v0
.LBB440_466:                            ;   in Loop: Header=BB440_13 Depth=1
	s_or_b32 exec_lo, exec_lo, s23
.LBB440_467:                            ;   in Loop: Header=BB440_13 Depth=1
	s_delay_alu instid0(SALU_CYCLE_1)
	s_or_b32 exec_lo, exec_lo, s22
.LBB440_468:                            ;   in Loop: Header=BB440_13 Depth=1
	s_delay_alu instid0(SALU_CYCLE_1) | instskip(NEXT) | instid1(VALU_DEP_1)
	s_or_b32 exec_lo, exec_lo, s21
	v_mul_f32_e32 v0, v123, v0
                                        ; implicit-def: $vgpr65
	s_delay_alu instid0(VALU_DEP_1) | instskip(NEXT) | instid1(VALU_DEP_1)
	v_and_b32_e32 v1, 0x7f800000, v0
	v_cmp_ne_u32_e64 s1, 0x7f800000, v1
	s_delay_alu instid0(VALU_DEP_1) | instskip(NEXT) | instid1(SALU_CYCLE_1)
	s_and_saveexec_b32 s21, s1
	s_xor_b32 s1, exec_lo, s21
; %bb.469:                              ;   in Loop: Header=BB440_13 Depth=1
	v_bfe_u32 v1, v0, 16, 1
	s_delay_alu instid0(VALU_DEP_1)
	v_add3_u32 v65, v0, v1, 0x7fff
                                        ; implicit-def: $vgpr0
; %bb.470:                              ;   in Loop: Header=BB440_13 Depth=1
	s_and_not1_saveexec_b32 s21, s1
; %bb.471:                              ;   in Loop: Header=BB440_13 Depth=1
	v_and_b32_e32 v1, 0xffff, v0
	v_or_b32_e32 v2, 0x10000, v0
	s_delay_alu instid0(VALU_DEP_2) | instskip(NEXT) | instid1(VALU_DEP_1)
	v_cmp_eq_u32_e64 s1, 0, v1
	v_cndmask_b32_e64 v65, v2, v0, s1
; %bb.472:                              ;   in Loop: Header=BB440_13 Depth=1
	s_or_b32 exec_lo, exec_lo, s21
	v_lshrrev_b32_e32 v0, 16, v34
	s_mov_b32 s21, exec_lo
	s_delay_alu instid0(VALU_DEP_1) | instskip(NEXT) | instid1(VALU_DEP_1)
	v_dual_mov_b32 v1, 0 :: v_dual_and_b32 v2, 0xff, v0
	v_cmpx_ne_u16_e32 0, v2
	s_cbranch_execz .LBB440_480
; %bb.473:                              ;   in Loop: Header=BB440_13 Depth=1
	v_bfrev_b32_e32 v1, 1
	s_mov_b32 s22, exec_lo
	v_cmpx_ne_u16_e32 0x80, v2
	s_cbranch_execz .LBB440_479
; %bb.474:                              ;   in Loop: Header=BB440_13 Depth=1
	v_bfe_u32 v2, v34, 16, 7
	v_mov_b32_e32 v1, 0x7f800001
	s_mov_b32 s23, exec_lo
	s_delay_alu instid0(VALU_DEP_2)
	v_cmpx_ne_u32_e32 0x7f, v2
	s_cbranch_execz .LBB440_478
; %bb.475:                              ;   in Loop: Header=BB440_13 Depth=1
	v_and_b32_e32 v19, 7, v0
	v_lshrrev_b32_e32 v1, 3, v2
	s_mov_b32 s24, exec_lo
	v_cmpx_gt_u32_e32 8, v2
; %bb.476:                              ;   in Loop: Header=BB440_13 Depth=1
	s_delay_alu instid0(VALU_DEP_3) | instskip(NEXT) | instid1(VALU_DEP_1)
	v_clz_i32_u32_e32 v1, v19
	v_min_u32_e32 v1, 32, v1
	s_delay_alu instid0(VALU_DEP_1) | instskip(SKIP_1) | instid1(VALU_DEP_2)
	v_subrev_nc_u32_e32 v2, 28, v1
	v_sub_nc_u32_e32 v1, 29, v1
	v_lshlrev_b64 v[2:3], v2, v[19:20]
	s_delay_alu instid0(VALU_DEP_1)
	v_and_b32_e32 v19, 7, v2
; %bb.477:                              ;   in Loop: Header=BB440_13 Depth=1
	s_or_b32 exec_lo, exec_lo, s24
	v_lshlrev_b32_e32 v0, 24, v0
	s_delay_alu instid0(VALU_DEP_2) | instskip(SKIP_1) | instid1(VALU_DEP_3)
	v_lshlrev_b32_e32 v2, 20, v19
	v_lshl_add_u32 v1, v1, 23, 0x3c000000
	v_and_b32_e32 v0, 0x80000000, v0
	s_delay_alu instid0(VALU_DEP_1)
	v_or3_b32 v1, v2, v0, v1
.LBB440_478:                            ;   in Loop: Header=BB440_13 Depth=1
	s_or_b32 exec_lo, exec_lo, s23
.LBB440_479:                            ;   in Loop: Header=BB440_13 Depth=1
	s_delay_alu instid0(SALU_CYCLE_1)
	s_or_b32 exec_lo, exec_lo, s22
.LBB440_480:                            ;   in Loop: Header=BB440_13 Depth=1
	s_delay_alu instid0(SALU_CYCLE_1) | instskip(NEXT) | instid1(VALU_DEP_1)
	s_or_b32 exec_lo, exec_lo, s21
	v_mul_f32_e32 v0, v123, v1
                                        ; implicit-def: $vgpr5
	s_delay_alu instid0(VALU_DEP_1) | instskip(NEXT) | instid1(VALU_DEP_1)
	v_and_b32_e32 v1, 0x7f800000, v0
	v_cmp_ne_u32_e64 s1, 0x7f800000, v1
	s_delay_alu instid0(VALU_DEP_1) | instskip(NEXT) | instid1(SALU_CYCLE_1)
	s_and_saveexec_b32 s21, s1
	s_xor_b32 s1, exec_lo, s21
; %bb.481:                              ;   in Loop: Header=BB440_13 Depth=1
	v_bfe_u32 v1, v0, 16, 1
	s_delay_alu instid0(VALU_DEP_1)
	v_add3_u32 v5, v0, v1, 0x7fff
                                        ; implicit-def: $vgpr0
; %bb.482:                              ;   in Loop: Header=BB440_13 Depth=1
	s_and_not1_saveexec_b32 s21, s1
; %bb.483:                              ;   in Loop: Header=BB440_13 Depth=1
	v_and_b32_e32 v1, 0xffff, v0
	v_or_b32_e32 v2, 0x10000, v0
	s_delay_alu instid0(VALU_DEP_2) | instskip(NEXT) | instid1(VALU_DEP_1)
	v_cmp_eq_u32_e64 s1, 0, v1
	v_cndmask_b32_e64 v5, v2, v0, s1
; %bb.484:                              ;   in Loop: Header=BB440_13 Depth=1
	s_or_b32 exec_lo, exec_lo, s21
	v_mov_b32_e32 v1, 0
	s_mov_b32 s21, exec_lo
	v_cmpx_lt_u64_e64 s[16:17], v[33:34]
	s_cbranch_execz .LBB440_492
; %bb.485:                              ;   in Loop: Header=BB440_13 Depth=1
	v_lshrrev_b32_e32 v0, 24, v34
	v_bfrev_b32_e32 v1, 1
	s_mov_b32 s22, exec_lo
	s_delay_alu instid0(VALU_DEP_2)
	v_cmpx_ne_u32_e32 0x80, v0
	s_cbranch_execz .LBB440_491
; %bb.486:                              ;   in Loop: Header=BB440_13 Depth=1
	v_bfe_u32 v2, v34, 24, 7
	v_mov_b32_e32 v1, 0x7f800001
	s_mov_b32 s23, exec_lo
	s_delay_alu instid0(VALU_DEP_2)
	v_cmpx_ne_u32_e32 0x7f, v2
	s_cbranch_execz .LBB440_490
; %bb.487:                              ;   in Loop: Header=BB440_13 Depth=1
	v_and_b32_e32 v19, 7, v0
	v_lshrrev_b32_e32 v1, 3, v2
	s_mov_b32 s24, exec_lo
	v_cmpx_gt_u32_e32 8, v2
; %bb.488:                              ;   in Loop: Header=BB440_13 Depth=1
	s_delay_alu instid0(VALU_DEP_3) | instskip(NEXT) | instid1(VALU_DEP_1)
	v_clz_i32_u32_e32 v1, v19
	v_min_u32_e32 v1, 32, v1
	s_delay_alu instid0(VALU_DEP_1) | instskip(SKIP_1) | instid1(VALU_DEP_2)
	v_subrev_nc_u32_e32 v2, 28, v1
	v_sub_nc_u32_e32 v1, 29, v1
	v_lshlrev_b64 v[2:3], v2, v[19:20]
	s_delay_alu instid0(VALU_DEP_1)
	v_and_b32_e32 v19, 7, v2
; %bb.489:                              ;   in Loop: Header=BB440_13 Depth=1
	s_or_b32 exec_lo, exec_lo, s24
	v_lshlrev_b32_e32 v0, 24, v0
	s_delay_alu instid0(VALU_DEP_2) | instskip(SKIP_1) | instid1(VALU_DEP_3)
	v_lshlrev_b32_e32 v2, 20, v19
	v_lshl_add_u32 v1, v1, 23, 0x3c000000
	v_and_b32_e32 v0, 0x80000000, v0
	s_delay_alu instid0(VALU_DEP_1)
	v_or3_b32 v1, v2, v0, v1
.LBB440_490:                            ;   in Loop: Header=BB440_13 Depth=1
	s_or_b32 exec_lo, exec_lo, s23
.LBB440_491:                            ;   in Loop: Header=BB440_13 Depth=1
	s_delay_alu instid0(SALU_CYCLE_1)
	s_or_b32 exec_lo, exec_lo, s22
.LBB440_492:                            ;   in Loop: Header=BB440_13 Depth=1
	s_delay_alu instid0(SALU_CYCLE_1) | instskip(NEXT) | instid1(VALU_DEP_1)
	s_or_b32 exec_lo, exec_lo, s21
	v_mul_f32_e32 v0, v123, v1
                                        ; implicit-def: $vgpr4
	s_delay_alu instid0(VALU_DEP_1) | instskip(NEXT) | instid1(VALU_DEP_1)
	v_and_b32_e32 v1, 0x7f800000, v0
	v_cmp_ne_u32_e64 s1, 0x7f800000, v1
	s_delay_alu instid0(VALU_DEP_1) | instskip(NEXT) | instid1(SALU_CYCLE_1)
	s_and_saveexec_b32 s21, s1
	s_xor_b32 s1, exec_lo, s21
; %bb.493:                              ;   in Loop: Header=BB440_13 Depth=1
	v_bfe_u32 v1, v0, 16, 1
	s_delay_alu instid0(VALU_DEP_1)
	v_add3_u32 v4, v0, v1, 0x7fff
                                        ; implicit-def: $vgpr0
; %bb.494:                              ;   in Loop: Header=BB440_13 Depth=1
	s_and_not1_saveexec_b32 s21, s1
; %bb.495:                              ;   in Loop: Header=BB440_13 Depth=1
	v_and_b32_e32 v1, 0xffff, v0
	v_or_b32_e32 v2, 0x10000, v0
	s_delay_alu instid0(VALU_DEP_2) | instskip(NEXT) | instid1(VALU_DEP_1)
	v_cmp_eq_u32_e64 s1, 0, v1
	v_cndmask_b32_e64 v4, v2, v0, s1
; %bb.496:                              ;   in Loop: Header=BB440_13 Depth=1
	s_or_b32 exec_lo, exec_lo, s21
	flat_load_b64 v[33:34], v[31:32] offset:1032
	s_mov_b32 s21, exec_lo
	s_waitcnt vmcnt(0) lgkmcnt(0)
	v_dual_mov_b32 v0, 0 :: v_dual_and_b32 v1, 0xff, v33
	s_delay_alu instid0(VALU_DEP_1)
	v_cmpx_ne_u16_e32 0, v1
	s_cbranch_execz .LBB440_504
; %bb.497:                              ;   in Loop: Header=BB440_13 Depth=1
	v_bfrev_b32_e32 v0, 1
	s_mov_b32 s22, exec_lo
	v_cmpx_ne_u16_e32 0x80, v1
	s_cbranch_execz .LBB440_503
; %bb.498:                              ;   in Loop: Header=BB440_13 Depth=1
	v_and_b32_e32 v1, 0x7f, v33
	v_mov_b32_e32 v0, 0x7f800001
	s_mov_b32 s23, exec_lo
	s_delay_alu instid0(VALU_DEP_2)
	v_cmpx_ne_u32_e32 0x7f, v1
	s_cbranch_execz .LBB440_502
; %bb.499:                              ;   in Loop: Header=BB440_13 Depth=1
	v_lshrrev_b32_e32 v0, 3, v1
	v_dual_mov_b32 v36, v34 :: v_dual_mov_b32 v35, v33
	s_mov_b32 s24, exec_lo
	v_cmpx_gt_u32_e32 8, v1
; %bb.500:                              ;   in Loop: Header=BB440_13 Depth=1
	v_and_b32_e32 v0, 7, v33
	s_delay_alu instid0(VALU_DEP_1) | instskip(NEXT) | instid1(VALU_DEP_1)
	v_clz_i32_u32_e32 v0, v0
	v_min_u32_e32 v0, 32, v0
	s_delay_alu instid0(VALU_DEP_1) | instskip(SKIP_1) | instid1(VALU_DEP_2)
	v_subrev_nc_u32_e32 v1, 28, v0
	v_sub_nc_u32_e32 v0, 29, v0
	v_lshlrev_b64 v[35:36], v1, v[33:34]
; %bb.501:                              ;   in Loop: Header=BB440_13 Depth=1
	s_or_b32 exec_lo, exec_lo, s24
	s_delay_alu instid0(VALU_DEP_1) | instskip(SKIP_2) | instid1(VALU_DEP_3)
	v_lshlrev_b32_e32 v1, 20, v35
	v_lshlrev_b32_e32 v2, 24, v33
	v_lshl_add_u32 v0, v0, 23, 0x3c000000
	v_and_b32_e32 v1, 0x700000, v1
	s_delay_alu instid0(VALU_DEP_3) | instskip(NEXT) | instid1(VALU_DEP_1)
	v_and_b32_e32 v2, 0x80000000, v2
	v_or3_b32 v0, v1, v2, v0
.LBB440_502:                            ;   in Loop: Header=BB440_13 Depth=1
	s_or_b32 exec_lo, exec_lo, s23
.LBB440_503:                            ;   in Loop: Header=BB440_13 Depth=1
	s_delay_alu instid0(SALU_CYCLE_1)
	s_or_b32 exec_lo, exec_lo, s22
.LBB440_504:                            ;   in Loop: Header=BB440_13 Depth=1
	s_delay_alu instid0(SALU_CYCLE_1) | instskip(NEXT) | instid1(VALU_DEP_1)
	s_or_b32 exec_lo, exec_lo, s21
	v_mul_f32_e32 v0, v123, v0
                                        ; implicit-def: $vgpr66
	s_delay_alu instid0(VALU_DEP_1) | instskip(NEXT) | instid1(VALU_DEP_1)
	v_and_b32_e32 v1, 0x7f800000, v0
	v_cmp_ne_u32_e64 s1, 0x7f800000, v1
	s_delay_alu instid0(VALU_DEP_1) | instskip(NEXT) | instid1(SALU_CYCLE_1)
	s_and_saveexec_b32 s21, s1
	s_xor_b32 s1, exec_lo, s21
; %bb.505:                              ;   in Loop: Header=BB440_13 Depth=1
	v_bfe_u32 v1, v0, 16, 1
	s_delay_alu instid0(VALU_DEP_1)
	v_add3_u32 v66, v0, v1, 0x7fff
                                        ; implicit-def: $vgpr0
; %bb.506:                              ;   in Loop: Header=BB440_13 Depth=1
	s_and_not1_saveexec_b32 s21, s1
; %bb.507:                              ;   in Loop: Header=BB440_13 Depth=1
	v_and_b32_e32 v1, 0xffff, v0
	v_or_b32_e32 v2, 0x10000, v0
	s_delay_alu instid0(VALU_DEP_2) | instskip(NEXT) | instid1(VALU_DEP_1)
	v_cmp_eq_u32_e64 s1, 0, v1
	v_cndmask_b32_e64 v66, v2, v0, s1
; %bb.508:                              ;   in Loop: Header=BB440_13 Depth=1
	s_or_b32 exec_lo, exec_lo, s21
	v_lshrrev_b16 v1, 8, v33
	v_mov_b32_e32 v0, 0
	s_mov_b32 s21, exec_lo
	s_delay_alu instid0(VALU_DEP_2)
	v_cmpx_ne_u16_e32 0, v1
	s_cbranch_execz .LBB440_516
; %bb.509:                              ;   in Loop: Header=BB440_13 Depth=1
	v_bfrev_b32_e32 v0, 1
	s_mov_b32 s22, exec_lo
	v_cmpx_ne_u16_e32 0x80, v1
	s_cbranch_execz .LBB440_515
; %bb.510:                              ;   in Loop: Header=BB440_13 Depth=1
	v_and_b32_e32 v2, 0xffff, v1
	v_mov_b32_e32 v0, 0x7f800001
	s_mov_b32 s23, exec_lo
	s_delay_alu instid0(VALU_DEP_2) | instskip(NEXT) | instid1(VALU_DEP_1)
	v_and_b32_e32 v1, 0x7f, v2
	v_cmpx_ne_u32_e32 0x7f, v1
	s_cbranch_execz .LBB440_514
; %bb.511:                              ;   in Loop: Header=BB440_13 Depth=1
	v_and_b32_e32 v19, 7, v2
	v_lshrrev_b32_e32 v0, 3, v1
	s_mov_b32 s24, exec_lo
	v_cmpx_gt_u32_e32 8, v1
; %bb.512:                              ;   in Loop: Header=BB440_13 Depth=1
	s_delay_alu instid0(VALU_DEP_3) | instskip(NEXT) | instid1(VALU_DEP_1)
	v_clz_i32_u32_e32 v0, v19
	v_min_u32_e32 v0, 32, v0
	s_delay_alu instid0(VALU_DEP_1) | instskip(SKIP_1) | instid1(VALU_DEP_2)
	v_subrev_nc_u32_e32 v1, 28, v0
	v_sub_nc_u32_e32 v0, 29, v0
	v_lshlrev_b64 v[1:2], v1, v[19:20]
	s_delay_alu instid0(VALU_DEP_1)
	v_and_b32_e32 v19, 7, v1
; %bb.513:                              ;   in Loop: Header=BB440_13 Depth=1
	s_or_b32 exec_lo, exec_lo, s24
	v_lshlrev_b32_e32 v1, 16, v33
	s_delay_alu instid0(VALU_DEP_2) | instskip(SKIP_1) | instid1(VALU_DEP_3)
	v_lshlrev_b32_e32 v2, 20, v19
	v_lshl_add_u32 v0, v0, 23, 0x3c000000
	v_and_b32_e32 v1, 0x80000000, v1
	s_delay_alu instid0(VALU_DEP_1)
	v_or3_b32 v0, v2, v1, v0
.LBB440_514:                            ;   in Loop: Header=BB440_13 Depth=1
	s_or_b32 exec_lo, exec_lo, s23
.LBB440_515:                            ;   in Loop: Header=BB440_13 Depth=1
	s_delay_alu instid0(SALU_CYCLE_1)
	s_or_b32 exec_lo, exec_lo, s22
.LBB440_516:                            ;   in Loop: Header=BB440_13 Depth=1
	s_delay_alu instid0(SALU_CYCLE_1) | instskip(NEXT) | instid1(VALU_DEP_1)
	s_or_b32 exec_lo, exec_lo, s21
	v_mul_f32_e32 v0, v123, v0
                                        ; implicit-def: $vgpr64
	s_delay_alu instid0(VALU_DEP_1) | instskip(NEXT) | instid1(VALU_DEP_1)
	v_and_b32_e32 v1, 0x7f800000, v0
	v_cmp_ne_u32_e64 s1, 0x7f800000, v1
	s_delay_alu instid0(VALU_DEP_1) | instskip(NEXT) | instid1(SALU_CYCLE_1)
	s_and_saveexec_b32 s21, s1
	s_xor_b32 s1, exec_lo, s21
; %bb.517:                              ;   in Loop: Header=BB440_13 Depth=1
	v_bfe_u32 v1, v0, 16, 1
	s_delay_alu instid0(VALU_DEP_1)
	v_add3_u32 v64, v0, v1, 0x7fff
                                        ; implicit-def: $vgpr0
; %bb.518:                              ;   in Loop: Header=BB440_13 Depth=1
	s_and_not1_saveexec_b32 s21, s1
; %bb.519:                              ;   in Loop: Header=BB440_13 Depth=1
	v_and_b32_e32 v1, 0xffff, v0
	v_or_b32_e32 v2, 0x10000, v0
	s_delay_alu instid0(VALU_DEP_2) | instskip(NEXT) | instid1(VALU_DEP_1)
	v_cmp_eq_u32_e64 s1, 0, v1
	v_cndmask_b32_e64 v64, v2, v0, s1
; %bb.520:                              ;   in Loop: Header=BB440_13 Depth=1
	s_or_b32 exec_lo, exec_lo, s21
	v_lshrrev_b32_e32 v0, 16, v33
	s_mov_b32 s21, exec_lo
	s_delay_alu instid0(VALU_DEP_1) | instskip(NEXT) | instid1(VALU_DEP_1)
	v_dual_mov_b32 v1, 0 :: v_dual_and_b32 v2, 0xff, v0
	v_cmpx_ne_u16_e32 0, v2
	s_cbranch_execz .LBB440_528
; %bb.521:                              ;   in Loop: Header=BB440_13 Depth=1
	v_bfrev_b32_e32 v1, 1
	s_mov_b32 s22, exec_lo
	v_cmpx_ne_u16_e32 0x80, v2
	s_cbranch_execz .LBB440_527
; %bb.522:                              ;   in Loop: Header=BB440_13 Depth=1
	v_bfe_u32 v2, v33, 16, 7
	v_mov_b32_e32 v1, 0x7f800001
	s_mov_b32 s23, exec_lo
	s_delay_alu instid0(VALU_DEP_2)
	v_cmpx_ne_u32_e32 0x7f, v2
	s_cbranch_execz .LBB440_526
; %bb.523:                              ;   in Loop: Header=BB440_13 Depth=1
	v_and_b32_e32 v19, 7, v0
	v_lshrrev_b32_e32 v1, 3, v2
	s_mov_b32 s24, exec_lo
	v_cmpx_gt_u32_e32 8, v2
; %bb.524:                              ;   in Loop: Header=BB440_13 Depth=1
	s_delay_alu instid0(VALU_DEP_3) | instskip(NEXT) | instid1(VALU_DEP_1)
	v_clz_i32_u32_e32 v1, v19
	v_min_u32_e32 v1, 32, v1
	s_delay_alu instid0(VALU_DEP_1) | instskip(SKIP_1) | instid1(VALU_DEP_2)
	v_subrev_nc_u32_e32 v2, 28, v1
	v_sub_nc_u32_e32 v1, 29, v1
	v_lshlrev_b64 v[2:3], v2, v[19:20]
	s_delay_alu instid0(VALU_DEP_1)
	v_and_b32_e32 v19, 7, v2
; %bb.525:                              ;   in Loop: Header=BB440_13 Depth=1
	s_or_b32 exec_lo, exec_lo, s24
	v_lshlrev_b32_e32 v0, 24, v0
	s_delay_alu instid0(VALU_DEP_2) | instskip(SKIP_1) | instid1(VALU_DEP_3)
	v_lshlrev_b32_e32 v2, 20, v19
	v_lshl_add_u32 v1, v1, 23, 0x3c000000
	v_and_b32_e32 v0, 0x80000000, v0
	s_delay_alu instid0(VALU_DEP_1)
	v_or3_b32 v1, v2, v0, v1
.LBB440_526:                            ;   in Loop: Header=BB440_13 Depth=1
	s_or_b32 exec_lo, exec_lo, s23
.LBB440_527:                            ;   in Loop: Header=BB440_13 Depth=1
	s_delay_alu instid0(SALU_CYCLE_1)
	s_or_b32 exec_lo, exec_lo, s22
.LBB440_528:                            ;   in Loop: Header=BB440_13 Depth=1
	s_delay_alu instid0(SALU_CYCLE_1) | instskip(NEXT) | instid1(VALU_DEP_1)
	s_or_b32 exec_lo, exec_lo, s21
	v_mul_f32_e32 v0, v123, v1
                                        ; implicit-def: $vgpr54
	s_delay_alu instid0(VALU_DEP_1) | instskip(NEXT) | instid1(VALU_DEP_1)
	v_and_b32_e32 v1, 0x7f800000, v0
	v_cmp_ne_u32_e64 s1, 0x7f800000, v1
	s_delay_alu instid0(VALU_DEP_1) | instskip(NEXT) | instid1(SALU_CYCLE_1)
	s_and_saveexec_b32 s21, s1
	s_xor_b32 s1, exec_lo, s21
; %bb.529:                              ;   in Loop: Header=BB440_13 Depth=1
	v_bfe_u32 v1, v0, 16, 1
	s_delay_alu instid0(VALU_DEP_1)
	v_add3_u32 v54, v0, v1, 0x7fff
                                        ; implicit-def: $vgpr0
; %bb.530:                              ;   in Loop: Header=BB440_13 Depth=1
	s_and_not1_saveexec_b32 s21, s1
; %bb.531:                              ;   in Loop: Header=BB440_13 Depth=1
	v_and_b32_e32 v1, 0xffff, v0
	v_or_b32_e32 v2, 0x10000, v0
	s_delay_alu instid0(VALU_DEP_2) | instskip(NEXT) | instid1(VALU_DEP_1)
	v_cmp_eq_u32_e64 s1, 0, v1
	v_cndmask_b32_e64 v54, v2, v0, s1
; %bb.532:                              ;   in Loop: Header=BB440_13 Depth=1
	s_or_b32 exec_lo, exec_lo, s21
	v_mov_b32_e32 v1, 0
	s_mov_b32 s21, exec_lo
	v_cmpx_lt_u32_e32 0xffffff, v33
	s_cbranch_execz .LBB440_540
; %bb.533:                              ;   in Loop: Header=BB440_13 Depth=1
	v_lshrrev_b32_e32 v0, 24, v33
	v_bfrev_b32_e32 v1, 1
	s_mov_b32 s22, exec_lo
	s_delay_alu instid0(VALU_DEP_2)
	v_cmpx_ne_u32_e32 0x80, v0
	s_cbranch_execz .LBB440_539
; %bb.534:                              ;   in Loop: Header=BB440_13 Depth=1
	v_bfe_u32 v2, v33, 24, 7
	v_mov_b32_e32 v1, 0x7f800001
	s_mov_b32 s23, exec_lo
	s_delay_alu instid0(VALU_DEP_2)
	v_cmpx_ne_u32_e32 0x7f, v2
	s_cbranch_execz .LBB440_538
; %bb.535:                              ;   in Loop: Header=BB440_13 Depth=1
	v_and_b32_e32 v19, 7, v0
	v_lshrrev_b32_e32 v1, 3, v2
	s_mov_b32 s24, exec_lo
	v_cmpx_gt_u32_e32 8, v2
; %bb.536:                              ;   in Loop: Header=BB440_13 Depth=1
	s_delay_alu instid0(VALU_DEP_3) | instskip(NEXT) | instid1(VALU_DEP_1)
	v_clz_i32_u32_e32 v1, v19
	v_min_u32_e32 v1, 32, v1
	s_delay_alu instid0(VALU_DEP_1) | instskip(SKIP_1) | instid1(VALU_DEP_2)
	v_subrev_nc_u32_e32 v2, 28, v1
	v_sub_nc_u32_e32 v1, 29, v1
	v_lshlrev_b64 v[2:3], v2, v[19:20]
	s_delay_alu instid0(VALU_DEP_1)
	v_and_b32_e32 v19, 7, v2
; %bb.537:                              ;   in Loop: Header=BB440_13 Depth=1
	s_or_b32 exec_lo, exec_lo, s24
	v_lshlrev_b32_e32 v0, 24, v0
	s_delay_alu instid0(VALU_DEP_2) | instskip(SKIP_1) | instid1(VALU_DEP_3)
	v_lshlrev_b32_e32 v2, 20, v19
	v_lshl_add_u32 v1, v1, 23, 0x3c000000
	v_and_b32_e32 v0, 0x80000000, v0
	s_delay_alu instid0(VALU_DEP_1)
	v_or3_b32 v1, v2, v0, v1
.LBB440_538:                            ;   in Loop: Header=BB440_13 Depth=1
	s_or_b32 exec_lo, exec_lo, s23
.LBB440_539:                            ;   in Loop: Header=BB440_13 Depth=1
	s_delay_alu instid0(SALU_CYCLE_1)
	s_or_b32 exec_lo, exec_lo, s22
.LBB440_540:                            ;   in Loop: Header=BB440_13 Depth=1
	s_delay_alu instid0(SALU_CYCLE_1) | instskip(NEXT) | instid1(VALU_DEP_1)
	s_or_b32 exec_lo, exec_lo, s21
	v_mul_f32_e32 v0, v123, v1
                                        ; implicit-def: $vgpr21
	s_delay_alu instid0(VALU_DEP_1) | instskip(NEXT) | instid1(VALU_DEP_1)
	v_and_b32_e32 v1, 0x7f800000, v0
	v_cmp_ne_u32_e64 s1, 0x7f800000, v1
	s_delay_alu instid0(VALU_DEP_1) | instskip(NEXT) | instid1(SALU_CYCLE_1)
	s_and_saveexec_b32 s21, s1
	s_xor_b32 s1, exec_lo, s21
; %bb.541:                              ;   in Loop: Header=BB440_13 Depth=1
	v_bfe_u32 v1, v0, 16, 1
	s_delay_alu instid0(VALU_DEP_1)
	v_add3_u32 v21, v0, v1, 0x7fff
                                        ; implicit-def: $vgpr0
; %bb.542:                              ;   in Loop: Header=BB440_13 Depth=1
	s_and_not1_saveexec_b32 s21, s1
; %bb.543:                              ;   in Loop: Header=BB440_13 Depth=1
	v_and_b32_e32 v1, 0xffff, v0
	v_or_b32_e32 v2, 0x10000, v0
	s_delay_alu instid0(VALU_DEP_2) | instskip(NEXT) | instid1(VALU_DEP_1)
	v_cmp_eq_u32_e64 s1, 0, v1
	v_cndmask_b32_e64 v21, v2, v0, s1
; %bb.544:                              ;   in Loop: Header=BB440_13 Depth=1
	s_or_b32 exec_lo, exec_lo, s21
	v_dual_mov_b32 v0, 0 :: v_dual_and_b32 v1, 0xff, v34
	v_mov_b32_e32 v19, v34
	s_mov_b32 s21, exec_lo
	s_delay_alu instid0(VALU_DEP_2)
	v_cmpx_ne_u16_e32 0, v1
	s_cbranch_execz .LBB440_552
; %bb.545:                              ;   in Loop: Header=BB440_13 Depth=1
	v_bfrev_b32_e32 v0, 1
	s_mov_b32 s22, exec_lo
	v_cmpx_ne_u16_e32 0x80, v1
	s_cbranch_execz .LBB440_551
; %bb.546:                              ;   in Loop: Header=BB440_13 Depth=1
	v_and_b32_e32 v1, 0x7f, v34
	v_mov_b32_e32 v0, 0x7f800001
	s_mov_b32 s23, exec_lo
	s_delay_alu instid0(VALU_DEP_2)
	v_cmpx_ne_u32_e32 0x7f, v1
	s_cbranch_execz .LBB440_550
; %bb.547:                              ;   in Loop: Header=BB440_13 Depth=1
	v_lshrrev_b32_e32 v0, 3, v1
	v_dual_mov_b32 v36, v20 :: v_dual_mov_b32 v35, v19
	s_mov_b32 s24, exec_lo
	v_cmpx_gt_u32_e32 8, v1
; %bb.548:                              ;   in Loop: Header=BB440_13 Depth=1
	v_and_b32_e32 v0, 7, v34
	s_delay_alu instid0(VALU_DEP_1) | instskip(NEXT) | instid1(VALU_DEP_1)
	v_clz_i32_u32_e32 v0, v0
	v_min_u32_e32 v0, 32, v0
	s_delay_alu instid0(VALU_DEP_1) | instskip(SKIP_1) | instid1(VALU_DEP_2)
	v_subrev_nc_u32_e32 v1, 28, v0
	v_sub_nc_u32_e32 v0, 29, v0
	v_lshlrev_b64 v[35:36], v1, v[19:20]
; %bb.549:                              ;   in Loop: Header=BB440_13 Depth=1
	s_or_b32 exec_lo, exec_lo, s24
	s_delay_alu instid0(VALU_DEP_1) | instskip(SKIP_2) | instid1(VALU_DEP_3)
	v_lshlrev_b32_e32 v1, 20, v35
	v_lshlrev_b32_e32 v2, 24, v19
	v_lshl_add_u32 v0, v0, 23, 0x3c000000
	v_and_b32_e32 v1, 0x700000, v1
	s_delay_alu instid0(VALU_DEP_3) | instskip(NEXT) | instid1(VALU_DEP_1)
	v_and_b32_e32 v2, 0x80000000, v2
	v_or3_b32 v0, v1, v2, v0
.LBB440_550:                            ;   in Loop: Header=BB440_13 Depth=1
	s_or_b32 exec_lo, exec_lo, s23
.LBB440_551:                            ;   in Loop: Header=BB440_13 Depth=1
	s_delay_alu instid0(SALU_CYCLE_1)
	s_or_b32 exec_lo, exec_lo, s22
.LBB440_552:                            ;   in Loop: Header=BB440_13 Depth=1
	s_delay_alu instid0(SALU_CYCLE_1) | instskip(NEXT) | instid1(VALU_DEP_1)
	s_or_b32 exec_lo, exec_lo, s21
	v_mul_f32_e32 v0, v123, v0
                                        ; implicit-def: $vgpr6
	s_delay_alu instid0(VALU_DEP_1) | instskip(NEXT) | instid1(VALU_DEP_1)
	v_and_b32_e32 v1, 0x7f800000, v0
	v_cmp_ne_u32_e64 s1, 0x7f800000, v1
	s_delay_alu instid0(VALU_DEP_1) | instskip(NEXT) | instid1(SALU_CYCLE_1)
	s_and_saveexec_b32 s21, s1
	s_xor_b32 s1, exec_lo, s21
; %bb.553:                              ;   in Loop: Header=BB440_13 Depth=1
	v_bfe_u32 v1, v0, 16, 1
	s_delay_alu instid0(VALU_DEP_1)
	v_add3_u32 v6, v0, v1, 0x7fff
                                        ; implicit-def: $vgpr0
; %bb.554:                              ;   in Loop: Header=BB440_13 Depth=1
	s_and_not1_saveexec_b32 s21, s1
; %bb.555:                              ;   in Loop: Header=BB440_13 Depth=1
	v_and_b32_e32 v1, 0xffff, v0
	v_or_b32_e32 v2, 0x10000, v0
	s_delay_alu instid0(VALU_DEP_2) | instskip(NEXT) | instid1(VALU_DEP_1)
	v_cmp_eq_u32_e64 s1, 0, v1
	v_cndmask_b32_e64 v6, v2, v0, s1
; %bb.556:                              ;   in Loop: Header=BB440_13 Depth=1
	s_or_b32 exec_lo, exec_lo, s21
	v_lshrrev_b16 v1, 8, v19
	v_mov_b32_e32 v0, 0
	s_mov_b32 s21, exec_lo
	s_delay_alu instid0(VALU_DEP_2)
	v_cmpx_ne_u16_e32 0, v1
	s_cbranch_execz .LBB440_564
; %bb.557:                              ;   in Loop: Header=BB440_13 Depth=1
	v_bfrev_b32_e32 v0, 1
	s_mov_b32 s22, exec_lo
	v_cmpx_ne_u16_e32 0x80, v1
	s_cbranch_execz .LBB440_563
; %bb.558:                              ;   in Loop: Header=BB440_13 Depth=1
	v_and_b32_e32 v2, 0xffff, v1
	v_mov_b32_e32 v0, 0x7f800001
	s_mov_b32 s23, exec_lo
	s_delay_alu instid0(VALU_DEP_2) | instskip(NEXT) | instid1(VALU_DEP_1)
	v_and_b32_e32 v1, 0x7f, v2
	v_cmpx_ne_u32_e32 0x7f, v1
	s_cbranch_execz .LBB440_562
; %bb.559:                              ;   in Loop: Header=BB440_13 Depth=1
	v_dual_mov_b32 v36, v20 :: v_dual_and_b32 v35, 7, v2
	v_lshrrev_b32_e32 v0, 3, v1
	s_mov_b32 s24, exec_lo
	v_cmpx_gt_u32_e32 8, v1
; %bb.560:                              ;   in Loop: Header=BB440_13 Depth=1
	s_delay_alu instid0(VALU_DEP_3) | instskip(NEXT) | instid1(VALU_DEP_1)
	v_clz_i32_u32_e32 v0, v35
	v_min_u32_e32 v0, 32, v0
	s_delay_alu instid0(VALU_DEP_1) | instskip(SKIP_1) | instid1(VALU_DEP_2)
	v_subrev_nc_u32_e32 v1, 28, v0
	v_sub_nc_u32_e32 v0, 29, v0
	v_lshlrev_b64 v[1:2], v1, v[35:36]
	s_delay_alu instid0(VALU_DEP_1)
	v_and_b32_e32 v35, 7, v1
; %bb.561:                              ;   in Loop: Header=BB440_13 Depth=1
	s_or_b32 exec_lo, exec_lo, s24
	v_lshlrev_b32_e32 v1, 16, v19
	s_delay_alu instid0(VALU_DEP_2) | instskip(SKIP_1) | instid1(VALU_DEP_3)
	v_lshlrev_b32_e32 v2, 20, v35
	v_lshl_add_u32 v0, v0, 23, 0x3c000000
	v_and_b32_e32 v1, 0x80000000, v1
	s_delay_alu instid0(VALU_DEP_1)
	v_or3_b32 v0, v2, v1, v0
.LBB440_562:                            ;   in Loop: Header=BB440_13 Depth=1
	s_or_b32 exec_lo, exec_lo, s23
.LBB440_563:                            ;   in Loop: Header=BB440_13 Depth=1
	s_delay_alu instid0(SALU_CYCLE_1)
	s_or_b32 exec_lo, exec_lo, s22
.LBB440_564:                            ;   in Loop: Header=BB440_13 Depth=1
	s_delay_alu instid0(SALU_CYCLE_1) | instskip(NEXT) | instid1(VALU_DEP_1)
	s_or_b32 exec_lo, exec_lo, s21
	v_mul_f32_e32 v0, v123, v0
                                        ; implicit-def: $vgpr7
	s_delay_alu instid0(VALU_DEP_1) | instskip(NEXT) | instid1(VALU_DEP_1)
	v_and_b32_e32 v1, 0x7f800000, v0
	v_cmp_ne_u32_e64 s1, 0x7f800000, v1
	s_delay_alu instid0(VALU_DEP_1) | instskip(NEXT) | instid1(SALU_CYCLE_1)
	s_and_saveexec_b32 s21, s1
	s_xor_b32 s1, exec_lo, s21
; %bb.565:                              ;   in Loop: Header=BB440_13 Depth=1
	v_bfe_u32 v1, v0, 16, 1
	s_delay_alu instid0(VALU_DEP_1)
	v_add3_u32 v7, v0, v1, 0x7fff
                                        ; implicit-def: $vgpr0
; %bb.566:                              ;   in Loop: Header=BB440_13 Depth=1
	s_and_not1_saveexec_b32 s21, s1
; %bb.567:                              ;   in Loop: Header=BB440_13 Depth=1
	v_and_b32_e32 v1, 0xffff, v0
	v_or_b32_e32 v2, 0x10000, v0
	s_delay_alu instid0(VALU_DEP_2) | instskip(NEXT) | instid1(VALU_DEP_1)
	v_cmp_eq_u32_e64 s1, 0, v1
	v_cndmask_b32_e64 v7, v2, v0, s1
; %bb.568:                              ;   in Loop: Header=BB440_13 Depth=1
	s_or_b32 exec_lo, exec_lo, s21
	v_lshrrev_b32_e32 v0, 16, v34
	s_mov_b32 s21, exec_lo
	s_delay_alu instid0(VALU_DEP_1) | instskip(NEXT) | instid1(VALU_DEP_1)
	v_dual_mov_b32 v1, 0 :: v_dual_and_b32 v2, 0xff, v0
	v_cmpx_ne_u16_e32 0, v2
	s_cbranch_execz .LBB440_576
; %bb.569:                              ;   in Loop: Header=BB440_13 Depth=1
	v_bfrev_b32_e32 v1, 1
	s_mov_b32 s22, exec_lo
	v_cmpx_ne_u16_e32 0x80, v2
	s_cbranch_execz .LBB440_575
; %bb.570:                              ;   in Loop: Header=BB440_13 Depth=1
	v_bfe_u32 v2, v34, 16, 7
	v_mov_b32_e32 v1, 0x7f800001
	s_mov_b32 s23, exec_lo
	s_delay_alu instid0(VALU_DEP_2)
	v_cmpx_ne_u32_e32 0x7f, v2
	s_cbranch_execz .LBB440_574
; %bb.571:                              ;   in Loop: Header=BB440_13 Depth=1
	v_and_b32_e32 v19, 7, v0
	v_lshrrev_b32_e32 v1, 3, v2
	s_mov_b32 s24, exec_lo
	v_cmpx_gt_u32_e32 8, v2
; %bb.572:                              ;   in Loop: Header=BB440_13 Depth=1
	s_delay_alu instid0(VALU_DEP_3) | instskip(NEXT) | instid1(VALU_DEP_1)
	v_clz_i32_u32_e32 v1, v19
	v_min_u32_e32 v1, 32, v1
	s_delay_alu instid0(VALU_DEP_1) | instskip(SKIP_1) | instid1(VALU_DEP_2)
	v_subrev_nc_u32_e32 v2, 28, v1
	v_sub_nc_u32_e32 v1, 29, v1
	v_lshlrev_b64 v[2:3], v2, v[19:20]
	s_delay_alu instid0(VALU_DEP_1)
	v_and_b32_e32 v19, 7, v2
; %bb.573:                              ;   in Loop: Header=BB440_13 Depth=1
	s_or_b32 exec_lo, exec_lo, s24
	v_lshlrev_b32_e32 v0, 24, v0
	s_delay_alu instid0(VALU_DEP_2) | instskip(SKIP_1) | instid1(VALU_DEP_3)
	v_lshlrev_b32_e32 v2, 20, v19
	v_lshl_add_u32 v1, v1, 23, 0x3c000000
	v_and_b32_e32 v0, 0x80000000, v0
	s_delay_alu instid0(VALU_DEP_1)
	v_or3_b32 v1, v2, v0, v1
.LBB440_574:                            ;   in Loop: Header=BB440_13 Depth=1
	s_or_b32 exec_lo, exec_lo, s23
.LBB440_575:                            ;   in Loop: Header=BB440_13 Depth=1
	s_delay_alu instid0(SALU_CYCLE_1)
	s_or_b32 exec_lo, exec_lo, s22
.LBB440_576:                            ;   in Loop: Header=BB440_13 Depth=1
	s_delay_alu instid0(SALU_CYCLE_1) | instskip(NEXT) | instid1(VALU_DEP_1)
	s_or_b32 exec_lo, exec_lo, s21
	v_mul_f32_e32 v0, v123, v1
                                        ; implicit-def: $vgpr12
	s_delay_alu instid0(VALU_DEP_1) | instskip(NEXT) | instid1(VALU_DEP_1)
	v_and_b32_e32 v1, 0x7f800000, v0
	v_cmp_ne_u32_e64 s1, 0x7f800000, v1
	s_delay_alu instid0(VALU_DEP_1) | instskip(NEXT) | instid1(SALU_CYCLE_1)
	s_and_saveexec_b32 s21, s1
	s_xor_b32 s1, exec_lo, s21
; %bb.577:                              ;   in Loop: Header=BB440_13 Depth=1
	v_bfe_u32 v1, v0, 16, 1
	s_delay_alu instid0(VALU_DEP_1)
	v_add3_u32 v12, v0, v1, 0x7fff
                                        ; implicit-def: $vgpr0
; %bb.578:                              ;   in Loop: Header=BB440_13 Depth=1
	s_and_not1_saveexec_b32 s21, s1
; %bb.579:                              ;   in Loop: Header=BB440_13 Depth=1
	v_and_b32_e32 v1, 0xffff, v0
	v_or_b32_e32 v2, 0x10000, v0
	s_delay_alu instid0(VALU_DEP_2) | instskip(NEXT) | instid1(VALU_DEP_1)
	v_cmp_eq_u32_e64 s1, 0, v1
	v_cndmask_b32_e64 v12, v2, v0, s1
; %bb.580:                              ;   in Loop: Header=BB440_13 Depth=1
	s_or_b32 exec_lo, exec_lo, s21
	v_mov_b32_e32 v1, 0
	s_mov_b32 s21, exec_lo
	v_cmpx_lt_u64_e64 s[16:17], v[33:34]
	s_cbranch_execz .LBB440_588
; %bb.581:                              ;   in Loop: Header=BB440_13 Depth=1
	v_lshrrev_b32_e32 v0, 24, v34
	v_bfrev_b32_e32 v1, 1
	s_mov_b32 s22, exec_lo
	s_delay_alu instid0(VALU_DEP_2)
	v_cmpx_ne_u32_e32 0x80, v0
	s_cbranch_execz .LBB440_587
; %bb.582:                              ;   in Loop: Header=BB440_13 Depth=1
	v_bfe_u32 v2, v34, 24, 7
	v_mov_b32_e32 v1, 0x7f800001
	s_mov_b32 s23, exec_lo
	s_delay_alu instid0(VALU_DEP_2)
	v_cmpx_ne_u32_e32 0x7f, v2
	s_cbranch_execz .LBB440_586
; %bb.583:                              ;   in Loop: Header=BB440_13 Depth=1
	v_and_b32_e32 v19, 7, v0
	v_lshrrev_b32_e32 v1, 3, v2
	s_mov_b32 s24, exec_lo
	v_cmpx_gt_u32_e32 8, v2
; %bb.584:                              ;   in Loop: Header=BB440_13 Depth=1
	s_delay_alu instid0(VALU_DEP_3) | instskip(NEXT) | instid1(VALU_DEP_1)
	v_clz_i32_u32_e32 v1, v19
	v_min_u32_e32 v1, 32, v1
	s_delay_alu instid0(VALU_DEP_1) | instskip(SKIP_1) | instid1(VALU_DEP_2)
	v_subrev_nc_u32_e32 v2, 28, v1
	v_sub_nc_u32_e32 v1, 29, v1
	v_lshlrev_b64 v[2:3], v2, v[19:20]
	s_delay_alu instid0(VALU_DEP_1)
	v_and_b32_e32 v19, 7, v2
; %bb.585:                              ;   in Loop: Header=BB440_13 Depth=1
	s_or_b32 exec_lo, exec_lo, s24
	v_lshlrev_b32_e32 v0, 24, v0
	s_delay_alu instid0(VALU_DEP_2) | instskip(SKIP_1) | instid1(VALU_DEP_3)
	v_lshlrev_b32_e32 v2, 20, v19
	v_lshl_add_u32 v1, v1, 23, 0x3c000000
	v_and_b32_e32 v0, 0x80000000, v0
	s_delay_alu instid0(VALU_DEP_1)
	v_or3_b32 v1, v2, v0, v1
.LBB440_586:                            ;   in Loop: Header=BB440_13 Depth=1
	s_or_b32 exec_lo, exec_lo, s23
.LBB440_587:                            ;   in Loop: Header=BB440_13 Depth=1
	s_delay_alu instid0(SALU_CYCLE_1)
	s_or_b32 exec_lo, exec_lo, s22
.LBB440_588:                            ;   in Loop: Header=BB440_13 Depth=1
	s_delay_alu instid0(SALU_CYCLE_1) | instskip(NEXT) | instid1(VALU_DEP_1)
	s_or_b32 exec_lo, exec_lo, s21
	v_mul_f32_e32 v0, v123, v1
                                        ; implicit-def: $vgpr39
	s_delay_alu instid0(VALU_DEP_1) | instskip(NEXT) | instid1(VALU_DEP_1)
	v_and_b32_e32 v1, 0x7f800000, v0
	v_cmp_ne_u32_e64 s1, 0x7f800000, v1
	s_delay_alu instid0(VALU_DEP_1) | instskip(NEXT) | instid1(SALU_CYCLE_1)
	s_and_saveexec_b32 s21, s1
	s_xor_b32 s1, exec_lo, s21
; %bb.589:                              ;   in Loop: Header=BB440_13 Depth=1
	v_bfe_u32 v1, v0, 16, 1
	s_delay_alu instid0(VALU_DEP_1)
	v_add3_u32 v39, v0, v1, 0x7fff
                                        ; implicit-def: $vgpr0
; %bb.590:                              ;   in Loop: Header=BB440_13 Depth=1
	s_and_not1_saveexec_b32 s21, s1
; %bb.591:                              ;   in Loop: Header=BB440_13 Depth=1
	v_and_b32_e32 v1, 0xffff, v0
	v_or_b32_e32 v2, 0x10000, v0
	s_delay_alu instid0(VALU_DEP_2) | instskip(NEXT) | instid1(VALU_DEP_1)
	v_cmp_eq_u32_e64 s1, 0, v1
	v_cndmask_b32_e64 v39, v2, v0, s1
; %bb.592:                              ;   in Loop: Header=BB440_13 Depth=1
	s_or_b32 exec_lo, exec_lo, s21
	flat_load_b64 v[33:34], v[31:32] offset:1536
	s_mov_b32 s21, exec_lo
	s_waitcnt vmcnt(0) lgkmcnt(0)
	v_dual_mov_b32 v0, 0 :: v_dual_and_b32 v1, 0xff, v33
	s_delay_alu instid0(VALU_DEP_1)
	v_cmpx_ne_u16_e32 0, v1
	s_cbranch_execz .LBB440_600
; %bb.593:                              ;   in Loop: Header=BB440_13 Depth=1
	v_bfrev_b32_e32 v0, 1
	s_mov_b32 s22, exec_lo
	v_cmpx_ne_u16_e32 0x80, v1
	s_cbranch_execz .LBB440_599
; %bb.594:                              ;   in Loop: Header=BB440_13 Depth=1
	v_and_b32_e32 v1, 0x7f, v33
	v_mov_b32_e32 v0, 0x7f800001
	s_mov_b32 s23, exec_lo
	s_delay_alu instid0(VALU_DEP_2)
	v_cmpx_ne_u32_e32 0x7f, v1
	s_cbranch_execz .LBB440_598
; %bb.595:                              ;   in Loop: Header=BB440_13 Depth=1
	v_lshrrev_b32_e32 v0, 3, v1
	v_dual_mov_b32 v36, v34 :: v_dual_mov_b32 v35, v33
	s_mov_b32 s24, exec_lo
	v_cmpx_gt_u32_e32 8, v1
; %bb.596:                              ;   in Loop: Header=BB440_13 Depth=1
	v_and_b32_e32 v0, 7, v33
	s_delay_alu instid0(VALU_DEP_1) | instskip(NEXT) | instid1(VALU_DEP_1)
	v_clz_i32_u32_e32 v0, v0
	v_min_u32_e32 v0, 32, v0
	s_delay_alu instid0(VALU_DEP_1) | instskip(SKIP_1) | instid1(VALU_DEP_2)
	v_subrev_nc_u32_e32 v1, 28, v0
	v_sub_nc_u32_e32 v0, 29, v0
	v_lshlrev_b64 v[35:36], v1, v[33:34]
; %bb.597:                              ;   in Loop: Header=BB440_13 Depth=1
	s_or_b32 exec_lo, exec_lo, s24
	s_delay_alu instid0(VALU_DEP_1) | instskip(SKIP_2) | instid1(VALU_DEP_3)
	v_lshlrev_b32_e32 v1, 20, v35
	v_lshlrev_b32_e32 v2, 24, v33
	v_lshl_add_u32 v0, v0, 23, 0x3c000000
	v_and_b32_e32 v1, 0x700000, v1
	s_delay_alu instid0(VALU_DEP_3) | instskip(NEXT) | instid1(VALU_DEP_1)
	v_and_b32_e32 v2, 0x80000000, v2
	v_or3_b32 v0, v1, v2, v0
.LBB440_598:                            ;   in Loop: Header=BB440_13 Depth=1
	s_or_b32 exec_lo, exec_lo, s23
.LBB440_599:                            ;   in Loop: Header=BB440_13 Depth=1
	s_delay_alu instid0(SALU_CYCLE_1)
	s_or_b32 exec_lo, exec_lo, s22
.LBB440_600:                            ;   in Loop: Header=BB440_13 Depth=1
	s_delay_alu instid0(SALU_CYCLE_1) | instskip(NEXT) | instid1(VALU_DEP_1)
	s_or_b32 exec_lo, exec_lo, s21
	v_mul_f32_e32 v0, v123, v0
                                        ; implicit-def: $vgpr37
	s_delay_alu instid0(VALU_DEP_1) | instskip(NEXT) | instid1(VALU_DEP_1)
	v_and_b32_e32 v1, 0x7f800000, v0
	v_cmp_ne_u32_e64 s1, 0x7f800000, v1
	s_delay_alu instid0(VALU_DEP_1) | instskip(NEXT) | instid1(SALU_CYCLE_1)
	s_and_saveexec_b32 s21, s1
	s_xor_b32 s1, exec_lo, s21
; %bb.601:                              ;   in Loop: Header=BB440_13 Depth=1
	v_bfe_u32 v1, v0, 16, 1
	s_delay_alu instid0(VALU_DEP_1)
	v_add3_u32 v37, v0, v1, 0x7fff
                                        ; implicit-def: $vgpr0
; %bb.602:                              ;   in Loop: Header=BB440_13 Depth=1
	s_and_not1_saveexec_b32 s21, s1
; %bb.603:                              ;   in Loop: Header=BB440_13 Depth=1
	v_and_b32_e32 v1, 0xffff, v0
	v_or_b32_e32 v2, 0x10000, v0
	s_delay_alu instid0(VALU_DEP_2) | instskip(NEXT) | instid1(VALU_DEP_1)
	v_cmp_eq_u32_e64 s1, 0, v1
	v_cndmask_b32_e64 v37, v2, v0, s1
; %bb.604:                              ;   in Loop: Header=BB440_13 Depth=1
	s_or_b32 exec_lo, exec_lo, s21
	v_lshrrev_b16 v1, 8, v33
	v_mov_b32_e32 v0, 0
	s_mov_b32 s21, exec_lo
	s_delay_alu instid0(VALU_DEP_2)
	v_cmpx_ne_u16_e32 0, v1
	s_cbranch_execz .LBB440_612
; %bb.605:                              ;   in Loop: Header=BB440_13 Depth=1
	v_bfrev_b32_e32 v0, 1
	s_mov_b32 s22, exec_lo
	v_cmpx_ne_u16_e32 0x80, v1
	s_cbranch_execz .LBB440_611
; %bb.606:                              ;   in Loop: Header=BB440_13 Depth=1
	v_and_b32_e32 v2, 0xffff, v1
	v_mov_b32_e32 v0, 0x7f800001
	s_mov_b32 s23, exec_lo
	s_delay_alu instid0(VALU_DEP_2) | instskip(NEXT) | instid1(VALU_DEP_1)
	v_and_b32_e32 v1, 0x7f, v2
	v_cmpx_ne_u32_e32 0x7f, v1
	s_cbranch_execz .LBB440_610
; %bb.607:                              ;   in Loop: Header=BB440_13 Depth=1
	v_and_b32_e32 v19, 7, v2
	v_lshrrev_b32_e32 v0, 3, v1
	s_mov_b32 s24, exec_lo
	v_cmpx_gt_u32_e32 8, v1
; %bb.608:                              ;   in Loop: Header=BB440_13 Depth=1
	s_delay_alu instid0(VALU_DEP_3) | instskip(NEXT) | instid1(VALU_DEP_1)
	v_clz_i32_u32_e32 v0, v19
	v_min_u32_e32 v0, 32, v0
	s_delay_alu instid0(VALU_DEP_1) | instskip(SKIP_1) | instid1(VALU_DEP_2)
	v_subrev_nc_u32_e32 v1, 28, v0
	v_sub_nc_u32_e32 v0, 29, v0
	v_lshlrev_b64 v[1:2], v1, v[19:20]
	s_delay_alu instid0(VALU_DEP_1)
	v_and_b32_e32 v19, 7, v1
; %bb.609:                              ;   in Loop: Header=BB440_13 Depth=1
	s_or_b32 exec_lo, exec_lo, s24
	v_lshlrev_b32_e32 v1, 16, v33
	s_delay_alu instid0(VALU_DEP_2) | instskip(SKIP_1) | instid1(VALU_DEP_3)
	v_lshlrev_b32_e32 v2, 20, v19
	v_lshl_add_u32 v0, v0, 23, 0x3c000000
	v_and_b32_e32 v1, 0x80000000, v1
	s_delay_alu instid0(VALU_DEP_1)
	v_or3_b32 v0, v2, v1, v0
.LBB440_610:                            ;   in Loop: Header=BB440_13 Depth=1
	s_or_b32 exec_lo, exec_lo, s23
.LBB440_611:                            ;   in Loop: Header=BB440_13 Depth=1
	s_delay_alu instid0(SALU_CYCLE_1)
	s_or_b32 exec_lo, exec_lo, s22
.LBB440_612:                            ;   in Loop: Header=BB440_13 Depth=1
	s_delay_alu instid0(SALU_CYCLE_1) | instskip(NEXT) | instid1(VALU_DEP_1)
	s_or_b32 exec_lo, exec_lo, s21
	v_mul_f32_e32 v0, v123, v0
                                        ; implicit-def: $vgpr55
	s_delay_alu instid0(VALU_DEP_1) | instskip(NEXT) | instid1(VALU_DEP_1)
	v_and_b32_e32 v1, 0x7f800000, v0
	v_cmp_ne_u32_e64 s1, 0x7f800000, v1
	s_delay_alu instid0(VALU_DEP_1) | instskip(NEXT) | instid1(SALU_CYCLE_1)
	s_and_saveexec_b32 s21, s1
	s_xor_b32 s1, exec_lo, s21
; %bb.613:                              ;   in Loop: Header=BB440_13 Depth=1
	v_bfe_u32 v1, v0, 16, 1
	s_delay_alu instid0(VALU_DEP_1)
	v_add3_u32 v55, v0, v1, 0x7fff
                                        ; implicit-def: $vgpr0
; %bb.614:                              ;   in Loop: Header=BB440_13 Depth=1
	s_and_not1_saveexec_b32 s21, s1
; %bb.615:                              ;   in Loop: Header=BB440_13 Depth=1
	v_and_b32_e32 v1, 0xffff, v0
	v_or_b32_e32 v2, 0x10000, v0
	s_delay_alu instid0(VALU_DEP_2) | instskip(NEXT) | instid1(VALU_DEP_1)
	v_cmp_eq_u32_e64 s1, 0, v1
	v_cndmask_b32_e64 v55, v2, v0, s1
; %bb.616:                              ;   in Loop: Header=BB440_13 Depth=1
	s_or_b32 exec_lo, exec_lo, s21
	v_lshrrev_b32_e32 v0, 16, v33
	s_mov_b32 s21, exec_lo
	s_delay_alu instid0(VALU_DEP_1) | instskip(NEXT) | instid1(VALU_DEP_1)
	v_dual_mov_b32 v1, 0 :: v_dual_and_b32 v2, 0xff, v0
	v_cmpx_ne_u16_e32 0, v2
	s_cbranch_execz .LBB440_624
; %bb.617:                              ;   in Loop: Header=BB440_13 Depth=1
	v_bfrev_b32_e32 v1, 1
	s_mov_b32 s22, exec_lo
	v_cmpx_ne_u16_e32 0x80, v2
	s_cbranch_execz .LBB440_623
; %bb.618:                              ;   in Loop: Header=BB440_13 Depth=1
	v_bfe_u32 v2, v33, 16, 7
	v_mov_b32_e32 v1, 0x7f800001
	s_mov_b32 s23, exec_lo
	s_delay_alu instid0(VALU_DEP_2)
	v_cmpx_ne_u32_e32 0x7f, v2
	s_cbranch_execz .LBB440_622
; %bb.619:                              ;   in Loop: Header=BB440_13 Depth=1
	v_and_b32_e32 v19, 7, v0
	v_lshrrev_b32_e32 v1, 3, v2
	s_mov_b32 s24, exec_lo
	v_cmpx_gt_u32_e32 8, v2
; %bb.620:                              ;   in Loop: Header=BB440_13 Depth=1
	s_delay_alu instid0(VALU_DEP_3) | instskip(NEXT) | instid1(VALU_DEP_1)
	v_clz_i32_u32_e32 v1, v19
	v_min_u32_e32 v1, 32, v1
	s_delay_alu instid0(VALU_DEP_1) | instskip(SKIP_1) | instid1(VALU_DEP_2)
	v_subrev_nc_u32_e32 v2, 28, v1
	v_sub_nc_u32_e32 v1, 29, v1
	v_lshlrev_b64 v[2:3], v2, v[19:20]
	s_delay_alu instid0(VALU_DEP_1)
	v_and_b32_e32 v19, 7, v2
; %bb.621:                              ;   in Loop: Header=BB440_13 Depth=1
	s_or_b32 exec_lo, exec_lo, s24
	v_lshlrev_b32_e32 v0, 24, v0
	s_delay_alu instid0(VALU_DEP_2) | instskip(SKIP_1) | instid1(VALU_DEP_3)
	v_lshlrev_b32_e32 v2, 20, v19
	v_lshl_add_u32 v1, v1, 23, 0x3c000000
	v_and_b32_e32 v0, 0x80000000, v0
	s_delay_alu instid0(VALU_DEP_1)
	v_or3_b32 v1, v2, v0, v1
.LBB440_622:                            ;   in Loop: Header=BB440_13 Depth=1
	s_or_b32 exec_lo, exec_lo, s23
.LBB440_623:                            ;   in Loop: Header=BB440_13 Depth=1
	s_delay_alu instid0(SALU_CYCLE_1)
	s_or_b32 exec_lo, exec_lo, s22
.LBB440_624:                            ;   in Loop: Header=BB440_13 Depth=1
	s_delay_alu instid0(SALU_CYCLE_1) | instskip(NEXT) | instid1(VALU_DEP_1)
	s_or_b32 exec_lo, exec_lo, s21
	v_mul_f32_e32 v0, v123, v1
                                        ; implicit-def: $vgpr11
	s_delay_alu instid0(VALU_DEP_1) | instskip(NEXT) | instid1(VALU_DEP_1)
	v_and_b32_e32 v1, 0x7f800000, v0
	v_cmp_ne_u32_e64 s1, 0x7f800000, v1
	s_delay_alu instid0(VALU_DEP_1) | instskip(NEXT) | instid1(SALU_CYCLE_1)
	s_and_saveexec_b32 s21, s1
	s_xor_b32 s1, exec_lo, s21
; %bb.625:                              ;   in Loop: Header=BB440_13 Depth=1
	v_bfe_u32 v1, v0, 16, 1
	s_delay_alu instid0(VALU_DEP_1)
	v_add3_u32 v11, v0, v1, 0x7fff
                                        ; implicit-def: $vgpr0
; %bb.626:                              ;   in Loop: Header=BB440_13 Depth=1
	s_and_not1_saveexec_b32 s21, s1
; %bb.627:                              ;   in Loop: Header=BB440_13 Depth=1
	v_and_b32_e32 v1, 0xffff, v0
	v_or_b32_e32 v2, 0x10000, v0
	s_delay_alu instid0(VALU_DEP_2) | instskip(NEXT) | instid1(VALU_DEP_1)
	v_cmp_eq_u32_e64 s1, 0, v1
	v_cndmask_b32_e64 v11, v2, v0, s1
; %bb.628:                              ;   in Loop: Header=BB440_13 Depth=1
	s_or_b32 exec_lo, exec_lo, s21
	v_mov_b32_e32 v1, 0
	s_mov_b32 s21, exec_lo
	v_cmpx_lt_u32_e32 0xffffff, v33
	s_cbranch_execz .LBB440_636
; %bb.629:                              ;   in Loop: Header=BB440_13 Depth=1
	v_lshrrev_b32_e32 v0, 24, v33
	v_bfrev_b32_e32 v1, 1
	s_mov_b32 s22, exec_lo
	s_delay_alu instid0(VALU_DEP_2)
	v_cmpx_ne_u32_e32 0x80, v0
	s_cbranch_execz .LBB440_635
; %bb.630:                              ;   in Loop: Header=BB440_13 Depth=1
	v_bfe_u32 v2, v33, 24, 7
	v_mov_b32_e32 v1, 0x7f800001
	s_mov_b32 s23, exec_lo
	s_delay_alu instid0(VALU_DEP_2)
	v_cmpx_ne_u32_e32 0x7f, v2
	s_cbranch_execz .LBB440_634
; %bb.631:                              ;   in Loop: Header=BB440_13 Depth=1
	v_and_b32_e32 v19, 7, v0
	v_lshrrev_b32_e32 v1, 3, v2
	s_mov_b32 s24, exec_lo
	v_cmpx_gt_u32_e32 8, v2
; %bb.632:                              ;   in Loop: Header=BB440_13 Depth=1
	s_delay_alu instid0(VALU_DEP_3) | instskip(NEXT) | instid1(VALU_DEP_1)
	v_clz_i32_u32_e32 v1, v19
	v_min_u32_e32 v1, 32, v1
	s_delay_alu instid0(VALU_DEP_1) | instskip(SKIP_1) | instid1(VALU_DEP_2)
	v_subrev_nc_u32_e32 v2, 28, v1
	v_sub_nc_u32_e32 v1, 29, v1
	v_lshlrev_b64 v[2:3], v2, v[19:20]
	s_delay_alu instid0(VALU_DEP_1)
	v_and_b32_e32 v19, 7, v2
; %bb.633:                              ;   in Loop: Header=BB440_13 Depth=1
	s_or_b32 exec_lo, exec_lo, s24
	v_lshlrev_b32_e32 v0, 24, v0
	s_delay_alu instid0(VALU_DEP_2) | instskip(SKIP_1) | instid1(VALU_DEP_3)
	v_lshlrev_b32_e32 v2, 20, v19
	v_lshl_add_u32 v1, v1, 23, 0x3c000000
	v_and_b32_e32 v0, 0x80000000, v0
	s_delay_alu instid0(VALU_DEP_1)
	v_or3_b32 v1, v2, v0, v1
.LBB440_634:                            ;   in Loop: Header=BB440_13 Depth=1
	s_or_b32 exec_lo, exec_lo, s23
.LBB440_635:                            ;   in Loop: Header=BB440_13 Depth=1
	s_delay_alu instid0(SALU_CYCLE_1)
	s_or_b32 exec_lo, exec_lo, s22
.LBB440_636:                            ;   in Loop: Header=BB440_13 Depth=1
	s_delay_alu instid0(SALU_CYCLE_1) | instskip(NEXT) | instid1(VALU_DEP_1)
	s_or_b32 exec_lo, exec_lo, s21
	v_mul_f32_e32 v0, v123, v1
                                        ; implicit-def: $vgpr10
	s_delay_alu instid0(VALU_DEP_1) | instskip(NEXT) | instid1(VALU_DEP_1)
	v_and_b32_e32 v1, 0x7f800000, v0
	v_cmp_ne_u32_e64 s1, 0x7f800000, v1
	s_delay_alu instid0(VALU_DEP_1) | instskip(NEXT) | instid1(SALU_CYCLE_1)
	s_and_saveexec_b32 s21, s1
	s_xor_b32 s1, exec_lo, s21
; %bb.637:                              ;   in Loop: Header=BB440_13 Depth=1
	v_bfe_u32 v1, v0, 16, 1
	s_delay_alu instid0(VALU_DEP_1)
	v_add3_u32 v10, v0, v1, 0x7fff
                                        ; implicit-def: $vgpr0
; %bb.638:                              ;   in Loop: Header=BB440_13 Depth=1
	s_and_not1_saveexec_b32 s21, s1
; %bb.639:                              ;   in Loop: Header=BB440_13 Depth=1
	v_and_b32_e32 v1, 0xffff, v0
	v_or_b32_e32 v2, 0x10000, v0
	s_delay_alu instid0(VALU_DEP_2) | instskip(NEXT) | instid1(VALU_DEP_1)
	v_cmp_eq_u32_e64 s1, 0, v1
	v_cndmask_b32_e64 v10, v2, v0, s1
; %bb.640:                              ;   in Loop: Header=BB440_13 Depth=1
	s_or_b32 exec_lo, exec_lo, s21
	v_dual_mov_b32 v0, 0 :: v_dual_and_b32 v1, 0xff, v34
	v_mov_b32_e32 v19, v34
	s_mov_b32 s21, exec_lo
	s_delay_alu instid0(VALU_DEP_2)
	v_cmpx_ne_u16_e32 0, v1
	s_cbranch_execz .LBB440_648
; %bb.641:                              ;   in Loop: Header=BB440_13 Depth=1
	v_bfrev_b32_e32 v0, 1
	s_mov_b32 s22, exec_lo
	v_cmpx_ne_u16_e32 0x80, v1
	s_cbranch_execz .LBB440_647
; %bb.642:                              ;   in Loop: Header=BB440_13 Depth=1
	v_and_b32_e32 v1, 0x7f, v34
	v_mov_b32_e32 v0, 0x7f800001
	s_mov_b32 s23, exec_lo
	s_delay_alu instid0(VALU_DEP_2)
	v_cmpx_ne_u32_e32 0x7f, v1
	s_cbranch_execz .LBB440_646
; %bb.643:                              ;   in Loop: Header=BB440_13 Depth=1
	v_lshrrev_b32_e32 v0, 3, v1
	v_dual_mov_b32 v36, v20 :: v_dual_mov_b32 v35, v19
	s_mov_b32 s24, exec_lo
	v_cmpx_gt_u32_e32 8, v1
; %bb.644:                              ;   in Loop: Header=BB440_13 Depth=1
	v_and_b32_e32 v0, 7, v34
	s_delay_alu instid0(VALU_DEP_1) | instskip(NEXT) | instid1(VALU_DEP_1)
	v_clz_i32_u32_e32 v0, v0
	v_min_u32_e32 v0, 32, v0
	s_delay_alu instid0(VALU_DEP_1) | instskip(SKIP_1) | instid1(VALU_DEP_2)
	v_subrev_nc_u32_e32 v1, 28, v0
	v_sub_nc_u32_e32 v0, 29, v0
	v_lshlrev_b64 v[35:36], v1, v[19:20]
; %bb.645:                              ;   in Loop: Header=BB440_13 Depth=1
	s_or_b32 exec_lo, exec_lo, s24
	s_delay_alu instid0(VALU_DEP_1) | instskip(SKIP_2) | instid1(VALU_DEP_3)
	v_lshlrev_b32_e32 v1, 20, v35
	v_lshlrev_b32_e32 v2, 24, v19
	v_lshl_add_u32 v0, v0, 23, 0x3c000000
	v_and_b32_e32 v1, 0x700000, v1
	s_delay_alu instid0(VALU_DEP_3) | instskip(NEXT) | instid1(VALU_DEP_1)
	v_and_b32_e32 v2, 0x80000000, v2
	v_or3_b32 v0, v1, v2, v0
.LBB440_646:                            ;   in Loop: Header=BB440_13 Depth=1
	s_or_b32 exec_lo, exec_lo, s23
.LBB440_647:                            ;   in Loop: Header=BB440_13 Depth=1
	s_delay_alu instid0(SALU_CYCLE_1)
	s_or_b32 exec_lo, exec_lo, s22
.LBB440_648:                            ;   in Loop: Header=BB440_13 Depth=1
	s_delay_alu instid0(SALU_CYCLE_1) | instskip(NEXT) | instid1(VALU_DEP_1)
	s_or_b32 exec_lo, exec_lo, s21
	v_mul_f32_e32 v0, v123, v0
	s_delay_alu instid0(VALU_DEP_1) | instskip(NEXT) | instid1(VALU_DEP_1)
	v_and_b32_e32 v1, 0x7f800000, v0
	v_cmp_ne_u32_e64 s1, 0x7f800000, v1
                                        ; implicit-def: $vgpr1
	s_delay_alu instid0(VALU_DEP_1) | instskip(NEXT) | instid1(SALU_CYCLE_1)
	s_and_saveexec_b32 s21, s1
	s_xor_b32 s1, exec_lo, s21
; %bb.649:                              ;   in Loop: Header=BB440_13 Depth=1
	v_bfe_u32 v1, v0, 16, 1
	s_delay_alu instid0(VALU_DEP_1)
	v_add3_u32 v1, v0, v1, 0x7fff
                                        ; implicit-def: $vgpr0
; %bb.650:                              ;   in Loop: Header=BB440_13 Depth=1
	s_and_not1_saveexec_b32 s21, s1
; %bb.651:                              ;   in Loop: Header=BB440_13 Depth=1
	v_and_b32_e32 v1, 0xffff, v0
	v_or_b32_e32 v2, 0x10000, v0
	s_delay_alu instid0(VALU_DEP_2) | instskip(NEXT) | instid1(VALU_DEP_1)
	v_cmp_eq_u32_e64 s1, 0, v1
	v_cndmask_b32_e64 v1, v2, v0, s1
; %bb.652:                              ;   in Loop: Header=BB440_13 Depth=1
	s_or_b32 exec_lo, exec_lo, s21
	v_lshrrev_b16 v2, 8, v19
	v_mov_b32_e32 v0, 0
	s_mov_b32 s21, exec_lo
	s_delay_alu instid0(VALU_DEP_2)
	v_cmpx_ne_u16_e32 0, v2
	s_cbranch_execz .LBB440_660
; %bb.653:                              ;   in Loop: Header=BB440_13 Depth=1
	v_bfrev_b32_e32 v0, 1
	s_mov_b32 s22, exec_lo
	v_cmpx_ne_u16_e32 0x80, v2
	s_cbranch_execz .LBB440_659
; %bb.654:                              ;   in Loop: Header=BB440_13 Depth=1
	v_and_b32_e32 v3, 0xffff, v2
	v_mov_b32_e32 v0, 0x7f800001
	s_mov_b32 s23, exec_lo
	s_delay_alu instid0(VALU_DEP_2) | instskip(NEXT) | instid1(VALU_DEP_1)
	v_and_b32_e32 v2, 0x7f, v3
	v_cmpx_ne_u32_e32 0x7f, v2
	s_cbranch_execz .LBB440_658
; %bb.655:                              ;   in Loop: Header=BB440_13 Depth=1
	v_dual_mov_b32 v36, v20 :: v_dual_and_b32 v35, 7, v3
	v_lshrrev_b32_e32 v0, 3, v2
	s_mov_b32 s24, exec_lo
	v_cmpx_gt_u32_e32 8, v2
; %bb.656:                              ;   in Loop: Header=BB440_13 Depth=1
	s_delay_alu instid0(VALU_DEP_3) | instskip(NEXT) | instid1(VALU_DEP_1)
	v_clz_i32_u32_e32 v0, v35
	v_min_u32_e32 v0, 32, v0
	s_delay_alu instid0(VALU_DEP_1) | instskip(SKIP_1) | instid1(VALU_DEP_2)
	v_subrev_nc_u32_e32 v2, 28, v0
	v_sub_nc_u32_e32 v0, 29, v0
	v_lshlrev_b64 v[2:3], v2, v[35:36]
	s_delay_alu instid0(VALU_DEP_1)
	v_and_b32_e32 v35, 7, v2
; %bb.657:                              ;   in Loop: Header=BB440_13 Depth=1
	s_or_b32 exec_lo, exec_lo, s24
	v_lshlrev_b32_e32 v2, 16, v19
	s_delay_alu instid0(VALU_DEP_2) | instskip(SKIP_1) | instid1(VALU_DEP_3)
	v_lshlrev_b32_e32 v3, 20, v35
	v_lshl_add_u32 v0, v0, 23, 0x3c000000
	v_and_b32_e32 v2, 0x80000000, v2
	s_delay_alu instid0(VALU_DEP_1)
	v_or3_b32 v0, v3, v2, v0
.LBB440_658:                            ;   in Loop: Header=BB440_13 Depth=1
	s_or_b32 exec_lo, exec_lo, s23
.LBB440_659:                            ;   in Loop: Header=BB440_13 Depth=1
	s_delay_alu instid0(SALU_CYCLE_1)
	s_or_b32 exec_lo, exec_lo, s22
.LBB440_660:                            ;   in Loop: Header=BB440_13 Depth=1
	s_delay_alu instid0(SALU_CYCLE_1) | instskip(NEXT) | instid1(VALU_DEP_1)
	s_or_b32 exec_lo, exec_lo, s21
	v_mul_f32_e32 v2, v123, v0
	s_delay_alu instid0(VALU_DEP_1) | instskip(NEXT) | instid1(VALU_DEP_1)
	v_and_b32_e32 v0, 0x7f800000, v2
	v_cmp_ne_u32_e64 s1, 0x7f800000, v0
                                        ; implicit-def: $vgpr0
	s_delay_alu instid0(VALU_DEP_1) | instskip(NEXT) | instid1(SALU_CYCLE_1)
	s_and_saveexec_b32 s21, s1
	s_xor_b32 s1, exec_lo, s21
; %bb.661:                              ;   in Loop: Header=BB440_13 Depth=1
	v_bfe_u32 v0, v2, 16, 1
	s_delay_alu instid0(VALU_DEP_1)
	v_add3_u32 v0, v2, v0, 0x7fff
                                        ; implicit-def: $vgpr2
; %bb.662:                              ;   in Loop: Header=BB440_13 Depth=1
	s_and_not1_saveexec_b32 s21, s1
; %bb.663:                              ;   in Loop: Header=BB440_13 Depth=1
	v_and_b32_e32 v0, 0xffff, v2
	v_or_b32_e32 v3, 0x10000, v2
	s_delay_alu instid0(VALU_DEP_2) | instskip(NEXT) | instid1(VALU_DEP_1)
	v_cmp_eq_u32_e64 s1, 0, v0
	v_cndmask_b32_e64 v0, v3, v2, s1
; %bb.664:                              ;   in Loop: Header=BB440_13 Depth=1
	s_or_b32 exec_lo, exec_lo, s21
	v_lshrrev_b32_e32 v2, 16, v34
	s_mov_b32 s21, exec_lo
	s_delay_alu instid0(VALU_DEP_1) | instskip(NEXT) | instid1(VALU_DEP_1)
	v_dual_mov_b32 v3, 0 :: v_dual_and_b32 v14, 0xff, v2
	v_cmpx_ne_u16_e32 0, v14
	s_cbranch_execz .LBB440_672
; %bb.665:                              ;   in Loop: Header=BB440_13 Depth=1
	v_bfrev_b32_e32 v3, 1
	s_mov_b32 s22, exec_lo
	v_cmpx_ne_u16_e32 0x80, v14
	s_cbranch_execz .LBB440_671
; %bb.666:                              ;   in Loop: Header=BB440_13 Depth=1
	v_bfe_u32 v14, v34, 16, 7
	v_mov_b32_e32 v3, 0x7f800001
	s_mov_b32 s23, exec_lo
	s_delay_alu instid0(VALU_DEP_2)
	v_cmpx_ne_u32_e32 0x7f, v14
	s_cbranch_execz .LBB440_670
; %bb.667:                              ;   in Loop: Header=BB440_13 Depth=1
	v_and_b32_e32 v19, 7, v2
	v_lshrrev_b32_e32 v3, 3, v14
	v_mov_b32_e32 v36, v20
	s_mov_b32 s24, exec_lo
	s_delay_alu instid0(VALU_DEP_3)
	v_mov_b32_e32 v35, v19
	v_cmpx_gt_u32_e32 8, v14
; %bb.668:                              ;   in Loop: Header=BB440_13 Depth=1
	v_clz_i32_u32_e32 v3, v19
	s_delay_alu instid0(VALU_DEP_1) | instskip(NEXT) | instid1(VALU_DEP_1)
	v_min_u32_e32 v3, 32, v3
	v_subrev_nc_u32_e32 v14, 28, v3
	v_sub_nc_u32_e32 v3, 29, v3
	s_delay_alu instid0(VALU_DEP_2) | instskip(NEXT) | instid1(VALU_DEP_1)
	v_lshlrev_b64 v[14:15], v14, v[19:20]
	v_and_b32_e32 v35, 7, v14
; %bb.669:                              ;   in Loop: Header=BB440_13 Depth=1
	s_or_b32 exec_lo, exec_lo, s24
	v_lshlrev_b32_e32 v2, 24, v2
	s_delay_alu instid0(VALU_DEP_2) | instskip(SKIP_1) | instid1(VALU_DEP_3)
	v_lshlrev_b32_e32 v14, 20, v35
	v_lshl_add_u32 v3, v3, 23, 0x3c000000
	v_and_b32_e32 v2, 0x80000000, v2
	s_delay_alu instid0(VALU_DEP_1)
	v_or3_b32 v3, v14, v2, v3
.LBB440_670:                            ;   in Loop: Header=BB440_13 Depth=1
	s_or_b32 exec_lo, exec_lo, s23
.LBB440_671:                            ;   in Loop: Header=BB440_13 Depth=1
	s_delay_alu instid0(SALU_CYCLE_1)
	s_or_b32 exec_lo, exec_lo, s22
.LBB440_672:                            ;   in Loop: Header=BB440_13 Depth=1
	s_delay_alu instid0(SALU_CYCLE_1) | instskip(NEXT) | instid1(VALU_DEP_1)
	s_or_b32 exec_lo, exec_lo, s21
	v_mul_f32_e32 v2, v123, v3
	s_delay_alu instid0(VALU_DEP_1) | instskip(NEXT) | instid1(VALU_DEP_1)
	v_and_b32_e32 v3, 0x7f800000, v2
	v_cmp_ne_u32_e64 s1, 0x7f800000, v3
                                        ; implicit-def: $vgpr3
	s_delay_alu instid0(VALU_DEP_1) | instskip(NEXT) | instid1(SALU_CYCLE_1)
	s_and_saveexec_b32 s21, s1
	s_xor_b32 s1, exec_lo, s21
; %bb.673:                              ;   in Loop: Header=BB440_13 Depth=1
	v_bfe_u32 v3, v2, 16, 1
	s_delay_alu instid0(VALU_DEP_1)
	v_add3_u32 v3, v2, v3, 0x7fff
                                        ; implicit-def: $vgpr2
; %bb.674:                              ;   in Loop: Header=BB440_13 Depth=1
	s_and_not1_saveexec_b32 s21, s1
; %bb.675:                              ;   in Loop: Header=BB440_13 Depth=1
	v_and_b32_e32 v3, 0xffff, v2
	v_or_b32_e32 v14, 0x10000, v2
	s_delay_alu instid0(VALU_DEP_2) | instskip(NEXT) | instid1(VALU_DEP_1)
	v_cmp_eq_u32_e64 s1, 0, v3
	v_cndmask_b32_e64 v3, v14, v2, s1
; %bb.676:                              ;   in Loop: Header=BB440_13 Depth=1
	s_or_b32 exec_lo, exec_lo, s21
	v_mov_b32_e32 v14, 0
	s_mov_b32 s21, exec_lo
	v_cmpx_lt_u64_e64 s[16:17], v[33:34]
	s_cbranch_execz .LBB440_684
; %bb.677:                              ;   in Loop: Header=BB440_13 Depth=1
	v_lshrrev_b32_e32 v2, 24, v34
	v_bfrev_b32_e32 v14, 1
	s_mov_b32 s22, exec_lo
	s_delay_alu instid0(VALU_DEP_2)
	v_cmpx_ne_u32_e32 0x80, v2
	s_cbranch_execz .LBB440_683
; %bb.678:                              ;   in Loop: Header=BB440_13 Depth=1
	v_bfe_u32 v15, v34, 24, 7
	v_mov_b32_e32 v14, 0x7f800001
	s_mov_b32 s23, exec_lo
	s_delay_alu instid0(VALU_DEP_2)
	v_cmpx_ne_u32_e32 0x7f, v15
	s_cbranch_execz .LBB440_682
; %bb.679:                              ;   in Loop: Header=BB440_13 Depth=1
	v_and_b32_e32 v19, 7, v2
	v_lshrrev_b32_e32 v14, 3, v15
	v_mov_b32_e32 v34, v20
	s_mov_b32 s24, exec_lo
	s_delay_alu instid0(VALU_DEP_3)
	v_mov_b32_e32 v33, v19
	v_cmpx_gt_u32_e32 8, v15
; %bb.680:                              ;   in Loop: Header=BB440_13 Depth=1
	v_clz_i32_u32_e32 v14, v19
	s_delay_alu instid0(VALU_DEP_1) | instskip(NEXT) | instid1(VALU_DEP_1)
	v_min_u32_e32 v14, 32, v14
	v_subrev_nc_u32_e32 v15, 28, v14
	v_sub_nc_u32_e32 v14, 29, v14
	s_delay_alu instid0(VALU_DEP_2) | instskip(NEXT) | instid1(VALU_DEP_1)
	v_lshlrev_b64 v[33:34], v15, v[19:20]
	v_and_b32_e32 v33, 7, v33
; %bb.681:                              ;   in Loop: Header=BB440_13 Depth=1
	s_or_b32 exec_lo, exec_lo, s24
	v_lshlrev_b32_e32 v2, 24, v2
	s_delay_alu instid0(VALU_DEP_2) | instskip(SKIP_1) | instid1(VALU_DEP_3)
	v_lshlrev_b32_e32 v15, 20, v33
	v_lshl_add_u32 v14, v14, 23, 0x3c000000
	v_and_b32_e32 v2, 0x80000000, v2
	s_delay_alu instid0(VALU_DEP_1)
	v_or3_b32 v14, v15, v2, v14
.LBB440_682:                            ;   in Loop: Header=BB440_13 Depth=1
	s_or_b32 exec_lo, exec_lo, s23
.LBB440_683:                            ;   in Loop: Header=BB440_13 Depth=1
	s_delay_alu instid0(SALU_CYCLE_1)
	s_or_b32 exec_lo, exec_lo, s22
.LBB440_684:                            ;   in Loop: Header=BB440_13 Depth=1
	s_delay_alu instid0(SALU_CYCLE_1) | instskip(NEXT) | instid1(VALU_DEP_1)
	s_or_b32 exec_lo, exec_lo, s21
	v_mul_f32_e32 v14, v123, v14
	s_delay_alu instid0(VALU_DEP_1) | instskip(NEXT) | instid1(VALU_DEP_1)
	v_and_b32_e32 v2, 0x7f800000, v14
	v_cmp_ne_u32_e64 s1, 0x7f800000, v2
                                        ; implicit-def: $vgpr2
	s_delay_alu instid0(VALU_DEP_1) | instskip(NEXT) | instid1(SALU_CYCLE_1)
	s_and_saveexec_b32 s21, s1
	s_xor_b32 s1, exec_lo, s21
; %bb.685:                              ;   in Loop: Header=BB440_13 Depth=1
	v_bfe_u32 v2, v14, 16, 1
	s_delay_alu instid0(VALU_DEP_1)
	v_add3_u32 v2, v14, v2, 0x7fff
                                        ; implicit-def: $vgpr14
; %bb.686:                              ;   in Loop: Header=BB440_13 Depth=1
	s_and_not1_saveexec_b32 s21, s1
; %bb.687:                              ;   in Loop: Header=BB440_13 Depth=1
	v_and_b32_e32 v2, 0xffff, v14
	v_or_b32_e32 v15, 0x10000, v14
	s_delay_alu instid0(VALU_DEP_2) | instskip(NEXT) | instid1(VALU_DEP_1)
	v_cmp_eq_u32_e64 s1, 0, v2
	v_cndmask_b32_e64 v2, v15, v14, s1
; %bb.688:                              ;   in Loop: Header=BB440_13 Depth=1
	s_or_b32 exec_lo, exec_lo, s21
	flat_load_b64 v[33:34], v[31:32] offset:1544
	s_mov_b32 s21, exec_lo
	s_waitcnt vmcnt(0) lgkmcnt(0)
	v_dual_mov_b32 v14, 0 :: v_dual_and_b32 v15, 0xff, v33
	s_delay_alu instid0(VALU_DEP_1)
	v_cmpx_ne_u16_e32 0, v15
	s_cbranch_execz .LBB440_696
; %bb.689:                              ;   in Loop: Header=BB440_13 Depth=1
	v_bfrev_b32_e32 v14, 1
	s_mov_b32 s22, exec_lo
	v_cmpx_ne_u16_e32 0x80, v15
	s_cbranch_execz .LBB440_695
; %bb.690:                              ;   in Loop: Header=BB440_13 Depth=1
	v_and_b32_e32 v15, 0x7f, v33
	v_mov_b32_e32 v14, 0x7f800001
	s_mov_b32 s23, exec_lo
	s_delay_alu instid0(VALU_DEP_2)
	v_cmpx_ne_u32_e32 0x7f, v15
	s_cbranch_execz .LBB440_694
; %bb.691:                              ;   in Loop: Header=BB440_13 Depth=1
	v_lshrrev_b32_e32 v14, 3, v15
	v_dual_mov_b32 v36, v34 :: v_dual_mov_b32 v35, v33
	s_mov_b32 s24, exec_lo
	v_cmpx_gt_u32_e32 8, v15
; %bb.692:                              ;   in Loop: Header=BB440_13 Depth=1
	v_and_b32_e32 v14, 7, v33
	s_delay_alu instid0(VALU_DEP_1) | instskip(NEXT) | instid1(VALU_DEP_1)
	v_clz_i32_u32_e32 v14, v14
	v_min_u32_e32 v14, 32, v14
	s_delay_alu instid0(VALU_DEP_1) | instskip(SKIP_1) | instid1(VALU_DEP_2)
	v_subrev_nc_u32_e32 v15, 28, v14
	v_sub_nc_u32_e32 v14, 29, v14
	v_lshlrev_b64 v[35:36], v15, v[33:34]
; %bb.693:                              ;   in Loop: Header=BB440_13 Depth=1
	s_or_b32 exec_lo, exec_lo, s24
	s_delay_alu instid0(VALU_DEP_1) | instskip(SKIP_2) | instid1(VALU_DEP_3)
	v_lshlrev_b32_e32 v15, 20, v35
	v_lshlrev_b32_e32 v19, 24, v33
	v_lshl_add_u32 v14, v14, 23, 0x3c000000
	v_and_b32_e32 v15, 0x700000, v15
	s_delay_alu instid0(VALU_DEP_3) | instskip(NEXT) | instid1(VALU_DEP_1)
	v_and_b32_e32 v19, 0x80000000, v19
	v_or3_b32 v14, v15, v19, v14
.LBB440_694:                            ;   in Loop: Header=BB440_13 Depth=1
	s_or_b32 exec_lo, exec_lo, s23
.LBB440_695:                            ;   in Loop: Header=BB440_13 Depth=1
	s_delay_alu instid0(SALU_CYCLE_1)
	s_or_b32 exec_lo, exec_lo, s22
.LBB440_696:                            ;   in Loop: Header=BB440_13 Depth=1
	s_delay_alu instid0(SALU_CYCLE_1) | instskip(NEXT) | instid1(VALU_DEP_1)
	s_or_b32 exec_lo, exec_lo, s21
	v_mul_f32_e32 v14, v123, v14
	s_delay_alu instid0(VALU_DEP_1) | instskip(NEXT) | instid1(VALU_DEP_1)
	v_and_b32_e32 v15, 0x7f800000, v14
	v_cmp_ne_u32_e64 s1, 0x7f800000, v15
                                        ; implicit-def: $vgpr15
	s_delay_alu instid0(VALU_DEP_1) | instskip(NEXT) | instid1(SALU_CYCLE_1)
	s_and_saveexec_b32 s21, s1
	s_xor_b32 s1, exec_lo, s21
; %bb.697:                              ;   in Loop: Header=BB440_13 Depth=1
	v_bfe_u32 v15, v14, 16, 1
	s_delay_alu instid0(VALU_DEP_1)
	v_add3_u32 v15, v14, v15, 0x7fff
                                        ; implicit-def: $vgpr14
; %bb.698:                              ;   in Loop: Header=BB440_13 Depth=1
	s_and_not1_saveexec_b32 s21, s1
; %bb.699:                              ;   in Loop: Header=BB440_13 Depth=1
	v_and_b32_e32 v15, 0xffff, v14
	v_or_b32_e32 v19, 0x10000, v14
	s_delay_alu instid0(VALU_DEP_2) | instskip(NEXT) | instid1(VALU_DEP_1)
	v_cmp_eq_u32_e64 s1, 0, v15
	v_cndmask_b32_e64 v15, v19, v14, s1
; %bb.700:                              ;   in Loop: Header=BB440_13 Depth=1
	s_or_b32 exec_lo, exec_lo, s21
	v_lshrrev_b16 v19, 8, v33
	v_mov_b32_e32 v14, 0
	s_mov_b32 s21, exec_lo
	s_delay_alu instid0(VALU_DEP_2)
	v_cmpx_ne_u16_e32 0, v19
	s_cbranch_execz .LBB440_708
; %bb.701:                              ;   in Loop: Header=BB440_13 Depth=1
	v_bfrev_b32_e32 v14, 1
	s_mov_b32 s22, exec_lo
	v_cmpx_ne_u16_e32 0x80, v19
	s_cbranch_execz .LBB440_707
; %bb.702:                              ;   in Loop: Header=BB440_13 Depth=1
	v_and_b32_e32 v19, 0xffff, v19
	v_mov_b32_e32 v14, 0x7f800001
	s_mov_b32 s23, exec_lo
	s_delay_alu instid0(VALU_DEP_2) | instskip(NEXT) | instid1(VALU_DEP_1)
	v_and_b32_e32 v30, 0x7f, v19
	v_cmpx_ne_u32_e32 0x7f, v30
	s_cbranch_execz .LBB440_706
; %bb.703:                              ;   in Loop: Header=BB440_13 Depth=1
	v_and_b32_e32 v19, 7, v19
	v_lshrrev_b32_e32 v14, 3, v30
	v_mov_b32_e32 v36, v20
	s_mov_b32 s24, exec_lo
	s_delay_alu instid0(VALU_DEP_3)
	v_mov_b32_e32 v35, v19
	v_cmpx_gt_u32_e32 8, v30
; %bb.704:                              ;   in Loop: Header=BB440_13 Depth=1
	v_clz_i32_u32_e32 v14, v19
	s_delay_alu instid0(VALU_DEP_1) | instskip(NEXT) | instid1(VALU_DEP_1)
	v_min_u32_e32 v14, 32, v14
	v_subrev_nc_u32_e32 v30, 28, v14
	v_sub_nc_u32_e32 v14, 29, v14
	s_delay_alu instid0(VALU_DEP_2) | instskip(NEXT) | instid1(VALU_DEP_1)
	v_lshlrev_b64 v[35:36], v30, v[19:20]
	v_and_b32_e32 v35, 7, v35
; %bb.705:                              ;   in Loop: Header=BB440_13 Depth=1
	s_or_b32 exec_lo, exec_lo, s24
	v_lshlrev_b32_e32 v19, 16, v33
	s_delay_alu instid0(VALU_DEP_2) | instskip(SKIP_1) | instid1(VALU_DEP_3)
	v_lshlrev_b32_e32 v30, 20, v35
	v_lshl_add_u32 v14, v14, 23, 0x3c000000
	v_and_b32_e32 v19, 0x80000000, v19
	s_delay_alu instid0(VALU_DEP_1)
	v_or3_b32 v14, v30, v19, v14
.LBB440_706:                            ;   in Loop: Header=BB440_13 Depth=1
	s_or_b32 exec_lo, exec_lo, s23
.LBB440_707:                            ;   in Loop: Header=BB440_13 Depth=1
	s_delay_alu instid0(SALU_CYCLE_1)
	s_or_b32 exec_lo, exec_lo, s22
.LBB440_708:                            ;   in Loop: Header=BB440_13 Depth=1
	s_delay_alu instid0(SALU_CYCLE_1) | instskip(NEXT) | instid1(VALU_DEP_1)
	s_or_b32 exec_lo, exec_lo, s21
	v_mul_f32_e32 v19, v123, v14
	s_delay_alu instid0(VALU_DEP_1) | instskip(NEXT) | instid1(VALU_DEP_1)
	v_and_b32_e32 v14, 0x7f800000, v19
	v_cmp_ne_u32_e64 s1, 0x7f800000, v14
                                        ; implicit-def: $vgpr14
	s_delay_alu instid0(VALU_DEP_1) | instskip(NEXT) | instid1(SALU_CYCLE_1)
	s_and_saveexec_b32 s21, s1
	s_xor_b32 s1, exec_lo, s21
; %bb.709:                              ;   in Loop: Header=BB440_13 Depth=1
	v_bfe_u32 v14, v19, 16, 1
	s_delay_alu instid0(VALU_DEP_1)
	v_add3_u32 v14, v19, v14, 0x7fff
                                        ; implicit-def: $vgpr19
; %bb.710:                              ;   in Loop: Header=BB440_13 Depth=1
	s_and_not1_saveexec_b32 s21, s1
; %bb.711:                              ;   in Loop: Header=BB440_13 Depth=1
	v_and_b32_e32 v14, 0xffff, v19
	v_or_b32_e32 v30, 0x10000, v19
	s_delay_alu instid0(VALU_DEP_2) | instskip(NEXT) | instid1(VALU_DEP_1)
	v_cmp_eq_u32_e64 s1, 0, v14
	v_cndmask_b32_e64 v14, v30, v19, s1
; %bb.712:                              ;   in Loop: Header=BB440_13 Depth=1
	s_or_b32 exec_lo, exec_lo, s21
	v_lshrrev_b32_e32 v30, 16, v33
	v_mov_b32_e32 v19, 0
	s_mov_b32 s21, exec_lo
	s_delay_alu instid0(VALU_DEP_2) | instskip(NEXT) | instid1(VALU_DEP_1)
	v_and_b32_e32 v35, 0xff, v30
	v_cmpx_ne_u16_e32 0, v35
	s_cbranch_execz .LBB440_720
; %bb.713:                              ;   in Loop: Header=BB440_13 Depth=1
	v_bfrev_b32_e32 v19, 1
	s_mov_b32 s22, exec_lo
	v_cmpx_ne_u16_e32 0x80, v35
	s_cbranch_execz .LBB440_719
; %bb.714:                              ;   in Loop: Header=BB440_13 Depth=1
	v_bfe_u32 v35, v33, 16, 7
	v_mov_b32_e32 v19, 0x7f800001
	s_mov_b32 s23, exec_lo
	s_delay_alu instid0(VALU_DEP_2)
	v_cmpx_ne_u32_e32 0x7f, v35
	s_cbranch_execz .LBB440_718
; %bb.715:                              ;   in Loop: Header=BB440_13 Depth=1
	v_and_b32_e32 v19, 7, v30
	v_lshrrev_b32_e32 v67, 3, v35
	v_cmp_gt_u32_e64 s1, 8, v35
	s_delay_alu instid0(VALU_DEP_3) | instskip(NEXT) | instid1(VALU_DEP_2)
	v_dual_mov_b32 v36, v20 :: v_dual_mov_b32 v35, v19
	s_and_saveexec_b32 s24, s1
; %bb.716:                              ;   in Loop: Header=BB440_13 Depth=1
	v_clz_i32_u32_e32 v35, v19
	s_delay_alu instid0(VALU_DEP_1) | instskip(NEXT) | instid1(VALU_DEP_1)
	v_min_u32_e32 v67, 32, v35
	v_subrev_nc_u32_e32 v35, 28, v67
	v_sub_nc_u32_e32 v67, 29, v67
	s_delay_alu instid0(VALU_DEP_2) | instskip(NEXT) | instid1(VALU_DEP_1)
	v_lshlrev_b64 v[35:36], v35, v[19:20]
	v_and_b32_e32 v35, 7, v35
; %bb.717:                              ;   in Loop: Header=BB440_13 Depth=1
	s_or_b32 exec_lo, exec_lo, s24
	v_lshlrev_b32_e32 v19, 24, v30
	s_delay_alu instid0(VALU_DEP_2) | instskip(SKIP_1) | instid1(VALU_DEP_3)
	v_lshlrev_b32_e32 v30, 20, v35
	v_lshl_add_u32 v35, v67, 23, 0x3c000000
	v_and_b32_e32 v19, 0x80000000, v19
	s_delay_alu instid0(VALU_DEP_1)
	v_or3_b32 v19, v30, v19, v35
.LBB440_718:                            ;   in Loop: Header=BB440_13 Depth=1
	s_or_b32 exec_lo, exec_lo, s23
.LBB440_719:                            ;   in Loop: Header=BB440_13 Depth=1
	s_delay_alu instid0(SALU_CYCLE_1)
	s_or_b32 exec_lo, exec_lo, s22
.LBB440_720:                            ;   in Loop: Header=BB440_13 Depth=1
	s_delay_alu instid0(SALU_CYCLE_1) | instskip(NEXT) | instid1(VALU_DEP_1)
	s_or_b32 exec_lo, exec_lo, s21
	v_mul_f32_e32 v19, v123, v19
	s_delay_alu instid0(VALU_DEP_1) | instskip(NEXT) | instid1(VALU_DEP_1)
	v_and_b32_e32 v30, 0x7f800000, v19
	v_cmp_ne_u32_e64 s1, 0x7f800000, v30
                                        ; implicit-def: $vgpr30
	s_delay_alu instid0(VALU_DEP_1) | instskip(NEXT) | instid1(SALU_CYCLE_1)
	s_and_saveexec_b32 s21, s1
	s_xor_b32 s1, exec_lo, s21
; %bb.721:                              ;   in Loop: Header=BB440_13 Depth=1
	v_bfe_u32 v30, v19, 16, 1
	s_delay_alu instid0(VALU_DEP_1)
	v_add3_u32 v30, v19, v30, 0x7fff
                                        ; implicit-def: $vgpr19
; %bb.722:                              ;   in Loop: Header=BB440_13 Depth=1
	s_and_not1_saveexec_b32 s21, s1
; %bb.723:                              ;   in Loop: Header=BB440_13 Depth=1
	v_and_b32_e32 v30, 0xffff, v19
	v_or_b32_e32 v35, 0x10000, v19
	s_delay_alu instid0(VALU_DEP_2) | instskip(NEXT) | instid1(VALU_DEP_1)
	v_cmp_eq_u32_e64 s1, 0, v30
	v_cndmask_b32_e64 v30, v35, v19, s1
; %bb.724:                              ;   in Loop: Header=BB440_13 Depth=1
	s_or_b32 exec_lo, exec_lo, s21
	v_mov_b32_e32 v19, 0
	s_mov_b32 s21, exec_lo
	v_cmpx_lt_u32_e32 0xffffff, v33
	s_cbranch_execz .LBB440_732
; %bb.725:                              ;   in Loop: Header=BB440_13 Depth=1
	v_lshrrev_b32_e32 v67, 24, v33
	v_bfrev_b32_e32 v19, 1
	s_mov_b32 s22, exec_lo
	s_delay_alu instid0(VALU_DEP_2)
	v_cmpx_ne_u32_e32 0x80, v67
	s_cbranch_execz .LBB440_731
; %bb.726:                              ;   in Loop: Header=BB440_13 Depth=1
	v_bfe_u32 v35, v33, 24, 7
	v_mov_b32_e32 v19, 0x7f800001
	s_mov_b32 s23, exec_lo
	s_delay_alu instid0(VALU_DEP_2)
	v_cmpx_ne_u32_e32 0x7f, v35
	s_cbranch_execz .LBB440_730
; %bb.727:                              ;   in Loop: Header=BB440_13 Depth=1
	v_and_b32_e32 v19, 7, v67
	v_lshrrev_b32_e32 v68, 3, v35
	v_cmp_gt_u32_e64 s1, 8, v35
	s_delay_alu instid0(VALU_DEP_3) | instskip(NEXT) | instid1(VALU_DEP_2)
	v_dual_mov_b32 v36, v20 :: v_dual_mov_b32 v35, v19
	s_and_saveexec_b32 s24, s1
; %bb.728:                              ;   in Loop: Header=BB440_13 Depth=1
	v_clz_i32_u32_e32 v35, v19
	s_delay_alu instid0(VALU_DEP_1) | instskip(NEXT) | instid1(VALU_DEP_1)
	v_min_u32_e32 v68, 32, v35
	v_subrev_nc_u32_e32 v35, 28, v68
	v_sub_nc_u32_e32 v68, 29, v68
	s_delay_alu instid0(VALU_DEP_2) | instskip(NEXT) | instid1(VALU_DEP_1)
	v_lshlrev_b64 v[35:36], v35, v[19:20]
	v_and_b32_e32 v35, 7, v35
; %bb.729:                              ;   in Loop: Header=BB440_13 Depth=1
	s_or_b32 exec_lo, exec_lo, s24
	v_lshlrev_b32_e32 v19, 24, v67
	s_delay_alu instid0(VALU_DEP_2) | instskip(SKIP_1) | instid1(VALU_DEP_3)
	v_lshlrev_b32_e32 v35, 20, v35
	v_lshl_add_u32 v36, v68, 23, 0x3c000000
	v_and_b32_e32 v19, 0x80000000, v19
	s_delay_alu instid0(VALU_DEP_1)
	v_or3_b32 v19, v35, v19, v36
.LBB440_730:                            ;   in Loop: Header=BB440_13 Depth=1
	s_or_b32 exec_lo, exec_lo, s23
.LBB440_731:                            ;   in Loop: Header=BB440_13 Depth=1
	s_delay_alu instid0(SALU_CYCLE_1)
	s_or_b32 exec_lo, exec_lo, s22
.LBB440_732:                            ;   in Loop: Header=BB440_13 Depth=1
	s_delay_alu instid0(SALU_CYCLE_1) | instskip(NEXT) | instid1(VALU_DEP_1)
	s_or_b32 exec_lo, exec_lo, s21
	v_mul_f32_e32 v19, v123, v19
                                        ; implicit-def: $vgpr67
	s_delay_alu instid0(VALU_DEP_1) | instskip(NEXT) | instid1(VALU_DEP_1)
	v_and_b32_e32 v35, 0x7f800000, v19
	v_cmp_ne_u32_e64 s1, 0x7f800000, v35
	s_delay_alu instid0(VALU_DEP_1) | instskip(NEXT) | instid1(SALU_CYCLE_1)
	s_and_saveexec_b32 s21, s1
	s_xor_b32 s1, exec_lo, s21
; %bb.733:                              ;   in Loop: Header=BB440_13 Depth=1
	v_bfe_u32 v35, v19, 16, 1
	s_delay_alu instid0(VALU_DEP_1)
	v_add3_u32 v67, v19, v35, 0x7fff
                                        ; implicit-def: $vgpr19
; %bb.734:                              ;   in Loop: Header=BB440_13 Depth=1
	s_and_not1_saveexec_b32 s21, s1
; %bb.735:                              ;   in Loop: Header=BB440_13 Depth=1
	v_and_b32_e32 v35, 0xffff, v19
	v_or_b32_e32 v36, 0x10000, v19
	s_delay_alu instid0(VALU_DEP_2) | instskip(NEXT) | instid1(VALU_DEP_1)
	v_cmp_eq_u32_e64 s1, 0, v35
	v_cndmask_b32_e64 v67, v36, v19, s1
; %bb.736:                              ;   in Loop: Header=BB440_13 Depth=1
	s_or_b32 exec_lo, exec_lo, s21
	v_dual_mov_b32 v19, v34 :: v_dual_and_b32 v36, 0xff, v34
	v_mov_b32_e32 v35, 0
	s_mov_b32 s21, exec_lo
	s_delay_alu instid0(VALU_DEP_2)
	v_cmpx_ne_u16_e32 0, v36
	s_cbranch_execz .LBB440_744
; %bb.737:                              ;   in Loop: Header=BB440_13 Depth=1
	v_bfrev_b32_e32 v35, 1
	s_mov_b32 s22, exec_lo
	v_cmpx_ne_u16_e32 0x80, v36
	s_cbranch_execz .LBB440_743
; %bb.738:                              ;   in Loop: Header=BB440_13 Depth=1
	v_and_b32_e32 v36, 0x7f, v34
	v_mov_b32_e32 v35, 0x7f800001
	s_mov_b32 s23, exec_lo
	s_delay_alu instid0(VALU_DEP_2)
	v_cmpx_ne_u32_e32 0x7f, v36
	s_cbranch_execz .LBB440_742
; %bb.739:                              ;   in Loop: Header=BB440_13 Depth=1
	v_lshrrev_b32_e32 v68, 3, v36
	v_cmp_gt_u32_e64 s1, 8, v36
	v_dual_mov_b32 v36, v20 :: v_dual_mov_b32 v35, v19
	s_delay_alu instid0(VALU_DEP_2)
	s_and_saveexec_b32 s24, s1
; %bb.740:                              ;   in Loop: Header=BB440_13 Depth=1
	v_and_b32_e32 v35, 7, v34
	s_delay_alu instid0(VALU_DEP_1) | instskip(NEXT) | instid1(VALU_DEP_1)
	v_clz_i32_u32_e32 v35, v35
	v_min_u32_e32 v68, 32, v35
	s_delay_alu instid0(VALU_DEP_1) | instskip(SKIP_1) | instid1(VALU_DEP_2)
	v_subrev_nc_u32_e32 v35, 28, v68
	v_sub_nc_u32_e32 v68, 29, v68
	v_lshlrev_b64 v[35:36], v35, v[19:20]
; %bb.741:                              ;   in Loop: Header=BB440_13 Depth=1
	s_or_b32 exec_lo, exec_lo, s24
	s_delay_alu instid0(VALU_DEP_1) | instskip(SKIP_2) | instid1(VALU_DEP_3)
	v_lshlrev_b32_e32 v35, 20, v35
	v_lshlrev_b32_e32 v36, 24, v19
	v_lshl_add_u32 v68, v68, 23, 0x3c000000
	v_and_b32_e32 v35, 0x700000, v35
	s_delay_alu instid0(VALU_DEP_3) | instskip(NEXT) | instid1(VALU_DEP_1)
	v_and_b32_e32 v36, 0x80000000, v36
	v_or3_b32 v35, v35, v36, v68
.LBB440_742:                            ;   in Loop: Header=BB440_13 Depth=1
	s_or_b32 exec_lo, exec_lo, s23
.LBB440_743:                            ;   in Loop: Header=BB440_13 Depth=1
	s_delay_alu instid0(SALU_CYCLE_1)
	s_or_b32 exec_lo, exec_lo, s22
.LBB440_744:                            ;   in Loop: Header=BB440_13 Depth=1
	s_delay_alu instid0(SALU_CYCLE_1) | instskip(NEXT) | instid1(VALU_DEP_1)
	s_or_b32 exec_lo, exec_lo, s21
	v_mul_f32_e32 v35, v123, v35
                                        ; implicit-def: $vgpr68
	s_delay_alu instid0(VALU_DEP_1) | instskip(NEXT) | instid1(VALU_DEP_1)
	v_and_b32_e32 v36, 0x7f800000, v35
	v_cmp_ne_u32_e64 s1, 0x7f800000, v36
	s_delay_alu instid0(VALU_DEP_1) | instskip(NEXT) | instid1(SALU_CYCLE_1)
	s_and_saveexec_b32 s21, s1
	s_xor_b32 s1, exec_lo, s21
; %bb.745:                              ;   in Loop: Header=BB440_13 Depth=1
	v_bfe_u32 v36, v35, 16, 1
	s_delay_alu instid0(VALU_DEP_1)
	v_add3_u32 v68, v35, v36, 0x7fff
                                        ; implicit-def: $vgpr35
; %bb.746:                              ;   in Loop: Header=BB440_13 Depth=1
	s_and_not1_saveexec_b32 s21, s1
; %bb.747:                              ;   in Loop: Header=BB440_13 Depth=1
	v_and_b32_e32 v36, 0xffff, v35
	v_or_b32_e32 v68, 0x10000, v35
	s_delay_alu instid0(VALU_DEP_2) | instskip(NEXT) | instid1(VALU_DEP_1)
	v_cmp_eq_u32_e64 s1, 0, v36
	v_cndmask_b32_e64 v68, v68, v35, s1
; %bb.748:                              ;   in Loop: Header=BB440_13 Depth=1
	s_or_b32 exec_lo, exec_lo, s21
	v_lshrrev_b16 v36, 8, v19
	v_mov_b32_e32 v35, 0
	s_mov_b32 s21, exec_lo
	s_delay_alu instid0(VALU_DEP_2)
	v_cmpx_ne_u16_e32 0, v36
	s_cbranch_execz .LBB440_756
; %bb.749:                              ;   in Loop: Header=BB440_13 Depth=1
	v_bfrev_b32_e32 v35, 1
	s_mov_b32 s22, exec_lo
	v_cmpx_ne_u16_e32 0x80, v36
	s_cbranch_execz .LBB440_755
; %bb.750:                              ;   in Loop: Header=BB440_13 Depth=1
	v_and_b32_e32 v36, 0xffff, v36
	v_mov_b32_e32 v35, 0x7f800001
	s_mov_b32 s23, exec_lo
	s_delay_alu instid0(VALU_DEP_2) | instskip(NEXT) | instid1(VALU_DEP_1)
	v_and_b32_e32 v70, 0x7f, v36
	v_cmpx_ne_u32_e32 0x7f, v70
	s_cbranch_execz .LBB440_754
; %bb.751:                              ;   in Loop: Header=BB440_13 Depth=1
	v_dual_mov_b32 v36, v20 :: v_dual_and_b32 v35, 7, v36
	v_lshrrev_b32_e32 v69, 3, v70
	s_mov_b32 s24, exec_lo
	v_cmpx_gt_u32_e32 8, v70
; %bb.752:                              ;   in Loop: Header=BB440_13 Depth=1
	s_delay_alu instid0(VALU_DEP_3) | instskip(NEXT) | instid1(VALU_DEP_1)
	v_clz_i32_u32_e32 v69, v35
	v_min_u32_e32 v69, 32, v69
	s_delay_alu instid0(VALU_DEP_1) | instskip(SKIP_1) | instid1(VALU_DEP_2)
	v_subrev_nc_u32_e32 v70, 28, v69
	v_sub_nc_u32_e32 v69, 29, v69
	v_lshlrev_b64 v[35:36], v70, v[35:36]
	s_delay_alu instid0(VALU_DEP_1)
	v_and_b32_e32 v35, 7, v35
; %bb.753:                              ;   in Loop: Header=BB440_13 Depth=1
	s_or_b32 exec_lo, exec_lo, s24
	v_lshlrev_b32_e32 v19, 16, v19
	s_delay_alu instid0(VALU_DEP_2) | instskip(SKIP_1) | instid1(VALU_DEP_3)
	v_lshlrev_b32_e32 v35, 20, v35
	v_lshl_add_u32 v36, v69, 23, 0x3c000000
	v_and_b32_e32 v19, 0x80000000, v19
	s_delay_alu instid0(VALU_DEP_1)
	v_or3_b32 v35, v35, v19, v36
.LBB440_754:                            ;   in Loop: Header=BB440_13 Depth=1
	s_or_b32 exec_lo, exec_lo, s23
.LBB440_755:                            ;   in Loop: Header=BB440_13 Depth=1
	s_delay_alu instid0(SALU_CYCLE_1)
	s_or_b32 exec_lo, exec_lo, s22
.LBB440_756:                            ;   in Loop: Header=BB440_13 Depth=1
	s_delay_alu instid0(SALU_CYCLE_1) | instskip(NEXT) | instid1(VALU_DEP_1)
	s_or_b32 exec_lo, exec_lo, s21
	v_mul_f32_e32 v19, v123, v35
                                        ; implicit-def: $vgpr69
	s_delay_alu instid0(VALU_DEP_1) | instskip(NEXT) | instid1(VALU_DEP_1)
	v_and_b32_e32 v35, 0x7f800000, v19
	v_cmp_ne_u32_e64 s1, 0x7f800000, v35
	s_delay_alu instid0(VALU_DEP_1) | instskip(NEXT) | instid1(SALU_CYCLE_1)
	s_and_saveexec_b32 s21, s1
	s_xor_b32 s1, exec_lo, s21
; %bb.757:                              ;   in Loop: Header=BB440_13 Depth=1
	v_bfe_u32 v35, v19, 16, 1
	s_delay_alu instid0(VALU_DEP_1)
	v_add3_u32 v69, v19, v35, 0x7fff
                                        ; implicit-def: $vgpr19
; %bb.758:                              ;   in Loop: Header=BB440_13 Depth=1
	s_and_not1_saveexec_b32 s21, s1
; %bb.759:                              ;   in Loop: Header=BB440_13 Depth=1
	v_and_b32_e32 v35, 0xffff, v19
	v_or_b32_e32 v36, 0x10000, v19
	s_delay_alu instid0(VALU_DEP_2) | instskip(NEXT) | instid1(VALU_DEP_1)
	v_cmp_eq_u32_e64 s1, 0, v35
	v_cndmask_b32_e64 v69, v36, v19, s1
; %bb.760:                              ;   in Loop: Header=BB440_13 Depth=1
	s_or_b32 exec_lo, exec_lo, s21
	v_lshrrev_b32_e32 v70, 16, v34
	v_mov_b32_e32 v19, 0
	s_mov_b32 s21, exec_lo
	s_delay_alu instid0(VALU_DEP_2) | instskip(NEXT) | instid1(VALU_DEP_1)
	v_and_b32_e32 v35, 0xff, v70
	v_cmpx_ne_u16_e32 0, v35
	s_cbranch_execz .LBB440_768
; %bb.761:                              ;   in Loop: Header=BB440_13 Depth=1
	v_bfrev_b32_e32 v19, 1
	s_mov_b32 s22, exec_lo
	v_cmpx_ne_u16_e32 0x80, v35
	s_cbranch_execz .LBB440_767
; %bb.762:                              ;   in Loop: Header=BB440_13 Depth=1
	v_bfe_u32 v35, v34, 16, 7
	v_mov_b32_e32 v19, 0x7f800001
	s_mov_b32 s23, exec_lo
	s_delay_alu instid0(VALU_DEP_2)
	v_cmpx_ne_u32_e32 0x7f, v35
	s_cbranch_execz .LBB440_766
; %bb.763:                              ;   in Loop: Header=BB440_13 Depth=1
	v_and_b32_e32 v19, 7, v70
	v_lshrrev_b32_e32 v71, 3, v35
	v_cmp_gt_u32_e64 s1, 8, v35
	s_delay_alu instid0(VALU_DEP_3) | instskip(NEXT) | instid1(VALU_DEP_2)
	v_dual_mov_b32 v36, v20 :: v_dual_mov_b32 v35, v19
	s_and_saveexec_b32 s24, s1
; %bb.764:                              ;   in Loop: Header=BB440_13 Depth=1
	v_clz_i32_u32_e32 v35, v19
	s_delay_alu instid0(VALU_DEP_1) | instskip(NEXT) | instid1(VALU_DEP_1)
	v_min_u32_e32 v71, 32, v35
	v_subrev_nc_u32_e32 v35, 28, v71
	v_sub_nc_u32_e32 v71, 29, v71
	s_delay_alu instid0(VALU_DEP_2) | instskip(NEXT) | instid1(VALU_DEP_1)
	v_lshlrev_b64 v[35:36], v35, v[19:20]
	v_and_b32_e32 v35, 7, v35
; %bb.765:                              ;   in Loop: Header=BB440_13 Depth=1
	s_or_b32 exec_lo, exec_lo, s24
	v_lshlrev_b32_e32 v19, 24, v70
	s_delay_alu instid0(VALU_DEP_2) | instskip(SKIP_1) | instid1(VALU_DEP_3)
	v_lshlrev_b32_e32 v35, 20, v35
	v_lshl_add_u32 v36, v71, 23, 0x3c000000
	v_and_b32_e32 v19, 0x80000000, v19
	s_delay_alu instid0(VALU_DEP_1)
	v_or3_b32 v19, v35, v19, v36
.LBB440_766:                            ;   in Loop: Header=BB440_13 Depth=1
	s_or_b32 exec_lo, exec_lo, s23
.LBB440_767:                            ;   in Loop: Header=BB440_13 Depth=1
	s_delay_alu instid0(SALU_CYCLE_1)
	s_or_b32 exec_lo, exec_lo, s22
.LBB440_768:                            ;   in Loop: Header=BB440_13 Depth=1
	s_delay_alu instid0(SALU_CYCLE_1) | instskip(NEXT) | instid1(VALU_DEP_1)
	s_or_b32 exec_lo, exec_lo, s21
	v_mul_f32_e32 v19, v123, v19
                                        ; implicit-def: $vgpr70
	s_delay_alu instid0(VALU_DEP_1) | instskip(NEXT) | instid1(VALU_DEP_1)
	v_and_b32_e32 v35, 0x7f800000, v19
	v_cmp_ne_u32_e64 s1, 0x7f800000, v35
	s_delay_alu instid0(VALU_DEP_1) | instskip(NEXT) | instid1(SALU_CYCLE_1)
	s_and_saveexec_b32 s21, s1
	s_xor_b32 s1, exec_lo, s21
; %bb.769:                              ;   in Loop: Header=BB440_13 Depth=1
	v_bfe_u32 v35, v19, 16, 1
	s_delay_alu instid0(VALU_DEP_1)
	v_add3_u32 v70, v19, v35, 0x7fff
                                        ; implicit-def: $vgpr19
; %bb.770:                              ;   in Loop: Header=BB440_13 Depth=1
	s_and_not1_saveexec_b32 s21, s1
; %bb.771:                              ;   in Loop: Header=BB440_13 Depth=1
	v_and_b32_e32 v35, 0xffff, v19
	v_or_b32_e32 v36, 0x10000, v19
	s_delay_alu instid0(VALU_DEP_2) | instskip(NEXT) | instid1(VALU_DEP_1)
	v_cmp_eq_u32_e64 s1, 0, v35
	v_cndmask_b32_e64 v70, v36, v19, s1
; %bb.772:                              ;   in Loop: Header=BB440_13 Depth=1
	s_or_b32 exec_lo, exec_lo, s21
	v_mov_b32_e32 v19, 0
	s_mov_b32 s21, exec_lo
	v_cmpx_lt_u64_e64 s[16:17], v[33:34]
	s_cbranch_execz .LBB440_780
; %bb.773:                              ;   in Loop: Header=BB440_13 Depth=1
	v_lshrrev_b32_e32 v35, 24, v34
	v_bfrev_b32_e32 v19, 1
	s_mov_b32 s22, exec_lo
	s_delay_alu instid0(VALU_DEP_2)
	v_cmpx_ne_u32_e32 0x80, v35
	s_cbranch_execz .LBB440_779
; %bb.774:                              ;   in Loop: Header=BB440_13 Depth=1
	v_bfe_u32 v33, v34, 24, 7
	v_mov_b32_e32 v19, 0x7f800001
	s_mov_b32 s23, exec_lo
	s_delay_alu instid0(VALU_DEP_2)
	v_cmpx_ne_u32_e32 0x7f, v33
	s_cbranch_execz .LBB440_778
; %bb.775:                              ;   in Loop: Header=BB440_13 Depth=1
	v_and_b32_e32 v19, 7, v35
	v_lshrrev_b32_e32 v36, 3, v33
	v_cmp_gt_u32_e64 s1, 8, v33
	s_delay_alu instid0(VALU_DEP_3) | instskip(NEXT) | instid1(VALU_DEP_2)
	v_dual_mov_b32 v34, v20 :: v_dual_mov_b32 v33, v19
	s_and_saveexec_b32 s24, s1
; %bb.776:                              ;   in Loop: Header=BB440_13 Depth=1
	v_clz_i32_u32_e32 v33, v19
	s_delay_alu instid0(VALU_DEP_1) | instskip(NEXT) | instid1(VALU_DEP_1)
	v_min_u32_e32 v36, 32, v33
	v_subrev_nc_u32_e32 v33, 28, v36
	v_sub_nc_u32_e32 v36, 29, v36
	s_delay_alu instid0(VALU_DEP_2) | instskip(NEXT) | instid1(VALU_DEP_1)
	v_lshlrev_b64 v[33:34], v33, v[19:20]
	v_and_b32_e32 v33, 7, v33
; %bb.777:                              ;   in Loop: Header=BB440_13 Depth=1
	s_or_b32 exec_lo, exec_lo, s24
	v_lshlrev_b32_e32 v19, 24, v35
	s_delay_alu instid0(VALU_DEP_2) | instskip(SKIP_1) | instid1(VALU_DEP_3)
	v_lshlrev_b32_e32 v33, 20, v33
	v_lshl_add_u32 v34, v36, 23, 0x3c000000
	v_and_b32_e32 v19, 0x80000000, v19
	s_delay_alu instid0(VALU_DEP_1)
	v_or3_b32 v19, v33, v19, v34
.LBB440_778:                            ;   in Loop: Header=BB440_13 Depth=1
	s_or_b32 exec_lo, exec_lo, s23
.LBB440_779:                            ;   in Loop: Header=BB440_13 Depth=1
	s_delay_alu instid0(SALU_CYCLE_1)
	s_or_b32 exec_lo, exec_lo, s22
.LBB440_780:                            ;   in Loop: Header=BB440_13 Depth=1
	s_delay_alu instid0(SALU_CYCLE_1) | instskip(NEXT) | instid1(VALU_DEP_1)
	s_or_b32 exec_lo, exec_lo, s21
	v_mul_f32_e32 v19, v123, v19
                                        ; implicit-def: $vgpr71
	s_delay_alu instid0(VALU_DEP_1) | instskip(NEXT) | instid1(VALU_DEP_1)
	v_and_b32_e32 v33, 0x7f800000, v19
	v_cmp_ne_u32_e64 s1, 0x7f800000, v33
	s_delay_alu instid0(VALU_DEP_1) | instskip(NEXT) | instid1(SALU_CYCLE_1)
	s_and_saveexec_b32 s21, s1
	s_xor_b32 s1, exec_lo, s21
; %bb.781:                              ;   in Loop: Header=BB440_13 Depth=1
	v_bfe_u32 v33, v19, 16, 1
	s_delay_alu instid0(VALU_DEP_1)
	v_add3_u32 v71, v19, v33, 0x7fff
                                        ; implicit-def: $vgpr19
; %bb.782:                              ;   in Loop: Header=BB440_13 Depth=1
	s_and_not1_saveexec_b32 s21, s1
; %bb.783:                              ;   in Loop: Header=BB440_13 Depth=1
	v_and_b32_e32 v33, 0xffff, v19
	v_or_b32_e32 v34, 0x10000, v19
	s_delay_alu instid0(VALU_DEP_2) | instskip(NEXT) | instid1(VALU_DEP_1)
	v_cmp_eq_u32_e64 s1, 0, v33
	v_cndmask_b32_e64 v71, v34, v19, s1
; %bb.784:                              ;   in Loop: Header=BB440_13 Depth=1
	s_or_b32 exec_lo, exec_lo, s21
	flat_load_b64 v[33:34], v[31:32] offset:2048
	v_mov_b32_e32 v19, 0
	s_mov_b32 s21, exec_lo
	s_waitcnt vmcnt(0) lgkmcnt(0)
	v_and_b32_e32 v35, 0xff, v33
	s_delay_alu instid0(VALU_DEP_1)
	v_cmpx_ne_u16_e32 0, v35
	s_cbranch_execz .LBB440_792
; %bb.785:                              ;   in Loop: Header=BB440_13 Depth=1
	v_bfrev_b32_e32 v19, 1
	s_mov_b32 s22, exec_lo
	v_cmpx_ne_u16_e32 0x80, v35
	s_cbranch_execz .LBB440_791
; %bb.786:                              ;   in Loop: Header=BB440_13 Depth=1
	v_and_b32_e32 v35, 0x7f, v33
	v_mov_b32_e32 v19, 0x7f800001
	s_mov_b32 s23, exec_lo
	s_delay_alu instid0(VALU_DEP_2)
	v_cmpx_ne_u32_e32 0x7f, v35
	s_cbranch_execz .LBB440_790
; %bb.787:                              ;   in Loop: Header=BB440_13 Depth=1
	v_lshrrev_b32_e32 v19, 3, v35
	v_cmp_gt_u32_e64 s1, 8, v35
	v_dual_mov_b32 v36, v34 :: v_dual_mov_b32 v35, v33
	s_delay_alu instid0(VALU_DEP_2)
	s_and_saveexec_b32 s24, s1
; %bb.788:                              ;   in Loop: Header=BB440_13 Depth=1
	v_and_b32_e32 v19, 7, v33
	s_delay_alu instid0(VALU_DEP_1) | instskip(NEXT) | instid1(VALU_DEP_1)
	v_clz_i32_u32_e32 v19, v19
	v_min_u32_e32 v19, 32, v19
	s_delay_alu instid0(VALU_DEP_1) | instskip(SKIP_1) | instid1(VALU_DEP_2)
	v_subrev_nc_u32_e32 v35, 28, v19
	v_sub_nc_u32_e32 v19, 29, v19
	v_lshlrev_b64 v[35:36], v35, v[33:34]
; %bb.789:                              ;   in Loop: Header=BB440_13 Depth=1
	s_or_b32 exec_lo, exec_lo, s24
	s_delay_alu instid0(VALU_DEP_1) | instskip(SKIP_2) | instid1(VALU_DEP_3)
	v_lshlrev_b32_e32 v35, 20, v35
	v_lshlrev_b32_e32 v36, 24, v33
	v_lshl_add_u32 v19, v19, 23, 0x3c000000
	v_and_b32_e32 v35, 0x700000, v35
	s_delay_alu instid0(VALU_DEP_3) | instskip(NEXT) | instid1(VALU_DEP_1)
	v_and_b32_e32 v36, 0x80000000, v36
	v_or3_b32 v19, v35, v36, v19
.LBB440_790:                            ;   in Loop: Header=BB440_13 Depth=1
	s_or_b32 exec_lo, exec_lo, s23
.LBB440_791:                            ;   in Loop: Header=BB440_13 Depth=1
	s_delay_alu instid0(SALU_CYCLE_1)
	s_or_b32 exec_lo, exec_lo, s22
.LBB440_792:                            ;   in Loop: Header=BB440_13 Depth=1
	s_delay_alu instid0(SALU_CYCLE_1) | instskip(NEXT) | instid1(VALU_DEP_1)
	s_or_b32 exec_lo, exec_lo, s21
	v_mul_f32_e32 v19, v123, v19
                                        ; implicit-def: $vgpr80
	s_delay_alu instid0(VALU_DEP_1) | instskip(NEXT) | instid1(VALU_DEP_1)
	v_and_b32_e32 v35, 0x7f800000, v19
	v_cmp_ne_u32_e64 s1, 0x7f800000, v35
	s_delay_alu instid0(VALU_DEP_1) | instskip(NEXT) | instid1(SALU_CYCLE_1)
	s_and_saveexec_b32 s21, s1
	s_xor_b32 s1, exec_lo, s21
; %bb.793:                              ;   in Loop: Header=BB440_13 Depth=1
	v_bfe_u32 v35, v19, 16, 1
	s_delay_alu instid0(VALU_DEP_1)
	v_add3_u32 v80, v19, v35, 0x7fff
                                        ; implicit-def: $vgpr19
; %bb.794:                              ;   in Loop: Header=BB440_13 Depth=1
	s_and_not1_saveexec_b32 s21, s1
; %bb.795:                              ;   in Loop: Header=BB440_13 Depth=1
	v_and_b32_e32 v35, 0xffff, v19
	v_or_b32_e32 v36, 0x10000, v19
	s_delay_alu instid0(VALU_DEP_2) | instskip(NEXT) | instid1(VALU_DEP_1)
	v_cmp_eq_u32_e64 s1, 0, v35
	v_cndmask_b32_e64 v80, v36, v19, s1
; %bb.796:                              ;   in Loop: Header=BB440_13 Depth=1
	s_or_b32 exec_lo, exec_lo, s21
	v_lshrrev_b16 v35, 8, v33
	v_mov_b32_e32 v19, 0
	s_mov_b32 s21, exec_lo
	s_delay_alu instid0(VALU_DEP_2)
	v_cmpx_ne_u16_e32 0, v35
	s_cbranch_execz .LBB440_804
; %bb.797:                              ;   in Loop: Header=BB440_13 Depth=1
	v_bfrev_b32_e32 v19, 1
	s_mov_b32 s22, exec_lo
	v_cmpx_ne_u16_e32 0x80, v35
	s_cbranch_execz .LBB440_803
; %bb.798:                              ;   in Loop: Header=BB440_13 Depth=1
	v_and_b32_e32 v36, 0xffff, v35
	v_mov_b32_e32 v19, 0x7f800001
	s_mov_b32 s23, exec_lo
	s_delay_alu instid0(VALU_DEP_2) | instskip(NEXT) | instid1(VALU_DEP_1)
	v_and_b32_e32 v35, 0x7f, v36
	v_cmpx_ne_u32_e32 0x7f, v35
	s_cbranch_execz .LBB440_802
; %bb.799:                              ;   in Loop: Header=BB440_13 Depth=1
	v_and_b32_e32 v19, 7, v36
	v_lshrrev_b32_e32 v81, 3, v35
	v_cmp_gt_u32_e64 s1, 8, v35
	s_delay_alu instid0(VALU_DEP_3) | instskip(NEXT) | instid1(VALU_DEP_2)
	v_dual_mov_b32 v36, v20 :: v_dual_mov_b32 v35, v19
	s_and_saveexec_b32 s24, s1
; %bb.800:                              ;   in Loop: Header=BB440_13 Depth=1
	v_clz_i32_u32_e32 v35, v19
	s_delay_alu instid0(VALU_DEP_1) | instskip(NEXT) | instid1(VALU_DEP_1)
	v_min_u32_e32 v81, 32, v35
	v_subrev_nc_u32_e32 v35, 28, v81
	v_sub_nc_u32_e32 v81, 29, v81
	s_delay_alu instid0(VALU_DEP_2) | instskip(NEXT) | instid1(VALU_DEP_1)
	v_lshlrev_b64 v[35:36], v35, v[19:20]
	v_and_b32_e32 v35, 7, v35
; %bb.801:                              ;   in Loop: Header=BB440_13 Depth=1
	s_or_b32 exec_lo, exec_lo, s24
	v_lshlrev_b32_e32 v19, 16, v33
	s_delay_alu instid0(VALU_DEP_2) | instskip(SKIP_1) | instid1(VALU_DEP_3)
	v_lshlrev_b32_e32 v35, 20, v35
	v_lshl_add_u32 v36, v81, 23, 0x3c000000
	v_and_b32_e32 v19, 0x80000000, v19
	s_delay_alu instid0(VALU_DEP_1)
	v_or3_b32 v19, v35, v19, v36
.LBB440_802:                            ;   in Loop: Header=BB440_13 Depth=1
	s_or_b32 exec_lo, exec_lo, s23
.LBB440_803:                            ;   in Loop: Header=BB440_13 Depth=1
	s_delay_alu instid0(SALU_CYCLE_1)
	s_or_b32 exec_lo, exec_lo, s22
.LBB440_804:                            ;   in Loop: Header=BB440_13 Depth=1
	s_delay_alu instid0(SALU_CYCLE_1) | instskip(NEXT) | instid1(VALU_DEP_1)
	s_or_b32 exec_lo, exec_lo, s21
	v_mul_f32_e32 v19, v123, v19
                                        ; implicit-def: $vgpr81
	s_delay_alu instid0(VALU_DEP_1) | instskip(NEXT) | instid1(VALU_DEP_1)
	v_and_b32_e32 v35, 0x7f800000, v19
	v_cmp_ne_u32_e64 s1, 0x7f800000, v35
	s_delay_alu instid0(VALU_DEP_1) | instskip(NEXT) | instid1(SALU_CYCLE_1)
	s_and_saveexec_b32 s21, s1
	s_xor_b32 s1, exec_lo, s21
; %bb.805:                              ;   in Loop: Header=BB440_13 Depth=1
	v_bfe_u32 v35, v19, 16, 1
	s_delay_alu instid0(VALU_DEP_1)
	v_add3_u32 v81, v19, v35, 0x7fff
                                        ; implicit-def: $vgpr19
; %bb.806:                              ;   in Loop: Header=BB440_13 Depth=1
	s_and_not1_saveexec_b32 s21, s1
; %bb.807:                              ;   in Loop: Header=BB440_13 Depth=1
	v_and_b32_e32 v35, 0xffff, v19
	v_or_b32_e32 v36, 0x10000, v19
	s_delay_alu instid0(VALU_DEP_2) | instskip(NEXT) | instid1(VALU_DEP_1)
	v_cmp_eq_u32_e64 s1, 0, v35
	v_cndmask_b32_e64 v81, v36, v19, s1
; %bb.808:                              ;   in Loop: Header=BB440_13 Depth=1
	s_or_b32 exec_lo, exec_lo, s21
	v_lshrrev_b32_e32 v82, 16, v33
	v_mov_b32_e32 v19, 0
	s_mov_b32 s21, exec_lo
	s_delay_alu instid0(VALU_DEP_2) | instskip(NEXT) | instid1(VALU_DEP_1)
	v_and_b32_e32 v35, 0xff, v82
	v_cmpx_ne_u16_e32 0, v35
	s_cbranch_execz .LBB440_816
; %bb.809:                              ;   in Loop: Header=BB440_13 Depth=1
	v_bfrev_b32_e32 v19, 1
	s_mov_b32 s22, exec_lo
	v_cmpx_ne_u16_e32 0x80, v35
	s_cbranch_execz .LBB440_815
; %bb.810:                              ;   in Loop: Header=BB440_13 Depth=1
	v_bfe_u32 v35, v33, 16, 7
	v_mov_b32_e32 v19, 0x7f800001
	s_mov_b32 s23, exec_lo
	s_delay_alu instid0(VALU_DEP_2)
	v_cmpx_ne_u32_e32 0x7f, v35
	s_cbranch_execz .LBB440_814
; %bb.811:                              ;   in Loop: Header=BB440_13 Depth=1
	v_and_b32_e32 v19, 7, v82
	v_lshrrev_b32_e32 v83, 3, v35
	v_cmp_gt_u32_e64 s1, 8, v35
	s_delay_alu instid0(VALU_DEP_3) | instskip(NEXT) | instid1(VALU_DEP_2)
	v_dual_mov_b32 v36, v20 :: v_dual_mov_b32 v35, v19
	s_and_saveexec_b32 s24, s1
; %bb.812:                              ;   in Loop: Header=BB440_13 Depth=1
	v_clz_i32_u32_e32 v35, v19
	s_delay_alu instid0(VALU_DEP_1) | instskip(NEXT) | instid1(VALU_DEP_1)
	v_min_u32_e32 v83, 32, v35
	v_subrev_nc_u32_e32 v35, 28, v83
	v_sub_nc_u32_e32 v83, 29, v83
	s_delay_alu instid0(VALU_DEP_2) | instskip(NEXT) | instid1(VALU_DEP_1)
	v_lshlrev_b64 v[35:36], v35, v[19:20]
	v_and_b32_e32 v35, 7, v35
; %bb.813:                              ;   in Loop: Header=BB440_13 Depth=1
	s_or_b32 exec_lo, exec_lo, s24
	v_lshlrev_b32_e32 v19, 24, v82
	s_delay_alu instid0(VALU_DEP_2) | instskip(SKIP_1) | instid1(VALU_DEP_3)
	v_lshlrev_b32_e32 v35, 20, v35
	v_lshl_add_u32 v36, v83, 23, 0x3c000000
	v_and_b32_e32 v19, 0x80000000, v19
	s_delay_alu instid0(VALU_DEP_1)
	v_or3_b32 v19, v35, v19, v36
.LBB440_814:                            ;   in Loop: Header=BB440_13 Depth=1
	s_or_b32 exec_lo, exec_lo, s23
.LBB440_815:                            ;   in Loop: Header=BB440_13 Depth=1
	s_delay_alu instid0(SALU_CYCLE_1)
	s_or_b32 exec_lo, exec_lo, s22
.LBB440_816:                            ;   in Loop: Header=BB440_13 Depth=1
	s_delay_alu instid0(SALU_CYCLE_1) | instskip(NEXT) | instid1(VALU_DEP_1)
	s_or_b32 exec_lo, exec_lo, s21
	v_mul_f32_e32 v19, v123, v19
                                        ; implicit-def: $vgpr82
	s_delay_alu instid0(VALU_DEP_1) | instskip(NEXT) | instid1(VALU_DEP_1)
	v_and_b32_e32 v35, 0x7f800000, v19
	v_cmp_ne_u32_e64 s1, 0x7f800000, v35
	s_delay_alu instid0(VALU_DEP_1) | instskip(NEXT) | instid1(SALU_CYCLE_1)
	s_and_saveexec_b32 s21, s1
	s_xor_b32 s1, exec_lo, s21
; %bb.817:                              ;   in Loop: Header=BB440_13 Depth=1
	v_bfe_u32 v35, v19, 16, 1
	s_delay_alu instid0(VALU_DEP_1)
	v_add3_u32 v82, v19, v35, 0x7fff
                                        ; implicit-def: $vgpr19
; %bb.818:                              ;   in Loop: Header=BB440_13 Depth=1
	s_and_not1_saveexec_b32 s21, s1
; %bb.819:                              ;   in Loop: Header=BB440_13 Depth=1
	v_and_b32_e32 v35, 0xffff, v19
	v_or_b32_e32 v36, 0x10000, v19
	s_delay_alu instid0(VALU_DEP_2) | instskip(NEXT) | instid1(VALU_DEP_1)
	v_cmp_eq_u32_e64 s1, 0, v35
	v_cndmask_b32_e64 v82, v36, v19, s1
; %bb.820:                              ;   in Loop: Header=BB440_13 Depth=1
	s_or_b32 exec_lo, exec_lo, s21
	v_mov_b32_e32 v19, 0
	s_mov_b32 s21, exec_lo
	v_cmpx_lt_u32_e32 0xffffff, v33
	s_cbranch_execz .LBB440_828
; %bb.821:                              ;   in Loop: Header=BB440_13 Depth=1
	v_lshrrev_b32_e32 v83, 24, v33
	v_bfrev_b32_e32 v19, 1
	s_mov_b32 s22, exec_lo
	s_delay_alu instid0(VALU_DEP_2)
	v_cmpx_ne_u32_e32 0x80, v83
	s_cbranch_execz .LBB440_827
; %bb.822:                              ;   in Loop: Header=BB440_13 Depth=1
	v_bfe_u32 v35, v33, 24, 7
	v_mov_b32_e32 v19, 0x7f800001
	s_mov_b32 s23, exec_lo
	s_delay_alu instid0(VALU_DEP_2)
	v_cmpx_ne_u32_e32 0x7f, v35
	s_cbranch_execz .LBB440_826
; %bb.823:                              ;   in Loop: Header=BB440_13 Depth=1
	v_and_b32_e32 v19, 7, v83
	v_lshrrev_b32_e32 v84, 3, v35
	v_cmp_gt_u32_e64 s1, 8, v35
	s_delay_alu instid0(VALU_DEP_3) | instskip(NEXT) | instid1(VALU_DEP_2)
	v_dual_mov_b32 v36, v20 :: v_dual_mov_b32 v35, v19
	s_and_saveexec_b32 s24, s1
; %bb.824:                              ;   in Loop: Header=BB440_13 Depth=1
	v_clz_i32_u32_e32 v35, v19
	s_delay_alu instid0(VALU_DEP_1) | instskip(NEXT) | instid1(VALU_DEP_1)
	v_min_u32_e32 v84, 32, v35
	v_subrev_nc_u32_e32 v35, 28, v84
	v_sub_nc_u32_e32 v84, 29, v84
	s_delay_alu instid0(VALU_DEP_2) | instskip(NEXT) | instid1(VALU_DEP_1)
	v_lshlrev_b64 v[35:36], v35, v[19:20]
	v_and_b32_e32 v35, 7, v35
; %bb.825:                              ;   in Loop: Header=BB440_13 Depth=1
	s_or_b32 exec_lo, exec_lo, s24
	v_lshlrev_b32_e32 v19, 24, v83
	s_delay_alu instid0(VALU_DEP_2) | instskip(SKIP_1) | instid1(VALU_DEP_3)
	v_lshlrev_b32_e32 v35, 20, v35
	v_lshl_add_u32 v36, v84, 23, 0x3c000000
	v_and_b32_e32 v19, 0x80000000, v19
	s_delay_alu instid0(VALU_DEP_1)
	v_or3_b32 v19, v35, v19, v36
.LBB440_826:                            ;   in Loop: Header=BB440_13 Depth=1
	s_or_b32 exec_lo, exec_lo, s23
.LBB440_827:                            ;   in Loop: Header=BB440_13 Depth=1
	s_delay_alu instid0(SALU_CYCLE_1)
	s_or_b32 exec_lo, exec_lo, s22
.LBB440_828:                            ;   in Loop: Header=BB440_13 Depth=1
	s_delay_alu instid0(SALU_CYCLE_1) | instskip(NEXT) | instid1(VALU_DEP_1)
	s_or_b32 exec_lo, exec_lo, s21
	v_mul_f32_e32 v19, v123, v19
                                        ; implicit-def: $vgpr83
	s_delay_alu instid0(VALU_DEP_1) | instskip(NEXT) | instid1(VALU_DEP_1)
	v_and_b32_e32 v35, 0x7f800000, v19
	v_cmp_ne_u32_e64 s1, 0x7f800000, v35
	s_delay_alu instid0(VALU_DEP_1) | instskip(NEXT) | instid1(SALU_CYCLE_1)
	s_and_saveexec_b32 s21, s1
	s_xor_b32 s1, exec_lo, s21
; %bb.829:                              ;   in Loop: Header=BB440_13 Depth=1
	v_bfe_u32 v35, v19, 16, 1
	s_delay_alu instid0(VALU_DEP_1)
	v_add3_u32 v83, v19, v35, 0x7fff
                                        ; implicit-def: $vgpr19
; %bb.830:                              ;   in Loop: Header=BB440_13 Depth=1
	s_and_not1_saveexec_b32 s21, s1
; %bb.831:                              ;   in Loop: Header=BB440_13 Depth=1
	v_and_b32_e32 v35, 0xffff, v19
	v_or_b32_e32 v36, 0x10000, v19
	s_delay_alu instid0(VALU_DEP_2) | instskip(NEXT) | instid1(VALU_DEP_1)
	v_cmp_eq_u32_e64 s1, 0, v35
	v_cndmask_b32_e64 v83, v36, v19, s1
; %bb.832:                              ;   in Loop: Header=BB440_13 Depth=1
	s_or_b32 exec_lo, exec_lo, s21
	v_dual_mov_b32 v19, v34 :: v_dual_and_b32 v36, 0xff, v34
	v_mov_b32_e32 v35, 0
	s_mov_b32 s21, exec_lo
	s_delay_alu instid0(VALU_DEP_2)
	v_cmpx_ne_u16_e32 0, v36
	s_cbranch_execz .LBB440_840
; %bb.833:                              ;   in Loop: Header=BB440_13 Depth=1
	v_bfrev_b32_e32 v35, 1
	s_mov_b32 s22, exec_lo
	v_cmpx_ne_u16_e32 0x80, v36
	s_cbranch_execz .LBB440_839
; %bb.834:                              ;   in Loop: Header=BB440_13 Depth=1
	v_and_b32_e32 v36, 0x7f, v34
	v_mov_b32_e32 v35, 0x7f800001
	s_mov_b32 s23, exec_lo
	s_delay_alu instid0(VALU_DEP_2)
	v_cmpx_ne_u32_e32 0x7f, v36
	s_cbranch_execz .LBB440_838
; %bb.835:                              ;   in Loop: Header=BB440_13 Depth=1
	v_lshrrev_b32_e32 v84, 3, v36
	v_cmp_gt_u32_e64 s1, 8, v36
	v_dual_mov_b32 v36, v20 :: v_dual_mov_b32 v35, v19
	s_delay_alu instid0(VALU_DEP_2)
	s_and_saveexec_b32 s24, s1
; %bb.836:                              ;   in Loop: Header=BB440_13 Depth=1
	v_and_b32_e32 v35, 7, v34
	s_delay_alu instid0(VALU_DEP_1) | instskip(NEXT) | instid1(VALU_DEP_1)
	v_clz_i32_u32_e32 v35, v35
	v_min_u32_e32 v84, 32, v35
	s_delay_alu instid0(VALU_DEP_1) | instskip(SKIP_1) | instid1(VALU_DEP_2)
	v_subrev_nc_u32_e32 v35, 28, v84
	v_sub_nc_u32_e32 v84, 29, v84
	v_lshlrev_b64 v[35:36], v35, v[19:20]
; %bb.837:                              ;   in Loop: Header=BB440_13 Depth=1
	s_or_b32 exec_lo, exec_lo, s24
	s_delay_alu instid0(VALU_DEP_1) | instskip(SKIP_2) | instid1(VALU_DEP_3)
	v_lshlrev_b32_e32 v35, 20, v35
	v_lshlrev_b32_e32 v36, 24, v19
	v_lshl_add_u32 v84, v84, 23, 0x3c000000
	v_and_b32_e32 v35, 0x700000, v35
	s_delay_alu instid0(VALU_DEP_3) | instskip(NEXT) | instid1(VALU_DEP_1)
	v_and_b32_e32 v36, 0x80000000, v36
	v_or3_b32 v35, v35, v36, v84
.LBB440_838:                            ;   in Loop: Header=BB440_13 Depth=1
	s_or_b32 exec_lo, exec_lo, s23
.LBB440_839:                            ;   in Loop: Header=BB440_13 Depth=1
	s_delay_alu instid0(SALU_CYCLE_1)
	s_or_b32 exec_lo, exec_lo, s22
.LBB440_840:                            ;   in Loop: Header=BB440_13 Depth=1
	s_delay_alu instid0(SALU_CYCLE_1) | instskip(NEXT) | instid1(VALU_DEP_1)
	s_or_b32 exec_lo, exec_lo, s21
	v_mul_f32_e32 v35, v123, v35
                                        ; implicit-def: $vgpr84
	s_delay_alu instid0(VALU_DEP_1) | instskip(NEXT) | instid1(VALU_DEP_1)
	v_and_b32_e32 v36, 0x7f800000, v35
	v_cmp_ne_u32_e64 s1, 0x7f800000, v36
	s_delay_alu instid0(VALU_DEP_1) | instskip(NEXT) | instid1(SALU_CYCLE_1)
	s_and_saveexec_b32 s21, s1
	s_xor_b32 s1, exec_lo, s21
; %bb.841:                              ;   in Loop: Header=BB440_13 Depth=1
	v_bfe_u32 v36, v35, 16, 1
	s_delay_alu instid0(VALU_DEP_1)
	v_add3_u32 v84, v35, v36, 0x7fff
                                        ; implicit-def: $vgpr35
; %bb.842:                              ;   in Loop: Header=BB440_13 Depth=1
	s_and_not1_saveexec_b32 s21, s1
; %bb.843:                              ;   in Loop: Header=BB440_13 Depth=1
	v_and_b32_e32 v36, 0xffff, v35
	v_or_b32_e32 v84, 0x10000, v35
	s_delay_alu instid0(VALU_DEP_2) | instskip(NEXT) | instid1(VALU_DEP_1)
	v_cmp_eq_u32_e64 s1, 0, v36
	v_cndmask_b32_e64 v84, v84, v35, s1
; %bb.844:                              ;   in Loop: Header=BB440_13 Depth=1
	s_or_b32 exec_lo, exec_lo, s21
	v_lshrrev_b16 v36, 8, v19
	v_mov_b32_e32 v35, 0
	s_mov_b32 s21, exec_lo
	s_delay_alu instid0(VALU_DEP_2)
	v_cmpx_ne_u16_e32 0, v36
	s_cbranch_execz .LBB440_852
; %bb.845:                              ;   in Loop: Header=BB440_13 Depth=1
	v_bfrev_b32_e32 v35, 1
	s_mov_b32 s22, exec_lo
	v_cmpx_ne_u16_e32 0x80, v36
	s_cbranch_execz .LBB440_851
; %bb.846:                              ;   in Loop: Header=BB440_13 Depth=1
	v_and_b32_e32 v36, 0xffff, v36
	v_mov_b32_e32 v35, 0x7f800001
	s_mov_b32 s23, exec_lo
	s_delay_alu instid0(VALU_DEP_2) | instskip(NEXT) | instid1(VALU_DEP_1)
	v_and_b32_e32 v86, 0x7f, v36
	v_cmpx_ne_u32_e32 0x7f, v86
	s_cbranch_execz .LBB440_850
; %bb.847:                              ;   in Loop: Header=BB440_13 Depth=1
	v_dual_mov_b32 v36, v20 :: v_dual_and_b32 v35, 7, v36
	v_lshrrev_b32_e32 v85, 3, v86
	s_mov_b32 s24, exec_lo
	v_cmpx_gt_u32_e32 8, v86
; %bb.848:                              ;   in Loop: Header=BB440_13 Depth=1
	s_delay_alu instid0(VALU_DEP_3) | instskip(NEXT) | instid1(VALU_DEP_1)
	v_clz_i32_u32_e32 v85, v35
	v_min_u32_e32 v85, 32, v85
	s_delay_alu instid0(VALU_DEP_1) | instskip(SKIP_1) | instid1(VALU_DEP_2)
	v_subrev_nc_u32_e32 v86, 28, v85
	v_sub_nc_u32_e32 v85, 29, v85
	v_lshlrev_b64 v[35:36], v86, v[35:36]
	s_delay_alu instid0(VALU_DEP_1)
	v_and_b32_e32 v35, 7, v35
; %bb.849:                              ;   in Loop: Header=BB440_13 Depth=1
	s_or_b32 exec_lo, exec_lo, s24
	v_lshlrev_b32_e32 v19, 16, v19
	s_delay_alu instid0(VALU_DEP_2) | instskip(SKIP_1) | instid1(VALU_DEP_3)
	v_lshlrev_b32_e32 v35, 20, v35
	v_lshl_add_u32 v36, v85, 23, 0x3c000000
	v_and_b32_e32 v19, 0x80000000, v19
	s_delay_alu instid0(VALU_DEP_1)
	v_or3_b32 v35, v35, v19, v36
.LBB440_850:                            ;   in Loop: Header=BB440_13 Depth=1
	s_or_b32 exec_lo, exec_lo, s23
.LBB440_851:                            ;   in Loop: Header=BB440_13 Depth=1
	s_delay_alu instid0(SALU_CYCLE_1)
	s_or_b32 exec_lo, exec_lo, s22
.LBB440_852:                            ;   in Loop: Header=BB440_13 Depth=1
	s_delay_alu instid0(SALU_CYCLE_1) | instskip(NEXT) | instid1(VALU_DEP_1)
	s_or_b32 exec_lo, exec_lo, s21
	v_mul_f32_e32 v19, v123, v35
                                        ; implicit-def: $vgpr85
	s_delay_alu instid0(VALU_DEP_1) | instskip(NEXT) | instid1(VALU_DEP_1)
	v_and_b32_e32 v35, 0x7f800000, v19
	v_cmp_ne_u32_e64 s1, 0x7f800000, v35
	s_delay_alu instid0(VALU_DEP_1) | instskip(NEXT) | instid1(SALU_CYCLE_1)
	s_and_saveexec_b32 s21, s1
	s_xor_b32 s1, exec_lo, s21
; %bb.853:                              ;   in Loop: Header=BB440_13 Depth=1
	v_bfe_u32 v35, v19, 16, 1
	s_delay_alu instid0(VALU_DEP_1)
	v_add3_u32 v85, v19, v35, 0x7fff
                                        ; implicit-def: $vgpr19
; %bb.854:                              ;   in Loop: Header=BB440_13 Depth=1
	s_and_not1_saveexec_b32 s21, s1
; %bb.855:                              ;   in Loop: Header=BB440_13 Depth=1
	v_and_b32_e32 v35, 0xffff, v19
	v_or_b32_e32 v36, 0x10000, v19
	s_delay_alu instid0(VALU_DEP_2) | instskip(NEXT) | instid1(VALU_DEP_1)
	v_cmp_eq_u32_e64 s1, 0, v35
	v_cndmask_b32_e64 v85, v36, v19, s1
; %bb.856:                              ;   in Loop: Header=BB440_13 Depth=1
	s_or_b32 exec_lo, exec_lo, s21
	v_lshrrev_b32_e32 v86, 16, v34
	v_mov_b32_e32 v19, 0
	s_mov_b32 s21, exec_lo
	s_delay_alu instid0(VALU_DEP_2) | instskip(NEXT) | instid1(VALU_DEP_1)
	v_and_b32_e32 v35, 0xff, v86
	v_cmpx_ne_u16_e32 0, v35
	s_cbranch_execz .LBB440_864
; %bb.857:                              ;   in Loop: Header=BB440_13 Depth=1
	v_bfrev_b32_e32 v19, 1
	s_mov_b32 s22, exec_lo
	v_cmpx_ne_u16_e32 0x80, v35
	s_cbranch_execz .LBB440_863
; %bb.858:                              ;   in Loop: Header=BB440_13 Depth=1
	v_bfe_u32 v35, v34, 16, 7
	v_mov_b32_e32 v19, 0x7f800001
	s_mov_b32 s23, exec_lo
	s_delay_alu instid0(VALU_DEP_2)
	v_cmpx_ne_u32_e32 0x7f, v35
	s_cbranch_execz .LBB440_862
; %bb.859:                              ;   in Loop: Header=BB440_13 Depth=1
	v_and_b32_e32 v19, 7, v86
	v_lshrrev_b32_e32 v87, 3, v35
	v_cmp_gt_u32_e64 s1, 8, v35
	s_delay_alu instid0(VALU_DEP_3) | instskip(NEXT) | instid1(VALU_DEP_2)
	v_dual_mov_b32 v36, v20 :: v_dual_mov_b32 v35, v19
	s_and_saveexec_b32 s24, s1
; %bb.860:                              ;   in Loop: Header=BB440_13 Depth=1
	v_clz_i32_u32_e32 v35, v19
	s_delay_alu instid0(VALU_DEP_1) | instskip(NEXT) | instid1(VALU_DEP_1)
	v_min_u32_e32 v87, 32, v35
	v_subrev_nc_u32_e32 v35, 28, v87
	v_sub_nc_u32_e32 v87, 29, v87
	s_delay_alu instid0(VALU_DEP_2) | instskip(NEXT) | instid1(VALU_DEP_1)
	v_lshlrev_b64 v[35:36], v35, v[19:20]
	v_and_b32_e32 v35, 7, v35
; %bb.861:                              ;   in Loop: Header=BB440_13 Depth=1
	s_or_b32 exec_lo, exec_lo, s24
	v_lshlrev_b32_e32 v19, 24, v86
	s_delay_alu instid0(VALU_DEP_2) | instskip(SKIP_1) | instid1(VALU_DEP_3)
	v_lshlrev_b32_e32 v35, 20, v35
	v_lshl_add_u32 v36, v87, 23, 0x3c000000
	v_and_b32_e32 v19, 0x80000000, v19
	s_delay_alu instid0(VALU_DEP_1)
	v_or3_b32 v19, v35, v19, v36
.LBB440_862:                            ;   in Loop: Header=BB440_13 Depth=1
	s_or_b32 exec_lo, exec_lo, s23
.LBB440_863:                            ;   in Loop: Header=BB440_13 Depth=1
	s_delay_alu instid0(SALU_CYCLE_1)
	s_or_b32 exec_lo, exec_lo, s22
.LBB440_864:                            ;   in Loop: Header=BB440_13 Depth=1
	s_delay_alu instid0(SALU_CYCLE_1) | instskip(NEXT) | instid1(VALU_DEP_1)
	s_or_b32 exec_lo, exec_lo, s21
	v_mul_f32_e32 v19, v123, v19
                                        ; implicit-def: $vgpr86
	s_delay_alu instid0(VALU_DEP_1) | instskip(NEXT) | instid1(VALU_DEP_1)
	v_and_b32_e32 v35, 0x7f800000, v19
	v_cmp_ne_u32_e64 s1, 0x7f800000, v35
	s_delay_alu instid0(VALU_DEP_1) | instskip(NEXT) | instid1(SALU_CYCLE_1)
	s_and_saveexec_b32 s21, s1
	s_xor_b32 s1, exec_lo, s21
; %bb.865:                              ;   in Loop: Header=BB440_13 Depth=1
	v_bfe_u32 v35, v19, 16, 1
	s_delay_alu instid0(VALU_DEP_1)
	v_add3_u32 v86, v19, v35, 0x7fff
                                        ; implicit-def: $vgpr19
; %bb.866:                              ;   in Loop: Header=BB440_13 Depth=1
	s_and_not1_saveexec_b32 s21, s1
; %bb.867:                              ;   in Loop: Header=BB440_13 Depth=1
	v_and_b32_e32 v35, 0xffff, v19
	v_or_b32_e32 v36, 0x10000, v19
	s_delay_alu instid0(VALU_DEP_2) | instskip(NEXT) | instid1(VALU_DEP_1)
	v_cmp_eq_u32_e64 s1, 0, v35
	v_cndmask_b32_e64 v86, v36, v19, s1
; %bb.868:                              ;   in Loop: Header=BB440_13 Depth=1
	s_or_b32 exec_lo, exec_lo, s21
	v_mov_b32_e32 v19, 0
	s_mov_b32 s21, exec_lo
	v_cmpx_lt_u64_e64 s[16:17], v[33:34]
	s_cbranch_execz .LBB440_876
; %bb.869:                              ;   in Loop: Header=BB440_13 Depth=1
	v_lshrrev_b32_e32 v35, 24, v34
	v_bfrev_b32_e32 v19, 1
	s_mov_b32 s22, exec_lo
	s_delay_alu instid0(VALU_DEP_2)
	v_cmpx_ne_u32_e32 0x80, v35
	s_cbranch_execz .LBB440_875
; %bb.870:                              ;   in Loop: Header=BB440_13 Depth=1
	v_bfe_u32 v33, v34, 24, 7
	v_mov_b32_e32 v19, 0x7f800001
	s_mov_b32 s23, exec_lo
	s_delay_alu instid0(VALU_DEP_2)
	v_cmpx_ne_u32_e32 0x7f, v33
	s_cbranch_execz .LBB440_874
; %bb.871:                              ;   in Loop: Header=BB440_13 Depth=1
	v_and_b32_e32 v19, 7, v35
	v_lshrrev_b32_e32 v36, 3, v33
	v_cmp_gt_u32_e64 s1, 8, v33
	s_delay_alu instid0(VALU_DEP_3) | instskip(NEXT) | instid1(VALU_DEP_2)
	v_dual_mov_b32 v34, v20 :: v_dual_mov_b32 v33, v19
	s_and_saveexec_b32 s24, s1
; %bb.872:                              ;   in Loop: Header=BB440_13 Depth=1
	v_clz_i32_u32_e32 v33, v19
	s_delay_alu instid0(VALU_DEP_1) | instskip(NEXT) | instid1(VALU_DEP_1)
	v_min_u32_e32 v36, 32, v33
	v_subrev_nc_u32_e32 v33, 28, v36
	v_sub_nc_u32_e32 v36, 29, v36
	s_delay_alu instid0(VALU_DEP_2) | instskip(NEXT) | instid1(VALU_DEP_1)
	v_lshlrev_b64 v[33:34], v33, v[19:20]
	v_and_b32_e32 v33, 7, v33
; %bb.873:                              ;   in Loop: Header=BB440_13 Depth=1
	s_or_b32 exec_lo, exec_lo, s24
	v_lshlrev_b32_e32 v19, 24, v35
	s_delay_alu instid0(VALU_DEP_2) | instskip(SKIP_1) | instid1(VALU_DEP_3)
	v_lshlrev_b32_e32 v33, 20, v33
	v_lshl_add_u32 v34, v36, 23, 0x3c000000
	v_and_b32_e32 v19, 0x80000000, v19
	s_delay_alu instid0(VALU_DEP_1)
	v_or3_b32 v19, v33, v19, v34
.LBB440_874:                            ;   in Loop: Header=BB440_13 Depth=1
	s_or_b32 exec_lo, exec_lo, s23
.LBB440_875:                            ;   in Loop: Header=BB440_13 Depth=1
	s_delay_alu instid0(SALU_CYCLE_1)
	s_or_b32 exec_lo, exec_lo, s22
.LBB440_876:                            ;   in Loop: Header=BB440_13 Depth=1
	s_delay_alu instid0(SALU_CYCLE_1) | instskip(NEXT) | instid1(VALU_DEP_1)
	s_or_b32 exec_lo, exec_lo, s21
	v_mul_f32_e32 v19, v123, v19
                                        ; implicit-def: $vgpr87
	s_delay_alu instid0(VALU_DEP_1) | instskip(NEXT) | instid1(VALU_DEP_1)
	v_and_b32_e32 v33, 0x7f800000, v19
	v_cmp_ne_u32_e64 s1, 0x7f800000, v33
	s_delay_alu instid0(VALU_DEP_1) | instskip(NEXT) | instid1(SALU_CYCLE_1)
	s_and_saveexec_b32 s21, s1
	s_xor_b32 s1, exec_lo, s21
; %bb.877:                              ;   in Loop: Header=BB440_13 Depth=1
	v_bfe_u32 v33, v19, 16, 1
	s_delay_alu instid0(VALU_DEP_1)
	v_add3_u32 v87, v19, v33, 0x7fff
                                        ; implicit-def: $vgpr19
; %bb.878:                              ;   in Loop: Header=BB440_13 Depth=1
	s_and_not1_saveexec_b32 s21, s1
; %bb.879:                              ;   in Loop: Header=BB440_13 Depth=1
	v_and_b32_e32 v33, 0xffff, v19
	v_or_b32_e32 v34, 0x10000, v19
	s_delay_alu instid0(VALU_DEP_2) | instskip(NEXT) | instid1(VALU_DEP_1)
	v_cmp_eq_u32_e64 s1, 0, v33
	v_cndmask_b32_e64 v87, v34, v19, s1
; %bb.880:                              ;   in Loop: Header=BB440_13 Depth=1
	s_or_b32 exec_lo, exec_lo, s21
	flat_load_b64 v[33:34], v[31:32] offset:2056
	v_mov_b32_e32 v19, 0
	s_mov_b32 s21, exec_lo
	s_waitcnt vmcnt(0) lgkmcnt(0)
	v_and_b32_e32 v35, 0xff, v33
	s_delay_alu instid0(VALU_DEP_1)
	v_cmpx_ne_u16_e32 0, v35
	s_cbranch_execz .LBB440_888
; %bb.881:                              ;   in Loop: Header=BB440_13 Depth=1
	v_bfrev_b32_e32 v19, 1
	s_mov_b32 s22, exec_lo
	v_cmpx_ne_u16_e32 0x80, v35
	s_cbranch_execz .LBB440_887
; %bb.882:                              ;   in Loop: Header=BB440_13 Depth=1
	v_and_b32_e32 v35, 0x7f, v33
	v_mov_b32_e32 v19, 0x7f800001
	s_mov_b32 s23, exec_lo
	s_delay_alu instid0(VALU_DEP_2)
	v_cmpx_ne_u32_e32 0x7f, v35
	s_cbranch_execz .LBB440_886
; %bb.883:                              ;   in Loop: Header=BB440_13 Depth=1
	v_lshrrev_b32_e32 v19, 3, v35
	v_cmp_gt_u32_e64 s1, 8, v35
	v_dual_mov_b32 v36, v34 :: v_dual_mov_b32 v35, v33
	s_delay_alu instid0(VALU_DEP_2)
	s_and_saveexec_b32 s24, s1
; %bb.884:                              ;   in Loop: Header=BB440_13 Depth=1
	v_and_b32_e32 v19, 7, v33
	s_delay_alu instid0(VALU_DEP_1) | instskip(NEXT) | instid1(VALU_DEP_1)
	v_clz_i32_u32_e32 v19, v19
	v_min_u32_e32 v19, 32, v19
	s_delay_alu instid0(VALU_DEP_1) | instskip(SKIP_1) | instid1(VALU_DEP_2)
	v_subrev_nc_u32_e32 v35, 28, v19
	v_sub_nc_u32_e32 v19, 29, v19
	v_lshlrev_b64 v[35:36], v35, v[33:34]
; %bb.885:                              ;   in Loop: Header=BB440_13 Depth=1
	s_or_b32 exec_lo, exec_lo, s24
	s_delay_alu instid0(VALU_DEP_1) | instskip(SKIP_2) | instid1(VALU_DEP_3)
	v_lshlrev_b32_e32 v35, 20, v35
	v_lshlrev_b32_e32 v36, 24, v33
	v_lshl_add_u32 v19, v19, 23, 0x3c000000
	v_and_b32_e32 v35, 0x700000, v35
	s_delay_alu instid0(VALU_DEP_3) | instskip(NEXT) | instid1(VALU_DEP_1)
	v_and_b32_e32 v36, 0x80000000, v36
	v_or3_b32 v19, v35, v36, v19
.LBB440_886:                            ;   in Loop: Header=BB440_13 Depth=1
	s_or_b32 exec_lo, exec_lo, s23
.LBB440_887:                            ;   in Loop: Header=BB440_13 Depth=1
	s_delay_alu instid0(SALU_CYCLE_1)
	s_or_b32 exec_lo, exec_lo, s22
.LBB440_888:                            ;   in Loop: Header=BB440_13 Depth=1
	s_delay_alu instid0(SALU_CYCLE_1) | instskip(NEXT) | instid1(VALU_DEP_1)
	s_or_b32 exec_lo, exec_lo, s21
	v_mul_f32_e32 v19, v123, v19
                                        ; implicit-def: $vgpr96
	s_delay_alu instid0(VALU_DEP_1) | instskip(NEXT) | instid1(VALU_DEP_1)
	v_and_b32_e32 v35, 0x7f800000, v19
	v_cmp_ne_u32_e64 s1, 0x7f800000, v35
	s_delay_alu instid0(VALU_DEP_1) | instskip(NEXT) | instid1(SALU_CYCLE_1)
	s_and_saveexec_b32 s21, s1
	s_xor_b32 s1, exec_lo, s21
; %bb.889:                              ;   in Loop: Header=BB440_13 Depth=1
	v_bfe_u32 v35, v19, 16, 1
	s_delay_alu instid0(VALU_DEP_1)
	v_add3_u32 v96, v19, v35, 0x7fff
                                        ; implicit-def: $vgpr19
; %bb.890:                              ;   in Loop: Header=BB440_13 Depth=1
	s_and_not1_saveexec_b32 s21, s1
; %bb.891:                              ;   in Loop: Header=BB440_13 Depth=1
	v_and_b32_e32 v35, 0xffff, v19
	v_or_b32_e32 v36, 0x10000, v19
	s_delay_alu instid0(VALU_DEP_2) | instskip(NEXT) | instid1(VALU_DEP_1)
	v_cmp_eq_u32_e64 s1, 0, v35
	v_cndmask_b32_e64 v96, v36, v19, s1
; %bb.892:                              ;   in Loop: Header=BB440_13 Depth=1
	s_or_b32 exec_lo, exec_lo, s21
	v_lshrrev_b16 v35, 8, v33
	v_mov_b32_e32 v19, 0
	s_mov_b32 s21, exec_lo
	s_delay_alu instid0(VALU_DEP_2)
	v_cmpx_ne_u16_e32 0, v35
	s_cbranch_execz .LBB440_900
; %bb.893:                              ;   in Loop: Header=BB440_13 Depth=1
	v_bfrev_b32_e32 v19, 1
	s_mov_b32 s22, exec_lo
	v_cmpx_ne_u16_e32 0x80, v35
	s_cbranch_execz .LBB440_899
; %bb.894:                              ;   in Loop: Header=BB440_13 Depth=1
	v_and_b32_e32 v36, 0xffff, v35
	v_mov_b32_e32 v19, 0x7f800001
	s_mov_b32 s23, exec_lo
	s_delay_alu instid0(VALU_DEP_2) | instskip(NEXT) | instid1(VALU_DEP_1)
	v_and_b32_e32 v35, 0x7f, v36
	v_cmpx_ne_u32_e32 0x7f, v35
	s_cbranch_execz .LBB440_898
; %bb.895:                              ;   in Loop: Header=BB440_13 Depth=1
	v_and_b32_e32 v19, 7, v36
	v_lshrrev_b32_e32 v97, 3, v35
	v_cmp_gt_u32_e64 s1, 8, v35
	s_delay_alu instid0(VALU_DEP_3) | instskip(NEXT) | instid1(VALU_DEP_2)
	v_dual_mov_b32 v36, v20 :: v_dual_mov_b32 v35, v19
	s_and_saveexec_b32 s24, s1
; %bb.896:                              ;   in Loop: Header=BB440_13 Depth=1
	v_clz_i32_u32_e32 v35, v19
	s_delay_alu instid0(VALU_DEP_1) | instskip(NEXT) | instid1(VALU_DEP_1)
	v_min_u32_e32 v97, 32, v35
	v_subrev_nc_u32_e32 v35, 28, v97
	v_sub_nc_u32_e32 v97, 29, v97
	s_delay_alu instid0(VALU_DEP_2) | instskip(NEXT) | instid1(VALU_DEP_1)
	v_lshlrev_b64 v[35:36], v35, v[19:20]
	v_and_b32_e32 v35, 7, v35
; %bb.897:                              ;   in Loop: Header=BB440_13 Depth=1
	s_or_b32 exec_lo, exec_lo, s24
	v_lshlrev_b32_e32 v19, 16, v33
	s_delay_alu instid0(VALU_DEP_2) | instskip(SKIP_1) | instid1(VALU_DEP_3)
	v_lshlrev_b32_e32 v35, 20, v35
	v_lshl_add_u32 v36, v97, 23, 0x3c000000
	v_and_b32_e32 v19, 0x80000000, v19
	s_delay_alu instid0(VALU_DEP_1)
	v_or3_b32 v19, v35, v19, v36
.LBB440_898:                            ;   in Loop: Header=BB440_13 Depth=1
	s_or_b32 exec_lo, exec_lo, s23
.LBB440_899:                            ;   in Loop: Header=BB440_13 Depth=1
	s_delay_alu instid0(SALU_CYCLE_1)
	s_or_b32 exec_lo, exec_lo, s22
.LBB440_900:                            ;   in Loop: Header=BB440_13 Depth=1
	s_delay_alu instid0(SALU_CYCLE_1) | instskip(NEXT) | instid1(VALU_DEP_1)
	s_or_b32 exec_lo, exec_lo, s21
	v_mul_f32_e32 v19, v123, v19
                                        ; implicit-def: $vgpr97
	s_delay_alu instid0(VALU_DEP_1) | instskip(NEXT) | instid1(VALU_DEP_1)
	v_and_b32_e32 v35, 0x7f800000, v19
	v_cmp_ne_u32_e64 s1, 0x7f800000, v35
	s_delay_alu instid0(VALU_DEP_1) | instskip(NEXT) | instid1(SALU_CYCLE_1)
	s_and_saveexec_b32 s21, s1
	s_xor_b32 s1, exec_lo, s21
; %bb.901:                              ;   in Loop: Header=BB440_13 Depth=1
	v_bfe_u32 v35, v19, 16, 1
	s_delay_alu instid0(VALU_DEP_1)
	v_add3_u32 v97, v19, v35, 0x7fff
                                        ; implicit-def: $vgpr19
; %bb.902:                              ;   in Loop: Header=BB440_13 Depth=1
	s_and_not1_saveexec_b32 s21, s1
; %bb.903:                              ;   in Loop: Header=BB440_13 Depth=1
	v_and_b32_e32 v35, 0xffff, v19
	v_or_b32_e32 v36, 0x10000, v19
	s_delay_alu instid0(VALU_DEP_2) | instskip(NEXT) | instid1(VALU_DEP_1)
	v_cmp_eq_u32_e64 s1, 0, v35
	v_cndmask_b32_e64 v97, v36, v19, s1
; %bb.904:                              ;   in Loop: Header=BB440_13 Depth=1
	s_or_b32 exec_lo, exec_lo, s21
	v_lshrrev_b32_e32 v98, 16, v33
	v_mov_b32_e32 v19, 0
	s_mov_b32 s21, exec_lo
	s_delay_alu instid0(VALU_DEP_2) | instskip(NEXT) | instid1(VALU_DEP_1)
	v_and_b32_e32 v35, 0xff, v98
	v_cmpx_ne_u16_e32 0, v35
	s_cbranch_execz .LBB440_912
; %bb.905:                              ;   in Loop: Header=BB440_13 Depth=1
	v_bfrev_b32_e32 v19, 1
	s_mov_b32 s22, exec_lo
	v_cmpx_ne_u16_e32 0x80, v35
	s_cbranch_execz .LBB440_911
; %bb.906:                              ;   in Loop: Header=BB440_13 Depth=1
	v_bfe_u32 v35, v33, 16, 7
	v_mov_b32_e32 v19, 0x7f800001
	s_mov_b32 s23, exec_lo
	s_delay_alu instid0(VALU_DEP_2)
	v_cmpx_ne_u32_e32 0x7f, v35
	s_cbranch_execz .LBB440_910
; %bb.907:                              ;   in Loop: Header=BB440_13 Depth=1
	v_and_b32_e32 v19, 7, v98
	v_lshrrev_b32_e32 v99, 3, v35
	v_cmp_gt_u32_e64 s1, 8, v35
	s_delay_alu instid0(VALU_DEP_3) | instskip(NEXT) | instid1(VALU_DEP_2)
	v_dual_mov_b32 v36, v20 :: v_dual_mov_b32 v35, v19
	s_and_saveexec_b32 s24, s1
; %bb.908:                              ;   in Loop: Header=BB440_13 Depth=1
	v_clz_i32_u32_e32 v35, v19
	s_delay_alu instid0(VALU_DEP_1) | instskip(NEXT) | instid1(VALU_DEP_1)
	v_min_u32_e32 v99, 32, v35
	v_subrev_nc_u32_e32 v35, 28, v99
	v_sub_nc_u32_e32 v99, 29, v99
	s_delay_alu instid0(VALU_DEP_2) | instskip(NEXT) | instid1(VALU_DEP_1)
	v_lshlrev_b64 v[35:36], v35, v[19:20]
	v_and_b32_e32 v35, 7, v35
; %bb.909:                              ;   in Loop: Header=BB440_13 Depth=1
	s_or_b32 exec_lo, exec_lo, s24
	v_lshlrev_b32_e32 v19, 24, v98
	s_delay_alu instid0(VALU_DEP_2) | instskip(SKIP_1) | instid1(VALU_DEP_3)
	v_lshlrev_b32_e32 v35, 20, v35
	v_lshl_add_u32 v36, v99, 23, 0x3c000000
	v_and_b32_e32 v19, 0x80000000, v19
	s_delay_alu instid0(VALU_DEP_1)
	v_or3_b32 v19, v35, v19, v36
.LBB440_910:                            ;   in Loop: Header=BB440_13 Depth=1
	s_or_b32 exec_lo, exec_lo, s23
.LBB440_911:                            ;   in Loop: Header=BB440_13 Depth=1
	s_delay_alu instid0(SALU_CYCLE_1)
	s_or_b32 exec_lo, exec_lo, s22
.LBB440_912:                            ;   in Loop: Header=BB440_13 Depth=1
	s_delay_alu instid0(SALU_CYCLE_1) | instskip(NEXT) | instid1(VALU_DEP_1)
	s_or_b32 exec_lo, exec_lo, s21
	v_mul_f32_e32 v19, v123, v19
                                        ; implicit-def: $vgpr98
	s_delay_alu instid0(VALU_DEP_1) | instskip(NEXT) | instid1(VALU_DEP_1)
	v_and_b32_e32 v35, 0x7f800000, v19
	v_cmp_ne_u32_e64 s1, 0x7f800000, v35
	s_delay_alu instid0(VALU_DEP_1) | instskip(NEXT) | instid1(SALU_CYCLE_1)
	s_and_saveexec_b32 s21, s1
	s_xor_b32 s1, exec_lo, s21
; %bb.913:                              ;   in Loop: Header=BB440_13 Depth=1
	v_bfe_u32 v35, v19, 16, 1
	s_delay_alu instid0(VALU_DEP_1)
	v_add3_u32 v98, v19, v35, 0x7fff
                                        ; implicit-def: $vgpr19
; %bb.914:                              ;   in Loop: Header=BB440_13 Depth=1
	s_and_not1_saveexec_b32 s21, s1
; %bb.915:                              ;   in Loop: Header=BB440_13 Depth=1
	v_and_b32_e32 v35, 0xffff, v19
	v_or_b32_e32 v36, 0x10000, v19
	s_delay_alu instid0(VALU_DEP_2) | instskip(NEXT) | instid1(VALU_DEP_1)
	v_cmp_eq_u32_e64 s1, 0, v35
	v_cndmask_b32_e64 v98, v36, v19, s1
; %bb.916:                              ;   in Loop: Header=BB440_13 Depth=1
	s_or_b32 exec_lo, exec_lo, s21
	v_mov_b32_e32 v19, 0
	s_mov_b32 s21, exec_lo
	v_cmpx_lt_u32_e32 0xffffff, v33
	s_cbranch_execz .LBB440_924
; %bb.917:                              ;   in Loop: Header=BB440_13 Depth=1
	v_lshrrev_b32_e32 v99, 24, v33
	v_bfrev_b32_e32 v19, 1
	s_mov_b32 s22, exec_lo
	s_delay_alu instid0(VALU_DEP_2)
	v_cmpx_ne_u32_e32 0x80, v99
	s_cbranch_execz .LBB440_923
; %bb.918:                              ;   in Loop: Header=BB440_13 Depth=1
	v_bfe_u32 v35, v33, 24, 7
	v_mov_b32_e32 v19, 0x7f800001
	s_mov_b32 s23, exec_lo
	s_delay_alu instid0(VALU_DEP_2)
	v_cmpx_ne_u32_e32 0x7f, v35
	s_cbranch_execz .LBB440_922
; %bb.919:                              ;   in Loop: Header=BB440_13 Depth=1
	v_and_b32_e32 v19, 7, v99
	v_lshrrev_b32_e32 v100, 3, v35
	v_cmp_gt_u32_e64 s1, 8, v35
	s_delay_alu instid0(VALU_DEP_3) | instskip(NEXT) | instid1(VALU_DEP_2)
	v_dual_mov_b32 v36, v20 :: v_dual_mov_b32 v35, v19
	s_and_saveexec_b32 s24, s1
; %bb.920:                              ;   in Loop: Header=BB440_13 Depth=1
	v_clz_i32_u32_e32 v35, v19
	s_delay_alu instid0(VALU_DEP_1) | instskip(NEXT) | instid1(VALU_DEP_1)
	v_min_u32_e32 v100, 32, v35
	v_subrev_nc_u32_e32 v35, 28, v100
	v_sub_nc_u32_e32 v100, 29, v100
	s_delay_alu instid0(VALU_DEP_2) | instskip(NEXT) | instid1(VALU_DEP_1)
	v_lshlrev_b64 v[35:36], v35, v[19:20]
	v_and_b32_e32 v35, 7, v35
; %bb.921:                              ;   in Loop: Header=BB440_13 Depth=1
	s_or_b32 exec_lo, exec_lo, s24
	v_lshlrev_b32_e32 v19, 24, v99
	s_delay_alu instid0(VALU_DEP_2) | instskip(SKIP_1) | instid1(VALU_DEP_3)
	v_lshlrev_b32_e32 v35, 20, v35
	v_lshl_add_u32 v36, v100, 23, 0x3c000000
	v_and_b32_e32 v19, 0x80000000, v19
	s_delay_alu instid0(VALU_DEP_1)
	v_or3_b32 v19, v35, v19, v36
.LBB440_922:                            ;   in Loop: Header=BB440_13 Depth=1
	s_or_b32 exec_lo, exec_lo, s23
.LBB440_923:                            ;   in Loop: Header=BB440_13 Depth=1
	s_delay_alu instid0(SALU_CYCLE_1)
	s_or_b32 exec_lo, exec_lo, s22
.LBB440_924:                            ;   in Loop: Header=BB440_13 Depth=1
	s_delay_alu instid0(SALU_CYCLE_1) | instskip(NEXT) | instid1(VALU_DEP_1)
	s_or_b32 exec_lo, exec_lo, s21
	v_mul_f32_e32 v19, v123, v19
                                        ; implicit-def: $vgpr99
	s_delay_alu instid0(VALU_DEP_1) | instskip(NEXT) | instid1(VALU_DEP_1)
	v_and_b32_e32 v35, 0x7f800000, v19
	v_cmp_ne_u32_e64 s1, 0x7f800000, v35
	s_delay_alu instid0(VALU_DEP_1) | instskip(NEXT) | instid1(SALU_CYCLE_1)
	s_and_saveexec_b32 s21, s1
	s_xor_b32 s1, exec_lo, s21
; %bb.925:                              ;   in Loop: Header=BB440_13 Depth=1
	v_bfe_u32 v35, v19, 16, 1
	s_delay_alu instid0(VALU_DEP_1)
	v_add3_u32 v99, v19, v35, 0x7fff
                                        ; implicit-def: $vgpr19
; %bb.926:                              ;   in Loop: Header=BB440_13 Depth=1
	s_and_not1_saveexec_b32 s21, s1
; %bb.927:                              ;   in Loop: Header=BB440_13 Depth=1
	v_and_b32_e32 v35, 0xffff, v19
	v_or_b32_e32 v36, 0x10000, v19
	s_delay_alu instid0(VALU_DEP_2) | instskip(NEXT) | instid1(VALU_DEP_1)
	v_cmp_eq_u32_e64 s1, 0, v35
	v_cndmask_b32_e64 v99, v36, v19, s1
; %bb.928:                              ;   in Loop: Header=BB440_13 Depth=1
	s_or_b32 exec_lo, exec_lo, s21
	v_dual_mov_b32 v19, v34 :: v_dual_and_b32 v36, 0xff, v34
	v_mov_b32_e32 v35, 0
	s_mov_b32 s21, exec_lo
	s_delay_alu instid0(VALU_DEP_2)
	v_cmpx_ne_u16_e32 0, v36
	s_cbranch_execz .LBB440_936
; %bb.929:                              ;   in Loop: Header=BB440_13 Depth=1
	v_bfrev_b32_e32 v35, 1
	s_mov_b32 s22, exec_lo
	v_cmpx_ne_u16_e32 0x80, v36
	s_cbranch_execz .LBB440_935
; %bb.930:                              ;   in Loop: Header=BB440_13 Depth=1
	v_and_b32_e32 v36, 0x7f, v34
	v_mov_b32_e32 v35, 0x7f800001
	s_mov_b32 s23, exec_lo
	s_delay_alu instid0(VALU_DEP_2)
	v_cmpx_ne_u32_e32 0x7f, v36
	s_cbranch_execz .LBB440_934
; %bb.931:                              ;   in Loop: Header=BB440_13 Depth=1
	v_lshrrev_b32_e32 v100, 3, v36
	v_cmp_gt_u32_e64 s1, 8, v36
	v_dual_mov_b32 v36, v20 :: v_dual_mov_b32 v35, v19
	s_delay_alu instid0(VALU_DEP_2)
	s_and_saveexec_b32 s24, s1
; %bb.932:                              ;   in Loop: Header=BB440_13 Depth=1
	v_and_b32_e32 v35, 7, v34
	s_delay_alu instid0(VALU_DEP_1) | instskip(NEXT) | instid1(VALU_DEP_1)
	v_clz_i32_u32_e32 v35, v35
	v_min_u32_e32 v100, 32, v35
	s_delay_alu instid0(VALU_DEP_1) | instskip(SKIP_1) | instid1(VALU_DEP_2)
	v_subrev_nc_u32_e32 v35, 28, v100
	v_sub_nc_u32_e32 v100, 29, v100
	v_lshlrev_b64 v[35:36], v35, v[19:20]
; %bb.933:                              ;   in Loop: Header=BB440_13 Depth=1
	s_or_b32 exec_lo, exec_lo, s24
	s_delay_alu instid0(VALU_DEP_1) | instskip(SKIP_2) | instid1(VALU_DEP_3)
	v_lshlrev_b32_e32 v35, 20, v35
	v_lshlrev_b32_e32 v36, 24, v19
	v_lshl_add_u32 v100, v100, 23, 0x3c000000
	v_and_b32_e32 v35, 0x700000, v35
	s_delay_alu instid0(VALU_DEP_3) | instskip(NEXT) | instid1(VALU_DEP_1)
	v_and_b32_e32 v36, 0x80000000, v36
	v_or3_b32 v35, v35, v36, v100
.LBB440_934:                            ;   in Loop: Header=BB440_13 Depth=1
	s_or_b32 exec_lo, exec_lo, s23
.LBB440_935:                            ;   in Loop: Header=BB440_13 Depth=1
	s_delay_alu instid0(SALU_CYCLE_1)
	s_or_b32 exec_lo, exec_lo, s22
.LBB440_936:                            ;   in Loop: Header=BB440_13 Depth=1
	s_delay_alu instid0(SALU_CYCLE_1) | instskip(NEXT) | instid1(VALU_DEP_1)
	s_or_b32 exec_lo, exec_lo, s21
	v_mul_f32_e32 v35, v123, v35
                                        ; implicit-def: $vgpr100
	s_delay_alu instid0(VALU_DEP_1) | instskip(NEXT) | instid1(VALU_DEP_1)
	v_and_b32_e32 v36, 0x7f800000, v35
	v_cmp_ne_u32_e64 s1, 0x7f800000, v36
	s_delay_alu instid0(VALU_DEP_1) | instskip(NEXT) | instid1(SALU_CYCLE_1)
	s_and_saveexec_b32 s21, s1
	s_xor_b32 s1, exec_lo, s21
; %bb.937:                              ;   in Loop: Header=BB440_13 Depth=1
	v_bfe_u32 v36, v35, 16, 1
	s_delay_alu instid0(VALU_DEP_1)
	v_add3_u32 v100, v35, v36, 0x7fff
                                        ; implicit-def: $vgpr35
; %bb.938:                              ;   in Loop: Header=BB440_13 Depth=1
	s_and_not1_saveexec_b32 s21, s1
; %bb.939:                              ;   in Loop: Header=BB440_13 Depth=1
	v_and_b32_e32 v36, 0xffff, v35
	v_or_b32_e32 v100, 0x10000, v35
	s_delay_alu instid0(VALU_DEP_2) | instskip(NEXT) | instid1(VALU_DEP_1)
	v_cmp_eq_u32_e64 s1, 0, v36
	v_cndmask_b32_e64 v100, v100, v35, s1
; %bb.940:                              ;   in Loop: Header=BB440_13 Depth=1
	s_or_b32 exec_lo, exec_lo, s21
	v_lshrrev_b16 v36, 8, v19
	v_mov_b32_e32 v35, 0
	s_mov_b32 s21, exec_lo
	s_delay_alu instid0(VALU_DEP_2)
	v_cmpx_ne_u16_e32 0, v36
	s_cbranch_execz .LBB440_948
; %bb.941:                              ;   in Loop: Header=BB440_13 Depth=1
	v_bfrev_b32_e32 v35, 1
	s_mov_b32 s22, exec_lo
	v_cmpx_ne_u16_e32 0x80, v36
	s_cbranch_execz .LBB440_947
; %bb.942:                              ;   in Loop: Header=BB440_13 Depth=1
	v_and_b32_e32 v36, 0xffff, v36
	v_mov_b32_e32 v35, 0x7f800001
	s_mov_b32 s23, exec_lo
	s_delay_alu instid0(VALU_DEP_2) | instskip(NEXT) | instid1(VALU_DEP_1)
	v_and_b32_e32 v102, 0x7f, v36
	v_cmpx_ne_u32_e32 0x7f, v102
	s_cbranch_execz .LBB440_946
; %bb.943:                              ;   in Loop: Header=BB440_13 Depth=1
	v_dual_mov_b32 v36, v20 :: v_dual_and_b32 v35, 7, v36
	v_lshrrev_b32_e32 v101, 3, v102
	s_mov_b32 s24, exec_lo
	v_cmpx_gt_u32_e32 8, v102
; %bb.944:                              ;   in Loop: Header=BB440_13 Depth=1
	s_delay_alu instid0(VALU_DEP_3) | instskip(NEXT) | instid1(VALU_DEP_1)
	v_clz_i32_u32_e32 v101, v35
	v_min_u32_e32 v101, 32, v101
	s_delay_alu instid0(VALU_DEP_1) | instskip(SKIP_1) | instid1(VALU_DEP_2)
	v_subrev_nc_u32_e32 v102, 28, v101
	v_sub_nc_u32_e32 v101, 29, v101
	v_lshlrev_b64 v[35:36], v102, v[35:36]
	s_delay_alu instid0(VALU_DEP_1)
	v_and_b32_e32 v35, 7, v35
; %bb.945:                              ;   in Loop: Header=BB440_13 Depth=1
	s_or_b32 exec_lo, exec_lo, s24
	v_lshlrev_b32_e32 v19, 16, v19
	s_delay_alu instid0(VALU_DEP_2) | instskip(SKIP_1) | instid1(VALU_DEP_3)
	v_lshlrev_b32_e32 v35, 20, v35
	v_lshl_add_u32 v36, v101, 23, 0x3c000000
	v_and_b32_e32 v19, 0x80000000, v19
	s_delay_alu instid0(VALU_DEP_1)
	v_or3_b32 v35, v35, v19, v36
.LBB440_946:                            ;   in Loop: Header=BB440_13 Depth=1
	s_or_b32 exec_lo, exec_lo, s23
.LBB440_947:                            ;   in Loop: Header=BB440_13 Depth=1
	s_delay_alu instid0(SALU_CYCLE_1)
	s_or_b32 exec_lo, exec_lo, s22
.LBB440_948:                            ;   in Loop: Header=BB440_13 Depth=1
	s_delay_alu instid0(SALU_CYCLE_1) | instskip(NEXT) | instid1(VALU_DEP_1)
	s_or_b32 exec_lo, exec_lo, s21
	v_mul_f32_e32 v19, v123, v35
                                        ; implicit-def: $vgpr101
	s_delay_alu instid0(VALU_DEP_1) | instskip(NEXT) | instid1(VALU_DEP_1)
	v_and_b32_e32 v35, 0x7f800000, v19
	v_cmp_ne_u32_e64 s1, 0x7f800000, v35
	s_delay_alu instid0(VALU_DEP_1) | instskip(NEXT) | instid1(SALU_CYCLE_1)
	s_and_saveexec_b32 s21, s1
	s_xor_b32 s1, exec_lo, s21
; %bb.949:                              ;   in Loop: Header=BB440_13 Depth=1
	v_bfe_u32 v35, v19, 16, 1
	s_delay_alu instid0(VALU_DEP_1)
	v_add3_u32 v101, v19, v35, 0x7fff
                                        ; implicit-def: $vgpr19
; %bb.950:                              ;   in Loop: Header=BB440_13 Depth=1
	s_and_not1_saveexec_b32 s21, s1
; %bb.951:                              ;   in Loop: Header=BB440_13 Depth=1
	v_and_b32_e32 v35, 0xffff, v19
	v_or_b32_e32 v36, 0x10000, v19
	s_delay_alu instid0(VALU_DEP_2) | instskip(NEXT) | instid1(VALU_DEP_1)
	v_cmp_eq_u32_e64 s1, 0, v35
	v_cndmask_b32_e64 v101, v36, v19, s1
; %bb.952:                              ;   in Loop: Header=BB440_13 Depth=1
	s_or_b32 exec_lo, exec_lo, s21
	v_lshrrev_b32_e32 v102, 16, v34
	v_mov_b32_e32 v19, 0
	s_mov_b32 s21, exec_lo
	s_delay_alu instid0(VALU_DEP_2) | instskip(NEXT) | instid1(VALU_DEP_1)
	v_and_b32_e32 v35, 0xff, v102
	v_cmpx_ne_u16_e32 0, v35
	s_cbranch_execz .LBB440_960
; %bb.953:                              ;   in Loop: Header=BB440_13 Depth=1
	v_bfrev_b32_e32 v19, 1
	s_mov_b32 s22, exec_lo
	v_cmpx_ne_u16_e32 0x80, v35
	s_cbranch_execz .LBB440_959
; %bb.954:                              ;   in Loop: Header=BB440_13 Depth=1
	v_bfe_u32 v35, v34, 16, 7
	v_mov_b32_e32 v19, 0x7f800001
	s_mov_b32 s23, exec_lo
	s_delay_alu instid0(VALU_DEP_2)
	v_cmpx_ne_u32_e32 0x7f, v35
	s_cbranch_execz .LBB440_958
; %bb.955:                              ;   in Loop: Header=BB440_13 Depth=1
	v_and_b32_e32 v19, 7, v102
	v_lshrrev_b32_e32 v103, 3, v35
	v_cmp_gt_u32_e64 s1, 8, v35
	s_delay_alu instid0(VALU_DEP_3) | instskip(NEXT) | instid1(VALU_DEP_2)
	v_dual_mov_b32 v36, v20 :: v_dual_mov_b32 v35, v19
	s_and_saveexec_b32 s24, s1
; %bb.956:                              ;   in Loop: Header=BB440_13 Depth=1
	v_clz_i32_u32_e32 v35, v19
	s_delay_alu instid0(VALU_DEP_1) | instskip(NEXT) | instid1(VALU_DEP_1)
	v_min_u32_e32 v103, 32, v35
	v_subrev_nc_u32_e32 v35, 28, v103
	v_sub_nc_u32_e32 v103, 29, v103
	s_delay_alu instid0(VALU_DEP_2) | instskip(NEXT) | instid1(VALU_DEP_1)
	v_lshlrev_b64 v[35:36], v35, v[19:20]
	v_and_b32_e32 v35, 7, v35
; %bb.957:                              ;   in Loop: Header=BB440_13 Depth=1
	s_or_b32 exec_lo, exec_lo, s24
	v_lshlrev_b32_e32 v19, 24, v102
	s_delay_alu instid0(VALU_DEP_2) | instskip(SKIP_1) | instid1(VALU_DEP_3)
	v_lshlrev_b32_e32 v35, 20, v35
	v_lshl_add_u32 v36, v103, 23, 0x3c000000
	v_and_b32_e32 v19, 0x80000000, v19
	s_delay_alu instid0(VALU_DEP_1)
	v_or3_b32 v19, v35, v19, v36
.LBB440_958:                            ;   in Loop: Header=BB440_13 Depth=1
	s_or_b32 exec_lo, exec_lo, s23
.LBB440_959:                            ;   in Loop: Header=BB440_13 Depth=1
	s_delay_alu instid0(SALU_CYCLE_1)
	s_or_b32 exec_lo, exec_lo, s22
.LBB440_960:                            ;   in Loop: Header=BB440_13 Depth=1
	s_delay_alu instid0(SALU_CYCLE_1) | instskip(NEXT) | instid1(VALU_DEP_1)
	s_or_b32 exec_lo, exec_lo, s21
	v_mul_f32_e32 v19, v123, v19
                                        ; implicit-def: $vgpr102
	s_delay_alu instid0(VALU_DEP_1) | instskip(NEXT) | instid1(VALU_DEP_1)
	v_and_b32_e32 v35, 0x7f800000, v19
	v_cmp_ne_u32_e64 s1, 0x7f800000, v35
	s_delay_alu instid0(VALU_DEP_1) | instskip(NEXT) | instid1(SALU_CYCLE_1)
	s_and_saveexec_b32 s21, s1
	s_xor_b32 s1, exec_lo, s21
; %bb.961:                              ;   in Loop: Header=BB440_13 Depth=1
	v_bfe_u32 v35, v19, 16, 1
	s_delay_alu instid0(VALU_DEP_1)
	v_add3_u32 v102, v19, v35, 0x7fff
                                        ; implicit-def: $vgpr19
; %bb.962:                              ;   in Loop: Header=BB440_13 Depth=1
	s_and_not1_saveexec_b32 s21, s1
; %bb.963:                              ;   in Loop: Header=BB440_13 Depth=1
	v_and_b32_e32 v35, 0xffff, v19
	v_or_b32_e32 v36, 0x10000, v19
	s_delay_alu instid0(VALU_DEP_2) | instskip(NEXT) | instid1(VALU_DEP_1)
	v_cmp_eq_u32_e64 s1, 0, v35
	v_cndmask_b32_e64 v102, v36, v19, s1
; %bb.964:                              ;   in Loop: Header=BB440_13 Depth=1
	s_or_b32 exec_lo, exec_lo, s21
	v_mov_b32_e32 v19, 0
	s_mov_b32 s21, exec_lo
	v_cmpx_lt_u64_e64 s[16:17], v[33:34]
	s_cbranch_execz .LBB440_972
; %bb.965:                              ;   in Loop: Header=BB440_13 Depth=1
	v_lshrrev_b32_e32 v35, 24, v34
	v_bfrev_b32_e32 v19, 1
	s_mov_b32 s22, exec_lo
	s_delay_alu instid0(VALU_DEP_2)
	v_cmpx_ne_u32_e32 0x80, v35
	s_cbranch_execz .LBB440_971
; %bb.966:                              ;   in Loop: Header=BB440_13 Depth=1
	v_bfe_u32 v33, v34, 24, 7
	v_mov_b32_e32 v19, 0x7f800001
	s_mov_b32 s23, exec_lo
	s_delay_alu instid0(VALU_DEP_2)
	v_cmpx_ne_u32_e32 0x7f, v33
	s_cbranch_execz .LBB440_970
; %bb.967:                              ;   in Loop: Header=BB440_13 Depth=1
	v_and_b32_e32 v19, 7, v35
	v_lshrrev_b32_e32 v36, 3, v33
	v_cmp_gt_u32_e64 s1, 8, v33
	s_delay_alu instid0(VALU_DEP_3) | instskip(NEXT) | instid1(VALU_DEP_2)
	v_dual_mov_b32 v34, v20 :: v_dual_mov_b32 v33, v19
	s_and_saveexec_b32 s24, s1
; %bb.968:                              ;   in Loop: Header=BB440_13 Depth=1
	v_clz_i32_u32_e32 v33, v19
	s_delay_alu instid0(VALU_DEP_1) | instskip(NEXT) | instid1(VALU_DEP_1)
	v_min_u32_e32 v36, 32, v33
	v_subrev_nc_u32_e32 v33, 28, v36
	v_sub_nc_u32_e32 v36, 29, v36
	s_delay_alu instid0(VALU_DEP_2) | instskip(NEXT) | instid1(VALU_DEP_1)
	v_lshlrev_b64 v[33:34], v33, v[19:20]
	v_and_b32_e32 v33, 7, v33
; %bb.969:                              ;   in Loop: Header=BB440_13 Depth=1
	s_or_b32 exec_lo, exec_lo, s24
	v_lshlrev_b32_e32 v19, 24, v35
	s_delay_alu instid0(VALU_DEP_2) | instskip(SKIP_1) | instid1(VALU_DEP_3)
	v_lshlrev_b32_e32 v33, 20, v33
	v_lshl_add_u32 v34, v36, 23, 0x3c000000
	v_and_b32_e32 v19, 0x80000000, v19
	s_delay_alu instid0(VALU_DEP_1)
	v_or3_b32 v19, v33, v19, v34
.LBB440_970:                            ;   in Loop: Header=BB440_13 Depth=1
	s_or_b32 exec_lo, exec_lo, s23
.LBB440_971:                            ;   in Loop: Header=BB440_13 Depth=1
	s_delay_alu instid0(SALU_CYCLE_1)
	s_or_b32 exec_lo, exec_lo, s22
.LBB440_972:                            ;   in Loop: Header=BB440_13 Depth=1
	s_delay_alu instid0(SALU_CYCLE_1) | instskip(NEXT) | instid1(VALU_DEP_1)
	s_or_b32 exec_lo, exec_lo, s21
	v_mul_f32_e32 v19, v123, v19
                                        ; implicit-def: $vgpr103
	s_delay_alu instid0(VALU_DEP_1) | instskip(NEXT) | instid1(VALU_DEP_1)
	v_and_b32_e32 v33, 0x7f800000, v19
	v_cmp_ne_u32_e64 s1, 0x7f800000, v33
	s_delay_alu instid0(VALU_DEP_1) | instskip(NEXT) | instid1(SALU_CYCLE_1)
	s_and_saveexec_b32 s21, s1
	s_xor_b32 s1, exec_lo, s21
; %bb.973:                              ;   in Loop: Header=BB440_13 Depth=1
	v_bfe_u32 v33, v19, 16, 1
	s_delay_alu instid0(VALU_DEP_1)
	v_add3_u32 v103, v19, v33, 0x7fff
                                        ; implicit-def: $vgpr19
; %bb.974:                              ;   in Loop: Header=BB440_13 Depth=1
	s_and_not1_saveexec_b32 s21, s1
; %bb.975:                              ;   in Loop: Header=BB440_13 Depth=1
	v_and_b32_e32 v33, 0xffff, v19
	v_or_b32_e32 v34, 0x10000, v19
	s_delay_alu instid0(VALU_DEP_2) | instskip(NEXT) | instid1(VALU_DEP_1)
	v_cmp_eq_u32_e64 s1, 0, v33
	v_cndmask_b32_e64 v103, v34, v19, s1
; %bb.976:                              ;   in Loop: Header=BB440_13 Depth=1
	s_or_b32 exec_lo, exec_lo, s21
	flat_load_b64 v[33:34], v[31:32] offset:2560
	v_mov_b32_e32 v19, 0
	s_mov_b32 s21, exec_lo
	s_waitcnt vmcnt(0) lgkmcnt(0)
	v_and_b32_e32 v35, 0xff, v33
	s_delay_alu instid0(VALU_DEP_1)
	v_cmpx_ne_u16_e32 0, v35
	s_cbranch_execz .LBB440_984
; %bb.977:                              ;   in Loop: Header=BB440_13 Depth=1
	v_bfrev_b32_e32 v19, 1
	s_mov_b32 s22, exec_lo
	v_cmpx_ne_u16_e32 0x80, v35
	s_cbranch_execz .LBB440_983
; %bb.978:                              ;   in Loop: Header=BB440_13 Depth=1
	v_and_b32_e32 v35, 0x7f, v33
	v_mov_b32_e32 v19, 0x7f800001
	s_mov_b32 s23, exec_lo
	s_delay_alu instid0(VALU_DEP_2)
	v_cmpx_ne_u32_e32 0x7f, v35
	s_cbranch_execz .LBB440_982
; %bb.979:                              ;   in Loop: Header=BB440_13 Depth=1
	v_lshrrev_b32_e32 v19, 3, v35
	v_cmp_gt_u32_e64 s1, 8, v35
	v_dual_mov_b32 v36, v34 :: v_dual_mov_b32 v35, v33
	s_delay_alu instid0(VALU_DEP_2)
	s_and_saveexec_b32 s24, s1
; %bb.980:                              ;   in Loop: Header=BB440_13 Depth=1
	v_and_b32_e32 v19, 7, v33
	s_delay_alu instid0(VALU_DEP_1) | instskip(NEXT) | instid1(VALU_DEP_1)
	v_clz_i32_u32_e32 v19, v19
	v_min_u32_e32 v19, 32, v19
	s_delay_alu instid0(VALU_DEP_1) | instskip(SKIP_1) | instid1(VALU_DEP_2)
	v_subrev_nc_u32_e32 v35, 28, v19
	v_sub_nc_u32_e32 v19, 29, v19
	v_lshlrev_b64 v[35:36], v35, v[33:34]
; %bb.981:                              ;   in Loop: Header=BB440_13 Depth=1
	s_or_b32 exec_lo, exec_lo, s24
	s_delay_alu instid0(VALU_DEP_1) | instskip(SKIP_2) | instid1(VALU_DEP_3)
	v_lshlrev_b32_e32 v35, 20, v35
	v_lshlrev_b32_e32 v36, 24, v33
	v_lshl_add_u32 v19, v19, 23, 0x3c000000
	v_and_b32_e32 v35, 0x700000, v35
	s_delay_alu instid0(VALU_DEP_3) | instskip(NEXT) | instid1(VALU_DEP_1)
	v_and_b32_e32 v36, 0x80000000, v36
	v_or3_b32 v19, v35, v36, v19
.LBB440_982:                            ;   in Loop: Header=BB440_13 Depth=1
	s_or_b32 exec_lo, exec_lo, s23
.LBB440_983:                            ;   in Loop: Header=BB440_13 Depth=1
	s_delay_alu instid0(SALU_CYCLE_1)
	s_or_b32 exec_lo, exec_lo, s22
.LBB440_984:                            ;   in Loop: Header=BB440_13 Depth=1
	s_delay_alu instid0(SALU_CYCLE_1) | instskip(NEXT) | instid1(VALU_DEP_1)
	s_or_b32 exec_lo, exec_lo, s21
	v_mul_f32_e32 v19, v123, v19
                                        ; implicit-def: $vgpr112
	s_delay_alu instid0(VALU_DEP_1) | instskip(NEXT) | instid1(VALU_DEP_1)
	v_and_b32_e32 v35, 0x7f800000, v19
	v_cmp_ne_u32_e64 s1, 0x7f800000, v35
	s_delay_alu instid0(VALU_DEP_1) | instskip(NEXT) | instid1(SALU_CYCLE_1)
	s_and_saveexec_b32 s21, s1
	s_xor_b32 s1, exec_lo, s21
; %bb.985:                              ;   in Loop: Header=BB440_13 Depth=1
	v_bfe_u32 v35, v19, 16, 1
	s_delay_alu instid0(VALU_DEP_1)
	v_add3_u32 v112, v19, v35, 0x7fff
                                        ; implicit-def: $vgpr19
; %bb.986:                              ;   in Loop: Header=BB440_13 Depth=1
	s_and_not1_saveexec_b32 s21, s1
; %bb.987:                              ;   in Loop: Header=BB440_13 Depth=1
	v_and_b32_e32 v35, 0xffff, v19
	v_or_b32_e32 v36, 0x10000, v19
	s_delay_alu instid0(VALU_DEP_2) | instskip(NEXT) | instid1(VALU_DEP_1)
	v_cmp_eq_u32_e64 s1, 0, v35
	v_cndmask_b32_e64 v112, v36, v19, s1
; %bb.988:                              ;   in Loop: Header=BB440_13 Depth=1
	s_or_b32 exec_lo, exec_lo, s21
	v_lshrrev_b16 v35, 8, v33
	v_mov_b32_e32 v19, 0
	s_mov_b32 s21, exec_lo
	s_delay_alu instid0(VALU_DEP_2)
	v_cmpx_ne_u16_e32 0, v35
	s_cbranch_execz .LBB440_996
; %bb.989:                              ;   in Loop: Header=BB440_13 Depth=1
	v_bfrev_b32_e32 v19, 1
	s_mov_b32 s22, exec_lo
	v_cmpx_ne_u16_e32 0x80, v35
	s_cbranch_execz .LBB440_995
; %bb.990:                              ;   in Loop: Header=BB440_13 Depth=1
	v_and_b32_e32 v36, 0xffff, v35
	v_mov_b32_e32 v19, 0x7f800001
	s_mov_b32 s23, exec_lo
	s_delay_alu instid0(VALU_DEP_2) | instskip(NEXT) | instid1(VALU_DEP_1)
	v_and_b32_e32 v35, 0x7f, v36
	v_cmpx_ne_u32_e32 0x7f, v35
	s_cbranch_execz .LBB440_994
; %bb.991:                              ;   in Loop: Header=BB440_13 Depth=1
	v_and_b32_e32 v19, 7, v36
	v_lshrrev_b32_e32 v113, 3, v35
	v_cmp_gt_u32_e64 s1, 8, v35
	s_delay_alu instid0(VALU_DEP_3) | instskip(NEXT) | instid1(VALU_DEP_2)
	v_dual_mov_b32 v36, v20 :: v_dual_mov_b32 v35, v19
	s_and_saveexec_b32 s24, s1
; %bb.992:                              ;   in Loop: Header=BB440_13 Depth=1
	v_clz_i32_u32_e32 v35, v19
	s_delay_alu instid0(VALU_DEP_1) | instskip(NEXT) | instid1(VALU_DEP_1)
	v_min_u32_e32 v113, 32, v35
	v_subrev_nc_u32_e32 v35, 28, v113
	v_sub_nc_u32_e32 v113, 29, v113
	s_delay_alu instid0(VALU_DEP_2) | instskip(NEXT) | instid1(VALU_DEP_1)
	v_lshlrev_b64 v[35:36], v35, v[19:20]
	v_and_b32_e32 v35, 7, v35
; %bb.993:                              ;   in Loop: Header=BB440_13 Depth=1
	s_or_b32 exec_lo, exec_lo, s24
	v_lshlrev_b32_e32 v19, 16, v33
	s_delay_alu instid0(VALU_DEP_2) | instskip(SKIP_1) | instid1(VALU_DEP_3)
	v_lshlrev_b32_e32 v35, 20, v35
	v_lshl_add_u32 v36, v113, 23, 0x3c000000
	v_and_b32_e32 v19, 0x80000000, v19
	s_delay_alu instid0(VALU_DEP_1)
	v_or3_b32 v19, v35, v19, v36
.LBB440_994:                            ;   in Loop: Header=BB440_13 Depth=1
	s_or_b32 exec_lo, exec_lo, s23
.LBB440_995:                            ;   in Loop: Header=BB440_13 Depth=1
	s_delay_alu instid0(SALU_CYCLE_1)
	s_or_b32 exec_lo, exec_lo, s22
.LBB440_996:                            ;   in Loop: Header=BB440_13 Depth=1
	s_delay_alu instid0(SALU_CYCLE_1) | instskip(NEXT) | instid1(VALU_DEP_1)
	s_or_b32 exec_lo, exec_lo, s21
	v_mul_f32_e32 v19, v123, v19
                                        ; implicit-def: $vgpr113
	s_delay_alu instid0(VALU_DEP_1) | instskip(NEXT) | instid1(VALU_DEP_1)
	v_and_b32_e32 v35, 0x7f800000, v19
	v_cmp_ne_u32_e64 s1, 0x7f800000, v35
	s_delay_alu instid0(VALU_DEP_1) | instskip(NEXT) | instid1(SALU_CYCLE_1)
	s_and_saveexec_b32 s21, s1
	s_xor_b32 s1, exec_lo, s21
; %bb.997:                              ;   in Loop: Header=BB440_13 Depth=1
	v_bfe_u32 v35, v19, 16, 1
	s_delay_alu instid0(VALU_DEP_1)
	v_add3_u32 v113, v19, v35, 0x7fff
                                        ; implicit-def: $vgpr19
; %bb.998:                              ;   in Loop: Header=BB440_13 Depth=1
	s_and_not1_saveexec_b32 s21, s1
; %bb.999:                              ;   in Loop: Header=BB440_13 Depth=1
	v_and_b32_e32 v35, 0xffff, v19
	v_or_b32_e32 v36, 0x10000, v19
	s_delay_alu instid0(VALU_DEP_2) | instskip(NEXT) | instid1(VALU_DEP_1)
	v_cmp_eq_u32_e64 s1, 0, v35
	v_cndmask_b32_e64 v113, v36, v19, s1
; %bb.1000:                             ;   in Loop: Header=BB440_13 Depth=1
	s_or_b32 exec_lo, exec_lo, s21
	v_lshrrev_b32_e32 v114, 16, v33
	v_mov_b32_e32 v19, 0
	s_mov_b32 s21, exec_lo
	s_delay_alu instid0(VALU_DEP_2) | instskip(NEXT) | instid1(VALU_DEP_1)
	v_and_b32_e32 v35, 0xff, v114
	v_cmpx_ne_u16_e32 0, v35
	s_cbranch_execz .LBB440_1008
; %bb.1001:                             ;   in Loop: Header=BB440_13 Depth=1
	v_bfrev_b32_e32 v19, 1
	s_mov_b32 s22, exec_lo
	v_cmpx_ne_u16_e32 0x80, v35
	s_cbranch_execz .LBB440_1007
; %bb.1002:                             ;   in Loop: Header=BB440_13 Depth=1
	v_bfe_u32 v35, v33, 16, 7
	v_mov_b32_e32 v19, 0x7f800001
	s_mov_b32 s23, exec_lo
	s_delay_alu instid0(VALU_DEP_2)
	v_cmpx_ne_u32_e32 0x7f, v35
	s_cbranch_execz .LBB440_1006
; %bb.1003:                             ;   in Loop: Header=BB440_13 Depth=1
	v_and_b32_e32 v19, 7, v114
	v_lshrrev_b32_e32 v115, 3, v35
	v_cmp_gt_u32_e64 s1, 8, v35
	s_delay_alu instid0(VALU_DEP_3) | instskip(NEXT) | instid1(VALU_DEP_2)
	v_dual_mov_b32 v36, v20 :: v_dual_mov_b32 v35, v19
	s_and_saveexec_b32 s24, s1
; %bb.1004:                             ;   in Loop: Header=BB440_13 Depth=1
	v_clz_i32_u32_e32 v35, v19
	s_delay_alu instid0(VALU_DEP_1) | instskip(NEXT) | instid1(VALU_DEP_1)
	v_min_u32_e32 v115, 32, v35
	v_subrev_nc_u32_e32 v35, 28, v115
	v_sub_nc_u32_e32 v115, 29, v115
	s_delay_alu instid0(VALU_DEP_2) | instskip(NEXT) | instid1(VALU_DEP_1)
	v_lshlrev_b64 v[35:36], v35, v[19:20]
	v_and_b32_e32 v35, 7, v35
; %bb.1005:                             ;   in Loop: Header=BB440_13 Depth=1
	s_or_b32 exec_lo, exec_lo, s24
	v_lshlrev_b32_e32 v19, 24, v114
	s_delay_alu instid0(VALU_DEP_2) | instskip(SKIP_1) | instid1(VALU_DEP_3)
	v_lshlrev_b32_e32 v35, 20, v35
	v_lshl_add_u32 v36, v115, 23, 0x3c000000
	v_and_b32_e32 v19, 0x80000000, v19
	s_delay_alu instid0(VALU_DEP_1)
	v_or3_b32 v19, v35, v19, v36
.LBB440_1006:                           ;   in Loop: Header=BB440_13 Depth=1
	s_or_b32 exec_lo, exec_lo, s23
.LBB440_1007:                           ;   in Loop: Header=BB440_13 Depth=1
	s_delay_alu instid0(SALU_CYCLE_1)
	s_or_b32 exec_lo, exec_lo, s22
.LBB440_1008:                           ;   in Loop: Header=BB440_13 Depth=1
	s_delay_alu instid0(SALU_CYCLE_1) | instskip(NEXT) | instid1(VALU_DEP_1)
	s_or_b32 exec_lo, exec_lo, s21
	v_mul_f32_e32 v19, v123, v19
                                        ; implicit-def: $vgpr114
	s_delay_alu instid0(VALU_DEP_1) | instskip(NEXT) | instid1(VALU_DEP_1)
	v_and_b32_e32 v35, 0x7f800000, v19
	v_cmp_ne_u32_e64 s1, 0x7f800000, v35
	s_delay_alu instid0(VALU_DEP_1) | instskip(NEXT) | instid1(SALU_CYCLE_1)
	s_and_saveexec_b32 s21, s1
	s_xor_b32 s1, exec_lo, s21
; %bb.1009:                             ;   in Loop: Header=BB440_13 Depth=1
	v_bfe_u32 v35, v19, 16, 1
	s_delay_alu instid0(VALU_DEP_1)
	v_add3_u32 v114, v19, v35, 0x7fff
                                        ; implicit-def: $vgpr19
; %bb.1010:                             ;   in Loop: Header=BB440_13 Depth=1
	s_and_not1_saveexec_b32 s21, s1
; %bb.1011:                             ;   in Loop: Header=BB440_13 Depth=1
	v_and_b32_e32 v35, 0xffff, v19
	v_or_b32_e32 v36, 0x10000, v19
	s_delay_alu instid0(VALU_DEP_2) | instskip(NEXT) | instid1(VALU_DEP_1)
	v_cmp_eq_u32_e64 s1, 0, v35
	v_cndmask_b32_e64 v114, v36, v19, s1
; %bb.1012:                             ;   in Loop: Header=BB440_13 Depth=1
	s_or_b32 exec_lo, exec_lo, s21
	v_mov_b32_e32 v19, 0
	s_mov_b32 s21, exec_lo
	v_cmpx_lt_u32_e32 0xffffff, v33
	s_cbranch_execz .LBB440_1020
; %bb.1013:                             ;   in Loop: Header=BB440_13 Depth=1
	v_lshrrev_b32_e32 v115, 24, v33
	v_bfrev_b32_e32 v19, 1
	s_mov_b32 s22, exec_lo
	s_delay_alu instid0(VALU_DEP_2)
	v_cmpx_ne_u32_e32 0x80, v115
	s_cbranch_execz .LBB440_1019
; %bb.1014:                             ;   in Loop: Header=BB440_13 Depth=1
	v_bfe_u32 v35, v33, 24, 7
	v_mov_b32_e32 v19, 0x7f800001
	s_mov_b32 s23, exec_lo
	s_delay_alu instid0(VALU_DEP_2)
	v_cmpx_ne_u32_e32 0x7f, v35
	s_cbranch_execz .LBB440_1018
; %bb.1015:                             ;   in Loop: Header=BB440_13 Depth=1
	v_and_b32_e32 v19, 7, v115
	v_lshrrev_b32_e32 v116, 3, v35
	v_cmp_gt_u32_e64 s1, 8, v35
	s_delay_alu instid0(VALU_DEP_3) | instskip(NEXT) | instid1(VALU_DEP_2)
	v_dual_mov_b32 v36, v20 :: v_dual_mov_b32 v35, v19
	s_and_saveexec_b32 s24, s1
; %bb.1016:                             ;   in Loop: Header=BB440_13 Depth=1
	v_clz_i32_u32_e32 v35, v19
	s_delay_alu instid0(VALU_DEP_1) | instskip(NEXT) | instid1(VALU_DEP_1)
	v_min_u32_e32 v116, 32, v35
	v_subrev_nc_u32_e32 v35, 28, v116
	v_sub_nc_u32_e32 v116, 29, v116
	s_delay_alu instid0(VALU_DEP_2) | instskip(NEXT) | instid1(VALU_DEP_1)
	v_lshlrev_b64 v[35:36], v35, v[19:20]
	v_and_b32_e32 v35, 7, v35
; %bb.1017:                             ;   in Loop: Header=BB440_13 Depth=1
	s_or_b32 exec_lo, exec_lo, s24
	v_lshlrev_b32_e32 v19, 24, v115
	s_delay_alu instid0(VALU_DEP_2) | instskip(SKIP_1) | instid1(VALU_DEP_3)
	v_lshlrev_b32_e32 v35, 20, v35
	v_lshl_add_u32 v36, v116, 23, 0x3c000000
	v_and_b32_e32 v19, 0x80000000, v19
	s_delay_alu instid0(VALU_DEP_1)
	v_or3_b32 v19, v35, v19, v36
.LBB440_1018:                           ;   in Loop: Header=BB440_13 Depth=1
	s_or_b32 exec_lo, exec_lo, s23
.LBB440_1019:                           ;   in Loop: Header=BB440_13 Depth=1
	s_delay_alu instid0(SALU_CYCLE_1)
	s_or_b32 exec_lo, exec_lo, s22
.LBB440_1020:                           ;   in Loop: Header=BB440_13 Depth=1
	s_delay_alu instid0(SALU_CYCLE_1) | instskip(NEXT) | instid1(VALU_DEP_1)
	s_or_b32 exec_lo, exec_lo, s21
	v_mul_f32_e32 v19, v123, v19
                                        ; implicit-def: $vgpr115
	s_delay_alu instid0(VALU_DEP_1) | instskip(NEXT) | instid1(VALU_DEP_1)
	v_and_b32_e32 v35, 0x7f800000, v19
	v_cmp_ne_u32_e64 s1, 0x7f800000, v35
	s_delay_alu instid0(VALU_DEP_1) | instskip(NEXT) | instid1(SALU_CYCLE_1)
	s_and_saveexec_b32 s21, s1
	s_xor_b32 s1, exec_lo, s21
; %bb.1021:                             ;   in Loop: Header=BB440_13 Depth=1
	v_bfe_u32 v35, v19, 16, 1
	s_delay_alu instid0(VALU_DEP_1)
	v_add3_u32 v115, v19, v35, 0x7fff
                                        ; implicit-def: $vgpr19
; %bb.1022:                             ;   in Loop: Header=BB440_13 Depth=1
	s_and_not1_saveexec_b32 s21, s1
; %bb.1023:                             ;   in Loop: Header=BB440_13 Depth=1
	v_and_b32_e32 v35, 0xffff, v19
	v_or_b32_e32 v36, 0x10000, v19
	s_delay_alu instid0(VALU_DEP_2) | instskip(NEXT) | instid1(VALU_DEP_1)
	v_cmp_eq_u32_e64 s1, 0, v35
	v_cndmask_b32_e64 v115, v36, v19, s1
; %bb.1024:                             ;   in Loop: Header=BB440_13 Depth=1
	s_or_b32 exec_lo, exec_lo, s21
	v_dual_mov_b32 v19, v34 :: v_dual_and_b32 v36, 0xff, v34
	v_mov_b32_e32 v35, 0
	s_mov_b32 s21, exec_lo
	s_delay_alu instid0(VALU_DEP_2)
	v_cmpx_ne_u16_e32 0, v36
	s_cbranch_execz .LBB440_1032
; %bb.1025:                             ;   in Loop: Header=BB440_13 Depth=1
	v_bfrev_b32_e32 v35, 1
	s_mov_b32 s22, exec_lo
	v_cmpx_ne_u16_e32 0x80, v36
	s_cbranch_execz .LBB440_1031
; %bb.1026:                             ;   in Loop: Header=BB440_13 Depth=1
	v_and_b32_e32 v36, 0x7f, v34
	v_mov_b32_e32 v35, 0x7f800001
	s_mov_b32 s23, exec_lo
	s_delay_alu instid0(VALU_DEP_2)
	v_cmpx_ne_u32_e32 0x7f, v36
	s_cbranch_execz .LBB440_1030
; %bb.1027:                             ;   in Loop: Header=BB440_13 Depth=1
	v_lshrrev_b32_e32 v116, 3, v36
	v_cmp_gt_u32_e64 s1, 8, v36
	v_dual_mov_b32 v36, v20 :: v_dual_mov_b32 v35, v19
	s_delay_alu instid0(VALU_DEP_2)
	s_and_saveexec_b32 s24, s1
; %bb.1028:                             ;   in Loop: Header=BB440_13 Depth=1
	v_and_b32_e32 v35, 7, v34
	s_delay_alu instid0(VALU_DEP_1) | instskip(NEXT) | instid1(VALU_DEP_1)
	v_clz_i32_u32_e32 v35, v35
	v_min_u32_e32 v116, 32, v35
	s_delay_alu instid0(VALU_DEP_1) | instskip(SKIP_1) | instid1(VALU_DEP_2)
	v_subrev_nc_u32_e32 v35, 28, v116
	v_sub_nc_u32_e32 v116, 29, v116
	v_lshlrev_b64 v[35:36], v35, v[19:20]
; %bb.1029:                             ;   in Loop: Header=BB440_13 Depth=1
	s_or_b32 exec_lo, exec_lo, s24
	s_delay_alu instid0(VALU_DEP_1) | instskip(SKIP_2) | instid1(VALU_DEP_3)
	v_lshlrev_b32_e32 v35, 20, v35
	v_lshlrev_b32_e32 v36, 24, v19
	v_lshl_add_u32 v116, v116, 23, 0x3c000000
	v_and_b32_e32 v35, 0x700000, v35
	s_delay_alu instid0(VALU_DEP_3) | instskip(NEXT) | instid1(VALU_DEP_1)
	v_and_b32_e32 v36, 0x80000000, v36
	v_or3_b32 v35, v35, v36, v116
.LBB440_1030:                           ;   in Loop: Header=BB440_13 Depth=1
	s_or_b32 exec_lo, exec_lo, s23
.LBB440_1031:                           ;   in Loop: Header=BB440_13 Depth=1
	s_delay_alu instid0(SALU_CYCLE_1)
	s_or_b32 exec_lo, exec_lo, s22
.LBB440_1032:                           ;   in Loop: Header=BB440_13 Depth=1
	s_delay_alu instid0(SALU_CYCLE_1) | instskip(NEXT) | instid1(VALU_DEP_1)
	s_or_b32 exec_lo, exec_lo, s21
	v_mul_f32_e32 v35, v123, v35
                                        ; implicit-def: $vgpr116
	s_delay_alu instid0(VALU_DEP_1) | instskip(NEXT) | instid1(VALU_DEP_1)
	v_and_b32_e32 v36, 0x7f800000, v35
	v_cmp_ne_u32_e64 s1, 0x7f800000, v36
	s_delay_alu instid0(VALU_DEP_1) | instskip(NEXT) | instid1(SALU_CYCLE_1)
	s_and_saveexec_b32 s21, s1
	s_xor_b32 s1, exec_lo, s21
; %bb.1033:                             ;   in Loop: Header=BB440_13 Depth=1
	v_bfe_u32 v36, v35, 16, 1
	s_delay_alu instid0(VALU_DEP_1)
	v_add3_u32 v116, v35, v36, 0x7fff
                                        ; implicit-def: $vgpr35
; %bb.1034:                             ;   in Loop: Header=BB440_13 Depth=1
	s_and_not1_saveexec_b32 s21, s1
; %bb.1035:                             ;   in Loop: Header=BB440_13 Depth=1
	v_and_b32_e32 v36, 0xffff, v35
	v_or_b32_e32 v116, 0x10000, v35
	s_delay_alu instid0(VALU_DEP_2) | instskip(NEXT) | instid1(VALU_DEP_1)
	v_cmp_eq_u32_e64 s1, 0, v36
	v_cndmask_b32_e64 v116, v116, v35, s1
; %bb.1036:                             ;   in Loop: Header=BB440_13 Depth=1
	s_or_b32 exec_lo, exec_lo, s21
	v_lshrrev_b16 v36, 8, v19
	v_mov_b32_e32 v35, 0
	s_mov_b32 s21, exec_lo
	s_delay_alu instid0(VALU_DEP_2)
	v_cmpx_ne_u16_e32 0, v36
	s_cbranch_execz .LBB440_1044
; %bb.1037:                             ;   in Loop: Header=BB440_13 Depth=1
	v_bfrev_b32_e32 v35, 1
	s_mov_b32 s22, exec_lo
	v_cmpx_ne_u16_e32 0x80, v36
	s_cbranch_execz .LBB440_1043
; %bb.1038:                             ;   in Loop: Header=BB440_13 Depth=1
	v_and_b32_e32 v36, 0xffff, v36
	v_mov_b32_e32 v35, 0x7f800001
	s_mov_b32 s23, exec_lo
	s_delay_alu instid0(VALU_DEP_2) | instskip(NEXT) | instid1(VALU_DEP_1)
	v_and_b32_e32 v118, 0x7f, v36
	v_cmpx_ne_u32_e32 0x7f, v118
	s_cbranch_execz .LBB440_1042
; %bb.1039:                             ;   in Loop: Header=BB440_13 Depth=1
	v_dual_mov_b32 v36, v20 :: v_dual_and_b32 v35, 7, v36
	v_lshrrev_b32_e32 v117, 3, v118
	s_mov_b32 s24, exec_lo
	v_cmpx_gt_u32_e32 8, v118
; %bb.1040:                             ;   in Loop: Header=BB440_13 Depth=1
	s_delay_alu instid0(VALU_DEP_3) | instskip(NEXT) | instid1(VALU_DEP_1)
	v_clz_i32_u32_e32 v117, v35
	v_min_u32_e32 v117, 32, v117
	s_delay_alu instid0(VALU_DEP_1) | instskip(SKIP_1) | instid1(VALU_DEP_2)
	v_subrev_nc_u32_e32 v118, 28, v117
	v_sub_nc_u32_e32 v117, 29, v117
	v_lshlrev_b64 v[35:36], v118, v[35:36]
	s_delay_alu instid0(VALU_DEP_1)
	v_and_b32_e32 v35, 7, v35
; %bb.1041:                             ;   in Loop: Header=BB440_13 Depth=1
	s_or_b32 exec_lo, exec_lo, s24
	v_lshlrev_b32_e32 v19, 16, v19
	s_delay_alu instid0(VALU_DEP_2) | instskip(SKIP_1) | instid1(VALU_DEP_3)
	v_lshlrev_b32_e32 v35, 20, v35
	v_lshl_add_u32 v36, v117, 23, 0x3c000000
	v_and_b32_e32 v19, 0x80000000, v19
	s_delay_alu instid0(VALU_DEP_1)
	v_or3_b32 v35, v35, v19, v36
.LBB440_1042:                           ;   in Loop: Header=BB440_13 Depth=1
	s_or_b32 exec_lo, exec_lo, s23
.LBB440_1043:                           ;   in Loop: Header=BB440_13 Depth=1
	s_delay_alu instid0(SALU_CYCLE_1)
	s_or_b32 exec_lo, exec_lo, s22
.LBB440_1044:                           ;   in Loop: Header=BB440_13 Depth=1
	s_delay_alu instid0(SALU_CYCLE_1) | instskip(NEXT) | instid1(VALU_DEP_1)
	s_or_b32 exec_lo, exec_lo, s21
	v_mul_f32_e32 v19, v123, v35
                                        ; implicit-def: $vgpr117
	s_delay_alu instid0(VALU_DEP_1) | instskip(NEXT) | instid1(VALU_DEP_1)
	v_and_b32_e32 v35, 0x7f800000, v19
	v_cmp_ne_u32_e64 s1, 0x7f800000, v35
	s_delay_alu instid0(VALU_DEP_1) | instskip(NEXT) | instid1(SALU_CYCLE_1)
	s_and_saveexec_b32 s21, s1
	s_xor_b32 s1, exec_lo, s21
; %bb.1045:                             ;   in Loop: Header=BB440_13 Depth=1
	v_bfe_u32 v35, v19, 16, 1
	s_delay_alu instid0(VALU_DEP_1)
	v_add3_u32 v117, v19, v35, 0x7fff
                                        ; implicit-def: $vgpr19
; %bb.1046:                             ;   in Loop: Header=BB440_13 Depth=1
	s_and_not1_saveexec_b32 s21, s1
; %bb.1047:                             ;   in Loop: Header=BB440_13 Depth=1
	v_and_b32_e32 v35, 0xffff, v19
	v_or_b32_e32 v36, 0x10000, v19
	s_delay_alu instid0(VALU_DEP_2) | instskip(NEXT) | instid1(VALU_DEP_1)
	v_cmp_eq_u32_e64 s1, 0, v35
	v_cndmask_b32_e64 v117, v36, v19, s1
; %bb.1048:                             ;   in Loop: Header=BB440_13 Depth=1
	s_or_b32 exec_lo, exec_lo, s21
	v_lshrrev_b32_e32 v118, 16, v34
	v_mov_b32_e32 v19, 0
	s_mov_b32 s21, exec_lo
	s_delay_alu instid0(VALU_DEP_2) | instskip(NEXT) | instid1(VALU_DEP_1)
	v_and_b32_e32 v35, 0xff, v118
	v_cmpx_ne_u16_e32 0, v35
	s_cbranch_execz .LBB440_1056
; %bb.1049:                             ;   in Loop: Header=BB440_13 Depth=1
	v_bfrev_b32_e32 v19, 1
	s_mov_b32 s22, exec_lo
	v_cmpx_ne_u16_e32 0x80, v35
	s_cbranch_execz .LBB440_1055
; %bb.1050:                             ;   in Loop: Header=BB440_13 Depth=1
	v_bfe_u32 v35, v34, 16, 7
	v_mov_b32_e32 v19, 0x7f800001
	s_mov_b32 s23, exec_lo
	s_delay_alu instid0(VALU_DEP_2)
	v_cmpx_ne_u32_e32 0x7f, v35
	s_cbranch_execz .LBB440_1054
; %bb.1051:                             ;   in Loop: Header=BB440_13 Depth=1
	v_and_b32_e32 v19, 7, v118
	v_lshrrev_b32_e32 v119, 3, v35
	v_cmp_gt_u32_e64 s1, 8, v35
	s_delay_alu instid0(VALU_DEP_3) | instskip(NEXT) | instid1(VALU_DEP_2)
	v_dual_mov_b32 v36, v20 :: v_dual_mov_b32 v35, v19
	s_and_saveexec_b32 s24, s1
; %bb.1052:                             ;   in Loop: Header=BB440_13 Depth=1
	v_clz_i32_u32_e32 v35, v19
	s_delay_alu instid0(VALU_DEP_1) | instskip(NEXT) | instid1(VALU_DEP_1)
	v_min_u32_e32 v119, 32, v35
	v_subrev_nc_u32_e32 v35, 28, v119
	v_sub_nc_u32_e32 v119, 29, v119
	s_delay_alu instid0(VALU_DEP_2) | instskip(NEXT) | instid1(VALU_DEP_1)
	v_lshlrev_b64 v[35:36], v35, v[19:20]
	v_and_b32_e32 v35, 7, v35
; %bb.1053:                             ;   in Loop: Header=BB440_13 Depth=1
	s_or_b32 exec_lo, exec_lo, s24
	v_lshlrev_b32_e32 v19, 24, v118
	s_delay_alu instid0(VALU_DEP_2) | instskip(SKIP_1) | instid1(VALU_DEP_3)
	v_lshlrev_b32_e32 v35, 20, v35
	v_lshl_add_u32 v36, v119, 23, 0x3c000000
	v_and_b32_e32 v19, 0x80000000, v19
	s_delay_alu instid0(VALU_DEP_1)
	v_or3_b32 v19, v35, v19, v36
.LBB440_1054:                           ;   in Loop: Header=BB440_13 Depth=1
	s_or_b32 exec_lo, exec_lo, s23
.LBB440_1055:                           ;   in Loop: Header=BB440_13 Depth=1
	s_delay_alu instid0(SALU_CYCLE_1)
	s_or_b32 exec_lo, exec_lo, s22
.LBB440_1056:                           ;   in Loop: Header=BB440_13 Depth=1
	s_delay_alu instid0(SALU_CYCLE_1) | instskip(NEXT) | instid1(VALU_DEP_1)
	s_or_b32 exec_lo, exec_lo, s21
	v_mul_f32_e32 v19, v123, v19
	s_delay_alu instid0(VALU_DEP_1) | instskip(NEXT) | instid1(VALU_DEP_1)
	v_and_b32_e32 v35, 0x7f800000, v19
	v_cmp_ne_u32_e64 s1, 0x7f800000, v35
                                        ; implicit-def: $vgpr35
	s_delay_alu instid0(VALU_DEP_1) | instskip(NEXT) | instid1(SALU_CYCLE_1)
	s_and_saveexec_b32 s21, s1
	s_xor_b32 s1, exec_lo, s21
; %bb.1057:                             ;   in Loop: Header=BB440_13 Depth=1
	v_bfe_u32 v35, v19, 16, 1
	s_delay_alu instid0(VALU_DEP_1)
	v_add3_u32 v35, v19, v35, 0x7fff
                                        ; implicit-def: $vgpr19
; %bb.1058:                             ;   in Loop: Header=BB440_13 Depth=1
	s_and_not1_saveexec_b32 s21, s1
; %bb.1059:                             ;   in Loop: Header=BB440_13 Depth=1
	v_and_b32_e32 v35, 0xffff, v19
	v_or_b32_e32 v36, 0x10000, v19
	s_delay_alu instid0(VALU_DEP_2) | instskip(NEXT) | instid1(VALU_DEP_1)
	v_cmp_eq_u32_e64 s1, 0, v35
	v_cndmask_b32_e64 v35, v36, v19, s1
; %bb.1060:                             ;   in Loop: Header=BB440_13 Depth=1
	s_or_b32 exec_lo, exec_lo, s21
	v_mov_b32_e32 v19, 0
	s_mov_b32 s21, exec_lo
	v_cmpx_lt_u64_e64 s[16:17], v[33:34]
	s_cbranch_execz .LBB440_1068
; %bb.1061:                             ;   in Loop: Header=BB440_13 Depth=1
	v_lshrrev_b32_e32 v36, 24, v34
	v_bfrev_b32_e32 v19, 1
	s_mov_b32 s22, exec_lo
	s_delay_alu instid0(VALU_DEP_2)
	v_cmpx_ne_u32_e32 0x80, v36
	s_cbranch_execz .LBB440_1067
; %bb.1062:                             ;   in Loop: Header=BB440_13 Depth=1
	v_bfe_u32 v33, v34, 24, 7
	v_mov_b32_e32 v19, 0x7f800001
	s_mov_b32 s23, exec_lo
	s_delay_alu instid0(VALU_DEP_2)
	v_cmpx_ne_u32_e32 0x7f, v33
	s_cbranch_execz .LBB440_1066
; %bb.1063:                             ;   in Loop: Header=BB440_13 Depth=1
	v_and_b32_e32 v19, 7, v36
	v_lshrrev_b32_e32 v118, 3, v33
	v_cmp_gt_u32_e64 s1, 8, v33
	s_delay_alu instid0(VALU_DEP_3) | instskip(NEXT) | instid1(VALU_DEP_2)
	v_dual_mov_b32 v34, v20 :: v_dual_mov_b32 v33, v19
	s_and_saveexec_b32 s24, s1
; %bb.1064:                             ;   in Loop: Header=BB440_13 Depth=1
	v_clz_i32_u32_e32 v33, v19
	s_delay_alu instid0(VALU_DEP_1) | instskip(NEXT) | instid1(VALU_DEP_1)
	v_min_u32_e32 v118, 32, v33
	v_subrev_nc_u32_e32 v33, 28, v118
	v_sub_nc_u32_e32 v118, 29, v118
	s_delay_alu instid0(VALU_DEP_2) | instskip(NEXT) | instid1(VALU_DEP_1)
	v_lshlrev_b64 v[33:34], v33, v[19:20]
	v_and_b32_e32 v33, 7, v33
; %bb.1065:                             ;   in Loop: Header=BB440_13 Depth=1
	s_or_b32 exec_lo, exec_lo, s24
	v_lshlrev_b32_e32 v19, 24, v36
	s_delay_alu instid0(VALU_DEP_2) | instskip(SKIP_1) | instid1(VALU_DEP_3)
	v_lshlrev_b32_e32 v33, 20, v33
	v_lshl_add_u32 v34, v118, 23, 0x3c000000
	v_and_b32_e32 v19, 0x80000000, v19
	s_delay_alu instid0(VALU_DEP_1)
	v_or3_b32 v19, v33, v19, v34
.LBB440_1066:                           ;   in Loop: Header=BB440_13 Depth=1
	s_or_b32 exec_lo, exec_lo, s23
.LBB440_1067:                           ;   in Loop: Header=BB440_13 Depth=1
	s_delay_alu instid0(SALU_CYCLE_1)
	s_or_b32 exec_lo, exec_lo, s22
.LBB440_1068:                           ;   in Loop: Header=BB440_13 Depth=1
	s_delay_alu instid0(SALU_CYCLE_1) | instskip(NEXT) | instid1(VALU_DEP_1)
	s_or_b32 exec_lo, exec_lo, s21
	v_mul_f32_e32 v19, v123, v19
                                        ; implicit-def: $vgpr36
	s_delay_alu instid0(VALU_DEP_1) | instskip(NEXT) | instid1(VALU_DEP_1)
	v_and_b32_e32 v33, 0x7f800000, v19
	v_cmp_ne_u32_e64 s1, 0x7f800000, v33
	s_delay_alu instid0(VALU_DEP_1) | instskip(NEXT) | instid1(SALU_CYCLE_1)
	s_and_saveexec_b32 s21, s1
	s_xor_b32 s1, exec_lo, s21
; %bb.1069:                             ;   in Loop: Header=BB440_13 Depth=1
	v_bfe_u32 v33, v19, 16, 1
	s_delay_alu instid0(VALU_DEP_1)
	v_add3_u32 v36, v19, v33, 0x7fff
                                        ; implicit-def: $vgpr19
; %bb.1070:                             ;   in Loop: Header=BB440_13 Depth=1
	s_and_not1_saveexec_b32 s21, s1
; %bb.1071:                             ;   in Loop: Header=BB440_13 Depth=1
	v_and_b32_e32 v33, 0xffff, v19
	v_or_b32_e32 v34, 0x10000, v19
	s_delay_alu instid0(VALU_DEP_2) | instskip(NEXT) | instid1(VALU_DEP_1)
	v_cmp_eq_u32_e64 s1, 0, v33
	v_cndmask_b32_e64 v36, v34, v19, s1
; %bb.1072:                             ;   in Loop: Header=BB440_13 Depth=1
	s_or_b32 exec_lo, exec_lo, s21
	flat_load_b64 v[31:32], v[31:32] offset:2568
	v_mov_b32_e32 v19, 0
	s_mov_b32 s21, exec_lo
	s_waitcnt vmcnt(0) lgkmcnt(0)
	v_and_b32_e32 v33, 0xff, v31
	s_delay_alu instid0(VALU_DEP_1)
	v_cmpx_ne_u16_e32 0, v33
	s_cbranch_execz .LBB440_1080
; %bb.1073:                             ;   in Loop: Header=BB440_13 Depth=1
	v_bfrev_b32_e32 v19, 1
	s_mov_b32 s22, exec_lo
	v_cmpx_ne_u16_e32 0x80, v33
	s_cbranch_execz .LBB440_1079
; %bb.1074:                             ;   in Loop: Header=BB440_13 Depth=1
	v_and_b32_e32 v33, 0x7f, v31
	v_mov_b32_e32 v19, 0x7f800001
	s_mov_b32 s23, exec_lo
	s_delay_alu instid0(VALU_DEP_2)
	v_cmpx_ne_u32_e32 0x7f, v33
	s_cbranch_execz .LBB440_1078
; %bb.1075:                             ;   in Loop: Header=BB440_13 Depth=1
	v_lshrrev_b32_e32 v19, 3, v33
	v_cmp_gt_u32_e64 s1, 8, v33
	v_dual_mov_b32 v34, v32 :: v_dual_mov_b32 v33, v31
	s_delay_alu instid0(VALU_DEP_2)
	s_and_saveexec_b32 s24, s1
; %bb.1076:                             ;   in Loop: Header=BB440_13 Depth=1
	v_and_b32_e32 v19, 7, v31
	s_delay_alu instid0(VALU_DEP_1) | instskip(NEXT) | instid1(VALU_DEP_1)
	v_clz_i32_u32_e32 v19, v19
	v_min_u32_e32 v19, 32, v19
	s_delay_alu instid0(VALU_DEP_1) | instskip(SKIP_1) | instid1(VALU_DEP_2)
	v_subrev_nc_u32_e32 v33, 28, v19
	v_sub_nc_u32_e32 v19, 29, v19
	v_lshlrev_b64 v[33:34], v33, v[31:32]
; %bb.1077:                             ;   in Loop: Header=BB440_13 Depth=1
	s_or_b32 exec_lo, exec_lo, s24
	s_delay_alu instid0(VALU_DEP_1) | instskip(SKIP_2) | instid1(VALU_DEP_3)
	v_lshlrev_b32_e32 v33, 20, v33
	v_lshlrev_b32_e32 v34, 24, v31
	v_lshl_add_u32 v19, v19, 23, 0x3c000000
	v_and_b32_e32 v33, 0x700000, v33
	s_delay_alu instid0(VALU_DEP_3) | instskip(NEXT) | instid1(VALU_DEP_1)
	v_and_b32_e32 v34, 0x80000000, v34
	v_or3_b32 v19, v33, v34, v19
.LBB440_1078:                           ;   in Loop: Header=BB440_13 Depth=1
	s_or_b32 exec_lo, exec_lo, s23
.LBB440_1079:                           ;   in Loop: Header=BB440_13 Depth=1
	s_delay_alu instid0(SALU_CYCLE_1)
	s_or_b32 exec_lo, exec_lo, s22
.LBB440_1080:                           ;   in Loop: Header=BB440_13 Depth=1
	s_delay_alu instid0(SALU_CYCLE_1) | instskip(NEXT) | instid1(VALU_DEP_1)
	s_or_b32 exec_lo, exec_lo, s21
	v_mul_f32_e32 v19, v123, v19
                                        ; implicit-def: $vgpr118
	s_delay_alu instid0(VALU_DEP_1) | instskip(NEXT) | instid1(VALU_DEP_1)
	v_and_b32_e32 v33, 0x7f800000, v19
	v_cmp_ne_u32_e64 s1, 0x7f800000, v33
	s_delay_alu instid0(VALU_DEP_1) | instskip(NEXT) | instid1(SALU_CYCLE_1)
	s_and_saveexec_b32 s21, s1
	s_xor_b32 s1, exec_lo, s21
; %bb.1081:                             ;   in Loop: Header=BB440_13 Depth=1
	v_bfe_u32 v33, v19, 16, 1
	s_delay_alu instid0(VALU_DEP_1)
	v_add3_u32 v118, v19, v33, 0x7fff
                                        ; implicit-def: $vgpr19
; %bb.1082:                             ;   in Loop: Header=BB440_13 Depth=1
	s_and_not1_saveexec_b32 s21, s1
; %bb.1083:                             ;   in Loop: Header=BB440_13 Depth=1
	v_and_b32_e32 v33, 0xffff, v19
	v_or_b32_e32 v34, 0x10000, v19
	s_delay_alu instid0(VALU_DEP_2) | instskip(NEXT) | instid1(VALU_DEP_1)
	v_cmp_eq_u32_e64 s1, 0, v33
	v_cndmask_b32_e64 v118, v34, v19, s1
; %bb.1084:                             ;   in Loop: Header=BB440_13 Depth=1
	s_or_b32 exec_lo, exec_lo, s21
	v_lshrrev_b16 v33, 8, v31
	v_mov_b32_e32 v19, 0
	s_mov_b32 s21, exec_lo
	s_delay_alu instid0(VALU_DEP_2)
	v_cmpx_ne_u16_e32 0, v33
	s_cbranch_execz .LBB440_1092
; %bb.1085:                             ;   in Loop: Header=BB440_13 Depth=1
	v_bfrev_b32_e32 v19, 1
	s_mov_b32 s22, exec_lo
	v_cmpx_ne_u16_e32 0x80, v33
	s_cbranch_execz .LBB440_1091
; %bb.1086:                             ;   in Loop: Header=BB440_13 Depth=1
	v_and_b32_e32 v34, 0xffff, v33
	v_mov_b32_e32 v19, 0x7f800001
	s_mov_b32 s23, exec_lo
	s_delay_alu instid0(VALU_DEP_2) | instskip(NEXT) | instid1(VALU_DEP_1)
	v_and_b32_e32 v33, 0x7f, v34
	v_cmpx_ne_u32_e32 0x7f, v33
	s_cbranch_execz .LBB440_1090
; %bb.1087:                             ;   in Loop: Header=BB440_13 Depth=1
	v_and_b32_e32 v19, 7, v34
	v_lshrrev_b32_e32 v119, 3, v33
	v_cmp_gt_u32_e64 s1, 8, v33
	s_delay_alu instid0(VALU_DEP_3) | instskip(NEXT) | instid1(VALU_DEP_2)
	v_dual_mov_b32 v34, v20 :: v_dual_mov_b32 v33, v19
	s_and_saveexec_b32 s24, s1
; %bb.1088:                             ;   in Loop: Header=BB440_13 Depth=1
	v_clz_i32_u32_e32 v33, v19
	s_delay_alu instid0(VALU_DEP_1) | instskip(NEXT) | instid1(VALU_DEP_1)
	v_min_u32_e32 v119, 32, v33
	v_subrev_nc_u32_e32 v33, 28, v119
	v_sub_nc_u32_e32 v119, 29, v119
	s_delay_alu instid0(VALU_DEP_2) | instskip(NEXT) | instid1(VALU_DEP_1)
	v_lshlrev_b64 v[33:34], v33, v[19:20]
	v_and_b32_e32 v33, 7, v33
; %bb.1089:                             ;   in Loop: Header=BB440_13 Depth=1
	s_or_b32 exec_lo, exec_lo, s24
	v_lshlrev_b32_e32 v19, 16, v31
	s_delay_alu instid0(VALU_DEP_2) | instskip(SKIP_1) | instid1(VALU_DEP_3)
	v_lshlrev_b32_e32 v33, 20, v33
	v_lshl_add_u32 v34, v119, 23, 0x3c000000
	v_and_b32_e32 v19, 0x80000000, v19
	s_delay_alu instid0(VALU_DEP_1)
	v_or3_b32 v19, v33, v19, v34
.LBB440_1090:                           ;   in Loop: Header=BB440_13 Depth=1
	s_or_b32 exec_lo, exec_lo, s23
.LBB440_1091:                           ;   in Loop: Header=BB440_13 Depth=1
	s_delay_alu instid0(SALU_CYCLE_1)
	s_or_b32 exec_lo, exec_lo, s22
.LBB440_1092:                           ;   in Loop: Header=BB440_13 Depth=1
	s_delay_alu instid0(SALU_CYCLE_1) | instskip(NEXT) | instid1(VALU_DEP_1)
	s_or_b32 exec_lo, exec_lo, s21
	v_mul_f32_e32 v19, v123, v19
                                        ; implicit-def: $vgpr119
	s_delay_alu instid0(VALU_DEP_1) | instskip(NEXT) | instid1(VALU_DEP_1)
	v_and_b32_e32 v33, 0x7f800000, v19
	v_cmp_ne_u32_e64 s1, 0x7f800000, v33
	s_delay_alu instid0(VALU_DEP_1) | instskip(NEXT) | instid1(SALU_CYCLE_1)
	s_and_saveexec_b32 s21, s1
	s_xor_b32 s1, exec_lo, s21
; %bb.1093:                             ;   in Loop: Header=BB440_13 Depth=1
	v_bfe_u32 v33, v19, 16, 1
	s_delay_alu instid0(VALU_DEP_1)
	v_add3_u32 v119, v19, v33, 0x7fff
                                        ; implicit-def: $vgpr19
; %bb.1094:                             ;   in Loop: Header=BB440_13 Depth=1
	s_and_not1_saveexec_b32 s21, s1
; %bb.1095:                             ;   in Loop: Header=BB440_13 Depth=1
	v_and_b32_e32 v33, 0xffff, v19
	v_or_b32_e32 v34, 0x10000, v19
	s_delay_alu instid0(VALU_DEP_2) | instskip(NEXT) | instid1(VALU_DEP_1)
	v_cmp_eq_u32_e64 s1, 0, v33
	v_cndmask_b32_e64 v119, v34, v19, s1
; %bb.1096:                             ;   in Loop: Header=BB440_13 Depth=1
	s_or_b32 exec_lo, exec_lo, s21
	v_lshrrev_b32_e32 v128, 16, v31
	v_mov_b32_e32 v19, 0
	s_mov_b32 s21, exec_lo
	s_delay_alu instid0(VALU_DEP_2) | instskip(NEXT) | instid1(VALU_DEP_1)
	v_and_b32_e32 v33, 0xff, v128
	v_cmpx_ne_u16_e32 0, v33
	s_cbranch_execz .LBB440_1104
; %bb.1097:                             ;   in Loop: Header=BB440_13 Depth=1
	v_bfrev_b32_e32 v19, 1
	s_mov_b32 s22, exec_lo
	v_cmpx_ne_u16_e32 0x80, v33
	s_cbranch_execz .LBB440_1103
; %bb.1098:                             ;   in Loop: Header=BB440_13 Depth=1
	v_bfe_u32 v33, v31, 16, 7
	v_mov_b32_e32 v19, 0x7f800001
	s_mov_b32 s23, exec_lo
	s_delay_alu instid0(VALU_DEP_2)
	v_cmpx_ne_u32_e32 0x7f, v33
	s_cbranch_execz .LBB440_1102
; %bb.1099:                             ;   in Loop: Header=BB440_13 Depth=1
	v_and_b32_e32 v19, 7, v128
	v_lshrrev_b32_e32 v129, 3, v33
	v_cmp_gt_u32_e64 s1, 8, v33
	s_delay_alu instid0(VALU_DEP_3) | instskip(NEXT) | instid1(VALU_DEP_2)
	v_dual_mov_b32 v34, v20 :: v_dual_mov_b32 v33, v19
	s_and_saveexec_b32 s24, s1
; %bb.1100:                             ;   in Loop: Header=BB440_13 Depth=1
	v_clz_i32_u32_e32 v33, v19
	s_delay_alu instid0(VALU_DEP_1) | instskip(NEXT) | instid1(VALU_DEP_1)
	v_min_u32_e32 v129, 32, v33
	v_subrev_nc_u32_e32 v33, 28, v129
	v_sub_nc_u32_e32 v129, 29, v129
	s_delay_alu instid0(VALU_DEP_2) | instskip(NEXT) | instid1(VALU_DEP_1)
	v_lshlrev_b64 v[33:34], v33, v[19:20]
	v_and_b32_e32 v33, 7, v33
; %bb.1101:                             ;   in Loop: Header=BB440_13 Depth=1
	s_or_b32 exec_lo, exec_lo, s24
	v_lshlrev_b32_e32 v19, 24, v128
	s_delay_alu instid0(VALU_DEP_2) | instskip(SKIP_1) | instid1(VALU_DEP_3)
	v_lshlrev_b32_e32 v33, 20, v33
	v_lshl_add_u32 v34, v129, 23, 0x3c000000
	v_and_b32_e32 v19, 0x80000000, v19
	s_delay_alu instid0(VALU_DEP_1)
	v_or3_b32 v19, v33, v19, v34
.LBB440_1102:                           ;   in Loop: Header=BB440_13 Depth=1
	s_or_b32 exec_lo, exec_lo, s23
.LBB440_1103:                           ;   in Loop: Header=BB440_13 Depth=1
	s_delay_alu instid0(SALU_CYCLE_1)
	s_or_b32 exec_lo, exec_lo, s22
.LBB440_1104:                           ;   in Loop: Header=BB440_13 Depth=1
	s_delay_alu instid0(SALU_CYCLE_1) | instskip(NEXT) | instid1(VALU_DEP_1)
	s_or_b32 exec_lo, exec_lo, s21
	v_mul_f32_e32 v19, v123, v19
                                        ; implicit-def: $vgpr128
	s_delay_alu instid0(VALU_DEP_1) | instskip(NEXT) | instid1(VALU_DEP_1)
	v_and_b32_e32 v33, 0x7f800000, v19
	v_cmp_ne_u32_e64 s1, 0x7f800000, v33
	s_delay_alu instid0(VALU_DEP_1) | instskip(NEXT) | instid1(SALU_CYCLE_1)
	s_and_saveexec_b32 s21, s1
	s_xor_b32 s1, exec_lo, s21
; %bb.1105:                             ;   in Loop: Header=BB440_13 Depth=1
	v_bfe_u32 v33, v19, 16, 1
	s_delay_alu instid0(VALU_DEP_1)
	v_add3_u32 v128, v19, v33, 0x7fff
                                        ; implicit-def: $vgpr19
; %bb.1106:                             ;   in Loop: Header=BB440_13 Depth=1
	s_and_not1_saveexec_b32 s21, s1
; %bb.1107:                             ;   in Loop: Header=BB440_13 Depth=1
	v_and_b32_e32 v33, 0xffff, v19
	v_or_b32_e32 v34, 0x10000, v19
	s_delay_alu instid0(VALU_DEP_2) | instskip(NEXT) | instid1(VALU_DEP_1)
	v_cmp_eq_u32_e64 s1, 0, v33
	v_cndmask_b32_e64 v128, v34, v19, s1
; %bb.1108:                             ;   in Loop: Header=BB440_13 Depth=1
	s_or_b32 exec_lo, exec_lo, s21
	v_mov_b32_e32 v19, 0
	s_mov_b32 s21, exec_lo
	v_cmpx_lt_u32_e32 0xffffff, v31
	s_cbranch_execz .LBB440_1116
; %bb.1109:                             ;   in Loop: Header=BB440_13 Depth=1
	v_lshrrev_b32_e32 v129, 24, v31
	v_bfrev_b32_e32 v19, 1
	s_mov_b32 s22, exec_lo
	s_delay_alu instid0(VALU_DEP_2)
	v_cmpx_ne_u32_e32 0x80, v129
	s_cbranch_execz .LBB440_1115
; %bb.1110:                             ;   in Loop: Header=BB440_13 Depth=1
	v_bfe_u32 v33, v31, 24, 7
	v_mov_b32_e32 v19, 0x7f800001
	s_mov_b32 s23, exec_lo
	s_delay_alu instid0(VALU_DEP_2)
	v_cmpx_ne_u32_e32 0x7f, v33
	s_cbranch_execz .LBB440_1114
; %bb.1111:                             ;   in Loop: Header=BB440_13 Depth=1
	v_and_b32_e32 v19, 7, v129
	v_lshrrev_b32_e32 v130, 3, v33
	v_cmp_gt_u32_e64 s1, 8, v33
	s_delay_alu instid0(VALU_DEP_3) | instskip(NEXT) | instid1(VALU_DEP_2)
	v_dual_mov_b32 v34, v20 :: v_dual_mov_b32 v33, v19
	s_and_saveexec_b32 s24, s1
; %bb.1112:                             ;   in Loop: Header=BB440_13 Depth=1
	v_clz_i32_u32_e32 v33, v19
	s_delay_alu instid0(VALU_DEP_1) | instskip(NEXT) | instid1(VALU_DEP_1)
	v_min_u32_e32 v130, 32, v33
	v_subrev_nc_u32_e32 v33, 28, v130
	v_sub_nc_u32_e32 v130, 29, v130
	s_delay_alu instid0(VALU_DEP_2) | instskip(NEXT) | instid1(VALU_DEP_1)
	v_lshlrev_b64 v[33:34], v33, v[19:20]
	v_and_b32_e32 v33, 7, v33
; %bb.1113:                             ;   in Loop: Header=BB440_13 Depth=1
	s_or_b32 exec_lo, exec_lo, s24
	v_lshlrev_b32_e32 v19, 24, v129
	s_delay_alu instid0(VALU_DEP_2) | instskip(SKIP_1) | instid1(VALU_DEP_3)
	v_lshlrev_b32_e32 v33, 20, v33
	v_lshl_add_u32 v34, v130, 23, 0x3c000000
	v_and_b32_e32 v19, 0x80000000, v19
	s_delay_alu instid0(VALU_DEP_1)
	v_or3_b32 v19, v33, v19, v34
.LBB440_1114:                           ;   in Loop: Header=BB440_13 Depth=1
	s_or_b32 exec_lo, exec_lo, s23
.LBB440_1115:                           ;   in Loop: Header=BB440_13 Depth=1
	s_delay_alu instid0(SALU_CYCLE_1)
	s_or_b32 exec_lo, exec_lo, s22
.LBB440_1116:                           ;   in Loop: Header=BB440_13 Depth=1
	s_delay_alu instid0(SALU_CYCLE_1) | instskip(NEXT) | instid1(VALU_DEP_1)
	s_or_b32 exec_lo, exec_lo, s21
	v_mul_f32_e32 v19, v123, v19
                                        ; implicit-def: $vgpr129
	s_delay_alu instid0(VALU_DEP_1) | instskip(NEXT) | instid1(VALU_DEP_1)
	v_and_b32_e32 v33, 0x7f800000, v19
	v_cmp_ne_u32_e64 s1, 0x7f800000, v33
	s_delay_alu instid0(VALU_DEP_1) | instskip(NEXT) | instid1(SALU_CYCLE_1)
	s_and_saveexec_b32 s21, s1
	s_xor_b32 s1, exec_lo, s21
; %bb.1117:                             ;   in Loop: Header=BB440_13 Depth=1
	v_bfe_u32 v33, v19, 16, 1
	s_delay_alu instid0(VALU_DEP_1)
	v_add3_u32 v129, v19, v33, 0x7fff
                                        ; implicit-def: $vgpr19
; %bb.1118:                             ;   in Loop: Header=BB440_13 Depth=1
	s_and_not1_saveexec_b32 s21, s1
; %bb.1119:                             ;   in Loop: Header=BB440_13 Depth=1
	v_and_b32_e32 v33, 0xffff, v19
	v_or_b32_e32 v34, 0x10000, v19
	s_delay_alu instid0(VALU_DEP_2) | instskip(NEXT) | instid1(VALU_DEP_1)
	v_cmp_eq_u32_e64 s1, 0, v33
	v_cndmask_b32_e64 v129, v34, v19, s1
; %bb.1120:                             ;   in Loop: Header=BB440_13 Depth=1
	s_or_b32 exec_lo, exec_lo, s21
	v_dual_mov_b32 v19, v32 :: v_dual_and_b32 v34, 0xff, v32
	v_mov_b32_e32 v33, 0
	s_mov_b32 s21, exec_lo
	s_delay_alu instid0(VALU_DEP_2)
	v_cmpx_ne_u16_e32 0, v34
	s_cbranch_execz .LBB440_1128
; %bb.1121:                             ;   in Loop: Header=BB440_13 Depth=1
	v_bfrev_b32_e32 v33, 1
	s_mov_b32 s22, exec_lo
	v_cmpx_ne_u16_e32 0x80, v34
	s_cbranch_execz .LBB440_1127
; %bb.1122:                             ;   in Loop: Header=BB440_13 Depth=1
	v_and_b32_e32 v34, 0x7f, v32
	v_mov_b32_e32 v33, 0x7f800001
	s_mov_b32 s23, exec_lo
	s_delay_alu instid0(VALU_DEP_2)
	v_cmpx_ne_u32_e32 0x7f, v34
	s_cbranch_execz .LBB440_1126
; %bb.1123:                             ;   in Loop: Header=BB440_13 Depth=1
	v_lshrrev_b32_e32 v130, 3, v34
	v_cmp_gt_u32_e64 s1, 8, v34
	v_dual_mov_b32 v34, v20 :: v_dual_mov_b32 v33, v19
	s_delay_alu instid0(VALU_DEP_2)
	s_and_saveexec_b32 s24, s1
; %bb.1124:                             ;   in Loop: Header=BB440_13 Depth=1
	v_and_b32_e32 v33, 7, v32
	s_delay_alu instid0(VALU_DEP_1) | instskip(NEXT) | instid1(VALU_DEP_1)
	v_clz_i32_u32_e32 v33, v33
	v_min_u32_e32 v130, 32, v33
	s_delay_alu instid0(VALU_DEP_1) | instskip(SKIP_1) | instid1(VALU_DEP_2)
	v_subrev_nc_u32_e32 v33, 28, v130
	v_sub_nc_u32_e32 v130, 29, v130
	v_lshlrev_b64 v[33:34], v33, v[19:20]
; %bb.1125:                             ;   in Loop: Header=BB440_13 Depth=1
	s_or_b32 exec_lo, exec_lo, s24
	s_delay_alu instid0(VALU_DEP_1) | instskip(SKIP_2) | instid1(VALU_DEP_3)
	v_lshlrev_b32_e32 v33, 20, v33
	v_lshlrev_b32_e32 v34, 24, v19
	v_lshl_add_u32 v130, v130, 23, 0x3c000000
	v_and_b32_e32 v33, 0x700000, v33
	s_delay_alu instid0(VALU_DEP_3) | instskip(NEXT) | instid1(VALU_DEP_1)
	v_and_b32_e32 v34, 0x80000000, v34
	v_or3_b32 v33, v33, v34, v130
.LBB440_1126:                           ;   in Loop: Header=BB440_13 Depth=1
	s_or_b32 exec_lo, exec_lo, s23
.LBB440_1127:                           ;   in Loop: Header=BB440_13 Depth=1
	s_delay_alu instid0(SALU_CYCLE_1)
	s_or_b32 exec_lo, exec_lo, s22
.LBB440_1128:                           ;   in Loop: Header=BB440_13 Depth=1
	s_delay_alu instid0(SALU_CYCLE_1) | instskip(NEXT) | instid1(VALU_DEP_1)
	s_or_b32 exec_lo, exec_lo, s21
	v_mul_f32_e32 v33, v123, v33
                                        ; implicit-def: $vgpr130
	s_delay_alu instid0(VALU_DEP_1) | instskip(NEXT) | instid1(VALU_DEP_1)
	v_and_b32_e32 v34, 0x7f800000, v33
	v_cmp_ne_u32_e64 s1, 0x7f800000, v34
	s_delay_alu instid0(VALU_DEP_1) | instskip(NEXT) | instid1(SALU_CYCLE_1)
	s_and_saveexec_b32 s21, s1
	s_xor_b32 s1, exec_lo, s21
; %bb.1129:                             ;   in Loop: Header=BB440_13 Depth=1
	v_bfe_u32 v34, v33, 16, 1
	s_delay_alu instid0(VALU_DEP_1)
	v_add3_u32 v130, v33, v34, 0x7fff
                                        ; implicit-def: $vgpr33
; %bb.1130:                             ;   in Loop: Header=BB440_13 Depth=1
	s_and_not1_saveexec_b32 s21, s1
; %bb.1131:                             ;   in Loop: Header=BB440_13 Depth=1
	v_and_b32_e32 v34, 0xffff, v33
	v_or_b32_e32 v130, 0x10000, v33
	s_delay_alu instid0(VALU_DEP_2) | instskip(NEXT) | instid1(VALU_DEP_1)
	v_cmp_eq_u32_e64 s1, 0, v34
	v_cndmask_b32_e64 v130, v130, v33, s1
; %bb.1132:                             ;   in Loop: Header=BB440_13 Depth=1
	s_or_b32 exec_lo, exec_lo, s21
	v_lshrrev_b16 v34, 8, v19
	v_mov_b32_e32 v33, 0
	s_mov_b32 s21, exec_lo
	s_delay_alu instid0(VALU_DEP_2)
	v_cmpx_ne_u16_e32 0, v34
	s_cbranch_execz .LBB440_1140
; %bb.1133:                             ;   in Loop: Header=BB440_13 Depth=1
	v_bfrev_b32_e32 v33, 1
	s_mov_b32 s22, exec_lo
	v_cmpx_ne_u16_e32 0x80, v34
	s_cbranch_execz .LBB440_1139
; %bb.1134:                             ;   in Loop: Header=BB440_13 Depth=1
	v_and_b32_e32 v34, 0xffff, v34
	v_mov_b32_e32 v33, 0x7f800001
	s_mov_b32 s23, exec_lo
	s_delay_alu instid0(VALU_DEP_2) | instskip(NEXT) | instid1(VALU_DEP_1)
	v_and_b32_e32 v132, 0x7f, v34
	v_cmpx_ne_u32_e32 0x7f, v132
	s_cbranch_execz .LBB440_1138
; %bb.1135:                             ;   in Loop: Header=BB440_13 Depth=1
	v_dual_mov_b32 v34, v20 :: v_dual_and_b32 v33, 7, v34
	v_lshrrev_b32_e32 v131, 3, v132
	s_mov_b32 s24, exec_lo
	v_cmpx_gt_u32_e32 8, v132
; %bb.1136:                             ;   in Loop: Header=BB440_13 Depth=1
	s_delay_alu instid0(VALU_DEP_3) | instskip(NEXT) | instid1(VALU_DEP_1)
	v_clz_i32_u32_e32 v131, v33
	v_min_u32_e32 v131, 32, v131
	s_delay_alu instid0(VALU_DEP_1) | instskip(SKIP_1) | instid1(VALU_DEP_2)
	v_subrev_nc_u32_e32 v132, 28, v131
	v_sub_nc_u32_e32 v131, 29, v131
	v_lshlrev_b64 v[33:34], v132, v[33:34]
	s_delay_alu instid0(VALU_DEP_1)
	v_and_b32_e32 v33, 7, v33
; %bb.1137:                             ;   in Loop: Header=BB440_13 Depth=1
	s_or_b32 exec_lo, exec_lo, s24
	v_lshlrev_b32_e32 v19, 16, v19
	s_delay_alu instid0(VALU_DEP_2) | instskip(SKIP_1) | instid1(VALU_DEP_3)
	v_lshlrev_b32_e32 v33, 20, v33
	v_lshl_add_u32 v34, v131, 23, 0x3c000000
	v_and_b32_e32 v19, 0x80000000, v19
	s_delay_alu instid0(VALU_DEP_1)
	v_or3_b32 v33, v33, v19, v34
.LBB440_1138:                           ;   in Loop: Header=BB440_13 Depth=1
	s_or_b32 exec_lo, exec_lo, s23
.LBB440_1139:                           ;   in Loop: Header=BB440_13 Depth=1
	s_delay_alu instid0(SALU_CYCLE_1)
	s_or_b32 exec_lo, exec_lo, s22
.LBB440_1140:                           ;   in Loop: Header=BB440_13 Depth=1
	s_delay_alu instid0(SALU_CYCLE_1) | instskip(NEXT) | instid1(VALU_DEP_1)
	s_or_b32 exec_lo, exec_lo, s21
	v_mul_f32_e32 v19, v123, v33
                                        ; implicit-def: $vgpr131
	s_delay_alu instid0(VALU_DEP_1) | instskip(NEXT) | instid1(VALU_DEP_1)
	v_and_b32_e32 v33, 0x7f800000, v19
	v_cmp_ne_u32_e64 s1, 0x7f800000, v33
	s_delay_alu instid0(VALU_DEP_1) | instskip(NEXT) | instid1(SALU_CYCLE_1)
	s_and_saveexec_b32 s21, s1
	s_xor_b32 s1, exec_lo, s21
; %bb.1141:                             ;   in Loop: Header=BB440_13 Depth=1
	v_bfe_u32 v33, v19, 16, 1
	s_delay_alu instid0(VALU_DEP_1)
	v_add3_u32 v131, v19, v33, 0x7fff
                                        ; implicit-def: $vgpr19
; %bb.1142:                             ;   in Loop: Header=BB440_13 Depth=1
	s_and_not1_saveexec_b32 s21, s1
; %bb.1143:                             ;   in Loop: Header=BB440_13 Depth=1
	v_and_b32_e32 v33, 0xffff, v19
	v_or_b32_e32 v34, 0x10000, v19
	s_delay_alu instid0(VALU_DEP_2) | instskip(NEXT) | instid1(VALU_DEP_1)
	v_cmp_eq_u32_e64 s1, 0, v33
	v_cndmask_b32_e64 v131, v34, v19, s1
; %bb.1144:                             ;   in Loop: Header=BB440_13 Depth=1
	s_or_b32 exec_lo, exec_lo, s21
	v_lshrrev_b32_e32 v132, 16, v32
	v_mov_b32_e32 v19, 0
	s_mov_b32 s21, exec_lo
	s_delay_alu instid0(VALU_DEP_2) | instskip(NEXT) | instid1(VALU_DEP_1)
	v_and_b32_e32 v33, 0xff, v132
	v_cmpx_ne_u16_e32 0, v33
	s_cbranch_execz .LBB440_1152
; %bb.1145:                             ;   in Loop: Header=BB440_13 Depth=1
	v_bfrev_b32_e32 v19, 1
	s_mov_b32 s22, exec_lo
	v_cmpx_ne_u16_e32 0x80, v33
	s_cbranch_execz .LBB440_1151
; %bb.1146:                             ;   in Loop: Header=BB440_13 Depth=1
	v_bfe_u32 v33, v32, 16, 7
	v_mov_b32_e32 v19, 0x7f800001
	s_mov_b32 s23, exec_lo
	s_delay_alu instid0(VALU_DEP_2)
	v_cmpx_ne_u32_e32 0x7f, v33
	s_cbranch_execz .LBB440_1150
; %bb.1147:                             ;   in Loop: Header=BB440_13 Depth=1
	v_and_b32_e32 v19, 7, v132
	v_lshrrev_b32_e32 v133, 3, v33
	v_cmp_gt_u32_e64 s1, 8, v33
	s_delay_alu instid0(VALU_DEP_3) | instskip(NEXT) | instid1(VALU_DEP_2)
	v_dual_mov_b32 v34, v20 :: v_dual_mov_b32 v33, v19
	s_and_saveexec_b32 s24, s1
; %bb.1148:                             ;   in Loop: Header=BB440_13 Depth=1
	v_clz_i32_u32_e32 v33, v19
	s_delay_alu instid0(VALU_DEP_1) | instskip(NEXT) | instid1(VALU_DEP_1)
	v_min_u32_e32 v133, 32, v33
	v_subrev_nc_u32_e32 v33, 28, v133
	v_sub_nc_u32_e32 v133, 29, v133
	s_delay_alu instid0(VALU_DEP_2) | instskip(NEXT) | instid1(VALU_DEP_1)
	v_lshlrev_b64 v[33:34], v33, v[19:20]
	v_and_b32_e32 v33, 7, v33
; %bb.1149:                             ;   in Loop: Header=BB440_13 Depth=1
	s_or_b32 exec_lo, exec_lo, s24
	v_lshlrev_b32_e32 v19, 24, v132
	s_delay_alu instid0(VALU_DEP_2) | instskip(SKIP_1) | instid1(VALU_DEP_3)
	v_lshlrev_b32_e32 v33, 20, v33
	v_lshl_add_u32 v34, v133, 23, 0x3c000000
	v_and_b32_e32 v19, 0x80000000, v19
	s_delay_alu instid0(VALU_DEP_1)
	v_or3_b32 v19, v33, v19, v34
.LBB440_1150:                           ;   in Loop: Header=BB440_13 Depth=1
	s_or_b32 exec_lo, exec_lo, s23
.LBB440_1151:                           ;   in Loop: Header=BB440_13 Depth=1
	s_delay_alu instid0(SALU_CYCLE_1)
	s_or_b32 exec_lo, exec_lo, s22
.LBB440_1152:                           ;   in Loop: Header=BB440_13 Depth=1
	s_delay_alu instid0(SALU_CYCLE_1) | instskip(NEXT) | instid1(VALU_DEP_1)
	s_or_b32 exec_lo, exec_lo, s21
	v_mul_f32_e32 v19, v123, v19
	s_delay_alu instid0(VALU_DEP_1) | instskip(NEXT) | instid1(VALU_DEP_1)
	v_and_b32_e32 v33, 0x7f800000, v19
	v_cmp_ne_u32_e64 s1, 0x7f800000, v33
                                        ; implicit-def: $vgpr33
	s_delay_alu instid0(VALU_DEP_1) | instskip(NEXT) | instid1(SALU_CYCLE_1)
	s_and_saveexec_b32 s21, s1
	s_xor_b32 s1, exec_lo, s21
; %bb.1153:                             ;   in Loop: Header=BB440_13 Depth=1
	v_bfe_u32 v33, v19, 16, 1
	s_delay_alu instid0(VALU_DEP_1)
	v_add3_u32 v33, v19, v33, 0x7fff
                                        ; implicit-def: $vgpr19
; %bb.1154:                             ;   in Loop: Header=BB440_13 Depth=1
	s_and_not1_saveexec_b32 s21, s1
; %bb.1155:                             ;   in Loop: Header=BB440_13 Depth=1
	v_and_b32_e32 v33, 0xffff, v19
	v_or_b32_e32 v34, 0x10000, v19
	s_delay_alu instid0(VALU_DEP_2) | instskip(NEXT) | instid1(VALU_DEP_1)
	v_cmp_eq_u32_e64 s1, 0, v33
	v_cndmask_b32_e64 v33, v34, v19, s1
; %bb.1156:                             ;   in Loop: Header=BB440_13 Depth=1
	s_or_b32 exec_lo, exec_lo, s21
	v_mov_b32_e32 v19, 0
	s_mov_b32 s21, exec_lo
	v_cmpx_lt_u64_e64 s[16:17], v[31:32]
	s_cbranch_execz .LBB440_1164
; %bb.1157:                             ;   in Loop: Header=BB440_13 Depth=1
	v_lshrrev_b32_e32 v34, 24, v32
	v_bfrev_b32_e32 v19, 1
	s_mov_b32 s22, exec_lo
	s_delay_alu instid0(VALU_DEP_2)
	v_cmpx_ne_u32_e32 0x80, v34
	s_cbranch_execz .LBB440_1163
; %bb.1158:                             ;   in Loop: Header=BB440_13 Depth=1
	v_bfe_u32 v31, v32, 24, 7
	v_mov_b32_e32 v19, 0x7f800001
	s_mov_b32 s23, exec_lo
	s_delay_alu instid0(VALU_DEP_2)
	v_cmpx_ne_u32_e32 0x7f, v31
	s_cbranch_execz .LBB440_1162
; %bb.1159:                             ;   in Loop: Header=BB440_13 Depth=1
	v_and_b32_e32 v19, 7, v34
	v_lshrrev_b32_e32 v132, 3, v31
	v_cmp_gt_u32_e64 s1, 8, v31
	s_delay_alu instid0(VALU_DEP_3) | instskip(NEXT) | instid1(VALU_DEP_2)
	v_dual_mov_b32 v32, v20 :: v_dual_mov_b32 v31, v19
	s_and_saveexec_b32 s24, s1
; %bb.1160:                             ;   in Loop: Header=BB440_13 Depth=1
	v_clz_i32_u32_e32 v31, v19
	s_delay_alu instid0(VALU_DEP_1) | instskip(NEXT) | instid1(VALU_DEP_1)
	v_min_u32_e32 v132, 32, v31
	v_subrev_nc_u32_e32 v31, 28, v132
	v_sub_nc_u32_e32 v132, 29, v132
	s_delay_alu instid0(VALU_DEP_2) | instskip(NEXT) | instid1(VALU_DEP_1)
	v_lshlrev_b64 v[31:32], v31, v[19:20]
	v_and_b32_e32 v31, 7, v31
; %bb.1161:                             ;   in Loop: Header=BB440_13 Depth=1
	s_or_b32 exec_lo, exec_lo, s24
	v_lshlrev_b32_e32 v19, 24, v34
	s_delay_alu instid0(VALU_DEP_2) | instskip(SKIP_1) | instid1(VALU_DEP_3)
	v_lshlrev_b32_e32 v31, 20, v31
	v_lshl_add_u32 v32, v132, 23, 0x3c000000
	v_and_b32_e32 v19, 0x80000000, v19
	s_delay_alu instid0(VALU_DEP_1)
	v_or3_b32 v19, v31, v19, v32
.LBB440_1162:                           ;   in Loop: Header=BB440_13 Depth=1
	s_or_b32 exec_lo, exec_lo, s23
.LBB440_1163:                           ;   in Loop: Header=BB440_13 Depth=1
	s_delay_alu instid0(SALU_CYCLE_1)
	s_or_b32 exec_lo, exec_lo, s22
.LBB440_1164:                           ;   in Loop: Header=BB440_13 Depth=1
	s_delay_alu instid0(SALU_CYCLE_1) | instskip(NEXT) | instid1(VALU_DEP_1)
	s_or_b32 exec_lo, exec_lo, s21
	v_mul_f32_e32 v31, v123, v19
	s_delay_alu instid0(VALU_DEP_1) | instskip(NEXT) | instid1(VALU_DEP_1)
	v_and_b32_e32 v19, 0x7f800000, v31
	v_cmp_ne_u32_e64 s1, 0x7f800000, v19
                                        ; implicit-def: $vgpr19
	s_delay_alu instid0(VALU_DEP_1) | instskip(NEXT) | instid1(SALU_CYCLE_1)
	s_and_saveexec_b32 s21, s1
	s_xor_b32 s1, exec_lo, s21
; %bb.1165:                             ;   in Loop: Header=BB440_13 Depth=1
	v_bfe_u32 v19, v31, 16, 1
	s_delay_alu instid0(VALU_DEP_1)
	v_add3_u32 v19, v31, v19, 0x7fff
                                        ; implicit-def: $vgpr31
; %bb.1166:                             ;   in Loop: Header=BB440_13 Depth=1
	s_and_not1_saveexec_b32 s21, s1
	s_cbranch_execz .LBB440_11
; %bb.1167:                             ;   in Loop: Header=BB440_13 Depth=1
	v_and_b32_e32 v19, 0xffff, v31
	v_or_b32_e32 v32, 0x10000, v31
	s_delay_alu instid0(VALU_DEP_2) | instskip(NEXT) | instid1(VALU_DEP_1)
	v_cmp_eq_u32_e64 s1, 0, v19
	v_cndmask_b32_e64 v19, v32, v31, s1
	s_branch .LBB440_11
.LBB440_1168:
	s_or_b32 exec_lo, exec_lo, s20
	s_clause 0x10
	scratch_load_b32 v123, off, s32 offset:484
	scratch_load_b32 v31, off, s32 offset:488
	;; [unrolled: 1-line block ×11, first 2 shown]
	scratch_load_b64 v[68:69], off, s32 offset:528
	scratch_load_b32 v21, off, s32 offset:536
	scratch_load_b32 v37, off, s32 offset:540
	;; [unrolled: 1-line block ×5, first 2 shown]
.LBB440_1169:
	s_or_b32 exec_lo, exec_lo, s19
	v_mbcnt_lo_u32_b32 v0, -1, 0
	s_waitcnt lgkmcnt(0)
	s_lshr_b32 s8, s15, 16
	s_delay_alu instid0(VALU_DEP_1) | instskip(SKIP_2) | instid1(VALU_DEP_3)
	v_xor_b32_e32 v1, 16, v0
	v_xor_b32_e32 v3, 8, v0
	v_xor_b32_e32 v5, 4, v0
	v_cmp_gt_i32_e32 vcc_lo, 32, v1
	v_cndmask_b32_e32 v1, v0, v1, vcc_lo
	s_delay_alu instid0(VALU_DEP_4) | instskip(NEXT) | instid1(VALU_DEP_2)
	v_cmp_gt_i32_e32 vcc_lo, 32, v3
	v_dual_cndmask_b32 v3, v0, v3 :: v_dual_lshlrev_b32 v2, 2, v1
	v_max_f32_e32 v4, v93, v93
	v_cmp_gt_i32_e32 vcc_lo, 32, v5
	ds_bpermute_b32 v1, v2, v93
	v_lshlrev_b32_e32 v3, 2, v3
	v_cndmask_b32_e32 v5, v0, v5, vcc_lo
	s_waitcnt lgkmcnt(0)
	v_max_f32_e32 v1, v1, v1
	s_delay_alu instid0(VALU_DEP_1) | instskip(SKIP_3) | instid1(VALU_DEP_1)
	v_max_f32_e32 v1, v4, v1
	ds_bpermute_b32 v4, v3, v1
	s_waitcnt lgkmcnt(0)
	v_max_f32_e32 v6, v4, v4
	v_dual_max_f32 v1, v1, v6 :: v_dual_lshlrev_b32 v4, 2, v5
	v_xor_b32_e32 v6, 2, v0
	ds_bpermute_b32 v5, v4, v1
	v_cmp_gt_i32_e32 vcc_lo, 32, v6
	s_waitcnt lgkmcnt(0)
	v_dual_cndmask_b32 v6, v0, v6 :: v_dual_max_f32 v5, v5, v5
	s_delay_alu instid0(VALU_DEP_1) | instskip(SKIP_1) | instid1(VALU_DEP_1)
	v_lshlrev_b32_e32 v20, 2, v6
	v_xor_b32_e32 v6, 1, v0
	v_cmp_gt_i32_e32 vcc_lo, 32, v6
	s_delay_alu instid0(VALU_DEP_4) | instskip(SKIP_4) | instid1(VALU_DEP_1)
	v_dual_max_f32 v1, v1, v5 :: v_dual_cndmask_b32 v6, v0, v6
	ds_bpermute_b32 v5, v20, v1
	v_lshlrev_b32_e32 v19, 2, v6
	s_waitcnt lgkmcnt(0)
	v_max_f32_e32 v5, v5, v5
	v_max_f32_e32 v0, v1, v5
	scratch_load_b32 v5, off, s32 offset:328 ; 4-byte Folded Reload
	ds_bpermute_b32 v1, v19, v0
	s_waitcnt vmcnt(0)
	v_cmp_eq_u32_e32 vcc_lo, 0, v5
	scratch_load_b32 v5, off, s32 offset:476 ; 4-byte Folded Reload
	s_waitcnt vmcnt(0)
	v_lshlrev_b32_e32 v5, 2, v5
	s_and_saveexec_b32 s1, vcc_lo
	s_cbranch_execz .LBB440_1171
; %bb.1170:
	s_waitcnt lgkmcnt(0)
	v_dual_max_f32 v1, v1, v1 :: v_dual_max_f32 v0, v0, v0
	s_delay_alu instid0(VALU_DEP_1)
	v_max_f32_e32 v0, v0, v1
	ds_store_b32 v5, v0 offset:192
.LBB440_1171:
	s_or_b32 exec_lo, exec_lo, s1
	scratch_load_b32 v0, off, s32 offset:328 ; 4-byte Folded Reload
	s_waitcnt vmcnt(0) lgkmcnt(0)
	s_waitcnt_vscnt null, 0x0
	s_barrier
	buffer_gl0_inv
	v_cmp_gt_u32_e64 s1, 4, v0
	v_mov_b32_e32 v0, 0xff7fffff
	s_delay_alu instid0(VALU_DEP_2)
	s_and_saveexec_b32 s2, s1
	s_cbranch_execz .LBB440_1173
; %bb.1172:
	ds_load_b32 v0, v36 offset:192
.LBB440_1173:
	s_or_b32 exec_lo, exec_lo, s2
	s_waitcnt lgkmcnt(0)
	ds_bpermute_b32 v1, v20, v0
	v_max_f32_e32 v0, v0, v0
	v_subrev_nc_u32_e32 v7, s13, v51
	s_waitcnt lgkmcnt(0)
	v_dual_mov_b32 v6, 0 :: v_dual_max_f32 v1, v1, v1
	s_delay_alu instid0(VALU_DEP_1) | instskip(SKIP_3) | instid1(VALU_DEP_1)
	v_max_f32_e32 v0, v0, v1
	ds_bpermute_b32 v1, v19, v0
	s_waitcnt lgkmcnt(0)
	v_max_f32_e32 v1, v1, v1
	v_max_f32_e32 v0, v0, v1
	v_lshl_add_u32 v1, v7, 5, s3
	ds_bpermute_b32 v0, v6, v0
	v_min_i32_e32 v1, v1, v38
	s_delay_alu instid0(VALU_DEP_1) | instskip(NEXT) | instid1(VALU_DEP_1)
	v_subrev_nc_u32_e32 v1, s3, v1
	v_cmp_lt_i32_e64 s2, v31, v1
	s_delay_alu instid0(VALU_DEP_1)
	s_and_saveexec_b32 s9, s2
	s_cbranch_execz .LBB440_1177
; %bb.1174:
	s_getpc_b64 s[16:17]
	s_add_u32 s16, s16, llvm.amdgcn.dynlds.offset.table@rel32@lo+4
	s_addc_u32 s17, s17, llvm.amdgcn.dynlds.offset.table@rel32@hi+12
	s_ashr_i32 s11, s10, 31
	v_mov_b32_e32 v6, 0
	s_lshl_b64 s[20:21], s[10:11], 2
	v_mov_b32_e32 v8, v31
	s_add_u32 s16, s20, s16
	s_addc_u32 s17, s21, s17
	s_mov_b32 s11, 0
	s_load_b32 s3, s[16:17], 0x0
	s_waitcnt lgkmcnt(0)
	v_lshl_add_u32 v7, v31, 2, s3
	.p2align	6
.LBB440_1175:                           ; =>This Inner Loop Header: Depth=1
	ds_load_b32 v9, v7
	v_add_nc_u32_e32 v8, 0x80, v8
	s_delay_alu instid0(VALU_DEP_1) | instskip(NEXT) | instid1(VALU_DEP_1)
	v_cmp_ge_i32_e64 s3, v8, v1
	s_or_b32 s11, s3, s11
	s_waitcnt lgkmcnt(0)
	v_sub_f32_e32 v9, v9, v0
	s_delay_alu instid0(VALU_DEP_1) | instskip(NEXT) | instid1(VALU_DEP_1)
	v_mul_f32_e32 v9, 0x3fb8aa3b, v9
	v_exp_f32_e32 v9, v9
	ds_store_b32 v7, v9
	v_dual_add_f32 v6, v6, v9 :: v_dual_add_nc_u32 v7, 0x200, v7
	s_and_not1_b32 exec_lo, exec_lo, s11
	s_cbranch_execnz .LBB440_1175
; %bb.1176:
	s_or_b32 exec_lo, exec_lo, s11
.LBB440_1177:
	s_delay_alu instid0(SALU_CYCLE_1)
	s_or_b32 exec_lo, exec_lo, s9
	ds_bpermute_b32 v2, v2, v6
	s_waitcnt lgkmcnt(0)
	v_add_f32_e32 v2, v6, v2
	ds_bpermute_b32 v3, v3, v2
	s_waitcnt lgkmcnt(0)
	v_add_f32_e32 v2, v2, v3
	;; [unrolled: 3-line block ×5, first 2 shown]
	s_and_saveexec_b32 s3, vcc_lo
	s_cbranch_execz .LBB440_1179
; %bb.1178:
	ds_store_b32 v5, v2 offset:208
.LBB440_1179:
	s_or_b32 exec_lo, exec_lo, s3
	s_waitcnt lgkmcnt(0)
	s_barrier
	buffer_gl0_inv
	s_and_saveexec_b32 s3, s1
	s_cbranch_execz .LBB440_1181
; %bb.1180:
	ds_load_b32 v2, v36 offset:208
.LBB440_1181:
	s_or_b32 exec_lo, exec_lo, s3
	s_waitcnt lgkmcnt(0)
	ds_bpermute_b32 v3, v20, v2
	s_waitcnt lgkmcnt(0)
	v_add_f32_e32 v2, v2, v3
	ds_bpermute_b32 v3, v19, v2
	s_waitcnt lgkmcnt(0)
	v_dual_add_f32 v2, v2, v3 :: v_dual_mov_b32 v3, 0
	ds_bpermute_b32 v2, v3, v2
	s_and_saveexec_b32 s1, s2
	s_cbranch_execz .LBB440_1184
; %bb.1182:
	s_waitcnt lgkmcnt(0)
	v_add_f32_e32 v4, 0x358637bd, v2
	s_getpc_b64 s[2:3]
	s_add_u32 s2, s2, llvm.amdgcn.dynlds.offset.table@rel32@lo+4
	s_addc_u32 s3, s3, llvm.amdgcn.dynlds.offset.table@rel32@hi+12
	s_ashr_i32 s11, s10, 31
	s_delay_alu instid0(SALU_CYCLE_1) | instskip(SKIP_4) | instid1(VALU_DEP_1)
	s_lshl_b64 s[16:17], s[10:11], 2
	v_div_scale_f32 v3, null, v4, v4, 1.0
	s_add_u32 s2, s16, s2
	s_addc_u32 s3, s17, s3
	s_load_b32 s2, s[2:3], 0x0
	v_rcp_f32_e32 v5, v3
	s_waitcnt_depctr 0xfff
	v_fma_f32 v6, -v3, v5, 1.0
	s_delay_alu instid0(VALU_DEP_1) | instskip(SKIP_1) | instid1(VALU_DEP_1)
	v_fmac_f32_e32 v5, v6, v5
	v_div_scale_f32 v7, vcc_lo, 1.0, v4, 1.0
	v_mul_f32_e32 v6, v7, v5
	s_delay_alu instid0(VALU_DEP_1) | instskip(NEXT) | instid1(VALU_DEP_1)
	v_fma_f32 v8, -v3, v6, v7
	v_fmac_f32_e32 v6, v8, v5
	s_delay_alu instid0(VALU_DEP_1) | instskip(NEXT) | instid1(VALU_DEP_1)
	v_fma_f32 v3, -v3, v6, v7
	v_div_fmas_f32 v5, v3, v5, v6
	s_waitcnt lgkmcnt(0)
	v_lshl_add_u32 v3, v31, 2, s2
	s_mov_b32 s2, 0
	s_delay_alu instid0(VALU_DEP_2)
	v_div_fixup_f32 v4, v5, v4, 1.0
	v_mov_b32_e32 v5, v31
.LBB440_1183:                           ; =>This Inner Loop Header: Depth=1
	ds_load_b32 v6, v3
	s_waitcnt lgkmcnt(0)
	v_dual_mul_f32 v6, v4, v6 :: v_dual_add_nc_u32 v5, 0x80, v5
	s_delay_alu instid0(VALU_DEP_1) | instskip(SKIP_3) | instid1(SALU_CYCLE_1)
	v_cmp_ge_i32_e32 vcc_lo, v5, v1
	ds_store_b32 v3, v6
	v_add_nc_u32_e32 v3, 0x200, v3
	s_or_b32 s2, vcc_lo, s2
	s_and_not1_b32 exec_lo, exec_lo, s2
	s_cbranch_execnz .LBB440_1183
.LBB440_1184:
	s_or_b32 exec_lo, exec_lo, s1
	v_cmp_ne_u16_e64 s1, s8, 0
	s_mov_b32 s2, exec_lo
	s_waitcnt lgkmcnt(0)
	s_barrier
	buffer_gl0_inv
	s_cmp_lg_u32 s1, 0
	s_addc_u32 s1, s7, 0
	v_cmpx_eq_u32_e32 0, v31
	s_cbranch_execz .LBB440_1186
; %bb.1185:
	s_mul_i32 s3, s1, s4
	s_mul_i32 s8, s1, s12
	;; [unrolled: 1-line block ×3, first 2 shown]
	s_ashr_i32 s9, s8, 31
	s_ashr_i32 s15, s14, 31
	;; [unrolled: 1-line block ×3, first 2 shown]
	s_lshl_b64 s[8:9], s[8:9], 2
	s_lshl_b64 s[16:17], s[14:15], 2
	;; [unrolled: 1-line block ×3, first 2 shown]
	s_add_u32 s3, s16, s8
	s_addc_u32 s7, s17, s9
	s_add_u32 s3, s3, s12
	s_addc_u32 s7, s7, s13
	v_add_co_u32 v3, vcc_lo, s3, v35
	v_add_co_ci_u32_e32 v4, vcc_lo, s7, v34, vcc_lo
	v_add_co_u32 v5, vcc_lo, s3, v33
	v_add_co_ci_u32_e32 v6, vcc_lo, s7, v32, vcc_lo
	flat_store_b32 v[3:4], v0
	flat_store_b32 v[5:6], v2
.LBB440_1186:
	s_or_b32 exec_lo, exec_lo, s2
	s_ashr_i32 s11, s10, 31
	s_getpc_b64 s[2:3]
	s_add_u32 s2, s2, llvm.amdgcn.dynlds.offset.table@rel32@lo+4
	s_addc_u32 s3, s3, llvm.amdgcn.dynlds.offset.table@rel32@hi+12
	s_lshl_b64 s[8:9], s[10:11], 2
	v_dual_mov_b32 v54, 0 :: v_dual_mov_b32 v55, 0
	v_dual_mov_b32 v124, v31 :: v_dual_mov_b32 v53, 0
	v_dual_mov_b32 v35, 0 :: v_dual_and_b32 v24, 3, v31
	v_dual_mov_b32 v36, 0 :: v_dual_mov_b32 v33, 0
	v_dual_mov_b32 v34, 0 :: v_dual_mov_b32 v31, 0
	;; [unrolled: 1-line block ×4, first 2 shown]
	s_add_u32 s2, s8, s2
	s_addc_u32 s3, s9, s3
	s_mov_b32 s10, 0
	s_and_saveexec_b32 s7, s0
	s_cbranch_execz .LBB440_2784
; %bb.1187:
	scratch_load_b32 v8, off, s32 offset:476 ; 4-byte Folded Reload
	v_max_i32_e32 v30, v30, v39
	v_add_co_u32 v3, vcc_lo, v10, v21
	s_load_b32 s0, s[2:3], 0x0
	v_dual_mov_b32 v25, 0 :: v_dual_lshlrev_b32 v2, 3, v124
	s_delay_alu instid0(VALU_DEP_3) | instskip(SKIP_3) | instid1(VALU_DEP_4)
	v_cvt_f32_u32_e32 v0, v30
	v_sub_nc_u32_e32 v7, 0, v30
	v_dual_mov_b32 v31, 0 :: v_dual_lshlrev_b32 v6, 5, v24
	v_add_co_ci_u32_e32 v4, vcc_lo, v11, v12, vcc_lo
	v_rcp_iflag_f32_e32 v5, v0
	v_mov_b32_e32 v10, 0
	v_lshlrev_b64 v[0:1], 2, v[17:18]
	v_dual_mov_b32 v55, 0 :: v_dual_and_b32 v18, 24, v2
	v_and_b32_e32 v2, 0xf8, v2
	v_dual_mov_b32 v29, 0 :: v_dual_add_nc_u32 v64, -1, v37
	s_delay_alu instid0(VALU_DEP_4) | instskip(NEXT) | instid1(TRANS32_DEP_1)
	v_add_co_u32 v0, vcc_lo, v68, v0
	v_mul_f32_e32 v5, 0x4f7ffffe, v5
	v_add_co_ci_u32_e32 v1, vcc_lo, v69, v1, vcc_lo
	v_add_co_u32 v11, vcc_lo, v3, v2
	s_delay_alu instid0(VALU_DEP_3) | instskip(SKIP_2) | instid1(VALU_DEP_3)
	v_cvt_u32_f32_e32 v5, v5
	v_add_co_ci_u32_e32 v12, vcc_lo, 0, v4, vcc_lo
	v_add_co_u32 v13, vcc_lo, v14, v0
	v_mul_lo_u32 v7, v7, v5
	v_dual_mov_b32 v28, 0 :: v_dual_mov_b32 v33, 0
	v_dual_mov_b32 v32, 0 :: v_dual_mov_b32 v35, 0
	;; [unrolled: 1-line block ×3, first 2 shown]
	v_add_co_ci_u32_e32 v14, vcc_lo, v15, v1, vcc_lo
	v_mul_hi_u32 v7, v5, v7
	s_mov_b32 s8, -1
	s_mov_b32 s9, 0xffffff
	s_delay_alu instid0(VALU_DEP_1) | instskip(SKIP_3) | instid1(VALU_DEP_1)
	v_dual_mov_b32 v54, 0 :: v_dual_add_nc_u32 v65, v5, v7
	s_waitcnt vmcnt(0)
	v_lshl_or_b32 v6, v8, 7, v6
	s_waitcnt lgkmcnt(0)
	v_dual_mov_b32 v36, 0 :: v_dual_add_nc_u32 v15, s0, v6
	s_branch .LBB440_1190
.LBB440_1188:                           ;   in Loop: Header=BB440_1190 Depth=1
	s_or_b32 exec_lo, exec_lo, s0
	v_and_b32_e32 v87, 0xffff0000, v95
	v_and_b32_e32 v97, 0xffff0000, v89
	v_and_b32_e32 v86, 0xffff0000, v104
	v_and_b32_e32 v84, 0xffff0000, v94
	v_and_b32_e32 v7, 0xffff0000, v7
	v_and_b32_e32 v37, 0xffff0000, v37
	s_delay_alu instid0(VALU_DEP_4) | instskip(SKIP_3) | instid1(VALU_DEP_4)
	v_dual_add_f32 v86, v87, v86 :: v_dual_and_b32 v21, 0xffff0000, v21
	v_and_b32_e32 v85, 0xffff0000, v93
	v_and_b32_e32 v6, 0xffff0000, v6
	;; [unrolled: 1-line block ×3, first 2 shown]
	v_dual_add_f32 v21, v21, v37 :: v_dual_and_b32 v98, 0xffff0000, v91
	v_and_b32_e32 v100, 0xffff0000, v61
	s_delay_alu instid0(VALU_DEP_4) | instskip(SKIP_3) | instid1(VALU_DEP_4)
	v_dual_add_f32 v6, v6, v7 :: v_dual_add_f32 v7, v85, v84
	v_and_b32_e32 v84, 0xffff0000, v105
	v_and_b32_e32 v85, 0xffff0000, v106
	;; [unrolled: 1-line block ×3, first 2 shown]
	v_dual_add_f32 v6, v6, v7 :: v_dual_and_b32 v5, 0xffff0000, v5
	s_delay_alu instid0(VALU_DEP_3) | instskip(SKIP_2) | instid1(VALU_DEP_4)
	v_dual_add_f32 v84, v84, v85 :: v_dual_and_b32 v87, 0xffff0000, v88
	v_and_b32_e32 v85, 0xffff0000, v78
	v_and_b32_e32 v4, 0xffff0000, v4
	v_add_f32_e32 v6, v6, v86
	v_and_b32_e32 v86, 0xffff0000, v77
	v_and_b32_e32 v7, 0xffff0000, v90
	s_delay_alu instid0(VALU_DEP_4) | instskip(NEXT) | instid1(VALU_DEP_4)
	v_dual_add_f32 v4, v4, v5 :: v_dual_and_b32 v3, 0xffff0000, v3
	v_add_f32_e32 v6, v6, v84
	s_delay_alu instid0(VALU_DEP_4) | instskip(SKIP_2) | instid1(VALU_DEP_4)
	v_dual_add_f32 v85, v86, v85 :: v_dual_add_f32 v86, v96, v87
	v_and_b32_e32 v87, 0xffff0000, v72
	v_add_f32_e32 v7, v97, v7
	v_dual_add_f32 v28, v28, v6 :: v_dual_and_b32 v97, 0xffff0000, v73
	s_delay_alu instid0(VALU_DEP_4) | instskip(NEXT) | instid1(VALU_DEP_4)
	v_add_f32_e32 v85, v85, v86
	v_dual_add_f32 v87, v101, v87 :: v_dual_and_b32 v96, 0xffff0000, v62
	v_and_b32_e32 v86, 0xffff0000, v74
	v_and_b32_e32 v99, 0xffff0000, v92
	s_delay_alu instid0(VALU_DEP_4) | instskip(SKIP_2) | instid1(VALU_DEP_4)
	v_add_f32_e32 v7, v85, v7
	v_and_b32_e32 v1, 0xffff0000, v1
	v_and_b32_e32 v0, 0xffff0000, v0
	v_dual_add_f32 v86, v97, v86 :: v_dual_add_f32 v85, v98, v99
	v_dual_add_f32 v96, v100, v96 :: v_dual_and_b32 v99, 0xffff0000, v43
	v_and_b32_e32 v100, 0xffff0000, v42
	s_delay_alu instid0(VALU_DEP_3) | instskip(NEXT) | instid1(VALU_DEP_3)
	v_dual_add_f32 v7, v7, v85 :: v_dual_and_b32 v2, 0xffff0000, v2
	v_dual_add_f32 v87, v96, v87 :: v_dual_and_b32 v96, 0xffff0000, v76
	s_delay_alu instid0(VALU_DEP_3) | instskip(SKIP_1) | instid1(VALU_DEP_3)
	v_add_f32_e32 v5, v100, v99
	v_and_b32_e32 v39, 0xffff0000, v39
	v_dual_add_f32 v84, v87, v86 :: v_dual_and_b32 v69, 0xffff0000, v69
	v_and_b32_e32 v86, 0xffff0000, v58
	s_delay_alu instid0(VALU_DEP_4) | instskip(SKIP_4) | instid1(VALU_DEP_4)
	v_add_f32_e32 v4, v4, v5
	v_and_b32_e32 v98, 0xffff0000, v75
	v_and_b32_e32 v87, 0xffff0000, v57
	v_add_f32_e32 v29, v29, v7
	v_and_b32_e32 v7, 0xffff0000, v181
	v_dual_add_f32 v85, v98, v96 :: v_dual_and_b32 v70, 0xffff0000, v70
	v_and_b32_e32 v96, 0xffff0000, v56
	v_and_b32_e32 v97, 0xffff0000, v59
	;; [unrolled: 1-line block ×3, first 2 shown]
	s_delay_alu instid0(VALU_DEP_4) | instskip(NEXT) | instid1(VALU_DEP_4)
	v_dual_add_f32 v84, v84, v85 :: v_dual_and_b32 v67, 0xffff0000, v67
	v_add_f32_e32 v37, v39, v96
	v_and_b32_e32 v39, 0xffff0000, v45
	v_and_b32_e32 v96, 0xffff0000, v44
	;; [unrolled: 1-line block ×3, first 2 shown]
	v_dual_add_f32 v0, v0, v1 :: v_dual_add_f32 v1, v2, v3
	v_add_f32_e32 v21, v21, v37
	v_add_f32_e32 v37, v87, v86
	v_and_b32_e32 v86, 0xffff0000, v46
	v_and_b32_e32 v87, 0xffff0000, v162
	v_dual_add_f32 v66, v66, v67 :: v_dual_and_b32 v85, 0xffff0000, v40
	s_delay_alu instid0(VALU_DEP_4)
	v_add_f32_e32 v21, v21, v37
	v_add_f32_e32 v37, v97, v98
	;; [unrolled: 1-line block ×3, first 2 shown]
	v_and_b32_e32 v39, 0xffff0000, v47
	v_and_b32_e32 v96, 0xffff0000, v164
	v_and_b32_e32 v9, 0xffff0000, v9
	v_add_f32_e32 v6, v21, v37
	s_delay_alu instid0(VALU_DEP_4)
	v_dual_add_f32 v4, v4, v5 :: v_dual_add_f32 v5, v86, v39
	v_and_b32_e32 v21, 0xffff0000, v179
	v_and_b32_e32 v37, 0xffff0000, v178
	;; [unrolled: 1-line block ×3, first 2 shown]
	v_dual_add_f32 v31, v31, v84 :: v_dual_and_b32 v84, 0xffff0000, v182
	v_dual_add_f32 v4, v4, v5 :: v_dual_and_b32 v5, 0xffff0000, v183
	s_delay_alu instid0(VALU_DEP_3) | instskip(SKIP_4) | instid1(VALU_DEP_4)
	v_dual_add_f32 v7, v39, v7 :: v_dual_and_b32 v86, 0xffff0000, v41
	v_add_f32_e32 v21, v37, v21
	v_and_b32_e32 v37, 0xffff0000, v165
	v_and_b32_e32 v39, 0xffff0000, v163
	v_dual_add_f32 v5, v84, v5 :: v_dual_and_b32 v84, 0xffff0000, v166
	v_add_f32_e32 v7, v21, v7
	v_dual_add_f32 v0, v0, v1 :: v_dual_and_b32 v21, 0xffff0000, v167
	s_delay_alu instid0(VALU_DEP_4) | instskip(SKIP_1) | instid1(VALU_DEP_4)
	v_add_f32_e32 v39, v87, v39
	v_dual_add_f32 v37, v96, v37 :: v_dual_and_b32 v2, 0xffff0000, v8
	v_add_f32_e32 v5, v7, v5
	v_dual_add_f32 v7, v85, v86 :: v_dual_and_b32 v96, 0xffff0000, v144
	v_dual_add_f32 v21, v84, v21 :: v_dual_and_b32 v84, 0xffff0000, v132
	s_delay_alu instid0(VALU_DEP_4)
	v_dual_add_f32 v37, v39, v37 :: v_dual_and_b32 v86, 0xffff0000, v114
	v_and_b32_e32 v39, 0xffff0000, v177
	v_add_f32_e32 v1, v2, v9
	v_dual_add_f32 v32, v32, v6 :: v_dual_and_b32 v85, 0xffff0000, v176
	v_add_f32_e32 v33, v33, v4
	v_add_f32_e32 v4, v5, v7
	v_dual_add_f32 v5, v37, v21 :: v_dual_and_b32 v68, 0xffff0000, v68
	v_add_f32_e32 v0, v0, v1
	v_add_f32_e32 v6, v85, v39
	v_and_b32_e32 v21, 0xffff0000, v147
	v_dual_add_f32 v34, v34, v4 :: v_dual_and_b32 v37, 0xffff0000, v146
	s_delay_alu instid0(VALU_DEP_3) | instskip(NEXT) | instid1(VALU_DEP_2)
	v_dual_add_f32 v4, v5, v6 :: v_dual_and_b32 v39, 0xffff0000, v148
	v_dual_add_f32 v6, v37, v21 :: v_dual_and_b32 v5, 0xffff0000, v151
	v_and_b32_e32 v37, 0xffff0000, v161
	v_and_b32_e32 v21, 0xffff0000, v150
	s_delay_alu instid0(VALU_DEP_4) | instskip(SKIP_2) | instid1(VALU_DEP_4)
	v_dual_add_f32 v35, v35, v4 :: v_dual_and_b32 v2, 0xffff0000, v83
	v_and_b32_e32 v4, 0xffff0000, v160
	v_and_b32_e32 v87, 0xffff0000, v116
	v_add_f32_e32 v5, v21, v5
	v_and_b32_e32 v21, 0xffff0000, v131
	s_delay_alu instid0(VALU_DEP_4) | instskip(SKIP_2) | instid1(VALU_DEP_2)
	v_dual_add_f32 v4, v4, v37 :: v_dual_and_b32 v85, 0xffff0000, v134
	v_and_b32_e32 v7, 0xffff0000, v149
	v_add_f32_e32 v67, v68, v69
	v_add_f32_e32 v7, v39, v7
	v_and_b32_e32 v39, 0xffff0000, v130
	s_delay_alu instid0(VALU_DEP_3) | instskip(NEXT) | instid1(VALU_DEP_3)
	v_add_f32_e32 v3, v66, v67
	v_dual_add_f32 v6, v6, v7 :: v_dual_and_b32 v7, 0xffff0000, v133
	s_delay_alu instid0(VALU_DEP_3) | instskip(SKIP_1) | instid1(VALU_DEP_3)
	v_add_f32_e32 v21, v39, v21
	v_and_b32_e32 v39, 0xffff0000, v117
	v_add_f32_e32 v5, v6, v5
	s_delay_alu instid0(VALU_DEP_4) | instskip(SKIP_1) | instid1(VALU_DEP_4)
	v_add_f32_e32 v7, v84, v7
	v_and_b32_e32 v84, 0xffff0000, v115
	v_add_f32_e32 v39, v87, v39
	v_and_b32_e32 v6, 0xffff0000, v135
	s_delay_alu instid0(VALU_DEP_4) | instskip(NEXT) | instid1(VALU_DEP_4)
	v_add_f32_e32 v7, v21, v7
	v_dual_add_f32 v84, v86, v84 :: v_dual_and_b32 v21, 0xffff0000, v119
	v_and_b32_e32 v86, 0xffff0000, v118
	s_delay_alu instid0(VALU_DEP_4) | instskip(NEXT) | instid1(VALU_DEP_3)
	v_dual_add_f32 v6, v85, v6 :: v_dual_and_b32 v85, 0xffff0000, v145
	v_add_f32_e32 v37, v84, v39
	s_delay_alu instid0(VALU_DEP_3) | instskip(SKIP_3) | instid1(VALU_DEP_4)
	v_add_f32_e32 v21, v86, v21
	v_and_b32_e32 v39, 0xffff0000, v128
	v_and_b32_e32 v84, 0xffff0000, v129
	v_dual_add_f32 v6, v7, v6 :: v_dual_add_f32 v7, v96, v85
	v_add_f32_e32 v21, v37, v21
	v_and_b32_e32 v37, 0xffff0000, v71
	v_and_b32_e32 v71, 0xffff0000, v80
	v_dual_add_f32 v9, v39, v84 :: v_dual_and_b32 v80, 0xffff0000, v81
	s_delay_alu instid0(VALU_DEP_3) | instskip(NEXT) | instid1(VALU_DEP_1)
	v_dual_add_f32 v8, v70, v37 :: v_dual_and_b32 v37, 0xffff0000, v82
	v_add_f32_e32 v3, v3, v8
	s_delay_alu instid0(VALU_DEP_2) | instskip(SKIP_2) | instid1(VALU_DEP_3)
	v_dual_add_f32 v8, v71, v80 :: v_dual_add_f32 v1, v37, v2
	v_add_f32_e32 v2, v5, v4
	v_dual_add_f32 v4, v6, v7 :: v_dual_add_f32 v5, v21, v9
	v_dual_add_f32 v3, v3, v8 :: v_dual_add_f32 v0, v0, v1
	s_delay_alu instid0(VALU_DEP_2) | instskip(NEXT) | instid1(VALU_DEP_2)
	v_dual_add_f32 v36, v36, v2 :: v_dual_add_f32 v53, v53, v4
	v_dual_add_f32 v55, v55, v5 :: v_dual_add_f32 v54, v54, v3
	s_delay_alu instid0(VALU_DEP_3)
	v_add_f32_e32 v25, v25, v0
.LBB440_1189:                           ;   in Loop: Header=BB440_1190 Depth=1
	s_or_b32 exec_lo, exec_lo, s11
	v_add_nc_u32_e32 v17, 4, v17
	v_add_co_u32 v13, s0, v13, 16
	s_delay_alu instid0(VALU_DEP_1) | instskip(NEXT) | instid1(VALU_DEP_3)
	v_add_co_ci_u32_e64 v14, s0, 0, v14, s0
	v_cmp_ge_i32_e32 vcc_lo, v17, v51
	v_add_nc_u32_e32 v23, 0x80, v23
	v_add_nc_u32_e32 v15, 0x200, v15
	s_or_b32 s10, vcc_lo, s10
	s_delay_alu instid0(SALU_CYCLE_1)
	s_and_not1_b32 exec_lo, exec_lo, s10
	s_cbranch_execz .LBB440_2783
.LBB440_1190:                           ; =>This Inner Loop Header: Depth=1
	v_sub_nc_u32_e32 v0, 0, v23
	s_delay_alu instid0(VALU_DEP_1) | instskip(NEXT) | instid1(VALU_DEP_1)
	v_max_i32_e32 v0, v23, v0
	v_mul_hi_u32 v1, v0, v49
	s_delay_alu instid0(VALU_DEP_1) | instskip(NEXT) | instid1(VALU_DEP_1)
	v_mul_lo_u32 v2, v1, v48
	v_sub_nc_u32_e32 v0, v0, v2
	v_add_nc_u32_e32 v2, 1, v1
	s_delay_alu instid0(VALU_DEP_2) | instskip(SKIP_1) | instid1(VALU_DEP_2)
	v_sub_nc_u32_e32 v3, v0, v48
	v_cmp_ge_u32_e32 vcc_lo, v0, v48
	v_dual_cndmask_b32 v1, v1, v2 :: v_dual_cndmask_b32 v0, v0, v3
	v_ashrrev_i32_e32 v2, 31, v23
	s_delay_alu instid0(VALU_DEP_2) | instskip(NEXT) | instid1(VALU_DEP_3)
	v_add_nc_u32_e32 v3, 1, v1
	v_cmp_ge_u32_e32 vcc_lo, v0, v48
	s_delay_alu instid0(VALU_DEP_3) | instskip(NEXT) | instid1(VALU_DEP_3)
	v_xor_b32_e32 v2, v2, v50
	v_cndmask_b32_e32 v0, v1, v3, vcc_lo
	s_delay_alu instid0(VALU_DEP_1) | instskip(NEXT) | instid1(VALU_DEP_1)
	v_xor_b32_e32 v0, v0, v2
	v_sub_nc_u32_e32 v0, v0, v2
	s_delay_alu instid0(VALU_DEP_1) | instskip(SKIP_1) | instid1(VALU_DEP_2)
	v_add_nc_u32_e32 v1, v0, v16
	v_cmp_gt_i32_e64 s0, v0, v52
	v_sub_nc_u32_e32 v2, 0, v1
	s_delay_alu instid0(VALU_DEP_1) | instskip(NEXT) | instid1(VALU_DEP_1)
	v_max_i32_e32 v2, v1, v2
	v_mul_hi_u32 v3, v2, v65
	s_delay_alu instid0(VALU_DEP_1) | instskip(NEXT) | instid1(VALU_DEP_1)
	v_mul_lo_u32 v3, v3, v30
	v_sub_nc_u32_e32 v2, v2, v3
	s_delay_alu instid0(VALU_DEP_1) | instskip(SKIP_1) | instid1(VALU_DEP_2)
	v_sub_nc_u32_e32 v3, v2, v30
	v_cmp_ge_u32_e32 vcc_lo, v2, v30
	v_cndmask_b32_e32 v2, v2, v3, vcc_lo
	v_ashrrev_i32_e32 v1, 31, v1
	s_delay_alu instid0(VALU_DEP_2) | instskip(SKIP_1) | instid1(VALU_DEP_2)
	v_sub_nc_u32_e32 v3, v2, v30
	v_cmp_ge_u32_e32 vcc_lo, v2, v30
	v_cndmask_b32_e32 v2, v2, v3, vcc_lo
	s_delay_alu instid0(VALU_DEP_1) | instskip(NEXT) | instid1(VALU_DEP_1)
	v_xor_b32_e32 v2, v2, v1
	v_sub_nc_u32_e32 v1, v2, v1
	s_delay_alu instid0(VALU_DEP_1) | instskip(SKIP_1) | instid1(SALU_CYCLE_1)
	v_cmp_eq_u32_e32 vcc_lo, 0, v1
	s_or_b32 s0, vcc_lo, s0
	s_and_saveexec_b32 s11, s0
	s_cbranch_execz .LBB440_1189
; %bb.1191:                             ;   in Loop: Header=BB440_1190 Depth=1
	flat_load_b32 v69, v[13:14]
	ds_load_2addr_b64 v[6:9], v15 offset1:1
	ds_load_2addr_b64 v[0:3], v15 offset0:2 offset1:3
	s_mov_b32 s0, exec_lo
                                        ; implicit-def: $vgpr66
	s_waitcnt lgkmcnt(1)
	v_and_b32_e32 v4, 0x7f800000, v6
	s_delay_alu instid0(VALU_DEP_1)
	v_cmpx_ne_u32_e32 0x7f800000, v4
	s_xor_b32 s0, exec_lo, s0
; %bb.1192:                             ;   in Loop: Header=BB440_1190 Depth=1
	v_bfe_u32 v4, v6, 16, 1
	s_delay_alu instid0(VALU_DEP_1)
	v_add3_u32 v66, v6, v4, 0x7fff
; %bb.1193:                             ;   in Loop: Header=BB440_1190 Depth=1
	s_and_not1_saveexec_b32 s0, s0
; %bb.1194:                             ;   in Loop: Header=BB440_1190 Depth=1
	v_and_b32_e32 v4, 0xffff, v6
	v_or_b32_e32 v5, 0x10000, v6
	s_delay_alu instid0(VALU_DEP_2) | instskip(NEXT) | instid1(VALU_DEP_2)
	v_cmp_eq_u32_e32 vcc_lo, 0, v4
	v_cndmask_b32_e32 v66, v5, v6, vcc_lo
; %bb.1195:                             ;   in Loop: Header=BB440_1190 Depth=1
	s_or_b32 exec_lo, exec_lo, s0
	v_and_b32_e32 v4, 0x7f800000, v7
	s_mov_b32 s0, exec_lo
                                        ; implicit-def: $vgpr67
	s_delay_alu instid0(VALU_DEP_1)
	v_cmpx_ne_u32_e32 0x7f800000, v4
	s_xor_b32 s0, exec_lo, s0
; %bb.1196:                             ;   in Loop: Header=BB440_1190 Depth=1
	v_bfe_u32 v4, v7, 16, 1
	s_delay_alu instid0(VALU_DEP_1)
	v_add3_u32 v67, v7, v4, 0x7fff
; %bb.1197:                             ;   in Loop: Header=BB440_1190 Depth=1
	s_and_not1_saveexec_b32 s0, s0
; %bb.1198:                             ;   in Loop: Header=BB440_1190 Depth=1
	v_and_b32_e32 v4, 0xffff, v7
	v_or_b32_e32 v5, 0x10000, v7
	s_delay_alu instid0(VALU_DEP_2) | instskip(NEXT) | instid1(VALU_DEP_2)
	v_cmp_eq_u32_e32 vcc_lo, 0, v4
	v_cndmask_b32_e32 v67, v5, v7, vcc_lo
; %bb.1199:                             ;   in Loop: Header=BB440_1190 Depth=1
	s_or_b32 exec_lo, exec_lo, s0
	v_and_b32_e32 v4, 0x7f800000, v8
	s_mov_b32 s0, exec_lo
                                        ; implicit-def: $vgpr68
	s_delay_alu instid0(VALU_DEP_1)
	v_cmpx_ne_u32_e32 0x7f800000, v4
	s_xor_b32 s0, exec_lo, s0
; %bb.1200:                             ;   in Loop: Header=BB440_1190 Depth=1
	v_bfe_u32 v4, v8, 16, 1
	s_delay_alu instid0(VALU_DEP_1)
	v_add3_u32 v68, v8, v4, 0x7fff
; %bb.1201:                             ;   in Loop: Header=BB440_1190 Depth=1
	s_and_not1_saveexec_b32 s0, s0
; %bb.1202:                             ;   in Loop: Header=BB440_1190 Depth=1
	v_and_b32_e32 v4, 0xffff, v8
	v_or_b32_e32 v5, 0x10000, v8
	s_delay_alu instid0(VALU_DEP_2) | instskip(NEXT) | instid1(VALU_DEP_2)
	v_cmp_eq_u32_e32 vcc_lo, 0, v4
	v_cndmask_b32_e32 v68, v5, v8, vcc_lo
; %bb.1203:                             ;   in Loop: Header=BB440_1190 Depth=1
	s_or_b32 exec_lo, exec_lo, s0
	v_and_b32_e32 v4, 0x7f800000, v9
	s_mov_b32 s0, exec_lo
                                        ; implicit-def: $vgpr39
	s_delay_alu instid0(VALU_DEP_1)
	v_cmpx_ne_u32_e32 0x7f800000, v4
	s_xor_b32 s0, exec_lo, s0
; %bb.1204:                             ;   in Loop: Header=BB440_1190 Depth=1
	v_bfe_u32 v4, v9, 16, 1
	s_delay_alu instid0(VALU_DEP_1)
	v_add3_u32 v39, v9, v4, 0x7fff
                                        ; implicit-def: $vgpr6_vgpr7_vgpr8_vgpr9
; %bb.1205:                             ;   in Loop: Header=BB440_1190 Depth=1
	s_and_not1_saveexec_b32 s0, s0
; %bb.1206:                             ;   in Loop: Header=BB440_1190 Depth=1
	v_and_b32_e32 v4, 0xffff, v9
	v_or_b32_e32 v5, 0x10000, v9
	s_delay_alu instid0(VALU_DEP_2) | instskip(NEXT) | instid1(VALU_DEP_2)
	v_cmp_eq_u32_e32 vcc_lo, 0, v4
	v_cndmask_b32_e32 v39, v5, v9, vcc_lo
; %bb.1207:                             ;   in Loop: Header=BB440_1190 Depth=1
	s_or_b32 exec_lo, exec_lo, s0
	s_waitcnt lgkmcnt(0)
	v_and_b32_e32 v4, 0x7f800000, v0
	s_mov_b32 s0, exec_lo
                                        ; implicit-def: $vgpr37
	s_delay_alu instid0(VALU_DEP_1)
	v_cmpx_ne_u32_e32 0x7f800000, v4
	s_xor_b32 s0, exec_lo, s0
; %bb.1208:                             ;   in Loop: Header=BB440_1190 Depth=1
	v_bfe_u32 v4, v0, 16, 1
	s_delay_alu instid0(VALU_DEP_1)
	v_add3_u32 v37, v0, v4, 0x7fff
; %bb.1209:                             ;   in Loop: Header=BB440_1190 Depth=1
	s_and_not1_saveexec_b32 s0, s0
; %bb.1210:                             ;   in Loop: Header=BB440_1190 Depth=1
	v_and_b32_e32 v4, 0xffff, v0
	v_or_b32_e32 v5, 0x10000, v0
	s_delay_alu instid0(VALU_DEP_2) | instskip(NEXT) | instid1(VALU_DEP_2)
	v_cmp_eq_u32_e32 vcc_lo, 0, v4
	v_cndmask_b32_e32 v37, v5, v0, vcc_lo
; %bb.1211:                             ;   in Loop: Header=BB440_1190 Depth=1
	s_or_b32 exec_lo, exec_lo, s0
	v_and_b32_e32 v0, 0x7f800000, v1
	s_mov_b32 s0, exec_lo
                                        ; implicit-def: $vgpr21
	s_delay_alu instid0(VALU_DEP_1)
	v_cmpx_ne_u32_e32 0x7f800000, v0
	s_xor_b32 s0, exec_lo, s0
; %bb.1212:                             ;   in Loop: Header=BB440_1190 Depth=1
	v_bfe_u32 v0, v1, 16, 1
	s_delay_alu instid0(VALU_DEP_1)
	v_add3_u32 v21, v1, v0, 0x7fff
; %bb.1213:                             ;   in Loop: Header=BB440_1190 Depth=1
	s_and_not1_saveexec_b32 s0, s0
; %bb.1214:                             ;   in Loop: Header=BB440_1190 Depth=1
	v_and_b32_e32 v0, 0xffff, v1
	v_or_b32_e32 v4, 0x10000, v1
	s_delay_alu instid0(VALU_DEP_2) | instskip(NEXT) | instid1(VALU_DEP_2)
	v_cmp_eq_u32_e32 vcc_lo, 0, v0
	v_cndmask_b32_e32 v21, v4, v1, vcc_lo
; %bb.1215:                             ;   in Loop: Header=BB440_1190 Depth=1
	s_or_b32 exec_lo, exec_lo, s0
	v_and_b32_e32 v0, 0x7f800000, v2
	s_mov_b32 s0, exec_lo
                                        ; implicit-def: $vgpr5
	s_delay_alu instid0(VALU_DEP_1)
	v_cmpx_ne_u32_e32 0x7f800000, v0
	s_xor_b32 s0, exec_lo, s0
; %bb.1216:                             ;   in Loop: Header=BB440_1190 Depth=1
	v_bfe_u32 v0, v2, 16, 1
	s_delay_alu instid0(VALU_DEP_1)
	v_add3_u32 v5, v2, v0, 0x7fff
; %bb.1217:                             ;   in Loop: Header=BB440_1190 Depth=1
	s_and_not1_saveexec_b32 s0, s0
; %bb.1218:                             ;   in Loop: Header=BB440_1190 Depth=1
	v_and_b32_e32 v0, 0xffff, v2
	v_or_b32_e32 v1, 0x10000, v2
	s_delay_alu instid0(VALU_DEP_2) | instskip(NEXT) | instid1(VALU_DEP_2)
	v_cmp_eq_u32_e32 vcc_lo, 0, v0
	v_cndmask_b32_e32 v5, v1, v2, vcc_lo
; %bb.1219:                             ;   in Loop: Header=BB440_1190 Depth=1
	s_or_b32 exec_lo, exec_lo, s0
	v_and_b32_e32 v0, 0x7f800000, v3
	s_mov_b32 s0, exec_lo
                                        ; implicit-def: $vgpr4
	s_delay_alu instid0(VALU_DEP_1)
	v_cmpx_ne_u32_e32 0x7f800000, v0
	s_xor_b32 s0, exec_lo, s0
; %bb.1220:                             ;   in Loop: Header=BB440_1190 Depth=1
	v_bfe_u32 v0, v3, 16, 1
	s_delay_alu instid0(VALU_DEP_1)
	v_add3_u32 v4, v3, v0, 0x7fff
                                        ; implicit-def: $vgpr0_vgpr1_vgpr2_vgpr3
; %bb.1221:                             ;   in Loop: Header=BB440_1190 Depth=1
	s_and_not1_saveexec_b32 s0, s0
; %bb.1222:                             ;   in Loop: Header=BB440_1190 Depth=1
	v_and_b32_e32 v0, 0xffff, v3
	v_or_b32_e32 v1, 0x10000, v3
	s_delay_alu instid0(VALU_DEP_2) | instskip(NEXT) | instid1(VALU_DEP_2)
	v_cmp_eq_u32_e32 vcc_lo, 0, v0
	v_cndmask_b32_e32 v4, v1, v3, vcc_lo
; %bb.1223:                             ;   in Loop: Header=BB440_1190 Depth=1
	s_or_b32 exec_lo, exec_lo, s0
	s_waitcnt vmcnt(0)
	v_mad_i64_i32 v[0:1], null, v69, v22, v[11:12]
	s_mov_b32 s0, exec_lo
	flat_load_b64 v[2:3], v[0:1]
	flat_load_b32 v8, v[26:27]
	s_waitcnt vmcnt(1) lgkmcnt(1)
	v_dual_mov_b32 v6, 0 :: v_dual_and_b32 v7, 0xff, v2
	s_delay_alu instid0(VALU_DEP_1)
	v_cmpx_ne_u16_e32 0, v7
	s_cbranch_execz .LBB440_1231
; %bb.1224:                             ;   in Loop: Header=BB440_1190 Depth=1
	v_bfrev_b32_e32 v6, 1
	s_mov_b32 s12, exec_lo
	v_cmpx_ne_u16_e32 0x80, v7
	s_cbranch_execz .LBB440_1230
; %bb.1225:                             ;   in Loop: Header=BB440_1190 Depth=1
	v_and_b32_e32 v7, 0x7f, v2
	v_mov_b32_e32 v6, 0x7f800001
	s_mov_b32 s13, exec_lo
	s_delay_alu instid0(VALU_DEP_2)
	v_cmpx_ne_u32_e32 0x7f, v7
	s_cbranch_execz .LBB440_1229
; %bb.1226:                             ;   in Loop: Header=BB440_1190 Depth=1
	v_lshrrev_b32_e32 v9, 3, v7
	v_cmp_gt_u32_e32 vcc_lo, 8, v7
	v_dual_mov_b32 v7, v3 :: v_dual_mov_b32 v6, v2
	s_and_saveexec_b32 s15, vcc_lo
; %bb.1227:                             ;   in Loop: Header=BB440_1190 Depth=1
	v_and_b32_e32 v6, 7, v2
	s_delay_alu instid0(VALU_DEP_1) | instskip(NEXT) | instid1(VALU_DEP_1)
	v_clz_i32_u32_e32 v6, v6
	v_min_u32_e32 v9, 32, v6
	s_delay_alu instid0(VALU_DEP_1) | instskip(SKIP_1) | instid1(VALU_DEP_2)
	v_subrev_nc_u32_e32 v6, 28, v9
	v_sub_nc_u32_e32 v9, 29, v9
	v_lshlrev_b64 v[6:7], v6, v[2:3]
; %bb.1228:                             ;   in Loop: Header=BB440_1190 Depth=1
	s_or_b32 exec_lo, exec_lo, s15
	s_delay_alu instid0(VALU_DEP_1) | instskip(SKIP_2) | instid1(VALU_DEP_3)
	v_lshlrev_b32_e32 v6, 20, v6
	v_lshlrev_b32_e32 v7, 24, v2
	v_lshl_add_u32 v9, v9, 23, 0x3c000000
	v_and_b32_e32 v6, 0x700000, v6
	s_delay_alu instid0(VALU_DEP_3) | instskip(NEXT) | instid1(VALU_DEP_1)
	v_and_b32_e32 v7, 0x80000000, v7
	v_or3_b32 v6, v6, v7, v9
.LBB440_1229:                           ;   in Loop: Header=BB440_1190 Depth=1
	s_or_b32 exec_lo, exec_lo, s13
.LBB440_1230:                           ;   in Loop: Header=BB440_1190 Depth=1
	s_delay_alu instid0(SALU_CYCLE_1)
	s_or_b32 exec_lo, exec_lo, s12
.LBB440_1231:                           ;   in Loop: Header=BB440_1190 Depth=1
	s_delay_alu instid0(SALU_CYCLE_1) | instskip(SKIP_3) | instid1(VALU_DEP_1)
	s_or_b32 exec_lo, exec_lo, s0
	s_waitcnt vmcnt(0) lgkmcnt(0)
	v_mul_f32_e32 v6, v8, v6
	s_mov_b32 s0, exec_lo
                                        ; implicit-def: $vgpr69
	v_and_b32_e32 v7, 0x7f800000, v6
	s_delay_alu instid0(VALU_DEP_1)
	v_cmpx_ne_u32_e32 0x7f800000, v7
	s_xor_b32 s0, exec_lo, s0
; %bb.1232:                             ;   in Loop: Header=BB440_1190 Depth=1
	v_bfe_u32 v7, v6, 16, 1
	s_delay_alu instid0(VALU_DEP_1)
	v_add3_u32 v69, v6, v7, 0x7fff
                                        ; implicit-def: $vgpr6
; %bb.1233:                             ;   in Loop: Header=BB440_1190 Depth=1
	s_and_not1_saveexec_b32 s0, s0
; %bb.1234:                             ;   in Loop: Header=BB440_1190 Depth=1
	v_and_b32_e32 v7, 0xffff, v6
	v_or_b32_e32 v9, 0x10000, v6
	s_delay_alu instid0(VALU_DEP_2) | instskip(NEXT) | instid1(VALU_DEP_2)
	v_cmp_eq_u32_e32 vcc_lo, 0, v7
	v_cndmask_b32_e32 v69, v9, v6, vcc_lo
; %bb.1235:                             ;   in Loop: Header=BB440_1190 Depth=1
	s_or_b32 exec_lo, exec_lo, s0
	v_lshrrev_b16 v7, 8, v2
	v_mov_b32_e32 v6, 0
	s_mov_b32 s0, exec_lo
	s_delay_alu instid0(VALU_DEP_2)
	v_cmpx_ne_u16_e32 0, v7
	s_cbranch_execz .LBB440_1243
; %bb.1236:                             ;   in Loop: Header=BB440_1190 Depth=1
	v_bfrev_b32_e32 v6, 1
	s_mov_b32 s12, exec_lo
	v_cmpx_ne_u16_e32 0x80, v7
	s_cbranch_execz .LBB440_1242
; %bb.1237:                             ;   in Loop: Header=BB440_1190 Depth=1
	v_and_b32_e32 v9, 0xffff, v7
	v_mov_b32_e32 v6, 0x7f800001
	s_mov_b32 s13, exec_lo
	s_delay_alu instid0(VALU_DEP_2) | instskip(NEXT) | instid1(VALU_DEP_1)
	v_and_b32_e32 v7, 0x7f, v9
	v_cmpx_ne_u32_e32 0x7f, v7
	s_cbranch_execz .LBB440_1241
; %bb.1238:                             ;   in Loop: Header=BB440_1190 Depth=1
	v_and_b32_e32 v9, 7, v9
	v_lshrrev_b32_e32 v6, 3, v7
	s_mov_b32 s15, exec_lo
	v_cmpx_gt_u32_e32 8, v7
; %bb.1239:                             ;   in Loop: Header=BB440_1190 Depth=1
	s_delay_alu instid0(VALU_DEP_3) | instskip(NEXT) | instid1(VALU_DEP_1)
	v_clz_i32_u32_e32 v6, v9
	v_min_u32_e32 v6, 32, v6
	s_delay_alu instid0(VALU_DEP_1) | instskip(SKIP_1) | instid1(VALU_DEP_2)
	v_subrev_nc_u32_e32 v7, 28, v6
	v_sub_nc_u32_e32 v6, 29, v6
	v_lshlrev_b64 v[70:71], v7, v[9:10]
	s_delay_alu instid0(VALU_DEP_1)
	v_and_b32_e32 v9, 7, v70
; %bb.1240:                             ;   in Loop: Header=BB440_1190 Depth=1
	s_or_b32 exec_lo, exec_lo, s15
	v_lshlrev_b32_e32 v7, 16, v2
	s_delay_alu instid0(VALU_DEP_2) | instskip(SKIP_1) | instid1(VALU_DEP_3)
	v_lshlrev_b32_e32 v9, 20, v9
	v_lshl_add_u32 v6, v6, 23, 0x3c000000
	v_and_b32_e32 v7, 0x80000000, v7
	s_delay_alu instid0(VALU_DEP_1)
	v_or3_b32 v6, v9, v7, v6
.LBB440_1241:                           ;   in Loop: Header=BB440_1190 Depth=1
	s_or_b32 exec_lo, exec_lo, s13
.LBB440_1242:                           ;   in Loop: Header=BB440_1190 Depth=1
	s_delay_alu instid0(SALU_CYCLE_1)
	s_or_b32 exec_lo, exec_lo, s12
.LBB440_1243:                           ;   in Loop: Header=BB440_1190 Depth=1
	s_delay_alu instid0(SALU_CYCLE_1) | instskip(NEXT) | instid1(VALU_DEP_1)
	s_or_b32 exec_lo, exec_lo, s0
	v_mul_f32_e32 v6, v8, v6
	s_mov_b32 s0, exec_lo
                                        ; implicit-def: $vgpr70
	s_delay_alu instid0(VALU_DEP_1) | instskip(NEXT) | instid1(VALU_DEP_1)
	v_and_b32_e32 v7, 0x7f800000, v6
	v_cmpx_ne_u32_e32 0x7f800000, v7
	s_xor_b32 s0, exec_lo, s0
; %bb.1244:                             ;   in Loop: Header=BB440_1190 Depth=1
	v_bfe_u32 v7, v6, 16, 1
	s_delay_alu instid0(VALU_DEP_1)
	v_add3_u32 v70, v6, v7, 0x7fff
                                        ; implicit-def: $vgpr6
; %bb.1245:                             ;   in Loop: Header=BB440_1190 Depth=1
	s_and_not1_saveexec_b32 s0, s0
; %bb.1246:                             ;   in Loop: Header=BB440_1190 Depth=1
	v_and_b32_e32 v7, 0xffff, v6
	v_or_b32_e32 v9, 0x10000, v6
	s_delay_alu instid0(VALU_DEP_2) | instskip(NEXT) | instid1(VALU_DEP_2)
	v_cmp_eq_u32_e32 vcc_lo, 0, v7
	v_cndmask_b32_e32 v70, v9, v6, vcc_lo
; %bb.1247:                             ;   in Loop: Header=BB440_1190 Depth=1
	s_or_b32 exec_lo, exec_lo, s0
	v_lshrrev_b32_e32 v6, 16, v2
	v_mov_b32_e32 v7, 0
	s_mov_b32 s0, exec_lo
	s_delay_alu instid0(VALU_DEP_2) | instskip(NEXT) | instid1(VALU_DEP_1)
	v_and_b32_e32 v9, 0xff, v6
	v_cmpx_ne_u16_e32 0, v9
	s_cbranch_execz .LBB440_1255
; %bb.1248:                             ;   in Loop: Header=BB440_1190 Depth=1
	v_bfrev_b32_e32 v7, 1
	s_mov_b32 s12, exec_lo
	v_cmpx_ne_u16_e32 0x80, v9
	s_cbranch_execz .LBB440_1254
; %bb.1249:                             ;   in Loop: Header=BB440_1190 Depth=1
	v_bfe_u32 v71, v2, 16, 7
	v_mov_b32_e32 v7, 0x7f800001
	s_mov_b32 s13, exec_lo
	s_delay_alu instid0(VALU_DEP_2)
	v_cmpx_ne_u32_e32 0x7f, v71
	s_cbranch_execz .LBB440_1253
; %bb.1250:                             ;   in Loop: Header=BB440_1190 Depth=1
	v_and_b32_e32 v9, 7, v6
	v_lshrrev_b32_e32 v7, 3, v71
	s_mov_b32 s15, exec_lo
	v_cmpx_gt_u32_e32 8, v71
; %bb.1251:                             ;   in Loop: Header=BB440_1190 Depth=1
	s_delay_alu instid0(VALU_DEP_3) | instskip(NEXT) | instid1(VALU_DEP_1)
	v_clz_i32_u32_e32 v7, v9
	v_min_u32_e32 v7, 32, v7
	s_delay_alu instid0(VALU_DEP_1) | instskip(SKIP_1) | instid1(VALU_DEP_2)
	v_subrev_nc_u32_e32 v71, 28, v7
	v_sub_nc_u32_e32 v7, 29, v7
	v_lshlrev_b64 v[80:81], v71, v[9:10]
	s_delay_alu instid0(VALU_DEP_1)
	v_and_b32_e32 v9, 7, v80
; %bb.1252:                             ;   in Loop: Header=BB440_1190 Depth=1
	s_or_b32 exec_lo, exec_lo, s15
	v_lshlrev_b32_e32 v6, 24, v6
	s_delay_alu instid0(VALU_DEP_2) | instskip(SKIP_1) | instid1(VALU_DEP_3)
	v_lshlrev_b32_e32 v9, 20, v9
	v_lshl_add_u32 v7, v7, 23, 0x3c000000
	v_and_b32_e32 v6, 0x80000000, v6
	s_delay_alu instid0(VALU_DEP_1)
	v_or3_b32 v7, v9, v6, v7
.LBB440_1253:                           ;   in Loop: Header=BB440_1190 Depth=1
	s_or_b32 exec_lo, exec_lo, s13
.LBB440_1254:                           ;   in Loop: Header=BB440_1190 Depth=1
	s_delay_alu instid0(SALU_CYCLE_1)
	s_or_b32 exec_lo, exec_lo, s12
.LBB440_1255:                           ;   in Loop: Header=BB440_1190 Depth=1
	s_delay_alu instid0(SALU_CYCLE_1) | instskip(NEXT) | instid1(VALU_DEP_1)
	s_or_b32 exec_lo, exec_lo, s0
	v_mul_f32_e32 v6, v8, v7
	s_mov_b32 s0, exec_lo
                                        ; implicit-def: $vgpr71
	s_delay_alu instid0(VALU_DEP_1) | instskip(NEXT) | instid1(VALU_DEP_1)
	v_and_b32_e32 v7, 0x7f800000, v6
	v_cmpx_ne_u32_e32 0x7f800000, v7
	s_xor_b32 s0, exec_lo, s0
; %bb.1256:                             ;   in Loop: Header=BB440_1190 Depth=1
	v_bfe_u32 v7, v6, 16, 1
	s_delay_alu instid0(VALU_DEP_1)
	v_add3_u32 v71, v6, v7, 0x7fff
                                        ; implicit-def: $vgpr6
; %bb.1257:                             ;   in Loop: Header=BB440_1190 Depth=1
	s_and_not1_saveexec_b32 s0, s0
; %bb.1258:                             ;   in Loop: Header=BB440_1190 Depth=1
	v_and_b32_e32 v7, 0xffff, v6
	v_or_b32_e32 v9, 0x10000, v6
	s_delay_alu instid0(VALU_DEP_2) | instskip(NEXT) | instid1(VALU_DEP_2)
	v_cmp_eq_u32_e32 vcc_lo, 0, v7
	v_cndmask_b32_e32 v71, v9, v6, vcc_lo
; %bb.1259:                             ;   in Loop: Header=BB440_1190 Depth=1
	s_or_b32 exec_lo, exec_lo, s0
	v_mov_b32_e32 v7, 0
	s_mov_b32 s0, exec_lo
	v_cmpx_lt_u32_e32 0xffffff, v2
	s_cbranch_execz .LBB440_1267
; %bb.1260:                             ;   in Loop: Header=BB440_1190 Depth=1
	v_lshrrev_b32_e32 v6, 24, v2
	v_bfrev_b32_e32 v7, 1
	s_mov_b32 s12, exec_lo
	s_delay_alu instid0(VALU_DEP_2)
	v_cmpx_ne_u32_e32 0x80, v6
	s_cbranch_execz .LBB440_1266
; %bb.1261:                             ;   in Loop: Header=BB440_1190 Depth=1
	v_bfe_u32 v80, v2, 24, 7
	v_mov_b32_e32 v7, 0x7f800001
	s_mov_b32 s13, exec_lo
	s_delay_alu instid0(VALU_DEP_2)
	v_cmpx_ne_u32_e32 0x7f, v80
	s_cbranch_execz .LBB440_1265
; %bb.1262:                             ;   in Loop: Header=BB440_1190 Depth=1
	v_and_b32_e32 v9, 7, v6
	v_lshrrev_b32_e32 v7, 3, v80
	s_mov_b32 s15, exec_lo
	v_cmpx_gt_u32_e32 8, v80
; %bb.1263:                             ;   in Loop: Header=BB440_1190 Depth=1
	s_delay_alu instid0(VALU_DEP_3) | instskip(NEXT) | instid1(VALU_DEP_1)
	v_clz_i32_u32_e32 v7, v9
	v_min_u32_e32 v7, 32, v7
	s_delay_alu instid0(VALU_DEP_1) | instskip(SKIP_1) | instid1(VALU_DEP_2)
	v_subrev_nc_u32_e32 v80, 28, v7
	v_sub_nc_u32_e32 v7, 29, v7
	v_lshlrev_b64 v[80:81], v80, v[9:10]
	s_delay_alu instid0(VALU_DEP_1)
	v_and_b32_e32 v9, 7, v80
; %bb.1264:                             ;   in Loop: Header=BB440_1190 Depth=1
	s_or_b32 exec_lo, exec_lo, s15
	v_lshlrev_b32_e32 v6, 24, v6
	s_delay_alu instid0(VALU_DEP_2) | instskip(SKIP_1) | instid1(VALU_DEP_3)
	v_lshlrev_b32_e32 v9, 20, v9
	v_lshl_add_u32 v7, v7, 23, 0x3c000000
	v_and_b32_e32 v6, 0x80000000, v6
	s_delay_alu instid0(VALU_DEP_1)
	v_or3_b32 v7, v9, v6, v7
.LBB440_1265:                           ;   in Loop: Header=BB440_1190 Depth=1
	s_or_b32 exec_lo, exec_lo, s13
.LBB440_1266:                           ;   in Loop: Header=BB440_1190 Depth=1
	s_delay_alu instid0(SALU_CYCLE_1)
	s_or_b32 exec_lo, exec_lo, s12
.LBB440_1267:                           ;   in Loop: Header=BB440_1190 Depth=1
	s_delay_alu instid0(SALU_CYCLE_1) | instskip(NEXT) | instid1(VALU_DEP_1)
	s_or_b32 exec_lo, exec_lo, s0
	v_mul_f32_e32 v6, v8, v7
	s_mov_b32 s0, exec_lo
                                        ; implicit-def: $vgpr80
	s_delay_alu instid0(VALU_DEP_1) | instskip(NEXT) | instid1(VALU_DEP_1)
	v_and_b32_e32 v7, 0x7f800000, v6
	v_cmpx_ne_u32_e32 0x7f800000, v7
	s_xor_b32 s0, exec_lo, s0
; %bb.1268:                             ;   in Loop: Header=BB440_1190 Depth=1
	v_bfe_u32 v7, v6, 16, 1
	s_delay_alu instid0(VALU_DEP_1)
	v_add3_u32 v80, v6, v7, 0x7fff
                                        ; implicit-def: $vgpr6
; %bb.1269:                             ;   in Loop: Header=BB440_1190 Depth=1
	s_and_not1_saveexec_b32 s0, s0
; %bb.1270:                             ;   in Loop: Header=BB440_1190 Depth=1
	v_and_b32_e32 v7, 0xffff, v6
	v_or_b32_e32 v9, 0x10000, v6
	s_delay_alu instid0(VALU_DEP_2) | instskip(NEXT) | instid1(VALU_DEP_2)
	v_cmp_eq_u32_e32 vcc_lo, 0, v7
	v_cndmask_b32_e32 v80, v9, v6, vcc_lo
; %bb.1271:                             ;   in Loop: Header=BB440_1190 Depth=1
	s_or_b32 exec_lo, exec_lo, s0
	v_dual_mov_b32 v6, 0 :: v_dual_and_b32 v7, 0xff, v3
	v_mov_b32_e32 v9, v3
	s_mov_b32 s0, exec_lo
	s_delay_alu instid0(VALU_DEP_2)
	v_cmpx_ne_u16_e32 0, v7
	s_cbranch_execz .LBB440_1279
; %bb.1272:                             ;   in Loop: Header=BB440_1190 Depth=1
	v_bfrev_b32_e32 v6, 1
	s_mov_b32 s12, exec_lo
	v_cmpx_ne_u16_e32 0x80, v7
	s_cbranch_execz .LBB440_1278
; %bb.1273:                             ;   in Loop: Header=BB440_1190 Depth=1
	v_and_b32_e32 v7, 0x7f, v3
	v_mov_b32_e32 v6, 0x7f800001
	s_mov_b32 s13, exec_lo
	s_delay_alu instid0(VALU_DEP_2)
	v_cmpx_ne_u32_e32 0x7f, v7
	s_cbranch_execz .LBB440_1277
; %bb.1274:                             ;   in Loop: Header=BB440_1190 Depth=1
	v_lshrrev_b32_e32 v81, 3, v7
	v_cmp_gt_u32_e32 vcc_lo, 8, v7
	v_dual_mov_b32 v6, v9 :: v_dual_mov_b32 v7, v10
	s_and_saveexec_b32 s15, vcc_lo
; %bb.1275:                             ;   in Loop: Header=BB440_1190 Depth=1
	v_and_b32_e32 v6, 7, v3
	s_delay_alu instid0(VALU_DEP_1) | instskip(NEXT) | instid1(VALU_DEP_1)
	v_clz_i32_u32_e32 v6, v6
	v_min_u32_e32 v81, 32, v6
	s_delay_alu instid0(VALU_DEP_1) | instskip(SKIP_1) | instid1(VALU_DEP_2)
	v_subrev_nc_u32_e32 v6, 28, v81
	v_sub_nc_u32_e32 v81, 29, v81
	v_lshlrev_b64 v[6:7], v6, v[9:10]
; %bb.1276:                             ;   in Loop: Header=BB440_1190 Depth=1
	s_or_b32 exec_lo, exec_lo, s15
	s_delay_alu instid0(VALU_DEP_1) | instskip(SKIP_2) | instid1(VALU_DEP_3)
	v_lshlrev_b32_e32 v6, 20, v6
	v_lshlrev_b32_e32 v7, 24, v9
	v_lshl_add_u32 v81, v81, 23, 0x3c000000
	v_and_b32_e32 v6, 0x700000, v6
	s_delay_alu instid0(VALU_DEP_3) | instskip(NEXT) | instid1(VALU_DEP_1)
	v_and_b32_e32 v7, 0x80000000, v7
	v_or3_b32 v6, v6, v7, v81
.LBB440_1277:                           ;   in Loop: Header=BB440_1190 Depth=1
	s_or_b32 exec_lo, exec_lo, s13
.LBB440_1278:                           ;   in Loop: Header=BB440_1190 Depth=1
	s_delay_alu instid0(SALU_CYCLE_1)
	s_or_b32 exec_lo, exec_lo, s12
.LBB440_1279:                           ;   in Loop: Header=BB440_1190 Depth=1
	s_delay_alu instid0(SALU_CYCLE_1) | instskip(NEXT) | instid1(VALU_DEP_1)
	s_or_b32 exec_lo, exec_lo, s0
	v_mul_f32_e32 v6, v8, v6
	s_mov_b32 s0, exec_lo
                                        ; implicit-def: $vgpr81
	s_delay_alu instid0(VALU_DEP_1) | instskip(NEXT) | instid1(VALU_DEP_1)
	v_and_b32_e32 v7, 0x7f800000, v6
	v_cmpx_ne_u32_e32 0x7f800000, v7
	s_xor_b32 s0, exec_lo, s0
; %bb.1280:                             ;   in Loop: Header=BB440_1190 Depth=1
	v_bfe_u32 v7, v6, 16, 1
	s_delay_alu instid0(VALU_DEP_1)
	v_add3_u32 v81, v6, v7, 0x7fff
                                        ; implicit-def: $vgpr6
; %bb.1281:                             ;   in Loop: Header=BB440_1190 Depth=1
	s_and_not1_saveexec_b32 s0, s0
; %bb.1282:                             ;   in Loop: Header=BB440_1190 Depth=1
	v_and_b32_e32 v7, 0xffff, v6
	v_or_b32_e32 v81, 0x10000, v6
	s_delay_alu instid0(VALU_DEP_2) | instskip(NEXT) | instid1(VALU_DEP_2)
	v_cmp_eq_u32_e32 vcc_lo, 0, v7
	v_cndmask_b32_e32 v81, v81, v6, vcc_lo
; %bb.1283:                             ;   in Loop: Header=BB440_1190 Depth=1
	s_or_b32 exec_lo, exec_lo, s0
	v_lshrrev_b16 v7, 8, v9
	v_mov_b32_e32 v6, 0
	s_mov_b32 s0, exec_lo
	s_delay_alu instid0(VALU_DEP_2)
	v_cmpx_ne_u16_e32 0, v7
	s_cbranch_execz .LBB440_1291
; %bb.1284:                             ;   in Loop: Header=BB440_1190 Depth=1
	v_bfrev_b32_e32 v6, 1
	s_mov_b32 s12, exec_lo
	v_cmpx_ne_u16_e32 0x80, v7
	s_cbranch_execz .LBB440_1290
; %bb.1285:                             ;   in Loop: Header=BB440_1190 Depth=1
	v_and_b32_e32 v7, 0xffff, v7
	v_mov_b32_e32 v6, 0x7f800001
	s_mov_b32 s13, exec_lo
	s_delay_alu instid0(VALU_DEP_2) | instskip(NEXT) | instid1(VALU_DEP_1)
	v_and_b32_e32 v83, 0x7f, v7
	v_cmpx_ne_u32_e32 0x7f, v83
	s_cbranch_execz .LBB440_1289
; %bb.1286:                             ;   in Loop: Header=BB440_1190 Depth=1
	v_dual_mov_b32 v7, v10 :: v_dual_and_b32 v6, 7, v7
	v_lshrrev_b32_e32 v82, 3, v83
	s_mov_b32 s15, exec_lo
	v_cmpx_gt_u32_e32 8, v83
; %bb.1287:                             ;   in Loop: Header=BB440_1190 Depth=1
	s_delay_alu instid0(VALU_DEP_3) | instskip(NEXT) | instid1(VALU_DEP_1)
	v_clz_i32_u32_e32 v82, v6
	v_min_u32_e32 v82, 32, v82
	s_delay_alu instid0(VALU_DEP_1) | instskip(SKIP_1) | instid1(VALU_DEP_2)
	v_subrev_nc_u32_e32 v83, 28, v82
	v_sub_nc_u32_e32 v82, 29, v82
	v_lshlrev_b64 v[6:7], v83, v[6:7]
	s_delay_alu instid0(VALU_DEP_1)
	v_and_b32_e32 v6, 7, v6
; %bb.1288:                             ;   in Loop: Header=BB440_1190 Depth=1
	s_or_b32 exec_lo, exec_lo, s15
	v_lshlrev_b32_e32 v7, 16, v9
	s_delay_alu instid0(VALU_DEP_2) | instskip(SKIP_1) | instid1(VALU_DEP_3)
	v_lshlrev_b32_e32 v6, 20, v6
	v_lshl_add_u32 v9, v82, 23, 0x3c000000
	v_and_b32_e32 v7, 0x80000000, v7
	s_delay_alu instid0(VALU_DEP_1)
	v_or3_b32 v6, v6, v7, v9
.LBB440_1289:                           ;   in Loop: Header=BB440_1190 Depth=1
	s_or_b32 exec_lo, exec_lo, s13
.LBB440_1290:                           ;   in Loop: Header=BB440_1190 Depth=1
	s_delay_alu instid0(SALU_CYCLE_1)
	s_or_b32 exec_lo, exec_lo, s12
.LBB440_1291:                           ;   in Loop: Header=BB440_1190 Depth=1
	s_delay_alu instid0(SALU_CYCLE_1) | instskip(NEXT) | instid1(VALU_DEP_1)
	s_or_b32 exec_lo, exec_lo, s0
	v_mul_f32_e32 v7, v8, v6
	s_delay_alu instid0(VALU_DEP_1) | instskip(NEXT) | instid1(VALU_DEP_1)
	v_and_b32_e32 v6, 0x7f800000, v7
	v_cmp_ne_u32_e32 vcc_lo, 0x7f800000, v6
                                        ; implicit-def: $vgpr6
	s_and_saveexec_b32 s0, vcc_lo
	s_delay_alu instid0(SALU_CYCLE_1)
	s_xor_b32 s0, exec_lo, s0
; %bb.1292:                             ;   in Loop: Header=BB440_1190 Depth=1
	v_bfe_u32 v6, v7, 16, 1
	s_delay_alu instid0(VALU_DEP_1)
	v_add3_u32 v6, v7, v6, 0x7fff
                                        ; implicit-def: $vgpr7
; %bb.1293:                             ;   in Loop: Header=BB440_1190 Depth=1
	s_and_not1_saveexec_b32 s0, s0
; %bb.1294:                             ;   in Loop: Header=BB440_1190 Depth=1
	v_and_b32_e32 v6, 0xffff, v7
	v_or_b32_e32 v9, 0x10000, v7
	s_delay_alu instid0(VALU_DEP_2) | instskip(NEXT) | instid1(VALU_DEP_2)
	v_cmp_eq_u32_e32 vcc_lo, 0, v6
	v_cndmask_b32_e32 v6, v9, v7, vcc_lo
; %bb.1295:                             ;   in Loop: Header=BB440_1190 Depth=1
	s_or_b32 exec_lo, exec_lo, s0
	v_lshrrev_b32_e32 v7, 16, v3
	s_mov_b32 s0, exec_lo
	s_delay_alu instid0(VALU_DEP_1) | instskip(NEXT) | instid1(VALU_DEP_1)
	v_dual_mov_b32 v9, 0 :: v_dual_and_b32 v82, 0xff, v7
	v_cmpx_ne_u16_e32 0, v82
	s_cbranch_execz .LBB440_1303
; %bb.1296:                             ;   in Loop: Header=BB440_1190 Depth=1
	v_bfrev_b32_e32 v9, 1
	s_mov_b32 s12, exec_lo
	v_cmpx_ne_u16_e32 0x80, v82
	s_cbranch_execz .LBB440_1302
; %bb.1297:                             ;   in Loop: Header=BB440_1190 Depth=1
	v_bfe_u32 v83, v3, 16, 7
	v_mov_b32_e32 v9, 0x7f800001
	s_mov_b32 s13, exec_lo
	s_delay_alu instid0(VALU_DEP_2)
	v_cmpx_ne_u32_e32 0x7f, v83
	s_cbranch_execz .LBB440_1301
; %bb.1298:                             ;   in Loop: Header=BB440_1190 Depth=1
	v_and_b32_e32 v9, 7, v7
	v_lshrrev_b32_e32 v82, 3, v83
	s_mov_b32 s15, exec_lo
	v_cmpx_gt_u32_e32 8, v83
; %bb.1299:                             ;   in Loop: Header=BB440_1190 Depth=1
	s_delay_alu instid0(VALU_DEP_3) | instskip(NEXT) | instid1(VALU_DEP_1)
	v_clz_i32_u32_e32 v82, v9
	v_min_u32_e32 v82, 32, v82
	s_delay_alu instid0(VALU_DEP_1) | instskip(SKIP_1) | instid1(VALU_DEP_2)
	v_subrev_nc_u32_e32 v83, 28, v82
	v_sub_nc_u32_e32 v82, 29, v82
	v_lshlrev_b64 v[83:84], v83, v[9:10]
	s_delay_alu instid0(VALU_DEP_1)
	v_and_b32_e32 v9, 7, v83
; %bb.1300:                             ;   in Loop: Header=BB440_1190 Depth=1
	s_or_b32 exec_lo, exec_lo, s15
	v_lshlrev_b32_e32 v7, 24, v7
	s_delay_alu instid0(VALU_DEP_2) | instskip(SKIP_1) | instid1(VALU_DEP_3)
	v_lshlrev_b32_e32 v9, 20, v9
	v_lshl_add_u32 v82, v82, 23, 0x3c000000
	v_and_b32_e32 v7, 0x80000000, v7
	s_delay_alu instid0(VALU_DEP_1)
	v_or3_b32 v9, v9, v7, v82
.LBB440_1301:                           ;   in Loop: Header=BB440_1190 Depth=1
	s_or_b32 exec_lo, exec_lo, s13
.LBB440_1302:                           ;   in Loop: Header=BB440_1190 Depth=1
	s_delay_alu instid0(SALU_CYCLE_1)
	s_or_b32 exec_lo, exec_lo, s12
.LBB440_1303:                           ;   in Loop: Header=BB440_1190 Depth=1
	s_delay_alu instid0(SALU_CYCLE_1) | instskip(NEXT) | instid1(VALU_DEP_1)
	s_or_b32 exec_lo, exec_lo, s0
	v_mul_f32_e32 v7, v8, v9
	s_mov_b32 s0, exec_lo
                                        ; implicit-def: $vgpr83
	s_delay_alu instid0(VALU_DEP_1) | instskip(NEXT) | instid1(VALU_DEP_1)
	v_and_b32_e32 v9, 0x7f800000, v7
	v_cmpx_ne_u32_e32 0x7f800000, v9
	s_xor_b32 s0, exec_lo, s0
; %bb.1304:                             ;   in Loop: Header=BB440_1190 Depth=1
	v_bfe_u32 v9, v7, 16, 1
	s_delay_alu instid0(VALU_DEP_1)
	v_add3_u32 v83, v7, v9, 0x7fff
                                        ; implicit-def: $vgpr7
; %bb.1305:                             ;   in Loop: Header=BB440_1190 Depth=1
	s_and_not1_saveexec_b32 s0, s0
; %bb.1306:                             ;   in Loop: Header=BB440_1190 Depth=1
	v_and_b32_e32 v9, 0xffff, v7
	v_or_b32_e32 v82, 0x10000, v7
	s_delay_alu instid0(VALU_DEP_2) | instskip(NEXT) | instid1(VALU_DEP_2)
	v_cmp_eq_u32_e32 vcc_lo, 0, v9
	v_cndmask_b32_e32 v83, v82, v7, vcc_lo
; %bb.1307:                             ;   in Loop: Header=BB440_1190 Depth=1
	s_or_b32 exec_lo, exec_lo, s0
	v_mov_b32_e32 v7, 0
	s_mov_b32 s0, exec_lo
	v_cmpx_lt_u64_e64 s[8:9], v[2:3]
	s_cbranch_execz .LBB440_1315
; %bb.1308:                             ;   in Loop: Header=BB440_1190 Depth=1
	v_lshrrev_b32_e32 v2, 24, v3
	v_bfrev_b32_e32 v7, 1
	s_mov_b32 s12, exec_lo
	s_delay_alu instid0(VALU_DEP_2)
	v_cmpx_ne_u32_e32 0x80, v2
	s_cbranch_execz .LBB440_1314
; %bb.1309:                             ;   in Loop: Header=BB440_1190 Depth=1
	v_bfe_u32 v82, v3, 24, 7
	v_mov_b32_e32 v7, 0x7f800001
	s_mov_b32 s13, exec_lo
	s_delay_alu instid0(VALU_DEP_2)
	v_cmpx_ne_u32_e32 0x7f, v82
	s_cbranch_execz .LBB440_1313
; %bb.1310:                             ;   in Loop: Header=BB440_1190 Depth=1
	v_and_b32_e32 v9, 7, v2
	v_lshrrev_b32_e32 v3, 3, v82
	s_mov_b32 s15, exec_lo
	v_cmpx_gt_u32_e32 8, v82
; %bb.1311:                             ;   in Loop: Header=BB440_1190 Depth=1
	s_delay_alu instid0(VALU_DEP_3) | instskip(NEXT) | instid1(VALU_DEP_1)
	v_clz_i32_u32_e32 v3, v9
	v_min_u32_e32 v3, 32, v3
	s_delay_alu instid0(VALU_DEP_1) | instskip(SKIP_1) | instid1(VALU_DEP_2)
	v_subrev_nc_u32_e32 v7, 28, v3
	v_sub_nc_u32_e32 v3, 29, v3
	v_lshlrev_b64 v[84:85], v7, v[9:10]
	s_delay_alu instid0(VALU_DEP_1)
	v_and_b32_e32 v9, 7, v84
; %bb.1312:                             ;   in Loop: Header=BB440_1190 Depth=1
	s_or_b32 exec_lo, exec_lo, s15
	v_lshlrev_b32_e32 v2, 24, v2
	s_delay_alu instid0(VALU_DEP_2) | instskip(SKIP_1) | instid1(VALU_DEP_3)
	v_lshlrev_b32_e32 v7, 20, v9
	v_lshl_add_u32 v3, v3, 23, 0x3c000000
	v_and_b32_e32 v2, 0x80000000, v2
	s_delay_alu instid0(VALU_DEP_1)
	v_or3_b32 v7, v7, v2, v3
.LBB440_1313:                           ;   in Loop: Header=BB440_1190 Depth=1
	s_or_b32 exec_lo, exec_lo, s13
.LBB440_1314:                           ;   in Loop: Header=BB440_1190 Depth=1
	s_delay_alu instid0(SALU_CYCLE_1)
	s_or_b32 exec_lo, exec_lo, s12
.LBB440_1315:                           ;   in Loop: Header=BB440_1190 Depth=1
	s_delay_alu instid0(SALU_CYCLE_1) | instskip(NEXT) | instid1(VALU_DEP_1)
	s_or_b32 exec_lo, exec_lo, s0
	v_mul_f32_e32 v3, v8, v7
	s_delay_alu instid0(VALU_DEP_1) | instskip(NEXT) | instid1(VALU_DEP_1)
	v_and_b32_e32 v2, 0x7f800000, v3
	v_cmp_ne_u32_e32 vcc_lo, 0x7f800000, v2
                                        ; implicit-def: $vgpr2
	s_and_saveexec_b32 s0, vcc_lo
	s_delay_alu instid0(SALU_CYCLE_1)
	s_xor_b32 s0, exec_lo, s0
; %bb.1316:                             ;   in Loop: Header=BB440_1190 Depth=1
	v_bfe_u32 v2, v3, 16, 1
	s_delay_alu instid0(VALU_DEP_1)
	v_add3_u32 v2, v3, v2, 0x7fff
                                        ; implicit-def: $vgpr3
; %bb.1317:                             ;   in Loop: Header=BB440_1190 Depth=1
	s_and_not1_saveexec_b32 s0, s0
; %bb.1318:                             ;   in Loop: Header=BB440_1190 Depth=1
	v_and_b32_e32 v2, 0xffff, v3
	v_or_b32_e32 v7, 0x10000, v3
	s_delay_alu instid0(VALU_DEP_2) | instskip(NEXT) | instid1(VALU_DEP_2)
	v_cmp_eq_u32_e32 vcc_lo, 0, v2
	v_cndmask_b32_e32 v2, v7, v3, vcc_lo
; %bb.1319:                             ;   in Loop: Header=BB440_1190 Depth=1
	s_or_b32 exec_lo, exec_lo, s0
	v_add_nc_u32_e32 v82, v18, v23
	v_cmp_eq_u32_e32 vcc_lo, v64, v17
	v_lshrrev_b32_e32 v6, 16, v6
	v_lshrrev_b32_e32 v7, 16, v81
	;; [unrolled: 1-line block ×8, first 2 shown]
	v_add_nc_u32_e32 v97, 1, v82
	v_add_nc_u32_e32 v96, 2, v82
	;; [unrolled: 1-line block ×7, first 2 shown]
	s_and_saveexec_b32 s12, vcc_lo
	s_cbranch_execz .LBB440_1321
; %bb.1320:                             ;   in Loop: Header=BB440_1190 Depth=1
	v_cmp_lt_i32_e64 s0, v82, v38
	s_delay_alu instid0(VALU_DEP_1) | instskip(SKIP_1) | instid1(VALU_DEP_1)
	v_cndmask_b32_e64 v69, 0, v69, s0
	v_cmp_lt_i32_e64 s0, v97, v38
	v_cndmask_b32_e64 v70, 0, v70, s0
	v_cmp_lt_i32_e64 s0, v96, v38
	s_delay_alu instid0(VALU_DEP_1) | instskip(SKIP_1) | instid1(VALU_DEP_1)
	v_cndmask_b32_e64 v71, 0, v71, s0
	v_cmp_lt_i32_e64 s0, v87, v38
	v_cndmask_b32_e64 v9, 0, v9, s0
	;; [unrolled: 5-line block ×4, first 2 shown]
.LBB440_1321:                           ;   in Loop: Header=BB440_1190 Depth=1
	s_or_b32 exec_lo, exec_lo, s12
	v_and_b32_e32 v98, 0xffff0000, v66
	v_lshlrev_b32_e32 v66, 16, v69
	s_delay_alu instid0(VALU_DEP_1) | instskip(NEXT) | instid1(VALU_DEP_1)
	v_mul_f32_e32 v69, v98, v66
	v_and_b32_e32 v66, 0x7f800000, v69
	s_delay_alu instid0(VALU_DEP_1) | instskip(NEXT) | instid1(VALU_DEP_1)
	v_cmp_ne_u32_e64 s0, 0x7f800000, v66
                                        ; implicit-def: $vgpr66
	s_and_saveexec_b32 s12, s0
	s_delay_alu instid0(SALU_CYCLE_1)
	s_xor_b32 s0, exec_lo, s12
; %bb.1322:                             ;   in Loop: Header=BB440_1190 Depth=1
	v_bfe_u32 v66, v69, 16, 1
	s_delay_alu instid0(VALU_DEP_1)
	v_add3_u32 v66, v69, v66, 0x7fff
                                        ; implicit-def: $vgpr69
; %bb.1323:                             ;   in Loop: Header=BB440_1190 Depth=1
	s_and_not1_saveexec_b32 s12, s0
; %bb.1324:                             ;   in Loop: Header=BB440_1190 Depth=1
	v_and_b32_e32 v66, 0xffff, v69
	v_or_b32_e32 v80, 0x10000, v69
	s_delay_alu instid0(VALU_DEP_2) | instskip(NEXT) | instid1(VALU_DEP_1)
	v_cmp_eq_u32_e64 s0, 0, v66
	v_cndmask_b32_e64 v66, v80, v69, s0
; %bb.1325:                             ;   in Loop: Header=BB440_1190 Depth=1
	s_or_b32 exec_lo, exec_lo, s12
	v_and_b32_e32 v99, 0xffff0000, v67
	v_lshlrev_b32_e32 v67, 16, v70
	s_delay_alu instid0(VALU_DEP_1) | instskip(NEXT) | instid1(VALU_DEP_1)
	v_mul_f32_e32 v69, v99, v67
	v_and_b32_e32 v67, 0x7f800000, v69
	s_delay_alu instid0(VALU_DEP_1) | instskip(NEXT) | instid1(VALU_DEP_1)
	v_cmp_ne_u32_e64 s0, 0x7f800000, v67
                                        ; implicit-def: $vgpr67
	s_and_saveexec_b32 s12, s0
	s_delay_alu instid0(SALU_CYCLE_1)
	s_xor_b32 s0, exec_lo, s12
; %bb.1326:                             ;   in Loop: Header=BB440_1190 Depth=1
	v_bfe_u32 v67, v69, 16, 1
	s_delay_alu instid0(VALU_DEP_1)
	v_add3_u32 v67, v69, v67, 0x7fff
                                        ; implicit-def: $vgpr69
; %bb.1327:                             ;   in Loop: Header=BB440_1190 Depth=1
	s_and_not1_saveexec_b32 s12, s0
; %bb.1328:                             ;   in Loop: Header=BB440_1190 Depth=1
	v_and_b32_e32 v67, 0xffff, v69
	v_or_b32_e32 v70, 0x10000, v69
	s_delay_alu instid0(VALU_DEP_2) | instskip(NEXT) | instid1(VALU_DEP_1)
	v_cmp_eq_u32_e64 s0, 0, v67
	v_cndmask_b32_e64 v67, v70, v69, s0
; %bb.1329:                             ;   in Loop: Header=BB440_1190 Depth=1
	s_or_b32 exec_lo, exec_lo, s12
	v_and_b32_e32 v100, 0xffff0000, v68
	v_lshlrev_b32_e32 v68, 16, v71
	s_delay_alu instid0(VALU_DEP_1) | instskip(NEXT) | instid1(VALU_DEP_1)
	v_mul_f32_e32 v69, v100, v68
	v_and_b32_e32 v68, 0x7f800000, v69
	s_delay_alu instid0(VALU_DEP_1) | instskip(NEXT) | instid1(VALU_DEP_1)
	v_cmp_ne_u32_e64 s0, 0x7f800000, v68
                                        ; implicit-def: $vgpr68
	s_and_saveexec_b32 s12, s0
	s_delay_alu instid0(SALU_CYCLE_1)
	s_xor_b32 s0, exec_lo, s12
; %bb.1330:                             ;   in Loop: Header=BB440_1190 Depth=1
	v_bfe_u32 v68, v69, 16, 1
	s_delay_alu instid0(VALU_DEP_1)
	v_add3_u32 v68, v69, v68, 0x7fff
                                        ; implicit-def: $vgpr69
; %bb.1331:                             ;   in Loop: Header=BB440_1190 Depth=1
	s_and_not1_saveexec_b32 s12, s0
; %bb.1332:                             ;   in Loop: Header=BB440_1190 Depth=1
	v_and_b32_e32 v68, 0xffff, v69
	v_or_b32_e32 v70, 0x10000, v69
	s_delay_alu instid0(VALU_DEP_2) | instskip(NEXT) | instid1(VALU_DEP_1)
	v_cmp_eq_u32_e64 s0, 0, v68
	v_cndmask_b32_e64 v68, v70, v69, s0
; %bb.1333:                             ;   in Loop: Header=BB440_1190 Depth=1
	s_or_b32 exec_lo, exec_lo, s12
	v_and_b32_e32 v101, 0xffff0000, v39
	v_lshlrev_b32_e32 v9, 16, v9
                                        ; implicit-def: $vgpr69
	s_delay_alu instid0(VALU_DEP_1) | instskip(NEXT) | instid1(VALU_DEP_1)
	v_mul_f32_e32 v9, v101, v9
	v_and_b32_e32 v39, 0x7f800000, v9
	s_delay_alu instid0(VALU_DEP_1) | instskip(NEXT) | instid1(VALU_DEP_1)
	v_cmp_ne_u32_e64 s0, 0x7f800000, v39
	s_and_saveexec_b32 s12, s0
	s_delay_alu instid0(SALU_CYCLE_1)
	s_xor_b32 s0, exec_lo, s12
; %bb.1334:                             ;   in Loop: Header=BB440_1190 Depth=1
	v_bfe_u32 v39, v9, 16, 1
	s_delay_alu instid0(VALU_DEP_1)
	v_add3_u32 v69, v9, v39, 0x7fff
                                        ; implicit-def: $vgpr9
; %bb.1335:                             ;   in Loop: Header=BB440_1190 Depth=1
	s_and_not1_saveexec_b32 s12, s0
; %bb.1336:                             ;   in Loop: Header=BB440_1190 Depth=1
	v_and_b32_e32 v39, 0xffff, v9
	v_or_b32_e32 v69, 0x10000, v9
	s_delay_alu instid0(VALU_DEP_2) | instskip(NEXT) | instid1(VALU_DEP_1)
	v_cmp_eq_u32_e64 s0, 0, v39
	v_cndmask_b32_e64 v69, v69, v9, s0
; %bb.1337:                             ;   in Loop: Header=BB440_1190 Depth=1
	s_or_b32 exec_lo, exec_lo, s12
	v_and_b32_e32 v102, 0xffff0000, v37
	v_lshlrev_b32_e32 v7, 16, v7
                                        ; implicit-def: $vgpr70
	s_delay_alu instid0(VALU_DEP_1) | instskip(NEXT) | instid1(VALU_DEP_1)
	v_mul_f32_e32 v7, v102, v7
	v_and_b32_e32 v9, 0x7f800000, v7
	s_delay_alu instid0(VALU_DEP_1) | instskip(NEXT) | instid1(VALU_DEP_1)
	v_cmp_ne_u32_e64 s0, 0x7f800000, v9
	s_and_saveexec_b32 s12, s0
	s_delay_alu instid0(SALU_CYCLE_1)
	s_xor_b32 s0, exec_lo, s12
; %bb.1338:                             ;   in Loop: Header=BB440_1190 Depth=1
	v_bfe_u32 v9, v7, 16, 1
	s_delay_alu instid0(VALU_DEP_1)
	v_add3_u32 v70, v7, v9, 0x7fff
                                        ; implicit-def: $vgpr7
; %bb.1339:                             ;   in Loop: Header=BB440_1190 Depth=1
	s_and_not1_saveexec_b32 s12, s0
; %bb.1340:                             ;   in Loop: Header=BB440_1190 Depth=1
	v_and_b32_e32 v9, 0xffff, v7
	v_or_b32_e32 v37, 0x10000, v7
	s_delay_alu instid0(VALU_DEP_2) | instskip(NEXT) | instid1(VALU_DEP_1)
	v_cmp_eq_u32_e64 s0, 0, v9
	v_cndmask_b32_e64 v70, v37, v7, s0
; %bb.1341:                             ;   in Loop: Header=BB440_1190 Depth=1
	s_or_b32 exec_lo, exec_lo, s12
	v_and_b32_e32 v103, 0xffff0000, v21
	v_lshlrev_b32_e32 v6, 16, v6
                                        ; implicit-def: $vgpr71
	s_delay_alu instid0(VALU_DEP_1) | instskip(NEXT) | instid1(VALU_DEP_1)
	v_mul_f32_e32 v6, v103, v6
	v_and_b32_e32 v7, 0x7f800000, v6
	s_delay_alu instid0(VALU_DEP_1) | instskip(NEXT) | instid1(VALU_DEP_1)
	v_cmp_ne_u32_e64 s0, 0x7f800000, v7
	s_and_saveexec_b32 s12, s0
	s_delay_alu instid0(SALU_CYCLE_1)
	s_xor_b32 s0, exec_lo, s12
; %bb.1342:                             ;   in Loop: Header=BB440_1190 Depth=1
	v_bfe_u32 v7, v6, 16, 1
	s_delay_alu instid0(VALU_DEP_1)
	v_add3_u32 v71, v6, v7, 0x7fff
                                        ; implicit-def: $vgpr6
; %bb.1343:                             ;   in Loop: Header=BB440_1190 Depth=1
	s_and_not1_saveexec_b32 s12, s0
; %bb.1344:                             ;   in Loop: Header=BB440_1190 Depth=1
	v_and_b32_e32 v7, 0xffff, v6
	v_or_b32_e32 v9, 0x10000, v6
	s_delay_alu instid0(VALU_DEP_2) | instskip(NEXT) | instid1(VALU_DEP_1)
	v_cmp_eq_u32_e64 s0, 0, v7
	v_cndmask_b32_e64 v71, v9, v6, s0
; %bb.1345:                             ;   in Loop: Header=BB440_1190 Depth=1
	s_or_b32 exec_lo, exec_lo, s12
	v_and_b32_e32 v112, 0xffff0000, v5
	v_lshlrev_b32_e32 v3, 16, v3
                                        ; implicit-def: $vgpr80
	s_delay_alu instid0(VALU_DEP_1) | instskip(NEXT) | instid1(VALU_DEP_1)
	v_mul_f32_e32 v3, v112, v3
	v_and_b32_e32 v5, 0x7f800000, v3
	s_delay_alu instid0(VALU_DEP_1) | instskip(NEXT) | instid1(VALU_DEP_1)
	v_cmp_ne_u32_e64 s0, 0x7f800000, v5
	s_and_saveexec_b32 s12, s0
	s_delay_alu instid0(SALU_CYCLE_1)
	s_xor_b32 s0, exec_lo, s12
; %bb.1346:                             ;   in Loop: Header=BB440_1190 Depth=1
	v_bfe_u32 v5, v3, 16, 1
	s_delay_alu instid0(VALU_DEP_1)
	v_add3_u32 v80, v3, v5, 0x7fff
                                        ; implicit-def: $vgpr3
; %bb.1347:                             ;   in Loop: Header=BB440_1190 Depth=1
	s_and_not1_saveexec_b32 s12, s0
; %bb.1348:                             ;   in Loop: Header=BB440_1190 Depth=1
	v_and_b32_e32 v5, 0xffff, v3
	v_or_b32_e32 v6, 0x10000, v3
	s_delay_alu instid0(VALU_DEP_2) | instskip(NEXT) | instid1(VALU_DEP_1)
	v_cmp_eq_u32_e64 s0, 0, v5
	v_cndmask_b32_e64 v80, v6, v3, s0
; %bb.1349:                             ;   in Loop: Header=BB440_1190 Depth=1
	s_or_b32 exec_lo, exec_lo, s12
	v_and_b32_e32 v113, 0xffff0000, v4
	v_lshlrev_b32_e32 v2, 16, v2
                                        ; implicit-def: $vgpr81
	s_delay_alu instid0(VALU_DEP_1) | instskip(NEXT) | instid1(VALU_DEP_1)
	v_mul_f32_e32 v2, v113, v2
	v_and_b32_e32 v3, 0x7f800000, v2
	s_delay_alu instid0(VALU_DEP_1) | instskip(NEXT) | instid1(VALU_DEP_1)
	v_cmp_ne_u32_e64 s0, 0x7f800000, v3
	s_and_saveexec_b32 s12, s0
	s_delay_alu instid0(SALU_CYCLE_1)
	s_xor_b32 s0, exec_lo, s12
; %bb.1350:                             ;   in Loop: Header=BB440_1190 Depth=1
	v_bfe_u32 v3, v2, 16, 1
	s_delay_alu instid0(VALU_DEP_1)
	v_add3_u32 v81, v2, v3, 0x7fff
                                        ; implicit-def: $vgpr2
; %bb.1351:                             ;   in Loop: Header=BB440_1190 Depth=1
	s_and_not1_saveexec_b32 s12, s0
; %bb.1352:                             ;   in Loop: Header=BB440_1190 Depth=1
	v_and_b32_e32 v3, 0xffff, v2
	v_or_b32_e32 v4, 0x10000, v2
	s_delay_alu instid0(VALU_DEP_2) | instskip(NEXT) | instid1(VALU_DEP_1)
	v_cmp_eq_u32_e64 s0, 0, v3
	v_cndmask_b32_e64 v81, v4, v2, s0
; %bb.1353:                             ;   in Loop: Header=BB440_1190 Depth=1
	s_or_b32 exec_lo, exec_lo, s12
	flat_load_b64 v[2:3], v[0:1] offset:256
	s_mov_b32 s12, exec_lo
	s_waitcnt vmcnt(0) lgkmcnt(0)
	v_dual_mov_b32 v4, 0 :: v_dual_and_b32 v5, 0xff, v2
	s_delay_alu instid0(VALU_DEP_1)
	v_cmpx_ne_u16_e32 0, v5
	s_cbranch_execz .LBB440_1361
; %bb.1354:                             ;   in Loop: Header=BB440_1190 Depth=1
	v_bfrev_b32_e32 v4, 1
	s_mov_b32 s13, exec_lo
	v_cmpx_ne_u16_e32 0x80, v5
	s_cbranch_execz .LBB440_1360
; %bb.1355:                             ;   in Loop: Header=BB440_1190 Depth=1
	v_and_b32_e32 v5, 0x7f, v2
	v_mov_b32_e32 v4, 0x7f800001
	s_mov_b32 s15, exec_lo
	s_delay_alu instid0(VALU_DEP_2)
	v_cmpx_ne_u32_e32 0x7f, v5
	s_cbranch_execz .LBB440_1359
; %bb.1356:                             ;   in Loop: Header=BB440_1190 Depth=1
	v_lshrrev_b32_e32 v4, 3, v5
	v_dual_mov_b32 v7, v3 :: v_dual_mov_b32 v6, v2
	s_mov_b32 s16, exec_lo
	v_cmpx_gt_u32_e32 8, v5
; %bb.1357:                             ;   in Loop: Header=BB440_1190 Depth=1
	v_and_b32_e32 v4, 7, v2
	s_delay_alu instid0(VALU_DEP_1) | instskip(NEXT) | instid1(VALU_DEP_1)
	v_clz_i32_u32_e32 v4, v4
	v_min_u32_e32 v4, 32, v4
	s_delay_alu instid0(VALU_DEP_1) | instskip(SKIP_1) | instid1(VALU_DEP_2)
	v_subrev_nc_u32_e32 v5, 28, v4
	v_sub_nc_u32_e32 v4, 29, v4
	v_lshlrev_b64 v[6:7], v5, v[2:3]
; %bb.1358:                             ;   in Loop: Header=BB440_1190 Depth=1
	s_or_b32 exec_lo, exec_lo, s16
	s_delay_alu instid0(VALU_DEP_1) | instskip(SKIP_2) | instid1(VALU_DEP_3)
	v_lshlrev_b32_e32 v5, 20, v6
	v_lshlrev_b32_e32 v6, 24, v2
	v_lshl_add_u32 v4, v4, 23, 0x3c000000
	v_and_b32_e32 v5, 0x700000, v5
	s_delay_alu instid0(VALU_DEP_3) | instskip(NEXT) | instid1(VALU_DEP_1)
	v_and_b32_e32 v6, 0x80000000, v6
	v_or3_b32 v4, v5, v6, v4
.LBB440_1359:                           ;   in Loop: Header=BB440_1190 Depth=1
	s_or_b32 exec_lo, exec_lo, s15
.LBB440_1360:                           ;   in Loop: Header=BB440_1190 Depth=1
	s_delay_alu instid0(SALU_CYCLE_1)
	s_or_b32 exec_lo, exec_lo, s13
.LBB440_1361:                           ;   in Loop: Header=BB440_1190 Depth=1
	s_delay_alu instid0(SALU_CYCLE_1) | instskip(NEXT) | instid1(VALU_DEP_1)
	s_or_b32 exec_lo, exec_lo, s12
	v_mul_f32_e32 v5, v8, v4
	s_delay_alu instid0(VALU_DEP_1) | instskip(NEXT) | instid1(VALU_DEP_1)
	v_and_b32_e32 v4, 0x7f800000, v5
	v_cmp_ne_u32_e64 s0, 0x7f800000, v4
                                        ; implicit-def: $vgpr4
	s_delay_alu instid0(VALU_DEP_1) | instskip(NEXT) | instid1(SALU_CYCLE_1)
	s_and_saveexec_b32 s12, s0
	s_xor_b32 s0, exec_lo, s12
; %bb.1362:                             ;   in Loop: Header=BB440_1190 Depth=1
	v_bfe_u32 v4, v5, 16, 1
	s_delay_alu instid0(VALU_DEP_1)
	v_add3_u32 v4, v5, v4, 0x7fff
                                        ; implicit-def: $vgpr5
; %bb.1363:                             ;   in Loop: Header=BB440_1190 Depth=1
	s_and_not1_saveexec_b32 s12, s0
; %bb.1364:                             ;   in Loop: Header=BB440_1190 Depth=1
	v_and_b32_e32 v4, 0xffff, v5
	v_or_b32_e32 v6, 0x10000, v5
	s_delay_alu instid0(VALU_DEP_2) | instskip(NEXT) | instid1(VALU_DEP_1)
	v_cmp_eq_u32_e64 s0, 0, v4
	v_cndmask_b32_e64 v4, v6, v5, s0
; %bb.1365:                             ;   in Loop: Header=BB440_1190 Depth=1
	s_or_b32 exec_lo, exec_lo, s12
	v_lshrrev_b16 v6, 8, v2
	v_mov_b32_e32 v5, 0
	s_mov_b32 s12, exec_lo
	s_delay_alu instid0(VALU_DEP_2)
	v_cmpx_ne_u16_e32 0, v6
	s_cbranch_execz .LBB440_1373
; %bb.1366:                             ;   in Loop: Header=BB440_1190 Depth=1
	v_bfrev_b32_e32 v5, 1
	s_mov_b32 s13, exec_lo
	v_cmpx_ne_u16_e32 0x80, v6
	s_cbranch_execz .LBB440_1372
; %bb.1367:                             ;   in Loop: Header=BB440_1190 Depth=1
	v_and_b32_e32 v7, 0xffff, v6
	v_mov_b32_e32 v5, 0x7f800001
	s_mov_b32 s15, exec_lo
	s_delay_alu instid0(VALU_DEP_2) | instskip(NEXT) | instid1(VALU_DEP_1)
	v_and_b32_e32 v6, 0x7f, v7
	v_cmpx_ne_u32_e32 0x7f, v6
	s_cbranch_execz .LBB440_1371
; %bb.1368:                             ;   in Loop: Header=BB440_1190 Depth=1
	v_and_b32_e32 v9, 7, v7
	v_lshrrev_b32_e32 v5, 3, v6
	s_mov_b32 s16, exec_lo
	v_cmpx_gt_u32_e32 8, v6
; %bb.1369:                             ;   in Loop: Header=BB440_1190 Depth=1
	s_delay_alu instid0(VALU_DEP_3) | instskip(NEXT) | instid1(VALU_DEP_1)
	v_clz_i32_u32_e32 v5, v9
	v_min_u32_e32 v5, 32, v5
	s_delay_alu instid0(VALU_DEP_1) | instskip(SKIP_1) | instid1(VALU_DEP_2)
	v_subrev_nc_u32_e32 v6, 28, v5
	v_sub_nc_u32_e32 v5, 29, v5
	v_lshlrev_b64 v[6:7], v6, v[9:10]
	s_delay_alu instid0(VALU_DEP_1)
	v_and_b32_e32 v9, 7, v6
; %bb.1370:                             ;   in Loop: Header=BB440_1190 Depth=1
	s_or_b32 exec_lo, exec_lo, s16
	v_lshlrev_b32_e32 v6, 16, v2
	s_delay_alu instid0(VALU_DEP_2) | instskip(SKIP_1) | instid1(VALU_DEP_3)
	v_lshlrev_b32_e32 v7, 20, v9
	v_lshl_add_u32 v5, v5, 23, 0x3c000000
	v_and_b32_e32 v6, 0x80000000, v6
	s_delay_alu instid0(VALU_DEP_1)
	v_or3_b32 v5, v7, v6, v5
.LBB440_1371:                           ;   in Loop: Header=BB440_1190 Depth=1
	s_or_b32 exec_lo, exec_lo, s15
.LBB440_1372:                           ;   in Loop: Header=BB440_1190 Depth=1
	s_delay_alu instid0(SALU_CYCLE_1)
	s_or_b32 exec_lo, exec_lo, s13
.LBB440_1373:                           ;   in Loop: Header=BB440_1190 Depth=1
	s_delay_alu instid0(SALU_CYCLE_1) | instskip(NEXT) | instid1(VALU_DEP_1)
	s_or_b32 exec_lo, exec_lo, s12
	v_mul_f32_e32 v6, v8, v5
	s_delay_alu instid0(VALU_DEP_1) | instskip(NEXT) | instid1(VALU_DEP_1)
	v_and_b32_e32 v5, 0x7f800000, v6
	v_cmp_ne_u32_e64 s0, 0x7f800000, v5
                                        ; implicit-def: $vgpr5
	s_delay_alu instid0(VALU_DEP_1) | instskip(NEXT) | instid1(SALU_CYCLE_1)
	s_and_saveexec_b32 s12, s0
	s_xor_b32 s0, exec_lo, s12
; %bb.1374:                             ;   in Loop: Header=BB440_1190 Depth=1
	v_bfe_u32 v5, v6, 16, 1
	s_delay_alu instid0(VALU_DEP_1)
	v_add3_u32 v5, v6, v5, 0x7fff
                                        ; implicit-def: $vgpr6
; %bb.1375:                             ;   in Loop: Header=BB440_1190 Depth=1
	s_and_not1_saveexec_b32 s12, s0
; %bb.1376:                             ;   in Loop: Header=BB440_1190 Depth=1
	v_and_b32_e32 v5, 0xffff, v6
	v_or_b32_e32 v7, 0x10000, v6
	s_delay_alu instid0(VALU_DEP_2) | instskip(NEXT) | instid1(VALU_DEP_1)
	v_cmp_eq_u32_e64 s0, 0, v5
	v_cndmask_b32_e64 v5, v7, v6, s0
; %bb.1377:                             ;   in Loop: Header=BB440_1190 Depth=1
	s_or_b32 exec_lo, exec_lo, s12
	v_lshrrev_b32_e32 v6, 16, v2
	v_mov_b32_e32 v7, 0
	s_mov_b32 s12, exec_lo
	s_delay_alu instid0(VALU_DEP_2) | instskip(NEXT) | instid1(VALU_DEP_1)
	v_and_b32_e32 v9, 0xff, v6
	v_cmpx_ne_u16_e32 0, v9
	s_cbranch_execz .LBB440_1385
; %bb.1378:                             ;   in Loop: Header=BB440_1190 Depth=1
	v_bfrev_b32_e32 v7, 1
	s_mov_b32 s13, exec_lo
	v_cmpx_ne_u16_e32 0x80, v9
	s_cbranch_execz .LBB440_1384
; %bb.1379:                             ;   in Loop: Header=BB440_1190 Depth=1
	v_bfe_u32 v21, v2, 16, 7
	v_mov_b32_e32 v7, 0x7f800001
	s_mov_b32 s15, exec_lo
	s_delay_alu instid0(VALU_DEP_2)
	v_cmpx_ne_u32_e32 0x7f, v21
	s_cbranch_execz .LBB440_1383
; %bb.1380:                             ;   in Loop: Header=BB440_1190 Depth=1
	v_and_b32_e32 v9, 7, v6
	v_lshrrev_b32_e32 v7, 3, v21
	s_mov_b32 s16, exec_lo
	v_cmpx_gt_u32_e32 8, v21
; %bb.1381:                             ;   in Loop: Header=BB440_1190 Depth=1
	s_delay_alu instid0(VALU_DEP_3) | instskip(NEXT) | instid1(VALU_DEP_1)
	v_clz_i32_u32_e32 v7, v9
	v_min_u32_e32 v7, 32, v7
	s_delay_alu instid0(VALU_DEP_1) | instskip(SKIP_1) | instid1(VALU_DEP_2)
	v_subrev_nc_u32_e32 v21, 28, v7
	v_sub_nc_u32_e32 v7, 29, v7
	v_lshlrev_b64 v[114:115], v21, v[9:10]
	s_delay_alu instid0(VALU_DEP_1)
	v_and_b32_e32 v9, 7, v114
; %bb.1382:                             ;   in Loop: Header=BB440_1190 Depth=1
	s_or_b32 exec_lo, exec_lo, s16
	v_lshlrev_b32_e32 v6, 24, v6
	s_delay_alu instid0(VALU_DEP_2) | instskip(SKIP_1) | instid1(VALU_DEP_3)
	v_lshlrev_b32_e32 v9, 20, v9
	v_lshl_add_u32 v7, v7, 23, 0x3c000000
	v_and_b32_e32 v6, 0x80000000, v6
	s_delay_alu instid0(VALU_DEP_1)
	v_or3_b32 v7, v9, v6, v7
.LBB440_1383:                           ;   in Loop: Header=BB440_1190 Depth=1
	s_or_b32 exec_lo, exec_lo, s15
.LBB440_1384:                           ;   in Loop: Header=BB440_1190 Depth=1
	s_delay_alu instid0(SALU_CYCLE_1)
	s_or_b32 exec_lo, exec_lo, s13
.LBB440_1385:                           ;   in Loop: Header=BB440_1190 Depth=1
	s_delay_alu instid0(SALU_CYCLE_1) | instskip(NEXT) | instid1(VALU_DEP_1)
	s_or_b32 exec_lo, exec_lo, s12
	v_mul_f32_e32 v6, v8, v7
                                        ; implicit-def: $vgpr21
	s_delay_alu instid0(VALU_DEP_1) | instskip(NEXT) | instid1(VALU_DEP_1)
	v_and_b32_e32 v7, 0x7f800000, v6
	v_cmp_ne_u32_e64 s0, 0x7f800000, v7
	s_delay_alu instid0(VALU_DEP_1) | instskip(NEXT) | instid1(SALU_CYCLE_1)
	s_and_saveexec_b32 s12, s0
	s_xor_b32 s0, exec_lo, s12
; %bb.1386:                             ;   in Loop: Header=BB440_1190 Depth=1
	v_bfe_u32 v7, v6, 16, 1
	s_delay_alu instid0(VALU_DEP_1)
	v_add3_u32 v21, v6, v7, 0x7fff
                                        ; implicit-def: $vgpr6
; %bb.1387:                             ;   in Loop: Header=BB440_1190 Depth=1
	s_and_not1_saveexec_b32 s12, s0
; %bb.1388:                             ;   in Loop: Header=BB440_1190 Depth=1
	v_and_b32_e32 v7, 0xffff, v6
	v_or_b32_e32 v9, 0x10000, v6
	s_delay_alu instid0(VALU_DEP_2) | instskip(NEXT) | instid1(VALU_DEP_1)
	v_cmp_eq_u32_e64 s0, 0, v7
	v_cndmask_b32_e64 v21, v9, v6, s0
; %bb.1389:                             ;   in Loop: Header=BB440_1190 Depth=1
	s_or_b32 exec_lo, exec_lo, s12
	v_mov_b32_e32 v7, 0
	s_mov_b32 s12, exec_lo
	v_cmpx_lt_u32_e32 0xffffff, v2
	s_cbranch_execz .LBB440_1397
; %bb.1390:                             ;   in Loop: Header=BB440_1190 Depth=1
	v_lshrrev_b32_e32 v6, 24, v2
	v_bfrev_b32_e32 v7, 1
	s_mov_b32 s13, exec_lo
	s_delay_alu instid0(VALU_DEP_2)
	v_cmpx_ne_u32_e32 0x80, v6
	s_cbranch_execz .LBB440_1396
; %bb.1391:                             ;   in Loop: Header=BB440_1190 Depth=1
	v_bfe_u32 v37, v2, 24, 7
	v_mov_b32_e32 v7, 0x7f800001
	s_mov_b32 s15, exec_lo
	s_delay_alu instid0(VALU_DEP_2)
	v_cmpx_ne_u32_e32 0x7f, v37
	s_cbranch_execz .LBB440_1395
; %bb.1392:                             ;   in Loop: Header=BB440_1190 Depth=1
	v_and_b32_e32 v9, 7, v6
	v_lshrrev_b32_e32 v7, 3, v37
	s_mov_b32 s16, exec_lo
	v_cmpx_gt_u32_e32 8, v37
; %bb.1393:                             ;   in Loop: Header=BB440_1190 Depth=1
	s_delay_alu instid0(VALU_DEP_3) | instskip(NEXT) | instid1(VALU_DEP_1)
	v_clz_i32_u32_e32 v7, v9
	v_min_u32_e32 v7, 32, v7
	s_delay_alu instid0(VALU_DEP_1) | instskip(SKIP_1) | instid1(VALU_DEP_2)
	v_subrev_nc_u32_e32 v37, 28, v7
	v_sub_nc_u32_e32 v7, 29, v7
	v_lshlrev_b64 v[114:115], v37, v[9:10]
	s_delay_alu instid0(VALU_DEP_1)
	v_and_b32_e32 v9, 7, v114
; %bb.1394:                             ;   in Loop: Header=BB440_1190 Depth=1
	s_or_b32 exec_lo, exec_lo, s16
	v_lshlrev_b32_e32 v6, 24, v6
	s_delay_alu instid0(VALU_DEP_2) | instskip(SKIP_1) | instid1(VALU_DEP_3)
	v_lshlrev_b32_e32 v9, 20, v9
	v_lshl_add_u32 v7, v7, 23, 0x3c000000
	v_and_b32_e32 v6, 0x80000000, v6
	s_delay_alu instid0(VALU_DEP_1)
	v_or3_b32 v7, v9, v6, v7
.LBB440_1395:                           ;   in Loop: Header=BB440_1190 Depth=1
	s_or_b32 exec_lo, exec_lo, s15
.LBB440_1396:                           ;   in Loop: Header=BB440_1190 Depth=1
	s_delay_alu instid0(SALU_CYCLE_1)
	s_or_b32 exec_lo, exec_lo, s13
.LBB440_1397:                           ;   in Loop: Header=BB440_1190 Depth=1
	s_delay_alu instid0(SALU_CYCLE_1) | instskip(NEXT) | instid1(VALU_DEP_1)
	s_or_b32 exec_lo, exec_lo, s12
	v_mul_f32_e32 v6, v8, v7
                                        ; implicit-def: $vgpr37
	s_delay_alu instid0(VALU_DEP_1) | instskip(NEXT) | instid1(VALU_DEP_1)
	v_and_b32_e32 v7, 0x7f800000, v6
	v_cmp_ne_u32_e64 s0, 0x7f800000, v7
	s_delay_alu instid0(VALU_DEP_1) | instskip(NEXT) | instid1(SALU_CYCLE_1)
	s_and_saveexec_b32 s12, s0
	s_xor_b32 s0, exec_lo, s12
; %bb.1398:                             ;   in Loop: Header=BB440_1190 Depth=1
	v_bfe_u32 v7, v6, 16, 1
	s_delay_alu instid0(VALU_DEP_1)
	v_add3_u32 v37, v6, v7, 0x7fff
                                        ; implicit-def: $vgpr6
; %bb.1399:                             ;   in Loop: Header=BB440_1190 Depth=1
	s_and_not1_saveexec_b32 s12, s0
; %bb.1400:                             ;   in Loop: Header=BB440_1190 Depth=1
	v_and_b32_e32 v7, 0xffff, v6
	v_or_b32_e32 v9, 0x10000, v6
	s_delay_alu instid0(VALU_DEP_2) | instskip(NEXT) | instid1(VALU_DEP_1)
	v_cmp_eq_u32_e64 s0, 0, v7
	v_cndmask_b32_e64 v37, v9, v6, s0
; %bb.1401:                             ;   in Loop: Header=BB440_1190 Depth=1
	s_or_b32 exec_lo, exec_lo, s12
	v_dual_mov_b32 v6, 0 :: v_dual_and_b32 v7, 0xff, v3
	v_mov_b32_e32 v9, v3
	s_mov_b32 s12, exec_lo
	s_delay_alu instid0(VALU_DEP_2)
	v_cmpx_ne_u16_e32 0, v7
	s_cbranch_execz .LBB440_1409
; %bb.1402:                             ;   in Loop: Header=BB440_1190 Depth=1
	v_bfrev_b32_e32 v6, 1
	s_mov_b32 s13, exec_lo
	v_cmpx_ne_u16_e32 0x80, v7
	s_cbranch_execz .LBB440_1408
; %bb.1403:                             ;   in Loop: Header=BB440_1190 Depth=1
	v_and_b32_e32 v7, 0x7f, v3
	v_mov_b32_e32 v6, 0x7f800001
	s_mov_b32 s15, exec_lo
	s_delay_alu instid0(VALU_DEP_2)
	v_cmpx_ne_u32_e32 0x7f, v7
	s_cbranch_execz .LBB440_1407
; %bb.1404:                             ;   in Loop: Header=BB440_1190 Depth=1
	v_lshrrev_b32_e32 v39, 3, v7
	v_cmp_gt_u32_e64 s0, 8, v7
	v_dual_mov_b32 v6, v9 :: v_dual_mov_b32 v7, v10
	s_delay_alu instid0(VALU_DEP_2)
	s_and_saveexec_b32 s16, s0
; %bb.1405:                             ;   in Loop: Header=BB440_1190 Depth=1
	v_and_b32_e32 v6, 7, v3
	s_delay_alu instid0(VALU_DEP_1) | instskip(NEXT) | instid1(VALU_DEP_1)
	v_clz_i32_u32_e32 v6, v6
	v_min_u32_e32 v39, 32, v6
	s_delay_alu instid0(VALU_DEP_1) | instskip(SKIP_1) | instid1(VALU_DEP_2)
	v_subrev_nc_u32_e32 v6, 28, v39
	v_sub_nc_u32_e32 v39, 29, v39
	v_lshlrev_b64 v[6:7], v6, v[9:10]
; %bb.1406:                             ;   in Loop: Header=BB440_1190 Depth=1
	s_or_b32 exec_lo, exec_lo, s16
	s_delay_alu instid0(VALU_DEP_1) | instskip(SKIP_2) | instid1(VALU_DEP_3)
	v_lshlrev_b32_e32 v6, 20, v6
	v_lshlrev_b32_e32 v7, 24, v9
	v_lshl_add_u32 v39, v39, 23, 0x3c000000
	v_and_b32_e32 v6, 0x700000, v6
	s_delay_alu instid0(VALU_DEP_3) | instskip(NEXT) | instid1(VALU_DEP_1)
	v_and_b32_e32 v7, 0x80000000, v7
	v_or3_b32 v6, v6, v7, v39
.LBB440_1407:                           ;   in Loop: Header=BB440_1190 Depth=1
	s_or_b32 exec_lo, exec_lo, s15
.LBB440_1408:                           ;   in Loop: Header=BB440_1190 Depth=1
	s_delay_alu instid0(SALU_CYCLE_1)
	s_or_b32 exec_lo, exec_lo, s13
.LBB440_1409:                           ;   in Loop: Header=BB440_1190 Depth=1
	s_delay_alu instid0(SALU_CYCLE_1) | instskip(NEXT) | instid1(VALU_DEP_1)
	s_or_b32 exec_lo, exec_lo, s12
	v_mul_f32_e32 v6, v8, v6
                                        ; implicit-def: $vgpr39
	s_delay_alu instid0(VALU_DEP_1) | instskip(NEXT) | instid1(VALU_DEP_1)
	v_and_b32_e32 v7, 0x7f800000, v6
	v_cmp_ne_u32_e64 s0, 0x7f800000, v7
	s_delay_alu instid0(VALU_DEP_1) | instskip(NEXT) | instid1(SALU_CYCLE_1)
	s_and_saveexec_b32 s12, s0
	s_xor_b32 s0, exec_lo, s12
; %bb.1410:                             ;   in Loop: Header=BB440_1190 Depth=1
	v_bfe_u32 v7, v6, 16, 1
	s_delay_alu instid0(VALU_DEP_1)
	v_add3_u32 v39, v6, v7, 0x7fff
                                        ; implicit-def: $vgpr6
; %bb.1411:                             ;   in Loop: Header=BB440_1190 Depth=1
	s_and_not1_saveexec_b32 s12, s0
; %bb.1412:                             ;   in Loop: Header=BB440_1190 Depth=1
	v_and_b32_e32 v7, 0xffff, v6
	v_or_b32_e32 v39, 0x10000, v6
	s_delay_alu instid0(VALU_DEP_2) | instskip(NEXT) | instid1(VALU_DEP_1)
	v_cmp_eq_u32_e64 s0, 0, v7
	v_cndmask_b32_e64 v39, v39, v6, s0
; %bb.1413:                             ;   in Loop: Header=BB440_1190 Depth=1
	s_or_b32 exec_lo, exec_lo, s12
	v_lshrrev_b16 v7, 8, v9
	v_mov_b32_e32 v6, 0
	s_mov_b32 s12, exec_lo
	s_delay_alu instid0(VALU_DEP_2)
	v_cmpx_ne_u16_e32 0, v7
	s_cbranch_execz .LBB440_1421
; %bb.1414:                             ;   in Loop: Header=BB440_1190 Depth=1
	v_bfrev_b32_e32 v6, 1
	s_mov_b32 s13, exec_lo
	v_cmpx_ne_u16_e32 0x80, v7
	s_cbranch_execz .LBB440_1420
; %bb.1415:                             ;   in Loop: Header=BB440_1190 Depth=1
	v_and_b32_e32 v7, 0xffff, v7
	v_mov_b32_e32 v6, 0x7f800001
	s_mov_b32 s15, exec_lo
	s_delay_alu instid0(VALU_DEP_2) | instskip(NEXT) | instid1(VALU_DEP_1)
	v_and_b32_e32 v115, 0x7f, v7
	v_cmpx_ne_u32_e32 0x7f, v115
	s_cbranch_execz .LBB440_1419
; %bb.1416:                             ;   in Loop: Header=BB440_1190 Depth=1
	v_dual_mov_b32 v7, v10 :: v_dual_and_b32 v6, 7, v7
	v_lshrrev_b32_e32 v114, 3, v115
	s_mov_b32 s16, exec_lo
	v_cmpx_gt_u32_e32 8, v115
; %bb.1417:                             ;   in Loop: Header=BB440_1190 Depth=1
	s_delay_alu instid0(VALU_DEP_3) | instskip(NEXT) | instid1(VALU_DEP_1)
	v_clz_i32_u32_e32 v114, v6
	v_min_u32_e32 v114, 32, v114
	s_delay_alu instid0(VALU_DEP_1) | instskip(SKIP_1) | instid1(VALU_DEP_2)
	v_subrev_nc_u32_e32 v115, 28, v114
	v_sub_nc_u32_e32 v114, 29, v114
	v_lshlrev_b64 v[6:7], v115, v[6:7]
	s_delay_alu instid0(VALU_DEP_1)
	v_and_b32_e32 v6, 7, v6
; %bb.1418:                             ;   in Loop: Header=BB440_1190 Depth=1
	s_or_b32 exec_lo, exec_lo, s16
	v_lshlrev_b32_e32 v7, 16, v9
	s_delay_alu instid0(VALU_DEP_2) | instskip(SKIP_1) | instid1(VALU_DEP_3)
	v_lshlrev_b32_e32 v6, 20, v6
	v_lshl_add_u32 v9, v114, 23, 0x3c000000
	v_and_b32_e32 v7, 0x80000000, v7
	s_delay_alu instid0(VALU_DEP_1)
	v_or3_b32 v6, v6, v7, v9
.LBB440_1419:                           ;   in Loop: Header=BB440_1190 Depth=1
	s_or_b32 exec_lo, exec_lo, s15
.LBB440_1420:                           ;   in Loop: Header=BB440_1190 Depth=1
	s_delay_alu instid0(SALU_CYCLE_1)
	s_or_b32 exec_lo, exec_lo, s13
.LBB440_1421:                           ;   in Loop: Header=BB440_1190 Depth=1
	s_delay_alu instid0(SALU_CYCLE_1) | instskip(NEXT) | instid1(VALU_DEP_1)
	s_or_b32 exec_lo, exec_lo, s12
	v_mul_f32_e32 v7, v8, v6
	s_delay_alu instid0(VALU_DEP_1) | instskip(NEXT) | instid1(VALU_DEP_1)
	v_and_b32_e32 v6, 0x7f800000, v7
	v_cmp_ne_u32_e64 s0, 0x7f800000, v6
                                        ; implicit-def: $vgpr6
	s_delay_alu instid0(VALU_DEP_1) | instskip(NEXT) | instid1(SALU_CYCLE_1)
	s_and_saveexec_b32 s12, s0
	s_xor_b32 s0, exec_lo, s12
; %bb.1422:                             ;   in Loop: Header=BB440_1190 Depth=1
	v_bfe_u32 v6, v7, 16, 1
	s_delay_alu instid0(VALU_DEP_1)
	v_add3_u32 v6, v7, v6, 0x7fff
                                        ; implicit-def: $vgpr7
; %bb.1423:                             ;   in Loop: Header=BB440_1190 Depth=1
	s_and_not1_saveexec_b32 s12, s0
; %bb.1424:                             ;   in Loop: Header=BB440_1190 Depth=1
	v_and_b32_e32 v6, 0xffff, v7
	v_or_b32_e32 v9, 0x10000, v7
	s_delay_alu instid0(VALU_DEP_2) | instskip(NEXT) | instid1(VALU_DEP_1)
	v_cmp_eq_u32_e64 s0, 0, v6
	v_cndmask_b32_e64 v6, v9, v7, s0
; %bb.1425:                             ;   in Loop: Header=BB440_1190 Depth=1
	s_or_b32 exec_lo, exec_lo, s12
	v_lshrrev_b32_e32 v7, 16, v3
	s_mov_b32 s12, exec_lo
	s_delay_alu instid0(VALU_DEP_1) | instskip(NEXT) | instid1(VALU_DEP_1)
	v_dual_mov_b32 v9, 0 :: v_dual_and_b32 v114, 0xff, v7
	v_cmpx_ne_u16_e32 0, v114
	s_cbranch_execz .LBB440_1433
; %bb.1426:                             ;   in Loop: Header=BB440_1190 Depth=1
	v_bfrev_b32_e32 v9, 1
	s_mov_b32 s13, exec_lo
	v_cmpx_ne_u16_e32 0x80, v114
	s_cbranch_execz .LBB440_1432
; %bb.1427:                             ;   in Loop: Header=BB440_1190 Depth=1
	v_bfe_u32 v115, v3, 16, 7
	v_mov_b32_e32 v9, 0x7f800001
	s_mov_b32 s15, exec_lo
	s_delay_alu instid0(VALU_DEP_2)
	v_cmpx_ne_u32_e32 0x7f, v115
	s_cbranch_execz .LBB440_1431
; %bb.1428:                             ;   in Loop: Header=BB440_1190 Depth=1
	v_and_b32_e32 v9, 7, v7
	v_lshrrev_b32_e32 v114, 3, v115
	s_mov_b32 s16, exec_lo
	v_cmpx_gt_u32_e32 8, v115
; %bb.1429:                             ;   in Loop: Header=BB440_1190 Depth=1
	s_delay_alu instid0(VALU_DEP_3) | instskip(NEXT) | instid1(VALU_DEP_1)
	v_clz_i32_u32_e32 v114, v9
	v_min_u32_e32 v114, 32, v114
	s_delay_alu instid0(VALU_DEP_1) | instskip(SKIP_1) | instid1(VALU_DEP_2)
	v_subrev_nc_u32_e32 v115, 28, v114
	v_sub_nc_u32_e32 v114, 29, v114
	v_lshlrev_b64 v[115:116], v115, v[9:10]
	s_delay_alu instid0(VALU_DEP_1)
	v_and_b32_e32 v9, 7, v115
; %bb.1430:                             ;   in Loop: Header=BB440_1190 Depth=1
	s_or_b32 exec_lo, exec_lo, s16
	v_lshlrev_b32_e32 v7, 24, v7
	s_delay_alu instid0(VALU_DEP_2) | instskip(SKIP_1) | instid1(VALU_DEP_3)
	v_lshlrev_b32_e32 v9, 20, v9
	v_lshl_add_u32 v114, v114, 23, 0x3c000000
	v_and_b32_e32 v7, 0x80000000, v7
	s_delay_alu instid0(VALU_DEP_1)
	v_or3_b32 v9, v9, v7, v114
.LBB440_1431:                           ;   in Loop: Header=BB440_1190 Depth=1
	s_or_b32 exec_lo, exec_lo, s15
.LBB440_1432:                           ;   in Loop: Header=BB440_1190 Depth=1
	s_delay_alu instid0(SALU_CYCLE_1)
	s_or_b32 exec_lo, exec_lo, s13
.LBB440_1433:                           ;   in Loop: Header=BB440_1190 Depth=1
	s_delay_alu instid0(SALU_CYCLE_1) | instskip(NEXT) | instid1(VALU_DEP_1)
	s_or_b32 exec_lo, exec_lo, s12
	v_mul_f32_e32 v7, v8, v9
                                        ; implicit-def: $vgpr114
	s_delay_alu instid0(VALU_DEP_1) | instskip(NEXT) | instid1(VALU_DEP_1)
	v_and_b32_e32 v9, 0x7f800000, v7
	v_cmp_ne_u32_e64 s0, 0x7f800000, v9
	s_delay_alu instid0(VALU_DEP_1) | instskip(NEXT) | instid1(SALU_CYCLE_1)
	s_and_saveexec_b32 s12, s0
	s_xor_b32 s0, exec_lo, s12
; %bb.1434:                             ;   in Loop: Header=BB440_1190 Depth=1
	v_bfe_u32 v9, v7, 16, 1
	s_delay_alu instid0(VALU_DEP_1)
	v_add3_u32 v114, v7, v9, 0x7fff
                                        ; implicit-def: $vgpr7
; %bb.1435:                             ;   in Loop: Header=BB440_1190 Depth=1
	s_and_not1_saveexec_b32 s12, s0
; %bb.1436:                             ;   in Loop: Header=BB440_1190 Depth=1
	v_and_b32_e32 v9, 0xffff, v7
	v_or_b32_e32 v114, 0x10000, v7
	s_delay_alu instid0(VALU_DEP_2) | instskip(NEXT) | instid1(VALU_DEP_1)
	v_cmp_eq_u32_e64 s0, 0, v9
	v_cndmask_b32_e64 v114, v114, v7, s0
; %bb.1437:                             ;   in Loop: Header=BB440_1190 Depth=1
	s_or_b32 exec_lo, exec_lo, s12
	v_mov_b32_e32 v7, 0
	s_mov_b32 s12, exec_lo
	v_cmpx_lt_u64_e64 s[8:9], v[2:3]
	s_cbranch_execz .LBB440_1445
; %bb.1438:                             ;   in Loop: Header=BB440_1190 Depth=1
	v_lshrrev_b32_e32 v2, 24, v3
	v_bfrev_b32_e32 v7, 1
	s_mov_b32 s13, exec_lo
	s_delay_alu instid0(VALU_DEP_2)
	v_cmpx_ne_u32_e32 0x80, v2
	s_cbranch_execz .LBB440_1444
; %bb.1439:                             ;   in Loop: Header=BB440_1190 Depth=1
	v_bfe_u32 v115, v3, 24, 7
	v_mov_b32_e32 v7, 0x7f800001
	s_mov_b32 s15, exec_lo
	s_delay_alu instid0(VALU_DEP_2)
	v_cmpx_ne_u32_e32 0x7f, v115
	s_cbranch_execz .LBB440_1443
; %bb.1440:                             ;   in Loop: Header=BB440_1190 Depth=1
	v_and_b32_e32 v9, 7, v2
	v_lshrrev_b32_e32 v3, 3, v115
	s_mov_b32 s16, exec_lo
	v_cmpx_gt_u32_e32 8, v115
; %bb.1441:                             ;   in Loop: Header=BB440_1190 Depth=1
	s_delay_alu instid0(VALU_DEP_3) | instskip(NEXT) | instid1(VALU_DEP_1)
	v_clz_i32_u32_e32 v3, v9
	v_min_u32_e32 v3, 32, v3
	s_delay_alu instid0(VALU_DEP_1) | instskip(SKIP_1) | instid1(VALU_DEP_2)
	v_subrev_nc_u32_e32 v7, 28, v3
	v_sub_nc_u32_e32 v3, 29, v3
	v_lshlrev_b64 v[115:116], v7, v[9:10]
	s_delay_alu instid0(VALU_DEP_1)
	v_and_b32_e32 v9, 7, v115
; %bb.1442:                             ;   in Loop: Header=BB440_1190 Depth=1
	s_or_b32 exec_lo, exec_lo, s16
	v_lshlrev_b32_e32 v2, 24, v2
	s_delay_alu instid0(VALU_DEP_2) | instskip(SKIP_1) | instid1(VALU_DEP_3)
	v_lshlrev_b32_e32 v7, 20, v9
	v_lshl_add_u32 v3, v3, 23, 0x3c000000
	v_and_b32_e32 v2, 0x80000000, v2
	s_delay_alu instid0(VALU_DEP_1)
	v_or3_b32 v7, v7, v2, v3
.LBB440_1443:                           ;   in Loop: Header=BB440_1190 Depth=1
	s_or_b32 exec_lo, exec_lo, s15
.LBB440_1444:                           ;   in Loop: Header=BB440_1190 Depth=1
	s_delay_alu instid0(SALU_CYCLE_1)
	s_or_b32 exec_lo, exec_lo, s13
.LBB440_1445:                           ;   in Loop: Header=BB440_1190 Depth=1
	s_delay_alu instid0(SALU_CYCLE_1) | instskip(NEXT) | instid1(VALU_DEP_1)
	s_or_b32 exec_lo, exec_lo, s12
	v_mul_f32_e32 v3, v8, v7
	s_delay_alu instid0(VALU_DEP_1) | instskip(NEXT) | instid1(VALU_DEP_1)
	v_and_b32_e32 v2, 0x7f800000, v3
	v_cmp_ne_u32_e64 s0, 0x7f800000, v2
                                        ; implicit-def: $vgpr2
	s_delay_alu instid0(VALU_DEP_1) | instskip(NEXT) | instid1(SALU_CYCLE_1)
	s_and_saveexec_b32 s12, s0
	s_xor_b32 s0, exec_lo, s12
; %bb.1446:                             ;   in Loop: Header=BB440_1190 Depth=1
	v_bfe_u32 v2, v3, 16, 1
	s_delay_alu instid0(VALU_DEP_1)
	v_add3_u32 v2, v3, v2, 0x7fff
                                        ; implicit-def: $vgpr3
; %bb.1447:                             ;   in Loop: Header=BB440_1190 Depth=1
	s_and_not1_saveexec_b32 s12, s0
; %bb.1448:                             ;   in Loop: Header=BB440_1190 Depth=1
	v_and_b32_e32 v2, 0xffff, v3
	v_or_b32_e32 v7, 0x10000, v3
	s_delay_alu instid0(VALU_DEP_2) | instskip(NEXT) | instid1(VALU_DEP_1)
	v_cmp_eq_u32_e64 s0, 0, v2
	v_cndmask_b32_e64 v2, v7, v3, s0
; %bb.1449:                             ;   in Loop: Header=BB440_1190 Depth=1
	s_or_b32 exec_lo, exec_lo, s12
	v_lshrrev_b32_e32 v6, 16, v6
	v_lshrrev_b32_e32 v7, 16, v39
	;; [unrolled: 1-line block ×8, first 2 shown]
	s_and_saveexec_b32 s12, vcc_lo
	s_cbranch_execz .LBB440_1451
; %bb.1450:                             ;   in Loop: Header=BB440_1190 Depth=1
	v_cmp_lt_i32_e64 s0, v82, v38
	s_delay_alu instid0(VALU_DEP_1) | instskip(SKIP_1) | instid1(VALU_DEP_1)
	v_cndmask_b32_e64 v4, 0, v4, s0
	v_cmp_lt_i32_e64 s0, v97, v38
	v_cndmask_b32_e64 v5, 0, v5, s0
	v_cmp_lt_i32_e64 s0, v96, v38
	s_delay_alu instid0(VALU_DEP_1) | instskip(SKIP_1) | instid1(VALU_DEP_1)
	v_cndmask_b32_e64 v21, 0, v21, s0
	v_cmp_lt_i32_e64 s0, v87, v38
	v_cndmask_b32_e64 v9, 0, v9, s0
	;; [unrolled: 5-line block ×4, first 2 shown]
.LBB440_1451:                           ;   in Loop: Header=BB440_1190 Depth=1
	s_or_b32 exec_lo, exec_lo, s12
	v_lshlrev_b32_e32 v4, 16, v4
                                        ; implicit-def: $vgpr114
	s_delay_alu instid0(VALU_DEP_1) | instskip(NEXT) | instid1(VALU_DEP_1)
	v_mul_f32_e32 v4, v98, v4
	v_and_b32_e32 v37, 0x7f800000, v4
	s_delay_alu instid0(VALU_DEP_1) | instskip(NEXT) | instid1(VALU_DEP_1)
	v_cmp_ne_u32_e64 s0, 0x7f800000, v37
	s_and_saveexec_b32 s12, s0
	s_delay_alu instid0(SALU_CYCLE_1)
	s_xor_b32 s0, exec_lo, s12
; %bb.1452:                             ;   in Loop: Header=BB440_1190 Depth=1
	v_bfe_u32 v37, v4, 16, 1
	s_delay_alu instid0(VALU_DEP_1)
	v_add3_u32 v114, v4, v37, 0x7fff
                                        ; implicit-def: $vgpr4
; %bb.1453:                             ;   in Loop: Header=BB440_1190 Depth=1
	s_and_not1_saveexec_b32 s12, s0
; %bb.1454:                             ;   in Loop: Header=BB440_1190 Depth=1
	v_and_b32_e32 v37, 0xffff, v4
	v_or_b32_e32 v39, 0x10000, v4
	s_delay_alu instid0(VALU_DEP_2) | instskip(NEXT) | instid1(VALU_DEP_1)
	v_cmp_eq_u32_e64 s0, 0, v37
	v_cndmask_b32_e64 v114, v39, v4, s0
; %bb.1455:                             ;   in Loop: Header=BB440_1190 Depth=1
	s_or_b32 exec_lo, exec_lo, s12
	v_lshlrev_b32_e32 v4, 16, v5
                                        ; implicit-def: $vgpr115
	s_delay_alu instid0(VALU_DEP_1) | instskip(NEXT) | instid1(VALU_DEP_1)
	v_mul_f32_e32 v4, v99, v4
	v_and_b32_e32 v5, 0x7f800000, v4
	s_delay_alu instid0(VALU_DEP_1) | instskip(NEXT) | instid1(VALU_DEP_1)
	v_cmp_ne_u32_e64 s0, 0x7f800000, v5
	s_and_saveexec_b32 s12, s0
	s_delay_alu instid0(SALU_CYCLE_1)
	s_xor_b32 s0, exec_lo, s12
; %bb.1456:                             ;   in Loop: Header=BB440_1190 Depth=1
	v_bfe_u32 v5, v4, 16, 1
	s_delay_alu instid0(VALU_DEP_1)
	v_add3_u32 v115, v4, v5, 0x7fff
                                        ; implicit-def: $vgpr4
; %bb.1457:                             ;   in Loop: Header=BB440_1190 Depth=1
	s_and_not1_saveexec_b32 s12, s0
; %bb.1458:                             ;   in Loop: Header=BB440_1190 Depth=1
	v_and_b32_e32 v5, 0xffff, v4
	v_or_b32_e32 v37, 0x10000, v4
	s_delay_alu instid0(VALU_DEP_2) | instskip(NEXT) | instid1(VALU_DEP_1)
	v_cmp_eq_u32_e64 s0, 0, v5
	v_cndmask_b32_e64 v115, v37, v4, s0
; %bb.1459:                             ;   in Loop: Header=BB440_1190 Depth=1
	s_or_b32 exec_lo, exec_lo, s12
	v_lshlrev_b32_e32 v4, 16, v21
                                        ; implicit-def: $vgpr116
	s_delay_alu instid0(VALU_DEP_1) | instskip(NEXT) | instid1(VALU_DEP_1)
	v_mul_f32_e32 v4, v100, v4
	v_and_b32_e32 v5, 0x7f800000, v4
	s_delay_alu instid0(VALU_DEP_1) | instskip(NEXT) | instid1(VALU_DEP_1)
	v_cmp_ne_u32_e64 s0, 0x7f800000, v5
	s_and_saveexec_b32 s12, s0
	s_delay_alu instid0(SALU_CYCLE_1)
	s_xor_b32 s0, exec_lo, s12
; %bb.1460:                             ;   in Loop: Header=BB440_1190 Depth=1
	v_bfe_u32 v5, v4, 16, 1
	s_delay_alu instid0(VALU_DEP_1)
	v_add3_u32 v116, v4, v5, 0x7fff
                                        ; implicit-def: $vgpr4
; %bb.1461:                             ;   in Loop: Header=BB440_1190 Depth=1
	s_and_not1_saveexec_b32 s12, s0
; %bb.1462:                             ;   in Loop: Header=BB440_1190 Depth=1
	v_and_b32_e32 v5, 0xffff, v4
	v_or_b32_e32 v21, 0x10000, v4
	s_delay_alu instid0(VALU_DEP_2) | instskip(NEXT) | instid1(VALU_DEP_1)
	v_cmp_eq_u32_e64 s0, 0, v5
	v_cndmask_b32_e64 v116, v21, v4, s0
; %bb.1463:                             ;   in Loop: Header=BB440_1190 Depth=1
	s_or_b32 exec_lo, exec_lo, s12
	v_lshlrev_b32_e32 v4, 16, v9
                                        ; implicit-def: $vgpr117
	s_delay_alu instid0(VALU_DEP_1) | instskip(NEXT) | instid1(VALU_DEP_1)
	v_mul_f32_e32 v4, v101, v4
	v_and_b32_e32 v5, 0x7f800000, v4
	s_delay_alu instid0(VALU_DEP_1) | instskip(NEXT) | instid1(VALU_DEP_1)
	v_cmp_ne_u32_e64 s0, 0x7f800000, v5
	s_and_saveexec_b32 s12, s0
	s_delay_alu instid0(SALU_CYCLE_1)
	s_xor_b32 s0, exec_lo, s12
; %bb.1464:                             ;   in Loop: Header=BB440_1190 Depth=1
	v_bfe_u32 v5, v4, 16, 1
	s_delay_alu instid0(VALU_DEP_1)
	v_add3_u32 v117, v4, v5, 0x7fff
                                        ; implicit-def: $vgpr4
; %bb.1465:                             ;   in Loop: Header=BB440_1190 Depth=1
	s_and_not1_saveexec_b32 s12, s0
; %bb.1466:                             ;   in Loop: Header=BB440_1190 Depth=1
	v_and_b32_e32 v5, 0xffff, v4
	v_or_b32_e32 v9, 0x10000, v4
	s_delay_alu instid0(VALU_DEP_2) | instskip(NEXT) | instid1(VALU_DEP_1)
	v_cmp_eq_u32_e64 s0, 0, v5
	v_cndmask_b32_e64 v117, v9, v4, s0
; %bb.1467:                             ;   in Loop: Header=BB440_1190 Depth=1
	s_or_b32 exec_lo, exec_lo, s12
	v_lshlrev_b32_e32 v4, 16, v7
                                        ; implicit-def: $vgpr118
	s_delay_alu instid0(VALU_DEP_1) | instskip(NEXT) | instid1(VALU_DEP_1)
	v_mul_f32_e32 v4, v102, v4
	v_and_b32_e32 v5, 0x7f800000, v4
	s_delay_alu instid0(VALU_DEP_1) | instskip(NEXT) | instid1(VALU_DEP_1)
	v_cmp_ne_u32_e64 s0, 0x7f800000, v5
	s_and_saveexec_b32 s12, s0
	s_delay_alu instid0(SALU_CYCLE_1)
	s_xor_b32 s0, exec_lo, s12
; %bb.1468:                             ;   in Loop: Header=BB440_1190 Depth=1
	v_bfe_u32 v5, v4, 16, 1
	s_delay_alu instid0(VALU_DEP_1)
	v_add3_u32 v118, v4, v5, 0x7fff
                                        ; implicit-def: $vgpr4
; %bb.1469:                             ;   in Loop: Header=BB440_1190 Depth=1
	s_and_not1_saveexec_b32 s12, s0
; %bb.1470:                             ;   in Loop: Header=BB440_1190 Depth=1
	v_and_b32_e32 v5, 0xffff, v4
	v_or_b32_e32 v7, 0x10000, v4
	s_delay_alu instid0(VALU_DEP_2) | instskip(NEXT) | instid1(VALU_DEP_1)
	v_cmp_eq_u32_e64 s0, 0, v5
	v_cndmask_b32_e64 v118, v7, v4, s0
; %bb.1471:                             ;   in Loop: Header=BB440_1190 Depth=1
	s_or_b32 exec_lo, exec_lo, s12
	v_lshlrev_b32_e32 v4, 16, v6
                                        ; implicit-def: $vgpr119
	s_delay_alu instid0(VALU_DEP_1) | instskip(NEXT) | instid1(VALU_DEP_1)
	v_mul_f32_e32 v4, v103, v4
	v_and_b32_e32 v5, 0x7f800000, v4
	s_delay_alu instid0(VALU_DEP_1) | instskip(NEXT) | instid1(VALU_DEP_1)
	v_cmp_ne_u32_e64 s0, 0x7f800000, v5
	s_and_saveexec_b32 s12, s0
	s_delay_alu instid0(SALU_CYCLE_1)
	s_xor_b32 s0, exec_lo, s12
; %bb.1472:                             ;   in Loop: Header=BB440_1190 Depth=1
	v_bfe_u32 v5, v4, 16, 1
	s_delay_alu instid0(VALU_DEP_1)
	v_add3_u32 v119, v4, v5, 0x7fff
                                        ; implicit-def: $vgpr4
; %bb.1473:                             ;   in Loop: Header=BB440_1190 Depth=1
	s_and_not1_saveexec_b32 s12, s0
; %bb.1474:                             ;   in Loop: Header=BB440_1190 Depth=1
	v_and_b32_e32 v5, 0xffff, v4
	v_or_b32_e32 v6, 0x10000, v4
	s_delay_alu instid0(VALU_DEP_2) | instskip(NEXT) | instid1(VALU_DEP_1)
	v_cmp_eq_u32_e64 s0, 0, v5
	v_cndmask_b32_e64 v119, v6, v4, s0
; %bb.1475:                             ;   in Loop: Header=BB440_1190 Depth=1
	s_or_b32 exec_lo, exec_lo, s12
	v_lshlrev_b32_e32 v3, 16, v3
                                        ; implicit-def: $vgpr128
	s_delay_alu instid0(VALU_DEP_1) | instskip(NEXT) | instid1(VALU_DEP_1)
	v_mul_f32_e32 v3, v112, v3
	v_and_b32_e32 v4, 0x7f800000, v3
	s_delay_alu instid0(VALU_DEP_1) | instskip(NEXT) | instid1(VALU_DEP_1)
	v_cmp_ne_u32_e64 s0, 0x7f800000, v4
	s_and_saveexec_b32 s12, s0
	s_delay_alu instid0(SALU_CYCLE_1)
	s_xor_b32 s0, exec_lo, s12
; %bb.1476:                             ;   in Loop: Header=BB440_1190 Depth=1
	v_bfe_u32 v4, v3, 16, 1
	s_delay_alu instid0(VALU_DEP_1)
	v_add3_u32 v128, v3, v4, 0x7fff
                                        ; implicit-def: $vgpr3
; %bb.1477:                             ;   in Loop: Header=BB440_1190 Depth=1
	s_and_not1_saveexec_b32 s12, s0
; %bb.1478:                             ;   in Loop: Header=BB440_1190 Depth=1
	v_and_b32_e32 v4, 0xffff, v3
	v_or_b32_e32 v5, 0x10000, v3
	s_delay_alu instid0(VALU_DEP_2) | instskip(NEXT) | instid1(VALU_DEP_1)
	v_cmp_eq_u32_e64 s0, 0, v4
	v_cndmask_b32_e64 v128, v5, v3, s0
; %bb.1479:                             ;   in Loop: Header=BB440_1190 Depth=1
	s_or_b32 exec_lo, exec_lo, s12
	v_lshlrev_b32_e32 v2, 16, v2
                                        ; implicit-def: $vgpr129
	s_delay_alu instid0(VALU_DEP_1) | instskip(NEXT) | instid1(VALU_DEP_1)
	v_mul_f32_e32 v2, v113, v2
	v_and_b32_e32 v3, 0x7f800000, v2
	s_delay_alu instid0(VALU_DEP_1) | instskip(NEXT) | instid1(VALU_DEP_1)
	v_cmp_ne_u32_e64 s0, 0x7f800000, v3
	s_and_saveexec_b32 s12, s0
	s_delay_alu instid0(SALU_CYCLE_1)
	s_xor_b32 s0, exec_lo, s12
; %bb.1480:                             ;   in Loop: Header=BB440_1190 Depth=1
	v_bfe_u32 v3, v2, 16, 1
	s_delay_alu instid0(VALU_DEP_1)
	v_add3_u32 v129, v2, v3, 0x7fff
                                        ; implicit-def: $vgpr2
; %bb.1481:                             ;   in Loop: Header=BB440_1190 Depth=1
	s_and_not1_saveexec_b32 s12, s0
; %bb.1482:                             ;   in Loop: Header=BB440_1190 Depth=1
	v_and_b32_e32 v3, 0xffff, v2
	v_or_b32_e32 v4, 0x10000, v2
	s_delay_alu instid0(VALU_DEP_2) | instskip(NEXT) | instid1(VALU_DEP_1)
	v_cmp_eq_u32_e64 s0, 0, v3
	v_cndmask_b32_e64 v129, v4, v2, s0
; %bb.1483:                             ;   in Loop: Header=BB440_1190 Depth=1
	s_or_b32 exec_lo, exec_lo, s12
	flat_load_b64 v[2:3], v[0:1] offset:512
	s_mov_b32 s12, exec_lo
	s_waitcnt vmcnt(0) lgkmcnt(0)
	v_dual_mov_b32 v4, 0 :: v_dual_and_b32 v5, 0xff, v2
	s_delay_alu instid0(VALU_DEP_1)
	v_cmpx_ne_u16_e32 0, v5
	s_cbranch_execz .LBB440_1491
; %bb.1484:                             ;   in Loop: Header=BB440_1190 Depth=1
	v_bfrev_b32_e32 v4, 1
	s_mov_b32 s13, exec_lo
	v_cmpx_ne_u16_e32 0x80, v5
	s_cbranch_execz .LBB440_1490
; %bb.1485:                             ;   in Loop: Header=BB440_1190 Depth=1
	v_and_b32_e32 v5, 0x7f, v2
	v_mov_b32_e32 v4, 0x7f800001
	s_mov_b32 s15, exec_lo
	s_delay_alu instid0(VALU_DEP_2)
	v_cmpx_ne_u32_e32 0x7f, v5
	s_cbranch_execz .LBB440_1489
; %bb.1486:                             ;   in Loop: Header=BB440_1190 Depth=1
	v_lshrrev_b32_e32 v4, 3, v5
	v_dual_mov_b32 v7, v3 :: v_dual_mov_b32 v6, v2
	s_mov_b32 s16, exec_lo
	v_cmpx_gt_u32_e32 8, v5
; %bb.1487:                             ;   in Loop: Header=BB440_1190 Depth=1
	v_and_b32_e32 v4, 7, v2
	s_delay_alu instid0(VALU_DEP_1) | instskip(NEXT) | instid1(VALU_DEP_1)
	v_clz_i32_u32_e32 v4, v4
	v_min_u32_e32 v4, 32, v4
	s_delay_alu instid0(VALU_DEP_1) | instskip(SKIP_1) | instid1(VALU_DEP_2)
	v_subrev_nc_u32_e32 v5, 28, v4
	v_sub_nc_u32_e32 v4, 29, v4
	v_lshlrev_b64 v[6:7], v5, v[2:3]
; %bb.1488:                             ;   in Loop: Header=BB440_1190 Depth=1
	s_or_b32 exec_lo, exec_lo, s16
	s_delay_alu instid0(VALU_DEP_1) | instskip(SKIP_2) | instid1(VALU_DEP_3)
	v_lshlrev_b32_e32 v5, 20, v6
	v_lshlrev_b32_e32 v6, 24, v2
	v_lshl_add_u32 v4, v4, 23, 0x3c000000
	v_and_b32_e32 v5, 0x700000, v5
	s_delay_alu instid0(VALU_DEP_3) | instskip(NEXT) | instid1(VALU_DEP_1)
	v_and_b32_e32 v6, 0x80000000, v6
	v_or3_b32 v4, v5, v6, v4
.LBB440_1489:                           ;   in Loop: Header=BB440_1190 Depth=1
	s_or_b32 exec_lo, exec_lo, s15
.LBB440_1490:                           ;   in Loop: Header=BB440_1190 Depth=1
	s_delay_alu instid0(SALU_CYCLE_1)
	s_or_b32 exec_lo, exec_lo, s13
.LBB440_1491:                           ;   in Loop: Header=BB440_1190 Depth=1
	s_delay_alu instid0(SALU_CYCLE_1) | instskip(NEXT) | instid1(VALU_DEP_1)
	s_or_b32 exec_lo, exec_lo, s12
	v_mul_f32_e32 v5, v8, v4
	s_delay_alu instid0(VALU_DEP_1) | instskip(NEXT) | instid1(VALU_DEP_1)
	v_and_b32_e32 v4, 0x7f800000, v5
	v_cmp_ne_u32_e64 s0, 0x7f800000, v4
                                        ; implicit-def: $vgpr4
	s_delay_alu instid0(VALU_DEP_1) | instskip(NEXT) | instid1(SALU_CYCLE_1)
	s_and_saveexec_b32 s12, s0
	s_xor_b32 s0, exec_lo, s12
; %bb.1492:                             ;   in Loop: Header=BB440_1190 Depth=1
	v_bfe_u32 v4, v5, 16, 1
	s_delay_alu instid0(VALU_DEP_1)
	v_add3_u32 v4, v5, v4, 0x7fff
                                        ; implicit-def: $vgpr5
; %bb.1493:                             ;   in Loop: Header=BB440_1190 Depth=1
	s_and_not1_saveexec_b32 s12, s0
; %bb.1494:                             ;   in Loop: Header=BB440_1190 Depth=1
	v_and_b32_e32 v4, 0xffff, v5
	v_or_b32_e32 v6, 0x10000, v5
	s_delay_alu instid0(VALU_DEP_2) | instskip(NEXT) | instid1(VALU_DEP_1)
	v_cmp_eq_u32_e64 s0, 0, v4
	v_cndmask_b32_e64 v4, v6, v5, s0
; %bb.1495:                             ;   in Loop: Header=BB440_1190 Depth=1
	s_or_b32 exec_lo, exec_lo, s12
	v_lshrrev_b16 v6, 8, v2
	v_mov_b32_e32 v5, 0
	s_mov_b32 s12, exec_lo
	s_delay_alu instid0(VALU_DEP_2)
	v_cmpx_ne_u16_e32 0, v6
	s_cbranch_execz .LBB440_1503
; %bb.1496:                             ;   in Loop: Header=BB440_1190 Depth=1
	v_bfrev_b32_e32 v5, 1
	s_mov_b32 s13, exec_lo
	v_cmpx_ne_u16_e32 0x80, v6
	s_cbranch_execz .LBB440_1502
; %bb.1497:                             ;   in Loop: Header=BB440_1190 Depth=1
	v_and_b32_e32 v7, 0xffff, v6
	v_mov_b32_e32 v5, 0x7f800001
	s_mov_b32 s15, exec_lo
	s_delay_alu instid0(VALU_DEP_2) | instskip(NEXT) | instid1(VALU_DEP_1)
	v_and_b32_e32 v6, 0x7f, v7
	v_cmpx_ne_u32_e32 0x7f, v6
	s_cbranch_execz .LBB440_1501
; %bb.1498:                             ;   in Loop: Header=BB440_1190 Depth=1
	v_and_b32_e32 v9, 7, v7
	v_lshrrev_b32_e32 v5, 3, v6
	s_mov_b32 s16, exec_lo
	v_cmpx_gt_u32_e32 8, v6
; %bb.1499:                             ;   in Loop: Header=BB440_1190 Depth=1
	s_delay_alu instid0(VALU_DEP_3) | instskip(NEXT) | instid1(VALU_DEP_1)
	v_clz_i32_u32_e32 v5, v9
	v_min_u32_e32 v5, 32, v5
	s_delay_alu instid0(VALU_DEP_1) | instskip(SKIP_1) | instid1(VALU_DEP_2)
	v_subrev_nc_u32_e32 v6, 28, v5
	v_sub_nc_u32_e32 v5, 29, v5
	v_lshlrev_b64 v[6:7], v6, v[9:10]
	s_delay_alu instid0(VALU_DEP_1)
	v_and_b32_e32 v9, 7, v6
; %bb.1500:                             ;   in Loop: Header=BB440_1190 Depth=1
	s_or_b32 exec_lo, exec_lo, s16
	v_lshlrev_b32_e32 v6, 16, v2
	s_delay_alu instid0(VALU_DEP_2) | instskip(SKIP_1) | instid1(VALU_DEP_3)
	v_lshlrev_b32_e32 v7, 20, v9
	v_lshl_add_u32 v5, v5, 23, 0x3c000000
	v_and_b32_e32 v6, 0x80000000, v6
	s_delay_alu instid0(VALU_DEP_1)
	v_or3_b32 v5, v7, v6, v5
.LBB440_1501:                           ;   in Loop: Header=BB440_1190 Depth=1
	s_or_b32 exec_lo, exec_lo, s15
.LBB440_1502:                           ;   in Loop: Header=BB440_1190 Depth=1
	s_delay_alu instid0(SALU_CYCLE_1)
	s_or_b32 exec_lo, exec_lo, s13
.LBB440_1503:                           ;   in Loop: Header=BB440_1190 Depth=1
	s_delay_alu instid0(SALU_CYCLE_1) | instskip(NEXT) | instid1(VALU_DEP_1)
	s_or_b32 exec_lo, exec_lo, s12
	v_mul_f32_e32 v6, v8, v5
	s_delay_alu instid0(VALU_DEP_1) | instskip(NEXT) | instid1(VALU_DEP_1)
	v_and_b32_e32 v5, 0x7f800000, v6
	v_cmp_ne_u32_e64 s0, 0x7f800000, v5
                                        ; implicit-def: $vgpr5
	s_delay_alu instid0(VALU_DEP_1) | instskip(NEXT) | instid1(SALU_CYCLE_1)
	s_and_saveexec_b32 s12, s0
	s_xor_b32 s0, exec_lo, s12
; %bb.1504:                             ;   in Loop: Header=BB440_1190 Depth=1
	v_bfe_u32 v5, v6, 16, 1
	s_delay_alu instid0(VALU_DEP_1)
	v_add3_u32 v5, v6, v5, 0x7fff
                                        ; implicit-def: $vgpr6
; %bb.1505:                             ;   in Loop: Header=BB440_1190 Depth=1
	s_and_not1_saveexec_b32 s12, s0
; %bb.1506:                             ;   in Loop: Header=BB440_1190 Depth=1
	v_and_b32_e32 v5, 0xffff, v6
	v_or_b32_e32 v7, 0x10000, v6
	s_delay_alu instid0(VALU_DEP_2) | instskip(NEXT) | instid1(VALU_DEP_1)
	v_cmp_eq_u32_e64 s0, 0, v5
	v_cndmask_b32_e64 v5, v7, v6, s0
; %bb.1507:                             ;   in Loop: Header=BB440_1190 Depth=1
	s_or_b32 exec_lo, exec_lo, s12
	v_lshrrev_b32_e32 v6, 16, v2
	v_mov_b32_e32 v7, 0
	s_mov_b32 s12, exec_lo
	s_delay_alu instid0(VALU_DEP_2) | instskip(NEXT) | instid1(VALU_DEP_1)
	v_and_b32_e32 v9, 0xff, v6
	v_cmpx_ne_u16_e32 0, v9
	s_cbranch_execz .LBB440_1515
; %bb.1508:                             ;   in Loop: Header=BB440_1190 Depth=1
	v_bfrev_b32_e32 v7, 1
	s_mov_b32 s13, exec_lo
	v_cmpx_ne_u16_e32 0x80, v9
	s_cbranch_execz .LBB440_1514
; %bb.1509:                             ;   in Loop: Header=BB440_1190 Depth=1
	v_bfe_u32 v21, v2, 16, 7
	v_mov_b32_e32 v7, 0x7f800001
	s_mov_b32 s15, exec_lo
	s_delay_alu instid0(VALU_DEP_2)
	v_cmpx_ne_u32_e32 0x7f, v21
	s_cbranch_execz .LBB440_1513
; %bb.1510:                             ;   in Loop: Header=BB440_1190 Depth=1
	v_and_b32_e32 v9, 7, v6
	v_lshrrev_b32_e32 v7, 3, v21
	s_mov_b32 s16, exec_lo
	v_cmpx_gt_u32_e32 8, v21
; %bb.1511:                             ;   in Loop: Header=BB440_1190 Depth=1
	s_delay_alu instid0(VALU_DEP_3) | instskip(NEXT) | instid1(VALU_DEP_1)
	v_clz_i32_u32_e32 v7, v9
	v_min_u32_e32 v7, 32, v7
	s_delay_alu instid0(VALU_DEP_1) | instskip(SKIP_1) | instid1(VALU_DEP_2)
	v_subrev_nc_u32_e32 v21, 28, v7
	v_sub_nc_u32_e32 v7, 29, v7
	v_lshlrev_b64 v[130:131], v21, v[9:10]
	s_delay_alu instid0(VALU_DEP_1)
	v_and_b32_e32 v9, 7, v130
; %bb.1512:                             ;   in Loop: Header=BB440_1190 Depth=1
	s_or_b32 exec_lo, exec_lo, s16
	v_lshlrev_b32_e32 v6, 24, v6
	s_delay_alu instid0(VALU_DEP_2) | instskip(SKIP_1) | instid1(VALU_DEP_3)
	v_lshlrev_b32_e32 v9, 20, v9
	v_lshl_add_u32 v7, v7, 23, 0x3c000000
	v_and_b32_e32 v6, 0x80000000, v6
	s_delay_alu instid0(VALU_DEP_1)
	v_or3_b32 v7, v9, v6, v7
.LBB440_1513:                           ;   in Loop: Header=BB440_1190 Depth=1
	s_or_b32 exec_lo, exec_lo, s15
.LBB440_1514:                           ;   in Loop: Header=BB440_1190 Depth=1
	s_delay_alu instid0(SALU_CYCLE_1)
	s_or_b32 exec_lo, exec_lo, s13
.LBB440_1515:                           ;   in Loop: Header=BB440_1190 Depth=1
	s_delay_alu instid0(SALU_CYCLE_1) | instskip(NEXT) | instid1(VALU_DEP_1)
	s_or_b32 exec_lo, exec_lo, s12
	v_mul_f32_e32 v6, v8, v7
                                        ; implicit-def: $vgpr21
	s_delay_alu instid0(VALU_DEP_1) | instskip(NEXT) | instid1(VALU_DEP_1)
	v_and_b32_e32 v7, 0x7f800000, v6
	v_cmp_ne_u32_e64 s0, 0x7f800000, v7
	s_delay_alu instid0(VALU_DEP_1) | instskip(NEXT) | instid1(SALU_CYCLE_1)
	s_and_saveexec_b32 s12, s0
	s_xor_b32 s0, exec_lo, s12
; %bb.1516:                             ;   in Loop: Header=BB440_1190 Depth=1
	v_bfe_u32 v7, v6, 16, 1
	s_delay_alu instid0(VALU_DEP_1)
	v_add3_u32 v21, v6, v7, 0x7fff
                                        ; implicit-def: $vgpr6
; %bb.1517:                             ;   in Loop: Header=BB440_1190 Depth=1
	s_and_not1_saveexec_b32 s12, s0
; %bb.1518:                             ;   in Loop: Header=BB440_1190 Depth=1
	v_and_b32_e32 v7, 0xffff, v6
	v_or_b32_e32 v9, 0x10000, v6
	s_delay_alu instid0(VALU_DEP_2) | instskip(NEXT) | instid1(VALU_DEP_1)
	v_cmp_eq_u32_e64 s0, 0, v7
	v_cndmask_b32_e64 v21, v9, v6, s0
; %bb.1519:                             ;   in Loop: Header=BB440_1190 Depth=1
	s_or_b32 exec_lo, exec_lo, s12
	v_mov_b32_e32 v7, 0
	s_mov_b32 s12, exec_lo
	v_cmpx_lt_u32_e32 0xffffff, v2
	s_cbranch_execz .LBB440_1527
; %bb.1520:                             ;   in Loop: Header=BB440_1190 Depth=1
	v_lshrrev_b32_e32 v6, 24, v2
	v_bfrev_b32_e32 v7, 1
	s_mov_b32 s13, exec_lo
	s_delay_alu instid0(VALU_DEP_2)
	v_cmpx_ne_u32_e32 0x80, v6
	s_cbranch_execz .LBB440_1526
; %bb.1521:                             ;   in Loop: Header=BB440_1190 Depth=1
	v_bfe_u32 v37, v2, 24, 7
	v_mov_b32_e32 v7, 0x7f800001
	s_mov_b32 s15, exec_lo
	s_delay_alu instid0(VALU_DEP_2)
	v_cmpx_ne_u32_e32 0x7f, v37
	s_cbranch_execz .LBB440_1525
; %bb.1522:                             ;   in Loop: Header=BB440_1190 Depth=1
	v_and_b32_e32 v9, 7, v6
	v_lshrrev_b32_e32 v7, 3, v37
	s_mov_b32 s16, exec_lo
	v_cmpx_gt_u32_e32 8, v37
; %bb.1523:                             ;   in Loop: Header=BB440_1190 Depth=1
	s_delay_alu instid0(VALU_DEP_3) | instskip(NEXT) | instid1(VALU_DEP_1)
	v_clz_i32_u32_e32 v7, v9
	v_min_u32_e32 v7, 32, v7
	s_delay_alu instid0(VALU_DEP_1) | instskip(SKIP_1) | instid1(VALU_DEP_2)
	v_subrev_nc_u32_e32 v37, 28, v7
	v_sub_nc_u32_e32 v7, 29, v7
	v_lshlrev_b64 v[130:131], v37, v[9:10]
	s_delay_alu instid0(VALU_DEP_1)
	v_and_b32_e32 v9, 7, v130
; %bb.1524:                             ;   in Loop: Header=BB440_1190 Depth=1
	s_or_b32 exec_lo, exec_lo, s16
	v_lshlrev_b32_e32 v6, 24, v6
	s_delay_alu instid0(VALU_DEP_2) | instskip(SKIP_1) | instid1(VALU_DEP_3)
	v_lshlrev_b32_e32 v9, 20, v9
	v_lshl_add_u32 v7, v7, 23, 0x3c000000
	v_and_b32_e32 v6, 0x80000000, v6
	s_delay_alu instid0(VALU_DEP_1)
	v_or3_b32 v7, v9, v6, v7
.LBB440_1525:                           ;   in Loop: Header=BB440_1190 Depth=1
	s_or_b32 exec_lo, exec_lo, s15
.LBB440_1526:                           ;   in Loop: Header=BB440_1190 Depth=1
	s_delay_alu instid0(SALU_CYCLE_1)
	s_or_b32 exec_lo, exec_lo, s13
.LBB440_1527:                           ;   in Loop: Header=BB440_1190 Depth=1
	s_delay_alu instid0(SALU_CYCLE_1) | instskip(NEXT) | instid1(VALU_DEP_1)
	s_or_b32 exec_lo, exec_lo, s12
	v_mul_f32_e32 v6, v8, v7
                                        ; implicit-def: $vgpr37
	s_delay_alu instid0(VALU_DEP_1) | instskip(NEXT) | instid1(VALU_DEP_1)
	v_and_b32_e32 v7, 0x7f800000, v6
	v_cmp_ne_u32_e64 s0, 0x7f800000, v7
	s_delay_alu instid0(VALU_DEP_1) | instskip(NEXT) | instid1(SALU_CYCLE_1)
	s_and_saveexec_b32 s12, s0
	s_xor_b32 s0, exec_lo, s12
; %bb.1528:                             ;   in Loop: Header=BB440_1190 Depth=1
	v_bfe_u32 v7, v6, 16, 1
	s_delay_alu instid0(VALU_DEP_1)
	v_add3_u32 v37, v6, v7, 0x7fff
                                        ; implicit-def: $vgpr6
; %bb.1529:                             ;   in Loop: Header=BB440_1190 Depth=1
	s_and_not1_saveexec_b32 s12, s0
; %bb.1530:                             ;   in Loop: Header=BB440_1190 Depth=1
	v_and_b32_e32 v7, 0xffff, v6
	v_or_b32_e32 v9, 0x10000, v6
	s_delay_alu instid0(VALU_DEP_2) | instskip(NEXT) | instid1(VALU_DEP_1)
	v_cmp_eq_u32_e64 s0, 0, v7
	v_cndmask_b32_e64 v37, v9, v6, s0
; %bb.1531:                             ;   in Loop: Header=BB440_1190 Depth=1
	s_or_b32 exec_lo, exec_lo, s12
	v_dual_mov_b32 v6, 0 :: v_dual_and_b32 v7, 0xff, v3
	v_mov_b32_e32 v9, v3
	s_mov_b32 s12, exec_lo
	s_delay_alu instid0(VALU_DEP_2)
	v_cmpx_ne_u16_e32 0, v7
	s_cbranch_execz .LBB440_1539
; %bb.1532:                             ;   in Loop: Header=BB440_1190 Depth=1
	v_bfrev_b32_e32 v6, 1
	s_mov_b32 s13, exec_lo
	v_cmpx_ne_u16_e32 0x80, v7
	s_cbranch_execz .LBB440_1538
; %bb.1533:                             ;   in Loop: Header=BB440_1190 Depth=1
	v_and_b32_e32 v7, 0x7f, v3
	v_mov_b32_e32 v6, 0x7f800001
	s_mov_b32 s15, exec_lo
	s_delay_alu instid0(VALU_DEP_2)
	v_cmpx_ne_u32_e32 0x7f, v7
	s_cbranch_execz .LBB440_1537
; %bb.1534:                             ;   in Loop: Header=BB440_1190 Depth=1
	v_lshrrev_b32_e32 v39, 3, v7
	v_cmp_gt_u32_e64 s0, 8, v7
	v_dual_mov_b32 v6, v9 :: v_dual_mov_b32 v7, v10
	s_delay_alu instid0(VALU_DEP_2)
	s_and_saveexec_b32 s16, s0
; %bb.1535:                             ;   in Loop: Header=BB440_1190 Depth=1
	v_and_b32_e32 v6, 7, v3
	s_delay_alu instid0(VALU_DEP_1) | instskip(NEXT) | instid1(VALU_DEP_1)
	v_clz_i32_u32_e32 v6, v6
	v_min_u32_e32 v39, 32, v6
	s_delay_alu instid0(VALU_DEP_1) | instskip(SKIP_1) | instid1(VALU_DEP_2)
	v_subrev_nc_u32_e32 v6, 28, v39
	v_sub_nc_u32_e32 v39, 29, v39
	v_lshlrev_b64 v[6:7], v6, v[9:10]
; %bb.1536:                             ;   in Loop: Header=BB440_1190 Depth=1
	s_or_b32 exec_lo, exec_lo, s16
	s_delay_alu instid0(VALU_DEP_1) | instskip(SKIP_2) | instid1(VALU_DEP_3)
	v_lshlrev_b32_e32 v6, 20, v6
	v_lshlrev_b32_e32 v7, 24, v9
	v_lshl_add_u32 v39, v39, 23, 0x3c000000
	v_and_b32_e32 v6, 0x700000, v6
	s_delay_alu instid0(VALU_DEP_3) | instskip(NEXT) | instid1(VALU_DEP_1)
	v_and_b32_e32 v7, 0x80000000, v7
	v_or3_b32 v6, v6, v7, v39
.LBB440_1537:                           ;   in Loop: Header=BB440_1190 Depth=1
	s_or_b32 exec_lo, exec_lo, s15
.LBB440_1538:                           ;   in Loop: Header=BB440_1190 Depth=1
	s_delay_alu instid0(SALU_CYCLE_1)
	s_or_b32 exec_lo, exec_lo, s13
.LBB440_1539:                           ;   in Loop: Header=BB440_1190 Depth=1
	s_delay_alu instid0(SALU_CYCLE_1) | instskip(NEXT) | instid1(VALU_DEP_1)
	s_or_b32 exec_lo, exec_lo, s12
	v_mul_f32_e32 v6, v8, v6
                                        ; implicit-def: $vgpr39
	s_delay_alu instid0(VALU_DEP_1) | instskip(NEXT) | instid1(VALU_DEP_1)
	v_and_b32_e32 v7, 0x7f800000, v6
	v_cmp_ne_u32_e64 s0, 0x7f800000, v7
	s_delay_alu instid0(VALU_DEP_1) | instskip(NEXT) | instid1(SALU_CYCLE_1)
	s_and_saveexec_b32 s12, s0
	s_xor_b32 s0, exec_lo, s12
; %bb.1540:                             ;   in Loop: Header=BB440_1190 Depth=1
	v_bfe_u32 v7, v6, 16, 1
	s_delay_alu instid0(VALU_DEP_1)
	v_add3_u32 v39, v6, v7, 0x7fff
                                        ; implicit-def: $vgpr6
; %bb.1541:                             ;   in Loop: Header=BB440_1190 Depth=1
	s_and_not1_saveexec_b32 s12, s0
; %bb.1542:                             ;   in Loop: Header=BB440_1190 Depth=1
	v_and_b32_e32 v7, 0xffff, v6
	v_or_b32_e32 v39, 0x10000, v6
	s_delay_alu instid0(VALU_DEP_2) | instskip(NEXT) | instid1(VALU_DEP_1)
	v_cmp_eq_u32_e64 s0, 0, v7
	v_cndmask_b32_e64 v39, v39, v6, s0
; %bb.1543:                             ;   in Loop: Header=BB440_1190 Depth=1
	s_or_b32 exec_lo, exec_lo, s12
	v_lshrrev_b16 v7, 8, v9
	v_mov_b32_e32 v6, 0
	s_mov_b32 s12, exec_lo
	s_delay_alu instid0(VALU_DEP_2)
	v_cmpx_ne_u16_e32 0, v7
	s_cbranch_execz .LBB440_1551
; %bb.1544:                             ;   in Loop: Header=BB440_1190 Depth=1
	v_bfrev_b32_e32 v6, 1
	s_mov_b32 s13, exec_lo
	v_cmpx_ne_u16_e32 0x80, v7
	s_cbranch_execz .LBB440_1550
; %bb.1545:                             ;   in Loop: Header=BB440_1190 Depth=1
	v_and_b32_e32 v7, 0xffff, v7
	v_mov_b32_e32 v6, 0x7f800001
	s_mov_b32 s15, exec_lo
	s_delay_alu instid0(VALU_DEP_2) | instskip(NEXT) | instid1(VALU_DEP_1)
	v_and_b32_e32 v131, 0x7f, v7
	v_cmpx_ne_u32_e32 0x7f, v131
	s_cbranch_execz .LBB440_1549
; %bb.1546:                             ;   in Loop: Header=BB440_1190 Depth=1
	v_dual_mov_b32 v7, v10 :: v_dual_and_b32 v6, 7, v7
	v_lshrrev_b32_e32 v130, 3, v131
	s_mov_b32 s16, exec_lo
	v_cmpx_gt_u32_e32 8, v131
; %bb.1547:                             ;   in Loop: Header=BB440_1190 Depth=1
	s_delay_alu instid0(VALU_DEP_3) | instskip(NEXT) | instid1(VALU_DEP_1)
	v_clz_i32_u32_e32 v130, v6
	v_min_u32_e32 v130, 32, v130
	s_delay_alu instid0(VALU_DEP_1) | instskip(SKIP_1) | instid1(VALU_DEP_2)
	v_subrev_nc_u32_e32 v131, 28, v130
	v_sub_nc_u32_e32 v130, 29, v130
	v_lshlrev_b64 v[6:7], v131, v[6:7]
	s_delay_alu instid0(VALU_DEP_1)
	v_and_b32_e32 v6, 7, v6
; %bb.1548:                             ;   in Loop: Header=BB440_1190 Depth=1
	s_or_b32 exec_lo, exec_lo, s16
	v_lshlrev_b32_e32 v7, 16, v9
	s_delay_alu instid0(VALU_DEP_2) | instskip(SKIP_1) | instid1(VALU_DEP_3)
	v_lshlrev_b32_e32 v6, 20, v6
	v_lshl_add_u32 v9, v130, 23, 0x3c000000
	v_and_b32_e32 v7, 0x80000000, v7
	s_delay_alu instid0(VALU_DEP_1)
	v_or3_b32 v6, v6, v7, v9
.LBB440_1549:                           ;   in Loop: Header=BB440_1190 Depth=1
	s_or_b32 exec_lo, exec_lo, s15
.LBB440_1550:                           ;   in Loop: Header=BB440_1190 Depth=1
	s_delay_alu instid0(SALU_CYCLE_1)
	s_or_b32 exec_lo, exec_lo, s13
.LBB440_1551:                           ;   in Loop: Header=BB440_1190 Depth=1
	s_delay_alu instid0(SALU_CYCLE_1) | instskip(NEXT) | instid1(VALU_DEP_1)
	s_or_b32 exec_lo, exec_lo, s12
	v_mul_f32_e32 v7, v8, v6
	s_delay_alu instid0(VALU_DEP_1) | instskip(NEXT) | instid1(VALU_DEP_1)
	v_and_b32_e32 v6, 0x7f800000, v7
	v_cmp_ne_u32_e64 s0, 0x7f800000, v6
                                        ; implicit-def: $vgpr6
	s_delay_alu instid0(VALU_DEP_1) | instskip(NEXT) | instid1(SALU_CYCLE_1)
	s_and_saveexec_b32 s12, s0
	s_xor_b32 s0, exec_lo, s12
; %bb.1552:                             ;   in Loop: Header=BB440_1190 Depth=1
	v_bfe_u32 v6, v7, 16, 1
	s_delay_alu instid0(VALU_DEP_1)
	v_add3_u32 v6, v7, v6, 0x7fff
                                        ; implicit-def: $vgpr7
; %bb.1553:                             ;   in Loop: Header=BB440_1190 Depth=1
	s_and_not1_saveexec_b32 s12, s0
; %bb.1554:                             ;   in Loop: Header=BB440_1190 Depth=1
	v_and_b32_e32 v6, 0xffff, v7
	v_or_b32_e32 v9, 0x10000, v7
	s_delay_alu instid0(VALU_DEP_2) | instskip(NEXT) | instid1(VALU_DEP_1)
	v_cmp_eq_u32_e64 s0, 0, v6
	v_cndmask_b32_e64 v6, v9, v7, s0
; %bb.1555:                             ;   in Loop: Header=BB440_1190 Depth=1
	s_or_b32 exec_lo, exec_lo, s12
	v_lshrrev_b32_e32 v7, 16, v3
	s_mov_b32 s12, exec_lo
	s_delay_alu instid0(VALU_DEP_1) | instskip(NEXT) | instid1(VALU_DEP_1)
	v_dual_mov_b32 v9, 0 :: v_dual_and_b32 v130, 0xff, v7
	v_cmpx_ne_u16_e64 0, v130
	s_cbranch_execz .LBB440_1563
; %bb.1556:                             ;   in Loop: Header=BB440_1190 Depth=1
	v_bfrev_b32_e32 v9, 1
	s_mov_b32 s13, exec_lo
	v_cmpx_ne_u16_e64 0x80, v130
	s_cbranch_execz .LBB440_1562
; %bb.1557:                             ;   in Loop: Header=BB440_1190 Depth=1
	v_bfe_u32 v131, v3, 16, 7
	v_mov_b32_e32 v9, 0x7f800001
	s_mov_b32 s15, exec_lo
	s_delay_alu instid0(VALU_DEP_2)
	v_cmpx_ne_u32_e32 0x7f, v131
	s_cbranch_execz .LBB440_1561
; %bb.1558:                             ;   in Loop: Header=BB440_1190 Depth=1
	v_and_b32_e32 v9, 7, v7
	v_lshrrev_b32_e32 v130, 3, v131
	s_mov_b32 s16, exec_lo
	v_cmpx_gt_u32_e32 8, v131
; %bb.1559:                             ;   in Loop: Header=BB440_1190 Depth=1
	s_delay_alu instid0(VALU_DEP_3) | instskip(NEXT) | instid1(VALU_DEP_1)
	v_clz_i32_u32_e32 v130, v9
	v_min_u32_e32 v130, 32, v130
	s_delay_alu instid0(VALU_DEP_1) | instskip(SKIP_1) | instid1(VALU_DEP_2)
	v_subrev_nc_u32_e32 v131, 28, v130
	v_sub_nc_u32_e32 v130, 29, v130
	v_lshlrev_b64 v[131:132], v131, v[9:10]
	s_delay_alu instid0(VALU_DEP_1)
	v_and_b32_e32 v9, 7, v131
; %bb.1560:                             ;   in Loop: Header=BB440_1190 Depth=1
	s_or_b32 exec_lo, exec_lo, s16
	v_lshlrev_b32_e32 v7, 24, v7
	s_delay_alu instid0(VALU_DEP_2) | instskip(SKIP_1) | instid1(VALU_DEP_3)
	v_lshlrev_b32_e32 v9, 20, v9
	v_lshl_add_u32 v130, v130, 23, 0x3c000000
	v_and_b32_e32 v7, 0x80000000, v7
	s_delay_alu instid0(VALU_DEP_1)
	v_or3_b32 v9, v9, v7, v130
.LBB440_1561:                           ;   in Loop: Header=BB440_1190 Depth=1
	s_or_b32 exec_lo, exec_lo, s15
.LBB440_1562:                           ;   in Loop: Header=BB440_1190 Depth=1
	s_delay_alu instid0(SALU_CYCLE_1)
	s_or_b32 exec_lo, exec_lo, s13
.LBB440_1563:                           ;   in Loop: Header=BB440_1190 Depth=1
	s_delay_alu instid0(SALU_CYCLE_1) | instskip(NEXT) | instid1(VALU_DEP_1)
	s_or_b32 exec_lo, exec_lo, s12
	v_mul_f32_e32 v7, v8, v9
                                        ; implicit-def: $vgpr130
	s_delay_alu instid0(VALU_DEP_1) | instskip(NEXT) | instid1(VALU_DEP_1)
	v_and_b32_e32 v9, 0x7f800000, v7
	v_cmp_ne_u32_e64 s0, 0x7f800000, v9
	s_delay_alu instid0(VALU_DEP_1) | instskip(NEXT) | instid1(SALU_CYCLE_1)
	s_and_saveexec_b32 s12, s0
	s_xor_b32 s0, exec_lo, s12
; %bb.1564:                             ;   in Loop: Header=BB440_1190 Depth=1
	v_bfe_u32 v9, v7, 16, 1
	s_delay_alu instid0(VALU_DEP_1)
	v_add3_u32 v130, v7, v9, 0x7fff
                                        ; implicit-def: $vgpr7
; %bb.1565:                             ;   in Loop: Header=BB440_1190 Depth=1
	s_and_not1_saveexec_b32 s12, s0
; %bb.1566:                             ;   in Loop: Header=BB440_1190 Depth=1
	v_and_b32_e32 v9, 0xffff, v7
	v_or_b32_e32 v130, 0x10000, v7
	s_delay_alu instid0(VALU_DEP_2) | instskip(NEXT) | instid1(VALU_DEP_1)
	v_cmp_eq_u32_e64 s0, 0, v9
	v_cndmask_b32_e64 v130, v130, v7, s0
; %bb.1567:                             ;   in Loop: Header=BB440_1190 Depth=1
	s_or_b32 exec_lo, exec_lo, s12
	v_mov_b32_e32 v7, 0
	s_mov_b32 s12, exec_lo
	v_cmpx_lt_u64_e64 s[8:9], v[2:3]
	s_cbranch_execz .LBB440_1575
; %bb.1568:                             ;   in Loop: Header=BB440_1190 Depth=1
	v_lshrrev_b32_e32 v2, 24, v3
	v_bfrev_b32_e32 v7, 1
	s_mov_b32 s13, exec_lo
	s_delay_alu instid0(VALU_DEP_2)
	v_cmpx_ne_u32_e32 0x80, v2
	s_cbranch_execz .LBB440_1574
; %bb.1569:                             ;   in Loop: Header=BB440_1190 Depth=1
	v_bfe_u32 v131, v3, 24, 7
	v_mov_b32_e32 v7, 0x7f800001
	s_mov_b32 s15, exec_lo
	s_delay_alu instid0(VALU_DEP_2)
	v_cmpx_ne_u32_e32 0x7f, v131
	s_cbranch_execz .LBB440_1573
; %bb.1570:                             ;   in Loop: Header=BB440_1190 Depth=1
	v_and_b32_e32 v9, 7, v2
	v_lshrrev_b32_e32 v3, 3, v131
	s_mov_b32 s16, exec_lo
	v_cmpx_gt_u32_e32 8, v131
; %bb.1571:                             ;   in Loop: Header=BB440_1190 Depth=1
	s_delay_alu instid0(VALU_DEP_3) | instskip(NEXT) | instid1(VALU_DEP_1)
	v_clz_i32_u32_e32 v3, v9
	v_min_u32_e32 v3, 32, v3
	s_delay_alu instid0(VALU_DEP_1) | instskip(SKIP_1) | instid1(VALU_DEP_2)
	v_subrev_nc_u32_e32 v7, 28, v3
	v_sub_nc_u32_e32 v3, 29, v3
	v_lshlrev_b64 v[131:132], v7, v[9:10]
	s_delay_alu instid0(VALU_DEP_1)
	v_and_b32_e32 v9, 7, v131
; %bb.1572:                             ;   in Loop: Header=BB440_1190 Depth=1
	s_or_b32 exec_lo, exec_lo, s16
	v_lshlrev_b32_e32 v2, 24, v2
	s_delay_alu instid0(VALU_DEP_2) | instskip(SKIP_1) | instid1(VALU_DEP_3)
	v_lshlrev_b32_e32 v7, 20, v9
	v_lshl_add_u32 v3, v3, 23, 0x3c000000
	v_and_b32_e32 v2, 0x80000000, v2
	s_delay_alu instid0(VALU_DEP_1)
	v_or3_b32 v7, v7, v2, v3
.LBB440_1573:                           ;   in Loop: Header=BB440_1190 Depth=1
	s_or_b32 exec_lo, exec_lo, s15
.LBB440_1574:                           ;   in Loop: Header=BB440_1190 Depth=1
	s_delay_alu instid0(SALU_CYCLE_1)
	s_or_b32 exec_lo, exec_lo, s13
.LBB440_1575:                           ;   in Loop: Header=BB440_1190 Depth=1
	s_delay_alu instid0(SALU_CYCLE_1) | instskip(NEXT) | instid1(VALU_DEP_1)
	s_or_b32 exec_lo, exec_lo, s12
	v_mul_f32_e32 v3, v8, v7
	s_delay_alu instid0(VALU_DEP_1) | instskip(NEXT) | instid1(VALU_DEP_1)
	v_and_b32_e32 v2, 0x7f800000, v3
	v_cmp_ne_u32_e64 s0, 0x7f800000, v2
                                        ; implicit-def: $vgpr2
	s_delay_alu instid0(VALU_DEP_1) | instskip(NEXT) | instid1(SALU_CYCLE_1)
	s_and_saveexec_b32 s12, s0
	s_xor_b32 s0, exec_lo, s12
; %bb.1576:                             ;   in Loop: Header=BB440_1190 Depth=1
	v_bfe_u32 v2, v3, 16, 1
	s_delay_alu instid0(VALU_DEP_1)
	v_add3_u32 v2, v3, v2, 0x7fff
                                        ; implicit-def: $vgpr3
; %bb.1577:                             ;   in Loop: Header=BB440_1190 Depth=1
	s_and_not1_saveexec_b32 s12, s0
; %bb.1578:                             ;   in Loop: Header=BB440_1190 Depth=1
	v_and_b32_e32 v2, 0xffff, v3
	v_or_b32_e32 v7, 0x10000, v3
	s_delay_alu instid0(VALU_DEP_2) | instskip(NEXT) | instid1(VALU_DEP_1)
	v_cmp_eq_u32_e64 s0, 0, v2
	v_cndmask_b32_e64 v2, v7, v3, s0
; %bb.1579:                             ;   in Loop: Header=BB440_1190 Depth=1
	s_or_b32 exec_lo, exec_lo, s12
	v_lshrrev_b32_e32 v6, 16, v6
	v_lshrrev_b32_e32 v7, 16, v39
	;; [unrolled: 1-line block ×8, first 2 shown]
	s_and_saveexec_b32 s12, vcc_lo
	s_cbranch_execz .LBB440_1581
; %bb.1580:                             ;   in Loop: Header=BB440_1190 Depth=1
	v_cmp_lt_i32_e64 s0, v82, v38
	s_delay_alu instid0(VALU_DEP_1) | instskip(SKIP_1) | instid1(VALU_DEP_1)
	v_cndmask_b32_e64 v4, 0, v4, s0
	v_cmp_lt_i32_e64 s0, v97, v38
	v_cndmask_b32_e64 v5, 0, v5, s0
	v_cmp_lt_i32_e64 s0, v96, v38
	s_delay_alu instid0(VALU_DEP_1) | instskip(SKIP_1) | instid1(VALU_DEP_1)
	v_cndmask_b32_e64 v21, 0, v21, s0
	v_cmp_lt_i32_e64 s0, v87, v38
	v_cndmask_b32_e64 v9, 0, v9, s0
	;; [unrolled: 5-line block ×4, first 2 shown]
.LBB440_1581:                           ;   in Loop: Header=BB440_1190 Depth=1
	s_or_b32 exec_lo, exec_lo, s12
	v_lshlrev_b32_e32 v4, 16, v4
                                        ; implicit-def: $vgpr130
	s_delay_alu instid0(VALU_DEP_1) | instskip(NEXT) | instid1(VALU_DEP_1)
	v_mul_f32_e32 v4, v98, v4
	v_and_b32_e32 v37, 0x7f800000, v4
	s_delay_alu instid0(VALU_DEP_1) | instskip(NEXT) | instid1(VALU_DEP_1)
	v_cmp_ne_u32_e64 s0, 0x7f800000, v37
	s_and_saveexec_b32 s12, s0
	s_delay_alu instid0(SALU_CYCLE_1)
	s_xor_b32 s0, exec_lo, s12
; %bb.1582:                             ;   in Loop: Header=BB440_1190 Depth=1
	v_bfe_u32 v37, v4, 16, 1
	s_delay_alu instid0(VALU_DEP_1)
	v_add3_u32 v130, v4, v37, 0x7fff
                                        ; implicit-def: $vgpr4
; %bb.1583:                             ;   in Loop: Header=BB440_1190 Depth=1
	s_and_not1_saveexec_b32 s12, s0
; %bb.1584:                             ;   in Loop: Header=BB440_1190 Depth=1
	v_and_b32_e32 v37, 0xffff, v4
	v_or_b32_e32 v39, 0x10000, v4
	s_delay_alu instid0(VALU_DEP_2) | instskip(NEXT) | instid1(VALU_DEP_1)
	v_cmp_eq_u32_e64 s0, 0, v37
	v_cndmask_b32_e64 v130, v39, v4, s0
; %bb.1585:                             ;   in Loop: Header=BB440_1190 Depth=1
	s_or_b32 exec_lo, exec_lo, s12
	v_lshlrev_b32_e32 v4, 16, v5
                                        ; implicit-def: $vgpr131
	s_delay_alu instid0(VALU_DEP_1) | instskip(NEXT) | instid1(VALU_DEP_1)
	v_mul_f32_e32 v4, v99, v4
	v_and_b32_e32 v5, 0x7f800000, v4
	s_delay_alu instid0(VALU_DEP_1) | instskip(NEXT) | instid1(VALU_DEP_1)
	v_cmp_ne_u32_e64 s0, 0x7f800000, v5
	s_and_saveexec_b32 s12, s0
	s_delay_alu instid0(SALU_CYCLE_1)
	s_xor_b32 s0, exec_lo, s12
; %bb.1586:                             ;   in Loop: Header=BB440_1190 Depth=1
	v_bfe_u32 v5, v4, 16, 1
	s_delay_alu instid0(VALU_DEP_1)
	v_add3_u32 v131, v4, v5, 0x7fff
                                        ; implicit-def: $vgpr4
; %bb.1587:                             ;   in Loop: Header=BB440_1190 Depth=1
	s_and_not1_saveexec_b32 s12, s0
; %bb.1588:                             ;   in Loop: Header=BB440_1190 Depth=1
	v_and_b32_e32 v5, 0xffff, v4
	v_or_b32_e32 v37, 0x10000, v4
	s_delay_alu instid0(VALU_DEP_2) | instskip(NEXT) | instid1(VALU_DEP_1)
	v_cmp_eq_u32_e64 s0, 0, v5
	v_cndmask_b32_e64 v131, v37, v4, s0
; %bb.1589:                             ;   in Loop: Header=BB440_1190 Depth=1
	s_or_b32 exec_lo, exec_lo, s12
	v_lshlrev_b32_e32 v4, 16, v21
                                        ; implicit-def: $vgpr132
	s_delay_alu instid0(VALU_DEP_1) | instskip(NEXT) | instid1(VALU_DEP_1)
	v_mul_f32_e32 v4, v100, v4
	v_and_b32_e32 v5, 0x7f800000, v4
	s_delay_alu instid0(VALU_DEP_1) | instskip(NEXT) | instid1(VALU_DEP_1)
	v_cmp_ne_u32_e64 s0, 0x7f800000, v5
	s_and_saveexec_b32 s12, s0
	s_delay_alu instid0(SALU_CYCLE_1)
	s_xor_b32 s0, exec_lo, s12
; %bb.1590:                             ;   in Loop: Header=BB440_1190 Depth=1
	v_bfe_u32 v5, v4, 16, 1
	s_delay_alu instid0(VALU_DEP_1)
	v_add3_u32 v132, v4, v5, 0x7fff
                                        ; implicit-def: $vgpr4
; %bb.1591:                             ;   in Loop: Header=BB440_1190 Depth=1
	s_and_not1_saveexec_b32 s12, s0
; %bb.1592:                             ;   in Loop: Header=BB440_1190 Depth=1
	v_and_b32_e32 v5, 0xffff, v4
	v_or_b32_e32 v21, 0x10000, v4
	s_delay_alu instid0(VALU_DEP_2) | instskip(NEXT) | instid1(VALU_DEP_1)
	v_cmp_eq_u32_e64 s0, 0, v5
	v_cndmask_b32_e64 v132, v21, v4, s0
; %bb.1593:                             ;   in Loop: Header=BB440_1190 Depth=1
	s_or_b32 exec_lo, exec_lo, s12
	v_lshlrev_b32_e32 v4, 16, v9
                                        ; implicit-def: $vgpr133
	s_delay_alu instid0(VALU_DEP_1) | instskip(NEXT) | instid1(VALU_DEP_1)
	v_mul_f32_e32 v4, v101, v4
	v_and_b32_e32 v5, 0x7f800000, v4
	s_delay_alu instid0(VALU_DEP_1) | instskip(NEXT) | instid1(VALU_DEP_1)
	v_cmp_ne_u32_e64 s0, 0x7f800000, v5
	s_and_saveexec_b32 s12, s0
	s_delay_alu instid0(SALU_CYCLE_1)
	s_xor_b32 s0, exec_lo, s12
; %bb.1594:                             ;   in Loop: Header=BB440_1190 Depth=1
	v_bfe_u32 v5, v4, 16, 1
	s_delay_alu instid0(VALU_DEP_1)
	v_add3_u32 v133, v4, v5, 0x7fff
                                        ; implicit-def: $vgpr4
; %bb.1595:                             ;   in Loop: Header=BB440_1190 Depth=1
	s_and_not1_saveexec_b32 s12, s0
; %bb.1596:                             ;   in Loop: Header=BB440_1190 Depth=1
	v_and_b32_e32 v5, 0xffff, v4
	v_or_b32_e32 v9, 0x10000, v4
	s_delay_alu instid0(VALU_DEP_2) | instskip(NEXT) | instid1(VALU_DEP_1)
	v_cmp_eq_u32_e64 s0, 0, v5
	v_cndmask_b32_e64 v133, v9, v4, s0
; %bb.1597:                             ;   in Loop: Header=BB440_1190 Depth=1
	s_or_b32 exec_lo, exec_lo, s12
	v_lshlrev_b32_e32 v4, 16, v7
                                        ; implicit-def: $vgpr134
	s_delay_alu instid0(VALU_DEP_1) | instskip(NEXT) | instid1(VALU_DEP_1)
	v_mul_f32_e32 v4, v102, v4
	v_and_b32_e32 v5, 0x7f800000, v4
	s_delay_alu instid0(VALU_DEP_1) | instskip(NEXT) | instid1(VALU_DEP_1)
	v_cmp_ne_u32_e64 s0, 0x7f800000, v5
	s_and_saveexec_b32 s12, s0
	s_delay_alu instid0(SALU_CYCLE_1)
	s_xor_b32 s0, exec_lo, s12
; %bb.1598:                             ;   in Loop: Header=BB440_1190 Depth=1
	v_bfe_u32 v5, v4, 16, 1
	s_delay_alu instid0(VALU_DEP_1)
	v_add3_u32 v134, v4, v5, 0x7fff
                                        ; implicit-def: $vgpr4
; %bb.1599:                             ;   in Loop: Header=BB440_1190 Depth=1
	s_and_not1_saveexec_b32 s12, s0
; %bb.1600:                             ;   in Loop: Header=BB440_1190 Depth=1
	v_and_b32_e32 v5, 0xffff, v4
	v_or_b32_e32 v7, 0x10000, v4
	s_delay_alu instid0(VALU_DEP_2) | instskip(NEXT) | instid1(VALU_DEP_1)
	v_cmp_eq_u32_e64 s0, 0, v5
	v_cndmask_b32_e64 v134, v7, v4, s0
; %bb.1601:                             ;   in Loop: Header=BB440_1190 Depth=1
	s_or_b32 exec_lo, exec_lo, s12
	v_lshlrev_b32_e32 v4, 16, v6
                                        ; implicit-def: $vgpr135
	s_delay_alu instid0(VALU_DEP_1) | instskip(NEXT) | instid1(VALU_DEP_1)
	v_mul_f32_e32 v4, v103, v4
	v_and_b32_e32 v5, 0x7f800000, v4
	s_delay_alu instid0(VALU_DEP_1) | instskip(NEXT) | instid1(VALU_DEP_1)
	v_cmp_ne_u32_e64 s0, 0x7f800000, v5
	s_and_saveexec_b32 s12, s0
	s_delay_alu instid0(SALU_CYCLE_1)
	s_xor_b32 s0, exec_lo, s12
; %bb.1602:                             ;   in Loop: Header=BB440_1190 Depth=1
	v_bfe_u32 v5, v4, 16, 1
	s_delay_alu instid0(VALU_DEP_1)
	v_add3_u32 v135, v4, v5, 0x7fff
                                        ; implicit-def: $vgpr4
; %bb.1603:                             ;   in Loop: Header=BB440_1190 Depth=1
	s_and_not1_saveexec_b32 s12, s0
; %bb.1604:                             ;   in Loop: Header=BB440_1190 Depth=1
	v_and_b32_e32 v5, 0xffff, v4
	v_or_b32_e32 v6, 0x10000, v4
	s_delay_alu instid0(VALU_DEP_2) | instskip(NEXT) | instid1(VALU_DEP_1)
	v_cmp_eq_u32_e64 s0, 0, v5
	v_cndmask_b32_e64 v135, v6, v4, s0
; %bb.1605:                             ;   in Loop: Header=BB440_1190 Depth=1
	s_or_b32 exec_lo, exec_lo, s12
	v_lshlrev_b32_e32 v3, 16, v3
                                        ; implicit-def: $vgpr144
	s_delay_alu instid0(VALU_DEP_1) | instskip(NEXT) | instid1(VALU_DEP_1)
	v_mul_f32_e32 v3, v112, v3
	v_and_b32_e32 v4, 0x7f800000, v3
	s_delay_alu instid0(VALU_DEP_1) | instskip(NEXT) | instid1(VALU_DEP_1)
	v_cmp_ne_u32_e64 s0, 0x7f800000, v4
	s_and_saveexec_b32 s12, s0
	s_delay_alu instid0(SALU_CYCLE_1)
	s_xor_b32 s0, exec_lo, s12
; %bb.1606:                             ;   in Loop: Header=BB440_1190 Depth=1
	v_bfe_u32 v4, v3, 16, 1
	s_delay_alu instid0(VALU_DEP_1)
	v_add3_u32 v144, v3, v4, 0x7fff
                                        ; implicit-def: $vgpr3
; %bb.1607:                             ;   in Loop: Header=BB440_1190 Depth=1
	s_and_not1_saveexec_b32 s12, s0
; %bb.1608:                             ;   in Loop: Header=BB440_1190 Depth=1
	v_and_b32_e32 v4, 0xffff, v3
	v_or_b32_e32 v5, 0x10000, v3
	s_delay_alu instid0(VALU_DEP_2) | instskip(NEXT) | instid1(VALU_DEP_1)
	v_cmp_eq_u32_e64 s0, 0, v4
	v_cndmask_b32_e64 v144, v5, v3, s0
; %bb.1609:                             ;   in Loop: Header=BB440_1190 Depth=1
	s_or_b32 exec_lo, exec_lo, s12
	v_lshlrev_b32_e32 v2, 16, v2
                                        ; implicit-def: $vgpr145
	s_delay_alu instid0(VALU_DEP_1) | instskip(NEXT) | instid1(VALU_DEP_1)
	v_mul_f32_e32 v2, v113, v2
	v_and_b32_e32 v3, 0x7f800000, v2
	s_delay_alu instid0(VALU_DEP_1) | instskip(NEXT) | instid1(VALU_DEP_1)
	v_cmp_ne_u32_e64 s0, 0x7f800000, v3
	s_and_saveexec_b32 s12, s0
	s_delay_alu instid0(SALU_CYCLE_1)
	s_xor_b32 s0, exec_lo, s12
; %bb.1610:                             ;   in Loop: Header=BB440_1190 Depth=1
	v_bfe_u32 v3, v2, 16, 1
	s_delay_alu instid0(VALU_DEP_1)
	v_add3_u32 v145, v2, v3, 0x7fff
                                        ; implicit-def: $vgpr2
; %bb.1611:                             ;   in Loop: Header=BB440_1190 Depth=1
	s_and_not1_saveexec_b32 s12, s0
; %bb.1612:                             ;   in Loop: Header=BB440_1190 Depth=1
	v_and_b32_e32 v3, 0xffff, v2
	v_or_b32_e32 v4, 0x10000, v2
	s_delay_alu instid0(VALU_DEP_2) | instskip(NEXT) | instid1(VALU_DEP_1)
	v_cmp_eq_u32_e64 s0, 0, v3
	v_cndmask_b32_e64 v145, v4, v2, s0
; %bb.1613:                             ;   in Loop: Header=BB440_1190 Depth=1
	s_or_b32 exec_lo, exec_lo, s12
	flat_load_b64 v[2:3], v[0:1] offset:768
	s_mov_b32 s12, exec_lo
	s_waitcnt vmcnt(0) lgkmcnt(0)
	v_dual_mov_b32 v4, 0 :: v_dual_and_b32 v5, 0xff, v2
	s_delay_alu instid0(VALU_DEP_1)
	v_cmpx_ne_u16_e32 0, v5
	s_cbranch_execz .LBB440_1621
; %bb.1614:                             ;   in Loop: Header=BB440_1190 Depth=1
	v_bfrev_b32_e32 v4, 1
	s_mov_b32 s13, exec_lo
	v_cmpx_ne_u16_e32 0x80, v5
	s_cbranch_execz .LBB440_1620
; %bb.1615:                             ;   in Loop: Header=BB440_1190 Depth=1
	v_and_b32_e32 v5, 0x7f, v2
	v_mov_b32_e32 v4, 0x7f800001
	s_mov_b32 s15, exec_lo
	s_delay_alu instid0(VALU_DEP_2)
	v_cmpx_ne_u32_e32 0x7f, v5
	s_cbranch_execz .LBB440_1619
; %bb.1616:                             ;   in Loop: Header=BB440_1190 Depth=1
	v_lshrrev_b32_e32 v4, 3, v5
	v_dual_mov_b32 v7, v3 :: v_dual_mov_b32 v6, v2
	s_mov_b32 s16, exec_lo
	v_cmpx_gt_u32_e32 8, v5
; %bb.1617:                             ;   in Loop: Header=BB440_1190 Depth=1
	v_and_b32_e32 v4, 7, v2
	s_delay_alu instid0(VALU_DEP_1) | instskip(NEXT) | instid1(VALU_DEP_1)
	v_clz_i32_u32_e32 v4, v4
	v_min_u32_e32 v4, 32, v4
	s_delay_alu instid0(VALU_DEP_1) | instskip(SKIP_1) | instid1(VALU_DEP_2)
	v_subrev_nc_u32_e32 v5, 28, v4
	v_sub_nc_u32_e32 v4, 29, v4
	v_lshlrev_b64 v[6:7], v5, v[2:3]
; %bb.1618:                             ;   in Loop: Header=BB440_1190 Depth=1
	s_or_b32 exec_lo, exec_lo, s16
	s_delay_alu instid0(VALU_DEP_1) | instskip(SKIP_2) | instid1(VALU_DEP_3)
	v_lshlrev_b32_e32 v5, 20, v6
	v_lshlrev_b32_e32 v6, 24, v2
	v_lshl_add_u32 v4, v4, 23, 0x3c000000
	v_and_b32_e32 v5, 0x700000, v5
	s_delay_alu instid0(VALU_DEP_3) | instskip(NEXT) | instid1(VALU_DEP_1)
	v_and_b32_e32 v6, 0x80000000, v6
	v_or3_b32 v4, v5, v6, v4
.LBB440_1619:                           ;   in Loop: Header=BB440_1190 Depth=1
	s_or_b32 exec_lo, exec_lo, s15
.LBB440_1620:                           ;   in Loop: Header=BB440_1190 Depth=1
	s_delay_alu instid0(SALU_CYCLE_1)
	s_or_b32 exec_lo, exec_lo, s13
.LBB440_1621:                           ;   in Loop: Header=BB440_1190 Depth=1
	s_delay_alu instid0(SALU_CYCLE_1) | instskip(NEXT) | instid1(VALU_DEP_1)
	s_or_b32 exec_lo, exec_lo, s12
	v_mul_f32_e32 v5, v8, v4
	s_delay_alu instid0(VALU_DEP_1) | instskip(NEXT) | instid1(VALU_DEP_1)
	v_and_b32_e32 v4, 0x7f800000, v5
	v_cmp_ne_u32_e64 s0, 0x7f800000, v4
                                        ; implicit-def: $vgpr4
	s_delay_alu instid0(VALU_DEP_1) | instskip(NEXT) | instid1(SALU_CYCLE_1)
	s_and_saveexec_b32 s12, s0
	s_xor_b32 s0, exec_lo, s12
; %bb.1622:                             ;   in Loop: Header=BB440_1190 Depth=1
	v_bfe_u32 v4, v5, 16, 1
	s_delay_alu instid0(VALU_DEP_1)
	v_add3_u32 v4, v5, v4, 0x7fff
                                        ; implicit-def: $vgpr5
; %bb.1623:                             ;   in Loop: Header=BB440_1190 Depth=1
	s_and_not1_saveexec_b32 s12, s0
; %bb.1624:                             ;   in Loop: Header=BB440_1190 Depth=1
	v_and_b32_e32 v4, 0xffff, v5
	v_or_b32_e32 v6, 0x10000, v5
	s_delay_alu instid0(VALU_DEP_2) | instskip(NEXT) | instid1(VALU_DEP_1)
	v_cmp_eq_u32_e64 s0, 0, v4
	v_cndmask_b32_e64 v4, v6, v5, s0
; %bb.1625:                             ;   in Loop: Header=BB440_1190 Depth=1
	s_or_b32 exec_lo, exec_lo, s12
	v_lshrrev_b16 v6, 8, v2
	v_mov_b32_e32 v5, 0
	s_mov_b32 s12, exec_lo
	s_delay_alu instid0(VALU_DEP_2)
	v_cmpx_ne_u16_e32 0, v6
	s_cbranch_execz .LBB440_1633
; %bb.1626:                             ;   in Loop: Header=BB440_1190 Depth=1
	v_bfrev_b32_e32 v5, 1
	s_mov_b32 s13, exec_lo
	v_cmpx_ne_u16_e32 0x80, v6
	s_cbranch_execz .LBB440_1632
; %bb.1627:                             ;   in Loop: Header=BB440_1190 Depth=1
	v_and_b32_e32 v7, 0xffff, v6
	v_mov_b32_e32 v5, 0x7f800001
	s_mov_b32 s15, exec_lo
	s_delay_alu instid0(VALU_DEP_2) | instskip(NEXT) | instid1(VALU_DEP_1)
	v_and_b32_e32 v6, 0x7f, v7
	v_cmpx_ne_u32_e32 0x7f, v6
	s_cbranch_execz .LBB440_1631
; %bb.1628:                             ;   in Loop: Header=BB440_1190 Depth=1
	v_and_b32_e32 v9, 7, v7
	v_lshrrev_b32_e32 v5, 3, v6
	s_mov_b32 s16, exec_lo
	v_cmpx_gt_u32_e32 8, v6
; %bb.1629:                             ;   in Loop: Header=BB440_1190 Depth=1
	s_delay_alu instid0(VALU_DEP_3) | instskip(NEXT) | instid1(VALU_DEP_1)
	v_clz_i32_u32_e32 v5, v9
	v_min_u32_e32 v5, 32, v5
	s_delay_alu instid0(VALU_DEP_1) | instskip(SKIP_1) | instid1(VALU_DEP_2)
	v_subrev_nc_u32_e32 v6, 28, v5
	v_sub_nc_u32_e32 v5, 29, v5
	v_lshlrev_b64 v[6:7], v6, v[9:10]
	s_delay_alu instid0(VALU_DEP_1)
	v_and_b32_e32 v9, 7, v6
; %bb.1630:                             ;   in Loop: Header=BB440_1190 Depth=1
	s_or_b32 exec_lo, exec_lo, s16
	v_lshlrev_b32_e32 v6, 16, v2
	s_delay_alu instid0(VALU_DEP_2) | instskip(SKIP_1) | instid1(VALU_DEP_3)
	v_lshlrev_b32_e32 v7, 20, v9
	v_lshl_add_u32 v5, v5, 23, 0x3c000000
	v_and_b32_e32 v6, 0x80000000, v6
	s_delay_alu instid0(VALU_DEP_1)
	v_or3_b32 v5, v7, v6, v5
.LBB440_1631:                           ;   in Loop: Header=BB440_1190 Depth=1
	s_or_b32 exec_lo, exec_lo, s15
.LBB440_1632:                           ;   in Loop: Header=BB440_1190 Depth=1
	s_delay_alu instid0(SALU_CYCLE_1)
	s_or_b32 exec_lo, exec_lo, s13
.LBB440_1633:                           ;   in Loop: Header=BB440_1190 Depth=1
	s_delay_alu instid0(SALU_CYCLE_1) | instskip(NEXT) | instid1(VALU_DEP_1)
	s_or_b32 exec_lo, exec_lo, s12
	v_mul_f32_e32 v6, v8, v5
	s_delay_alu instid0(VALU_DEP_1) | instskip(NEXT) | instid1(VALU_DEP_1)
	v_and_b32_e32 v5, 0x7f800000, v6
	v_cmp_ne_u32_e64 s0, 0x7f800000, v5
                                        ; implicit-def: $vgpr5
	s_delay_alu instid0(VALU_DEP_1) | instskip(NEXT) | instid1(SALU_CYCLE_1)
	s_and_saveexec_b32 s12, s0
	s_xor_b32 s0, exec_lo, s12
; %bb.1634:                             ;   in Loop: Header=BB440_1190 Depth=1
	v_bfe_u32 v5, v6, 16, 1
	s_delay_alu instid0(VALU_DEP_1)
	v_add3_u32 v5, v6, v5, 0x7fff
                                        ; implicit-def: $vgpr6
; %bb.1635:                             ;   in Loop: Header=BB440_1190 Depth=1
	s_and_not1_saveexec_b32 s12, s0
; %bb.1636:                             ;   in Loop: Header=BB440_1190 Depth=1
	v_and_b32_e32 v5, 0xffff, v6
	v_or_b32_e32 v7, 0x10000, v6
	s_delay_alu instid0(VALU_DEP_2) | instskip(NEXT) | instid1(VALU_DEP_1)
	v_cmp_eq_u32_e64 s0, 0, v5
	v_cndmask_b32_e64 v5, v7, v6, s0
; %bb.1637:                             ;   in Loop: Header=BB440_1190 Depth=1
	s_or_b32 exec_lo, exec_lo, s12
	v_lshrrev_b32_e32 v6, 16, v2
	v_mov_b32_e32 v7, 0
	s_mov_b32 s12, exec_lo
	s_delay_alu instid0(VALU_DEP_2) | instskip(NEXT) | instid1(VALU_DEP_1)
	v_and_b32_e32 v9, 0xff, v6
	v_cmpx_ne_u16_e32 0, v9
	s_cbranch_execz .LBB440_1645
; %bb.1638:                             ;   in Loop: Header=BB440_1190 Depth=1
	v_bfrev_b32_e32 v7, 1
	s_mov_b32 s13, exec_lo
	v_cmpx_ne_u16_e32 0x80, v9
	s_cbranch_execz .LBB440_1644
; %bb.1639:                             ;   in Loop: Header=BB440_1190 Depth=1
	v_bfe_u32 v21, v2, 16, 7
	v_mov_b32_e32 v7, 0x7f800001
	s_mov_b32 s15, exec_lo
	s_delay_alu instid0(VALU_DEP_2)
	v_cmpx_ne_u32_e32 0x7f, v21
	s_cbranch_execz .LBB440_1643
; %bb.1640:                             ;   in Loop: Header=BB440_1190 Depth=1
	v_and_b32_e32 v9, 7, v6
	v_lshrrev_b32_e32 v7, 3, v21
	s_mov_b32 s16, exec_lo
	v_cmpx_gt_u32_e32 8, v21
; %bb.1641:                             ;   in Loop: Header=BB440_1190 Depth=1
	s_delay_alu instid0(VALU_DEP_3) | instskip(NEXT) | instid1(VALU_DEP_1)
	v_clz_i32_u32_e32 v7, v9
	v_min_u32_e32 v7, 32, v7
	s_delay_alu instid0(VALU_DEP_1) | instskip(SKIP_1) | instid1(VALU_DEP_2)
	v_subrev_nc_u32_e32 v21, 28, v7
	v_sub_nc_u32_e32 v7, 29, v7
	v_lshlrev_b64 v[146:147], v21, v[9:10]
	s_delay_alu instid0(VALU_DEP_1)
	v_and_b32_e32 v9, 7, v146
; %bb.1642:                             ;   in Loop: Header=BB440_1190 Depth=1
	s_or_b32 exec_lo, exec_lo, s16
	v_lshlrev_b32_e32 v6, 24, v6
	s_delay_alu instid0(VALU_DEP_2) | instskip(SKIP_1) | instid1(VALU_DEP_3)
	v_lshlrev_b32_e32 v9, 20, v9
	v_lshl_add_u32 v7, v7, 23, 0x3c000000
	v_and_b32_e32 v6, 0x80000000, v6
	s_delay_alu instid0(VALU_DEP_1)
	v_or3_b32 v7, v9, v6, v7
.LBB440_1643:                           ;   in Loop: Header=BB440_1190 Depth=1
	s_or_b32 exec_lo, exec_lo, s15
.LBB440_1644:                           ;   in Loop: Header=BB440_1190 Depth=1
	s_delay_alu instid0(SALU_CYCLE_1)
	s_or_b32 exec_lo, exec_lo, s13
.LBB440_1645:                           ;   in Loop: Header=BB440_1190 Depth=1
	s_delay_alu instid0(SALU_CYCLE_1) | instskip(NEXT) | instid1(VALU_DEP_1)
	s_or_b32 exec_lo, exec_lo, s12
	v_mul_f32_e32 v6, v8, v7
                                        ; implicit-def: $vgpr21
	s_delay_alu instid0(VALU_DEP_1) | instskip(NEXT) | instid1(VALU_DEP_1)
	v_and_b32_e32 v7, 0x7f800000, v6
	v_cmp_ne_u32_e64 s0, 0x7f800000, v7
	s_delay_alu instid0(VALU_DEP_1) | instskip(NEXT) | instid1(SALU_CYCLE_1)
	s_and_saveexec_b32 s12, s0
	s_xor_b32 s0, exec_lo, s12
; %bb.1646:                             ;   in Loop: Header=BB440_1190 Depth=1
	v_bfe_u32 v7, v6, 16, 1
	s_delay_alu instid0(VALU_DEP_1)
	v_add3_u32 v21, v6, v7, 0x7fff
                                        ; implicit-def: $vgpr6
; %bb.1647:                             ;   in Loop: Header=BB440_1190 Depth=1
	s_and_not1_saveexec_b32 s12, s0
; %bb.1648:                             ;   in Loop: Header=BB440_1190 Depth=1
	v_and_b32_e32 v7, 0xffff, v6
	v_or_b32_e32 v9, 0x10000, v6
	s_delay_alu instid0(VALU_DEP_2) | instskip(NEXT) | instid1(VALU_DEP_1)
	v_cmp_eq_u32_e64 s0, 0, v7
	v_cndmask_b32_e64 v21, v9, v6, s0
; %bb.1649:                             ;   in Loop: Header=BB440_1190 Depth=1
	s_or_b32 exec_lo, exec_lo, s12
	v_mov_b32_e32 v7, 0
	s_mov_b32 s12, exec_lo
	v_cmpx_lt_u32_e32 0xffffff, v2
	s_cbranch_execz .LBB440_1657
; %bb.1650:                             ;   in Loop: Header=BB440_1190 Depth=1
	v_lshrrev_b32_e32 v6, 24, v2
	v_bfrev_b32_e32 v7, 1
	s_mov_b32 s13, exec_lo
	s_delay_alu instid0(VALU_DEP_2)
	v_cmpx_ne_u32_e32 0x80, v6
	s_cbranch_execz .LBB440_1656
; %bb.1651:                             ;   in Loop: Header=BB440_1190 Depth=1
	v_bfe_u32 v37, v2, 24, 7
	v_mov_b32_e32 v7, 0x7f800001
	s_mov_b32 s15, exec_lo
	s_delay_alu instid0(VALU_DEP_2)
	v_cmpx_ne_u32_e32 0x7f, v37
	s_cbranch_execz .LBB440_1655
; %bb.1652:                             ;   in Loop: Header=BB440_1190 Depth=1
	v_and_b32_e32 v9, 7, v6
	v_lshrrev_b32_e32 v7, 3, v37
	s_mov_b32 s16, exec_lo
	v_cmpx_gt_u32_e32 8, v37
; %bb.1653:                             ;   in Loop: Header=BB440_1190 Depth=1
	s_delay_alu instid0(VALU_DEP_3) | instskip(NEXT) | instid1(VALU_DEP_1)
	v_clz_i32_u32_e32 v7, v9
	v_min_u32_e32 v7, 32, v7
	s_delay_alu instid0(VALU_DEP_1) | instskip(SKIP_1) | instid1(VALU_DEP_2)
	v_subrev_nc_u32_e32 v37, 28, v7
	v_sub_nc_u32_e32 v7, 29, v7
	v_lshlrev_b64 v[146:147], v37, v[9:10]
	s_delay_alu instid0(VALU_DEP_1)
	v_and_b32_e32 v9, 7, v146
; %bb.1654:                             ;   in Loop: Header=BB440_1190 Depth=1
	s_or_b32 exec_lo, exec_lo, s16
	v_lshlrev_b32_e32 v6, 24, v6
	s_delay_alu instid0(VALU_DEP_2) | instskip(SKIP_1) | instid1(VALU_DEP_3)
	v_lshlrev_b32_e32 v9, 20, v9
	v_lshl_add_u32 v7, v7, 23, 0x3c000000
	v_and_b32_e32 v6, 0x80000000, v6
	s_delay_alu instid0(VALU_DEP_1)
	v_or3_b32 v7, v9, v6, v7
.LBB440_1655:                           ;   in Loop: Header=BB440_1190 Depth=1
	s_or_b32 exec_lo, exec_lo, s15
.LBB440_1656:                           ;   in Loop: Header=BB440_1190 Depth=1
	s_delay_alu instid0(SALU_CYCLE_1)
	s_or_b32 exec_lo, exec_lo, s13
.LBB440_1657:                           ;   in Loop: Header=BB440_1190 Depth=1
	s_delay_alu instid0(SALU_CYCLE_1) | instskip(NEXT) | instid1(VALU_DEP_1)
	s_or_b32 exec_lo, exec_lo, s12
	v_mul_f32_e32 v6, v8, v7
                                        ; implicit-def: $vgpr37
	s_delay_alu instid0(VALU_DEP_1) | instskip(NEXT) | instid1(VALU_DEP_1)
	v_and_b32_e32 v7, 0x7f800000, v6
	v_cmp_ne_u32_e64 s0, 0x7f800000, v7
	s_delay_alu instid0(VALU_DEP_1) | instskip(NEXT) | instid1(SALU_CYCLE_1)
	s_and_saveexec_b32 s12, s0
	s_xor_b32 s0, exec_lo, s12
; %bb.1658:                             ;   in Loop: Header=BB440_1190 Depth=1
	v_bfe_u32 v7, v6, 16, 1
	s_delay_alu instid0(VALU_DEP_1)
	v_add3_u32 v37, v6, v7, 0x7fff
                                        ; implicit-def: $vgpr6
; %bb.1659:                             ;   in Loop: Header=BB440_1190 Depth=1
	s_and_not1_saveexec_b32 s12, s0
; %bb.1660:                             ;   in Loop: Header=BB440_1190 Depth=1
	v_and_b32_e32 v7, 0xffff, v6
	v_or_b32_e32 v9, 0x10000, v6
	s_delay_alu instid0(VALU_DEP_2) | instskip(NEXT) | instid1(VALU_DEP_1)
	v_cmp_eq_u32_e64 s0, 0, v7
	v_cndmask_b32_e64 v37, v9, v6, s0
; %bb.1661:                             ;   in Loop: Header=BB440_1190 Depth=1
	s_or_b32 exec_lo, exec_lo, s12
	v_dual_mov_b32 v6, 0 :: v_dual_and_b32 v7, 0xff, v3
	v_mov_b32_e32 v9, v3
	s_mov_b32 s12, exec_lo
	s_delay_alu instid0(VALU_DEP_2)
	v_cmpx_ne_u16_e32 0, v7
	s_cbranch_execz .LBB440_1669
; %bb.1662:                             ;   in Loop: Header=BB440_1190 Depth=1
	v_bfrev_b32_e32 v6, 1
	s_mov_b32 s13, exec_lo
	v_cmpx_ne_u16_e32 0x80, v7
	s_cbranch_execz .LBB440_1668
; %bb.1663:                             ;   in Loop: Header=BB440_1190 Depth=1
	v_and_b32_e32 v7, 0x7f, v3
	v_mov_b32_e32 v6, 0x7f800001
	s_mov_b32 s15, exec_lo
	s_delay_alu instid0(VALU_DEP_2)
	v_cmpx_ne_u32_e32 0x7f, v7
	s_cbranch_execz .LBB440_1667
; %bb.1664:                             ;   in Loop: Header=BB440_1190 Depth=1
	v_lshrrev_b32_e32 v39, 3, v7
	v_cmp_gt_u32_e64 s0, 8, v7
	v_dual_mov_b32 v6, v9 :: v_dual_mov_b32 v7, v10
	s_delay_alu instid0(VALU_DEP_2)
	s_and_saveexec_b32 s16, s0
; %bb.1665:                             ;   in Loop: Header=BB440_1190 Depth=1
	v_and_b32_e32 v6, 7, v3
	s_delay_alu instid0(VALU_DEP_1) | instskip(NEXT) | instid1(VALU_DEP_1)
	v_clz_i32_u32_e32 v6, v6
	v_min_u32_e32 v39, 32, v6
	s_delay_alu instid0(VALU_DEP_1) | instskip(SKIP_1) | instid1(VALU_DEP_2)
	v_subrev_nc_u32_e32 v6, 28, v39
	v_sub_nc_u32_e32 v39, 29, v39
	v_lshlrev_b64 v[6:7], v6, v[9:10]
; %bb.1666:                             ;   in Loop: Header=BB440_1190 Depth=1
	s_or_b32 exec_lo, exec_lo, s16
	s_delay_alu instid0(VALU_DEP_1) | instskip(SKIP_2) | instid1(VALU_DEP_3)
	v_lshlrev_b32_e32 v6, 20, v6
	v_lshlrev_b32_e32 v7, 24, v9
	v_lshl_add_u32 v39, v39, 23, 0x3c000000
	v_and_b32_e32 v6, 0x700000, v6
	s_delay_alu instid0(VALU_DEP_3) | instskip(NEXT) | instid1(VALU_DEP_1)
	v_and_b32_e32 v7, 0x80000000, v7
	v_or3_b32 v6, v6, v7, v39
.LBB440_1667:                           ;   in Loop: Header=BB440_1190 Depth=1
	s_or_b32 exec_lo, exec_lo, s15
.LBB440_1668:                           ;   in Loop: Header=BB440_1190 Depth=1
	s_delay_alu instid0(SALU_CYCLE_1)
	s_or_b32 exec_lo, exec_lo, s13
.LBB440_1669:                           ;   in Loop: Header=BB440_1190 Depth=1
	s_delay_alu instid0(SALU_CYCLE_1) | instskip(NEXT) | instid1(VALU_DEP_1)
	s_or_b32 exec_lo, exec_lo, s12
	v_mul_f32_e32 v6, v8, v6
                                        ; implicit-def: $vgpr39
	s_delay_alu instid0(VALU_DEP_1) | instskip(NEXT) | instid1(VALU_DEP_1)
	v_and_b32_e32 v7, 0x7f800000, v6
	v_cmp_ne_u32_e64 s0, 0x7f800000, v7
	s_delay_alu instid0(VALU_DEP_1) | instskip(NEXT) | instid1(SALU_CYCLE_1)
	s_and_saveexec_b32 s12, s0
	s_xor_b32 s0, exec_lo, s12
; %bb.1670:                             ;   in Loop: Header=BB440_1190 Depth=1
	v_bfe_u32 v7, v6, 16, 1
	s_delay_alu instid0(VALU_DEP_1)
	v_add3_u32 v39, v6, v7, 0x7fff
                                        ; implicit-def: $vgpr6
; %bb.1671:                             ;   in Loop: Header=BB440_1190 Depth=1
	s_and_not1_saveexec_b32 s12, s0
; %bb.1672:                             ;   in Loop: Header=BB440_1190 Depth=1
	v_and_b32_e32 v7, 0xffff, v6
	v_or_b32_e32 v39, 0x10000, v6
	s_delay_alu instid0(VALU_DEP_2) | instskip(NEXT) | instid1(VALU_DEP_1)
	v_cmp_eq_u32_e64 s0, 0, v7
	v_cndmask_b32_e64 v39, v39, v6, s0
; %bb.1673:                             ;   in Loop: Header=BB440_1190 Depth=1
	s_or_b32 exec_lo, exec_lo, s12
	v_lshrrev_b16 v7, 8, v9
	v_mov_b32_e32 v6, 0
	s_mov_b32 s12, exec_lo
	s_delay_alu instid0(VALU_DEP_2)
	v_cmpx_ne_u16_e32 0, v7
	s_cbranch_execz .LBB440_1681
; %bb.1674:                             ;   in Loop: Header=BB440_1190 Depth=1
	v_bfrev_b32_e32 v6, 1
	s_mov_b32 s13, exec_lo
	v_cmpx_ne_u16_e32 0x80, v7
	s_cbranch_execz .LBB440_1680
; %bb.1675:                             ;   in Loop: Header=BB440_1190 Depth=1
	v_and_b32_e32 v7, 0xffff, v7
	v_mov_b32_e32 v6, 0x7f800001
	s_mov_b32 s15, exec_lo
	s_delay_alu instid0(VALU_DEP_2) | instskip(NEXT) | instid1(VALU_DEP_1)
	v_and_b32_e32 v147, 0x7f, v7
	v_cmpx_ne_u32_e32 0x7f, v147
	s_cbranch_execz .LBB440_1679
; %bb.1676:                             ;   in Loop: Header=BB440_1190 Depth=1
	v_dual_mov_b32 v7, v10 :: v_dual_and_b32 v6, 7, v7
	v_lshrrev_b32_e32 v146, 3, v147
	s_mov_b32 s16, exec_lo
	v_cmpx_gt_u32_e32 8, v147
; %bb.1677:                             ;   in Loop: Header=BB440_1190 Depth=1
	s_delay_alu instid0(VALU_DEP_3) | instskip(NEXT) | instid1(VALU_DEP_1)
	v_clz_i32_u32_e32 v146, v6
	v_min_u32_e32 v146, 32, v146
	s_delay_alu instid0(VALU_DEP_1) | instskip(SKIP_1) | instid1(VALU_DEP_2)
	v_subrev_nc_u32_e32 v147, 28, v146
	v_sub_nc_u32_e32 v146, 29, v146
	v_lshlrev_b64 v[6:7], v147, v[6:7]
	s_delay_alu instid0(VALU_DEP_1)
	v_and_b32_e32 v6, 7, v6
; %bb.1678:                             ;   in Loop: Header=BB440_1190 Depth=1
	s_or_b32 exec_lo, exec_lo, s16
	v_lshlrev_b32_e32 v7, 16, v9
	s_delay_alu instid0(VALU_DEP_2) | instskip(SKIP_1) | instid1(VALU_DEP_3)
	v_lshlrev_b32_e32 v6, 20, v6
	v_lshl_add_u32 v9, v146, 23, 0x3c000000
	v_and_b32_e32 v7, 0x80000000, v7
	s_delay_alu instid0(VALU_DEP_1)
	v_or3_b32 v6, v6, v7, v9
.LBB440_1679:                           ;   in Loop: Header=BB440_1190 Depth=1
	s_or_b32 exec_lo, exec_lo, s15
.LBB440_1680:                           ;   in Loop: Header=BB440_1190 Depth=1
	s_delay_alu instid0(SALU_CYCLE_1)
	s_or_b32 exec_lo, exec_lo, s13
.LBB440_1681:                           ;   in Loop: Header=BB440_1190 Depth=1
	s_delay_alu instid0(SALU_CYCLE_1) | instskip(NEXT) | instid1(VALU_DEP_1)
	s_or_b32 exec_lo, exec_lo, s12
	v_mul_f32_e32 v7, v8, v6
	s_delay_alu instid0(VALU_DEP_1) | instskip(NEXT) | instid1(VALU_DEP_1)
	v_and_b32_e32 v6, 0x7f800000, v7
	v_cmp_ne_u32_e64 s0, 0x7f800000, v6
                                        ; implicit-def: $vgpr6
	s_delay_alu instid0(VALU_DEP_1) | instskip(NEXT) | instid1(SALU_CYCLE_1)
	s_and_saveexec_b32 s12, s0
	s_xor_b32 s0, exec_lo, s12
; %bb.1682:                             ;   in Loop: Header=BB440_1190 Depth=1
	v_bfe_u32 v6, v7, 16, 1
	s_delay_alu instid0(VALU_DEP_1)
	v_add3_u32 v6, v7, v6, 0x7fff
                                        ; implicit-def: $vgpr7
; %bb.1683:                             ;   in Loop: Header=BB440_1190 Depth=1
	s_and_not1_saveexec_b32 s12, s0
; %bb.1684:                             ;   in Loop: Header=BB440_1190 Depth=1
	v_and_b32_e32 v6, 0xffff, v7
	v_or_b32_e32 v9, 0x10000, v7
	s_delay_alu instid0(VALU_DEP_2) | instskip(NEXT) | instid1(VALU_DEP_1)
	v_cmp_eq_u32_e64 s0, 0, v6
	v_cndmask_b32_e64 v6, v9, v7, s0
; %bb.1685:                             ;   in Loop: Header=BB440_1190 Depth=1
	s_or_b32 exec_lo, exec_lo, s12
	v_lshrrev_b32_e32 v7, 16, v3
	s_mov_b32 s12, exec_lo
	s_delay_alu instid0(VALU_DEP_1) | instskip(NEXT) | instid1(VALU_DEP_1)
	v_dual_mov_b32 v9, 0 :: v_dual_and_b32 v146, 0xff, v7
	v_cmpx_ne_u16_e64 0, v146
	s_cbranch_execz .LBB440_1693
; %bb.1686:                             ;   in Loop: Header=BB440_1190 Depth=1
	v_bfrev_b32_e32 v9, 1
	s_mov_b32 s13, exec_lo
	v_cmpx_ne_u16_e64 0x80, v146
	s_cbranch_execz .LBB440_1692
; %bb.1687:                             ;   in Loop: Header=BB440_1190 Depth=1
	v_bfe_u32 v147, v3, 16, 7
	v_mov_b32_e32 v9, 0x7f800001
	s_mov_b32 s15, exec_lo
	s_delay_alu instid0(VALU_DEP_2)
	v_cmpx_ne_u32_e32 0x7f, v147
	s_cbranch_execz .LBB440_1691
; %bb.1688:                             ;   in Loop: Header=BB440_1190 Depth=1
	v_and_b32_e32 v9, 7, v7
	v_lshrrev_b32_e32 v146, 3, v147
	s_mov_b32 s16, exec_lo
	v_cmpx_gt_u32_e32 8, v147
; %bb.1689:                             ;   in Loop: Header=BB440_1190 Depth=1
	s_delay_alu instid0(VALU_DEP_3) | instskip(NEXT) | instid1(VALU_DEP_1)
	v_clz_i32_u32_e32 v146, v9
	v_min_u32_e32 v146, 32, v146
	s_delay_alu instid0(VALU_DEP_1) | instskip(SKIP_1) | instid1(VALU_DEP_2)
	v_subrev_nc_u32_e32 v147, 28, v146
	v_sub_nc_u32_e32 v146, 29, v146
	v_lshlrev_b64 v[147:148], v147, v[9:10]
	s_delay_alu instid0(VALU_DEP_1)
	v_and_b32_e32 v9, 7, v147
; %bb.1690:                             ;   in Loop: Header=BB440_1190 Depth=1
	s_or_b32 exec_lo, exec_lo, s16
	v_lshlrev_b32_e32 v7, 24, v7
	s_delay_alu instid0(VALU_DEP_2) | instskip(SKIP_1) | instid1(VALU_DEP_3)
	v_lshlrev_b32_e32 v9, 20, v9
	v_lshl_add_u32 v146, v146, 23, 0x3c000000
	v_and_b32_e32 v7, 0x80000000, v7
	s_delay_alu instid0(VALU_DEP_1)
	v_or3_b32 v9, v9, v7, v146
.LBB440_1691:                           ;   in Loop: Header=BB440_1190 Depth=1
	s_or_b32 exec_lo, exec_lo, s15
.LBB440_1692:                           ;   in Loop: Header=BB440_1190 Depth=1
	s_delay_alu instid0(SALU_CYCLE_1)
	s_or_b32 exec_lo, exec_lo, s13
.LBB440_1693:                           ;   in Loop: Header=BB440_1190 Depth=1
	s_delay_alu instid0(SALU_CYCLE_1) | instskip(NEXT) | instid1(VALU_DEP_1)
	s_or_b32 exec_lo, exec_lo, s12
	v_mul_f32_e32 v7, v8, v9
                                        ; implicit-def: $vgpr146
	s_delay_alu instid0(VALU_DEP_1) | instskip(NEXT) | instid1(VALU_DEP_1)
	v_and_b32_e32 v9, 0x7f800000, v7
	v_cmp_ne_u32_e64 s0, 0x7f800000, v9
	s_delay_alu instid0(VALU_DEP_1) | instskip(NEXT) | instid1(SALU_CYCLE_1)
	s_and_saveexec_b32 s12, s0
	s_xor_b32 s0, exec_lo, s12
; %bb.1694:                             ;   in Loop: Header=BB440_1190 Depth=1
	v_bfe_u32 v9, v7, 16, 1
	s_delay_alu instid0(VALU_DEP_1)
	v_add3_u32 v146, v7, v9, 0x7fff
                                        ; implicit-def: $vgpr7
; %bb.1695:                             ;   in Loop: Header=BB440_1190 Depth=1
	s_and_not1_saveexec_b32 s12, s0
; %bb.1696:                             ;   in Loop: Header=BB440_1190 Depth=1
	v_and_b32_e32 v9, 0xffff, v7
	v_or_b32_e32 v146, 0x10000, v7
	s_delay_alu instid0(VALU_DEP_2) | instskip(NEXT) | instid1(VALU_DEP_1)
	v_cmp_eq_u32_e64 s0, 0, v9
	v_cndmask_b32_e64 v146, v146, v7, s0
; %bb.1697:                             ;   in Loop: Header=BB440_1190 Depth=1
	s_or_b32 exec_lo, exec_lo, s12
	v_mov_b32_e32 v7, 0
	s_mov_b32 s12, exec_lo
	v_cmpx_lt_u64_e64 s[8:9], v[2:3]
	s_cbranch_execz .LBB440_1705
; %bb.1698:                             ;   in Loop: Header=BB440_1190 Depth=1
	v_lshrrev_b32_e32 v2, 24, v3
	v_bfrev_b32_e32 v7, 1
	s_mov_b32 s13, exec_lo
	s_delay_alu instid0(VALU_DEP_2)
	v_cmpx_ne_u32_e32 0x80, v2
	s_cbranch_execz .LBB440_1704
; %bb.1699:                             ;   in Loop: Header=BB440_1190 Depth=1
	v_bfe_u32 v147, v3, 24, 7
	v_mov_b32_e32 v7, 0x7f800001
	s_mov_b32 s15, exec_lo
	s_delay_alu instid0(VALU_DEP_2)
	v_cmpx_ne_u32_e32 0x7f, v147
	s_cbranch_execz .LBB440_1703
; %bb.1700:                             ;   in Loop: Header=BB440_1190 Depth=1
	v_and_b32_e32 v9, 7, v2
	v_lshrrev_b32_e32 v3, 3, v147
	s_mov_b32 s16, exec_lo
	v_cmpx_gt_u32_e32 8, v147
; %bb.1701:                             ;   in Loop: Header=BB440_1190 Depth=1
	s_delay_alu instid0(VALU_DEP_3) | instskip(NEXT) | instid1(VALU_DEP_1)
	v_clz_i32_u32_e32 v3, v9
	v_min_u32_e32 v3, 32, v3
	s_delay_alu instid0(VALU_DEP_1) | instskip(SKIP_1) | instid1(VALU_DEP_2)
	v_subrev_nc_u32_e32 v7, 28, v3
	v_sub_nc_u32_e32 v3, 29, v3
	v_lshlrev_b64 v[147:148], v7, v[9:10]
	s_delay_alu instid0(VALU_DEP_1)
	v_and_b32_e32 v9, 7, v147
; %bb.1702:                             ;   in Loop: Header=BB440_1190 Depth=1
	s_or_b32 exec_lo, exec_lo, s16
	v_lshlrev_b32_e32 v2, 24, v2
	s_delay_alu instid0(VALU_DEP_2) | instskip(SKIP_1) | instid1(VALU_DEP_3)
	v_lshlrev_b32_e32 v7, 20, v9
	v_lshl_add_u32 v3, v3, 23, 0x3c000000
	v_and_b32_e32 v2, 0x80000000, v2
	s_delay_alu instid0(VALU_DEP_1)
	v_or3_b32 v7, v7, v2, v3
.LBB440_1703:                           ;   in Loop: Header=BB440_1190 Depth=1
	s_or_b32 exec_lo, exec_lo, s15
.LBB440_1704:                           ;   in Loop: Header=BB440_1190 Depth=1
	s_delay_alu instid0(SALU_CYCLE_1)
	s_or_b32 exec_lo, exec_lo, s13
.LBB440_1705:                           ;   in Loop: Header=BB440_1190 Depth=1
	s_delay_alu instid0(SALU_CYCLE_1) | instskip(NEXT) | instid1(VALU_DEP_1)
	s_or_b32 exec_lo, exec_lo, s12
	v_mul_f32_e32 v3, v8, v7
	s_delay_alu instid0(VALU_DEP_1) | instskip(NEXT) | instid1(VALU_DEP_1)
	v_and_b32_e32 v2, 0x7f800000, v3
	v_cmp_ne_u32_e64 s0, 0x7f800000, v2
                                        ; implicit-def: $vgpr2
	s_delay_alu instid0(VALU_DEP_1) | instskip(NEXT) | instid1(SALU_CYCLE_1)
	s_and_saveexec_b32 s12, s0
	s_xor_b32 s0, exec_lo, s12
; %bb.1706:                             ;   in Loop: Header=BB440_1190 Depth=1
	v_bfe_u32 v2, v3, 16, 1
	s_delay_alu instid0(VALU_DEP_1)
	v_add3_u32 v2, v3, v2, 0x7fff
                                        ; implicit-def: $vgpr3
; %bb.1707:                             ;   in Loop: Header=BB440_1190 Depth=1
	s_and_not1_saveexec_b32 s12, s0
; %bb.1708:                             ;   in Loop: Header=BB440_1190 Depth=1
	v_and_b32_e32 v2, 0xffff, v3
	v_or_b32_e32 v7, 0x10000, v3
	s_delay_alu instid0(VALU_DEP_2) | instskip(NEXT) | instid1(VALU_DEP_1)
	v_cmp_eq_u32_e64 s0, 0, v2
	v_cndmask_b32_e64 v2, v7, v3, s0
; %bb.1709:                             ;   in Loop: Header=BB440_1190 Depth=1
	s_or_b32 exec_lo, exec_lo, s12
	v_lshrrev_b32_e32 v6, 16, v6
	v_lshrrev_b32_e32 v7, 16, v39
	;; [unrolled: 1-line block ×8, first 2 shown]
	s_and_saveexec_b32 s12, vcc_lo
	s_cbranch_execz .LBB440_1711
; %bb.1710:                             ;   in Loop: Header=BB440_1190 Depth=1
	v_cmp_lt_i32_e64 s0, v82, v38
	s_delay_alu instid0(VALU_DEP_1) | instskip(SKIP_1) | instid1(VALU_DEP_1)
	v_cndmask_b32_e64 v4, 0, v4, s0
	v_cmp_lt_i32_e64 s0, v97, v38
	v_cndmask_b32_e64 v5, 0, v5, s0
	v_cmp_lt_i32_e64 s0, v96, v38
	s_delay_alu instid0(VALU_DEP_1) | instskip(SKIP_1) | instid1(VALU_DEP_1)
	v_cndmask_b32_e64 v21, 0, v21, s0
	v_cmp_lt_i32_e64 s0, v87, v38
	v_cndmask_b32_e64 v9, 0, v9, s0
	v_cmp_lt_i32_e64 s0, v86, v38
	s_delay_alu instid0(VALU_DEP_1) | instskip(SKIP_1) | instid1(VALU_DEP_1)
	v_cndmask_b32_e64 v7, 0, v7, s0
	v_cmp_lt_i32_e64 s0, v85, v38
	v_cndmask_b32_e64 v6, 0, v6, s0
	v_cmp_lt_i32_e64 s0, v84, v38
	s_delay_alu instid0(VALU_DEP_1) | instskip(SKIP_1) | instid1(VALU_DEP_1)
	v_cndmask_b32_e64 v3, 0, v3, s0
	v_cmp_lt_i32_e64 s0, v83, v38
	v_cndmask_b32_e64 v2, 0, v2, s0
.LBB440_1711:                           ;   in Loop: Header=BB440_1190 Depth=1
	s_or_b32 exec_lo, exec_lo, s12
	v_lshlrev_b32_e32 v4, 16, v4
                                        ; implicit-def: $vgpr146
	s_delay_alu instid0(VALU_DEP_1) | instskip(NEXT) | instid1(VALU_DEP_1)
	v_mul_f32_e32 v4, v98, v4
	v_and_b32_e32 v37, 0x7f800000, v4
	s_delay_alu instid0(VALU_DEP_1) | instskip(NEXT) | instid1(VALU_DEP_1)
	v_cmp_ne_u32_e64 s0, 0x7f800000, v37
	s_and_saveexec_b32 s12, s0
	s_delay_alu instid0(SALU_CYCLE_1)
	s_xor_b32 s0, exec_lo, s12
; %bb.1712:                             ;   in Loop: Header=BB440_1190 Depth=1
	v_bfe_u32 v37, v4, 16, 1
	s_delay_alu instid0(VALU_DEP_1)
	v_add3_u32 v146, v4, v37, 0x7fff
                                        ; implicit-def: $vgpr4
; %bb.1713:                             ;   in Loop: Header=BB440_1190 Depth=1
	s_and_not1_saveexec_b32 s12, s0
; %bb.1714:                             ;   in Loop: Header=BB440_1190 Depth=1
	v_and_b32_e32 v37, 0xffff, v4
	v_or_b32_e32 v39, 0x10000, v4
	s_delay_alu instid0(VALU_DEP_2) | instskip(NEXT) | instid1(VALU_DEP_1)
	v_cmp_eq_u32_e64 s0, 0, v37
	v_cndmask_b32_e64 v146, v39, v4, s0
; %bb.1715:                             ;   in Loop: Header=BB440_1190 Depth=1
	s_or_b32 exec_lo, exec_lo, s12
	v_lshlrev_b32_e32 v4, 16, v5
                                        ; implicit-def: $vgpr147
	s_delay_alu instid0(VALU_DEP_1) | instskip(NEXT) | instid1(VALU_DEP_1)
	v_mul_f32_e32 v4, v99, v4
	v_and_b32_e32 v5, 0x7f800000, v4
	s_delay_alu instid0(VALU_DEP_1) | instskip(NEXT) | instid1(VALU_DEP_1)
	v_cmp_ne_u32_e64 s0, 0x7f800000, v5
	s_and_saveexec_b32 s12, s0
	s_delay_alu instid0(SALU_CYCLE_1)
	s_xor_b32 s0, exec_lo, s12
; %bb.1716:                             ;   in Loop: Header=BB440_1190 Depth=1
	v_bfe_u32 v5, v4, 16, 1
	s_delay_alu instid0(VALU_DEP_1)
	v_add3_u32 v147, v4, v5, 0x7fff
                                        ; implicit-def: $vgpr4
; %bb.1717:                             ;   in Loop: Header=BB440_1190 Depth=1
	s_and_not1_saveexec_b32 s12, s0
; %bb.1718:                             ;   in Loop: Header=BB440_1190 Depth=1
	v_and_b32_e32 v5, 0xffff, v4
	v_or_b32_e32 v37, 0x10000, v4
	s_delay_alu instid0(VALU_DEP_2) | instskip(NEXT) | instid1(VALU_DEP_1)
	v_cmp_eq_u32_e64 s0, 0, v5
	v_cndmask_b32_e64 v147, v37, v4, s0
; %bb.1719:                             ;   in Loop: Header=BB440_1190 Depth=1
	s_or_b32 exec_lo, exec_lo, s12
	v_lshlrev_b32_e32 v4, 16, v21
                                        ; implicit-def: $vgpr148
	s_delay_alu instid0(VALU_DEP_1) | instskip(NEXT) | instid1(VALU_DEP_1)
	v_mul_f32_e32 v4, v100, v4
	v_and_b32_e32 v5, 0x7f800000, v4
	s_delay_alu instid0(VALU_DEP_1) | instskip(NEXT) | instid1(VALU_DEP_1)
	v_cmp_ne_u32_e64 s0, 0x7f800000, v5
	s_and_saveexec_b32 s12, s0
	s_delay_alu instid0(SALU_CYCLE_1)
	s_xor_b32 s0, exec_lo, s12
; %bb.1720:                             ;   in Loop: Header=BB440_1190 Depth=1
	v_bfe_u32 v5, v4, 16, 1
	s_delay_alu instid0(VALU_DEP_1)
	v_add3_u32 v148, v4, v5, 0x7fff
                                        ; implicit-def: $vgpr4
; %bb.1721:                             ;   in Loop: Header=BB440_1190 Depth=1
	s_and_not1_saveexec_b32 s12, s0
; %bb.1722:                             ;   in Loop: Header=BB440_1190 Depth=1
	v_and_b32_e32 v5, 0xffff, v4
	v_or_b32_e32 v21, 0x10000, v4
	s_delay_alu instid0(VALU_DEP_2) | instskip(NEXT) | instid1(VALU_DEP_1)
	v_cmp_eq_u32_e64 s0, 0, v5
	v_cndmask_b32_e64 v148, v21, v4, s0
; %bb.1723:                             ;   in Loop: Header=BB440_1190 Depth=1
	s_or_b32 exec_lo, exec_lo, s12
	v_lshlrev_b32_e32 v4, 16, v9
                                        ; implicit-def: $vgpr149
	s_delay_alu instid0(VALU_DEP_1) | instskip(NEXT) | instid1(VALU_DEP_1)
	v_mul_f32_e32 v4, v101, v4
	v_and_b32_e32 v5, 0x7f800000, v4
	s_delay_alu instid0(VALU_DEP_1) | instskip(NEXT) | instid1(VALU_DEP_1)
	v_cmp_ne_u32_e64 s0, 0x7f800000, v5
	s_and_saveexec_b32 s12, s0
	s_delay_alu instid0(SALU_CYCLE_1)
	s_xor_b32 s0, exec_lo, s12
; %bb.1724:                             ;   in Loop: Header=BB440_1190 Depth=1
	v_bfe_u32 v5, v4, 16, 1
	s_delay_alu instid0(VALU_DEP_1)
	v_add3_u32 v149, v4, v5, 0x7fff
                                        ; implicit-def: $vgpr4
; %bb.1725:                             ;   in Loop: Header=BB440_1190 Depth=1
	s_and_not1_saveexec_b32 s12, s0
; %bb.1726:                             ;   in Loop: Header=BB440_1190 Depth=1
	v_and_b32_e32 v5, 0xffff, v4
	v_or_b32_e32 v9, 0x10000, v4
	s_delay_alu instid0(VALU_DEP_2) | instskip(NEXT) | instid1(VALU_DEP_1)
	v_cmp_eq_u32_e64 s0, 0, v5
	v_cndmask_b32_e64 v149, v9, v4, s0
; %bb.1727:                             ;   in Loop: Header=BB440_1190 Depth=1
	s_or_b32 exec_lo, exec_lo, s12
	v_lshlrev_b32_e32 v4, 16, v7
                                        ; implicit-def: $vgpr150
	s_delay_alu instid0(VALU_DEP_1) | instskip(NEXT) | instid1(VALU_DEP_1)
	v_mul_f32_e32 v4, v102, v4
	v_and_b32_e32 v5, 0x7f800000, v4
	s_delay_alu instid0(VALU_DEP_1) | instskip(NEXT) | instid1(VALU_DEP_1)
	v_cmp_ne_u32_e64 s0, 0x7f800000, v5
	s_and_saveexec_b32 s12, s0
	s_delay_alu instid0(SALU_CYCLE_1)
	s_xor_b32 s0, exec_lo, s12
; %bb.1728:                             ;   in Loop: Header=BB440_1190 Depth=1
	v_bfe_u32 v5, v4, 16, 1
	s_delay_alu instid0(VALU_DEP_1)
	v_add3_u32 v150, v4, v5, 0x7fff
                                        ; implicit-def: $vgpr4
; %bb.1729:                             ;   in Loop: Header=BB440_1190 Depth=1
	s_and_not1_saveexec_b32 s12, s0
; %bb.1730:                             ;   in Loop: Header=BB440_1190 Depth=1
	v_and_b32_e32 v5, 0xffff, v4
	v_or_b32_e32 v7, 0x10000, v4
	s_delay_alu instid0(VALU_DEP_2) | instskip(NEXT) | instid1(VALU_DEP_1)
	v_cmp_eq_u32_e64 s0, 0, v5
	v_cndmask_b32_e64 v150, v7, v4, s0
; %bb.1731:                             ;   in Loop: Header=BB440_1190 Depth=1
	s_or_b32 exec_lo, exec_lo, s12
	v_lshlrev_b32_e32 v4, 16, v6
                                        ; implicit-def: $vgpr151
	s_delay_alu instid0(VALU_DEP_1) | instskip(NEXT) | instid1(VALU_DEP_1)
	v_mul_f32_e32 v4, v103, v4
	v_and_b32_e32 v5, 0x7f800000, v4
	s_delay_alu instid0(VALU_DEP_1) | instskip(NEXT) | instid1(VALU_DEP_1)
	v_cmp_ne_u32_e64 s0, 0x7f800000, v5
	s_and_saveexec_b32 s12, s0
	s_delay_alu instid0(SALU_CYCLE_1)
	s_xor_b32 s0, exec_lo, s12
; %bb.1732:                             ;   in Loop: Header=BB440_1190 Depth=1
	v_bfe_u32 v5, v4, 16, 1
	s_delay_alu instid0(VALU_DEP_1)
	v_add3_u32 v151, v4, v5, 0x7fff
                                        ; implicit-def: $vgpr4
; %bb.1733:                             ;   in Loop: Header=BB440_1190 Depth=1
	s_and_not1_saveexec_b32 s12, s0
; %bb.1734:                             ;   in Loop: Header=BB440_1190 Depth=1
	v_and_b32_e32 v5, 0xffff, v4
	v_or_b32_e32 v6, 0x10000, v4
	s_delay_alu instid0(VALU_DEP_2) | instskip(NEXT) | instid1(VALU_DEP_1)
	v_cmp_eq_u32_e64 s0, 0, v5
	v_cndmask_b32_e64 v151, v6, v4, s0
; %bb.1735:                             ;   in Loop: Header=BB440_1190 Depth=1
	s_or_b32 exec_lo, exec_lo, s12
	v_lshlrev_b32_e32 v3, 16, v3
                                        ; implicit-def: $vgpr160
	s_delay_alu instid0(VALU_DEP_1) | instskip(NEXT) | instid1(VALU_DEP_1)
	v_mul_f32_e32 v3, v112, v3
	v_and_b32_e32 v4, 0x7f800000, v3
	s_delay_alu instid0(VALU_DEP_1) | instskip(NEXT) | instid1(VALU_DEP_1)
	v_cmp_ne_u32_e64 s0, 0x7f800000, v4
	s_and_saveexec_b32 s12, s0
	s_delay_alu instid0(SALU_CYCLE_1)
	s_xor_b32 s0, exec_lo, s12
; %bb.1736:                             ;   in Loop: Header=BB440_1190 Depth=1
	v_bfe_u32 v4, v3, 16, 1
	s_delay_alu instid0(VALU_DEP_1)
	v_add3_u32 v160, v3, v4, 0x7fff
                                        ; implicit-def: $vgpr3
; %bb.1737:                             ;   in Loop: Header=BB440_1190 Depth=1
	s_and_not1_saveexec_b32 s12, s0
; %bb.1738:                             ;   in Loop: Header=BB440_1190 Depth=1
	v_and_b32_e32 v4, 0xffff, v3
	v_or_b32_e32 v5, 0x10000, v3
	s_delay_alu instid0(VALU_DEP_2) | instskip(NEXT) | instid1(VALU_DEP_1)
	v_cmp_eq_u32_e64 s0, 0, v4
	v_cndmask_b32_e64 v160, v5, v3, s0
; %bb.1739:                             ;   in Loop: Header=BB440_1190 Depth=1
	s_or_b32 exec_lo, exec_lo, s12
	v_lshlrev_b32_e32 v2, 16, v2
                                        ; implicit-def: $vgpr161
	s_delay_alu instid0(VALU_DEP_1) | instskip(NEXT) | instid1(VALU_DEP_1)
	v_mul_f32_e32 v2, v113, v2
	v_and_b32_e32 v3, 0x7f800000, v2
	s_delay_alu instid0(VALU_DEP_1) | instskip(NEXT) | instid1(VALU_DEP_1)
	v_cmp_ne_u32_e64 s0, 0x7f800000, v3
	s_and_saveexec_b32 s12, s0
	s_delay_alu instid0(SALU_CYCLE_1)
	s_xor_b32 s0, exec_lo, s12
; %bb.1740:                             ;   in Loop: Header=BB440_1190 Depth=1
	v_bfe_u32 v3, v2, 16, 1
	s_delay_alu instid0(VALU_DEP_1)
	v_add3_u32 v161, v2, v3, 0x7fff
                                        ; implicit-def: $vgpr2
; %bb.1741:                             ;   in Loop: Header=BB440_1190 Depth=1
	s_and_not1_saveexec_b32 s12, s0
; %bb.1742:                             ;   in Loop: Header=BB440_1190 Depth=1
	v_and_b32_e32 v3, 0xffff, v2
	v_or_b32_e32 v4, 0x10000, v2
	s_delay_alu instid0(VALU_DEP_2) | instskip(NEXT) | instid1(VALU_DEP_1)
	v_cmp_eq_u32_e64 s0, 0, v3
	v_cndmask_b32_e64 v161, v4, v2, s0
; %bb.1743:                             ;   in Loop: Header=BB440_1190 Depth=1
	s_or_b32 exec_lo, exec_lo, s12
	flat_load_b64 v[2:3], v[0:1] offset:1024
	s_mov_b32 s12, exec_lo
	s_waitcnt vmcnt(0) lgkmcnt(0)
	v_dual_mov_b32 v4, 0 :: v_dual_and_b32 v5, 0xff, v2
	s_delay_alu instid0(VALU_DEP_1)
	v_cmpx_ne_u16_e32 0, v5
	s_cbranch_execz .LBB440_1751
; %bb.1744:                             ;   in Loop: Header=BB440_1190 Depth=1
	v_bfrev_b32_e32 v4, 1
	s_mov_b32 s13, exec_lo
	v_cmpx_ne_u16_e32 0x80, v5
	s_cbranch_execz .LBB440_1750
; %bb.1745:                             ;   in Loop: Header=BB440_1190 Depth=1
	v_and_b32_e32 v5, 0x7f, v2
	v_mov_b32_e32 v4, 0x7f800001
	s_mov_b32 s15, exec_lo
	s_delay_alu instid0(VALU_DEP_2)
	v_cmpx_ne_u32_e32 0x7f, v5
	s_cbranch_execz .LBB440_1749
; %bb.1746:                             ;   in Loop: Header=BB440_1190 Depth=1
	v_lshrrev_b32_e32 v4, 3, v5
	v_dual_mov_b32 v7, v3 :: v_dual_mov_b32 v6, v2
	s_mov_b32 s16, exec_lo
	v_cmpx_gt_u32_e32 8, v5
; %bb.1747:                             ;   in Loop: Header=BB440_1190 Depth=1
	v_and_b32_e32 v4, 7, v2
	s_delay_alu instid0(VALU_DEP_1) | instskip(NEXT) | instid1(VALU_DEP_1)
	v_clz_i32_u32_e32 v4, v4
	v_min_u32_e32 v4, 32, v4
	s_delay_alu instid0(VALU_DEP_1) | instskip(SKIP_1) | instid1(VALU_DEP_2)
	v_subrev_nc_u32_e32 v5, 28, v4
	v_sub_nc_u32_e32 v4, 29, v4
	v_lshlrev_b64 v[6:7], v5, v[2:3]
; %bb.1748:                             ;   in Loop: Header=BB440_1190 Depth=1
	s_or_b32 exec_lo, exec_lo, s16
	s_delay_alu instid0(VALU_DEP_1) | instskip(SKIP_2) | instid1(VALU_DEP_3)
	v_lshlrev_b32_e32 v5, 20, v6
	v_lshlrev_b32_e32 v6, 24, v2
	v_lshl_add_u32 v4, v4, 23, 0x3c000000
	v_and_b32_e32 v5, 0x700000, v5
	s_delay_alu instid0(VALU_DEP_3) | instskip(NEXT) | instid1(VALU_DEP_1)
	v_and_b32_e32 v6, 0x80000000, v6
	v_or3_b32 v4, v5, v6, v4
.LBB440_1749:                           ;   in Loop: Header=BB440_1190 Depth=1
	s_or_b32 exec_lo, exec_lo, s15
.LBB440_1750:                           ;   in Loop: Header=BB440_1190 Depth=1
	s_delay_alu instid0(SALU_CYCLE_1)
	s_or_b32 exec_lo, exec_lo, s13
.LBB440_1751:                           ;   in Loop: Header=BB440_1190 Depth=1
	s_delay_alu instid0(SALU_CYCLE_1) | instskip(NEXT) | instid1(VALU_DEP_1)
	s_or_b32 exec_lo, exec_lo, s12
	v_mul_f32_e32 v5, v8, v4
	s_delay_alu instid0(VALU_DEP_1) | instskip(NEXT) | instid1(VALU_DEP_1)
	v_and_b32_e32 v4, 0x7f800000, v5
	v_cmp_ne_u32_e64 s0, 0x7f800000, v4
                                        ; implicit-def: $vgpr4
	s_delay_alu instid0(VALU_DEP_1) | instskip(NEXT) | instid1(SALU_CYCLE_1)
	s_and_saveexec_b32 s12, s0
	s_xor_b32 s0, exec_lo, s12
; %bb.1752:                             ;   in Loop: Header=BB440_1190 Depth=1
	v_bfe_u32 v4, v5, 16, 1
	s_delay_alu instid0(VALU_DEP_1)
	v_add3_u32 v4, v5, v4, 0x7fff
                                        ; implicit-def: $vgpr5
; %bb.1753:                             ;   in Loop: Header=BB440_1190 Depth=1
	s_and_not1_saveexec_b32 s12, s0
; %bb.1754:                             ;   in Loop: Header=BB440_1190 Depth=1
	v_and_b32_e32 v4, 0xffff, v5
	v_or_b32_e32 v6, 0x10000, v5
	s_delay_alu instid0(VALU_DEP_2) | instskip(NEXT) | instid1(VALU_DEP_1)
	v_cmp_eq_u32_e64 s0, 0, v4
	v_cndmask_b32_e64 v4, v6, v5, s0
; %bb.1755:                             ;   in Loop: Header=BB440_1190 Depth=1
	s_or_b32 exec_lo, exec_lo, s12
	v_lshrrev_b16 v6, 8, v2
	v_mov_b32_e32 v5, 0
	s_mov_b32 s12, exec_lo
	s_delay_alu instid0(VALU_DEP_2)
	v_cmpx_ne_u16_e32 0, v6
	s_cbranch_execz .LBB440_1763
; %bb.1756:                             ;   in Loop: Header=BB440_1190 Depth=1
	v_bfrev_b32_e32 v5, 1
	s_mov_b32 s13, exec_lo
	v_cmpx_ne_u16_e32 0x80, v6
	s_cbranch_execz .LBB440_1762
; %bb.1757:                             ;   in Loop: Header=BB440_1190 Depth=1
	v_and_b32_e32 v7, 0xffff, v6
	v_mov_b32_e32 v5, 0x7f800001
	s_mov_b32 s15, exec_lo
	s_delay_alu instid0(VALU_DEP_2) | instskip(NEXT) | instid1(VALU_DEP_1)
	v_and_b32_e32 v6, 0x7f, v7
	v_cmpx_ne_u32_e32 0x7f, v6
	s_cbranch_execz .LBB440_1761
; %bb.1758:                             ;   in Loop: Header=BB440_1190 Depth=1
	v_and_b32_e32 v9, 7, v7
	v_lshrrev_b32_e32 v5, 3, v6
	s_mov_b32 s16, exec_lo
	v_cmpx_gt_u32_e32 8, v6
; %bb.1759:                             ;   in Loop: Header=BB440_1190 Depth=1
	s_delay_alu instid0(VALU_DEP_3) | instskip(NEXT) | instid1(VALU_DEP_1)
	v_clz_i32_u32_e32 v5, v9
	v_min_u32_e32 v5, 32, v5
	s_delay_alu instid0(VALU_DEP_1) | instskip(SKIP_1) | instid1(VALU_DEP_2)
	v_subrev_nc_u32_e32 v6, 28, v5
	v_sub_nc_u32_e32 v5, 29, v5
	v_lshlrev_b64 v[6:7], v6, v[9:10]
	s_delay_alu instid0(VALU_DEP_1)
	v_and_b32_e32 v9, 7, v6
; %bb.1760:                             ;   in Loop: Header=BB440_1190 Depth=1
	s_or_b32 exec_lo, exec_lo, s16
	v_lshlrev_b32_e32 v6, 16, v2
	s_delay_alu instid0(VALU_DEP_2) | instskip(SKIP_1) | instid1(VALU_DEP_3)
	v_lshlrev_b32_e32 v7, 20, v9
	v_lshl_add_u32 v5, v5, 23, 0x3c000000
	v_and_b32_e32 v6, 0x80000000, v6
	s_delay_alu instid0(VALU_DEP_1)
	v_or3_b32 v5, v7, v6, v5
.LBB440_1761:                           ;   in Loop: Header=BB440_1190 Depth=1
	s_or_b32 exec_lo, exec_lo, s15
.LBB440_1762:                           ;   in Loop: Header=BB440_1190 Depth=1
	s_delay_alu instid0(SALU_CYCLE_1)
	s_or_b32 exec_lo, exec_lo, s13
.LBB440_1763:                           ;   in Loop: Header=BB440_1190 Depth=1
	s_delay_alu instid0(SALU_CYCLE_1) | instskip(NEXT) | instid1(VALU_DEP_1)
	s_or_b32 exec_lo, exec_lo, s12
	v_mul_f32_e32 v6, v8, v5
	s_delay_alu instid0(VALU_DEP_1) | instskip(NEXT) | instid1(VALU_DEP_1)
	v_and_b32_e32 v5, 0x7f800000, v6
	v_cmp_ne_u32_e64 s0, 0x7f800000, v5
                                        ; implicit-def: $vgpr5
	s_delay_alu instid0(VALU_DEP_1) | instskip(NEXT) | instid1(SALU_CYCLE_1)
	s_and_saveexec_b32 s12, s0
	s_xor_b32 s0, exec_lo, s12
; %bb.1764:                             ;   in Loop: Header=BB440_1190 Depth=1
	v_bfe_u32 v5, v6, 16, 1
	s_delay_alu instid0(VALU_DEP_1)
	v_add3_u32 v5, v6, v5, 0x7fff
                                        ; implicit-def: $vgpr6
; %bb.1765:                             ;   in Loop: Header=BB440_1190 Depth=1
	s_and_not1_saveexec_b32 s12, s0
; %bb.1766:                             ;   in Loop: Header=BB440_1190 Depth=1
	v_and_b32_e32 v5, 0xffff, v6
	v_or_b32_e32 v7, 0x10000, v6
	s_delay_alu instid0(VALU_DEP_2) | instskip(NEXT) | instid1(VALU_DEP_1)
	v_cmp_eq_u32_e64 s0, 0, v5
	v_cndmask_b32_e64 v5, v7, v6, s0
; %bb.1767:                             ;   in Loop: Header=BB440_1190 Depth=1
	s_or_b32 exec_lo, exec_lo, s12
	v_lshrrev_b32_e32 v6, 16, v2
	v_mov_b32_e32 v7, 0
	s_mov_b32 s12, exec_lo
	s_delay_alu instid0(VALU_DEP_2) | instskip(NEXT) | instid1(VALU_DEP_1)
	v_and_b32_e32 v9, 0xff, v6
	v_cmpx_ne_u16_e32 0, v9
	s_cbranch_execz .LBB440_1775
; %bb.1768:                             ;   in Loop: Header=BB440_1190 Depth=1
	v_bfrev_b32_e32 v7, 1
	s_mov_b32 s13, exec_lo
	v_cmpx_ne_u16_e32 0x80, v9
	s_cbranch_execz .LBB440_1774
; %bb.1769:                             ;   in Loop: Header=BB440_1190 Depth=1
	v_bfe_u32 v21, v2, 16, 7
	v_mov_b32_e32 v7, 0x7f800001
	s_mov_b32 s15, exec_lo
	s_delay_alu instid0(VALU_DEP_2)
	v_cmpx_ne_u32_e32 0x7f, v21
	s_cbranch_execz .LBB440_1773
; %bb.1770:                             ;   in Loop: Header=BB440_1190 Depth=1
	v_and_b32_e32 v9, 7, v6
	v_lshrrev_b32_e32 v7, 3, v21
	s_mov_b32 s16, exec_lo
	v_cmpx_gt_u32_e32 8, v21
; %bb.1771:                             ;   in Loop: Header=BB440_1190 Depth=1
	s_delay_alu instid0(VALU_DEP_3) | instskip(NEXT) | instid1(VALU_DEP_1)
	v_clz_i32_u32_e32 v7, v9
	v_min_u32_e32 v7, 32, v7
	s_delay_alu instid0(VALU_DEP_1) | instskip(SKIP_1) | instid1(VALU_DEP_2)
	v_subrev_nc_u32_e32 v21, 28, v7
	v_sub_nc_u32_e32 v7, 29, v7
	v_lshlrev_b64 v[162:163], v21, v[9:10]
	s_delay_alu instid0(VALU_DEP_1)
	v_and_b32_e32 v9, 7, v162
; %bb.1772:                             ;   in Loop: Header=BB440_1190 Depth=1
	s_or_b32 exec_lo, exec_lo, s16
	v_lshlrev_b32_e32 v6, 24, v6
	s_delay_alu instid0(VALU_DEP_2) | instskip(SKIP_1) | instid1(VALU_DEP_3)
	v_lshlrev_b32_e32 v9, 20, v9
	v_lshl_add_u32 v7, v7, 23, 0x3c000000
	v_and_b32_e32 v6, 0x80000000, v6
	s_delay_alu instid0(VALU_DEP_1)
	v_or3_b32 v7, v9, v6, v7
.LBB440_1773:                           ;   in Loop: Header=BB440_1190 Depth=1
	s_or_b32 exec_lo, exec_lo, s15
.LBB440_1774:                           ;   in Loop: Header=BB440_1190 Depth=1
	s_delay_alu instid0(SALU_CYCLE_1)
	s_or_b32 exec_lo, exec_lo, s13
.LBB440_1775:                           ;   in Loop: Header=BB440_1190 Depth=1
	s_delay_alu instid0(SALU_CYCLE_1) | instskip(NEXT) | instid1(VALU_DEP_1)
	s_or_b32 exec_lo, exec_lo, s12
	v_mul_f32_e32 v6, v8, v7
                                        ; implicit-def: $vgpr21
	s_delay_alu instid0(VALU_DEP_1) | instskip(NEXT) | instid1(VALU_DEP_1)
	v_and_b32_e32 v7, 0x7f800000, v6
	v_cmp_ne_u32_e64 s0, 0x7f800000, v7
	s_delay_alu instid0(VALU_DEP_1) | instskip(NEXT) | instid1(SALU_CYCLE_1)
	s_and_saveexec_b32 s12, s0
	s_xor_b32 s0, exec_lo, s12
; %bb.1776:                             ;   in Loop: Header=BB440_1190 Depth=1
	v_bfe_u32 v7, v6, 16, 1
	s_delay_alu instid0(VALU_DEP_1)
	v_add3_u32 v21, v6, v7, 0x7fff
                                        ; implicit-def: $vgpr6
; %bb.1777:                             ;   in Loop: Header=BB440_1190 Depth=1
	s_and_not1_saveexec_b32 s12, s0
; %bb.1778:                             ;   in Loop: Header=BB440_1190 Depth=1
	v_and_b32_e32 v7, 0xffff, v6
	v_or_b32_e32 v9, 0x10000, v6
	s_delay_alu instid0(VALU_DEP_2) | instskip(NEXT) | instid1(VALU_DEP_1)
	v_cmp_eq_u32_e64 s0, 0, v7
	v_cndmask_b32_e64 v21, v9, v6, s0
; %bb.1779:                             ;   in Loop: Header=BB440_1190 Depth=1
	s_or_b32 exec_lo, exec_lo, s12
	v_mov_b32_e32 v7, 0
	s_mov_b32 s12, exec_lo
	v_cmpx_lt_u32_e32 0xffffff, v2
	s_cbranch_execz .LBB440_1787
; %bb.1780:                             ;   in Loop: Header=BB440_1190 Depth=1
	v_lshrrev_b32_e32 v6, 24, v2
	v_bfrev_b32_e32 v7, 1
	s_mov_b32 s13, exec_lo
	s_delay_alu instid0(VALU_DEP_2)
	v_cmpx_ne_u32_e32 0x80, v6
	s_cbranch_execz .LBB440_1786
; %bb.1781:                             ;   in Loop: Header=BB440_1190 Depth=1
	v_bfe_u32 v37, v2, 24, 7
	v_mov_b32_e32 v7, 0x7f800001
	s_mov_b32 s15, exec_lo
	s_delay_alu instid0(VALU_DEP_2)
	v_cmpx_ne_u32_e32 0x7f, v37
	s_cbranch_execz .LBB440_1785
; %bb.1782:                             ;   in Loop: Header=BB440_1190 Depth=1
	v_and_b32_e32 v9, 7, v6
	v_lshrrev_b32_e32 v7, 3, v37
	s_mov_b32 s16, exec_lo
	v_cmpx_gt_u32_e32 8, v37
; %bb.1783:                             ;   in Loop: Header=BB440_1190 Depth=1
	s_delay_alu instid0(VALU_DEP_3) | instskip(NEXT) | instid1(VALU_DEP_1)
	v_clz_i32_u32_e32 v7, v9
	v_min_u32_e32 v7, 32, v7
	s_delay_alu instid0(VALU_DEP_1) | instskip(SKIP_1) | instid1(VALU_DEP_2)
	v_subrev_nc_u32_e32 v37, 28, v7
	v_sub_nc_u32_e32 v7, 29, v7
	v_lshlrev_b64 v[162:163], v37, v[9:10]
	s_delay_alu instid0(VALU_DEP_1)
	v_and_b32_e32 v9, 7, v162
; %bb.1784:                             ;   in Loop: Header=BB440_1190 Depth=1
	s_or_b32 exec_lo, exec_lo, s16
	v_lshlrev_b32_e32 v6, 24, v6
	s_delay_alu instid0(VALU_DEP_2) | instskip(SKIP_1) | instid1(VALU_DEP_3)
	v_lshlrev_b32_e32 v9, 20, v9
	v_lshl_add_u32 v7, v7, 23, 0x3c000000
	v_and_b32_e32 v6, 0x80000000, v6
	s_delay_alu instid0(VALU_DEP_1)
	v_or3_b32 v7, v9, v6, v7
.LBB440_1785:                           ;   in Loop: Header=BB440_1190 Depth=1
	s_or_b32 exec_lo, exec_lo, s15
.LBB440_1786:                           ;   in Loop: Header=BB440_1190 Depth=1
	s_delay_alu instid0(SALU_CYCLE_1)
	s_or_b32 exec_lo, exec_lo, s13
.LBB440_1787:                           ;   in Loop: Header=BB440_1190 Depth=1
	s_delay_alu instid0(SALU_CYCLE_1) | instskip(NEXT) | instid1(VALU_DEP_1)
	s_or_b32 exec_lo, exec_lo, s12
	v_mul_f32_e32 v6, v8, v7
                                        ; implicit-def: $vgpr37
	s_delay_alu instid0(VALU_DEP_1) | instskip(NEXT) | instid1(VALU_DEP_1)
	v_and_b32_e32 v7, 0x7f800000, v6
	v_cmp_ne_u32_e64 s0, 0x7f800000, v7
	s_delay_alu instid0(VALU_DEP_1) | instskip(NEXT) | instid1(SALU_CYCLE_1)
	s_and_saveexec_b32 s12, s0
	s_xor_b32 s0, exec_lo, s12
; %bb.1788:                             ;   in Loop: Header=BB440_1190 Depth=1
	v_bfe_u32 v7, v6, 16, 1
	s_delay_alu instid0(VALU_DEP_1)
	v_add3_u32 v37, v6, v7, 0x7fff
                                        ; implicit-def: $vgpr6
; %bb.1789:                             ;   in Loop: Header=BB440_1190 Depth=1
	s_and_not1_saveexec_b32 s12, s0
; %bb.1790:                             ;   in Loop: Header=BB440_1190 Depth=1
	v_and_b32_e32 v7, 0xffff, v6
	v_or_b32_e32 v9, 0x10000, v6
	s_delay_alu instid0(VALU_DEP_2) | instskip(NEXT) | instid1(VALU_DEP_1)
	v_cmp_eq_u32_e64 s0, 0, v7
	v_cndmask_b32_e64 v37, v9, v6, s0
; %bb.1791:                             ;   in Loop: Header=BB440_1190 Depth=1
	s_or_b32 exec_lo, exec_lo, s12
	v_dual_mov_b32 v6, 0 :: v_dual_and_b32 v7, 0xff, v3
	v_mov_b32_e32 v9, v3
	s_mov_b32 s12, exec_lo
	s_delay_alu instid0(VALU_DEP_2)
	v_cmpx_ne_u16_e32 0, v7
	s_cbranch_execz .LBB440_1799
; %bb.1792:                             ;   in Loop: Header=BB440_1190 Depth=1
	v_bfrev_b32_e32 v6, 1
	s_mov_b32 s13, exec_lo
	v_cmpx_ne_u16_e32 0x80, v7
	s_cbranch_execz .LBB440_1798
; %bb.1793:                             ;   in Loop: Header=BB440_1190 Depth=1
	v_and_b32_e32 v7, 0x7f, v3
	v_mov_b32_e32 v6, 0x7f800001
	s_mov_b32 s15, exec_lo
	s_delay_alu instid0(VALU_DEP_2)
	v_cmpx_ne_u32_e32 0x7f, v7
	s_cbranch_execz .LBB440_1797
; %bb.1794:                             ;   in Loop: Header=BB440_1190 Depth=1
	v_lshrrev_b32_e32 v39, 3, v7
	v_cmp_gt_u32_e64 s0, 8, v7
	v_dual_mov_b32 v6, v9 :: v_dual_mov_b32 v7, v10
	s_delay_alu instid0(VALU_DEP_2)
	s_and_saveexec_b32 s16, s0
; %bb.1795:                             ;   in Loop: Header=BB440_1190 Depth=1
	v_and_b32_e32 v6, 7, v3
	s_delay_alu instid0(VALU_DEP_1) | instskip(NEXT) | instid1(VALU_DEP_1)
	v_clz_i32_u32_e32 v6, v6
	v_min_u32_e32 v39, 32, v6
	s_delay_alu instid0(VALU_DEP_1) | instskip(SKIP_1) | instid1(VALU_DEP_2)
	v_subrev_nc_u32_e32 v6, 28, v39
	v_sub_nc_u32_e32 v39, 29, v39
	v_lshlrev_b64 v[6:7], v6, v[9:10]
; %bb.1796:                             ;   in Loop: Header=BB440_1190 Depth=1
	s_or_b32 exec_lo, exec_lo, s16
	s_delay_alu instid0(VALU_DEP_1) | instskip(SKIP_2) | instid1(VALU_DEP_3)
	v_lshlrev_b32_e32 v6, 20, v6
	v_lshlrev_b32_e32 v7, 24, v9
	v_lshl_add_u32 v39, v39, 23, 0x3c000000
	v_and_b32_e32 v6, 0x700000, v6
	s_delay_alu instid0(VALU_DEP_3) | instskip(NEXT) | instid1(VALU_DEP_1)
	v_and_b32_e32 v7, 0x80000000, v7
	v_or3_b32 v6, v6, v7, v39
.LBB440_1797:                           ;   in Loop: Header=BB440_1190 Depth=1
	s_or_b32 exec_lo, exec_lo, s15
.LBB440_1798:                           ;   in Loop: Header=BB440_1190 Depth=1
	s_delay_alu instid0(SALU_CYCLE_1)
	s_or_b32 exec_lo, exec_lo, s13
.LBB440_1799:                           ;   in Loop: Header=BB440_1190 Depth=1
	s_delay_alu instid0(SALU_CYCLE_1) | instskip(NEXT) | instid1(VALU_DEP_1)
	s_or_b32 exec_lo, exec_lo, s12
	v_mul_f32_e32 v6, v8, v6
                                        ; implicit-def: $vgpr39
	s_delay_alu instid0(VALU_DEP_1) | instskip(NEXT) | instid1(VALU_DEP_1)
	v_and_b32_e32 v7, 0x7f800000, v6
	v_cmp_ne_u32_e64 s0, 0x7f800000, v7
	s_delay_alu instid0(VALU_DEP_1) | instskip(NEXT) | instid1(SALU_CYCLE_1)
	s_and_saveexec_b32 s12, s0
	s_xor_b32 s0, exec_lo, s12
; %bb.1800:                             ;   in Loop: Header=BB440_1190 Depth=1
	v_bfe_u32 v7, v6, 16, 1
	s_delay_alu instid0(VALU_DEP_1)
	v_add3_u32 v39, v6, v7, 0x7fff
                                        ; implicit-def: $vgpr6
; %bb.1801:                             ;   in Loop: Header=BB440_1190 Depth=1
	s_and_not1_saveexec_b32 s12, s0
; %bb.1802:                             ;   in Loop: Header=BB440_1190 Depth=1
	v_and_b32_e32 v7, 0xffff, v6
	v_or_b32_e32 v39, 0x10000, v6
	s_delay_alu instid0(VALU_DEP_2) | instskip(NEXT) | instid1(VALU_DEP_1)
	v_cmp_eq_u32_e64 s0, 0, v7
	v_cndmask_b32_e64 v39, v39, v6, s0
; %bb.1803:                             ;   in Loop: Header=BB440_1190 Depth=1
	s_or_b32 exec_lo, exec_lo, s12
	v_lshrrev_b16 v7, 8, v9
	v_mov_b32_e32 v6, 0
	s_mov_b32 s12, exec_lo
	s_delay_alu instid0(VALU_DEP_2)
	v_cmpx_ne_u16_e32 0, v7
	s_cbranch_execz .LBB440_1811
; %bb.1804:                             ;   in Loop: Header=BB440_1190 Depth=1
	v_bfrev_b32_e32 v6, 1
	s_mov_b32 s13, exec_lo
	v_cmpx_ne_u16_e32 0x80, v7
	s_cbranch_execz .LBB440_1810
; %bb.1805:                             ;   in Loop: Header=BB440_1190 Depth=1
	v_and_b32_e32 v7, 0xffff, v7
	v_mov_b32_e32 v6, 0x7f800001
	s_mov_b32 s15, exec_lo
	s_delay_alu instid0(VALU_DEP_2) | instskip(NEXT) | instid1(VALU_DEP_1)
	v_and_b32_e32 v163, 0x7f, v7
	v_cmpx_ne_u32_e32 0x7f, v163
	s_cbranch_execz .LBB440_1809
; %bb.1806:                             ;   in Loop: Header=BB440_1190 Depth=1
	v_dual_mov_b32 v7, v10 :: v_dual_and_b32 v6, 7, v7
	v_lshrrev_b32_e32 v162, 3, v163
	s_mov_b32 s16, exec_lo
	v_cmpx_gt_u32_e32 8, v163
; %bb.1807:                             ;   in Loop: Header=BB440_1190 Depth=1
	s_delay_alu instid0(VALU_DEP_3) | instskip(NEXT) | instid1(VALU_DEP_1)
	v_clz_i32_u32_e32 v162, v6
	v_min_u32_e32 v162, 32, v162
	s_delay_alu instid0(VALU_DEP_1) | instskip(SKIP_1) | instid1(VALU_DEP_2)
	v_subrev_nc_u32_e32 v163, 28, v162
	v_sub_nc_u32_e32 v162, 29, v162
	v_lshlrev_b64 v[6:7], v163, v[6:7]
	s_delay_alu instid0(VALU_DEP_1)
	v_and_b32_e32 v6, 7, v6
; %bb.1808:                             ;   in Loop: Header=BB440_1190 Depth=1
	s_or_b32 exec_lo, exec_lo, s16
	v_lshlrev_b32_e32 v7, 16, v9
	s_delay_alu instid0(VALU_DEP_2) | instskip(SKIP_1) | instid1(VALU_DEP_3)
	v_lshlrev_b32_e32 v6, 20, v6
	v_lshl_add_u32 v9, v162, 23, 0x3c000000
	v_and_b32_e32 v7, 0x80000000, v7
	s_delay_alu instid0(VALU_DEP_1)
	v_or3_b32 v6, v6, v7, v9
.LBB440_1809:                           ;   in Loop: Header=BB440_1190 Depth=1
	s_or_b32 exec_lo, exec_lo, s15
.LBB440_1810:                           ;   in Loop: Header=BB440_1190 Depth=1
	s_delay_alu instid0(SALU_CYCLE_1)
	s_or_b32 exec_lo, exec_lo, s13
.LBB440_1811:                           ;   in Loop: Header=BB440_1190 Depth=1
	s_delay_alu instid0(SALU_CYCLE_1) | instskip(NEXT) | instid1(VALU_DEP_1)
	s_or_b32 exec_lo, exec_lo, s12
	v_mul_f32_e32 v6, v8, v6
                                        ; implicit-def: $vgpr162
	s_delay_alu instid0(VALU_DEP_1) | instskip(NEXT) | instid1(VALU_DEP_1)
	v_and_b32_e32 v7, 0x7f800000, v6
	v_cmp_ne_u32_e64 s0, 0x7f800000, v7
	s_delay_alu instid0(VALU_DEP_1) | instskip(NEXT) | instid1(SALU_CYCLE_1)
	s_and_saveexec_b32 s12, s0
	s_xor_b32 s0, exec_lo, s12
; %bb.1812:                             ;   in Loop: Header=BB440_1190 Depth=1
	v_bfe_u32 v7, v6, 16, 1
	s_delay_alu instid0(VALU_DEP_1)
	v_add3_u32 v162, v6, v7, 0x7fff
                                        ; implicit-def: $vgpr6
; %bb.1813:                             ;   in Loop: Header=BB440_1190 Depth=1
	s_and_not1_saveexec_b32 s12, s0
; %bb.1814:                             ;   in Loop: Header=BB440_1190 Depth=1
	v_and_b32_e32 v7, 0xffff, v6
	v_or_b32_e32 v9, 0x10000, v6
	s_delay_alu instid0(VALU_DEP_2) | instskip(NEXT) | instid1(VALU_DEP_1)
	v_cmp_eq_u32_e64 s0, 0, v7
	v_cndmask_b32_e64 v162, v9, v6, s0
; %bb.1815:                             ;   in Loop: Header=BB440_1190 Depth=1
	s_or_b32 exec_lo, exec_lo, s12
	v_lshrrev_b32_e32 v163, 16, v3
	s_mov_b32 s12, exec_lo
	s_delay_alu instid0(VALU_DEP_1) | instskip(NEXT) | instid1(VALU_DEP_1)
	v_dual_mov_b32 v6, 0 :: v_dual_and_b32 v7, 0xff, v163
	v_cmpx_ne_u16_e32 0, v7
	s_cbranch_execz .LBB440_1823
; %bb.1816:                             ;   in Loop: Header=BB440_1190 Depth=1
	v_bfrev_b32_e32 v6, 1
	s_mov_b32 s13, exec_lo
	v_cmpx_ne_u16_e32 0x80, v7
	s_cbranch_execz .LBB440_1822
; %bb.1817:                             ;   in Loop: Header=BB440_1190 Depth=1
	v_bfe_u32 v7, v3, 16, 7
	v_mov_b32_e32 v6, 0x7f800001
	s_mov_b32 s15, exec_lo
	s_delay_alu instid0(VALU_DEP_2)
	v_cmpx_ne_u32_e32 0x7f, v7
	s_cbranch_execz .LBB440_1821
; %bb.1818:                             ;   in Loop: Header=BB440_1190 Depth=1
	v_and_b32_e32 v9, 7, v163
	v_lshrrev_b32_e32 v164, 3, v7
	v_cmp_gt_u32_e64 s0, 8, v7
	s_delay_alu instid0(VALU_DEP_3) | instskip(NEXT) | instid1(VALU_DEP_2)
	v_dual_mov_b32 v6, v9 :: v_dual_mov_b32 v7, v10
	s_and_saveexec_b32 s16, s0
; %bb.1819:                             ;   in Loop: Header=BB440_1190 Depth=1
	v_clz_i32_u32_e32 v6, v9
	s_delay_alu instid0(VALU_DEP_1) | instskip(NEXT) | instid1(VALU_DEP_1)
	v_min_u32_e32 v164, 32, v6
	v_subrev_nc_u32_e32 v6, 28, v164
	v_sub_nc_u32_e32 v164, 29, v164
	s_delay_alu instid0(VALU_DEP_2) | instskip(NEXT) | instid1(VALU_DEP_1)
	v_lshlrev_b64 v[6:7], v6, v[9:10]
	v_and_b32_e32 v6, 7, v6
; %bb.1820:                             ;   in Loop: Header=BB440_1190 Depth=1
	s_or_b32 exec_lo, exec_lo, s16
	v_lshlrev_b32_e32 v7, 24, v163
	s_delay_alu instid0(VALU_DEP_2) | instskip(SKIP_1) | instid1(VALU_DEP_3)
	v_lshlrev_b32_e32 v6, 20, v6
	v_lshl_add_u32 v9, v164, 23, 0x3c000000
	v_and_b32_e32 v7, 0x80000000, v7
	s_delay_alu instid0(VALU_DEP_1)
	v_or3_b32 v6, v6, v7, v9
.LBB440_1821:                           ;   in Loop: Header=BB440_1190 Depth=1
	s_or_b32 exec_lo, exec_lo, s15
.LBB440_1822:                           ;   in Loop: Header=BB440_1190 Depth=1
	s_delay_alu instid0(SALU_CYCLE_1)
	s_or_b32 exec_lo, exec_lo, s13
.LBB440_1823:                           ;   in Loop: Header=BB440_1190 Depth=1
	s_delay_alu instid0(SALU_CYCLE_1) | instskip(NEXT) | instid1(VALU_DEP_1)
	s_or_b32 exec_lo, exec_lo, s12
	v_mul_f32_e32 v6, v8, v6
                                        ; implicit-def: $vgpr163
	s_delay_alu instid0(VALU_DEP_1) | instskip(NEXT) | instid1(VALU_DEP_1)
	v_and_b32_e32 v7, 0x7f800000, v6
	v_cmp_ne_u32_e64 s0, 0x7f800000, v7
	s_delay_alu instid0(VALU_DEP_1) | instskip(NEXT) | instid1(SALU_CYCLE_1)
	s_and_saveexec_b32 s12, s0
	s_xor_b32 s0, exec_lo, s12
; %bb.1824:                             ;   in Loop: Header=BB440_1190 Depth=1
	v_bfe_u32 v7, v6, 16, 1
	s_delay_alu instid0(VALU_DEP_1)
	v_add3_u32 v163, v6, v7, 0x7fff
                                        ; implicit-def: $vgpr6
; %bb.1825:                             ;   in Loop: Header=BB440_1190 Depth=1
	s_and_not1_saveexec_b32 s12, s0
; %bb.1826:                             ;   in Loop: Header=BB440_1190 Depth=1
	v_and_b32_e32 v7, 0xffff, v6
	v_or_b32_e32 v9, 0x10000, v6
	s_delay_alu instid0(VALU_DEP_2) | instskip(NEXT) | instid1(VALU_DEP_1)
	v_cmp_eq_u32_e64 s0, 0, v7
	v_cndmask_b32_e64 v163, v9, v6, s0
; %bb.1827:                             ;   in Loop: Header=BB440_1190 Depth=1
	s_or_b32 exec_lo, exec_lo, s12
	v_cmp_lt_u64_e64 s0, s[8:9], v[2:3]
	v_mov_b32_e32 v2, 0
	s_delay_alu instid0(VALU_DEP_2)
	s_and_saveexec_b32 s12, s0
	s_cbranch_execz .LBB440_1835
; %bb.1828:                             ;   in Loop: Header=BB440_1190 Depth=1
	v_lshrrev_b32_e32 v6, 24, v3
	v_bfrev_b32_e32 v2, 1
	s_mov_b32 s13, exec_lo
	s_delay_alu instid0(VALU_DEP_2)
	v_cmpx_ne_u32_e32 0x80, v6
	s_cbranch_execz .LBB440_1834
; %bb.1829:                             ;   in Loop: Header=BB440_1190 Depth=1
	v_bfe_u32 v3, v3, 24, 7
	v_mov_b32_e32 v2, 0x7f800001
	s_mov_b32 s15, exec_lo
	s_delay_alu instid0(VALU_DEP_2)
	v_cmpx_ne_u32_e32 0x7f, v3
	s_cbranch_execz .LBB440_1833
; %bb.1830:                             ;   in Loop: Header=BB440_1190 Depth=1
	v_and_b32_e32 v9, 7, v6
	v_lshrrev_b32_e32 v7, 3, v3
	v_cmp_gt_u32_e64 s0, 8, v3
	s_delay_alu instid0(VALU_DEP_3) | instskip(NEXT) | instid1(VALU_DEP_2)
	v_dual_mov_b32 v2, v9 :: v_dual_mov_b32 v3, v10
	s_and_saveexec_b32 s16, s0
; %bb.1831:                             ;   in Loop: Header=BB440_1190 Depth=1
	v_clz_i32_u32_e32 v2, v9
	s_delay_alu instid0(VALU_DEP_1) | instskip(NEXT) | instid1(VALU_DEP_1)
	v_min_u32_e32 v7, 32, v2
	v_subrev_nc_u32_e32 v2, 28, v7
	v_sub_nc_u32_e32 v7, 29, v7
	s_delay_alu instid0(VALU_DEP_2) | instskip(NEXT) | instid1(VALU_DEP_1)
	v_lshlrev_b64 v[2:3], v2, v[9:10]
	v_and_b32_e32 v2, 7, v2
; %bb.1832:                             ;   in Loop: Header=BB440_1190 Depth=1
	s_or_b32 exec_lo, exec_lo, s16
	v_lshlrev_b32_e32 v3, 24, v6
	s_delay_alu instid0(VALU_DEP_2) | instskip(SKIP_1) | instid1(VALU_DEP_3)
	v_lshlrev_b32_e32 v2, 20, v2
	v_lshl_add_u32 v6, v7, 23, 0x3c000000
	v_and_b32_e32 v3, 0x80000000, v3
	s_delay_alu instid0(VALU_DEP_1)
	v_or3_b32 v2, v2, v3, v6
.LBB440_1833:                           ;   in Loop: Header=BB440_1190 Depth=1
	s_or_b32 exec_lo, exec_lo, s15
.LBB440_1834:                           ;   in Loop: Header=BB440_1190 Depth=1
	s_delay_alu instid0(SALU_CYCLE_1)
	s_or_b32 exec_lo, exec_lo, s13
.LBB440_1835:                           ;   in Loop: Header=BB440_1190 Depth=1
	s_delay_alu instid0(SALU_CYCLE_1) | instskip(NEXT) | instid1(VALU_DEP_1)
	s_or_b32 exec_lo, exec_lo, s12
	v_mul_f32_e32 v3, v8, v2
	s_delay_alu instid0(VALU_DEP_1) | instskip(NEXT) | instid1(VALU_DEP_1)
	v_and_b32_e32 v2, 0x7f800000, v3
	v_cmp_ne_u32_e64 s0, 0x7f800000, v2
                                        ; implicit-def: $vgpr2
	s_delay_alu instid0(VALU_DEP_1) | instskip(NEXT) | instid1(SALU_CYCLE_1)
	s_and_saveexec_b32 s12, s0
	s_xor_b32 s0, exec_lo, s12
; %bb.1836:                             ;   in Loop: Header=BB440_1190 Depth=1
	v_bfe_u32 v2, v3, 16, 1
	s_delay_alu instid0(VALU_DEP_1)
	v_add3_u32 v2, v3, v2, 0x7fff
                                        ; implicit-def: $vgpr3
; %bb.1837:                             ;   in Loop: Header=BB440_1190 Depth=1
	s_and_not1_saveexec_b32 s12, s0
; %bb.1838:                             ;   in Loop: Header=BB440_1190 Depth=1
	v_and_b32_e32 v2, 0xffff, v3
	v_or_b32_e32 v6, 0x10000, v3
	s_delay_alu instid0(VALU_DEP_2) | instskip(NEXT) | instid1(VALU_DEP_1)
	v_cmp_eq_u32_e64 s0, 0, v2
	v_cndmask_b32_e64 v2, v6, v3, s0
; %bb.1839:                             ;   in Loop: Header=BB440_1190 Depth=1
	s_or_b32 exec_lo, exec_lo, s12
	v_lshrrev_b32_e32 v6, 16, v162
	v_lshrrev_b32_e32 v7, 16, v39
	;; [unrolled: 1-line block ×8, first 2 shown]
	s_and_saveexec_b32 s12, vcc_lo
	s_cbranch_execz .LBB440_1841
; %bb.1840:                             ;   in Loop: Header=BB440_1190 Depth=1
	v_cmp_lt_i32_e64 s0, v82, v38
	s_delay_alu instid0(VALU_DEP_1) | instskip(SKIP_1) | instid1(VALU_DEP_1)
	v_cndmask_b32_e64 v4, 0, v4, s0
	v_cmp_lt_i32_e64 s0, v97, v38
	v_cndmask_b32_e64 v5, 0, v5, s0
	v_cmp_lt_i32_e64 s0, v96, v38
	s_delay_alu instid0(VALU_DEP_1) | instskip(SKIP_1) | instid1(VALU_DEP_1)
	v_cndmask_b32_e64 v21, 0, v21, s0
	v_cmp_lt_i32_e64 s0, v87, v38
	v_cndmask_b32_e64 v9, 0, v9, s0
	;; [unrolled: 5-line block ×4, first 2 shown]
.LBB440_1841:                           ;   in Loop: Header=BB440_1190 Depth=1
	s_or_b32 exec_lo, exec_lo, s12
	v_lshlrev_b32_e32 v4, 16, v4
                                        ; implicit-def: $vgpr162
	s_delay_alu instid0(VALU_DEP_1) | instskip(NEXT) | instid1(VALU_DEP_1)
	v_mul_f32_e32 v4, v98, v4
	v_and_b32_e32 v37, 0x7f800000, v4
	s_delay_alu instid0(VALU_DEP_1) | instskip(NEXT) | instid1(VALU_DEP_1)
	v_cmp_ne_u32_e64 s0, 0x7f800000, v37
	s_and_saveexec_b32 s12, s0
	s_delay_alu instid0(SALU_CYCLE_1)
	s_xor_b32 s0, exec_lo, s12
; %bb.1842:                             ;   in Loop: Header=BB440_1190 Depth=1
	v_bfe_u32 v37, v4, 16, 1
	s_delay_alu instid0(VALU_DEP_1)
	v_add3_u32 v162, v4, v37, 0x7fff
                                        ; implicit-def: $vgpr4
; %bb.1843:                             ;   in Loop: Header=BB440_1190 Depth=1
	s_and_not1_saveexec_b32 s12, s0
; %bb.1844:                             ;   in Loop: Header=BB440_1190 Depth=1
	v_and_b32_e32 v37, 0xffff, v4
	v_or_b32_e32 v39, 0x10000, v4
	s_delay_alu instid0(VALU_DEP_2) | instskip(NEXT) | instid1(VALU_DEP_1)
	v_cmp_eq_u32_e64 s0, 0, v37
	v_cndmask_b32_e64 v162, v39, v4, s0
; %bb.1845:                             ;   in Loop: Header=BB440_1190 Depth=1
	s_or_b32 exec_lo, exec_lo, s12
	v_lshlrev_b32_e32 v4, 16, v5
                                        ; implicit-def: $vgpr163
	s_delay_alu instid0(VALU_DEP_1) | instskip(NEXT) | instid1(VALU_DEP_1)
	v_mul_f32_e32 v4, v99, v4
	v_and_b32_e32 v5, 0x7f800000, v4
	s_delay_alu instid0(VALU_DEP_1) | instskip(NEXT) | instid1(VALU_DEP_1)
	v_cmp_ne_u32_e64 s0, 0x7f800000, v5
	s_and_saveexec_b32 s12, s0
	s_delay_alu instid0(SALU_CYCLE_1)
	s_xor_b32 s0, exec_lo, s12
; %bb.1846:                             ;   in Loop: Header=BB440_1190 Depth=1
	v_bfe_u32 v5, v4, 16, 1
	s_delay_alu instid0(VALU_DEP_1)
	v_add3_u32 v163, v4, v5, 0x7fff
                                        ; implicit-def: $vgpr4
; %bb.1847:                             ;   in Loop: Header=BB440_1190 Depth=1
	s_and_not1_saveexec_b32 s12, s0
; %bb.1848:                             ;   in Loop: Header=BB440_1190 Depth=1
	v_and_b32_e32 v5, 0xffff, v4
	v_or_b32_e32 v37, 0x10000, v4
	s_delay_alu instid0(VALU_DEP_2) | instskip(NEXT) | instid1(VALU_DEP_1)
	v_cmp_eq_u32_e64 s0, 0, v5
	v_cndmask_b32_e64 v163, v37, v4, s0
; %bb.1849:                             ;   in Loop: Header=BB440_1190 Depth=1
	s_or_b32 exec_lo, exec_lo, s12
	v_lshlrev_b32_e32 v4, 16, v21
                                        ; implicit-def: $vgpr164
	s_delay_alu instid0(VALU_DEP_1) | instskip(NEXT) | instid1(VALU_DEP_1)
	v_mul_f32_e32 v4, v100, v4
	v_and_b32_e32 v5, 0x7f800000, v4
	s_delay_alu instid0(VALU_DEP_1) | instskip(NEXT) | instid1(VALU_DEP_1)
	v_cmp_ne_u32_e64 s0, 0x7f800000, v5
	s_and_saveexec_b32 s12, s0
	s_delay_alu instid0(SALU_CYCLE_1)
	s_xor_b32 s0, exec_lo, s12
; %bb.1850:                             ;   in Loop: Header=BB440_1190 Depth=1
	v_bfe_u32 v5, v4, 16, 1
	s_delay_alu instid0(VALU_DEP_1)
	v_add3_u32 v164, v4, v5, 0x7fff
                                        ; implicit-def: $vgpr4
; %bb.1851:                             ;   in Loop: Header=BB440_1190 Depth=1
	s_and_not1_saveexec_b32 s12, s0
; %bb.1852:                             ;   in Loop: Header=BB440_1190 Depth=1
	v_and_b32_e32 v5, 0xffff, v4
	v_or_b32_e32 v21, 0x10000, v4
	s_delay_alu instid0(VALU_DEP_2) | instskip(NEXT) | instid1(VALU_DEP_1)
	v_cmp_eq_u32_e64 s0, 0, v5
	v_cndmask_b32_e64 v164, v21, v4, s0
; %bb.1853:                             ;   in Loop: Header=BB440_1190 Depth=1
	s_or_b32 exec_lo, exec_lo, s12
	v_lshlrev_b32_e32 v4, 16, v9
                                        ; implicit-def: $vgpr165
	s_delay_alu instid0(VALU_DEP_1) | instskip(NEXT) | instid1(VALU_DEP_1)
	v_mul_f32_e32 v4, v101, v4
	v_and_b32_e32 v5, 0x7f800000, v4
	s_delay_alu instid0(VALU_DEP_1) | instskip(NEXT) | instid1(VALU_DEP_1)
	v_cmp_ne_u32_e64 s0, 0x7f800000, v5
	s_and_saveexec_b32 s12, s0
	s_delay_alu instid0(SALU_CYCLE_1)
	s_xor_b32 s0, exec_lo, s12
; %bb.1854:                             ;   in Loop: Header=BB440_1190 Depth=1
	v_bfe_u32 v5, v4, 16, 1
	s_delay_alu instid0(VALU_DEP_1)
	v_add3_u32 v165, v4, v5, 0x7fff
                                        ; implicit-def: $vgpr4
; %bb.1855:                             ;   in Loop: Header=BB440_1190 Depth=1
	s_and_not1_saveexec_b32 s12, s0
; %bb.1856:                             ;   in Loop: Header=BB440_1190 Depth=1
	v_and_b32_e32 v5, 0xffff, v4
	v_or_b32_e32 v9, 0x10000, v4
	s_delay_alu instid0(VALU_DEP_2) | instskip(NEXT) | instid1(VALU_DEP_1)
	v_cmp_eq_u32_e64 s0, 0, v5
	v_cndmask_b32_e64 v165, v9, v4, s0
; %bb.1857:                             ;   in Loop: Header=BB440_1190 Depth=1
	s_or_b32 exec_lo, exec_lo, s12
	v_lshlrev_b32_e32 v4, 16, v7
                                        ; implicit-def: $vgpr166
	s_delay_alu instid0(VALU_DEP_1) | instskip(NEXT) | instid1(VALU_DEP_1)
	v_mul_f32_e32 v4, v102, v4
	v_and_b32_e32 v5, 0x7f800000, v4
	s_delay_alu instid0(VALU_DEP_1) | instskip(NEXT) | instid1(VALU_DEP_1)
	v_cmp_ne_u32_e64 s0, 0x7f800000, v5
	s_and_saveexec_b32 s12, s0
	s_delay_alu instid0(SALU_CYCLE_1)
	s_xor_b32 s0, exec_lo, s12
; %bb.1858:                             ;   in Loop: Header=BB440_1190 Depth=1
	v_bfe_u32 v5, v4, 16, 1
	s_delay_alu instid0(VALU_DEP_1)
	v_add3_u32 v166, v4, v5, 0x7fff
                                        ; implicit-def: $vgpr4
; %bb.1859:                             ;   in Loop: Header=BB440_1190 Depth=1
	s_and_not1_saveexec_b32 s12, s0
; %bb.1860:                             ;   in Loop: Header=BB440_1190 Depth=1
	v_and_b32_e32 v5, 0xffff, v4
	v_or_b32_e32 v7, 0x10000, v4
	s_delay_alu instid0(VALU_DEP_2) | instskip(NEXT) | instid1(VALU_DEP_1)
	v_cmp_eq_u32_e64 s0, 0, v5
	v_cndmask_b32_e64 v166, v7, v4, s0
; %bb.1861:                             ;   in Loop: Header=BB440_1190 Depth=1
	s_or_b32 exec_lo, exec_lo, s12
	v_lshlrev_b32_e32 v4, 16, v6
                                        ; implicit-def: $vgpr167
	s_delay_alu instid0(VALU_DEP_1) | instskip(NEXT) | instid1(VALU_DEP_1)
	v_mul_f32_e32 v4, v103, v4
	v_and_b32_e32 v5, 0x7f800000, v4
	s_delay_alu instid0(VALU_DEP_1) | instskip(NEXT) | instid1(VALU_DEP_1)
	v_cmp_ne_u32_e64 s0, 0x7f800000, v5
	s_and_saveexec_b32 s12, s0
	s_delay_alu instid0(SALU_CYCLE_1)
	s_xor_b32 s0, exec_lo, s12
; %bb.1862:                             ;   in Loop: Header=BB440_1190 Depth=1
	v_bfe_u32 v5, v4, 16, 1
	s_delay_alu instid0(VALU_DEP_1)
	v_add3_u32 v167, v4, v5, 0x7fff
                                        ; implicit-def: $vgpr4
; %bb.1863:                             ;   in Loop: Header=BB440_1190 Depth=1
	s_and_not1_saveexec_b32 s12, s0
; %bb.1864:                             ;   in Loop: Header=BB440_1190 Depth=1
	v_and_b32_e32 v5, 0xffff, v4
	v_or_b32_e32 v6, 0x10000, v4
	s_delay_alu instid0(VALU_DEP_2) | instskip(NEXT) | instid1(VALU_DEP_1)
	v_cmp_eq_u32_e64 s0, 0, v5
	v_cndmask_b32_e64 v167, v6, v4, s0
; %bb.1865:                             ;   in Loop: Header=BB440_1190 Depth=1
	s_or_b32 exec_lo, exec_lo, s12
	v_lshlrev_b32_e32 v3, 16, v3
                                        ; implicit-def: $vgpr176
	s_delay_alu instid0(VALU_DEP_1) | instskip(NEXT) | instid1(VALU_DEP_1)
	v_mul_f32_e32 v3, v112, v3
	v_and_b32_e32 v4, 0x7f800000, v3
	s_delay_alu instid0(VALU_DEP_1) | instskip(NEXT) | instid1(VALU_DEP_1)
	v_cmp_ne_u32_e64 s0, 0x7f800000, v4
	s_and_saveexec_b32 s12, s0
	s_delay_alu instid0(SALU_CYCLE_1)
	s_xor_b32 s0, exec_lo, s12
; %bb.1866:                             ;   in Loop: Header=BB440_1190 Depth=1
	v_bfe_u32 v4, v3, 16, 1
	s_delay_alu instid0(VALU_DEP_1)
	v_add3_u32 v176, v3, v4, 0x7fff
                                        ; implicit-def: $vgpr3
; %bb.1867:                             ;   in Loop: Header=BB440_1190 Depth=1
	s_and_not1_saveexec_b32 s12, s0
; %bb.1868:                             ;   in Loop: Header=BB440_1190 Depth=1
	v_and_b32_e32 v4, 0xffff, v3
	v_or_b32_e32 v5, 0x10000, v3
	s_delay_alu instid0(VALU_DEP_2) | instskip(NEXT) | instid1(VALU_DEP_1)
	v_cmp_eq_u32_e64 s0, 0, v4
	v_cndmask_b32_e64 v176, v5, v3, s0
; %bb.1869:                             ;   in Loop: Header=BB440_1190 Depth=1
	s_or_b32 exec_lo, exec_lo, s12
	v_lshlrev_b32_e32 v2, 16, v2
                                        ; implicit-def: $vgpr177
	s_delay_alu instid0(VALU_DEP_1) | instskip(NEXT) | instid1(VALU_DEP_1)
	v_mul_f32_e32 v2, v113, v2
	v_and_b32_e32 v3, 0x7f800000, v2
	s_delay_alu instid0(VALU_DEP_1) | instskip(NEXT) | instid1(VALU_DEP_1)
	v_cmp_ne_u32_e64 s0, 0x7f800000, v3
	s_and_saveexec_b32 s12, s0
	s_delay_alu instid0(SALU_CYCLE_1)
	s_xor_b32 s0, exec_lo, s12
; %bb.1870:                             ;   in Loop: Header=BB440_1190 Depth=1
	v_bfe_u32 v3, v2, 16, 1
	s_delay_alu instid0(VALU_DEP_1)
	v_add3_u32 v177, v2, v3, 0x7fff
                                        ; implicit-def: $vgpr2
; %bb.1871:                             ;   in Loop: Header=BB440_1190 Depth=1
	s_and_not1_saveexec_b32 s12, s0
; %bb.1872:                             ;   in Loop: Header=BB440_1190 Depth=1
	v_and_b32_e32 v3, 0xffff, v2
	v_or_b32_e32 v4, 0x10000, v2
	s_delay_alu instid0(VALU_DEP_2) | instskip(NEXT) | instid1(VALU_DEP_1)
	v_cmp_eq_u32_e64 s0, 0, v3
	v_cndmask_b32_e64 v177, v4, v2, s0
; %bb.1873:                             ;   in Loop: Header=BB440_1190 Depth=1
	s_or_b32 exec_lo, exec_lo, s12
	flat_load_b64 v[2:3], v[0:1] offset:1280
	s_mov_b32 s12, exec_lo
	s_waitcnt vmcnt(0) lgkmcnt(0)
	v_dual_mov_b32 v4, 0 :: v_dual_and_b32 v5, 0xff, v2
	s_delay_alu instid0(VALU_DEP_1)
	v_cmpx_ne_u16_e32 0, v5
	s_cbranch_execz .LBB440_1881
; %bb.1874:                             ;   in Loop: Header=BB440_1190 Depth=1
	v_bfrev_b32_e32 v4, 1
	s_mov_b32 s13, exec_lo
	v_cmpx_ne_u16_e32 0x80, v5
	s_cbranch_execz .LBB440_1880
; %bb.1875:                             ;   in Loop: Header=BB440_1190 Depth=1
	v_and_b32_e32 v5, 0x7f, v2
	v_mov_b32_e32 v4, 0x7f800001
	s_mov_b32 s15, exec_lo
	s_delay_alu instid0(VALU_DEP_2)
	v_cmpx_ne_u32_e32 0x7f, v5
	s_cbranch_execz .LBB440_1879
; %bb.1876:                             ;   in Loop: Header=BB440_1190 Depth=1
	v_lshrrev_b32_e32 v4, 3, v5
	v_dual_mov_b32 v7, v3 :: v_dual_mov_b32 v6, v2
	s_mov_b32 s16, exec_lo
	v_cmpx_gt_u32_e32 8, v5
; %bb.1877:                             ;   in Loop: Header=BB440_1190 Depth=1
	v_and_b32_e32 v4, 7, v2
	s_delay_alu instid0(VALU_DEP_1) | instskip(NEXT) | instid1(VALU_DEP_1)
	v_clz_i32_u32_e32 v4, v4
	v_min_u32_e32 v4, 32, v4
	s_delay_alu instid0(VALU_DEP_1) | instskip(SKIP_1) | instid1(VALU_DEP_2)
	v_subrev_nc_u32_e32 v5, 28, v4
	v_sub_nc_u32_e32 v4, 29, v4
	v_lshlrev_b64 v[6:7], v5, v[2:3]
; %bb.1878:                             ;   in Loop: Header=BB440_1190 Depth=1
	s_or_b32 exec_lo, exec_lo, s16
	s_delay_alu instid0(VALU_DEP_1) | instskip(SKIP_2) | instid1(VALU_DEP_3)
	v_lshlrev_b32_e32 v5, 20, v6
	v_lshlrev_b32_e32 v6, 24, v2
	v_lshl_add_u32 v4, v4, 23, 0x3c000000
	v_and_b32_e32 v5, 0x700000, v5
	s_delay_alu instid0(VALU_DEP_3) | instskip(NEXT) | instid1(VALU_DEP_1)
	v_and_b32_e32 v6, 0x80000000, v6
	v_or3_b32 v4, v5, v6, v4
.LBB440_1879:                           ;   in Loop: Header=BB440_1190 Depth=1
	s_or_b32 exec_lo, exec_lo, s15
.LBB440_1880:                           ;   in Loop: Header=BB440_1190 Depth=1
	s_delay_alu instid0(SALU_CYCLE_1)
	s_or_b32 exec_lo, exec_lo, s13
.LBB440_1881:                           ;   in Loop: Header=BB440_1190 Depth=1
	s_delay_alu instid0(SALU_CYCLE_1) | instskip(NEXT) | instid1(VALU_DEP_1)
	s_or_b32 exec_lo, exec_lo, s12
	v_mul_f32_e32 v5, v8, v4
	s_delay_alu instid0(VALU_DEP_1) | instskip(NEXT) | instid1(VALU_DEP_1)
	v_and_b32_e32 v4, 0x7f800000, v5
	v_cmp_ne_u32_e64 s0, 0x7f800000, v4
                                        ; implicit-def: $vgpr4
	s_delay_alu instid0(VALU_DEP_1) | instskip(NEXT) | instid1(SALU_CYCLE_1)
	s_and_saveexec_b32 s12, s0
	s_xor_b32 s0, exec_lo, s12
; %bb.1882:                             ;   in Loop: Header=BB440_1190 Depth=1
	v_bfe_u32 v4, v5, 16, 1
	s_delay_alu instid0(VALU_DEP_1)
	v_add3_u32 v4, v5, v4, 0x7fff
                                        ; implicit-def: $vgpr5
; %bb.1883:                             ;   in Loop: Header=BB440_1190 Depth=1
	s_and_not1_saveexec_b32 s12, s0
; %bb.1884:                             ;   in Loop: Header=BB440_1190 Depth=1
	v_and_b32_e32 v4, 0xffff, v5
	v_or_b32_e32 v6, 0x10000, v5
	s_delay_alu instid0(VALU_DEP_2) | instskip(NEXT) | instid1(VALU_DEP_1)
	v_cmp_eq_u32_e64 s0, 0, v4
	v_cndmask_b32_e64 v4, v6, v5, s0
; %bb.1885:                             ;   in Loop: Header=BB440_1190 Depth=1
	s_or_b32 exec_lo, exec_lo, s12
	v_lshrrev_b16 v6, 8, v2
	v_mov_b32_e32 v5, 0
	s_mov_b32 s12, exec_lo
	s_delay_alu instid0(VALU_DEP_2)
	v_cmpx_ne_u16_e32 0, v6
	s_cbranch_execz .LBB440_1893
; %bb.1886:                             ;   in Loop: Header=BB440_1190 Depth=1
	v_bfrev_b32_e32 v5, 1
	s_mov_b32 s13, exec_lo
	v_cmpx_ne_u16_e32 0x80, v6
	s_cbranch_execz .LBB440_1892
; %bb.1887:                             ;   in Loop: Header=BB440_1190 Depth=1
	v_and_b32_e32 v7, 0xffff, v6
	v_mov_b32_e32 v5, 0x7f800001
	s_mov_b32 s15, exec_lo
	s_delay_alu instid0(VALU_DEP_2) | instskip(NEXT) | instid1(VALU_DEP_1)
	v_and_b32_e32 v6, 0x7f, v7
	v_cmpx_ne_u32_e32 0x7f, v6
	s_cbranch_execz .LBB440_1891
; %bb.1888:                             ;   in Loop: Header=BB440_1190 Depth=1
	v_and_b32_e32 v9, 7, v7
	v_lshrrev_b32_e32 v5, 3, v6
	v_cmp_gt_u32_e64 s0, 8, v6
	s_delay_alu instid0(VALU_DEP_3) | instskip(NEXT) | instid1(VALU_DEP_2)
	v_dual_mov_b32 v6, v9 :: v_dual_mov_b32 v7, v10
	s_and_saveexec_b32 s16, s0
; %bb.1889:                             ;   in Loop: Header=BB440_1190 Depth=1
	v_clz_i32_u32_e32 v5, v9
	s_delay_alu instid0(VALU_DEP_1) | instskip(NEXT) | instid1(VALU_DEP_1)
	v_min_u32_e32 v5, 32, v5
	v_subrev_nc_u32_e32 v6, 28, v5
	v_sub_nc_u32_e32 v5, 29, v5
	s_delay_alu instid0(VALU_DEP_2) | instskip(NEXT) | instid1(VALU_DEP_1)
	v_lshlrev_b64 v[6:7], v6, v[9:10]
	v_and_b32_e32 v6, 7, v6
; %bb.1890:                             ;   in Loop: Header=BB440_1190 Depth=1
	s_or_b32 exec_lo, exec_lo, s16
	v_lshlrev_b32_e32 v7, 16, v2
	s_delay_alu instid0(VALU_DEP_2) | instskip(SKIP_1) | instid1(VALU_DEP_3)
	v_lshlrev_b32_e32 v6, 20, v6
	v_lshl_add_u32 v5, v5, 23, 0x3c000000
	v_and_b32_e32 v7, 0x80000000, v7
	s_delay_alu instid0(VALU_DEP_1)
	v_or3_b32 v5, v6, v7, v5
.LBB440_1891:                           ;   in Loop: Header=BB440_1190 Depth=1
	s_or_b32 exec_lo, exec_lo, s15
.LBB440_1892:                           ;   in Loop: Header=BB440_1190 Depth=1
	s_delay_alu instid0(SALU_CYCLE_1)
	s_or_b32 exec_lo, exec_lo, s13
.LBB440_1893:                           ;   in Loop: Header=BB440_1190 Depth=1
	s_delay_alu instid0(SALU_CYCLE_1) | instskip(NEXT) | instid1(VALU_DEP_1)
	s_or_b32 exec_lo, exec_lo, s12
	v_mul_f32_e32 v6, v8, v5
	s_delay_alu instid0(VALU_DEP_1) | instskip(NEXT) | instid1(VALU_DEP_1)
	v_and_b32_e32 v5, 0x7f800000, v6
	v_cmp_ne_u32_e64 s0, 0x7f800000, v5
                                        ; implicit-def: $vgpr5
	s_delay_alu instid0(VALU_DEP_1) | instskip(NEXT) | instid1(SALU_CYCLE_1)
	s_and_saveexec_b32 s12, s0
	s_xor_b32 s0, exec_lo, s12
; %bb.1894:                             ;   in Loop: Header=BB440_1190 Depth=1
	v_bfe_u32 v5, v6, 16, 1
	s_delay_alu instid0(VALU_DEP_1)
	v_add3_u32 v5, v6, v5, 0x7fff
                                        ; implicit-def: $vgpr6
; %bb.1895:                             ;   in Loop: Header=BB440_1190 Depth=1
	s_and_not1_saveexec_b32 s12, s0
; %bb.1896:                             ;   in Loop: Header=BB440_1190 Depth=1
	v_and_b32_e32 v5, 0xffff, v6
	v_or_b32_e32 v7, 0x10000, v6
	s_delay_alu instid0(VALU_DEP_2) | instskip(NEXT) | instid1(VALU_DEP_1)
	v_cmp_eq_u32_e64 s0, 0, v5
	v_cndmask_b32_e64 v5, v7, v6, s0
; %bb.1897:                             ;   in Loop: Header=BB440_1190 Depth=1
	s_or_b32 exec_lo, exec_lo, s12
	v_lshrrev_b32_e32 v21, 16, v2
	s_mov_b32 s12, exec_lo
	s_delay_alu instid0(VALU_DEP_1) | instskip(NEXT) | instid1(VALU_DEP_1)
	v_dual_mov_b32 v6, 0 :: v_dual_and_b32 v7, 0xff, v21
	v_cmpx_ne_u16_e32 0, v7
	s_cbranch_execz .LBB440_1905
; %bb.1898:                             ;   in Loop: Header=BB440_1190 Depth=1
	v_bfrev_b32_e32 v6, 1
	s_mov_b32 s13, exec_lo
	v_cmpx_ne_u16_e32 0x80, v7
	s_cbranch_execz .LBB440_1904
; %bb.1899:                             ;   in Loop: Header=BB440_1190 Depth=1
	v_bfe_u32 v7, v2, 16, 7
	v_mov_b32_e32 v6, 0x7f800001
	s_mov_b32 s15, exec_lo
	s_delay_alu instid0(VALU_DEP_2)
	v_cmpx_ne_u32_e32 0x7f, v7
	s_cbranch_execz .LBB440_1903
; %bb.1900:                             ;   in Loop: Header=BB440_1190 Depth=1
	v_and_b32_e32 v9, 7, v21
	v_lshrrev_b32_e32 v37, 3, v7
	v_cmp_gt_u32_e64 s0, 8, v7
	s_delay_alu instid0(VALU_DEP_3) | instskip(NEXT) | instid1(VALU_DEP_2)
	v_dual_mov_b32 v6, v9 :: v_dual_mov_b32 v7, v10
	s_and_saveexec_b32 s16, s0
; %bb.1901:                             ;   in Loop: Header=BB440_1190 Depth=1
	v_clz_i32_u32_e32 v6, v9
	s_delay_alu instid0(VALU_DEP_1) | instskip(NEXT) | instid1(VALU_DEP_1)
	v_min_u32_e32 v37, 32, v6
	v_subrev_nc_u32_e32 v6, 28, v37
	v_sub_nc_u32_e32 v37, 29, v37
	s_delay_alu instid0(VALU_DEP_2) | instskip(NEXT) | instid1(VALU_DEP_1)
	v_lshlrev_b64 v[6:7], v6, v[9:10]
	v_and_b32_e32 v6, 7, v6
; %bb.1902:                             ;   in Loop: Header=BB440_1190 Depth=1
	s_or_b32 exec_lo, exec_lo, s16
	v_lshlrev_b32_e32 v7, 24, v21
	s_delay_alu instid0(VALU_DEP_2) | instskip(SKIP_1) | instid1(VALU_DEP_3)
	v_lshlrev_b32_e32 v6, 20, v6
	v_lshl_add_u32 v9, v37, 23, 0x3c000000
	v_and_b32_e32 v7, 0x80000000, v7
	s_delay_alu instid0(VALU_DEP_1)
	v_or3_b32 v6, v6, v7, v9
.LBB440_1903:                           ;   in Loop: Header=BB440_1190 Depth=1
	s_or_b32 exec_lo, exec_lo, s15
.LBB440_1904:                           ;   in Loop: Header=BB440_1190 Depth=1
	s_delay_alu instid0(SALU_CYCLE_1)
	s_or_b32 exec_lo, exec_lo, s13
.LBB440_1905:                           ;   in Loop: Header=BB440_1190 Depth=1
	s_delay_alu instid0(SALU_CYCLE_1) | instskip(NEXT) | instid1(VALU_DEP_1)
	s_or_b32 exec_lo, exec_lo, s12
	v_mul_f32_e32 v6, v8, v6
                                        ; implicit-def: $vgpr21
	s_delay_alu instid0(VALU_DEP_1) | instskip(NEXT) | instid1(VALU_DEP_1)
	v_and_b32_e32 v7, 0x7f800000, v6
	v_cmp_ne_u32_e64 s0, 0x7f800000, v7
	s_delay_alu instid0(VALU_DEP_1) | instskip(NEXT) | instid1(SALU_CYCLE_1)
	s_and_saveexec_b32 s12, s0
	s_xor_b32 s0, exec_lo, s12
; %bb.1906:                             ;   in Loop: Header=BB440_1190 Depth=1
	v_bfe_u32 v7, v6, 16, 1
	s_delay_alu instid0(VALU_DEP_1)
	v_add3_u32 v21, v6, v7, 0x7fff
                                        ; implicit-def: $vgpr6
; %bb.1907:                             ;   in Loop: Header=BB440_1190 Depth=1
	s_and_not1_saveexec_b32 s12, s0
; %bb.1908:                             ;   in Loop: Header=BB440_1190 Depth=1
	v_and_b32_e32 v7, 0xffff, v6
	v_or_b32_e32 v9, 0x10000, v6
	s_delay_alu instid0(VALU_DEP_2) | instskip(NEXT) | instid1(VALU_DEP_1)
	v_cmp_eq_u32_e64 s0, 0, v7
	v_cndmask_b32_e64 v21, v9, v6, s0
; %bb.1909:                             ;   in Loop: Header=BB440_1190 Depth=1
	s_or_b32 exec_lo, exec_lo, s12
	v_mov_b32_e32 v6, 0
	s_mov_b32 s12, exec_lo
	v_cmpx_lt_u32_e32 0xffffff, v2
	s_cbranch_execz .LBB440_1917
; %bb.1910:                             ;   in Loop: Header=BB440_1190 Depth=1
	v_lshrrev_b32_e32 v37, 24, v2
	v_bfrev_b32_e32 v6, 1
	s_mov_b32 s13, exec_lo
	s_delay_alu instid0(VALU_DEP_2)
	v_cmpx_ne_u32_e32 0x80, v37
	s_cbranch_execz .LBB440_1916
; %bb.1911:                             ;   in Loop: Header=BB440_1190 Depth=1
	v_bfe_u32 v7, v2, 24, 7
	v_mov_b32_e32 v6, 0x7f800001
	s_mov_b32 s15, exec_lo
	s_delay_alu instid0(VALU_DEP_2)
	v_cmpx_ne_u32_e32 0x7f, v7
	s_cbranch_execz .LBB440_1915
; %bb.1912:                             ;   in Loop: Header=BB440_1190 Depth=1
	v_and_b32_e32 v9, 7, v37
	v_lshrrev_b32_e32 v39, 3, v7
	v_cmp_gt_u32_e64 s0, 8, v7
	s_delay_alu instid0(VALU_DEP_3) | instskip(NEXT) | instid1(VALU_DEP_2)
	v_dual_mov_b32 v6, v9 :: v_dual_mov_b32 v7, v10
	s_and_saveexec_b32 s16, s0
; %bb.1913:                             ;   in Loop: Header=BB440_1190 Depth=1
	v_clz_i32_u32_e32 v6, v9
	s_delay_alu instid0(VALU_DEP_1) | instskip(NEXT) | instid1(VALU_DEP_1)
	v_min_u32_e32 v39, 32, v6
	v_subrev_nc_u32_e32 v6, 28, v39
	v_sub_nc_u32_e32 v39, 29, v39
	s_delay_alu instid0(VALU_DEP_2) | instskip(NEXT) | instid1(VALU_DEP_1)
	v_lshlrev_b64 v[6:7], v6, v[9:10]
	v_and_b32_e32 v6, 7, v6
; %bb.1914:                             ;   in Loop: Header=BB440_1190 Depth=1
	s_or_b32 exec_lo, exec_lo, s16
	v_lshlrev_b32_e32 v7, 24, v37
	s_delay_alu instid0(VALU_DEP_2) | instskip(SKIP_1) | instid1(VALU_DEP_3)
	v_lshlrev_b32_e32 v6, 20, v6
	v_lshl_add_u32 v9, v39, 23, 0x3c000000
	v_and_b32_e32 v7, 0x80000000, v7
	s_delay_alu instid0(VALU_DEP_1)
	v_or3_b32 v6, v6, v7, v9
.LBB440_1915:                           ;   in Loop: Header=BB440_1190 Depth=1
	s_or_b32 exec_lo, exec_lo, s15
.LBB440_1916:                           ;   in Loop: Header=BB440_1190 Depth=1
	s_delay_alu instid0(SALU_CYCLE_1)
	s_or_b32 exec_lo, exec_lo, s13
.LBB440_1917:                           ;   in Loop: Header=BB440_1190 Depth=1
	s_delay_alu instid0(SALU_CYCLE_1) | instskip(NEXT) | instid1(VALU_DEP_1)
	s_or_b32 exec_lo, exec_lo, s12
	v_mul_f32_e32 v6, v8, v6
                                        ; implicit-def: $vgpr37
	s_delay_alu instid0(VALU_DEP_1) | instskip(NEXT) | instid1(VALU_DEP_1)
	v_and_b32_e32 v7, 0x7f800000, v6
	v_cmp_ne_u32_e64 s0, 0x7f800000, v7
	s_delay_alu instid0(VALU_DEP_1) | instskip(NEXT) | instid1(SALU_CYCLE_1)
	s_and_saveexec_b32 s12, s0
	s_xor_b32 s0, exec_lo, s12
; %bb.1918:                             ;   in Loop: Header=BB440_1190 Depth=1
	v_bfe_u32 v7, v6, 16, 1
	s_delay_alu instid0(VALU_DEP_1)
	v_add3_u32 v37, v6, v7, 0x7fff
                                        ; implicit-def: $vgpr6
; %bb.1919:                             ;   in Loop: Header=BB440_1190 Depth=1
	s_and_not1_saveexec_b32 s12, s0
; %bb.1920:                             ;   in Loop: Header=BB440_1190 Depth=1
	v_and_b32_e32 v7, 0xffff, v6
	v_or_b32_e32 v9, 0x10000, v6
	s_delay_alu instid0(VALU_DEP_2) | instskip(NEXT) | instid1(VALU_DEP_1)
	v_cmp_eq_u32_e64 s0, 0, v7
	v_cndmask_b32_e64 v37, v9, v6, s0
; %bb.1921:                             ;   in Loop: Header=BB440_1190 Depth=1
	s_or_b32 exec_lo, exec_lo, s12
	v_dual_mov_b32 v6, 0 :: v_dual_and_b32 v7, 0xff, v3
	v_mov_b32_e32 v9, v3
	s_mov_b32 s12, exec_lo
	s_delay_alu instid0(VALU_DEP_2)
	v_cmpx_ne_u16_e32 0, v7
	s_cbranch_execz .LBB440_1929
; %bb.1922:                             ;   in Loop: Header=BB440_1190 Depth=1
	v_bfrev_b32_e32 v6, 1
	s_mov_b32 s13, exec_lo
	v_cmpx_ne_u16_e32 0x80, v7
	s_cbranch_execz .LBB440_1928
; %bb.1923:                             ;   in Loop: Header=BB440_1190 Depth=1
	v_and_b32_e32 v7, 0x7f, v3
	v_mov_b32_e32 v6, 0x7f800001
	s_mov_b32 s15, exec_lo
	s_delay_alu instid0(VALU_DEP_2)
	v_cmpx_ne_u32_e32 0x7f, v7
	s_cbranch_execz .LBB440_1927
; %bb.1924:                             ;   in Loop: Header=BB440_1190 Depth=1
	v_lshrrev_b32_e32 v39, 3, v7
	v_cmp_gt_u32_e64 s0, 8, v7
	v_dual_mov_b32 v6, v9 :: v_dual_mov_b32 v7, v10
	s_delay_alu instid0(VALU_DEP_2)
	s_and_saveexec_b32 s16, s0
; %bb.1925:                             ;   in Loop: Header=BB440_1190 Depth=1
	v_and_b32_e32 v6, 7, v3
	s_delay_alu instid0(VALU_DEP_1) | instskip(NEXT) | instid1(VALU_DEP_1)
	v_clz_i32_u32_e32 v6, v6
	v_min_u32_e32 v39, 32, v6
	s_delay_alu instid0(VALU_DEP_1) | instskip(SKIP_1) | instid1(VALU_DEP_2)
	v_subrev_nc_u32_e32 v6, 28, v39
	v_sub_nc_u32_e32 v39, 29, v39
	v_lshlrev_b64 v[6:7], v6, v[9:10]
; %bb.1926:                             ;   in Loop: Header=BB440_1190 Depth=1
	s_or_b32 exec_lo, exec_lo, s16
	s_delay_alu instid0(VALU_DEP_1) | instskip(SKIP_2) | instid1(VALU_DEP_3)
	v_lshlrev_b32_e32 v6, 20, v6
	v_lshlrev_b32_e32 v7, 24, v9
	v_lshl_add_u32 v39, v39, 23, 0x3c000000
	v_and_b32_e32 v6, 0x700000, v6
	s_delay_alu instid0(VALU_DEP_3) | instskip(NEXT) | instid1(VALU_DEP_1)
	v_and_b32_e32 v7, 0x80000000, v7
	v_or3_b32 v6, v6, v7, v39
.LBB440_1927:                           ;   in Loop: Header=BB440_1190 Depth=1
	s_or_b32 exec_lo, exec_lo, s15
.LBB440_1928:                           ;   in Loop: Header=BB440_1190 Depth=1
	s_delay_alu instid0(SALU_CYCLE_1)
	s_or_b32 exec_lo, exec_lo, s13
.LBB440_1929:                           ;   in Loop: Header=BB440_1190 Depth=1
	s_delay_alu instid0(SALU_CYCLE_1) | instskip(NEXT) | instid1(VALU_DEP_1)
	s_or_b32 exec_lo, exec_lo, s12
	v_mul_f32_e32 v6, v8, v6
                                        ; implicit-def: $vgpr39
	s_delay_alu instid0(VALU_DEP_1) | instskip(NEXT) | instid1(VALU_DEP_1)
	v_and_b32_e32 v7, 0x7f800000, v6
	v_cmp_ne_u32_e64 s0, 0x7f800000, v7
	s_delay_alu instid0(VALU_DEP_1) | instskip(NEXT) | instid1(SALU_CYCLE_1)
	s_and_saveexec_b32 s12, s0
	s_xor_b32 s0, exec_lo, s12
; %bb.1930:                             ;   in Loop: Header=BB440_1190 Depth=1
	v_bfe_u32 v7, v6, 16, 1
	s_delay_alu instid0(VALU_DEP_1)
	v_add3_u32 v39, v6, v7, 0x7fff
                                        ; implicit-def: $vgpr6
; %bb.1931:                             ;   in Loop: Header=BB440_1190 Depth=1
	s_and_not1_saveexec_b32 s12, s0
; %bb.1932:                             ;   in Loop: Header=BB440_1190 Depth=1
	v_and_b32_e32 v7, 0xffff, v6
	v_or_b32_e32 v39, 0x10000, v6
	s_delay_alu instid0(VALU_DEP_2) | instskip(NEXT) | instid1(VALU_DEP_1)
	v_cmp_eq_u32_e64 s0, 0, v7
	v_cndmask_b32_e64 v39, v39, v6, s0
; %bb.1933:                             ;   in Loop: Header=BB440_1190 Depth=1
	s_or_b32 exec_lo, exec_lo, s12
	v_lshrrev_b16 v7, 8, v9
	v_mov_b32_e32 v6, 0
	s_mov_b32 s12, exec_lo
	s_delay_alu instid0(VALU_DEP_2)
	v_cmpx_ne_u16_e32 0, v7
	s_cbranch_execz .LBB440_1941
; %bb.1934:                             ;   in Loop: Header=BB440_1190 Depth=1
	v_bfrev_b32_e32 v6, 1
	s_mov_b32 s13, exec_lo
	v_cmpx_ne_u16_e32 0x80, v7
	s_cbranch_execz .LBB440_1940
; %bb.1935:                             ;   in Loop: Header=BB440_1190 Depth=1
	v_and_b32_e32 v7, 0xffff, v7
	v_mov_b32_e32 v6, 0x7f800001
	s_mov_b32 s15, exec_lo
	s_delay_alu instid0(VALU_DEP_2) | instskip(NEXT) | instid1(VALU_DEP_1)
	v_and_b32_e32 v179, 0x7f, v7
	v_cmpx_ne_u32_e32 0x7f, v179
	s_cbranch_execz .LBB440_1939
; %bb.1936:                             ;   in Loop: Header=BB440_1190 Depth=1
	v_dual_mov_b32 v7, v10 :: v_dual_and_b32 v6, 7, v7
	v_lshrrev_b32_e32 v178, 3, v179
	s_mov_b32 s16, exec_lo
	v_cmpx_gt_u32_e32 8, v179
; %bb.1937:                             ;   in Loop: Header=BB440_1190 Depth=1
	s_delay_alu instid0(VALU_DEP_3) | instskip(NEXT) | instid1(VALU_DEP_1)
	v_clz_i32_u32_e32 v178, v6
	v_min_u32_e32 v178, 32, v178
	s_delay_alu instid0(VALU_DEP_1) | instskip(SKIP_1) | instid1(VALU_DEP_2)
	v_subrev_nc_u32_e32 v179, 28, v178
	v_sub_nc_u32_e32 v178, 29, v178
	v_lshlrev_b64 v[6:7], v179, v[6:7]
	s_delay_alu instid0(VALU_DEP_1)
	v_and_b32_e32 v6, 7, v6
; %bb.1938:                             ;   in Loop: Header=BB440_1190 Depth=1
	s_or_b32 exec_lo, exec_lo, s16
	v_lshlrev_b32_e32 v7, 16, v9
	s_delay_alu instid0(VALU_DEP_2) | instskip(SKIP_1) | instid1(VALU_DEP_3)
	v_lshlrev_b32_e32 v6, 20, v6
	v_lshl_add_u32 v9, v178, 23, 0x3c000000
	v_and_b32_e32 v7, 0x80000000, v7
	s_delay_alu instid0(VALU_DEP_1)
	v_or3_b32 v6, v6, v7, v9
.LBB440_1939:                           ;   in Loop: Header=BB440_1190 Depth=1
	s_or_b32 exec_lo, exec_lo, s15
.LBB440_1940:                           ;   in Loop: Header=BB440_1190 Depth=1
	s_delay_alu instid0(SALU_CYCLE_1)
	s_or_b32 exec_lo, exec_lo, s13
.LBB440_1941:                           ;   in Loop: Header=BB440_1190 Depth=1
	s_delay_alu instid0(SALU_CYCLE_1) | instskip(NEXT) | instid1(VALU_DEP_1)
	s_or_b32 exec_lo, exec_lo, s12
	v_mul_f32_e32 v6, v8, v6
                                        ; implicit-def: $vgpr178
	s_delay_alu instid0(VALU_DEP_1) | instskip(NEXT) | instid1(VALU_DEP_1)
	v_and_b32_e32 v7, 0x7f800000, v6
	v_cmp_ne_u32_e64 s0, 0x7f800000, v7
	s_delay_alu instid0(VALU_DEP_1) | instskip(NEXT) | instid1(SALU_CYCLE_1)
	s_and_saveexec_b32 s12, s0
	s_xor_b32 s0, exec_lo, s12
; %bb.1942:                             ;   in Loop: Header=BB440_1190 Depth=1
	v_bfe_u32 v7, v6, 16, 1
	s_delay_alu instid0(VALU_DEP_1)
	v_add3_u32 v178, v6, v7, 0x7fff
                                        ; implicit-def: $vgpr6
; %bb.1943:                             ;   in Loop: Header=BB440_1190 Depth=1
	s_and_not1_saveexec_b32 s12, s0
; %bb.1944:                             ;   in Loop: Header=BB440_1190 Depth=1
	v_and_b32_e32 v7, 0xffff, v6
	v_or_b32_e32 v9, 0x10000, v6
	s_delay_alu instid0(VALU_DEP_2) | instskip(NEXT) | instid1(VALU_DEP_1)
	v_cmp_eq_u32_e64 s0, 0, v7
	v_cndmask_b32_e64 v178, v9, v6, s0
; %bb.1945:                             ;   in Loop: Header=BB440_1190 Depth=1
	s_or_b32 exec_lo, exec_lo, s12
	v_lshrrev_b32_e32 v179, 16, v3
	s_mov_b32 s12, exec_lo
	s_delay_alu instid0(VALU_DEP_1) | instskip(NEXT) | instid1(VALU_DEP_1)
	v_dual_mov_b32 v6, 0 :: v_dual_and_b32 v7, 0xff, v179
	v_cmpx_ne_u16_e32 0, v7
	s_cbranch_execz .LBB440_1953
; %bb.1946:                             ;   in Loop: Header=BB440_1190 Depth=1
	v_bfrev_b32_e32 v6, 1
	s_mov_b32 s13, exec_lo
	v_cmpx_ne_u16_e32 0x80, v7
	s_cbranch_execz .LBB440_1952
; %bb.1947:                             ;   in Loop: Header=BB440_1190 Depth=1
	v_bfe_u32 v7, v3, 16, 7
	v_mov_b32_e32 v6, 0x7f800001
	s_mov_b32 s15, exec_lo
	s_delay_alu instid0(VALU_DEP_2)
	v_cmpx_ne_u32_e32 0x7f, v7
	s_cbranch_execz .LBB440_1951
; %bb.1948:                             ;   in Loop: Header=BB440_1190 Depth=1
	v_and_b32_e32 v9, 7, v179
	v_lshrrev_b32_e32 v180, 3, v7
	v_cmp_gt_u32_e64 s0, 8, v7
	s_delay_alu instid0(VALU_DEP_3) | instskip(NEXT) | instid1(VALU_DEP_2)
	v_dual_mov_b32 v6, v9 :: v_dual_mov_b32 v7, v10
	s_and_saveexec_b32 s16, s0
; %bb.1949:                             ;   in Loop: Header=BB440_1190 Depth=1
	v_clz_i32_u32_e32 v6, v9
	s_delay_alu instid0(VALU_DEP_1) | instskip(NEXT) | instid1(VALU_DEP_1)
	v_min_u32_e32 v180, 32, v6
	v_subrev_nc_u32_e32 v6, 28, v180
	v_sub_nc_u32_e32 v180, 29, v180
	s_delay_alu instid0(VALU_DEP_2) | instskip(NEXT) | instid1(VALU_DEP_1)
	v_lshlrev_b64 v[6:7], v6, v[9:10]
	v_and_b32_e32 v6, 7, v6
; %bb.1950:                             ;   in Loop: Header=BB440_1190 Depth=1
	s_or_b32 exec_lo, exec_lo, s16
	v_lshlrev_b32_e32 v7, 24, v179
	s_delay_alu instid0(VALU_DEP_2) | instskip(SKIP_1) | instid1(VALU_DEP_3)
	v_lshlrev_b32_e32 v6, 20, v6
	v_lshl_add_u32 v9, v180, 23, 0x3c000000
	v_and_b32_e32 v7, 0x80000000, v7
	s_delay_alu instid0(VALU_DEP_1)
	v_or3_b32 v6, v6, v7, v9
.LBB440_1951:                           ;   in Loop: Header=BB440_1190 Depth=1
	s_or_b32 exec_lo, exec_lo, s15
.LBB440_1952:                           ;   in Loop: Header=BB440_1190 Depth=1
	s_delay_alu instid0(SALU_CYCLE_1)
	s_or_b32 exec_lo, exec_lo, s13
.LBB440_1953:                           ;   in Loop: Header=BB440_1190 Depth=1
	s_delay_alu instid0(SALU_CYCLE_1) | instskip(NEXT) | instid1(VALU_DEP_1)
	s_or_b32 exec_lo, exec_lo, s12
	v_mul_f32_e32 v6, v8, v6
                                        ; implicit-def: $vgpr179
	s_delay_alu instid0(VALU_DEP_1) | instskip(NEXT) | instid1(VALU_DEP_1)
	v_and_b32_e32 v7, 0x7f800000, v6
	v_cmp_ne_u32_e64 s0, 0x7f800000, v7
	s_delay_alu instid0(VALU_DEP_1) | instskip(NEXT) | instid1(SALU_CYCLE_1)
	s_and_saveexec_b32 s12, s0
	s_xor_b32 s0, exec_lo, s12
; %bb.1954:                             ;   in Loop: Header=BB440_1190 Depth=1
	v_bfe_u32 v7, v6, 16, 1
	s_delay_alu instid0(VALU_DEP_1)
	v_add3_u32 v179, v6, v7, 0x7fff
                                        ; implicit-def: $vgpr6
; %bb.1955:                             ;   in Loop: Header=BB440_1190 Depth=1
	s_and_not1_saveexec_b32 s12, s0
; %bb.1956:                             ;   in Loop: Header=BB440_1190 Depth=1
	v_and_b32_e32 v7, 0xffff, v6
	v_or_b32_e32 v9, 0x10000, v6
	s_delay_alu instid0(VALU_DEP_2) | instskip(NEXT) | instid1(VALU_DEP_1)
	v_cmp_eq_u32_e64 s0, 0, v7
	v_cndmask_b32_e64 v179, v9, v6, s0
; %bb.1957:                             ;   in Loop: Header=BB440_1190 Depth=1
	s_or_b32 exec_lo, exec_lo, s12
	v_cmp_lt_u64_e64 s0, s[8:9], v[2:3]
	v_mov_b32_e32 v2, 0
	s_delay_alu instid0(VALU_DEP_2)
	s_and_saveexec_b32 s12, s0
	s_cbranch_execz .LBB440_1965
; %bb.1958:                             ;   in Loop: Header=BB440_1190 Depth=1
	v_lshrrev_b32_e32 v6, 24, v3
	v_bfrev_b32_e32 v2, 1
	s_mov_b32 s13, exec_lo
	s_delay_alu instid0(VALU_DEP_2)
	v_cmpx_ne_u32_e32 0x80, v6
	s_cbranch_execz .LBB440_1964
; %bb.1959:                             ;   in Loop: Header=BB440_1190 Depth=1
	v_bfe_u32 v3, v3, 24, 7
	v_mov_b32_e32 v2, 0x7f800001
	s_mov_b32 s15, exec_lo
	s_delay_alu instid0(VALU_DEP_2)
	v_cmpx_ne_u32_e32 0x7f, v3
	s_cbranch_execz .LBB440_1963
; %bb.1960:                             ;   in Loop: Header=BB440_1190 Depth=1
	v_and_b32_e32 v9, 7, v6
	v_lshrrev_b32_e32 v7, 3, v3
	v_cmp_gt_u32_e64 s0, 8, v3
	s_delay_alu instid0(VALU_DEP_3) | instskip(NEXT) | instid1(VALU_DEP_2)
	v_dual_mov_b32 v2, v9 :: v_dual_mov_b32 v3, v10
	s_and_saveexec_b32 s16, s0
; %bb.1961:                             ;   in Loop: Header=BB440_1190 Depth=1
	v_clz_i32_u32_e32 v2, v9
	s_delay_alu instid0(VALU_DEP_1) | instskip(NEXT) | instid1(VALU_DEP_1)
	v_min_u32_e32 v7, 32, v2
	v_subrev_nc_u32_e32 v2, 28, v7
	v_sub_nc_u32_e32 v7, 29, v7
	s_delay_alu instid0(VALU_DEP_2) | instskip(NEXT) | instid1(VALU_DEP_1)
	v_lshlrev_b64 v[2:3], v2, v[9:10]
	v_and_b32_e32 v2, 7, v2
; %bb.1962:                             ;   in Loop: Header=BB440_1190 Depth=1
	s_or_b32 exec_lo, exec_lo, s16
	v_lshlrev_b32_e32 v3, 24, v6
	s_delay_alu instid0(VALU_DEP_2) | instskip(SKIP_1) | instid1(VALU_DEP_3)
	v_lshlrev_b32_e32 v2, 20, v2
	v_lshl_add_u32 v6, v7, 23, 0x3c000000
	v_and_b32_e32 v3, 0x80000000, v3
	s_delay_alu instid0(VALU_DEP_1)
	v_or3_b32 v2, v2, v3, v6
.LBB440_1963:                           ;   in Loop: Header=BB440_1190 Depth=1
	s_or_b32 exec_lo, exec_lo, s15
.LBB440_1964:                           ;   in Loop: Header=BB440_1190 Depth=1
	s_delay_alu instid0(SALU_CYCLE_1)
	s_or_b32 exec_lo, exec_lo, s13
.LBB440_1965:                           ;   in Loop: Header=BB440_1190 Depth=1
	s_delay_alu instid0(SALU_CYCLE_1) | instskip(NEXT) | instid1(VALU_DEP_1)
	s_or_b32 exec_lo, exec_lo, s12
	v_mul_f32_e32 v3, v8, v2
	s_delay_alu instid0(VALU_DEP_1) | instskip(NEXT) | instid1(VALU_DEP_1)
	v_and_b32_e32 v2, 0x7f800000, v3
	v_cmp_ne_u32_e64 s0, 0x7f800000, v2
                                        ; implicit-def: $vgpr2
	s_delay_alu instid0(VALU_DEP_1) | instskip(NEXT) | instid1(SALU_CYCLE_1)
	s_and_saveexec_b32 s12, s0
	s_xor_b32 s0, exec_lo, s12
; %bb.1966:                             ;   in Loop: Header=BB440_1190 Depth=1
	v_bfe_u32 v2, v3, 16, 1
	s_delay_alu instid0(VALU_DEP_1)
	v_add3_u32 v2, v3, v2, 0x7fff
                                        ; implicit-def: $vgpr3
; %bb.1967:                             ;   in Loop: Header=BB440_1190 Depth=1
	s_and_not1_saveexec_b32 s12, s0
; %bb.1968:                             ;   in Loop: Header=BB440_1190 Depth=1
	v_and_b32_e32 v2, 0xffff, v3
	v_or_b32_e32 v6, 0x10000, v3
	s_delay_alu instid0(VALU_DEP_2) | instskip(NEXT) | instid1(VALU_DEP_1)
	v_cmp_eq_u32_e64 s0, 0, v2
	v_cndmask_b32_e64 v2, v6, v3, s0
; %bb.1969:                             ;   in Loop: Header=BB440_1190 Depth=1
	s_or_b32 exec_lo, exec_lo, s12
	v_lshrrev_b32_e32 v6, 16, v178
	v_lshrrev_b32_e32 v7, 16, v39
	;; [unrolled: 1-line block ×8, first 2 shown]
	s_and_saveexec_b32 s12, vcc_lo
	s_cbranch_execz .LBB440_1971
; %bb.1970:                             ;   in Loop: Header=BB440_1190 Depth=1
	v_cmp_lt_i32_e64 s0, v82, v38
	s_delay_alu instid0(VALU_DEP_1) | instskip(SKIP_1) | instid1(VALU_DEP_1)
	v_cndmask_b32_e64 v4, 0, v4, s0
	v_cmp_lt_i32_e64 s0, v97, v38
	v_cndmask_b32_e64 v5, 0, v5, s0
	v_cmp_lt_i32_e64 s0, v96, v38
	s_delay_alu instid0(VALU_DEP_1) | instskip(SKIP_1) | instid1(VALU_DEP_1)
	v_cndmask_b32_e64 v21, 0, v21, s0
	v_cmp_lt_i32_e64 s0, v87, v38
	v_cndmask_b32_e64 v9, 0, v9, s0
	;; [unrolled: 5-line block ×4, first 2 shown]
.LBB440_1971:                           ;   in Loop: Header=BB440_1190 Depth=1
	s_or_b32 exec_lo, exec_lo, s12
	v_lshlrev_b32_e32 v4, 16, v4
                                        ; implicit-def: $vgpr178
	s_delay_alu instid0(VALU_DEP_1) | instskip(NEXT) | instid1(VALU_DEP_1)
	v_mul_f32_e32 v4, v98, v4
	v_and_b32_e32 v37, 0x7f800000, v4
	s_delay_alu instid0(VALU_DEP_1) | instskip(NEXT) | instid1(VALU_DEP_1)
	v_cmp_ne_u32_e64 s0, 0x7f800000, v37
	s_and_saveexec_b32 s12, s0
	s_delay_alu instid0(SALU_CYCLE_1)
	s_xor_b32 s0, exec_lo, s12
; %bb.1972:                             ;   in Loop: Header=BB440_1190 Depth=1
	v_bfe_u32 v37, v4, 16, 1
	s_delay_alu instid0(VALU_DEP_1)
	v_add3_u32 v178, v4, v37, 0x7fff
                                        ; implicit-def: $vgpr4
; %bb.1973:                             ;   in Loop: Header=BB440_1190 Depth=1
	s_and_not1_saveexec_b32 s12, s0
; %bb.1974:                             ;   in Loop: Header=BB440_1190 Depth=1
	v_and_b32_e32 v37, 0xffff, v4
	v_or_b32_e32 v39, 0x10000, v4
	s_delay_alu instid0(VALU_DEP_2) | instskip(NEXT) | instid1(VALU_DEP_1)
	v_cmp_eq_u32_e64 s0, 0, v37
	v_cndmask_b32_e64 v178, v39, v4, s0
; %bb.1975:                             ;   in Loop: Header=BB440_1190 Depth=1
	s_or_b32 exec_lo, exec_lo, s12
	v_lshlrev_b32_e32 v4, 16, v5
                                        ; implicit-def: $vgpr179
	s_delay_alu instid0(VALU_DEP_1) | instskip(NEXT) | instid1(VALU_DEP_1)
	v_mul_f32_e32 v4, v99, v4
	v_and_b32_e32 v5, 0x7f800000, v4
	s_delay_alu instid0(VALU_DEP_1) | instskip(NEXT) | instid1(VALU_DEP_1)
	v_cmp_ne_u32_e64 s0, 0x7f800000, v5
	s_and_saveexec_b32 s12, s0
	s_delay_alu instid0(SALU_CYCLE_1)
	s_xor_b32 s0, exec_lo, s12
; %bb.1976:                             ;   in Loop: Header=BB440_1190 Depth=1
	v_bfe_u32 v5, v4, 16, 1
	s_delay_alu instid0(VALU_DEP_1)
	v_add3_u32 v179, v4, v5, 0x7fff
                                        ; implicit-def: $vgpr4
; %bb.1977:                             ;   in Loop: Header=BB440_1190 Depth=1
	s_and_not1_saveexec_b32 s12, s0
; %bb.1978:                             ;   in Loop: Header=BB440_1190 Depth=1
	v_and_b32_e32 v5, 0xffff, v4
	v_or_b32_e32 v37, 0x10000, v4
	s_delay_alu instid0(VALU_DEP_2) | instskip(NEXT) | instid1(VALU_DEP_1)
	v_cmp_eq_u32_e64 s0, 0, v5
	v_cndmask_b32_e64 v179, v37, v4, s0
; %bb.1979:                             ;   in Loop: Header=BB440_1190 Depth=1
	s_or_b32 exec_lo, exec_lo, s12
	v_lshlrev_b32_e32 v4, 16, v21
                                        ; implicit-def: $vgpr180
	s_delay_alu instid0(VALU_DEP_1) | instskip(NEXT) | instid1(VALU_DEP_1)
	v_mul_f32_e32 v4, v100, v4
	v_and_b32_e32 v5, 0x7f800000, v4
	s_delay_alu instid0(VALU_DEP_1) | instskip(NEXT) | instid1(VALU_DEP_1)
	v_cmp_ne_u32_e64 s0, 0x7f800000, v5
	s_and_saveexec_b32 s12, s0
	s_delay_alu instid0(SALU_CYCLE_1)
	s_xor_b32 s0, exec_lo, s12
; %bb.1980:                             ;   in Loop: Header=BB440_1190 Depth=1
	v_bfe_u32 v5, v4, 16, 1
	s_delay_alu instid0(VALU_DEP_1)
	v_add3_u32 v180, v4, v5, 0x7fff
                                        ; implicit-def: $vgpr4
; %bb.1981:                             ;   in Loop: Header=BB440_1190 Depth=1
	s_and_not1_saveexec_b32 s12, s0
; %bb.1982:                             ;   in Loop: Header=BB440_1190 Depth=1
	v_and_b32_e32 v5, 0xffff, v4
	v_or_b32_e32 v21, 0x10000, v4
	s_delay_alu instid0(VALU_DEP_2) | instskip(NEXT) | instid1(VALU_DEP_1)
	v_cmp_eq_u32_e64 s0, 0, v5
	v_cndmask_b32_e64 v180, v21, v4, s0
; %bb.1983:                             ;   in Loop: Header=BB440_1190 Depth=1
	s_or_b32 exec_lo, exec_lo, s12
	v_lshlrev_b32_e32 v4, 16, v9
                                        ; implicit-def: $vgpr181
	s_delay_alu instid0(VALU_DEP_1) | instskip(NEXT) | instid1(VALU_DEP_1)
	v_mul_f32_e32 v4, v101, v4
	v_and_b32_e32 v5, 0x7f800000, v4
	s_delay_alu instid0(VALU_DEP_1) | instskip(NEXT) | instid1(VALU_DEP_1)
	v_cmp_ne_u32_e64 s0, 0x7f800000, v5
	s_and_saveexec_b32 s12, s0
	s_delay_alu instid0(SALU_CYCLE_1)
	s_xor_b32 s0, exec_lo, s12
; %bb.1984:                             ;   in Loop: Header=BB440_1190 Depth=1
	v_bfe_u32 v5, v4, 16, 1
	s_delay_alu instid0(VALU_DEP_1)
	v_add3_u32 v181, v4, v5, 0x7fff
                                        ; implicit-def: $vgpr4
; %bb.1985:                             ;   in Loop: Header=BB440_1190 Depth=1
	s_and_not1_saveexec_b32 s12, s0
; %bb.1986:                             ;   in Loop: Header=BB440_1190 Depth=1
	v_and_b32_e32 v5, 0xffff, v4
	v_or_b32_e32 v9, 0x10000, v4
	s_delay_alu instid0(VALU_DEP_2) | instskip(NEXT) | instid1(VALU_DEP_1)
	v_cmp_eq_u32_e64 s0, 0, v5
	v_cndmask_b32_e64 v181, v9, v4, s0
; %bb.1987:                             ;   in Loop: Header=BB440_1190 Depth=1
	s_or_b32 exec_lo, exec_lo, s12
	v_lshlrev_b32_e32 v4, 16, v7
                                        ; implicit-def: $vgpr182
	s_delay_alu instid0(VALU_DEP_1) | instskip(NEXT) | instid1(VALU_DEP_1)
	v_mul_f32_e32 v4, v102, v4
	v_and_b32_e32 v5, 0x7f800000, v4
	s_delay_alu instid0(VALU_DEP_1) | instskip(NEXT) | instid1(VALU_DEP_1)
	v_cmp_ne_u32_e64 s0, 0x7f800000, v5
	s_and_saveexec_b32 s12, s0
	s_delay_alu instid0(SALU_CYCLE_1)
	s_xor_b32 s0, exec_lo, s12
; %bb.1988:                             ;   in Loop: Header=BB440_1190 Depth=1
	v_bfe_u32 v5, v4, 16, 1
	s_delay_alu instid0(VALU_DEP_1)
	v_add3_u32 v182, v4, v5, 0x7fff
                                        ; implicit-def: $vgpr4
; %bb.1989:                             ;   in Loop: Header=BB440_1190 Depth=1
	s_and_not1_saveexec_b32 s12, s0
; %bb.1990:                             ;   in Loop: Header=BB440_1190 Depth=1
	v_and_b32_e32 v5, 0xffff, v4
	v_or_b32_e32 v7, 0x10000, v4
	s_delay_alu instid0(VALU_DEP_2) | instskip(NEXT) | instid1(VALU_DEP_1)
	v_cmp_eq_u32_e64 s0, 0, v5
	v_cndmask_b32_e64 v182, v7, v4, s0
; %bb.1991:                             ;   in Loop: Header=BB440_1190 Depth=1
	s_or_b32 exec_lo, exec_lo, s12
	v_lshlrev_b32_e32 v4, 16, v6
                                        ; implicit-def: $vgpr183
	s_delay_alu instid0(VALU_DEP_1) | instskip(NEXT) | instid1(VALU_DEP_1)
	v_mul_f32_e32 v4, v103, v4
	v_and_b32_e32 v5, 0x7f800000, v4
	s_delay_alu instid0(VALU_DEP_1) | instskip(NEXT) | instid1(VALU_DEP_1)
	v_cmp_ne_u32_e64 s0, 0x7f800000, v5
	s_and_saveexec_b32 s12, s0
	s_delay_alu instid0(SALU_CYCLE_1)
	s_xor_b32 s0, exec_lo, s12
; %bb.1992:                             ;   in Loop: Header=BB440_1190 Depth=1
	v_bfe_u32 v5, v4, 16, 1
	s_delay_alu instid0(VALU_DEP_1)
	v_add3_u32 v183, v4, v5, 0x7fff
                                        ; implicit-def: $vgpr4
; %bb.1993:                             ;   in Loop: Header=BB440_1190 Depth=1
	s_and_not1_saveexec_b32 s12, s0
; %bb.1994:                             ;   in Loop: Header=BB440_1190 Depth=1
	v_and_b32_e32 v5, 0xffff, v4
	v_or_b32_e32 v6, 0x10000, v4
	s_delay_alu instid0(VALU_DEP_2) | instskip(NEXT) | instid1(VALU_DEP_1)
	v_cmp_eq_u32_e64 s0, 0, v5
	v_cndmask_b32_e64 v183, v6, v4, s0
; %bb.1995:                             ;   in Loop: Header=BB440_1190 Depth=1
	s_or_b32 exec_lo, exec_lo, s12
	v_lshlrev_b32_e32 v3, 16, v3
                                        ; implicit-def: $vgpr40
	s_delay_alu instid0(VALU_DEP_1) | instskip(NEXT) | instid1(VALU_DEP_1)
	v_mul_f32_e32 v3, v112, v3
	v_and_b32_e32 v4, 0x7f800000, v3
	s_delay_alu instid0(VALU_DEP_1) | instskip(NEXT) | instid1(VALU_DEP_1)
	v_cmp_ne_u32_e64 s0, 0x7f800000, v4
	s_and_saveexec_b32 s12, s0
	s_delay_alu instid0(SALU_CYCLE_1)
	s_xor_b32 s0, exec_lo, s12
; %bb.1996:                             ;   in Loop: Header=BB440_1190 Depth=1
	v_bfe_u32 v4, v3, 16, 1
	s_delay_alu instid0(VALU_DEP_1)
	v_add3_u32 v40, v3, v4, 0x7fff
                                        ; implicit-def: $vgpr3
; %bb.1997:                             ;   in Loop: Header=BB440_1190 Depth=1
	s_and_not1_saveexec_b32 s12, s0
; %bb.1998:                             ;   in Loop: Header=BB440_1190 Depth=1
	v_and_b32_e32 v4, 0xffff, v3
	v_or_b32_e32 v5, 0x10000, v3
	s_delay_alu instid0(VALU_DEP_2) | instskip(NEXT) | instid1(VALU_DEP_1)
	v_cmp_eq_u32_e64 s0, 0, v4
	v_cndmask_b32_e64 v40, v5, v3, s0
; %bb.1999:                             ;   in Loop: Header=BB440_1190 Depth=1
	s_or_b32 exec_lo, exec_lo, s12
	v_lshlrev_b32_e32 v2, 16, v2
                                        ; implicit-def: $vgpr41
	s_delay_alu instid0(VALU_DEP_1) | instskip(NEXT) | instid1(VALU_DEP_1)
	v_mul_f32_e32 v2, v113, v2
	v_and_b32_e32 v3, 0x7f800000, v2
	s_delay_alu instid0(VALU_DEP_1) | instskip(NEXT) | instid1(VALU_DEP_1)
	v_cmp_ne_u32_e64 s0, 0x7f800000, v3
	s_and_saveexec_b32 s12, s0
	s_delay_alu instid0(SALU_CYCLE_1)
	s_xor_b32 s0, exec_lo, s12
; %bb.2000:                             ;   in Loop: Header=BB440_1190 Depth=1
	v_bfe_u32 v3, v2, 16, 1
	s_delay_alu instid0(VALU_DEP_1)
	v_add3_u32 v41, v2, v3, 0x7fff
                                        ; implicit-def: $vgpr2
; %bb.2001:                             ;   in Loop: Header=BB440_1190 Depth=1
	s_and_not1_saveexec_b32 s12, s0
; %bb.2002:                             ;   in Loop: Header=BB440_1190 Depth=1
	v_and_b32_e32 v3, 0xffff, v2
	v_or_b32_e32 v4, 0x10000, v2
	s_delay_alu instid0(VALU_DEP_2) | instskip(NEXT) | instid1(VALU_DEP_1)
	v_cmp_eq_u32_e64 s0, 0, v3
	v_cndmask_b32_e64 v41, v4, v2, s0
; %bb.2003:                             ;   in Loop: Header=BB440_1190 Depth=1
	s_or_b32 exec_lo, exec_lo, s12
	flat_load_b64 v[2:3], v[0:1] offset:1536
	s_mov_b32 s12, exec_lo
	s_waitcnt vmcnt(0) lgkmcnt(0)
	v_dual_mov_b32 v4, 0 :: v_dual_and_b32 v5, 0xff, v2
	s_delay_alu instid0(VALU_DEP_1)
	v_cmpx_ne_u16_e32 0, v5
	s_cbranch_execz .LBB440_2011
; %bb.2004:                             ;   in Loop: Header=BB440_1190 Depth=1
	v_bfrev_b32_e32 v4, 1
	s_mov_b32 s13, exec_lo
	v_cmpx_ne_u16_e32 0x80, v5
	s_cbranch_execz .LBB440_2010
; %bb.2005:                             ;   in Loop: Header=BB440_1190 Depth=1
	v_and_b32_e32 v5, 0x7f, v2
	v_mov_b32_e32 v4, 0x7f800001
	s_mov_b32 s15, exec_lo
	s_delay_alu instid0(VALU_DEP_2)
	v_cmpx_ne_u32_e32 0x7f, v5
	s_cbranch_execz .LBB440_2009
; %bb.2006:                             ;   in Loop: Header=BB440_1190 Depth=1
	v_lshrrev_b32_e32 v4, 3, v5
	v_dual_mov_b32 v7, v3 :: v_dual_mov_b32 v6, v2
	s_mov_b32 s16, exec_lo
	v_cmpx_gt_u32_e32 8, v5
; %bb.2007:                             ;   in Loop: Header=BB440_1190 Depth=1
	v_and_b32_e32 v4, 7, v2
	s_delay_alu instid0(VALU_DEP_1) | instskip(NEXT) | instid1(VALU_DEP_1)
	v_clz_i32_u32_e32 v4, v4
	v_min_u32_e32 v4, 32, v4
	s_delay_alu instid0(VALU_DEP_1) | instskip(SKIP_1) | instid1(VALU_DEP_2)
	v_subrev_nc_u32_e32 v5, 28, v4
	v_sub_nc_u32_e32 v4, 29, v4
	v_lshlrev_b64 v[6:7], v5, v[2:3]
; %bb.2008:                             ;   in Loop: Header=BB440_1190 Depth=1
	s_or_b32 exec_lo, exec_lo, s16
	s_delay_alu instid0(VALU_DEP_1) | instskip(SKIP_2) | instid1(VALU_DEP_3)
	v_lshlrev_b32_e32 v5, 20, v6
	v_lshlrev_b32_e32 v6, 24, v2
	v_lshl_add_u32 v4, v4, 23, 0x3c000000
	v_and_b32_e32 v5, 0x700000, v5
	s_delay_alu instid0(VALU_DEP_3) | instskip(NEXT) | instid1(VALU_DEP_1)
	v_and_b32_e32 v6, 0x80000000, v6
	v_or3_b32 v4, v5, v6, v4
.LBB440_2009:                           ;   in Loop: Header=BB440_1190 Depth=1
	s_or_b32 exec_lo, exec_lo, s15
.LBB440_2010:                           ;   in Loop: Header=BB440_1190 Depth=1
	s_delay_alu instid0(SALU_CYCLE_1)
	s_or_b32 exec_lo, exec_lo, s13
.LBB440_2011:                           ;   in Loop: Header=BB440_1190 Depth=1
	s_delay_alu instid0(SALU_CYCLE_1) | instskip(NEXT) | instid1(VALU_DEP_1)
	s_or_b32 exec_lo, exec_lo, s12
	v_mul_f32_e32 v5, v8, v4
	s_delay_alu instid0(VALU_DEP_1) | instskip(NEXT) | instid1(VALU_DEP_1)
	v_and_b32_e32 v4, 0x7f800000, v5
	v_cmp_ne_u32_e64 s0, 0x7f800000, v4
                                        ; implicit-def: $vgpr4
	s_delay_alu instid0(VALU_DEP_1) | instskip(NEXT) | instid1(SALU_CYCLE_1)
	s_and_saveexec_b32 s12, s0
	s_xor_b32 s0, exec_lo, s12
; %bb.2012:                             ;   in Loop: Header=BB440_1190 Depth=1
	v_bfe_u32 v4, v5, 16, 1
	s_delay_alu instid0(VALU_DEP_1)
	v_add3_u32 v4, v5, v4, 0x7fff
                                        ; implicit-def: $vgpr5
; %bb.2013:                             ;   in Loop: Header=BB440_1190 Depth=1
	s_and_not1_saveexec_b32 s12, s0
; %bb.2014:                             ;   in Loop: Header=BB440_1190 Depth=1
	v_and_b32_e32 v4, 0xffff, v5
	v_or_b32_e32 v6, 0x10000, v5
	s_delay_alu instid0(VALU_DEP_2) | instskip(NEXT) | instid1(VALU_DEP_1)
	v_cmp_eq_u32_e64 s0, 0, v4
	v_cndmask_b32_e64 v4, v6, v5, s0
; %bb.2015:                             ;   in Loop: Header=BB440_1190 Depth=1
	s_or_b32 exec_lo, exec_lo, s12
	v_lshrrev_b16 v6, 8, v2
	v_mov_b32_e32 v5, 0
	s_mov_b32 s12, exec_lo
	s_delay_alu instid0(VALU_DEP_2)
	v_cmpx_ne_u16_e32 0, v6
	s_cbranch_execz .LBB440_2023
; %bb.2016:                             ;   in Loop: Header=BB440_1190 Depth=1
	v_bfrev_b32_e32 v5, 1
	s_mov_b32 s13, exec_lo
	v_cmpx_ne_u16_e32 0x80, v6
	s_cbranch_execz .LBB440_2022
; %bb.2017:                             ;   in Loop: Header=BB440_1190 Depth=1
	v_and_b32_e32 v7, 0xffff, v6
	v_mov_b32_e32 v5, 0x7f800001
	s_mov_b32 s15, exec_lo
	s_delay_alu instid0(VALU_DEP_2) | instskip(NEXT) | instid1(VALU_DEP_1)
	v_and_b32_e32 v6, 0x7f, v7
	v_cmpx_ne_u32_e32 0x7f, v6
	s_cbranch_execz .LBB440_2021
; %bb.2018:                             ;   in Loop: Header=BB440_1190 Depth=1
	v_and_b32_e32 v9, 7, v7
	v_lshrrev_b32_e32 v5, 3, v6
	v_cmp_gt_u32_e64 s0, 8, v6
	s_delay_alu instid0(VALU_DEP_3) | instskip(NEXT) | instid1(VALU_DEP_2)
	v_dual_mov_b32 v6, v9 :: v_dual_mov_b32 v7, v10
	s_and_saveexec_b32 s16, s0
; %bb.2019:                             ;   in Loop: Header=BB440_1190 Depth=1
	v_clz_i32_u32_e32 v5, v9
	s_delay_alu instid0(VALU_DEP_1) | instskip(NEXT) | instid1(VALU_DEP_1)
	v_min_u32_e32 v5, 32, v5
	v_subrev_nc_u32_e32 v6, 28, v5
	v_sub_nc_u32_e32 v5, 29, v5
	s_delay_alu instid0(VALU_DEP_2) | instskip(NEXT) | instid1(VALU_DEP_1)
	v_lshlrev_b64 v[6:7], v6, v[9:10]
	v_and_b32_e32 v6, 7, v6
; %bb.2020:                             ;   in Loop: Header=BB440_1190 Depth=1
	s_or_b32 exec_lo, exec_lo, s16
	v_lshlrev_b32_e32 v7, 16, v2
	s_delay_alu instid0(VALU_DEP_2) | instskip(SKIP_1) | instid1(VALU_DEP_3)
	v_lshlrev_b32_e32 v6, 20, v6
	v_lshl_add_u32 v5, v5, 23, 0x3c000000
	v_and_b32_e32 v7, 0x80000000, v7
	s_delay_alu instid0(VALU_DEP_1)
	v_or3_b32 v5, v6, v7, v5
.LBB440_2021:                           ;   in Loop: Header=BB440_1190 Depth=1
	s_or_b32 exec_lo, exec_lo, s15
.LBB440_2022:                           ;   in Loop: Header=BB440_1190 Depth=1
	s_delay_alu instid0(SALU_CYCLE_1)
	s_or_b32 exec_lo, exec_lo, s13
.LBB440_2023:                           ;   in Loop: Header=BB440_1190 Depth=1
	s_delay_alu instid0(SALU_CYCLE_1) | instskip(NEXT) | instid1(VALU_DEP_1)
	s_or_b32 exec_lo, exec_lo, s12
	v_mul_f32_e32 v6, v8, v5
	s_delay_alu instid0(VALU_DEP_1) | instskip(NEXT) | instid1(VALU_DEP_1)
	v_and_b32_e32 v5, 0x7f800000, v6
	v_cmp_ne_u32_e64 s0, 0x7f800000, v5
                                        ; implicit-def: $vgpr5
	s_delay_alu instid0(VALU_DEP_1) | instskip(NEXT) | instid1(SALU_CYCLE_1)
	s_and_saveexec_b32 s12, s0
	s_xor_b32 s0, exec_lo, s12
; %bb.2024:                             ;   in Loop: Header=BB440_1190 Depth=1
	v_bfe_u32 v5, v6, 16, 1
	s_delay_alu instid0(VALU_DEP_1)
	v_add3_u32 v5, v6, v5, 0x7fff
                                        ; implicit-def: $vgpr6
; %bb.2025:                             ;   in Loop: Header=BB440_1190 Depth=1
	s_and_not1_saveexec_b32 s12, s0
; %bb.2026:                             ;   in Loop: Header=BB440_1190 Depth=1
	v_and_b32_e32 v5, 0xffff, v6
	v_or_b32_e32 v7, 0x10000, v6
	s_delay_alu instid0(VALU_DEP_2) | instskip(NEXT) | instid1(VALU_DEP_1)
	v_cmp_eq_u32_e64 s0, 0, v5
	v_cndmask_b32_e64 v5, v7, v6, s0
; %bb.2027:                             ;   in Loop: Header=BB440_1190 Depth=1
	s_or_b32 exec_lo, exec_lo, s12
	v_lshrrev_b32_e32 v21, 16, v2
	s_mov_b32 s12, exec_lo
	s_delay_alu instid0(VALU_DEP_1) | instskip(NEXT) | instid1(VALU_DEP_1)
	v_dual_mov_b32 v6, 0 :: v_dual_and_b32 v7, 0xff, v21
	v_cmpx_ne_u16_e32 0, v7
	s_cbranch_execz .LBB440_2035
; %bb.2028:                             ;   in Loop: Header=BB440_1190 Depth=1
	v_bfrev_b32_e32 v6, 1
	s_mov_b32 s13, exec_lo
	v_cmpx_ne_u16_e32 0x80, v7
	s_cbranch_execz .LBB440_2034
; %bb.2029:                             ;   in Loop: Header=BB440_1190 Depth=1
	v_bfe_u32 v7, v2, 16, 7
	v_mov_b32_e32 v6, 0x7f800001
	s_mov_b32 s15, exec_lo
	s_delay_alu instid0(VALU_DEP_2)
	v_cmpx_ne_u32_e32 0x7f, v7
	s_cbranch_execz .LBB440_2033
; %bb.2030:                             ;   in Loop: Header=BB440_1190 Depth=1
	v_and_b32_e32 v9, 7, v21
	v_lshrrev_b32_e32 v37, 3, v7
	v_cmp_gt_u32_e64 s0, 8, v7
	s_delay_alu instid0(VALU_DEP_3) | instskip(NEXT) | instid1(VALU_DEP_2)
	v_dual_mov_b32 v6, v9 :: v_dual_mov_b32 v7, v10
	s_and_saveexec_b32 s16, s0
; %bb.2031:                             ;   in Loop: Header=BB440_1190 Depth=1
	v_clz_i32_u32_e32 v6, v9
	s_delay_alu instid0(VALU_DEP_1) | instskip(NEXT) | instid1(VALU_DEP_1)
	v_min_u32_e32 v37, 32, v6
	v_subrev_nc_u32_e32 v6, 28, v37
	v_sub_nc_u32_e32 v37, 29, v37
	s_delay_alu instid0(VALU_DEP_2) | instskip(NEXT) | instid1(VALU_DEP_1)
	v_lshlrev_b64 v[6:7], v6, v[9:10]
	v_and_b32_e32 v6, 7, v6
; %bb.2032:                             ;   in Loop: Header=BB440_1190 Depth=1
	s_or_b32 exec_lo, exec_lo, s16
	v_lshlrev_b32_e32 v7, 24, v21
	s_delay_alu instid0(VALU_DEP_2) | instskip(SKIP_1) | instid1(VALU_DEP_3)
	v_lshlrev_b32_e32 v6, 20, v6
	v_lshl_add_u32 v9, v37, 23, 0x3c000000
	v_and_b32_e32 v7, 0x80000000, v7
	s_delay_alu instid0(VALU_DEP_1)
	v_or3_b32 v6, v6, v7, v9
.LBB440_2033:                           ;   in Loop: Header=BB440_1190 Depth=1
	s_or_b32 exec_lo, exec_lo, s15
.LBB440_2034:                           ;   in Loop: Header=BB440_1190 Depth=1
	s_delay_alu instid0(SALU_CYCLE_1)
	s_or_b32 exec_lo, exec_lo, s13
.LBB440_2035:                           ;   in Loop: Header=BB440_1190 Depth=1
	s_delay_alu instid0(SALU_CYCLE_1) | instskip(NEXT) | instid1(VALU_DEP_1)
	s_or_b32 exec_lo, exec_lo, s12
	v_mul_f32_e32 v6, v8, v6
                                        ; implicit-def: $vgpr21
	s_delay_alu instid0(VALU_DEP_1) | instskip(NEXT) | instid1(VALU_DEP_1)
	v_and_b32_e32 v7, 0x7f800000, v6
	v_cmp_ne_u32_e64 s0, 0x7f800000, v7
	s_delay_alu instid0(VALU_DEP_1) | instskip(NEXT) | instid1(SALU_CYCLE_1)
	s_and_saveexec_b32 s12, s0
	s_xor_b32 s0, exec_lo, s12
; %bb.2036:                             ;   in Loop: Header=BB440_1190 Depth=1
	v_bfe_u32 v7, v6, 16, 1
	s_delay_alu instid0(VALU_DEP_1)
	v_add3_u32 v21, v6, v7, 0x7fff
                                        ; implicit-def: $vgpr6
; %bb.2037:                             ;   in Loop: Header=BB440_1190 Depth=1
	s_and_not1_saveexec_b32 s12, s0
; %bb.2038:                             ;   in Loop: Header=BB440_1190 Depth=1
	v_and_b32_e32 v7, 0xffff, v6
	v_or_b32_e32 v9, 0x10000, v6
	s_delay_alu instid0(VALU_DEP_2) | instskip(NEXT) | instid1(VALU_DEP_1)
	v_cmp_eq_u32_e64 s0, 0, v7
	v_cndmask_b32_e64 v21, v9, v6, s0
; %bb.2039:                             ;   in Loop: Header=BB440_1190 Depth=1
	s_or_b32 exec_lo, exec_lo, s12
	v_mov_b32_e32 v6, 0
	s_mov_b32 s12, exec_lo
	v_cmpx_lt_u32_e32 0xffffff, v2
	s_cbranch_execz .LBB440_2047
; %bb.2040:                             ;   in Loop: Header=BB440_1190 Depth=1
	v_lshrrev_b32_e32 v37, 24, v2
	v_bfrev_b32_e32 v6, 1
	s_mov_b32 s13, exec_lo
	s_delay_alu instid0(VALU_DEP_2)
	v_cmpx_ne_u32_e32 0x80, v37
	s_cbranch_execz .LBB440_2046
; %bb.2041:                             ;   in Loop: Header=BB440_1190 Depth=1
	v_bfe_u32 v7, v2, 24, 7
	v_mov_b32_e32 v6, 0x7f800001
	s_mov_b32 s15, exec_lo
	s_delay_alu instid0(VALU_DEP_2)
	v_cmpx_ne_u32_e32 0x7f, v7
	s_cbranch_execz .LBB440_2045
; %bb.2042:                             ;   in Loop: Header=BB440_1190 Depth=1
	v_and_b32_e32 v9, 7, v37
	v_lshrrev_b32_e32 v39, 3, v7
	v_cmp_gt_u32_e64 s0, 8, v7
	s_delay_alu instid0(VALU_DEP_3) | instskip(NEXT) | instid1(VALU_DEP_2)
	v_dual_mov_b32 v6, v9 :: v_dual_mov_b32 v7, v10
	s_and_saveexec_b32 s16, s0
; %bb.2043:                             ;   in Loop: Header=BB440_1190 Depth=1
	v_clz_i32_u32_e32 v6, v9
	s_delay_alu instid0(VALU_DEP_1) | instskip(NEXT) | instid1(VALU_DEP_1)
	v_min_u32_e32 v39, 32, v6
	v_subrev_nc_u32_e32 v6, 28, v39
	v_sub_nc_u32_e32 v39, 29, v39
	s_delay_alu instid0(VALU_DEP_2) | instskip(NEXT) | instid1(VALU_DEP_1)
	v_lshlrev_b64 v[6:7], v6, v[9:10]
	v_and_b32_e32 v6, 7, v6
; %bb.2044:                             ;   in Loop: Header=BB440_1190 Depth=1
	s_or_b32 exec_lo, exec_lo, s16
	v_lshlrev_b32_e32 v7, 24, v37
	s_delay_alu instid0(VALU_DEP_2) | instskip(SKIP_1) | instid1(VALU_DEP_3)
	v_lshlrev_b32_e32 v6, 20, v6
	v_lshl_add_u32 v9, v39, 23, 0x3c000000
	v_and_b32_e32 v7, 0x80000000, v7
	s_delay_alu instid0(VALU_DEP_1)
	v_or3_b32 v6, v6, v7, v9
.LBB440_2045:                           ;   in Loop: Header=BB440_1190 Depth=1
	s_or_b32 exec_lo, exec_lo, s15
.LBB440_2046:                           ;   in Loop: Header=BB440_1190 Depth=1
	s_delay_alu instid0(SALU_CYCLE_1)
	s_or_b32 exec_lo, exec_lo, s13
.LBB440_2047:                           ;   in Loop: Header=BB440_1190 Depth=1
	s_delay_alu instid0(SALU_CYCLE_1) | instskip(NEXT) | instid1(VALU_DEP_1)
	s_or_b32 exec_lo, exec_lo, s12
	v_mul_f32_e32 v6, v8, v6
                                        ; implicit-def: $vgpr37
	s_delay_alu instid0(VALU_DEP_1) | instskip(NEXT) | instid1(VALU_DEP_1)
	v_and_b32_e32 v7, 0x7f800000, v6
	v_cmp_ne_u32_e64 s0, 0x7f800000, v7
	s_delay_alu instid0(VALU_DEP_1) | instskip(NEXT) | instid1(SALU_CYCLE_1)
	s_and_saveexec_b32 s12, s0
	s_xor_b32 s0, exec_lo, s12
; %bb.2048:                             ;   in Loop: Header=BB440_1190 Depth=1
	v_bfe_u32 v7, v6, 16, 1
	s_delay_alu instid0(VALU_DEP_1)
	v_add3_u32 v37, v6, v7, 0x7fff
                                        ; implicit-def: $vgpr6
; %bb.2049:                             ;   in Loop: Header=BB440_1190 Depth=1
	s_and_not1_saveexec_b32 s12, s0
; %bb.2050:                             ;   in Loop: Header=BB440_1190 Depth=1
	v_and_b32_e32 v7, 0xffff, v6
	v_or_b32_e32 v9, 0x10000, v6
	s_delay_alu instid0(VALU_DEP_2) | instskip(NEXT) | instid1(VALU_DEP_1)
	v_cmp_eq_u32_e64 s0, 0, v7
	v_cndmask_b32_e64 v37, v9, v6, s0
; %bb.2051:                             ;   in Loop: Header=BB440_1190 Depth=1
	s_or_b32 exec_lo, exec_lo, s12
	v_dual_mov_b32 v6, 0 :: v_dual_and_b32 v7, 0xff, v3
	v_mov_b32_e32 v9, v3
	s_mov_b32 s12, exec_lo
	s_delay_alu instid0(VALU_DEP_2)
	v_cmpx_ne_u16_e32 0, v7
	s_cbranch_execz .LBB440_2059
; %bb.2052:                             ;   in Loop: Header=BB440_1190 Depth=1
	v_bfrev_b32_e32 v6, 1
	s_mov_b32 s13, exec_lo
	v_cmpx_ne_u16_e32 0x80, v7
	s_cbranch_execz .LBB440_2058
; %bb.2053:                             ;   in Loop: Header=BB440_1190 Depth=1
	v_and_b32_e32 v7, 0x7f, v3
	v_mov_b32_e32 v6, 0x7f800001
	s_mov_b32 s15, exec_lo
	s_delay_alu instid0(VALU_DEP_2)
	v_cmpx_ne_u32_e32 0x7f, v7
	s_cbranch_execz .LBB440_2057
; %bb.2054:                             ;   in Loop: Header=BB440_1190 Depth=1
	v_lshrrev_b32_e32 v39, 3, v7
	v_cmp_gt_u32_e64 s0, 8, v7
	v_dual_mov_b32 v6, v9 :: v_dual_mov_b32 v7, v10
	s_delay_alu instid0(VALU_DEP_2)
	s_and_saveexec_b32 s16, s0
; %bb.2055:                             ;   in Loop: Header=BB440_1190 Depth=1
	v_and_b32_e32 v6, 7, v3
	s_delay_alu instid0(VALU_DEP_1) | instskip(NEXT) | instid1(VALU_DEP_1)
	v_clz_i32_u32_e32 v6, v6
	v_min_u32_e32 v39, 32, v6
	s_delay_alu instid0(VALU_DEP_1) | instskip(SKIP_1) | instid1(VALU_DEP_2)
	v_subrev_nc_u32_e32 v6, 28, v39
	v_sub_nc_u32_e32 v39, 29, v39
	v_lshlrev_b64 v[6:7], v6, v[9:10]
; %bb.2056:                             ;   in Loop: Header=BB440_1190 Depth=1
	s_or_b32 exec_lo, exec_lo, s16
	s_delay_alu instid0(VALU_DEP_1) | instskip(SKIP_2) | instid1(VALU_DEP_3)
	v_lshlrev_b32_e32 v6, 20, v6
	v_lshlrev_b32_e32 v7, 24, v9
	v_lshl_add_u32 v39, v39, 23, 0x3c000000
	v_and_b32_e32 v6, 0x700000, v6
	s_delay_alu instid0(VALU_DEP_3) | instskip(NEXT) | instid1(VALU_DEP_1)
	v_and_b32_e32 v7, 0x80000000, v7
	v_or3_b32 v6, v6, v7, v39
.LBB440_2057:                           ;   in Loop: Header=BB440_1190 Depth=1
	s_or_b32 exec_lo, exec_lo, s15
.LBB440_2058:                           ;   in Loop: Header=BB440_1190 Depth=1
	s_delay_alu instid0(SALU_CYCLE_1)
	s_or_b32 exec_lo, exec_lo, s13
.LBB440_2059:                           ;   in Loop: Header=BB440_1190 Depth=1
	s_delay_alu instid0(SALU_CYCLE_1) | instskip(NEXT) | instid1(VALU_DEP_1)
	s_or_b32 exec_lo, exec_lo, s12
	v_mul_f32_e32 v6, v8, v6
                                        ; implicit-def: $vgpr39
	s_delay_alu instid0(VALU_DEP_1) | instskip(NEXT) | instid1(VALU_DEP_1)
	v_and_b32_e32 v7, 0x7f800000, v6
	v_cmp_ne_u32_e64 s0, 0x7f800000, v7
	s_delay_alu instid0(VALU_DEP_1) | instskip(NEXT) | instid1(SALU_CYCLE_1)
	s_and_saveexec_b32 s12, s0
	s_xor_b32 s0, exec_lo, s12
; %bb.2060:                             ;   in Loop: Header=BB440_1190 Depth=1
	v_bfe_u32 v7, v6, 16, 1
	s_delay_alu instid0(VALU_DEP_1)
	v_add3_u32 v39, v6, v7, 0x7fff
                                        ; implicit-def: $vgpr6
; %bb.2061:                             ;   in Loop: Header=BB440_1190 Depth=1
	s_and_not1_saveexec_b32 s12, s0
; %bb.2062:                             ;   in Loop: Header=BB440_1190 Depth=1
	v_and_b32_e32 v7, 0xffff, v6
	v_or_b32_e32 v39, 0x10000, v6
	s_delay_alu instid0(VALU_DEP_2) | instskip(NEXT) | instid1(VALU_DEP_1)
	v_cmp_eq_u32_e64 s0, 0, v7
	v_cndmask_b32_e64 v39, v39, v6, s0
; %bb.2063:                             ;   in Loop: Header=BB440_1190 Depth=1
	s_or_b32 exec_lo, exec_lo, s12
	v_lshrrev_b16 v7, 8, v9
	v_mov_b32_e32 v6, 0
	s_mov_b32 s12, exec_lo
	s_delay_alu instid0(VALU_DEP_2)
	v_cmpx_ne_u16_e32 0, v7
	s_cbranch_execz .LBB440_2071
; %bb.2064:                             ;   in Loop: Header=BB440_1190 Depth=1
	v_bfrev_b32_e32 v6, 1
	s_mov_b32 s13, exec_lo
	v_cmpx_ne_u16_e32 0x80, v7
	s_cbranch_execz .LBB440_2070
; %bb.2065:                             ;   in Loop: Header=BB440_1190 Depth=1
	v_and_b32_e32 v7, 0xffff, v7
	v_mov_b32_e32 v6, 0x7f800001
	s_mov_b32 s15, exec_lo
	s_delay_alu instid0(VALU_DEP_2) | instskip(NEXT) | instid1(VALU_DEP_1)
	v_and_b32_e32 v43, 0x7f, v7
	v_cmpx_ne_u32_e32 0x7f, v43
	s_cbranch_execz .LBB440_2069
; %bb.2066:                             ;   in Loop: Header=BB440_1190 Depth=1
	v_dual_mov_b32 v7, v10 :: v_dual_and_b32 v6, 7, v7
	v_lshrrev_b32_e32 v42, 3, v43
	s_mov_b32 s16, exec_lo
	v_cmpx_gt_u32_e32 8, v43
; %bb.2067:                             ;   in Loop: Header=BB440_1190 Depth=1
	s_delay_alu instid0(VALU_DEP_3) | instskip(NEXT) | instid1(VALU_DEP_1)
	v_clz_i32_u32_e32 v42, v6
	v_min_u32_e32 v42, 32, v42
	s_delay_alu instid0(VALU_DEP_1) | instskip(SKIP_1) | instid1(VALU_DEP_2)
	v_subrev_nc_u32_e32 v43, 28, v42
	v_sub_nc_u32_e32 v42, 29, v42
	v_lshlrev_b64 v[6:7], v43, v[6:7]
	s_delay_alu instid0(VALU_DEP_1)
	v_and_b32_e32 v6, 7, v6
; %bb.2068:                             ;   in Loop: Header=BB440_1190 Depth=1
	s_or_b32 exec_lo, exec_lo, s16
	v_lshlrev_b32_e32 v7, 16, v9
	s_delay_alu instid0(VALU_DEP_2) | instskip(SKIP_1) | instid1(VALU_DEP_3)
	v_lshlrev_b32_e32 v6, 20, v6
	v_lshl_add_u32 v9, v42, 23, 0x3c000000
	v_and_b32_e32 v7, 0x80000000, v7
	s_delay_alu instid0(VALU_DEP_1)
	v_or3_b32 v6, v6, v7, v9
.LBB440_2069:                           ;   in Loop: Header=BB440_1190 Depth=1
	s_or_b32 exec_lo, exec_lo, s15
.LBB440_2070:                           ;   in Loop: Header=BB440_1190 Depth=1
	s_delay_alu instid0(SALU_CYCLE_1)
	s_or_b32 exec_lo, exec_lo, s13
.LBB440_2071:                           ;   in Loop: Header=BB440_1190 Depth=1
	s_delay_alu instid0(SALU_CYCLE_1) | instskip(NEXT) | instid1(VALU_DEP_1)
	s_or_b32 exec_lo, exec_lo, s12
	v_mul_f32_e32 v6, v8, v6
                                        ; implicit-def: $vgpr42
	s_delay_alu instid0(VALU_DEP_1) | instskip(NEXT) | instid1(VALU_DEP_1)
	v_and_b32_e32 v7, 0x7f800000, v6
	v_cmp_ne_u32_e64 s0, 0x7f800000, v7
	s_delay_alu instid0(VALU_DEP_1) | instskip(NEXT) | instid1(SALU_CYCLE_1)
	s_and_saveexec_b32 s12, s0
	s_xor_b32 s0, exec_lo, s12
; %bb.2072:                             ;   in Loop: Header=BB440_1190 Depth=1
	v_bfe_u32 v7, v6, 16, 1
	s_delay_alu instid0(VALU_DEP_1)
	v_add3_u32 v42, v6, v7, 0x7fff
                                        ; implicit-def: $vgpr6
; %bb.2073:                             ;   in Loop: Header=BB440_1190 Depth=1
	s_and_not1_saveexec_b32 s12, s0
; %bb.2074:                             ;   in Loop: Header=BB440_1190 Depth=1
	v_and_b32_e32 v7, 0xffff, v6
	v_or_b32_e32 v9, 0x10000, v6
	s_delay_alu instid0(VALU_DEP_2) | instskip(NEXT) | instid1(VALU_DEP_1)
	v_cmp_eq_u32_e64 s0, 0, v7
	v_cndmask_b32_e64 v42, v9, v6, s0
; %bb.2075:                             ;   in Loop: Header=BB440_1190 Depth=1
	s_or_b32 exec_lo, exec_lo, s12
	v_lshrrev_b32_e32 v43, 16, v3
	s_mov_b32 s12, exec_lo
	s_delay_alu instid0(VALU_DEP_1) | instskip(NEXT) | instid1(VALU_DEP_1)
	v_dual_mov_b32 v6, 0 :: v_dual_and_b32 v7, 0xff, v43
	v_cmpx_ne_u16_e32 0, v7
	s_cbranch_execz .LBB440_2083
; %bb.2076:                             ;   in Loop: Header=BB440_1190 Depth=1
	v_bfrev_b32_e32 v6, 1
	s_mov_b32 s13, exec_lo
	v_cmpx_ne_u16_e32 0x80, v7
	s_cbranch_execz .LBB440_2082
; %bb.2077:                             ;   in Loop: Header=BB440_1190 Depth=1
	v_bfe_u32 v7, v3, 16, 7
	v_mov_b32_e32 v6, 0x7f800001
	s_mov_b32 s15, exec_lo
	s_delay_alu instid0(VALU_DEP_2)
	v_cmpx_ne_u32_e32 0x7f, v7
	s_cbranch_execz .LBB440_2081
; %bb.2078:                             ;   in Loop: Header=BB440_1190 Depth=1
	v_and_b32_e32 v9, 7, v43
	v_lshrrev_b32_e32 v44, 3, v7
	v_cmp_gt_u32_e64 s0, 8, v7
	s_delay_alu instid0(VALU_DEP_3) | instskip(NEXT) | instid1(VALU_DEP_2)
	v_dual_mov_b32 v6, v9 :: v_dual_mov_b32 v7, v10
	s_and_saveexec_b32 s16, s0
; %bb.2079:                             ;   in Loop: Header=BB440_1190 Depth=1
	v_clz_i32_u32_e32 v6, v9
	s_delay_alu instid0(VALU_DEP_1) | instskip(NEXT) | instid1(VALU_DEP_1)
	v_min_u32_e32 v44, 32, v6
	v_subrev_nc_u32_e32 v6, 28, v44
	v_sub_nc_u32_e32 v44, 29, v44
	s_delay_alu instid0(VALU_DEP_2) | instskip(NEXT) | instid1(VALU_DEP_1)
	v_lshlrev_b64 v[6:7], v6, v[9:10]
	v_and_b32_e32 v6, 7, v6
; %bb.2080:                             ;   in Loop: Header=BB440_1190 Depth=1
	s_or_b32 exec_lo, exec_lo, s16
	v_lshlrev_b32_e32 v7, 24, v43
	s_delay_alu instid0(VALU_DEP_2) | instskip(SKIP_1) | instid1(VALU_DEP_3)
	v_lshlrev_b32_e32 v6, 20, v6
	v_lshl_add_u32 v9, v44, 23, 0x3c000000
	v_and_b32_e32 v7, 0x80000000, v7
	s_delay_alu instid0(VALU_DEP_1)
	v_or3_b32 v6, v6, v7, v9
.LBB440_2081:                           ;   in Loop: Header=BB440_1190 Depth=1
	s_or_b32 exec_lo, exec_lo, s15
.LBB440_2082:                           ;   in Loop: Header=BB440_1190 Depth=1
	s_delay_alu instid0(SALU_CYCLE_1)
	s_or_b32 exec_lo, exec_lo, s13
.LBB440_2083:                           ;   in Loop: Header=BB440_1190 Depth=1
	s_delay_alu instid0(SALU_CYCLE_1) | instskip(NEXT) | instid1(VALU_DEP_1)
	s_or_b32 exec_lo, exec_lo, s12
	v_mul_f32_e32 v6, v8, v6
                                        ; implicit-def: $vgpr43
	s_delay_alu instid0(VALU_DEP_1) | instskip(NEXT) | instid1(VALU_DEP_1)
	v_and_b32_e32 v7, 0x7f800000, v6
	v_cmp_ne_u32_e64 s0, 0x7f800000, v7
	s_delay_alu instid0(VALU_DEP_1) | instskip(NEXT) | instid1(SALU_CYCLE_1)
	s_and_saveexec_b32 s12, s0
	s_xor_b32 s0, exec_lo, s12
; %bb.2084:                             ;   in Loop: Header=BB440_1190 Depth=1
	v_bfe_u32 v7, v6, 16, 1
	s_delay_alu instid0(VALU_DEP_1)
	v_add3_u32 v43, v6, v7, 0x7fff
                                        ; implicit-def: $vgpr6
; %bb.2085:                             ;   in Loop: Header=BB440_1190 Depth=1
	s_and_not1_saveexec_b32 s12, s0
; %bb.2086:                             ;   in Loop: Header=BB440_1190 Depth=1
	v_and_b32_e32 v7, 0xffff, v6
	v_or_b32_e32 v9, 0x10000, v6
	s_delay_alu instid0(VALU_DEP_2) | instskip(NEXT) | instid1(VALU_DEP_1)
	v_cmp_eq_u32_e64 s0, 0, v7
	v_cndmask_b32_e64 v43, v9, v6, s0
; %bb.2087:                             ;   in Loop: Header=BB440_1190 Depth=1
	s_or_b32 exec_lo, exec_lo, s12
	v_cmp_lt_u64_e64 s0, s[8:9], v[2:3]
	v_mov_b32_e32 v2, 0
	s_delay_alu instid0(VALU_DEP_2)
	s_and_saveexec_b32 s12, s0
	s_cbranch_execz .LBB440_2095
; %bb.2088:                             ;   in Loop: Header=BB440_1190 Depth=1
	v_lshrrev_b32_e32 v6, 24, v3
	v_bfrev_b32_e32 v2, 1
	s_mov_b32 s13, exec_lo
	s_delay_alu instid0(VALU_DEP_2)
	v_cmpx_ne_u32_e32 0x80, v6
	s_cbranch_execz .LBB440_2094
; %bb.2089:                             ;   in Loop: Header=BB440_1190 Depth=1
	v_bfe_u32 v3, v3, 24, 7
	v_mov_b32_e32 v2, 0x7f800001
	s_mov_b32 s15, exec_lo
	s_delay_alu instid0(VALU_DEP_2)
	v_cmpx_ne_u32_e32 0x7f, v3
	s_cbranch_execz .LBB440_2093
; %bb.2090:                             ;   in Loop: Header=BB440_1190 Depth=1
	v_and_b32_e32 v9, 7, v6
	v_lshrrev_b32_e32 v7, 3, v3
	v_cmp_gt_u32_e64 s0, 8, v3
	s_delay_alu instid0(VALU_DEP_3) | instskip(NEXT) | instid1(VALU_DEP_2)
	v_dual_mov_b32 v2, v9 :: v_dual_mov_b32 v3, v10
	s_and_saveexec_b32 s16, s0
; %bb.2091:                             ;   in Loop: Header=BB440_1190 Depth=1
	v_clz_i32_u32_e32 v2, v9
	s_delay_alu instid0(VALU_DEP_1) | instskip(NEXT) | instid1(VALU_DEP_1)
	v_min_u32_e32 v7, 32, v2
	v_subrev_nc_u32_e32 v2, 28, v7
	v_sub_nc_u32_e32 v7, 29, v7
	s_delay_alu instid0(VALU_DEP_2) | instskip(NEXT) | instid1(VALU_DEP_1)
	v_lshlrev_b64 v[2:3], v2, v[9:10]
	v_and_b32_e32 v2, 7, v2
; %bb.2092:                             ;   in Loop: Header=BB440_1190 Depth=1
	s_or_b32 exec_lo, exec_lo, s16
	v_lshlrev_b32_e32 v3, 24, v6
	s_delay_alu instid0(VALU_DEP_2) | instskip(SKIP_1) | instid1(VALU_DEP_3)
	v_lshlrev_b32_e32 v2, 20, v2
	v_lshl_add_u32 v6, v7, 23, 0x3c000000
	v_and_b32_e32 v3, 0x80000000, v3
	s_delay_alu instid0(VALU_DEP_1)
	v_or3_b32 v2, v2, v3, v6
.LBB440_2093:                           ;   in Loop: Header=BB440_1190 Depth=1
	s_or_b32 exec_lo, exec_lo, s15
.LBB440_2094:                           ;   in Loop: Header=BB440_1190 Depth=1
	s_delay_alu instid0(SALU_CYCLE_1)
	s_or_b32 exec_lo, exec_lo, s13
.LBB440_2095:                           ;   in Loop: Header=BB440_1190 Depth=1
	s_delay_alu instid0(SALU_CYCLE_1) | instskip(NEXT) | instid1(VALU_DEP_1)
	s_or_b32 exec_lo, exec_lo, s12
	v_mul_f32_e32 v3, v8, v2
	s_delay_alu instid0(VALU_DEP_1) | instskip(NEXT) | instid1(VALU_DEP_1)
	v_and_b32_e32 v2, 0x7f800000, v3
	v_cmp_ne_u32_e64 s0, 0x7f800000, v2
                                        ; implicit-def: $vgpr2
	s_delay_alu instid0(VALU_DEP_1) | instskip(NEXT) | instid1(SALU_CYCLE_1)
	s_and_saveexec_b32 s12, s0
	s_xor_b32 s0, exec_lo, s12
; %bb.2096:                             ;   in Loop: Header=BB440_1190 Depth=1
	v_bfe_u32 v2, v3, 16, 1
	s_delay_alu instid0(VALU_DEP_1)
	v_add3_u32 v2, v3, v2, 0x7fff
                                        ; implicit-def: $vgpr3
; %bb.2097:                             ;   in Loop: Header=BB440_1190 Depth=1
	s_and_not1_saveexec_b32 s12, s0
; %bb.2098:                             ;   in Loop: Header=BB440_1190 Depth=1
	v_and_b32_e32 v2, 0xffff, v3
	v_or_b32_e32 v6, 0x10000, v3
	s_delay_alu instid0(VALU_DEP_2) | instskip(NEXT) | instid1(VALU_DEP_1)
	v_cmp_eq_u32_e64 s0, 0, v2
	v_cndmask_b32_e64 v2, v6, v3, s0
; %bb.2099:                             ;   in Loop: Header=BB440_1190 Depth=1
	s_or_b32 exec_lo, exec_lo, s12
	v_lshrrev_b32_e32 v6, 16, v42
	v_lshrrev_b32_e32 v7, 16, v39
	;; [unrolled: 1-line block ×8, first 2 shown]
	s_and_saveexec_b32 s12, vcc_lo
	s_cbranch_execz .LBB440_2101
; %bb.2100:                             ;   in Loop: Header=BB440_1190 Depth=1
	v_cmp_lt_i32_e64 s0, v82, v38
	s_delay_alu instid0(VALU_DEP_1) | instskip(SKIP_1) | instid1(VALU_DEP_1)
	v_cndmask_b32_e64 v4, 0, v4, s0
	v_cmp_lt_i32_e64 s0, v97, v38
	v_cndmask_b32_e64 v5, 0, v5, s0
	v_cmp_lt_i32_e64 s0, v96, v38
	s_delay_alu instid0(VALU_DEP_1) | instskip(SKIP_1) | instid1(VALU_DEP_1)
	v_cndmask_b32_e64 v21, 0, v21, s0
	v_cmp_lt_i32_e64 s0, v87, v38
	v_cndmask_b32_e64 v9, 0, v9, s0
	;; [unrolled: 5-line block ×4, first 2 shown]
.LBB440_2101:                           ;   in Loop: Header=BB440_1190 Depth=1
	s_or_b32 exec_lo, exec_lo, s12
	v_lshlrev_b32_e32 v4, 16, v4
	s_delay_alu instid0(VALU_DEP_1) | instskip(NEXT) | instid1(VALU_DEP_1)
	v_mul_f32_e32 v37, v98, v4
	v_and_b32_e32 v4, 0x7f800000, v37
	s_delay_alu instid0(VALU_DEP_1) | instskip(NEXT) | instid1(VALU_DEP_1)
	v_cmp_ne_u32_e64 s0, 0x7f800000, v4
                                        ; implicit-def: $vgpr4
	s_and_saveexec_b32 s12, s0
	s_delay_alu instid0(SALU_CYCLE_1)
	s_xor_b32 s0, exec_lo, s12
; %bb.2102:                             ;   in Loop: Header=BB440_1190 Depth=1
	v_bfe_u32 v4, v37, 16, 1
	s_delay_alu instid0(VALU_DEP_1)
	v_add3_u32 v4, v37, v4, 0x7fff
                                        ; implicit-def: $vgpr37
; %bb.2103:                             ;   in Loop: Header=BB440_1190 Depth=1
	s_and_not1_saveexec_b32 s12, s0
; %bb.2104:                             ;   in Loop: Header=BB440_1190 Depth=1
	v_and_b32_e32 v4, 0xffff, v37
	v_or_b32_e32 v39, 0x10000, v37
	s_delay_alu instid0(VALU_DEP_2) | instskip(NEXT) | instid1(VALU_DEP_1)
	v_cmp_eq_u32_e64 s0, 0, v4
	v_cndmask_b32_e64 v4, v39, v37, s0
; %bb.2105:                             ;   in Loop: Header=BB440_1190 Depth=1
	s_or_b32 exec_lo, exec_lo, s12
	v_lshlrev_b32_e32 v5, 16, v5
	s_delay_alu instid0(VALU_DEP_1) | instskip(NEXT) | instid1(VALU_DEP_1)
	v_mul_f32_e32 v37, v99, v5
	v_and_b32_e32 v5, 0x7f800000, v37
	s_delay_alu instid0(VALU_DEP_1) | instskip(NEXT) | instid1(VALU_DEP_1)
	v_cmp_ne_u32_e64 s0, 0x7f800000, v5
                                        ; implicit-def: $vgpr5
	s_and_saveexec_b32 s12, s0
	s_delay_alu instid0(SALU_CYCLE_1)
	s_xor_b32 s0, exec_lo, s12
; %bb.2106:                             ;   in Loop: Header=BB440_1190 Depth=1
	v_bfe_u32 v5, v37, 16, 1
	s_delay_alu instid0(VALU_DEP_1)
	v_add3_u32 v5, v37, v5, 0x7fff
                                        ; implicit-def: $vgpr37
; %bb.2107:                             ;   in Loop: Header=BB440_1190 Depth=1
	s_and_not1_saveexec_b32 s12, s0
; %bb.2108:                             ;   in Loop: Header=BB440_1190 Depth=1
	v_and_b32_e32 v5, 0xffff, v37
	v_or_b32_e32 v39, 0x10000, v37
	s_delay_alu instid0(VALU_DEP_2) | instskip(NEXT) | instid1(VALU_DEP_1)
	v_cmp_eq_u32_e64 s0, 0, v5
	v_cndmask_b32_e64 v5, v39, v37, s0
; %bb.2109:                             ;   in Loop: Header=BB440_1190 Depth=1
	s_or_b32 exec_lo, exec_lo, s12
	v_lshlrev_b32_e32 v21, 16, v21
                                        ; implicit-def: $vgpr42
	s_delay_alu instid0(VALU_DEP_1) | instskip(NEXT) | instid1(VALU_DEP_1)
	v_mul_f32_e32 v21, v100, v21
	v_and_b32_e32 v37, 0x7f800000, v21
	s_delay_alu instid0(VALU_DEP_1) | instskip(NEXT) | instid1(VALU_DEP_1)
	v_cmp_ne_u32_e64 s0, 0x7f800000, v37
	s_and_saveexec_b32 s12, s0
	s_delay_alu instid0(SALU_CYCLE_1)
	s_xor_b32 s0, exec_lo, s12
; %bb.2110:                             ;   in Loop: Header=BB440_1190 Depth=1
	v_bfe_u32 v37, v21, 16, 1
	s_delay_alu instid0(VALU_DEP_1)
	v_add3_u32 v42, v21, v37, 0x7fff
                                        ; implicit-def: $vgpr21
; %bb.2111:                             ;   in Loop: Header=BB440_1190 Depth=1
	s_and_not1_saveexec_b32 s12, s0
; %bb.2112:                             ;   in Loop: Header=BB440_1190 Depth=1
	v_and_b32_e32 v37, 0xffff, v21
	v_or_b32_e32 v39, 0x10000, v21
	s_delay_alu instid0(VALU_DEP_2) | instskip(NEXT) | instid1(VALU_DEP_1)
	v_cmp_eq_u32_e64 s0, 0, v37
	v_cndmask_b32_e64 v42, v39, v21, s0
; %bb.2113:                             ;   in Loop: Header=BB440_1190 Depth=1
	s_or_b32 exec_lo, exec_lo, s12
	v_lshlrev_b32_e32 v9, 16, v9
                                        ; implicit-def: $vgpr43
	s_delay_alu instid0(VALU_DEP_1) | instskip(NEXT) | instid1(VALU_DEP_1)
	v_mul_f32_e32 v9, v101, v9
	v_and_b32_e32 v21, 0x7f800000, v9
	s_delay_alu instid0(VALU_DEP_1) | instskip(NEXT) | instid1(VALU_DEP_1)
	v_cmp_ne_u32_e64 s0, 0x7f800000, v21
	s_and_saveexec_b32 s12, s0
	s_delay_alu instid0(SALU_CYCLE_1)
	s_xor_b32 s0, exec_lo, s12
; %bb.2114:                             ;   in Loop: Header=BB440_1190 Depth=1
	v_bfe_u32 v21, v9, 16, 1
	s_delay_alu instid0(VALU_DEP_1)
	v_add3_u32 v43, v9, v21, 0x7fff
                                        ; implicit-def: $vgpr9
; %bb.2115:                             ;   in Loop: Header=BB440_1190 Depth=1
	s_and_not1_saveexec_b32 s12, s0
; %bb.2116:                             ;   in Loop: Header=BB440_1190 Depth=1
	v_and_b32_e32 v21, 0xffff, v9
	v_or_b32_e32 v37, 0x10000, v9
	s_delay_alu instid0(VALU_DEP_2) | instskip(NEXT) | instid1(VALU_DEP_1)
	v_cmp_eq_u32_e64 s0, 0, v21
	v_cndmask_b32_e64 v43, v37, v9, s0
; %bb.2117:                             ;   in Loop: Header=BB440_1190 Depth=1
	s_or_b32 exec_lo, exec_lo, s12
	v_lshlrev_b32_e32 v7, 16, v7
                                        ; implicit-def: $vgpr44
	s_delay_alu instid0(VALU_DEP_1) | instskip(NEXT) | instid1(VALU_DEP_1)
	v_mul_f32_e32 v7, v102, v7
	v_and_b32_e32 v9, 0x7f800000, v7
	s_delay_alu instid0(VALU_DEP_1) | instskip(NEXT) | instid1(VALU_DEP_1)
	v_cmp_ne_u32_e64 s0, 0x7f800000, v9
	s_and_saveexec_b32 s12, s0
	s_delay_alu instid0(SALU_CYCLE_1)
	s_xor_b32 s0, exec_lo, s12
; %bb.2118:                             ;   in Loop: Header=BB440_1190 Depth=1
	v_bfe_u32 v9, v7, 16, 1
	s_delay_alu instid0(VALU_DEP_1)
	v_add3_u32 v44, v7, v9, 0x7fff
                                        ; implicit-def: $vgpr7
; %bb.2119:                             ;   in Loop: Header=BB440_1190 Depth=1
	s_and_not1_saveexec_b32 s12, s0
; %bb.2120:                             ;   in Loop: Header=BB440_1190 Depth=1
	v_and_b32_e32 v9, 0xffff, v7
	v_or_b32_e32 v21, 0x10000, v7
	s_delay_alu instid0(VALU_DEP_2) | instskip(NEXT) | instid1(VALU_DEP_1)
	v_cmp_eq_u32_e64 s0, 0, v9
	v_cndmask_b32_e64 v44, v21, v7, s0
; %bb.2121:                             ;   in Loop: Header=BB440_1190 Depth=1
	s_or_b32 exec_lo, exec_lo, s12
	v_lshlrev_b32_e32 v6, 16, v6
                                        ; implicit-def: $vgpr45
	s_delay_alu instid0(VALU_DEP_1) | instskip(NEXT) | instid1(VALU_DEP_1)
	v_mul_f32_e32 v6, v103, v6
	v_and_b32_e32 v7, 0x7f800000, v6
	s_delay_alu instid0(VALU_DEP_1) | instskip(NEXT) | instid1(VALU_DEP_1)
	v_cmp_ne_u32_e64 s0, 0x7f800000, v7
	s_and_saveexec_b32 s12, s0
	s_delay_alu instid0(SALU_CYCLE_1)
	s_xor_b32 s0, exec_lo, s12
; %bb.2122:                             ;   in Loop: Header=BB440_1190 Depth=1
	v_bfe_u32 v7, v6, 16, 1
	s_delay_alu instid0(VALU_DEP_1)
	v_add3_u32 v45, v6, v7, 0x7fff
                                        ; implicit-def: $vgpr6
; %bb.2123:                             ;   in Loop: Header=BB440_1190 Depth=1
	s_and_not1_saveexec_b32 s12, s0
; %bb.2124:                             ;   in Loop: Header=BB440_1190 Depth=1
	v_and_b32_e32 v7, 0xffff, v6
	v_or_b32_e32 v9, 0x10000, v6
	s_delay_alu instid0(VALU_DEP_2) | instskip(NEXT) | instid1(VALU_DEP_1)
	v_cmp_eq_u32_e64 s0, 0, v7
	v_cndmask_b32_e64 v45, v9, v6, s0
; %bb.2125:                             ;   in Loop: Header=BB440_1190 Depth=1
	s_or_b32 exec_lo, exec_lo, s12
	v_lshlrev_b32_e32 v3, 16, v3
                                        ; implicit-def: $vgpr46
	s_delay_alu instid0(VALU_DEP_1) | instskip(NEXT) | instid1(VALU_DEP_1)
	v_mul_f32_e32 v3, v112, v3
	v_and_b32_e32 v6, 0x7f800000, v3
	s_delay_alu instid0(VALU_DEP_1) | instskip(NEXT) | instid1(VALU_DEP_1)
	v_cmp_ne_u32_e64 s0, 0x7f800000, v6
	s_and_saveexec_b32 s12, s0
	s_delay_alu instid0(SALU_CYCLE_1)
	s_xor_b32 s0, exec_lo, s12
; %bb.2126:                             ;   in Loop: Header=BB440_1190 Depth=1
	v_bfe_u32 v6, v3, 16, 1
	s_delay_alu instid0(VALU_DEP_1)
	v_add3_u32 v46, v3, v6, 0x7fff
                                        ; implicit-def: $vgpr3
; %bb.2127:                             ;   in Loop: Header=BB440_1190 Depth=1
	s_and_not1_saveexec_b32 s12, s0
; %bb.2128:                             ;   in Loop: Header=BB440_1190 Depth=1
	v_and_b32_e32 v6, 0xffff, v3
	v_or_b32_e32 v7, 0x10000, v3
	s_delay_alu instid0(VALU_DEP_2) | instskip(NEXT) | instid1(VALU_DEP_1)
	v_cmp_eq_u32_e64 s0, 0, v6
	v_cndmask_b32_e64 v46, v7, v3, s0
; %bb.2129:                             ;   in Loop: Header=BB440_1190 Depth=1
	s_or_b32 exec_lo, exec_lo, s12
	v_lshlrev_b32_e32 v2, 16, v2
                                        ; implicit-def: $vgpr47
	s_delay_alu instid0(VALU_DEP_1) | instskip(NEXT) | instid1(VALU_DEP_1)
	v_mul_f32_e32 v2, v113, v2
	v_and_b32_e32 v3, 0x7f800000, v2
	s_delay_alu instid0(VALU_DEP_1) | instskip(NEXT) | instid1(VALU_DEP_1)
	v_cmp_ne_u32_e64 s0, 0x7f800000, v3
	s_and_saveexec_b32 s12, s0
	s_delay_alu instid0(SALU_CYCLE_1)
	s_xor_b32 s0, exec_lo, s12
; %bb.2130:                             ;   in Loop: Header=BB440_1190 Depth=1
	v_bfe_u32 v3, v2, 16, 1
	s_delay_alu instid0(VALU_DEP_1)
	v_add3_u32 v47, v2, v3, 0x7fff
                                        ; implicit-def: $vgpr2
; %bb.2131:                             ;   in Loop: Header=BB440_1190 Depth=1
	s_and_not1_saveexec_b32 s12, s0
; %bb.2132:                             ;   in Loop: Header=BB440_1190 Depth=1
	v_and_b32_e32 v3, 0xffff, v2
	v_or_b32_e32 v6, 0x10000, v2
	s_delay_alu instid0(VALU_DEP_2) | instskip(NEXT) | instid1(VALU_DEP_1)
	v_cmp_eq_u32_e64 s0, 0, v3
	v_cndmask_b32_e64 v47, v6, v2, s0
; %bb.2133:                             ;   in Loop: Header=BB440_1190 Depth=1
	s_or_b32 exec_lo, exec_lo, s12
	flat_load_b64 v[2:3], v[0:1] offset:1792
	s_mov_b32 s12, exec_lo
	s_waitcnt vmcnt(0) lgkmcnt(0)
	v_dual_mov_b32 v6, 0 :: v_dual_and_b32 v7, 0xff, v2
	s_delay_alu instid0(VALU_DEP_1)
	v_cmpx_ne_u16_e32 0, v7
	s_cbranch_execz .LBB440_2141
; %bb.2134:                             ;   in Loop: Header=BB440_1190 Depth=1
	v_bfrev_b32_e32 v6, 1
	s_mov_b32 s13, exec_lo
	v_cmpx_ne_u16_e32 0x80, v7
	s_cbranch_execz .LBB440_2140
; %bb.2135:                             ;   in Loop: Header=BB440_1190 Depth=1
	v_and_b32_e32 v7, 0x7f, v2
	v_mov_b32_e32 v6, 0x7f800001
	s_mov_b32 s15, exec_lo
	s_delay_alu instid0(VALU_DEP_2)
	v_cmpx_ne_u32_e32 0x7f, v7
	s_cbranch_execz .LBB440_2139
; %bb.2136:                             ;   in Loop: Header=BB440_1190 Depth=1
	v_lshrrev_b32_e32 v9, 3, v7
	v_cmp_gt_u32_e64 s0, 8, v7
	v_dual_mov_b32 v7, v3 :: v_dual_mov_b32 v6, v2
	s_delay_alu instid0(VALU_DEP_2)
	s_and_saveexec_b32 s16, s0
; %bb.2137:                             ;   in Loop: Header=BB440_1190 Depth=1
	v_and_b32_e32 v6, 7, v2
	s_delay_alu instid0(VALU_DEP_1) | instskip(NEXT) | instid1(VALU_DEP_1)
	v_clz_i32_u32_e32 v6, v6
	v_min_u32_e32 v9, 32, v6
	s_delay_alu instid0(VALU_DEP_1) | instskip(SKIP_1) | instid1(VALU_DEP_2)
	v_subrev_nc_u32_e32 v6, 28, v9
	v_sub_nc_u32_e32 v9, 29, v9
	v_lshlrev_b64 v[6:7], v6, v[2:3]
; %bb.2138:                             ;   in Loop: Header=BB440_1190 Depth=1
	s_or_b32 exec_lo, exec_lo, s16
	s_delay_alu instid0(VALU_DEP_1) | instskip(SKIP_2) | instid1(VALU_DEP_3)
	v_lshlrev_b32_e32 v6, 20, v6
	v_lshlrev_b32_e32 v7, 24, v2
	v_lshl_add_u32 v9, v9, 23, 0x3c000000
	v_and_b32_e32 v6, 0x700000, v6
	s_delay_alu instid0(VALU_DEP_3) | instskip(NEXT) | instid1(VALU_DEP_1)
	v_and_b32_e32 v7, 0x80000000, v7
	v_or3_b32 v6, v6, v7, v9
.LBB440_2139:                           ;   in Loop: Header=BB440_1190 Depth=1
	s_or_b32 exec_lo, exec_lo, s15
.LBB440_2140:                           ;   in Loop: Header=BB440_1190 Depth=1
	s_delay_alu instid0(SALU_CYCLE_1)
	s_or_b32 exec_lo, exec_lo, s13
.LBB440_2141:                           ;   in Loop: Header=BB440_1190 Depth=1
	s_delay_alu instid0(SALU_CYCLE_1) | instskip(NEXT) | instid1(VALU_DEP_1)
	s_or_b32 exec_lo, exec_lo, s12
	v_mul_f32_e32 v6, v8, v6
                                        ; implicit-def: $vgpr21
	s_delay_alu instid0(VALU_DEP_1) | instskip(NEXT) | instid1(VALU_DEP_1)
	v_and_b32_e32 v7, 0x7f800000, v6
	v_cmp_ne_u32_e64 s0, 0x7f800000, v7
	s_delay_alu instid0(VALU_DEP_1) | instskip(NEXT) | instid1(SALU_CYCLE_1)
	s_and_saveexec_b32 s12, s0
	s_xor_b32 s0, exec_lo, s12
; %bb.2142:                             ;   in Loop: Header=BB440_1190 Depth=1
	v_bfe_u32 v7, v6, 16, 1
	s_delay_alu instid0(VALU_DEP_1)
	v_add3_u32 v21, v6, v7, 0x7fff
                                        ; implicit-def: $vgpr6
; %bb.2143:                             ;   in Loop: Header=BB440_1190 Depth=1
	s_and_not1_saveexec_b32 s12, s0
; %bb.2144:                             ;   in Loop: Header=BB440_1190 Depth=1
	v_and_b32_e32 v7, 0xffff, v6
	v_or_b32_e32 v9, 0x10000, v6
	s_delay_alu instid0(VALU_DEP_2) | instskip(NEXT) | instid1(VALU_DEP_1)
	v_cmp_eq_u32_e64 s0, 0, v7
	v_cndmask_b32_e64 v21, v9, v6, s0
; %bb.2145:                             ;   in Loop: Header=BB440_1190 Depth=1
	s_or_b32 exec_lo, exec_lo, s12
	v_lshrrev_b16 v7, 8, v2
	v_mov_b32_e32 v6, 0
	s_mov_b32 s12, exec_lo
	s_delay_alu instid0(VALU_DEP_2)
	v_cmpx_ne_u16_e32 0, v7
	s_cbranch_execz .LBB440_2153
; %bb.2146:                             ;   in Loop: Header=BB440_1190 Depth=1
	v_bfrev_b32_e32 v6, 1
	s_mov_b32 s13, exec_lo
	v_cmpx_ne_u16_e32 0x80, v7
	s_cbranch_execz .LBB440_2152
; %bb.2147:                             ;   in Loop: Header=BB440_1190 Depth=1
	v_and_b32_e32 v9, 0xffff, v7
	v_mov_b32_e32 v6, 0x7f800001
	s_mov_b32 s15, exec_lo
	s_delay_alu instid0(VALU_DEP_2) | instskip(NEXT) | instid1(VALU_DEP_1)
	v_and_b32_e32 v7, 0x7f, v9
	v_cmpx_ne_u32_e32 0x7f, v7
	s_cbranch_execz .LBB440_2151
; %bb.2148:                             ;   in Loop: Header=BB440_1190 Depth=1
	v_and_b32_e32 v9, 7, v9
	v_lshrrev_b32_e32 v37, 3, v7
	v_cmp_gt_u32_e64 s0, 8, v7
	s_delay_alu instid0(VALU_DEP_3) | instskip(NEXT) | instid1(VALU_DEP_2)
	v_dual_mov_b32 v6, v9 :: v_dual_mov_b32 v7, v10
	s_and_saveexec_b32 s16, s0
; %bb.2149:                             ;   in Loop: Header=BB440_1190 Depth=1
	v_clz_i32_u32_e32 v6, v9
	s_delay_alu instid0(VALU_DEP_1) | instskip(NEXT) | instid1(VALU_DEP_1)
	v_min_u32_e32 v37, 32, v6
	v_subrev_nc_u32_e32 v6, 28, v37
	v_sub_nc_u32_e32 v37, 29, v37
	s_delay_alu instid0(VALU_DEP_2) | instskip(NEXT) | instid1(VALU_DEP_1)
	v_lshlrev_b64 v[6:7], v6, v[9:10]
	v_and_b32_e32 v6, 7, v6
; %bb.2150:                             ;   in Loop: Header=BB440_1190 Depth=1
	s_or_b32 exec_lo, exec_lo, s16
	v_lshlrev_b32_e32 v7, 16, v2
	s_delay_alu instid0(VALU_DEP_2) | instskip(SKIP_1) | instid1(VALU_DEP_3)
	v_lshlrev_b32_e32 v6, 20, v6
	v_lshl_add_u32 v9, v37, 23, 0x3c000000
	v_and_b32_e32 v7, 0x80000000, v7
	s_delay_alu instid0(VALU_DEP_1)
	v_or3_b32 v6, v6, v7, v9
.LBB440_2151:                           ;   in Loop: Header=BB440_1190 Depth=1
	s_or_b32 exec_lo, exec_lo, s15
.LBB440_2152:                           ;   in Loop: Header=BB440_1190 Depth=1
	s_delay_alu instid0(SALU_CYCLE_1)
	s_or_b32 exec_lo, exec_lo, s13
.LBB440_2153:                           ;   in Loop: Header=BB440_1190 Depth=1
	s_delay_alu instid0(SALU_CYCLE_1) | instskip(NEXT) | instid1(VALU_DEP_1)
	s_or_b32 exec_lo, exec_lo, s12
	v_mul_f32_e32 v6, v8, v6
                                        ; implicit-def: $vgpr37
	s_delay_alu instid0(VALU_DEP_1) | instskip(NEXT) | instid1(VALU_DEP_1)
	v_and_b32_e32 v7, 0x7f800000, v6
	v_cmp_ne_u32_e64 s0, 0x7f800000, v7
	s_delay_alu instid0(VALU_DEP_1) | instskip(NEXT) | instid1(SALU_CYCLE_1)
	s_and_saveexec_b32 s12, s0
	s_xor_b32 s0, exec_lo, s12
; %bb.2154:                             ;   in Loop: Header=BB440_1190 Depth=1
	v_bfe_u32 v7, v6, 16, 1
	s_delay_alu instid0(VALU_DEP_1)
	v_add3_u32 v37, v6, v7, 0x7fff
                                        ; implicit-def: $vgpr6
; %bb.2155:                             ;   in Loop: Header=BB440_1190 Depth=1
	s_and_not1_saveexec_b32 s12, s0
; %bb.2156:                             ;   in Loop: Header=BB440_1190 Depth=1
	v_and_b32_e32 v7, 0xffff, v6
	v_or_b32_e32 v9, 0x10000, v6
	s_delay_alu instid0(VALU_DEP_2) | instskip(NEXT) | instid1(VALU_DEP_1)
	v_cmp_eq_u32_e64 s0, 0, v7
	v_cndmask_b32_e64 v37, v9, v6, s0
; %bb.2157:                             ;   in Loop: Header=BB440_1190 Depth=1
	s_or_b32 exec_lo, exec_lo, s12
	v_lshrrev_b32_e32 v39, 16, v2
	s_mov_b32 s12, exec_lo
	s_delay_alu instid0(VALU_DEP_1) | instskip(NEXT) | instid1(VALU_DEP_1)
	v_dual_mov_b32 v6, 0 :: v_dual_and_b32 v7, 0xff, v39
	v_cmpx_ne_u16_e32 0, v7
	s_cbranch_execz .LBB440_2165
; %bb.2158:                             ;   in Loop: Header=BB440_1190 Depth=1
	v_bfrev_b32_e32 v6, 1
	s_mov_b32 s13, exec_lo
	v_cmpx_ne_u16_e32 0x80, v7
	s_cbranch_execz .LBB440_2164
; %bb.2159:                             ;   in Loop: Header=BB440_1190 Depth=1
	v_bfe_u32 v7, v2, 16, 7
	v_mov_b32_e32 v6, 0x7f800001
	s_mov_b32 s15, exec_lo
	s_delay_alu instid0(VALU_DEP_2)
	v_cmpx_ne_u32_e32 0x7f, v7
	s_cbranch_execz .LBB440_2163
; %bb.2160:                             ;   in Loop: Header=BB440_1190 Depth=1
	v_and_b32_e32 v9, 7, v39
	v_lshrrev_b32_e32 v56, 3, v7
	v_cmp_gt_u32_e64 s0, 8, v7
	s_delay_alu instid0(VALU_DEP_3) | instskip(NEXT) | instid1(VALU_DEP_2)
	v_dual_mov_b32 v6, v9 :: v_dual_mov_b32 v7, v10
	s_and_saveexec_b32 s16, s0
; %bb.2161:                             ;   in Loop: Header=BB440_1190 Depth=1
	v_clz_i32_u32_e32 v6, v9
	s_delay_alu instid0(VALU_DEP_1) | instskip(NEXT) | instid1(VALU_DEP_1)
	v_min_u32_e32 v56, 32, v6
	v_subrev_nc_u32_e32 v6, 28, v56
	v_sub_nc_u32_e32 v56, 29, v56
	s_delay_alu instid0(VALU_DEP_2) | instskip(NEXT) | instid1(VALU_DEP_1)
	v_lshlrev_b64 v[6:7], v6, v[9:10]
	v_and_b32_e32 v6, 7, v6
; %bb.2162:                             ;   in Loop: Header=BB440_1190 Depth=1
	s_or_b32 exec_lo, exec_lo, s16
	v_lshlrev_b32_e32 v7, 24, v39
	s_delay_alu instid0(VALU_DEP_2) | instskip(SKIP_1) | instid1(VALU_DEP_3)
	v_lshlrev_b32_e32 v6, 20, v6
	v_lshl_add_u32 v9, v56, 23, 0x3c000000
	v_and_b32_e32 v7, 0x80000000, v7
	s_delay_alu instid0(VALU_DEP_1)
	v_or3_b32 v6, v6, v7, v9
.LBB440_2163:                           ;   in Loop: Header=BB440_1190 Depth=1
	s_or_b32 exec_lo, exec_lo, s15
.LBB440_2164:                           ;   in Loop: Header=BB440_1190 Depth=1
	s_delay_alu instid0(SALU_CYCLE_1)
	s_or_b32 exec_lo, exec_lo, s13
.LBB440_2165:                           ;   in Loop: Header=BB440_1190 Depth=1
	s_delay_alu instid0(SALU_CYCLE_1) | instskip(NEXT) | instid1(VALU_DEP_1)
	s_or_b32 exec_lo, exec_lo, s12
	v_mul_f32_e32 v6, v8, v6
                                        ; implicit-def: $vgpr39
	s_delay_alu instid0(VALU_DEP_1) | instskip(NEXT) | instid1(VALU_DEP_1)
	v_and_b32_e32 v7, 0x7f800000, v6
	v_cmp_ne_u32_e64 s0, 0x7f800000, v7
	s_delay_alu instid0(VALU_DEP_1) | instskip(NEXT) | instid1(SALU_CYCLE_1)
	s_and_saveexec_b32 s12, s0
	s_xor_b32 s0, exec_lo, s12
; %bb.2166:                             ;   in Loop: Header=BB440_1190 Depth=1
	v_bfe_u32 v7, v6, 16, 1
	s_delay_alu instid0(VALU_DEP_1)
	v_add3_u32 v39, v6, v7, 0x7fff
                                        ; implicit-def: $vgpr6
; %bb.2167:                             ;   in Loop: Header=BB440_1190 Depth=1
	s_and_not1_saveexec_b32 s12, s0
; %bb.2168:                             ;   in Loop: Header=BB440_1190 Depth=1
	v_and_b32_e32 v7, 0xffff, v6
	v_or_b32_e32 v9, 0x10000, v6
	s_delay_alu instid0(VALU_DEP_2) | instskip(NEXT) | instid1(VALU_DEP_1)
	v_cmp_eq_u32_e64 s0, 0, v7
	v_cndmask_b32_e64 v39, v9, v6, s0
; %bb.2169:                             ;   in Loop: Header=BB440_1190 Depth=1
	s_or_b32 exec_lo, exec_lo, s12
	v_mov_b32_e32 v6, 0
	s_mov_b32 s12, exec_lo
	v_cmpx_lt_u32_e32 0xffffff, v2
	s_cbranch_execz .LBB440_2177
; %bb.2170:                             ;   in Loop: Header=BB440_1190 Depth=1
	v_lshrrev_b32_e32 v56, 24, v2
	v_bfrev_b32_e32 v6, 1
	s_mov_b32 s13, exec_lo
	s_delay_alu instid0(VALU_DEP_2)
	v_cmpx_ne_u32_e32 0x80, v56
	s_cbranch_execz .LBB440_2176
; %bb.2171:                             ;   in Loop: Header=BB440_1190 Depth=1
	v_bfe_u32 v7, v2, 24, 7
	v_mov_b32_e32 v6, 0x7f800001
	s_mov_b32 s15, exec_lo
	s_delay_alu instid0(VALU_DEP_2)
	v_cmpx_ne_u32_e32 0x7f, v7
	s_cbranch_execz .LBB440_2175
; %bb.2172:                             ;   in Loop: Header=BB440_1190 Depth=1
	v_and_b32_e32 v9, 7, v56
	v_lshrrev_b32_e32 v57, 3, v7
	v_cmp_gt_u32_e64 s0, 8, v7
	s_delay_alu instid0(VALU_DEP_3) | instskip(NEXT) | instid1(VALU_DEP_2)
	v_dual_mov_b32 v6, v9 :: v_dual_mov_b32 v7, v10
	s_and_saveexec_b32 s16, s0
; %bb.2173:                             ;   in Loop: Header=BB440_1190 Depth=1
	v_clz_i32_u32_e32 v6, v9
	s_delay_alu instid0(VALU_DEP_1) | instskip(NEXT) | instid1(VALU_DEP_1)
	v_min_u32_e32 v57, 32, v6
	v_subrev_nc_u32_e32 v6, 28, v57
	v_sub_nc_u32_e32 v57, 29, v57
	s_delay_alu instid0(VALU_DEP_2) | instskip(NEXT) | instid1(VALU_DEP_1)
	v_lshlrev_b64 v[6:7], v6, v[9:10]
	v_and_b32_e32 v6, 7, v6
; %bb.2174:                             ;   in Loop: Header=BB440_1190 Depth=1
	s_or_b32 exec_lo, exec_lo, s16
	v_lshlrev_b32_e32 v7, 24, v56
	s_delay_alu instid0(VALU_DEP_2) | instskip(SKIP_1) | instid1(VALU_DEP_3)
	v_lshlrev_b32_e32 v6, 20, v6
	v_lshl_add_u32 v9, v57, 23, 0x3c000000
	v_and_b32_e32 v7, 0x80000000, v7
	s_delay_alu instid0(VALU_DEP_1)
	v_or3_b32 v6, v6, v7, v9
.LBB440_2175:                           ;   in Loop: Header=BB440_1190 Depth=1
	s_or_b32 exec_lo, exec_lo, s15
.LBB440_2176:                           ;   in Loop: Header=BB440_1190 Depth=1
	s_delay_alu instid0(SALU_CYCLE_1)
	s_or_b32 exec_lo, exec_lo, s13
.LBB440_2177:                           ;   in Loop: Header=BB440_1190 Depth=1
	s_delay_alu instid0(SALU_CYCLE_1) | instskip(NEXT) | instid1(VALU_DEP_1)
	s_or_b32 exec_lo, exec_lo, s12
	v_mul_f32_e32 v6, v8, v6
                                        ; implicit-def: $vgpr56
	s_delay_alu instid0(VALU_DEP_1) | instskip(NEXT) | instid1(VALU_DEP_1)
	v_and_b32_e32 v7, 0x7f800000, v6
	v_cmp_ne_u32_e64 s0, 0x7f800000, v7
	s_delay_alu instid0(VALU_DEP_1) | instskip(NEXT) | instid1(SALU_CYCLE_1)
	s_and_saveexec_b32 s12, s0
	s_xor_b32 s0, exec_lo, s12
; %bb.2178:                             ;   in Loop: Header=BB440_1190 Depth=1
	v_bfe_u32 v7, v6, 16, 1
	s_delay_alu instid0(VALU_DEP_1)
	v_add3_u32 v56, v6, v7, 0x7fff
                                        ; implicit-def: $vgpr6
; %bb.2179:                             ;   in Loop: Header=BB440_1190 Depth=1
	s_and_not1_saveexec_b32 s12, s0
; %bb.2180:                             ;   in Loop: Header=BB440_1190 Depth=1
	v_and_b32_e32 v7, 0xffff, v6
	v_or_b32_e32 v9, 0x10000, v6
	s_delay_alu instid0(VALU_DEP_2) | instskip(NEXT) | instid1(VALU_DEP_1)
	v_cmp_eq_u32_e64 s0, 0, v7
	v_cndmask_b32_e64 v56, v9, v6, s0
; %bb.2181:                             ;   in Loop: Header=BB440_1190 Depth=1
	s_or_b32 exec_lo, exec_lo, s12
	v_dual_mov_b32 v6, 0 :: v_dual_and_b32 v7, 0xff, v3
	v_mov_b32_e32 v9, v3
	s_mov_b32 s12, exec_lo
	s_delay_alu instid0(VALU_DEP_2)
	v_cmpx_ne_u16_e32 0, v7
	s_cbranch_execz .LBB440_2189
; %bb.2182:                             ;   in Loop: Header=BB440_1190 Depth=1
	v_bfrev_b32_e32 v6, 1
	s_mov_b32 s13, exec_lo
	v_cmpx_ne_u16_e32 0x80, v7
	s_cbranch_execz .LBB440_2188
; %bb.2183:                             ;   in Loop: Header=BB440_1190 Depth=1
	v_and_b32_e32 v7, 0x7f, v3
	v_mov_b32_e32 v6, 0x7f800001
	s_mov_b32 s15, exec_lo
	s_delay_alu instid0(VALU_DEP_2)
	v_cmpx_ne_u32_e32 0x7f, v7
	s_cbranch_execz .LBB440_2187
; %bb.2184:                             ;   in Loop: Header=BB440_1190 Depth=1
	v_lshrrev_b32_e32 v57, 3, v7
	v_cmp_gt_u32_e64 s0, 8, v7
	v_dual_mov_b32 v6, v9 :: v_dual_mov_b32 v7, v10
	s_delay_alu instid0(VALU_DEP_2)
	s_and_saveexec_b32 s16, s0
; %bb.2185:                             ;   in Loop: Header=BB440_1190 Depth=1
	v_and_b32_e32 v6, 7, v3
	s_delay_alu instid0(VALU_DEP_1) | instskip(NEXT) | instid1(VALU_DEP_1)
	v_clz_i32_u32_e32 v6, v6
	v_min_u32_e32 v57, 32, v6
	s_delay_alu instid0(VALU_DEP_1) | instskip(SKIP_1) | instid1(VALU_DEP_2)
	v_subrev_nc_u32_e32 v6, 28, v57
	v_sub_nc_u32_e32 v57, 29, v57
	v_lshlrev_b64 v[6:7], v6, v[9:10]
; %bb.2186:                             ;   in Loop: Header=BB440_1190 Depth=1
	s_or_b32 exec_lo, exec_lo, s16
	s_delay_alu instid0(VALU_DEP_1) | instskip(SKIP_2) | instid1(VALU_DEP_3)
	v_lshlrev_b32_e32 v6, 20, v6
	v_lshlrev_b32_e32 v7, 24, v9
	v_lshl_add_u32 v57, v57, 23, 0x3c000000
	v_and_b32_e32 v6, 0x700000, v6
	s_delay_alu instid0(VALU_DEP_3) | instskip(NEXT) | instid1(VALU_DEP_1)
	v_and_b32_e32 v7, 0x80000000, v7
	v_or3_b32 v6, v6, v7, v57
.LBB440_2187:                           ;   in Loop: Header=BB440_1190 Depth=1
	s_or_b32 exec_lo, exec_lo, s15
.LBB440_2188:                           ;   in Loop: Header=BB440_1190 Depth=1
	s_delay_alu instid0(SALU_CYCLE_1)
	s_or_b32 exec_lo, exec_lo, s13
.LBB440_2189:                           ;   in Loop: Header=BB440_1190 Depth=1
	s_delay_alu instid0(SALU_CYCLE_1) | instskip(NEXT) | instid1(VALU_DEP_1)
	s_or_b32 exec_lo, exec_lo, s12
	v_mul_f32_e32 v6, v8, v6
                                        ; implicit-def: $vgpr57
	s_delay_alu instid0(VALU_DEP_1) | instskip(NEXT) | instid1(VALU_DEP_1)
	v_and_b32_e32 v7, 0x7f800000, v6
	v_cmp_ne_u32_e64 s0, 0x7f800000, v7
	s_delay_alu instid0(VALU_DEP_1) | instskip(NEXT) | instid1(SALU_CYCLE_1)
	s_and_saveexec_b32 s12, s0
	s_xor_b32 s0, exec_lo, s12
; %bb.2190:                             ;   in Loop: Header=BB440_1190 Depth=1
	v_bfe_u32 v7, v6, 16, 1
	s_delay_alu instid0(VALU_DEP_1)
	v_add3_u32 v57, v6, v7, 0x7fff
                                        ; implicit-def: $vgpr6
; %bb.2191:                             ;   in Loop: Header=BB440_1190 Depth=1
	s_and_not1_saveexec_b32 s12, s0
; %bb.2192:                             ;   in Loop: Header=BB440_1190 Depth=1
	v_and_b32_e32 v7, 0xffff, v6
	v_or_b32_e32 v57, 0x10000, v6
	s_delay_alu instid0(VALU_DEP_2) | instskip(NEXT) | instid1(VALU_DEP_1)
	v_cmp_eq_u32_e64 s0, 0, v7
	v_cndmask_b32_e64 v57, v57, v6, s0
; %bb.2193:                             ;   in Loop: Header=BB440_1190 Depth=1
	s_or_b32 exec_lo, exec_lo, s12
	v_lshrrev_b16 v7, 8, v9
	v_mov_b32_e32 v6, 0
	s_mov_b32 s12, exec_lo
	s_delay_alu instid0(VALU_DEP_2)
	v_cmpx_ne_u16_e32 0, v7
	s_cbranch_execz .LBB440_2201
; %bb.2194:                             ;   in Loop: Header=BB440_1190 Depth=1
	v_bfrev_b32_e32 v6, 1
	s_mov_b32 s13, exec_lo
	v_cmpx_ne_u16_e32 0x80, v7
	s_cbranch_execz .LBB440_2200
; %bb.2195:                             ;   in Loop: Header=BB440_1190 Depth=1
	v_and_b32_e32 v7, 0xffff, v7
	v_mov_b32_e32 v6, 0x7f800001
	s_mov_b32 s15, exec_lo
	s_delay_alu instid0(VALU_DEP_2) | instskip(NEXT) | instid1(VALU_DEP_1)
	v_and_b32_e32 v59, 0x7f, v7
	v_cmpx_ne_u32_e32 0x7f, v59
	s_cbranch_execz .LBB440_2199
; %bb.2196:                             ;   in Loop: Header=BB440_1190 Depth=1
	v_dual_mov_b32 v7, v10 :: v_dual_and_b32 v6, 7, v7
	v_lshrrev_b32_e32 v58, 3, v59
	s_mov_b32 s16, exec_lo
	v_cmpx_gt_u32_e32 8, v59
; %bb.2197:                             ;   in Loop: Header=BB440_1190 Depth=1
	s_delay_alu instid0(VALU_DEP_3) | instskip(NEXT) | instid1(VALU_DEP_1)
	v_clz_i32_u32_e32 v58, v6
	v_min_u32_e32 v58, 32, v58
	s_delay_alu instid0(VALU_DEP_1) | instskip(SKIP_1) | instid1(VALU_DEP_2)
	v_subrev_nc_u32_e32 v59, 28, v58
	v_sub_nc_u32_e32 v58, 29, v58
	v_lshlrev_b64 v[6:7], v59, v[6:7]
	s_delay_alu instid0(VALU_DEP_1)
	v_and_b32_e32 v6, 7, v6
; %bb.2198:                             ;   in Loop: Header=BB440_1190 Depth=1
	s_or_b32 exec_lo, exec_lo, s16
	v_lshlrev_b32_e32 v7, 16, v9
	s_delay_alu instid0(VALU_DEP_2) | instskip(SKIP_1) | instid1(VALU_DEP_3)
	v_lshlrev_b32_e32 v6, 20, v6
	v_lshl_add_u32 v9, v58, 23, 0x3c000000
	v_and_b32_e32 v7, 0x80000000, v7
	s_delay_alu instid0(VALU_DEP_1)
	v_or3_b32 v6, v6, v7, v9
.LBB440_2199:                           ;   in Loop: Header=BB440_1190 Depth=1
	s_or_b32 exec_lo, exec_lo, s15
.LBB440_2200:                           ;   in Loop: Header=BB440_1190 Depth=1
	s_delay_alu instid0(SALU_CYCLE_1)
	s_or_b32 exec_lo, exec_lo, s13
.LBB440_2201:                           ;   in Loop: Header=BB440_1190 Depth=1
	s_delay_alu instid0(SALU_CYCLE_1) | instskip(NEXT) | instid1(VALU_DEP_1)
	s_or_b32 exec_lo, exec_lo, s12
	v_mul_f32_e32 v6, v8, v6
                                        ; implicit-def: $vgpr58
	s_delay_alu instid0(VALU_DEP_1) | instskip(NEXT) | instid1(VALU_DEP_1)
	v_and_b32_e32 v7, 0x7f800000, v6
	v_cmp_ne_u32_e64 s0, 0x7f800000, v7
	s_delay_alu instid0(VALU_DEP_1) | instskip(NEXT) | instid1(SALU_CYCLE_1)
	s_and_saveexec_b32 s12, s0
	s_xor_b32 s0, exec_lo, s12
; %bb.2202:                             ;   in Loop: Header=BB440_1190 Depth=1
	v_bfe_u32 v7, v6, 16, 1
	s_delay_alu instid0(VALU_DEP_1)
	v_add3_u32 v58, v6, v7, 0x7fff
                                        ; implicit-def: $vgpr6
; %bb.2203:                             ;   in Loop: Header=BB440_1190 Depth=1
	s_and_not1_saveexec_b32 s12, s0
; %bb.2204:                             ;   in Loop: Header=BB440_1190 Depth=1
	v_and_b32_e32 v7, 0xffff, v6
	v_or_b32_e32 v9, 0x10000, v6
	s_delay_alu instid0(VALU_DEP_2) | instskip(NEXT) | instid1(VALU_DEP_1)
	v_cmp_eq_u32_e64 s0, 0, v7
	v_cndmask_b32_e64 v58, v9, v6, s0
; %bb.2205:                             ;   in Loop: Header=BB440_1190 Depth=1
	s_or_b32 exec_lo, exec_lo, s12
	v_lshrrev_b32_e32 v59, 16, v3
	s_mov_b32 s12, exec_lo
	s_delay_alu instid0(VALU_DEP_1) | instskip(NEXT) | instid1(VALU_DEP_1)
	v_dual_mov_b32 v6, 0 :: v_dual_and_b32 v7, 0xff, v59
	v_cmpx_ne_u16_e32 0, v7
	s_cbranch_execz .LBB440_2213
; %bb.2206:                             ;   in Loop: Header=BB440_1190 Depth=1
	v_bfrev_b32_e32 v6, 1
	s_mov_b32 s13, exec_lo
	v_cmpx_ne_u16_e32 0x80, v7
	s_cbranch_execz .LBB440_2212
; %bb.2207:                             ;   in Loop: Header=BB440_1190 Depth=1
	v_bfe_u32 v7, v3, 16, 7
	v_mov_b32_e32 v6, 0x7f800001
	s_mov_b32 s15, exec_lo
	s_delay_alu instid0(VALU_DEP_2)
	v_cmpx_ne_u32_e32 0x7f, v7
	s_cbranch_execz .LBB440_2211
; %bb.2208:                             ;   in Loop: Header=BB440_1190 Depth=1
	v_and_b32_e32 v9, 7, v59
	v_lshrrev_b32_e32 v60, 3, v7
	v_cmp_gt_u32_e64 s0, 8, v7
	s_delay_alu instid0(VALU_DEP_3) | instskip(NEXT) | instid1(VALU_DEP_2)
	v_dual_mov_b32 v6, v9 :: v_dual_mov_b32 v7, v10
	s_and_saveexec_b32 s16, s0
; %bb.2209:                             ;   in Loop: Header=BB440_1190 Depth=1
	v_clz_i32_u32_e32 v6, v9
	s_delay_alu instid0(VALU_DEP_1) | instskip(NEXT) | instid1(VALU_DEP_1)
	v_min_u32_e32 v60, 32, v6
	v_subrev_nc_u32_e32 v6, 28, v60
	v_sub_nc_u32_e32 v60, 29, v60
	s_delay_alu instid0(VALU_DEP_2) | instskip(NEXT) | instid1(VALU_DEP_1)
	v_lshlrev_b64 v[6:7], v6, v[9:10]
	v_and_b32_e32 v6, 7, v6
; %bb.2210:                             ;   in Loop: Header=BB440_1190 Depth=1
	s_or_b32 exec_lo, exec_lo, s16
	v_lshlrev_b32_e32 v7, 24, v59
	s_delay_alu instid0(VALU_DEP_2) | instskip(SKIP_1) | instid1(VALU_DEP_3)
	v_lshlrev_b32_e32 v6, 20, v6
	v_lshl_add_u32 v9, v60, 23, 0x3c000000
	v_and_b32_e32 v7, 0x80000000, v7
	s_delay_alu instid0(VALU_DEP_1)
	v_or3_b32 v6, v6, v7, v9
.LBB440_2211:                           ;   in Loop: Header=BB440_1190 Depth=1
	s_or_b32 exec_lo, exec_lo, s15
.LBB440_2212:                           ;   in Loop: Header=BB440_1190 Depth=1
	s_delay_alu instid0(SALU_CYCLE_1)
	s_or_b32 exec_lo, exec_lo, s13
.LBB440_2213:                           ;   in Loop: Header=BB440_1190 Depth=1
	s_delay_alu instid0(SALU_CYCLE_1) | instskip(NEXT) | instid1(VALU_DEP_1)
	s_or_b32 exec_lo, exec_lo, s12
	v_mul_f32_e32 v6, v8, v6
                                        ; implicit-def: $vgpr59
	s_delay_alu instid0(VALU_DEP_1) | instskip(NEXT) | instid1(VALU_DEP_1)
	v_and_b32_e32 v7, 0x7f800000, v6
	v_cmp_ne_u32_e64 s0, 0x7f800000, v7
	s_delay_alu instid0(VALU_DEP_1) | instskip(NEXT) | instid1(SALU_CYCLE_1)
	s_and_saveexec_b32 s12, s0
	s_xor_b32 s0, exec_lo, s12
; %bb.2214:                             ;   in Loop: Header=BB440_1190 Depth=1
	v_bfe_u32 v7, v6, 16, 1
	s_delay_alu instid0(VALU_DEP_1)
	v_add3_u32 v59, v6, v7, 0x7fff
                                        ; implicit-def: $vgpr6
; %bb.2215:                             ;   in Loop: Header=BB440_1190 Depth=1
	s_and_not1_saveexec_b32 s12, s0
; %bb.2216:                             ;   in Loop: Header=BB440_1190 Depth=1
	v_and_b32_e32 v7, 0xffff, v6
	v_or_b32_e32 v9, 0x10000, v6
	s_delay_alu instid0(VALU_DEP_2) | instskip(NEXT) | instid1(VALU_DEP_1)
	v_cmp_eq_u32_e64 s0, 0, v7
	v_cndmask_b32_e64 v59, v9, v6, s0
; %bb.2217:                             ;   in Loop: Header=BB440_1190 Depth=1
	s_or_b32 exec_lo, exec_lo, s12
	v_cmp_lt_u64_e64 s0, s[8:9], v[2:3]
	v_mov_b32_e32 v2, 0
	s_delay_alu instid0(VALU_DEP_2)
	s_and_saveexec_b32 s12, s0
	s_cbranch_execz .LBB440_2225
; %bb.2218:                             ;   in Loop: Header=BB440_1190 Depth=1
	v_lshrrev_b32_e32 v6, 24, v3
	v_bfrev_b32_e32 v2, 1
	s_mov_b32 s13, exec_lo
	s_delay_alu instid0(VALU_DEP_2)
	v_cmpx_ne_u32_e32 0x80, v6
	s_cbranch_execz .LBB440_2224
; %bb.2219:                             ;   in Loop: Header=BB440_1190 Depth=1
	v_bfe_u32 v3, v3, 24, 7
	v_mov_b32_e32 v2, 0x7f800001
	s_mov_b32 s15, exec_lo
	s_delay_alu instid0(VALU_DEP_2)
	v_cmpx_ne_u32_e32 0x7f, v3
	s_cbranch_execz .LBB440_2223
; %bb.2220:                             ;   in Loop: Header=BB440_1190 Depth=1
	v_and_b32_e32 v9, 7, v6
	v_lshrrev_b32_e32 v7, 3, v3
	v_cmp_gt_u32_e64 s0, 8, v3
	s_delay_alu instid0(VALU_DEP_3) | instskip(NEXT) | instid1(VALU_DEP_2)
	v_dual_mov_b32 v2, v9 :: v_dual_mov_b32 v3, v10
	s_and_saveexec_b32 s16, s0
; %bb.2221:                             ;   in Loop: Header=BB440_1190 Depth=1
	v_clz_i32_u32_e32 v2, v9
	s_delay_alu instid0(VALU_DEP_1) | instskip(NEXT) | instid1(VALU_DEP_1)
	v_min_u32_e32 v7, 32, v2
	v_subrev_nc_u32_e32 v2, 28, v7
	v_sub_nc_u32_e32 v7, 29, v7
	s_delay_alu instid0(VALU_DEP_2) | instskip(NEXT) | instid1(VALU_DEP_1)
	v_lshlrev_b64 v[2:3], v2, v[9:10]
	v_and_b32_e32 v2, 7, v2
; %bb.2222:                             ;   in Loop: Header=BB440_1190 Depth=1
	s_or_b32 exec_lo, exec_lo, s16
	v_lshlrev_b32_e32 v3, 24, v6
	s_delay_alu instid0(VALU_DEP_2) | instskip(SKIP_1) | instid1(VALU_DEP_3)
	v_lshlrev_b32_e32 v2, 20, v2
	v_lshl_add_u32 v6, v7, 23, 0x3c000000
	v_and_b32_e32 v3, 0x80000000, v3
	s_delay_alu instid0(VALU_DEP_1)
	v_or3_b32 v2, v2, v3, v6
.LBB440_2223:                           ;   in Loop: Header=BB440_1190 Depth=1
	s_or_b32 exec_lo, exec_lo, s15
.LBB440_2224:                           ;   in Loop: Header=BB440_1190 Depth=1
	s_delay_alu instid0(SALU_CYCLE_1)
	s_or_b32 exec_lo, exec_lo, s13
.LBB440_2225:                           ;   in Loop: Header=BB440_1190 Depth=1
	s_delay_alu instid0(SALU_CYCLE_1) | instskip(NEXT) | instid1(VALU_DEP_1)
	s_or_b32 exec_lo, exec_lo, s12
	v_mul_f32_e32 v3, v8, v2
	s_delay_alu instid0(VALU_DEP_1) | instskip(NEXT) | instid1(VALU_DEP_1)
	v_and_b32_e32 v2, 0x7f800000, v3
	v_cmp_ne_u32_e64 s0, 0x7f800000, v2
                                        ; implicit-def: $vgpr2
	s_delay_alu instid0(VALU_DEP_1) | instskip(NEXT) | instid1(SALU_CYCLE_1)
	s_and_saveexec_b32 s12, s0
	s_xor_b32 s0, exec_lo, s12
; %bb.2226:                             ;   in Loop: Header=BB440_1190 Depth=1
	v_bfe_u32 v2, v3, 16, 1
	s_delay_alu instid0(VALU_DEP_1)
	v_add3_u32 v2, v3, v2, 0x7fff
                                        ; implicit-def: $vgpr3
; %bb.2227:                             ;   in Loop: Header=BB440_1190 Depth=1
	s_and_not1_saveexec_b32 s12, s0
; %bb.2228:                             ;   in Loop: Header=BB440_1190 Depth=1
	v_and_b32_e32 v2, 0xffff, v3
	v_or_b32_e32 v6, 0x10000, v3
	s_delay_alu instid0(VALU_DEP_2) | instskip(NEXT) | instid1(VALU_DEP_1)
	v_cmp_eq_u32_e64 s0, 0, v2
	v_cndmask_b32_e64 v2, v6, v3, s0
; %bb.2229:                             ;   in Loop: Header=BB440_1190 Depth=1
	s_or_b32 exec_lo, exec_lo, s12
	v_lshrrev_b32_e32 v6, 16, v58
	v_lshrrev_b32_e32 v7, 16, v57
	;; [unrolled: 1-line block ×8, first 2 shown]
	s_and_saveexec_b32 s12, vcc_lo
	s_cbranch_execz .LBB440_2231
; %bb.2230:                             ;   in Loop: Header=BB440_1190 Depth=1
	v_cmp_lt_i32_e64 s0, v82, v38
	s_delay_alu instid0(VALU_DEP_1) | instskip(SKIP_1) | instid1(VALU_DEP_1)
	v_cndmask_b32_e64 v21, 0, v21, s0
	v_cmp_lt_i32_e64 s0, v97, v38
	v_cndmask_b32_e64 v37, 0, v37, s0
	v_cmp_lt_i32_e64 s0, v96, v38
	s_delay_alu instid0(VALU_DEP_1) | instskip(SKIP_1) | instid1(VALU_DEP_1)
	v_cndmask_b32_e64 v39, 0, v39, s0
	v_cmp_lt_i32_e64 s0, v87, v38
	v_cndmask_b32_e64 v9, 0, v9, s0
	;; [unrolled: 5-line block ×4, first 2 shown]
.LBB440_2231:                           ;   in Loop: Header=BB440_1190 Depth=1
	s_or_b32 exec_lo, exec_lo, s12
	v_lshlrev_b32_e32 v21, 16, v21
	s_delay_alu instid0(VALU_DEP_1) | instskip(NEXT) | instid1(VALU_DEP_1)
	v_mul_f32_e32 v56, v98, v21
	v_and_b32_e32 v21, 0x7f800000, v56
	s_delay_alu instid0(VALU_DEP_1) | instskip(NEXT) | instid1(VALU_DEP_1)
	v_cmp_ne_u32_e64 s0, 0x7f800000, v21
                                        ; implicit-def: $vgpr21
	s_and_saveexec_b32 s12, s0
	s_delay_alu instid0(SALU_CYCLE_1)
	s_xor_b32 s0, exec_lo, s12
; %bb.2232:                             ;   in Loop: Header=BB440_1190 Depth=1
	v_bfe_u32 v21, v56, 16, 1
	s_delay_alu instid0(VALU_DEP_1)
	v_add3_u32 v21, v56, v21, 0x7fff
                                        ; implicit-def: $vgpr56
; %bb.2233:                             ;   in Loop: Header=BB440_1190 Depth=1
	s_and_not1_saveexec_b32 s12, s0
; %bb.2234:                             ;   in Loop: Header=BB440_1190 Depth=1
	v_and_b32_e32 v21, 0xffff, v56
	v_or_b32_e32 v57, 0x10000, v56
	s_delay_alu instid0(VALU_DEP_2) | instskip(NEXT) | instid1(VALU_DEP_1)
	v_cmp_eq_u32_e64 s0, 0, v21
	v_cndmask_b32_e64 v21, v57, v56, s0
; %bb.2235:                             ;   in Loop: Header=BB440_1190 Depth=1
	s_or_b32 exec_lo, exec_lo, s12
	v_lshlrev_b32_e32 v37, 16, v37
	s_delay_alu instid0(VALU_DEP_1) | instskip(NEXT) | instid1(VALU_DEP_1)
	v_mul_f32_e32 v56, v99, v37
	v_and_b32_e32 v37, 0x7f800000, v56
	s_delay_alu instid0(VALU_DEP_1) | instskip(NEXT) | instid1(VALU_DEP_1)
	v_cmp_ne_u32_e64 s0, 0x7f800000, v37
                                        ; implicit-def: $vgpr37
	s_and_saveexec_b32 s12, s0
	s_delay_alu instid0(SALU_CYCLE_1)
	s_xor_b32 s0, exec_lo, s12
; %bb.2236:                             ;   in Loop: Header=BB440_1190 Depth=1
	v_bfe_u32 v37, v56, 16, 1
	s_delay_alu instid0(VALU_DEP_1)
	v_add3_u32 v37, v56, v37, 0x7fff
                                        ; implicit-def: $vgpr56
; %bb.2237:                             ;   in Loop: Header=BB440_1190 Depth=1
	s_and_not1_saveexec_b32 s12, s0
; %bb.2238:                             ;   in Loop: Header=BB440_1190 Depth=1
	v_and_b32_e32 v37, 0xffff, v56
	v_or_b32_e32 v57, 0x10000, v56
	s_delay_alu instid0(VALU_DEP_2) | instskip(NEXT) | instid1(VALU_DEP_1)
	v_cmp_eq_u32_e64 s0, 0, v37
	v_cndmask_b32_e64 v37, v57, v56, s0
; %bb.2239:                             ;   in Loop: Header=BB440_1190 Depth=1
	s_or_b32 exec_lo, exec_lo, s12
	v_lshlrev_b32_e32 v39, 16, v39
	s_delay_alu instid0(VALU_DEP_1) | instskip(NEXT) | instid1(VALU_DEP_1)
	v_mul_f32_e32 v56, v100, v39
	v_and_b32_e32 v39, 0x7f800000, v56
	s_delay_alu instid0(VALU_DEP_1) | instskip(NEXT) | instid1(VALU_DEP_1)
	v_cmp_ne_u32_e64 s0, 0x7f800000, v39
                                        ; implicit-def: $vgpr39
	s_and_saveexec_b32 s12, s0
	s_delay_alu instid0(SALU_CYCLE_1)
	s_xor_b32 s0, exec_lo, s12
; %bb.2240:                             ;   in Loop: Header=BB440_1190 Depth=1
	v_bfe_u32 v39, v56, 16, 1
	s_delay_alu instid0(VALU_DEP_1)
	v_add3_u32 v39, v56, v39, 0x7fff
                                        ; implicit-def: $vgpr56
; %bb.2241:                             ;   in Loop: Header=BB440_1190 Depth=1
	s_and_not1_saveexec_b32 s12, s0
; %bb.2242:                             ;   in Loop: Header=BB440_1190 Depth=1
	v_and_b32_e32 v39, 0xffff, v56
	v_or_b32_e32 v57, 0x10000, v56
	s_delay_alu instid0(VALU_DEP_2) | instskip(NEXT) | instid1(VALU_DEP_1)
	v_cmp_eq_u32_e64 s0, 0, v39
	v_cndmask_b32_e64 v39, v57, v56, s0
; %bb.2243:                             ;   in Loop: Header=BB440_1190 Depth=1
	s_or_b32 exec_lo, exec_lo, s12
	v_lshlrev_b32_e32 v9, 16, v9
	s_delay_alu instid0(VALU_DEP_1) | instskip(NEXT) | instid1(VALU_DEP_1)
	v_mul_f32_e32 v9, v101, v9
	v_and_b32_e32 v56, 0x7f800000, v9
	s_delay_alu instid0(VALU_DEP_1) | instskip(NEXT) | instid1(VALU_DEP_1)
	v_cmp_ne_u32_e64 s0, 0x7f800000, v56
                                        ; implicit-def: $vgpr56
	s_and_saveexec_b32 s12, s0
	s_delay_alu instid0(SALU_CYCLE_1)
	s_xor_b32 s0, exec_lo, s12
; %bb.2244:                             ;   in Loop: Header=BB440_1190 Depth=1
	v_bfe_u32 v56, v9, 16, 1
	s_delay_alu instid0(VALU_DEP_1)
	v_add3_u32 v56, v9, v56, 0x7fff
                                        ; implicit-def: $vgpr9
; %bb.2245:                             ;   in Loop: Header=BB440_1190 Depth=1
	s_and_not1_saveexec_b32 s12, s0
; %bb.2246:                             ;   in Loop: Header=BB440_1190 Depth=1
	v_and_b32_e32 v56, 0xffff, v9
	v_or_b32_e32 v57, 0x10000, v9
	s_delay_alu instid0(VALU_DEP_2) | instskip(NEXT) | instid1(VALU_DEP_1)
	v_cmp_eq_u32_e64 s0, 0, v56
	v_cndmask_b32_e64 v56, v57, v9, s0
; %bb.2247:                             ;   in Loop: Header=BB440_1190 Depth=1
	s_or_b32 exec_lo, exec_lo, s12
	v_lshlrev_b32_e32 v7, 16, v7
                                        ; implicit-def: $vgpr57
	s_delay_alu instid0(VALU_DEP_1) | instskip(NEXT) | instid1(VALU_DEP_1)
	v_mul_f32_e32 v7, v102, v7
	v_and_b32_e32 v9, 0x7f800000, v7
	s_delay_alu instid0(VALU_DEP_1) | instskip(NEXT) | instid1(VALU_DEP_1)
	v_cmp_ne_u32_e64 s0, 0x7f800000, v9
	s_and_saveexec_b32 s12, s0
	s_delay_alu instid0(SALU_CYCLE_1)
	s_xor_b32 s0, exec_lo, s12
; %bb.2248:                             ;   in Loop: Header=BB440_1190 Depth=1
	v_bfe_u32 v9, v7, 16, 1
	s_delay_alu instid0(VALU_DEP_1)
	v_add3_u32 v57, v7, v9, 0x7fff
                                        ; implicit-def: $vgpr7
; %bb.2249:                             ;   in Loop: Header=BB440_1190 Depth=1
	s_and_not1_saveexec_b32 s12, s0
; %bb.2250:                             ;   in Loop: Header=BB440_1190 Depth=1
	v_and_b32_e32 v9, 0xffff, v7
	v_or_b32_e32 v57, 0x10000, v7
	s_delay_alu instid0(VALU_DEP_2) | instskip(NEXT) | instid1(VALU_DEP_1)
	v_cmp_eq_u32_e64 s0, 0, v9
	v_cndmask_b32_e64 v57, v57, v7, s0
; %bb.2251:                             ;   in Loop: Header=BB440_1190 Depth=1
	s_or_b32 exec_lo, exec_lo, s12
	v_lshlrev_b32_e32 v6, 16, v6
                                        ; implicit-def: $vgpr58
	s_delay_alu instid0(VALU_DEP_1) | instskip(NEXT) | instid1(VALU_DEP_1)
	v_mul_f32_e32 v6, v103, v6
	v_and_b32_e32 v7, 0x7f800000, v6
	s_delay_alu instid0(VALU_DEP_1) | instskip(NEXT) | instid1(VALU_DEP_1)
	v_cmp_ne_u32_e64 s0, 0x7f800000, v7
	s_and_saveexec_b32 s12, s0
	s_delay_alu instid0(SALU_CYCLE_1)
	s_xor_b32 s0, exec_lo, s12
; %bb.2252:                             ;   in Loop: Header=BB440_1190 Depth=1
	v_bfe_u32 v7, v6, 16, 1
	s_delay_alu instid0(VALU_DEP_1)
	v_add3_u32 v58, v6, v7, 0x7fff
                                        ; implicit-def: $vgpr6
; %bb.2253:                             ;   in Loop: Header=BB440_1190 Depth=1
	s_and_not1_saveexec_b32 s12, s0
; %bb.2254:                             ;   in Loop: Header=BB440_1190 Depth=1
	v_and_b32_e32 v7, 0xffff, v6
	v_or_b32_e32 v9, 0x10000, v6
	s_delay_alu instid0(VALU_DEP_2) | instskip(NEXT) | instid1(VALU_DEP_1)
	v_cmp_eq_u32_e64 s0, 0, v7
	v_cndmask_b32_e64 v58, v9, v6, s0
; %bb.2255:                             ;   in Loop: Header=BB440_1190 Depth=1
	s_or_b32 exec_lo, exec_lo, s12
	v_lshlrev_b32_e32 v3, 16, v3
                                        ; implicit-def: $vgpr59
	s_delay_alu instid0(VALU_DEP_1) | instskip(NEXT) | instid1(VALU_DEP_1)
	v_mul_f32_e32 v3, v112, v3
	v_and_b32_e32 v6, 0x7f800000, v3
	s_delay_alu instid0(VALU_DEP_1) | instskip(NEXT) | instid1(VALU_DEP_1)
	v_cmp_ne_u32_e64 s0, 0x7f800000, v6
	s_and_saveexec_b32 s12, s0
	s_delay_alu instid0(SALU_CYCLE_1)
	s_xor_b32 s0, exec_lo, s12
; %bb.2256:                             ;   in Loop: Header=BB440_1190 Depth=1
	v_bfe_u32 v6, v3, 16, 1
	s_delay_alu instid0(VALU_DEP_1)
	v_add3_u32 v59, v3, v6, 0x7fff
                                        ; implicit-def: $vgpr3
; %bb.2257:                             ;   in Loop: Header=BB440_1190 Depth=1
	s_and_not1_saveexec_b32 s12, s0
; %bb.2258:                             ;   in Loop: Header=BB440_1190 Depth=1
	v_and_b32_e32 v6, 0xffff, v3
	v_or_b32_e32 v7, 0x10000, v3
	s_delay_alu instid0(VALU_DEP_2) | instskip(NEXT) | instid1(VALU_DEP_1)
	v_cmp_eq_u32_e64 s0, 0, v6
	v_cndmask_b32_e64 v59, v7, v3, s0
; %bb.2259:                             ;   in Loop: Header=BB440_1190 Depth=1
	s_or_b32 exec_lo, exec_lo, s12
	v_lshlrev_b32_e32 v2, 16, v2
                                        ; implicit-def: $vgpr60
	s_delay_alu instid0(VALU_DEP_1) | instskip(NEXT) | instid1(VALU_DEP_1)
	v_mul_f32_e32 v2, v113, v2
	v_and_b32_e32 v3, 0x7f800000, v2
	s_delay_alu instid0(VALU_DEP_1) | instskip(NEXT) | instid1(VALU_DEP_1)
	v_cmp_ne_u32_e64 s0, 0x7f800000, v3
	s_and_saveexec_b32 s12, s0
	s_delay_alu instid0(SALU_CYCLE_1)
	s_xor_b32 s0, exec_lo, s12
; %bb.2260:                             ;   in Loop: Header=BB440_1190 Depth=1
	v_bfe_u32 v3, v2, 16, 1
	s_delay_alu instid0(VALU_DEP_1)
	v_add3_u32 v60, v2, v3, 0x7fff
                                        ; implicit-def: $vgpr2
; %bb.2261:                             ;   in Loop: Header=BB440_1190 Depth=1
	s_and_not1_saveexec_b32 s12, s0
; %bb.2262:                             ;   in Loop: Header=BB440_1190 Depth=1
	v_and_b32_e32 v3, 0xffff, v2
	v_or_b32_e32 v6, 0x10000, v2
	s_delay_alu instid0(VALU_DEP_2) | instskip(NEXT) | instid1(VALU_DEP_1)
	v_cmp_eq_u32_e64 s0, 0, v3
	v_cndmask_b32_e64 v60, v6, v2, s0
; %bb.2263:                             ;   in Loop: Header=BB440_1190 Depth=1
	s_or_b32 exec_lo, exec_lo, s12
	flat_load_b64 v[2:3], v[0:1] offset:2048
	s_mov_b32 s12, exec_lo
	s_waitcnt vmcnt(0) lgkmcnt(0)
	v_dual_mov_b32 v6, 0 :: v_dual_and_b32 v7, 0xff, v2
	s_delay_alu instid0(VALU_DEP_1)
	v_cmpx_ne_u16_e32 0, v7
	s_cbranch_execz .LBB440_2271
; %bb.2264:                             ;   in Loop: Header=BB440_1190 Depth=1
	v_bfrev_b32_e32 v6, 1
	s_mov_b32 s13, exec_lo
	v_cmpx_ne_u16_e32 0x80, v7
	s_cbranch_execz .LBB440_2270
; %bb.2265:                             ;   in Loop: Header=BB440_1190 Depth=1
	v_and_b32_e32 v7, 0x7f, v2
	v_mov_b32_e32 v6, 0x7f800001
	s_mov_b32 s15, exec_lo
	s_delay_alu instid0(VALU_DEP_2)
	v_cmpx_ne_u32_e32 0x7f, v7
	s_cbranch_execz .LBB440_2269
; %bb.2266:                             ;   in Loop: Header=BB440_1190 Depth=1
	v_lshrrev_b32_e32 v9, 3, v7
	v_cmp_gt_u32_e64 s0, 8, v7
	v_dual_mov_b32 v7, v3 :: v_dual_mov_b32 v6, v2
	s_delay_alu instid0(VALU_DEP_2)
	s_and_saveexec_b32 s16, s0
; %bb.2267:                             ;   in Loop: Header=BB440_1190 Depth=1
	v_and_b32_e32 v6, 7, v2
	s_delay_alu instid0(VALU_DEP_1) | instskip(NEXT) | instid1(VALU_DEP_1)
	v_clz_i32_u32_e32 v6, v6
	v_min_u32_e32 v9, 32, v6
	s_delay_alu instid0(VALU_DEP_1) | instskip(SKIP_1) | instid1(VALU_DEP_2)
	v_subrev_nc_u32_e32 v6, 28, v9
	v_sub_nc_u32_e32 v9, 29, v9
	v_lshlrev_b64 v[6:7], v6, v[2:3]
; %bb.2268:                             ;   in Loop: Header=BB440_1190 Depth=1
	s_or_b32 exec_lo, exec_lo, s16
	s_delay_alu instid0(VALU_DEP_1) | instskip(SKIP_2) | instid1(VALU_DEP_3)
	v_lshlrev_b32_e32 v6, 20, v6
	v_lshlrev_b32_e32 v7, 24, v2
	v_lshl_add_u32 v9, v9, 23, 0x3c000000
	v_and_b32_e32 v6, 0x700000, v6
	s_delay_alu instid0(VALU_DEP_3) | instskip(NEXT) | instid1(VALU_DEP_1)
	v_and_b32_e32 v7, 0x80000000, v7
	v_or3_b32 v6, v6, v7, v9
.LBB440_2269:                           ;   in Loop: Header=BB440_1190 Depth=1
	s_or_b32 exec_lo, exec_lo, s15
.LBB440_2270:                           ;   in Loop: Header=BB440_1190 Depth=1
	s_delay_alu instid0(SALU_CYCLE_1)
	s_or_b32 exec_lo, exec_lo, s13
.LBB440_2271:                           ;   in Loop: Header=BB440_1190 Depth=1
	s_delay_alu instid0(SALU_CYCLE_1) | instskip(NEXT) | instid1(VALU_DEP_1)
	s_or_b32 exec_lo, exec_lo, s12
	v_mul_f32_e32 v6, v8, v6
                                        ; implicit-def: $vgpr61
	s_delay_alu instid0(VALU_DEP_1) | instskip(NEXT) | instid1(VALU_DEP_1)
	v_and_b32_e32 v7, 0x7f800000, v6
	v_cmp_ne_u32_e64 s0, 0x7f800000, v7
	s_delay_alu instid0(VALU_DEP_1) | instskip(NEXT) | instid1(SALU_CYCLE_1)
	s_and_saveexec_b32 s12, s0
	s_xor_b32 s0, exec_lo, s12
; %bb.2272:                             ;   in Loop: Header=BB440_1190 Depth=1
	v_bfe_u32 v7, v6, 16, 1
	s_delay_alu instid0(VALU_DEP_1)
	v_add3_u32 v61, v6, v7, 0x7fff
                                        ; implicit-def: $vgpr6
; %bb.2273:                             ;   in Loop: Header=BB440_1190 Depth=1
	s_and_not1_saveexec_b32 s12, s0
; %bb.2274:                             ;   in Loop: Header=BB440_1190 Depth=1
	v_and_b32_e32 v7, 0xffff, v6
	v_or_b32_e32 v9, 0x10000, v6
	s_delay_alu instid0(VALU_DEP_2) | instskip(NEXT) | instid1(VALU_DEP_1)
	v_cmp_eq_u32_e64 s0, 0, v7
	v_cndmask_b32_e64 v61, v9, v6, s0
; %bb.2275:                             ;   in Loop: Header=BB440_1190 Depth=1
	s_or_b32 exec_lo, exec_lo, s12
	v_lshrrev_b16 v7, 8, v2
	v_mov_b32_e32 v6, 0
	s_mov_b32 s12, exec_lo
	s_delay_alu instid0(VALU_DEP_2)
	v_cmpx_ne_u16_e32 0, v7
	s_cbranch_execz .LBB440_2283
; %bb.2276:                             ;   in Loop: Header=BB440_1190 Depth=1
	v_bfrev_b32_e32 v6, 1
	s_mov_b32 s13, exec_lo
	v_cmpx_ne_u16_e32 0x80, v7
	s_cbranch_execz .LBB440_2282
; %bb.2277:                             ;   in Loop: Header=BB440_1190 Depth=1
	v_and_b32_e32 v9, 0xffff, v7
	v_mov_b32_e32 v6, 0x7f800001
	s_mov_b32 s15, exec_lo
	s_delay_alu instid0(VALU_DEP_2) | instskip(NEXT) | instid1(VALU_DEP_1)
	v_and_b32_e32 v7, 0x7f, v9
	v_cmpx_ne_u32_e32 0x7f, v7
	s_cbranch_execz .LBB440_2281
; %bb.2278:                             ;   in Loop: Header=BB440_1190 Depth=1
	v_and_b32_e32 v9, 7, v9
	v_lshrrev_b32_e32 v62, 3, v7
	v_cmp_gt_u32_e64 s0, 8, v7
	s_delay_alu instid0(VALU_DEP_3) | instskip(NEXT) | instid1(VALU_DEP_2)
	v_dual_mov_b32 v6, v9 :: v_dual_mov_b32 v7, v10
	s_and_saveexec_b32 s16, s0
; %bb.2279:                             ;   in Loop: Header=BB440_1190 Depth=1
	v_clz_i32_u32_e32 v6, v9
	s_delay_alu instid0(VALU_DEP_1) | instskip(NEXT) | instid1(VALU_DEP_1)
	v_min_u32_e32 v62, 32, v6
	v_subrev_nc_u32_e32 v6, 28, v62
	v_sub_nc_u32_e32 v62, 29, v62
	s_delay_alu instid0(VALU_DEP_2) | instskip(NEXT) | instid1(VALU_DEP_1)
	v_lshlrev_b64 v[6:7], v6, v[9:10]
	v_and_b32_e32 v6, 7, v6
; %bb.2280:                             ;   in Loop: Header=BB440_1190 Depth=1
	s_or_b32 exec_lo, exec_lo, s16
	v_lshlrev_b32_e32 v7, 16, v2
	s_delay_alu instid0(VALU_DEP_2) | instskip(SKIP_1) | instid1(VALU_DEP_3)
	v_lshlrev_b32_e32 v6, 20, v6
	v_lshl_add_u32 v9, v62, 23, 0x3c000000
	v_and_b32_e32 v7, 0x80000000, v7
	s_delay_alu instid0(VALU_DEP_1)
	v_or3_b32 v6, v6, v7, v9
.LBB440_2281:                           ;   in Loop: Header=BB440_1190 Depth=1
	s_or_b32 exec_lo, exec_lo, s15
.LBB440_2282:                           ;   in Loop: Header=BB440_1190 Depth=1
	s_delay_alu instid0(SALU_CYCLE_1)
	s_or_b32 exec_lo, exec_lo, s13
.LBB440_2283:                           ;   in Loop: Header=BB440_1190 Depth=1
	s_delay_alu instid0(SALU_CYCLE_1) | instskip(NEXT) | instid1(VALU_DEP_1)
	s_or_b32 exec_lo, exec_lo, s12
	v_mul_f32_e32 v6, v8, v6
                                        ; implicit-def: $vgpr62
	s_delay_alu instid0(VALU_DEP_1) | instskip(NEXT) | instid1(VALU_DEP_1)
	v_and_b32_e32 v7, 0x7f800000, v6
	v_cmp_ne_u32_e64 s0, 0x7f800000, v7
	s_delay_alu instid0(VALU_DEP_1) | instskip(NEXT) | instid1(SALU_CYCLE_1)
	s_and_saveexec_b32 s12, s0
	s_xor_b32 s0, exec_lo, s12
; %bb.2284:                             ;   in Loop: Header=BB440_1190 Depth=1
	v_bfe_u32 v7, v6, 16, 1
	s_delay_alu instid0(VALU_DEP_1)
	v_add3_u32 v62, v6, v7, 0x7fff
                                        ; implicit-def: $vgpr6
; %bb.2285:                             ;   in Loop: Header=BB440_1190 Depth=1
	s_and_not1_saveexec_b32 s12, s0
; %bb.2286:                             ;   in Loop: Header=BB440_1190 Depth=1
	v_and_b32_e32 v7, 0xffff, v6
	v_or_b32_e32 v9, 0x10000, v6
	s_delay_alu instid0(VALU_DEP_2) | instskip(NEXT) | instid1(VALU_DEP_1)
	v_cmp_eq_u32_e64 s0, 0, v7
	v_cndmask_b32_e64 v62, v9, v6, s0
; %bb.2287:                             ;   in Loop: Header=BB440_1190 Depth=1
	s_or_b32 exec_lo, exec_lo, s12
	v_lshrrev_b32_e32 v63, 16, v2
	s_mov_b32 s12, exec_lo
	s_delay_alu instid0(VALU_DEP_1) | instskip(NEXT) | instid1(VALU_DEP_1)
	v_dual_mov_b32 v6, 0 :: v_dual_and_b32 v7, 0xff, v63
	v_cmpx_ne_u16_e32 0, v7
	s_cbranch_execz .LBB440_2295
; %bb.2288:                             ;   in Loop: Header=BB440_1190 Depth=1
	v_bfrev_b32_e32 v6, 1
	s_mov_b32 s13, exec_lo
	v_cmpx_ne_u16_e32 0x80, v7
	s_cbranch_execz .LBB440_2294
; %bb.2289:                             ;   in Loop: Header=BB440_1190 Depth=1
	v_bfe_u32 v7, v2, 16, 7
	v_mov_b32_e32 v6, 0x7f800001
	s_mov_b32 s15, exec_lo
	s_delay_alu instid0(VALU_DEP_2)
	v_cmpx_ne_u32_e32 0x7f, v7
	s_cbranch_execz .LBB440_2293
; %bb.2290:                             ;   in Loop: Header=BB440_1190 Depth=1
	v_and_b32_e32 v9, 7, v63
	v_lshrrev_b32_e32 v72, 3, v7
	v_cmp_gt_u32_e64 s0, 8, v7
	s_delay_alu instid0(VALU_DEP_3) | instskip(NEXT) | instid1(VALU_DEP_2)
	v_dual_mov_b32 v6, v9 :: v_dual_mov_b32 v7, v10
	s_and_saveexec_b32 s16, s0
; %bb.2291:                             ;   in Loop: Header=BB440_1190 Depth=1
	v_clz_i32_u32_e32 v6, v9
	s_delay_alu instid0(VALU_DEP_1) | instskip(NEXT) | instid1(VALU_DEP_1)
	v_min_u32_e32 v72, 32, v6
	v_subrev_nc_u32_e32 v6, 28, v72
	v_sub_nc_u32_e32 v72, 29, v72
	s_delay_alu instid0(VALU_DEP_2) | instskip(NEXT) | instid1(VALU_DEP_1)
	v_lshlrev_b64 v[6:7], v6, v[9:10]
	v_and_b32_e32 v6, 7, v6
; %bb.2292:                             ;   in Loop: Header=BB440_1190 Depth=1
	s_or_b32 exec_lo, exec_lo, s16
	v_lshlrev_b32_e32 v7, 24, v63
	s_delay_alu instid0(VALU_DEP_2) | instskip(SKIP_1) | instid1(VALU_DEP_3)
	v_lshlrev_b32_e32 v6, 20, v6
	v_lshl_add_u32 v9, v72, 23, 0x3c000000
	v_and_b32_e32 v7, 0x80000000, v7
	s_delay_alu instid0(VALU_DEP_1)
	v_or3_b32 v6, v6, v7, v9
.LBB440_2293:                           ;   in Loop: Header=BB440_1190 Depth=1
	s_or_b32 exec_lo, exec_lo, s15
.LBB440_2294:                           ;   in Loop: Header=BB440_1190 Depth=1
	s_delay_alu instid0(SALU_CYCLE_1)
	s_or_b32 exec_lo, exec_lo, s13
.LBB440_2295:                           ;   in Loop: Header=BB440_1190 Depth=1
	s_delay_alu instid0(SALU_CYCLE_1) | instskip(NEXT) | instid1(VALU_DEP_1)
	s_or_b32 exec_lo, exec_lo, s12
	v_mul_f32_e32 v6, v8, v6
                                        ; implicit-def: $vgpr63
	s_delay_alu instid0(VALU_DEP_1) | instskip(NEXT) | instid1(VALU_DEP_1)
	v_and_b32_e32 v7, 0x7f800000, v6
	v_cmp_ne_u32_e64 s0, 0x7f800000, v7
	s_delay_alu instid0(VALU_DEP_1) | instskip(NEXT) | instid1(SALU_CYCLE_1)
	s_and_saveexec_b32 s12, s0
	s_xor_b32 s0, exec_lo, s12
; %bb.2296:                             ;   in Loop: Header=BB440_1190 Depth=1
	v_bfe_u32 v7, v6, 16, 1
	s_delay_alu instid0(VALU_DEP_1)
	v_add3_u32 v63, v6, v7, 0x7fff
                                        ; implicit-def: $vgpr6
; %bb.2297:                             ;   in Loop: Header=BB440_1190 Depth=1
	s_and_not1_saveexec_b32 s12, s0
; %bb.2298:                             ;   in Loop: Header=BB440_1190 Depth=1
	v_and_b32_e32 v7, 0xffff, v6
	v_or_b32_e32 v9, 0x10000, v6
	s_delay_alu instid0(VALU_DEP_2) | instskip(NEXT) | instid1(VALU_DEP_1)
	v_cmp_eq_u32_e64 s0, 0, v7
	v_cndmask_b32_e64 v63, v9, v6, s0
; %bb.2299:                             ;   in Loop: Header=BB440_1190 Depth=1
	s_or_b32 exec_lo, exec_lo, s12
	v_mov_b32_e32 v6, 0
	s_mov_b32 s12, exec_lo
	v_cmpx_lt_u32_e32 0xffffff, v2
	s_cbranch_execz .LBB440_2307
; %bb.2300:                             ;   in Loop: Header=BB440_1190 Depth=1
	v_lshrrev_b32_e32 v72, 24, v2
	v_bfrev_b32_e32 v6, 1
	s_mov_b32 s13, exec_lo
	s_delay_alu instid0(VALU_DEP_2)
	v_cmpx_ne_u32_e32 0x80, v72
	s_cbranch_execz .LBB440_2306
; %bb.2301:                             ;   in Loop: Header=BB440_1190 Depth=1
	v_bfe_u32 v7, v2, 24, 7
	v_mov_b32_e32 v6, 0x7f800001
	s_mov_b32 s15, exec_lo
	s_delay_alu instid0(VALU_DEP_2)
	v_cmpx_ne_u32_e32 0x7f, v7
	s_cbranch_execz .LBB440_2305
; %bb.2302:                             ;   in Loop: Header=BB440_1190 Depth=1
	v_and_b32_e32 v9, 7, v72
	v_lshrrev_b32_e32 v73, 3, v7
	v_cmp_gt_u32_e64 s0, 8, v7
	s_delay_alu instid0(VALU_DEP_3) | instskip(NEXT) | instid1(VALU_DEP_2)
	v_dual_mov_b32 v6, v9 :: v_dual_mov_b32 v7, v10
	s_and_saveexec_b32 s16, s0
; %bb.2303:                             ;   in Loop: Header=BB440_1190 Depth=1
	v_clz_i32_u32_e32 v6, v9
	s_delay_alu instid0(VALU_DEP_1) | instskip(NEXT) | instid1(VALU_DEP_1)
	v_min_u32_e32 v73, 32, v6
	v_subrev_nc_u32_e32 v6, 28, v73
	v_sub_nc_u32_e32 v73, 29, v73
	s_delay_alu instid0(VALU_DEP_2) | instskip(NEXT) | instid1(VALU_DEP_1)
	v_lshlrev_b64 v[6:7], v6, v[9:10]
	v_and_b32_e32 v6, 7, v6
; %bb.2304:                             ;   in Loop: Header=BB440_1190 Depth=1
	s_or_b32 exec_lo, exec_lo, s16
	v_lshlrev_b32_e32 v7, 24, v72
	s_delay_alu instid0(VALU_DEP_2) | instskip(SKIP_1) | instid1(VALU_DEP_3)
	v_lshlrev_b32_e32 v6, 20, v6
	v_lshl_add_u32 v9, v73, 23, 0x3c000000
	v_and_b32_e32 v7, 0x80000000, v7
	s_delay_alu instid0(VALU_DEP_1)
	v_or3_b32 v6, v6, v7, v9
.LBB440_2305:                           ;   in Loop: Header=BB440_1190 Depth=1
	s_or_b32 exec_lo, exec_lo, s15
.LBB440_2306:                           ;   in Loop: Header=BB440_1190 Depth=1
	s_delay_alu instid0(SALU_CYCLE_1)
	s_or_b32 exec_lo, exec_lo, s13
.LBB440_2307:                           ;   in Loop: Header=BB440_1190 Depth=1
	s_delay_alu instid0(SALU_CYCLE_1) | instskip(NEXT) | instid1(VALU_DEP_1)
	s_or_b32 exec_lo, exec_lo, s12
	v_mul_f32_e32 v6, v8, v6
                                        ; implicit-def: $vgpr72
	s_delay_alu instid0(VALU_DEP_1) | instskip(NEXT) | instid1(VALU_DEP_1)
	v_and_b32_e32 v7, 0x7f800000, v6
	v_cmp_ne_u32_e64 s0, 0x7f800000, v7
	s_delay_alu instid0(VALU_DEP_1) | instskip(NEXT) | instid1(SALU_CYCLE_1)
	s_and_saveexec_b32 s12, s0
	s_xor_b32 s0, exec_lo, s12
; %bb.2308:                             ;   in Loop: Header=BB440_1190 Depth=1
	v_bfe_u32 v7, v6, 16, 1
	s_delay_alu instid0(VALU_DEP_1)
	v_add3_u32 v72, v6, v7, 0x7fff
                                        ; implicit-def: $vgpr6
; %bb.2309:                             ;   in Loop: Header=BB440_1190 Depth=1
	s_and_not1_saveexec_b32 s12, s0
; %bb.2310:                             ;   in Loop: Header=BB440_1190 Depth=1
	v_and_b32_e32 v7, 0xffff, v6
	v_or_b32_e32 v9, 0x10000, v6
	s_delay_alu instid0(VALU_DEP_2) | instskip(NEXT) | instid1(VALU_DEP_1)
	v_cmp_eq_u32_e64 s0, 0, v7
	v_cndmask_b32_e64 v72, v9, v6, s0
; %bb.2311:                             ;   in Loop: Header=BB440_1190 Depth=1
	s_or_b32 exec_lo, exec_lo, s12
	v_dual_mov_b32 v6, 0 :: v_dual_and_b32 v7, 0xff, v3
	v_mov_b32_e32 v9, v3
	s_mov_b32 s12, exec_lo
	s_delay_alu instid0(VALU_DEP_2)
	v_cmpx_ne_u16_e32 0, v7
	s_cbranch_execz .LBB440_2319
; %bb.2312:                             ;   in Loop: Header=BB440_1190 Depth=1
	v_bfrev_b32_e32 v6, 1
	s_mov_b32 s13, exec_lo
	v_cmpx_ne_u16_e32 0x80, v7
	s_cbranch_execz .LBB440_2318
; %bb.2313:                             ;   in Loop: Header=BB440_1190 Depth=1
	v_and_b32_e32 v7, 0x7f, v3
	v_mov_b32_e32 v6, 0x7f800001
	s_mov_b32 s15, exec_lo
	s_delay_alu instid0(VALU_DEP_2)
	v_cmpx_ne_u32_e32 0x7f, v7
	s_cbranch_execz .LBB440_2317
; %bb.2314:                             ;   in Loop: Header=BB440_1190 Depth=1
	v_lshrrev_b32_e32 v73, 3, v7
	v_cmp_gt_u32_e64 s0, 8, v7
	v_dual_mov_b32 v6, v9 :: v_dual_mov_b32 v7, v10
	s_delay_alu instid0(VALU_DEP_2)
	s_and_saveexec_b32 s16, s0
; %bb.2315:                             ;   in Loop: Header=BB440_1190 Depth=1
	v_and_b32_e32 v6, 7, v3
	s_delay_alu instid0(VALU_DEP_1) | instskip(NEXT) | instid1(VALU_DEP_1)
	v_clz_i32_u32_e32 v6, v6
	v_min_u32_e32 v73, 32, v6
	s_delay_alu instid0(VALU_DEP_1) | instskip(SKIP_1) | instid1(VALU_DEP_2)
	v_subrev_nc_u32_e32 v6, 28, v73
	v_sub_nc_u32_e32 v73, 29, v73
	v_lshlrev_b64 v[6:7], v6, v[9:10]
; %bb.2316:                             ;   in Loop: Header=BB440_1190 Depth=1
	s_or_b32 exec_lo, exec_lo, s16
	s_delay_alu instid0(VALU_DEP_1) | instskip(SKIP_2) | instid1(VALU_DEP_3)
	v_lshlrev_b32_e32 v6, 20, v6
	v_lshlrev_b32_e32 v7, 24, v9
	v_lshl_add_u32 v73, v73, 23, 0x3c000000
	v_and_b32_e32 v6, 0x700000, v6
	s_delay_alu instid0(VALU_DEP_3) | instskip(NEXT) | instid1(VALU_DEP_1)
	v_and_b32_e32 v7, 0x80000000, v7
	v_or3_b32 v6, v6, v7, v73
.LBB440_2317:                           ;   in Loop: Header=BB440_1190 Depth=1
	s_or_b32 exec_lo, exec_lo, s15
.LBB440_2318:                           ;   in Loop: Header=BB440_1190 Depth=1
	s_delay_alu instid0(SALU_CYCLE_1)
	s_or_b32 exec_lo, exec_lo, s13
.LBB440_2319:                           ;   in Loop: Header=BB440_1190 Depth=1
	s_delay_alu instid0(SALU_CYCLE_1) | instskip(NEXT) | instid1(VALU_DEP_1)
	s_or_b32 exec_lo, exec_lo, s12
	v_mul_f32_e32 v6, v8, v6
                                        ; implicit-def: $vgpr73
	s_delay_alu instid0(VALU_DEP_1) | instskip(NEXT) | instid1(VALU_DEP_1)
	v_and_b32_e32 v7, 0x7f800000, v6
	v_cmp_ne_u32_e64 s0, 0x7f800000, v7
	s_delay_alu instid0(VALU_DEP_1) | instskip(NEXT) | instid1(SALU_CYCLE_1)
	s_and_saveexec_b32 s12, s0
	s_xor_b32 s0, exec_lo, s12
; %bb.2320:                             ;   in Loop: Header=BB440_1190 Depth=1
	v_bfe_u32 v7, v6, 16, 1
	s_delay_alu instid0(VALU_DEP_1)
	v_add3_u32 v73, v6, v7, 0x7fff
                                        ; implicit-def: $vgpr6
; %bb.2321:                             ;   in Loop: Header=BB440_1190 Depth=1
	s_and_not1_saveexec_b32 s12, s0
; %bb.2322:                             ;   in Loop: Header=BB440_1190 Depth=1
	v_and_b32_e32 v7, 0xffff, v6
	v_or_b32_e32 v73, 0x10000, v6
	s_delay_alu instid0(VALU_DEP_2) | instskip(NEXT) | instid1(VALU_DEP_1)
	v_cmp_eq_u32_e64 s0, 0, v7
	v_cndmask_b32_e64 v73, v73, v6, s0
; %bb.2323:                             ;   in Loop: Header=BB440_1190 Depth=1
	s_or_b32 exec_lo, exec_lo, s12
	v_lshrrev_b16 v7, 8, v9
	v_mov_b32_e32 v6, 0
	s_mov_b32 s12, exec_lo
	s_delay_alu instid0(VALU_DEP_2)
	v_cmpx_ne_u16_e32 0, v7
	s_cbranch_execz .LBB440_2331
; %bb.2324:                             ;   in Loop: Header=BB440_1190 Depth=1
	v_bfrev_b32_e32 v6, 1
	s_mov_b32 s13, exec_lo
	v_cmpx_ne_u16_e32 0x80, v7
	s_cbranch_execz .LBB440_2330
; %bb.2325:                             ;   in Loop: Header=BB440_1190 Depth=1
	v_and_b32_e32 v7, 0xffff, v7
	v_mov_b32_e32 v6, 0x7f800001
	s_mov_b32 s15, exec_lo
	s_delay_alu instid0(VALU_DEP_2) | instskip(NEXT) | instid1(VALU_DEP_1)
	v_and_b32_e32 v75, 0x7f, v7
	v_cmpx_ne_u32_e32 0x7f, v75
	s_cbranch_execz .LBB440_2329
; %bb.2326:                             ;   in Loop: Header=BB440_1190 Depth=1
	v_dual_mov_b32 v7, v10 :: v_dual_and_b32 v6, 7, v7
	v_lshrrev_b32_e32 v74, 3, v75
	s_mov_b32 s16, exec_lo
	v_cmpx_gt_u32_e32 8, v75
; %bb.2327:                             ;   in Loop: Header=BB440_1190 Depth=1
	s_delay_alu instid0(VALU_DEP_3) | instskip(NEXT) | instid1(VALU_DEP_1)
	v_clz_i32_u32_e32 v74, v6
	v_min_u32_e32 v74, 32, v74
	s_delay_alu instid0(VALU_DEP_1) | instskip(SKIP_1) | instid1(VALU_DEP_2)
	v_subrev_nc_u32_e32 v75, 28, v74
	v_sub_nc_u32_e32 v74, 29, v74
	v_lshlrev_b64 v[6:7], v75, v[6:7]
	s_delay_alu instid0(VALU_DEP_1)
	v_and_b32_e32 v6, 7, v6
; %bb.2328:                             ;   in Loop: Header=BB440_1190 Depth=1
	s_or_b32 exec_lo, exec_lo, s16
	v_lshlrev_b32_e32 v7, 16, v9
	s_delay_alu instid0(VALU_DEP_2) | instskip(SKIP_1) | instid1(VALU_DEP_3)
	v_lshlrev_b32_e32 v6, 20, v6
	v_lshl_add_u32 v9, v74, 23, 0x3c000000
	v_and_b32_e32 v7, 0x80000000, v7
	s_delay_alu instid0(VALU_DEP_1)
	v_or3_b32 v6, v6, v7, v9
.LBB440_2329:                           ;   in Loop: Header=BB440_1190 Depth=1
	s_or_b32 exec_lo, exec_lo, s15
.LBB440_2330:                           ;   in Loop: Header=BB440_1190 Depth=1
	s_delay_alu instid0(SALU_CYCLE_1)
	s_or_b32 exec_lo, exec_lo, s13
.LBB440_2331:                           ;   in Loop: Header=BB440_1190 Depth=1
	s_delay_alu instid0(SALU_CYCLE_1) | instskip(NEXT) | instid1(VALU_DEP_1)
	s_or_b32 exec_lo, exec_lo, s12
	v_mul_f32_e32 v6, v8, v6
                                        ; implicit-def: $vgpr74
	s_delay_alu instid0(VALU_DEP_1) | instskip(NEXT) | instid1(VALU_DEP_1)
	v_and_b32_e32 v7, 0x7f800000, v6
	v_cmp_ne_u32_e64 s0, 0x7f800000, v7
	s_delay_alu instid0(VALU_DEP_1) | instskip(NEXT) | instid1(SALU_CYCLE_1)
	s_and_saveexec_b32 s12, s0
	s_xor_b32 s0, exec_lo, s12
; %bb.2332:                             ;   in Loop: Header=BB440_1190 Depth=1
	v_bfe_u32 v7, v6, 16, 1
	s_delay_alu instid0(VALU_DEP_1)
	v_add3_u32 v74, v6, v7, 0x7fff
                                        ; implicit-def: $vgpr6
; %bb.2333:                             ;   in Loop: Header=BB440_1190 Depth=1
	s_and_not1_saveexec_b32 s12, s0
; %bb.2334:                             ;   in Loop: Header=BB440_1190 Depth=1
	v_and_b32_e32 v7, 0xffff, v6
	v_or_b32_e32 v9, 0x10000, v6
	s_delay_alu instid0(VALU_DEP_2) | instskip(NEXT) | instid1(VALU_DEP_1)
	v_cmp_eq_u32_e64 s0, 0, v7
	v_cndmask_b32_e64 v74, v9, v6, s0
; %bb.2335:                             ;   in Loop: Header=BB440_1190 Depth=1
	s_or_b32 exec_lo, exec_lo, s12
	v_lshrrev_b32_e32 v75, 16, v3
	s_mov_b32 s12, exec_lo
	s_delay_alu instid0(VALU_DEP_1) | instskip(NEXT) | instid1(VALU_DEP_1)
	v_dual_mov_b32 v6, 0 :: v_dual_and_b32 v7, 0xff, v75
	v_cmpx_ne_u16_e32 0, v7
	s_cbranch_execz .LBB440_2343
; %bb.2336:                             ;   in Loop: Header=BB440_1190 Depth=1
	v_bfrev_b32_e32 v6, 1
	s_mov_b32 s13, exec_lo
	v_cmpx_ne_u16_e32 0x80, v7
	s_cbranch_execz .LBB440_2342
; %bb.2337:                             ;   in Loop: Header=BB440_1190 Depth=1
	v_bfe_u32 v7, v3, 16, 7
	v_mov_b32_e32 v6, 0x7f800001
	s_mov_b32 s15, exec_lo
	s_delay_alu instid0(VALU_DEP_2)
	v_cmpx_ne_u32_e32 0x7f, v7
	s_cbranch_execz .LBB440_2341
; %bb.2338:                             ;   in Loop: Header=BB440_1190 Depth=1
	v_and_b32_e32 v9, 7, v75
	v_lshrrev_b32_e32 v76, 3, v7
	v_cmp_gt_u32_e64 s0, 8, v7
	s_delay_alu instid0(VALU_DEP_3) | instskip(NEXT) | instid1(VALU_DEP_2)
	v_dual_mov_b32 v6, v9 :: v_dual_mov_b32 v7, v10
	s_and_saveexec_b32 s16, s0
; %bb.2339:                             ;   in Loop: Header=BB440_1190 Depth=1
	v_clz_i32_u32_e32 v6, v9
	s_delay_alu instid0(VALU_DEP_1) | instskip(NEXT) | instid1(VALU_DEP_1)
	v_min_u32_e32 v76, 32, v6
	v_subrev_nc_u32_e32 v6, 28, v76
	v_sub_nc_u32_e32 v76, 29, v76
	s_delay_alu instid0(VALU_DEP_2) | instskip(NEXT) | instid1(VALU_DEP_1)
	v_lshlrev_b64 v[6:7], v6, v[9:10]
	v_and_b32_e32 v6, 7, v6
; %bb.2340:                             ;   in Loop: Header=BB440_1190 Depth=1
	s_or_b32 exec_lo, exec_lo, s16
	v_lshlrev_b32_e32 v7, 24, v75
	s_delay_alu instid0(VALU_DEP_2) | instskip(SKIP_1) | instid1(VALU_DEP_3)
	v_lshlrev_b32_e32 v6, 20, v6
	v_lshl_add_u32 v9, v76, 23, 0x3c000000
	v_and_b32_e32 v7, 0x80000000, v7
	s_delay_alu instid0(VALU_DEP_1)
	v_or3_b32 v6, v6, v7, v9
.LBB440_2341:                           ;   in Loop: Header=BB440_1190 Depth=1
	s_or_b32 exec_lo, exec_lo, s15
.LBB440_2342:                           ;   in Loop: Header=BB440_1190 Depth=1
	s_delay_alu instid0(SALU_CYCLE_1)
	s_or_b32 exec_lo, exec_lo, s13
.LBB440_2343:                           ;   in Loop: Header=BB440_1190 Depth=1
	s_delay_alu instid0(SALU_CYCLE_1) | instskip(NEXT) | instid1(VALU_DEP_1)
	s_or_b32 exec_lo, exec_lo, s12
	v_mul_f32_e32 v6, v8, v6
                                        ; implicit-def: $vgpr75
	s_delay_alu instid0(VALU_DEP_1) | instskip(NEXT) | instid1(VALU_DEP_1)
	v_and_b32_e32 v7, 0x7f800000, v6
	v_cmp_ne_u32_e64 s0, 0x7f800000, v7
	s_delay_alu instid0(VALU_DEP_1) | instskip(NEXT) | instid1(SALU_CYCLE_1)
	s_and_saveexec_b32 s12, s0
	s_xor_b32 s0, exec_lo, s12
; %bb.2344:                             ;   in Loop: Header=BB440_1190 Depth=1
	v_bfe_u32 v7, v6, 16, 1
	s_delay_alu instid0(VALU_DEP_1)
	v_add3_u32 v75, v6, v7, 0x7fff
                                        ; implicit-def: $vgpr6
; %bb.2345:                             ;   in Loop: Header=BB440_1190 Depth=1
	s_and_not1_saveexec_b32 s12, s0
; %bb.2346:                             ;   in Loop: Header=BB440_1190 Depth=1
	v_and_b32_e32 v7, 0xffff, v6
	v_or_b32_e32 v9, 0x10000, v6
	s_delay_alu instid0(VALU_DEP_2) | instskip(NEXT) | instid1(VALU_DEP_1)
	v_cmp_eq_u32_e64 s0, 0, v7
	v_cndmask_b32_e64 v75, v9, v6, s0
; %bb.2347:                             ;   in Loop: Header=BB440_1190 Depth=1
	s_or_b32 exec_lo, exec_lo, s12
	v_cmp_lt_u64_e64 s0, s[8:9], v[2:3]
	v_mov_b32_e32 v2, 0
	s_delay_alu instid0(VALU_DEP_2)
	s_and_saveexec_b32 s12, s0
	s_cbranch_execz .LBB440_2355
; %bb.2348:                             ;   in Loop: Header=BB440_1190 Depth=1
	v_lshrrev_b32_e32 v6, 24, v3
	v_bfrev_b32_e32 v2, 1
	s_mov_b32 s13, exec_lo
	s_delay_alu instid0(VALU_DEP_2)
	v_cmpx_ne_u32_e32 0x80, v6
	s_cbranch_execz .LBB440_2354
; %bb.2349:                             ;   in Loop: Header=BB440_1190 Depth=1
	v_bfe_u32 v3, v3, 24, 7
	v_mov_b32_e32 v2, 0x7f800001
	s_mov_b32 s15, exec_lo
	s_delay_alu instid0(VALU_DEP_2)
	v_cmpx_ne_u32_e32 0x7f, v3
	s_cbranch_execz .LBB440_2353
; %bb.2350:                             ;   in Loop: Header=BB440_1190 Depth=1
	v_and_b32_e32 v9, 7, v6
	v_lshrrev_b32_e32 v7, 3, v3
	v_cmp_gt_u32_e64 s0, 8, v3
	s_delay_alu instid0(VALU_DEP_3) | instskip(NEXT) | instid1(VALU_DEP_2)
	v_dual_mov_b32 v2, v9 :: v_dual_mov_b32 v3, v10
	s_and_saveexec_b32 s16, s0
; %bb.2351:                             ;   in Loop: Header=BB440_1190 Depth=1
	v_clz_i32_u32_e32 v2, v9
	s_delay_alu instid0(VALU_DEP_1) | instskip(NEXT) | instid1(VALU_DEP_1)
	v_min_u32_e32 v7, 32, v2
	v_subrev_nc_u32_e32 v2, 28, v7
	v_sub_nc_u32_e32 v7, 29, v7
	s_delay_alu instid0(VALU_DEP_2) | instskip(NEXT) | instid1(VALU_DEP_1)
	v_lshlrev_b64 v[2:3], v2, v[9:10]
	v_and_b32_e32 v2, 7, v2
; %bb.2352:                             ;   in Loop: Header=BB440_1190 Depth=1
	s_or_b32 exec_lo, exec_lo, s16
	v_lshlrev_b32_e32 v3, 24, v6
	s_delay_alu instid0(VALU_DEP_2) | instskip(SKIP_1) | instid1(VALU_DEP_3)
	v_lshlrev_b32_e32 v2, 20, v2
	v_lshl_add_u32 v6, v7, 23, 0x3c000000
	v_and_b32_e32 v3, 0x80000000, v3
	s_delay_alu instid0(VALU_DEP_1)
	v_or3_b32 v2, v2, v3, v6
.LBB440_2353:                           ;   in Loop: Header=BB440_1190 Depth=1
	s_or_b32 exec_lo, exec_lo, s15
.LBB440_2354:                           ;   in Loop: Header=BB440_1190 Depth=1
	s_delay_alu instid0(SALU_CYCLE_1)
	s_or_b32 exec_lo, exec_lo, s13
.LBB440_2355:                           ;   in Loop: Header=BB440_1190 Depth=1
	s_delay_alu instid0(SALU_CYCLE_1) | instskip(NEXT) | instid1(VALU_DEP_1)
	s_or_b32 exec_lo, exec_lo, s12
	v_mul_f32_e32 v3, v8, v2
	s_delay_alu instid0(VALU_DEP_1) | instskip(NEXT) | instid1(VALU_DEP_1)
	v_and_b32_e32 v2, 0x7f800000, v3
	v_cmp_ne_u32_e64 s0, 0x7f800000, v2
                                        ; implicit-def: $vgpr2
	s_delay_alu instid0(VALU_DEP_1) | instskip(NEXT) | instid1(SALU_CYCLE_1)
	s_and_saveexec_b32 s12, s0
	s_xor_b32 s0, exec_lo, s12
; %bb.2356:                             ;   in Loop: Header=BB440_1190 Depth=1
	v_bfe_u32 v2, v3, 16, 1
	s_delay_alu instid0(VALU_DEP_1)
	v_add3_u32 v2, v3, v2, 0x7fff
                                        ; implicit-def: $vgpr3
; %bb.2357:                             ;   in Loop: Header=BB440_1190 Depth=1
	s_and_not1_saveexec_b32 s12, s0
; %bb.2358:                             ;   in Loop: Header=BB440_1190 Depth=1
	v_and_b32_e32 v2, 0xffff, v3
	v_or_b32_e32 v6, 0x10000, v3
	s_delay_alu instid0(VALU_DEP_2) | instskip(NEXT) | instid1(VALU_DEP_1)
	v_cmp_eq_u32_e64 s0, 0, v2
	v_cndmask_b32_e64 v2, v6, v3, s0
; %bb.2359:                             ;   in Loop: Header=BB440_1190 Depth=1
	s_or_b32 exec_lo, exec_lo, s12
	v_lshrrev_b32_e32 v6, 16, v74
	v_lshrrev_b32_e32 v7, 16, v73
	;; [unrolled: 1-line block ×8, first 2 shown]
	s_and_saveexec_b32 s12, vcc_lo
	s_cbranch_execz .LBB440_2361
; %bb.2360:                             ;   in Loop: Header=BB440_1190 Depth=1
	v_cmp_lt_i32_e64 s0, v82, v38
	s_delay_alu instid0(VALU_DEP_1) | instskip(SKIP_1) | instid1(VALU_DEP_1)
	v_cndmask_b32_e64 v61, 0, v61, s0
	v_cmp_lt_i32_e64 s0, v97, v38
	v_cndmask_b32_e64 v62, 0, v62, s0
	v_cmp_lt_i32_e64 s0, v96, v38
	s_delay_alu instid0(VALU_DEP_1) | instskip(SKIP_1) | instid1(VALU_DEP_1)
	v_cndmask_b32_e64 v63, 0, v63, s0
	v_cmp_lt_i32_e64 s0, v87, v38
	v_cndmask_b32_e64 v9, 0, v9, s0
	;; [unrolled: 5-line block ×4, first 2 shown]
.LBB440_2361:                           ;   in Loop: Header=BB440_1190 Depth=1
	s_or_b32 exec_lo, exec_lo, s12
	v_lshlrev_b32_e32 v61, 16, v61
	s_delay_alu instid0(VALU_DEP_1) | instskip(NEXT) | instid1(VALU_DEP_1)
	v_mul_f32_e32 v72, v98, v61
	v_and_b32_e32 v61, 0x7f800000, v72
	s_delay_alu instid0(VALU_DEP_1) | instskip(NEXT) | instid1(VALU_DEP_1)
	v_cmp_ne_u32_e64 s0, 0x7f800000, v61
                                        ; implicit-def: $vgpr61
	s_and_saveexec_b32 s12, s0
	s_delay_alu instid0(SALU_CYCLE_1)
	s_xor_b32 s0, exec_lo, s12
; %bb.2362:                             ;   in Loop: Header=BB440_1190 Depth=1
	v_bfe_u32 v61, v72, 16, 1
	s_delay_alu instid0(VALU_DEP_1)
	v_add3_u32 v61, v72, v61, 0x7fff
                                        ; implicit-def: $vgpr72
; %bb.2363:                             ;   in Loop: Header=BB440_1190 Depth=1
	s_and_not1_saveexec_b32 s12, s0
; %bb.2364:                             ;   in Loop: Header=BB440_1190 Depth=1
	v_and_b32_e32 v61, 0xffff, v72
	v_or_b32_e32 v73, 0x10000, v72
	s_delay_alu instid0(VALU_DEP_2) | instskip(NEXT) | instid1(VALU_DEP_1)
	v_cmp_eq_u32_e64 s0, 0, v61
	v_cndmask_b32_e64 v61, v73, v72, s0
; %bb.2365:                             ;   in Loop: Header=BB440_1190 Depth=1
	s_or_b32 exec_lo, exec_lo, s12
	v_lshlrev_b32_e32 v62, 16, v62
	s_delay_alu instid0(VALU_DEP_1) | instskip(NEXT) | instid1(VALU_DEP_1)
	v_mul_f32_e32 v72, v99, v62
	v_and_b32_e32 v62, 0x7f800000, v72
	s_delay_alu instid0(VALU_DEP_1) | instskip(NEXT) | instid1(VALU_DEP_1)
	v_cmp_ne_u32_e64 s0, 0x7f800000, v62
                                        ; implicit-def: $vgpr62
	s_and_saveexec_b32 s12, s0
	s_delay_alu instid0(SALU_CYCLE_1)
	s_xor_b32 s0, exec_lo, s12
; %bb.2366:                             ;   in Loop: Header=BB440_1190 Depth=1
	v_bfe_u32 v62, v72, 16, 1
	s_delay_alu instid0(VALU_DEP_1)
	v_add3_u32 v62, v72, v62, 0x7fff
                                        ; implicit-def: $vgpr72
; %bb.2367:                             ;   in Loop: Header=BB440_1190 Depth=1
	s_and_not1_saveexec_b32 s12, s0
; %bb.2368:                             ;   in Loop: Header=BB440_1190 Depth=1
	v_and_b32_e32 v62, 0xffff, v72
	v_or_b32_e32 v73, 0x10000, v72
	s_delay_alu instid0(VALU_DEP_2) | instskip(NEXT) | instid1(VALU_DEP_1)
	v_cmp_eq_u32_e64 s0, 0, v62
	v_cndmask_b32_e64 v62, v73, v72, s0
; %bb.2369:                             ;   in Loop: Header=BB440_1190 Depth=1
	s_or_b32 exec_lo, exec_lo, s12
	v_lshlrev_b32_e32 v63, 16, v63
	s_delay_alu instid0(VALU_DEP_1) | instskip(NEXT) | instid1(VALU_DEP_1)
	v_mul_f32_e32 v72, v100, v63
	v_and_b32_e32 v63, 0x7f800000, v72
	s_delay_alu instid0(VALU_DEP_1) | instskip(NEXT) | instid1(VALU_DEP_1)
	v_cmp_ne_u32_e64 s0, 0x7f800000, v63
                                        ; implicit-def: $vgpr63
	s_and_saveexec_b32 s12, s0
	s_delay_alu instid0(SALU_CYCLE_1)
	s_xor_b32 s0, exec_lo, s12
; %bb.2370:                             ;   in Loop: Header=BB440_1190 Depth=1
	v_bfe_u32 v63, v72, 16, 1
	s_delay_alu instid0(VALU_DEP_1)
	v_add3_u32 v63, v72, v63, 0x7fff
                                        ; implicit-def: $vgpr72
; %bb.2371:                             ;   in Loop: Header=BB440_1190 Depth=1
	s_and_not1_saveexec_b32 s12, s0
; %bb.2372:                             ;   in Loop: Header=BB440_1190 Depth=1
	v_and_b32_e32 v63, 0xffff, v72
	v_or_b32_e32 v73, 0x10000, v72
	s_delay_alu instid0(VALU_DEP_2) | instskip(NEXT) | instid1(VALU_DEP_1)
	v_cmp_eq_u32_e64 s0, 0, v63
	v_cndmask_b32_e64 v63, v73, v72, s0
; %bb.2373:                             ;   in Loop: Header=BB440_1190 Depth=1
	s_or_b32 exec_lo, exec_lo, s12
	v_lshlrev_b32_e32 v9, 16, v9
	s_delay_alu instid0(VALU_DEP_1) | instskip(NEXT) | instid1(VALU_DEP_1)
	v_mul_f32_e32 v9, v101, v9
	v_and_b32_e32 v72, 0x7f800000, v9
	s_delay_alu instid0(VALU_DEP_1) | instskip(NEXT) | instid1(VALU_DEP_1)
	v_cmp_ne_u32_e64 s0, 0x7f800000, v72
                                        ; implicit-def: $vgpr72
	s_and_saveexec_b32 s12, s0
	s_delay_alu instid0(SALU_CYCLE_1)
	s_xor_b32 s0, exec_lo, s12
; %bb.2374:                             ;   in Loop: Header=BB440_1190 Depth=1
	v_bfe_u32 v72, v9, 16, 1
	s_delay_alu instid0(VALU_DEP_1)
	v_add3_u32 v72, v9, v72, 0x7fff
                                        ; implicit-def: $vgpr9
; %bb.2375:                             ;   in Loop: Header=BB440_1190 Depth=1
	s_and_not1_saveexec_b32 s12, s0
; %bb.2376:                             ;   in Loop: Header=BB440_1190 Depth=1
	v_and_b32_e32 v72, 0xffff, v9
	v_or_b32_e32 v73, 0x10000, v9
	s_delay_alu instid0(VALU_DEP_2) | instskip(NEXT) | instid1(VALU_DEP_1)
	v_cmp_eq_u32_e64 s0, 0, v72
	v_cndmask_b32_e64 v72, v73, v9, s0
; %bb.2377:                             ;   in Loop: Header=BB440_1190 Depth=1
	s_or_b32 exec_lo, exec_lo, s12
	v_lshlrev_b32_e32 v7, 16, v7
                                        ; implicit-def: $vgpr73
	s_delay_alu instid0(VALU_DEP_1) | instskip(NEXT) | instid1(VALU_DEP_1)
	v_mul_f32_e32 v7, v102, v7
	v_and_b32_e32 v9, 0x7f800000, v7
	s_delay_alu instid0(VALU_DEP_1) | instskip(NEXT) | instid1(VALU_DEP_1)
	v_cmp_ne_u32_e64 s0, 0x7f800000, v9
	s_and_saveexec_b32 s12, s0
	s_delay_alu instid0(SALU_CYCLE_1)
	s_xor_b32 s0, exec_lo, s12
; %bb.2378:                             ;   in Loop: Header=BB440_1190 Depth=1
	v_bfe_u32 v9, v7, 16, 1
	s_delay_alu instid0(VALU_DEP_1)
	v_add3_u32 v73, v7, v9, 0x7fff
                                        ; implicit-def: $vgpr7
; %bb.2379:                             ;   in Loop: Header=BB440_1190 Depth=1
	s_and_not1_saveexec_b32 s12, s0
; %bb.2380:                             ;   in Loop: Header=BB440_1190 Depth=1
	v_and_b32_e32 v9, 0xffff, v7
	v_or_b32_e32 v73, 0x10000, v7
	s_delay_alu instid0(VALU_DEP_2) | instskip(NEXT) | instid1(VALU_DEP_1)
	v_cmp_eq_u32_e64 s0, 0, v9
	v_cndmask_b32_e64 v73, v73, v7, s0
; %bb.2381:                             ;   in Loop: Header=BB440_1190 Depth=1
	s_or_b32 exec_lo, exec_lo, s12
	v_lshlrev_b32_e32 v6, 16, v6
                                        ; implicit-def: $vgpr74
	s_delay_alu instid0(VALU_DEP_1) | instskip(NEXT) | instid1(VALU_DEP_1)
	v_mul_f32_e32 v6, v103, v6
	v_and_b32_e32 v7, 0x7f800000, v6
	s_delay_alu instid0(VALU_DEP_1) | instskip(NEXT) | instid1(VALU_DEP_1)
	v_cmp_ne_u32_e64 s0, 0x7f800000, v7
	s_and_saveexec_b32 s12, s0
	s_delay_alu instid0(SALU_CYCLE_1)
	s_xor_b32 s0, exec_lo, s12
; %bb.2382:                             ;   in Loop: Header=BB440_1190 Depth=1
	v_bfe_u32 v7, v6, 16, 1
	s_delay_alu instid0(VALU_DEP_1)
	v_add3_u32 v74, v6, v7, 0x7fff
                                        ; implicit-def: $vgpr6
; %bb.2383:                             ;   in Loop: Header=BB440_1190 Depth=1
	s_and_not1_saveexec_b32 s12, s0
; %bb.2384:                             ;   in Loop: Header=BB440_1190 Depth=1
	v_and_b32_e32 v7, 0xffff, v6
	v_or_b32_e32 v9, 0x10000, v6
	s_delay_alu instid0(VALU_DEP_2) | instskip(NEXT) | instid1(VALU_DEP_1)
	v_cmp_eq_u32_e64 s0, 0, v7
	v_cndmask_b32_e64 v74, v9, v6, s0
; %bb.2385:                             ;   in Loop: Header=BB440_1190 Depth=1
	s_or_b32 exec_lo, exec_lo, s12
	v_lshlrev_b32_e32 v3, 16, v3
                                        ; implicit-def: $vgpr75
	s_delay_alu instid0(VALU_DEP_1) | instskip(NEXT) | instid1(VALU_DEP_1)
	v_mul_f32_e32 v3, v112, v3
	v_and_b32_e32 v6, 0x7f800000, v3
	s_delay_alu instid0(VALU_DEP_1) | instskip(NEXT) | instid1(VALU_DEP_1)
	v_cmp_ne_u32_e64 s0, 0x7f800000, v6
	s_and_saveexec_b32 s12, s0
	s_delay_alu instid0(SALU_CYCLE_1)
	s_xor_b32 s0, exec_lo, s12
; %bb.2386:                             ;   in Loop: Header=BB440_1190 Depth=1
	v_bfe_u32 v6, v3, 16, 1
	s_delay_alu instid0(VALU_DEP_1)
	v_add3_u32 v75, v3, v6, 0x7fff
                                        ; implicit-def: $vgpr3
; %bb.2387:                             ;   in Loop: Header=BB440_1190 Depth=1
	s_and_not1_saveexec_b32 s12, s0
; %bb.2388:                             ;   in Loop: Header=BB440_1190 Depth=1
	v_and_b32_e32 v6, 0xffff, v3
	v_or_b32_e32 v7, 0x10000, v3
	s_delay_alu instid0(VALU_DEP_2) | instskip(NEXT) | instid1(VALU_DEP_1)
	v_cmp_eq_u32_e64 s0, 0, v6
	v_cndmask_b32_e64 v75, v7, v3, s0
; %bb.2389:                             ;   in Loop: Header=BB440_1190 Depth=1
	s_or_b32 exec_lo, exec_lo, s12
	v_lshlrev_b32_e32 v2, 16, v2
                                        ; implicit-def: $vgpr76
	s_delay_alu instid0(VALU_DEP_1) | instskip(NEXT) | instid1(VALU_DEP_1)
	v_mul_f32_e32 v2, v113, v2
	v_and_b32_e32 v3, 0x7f800000, v2
	s_delay_alu instid0(VALU_DEP_1) | instskip(NEXT) | instid1(VALU_DEP_1)
	v_cmp_ne_u32_e64 s0, 0x7f800000, v3
	s_and_saveexec_b32 s12, s0
	s_delay_alu instid0(SALU_CYCLE_1)
	s_xor_b32 s0, exec_lo, s12
; %bb.2390:                             ;   in Loop: Header=BB440_1190 Depth=1
	v_bfe_u32 v3, v2, 16, 1
	s_delay_alu instid0(VALU_DEP_1)
	v_add3_u32 v76, v2, v3, 0x7fff
                                        ; implicit-def: $vgpr2
; %bb.2391:                             ;   in Loop: Header=BB440_1190 Depth=1
	s_and_not1_saveexec_b32 s12, s0
; %bb.2392:                             ;   in Loop: Header=BB440_1190 Depth=1
	v_and_b32_e32 v3, 0xffff, v2
	v_or_b32_e32 v6, 0x10000, v2
	s_delay_alu instid0(VALU_DEP_2) | instskip(NEXT) | instid1(VALU_DEP_1)
	v_cmp_eq_u32_e64 s0, 0, v3
	v_cndmask_b32_e64 v76, v6, v2, s0
; %bb.2393:                             ;   in Loop: Header=BB440_1190 Depth=1
	s_or_b32 exec_lo, exec_lo, s12
	flat_load_b64 v[2:3], v[0:1] offset:2304
	s_mov_b32 s12, exec_lo
	s_waitcnt vmcnt(0) lgkmcnt(0)
	v_dual_mov_b32 v6, 0 :: v_dual_and_b32 v7, 0xff, v2
	s_delay_alu instid0(VALU_DEP_1)
	v_cmpx_ne_u16_e32 0, v7
	s_cbranch_execz .LBB440_2401
; %bb.2394:                             ;   in Loop: Header=BB440_1190 Depth=1
	v_bfrev_b32_e32 v6, 1
	s_mov_b32 s13, exec_lo
	v_cmpx_ne_u16_e32 0x80, v7
	s_cbranch_execz .LBB440_2400
; %bb.2395:                             ;   in Loop: Header=BB440_1190 Depth=1
	v_and_b32_e32 v7, 0x7f, v2
	v_mov_b32_e32 v6, 0x7f800001
	s_mov_b32 s15, exec_lo
	s_delay_alu instid0(VALU_DEP_2)
	v_cmpx_ne_u32_e32 0x7f, v7
	s_cbranch_execz .LBB440_2399
; %bb.2396:                             ;   in Loop: Header=BB440_1190 Depth=1
	v_lshrrev_b32_e32 v9, 3, v7
	v_cmp_gt_u32_e64 s0, 8, v7
	v_dual_mov_b32 v7, v3 :: v_dual_mov_b32 v6, v2
	s_delay_alu instid0(VALU_DEP_2)
	s_and_saveexec_b32 s16, s0
; %bb.2397:                             ;   in Loop: Header=BB440_1190 Depth=1
	v_and_b32_e32 v6, 7, v2
	s_delay_alu instid0(VALU_DEP_1) | instskip(NEXT) | instid1(VALU_DEP_1)
	v_clz_i32_u32_e32 v6, v6
	v_min_u32_e32 v9, 32, v6
	s_delay_alu instid0(VALU_DEP_1) | instskip(SKIP_1) | instid1(VALU_DEP_2)
	v_subrev_nc_u32_e32 v6, 28, v9
	v_sub_nc_u32_e32 v9, 29, v9
	v_lshlrev_b64 v[6:7], v6, v[2:3]
; %bb.2398:                             ;   in Loop: Header=BB440_1190 Depth=1
	s_or_b32 exec_lo, exec_lo, s16
	s_delay_alu instid0(VALU_DEP_1) | instskip(SKIP_2) | instid1(VALU_DEP_3)
	v_lshlrev_b32_e32 v6, 20, v6
	v_lshlrev_b32_e32 v7, 24, v2
	v_lshl_add_u32 v9, v9, 23, 0x3c000000
	v_and_b32_e32 v6, 0x700000, v6
	s_delay_alu instid0(VALU_DEP_3) | instskip(NEXT) | instid1(VALU_DEP_1)
	v_and_b32_e32 v7, 0x80000000, v7
	v_or3_b32 v6, v6, v7, v9
.LBB440_2399:                           ;   in Loop: Header=BB440_1190 Depth=1
	s_or_b32 exec_lo, exec_lo, s15
.LBB440_2400:                           ;   in Loop: Header=BB440_1190 Depth=1
	s_delay_alu instid0(SALU_CYCLE_1)
	s_or_b32 exec_lo, exec_lo, s13
.LBB440_2401:                           ;   in Loop: Header=BB440_1190 Depth=1
	s_delay_alu instid0(SALU_CYCLE_1) | instskip(NEXT) | instid1(VALU_DEP_1)
	s_or_b32 exec_lo, exec_lo, s12
	v_mul_f32_e32 v6, v8, v6
                                        ; implicit-def: $vgpr77
	s_delay_alu instid0(VALU_DEP_1) | instskip(NEXT) | instid1(VALU_DEP_1)
	v_and_b32_e32 v7, 0x7f800000, v6
	v_cmp_ne_u32_e64 s0, 0x7f800000, v7
	s_delay_alu instid0(VALU_DEP_1) | instskip(NEXT) | instid1(SALU_CYCLE_1)
	s_and_saveexec_b32 s12, s0
	s_xor_b32 s0, exec_lo, s12
; %bb.2402:                             ;   in Loop: Header=BB440_1190 Depth=1
	v_bfe_u32 v7, v6, 16, 1
	s_delay_alu instid0(VALU_DEP_1)
	v_add3_u32 v77, v6, v7, 0x7fff
                                        ; implicit-def: $vgpr6
; %bb.2403:                             ;   in Loop: Header=BB440_1190 Depth=1
	s_and_not1_saveexec_b32 s12, s0
; %bb.2404:                             ;   in Loop: Header=BB440_1190 Depth=1
	v_and_b32_e32 v7, 0xffff, v6
	v_or_b32_e32 v9, 0x10000, v6
	s_delay_alu instid0(VALU_DEP_2) | instskip(NEXT) | instid1(VALU_DEP_1)
	v_cmp_eq_u32_e64 s0, 0, v7
	v_cndmask_b32_e64 v77, v9, v6, s0
; %bb.2405:                             ;   in Loop: Header=BB440_1190 Depth=1
	s_or_b32 exec_lo, exec_lo, s12
	v_lshrrev_b16 v7, 8, v2
	v_mov_b32_e32 v6, 0
	s_mov_b32 s12, exec_lo
	s_delay_alu instid0(VALU_DEP_2)
	v_cmpx_ne_u16_e32 0, v7
	s_cbranch_execz .LBB440_2413
; %bb.2406:                             ;   in Loop: Header=BB440_1190 Depth=1
	v_bfrev_b32_e32 v6, 1
	s_mov_b32 s13, exec_lo
	v_cmpx_ne_u16_e32 0x80, v7
	s_cbranch_execz .LBB440_2412
; %bb.2407:                             ;   in Loop: Header=BB440_1190 Depth=1
	v_and_b32_e32 v9, 0xffff, v7
	v_mov_b32_e32 v6, 0x7f800001
	s_mov_b32 s15, exec_lo
	s_delay_alu instid0(VALU_DEP_2) | instskip(NEXT) | instid1(VALU_DEP_1)
	v_and_b32_e32 v7, 0x7f, v9
	v_cmpx_ne_u32_e32 0x7f, v7
	s_cbranch_execz .LBB440_2411
; %bb.2408:                             ;   in Loop: Header=BB440_1190 Depth=1
	v_and_b32_e32 v9, 7, v9
	v_lshrrev_b32_e32 v78, 3, v7
	v_cmp_gt_u32_e64 s0, 8, v7
	s_delay_alu instid0(VALU_DEP_3) | instskip(NEXT) | instid1(VALU_DEP_2)
	v_dual_mov_b32 v6, v9 :: v_dual_mov_b32 v7, v10
	s_and_saveexec_b32 s16, s0
; %bb.2409:                             ;   in Loop: Header=BB440_1190 Depth=1
	v_clz_i32_u32_e32 v6, v9
	s_delay_alu instid0(VALU_DEP_1) | instskip(NEXT) | instid1(VALU_DEP_1)
	v_min_u32_e32 v78, 32, v6
	v_subrev_nc_u32_e32 v6, 28, v78
	v_sub_nc_u32_e32 v78, 29, v78
	s_delay_alu instid0(VALU_DEP_2) | instskip(NEXT) | instid1(VALU_DEP_1)
	v_lshlrev_b64 v[6:7], v6, v[9:10]
	v_and_b32_e32 v6, 7, v6
; %bb.2410:                             ;   in Loop: Header=BB440_1190 Depth=1
	s_or_b32 exec_lo, exec_lo, s16
	v_lshlrev_b32_e32 v7, 16, v2
	s_delay_alu instid0(VALU_DEP_2) | instskip(SKIP_1) | instid1(VALU_DEP_3)
	v_lshlrev_b32_e32 v6, 20, v6
	v_lshl_add_u32 v9, v78, 23, 0x3c000000
	v_and_b32_e32 v7, 0x80000000, v7
	s_delay_alu instid0(VALU_DEP_1)
	v_or3_b32 v6, v6, v7, v9
.LBB440_2411:                           ;   in Loop: Header=BB440_1190 Depth=1
	s_or_b32 exec_lo, exec_lo, s15
.LBB440_2412:                           ;   in Loop: Header=BB440_1190 Depth=1
	s_delay_alu instid0(SALU_CYCLE_1)
	s_or_b32 exec_lo, exec_lo, s13
.LBB440_2413:                           ;   in Loop: Header=BB440_1190 Depth=1
	s_delay_alu instid0(SALU_CYCLE_1) | instskip(NEXT) | instid1(VALU_DEP_1)
	s_or_b32 exec_lo, exec_lo, s12
	v_mul_f32_e32 v6, v8, v6
                                        ; implicit-def: $vgpr78
	s_delay_alu instid0(VALU_DEP_1) | instskip(NEXT) | instid1(VALU_DEP_1)
	v_and_b32_e32 v7, 0x7f800000, v6
	v_cmp_ne_u32_e64 s0, 0x7f800000, v7
	s_delay_alu instid0(VALU_DEP_1) | instskip(NEXT) | instid1(SALU_CYCLE_1)
	s_and_saveexec_b32 s12, s0
	s_xor_b32 s0, exec_lo, s12
; %bb.2414:                             ;   in Loop: Header=BB440_1190 Depth=1
	v_bfe_u32 v7, v6, 16, 1
	s_delay_alu instid0(VALU_DEP_1)
	v_add3_u32 v78, v6, v7, 0x7fff
                                        ; implicit-def: $vgpr6
; %bb.2415:                             ;   in Loop: Header=BB440_1190 Depth=1
	s_and_not1_saveexec_b32 s12, s0
; %bb.2416:                             ;   in Loop: Header=BB440_1190 Depth=1
	v_and_b32_e32 v7, 0xffff, v6
	v_or_b32_e32 v9, 0x10000, v6
	s_delay_alu instid0(VALU_DEP_2) | instskip(NEXT) | instid1(VALU_DEP_1)
	v_cmp_eq_u32_e64 s0, 0, v7
	v_cndmask_b32_e64 v78, v9, v6, s0
; %bb.2417:                             ;   in Loop: Header=BB440_1190 Depth=1
	s_or_b32 exec_lo, exec_lo, s12
	v_lshrrev_b32_e32 v79, 16, v2
	s_mov_b32 s12, exec_lo
	s_delay_alu instid0(VALU_DEP_1) | instskip(NEXT) | instid1(VALU_DEP_1)
	v_dual_mov_b32 v6, 0 :: v_dual_and_b32 v7, 0xff, v79
	v_cmpx_ne_u16_e32 0, v7
	s_cbranch_execz .LBB440_2425
; %bb.2418:                             ;   in Loop: Header=BB440_1190 Depth=1
	v_bfrev_b32_e32 v6, 1
	s_mov_b32 s13, exec_lo
	v_cmpx_ne_u16_e32 0x80, v7
	s_cbranch_execz .LBB440_2424
; %bb.2419:                             ;   in Loop: Header=BB440_1190 Depth=1
	v_bfe_u32 v7, v2, 16, 7
	v_mov_b32_e32 v6, 0x7f800001
	s_mov_b32 s15, exec_lo
	s_delay_alu instid0(VALU_DEP_2)
	v_cmpx_ne_u32_e32 0x7f, v7
	s_cbranch_execz .LBB440_2423
; %bb.2420:                             ;   in Loop: Header=BB440_1190 Depth=1
	v_and_b32_e32 v9, 7, v79
	v_lshrrev_b32_e32 v88, 3, v7
	v_cmp_gt_u32_e64 s0, 8, v7
	s_delay_alu instid0(VALU_DEP_3) | instskip(NEXT) | instid1(VALU_DEP_2)
	v_dual_mov_b32 v6, v9 :: v_dual_mov_b32 v7, v10
	s_and_saveexec_b32 s16, s0
; %bb.2421:                             ;   in Loop: Header=BB440_1190 Depth=1
	v_clz_i32_u32_e32 v6, v9
	s_delay_alu instid0(VALU_DEP_1) | instskip(NEXT) | instid1(VALU_DEP_1)
	v_min_u32_e32 v88, 32, v6
	v_subrev_nc_u32_e32 v6, 28, v88
	v_sub_nc_u32_e32 v88, 29, v88
	s_delay_alu instid0(VALU_DEP_2) | instskip(NEXT) | instid1(VALU_DEP_1)
	v_lshlrev_b64 v[6:7], v6, v[9:10]
	v_and_b32_e32 v6, 7, v6
; %bb.2422:                             ;   in Loop: Header=BB440_1190 Depth=1
	s_or_b32 exec_lo, exec_lo, s16
	v_lshlrev_b32_e32 v7, 24, v79
	s_delay_alu instid0(VALU_DEP_2) | instskip(SKIP_1) | instid1(VALU_DEP_3)
	v_lshlrev_b32_e32 v6, 20, v6
	v_lshl_add_u32 v9, v88, 23, 0x3c000000
	v_and_b32_e32 v7, 0x80000000, v7
	s_delay_alu instid0(VALU_DEP_1)
	v_or3_b32 v6, v6, v7, v9
.LBB440_2423:                           ;   in Loop: Header=BB440_1190 Depth=1
	s_or_b32 exec_lo, exec_lo, s15
.LBB440_2424:                           ;   in Loop: Header=BB440_1190 Depth=1
	s_delay_alu instid0(SALU_CYCLE_1)
	s_or_b32 exec_lo, exec_lo, s13
.LBB440_2425:                           ;   in Loop: Header=BB440_1190 Depth=1
	s_delay_alu instid0(SALU_CYCLE_1) | instskip(NEXT) | instid1(VALU_DEP_1)
	s_or_b32 exec_lo, exec_lo, s12
	v_mul_f32_e32 v6, v8, v6
                                        ; implicit-def: $vgpr79
	s_delay_alu instid0(VALU_DEP_1) | instskip(NEXT) | instid1(VALU_DEP_1)
	v_and_b32_e32 v7, 0x7f800000, v6
	v_cmp_ne_u32_e64 s0, 0x7f800000, v7
	s_delay_alu instid0(VALU_DEP_1) | instskip(NEXT) | instid1(SALU_CYCLE_1)
	s_and_saveexec_b32 s12, s0
	s_xor_b32 s0, exec_lo, s12
; %bb.2426:                             ;   in Loop: Header=BB440_1190 Depth=1
	v_bfe_u32 v7, v6, 16, 1
	s_delay_alu instid0(VALU_DEP_1)
	v_add3_u32 v79, v6, v7, 0x7fff
                                        ; implicit-def: $vgpr6
; %bb.2427:                             ;   in Loop: Header=BB440_1190 Depth=1
	s_and_not1_saveexec_b32 s12, s0
; %bb.2428:                             ;   in Loop: Header=BB440_1190 Depth=1
	v_and_b32_e32 v7, 0xffff, v6
	v_or_b32_e32 v9, 0x10000, v6
	s_delay_alu instid0(VALU_DEP_2) | instskip(NEXT) | instid1(VALU_DEP_1)
	v_cmp_eq_u32_e64 s0, 0, v7
	v_cndmask_b32_e64 v79, v9, v6, s0
; %bb.2429:                             ;   in Loop: Header=BB440_1190 Depth=1
	s_or_b32 exec_lo, exec_lo, s12
	v_mov_b32_e32 v6, 0
	s_mov_b32 s12, exec_lo
	v_cmpx_lt_u32_e32 0xffffff, v2
	s_cbranch_execz .LBB440_2437
; %bb.2430:                             ;   in Loop: Header=BB440_1190 Depth=1
	v_lshrrev_b32_e32 v88, 24, v2
	v_bfrev_b32_e32 v6, 1
	s_mov_b32 s13, exec_lo
	s_delay_alu instid0(VALU_DEP_2)
	v_cmpx_ne_u32_e32 0x80, v88
	s_cbranch_execz .LBB440_2436
; %bb.2431:                             ;   in Loop: Header=BB440_1190 Depth=1
	v_bfe_u32 v7, v2, 24, 7
	v_mov_b32_e32 v6, 0x7f800001
	s_mov_b32 s15, exec_lo
	s_delay_alu instid0(VALU_DEP_2)
	v_cmpx_ne_u32_e32 0x7f, v7
	s_cbranch_execz .LBB440_2435
; %bb.2432:                             ;   in Loop: Header=BB440_1190 Depth=1
	v_and_b32_e32 v9, 7, v88
	v_lshrrev_b32_e32 v89, 3, v7
	v_cmp_gt_u32_e64 s0, 8, v7
	s_delay_alu instid0(VALU_DEP_3) | instskip(NEXT) | instid1(VALU_DEP_2)
	v_dual_mov_b32 v6, v9 :: v_dual_mov_b32 v7, v10
	s_and_saveexec_b32 s16, s0
; %bb.2433:                             ;   in Loop: Header=BB440_1190 Depth=1
	v_clz_i32_u32_e32 v6, v9
	s_delay_alu instid0(VALU_DEP_1) | instskip(NEXT) | instid1(VALU_DEP_1)
	v_min_u32_e32 v89, 32, v6
	v_subrev_nc_u32_e32 v6, 28, v89
	v_sub_nc_u32_e32 v89, 29, v89
	s_delay_alu instid0(VALU_DEP_2) | instskip(NEXT) | instid1(VALU_DEP_1)
	v_lshlrev_b64 v[6:7], v6, v[9:10]
	v_and_b32_e32 v6, 7, v6
; %bb.2434:                             ;   in Loop: Header=BB440_1190 Depth=1
	s_or_b32 exec_lo, exec_lo, s16
	v_lshlrev_b32_e32 v7, 24, v88
	s_delay_alu instid0(VALU_DEP_2) | instskip(SKIP_1) | instid1(VALU_DEP_3)
	v_lshlrev_b32_e32 v6, 20, v6
	v_lshl_add_u32 v9, v89, 23, 0x3c000000
	v_and_b32_e32 v7, 0x80000000, v7
	s_delay_alu instid0(VALU_DEP_1)
	v_or3_b32 v6, v6, v7, v9
.LBB440_2435:                           ;   in Loop: Header=BB440_1190 Depth=1
	s_or_b32 exec_lo, exec_lo, s15
.LBB440_2436:                           ;   in Loop: Header=BB440_1190 Depth=1
	s_delay_alu instid0(SALU_CYCLE_1)
	s_or_b32 exec_lo, exec_lo, s13
.LBB440_2437:                           ;   in Loop: Header=BB440_1190 Depth=1
	s_delay_alu instid0(SALU_CYCLE_1) | instskip(NEXT) | instid1(VALU_DEP_1)
	s_or_b32 exec_lo, exec_lo, s12
	v_mul_f32_e32 v6, v8, v6
                                        ; implicit-def: $vgpr88
	s_delay_alu instid0(VALU_DEP_1) | instskip(NEXT) | instid1(VALU_DEP_1)
	v_and_b32_e32 v7, 0x7f800000, v6
	v_cmp_ne_u32_e64 s0, 0x7f800000, v7
	s_delay_alu instid0(VALU_DEP_1) | instskip(NEXT) | instid1(SALU_CYCLE_1)
	s_and_saveexec_b32 s12, s0
	s_xor_b32 s0, exec_lo, s12
; %bb.2438:                             ;   in Loop: Header=BB440_1190 Depth=1
	v_bfe_u32 v7, v6, 16, 1
	s_delay_alu instid0(VALU_DEP_1)
	v_add3_u32 v88, v6, v7, 0x7fff
                                        ; implicit-def: $vgpr6
; %bb.2439:                             ;   in Loop: Header=BB440_1190 Depth=1
	s_and_not1_saveexec_b32 s12, s0
; %bb.2440:                             ;   in Loop: Header=BB440_1190 Depth=1
	v_and_b32_e32 v7, 0xffff, v6
	v_or_b32_e32 v9, 0x10000, v6
	s_delay_alu instid0(VALU_DEP_2) | instskip(NEXT) | instid1(VALU_DEP_1)
	v_cmp_eq_u32_e64 s0, 0, v7
	v_cndmask_b32_e64 v88, v9, v6, s0
; %bb.2441:                             ;   in Loop: Header=BB440_1190 Depth=1
	s_or_b32 exec_lo, exec_lo, s12
	v_dual_mov_b32 v6, 0 :: v_dual_and_b32 v7, 0xff, v3
	v_mov_b32_e32 v9, v3
	s_mov_b32 s12, exec_lo
	s_delay_alu instid0(VALU_DEP_2)
	v_cmpx_ne_u16_e32 0, v7
	s_cbranch_execz .LBB440_2449
; %bb.2442:                             ;   in Loop: Header=BB440_1190 Depth=1
	v_bfrev_b32_e32 v6, 1
	s_mov_b32 s13, exec_lo
	v_cmpx_ne_u16_e32 0x80, v7
	s_cbranch_execz .LBB440_2448
; %bb.2443:                             ;   in Loop: Header=BB440_1190 Depth=1
	v_and_b32_e32 v7, 0x7f, v3
	v_mov_b32_e32 v6, 0x7f800001
	s_mov_b32 s15, exec_lo
	s_delay_alu instid0(VALU_DEP_2)
	v_cmpx_ne_u32_e32 0x7f, v7
	s_cbranch_execz .LBB440_2447
; %bb.2444:                             ;   in Loop: Header=BB440_1190 Depth=1
	v_lshrrev_b32_e32 v89, 3, v7
	v_cmp_gt_u32_e64 s0, 8, v7
	v_dual_mov_b32 v6, v9 :: v_dual_mov_b32 v7, v10
	s_delay_alu instid0(VALU_DEP_2)
	s_and_saveexec_b32 s16, s0
; %bb.2445:                             ;   in Loop: Header=BB440_1190 Depth=1
	v_and_b32_e32 v6, 7, v3
	s_delay_alu instid0(VALU_DEP_1) | instskip(NEXT) | instid1(VALU_DEP_1)
	v_clz_i32_u32_e32 v6, v6
	v_min_u32_e32 v89, 32, v6
	s_delay_alu instid0(VALU_DEP_1) | instskip(SKIP_1) | instid1(VALU_DEP_2)
	v_subrev_nc_u32_e32 v6, 28, v89
	v_sub_nc_u32_e32 v89, 29, v89
	v_lshlrev_b64 v[6:7], v6, v[9:10]
; %bb.2446:                             ;   in Loop: Header=BB440_1190 Depth=1
	s_or_b32 exec_lo, exec_lo, s16
	s_delay_alu instid0(VALU_DEP_1) | instskip(SKIP_2) | instid1(VALU_DEP_3)
	v_lshlrev_b32_e32 v6, 20, v6
	v_lshlrev_b32_e32 v7, 24, v9
	v_lshl_add_u32 v89, v89, 23, 0x3c000000
	v_and_b32_e32 v6, 0x700000, v6
	s_delay_alu instid0(VALU_DEP_3) | instskip(NEXT) | instid1(VALU_DEP_1)
	v_and_b32_e32 v7, 0x80000000, v7
	v_or3_b32 v6, v6, v7, v89
.LBB440_2447:                           ;   in Loop: Header=BB440_1190 Depth=1
	s_or_b32 exec_lo, exec_lo, s15
.LBB440_2448:                           ;   in Loop: Header=BB440_1190 Depth=1
	s_delay_alu instid0(SALU_CYCLE_1)
	s_or_b32 exec_lo, exec_lo, s13
.LBB440_2449:                           ;   in Loop: Header=BB440_1190 Depth=1
	s_delay_alu instid0(SALU_CYCLE_1) | instskip(NEXT) | instid1(VALU_DEP_1)
	s_or_b32 exec_lo, exec_lo, s12
	v_mul_f32_e32 v6, v8, v6
                                        ; implicit-def: $vgpr89
	s_delay_alu instid0(VALU_DEP_1) | instskip(NEXT) | instid1(VALU_DEP_1)
	v_and_b32_e32 v7, 0x7f800000, v6
	v_cmp_ne_u32_e64 s0, 0x7f800000, v7
	s_delay_alu instid0(VALU_DEP_1) | instskip(NEXT) | instid1(SALU_CYCLE_1)
	s_and_saveexec_b32 s12, s0
	s_xor_b32 s0, exec_lo, s12
; %bb.2450:                             ;   in Loop: Header=BB440_1190 Depth=1
	v_bfe_u32 v7, v6, 16, 1
	s_delay_alu instid0(VALU_DEP_1)
	v_add3_u32 v89, v6, v7, 0x7fff
                                        ; implicit-def: $vgpr6
; %bb.2451:                             ;   in Loop: Header=BB440_1190 Depth=1
	s_and_not1_saveexec_b32 s12, s0
; %bb.2452:                             ;   in Loop: Header=BB440_1190 Depth=1
	v_and_b32_e32 v7, 0xffff, v6
	v_or_b32_e32 v89, 0x10000, v6
	s_delay_alu instid0(VALU_DEP_2) | instskip(NEXT) | instid1(VALU_DEP_1)
	v_cmp_eq_u32_e64 s0, 0, v7
	v_cndmask_b32_e64 v89, v89, v6, s0
; %bb.2453:                             ;   in Loop: Header=BB440_1190 Depth=1
	s_or_b32 exec_lo, exec_lo, s12
	v_lshrrev_b16 v7, 8, v9
	v_mov_b32_e32 v6, 0
	s_mov_b32 s12, exec_lo
	s_delay_alu instid0(VALU_DEP_2)
	v_cmpx_ne_u16_e32 0, v7
	s_cbranch_execz .LBB440_2461
; %bb.2454:                             ;   in Loop: Header=BB440_1190 Depth=1
	v_bfrev_b32_e32 v6, 1
	s_mov_b32 s13, exec_lo
	v_cmpx_ne_u16_e32 0x80, v7
	s_cbranch_execz .LBB440_2460
; %bb.2455:                             ;   in Loop: Header=BB440_1190 Depth=1
	v_and_b32_e32 v7, 0xffff, v7
	v_mov_b32_e32 v6, 0x7f800001
	s_mov_b32 s15, exec_lo
	s_delay_alu instid0(VALU_DEP_2) | instskip(NEXT) | instid1(VALU_DEP_1)
	v_and_b32_e32 v91, 0x7f, v7
	v_cmpx_ne_u32_e32 0x7f, v91
	s_cbranch_execz .LBB440_2459
; %bb.2456:                             ;   in Loop: Header=BB440_1190 Depth=1
	v_dual_mov_b32 v7, v10 :: v_dual_and_b32 v6, 7, v7
	v_lshrrev_b32_e32 v90, 3, v91
	s_mov_b32 s16, exec_lo
	v_cmpx_gt_u32_e32 8, v91
; %bb.2457:                             ;   in Loop: Header=BB440_1190 Depth=1
	s_delay_alu instid0(VALU_DEP_3) | instskip(NEXT) | instid1(VALU_DEP_1)
	v_clz_i32_u32_e32 v90, v6
	v_min_u32_e32 v90, 32, v90
	s_delay_alu instid0(VALU_DEP_1) | instskip(SKIP_1) | instid1(VALU_DEP_2)
	v_subrev_nc_u32_e32 v91, 28, v90
	v_sub_nc_u32_e32 v90, 29, v90
	v_lshlrev_b64 v[6:7], v91, v[6:7]
	s_delay_alu instid0(VALU_DEP_1)
	v_and_b32_e32 v6, 7, v6
; %bb.2458:                             ;   in Loop: Header=BB440_1190 Depth=1
	s_or_b32 exec_lo, exec_lo, s16
	v_lshlrev_b32_e32 v7, 16, v9
	s_delay_alu instid0(VALU_DEP_2) | instskip(SKIP_1) | instid1(VALU_DEP_3)
	v_lshlrev_b32_e32 v6, 20, v6
	v_lshl_add_u32 v9, v90, 23, 0x3c000000
	v_and_b32_e32 v7, 0x80000000, v7
	s_delay_alu instid0(VALU_DEP_1)
	v_or3_b32 v6, v6, v7, v9
.LBB440_2459:                           ;   in Loop: Header=BB440_1190 Depth=1
	s_or_b32 exec_lo, exec_lo, s15
.LBB440_2460:                           ;   in Loop: Header=BB440_1190 Depth=1
	s_delay_alu instid0(SALU_CYCLE_1)
	s_or_b32 exec_lo, exec_lo, s13
.LBB440_2461:                           ;   in Loop: Header=BB440_1190 Depth=1
	s_delay_alu instid0(SALU_CYCLE_1) | instskip(NEXT) | instid1(VALU_DEP_1)
	s_or_b32 exec_lo, exec_lo, s12
	v_mul_f32_e32 v6, v8, v6
                                        ; implicit-def: $vgpr90
	s_delay_alu instid0(VALU_DEP_1) | instskip(NEXT) | instid1(VALU_DEP_1)
	v_and_b32_e32 v7, 0x7f800000, v6
	v_cmp_ne_u32_e64 s0, 0x7f800000, v7
	s_delay_alu instid0(VALU_DEP_1) | instskip(NEXT) | instid1(SALU_CYCLE_1)
	s_and_saveexec_b32 s12, s0
	s_xor_b32 s0, exec_lo, s12
; %bb.2462:                             ;   in Loop: Header=BB440_1190 Depth=1
	v_bfe_u32 v7, v6, 16, 1
	s_delay_alu instid0(VALU_DEP_1)
	v_add3_u32 v90, v6, v7, 0x7fff
                                        ; implicit-def: $vgpr6
; %bb.2463:                             ;   in Loop: Header=BB440_1190 Depth=1
	s_and_not1_saveexec_b32 s12, s0
; %bb.2464:                             ;   in Loop: Header=BB440_1190 Depth=1
	v_and_b32_e32 v7, 0xffff, v6
	v_or_b32_e32 v9, 0x10000, v6
	s_delay_alu instid0(VALU_DEP_2) | instskip(NEXT) | instid1(VALU_DEP_1)
	v_cmp_eq_u32_e64 s0, 0, v7
	v_cndmask_b32_e64 v90, v9, v6, s0
; %bb.2465:                             ;   in Loop: Header=BB440_1190 Depth=1
	s_or_b32 exec_lo, exec_lo, s12
	v_lshrrev_b32_e32 v91, 16, v3
	s_mov_b32 s12, exec_lo
	s_delay_alu instid0(VALU_DEP_1) | instskip(NEXT) | instid1(VALU_DEP_1)
	v_dual_mov_b32 v6, 0 :: v_dual_and_b32 v7, 0xff, v91
	v_cmpx_ne_u16_e32 0, v7
	s_cbranch_execz .LBB440_2473
; %bb.2466:                             ;   in Loop: Header=BB440_1190 Depth=1
	v_bfrev_b32_e32 v6, 1
	s_mov_b32 s13, exec_lo
	v_cmpx_ne_u16_e32 0x80, v7
	s_cbranch_execz .LBB440_2472
; %bb.2467:                             ;   in Loop: Header=BB440_1190 Depth=1
	v_bfe_u32 v7, v3, 16, 7
	v_mov_b32_e32 v6, 0x7f800001
	s_mov_b32 s15, exec_lo
	s_delay_alu instid0(VALU_DEP_2)
	v_cmpx_ne_u32_e32 0x7f, v7
	s_cbranch_execz .LBB440_2471
; %bb.2468:                             ;   in Loop: Header=BB440_1190 Depth=1
	v_and_b32_e32 v9, 7, v91
	v_lshrrev_b32_e32 v92, 3, v7
	v_cmp_gt_u32_e64 s0, 8, v7
	s_delay_alu instid0(VALU_DEP_3) | instskip(NEXT) | instid1(VALU_DEP_2)
	v_dual_mov_b32 v6, v9 :: v_dual_mov_b32 v7, v10
	s_and_saveexec_b32 s16, s0
; %bb.2469:                             ;   in Loop: Header=BB440_1190 Depth=1
	v_clz_i32_u32_e32 v6, v9
	s_delay_alu instid0(VALU_DEP_1) | instskip(NEXT) | instid1(VALU_DEP_1)
	v_min_u32_e32 v92, 32, v6
	v_subrev_nc_u32_e32 v6, 28, v92
	v_sub_nc_u32_e32 v92, 29, v92
	s_delay_alu instid0(VALU_DEP_2) | instskip(NEXT) | instid1(VALU_DEP_1)
	v_lshlrev_b64 v[6:7], v6, v[9:10]
	v_and_b32_e32 v6, 7, v6
; %bb.2470:                             ;   in Loop: Header=BB440_1190 Depth=1
	s_or_b32 exec_lo, exec_lo, s16
	v_lshlrev_b32_e32 v7, 24, v91
	s_delay_alu instid0(VALU_DEP_2) | instskip(SKIP_1) | instid1(VALU_DEP_3)
	v_lshlrev_b32_e32 v6, 20, v6
	v_lshl_add_u32 v9, v92, 23, 0x3c000000
	v_and_b32_e32 v7, 0x80000000, v7
	s_delay_alu instid0(VALU_DEP_1)
	v_or3_b32 v6, v6, v7, v9
.LBB440_2471:                           ;   in Loop: Header=BB440_1190 Depth=1
	s_or_b32 exec_lo, exec_lo, s15
.LBB440_2472:                           ;   in Loop: Header=BB440_1190 Depth=1
	s_delay_alu instid0(SALU_CYCLE_1)
	s_or_b32 exec_lo, exec_lo, s13
.LBB440_2473:                           ;   in Loop: Header=BB440_1190 Depth=1
	s_delay_alu instid0(SALU_CYCLE_1) | instskip(NEXT) | instid1(VALU_DEP_1)
	s_or_b32 exec_lo, exec_lo, s12
	v_mul_f32_e32 v6, v8, v6
                                        ; implicit-def: $vgpr91
	s_delay_alu instid0(VALU_DEP_1) | instskip(NEXT) | instid1(VALU_DEP_1)
	v_and_b32_e32 v7, 0x7f800000, v6
	v_cmp_ne_u32_e64 s0, 0x7f800000, v7
	s_delay_alu instid0(VALU_DEP_1) | instskip(NEXT) | instid1(SALU_CYCLE_1)
	s_and_saveexec_b32 s12, s0
	s_xor_b32 s0, exec_lo, s12
; %bb.2474:                             ;   in Loop: Header=BB440_1190 Depth=1
	v_bfe_u32 v7, v6, 16, 1
	s_delay_alu instid0(VALU_DEP_1)
	v_add3_u32 v91, v6, v7, 0x7fff
                                        ; implicit-def: $vgpr6
; %bb.2475:                             ;   in Loop: Header=BB440_1190 Depth=1
	s_and_not1_saveexec_b32 s12, s0
; %bb.2476:                             ;   in Loop: Header=BB440_1190 Depth=1
	v_and_b32_e32 v7, 0xffff, v6
	v_or_b32_e32 v9, 0x10000, v6
	s_delay_alu instid0(VALU_DEP_2) | instskip(NEXT) | instid1(VALU_DEP_1)
	v_cmp_eq_u32_e64 s0, 0, v7
	v_cndmask_b32_e64 v91, v9, v6, s0
; %bb.2477:                             ;   in Loop: Header=BB440_1190 Depth=1
	s_or_b32 exec_lo, exec_lo, s12
	v_cmp_lt_u64_e64 s0, s[8:9], v[2:3]
	v_mov_b32_e32 v2, 0
	s_delay_alu instid0(VALU_DEP_2)
	s_and_saveexec_b32 s12, s0
	s_cbranch_execz .LBB440_2485
; %bb.2478:                             ;   in Loop: Header=BB440_1190 Depth=1
	v_lshrrev_b32_e32 v6, 24, v3
	v_bfrev_b32_e32 v2, 1
	s_mov_b32 s13, exec_lo
	s_delay_alu instid0(VALU_DEP_2)
	v_cmpx_ne_u32_e32 0x80, v6
	s_cbranch_execz .LBB440_2484
; %bb.2479:                             ;   in Loop: Header=BB440_1190 Depth=1
	v_bfe_u32 v3, v3, 24, 7
	v_mov_b32_e32 v2, 0x7f800001
	s_mov_b32 s15, exec_lo
	s_delay_alu instid0(VALU_DEP_2)
	v_cmpx_ne_u32_e32 0x7f, v3
	s_cbranch_execz .LBB440_2483
; %bb.2480:                             ;   in Loop: Header=BB440_1190 Depth=1
	v_and_b32_e32 v9, 7, v6
	v_lshrrev_b32_e32 v7, 3, v3
	v_cmp_gt_u32_e64 s0, 8, v3
	s_delay_alu instid0(VALU_DEP_3) | instskip(NEXT) | instid1(VALU_DEP_2)
	v_dual_mov_b32 v2, v9 :: v_dual_mov_b32 v3, v10
	s_and_saveexec_b32 s16, s0
; %bb.2481:                             ;   in Loop: Header=BB440_1190 Depth=1
	v_clz_i32_u32_e32 v2, v9
	s_delay_alu instid0(VALU_DEP_1) | instskip(NEXT) | instid1(VALU_DEP_1)
	v_min_u32_e32 v7, 32, v2
	v_subrev_nc_u32_e32 v2, 28, v7
	v_sub_nc_u32_e32 v7, 29, v7
	s_delay_alu instid0(VALU_DEP_2) | instskip(NEXT) | instid1(VALU_DEP_1)
	v_lshlrev_b64 v[2:3], v2, v[9:10]
	v_and_b32_e32 v2, 7, v2
; %bb.2482:                             ;   in Loop: Header=BB440_1190 Depth=1
	s_or_b32 exec_lo, exec_lo, s16
	v_lshlrev_b32_e32 v3, 24, v6
	s_delay_alu instid0(VALU_DEP_2) | instskip(SKIP_1) | instid1(VALU_DEP_3)
	v_lshlrev_b32_e32 v2, 20, v2
	v_lshl_add_u32 v6, v7, 23, 0x3c000000
	v_and_b32_e32 v3, 0x80000000, v3
	s_delay_alu instid0(VALU_DEP_1)
	v_or3_b32 v2, v2, v3, v6
.LBB440_2483:                           ;   in Loop: Header=BB440_1190 Depth=1
	s_or_b32 exec_lo, exec_lo, s15
.LBB440_2484:                           ;   in Loop: Header=BB440_1190 Depth=1
	s_delay_alu instid0(SALU_CYCLE_1)
	s_or_b32 exec_lo, exec_lo, s13
.LBB440_2485:                           ;   in Loop: Header=BB440_1190 Depth=1
	s_delay_alu instid0(SALU_CYCLE_1) | instskip(NEXT) | instid1(VALU_DEP_1)
	s_or_b32 exec_lo, exec_lo, s12
	v_mul_f32_e32 v3, v8, v2
	s_delay_alu instid0(VALU_DEP_1) | instskip(NEXT) | instid1(VALU_DEP_1)
	v_and_b32_e32 v2, 0x7f800000, v3
	v_cmp_ne_u32_e64 s0, 0x7f800000, v2
                                        ; implicit-def: $vgpr2
	s_delay_alu instid0(VALU_DEP_1) | instskip(NEXT) | instid1(SALU_CYCLE_1)
	s_and_saveexec_b32 s12, s0
	s_xor_b32 s0, exec_lo, s12
; %bb.2486:                             ;   in Loop: Header=BB440_1190 Depth=1
	v_bfe_u32 v2, v3, 16, 1
	s_delay_alu instid0(VALU_DEP_1)
	v_add3_u32 v2, v3, v2, 0x7fff
                                        ; implicit-def: $vgpr3
; %bb.2487:                             ;   in Loop: Header=BB440_1190 Depth=1
	s_and_not1_saveexec_b32 s12, s0
; %bb.2488:                             ;   in Loop: Header=BB440_1190 Depth=1
	v_and_b32_e32 v2, 0xffff, v3
	v_or_b32_e32 v6, 0x10000, v3
	s_delay_alu instid0(VALU_DEP_2) | instskip(NEXT) | instid1(VALU_DEP_1)
	v_cmp_eq_u32_e64 s0, 0, v2
	v_cndmask_b32_e64 v2, v6, v3, s0
; %bb.2489:                             ;   in Loop: Header=BB440_1190 Depth=1
	s_or_b32 exec_lo, exec_lo, s12
	v_lshrrev_b32_e32 v6, 16, v90
	v_lshrrev_b32_e32 v7, 16, v89
	;; [unrolled: 1-line block ×8, first 2 shown]
	s_and_saveexec_b32 s12, vcc_lo
	s_cbranch_execz .LBB440_2491
; %bb.2490:                             ;   in Loop: Header=BB440_1190 Depth=1
	v_cmp_lt_i32_e64 s0, v82, v38
	s_delay_alu instid0(VALU_DEP_1) | instskip(SKIP_1) | instid1(VALU_DEP_1)
	v_cndmask_b32_e64 v77, 0, v77, s0
	v_cmp_lt_i32_e64 s0, v97, v38
	v_cndmask_b32_e64 v78, 0, v78, s0
	v_cmp_lt_i32_e64 s0, v96, v38
	s_delay_alu instid0(VALU_DEP_1) | instskip(SKIP_1) | instid1(VALU_DEP_1)
	v_cndmask_b32_e64 v79, 0, v79, s0
	v_cmp_lt_i32_e64 s0, v87, v38
	v_cndmask_b32_e64 v9, 0, v9, s0
	;; [unrolled: 5-line block ×4, first 2 shown]
.LBB440_2491:                           ;   in Loop: Header=BB440_1190 Depth=1
	s_or_b32 exec_lo, exec_lo, s12
	v_lshlrev_b32_e32 v77, 16, v77
	s_delay_alu instid0(VALU_DEP_1) | instskip(NEXT) | instid1(VALU_DEP_1)
	v_mul_f32_e32 v88, v98, v77
	v_and_b32_e32 v77, 0x7f800000, v88
	s_delay_alu instid0(VALU_DEP_1) | instskip(NEXT) | instid1(VALU_DEP_1)
	v_cmp_ne_u32_e64 s0, 0x7f800000, v77
                                        ; implicit-def: $vgpr77
	s_and_saveexec_b32 s12, s0
	s_delay_alu instid0(SALU_CYCLE_1)
	s_xor_b32 s0, exec_lo, s12
; %bb.2492:                             ;   in Loop: Header=BB440_1190 Depth=1
	v_bfe_u32 v77, v88, 16, 1
	s_delay_alu instid0(VALU_DEP_1)
	v_add3_u32 v77, v88, v77, 0x7fff
                                        ; implicit-def: $vgpr88
; %bb.2493:                             ;   in Loop: Header=BB440_1190 Depth=1
	s_and_not1_saveexec_b32 s12, s0
; %bb.2494:                             ;   in Loop: Header=BB440_1190 Depth=1
	v_and_b32_e32 v77, 0xffff, v88
	v_or_b32_e32 v89, 0x10000, v88
	s_delay_alu instid0(VALU_DEP_2) | instskip(NEXT) | instid1(VALU_DEP_1)
	v_cmp_eq_u32_e64 s0, 0, v77
	v_cndmask_b32_e64 v77, v89, v88, s0
; %bb.2495:                             ;   in Loop: Header=BB440_1190 Depth=1
	s_or_b32 exec_lo, exec_lo, s12
	v_lshlrev_b32_e32 v78, 16, v78
	s_delay_alu instid0(VALU_DEP_1) | instskip(NEXT) | instid1(VALU_DEP_1)
	v_mul_f32_e32 v88, v99, v78
	v_and_b32_e32 v78, 0x7f800000, v88
	s_delay_alu instid0(VALU_DEP_1) | instskip(NEXT) | instid1(VALU_DEP_1)
	v_cmp_ne_u32_e64 s0, 0x7f800000, v78
                                        ; implicit-def: $vgpr78
	s_and_saveexec_b32 s12, s0
	s_delay_alu instid0(SALU_CYCLE_1)
	s_xor_b32 s0, exec_lo, s12
; %bb.2496:                             ;   in Loop: Header=BB440_1190 Depth=1
	v_bfe_u32 v78, v88, 16, 1
	s_delay_alu instid0(VALU_DEP_1)
	v_add3_u32 v78, v88, v78, 0x7fff
                                        ; implicit-def: $vgpr88
; %bb.2497:                             ;   in Loop: Header=BB440_1190 Depth=1
	s_and_not1_saveexec_b32 s12, s0
; %bb.2498:                             ;   in Loop: Header=BB440_1190 Depth=1
	v_and_b32_e32 v78, 0xffff, v88
	v_or_b32_e32 v89, 0x10000, v88
	s_delay_alu instid0(VALU_DEP_2) | instskip(NEXT) | instid1(VALU_DEP_1)
	v_cmp_eq_u32_e64 s0, 0, v78
	v_cndmask_b32_e64 v78, v89, v88, s0
; %bb.2499:                             ;   in Loop: Header=BB440_1190 Depth=1
	s_or_b32 exec_lo, exec_lo, s12
	v_lshlrev_b32_e32 v79, 16, v79
	s_delay_alu instid0(VALU_DEP_1) | instskip(NEXT) | instid1(VALU_DEP_1)
	v_mul_f32_e32 v88, v100, v79
	v_and_b32_e32 v79, 0x7f800000, v88
	s_delay_alu instid0(VALU_DEP_1) | instskip(NEXT) | instid1(VALU_DEP_1)
	v_cmp_ne_u32_e64 s0, 0x7f800000, v79
                                        ; implicit-def: $vgpr79
	s_and_saveexec_b32 s12, s0
	s_delay_alu instid0(SALU_CYCLE_1)
	s_xor_b32 s0, exec_lo, s12
; %bb.2500:                             ;   in Loop: Header=BB440_1190 Depth=1
	v_bfe_u32 v79, v88, 16, 1
	s_delay_alu instid0(VALU_DEP_1)
	v_add3_u32 v79, v88, v79, 0x7fff
                                        ; implicit-def: $vgpr88
; %bb.2501:                             ;   in Loop: Header=BB440_1190 Depth=1
	s_and_not1_saveexec_b32 s12, s0
; %bb.2502:                             ;   in Loop: Header=BB440_1190 Depth=1
	v_and_b32_e32 v79, 0xffff, v88
	v_or_b32_e32 v89, 0x10000, v88
	s_delay_alu instid0(VALU_DEP_2) | instskip(NEXT) | instid1(VALU_DEP_1)
	v_cmp_eq_u32_e64 s0, 0, v79
	v_cndmask_b32_e64 v79, v89, v88, s0
; %bb.2503:                             ;   in Loop: Header=BB440_1190 Depth=1
	s_or_b32 exec_lo, exec_lo, s12
	v_lshlrev_b32_e32 v9, 16, v9
	s_delay_alu instid0(VALU_DEP_1) | instskip(NEXT) | instid1(VALU_DEP_1)
	v_mul_f32_e32 v9, v101, v9
	v_and_b32_e32 v88, 0x7f800000, v9
	s_delay_alu instid0(VALU_DEP_1) | instskip(NEXT) | instid1(VALU_DEP_1)
	v_cmp_ne_u32_e64 s0, 0x7f800000, v88
                                        ; implicit-def: $vgpr88
	s_and_saveexec_b32 s12, s0
	s_delay_alu instid0(SALU_CYCLE_1)
	s_xor_b32 s0, exec_lo, s12
; %bb.2504:                             ;   in Loop: Header=BB440_1190 Depth=1
	v_bfe_u32 v88, v9, 16, 1
	s_delay_alu instid0(VALU_DEP_1)
	v_add3_u32 v88, v9, v88, 0x7fff
                                        ; implicit-def: $vgpr9
; %bb.2505:                             ;   in Loop: Header=BB440_1190 Depth=1
	s_and_not1_saveexec_b32 s12, s0
; %bb.2506:                             ;   in Loop: Header=BB440_1190 Depth=1
	v_and_b32_e32 v88, 0xffff, v9
	v_or_b32_e32 v89, 0x10000, v9
	s_delay_alu instid0(VALU_DEP_2) | instskip(NEXT) | instid1(VALU_DEP_1)
	v_cmp_eq_u32_e64 s0, 0, v88
	v_cndmask_b32_e64 v88, v89, v9, s0
; %bb.2507:                             ;   in Loop: Header=BB440_1190 Depth=1
	s_or_b32 exec_lo, exec_lo, s12
	v_lshlrev_b32_e32 v7, 16, v7
                                        ; implicit-def: $vgpr89
	s_delay_alu instid0(VALU_DEP_1) | instskip(NEXT) | instid1(VALU_DEP_1)
	v_mul_f32_e32 v7, v102, v7
	v_and_b32_e32 v9, 0x7f800000, v7
	s_delay_alu instid0(VALU_DEP_1) | instskip(NEXT) | instid1(VALU_DEP_1)
	v_cmp_ne_u32_e64 s0, 0x7f800000, v9
	s_and_saveexec_b32 s12, s0
	s_delay_alu instid0(SALU_CYCLE_1)
	s_xor_b32 s0, exec_lo, s12
; %bb.2508:                             ;   in Loop: Header=BB440_1190 Depth=1
	v_bfe_u32 v9, v7, 16, 1
	s_delay_alu instid0(VALU_DEP_1)
	v_add3_u32 v89, v7, v9, 0x7fff
                                        ; implicit-def: $vgpr7
; %bb.2509:                             ;   in Loop: Header=BB440_1190 Depth=1
	s_and_not1_saveexec_b32 s12, s0
; %bb.2510:                             ;   in Loop: Header=BB440_1190 Depth=1
	v_and_b32_e32 v9, 0xffff, v7
	v_or_b32_e32 v89, 0x10000, v7
	s_delay_alu instid0(VALU_DEP_2) | instskip(NEXT) | instid1(VALU_DEP_1)
	v_cmp_eq_u32_e64 s0, 0, v9
	v_cndmask_b32_e64 v89, v89, v7, s0
; %bb.2511:                             ;   in Loop: Header=BB440_1190 Depth=1
	s_or_b32 exec_lo, exec_lo, s12
	v_lshlrev_b32_e32 v6, 16, v6
                                        ; implicit-def: $vgpr90
	s_delay_alu instid0(VALU_DEP_1) | instskip(NEXT) | instid1(VALU_DEP_1)
	v_mul_f32_e32 v6, v103, v6
	v_and_b32_e32 v7, 0x7f800000, v6
	s_delay_alu instid0(VALU_DEP_1) | instskip(NEXT) | instid1(VALU_DEP_1)
	v_cmp_ne_u32_e64 s0, 0x7f800000, v7
	s_and_saveexec_b32 s12, s0
	s_delay_alu instid0(SALU_CYCLE_1)
	s_xor_b32 s0, exec_lo, s12
; %bb.2512:                             ;   in Loop: Header=BB440_1190 Depth=1
	v_bfe_u32 v7, v6, 16, 1
	s_delay_alu instid0(VALU_DEP_1)
	v_add3_u32 v90, v6, v7, 0x7fff
                                        ; implicit-def: $vgpr6
; %bb.2513:                             ;   in Loop: Header=BB440_1190 Depth=1
	s_and_not1_saveexec_b32 s12, s0
; %bb.2514:                             ;   in Loop: Header=BB440_1190 Depth=1
	v_and_b32_e32 v7, 0xffff, v6
	v_or_b32_e32 v9, 0x10000, v6
	s_delay_alu instid0(VALU_DEP_2) | instskip(NEXT) | instid1(VALU_DEP_1)
	v_cmp_eq_u32_e64 s0, 0, v7
	v_cndmask_b32_e64 v90, v9, v6, s0
; %bb.2515:                             ;   in Loop: Header=BB440_1190 Depth=1
	s_or_b32 exec_lo, exec_lo, s12
	v_lshlrev_b32_e32 v3, 16, v3
                                        ; implicit-def: $vgpr91
	s_delay_alu instid0(VALU_DEP_1) | instskip(NEXT) | instid1(VALU_DEP_1)
	v_mul_f32_e32 v3, v112, v3
	v_and_b32_e32 v6, 0x7f800000, v3
	s_delay_alu instid0(VALU_DEP_1) | instskip(NEXT) | instid1(VALU_DEP_1)
	v_cmp_ne_u32_e64 s0, 0x7f800000, v6
	s_and_saveexec_b32 s12, s0
	s_delay_alu instid0(SALU_CYCLE_1)
	s_xor_b32 s0, exec_lo, s12
; %bb.2516:                             ;   in Loop: Header=BB440_1190 Depth=1
	v_bfe_u32 v6, v3, 16, 1
	s_delay_alu instid0(VALU_DEP_1)
	v_add3_u32 v91, v3, v6, 0x7fff
                                        ; implicit-def: $vgpr3
; %bb.2517:                             ;   in Loop: Header=BB440_1190 Depth=1
	s_and_not1_saveexec_b32 s12, s0
; %bb.2518:                             ;   in Loop: Header=BB440_1190 Depth=1
	v_and_b32_e32 v6, 0xffff, v3
	v_or_b32_e32 v7, 0x10000, v3
	s_delay_alu instid0(VALU_DEP_2) | instskip(NEXT) | instid1(VALU_DEP_1)
	v_cmp_eq_u32_e64 s0, 0, v6
	v_cndmask_b32_e64 v91, v7, v3, s0
; %bb.2519:                             ;   in Loop: Header=BB440_1190 Depth=1
	s_or_b32 exec_lo, exec_lo, s12
	v_lshlrev_b32_e32 v2, 16, v2
                                        ; implicit-def: $vgpr92
	s_delay_alu instid0(VALU_DEP_1) | instskip(NEXT) | instid1(VALU_DEP_1)
	v_mul_f32_e32 v2, v113, v2
	v_and_b32_e32 v3, 0x7f800000, v2
	s_delay_alu instid0(VALU_DEP_1) | instskip(NEXT) | instid1(VALU_DEP_1)
	v_cmp_ne_u32_e64 s0, 0x7f800000, v3
	s_and_saveexec_b32 s12, s0
	s_delay_alu instid0(SALU_CYCLE_1)
	s_xor_b32 s0, exec_lo, s12
; %bb.2520:                             ;   in Loop: Header=BB440_1190 Depth=1
	v_bfe_u32 v3, v2, 16, 1
	s_delay_alu instid0(VALU_DEP_1)
	v_add3_u32 v92, v2, v3, 0x7fff
                                        ; implicit-def: $vgpr2
; %bb.2521:                             ;   in Loop: Header=BB440_1190 Depth=1
	s_and_not1_saveexec_b32 s12, s0
; %bb.2522:                             ;   in Loop: Header=BB440_1190 Depth=1
	v_and_b32_e32 v3, 0xffff, v2
	v_or_b32_e32 v6, 0x10000, v2
	s_delay_alu instid0(VALU_DEP_2) | instskip(NEXT) | instid1(VALU_DEP_1)
	v_cmp_eq_u32_e64 s0, 0, v3
	v_cndmask_b32_e64 v92, v6, v2, s0
; %bb.2523:                             ;   in Loop: Header=BB440_1190 Depth=1
	s_or_b32 exec_lo, exec_lo, s12
	flat_load_b64 v[2:3], v[0:1] offset:2560
	s_mov_b32 s12, exec_lo
	s_waitcnt vmcnt(0) lgkmcnt(0)
	v_dual_mov_b32 v6, 0 :: v_dual_and_b32 v7, 0xff, v2
	s_delay_alu instid0(VALU_DEP_1)
	v_cmpx_ne_u16_e32 0, v7
	s_cbranch_execz .LBB440_2531
; %bb.2524:                             ;   in Loop: Header=BB440_1190 Depth=1
	v_bfrev_b32_e32 v6, 1
	s_mov_b32 s13, exec_lo
	v_cmpx_ne_u16_e32 0x80, v7
	s_cbranch_execz .LBB440_2530
; %bb.2525:                             ;   in Loop: Header=BB440_1190 Depth=1
	v_and_b32_e32 v7, 0x7f, v2
	v_mov_b32_e32 v6, 0x7f800001
	s_mov_b32 s15, exec_lo
	s_delay_alu instid0(VALU_DEP_2)
	v_cmpx_ne_u32_e32 0x7f, v7
	s_cbranch_execz .LBB440_2529
; %bb.2526:                             ;   in Loop: Header=BB440_1190 Depth=1
	v_lshrrev_b32_e32 v9, 3, v7
	v_cmp_gt_u32_e64 s0, 8, v7
	v_dual_mov_b32 v7, v3 :: v_dual_mov_b32 v6, v2
	s_delay_alu instid0(VALU_DEP_2)
	s_and_saveexec_b32 s16, s0
; %bb.2527:                             ;   in Loop: Header=BB440_1190 Depth=1
	v_and_b32_e32 v6, 7, v2
	s_delay_alu instid0(VALU_DEP_1) | instskip(NEXT) | instid1(VALU_DEP_1)
	v_clz_i32_u32_e32 v6, v6
	v_min_u32_e32 v9, 32, v6
	s_delay_alu instid0(VALU_DEP_1) | instskip(SKIP_1) | instid1(VALU_DEP_2)
	v_subrev_nc_u32_e32 v6, 28, v9
	v_sub_nc_u32_e32 v9, 29, v9
	v_lshlrev_b64 v[6:7], v6, v[2:3]
; %bb.2528:                             ;   in Loop: Header=BB440_1190 Depth=1
	s_or_b32 exec_lo, exec_lo, s16
	s_delay_alu instid0(VALU_DEP_1) | instskip(SKIP_2) | instid1(VALU_DEP_3)
	v_lshlrev_b32_e32 v6, 20, v6
	v_lshlrev_b32_e32 v7, 24, v2
	v_lshl_add_u32 v9, v9, 23, 0x3c000000
	v_and_b32_e32 v6, 0x700000, v6
	s_delay_alu instid0(VALU_DEP_3) | instskip(NEXT) | instid1(VALU_DEP_1)
	v_and_b32_e32 v7, 0x80000000, v7
	v_or3_b32 v6, v6, v7, v9
.LBB440_2529:                           ;   in Loop: Header=BB440_1190 Depth=1
	s_or_b32 exec_lo, exec_lo, s15
.LBB440_2530:                           ;   in Loop: Header=BB440_1190 Depth=1
	s_delay_alu instid0(SALU_CYCLE_1)
	s_or_b32 exec_lo, exec_lo, s13
.LBB440_2531:                           ;   in Loop: Header=BB440_1190 Depth=1
	s_delay_alu instid0(SALU_CYCLE_1) | instskip(NEXT) | instid1(VALU_DEP_1)
	s_or_b32 exec_lo, exec_lo, s12
	v_mul_f32_e32 v6, v8, v6
                                        ; implicit-def: $vgpr93
	s_delay_alu instid0(VALU_DEP_1) | instskip(NEXT) | instid1(VALU_DEP_1)
	v_and_b32_e32 v7, 0x7f800000, v6
	v_cmp_ne_u32_e64 s0, 0x7f800000, v7
	s_delay_alu instid0(VALU_DEP_1) | instskip(NEXT) | instid1(SALU_CYCLE_1)
	s_and_saveexec_b32 s12, s0
	s_xor_b32 s0, exec_lo, s12
; %bb.2532:                             ;   in Loop: Header=BB440_1190 Depth=1
	v_bfe_u32 v7, v6, 16, 1
	s_delay_alu instid0(VALU_DEP_1)
	v_add3_u32 v93, v6, v7, 0x7fff
                                        ; implicit-def: $vgpr6
; %bb.2533:                             ;   in Loop: Header=BB440_1190 Depth=1
	s_and_not1_saveexec_b32 s12, s0
; %bb.2534:                             ;   in Loop: Header=BB440_1190 Depth=1
	v_and_b32_e32 v7, 0xffff, v6
	v_or_b32_e32 v9, 0x10000, v6
	s_delay_alu instid0(VALU_DEP_2) | instskip(NEXT) | instid1(VALU_DEP_1)
	v_cmp_eq_u32_e64 s0, 0, v7
	v_cndmask_b32_e64 v93, v9, v6, s0
; %bb.2535:                             ;   in Loop: Header=BB440_1190 Depth=1
	s_or_b32 exec_lo, exec_lo, s12
	v_lshrrev_b16 v7, 8, v2
	v_mov_b32_e32 v6, 0
	s_mov_b32 s12, exec_lo
	s_delay_alu instid0(VALU_DEP_2)
	v_cmpx_ne_u16_e32 0, v7
	s_cbranch_execz .LBB440_2543
; %bb.2536:                             ;   in Loop: Header=BB440_1190 Depth=1
	v_bfrev_b32_e32 v6, 1
	s_mov_b32 s13, exec_lo
	v_cmpx_ne_u16_e32 0x80, v7
	s_cbranch_execz .LBB440_2542
; %bb.2537:                             ;   in Loop: Header=BB440_1190 Depth=1
	v_and_b32_e32 v9, 0xffff, v7
	v_mov_b32_e32 v6, 0x7f800001
	s_mov_b32 s15, exec_lo
	s_delay_alu instid0(VALU_DEP_2) | instskip(NEXT) | instid1(VALU_DEP_1)
	v_and_b32_e32 v7, 0x7f, v9
	v_cmpx_ne_u32_e32 0x7f, v7
	s_cbranch_execz .LBB440_2541
; %bb.2538:                             ;   in Loop: Header=BB440_1190 Depth=1
	v_and_b32_e32 v9, 7, v9
	v_lshrrev_b32_e32 v94, 3, v7
	v_cmp_gt_u32_e64 s0, 8, v7
	s_delay_alu instid0(VALU_DEP_3) | instskip(NEXT) | instid1(VALU_DEP_2)
	v_dual_mov_b32 v6, v9 :: v_dual_mov_b32 v7, v10
	s_and_saveexec_b32 s16, s0
; %bb.2539:                             ;   in Loop: Header=BB440_1190 Depth=1
	v_clz_i32_u32_e32 v6, v9
	s_delay_alu instid0(VALU_DEP_1) | instskip(NEXT) | instid1(VALU_DEP_1)
	v_min_u32_e32 v94, 32, v6
	v_subrev_nc_u32_e32 v6, 28, v94
	v_sub_nc_u32_e32 v94, 29, v94
	s_delay_alu instid0(VALU_DEP_2) | instskip(NEXT) | instid1(VALU_DEP_1)
	v_lshlrev_b64 v[6:7], v6, v[9:10]
	v_and_b32_e32 v6, 7, v6
; %bb.2540:                             ;   in Loop: Header=BB440_1190 Depth=1
	s_or_b32 exec_lo, exec_lo, s16
	v_lshlrev_b32_e32 v7, 16, v2
	s_delay_alu instid0(VALU_DEP_2) | instskip(SKIP_1) | instid1(VALU_DEP_3)
	v_lshlrev_b32_e32 v6, 20, v6
	v_lshl_add_u32 v9, v94, 23, 0x3c000000
	v_and_b32_e32 v7, 0x80000000, v7
	s_delay_alu instid0(VALU_DEP_1)
	v_or3_b32 v6, v6, v7, v9
.LBB440_2541:                           ;   in Loop: Header=BB440_1190 Depth=1
	s_or_b32 exec_lo, exec_lo, s15
.LBB440_2542:                           ;   in Loop: Header=BB440_1190 Depth=1
	s_delay_alu instid0(SALU_CYCLE_1)
	s_or_b32 exec_lo, exec_lo, s13
.LBB440_2543:                           ;   in Loop: Header=BB440_1190 Depth=1
	s_delay_alu instid0(SALU_CYCLE_1) | instskip(NEXT) | instid1(VALU_DEP_1)
	s_or_b32 exec_lo, exec_lo, s12
	v_mul_f32_e32 v6, v8, v6
                                        ; implicit-def: $vgpr94
	s_delay_alu instid0(VALU_DEP_1) | instskip(NEXT) | instid1(VALU_DEP_1)
	v_and_b32_e32 v7, 0x7f800000, v6
	v_cmp_ne_u32_e64 s0, 0x7f800000, v7
	s_delay_alu instid0(VALU_DEP_1) | instskip(NEXT) | instid1(SALU_CYCLE_1)
	s_and_saveexec_b32 s12, s0
	s_xor_b32 s0, exec_lo, s12
; %bb.2544:                             ;   in Loop: Header=BB440_1190 Depth=1
	v_bfe_u32 v7, v6, 16, 1
	s_delay_alu instid0(VALU_DEP_1)
	v_add3_u32 v94, v6, v7, 0x7fff
                                        ; implicit-def: $vgpr6
; %bb.2545:                             ;   in Loop: Header=BB440_1190 Depth=1
	s_and_not1_saveexec_b32 s12, s0
; %bb.2546:                             ;   in Loop: Header=BB440_1190 Depth=1
	v_and_b32_e32 v7, 0xffff, v6
	v_or_b32_e32 v9, 0x10000, v6
	s_delay_alu instid0(VALU_DEP_2) | instskip(NEXT) | instid1(VALU_DEP_1)
	v_cmp_eq_u32_e64 s0, 0, v7
	v_cndmask_b32_e64 v94, v9, v6, s0
; %bb.2547:                             ;   in Loop: Header=BB440_1190 Depth=1
	s_or_b32 exec_lo, exec_lo, s12
	v_lshrrev_b32_e32 v95, 16, v2
	s_mov_b32 s12, exec_lo
	s_delay_alu instid0(VALU_DEP_1) | instskip(NEXT) | instid1(VALU_DEP_1)
	v_dual_mov_b32 v6, 0 :: v_dual_and_b32 v7, 0xff, v95
	v_cmpx_ne_u16_e32 0, v7
	s_cbranch_execz .LBB440_2555
; %bb.2548:                             ;   in Loop: Header=BB440_1190 Depth=1
	v_bfrev_b32_e32 v6, 1
	s_mov_b32 s13, exec_lo
	v_cmpx_ne_u16_e32 0x80, v7
	s_cbranch_execz .LBB440_2554
; %bb.2549:                             ;   in Loop: Header=BB440_1190 Depth=1
	v_bfe_u32 v7, v2, 16, 7
	v_mov_b32_e32 v6, 0x7f800001
	s_mov_b32 s15, exec_lo
	s_delay_alu instid0(VALU_DEP_2)
	v_cmpx_ne_u32_e32 0x7f, v7
	s_cbranch_execz .LBB440_2553
; %bb.2550:                             ;   in Loop: Header=BB440_1190 Depth=1
	v_and_b32_e32 v9, 7, v95
	v_lshrrev_b32_e32 v104, 3, v7
	v_cmp_gt_u32_e64 s0, 8, v7
	s_delay_alu instid0(VALU_DEP_3) | instskip(NEXT) | instid1(VALU_DEP_2)
	v_dual_mov_b32 v6, v9 :: v_dual_mov_b32 v7, v10
	s_and_saveexec_b32 s16, s0
; %bb.2551:                             ;   in Loop: Header=BB440_1190 Depth=1
	v_clz_i32_u32_e32 v6, v9
	s_delay_alu instid0(VALU_DEP_1) | instskip(NEXT) | instid1(VALU_DEP_1)
	v_min_u32_e32 v104, 32, v6
	v_subrev_nc_u32_e32 v6, 28, v104
	v_sub_nc_u32_e32 v104, 29, v104
	s_delay_alu instid0(VALU_DEP_2) | instskip(NEXT) | instid1(VALU_DEP_1)
	v_lshlrev_b64 v[6:7], v6, v[9:10]
	v_and_b32_e32 v6, 7, v6
; %bb.2552:                             ;   in Loop: Header=BB440_1190 Depth=1
	s_or_b32 exec_lo, exec_lo, s16
	v_lshlrev_b32_e32 v7, 24, v95
	s_delay_alu instid0(VALU_DEP_2) | instskip(SKIP_1) | instid1(VALU_DEP_3)
	v_lshlrev_b32_e32 v6, 20, v6
	v_lshl_add_u32 v9, v104, 23, 0x3c000000
	v_and_b32_e32 v7, 0x80000000, v7
	s_delay_alu instid0(VALU_DEP_1)
	v_or3_b32 v6, v6, v7, v9
.LBB440_2553:                           ;   in Loop: Header=BB440_1190 Depth=1
	s_or_b32 exec_lo, exec_lo, s15
.LBB440_2554:                           ;   in Loop: Header=BB440_1190 Depth=1
	s_delay_alu instid0(SALU_CYCLE_1)
	s_or_b32 exec_lo, exec_lo, s13
.LBB440_2555:                           ;   in Loop: Header=BB440_1190 Depth=1
	s_delay_alu instid0(SALU_CYCLE_1) | instskip(NEXT) | instid1(VALU_DEP_1)
	s_or_b32 exec_lo, exec_lo, s12
	v_mul_f32_e32 v6, v8, v6
                                        ; implicit-def: $vgpr95
	s_delay_alu instid0(VALU_DEP_1) | instskip(NEXT) | instid1(VALU_DEP_1)
	v_and_b32_e32 v7, 0x7f800000, v6
	v_cmp_ne_u32_e64 s0, 0x7f800000, v7
	s_delay_alu instid0(VALU_DEP_1) | instskip(NEXT) | instid1(SALU_CYCLE_1)
	s_and_saveexec_b32 s12, s0
	s_xor_b32 s0, exec_lo, s12
; %bb.2556:                             ;   in Loop: Header=BB440_1190 Depth=1
	v_bfe_u32 v7, v6, 16, 1
	s_delay_alu instid0(VALU_DEP_1)
	v_add3_u32 v95, v6, v7, 0x7fff
                                        ; implicit-def: $vgpr6
; %bb.2557:                             ;   in Loop: Header=BB440_1190 Depth=1
	s_and_not1_saveexec_b32 s12, s0
; %bb.2558:                             ;   in Loop: Header=BB440_1190 Depth=1
	v_and_b32_e32 v7, 0xffff, v6
	v_or_b32_e32 v9, 0x10000, v6
	s_delay_alu instid0(VALU_DEP_2) | instskip(NEXT) | instid1(VALU_DEP_1)
	v_cmp_eq_u32_e64 s0, 0, v7
	v_cndmask_b32_e64 v95, v9, v6, s0
; %bb.2559:                             ;   in Loop: Header=BB440_1190 Depth=1
	s_or_b32 exec_lo, exec_lo, s12
	v_mov_b32_e32 v6, 0
	s_mov_b32 s12, exec_lo
	v_cmpx_lt_u32_e32 0xffffff, v2
	s_cbranch_execz .LBB440_2567
; %bb.2560:                             ;   in Loop: Header=BB440_1190 Depth=1
	v_lshrrev_b32_e32 v104, 24, v2
	v_bfrev_b32_e32 v6, 1
	s_mov_b32 s13, exec_lo
	s_delay_alu instid0(VALU_DEP_2)
	v_cmpx_ne_u32_e32 0x80, v104
	s_cbranch_execz .LBB440_2566
; %bb.2561:                             ;   in Loop: Header=BB440_1190 Depth=1
	v_bfe_u32 v7, v2, 24, 7
	v_mov_b32_e32 v6, 0x7f800001
	s_mov_b32 s15, exec_lo
	s_delay_alu instid0(VALU_DEP_2)
	v_cmpx_ne_u32_e32 0x7f, v7
	s_cbranch_execz .LBB440_2565
; %bb.2562:                             ;   in Loop: Header=BB440_1190 Depth=1
	v_and_b32_e32 v9, 7, v104
	v_lshrrev_b32_e32 v105, 3, v7
	v_cmp_gt_u32_e64 s0, 8, v7
	s_delay_alu instid0(VALU_DEP_3) | instskip(NEXT) | instid1(VALU_DEP_2)
	v_dual_mov_b32 v6, v9 :: v_dual_mov_b32 v7, v10
	s_and_saveexec_b32 s16, s0
; %bb.2563:                             ;   in Loop: Header=BB440_1190 Depth=1
	v_clz_i32_u32_e32 v6, v9
	s_delay_alu instid0(VALU_DEP_1) | instskip(NEXT) | instid1(VALU_DEP_1)
	v_min_u32_e32 v105, 32, v6
	v_subrev_nc_u32_e32 v6, 28, v105
	v_sub_nc_u32_e32 v105, 29, v105
	s_delay_alu instid0(VALU_DEP_2) | instskip(NEXT) | instid1(VALU_DEP_1)
	v_lshlrev_b64 v[6:7], v6, v[9:10]
	v_and_b32_e32 v6, 7, v6
; %bb.2564:                             ;   in Loop: Header=BB440_1190 Depth=1
	s_or_b32 exec_lo, exec_lo, s16
	v_lshlrev_b32_e32 v7, 24, v104
	s_delay_alu instid0(VALU_DEP_2) | instskip(SKIP_1) | instid1(VALU_DEP_3)
	v_lshlrev_b32_e32 v6, 20, v6
	v_lshl_add_u32 v9, v105, 23, 0x3c000000
	v_and_b32_e32 v7, 0x80000000, v7
	s_delay_alu instid0(VALU_DEP_1)
	v_or3_b32 v6, v6, v7, v9
.LBB440_2565:                           ;   in Loop: Header=BB440_1190 Depth=1
	s_or_b32 exec_lo, exec_lo, s15
.LBB440_2566:                           ;   in Loop: Header=BB440_1190 Depth=1
	s_delay_alu instid0(SALU_CYCLE_1)
	s_or_b32 exec_lo, exec_lo, s13
.LBB440_2567:                           ;   in Loop: Header=BB440_1190 Depth=1
	s_delay_alu instid0(SALU_CYCLE_1) | instskip(NEXT) | instid1(VALU_DEP_1)
	s_or_b32 exec_lo, exec_lo, s12
	v_mul_f32_e32 v6, v8, v6
                                        ; implicit-def: $vgpr104
	s_delay_alu instid0(VALU_DEP_1) | instskip(NEXT) | instid1(VALU_DEP_1)
	v_and_b32_e32 v7, 0x7f800000, v6
	v_cmp_ne_u32_e64 s0, 0x7f800000, v7
	s_delay_alu instid0(VALU_DEP_1) | instskip(NEXT) | instid1(SALU_CYCLE_1)
	s_and_saveexec_b32 s12, s0
	s_xor_b32 s0, exec_lo, s12
; %bb.2568:                             ;   in Loop: Header=BB440_1190 Depth=1
	v_bfe_u32 v7, v6, 16, 1
	s_delay_alu instid0(VALU_DEP_1)
	v_add3_u32 v104, v6, v7, 0x7fff
                                        ; implicit-def: $vgpr6
; %bb.2569:                             ;   in Loop: Header=BB440_1190 Depth=1
	s_and_not1_saveexec_b32 s12, s0
; %bb.2570:                             ;   in Loop: Header=BB440_1190 Depth=1
	v_and_b32_e32 v7, 0xffff, v6
	v_or_b32_e32 v9, 0x10000, v6
	s_delay_alu instid0(VALU_DEP_2) | instskip(NEXT) | instid1(VALU_DEP_1)
	v_cmp_eq_u32_e64 s0, 0, v7
	v_cndmask_b32_e64 v104, v9, v6, s0
; %bb.2571:                             ;   in Loop: Header=BB440_1190 Depth=1
	s_or_b32 exec_lo, exec_lo, s12
	v_dual_mov_b32 v6, 0 :: v_dual_and_b32 v7, 0xff, v3
	v_mov_b32_e32 v9, v3
	s_mov_b32 s12, exec_lo
	s_delay_alu instid0(VALU_DEP_2)
	v_cmpx_ne_u16_e32 0, v7
	s_cbranch_execz .LBB440_2579
; %bb.2572:                             ;   in Loop: Header=BB440_1190 Depth=1
	v_bfrev_b32_e32 v6, 1
	s_mov_b32 s13, exec_lo
	v_cmpx_ne_u16_e32 0x80, v7
	s_cbranch_execz .LBB440_2578
; %bb.2573:                             ;   in Loop: Header=BB440_1190 Depth=1
	v_and_b32_e32 v7, 0x7f, v3
	v_mov_b32_e32 v6, 0x7f800001
	s_mov_b32 s15, exec_lo
	s_delay_alu instid0(VALU_DEP_2)
	v_cmpx_ne_u32_e32 0x7f, v7
	s_cbranch_execz .LBB440_2577
; %bb.2574:                             ;   in Loop: Header=BB440_1190 Depth=1
	v_lshrrev_b32_e32 v105, 3, v7
	v_cmp_gt_u32_e64 s0, 8, v7
	v_dual_mov_b32 v6, v9 :: v_dual_mov_b32 v7, v10
	s_delay_alu instid0(VALU_DEP_2)
	s_and_saveexec_b32 s16, s0
; %bb.2575:                             ;   in Loop: Header=BB440_1190 Depth=1
	v_and_b32_e32 v6, 7, v3
	s_delay_alu instid0(VALU_DEP_1) | instskip(NEXT) | instid1(VALU_DEP_1)
	v_clz_i32_u32_e32 v6, v6
	v_min_u32_e32 v105, 32, v6
	s_delay_alu instid0(VALU_DEP_1) | instskip(SKIP_1) | instid1(VALU_DEP_2)
	v_subrev_nc_u32_e32 v6, 28, v105
	v_sub_nc_u32_e32 v105, 29, v105
	v_lshlrev_b64 v[6:7], v6, v[9:10]
; %bb.2576:                             ;   in Loop: Header=BB440_1190 Depth=1
	s_or_b32 exec_lo, exec_lo, s16
	s_delay_alu instid0(VALU_DEP_1) | instskip(SKIP_2) | instid1(VALU_DEP_3)
	v_lshlrev_b32_e32 v6, 20, v6
	v_lshlrev_b32_e32 v7, 24, v9
	v_lshl_add_u32 v105, v105, 23, 0x3c000000
	v_and_b32_e32 v6, 0x700000, v6
	s_delay_alu instid0(VALU_DEP_3) | instskip(NEXT) | instid1(VALU_DEP_1)
	v_and_b32_e32 v7, 0x80000000, v7
	v_or3_b32 v6, v6, v7, v105
.LBB440_2577:                           ;   in Loop: Header=BB440_1190 Depth=1
	s_or_b32 exec_lo, exec_lo, s15
.LBB440_2578:                           ;   in Loop: Header=BB440_1190 Depth=1
	s_delay_alu instid0(SALU_CYCLE_1)
	s_or_b32 exec_lo, exec_lo, s13
.LBB440_2579:                           ;   in Loop: Header=BB440_1190 Depth=1
	s_delay_alu instid0(SALU_CYCLE_1) | instskip(NEXT) | instid1(VALU_DEP_1)
	s_or_b32 exec_lo, exec_lo, s12
	v_mul_f32_e32 v6, v8, v6
                                        ; implicit-def: $vgpr105
	s_delay_alu instid0(VALU_DEP_1) | instskip(NEXT) | instid1(VALU_DEP_1)
	v_and_b32_e32 v7, 0x7f800000, v6
	v_cmp_ne_u32_e64 s0, 0x7f800000, v7
	s_delay_alu instid0(VALU_DEP_1) | instskip(NEXT) | instid1(SALU_CYCLE_1)
	s_and_saveexec_b32 s12, s0
	s_xor_b32 s0, exec_lo, s12
; %bb.2580:                             ;   in Loop: Header=BB440_1190 Depth=1
	v_bfe_u32 v7, v6, 16, 1
	s_delay_alu instid0(VALU_DEP_1)
	v_add3_u32 v105, v6, v7, 0x7fff
                                        ; implicit-def: $vgpr6
; %bb.2581:                             ;   in Loop: Header=BB440_1190 Depth=1
	s_and_not1_saveexec_b32 s12, s0
; %bb.2582:                             ;   in Loop: Header=BB440_1190 Depth=1
	v_and_b32_e32 v7, 0xffff, v6
	v_or_b32_e32 v105, 0x10000, v6
	s_delay_alu instid0(VALU_DEP_2) | instskip(NEXT) | instid1(VALU_DEP_1)
	v_cmp_eq_u32_e64 s0, 0, v7
	v_cndmask_b32_e64 v105, v105, v6, s0
; %bb.2583:                             ;   in Loop: Header=BB440_1190 Depth=1
	s_or_b32 exec_lo, exec_lo, s12
	v_lshrrev_b16 v7, 8, v9
	v_mov_b32_e32 v6, 0
	s_mov_b32 s12, exec_lo
	s_delay_alu instid0(VALU_DEP_2)
	v_cmpx_ne_u16_e32 0, v7
	s_cbranch_execz .LBB440_2591
; %bb.2584:                             ;   in Loop: Header=BB440_1190 Depth=1
	v_bfrev_b32_e32 v6, 1
	s_mov_b32 s13, exec_lo
	v_cmpx_ne_u16_e32 0x80, v7
	s_cbranch_execz .LBB440_2590
; %bb.2585:                             ;   in Loop: Header=BB440_1190 Depth=1
	v_and_b32_e32 v7, 0xffff, v7
	v_mov_b32_e32 v6, 0x7f800001
	s_mov_b32 s15, exec_lo
	s_delay_alu instid0(VALU_DEP_2) | instskip(NEXT) | instid1(VALU_DEP_1)
	v_and_b32_e32 v107, 0x7f, v7
	v_cmpx_ne_u32_e32 0x7f, v107
	s_cbranch_execz .LBB440_2589
; %bb.2586:                             ;   in Loop: Header=BB440_1190 Depth=1
	v_dual_mov_b32 v7, v10 :: v_dual_and_b32 v6, 7, v7
	v_lshrrev_b32_e32 v106, 3, v107
	s_mov_b32 s16, exec_lo
	v_cmpx_gt_u32_e32 8, v107
; %bb.2587:                             ;   in Loop: Header=BB440_1190 Depth=1
	s_delay_alu instid0(VALU_DEP_3) | instskip(NEXT) | instid1(VALU_DEP_1)
	v_clz_i32_u32_e32 v106, v6
	v_min_u32_e32 v106, 32, v106
	s_delay_alu instid0(VALU_DEP_1) | instskip(SKIP_1) | instid1(VALU_DEP_2)
	v_subrev_nc_u32_e32 v107, 28, v106
	v_sub_nc_u32_e32 v106, 29, v106
	v_lshlrev_b64 v[6:7], v107, v[6:7]
	s_delay_alu instid0(VALU_DEP_1)
	v_and_b32_e32 v6, 7, v6
; %bb.2588:                             ;   in Loop: Header=BB440_1190 Depth=1
	s_or_b32 exec_lo, exec_lo, s16
	v_lshlrev_b32_e32 v7, 16, v9
	s_delay_alu instid0(VALU_DEP_2) | instskip(SKIP_1) | instid1(VALU_DEP_3)
	v_lshlrev_b32_e32 v6, 20, v6
	v_lshl_add_u32 v9, v106, 23, 0x3c000000
	v_and_b32_e32 v7, 0x80000000, v7
	s_delay_alu instid0(VALU_DEP_1)
	v_or3_b32 v6, v6, v7, v9
.LBB440_2589:                           ;   in Loop: Header=BB440_1190 Depth=1
	s_or_b32 exec_lo, exec_lo, s15
.LBB440_2590:                           ;   in Loop: Header=BB440_1190 Depth=1
	s_delay_alu instid0(SALU_CYCLE_1)
	s_or_b32 exec_lo, exec_lo, s13
.LBB440_2591:                           ;   in Loop: Header=BB440_1190 Depth=1
	s_delay_alu instid0(SALU_CYCLE_1) | instskip(NEXT) | instid1(VALU_DEP_1)
	s_or_b32 exec_lo, exec_lo, s12
	v_mul_f32_e32 v6, v8, v6
                                        ; implicit-def: $vgpr106
	s_delay_alu instid0(VALU_DEP_1) | instskip(NEXT) | instid1(VALU_DEP_1)
	v_and_b32_e32 v7, 0x7f800000, v6
	v_cmp_ne_u32_e64 s0, 0x7f800000, v7
	s_delay_alu instid0(VALU_DEP_1) | instskip(NEXT) | instid1(SALU_CYCLE_1)
	s_and_saveexec_b32 s12, s0
	s_xor_b32 s0, exec_lo, s12
; %bb.2592:                             ;   in Loop: Header=BB440_1190 Depth=1
	v_bfe_u32 v7, v6, 16, 1
	s_delay_alu instid0(VALU_DEP_1)
	v_add3_u32 v106, v6, v7, 0x7fff
                                        ; implicit-def: $vgpr6
; %bb.2593:                             ;   in Loop: Header=BB440_1190 Depth=1
	s_and_not1_saveexec_b32 s12, s0
; %bb.2594:                             ;   in Loop: Header=BB440_1190 Depth=1
	v_and_b32_e32 v7, 0xffff, v6
	v_or_b32_e32 v9, 0x10000, v6
	s_delay_alu instid0(VALU_DEP_2) | instskip(NEXT) | instid1(VALU_DEP_1)
	v_cmp_eq_u32_e64 s0, 0, v7
	v_cndmask_b32_e64 v106, v9, v6, s0
; %bb.2595:                             ;   in Loop: Header=BB440_1190 Depth=1
	s_or_b32 exec_lo, exec_lo, s12
	v_lshrrev_b32_e32 v107, 16, v3
	s_mov_b32 s12, exec_lo
	s_delay_alu instid0(VALU_DEP_1) | instskip(NEXT) | instid1(VALU_DEP_1)
	v_dual_mov_b32 v6, 0 :: v_dual_and_b32 v7, 0xff, v107
	v_cmpx_ne_u16_e32 0, v7
	s_cbranch_execz .LBB440_2603
; %bb.2596:                             ;   in Loop: Header=BB440_1190 Depth=1
	v_bfrev_b32_e32 v6, 1
	s_mov_b32 s13, exec_lo
	v_cmpx_ne_u16_e32 0x80, v7
	s_cbranch_execz .LBB440_2602
; %bb.2597:                             ;   in Loop: Header=BB440_1190 Depth=1
	v_bfe_u32 v7, v3, 16, 7
	v_mov_b32_e32 v6, 0x7f800001
	s_mov_b32 s15, exec_lo
	s_delay_alu instid0(VALU_DEP_2)
	v_cmpx_ne_u32_e32 0x7f, v7
	s_cbranch_execz .LBB440_2601
; %bb.2598:                             ;   in Loop: Header=BB440_1190 Depth=1
	v_and_b32_e32 v9, 7, v107
	v_lshrrev_b32_e32 v108, 3, v7
	v_cmp_gt_u32_e64 s0, 8, v7
	s_delay_alu instid0(VALU_DEP_3) | instskip(NEXT) | instid1(VALU_DEP_2)
	v_dual_mov_b32 v6, v9 :: v_dual_mov_b32 v7, v10
	s_and_saveexec_b32 s16, s0
; %bb.2599:                             ;   in Loop: Header=BB440_1190 Depth=1
	v_clz_i32_u32_e32 v6, v9
	s_delay_alu instid0(VALU_DEP_1) | instskip(NEXT) | instid1(VALU_DEP_1)
	v_min_u32_e32 v108, 32, v6
	v_subrev_nc_u32_e32 v6, 28, v108
	v_sub_nc_u32_e32 v108, 29, v108
	s_delay_alu instid0(VALU_DEP_2) | instskip(NEXT) | instid1(VALU_DEP_1)
	v_lshlrev_b64 v[6:7], v6, v[9:10]
	v_and_b32_e32 v6, 7, v6
; %bb.2600:                             ;   in Loop: Header=BB440_1190 Depth=1
	s_or_b32 exec_lo, exec_lo, s16
	v_lshlrev_b32_e32 v7, 24, v107
	s_delay_alu instid0(VALU_DEP_2) | instskip(SKIP_1) | instid1(VALU_DEP_3)
	v_lshlrev_b32_e32 v6, 20, v6
	v_lshl_add_u32 v9, v108, 23, 0x3c000000
	v_and_b32_e32 v7, 0x80000000, v7
	s_delay_alu instid0(VALU_DEP_1)
	v_or3_b32 v6, v6, v7, v9
.LBB440_2601:                           ;   in Loop: Header=BB440_1190 Depth=1
	s_or_b32 exec_lo, exec_lo, s15
.LBB440_2602:                           ;   in Loop: Header=BB440_1190 Depth=1
	s_delay_alu instid0(SALU_CYCLE_1)
	s_or_b32 exec_lo, exec_lo, s13
.LBB440_2603:                           ;   in Loop: Header=BB440_1190 Depth=1
	s_delay_alu instid0(SALU_CYCLE_1) | instskip(NEXT) | instid1(VALU_DEP_1)
	s_or_b32 exec_lo, exec_lo, s12
	v_mul_f32_e32 v7, v8, v6
	s_delay_alu instid0(VALU_DEP_1) | instskip(NEXT) | instid1(VALU_DEP_1)
	v_and_b32_e32 v6, 0x7f800000, v7
	v_cmp_ne_u32_e64 s0, 0x7f800000, v6
                                        ; implicit-def: $vgpr6
	s_delay_alu instid0(VALU_DEP_1) | instskip(NEXT) | instid1(SALU_CYCLE_1)
	s_and_saveexec_b32 s12, s0
	s_xor_b32 s0, exec_lo, s12
; %bb.2604:                             ;   in Loop: Header=BB440_1190 Depth=1
	v_bfe_u32 v6, v7, 16, 1
	s_delay_alu instid0(VALU_DEP_1)
	v_add3_u32 v6, v7, v6, 0x7fff
                                        ; implicit-def: $vgpr7
; %bb.2605:                             ;   in Loop: Header=BB440_1190 Depth=1
	s_and_not1_saveexec_b32 s12, s0
; %bb.2606:                             ;   in Loop: Header=BB440_1190 Depth=1
	v_and_b32_e32 v6, 0xffff, v7
	v_or_b32_e32 v9, 0x10000, v7
	s_delay_alu instid0(VALU_DEP_2) | instskip(NEXT) | instid1(VALU_DEP_1)
	v_cmp_eq_u32_e64 s0, 0, v6
	v_cndmask_b32_e64 v6, v9, v7, s0
; %bb.2607:                             ;   in Loop: Header=BB440_1190 Depth=1
	s_or_b32 exec_lo, exec_lo, s12
	v_cmp_lt_u64_e64 s0, s[8:9], v[2:3]
	v_mov_b32_e32 v2, 0
	s_delay_alu instid0(VALU_DEP_2)
	s_and_saveexec_b32 s12, s0
	s_cbranch_execz .LBB440_2615
; %bb.2608:                             ;   in Loop: Header=BB440_1190 Depth=1
	v_lshrrev_b32_e32 v7, 24, v3
	v_bfrev_b32_e32 v2, 1
	s_mov_b32 s13, exec_lo
	s_delay_alu instid0(VALU_DEP_2)
	v_cmpx_ne_u32_e32 0x80, v7
	s_cbranch_execz .LBB440_2614
; %bb.2609:                             ;   in Loop: Header=BB440_1190 Depth=1
	v_bfe_u32 v3, v3, 24, 7
	v_mov_b32_e32 v2, 0x7f800001
	s_mov_b32 s15, exec_lo
	s_delay_alu instid0(VALU_DEP_2)
	v_cmpx_ne_u32_e32 0x7f, v3
	s_cbranch_execz .LBB440_2613
; %bb.2610:                             ;   in Loop: Header=BB440_1190 Depth=1
	v_and_b32_e32 v9, 7, v7
	v_lshrrev_b32_e32 v107, 3, v3
	v_cmp_gt_u32_e64 s0, 8, v3
	s_delay_alu instid0(VALU_DEP_3) | instskip(NEXT) | instid1(VALU_DEP_2)
	v_dual_mov_b32 v2, v9 :: v_dual_mov_b32 v3, v10
	s_and_saveexec_b32 s16, s0
; %bb.2611:                             ;   in Loop: Header=BB440_1190 Depth=1
	v_clz_i32_u32_e32 v2, v9
	s_delay_alu instid0(VALU_DEP_1) | instskip(NEXT) | instid1(VALU_DEP_1)
	v_min_u32_e32 v107, 32, v2
	v_subrev_nc_u32_e32 v2, 28, v107
	v_sub_nc_u32_e32 v107, 29, v107
	s_delay_alu instid0(VALU_DEP_2) | instskip(NEXT) | instid1(VALU_DEP_1)
	v_lshlrev_b64 v[2:3], v2, v[9:10]
	v_and_b32_e32 v2, 7, v2
; %bb.2612:                             ;   in Loop: Header=BB440_1190 Depth=1
	s_or_b32 exec_lo, exec_lo, s16
	v_lshlrev_b32_e32 v3, 24, v7
	s_delay_alu instid0(VALU_DEP_2) | instskip(SKIP_1) | instid1(VALU_DEP_3)
	v_lshlrev_b32_e32 v2, 20, v2
	v_lshl_add_u32 v7, v107, 23, 0x3c000000
	v_and_b32_e32 v3, 0x80000000, v3
	s_delay_alu instid0(VALU_DEP_1)
	v_or3_b32 v2, v2, v3, v7
.LBB440_2613:                           ;   in Loop: Header=BB440_1190 Depth=1
	s_or_b32 exec_lo, exec_lo, s15
.LBB440_2614:                           ;   in Loop: Header=BB440_1190 Depth=1
	s_delay_alu instid0(SALU_CYCLE_1)
	s_or_b32 exec_lo, exec_lo, s13
.LBB440_2615:                           ;   in Loop: Header=BB440_1190 Depth=1
	s_delay_alu instid0(SALU_CYCLE_1) | instskip(NEXT) | instid1(VALU_DEP_1)
	s_or_b32 exec_lo, exec_lo, s12
	v_mul_f32_e32 v3, v8, v2
	s_delay_alu instid0(VALU_DEP_1) | instskip(NEXT) | instid1(VALU_DEP_1)
	v_and_b32_e32 v2, 0x7f800000, v3
	v_cmp_ne_u32_e64 s0, 0x7f800000, v2
                                        ; implicit-def: $vgpr2
	s_delay_alu instid0(VALU_DEP_1) | instskip(NEXT) | instid1(SALU_CYCLE_1)
	s_and_saveexec_b32 s12, s0
	s_xor_b32 s0, exec_lo, s12
; %bb.2616:                             ;   in Loop: Header=BB440_1190 Depth=1
	v_bfe_u32 v2, v3, 16, 1
	s_delay_alu instid0(VALU_DEP_1)
	v_add3_u32 v2, v3, v2, 0x7fff
                                        ; implicit-def: $vgpr3
; %bb.2617:                             ;   in Loop: Header=BB440_1190 Depth=1
	s_and_not1_saveexec_b32 s12, s0
; %bb.2618:                             ;   in Loop: Header=BB440_1190 Depth=1
	v_and_b32_e32 v2, 0xffff, v3
	v_or_b32_e32 v7, 0x10000, v3
	s_delay_alu instid0(VALU_DEP_2) | instskip(NEXT) | instid1(VALU_DEP_1)
	v_cmp_eq_u32_e64 s0, 0, v2
	v_cndmask_b32_e64 v2, v7, v3, s0
; %bb.2619:                             ;   in Loop: Header=BB440_1190 Depth=1
	s_or_b32 exec_lo, exec_lo, s12
	v_lshrrev_b32_e32 v9, 16, v106
	v_lshrrev_b32_e32 v105, 16, v105
	;; [unrolled: 1-line block ×8, first 2 shown]
	s_and_saveexec_b32 s12, vcc_lo
	s_cbranch_execz .LBB440_2621
; %bb.2620:                             ;   in Loop: Header=BB440_1190 Depth=1
	v_cmp_lt_i32_e64 s0, v82, v38
	s_delay_alu instid0(VALU_DEP_1) | instskip(SKIP_1) | instid1(VALU_DEP_1)
	v_cndmask_b32_e64 v93, 0, v93, s0
	v_cmp_lt_i32_e64 s0, v97, v38
	v_cndmask_b32_e64 v7, 0, v7, s0
	v_cmp_lt_i32_e64 s0, v96, v38
	s_delay_alu instid0(VALU_DEP_1) | instskip(SKIP_1) | instid1(VALU_DEP_1)
	v_cndmask_b32_e64 v95, 0, v95, s0
	v_cmp_lt_i32_e64 s0, v87, v38
	v_cndmask_b32_e64 v104, 0, v104, s0
	;; [unrolled: 5-line block ×4, first 2 shown]
.LBB440_2621:                           ;   in Loop: Header=BB440_1190 Depth=1
	s_or_b32 exec_lo, exec_lo, s12
	v_lshlrev_b32_e32 v6, 16, v93
	s_delay_alu instid0(VALU_DEP_1) | instskip(NEXT) | instid1(VALU_DEP_1)
	v_mul_f32_e32 v93, v98, v6
	v_and_b32_e32 v6, 0x7f800000, v93
	s_delay_alu instid0(VALU_DEP_1) | instskip(NEXT) | instid1(VALU_DEP_1)
	v_cmp_ne_u32_e64 s0, 0x7f800000, v6
                                        ; implicit-def: $vgpr6
	s_and_saveexec_b32 s12, s0
	s_delay_alu instid0(SALU_CYCLE_1)
	s_xor_b32 s0, exec_lo, s12
; %bb.2622:                             ;   in Loop: Header=BB440_1190 Depth=1
	v_bfe_u32 v6, v93, 16, 1
	s_delay_alu instid0(VALU_DEP_1)
	v_add3_u32 v6, v93, v6, 0x7fff
                                        ; implicit-def: $vgpr93
; %bb.2623:                             ;   in Loop: Header=BB440_1190 Depth=1
	s_and_not1_saveexec_b32 s12, s0
; %bb.2624:                             ;   in Loop: Header=BB440_1190 Depth=1
	v_and_b32_e32 v6, 0xffff, v93
	v_or_b32_e32 v94, 0x10000, v93
	s_delay_alu instid0(VALU_DEP_2) | instskip(NEXT) | instid1(VALU_DEP_1)
	v_cmp_eq_u32_e64 s0, 0, v6
	v_cndmask_b32_e64 v6, v94, v93, s0
; %bb.2625:                             ;   in Loop: Header=BB440_1190 Depth=1
	s_or_b32 exec_lo, exec_lo, s12
	v_lshlrev_b32_e32 v7, 16, v7
	s_delay_alu instid0(VALU_DEP_1) | instskip(NEXT) | instid1(VALU_DEP_1)
	v_mul_f32_e32 v93, v99, v7
	v_and_b32_e32 v7, 0x7f800000, v93
	s_delay_alu instid0(VALU_DEP_1) | instskip(NEXT) | instid1(VALU_DEP_1)
	v_cmp_ne_u32_e64 s0, 0x7f800000, v7
                                        ; implicit-def: $vgpr7
	s_and_saveexec_b32 s12, s0
	s_delay_alu instid0(SALU_CYCLE_1)
	s_xor_b32 s0, exec_lo, s12
; %bb.2626:                             ;   in Loop: Header=BB440_1190 Depth=1
	v_bfe_u32 v7, v93, 16, 1
	s_delay_alu instid0(VALU_DEP_1)
	v_add3_u32 v7, v93, v7, 0x7fff
                                        ; implicit-def: $vgpr93
; %bb.2627:                             ;   in Loop: Header=BB440_1190 Depth=1
	s_and_not1_saveexec_b32 s12, s0
; %bb.2628:                             ;   in Loop: Header=BB440_1190 Depth=1
	v_and_b32_e32 v7, 0xffff, v93
	v_or_b32_e32 v94, 0x10000, v93
	s_delay_alu instid0(VALU_DEP_2) | instskip(NEXT) | instid1(VALU_DEP_1)
	v_cmp_eq_u32_e64 s0, 0, v7
	v_cndmask_b32_e64 v7, v94, v93, s0
; %bb.2629:                             ;   in Loop: Header=BB440_1190 Depth=1
	s_or_b32 exec_lo, exec_lo, s12
	v_lshlrev_b32_e32 v93, 16, v95
	s_delay_alu instid0(VALU_DEP_1) | instskip(NEXT) | instid1(VALU_DEP_1)
	v_mul_f32_e32 v94, v100, v93
	v_and_b32_e32 v93, 0x7f800000, v94
	s_delay_alu instid0(VALU_DEP_1) | instskip(NEXT) | instid1(VALU_DEP_1)
	v_cmp_ne_u32_e64 s0, 0x7f800000, v93
                                        ; implicit-def: $vgpr93
	s_and_saveexec_b32 s12, s0
	s_delay_alu instid0(SALU_CYCLE_1)
	s_xor_b32 s0, exec_lo, s12
; %bb.2630:                             ;   in Loop: Header=BB440_1190 Depth=1
	v_bfe_u32 v93, v94, 16, 1
	s_delay_alu instid0(VALU_DEP_1)
	v_add3_u32 v93, v94, v93, 0x7fff
                                        ; implicit-def: $vgpr94
; %bb.2631:                             ;   in Loop: Header=BB440_1190 Depth=1
	s_and_not1_saveexec_b32 s12, s0
; %bb.2632:                             ;   in Loop: Header=BB440_1190 Depth=1
	v_and_b32_e32 v93, 0xffff, v94
	v_or_b32_e32 v95, 0x10000, v94
	s_delay_alu instid0(VALU_DEP_2) | instskip(NEXT) | instid1(VALU_DEP_1)
	v_cmp_eq_u32_e64 s0, 0, v93
	v_cndmask_b32_e64 v93, v95, v94, s0
; %bb.2633:                             ;   in Loop: Header=BB440_1190 Depth=1
	s_or_b32 exec_lo, exec_lo, s12
	v_lshlrev_b32_e32 v94, 16, v104
	s_delay_alu instid0(VALU_DEP_1) | instskip(NEXT) | instid1(VALU_DEP_1)
	v_mul_f32_e32 v95, v101, v94
	v_and_b32_e32 v94, 0x7f800000, v95
	s_delay_alu instid0(VALU_DEP_1) | instskip(NEXT) | instid1(VALU_DEP_1)
	v_cmp_ne_u32_e64 s0, 0x7f800000, v94
                                        ; implicit-def: $vgpr94
	s_and_saveexec_b32 s12, s0
	s_delay_alu instid0(SALU_CYCLE_1)
	s_xor_b32 s0, exec_lo, s12
; %bb.2634:                             ;   in Loop: Header=BB440_1190 Depth=1
	v_bfe_u32 v94, v95, 16, 1
	s_delay_alu instid0(VALU_DEP_1)
	v_add3_u32 v94, v95, v94, 0x7fff
                                        ; implicit-def: $vgpr95
; %bb.2635:                             ;   in Loop: Header=BB440_1190 Depth=1
	s_and_not1_saveexec_b32 s12, s0
; %bb.2636:                             ;   in Loop: Header=BB440_1190 Depth=1
	v_and_b32_e32 v94, 0xffff, v95
	v_or_b32_e32 v104, 0x10000, v95
	s_delay_alu instid0(VALU_DEP_2) | instskip(NEXT) | instid1(VALU_DEP_1)
	v_cmp_eq_u32_e64 s0, 0, v94
	v_cndmask_b32_e64 v94, v104, v95, s0
; %bb.2637:                             ;   in Loop: Header=BB440_1190 Depth=1
	s_or_b32 exec_lo, exec_lo, s12
	v_lshlrev_b32_e32 v95, 16, v105
	s_delay_alu instid0(VALU_DEP_1) | instskip(NEXT) | instid1(VALU_DEP_1)
	v_mul_f32_e32 v104, v102, v95
	v_and_b32_e32 v95, 0x7f800000, v104
	s_delay_alu instid0(VALU_DEP_1) | instskip(NEXT) | instid1(VALU_DEP_1)
	v_cmp_ne_u32_e64 s0, 0x7f800000, v95
                                        ; implicit-def: $vgpr95
	s_and_saveexec_b32 s12, s0
	s_delay_alu instid0(SALU_CYCLE_1)
	s_xor_b32 s0, exec_lo, s12
; %bb.2638:                             ;   in Loop: Header=BB440_1190 Depth=1
	v_bfe_u32 v95, v104, 16, 1
	s_delay_alu instid0(VALU_DEP_1)
	v_add3_u32 v95, v104, v95, 0x7fff
                                        ; implicit-def: $vgpr104
; %bb.2639:                             ;   in Loop: Header=BB440_1190 Depth=1
	s_and_not1_saveexec_b32 s12, s0
; %bb.2640:                             ;   in Loop: Header=BB440_1190 Depth=1
	v_and_b32_e32 v95, 0xffff, v104
	v_or_b32_e32 v105, 0x10000, v104
	s_delay_alu instid0(VALU_DEP_2) | instskip(NEXT) | instid1(VALU_DEP_1)
	v_cmp_eq_u32_e64 s0, 0, v95
	v_cndmask_b32_e64 v95, v105, v104, s0
; %bb.2641:                             ;   in Loop: Header=BB440_1190 Depth=1
	s_or_b32 exec_lo, exec_lo, s12
	v_lshlrev_b32_e32 v9, 16, v9
	s_delay_alu instid0(VALU_DEP_1) | instskip(NEXT) | instid1(VALU_DEP_1)
	v_mul_f32_e32 v9, v103, v9
	v_and_b32_e32 v104, 0x7f800000, v9
	s_delay_alu instid0(VALU_DEP_1) | instskip(NEXT) | instid1(VALU_DEP_1)
	v_cmp_ne_u32_e64 s0, 0x7f800000, v104
                                        ; implicit-def: $vgpr104
	s_and_saveexec_b32 s12, s0
	s_delay_alu instid0(SALU_CYCLE_1)
	s_xor_b32 s0, exec_lo, s12
; %bb.2642:                             ;   in Loop: Header=BB440_1190 Depth=1
	v_bfe_u32 v104, v9, 16, 1
	s_delay_alu instid0(VALU_DEP_1)
	v_add3_u32 v104, v9, v104, 0x7fff
                                        ; implicit-def: $vgpr9
; %bb.2643:                             ;   in Loop: Header=BB440_1190 Depth=1
	s_and_not1_saveexec_b32 s12, s0
; %bb.2644:                             ;   in Loop: Header=BB440_1190 Depth=1
	v_and_b32_e32 v104, 0xffff, v9
	v_or_b32_e32 v105, 0x10000, v9
	s_delay_alu instid0(VALU_DEP_2) | instskip(NEXT) | instid1(VALU_DEP_1)
	v_cmp_eq_u32_e64 s0, 0, v104
	v_cndmask_b32_e64 v104, v105, v9, s0
; %bb.2645:                             ;   in Loop: Header=BB440_1190 Depth=1
	s_or_b32 exec_lo, exec_lo, s12
	v_lshlrev_b32_e32 v3, 16, v3
                                        ; implicit-def: $vgpr105
	s_delay_alu instid0(VALU_DEP_1) | instskip(NEXT) | instid1(VALU_DEP_1)
	v_mul_f32_e32 v3, v112, v3
	v_and_b32_e32 v9, 0x7f800000, v3
	s_delay_alu instid0(VALU_DEP_1) | instskip(NEXT) | instid1(VALU_DEP_1)
	v_cmp_ne_u32_e64 s0, 0x7f800000, v9
	s_and_saveexec_b32 s12, s0
	s_delay_alu instid0(SALU_CYCLE_1)
	s_xor_b32 s0, exec_lo, s12
; %bb.2646:                             ;   in Loop: Header=BB440_1190 Depth=1
	v_bfe_u32 v9, v3, 16, 1
	s_delay_alu instid0(VALU_DEP_1)
	v_add3_u32 v105, v3, v9, 0x7fff
                                        ; implicit-def: $vgpr3
; %bb.2647:                             ;   in Loop: Header=BB440_1190 Depth=1
	s_and_not1_saveexec_b32 s12, s0
; %bb.2648:                             ;   in Loop: Header=BB440_1190 Depth=1
	v_and_b32_e32 v9, 0xffff, v3
	v_or_b32_e32 v105, 0x10000, v3
	s_delay_alu instid0(VALU_DEP_2) | instskip(NEXT) | instid1(VALU_DEP_1)
	v_cmp_eq_u32_e64 s0, 0, v9
	v_cndmask_b32_e64 v105, v105, v3, s0
; %bb.2649:                             ;   in Loop: Header=BB440_1190 Depth=1
	s_or_b32 exec_lo, exec_lo, s12
	v_lshlrev_b32_e32 v2, 16, v2
                                        ; implicit-def: $vgpr106
	s_delay_alu instid0(VALU_DEP_1) | instskip(NEXT) | instid1(VALU_DEP_1)
	v_mul_f32_e32 v2, v113, v2
	v_and_b32_e32 v3, 0x7f800000, v2
	s_delay_alu instid0(VALU_DEP_1) | instskip(NEXT) | instid1(VALU_DEP_1)
	v_cmp_ne_u32_e64 s0, 0x7f800000, v3
	s_and_saveexec_b32 s12, s0
	s_delay_alu instid0(SALU_CYCLE_1)
	s_xor_b32 s0, exec_lo, s12
; %bb.2650:                             ;   in Loop: Header=BB440_1190 Depth=1
	v_bfe_u32 v3, v2, 16, 1
	s_delay_alu instid0(VALU_DEP_1)
	v_add3_u32 v106, v2, v3, 0x7fff
                                        ; implicit-def: $vgpr2
; %bb.2651:                             ;   in Loop: Header=BB440_1190 Depth=1
	s_and_not1_saveexec_b32 s12, s0
; %bb.2652:                             ;   in Loop: Header=BB440_1190 Depth=1
	v_and_b32_e32 v3, 0xffff, v2
	v_or_b32_e32 v9, 0x10000, v2
	s_delay_alu instid0(VALU_DEP_2) | instskip(NEXT) | instid1(VALU_DEP_1)
	v_cmp_eq_u32_e64 s0, 0, v3
	v_cndmask_b32_e64 v106, v9, v2, s0
; %bb.2653:                             ;   in Loop: Header=BB440_1190 Depth=1
	s_or_b32 exec_lo, exec_lo, s12
	flat_load_b64 v[0:1], v[0:1] offset:2816
	s_mov_b32 s12, exec_lo
	s_waitcnt vmcnt(0) lgkmcnt(0)
	v_dual_mov_b32 v2, 0 :: v_dual_and_b32 v3, 0xff, v0
	s_delay_alu instid0(VALU_DEP_1)
	v_cmpx_ne_u16_e32 0, v3
	s_cbranch_execz .LBB440_2661
; %bb.2654:                             ;   in Loop: Header=BB440_1190 Depth=1
	v_bfrev_b32_e32 v2, 1
	s_mov_b32 s13, exec_lo
	v_cmpx_ne_u16_e32 0x80, v3
	s_cbranch_execz .LBB440_2660
; %bb.2655:                             ;   in Loop: Header=BB440_1190 Depth=1
	v_and_b32_e32 v3, 0x7f, v0
	v_mov_b32_e32 v2, 0x7f800001
	s_mov_b32 s15, exec_lo
	s_delay_alu instid0(VALU_DEP_2)
	v_cmpx_ne_u32_e32 0x7f, v3
	s_cbranch_execz .LBB440_2659
; %bb.2656:                             ;   in Loop: Header=BB440_1190 Depth=1
	v_lshrrev_b32_e32 v9, 3, v3
	v_cmp_gt_u32_e64 s0, 8, v3
	v_dual_mov_b32 v3, v1 :: v_dual_mov_b32 v2, v0
	s_delay_alu instid0(VALU_DEP_2)
	s_and_saveexec_b32 s16, s0
; %bb.2657:                             ;   in Loop: Header=BB440_1190 Depth=1
	v_and_b32_e32 v2, 7, v0
	s_delay_alu instid0(VALU_DEP_1) | instskip(NEXT) | instid1(VALU_DEP_1)
	v_clz_i32_u32_e32 v2, v2
	v_min_u32_e32 v9, 32, v2
	s_delay_alu instid0(VALU_DEP_1) | instskip(SKIP_1) | instid1(VALU_DEP_2)
	v_subrev_nc_u32_e32 v2, 28, v9
	v_sub_nc_u32_e32 v9, 29, v9
	v_lshlrev_b64 v[2:3], v2, v[0:1]
; %bb.2658:                             ;   in Loop: Header=BB440_1190 Depth=1
	s_or_b32 exec_lo, exec_lo, s16
	s_delay_alu instid0(VALU_DEP_1) | instskip(SKIP_2) | instid1(VALU_DEP_3)
	v_lshlrev_b32_e32 v2, 20, v2
	v_lshlrev_b32_e32 v3, 24, v0
	v_lshl_add_u32 v9, v9, 23, 0x3c000000
	v_and_b32_e32 v2, 0x700000, v2
	s_delay_alu instid0(VALU_DEP_3) | instskip(NEXT) | instid1(VALU_DEP_1)
	v_and_b32_e32 v3, 0x80000000, v3
	v_or3_b32 v2, v2, v3, v9
.LBB440_2659:                           ;   in Loop: Header=BB440_1190 Depth=1
	s_or_b32 exec_lo, exec_lo, s15
.LBB440_2660:                           ;   in Loop: Header=BB440_1190 Depth=1
	s_delay_alu instid0(SALU_CYCLE_1)
	s_or_b32 exec_lo, exec_lo, s13
.LBB440_2661:                           ;   in Loop: Header=BB440_1190 Depth=1
	s_delay_alu instid0(SALU_CYCLE_1) | instskip(NEXT) | instid1(VALU_DEP_1)
	s_or_b32 exec_lo, exec_lo, s12
	v_mul_f32_e32 v2, v8, v2
                                        ; implicit-def: $vgpr107
	s_delay_alu instid0(VALU_DEP_1) | instskip(NEXT) | instid1(VALU_DEP_1)
	v_and_b32_e32 v3, 0x7f800000, v2
	v_cmp_ne_u32_e64 s0, 0x7f800000, v3
	s_delay_alu instid0(VALU_DEP_1) | instskip(NEXT) | instid1(SALU_CYCLE_1)
	s_and_saveexec_b32 s12, s0
	s_xor_b32 s0, exec_lo, s12
; %bb.2662:                             ;   in Loop: Header=BB440_1190 Depth=1
	v_bfe_u32 v3, v2, 16, 1
	s_delay_alu instid0(VALU_DEP_1)
	v_add3_u32 v107, v2, v3, 0x7fff
                                        ; implicit-def: $vgpr2
; %bb.2663:                             ;   in Loop: Header=BB440_1190 Depth=1
	s_and_not1_saveexec_b32 s12, s0
; %bb.2664:                             ;   in Loop: Header=BB440_1190 Depth=1
	v_and_b32_e32 v3, 0xffff, v2
	v_or_b32_e32 v9, 0x10000, v2
	s_delay_alu instid0(VALU_DEP_2) | instskip(NEXT) | instid1(VALU_DEP_1)
	v_cmp_eq_u32_e64 s0, 0, v3
	v_cndmask_b32_e64 v107, v9, v2, s0
; %bb.2665:                             ;   in Loop: Header=BB440_1190 Depth=1
	s_or_b32 exec_lo, exec_lo, s12
	v_lshrrev_b16 v3, 8, v0
	v_mov_b32_e32 v2, 0
	s_mov_b32 s12, exec_lo
	s_delay_alu instid0(VALU_DEP_2)
	v_cmpx_ne_u16_e32 0, v3
	s_cbranch_execz .LBB440_2673
; %bb.2666:                             ;   in Loop: Header=BB440_1190 Depth=1
	v_bfrev_b32_e32 v2, 1
	s_mov_b32 s13, exec_lo
	v_cmpx_ne_u16_e32 0x80, v3
	s_cbranch_execz .LBB440_2672
; %bb.2667:                             ;   in Loop: Header=BB440_1190 Depth=1
	v_and_b32_e32 v9, 0xffff, v3
	v_mov_b32_e32 v2, 0x7f800001
	s_mov_b32 s15, exec_lo
	s_delay_alu instid0(VALU_DEP_2) | instskip(NEXT) | instid1(VALU_DEP_1)
	v_and_b32_e32 v3, 0x7f, v9
	v_cmpx_ne_u32_e32 0x7f, v3
	s_cbranch_execz .LBB440_2671
; %bb.2668:                             ;   in Loop: Header=BB440_1190 Depth=1
	v_and_b32_e32 v9, 7, v9
	v_lshrrev_b32_e32 v108, 3, v3
	v_cmp_gt_u32_e64 s0, 8, v3
	s_delay_alu instid0(VALU_DEP_3) | instskip(NEXT) | instid1(VALU_DEP_2)
	v_dual_mov_b32 v2, v9 :: v_dual_mov_b32 v3, v10
	s_and_saveexec_b32 s16, s0
; %bb.2669:                             ;   in Loop: Header=BB440_1190 Depth=1
	v_clz_i32_u32_e32 v2, v9
	s_delay_alu instid0(VALU_DEP_1) | instskip(NEXT) | instid1(VALU_DEP_1)
	v_min_u32_e32 v108, 32, v2
	v_subrev_nc_u32_e32 v2, 28, v108
	v_sub_nc_u32_e32 v108, 29, v108
	s_delay_alu instid0(VALU_DEP_2) | instskip(NEXT) | instid1(VALU_DEP_1)
	v_lshlrev_b64 v[2:3], v2, v[9:10]
	v_and_b32_e32 v2, 7, v2
; %bb.2670:                             ;   in Loop: Header=BB440_1190 Depth=1
	s_or_b32 exec_lo, exec_lo, s16
	v_lshlrev_b32_e32 v3, 16, v0
	s_delay_alu instid0(VALU_DEP_2) | instskip(SKIP_1) | instid1(VALU_DEP_3)
	v_lshlrev_b32_e32 v2, 20, v2
	v_lshl_add_u32 v9, v108, 23, 0x3c000000
	v_and_b32_e32 v3, 0x80000000, v3
	s_delay_alu instid0(VALU_DEP_1)
	v_or3_b32 v2, v2, v3, v9
.LBB440_2671:                           ;   in Loop: Header=BB440_1190 Depth=1
	s_or_b32 exec_lo, exec_lo, s15
.LBB440_2672:                           ;   in Loop: Header=BB440_1190 Depth=1
	s_delay_alu instid0(SALU_CYCLE_1)
	s_or_b32 exec_lo, exec_lo, s13
.LBB440_2673:                           ;   in Loop: Header=BB440_1190 Depth=1
	s_delay_alu instid0(SALU_CYCLE_1) | instskip(NEXT) | instid1(VALU_DEP_1)
	s_or_b32 exec_lo, exec_lo, s12
	v_mul_f32_e32 v2, v8, v2
                                        ; implicit-def: $vgpr108
	s_delay_alu instid0(VALU_DEP_1) | instskip(NEXT) | instid1(VALU_DEP_1)
	v_and_b32_e32 v3, 0x7f800000, v2
	v_cmp_ne_u32_e64 s0, 0x7f800000, v3
	s_delay_alu instid0(VALU_DEP_1) | instskip(NEXT) | instid1(SALU_CYCLE_1)
	s_and_saveexec_b32 s12, s0
	s_xor_b32 s0, exec_lo, s12
; %bb.2674:                             ;   in Loop: Header=BB440_1190 Depth=1
	v_bfe_u32 v3, v2, 16, 1
	s_delay_alu instid0(VALU_DEP_1)
	v_add3_u32 v108, v2, v3, 0x7fff
                                        ; implicit-def: $vgpr2
; %bb.2675:                             ;   in Loop: Header=BB440_1190 Depth=1
	s_and_not1_saveexec_b32 s12, s0
; %bb.2676:                             ;   in Loop: Header=BB440_1190 Depth=1
	v_and_b32_e32 v3, 0xffff, v2
	v_or_b32_e32 v9, 0x10000, v2
	s_delay_alu instid0(VALU_DEP_2) | instskip(NEXT) | instid1(VALU_DEP_1)
	v_cmp_eq_u32_e64 s0, 0, v3
	v_cndmask_b32_e64 v108, v9, v2, s0
; %bb.2677:                             ;   in Loop: Header=BB440_1190 Depth=1
	s_or_b32 exec_lo, exec_lo, s12
	v_lshrrev_b32_e32 v109, 16, v0
	s_mov_b32 s12, exec_lo
	s_delay_alu instid0(VALU_DEP_1) | instskip(NEXT) | instid1(VALU_DEP_1)
	v_dual_mov_b32 v2, 0 :: v_dual_and_b32 v3, 0xff, v109
	v_cmpx_ne_u16_e32 0, v3
	s_cbranch_execz .LBB440_2685
; %bb.2678:                             ;   in Loop: Header=BB440_1190 Depth=1
	v_bfrev_b32_e32 v2, 1
	s_mov_b32 s13, exec_lo
	v_cmpx_ne_u16_e32 0x80, v3
	s_cbranch_execz .LBB440_2684
; %bb.2679:                             ;   in Loop: Header=BB440_1190 Depth=1
	v_bfe_u32 v3, v0, 16, 7
	v_mov_b32_e32 v2, 0x7f800001
	s_mov_b32 s15, exec_lo
	s_delay_alu instid0(VALU_DEP_2)
	v_cmpx_ne_u32_e32 0x7f, v3
	s_cbranch_execz .LBB440_2683
; %bb.2680:                             ;   in Loop: Header=BB440_1190 Depth=1
	v_and_b32_e32 v9, 7, v109
	v_lshrrev_b32_e32 v110, 3, v3
	v_cmp_gt_u32_e64 s0, 8, v3
	s_delay_alu instid0(VALU_DEP_3) | instskip(NEXT) | instid1(VALU_DEP_2)
	v_dual_mov_b32 v2, v9 :: v_dual_mov_b32 v3, v10
	s_and_saveexec_b32 s16, s0
; %bb.2681:                             ;   in Loop: Header=BB440_1190 Depth=1
	v_clz_i32_u32_e32 v2, v9
	s_delay_alu instid0(VALU_DEP_1) | instskip(NEXT) | instid1(VALU_DEP_1)
	v_min_u32_e32 v110, 32, v2
	v_subrev_nc_u32_e32 v2, 28, v110
	v_sub_nc_u32_e32 v110, 29, v110
	s_delay_alu instid0(VALU_DEP_2) | instskip(NEXT) | instid1(VALU_DEP_1)
	v_lshlrev_b64 v[2:3], v2, v[9:10]
	v_and_b32_e32 v2, 7, v2
; %bb.2682:                             ;   in Loop: Header=BB440_1190 Depth=1
	s_or_b32 exec_lo, exec_lo, s16
	v_lshlrev_b32_e32 v3, 24, v109
	s_delay_alu instid0(VALU_DEP_2) | instskip(SKIP_1) | instid1(VALU_DEP_3)
	v_lshlrev_b32_e32 v2, 20, v2
	v_lshl_add_u32 v9, v110, 23, 0x3c000000
	v_and_b32_e32 v3, 0x80000000, v3
	s_delay_alu instid0(VALU_DEP_1)
	v_or3_b32 v2, v2, v3, v9
.LBB440_2683:                           ;   in Loop: Header=BB440_1190 Depth=1
	s_or_b32 exec_lo, exec_lo, s15
.LBB440_2684:                           ;   in Loop: Header=BB440_1190 Depth=1
	s_delay_alu instid0(SALU_CYCLE_1)
	s_or_b32 exec_lo, exec_lo, s13
.LBB440_2685:                           ;   in Loop: Header=BB440_1190 Depth=1
	s_delay_alu instid0(SALU_CYCLE_1) | instskip(NEXT) | instid1(VALU_DEP_1)
	s_or_b32 exec_lo, exec_lo, s12
	v_mul_f32_e32 v2, v8, v2
                                        ; implicit-def: $vgpr109
	s_delay_alu instid0(VALU_DEP_1) | instskip(NEXT) | instid1(VALU_DEP_1)
	v_and_b32_e32 v3, 0x7f800000, v2
	v_cmp_ne_u32_e64 s0, 0x7f800000, v3
	s_delay_alu instid0(VALU_DEP_1) | instskip(NEXT) | instid1(SALU_CYCLE_1)
	s_and_saveexec_b32 s12, s0
	s_xor_b32 s0, exec_lo, s12
; %bb.2686:                             ;   in Loop: Header=BB440_1190 Depth=1
	v_bfe_u32 v3, v2, 16, 1
	s_delay_alu instid0(VALU_DEP_1)
	v_add3_u32 v109, v2, v3, 0x7fff
                                        ; implicit-def: $vgpr2
; %bb.2687:                             ;   in Loop: Header=BB440_1190 Depth=1
	s_and_not1_saveexec_b32 s12, s0
; %bb.2688:                             ;   in Loop: Header=BB440_1190 Depth=1
	v_and_b32_e32 v3, 0xffff, v2
	v_or_b32_e32 v9, 0x10000, v2
	s_delay_alu instid0(VALU_DEP_2) | instskip(NEXT) | instid1(VALU_DEP_1)
	v_cmp_eq_u32_e64 s0, 0, v3
	v_cndmask_b32_e64 v109, v9, v2, s0
; %bb.2689:                             ;   in Loop: Header=BB440_1190 Depth=1
	s_or_b32 exec_lo, exec_lo, s12
	v_mov_b32_e32 v2, 0
	s_mov_b32 s12, exec_lo
	v_cmpx_lt_u32_e32 0xffffff, v0
	s_cbranch_execz .LBB440_2697
; %bb.2690:                             ;   in Loop: Header=BB440_1190 Depth=1
	v_lshrrev_b32_e32 v110, 24, v0
	v_bfrev_b32_e32 v2, 1
	s_mov_b32 s13, exec_lo
	s_delay_alu instid0(VALU_DEP_2)
	v_cmpx_ne_u32_e32 0x80, v110
	s_cbranch_execz .LBB440_2696
; %bb.2691:                             ;   in Loop: Header=BB440_1190 Depth=1
	v_bfe_u32 v3, v0, 24, 7
	v_mov_b32_e32 v2, 0x7f800001
	s_mov_b32 s15, exec_lo
	s_delay_alu instid0(VALU_DEP_2)
	v_cmpx_ne_u32_e32 0x7f, v3
	s_cbranch_execz .LBB440_2695
; %bb.2692:                             ;   in Loop: Header=BB440_1190 Depth=1
	v_and_b32_e32 v9, 7, v110
	v_lshrrev_b32_e32 v111, 3, v3
	v_cmp_gt_u32_e64 s0, 8, v3
	s_delay_alu instid0(VALU_DEP_3) | instskip(NEXT) | instid1(VALU_DEP_2)
	v_dual_mov_b32 v2, v9 :: v_dual_mov_b32 v3, v10
	s_and_saveexec_b32 s16, s0
; %bb.2693:                             ;   in Loop: Header=BB440_1190 Depth=1
	v_clz_i32_u32_e32 v2, v9
	s_delay_alu instid0(VALU_DEP_1) | instskip(NEXT) | instid1(VALU_DEP_1)
	v_min_u32_e32 v111, 32, v2
	v_subrev_nc_u32_e32 v2, 28, v111
	v_sub_nc_u32_e32 v111, 29, v111
	s_delay_alu instid0(VALU_DEP_2) | instskip(NEXT) | instid1(VALU_DEP_1)
	v_lshlrev_b64 v[2:3], v2, v[9:10]
	v_and_b32_e32 v2, 7, v2
; %bb.2694:                             ;   in Loop: Header=BB440_1190 Depth=1
	s_or_b32 exec_lo, exec_lo, s16
	v_lshlrev_b32_e32 v3, 24, v110
	s_delay_alu instid0(VALU_DEP_2) | instskip(SKIP_1) | instid1(VALU_DEP_3)
	v_lshlrev_b32_e32 v2, 20, v2
	v_lshl_add_u32 v9, v111, 23, 0x3c000000
	v_and_b32_e32 v3, 0x80000000, v3
	s_delay_alu instid0(VALU_DEP_1)
	v_or3_b32 v2, v2, v3, v9
.LBB440_2695:                           ;   in Loop: Header=BB440_1190 Depth=1
	s_or_b32 exec_lo, exec_lo, s15
.LBB440_2696:                           ;   in Loop: Header=BB440_1190 Depth=1
	s_delay_alu instid0(SALU_CYCLE_1)
	s_or_b32 exec_lo, exec_lo, s13
.LBB440_2697:                           ;   in Loop: Header=BB440_1190 Depth=1
	s_delay_alu instid0(SALU_CYCLE_1) | instskip(NEXT) | instid1(VALU_DEP_1)
	s_or_b32 exec_lo, exec_lo, s12
	v_mul_f32_e32 v2, v8, v2
                                        ; implicit-def: $vgpr110
	s_delay_alu instid0(VALU_DEP_1) | instskip(NEXT) | instid1(VALU_DEP_1)
	v_and_b32_e32 v3, 0x7f800000, v2
	v_cmp_ne_u32_e64 s0, 0x7f800000, v3
	s_delay_alu instid0(VALU_DEP_1) | instskip(NEXT) | instid1(SALU_CYCLE_1)
	s_and_saveexec_b32 s12, s0
	s_xor_b32 s0, exec_lo, s12
; %bb.2698:                             ;   in Loop: Header=BB440_1190 Depth=1
	v_bfe_u32 v3, v2, 16, 1
	s_delay_alu instid0(VALU_DEP_1)
	v_add3_u32 v110, v2, v3, 0x7fff
                                        ; implicit-def: $vgpr2
; %bb.2699:                             ;   in Loop: Header=BB440_1190 Depth=1
	s_and_not1_saveexec_b32 s12, s0
; %bb.2700:                             ;   in Loop: Header=BB440_1190 Depth=1
	v_and_b32_e32 v3, 0xffff, v2
	v_or_b32_e32 v9, 0x10000, v2
	s_delay_alu instid0(VALU_DEP_2) | instskip(NEXT) | instid1(VALU_DEP_1)
	v_cmp_eq_u32_e64 s0, 0, v3
	v_cndmask_b32_e64 v110, v9, v2, s0
; %bb.2701:                             ;   in Loop: Header=BB440_1190 Depth=1
	s_or_b32 exec_lo, exec_lo, s12
	v_dual_mov_b32 v2, 0 :: v_dual_and_b32 v3, 0xff, v1
	v_mov_b32_e32 v9, v1
	s_mov_b32 s12, exec_lo
	s_delay_alu instid0(VALU_DEP_2)
	v_cmpx_ne_u16_e32 0, v3
	s_cbranch_execz .LBB440_2709
; %bb.2702:                             ;   in Loop: Header=BB440_1190 Depth=1
	v_bfrev_b32_e32 v2, 1
	s_mov_b32 s13, exec_lo
	v_cmpx_ne_u16_e32 0x80, v3
	s_cbranch_execz .LBB440_2708
; %bb.2703:                             ;   in Loop: Header=BB440_1190 Depth=1
	v_and_b32_e32 v3, 0x7f, v1
	v_mov_b32_e32 v2, 0x7f800001
	s_mov_b32 s15, exec_lo
	s_delay_alu instid0(VALU_DEP_2)
	v_cmpx_ne_u32_e32 0x7f, v3
	s_cbranch_execz .LBB440_2707
; %bb.2704:                             ;   in Loop: Header=BB440_1190 Depth=1
	v_lshrrev_b32_e32 v111, 3, v3
	v_cmp_gt_u32_e64 s0, 8, v3
	v_dual_mov_b32 v2, v9 :: v_dual_mov_b32 v3, v10
	s_delay_alu instid0(VALU_DEP_2)
	s_and_saveexec_b32 s16, s0
; %bb.2705:                             ;   in Loop: Header=BB440_1190 Depth=1
	v_and_b32_e32 v2, 7, v1
	s_delay_alu instid0(VALU_DEP_1) | instskip(NEXT) | instid1(VALU_DEP_1)
	v_clz_i32_u32_e32 v2, v2
	v_min_u32_e32 v111, 32, v2
	s_delay_alu instid0(VALU_DEP_1) | instskip(SKIP_1) | instid1(VALU_DEP_2)
	v_subrev_nc_u32_e32 v2, 28, v111
	v_sub_nc_u32_e32 v111, 29, v111
	v_lshlrev_b64 v[2:3], v2, v[9:10]
; %bb.2706:                             ;   in Loop: Header=BB440_1190 Depth=1
	s_or_b32 exec_lo, exec_lo, s16
	s_delay_alu instid0(VALU_DEP_1) | instskip(SKIP_2) | instid1(VALU_DEP_3)
	v_lshlrev_b32_e32 v2, 20, v2
	v_lshlrev_b32_e32 v3, 24, v9
	v_lshl_add_u32 v111, v111, 23, 0x3c000000
	v_and_b32_e32 v2, 0x700000, v2
	s_delay_alu instid0(VALU_DEP_3) | instskip(NEXT) | instid1(VALU_DEP_1)
	v_and_b32_e32 v3, 0x80000000, v3
	v_or3_b32 v2, v2, v3, v111
.LBB440_2707:                           ;   in Loop: Header=BB440_1190 Depth=1
	s_or_b32 exec_lo, exec_lo, s15
.LBB440_2708:                           ;   in Loop: Header=BB440_1190 Depth=1
	s_delay_alu instid0(SALU_CYCLE_1)
	s_or_b32 exec_lo, exec_lo, s13
.LBB440_2709:                           ;   in Loop: Header=BB440_1190 Depth=1
	s_delay_alu instid0(SALU_CYCLE_1) | instskip(NEXT) | instid1(VALU_DEP_1)
	s_or_b32 exec_lo, exec_lo, s12
	v_mul_f32_e32 v2, v8, v2
                                        ; implicit-def: $vgpr111
	s_delay_alu instid0(VALU_DEP_1) | instskip(NEXT) | instid1(VALU_DEP_1)
	v_and_b32_e32 v3, 0x7f800000, v2
	v_cmp_ne_u32_e64 s0, 0x7f800000, v3
	s_delay_alu instid0(VALU_DEP_1) | instskip(NEXT) | instid1(SALU_CYCLE_1)
	s_and_saveexec_b32 s12, s0
	s_xor_b32 s0, exec_lo, s12
; %bb.2710:                             ;   in Loop: Header=BB440_1190 Depth=1
	v_bfe_u32 v3, v2, 16, 1
	s_delay_alu instid0(VALU_DEP_1)
	v_add3_u32 v111, v2, v3, 0x7fff
                                        ; implicit-def: $vgpr2
; %bb.2711:                             ;   in Loop: Header=BB440_1190 Depth=1
	s_and_not1_saveexec_b32 s12, s0
; %bb.2712:                             ;   in Loop: Header=BB440_1190 Depth=1
	v_and_b32_e32 v3, 0xffff, v2
	v_or_b32_e32 v111, 0x10000, v2
	s_delay_alu instid0(VALU_DEP_2) | instskip(NEXT) | instid1(VALU_DEP_1)
	v_cmp_eq_u32_e64 s0, 0, v3
	v_cndmask_b32_e64 v111, v111, v2, s0
; %bb.2713:                             ;   in Loop: Header=BB440_1190 Depth=1
	s_or_b32 exec_lo, exec_lo, s12
	v_lshrrev_b16 v3, 8, v9
	v_mov_b32_e32 v2, 0
	s_mov_b32 s12, exec_lo
	s_delay_alu instid0(VALU_DEP_2)
	v_cmpx_ne_u16_e32 0, v3
	s_cbranch_execz .LBB440_2721
; %bb.2714:                             ;   in Loop: Header=BB440_1190 Depth=1
	v_bfrev_b32_e32 v2, 1
	s_mov_b32 s13, exec_lo
	v_cmpx_ne_u16_e32 0x80, v3
	s_cbranch_execz .LBB440_2720
; %bb.2715:                             ;   in Loop: Header=BB440_1190 Depth=1
	v_and_b32_e32 v3, 0xffff, v3
	v_mov_b32_e32 v2, 0x7f800001
	s_mov_b32 s15, exec_lo
	s_delay_alu instid0(VALU_DEP_2) | instskip(NEXT) | instid1(VALU_DEP_1)
	v_and_b32_e32 v121, 0x7f, v3
	v_cmpx_ne_u32_e32 0x7f, v121
	s_cbranch_execz .LBB440_2719
; %bb.2716:                             ;   in Loop: Header=BB440_1190 Depth=1
	v_dual_mov_b32 v3, v10 :: v_dual_and_b32 v2, 7, v3
	v_lshrrev_b32_e32 v120, 3, v121
	s_mov_b32 s16, exec_lo
	v_cmpx_gt_u32_e32 8, v121
; %bb.2717:                             ;   in Loop: Header=BB440_1190 Depth=1
	s_delay_alu instid0(VALU_DEP_3) | instskip(NEXT) | instid1(VALU_DEP_1)
	v_clz_i32_u32_e32 v120, v2
	v_min_u32_e32 v120, 32, v120
	s_delay_alu instid0(VALU_DEP_1) | instskip(SKIP_1) | instid1(VALU_DEP_2)
	v_subrev_nc_u32_e32 v121, 28, v120
	v_sub_nc_u32_e32 v120, 29, v120
	v_lshlrev_b64 v[2:3], v121, v[2:3]
	s_delay_alu instid0(VALU_DEP_1)
	v_and_b32_e32 v2, 7, v2
; %bb.2718:                             ;   in Loop: Header=BB440_1190 Depth=1
	s_or_b32 exec_lo, exec_lo, s16
	v_lshlrev_b32_e32 v3, 16, v9
	s_delay_alu instid0(VALU_DEP_2) | instskip(SKIP_1) | instid1(VALU_DEP_3)
	v_lshlrev_b32_e32 v2, 20, v2
	v_lshl_add_u32 v9, v120, 23, 0x3c000000
	v_and_b32_e32 v3, 0x80000000, v3
	s_delay_alu instid0(VALU_DEP_1)
	v_or3_b32 v2, v2, v3, v9
.LBB440_2719:                           ;   in Loop: Header=BB440_1190 Depth=1
	s_or_b32 exec_lo, exec_lo, s15
.LBB440_2720:                           ;   in Loop: Header=BB440_1190 Depth=1
	s_delay_alu instid0(SALU_CYCLE_1)
	s_or_b32 exec_lo, exec_lo, s13
.LBB440_2721:                           ;   in Loop: Header=BB440_1190 Depth=1
	s_delay_alu instid0(SALU_CYCLE_1) | instskip(NEXT) | instid1(VALU_DEP_1)
	s_or_b32 exec_lo, exec_lo, s12
	v_mul_f32_e32 v2, v8, v2
                                        ; implicit-def: $vgpr120
	s_delay_alu instid0(VALU_DEP_1) | instskip(NEXT) | instid1(VALU_DEP_1)
	v_and_b32_e32 v3, 0x7f800000, v2
	v_cmp_ne_u32_e64 s0, 0x7f800000, v3
	s_delay_alu instid0(VALU_DEP_1) | instskip(NEXT) | instid1(SALU_CYCLE_1)
	s_and_saveexec_b32 s12, s0
	s_xor_b32 s0, exec_lo, s12
; %bb.2722:                             ;   in Loop: Header=BB440_1190 Depth=1
	v_bfe_u32 v3, v2, 16, 1
	s_delay_alu instid0(VALU_DEP_1)
	v_add3_u32 v120, v2, v3, 0x7fff
                                        ; implicit-def: $vgpr2
; %bb.2723:                             ;   in Loop: Header=BB440_1190 Depth=1
	s_and_not1_saveexec_b32 s12, s0
; %bb.2724:                             ;   in Loop: Header=BB440_1190 Depth=1
	v_and_b32_e32 v3, 0xffff, v2
	v_or_b32_e32 v9, 0x10000, v2
	s_delay_alu instid0(VALU_DEP_2) | instskip(NEXT) | instid1(VALU_DEP_1)
	v_cmp_eq_u32_e64 s0, 0, v3
	v_cndmask_b32_e64 v120, v9, v2, s0
; %bb.2725:                             ;   in Loop: Header=BB440_1190 Depth=1
	s_or_b32 exec_lo, exec_lo, s12
	v_lshrrev_b32_e32 v121, 16, v1
	s_mov_b32 s12, exec_lo
	s_delay_alu instid0(VALU_DEP_1) | instskip(NEXT) | instid1(VALU_DEP_1)
	v_dual_mov_b32 v2, 0 :: v_dual_and_b32 v3, 0xff, v121
	v_cmpx_ne_u16_e32 0, v3
	s_cbranch_execz .LBB440_2733
; %bb.2726:                             ;   in Loop: Header=BB440_1190 Depth=1
	v_bfrev_b32_e32 v2, 1
	s_mov_b32 s13, exec_lo
	v_cmpx_ne_u16_e32 0x80, v3
	s_cbranch_execz .LBB440_2732
; %bb.2727:                             ;   in Loop: Header=BB440_1190 Depth=1
	v_bfe_u32 v3, v1, 16, 7
	v_mov_b32_e32 v2, 0x7f800001
	s_mov_b32 s15, exec_lo
	s_delay_alu instid0(VALU_DEP_2)
	v_cmpx_ne_u32_e32 0x7f, v3
	s_cbranch_execz .LBB440_2731
; %bb.2728:                             ;   in Loop: Header=BB440_1190 Depth=1
	v_and_b32_e32 v9, 7, v121
	v_lshrrev_b32_e32 v122, 3, v3
	v_cmp_gt_u32_e64 s0, 8, v3
	s_delay_alu instid0(VALU_DEP_3) | instskip(NEXT) | instid1(VALU_DEP_2)
	v_dual_mov_b32 v2, v9 :: v_dual_mov_b32 v3, v10
	s_and_saveexec_b32 s16, s0
; %bb.2729:                             ;   in Loop: Header=BB440_1190 Depth=1
	v_clz_i32_u32_e32 v2, v9
	s_delay_alu instid0(VALU_DEP_1) | instskip(NEXT) | instid1(VALU_DEP_1)
	v_min_u32_e32 v122, 32, v2
	v_subrev_nc_u32_e32 v2, 28, v122
	v_sub_nc_u32_e32 v122, 29, v122
	s_delay_alu instid0(VALU_DEP_2) | instskip(NEXT) | instid1(VALU_DEP_1)
	v_lshlrev_b64 v[2:3], v2, v[9:10]
	v_and_b32_e32 v2, 7, v2
; %bb.2730:                             ;   in Loop: Header=BB440_1190 Depth=1
	s_or_b32 exec_lo, exec_lo, s16
	v_lshlrev_b32_e32 v3, 24, v121
	s_delay_alu instid0(VALU_DEP_2) | instskip(SKIP_1) | instid1(VALU_DEP_3)
	v_lshlrev_b32_e32 v2, 20, v2
	v_lshl_add_u32 v9, v122, 23, 0x3c000000
	v_and_b32_e32 v3, 0x80000000, v3
	s_delay_alu instid0(VALU_DEP_1)
	v_or3_b32 v2, v2, v3, v9
.LBB440_2731:                           ;   in Loop: Header=BB440_1190 Depth=1
	s_or_b32 exec_lo, exec_lo, s15
.LBB440_2732:                           ;   in Loop: Header=BB440_1190 Depth=1
	s_delay_alu instid0(SALU_CYCLE_1)
	s_or_b32 exec_lo, exec_lo, s13
.LBB440_2733:                           ;   in Loop: Header=BB440_1190 Depth=1
	s_delay_alu instid0(SALU_CYCLE_1) | instskip(NEXT) | instid1(VALU_DEP_1)
	s_or_b32 exec_lo, exec_lo, s12
	v_mul_f32_e32 v3, v8, v2
	s_delay_alu instid0(VALU_DEP_1) | instskip(NEXT) | instid1(VALU_DEP_1)
	v_and_b32_e32 v2, 0x7f800000, v3
	v_cmp_ne_u32_e64 s0, 0x7f800000, v2
                                        ; implicit-def: $vgpr2
	s_delay_alu instid0(VALU_DEP_1) | instskip(NEXT) | instid1(SALU_CYCLE_1)
	s_and_saveexec_b32 s12, s0
	s_xor_b32 s0, exec_lo, s12
; %bb.2734:                             ;   in Loop: Header=BB440_1190 Depth=1
	v_bfe_u32 v2, v3, 16, 1
	s_delay_alu instid0(VALU_DEP_1)
	v_add3_u32 v2, v3, v2, 0x7fff
                                        ; implicit-def: $vgpr3
; %bb.2735:                             ;   in Loop: Header=BB440_1190 Depth=1
	s_and_not1_saveexec_b32 s12, s0
; %bb.2736:                             ;   in Loop: Header=BB440_1190 Depth=1
	v_and_b32_e32 v2, 0xffff, v3
	v_or_b32_e32 v9, 0x10000, v3
	s_delay_alu instid0(VALU_DEP_2) | instskip(NEXT) | instid1(VALU_DEP_1)
	v_cmp_eq_u32_e64 s0, 0, v2
	v_cndmask_b32_e64 v2, v9, v3, s0
; %bb.2737:                             ;   in Loop: Header=BB440_1190 Depth=1
	s_or_b32 exec_lo, exec_lo, s12
	v_cmp_lt_u64_e64 s0, s[8:9], v[0:1]
	v_mov_b32_e32 v0, 0
	s_delay_alu instid0(VALU_DEP_2)
	s_and_saveexec_b32 s12, s0
	s_cbranch_execz .LBB440_2745
; %bb.2738:                             ;   in Loop: Header=BB440_1190 Depth=1
	v_lshrrev_b32_e32 v3, 24, v1
	v_bfrev_b32_e32 v0, 1
	s_mov_b32 s13, exec_lo
	s_delay_alu instid0(VALU_DEP_2)
	v_cmpx_ne_u32_e32 0x80, v3
	s_cbranch_execz .LBB440_2744
; %bb.2739:                             ;   in Loop: Header=BB440_1190 Depth=1
	v_bfe_u32 v1, v1, 24, 7
	v_mov_b32_e32 v0, 0x7f800001
	s_mov_b32 s15, exec_lo
	s_delay_alu instid0(VALU_DEP_2)
	v_cmpx_ne_u32_e32 0x7f, v1
	s_cbranch_execz .LBB440_2743
; %bb.2740:                             ;   in Loop: Header=BB440_1190 Depth=1
	v_and_b32_e32 v9, 7, v3
	v_lshrrev_b32_e32 v121, 3, v1
	v_cmp_gt_u32_e64 s0, 8, v1
	s_delay_alu instid0(VALU_DEP_3) | instskip(NEXT) | instid1(VALU_DEP_2)
	v_dual_mov_b32 v0, v9 :: v_dual_mov_b32 v1, v10
	s_and_saveexec_b32 s16, s0
; %bb.2741:                             ;   in Loop: Header=BB440_1190 Depth=1
	v_clz_i32_u32_e32 v0, v9
	s_delay_alu instid0(VALU_DEP_1) | instskip(NEXT) | instid1(VALU_DEP_1)
	v_min_u32_e32 v121, 32, v0
	v_subrev_nc_u32_e32 v0, 28, v121
	v_sub_nc_u32_e32 v121, 29, v121
	s_delay_alu instid0(VALU_DEP_2) | instskip(NEXT) | instid1(VALU_DEP_1)
	v_lshlrev_b64 v[0:1], v0, v[9:10]
	v_and_b32_e32 v0, 7, v0
; %bb.2742:                             ;   in Loop: Header=BB440_1190 Depth=1
	s_or_b32 exec_lo, exec_lo, s16
	v_lshlrev_b32_e32 v1, 24, v3
	s_delay_alu instid0(VALU_DEP_2) | instskip(SKIP_1) | instid1(VALU_DEP_3)
	v_lshlrev_b32_e32 v0, 20, v0
	v_lshl_add_u32 v3, v121, 23, 0x3c000000
	v_and_b32_e32 v1, 0x80000000, v1
	s_delay_alu instid0(VALU_DEP_1)
	v_or3_b32 v0, v0, v1, v3
.LBB440_2743:                           ;   in Loop: Header=BB440_1190 Depth=1
	s_or_b32 exec_lo, exec_lo, s15
.LBB440_2744:                           ;   in Loop: Header=BB440_1190 Depth=1
	s_delay_alu instid0(SALU_CYCLE_1)
	s_or_b32 exec_lo, exec_lo, s13
.LBB440_2745:                           ;   in Loop: Header=BB440_1190 Depth=1
	s_delay_alu instid0(SALU_CYCLE_1) | instskip(NEXT) | instid1(VALU_DEP_1)
	s_or_b32 exec_lo, exec_lo, s12
	v_mul_f32_e32 v0, v8, v0
                                        ; implicit-def: $vgpr121
	s_delay_alu instid0(VALU_DEP_1) | instskip(NEXT) | instid1(VALU_DEP_1)
	v_and_b32_e32 v1, 0x7f800000, v0
	v_cmp_ne_u32_e64 s0, 0x7f800000, v1
	s_delay_alu instid0(VALU_DEP_1) | instskip(NEXT) | instid1(SALU_CYCLE_1)
	s_and_saveexec_b32 s12, s0
	s_xor_b32 s0, exec_lo, s12
; %bb.2746:                             ;   in Loop: Header=BB440_1190 Depth=1
	v_bfe_u32 v1, v0, 16, 1
	s_delay_alu instid0(VALU_DEP_1)
	v_add3_u32 v121, v0, v1, 0x7fff
                                        ; implicit-def: $vgpr0
; %bb.2747:                             ;   in Loop: Header=BB440_1190 Depth=1
	s_and_not1_saveexec_b32 s12, s0
; %bb.2748:                             ;   in Loop: Header=BB440_1190 Depth=1
	v_and_b32_e32 v1, 0xffff, v0
	v_or_b32_e32 v3, 0x10000, v0
	s_delay_alu instid0(VALU_DEP_2) | instskip(NEXT) | instid1(VALU_DEP_1)
	v_cmp_eq_u32_e64 s0, 0, v1
	v_cndmask_b32_e64 v121, v3, v0, s0
; %bb.2749:                             ;   in Loop: Header=BB440_1190 Depth=1
	s_or_b32 exec_lo, exec_lo, s12
	v_lshrrev_b32_e32 v9, 16, v120
	v_lshrrev_b32_e32 v8, 16, v111
	;; [unrolled: 1-line block ×8, first 2 shown]
	s_and_saveexec_b32 s0, vcc_lo
	s_cbranch_execz .LBB440_2751
; %bb.2750:                             ;   in Loop: Header=BB440_1190 Depth=1
	v_cmp_lt_i32_e32 vcc_lo, v82, v38
	v_cndmask_b32_e32 v0, 0, v0, vcc_lo
	v_cmp_lt_i32_e32 vcc_lo, v97, v38
	v_cndmask_b32_e32 v1, 0, v1, vcc_lo
	;; [unrolled: 2-line block ×8, first 2 shown]
.LBB440_2751:                           ;   in Loop: Header=BB440_1190 Depth=1
	s_or_b32 exec_lo, exec_lo, s0
	v_lshlrev_b32_e32 v0, 16, v0
	s_delay_alu instid0(VALU_DEP_1) | instskip(NEXT) | instid1(VALU_DEP_1)
	v_mul_f32_e32 v2, v98, v0
	v_and_b32_e32 v0, 0x7f800000, v2
	s_delay_alu instid0(VALU_DEP_1) | instskip(SKIP_1) | instid1(SALU_CYCLE_1)
	v_cmp_ne_u32_e32 vcc_lo, 0x7f800000, v0
                                        ; implicit-def: $vgpr0
	s_and_saveexec_b32 s0, vcc_lo
	s_xor_b32 s0, exec_lo, s0
; %bb.2752:                             ;   in Loop: Header=BB440_1190 Depth=1
	v_bfe_u32 v0, v2, 16, 1
	s_delay_alu instid0(VALU_DEP_1)
	v_add3_u32 v0, v2, v0, 0x7fff
                                        ; implicit-def: $vgpr2
; %bb.2753:                             ;   in Loop: Header=BB440_1190 Depth=1
	s_and_not1_saveexec_b32 s0, s0
; %bb.2754:                             ;   in Loop: Header=BB440_1190 Depth=1
	v_and_b32_e32 v0, 0xffff, v2
	v_or_b32_e32 v82, 0x10000, v2
	s_delay_alu instid0(VALU_DEP_2) | instskip(NEXT) | instid1(VALU_DEP_2)
	v_cmp_eq_u32_e32 vcc_lo, 0, v0
	v_cndmask_b32_e32 v0, v82, v2, vcc_lo
; %bb.2755:                             ;   in Loop: Header=BB440_1190 Depth=1
	s_or_b32 exec_lo, exec_lo, s0
	v_lshlrev_b32_e32 v1, 16, v1
	s_delay_alu instid0(VALU_DEP_1) | instskip(NEXT) | instid1(VALU_DEP_1)
	v_mul_f32_e32 v2, v99, v1
	v_and_b32_e32 v1, 0x7f800000, v2
	s_delay_alu instid0(VALU_DEP_1) | instskip(SKIP_1) | instid1(SALU_CYCLE_1)
	v_cmp_ne_u32_e32 vcc_lo, 0x7f800000, v1
                                        ; implicit-def: $vgpr1
	s_and_saveexec_b32 s0, vcc_lo
	s_xor_b32 s0, exec_lo, s0
; %bb.2756:                             ;   in Loop: Header=BB440_1190 Depth=1
	v_bfe_u32 v1, v2, 16, 1
	s_delay_alu instid0(VALU_DEP_1)
	v_add3_u32 v1, v2, v1, 0x7fff
                                        ; implicit-def: $vgpr2
; %bb.2757:                             ;   in Loop: Header=BB440_1190 Depth=1
	s_and_not1_saveexec_b32 s0, s0
; %bb.2758:                             ;   in Loop: Header=BB440_1190 Depth=1
	v_and_b32_e32 v1, 0xffff, v2
	v_or_b32_e32 v82, 0x10000, v2
	s_delay_alu instid0(VALU_DEP_2) | instskip(NEXT) | instid1(VALU_DEP_2)
	v_cmp_eq_u32_e32 vcc_lo, 0, v1
	v_cndmask_b32_e32 v1, v82, v2, vcc_lo
; %bb.2759:                             ;   in Loop: Header=BB440_1190 Depth=1
	s_or_b32 exec_lo, exec_lo, s0
	v_lshlrev_b32_e32 v2, 16, v109
	s_delay_alu instid0(VALU_DEP_1) | instskip(NEXT) | instid1(VALU_DEP_1)
	v_mul_f32_e32 v82, v100, v2
	v_and_b32_e32 v2, 0x7f800000, v82
	s_delay_alu instid0(VALU_DEP_1) | instskip(SKIP_1) | instid1(SALU_CYCLE_1)
	v_cmp_ne_u32_e32 vcc_lo, 0x7f800000, v2
                                        ; implicit-def: $vgpr2
	s_and_saveexec_b32 s0, vcc_lo
	s_xor_b32 s0, exec_lo, s0
; %bb.2760:                             ;   in Loop: Header=BB440_1190 Depth=1
	v_bfe_u32 v2, v82, 16, 1
	s_delay_alu instid0(VALU_DEP_1)
	v_add3_u32 v2, v82, v2, 0x7fff
                                        ; implicit-def: $vgpr82
; %bb.2761:                             ;   in Loop: Header=BB440_1190 Depth=1
	s_and_not1_saveexec_b32 s0, s0
; %bb.2762:                             ;   in Loop: Header=BB440_1190 Depth=1
	v_and_b32_e32 v2, 0xffff, v82
	v_or_b32_e32 v83, 0x10000, v82
	s_delay_alu instid0(VALU_DEP_2) | instskip(NEXT) | instid1(VALU_DEP_2)
	v_cmp_eq_u32_e32 vcc_lo, 0, v2
	v_cndmask_b32_e32 v2, v83, v82, vcc_lo
; %bb.2763:                             ;   in Loop: Header=BB440_1190 Depth=1
	s_or_b32 exec_lo, exec_lo, s0
	v_lshlrev_b32_e32 v3, 16, v3
	s_delay_alu instid0(VALU_DEP_1) | instskip(NEXT) | instid1(VALU_DEP_1)
	v_mul_f32_e32 v82, v101, v3
	v_and_b32_e32 v3, 0x7f800000, v82
	s_delay_alu instid0(VALU_DEP_1) | instskip(SKIP_1) | instid1(SALU_CYCLE_1)
	v_cmp_ne_u32_e32 vcc_lo, 0x7f800000, v3
                                        ; implicit-def: $vgpr3
	s_and_saveexec_b32 s0, vcc_lo
	s_xor_b32 s0, exec_lo, s0
; %bb.2764:                             ;   in Loop: Header=BB440_1190 Depth=1
	v_bfe_u32 v3, v82, 16, 1
	s_delay_alu instid0(VALU_DEP_1)
	v_add3_u32 v3, v82, v3, 0x7fff
                                        ; implicit-def: $vgpr82
; %bb.2765:                             ;   in Loop: Header=BB440_1190 Depth=1
	s_and_not1_saveexec_b32 s0, s0
; %bb.2766:                             ;   in Loop: Header=BB440_1190 Depth=1
	v_and_b32_e32 v3, 0xffff, v82
	v_or_b32_e32 v83, 0x10000, v82
	s_delay_alu instid0(VALU_DEP_2) | instskip(NEXT) | instid1(VALU_DEP_2)
	v_cmp_eq_u32_e32 vcc_lo, 0, v3
	v_cndmask_b32_e32 v3, v83, v82, vcc_lo
; %bb.2767:                             ;   in Loop: Header=BB440_1190 Depth=1
	s_or_b32 exec_lo, exec_lo, s0
	v_lshlrev_b32_e32 v8, 16, v8
	s_delay_alu instid0(VALU_DEP_1) | instskip(NEXT) | instid1(VALU_DEP_1)
	v_mul_f32_e32 v82, v102, v8
	v_and_b32_e32 v8, 0x7f800000, v82
	s_delay_alu instid0(VALU_DEP_1) | instskip(SKIP_1) | instid1(SALU_CYCLE_1)
	v_cmp_ne_u32_e32 vcc_lo, 0x7f800000, v8
                                        ; implicit-def: $vgpr8
	s_and_saveexec_b32 s0, vcc_lo
	s_xor_b32 s0, exec_lo, s0
; %bb.2768:                             ;   in Loop: Header=BB440_1190 Depth=1
	v_bfe_u32 v8, v82, 16, 1
	s_delay_alu instid0(VALU_DEP_1)
	v_add3_u32 v8, v82, v8, 0x7fff
                                        ; implicit-def: $vgpr82
; %bb.2769:                             ;   in Loop: Header=BB440_1190 Depth=1
	s_and_not1_saveexec_b32 s0, s0
; %bb.2770:                             ;   in Loop: Header=BB440_1190 Depth=1
	v_and_b32_e32 v8, 0xffff, v82
	v_or_b32_e32 v83, 0x10000, v82
	s_delay_alu instid0(VALU_DEP_2) | instskip(NEXT) | instid1(VALU_DEP_2)
	v_cmp_eq_u32_e32 vcc_lo, 0, v8
	v_cndmask_b32_e32 v8, v83, v82, vcc_lo
; %bb.2771:                             ;   in Loop: Header=BB440_1190 Depth=1
	s_or_b32 exec_lo, exec_lo, s0
	v_lshlrev_b32_e32 v9, 16, v9
	s_delay_alu instid0(VALU_DEP_1) | instskip(NEXT) | instid1(VALU_DEP_1)
	v_mul_f32_e32 v82, v103, v9
	v_and_b32_e32 v9, 0x7f800000, v82
	s_delay_alu instid0(VALU_DEP_1) | instskip(SKIP_1) | instid1(SALU_CYCLE_1)
	v_cmp_ne_u32_e32 vcc_lo, 0x7f800000, v9
                                        ; implicit-def: $vgpr9
	s_and_saveexec_b32 s0, vcc_lo
	s_xor_b32 s0, exec_lo, s0
; %bb.2772:                             ;   in Loop: Header=BB440_1190 Depth=1
	v_bfe_u32 v9, v82, 16, 1
	s_delay_alu instid0(VALU_DEP_1)
	v_add3_u32 v9, v82, v9, 0x7fff
                                        ; implicit-def: $vgpr82
; %bb.2773:                             ;   in Loop: Header=BB440_1190 Depth=1
	s_and_not1_saveexec_b32 s0, s0
; %bb.2774:                             ;   in Loop: Header=BB440_1190 Depth=1
	v_and_b32_e32 v9, 0xffff, v82
	v_or_b32_e32 v83, 0x10000, v82
	s_delay_alu instid0(VALU_DEP_2) | instskip(NEXT) | instid1(VALU_DEP_2)
	v_cmp_eq_u32_e32 vcc_lo, 0, v9
	v_cndmask_b32_e32 v9, v83, v82, vcc_lo
; %bb.2775:                             ;   in Loop: Header=BB440_1190 Depth=1
	s_or_b32 exec_lo, exec_lo, s0
	v_lshlrev_b32_e32 v82, 16, v108
	s_delay_alu instid0(VALU_DEP_1) | instskip(NEXT) | instid1(VALU_DEP_1)
	v_mul_f32_e32 v83, v112, v82
	v_and_b32_e32 v82, 0x7f800000, v83
	s_delay_alu instid0(VALU_DEP_1) | instskip(SKIP_1) | instid1(SALU_CYCLE_1)
	v_cmp_ne_u32_e32 vcc_lo, 0x7f800000, v82
                                        ; implicit-def: $vgpr82
	s_and_saveexec_b32 s0, vcc_lo
	s_xor_b32 s0, exec_lo, s0
; %bb.2776:                             ;   in Loop: Header=BB440_1190 Depth=1
	v_bfe_u32 v82, v83, 16, 1
	s_delay_alu instid0(VALU_DEP_1)
	v_add3_u32 v82, v83, v82, 0x7fff
                                        ; implicit-def: $vgpr83
; %bb.2777:                             ;   in Loop: Header=BB440_1190 Depth=1
	s_and_not1_saveexec_b32 s0, s0
; %bb.2778:                             ;   in Loop: Header=BB440_1190 Depth=1
	v_and_b32_e32 v82, 0xffff, v83
	v_or_b32_e32 v84, 0x10000, v83
	s_delay_alu instid0(VALU_DEP_2) | instskip(NEXT) | instid1(VALU_DEP_2)
	v_cmp_eq_u32_e32 vcc_lo, 0, v82
	v_cndmask_b32_e32 v82, v84, v83, vcc_lo
; %bb.2779:                             ;   in Loop: Header=BB440_1190 Depth=1
	s_or_b32 exec_lo, exec_lo, s0
	v_lshlrev_b32_e32 v83, 16, v107
	s_delay_alu instid0(VALU_DEP_1) | instskip(NEXT) | instid1(VALU_DEP_1)
	v_mul_f32_e32 v84, v113, v83
	v_and_b32_e32 v83, 0x7f800000, v84
	s_delay_alu instid0(VALU_DEP_1) | instskip(SKIP_1) | instid1(SALU_CYCLE_1)
	v_cmp_ne_u32_e32 vcc_lo, 0x7f800000, v83
                                        ; implicit-def: $vgpr83
	s_and_saveexec_b32 s0, vcc_lo
	s_xor_b32 s0, exec_lo, s0
; %bb.2780:                             ;   in Loop: Header=BB440_1190 Depth=1
	v_bfe_u32 v83, v84, 16, 1
	s_delay_alu instid0(VALU_DEP_1)
	v_add3_u32 v83, v84, v83, 0x7fff
                                        ; implicit-def: $vgpr84
; %bb.2781:                             ;   in Loop: Header=BB440_1190 Depth=1
	s_and_not1_saveexec_b32 s0, s0
	s_cbranch_execz .LBB440_1188
; %bb.2782:                             ;   in Loop: Header=BB440_1190 Depth=1
	v_and_b32_e32 v83, 0xffff, v84
	v_or_b32_e32 v85, 0x10000, v84
	s_delay_alu instid0(VALU_DEP_2) | instskip(NEXT) | instid1(VALU_DEP_2)
	v_cmp_eq_u32_e32 vcc_lo, 0, v83
	v_cndmask_b32_e32 v83, v85, v84, vcc_lo
	s_branch .LBB440_1188
.LBB440_2783:
	s_or_b32 exec_lo, exec_lo, s10
.LBB440_2784:
	s_delay_alu instid0(SALU_CYCLE_1)
	s_or_b32 exec_lo, exec_lo, s7
	ds_bpermute_b32 v0, v20, v54
	ds_bpermute_b32 v1, v20, v55
	;; [unrolled: 1-line block ×12, first 2 shown]
	s_waitcnt lgkmcnt(0)
	s_waitcnt_vscnt null, 0x0
	s_barrier
	buffer_gl0_inv
	s_load_b32 s0, s[2:3], 0x0
	v_dual_add_f32 v0, v54, v0 :: v_dual_add_f32 v1, v55, v1
	v_dual_add_f32 v2, v53, v2 :: v_dual_add_f32 v3, v36, v3
	v_dual_add_f32 v6, v33, v6 :: v_dual_add_f32 v13, v32, v7
	v_add_f32_e32 v14, v31, v8
	ds_bpermute_b32 v8, v19, v1
	v_add_f32_e32 v16, v28, v10
	ds_bpermute_b32 v7, v19, v0
	ds_bpermute_b32 v10, v19, v3
	v_add_f32_e32 v17, v25, v11
	ds_bpermute_b32 v21, v19, v6
	ds_bpermute_b32 v22, v19, v13
	v_dual_add_f32 v4, v35, v4 :: v_dual_add_f32 v5, v34, v5
	v_add_f32_e32 v15, v29, v9
	ds_bpermute_b32 v9, v19, v2
	ds_bpermute_b32 v23, v19, v14
	;; [unrolled: 1-line block ×7, first 2 shown]
	s_waitcnt lgkmcnt(0)
	v_add_f32_e32 v12, v1, v8
	scratch_load_b32 v1, off, s32 offset:328 ; 4-byte Folded Reload
	v_add_f32_e32 v0, v0, v7
	v_dual_add_f32 v10, v3, v10 :: v_dual_add_f32 v7, v6, v21
	v_add_f32_e32 v6, v13, v22
	scratch_load_b32 v13, off, s32 offset:476 ; 4-byte Folded Reload
	v_add_f32_e32 v11, v2, v9
	v_dual_add_f32 v9, v4, v18 :: v_dual_add_f32 v8, v5, v20
	v_dual_add_f32 v5, v14, v23 :: v_dual_and_b32 v14, 0x3c3, v124
	v_dual_add_f32 v4, v15, v25 :: v_dual_add_f32 v3, v16, v26
	v_add_f32_e32 v2, v17, v19
	s_delay_alu instid0(VALU_DEP_3) | instskip(SKIP_2) | instid1(VALU_DEP_1)
	v_cmp_eq_u32_e32 vcc_lo, 64, v14
	s_waitcnt vmcnt(1)
	v_lshrrev_b32_e32 v1, 2, v1
	v_lshlrev_b32_e32 v14, 2, v1
	s_waitcnt vmcnt(0)
	v_mad_u32_u24 v13, 0x180, v13, s0
	s_and_saveexec_b32 s0, vcc_lo
	s_cbranch_execz .LBB440_2786
; %bb.2785:
	s_delay_alu instid0(VALU_DEP_1)
	v_add3_u32 v15, v13, v14, 0xfffffd00
	ds_store_2addr_b32 v15, v0, v12 offset1:8
	ds_store_2addr_b32 v15, v11, v10 offset0:16 offset1:24
	ds_store_2addr_b32 v15, v9, v8 offset0:32 offset1:40
	ds_store_2addr_b32 v15, v7, v6 offset0:48 offset1:56
	ds_store_2addr_b32 v15, v5, v4 offset0:64 offset1:72
	ds_store_2addr_b32 v15, v3, v2 offset0:80 offset1:88
.LBB440_2786:
	s_or_b32 exec_lo, exec_lo, s0
	v_cmp_eq_u32_e32 vcc_lo, 0, v24
	v_cmp_gt_u32_e64 s0, 64, v124
	s_waitcnt lgkmcnt(0)
	s_barrier
	buffer_gl0_inv
	s_mov_b32 s2, exec_lo
	scratch_load_b32 v16, off, s32 offset:480 ; 4-byte Folded Reload
	s_and_b32 s0, s2, s0
	s_delay_alu instid0(SALU_CYCLE_1)
	s_mov_b32 exec_lo, s0
	s_cbranch_execz .LBB440_2801
; %bb.2787:
	s_and_saveexec_b32 s0, vcc_lo
	s_cbranch_execnz .LBB440_2870
; %bb.2788:
	s_or_b32 exec_lo, exec_lo, s0
	s_and_saveexec_b32 s0, vcc_lo
	s_cbranch_execnz .LBB440_2871
.LBB440_2789:
	s_or_b32 exec_lo, exec_lo, s0
	s_and_saveexec_b32 s0, vcc_lo
	s_cbranch_execnz .LBB440_2872
.LBB440_2790:
	s_or_b32 exec_lo, exec_lo, s0
	s_and_saveexec_b32 s0, vcc_lo
	s_cbranch_execnz .LBB440_2873
.LBB440_2791:
	s_or_b32 exec_lo, exec_lo, s0
	s_and_saveexec_b32 s0, vcc_lo
	s_cbranch_execnz .LBB440_2874
.LBB440_2792:
	s_or_b32 exec_lo, exec_lo, s0
	s_and_saveexec_b32 s0, vcc_lo
	s_cbranch_execnz .LBB440_2875
.LBB440_2793:
	s_or_b32 exec_lo, exec_lo, s0
	s_and_saveexec_b32 s0, vcc_lo
	s_cbranch_execnz .LBB440_2876
.LBB440_2794:
	s_or_b32 exec_lo, exec_lo, s0
	s_and_saveexec_b32 s0, vcc_lo
	s_cbranch_execnz .LBB440_2877
.LBB440_2795:
	s_or_b32 exec_lo, exec_lo, s0
	s_and_saveexec_b32 s0, vcc_lo
	s_cbranch_execnz .LBB440_2878
.LBB440_2796:
	s_or_b32 exec_lo, exec_lo, s0
	s_and_saveexec_b32 s0, vcc_lo
	s_cbranch_execnz .LBB440_2879
.LBB440_2797:
	s_or_b32 exec_lo, exec_lo, s0
	s_and_saveexec_b32 s0, vcc_lo
	s_cbranch_execnz .LBB440_2880
.LBB440_2798:
	s_or_b32 exec_lo, exec_lo, s0
	s_and_saveexec_b32 s0, vcc_lo
	s_cbranch_execz .LBB440_2800
.LBB440_2799:
	v_lshl_add_u32 v15, v1, 2, v13
	ds_load_b32 v15, v15 offset:352
	s_waitcnt lgkmcnt(0)
	v_add_f32_e32 v2, v15, v2
.LBB440_2800:
	s_or_b32 exec_lo, exec_lo, s0
.LBB440_2801:
	s_delay_alu instid0(SALU_CYCLE_1)
	s_or_b32 exec_lo, exec_lo, s2
	v_and_b32_e32 v15, 0x3e3, v124
	s_mov_b32 s2, exec_lo
	s_waitcnt vmcnt(0)
	s_barrier
	buffer_gl0_inv
	v_cmpx_eq_u32_e32 32, v15
	s_cbranch_execz .LBB440_2803
; %bb.2802:
	v_add3_u32 v14, v13, v14, 0xfffffe80
	ds_store_2addr_b32 v14, v0, v12 offset1:8
	ds_store_2addr_b32 v14, v11, v10 offset0:16 offset1:24
	ds_store_2addr_b32 v14, v9, v8 offset0:32 offset1:40
	;; [unrolled: 1-line block ×5, first 2 shown]
.LBB440_2803:
	s_or_b32 exec_lo, exec_lo, s2
	v_cmp_gt_u32_e64 s0, 32, v124
	s_waitcnt lgkmcnt(0)
	s_barrier
	buffer_gl0_inv
	s_and_saveexec_b32 s2, s0
	s_cbranch_execz .LBB440_2818
; %bb.2804:
	v_lshl_add_u32 v1, v1, 2, v13
	s_and_saveexec_b32 s3, vcc_lo
	s_cbranch_execnz .LBB440_2881
; %bb.2805:
	s_or_b32 exec_lo, exec_lo, s3
	s_and_saveexec_b32 s3, vcc_lo
	s_cbranch_execnz .LBB440_2882
.LBB440_2806:
	s_or_b32 exec_lo, exec_lo, s3
	s_and_saveexec_b32 s3, vcc_lo
	s_cbranch_execnz .LBB440_2883
.LBB440_2807:
	s_or_b32 exec_lo, exec_lo, s3
	s_and_saveexec_b32 s3, vcc_lo
	s_cbranch_execnz .LBB440_2884
.LBB440_2808:
	s_or_b32 exec_lo, exec_lo, s3
	s_and_saveexec_b32 s3, vcc_lo
	s_cbranch_execnz .LBB440_2885
.LBB440_2809:
	s_or_b32 exec_lo, exec_lo, s3
	s_and_saveexec_b32 s3, vcc_lo
	s_cbranch_execnz .LBB440_2886
.LBB440_2810:
	s_or_b32 exec_lo, exec_lo, s3
	s_and_saveexec_b32 s3, vcc_lo
	s_cbranch_execnz .LBB440_2887
.LBB440_2811:
	s_or_b32 exec_lo, exec_lo, s3
	s_and_saveexec_b32 s3, vcc_lo
	s_cbranch_execnz .LBB440_2888
.LBB440_2812:
	s_or_b32 exec_lo, exec_lo, s3
	s_and_saveexec_b32 s3, vcc_lo
	s_cbranch_execnz .LBB440_2889
.LBB440_2813:
	s_or_b32 exec_lo, exec_lo, s3
	s_and_saveexec_b32 s3, vcc_lo
	s_cbranch_execnz .LBB440_2890
.LBB440_2814:
	s_or_b32 exec_lo, exec_lo, s3
	s_and_saveexec_b32 s3, vcc_lo
	s_cbranch_execnz .LBB440_2891
.LBB440_2815:
	s_or_b32 exec_lo, exec_lo, s3
	s_and_saveexec_b32 s3, vcc_lo
	s_cbranch_execz .LBB440_2817
.LBB440_2816:
	ds_load_b32 v1, v1 offset:352
	s_waitcnt lgkmcnt(0)
	v_add_f32_e32 v2, v1, v2
.LBB440_2817:
	s_or_b32 exec_lo, exec_lo, s3
.LBB440_2818:
	s_delay_alu instid0(SALU_CYCLE_1)
	s_or_b32 exec_lo, exec_lo, s2
	s_barrier
	buffer_gl0_inv
	s_and_b32 exec_lo, exec_lo, s0
	s_cbranch_execz .LBB440_2869
; %bb.2819:
	s_and_b32 exec_lo, exec_lo, vcc_lo
	s_cbranch_execz .LBB440_2869
; %bb.2820:
	v_and_b32_e32 v1, 0x7f800000, v0
	s_mov_b32 s0, exec_lo
                                        ; implicit-def: $vgpr13
	s_delay_alu instid0(VALU_DEP_1)
	v_cmpx_ne_u32_e32 0x7f800000, v1
	s_xor_b32 s0, exec_lo, s0
; %bb.2821:
	v_bfe_u32 v1, v0, 16, 1
	s_delay_alu instid0(VALU_DEP_1)
	v_add3_u32 v13, v0, v1, 0x7fff
                                        ; implicit-def: $vgpr0
; %bb.2822:
	s_and_not1_saveexec_b32 s0, s0
; %bb.2823:
	v_and_b32_e32 v1, 0xffff, v0
	v_or_b32_e32 v13, 0x10000, v0
	s_delay_alu instid0(VALU_DEP_2) | instskip(NEXT) | instid1(VALU_DEP_2)
	v_cmp_eq_u32_e32 vcc_lo, 0, v1
	v_cndmask_b32_e32 v13, v13, v0, vcc_lo
; %bb.2824:
	s_or_b32 exec_lo, exec_lo, s0
	s_mul_i32 s2, s1, s4
	s_mul_i32 s0, s6, s1
	;; [unrolled: 1-line block ×5, first 2 shown]
	s_ashr_i32 s1, s0, 31
	s_ashr_i32 s3, s2, 31
	;; [unrolled: 1-line block ×3, first 2 shown]
	s_lshl_b64 s[0:1], s[0:1], 1
	s_lshl_b64 s[2:3], s[2:3], 1
	;; [unrolled: 1-line block ×3, first 2 shown]
	v_lshrrev_b32_e32 v0, 1, v124
	s_add_u32 s0, s2, s0
	s_addc_u32 s1, s3, s1
	s_add_u32 s0, s0, s6
	s_addc_u32 s1, s1, s7
	v_and_b32_e32 v0, 0x1fe, v0
	v_add_co_u32 v1, vcc_lo, s0, v16
	v_add_co_ci_u32_e32 v14, vcc_lo, s1, v123, vcc_lo
	v_and_b32_e32 v15, 0x7f800000, v12
	s_delay_alu instid0(VALU_DEP_3) | instskip(NEXT) | instid1(VALU_DEP_3)
	v_add_co_u32 v0, vcc_lo, v1, v0
	v_add_co_ci_u32_e32 v1, vcc_lo, 0, v14, vcc_lo
	s_mov_b32 s0, exec_lo
	flat_store_d16_hi_b16 v[0:1], v13
                                        ; implicit-def: $vgpr13
	v_cmpx_ne_u32_e32 0x7f800000, v15
	s_xor_b32 s0, exec_lo, s0
; %bb.2825:
	v_bfe_u32 v13, v12, 16, 1
	s_delay_alu instid0(VALU_DEP_1)
	v_add3_u32 v13, v12, v13, 0x7fff
                                        ; implicit-def: $vgpr12
; %bb.2826:
	s_and_not1_saveexec_b32 s0, s0
; %bb.2827:
	v_and_b32_e32 v13, 0xffff, v12
	v_or_b32_e32 v14, 0x10000, v12
	s_delay_alu instid0(VALU_DEP_2) | instskip(NEXT) | instid1(VALU_DEP_2)
	v_cmp_eq_u32_e32 vcc_lo, 0, v13
	v_cndmask_b32_e32 v13, v14, v12, vcc_lo
; %bb.2828:
	s_or_b32 exec_lo, exec_lo, s0
	v_and_b32_e32 v12, 0x7f800000, v11
	flat_store_d16_hi_b16 v[0:1], v13 offset:16
	v_cmp_ne_u32_e32 vcc_lo, 0x7f800000, v12
                                        ; implicit-def: $vgpr12
	s_and_saveexec_b32 s0, vcc_lo
	s_delay_alu instid0(SALU_CYCLE_1)
	s_xor_b32 s0, exec_lo, s0
; %bb.2829:
	v_bfe_u32 v12, v11, 16, 1
	s_delay_alu instid0(VALU_DEP_1)
	v_add3_u32 v12, v11, v12, 0x7fff
                                        ; implicit-def: $vgpr11
; %bb.2830:
	s_and_not1_saveexec_b32 s0, s0
; %bb.2831:
	v_and_b32_e32 v12, 0xffff, v11
	v_or_b32_e32 v13, 0x10000, v11
	s_delay_alu instid0(VALU_DEP_2) | instskip(NEXT) | instid1(VALU_DEP_2)
	v_cmp_eq_u32_e32 vcc_lo, 0, v12
	v_cndmask_b32_e32 v12, v13, v11, vcc_lo
; %bb.2832:
	s_or_b32 exec_lo, exec_lo, s0
	v_and_b32_e32 v11, 0x7f800000, v10
	flat_store_d16_hi_b16 v[0:1], v12 offset:32
	v_cmp_ne_u32_e32 vcc_lo, 0x7f800000, v11
                                        ; implicit-def: $vgpr11
	s_and_saveexec_b32 s0, vcc_lo
	s_delay_alu instid0(SALU_CYCLE_1)
	s_xor_b32 s0, exec_lo, s0
; %bb.2833:
	v_bfe_u32 v11, v10, 16, 1
	s_delay_alu instid0(VALU_DEP_1)
	v_add3_u32 v11, v10, v11, 0x7fff
                                        ; implicit-def: $vgpr10
; %bb.2834:
	s_and_not1_saveexec_b32 s0, s0
; %bb.2835:
	v_and_b32_e32 v11, 0xffff, v10
	v_or_b32_e32 v12, 0x10000, v10
	s_delay_alu instid0(VALU_DEP_2) | instskip(NEXT) | instid1(VALU_DEP_2)
	v_cmp_eq_u32_e32 vcc_lo, 0, v11
	v_cndmask_b32_e32 v11, v12, v10, vcc_lo
; %bb.2836:
	s_or_b32 exec_lo, exec_lo, s0
	v_and_b32_e32 v10, 0x7f800000, v9
	flat_store_d16_hi_b16 v[0:1], v11 offset:48
	v_cmp_ne_u32_e32 vcc_lo, 0x7f800000, v10
                                        ; implicit-def: $vgpr10
	s_and_saveexec_b32 s0, vcc_lo
	s_delay_alu instid0(SALU_CYCLE_1)
	s_xor_b32 s0, exec_lo, s0
; %bb.2837:
	v_bfe_u32 v10, v9, 16, 1
	s_delay_alu instid0(VALU_DEP_1)
	v_add3_u32 v10, v9, v10, 0x7fff
                                        ; implicit-def: $vgpr9
; %bb.2838:
	s_and_not1_saveexec_b32 s0, s0
; %bb.2839:
	v_and_b32_e32 v10, 0xffff, v9
	v_or_b32_e32 v11, 0x10000, v9
	s_delay_alu instid0(VALU_DEP_2) | instskip(NEXT) | instid1(VALU_DEP_2)
	v_cmp_eq_u32_e32 vcc_lo, 0, v10
	v_cndmask_b32_e32 v10, v11, v9, vcc_lo
; %bb.2840:
	s_or_b32 exec_lo, exec_lo, s0
	v_and_b32_e32 v9, 0x7f800000, v8
	flat_store_d16_hi_b16 v[0:1], v10 offset:64
	v_cmp_ne_u32_e32 vcc_lo, 0x7f800000, v9
                                        ; implicit-def: $vgpr9
	s_and_saveexec_b32 s0, vcc_lo
	s_delay_alu instid0(SALU_CYCLE_1)
	s_xor_b32 s0, exec_lo, s0
; %bb.2841:
	v_bfe_u32 v9, v8, 16, 1
	s_delay_alu instid0(VALU_DEP_1)
	v_add3_u32 v9, v8, v9, 0x7fff
                                        ; implicit-def: $vgpr8
; %bb.2842:
	s_and_not1_saveexec_b32 s0, s0
; %bb.2843:
	v_and_b32_e32 v9, 0xffff, v8
	v_or_b32_e32 v10, 0x10000, v8
	s_delay_alu instid0(VALU_DEP_2) | instskip(NEXT) | instid1(VALU_DEP_2)
	v_cmp_eq_u32_e32 vcc_lo, 0, v9
	v_cndmask_b32_e32 v9, v10, v8, vcc_lo
; %bb.2844:
	s_or_b32 exec_lo, exec_lo, s0
	v_and_b32_e32 v8, 0x7f800000, v7
	flat_store_d16_hi_b16 v[0:1], v9 offset:80
	v_cmp_ne_u32_e32 vcc_lo, 0x7f800000, v8
                                        ; implicit-def: $vgpr8
	s_and_saveexec_b32 s0, vcc_lo
	s_delay_alu instid0(SALU_CYCLE_1)
	s_xor_b32 s0, exec_lo, s0
; %bb.2845:
	v_bfe_u32 v8, v7, 16, 1
	s_delay_alu instid0(VALU_DEP_1)
	v_add3_u32 v8, v7, v8, 0x7fff
                                        ; implicit-def: $vgpr7
; %bb.2846:
	s_and_not1_saveexec_b32 s0, s0
; %bb.2847:
	v_and_b32_e32 v8, 0xffff, v7
	v_or_b32_e32 v9, 0x10000, v7
	s_delay_alu instid0(VALU_DEP_2) | instskip(NEXT) | instid1(VALU_DEP_2)
	v_cmp_eq_u32_e32 vcc_lo, 0, v8
	v_cndmask_b32_e32 v8, v9, v7, vcc_lo
; %bb.2848:
	s_or_b32 exec_lo, exec_lo, s0
	v_and_b32_e32 v7, 0x7f800000, v6
	flat_store_d16_hi_b16 v[0:1], v8 offset:96
	v_cmp_ne_u32_e32 vcc_lo, 0x7f800000, v7
                                        ; implicit-def: $vgpr7
	s_and_saveexec_b32 s0, vcc_lo
	s_delay_alu instid0(SALU_CYCLE_1)
	s_xor_b32 s0, exec_lo, s0
; %bb.2849:
	v_bfe_u32 v7, v6, 16, 1
	s_delay_alu instid0(VALU_DEP_1)
	v_add3_u32 v7, v6, v7, 0x7fff
                                        ; implicit-def: $vgpr6
; %bb.2850:
	s_and_not1_saveexec_b32 s0, s0
; %bb.2851:
	v_and_b32_e32 v7, 0xffff, v6
	v_or_b32_e32 v8, 0x10000, v6
	s_delay_alu instid0(VALU_DEP_2) | instskip(NEXT) | instid1(VALU_DEP_2)
	v_cmp_eq_u32_e32 vcc_lo, 0, v7
	v_cndmask_b32_e32 v7, v8, v6, vcc_lo
; %bb.2852:
	s_or_b32 exec_lo, exec_lo, s0
	v_and_b32_e32 v6, 0x7f800000, v5
	flat_store_d16_hi_b16 v[0:1], v7 offset:112
	v_cmp_ne_u32_e32 vcc_lo, 0x7f800000, v6
                                        ; implicit-def: $vgpr6
	s_and_saveexec_b32 s0, vcc_lo
	s_delay_alu instid0(SALU_CYCLE_1)
	s_xor_b32 s0, exec_lo, s0
; %bb.2853:
	v_bfe_u32 v6, v5, 16, 1
	s_delay_alu instid0(VALU_DEP_1)
	v_add3_u32 v6, v5, v6, 0x7fff
                                        ; implicit-def: $vgpr5
; %bb.2854:
	s_and_not1_saveexec_b32 s0, s0
; %bb.2855:
	v_and_b32_e32 v6, 0xffff, v5
	v_or_b32_e32 v7, 0x10000, v5
	s_delay_alu instid0(VALU_DEP_2) | instskip(NEXT) | instid1(VALU_DEP_2)
	v_cmp_eq_u32_e32 vcc_lo, 0, v6
	v_cndmask_b32_e32 v6, v7, v5, vcc_lo
; %bb.2856:
	s_or_b32 exec_lo, exec_lo, s0
	v_and_b32_e32 v5, 0x7f800000, v4
	flat_store_d16_hi_b16 v[0:1], v6 offset:128
	v_cmp_ne_u32_e32 vcc_lo, 0x7f800000, v5
                                        ; implicit-def: $vgpr5
	s_and_saveexec_b32 s0, vcc_lo
	s_delay_alu instid0(SALU_CYCLE_1)
	s_xor_b32 s0, exec_lo, s0
; %bb.2857:
	v_bfe_u32 v5, v4, 16, 1
	s_delay_alu instid0(VALU_DEP_1)
	v_add3_u32 v5, v4, v5, 0x7fff
                                        ; implicit-def: $vgpr4
; %bb.2858:
	s_and_not1_saveexec_b32 s0, s0
; %bb.2859:
	v_and_b32_e32 v5, 0xffff, v4
	v_or_b32_e32 v6, 0x10000, v4
	s_delay_alu instid0(VALU_DEP_2) | instskip(NEXT) | instid1(VALU_DEP_2)
	v_cmp_eq_u32_e32 vcc_lo, 0, v5
	v_cndmask_b32_e32 v5, v6, v4, vcc_lo
; %bb.2860:
	s_or_b32 exec_lo, exec_lo, s0
	v_and_b32_e32 v4, 0x7f800000, v3
	flat_store_d16_hi_b16 v[0:1], v5 offset:144
	v_cmp_ne_u32_e32 vcc_lo, 0x7f800000, v4
                                        ; implicit-def: $vgpr4
	s_and_saveexec_b32 s0, vcc_lo
	s_delay_alu instid0(SALU_CYCLE_1)
	s_xor_b32 s0, exec_lo, s0
; %bb.2861:
	v_bfe_u32 v4, v3, 16, 1
	s_delay_alu instid0(VALU_DEP_1)
	v_add3_u32 v4, v3, v4, 0x7fff
                                        ; implicit-def: $vgpr3
; %bb.2862:
	s_and_not1_saveexec_b32 s0, s0
; %bb.2863:
	v_and_b32_e32 v4, 0xffff, v3
	v_or_b32_e32 v5, 0x10000, v3
	s_delay_alu instid0(VALU_DEP_2) | instskip(NEXT) | instid1(VALU_DEP_2)
	v_cmp_eq_u32_e32 vcc_lo, 0, v4
	v_cndmask_b32_e32 v4, v5, v3, vcc_lo
; %bb.2864:
	s_or_b32 exec_lo, exec_lo, s0
	v_and_b32_e32 v3, 0x7f800000, v2
	flat_store_d16_hi_b16 v[0:1], v4 offset:160
	v_cmp_ne_u32_e32 vcc_lo, 0x7f800000, v3
                                        ; implicit-def: $vgpr3
	s_and_saveexec_b32 s0, vcc_lo
	s_delay_alu instid0(SALU_CYCLE_1)
	s_xor_b32 s0, exec_lo, s0
; %bb.2865:
	v_bfe_u32 v3, v2, 16, 1
	s_delay_alu instid0(VALU_DEP_1)
	v_add3_u32 v3, v2, v3, 0x7fff
                                        ; implicit-def: $vgpr2
; %bb.2866:
	s_and_not1_saveexec_b32 s0, s0
; %bb.2867:
	v_and_b32_e32 v3, 0xffff, v2
	v_or_b32_e32 v4, 0x10000, v2
	s_delay_alu instid0(VALU_DEP_2) | instskip(NEXT) | instid1(VALU_DEP_2)
	v_cmp_eq_u32_e32 vcc_lo, 0, v3
	v_cndmask_b32_e32 v3, v4, v2, vcc_lo
; %bb.2868:
	s_or_b32 exec_lo, exec_lo, s0
	flat_store_d16_hi_b16 v[0:1], v3 offset:176
.LBB440_2869:
	s_or_b32 exec_lo, exec_lo, s5
	s_clause 0x1f
	scratch_load_b32 v191, off, s32 offset:8
	scratch_load_b32 v190, off, s32 offset:12
	;; [unrolled: 1-line block ×32, first 2 shown]
	s_clause 0x1f
	scratch_load_b32 v127, off, s32 offset:136
	scratch_load_b32 v126, off, s32 offset:140
	;; [unrolled: 1-line block ×32, first 2 shown]
	s_clause 0xf
	scratch_load_b32 v63, off, s32 offset:264
	scratch_load_b32 v62, off, s32 offset:268
	scratch_load_b32 v61, off, s32 offset:272
	scratch_load_b32 v60, off, s32 offset:276
	scratch_load_b32 v59, off, s32 offset:280
	scratch_load_b32 v58, off, s32 offset:284
	scratch_load_b32 v57, off, s32 offset:288
	scratch_load_b32 v56, off, s32 offset:292
	scratch_load_b32 v47, off, s32 offset:296
	scratch_load_b32 v46, off, s32 offset:300
	scratch_load_b32 v45, off, s32 offset:304
	scratch_load_b32 v44, off, s32 offset:308
	scratch_load_b32 v43, off, s32 offset:312
	scratch_load_b32 v42, off, s32 offset:316
	scratch_load_b32 v41, off, s32 offset:320
	scratch_load_b32 v40, off, s32 offset:324
	s_waitcnt vmcnt(0) lgkmcnt(0)
	s_setpc_b64 s[30:31]
.LBB440_2870:
	v_lshl_add_u32 v15, v1, 2, v13
	ds_load_b32 v15, v15
	s_waitcnt lgkmcnt(0)
	v_add_f32_e32 v0, v15, v0
	s_or_b32 exec_lo, exec_lo, s0
	s_and_saveexec_b32 s0, vcc_lo
	s_cbranch_execz .LBB440_2789
.LBB440_2871:
	v_lshl_add_u32 v15, v1, 2, v13
	ds_load_b32 v15, v15 offset:32
	s_waitcnt lgkmcnt(0)
	v_add_f32_e32 v12, v15, v12
	s_or_b32 exec_lo, exec_lo, s0
	s_and_saveexec_b32 s0, vcc_lo
	s_cbranch_execz .LBB440_2790
.LBB440_2872:
	v_lshl_add_u32 v15, v1, 2, v13
	ds_load_b32 v15, v15 offset:64
	s_waitcnt lgkmcnt(0)
	v_add_f32_e32 v11, v15, v11
	s_or_b32 exec_lo, exec_lo, s0
	s_and_saveexec_b32 s0, vcc_lo
	s_cbranch_execz .LBB440_2791
.LBB440_2873:
	v_lshl_add_u32 v15, v1, 2, v13
	ds_load_b32 v15, v15 offset:96
	s_waitcnt lgkmcnt(0)
	v_add_f32_e32 v10, v15, v10
	s_or_b32 exec_lo, exec_lo, s0
	s_and_saveexec_b32 s0, vcc_lo
	s_cbranch_execz .LBB440_2792
.LBB440_2874:
	v_lshl_add_u32 v15, v1, 2, v13
	ds_load_b32 v15, v15 offset:128
	s_waitcnt lgkmcnt(0)
	v_add_f32_e32 v9, v15, v9
	s_or_b32 exec_lo, exec_lo, s0
	s_and_saveexec_b32 s0, vcc_lo
	s_cbranch_execz .LBB440_2793
.LBB440_2875:
	v_lshl_add_u32 v15, v1, 2, v13
	ds_load_b32 v15, v15 offset:160
	s_waitcnt lgkmcnt(0)
	v_add_f32_e32 v8, v15, v8
	s_or_b32 exec_lo, exec_lo, s0
	s_and_saveexec_b32 s0, vcc_lo
	s_cbranch_execz .LBB440_2794
.LBB440_2876:
	v_lshl_add_u32 v15, v1, 2, v13
	ds_load_b32 v15, v15 offset:192
	s_waitcnt lgkmcnt(0)
	v_add_f32_e32 v7, v15, v7
	s_or_b32 exec_lo, exec_lo, s0
	s_and_saveexec_b32 s0, vcc_lo
	s_cbranch_execz .LBB440_2795
.LBB440_2877:
	v_lshl_add_u32 v15, v1, 2, v13
	ds_load_b32 v15, v15 offset:224
	s_waitcnt lgkmcnt(0)
	v_add_f32_e32 v6, v15, v6
	s_or_b32 exec_lo, exec_lo, s0
	s_and_saveexec_b32 s0, vcc_lo
	s_cbranch_execz .LBB440_2796
.LBB440_2878:
	v_lshl_add_u32 v15, v1, 2, v13
	ds_load_b32 v15, v15 offset:256
	s_waitcnt lgkmcnt(0)
	v_add_f32_e32 v5, v15, v5
	s_or_b32 exec_lo, exec_lo, s0
	s_and_saveexec_b32 s0, vcc_lo
	s_cbranch_execz .LBB440_2797
.LBB440_2879:
	v_lshl_add_u32 v15, v1, 2, v13
	ds_load_b32 v15, v15 offset:288
	s_waitcnt lgkmcnt(0)
	v_add_f32_e32 v4, v15, v4
	s_or_b32 exec_lo, exec_lo, s0
	s_and_saveexec_b32 s0, vcc_lo
	s_cbranch_execz .LBB440_2798
.LBB440_2880:
	v_lshl_add_u32 v15, v1, 2, v13
	ds_load_b32 v15, v15 offset:320
	s_waitcnt lgkmcnt(0)
	v_add_f32_e32 v3, v15, v3
	s_or_b32 exec_lo, exec_lo, s0
	s_and_saveexec_b32 s0, vcc_lo
	s_cbranch_execnz .LBB440_2799
	s_branch .LBB440_2800
.LBB440_2881:
	ds_load_b32 v13, v1
	s_waitcnt lgkmcnt(0)
	v_add_f32_e32 v0, v13, v0
	s_or_b32 exec_lo, exec_lo, s3
	s_and_saveexec_b32 s3, vcc_lo
	s_cbranch_execz .LBB440_2806
.LBB440_2882:
	ds_load_b32 v13, v1 offset:32
	s_waitcnt lgkmcnt(0)
	v_add_f32_e32 v12, v13, v12
	s_or_b32 exec_lo, exec_lo, s3
	s_and_saveexec_b32 s3, vcc_lo
	s_cbranch_execz .LBB440_2807
.LBB440_2883:
	ds_load_b32 v13, v1 offset:64
	s_waitcnt lgkmcnt(0)
	v_add_f32_e32 v11, v13, v11
	s_or_b32 exec_lo, exec_lo, s3
	s_and_saveexec_b32 s3, vcc_lo
	s_cbranch_execz .LBB440_2808
.LBB440_2884:
	ds_load_b32 v13, v1 offset:96
	s_waitcnt lgkmcnt(0)
	v_add_f32_e32 v10, v13, v10
	s_or_b32 exec_lo, exec_lo, s3
	s_and_saveexec_b32 s3, vcc_lo
	s_cbranch_execz .LBB440_2809
.LBB440_2885:
	ds_load_b32 v13, v1 offset:128
	s_waitcnt lgkmcnt(0)
	v_add_f32_e32 v9, v13, v9
	s_or_b32 exec_lo, exec_lo, s3
	s_and_saveexec_b32 s3, vcc_lo
	s_cbranch_execz .LBB440_2810
.LBB440_2886:
	ds_load_b32 v13, v1 offset:160
	s_waitcnt lgkmcnt(0)
	v_add_f32_e32 v8, v13, v8
	s_or_b32 exec_lo, exec_lo, s3
	s_and_saveexec_b32 s3, vcc_lo
	s_cbranch_execz .LBB440_2811
.LBB440_2887:
	ds_load_b32 v13, v1 offset:192
	s_waitcnt lgkmcnt(0)
	v_add_f32_e32 v7, v13, v7
	s_or_b32 exec_lo, exec_lo, s3
	s_and_saveexec_b32 s3, vcc_lo
	s_cbranch_execz .LBB440_2812
.LBB440_2888:
	ds_load_b32 v13, v1 offset:224
	s_waitcnt lgkmcnt(0)
	v_add_f32_e32 v6, v13, v6
	s_or_b32 exec_lo, exec_lo, s3
	s_and_saveexec_b32 s3, vcc_lo
	s_cbranch_execz .LBB440_2813
.LBB440_2889:
	ds_load_b32 v13, v1 offset:256
	s_waitcnt lgkmcnt(0)
	v_add_f32_e32 v5, v13, v5
	s_or_b32 exec_lo, exec_lo, s3
	s_and_saveexec_b32 s3, vcc_lo
	s_cbranch_execz .LBB440_2814
.LBB440_2890:
	ds_load_b32 v13, v1 offset:288
	s_waitcnt lgkmcnt(0)
	v_add_f32_e32 v4, v13, v4
	s_or_b32 exec_lo, exec_lo, s3
	s_and_saveexec_b32 s3, vcc_lo
	s_cbranch_execz .LBB440_2815
.LBB440_2891:
	ds_load_b32 v13, v1 offset:320
	s_waitcnt lgkmcnt(0)
	v_add_f32_e32 v3, v13, v3
	s_or_b32 exec_lo, exec_lo, s3
	s_and_saveexec_b32 s3, vcc_lo
	s_cbranch_execnz .LBB440_2816
	s_branch .LBB440_2817
.Lfunc_end440:
	.size	_ZN4vllm22paged_attention_kernelI14__hip_bfloat16hLi96ELi32ELi128ELNS_18Fp8KVCacheDataTypeE1ELb1ELi512EEEvPfS3_PT_PKS4_PKT0_SA_ifPKiSC_iPKfiiiSE_SE_iiiii, .Lfunc_end440-_ZN4vllm22paged_attention_kernelI14__hip_bfloat16hLi96ELi32ELi128ELNS_18Fp8KVCacheDataTypeE1ELb1ELi512EEEvPfS3_PT_PKS4_PKT0_SA_ifPKiSC_iPKfiiiSE_SE_iiiii
                                        ; -- End function
	.section	.AMDGPU.csdata,"",@progbits
; Function info:
; codeLenInByte = 89464
; NumSgprs: 35
; NumVgprs: 192
; ScratchSize: 560
; MemoryBound: 0
	.section	.text._ZN4vllm25paged_attention_v2_kernelI14__hip_bfloat16hLi96ELi32ELi128ELNS_18Fp8KVCacheDataTypeE1ELb1ELi512EEEvPfS3_PT_PKS4_PKT0_SA_ifPKiSC_iPKfiiiSE_SE_iiiii,"axG",@progbits,_ZN4vllm25paged_attention_v2_kernelI14__hip_bfloat16hLi96ELi32ELi128ELNS_18Fp8KVCacheDataTypeE1ELb1ELi512EEEvPfS3_PT_PKS4_PKT0_SA_ifPKiSC_iPKfiiiSE_SE_iiiii,comdat
	.protected	_ZN4vllm25paged_attention_v2_kernelI14__hip_bfloat16hLi96ELi32ELi128ELNS_18Fp8KVCacheDataTypeE1ELb1ELi512EEEvPfS3_PT_PKS4_PKT0_SA_ifPKiSC_iPKfiiiSE_SE_iiiii ; -- Begin function _ZN4vllm25paged_attention_v2_kernelI14__hip_bfloat16hLi96ELi32ELi128ELNS_18Fp8KVCacheDataTypeE1ELb1ELi512EEEvPfS3_PT_PKS4_PKT0_SA_ifPKiSC_iPKfiiiSE_SE_iiiii
	.globl	_ZN4vllm25paged_attention_v2_kernelI14__hip_bfloat16hLi96ELi32ELi128ELNS_18Fp8KVCacheDataTypeE1ELb1ELi512EEEvPfS3_PT_PKS4_PKT0_SA_ifPKiSC_iPKfiiiSE_SE_iiiii
	.p2align	8
	.type	_ZN4vllm25paged_attention_v2_kernelI14__hip_bfloat16hLi96ELi32ELi128ELNS_18Fp8KVCacheDataTypeE1ELb1ELi512EEEvPfS3_PT_PKS4_PKT0_SA_ifPKiSC_iPKfiiiSE_SE_iiiii,@function
_ZN4vllm25paged_attention_v2_kernelI14__hip_bfloat16hLi96ELi32ELi128ELNS_18Fp8KVCacheDataTypeE1ELb1ELi512EEEvPfS3_PT_PKS4_PKT0_SA_ifPKiSC_iPKfiiiSE_SE_iiiii: ; @_ZN4vllm25paged_attention_v2_kernelI14__hip_bfloat16hLi96ELi32ELi128ELNS_18Fp8KVCacheDataTypeE1ELb1ELi512EEEvPfS3_PT_PKS4_PKT0_SA_ifPKiSC_iPKfiiiSE_SE_iiiii
; %bb.0:
	s_mov_b32 s12, s13
	s_clause 0x7
	s_load_b128 s[4:7], s[0:1], 0x78
	s_load_b32 s8, s[0:1], 0x88
	s_load_b256 s[24:31], s[0:1], 0x0
	s_load_b256 s[36:43], s[0:1], 0x20
	s_load_b64 s[2:3], s[0:1], 0x40
	s_load_b64 s[10:11], s[0:1], 0x50
	s_load_b32 s13, s[0:1], 0x48
	s_load_b256 s[16:23], s[0:1], 0x58
	s_mov_b32 s32, 0
	v_mov_b32_e32 v31, v0
	s_waitcnt lgkmcnt(0)
	v_dual_mov_b32 v1, s7 :: v_dual_mov_b32 v2, s8
	v_dual_mov_b32 v0, s24 :: v_dual_mov_b32 v3, s27
	v_dual_mov_b32 v4, s28 :: v_dual_mov_b32 v5, s29
	v_mov_b32_e32 v6, s30
	scratch_store_b64 off, v[1:2], s32
	v_dual_mov_b32 v1, s25 :: v_dual_mov_b32 v2, s26
	v_dual_mov_b32 v7, s31 :: v_dual_mov_b32 v8, s36
	v_dual_mov_b32 v9, s37 :: v_dual_mov_b32 v10, s38
	v_dual_mov_b32 v11, s39 :: v_dual_mov_b32 v12, s40
	v_dual_mov_b32 v13, s41 :: v_dual_mov_b32 v14, s42
	v_dual_mov_b32 v15, s43 :: v_dual_mov_b32 v16, s2
	v_dual_mov_b32 v17, s3 :: v_dual_mov_b32 v18, s13
	v_dual_mov_b32 v19, s10 :: v_dual_mov_b32 v20, s11
	v_dual_mov_b32 v21, s16 :: v_dual_mov_b32 v22, s17
	v_dual_mov_b32 v23, s18 :: v_dual_mov_b32 v24, s20
	v_dual_mov_b32 v25, s21 :: v_dual_mov_b32 v26, s22
	v_dual_mov_b32 v27, s23 :: v_dual_mov_b32 v28, s4
	v_dual_mov_b32 v29, s5 :: v_dual_mov_b32 v30, s6
	s_add_u32 s8, s0, 0x90
	s_addc_u32 s9, s1, 0
	s_mov_b32 s13, s14
	s_mov_b32 s14, s15
	s_mov_b32 s15, 52
	s_getpc_b64 s[0:1]
	s_add_u32 s0, s0, _ZN4vllm22paged_attention_kernelI14__hip_bfloat16hLi96ELi32ELi128ELNS_18Fp8KVCacheDataTypeE1ELb1ELi512EEEvPfS3_PT_PKS4_PKT0_SA_ifPKiSC_iPKfiiiSE_SE_iiiii@rel32@lo+4
	s_addc_u32 s1, s1, _ZN4vllm22paged_attention_kernelI14__hip_bfloat16hLi96ELi32ELi128ELNS_18Fp8KVCacheDataTypeE1ELb1ELi512EEEvPfS3_PT_PKS4_PKT0_SA_ifPKiSC_iPKfiiiSE_SE_iiiii@rel32@hi+12
	s_delay_alu instid0(SALU_CYCLE_1)
	s_swappc_b64 s[30:31], s[0:1]
	s_endpgm
	.section	.rodata,"a",@progbits
	.p2align	6, 0x0
	.amdhsa_kernel _ZN4vllm25paged_attention_v2_kernelI14__hip_bfloat16hLi96ELi32ELi128ELNS_18Fp8KVCacheDataTypeE1ELb1ELi512EEEvPfS3_PT_PKS4_PKT0_SA_ifPKiSC_iPKfiiiSE_SE_iiiii
		.amdhsa_group_segment_fixed_size 224
		.amdhsa_private_segment_fixed_size 560
		.amdhsa_kernarg_size 400
		.amdhsa_user_sgpr_count 13
		.amdhsa_user_sgpr_dispatch_ptr 0
		.amdhsa_user_sgpr_queue_ptr 0
		.amdhsa_user_sgpr_kernarg_segment_ptr 1
		.amdhsa_user_sgpr_dispatch_id 0
		.amdhsa_user_sgpr_private_segment_size 0
		.amdhsa_wavefront_size32 1
		.amdhsa_uses_dynamic_stack 0
		.amdhsa_enable_private_segment 1
		.amdhsa_system_sgpr_workgroup_id_x 1
		.amdhsa_system_sgpr_workgroup_id_y 1
		.amdhsa_system_sgpr_workgroup_id_z 1
		.amdhsa_system_sgpr_workgroup_info 0
		.amdhsa_system_vgpr_workitem_id 0
		.amdhsa_next_free_vgpr 192
		.amdhsa_next_free_sgpr 44
		.amdhsa_reserve_vcc 1
		.amdhsa_float_round_mode_32 0
		.amdhsa_float_round_mode_16_64 0
		.amdhsa_float_denorm_mode_32 3
		.amdhsa_float_denorm_mode_16_64 3
		.amdhsa_dx10_clamp 1
		.amdhsa_ieee_mode 1
		.amdhsa_fp16_overflow 0
		.amdhsa_workgroup_processor_mode 1
		.amdhsa_memory_ordered 1
		.amdhsa_forward_progress 0
		.amdhsa_shared_vgpr_count 0
		.amdhsa_exception_fp_ieee_invalid_op 0
		.amdhsa_exception_fp_denorm_src 0
		.amdhsa_exception_fp_ieee_div_zero 0
		.amdhsa_exception_fp_ieee_overflow 0
		.amdhsa_exception_fp_ieee_underflow 0
		.amdhsa_exception_fp_ieee_inexact 0
		.amdhsa_exception_int_div_zero 0
	.end_amdhsa_kernel
	.section	.text._ZN4vllm25paged_attention_v2_kernelI14__hip_bfloat16hLi96ELi32ELi128ELNS_18Fp8KVCacheDataTypeE1ELb1ELi512EEEvPfS3_PT_PKS4_PKT0_SA_ifPKiSC_iPKfiiiSE_SE_iiiii,"axG",@progbits,_ZN4vllm25paged_attention_v2_kernelI14__hip_bfloat16hLi96ELi32ELi128ELNS_18Fp8KVCacheDataTypeE1ELb1ELi512EEEvPfS3_PT_PKS4_PKT0_SA_ifPKiSC_iPKfiiiSE_SE_iiiii,comdat
.Lfunc_end441:
	.size	_ZN4vllm25paged_attention_v2_kernelI14__hip_bfloat16hLi96ELi32ELi128ELNS_18Fp8KVCacheDataTypeE1ELb1ELi512EEEvPfS3_PT_PKS4_PKT0_SA_ifPKiSC_iPKfiiiSE_SE_iiiii, .Lfunc_end441-_ZN4vllm25paged_attention_v2_kernelI14__hip_bfloat16hLi96ELi32ELi128ELNS_18Fp8KVCacheDataTypeE1ELb1ELi512EEEvPfS3_PT_PKS4_PKT0_SA_ifPKiSC_iPKfiiiSE_SE_iiiii
                                        ; -- End function
	.section	.AMDGPU.csdata,"",@progbits
; Kernel info:
; codeLenInByte = 280
; NumSgprs: 46
; NumVgprs: 192
; ScratchSize: 560
; MemoryBound: 0
; FloatMode: 240
; IeeeMode: 1
; LDSByteSize: 224 bytes/workgroup (compile time only)
; SGPRBlocks: 5
; VGPRBlocks: 23
; NumSGPRsForWavesPerEU: 46
; NumVGPRsForWavesPerEU: 192
; Occupancy: 8
; WaveLimiterHint : 1
; COMPUTE_PGM_RSRC2:SCRATCH_EN: 1
; COMPUTE_PGM_RSRC2:USER_SGPR: 13
; COMPUTE_PGM_RSRC2:TRAP_HANDLER: 0
; COMPUTE_PGM_RSRC2:TGID_X_EN: 1
; COMPUTE_PGM_RSRC2:TGID_Y_EN: 1
; COMPUTE_PGM_RSRC2:TGID_Z_EN: 1
; COMPUTE_PGM_RSRC2:TIDIG_COMP_CNT: 0
	.text
	.p2align	2                               ; -- Begin function _ZN4vllm22paged_attention_kernelI14__hip_bfloat16hLi112ELi32ELi128ELNS_18Fp8KVCacheDataTypeE1ELb1ELi512EEEvPfS3_PT_PKS4_PKT0_SA_ifPKiSC_iPKfiiiSE_SE_iiiii
	.type	_ZN4vllm22paged_attention_kernelI14__hip_bfloat16hLi112ELi32ELi128ELNS_18Fp8KVCacheDataTypeE1ELb1ELi512EEEvPfS3_PT_PKS4_PKT0_SA_ifPKiSC_iPKfiiiSE_SE_iiiii,@function
_ZN4vllm22paged_attention_kernelI14__hip_bfloat16hLi112ELi32ELi128ELNS_18Fp8KVCacheDataTypeE1ELb1ELi512EEEvPfS3_PT_PKS4_PKT0_SA_ifPKiSC_iPKfiiiSE_SE_iiiii: ; @_ZN4vllm22paged_attention_kernelI14__hip_bfloat16hLi112ELi32ELi128ELNS_18Fp8KVCacheDataTypeE1ELb1ELi512EEEvPfS3_PT_PKS4_PKT0_SA_ifPKiSC_iPKfiiiSE_SE_iiiii
; %bb.0:
	s_waitcnt vmcnt(0) expcnt(0) lgkmcnt(0)
	s_clause 0x1f
	scratch_store_b32 off, v40, s32 offset:324
	; meta instruction
	scratch_store_b32 off, v41, s32 offset:320
	; meta instruction
	scratch_store_b32 off, v42, s32 offset:316
	; meta instruction
	scratch_store_b32 off, v43, s32 offset:312
	; meta instruction
	scratch_store_b32 off, v44, s32 offset:308
	; meta instruction
	scratch_store_b32 off, v45, s32 offset:304
	; meta instruction
	scratch_store_b32 off, v46, s32 offset:300
	; meta instruction
	scratch_store_b32 off, v47, s32 offset:296
	; meta instruction
	scratch_store_b32 off, v56, s32 offset:292
	; meta instruction
	scratch_store_b32 off, v57, s32 offset:288
	; meta instruction
	scratch_store_b32 off, v58, s32 offset:284
	; meta instruction
	scratch_store_b32 off, v59, s32 offset:280
	; meta instruction
	scratch_store_b32 off, v60, s32 offset:276
	; meta instruction
	scratch_store_b32 off, v61, s32 offset:272
	; meta instruction
	scratch_store_b32 off, v62, s32 offset:268
	; meta instruction
	scratch_store_b32 off, v63, s32 offset:264
	; meta instruction
	scratch_store_b32 off, v72, s32 offset:260
	; meta instruction
	scratch_store_b32 off, v73, s32 offset:256
	; meta instruction
	scratch_store_b32 off, v74, s32 offset:252
	; meta instruction
	scratch_store_b32 off, v75, s32 offset:248
	; meta instruction
	scratch_store_b32 off, v76, s32 offset:244
	; meta instruction
	scratch_store_b32 off, v77, s32 offset:240
	; meta instruction
	scratch_store_b32 off, v78, s32 offset:236
	; meta instruction
	scratch_store_b32 off, v79, s32 offset:232
	; meta instruction
	scratch_store_b32 off, v88, s32 offset:228
	; meta instruction
	scratch_store_b32 off, v89, s32 offset:224
	; meta instruction
	scratch_store_b32 off, v90, s32 offset:220
	; meta instruction
	scratch_store_b32 off, v91, s32 offset:216
	; meta instruction
	scratch_store_b32 off, v92, s32 offset:212
	; meta instruction
	scratch_store_b32 off, v93, s32 offset:208
	; meta instruction
	scratch_store_b32 off, v94, s32 offset:204
	; meta instruction
	scratch_store_b32 off, v95, s32 offset:200
	s_clause 0x1f
	scratch_store_b32 off, v104, s32 offset:196
	; meta instruction
	scratch_store_b32 off, v105, s32 offset:192
	; meta instruction
	;; [unrolled: 2-line block ×31, first 2 shown]
	scratch_store_b32 off, v159, s32 offset:72
	s_clause 0xf
	scratch_store_b32 off, v168, s32 offset:68
	; meta instruction
	scratch_store_b32 off, v169, s32 offset:64
	; meta instruction
	;; [unrolled: 2-line block ×15, first 2 shown]
	scratch_store_b32 off, v191, s32 offset:8
	s_mov_b32 s4, s13
	s_ashr_i32 s5, s13, 31
	v_dual_mov_b32 v32, v1 :: v_dual_mov_b32 v33, v0
	s_lshl_b64 s[0:1], s[4:5], 2
	v_dual_mov_b32 v34, v3 :: v_dual_mov_b32 v35, v2
	v_add_co_u32 v0, vcc_lo, v16, s0
	v_add_co_ci_u32_e32 v1, vcc_lo, s1, v17, vcc_lo
	flat_load_b32 v38, v[0:1]
	s_clause 0x1
	scratch_load_b32 v0, off, s32 offset:4
	scratch_load_b32 v1, off, s32
	s_lshl_b32 s3, s14, 9
	s_mov_b32 s5, exec_lo
	s_waitcnt vmcnt(2) lgkmcnt(0)
	v_cmpx_lt_i32_e64 s3, v38
	s_cbranch_execz .LBB442_3333
; %bb.1:
	v_sub_nc_u32_e32 v2, 0, v12
	s_clause 0x1
	scratch_store_b32 off, v4, s32 offset:612
	scratch_store_b32 off, v5, s32 offset:608
	s_clause 0x1
	s_load_b32 s0, s[8:9], 0x10
	s_load_b32 s1, s[8:9], 0x0
	s_mov_b32 s10, s15
	v_max_i32_e32 v2, v12, v2
	v_mov_b32_e32 v53, 0
	s_delay_alu instid0(VALU_DEP_2) | instskip(SKIP_1) | instid1(VALU_DEP_2)
	v_cvt_f32_u32_e32 v3, v2
	v_sub_nc_u32_e32 v4, 0, v2
	v_rcp_iflag_f32_e32 v3, v3
	s_waitcnt lgkmcnt(0)
	s_lshr_b32 s0, s0, 16
	s_delay_alu instid0(SALU_CYCLE_1) | instskip(SKIP_3) | instid1(SALU_CYCLE_1)
	s_cmp_lg_u32 s0, 0
	s_waitcnt_depctr 0xfff
	v_mul_f32_e32 v3, 0x4f7ffffe, v3
	s_cselect_b32 s0, -1, 0
	s_cmp_lg_u32 s0, 0
	s_delay_alu instid0(VALU_DEP_1) | instskip(SKIP_3) | instid1(VALU_DEP_1)
	v_cvt_u32_f32_e32 v3, v3
	s_addc_u32 s18, s1, 0
	s_mov_b32 s1, exec_lo
	s_abs_i32 s0, s18
	v_mul_lo_u32 v4, v4, v3
	s_delay_alu instid0(VALU_DEP_1) | instskip(NEXT) | instid1(VALU_DEP_1)
	v_mul_hi_u32 v4, v3, v4
	v_add_nc_u32_e32 v3, v3, v4
	s_delay_alu instid0(VALU_DEP_1) | instskip(NEXT) | instid1(VALU_DEP_1)
	v_mul_hi_u32 v3, s0, v3
	v_mul_lo_u32 v4, v3, v2
	v_add_nc_u32_e32 v5, 1, v3
	s_delay_alu instid0(VALU_DEP_2) | instskip(SKIP_1) | instid1(VALU_DEP_1)
	v_sub_nc_u32_e32 v4, s0, v4
	s_abs_i32 s0, s12
	v_sub_nc_u32_e32 v16, v4, v2
	v_cmp_ge_u32_e32 vcc_lo, v4, v2
	s_delay_alu instid0(VALU_DEP_2) | instskip(SKIP_1) | instid1(VALU_DEP_2)
	v_dual_cndmask_b32 v3, v3, v5 :: v_dual_cndmask_b32 v4, v4, v16
	v_xor_b32_e32 v5, s18, v12
	v_add_nc_u32_e32 v16, 1, v3
	s_delay_alu instid0(VALU_DEP_3) | instskip(NEXT) | instid1(VALU_DEP_3)
	v_cmp_ge_u32_e32 vcc_lo, v4, v2
	v_ashrrev_i32_e32 v5, 31, v5
	s_delay_alu instid0(VALU_DEP_3) | instskip(NEXT) | instid1(VALU_DEP_1)
	v_cndmask_b32_e32 v2, v3, v16, vcc_lo
	v_xor_b32_e32 v2, v2, v5
	s_delay_alu instid0(VALU_DEP_1) | instskip(NEXT) | instid1(VALU_DEP_1)
	v_sub_nc_u32_e32 v3, v2, v5
	v_sub_nc_u32_e32 v2, 0, v3
	s_delay_alu instid0(VALU_DEP_1) | instskip(NEXT) | instid1(VALU_DEP_1)
	v_max_i32_e32 v2, v3, v2
	v_cvt_f32_u32_e32 v4, v2
	v_sub_nc_u32_e32 v5, 0, v2
	s_delay_alu instid0(VALU_DEP_2) | instskip(SKIP_2) | instid1(VALU_DEP_1)
	v_rcp_iflag_f32_e32 v4, v4
	s_waitcnt_depctr 0xfff
	v_mul_f32_e32 v4, 0x4f7ffffe, v4
	v_cvt_u32_f32_e32 v4, v4
	s_delay_alu instid0(VALU_DEP_1) | instskip(NEXT) | instid1(VALU_DEP_1)
	v_mul_lo_u32 v5, v5, v4
	v_mul_hi_u32 v5, v4, v5
	s_delay_alu instid0(VALU_DEP_1) | instskip(NEXT) | instid1(VALU_DEP_1)
	v_add_nc_u32_e32 v4, v4, v5
	v_mad_u64_u32 v[16:17], null, s0, v4, 0
	v_cmpx_ne_u64_e32 0, v[19:20]
	s_cbranch_execz .LBB442_3
; %bb.2:
	s_ashr_i32 s13, s12, 31
	s_delay_alu instid0(SALU_CYCLE_1) | instskip(NEXT) | instid1(SALU_CYCLE_1)
	s_lshl_b64 s[6:7], s[12:13], 2
	v_add_co_u32 v4, vcc_lo, v19, s6
	v_add_co_ci_u32_e32 v5, vcc_lo, s7, v20, vcc_lo
	flat_load_b32 v53, v[4:5]
.LBB442_3:
	s_or_b32 exec_lo, exec_lo, s1
	v_and_b32_e32 v31, 0x3ff, v31
	v_ashrrev_i32_e32 v3, 31, v3
	s_ashr_i32 s1, s12, 31
	s_mul_i32 s6, s12, 0x70
	s_mov_b32 s2, exec_lo
	v_cmpx_gt_u32_e32 14, v31
	s_cbranch_execz .LBB442_5
; %bb.4:
	v_mul_lo_u32 v4, s4, v21
	s_ashr_i32 s7, s6, 31
	v_lshlrev_b32_e32 v16, 4, v31
	s_lshl_b64 s[16:17], s[6:7], 1
	s_delay_alu instid0(VALU_DEP_2) | instskip(NEXT) | instid1(VALU_DEP_1)
	v_ashrrev_i32_e32 v5, 31, v4
	v_lshlrev_b64 v[4:5], 1, v[4:5]
	s_delay_alu instid0(VALU_DEP_1) | instskip(NEXT) | instid1(VALU_DEP_2)
	v_add_co_u32 v4, vcc_lo, v6, v4
	v_add_co_ci_u32_e32 v5, vcc_lo, v7, v5, vcc_lo
	s_delay_alu instid0(VALU_DEP_2) | instskip(NEXT) | instid1(VALU_DEP_2)
	v_add_co_u32 v4, vcc_lo, v4, s16
	v_add_co_ci_u32_e32 v5, vcc_lo, s17, v5, vcc_lo
	s_delay_alu instid0(VALU_DEP_2) | instskip(NEXT) | instid1(VALU_DEP_2)
	v_add_co_u32 v4, vcc_lo, v4, v16
	v_add_co_ci_u32_e32 v5, vcc_lo, 0, v5, vcc_lo
	flat_load_b128 v[4:7], v[4:5]
	s_waitcnt vmcnt(0) lgkmcnt(0)
	ds_store_b128 v16, v[4:7]
.LBB442_5:
	s_or_b32 exec_lo, exec_lo, s2
	s_waitcnt vmcnt(0)
	v_sub_nc_u32_e32 v4, 0, v1
	v_mul_lo_u32 v5, v17, v2
	v_xor_b32_e32 v3, s1, v3
	s_waitcnt lgkmcnt(0)
	s_waitcnt_vscnt null, 0x0
	s_barrier
	v_max_i32_e32 v48, v1, v4
	buffer_gl0_inv
	v_add_nc_u32_e32 v7, 1, v17
	v_sub_nc_u32_e32 v5, s0, v5
	v_cvt_f32_u32_e32 v4, v48
	s_mov_b32 s0, exec_lo
	s_delay_alu instid0(VALU_DEP_2) | instskip(NEXT) | instid1(VALU_DEP_2)
	v_sub_nc_u32_e32 v19, v5, v2
	v_rcp_iflag_f32_e32 v4, v4
	v_cmp_ge_u32_e32 vcc_lo, v5, v2
	s_delay_alu instid0(VALU_DEP_2) | instskip(SKIP_3) | instid1(VALU_DEP_2)
	v_cndmask_b32_e32 v5, v5, v19, vcc_lo
	s_waitcnt_depctr 0xfff
	v_dual_cndmask_b32 v7, v17, v7 :: v_dual_mul_f32 v4, 0x4f7ffffe, v4
	v_cmp_ge_u32_e32 vcc_lo, v5, v2
	v_cvt_u32_f32_e32 v6, v4
	v_sub_nc_u32_e32 v4, 0, v48
	s_delay_alu instid0(VALU_DEP_1) | instskip(SKIP_2) | instid1(VALU_DEP_1)
	v_mul_lo_u32 v16, v4, v6
	v_add_nc_u32_e32 v4, -1, v38
	v_add_nc_u32_e32 v19, 1, v7
	v_cndmask_b32_e32 v5, v7, v19, vcc_lo
	s_delay_alu instid0(VALU_DEP_4) | instskip(NEXT) | instid1(VALU_DEP_4)
	v_mul_hi_u32 v17, v6, v16
	v_sub_nc_u32_e32 v16, 0, v4
	s_delay_alu instid0(VALU_DEP_3) | instskip(NEXT) | instid1(VALU_DEP_2)
	v_xor_b32_e32 v5, v5, v3
	v_max_i32_e32 v2, v4, v16
                                        ; implicit-def: $vgpr16
	s_delay_alu instid0(VALU_DEP_4) | instskip(NEXT) | instid1(VALU_DEP_1)
	v_add_nc_u32_e32 v49, v6, v17
	v_mad_u64_u32 v[6:7], null, v2, v49, 0
	s_delay_alu instid0(VALU_DEP_4)
	v_sub_nc_u32_e32 v6, v5, v3
	v_cmpx_gt_i32_e32 0, v0
	s_xor_b32 s0, exec_lo, s0
; %bb.6:
	s_delay_alu instid0(VALU_DEP_2) | instskip(NEXT) | instid1(VALU_DEP_1)
	v_mad_u64_u32 v[16:17], null, v28, v12, v[6:7]
                                        ; implicit-def: $vgpr28
	v_mul_lo_u32 v0, v16, v0
	s_delay_alu instid0(VALU_DEP_1)
	v_sub_nc_u32_e32 v16, 1, v0
                                        ; implicit-def: $vgpr0
; %bb.7:
	s_or_saveexec_b32 s0, s0
	v_ashrrev_i32_e32 v3, 31, v4
	v_ashrrev_i32_e32 v50, 31, v1
	s_xor_b32 exec_lo, exec_lo, s0
; %bb.8:
	v_mad_u64_u32 v[4:5], null, s18, v28, s[12:13]
	s_delay_alu instid0(VALU_DEP_1)
	v_mad_u64_u32 v[16:17], null, v4, v0, 1
; %bb.9:
	s_or_b32 exec_lo, exec_lo, s0
	v_mul_lo_u32 v0, v7, v48
	v_dual_mov_b32 v125, 0xff7fffff :: v_dual_add_nc_u32 v4, 1, v7
	s_clause 0x1
	s_load_b32 s15, s[8:9], 0x14
	s_load_b32 s7, s[8:9], 0x8
	v_xor_b32_e32 v3, v3, v50
	v_lshrrev_b32_e32 v12, 5, v31
	s_lshl_b32 s13, s14, 4
	v_mul_lo_u32 v21, v6, v23
	v_sub_nc_u32_e32 v2, v2, v0
	v_mul_lo_u32 v0, s4, v18
	s_add_i32 s0, s13, 16
	v_and_b32_e32 v19, 31, v31
	v_sub_nc_u32_e32 v39, 0, v30
	v_sub_nc_u32_e32 v17, v2, v48
	v_cmp_ge_u32_e32 vcc_lo, v2, v48
	v_add_nc_u32_e32 v1, 31, v38
	s_clause 0x1
	scratch_store_b32 off, v12, s32 offset:604
	scratch_store_b32 off, v19, s32 offset:328
	v_lshl_add_u32 v23, v12, 5, s3
	v_cndmask_b32_e32 v4, v7, v4, vcc_lo
	v_ashrrev_i32_e32 v5, 31, v1
	v_dual_cndmask_b32 v2, v2, v17 :: v_dual_add_nc_u32 v17, s13, v12
	v_ashrrev_i32_e32 v12, 31, v21
	s_delay_alu instid0(VALU_DEP_4) | instskip(NEXT) | instid1(VALU_DEP_4)
	v_add_nc_u32_e32 v7, 1, v4
	v_lshrrev_b32_e32 v5, 27, v5
	s_delay_alu instid0(VALU_DEP_4) | instskip(SKIP_2) | instid1(VALU_DEP_4)
	v_cmp_ge_u32_e32 vcc_lo, v2, v48
	v_ashrrev_i32_e32 v18, 31, v17
	v_lshlrev_b32_e32 v36, 2, v19
	v_dual_cndmask_b32 v2, v4, v7 :: v_dual_add_nc_u32 v1, v1, v5
	s_delay_alu instid0(VALU_DEP_1) | instskip(NEXT) | instid1(VALU_DEP_2)
	v_ashrrev_i32_e32 v37, 5, v1
	v_xor_b32_e32 v2, v2, v3
	v_ashrrev_i32_e32 v1, 31, v0
	s_delay_alu instid0(VALU_DEP_3) | instskip(NEXT) | instid1(VALU_DEP_3)
	v_min_i32_e32 v51, s0, v37
	v_sub_nc_u32_e32 v2, v2, v3
	s_delay_alu instid0(VALU_DEP_3) | instskip(NEXT) | instid1(VALU_DEP_3)
	v_lshlrev_b64 v[68:69], 2, v[0:1]
	v_cmp_lt_i32_e64 s0, v17, v51
	s_delay_alu instid0(VALU_DEP_3) | instskip(NEXT) | instid1(VALU_DEP_2)
	v_sub_nc_u32_e32 v52, v2, v29
	s_and_saveexec_b32 s19, s0
	s_cbranch_execz .LBB442_1361
; %bb.10:
	v_mov_b32_e32 v20, 0
	s_clause 0x7
	scratch_store_b32 off, v37, s32 offset:668
	scratch_store_b32 off, v35, s32 offset:652
	;; [unrolled: 1-line block ×8, first 2 shown]
	v_max_i32_e32 v94, v30, v39
	s_getpc_b64 s[8:9]
	s_add_u32 s8, s8, llvm.amdgcn.dynlds.offset.table@rel32@lo+4
	s_addc_u32 s9, s9, llvm.amdgcn.dynlds.offset.table@rel32@hi+12
	s_ashr_i32 s11, s10, 31
	ds_load_b128 v[0:3], v20
	ds_load_b128 v[4:7], v20 offset:16
	ds_load_b128 v[64:67], v20 offset:32
	;; [unrolled: 1-line block ×3, first 2 shown]
	s_lshl_b64 s[16:17], s[10:11], 2
	s_mov_b32 s20, 0
	s_add_u32 s8, s16, s8
	s_addc_u32 s9, s17, s9
	s_mov_b32 s16, -1
	s_mov_b32 s17, 0xffffff
	v_mov_b32_e32 v125, 0xff7fffff
	v_dual_mov_b32 v153, v17 :: v_dual_mov_b32 v152, 0xff7fffff
	s_waitcnt lgkmcnt(0)
	v_lshlrev_b32_e32 v10, 16, v0
	v_and_b32_e32 v0, 0xffff0000, v0
	scratch_store_b32 off, v10, s32 offset:332 ; 4-byte Folded Spill
	v_and_b32_e32 v10, 0xffff0000, v67
	scratch_store_b32 off, v0, s32 offset:336 ; 4-byte Folded Spill
	v_lshlrev_b32_e32 v0, 16, v1
	scratch_store_b32 off, v10, s32 offset:424 ; 4-byte Folded Spill
	v_lshlrev_b32_e32 v10, 16, v32
	scratch_store_b32 off, v0, s32 offset:340 ; 4-byte Folded Spill
	v_and_b32_e32 v0, 0xffff0000, v1
	scratch_store_b32 off, v10, s32 offset:428 ; 4-byte Folded Spill
	v_and_b32_e32 v10, 0xffff0000, v32
	scratch_store_b32 off, v0, s32 offset:344 ; 4-byte Folded Spill
	v_lshlrev_b32_e32 v0, 16, v2
	scratch_store_b32 off, v10, s32 offset:432 ; 4-byte Folded Spill
	v_lshlrev_b32_e32 v10, 16, v33
	scratch_store_b32 off, v0, s32 offset:348 ; 4-byte Folded Spill
	;; [unrolled: 8-line block ×4, first 2 shown]
	v_and_b32_e32 v0, 0xffff0000, v4
	v_and_b32_e32 v4, 0xffff0000, v7
	scratch_store_b32 off, v10, s32 offset:452 ; 4-byte Folded Spill
	v_and_b32_e32 v10, 0xffff0000, v35
	s_clause 0x1
	scratch_store_b32 off, v0, s32 offset:368
	scratch_store_b32 off, v4, s32 offset:392
	v_lshlrev_b32_e32 v0, 16, v5
	v_lshlrev_b32_e32 v4, 16, v64
	scratch_store_b32 off, v10, s32 offset:456 ; 4-byte Folded Spill
	ds_load_b128 v[32:35], v20 offset:112
	s_clause 0x1
	scratch_store_b32 off, v0, s32 offset:372
	scratch_store_b32 off, v4, s32 offset:396
	v_and_b32_e32 v0, 0xffff0000, v5
	v_and_b32_e32 v4, 0xffff0000, v64
	s_clause 0x1
	scratch_store_b32 off, v0, s32 offset:376
	scratch_store_b32 off, v4, s32 offset:400
	v_lshlrev_b32_e32 v0, 16, v6
	v_lshlrev_b32_e32 v4, 16, v65
	s_clause 0x1
	scratch_store_b32 off, v0, s32 offset:380
	scratch_store_b32 off, v4, s32 offset:404
	v_and_b32_e32 v0, 0xffff0000, v6
	v_and_b32_e32 v4, 0xffff0000, v65
	s_clause 0x1
	scratch_store_b32 off, v0, s32 offset:384
	scratch_store_b32 off, v4, s32 offset:408
	v_lshlrev_b32_e32 v0, 16, v7
	v_lshlrev_b32_e32 v4, 16, v66
	s_clause 0x1
	scratch_store_b32 off, v0, s32 offset:388
	scratch_store_b32 off, v4, s32 offset:412
	ds_load_b128 v[0:3], v20 offset:64
	v_and_b32_e32 v4, 0xffff0000, v66
	scratch_store_b32 off, v4, s32 offset:416 ; 4-byte Folded Spill
	v_lshlrev_b32_e32 v4, 16, v67
	ds_load_b128 v[64:67], v20 offset:96
	scratch_store_b32 off, v4, s32 offset:420 ; 4-byte Folded Spill
	ds_load_b128 v[4:7], v20 offset:80
	s_waitcnt lgkmcnt(2)
	v_lshlrev_b32_e32 v10, 16, v0
	v_and_b32_e32 v0, 0xffff0000, v0
	scratch_store_b32 off, v10, s32 offset:460 ; 4-byte Folded Spill
	s_waitcnt lgkmcnt(1)
	v_and_b32_e32 v10, 0xffff0000, v67
	scratch_store_b32 off, v0, s32 offset:464 ; 4-byte Folded Spill
	v_lshlrev_b32_e32 v0, 16, v1
	scratch_store_b32 off, v10, s32 offset:552 ; 4-byte Folded Spill
	v_lshlrev_b32_e32 v10, 16, v32
	scratch_store_b32 off, v0, s32 offset:468 ; 4-byte Folded Spill
	v_and_b32_e32 v0, 0xffff0000, v1
	scratch_store_b32 off, v10, s32 offset:556 ; 4-byte Folded Spill
	v_and_b32_e32 v10, 0xffff0000, v32
	scratch_store_b32 off, v0, s32 offset:472 ; 4-byte Folded Spill
	v_lshlrev_b32_e32 v0, 16, v2
	scratch_store_b32 off, v10, s32 offset:560 ; 4-byte Folded Spill
	v_lshlrev_b32_e32 v10, 16, v33
	scratch_store_b32 off, v0, s32 offset:476 ; 4-byte Folded Spill
	v_and_b32_e32 v0, 0xffff0000, v2
	scratch_store_b32 off, v10, s32 offset:564 ; 4-byte Folded Spill
	;; [unrolled: 8-line block ×3, first 2 shown]
	v_and_b32_e32 v10, 0xffff0000, v34
	scratch_store_b32 off, v0, s32 offset:488 ; 4-byte Folded Spill
	s_waitcnt lgkmcnt(0)
	v_lshlrev_b32_e32 v0, 16, v4
	scratch_store_b32 off, v10, s32 offset:576 ; 4-byte Folded Spill
	v_lshlrev_b32_e32 v10, 16, v35
	scratch_store_b32 off, v0, s32 offset:492 ; 4-byte Folded Spill
	v_and_b32_e32 v0, 0xffff0000, v4
	v_and_b32_e32 v4, 0xffff0000, v7
	scratch_store_b32 off, v10, s32 offset:580 ; 4-byte Folded Spill
	v_and_b32_e32 v10, 0xffff0000, v35
	s_clause 0x1
	scratch_store_b32 off, v0, s32 offset:496
	scratch_store_b32 off, v4, s32 offset:520
	v_lshlrev_b32_e32 v0, 16, v5
	v_lshlrev_b32_e32 v4, 16, v64
	s_clause 0x2
	scratch_store_b32 off, v10, s32 offset:584
	scratch_store_b32 off, v0, s32 offset:500
	;; [unrolled: 1-line block ×3, first 2 shown]
	v_and_b32_e32 v0, 0xffff0000, v5
	v_and_b32_e32 v4, 0xffff0000, v64
	s_clause 0x1
	scratch_store_b32 off, v0, s32 offset:504
	scratch_store_b32 off, v4, s32 offset:528
	v_lshlrev_b32_e32 v0, 16, v6
	v_lshlrev_b32_e32 v4, 16, v65
	s_clause 0x1
	scratch_store_b32 off, v0, s32 offset:508
	scratch_store_b32 off, v4, s32 offset:532
	v_and_b32_e32 v0, 0xffff0000, v6
	v_and_b32_e32 v4, 0xffff0000, v65
	s_clause 0x1
	scratch_store_b32 off, v0, s32 offset:512
	scratch_store_b32 off, v4, s32 offset:536
	v_lshlrev_b32_e32 v0, 16, v7
	v_lshlrev_b32_e32 v4, 16, v66
	s_clause 0x1
	scratch_store_b32 off, v0, s32 offset:516
	scratch_store_b32 off, v4, s32 offset:540
	ds_load_b128 v[0:3], v20 offset:128
	v_and_b32_e32 v4, 0xffff0000, v66
	scratch_store_b32 off, v4, s32 offset:544 ; 4-byte Folded Spill
	v_lshlrev_b32_e32 v4, 16, v67
	scratch_store_b32 off, v4, s32 offset:548 ; 4-byte Folded Spill
	ds_load_b128 v[4:7], v20 offset:144
	s_waitcnt lgkmcnt(1)
	v_lshlrev_b32_e32 v10, 16, v0
	v_and_b32_e32 v0, 0xffff0000, v0
	v_lshlrev_b32_e32 v46, 16, v2
	v_and_b32_e32 v47, 0xffff0000, v2
	v_lshlrev_b32_e32 v56, 16, v3
	s_clause 0x1
	scratch_store_b32 off, v10, s32 offset:588
	scratch_store_b32 off, v0, s32 offset:592
	v_lshlrev_b32_e32 v0, 16, v1
	v_and_b32_e32 v57, 0xffff0000, v3
	ds_load_b128 v[64:67], v20 offset:160
	ds_load_b128 v[32:35], v20 offset:176
	v_cvt_f32_u32_e32 v10, v94
	scratch_store_b32 off, v0, s32 offset:596 ; 4-byte Folded Spill
	v_and_b32_e32 v0, 0xffff0000, v1
	s_waitcnt lgkmcnt(2)
	v_lshlrev_b32_e32 v58, 16, v4
	v_and_b32_e32 v59, 0xffff0000, v4
	v_lshlrev_b32_e32 v60, 16, v5
	v_and_b32_e32 v61, 0xffff0000, v5
	scratch_store_b32 off, v0, s32 offset:600 ; 4-byte Folded Spill
	v_lshlrev_b32_e32 v62, 16, v6
	v_and_b32_e32 v63, 0xffff0000, v6
	v_lshlrev_b32_e32 v72, 16, v7
	v_and_b32_e32 v73, 0xffff0000, v7
	ds_load_b128 v[0:3], v20 offset:192
	ds_load_b128 v[4:7], v20 offset:208
	s_clause 0x1
	scratch_store_b32 off, v30, s32 offset:628
	scratch_store_b32 off, v39, s32 offset:672
	s_load_b32 s11, s[8:9], 0x0
	s_clause 0x2
	scratch_store_b32 off, v21, s32 offset:664
	scratch_store_b32 off, v12, s32 offset:676
	;; [unrolled: 1-line block ×3, first 2 shown]
	s_waitcnt lgkmcnt(0)
	v_lshlrev_b32_e32 v74, 16, v64
	v_and_b32_e32 v75, 0xffff0000, v64
	v_lshlrev_b32_e32 v76, 16, v65
	v_and_b32_e32 v77, 0xffff0000, v65
	;; [unrolled: 2-line block ×6, first 2 shown]
	v_and_b32_e32 v104, 0xffff0000, v34
	v_lshlrev_b32_e32 v107, 16, v0
	v_lshlrev_b32_e32 v136, 16, v6
	v_and_b32_e32 v137, 0xffff0000, v6
	scratch_load_b32 v6, off, s32 offset:328 ; 4-byte Folded Reload
	v_and_b32_e32 v108, 0xffff0000, v0
	v_rcp_iflag_f32_e32 v0, v10
	v_lshlrev_b32_e32 v95, 16, v34
	v_lshlrev_b32_e32 v109, 16, v1
	v_and_b32_e32 v110, 0xffff0000, v1
	v_lshlrev_b32_e32 v111, 16, v2
	v_and_b32_e32 v120, 0xffff0000, v2
	;; [unrolled: 2-line block ×3, first 2 shown]
	v_add_co_u32 v3, vcc_lo, v8, v21
	s_delay_alu instid0(TRANS32_DEP_1) | instskip(SKIP_3) | instid1(VALU_DEP_4)
	v_mul_f32_e32 v0, 0x4f7ffffe, v0
	v_lshlrev_b32_e32 v123, 16, v4
	v_and_b32_e32 v124, 0xffff0000, v4
	v_add_co_ci_u32_e32 v4, vcc_lo, v9, v12, vcc_lo
	v_cvt_u32_f32_e32 v2, v0
	v_sub_nc_u32_e32 v0, 0, v94
	v_lshlrev_b32_e32 v126, 16, v5
	v_and_b32_e32 v127, 0xffff0000, v5
	v_lshlrev_b32_e32 v105, 16, v35
	v_and_b32_e32 v106, 0xffff0000, v35
	v_mul_lo_u32 v5, v0, v2
	v_lshlrev_b32_e32 v138, 16, v7
	v_and_b32_e32 v139, 0xffff0000, v7
	s_clause 0x2
	scratch_store_b64 off, v[68:69], s32 offset:656
	scratch_store_b32 off, v14, s32 offset:624
	scratch_store_b32 off, v15, s32 offset:620
	s_waitcnt vmcnt(0)
	v_lshlrev_b32_e32 v1, 4, v6
	s_delay_alu instid0(VALU_DEP_1) | instskip(SKIP_3) | instid1(VALU_DEP_3)
	v_add_co_u32 v8, vcc_lo, v3, v1
	v_lshlrev_b64 v[0:1], 2, v[17:18]
	v_add_co_ci_u32_e32 v9, vcc_lo, 0, v4, vcc_lo
	v_mul_hi_u32 v3, v2, v5
	v_add_co_u32 v0, vcc_lo, v68, v0
	s_delay_alu instid0(VALU_DEP_4) | instskip(NEXT) | instid1(VALU_DEP_2)
	v_add_co_ci_u32_e32 v1, vcc_lo, v69, v1, vcc_lo
	v_add_co_u32 v28, vcc_lo, v14, v0
	scratch_load_b32 v0, off, s32 offset:604 ; 4-byte Folded Reload
	v_add_nc_u32_e32 v140, v2, v3
	v_sub_nc_u32_e32 v2, v6, v38
	v_add_co_ci_u32_e32 v29, vcc_lo, v15, v1, vcc_lo
	v_cmp_neq_f32_e32 vcc_lo, 0, v53
	s_delay_alu instid0(VALU_DEP_3)
	v_add_nc_u32_e32 v141, 1, v2
	s_waitcnt vmcnt(0)
	v_lshl_add_u32 v142, v0, 5, s3
	v_lshl_or_b32 v143, v0, 7, v36
	s_branch .LBB442_13
.LBB442_11:                             ;   in Loop: Header=BB442_13 Depth=1
	s_or_b32 exec_lo, exec_lo, s21
	scratch_load_b32 v34, off, s32 offset:364 ; 4-byte Folded Reload
	v_and_b32_e32 v31, 0xffff0000, v171
	v_and_b32_e32 v32, 0xffff0000, v154
	;; [unrolled: 1-line block ×6, first 2 shown]
	s_load_b32 s21, s[8:9], 0x0
	scratch_load_b32 v44, off, s32 offset:388 ; 4-byte Folded Reload
	v_and_b32_e32 v1, 0xffff0000, v1
	scratch_load_b32 v45, off, s32 offset:392 ; 4-byte Folded Reload
	s_waitcnt vmcnt(2)
	v_mul_f32_e32 v171, v34, v31
	s_clause 0x1
	scratch_load_b32 v31, off, s32 offset:332
	scratch_load_b32 v34, off, s32 offset:368
	s_waitcnt vmcnt(1)
	v_fmac_f32_e32 v171, v31, v32
	v_and_b32_e32 v31, 0xffff0000, v172
	v_and_b32_e32 v32, 0xffff0000, v156
	s_waitcnt vmcnt(0)
	s_delay_alu instid0(VALU_DEP_2)
	v_mul_f32_e32 v172, v34, v31
	s_clause 0x1
	scratch_load_b32 v31, off, s32 offset:336
	scratch_load_b32 v34, off, s32 offset:372
	s_waitcnt vmcnt(1)
	v_dual_fmac_f32 v172, v31, v32 :: v_dual_and_b32 v31, 0xffff0000, v173
	v_and_b32_e32 v32, 0xffff0000, v157
	s_waitcnt vmcnt(0)
	s_delay_alu instid0(VALU_DEP_2)
	v_mul_f32_e32 v156, v34, v31
	s_clause 0x1
	scratch_load_b32 v31, off, s32 offset:340
	scratch_load_b32 v34, off, s32 offset:376
	s_waitcnt vmcnt(1)
	v_dual_fmac_f32 v156, v31, v32 :: v_dual_and_b32 v31, 0xffff0000, v174
	s_waitcnt vmcnt(0)
	s_delay_alu instid0(VALU_DEP_1)
	v_dual_mul_f32 v155, v34, v31 :: v_dual_and_b32 v32, 0xffff0000, v158
	s_clause 0x1
	scratch_load_b32 v31, off, s32 offset:344
	scratch_load_b32 v34, off, s32 offset:380
	s_waitcnt vmcnt(1)
	v_dual_fmac_f32 v155, v31, v32 :: v_dual_and_b32 v32, 0xffff0000, v159
	v_and_b32_e32 v31, 0xffff0000, v175
	s_waitcnt vmcnt(0)
	s_delay_alu instid0(VALU_DEP_1)
	v_mul_f32_e32 v154, v34, v31
	s_clause 0x1
	scratch_load_b32 v31, off, s32 offset:348
	scratch_load_b32 v34, off, s32 offset:384
	s_waitcnt vmcnt(1)
	v_fmac_f32_e32 v154, v31, v32
	v_and_b32_e32 v31, 0xffff0000, v184
	v_and_b32_e32 v32, 0xffff0000, v168
	s_waitcnt vmcnt(0)
	s_delay_alu instid0(VALU_DEP_2) | instskip(SKIP_3) | instid1(VALU_DEP_1)
	v_mul_f32_e32 v34, v34, v31
	scratch_load_b32 v31, off, s32 offset:352 ; 4-byte Folded Reload
	s_waitcnt vmcnt(0)
	v_dual_fmac_f32 v34, v31, v32 :: v_dual_and_b32 v31, 0xffff0000, v185
	v_dual_mul_f32 v31, v44, v31 :: v_dual_and_b32 v32, 0xffff0000, v169
	scratch_load_b32 v44, off, s32 offset:356 ; 4-byte Folded Reload
	s_waitcnt vmcnt(0)
	v_dual_fmac_f32 v31, v44, v32 :: v_dual_and_b32 v32, 0xffff0000, v186
	v_and_b32_e32 v44, 0xffff0000, v170
	s_delay_alu instid0(VALU_DEP_2)
	v_mul_f32_e32 v32, v45, v32
	scratch_load_b32 v45, off, s32 offset:360 ; 4-byte Folded Reload
	s_waitcnt vmcnt(0)
	v_fmac_f32_e32 v32, v45, v44
	scratch_load_b32 v45, off, s32 offset:396 ; 4-byte Folded Reload
	v_and_b32_e32 v44, 0xffff0000, v187
	s_waitcnt vmcnt(0)
	s_delay_alu instid0(VALU_DEP_1) | instskip(SKIP_3) | instid1(VALU_DEP_1)
	v_fmac_f32_e32 v171, v45, v44
	scratch_load_b32 v45, off, s32 offset:400 ; 4-byte Folded Reload
	v_and_b32_e32 v44, 0xffff0000, v188
	s_waitcnt vmcnt(0)
	v_fmac_f32_e32 v172, v45, v44
	scratch_load_b32 v45, off, s32 offset:404 ; 4-byte Folded Reload
	v_and_b32_e32 v44, 0xffff0000, v189
	s_waitcnt vmcnt(0)
	s_delay_alu instid0(VALU_DEP_1) | instskip(SKIP_3) | instid1(VALU_DEP_1)
	v_fmac_f32_e32 v156, v45, v44
	scratch_load_b32 v45, off, s32 offset:408 ; 4-byte Folded Reload
	v_and_b32_e32 v44, 0xffff0000, v190
	s_waitcnt vmcnt(0)
	v_fmac_f32_e32 v155, v45, v44
	scratch_load_b32 v45, off, s32 offset:412 ; 4-byte Folded Reload
	v_and_b32_e32 v44, 0xffff0000, v191
	s_waitcnt vmcnt(0)
	s_delay_alu instid0(VALU_DEP_1)
	v_fmac_f32_e32 v154, v45, v44
	scratch_load_b32 v44, off, s32 offset:416 ; 4-byte Folded Reload
	s_waitcnt vmcnt(0)
	v_fmac_f32_e32 v34, v44, v67
	scratch_load_b32 v67, off, s32 offset:420 ; 4-byte Folded Reload
	s_waitcnt vmcnt(0)
	;; [unrolled: 3-line block ×3, first 2 shown]
	v_fmac_f32_e32 v32, v5, v4
	scratch_load_b32 v5, off, s32 offset:428 ; 4-byte Folded Reload
	v_and_b32_e32 v4, 0xffff0000, v68
	s_waitcnt vmcnt(0)
	s_delay_alu instid0(VALU_DEP_1) | instskip(SKIP_3) | instid1(VALU_DEP_1)
	v_fmac_f32_e32 v171, v5, v4
	scratch_load_b32 v5, off, s32 offset:432 ; 4-byte Folded Reload
	v_and_b32_e32 v4, 0xffff0000, v66
	s_waitcnt vmcnt(0)
	v_fmac_f32_e32 v172, v5, v4
	scratch_load_b32 v5, off, s32 offset:436 ; 4-byte Folded Reload
	v_and_b32_e32 v4, 0xffff0000, v54
	s_waitcnt vmcnt(0)
	s_delay_alu instid0(VALU_DEP_1) | instskip(SKIP_3) | instid1(VALU_DEP_1)
	v_fmac_f32_e32 v156, v5, v4
	scratch_load_b32 v5, off, s32 offset:440 ; 4-byte Folded Reload
	v_and_b32_e32 v4, 0xffff0000, v21
	s_waitcnt vmcnt(0)
	;; [unrolled: 9-line block ×6, first 2 shown]
	v_fmac_f32_e32 v155, v5, v4
	scratch_load_b32 v4, off, s32 offset:476 ; 4-byte Folded Reload
	s_waitcnt vmcnt(0)
	v_fmac_f32_e32 v154, v4, v1
	scratch_load_b32 v1, off, s32 offset:480 ; 4-byte Folded Reload
	s_waitcnt vmcnt(0)
	v_fmac_f32_e32 v34, v1, v0
	scratch_load_b32 v1, off, s32 offset:484 ; 4-byte Folded Reload
	v_and_b32_e32 v0, 0xffff0000, v3
	s_waitcnt vmcnt(0)
	s_delay_alu instid0(VALU_DEP_1) | instskip(SKIP_3) | instid1(VALU_DEP_1)
	v_fmac_f32_e32 v31, v1, v0
	scratch_load_b32 v1, off, s32 offset:488 ; 4-byte Folded Reload
	v_and_b32_e32 v0, 0xffff0000, v2
	s_waitcnt vmcnt(0)
	v_fmac_f32_e32 v32, v1, v0
	scratch_load_b32 v1, off, s32 offset:492 ; 4-byte Folded Reload
	v_and_b32_e32 v0, 0xffff0000, v15
	s_waitcnt vmcnt(0)
	s_delay_alu instid0(VALU_DEP_1) | instskip(SKIP_3) | instid1(VALU_DEP_1)
	v_fmac_f32_e32 v171, v1, v0
	scratch_load_b32 v1, off, s32 offset:496 ; 4-byte Folded Reload
	v_and_b32_e32 v0, 0xffff0000, v14
	;; [unrolled: 9-line block ×15, first 2 shown]
	s_waitcnt vmcnt(0)
	v_fmac_f32_e32 v155, v1, v0
	v_and_b32_e32 v0, 0xffff0000, v116
	s_delay_alu instid0(VALU_DEP_1) | instskip(SKIP_1) | instid1(VALU_DEP_1)
	v_dual_fmac_f32 v154, v46, v0 :: v_dual_and_b32 v1, 0xffff0000, v150
	v_and_b32_e32 v0, 0xffff0000, v117
	v_fmac_f32_e32 v34, v47, v0
	v_and_b32_e32 v0, 0xffff0000, v118
	s_delay_alu instid0(VALU_DEP_1) | instskip(NEXT) | instid1(VALU_DEP_1)
	v_dual_fmac_f32 v31, v56, v0 :: v_dual_and_b32 v0, 0xffff0000, v119
	v_fmac_f32_e32 v32, v57, v0
	v_and_b32_e32 v0, 0xffff0000, v128
	s_delay_alu instid0(VALU_DEP_1) | instskip(NEXT) | instid1(VALU_DEP_1)
	v_dual_fmac_f32 v171, v58, v0 :: v_dual_and_b32 v0, 0xffff0000, v129
	v_fmac_f32_e32 v172, v59, v0
	v_and_b32_e32 v0, 0xffff0000, v130
	s_delay_alu instid0(VALU_DEP_1) | instskip(SKIP_1) | instid1(VALU_DEP_1)
	v_fmac_f32_e32 v156, v60, v0
	v_and_b32_e32 v0, 0xffff0000, v131
	v_fmac_f32_e32 v155, v61, v0
	v_and_b32_e32 v0, 0xffff0000, v132
	s_delay_alu instid0(VALU_DEP_1) | instskip(SKIP_1) | instid1(VALU_DEP_1)
	v_fmac_f32_e32 v154, v62, v0
	v_and_b32_e32 v0, 0xffff0000, v144
	v_dual_fmac_f32 v171, v74, v0 :: v_dual_and_b32 v0, 0xffff0000, v145
	s_delay_alu instid0(VALU_DEP_1) | instskip(SKIP_1) | instid1(VALU_DEP_1)
	v_fmac_f32_e32 v172, v75, v0
	v_and_b32_e32 v0, 0xffff0000, v133
	v_fmac_f32_e32 v34, v63, v0
	v_and_b32_e32 v0, 0xffff0000, v134
	s_delay_alu instid0(VALU_DEP_1) | instskip(NEXT) | instid1(VALU_DEP_1)
	v_dual_fmac_f32 v31, v72, v0 :: v_dual_and_b32 v0, 0xffff0000, v146
	v_fmac_f32_e32 v31, v88, v1
	s_delay_alu instid0(VALU_DEP_2) | instskip(SKIP_2) | instid1(VALU_DEP_2)
	v_fmac_f32_e32 v156, v76, v0
	v_and_b32_e32 v0, 0xffff0000, v160
	v_and_b32_e32 v1, 0xffff0000, v165
	v_dual_fmac_f32 v171, v90, v0 :: v_dual_and_b32 v0, 0xffff0000, v161
	s_delay_alu instid0(VALU_DEP_1) | instskip(SKIP_1) | instid1(VALU_DEP_1)
	v_fmac_f32_e32 v172, v91, v0
	v_and_b32_e32 v0, 0xffff0000, v135
	v_fmac_f32_e32 v32, v73, v0
	v_and_b32_e32 v0, 0xffff0000, v147
	s_delay_alu instid0(VALU_DEP_1) | instskip(NEXT) | instid1(VALU_DEP_1)
	v_dual_fmac_f32 v155, v77, v0 :: v_dual_and_b32 v0, 0xffff0000, v162
	v_fmac_f32_e32 v156, v92, v0
	v_and_b32_e32 v0, 0xffff0000, v176
	s_delay_alu instid0(VALU_DEP_1) | instskip(NEXT) | instid1(VALU_DEP_1)
	v_dual_fmac_f32 v171, v107, v0 :: v_dual_and_b32 v0, 0xffff0000, v177
	v_fmac_f32_e32 v172, v108, v0
	v_and_b32_e32 v0, 0xffff0000, v148
	s_delay_alu instid0(VALU_DEP_1) | instskip(SKIP_1) | instid1(VALU_DEP_1)
	v_fmac_f32_e32 v154, v78, v0
	v_and_b32_e32 v0, 0xffff0000, v163
	v_dual_fmac_f32 v155, v93, v0 :: v_dual_and_b32 v0, 0xffff0000, v178
	s_delay_alu instid0(VALU_DEP_1) | instskip(SKIP_1) | instid1(VALU_DEP_1)
	v_fmac_f32_e32 v156, v109, v0
	v_and_b32_e32 v0, 0xffff0000, v182
	v_dual_fmac_f32 v171, v123, v0 :: v_dual_and_b32 v0, 0xffff0000, v183
	s_delay_alu instid0(VALU_DEP_1) | instskip(SKIP_1) | instid1(VALU_DEP_1)
	v_fmac_f32_e32 v172, v124, v0
	v_and_b32_e32 v0, 0xffff0000, v149
	v_fmac_f32_e32 v34, v79, v0
	v_and_b32_e32 v0, 0xffff0000, v164
	s_delay_alu instid0(VALU_DEP_2) | instskip(NEXT) | instid1(VALU_DEP_2)
	v_fmac_f32_e32 v34, v104, v1
	v_fmac_f32_e32 v154, v95, v0
	v_and_b32_e32 v0, 0xffff0000, v179
	v_and_b32_e32 v1, 0xffff0000, v180
	s_delay_alu instid0(VALU_DEP_1) | instskip(SKIP_1) | instid1(VALU_DEP_1)
	v_dual_fmac_f32 v155, v110, v0 :: v_dual_fmac_f32 v154, v111, v1
	v_and_b32_e32 v1, 0xffff0000, v41
	v_dual_fmac_f32 v155, v127, v1 :: v_dual_and_b32 v0, 0xffff0000, v40
	s_delay_alu instid0(VALU_DEP_1) | instskip(SKIP_1) | instid1(VALU_DEP_2)
	v_dual_fmac_f32 v156, v126, v0 :: v_dual_and_b32 v1, 0xffff0000, v151
	v_add_f32_e32 v0, v171, v172
	v_dual_fmac_f32 v32, v89, v1 :: v_dual_and_b32 v1, 0xffff0000, v166
	s_delay_alu instid0(VALU_DEP_1) | instskip(NEXT) | instid1(VALU_DEP_1)
	v_dual_add_f32 v0, v0, v156 :: v_dual_fmac_f32 v31, v105, v1
	v_dual_add_f32 v0, v155, v0 :: v_dual_and_b32 v1, 0xffff0000, v181
	s_delay_alu instid0(VALU_DEP_1) | instskip(NEXT) | instid1(VALU_DEP_1)
	v_dual_fmac_f32 v34, v120, v1 :: v_dual_and_b32 v1, 0xffff0000, v42
	v_dual_fmac_f32 v154, v136, v1 :: v_dual_and_b32 v1, 0xffff0000, v167
	s_delay_alu instid0(VALU_DEP_1) | instskip(NEXT) | instid1(VALU_DEP_2)
	v_add_f32_e32 v0, v154, v0
	v_dual_fmac_f32 v32, v106, v1 :: v_dual_and_b32 v1, 0xffff0000, v35
	s_delay_alu instid0(VALU_DEP_1) | instskip(SKIP_1) | instid1(VALU_DEP_1)
	v_fmac_f32_e32 v31, v121, v1
	v_and_b32_e32 v1, 0xffff0000, v43
	v_dual_fmac_f32 v34, v137, v1 :: v_dual_and_b32 v1, 0xffff0000, v36
	s_delay_alu instid0(VALU_DEP_1) | instskip(NEXT) | instid1(VALU_DEP_2)
	v_add_f32_e32 v0, v34, v0
	v_fmac_f32_e32 v32, v122, v1
	v_and_b32_e32 v1, 0xffff0000, v33
	s_delay_alu instid0(VALU_DEP_1) | instskip(NEXT) | instid1(VALU_DEP_1)
	v_fmac_f32_e32 v31, v138, v1
	v_dual_add_f32 v0, v31, v0 :: v_dual_and_b32 v1, 0xffff0000, v19
	s_delay_alu instid0(VALU_DEP_1) | instskip(NEXT) | instid1(VALU_DEP_1)
	v_dual_fmac_f32 v32, v139, v1 :: v_dual_add_nc_u32 v1, v141, v142
	v_add_f32_e32 v0, v32, v0
	s_delay_alu instid0(VALU_DEP_2) | instskip(NEXT) | instid1(VALU_DEP_1)
	v_cvt_f32_i32_e32 v1, v1
	v_mul_f32_e32 v1, v53, v1
	s_delay_alu instid0(VALU_DEP_1) | instskip(NEXT) | instid1(VALU_DEP_1)
	v_cndmask_b32_e32 v1, 0, v1, vcc_lo
	v_fmac_f32_e32 v1, v0, v13
	scratch_load_b32 v0, off, s32 offset:328 ; 4-byte Folded Reload
	s_waitcnt vmcnt(0)
	v_add_nc_u32_e32 v0, v0, v142
	s_delay_alu instid0(VALU_DEP_1) | instskip(SKIP_2) | instid1(VALU_DEP_2)
	v_cmp_lt_i32_e64 s1, v0, v38
	s_waitcnt lgkmcnt(0)
	v_add_nc_u32_e32 v0, s21, v143
	v_cndmask_b32_e64 v2, 0, v1, s1
	ds_store_b32 v0, v2
	v_max_f32_e32 v0, v125, v125
	s_delay_alu instid0(VALU_DEP_1) | instskip(NEXT) | instid1(VALU_DEP_1)
	v_max_f32_e32 v0, v0, v1
	v_cndmask_b32_e64 v125, v125, v0, s1
.LBB442_12:                             ;   in Loop: Header=BB442_13 Depth=1
	s_or_b32 exec_lo, exec_lo, s2
	v_add_nc_u32_e32 v153, 4, v153
	v_add_co_u32 v28, s2, v28, 16
	s_delay_alu instid0(VALU_DEP_1) | instskip(NEXT) | instid1(VALU_DEP_3)
	v_add_co_ci_u32_e64 v29, s2, 0, v29, s2
	v_cmp_ge_i32_e64 s1, v153, v51
	v_add_nc_u32_e32 v142, 0x80, v142
	v_add_nc_u32_e32 v143, 0x200, v143
	s_delay_alu instid0(VALU_DEP_3) | instskip(NEXT) | instid1(SALU_CYCLE_1)
	s_or_b32 s20, s1, s20
	s_and_not1_b32 exec_lo, exec_lo, s20
	s_cbranch_execz .LBB442_1360
.LBB442_13:                             ; =>This Inner Loop Header: Depth=1
	s_delay_alu instid0(VALU_DEP_2) | instskip(NEXT) | instid1(VALU_DEP_1)
	v_sub_nc_u32_e32 v0, 0, v142
	v_max_i32_e32 v0, v142, v0
	s_delay_alu instid0(VALU_DEP_1) | instskip(NEXT) | instid1(VALU_DEP_1)
	v_mul_hi_u32 v1, v0, v49
	v_mul_lo_u32 v2, v1, v48
	s_delay_alu instid0(VALU_DEP_1) | instskip(SKIP_1) | instid1(VALU_DEP_2)
	v_sub_nc_u32_e32 v0, v0, v2
	v_add_nc_u32_e32 v2, 1, v1
	v_sub_nc_u32_e32 v3, v0, v48
	v_cmp_ge_u32_e64 s1, v0, v48
	s_delay_alu instid0(VALU_DEP_1) | instskip(NEXT) | instid1(VALU_DEP_3)
	v_cndmask_b32_e64 v1, v1, v2, s1
	v_cndmask_b32_e64 v0, v0, v3, s1
	v_ashrrev_i32_e32 v2, 31, v142
	s_delay_alu instid0(VALU_DEP_3) | instskip(NEXT) | instid1(VALU_DEP_3)
	v_add_nc_u32_e32 v3, 1, v1
	v_cmp_ge_u32_e64 s1, v0, v48
	s_delay_alu instid0(VALU_DEP_3) | instskip(NEXT) | instid1(VALU_DEP_2)
	v_xor_b32_e32 v2, v2, v50
	v_cndmask_b32_e64 v0, v1, v3, s1
	s_delay_alu instid0(VALU_DEP_1) | instskip(NEXT) | instid1(VALU_DEP_1)
	v_xor_b32_e32 v0, v0, v2
	v_sub_nc_u32_e32 v0, v0, v2
	s_delay_alu instid0(VALU_DEP_1) | instskip(SKIP_1) | instid1(VALU_DEP_2)
	v_add_nc_u32_e32 v1, v0, v16
	v_cmp_le_i32_e64 s2, v0, v52
	v_sub_nc_u32_e32 v2, 0, v1
	s_delay_alu instid0(VALU_DEP_1) | instskip(SKIP_1) | instid1(VALU_DEP_2)
	v_max_i32_e32 v2, v1, v2
	v_ashrrev_i32_e32 v1, 31, v1
	v_mul_hi_u32 v3, v2, v140
	s_delay_alu instid0(VALU_DEP_1) | instskip(NEXT) | instid1(VALU_DEP_1)
	v_mul_lo_u32 v3, v3, v94
	v_sub_nc_u32_e32 v2, v2, v3
	s_delay_alu instid0(VALU_DEP_1) | instskip(SKIP_1) | instid1(VALU_DEP_1)
	v_sub_nc_u32_e32 v3, v2, v94
	v_cmp_ge_u32_e64 s1, v2, v94
	v_cndmask_b32_e64 v2, v2, v3, s1
	s_delay_alu instid0(VALU_DEP_1) | instskip(SKIP_1) | instid1(VALU_DEP_1)
	v_sub_nc_u32_e32 v3, v2, v94
	v_cmp_ge_u32_e64 s1, v2, v94
	v_cndmask_b32_e64 v2, v2, v3, s1
	s_delay_alu instid0(VALU_DEP_1) | instskip(NEXT) | instid1(VALU_DEP_1)
	v_xor_b32_e32 v2, v2, v1
	v_sub_nc_u32_e32 v1, v2, v1
	s_delay_alu instid0(VALU_DEP_1) | instskip(NEXT) | instid1(VALU_DEP_1)
	v_cmp_ne_u32_e64 s1, 0, v1
	s_and_b32 s1, s1, s2
	s_delay_alu instid0(SALU_CYCLE_1) | instskip(NEXT) | instid1(SALU_CYCLE_1)
	s_and_saveexec_b32 s2, s1
	s_xor_b32 s1, exec_lo, s2
	s_cbranch_execz .LBB442_15
; %bb.14:                               ;   in Loop: Header=BB442_13 Depth=1
	v_add_nc_u32_e32 v0, s11, v143
	ds_store_b32 v0, v152
.LBB442_15:                             ;   in Loop: Header=BB442_13 Depth=1
	s_and_not1_saveexec_b32 s2, s1
	s_cbranch_execz .LBB442_12
; %bb.16:                               ;   in Loop: Header=BB442_13 Depth=1
	flat_load_b32 v0, v[28:29]
	s_mov_b32 s21, exec_lo
	s_waitcnt vmcnt(0) lgkmcnt(0)
	v_mad_i64_i32 v[31:32], null, v0, v22, v[8:9]
	flat_load_b64 v[33:34], v[31:32]
	flat_load_b32 v155, v[24:25]
	s_waitcnt vmcnt(1) lgkmcnt(1)
	v_dual_mov_b32 v0, 0 :: v_dual_and_b32 v1, 0xff, v33
	s_delay_alu instid0(VALU_DEP_1)
	v_cmpx_ne_u16_e32 0, v1
	s_cbranch_execz .LBB442_24
; %bb.17:                               ;   in Loop: Header=BB442_13 Depth=1
	v_bfrev_b32_e32 v0, 1
	s_mov_b32 s22, exec_lo
	v_cmpx_ne_u16_e32 0x80, v1
	s_cbranch_execz .LBB442_23
; %bb.18:                               ;   in Loop: Header=BB442_13 Depth=1
	v_and_b32_e32 v1, 0x7f, v33
	v_mov_b32_e32 v0, 0x7f800001
	s_mov_b32 s23, exec_lo
	s_delay_alu instid0(VALU_DEP_2)
	v_cmpx_ne_u32_e32 0x7f, v1
	s_cbranch_execz .LBB442_22
; %bb.19:                               ;   in Loop: Header=BB442_13 Depth=1
	v_lshrrev_b32_e32 v0, 3, v1
	v_dual_mov_b32 v36, v34 :: v_dual_mov_b32 v35, v33
	s_mov_b32 s24, exec_lo
	v_cmpx_gt_u32_e32 8, v1
; %bb.20:                               ;   in Loop: Header=BB442_13 Depth=1
	v_and_b32_e32 v0, 7, v33
	s_delay_alu instid0(VALU_DEP_1) | instskip(NEXT) | instid1(VALU_DEP_1)
	v_clz_i32_u32_e32 v0, v0
	v_min_u32_e32 v0, 32, v0
	s_delay_alu instid0(VALU_DEP_1) | instskip(SKIP_1) | instid1(VALU_DEP_2)
	v_subrev_nc_u32_e32 v1, 28, v0
	v_sub_nc_u32_e32 v0, 29, v0
	v_lshlrev_b64 v[35:36], v1, v[33:34]
; %bb.21:                               ;   in Loop: Header=BB442_13 Depth=1
	s_or_b32 exec_lo, exec_lo, s24
	s_delay_alu instid0(VALU_DEP_1) | instskip(SKIP_2) | instid1(VALU_DEP_3)
	v_lshlrev_b32_e32 v1, 20, v35
	v_lshlrev_b32_e32 v2, 24, v33
	v_lshl_add_u32 v0, v0, 23, 0x3c000000
	v_and_b32_e32 v1, 0x700000, v1
	s_delay_alu instid0(VALU_DEP_3) | instskip(NEXT) | instid1(VALU_DEP_1)
	v_and_b32_e32 v2, 0x80000000, v2
	v_or3_b32 v0, v1, v2, v0
.LBB442_22:                             ;   in Loop: Header=BB442_13 Depth=1
	s_or_b32 exec_lo, exec_lo, s23
.LBB442_23:                             ;   in Loop: Header=BB442_13 Depth=1
	s_delay_alu instid0(SALU_CYCLE_1)
	s_or_b32 exec_lo, exec_lo, s22
.LBB442_24:                             ;   in Loop: Header=BB442_13 Depth=1
	s_delay_alu instid0(SALU_CYCLE_1) | instskip(SKIP_2) | instid1(VALU_DEP_1)
	s_or_b32 exec_lo, exec_lo, s21
	s_waitcnt vmcnt(0) lgkmcnt(0)
	v_mul_f32_e32 v0, v155, v0
                                        ; implicit-def: $vgpr154
	v_and_b32_e32 v1, 0x7f800000, v0
	s_delay_alu instid0(VALU_DEP_1) | instskip(NEXT) | instid1(VALU_DEP_1)
	v_cmp_ne_u32_e64 s1, 0x7f800000, v1
	s_and_saveexec_b32 s21, s1
	s_delay_alu instid0(SALU_CYCLE_1)
	s_xor_b32 s1, exec_lo, s21
; %bb.25:                               ;   in Loop: Header=BB442_13 Depth=1
	v_bfe_u32 v1, v0, 16, 1
	s_delay_alu instid0(VALU_DEP_1)
	v_add3_u32 v154, v0, v1, 0x7fff
                                        ; implicit-def: $vgpr0
; %bb.26:                               ;   in Loop: Header=BB442_13 Depth=1
	s_and_not1_saveexec_b32 s21, s1
; %bb.27:                               ;   in Loop: Header=BB442_13 Depth=1
	v_and_b32_e32 v1, 0xffff, v0
	v_or_b32_e32 v2, 0x10000, v0
	s_delay_alu instid0(VALU_DEP_2) | instskip(NEXT) | instid1(VALU_DEP_1)
	v_cmp_eq_u32_e64 s1, 0, v1
	v_cndmask_b32_e64 v154, v2, v0, s1
; %bb.28:                               ;   in Loop: Header=BB442_13 Depth=1
	s_or_b32 exec_lo, exec_lo, s21
	v_lshrrev_b16 v1, 8, v33
	v_mov_b32_e32 v0, 0
	s_mov_b32 s21, exec_lo
	s_delay_alu instid0(VALU_DEP_2)
	v_cmpx_ne_u16_e32 0, v1
	s_cbranch_execz .LBB442_36
; %bb.29:                               ;   in Loop: Header=BB442_13 Depth=1
	v_bfrev_b32_e32 v0, 1
	s_mov_b32 s22, exec_lo
	v_cmpx_ne_u16_e32 0x80, v1
	s_cbranch_execz .LBB442_35
; %bb.30:                               ;   in Loop: Header=BB442_13 Depth=1
	v_and_b32_e32 v2, 0xffff, v1
	v_mov_b32_e32 v0, 0x7f800001
	s_mov_b32 s23, exec_lo
	s_delay_alu instid0(VALU_DEP_2) | instskip(NEXT) | instid1(VALU_DEP_1)
	v_and_b32_e32 v1, 0x7f, v2
	v_cmpx_ne_u32_e32 0x7f, v1
	s_cbranch_execz .LBB442_34
; %bb.31:                               ;   in Loop: Header=BB442_13 Depth=1
	v_and_b32_e32 v19, 7, v2
	v_lshrrev_b32_e32 v0, 3, v1
	s_mov_b32 s24, exec_lo
	v_cmpx_gt_u32_e32 8, v1
; %bb.32:                               ;   in Loop: Header=BB442_13 Depth=1
	s_delay_alu instid0(VALU_DEP_3) | instskip(NEXT) | instid1(VALU_DEP_1)
	v_clz_i32_u32_e32 v0, v19
	v_min_u32_e32 v0, 32, v0
	s_delay_alu instid0(VALU_DEP_1) | instskip(SKIP_1) | instid1(VALU_DEP_2)
	v_subrev_nc_u32_e32 v1, 28, v0
	v_sub_nc_u32_e32 v0, 29, v0
	v_lshlrev_b64 v[1:2], v1, v[19:20]
	s_delay_alu instid0(VALU_DEP_1)
	v_and_b32_e32 v19, 7, v1
; %bb.33:                               ;   in Loop: Header=BB442_13 Depth=1
	s_or_b32 exec_lo, exec_lo, s24
	v_lshlrev_b32_e32 v1, 16, v33
	s_delay_alu instid0(VALU_DEP_2) | instskip(SKIP_1) | instid1(VALU_DEP_3)
	v_lshlrev_b32_e32 v2, 20, v19
	v_lshl_add_u32 v0, v0, 23, 0x3c000000
	v_and_b32_e32 v1, 0x80000000, v1
	s_delay_alu instid0(VALU_DEP_1)
	v_or3_b32 v0, v2, v1, v0
.LBB442_34:                             ;   in Loop: Header=BB442_13 Depth=1
	s_or_b32 exec_lo, exec_lo, s23
.LBB442_35:                             ;   in Loop: Header=BB442_13 Depth=1
	s_delay_alu instid0(SALU_CYCLE_1)
	s_or_b32 exec_lo, exec_lo, s22
.LBB442_36:                             ;   in Loop: Header=BB442_13 Depth=1
	s_delay_alu instid0(SALU_CYCLE_1) | instskip(NEXT) | instid1(VALU_DEP_1)
	s_or_b32 exec_lo, exec_lo, s21
	v_mul_f32_e32 v0, v155, v0
                                        ; implicit-def: $vgpr156
	s_delay_alu instid0(VALU_DEP_1) | instskip(NEXT) | instid1(VALU_DEP_1)
	v_and_b32_e32 v1, 0x7f800000, v0
	v_cmp_ne_u32_e64 s1, 0x7f800000, v1
	s_delay_alu instid0(VALU_DEP_1) | instskip(NEXT) | instid1(SALU_CYCLE_1)
	s_and_saveexec_b32 s21, s1
	s_xor_b32 s1, exec_lo, s21
; %bb.37:                               ;   in Loop: Header=BB442_13 Depth=1
	v_bfe_u32 v1, v0, 16, 1
	s_delay_alu instid0(VALU_DEP_1)
	v_add3_u32 v156, v0, v1, 0x7fff
                                        ; implicit-def: $vgpr0
; %bb.38:                               ;   in Loop: Header=BB442_13 Depth=1
	s_and_not1_saveexec_b32 s21, s1
; %bb.39:                               ;   in Loop: Header=BB442_13 Depth=1
	v_and_b32_e32 v1, 0xffff, v0
	v_or_b32_e32 v2, 0x10000, v0
	s_delay_alu instid0(VALU_DEP_2) | instskip(NEXT) | instid1(VALU_DEP_1)
	v_cmp_eq_u32_e64 s1, 0, v1
	v_cndmask_b32_e64 v156, v2, v0, s1
; %bb.40:                               ;   in Loop: Header=BB442_13 Depth=1
	s_or_b32 exec_lo, exec_lo, s21
	v_lshrrev_b32_e32 v0, 16, v33
	s_mov_b32 s21, exec_lo
	s_delay_alu instid0(VALU_DEP_1) | instskip(NEXT) | instid1(VALU_DEP_1)
	v_dual_mov_b32 v1, 0 :: v_dual_and_b32 v2, 0xff, v0
	v_cmpx_ne_u16_e32 0, v2
	s_cbranch_execz .LBB442_48
; %bb.41:                               ;   in Loop: Header=BB442_13 Depth=1
	v_bfrev_b32_e32 v1, 1
	s_mov_b32 s22, exec_lo
	v_cmpx_ne_u16_e32 0x80, v2
	s_cbranch_execz .LBB442_47
; %bb.42:                               ;   in Loop: Header=BB442_13 Depth=1
	v_bfe_u32 v2, v33, 16, 7
	v_mov_b32_e32 v1, 0x7f800001
	s_mov_b32 s23, exec_lo
	s_delay_alu instid0(VALU_DEP_2)
	v_cmpx_ne_u32_e32 0x7f, v2
	s_cbranch_execz .LBB442_46
; %bb.43:                               ;   in Loop: Header=BB442_13 Depth=1
	v_and_b32_e32 v19, 7, v0
	v_lshrrev_b32_e32 v1, 3, v2
	s_mov_b32 s24, exec_lo
	v_cmpx_gt_u32_e32 8, v2
; %bb.44:                               ;   in Loop: Header=BB442_13 Depth=1
	s_delay_alu instid0(VALU_DEP_3) | instskip(NEXT) | instid1(VALU_DEP_1)
	v_clz_i32_u32_e32 v1, v19
	v_min_u32_e32 v1, 32, v1
	s_delay_alu instid0(VALU_DEP_1) | instskip(SKIP_1) | instid1(VALU_DEP_2)
	v_subrev_nc_u32_e32 v2, 28, v1
	v_sub_nc_u32_e32 v1, 29, v1
	v_lshlrev_b64 v[2:3], v2, v[19:20]
	s_delay_alu instid0(VALU_DEP_1)
	v_and_b32_e32 v19, 7, v2
; %bb.45:                               ;   in Loop: Header=BB442_13 Depth=1
	s_or_b32 exec_lo, exec_lo, s24
	v_lshlrev_b32_e32 v0, 24, v0
	s_delay_alu instid0(VALU_DEP_2) | instskip(SKIP_1) | instid1(VALU_DEP_3)
	v_lshlrev_b32_e32 v2, 20, v19
	v_lshl_add_u32 v1, v1, 23, 0x3c000000
	v_and_b32_e32 v0, 0x80000000, v0
	s_delay_alu instid0(VALU_DEP_1)
	v_or3_b32 v1, v2, v0, v1
.LBB442_46:                             ;   in Loop: Header=BB442_13 Depth=1
	s_or_b32 exec_lo, exec_lo, s23
.LBB442_47:                             ;   in Loop: Header=BB442_13 Depth=1
	s_delay_alu instid0(SALU_CYCLE_1)
	s_or_b32 exec_lo, exec_lo, s22
.LBB442_48:                             ;   in Loop: Header=BB442_13 Depth=1
	s_delay_alu instid0(SALU_CYCLE_1) | instskip(NEXT) | instid1(VALU_DEP_1)
	s_or_b32 exec_lo, exec_lo, s21
	v_mul_f32_e32 v0, v155, v1
                                        ; implicit-def: $vgpr157
	s_delay_alu instid0(VALU_DEP_1) | instskip(NEXT) | instid1(VALU_DEP_1)
	v_and_b32_e32 v1, 0x7f800000, v0
	v_cmp_ne_u32_e64 s1, 0x7f800000, v1
	s_delay_alu instid0(VALU_DEP_1) | instskip(NEXT) | instid1(SALU_CYCLE_1)
	s_and_saveexec_b32 s21, s1
	s_xor_b32 s1, exec_lo, s21
; %bb.49:                               ;   in Loop: Header=BB442_13 Depth=1
	v_bfe_u32 v1, v0, 16, 1
	s_delay_alu instid0(VALU_DEP_1)
	v_add3_u32 v157, v0, v1, 0x7fff
                                        ; implicit-def: $vgpr0
; %bb.50:                               ;   in Loop: Header=BB442_13 Depth=1
	s_and_not1_saveexec_b32 s21, s1
; %bb.51:                               ;   in Loop: Header=BB442_13 Depth=1
	v_and_b32_e32 v1, 0xffff, v0
	v_or_b32_e32 v2, 0x10000, v0
	s_delay_alu instid0(VALU_DEP_2) | instskip(NEXT) | instid1(VALU_DEP_1)
	v_cmp_eq_u32_e64 s1, 0, v1
	v_cndmask_b32_e64 v157, v2, v0, s1
; %bb.52:                               ;   in Loop: Header=BB442_13 Depth=1
	s_or_b32 exec_lo, exec_lo, s21
	v_mov_b32_e32 v1, 0
	s_mov_b32 s21, exec_lo
	v_cmpx_lt_u32_e32 0xffffff, v33
	s_cbranch_execz .LBB442_60
; %bb.53:                               ;   in Loop: Header=BB442_13 Depth=1
	v_lshrrev_b32_e32 v0, 24, v33
	v_bfrev_b32_e32 v1, 1
	s_mov_b32 s22, exec_lo
	s_delay_alu instid0(VALU_DEP_2)
	v_cmpx_ne_u32_e32 0x80, v0
	s_cbranch_execz .LBB442_59
; %bb.54:                               ;   in Loop: Header=BB442_13 Depth=1
	v_bfe_u32 v2, v33, 24, 7
	v_mov_b32_e32 v1, 0x7f800001
	s_mov_b32 s23, exec_lo
	s_delay_alu instid0(VALU_DEP_2)
	v_cmpx_ne_u32_e32 0x7f, v2
	s_cbranch_execz .LBB442_58
; %bb.55:                               ;   in Loop: Header=BB442_13 Depth=1
	v_and_b32_e32 v19, 7, v0
	v_lshrrev_b32_e32 v1, 3, v2
	s_mov_b32 s24, exec_lo
	v_cmpx_gt_u32_e32 8, v2
; %bb.56:                               ;   in Loop: Header=BB442_13 Depth=1
	s_delay_alu instid0(VALU_DEP_3) | instskip(NEXT) | instid1(VALU_DEP_1)
	v_clz_i32_u32_e32 v1, v19
	v_min_u32_e32 v1, 32, v1
	s_delay_alu instid0(VALU_DEP_1) | instskip(SKIP_1) | instid1(VALU_DEP_2)
	v_subrev_nc_u32_e32 v2, 28, v1
	v_sub_nc_u32_e32 v1, 29, v1
	v_lshlrev_b64 v[2:3], v2, v[19:20]
	s_delay_alu instid0(VALU_DEP_1)
	v_and_b32_e32 v19, 7, v2
; %bb.57:                               ;   in Loop: Header=BB442_13 Depth=1
	s_or_b32 exec_lo, exec_lo, s24
	v_lshlrev_b32_e32 v0, 24, v0
	s_delay_alu instid0(VALU_DEP_2) | instskip(SKIP_1) | instid1(VALU_DEP_3)
	v_lshlrev_b32_e32 v2, 20, v19
	v_lshl_add_u32 v1, v1, 23, 0x3c000000
	v_and_b32_e32 v0, 0x80000000, v0
	s_delay_alu instid0(VALU_DEP_1)
	v_or3_b32 v1, v2, v0, v1
.LBB442_58:                             ;   in Loop: Header=BB442_13 Depth=1
	s_or_b32 exec_lo, exec_lo, s23
.LBB442_59:                             ;   in Loop: Header=BB442_13 Depth=1
	s_delay_alu instid0(SALU_CYCLE_1)
	s_or_b32 exec_lo, exec_lo, s22
.LBB442_60:                             ;   in Loop: Header=BB442_13 Depth=1
	s_delay_alu instid0(SALU_CYCLE_1) | instskip(NEXT) | instid1(VALU_DEP_1)
	s_or_b32 exec_lo, exec_lo, s21
	v_mul_f32_e32 v0, v155, v1
                                        ; implicit-def: $vgpr158
	s_delay_alu instid0(VALU_DEP_1) | instskip(NEXT) | instid1(VALU_DEP_1)
	v_and_b32_e32 v1, 0x7f800000, v0
	v_cmp_ne_u32_e64 s1, 0x7f800000, v1
	s_delay_alu instid0(VALU_DEP_1) | instskip(NEXT) | instid1(SALU_CYCLE_1)
	s_and_saveexec_b32 s21, s1
	s_xor_b32 s1, exec_lo, s21
; %bb.61:                               ;   in Loop: Header=BB442_13 Depth=1
	v_bfe_u32 v1, v0, 16, 1
	s_delay_alu instid0(VALU_DEP_1)
	v_add3_u32 v158, v0, v1, 0x7fff
                                        ; implicit-def: $vgpr0
; %bb.62:                               ;   in Loop: Header=BB442_13 Depth=1
	s_and_not1_saveexec_b32 s21, s1
; %bb.63:                               ;   in Loop: Header=BB442_13 Depth=1
	v_and_b32_e32 v1, 0xffff, v0
	v_or_b32_e32 v2, 0x10000, v0
	s_delay_alu instid0(VALU_DEP_2) | instskip(NEXT) | instid1(VALU_DEP_1)
	v_cmp_eq_u32_e64 s1, 0, v1
	v_cndmask_b32_e64 v158, v2, v0, s1
; %bb.64:                               ;   in Loop: Header=BB442_13 Depth=1
	s_or_b32 exec_lo, exec_lo, s21
	v_dual_mov_b32 v0, 0 :: v_dual_and_b32 v1, 0xff, v34
	v_mov_b32_e32 v19, v34
	s_mov_b32 s21, exec_lo
	s_delay_alu instid0(VALU_DEP_2)
	v_cmpx_ne_u16_e32 0, v1
	s_cbranch_execz .LBB442_72
; %bb.65:                               ;   in Loop: Header=BB442_13 Depth=1
	v_bfrev_b32_e32 v0, 1
	s_mov_b32 s22, exec_lo
	v_cmpx_ne_u16_e32 0x80, v1
	s_cbranch_execz .LBB442_71
; %bb.66:                               ;   in Loop: Header=BB442_13 Depth=1
	v_and_b32_e32 v1, 0x7f, v34
	v_mov_b32_e32 v0, 0x7f800001
	s_mov_b32 s23, exec_lo
	s_delay_alu instid0(VALU_DEP_2)
	v_cmpx_ne_u32_e32 0x7f, v1
	s_cbranch_execz .LBB442_70
; %bb.67:                               ;   in Loop: Header=BB442_13 Depth=1
	v_lshrrev_b32_e32 v0, 3, v1
	v_dual_mov_b32 v36, v20 :: v_dual_mov_b32 v35, v19
	s_mov_b32 s24, exec_lo
	v_cmpx_gt_u32_e32 8, v1
; %bb.68:                               ;   in Loop: Header=BB442_13 Depth=1
	v_and_b32_e32 v0, 7, v34
	s_delay_alu instid0(VALU_DEP_1) | instskip(NEXT) | instid1(VALU_DEP_1)
	v_clz_i32_u32_e32 v0, v0
	v_min_u32_e32 v0, 32, v0
	s_delay_alu instid0(VALU_DEP_1) | instskip(SKIP_1) | instid1(VALU_DEP_2)
	v_subrev_nc_u32_e32 v1, 28, v0
	v_sub_nc_u32_e32 v0, 29, v0
	v_lshlrev_b64 v[35:36], v1, v[19:20]
; %bb.69:                               ;   in Loop: Header=BB442_13 Depth=1
	s_or_b32 exec_lo, exec_lo, s24
	s_delay_alu instid0(VALU_DEP_1) | instskip(SKIP_2) | instid1(VALU_DEP_3)
	v_lshlrev_b32_e32 v1, 20, v35
	v_lshlrev_b32_e32 v2, 24, v19
	v_lshl_add_u32 v0, v0, 23, 0x3c000000
	v_and_b32_e32 v1, 0x700000, v1
	s_delay_alu instid0(VALU_DEP_3) | instskip(NEXT) | instid1(VALU_DEP_1)
	v_and_b32_e32 v2, 0x80000000, v2
	v_or3_b32 v0, v1, v2, v0
.LBB442_70:                             ;   in Loop: Header=BB442_13 Depth=1
	s_or_b32 exec_lo, exec_lo, s23
.LBB442_71:                             ;   in Loop: Header=BB442_13 Depth=1
	s_delay_alu instid0(SALU_CYCLE_1)
	s_or_b32 exec_lo, exec_lo, s22
.LBB442_72:                             ;   in Loop: Header=BB442_13 Depth=1
	s_delay_alu instid0(SALU_CYCLE_1) | instskip(NEXT) | instid1(VALU_DEP_1)
	s_or_b32 exec_lo, exec_lo, s21
	v_mul_f32_e32 v0, v155, v0
                                        ; implicit-def: $vgpr159
	s_delay_alu instid0(VALU_DEP_1) | instskip(NEXT) | instid1(VALU_DEP_1)
	v_and_b32_e32 v1, 0x7f800000, v0
	v_cmp_ne_u32_e64 s1, 0x7f800000, v1
	s_delay_alu instid0(VALU_DEP_1) | instskip(NEXT) | instid1(SALU_CYCLE_1)
	s_and_saveexec_b32 s21, s1
	s_xor_b32 s1, exec_lo, s21
; %bb.73:                               ;   in Loop: Header=BB442_13 Depth=1
	v_bfe_u32 v1, v0, 16, 1
	s_delay_alu instid0(VALU_DEP_1)
	v_add3_u32 v159, v0, v1, 0x7fff
                                        ; implicit-def: $vgpr0
; %bb.74:                               ;   in Loop: Header=BB442_13 Depth=1
	s_and_not1_saveexec_b32 s21, s1
; %bb.75:                               ;   in Loop: Header=BB442_13 Depth=1
	v_and_b32_e32 v1, 0xffff, v0
	v_or_b32_e32 v2, 0x10000, v0
	s_delay_alu instid0(VALU_DEP_2) | instskip(NEXT) | instid1(VALU_DEP_1)
	v_cmp_eq_u32_e64 s1, 0, v1
	v_cndmask_b32_e64 v159, v2, v0, s1
; %bb.76:                               ;   in Loop: Header=BB442_13 Depth=1
	s_or_b32 exec_lo, exec_lo, s21
	v_lshrrev_b16 v1, 8, v19
	v_mov_b32_e32 v0, 0
	s_mov_b32 s21, exec_lo
	s_delay_alu instid0(VALU_DEP_2)
	v_cmpx_ne_u16_e32 0, v1
	s_cbranch_execz .LBB442_84
; %bb.77:                               ;   in Loop: Header=BB442_13 Depth=1
	v_bfrev_b32_e32 v0, 1
	s_mov_b32 s22, exec_lo
	v_cmpx_ne_u16_e32 0x80, v1
	s_cbranch_execz .LBB442_83
; %bb.78:                               ;   in Loop: Header=BB442_13 Depth=1
	v_and_b32_e32 v2, 0xffff, v1
	v_mov_b32_e32 v0, 0x7f800001
	s_mov_b32 s23, exec_lo
	s_delay_alu instid0(VALU_DEP_2) | instskip(NEXT) | instid1(VALU_DEP_1)
	v_and_b32_e32 v1, 0x7f, v2
	v_cmpx_ne_u32_e32 0x7f, v1
	s_cbranch_execz .LBB442_82
; %bb.79:                               ;   in Loop: Header=BB442_13 Depth=1
	v_dual_mov_b32 v36, v20 :: v_dual_and_b32 v35, 7, v2
	v_lshrrev_b32_e32 v0, 3, v1
	s_mov_b32 s24, exec_lo
	v_cmpx_gt_u32_e32 8, v1
; %bb.80:                               ;   in Loop: Header=BB442_13 Depth=1
	s_delay_alu instid0(VALU_DEP_3) | instskip(NEXT) | instid1(VALU_DEP_1)
	v_clz_i32_u32_e32 v0, v35
	v_min_u32_e32 v0, 32, v0
	s_delay_alu instid0(VALU_DEP_1) | instskip(SKIP_1) | instid1(VALU_DEP_2)
	v_subrev_nc_u32_e32 v1, 28, v0
	v_sub_nc_u32_e32 v0, 29, v0
	v_lshlrev_b64 v[1:2], v1, v[35:36]
	s_delay_alu instid0(VALU_DEP_1)
	v_and_b32_e32 v35, 7, v1
; %bb.81:                               ;   in Loop: Header=BB442_13 Depth=1
	s_or_b32 exec_lo, exec_lo, s24
	v_lshlrev_b32_e32 v1, 16, v19
	s_delay_alu instid0(VALU_DEP_2) | instskip(SKIP_1) | instid1(VALU_DEP_3)
	v_lshlrev_b32_e32 v2, 20, v35
	v_lshl_add_u32 v0, v0, 23, 0x3c000000
	v_and_b32_e32 v1, 0x80000000, v1
	s_delay_alu instid0(VALU_DEP_1)
	v_or3_b32 v0, v2, v1, v0
.LBB442_82:                             ;   in Loop: Header=BB442_13 Depth=1
	s_or_b32 exec_lo, exec_lo, s23
.LBB442_83:                             ;   in Loop: Header=BB442_13 Depth=1
	s_delay_alu instid0(SALU_CYCLE_1)
	s_or_b32 exec_lo, exec_lo, s22
.LBB442_84:                             ;   in Loop: Header=BB442_13 Depth=1
	s_delay_alu instid0(SALU_CYCLE_1) | instskip(NEXT) | instid1(VALU_DEP_1)
	s_or_b32 exec_lo, exec_lo, s21
	v_mul_f32_e32 v0, v155, v0
                                        ; implicit-def: $vgpr168
	s_delay_alu instid0(VALU_DEP_1) | instskip(NEXT) | instid1(VALU_DEP_1)
	v_and_b32_e32 v1, 0x7f800000, v0
	v_cmp_ne_u32_e64 s1, 0x7f800000, v1
	s_delay_alu instid0(VALU_DEP_1) | instskip(NEXT) | instid1(SALU_CYCLE_1)
	s_and_saveexec_b32 s21, s1
	s_xor_b32 s1, exec_lo, s21
; %bb.85:                               ;   in Loop: Header=BB442_13 Depth=1
	v_bfe_u32 v1, v0, 16, 1
	s_delay_alu instid0(VALU_DEP_1)
	v_add3_u32 v168, v0, v1, 0x7fff
                                        ; implicit-def: $vgpr0
; %bb.86:                               ;   in Loop: Header=BB442_13 Depth=1
	s_and_not1_saveexec_b32 s21, s1
; %bb.87:                               ;   in Loop: Header=BB442_13 Depth=1
	v_and_b32_e32 v1, 0xffff, v0
	v_or_b32_e32 v2, 0x10000, v0
	s_delay_alu instid0(VALU_DEP_2) | instskip(NEXT) | instid1(VALU_DEP_1)
	v_cmp_eq_u32_e64 s1, 0, v1
	v_cndmask_b32_e64 v168, v2, v0, s1
; %bb.88:                               ;   in Loop: Header=BB442_13 Depth=1
	s_or_b32 exec_lo, exec_lo, s21
	v_lshrrev_b32_e32 v0, 16, v34
	s_mov_b32 s21, exec_lo
	s_delay_alu instid0(VALU_DEP_1) | instskip(NEXT) | instid1(VALU_DEP_1)
	v_dual_mov_b32 v1, 0 :: v_dual_and_b32 v2, 0xff, v0
	v_cmpx_ne_u16_e32 0, v2
	s_cbranch_execz .LBB442_96
; %bb.89:                               ;   in Loop: Header=BB442_13 Depth=1
	v_bfrev_b32_e32 v1, 1
	s_mov_b32 s22, exec_lo
	v_cmpx_ne_u16_e32 0x80, v2
	s_cbranch_execz .LBB442_95
; %bb.90:                               ;   in Loop: Header=BB442_13 Depth=1
	v_bfe_u32 v2, v34, 16, 7
	v_mov_b32_e32 v1, 0x7f800001
	s_mov_b32 s23, exec_lo
	s_delay_alu instid0(VALU_DEP_2)
	v_cmpx_ne_u32_e32 0x7f, v2
	s_cbranch_execz .LBB442_94
; %bb.91:                               ;   in Loop: Header=BB442_13 Depth=1
	v_and_b32_e32 v19, 7, v0
	v_lshrrev_b32_e32 v1, 3, v2
	v_mov_b32_e32 v36, v20
	s_mov_b32 s24, exec_lo
	s_delay_alu instid0(VALU_DEP_3)
	v_mov_b32_e32 v35, v19
	v_cmpx_gt_u32_e32 8, v2
; %bb.92:                               ;   in Loop: Header=BB442_13 Depth=1
	v_clz_i32_u32_e32 v1, v19
	s_delay_alu instid0(VALU_DEP_1) | instskip(NEXT) | instid1(VALU_DEP_1)
	v_min_u32_e32 v1, 32, v1
	v_subrev_nc_u32_e32 v2, 28, v1
	v_sub_nc_u32_e32 v1, 29, v1
	s_delay_alu instid0(VALU_DEP_2) | instskip(NEXT) | instid1(VALU_DEP_1)
	v_lshlrev_b64 v[2:3], v2, v[19:20]
	v_and_b32_e32 v35, 7, v2
; %bb.93:                               ;   in Loop: Header=BB442_13 Depth=1
	s_or_b32 exec_lo, exec_lo, s24
	v_lshlrev_b32_e32 v0, 24, v0
	s_delay_alu instid0(VALU_DEP_2) | instskip(SKIP_1) | instid1(VALU_DEP_3)
	v_lshlrev_b32_e32 v2, 20, v35
	v_lshl_add_u32 v1, v1, 23, 0x3c000000
	v_and_b32_e32 v0, 0x80000000, v0
	s_delay_alu instid0(VALU_DEP_1)
	v_or3_b32 v1, v2, v0, v1
.LBB442_94:                             ;   in Loop: Header=BB442_13 Depth=1
	s_or_b32 exec_lo, exec_lo, s23
.LBB442_95:                             ;   in Loop: Header=BB442_13 Depth=1
	s_delay_alu instid0(SALU_CYCLE_1)
	s_or_b32 exec_lo, exec_lo, s22
.LBB442_96:                             ;   in Loop: Header=BB442_13 Depth=1
	s_delay_alu instid0(SALU_CYCLE_1) | instskip(NEXT) | instid1(VALU_DEP_1)
	s_or_b32 exec_lo, exec_lo, s21
	v_mul_f32_e32 v0, v155, v1
                                        ; implicit-def: $vgpr169
	s_delay_alu instid0(VALU_DEP_1) | instskip(NEXT) | instid1(VALU_DEP_1)
	v_and_b32_e32 v1, 0x7f800000, v0
	v_cmp_ne_u32_e64 s1, 0x7f800000, v1
	s_delay_alu instid0(VALU_DEP_1) | instskip(NEXT) | instid1(SALU_CYCLE_1)
	s_and_saveexec_b32 s21, s1
	s_xor_b32 s1, exec_lo, s21
; %bb.97:                               ;   in Loop: Header=BB442_13 Depth=1
	v_bfe_u32 v1, v0, 16, 1
	s_delay_alu instid0(VALU_DEP_1)
	v_add3_u32 v169, v0, v1, 0x7fff
                                        ; implicit-def: $vgpr0
; %bb.98:                               ;   in Loop: Header=BB442_13 Depth=1
	s_and_not1_saveexec_b32 s21, s1
; %bb.99:                               ;   in Loop: Header=BB442_13 Depth=1
	v_and_b32_e32 v1, 0xffff, v0
	v_or_b32_e32 v2, 0x10000, v0
	s_delay_alu instid0(VALU_DEP_2) | instskip(NEXT) | instid1(VALU_DEP_1)
	v_cmp_eq_u32_e64 s1, 0, v1
	v_cndmask_b32_e64 v169, v2, v0, s1
; %bb.100:                              ;   in Loop: Header=BB442_13 Depth=1
	s_or_b32 exec_lo, exec_lo, s21
	v_mov_b32_e32 v1, 0
	s_mov_b32 s21, exec_lo
	v_cmpx_lt_u64_e64 s[16:17], v[33:34]
	s_cbranch_execz .LBB442_108
; %bb.101:                              ;   in Loop: Header=BB442_13 Depth=1
	v_lshrrev_b32_e32 v0, 24, v34
	v_bfrev_b32_e32 v1, 1
	s_mov_b32 s22, exec_lo
	s_delay_alu instid0(VALU_DEP_2)
	v_cmpx_ne_u32_e32 0x80, v0
	s_cbranch_execz .LBB442_107
; %bb.102:                              ;   in Loop: Header=BB442_13 Depth=1
	v_bfe_u32 v2, v34, 24, 7
	v_mov_b32_e32 v1, 0x7f800001
	s_mov_b32 s23, exec_lo
	s_delay_alu instid0(VALU_DEP_2)
	v_cmpx_ne_u32_e32 0x7f, v2
	s_cbranch_execz .LBB442_106
; %bb.103:                              ;   in Loop: Header=BB442_13 Depth=1
	v_and_b32_e32 v19, 7, v0
	v_lshrrev_b32_e32 v1, 3, v2
	v_mov_b32_e32 v34, v20
	s_mov_b32 s24, exec_lo
	s_delay_alu instid0(VALU_DEP_3)
	v_mov_b32_e32 v33, v19
	v_cmpx_gt_u32_e32 8, v2
; %bb.104:                              ;   in Loop: Header=BB442_13 Depth=1
	v_clz_i32_u32_e32 v1, v19
	s_delay_alu instid0(VALU_DEP_1) | instskip(NEXT) | instid1(VALU_DEP_1)
	v_min_u32_e32 v1, 32, v1
	v_subrev_nc_u32_e32 v2, 28, v1
	v_sub_nc_u32_e32 v1, 29, v1
	s_delay_alu instid0(VALU_DEP_2) | instskip(NEXT) | instid1(VALU_DEP_1)
	v_lshlrev_b64 v[2:3], v2, v[19:20]
	v_and_b32_e32 v33, 7, v2
; %bb.105:                              ;   in Loop: Header=BB442_13 Depth=1
	s_or_b32 exec_lo, exec_lo, s24
	v_lshlrev_b32_e32 v0, 24, v0
	s_delay_alu instid0(VALU_DEP_2) | instskip(SKIP_1) | instid1(VALU_DEP_3)
	v_lshlrev_b32_e32 v2, 20, v33
	v_lshl_add_u32 v1, v1, 23, 0x3c000000
	v_and_b32_e32 v0, 0x80000000, v0
	s_delay_alu instid0(VALU_DEP_1)
	v_or3_b32 v1, v2, v0, v1
.LBB442_106:                            ;   in Loop: Header=BB442_13 Depth=1
	s_or_b32 exec_lo, exec_lo, s23
.LBB442_107:                            ;   in Loop: Header=BB442_13 Depth=1
	s_delay_alu instid0(SALU_CYCLE_1)
	s_or_b32 exec_lo, exec_lo, s22
.LBB442_108:                            ;   in Loop: Header=BB442_13 Depth=1
	s_delay_alu instid0(SALU_CYCLE_1) | instskip(NEXT) | instid1(VALU_DEP_1)
	s_or_b32 exec_lo, exec_lo, s21
	v_mul_f32_e32 v0, v155, v1
                                        ; implicit-def: $vgpr170
	s_delay_alu instid0(VALU_DEP_1) | instskip(NEXT) | instid1(VALU_DEP_1)
	v_and_b32_e32 v1, 0x7f800000, v0
	v_cmp_ne_u32_e64 s1, 0x7f800000, v1
	s_delay_alu instid0(VALU_DEP_1) | instskip(NEXT) | instid1(SALU_CYCLE_1)
	s_and_saveexec_b32 s21, s1
	s_xor_b32 s1, exec_lo, s21
; %bb.109:                              ;   in Loop: Header=BB442_13 Depth=1
	v_bfe_u32 v1, v0, 16, 1
	s_delay_alu instid0(VALU_DEP_1)
	v_add3_u32 v170, v0, v1, 0x7fff
                                        ; implicit-def: $vgpr0
; %bb.110:                              ;   in Loop: Header=BB442_13 Depth=1
	s_and_not1_saveexec_b32 s21, s1
; %bb.111:                              ;   in Loop: Header=BB442_13 Depth=1
	v_and_b32_e32 v1, 0xffff, v0
	v_or_b32_e32 v2, 0x10000, v0
	s_delay_alu instid0(VALU_DEP_2) | instskip(NEXT) | instid1(VALU_DEP_1)
	v_cmp_eq_u32_e64 s1, 0, v1
	v_cndmask_b32_e64 v170, v2, v0, s1
; %bb.112:                              ;   in Loop: Header=BB442_13 Depth=1
	s_or_b32 exec_lo, exec_lo, s21
	flat_load_b64 v[33:34], v[31:32] offset:8
	s_mov_b32 s21, exec_lo
	s_waitcnt vmcnt(0) lgkmcnt(0)
	v_dual_mov_b32 v0, 0 :: v_dual_and_b32 v1, 0xff, v33
	s_delay_alu instid0(VALU_DEP_1)
	v_cmpx_ne_u16_e32 0, v1
	s_cbranch_execz .LBB442_120
; %bb.113:                              ;   in Loop: Header=BB442_13 Depth=1
	v_bfrev_b32_e32 v0, 1
	s_mov_b32 s22, exec_lo
	v_cmpx_ne_u16_e32 0x80, v1
	s_cbranch_execz .LBB442_119
; %bb.114:                              ;   in Loop: Header=BB442_13 Depth=1
	v_and_b32_e32 v1, 0x7f, v33
	v_mov_b32_e32 v0, 0x7f800001
	s_mov_b32 s23, exec_lo
	s_delay_alu instid0(VALU_DEP_2)
	v_cmpx_ne_u32_e32 0x7f, v1
	s_cbranch_execz .LBB442_118
; %bb.115:                              ;   in Loop: Header=BB442_13 Depth=1
	v_lshrrev_b32_e32 v0, 3, v1
	v_dual_mov_b32 v36, v34 :: v_dual_mov_b32 v35, v33
	s_mov_b32 s24, exec_lo
	v_cmpx_gt_u32_e32 8, v1
; %bb.116:                              ;   in Loop: Header=BB442_13 Depth=1
	v_and_b32_e32 v0, 7, v33
	s_delay_alu instid0(VALU_DEP_1) | instskip(NEXT) | instid1(VALU_DEP_1)
	v_clz_i32_u32_e32 v0, v0
	v_min_u32_e32 v0, 32, v0
	s_delay_alu instid0(VALU_DEP_1) | instskip(SKIP_1) | instid1(VALU_DEP_2)
	v_subrev_nc_u32_e32 v1, 28, v0
	v_sub_nc_u32_e32 v0, 29, v0
	v_lshlrev_b64 v[35:36], v1, v[33:34]
; %bb.117:                              ;   in Loop: Header=BB442_13 Depth=1
	s_or_b32 exec_lo, exec_lo, s24
	s_delay_alu instid0(VALU_DEP_1) | instskip(SKIP_2) | instid1(VALU_DEP_3)
	v_lshlrev_b32_e32 v1, 20, v35
	v_lshlrev_b32_e32 v2, 24, v33
	v_lshl_add_u32 v0, v0, 23, 0x3c000000
	v_and_b32_e32 v1, 0x700000, v1
	s_delay_alu instid0(VALU_DEP_3) | instskip(NEXT) | instid1(VALU_DEP_1)
	v_and_b32_e32 v2, 0x80000000, v2
	v_or3_b32 v0, v1, v2, v0
.LBB442_118:                            ;   in Loop: Header=BB442_13 Depth=1
	s_or_b32 exec_lo, exec_lo, s23
.LBB442_119:                            ;   in Loop: Header=BB442_13 Depth=1
	s_delay_alu instid0(SALU_CYCLE_1)
	s_or_b32 exec_lo, exec_lo, s22
.LBB442_120:                            ;   in Loop: Header=BB442_13 Depth=1
	s_delay_alu instid0(SALU_CYCLE_1) | instskip(NEXT) | instid1(VALU_DEP_1)
	s_or_b32 exec_lo, exec_lo, s21
	v_mul_f32_e32 v0, v155, v0
                                        ; implicit-def: $vgpr171
	s_delay_alu instid0(VALU_DEP_1) | instskip(NEXT) | instid1(VALU_DEP_1)
	v_and_b32_e32 v1, 0x7f800000, v0
	v_cmp_ne_u32_e64 s1, 0x7f800000, v1
	s_delay_alu instid0(VALU_DEP_1) | instskip(NEXT) | instid1(SALU_CYCLE_1)
	s_and_saveexec_b32 s21, s1
	s_xor_b32 s1, exec_lo, s21
; %bb.121:                              ;   in Loop: Header=BB442_13 Depth=1
	v_bfe_u32 v1, v0, 16, 1
	s_delay_alu instid0(VALU_DEP_1)
	v_add3_u32 v171, v0, v1, 0x7fff
                                        ; implicit-def: $vgpr0
; %bb.122:                              ;   in Loop: Header=BB442_13 Depth=1
	s_and_not1_saveexec_b32 s21, s1
; %bb.123:                              ;   in Loop: Header=BB442_13 Depth=1
	v_and_b32_e32 v1, 0xffff, v0
	v_or_b32_e32 v2, 0x10000, v0
	s_delay_alu instid0(VALU_DEP_2) | instskip(NEXT) | instid1(VALU_DEP_1)
	v_cmp_eq_u32_e64 s1, 0, v1
	v_cndmask_b32_e64 v171, v2, v0, s1
; %bb.124:                              ;   in Loop: Header=BB442_13 Depth=1
	s_or_b32 exec_lo, exec_lo, s21
	v_lshrrev_b16 v1, 8, v33
	v_mov_b32_e32 v0, 0
	s_mov_b32 s21, exec_lo
	s_delay_alu instid0(VALU_DEP_2)
	v_cmpx_ne_u16_e32 0, v1
	s_cbranch_execz .LBB442_132
; %bb.125:                              ;   in Loop: Header=BB442_13 Depth=1
	v_bfrev_b32_e32 v0, 1
	s_mov_b32 s22, exec_lo
	v_cmpx_ne_u16_e32 0x80, v1
	s_cbranch_execz .LBB442_131
; %bb.126:                              ;   in Loop: Header=BB442_13 Depth=1
	v_and_b32_e32 v2, 0xffff, v1
	v_mov_b32_e32 v0, 0x7f800001
	s_mov_b32 s23, exec_lo
	s_delay_alu instid0(VALU_DEP_2) | instskip(NEXT) | instid1(VALU_DEP_1)
	v_and_b32_e32 v1, 0x7f, v2
	v_cmpx_ne_u32_e32 0x7f, v1
	s_cbranch_execz .LBB442_130
; %bb.127:                              ;   in Loop: Header=BB442_13 Depth=1
	v_and_b32_e32 v19, 7, v2
	v_lshrrev_b32_e32 v0, 3, v1
	v_mov_b32_e32 v36, v20
	s_mov_b32 s24, exec_lo
	s_delay_alu instid0(VALU_DEP_3)
	v_mov_b32_e32 v35, v19
	v_cmpx_gt_u32_e32 8, v1
; %bb.128:                              ;   in Loop: Header=BB442_13 Depth=1
	v_clz_i32_u32_e32 v0, v19
	s_delay_alu instid0(VALU_DEP_1) | instskip(NEXT) | instid1(VALU_DEP_1)
	v_min_u32_e32 v0, 32, v0
	v_subrev_nc_u32_e32 v1, 28, v0
	v_sub_nc_u32_e32 v0, 29, v0
	s_delay_alu instid0(VALU_DEP_2) | instskip(NEXT) | instid1(VALU_DEP_1)
	v_lshlrev_b64 v[1:2], v1, v[19:20]
	v_and_b32_e32 v35, 7, v1
; %bb.129:                              ;   in Loop: Header=BB442_13 Depth=1
	s_or_b32 exec_lo, exec_lo, s24
	v_lshlrev_b32_e32 v1, 16, v33
	s_delay_alu instid0(VALU_DEP_2) | instskip(SKIP_1) | instid1(VALU_DEP_3)
	v_lshlrev_b32_e32 v2, 20, v35
	v_lshl_add_u32 v0, v0, 23, 0x3c000000
	v_and_b32_e32 v1, 0x80000000, v1
	s_delay_alu instid0(VALU_DEP_1)
	v_or3_b32 v0, v2, v1, v0
.LBB442_130:                            ;   in Loop: Header=BB442_13 Depth=1
	s_or_b32 exec_lo, exec_lo, s23
.LBB442_131:                            ;   in Loop: Header=BB442_13 Depth=1
	s_delay_alu instid0(SALU_CYCLE_1)
	s_or_b32 exec_lo, exec_lo, s22
.LBB442_132:                            ;   in Loop: Header=BB442_13 Depth=1
	s_delay_alu instid0(SALU_CYCLE_1) | instskip(NEXT) | instid1(VALU_DEP_1)
	s_or_b32 exec_lo, exec_lo, s21
	v_mul_f32_e32 v0, v155, v0
                                        ; implicit-def: $vgpr172
	s_delay_alu instid0(VALU_DEP_1) | instskip(NEXT) | instid1(VALU_DEP_1)
	v_and_b32_e32 v1, 0x7f800000, v0
	v_cmp_ne_u32_e64 s1, 0x7f800000, v1
	s_delay_alu instid0(VALU_DEP_1) | instskip(NEXT) | instid1(SALU_CYCLE_1)
	s_and_saveexec_b32 s21, s1
	s_xor_b32 s1, exec_lo, s21
; %bb.133:                              ;   in Loop: Header=BB442_13 Depth=1
	v_bfe_u32 v1, v0, 16, 1
	s_delay_alu instid0(VALU_DEP_1)
	v_add3_u32 v172, v0, v1, 0x7fff
                                        ; implicit-def: $vgpr0
; %bb.134:                              ;   in Loop: Header=BB442_13 Depth=1
	s_and_not1_saveexec_b32 s21, s1
; %bb.135:                              ;   in Loop: Header=BB442_13 Depth=1
	v_and_b32_e32 v1, 0xffff, v0
	v_or_b32_e32 v2, 0x10000, v0
	s_delay_alu instid0(VALU_DEP_2) | instskip(NEXT) | instid1(VALU_DEP_1)
	v_cmp_eq_u32_e64 s1, 0, v1
	v_cndmask_b32_e64 v172, v2, v0, s1
; %bb.136:                              ;   in Loop: Header=BB442_13 Depth=1
	s_or_b32 exec_lo, exec_lo, s21
	v_lshrrev_b32_e32 v0, 16, v33
	s_mov_b32 s21, exec_lo
	s_delay_alu instid0(VALU_DEP_1) | instskip(NEXT) | instid1(VALU_DEP_1)
	v_dual_mov_b32 v1, 0 :: v_dual_and_b32 v2, 0xff, v0
	v_cmpx_ne_u16_e32 0, v2
	s_cbranch_execz .LBB442_144
; %bb.137:                              ;   in Loop: Header=BB442_13 Depth=1
	v_bfrev_b32_e32 v1, 1
	s_mov_b32 s22, exec_lo
	v_cmpx_ne_u16_e32 0x80, v2
	s_cbranch_execz .LBB442_143
; %bb.138:                              ;   in Loop: Header=BB442_13 Depth=1
	v_bfe_u32 v2, v33, 16, 7
	v_mov_b32_e32 v1, 0x7f800001
	s_mov_b32 s23, exec_lo
	s_delay_alu instid0(VALU_DEP_2)
	v_cmpx_ne_u32_e32 0x7f, v2
	s_cbranch_execz .LBB442_142
; %bb.139:                              ;   in Loop: Header=BB442_13 Depth=1
	v_and_b32_e32 v19, 7, v0
	v_lshrrev_b32_e32 v1, 3, v2
	v_mov_b32_e32 v36, v20
	s_mov_b32 s24, exec_lo
	s_delay_alu instid0(VALU_DEP_3)
	v_mov_b32_e32 v35, v19
	v_cmpx_gt_u32_e32 8, v2
; %bb.140:                              ;   in Loop: Header=BB442_13 Depth=1
	v_clz_i32_u32_e32 v1, v19
	s_delay_alu instid0(VALU_DEP_1) | instskip(NEXT) | instid1(VALU_DEP_1)
	v_min_u32_e32 v1, 32, v1
	v_subrev_nc_u32_e32 v2, 28, v1
	v_sub_nc_u32_e32 v1, 29, v1
	s_delay_alu instid0(VALU_DEP_2) | instskip(NEXT) | instid1(VALU_DEP_1)
	v_lshlrev_b64 v[2:3], v2, v[19:20]
	v_and_b32_e32 v35, 7, v2
; %bb.141:                              ;   in Loop: Header=BB442_13 Depth=1
	s_or_b32 exec_lo, exec_lo, s24
	v_lshlrev_b32_e32 v0, 24, v0
	s_delay_alu instid0(VALU_DEP_2) | instskip(SKIP_1) | instid1(VALU_DEP_3)
	v_lshlrev_b32_e32 v2, 20, v35
	v_lshl_add_u32 v1, v1, 23, 0x3c000000
	v_and_b32_e32 v0, 0x80000000, v0
	s_delay_alu instid0(VALU_DEP_1)
	v_or3_b32 v1, v2, v0, v1
.LBB442_142:                            ;   in Loop: Header=BB442_13 Depth=1
	s_or_b32 exec_lo, exec_lo, s23
.LBB442_143:                            ;   in Loop: Header=BB442_13 Depth=1
	s_delay_alu instid0(SALU_CYCLE_1)
	s_or_b32 exec_lo, exec_lo, s22
.LBB442_144:                            ;   in Loop: Header=BB442_13 Depth=1
	s_delay_alu instid0(SALU_CYCLE_1) | instskip(NEXT) | instid1(VALU_DEP_1)
	s_or_b32 exec_lo, exec_lo, s21
	v_mul_f32_e32 v0, v155, v1
                                        ; implicit-def: $vgpr173
	s_delay_alu instid0(VALU_DEP_1) | instskip(NEXT) | instid1(VALU_DEP_1)
	v_and_b32_e32 v1, 0x7f800000, v0
	v_cmp_ne_u32_e64 s1, 0x7f800000, v1
	s_delay_alu instid0(VALU_DEP_1) | instskip(NEXT) | instid1(SALU_CYCLE_1)
	s_and_saveexec_b32 s21, s1
	s_xor_b32 s1, exec_lo, s21
; %bb.145:                              ;   in Loop: Header=BB442_13 Depth=1
	v_bfe_u32 v1, v0, 16, 1
	s_delay_alu instid0(VALU_DEP_1)
	v_add3_u32 v173, v0, v1, 0x7fff
                                        ; implicit-def: $vgpr0
; %bb.146:                              ;   in Loop: Header=BB442_13 Depth=1
	s_and_not1_saveexec_b32 s21, s1
; %bb.147:                              ;   in Loop: Header=BB442_13 Depth=1
	v_and_b32_e32 v1, 0xffff, v0
	v_or_b32_e32 v2, 0x10000, v0
	s_delay_alu instid0(VALU_DEP_2) | instskip(NEXT) | instid1(VALU_DEP_1)
	v_cmp_eq_u32_e64 s1, 0, v1
	v_cndmask_b32_e64 v173, v2, v0, s1
; %bb.148:                              ;   in Loop: Header=BB442_13 Depth=1
	s_or_b32 exec_lo, exec_lo, s21
	v_mov_b32_e32 v1, 0
	s_mov_b32 s21, exec_lo
	v_cmpx_lt_u32_e32 0xffffff, v33
	s_cbranch_execz .LBB442_156
; %bb.149:                              ;   in Loop: Header=BB442_13 Depth=1
	v_lshrrev_b32_e32 v0, 24, v33
	v_bfrev_b32_e32 v1, 1
	s_mov_b32 s22, exec_lo
	s_delay_alu instid0(VALU_DEP_2)
	v_cmpx_ne_u32_e32 0x80, v0
	s_cbranch_execz .LBB442_155
; %bb.150:                              ;   in Loop: Header=BB442_13 Depth=1
	v_bfe_u32 v2, v33, 24, 7
	v_mov_b32_e32 v1, 0x7f800001
	s_mov_b32 s23, exec_lo
	s_delay_alu instid0(VALU_DEP_2)
	v_cmpx_ne_u32_e32 0x7f, v2
	s_cbranch_execz .LBB442_154
; %bb.151:                              ;   in Loop: Header=BB442_13 Depth=1
	v_and_b32_e32 v19, 7, v0
	v_lshrrev_b32_e32 v1, 3, v2
	v_mov_b32_e32 v36, v20
	s_mov_b32 s24, exec_lo
	s_delay_alu instid0(VALU_DEP_3)
	v_mov_b32_e32 v35, v19
	v_cmpx_gt_u32_e32 8, v2
; %bb.152:                              ;   in Loop: Header=BB442_13 Depth=1
	v_clz_i32_u32_e32 v1, v19
	s_delay_alu instid0(VALU_DEP_1) | instskip(NEXT) | instid1(VALU_DEP_1)
	v_min_u32_e32 v1, 32, v1
	v_subrev_nc_u32_e32 v2, 28, v1
	v_sub_nc_u32_e32 v1, 29, v1
	s_delay_alu instid0(VALU_DEP_2) | instskip(NEXT) | instid1(VALU_DEP_1)
	v_lshlrev_b64 v[2:3], v2, v[19:20]
	v_and_b32_e32 v35, 7, v2
; %bb.153:                              ;   in Loop: Header=BB442_13 Depth=1
	s_or_b32 exec_lo, exec_lo, s24
	v_lshlrev_b32_e32 v0, 24, v0
	s_delay_alu instid0(VALU_DEP_2) | instskip(SKIP_1) | instid1(VALU_DEP_3)
	v_lshlrev_b32_e32 v2, 20, v35
	v_lshl_add_u32 v1, v1, 23, 0x3c000000
	v_and_b32_e32 v0, 0x80000000, v0
	s_delay_alu instid0(VALU_DEP_1)
	v_or3_b32 v1, v2, v0, v1
.LBB442_154:                            ;   in Loop: Header=BB442_13 Depth=1
	s_or_b32 exec_lo, exec_lo, s23
.LBB442_155:                            ;   in Loop: Header=BB442_13 Depth=1
	s_delay_alu instid0(SALU_CYCLE_1)
	s_or_b32 exec_lo, exec_lo, s22
.LBB442_156:                            ;   in Loop: Header=BB442_13 Depth=1
	s_delay_alu instid0(SALU_CYCLE_1) | instskip(NEXT) | instid1(VALU_DEP_1)
	s_or_b32 exec_lo, exec_lo, s21
	v_mul_f32_e32 v0, v155, v1
                                        ; implicit-def: $vgpr174
	s_delay_alu instid0(VALU_DEP_1) | instskip(NEXT) | instid1(VALU_DEP_1)
	v_and_b32_e32 v1, 0x7f800000, v0
	v_cmp_ne_u32_e64 s1, 0x7f800000, v1
	s_delay_alu instid0(VALU_DEP_1) | instskip(NEXT) | instid1(SALU_CYCLE_1)
	s_and_saveexec_b32 s21, s1
	s_xor_b32 s1, exec_lo, s21
; %bb.157:                              ;   in Loop: Header=BB442_13 Depth=1
	v_bfe_u32 v1, v0, 16, 1
	s_delay_alu instid0(VALU_DEP_1)
	v_add3_u32 v174, v0, v1, 0x7fff
                                        ; implicit-def: $vgpr0
; %bb.158:                              ;   in Loop: Header=BB442_13 Depth=1
	s_and_not1_saveexec_b32 s21, s1
; %bb.159:                              ;   in Loop: Header=BB442_13 Depth=1
	v_and_b32_e32 v1, 0xffff, v0
	v_or_b32_e32 v2, 0x10000, v0
	s_delay_alu instid0(VALU_DEP_2) | instskip(NEXT) | instid1(VALU_DEP_1)
	v_cmp_eq_u32_e64 s1, 0, v1
	v_cndmask_b32_e64 v174, v2, v0, s1
; %bb.160:                              ;   in Loop: Header=BB442_13 Depth=1
	s_or_b32 exec_lo, exec_lo, s21
	v_dual_mov_b32 v0, 0 :: v_dual_and_b32 v1, 0xff, v34
	v_mov_b32_e32 v19, v34
	s_mov_b32 s21, exec_lo
	s_delay_alu instid0(VALU_DEP_2)
	v_cmpx_ne_u16_e32 0, v1
	s_cbranch_execz .LBB442_168
; %bb.161:                              ;   in Loop: Header=BB442_13 Depth=1
	v_bfrev_b32_e32 v0, 1
	s_mov_b32 s22, exec_lo
	v_cmpx_ne_u16_e32 0x80, v1
	s_cbranch_execz .LBB442_167
; %bb.162:                              ;   in Loop: Header=BB442_13 Depth=1
	v_and_b32_e32 v1, 0x7f, v34
	v_mov_b32_e32 v0, 0x7f800001
	s_mov_b32 s23, exec_lo
	s_delay_alu instid0(VALU_DEP_2)
	v_cmpx_ne_u32_e32 0x7f, v1
	s_cbranch_execz .LBB442_166
; %bb.163:                              ;   in Loop: Header=BB442_13 Depth=1
	v_lshrrev_b32_e32 v0, 3, v1
	v_dual_mov_b32 v36, v20 :: v_dual_mov_b32 v35, v19
	s_mov_b32 s24, exec_lo
	v_cmpx_gt_u32_e32 8, v1
; %bb.164:                              ;   in Loop: Header=BB442_13 Depth=1
	v_and_b32_e32 v0, 7, v34
	s_delay_alu instid0(VALU_DEP_1) | instskip(NEXT) | instid1(VALU_DEP_1)
	v_clz_i32_u32_e32 v0, v0
	v_min_u32_e32 v0, 32, v0
	s_delay_alu instid0(VALU_DEP_1) | instskip(SKIP_1) | instid1(VALU_DEP_2)
	v_subrev_nc_u32_e32 v1, 28, v0
	v_sub_nc_u32_e32 v0, 29, v0
	v_lshlrev_b64 v[35:36], v1, v[19:20]
; %bb.165:                              ;   in Loop: Header=BB442_13 Depth=1
	s_or_b32 exec_lo, exec_lo, s24
	s_delay_alu instid0(VALU_DEP_1) | instskip(SKIP_2) | instid1(VALU_DEP_3)
	v_lshlrev_b32_e32 v1, 20, v35
	v_lshlrev_b32_e32 v2, 24, v19
	v_lshl_add_u32 v0, v0, 23, 0x3c000000
	v_and_b32_e32 v1, 0x700000, v1
	s_delay_alu instid0(VALU_DEP_3) | instskip(NEXT) | instid1(VALU_DEP_1)
	v_and_b32_e32 v2, 0x80000000, v2
	v_or3_b32 v0, v1, v2, v0
.LBB442_166:                            ;   in Loop: Header=BB442_13 Depth=1
	s_or_b32 exec_lo, exec_lo, s23
.LBB442_167:                            ;   in Loop: Header=BB442_13 Depth=1
	s_delay_alu instid0(SALU_CYCLE_1)
	s_or_b32 exec_lo, exec_lo, s22
.LBB442_168:                            ;   in Loop: Header=BB442_13 Depth=1
	s_delay_alu instid0(SALU_CYCLE_1) | instskip(NEXT) | instid1(VALU_DEP_1)
	s_or_b32 exec_lo, exec_lo, s21
	v_mul_f32_e32 v0, v155, v0
                                        ; implicit-def: $vgpr175
	s_delay_alu instid0(VALU_DEP_1) | instskip(NEXT) | instid1(VALU_DEP_1)
	v_and_b32_e32 v1, 0x7f800000, v0
	v_cmp_ne_u32_e64 s1, 0x7f800000, v1
	s_delay_alu instid0(VALU_DEP_1) | instskip(NEXT) | instid1(SALU_CYCLE_1)
	s_and_saveexec_b32 s21, s1
	s_xor_b32 s1, exec_lo, s21
; %bb.169:                              ;   in Loop: Header=BB442_13 Depth=1
	v_bfe_u32 v1, v0, 16, 1
	s_delay_alu instid0(VALU_DEP_1)
	v_add3_u32 v175, v0, v1, 0x7fff
                                        ; implicit-def: $vgpr0
; %bb.170:                              ;   in Loop: Header=BB442_13 Depth=1
	s_and_not1_saveexec_b32 s21, s1
; %bb.171:                              ;   in Loop: Header=BB442_13 Depth=1
	v_and_b32_e32 v1, 0xffff, v0
	v_or_b32_e32 v2, 0x10000, v0
	s_delay_alu instid0(VALU_DEP_2) | instskip(NEXT) | instid1(VALU_DEP_1)
	v_cmp_eq_u32_e64 s1, 0, v1
	v_cndmask_b32_e64 v175, v2, v0, s1
; %bb.172:                              ;   in Loop: Header=BB442_13 Depth=1
	s_or_b32 exec_lo, exec_lo, s21
	v_lshrrev_b16 v1, 8, v19
	v_mov_b32_e32 v0, 0
	s_mov_b32 s21, exec_lo
	s_delay_alu instid0(VALU_DEP_2)
	v_cmpx_ne_u16_e32 0, v1
	s_cbranch_execz .LBB442_180
; %bb.173:                              ;   in Loop: Header=BB442_13 Depth=1
	v_bfrev_b32_e32 v0, 1
	s_mov_b32 s22, exec_lo
	v_cmpx_ne_u16_e32 0x80, v1
	s_cbranch_execz .LBB442_179
; %bb.174:                              ;   in Loop: Header=BB442_13 Depth=1
	v_and_b32_e32 v2, 0xffff, v1
	v_mov_b32_e32 v0, 0x7f800001
	s_mov_b32 s23, exec_lo
	s_delay_alu instid0(VALU_DEP_2) | instskip(NEXT) | instid1(VALU_DEP_1)
	v_and_b32_e32 v1, 0x7f, v2
	v_cmpx_ne_u32_e32 0x7f, v1
	s_cbranch_execz .LBB442_178
; %bb.175:                              ;   in Loop: Header=BB442_13 Depth=1
	v_dual_mov_b32 v36, v20 :: v_dual_and_b32 v35, 7, v2
	v_lshrrev_b32_e32 v0, 3, v1
	s_mov_b32 s24, exec_lo
	v_cmpx_gt_u32_e32 8, v1
; %bb.176:                              ;   in Loop: Header=BB442_13 Depth=1
	s_delay_alu instid0(VALU_DEP_3) | instskip(NEXT) | instid1(VALU_DEP_1)
	v_clz_i32_u32_e32 v0, v35
	v_min_u32_e32 v0, 32, v0
	s_delay_alu instid0(VALU_DEP_1) | instskip(SKIP_1) | instid1(VALU_DEP_2)
	v_subrev_nc_u32_e32 v1, 28, v0
	v_sub_nc_u32_e32 v0, 29, v0
	v_lshlrev_b64 v[1:2], v1, v[35:36]
	s_delay_alu instid0(VALU_DEP_1)
	v_and_b32_e32 v35, 7, v1
; %bb.177:                              ;   in Loop: Header=BB442_13 Depth=1
	s_or_b32 exec_lo, exec_lo, s24
	v_lshlrev_b32_e32 v1, 16, v19
	s_delay_alu instid0(VALU_DEP_2) | instskip(SKIP_1) | instid1(VALU_DEP_3)
	v_lshlrev_b32_e32 v2, 20, v35
	v_lshl_add_u32 v0, v0, 23, 0x3c000000
	v_and_b32_e32 v1, 0x80000000, v1
	s_delay_alu instid0(VALU_DEP_1)
	v_or3_b32 v0, v2, v1, v0
.LBB442_178:                            ;   in Loop: Header=BB442_13 Depth=1
	s_or_b32 exec_lo, exec_lo, s23
.LBB442_179:                            ;   in Loop: Header=BB442_13 Depth=1
	s_delay_alu instid0(SALU_CYCLE_1)
	s_or_b32 exec_lo, exec_lo, s22
.LBB442_180:                            ;   in Loop: Header=BB442_13 Depth=1
	s_delay_alu instid0(SALU_CYCLE_1) | instskip(NEXT) | instid1(VALU_DEP_1)
	s_or_b32 exec_lo, exec_lo, s21
	v_mul_f32_e32 v0, v155, v0
                                        ; implicit-def: $vgpr184
	s_delay_alu instid0(VALU_DEP_1) | instskip(NEXT) | instid1(VALU_DEP_1)
	v_and_b32_e32 v1, 0x7f800000, v0
	v_cmp_ne_u32_e64 s1, 0x7f800000, v1
	s_delay_alu instid0(VALU_DEP_1) | instskip(NEXT) | instid1(SALU_CYCLE_1)
	s_and_saveexec_b32 s21, s1
	s_xor_b32 s1, exec_lo, s21
; %bb.181:                              ;   in Loop: Header=BB442_13 Depth=1
	v_bfe_u32 v1, v0, 16, 1
	s_delay_alu instid0(VALU_DEP_1)
	v_add3_u32 v184, v0, v1, 0x7fff
                                        ; implicit-def: $vgpr0
; %bb.182:                              ;   in Loop: Header=BB442_13 Depth=1
	s_and_not1_saveexec_b32 s21, s1
; %bb.183:                              ;   in Loop: Header=BB442_13 Depth=1
	v_and_b32_e32 v1, 0xffff, v0
	v_or_b32_e32 v2, 0x10000, v0
	s_delay_alu instid0(VALU_DEP_2) | instskip(NEXT) | instid1(VALU_DEP_1)
	v_cmp_eq_u32_e64 s1, 0, v1
	v_cndmask_b32_e64 v184, v2, v0, s1
; %bb.184:                              ;   in Loop: Header=BB442_13 Depth=1
	s_or_b32 exec_lo, exec_lo, s21
	v_lshrrev_b32_e32 v0, 16, v34
	s_mov_b32 s21, exec_lo
	s_delay_alu instid0(VALU_DEP_1) | instskip(NEXT) | instid1(VALU_DEP_1)
	v_dual_mov_b32 v1, 0 :: v_dual_and_b32 v2, 0xff, v0
	v_cmpx_ne_u16_e32 0, v2
	s_cbranch_execz .LBB442_192
; %bb.185:                              ;   in Loop: Header=BB442_13 Depth=1
	v_bfrev_b32_e32 v1, 1
	s_mov_b32 s22, exec_lo
	v_cmpx_ne_u16_e32 0x80, v2
	s_cbranch_execz .LBB442_191
; %bb.186:                              ;   in Loop: Header=BB442_13 Depth=1
	v_bfe_u32 v2, v34, 16, 7
	v_mov_b32_e32 v1, 0x7f800001
	s_mov_b32 s23, exec_lo
	s_delay_alu instid0(VALU_DEP_2)
	v_cmpx_ne_u32_e32 0x7f, v2
	s_cbranch_execz .LBB442_190
; %bb.187:                              ;   in Loop: Header=BB442_13 Depth=1
	v_and_b32_e32 v19, 7, v0
	v_lshrrev_b32_e32 v1, 3, v2
	v_mov_b32_e32 v36, v20
	s_mov_b32 s24, exec_lo
	s_delay_alu instid0(VALU_DEP_3)
	v_mov_b32_e32 v35, v19
	v_cmpx_gt_u32_e32 8, v2
; %bb.188:                              ;   in Loop: Header=BB442_13 Depth=1
	v_clz_i32_u32_e32 v1, v19
	s_delay_alu instid0(VALU_DEP_1) | instskip(NEXT) | instid1(VALU_DEP_1)
	v_min_u32_e32 v1, 32, v1
	v_subrev_nc_u32_e32 v2, 28, v1
	v_sub_nc_u32_e32 v1, 29, v1
	s_delay_alu instid0(VALU_DEP_2) | instskip(NEXT) | instid1(VALU_DEP_1)
	v_lshlrev_b64 v[2:3], v2, v[19:20]
	v_and_b32_e32 v35, 7, v2
; %bb.189:                              ;   in Loop: Header=BB442_13 Depth=1
	s_or_b32 exec_lo, exec_lo, s24
	v_lshlrev_b32_e32 v0, 24, v0
	s_delay_alu instid0(VALU_DEP_2) | instskip(SKIP_1) | instid1(VALU_DEP_3)
	v_lshlrev_b32_e32 v2, 20, v35
	v_lshl_add_u32 v1, v1, 23, 0x3c000000
	v_and_b32_e32 v0, 0x80000000, v0
	s_delay_alu instid0(VALU_DEP_1)
	v_or3_b32 v1, v2, v0, v1
.LBB442_190:                            ;   in Loop: Header=BB442_13 Depth=1
	s_or_b32 exec_lo, exec_lo, s23
.LBB442_191:                            ;   in Loop: Header=BB442_13 Depth=1
	s_delay_alu instid0(SALU_CYCLE_1)
	s_or_b32 exec_lo, exec_lo, s22
.LBB442_192:                            ;   in Loop: Header=BB442_13 Depth=1
	s_delay_alu instid0(SALU_CYCLE_1) | instskip(NEXT) | instid1(VALU_DEP_1)
	s_or_b32 exec_lo, exec_lo, s21
	v_mul_f32_e32 v0, v155, v1
                                        ; implicit-def: $vgpr185
	s_delay_alu instid0(VALU_DEP_1) | instskip(NEXT) | instid1(VALU_DEP_1)
	v_and_b32_e32 v1, 0x7f800000, v0
	v_cmp_ne_u32_e64 s1, 0x7f800000, v1
	s_delay_alu instid0(VALU_DEP_1) | instskip(NEXT) | instid1(SALU_CYCLE_1)
	s_and_saveexec_b32 s21, s1
	s_xor_b32 s1, exec_lo, s21
; %bb.193:                              ;   in Loop: Header=BB442_13 Depth=1
	v_bfe_u32 v1, v0, 16, 1
	s_delay_alu instid0(VALU_DEP_1)
	v_add3_u32 v185, v0, v1, 0x7fff
                                        ; implicit-def: $vgpr0
; %bb.194:                              ;   in Loop: Header=BB442_13 Depth=1
	s_and_not1_saveexec_b32 s21, s1
; %bb.195:                              ;   in Loop: Header=BB442_13 Depth=1
	v_and_b32_e32 v1, 0xffff, v0
	v_or_b32_e32 v2, 0x10000, v0
	s_delay_alu instid0(VALU_DEP_2) | instskip(NEXT) | instid1(VALU_DEP_1)
	v_cmp_eq_u32_e64 s1, 0, v1
	v_cndmask_b32_e64 v185, v2, v0, s1
; %bb.196:                              ;   in Loop: Header=BB442_13 Depth=1
	s_or_b32 exec_lo, exec_lo, s21
	v_mov_b32_e32 v1, 0
	s_mov_b32 s21, exec_lo
	v_cmpx_lt_u64_e64 s[16:17], v[33:34]
	s_cbranch_execz .LBB442_204
; %bb.197:                              ;   in Loop: Header=BB442_13 Depth=1
	v_lshrrev_b32_e32 v0, 24, v34
	v_bfrev_b32_e32 v1, 1
	s_mov_b32 s22, exec_lo
	s_delay_alu instid0(VALU_DEP_2)
	v_cmpx_ne_u32_e32 0x80, v0
	s_cbranch_execz .LBB442_203
; %bb.198:                              ;   in Loop: Header=BB442_13 Depth=1
	v_bfe_u32 v2, v34, 24, 7
	v_mov_b32_e32 v1, 0x7f800001
	s_mov_b32 s23, exec_lo
	s_delay_alu instid0(VALU_DEP_2)
	v_cmpx_ne_u32_e32 0x7f, v2
	s_cbranch_execz .LBB442_202
; %bb.199:                              ;   in Loop: Header=BB442_13 Depth=1
	v_and_b32_e32 v19, 7, v0
	v_lshrrev_b32_e32 v1, 3, v2
	v_mov_b32_e32 v34, v20
	s_mov_b32 s24, exec_lo
	s_delay_alu instid0(VALU_DEP_3)
	v_mov_b32_e32 v33, v19
	v_cmpx_gt_u32_e32 8, v2
; %bb.200:                              ;   in Loop: Header=BB442_13 Depth=1
	v_clz_i32_u32_e32 v1, v19
	s_delay_alu instid0(VALU_DEP_1) | instskip(NEXT) | instid1(VALU_DEP_1)
	v_min_u32_e32 v1, 32, v1
	v_subrev_nc_u32_e32 v2, 28, v1
	v_sub_nc_u32_e32 v1, 29, v1
	s_delay_alu instid0(VALU_DEP_2) | instskip(NEXT) | instid1(VALU_DEP_1)
	v_lshlrev_b64 v[2:3], v2, v[19:20]
	v_and_b32_e32 v33, 7, v2
; %bb.201:                              ;   in Loop: Header=BB442_13 Depth=1
	s_or_b32 exec_lo, exec_lo, s24
	v_lshlrev_b32_e32 v0, 24, v0
	s_delay_alu instid0(VALU_DEP_2) | instskip(SKIP_1) | instid1(VALU_DEP_3)
	v_lshlrev_b32_e32 v2, 20, v33
	v_lshl_add_u32 v1, v1, 23, 0x3c000000
	v_and_b32_e32 v0, 0x80000000, v0
	s_delay_alu instid0(VALU_DEP_1)
	v_or3_b32 v1, v2, v0, v1
.LBB442_202:                            ;   in Loop: Header=BB442_13 Depth=1
	s_or_b32 exec_lo, exec_lo, s23
.LBB442_203:                            ;   in Loop: Header=BB442_13 Depth=1
	s_delay_alu instid0(SALU_CYCLE_1)
	s_or_b32 exec_lo, exec_lo, s22
.LBB442_204:                            ;   in Loop: Header=BB442_13 Depth=1
	s_delay_alu instid0(SALU_CYCLE_1) | instskip(NEXT) | instid1(VALU_DEP_1)
	s_or_b32 exec_lo, exec_lo, s21
	v_mul_f32_e32 v0, v155, v1
                                        ; implicit-def: $vgpr186
	s_delay_alu instid0(VALU_DEP_1) | instskip(NEXT) | instid1(VALU_DEP_1)
	v_and_b32_e32 v1, 0x7f800000, v0
	v_cmp_ne_u32_e64 s1, 0x7f800000, v1
	s_delay_alu instid0(VALU_DEP_1) | instskip(NEXT) | instid1(SALU_CYCLE_1)
	s_and_saveexec_b32 s21, s1
	s_xor_b32 s1, exec_lo, s21
; %bb.205:                              ;   in Loop: Header=BB442_13 Depth=1
	v_bfe_u32 v1, v0, 16, 1
	s_delay_alu instid0(VALU_DEP_1)
	v_add3_u32 v186, v0, v1, 0x7fff
                                        ; implicit-def: $vgpr0
; %bb.206:                              ;   in Loop: Header=BB442_13 Depth=1
	s_and_not1_saveexec_b32 s21, s1
; %bb.207:                              ;   in Loop: Header=BB442_13 Depth=1
	v_and_b32_e32 v1, 0xffff, v0
	v_or_b32_e32 v2, 0x10000, v0
	s_delay_alu instid0(VALU_DEP_2) | instskip(NEXT) | instid1(VALU_DEP_1)
	v_cmp_eq_u32_e64 s1, 0, v1
	v_cndmask_b32_e64 v186, v2, v0, s1
; %bb.208:                              ;   in Loop: Header=BB442_13 Depth=1
	s_or_b32 exec_lo, exec_lo, s21
	flat_load_b64 v[33:34], v[31:32] offset:512
	s_mov_b32 s21, exec_lo
	s_waitcnt vmcnt(0) lgkmcnt(0)
	v_dual_mov_b32 v0, 0 :: v_dual_and_b32 v1, 0xff, v33
	s_delay_alu instid0(VALU_DEP_1)
	v_cmpx_ne_u16_e32 0, v1
	s_cbranch_execz .LBB442_216
; %bb.209:                              ;   in Loop: Header=BB442_13 Depth=1
	v_bfrev_b32_e32 v0, 1
	s_mov_b32 s22, exec_lo
	v_cmpx_ne_u16_e32 0x80, v1
	s_cbranch_execz .LBB442_215
; %bb.210:                              ;   in Loop: Header=BB442_13 Depth=1
	v_and_b32_e32 v1, 0x7f, v33
	v_mov_b32_e32 v0, 0x7f800001
	s_mov_b32 s23, exec_lo
	s_delay_alu instid0(VALU_DEP_2)
	v_cmpx_ne_u32_e32 0x7f, v1
	s_cbranch_execz .LBB442_214
; %bb.211:                              ;   in Loop: Header=BB442_13 Depth=1
	v_lshrrev_b32_e32 v0, 3, v1
	v_dual_mov_b32 v36, v34 :: v_dual_mov_b32 v35, v33
	s_mov_b32 s24, exec_lo
	v_cmpx_gt_u32_e32 8, v1
; %bb.212:                              ;   in Loop: Header=BB442_13 Depth=1
	v_and_b32_e32 v0, 7, v33
	s_delay_alu instid0(VALU_DEP_1) | instskip(NEXT) | instid1(VALU_DEP_1)
	v_clz_i32_u32_e32 v0, v0
	v_min_u32_e32 v0, 32, v0
	s_delay_alu instid0(VALU_DEP_1) | instskip(SKIP_1) | instid1(VALU_DEP_2)
	v_subrev_nc_u32_e32 v1, 28, v0
	v_sub_nc_u32_e32 v0, 29, v0
	v_lshlrev_b64 v[35:36], v1, v[33:34]
; %bb.213:                              ;   in Loop: Header=BB442_13 Depth=1
	s_or_b32 exec_lo, exec_lo, s24
	s_delay_alu instid0(VALU_DEP_1) | instskip(SKIP_2) | instid1(VALU_DEP_3)
	v_lshlrev_b32_e32 v1, 20, v35
	v_lshlrev_b32_e32 v2, 24, v33
	v_lshl_add_u32 v0, v0, 23, 0x3c000000
	v_and_b32_e32 v1, 0x700000, v1
	s_delay_alu instid0(VALU_DEP_3) | instskip(NEXT) | instid1(VALU_DEP_1)
	v_and_b32_e32 v2, 0x80000000, v2
	v_or3_b32 v0, v1, v2, v0
.LBB442_214:                            ;   in Loop: Header=BB442_13 Depth=1
	s_or_b32 exec_lo, exec_lo, s23
.LBB442_215:                            ;   in Loop: Header=BB442_13 Depth=1
	s_delay_alu instid0(SALU_CYCLE_1)
	s_or_b32 exec_lo, exec_lo, s22
.LBB442_216:                            ;   in Loop: Header=BB442_13 Depth=1
	s_delay_alu instid0(SALU_CYCLE_1) | instskip(NEXT) | instid1(VALU_DEP_1)
	s_or_b32 exec_lo, exec_lo, s21
	v_mul_f32_e32 v0, v155, v0
                                        ; implicit-def: $vgpr187
	s_delay_alu instid0(VALU_DEP_1) | instskip(NEXT) | instid1(VALU_DEP_1)
	v_and_b32_e32 v1, 0x7f800000, v0
	v_cmp_ne_u32_e64 s1, 0x7f800000, v1
	s_delay_alu instid0(VALU_DEP_1) | instskip(NEXT) | instid1(SALU_CYCLE_1)
	s_and_saveexec_b32 s21, s1
	s_xor_b32 s1, exec_lo, s21
; %bb.217:                              ;   in Loop: Header=BB442_13 Depth=1
	v_bfe_u32 v1, v0, 16, 1
	s_delay_alu instid0(VALU_DEP_1)
	v_add3_u32 v187, v0, v1, 0x7fff
                                        ; implicit-def: $vgpr0
; %bb.218:                              ;   in Loop: Header=BB442_13 Depth=1
	s_and_not1_saveexec_b32 s21, s1
; %bb.219:                              ;   in Loop: Header=BB442_13 Depth=1
	v_and_b32_e32 v1, 0xffff, v0
	v_or_b32_e32 v2, 0x10000, v0
	s_delay_alu instid0(VALU_DEP_2) | instskip(NEXT) | instid1(VALU_DEP_1)
	v_cmp_eq_u32_e64 s1, 0, v1
	v_cndmask_b32_e64 v187, v2, v0, s1
; %bb.220:                              ;   in Loop: Header=BB442_13 Depth=1
	s_or_b32 exec_lo, exec_lo, s21
	v_lshrrev_b16 v1, 8, v33
	v_mov_b32_e32 v0, 0
	s_mov_b32 s21, exec_lo
	s_delay_alu instid0(VALU_DEP_2)
	v_cmpx_ne_u16_e32 0, v1
	s_cbranch_execz .LBB442_228
; %bb.221:                              ;   in Loop: Header=BB442_13 Depth=1
	v_bfrev_b32_e32 v0, 1
	s_mov_b32 s22, exec_lo
	v_cmpx_ne_u16_e32 0x80, v1
	s_cbranch_execz .LBB442_227
; %bb.222:                              ;   in Loop: Header=BB442_13 Depth=1
	v_and_b32_e32 v2, 0xffff, v1
	v_mov_b32_e32 v0, 0x7f800001
	s_mov_b32 s23, exec_lo
	s_delay_alu instid0(VALU_DEP_2) | instskip(NEXT) | instid1(VALU_DEP_1)
	v_and_b32_e32 v1, 0x7f, v2
	v_cmpx_ne_u32_e32 0x7f, v1
	s_cbranch_execz .LBB442_226
; %bb.223:                              ;   in Loop: Header=BB442_13 Depth=1
	v_and_b32_e32 v19, 7, v2
	v_lshrrev_b32_e32 v0, 3, v1
	v_mov_b32_e32 v36, v20
	s_mov_b32 s24, exec_lo
	s_delay_alu instid0(VALU_DEP_3)
	v_mov_b32_e32 v35, v19
	v_cmpx_gt_u32_e32 8, v1
; %bb.224:                              ;   in Loop: Header=BB442_13 Depth=1
	v_clz_i32_u32_e32 v0, v19
	s_delay_alu instid0(VALU_DEP_1) | instskip(NEXT) | instid1(VALU_DEP_1)
	v_min_u32_e32 v0, 32, v0
	v_subrev_nc_u32_e32 v1, 28, v0
	v_sub_nc_u32_e32 v0, 29, v0
	s_delay_alu instid0(VALU_DEP_2) | instskip(NEXT) | instid1(VALU_DEP_1)
	v_lshlrev_b64 v[1:2], v1, v[19:20]
	v_and_b32_e32 v35, 7, v1
; %bb.225:                              ;   in Loop: Header=BB442_13 Depth=1
	s_or_b32 exec_lo, exec_lo, s24
	v_lshlrev_b32_e32 v1, 16, v33
	s_delay_alu instid0(VALU_DEP_2) | instskip(SKIP_1) | instid1(VALU_DEP_3)
	v_lshlrev_b32_e32 v2, 20, v35
	v_lshl_add_u32 v0, v0, 23, 0x3c000000
	v_and_b32_e32 v1, 0x80000000, v1
	s_delay_alu instid0(VALU_DEP_1)
	v_or3_b32 v0, v2, v1, v0
.LBB442_226:                            ;   in Loop: Header=BB442_13 Depth=1
	s_or_b32 exec_lo, exec_lo, s23
.LBB442_227:                            ;   in Loop: Header=BB442_13 Depth=1
	s_delay_alu instid0(SALU_CYCLE_1)
	s_or_b32 exec_lo, exec_lo, s22
.LBB442_228:                            ;   in Loop: Header=BB442_13 Depth=1
	s_delay_alu instid0(SALU_CYCLE_1) | instskip(NEXT) | instid1(VALU_DEP_1)
	s_or_b32 exec_lo, exec_lo, s21
	v_mul_f32_e32 v0, v155, v0
                                        ; implicit-def: $vgpr188
	s_delay_alu instid0(VALU_DEP_1) | instskip(NEXT) | instid1(VALU_DEP_1)
	v_and_b32_e32 v1, 0x7f800000, v0
	v_cmp_ne_u32_e64 s1, 0x7f800000, v1
	s_delay_alu instid0(VALU_DEP_1) | instskip(NEXT) | instid1(SALU_CYCLE_1)
	s_and_saveexec_b32 s21, s1
	s_xor_b32 s1, exec_lo, s21
; %bb.229:                              ;   in Loop: Header=BB442_13 Depth=1
	v_bfe_u32 v1, v0, 16, 1
	s_delay_alu instid0(VALU_DEP_1)
	v_add3_u32 v188, v0, v1, 0x7fff
                                        ; implicit-def: $vgpr0
; %bb.230:                              ;   in Loop: Header=BB442_13 Depth=1
	s_and_not1_saveexec_b32 s21, s1
; %bb.231:                              ;   in Loop: Header=BB442_13 Depth=1
	v_and_b32_e32 v1, 0xffff, v0
	v_or_b32_e32 v2, 0x10000, v0
	s_delay_alu instid0(VALU_DEP_2) | instskip(NEXT) | instid1(VALU_DEP_1)
	v_cmp_eq_u32_e64 s1, 0, v1
	v_cndmask_b32_e64 v188, v2, v0, s1
; %bb.232:                              ;   in Loop: Header=BB442_13 Depth=1
	s_or_b32 exec_lo, exec_lo, s21
	v_lshrrev_b32_e32 v0, 16, v33
	s_mov_b32 s21, exec_lo
	s_delay_alu instid0(VALU_DEP_1) | instskip(NEXT) | instid1(VALU_DEP_1)
	v_dual_mov_b32 v1, 0 :: v_dual_and_b32 v2, 0xff, v0
	v_cmpx_ne_u16_e32 0, v2
	s_cbranch_execz .LBB442_240
; %bb.233:                              ;   in Loop: Header=BB442_13 Depth=1
	v_bfrev_b32_e32 v1, 1
	s_mov_b32 s22, exec_lo
	v_cmpx_ne_u16_e32 0x80, v2
	s_cbranch_execz .LBB442_239
; %bb.234:                              ;   in Loop: Header=BB442_13 Depth=1
	v_bfe_u32 v2, v33, 16, 7
	v_mov_b32_e32 v1, 0x7f800001
	s_mov_b32 s23, exec_lo
	s_delay_alu instid0(VALU_DEP_2)
	v_cmpx_ne_u32_e32 0x7f, v2
	s_cbranch_execz .LBB442_238
; %bb.235:                              ;   in Loop: Header=BB442_13 Depth=1
	v_and_b32_e32 v19, 7, v0
	v_lshrrev_b32_e32 v1, 3, v2
	v_mov_b32_e32 v36, v20
	s_mov_b32 s24, exec_lo
	s_delay_alu instid0(VALU_DEP_3)
	v_mov_b32_e32 v35, v19
	v_cmpx_gt_u32_e32 8, v2
; %bb.236:                              ;   in Loop: Header=BB442_13 Depth=1
	v_clz_i32_u32_e32 v1, v19
	s_delay_alu instid0(VALU_DEP_1) | instskip(NEXT) | instid1(VALU_DEP_1)
	v_min_u32_e32 v1, 32, v1
	v_subrev_nc_u32_e32 v2, 28, v1
	v_sub_nc_u32_e32 v1, 29, v1
	s_delay_alu instid0(VALU_DEP_2) | instskip(NEXT) | instid1(VALU_DEP_1)
	v_lshlrev_b64 v[2:3], v2, v[19:20]
	v_and_b32_e32 v35, 7, v2
; %bb.237:                              ;   in Loop: Header=BB442_13 Depth=1
	s_or_b32 exec_lo, exec_lo, s24
	v_lshlrev_b32_e32 v0, 24, v0
	s_delay_alu instid0(VALU_DEP_2) | instskip(SKIP_1) | instid1(VALU_DEP_3)
	v_lshlrev_b32_e32 v2, 20, v35
	v_lshl_add_u32 v1, v1, 23, 0x3c000000
	v_and_b32_e32 v0, 0x80000000, v0
	s_delay_alu instid0(VALU_DEP_1)
	v_or3_b32 v1, v2, v0, v1
.LBB442_238:                            ;   in Loop: Header=BB442_13 Depth=1
	s_or_b32 exec_lo, exec_lo, s23
.LBB442_239:                            ;   in Loop: Header=BB442_13 Depth=1
	s_delay_alu instid0(SALU_CYCLE_1)
	s_or_b32 exec_lo, exec_lo, s22
.LBB442_240:                            ;   in Loop: Header=BB442_13 Depth=1
	s_delay_alu instid0(SALU_CYCLE_1) | instskip(NEXT) | instid1(VALU_DEP_1)
	s_or_b32 exec_lo, exec_lo, s21
	v_mul_f32_e32 v0, v155, v1
                                        ; implicit-def: $vgpr189
	s_delay_alu instid0(VALU_DEP_1) | instskip(NEXT) | instid1(VALU_DEP_1)
	v_and_b32_e32 v1, 0x7f800000, v0
	v_cmp_ne_u32_e64 s1, 0x7f800000, v1
	s_delay_alu instid0(VALU_DEP_1) | instskip(NEXT) | instid1(SALU_CYCLE_1)
	s_and_saveexec_b32 s21, s1
	s_xor_b32 s1, exec_lo, s21
; %bb.241:                              ;   in Loop: Header=BB442_13 Depth=1
	v_bfe_u32 v1, v0, 16, 1
	s_delay_alu instid0(VALU_DEP_1)
	v_add3_u32 v189, v0, v1, 0x7fff
                                        ; implicit-def: $vgpr0
; %bb.242:                              ;   in Loop: Header=BB442_13 Depth=1
	s_and_not1_saveexec_b32 s21, s1
; %bb.243:                              ;   in Loop: Header=BB442_13 Depth=1
	v_and_b32_e32 v1, 0xffff, v0
	v_or_b32_e32 v2, 0x10000, v0
	s_delay_alu instid0(VALU_DEP_2) | instskip(NEXT) | instid1(VALU_DEP_1)
	v_cmp_eq_u32_e64 s1, 0, v1
	v_cndmask_b32_e64 v189, v2, v0, s1
; %bb.244:                              ;   in Loop: Header=BB442_13 Depth=1
	s_or_b32 exec_lo, exec_lo, s21
	v_mov_b32_e32 v1, 0
	s_mov_b32 s21, exec_lo
	v_cmpx_lt_u32_e32 0xffffff, v33
	s_cbranch_execz .LBB442_252
; %bb.245:                              ;   in Loop: Header=BB442_13 Depth=1
	v_lshrrev_b32_e32 v0, 24, v33
	v_bfrev_b32_e32 v1, 1
	s_mov_b32 s22, exec_lo
	s_delay_alu instid0(VALU_DEP_2)
	v_cmpx_ne_u32_e32 0x80, v0
	s_cbranch_execz .LBB442_251
; %bb.246:                              ;   in Loop: Header=BB442_13 Depth=1
	v_bfe_u32 v2, v33, 24, 7
	v_mov_b32_e32 v1, 0x7f800001
	s_mov_b32 s23, exec_lo
	s_delay_alu instid0(VALU_DEP_2)
	v_cmpx_ne_u32_e32 0x7f, v2
	s_cbranch_execz .LBB442_250
; %bb.247:                              ;   in Loop: Header=BB442_13 Depth=1
	v_and_b32_e32 v19, 7, v0
	v_lshrrev_b32_e32 v1, 3, v2
	v_mov_b32_e32 v36, v20
	s_mov_b32 s24, exec_lo
	s_delay_alu instid0(VALU_DEP_3)
	v_mov_b32_e32 v35, v19
	v_cmpx_gt_u32_e32 8, v2
; %bb.248:                              ;   in Loop: Header=BB442_13 Depth=1
	v_clz_i32_u32_e32 v1, v19
	s_delay_alu instid0(VALU_DEP_1) | instskip(NEXT) | instid1(VALU_DEP_1)
	v_min_u32_e32 v1, 32, v1
	v_subrev_nc_u32_e32 v2, 28, v1
	v_sub_nc_u32_e32 v1, 29, v1
	s_delay_alu instid0(VALU_DEP_2) | instskip(NEXT) | instid1(VALU_DEP_1)
	v_lshlrev_b64 v[2:3], v2, v[19:20]
	v_and_b32_e32 v35, 7, v2
; %bb.249:                              ;   in Loop: Header=BB442_13 Depth=1
	s_or_b32 exec_lo, exec_lo, s24
	v_lshlrev_b32_e32 v0, 24, v0
	s_delay_alu instid0(VALU_DEP_2) | instskip(SKIP_1) | instid1(VALU_DEP_3)
	v_lshlrev_b32_e32 v2, 20, v35
	v_lshl_add_u32 v1, v1, 23, 0x3c000000
	v_and_b32_e32 v0, 0x80000000, v0
	s_delay_alu instid0(VALU_DEP_1)
	v_or3_b32 v1, v2, v0, v1
.LBB442_250:                            ;   in Loop: Header=BB442_13 Depth=1
	s_or_b32 exec_lo, exec_lo, s23
.LBB442_251:                            ;   in Loop: Header=BB442_13 Depth=1
	s_delay_alu instid0(SALU_CYCLE_1)
	s_or_b32 exec_lo, exec_lo, s22
.LBB442_252:                            ;   in Loop: Header=BB442_13 Depth=1
	s_delay_alu instid0(SALU_CYCLE_1) | instskip(NEXT) | instid1(VALU_DEP_1)
	s_or_b32 exec_lo, exec_lo, s21
	v_mul_f32_e32 v0, v155, v1
                                        ; implicit-def: $vgpr190
	s_delay_alu instid0(VALU_DEP_1) | instskip(NEXT) | instid1(VALU_DEP_1)
	v_and_b32_e32 v1, 0x7f800000, v0
	v_cmp_ne_u32_e64 s1, 0x7f800000, v1
	s_delay_alu instid0(VALU_DEP_1) | instskip(NEXT) | instid1(SALU_CYCLE_1)
	s_and_saveexec_b32 s21, s1
	s_xor_b32 s1, exec_lo, s21
; %bb.253:                              ;   in Loop: Header=BB442_13 Depth=1
	v_bfe_u32 v1, v0, 16, 1
	s_delay_alu instid0(VALU_DEP_1)
	v_add3_u32 v190, v0, v1, 0x7fff
                                        ; implicit-def: $vgpr0
; %bb.254:                              ;   in Loop: Header=BB442_13 Depth=1
	s_and_not1_saveexec_b32 s21, s1
; %bb.255:                              ;   in Loop: Header=BB442_13 Depth=1
	v_and_b32_e32 v1, 0xffff, v0
	v_or_b32_e32 v2, 0x10000, v0
	s_delay_alu instid0(VALU_DEP_2) | instskip(NEXT) | instid1(VALU_DEP_1)
	v_cmp_eq_u32_e64 s1, 0, v1
	v_cndmask_b32_e64 v190, v2, v0, s1
; %bb.256:                              ;   in Loop: Header=BB442_13 Depth=1
	s_or_b32 exec_lo, exec_lo, s21
	v_dual_mov_b32 v0, 0 :: v_dual_and_b32 v1, 0xff, v34
	v_mov_b32_e32 v19, v34
	s_mov_b32 s21, exec_lo
	s_delay_alu instid0(VALU_DEP_2)
	v_cmpx_ne_u16_e32 0, v1
	s_cbranch_execz .LBB442_264
; %bb.257:                              ;   in Loop: Header=BB442_13 Depth=1
	v_bfrev_b32_e32 v0, 1
	s_mov_b32 s22, exec_lo
	v_cmpx_ne_u16_e32 0x80, v1
	s_cbranch_execz .LBB442_263
; %bb.258:                              ;   in Loop: Header=BB442_13 Depth=1
	v_and_b32_e32 v1, 0x7f, v34
	v_mov_b32_e32 v0, 0x7f800001
	s_mov_b32 s23, exec_lo
	s_delay_alu instid0(VALU_DEP_2)
	v_cmpx_ne_u32_e32 0x7f, v1
	s_cbranch_execz .LBB442_262
; %bb.259:                              ;   in Loop: Header=BB442_13 Depth=1
	v_lshrrev_b32_e32 v0, 3, v1
	v_dual_mov_b32 v36, v20 :: v_dual_mov_b32 v35, v19
	s_mov_b32 s24, exec_lo
	v_cmpx_gt_u32_e32 8, v1
; %bb.260:                              ;   in Loop: Header=BB442_13 Depth=1
	v_and_b32_e32 v0, 7, v34
	s_delay_alu instid0(VALU_DEP_1) | instskip(NEXT) | instid1(VALU_DEP_1)
	v_clz_i32_u32_e32 v0, v0
	v_min_u32_e32 v0, 32, v0
	s_delay_alu instid0(VALU_DEP_1) | instskip(SKIP_1) | instid1(VALU_DEP_2)
	v_subrev_nc_u32_e32 v1, 28, v0
	v_sub_nc_u32_e32 v0, 29, v0
	v_lshlrev_b64 v[35:36], v1, v[19:20]
; %bb.261:                              ;   in Loop: Header=BB442_13 Depth=1
	s_or_b32 exec_lo, exec_lo, s24
	s_delay_alu instid0(VALU_DEP_1) | instskip(SKIP_2) | instid1(VALU_DEP_3)
	v_lshlrev_b32_e32 v1, 20, v35
	v_lshlrev_b32_e32 v2, 24, v19
	v_lshl_add_u32 v0, v0, 23, 0x3c000000
	v_and_b32_e32 v1, 0x700000, v1
	s_delay_alu instid0(VALU_DEP_3) | instskip(NEXT) | instid1(VALU_DEP_1)
	v_and_b32_e32 v2, 0x80000000, v2
	v_or3_b32 v0, v1, v2, v0
.LBB442_262:                            ;   in Loop: Header=BB442_13 Depth=1
	s_or_b32 exec_lo, exec_lo, s23
.LBB442_263:                            ;   in Loop: Header=BB442_13 Depth=1
	s_delay_alu instid0(SALU_CYCLE_1)
	s_or_b32 exec_lo, exec_lo, s22
.LBB442_264:                            ;   in Loop: Header=BB442_13 Depth=1
	s_delay_alu instid0(SALU_CYCLE_1) | instskip(NEXT) | instid1(VALU_DEP_1)
	s_or_b32 exec_lo, exec_lo, s21
	v_mul_f32_e32 v0, v155, v0
                                        ; implicit-def: $vgpr191
	s_delay_alu instid0(VALU_DEP_1) | instskip(NEXT) | instid1(VALU_DEP_1)
	v_and_b32_e32 v1, 0x7f800000, v0
	v_cmp_ne_u32_e64 s1, 0x7f800000, v1
	s_delay_alu instid0(VALU_DEP_1) | instskip(NEXT) | instid1(SALU_CYCLE_1)
	s_and_saveexec_b32 s21, s1
	s_xor_b32 s1, exec_lo, s21
; %bb.265:                              ;   in Loop: Header=BB442_13 Depth=1
	v_bfe_u32 v1, v0, 16, 1
	s_delay_alu instid0(VALU_DEP_1)
	v_add3_u32 v191, v0, v1, 0x7fff
                                        ; implicit-def: $vgpr0
; %bb.266:                              ;   in Loop: Header=BB442_13 Depth=1
	s_and_not1_saveexec_b32 s21, s1
; %bb.267:                              ;   in Loop: Header=BB442_13 Depth=1
	v_and_b32_e32 v1, 0xffff, v0
	v_or_b32_e32 v2, 0x10000, v0
	s_delay_alu instid0(VALU_DEP_2) | instskip(NEXT) | instid1(VALU_DEP_1)
	v_cmp_eq_u32_e64 s1, 0, v1
	v_cndmask_b32_e64 v191, v2, v0, s1
; %bb.268:                              ;   in Loop: Header=BB442_13 Depth=1
	s_or_b32 exec_lo, exec_lo, s21
	v_lshrrev_b16 v1, 8, v19
	v_mov_b32_e32 v0, 0
	s_mov_b32 s21, exec_lo
	s_delay_alu instid0(VALU_DEP_2)
	v_cmpx_ne_u16_e32 0, v1
	s_cbranch_execz .LBB442_276
; %bb.269:                              ;   in Loop: Header=BB442_13 Depth=1
	v_bfrev_b32_e32 v0, 1
	s_mov_b32 s22, exec_lo
	v_cmpx_ne_u16_e32 0x80, v1
	s_cbranch_execz .LBB442_275
; %bb.270:                              ;   in Loop: Header=BB442_13 Depth=1
	v_and_b32_e32 v2, 0xffff, v1
	v_mov_b32_e32 v0, 0x7f800001
	s_mov_b32 s23, exec_lo
	s_delay_alu instid0(VALU_DEP_2) | instskip(NEXT) | instid1(VALU_DEP_1)
	v_and_b32_e32 v1, 0x7f, v2
	v_cmpx_ne_u32_e32 0x7f, v1
	s_cbranch_execz .LBB442_274
; %bb.271:                              ;   in Loop: Header=BB442_13 Depth=1
	v_dual_mov_b32 v36, v20 :: v_dual_and_b32 v35, 7, v2
	v_lshrrev_b32_e32 v0, 3, v1
	s_mov_b32 s24, exec_lo
	v_cmpx_gt_u32_e32 8, v1
; %bb.272:                              ;   in Loop: Header=BB442_13 Depth=1
	s_delay_alu instid0(VALU_DEP_3) | instskip(NEXT) | instid1(VALU_DEP_1)
	v_clz_i32_u32_e32 v0, v35
	v_min_u32_e32 v0, 32, v0
	s_delay_alu instid0(VALU_DEP_1) | instskip(SKIP_1) | instid1(VALU_DEP_2)
	v_subrev_nc_u32_e32 v1, 28, v0
	v_sub_nc_u32_e32 v0, 29, v0
	v_lshlrev_b64 v[1:2], v1, v[35:36]
	s_delay_alu instid0(VALU_DEP_1)
	v_and_b32_e32 v35, 7, v1
; %bb.273:                              ;   in Loop: Header=BB442_13 Depth=1
	s_or_b32 exec_lo, exec_lo, s24
	v_lshlrev_b32_e32 v1, 16, v19
	s_delay_alu instid0(VALU_DEP_2) | instskip(SKIP_1) | instid1(VALU_DEP_3)
	v_lshlrev_b32_e32 v2, 20, v35
	v_lshl_add_u32 v0, v0, 23, 0x3c000000
	v_and_b32_e32 v1, 0x80000000, v1
	s_delay_alu instid0(VALU_DEP_1)
	v_or3_b32 v0, v2, v1, v0
.LBB442_274:                            ;   in Loop: Header=BB442_13 Depth=1
	s_or_b32 exec_lo, exec_lo, s23
.LBB442_275:                            ;   in Loop: Header=BB442_13 Depth=1
	s_delay_alu instid0(SALU_CYCLE_1)
	s_or_b32 exec_lo, exec_lo, s22
.LBB442_276:                            ;   in Loop: Header=BB442_13 Depth=1
	s_delay_alu instid0(SALU_CYCLE_1) | instskip(NEXT) | instid1(VALU_DEP_1)
	s_or_b32 exec_lo, exec_lo, s21
	v_mul_f32_e32 v0, v155, v0
                                        ; implicit-def: $vgpr67
	s_delay_alu instid0(VALU_DEP_1) | instskip(NEXT) | instid1(VALU_DEP_1)
	v_and_b32_e32 v1, 0x7f800000, v0
	v_cmp_ne_u32_e64 s1, 0x7f800000, v1
	s_delay_alu instid0(VALU_DEP_1) | instskip(NEXT) | instid1(SALU_CYCLE_1)
	s_and_saveexec_b32 s21, s1
	s_xor_b32 s1, exec_lo, s21
; %bb.277:                              ;   in Loop: Header=BB442_13 Depth=1
	v_bfe_u32 v1, v0, 16, 1
	s_delay_alu instid0(VALU_DEP_1)
	v_add3_u32 v67, v0, v1, 0x7fff
                                        ; implicit-def: $vgpr0
; %bb.278:                              ;   in Loop: Header=BB442_13 Depth=1
	s_and_not1_saveexec_b32 s21, s1
; %bb.279:                              ;   in Loop: Header=BB442_13 Depth=1
	v_and_b32_e32 v1, 0xffff, v0
	v_or_b32_e32 v2, 0x10000, v0
	s_delay_alu instid0(VALU_DEP_2) | instskip(NEXT) | instid1(VALU_DEP_1)
	v_cmp_eq_u32_e64 s1, 0, v1
	v_cndmask_b32_e64 v67, v2, v0, s1
; %bb.280:                              ;   in Loop: Header=BB442_13 Depth=1
	s_or_b32 exec_lo, exec_lo, s21
	v_lshrrev_b32_e32 v0, 16, v34
	s_mov_b32 s21, exec_lo
	s_delay_alu instid0(VALU_DEP_1) | instskip(NEXT) | instid1(VALU_DEP_1)
	v_dual_mov_b32 v1, 0 :: v_dual_and_b32 v2, 0xff, v0
	v_cmpx_ne_u16_e32 0, v2
	s_cbranch_execz .LBB442_288
; %bb.281:                              ;   in Loop: Header=BB442_13 Depth=1
	v_bfrev_b32_e32 v1, 1
	s_mov_b32 s22, exec_lo
	v_cmpx_ne_u16_e32 0x80, v2
	s_cbranch_execz .LBB442_287
; %bb.282:                              ;   in Loop: Header=BB442_13 Depth=1
	v_bfe_u32 v2, v34, 16, 7
	v_mov_b32_e32 v1, 0x7f800001
	s_mov_b32 s23, exec_lo
	s_delay_alu instid0(VALU_DEP_2)
	v_cmpx_ne_u32_e32 0x7f, v2
	s_cbranch_execz .LBB442_286
; %bb.283:                              ;   in Loop: Header=BB442_13 Depth=1
	v_and_b32_e32 v19, 7, v0
	v_lshrrev_b32_e32 v1, 3, v2
	v_mov_b32_e32 v36, v20
	s_mov_b32 s24, exec_lo
	s_delay_alu instid0(VALU_DEP_3)
	v_mov_b32_e32 v35, v19
	v_cmpx_gt_u32_e32 8, v2
; %bb.284:                              ;   in Loop: Header=BB442_13 Depth=1
	v_clz_i32_u32_e32 v1, v19
	s_delay_alu instid0(VALU_DEP_1) | instskip(NEXT) | instid1(VALU_DEP_1)
	v_min_u32_e32 v1, 32, v1
	v_subrev_nc_u32_e32 v2, 28, v1
	v_sub_nc_u32_e32 v1, 29, v1
	s_delay_alu instid0(VALU_DEP_2) | instskip(NEXT) | instid1(VALU_DEP_1)
	v_lshlrev_b64 v[2:3], v2, v[19:20]
	v_and_b32_e32 v35, 7, v2
; %bb.285:                              ;   in Loop: Header=BB442_13 Depth=1
	s_or_b32 exec_lo, exec_lo, s24
	v_lshlrev_b32_e32 v0, 24, v0
	s_delay_alu instid0(VALU_DEP_2) | instskip(SKIP_1) | instid1(VALU_DEP_3)
	v_lshlrev_b32_e32 v2, 20, v35
	v_lshl_add_u32 v1, v1, 23, 0x3c000000
	v_and_b32_e32 v0, 0x80000000, v0
	s_delay_alu instid0(VALU_DEP_1)
	v_or3_b32 v1, v2, v0, v1
.LBB442_286:                            ;   in Loop: Header=BB442_13 Depth=1
	s_or_b32 exec_lo, exec_lo, s23
.LBB442_287:                            ;   in Loop: Header=BB442_13 Depth=1
	s_delay_alu instid0(SALU_CYCLE_1)
	s_or_b32 exec_lo, exec_lo, s22
.LBB442_288:                            ;   in Loop: Header=BB442_13 Depth=1
	s_delay_alu instid0(SALU_CYCLE_1) | instskip(NEXT) | instid1(VALU_DEP_1)
	s_or_b32 exec_lo, exec_lo, s21
	v_mul_f32_e32 v0, v155, v1
                                        ; implicit-def: $vgpr5
	s_delay_alu instid0(VALU_DEP_1) | instskip(NEXT) | instid1(VALU_DEP_1)
	v_and_b32_e32 v1, 0x7f800000, v0
	v_cmp_ne_u32_e64 s1, 0x7f800000, v1
	s_delay_alu instid0(VALU_DEP_1) | instskip(NEXT) | instid1(SALU_CYCLE_1)
	s_and_saveexec_b32 s21, s1
	s_xor_b32 s1, exec_lo, s21
; %bb.289:                              ;   in Loop: Header=BB442_13 Depth=1
	v_bfe_u32 v1, v0, 16, 1
	s_delay_alu instid0(VALU_DEP_1)
	v_add3_u32 v5, v0, v1, 0x7fff
                                        ; implicit-def: $vgpr0
; %bb.290:                              ;   in Loop: Header=BB442_13 Depth=1
	s_and_not1_saveexec_b32 s21, s1
; %bb.291:                              ;   in Loop: Header=BB442_13 Depth=1
	v_and_b32_e32 v1, 0xffff, v0
	v_or_b32_e32 v2, 0x10000, v0
	s_delay_alu instid0(VALU_DEP_2) | instskip(NEXT) | instid1(VALU_DEP_1)
	v_cmp_eq_u32_e64 s1, 0, v1
	v_cndmask_b32_e64 v5, v2, v0, s1
; %bb.292:                              ;   in Loop: Header=BB442_13 Depth=1
	s_or_b32 exec_lo, exec_lo, s21
	v_mov_b32_e32 v1, 0
	s_mov_b32 s21, exec_lo
	v_cmpx_lt_u64_e64 s[16:17], v[33:34]
	s_cbranch_execz .LBB442_300
; %bb.293:                              ;   in Loop: Header=BB442_13 Depth=1
	v_lshrrev_b32_e32 v0, 24, v34
	v_bfrev_b32_e32 v1, 1
	s_mov_b32 s22, exec_lo
	s_delay_alu instid0(VALU_DEP_2)
	v_cmpx_ne_u32_e32 0x80, v0
	s_cbranch_execz .LBB442_299
; %bb.294:                              ;   in Loop: Header=BB442_13 Depth=1
	v_bfe_u32 v2, v34, 24, 7
	v_mov_b32_e32 v1, 0x7f800001
	s_mov_b32 s23, exec_lo
	s_delay_alu instid0(VALU_DEP_2)
	v_cmpx_ne_u32_e32 0x7f, v2
	s_cbranch_execz .LBB442_298
; %bb.295:                              ;   in Loop: Header=BB442_13 Depth=1
	v_and_b32_e32 v19, 7, v0
	v_lshrrev_b32_e32 v1, 3, v2
	v_mov_b32_e32 v34, v20
	s_mov_b32 s24, exec_lo
	s_delay_alu instid0(VALU_DEP_3)
	v_mov_b32_e32 v33, v19
	v_cmpx_gt_u32_e32 8, v2
; %bb.296:                              ;   in Loop: Header=BB442_13 Depth=1
	v_clz_i32_u32_e32 v1, v19
	s_delay_alu instid0(VALU_DEP_1) | instskip(NEXT) | instid1(VALU_DEP_1)
	v_min_u32_e32 v1, 32, v1
	v_subrev_nc_u32_e32 v2, 28, v1
	v_sub_nc_u32_e32 v1, 29, v1
	s_delay_alu instid0(VALU_DEP_2) | instskip(NEXT) | instid1(VALU_DEP_1)
	v_lshlrev_b64 v[2:3], v2, v[19:20]
	v_and_b32_e32 v33, 7, v2
; %bb.297:                              ;   in Loop: Header=BB442_13 Depth=1
	s_or_b32 exec_lo, exec_lo, s24
	v_lshlrev_b32_e32 v0, 24, v0
	s_delay_alu instid0(VALU_DEP_2) | instskip(SKIP_1) | instid1(VALU_DEP_3)
	v_lshlrev_b32_e32 v2, 20, v33
	v_lshl_add_u32 v1, v1, 23, 0x3c000000
	v_and_b32_e32 v0, 0x80000000, v0
	s_delay_alu instid0(VALU_DEP_1)
	v_or3_b32 v1, v2, v0, v1
.LBB442_298:                            ;   in Loop: Header=BB442_13 Depth=1
	s_or_b32 exec_lo, exec_lo, s23
.LBB442_299:                            ;   in Loop: Header=BB442_13 Depth=1
	s_delay_alu instid0(SALU_CYCLE_1)
	s_or_b32 exec_lo, exec_lo, s22
.LBB442_300:                            ;   in Loop: Header=BB442_13 Depth=1
	s_delay_alu instid0(SALU_CYCLE_1) | instskip(NEXT) | instid1(VALU_DEP_1)
	s_or_b32 exec_lo, exec_lo, s21
	v_mul_f32_e32 v0, v155, v1
                                        ; implicit-def: $vgpr4
	s_delay_alu instid0(VALU_DEP_1) | instskip(NEXT) | instid1(VALU_DEP_1)
	v_and_b32_e32 v1, 0x7f800000, v0
	v_cmp_ne_u32_e64 s1, 0x7f800000, v1
	s_delay_alu instid0(VALU_DEP_1) | instskip(NEXT) | instid1(SALU_CYCLE_1)
	s_and_saveexec_b32 s21, s1
	s_xor_b32 s1, exec_lo, s21
; %bb.301:                              ;   in Loop: Header=BB442_13 Depth=1
	v_bfe_u32 v1, v0, 16, 1
	s_delay_alu instid0(VALU_DEP_1)
	v_add3_u32 v4, v0, v1, 0x7fff
                                        ; implicit-def: $vgpr0
; %bb.302:                              ;   in Loop: Header=BB442_13 Depth=1
	s_and_not1_saveexec_b32 s21, s1
; %bb.303:                              ;   in Loop: Header=BB442_13 Depth=1
	v_and_b32_e32 v1, 0xffff, v0
	v_or_b32_e32 v2, 0x10000, v0
	s_delay_alu instid0(VALU_DEP_2) | instskip(NEXT) | instid1(VALU_DEP_1)
	v_cmp_eq_u32_e64 s1, 0, v1
	v_cndmask_b32_e64 v4, v2, v0, s1
; %bb.304:                              ;   in Loop: Header=BB442_13 Depth=1
	s_or_b32 exec_lo, exec_lo, s21
	flat_load_b64 v[33:34], v[31:32] offset:520
	s_mov_b32 s21, exec_lo
	s_waitcnt vmcnt(0) lgkmcnt(0)
	v_dual_mov_b32 v0, 0 :: v_dual_and_b32 v1, 0xff, v33
	s_delay_alu instid0(VALU_DEP_1)
	v_cmpx_ne_u16_e32 0, v1
	s_cbranch_execz .LBB442_312
; %bb.305:                              ;   in Loop: Header=BB442_13 Depth=1
	v_bfrev_b32_e32 v0, 1
	s_mov_b32 s22, exec_lo
	v_cmpx_ne_u16_e32 0x80, v1
	s_cbranch_execz .LBB442_311
; %bb.306:                              ;   in Loop: Header=BB442_13 Depth=1
	v_and_b32_e32 v1, 0x7f, v33
	v_mov_b32_e32 v0, 0x7f800001
	s_mov_b32 s23, exec_lo
	s_delay_alu instid0(VALU_DEP_2)
	v_cmpx_ne_u32_e32 0x7f, v1
	s_cbranch_execz .LBB442_310
; %bb.307:                              ;   in Loop: Header=BB442_13 Depth=1
	v_lshrrev_b32_e32 v0, 3, v1
	v_dual_mov_b32 v36, v34 :: v_dual_mov_b32 v35, v33
	s_mov_b32 s24, exec_lo
	v_cmpx_gt_u32_e32 8, v1
; %bb.308:                              ;   in Loop: Header=BB442_13 Depth=1
	v_and_b32_e32 v0, 7, v33
	s_delay_alu instid0(VALU_DEP_1) | instskip(NEXT) | instid1(VALU_DEP_1)
	v_clz_i32_u32_e32 v0, v0
	v_min_u32_e32 v0, 32, v0
	s_delay_alu instid0(VALU_DEP_1) | instskip(SKIP_1) | instid1(VALU_DEP_2)
	v_subrev_nc_u32_e32 v1, 28, v0
	v_sub_nc_u32_e32 v0, 29, v0
	v_lshlrev_b64 v[35:36], v1, v[33:34]
; %bb.309:                              ;   in Loop: Header=BB442_13 Depth=1
	s_or_b32 exec_lo, exec_lo, s24
	s_delay_alu instid0(VALU_DEP_1) | instskip(SKIP_2) | instid1(VALU_DEP_3)
	v_lshlrev_b32_e32 v1, 20, v35
	v_lshlrev_b32_e32 v2, 24, v33
	v_lshl_add_u32 v0, v0, 23, 0x3c000000
	v_and_b32_e32 v1, 0x700000, v1
	s_delay_alu instid0(VALU_DEP_3) | instskip(NEXT) | instid1(VALU_DEP_1)
	v_and_b32_e32 v2, 0x80000000, v2
	v_or3_b32 v0, v1, v2, v0
.LBB442_310:                            ;   in Loop: Header=BB442_13 Depth=1
	s_or_b32 exec_lo, exec_lo, s23
.LBB442_311:                            ;   in Loop: Header=BB442_13 Depth=1
	s_delay_alu instid0(SALU_CYCLE_1)
	s_or_b32 exec_lo, exec_lo, s22
.LBB442_312:                            ;   in Loop: Header=BB442_13 Depth=1
	s_delay_alu instid0(SALU_CYCLE_1) | instskip(NEXT) | instid1(VALU_DEP_1)
	s_or_b32 exec_lo, exec_lo, s21
	v_mul_f32_e32 v0, v155, v0
                                        ; implicit-def: $vgpr68
	s_delay_alu instid0(VALU_DEP_1) | instskip(NEXT) | instid1(VALU_DEP_1)
	v_and_b32_e32 v1, 0x7f800000, v0
	v_cmp_ne_u32_e64 s1, 0x7f800000, v1
	s_delay_alu instid0(VALU_DEP_1) | instskip(NEXT) | instid1(SALU_CYCLE_1)
	s_and_saveexec_b32 s21, s1
	s_xor_b32 s1, exec_lo, s21
; %bb.313:                              ;   in Loop: Header=BB442_13 Depth=1
	v_bfe_u32 v1, v0, 16, 1
	s_delay_alu instid0(VALU_DEP_1)
	v_add3_u32 v68, v0, v1, 0x7fff
                                        ; implicit-def: $vgpr0
; %bb.314:                              ;   in Loop: Header=BB442_13 Depth=1
	s_and_not1_saveexec_b32 s21, s1
; %bb.315:                              ;   in Loop: Header=BB442_13 Depth=1
	v_and_b32_e32 v1, 0xffff, v0
	v_or_b32_e32 v2, 0x10000, v0
	s_delay_alu instid0(VALU_DEP_2) | instskip(NEXT) | instid1(VALU_DEP_1)
	v_cmp_eq_u32_e64 s1, 0, v1
	v_cndmask_b32_e64 v68, v2, v0, s1
; %bb.316:                              ;   in Loop: Header=BB442_13 Depth=1
	s_or_b32 exec_lo, exec_lo, s21
	v_lshrrev_b16 v1, 8, v33
	v_mov_b32_e32 v0, 0
	s_mov_b32 s21, exec_lo
	s_delay_alu instid0(VALU_DEP_2)
	v_cmpx_ne_u16_e32 0, v1
	s_cbranch_execz .LBB442_324
; %bb.317:                              ;   in Loop: Header=BB442_13 Depth=1
	v_bfrev_b32_e32 v0, 1
	s_mov_b32 s22, exec_lo
	v_cmpx_ne_u16_e32 0x80, v1
	s_cbranch_execz .LBB442_323
; %bb.318:                              ;   in Loop: Header=BB442_13 Depth=1
	v_and_b32_e32 v2, 0xffff, v1
	v_mov_b32_e32 v0, 0x7f800001
	s_mov_b32 s23, exec_lo
	s_delay_alu instid0(VALU_DEP_2) | instskip(NEXT) | instid1(VALU_DEP_1)
	v_and_b32_e32 v1, 0x7f, v2
	v_cmpx_ne_u32_e32 0x7f, v1
	s_cbranch_execz .LBB442_322
; %bb.319:                              ;   in Loop: Header=BB442_13 Depth=1
	v_and_b32_e32 v19, 7, v2
	v_lshrrev_b32_e32 v0, 3, v1
	v_mov_b32_e32 v36, v20
	s_mov_b32 s24, exec_lo
	s_delay_alu instid0(VALU_DEP_3)
	v_mov_b32_e32 v35, v19
	v_cmpx_gt_u32_e32 8, v1
; %bb.320:                              ;   in Loop: Header=BB442_13 Depth=1
	v_clz_i32_u32_e32 v0, v19
	s_delay_alu instid0(VALU_DEP_1) | instskip(NEXT) | instid1(VALU_DEP_1)
	v_min_u32_e32 v0, 32, v0
	v_subrev_nc_u32_e32 v1, 28, v0
	v_sub_nc_u32_e32 v0, 29, v0
	s_delay_alu instid0(VALU_DEP_2) | instskip(NEXT) | instid1(VALU_DEP_1)
	v_lshlrev_b64 v[1:2], v1, v[19:20]
	v_and_b32_e32 v35, 7, v1
; %bb.321:                              ;   in Loop: Header=BB442_13 Depth=1
	s_or_b32 exec_lo, exec_lo, s24
	v_lshlrev_b32_e32 v1, 16, v33
	s_delay_alu instid0(VALU_DEP_2) | instskip(SKIP_1) | instid1(VALU_DEP_3)
	v_lshlrev_b32_e32 v2, 20, v35
	v_lshl_add_u32 v0, v0, 23, 0x3c000000
	v_and_b32_e32 v1, 0x80000000, v1
	s_delay_alu instid0(VALU_DEP_1)
	v_or3_b32 v0, v2, v1, v0
.LBB442_322:                            ;   in Loop: Header=BB442_13 Depth=1
	s_or_b32 exec_lo, exec_lo, s23
.LBB442_323:                            ;   in Loop: Header=BB442_13 Depth=1
	s_delay_alu instid0(SALU_CYCLE_1)
	s_or_b32 exec_lo, exec_lo, s22
.LBB442_324:                            ;   in Loop: Header=BB442_13 Depth=1
	s_delay_alu instid0(SALU_CYCLE_1) | instskip(NEXT) | instid1(VALU_DEP_1)
	s_or_b32 exec_lo, exec_lo, s21
	v_mul_f32_e32 v0, v155, v0
                                        ; implicit-def: $vgpr66
	s_delay_alu instid0(VALU_DEP_1) | instskip(NEXT) | instid1(VALU_DEP_1)
	v_and_b32_e32 v1, 0x7f800000, v0
	v_cmp_ne_u32_e64 s1, 0x7f800000, v1
	s_delay_alu instid0(VALU_DEP_1) | instskip(NEXT) | instid1(SALU_CYCLE_1)
	s_and_saveexec_b32 s21, s1
	s_xor_b32 s1, exec_lo, s21
; %bb.325:                              ;   in Loop: Header=BB442_13 Depth=1
	v_bfe_u32 v1, v0, 16, 1
	s_delay_alu instid0(VALU_DEP_1)
	v_add3_u32 v66, v0, v1, 0x7fff
                                        ; implicit-def: $vgpr0
; %bb.326:                              ;   in Loop: Header=BB442_13 Depth=1
	s_and_not1_saveexec_b32 s21, s1
; %bb.327:                              ;   in Loop: Header=BB442_13 Depth=1
	v_and_b32_e32 v1, 0xffff, v0
	v_or_b32_e32 v2, 0x10000, v0
	s_delay_alu instid0(VALU_DEP_2) | instskip(NEXT) | instid1(VALU_DEP_1)
	v_cmp_eq_u32_e64 s1, 0, v1
	v_cndmask_b32_e64 v66, v2, v0, s1
; %bb.328:                              ;   in Loop: Header=BB442_13 Depth=1
	s_or_b32 exec_lo, exec_lo, s21
	v_lshrrev_b32_e32 v0, 16, v33
	s_mov_b32 s21, exec_lo
	s_delay_alu instid0(VALU_DEP_1) | instskip(NEXT) | instid1(VALU_DEP_1)
	v_dual_mov_b32 v1, 0 :: v_dual_and_b32 v2, 0xff, v0
	v_cmpx_ne_u16_e32 0, v2
	s_cbranch_execz .LBB442_336
; %bb.329:                              ;   in Loop: Header=BB442_13 Depth=1
	v_bfrev_b32_e32 v1, 1
	s_mov_b32 s22, exec_lo
	v_cmpx_ne_u16_e32 0x80, v2
	s_cbranch_execz .LBB442_335
; %bb.330:                              ;   in Loop: Header=BB442_13 Depth=1
	v_bfe_u32 v2, v33, 16, 7
	v_mov_b32_e32 v1, 0x7f800001
	s_mov_b32 s23, exec_lo
	s_delay_alu instid0(VALU_DEP_2)
	v_cmpx_ne_u32_e32 0x7f, v2
	s_cbranch_execz .LBB442_334
; %bb.331:                              ;   in Loop: Header=BB442_13 Depth=1
	v_and_b32_e32 v19, 7, v0
	v_lshrrev_b32_e32 v1, 3, v2
	v_mov_b32_e32 v36, v20
	s_mov_b32 s24, exec_lo
	s_delay_alu instid0(VALU_DEP_3)
	v_mov_b32_e32 v35, v19
	v_cmpx_gt_u32_e32 8, v2
; %bb.332:                              ;   in Loop: Header=BB442_13 Depth=1
	v_clz_i32_u32_e32 v1, v19
	s_delay_alu instid0(VALU_DEP_1) | instskip(NEXT) | instid1(VALU_DEP_1)
	v_min_u32_e32 v1, 32, v1
	v_subrev_nc_u32_e32 v2, 28, v1
	v_sub_nc_u32_e32 v1, 29, v1
	s_delay_alu instid0(VALU_DEP_2) | instskip(NEXT) | instid1(VALU_DEP_1)
	v_lshlrev_b64 v[2:3], v2, v[19:20]
	v_and_b32_e32 v35, 7, v2
; %bb.333:                              ;   in Loop: Header=BB442_13 Depth=1
	s_or_b32 exec_lo, exec_lo, s24
	v_lshlrev_b32_e32 v0, 24, v0
	s_delay_alu instid0(VALU_DEP_2) | instskip(SKIP_1) | instid1(VALU_DEP_3)
	v_lshlrev_b32_e32 v2, 20, v35
	v_lshl_add_u32 v1, v1, 23, 0x3c000000
	v_and_b32_e32 v0, 0x80000000, v0
	s_delay_alu instid0(VALU_DEP_1)
	v_or3_b32 v1, v2, v0, v1
.LBB442_334:                            ;   in Loop: Header=BB442_13 Depth=1
	s_or_b32 exec_lo, exec_lo, s23
.LBB442_335:                            ;   in Loop: Header=BB442_13 Depth=1
	s_delay_alu instid0(SALU_CYCLE_1)
	s_or_b32 exec_lo, exec_lo, s22
.LBB442_336:                            ;   in Loop: Header=BB442_13 Depth=1
	s_delay_alu instid0(SALU_CYCLE_1) | instskip(NEXT) | instid1(VALU_DEP_1)
	s_or_b32 exec_lo, exec_lo, s21
	v_mul_f32_e32 v0, v155, v1
                                        ; implicit-def: $vgpr54
	s_delay_alu instid0(VALU_DEP_1) | instskip(NEXT) | instid1(VALU_DEP_1)
	v_and_b32_e32 v1, 0x7f800000, v0
	v_cmp_ne_u32_e64 s1, 0x7f800000, v1
	s_delay_alu instid0(VALU_DEP_1) | instskip(NEXT) | instid1(SALU_CYCLE_1)
	s_and_saveexec_b32 s21, s1
	s_xor_b32 s1, exec_lo, s21
; %bb.337:                              ;   in Loop: Header=BB442_13 Depth=1
	v_bfe_u32 v1, v0, 16, 1
	s_delay_alu instid0(VALU_DEP_1)
	v_add3_u32 v54, v0, v1, 0x7fff
                                        ; implicit-def: $vgpr0
; %bb.338:                              ;   in Loop: Header=BB442_13 Depth=1
	s_and_not1_saveexec_b32 s21, s1
; %bb.339:                              ;   in Loop: Header=BB442_13 Depth=1
	v_and_b32_e32 v1, 0xffff, v0
	v_or_b32_e32 v2, 0x10000, v0
	s_delay_alu instid0(VALU_DEP_2) | instskip(NEXT) | instid1(VALU_DEP_1)
	v_cmp_eq_u32_e64 s1, 0, v1
	v_cndmask_b32_e64 v54, v2, v0, s1
; %bb.340:                              ;   in Loop: Header=BB442_13 Depth=1
	s_or_b32 exec_lo, exec_lo, s21
	v_mov_b32_e32 v1, 0
	s_mov_b32 s21, exec_lo
	v_cmpx_lt_u32_e32 0xffffff, v33
	s_cbranch_execz .LBB442_348
; %bb.341:                              ;   in Loop: Header=BB442_13 Depth=1
	v_lshrrev_b32_e32 v0, 24, v33
	v_bfrev_b32_e32 v1, 1
	s_mov_b32 s22, exec_lo
	s_delay_alu instid0(VALU_DEP_2)
	v_cmpx_ne_u32_e32 0x80, v0
	s_cbranch_execz .LBB442_347
; %bb.342:                              ;   in Loop: Header=BB442_13 Depth=1
	v_bfe_u32 v2, v33, 24, 7
	v_mov_b32_e32 v1, 0x7f800001
	s_mov_b32 s23, exec_lo
	s_delay_alu instid0(VALU_DEP_2)
	v_cmpx_ne_u32_e32 0x7f, v2
	s_cbranch_execz .LBB442_346
; %bb.343:                              ;   in Loop: Header=BB442_13 Depth=1
	v_and_b32_e32 v19, 7, v0
	v_lshrrev_b32_e32 v1, 3, v2
	v_mov_b32_e32 v36, v20
	s_mov_b32 s24, exec_lo
	s_delay_alu instid0(VALU_DEP_3)
	v_mov_b32_e32 v35, v19
	v_cmpx_gt_u32_e32 8, v2
; %bb.344:                              ;   in Loop: Header=BB442_13 Depth=1
	v_clz_i32_u32_e32 v1, v19
	s_delay_alu instid0(VALU_DEP_1) | instskip(NEXT) | instid1(VALU_DEP_1)
	v_min_u32_e32 v1, 32, v1
	v_subrev_nc_u32_e32 v2, 28, v1
	v_sub_nc_u32_e32 v1, 29, v1
	s_delay_alu instid0(VALU_DEP_2) | instskip(NEXT) | instid1(VALU_DEP_1)
	v_lshlrev_b64 v[2:3], v2, v[19:20]
	v_and_b32_e32 v35, 7, v2
; %bb.345:                              ;   in Loop: Header=BB442_13 Depth=1
	s_or_b32 exec_lo, exec_lo, s24
	v_lshlrev_b32_e32 v0, 24, v0
	s_delay_alu instid0(VALU_DEP_2) | instskip(SKIP_1) | instid1(VALU_DEP_3)
	v_lshlrev_b32_e32 v2, 20, v35
	v_lshl_add_u32 v1, v1, 23, 0x3c000000
	v_and_b32_e32 v0, 0x80000000, v0
	s_delay_alu instid0(VALU_DEP_1)
	v_or3_b32 v1, v2, v0, v1
.LBB442_346:                            ;   in Loop: Header=BB442_13 Depth=1
	s_or_b32 exec_lo, exec_lo, s23
.LBB442_347:                            ;   in Loop: Header=BB442_13 Depth=1
	s_delay_alu instid0(SALU_CYCLE_1)
	s_or_b32 exec_lo, exec_lo, s22
.LBB442_348:                            ;   in Loop: Header=BB442_13 Depth=1
	s_delay_alu instid0(SALU_CYCLE_1) | instskip(NEXT) | instid1(VALU_DEP_1)
	s_or_b32 exec_lo, exec_lo, s21
	v_mul_f32_e32 v0, v155, v1
                                        ; implicit-def: $vgpr21
	s_delay_alu instid0(VALU_DEP_1) | instskip(NEXT) | instid1(VALU_DEP_1)
	v_and_b32_e32 v1, 0x7f800000, v0
	v_cmp_ne_u32_e64 s1, 0x7f800000, v1
	s_delay_alu instid0(VALU_DEP_1) | instskip(NEXT) | instid1(SALU_CYCLE_1)
	s_and_saveexec_b32 s21, s1
	s_xor_b32 s1, exec_lo, s21
; %bb.349:                              ;   in Loop: Header=BB442_13 Depth=1
	v_bfe_u32 v1, v0, 16, 1
	s_delay_alu instid0(VALU_DEP_1)
	v_add3_u32 v21, v0, v1, 0x7fff
                                        ; implicit-def: $vgpr0
; %bb.350:                              ;   in Loop: Header=BB442_13 Depth=1
	s_and_not1_saveexec_b32 s21, s1
; %bb.351:                              ;   in Loop: Header=BB442_13 Depth=1
	v_and_b32_e32 v1, 0xffff, v0
	v_or_b32_e32 v2, 0x10000, v0
	s_delay_alu instid0(VALU_DEP_2) | instskip(NEXT) | instid1(VALU_DEP_1)
	v_cmp_eq_u32_e64 s1, 0, v1
	v_cndmask_b32_e64 v21, v2, v0, s1
; %bb.352:                              ;   in Loop: Header=BB442_13 Depth=1
	s_or_b32 exec_lo, exec_lo, s21
	v_dual_mov_b32 v0, 0 :: v_dual_and_b32 v1, 0xff, v34
	v_mov_b32_e32 v19, v34
	s_mov_b32 s21, exec_lo
	s_delay_alu instid0(VALU_DEP_2)
	v_cmpx_ne_u16_e32 0, v1
	s_cbranch_execz .LBB442_360
; %bb.353:                              ;   in Loop: Header=BB442_13 Depth=1
	v_bfrev_b32_e32 v0, 1
	s_mov_b32 s22, exec_lo
	v_cmpx_ne_u16_e32 0x80, v1
	s_cbranch_execz .LBB442_359
; %bb.354:                              ;   in Loop: Header=BB442_13 Depth=1
	v_and_b32_e32 v1, 0x7f, v34
	v_mov_b32_e32 v0, 0x7f800001
	s_mov_b32 s23, exec_lo
	s_delay_alu instid0(VALU_DEP_2)
	v_cmpx_ne_u32_e32 0x7f, v1
	s_cbranch_execz .LBB442_358
; %bb.355:                              ;   in Loop: Header=BB442_13 Depth=1
	v_lshrrev_b32_e32 v0, 3, v1
	v_dual_mov_b32 v36, v20 :: v_dual_mov_b32 v35, v19
	s_mov_b32 s24, exec_lo
	v_cmpx_gt_u32_e32 8, v1
; %bb.356:                              ;   in Loop: Header=BB442_13 Depth=1
	v_and_b32_e32 v0, 7, v34
	s_delay_alu instid0(VALU_DEP_1) | instskip(NEXT) | instid1(VALU_DEP_1)
	v_clz_i32_u32_e32 v0, v0
	v_min_u32_e32 v0, 32, v0
	s_delay_alu instid0(VALU_DEP_1) | instskip(SKIP_1) | instid1(VALU_DEP_2)
	v_subrev_nc_u32_e32 v1, 28, v0
	v_sub_nc_u32_e32 v0, 29, v0
	v_lshlrev_b64 v[35:36], v1, v[19:20]
; %bb.357:                              ;   in Loop: Header=BB442_13 Depth=1
	s_or_b32 exec_lo, exec_lo, s24
	s_delay_alu instid0(VALU_DEP_1) | instskip(SKIP_2) | instid1(VALU_DEP_3)
	v_lshlrev_b32_e32 v1, 20, v35
	v_lshlrev_b32_e32 v2, 24, v19
	v_lshl_add_u32 v0, v0, 23, 0x3c000000
	v_and_b32_e32 v1, 0x700000, v1
	s_delay_alu instid0(VALU_DEP_3) | instskip(NEXT) | instid1(VALU_DEP_1)
	v_and_b32_e32 v2, 0x80000000, v2
	v_or3_b32 v0, v1, v2, v0
.LBB442_358:                            ;   in Loop: Header=BB442_13 Depth=1
	s_or_b32 exec_lo, exec_lo, s23
.LBB442_359:                            ;   in Loop: Header=BB442_13 Depth=1
	s_delay_alu instid0(SALU_CYCLE_1)
	s_or_b32 exec_lo, exec_lo, s22
.LBB442_360:                            ;   in Loop: Header=BB442_13 Depth=1
	s_delay_alu instid0(SALU_CYCLE_1) | instskip(NEXT) | instid1(VALU_DEP_1)
	s_or_b32 exec_lo, exec_lo, s21
	v_mul_f32_e32 v0, v155, v0
                                        ; implicit-def: $vgpr6
	s_delay_alu instid0(VALU_DEP_1) | instskip(NEXT) | instid1(VALU_DEP_1)
	v_and_b32_e32 v1, 0x7f800000, v0
	v_cmp_ne_u32_e64 s1, 0x7f800000, v1
	s_delay_alu instid0(VALU_DEP_1) | instskip(NEXT) | instid1(SALU_CYCLE_1)
	s_and_saveexec_b32 s21, s1
	s_xor_b32 s1, exec_lo, s21
; %bb.361:                              ;   in Loop: Header=BB442_13 Depth=1
	v_bfe_u32 v1, v0, 16, 1
	s_delay_alu instid0(VALU_DEP_1)
	v_add3_u32 v6, v0, v1, 0x7fff
                                        ; implicit-def: $vgpr0
; %bb.362:                              ;   in Loop: Header=BB442_13 Depth=1
	s_and_not1_saveexec_b32 s21, s1
; %bb.363:                              ;   in Loop: Header=BB442_13 Depth=1
	v_and_b32_e32 v1, 0xffff, v0
	v_or_b32_e32 v2, 0x10000, v0
	s_delay_alu instid0(VALU_DEP_2) | instskip(NEXT) | instid1(VALU_DEP_1)
	v_cmp_eq_u32_e64 s1, 0, v1
	v_cndmask_b32_e64 v6, v2, v0, s1
; %bb.364:                              ;   in Loop: Header=BB442_13 Depth=1
	s_or_b32 exec_lo, exec_lo, s21
	v_lshrrev_b16 v1, 8, v19
	v_mov_b32_e32 v0, 0
	s_mov_b32 s21, exec_lo
	s_delay_alu instid0(VALU_DEP_2)
	v_cmpx_ne_u16_e32 0, v1
	s_cbranch_execz .LBB442_372
; %bb.365:                              ;   in Loop: Header=BB442_13 Depth=1
	v_bfrev_b32_e32 v0, 1
	s_mov_b32 s22, exec_lo
	v_cmpx_ne_u16_e32 0x80, v1
	s_cbranch_execz .LBB442_371
; %bb.366:                              ;   in Loop: Header=BB442_13 Depth=1
	v_and_b32_e32 v2, 0xffff, v1
	v_mov_b32_e32 v0, 0x7f800001
	s_mov_b32 s23, exec_lo
	s_delay_alu instid0(VALU_DEP_2) | instskip(NEXT) | instid1(VALU_DEP_1)
	v_and_b32_e32 v1, 0x7f, v2
	v_cmpx_ne_u32_e32 0x7f, v1
	s_cbranch_execz .LBB442_370
; %bb.367:                              ;   in Loop: Header=BB442_13 Depth=1
	v_dual_mov_b32 v36, v20 :: v_dual_and_b32 v35, 7, v2
	v_lshrrev_b32_e32 v0, 3, v1
	s_mov_b32 s24, exec_lo
	v_cmpx_gt_u32_e32 8, v1
; %bb.368:                              ;   in Loop: Header=BB442_13 Depth=1
	s_delay_alu instid0(VALU_DEP_3) | instskip(NEXT) | instid1(VALU_DEP_1)
	v_clz_i32_u32_e32 v0, v35
	v_min_u32_e32 v0, 32, v0
	s_delay_alu instid0(VALU_DEP_1) | instskip(SKIP_1) | instid1(VALU_DEP_2)
	v_subrev_nc_u32_e32 v1, 28, v0
	v_sub_nc_u32_e32 v0, 29, v0
	v_lshlrev_b64 v[1:2], v1, v[35:36]
	s_delay_alu instid0(VALU_DEP_1)
	v_and_b32_e32 v35, 7, v1
; %bb.369:                              ;   in Loop: Header=BB442_13 Depth=1
	s_or_b32 exec_lo, exec_lo, s24
	v_lshlrev_b32_e32 v1, 16, v19
	s_delay_alu instid0(VALU_DEP_2) | instskip(SKIP_1) | instid1(VALU_DEP_3)
	v_lshlrev_b32_e32 v2, 20, v35
	v_lshl_add_u32 v0, v0, 23, 0x3c000000
	v_and_b32_e32 v1, 0x80000000, v1
	s_delay_alu instid0(VALU_DEP_1)
	v_or3_b32 v0, v2, v1, v0
.LBB442_370:                            ;   in Loop: Header=BB442_13 Depth=1
	s_or_b32 exec_lo, exec_lo, s23
.LBB442_371:                            ;   in Loop: Header=BB442_13 Depth=1
	s_delay_alu instid0(SALU_CYCLE_1)
	s_or_b32 exec_lo, exec_lo, s22
.LBB442_372:                            ;   in Loop: Header=BB442_13 Depth=1
	s_delay_alu instid0(SALU_CYCLE_1) | instskip(NEXT) | instid1(VALU_DEP_1)
	s_or_b32 exec_lo, exec_lo, s21
	v_mul_f32_e32 v0, v155, v0
                                        ; implicit-def: $vgpr7
	s_delay_alu instid0(VALU_DEP_1) | instskip(NEXT) | instid1(VALU_DEP_1)
	v_and_b32_e32 v1, 0x7f800000, v0
	v_cmp_ne_u32_e64 s1, 0x7f800000, v1
	s_delay_alu instid0(VALU_DEP_1) | instskip(NEXT) | instid1(SALU_CYCLE_1)
	s_and_saveexec_b32 s21, s1
	s_xor_b32 s1, exec_lo, s21
; %bb.373:                              ;   in Loop: Header=BB442_13 Depth=1
	v_bfe_u32 v1, v0, 16, 1
	s_delay_alu instid0(VALU_DEP_1)
	v_add3_u32 v7, v0, v1, 0x7fff
                                        ; implicit-def: $vgpr0
; %bb.374:                              ;   in Loop: Header=BB442_13 Depth=1
	s_and_not1_saveexec_b32 s21, s1
; %bb.375:                              ;   in Loop: Header=BB442_13 Depth=1
	v_and_b32_e32 v1, 0xffff, v0
	v_or_b32_e32 v2, 0x10000, v0
	s_delay_alu instid0(VALU_DEP_2) | instskip(NEXT) | instid1(VALU_DEP_1)
	v_cmp_eq_u32_e64 s1, 0, v1
	v_cndmask_b32_e64 v7, v2, v0, s1
; %bb.376:                              ;   in Loop: Header=BB442_13 Depth=1
	s_or_b32 exec_lo, exec_lo, s21
	v_lshrrev_b32_e32 v0, 16, v34
	s_mov_b32 s21, exec_lo
	s_delay_alu instid0(VALU_DEP_1) | instskip(NEXT) | instid1(VALU_DEP_1)
	v_dual_mov_b32 v1, 0 :: v_dual_and_b32 v2, 0xff, v0
	v_cmpx_ne_u16_e32 0, v2
	s_cbranch_execz .LBB442_384
; %bb.377:                              ;   in Loop: Header=BB442_13 Depth=1
	v_bfrev_b32_e32 v1, 1
	s_mov_b32 s22, exec_lo
	v_cmpx_ne_u16_e32 0x80, v2
	s_cbranch_execz .LBB442_383
; %bb.378:                              ;   in Loop: Header=BB442_13 Depth=1
	v_bfe_u32 v2, v34, 16, 7
	v_mov_b32_e32 v1, 0x7f800001
	s_mov_b32 s23, exec_lo
	s_delay_alu instid0(VALU_DEP_2)
	v_cmpx_ne_u32_e32 0x7f, v2
	s_cbranch_execz .LBB442_382
; %bb.379:                              ;   in Loop: Header=BB442_13 Depth=1
	v_and_b32_e32 v19, 7, v0
	v_lshrrev_b32_e32 v1, 3, v2
	v_mov_b32_e32 v36, v20
	s_mov_b32 s24, exec_lo
	s_delay_alu instid0(VALU_DEP_3)
	v_mov_b32_e32 v35, v19
	v_cmpx_gt_u32_e32 8, v2
; %bb.380:                              ;   in Loop: Header=BB442_13 Depth=1
	v_clz_i32_u32_e32 v1, v19
	s_delay_alu instid0(VALU_DEP_1) | instskip(NEXT) | instid1(VALU_DEP_1)
	v_min_u32_e32 v1, 32, v1
	v_subrev_nc_u32_e32 v2, 28, v1
	v_sub_nc_u32_e32 v1, 29, v1
	s_delay_alu instid0(VALU_DEP_2) | instskip(NEXT) | instid1(VALU_DEP_1)
	v_lshlrev_b64 v[2:3], v2, v[19:20]
	v_and_b32_e32 v35, 7, v2
; %bb.381:                              ;   in Loop: Header=BB442_13 Depth=1
	s_or_b32 exec_lo, exec_lo, s24
	v_lshlrev_b32_e32 v0, 24, v0
	s_delay_alu instid0(VALU_DEP_2) | instskip(SKIP_1) | instid1(VALU_DEP_3)
	v_lshlrev_b32_e32 v2, 20, v35
	v_lshl_add_u32 v1, v1, 23, 0x3c000000
	v_and_b32_e32 v0, 0x80000000, v0
	s_delay_alu instid0(VALU_DEP_1)
	v_or3_b32 v1, v2, v0, v1
.LBB442_382:                            ;   in Loop: Header=BB442_13 Depth=1
	s_or_b32 exec_lo, exec_lo, s23
.LBB442_383:                            ;   in Loop: Header=BB442_13 Depth=1
	s_delay_alu instid0(SALU_CYCLE_1)
	s_or_b32 exec_lo, exec_lo, s22
.LBB442_384:                            ;   in Loop: Header=BB442_13 Depth=1
	s_delay_alu instid0(SALU_CYCLE_1) | instskip(NEXT) | instid1(VALU_DEP_1)
	s_or_b32 exec_lo, exec_lo, s21
	v_mul_f32_e32 v0, v155, v1
                                        ; implicit-def: $vgpr12
	s_delay_alu instid0(VALU_DEP_1) | instskip(NEXT) | instid1(VALU_DEP_1)
	v_and_b32_e32 v1, 0x7f800000, v0
	v_cmp_ne_u32_e64 s1, 0x7f800000, v1
	s_delay_alu instid0(VALU_DEP_1) | instskip(NEXT) | instid1(SALU_CYCLE_1)
	s_and_saveexec_b32 s21, s1
	s_xor_b32 s1, exec_lo, s21
; %bb.385:                              ;   in Loop: Header=BB442_13 Depth=1
	v_bfe_u32 v1, v0, 16, 1
	s_delay_alu instid0(VALU_DEP_1)
	v_add3_u32 v12, v0, v1, 0x7fff
                                        ; implicit-def: $vgpr0
; %bb.386:                              ;   in Loop: Header=BB442_13 Depth=1
	s_and_not1_saveexec_b32 s21, s1
; %bb.387:                              ;   in Loop: Header=BB442_13 Depth=1
	v_and_b32_e32 v1, 0xffff, v0
	v_or_b32_e32 v2, 0x10000, v0
	s_delay_alu instid0(VALU_DEP_2) | instskip(NEXT) | instid1(VALU_DEP_1)
	v_cmp_eq_u32_e64 s1, 0, v1
	v_cndmask_b32_e64 v12, v2, v0, s1
; %bb.388:                              ;   in Loop: Header=BB442_13 Depth=1
	s_or_b32 exec_lo, exec_lo, s21
	v_mov_b32_e32 v1, 0
	s_mov_b32 s21, exec_lo
	v_cmpx_lt_u64_e64 s[16:17], v[33:34]
	s_cbranch_execz .LBB442_396
; %bb.389:                              ;   in Loop: Header=BB442_13 Depth=1
	v_lshrrev_b32_e32 v0, 24, v34
	v_bfrev_b32_e32 v1, 1
	s_mov_b32 s22, exec_lo
	s_delay_alu instid0(VALU_DEP_2)
	v_cmpx_ne_u32_e32 0x80, v0
	s_cbranch_execz .LBB442_395
; %bb.390:                              ;   in Loop: Header=BB442_13 Depth=1
	v_bfe_u32 v2, v34, 24, 7
	v_mov_b32_e32 v1, 0x7f800001
	s_mov_b32 s23, exec_lo
	s_delay_alu instid0(VALU_DEP_2)
	v_cmpx_ne_u32_e32 0x7f, v2
	s_cbranch_execz .LBB442_394
; %bb.391:                              ;   in Loop: Header=BB442_13 Depth=1
	v_and_b32_e32 v19, 7, v0
	v_lshrrev_b32_e32 v1, 3, v2
	v_mov_b32_e32 v34, v20
	s_mov_b32 s24, exec_lo
	s_delay_alu instid0(VALU_DEP_3)
	v_mov_b32_e32 v33, v19
	v_cmpx_gt_u32_e32 8, v2
; %bb.392:                              ;   in Loop: Header=BB442_13 Depth=1
	v_clz_i32_u32_e32 v1, v19
	s_delay_alu instid0(VALU_DEP_1) | instskip(NEXT) | instid1(VALU_DEP_1)
	v_min_u32_e32 v1, 32, v1
	v_subrev_nc_u32_e32 v2, 28, v1
	v_sub_nc_u32_e32 v1, 29, v1
	s_delay_alu instid0(VALU_DEP_2) | instskip(NEXT) | instid1(VALU_DEP_1)
	v_lshlrev_b64 v[2:3], v2, v[19:20]
	v_and_b32_e32 v33, 7, v2
; %bb.393:                              ;   in Loop: Header=BB442_13 Depth=1
	s_or_b32 exec_lo, exec_lo, s24
	v_lshlrev_b32_e32 v0, 24, v0
	s_delay_alu instid0(VALU_DEP_2) | instskip(SKIP_1) | instid1(VALU_DEP_3)
	v_lshlrev_b32_e32 v2, 20, v33
	v_lshl_add_u32 v1, v1, 23, 0x3c000000
	v_and_b32_e32 v0, 0x80000000, v0
	s_delay_alu instid0(VALU_DEP_1)
	v_or3_b32 v1, v2, v0, v1
.LBB442_394:                            ;   in Loop: Header=BB442_13 Depth=1
	s_or_b32 exec_lo, exec_lo, s23
.LBB442_395:                            ;   in Loop: Header=BB442_13 Depth=1
	s_delay_alu instid0(SALU_CYCLE_1)
	s_or_b32 exec_lo, exec_lo, s22
.LBB442_396:                            ;   in Loop: Header=BB442_13 Depth=1
	s_delay_alu instid0(SALU_CYCLE_1) | instskip(NEXT) | instid1(VALU_DEP_1)
	s_or_b32 exec_lo, exec_lo, s21
	v_mul_f32_e32 v0, v155, v1
                                        ; implicit-def: $vgpr39
	s_delay_alu instid0(VALU_DEP_1) | instskip(NEXT) | instid1(VALU_DEP_1)
	v_and_b32_e32 v1, 0x7f800000, v0
	v_cmp_ne_u32_e64 s1, 0x7f800000, v1
	s_delay_alu instid0(VALU_DEP_1) | instskip(NEXT) | instid1(SALU_CYCLE_1)
	s_and_saveexec_b32 s21, s1
	s_xor_b32 s1, exec_lo, s21
; %bb.397:                              ;   in Loop: Header=BB442_13 Depth=1
	v_bfe_u32 v1, v0, 16, 1
	s_delay_alu instid0(VALU_DEP_1)
	v_add3_u32 v39, v0, v1, 0x7fff
                                        ; implicit-def: $vgpr0
; %bb.398:                              ;   in Loop: Header=BB442_13 Depth=1
	s_and_not1_saveexec_b32 s21, s1
; %bb.399:                              ;   in Loop: Header=BB442_13 Depth=1
	v_and_b32_e32 v1, 0xffff, v0
	v_or_b32_e32 v2, 0x10000, v0
	s_delay_alu instid0(VALU_DEP_2) | instskip(NEXT) | instid1(VALU_DEP_1)
	v_cmp_eq_u32_e64 s1, 0, v1
	v_cndmask_b32_e64 v39, v2, v0, s1
; %bb.400:                              ;   in Loop: Header=BB442_13 Depth=1
	s_or_b32 exec_lo, exec_lo, s21
	flat_load_b64 v[33:34], v[31:32] offset:1024
	s_mov_b32 s21, exec_lo
	s_waitcnt vmcnt(0) lgkmcnt(0)
	v_dual_mov_b32 v0, 0 :: v_dual_and_b32 v1, 0xff, v33
	s_delay_alu instid0(VALU_DEP_1)
	v_cmpx_ne_u16_e32 0, v1
	s_cbranch_execz .LBB442_408
; %bb.401:                              ;   in Loop: Header=BB442_13 Depth=1
	v_bfrev_b32_e32 v0, 1
	s_mov_b32 s22, exec_lo
	v_cmpx_ne_u16_e32 0x80, v1
	s_cbranch_execz .LBB442_407
; %bb.402:                              ;   in Loop: Header=BB442_13 Depth=1
	v_and_b32_e32 v1, 0x7f, v33
	v_mov_b32_e32 v0, 0x7f800001
	s_mov_b32 s23, exec_lo
	s_delay_alu instid0(VALU_DEP_2)
	v_cmpx_ne_u32_e32 0x7f, v1
	s_cbranch_execz .LBB442_406
; %bb.403:                              ;   in Loop: Header=BB442_13 Depth=1
	v_lshrrev_b32_e32 v0, 3, v1
	v_dual_mov_b32 v36, v34 :: v_dual_mov_b32 v35, v33
	s_mov_b32 s24, exec_lo
	v_cmpx_gt_u32_e32 8, v1
; %bb.404:                              ;   in Loop: Header=BB442_13 Depth=1
	v_and_b32_e32 v0, 7, v33
	s_delay_alu instid0(VALU_DEP_1) | instskip(NEXT) | instid1(VALU_DEP_1)
	v_clz_i32_u32_e32 v0, v0
	v_min_u32_e32 v0, 32, v0
	s_delay_alu instid0(VALU_DEP_1) | instskip(SKIP_1) | instid1(VALU_DEP_2)
	v_subrev_nc_u32_e32 v1, 28, v0
	v_sub_nc_u32_e32 v0, 29, v0
	v_lshlrev_b64 v[35:36], v1, v[33:34]
; %bb.405:                              ;   in Loop: Header=BB442_13 Depth=1
	s_or_b32 exec_lo, exec_lo, s24
	s_delay_alu instid0(VALU_DEP_1) | instskip(SKIP_2) | instid1(VALU_DEP_3)
	v_lshlrev_b32_e32 v1, 20, v35
	v_lshlrev_b32_e32 v2, 24, v33
	v_lshl_add_u32 v0, v0, 23, 0x3c000000
	v_and_b32_e32 v1, 0x700000, v1
	s_delay_alu instid0(VALU_DEP_3) | instskip(NEXT) | instid1(VALU_DEP_1)
	v_and_b32_e32 v2, 0x80000000, v2
	v_or3_b32 v0, v1, v2, v0
.LBB442_406:                            ;   in Loop: Header=BB442_13 Depth=1
	s_or_b32 exec_lo, exec_lo, s23
.LBB442_407:                            ;   in Loop: Header=BB442_13 Depth=1
	s_delay_alu instid0(SALU_CYCLE_1)
	s_or_b32 exec_lo, exec_lo, s22
.LBB442_408:                            ;   in Loop: Header=BB442_13 Depth=1
	s_delay_alu instid0(SALU_CYCLE_1) | instskip(NEXT) | instid1(VALU_DEP_1)
	s_or_b32 exec_lo, exec_lo, s21
	v_mul_f32_e32 v0, v155, v0
                                        ; implicit-def: $vgpr37
	s_delay_alu instid0(VALU_DEP_1) | instskip(NEXT) | instid1(VALU_DEP_1)
	v_and_b32_e32 v1, 0x7f800000, v0
	v_cmp_ne_u32_e64 s1, 0x7f800000, v1
	s_delay_alu instid0(VALU_DEP_1) | instskip(NEXT) | instid1(SALU_CYCLE_1)
	s_and_saveexec_b32 s21, s1
	s_xor_b32 s1, exec_lo, s21
; %bb.409:                              ;   in Loop: Header=BB442_13 Depth=1
	v_bfe_u32 v1, v0, 16, 1
	s_delay_alu instid0(VALU_DEP_1)
	v_add3_u32 v37, v0, v1, 0x7fff
                                        ; implicit-def: $vgpr0
; %bb.410:                              ;   in Loop: Header=BB442_13 Depth=1
	s_and_not1_saveexec_b32 s21, s1
; %bb.411:                              ;   in Loop: Header=BB442_13 Depth=1
	v_and_b32_e32 v1, 0xffff, v0
	v_or_b32_e32 v2, 0x10000, v0
	s_delay_alu instid0(VALU_DEP_2) | instskip(NEXT) | instid1(VALU_DEP_1)
	v_cmp_eq_u32_e64 s1, 0, v1
	v_cndmask_b32_e64 v37, v2, v0, s1
; %bb.412:                              ;   in Loop: Header=BB442_13 Depth=1
	s_or_b32 exec_lo, exec_lo, s21
	v_lshrrev_b16 v1, 8, v33
	v_mov_b32_e32 v0, 0
	s_mov_b32 s21, exec_lo
	s_delay_alu instid0(VALU_DEP_2)
	v_cmpx_ne_u16_e32 0, v1
	s_cbranch_execz .LBB442_420
; %bb.413:                              ;   in Loop: Header=BB442_13 Depth=1
	v_bfrev_b32_e32 v0, 1
	s_mov_b32 s22, exec_lo
	v_cmpx_ne_u16_e32 0x80, v1
	s_cbranch_execz .LBB442_419
; %bb.414:                              ;   in Loop: Header=BB442_13 Depth=1
	v_and_b32_e32 v2, 0xffff, v1
	v_mov_b32_e32 v0, 0x7f800001
	s_mov_b32 s23, exec_lo
	s_delay_alu instid0(VALU_DEP_2) | instskip(NEXT) | instid1(VALU_DEP_1)
	v_and_b32_e32 v1, 0x7f, v2
	v_cmpx_ne_u32_e32 0x7f, v1
	s_cbranch_execz .LBB442_418
; %bb.415:                              ;   in Loop: Header=BB442_13 Depth=1
	v_and_b32_e32 v19, 7, v2
	v_lshrrev_b32_e32 v0, 3, v1
	v_mov_b32_e32 v36, v20
	s_mov_b32 s24, exec_lo
	s_delay_alu instid0(VALU_DEP_3)
	v_mov_b32_e32 v35, v19
	v_cmpx_gt_u32_e32 8, v1
; %bb.416:                              ;   in Loop: Header=BB442_13 Depth=1
	v_clz_i32_u32_e32 v0, v19
	s_delay_alu instid0(VALU_DEP_1) | instskip(NEXT) | instid1(VALU_DEP_1)
	v_min_u32_e32 v0, 32, v0
	v_subrev_nc_u32_e32 v1, 28, v0
	v_sub_nc_u32_e32 v0, 29, v0
	s_delay_alu instid0(VALU_DEP_2) | instskip(NEXT) | instid1(VALU_DEP_1)
	v_lshlrev_b64 v[1:2], v1, v[19:20]
	v_and_b32_e32 v35, 7, v1
; %bb.417:                              ;   in Loop: Header=BB442_13 Depth=1
	s_or_b32 exec_lo, exec_lo, s24
	v_lshlrev_b32_e32 v1, 16, v33
	s_delay_alu instid0(VALU_DEP_2) | instskip(SKIP_1) | instid1(VALU_DEP_3)
	v_lshlrev_b32_e32 v2, 20, v35
	v_lshl_add_u32 v0, v0, 23, 0x3c000000
	v_and_b32_e32 v1, 0x80000000, v1
	s_delay_alu instid0(VALU_DEP_1)
	v_or3_b32 v0, v2, v1, v0
.LBB442_418:                            ;   in Loop: Header=BB442_13 Depth=1
	s_or_b32 exec_lo, exec_lo, s23
.LBB442_419:                            ;   in Loop: Header=BB442_13 Depth=1
	s_delay_alu instid0(SALU_CYCLE_1)
	s_or_b32 exec_lo, exec_lo, s22
.LBB442_420:                            ;   in Loop: Header=BB442_13 Depth=1
	s_delay_alu instid0(SALU_CYCLE_1) | instskip(NEXT) | instid1(VALU_DEP_1)
	s_or_b32 exec_lo, exec_lo, s21
	v_mul_f32_e32 v0, v155, v0
                                        ; implicit-def: $vgpr55
	s_delay_alu instid0(VALU_DEP_1) | instskip(NEXT) | instid1(VALU_DEP_1)
	v_and_b32_e32 v1, 0x7f800000, v0
	v_cmp_ne_u32_e64 s1, 0x7f800000, v1
	s_delay_alu instid0(VALU_DEP_1) | instskip(NEXT) | instid1(SALU_CYCLE_1)
	s_and_saveexec_b32 s21, s1
	s_xor_b32 s1, exec_lo, s21
; %bb.421:                              ;   in Loop: Header=BB442_13 Depth=1
	v_bfe_u32 v1, v0, 16, 1
	s_delay_alu instid0(VALU_DEP_1)
	v_add3_u32 v55, v0, v1, 0x7fff
                                        ; implicit-def: $vgpr0
; %bb.422:                              ;   in Loop: Header=BB442_13 Depth=1
	s_and_not1_saveexec_b32 s21, s1
; %bb.423:                              ;   in Loop: Header=BB442_13 Depth=1
	v_and_b32_e32 v1, 0xffff, v0
	v_or_b32_e32 v2, 0x10000, v0
	s_delay_alu instid0(VALU_DEP_2) | instskip(NEXT) | instid1(VALU_DEP_1)
	v_cmp_eq_u32_e64 s1, 0, v1
	v_cndmask_b32_e64 v55, v2, v0, s1
; %bb.424:                              ;   in Loop: Header=BB442_13 Depth=1
	s_or_b32 exec_lo, exec_lo, s21
	v_lshrrev_b32_e32 v0, 16, v33
	s_mov_b32 s21, exec_lo
	s_delay_alu instid0(VALU_DEP_1) | instskip(NEXT) | instid1(VALU_DEP_1)
	v_dual_mov_b32 v1, 0 :: v_dual_and_b32 v2, 0xff, v0
	v_cmpx_ne_u16_e32 0, v2
	s_cbranch_execz .LBB442_432
; %bb.425:                              ;   in Loop: Header=BB442_13 Depth=1
	v_bfrev_b32_e32 v1, 1
	s_mov_b32 s22, exec_lo
	v_cmpx_ne_u16_e32 0x80, v2
	s_cbranch_execz .LBB442_431
; %bb.426:                              ;   in Loop: Header=BB442_13 Depth=1
	v_bfe_u32 v2, v33, 16, 7
	v_mov_b32_e32 v1, 0x7f800001
	s_mov_b32 s23, exec_lo
	s_delay_alu instid0(VALU_DEP_2)
	v_cmpx_ne_u32_e32 0x7f, v2
	s_cbranch_execz .LBB442_430
; %bb.427:                              ;   in Loop: Header=BB442_13 Depth=1
	v_and_b32_e32 v19, 7, v0
	v_lshrrev_b32_e32 v1, 3, v2
	v_mov_b32_e32 v36, v20
	s_mov_b32 s24, exec_lo
	s_delay_alu instid0(VALU_DEP_3)
	v_mov_b32_e32 v35, v19
	v_cmpx_gt_u32_e32 8, v2
; %bb.428:                              ;   in Loop: Header=BB442_13 Depth=1
	v_clz_i32_u32_e32 v1, v19
	s_delay_alu instid0(VALU_DEP_1) | instskip(NEXT) | instid1(VALU_DEP_1)
	v_min_u32_e32 v1, 32, v1
	v_subrev_nc_u32_e32 v2, 28, v1
	v_sub_nc_u32_e32 v1, 29, v1
	s_delay_alu instid0(VALU_DEP_2) | instskip(NEXT) | instid1(VALU_DEP_1)
	v_lshlrev_b64 v[2:3], v2, v[19:20]
	v_and_b32_e32 v35, 7, v2
; %bb.429:                              ;   in Loop: Header=BB442_13 Depth=1
	s_or_b32 exec_lo, exec_lo, s24
	v_lshlrev_b32_e32 v0, 24, v0
	s_delay_alu instid0(VALU_DEP_2) | instskip(SKIP_1) | instid1(VALU_DEP_3)
	v_lshlrev_b32_e32 v2, 20, v35
	v_lshl_add_u32 v1, v1, 23, 0x3c000000
	v_and_b32_e32 v0, 0x80000000, v0
	s_delay_alu instid0(VALU_DEP_1)
	v_or3_b32 v1, v2, v0, v1
.LBB442_430:                            ;   in Loop: Header=BB442_13 Depth=1
	s_or_b32 exec_lo, exec_lo, s23
.LBB442_431:                            ;   in Loop: Header=BB442_13 Depth=1
	s_delay_alu instid0(SALU_CYCLE_1)
	s_or_b32 exec_lo, exec_lo, s22
.LBB442_432:                            ;   in Loop: Header=BB442_13 Depth=1
	s_delay_alu instid0(SALU_CYCLE_1) | instskip(NEXT) | instid1(VALU_DEP_1)
	s_or_b32 exec_lo, exec_lo, s21
	v_mul_f32_e32 v0, v155, v1
                                        ; implicit-def: $vgpr11
	s_delay_alu instid0(VALU_DEP_1) | instskip(NEXT) | instid1(VALU_DEP_1)
	v_and_b32_e32 v1, 0x7f800000, v0
	v_cmp_ne_u32_e64 s1, 0x7f800000, v1
	s_delay_alu instid0(VALU_DEP_1) | instskip(NEXT) | instid1(SALU_CYCLE_1)
	s_and_saveexec_b32 s21, s1
	s_xor_b32 s1, exec_lo, s21
; %bb.433:                              ;   in Loop: Header=BB442_13 Depth=1
	v_bfe_u32 v1, v0, 16, 1
	s_delay_alu instid0(VALU_DEP_1)
	v_add3_u32 v11, v0, v1, 0x7fff
                                        ; implicit-def: $vgpr0
; %bb.434:                              ;   in Loop: Header=BB442_13 Depth=1
	s_and_not1_saveexec_b32 s21, s1
; %bb.435:                              ;   in Loop: Header=BB442_13 Depth=1
	v_and_b32_e32 v1, 0xffff, v0
	v_or_b32_e32 v2, 0x10000, v0
	s_delay_alu instid0(VALU_DEP_2) | instskip(NEXT) | instid1(VALU_DEP_1)
	v_cmp_eq_u32_e64 s1, 0, v1
	v_cndmask_b32_e64 v11, v2, v0, s1
; %bb.436:                              ;   in Loop: Header=BB442_13 Depth=1
	s_or_b32 exec_lo, exec_lo, s21
	v_mov_b32_e32 v1, 0
	s_mov_b32 s21, exec_lo
	v_cmpx_lt_u32_e32 0xffffff, v33
	s_cbranch_execz .LBB442_444
; %bb.437:                              ;   in Loop: Header=BB442_13 Depth=1
	v_lshrrev_b32_e32 v0, 24, v33
	v_bfrev_b32_e32 v1, 1
	s_mov_b32 s22, exec_lo
	s_delay_alu instid0(VALU_DEP_2)
	v_cmpx_ne_u32_e32 0x80, v0
	s_cbranch_execz .LBB442_443
; %bb.438:                              ;   in Loop: Header=BB442_13 Depth=1
	v_bfe_u32 v2, v33, 24, 7
	v_mov_b32_e32 v1, 0x7f800001
	s_mov_b32 s23, exec_lo
	s_delay_alu instid0(VALU_DEP_2)
	v_cmpx_ne_u32_e32 0x7f, v2
	s_cbranch_execz .LBB442_442
; %bb.439:                              ;   in Loop: Header=BB442_13 Depth=1
	v_and_b32_e32 v19, 7, v0
	v_lshrrev_b32_e32 v1, 3, v2
	v_mov_b32_e32 v36, v20
	s_mov_b32 s24, exec_lo
	s_delay_alu instid0(VALU_DEP_3)
	v_mov_b32_e32 v35, v19
	v_cmpx_gt_u32_e32 8, v2
; %bb.440:                              ;   in Loop: Header=BB442_13 Depth=1
	v_clz_i32_u32_e32 v1, v19
	s_delay_alu instid0(VALU_DEP_1) | instskip(NEXT) | instid1(VALU_DEP_1)
	v_min_u32_e32 v1, 32, v1
	v_subrev_nc_u32_e32 v2, 28, v1
	v_sub_nc_u32_e32 v1, 29, v1
	s_delay_alu instid0(VALU_DEP_2) | instskip(NEXT) | instid1(VALU_DEP_1)
	v_lshlrev_b64 v[2:3], v2, v[19:20]
	v_and_b32_e32 v35, 7, v2
; %bb.441:                              ;   in Loop: Header=BB442_13 Depth=1
	s_or_b32 exec_lo, exec_lo, s24
	v_lshlrev_b32_e32 v0, 24, v0
	s_delay_alu instid0(VALU_DEP_2) | instskip(SKIP_1) | instid1(VALU_DEP_3)
	v_lshlrev_b32_e32 v2, 20, v35
	v_lshl_add_u32 v1, v1, 23, 0x3c000000
	v_and_b32_e32 v0, 0x80000000, v0
	s_delay_alu instid0(VALU_DEP_1)
	v_or3_b32 v1, v2, v0, v1
.LBB442_442:                            ;   in Loop: Header=BB442_13 Depth=1
	s_or_b32 exec_lo, exec_lo, s23
.LBB442_443:                            ;   in Loop: Header=BB442_13 Depth=1
	s_delay_alu instid0(SALU_CYCLE_1)
	s_or_b32 exec_lo, exec_lo, s22
.LBB442_444:                            ;   in Loop: Header=BB442_13 Depth=1
	s_delay_alu instid0(SALU_CYCLE_1) | instskip(NEXT) | instid1(VALU_DEP_1)
	s_or_b32 exec_lo, exec_lo, s21
	v_mul_f32_e32 v0, v155, v1
                                        ; implicit-def: $vgpr10
	s_delay_alu instid0(VALU_DEP_1) | instskip(NEXT) | instid1(VALU_DEP_1)
	v_and_b32_e32 v1, 0x7f800000, v0
	v_cmp_ne_u32_e64 s1, 0x7f800000, v1
	s_delay_alu instid0(VALU_DEP_1) | instskip(NEXT) | instid1(SALU_CYCLE_1)
	s_and_saveexec_b32 s21, s1
	s_xor_b32 s1, exec_lo, s21
; %bb.445:                              ;   in Loop: Header=BB442_13 Depth=1
	v_bfe_u32 v1, v0, 16, 1
	s_delay_alu instid0(VALU_DEP_1)
	v_add3_u32 v10, v0, v1, 0x7fff
                                        ; implicit-def: $vgpr0
; %bb.446:                              ;   in Loop: Header=BB442_13 Depth=1
	s_and_not1_saveexec_b32 s21, s1
; %bb.447:                              ;   in Loop: Header=BB442_13 Depth=1
	v_and_b32_e32 v1, 0xffff, v0
	v_or_b32_e32 v2, 0x10000, v0
	s_delay_alu instid0(VALU_DEP_2) | instskip(NEXT) | instid1(VALU_DEP_1)
	v_cmp_eq_u32_e64 s1, 0, v1
	v_cndmask_b32_e64 v10, v2, v0, s1
; %bb.448:                              ;   in Loop: Header=BB442_13 Depth=1
	s_or_b32 exec_lo, exec_lo, s21
	v_dual_mov_b32 v0, 0 :: v_dual_and_b32 v1, 0xff, v34
	v_mov_b32_e32 v19, v34
	s_mov_b32 s21, exec_lo
	s_delay_alu instid0(VALU_DEP_2)
	v_cmpx_ne_u16_e32 0, v1
	s_cbranch_execz .LBB442_456
; %bb.449:                              ;   in Loop: Header=BB442_13 Depth=1
	v_bfrev_b32_e32 v0, 1
	s_mov_b32 s22, exec_lo
	v_cmpx_ne_u16_e32 0x80, v1
	s_cbranch_execz .LBB442_455
; %bb.450:                              ;   in Loop: Header=BB442_13 Depth=1
	v_and_b32_e32 v1, 0x7f, v34
	v_mov_b32_e32 v0, 0x7f800001
	s_mov_b32 s23, exec_lo
	s_delay_alu instid0(VALU_DEP_2)
	v_cmpx_ne_u32_e32 0x7f, v1
	s_cbranch_execz .LBB442_454
; %bb.451:                              ;   in Loop: Header=BB442_13 Depth=1
	v_lshrrev_b32_e32 v0, 3, v1
	v_dual_mov_b32 v36, v20 :: v_dual_mov_b32 v35, v19
	s_mov_b32 s24, exec_lo
	v_cmpx_gt_u32_e32 8, v1
; %bb.452:                              ;   in Loop: Header=BB442_13 Depth=1
	v_and_b32_e32 v0, 7, v34
	s_delay_alu instid0(VALU_DEP_1) | instskip(NEXT) | instid1(VALU_DEP_1)
	v_clz_i32_u32_e32 v0, v0
	v_min_u32_e32 v0, 32, v0
	s_delay_alu instid0(VALU_DEP_1) | instskip(SKIP_1) | instid1(VALU_DEP_2)
	v_subrev_nc_u32_e32 v1, 28, v0
	v_sub_nc_u32_e32 v0, 29, v0
	v_lshlrev_b64 v[35:36], v1, v[19:20]
; %bb.453:                              ;   in Loop: Header=BB442_13 Depth=1
	s_or_b32 exec_lo, exec_lo, s24
	s_delay_alu instid0(VALU_DEP_1) | instskip(SKIP_2) | instid1(VALU_DEP_3)
	v_lshlrev_b32_e32 v1, 20, v35
	v_lshlrev_b32_e32 v2, 24, v19
	v_lshl_add_u32 v0, v0, 23, 0x3c000000
	v_and_b32_e32 v1, 0x700000, v1
	s_delay_alu instid0(VALU_DEP_3) | instskip(NEXT) | instid1(VALU_DEP_1)
	v_and_b32_e32 v2, 0x80000000, v2
	v_or3_b32 v0, v1, v2, v0
.LBB442_454:                            ;   in Loop: Header=BB442_13 Depth=1
	s_or_b32 exec_lo, exec_lo, s23
.LBB442_455:                            ;   in Loop: Header=BB442_13 Depth=1
	s_delay_alu instid0(SALU_CYCLE_1)
	s_or_b32 exec_lo, exec_lo, s22
.LBB442_456:                            ;   in Loop: Header=BB442_13 Depth=1
	s_delay_alu instid0(SALU_CYCLE_1) | instskip(NEXT) | instid1(VALU_DEP_1)
	s_or_b32 exec_lo, exec_lo, s21
	v_mul_f32_e32 v0, v155, v0
	s_delay_alu instid0(VALU_DEP_1) | instskip(NEXT) | instid1(VALU_DEP_1)
	v_and_b32_e32 v1, 0x7f800000, v0
	v_cmp_ne_u32_e64 s1, 0x7f800000, v1
                                        ; implicit-def: $vgpr1
	s_delay_alu instid0(VALU_DEP_1) | instskip(NEXT) | instid1(SALU_CYCLE_1)
	s_and_saveexec_b32 s21, s1
	s_xor_b32 s1, exec_lo, s21
; %bb.457:                              ;   in Loop: Header=BB442_13 Depth=1
	v_bfe_u32 v1, v0, 16, 1
	s_delay_alu instid0(VALU_DEP_1)
	v_add3_u32 v1, v0, v1, 0x7fff
                                        ; implicit-def: $vgpr0
; %bb.458:                              ;   in Loop: Header=BB442_13 Depth=1
	s_and_not1_saveexec_b32 s21, s1
; %bb.459:                              ;   in Loop: Header=BB442_13 Depth=1
	v_and_b32_e32 v1, 0xffff, v0
	v_or_b32_e32 v2, 0x10000, v0
	s_delay_alu instid0(VALU_DEP_2) | instskip(NEXT) | instid1(VALU_DEP_1)
	v_cmp_eq_u32_e64 s1, 0, v1
	v_cndmask_b32_e64 v1, v2, v0, s1
; %bb.460:                              ;   in Loop: Header=BB442_13 Depth=1
	s_or_b32 exec_lo, exec_lo, s21
	v_lshrrev_b16 v2, 8, v19
	v_mov_b32_e32 v0, 0
	s_mov_b32 s21, exec_lo
	s_delay_alu instid0(VALU_DEP_2)
	v_cmpx_ne_u16_e32 0, v2
	s_cbranch_execz .LBB442_468
; %bb.461:                              ;   in Loop: Header=BB442_13 Depth=1
	v_bfrev_b32_e32 v0, 1
	s_mov_b32 s22, exec_lo
	v_cmpx_ne_u16_e32 0x80, v2
	s_cbranch_execz .LBB442_467
; %bb.462:                              ;   in Loop: Header=BB442_13 Depth=1
	v_and_b32_e32 v3, 0xffff, v2
	v_mov_b32_e32 v0, 0x7f800001
	s_mov_b32 s23, exec_lo
	s_delay_alu instid0(VALU_DEP_2) | instskip(NEXT) | instid1(VALU_DEP_1)
	v_and_b32_e32 v2, 0x7f, v3
	v_cmpx_ne_u32_e32 0x7f, v2
	s_cbranch_execz .LBB442_466
; %bb.463:                              ;   in Loop: Header=BB442_13 Depth=1
	v_dual_mov_b32 v36, v20 :: v_dual_and_b32 v35, 7, v3
	v_lshrrev_b32_e32 v0, 3, v2
	s_mov_b32 s24, exec_lo
	v_cmpx_gt_u32_e32 8, v2
; %bb.464:                              ;   in Loop: Header=BB442_13 Depth=1
	s_delay_alu instid0(VALU_DEP_3) | instskip(NEXT) | instid1(VALU_DEP_1)
	v_clz_i32_u32_e32 v0, v35
	v_min_u32_e32 v0, 32, v0
	s_delay_alu instid0(VALU_DEP_1) | instskip(SKIP_1) | instid1(VALU_DEP_2)
	v_subrev_nc_u32_e32 v2, 28, v0
	v_sub_nc_u32_e32 v0, 29, v0
	v_lshlrev_b64 v[2:3], v2, v[35:36]
	s_delay_alu instid0(VALU_DEP_1)
	v_and_b32_e32 v35, 7, v2
; %bb.465:                              ;   in Loop: Header=BB442_13 Depth=1
	s_or_b32 exec_lo, exec_lo, s24
	v_lshlrev_b32_e32 v2, 16, v19
	s_delay_alu instid0(VALU_DEP_2) | instskip(SKIP_1) | instid1(VALU_DEP_3)
	v_lshlrev_b32_e32 v3, 20, v35
	v_lshl_add_u32 v0, v0, 23, 0x3c000000
	v_and_b32_e32 v2, 0x80000000, v2
	s_delay_alu instid0(VALU_DEP_1)
	v_or3_b32 v0, v3, v2, v0
.LBB442_466:                            ;   in Loop: Header=BB442_13 Depth=1
	s_or_b32 exec_lo, exec_lo, s23
.LBB442_467:                            ;   in Loop: Header=BB442_13 Depth=1
	s_delay_alu instid0(SALU_CYCLE_1)
	s_or_b32 exec_lo, exec_lo, s22
.LBB442_468:                            ;   in Loop: Header=BB442_13 Depth=1
	s_delay_alu instid0(SALU_CYCLE_1) | instskip(NEXT) | instid1(VALU_DEP_1)
	s_or_b32 exec_lo, exec_lo, s21
	v_mul_f32_e32 v2, v155, v0
	s_delay_alu instid0(VALU_DEP_1) | instskip(NEXT) | instid1(VALU_DEP_1)
	v_and_b32_e32 v0, 0x7f800000, v2
	v_cmp_ne_u32_e64 s1, 0x7f800000, v0
                                        ; implicit-def: $vgpr0
	s_delay_alu instid0(VALU_DEP_1) | instskip(NEXT) | instid1(SALU_CYCLE_1)
	s_and_saveexec_b32 s21, s1
	s_xor_b32 s1, exec_lo, s21
; %bb.469:                              ;   in Loop: Header=BB442_13 Depth=1
	v_bfe_u32 v0, v2, 16, 1
	s_delay_alu instid0(VALU_DEP_1)
	v_add3_u32 v0, v2, v0, 0x7fff
                                        ; implicit-def: $vgpr2
; %bb.470:                              ;   in Loop: Header=BB442_13 Depth=1
	s_and_not1_saveexec_b32 s21, s1
; %bb.471:                              ;   in Loop: Header=BB442_13 Depth=1
	v_and_b32_e32 v0, 0xffff, v2
	v_or_b32_e32 v3, 0x10000, v2
	s_delay_alu instid0(VALU_DEP_2) | instskip(NEXT) | instid1(VALU_DEP_1)
	v_cmp_eq_u32_e64 s1, 0, v0
	v_cndmask_b32_e64 v0, v3, v2, s1
; %bb.472:                              ;   in Loop: Header=BB442_13 Depth=1
	s_or_b32 exec_lo, exec_lo, s21
	v_lshrrev_b32_e32 v2, 16, v34
	s_mov_b32 s21, exec_lo
	s_delay_alu instid0(VALU_DEP_1) | instskip(NEXT) | instid1(VALU_DEP_1)
	v_dual_mov_b32 v3, 0 :: v_dual_and_b32 v14, 0xff, v2
	v_cmpx_ne_u16_e32 0, v14
	s_cbranch_execz .LBB442_480
; %bb.473:                              ;   in Loop: Header=BB442_13 Depth=1
	v_bfrev_b32_e32 v3, 1
	s_mov_b32 s22, exec_lo
	v_cmpx_ne_u16_e32 0x80, v14
	s_cbranch_execz .LBB442_479
; %bb.474:                              ;   in Loop: Header=BB442_13 Depth=1
	v_bfe_u32 v14, v34, 16, 7
	v_mov_b32_e32 v3, 0x7f800001
	s_mov_b32 s23, exec_lo
	s_delay_alu instid0(VALU_DEP_2)
	v_cmpx_ne_u32_e32 0x7f, v14
	s_cbranch_execz .LBB442_478
; %bb.475:                              ;   in Loop: Header=BB442_13 Depth=1
	v_and_b32_e32 v19, 7, v2
	v_lshrrev_b32_e32 v3, 3, v14
	v_mov_b32_e32 v36, v20
	s_mov_b32 s24, exec_lo
	s_delay_alu instid0(VALU_DEP_3)
	v_mov_b32_e32 v35, v19
	v_cmpx_gt_u32_e32 8, v14
; %bb.476:                              ;   in Loop: Header=BB442_13 Depth=1
	v_clz_i32_u32_e32 v3, v19
	s_delay_alu instid0(VALU_DEP_1) | instskip(NEXT) | instid1(VALU_DEP_1)
	v_min_u32_e32 v3, 32, v3
	v_subrev_nc_u32_e32 v14, 28, v3
	v_sub_nc_u32_e32 v3, 29, v3
	s_delay_alu instid0(VALU_DEP_2) | instskip(NEXT) | instid1(VALU_DEP_1)
	v_lshlrev_b64 v[14:15], v14, v[19:20]
	v_and_b32_e32 v35, 7, v14
; %bb.477:                              ;   in Loop: Header=BB442_13 Depth=1
	s_or_b32 exec_lo, exec_lo, s24
	v_lshlrev_b32_e32 v2, 24, v2
	s_delay_alu instid0(VALU_DEP_2) | instskip(SKIP_1) | instid1(VALU_DEP_3)
	v_lshlrev_b32_e32 v14, 20, v35
	v_lshl_add_u32 v3, v3, 23, 0x3c000000
	v_and_b32_e32 v2, 0x80000000, v2
	s_delay_alu instid0(VALU_DEP_1)
	v_or3_b32 v3, v14, v2, v3
.LBB442_478:                            ;   in Loop: Header=BB442_13 Depth=1
	s_or_b32 exec_lo, exec_lo, s23
.LBB442_479:                            ;   in Loop: Header=BB442_13 Depth=1
	s_delay_alu instid0(SALU_CYCLE_1)
	s_or_b32 exec_lo, exec_lo, s22
.LBB442_480:                            ;   in Loop: Header=BB442_13 Depth=1
	s_delay_alu instid0(SALU_CYCLE_1) | instskip(NEXT) | instid1(VALU_DEP_1)
	s_or_b32 exec_lo, exec_lo, s21
	v_mul_f32_e32 v2, v155, v3
	s_delay_alu instid0(VALU_DEP_1) | instskip(NEXT) | instid1(VALU_DEP_1)
	v_and_b32_e32 v3, 0x7f800000, v2
	v_cmp_ne_u32_e64 s1, 0x7f800000, v3
                                        ; implicit-def: $vgpr3
	s_delay_alu instid0(VALU_DEP_1) | instskip(NEXT) | instid1(SALU_CYCLE_1)
	s_and_saveexec_b32 s21, s1
	s_xor_b32 s1, exec_lo, s21
; %bb.481:                              ;   in Loop: Header=BB442_13 Depth=1
	v_bfe_u32 v3, v2, 16, 1
	s_delay_alu instid0(VALU_DEP_1)
	v_add3_u32 v3, v2, v3, 0x7fff
                                        ; implicit-def: $vgpr2
; %bb.482:                              ;   in Loop: Header=BB442_13 Depth=1
	s_and_not1_saveexec_b32 s21, s1
; %bb.483:                              ;   in Loop: Header=BB442_13 Depth=1
	v_and_b32_e32 v3, 0xffff, v2
	v_or_b32_e32 v14, 0x10000, v2
	s_delay_alu instid0(VALU_DEP_2) | instskip(NEXT) | instid1(VALU_DEP_1)
	v_cmp_eq_u32_e64 s1, 0, v3
	v_cndmask_b32_e64 v3, v14, v2, s1
; %bb.484:                              ;   in Loop: Header=BB442_13 Depth=1
	s_or_b32 exec_lo, exec_lo, s21
	v_mov_b32_e32 v14, 0
	s_mov_b32 s21, exec_lo
	v_cmpx_lt_u64_e64 s[16:17], v[33:34]
	s_cbranch_execz .LBB442_492
; %bb.485:                              ;   in Loop: Header=BB442_13 Depth=1
	v_lshrrev_b32_e32 v2, 24, v34
	v_bfrev_b32_e32 v14, 1
	s_mov_b32 s22, exec_lo
	s_delay_alu instid0(VALU_DEP_2)
	v_cmpx_ne_u32_e32 0x80, v2
	s_cbranch_execz .LBB442_491
; %bb.486:                              ;   in Loop: Header=BB442_13 Depth=1
	v_bfe_u32 v15, v34, 24, 7
	v_mov_b32_e32 v14, 0x7f800001
	s_mov_b32 s23, exec_lo
	s_delay_alu instid0(VALU_DEP_2)
	v_cmpx_ne_u32_e32 0x7f, v15
	s_cbranch_execz .LBB442_490
; %bb.487:                              ;   in Loop: Header=BB442_13 Depth=1
	v_and_b32_e32 v19, 7, v2
	v_lshrrev_b32_e32 v14, 3, v15
	v_mov_b32_e32 v34, v20
	s_mov_b32 s24, exec_lo
	s_delay_alu instid0(VALU_DEP_3)
	v_mov_b32_e32 v33, v19
	v_cmpx_gt_u32_e32 8, v15
; %bb.488:                              ;   in Loop: Header=BB442_13 Depth=1
	v_clz_i32_u32_e32 v14, v19
	s_delay_alu instid0(VALU_DEP_1) | instskip(NEXT) | instid1(VALU_DEP_1)
	v_min_u32_e32 v14, 32, v14
	v_subrev_nc_u32_e32 v15, 28, v14
	v_sub_nc_u32_e32 v14, 29, v14
	s_delay_alu instid0(VALU_DEP_2) | instskip(NEXT) | instid1(VALU_DEP_1)
	v_lshlrev_b64 v[33:34], v15, v[19:20]
	v_and_b32_e32 v33, 7, v33
; %bb.489:                              ;   in Loop: Header=BB442_13 Depth=1
	s_or_b32 exec_lo, exec_lo, s24
	v_lshlrev_b32_e32 v2, 24, v2
	s_delay_alu instid0(VALU_DEP_2) | instskip(SKIP_1) | instid1(VALU_DEP_3)
	v_lshlrev_b32_e32 v15, 20, v33
	v_lshl_add_u32 v14, v14, 23, 0x3c000000
	v_and_b32_e32 v2, 0x80000000, v2
	s_delay_alu instid0(VALU_DEP_1)
	v_or3_b32 v14, v15, v2, v14
.LBB442_490:                            ;   in Loop: Header=BB442_13 Depth=1
	s_or_b32 exec_lo, exec_lo, s23
.LBB442_491:                            ;   in Loop: Header=BB442_13 Depth=1
	s_delay_alu instid0(SALU_CYCLE_1)
	s_or_b32 exec_lo, exec_lo, s22
.LBB442_492:                            ;   in Loop: Header=BB442_13 Depth=1
	s_delay_alu instid0(SALU_CYCLE_1) | instskip(NEXT) | instid1(VALU_DEP_1)
	s_or_b32 exec_lo, exec_lo, s21
	v_mul_f32_e32 v14, v155, v14
	s_delay_alu instid0(VALU_DEP_1) | instskip(NEXT) | instid1(VALU_DEP_1)
	v_and_b32_e32 v2, 0x7f800000, v14
	v_cmp_ne_u32_e64 s1, 0x7f800000, v2
                                        ; implicit-def: $vgpr2
	s_delay_alu instid0(VALU_DEP_1) | instskip(NEXT) | instid1(SALU_CYCLE_1)
	s_and_saveexec_b32 s21, s1
	s_xor_b32 s1, exec_lo, s21
; %bb.493:                              ;   in Loop: Header=BB442_13 Depth=1
	v_bfe_u32 v2, v14, 16, 1
	s_delay_alu instid0(VALU_DEP_1)
	v_add3_u32 v2, v14, v2, 0x7fff
                                        ; implicit-def: $vgpr14
; %bb.494:                              ;   in Loop: Header=BB442_13 Depth=1
	s_and_not1_saveexec_b32 s21, s1
; %bb.495:                              ;   in Loop: Header=BB442_13 Depth=1
	v_and_b32_e32 v2, 0xffff, v14
	v_or_b32_e32 v15, 0x10000, v14
	s_delay_alu instid0(VALU_DEP_2) | instskip(NEXT) | instid1(VALU_DEP_1)
	v_cmp_eq_u32_e64 s1, 0, v2
	v_cndmask_b32_e64 v2, v15, v14, s1
; %bb.496:                              ;   in Loop: Header=BB442_13 Depth=1
	s_or_b32 exec_lo, exec_lo, s21
	flat_load_b64 v[33:34], v[31:32] offset:1032
	s_mov_b32 s21, exec_lo
	s_waitcnt vmcnt(0) lgkmcnt(0)
	v_dual_mov_b32 v14, 0 :: v_dual_and_b32 v15, 0xff, v33
	s_delay_alu instid0(VALU_DEP_1)
	v_cmpx_ne_u16_e32 0, v15
	s_cbranch_execz .LBB442_504
; %bb.497:                              ;   in Loop: Header=BB442_13 Depth=1
	v_bfrev_b32_e32 v14, 1
	s_mov_b32 s22, exec_lo
	v_cmpx_ne_u16_e32 0x80, v15
	s_cbranch_execz .LBB442_503
; %bb.498:                              ;   in Loop: Header=BB442_13 Depth=1
	v_and_b32_e32 v15, 0x7f, v33
	v_mov_b32_e32 v14, 0x7f800001
	s_mov_b32 s23, exec_lo
	s_delay_alu instid0(VALU_DEP_2)
	v_cmpx_ne_u32_e32 0x7f, v15
	s_cbranch_execz .LBB442_502
; %bb.499:                              ;   in Loop: Header=BB442_13 Depth=1
	v_lshrrev_b32_e32 v14, 3, v15
	v_dual_mov_b32 v36, v34 :: v_dual_mov_b32 v35, v33
	s_mov_b32 s24, exec_lo
	v_cmpx_gt_u32_e32 8, v15
; %bb.500:                              ;   in Loop: Header=BB442_13 Depth=1
	v_and_b32_e32 v14, 7, v33
	s_delay_alu instid0(VALU_DEP_1) | instskip(NEXT) | instid1(VALU_DEP_1)
	v_clz_i32_u32_e32 v14, v14
	v_min_u32_e32 v14, 32, v14
	s_delay_alu instid0(VALU_DEP_1) | instskip(SKIP_1) | instid1(VALU_DEP_2)
	v_subrev_nc_u32_e32 v15, 28, v14
	v_sub_nc_u32_e32 v14, 29, v14
	v_lshlrev_b64 v[35:36], v15, v[33:34]
; %bb.501:                              ;   in Loop: Header=BB442_13 Depth=1
	s_or_b32 exec_lo, exec_lo, s24
	s_delay_alu instid0(VALU_DEP_1) | instskip(SKIP_2) | instid1(VALU_DEP_3)
	v_lshlrev_b32_e32 v15, 20, v35
	v_lshlrev_b32_e32 v19, 24, v33
	v_lshl_add_u32 v14, v14, 23, 0x3c000000
	v_and_b32_e32 v15, 0x700000, v15
	s_delay_alu instid0(VALU_DEP_3) | instskip(NEXT) | instid1(VALU_DEP_1)
	v_and_b32_e32 v19, 0x80000000, v19
	v_or3_b32 v14, v15, v19, v14
.LBB442_502:                            ;   in Loop: Header=BB442_13 Depth=1
	s_or_b32 exec_lo, exec_lo, s23
.LBB442_503:                            ;   in Loop: Header=BB442_13 Depth=1
	s_delay_alu instid0(SALU_CYCLE_1)
	s_or_b32 exec_lo, exec_lo, s22
.LBB442_504:                            ;   in Loop: Header=BB442_13 Depth=1
	s_delay_alu instid0(SALU_CYCLE_1) | instskip(NEXT) | instid1(VALU_DEP_1)
	s_or_b32 exec_lo, exec_lo, s21
	v_mul_f32_e32 v14, v155, v14
	s_delay_alu instid0(VALU_DEP_1) | instskip(NEXT) | instid1(VALU_DEP_1)
	v_and_b32_e32 v15, 0x7f800000, v14
	v_cmp_ne_u32_e64 s1, 0x7f800000, v15
                                        ; implicit-def: $vgpr15
	s_delay_alu instid0(VALU_DEP_1) | instskip(NEXT) | instid1(SALU_CYCLE_1)
	s_and_saveexec_b32 s21, s1
	s_xor_b32 s1, exec_lo, s21
; %bb.505:                              ;   in Loop: Header=BB442_13 Depth=1
	v_bfe_u32 v15, v14, 16, 1
	s_delay_alu instid0(VALU_DEP_1)
	v_add3_u32 v15, v14, v15, 0x7fff
                                        ; implicit-def: $vgpr14
; %bb.506:                              ;   in Loop: Header=BB442_13 Depth=1
	s_and_not1_saveexec_b32 s21, s1
; %bb.507:                              ;   in Loop: Header=BB442_13 Depth=1
	v_and_b32_e32 v15, 0xffff, v14
	v_or_b32_e32 v19, 0x10000, v14
	s_delay_alu instid0(VALU_DEP_2) | instskip(NEXT) | instid1(VALU_DEP_1)
	v_cmp_eq_u32_e64 s1, 0, v15
	v_cndmask_b32_e64 v15, v19, v14, s1
; %bb.508:                              ;   in Loop: Header=BB442_13 Depth=1
	s_or_b32 exec_lo, exec_lo, s21
	v_lshrrev_b16 v19, 8, v33
	v_mov_b32_e32 v14, 0
	s_mov_b32 s21, exec_lo
	s_delay_alu instid0(VALU_DEP_2)
	v_cmpx_ne_u16_e32 0, v19
	s_cbranch_execz .LBB442_516
; %bb.509:                              ;   in Loop: Header=BB442_13 Depth=1
	v_bfrev_b32_e32 v14, 1
	s_mov_b32 s22, exec_lo
	v_cmpx_ne_u16_e32 0x80, v19
	s_cbranch_execz .LBB442_515
; %bb.510:                              ;   in Loop: Header=BB442_13 Depth=1
	v_and_b32_e32 v19, 0xffff, v19
	v_mov_b32_e32 v14, 0x7f800001
	s_mov_b32 s23, exec_lo
	s_delay_alu instid0(VALU_DEP_2) | instskip(NEXT) | instid1(VALU_DEP_1)
	v_and_b32_e32 v30, 0x7f, v19
	v_cmpx_ne_u32_e32 0x7f, v30
	s_cbranch_execz .LBB442_514
; %bb.511:                              ;   in Loop: Header=BB442_13 Depth=1
	v_and_b32_e32 v19, 7, v19
	v_lshrrev_b32_e32 v14, 3, v30
	v_mov_b32_e32 v36, v20
	s_mov_b32 s24, exec_lo
	s_delay_alu instid0(VALU_DEP_3)
	v_mov_b32_e32 v35, v19
	v_cmpx_gt_u32_e32 8, v30
; %bb.512:                              ;   in Loop: Header=BB442_13 Depth=1
	v_clz_i32_u32_e32 v14, v19
	s_delay_alu instid0(VALU_DEP_1) | instskip(NEXT) | instid1(VALU_DEP_1)
	v_min_u32_e32 v14, 32, v14
	v_subrev_nc_u32_e32 v30, 28, v14
	v_sub_nc_u32_e32 v14, 29, v14
	s_delay_alu instid0(VALU_DEP_2) | instskip(NEXT) | instid1(VALU_DEP_1)
	v_lshlrev_b64 v[35:36], v30, v[19:20]
	v_and_b32_e32 v35, 7, v35
; %bb.513:                              ;   in Loop: Header=BB442_13 Depth=1
	s_or_b32 exec_lo, exec_lo, s24
	v_lshlrev_b32_e32 v19, 16, v33
	s_delay_alu instid0(VALU_DEP_2) | instskip(SKIP_1) | instid1(VALU_DEP_3)
	v_lshlrev_b32_e32 v30, 20, v35
	v_lshl_add_u32 v14, v14, 23, 0x3c000000
	v_and_b32_e32 v19, 0x80000000, v19
	s_delay_alu instid0(VALU_DEP_1)
	v_or3_b32 v14, v30, v19, v14
.LBB442_514:                            ;   in Loop: Header=BB442_13 Depth=1
	s_or_b32 exec_lo, exec_lo, s23
.LBB442_515:                            ;   in Loop: Header=BB442_13 Depth=1
	s_delay_alu instid0(SALU_CYCLE_1)
	s_or_b32 exec_lo, exec_lo, s22
.LBB442_516:                            ;   in Loop: Header=BB442_13 Depth=1
	s_delay_alu instid0(SALU_CYCLE_1) | instskip(NEXT) | instid1(VALU_DEP_1)
	s_or_b32 exec_lo, exec_lo, s21
	v_mul_f32_e32 v19, v155, v14
	s_delay_alu instid0(VALU_DEP_1) | instskip(NEXT) | instid1(VALU_DEP_1)
	v_and_b32_e32 v14, 0x7f800000, v19
	v_cmp_ne_u32_e64 s1, 0x7f800000, v14
                                        ; implicit-def: $vgpr14
	s_delay_alu instid0(VALU_DEP_1) | instskip(NEXT) | instid1(SALU_CYCLE_1)
	s_and_saveexec_b32 s21, s1
	s_xor_b32 s1, exec_lo, s21
; %bb.517:                              ;   in Loop: Header=BB442_13 Depth=1
	v_bfe_u32 v14, v19, 16, 1
	s_delay_alu instid0(VALU_DEP_1)
	v_add3_u32 v14, v19, v14, 0x7fff
                                        ; implicit-def: $vgpr19
; %bb.518:                              ;   in Loop: Header=BB442_13 Depth=1
	s_and_not1_saveexec_b32 s21, s1
; %bb.519:                              ;   in Loop: Header=BB442_13 Depth=1
	v_and_b32_e32 v14, 0xffff, v19
	v_or_b32_e32 v30, 0x10000, v19
	s_delay_alu instid0(VALU_DEP_2) | instskip(NEXT) | instid1(VALU_DEP_1)
	v_cmp_eq_u32_e64 s1, 0, v14
	v_cndmask_b32_e64 v14, v30, v19, s1
; %bb.520:                              ;   in Loop: Header=BB442_13 Depth=1
	s_or_b32 exec_lo, exec_lo, s21
	v_lshrrev_b32_e32 v30, 16, v33
	v_mov_b32_e32 v19, 0
	s_mov_b32 s21, exec_lo
	s_delay_alu instid0(VALU_DEP_2) | instskip(NEXT) | instid1(VALU_DEP_1)
	v_and_b32_e32 v35, 0xff, v30
	v_cmpx_ne_u16_e32 0, v35
	s_cbranch_execz .LBB442_528
; %bb.521:                              ;   in Loop: Header=BB442_13 Depth=1
	v_bfrev_b32_e32 v19, 1
	s_mov_b32 s22, exec_lo
	v_cmpx_ne_u16_e32 0x80, v35
	s_cbranch_execz .LBB442_527
; %bb.522:                              ;   in Loop: Header=BB442_13 Depth=1
	v_bfe_u32 v35, v33, 16, 7
	v_mov_b32_e32 v19, 0x7f800001
	s_mov_b32 s23, exec_lo
	s_delay_alu instid0(VALU_DEP_2)
	v_cmpx_ne_u32_e32 0x7f, v35
	s_cbranch_execz .LBB442_526
; %bb.523:                              ;   in Loop: Header=BB442_13 Depth=1
	v_and_b32_e32 v19, 7, v30
	v_lshrrev_b32_e32 v64, 3, v35
	v_cmp_gt_u32_e64 s1, 8, v35
	s_delay_alu instid0(VALU_DEP_3) | instskip(NEXT) | instid1(VALU_DEP_2)
	v_dual_mov_b32 v36, v20 :: v_dual_mov_b32 v35, v19
	s_and_saveexec_b32 s24, s1
; %bb.524:                              ;   in Loop: Header=BB442_13 Depth=1
	v_clz_i32_u32_e32 v35, v19
	s_delay_alu instid0(VALU_DEP_1) | instskip(NEXT) | instid1(VALU_DEP_1)
	v_min_u32_e32 v64, 32, v35
	v_subrev_nc_u32_e32 v35, 28, v64
	v_sub_nc_u32_e32 v64, 29, v64
	s_delay_alu instid0(VALU_DEP_2) | instskip(NEXT) | instid1(VALU_DEP_1)
	v_lshlrev_b64 v[35:36], v35, v[19:20]
	v_and_b32_e32 v35, 7, v35
; %bb.525:                              ;   in Loop: Header=BB442_13 Depth=1
	s_or_b32 exec_lo, exec_lo, s24
	v_lshlrev_b32_e32 v19, 24, v30
	s_delay_alu instid0(VALU_DEP_2) | instskip(SKIP_1) | instid1(VALU_DEP_3)
	v_lshlrev_b32_e32 v30, 20, v35
	v_lshl_add_u32 v35, v64, 23, 0x3c000000
	v_and_b32_e32 v19, 0x80000000, v19
	s_delay_alu instid0(VALU_DEP_1)
	v_or3_b32 v19, v30, v19, v35
.LBB442_526:                            ;   in Loop: Header=BB442_13 Depth=1
	s_or_b32 exec_lo, exec_lo, s23
.LBB442_527:                            ;   in Loop: Header=BB442_13 Depth=1
	s_delay_alu instid0(SALU_CYCLE_1)
	s_or_b32 exec_lo, exec_lo, s22
.LBB442_528:                            ;   in Loop: Header=BB442_13 Depth=1
	s_delay_alu instid0(SALU_CYCLE_1) | instskip(NEXT) | instid1(VALU_DEP_1)
	s_or_b32 exec_lo, exec_lo, s21
	v_mul_f32_e32 v19, v155, v19
	s_delay_alu instid0(VALU_DEP_1) | instskip(NEXT) | instid1(VALU_DEP_1)
	v_and_b32_e32 v30, 0x7f800000, v19
	v_cmp_ne_u32_e64 s1, 0x7f800000, v30
                                        ; implicit-def: $vgpr30
	s_delay_alu instid0(VALU_DEP_1) | instskip(NEXT) | instid1(SALU_CYCLE_1)
	s_and_saveexec_b32 s21, s1
	s_xor_b32 s1, exec_lo, s21
; %bb.529:                              ;   in Loop: Header=BB442_13 Depth=1
	v_bfe_u32 v30, v19, 16, 1
	s_delay_alu instid0(VALU_DEP_1)
	v_add3_u32 v30, v19, v30, 0x7fff
                                        ; implicit-def: $vgpr19
; %bb.530:                              ;   in Loop: Header=BB442_13 Depth=1
	s_and_not1_saveexec_b32 s21, s1
; %bb.531:                              ;   in Loop: Header=BB442_13 Depth=1
	v_and_b32_e32 v30, 0xffff, v19
	v_or_b32_e32 v35, 0x10000, v19
	s_delay_alu instid0(VALU_DEP_2) | instskip(NEXT) | instid1(VALU_DEP_1)
	v_cmp_eq_u32_e64 s1, 0, v30
	v_cndmask_b32_e64 v30, v35, v19, s1
; %bb.532:                              ;   in Loop: Header=BB442_13 Depth=1
	s_or_b32 exec_lo, exec_lo, s21
	v_mov_b32_e32 v19, 0
	s_mov_b32 s21, exec_lo
	v_cmpx_lt_u32_e32 0xffffff, v33
	s_cbranch_execz .LBB442_540
; %bb.533:                              ;   in Loop: Header=BB442_13 Depth=1
	v_lshrrev_b32_e32 v64, 24, v33
	v_bfrev_b32_e32 v19, 1
	s_mov_b32 s22, exec_lo
	s_delay_alu instid0(VALU_DEP_2)
	v_cmpx_ne_u32_e32 0x80, v64
	s_cbranch_execz .LBB442_539
; %bb.534:                              ;   in Loop: Header=BB442_13 Depth=1
	v_bfe_u32 v35, v33, 24, 7
	v_mov_b32_e32 v19, 0x7f800001
	s_mov_b32 s23, exec_lo
	s_delay_alu instid0(VALU_DEP_2)
	v_cmpx_ne_u32_e32 0x7f, v35
	s_cbranch_execz .LBB442_538
; %bb.535:                              ;   in Loop: Header=BB442_13 Depth=1
	v_and_b32_e32 v19, 7, v64
	v_lshrrev_b32_e32 v65, 3, v35
	v_cmp_gt_u32_e64 s1, 8, v35
	s_delay_alu instid0(VALU_DEP_3) | instskip(NEXT) | instid1(VALU_DEP_2)
	v_dual_mov_b32 v36, v20 :: v_dual_mov_b32 v35, v19
	s_and_saveexec_b32 s24, s1
; %bb.536:                              ;   in Loop: Header=BB442_13 Depth=1
	v_clz_i32_u32_e32 v35, v19
	s_delay_alu instid0(VALU_DEP_1) | instskip(NEXT) | instid1(VALU_DEP_1)
	v_min_u32_e32 v65, 32, v35
	v_subrev_nc_u32_e32 v35, 28, v65
	v_sub_nc_u32_e32 v65, 29, v65
	s_delay_alu instid0(VALU_DEP_2) | instskip(NEXT) | instid1(VALU_DEP_1)
	v_lshlrev_b64 v[35:36], v35, v[19:20]
	v_and_b32_e32 v35, 7, v35
; %bb.537:                              ;   in Loop: Header=BB442_13 Depth=1
	s_or_b32 exec_lo, exec_lo, s24
	v_lshlrev_b32_e32 v19, 24, v64
	s_delay_alu instid0(VALU_DEP_2) | instskip(SKIP_1) | instid1(VALU_DEP_3)
	v_lshlrev_b32_e32 v35, 20, v35
	v_lshl_add_u32 v36, v65, 23, 0x3c000000
	v_and_b32_e32 v19, 0x80000000, v19
	s_delay_alu instid0(VALU_DEP_1)
	v_or3_b32 v19, v35, v19, v36
.LBB442_538:                            ;   in Loop: Header=BB442_13 Depth=1
	s_or_b32 exec_lo, exec_lo, s23
.LBB442_539:                            ;   in Loop: Header=BB442_13 Depth=1
	s_delay_alu instid0(SALU_CYCLE_1)
	s_or_b32 exec_lo, exec_lo, s22
.LBB442_540:                            ;   in Loop: Header=BB442_13 Depth=1
	s_delay_alu instid0(SALU_CYCLE_1) | instskip(NEXT) | instid1(VALU_DEP_1)
	s_or_b32 exec_lo, exec_lo, s21
	v_mul_f32_e32 v19, v155, v19
                                        ; implicit-def: $vgpr64
	s_delay_alu instid0(VALU_DEP_1) | instskip(NEXT) | instid1(VALU_DEP_1)
	v_and_b32_e32 v35, 0x7f800000, v19
	v_cmp_ne_u32_e64 s1, 0x7f800000, v35
	s_delay_alu instid0(VALU_DEP_1) | instskip(NEXT) | instid1(SALU_CYCLE_1)
	s_and_saveexec_b32 s21, s1
	s_xor_b32 s1, exec_lo, s21
; %bb.541:                              ;   in Loop: Header=BB442_13 Depth=1
	v_bfe_u32 v35, v19, 16, 1
	s_delay_alu instid0(VALU_DEP_1)
	v_add3_u32 v64, v19, v35, 0x7fff
                                        ; implicit-def: $vgpr19
; %bb.542:                              ;   in Loop: Header=BB442_13 Depth=1
	s_and_not1_saveexec_b32 s21, s1
; %bb.543:                              ;   in Loop: Header=BB442_13 Depth=1
	v_and_b32_e32 v35, 0xffff, v19
	v_or_b32_e32 v36, 0x10000, v19
	s_delay_alu instid0(VALU_DEP_2) | instskip(NEXT) | instid1(VALU_DEP_1)
	v_cmp_eq_u32_e64 s1, 0, v35
	v_cndmask_b32_e64 v64, v36, v19, s1
; %bb.544:                              ;   in Loop: Header=BB442_13 Depth=1
	s_or_b32 exec_lo, exec_lo, s21
	v_dual_mov_b32 v19, v34 :: v_dual_and_b32 v36, 0xff, v34
	v_mov_b32_e32 v35, 0
	s_mov_b32 s21, exec_lo
	s_delay_alu instid0(VALU_DEP_2)
	v_cmpx_ne_u16_e32 0, v36
	s_cbranch_execz .LBB442_552
; %bb.545:                              ;   in Loop: Header=BB442_13 Depth=1
	v_bfrev_b32_e32 v35, 1
	s_mov_b32 s22, exec_lo
	v_cmpx_ne_u16_e32 0x80, v36
	s_cbranch_execz .LBB442_551
; %bb.546:                              ;   in Loop: Header=BB442_13 Depth=1
	v_and_b32_e32 v36, 0x7f, v34
	v_mov_b32_e32 v35, 0x7f800001
	s_mov_b32 s23, exec_lo
	s_delay_alu instid0(VALU_DEP_2)
	v_cmpx_ne_u32_e32 0x7f, v36
	s_cbranch_execz .LBB442_550
; %bb.547:                              ;   in Loop: Header=BB442_13 Depth=1
	v_lshrrev_b32_e32 v65, 3, v36
	v_cmp_gt_u32_e64 s1, 8, v36
	v_dual_mov_b32 v36, v20 :: v_dual_mov_b32 v35, v19
	s_delay_alu instid0(VALU_DEP_2)
	s_and_saveexec_b32 s24, s1
; %bb.548:                              ;   in Loop: Header=BB442_13 Depth=1
	v_and_b32_e32 v35, 7, v34
	s_delay_alu instid0(VALU_DEP_1) | instskip(NEXT) | instid1(VALU_DEP_1)
	v_clz_i32_u32_e32 v35, v35
	v_min_u32_e32 v65, 32, v35
	s_delay_alu instid0(VALU_DEP_1) | instskip(SKIP_1) | instid1(VALU_DEP_2)
	v_subrev_nc_u32_e32 v35, 28, v65
	v_sub_nc_u32_e32 v65, 29, v65
	v_lshlrev_b64 v[35:36], v35, v[19:20]
; %bb.549:                              ;   in Loop: Header=BB442_13 Depth=1
	s_or_b32 exec_lo, exec_lo, s24
	s_delay_alu instid0(VALU_DEP_1) | instskip(SKIP_2) | instid1(VALU_DEP_3)
	v_lshlrev_b32_e32 v35, 20, v35
	v_lshlrev_b32_e32 v36, 24, v19
	v_lshl_add_u32 v65, v65, 23, 0x3c000000
	v_and_b32_e32 v35, 0x700000, v35
	s_delay_alu instid0(VALU_DEP_3) | instskip(NEXT) | instid1(VALU_DEP_1)
	v_and_b32_e32 v36, 0x80000000, v36
	v_or3_b32 v35, v35, v36, v65
.LBB442_550:                            ;   in Loop: Header=BB442_13 Depth=1
	s_or_b32 exec_lo, exec_lo, s23
.LBB442_551:                            ;   in Loop: Header=BB442_13 Depth=1
	s_delay_alu instid0(SALU_CYCLE_1)
	s_or_b32 exec_lo, exec_lo, s22
.LBB442_552:                            ;   in Loop: Header=BB442_13 Depth=1
	s_delay_alu instid0(SALU_CYCLE_1) | instskip(NEXT) | instid1(VALU_DEP_1)
	s_or_b32 exec_lo, exec_lo, s21
	v_mul_f32_e32 v35, v155, v35
                                        ; implicit-def: $vgpr65
	s_delay_alu instid0(VALU_DEP_1) | instskip(NEXT) | instid1(VALU_DEP_1)
	v_and_b32_e32 v36, 0x7f800000, v35
	v_cmp_ne_u32_e64 s1, 0x7f800000, v36
	s_delay_alu instid0(VALU_DEP_1) | instskip(NEXT) | instid1(SALU_CYCLE_1)
	s_and_saveexec_b32 s21, s1
	s_xor_b32 s1, exec_lo, s21
; %bb.553:                              ;   in Loop: Header=BB442_13 Depth=1
	v_bfe_u32 v36, v35, 16, 1
	s_delay_alu instid0(VALU_DEP_1)
	v_add3_u32 v65, v35, v36, 0x7fff
                                        ; implicit-def: $vgpr35
; %bb.554:                              ;   in Loop: Header=BB442_13 Depth=1
	s_and_not1_saveexec_b32 s21, s1
; %bb.555:                              ;   in Loop: Header=BB442_13 Depth=1
	v_and_b32_e32 v36, 0xffff, v35
	v_or_b32_e32 v65, 0x10000, v35
	s_delay_alu instid0(VALU_DEP_2) | instskip(NEXT) | instid1(VALU_DEP_1)
	v_cmp_eq_u32_e64 s1, 0, v36
	v_cndmask_b32_e64 v65, v65, v35, s1
; %bb.556:                              ;   in Loop: Header=BB442_13 Depth=1
	s_or_b32 exec_lo, exec_lo, s21
	v_lshrrev_b16 v36, 8, v19
	v_mov_b32_e32 v35, 0
	s_mov_b32 s21, exec_lo
	s_delay_alu instid0(VALU_DEP_2)
	v_cmpx_ne_u16_e32 0, v36
	s_cbranch_execz .LBB442_564
; %bb.557:                              ;   in Loop: Header=BB442_13 Depth=1
	v_bfrev_b32_e32 v35, 1
	s_mov_b32 s22, exec_lo
	v_cmpx_ne_u16_e32 0x80, v36
	s_cbranch_execz .LBB442_563
; %bb.558:                              ;   in Loop: Header=BB442_13 Depth=1
	v_and_b32_e32 v36, 0xffff, v36
	v_mov_b32_e32 v35, 0x7f800001
	s_mov_b32 s23, exec_lo
	s_delay_alu instid0(VALU_DEP_2) | instskip(NEXT) | instid1(VALU_DEP_1)
	v_and_b32_e32 v70, 0x7f, v36
	v_cmpx_ne_u32_e32 0x7f, v70
	s_cbranch_execz .LBB442_562
; %bb.559:                              ;   in Loop: Header=BB442_13 Depth=1
	v_dual_mov_b32 v36, v20 :: v_dual_and_b32 v35, 7, v36
	v_lshrrev_b32_e32 v69, 3, v70
	s_mov_b32 s24, exec_lo
	v_cmpx_gt_u32_e32 8, v70
; %bb.560:                              ;   in Loop: Header=BB442_13 Depth=1
	s_delay_alu instid0(VALU_DEP_3) | instskip(NEXT) | instid1(VALU_DEP_1)
	v_clz_i32_u32_e32 v69, v35
	v_min_u32_e32 v69, 32, v69
	s_delay_alu instid0(VALU_DEP_1) | instskip(SKIP_1) | instid1(VALU_DEP_2)
	v_subrev_nc_u32_e32 v70, 28, v69
	v_sub_nc_u32_e32 v69, 29, v69
	v_lshlrev_b64 v[35:36], v70, v[35:36]
	s_delay_alu instid0(VALU_DEP_1)
	v_and_b32_e32 v35, 7, v35
; %bb.561:                              ;   in Loop: Header=BB442_13 Depth=1
	s_or_b32 exec_lo, exec_lo, s24
	v_lshlrev_b32_e32 v19, 16, v19
	s_delay_alu instid0(VALU_DEP_2) | instskip(SKIP_1) | instid1(VALU_DEP_3)
	v_lshlrev_b32_e32 v35, 20, v35
	v_lshl_add_u32 v36, v69, 23, 0x3c000000
	v_and_b32_e32 v19, 0x80000000, v19
	s_delay_alu instid0(VALU_DEP_1)
	v_or3_b32 v35, v35, v19, v36
.LBB442_562:                            ;   in Loop: Header=BB442_13 Depth=1
	s_or_b32 exec_lo, exec_lo, s23
.LBB442_563:                            ;   in Loop: Header=BB442_13 Depth=1
	s_delay_alu instid0(SALU_CYCLE_1)
	s_or_b32 exec_lo, exec_lo, s22
.LBB442_564:                            ;   in Loop: Header=BB442_13 Depth=1
	s_delay_alu instid0(SALU_CYCLE_1) | instskip(NEXT) | instid1(VALU_DEP_1)
	s_or_b32 exec_lo, exec_lo, s21
	v_mul_f32_e32 v19, v155, v35
                                        ; implicit-def: $vgpr69
	s_delay_alu instid0(VALU_DEP_1) | instskip(NEXT) | instid1(VALU_DEP_1)
	v_and_b32_e32 v35, 0x7f800000, v19
	v_cmp_ne_u32_e64 s1, 0x7f800000, v35
	s_delay_alu instid0(VALU_DEP_1) | instskip(NEXT) | instid1(SALU_CYCLE_1)
	s_and_saveexec_b32 s21, s1
	s_xor_b32 s1, exec_lo, s21
; %bb.565:                              ;   in Loop: Header=BB442_13 Depth=1
	v_bfe_u32 v35, v19, 16, 1
	s_delay_alu instid0(VALU_DEP_1)
	v_add3_u32 v69, v19, v35, 0x7fff
                                        ; implicit-def: $vgpr19
; %bb.566:                              ;   in Loop: Header=BB442_13 Depth=1
	s_and_not1_saveexec_b32 s21, s1
; %bb.567:                              ;   in Loop: Header=BB442_13 Depth=1
	v_and_b32_e32 v35, 0xffff, v19
	v_or_b32_e32 v36, 0x10000, v19
	s_delay_alu instid0(VALU_DEP_2) | instskip(NEXT) | instid1(VALU_DEP_1)
	v_cmp_eq_u32_e64 s1, 0, v35
	v_cndmask_b32_e64 v69, v36, v19, s1
; %bb.568:                              ;   in Loop: Header=BB442_13 Depth=1
	s_or_b32 exec_lo, exec_lo, s21
	v_lshrrev_b32_e32 v70, 16, v34
	v_mov_b32_e32 v19, 0
	s_mov_b32 s21, exec_lo
	s_delay_alu instid0(VALU_DEP_2) | instskip(NEXT) | instid1(VALU_DEP_1)
	v_and_b32_e32 v35, 0xff, v70
	v_cmpx_ne_u16_e32 0, v35
	s_cbranch_execz .LBB442_576
; %bb.569:                              ;   in Loop: Header=BB442_13 Depth=1
	v_bfrev_b32_e32 v19, 1
	s_mov_b32 s22, exec_lo
	v_cmpx_ne_u16_e32 0x80, v35
	s_cbranch_execz .LBB442_575
; %bb.570:                              ;   in Loop: Header=BB442_13 Depth=1
	v_bfe_u32 v35, v34, 16, 7
	v_mov_b32_e32 v19, 0x7f800001
	s_mov_b32 s23, exec_lo
	s_delay_alu instid0(VALU_DEP_2)
	v_cmpx_ne_u32_e32 0x7f, v35
	s_cbranch_execz .LBB442_574
; %bb.571:                              ;   in Loop: Header=BB442_13 Depth=1
	v_and_b32_e32 v19, 7, v70
	v_lshrrev_b32_e32 v71, 3, v35
	v_cmp_gt_u32_e64 s1, 8, v35
	s_delay_alu instid0(VALU_DEP_3) | instskip(NEXT) | instid1(VALU_DEP_2)
	v_dual_mov_b32 v36, v20 :: v_dual_mov_b32 v35, v19
	s_and_saveexec_b32 s24, s1
; %bb.572:                              ;   in Loop: Header=BB442_13 Depth=1
	v_clz_i32_u32_e32 v35, v19
	s_delay_alu instid0(VALU_DEP_1) | instskip(NEXT) | instid1(VALU_DEP_1)
	v_min_u32_e32 v71, 32, v35
	v_subrev_nc_u32_e32 v35, 28, v71
	v_sub_nc_u32_e32 v71, 29, v71
	s_delay_alu instid0(VALU_DEP_2) | instskip(NEXT) | instid1(VALU_DEP_1)
	v_lshlrev_b64 v[35:36], v35, v[19:20]
	v_and_b32_e32 v35, 7, v35
; %bb.573:                              ;   in Loop: Header=BB442_13 Depth=1
	s_or_b32 exec_lo, exec_lo, s24
	v_lshlrev_b32_e32 v19, 24, v70
	s_delay_alu instid0(VALU_DEP_2) | instskip(SKIP_1) | instid1(VALU_DEP_3)
	v_lshlrev_b32_e32 v35, 20, v35
	v_lshl_add_u32 v36, v71, 23, 0x3c000000
	v_and_b32_e32 v19, 0x80000000, v19
	s_delay_alu instid0(VALU_DEP_1)
	v_or3_b32 v19, v35, v19, v36
.LBB442_574:                            ;   in Loop: Header=BB442_13 Depth=1
	s_or_b32 exec_lo, exec_lo, s23
.LBB442_575:                            ;   in Loop: Header=BB442_13 Depth=1
	s_delay_alu instid0(SALU_CYCLE_1)
	s_or_b32 exec_lo, exec_lo, s22
.LBB442_576:                            ;   in Loop: Header=BB442_13 Depth=1
	s_delay_alu instid0(SALU_CYCLE_1) | instskip(NEXT) | instid1(VALU_DEP_1)
	s_or_b32 exec_lo, exec_lo, s21
	v_mul_f32_e32 v19, v155, v19
                                        ; implicit-def: $vgpr70
	s_delay_alu instid0(VALU_DEP_1) | instskip(NEXT) | instid1(VALU_DEP_1)
	v_and_b32_e32 v35, 0x7f800000, v19
	v_cmp_ne_u32_e64 s1, 0x7f800000, v35
	s_delay_alu instid0(VALU_DEP_1) | instskip(NEXT) | instid1(SALU_CYCLE_1)
	s_and_saveexec_b32 s21, s1
	s_xor_b32 s1, exec_lo, s21
; %bb.577:                              ;   in Loop: Header=BB442_13 Depth=1
	v_bfe_u32 v35, v19, 16, 1
	s_delay_alu instid0(VALU_DEP_1)
	v_add3_u32 v70, v19, v35, 0x7fff
                                        ; implicit-def: $vgpr19
; %bb.578:                              ;   in Loop: Header=BB442_13 Depth=1
	s_and_not1_saveexec_b32 s21, s1
; %bb.579:                              ;   in Loop: Header=BB442_13 Depth=1
	v_and_b32_e32 v35, 0xffff, v19
	v_or_b32_e32 v36, 0x10000, v19
	s_delay_alu instid0(VALU_DEP_2) | instskip(NEXT) | instid1(VALU_DEP_1)
	v_cmp_eq_u32_e64 s1, 0, v35
	v_cndmask_b32_e64 v70, v36, v19, s1
; %bb.580:                              ;   in Loop: Header=BB442_13 Depth=1
	s_or_b32 exec_lo, exec_lo, s21
	v_mov_b32_e32 v19, 0
	s_mov_b32 s21, exec_lo
	v_cmpx_lt_u64_e64 s[16:17], v[33:34]
	s_cbranch_execz .LBB442_588
; %bb.581:                              ;   in Loop: Header=BB442_13 Depth=1
	v_lshrrev_b32_e32 v35, 24, v34
	v_bfrev_b32_e32 v19, 1
	s_mov_b32 s22, exec_lo
	s_delay_alu instid0(VALU_DEP_2)
	v_cmpx_ne_u32_e32 0x80, v35
	s_cbranch_execz .LBB442_587
; %bb.582:                              ;   in Loop: Header=BB442_13 Depth=1
	v_bfe_u32 v33, v34, 24, 7
	v_mov_b32_e32 v19, 0x7f800001
	s_mov_b32 s23, exec_lo
	s_delay_alu instid0(VALU_DEP_2)
	v_cmpx_ne_u32_e32 0x7f, v33
	s_cbranch_execz .LBB442_586
; %bb.583:                              ;   in Loop: Header=BB442_13 Depth=1
	v_and_b32_e32 v19, 7, v35
	v_lshrrev_b32_e32 v36, 3, v33
	v_cmp_gt_u32_e64 s1, 8, v33
	s_delay_alu instid0(VALU_DEP_3) | instskip(NEXT) | instid1(VALU_DEP_2)
	v_dual_mov_b32 v34, v20 :: v_dual_mov_b32 v33, v19
	s_and_saveexec_b32 s24, s1
; %bb.584:                              ;   in Loop: Header=BB442_13 Depth=1
	v_clz_i32_u32_e32 v33, v19
	s_delay_alu instid0(VALU_DEP_1) | instskip(NEXT) | instid1(VALU_DEP_1)
	v_min_u32_e32 v36, 32, v33
	v_subrev_nc_u32_e32 v33, 28, v36
	v_sub_nc_u32_e32 v36, 29, v36
	s_delay_alu instid0(VALU_DEP_2) | instskip(NEXT) | instid1(VALU_DEP_1)
	v_lshlrev_b64 v[33:34], v33, v[19:20]
	v_and_b32_e32 v33, 7, v33
; %bb.585:                              ;   in Loop: Header=BB442_13 Depth=1
	s_or_b32 exec_lo, exec_lo, s24
	v_lshlrev_b32_e32 v19, 24, v35
	s_delay_alu instid0(VALU_DEP_2) | instskip(SKIP_1) | instid1(VALU_DEP_3)
	v_lshlrev_b32_e32 v33, 20, v33
	v_lshl_add_u32 v34, v36, 23, 0x3c000000
	v_and_b32_e32 v19, 0x80000000, v19
	s_delay_alu instid0(VALU_DEP_1)
	v_or3_b32 v19, v33, v19, v34
.LBB442_586:                            ;   in Loop: Header=BB442_13 Depth=1
	s_or_b32 exec_lo, exec_lo, s23
.LBB442_587:                            ;   in Loop: Header=BB442_13 Depth=1
	s_delay_alu instid0(SALU_CYCLE_1)
	s_or_b32 exec_lo, exec_lo, s22
.LBB442_588:                            ;   in Loop: Header=BB442_13 Depth=1
	s_delay_alu instid0(SALU_CYCLE_1) | instskip(NEXT) | instid1(VALU_DEP_1)
	s_or_b32 exec_lo, exec_lo, s21
	v_mul_f32_e32 v19, v155, v19
                                        ; implicit-def: $vgpr71
	s_delay_alu instid0(VALU_DEP_1) | instskip(NEXT) | instid1(VALU_DEP_1)
	v_and_b32_e32 v33, 0x7f800000, v19
	v_cmp_ne_u32_e64 s1, 0x7f800000, v33
	s_delay_alu instid0(VALU_DEP_1) | instskip(NEXT) | instid1(SALU_CYCLE_1)
	s_and_saveexec_b32 s21, s1
	s_xor_b32 s1, exec_lo, s21
; %bb.589:                              ;   in Loop: Header=BB442_13 Depth=1
	v_bfe_u32 v33, v19, 16, 1
	s_delay_alu instid0(VALU_DEP_1)
	v_add3_u32 v71, v19, v33, 0x7fff
                                        ; implicit-def: $vgpr19
; %bb.590:                              ;   in Loop: Header=BB442_13 Depth=1
	s_and_not1_saveexec_b32 s21, s1
; %bb.591:                              ;   in Loop: Header=BB442_13 Depth=1
	v_and_b32_e32 v33, 0xffff, v19
	v_or_b32_e32 v34, 0x10000, v19
	s_delay_alu instid0(VALU_DEP_2) | instskip(NEXT) | instid1(VALU_DEP_1)
	v_cmp_eq_u32_e64 s1, 0, v33
	v_cndmask_b32_e64 v71, v34, v19, s1
; %bb.592:                              ;   in Loop: Header=BB442_13 Depth=1
	s_or_b32 exec_lo, exec_lo, s21
	flat_load_b64 v[33:34], v[31:32] offset:1536
	v_mov_b32_e32 v19, 0
	s_mov_b32 s21, exec_lo
	s_waitcnt vmcnt(0) lgkmcnt(0)
	v_and_b32_e32 v35, 0xff, v33
	s_delay_alu instid0(VALU_DEP_1)
	v_cmpx_ne_u16_e32 0, v35
	s_cbranch_execz .LBB442_600
; %bb.593:                              ;   in Loop: Header=BB442_13 Depth=1
	v_bfrev_b32_e32 v19, 1
	s_mov_b32 s22, exec_lo
	v_cmpx_ne_u16_e32 0x80, v35
	s_cbranch_execz .LBB442_599
; %bb.594:                              ;   in Loop: Header=BB442_13 Depth=1
	v_and_b32_e32 v35, 0x7f, v33
	v_mov_b32_e32 v19, 0x7f800001
	s_mov_b32 s23, exec_lo
	s_delay_alu instid0(VALU_DEP_2)
	v_cmpx_ne_u32_e32 0x7f, v35
	s_cbranch_execz .LBB442_598
; %bb.595:                              ;   in Loop: Header=BB442_13 Depth=1
	v_lshrrev_b32_e32 v19, 3, v35
	v_cmp_gt_u32_e64 s1, 8, v35
	v_dual_mov_b32 v36, v34 :: v_dual_mov_b32 v35, v33
	s_delay_alu instid0(VALU_DEP_2)
	s_and_saveexec_b32 s24, s1
; %bb.596:                              ;   in Loop: Header=BB442_13 Depth=1
	v_and_b32_e32 v19, 7, v33
	s_delay_alu instid0(VALU_DEP_1) | instskip(NEXT) | instid1(VALU_DEP_1)
	v_clz_i32_u32_e32 v19, v19
	v_min_u32_e32 v19, 32, v19
	s_delay_alu instid0(VALU_DEP_1) | instskip(SKIP_1) | instid1(VALU_DEP_2)
	v_subrev_nc_u32_e32 v35, 28, v19
	v_sub_nc_u32_e32 v19, 29, v19
	v_lshlrev_b64 v[35:36], v35, v[33:34]
; %bb.597:                              ;   in Loop: Header=BB442_13 Depth=1
	s_or_b32 exec_lo, exec_lo, s24
	s_delay_alu instid0(VALU_DEP_1) | instskip(SKIP_2) | instid1(VALU_DEP_3)
	v_lshlrev_b32_e32 v35, 20, v35
	v_lshlrev_b32_e32 v36, 24, v33
	v_lshl_add_u32 v19, v19, 23, 0x3c000000
	v_and_b32_e32 v35, 0x700000, v35
	s_delay_alu instid0(VALU_DEP_3) | instskip(NEXT) | instid1(VALU_DEP_1)
	v_and_b32_e32 v36, 0x80000000, v36
	v_or3_b32 v19, v35, v36, v19
.LBB442_598:                            ;   in Loop: Header=BB442_13 Depth=1
	s_or_b32 exec_lo, exec_lo, s23
.LBB442_599:                            ;   in Loop: Header=BB442_13 Depth=1
	s_delay_alu instid0(SALU_CYCLE_1)
	s_or_b32 exec_lo, exec_lo, s22
.LBB442_600:                            ;   in Loop: Header=BB442_13 Depth=1
	s_delay_alu instid0(SALU_CYCLE_1) | instskip(NEXT) | instid1(VALU_DEP_1)
	s_or_b32 exec_lo, exec_lo, s21
	v_mul_f32_e32 v19, v155, v19
                                        ; implicit-def: $vgpr80
	s_delay_alu instid0(VALU_DEP_1) | instskip(NEXT) | instid1(VALU_DEP_1)
	v_and_b32_e32 v35, 0x7f800000, v19
	v_cmp_ne_u32_e64 s1, 0x7f800000, v35
	s_delay_alu instid0(VALU_DEP_1) | instskip(NEXT) | instid1(SALU_CYCLE_1)
	s_and_saveexec_b32 s21, s1
	s_xor_b32 s1, exec_lo, s21
; %bb.601:                              ;   in Loop: Header=BB442_13 Depth=1
	v_bfe_u32 v35, v19, 16, 1
	s_delay_alu instid0(VALU_DEP_1)
	v_add3_u32 v80, v19, v35, 0x7fff
                                        ; implicit-def: $vgpr19
; %bb.602:                              ;   in Loop: Header=BB442_13 Depth=1
	s_and_not1_saveexec_b32 s21, s1
; %bb.603:                              ;   in Loop: Header=BB442_13 Depth=1
	v_and_b32_e32 v35, 0xffff, v19
	v_or_b32_e32 v36, 0x10000, v19
	s_delay_alu instid0(VALU_DEP_2) | instskip(NEXT) | instid1(VALU_DEP_1)
	v_cmp_eq_u32_e64 s1, 0, v35
	v_cndmask_b32_e64 v80, v36, v19, s1
; %bb.604:                              ;   in Loop: Header=BB442_13 Depth=1
	s_or_b32 exec_lo, exec_lo, s21
	v_lshrrev_b16 v35, 8, v33
	v_mov_b32_e32 v19, 0
	s_mov_b32 s21, exec_lo
	s_delay_alu instid0(VALU_DEP_2)
	v_cmpx_ne_u16_e32 0, v35
	s_cbranch_execz .LBB442_612
; %bb.605:                              ;   in Loop: Header=BB442_13 Depth=1
	v_bfrev_b32_e32 v19, 1
	s_mov_b32 s22, exec_lo
	v_cmpx_ne_u16_e32 0x80, v35
	s_cbranch_execz .LBB442_611
; %bb.606:                              ;   in Loop: Header=BB442_13 Depth=1
	v_and_b32_e32 v36, 0xffff, v35
	v_mov_b32_e32 v19, 0x7f800001
	s_mov_b32 s23, exec_lo
	s_delay_alu instid0(VALU_DEP_2) | instskip(NEXT) | instid1(VALU_DEP_1)
	v_and_b32_e32 v35, 0x7f, v36
	v_cmpx_ne_u32_e32 0x7f, v35
	s_cbranch_execz .LBB442_610
; %bb.607:                              ;   in Loop: Header=BB442_13 Depth=1
	v_and_b32_e32 v19, 7, v36
	v_lshrrev_b32_e32 v81, 3, v35
	v_cmp_gt_u32_e64 s1, 8, v35
	s_delay_alu instid0(VALU_DEP_3) | instskip(NEXT) | instid1(VALU_DEP_2)
	v_dual_mov_b32 v36, v20 :: v_dual_mov_b32 v35, v19
	s_and_saveexec_b32 s24, s1
; %bb.608:                              ;   in Loop: Header=BB442_13 Depth=1
	v_clz_i32_u32_e32 v35, v19
	s_delay_alu instid0(VALU_DEP_1) | instskip(NEXT) | instid1(VALU_DEP_1)
	v_min_u32_e32 v81, 32, v35
	v_subrev_nc_u32_e32 v35, 28, v81
	v_sub_nc_u32_e32 v81, 29, v81
	s_delay_alu instid0(VALU_DEP_2) | instskip(NEXT) | instid1(VALU_DEP_1)
	v_lshlrev_b64 v[35:36], v35, v[19:20]
	v_and_b32_e32 v35, 7, v35
; %bb.609:                              ;   in Loop: Header=BB442_13 Depth=1
	s_or_b32 exec_lo, exec_lo, s24
	v_lshlrev_b32_e32 v19, 16, v33
	s_delay_alu instid0(VALU_DEP_2) | instskip(SKIP_1) | instid1(VALU_DEP_3)
	v_lshlrev_b32_e32 v35, 20, v35
	v_lshl_add_u32 v36, v81, 23, 0x3c000000
	v_and_b32_e32 v19, 0x80000000, v19
	s_delay_alu instid0(VALU_DEP_1)
	v_or3_b32 v19, v35, v19, v36
.LBB442_610:                            ;   in Loop: Header=BB442_13 Depth=1
	s_or_b32 exec_lo, exec_lo, s23
.LBB442_611:                            ;   in Loop: Header=BB442_13 Depth=1
	s_delay_alu instid0(SALU_CYCLE_1)
	s_or_b32 exec_lo, exec_lo, s22
.LBB442_612:                            ;   in Loop: Header=BB442_13 Depth=1
	s_delay_alu instid0(SALU_CYCLE_1) | instskip(NEXT) | instid1(VALU_DEP_1)
	s_or_b32 exec_lo, exec_lo, s21
	v_mul_f32_e32 v19, v155, v19
                                        ; implicit-def: $vgpr81
	s_delay_alu instid0(VALU_DEP_1) | instskip(NEXT) | instid1(VALU_DEP_1)
	v_and_b32_e32 v35, 0x7f800000, v19
	v_cmp_ne_u32_e64 s1, 0x7f800000, v35
	s_delay_alu instid0(VALU_DEP_1) | instskip(NEXT) | instid1(SALU_CYCLE_1)
	s_and_saveexec_b32 s21, s1
	s_xor_b32 s1, exec_lo, s21
; %bb.613:                              ;   in Loop: Header=BB442_13 Depth=1
	v_bfe_u32 v35, v19, 16, 1
	s_delay_alu instid0(VALU_DEP_1)
	v_add3_u32 v81, v19, v35, 0x7fff
                                        ; implicit-def: $vgpr19
; %bb.614:                              ;   in Loop: Header=BB442_13 Depth=1
	s_and_not1_saveexec_b32 s21, s1
; %bb.615:                              ;   in Loop: Header=BB442_13 Depth=1
	v_and_b32_e32 v35, 0xffff, v19
	v_or_b32_e32 v36, 0x10000, v19
	s_delay_alu instid0(VALU_DEP_2) | instskip(NEXT) | instid1(VALU_DEP_1)
	v_cmp_eq_u32_e64 s1, 0, v35
	v_cndmask_b32_e64 v81, v36, v19, s1
; %bb.616:                              ;   in Loop: Header=BB442_13 Depth=1
	s_or_b32 exec_lo, exec_lo, s21
	v_lshrrev_b32_e32 v82, 16, v33
	v_mov_b32_e32 v19, 0
	s_mov_b32 s21, exec_lo
	s_delay_alu instid0(VALU_DEP_2) | instskip(NEXT) | instid1(VALU_DEP_1)
	v_and_b32_e32 v35, 0xff, v82
	v_cmpx_ne_u16_e32 0, v35
	s_cbranch_execz .LBB442_624
; %bb.617:                              ;   in Loop: Header=BB442_13 Depth=1
	v_bfrev_b32_e32 v19, 1
	s_mov_b32 s22, exec_lo
	v_cmpx_ne_u16_e32 0x80, v35
	s_cbranch_execz .LBB442_623
; %bb.618:                              ;   in Loop: Header=BB442_13 Depth=1
	v_bfe_u32 v35, v33, 16, 7
	v_mov_b32_e32 v19, 0x7f800001
	s_mov_b32 s23, exec_lo
	s_delay_alu instid0(VALU_DEP_2)
	v_cmpx_ne_u32_e32 0x7f, v35
	s_cbranch_execz .LBB442_622
; %bb.619:                              ;   in Loop: Header=BB442_13 Depth=1
	v_and_b32_e32 v19, 7, v82
	v_lshrrev_b32_e32 v83, 3, v35
	v_cmp_gt_u32_e64 s1, 8, v35
	s_delay_alu instid0(VALU_DEP_3) | instskip(NEXT) | instid1(VALU_DEP_2)
	v_dual_mov_b32 v36, v20 :: v_dual_mov_b32 v35, v19
	s_and_saveexec_b32 s24, s1
; %bb.620:                              ;   in Loop: Header=BB442_13 Depth=1
	v_clz_i32_u32_e32 v35, v19
	s_delay_alu instid0(VALU_DEP_1) | instskip(NEXT) | instid1(VALU_DEP_1)
	v_min_u32_e32 v83, 32, v35
	v_subrev_nc_u32_e32 v35, 28, v83
	v_sub_nc_u32_e32 v83, 29, v83
	s_delay_alu instid0(VALU_DEP_2) | instskip(NEXT) | instid1(VALU_DEP_1)
	v_lshlrev_b64 v[35:36], v35, v[19:20]
	v_and_b32_e32 v35, 7, v35
; %bb.621:                              ;   in Loop: Header=BB442_13 Depth=1
	s_or_b32 exec_lo, exec_lo, s24
	v_lshlrev_b32_e32 v19, 24, v82
	s_delay_alu instid0(VALU_DEP_2) | instskip(SKIP_1) | instid1(VALU_DEP_3)
	v_lshlrev_b32_e32 v35, 20, v35
	v_lshl_add_u32 v36, v83, 23, 0x3c000000
	v_and_b32_e32 v19, 0x80000000, v19
	s_delay_alu instid0(VALU_DEP_1)
	v_or3_b32 v19, v35, v19, v36
.LBB442_622:                            ;   in Loop: Header=BB442_13 Depth=1
	s_or_b32 exec_lo, exec_lo, s23
.LBB442_623:                            ;   in Loop: Header=BB442_13 Depth=1
	s_delay_alu instid0(SALU_CYCLE_1)
	s_or_b32 exec_lo, exec_lo, s22
.LBB442_624:                            ;   in Loop: Header=BB442_13 Depth=1
	s_delay_alu instid0(SALU_CYCLE_1) | instskip(NEXT) | instid1(VALU_DEP_1)
	s_or_b32 exec_lo, exec_lo, s21
	v_mul_f32_e32 v19, v155, v19
                                        ; implicit-def: $vgpr82
	s_delay_alu instid0(VALU_DEP_1) | instskip(NEXT) | instid1(VALU_DEP_1)
	v_and_b32_e32 v35, 0x7f800000, v19
	v_cmp_ne_u32_e64 s1, 0x7f800000, v35
	s_delay_alu instid0(VALU_DEP_1) | instskip(NEXT) | instid1(SALU_CYCLE_1)
	s_and_saveexec_b32 s21, s1
	s_xor_b32 s1, exec_lo, s21
; %bb.625:                              ;   in Loop: Header=BB442_13 Depth=1
	v_bfe_u32 v35, v19, 16, 1
	s_delay_alu instid0(VALU_DEP_1)
	v_add3_u32 v82, v19, v35, 0x7fff
                                        ; implicit-def: $vgpr19
; %bb.626:                              ;   in Loop: Header=BB442_13 Depth=1
	s_and_not1_saveexec_b32 s21, s1
; %bb.627:                              ;   in Loop: Header=BB442_13 Depth=1
	v_and_b32_e32 v35, 0xffff, v19
	v_or_b32_e32 v36, 0x10000, v19
	s_delay_alu instid0(VALU_DEP_2) | instskip(NEXT) | instid1(VALU_DEP_1)
	v_cmp_eq_u32_e64 s1, 0, v35
	v_cndmask_b32_e64 v82, v36, v19, s1
; %bb.628:                              ;   in Loop: Header=BB442_13 Depth=1
	s_or_b32 exec_lo, exec_lo, s21
	v_mov_b32_e32 v19, 0
	s_mov_b32 s21, exec_lo
	v_cmpx_lt_u32_e32 0xffffff, v33
	s_cbranch_execz .LBB442_636
; %bb.629:                              ;   in Loop: Header=BB442_13 Depth=1
	v_lshrrev_b32_e32 v83, 24, v33
	v_bfrev_b32_e32 v19, 1
	s_mov_b32 s22, exec_lo
	s_delay_alu instid0(VALU_DEP_2)
	v_cmpx_ne_u32_e32 0x80, v83
	s_cbranch_execz .LBB442_635
; %bb.630:                              ;   in Loop: Header=BB442_13 Depth=1
	v_bfe_u32 v35, v33, 24, 7
	v_mov_b32_e32 v19, 0x7f800001
	s_mov_b32 s23, exec_lo
	s_delay_alu instid0(VALU_DEP_2)
	v_cmpx_ne_u32_e32 0x7f, v35
	s_cbranch_execz .LBB442_634
; %bb.631:                              ;   in Loop: Header=BB442_13 Depth=1
	v_and_b32_e32 v19, 7, v83
	v_lshrrev_b32_e32 v84, 3, v35
	v_cmp_gt_u32_e64 s1, 8, v35
	s_delay_alu instid0(VALU_DEP_3) | instskip(NEXT) | instid1(VALU_DEP_2)
	v_dual_mov_b32 v36, v20 :: v_dual_mov_b32 v35, v19
	s_and_saveexec_b32 s24, s1
; %bb.632:                              ;   in Loop: Header=BB442_13 Depth=1
	v_clz_i32_u32_e32 v35, v19
	s_delay_alu instid0(VALU_DEP_1) | instskip(NEXT) | instid1(VALU_DEP_1)
	v_min_u32_e32 v84, 32, v35
	v_subrev_nc_u32_e32 v35, 28, v84
	v_sub_nc_u32_e32 v84, 29, v84
	s_delay_alu instid0(VALU_DEP_2) | instskip(NEXT) | instid1(VALU_DEP_1)
	v_lshlrev_b64 v[35:36], v35, v[19:20]
	v_and_b32_e32 v35, 7, v35
; %bb.633:                              ;   in Loop: Header=BB442_13 Depth=1
	s_or_b32 exec_lo, exec_lo, s24
	v_lshlrev_b32_e32 v19, 24, v83
	s_delay_alu instid0(VALU_DEP_2) | instskip(SKIP_1) | instid1(VALU_DEP_3)
	v_lshlrev_b32_e32 v35, 20, v35
	v_lshl_add_u32 v36, v84, 23, 0x3c000000
	v_and_b32_e32 v19, 0x80000000, v19
	s_delay_alu instid0(VALU_DEP_1)
	v_or3_b32 v19, v35, v19, v36
.LBB442_634:                            ;   in Loop: Header=BB442_13 Depth=1
	s_or_b32 exec_lo, exec_lo, s23
.LBB442_635:                            ;   in Loop: Header=BB442_13 Depth=1
	s_delay_alu instid0(SALU_CYCLE_1)
	s_or_b32 exec_lo, exec_lo, s22
.LBB442_636:                            ;   in Loop: Header=BB442_13 Depth=1
	s_delay_alu instid0(SALU_CYCLE_1) | instskip(NEXT) | instid1(VALU_DEP_1)
	s_or_b32 exec_lo, exec_lo, s21
	v_mul_f32_e32 v19, v155, v19
                                        ; implicit-def: $vgpr83
	s_delay_alu instid0(VALU_DEP_1) | instskip(NEXT) | instid1(VALU_DEP_1)
	v_and_b32_e32 v35, 0x7f800000, v19
	v_cmp_ne_u32_e64 s1, 0x7f800000, v35
	s_delay_alu instid0(VALU_DEP_1) | instskip(NEXT) | instid1(SALU_CYCLE_1)
	s_and_saveexec_b32 s21, s1
	s_xor_b32 s1, exec_lo, s21
; %bb.637:                              ;   in Loop: Header=BB442_13 Depth=1
	v_bfe_u32 v35, v19, 16, 1
	s_delay_alu instid0(VALU_DEP_1)
	v_add3_u32 v83, v19, v35, 0x7fff
                                        ; implicit-def: $vgpr19
; %bb.638:                              ;   in Loop: Header=BB442_13 Depth=1
	s_and_not1_saveexec_b32 s21, s1
; %bb.639:                              ;   in Loop: Header=BB442_13 Depth=1
	v_and_b32_e32 v35, 0xffff, v19
	v_or_b32_e32 v36, 0x10000, v19
	s_delay_alu instid0(VALU_DEP_2) | instskip(NEXT) | instid1(VALU_DEP_1)
	v_cmp_eq_u32_e64 s1, 0, v35
	v_cndmask_b32_e64 v83, v36, v19, s1
; %bb.640:                              ;   in Loop: Header=BB442_13 Depth=1
	s_or_b32 exec_lo, exec_lo, s21
	v_dual_mov_b32 v19, v34 :: v_dual_and_b32 v36, 0xff, v34
	v_mov_b32_e32 v35, 0
	s_mov_b32 s21, exec_lo
	s_delay_alu instid0(VALU_DEP_2)
	v_cmpx_ne_u16_e32 0, v36
	s_cbranch_execz .LBB442_648
; %bb.641:                              ;   in Loop: Header=BB442_13 Depth=1
	v_bfrev_b32_e32 v35, 1
	s_mov_b32 s22, exec_lo
	v_cmpx_ne_u16_e32 0x80, v36
	s_cbranch_execz .LBB442_647
; %bb.642:                              ;   in Loop: Header=BB442_13 Depth=1
	v_and_b32_e32 v36, 0x7f, v34
	v_mov_b32_e32 v35, 0x7f800001
	s_mov_b32 s23, exec_lo
	s_delay_alu instid0(VALU_DEP_2)
	v_cmpx_ne_u32_e32 0x7f, v36
	s_cbranch_execz .LBB442_646
; %bb.643:                              ;   in Loop: Header=BB442_13 Depth=1
	v_lshrrev_b32_e32 v84, 3, v36
	v_cmp_gt_u32_e64 s1, 8, v36
	v_dual_mov_b32 v36, v20 :: v_dual_mov_b32 v35, v19
	s_delay_alu instid0(VALU_DEP_2)
	s_and_saveexec_b32 s24, s1
; %bb.644:                              ;   in Loop: Header=BB442_13 Depth=1
	v_and_b32_e32 v35, 7, v34
	s_delay_alu instid0(VALU_DEP_1) | instskip(NEXT) | instid1(VALU_DEP_1)
	v_clz_i32_u32_e32 v35, v35
	v_min_u32_e32 v84, 32, v35
	s_delay_alu instid0(VALU_DEP_1) | instskip(SKIP_1) | instid1(VALU_DEP_2)
	v_subrev_nc_u32_e32 v35, 28, v84
	v_sub_nc_u32_e32 v84, 29, v84
	v_lshlrev_b64 v[35:36], v35, v[19:20]
; %bb.645:                              ;   in Loop: Header=BB442_13 Depth=1
	s_or_b32 exec_lo, exec_lo, s24
	s_delay_alu instid0(VALU_DEP_1) | instskip(SKIP_2) | instid1(VALU_DEP_3)
	v_lshlrev_b32_e32 v35, 20, v35
	v_lshlrev_b32_e32 v36, 24, v19
	v_lshl_add_u32 v84, v84, 23, 0x3c000000
	v_and_b32_e32 v35, 0x700000, v35
	s_delay_alu instid0(VALU_DEP_3) | instskip(NEXT) | instid1(VALU_DEP_1)
	v_and_b32_e32 v36, 0x80000000, v36
	v_or3_b32 v35, v35, v36, v84
.LBB442_646:                            ;   in Loop: Header=BB442_13 Depth=1
	s_or_b32 exec_lo, exec_lo, s23
.LBB442_647:                            ;   in Loop: Header=BB442_13 Depth=1
	s_delay_alu instid0(SALU_CYCLE_1)
	s_or_b32 exec_lo, exec_lo, s22
.LBB442_648:                            ;   in Loop: Header=BB442_13 Depth=1
	s_delay_alu instid0(SALU_CYCLE_1) | instskip(NEXT) | instid1(VALU_DEP_1)
	s_or_b32 exec_lo, exec_lo, s21
	v_mul_f32_e32 v35, v155, v35
                                        ; implicit-def: $vgpr84
	s_delay_alu instid0(VALU_DEP_1) | instskip(NEXT) | instid1(VALU_DEP_1)
	v_and_b32_e32 v36, 0x7f800000, v35
	v_cmp_ne_u32_e64 s1, 0x7f800000, v36
	s_delay_alu instid0(VALU_DEP_1) | instskip(NEXT) | instid1(SALU_CYCLE_1)
	s_and_saveexec_b32 s21, s1
	s_xor_b32 s1, exec_lo, s21
; %bb.649:                              ;   in Loop: Header=BB442_13 Depth=1
	v_bfe_u32 v36, v35, 16, 1
	s_delay_alu instid0(VALU_DEP_1)
	v_add3_u32 v84, v35, v36, 0x7fff
                                        ; implicit-def: $vgpr35
; %bb.650:                              ;   in Loop: Header=BB442_13 Depth=1
	s_and_not1_saveexec_b32 s21, s1
; %bb.651:                              ;   in Loop: Header=BB442_13 Depth=1
	v_and_b32_e32 v36, 0xffff, v35
	v_or_b32_e32 v84, 0x10000, v35
	s_delay_alu instid0(VALU_DEP_2) | instskip(NEXT) | instid1(VALU_DEP_1)
	v_cmp_eq_u32_e64 s1, 0, v36
	v_cndmask_b32_e64 v84, v84, v35, s1
; %bb.652:                              ;   in Loop: Header=BB442_13 Depth=1
	s_or_b32 exec_lo, exec_lo, s21
	v_lshrrev_b16 v36, 8, v19
	v_mov_b32_e32 v35, 0
	s_mov_b32 s21, exec_lo
	s_delay_alu instid0(VALU_DEP_2)
	v_cmpx_ne_u16_e32 0, v36
	s_cbranch_execz .LBB442_660
; %bb.653:                              ;   in Loop: Header=BB442_13 Depth=1
	v_bfrev_b32_e32 v35, 1
	s_mov_b32 s22, exec_lo
	v_cmpx_ne_u16_e32 0x80, v36
	s_cbranch_execz .LBB442_659
; %bb.654:                              ;   in Loop: Header=BB442_13 Depth=1
	v_and_b32_e32 v36, 0xffff, v36
	v_mov_b32_e32 v35, 0x7f800001
	s_mov_b32 s23, exec_lo
	s_delay_alu instid0(VALU_DEP_2) | instskip(NEXT) | instid1(VALU_DEP_1)
	v_and_b32_e32 v86, 0x7f, v36
	v_cmpx_ne_u32_e32 0x7f, v86
	s_cbranch_execz .LBB442_658
; %bb.655:                              ;   in Loop: Header=BB442_13 Depth=1
	v_dual_mov_b32 v36, v20 :: v_dual_and_b32 v35, 7, v36
	v_lshrrev_b32_e32 v85, 3, v86
	s_mov_b32 s24, exec_lo
	v_cmpx_gt_u32_e32 8, v86
; %bb.656:                              ;   in Loop: Header=BB442_13 Depth=1
	s_delay_alu instid0(VALU_DEP_3) | instskip(NEXT) | instid1(VALU_DEP_1)
	v_clz_i32_u32_e32 v85, v35
	v_min_u32_e32 v85, 32, v85
	s_delay_alu instid0(VALU_DEP_1) | instskip(SKIP_1) | instid1(VALU_DEP_2)
	v_subrev_nc_u32_e32 v86, 28, v85
	v_sub_nc_u32_e32 v85, 29, v85
	v_lshlrev_b64 v[35:36], v86, v[35:36]
	s_delay_alu instid0(VALU_DEP_1)
	v_and_b32_e32 v35, 7, v35
; %bb.657:                              ;   in Loop: Header=BB442_13 Depth=1
	s_or_b32 exec_lo, exec_lo, s24
	v_lshlrev_b32_e32 v19, 16, v19
	s_delay_alu instid0(VALU_DEP_2) | instskip(SKIP_1) | instid1(VALU_DEP_3)
	v_lshlrev_b32_e32 v35, 20, v35
	v_lshl_add_u32 v36, v85, 23, 0x3c000000
	v_and_b32_e32 v19, 0x80000000, v19
	s_delay_alu instid0(VALU_DEP_1)
	v_or3_b32 v35, v35, v19, v36
.LBB442_658:                            ;   in Loop: Header=BB442_13 Depth=1
	s_or_b32 exec_lo, exec_lo, s23
.LBB442_659:                            ;   in Loop: Header=BB442_13 Depth=1
	s_delay_alu instid0(SALU_CYCLE_1)
	s_or_b32 exec_lo, exec_lo, s22
.LBB442_660:                            ;   in Loop: Header=BB442_13 Depth=1
	s_delay_alu instid0(SALU_CYCLE_1) | instskip(NEXT) | instid1(VALU_DEP_1)
	s_or_b32 exec_lo, exec_lo, s21
	v_mul_f32_e32 v19, v155, v35
                                        ; implicit-def: $vgpr85
	s_delay_alu instid0(VALU_DEP_1) | instskip(NEXT) | instid1(VALU_DEP_1)
	v_and_b32_e32 v35, 0x7f800000, v19
	v_cmp_ne_u32_e64 s1, 0x7f800000, v35
	s_delay_alu instid0(VALU_DEP_1) | instskip(NEXT) | instid1(SALU_CYCLE_1)
	s_and_saveexec_b32 s21, s1
	s_xor_b32 s1, exec_lo, s21
; %bb.661:                              ;   in Loop: Header=BB442_13 Depth=1
	v_bfe_u32 v35, v19, 16, 1
	s_delay_alu instid0(VALU_DEP_1)
	v_add3_u32 v85, v19, v35, 0x7fff
                                        ; implicit-def: $vgpr19
; %bb.662:                              ;   in Loop: Header=BB442_13 Depth=1
	s_and_not1_saveexec_b32 s21, s1
; %bb.663:                              ;   in Loop: Header=BB442_13 Depth=1
	v_and_b32_e32 v35, 0xffff, v19
	v_or_b32_e32 v36, 0x10000, v19
	s_delay_alu instid0(VALU_DEP_2) | instskip(NEXT) | instid1(VALU_DEP_1)
	v_cmp_eq_u32_e64 s1, 0, v35
	v_cndmask_b32_e64 v85, v36, v19, s1
; %bb.664:                              ;   in Loop: Header=BB442_13 Depth=1
	s_or_b32 exec_lo, exec_lo, s21
	v_lshrrev_b32_e32 v86, 16, v34
	v_mov_b32_e32 v19, 0
	s_mov_b32 s21, exec_lo
	s_delay_alu instid0(VALU_DEP_2) | instskip(NEXT) | instid1(VALU_DEP_1)
	v_and_b32_e32 v35, 0xff, v86
	v_cmpx_ne_u16_e32 0, v35
	s_cbranch_execz .LBB442_672
; %bb.665:                              ;   in Loop: Header=BB442_13 Depth=1
	v_bfrev_b32_e32 v19, 1
	s_mov_b32 s22, exec_lo
	v_cmpx_ne_u16_e32 0x80, v35
	s_cbranch_execz .LBB442_671
; %bb.666:                              ;   in Loop: Header=BB442_13 Depth=1
	v_bfe_u32 v35, v34, 16, 7
	v_mov_b32_e32 v19, 0x7f800001
	s_mov_b32 s23, exec_lo
	s_delay_alu instid0(VALU_DEP_2)
	v_cmpx_ne_u32_e32 0x7f, v35
	s_cbranch_execz .LBB442_670
; %bb.667:                              ;   in Loop: Header=BB442_13 Depth=1
	v_and_b32_e32 v19, 7, v86
	v_lshrrev_b32_e32 v87, 3, v35
	v_cmp_gt_u32_e64 s1, 8, v35
	s_delay_alu instid0(VALU_DEP_3) | instskip(NEXT) | instid1(VALU_DEP_2)
	v_dual_mov_b32 v36, v20 :: v_dual_mov_b32 v35, v19
	s_and_saveexec_b32 s24, s1
; %bb.668:                              ;   in Loop: Header=BB442_13 Depth=1
	v_clz_i32_u32_e32 v35, v19
	s_delay_alu instid0(VALU_DEP_1) | instskip(NEXT) | instid1(VALU_DEP_1)
	v_min_u32_e32 v87, 32, v35
	v_subrev_nc_u32_e32 v35, 28, v87
	v_sub_nc_u32_e32 v87, 29, v87
	s_delay_alu instid0(VALU_DEP_2) | instskip(NEXT) | instid1(VALU_DEP_1)
	v_lshlrev_b64 v[35:36], v35, v[19:20]
	v_and_b32_e32 v35, 7, v35
; %bb.669:                              ;   in Loop: Header=BB442_13 Depth=1
	s_or_b32 exec_lo, exec_lo, s24
	v_lshlrev_b32_e32 v19, 24, v86
	s_delay_alu instid0(VALU_DEP_2) | instskip(SKIP_1) | instid1(VALU_DEP_3)
	v_lshlrev_b32_e32 v35, 20, v35
	v_lshl_add_u32 v36, v87, 23, 0x3c000000
	v_and_b32_e32 v19, 0x80000000, v19
	s_delay_alu instid0(VALU_DEP_1)
	v_or3_b32 v19, v35, v19, v36
.LBB442_670:                            ;   in Loop: Header=BB442_13 Depth=1
	s_or_b32 exec_lo, exec_lo, s23
.LBB442_671:                            ;   in Loop: Header=BB442_13 Depth=1
	s_delay_alu instid0(SALU_CYCLE_1)
	s_or_b32 exec_lo, exec_lo, s22
.LBB442_672:                            ;   in Loop: Header=BB442_13 Depth=1
	s_delay_alu instid0(SALU_CYCLE_1) | instskip(NEXT) | instid1(VALU_DEP_1)
	s_or_b32 exec_lo, exec_lo, s21
	v_mul_f32_e32 v19, v155, v19
                                        ; implicit-def: $vgpr86
	s_delay_alu instid0(VALU_DEP_1) | instskip(NEXT) | instid1(VALU_DEP_1)
	v_and_b32_e32 v35, 0x7f800000, v19
	v_cmp_ne_u32_e64 s1, 0x7f800000, v35
	s_delay_alu instid0(VALU_DEP_1) | instskip(NEXT) | instid1(SALU_CYCLE_1)
	s_and_saveexec_b32 s21, s1
	s_xor_b32 s1, exec_lo, s21
; %bb.673:                              ;   in Loop: Header=BB442_13 Depth=1
	v_bfe_u32 v35, v19, 16, 1
	s_delay_alu instid0(VALU_DEP_1)
	v_add3_u32 v86, v19, v35, 0x7fff
                                        ; implicit-def: $vgpr19
; %bb.674:                              ;   in Loop: Header=BB442_13 Depth=1
	s_and_not1_saveexec_b32 s21, s1
; %bb.675:                              ;   in Loop: Header=BB442_13 Depth=1
	v_and_b32_e32 v35, 0xffff, v19
	v_or_b32_e32 v36, 0x10000, v19
	s_delay_alu instid0(VALU_DEP_2) | instskip(NEXT) | instid1(VALU_DEP_1)
	v_cmp_eq_u32_e64 s1, 0, v35
	v_cndmask_b32_e64 v86, v36, v19, s1
; %bb.676:                              ;   in Loop: Header=BB442_13 Depth=1
	s_or_b32 exec_lo, exec_lo, s21
	v_mov_b32_e32 v19, 0
	s_mov_b32 s21, exec_lo
	v_cmpx_lt_u64_e64 s[16:17], v[33:34]
	s_cbranch_execz .LBB442_684
; %bb.677:                              ;   in Loop: Header=BB442_13 Depth=1
	v_lshrrev_b32_e32 v35, 24, v34
	v_bfrev_b32_e32 v19, 1
	s_mov_b32 s22, exec_lo
	s_delay_alu instid0(VALU_DEP_2)
	v_cmpx_ne_u32_e32 0x80, v35
	s_cbranch_execz .LBB442_683
; %bb.678:                              ;   in Loop: Header=BB442_13 Depth=1
	v_bfe_u32 v33, v34, 24, 7
	v_mov_b32_e32 v19, 0x7f800001
	s_mov_b32 s23, exec_lo
	s_delay_alu instid0(VALU_DEP_2)
	v_cmpx_ne_u32_e32 0x7f, v33
	s_cbranch_execz .LBB442_682
; %bb.679:                              ;   in Loop: Header=BB442_13 Depth=1
	v_and_b32_e32 v19, 7, v35
	v_lshrrev_b32_e32 v36, 3, v33
	v_cmp_gt_u32_e64 s1, 8, v33
	s_delay_alu instid0(VALU_DEP_3) | instskip(NEXT) | instid1(VALU_DEP_2)
	v_dual_mov_b32 v34, v20 :: v_dual_mov_b32 v33, v19
	s_and_saveexec_b32 s24, s1
; %bb.680:                              ;   in Loop: Header=BB442_13 Depth=1
	v_clz_i32_u32_e32 v33, v19
	s_delay_alu instid0(VALU_DEP_1) | instskip(NEXT) | instid1(VALU_DEP_1)
	v_min_u32_e32 v36, 32, v33
	v_subrev_nc_u32_e32 v33, 28, v36
	v_sub_nc_u32_e32 v36, 29, v36
	s_delay_alu instid0(VALU_DEP_2) | instskip(NEXT) | instid1(VALU_DEP_1)
	v_lshlrev_b64 v[33:34], v33, v[19:20]
	v_and_b32_e32 v33, 7, v33
; %bb.681:                              ;   in Loop: Header=BB442_13 Depth=1
	s_or_b32 exec_lo, exec_lo, s24
	v_lshlrev_b32_e32 v19, 24, v35
	s_delay_alu instid0(VALU_DEP_2) | instskip(SKIP_1) | instid1(VALU_DEP_3)
	v_lshlrev_b32_e32 v33, 20, v33
	v_lshl_add_u32 v34, v36, 23, 0x3c000000
	v_and_b32_e32 v19, 0x80000000, v19
	s_delay_alu instid0(VALU_DEP_1)
	v_or3_b32 v19, v33, v19, v34
.LBB442_682:                            ;   in Loop: Header=BB442_13 Depth=1
	s_or_b32 exec_lo, exec_lo, s23
.LBB442_683:                            ;   in Loop: Header=BB442_13 Depth=1
	s_delay_alu instid0(SALU_CYCLE_1)
	s_or_b32 exec_lo, exec_lo, s22
.LBB442_684:                            ;   in Loop: Header=BB442_13 Depth=1
	s_delay_alu instid0(SALU_CYCLE_1) | instskip(NEXT) | instid1(VALU_DEP_1)
	s_or_b32 exec_lo, exec_lo, s21
	v_mul_f32_e32 v19, v155, v19
                                        ; implicit-def: $vgpr87
	s_delay_alu instid0(VALU_DEP_1) | instskip(NEXT) | instid1(VALU_DEP_1)
	v_and_b32_e32 v33, 0x7f800000, v19
	v_cmp_ne_u32_e64 s1, 0x7f800000, v33
	s_delay_alu instid0(VALU_DEP_1) | instskip(NEXT) | instid1(SALU_CYCLE_1)
	s_and_saveexec_b32 s21, s1
	s_xor_b32 s1, exec_lo, s21
; %bb.685:                              ;   in Loop: Header=BB442_13 Depth=1
	v_bfe_u32 v33, v19, 16, 1
	s_delay_alu instid0(VALU_DEP_1)
	v_add3_u32 v87, v19, v33, 0x7fff
                                        ; implicit-def: $vgpr19
; %bb.686:                              ;   in Loop: Header=BB442_13 Depth=1
	s_and_not1_saveexec_b32 s21, s1
; %bb.687:                              ;   in Loop: Header=BB442_13 Depth=1
	v_and_b32_e32 v33, 0xffff, v19
	v_or_b32_e32 v34, 0x10000, v19
	s_delay_alu instid0(VALU_DEP_2) | instskip(NEXT) | instid1(VALU_DEP_1)
	v_cmp_eq_u32_e64 s1, 0, v33
	v_cndmask_b32_e64 v87, v34, v19, s1
; %bb.688:                              ;   in Loop: Header=BB442_13 Depth=1
	s_or_b32 exec_lo, exec_lo, s21
	flat_load_b64 v[33:34], v[31:32] offset:1544
	v_mov_b32_e32 v19, 0
	s_mov_b32 s21, exec_lo
	s_waitcnt vmcnt(0) lgkmcnt(0)
	v_and_b32_e32 v35, 0xff, v33
	s_delay_alu instid0(VALU_DEP_1)
	v_cmpx_ne_u16_e32 0, v35
	s_cbranch_execz .LBB442_696
; %bb.689:                              ;   in Loop: Header=BB442_13 Depth=1
	v_bfrev_b32_e32 v19, 1
	s_mov_b32 s22, exec_lo
	v_cmpx_ne_u16_e32 0x80, v35
	s_cbranch_execz .LBB442_695
; %bb.690:                              ;   in Loop: Header=BB442_13 Depth=1
	v_and_b32_e32 v35, 0x7f, v33
	v_mov_b32_e32 v19, 0x7f800001
	s_mov_b32 s23, exec_lo
	s_delay_alu instid0(VALU_DEP_2)
	v_cmpx_ne_u32_e32 0x7f, v35
	s_cbranch_execz .LBB442_694
; %bb.691:                              ;   in Loop: Header=BB442_13 Depth=1
	v_lshrrev_b32_e32 v19, 3, v35
	v_cmp_gt_u32_e64 s1, 8, v35
	v_dual_mov_b32 v36, v34 :: v_dual_mov_b32 v35, v33
	s_delay_alu instid0(VALU_DEP_2)
	s_and_saveexec_b32 s24, s1
; %bb.692:                              ;   in Loop: Header=BB442_13 Depth=1
	v_and_b32_e32 v19, 7, v33
	s_delay_alu instid0(VALU_DEP_1) | instskip(NEXT) | instid1(VALU_DEP_1)
	v_clz_i32_u32_e32 v19, v19
	v_min_u32_e32 v19, 32, v19
	s_delay_alu instid0(VALU_DEP_1) | instskip(SKIP_1) | instid1(VALU_DEP_2)
	v_subrev_nc_u32_e32 v35, 28, v19
	v_sub_nc_u32_e32 v19, 29, v19
	v_lshlrev_b64 v[35:36], v35, v[33:34]
; %bb.693:                              ;   in Loop: Header=BB442_13 Depth=1
	s_or_b32 exec_lo, exec_lo, s24
	s_delay_alu instid0(VALU_DEP_1) | instskip(SKIP_2) | instid1(VALU_DEP_3)
	v_lshlrev_b32_e32 v35, 20, v35
	v_lshlrev_b32_e32 v36, 24, v33
	v_lshl_add_u32 v19, v19, 23, 0x3c000000
	v_and_b32_e32 v35, 0x700000, v35
	s_delay_alu instid0(VALU_DEP_3) | instskip(NEXT) | instid1(VALU_DEP_1)
	v_and_b32_e32 v36, 0x80000000, v36
	v_or3_b32 v19, v35, v36, v19
.LBB442_694:                            ;   in Loop: Header=BB442_13 Depth=1
	s_or_b32 exec_lo, exec_lo, s23
.LBB442_695:                            ;   in Loop: Header=BB442_13 Depth=1
	s_delay_alu instid0(SALU_CYCLE_1)
	s_or_b32 exec_lo, exec_lo, s22
.LBB442_696:                            ;   in Loop: Header=BB442_13 Depth=1
	s_delay_alu instid0(SALU_CYCLE_1) | instskip(NEXT) | instid1(VALU_DEP_1)
	s_or_b32 exec_lo, exec_lo, s21
	v_mul_f32_e32 v19, v155, v19
                                        ; implicit-def: $vgpr96
	s_delay_alu instid0(VALU_DEP_1) | instskip(NEXT) | instid1(VALU_DEP_1)
	v_and_b32_e32 v35, 0x7f800000, v19
	v_cmp_ne_u32_e64 s1, 0x7f800000, v35
	s_delay_alu instid0(VALU_DEP_1) | instskip(NEXT) | instid1(SALU_CYCLE_1)
	s_and_saveexec_b32 s21, s1
	s_xor_b32 s1, exec_lo, s21
; %bb.697:                              ;   in Loop: Header=BB442_13 Depth=1
	v_bfe_u32 v35, v19, 16, 1
	s_delay_alu instid0(VALU_DEP_1)
	v_add3_u32 v96, v19, v35, 0x7fff
                                        ; implicit-def: $vgpr19
; %bb.698:                              ;   in Loop: Header=BB442_13 Depth=1
	s_and_not1_saveexec_b32 s21, s1
; %bb.699:                              ;   in Loop: Header=BB442_13 Depth=1
	v_and_b32_e32 v35, 0xffff, v19
	v_or_b32_e32 v36, 0x10000, v19
	s_delay_alu instid0(VALU_DEP_2) | instskip(NEXT) | instid1(VALU_DEP_1)
	v_cmp_eq_u32_e64 s1, 0, v35
	v_cndmask_b32_e64 v96, v36, v19, s1
; %bb.700:                              ;   in Loop: Header=BB442_13 Depth=1
	s_or_b32 exec_lo, exec_lo, s21
	v_lshrrev_b16 v35, 8, v33
	v_mov_b32_e32 v19, 0
	s_mov_b32 s21, exec_lo
	s_delay_alu instid0(VALU_DEP_2)
	v_cmpx_ne_u16_e32 0, v35
	s_cbranch_execz .LBB442_708
; %bb.701:                              ;   in Loop: Header=BB442_13 Depth=1
	v_bfrev_b32_e32 v19, 1
	s_mov_b32 s22, exec_lo
	v_cmpx_ne_u16_e32 0x80, v35
	s_cbranch_execz .LBB442_707
; %bb.702:                              ;   in Loop: Header=BB442_13 Depth=1
	v_and_b32_e32 v36, 0xffff, v35
	v_mov_b32_e32 v19, 0x7f800001
	s_mov_b32 s23, exec_lo
	s_delay_alu instid0(VALU_DEP_2) | instskip(NEXT) | instid1(VALU_DEP_1)
	v_and_b32_e32 v35, 0x7f, v36
	v_cmpx_ne_u32_e32 0x7f, v35
	s_cbranch_execz .LBB442_706
; %bb.703:                              ;   in Loop: Header=BB442_13 Depth=1
	v_and_b32_e32 v19, 7, v36
	v_lshrrev_b32_e32 v97, 3, v35
	v_cmp_gt_u32_e64 s1, 8, v35
	s_delay_alu instid0(VALU_DEP_3) | instskip(NEXT) | instid1(VALU_DEP_2)
	v_dual_mov_b32 v36, v20 :: v_dual_mov_b32 v35, v19
	s_and_saveexec_b32 s24, s1
; %bb.704:                              ;   in Loop: Header=BB442_13 Depth=1
	v_clz_i32_u32_e32 v35, v19
	s_delay_alu instid0(VALU_DEP_1) | instskip(NEXT) | instid1(VALU_DEP_1)
	v_min_u32_e32 v97, 32, v35
	v_subrev_nc_u32_e32 v35, 28, v97
	v_sub_nc_u32_e32 v97, 29, v97
	s_delay_alu instid0(VALU_DEP_2) | instskip(NEXT) | instid1(VALU_DEP_1)
	v_lshlrev_b64 v[35:36], v35, v[19:20]
	v_and_b32_e32 v35, 7, v35
; %bb.705:                              ;   in Loop: Header=BB442_13 Depth=1
	s_or_b32 exec_lo, exec_lo, s24
	v_lshlrev_b32_e32 v19, 16, v33
	s_delay_alu instid0(VALU_DEP_2) | instskip(SKIP_1) | instid1(VALU_DEP_3)
	v_lshlrev_b32_e32 v35, 20, v35
	v_lshl_add_u32 v36, v97, 23, 0x3c000000
	v_and_b32_e32 v19, 0x80000000, v19
	s_delay_alu instid0(VALU_DEP_1)
	v_or3_b32 v19, v35, v19, v36
.LBB442_706:                            ;   in Loop: Header=BB442_13 Depth=1
	s_or_b32 exec_lo, exec_lo, s23
.LBB442_707:                            ;   in Loop: Header=BB442_13 Depth=1
	s_delay_alu instid0(SALU_CYCLE_1)
	s_or_b32 exec_lo, exec_lo, s22
.LBB442_708:                            ;   in Loop: Header=BB442_13 Depth=1
	s_delay_alu instid0(SALU_CYCLE_1) | instskip(NEXT) | instid1(VALU_DEP_1)
	s_or_b32 exec_lo, exec_lo, s21
	v_mul_f32_e32 v19, v155, v19
                                        ; implicit-def: $vgpr97
	s_delay_alu instid0(VALU_DEP_1) | instskip(NEXT) | instid1(VALU_DEP_1)
	v_and_b32_e32 v35, 0x7f800000, v19
	v_cmp_ne_u32_e64 s1, 0x7f800000, v35
	s_delay_alu instid0(VALU_DEP_1) | instskip(NEXT) | instid1(SALU_CYCLE_1)
	s_and_saveexec_b32 s21, s1
	s_xor_b32 s1, exec_lo, s21
; %bb.709:                              ;   in Loop: Header=BB442_13 Depth=1
	v_bfe_u32 v35, v19, 16, 1
	s_delay_alu instid0(VALU_DEP_1)
	v_add3_u32 v97, v19, v35, 0x7fff
                                        ; implicit-def: $vgpr19
; %bb.710:                              ;   in Loop: Header=BB442_13 Depth=1
	s_and_not1_saveexec_b32 s21, s1
; %bb.711:                              ;   in Loop: Header=BB442_13 Depth=1
	v_and_b32_e32 v35, 0xffff, v19
	v_or_b32_e32 v36, 0x10000, v19
	s_delay_alu instid0(VALU_DEP_2) | instskip(NEXT) | instid1(VALU_DEP_1)
	v_cmp_eq_u32_e64 s1, 0, v35
	v_cndmask_b32_e64 v97, v36, v19, s1
; %bb.712:                              ;   in Loop: Header=BB442_13 Depth=1
	s_or_b32 exec_lo, exec_lo, s21
	v_lshrrev_b32_e32 v98, 16, v33
	v_mov_b32_e32 v19, 0
	s_mov_b32 s21, exec_lo
	s_delay_alu instid0(VALU_DEP_2) | instskip(NEXT) | instid1(VALU_DEP_1)
	v_and_b32_e32 v35, 0xff, v98
	v_cmpx_ne_u16_e32 0, v35
	s_cbranch_execz .LBB442_720
; %bb.713:                              ;   in Loop: Header=BB442_13 Depth=1
	v_bfrev_b32_e32 v19, 1
	s_mov_b32 s22, exec_lo
	v_cmpx_ne_u16_e32 0x80, v35
	s_cbranch_execz .LBB442_719
; %bb.714:                              ;   in Loop: Header=BB442_13 Depth=1
	v_bfe_u32 v35, v33, 16, 7
	v_mov_b32_e32 v19, 0x7f800001
	s_mov_b32 s23, exec_lo
	s_delay_alu instid0(VALU_DEP_2)
	v_cmpx_ne_u32_e32 0x7f, v35
	s_cbranch_execz .LBB442_718
; %bb.715:                              ;   in Loop: Header=BB442_13 Depth=1
	v_and_b32_e32 v19, 7, v98
	v_lshrrev_b32_e32 v99, 3, v35
	v_cmp_gt_u32_e64 s1, 8, v35
	s_delay_alu instid0(VALU_DEP_3) | instskip(NEXT) | instid1(VALU_DEP_2)
	v_dual_mov_b32 v36, v20 :: v_dual_mov_b32 v35, v19
	s_and_saveexec_b32 s24, s1
; %bb.716:                              ;   in Loop: Header=BB442_13 Depth=1
	v_clz_i32_u32_e32 v35, v19
	s_delay_alu instid0(VALU_DEP_1) | instskip(NEXT) | instid1(VALU_DEP_1)
	v_min_u32_e32 v99, 32, v35
	v_subrev_nc_u32_e32 v35, 28, v99
	v_sub_nc_u32_e32 v99, 29, v99
	s_delay_alu instid0(VALU_DEP_2) | instskip(NEXT) | instid1(VALU_DEP_1)
	v_lshlrev_b64 v[35:36], v35, v[19:20]
	v_and_b32_e32 v35, 7, v35
; %bb.717:                              ;   in Loop: Header=BB442_13 Depth=1
	s_or_b32 exec_lo, exec_lo, s24
	v_lshlrev_b32_e32 v19, 24, v98
	s_delay_alu instid0(VALU_DEP_2) | instskip(SKIP_1) | instid1(VALU_DEP_3)
	v_lshlrev_b32_e32 v35, 20, v35
	v_lshl_add_u32 v36, v99, 23, 0x3c000000
	v_and_b32_e32 v19, 0x80000000, v19
	s_delay_alu instid0(VALU_DEP_1)
	v_or3_b32 v19, v35, v19, v36
.LBB442_718:                            ;   in Loop: Header=BB442_13 Depth=1
	s_or_b32 exec_lo, exec_lo, s23
.LBB442_719:                            ;   in Loop: Header=BB442_13 Depth=1
	s_delay_alu instid0(SALU_CYCLE_1)
	s_or_b32 exec_lo, exec_lo, s22
.LBB442_720:                            ;   in Loop: Header=BB442_13 Depth=1
	s_delay_alu instid0(SALU_CYCLE_1) | instskip(NEXT) | instid1(VALU_DEP_1)
	s_or_b32 exec_lo, exec_lo, s21
	v_mul_f32_e32 v19, v155, v19
                                        ; implicit-def: $vgpr98
	s_delay_alu instid0(VALU_DEP_1) | instskip(NEXT) | instid1(VALU_DEP_1)
	v_and_b32_e32 v35, 0x7f800000, v19
	v_cmp_ne_u32_e64 s1, 0x7f800000, v35
	s_delay_alu instid0(VALU_DEP_1) | instskip(NEXT) | instid1(SALU_CYCLE_1)
	s_and_saveexec_b32 s21, s1
	s_xor_b32 s1, exec_lo, s21
; %bb.721:                              ;   in Loop: Header=BB442_13 Depth=1
	v_bfe_u32 v35, v19, 16, 1
	s_delay_alu instid0(VALU_DEP_1)
	v_add3_u32 v98, v19, v35, 0x7fff
                                        ; implicit-def: $vgpr19
; %bb.722:                              ;   in Loop: Header=BB442_13 Depth=1
	s_and_not1_saveexec_b32 s21, s1
; %bb.723:                              ;   in Loop: Header=BB442_13 Depth=1
	v_and_b32_e32 v35, 0xffff, v19
	v_or_b32_e32 v36, 0x10000, v19
	s_delay_alu instid0(VALU_DEP_2) | instskip(NEXT) | instid1(VALU_DEP_1)
	v_cmp_eq_u32_e64 s1, 0, v35
	v_cndmask_b32_e64 v98, v36, v19, s1
; %bb.724:                              ;   in Loop: Header=BB442_13 Depth=1
	s_or_b32 exec_lo, exec_lo, s21
	v_mov_b32_e32 v19, 0
	s_mov_b32 s21, exec_lo
	v_cmpx_lt_u32_e32 0xffffff, v33
	s_cbranch_execz .LBB442_732
; %bb.725:                              ;   in Loop: Header=BB442_13 Depth=1
	v_lshrrev_b32_e32 v99, 24, v33
	v_bfrev_b32_e32 v19, 1
	s_mov_b32 s22, exec_lo
	s_delay_alu instid0(VALU_DEP_2)
	v_cmpx_ne_u32_e32 0x80, v99
	s_cbranch_execz .LBB442_731
; %bb.726:                              ;   in Loop: Header=BB442_13 Depth=1
	v_bfe_u32 v35, v33, 24, 7
	v_mov_b32_e32 v19, 0x7f800001
	s_mov_b32 s23, exec_lo
	s_delay_alu instid0(VALU_DEP_2)
	v_cmpx_ne_u32_e32 0x7f, v35
	s_cbranch_execz .LBB442_730
; %bb.727:                              ;   in Loop: Header=BB442_13 Depth=1
	v_and_b32_e32 v19, 7, v99
	v_lshrrev_b32_e32 v100, 3, v35
	v_cmp_gt_u32_e64 s1, 8, v35
	s_delay_alu instid0(VALU_DEP_3) | instskip(NEXT) | instid1(VALU_DEP_2)
	v_dual_mov_b32 v36, v20 :: v_dual_mov_b32 v35, v19
	s_and_saveexec_b32 s24, s1
; %bb.728:                              ;   in Loop: Header=BB442_13 Depth=1
	v_clz_i32_u32_e32 v35, v19
	s_delay_alu instid0(VALU_DEP_1) | instskip(NEXT) | instid1(VALU_DEP_1)
	v_min_u32_e32 v100, 32, v35
	v_subrev_nc_u32_e32 v35, 28, v100
	v_sub_nc_u32_e32 v100, 29, v100
	s_delay_alu instid0(VALU_DEP_2) | instskip(NEXT) | instid1(VALU_DEP_1)
	v_lshlrev_b64 v[35:36], v35, v[19:20]
	v_and_b32_e32 v35, 7, v35
; %bb.729:                              ;   in Loop: Header=BB442_13 Depth=1
	s_or_b32 exec_lo, exec_lo, s24
	v_lshlrev_b32_e32 v19, 24, v99
	s_delay_alu instid0(VALU_DEP_2) | instskip(SKIP_1) | instid1(VALU_DEP_3)
	v_lshlrev_b32_e32 v35, 20, v35
	v_lshl_add_u32 v36, v100, 23, 0x3c000000
	v_and_b32_e32 v19, 0x80000000, v19
	s_delay_alu instid0(VALU_DEP_1)
	v_or3_b32 v19, v35, v19, v36
.LBB442_730:                            ;   in Loop: Header=BB442_13 Depth=1
	s_or_b32 exec_lo, exec_lo, s23
.LBB442_731:                            ;   in Loop: Header=BB442_13 Depth=1
	s_delay_alu instid0(SALU_CYCLE_1)
	s_or_b32 exec_lo, exec_lo, s22
.LBB442_732:                            ;   in Loop: Header=BB442_13 Depth=1
	s_delay_alu instid0(SALU_CYCLE_1) | instskip(NEXT) | instid1(VALU_DEP_1)
	s_or_b32 exec_lo, exec_lo, s21
	v_mul_f32_e32 v19, v155, v19
                                        ; implicit-def: $vgpr99
	s_delay_alu instid0(VALU_DEP_1) | instskip(NEXT) | instid1(VALU_DEP_1)
	v_and_b32_e32 v35, 0x7f800000, v19
	v_cmp_ne_u32_e64 s1, 0x7f800000, v35
	s_delay_alu instid0(VALU_DEP_1) | instskip(NEXT) | instid1(SALU_CYCLE_1)
	s_and_saveexec_b32 s21, s1
	s_xor_b32 s1, exec_lo, s21
; %bb.733:                              ;   in Loop: Header=BB442_13 Depth=1
	v_bfe_u32 v35, v19, 16, 1
	s_delay_alu instid0(VALU_DEP_1)
	v_add3_u32 v99, v19, v35, 0x7fff
                                        ; implicit-def: $vgpr19
; %bb.734:                              ;   in Loop: Header=BB442_13 Depth=1
	s_and_not1_saveexec_b32 s21, s1
; %bb.735:                              ;   in Loop: Header=BB442_13 Depth=1
	v_and_b32_e32 v35, 0xffff, v19
	v_or_b32_e32 v36, 0x10000, v19
	s_delay_alu instid0(VALU_DEP_2) | instskip(NEXT) | instid1(VALU_DEP_1)
	v_cmp_eq_u32_e64 s1, 0, v35
	v_cndmask_b32_e64 v99, v36, v19, s1
; %bb.736:                              ;   in Loop: Header=BB442_13 Depth=1
	s_or_b32 exec_lo, exec_lo, s21
	v_dual_mov_b32 v19, v34 :: v_dual_and_b32 v36, 0xff, v34
	v_mov_b32_e32 v35, 0
	s_mov_b32 s21, exec_lo
	s_delay_alu instid0(VALU_DEP_2)
	v_cmpx_ne_u16_e32 0, v36
	s_cbranch_execz .LBB442_744
; %bb.737:                              ;   in Loop: Header=BB442_13 Depth=1
	v_bfrev_b32_e32 v35, 1
	s_mov_b32 s22, exec_lo
	v_cmpx_ne_u16_e32 0x80, v36
	s_cbranch_execz .LBB442_743
; %bb.738:                              ;   in Loop: Header=BB442_13 Depth=1
	v_and_b32_e32 v36, 0x7f, v34
	v_mov_b32_e32 v35, 0x7f800001
	s_mov_b32 s23, exec_lo
	s_delay_alu instid0(VALU_DEP_2)
	v_cmpx_ne_u32_e32 0x7f, v36
	s_cbranch_execz .LBB442_742
; %bb.739:                              ;   in Loop: Header=BB442_13 Depth=1
	v_lshrrev_b32_e32 v100, 3, v36
	v_cmp_gt_u32_e64 s1, 8, v36
	v_dual_mov_b32 v36, v20 :: v_dual_mov_b32 v35, v19
	s_delay_alu instid0(VALU_DEP_2)
	s_and_saveexec_b32 s24, s1
; %bb.740:                              ;   in Loop: Header=BB442_13 Depth=1
	v_and_b32_e32 v35, 7, v34
	s_delay_alu instid0(VALU_DEP_1) | instskip(NEXT) | instid1(VALU_DEP_1)
	v_clz_i32_u32_e32 v35, v35
	v_min_u32_e32 v100, 32, v35
	s_delay_alu instid0(VALU_DEP_1) | instskip(SKIP_1) | instid1(VALU_DEP_2)
	v_subrev_nc_u32_e32 v35, 28, v100
	v_sub_nc_u32_e32 v100, 29, v100
	v_lshlrev_b64 v[35:36], v35, v[19:20]
; %bb.741:                              ;   in Loop: Header=BB442_13 Depth=1
	s_or_b32 exec_lo, exec_lo, s24
	s_delay_alu instid0(VALU_DEP_1) | instskip(SKIP_2) | instid1(VALU_DEP_3)
	v_lshlrev_b32_e32 v35, 20, v35
	v_lshlrev_b32_e32 v36, 24, v19
	v_lshl_add_u32 v100, v100, 23, 0x3c000000
	v_and_b32_e32 v35, 0x700000, v35
	s_delay_alu instid0(VALU_DEP_3) | instskip(NEXT) | instid1(VALU_DEP_1)
	v_and_b32_e32 v36, 0x80000000, v36
	v_or3_b32 v35, v35, v36, v100
.LBB442_742:                            ;   in Loop: Header=BB442_13 Depth=1
	s_or_b32 exec_lo, exec_lo, s23
.LBB442_743:                            ;   in Loop: Header=BB442_13 Depth=1
	s_delay_alu instid0(SALU_CYCLE_1)
	s_or_b32 exec_lo, exec_lo, s22
.LBB442_744:                            ;   in Loop: Header=BB442_13 Depth=1
	s_delay_alu instid0(SALU_CYCLE_1) | instskip(NEXT) | instid1(VALU_DEP_1)
	s_or_b32 exec_lo, exec_lo, s21
	v_mul_f32_e32 v35, v155, v35
                                        ; implicit-def: $vgpr100
	s_delay_alu instid0(VALU_DEP_1) | instskip(NEXT) | instid1(VALU_DEP_1)
	v_and_b32_e32 v36, 0x7f800000, v35
	v_cmp_ne_u32_e64 s1, 0x7f800000, v36
	s_delay_alu instid0(VALU_DEP_1) | instskip(NEXT) | instid1(SALU_CYCLE_1)
	s_and_saveexec_b32 s21, s1
	s_xor_b32 s1, exec_lo, s21
; %bb.745:                              ;   in Loop: Header=BB442_13 Depth=1
	v_bfe_u32 v36, v35, 16, 1
	s_delay_alu instid0(VALU_DEP_1)
	v_add3_u32 v100, v35, v36, 0x7fff
                                        ; implicit-def: $vgpr35
; %bb.746:                              ;   in Loop: Header=BB442_13 Depth=1
	s_and_not1_saveexec_b32 s21, s1
; %bb.747:                              ;   in Loop: Header=BB442_13 Depth=1
	v_and_b32_e32 v36, 0xffff, v35
	v_or_b32_e32 v100, 0x10000, v35
	s_delay_alu instid0(VALU_DEP_2) | instskip(NEXT) | instid1(VALU_DEP_1)
	v_cmp_eq_u32_e64 s1, 0, v36
	v_cndmask_b32_e64 v100, v100, v35, s1
; %bb.748:                              ;   in Loop: Header=BB442_13 Depth=1
	s_or_b32 exec_lo, exec_lo, s21
	v_lshrrev_b16 v36, 8, v19
	v_mov_b32_e32 v35, 0
	s_mov_b32 s21, exec_lo
	s_delay_alu instid0(VALU_DEP_2)
	v_cmpx_ne_u16_e32 0, v36
	s_cbranch_execz .LBB442_756
; %bb.749:                              ;   in Loop: Header=BB442_13 Depth=1
	v_bfrev_b32_e32 v35, 1
	s_mov_b32 s22, exec_lo
	v_cmpx_ne_u16_e32 0x80, v36
	s_cbranch_execz .LBB442_755
; %bb.750:                              ;   in Loop: Header=BB442_13 Depth=1
	v_and_b32_e32 v36, 0xffff, v36
	v_mov_b32_e32 v35, 0x7f800001
	s_mov_b32 s23, exec_lo
	s_delay_alu instid0(VALU_DEP_2) | instskip(NEXT) | instid1(VALU_DEP_1)
	v_and_b32_e32 v102, 0x7f, v36
	v_cmpx_ne_u32_e32 0x7f, v102
	s_cbranch_execz .LBB442_754
; %bb.751:                              ;   in Loop: Header=BB442_13 Depth=1
	v_dual_mov_b32 v36, v20 :: v_dual_and_b32 v35, 7, v36
	v_lshrrev_b32_e32 v101, 3, v102
	s_mov_b32 s24, exec_lo
	v_cmpx_gt_u32_e32 8, v102
; %bb.752:                              ;   in Loop: Header=BB442_13 Depth=1
	s_delay_alu instid0(VALU_DEP_3) | instskip(NEXT) | instid1(VALU_DEP_1)
	v_clz_i32_u32_e32 v101, v35
	v_min_u32_e32 v101, 32, v101
	s_delay_alu instid0(VALU_DEP_1) | instskip(SKIP_1) | instid1(VALU_DEP_2)
	v_subrev_nc_u32_e32 v102, 28, v101
	v_sub_nc_u32_e32 v101, 29, v101
	v_lshlrev_b64 v[35:36], v102, v[35:36]
	s_delay_alu instid0(VALU_DEP_1)
	v_and_b32_e32 v35, 7, v35
; %bb.753:                              ;   in Loop: Header=BB442_13 Depth=1
	s_or_b32 exec_lo, exec_lo, s24
	v_lshlrev_b32_e32 v19, 16, v19
	s_delay_alu instid0(VALU_DEP_2) | instskip(SKIP_1) | instid1(VALU_DEP_3)
	v_lshlrev_b32_e32 v35, 20, v35
	v_lshl_add_u32 v36, v101, 23, 0x3c000000
	v_and_b32_e32 v19, 0x80000000, v19
	s_delay_alu instid0(VALU_DEP_1)
	v_or3_b32 v35, v35, v19, v36
.LBB442_754:                            ;   in Loop: Header=BB442_13 Depth=1
	s_or_b32 exec_lo, exec_lo, s23
.LBB442_755:                            ;   in Loop: Header=BB442_13 Depth=1
	s_delay_alu instid0(SALU_CYCLE_1)
	s_or_b32 exec_lo, exec_lo, s22
.LBB442_756:                            ;   in Loop: Header=BB442_13 Depth=1
	s_delay_alu instid0(SALU_CYCLE_1) | instskip(NEXT) | instid1(VALU_DEP_1)
	s_or_b32 exec_lo, exec_lo, s21
	v_mul_f32_e32 v19, v155, v35
                                        ; implicit-def: $vgpr101
	s_delay_alu instid0(VALU_DEP_1) | instskip(NEXT) | instid1(VALU_DEP_1)
	v_and_b32_e32 v35, 0x7f800000, v19
	v_cmp_ne_u32_e64 s1, 0x7f800000, v35
	s_delay_alu instid0(VALU_DEP_1) | instskip(NEXT) | instid1(SALU_CYCLE_1)
	s_and_saveexec_b32 s21, s1
	s_xor_b32 s1, exec_lo, s21
; %bb.757:                              ;   in Loop: Header=BB442_13 Depth=1
	v_bfe_u32 v35, v19, 16, 1
	s_delay_alu instid0(VALU_DEP_1)
	v_add3_u32 v101, v19, v35, 0x7fff
                                        ; implicit-def: $vgpr19
; %bb.758:                              ;   in Loop: Header=BB442_13 Depth=1
	s_and_not1_saveexec_b32 s21, s1
; %bb.759:                              ;   in Loop: Header=BB442_13 Depth=1
	v_and_b32_e32 v35, 0xffff, v19
	v_or_b32_e32 v36, 0x10000, v19
	s_delay_alu instid0(VALU_DEP_2) | instskip(NEXT) | instid1(VALU_DEP_1)
	v_cmp_eq_u32_e64 s1, 0, v35
	v_cndmask_b32_e64 v101, v36, v19, s1
; %bb.760:                              ;   in Loop: Header=BB442_13 Depth=1
	s_or_b32 exec_lo, exec_lo, s21
	v_lshrrev_b32_e32 v102, 16, v34
	v_mov_b32_e32 v19, 0
	s_mov_b32 s21, exec_lo
	s_delay_alu instid0(VALU_DEP_2) | instskip(NEXT) | instid1(VALU_DEP_1)
	v_and_b32_e32 v35, 0xff, v102
	v_cmpx_ne_u16_e32 0, v35
	s_cbranch_execz .LBB442_768
; %bb.761:                              ;   in Loop: Header=BB442_13 Depth=1
	v_bfrev_b32_e32 v19, 1
	s_mov_b32 s22, exec_lo
	v_cmpx_ne_u16_e32 0x80, v35
	s_cbranch_execz .LBB442_767
; %bb.762:                              ;   in Loop: Header=BB442_13 Depth=1
	v_bfe_u32 v35, v34, 16, 7
	v_mov_b32_e32 v19, 0x7f800001
	s_mov_b32 s23, exec_lo
	s_delay_alu instid0(VALU_DEP_2)
	v_cmpx_ne_u32_e32 0x7f, v35
	s_cbranch_execz .LBB442_766
; %bb.763:                              ;   in Loop: Header=BB442_13 Depth=1
	v_and_b32_e32 v19, 7, v102
	v_lshrrev_b32_e32 v103, 3, v35
	v_cmp_gt_u32_e64 s1, 8, v35
	s_delay_alu instid0(VALU_DEP_3) | instskip(NEXT) | instid1(VALU_DEP_2)
	v_dual_mov_b32 v36, v20 :: v_dual_mov_b32 v35, v19
	s_and_saveexec_b32 s24, s1
; %bb.764:                              ;   in Loop: Header=BB442_13 Depth=1
	v_clz_i32_u32_e32 v35, v19
	s_delay_alu instid0(VALU_DEP_1) | instskip(NEXT) | instid1(VALU_DEP_1)
	v_min_u32_e32 v103, 32, v35
	v_subrev_nc_u32_e32 v35, 28, v103
	v_sub_nc_u32_e32 v103, 29, v103
	s_delay_alu instid0(VALU_DEP_2) | instskip(NEXT) | instid1(VALU_DEP_1)
	v_lshlrev_b64 v[35:36], v35, v[19:20]
	v_and_b32_e32 v35, 7, v35
; %bb.765:                              ;   in Loop: Header=BB442_13 Depth=1
	s_or_b32 exec_lo, exec_lo, s24
	v_lshlrev_b32_e32 v19, 24, v102
	s_delay_alu instid0(VALU_DEP_2) | instskip(SKIP_1) | instid1(VALU_DEP_3)
	v_lshlrev_b32_e32 v35, 20, v35
	v_lshl_add_u32 v36, v103, 23, 0x3c000000
	v_and_b32_e32 v19, 0x80000000, v19
	s_delay_alu instid0(VALU_DEP_1)
	v_or3_b32 v19, v35, v19, v36
.LBB442_766:                            ;   in Loop: Header=BB442_13 Depth=1
	s_or_b32 exec_lo, exec_lo, s23
.LBB442_767:                            ;   in Loop: Header=BB442_13 Depth=1
	s_delay_alu instid0(SALU_CYCLE_1)
	s_or_b32 exec_lo, exec_lo, s22
.LBB442_768:                            ;   in Loop: Header=BB442_13 Depth=1
	s_delay_alu instid0(SALU_CYCLE_1) | instskip(NEXT) | instid1(VALU_DEP_1)
	s_or_b32 exec_lo, exec_lo, s21
	v_mul_f32_e32 v19, v155, v19
                                        ; implicit-def: $vgpr102
	s_delay_alu instid0(VALU_DEP_1) | instskip(NEXT) | instid1(VALU_DEP_1)
	v_and_b32_e32 v35, 0x7f800000, v19
	v_cmp_ne_u32_e64 s1, 0x7f800000, v35
	s_delay_alu instid0(VALU_DEP_1) | instskip(NEXT) | instid1(SALU_CYCLE_1)
	s_and_saveexec_b32 s21, s1
	s_xor_b32 s1, exec_lo, s21
; %bb.769:                              ;   in Loop: Header=BB442_13 Depth=1
	v_bfe_u32 v35, v19, 16, 1
	s_delay_alu instid0(VALU_DEP_1)
	v_add3_u32 v102, v19, v35, 0x7fff
                                        ; implicit-def: $vgpr19
; %bb.770:                              ;   in Loop: Header=BB442_13 Depth=1
	s_and_not1_saveexec_b32 s21, s1
; %bb.771:                              ;   in Loop: Header=BB442_13 Depth=1
	v_and_b32_e32 v35, 0xffff, v19
	v_or_b32_e32 v36, 0x10000, v19
	s_delay_alu instid0(VALU_DEP_2) | instskip(NEXT) | instid1(VALU_DEP_1)
	v_cmp_eq_u32_e64 s1, 0, v35
	v_cndmask_b32_e64 v102, v36, v19, s1
; %bb.772:                              ;   in Loop: Header=BB442_13 Depth=1
	s_or_b32 exec_lo, exec_lo, s21
	v_mov_b32_e32 v19, 0
	s_mov_b32 s21, exec_lo
	v_cmpx_lt_u64_e64 s[16:17], v[33:34]
	s_cbranch_execz .LBB442_780
; %bb.773:                              ;   in Loop: Header=BB442_13 Depth=1
	v_lshrrev_b32_e32 v35, 24, v34
	v_bfrev_b32_e32 v19, 1
	s_mov_b32 s22, exec_lo
	s_delay_alu instid0(VALU_DEP_2)
	v_cmpx_ne_u32_e32 0x80, v35
	s_cbranch_execz .LBB442_779
; %bb.774:                              ;   in Loop: Header=BB442_13 Depth=1
	v_bfe_u32 v33, v34, 24, 7
	v_mov_b32_e32 v19, 0x7f800001
	s_mov_b32 s23, exec_lo
	s_delay_alu instid0(VALU_DEP_2)
	v_cmpx_ne_u32_e32 0x7f, v33
	s_cbranch_execz .LBB442_778
; %bb.775:                              ;   in Loop: Header=BB442_13 Depth=1
	v_and_b32_e32 v19, 7, v35
	v_lshrrev_b32_e32 v36, 3, v33
	v_cmp_gt_u32_e64 s1, 8, v33
	s_delay_alu instid0(VALU_DEP_3) | instskip(NEXT) | instid1(VALU_DEP_2)
	v_dual_mov_b32 v34, v20 :: v_dual_mov_b32 v33, v19
	s_and_saveexec_b32 s24, s1
; %bb.776:                              ;   in Loop: Header=BB442_13 Depth=1
	v_clz_i32_u32_e32 v33, v19
	s_delay_alu instid0(VALU_DEP_1) | instskip(NEXT) | instid1(VALU_DEP_1)
	v_min_u32_e32 v36, 32, v33
	v_subrev_nc_u32_e32 v33, 28, v36
	v_sub_nc_u32_e32 v36, 29, v36
	s_delay_alu instid0(VALU_DEP_2) | instskip(NEXT) | instid1(VALU_DEP_1)
	v_lshlrev_b64 v[33:34], v33, v[19:20]
	v_and_b32_e32 v33, 7, v33
; %bb.777:                              ;   in Loop: Header=BB442_13 Depth=1
	s_or_b32 exec_lo, exec_lo, s24
	v_lshlrev_b32_e32 v19, 24, v35
	s_delay_alu instid0(VALU_DEP_2) | instskip(SKIP_1) | instid1(VALU_DEP_3)
	v_lshlrev_b32_e32 v33, 20, v33
	v_lshl_add_u32 v34, v36, 23, 0x3c000000
	v_and_b32_e32 v19, 0x80000000, v19
	s_delay_alu instid0(VALU_DEP_1)
	v_or3_b32 v19, v33, v19, v34
.LBB442_778:                            ;   in Loop: Header=BB442_13 Depth=1
	s_or_b32 exec_lo, exec_lo, s23
.LBB442_779:                            ;   in Loop: Header=BB442_13 Depth=1
	s_delay_alu instid0(SALU_CYCLE_1)
	s_or_b32 exec_lo, exec_lo, s22
.LBB442_780:                            ;   in Loop: Header=BB442_13 Depth=1
	s_delay_alu instid0(SALU_CYCLE_1) | instskip(NEXT) | instid1(VALU_DEP_1)
	s_or_b32 exec_lo, exec_lo, s21
	v_mul_f32_e32 v19, v155, v19
                                        ; implicit-def: $vgpr103
	s_delay_alu instid0(VALU_DEP_1) | instskip(NEXT) | instid1(VALU_DEP_1)
	v_and_b32_e32 v33, 0x7f800000, v19
	v_cmp_ne_u32_e64 s1, 0x7f800000, v33
	s_delay_alu instid0(VALU_DEP_1) | instskip(NEXT) | instid1(SALU_CYCLE_1)
	s_and_saveexec_b32 s21, s1
	s_xor_b32 s1, exec_lo, s21
; %bb.781:                              ;   in Loop: Header=BB442_13 Depth=1
	v_bfe_u32 v33, v19, 16, 1
	s_delay_alu instid0(VALU_DEP_1)
	v_add3_u32 v103, v19, v33, 0x7fff
                                        ; implicit-def: $vgpr19
; %bb.782:                              ;   in Loop: Header=BB442_13 Depth=1
	s_and_not1_saveexec_b32 s21, s1
; %bb.783:                              ;   in Loop: Header=BB442_13 Depth=1
	v_and_b32_e32 v33, 0xffff, v19
	v_or_b32_e32 v34, 0x10000, v19
	s_delay_alu instid0(VALU_DEP_2) | instskip(NEXT) | instid1(VALU_DEP_1)
	v_cmp_eq_u32_e64 s1, 0, v33
	v_cndmask_b32_e64 v103, v34, v19, s1
; %bb.784:                              ;   in Loop: Header=BB442_13 Depth=1
	s_or_b32 exec_lo, exec_lo, s21
	flat_load_b64 v[33:34], v[31:32] offset:2048
	v_mov_b32_e32 v19, 0
	s_mov_b32 s21, exec_lo
	s_waitcnt vmcnt(0) lgkmcnt(0)
	v_and_b32_e32 v35, 0xff, v33
	s_delay_alu instid0(VALU_DEP_1)
	v_cmpx_ne_u16_e32 0, v35
	s_cbranch_execz .LBB442_792
; %bb.785:                              ;   in Loop: Header=BB442_13 Depth=1
	v_bfrev_b32_e32 v19, 1
	s_mov_b32 s22, exec_lo
	v_cmpx_ne_u16_e32 0x80, v35
	s_cbranch_execz .LBB442_791
; %bb.786:                              ;   in Loop: Header=BB442_13 Depth=1
	v_and_b32_e32 v35, 0x7f, v33
	v_mov_b32_e32 v19, 0x7f800001
	s_mov_b32 s23, exec_lo
	s_delay_alu instid0(VALU_DEP_2)
	v_cmpx_ne_u32_e32 0x7f, v35
	s_cbranch_execz .LBB442_790
; %bb.787:                              ;   in Loop: Header=BB442_13 Depth=1
	v_lshrrev_b32_e32 v19, 3, v35
	v_cmp_gt_u32_e64 s1, 8, v35
	v_dual_mov_b32 v36, v34 :: v_dual_mov_b32 v35, v33
	s_delay_alu instid0(VALU_DEP_2)
	s_and_saveexec_b32 s24, s1
; %bb.788:                              ;   in Loop: Header=BB442_13 Depth=1
	v_and_b32_e32 v19, 7, v33
	s_delay_alu instid0(VALU_DEP_1) | instskip(NEXT) | instid1(VALU_DEP_1)
	v_clz_i32_u32_e32 v19, v19
	v_min_u32_e32 v19, 32, v19
	s_delay_alu instid0(VALU_DEP_1) | instskip(SKIP_1) | instid1(VALU_DEP_2)
	v_subrev_nc_u32_e32 v35, 28, v19
	v_sub_nc_u32_e32 v19, 29, v19
	v_lshlrev_b64 v[35:36], v35, v[33:34]
; %bb.789:                              ;   in Loop: Header=BB442_13 Depth=1
	s_or_b32 exec_lo, exec_lo, s24
	s_delay_alu instid0(VALU_DEP_1) | instskip(SKIP_2) | instid1(VALU_DEP_3)
	v_lshlrev_b32_e32 v35, 20, v35
	v_lshlrev_b32_e32 v36, 24, v33
	v_lshl_add_u32 v19, v19, 23, 0x3c000000
	v_and_b32_e32 v35, 0x700000, v35
	s_delay_alu instid0(VALU_DEP_3) | instskip(NEXT) | instid1(VALU_DEP_1)
	v_and_b32_e32 v36, 0x80000000, v36
	v_or3_b32 v19, v35, v36, v19
.LBB442_790:                            ;   in Loop: Header=BB442_13 Depth=1
	s_or_b32 exec_lo, exec_lo, s23
.LBB442_791:                            ;   in Loop: Header=BB442_13 Depth=1
	s_delay_alu instid0(SALU_CYCLE_1)
	s_or_b32 exec_lo, exec_lo, s22
.LBB442_792:                            ;   in Loop: Header=BB442_13 Depth=1
	s_delay_alu instid0(SALU_CYCLE_1) | instskip(NEXT) | instid1(VALU_DEP_1)
	s_or_b32 exec_lo, exec_lo, s21
	v_mul_f32_e32 v19, v155, v19
                                        ; implicit-def: $vgpr112
	s_delay_alu instid0(VALU_DEP_1) | instskip(NEXT) | instid1(VALU_DEP_1)
	v_and_b32_e32 v35, 0x7f800000, v19
	v_cmp_ne_u32_e64 s1, 0x7f800000, v35
	s_delay_alu instid0(VALU_DEP_1) | instskip(NEXT) | instid1(SALU_CYCLE_1)
	s_and_saveexec_b32 s21, s1
	s_xor_b32 s1, exec_lo, s21
; %bb.793:                              ;   in Loop: Header=BB442_13 Depth=1
	v_bfe_u32 v35, v19, 16, 1
	s_delay_alu instid0(VALU_DEP_1)
	v_add3_u32 v112, v19, v35, 0x7fff
                                        ; implicit-def: $vgpr19
; %bb.794:                              ;   in Loop: Header=BB442_13 Depth=1
	s_and_not1_saveexec_b32 s21, s1
; %bb.795:                              ;   in Loop: Header=BB442_13 Depth=1
	v_and_b32_e32 v35, 0xffff, v19
	v_or_b32_e32 v36, 0x10000, v19
	s_delay_alu instid0(VALU_DEP_2) | instskip(NEXT) | instid1(VALU_DEP_1)
	v_cmp_eq_u32_e64 s1, 0, v35
	v_cndmask_b32_e64 v112, v36, v19, s1
; %bb.796:                              ;   in Loop: Header=BB442_13 Depth=1
	s_or_b32 exec_lo, exec_lo, s21
	v_lshrrev_b16 v35, 8, v33
	v_mov_b32_e32 v19, 0
	s_mov_b32 s21, exec_lo
	s_delay_alu instid0(VALU_DEP_2)
	v_cmpx_ne_u16_e32 0, v35
	s_cbranch_execz .LBB442_804
; %bb.797:                              ;   in Loop: Header=BB442_13 Depth=1
	v_bfrev_b32_e32 v19, 1
	s_mov_b32 s22, exec_lo
	v_cmpx_ne_u16_e32 0x80, v35
	s_cbranch_execz .LBB442_803
; %bb.798:                              ;   in Loop: Header=BB442_13 Depth=1
	v_and_b32_e32 v36, 0xffff, v35
	v_mov_b32_e32 v19, 0x7f800001
	s_mov_b32 s23, exec_lo
	s_delay_alu instid0(VALU_DEP_2) | instskip(NEXT) | instid1(VALU_DEP_1)
	v_and_b32_e32 v35, 0x7f, v36
	v_cmpx_ne_u32_e32 0x7f, v35
	s_cbranch_execz .LBB442_802
; %bb.799:                              ;   in Loop: Header=BB442_13 Depth=1
	v_and_b32_e32 v19, 7, v36
	v_lshrrev_b32_e32 v113, 3, v35
	v_cmp_gt_u32_e64 s1, 8, v35
	s_delay_alu instid0(VALU_DEP_3) | instskip(NEXT) | instid1(VALU_DEP_2)
	v_dual_mov_b32 v36, v20 :: v_dual_mov_b32 v35, v19
	s_and_saveexec_b32 s24, s1
; %bb.800:                              ;   in Loop: Header=BB442_13 Depth=1
	v_clz_i32_u32_e32 v35, v19
	s_delay_alu instid0(VALU_DEP_1) | instskip(NEXT) | instid1(VALU_DEP_1)
	v_min_u32_e32 v113, 32, v35
	v_subrev_nc_u32_e32 v35, 28, v113
	v_sub_nc_u32_e32 v113, 29, v113
	s_delay_alu instid0(VALU_DEP_2) | instskip(NEXT) | instid1(VALU_DEP_1)
	v_lshlrev_b64 v[35:36], v35, v[19:20]
	v_and_b32_e32 v35, 7, v35
; %bb.801:                              ;   in Loop: Header=BB442_13 Depth=1
	s_or_b32 exec_lo, exec_lo, s24
	v_lshlrev_b32_e32 v19, 16, v33
	s_delay_alu instid0(VALU_DEP_2) | instskip(SKIP_1) | instid1(VALU_DEP_3)
	v_lshlrev_b32_e32 v35, 20, v35
	v_lshl_add_u32 v36, v113, 23, 0x3c000000
	v_and_b32_e32 v19, 0x80000000, v19
	s_delay_alu instid0(VALU_DEP_1)
	v_or3_b32 v19, v35, v19, v36
.LBB442_802:                            ;   in Loop: Header=BB442_13 Depth=1
	s_or_b32 exec_lo, exec_lo, s23
.LBB442_803:                            ;   in Loop: Header=BB442_13 Depth=1
	s_delay_alu instid0(SALU_CYCLE_1)
	s_or_b32 exec_lo, exec_lo, s22
.LBB442_804:                            ;   in Loop: Header=BB442_13 Depth=1
	s_delay_alu instid0(SALU_CYCLE_1) | instskip(NEXT) | instid1(VALU_DEP_1)
	s_or_b32 exec_lo, exec_lo, s21
	v_mul_f32_e32 v19, v155, v19
                                        ; implicit-def: $vgpr113
	s_delay_alu instid0(VALU_DEP_1) | instskip(NEXT) | instid1(VALU_DEP_1)
	v_and_b32_e32 v35, 0x7f800000, v19
	v_cmp_ne_u32_e64 s1, 0x7f800000, v35
	s_delay_alu instid0(VALU_DEP_1) | instskip(NEXT) | instid1(SALU_CYCLE_1)
	s_and_saveexec_b32 s21, s1
	s_xor_b32 s1, exec_lo, s21
; %bb.805:                              ;   in Loop: Header=BB442_13 Depth=1
	v_bfe_u32 v35, v19, 16, 1
	s_delay_alu instid0(VALU_DEP_1)
	v_add3_u32 v113, v19, v35, 0x7fff
                                        ; implicit-def: $vgpr19
; %bb.806:                              ;   in Loop: Header=BB442_13 Depth=1
	s_and_not1_saveexec_b32 s21, s1
; %bb.807:                              ;   in Loop: Header=BB442_13 Depth=1
	v_and_b32_e32 v35, 0xffff, v19
	v_or_b32_e32 v36, 0x10000, v19
	s_delay_alu instid0(VALU_DEP_2) | instskip(NEXT) | instid1(VALU_DEP_1)
	v_cmp_eq_u32_e64 s1, 0, v35
	v_cndmask_b32_e64 v113, v36, v19, s1
; %bb.808:                              ;   in Loop: Header=BB442_13 Depth=1
	s_or_b32 exec_lo, exec_lo, s21
	v_lshrrev_b32_e32 v114, 16, v33
	v_mov_b32_e32 v19, 0
	s_mov_b32 s21, exec_lo
	s_delay_alu instid0(VALU_DEP_2) | instskip(NEXT) | instid1(VALU_DEP_1)
	v_and_b32_e32 v35, 0xff, v114
	v_cmpx_ne_u16_e32 0, v35
	s_cbranch_execz .LBB442_816
; %bb.809:                              ;   in Loop: Header=BB442_13 Depth=1
	v_bfrev_b32_e32 v19, 1
	s_mov_b32 s22, exec_lo
	v_cmpx_ne_u16_e32 0x80, v35
	s_cbranch_execz .LBB442_815
; %bb.810:                              ;   in Loop: Header=BB442_13 Depth=1
	v_bfe_u32 v35, v33, 16, 7
	v_mov_b32_e32 v19, 0x7f800001
	s_mov_b32 s23, exec_lo
	s_delay_alu instid0(VALU_DEP_2)
	v_cmpx_ne_u32_e32 0x7f, v35
	s_cbranch_execz .LBB442_814
; %bb.811:                              ;   in Loop: Header=BB442_13 Depth=1
	v_and_b32_e32 v19, 7, v114
	v_lshrrev_b32_e32 v115, 3, v35
	v_cmp_gt_u32_e64 s1, 8, v35
	s_delay_alu instid0(VALU_DEP_3) | instskip(NEXT) | instid1(VALU_DEP_2)
	v_dual_mov_b32 v36, v20 :: v_dual_mov_b32 v35, v19
	s_and_saveexec_b32 s24, s1
; %bb.812:                              ;   in Loop: Header=BB442_13 Depth=1
	v_clz_i32_u32_e32 v35, v19
	s_delay_alu instid0(VALU_DEP_1) | instskip(NEXT) | instid1(VALU_DEP_1)
	v_min_u32_e32 v115, 32, v35
	v_subrev_nc_u32_e32 v35, 28, v115
	v_sub_nc_u32_e32 v115, 29, v115
	s_delay_alu instid0(VALU_DEP_2) | instskip(NEXT) | instid1(VALU_DEP_1)
	v_lshlrev_b64 v[35:36], v35, v[19:20]
	v_and_b32_e32 v35, 7, v35
; %bb.813:                              ;   in Loop: Header=BB442_13 Depth=1
	s_or_b32 exec_lo, exec_lo, s24
	v_lshlrev_b32_e32 v19, 24, v114
	s_delay_alu instid0(VALU_DEP_2) | instskip(SKIP_1) | instid1(VALU_DEP_3)
	v_lshlrev_b32_e32 v35, 20, v35
	v_lshl_add_u32 v36, v115, 23, 0x3c000000
	v_and_b32_e32 v19, 0x80000000, v19
	s_delay_alu instid0(VALU_DEP_1)
	v_or3_b32 v19, v35, v19, v36
.LBB442_814:                            ;   in Loop: Header=BB442_13 Depth=1
	s_or_b32 exec_lo, exec_lo, s23
.LBB442_815:                            ;   in Loop: Header=BB442_13 Depth=1
	s_delay_alu instid0(SALU_CYCLE_1)
	s_or_b32 exec_lo, exec_lo, s22
.LBB442_816:                            ;   in Loop: Header=BB442_13 Depth=1
	s_delay_alu instid0(SALU_CYCLE_1) | instskip(NEXT) | instid1(VALU_DEP_1)
	s_or_b32 exec_lo, exec_lo, s21
	v_mul_f32_e32 v19, v155, v19
                                        ; implicit-def: $vgpr114
	s_delay_alu instid0(VALU_DEP_1) | instskip(NEXT) | instid1(VALU_DEP_1)
	v_and_b32_e32 v35, 0x7f800000, v19
	v_cmp_ne_u32_e64 s1, 0x7f800000, v35
	s_delay_alu instid0(VALU_DEP_1) | instskip(NEXT) | instid1(SALU_CYCLE_1)
	s_and_saveexec_b32 s21, s1
	s_xor_b32 s1, exec_lo, s21
; %bb.817:                              ;   in Loop: Header=BB442_13 Depth=1
	v_bfe_u32 v35, v19, 16, 1
	s_delay_alu instid0(VALU_DEP_1)
	v_add3_u32 v114, v19, v35, 0x7fff
                                        ; implicit-def: $vgpr19
; %bb.818:                              ;   in Loop: Header=BB442_13 Depth=1
	s_and_not1_saveexec_b32 s21, s1
; %bb.819:                              ;   in Loop: Header=BB442_13 Depth=1
	v_and_b32_e32 v35, 0xffff, v19
	v_or_b32_e32 v36, 0x10000, v19
	s_delay_alu instid0(VALU_DEP_2) | instskip(NEXT) | instid1(VALU_DEP_1)
	v_cmp_eq_u32_e64 s1, 0, v35
	v_cndmask_b32_e64 v114, v36, v19, s1
; %bb.820:                              ;   in Loop: Header=BB442_13 Depth=1
	s_or_b32 exec_lo, exec_lo, s21
	v_mov_b32_e32 v19, 0
	s_mov_b32 s21, exec_lo
	v_cmpx_lt_u32_e32 0xffffff, v33
	s_cbranch_execz .LBB442_828
; %bb.821:                              ;   in Loop: Header=BB442_13 Depth=1
	v_lshrrev_b32_e32 v115, 24, v33
	v_bfrev_b32_e32 v19, 1
	s_mov_b32 s22, exec_lo
	s_delay_alu instid0(VALU_DEP_2)
	v_cmpx_ne_u32_e32 0x80, v115
	s_cbranch_execz .LBB442_827
; %bb.822:                              ;   in Loop: Header=BB442_13 Depth=1
	v_bfe_u32 v35, v33, 24, 7
	v_mov_b32_e32 v19, 0x7f800001
	s_mov_b32 s23, exec_lo
	s_delay_alu instid0(VALU_DEP_2)
	v_cmpx_ne_u32_e32 0x7f, v35
	s_cbranch_execz .LBB442_826
; %bb.823:                              ;   in Loop: Header=BB442_13 Depth=1
	v_and_b32_e32 v19, 7, v115
	v_lshrrev_b32_e32 v116, 3, v35
	v_cmp_gt_u32_e64 s1, 8, v35
	s_delay_alu instid0(VALU_DEP_3) | instskip(NEXT) | instid1(VALU_DEP_2)
	v_dual_mov_b32 v36, v20 :: v_dual_mov_b32 v35, v19
	s_and_saveexec_b32 s24, s1
; %bb.824:                              ;   in Loop: Header=BB442_13 Depth=1
	v_clz_i32_u32_e32 v35, v19
	s_delay_alu instid0(VALU_DEP_1) | instskip(NEXT) | instid1(VALU_DEP_1)
	v_min_u32_e32 v116, 32, v35
	v_subrev_nc_u32_e32 v35, 28, v116
	v_sub_nc_u32_e32 v116, 29, v116
	s_delay_alu instid0(VALU_DEP_2) | instskip(NEXT) | instid1(VALU_DEP_1)
	v_lshlrev_b64 v[35:36], v35, v[19:20]
	v_and_b32_e32 v35, 7, v35
; %bb.825:                              ;   in Loop: Header=BB442_13 Depth=1
	s_or_b32 exec_lo, exec_lo, s24
	v_lshlrev_b32_e32 v19, 24, v115
	s_delay_alu instid0(VALU_DEP_2) | instskip(SKIP_1) | instid1(VALU_DEP_3)
	v_lshlrev_b32_e32 v35, 20, v35
	v_lshl_add_u32 v36, v116, 23, 0x3c000000
	v_and_b32_e32 v19, 0x80000000, v19
	s_delay_alu instid0(VALU_DEP_1)
	v_or3_b32 v19, v35, v19, v36
.LBB442_826:                            ;   in Loop: Header=BB442_13 Depth=1
	s_or_b32 exec_lo, exec_lo, s23
.LBB442_827:                            ;   in Loop: Header=BB442_13 Depth=1
	s_delay_alu instid0(SALU_CYCLE_1)
	s_or_b32 exec_lo, exec_lo, s22
.LBB442_828:                            ;   in Loop: Header=BB442_13 Depth=1
	s_delay_alu instid0(SALU_CYCLE_1) | instskip(NEXT) | instid1(VALU_DEP_1)
	s_or_b32 exec_lo, exec_lo, s21
	v_mul_f32_e32 v19, v155, v19
                                        ; implicit-def: $vgpr115
	s_delay_alu instid0(VALU_DEP_1) | instskip(NEXT) | instid1(VALU_DEP_1)
	v_and_b32_e32 v35, 0x7f800000, v19
	v_cmp_ne_u32_e64 s1, 0x7f800000, v35
	s_delay_alu instid0(VALU_DEP_1) | instskip(NEXT) | instid1(SALU_CYCLE_1)
	s_and_saveexec_b32 s21, s1
	s_xor_b32 s1, exec_lo, s21
; %bb.829:                              ;   in Loop: Header=BB442_13 Depth=1
	v_bfe_u32 v35, v19, 16, 1
	s_delay_alu instid0(VALU_DEP_1)
	v_add3_u32 v115, v19, v35, 0x7fff
                                        ; implicit-def: $vgpr19
; %bb.830:                              ;   in Loop: Header=BB442_13 Depth=1
	s_and_not1_saveexec_b32 s21, s1
; %bb.831:                              ;   in Loop: Header=BB442_13 Depth=1
	v_and_b32_e32 v35, 0xffff, v19
	v_or_b32_e32 v36, 0x10000, v19
	s_delay_alu instid0(VALU_DEP_2) | instskip(NEXT) | instid1(VALU_DEP_1)
	v_cmp_eq_u32_e64 s1, 0, v35
	v_cndmask_b32_e64 v115, v36, v19, s1
; %bb.832:                              ;   in Loop: Header=BB442_13 Depth=1
	s_or_b32 exec_lo, exec_lo, s21
	v_dual_mov_b32 v19, v34 :: v_dual_and_b32 v36, 0xff, v34
	v_mov_b32_e32 v35, 0
	s_mov_b32 s21, exec_lo
	s_delay_alu instid0(VALU_DEP_2)
	v_cmpx_ne_u16_e32 0, v36
	s_cbranch_execz .LBB442_840
; %bb.833:                              ;   in Loop: Header=BB442_13 Depth=1
	v_bfrev_b32_e32 v35, 1
	s_mov_b32 s22, exec_lo
	v_cmpx_ne_u16_e32 0x80, v36
	s_cbranch_execz .LBB442_839
; %bb.834:                              ;   in Loop: Header=BB442_13 Depth=1
	v_and_b32_e32 v36, 0x7f, v34
	v_mov_b32_e32 v35, 0x7f800001
	s_mov_b32 s23, exec_lo
	s_delay_alu instid0(VALU_DEP_2)
	v_cmpx_ne_u32_e32 0x7f, v36
	s_cbranch_execz .LBB442_838
; %bb.835:                              ;   in Loop: Header=BB442_13 Depth=1
	v_lshrrev_b32_e32 v116, 3, v36
	v_cmp_gt_u32_e64 s1, 8, v36
	v_dual_mov_b32 v36, v20 :: v_dual_mov_b32 v35, v19
	s_delay_alu instid0(VALU_DEP_2)
	s_and_saveexec_b32 s24, s1
; %bb.836:                              ;   in Loop: Header=BB442_13 Depth=1
	v_and_b32_e32 v35, 7, v34
	s_delay_alu instid0(VALU_DEP_1) | instskip(NEXT) | instid1(VALU_DEP_1)
	v_clz_i32_u32_e32 v35, v35
	v_min_u32_e32 v116, 32, v35
	s_delay_alu instid0(VALU_DEP_1) | instskip(SKIP_1) | instid1(VALU_DEP_2)
	v_subrev_nc_u32_e32 v35, 28, v116
	v_sub_nc_u32_e32 v116, 29, v116
	v_lshlrev_b64 v[35:36], v35, v[19:20]
; %bb.837:                              ;   in Loop: Header=BB442_13 Depth=1
	s_or_b32 exec_lo, exec_lo, s24
	s_delay_alu instid0(VALU_DEP_1) | instskip(SKIP_2) | instid1(VALU_DEP_3)
	v_lshlrev_b32_e32 v35, 20, v35
	v_lshlrev_b32_e32 v36, 24, v19
	v_lshl_add_u32 v116, v116, 23, 0x3c000000
	v_and_b32_e32 v35, 0x700000, v35
	s_delay_alu instid0(VALU_DEP_3) | instskip(NEXT) | instid1(VALU_DEP_1)
	v_and_b32_e32 v36, 0x80000000, v36
	v_or3_b32 v35, v35, v36, v116
.LBB442_838:                            ;   in Loop: Header=BB442_13 Depth=1
	s_or_b32 exec_lo, exec_lo, s23
.LBB442_839:                            ;   in Loop: Header=BB442_13 Depth=1
	s_delay_alu instid0(SALU_CYCLE_1)
	s_or_b32 exec_lo, exec_lo, s22
.LBB442_840:                            ;   in Loop: Header=BB442_13 Depth=1
	s_delay_alu instid0(SALU_CYCLE_1) | instskip(NEXT) | instid1(VALU_DEP_1)
	s_or_b32 exec_lo, exec_lo, s21
	v_mul_f32_e32 v35, v155, v35
                                        ; implicit-def: $vgpr116
	s_delay_alu instid0(VALU_DEP_1) | instskip(NEXT) | instid1(VALU_DEP_1)
	v_and_b32_e32 v36, 0x7f800000, v35
	v_cmp_ne_u32_e64 s1, 0x7f800000, v36
	s_delay_alu instid0(VALU_DEP_1) | instskip(NEXT) | instid1(SALU_CYCLE_1)
	s_and_saveexec_b32 s21, s1
	s_xor_b32 s1, exec_lo, s21
; %bb.841:                              ;   in Loop: Header=BB442_13 Depth=1
	v_bfe_u32 v36, v35, 16, 1
	s_delay_alu instid0(VALU_DEP_1)
	v_add3_u32 v116, v35, v36, 0x7fff
                                        ; implicit-def: $vgpr35
; %bb.842:                              ;   in Loop: Header=BB442_13 Depth=1
	s_and_not1_saveexec_b32 s21, s1
; %bb.843:                              ;   in Loop: Header=BB442_13 Depth=1
	v_and_b32_e32 v36, 0xffff, v35
	v_or_b32_e32 v116, 0x10000, v35
	s_delay_alu instid0(VALU_DEP_2) | instskip(NEXT) | instid1(VALU_DEP_1)
	v_cmp_eq_u32_e64 s1, 0, v36
	v_cndmask_b32_e64 v116, v116, v35, s1
; %bb.844:                              ;   in Loop: Header=BB442_13 Depth=1
	s_or_b32 exec_lo, exec_lo, s21
	v_lshrrev_b16 v36, 8, v19
	v_mov_b32_e32 v35, 0
	s_mov_b32 s21, exec_lo
	s_delay_alu instid0(VALU_DEP_2)
	v_cmpx_ne_u16_e32 0, v36
	s_cbranch_execz .LBB442_852
; %bb.845:                              ;   in Loop: Header=BB442_13 Depth=1
	v_bfrev_b32_e32 v35, 1
	s_mov_b32 s22, exec_lo
	v_cmpx_ne_u16_e32 0x80, v36
	s_cbranch_execz .LBB442_851
; %bb.846:                              ;   in Loop: Header=BB442_13 Depth=1
	v_and_b32_e32 v36, 0xffff, v36
	v_mov_b32_e32 v35, 0x7f800001
	s_mov_b32 s23, exec_lo
	s_delay_alu instid0(VALU_DEP_2) | instskip(NEXT) | instid1(VALU_DEP_1)
	v_and_b32_e32 v118, 0x7f, v36
	v_cmpx_ne_u32_e32 0x7f, v118
	s_cbranch_execz .LBB442_850
; %bb.847:                              ;   in Loop: Header=BB442_13 Depth=1
	v_dual_mov_b32 v36, v20 :: v_dual_and_b32 v35, 7, v36
	v_lshrrev_b32_e32 v117, 3, v118
	s_mov_b32 s24, exec_lo
	v_cmpx_gt_u32_e32 8, v118
; %bb.848:                              ;   in Loop: Header=BB442_13 Depth=1
	s_delay_alu instid0(VALU_DEP_3) | instskip(NEXT) | instid1(VALU_DEP_1)
	v_clz_i32_u32_e32 v117, v35
	v_min_u32_e32 v117, 32, v117
	s_delay_alu instid0(VALU_DEP_1) | instskip(SKIP_1) | instid1(VALU_DEP_2)
	v_subrev_nc_u32_e32 v118, 28, v117
	v_sub_nc_u32_e32 v117, 29, v117
	v_lshlrev_b64 v[35:36], v118, v[35:36]
	s_delay_alu instid0(VALU_DEP_1)
	v_and_b32_e32 v35, 7, v35
; %bb.849:                              ;   in Loop: Header=BB442_13 Depth=1
	s_or_b32 exec_lo, exec_lo, s24
	v_lshlrev_b32_e32 v19, 16, v19
	s_delay_alu instid0(VALU_DEP_2) | instskip(SKIP_1) | instid1(VALU_DEP_3)
	v_lshlrev_b32_e32 v35, 20, v35
	v_lshl_add_u32 v36, v117, 23, 0x3c000000
	v_and_b32_e32 v19, 0x80000000, v19
	s_delay_alu instid0(VALU_DEP_1)
	v_or3_b32 v35, v35, v19, v36
.LBB442_850:                            ;   in Loop: Header=BB442_13 Depth=1
	s_or_b32 exec_lo, exec_lo, s23
.LBB442_851:                            ;   in Loop: Header=BB442_13 Depth=1
	s_delay_alu instid0(SALU_CYCLE_1)
	s_or_b32 exec_lo, exec_lo, s22
.LBB442_852:                            ;   in Loop: Header=BB442_13 Depth=1
	s_delay_alu instid0(SALU_CYCLE_1) | instskip(NEXT) | instid1(VALU_DEP_1)
	s_or_b32 exec_lo, exec_lo, s21
	v_mul_f32_e32 v19, v155, v35
                                        ; implicit-def: $vgpr117
	s_delay_alu instid0(VALU_DEP_1) | instskip(NEXT) | instid1(VALU_DEP_1)
	v_and_b32_e32 v35, 0x7f800000, v19
	v_cmp_ne_u32_e64 s1, 0x7f800000, v35
	s_delay_alu instid0(VALU_DEP_1) | instskip(NEXT) | instid1(SALU_CYCLE_1)
	s_and_saveexec_b32 s21, s1
	s_xor_b32 s1, exec_lo, s21
; %bb.853:                              ;   in Loop: Header=BB442_13 Depth=1
	v_bfe_u32 v35, v19, 16, 1
	s_delay_alu instid0(VALU_DEP_1)
	v_add3_u32 v117, v19, v35, 0x7fff
                                        ; implicit-def: $vgpr19
; %bb.854:                              ;   in Loop: Header=BB442_13 Depth=1
	s_and_not1_saveexec_b32 s21, s1
; %bb.855:                              ;   in Loop: Header=BB442_13 Depth=1
	v_and_b32_e32 v35, 0xffff, v19
	v_or_b32_e32 v36, 0x10000, v19
	s_delay_alu instid0(VALU_DEP_2) | instskip(NEXT) | instid1(VALU_DEP_1)
	v_cmp_eq_u32_e64 s1, 0, v35
	v_cndmask_b32_e64 v117, v36, v19, s1
; %bb.856:                              ;   in Loop: Header=BB442_13 Depth=1
	s_or_b32 exec_lo, exec_lo, s21
	v_lshrrev_b32_e32 v118, 16, v34
	v_mov_b32_e32 v19, 0
	s_mov_b32 s21, exec_lo
	s_delay_alu instid0(VALU_DEP_2) | instskip(NEXT) | instid1(VALU_DEP_1)
	v_and_b32_e32 v35, 0xff, v118
	v_cmpx_ne_u16_e32 0, v35
	s_cbranch_execz .LBB442_864
; %bb.857:                              ;   in Loop: Header=BB442_13 Depth=1
	v_bfrev_b32_e32 v19, 1
	s_mov_b32 s22, exec_lo
	v_cmpx_ne_u16_e32 0x80, v35
	s_cbranch_execz .LBB442_863
; %bb.858:                              ;   in Loop: Header=BB442_13 Depth=1
	v_bfe_u32 v35, v34, 16, 7
	v_mov_b32_e32 v19, 0x7f800001
	s_mov_b32 s23, exec_lo
	s_delay_alu instid0(VALU_DEP_2)
	v_cmpx_ne_u32_e32 0x7f, v35
	s_cbranch_execz .LBB442_862
; %bb.859:                              ;   in Loop: Header=BB442_13 Depth=1
	v_and_b32_e32 v19, 7, v118
	v_lshrrev_b32_e32 v119, 3, v35
	v_cmp_gt_u32_e64 s1, 8, v35
	s_delay_alu instid0(VALU_DEP_3) | instskip(NEXT) | instid1(VALU_DEP_2)
	v_dual_mov_b32 v36, v20 :: v_dual_mov_b32 v35, v19
	s_and_saveexec_b32 s24, s1
; %bb.860:                              ;   in Loop: Header=BB442_13 Depth=1
	v_clz_i32_u32_e32 v35, v19
	s_delay_alu instid0(VALU_DEP_1) | instskip(NEXT) | instid1(VALU_DEP_1)
	v_min_u32_e32 v119, 32, v35
	v_subrev_nc_u32_e32 v35, 28, v119
	v_sub_nc_u32_e32 v119, 29, v119
	s_delay_alu instid0(VALU_DEP_2) | instskip(NEXT) | instid1(VALU_DEP_1)
	v_lshlrev_b64 v[35:36], v35, v[19:20]
	v_and_b32_e32 v35, 7, v35
; %bb.861:                              ;   in Loop: Header=BB442_13 Depth=1
	s_or_b32 exec_lo, exec_lo, s24
	v_lshlrev_b32_e32 v19, 24, v118
	s_delay_alu instid0(VALU_DEP_2) | instskip(SKIP_1) | instid1(VALU_DEP_3)
	v_lshlrev_b32_e32 v35, 20, v35
	v_lshl_add_u32 v36, v119, 23, 0x3c000000
	v_and_b32_e32 v19, 0x80000000, v19
	s_delay_alu instid0(VALU_DEP_1)
	v_or3_b32 v19, v35, v19, v36
.LBB442_862:                            ;   in Loop: Header=BB442_13 Depth=1
	s_or_b32 exec_lo, exec_lo, s23
.LBB442_863:                            ;   in Loop: Header=BB442_13 Depth=1
	s_delay_alu instid0(SALU_CYCLE_1)
	s_or_b32 exec_lo, exec_lo, s22
.LBB442_864:                            ;   in Loop: Header=BB442_13 Depth=1
	s_delay_alu instid0(SALU_CYCLE_1) | instskip(NEXT) | instid1(VALU_DEP_1)
	s_or_b32 exec_lo, exec_lo, s21
	v_mul_f32_e32 v19, v155, v19
                                        ; implicit-def: $vgpr118
	s_delay_alu instid0(VALU_DEP_1) | instskip(NEXT) | instid1(VALU_DEP_1)
	v_and_b32_e32 v35, 0x7f800000, v19
	v_cmp_ne_u32_e64 s1, 0x7f800000, v35
	s_delay_alu instid0(VALU_DEP_1) | instskip(NEXT) | instid1(SALU_CYCLE_1)
	s_and_saveexec_b32 s21, s1
	s_xor_b32 s1, exec_lo, s21
; %bb.865:                              ;   in Loop: Header=BB442_13 Depth=1
	v_bfe_u32 v35, v19, 16, 1
	s_delay_alu instid0(VALU_DEP_1)
	v_add3_u32 v118, v19, v35, 0x7fff
                                        ; implicit-def: $vgpr19
; %bb.866:                              ;   in Loop: Header=BB442_13 Depth=1
	s_and_not1_saveexec_b32 s21, s1
; %bb.867:                              ;   in Loop: Header=BB442_13 Depth=1
	v_and_b32_e32 v35, 0xffff, v19
	v_or_b32_e32 v36, 0x10000, v19
	s_delay_alu instid0(VALU_DEP_2) | instskip(NEXT) | instid1(VALU_DEP_1)
	v_cmp_eq_u32_e64 s1, 0, v35
	v_cndmask_b32_e64 v118, v36, v19, s1
; %bb.868:                              ;   in Loop: Header=BB442_13 Depth=1
	s_or_b32 exec_lo, exec_lo, s21
	v_mov_b32_e32 v19, 0
	s_mov_b32 s21, exec_lo
	v_cmpx_lt_u64_e64 s[16:17], v[33:34]
	s_cbranch_execz .LBB442_876
; %bb.869:                              ;   in Loop: Header=BB442_13 Depth=1
	v_lshrrev_b32_e32 v35, 24, v34
	v_bfrev_b32_e32 v19, 1
	s_mov_b32 s22, exec_lo
	s_delay_alu instid0(VALU_DEP_2)
	v_cmpx_ne_u32_e32 0x80, v35
	s_cbranch_execz .LBB442_875
; %bb.870:                              ;   in Loop: Header=BB442_13 Depth=1
	v_bfe_u32 v33, v34, 24, 7
	v_mov_b32_e32 v19, 0x7f800001
	s_mov_b32 s23, exec_lo
	s_delay_alu instid0(VALU_DEP_2)
	v_cmpx_ne_u32_e32 0x7f, v33
	s_cbranch_execz .LBB442_874
; %bb.871:                              ;   in Loop: Header=BB442_13 Depth=1
	v_and_b32_e32 v19, 7, v35
	v_lshrrev_b32_e32 v36, 3, v33
	v_cmp_gt_u32_e64 s1, 8, v33
	s_delay_alu instid0(VALU_DEP_3) | instskip(NEXT) | instid1(VALU_DEP_2)
	v_dual_mov_b32 v34, v20 :: v_dual_mov_b32 v33, v19
	s_and_saveexec_b32 s24, s1
; %bb.872:                              ;   in Loop: Header=BB442_13 Depth=1
	v_clz_i32_u32_e32 v33, v19
	s_delay_alu instid0(VALU_DEP_1) | instskip(NEXT) | instid1(VALU_DEP_1)
	v_min_u32_e32 v36, 32, v33
	v_subrev_nc_u32_e32 v33, 28, v36
	v_sub_nc_u32_e32 v36, 29, v36
	s_delay_alu instid0(VALU_DEP_2) | instskip(NEXT) | instid1(VALU_DEP_1)
	v_lshlrev_b64 v[33:34], v33, v[19:20]
	v_and_b32_e32 v33, 7, v33
; %bb.873:                              ;   in Loop: Header=BB442_13 Depth=1
	s_or_b32 exec_lo, exec_lo, s24
	v_lshlrev_b32_e32 v19, 24, v35
	s_delay_alu instid0(VALU_DEP_2) | instskip(SKIP_1) | instid1(VALU_DEP_3)
	v_lshlrev_b32_e32 v33, 20, v33
	v_lshl_add_u32 v34, v36, 23, 0x3c000000
	v_and_b32_e32 v19, 0x80000000, v19
	s_delay_alu instid0(VALU_DEP_1)
	v_or3_b32 v19, v33, v19, v34
.LBB442_874:                            ;   in Loop: Header=BB442_13 Depth=1
	s_or_b32 exec_lo, exec_lo, s23
.LBB442_875:                            ;   in Loop: Header=BB442_13 Depth=1
	s_delay_alu instid0(SALU_CYCLE_1)
	s_or_b32 exec_lo, exec_lo, s22
.LBB442_876:                            ;   in Loop: Header=BB442_13 Depth=1
	s_delay_alu instid0(SALU_CYCLE_1) | instskip(NEXT) | instid1(VALU_DEP_1)
	s_or_b32 exec_lo, exec_lo, s21
	v_mul_f32_e32 v19, v155, v19
                                        ; implicit-def: $vgpr119
	s_delay_alu instid0(VALU_DEP_1) | instskip(NEXT) | instid1(VALU_DEP_1)
	v_and_b32_e32 v33, 0x7f800000, v19
	v_cmp_ne_u32_e64 s1, 0x7f800000, v33
	s_delay_alu instid0(VALU_DEP_1) | instskip(NEXT) | instid1(SALU_CYCLE_1)
	s_and_saveexec_b32 s21, s1
	s_xor_b32 s1, exec_lo, s21
; %bb.877:                              ;   in Loop: Header=BB442_13 Depth=1
	v_bfe_u32 v33, v19, 16, 1
	s_delay_alu instid0(VALU_DEP_1)
	v_add3_u32 v119, v19, v33, 0x7fff
                                        ; implicit-def: $vgpr19
; %bb.878:                              ;   in Loop: Header=BB442_13 Depth=1
	s_and_not1_saveexec_b32 s21, s1
; %bb.879:                              ;   in Loop: Header=BB442_13 Depth=1
	v_and_b32_e32 v33, 0xffff, v19
	v_or_b32_e32 v34, 0x10000, v19
	s_delay_alu instid0(VALU_DEP_2) | instskip(NEXT) | instid1(VALU_DEP_1)
	v_cmp_eq_u32_e64 s1, 0, v33
	v_cndmask_b32_e64 v119, v34, v19, s1
; %bb.880:                              ;   in Loop: Header=BB442_13 Depth=1
	s_or_b32 exec_lo, exec_lo, s21
	flat_load_b64 v[33:34], v[31:32] offset:2056
	v_mov_b32_e32 v19, 0
	s_mov_b32 s21, exec_lo
	s_waitcnt vmcnt(0) lgkmcnt(0)
	v_and_b32_e32 v35, 0xff, v33
	s_delay_alu instid0(VALU_DEP_1)
	v_cmpx_ne_u16_e32 0, v35
	s_cbranch_execz .LBB442_888
; %bb.881:                              ;   in Loop: Header=BB442_13 Depth=1
	v_bfrev_b32_e32 v19, 1
	s_mov_b32 s22, exec_lo
	v_cmpx_ne_u16_e32 0x80, v35
	s_cbranch_execz .LBB442_887
; %bb.882:                              ;   in Loop: Header=BB442_13 Depth=1
	v_and_b32_e32 v35, 0x7f, v33
	v_mov_b32_e32 v19, 0x7f800001
	s_mov_b32 s23, exec_lo
	s_delay_alu instid0(VALU_DEP_2)
	v_cmpx_ne_u32_e32 0x7f, v35
	s_cbranch_execz .LBB442_886
; %bb.883:                              ;   in Loop: Header=BB442_13 Depth=1
	v_lshrrev_b32_e32 v19, 3, v35
	v_cmp_gt_u32_e64 s1, 8, v35
	v_dual_mov_b32 v36, v34 :: v_dual_mov_b32 v35, v33
	s_delay_alu instid0(VALU_DEP_2)
	s_and_saveexec_b32 s24, s1
; %bb.884:                              ;   in Loop: Header=BB442_13 Depth=1
	v_and_b32_e32 v19, 7, v33
	s_delay_alu instid0(VALU_DEP_1) | instskip(NEXT) | instid1(VALU_DEP_1)
	v_clz_i32_u32_e32 v19, v19
	v_min_u32_e32 v19, 32, v19
	s_delay_alu instid0(VALU_DEP_1) | instskip(SKIP_1) | instid1(VALU_DEP_2)
	v_subrev_nc_u32_e32 v35, 28, v19
	v_sub_nc_u32_e32 v19, 29, v19
	v_lshlrev_b64 v[35:36], v35, v[33:34]
; %bb.885:                              ;   in Loop: Header=BB442_13 Depth=1
	s_or_b32 exec_lo, exec_lo, s24
	s_delay_alu instid0(VALU_DEP_1) | instskip(SKIP_2) | instid1(VALU_DEP_3)
	v_lshlrev_b32_e32 v35, 20, v35
	v_lshlrev_b32_e32 v36, 24, v33
	v_lshl_add_u32 v19, v19, 23, 0x3c000000
	v_and_b32_e32 v35, 0x700000, v35
	s_delay_alu instid0(VALU_DEP_3) | instskip(NEXT) | instid1(VALU_DEP_1)
	v_and_b32_e32 v36, 0x80000000, v36
	v_or3_b32 v19, v35, v36, v19
.LBB442_886:                            ;   in Loop: Header=BB442_13 Depth=1
	s_or_b32 exec_lo, exec_lo, s23
.LBB442_887:                            ;   in Loop: Header=BB442_13 Depth=1
	s_delay_alu instid0(SALU_CYCLE_1)
	s_or_b32 exec_lo, exec_lo, s22
.LBB442_888:                            ;   in Loop: Header=BB442_13 Depth=1
	s_delay_alu instid0(SALU_CYCLE_1) | instskip(NEXT) | instid1(VALU_DEP_1)
	s_or_b32 exec_lo, exec_lo, s21
	v_mul_f32_e32 v19, v155, v19
                                        ; implicit-def: $vgpr128
	s_delay_alu instid0(VALU_DEP_1) | instskip(NEXT) | instid1(VALU_DEP_1)
	v_and_b32_e32 v35, 0x7f800000, v19
	v_cmp_ne_u32_e64 s1, 0x7f800000, v35
	s_delay_alu instid0(VALU_DEP_1) | instskip(NEXT) | instid1(SALU_CYCLE_1)
	s_and_saveexec_b32 s21, s1
	s_xor_b32 s1, exec_lo, s21
; %bb.889:                              ;   in Loop: Header=BB442_13 Depth=1
	v_bfe_u32 v35, v19, 16, 1
	s_delay_alu instid0(VALU_DEP_1)
	v_add3_u32 v128, v19, v35, 0x7fff
                                        ; implicit-def: $vgpr19
; %bb.890:                              ;   in Loop: Header=BB442_13 Depth=1
	s_and_not1_saveexec_b32 s21, s1
; %bb.891:                              ;   in Loop: Header=BB442_13 Depth=1
	v_and_b32_e32 v35, 0xffff, v19
	v_or_b32_e32 v36, 0x10000, v19
	s_delay_alu instid0(VALU_DEP_2) | instskip(NEXT) | instid1(VALU_DEP_1)
	v_cmp_eq_u32_e64 s1, 0, v35
	v_cndmask_b32_e64 v128, v36, v19, s1
; %bb.892:                              ;   in Loop: Header=BB442_13 Depth=1
	s_or_b32 exec_lo, exec_lo, s21
	v_lshrrev_b16 v35, 8, v33
	v_mov_b32_e32 v19, 0
	s_mov_b32 s21, exec_lo
	s_delay_alu instid0(VALU_DEP_2)
	v_cmpx_ne_u16_e32 0, v35
	s_cbranch_execz .LBB442_900
; %bb.893:                              ;   in Loop: Header=BB442_13 Depth=1
	v_bfrev_b32_e32 v19, 1
	s_mov_b32 s22, exec_lo
	v_cmpx_ne_u16_e32 0x80, v35
	s_cbranch_execz .LBB442_899
; %bb.894:                              ;   in Loop: Header=BB442_13 Depth=1
	v_and_b32_e32 v36, 0xffff, v35
	v_mov_b32_e32 v19, 0x7f800001
	s_mov_b32 s23, exec_lo
	s_delay_alu instid0(VALU_DEP_2) | instskip(NEXT) | instid1(VALU_DEP_1)
	v_and_b32_e32 v35, 0x7f, v36
	v_cmpx_ne_u32_e32 0x7f, v35
	s_cbranch_execz .LBB442_898
; %bb.895:                              ;   in Loop: Header=BB442_13 Depth=1
	v_and_b32_e32 v19, 7, v36
	v_lshrrev_b32_e32 v129, 3, v35
	v_cmp_gt_u32_e64 s1, 8, v35
	s_delay_alu instid0(VALU_DEP_3) | instskip(NEXT) | instid1(VALU_DEP_2)
	v_dual_mov_b32 v36, v20 :: v_dual_mov_b32 v35, v19
	s_and_saveexec_b32 s24, s1
; %bb.896:                              ;   in Loop: Header=BB442_13 Depth=1
	v_clz_i32_u32_e32 v35, v19
	s_delay_alu instid0(VALU_DEP_1) | instskip(NEXT) | instid1(VALU_DEP_1)
	v_min_u32_e32 v129, 32, v35
	v_subrev_nc_u32_e32 v35, 28, v129
	v_sub_nc_u32_e32 v129, 29, v129
	s_delay_alu instid0(VALU_DEP_2) | instskip(NEXT) | instid1(VALU_DEP_1)
	v_lshlrev_b64 v[35:36], v35, v[19:20]
	v_and_b32_e32 v35, 7, v35
; %bb.897:                              ;   in Loop: Header=BB442_13 Depth=1
	s_or_b32 exec_lo, exec_lo, s24
	v_lshlrev_b32_e32 v19, 16, v33
	s_delay_alu instid0(VALU_DEP_2) | instskip(SKIP_1) | instid1(VALU_DEP_3)
	v_lshlrev_b32_e32 v35, 20, v35
	v_lshl_add_u32 v36, v129, 23, 0x3c000000
	v_and_b32_e32 v19, 0x80000000, v19
	s_delay_alu instid0(VALU_DEP_1)
	v_or3_b32 v19, v35, v19, v36
.LBB442_898:                            ;   in Loop: Header=BB442_13 Depth=1
	s_or_b32 exec_lo, exec_lo, s23
.LBB442_899:                            ;   in Loop: Header=BB442_13 Depth=1
	s_delay_alu instid0(SALU_CYCLE_1)
	s_or_b32 exec_lo, exec_lo, s22
.LBB442_900:                            ;   in Loop: Header=BB442_13 Depth=1
	s_delay_alu instid0(SALU_CYCLE_1) | instskip(NEXT) | instid1(VALU_DEP_1)
	s_or_b32 exec_lo, exec_lo, s21
	v_mul_f32_e32 v19, v155, v19
                                        ; implicit-def: $vgpr129
	s_delay_alu instid0(VALU_DEP_1) | instskip(NEXT) | instid1(VALU_DEP_1)
	v_and_b32_e32 v35, 0x7f800000, v19
	v_cmp_ne_u32_e64 s1, 0x7f800000, v35
	s_delay_alu instid0(VALU_DEP_1) | instskip(NEXT) | instid1(SALU_CYCLE_1)
	s_and_saveexec_b32 s21, s1
	s_xor_b32 s1, exec_lo, s21
; %bb.901:                              ;   in Loop: Header=BB442_13 Depth=1
	v_bfe_u32 v35, v19, 16, 1
	s_delay_alu instid0(VALU_DEP_1)
	v_add3_u32 v129, v19, v35, 0x7fff
                                        ; implicit-def: $vgpr19
; %bb.902:                              ;   in Loop: Header=BB442_13 Depth=1
	s_and_not1_saveexec_b32 s21, s1
; %bb.903:                              ;   in Loop: Header=BB442_13 Depth=1
	v_and_b32_e32 v35, 0xffff, v19
	v_or_b32_e32 v36, 0x10000, v19
	s_delay_alu instid0(VALU_DEP_2) | instskip(NEXT) | instid1(VALU_DEP_1)
	v_cmp_eq_u32_e64 s1, 0, v35
	v_cndmask_b32_e64 v129, v36, v19, s1
; %bb.904:                              ;   in Loop: Header=BB442_13 Depth=1
	s_or_b32 exec_lo, exec_lo, s21
	v_lshrrev_b32_e32 v130, 16, v33
	v_mov_b32_e32 v19, 0
	s_mov_b32 s21, exec_lo
	s_delay_alu instid0(VALU_DEP_2) | instskip(NEXT) | instid1(VALU_DEP_1)
	v_and_b32_e32 v35, 0xff, v130
	v_cmpx_ne_u16_e32 0, v35
	s_cbranch_execz .LBB442_912
; %bb.905:                              ;   in Loop: Header=BB442_13 Depth=1
	v_bfrev_b32_e32 v19, 1
	s_mov_b32 s22, exec_lo
	v_cmpx_ne_u16_e32 0x80, v35
	s_cbranch_execz .LBB442_911
; %bb.906:                              ;   in Loop: Header=BB442_13 Depth=1
	v_bfe_u32 v35, v33, 16, 7
	v_mov_b32_e32 v19, 0x7f800001
	s_mov_b32 s23, exec_lo
	s_delay_alu instid0(VALU_DEP_2)
	v_cmpx_ne_u32_e32 0x7f, v35
	s_cbranch_execz .LBB442_910
; %bb.907:                              ;   in Loop: Header=BB442_13 Depth=1
	v_and_b32_e32 v19, 7, v130
	v_lshrrev_b32_e32 v131, 3, v35
	v_cmp_gt_u32_e64 s1, 8, v35
	s_delay_alu instid0(VALU_DEP_3) | instskip(NEXT) | instid1(VALU_DEP_2)
	v_dual_mov_b32 v36, v20 :: v_dual_mov_b32 v35, v19
	s_and_saveexec_b32 s24, s1
; %bb.908:                              ;   in Loop: Header=BB442_13 Depth=1
	v_clz_i32_u32_e32 v35, v19
	s_delay_alu instid0(VALU_DEP_1) | instskip(NEXT) | instid1(VALU_DEP_1)
	v_min_u32_e32 v131, 32, v35
	v_subrev_nc_u32_e32 v35, 28, v131
	v_sub_nc_u32_e32 v131, 29, v131
	s_delay_alu instid0(VALU_DEP_2) | instskip(NEXT) | instid1(VALU_DEP_1)
	v_lshlrev_b64 v[35:36], v35, v[19:20]
	v_and_b32_e32 v35, 7, v35
; %bb.909:                              ;   in Loop: Header=BB442_13 Depth=1
	s_or_b32 exec_lo, exec_lo, s24
	v_lshlrev_b32_e32 v19, 24, v130
	s_delay_alu instid0(VALU_DEP_2) | instskip(SKIP_1) | instid1(VALU_DEP_3)
	v_lshlrev_b32_e32 v35, 20, v35
	v_lshl_add_u32 v36, v131, 23, 0x3c000000
	v_and_b32_e32 v19, 0x80000000, v19
	s_delay_alu instid0(VALU_DEP_1)
	v_or3_b32 v19, v35, v19, v36
.LBB442_910:                            ;   in Loop: Header=BB442_13 Depth=1
	s_or_b32 exec_lo, exec_lo, s23
.LBB442_911:                            ;   in Loop: Header=BB442_13 Depth=1
	s_delay_alu instid0(SALU_CYCLE_1)
	s_or_b32 exec_lo, exec_lo, s22
.LBB442_912:                            ;   in Loop: Header=BB442_13 Depth=1
	s_delay_alu instid0(SALU_CYCLE_1) | instskip(NEXT) | instid1(VALU_DEP_1)
	s_or_b32 exec_lo, exec_lo, s21
	v_mul_f32_e32 v19, v155, v19
                                        ; implicit-def: $vgpr130
	s_delay_alu instid0(VALU_DEP_1) | instskip(NEXT) | instid1(VALU_DEP_1)
	v_and_b32_e32 v35, 0x7f800000, v19
	v_cmp_ne_u32_e64 s1, 0x7f800000, v35
	s_delay_alu instid0(VALU_DEP_1) | instskip(NEXT) | instid1(SALU_CYCLE_1)
	s_and_saveexec_b32 s21, s1
	s_xor_b32 s1, exec_lo, s21
; %bb.913:                              ;   in Loop: Header=BB442_13 Depth=1
	v_bfe_u32 v35, v19, 16, 1
	s_delay_alu instid0(VALU_DEP_1)
	v_add3_u32 v130, v19, v35, 0x7fff
                                        ; implicit-def: $vgpr19
; %bb.914:                              ;   in Loop: Header=BB442_13 Depth=1
	s_and_not1_saveexec_b32 s21, s1
; %bb.915:                              ;   in Loop: Header=BB442_13 Depth=1
	v_and_b32_e32 v35, 0xffff, v19
	v_or_b32_e32 v36, 0x10000, v19
	s_delay_alu instid0(VALU_DEP_2) | instskip(NEXT) | instid1(VALU_DEP_1)
	v_cmp_eq_u32_e64 s1, 0, v35
	v_cndmask_b32_e64 v130, v36, v19, s1
; %bb.916:                              ;   in Loop: Header=BB442_13 Depth=1
	s_or_b32 exec_lo, exec_lo, s21
	v_mov_b32_e32 v19, 0
	s_mov_b32 s21, exec_lo
	v_cmpx_lt_u32_e32 0xffffff, v33
	s_cbranch_execz .LBB442_924
; %bb.917:                              ;   in Loop: Header=BB442_13 Depth=1
	v_lshrrev_b32_e32 v131, 24, v33
	v_bfrev_b32_e32 v19, 1
	s_mov_b32 s22, exec_lo
	s_delay_alu instid0(VALU_DEP_2)
	v_cmpx_ne_u32_e32 0x80, v131
	s_cbranch_execz .LBB442_923
; %bb.918:                              ;   in Loop: Header=BB442_13 Depth=1
	v_bfe_u32 v35, v33, 24, 7
	v_mov_b32_e32 v19, 0x7f800001
	s_mov_b32 s23, exec_lo
	s_delay_alu instid0(VALU_DEP_2)
	v_cmpx_ne_u32_e32 0x7f, v35
	s_cbranch_execz .LBB442_922
; %bb.919:                              ;   in Loop: Header=BB442_13 Depth=1
	v_and_b32_e32 v19, 7, v131
	v_lshrrev_b32_e32 v132, 3, v35
	v_cmp_gt_u32_e64 s1, 8, v35
	s_delay_alu instid0(VALU_DEP_3) | instskip(NEXT) | instid1(VALU_DEP_2)
	v_dual_mov_b32 v36, v20 :: v_dual_mov_b32 v35, v19
	s_and_saveexec_b32 s24, s1
; %bb.920:                              ;   in Loop: Header=BB442_13 Depth=1
	v_clz_i32_u32_e32 v35, v19
	s_delay_alu instid0(VALU_DEP_1) | instskip(NEXT) | instid1(VALU_DEP_1)
	v_min_u32_e32 v132, 32, v35
	v_subrev_nc_u32_e32 v35, 28, v132
	v_sub_nc_u32_e32 v132, 29, v132
	s_delay_alu instid0(VALU_DEP_2) | instskip(NEXT) | instid1(VALU_DEP_1)
	v_lshlrev_b64 v[35:36], v35, v[19:20]
	v_and_b32_e32 v35, 7, v35
; %bb.921:                              ;   in Loop: Header=BB442_13 Depth=1
	s_or_b32 exec_lo, exec_lo, s24
	v_lshlrev_b32_e32 v19, 24, v131
	s_delay_alu instid0(VALU_DEP_2) | instskip(SKIP_1) | instid1(VALU_DEP_3)
	v_lshlrev_b32_e32 v35, 20, v35
	v_lshl_add_u32 v36, v132, 23, 0x3c000000
	v_and_b32_e32 v19, 0x80000000, v19
	s_delay_alu instid0(VALU_DEP_1)
	v_or3_b32 v19, v35, v19, v36
.LBB442_922:                            ;   in Loop: Header=BB442_13 Depth=1
	s_or_b32 exec_lo, exec_lo, s23
.LBB442_923:                            ;   in Loop: Header=BB442_13 Depth=1
	s_delay_alu instid0(SALU_CYCLE_1)
	s_or_b32 exec_lo, exec_lo, s22
.LBB442_924:                            ;   in Loop: Header=BB442_13 Depth=1
	s_delay_alu instid0(SALU_CYCLE_1) | instskip(NEXT) | instid1(VALU_DEP_1)
	s_or_b32 exec_lo, exec_lo, s21
	v_mul_f32_e32 v19, v155, v19
                                        ; implicit-def: $vgpr131
	s_delay_alu instid0(VALU_DEP_1) | instskip(NEXT) | instid1(VALU_DEP_1)
	v_and_b32_e32 v35, 0x7f800000, v19
	v_cmp_ne_u32_e64 s1, 0x7f800000, v35
	s_delay_alu instid0(VALU_DEP_1) | instskip(NEXT) | instid1(SALU_CYCLE_1)
	s_and_saveexec_b32 s21, s1
	s_xor_b32 s1, exec_lo, s21
; %bb.925:                              ;   in Loop: Header=BB442_13 Depth=1
	v_bfe_u32 v35, v19, 16, 1
	s_delay_alu instid0(VALU_DEP_1)
	v_add3_u32 v131, v19, v35, 0x7fff
                                        ; implicit-def: $vgpr19
; %bb.926:                              ;   in Loop: Header=BB442_13 Depth=1
	s_and_not1_saveexec_b32 s21, s1
; %bb.927:                              ;   in Loop: Header=BB442_13 Depth=1
	v_and_b32_e32 v35, 0xffff, v19
	v_or_b32_e32 v36, 0x10000, v19
	s_delay_alu instid0(VALU_DEP_2) | instskip(NEXT) | instid1(VALU_DEP_1)
	v_cmp_eq_u32_e64 s1, 0, v35
	v_cndmask_b32_e64 v131, v36, v19, s1
; %bb.928:                              ;   in Loop: Header=BB442_13 Depth=1
	s_or_b32 exec_lo, exec_lo, s21
	v_dual_mov_b32 v19, v34 :: v_dual_and_b32 v36, 0xff, v34
	v_mov_b32_e32 v35, 0
	s_mov_b32 s21, exec_lo
	s_delay_alu instid0(VALU_DEP_2)
	v_cmpx_ne_u16_e32 0, v36
	s_cbranch_execz .LBB442_936
; %bb.929:                              ;   in Loop: Header=BB442_13 Depth=1
	v_bfrev_b32_e32 v35, 1
	s_mov_b32 s22, exec_lo
	v_cmpx_ne_u16_e32 0x80, v36
	s_cbranch_execz .LBB442_935
; %bb.930:                              ;   in Loop: Header=BB442_13 Depth=1
	v_and_b32_e32 v36, 0x7f, v34
	v_mov_b32_e32 v35, 0x7f800001
	s_mov_b32 s23, exec_lo
	s_delay_alu instid0(VALU_DEP_2)
	v_cmpx_ne_u32_e32 0x7f, v36
	s_cbranch_execz .LBB442_934
; %bb.931:                              ;   in Loop: Header=BB442_13 Depth=1
	v_lshrrev_b32_e32 v132, 3, v36
	v_cmp_gt_u32_e64 s1, 8, v36
	v_dual_mov_b32 v36, v20 :: v_dual_mov_b32 v35, v19
	s_delay_alu instid0(VALU_DEP_2)
	s_and_saveexec_b32 s24, s1
; %bb.932:                              ;   in Loop: Header=BB442_13 Depth=1
	v_and_b32_e32 v35, 7, v34
	s_delay_alu instid0(VALU_DEP_1) | instskip(NEXT) | instid1(VALU_DEP_1)
	v_clz_i32_u32_e32 v35, v35
	v_min_u32_e32 v132, 32, v35
	s_delay_alu instid0(VALU_DEP_1) | instskip(SKIP_1) | instid1(VALU_DEP_2)
	v_subrev_nc_u32_e32 v35, 28, v132
	v_sub_nc_u32_e32 v132, 29, v132
	v_lshlrev_b64 v[35:36], v35, v[19:20]
; %bb.933:                              ;   in Loop: Header=BB442_13 Depth=1
	s_or_b32 exec_lo, exec_lo, s24
	s_delay_alu instid0(VALU_DEP_1) | instskip(SKIP_2) | instid1(VALU_DEP_3)
	v_lshlrev_b32_e32 v35, 20, v35
	v_lshlrev_b32_e32 v36, 24, v19
	v_lshl_add_u32 v132, v132, 23, 0x3c000000
	v_and_b32_e32 v35, 0x700000, v35
	s_delay_alu instid0(VALU_DEP_3) | instskip(NEXT) | instid1(VALU_DEP_1)
	v_and_b32_e32 v36, 0x80000000, v36
	v_or3_b32 v35, v35, v36, v132
.LBB442_934:                            ;   in Loop: Header=BB442_13 Depth=1
	s_or_b32 exec_lo, exec_lo, s23
.LBB442_935:                            ;   in Loop: Header=BB442_13 Depth=1
	s_delay_alu instid0(SALU_CYCLE_1)
	s_or_b32 exec_lo, exec_lo, s22
.LBB442_936:                            ;   in Loop: Header=BB442_13 Depth=1
	s_delay_alu instid0(SALU_CYCLE_1) | instskip(NEXT) | instid1(VALU_DEP_1)
	s_or_b32 exec_lo, exec_lo, s21
	v_mul_f32_e32 v35, v155, v35
                                        ; implicit-def: $vgpr132
	s_delay_alu instid0(VALU_DEP_1) | instskip(NEXT) | instid1(VALU_DEP_1)
	v_and_b32_e32 v36, 0x7f800000, v35
	v_cmp_ne_u32_e64 s1, 0x7f800000, v36
	s_delay_alu instid0(VALU_DEP_1) | instskip(NEXT) | instid1(SALU_CYCLE_1)
	s_and_saveexec_b32 s21, s1
	s_xor_b32 s1, exec_lo, s21
; %bb.937:                              ;   in Loop: Header=BB442_13 Depth=1
	v_bfe_u32 v36, v35, 16, 1
	s_delay_alu instid0(VALU_DEP_1)
	v_add3_u32 v132, v35, v36, 0x7fff
                                        ; implicit-def: $vgpr35
; %bb.938:                              ;   in Loop: Header=BB442_13 Depth=1
	s_and_not1_saveexec_b32 s21, s1
; %bb.939:                              ;   in Loop: Header=BB442_13 Depth=1
	v_and_b32_e32 v36, 0xffff, v35
	v_or_b32_e32 v132, 0x10000, v35
	s_delay_alu instid0(VALU_DEP_2) | instskip(NEXT) | instid1(VALU_DEP_1)
	v_cmp_eq_u32_e64 s1, 0, v36
	v_cndmask_b32_e64 v132, v132, v35, s1
; %bb.940:                              ;   in Loop: Header=BB442_13 Depth=1
	s_or_b32 exec_lo, exec_lo, s21
	v_lshrrev_b16 v36, 8, v19
	v_mov_b32_e32 v35, 0
	s_mov_b32 s21, exec_lo
	s_delay_alu instid0(VALU_DEP_2)
	v_cmpx_ne_u16_e32 0, v36
	s_cbranch_execz .LBB442_948
; %bb.941:                              ;   in Loop: Header=BB442_13 Depth=1
	v_bfrev_b32_e32 v35, 1
	s_mov_b32 s22, exec_lo
	v_cmpx_ne_u16_e32 0x80, v36
	s_cbranch_execz .LBB442_947
; %bb.942:                              ;   in Loop: Header=BB442_13 Depth=1
	v_and_b32_e32 v36, 0xffff, v36
	v_mov_b32_e32 v35, 0x7f800001
	s_mov_b32 s23, exec_lo
	s_delay_alu instid0(VALU_DEP_2) | instskip(NEXT) | instid1(VALU_DEP_1)
	v_and_b32_e32 v134, 0x7f, v36
	v_cmpx_ne_u32_e32 0x7f, v134
	s_cbranch_execz .LBB442_946
; %bb.943:                              ;   in Loop: Header=BB442_13 Depth=1
	v_dual_mov_b32 v36, v20 :: v_dual_and_b32 v35, 7, v36
	v_lshrrev_b32_e32 v133, 3, v134
	s_mov_b32 s24, exec_lo
	v_cmpx_gt_u32_e32 8, v134
; %bb.944:                              ;   in Loop: Header=BB442_13 Depth=1
	s_delay_alu instid0(VALU_DEP_3) | instskip(NEXT) | instid1(VALU_DEP_1)
	v_clz_i32_u32_e32 v133, v35
	v_min_u32_e32 v133, 32, v133
	s_delay_alu instid0(VALU_DEP_1) | instskip(SKIP_1) | instid1(VALU_DEP_2)
	v_subrev_nc_u32_e32 v134, 28, v133
	v_sub_nc_u32_e32 v133, 29, v133
	v_lshlrev_b64 v[35:36], v134, v[35:36]
	s_delay_alu instid0(VALU_DEP_1)
	v_and_b32_e32 v35, 7, v35
; %bb.945:                              ;   in Loop: Header=BB442_13 Depth=1
	s_or_b32 exec_lo, exec_lo, s24
	v_lshlrev_b32_e32 v19, 16, v19
	s_delay_alu instid0(VALU_DEP_2) | instskip(SKIP_1) | instid1(VALU_DEP_3)
	v_lshlrev_b32_e32 v35, 20, v35
	v_lshl_add_u32 v36, v133, 23, 0x3c000000
	v_and_b32_e32 v19, 0x80000000, v19
	s_delay_alu instid0(VALU_DEP_1)
	v_or3_b32 v35, v35, v19, v36
.LBB442_946:                            ;   in Loop: Header=BB442_13 Depth=1
	s_or_b32 exec_lo, exec_lo, s23
.LBB442_947:                            ;   in Loop: Header=BB442_13 Depth=1
	s_delay_alu instid0(SALU_CYCLE_1)
	s_or_b32 exec_lo, exec_lo, s22
.LBB442_948:                            ;   in Loop: Header=BB442_13 Depth=1
	s_delay_alu instid0(SALU_CYCLE_1) | instskip(NEXT) | instid1(VALU_DEP_1)
	s_or_b32 exec_lo, exec_lo, s21
	v_mul_f32_e32 v19, v155, v35
                                        ; implicit-def: $vgpr133
	s_delay_alu instid0(VALU_DEP_1) | instskip(NEXT) | instid1(VALU_DEP_1)
	v_and_b32_e32 v35, 0x7f800000, v19
	v_cmp_ne_u32_e64 s1, 0x7f800000, v35
	s_delay_alu instid0(VALU_DEP_1) | instskip(NEXT) | instid1(SALU_CYCLE_1)
	s_and_saveexec_b32 s21, s1
	s_xor_b32 s1, exec_lo, s21
; %bb.949:                              ;   in Loop: Header=BB442_13 Depth=1
	v_bfe_u32 v35, v19, 16, 1
	s_delay_alu instid0(VALU_DEP_1)
	v_add3_u32 v133, v19, v35, 0x7fff
                                        ; implicit-def: $vgpr19
; %bb.950:                              ;   in Loop: Header=BB442_13 Depth=1
	s_and_not1_saveexec_b32 s21, s1
; %bb.951:                              ;   in Loop: Header=BB442_13 Depth=1
	v_and_b32_e32 v35, 0xffff, v19
	v_or_b32_e32 v36, 0x10000, v19
	s_delay_alu instid0(VALU_DEP_2) | instskip(NEXT) | instid1(VALU_DEP_1)
	v_cmp_eq_u32_e64 s1, 0, v35
	v_cndmask_b32_e64 v133, v36, v19, s1
; %bb.952:                              ;   in Loop: Header=BB442_13 Depth=1
	s_or_b32 exec_lo, exec_lo, s21
	v_lshrrev_b32_e32 v134, 16, v34
	v_mov_b32_e32 v19, 0
	s_mov_b32 s21, exec_lo
	s_delay_alu instid0(VALU_DEP_2) | instskip(NEXT) | instid1(VALU_DEP_1)
	v_and_b32_e32 v35, 0xff, v134
	v_cmpx_ne_u16_e32 0, v35
	s_cbranch_execz .LBB442_960
; %bb.953:                              ;   in Loop: Header=BB442_13 Depth=1
	v_bfrev_b32_e32 v19, 1
	s_mov_b32 s22, exec_lo
	v_cmpx_ne_u16_e32 0x80, v35
	s_cbranch_execz .LBB442_959
; %bb.954:                              ;   in Loop: Header=BB442_13 Depth=1
	v_bfe_u32 v35, v34, 16, 7
	v_mov_b32_e32 v19, 0x7f800001
	s_mov_b32 s23, exec_lo
	s_delay_alu instid0(VALU_DEP_2)
	v_cmpx_ne_u32_e32 0x7f, v35
	s_cbranch_execz .LBB442_958
; %bb.955:                              ;   in Loop: Header=BB442_13 Depth=1
	v_and_b32_e32 v19, 7, v134
	v_lshrrev_b32_e32 v135, 3, v35
	v_cmp_gt_u32_e64 s1, 8, v35
	s_delay_alu instid0(VALU_DEP_3) | instskip(NEXT) | instid1(VALU_DEP_2)
	v_dual_mov_b32 v36, v20 :: v_dual_mov_b32 v35, v19
	s_and_saveexec_b32 s24, s1
; %bb.956:                              ;   in Loop: Header=BB442_13 Depth=1
	v_clz_i32_u32_e32 v35, v19
	s_delay_alu instid0(VALU_DEP_1) | instskip(NEXT) | instid1(VALU_DEP_1)
	v_min_u32_e32 v135, 32, v35
	v_subrev_nc_u32_e32 v35, 28, v135
	v_sub_nc_u32_e32 v135, 29, v135
	s_delay_alu instid0(VALU_DEP_2) | instskip(NEXT) | instid1(VALU_DEP_1)
	v_lshlrev_b64 v[35:36], v35, v[19:20]
	v_and_b32_e32 v35, 7, v35
; %bb.957:                              ;   in Loop: Header=BB442_13 Depth=1
	s_or_b32 exec_lo, exec_lo, s24
	v_lshlrev_b32_e32 v19, 24, v134
	s_delay_alu instid0(VALU_DEP_2) | instskip(SKIP_1) | instid1(VALU_DEP_3)
	v_lshlrev_b32_e32 v35, 20, v35
	v_lshl_add_u32 v36, v135, 23, 0x3c000000
	v_and_b32_e32 v19, 0x80000000, v19
	s_delay_alu instid0(VALU_DEP_1)
	v_or3_b32 v19, v35, v19, v36
.LBB442_958:                            ;   in Loop: Header=BB442_13 Depth=1
	s_or_b32 exec_lo, exec_lo, s23
.LBB442_959:                            ;   in Loop: Header=BB442_13 Depth=1
	s_delay_alu instid0(SALU_CYCLE_1)
	s_or_b32 exec_lo, exec_lo, s22
.LBB442_960:                            ;   in Loop: Header=BB442_13 Depth=1
	s_delay_alu instid0(SALU_CYCLE_1) | instskip(NEXT) | instid1(VALU_DEP_1)
	s_or_b32 exec_lo, exec_lo, s21
	v_mul_f32_e32 v19, v155, v19
                                        ; implicit-def: $vgpr134
	s_delay_alu instid0(VALU_DEP_1) | instskip(NEXT) | instid1(VALU_DEP_1)
	v_and_b32_e32 v35, 0x7f800000, v19
	v_cmp_ne_u32_e64 s1, 0x7f800000, v35
	s_delay_alu instid0(VALU_DEP_1) | instskip(NEXT) | instid1(SALU_CYCLE_1)
	s_and_saveexec_b32 s21, s1
	s_xor_b32 s1, exec_lo, s21
; %bb.961:                              ;   in Loop: Header=BB442_13 Depth=1
	v_bfe_u32 v35, v19, 16, 1
	s_delay_alu instid0(VALU_DEP_1)
	v_add3_u32 v134, v19, v35, 0x7fff
                                        ; implicit-def: $vgpr19
; %bb.962:                              ;   in Loop: Header=BB442_13 Depth=1
	s_and_not1_saveexec_b32 s21, s1
; %bb.963:                              ;   in Loop: Header=BB442_13 Depth=1
	v_and_b32_e32 v35, 0xffff, v19
	v_or_b32_e32 v36, 0x10000, v19
	s_delay_alu instid0(VALU_DEP_2) | instskip(NEXT) | instid1(VALU_DEP_1)
	v_cmp_eq_u32_e64 s1, 0, v35
	v_cndmask_b32_e64 v134, v36, v19, s1
; %bb.964:                              ;   in Loop: Header=BB442_13 Depth=1
	s_or_b32 exec_lo, exec_lo, s21
	v_mov_b32_e32 v19, 0
	s_mov_b32 s21, exec_lo
	v_cmpx_lt_u64_e64 s[16:17], v[33:34]
	s_cbranch_execz .LBB442_972
; %bb.965:                              ;   in Loop: Header=BB442_13 Depth=1
	v_lshrrev_b32_e32 v35, 24, v34
	v_bfrev_b32_e32 v19, 1
	s_mov_b32 s22, exec_lo
	s_delay_alu instid0(VALU_DEP_2)
	v_cmpx_ne_u32_e32 0x80, v35
	s_cbranch_execz .LBB442_971
; %bb.966:                              ;   in Loop: Header=BB442_13 Depth=1
	v_bfe_u32 v33, v34, 24, 7
	v_mov_b32_e32 v19, 0x7f800001
	s_mov_b32 s23, exec_lo
	s_delay_alu instid0(VALU_DEP_2)
	v_cmpx_ne_u32_e32 0x7f, v33
	s_cbranch_execz .LBB442_970
; %bb.967:                              ;   in Loop: Header=BB442_13 Depth=1
	v_and_b32_e32 v19, 7, v35
	v_lshrrev_b32_e32 v36, 3, v33
	v_cmp_gt_u32_e64 s1, 8, v33
	s_delay_alu instid0(VALU_DEP_3) | instskip(NEXT) | instid1(VALU_DEP_2)
	v_dual_mov_b32 v34, v20 :: v_dual_mov_b32 v33, v19
	s_and_saveexec_b32 s24, s1
; %bb.968:                              ;   in Loop: Header=BB442_13 Depth=1
	v_clz_i32_u32_e32 v33, v19
	s_delay_alu instid0(VALU_DEP_1) | instskip(NEXT) | instid1(VALU_DEP_1)
	v_min_u32_e32 v36, 32, v33
	v_subrev_nc_u32_e32 v33, 28, v36
	v_sub_nc_u32_e32 v36, 29, v36
	s_delay_alu instid0(VALU_DEP_2) | instskip(NEXT) | instid1(VALU_DEP_1)
	v_lshlrev_b64 v[33:34], v33, v[19:20]
	v_and_b32_e32 v33, 7, v33
; %bb.969:                              ;   in Loop: Header=BB442_13 Depth=1
	s_or_b32 exec_lo, exec_lo, s24
	v_lshlrev_b32_e32 v19, 24, v35
	s_delay_alu instid0(VALU_DEP_2) | instskip(SKIP_1) | instid1(VALU_DEP_3)
	v_lshlrev_b32_e32 v33, 20, v33
	v_lshl_add_u32 v34, v36, 23, 0x3c000000
	v_and_b32_e32 v19, 0x80000000, v19
	s_delay_alu instid0(VALU_DEP_1)
	v_or3_b32 v19, v33, v19, v34
.LBB442_970:                            ;   in Loop: Header=BB442_13 Depth=1
	s_or_b32 exec_lo, exec_lo, s23
.LBB442_971:                            ;   in Loop: Header=BB442_13 Depth=1
	s_delay_alu instid0(SALU_CYCLE_1)
	s_or_b32 exec_lo, exec_lo, s22
.LBB442_972:                            ;   in Loop: Header=BB442_13 Depth=1
	s_delay_alu instid0(SALU_CYCLE_1) | instskip(NEXT) | instid1(VALU_DEP_1)
	s_or_b32 exec_lo, exec_lo, s21
	v_mul_f32_e32 v19, v155, v19
                                        ; implicit-def: $vgpr135
	s_delay_alu instid0(VALU_DEP_1) | instskip(NEXT) | instid1(VALU_DEP_1)
	v_and_b32_e32 v33, 0x7f800000, v19
	v_cmp_ne_u32_e64 s1, 0x7f800000, v33
	s_delay_alu instid0(VALU_DEP_1) | instskip(NEXT) | instid1(SALU_CYCLE_1)
	s_and_saveexec_b32 s21, s1
	s_xor_b32 s1, exec_lo, s21
; %bb.973:                              ;   in Loop: Header=BB442_13 Depth=1
	v_bfe_u32 v33, v19, 16, 1
	s_delay_alu instid0(VALU_DEP_1)
	v_add3_u32 v135, v19, v33, 0x7fff
                                        ; implicit-def: $vgpr19
; %bb.974:                              ;   in Loop: Header=BB442_13 Depth=1
	s_and_not1_saveexec_b32 s21, s1
; %bb.975:                              ;   in Loop: Header=BB442_13 Depth=1
	v_and_b32_e32 v33, 0xffff, v19
	v_or_b32_e32 v34, 0x10000, v19
	s_delay_alu instid0(VALU_DEP_2) | instskip(NEXT) | instid1(VALU_DEP_1)
	v_cmp_eq_u32_e64 s1, 0, v33
	v_cndmask_b32_e64 v135, v34, v19, s1
; %bb.976:                              ;   in Loop: Header=BB442_13 Depth=1
	s_or_b32 exec_lo, exec_lo, s21
	flat_load_b64 v[33:34], v[31:32] offset:2560
	v_mov_b32_e32 v19, 0
	s_mov_b32 s21, exec_lo
	s_waitcnt vmcnt(0) lgkmcnt(0)
	v_and_b32_e32 v35, 0xff, v33
	s_delay_alu instid0(VALU_DEP_1)
	v_cmpx_ne_u16_e32 0, v35
	s_cbranch_execz .LBB442_984
; %bb.977:                              ;   in Loop: Header=BB442_13 Depth=1
	v_bfrev_b32_e32 v19, 1
	s_mov_b32 s22, exec_lo
	v_cmpx_ne_u16_e32 0x80, v35
	s_cbranch_execz .LBB442_983
; %bb.978:                              ;   in Loop: Header=BB442_13 Depth=1
	v_and_b32_e32 v35, 0x7f, v33
	v_mov_b32_e32 v19, 0x7f800001
	s_mov_b32 s23, exec_lo
	s_delay_alu instid0(VALU_DEP_2)
	v_cmpx_ne_u32_e32 0x7f, v35
	s_cbranch_execz .LBB442_982
; %bb.979:                              ;   in Loop: Header=BB442_13 Depth=1
	v_lshrrev_b32_e32 v19, 3, v35
	v_cmp_gt_u32_e64 s1, 8, v35
	v_dual_mov_b32 v36, v34 :: v_dual_mov_b32 v35, v33
	s_delay_alu instid0(VALU_DEP_2)
	s_and_saveexec_b32 s24, s1
; %bb.980:                              ;   in Loop: Header=BB442_13 Depth=1
	v_and_b32_e32 v19, 7, v33
	s_delay_alu instid0(VALU_DEP_1) | instskip(NEXT) | instid1(VALU_DEP_1)
	v_clz_i32_u32_e32 v19, v19
	v_min_u32_e32 v19, 32, v19
	s_delay_alu instid0(VALU_DEP_1) | instskip(SKIP_1) | instid1(VALU_DEP_2)
	v_subrev_nc_u32_e32 v35, 28, v19
	v_sub_nc_u32_e32 v19, 29, v19
	v_lshlrev_b64 v[35:36], v35, v[33:34]
; %bb.981:                              ;   in Loop: Header=BB442_13 Depth=1
	s_or_b32 exec_lo, exec_lo, s24
	s_delay_alu instid0(VALU_DEP_1) | instskip(SKIP_2) | instid1(VALU_DEP_3)
	v_lshlrev_b32_e32 v35, 20, v35
	v_lshlrev_b32_e32 v36, 24, v33
	v_lshl_add_u32 v19, v19, 23, 0x3c000000
	v_and_b32_e32 v35, 0x700000, v35
	s_delay_alu instid0(VALU_DEP_3) | instskip(NEXT) | instid1(VALU_DEP_1)
	v_and_b32_e32 v36, 0x80000000, v36
	v_or3_b32 v19, v35, v36, v19
.LBB442_982:                            ;   in Loop: Header=BB442_13 Depth=1
	s_or_b32 exec_lo, exec_lo, s23
.LBB442_983:                            ;   in Loop: Header=BB442_13 Depth=1
	s_delay_alu instid0(SALU_CYCLE_1)
	s_or_b32 exec_lo, exec_lo, s22
.LBB442_984:                            ;   in Loop: Header=BB442_13 Depth=1
	s_delay_alu instid0(SALU_CYCLE_1) | instskip(NEXT) | instid1(VALU_DEP_1)
	s_or_b32 exec_lo, exec_lo, s21
	v_mul_f32_e32 v19, v155, v19
                                        ; implicit-def: $vgpr144
	s_delay_alu instid0(VALU_DEP_1) | instskip(NEXT) | instid1(VALU_DEP_1)
	v_and_b32_e32 v35, 0x7f800000, v19
	v_cmp_ne_u32_e64 s1, 0x7f800000, v35
	s_delay_alu instid0(VALU_DEP_1) | instskip(NEXT) | instid1(SALU_CYCLE_1)
	s_and_saveexec_b32 s21, s1
	s_xor_b32 s1, exec_lo, s21
; %bb.985:                              ;   in Loop: Header=BB442_13 Depth=1
	v_bfe_u32 v35, v19, 16, 1
	s_delay_alu instid0(VALU_DEP_1)
	v_add3_u32 v144, v19, v35, 0x7fff
                                        ; implicit-def: $vgpr19
; %bb.986:                              ;   in Loop: Header=BB442_13 Depth=1
	s_and_not1_saveexec_b32 s21, s1
; %bb.987:                              ;   in Loop: Header=BB442_13 Depth=1
	v_and_b32_e32 v35, 0xffff, v19
	v_or_b32_e32 v36, 0x10000, v19
	s_delay_alu instid0(VALU_DEP_2) | instskip(NEXT) | instid1(VALU_DEP_1)
	v_cmp_eq_u32_e64 s1, 0, v35
	v_cndmask_b32_e64 v144, v36, v19, s1
; %bb.988:                              ;   in Loop: Header=BB442_13 Depth=1
	s_or_b32 exec_lo, exec_lo, s21
	v_lshrrev_b16 v35, 8, v33
	v_mov_b32_e32 v19, 0
	s_mov_b32 s21, exec_lo
	s_delay_alu instid0(VALU_DEP_2)
	v_cmpx_ne_u16_e32 0, v35
	s_cbranch_execz .LBB442_996
; %bb.989:                              ;   in Loop: Header=BB442_13 Depth=1
	v_bfrev_b32_e32 v19, 1
	s_mov_b32 s22, exec_lo
	v_cmpx_ne_u16_e32 0x80, v35
	s_cbranch_execz .LBB442_995
; %bb.990:                              ;   in Loop: Header=BB442_13 Depth=1
	v_and_b32_e32 v36, 0xffff, v35
	v_mov_b32_e32 v19, 0x7f800001
	s_mov_b32 s23, exec_lo
	s_delay_alu instid0(VALU_DEP_2) | instskip(NEXT) | instid1(VALU_DEP_1)
	v_and_b32_e32 v35, 0x7f, v36
	v_cmpx_ne_u32_e32 0x7f, v35
	s_cbranch_execz .LBB442_994
; %bb.991:                              ;   in Loop: Header=BB442_13 Depth=1
	v_and_b32_e32 v19, 7, v36
	v_lshrrev_b32_e32 v145, 3, v35
	v_cmp_gt_u32_e64 s1, 8, v35
	s_delay_alu instid0(VALU_DEP_3) | instskip(NEXT) | instid1(VALU_DEP_2)
	v_dual_mov_b32 v36, v20 :: v_dual_mov_b32 v35, v19
	s_and_saveexec_b32 s24, s1
; %bb.992:                              ;   in Loop: Header=BB442_13 Depth=1
	v_clz_i32_u32_e32 v35, v19
	s_delay_alu instid0(VALU_DEP_1) | instskip(NEXT) | instid1(VALU_DEP_1)
	v_min_u32_e32 v145, 32, v35
	v_subrev_nc_u32_e32 v35, 28, v145
	v_sub_nc_u32_e32 v145, 29, v145
	s_delay_alu instid0(VALU_DEP_2) | instskip(NEXT) | instid1(VALU_DEP_1)
	v_lshlrev_b64 v[35:36], v35, v[19:20]
	v_and_b32_e32 v35, 7, v35
; %bb.993:                              ;   in Loop: Header=BB442_13 Depth=1
	s_or_b32 exec_lo, exec_lo, s24
	v_lshlrev_b32_e32 v19, 16, v33
	s_delay_alu instid0(VALU_DEP_2) | instskip(SKIP_1) | instid1(VALU_DEP_3)
	v_lshlrev_b32_e32 v35, 20, v35
	v_lshl_add_u32 v36, v145, 23, 0x3c000000
	v_and_b32_e32 v19, 0x80000000, v19
	s_delay_alu instid0(VALU_DEP_1)
	v_or3_b32 v19, v35, v19, v36
.LBB442_994:                            ;   in Loop: Header=BB442_13 Depth=1
	s_or_b32 exec_lo, exec_lo, s23
.LBB442_995:                            ;   in Loop: Header=BB442_13 Depth=1
	s_delay_alu instid0(SALU_CYCLE_1)
	s_or_b32 exec_lo, exec_lo, s22
.LBB442_996:                            ;   in Loop: Header=BB442_13 Depth=1
	s_delay_alu instid0(SALU_CYCLE_1) | instskip(NEXT) | instid1(VALU_DEP_1)
	s_or_b32 exec_lo, exec_lo, s21
	v_mul_f32_e32 v19, v155, v19
                                        ; implicit-def: $vgpr145
	s_delay_alu instid0(VALU_DEP_1) | instskip(NEXT) | instid1(VALU_DEP_1)
	v_and_b32_e32 v35, 0x7f800000, v19
	v_cmp_ne_u32_e64 s1, 0x7f800000, v35
	s_delay_alu instid0(VALU_DEP_1) | instskip(NEXT) | instid1(SALU_CYCLE_1)
	s_and_saveexec_b32 s21, s1
	s_xor_b32 s1, exec_lo, s21
; %bb.997:                              ;   in Loop: Header=BB442_13 Depth=1
	v_bfe_u32 v35, v19, 16, 1
	s_delay_alu instid0(VALU_DEP_1)
	v_add3_u32 v145, v19, v35, 0x7fff
                                        ; implicit-def: $vgpr19
; %bb.998:                              ;   in Loop: Header=BB442_13 Depth=1
	s_and_not1_saveexec_b32 s21, s1
; %bb.999:                              ;   in Loop: Header=BB442_13 Depth=1
	v_and_b32_e32 v35, 0xffff, v19
	v_or_b32_e32 v36, 0x10000, v19
	s_delay_alu instid0(VALU_DEP_2) | instskip(NEXT) | instid1(VALU_DEP_1)
	v_cmp_eq_u32_e64 s1, 0, v35
	v_cndmask_b32_e64 v145, v36, v19, s1
; %bb.1000:                             ;   in Loop: Header=BB442_13 Depth=1
	s_or_b32 exec_lo, exec_lo, s21
	v_lshrrev_b32_e32 v146, 16, v33
	v_mov_b32_e32 v19, 0
	s_mov_b32 s21, exec_lo
	s_delay_alu instid0(VALU_DEP_2) | instskip(NEXT) | instid1(VALU_DEP_1)
	v_and_b32_e32 v35, 0xff, v146
	v_cmpx_ne_u16_e32 0, v35
	s_cbranch_execz .LBB442_1008
; %bb.1001:                             ;   in Loop: Header=BB442_13 Depth=1
	v_bfrev_b32_e32 v19, 1
	s_mov_b32 s22, exec_lo
	v_cmpx_ne_u16_e32 0x80, v35
	s_cbranch_execz .LBB442_1007
; %bb.1002:                             ;   in Loop: Header=BB442_13 Depth=1
	v_bfe_u32 v35, v33, 16, 7
	v_mov_b32_e32 v19, 0x7f800001
	s_mov_b32 s23, exec_lo
	s_delay_alu instid0(VALU_DEP_2)
	v_cmpx_ne_u32_e32 0x7f, v35
	s_cbranch_execz .LBB442_1006
; %bb.1003:                             ;   in Loop: Header=BB442_13 Depth=1
	v_and_b32_e32 v19, 7, v146
	v_lshrrev_b32_e32 v147, 3, v35
	v_cmp_gt_u32_e64 s1, 8, v35
	s_delay_alu instid0(VALU_DEP_3) | instskip(NEXT) | instid1(VALU_DEP_2)
	v_dual_mov_b32 v36, v20 :: v_dual_mov_b32 v35, v19
	s_and_saveexec_b32 s24, s1
; %bb.1004:                             ;   in Loop: Header=BB442_13 Depth=1
	v_clz_i32_u32_e32 v35, v19
	s_delay_alu instid0(VALU_DEP_1) | instskip(NEXT) | instid1(VALU_DEP_1)
	v_min_u32_e32 v147, 32, v35
	v_subrev_nc_u32_e32 v35, 28, v147
	v_sub_nc_u32_e32 v147, 29, v147
	s_delay_alu instid0(VALU_DEP_2) | instskip(NEXT) | instid1(VALU_DEP_1)
	v_lshlrev_b64 v[35:36], v35, v[19:20]
	v_and_b32_e32 v35, 7, v35
; %bb.1005:                             ;   in Loop: Header=BB442_13 Depth=1
	s_or_b32 exec_lo, exec_lo, s24
	v_lshlrev_b32_e32 v19, 24, v146
	s_delay_alu instid0(VALU_DEP_2) | instskip(SKIP_1) | instid1(VALU_DEP_3)
	v_lshlrev_b32_e32 v35, 20, v35
	v_lshl_add_u32 v36, v147, 23, 0x3c000000
	v_and_b32_e32 v19, 0x80000000, v19
	s_delay_alu instid0(VALU_DEP_1)
	v_or3_b32 v19, v35, v19, v36
.LBB442_1006:                           ;   in Loop: Header=BB442_13 Depth=1
	s_or_b32 exec_lo, exec_lo, s23
.LBB442_1007:                           ;   in Loop: Header=BB442_13 Depth=1
	s_delay_alu instid0(SALU_CYCLE_1)
	s_or_b32 exec_lo, exec_lo, s22
.LBB442_1008:                           ;   in Loop: Header=BB442_13 Depth=1
	s_delay_alu instid0(SALU_CYCLE_1) | instskip(NEXT) | instid1(VALU_DEP_1)
	s_or_b32 exec_lo, exec_lo, s21
	v_mul_f32_e32 v19, v155, v19
                                        ; implicit-def: $vgpr146
	s_delay_alu instid0(VALU_DEP_1) | instskip(NEXT) | instid1(VALU_DEP_1)
	v_and_b32_e32 v35, 0x7f800000, v19
	v_cmp_ne_u32_e64 s1, 0x7f800000, v35
	s_delay_alu instid0(VALU_DEP_1) | instskip(NEXT) | instid1(SALU_CYCLE_1)
	s_and_saveexec_b32 s21, s1
	s_xor_b32 s1, exec_lo, s21
; %bb.1009:                             ;   in Loop: Header=BB442_13 Depth=1
	v_bfe_u32 v35, v19, 16, 1
	s_delay_alu instid0(VALU_DEP_1)
	v_add3_u32 v146, v19, v35, 0x7fff
                                        ; implicit-def: $vgpr19
; %bb.1010:                             ;   in Loop: Header=BB442_13 Depth=1
	s_and_not1_saveexec_b32 s21, s1
; %bb.1011:                             ;   in Loop: Header=BB442_13 Depth=1
	v_and_b32_e32 v35, 0xffff, v19
	v_or_b32_e32 v36, 0x10000, v19
	s_delay_alu instid0(VALU_DEP_2) | instskip(NEXT) | instid1(VALU_DEP_1)
	v_cmp_eq_u32_e64 s1, 0, v35
	v_cndmask_b32_e64 v146, v36, v19, s1
; %bb.1012:                             ;   in Loop: Header=BB442_13 Depth=1
	s_or_b32 exec_lo, exec_lo, s21
	v_mov_b32_e32 v19, 0
	s_mov_b32 s21, exec_lo
	v_cmpx_lt_u32_e32 0xffffff, v33
	s_cbranch_execz .LBB442_1020
; %bb.1013:                             ;   in Loop: Header=BB442_13 Depth=1
	v_lshrrev_b32_e32 v147, 24, v33
	v_bfrev_b32_e32 v19, 1
	s_mov_b32 s22, exec_lo
	s_delay_alu instid0(VALU_DEP_2)
	v_cmpx_ne_u32_e32 0x80, v147
	s_cbranch_execz .LBB442_1019
; %bb.1014:                             ;   in Loop: Header=BB442_13 Depth=1
	v_bfe_u32 v35, v33, 24, 7
	v_mov_b32_e32 v19, 0x7f800001
	s_mov_b32 s23, exec_lo
	s_delay_alu instid0(VALU_DEP_2)
	v_cmpx_ne_u32_e32 0x7f, v35
	s_cbranch_execz .LBB442_1018
; %bb.1015:                             ;   in Loop: Header=BB442_13 Depth=1
	v_and_b32_e32 v19, 7, v147
	v_lshrrev_b32_e32 v148, 3, v35
	v_cmp_gt_u32_e64 s1, 8, v35
	s_delay_alu instid0(VALU_DEP_3) | instskip(NEXT) | instid1(VALU_DEP_2)
	v_dual_mov_b32 v36, v20 :: v_dual_mov_b32 v35, v19
	s_and_saveexec_b32 s24, s1
; %bb.1016:                             ;   in Loop: Header=BB442_13 Depth=1
	v_clz_i32_u32_e32 v35, v19
	s_delay_alu instid0(VALU_DEP_1) | instskip(NEXT) | instid1(VALU_DEP_1)
	v_min_u32_e32 v148, 32, v35
	v_subrev_nc_u32_e32 v35, 28, v148
	v_sub_nc_u32_e32 v148, 29, v148
	s_delay_alu instid0(VALU_DEP_2) | instskip(NEXT) | instid1(VALU_DEP_1)
	v_lshlrev_b64 v[35:36], v35, v[19:20]
	v_and_b32_e32 v35, 7, v35
; %bb.1017:                             ;   in Loop: Header=BB442_13 Depth=1
	s_or_b32 exec_lo, exec_lo, s24
	v_lshlrev_b32_e32 v19, 24, v147
	s_delay_alu instid0(VALU_DEP_2) | instskip(SKIP_1) | instid1(VALU_DEP_3)
	v_lshlrev_b32_e32 v35, 20, v35
	v_lshl_add_u32 v36, v148, 23, 0x3c000000
	v_and_b32_e32 v19, 0x80000000, v19
	s_delay_alu instid0(VALU_DEP_1)
	v_or3_b32 v19, v35, v19, v36
.LBB442_1018:                           ;   in Loop: Header=BB442_13 Depth=1
	s_or_b32 exec_lo, exec_lo, s23
.LBB442_1019:                           ;   in Loop: Header=BB442_13 Depth=1
	s_delay_alu instid0(SALU_CYCLE_1)
	s_or_b32 exec_lo, exec_lo, s22
.LBB442_1020:                           ;   in Loop: Header=BB442_13 Depth=1
	s_delay_alu instid0(SALU_CYCLE_1) | instskip(NEXT) | instid1(VALU_DEP_1)
	s_or_b32 exec_lo, exec_lo, s21
	v_mul_f32_e32 v19, v155, v19
                                        ; implicit-def: $vgpr147
	s_delay_alu instid0(VALU_DEP_1) | instskip(NEXT) | instid1(VALU_DEP_1)
	v_and_b32_e32 v35, 0x7f800000, v19
	v_cmp_ne_u32_e64 s1, 0x7f800000, v35
	s_delay_alu instid0(VALU_DEP_1) | instskip(NEXT) | instid1(SALU_CYCLE_1)
	s_and_saveexec_b32 s21, s1
	s_xor_b32 s1, exec_lo, s21
; %bb.1021:                             ;   in Loop: Header=BB442_13 Depth=1
	v_bfe_u32 v35, v19, 16, 1
	s_delay_alu instid0(VALU_DEP_1)
	v_add3_u32 v147, v19, v35, 0x7fff
                                        ; implicit-def: $vgpr19
; %bb.1022:                             ;   in Loop: Header=BB442_13 Depth=1
	s_and_not1_saveexec_b32 s21, s1
; %bb.1023:                             ;   in Loop: Header=BB442_13 Depth=1
	v_and_b32_e32 v35, 0xffff, v19
	v_or_b32_e32 v36, 0x10000, v19
	s_delay_alu instid0(VALU_DEP_2) | instskip(NEXT) | instid1(VALU_DEP_1)
	v_cmp_eq_u32_e64 s1, 0, v35
	v_cndmask_b32_e64 v147, v36, v19, s1
; %bb.1024:                             ;   in Loop: Header=BB442_13 Depth=1
	s_or_b32 exec_lo, exec_lo, s21
	v_dual_mov_b32 v19, v34 :: v_dual_and_b32 v36, 0xff, v34
	v_mov_b32_e32 v35, 0
	s_mov_b32 s21, exec_lo
	s_delay_alu instid0(VALU_DEP_2)
	v_cmpx_ne_u16_e32 0, v36
	s_cbranch_execz .LBB442_1032
; %bb.1025:                             ;   in Loop: Header=BB442_13 Depth=1
	v_bfrev_b32_e32 v35, 1
	s_mov_b32 s22, exec_lo
	v_cmpx_ne_u16_e32 0x80, v36
	s_cbranch_execz .LBB442_1031
; %bb.1026:                             ;   in Loop: Header=BB442_13 Depth=1
	v_and_b32_e32 v36, 0x7f, v34
	v_mov_b32_e32 v35, 0x7f800001
	s_mov_b32 s23, exec_lo
	s_delay_alu instid0(VALU_DEP_2)
	v_cmpx_ne_u32_e32 0x7f, v36
	s_cbranch_execz .LBB442_1030
; %bb.1027:                             ;   in Loop: Header=BB442_13 Depth=1
	v_lshrrev_b32_e32 v148, 3, v36
	v_cmp_gt_u32_e64 s1, 8, v36
	v_dual_mov_b32 v36, v20 :: v_dual_mov_b32 v35, v19
	s_delay_alu instid0(VALU_DEP_2)
	s_and_saveexec_b32 s24, s1
; %bb.1028:                             ;   in Loop: Header=BB442_13 Depth=1
	v_and_b32_e32 v35, 7, v34
	s_delay_alu instid0(VALU_DEP_1) | instskip(NEXT) | instid1(VALU_DEP_1)
	v_clz_i32_u32_e32 v35, v35
	v_min_u32_e32 v148, 32, v35
	s_delay_alu instid0(VALU_DEP_1) | instskip(SKIP_1) | instid1(VALU_DEP_2)
	v_subrev_nc_u32_e32 v35, 28, v148
	v_sub_nc_u32_e32 v148, 29, v148
	v_lshlrev_b64 v[35:36], v35, v[19:20]
; %bb.1029:                             ;   in Loop: Header=BB442_13 Depth=1
	s_or_b32 exec_lo, exec_lo, s24
	s_delay_alu instid0(VALU_DEP_1) | instskip(SKIP_2) | instid1(VALU_DEP_3)
	v_lshlrev_b32_e32 v35, 20, v35
	v_lshlrev_b32_e32 v36, 24, v19
	v_lshl_add_u32 v148, v148, 23, 0x3c000000
	v_and_b32_e32 v35, 0x700000, v35
	s_delay_alu instid0(VALU_DEP_3) | instskip(NEXT) | instid1(VALU_DEP_1)
	v_and_b32_e32 v36, 0x80000000, v36
	v_or3_b32 v35, v35, v36, v148
.LBB442_1030:                           ;   in Loop: Header=BB442_13 Depth=1
	s_or_b32 exec_lo, exec_lo, s23
.LBB442_1031:                           ;   in Loop: Header=BB442_13 Depth=1
	s_delay_alu instid0(SALU_CYCLE_1)
	s_or_b32 exec_lo, exec_lo, s22
.LBB442_1032:                           ;   in Loop: Header=BB442_13 Depth=1
	s_delay_alu instid0(SALU_CYCLE_1) | instskip(NEXT) | instid1(VALU_DEP_1)
	s_or_b32 exec_lo, exec_lo, s21
	v_mul_f32_e32 v35, v155, v35
                                        ; implicit-def: $vgpr148
	s_delay_alu instid0(VALU_DEP_1) | instskip(NEXT) | instid1(VALU_DEP_1)
	v_and_b32_e32 v36, 0x7f800000, v35
	v_cmp_ne_u32_e64 s1, 0x7f800000, v36
	s_delay_alu instid0(VALU_DEP_1) | instskip(NEXT) | instid1(SALU_CYCLE_1)
	s_and_saveexec_b32 s21, s1
	s_xor_b32 s1, exec_lo, s21
; %bb.1033:                             ;   in Loop: Header=BB442_13 Depth=1
	v_bfe_u32 v36, v35, 16, 1
	s_delay_alu instid0(VALU_DEP_1)
	v_add3_u32 v148, v35, v36, 0x7fff
                                        ; implicit-def: $vgpr35
; %bb.1034:                             ;   in Loop: Header=BB442_13 Depth=1
	s_and_not1_saveexec_b32 s21, s1
; %bb.1035:                             ;   in Loop: Header=BB442_13 Depth=1
	v_and_b32_e32 v36, 0xffff, v35
	v_or_b32_e32 v148, 0x10000, v35
	s_delay_alu instid0(VALU_DEP_2) | instskip(NEXT) | instid1(VALU_DEP_1)
	v_cmp_eq_u32_e64 s1, 0, v36
	v_cndmask_b32_e64 v148, v148, v35, s1
; %bb.1036:                             ;   in Loop: Header=BB442_13 Depth=1
	s_or_b32 exec_lo, exec_lo, s21
	v_lshrrev_b16 v36, 8, v19
	v_mov_b32_e32 v35, 0
	s_mov_b32 s21, exec_lo
	s_delay_alu instid0(VALU_DEP_2)
	v_cmpx_ne_u16_e32 0, v36
	s_cbranch_execz .LBB442_1044
; %bb.1037:                             ;   in Loop: Header=BB442_13 Depth=1
	v_bfrev_b32_e32 v35, 1
	s_mov_b32 s22, exec_lo
	v_cmpx_ne_u16_e32 0x80, v36
	s_cbranch_execz .LBB442_1043
; %bb.1038:                             ;   in Loop: Header=BB442_13 Depth=1
	v_and_b32_e32 v36, 0xffff, v36
	v_mov_b32_e32 v35, 0x7f800001
	s_mov_b32 s23, exec_lo
	s_delay_alu instid0(VALU_DEP_2) | instskip(NEXT) | instid1(VALU_DEP_1)
	v_and_b32_e32 v150, 0x7f, v36
	v_cmpx_ne_u32_e32 0x7f, v150
	s_cbranch_execz .LBB442_1042
; %bb.1039:                             ;   in Loop: Header=BB442_13 Depth=1
	v_dual_mov_b32 v36, v20 :: v_dual_and_b32 v35, 7, v36
	v_lshrrev_b32_e32 v149, 3, v150
	s_mov_b32 s24, exec_lo
	v_cmpx_gt_u32_e32 8, v150
; %bb.1040:                             ;   in Loop: Header=BB442_13 Depth=1
	s_delay_alu instid0(VALU_DEP_3) | instskip(NEXT) | instid1(VALU_DEP_1)
	v_clz_i32_u32_e32 v149, v35
	v_min_u32_e32 v149, 32, v149
	s_delay_alu instid0(VALU_DEP_1) | instskip(SKIP_1) | instid1(VALU_DEP_2)
	v_subrev_nc_u32_e32 v150, 28, v149
	v_sub_nc_u32_e32 v149, 29, v149
	v_lshlrev_b64 v[35:36], v150, v[35:36]
	s_delay_alu instid0(VALU_DEP_1)
	v_and_b32_e32 v35, 7, v35
; %bb.1041:                             ;   in Loop: Header=BB442_13 Depth=1
	s_or_b32 exec_lo, exec_lo, s24
	v_lshlrev_b32_e32 v19, 16, v19
	s_delay_alu instid0(VALU_DEP_2) | instskip(SKIP_1) | instid1(VALU_DEP_3)
	v_lshlrev_b32_e32 v35, 20, v35
	v_lshl_add_u32 v36, v149, 23, 0x3c000000
	v_and_b32_e32 v19, 0x80000000, v19
	s_delay_alu instid0(VALU_DEP_1)
	v_or3_b32 v35, v35, v19, v36
.LBB442_1042:                           ;   in Loop: Header=BB442_13 Depth=1
	s_or_b32 exec_lo, exec_lo, s23
.LBB442_1043:                           ;   in Loop: Header=BB442_13 Depth=1
	s_delay_alu instid0(SALU_CYCLE_1)
	s_or_b32 exec_lo, exec_lo, s22
.LBB442_1044:                           ;   in Loop: Header=BB442_13 Depth=1
	s_delay_alu instid0(SALU_CYCLE_1) | instskip(NEXT) | instid1(VALU_DEP_1)
	s_or_b32 exec_lo, exec_lo, s21
	v_mul_f32_e32 v19, v155, v35
                                        ; implicit-def: $vgpr149
	s_delay_alu instid0(VALU_DEP_1) | instskip(NEXT) | instid1(VALU_DEP_1)
	v_and_b32_e32 v35, 0x7f800000, v19
	v_cmp_ne_u32_e64 s1, 0x7f800000, v35
	s_delay_alu instid0(VALU_DEP_1) | instskip(NEXT) | instid1(SALU_CYCLE_1)
	s_and_saveexec_b32 s21, s1
	s_xor_b32 s1, exec_lo, s21
; %bb.1045:                             ;   in Loop: Header=BB442_13 Depth=1
	v_bfe_u32 v35, v19, 16, 1
	s_delay_alu instid0(VALU_DEP_1)
	v_add3_u32 v149, v19, v35, 0x7fff
                                        ; implicit-def: $vgpr19
; %bb.1046:                             ;   in Loop: Header=BB442_13 Depth=1
	s_and_not1_saveexec_b32 s21, s1
; %bb.1047:                             ;   in Loop: Header=BB442_13 Depth=1
	v_and_b32_e32 v35, 0xffff, v19
	v_or_b32_e32 v36, 0x10000, v19
	s_delay_alu instid0(VALU_DEP_2) | instskip(NEXT) | instid1(VALU_DEP_1)
	v_cmp_eq_u32_e64 s1, 0, v35
	v_cndmask_b32_e64 v149, v36, v19, s1
; %bb.1048:                             ;   in Loop: Header=BB442_13 Depth=1
	s_or_b32 exec_lo, exec_lo, s21
	v_lshrrev_b32_e32 v150, 16, v34
	v_mov_b32_e32 v19, 0
	s_mov_b32 s21, exec_lo
	s_delay_alu instid0(VALU_DEP_2) | instskip(NEXT) | instid1(VALU_DEP_1)
	v_and_b32_e32 v35, 0xff, v150
	v_cmpx_ne_u16_e32 0, v35
	s_cbranch_execz .LBB442_1056
; %bb.1049:                             ;   in Loop: Header=BB442_13 Depth=1
	v_bfrev_b32_e32 v19, 1
	s_mov_b32 s22, exec_lo
	v_cmpx_ne_u16_e32 0x80, v35
	s_cbranch_execz .LBB442_1055
; %bb.1050:                             ;   in Loop: Header=BB442_13 Depth=1
	v_bfe_u32 v35, v34, 16, 7
	v_mov_b32_e32 v19, 0x7f800001
	s_mov_b32 s23, exec_lo
	s_delay_alu instid0(VALU_DEP_2)
	v_cmpx_ne_u32_e32 0x7f, v35
	s_cbranch_execz .LBB442_1054
; %bb.1051:                             ;   in Loop: Header=BB442_13 Depth=1
	v_and_b32_e32 v19, 7, v150
	v_lshrrev_b32_e32 v151, 3, v35
	v_cmp_gt_u32_e64 s1, 8, v35
	s_delay_alu instid0(VALU_DEP_3) | instskip(NEXT) | instid1(VALU_DEP_2)
	v_dual_mov_b32 v36, v20 :: v_dual_mov_b32 v35, v19
	s_and_saveexec_b32 s24, s1
; %bb.1052:                             ;   in Loop: Header=BB442_13 Depth=1
	v_clz_i32_u32_e32 v35, v19
	s_delay_alu instid0(VALU_DEP_1) | instskip(NEXT) | instid1(VALU_DEP_1)
	v_min_u32_e32 v151, 32, v35
	v_subrev_nc_u32_e32 v35, 28, v151
	v_sub_nc_u32_e32 v151, 29, v151
	s_delay_alu instid0(VALU_DEP_2) | instskip(NEXT) | instid1(VALU_DEP_1)
	v_lshlrev_b64 v[35:36], v35, v[19:20]
	v_and_b32_e32 v35, 7, v35
; %bb.1053:                             ;   in Loop: Header=BB442_13 Depth=1
	s_or_b32 exec_lo, exec_lo, s24
	v_lshlrev_b32_e32 v19, 24, v150
	s_delay_alu instid0(VALU_DEP_2) | instskip(SKIP_1) | instid1(VALU_DEP_3)
	v_lshlrev_b32_e32 v35, 20, v35
	v_lshl_add_u32 v36, v151, 23, 0x3c000000
	v_and_b32_e32 v19, 0x80000000, v19
	s_delay_alu instid0(VALU_DEP_1)
	v_or3_b32 v19, v35, v19, v36
.LBB442_1054:                           ;   in Loop: Header=BB442_13 Depth=1
	s_or_b32 exec_lo, exec_lo, s23
.LBB442_1055:                           ;   in Loop: Header=BB442_13 Depth=1
	s_delay_alu instid0(SALU_CYCLE_1)
	s_or_b32 exec_lo, exec_lo, s22
.LBB442_1056:                           ;   in Loop: Header=BB442_13 Depth=1
	s_delay_alu instid0(SALU_CYCLE_1) | instskip(NEXT) | instid1(VALU_DEP_1)
	s_or_b32 exec_lo, exec_lo, s21
	v_mul_f32_e32 v19, v155, v19
                                        ; implicit-def: $vgpr150
	s_delay_alu instid0(VALU_DEP_1) | instskip(NEXT) | instid1(VALU_DEP_1)
	v_and_b32_e32 v35, 0x7f800000, v19
	v_cmp_ne_u32_e64 s1, 0x7f800000, v35
	s_delay_alu instid0(VALU_DEP_1) | instskip(NEXT) | instid1(SALU_CYCLE_1)
	s_and_saveexec_b32 s21, s1
	s_xor_b32 s1, exec_lo, s21
; %bb.1057:                             ;   in Loop: Header=BB442_13 Depth=1
	v_bfe_u32 v35, v19, 16, 1
	s_delay_alu instid0(VALU_DEP_1)
	v_add3_u32 v150, v19, v35, 0x7fff
                                        ; implicit-def: $vgpr19
; %bb.1058:                             ;   in Loop: Header=BB442_13 Depth=1
	s_and_not1_saveexec_b32 s21, s1
; %bb.1059:                             ;   in Loop: Header=BB442_13 Depth=1
	v_and_b32_e32 v35, 0xffff, v19
	v_or_b32_e32 v36, 0x10000, v19
	s_delay_alu instid0(VALU_DEP_2) | instskip(NEXT) | instid1(VALU_DEP_1)
	v_cmp_eq_u32_e64 s1, 0, v35
	v_cndmask_b32_e64 v150, v36, v19, s1
; %bb.1060:                             ;   in Loop: Header=BB442_13 Depth=1
	s_or_b32 exec_lo, exec_lo, s21
	v_mov_b32_e32 v19, 0
	s_mov_b32 s21, exec_lo
	v_cmpx_lt_u64_e64 s[16:17], v[33:34]
	s_cbranch_execz .LBB442_1068
; %bb.1061:                             ;   in Loop: Header=BB442_13 Depth=1
	v_lshrrev_b32_e32 v35, 24, v34
	v_bfrev_b32_e32 v19, 1
	s_mov_b32 s22, exec_lo
	s_delay_alu instid0(VALU_DEP_2)
	v_cmpx_ne_u32_e32 0x80, v35
	s_cbranch_execz .LBB442_1067
; %bb.1062:                             ;   in Loop: Header=BB442_13 Depth=1
	v_bfe_u32 v33, v34, 24, 7
	v_mov_b32_e32 v19, 0x7f800001
	s_mov_b32 s23, exec_lo
	s_delay_alu instid0(VALU_DEP_2)
	v_cmpx_ne_u32_e32 0x7f, v33
	s_cbranch_execz .LBB442_1066
; %bb.1063:                             ;   in Loop: Header=BB442_13 Depth=1
	v_and_b32_e32 v19, 7, v35
	v_lshrrev_b32_e32 v36, 3, v33
	v_cmp_gt_u32_e64 s1, 8, v33
	s_delay_alu instid0(VALU_DEP_3) | instskip(NEXT) | instid1(VALU_DEP_2)
	v_dual_mov_b32 v34, v20 :: v_dual_mov_b32 v33, v19
	s_and_saveexec_b32 s24, s1
; %bb.1064:                             ;   in Loop: Header=BB442_13 Depth=1
	v_clz_i32_u32_e32 v33, v19
	s_delay_alu instid0(VALU_DEP_1) | instskip(NEXT) | instid1(VALU_DEP_1)
	v_min_u32_e32 v36, 32, v33
	v_subrev_nc_u32_e32 v33, 28, v36
	v_sub_nc_u32_e32 v36, 29, v36
	s_delay_alu instid0(VALU_DEP_2) | instskip(NEXT) | instid1(VALU_DEP_1)
	v_lshlrev_b64 v[33:34], v33, v[19:20]
	v_and_b32_e32 v33, 7, v33
; %bb.1065:                             ;   in Loop: Header=BB442_13 Depth=1
	s_or_b32 exec_lo, exec_lo, s24
	v_lshlrev_b32_e32 v19, 24, v35
	s_delay_alu instid0(VALU_DEP_2) | instskip(SKIP_1) | instid1(VALU_DEP_3)
	v_lshlrev_b32_e32 v33, 20, v33
	v_lshl_add_u32 v34, v36, 23, 0x3c000000
	v_and_b32_e32 v19, 0x80000000, v19
	s_delay_alu instid0(VALU_DEP_1)
	v_or3_b32 v19, v33, v19, v34
.LBB442_1066:                           ;   in Loop: Header=BB442_13 Depth=1
	s_or_b32 exec_lo, exec_lo, s23
.LBB442_1067:                           ;   in Loop: Header=BB442_13 Depth=1
	s_delay_alu instid0(SALU_CYCLE_1)
	s_or_b32 exec_lo, exec_lo, s22
.LBB442_1068:                           ;   in Loop: Header=BB442_13 Depth=1
	s_delay_alu instid0(SALU_CYCLE_1) | instskip(NEXT) | instid1(VALU_DEP_1)
	s_or_b32 exec_lo, exec_lo, s21
	v_mul_f32_e32 v19, v155, v19
                                        ; implicit-def: $vgpr151
	s_delay_alu instid0(VALU_DEP_1) | instskip(NEXT) | instid1(VALU_DEP_1)
	v_and_b32_e32 v33, 0x7f800000, v19
	v_cmp_ne_u32_e64 s1, 0x7f800000, v33
	s_delay_alu instid0(VALU_DEP_1) | instskip(NEXT) | instid1(SALU_CYCLE_1)
	s_and_saveexec_b32 s21, s1
	s_xor_b32 s1, exec_lo, s21
; %bb.1069:                             ;   in Loop: Header=BB442_13 Depth=1
	v_bfe_u32 v33, v19, 16, 1
	s_delay_alu instid0(VALU_DEP_1)
	v_add3_u32 v151, v19, v33, 0x7fff
                                        ; implicit-def: $vgpr19
; %bb.1070:                             ;   in Loop: Header=BB442_13 Depth=1
	s_and_not1_saveexec_b32 s21, s1
; %bb.1071:                             ;   in Loop: Header=BB442_13 Depth=1
	v_and_b32_e32 v33, 0xffff, v19
	v_or_b32_e32 v34, 0x10000, v19
	s_delay_alu instid0(VALU_DEP_2) | instskip(NEXT) | instid1(VALU_DEP_1)
	v_cmp_eq_u32_e64 s1, 0, v33
	v_cndmask_b32_e64 v151, v34, v19, s1
; %bb.1072:                             ;   in Loop: Header=BB442_13 Depth=1
	s_or_b32 exec_lo, exec_lo, s21
	flat_load_b64 v[33:34], v[31:32] offset:2568
	v_mov_b32_e32 v19, 0
	s_mov_b32 s21, exec_lo
	s_waitcnt vmcnt(0) lgkmcnt(0)
	v_and_b32_e32 v35, 0xff, v33
	s_delay_alu instid0(VALU_DEP_1)
	v_cmpx_ne_u16_e32 0, v35
	s_cbranch_execz .LBB442_1080
; %bb.1073:                             ;   in Loop: Header=BB442_13 Depth=1
	v_bfrev_b32_e32 v19, 1
	s_mov_b32 s22, exec_lo
	v_cmpx_ne_u16_e32 0x80, v35
	s_cbranch_execz .LBB442_1079
; %bb.1074:                             ;   in Loop: Header=BB442_13 Depth=1
	v_and_b32_e32 v35, 0x7f, v33
	v_mov_b32_e32 v19, 0x7f800001
	s_mov_b32 s23, exec_lo
	s_delay_alu instid0(VALU_DEP_2)
	v_cmpx_ne_u32_e32 0x7f, v35
	s_cbranch_execz .LBB442_1078
; %bb.1075:                             ;   in Loop: Header=BB442_13 Depth=1
	v_lshrrev_b32_e32 v19, 3, v35
	v_cmp_gt_u32_e64 s1, 8, v35
	v_dual_mov_b32 v36, v34 :: v_dual_mov_b32 v35, v33
	s_delay_alu instid0(VALU_DEP_2)
	s_and_saveexec_b32 s24, s1
; %bb.1076:                             ;   in Loop: Header=BB442_13 Depth=1
	v_and_b32_e32 v19, 7, v33
	s_delay_alu instid0(VALU_DEP_1) | instskip(NEXT) | instid1(VALU_DEP_1)
	v_clz_i32_u32_e32 v19, v19
	v_min_u32_e32 v19, 32, v19
	s_delay_alu instid0(VALU_DEP_1) | instskip(SKIP_1) | instid1(VALU_DEP_2)
	v_subrev_nc_u32_e32 v35, 28, v19
	v_sub_nc_u32_e32 v19, 29, v19
	v_lshlrev_b64 v[35:36], v35, v[33:34]
; %bb.1077:                             ;   in Loop: Header=BB442_13 Depth=1
	s_or_b32 exec_lo, exec_lo, s24
	s_delay_alu instid0(VALU_DEP_1) | instskip(SKIP_2) | instid1(VALU_DEP_3)
	v_lshlrev_b32_e32 v35, 20, v35
	v_lshlrev_b32_e32 v36, 24, v33
	v_lshl_add_u32 v19, v19, 23, 0x3c000000
	v_and_b32_e32 v35, 0x700000, v35
	s_delay_alu instid0(VALU_DEP_3) | instskip(NEXT) | instid1(VALU_DEP_1)
	v_and_b32_e32 v36, 0x80000000, v36
	v_or3_b32 v19, v35, v36, v19
.LBB442_1078:                           ;   in Loop: Header=BB442_13 Depth=1
	s_or_b32 exec_lo, exec_lo, s23
.LBB442_1079:                           ;   in Loop: Header=BB442_13 Depth=1
	s_delay_alu instid0(SALU_CYCLE_1)
	s_or_b32 exec_lo, exec_lo, s22
.LBB442_1080:                           ;   in Loop: Header=BB442_13 Depth=1
	s_delay_alu instid0(SALU_CYCLE_1) | instskip(NEXT) | instid1(VALU_DEP_1)
	s_or_b32 exec_lo, exec_lo, s21
	v_mul_f32_e32 v19, v155, v19
                                        ; implicit-def: $vgpr160
	s_delay_alu instid0(VALU_DEP_1) | instskip(NEXT) | instid1(VALU_DEP_1)
	v_and_b32_e32 v35, 0x7f800000, v19
	v_cmp_ne_u32_e64 s1, 0x7f800000, v35
	s_delay_alu instid0(VALU_DEP_1) | instskip(NEXT) | instid1(SALU_CYCLE_1)
	s_and_saveexec_b32 s21, s1
	s_xor_b32 s1, exec_lo, s21
; %bb.1081:                             ;   in Loop: Header=BB442_13 Depth=1
	v_bfe_u32 v35, v19, 16, 1
	s_delay_alu instid0(VALU_DEP_1)
	v_add3_u32 v160, v19, v35, 0x7fff
                                        ; implicit-def: $vgpr19
; %bb.1082:                             ;   in Loop: Header=BB442_13 Depth=1
	s_and_not1_saveexec_b32 s21, s1
; %bb.1083:                             ;   in Loop: Header=BB442_13 Depth=1
	v_and_b32_e32 v35, 0xffff, v19
	v_or_b32_e32 v36, 0x10000, v19
	s_delay_alu instid0(VALU_DEP_2) | instskip(NEXT) | instid1(VALU_DEP_1)
	v_cmp_eq_u32_e64 s1, 0, v35
	v_cndmask_b32_e64 v160, v36, v19, s1
; %bb.1084:                             ;   in Loop: Header=BB442_13 Depth=1
	s_or_b32 exec_lo, exec_lo, s21
	v_lshrrev_b16 v35, 8, v33
	v_mov_b32_e32 v19, 0
	s_mov_b32 s21, exec_lo
	s_delay_alu instid0(VALU_DEP_2)
	v_cmpx_ne_u16_e32 0, v35
	s_cbranch_execz .LBB442_1092
; %bb.1085:                             ;   in Loop: Header=BB442_13 Depth=1
	v_bfrev_b32_e32 v19, 1
	s_mov_b32 s22, exec_lo
	v_cmpx_ne_u16_e32 0x80, v35
	s_cbranch_execz .LBB442_1091
; %bb.1086:                             ;   in Loop: Header=BB442_13 Depth=1
	v_and_b32_e32 v36, 0xffff, v35
	v_mov_b32_e32 v19, 0x7f800001
	s_mov_b32 s23, exec_lo
	s_delay_alu instid0(VALU_DEP_2) | instskip(NEXT) | instid1(VALU_DEP_1)
	v_and_b32_e32 v35, 0x7f, v36
	v_cmpx_ne_u32_e32 0x7f, v35
	s_cbranch_execz .LBB442_1090
; %bb.1087:                             ;   in Loop: Header=BB442_13 Depth=1
	v_and_b32_e32 v19, 7, v36
	v_lshrrev_b32_e32 v161, 3, v35
	v_cmp_gt_u32_e64 s1, 8, v35
	s_delay_alu instid0(VALU_DEP_3) | instskip(NEXT) | instid1(VALU_DEP_2)
	v_dual_mov_b32 v36, v20 :: v_dual_mov_b32 v35, v19
	s_and_saveexec_b32 s24, s1
; %bb.1088:                             ;   in Loop: Header=BB442_13 Depth=1
	v_clz_i32_u32_e32 v35, v19
	s_delay_alu instid0(VALU_DEP_1) | instskip(NEXT) | instid1(VALU_DEP_1)
	v_min_u32_e32 v161, 32, v35
	v_subrev_nc_u32_e32 v35, 28, v161
	v_sub_nc_u32_e32 v161, 29, v161
	s_delay_alu instid0(VALU_DEP_2) | instskip(NEXT) | instid1(VALU_DEP_1)
	v_lshlrev_b64 v[35:36], v35, v[19:20]
	v_and_b32_e32 v35, 7, v35
; %bb.1089:                             ;   in Loop: Header=BB442_13 Depth=1
	s_or_b32 exec_lo, exec_lo, s24
	v_lshlrev_b32_e32 v19, 16, v33
	s_delay_alu instid0(VALU_DEP_2) | instskip(SKIP_1) | instid1(VALU_DEP_3)
	v_lshlrev_b32_e32 v35, 20, v35
	v_lshl_add_u32 v36, v161, 23, 0x3c000000
	v_and_b32_e32 v19, 0x80000000, v19
	s_delay_alu instid0(VALU_DEP_1)
	v_or3_b32 v19, v35, v19, v36
.LBB442_1090:                           ;   in Loop: Header=BB442_13 Depth=1
	s_or_b32 exec_lo, exec_lo, s23
.LBB442_1091:                           ;   in Loop: Header=BB442_13 Depth=1
	s_delay_alu instid0(SALU_CYCLE_1)
	s_or_b32 exec_lo, exec_lo, s22
.LBB442_1092:                           ;   in Loop: Header=BB442_13 Depth=1
	s_delay_alu instid0(SALU_CYCLE_1) | instskip(NEXT) | instid1(VALU_DEP_1)
	s_or_b32 exec_lo, exec_lo, s21
	v_mul_f32_e32 v19, v155, v19
                                        ; implicit-def: $vgpr161
	s_delay_alu instid0(VALU_DEP_1) | instskip(NEXT) | instid1(VALU_DEP_1)
	v_and_b32_e32 v35, 0x7f800000, v19
	v_cmp_ne_u32_e64 s1, 0x7f800000, v35
	s_delay_alu instid0(VALU_DEP_1) | instskip(NEXT) | instid1(SALU_CYCLE_1)
	s_and_saveexec_b32 s21, s1
	s_xor_b32 s1, exec_lo, s21
; %bb.1093:                             ;   in Loop: Header=BB442_13 Depth=1
	v_bfe_u32 v35, v19, 16, 1
	s_delay_alu instid0(VALU_DEP_1)
	v_add3_u32 v161, v19, v35, 0x7fff
                                        ; implicit-def: $vgpr19
; %bb.1094:                             ;   in Loop: Header=BB442_13 Depth=1
	s_and_not1_saveexec_b32 s21, s1
; %bb.1095:                             ;   in Loop: Header=BB442_13 Depth=1
	v_and_b32_e32 v35, 0xffff, v19
	v_or_b32_e32 v36, 0x10000, v19
	s_delay_alu instid0(VALU_DEP_2) | instskip(NEXT) | instid1(VALU_DEP_1)
	v_cmp_eq_u32_e64 s1, 0, v35
	v_cndmask_b32_e64 v161, v36, v19, s1
; %bb.1096:                             ;   in Loop: Header=BB442_13 Depth=1
	s_or_b32 exec_lo, exec_lo, s21
	v_lshrrev_b32_e32 v162, 16, v33
	v_mov_b32_e32 v19, 0
	s_mov_b32 s21, exec_lo
	s_delay_alu instid0(VALU_DEP_2) | instskip(NEXT) | instid1(VALU_DEP_1)
	v_and_b32_e32 v35, 0xff, v162
	v_cmpx_ne_u16_e32 0, v35
	s_cbranch_execz .LBB442_1104
; %bb.1097:                             ;   in Loop: Header=BB442_13 Depth=1
	v_bfrev_b32_e32 v19, 1
	s_mov_b32 s22, exec_lo
	v_cmpx_ne_u16_e32 0x80, v35
	s_cbranch_execz .LBB442_1103
; %bb.1098:                             ;   in Loop: Header=BB442_13 Depth=1
	v_bfe_u32 v35, v33, 16, 7
	v_mov_b32_e32 v19, 0x7f800001
	s_mov_b32 s23, exec_lo
	s_delay_alu instid0(VALU_DEP_2)
	v_cmpx_ne_u32_e32 0x7f, v35
	s_cbranch_execz .LBB442_1102
; %bb.1099:                             ;   in Loop: Header=BB442_13 Depth=1
	v_and_b32_e32 v19, 7, v162
	v_lshrrev_b32_e32 v163, 3, v35
	v_cmp_gt_u32_e64 s1, 8, v35
	s_delay_alu instid0(VALU_DEP_3) | instskip(NEXT) | instid1(VALU_DEP_2)
	v_dual_mov_b32 v36, v20 :: v_dual_mov_b32 v35, v19
	s_and_saveexec_b32 s24, s1
; %bb.1100:                             ;   in Loop: Header=BB442_13 Depth=1
	v_clz_i32_u32_e32 v35, v19
	s_delay_alu instid0(VALU_DEP_1) | instskip(NEXT) | instid1(VALU_DEP_1)
	v_min_u32_e32 v163, 32, v35
	v_subrev_nc_u32_e32 v35, 28, v163
	v_sub_nc_u32_e32 v163, 29, v163
	s_delay_alu instid0(VALU_DEP_2) | instskip(NEXT) | instid1(VALU_DEP_1)
	v_lshlrev_b64 v[35:36], v35, v[19:20]
	v_and_b32_e32 v35, 7, v35
; %bb.1101:                             ;   in Loop: Header=BB442_13 Depth=1
	s_or_b32 exec_lo, exec_lo, s24
	v_lshlrev_b32_e32 v19, 24, v162
	s_delay_alu instid0(VALU_DEP_2) | instskip(SKIP_1) | instid1(VALU_DEP_3)
	v_lshlrev_b32_e32 v35, 20, v35
	v_lshl_add_u32 v36, v163, 23, 0x3c000000
	v_and_b32_e32 v19, 0x80000000, v19
	s_delay_alu instid0(VALU_DEP_1)
	v_or3_b32 v19, v35, v19, v36
.LBB442_1102:                           ;   in Loop: Header=BB442_13 Depth=1
	s_or_b32 exec_lo, exec_lo, s23
.LBB442_1103:                           ;   in Loop: Header=BB442_13 Depth=1
	s_delay_alu instid0(SALU_CYCLE_1)
	s_or_b32 exec_lo, exec_lo, s22
.LBB442_1104:                           ;   in Loop: Header=BB442_13 Depth=1
	s_delay_alu instid0(SALU_CYCLE_1) | instskip(NEXT) | instid1(VALU_DEP_1)
	s_or_b32 exec_lo, exec_lo, s21
	v_mul_f32_e32 v19, v155, v19
                                        ; implicit-def: $vgpr162
	s_delay_alu instid0(VALU_DEP_1) | instskip(NEXT) | instid1(VALU_DEP_1)
	v_and_b32_e32 v35, 0x7f800000, v19
	v_cmp_ne_u32_e64 s1, 0x7f800000, v35
	s_delay_alu instid0(VALU_DEP_1) | instskip(NEXT) | instid1(SALU_CYCLE_1)
	s_and_saveexec_b32 s21, s1
	s_xor_b32 s1, exec_lo, s21
; %bb.1105:                             ;   in Loop: Header=BB442_13 Depth=1
	v_bfe_u32 v35, v19, 16, 1
	s_delay_alu instid0(VALU_DEP_1)
	v_add3_u32 v162, v19, v35, 0x7fff
                                        ; implicit-def: $vgpr19
; %bb.1106:                             ;   in Loop: Header=BB442_13 Depth=1
	s_and_not1_saveexec_b32 s21, s1
; %bb.1107:                             ;   in Loop: Header=BB442_13 Depth=1
	v_and_b32_e32 v35, 0xffff, v19
	v_or_b32_e32 v36, 0x10000, v19
	s_delay_alu instid0(VALU_DEP_2) | instskip(NEXT) | instid1(VALU_DEP_1)
	v_cmp_eq_u32_e64 s1, 0, v35
	v_cndmask_b32_e64 v162, v36, v19, s1
; %bb.1108:                             ;   in Loop: Header=BB442_13 Depth=1
	s_or_b32 exec_lo, exec_lo, s21
	v_mov_b32_e32 v19, 0
	s_mov_b32 s21, exec_lo
	v_cmpx_lt_u32_e32 0xffffff, v33
	s_cbranch_execz .LBB442_1116
; %bb.1109:                             ;   in Loop: Header=BB442_13 Depth=1
	v_lshrrev_b32_e32 v163, 24, v33
	v_bfrev_b32_e32 v19, 1
	s_mov_b32 s22, exec_lo
	s_delay_alu instid0(VALU_DEP_2)
	v_cmpx_ne_u32_e32 0x80, v163
	s_cbranch_execz .LBB442_1115
; %bb.1110:                             ;   in Loop: Header=BB442_13 Depth=1
	v_bfe_u32 v35, v33, 24, 7
	v_mov_b32_e32 v19, 0x7f800001
	s_mov_b32 s23, exec_lo
	s_delay_alu instid0(VALU_DEP_2)
	v_cmpx_ne_u32_e32 0x7f, v35
	s_cbranch_execz .LBB442_1114
; %bb.1111:                             ;   in Loop: Header=BB442_13 Depth=1
	v_and_b32_e32 v19, 7, v163
	v_lshrrev_b32_e32 v164, 3, v35
	v_cmp_gt_u32_e64 s1, 8, v35
	s_delay_alu instid0(VALU_DEP_3) | instskip(NEXT) | instid1(VALU_DEP_2)
	v_dual_mov_b32 v36, v20 :: v_dual_mov_b32 v35, v19
	s_and_saveexec_b32 s24, s1
; %bb.1112:                             ;   in Loop: Header=BB442_13 Depth=1
	v_clz_i32_u32_e32 v35, v19
	s_delay_alu instid0(VALU_DEP_1) | instskip(NEXT) | instid1(VALU_DEP_1)
	v_min_u32_e32 v164, 32, v35
	v_subrev_nc_u32_e32 v35, 28, v164
	v_sub_nc_u32_e32 v164, 29, v164
	s_delay_alu instid0(VALU_DEP_2) | instskip(NEXT) | instid1(VALU_DEP_1)
	v_lshlrev_b64 v[35:36], v35, v[19:20]
	v_and_b32_e32 v35, 7, v35
; %bb.1113:                             ;   in Loop: Header=BB442_13 Depth=1
	s_or_b32 exec_lo, exec_lo, s24
	v_lshlrev_b32_e32 v19, 24, v163
	s_delay_alu instid0(VALU_DEP_2) | instskip(SKIP_1) | instid1(VALU_DEP_3)
	v_lshlrev_b32_e32 v35, 20, v35
	v_lshl_add_u32 v36, v164, 23, 0x3c000000
	v_and_b32_e32 v19, 0x80000000, v19
	s_delay_alu instid0(VALU_DEP_1)
	v_or3_b32 v19, v35, v19, v36
.LBB442_1114:                           ;   in Loop: Header=BB442_13 Depth=1
	s_or_b32 exec_lo, exec_lo, s23
.LBB442_1115:                           ;   in Loop: Header=BB442_13 Depth=1
	s_delay_alu instid0(SALU_CYCLE_1)
	s_or_b32 exec_lo, exec_lo, s22
.LBB442_1116:                           ;   in Loop: Header=BB442_13 Depth=1
	s_delay_alu instid0(SALU_CYCLE_1) | instskip(NEXT) | instid1(VALU_DEP_1)
	s_or_b32 exec_lo, exec_lo, s21
	v_mul_f32_e32 v19, v155, v19
                                        ; implicit-def: $vgpr163
	s_delay_alu instid0(VALU_DEP_1) | instskip(NEXT) | instid1(VALU_DEP_1)
	v_and_b32_e32 v35, 0x7f800000, v19
	v_cmp_ne_u32_e64 s1, 0x7f800000, v35
	s_delay_alu instid0(VALU_DEP_1) | instskip(NEXT) | instid1(SALU_CYCLE_1)
	s_and_saveexec_b32 s21, s1
	s_xor_b32 s1, exec_lo, s21
; %bb.1117:                             ;   in Loop: Header=BB442_13 Depth=1
	v_bfe_u32 v35, v19, 16, 1
	s_delay_alu instid0(VALU_DEP_1)
	v_add3_u32 v163, v19, v35, 0x7fff
                                        ; implicit-def: $vgpr19
; %bb.1118:                             ;   in Loop: Header=BB442_13 Depth=1
	s_and_not1_saveexec_b32 s21, s1
; %bb.1119:                             ;   in Loop: Header=BB442_13 Depth=1
	v_and_b32_e32 v35, 0xffff, v19
	v_or_b32_e32 v36, 0x10000, v19
	s_delay_alu instid0(VALU_DEP_2) | instskip(NEXT) | instid1(VALU_DEP_1)
	v_cmp_eq_u32_e64 s1, 0, v35
	v_cndmask_b32_e64 v163, v36, v19, s1
; %bb.1120:                             ;   in Loop: Header=BB442_13 Depth=1
	s_or_b32 exec_lo, exec_lo, s21
	v_dual_mov_b32 v19, v34 :: v_dual_and_b32 v36, 0xff, v34
	v_mov_b32_e32 v35, 0
	s_mov_b32 s21, exec_lo
	s_delay_alu instid0(VALU_DEP_2)
	v_cmpx_ne_u16_e32 0, v36
	s_cbranch_execz .LBB442_1128
; %bb.1121:                             ;   in Loop: Header=BB442_13 Depth=1
	v_bfrev_b32_e32 v35, 1
	s_mov_b32 s22, exec_lo
	v_cmpx_ne_u16_e32 0x80, v36
	s_cbranch_execz .LBB442_1127
; %bb.1122:                             ;   in Loop: Header=BB442_13 Depth=1
	v_and_b32_e32 v36, 0x7f, v34
	v_mov_b32_e32 v35, 0x7f800001
	s_mov_b32 s23, exec_lo
	s_delay_alu instid0(VALU_DEP_2)
	v_cmpx_ne_u32_e32 0x7f, v36
	s_cbranch_execz .LBB442_1126
; %bb.1123:                             ;   in Loop: Header=BB442_13 Depth=1
	v_lshrrev_b32_e32 v164, 3, v36
	v_cmp_gt_u32_e64 s1, 8, v36
	v_dual_mov_b32 v36, v20 :: v_dual_mov_b32 v35, v19
	s_delay_alu instid0(VALU_DEP_2)
	s_and_saveexec_b32 s24, s1
; %bb.1124:                             ;   in Loop: Header=BB442_13 Depth=1
	v_and_b32_e32 v35, 7, v34
	s_delay_alu instid0(VALU_DEP_1) | instskip(NEXT) | instid1(VALU_DEP_1)
	v_clz_i32_u32_e32 v35, v35
	v_min_u32_e32 v164, 32, v35
	s_delay_alu instid0(VALU_DEP_1) | instskip(SKIP_1) | instid1(VALU_DEP_2)
	v_subrev_nc_u32_e32 v35, 28, v164
	v_sub_nc_u32_e32 v164, 29, v164
	v_lshlrev_b64 v[35:36], v35, v[19:20]
; %bb.1125:                             ;   in Loop: Header=BB442_13 Depth=1
	s_or_b32 exec_lo, exec_lo, s24
	s_delay_alu instid0(VALU_DEP_1) | instskip(SKIP_2) | instid1(VALU_DEP_3)
	v_lshlrev_b32_e32 v35, 20, v35
	v_lshlrev_b32_e32 v36, 24, v19
	v_lshl_add_u32 v164, v164, 23, 0x3c000000
	v_and_b32_e32 v35, 0x700000, v35
	s_delay_alu instid0(VALU_DEP_3) | instskip(NEXT) | instid1(VALU_DEP_1)
	v_and_b32_e32 v36, 0x80000000, v36
	v_or3_b32 v35, v35, v36, v164
.LBB442_1126:                           ;   in Loop: Header=BB442_13 Depth=1
	s_or_b32 exec_lo, exec_lo, s23
.LBB442_1127:                           ;   in Loop: Header=BB442_13 Depth=1
	s_delay_alu instid0(SALU_CYCLE_1)
	s_or_b32 exec_lo, exec_lo, s22
.LBB442_1128:                           ;   in Loop: Header=BB442_13 Depth=1
	s_delay_alu instid0(SALU_CYCLE_1) | instskip(NEXT) | instid1(VALU_DEP_1)
	s_or_b32 exec_lo, exec_lo, s21
	v_mul_f32_e32 v35, v155, v35
                                        ; implicit-def: $vgpr164
	s_delay_alu instid0(VALU_DEP_1) | instskip(NEXT) | instid1(VALU_DEP_1)
	v_and_b32_e32 v36, 0x7f800000, v35
	v_cmp_ne_u32_e64 s1, 0x7f800000, v36
	s_delay_alu instid0(VALU_DEP_1) | instskip(NEXT) | instid1(SALU_CYCLE_1)
	s_and_saveexec_b32 s21, s1
	s_xor_b32 s1, exec_lo, s21
; %bb.1129:                             ;   in Loop: Header=BB442_13 Depth=1
	v_bfe_u32 v36, v35, 16, 1
	s_delay_alu instid0(VALU_DEP_1)
	v_add3_u32 v164, v35, v36, 0x7fff
                                        ; implicit-def: $vgpr35
; %bb.1130:                             ;   in Loop: Header=BB442_13 Depth=1
	s_and_not1_saveexec_b32 s21, s1
; %bb.1131:                             ;   in Loop: Header=BB442_13 Depth=1
	v_and_b32_e32 v36, 0xffff, v35
	v_or_b32_e32 v164, 0x10000, v35
	s_delay_alu instid0(VALU_DEP_2) | instskip(NEXT) | instid1(VALU_DEP_1)
	v_cmp_eq_u32_e64 s1, 0, v36
	v_cndmask_b32_e64 v164, v164, v35, s1
; %bb.1132:                             ;   in Loop: Header=BB442_13 Depth=1
	s_or_b32 exec_lo, exec_lo, s21
	v_lshrrev_b16 v36, 8, v19
	v_mov_b32_e32 v35, 0
	s_mov_b32 s21, exec_lo
	s_delay_alu instid0(VALU_DEP_2)
	v_cmpx_ne_u16_e32 0, v36
	s_cbranch_execz .LBB442_1140
; %bb.1133:                             ;   in Loop: Header=BB442_13 Depth=1
	v_bfrev_b32_e32 v35, 1
	s_mov_b32 s22, exec_lo
	v_cmpx_ne_u16_e32 0x80, v36
	s_cbranch_execz .LBB442_1139
; %bb.1134:                             ;   in Loop: Header=BB442_13 Depth=1
	v_and_b32_e32 v36, 0xffff, v36
	v_mov_b32_e32 v35, 0x7f800001
	s_mov_b32 s23, exec_lo
	s_delay_alu instid0(VALU_DEP_2) | instskip(NEXT) | instid1(VALU_DEP_1)
	v_and_b32_e32 v166, 0x7f, v36
	v_cmpx_ne_u32_e32 0x7f, v166
	s_cbranch_execz .LBB442_1138
; %bb.1135:                             ;   in Loop: Header=BB442_13 Depth=1
	v_dual_mov_b32 v36, v20 :: v_dual_and_b32 v35, 7, v36
	v_lshrrev_b32_e32 v165, 3, v166
	s_mov_b32 s24, exec_lo
	v_cmpx_gt_u32_e32 8, v166
; %bb.1136:                             ;   in Loop: Header=BB442_13 Depth=1
	s_delay_alu instid0(VALU_DEP_3) | instskip(NEXT) | instid1(VALU_DEP_1)
	v_clz_i32_u32_e32 v165, v35
	v_min_u32_e32 v165, 32, v165
	s_delay_alu instid0(VALU_DEP_1) | instskip(SKIP_1) | instid1(VALU_DEP_2)
	v_subrev_nc_u32_e32 v166, 28, v165
	v_sub_nc_u32_e32 v165, 29, v165
	v_lshlrev_b64 v[35:36], v166, v[35:36]
	s_delay_alu instid0(VALU_DEP_1)
	v_and_b32_e32 v35, 7, v35
; %bb.1137:                             ;   in Loop: Header=BB442_13 Depth=1
	s_or_b32 exec_lo, exec_lo, s24
	v_lshlrev_b32_e32 v19, 16, v19
	s_delay_alu instid0(VALU_DEP_2) | instskip(SKIP_1) | instid1(VALU_DEP_3)
	v_lshlrev_b32_e32 v35, 20, v35
	v_lshl_add_u32 v36, v165, 23, 0x3c000000
	v_and_b32_e32 v19, 0x80000000, v19
	s_delay_alu instid0(VALU_DEP_1)
	v_or3_b32 v35, v35, v19, v36
.LBB442_1138:                           ;   in Loop: Header=BB442_13 Depth=1
	s_or_b32 exec_lo, exec_lo, s23
.LBB442_1139:                           ;   in Loop: Header=BB442_13 Depth=1
	s_delay_alu instid0(SALU_CYCLE_1)
	s_or_b32 exec_lo, exec_lo, s22
.LBB442_1140:                           ;   in Loop: Header=BB442_13 Depth=1
	s_delay_alu instid0(SALU_CYCLE_1) | instskip(NEXT) | instid1(VALU_DEP_1)
	s_or_b32 exec_lo, exec_lo, s21
	v_mul_f32_e32 v19, v155, v35
                                        ; implicit-def: $vgpr165
	s_delay_alu instid0(VALU_DEP_1) | instskip(NEXT) | instid1(VALU_DEP_1)
	v_and_b32_e32 v35, 0x7f800000, v19
	v_cmp_ne_u32_e64 s1, 0x7f800000, v35
	s_delay_alu instid0(VALU_DEP_1) | instskip(NEXT) | instid1(SALU_CYCLE_1)
	s_and_saveexec_b32 s21, s1
	s_xor_b32 s1, exec_lo, s21
; %bb.1141:                             ;   in Loop: Header=BB442_13 Depth=1
	v_bfe_u32 v35, v19, 16, 1
	s_delay_alu instid0(VALU_DEP_1)
	v_add3_u32 v165, v19, v35, 0x7fff
                                        ; implicit-def: $vgpr19
; %bb.1142:                             ;   in Loop: Header=BB442_13 Depth=1
	s_and_not1_saveexec_b32 s21, s1
; %bb.1143:                             ;   in Loop: Header=BB442_13 Depth=1
	v_and_b32_e32 v35, 0xffff, v19
	v_or_b32_e32 v36, 0x10000, v19
	s_delay_alu instid0(VALU_DEP_2) | instskip(NEXT) | instid1(VALU_DEP_1)
	v_cmp_eq_u32_e64 s1, 0, v35
	v_cndmask_b32_e64 v165, v36, v19, s1
; %bb.1144:                             ;   in Loop: Header=BB442_13 Depth=1
	s_or_b32 exec_lo, exec_lo, s21
	v_lshrrev_b32_e32 v166, 16, v34
	v_mov_b32_e32 v19, 0
	s_mov_b32 s21, exec_lo
	s_delay_alu instid0(VALU_DEP_2) | instskip(NEXT) | instid1(VALU_DEP_1)
	v_and_b32_e32 v35, 0xff, v166
	v_cmpx_ne_u16_e32 0, v35
	s_cbranch_execz .LBB442_1152
; %bb.1145:                             ;   in Loop: Header=BB442_13 Depth=1
	v_bfrev_b32_e32 v19, 1
	s_mov_b32 s22, exec_lo
	v_cmpx_ne_u16_e32 0x80, v35
	s_cbranch_execz .LBB442_1151
; %bb.1146:                             ;   in Loop: Header=BB442_13 Depth=1
	v_bfe_u32 v35, v34, 16, 7
	v_mov_b32_e32 v19, 0x7f800001
	s_mov_b32 s23, exec_lo
	s_delay_alu instid0(VALU_DEP_2)
	v_cmpx_ne_u32_e32 0x7f, v35
	s_cbranch_execz .LBB442_1150
; %bb.1147:                             ;   in Loop: Header=BB442_13 Depth=1
	v_and_b32_e32 v19, 7, v166
	v_lshrrev_b32_e32 v167, 3, v35
	v_cmp_gt_u32_e64 s1, 8, v35
	s_delay_alu instid0(VALU_DEP_3) | instskip(NEXT) | instid1(VALU_DEP_2)
	v_dual_mov_b32 v36, v20 :: v_dual_mov_b32 v35, v19
	s_and_saveexec_b32 s24, s1
; %bb.1148:                             ;   in Loop: Header=BB442_13 Depth=1
	v_clz_i32_u32_e32 v35, v19
	s_delay_alu instid0(VALU_DEP_1) | instskip(NEXT) | instid1(VALU_DEP_1)
	v_min_u32_e32 v167, 32, v35
	v_subrev_nc_u32_e32 v35, 28, v167
	v_sub_nc_u32_e32 v167, 29, v167
	s_delay_alu instid0(VALU_DEP_2) | instskip(NEXT) | instid1(VALU_DEP_1)
	v_lshlrev_b64 v[35:36], v35, v[19:20]
	v_and_b32_e32 v35, 7, v35
; %bb.1149:                             ;   in Loop: Header=BB442_13 Depth=1
	s_or_b32 exec_lo, exec_lo, s24
	v_lshlrev_b32_e32 v19, 24, v166
	s_delay_alu instid0(VALU_DEP_2) | instskip(SKIP_1) | instid1(VALU_DEP_3)
	v_lshlrev_b32_e32 v35, 20, v35
	v_lshl_add_u32 v36, v167, 23, 0x3c000000
	v_and_b32_e32 v19, 0x80000000, v19
	s_delay_alu instid0(VALU_DEP_1)
	v_or3_b32 v19, v35, v19, v36
.LBB442_1150:                           ;   in Loop: Header=BB442_13 Depth=1
	s_or_b32 exec_lo, exec_lo, s23
.LBB442_1151:                           ;   in Loop: Header=BB442_13 Depth=1
	s_delay_alu instid0(SALU_CYCLE_1)
	s_or_b32 exec_lo, exec_lo, s22
.LBB442_1152:                           ;   in Loop: Header=BB442_13 Depth=1
	s_delay_alu instid0(SALU_CYCLE_1) | instskip(NEXT) | instid1(VALU_DEP_1)
	s_or_b32 exec_lo, exec_lo, s21
	v_mul_f32_e32 v19, v155, v19
                                        ; implicit-def: $vgpr166
	s_delay_alu instid0(VALU_DEP_1) | instskip(NEXT) | instid1(VALU_DEP_1)
	v_and_b32_e32 v35, 0x7f800000, v19
	v_cmp_ne_u32_e64 s1, 0x7f800000, v35
	s_delay_alu instid0(VALU_DEP_1) | instskip(NEXT) | instid1(SALU_CYCLE_1)
	s_and_saveexec_b32 s21, s1
	s_xor_b32 s1, exec_lo, s21
; %bb.1153:                             ;   in Loop: Header=BB442_13 Depth=1
	v_bfe_u32 v35, v19, 16, 1
	s_delay_alu instid0(VALU_DEP_1)
	v_add3_u32 v166, v19, v35, 0x7fff
                                        ; implicit-def: $vgpr19
; %bb.1154:                             ;   in Loop: Header=BB442_13 Depth=1
	s_and_not1_saveexec_b32 s21, s1
; %bb.1155:                             ;   in Loop: Header=BB442_13 Depth=1
	v_and_b32_e32 v35, 0xffff, v19
	v_or_b32_e32 v36, 0x10000, v19
	s_delay_alu instid0(VALU_DEP_2) | instskip(NEXT) | instid1(VALU_DEP_1)
	v_cmp_eq_u32_e64 s1, 0, v35
	v_cndmask_b32_e64 v166, v36, v19, s1
; %bb.1156:                             ;   in Loop: Header=BB442_13 Depth=1
	s_or_b32 exec_lo, exec_lo, s21
	v_mov_b32_e32 v19, 0
	s_mov_b32 s21, exec_lo
	v_cmpx_lt_u64_e64 s[16:17], v[33:34]
	s_cbranch_execz .LBB442_1164
; %bb.1157:                             ;   in Loop: Header=BB442_13 Depth=1
	v_lshrrev_b32_e32 v35, 24, v34
	v_bfrev_b32_e32 v19, 1
	s_mov_b32 s22, exec_lo
	s_delay_alu instid0(VALU_DEP_2)
	v_cmpx_ne_u32_e32 0x80, v35
	s_cbranch_execz .LBB442_1163
; %bb.1158:                             ;   in Loop: Header=BB442_13 Depth=1
	v_bfe_u32 v33, v34, 24, 7
	v_mov_b32_e32 v19, 0x7f800001
	s_mov_b32 s23, exec_lo
	s_delay_alu instid0(VALU_DEP_2)
	v_cmpx_ne_u32_e32 0x7f, v33
	s_cbranch_execz .LBB442_1162
; %bb.1159:                             ;   in Loop: Header=BB442_13 Depth=1
	v_and_b32_e32 v19, 7, v35
	v_lshrrev_b32_e32 v36, 3, v33
	v_cmp_gt_u32_e64 s1, 8, v33
	s_delay_alu instid0(VALU_DEP_3) | instskip(NEXT) | instid1(VALU_DEP_2)
	v_dual_mov_b32 v34, v20 :: v_dual_mov_b32 v33, v19
	s_and_saveexec_b32 s24, s1
; %bb.1160:                             ;   in Loop: Header=BB442_13 Depth=1
	v_clz_i32_u32_e32 v33, v19
	s_delay_alu instid0(VALU_DEP_1) | instskip(NEXT) | instid1(VALU_DEP_1)
	v_min_u32_e32 v36, 32, v33
	v_subrev_nc_u32_e32 v33, 28, v36
	v_sub_nc_u32_e32 v36, 29, v36
	s_delay_alu instid0(VALU_DEP_2) | instskip(NEXT) | instid1(VALU_DEP_1)
	v_lshlrev_b64 v[33:34], v33, v[19:20]
	v_and_b32_e32 v33, 7, v33
; %bb.1161:                             ;   in Loop: Header=BB442_13 Depth=1
	s_or_b32 exec_lo, exec_lo, s24
	v_lshlrev_b32_e32 v19, 24, v35
	s_delay_alu instid0(VALU_DEP_2) | instskip(SKIP_1) | instid1(VALU_DEP_3)
	v_lshlrev_b32_e32 v33, 20, v33
	v_lshl_add_u32 v34, v36, 23, 0x3c000000
	v_and_b32_e32 v19, 0x80000000, v19
	s_delay_alu instid0(VALU_DEP_1)
	v_or3_b32 v19, v33, v19, v34
.LBB442_1162:                           ;   in Loop: Header=BB442_13 Depth=1
	s_or_b32 exec_lo, exec_lo, s23
.LBB442_1163:                           ;   in Loop: Header=BB442_13 Depth=1
	s_delay_alu instid0(SALU_CYCLE_1)
	s_or_b32 exec_lo, exec_lo, s22
.LBB442_1164:                           ;   in Loop: Header=BB442_13 Depth=1
	s_delay_alu instid0(SALU_CYCLE_1) | instskip(NEXT) | instid1(VALU_DEP_1)
	s_or_b32 exec_lo, exec_lo, s21
	v_mul_f32_e32 v19, v155, v19
                                        ; implicit-def: $vgpr167
	s_delay_alu instid0(VALU_DEP_1) | instskip(NEXT) | instid1(VALU_DEP_1)
	v_and_b32_e32 v33, 0x7f800000, v19
	v_cmp_ne_u32_e64 s1, 0x7f800000, v33
	s_delay_alu instid0(VALU_DEP_1) | instskip(NEXT) | instid1(SALU_CYCLE_1)
	s_and_saveexec_b32 s21, s1
	s_xor_b32 s1, exec_lo, s21
; %bb.1165:                             ;   in Loop: Header=BB442_13 Depth=1
	v_bfe_u32 v33, v19, 16, 1
	s_delay_alu instid0(VALU_DEP_1)
	v_add3_u32 v167, v19, v33, 0x7fff
                                        ; implicit-def: $vgpr19
; %bb.1166:                             ;   in Loop: Header=BB442_13 Depth=1
	s_and_not1_saveexec_b32 s21, s1
; %bb.1167:                             ;   in Loop: Header=BB442_13 Depth=1
	v_and_b32_e32 v33, 0xffff, v19
	v_or_b32_e32 v34, 0x10000, v19
	s_delay_alu instid0(VALU_DEP_2) | instskip(NEXT) | instid1(VALU_DEP_1)
	v_cmp_eq_u32_e64 s1, 0, v33
	v_cndmask_b32_e64 v167, v34, v19, s1
; %bb.1168:                             ;   in Loop: Header=BB442_13 Depth=1
	s_or_b32 exec_lo, exec_lo, s21
	flat_load_b64 v[33:34], v[31:32] offset:3072
	v_mov_b32_e32 v19, 0
	s_mov_b32 s21, exec_lo
	s_waitcnt vmcnt(0) lgkmcnt(0)
	v_and_b32_e32 v35, 0xff, v33
	s_delay_alu instid0(VALU_DEP_1)
	v_cmpx_ne_u16_e32 0, v35
	s_cbranch_execz .LBB442_1176
; %bb.1169:                             ;   in Loop: Header=BB442_13 Depth=1
	v_bfrev_b32_e32 v19, 1
	s_mov_b32 s22, exec_lo
	v_cmpx_ne_u16_e32 0x80, v35
	s_cbranch_execz .LBB442_1175
; %bb.1170:                             ;   in Loop: Header=BB442_13 Depth=1
	v_and_b32_e32 v35, 0x7f, v33
	v_mov_b32_e32 v19, 0x7f800001
	s_mov_b32 s23, exec_lo
	s_delay_alu instid0(VALU_DEP_2)
	v_cmpx_ne_u32_e32 0x7f, v35
	s_cbranch_execz .LBB442_1174
; %bb.1171:                             ;   in Loop: Header=BB442_13 Depth=1
	v_lshrrev_b32_e32 v19, 3, v35
	v_cmp_gt_u32_e64 s1, 8, v35
	v_dual_mov_b32 v36, v34 :: v_dual_mov_b32 v35, v33
	s_delay_alu instid0(VALU_DEP_2)
	s_and_saveexec_b32 s24, s1
; %bb.1172:                             ;   in Loop: Header=BB442_13 Depth=1
	v_and_b32_e32 v19, 7, v33
	s_delay_alu instid0(VALU_DEP_1) | instskip(NEXT) | instid1(VALU_DEP_1)
	v_clz_i32_u32_e32 v19, v19
	v_min_u32_e32 v19, 32, v19
	s_delay_alu instid0(VALU_DEP_1) | instskip(SKIP_1) | instid1(VALU_DEP_2)
	v_subrev_nc_u32_e32 v35, 28, v19
	v_sub_nc_u32_e32 v19, 29, v19
	v_lshlrev_b64 v[35:36], v35, v[33:34]
; %bb.1173:                             ;   in Loop: Header=BB442_13 Depth=1
	s_or_b32 exec_lo, exec_lo, s24
	s_delay_alu instid0(VALU_DEP_1) | instskip(SKIP_2) | instid1(VALU_DEP_3)
	v_lshlrev_b32_e32 v35, 20, v35
	v_lshlrev_b32_e32 v36, 24, v33
	v_lshl_add_u32 v19, v19, 23, 0x3c000000
	v_and_b32_e32 v35, 0x700000, v35
	s_delay_alu instid0(VALU_DEP_3) | instskip(NEXT) | instid1(VALU_DEP_1)
	v_and_b32_e32 v36, 0x80000000, v36
	v_or3_b32 v19, v35, v36, v19
.LBB442_1174:                           ;   in Loop: Header=BB442_13 Depth=1
	s_or_b32 exec_lo, exec_lo, s23
.LBB442_1175:                           ;   in Loop: Header=BB442_13 Depth=1
	s_delay_alu instid0(SALU_CYCLE_1)
	s_or_b32 exec_lo, exec_lo, s22
.LBB442_1176:                           ;   in Loop: Header=BB442_13 Depth=1
	s_delay_alu instid0(SALU_CYCLE_1) | instskip(NEXT) | instid1(VALU_DEP_1)
	s_or_b32 exec_lo, exec_lo, s21
	v_mul_f32_e32 v19, v155, v19
                                        ; implicit-def: $vgpr176
	s_delay_alu instid0(VALU_DEP_1) | instskip(NEXT) | instid1(VALU_DEP_1)
	v_and_b32_e32 v35, 0x7f800000, v19
	v_cmp_ne_u32_e64 s1, 0x7f800000, v35
	s_delay_alu instid0(VALU_DEP_1) | instskip(NEXT) | instid1(SALU_CYCLE_1)
	s_and_saveexec_b32 s21, s1
	s_xor_b32 s1, exec_lo, s21
; %bb.1177:                             ;   in Loop: Header=BB442_13 Depth=1
	v_bfe_u32 v35, v19, 16, 1
	s_delay_alu instid0(VALU_DEP_1)
	v_add3_u32 v176, v19, v35, 0x7fff
                                        ; implicit-def: $vgpr19
; %bb.1178:                             ;   in Loop: Header=BB442_13 Depth=1
	s_and_not1_saveexec_b32 s21, s1
; %bb.1179:                             ;   in Loop: Header=BB442_13 Depth=1
	v_and_b32_e32 v35, 0xffff, v19
	v_or_b32_e32 v36, 0x10000, v19
	s_delay_alu instid0(VALU_DEP_2) | instskip(NEXT) | instid1(VALU_DEP_1)
	v_cmp_eq_u32_e64 s1, 0, v35
	v_cndmask_b32_e64 v176, v36, v19, s1
; %bb.1180:                             ;   in Loop: Header=BB442_13 Depth=1
	s_or_b32 exec_lo, exec_lo, s21
	v_lshrrev_b16 v35, 8, v33
	v_mov_b32_e32 v19, 0
	s_mov_b32 s21, exec_lo
	s_delay_alu instid0(VALU_DEP_2)
	v_cmpx_ne_u16_e32 0, v35
	s_cbranch_execz .LBB442_1188
; %bb.1181:                             ;   in Loop: Header=BB442_13 Depth=1
	v_bfrev_b32_e32 v19, 1
	s_mov_b32 s22, exec_lo
	v_cmpx_ne_u16_e32 0x80, v35
	s_cbranch_execz .LBB442_1187
; %bb.1182:                             ;   in Loop: Header=BB442_13 Depth=1
	v_and_b32_e32 v36, 0xffff, v35
	v_mov_b32_e32 v19, 0x7f800001
	s_mov_b32 s23, exec_lo
	s_delay_alu instid0(VALU_DEP_2) | instskip(NEXT) | instid1(VALU_DEP_1)
	v_and_b32_e32 v35, 0x7f, v36
	v_cmpx_ne_u32_e32 0x7f, v35
	s_cbranch_execz .LBB442_1186
; %bb.1183:                             ;   in Loop: Header=BB442_13 Depth=1
	v_and_b32_e32 v19, 7, v36
	v_lshrrev_b32_e32 v177, 3, v35
	v_cmp_gt_u32_e64 s1, 8, v35
	s_delay_alu instid0(VALU_DEP_3) | instskip(NEXT) | instid1(VALU_DEP_2)
	v_dual_mov_b32 v36, v20 :: v_dual_mov_b32 v35, v19
	s_and_saveexec_b32 s24, s1
; %bb.1184:                             ;   in Loop: Header=BB442_13 Depth=1
	v_clz_i32_u32_e32 v35, v19
	s_delay_alu instid0(VALU_DEP_1) | instskip(NEXT) | instid1(VALU_DEP_1)
	v_min_u32_e32 v177, 32, v35
	v_subrev_nc_u32_e32 v35, 28, v177
	v_sub_nc_u32_e32 v177, 29, v177
	s_delay_alu instid0(VALU_DEP_2) | instskip(NEXT) | instid1(VALU_DEP_1)
	v_lshlrev_b64 v[35:36], v35, v[19:20]
	v_and_b32_e32 v35, 7, v35
; %bb.1185:                             ;   in Loop: Header=BB442_13 Depth=1
	s_or_b32 exec_lo, exec_lo, s24
	v_lshlrev_b32_e32 v19, 16, v33
	s_delay_alu instid0(VALU_DEP_2) | instskip(SKIP_1) | instid1(VALU_DEP_3)
	v_lshlrev_b32_e32 v35, 20, v35
	v_lshl_add_u32 v36, v177, 23, 0x3c000000
	v_and_b32_e32 v19, 0x80000000, v19
	s_delay_alu instid0(VALU_DEP_1)
	v_or3_b32 v19, v35, v19, v36
.LBB442_1186:                           ;   in Loop: Header=BB442_13 Depth=1
	s_or_b32 exec_lo, exec_lo, s23
.LBB442_1187:                           ;   in Loop: Header=BB442_13 Depth=1
	s_delay_alu instid0(SALU_CYCLE_1)
	s_or_b32 exec_lo, exec_lo, s22
.LBB442_1188:                           ;   in Loop: Header=BB442_13 Depth=1
	s_delay_alu instid0(SALU_CYCLE_1) | instskip(NEXT) | instid1(VALU_DEP_1)
	s_or_b32 exec_lo, exec_lo, s21
	v_mul_f32_e32 v19, v155, v19
                                        ; implicit-def: $vgpr177
	s_delay_alu instid0(VALU_DEP_1) | instskip(NEXT) | instid1(VALU_DEP_1)
	v_and_b32_e32 v35, 0x7f800000, v19
	v_cmp_ne_u32_e64 s1, 0x7f800000, v35
	s_delay_alu instid0(VALU_DEP_1) | instskip(NEXT) | instid1(SALU_CYCLE_1)
	s_and_saveexec_b32 s21, s1
	s_xor_b32 s1, exec_lo, s21
; %bb.1189:                             ;   in Loop: Header=BB442_13 Depth=1
	v_bfe_u32 v35, v19, 16, 1
	s_delay_alu instid0(VALU_DEP_1)
	v_add3_u32 v177, v19, v35, 0x7fff
                                        ; implicit-def: $vgpr19
; %bb.1190:                             ;   in Loop: Header=BB442_13 Depth=1
	s_and_not1_saveexec_b32 s21, s1
; %bb.1191:                             ;   in Loop: Header=BB442_13 Depth=1
	v_and_b32_e32 v35, 0xffff, v19
	v_or_b32_e32 v36, 0x10000, v19
	s_delay_alu instid0(VALU_DEP_2) | instskip(NEXT) | instid1(VALU_DEP_1)
	v_cmp_eq_u32_e64 s1, 0, v35
	v_cndmask_b32_e64 v177, v36, v19, s1
; %bb.1192:                             ;   in Loop: Header=BB442_13 Depth=1
	s_or_b32 exec_lo, exec_lo, s21
	v_lshrrev_b32_e32 v178, 16, v33
	v_mov_b32_e32 v19, 0
	s_mov_b32 s21, exec_lo
	s_delay_alu instid0(VALU_DEP_2) | instskip(NEXT) | instid1(VALU_DEP_1)
	v_and_b32_e32 v35, 0xff, v178
	v_cmpx_ne_u16_e32 0, v35
	s_cbranch_execz .LBB442_1200
; %bb.1193:                             ;   in Loop: Header=BB442_13 Depth=1
	v_bfrev_b32_e32 v19, 1
	s_mov_b32 s22, exec_lo
	v_cmpx_ne_u16_e32 0x80, v35
	s_cbranch_execz .LBB442_1199
; %bb.1194:                             ;   in Loop: Header=BB442_13 Depth=1
	v_bfe_u32 v35, v33, 16, 7
	v_mov_b32_e32 v19, 0x7f800001
	s_mov_b32 s23, exec_lo
	s_delay_alu instid0(VALU_DEP_2)
	v_cmpx_ne_u32_e32 0x7f, v35
	s_cbranch_execz .LBB442_1198
; %bb.1195:                             ;   in Loop: Header=BB442_13 Depth=1
	v_and_b32_e32 v19, 7, v178
	v_lshrrev_b32_e32 v179, 3, v35
	v_cmp_gt_u32_e64 s1, 8, v35
	s_delay_alu instid0(VALU_DEP_3) | instskip(NEXT) | instid1(VALU_DEP_2)
	v_dual_mov_b32 v36, v20 :: v_dual_mov_b32 v35, v19
	s_and_saveexec_b32 s24, s1
; %bb.1196:                             ;   in Loop: Header=BB442_13 Depth=1
	v_clz_i32_u32_e32 v35, v19
	s_delay_alu instid0(VALU_DEP_1) | instskip(NEXT) | instid1(VALU_DEP_1)
	v_min_u32_e32 v179, 32, v35
	v_subrev_nc_u32_e32 v35, 28, v179
	v_sub_nc_u32_e32 v179, 29, v179
	s_delay_alu instid0(VALU_DEP_2) | instskip(NEXT) | instid1(VALU_DEP_1)
	v_lshlrev_b64 v[35:36], v35, v[19:20]
	v_and_b32_e32 v35, 7, v35
; %bb.1197:                             ;   in Loop: Header=BB442_13 Depth=1
	s_or_b32 exec_lo, exec_lo, s24
	v_lshlrev_b32_e32 v19, 24, v178
	s_delay_alu instid0(VALU_DEP_2) | instskip(SKIP_1) | instid1(VALU_DEP_3)
	v_lshlrev_b32_e32 v35, 20, v35
	v_lshl_add_u32 v36, v179, 23, 0x3c000000
	v_and_b32_e32 v19, 0x80000000, v19
	s_delay_alu instid0(VALU_DEP_1)
	v_or3_b32 v19, v35, v19, v36
.LBB442_1198:                           ;   in Loop: Header=BB442_13 Depth=1
	s_or_b32 exec_lo, exec_lo, s23
.LBB442_1199:                           ;   in Loop: Header=BB442_13 Depth=1
	s_delay_alu instid0(SALU_CYCLE_1)
	s_or_b32 exec_lo, exec_lo, s22
.LBB442_1200:                           ;   in Loop: Header=BB442_13 Depth=1
	s_delay_alu instid0(SALU_CYCLE_1) | instskip(NEXT) | instid1(VALU_DEP_1)
	s_or_b32 exec_lo, exec_lo, s21
	v_mul_f32_e32 v19, v155, v19
                                        ; implicit-def: $vgpr178
	s_delay_alu instid0(VALU_DEP_1) | instskip(NEXT) | instid1(VALU_DEP_1)
	v_and_b32_e32 v35, 0x7f800000, v19
	v_cmp_ne_u32_e64 s1, 0x7f800000, v35
	s_delay_alu instid0(VALU_DEP_1) | instskip(NEXT) | instid1(SALU_CYCLE_1)
	s_and_saveexec_b32 s21, s1
	s_xor_b32 s1, exec_lo, s21
; %bb.1201:                             ;   in Loop: Header=BB442_13 Depth=1
	v_bfe_u32 v35, v19, 16, 1
	s_delay_alu instid0(VALU_DEP_1)
	v_add3_u32 v178, v19, v35, 0x7fff
                                        ; implicit-def: $vgpr19
; %bb.1202:                             ;   in Loop: Header=BB442_13 Depth=1
	s_and_not1_saveexec_b32 s21, s1
; %bb.1203:                             ;   in Loop: Header=BB442_13 Depth=1
	v_and_b32_e32 v35, 0xffff, v19
	v_or_b32_e32 v36, 0x10000, v19
	s_delay_alu instid0(VALU_DEP_2) | instskip(NEXT) | instid1(VALU_DEP_1)
	v_cmp_eq_u32_e64 s1, 0, v35
	v_cndmask_b32_e64 v178, v36, v19, s1
; %bb.1204:                             ;   in Loop: Header=BB442_13 Depth=1
	s_or_b32 exec_lo, exec_lo, s21
	v_mov_b32_e32 v19, 0
	s_mov_b32 s21, exec_lo
	v_cmpx_lt_u32_e32 0xffffff, v33
	s_cbranch_execz .LBB442_1212
; %bb.1205:                             ;   in Loop: Header=BB442_13 Depth=1
	v_lshrrev_b32_e32 v179, 24, v33
	v_bfrev_b32_e32 v19, 1
	s_mov_b32 s22, exec_lo
	s_delay_alu instid0(VALU_DEP_2)
	v_cmpx_ne_u32_e32 0x80, v179
	s_cbranch_execz .LBB442_1211
; %bb.1206:                             ;   in Loop: Header=BB442_13 Depth=1
	v_bfe_u32 v35, v33, 24, 7
	v_mov_b32_e32 v19, 0x7f800001
	s_mov_b32 s23, exec_lo
	s_delay_alu instid0(VALU_DEP_2)
	v_cmpx_ne_u32_e32 0x7f, v35
	s_cbranch_execz .LBB442_1210
; %bb.1207:                             ;   in Loop: Header=BB442_13 Depth=1
	v_and_b32_e32 v19, 7, v179
	v_lshrrev_b32_e32 v180, 3, v35
	v_cmp_gt_u32_e64 s1, 8, v35
	s_delay_alu instid0(VALU_DEP_3) | instskip(NEXT) | instid1(VALU_DEP_2)
	v_dual_mov_b32 v36, v20 :: v_dual_mov_b32 v35, v19
	s_and_saveexec_b32 s24, s1
; %bb.1208:                             ;   in Loop: Header=BB442_13 Depth=1
	v_clz_i32_u32_e32 v35, v19
	s_delay_alu instid0(VALU_DEP_1) | instskip(NEXT) | instid1(VALU_DEP_1)
	v_min_u32_e32 v180, 32, v35
	v_subrev_nc_u32_e32 v35, 28, v180
	v_sub_nc_u32_e32 v180, 29, v180
	s_delay_alu instid0(VALU_DEP_2) | instskip(NEXT) | instid1(VALU_DEP_1)
	v_lshlrev_b64 v[35:36], v35, v[19:20]
	v_and_b32_e32 v35, 7, v35
; %bb.1209:                             ;   in Loop: Header=BB442_13 Depth=1
	s_or_b32 exec_lo, exec_lo, s24
	v_lshlrev_b32_e32 v19, 24, v179
	s_delay_alu instid0(VALU_DEP_2) | instskip(SKIP_1) | instid1(VALU_DEP_3)
	v_lshlrev_b32_e32 v35, 20, v35
	v_lshl_add_u32 v36, v180, 23, 0x3c000000
	v_and_b32_e32 v19, 0x80000000, v19
	s_delay_alu instid0(VALU_DEP_1)
	v_or3_b32 v19, v35, v19, v36
.LBB442_1210:                           ;   in Loop: Header=BB442_13 Depth=1
	s_or_b32 exec_lo, exec_lo, s23
.LBB442_1211:                           ;   in Loop: Header=BB442_13 Depth=1
	s_delay_alu instid0(SALU_CYCLE_1)
	s_or_b32 exec_lo, exec_lo, s22
.LBB442_1212:                           ;   in Loop: Header=BB442_13 Depth=1
	s_delay_alu instid0(SALU_CYCLE_1) | instskip(NEXT) | instid1(VALU_DEP_1)
	s_or_b32 exec_lo, exec_lo, s21
	v_mul_f32_e32 v19, v155, v19
                                        ; implicit-def: $vgpr179
	s_delay_alu instid0(VALU_DEP_1) | instskip(NEXT) | instid1(VALU_DEP_1)
	v_and_b32_e32 v35, 0x7f800000, v19
	v_cmp_ne_u32_e64 s1, 0x7f800000, v35
	s_delay_alu instid0(VALU_DEP_1) | instskip(NEXT) | instid1(SALU_CYCLE_1)
	s_and_saveexec_b32 s21, s1
	s_xor_b32 s1, exec_lo, s21
; %bb.1213:                             ;   in Loop: Header=BB442_13 Depth=1
	v_bfe_u32 v35, v19, 16, 1
	s_delay_alu instid0(VALU_DEP_1)
	v_add3_u32 v179, v19, v35, 0x7fff
                                        ; implicit-def: $vgpr19
; %bb.1214:                             ;   in Loop: Header=BB442_13 Depth=1
	s_and_not1_saveexec_b32 s21, s1
; %bb.1215:                             ;   in Loop: Header=BB442_13 Depth=1
	v_and_b32_e32 v35, 0xffff, v19
	v_or_b32_e32 v36, 0x10000, v19
	s_delay_alu instid0(VALU_DEP_2) | instskip(NEXT) | instid1(VALU_DEP_1)
	v_cmp_eq_u32_e64 s1, 0, v35
	v_cndmask_b32_e64 v179, v36, v19, s1
; %bb.1216:                             ;   in Loop: Header=BB442_13 Depth=1
	s_or_b32 exec_lo, exec_lo, s21
	v_dual_mov_b32 v19, v34 :: v_dual_and_b32 v36, 0xff, v34
	v_mov_b32_e32 v35, 0
	s_mov_b32 s21, exec_lo
	s_delay_alu instid0(VALU_DEP_2)
	v_cmpx_ne_u16_e32 0, v36
	s_cbranch_execz .LBB442_1224
; %bb.1217:                             ;   in Loop: Header=BB442_13 Depth=1
	v_bfrev_b32_e32 v35, 1
	s_mov_b32 s22, exec_lo
	v_cmpx_ne_u16_e32 0x80, v36
	s_cbranch_execz .LBB442_1223
; %bb.1218:                             ;   in Loop: Header=BB442_13 Depth=1
	v_and_b32_e32 v36, 0x7f, v34
	v_mov_b32_e32 v35, 0x7f800001
	s_mov_b32 s23, exec_lo
	s_delay_alu instid0(VALU_DEP_2)
	v_cmpx_ne_u32_e32 0x7f, v36
	s_cbranch_execz .LBB442_1222
; %bb.1219:                             ;   in Loop: Header=BB442_13 Depth=1
	v_lshrrev_b32_e32 v180, 3, v36
	v_cmp_gt_u32_e64 s1, 8, v36
	v_dual_mov_b32 v36, v20 :: v_dual_mov_b32 v35, v19
	s_delay_alu instid0(VALU_DEP_2)
	s_and_saveexec_b32 s24, s1
; %bb.1220:                             ;   in Loop: Header=BB442_13 Depth=1
	v_and_b32_e32 v35, 7, v34
	s_delay_alu instid0(VALU_DEP_1) | instskip(NEXT) | instid1(VALU_DEP_1)
	v_clz_i32_u32_e32 v35, v35
	v_min_u32_e32 v180, 32, v35
	s_delay_alu instid0(VALU_DEP_1) | instskip(SKIP_1) | instid1(VALU_DEP_2)
	v_subrev_nc_u32_e32 v35, 28, v180
	v_sub_nc_u32_e32 v180, 29, v180
	v_lshlrev_b64 v[35:36], v35, v[19:20]
; %bb.1221:                             ;   in Loop: Header=BB442_13 Depth=1
	s_or_b32 exec_lo, exec_lo, s24
	s_delay_alu instid0(VALU_DEP_1) | instskip(SKIP_2) | instid1(VALU_DEP_3)
	v_lshlrev_b32_e32 v35, 20, v35
	v_lshlrev_b32_e32 v36, 24, v19
	v_lshl_add_u32 v180, v180, 23, 0x3c000000
	v_and_b32_e32 v35, 0x700000, v35
	s_delay_alu instid0(VALU_DEP_3) | instskip(NEXT) | instid1(VALU_DEP_1)
	v_and_b32_e32 v36, 0x80000000, v36
	v_or3_b32 v35, v35, v36, v180
.LBB442_1222:                           ;   in Loop: Header=BB442_13 Depth=1
	s_or_b32 exec_lo, exec_lo, s23
.LBB442_1223:                           ;   in Loop: Header=BB442_13 Depth=1
	s_delay_alu instid0(SALU_CYCLE_1)
	s_or_b32 exec_lo, exec_lo, s22
.LBB442_1224:                           ;   in Loop: Header=BB442_13 Depth=1
	s_delay_alu instid0(SALU_CYCLE_1) | instskip(NEXT) | instid1(VALU_DEP_1)
	s_or_b32 exec_lo, exec_lo, s21
	v_mul_f32_e32 v35, v155, v35
                                        ; implicit-def: $vgpr180
	s_delay_alu instid0(VALU_DEP_1) | instskip(NEXT) | instid1(VALU_DEP_1)
	v_and_b32_e32 v36, 0x7f800000, v35
	v_cmp_ne_u32_e64 s1, 0x7f800000, v36
	s_delay_alu instid0(VALU_DEP_1) | instskip(NEXT) | instid1(SALU_CYCLE_1)
	s_and_saveexec_b32 s21, s1
	s_xor_b32 s1, exec_lo, s21
; %bb.1225:                             ;   in Loop: Header=BB442_13 Depth=1
	v_bfe_u32 v36, v35, 16, 1
	s_delay_alu instid0(VALU_DEP_1)
	v_add3_u32 v180, v35, v36, 0x7fff
                                        ; implicit-def: $vgpr35
; %bb.1226:                             ;   in Loop: Header=BB442_13 Depth=1
	s_and_not1_saveexec_b32 s21, s1
; %bb.1227:                             ;   in Loop: Header=BB442_13 Depth=1
	v_and_b32_e32 v36, 0xffff, v35
	v_or_b32_e32 v180, 0x10000, v35
	s_delay_alu instid0(VALU_DEP_2) | instskip(NEXT) | instid1(VALU_DEP_1)
	v_cmp_eq_u32_e64 s1, 0, v36
	v_cndmask_b32_e64 v180, v180, v35, s1
; %bb.1228:                             ;   in Loop: Header=BB442_13 Depth=1
	s_or_b32 exec_lo, exec_lo, s21
	v_lshrrev_b16 v36, 8, v19
	v_mov_b32_e32 v35, 0
	s_mov_b32 s21, exec_lo
	s_delay_alu instid0(VALU_DEP_2)
	v_cmpx_ne_u16_e32 0, v36
	s_cbranch_execz .LBB442_1236
; %bb.1229:                             ;   in Loop: Header=BB442_13 Depth=1
	v_bfrev_b32_e32 v35, 1
	s_mov_b32 s22, exec_lo
	v_cmpx_ne_u16_e32 0x80, v36
	s_cbranch_execz .LBB442_1235
; %bb.1230:                             ;   in Loop: Header=BB442_13 Depth=1
	v_and_b32_e32 v36, 0xffff, v36
	v_mov_b32_e32 v35, 0x7f800001
	s_mov_b32 s23, exec_lo
	s_delay_alu instid0(VALU_DEP_2) | instskip(NEXT) | instid1(VALU_DEP_1)
	v_and_b32_e32 v182, 0x7f, v36
	v_cmpx_ne_u32_e32 0x7f, v182
	s_cbranch_execz .LBB442_1234
; %bb.1231:                             ;   in Loop: Header=BB442_13 Depth=1
	v_dual_mov_b32 v36, v20 :: v_dual_and_b32 v35, 7, v36
	v_lshrrev_b32_e32 v181, 3, v182
	s_mov_b32 s24, exec_lo
	v_cmpx_gt_u32_e32 8, v182
; %bb.1232:                             ;   in Loop: Header=BB442_13 Depth=1
	s_delay_alu instid0(VALU_DEP_3) | instskip(NEXT) | instid1(VALU_DEP_1)
	v_clz_i32_u32_e32 v181, v35
	v_min_u32_e32 v181, 32, v181
	s_delay_alu instid0(VALU_DEP_1) | instskip(SKIP_1) | instid1(VALU_DEP_2)
	v_subrev_nc_u32_e32 v182, 28, v181
	v_sub_nc_u32_e32 v181, 29, v181
	v_lshlrev_b64 v[35:36], v182, v[35:36]
	s_delay_alu instid0(VALU_DEP_1)
	v_and_b32_e32 v35, 7, v35
; %bb.1233:                             ;   in Loop: Header=BB442_13 Depth=1
	s_or_b32 exec_lo, exec_lo, s24
	v_lshlrev_b32_e32 v19, 16, v19
	s_delay_alu instid0(VALU_DEP_2) | instskip(SKIP_1) | instid1(VALU_DEP_3)
	v_lshlrev_b32_e32 v35, 20, v35
	v_lshl_add_u32 v36, v181, 23, 0x3c000000
	v_and_b32_e32 v19, 0x80000000, v19
	s_delay_alu instid0(VALU_DEP_1)
	v_or3_b32 v35, v35, v19, v36
.LBB442_1234:                           ;   in Loop: Header=BB442_13 Depth=1
	s_or_b32 exec_lo, exec_lo, s23
.LBB442_1235:                           ;   in Loop: Header=BB442_13 Depth=1
	s_delay_alu instid0(SALU_CYCLE_1)
	s_or_b32 exec_lo, exec_lo, s22
.LBB442_1236:                           ;   in Loop: Header=BB442_13 Depth=1
	s_delay_alu instid0(SALU_CYCLE_1) | instskip(NEXT) | instid1(VALU_DEP_1)
	s_or_b32 exec_lo, exec_lo, s21
	v_mul_f32_e32 v19, v155, v35
                                        ; implicit-def: $vgpr181
	s_delay_alu instid0(VALU_DEP_1) | instskip(NEXT) | instid1(VALU_DEP_1)
	v_and_b32_e32 v35, 0x7f800000, v19
	v_cmp_ne_u32_e64 s1, 0x7f800000, v35
	s_delay_alu instid0(VALU_DEP_1) | instskip(NEXT) | instid1(SALU_CYCLE_1)
	s_and_saveexec_b32 s21, s1
	s_xor_b32 s1, exec_lo, s21
; %bb.1237:                             ;   in Loop: Header=BB442_13 Depth=1
	v_bfe_u32 v35, v19, 16, 1
	s_delay_alu instid0(VALU_DEP_1)
	v_add3_u32 v181, v19, v35, 0x7fff
                                        ; implicit-def: $vgpr19
; %bb.1238:                             ;   in Loop: Header=BB442_13 Depth=1
	s_and_not1_saveexec_b32 s21, s1
; %bb.1239:                             ;   in Loop: Header=BB442_13 Depth=1
	v_and_b32_e32 v35, 0xffff, v19
	v_or_b32_e32 v36, 0x10000, v19
	s_delay_alu instid0(VALU_DEP_2) | instskip(NEXT) | instid1(VALU_DEP_1)
	v_cmp_eq_u32_e64 s1, 0, v35
	v_cndmask_b32_e64 v181, v36, v19, s1
; %bb.1240:                             ;   in Loop: Header=BB442_13 Depth=1
	s_or_b32 exec_lo, exec_lo, s21
	v_lshrrev_b32_e32 v182, 16, v34
	v_mov_b32_e32 v19, 0
	s_mov_b32 s21, exec_lo
	s_delay_alu instid0(VALU_DEP_2) | instskip(NEXT) | instid1(VALU_DEP_1)
	v_and_b32_e32 v35, 0xff, v182
	v_cmpx_ne_u16_e32 0, v35
	s_cbranch_execz .LBB442_1248
; %bb.1241:                             ;   in Loop: Header=BB442_13 Depth=1
	v_bfrev_b32_e32 v19, 1
	s_mov_b32 s22, exec_lo
	v_cmpx_ne_u16_e32 0x80, v35
	s_cbranch_execz .LBB442_1247
; %bb.1242:                             ;   in Loop: Header=BB442_13 Depth=1
	v_bfe_u32 v35, v34, 16, 7
	v_mov_b32_e32 v19, 0x7f800001
	s_mov_b32 s23, exec_lo
	s_delay_alu instid0(VALU_DEP_2)
	v_cmpx_ne_u32_e32 0x7f, v35
	s_cbranch_execz .LBB442_1246
; %bb.1243:                             ;   in Loop: Header=BB442_13 Depth=1
	v_and_b32_e32 v19, 7, v182
	v_lshrrev_b32_e32 v183, 3, v35
	v_cmp_gt_u32_e64 s1, 8, v35
	s_delay_alu instid0(VALU_DEP_3) | instskip(NEXT) | instid1(VALU_DEP_2)
	v_dual_mov_b32 v36, v20 :: v_dual_mov_b32 v35, v19
	s_and_saveexec_b32 s24, s1
; %bb.1244:                             ;   in Loop: Header=BB442_13 Depth=1
	v_clz_i32_u32_e32 v35, v19
	s_delay_alu instid0(VALU_DEP_1) | instskip(NEXT) | instid1(VALU_DEP_1)
	v_min_u32_e32 v183, 32, v35
	v_subrev_nc_u32_e32 v35, 28, v183
	v_sub_nc_u32_e32 v183, 29, v183
	s_delay_alu instid0(VALU_DEP_2) | instskip(NEXT) | instid1(VALU_DEP_1)
	v_lshlrev_b64 v[35:36], v35, v[19:20]
	v_and_b32_e32 v35, 7, v35
; %bb.1245:                             ;   in Loop: Header=BB442_13 Depth=1
	s_or_b32 exec_lo, exec_lo, s24
	v_lshlrev_b32_e32 v19, 24, v182
	s_delay_alu instid0(VALU_DEP_2) | instskip(SKIP_1) | instid1(VALU_DEP_3)
	v_lshlrev_b32_e32 v35, 20, v35
	v_lshl_add_u32 v36, v183, 23, 0x3c000000
	v_and_b32_e32 v19, 0x80000000, v19
	s_delay_alu instid0(VALU_DEP_1)
	v_or3_b32 v19, v35, v19, v36
.LBB442_1246:                           ;   in Loop: Header=BB442_13 Depth=1
	s_or_b32 exec_lo, exec_lo, s23
.LBB442_1247:                           ;   in Loop: Header=BB442_13 Depth=1
	s_delay_alu instid0(SALU_CYCLE_1)
	s_or_b32 exec_lo, exec_lo, s22
.LBB442_1248:                           ;   in Loop: Header=BB442_13 Depth=1
	s_delay_alu instid0(SALU_CYCLE_1) | instskip(NEXT) | instid1(VALU_DEP_1)
	s_or_b32 exec_lo, exec_lo, s21
	v_mul_f32_e32 v19, v155, v19
	s_delay_alu instid0(VALU_DEP_1) | instskip(NEXT) | instid1(VALU_DEP_1)
	v_and_b32_e32 v35, 0x7f800000, v19
	v_cmp_ne_u32_e64 s1, 0x7f800000, v35
                                        ; implicit-def: $vgpr35
	s_delay_alu instid0(VALU_DEP_1) | instskip(NEXT) | instid1(SALU_CYCLE_1)
	s_and_saveexec_b32 s21, s1
	s_xor_b32 s1, exec_lo, s21
; %bb.1249:                             ;   in Loop: Header=BB442_13 Depth=1
	v_bfe_u32 v35, v19, 16, 1
	s_delay_alu instid0(VALU_DEP_1)
	v_add3_u32 v35, v19, v35, 0x7fff
                                        ; implicit-def: $vgpr19
; %bb.1250:                             ;   in Loop: Header=BB442_13 Depth=1
	s_and_not1_saveexec_b32 s21, s1
; %bb.1251:                             ;   in Loop: Header=BB442_13 Depth=1
	v_and_b32_e32 v35, 0xffff, v19
	v_or_b32_e32 v36, 0x10000, v19
	s_delay_alu instid0(VALU_DEP_2) | instskip(NEXT) | instid1(VALU_DEP_1)
	v_cmp_eq_u32_e64 s1, 0, v35
	v_cndmask_b32_e64 v35, v36, v19, s1
; %bb.1252:                             ;   in Loop: Header=BB442_13 Depth=1
	s_or_b32 exec_lo, exec_lo, s21
	v_mov_b32_e32 v19, 0
	s_mov_b32 s21, exec_lo
	v_cmpx_lt_u64_e64 s[16:17], v[33:34]
	s_cbranch_execz .LBB442_1260
; %bb.1253:                             ;   in Loop: Header=BB442_13 Depth=1
	v_lshrrev_b32_e32 v36, 24, v34
	v_bfrev_b32_e32 v19, 1
	s_mov_b32 s22, exec_lo
	s_delay_alu instid0(VALU_DEP_2)
	v_cmpx_ne_u32_e32 0x80, v36
	s_cbranch_execz .LBB442_1259
; %bb.1254:                             ;   in Loop: Header=BB442_13 Depth=1
	v_bfe_u32 v33, v34, 24, 7
	v_mov_b32_e32 v19, 0x7f800001
	s_mov_b32 s23, exec_lo
	s_delay_alu instid0(VALU_DEP_2)
	v_cmpx_ne_u32_e32 0x7f, v33
	s_cbranch_execz .LBB442_1258
; %bb.1255:                             ;   in Loop: Header=BB442_13 Depth=1
	v_and_b32_e32 v19, 7, v36
	v_lshrrev_b32_e32 v182, 3, v33
	v_cmp_gt_u32_e64 s1, 8, v33
	s_delay_alu instid0(VALU_DEP_3) | instskip(NEXT) | instid1(VALU_DEP_2)
	v_dual_mov_b32 v34, v20 :: v_dual_mov_b32 v33, v19
	s_and_saveexec_b32 s24, s1
; %bb.1256:                             ;   in Loop: Header=BB442_13 Depth=1
	v_clz_i32_u32_e32 v33, v19
	s_delay_alu instid0(VALU_DEP_1) | instskip(NEXT) | instid1(VALU_DEP_1)
	v_min_u32_e32 v182, 32, v33
	v_subrev_nc_u32_e32 v33, 28, v182
	v_sub_nc_u32_e32 v182, 29, v182
	s_delay_alu instid0(VALU_DEP_2) | instskip(NEXT) | instid1(VALU_DEP_1)
	v_lshlrev_b64 v[33:34], v33, v[19:20]
	v_and_b32_e32 v33, 7, v33
; %bb.1257:                             ;   in Loop: Header=BB442_13 Depth=1
	s_or_b32 exec_lo, exec_lo, s24
	v_lshlrev_b32_e32 v19, 24, v36
	s_delay_alu instid0(VALU_DEP_2) | instskip(SKIP_1) | instid1(VALU_DEP_3)
	v_lshlrev_b32_e32 v33, 20, v33
	v_lshl_add_u32 v34, v182, 23, 0x3c000000
	v_and_b32_e32 v19, 0x80000000, v19
	s_delay_alu instid0(VALU_DEP_1)
	v_or3_b32 v19, v33, v19, v34
.LBB442_1258:                           ;   in Loop: Header=BB442_13 Depth=1
	s_or_b32 exec_lo, exec_lo, s23
.LBB442_1259:                           ;   in Loop: Header=BB442_13 Depth=1
	s_delay_alu instid0(SALU_CYCLE_1)
	s_or_b32 exec_lo, exec_lo, s22
.LBB442_1260:                           ;   in Loop: Header=BB442_13 Depth=1
	s_delay_alu instid0(SALU_CYCLE_1) | instskip(NEXT) | instid1(VALU_DEP_1)
	s_or_b32 exec_lo, exec_lo, s21
	v_mul_f32_e32 v19, v155, v19
                                        ; implicit-def: $vgpr36
	s_delay_alu instid0(VALU_DEP_1) | instskip(NEXT) | instid1(VALU_DEP_1)
	v_and_b32_e32 v33, 0x7f800000, v19
	v_cmp_ne_u32_e64 s1, 0x7f800000, v33
	s_delay_alu instid0(VALU_DEP_1) | instskip(NEXT) | instid1(SALU_CYCLE_1)
	s_and_saveexec_b32 s21, s1
	s_xor_b32 s1, exec_lo, s21
; %bb.1261:                             ;   in Loop: Header=BB442_13 Depth=1
	v_bfe_u32 v33, v19, 16, 1
	s_delay_alu instid0(VALU_DEP_1)
	v_add3_u32 v36, v19, v33, 0x7fff
                                        ; implicit-def: $vgpr19
; %bb.1262:                             ;   in Loop: Header=BB442_13 Depth=1
	s_and_not1_saveexec_b32 s21, s1
; %bb.1263:                             ;   in Loop: Header=BB442_13 Depth=1
	v_and_b32_e32 v33, 0xffff, v19
	v_or_b32_e32 v34, 0x10000, v19
	s_delay_alu instid0(VALU_DEP_2) | instskip(NEXT) | instid1(VALU_DEP_1)
	v_cmp_eq_u32_e64 s1, 0, v33
	v_cndmask_b32_e64 v36, v34, v19, s1
; %bb.1264:                             ;   in Loop: Header=BB442_13 Depth=1
	s_or_b32 exec_lo, exec_lo, s21
	flat_load_b64 v[31:32], v[31:32] offset:3080
	v_mov_b32_e32 v19, 0
	s_mov_b32 s21, exec_lo
	s_waitcnt vmcnt(0) lgkmcnt(0)
	v_and_b32_e32 v33, 0xff, v31
	s_delay_alu instid0(VALU_DEP_1)
	v_cmpx_ne_u16_e32 0, v33
	s_cbranch_execz .LBB442_1272
; %bb.1265:                             ;   in Loop: Header=BB442_13 Depth=1
	v_bfrev_b32_e32 v19, 1
	s_mov_b32 s22, exec_lo
	v_cmpx_ne_u16_e32 0x80, v33
	s_cbranch_execz .LBB442_1271
; %bb.1266:                             ;   in Loop: Header=BB442_13 Depth=1
	v_and_b32_e32 v33, 0x7f, v31
	v_mov_b32_e32 v19, 0x7f800001
	s_mov_b32 s23, exec_lo
	s_delay_alu instid0(VALU_DEP_2)
	v_cmpx_ne_u32_e32 0x7f, v33
	s_cbranch_execz .LBB442_1270
; %bb.1267:                             ;   in Loop: Header=BB442_13 Depth=1
	v_lshrrev_b32_e32 v19, 3, v33
	v_cmp_gt_u32_e64 s1, 8, v33
	v_dual_mov_b32 v34, v32 :: v_dual_mov_b32 v33, v31
	s_delay_alu instid0(VALU_DEP_2)
	s_and_saveexec_b32 s24, s1
; %bb.1268:                             ;   in Loop: Header=BB442_13 Depth=1
	v_and_b32_e32 v19, 7, v31
	s_delay_alu instid0(VALU_DEP_1) | instskip(NEXT) | instid1(VALU_DEP_1)
	v_clz_i32_u32_e32 v19, v19
	v_min_u32_e32 v19, 32, v19
	s_delay_alu instid0(VALU_DEP_1) | instskip(SKIP_1) | instid1(VALU_DEP_2)
	v_subrev_nc_u32_e32 v33, 28, v19
	v_sub_nc_u32_e32 v19, 29, v19
	v_lshlrev_b64 v[33:34], v33, v[31:32]
; %bb.1269:                             ;   in Loop: Header=BB442_13 Depth=1
	s_or_b32 exec_lo, exec_lo, s24
	s_delay_alu instid0(VALU_DEP_1) | instskip(SKIP_2) | instid1(VALU_DEP_3)
	v_lshlrev_b32_e32 v33, 20, v33
	v_lshlrev_b32_e32 v34, 24, v31
	v_lshl_add_u32 v19, v19, 23, 0x3c000000
	v_and_b32_e32 v33, 0x700000, v33
	s_delay_alu instid0(VALU_DEP_3) | instskip(NEXT) | instid1(VALU_DEP_1)
	v_and_b32_e32 v34, 0x80000000, v34
	v_or3_b32 v19, v33, v34, v19
.LBB442_1270:                           ;   in Loop: Header=BB442_13 Depth=1
	s_or_b32 exec_lo, exec_lo, s23
.LBB442_1271:                           ;   in Loop: Header=BB442_13 Depth=1
	s_delay_alu instid0(SALU_CYCLE_1)
	s_or_b32 exec_lo, exec_lo, s22
.LBB442_1272:                           ;   in Loop: Header=BB442_13 Depth=1
	s_delay_alu instid0(SALU_CYCLE_1) | instskip(NEXT) | instid1(VALU_DEP_1)
	s_or_b32 exec_lo, exec_lo, s21
	v_mul_f32_e32 v19, v155, v19
                                        ; implicit-def: $vgpr182
	s_delay_alu instid0(VALU_DEP_1) | instskip(NEXT) | instid1(VALU_DEP_1)
	v_and_b32_e32 v33, 0x7f800000, v19
	v_cmp_ne_u32_e64 s1, 0x7f800000, v33
	s_delay_alu instid0(VALU_DEP_1) | instskip(NEXT) | instid1(SALU_CYCLE_1)
	s_and_saveexec_b32 s21, s1
	s_xor_b32 s1, exec_lo, s21
; %bb.1273:                             ;   in Loop: Header=BB442_13 Depth=1
	v_bfe_u32 v33, v19, 16, 1
	s_delay_alu instid0(VALU_DEP_1)
	v_add3_u32 v182, v19, v33, 0x7fff
                                        ; implicit-def: $vgpr19
; %bb.1274:                             ;   in Loop: Header=BB442_13 Depth=1
	s_and_not1_saveexec_b32 s21, s1
; %bb.1275:                             ;   in Loop: Header=BB442_13 Depth=1
	v_and_b32_e32 v33, 0xffff, v19
	v_or_b32_e32 v34, 0x10000, v19
	s_delay_alu instid0(VALU_DEP_2) | instskip(NEXT) | instid1(VALU_DEP_1)
	v_cmp_eq_u32_e64 s1, 0, v33
	v_cndmask_b32_e64 v182, v34, v19, s1
; %bb.1276:                             ;   in Loop: Header=BB442_13 Depth=1
	s_or_b32 exec_lo, exec_lo, s21
	v_lshrrev_b16 v33, 8, v31
	v_mov_b32_e32 v19, 0
	s_mov_b32 s21, exec_lo
	s_delay_alu instid0(VALU_DEP_2)
	v_cmpx_ne_u16_e32 0, v33
	s_cbranch_execz .LBB442_1284
; %bb.1277:                             ;   in Loop: Header=BB442_13 Depth=1
	v_bfrev_b32_e32 v19, 1
	s_mov_b32 s22, exec_lo
	v_cmpx_ne_u16_e32 0x80, v33
	s_cbranch_execz .LBB442_1283
; %bb.1278:                             ;   in Loop: Header=BB442_13 Depth=1
	v_and_b32_e32 v34, 0xffff, v33
	v_mov_b32_e32 v19, 0x7f800001
	s_mov_b32 s23, exec_lo
	s_delay_alu instid0(VALU_DEP_2) | instskip(NEXT) | instid1(VALU_DEP_1)
	v_and_b32_e32 v33, 0x7f, v34
	v_cmpx_ne_u32_e32 0x7f, v33
	s_cbranch_execz .LBB442_1282
; %bb.1279:                             ;   in Loop: Header=BB442_13 Depth=1
	v_and_b32_e32 v19, 7, v34
	v_lshrrev_b32_e32 v183, 3, v33
	v_cmp_gt_u32_e64 s1, 8, v33
	s_delay_alu instid0(VALU_DEP_3) | instskip(NEXT) | instid1(VALU_DEP_2)
	v_dual_mov_b32 v34, v20 :: v_dual_mov_b32 v33, v19
	s_and_saveexec_b32 s24, s1
; %bb.1280:                             ;   in Loop: Header=BB442_13 Depth=1
	v_clz_i32_u32_e32 v33, v19
	s_delay_alu instid0(VALU_DEP_1) | instskip(NEXT) | instid1(VALU_DEP_1)
	v_min_u32_e32 v183, 32, v33
	v_subrev_nc_u32_e32 v33, 28, v183
	v_sub_nc_u32_e32 v183, 29, v183
	s_delay_alu instid0(VALU_DEP_2) | instskip(NEXT) | instid1(VALU_DEP_1)
	v_lshlrev_b64 v[33:34], v33, v[19:20]
	v_and_b32_e32 v33, 7, v33
; %bb.1281:                             ;   in Loop: Header=BB442_13 Depth=1
	s_or_b32 exec_lo, exec_lo, s24
	v_lshlrev_b32_e32 v19, 16, v31
	s_delay_alu instid0(VALU_DEP_2) | instskip(SKIP_1) | instid1(VALU_DEP_3)
	v_lshlrev_b32_e32 v33, 20, v33
	v_lshl_add_u32 v34, v183, 23, 0x3c000000
	v_and_b32_e32 v19, 0x80000000, v19
	s_delay_alu instid0(VALU_DEP_1)
	v_or3_b32 v19, v33, v19, v34
.LBB442_1282:                           ;   in Loop: Header=BB442_13 Depth=1
	s_or_b32 exec_lo, exec_lo, s23
.LBB442_1283:                           ;   in Loop: Header=BB442_13 Depth=1
	s_delay_alu instid0(SALU_CYCLE_1)
	s_or_b32 exec_lo, exec_lo, s22
.LBB442_1284:                           ;   in Loop: Header=BB442_13 Depth=1
	s_delay_alu instid0(SALU_CYCLE_1) | instskip(NEXT) | instid1(VALU_DEP_1)
	s_or_b32 exec_lo, exec_lo, s21
	v_mul_f32_e32 v19, v155, v19
                                        ; implicit-def: $vgpr183
	s_delay_alu instid0(VALU_DEP_1) | instskip(NEXT) | instid1(VALU_DEP_1)
	v_and_b32_e32 v33, 0x7f800000, v19
	v_cmp_ne_u32_e64 s1, 0x7f800000, v33
	s_delay_alu instid0(VALU_DEP_1) | instskip(NEXT) | instid1(SALU_CYCLE_1)
	s_and_saveexec_b32 s21, s1
	s_xor_b32 s1, exec_lo, s21
; %bb.1285:                             ;   in Loop: Header=BB442_13 Depth=1
	v_bfe_u32 v33, v19, 16, 1
	s_delay_alu instid0(VALU_DEP_1)
	v_add3_u32 v183, v19, v33, 0x7fff
                                        ; implicit-def: $vgpr19
; %bb.1286:                             ;   in Loop: Header=BB442_13 Depth=1
	s_and_not1_saveexec_b32 s21, s1
; %bb.1287:                             ;   in Loop: Header=BB442_13 Depth=1
	v_and_b32_e32 v33, 0xffff, v19
	v_or_b32_e32 v34, 0x10000, v19
	s_delay_alu instid0(VALU_DEP_2) | instskip(NEXT) | instid1(VALU_DEP_1)
	v_cmp_eq_u32_e64 s1, 0, v33
	v_cndmask_b32_e64 v183, v34, v19, s1
; %bb.1288:                             ;   in Loop: Header=BB442_13 Depth=1
	s_or_b32 exec_lo, exec_lo, s21
	v_lshrrev_b32_e32 v40, 16, v31
	v_mov_b32_e32 v19, 0
	s_mov_b32 s21, exec_lo
	s_delay_alu instid0(VALU_DEP_2) | instskip(NEXT) | instid1(VALU_DEP_1)
	v_and_b32_e32 v33, 0xff, v40
	v_cmpx_ne_u16_e32 0, v33
	s_cbranch_execz .LBB442_1296
; %bb.1289:                             ;   in Loop: Header=BB442_13 Depth=1
	v_bfrev_b32_e32 v19, 1
	s_mov_b32 s22, exec_lo
	v_cmpx_ne_u16_e32 0x80, v33
	s_cbranch_execz .LBB442_1295
; %bb.1290:                             ;   in Loop: Header=BB442_13 Depth=1
	v_bfe_u32 v33, v31, 16, 7
	v_mov_b32_e32 v19, 0x7f800001
	s_mov_b32 s23, exec_lo
	s_delay_alu instid0(VALU_DEP_2)
	v_cmpx_ne_u32_e32 0x7f, v33
	s_cbranch_execz .LBB442_1294
; %bb.1291:                             ;   in Loop: Header=BB442_13 Depth=1
	v_and_b32_e32 v19, 7, v40
	v_lshrrev_b32_e32 v41, 3, v33
	v_cmp_gt_u32_e64 s1, 8, v33
	s_delay_alu instid0(VALU_DEP_3) | instskip(NEXT) | instid1(VALU_DEP_2)
	v_dual_mov_b32 v34, v20 :: v_dual_mov_b32 v33, v19
	s_and_saveexec_b32 s24, s1
; %bb.1292:                             ;   in Loop: Header=BB442_13 Depth=1
	v_clz_i32_u32_e32 v33, v19
	s_delay_alu instid0(VALU_DEP_1) | instskip(NEXT) | instid1(VALU_DEP_1)
	v_min_u32_e32 v41, 32, v33
	v_subrev_nc_u32_e32 v33, 28, v41
	v_sub_nc_u32_e32 v41, 29, v41
	s_delay_alu instid0(VALU_DEP_2) | instskip(NEXT) | instid1(VALU_DEP_1)
	v_lshlrev_b64 v[33:34], v33, v[19:20]
	v_and_b32_e32 v33, 7, v33
; %bb.1293:                             ;   in Loop: Header=BB442_13 Depth=1
	s_or_b32 exec_lo, exec_lo, s24
	v_lshlrev_b32_e32 v19, 24, v40
	s_delay_alu instid0(VALU_DEP_2) | instskip(SKIP_1) | instid1(VALU_DEP_3)
	v_lshlrev_b32_e32 v33, 20, v33
	v_lshl_add_u32 v34, v41, 23, 0x3c000000
	v_and_b32_e32 v19, 0x80000000, v19
	s_delay_alu instid0(VALU_DEP_1)
	v_or3_b32 v19, v33, v19, v34
.LBB442_1294:                           ;   in Loop: Header=BB442_13 Depth=1
	s_or_b32 exec_lo, exec_lo, s23
.LBB442_1295:                           ;   in Loop: Header=BB442_13 Depth=1
	s_delay_alu instid0(SALU_CYCLE_1)
	s_or_b32 exec_lo, exec_lo, s22
.LBB442_1296:                           ;   in Loop: Header=BB442_13 Depth=1
	s_delay_alu instid0(SALU_CYCLE_1) | instskip(NEXT) | instid1(VALU_DEP_1)
	s_or_b32 exec_lo, exec_lo, s21
	v_mul_f32_e32 v19, v155, v19
                                        ; implicit-def: $vgpr40
	s_delay_alu instid0(VALU_DEP_1) | instskip(NEXT) | instid1(VALU_DEP_1)
	v_and_b32_e32 v33, 0x7f800000, v19
	v_cmp_ne_u32_e64 s1, 0x7f800000, v33
	s_delay_alu instid0(VALU_DEP_1) | instskip(NEXT) | instid1(SALU_CYCLE_1)
	s_and_saveexec_b32 s21, s1
	s_xor_b32 s1, exec_lo, s21
; %bb.1297:                             ;   in Loop: Header=BB442_13 Depth=1
	v_bfe_u32 v33, v19, 16, 1
	s_delay_alu instid0(VALU_DEP_1)
	v_add3_u32 v40, v19, v33, 0x7fff
                                        ; implicit-def: $vgpr19
; %bb.1298:                             ;   in Loop: Header=BB442_13 Depth=1
	s_and_not1_saveexec_b32 s21, s1
; %bb.1299:                             ;   in Loop: Header=BB442_13 Depth=1
	v_and_b32_e32 v33, 0xffff, v19
	v_or_b32_e32 v34, 0x10000, v19
	s_delay_alu instid0(VALU_DEP_2) | instskip(NEXT) | instid1(VALU_DEP_1)
	v_cmp_eq_u32_e64 s1, 0, v33
	v_cndmask_b32_e64 v40, v34, v19, s1
; %bb.1300:                             ;   in Loop: Header=BB442_13 Depth=1
	s_or_b32 exec_lo, exec_lo, s21
	v_mov_b32_e32 v19, 0
	s_mov_b32 s21, exec_lo
	v_cmpx_lt_u32_e32 0xffffff, v31
	s_cbranch_execz .LBB442_1308
; %bb.1301:                             ;   in Loop: Header=BB442_13 Depth=1
	v_lshrrev_b32_e32 v41, 24, v31
	v_bfrev_b32_e32 v19, 1
	s_mov_b32 s22, exec_lo
	s_delay_alu instid0(VALU_DEP_2)
	v_cmpx_ne_u32_e32 0x80, v41
	s_cbranch_execz .LBB442_1307
; %bb.1302:                             ;   in Loop: Header=BB442_13 Depth=1
	v_bfe_u32 v33, v31, 24, 7
	v_mov_b32_e32 v19, 0x7f800001
	s_mov_b32 s23, exec_lo
	s_delay_alu instid0(VALU_DEP_2)
	v_cmpx_ne_u32_e32 0x7f, v33
	s_cbranch_execz .LBB442_1306
; %bb.1303:                             ;   in Loop: Header=BB442_13 Depth=1
	v_and_b32_e32 v19, 7, v41
	v_lshrrev_b32_e32 v42, 3, v33
	v_cmp_gt_u32_e64 s1, 8, v33
	s_delay_alu instid0(VALU_DEP_3) | instskip(NEXT) | instid1(VALU_DEP_2)
	v_dual_mov_b32 v34, v20 :: v_dual_mov_b32 v33, v19
	s_and_saveexec_b32 s24, s1
; %bb.1304:                             ;   in Loop: Header=BB442_13 Depth=1
	v_clz_i32_u32_e32 v33, v19
	s_delay_alu instid0(VALU_DEP_1) | instskip(NEXT) | instid1(VALU_DEP_1)
	v_min_u32_e32 v42, 32, v33
	v_subrev_nc_u32_e32 v33, 28, v42
	v_sub_nc_u32_e32 v42, 29, v42
	s_delay_alu instid0(VALU_DEP_2) | instskip(NEXT) | instid1(VALU_DEP_1)
	v_lshlrev_b64 v[33:34], v33, v[19:20]
	v_and_b32_e32 v33, 7, v33
; %bb.1305:                             ;   in Loop: Header=BB442_13 Depth=1
	s_or_b32 exec_lo, exec_lo, s24
	v_lshlrev_b32_e32 v19, 24, v41
	s_delay_alu instid0(VALU_DEP_2) | instskip(SKIP_1) | instid1(VALU_DEP_3)
	v_lshlrev_b32_e32 v33, 20, v33
	v_lshl_add_u32 v34, v42, 23, 0x3c000000
	v_and_b32_e32 v19, 0x80000000, v19
	s_delay_alu instid0(VALU_DEP_1)
	v_or3_b32 v19, v33, v19, v34
.LBB442_1306:                           ;   in Loop: Header=BB442_13 Depth=1
	s_or_b32 exec_lo, exec_lo, s23
.LBB442_1307:                           ;   in Loop: Header=BB442_13 Depth=1
	s_delay_alu instid0(SALU_CYCLE_1)
	s_or_b32 exec_lo, exec_lo, s22
.LBB442_1308:                           ;   in Loop: Header=BB442_13 Depth=1
	s_delay_alu instid0(SALU_CYCLE_1) | instskip(NEXT) | instid1(VALU_DEP_1)
	s_or_b32 exec_lo, exec_lo, s21
	v_mul_f32_e32 v19, v155, v19
                                        ; implicit-def: $vgpr41
	s_delay_alu instid0(VALU_DEP_1) | instskip(NEXT) | instid1(VALU_DEP_1)
	v_and_b32_e32 v33, 0x7f800000, v19
	v_cmp_ne_u32_e64 s1, 0x7f800000, v33
	s_delay_alu instid0(VALU_DEP_1) | instskip(NEXT) | instid1(SALU_CYCLE_1)
	s_and_saveexec_b32 s21, s1
	s_xor_b32 s1, exec_lo, s21
; %bb.1309:                             ;   in Loop: Header=BB442_13 Depth=1
	v_bfe_u32 v33, v19, 16, 1
	s_delay_alu instid0(VALU_DEP_1)
	v_add3_u32 v41, v19, v33, 0x7fff
                                        ; implicit-def: $vgpr19
; %bb.1310:                             ;   in Loop: Header=BB442_13 Depth=1
	s_and_not1_saveexec_b32 s21, s1
; %bb.1311:                             ;   in Loop: Header=BB442_13 Depth=1
	v_and_b32_e32 v33, 0xffff, v19
	v_or_b32_e32 v34, 0x10000, v19
	s_delay_alu instid0(VALU_DEP_2) | instskip(NEXT) | instid1(VALU_DEP_1)
	v_cmp_eq_u32_e64 s1, 0, v33
	v_cndmask_b32_e64 v41, v34, v19, s1
; %bb.1312:                             ;   in Loop: Header=BB442_13 Depth=1
	s_or_b32 exec_lo, exec_lo, s21
	v_dual_mov_b32 v19, v32 :: v_dual_and_b32 v34, 0xff, v32
	v_mov_b32_e32 v33, 0
	s_mov_b32 s21, exec_lo
	s_delay_alu instid0(VALU_DEP_2)
	v_cmpx_ne_u16_e32 0, v34
	s_cbranch_execz .LBB442_1320
; %bb.1313:                             ;   in Loop: Header=BB442_13 Depth=1
	v_bfrev_b32_e32 v33, 1
	s_mov_b32 s22, exec_lo
	v_cmpx_ne_u16_e32 0x80, v34
	s_cbranch_execz .LBB442_1319
; %bb.1314:                             ;   in Loop: Header=BB442_13 Depth=1
	v_and_b32_e32 v34, 0x7f, v32
	v_mov_b32_e32 v33, 0x7f800001
	s_mov_b32 s23, exec_lo
	s_delay_alu instid0(VALU_DEP_2)
	v_cmpx_ne_u32_e32 0x7f, v34
	s_cbranch_execz .LBB442_1318
; %bb.1315:                             ;   in Loop: Header=BB442_13 Depth=1
	v_lshrrev_b32_e32 v42, 3, v34
	v_cmp_gt_u32_e64 s1, 8, v34
	v_dual_mov_b32 v34, v20 :: v_dual_mov_b32 v33, v19
	s_delay_alu instid0(VALU_DEP_2)
	s_and_saveexec_b32 s24, s1
; %bb.1316:                             ;   in Loop: Header=BB442_13 Depth=1
	v_and_b32_e32 v33, 7, v32
	s_delay_alu instid0(VALU_DEP_1) | instskip(NEXT) | instid1(VALU_DEP_1)
	v_clz_i32_u32_e32 v33, v33
	v_min_u32_e32 v42, 32, v33
	s_delay_alu instid0(VALU_DEP_1) | instskip(SKIP_1) | instid1(VALU_DEP_2)
	v_subrev_nc_u32_e32 v33, 28, v42
	v_sub_nc_u32_e32 v42, 29, v42
	v_lshlrev_b64 v[33:34], v33, v[19:20]
; %bb.1317:                             ;   in Loop: Header=BB442_13 Depth=1
	s_or_b32 exec_lo, exec_lo, s24
	s_delay_alu instid0(VALU_DEP_1) | instskip(SKIP_2) | instid1(VALU_DEP_3)
	v_lshlrev_b32_e32 v33, 20, v33
	v_lshlrev_b32_e32 v34, 24, v19
	v_lshl_add_u32 v42, v42, 23, 0x3c000000
	v_and_b32_e32 v33, 0x700000, v33
	s_delay_alu instid0(VALU_DEP_3) | instskip(NEXT) | instid1(VALU_DEP_1)
	v_and_b32_e32 v34, 0x80000000, v34
	v_or3_b32 v33, v33, v34, v42
.LBB442_1318:                           ;   in Loop: Header=BB442_13 Depth=1
	s_or_b32 exec_lo, exec_lo, s23
.LBB442_1319:                           ;   in Loop: Header=BB442_13 Depth=1
	s_delay_alu instid0(SALU_CYCLE_1)
	s_or_b32 exec_lo, exec_lo, s22
.LBB442_1320:                           ;   in Loop: Header=BB442_13 Depth=1
	s_delay_alu instid0(SALU_CYCLE_1) | instskip(NEXT) | instid1(VALU_DEP_1)
	s_or_b32 exec_lo, exec_lo, s21
	v_mul_f32_e32 v33, v155, v33
                                        ; implicit-def: $vgpr42
	s_delay_alu instid0(VALU_DEP_1) | instskip(NEXT) | instid1(VALU_DEP_1)
	v_and_b32_e32 v34, 0x7f800000, v33
	v_cmp_ne_u32_e64 s1, 0x7f800000, v34
	s_delay_alu instid0(VALU_DEP_1) | instskip(NEXT) | instid1(SALU_CYCLE_1)
	s_and_saveexec_b32 s21, s1
	s_xor_b32 s1, exec_lo, s21
; %bb.1321:                             ;   in Loop: Header=BB442_13 Depth=1
	v_bfe_u32 v34, v33, 16, 1
	s_delay_alu instid0(VALU_DEP_1)
	v_add3_u32 v42, v33, v34, 0x7fff
                                        ; implicit-def: $vgpr33
; %bb.1322:                             ;   in Loop: Header=BB442_13 Depth=1
	s_and_not1_saveexec_b32 s21, s1
; %bb.1323:                             ;   in Loop: Header=BB442_13 Depth=1
	v_and_b32_e32 v34, 0xffff, v33
	v_or_b32_e32 v42, 0x10000, v33
	s_delay_alu instid0(VALU_DEP_2) | instskip(NEXT) | instid1(VALU_DEP_1)
	v_cmp_eq_u32_e64 s1, 0, v34
	v_cndmask_b32_e64 v42, v42, v33, s1
; %bb.1324:                             ;   in Loop: Header=BB442_13 Depth=1
	s_or_b32 exec_lo, exec_lo, s21
	v_lshrrev_b16 v34, 8, v19
	v_mov_b32_e32 v33, 0
	s_mov_b32 s21, exec_lo
	s_delay_alu instid0(VALU_DEP_2)
	v_cmpx_ne_u16_e32 0, v34
	s_cbranch_execz .LBB442_1332
; %bb.1325:                             ;   in Loop: Header=BB442_13 Depth=1
	v_bfrev_b32_e32 v33, 1
	s_mov_b32 s22, exec_lo
	v_cmpx_ne_u16_e32 0x80, v34
	s_cbranch_execz .LBB442_1331
; %bb.1326:                             ;   in Loop: Header=BB442_13 Depth=1
	v_and_b32_e32 v34, 0xffff, v34
	v_mov_b32_e32 v33, 0x7f800001
	s_mov_b32 s23, exec_lo
	s_delay_alu instid0(VALU_DEP_2) | instskip(NEXT) | instid1(VALU_DEP_1)
	v_and_b32_e32 v44, 0x7f, v34
	v_cmpx_ne_u32_e32 0x7f, v44
	s_cbranch_execz .LBB442_1330
; %bb.1327:                             ;   in Loop: Header=BB442_13 Depth=1
	v_dual_mov_b32 v34, v20 :: v_dual_and_b32 v33, 7, v34
	v_lshrrev_b32_e32 v43, 3, v44
	s_mov_b32 s24, exec_lo
	v_cmpx_gt_u32_e32 8, v44
; %bb.1328:                             ;   in Loop: Header=BB442_13 Depth=1
	s_delay_alu instid0(VALU_DEP_3) | instskip(NEXT) | instid1(VALU_DEP_1)
	v_clz_i32_u32_e32 v43, v33
	v_min_u32_e32 v43, 32, v43
	s_delay_alu instid0(VALU_DEP_1) | instskip(SKIP_1) | instid1(VALU_DEP_2)
	v_subrev_nc_u32_e32 v44, 28, v43
	v_sub_nc_u32_e32 v43, 29, v43
	v_lshlrev_b64 v[33:34], v44, v[33:34]
	s_delay_alu instid0(VALU_DEP_1)
	v_and_b32_e32 v33, 7, v33
; %bb.1329:                             ;   in Loop: Header=BB442_13 Depth=1
	s_or_b32 exec_lo, exec_lo, s24
	v_lshlrev_b32_e32 v19, 16, v19
	s_delay_alu instid0(VALU_DEP_2) | instskip(SKIP_1) | instid1(VALU_DEP_3)
	v_lshlrev_b32_e32 v33, 20, v33
	v_lshl_add_u32 v34, v43, 23, 0x3c000000
	v_and_b32_e32 v19, 0x80000000, v19
	s_delay_alu instid0(VALU_DEP_1)
	v_or3_b32 v33, v33, v19, v34
.LBB442_1330:                           ;   in Loop: Header=BB442_13 Depth=1
	s_or_b32 exec_lo, exec_lo, s23
.LBB442_1331:                           ;   in Loop: Header=BB442_13 Depth=1
	s_delay_alu instid0(SALU_CYCLE_1)
	s_or_b32 exec_lo, exec_lo, s22
.LBB442_1332:                           ;   in Loop: Header=BB442_13 Depth=1
	s_delay_alu instid0(SALU_CYCLE_1) | instskip(NEXT) | instid1(VALU_DEP_1)
	s_or_b32 exec_lo, exec_lo, s21
	v_mul_f32_e32 v19, v155, v33
                                        ; implicit-def: $vgpr43
	s_delay_alu instid0(VALU_DEP_1) | instskip(NEXT) | instid1(VALU_DEP_1)
	v_and_b32_e32 v33, 0x7f800000, v19
	v_cmp_ne_u32_e64 s1, 0x7f800000, v33
	s_delay_alu instid0(VALU_DEP_1) | instskip(NEXT) | instid1(SALU_CYCLE_1)
	s_and_saveexec_b32 s21, s1
	s_xor_b32 s1, exec_lo, s21
; %bb.1333:                             ;   in Loop: Header=BB442_13 Depth=1
	v_bfe_u32 v33, v19, 16, 1
	s_delay_alu instid0(VALU_DEP_1)
	v_add3_u32 v43, v19, v33, 0x7fff
                                        ; implicit-def: $vgpr19
; %bb.1334:                             ;   in Loop: Header=BB442_13 Depth=1
	s_and_not1_saveexec_b32 s21, s1
; %bb.1335:                             ;   in Loop: Header=BB442_13 Depth=1
	v_and_b32_e32 v33, 0xffff, v19
	v_or_b32_e32 v34, 0x10000, v19
	s_delay_alu instid0(VALU_DEP_2) | instskip(NEXT) | instid1(VALU_DEP_1)
	v_cmp_eq_u32_e64 s1, 0, v33
	v_cndmask_b32_e64 v43, v34, v19, s1
; %bb.1336:                             ;   in Loop: Header=BB442_13 Depth=1
	s_or_b32 exec_lo, exec_lo, s21
	v_lshrrev_b32_e32 v44, 16, v32
	v_mov_b32_e32 v19, 0
	s_mov_b32 s21, exec_lo
	s_delay_alu instid0(VALU_DEP_2) | instskip(NEXT) | instid1(VALU_DEP_1)
	v_and_b32_e32 v33, 0xff, v44
	v_cmpx_ne_u16_e32 0, v33
	s_cbranch_execz .LBB442_1344
; %bb.1337:                             ;   in Loop: Header=BB442_13 Depth=1
	v_bfrev_b32_e32 v19, 1
	s_mov_b32 s22, exec_lo
	v_cmpx_ne_u16_e32 0x80, v33
	s_cbranch_execz .LBB442_1343
; %bb.1338:                             ;   in Loop: Header=BB442_13 Depth=1
	v_bfe_u32 v33, v32, 16, 7
	v_mov_b32_e32 v19, 0x7f800001
	s_mov_b32 s23, exec_lo
	s_delay_alu instid0(VALU_DEP_2)
	v_cmpx_ne_u32_e32 0x7f, v33
	s_cbranch_execz .LBB442_1342
; %bb.1339:                             ;   in Loop: Header=BB442_13 Depth=1
	v_and_b32_e32 v19, 7, v44
	v_lshrrev_b32_e32 v45, 3, v33
	v_cmp_gt_u32_e64 s1, 8, v33
	s_delay_alu instid0(VALU_DEP_3) | instskip(NEXT) | instid1(VALU_DEP_2)
	v_dual_mov_b32 v34, v20 :: v_dual_mov_b32 v33, v19
	s_and_saveexec_b32 s24, s1
; %bb.1340:                             ;   in Loop: Header=BB442_13 Depth=1
	v_clz_i32_u32_e32 v33, v19
	s_delay_alu instid0(VALU_DEP_1) | instskip(NEXT) | instid1(VALU_DEP_1)
	v_min_u32_e32 v45, 32, v33
	v_subrev_nc_u32_e32 v33, 28, v45
	v_sub_nc_u32_e32 v45, 29, v45
	s_delay_alu instid0(VALU_DEP_2) | instskip(NEXT) | instid1(VALU_DEP_1)
	v_lshlrev_b64 v[33:34], v33, v[19:20]
	v_and_b32_e32 v33, 7, v33
; %bb.1341:                             ;   in Loop: Header=BB442_13 Depth=1
	s_or_b32 exec_lo, exec_lo, s24
	v_lshlrev_b32_e32 v19, 24, v44
	s_delay_alu instid0(VALU_DEP_2) | instskip(SKIP_1) | instid1(VALU_DEP_3)
	v_lshlrev_b32_e32 v33, 20, v33
	v_lshl_add_u32 v34, v45, 23, 0x3c000000
	v_and_b32_e32 v19, 0x80000000, v19
	s_delay_alu instid0(VALU_DEP_1)
	v_or3_b32 v19, v33, v19, v34
.LBB442_1342:                           ;   in Loop: Header=BB442_13 Depth=1
	s_or_b32 exec_lo, exec_lo, s23
.LBB442_1343:                           ;   in Loop: Header=BB442_13 Depth=1
	s_delay_alu instid0(SALU_CYCLE_1)
	s_or_b32 exec_lo, exec_lo, s22
.LBB442_1344:                           ;   in Loop: Header=BB442_13 Depth=1
	s_delay_alu instid0(SALU_CYCLE_1) | instskip(NEXT) | instid1(VALU_DEP_1)
	s_or_b32 exec_lo, exec_lo, s21
	v_mul_f32_e32 v19, v155, v19
	s_delay_alu instid0(VALU_DEP_1) | instskip(NEXT) | instid1(VALU_DEP_1)
	v_and_b32_e32 v33, 0x7f800000, v19
	v_cmp_ne_u32_e64 s1, 0x7f800000, v33
                                        ; implicit-def: $vgpr33
	s_delay_alu instid0(VALU_DEP_1) | instskip(NEXT) | instid1(SALU_CYCLE_1)
	s_and_saveexec_b32 s21, s1
	s_xor_b32 s1, exec_lo, s21
; %bb.1345:                             ;   in Loop: Header=BB442_13 Depth=1
	v_bfe_u32 v33, v19, 16, 1
	s_delay_alu instid0(VALU_DEP_1)
	v_add3_u32 v33, v19, v33, 0x7fff
                                        ; implicit-def: $vgpr19
; %bb.1346:                             ;   in Loop: Header=BB442_13 Depth=1
	s_and_not1_saveexec_b32 s21, s1
; %bb.1347:                             ;   in Loop: Header=BB442_13 Depth=1
	v_and_b32_e32 v33, 0xffff, v19
	v_or_b32_e32 v34, 0x10000, v19
	s_delay_alu instid0(VALU_DEP_2) | instskip(NEXT) | instid1(VALU_DEP_1)
	v_cmp_eq_u32_e64 s1, 0, v33
	v_cndmask_b32_e64 v33, v34, v19, s1
; %bb.1348:                             ;   in Loop: Header=BB442_13 Depth=1
	s_or_b32 exec_lo, exec_lo, s21
	v_mov_b32_e32 v19, 0
	s_mov_b32 s21, exec_lo
	v_cmpx_lt_u64_e64 s[16:17], v[31:32]
	s_cbranch_execz .LBB442_1356
; %bb.1349:                             ;   in Loop: Header=BB442_13 Depth=1
	v_lshrrev_b32_e32 v34, 24, v32
	v_bfrev_b32_e32 v19, 1
	s_mov_b32 s22, exec_lo
	s_delay_alu instid0(VALU_DEP_2)
	v_cmpx_ne_u32_e32 0x80, v34
	s_cbranch_execz .LBB442_1355
; %bb.1350:                             ;   in Loop: Header=BB442_13 Depth=1
	v_bfe_u32 v31, v32, 24, 7
	v_mov_b32_e32 v19, 0x7f800001
	s_mov_b32 s23, exec_lo
	s_delay_alu instid0(VALU_DEP_2)
	v_cmpx_ne_u32_e32 0x7f, v31
	s_cbranch_execz .LBB442_1354
; %bb.1351:                             ;   in Loop: Header=BB442_13 Depth=1
	v_and_b32_e32 v19, 7, v34
	v_lshrrev_b32_e32 v44, 3, v31
	v_cmp_gt_u32_e64 s1, 8, v31
	s_delay_alu instid0(VALU_DEP_3) | instskip(NEXT) | instid1(VALU_DEP_2)
	v_dual_mov_b32 v32, v20 :: v_dual_mov_b32 v31, v19
	s_and_saveexec_b32 s24, s1
; %bb.1352:                             ;   in Loop: Header=BB442_13 Depth=1
	v_clz_i32_u32_e32 v31, v19
	s_delay_alu instid0(VALU_DEP_1) | instskip(NEXT) | instid1(VALU_DEP_1)
	v_min_u32_e32 v44, 32, v31
	v_subrev_nc_u32_e32 v31, 28, v44
	v_sub_nc_u32_e32 v44, 29, v44
	s_delay_alu instid0(VALU_DEP_2) | instskip(NEXT) | instid1(VALU_DEP_1)
	v_lshlrev_b64 v[31:32], v31, v[19:20]
	v_and_b32_e32 v31, 7, v31
; %bb.1353:                             ;   in Loop: Header=BB442_13 Depth=1
	s_or_b32 exec_lo, exec_lo, s24
	v_lshlrev_b32_e32 v19, 24, v34
	s_delay_alu instid0(VALU_DEP_2) | instskip(SKIP_1) | instid1(VALU_DEP_3)
	v_lshlrev_b32_e32 v31, 20, v31
	v_lshl_add_u32 v32, v44, 23, 0x3c000000
	v_and_b32_e32 v19, 0x80000000, v19
	s_delay_alu instid0(VALU_DEP_1)
	v_or3_b32 v19, v31, v19, v32
.LBB442_1354:                           ;   in Loop: Header=BB442_13 Depth=1
	s_or_b32 exec_lo, exec_lo, s23
.LBB442_1355:                           ;   in Loop: Header=BB442_13 Depth=1
	s_delay_alu instid0(SALU_CYCLE_1)
	s_or_b32 exec_lo, exec_lo, s22
.LBB442_1356:                           ;   in Loop: Header=BB442_13 Depth=1
	s_delay_alu instid0(SALU_CYCLE_1) | instskip(NEXT) | instid1(VALU_DEP_1)
	s_or_b32 exec_lo, exec_lo, s21
	v_mul_f32_e32 v31, v155, v19
	s_delay_alu instid0(VALU_DEP_1) | instskip(NEXT) | instid1(VALU_DEP_1)
	v_and_b32_e32 v19, 0x7f800000, v31
	v_cmp_ne_u32_e64 s1, 0x7f800000, v19
                                        ; implicit-def: $vgpr19
	s_delay_alu instid0(VALU_DEP_1) | instskip(NEXT) | instid1(SALU_CYCLE_1)
	s_and_saveexec_b32 s21, s1
	s_xor_b32 s1, exec_lo, s21
; %bb.1357:                             ;   in Loop: Header=BB442_13 Depth=1
	v_bfe_u32 v19, v31, 16, 1
	s_delay_alu instid0(VALU_DEP_1)
	v_add3_u32 v19, v31, v19, 0x7fff
                                        ; implicit-def: $vgpr31
; %bb.1358:                             ;   in Loop: Header=BB442_13 Depth=1
	s_and_not1_saveexec_b32 s21, s1
	s_cbranch_execz .LBB442_11
; %bb.1359:                             ;   in Loop: Header=BB442_13 Depth=1
	v_and_b32_e32 v19, 0xffff, v31
	v_or_b32_e32 v32, 0x10000, v31
	s_delay_alu instid0(VALU_DEP_2) | instskip(NEXT) | instid1(VALU_DEP_1)
	v_cmp_eq_u32_e64 s1, 0, v19
	v_cndmask_b32_e64 v19, v32, v31, s1
	s_branch .LBB442_11
.LBB442_1360:
	s_or_b32 exec_lo, exec_lo, s20
	s_clause 0xf
	scratch_load_b32 v31, off, s32 offset:616
	scratch_load_b32 v15, off, s32 offset:620
	;; [unrolled: 1-line block ×10, first 2 shown]
	scratch_load_b64 v[68:69], off, s32 offset:656
	scratch_load_b32 v21, off, s32 offset:664
	scratch_load_b32 v37, off, s32 offset:668
	;; [unrolled: 1-line block ×5, first 2 shown]
.LBB442_1361:
	s_or_b32 exec_lo, exec_lo, s19
	v_mbcnt_lo_u32_b32 v0, -1, 0
	s_waitcnt lgkmcnt(0)
	s_lshr_b32 s8, s15, 16
	s_delay_alu instid0(VALU_DEP_1) | instskip(SKIP_2) | instid1(VALU_DEP_3)
	v_xor_b32_e32 v1, 16, v0
	v_xor_b32_e32 v3, 8, v0
	;; [unrolled: 1-line block ×3, first 2 shown]
	v_cmp_gt_i32_e32 vcc_lo, 32, v1
	v_cndmask_b32_e32 v1, v0, v1, vcc_lo
	s_delay_alu instid0(VALU_DEP_4) | instskip(NEXT) | instid1(VALU_DEP_2)
	v_cmp_gt_i32_e32 vcc_lo, 32, v3
	v_dual_cndmask_b32 v3, v0, v3 :: v_dual_lshlrev_b32 v2, 2, v1
	v_max_f32_e32 v4, v125, v125
	v_cmp_gt_i32_e32 vcc_lo, 32, v5
	ds_bpermute_b32 v1, v2, v125
	v_lshlrev_b32_e32 v3, 2, v3
	v_cndmask_b32_e32 v5, v0, v5, vcc_lo
	s_waitcnt lgkmcnt(0)
	v_max_f32_e32 v1, v1, v1
	s_delay_alu instid0(VALU_DEP_1) | instskip(SKIP_3) | instid1(VALU_DEP_1)
	v_max_f32_e32 v1, v4, v1
	ds_bpermute_b32 v4, v3, v1
	s_waitcnt lgkmcnt(0)
	v_max_f32_e32 v6, v4, v4
	v_dual_max_f32 v1, v1, v6 :: v_dual_lshlrev_b32 v4, 2, v5
	v_xor_b32_e32 v6, 2, v0
	ds_bpermute_b32 v5, v4, v1
	v_cmp_gt_i32_e32 vcc_lo, 32, v6
	s_waitcnt lgkmcnt(0)
	v_dual_cndmask_b32 v6, v0, v6 :: v_dual_max_f32 v5, v5, v5
	s_delay_alu instid0(VALU_DEP_1) | instskip(SKIP_1) | instid1(VALU_DEP_1)
	v_lshlrev_b32_e32 v20, 2, v6
	v_xor_b32_e32 v6, 1, v0
	v_cmp_gt_i32_e32 vcc_lo, 32, v6
	s_delay_alu instid0(VALU_DEP_4) | instskip(SKIP_4) | instid1(VALU_DEP_1)
	v_dual_max_f32 v1, v1, v5 :: v_dual_cndmask_b32 v6, v0, v6
	ds_bpermute_b32 v5, v20, v1
	v_lshlrev_b32_e32 v19, 2, v6
	s_waitcnt lgkmcnt(0)
	v_max_f32_e32 v5, v5, v5
	v_max_f32_e32 v0, v1, v5
	scratch_load_b32 v5, off, s32 offset:328 ; 4-byte Folded Reload
	ds_bpermute_b32 v1, v19, v0
	s_waitcnt vmcnt(0)
	v_cmp_eq_u32_e32 vcc_lo, 0, v5
	scratch_load_b32 v5, off, s32 offset:604 ; 4-byte Folded Reload
	s_waitcnt vmcnt(0)
	v_lshlrev_b32_e32 v5, 2, v5
	s_and_saveexec_b32 s1, vcc_lo
	s_cbranch_execz .LBB442_1363
; %bb.1362:
	s_waitcnt lgkmcnt(0)
	v_dual_max_f32 v1, v1, v1 :: v_dual_max_f32 v0, v0, v0
	s_delay_alu instid0(VALU_DEP_1)
	v_max_f32_e32 v0, v0, v1
	ds_store_b32 v5, v0 offset:224
.LBB442_1363:
	s_or_b32 exec_lo, exec_lo, s1
	scratch_load_b32 v0, off, s32 offset:328 ; 4-byte Folded Reload
	s_waitcnt vmcnt(0) lgkmcnt(0)
	s_waitcnt_vscnt null, 0x0
	s_barrier
	buffer_gl0_inv
	v_cmp_gt_u32_e64 s1, 4, v0
	v_mov_b32_e32 v0, 0xff7fffff
	s_delay_alu instid0(VALU_DEP_2)
	s_and_saveexec_b32 s2, s1
	s_cbranch_execz .LBB442_1365
; %bb.1364:
	ds_load_b32 v0, v36 offset:224
.LBB442_1365:
	s_or_b32 exec_lo, exec_lo, s2
	s_waitcnt lgkmcnt(0)
	ds_bpermute_b32 v1, v20, v0
	v_max_f32_e32 v0, v0, v0
	v_subrev_nc_u32_e32 v7, s13, v51
	s_waitcnt lgkmcnt(0)
	v_dual_mov_b32 v6, 0 :: v_dual_max_f32 v1, v1, v1
	s_delay_alu instid0(VALU_DEP_1) | instskip(SKIP_3) | instid1(VALU_DEP_1)
	v_max_f32_e32 v0, v0, v1
	ds_bpermute_b32 v1, v19, v0
	s_waitcnt lgkmcnt(0)
	v_max_f32_e32 v1, v1, v1
	v_max_f32_e32 v0, v0, v1
	v_lshl_add_u32 v1, v7, 5, s3
	ds_bpermute_b32 v0, v6, v0
	v_min_i32_e32 v1, v1, v38
	s_delay_alu instid0(VALU_DEP_1) | instskip(NEXT) | instid1(VALU_DEP_1)
	v_subrev_nc_u32_e32 v1, s3, v1
	v_cmp_lt_i32_e64 s2, v31, v1
	s_delay_alu instid0(VALU_DEP_1)
	s_and_saveexec_b32 s9, s2
	s_cbranch_execz .LBB442_1369
; %bb.1366:
	s_getpc_b64 s[16:17]
	s_add_u32 s16, s16, llvm.amdgcn.dynlds.offset.table@rel32@lo+4
	s_addc_u32 s17, s17, llvm.amdgcn.dynlds.offset.table@rel32@hi+12
	s_ashr_i32 s11, s10, 31
	v_mov_b32_e32 v6, 0
	s_lshl_b64 s[20:21], s[10:11], 2
	v_mov_b32_e32 v8, v31
	s_add_u32 s16, s20, s16
	s_addc_u32 s17, s21, s17
	s_mov_b32 s11, 0
	s_load_b32 s3, s[16:17], 0x0
	s_waitcnt lgkmcnt(0)
	v_lshl_add_u32 v7, v31, 2, s3
	.p2align	6
.LBB442_1367:                           ; =>This Inner Loop Header: Depth=1
	ds_load_b32 v9, v7
	v_add_nc_u32_e32 v8, 0x80, v8
	s_delay_alu instid0(VALU_DEP_1) | instskip(NEXT) | instid1(VALU_DEP_1)
	v_cmp_ge_i32_e64 s3, v8, v1
	s_or_b32 s11, s3, s11
	s_waitcnt lgkmcnt(0)
	v_sub_f32_e32 v9, v9, v0
	s_delay_alu instid0(VALU_DEP_1) | instskip(NEXT) | instid1(VALU_DEP_1)
	v_mul_f32_e32 v9, 0x3fb8aa3b, v9
	v_exp_f32_e32 v9, v9
	ds_store_b32 v7, v9
	v_dual_add_f32 v6, v6, v9 :: v_dual_add_nc_u32 v7, 0x200, v7
	s_and_not1_b32 exec_lo, exec_lo, s11
	s_cbranch_execnz .LBB442_1367
; %bb.1368:
	s_or_b32 exec_lo, exec_lo, s11
.LBB442_1369:
	s_delay_alu instid0(SALU_CYCLE_1)
	s_or_b32 exec_lo, exec_lo, s9
	ds_bpermute_b32 v2, v2, v6
	s_waitcnt lgkmcnt(0)
	v_add_f32_e32 v2, v6, v2
	ds_bpermute_b32 v3, v3, v2
	s_waitcnt lgkmcnt(0)
	v_add_f32_e32 v2, v2, v3
	;; [unrolled: 3-line block ×5, first 2 shown]
	s_and_saveexec_b32 s3, vcc_lo
	s_cbranch_execz .LBB442_1371
; %bb.1370:
	ds_store_b32 v5, v2 offset:240
.LBB442_1371:
	s_or_b32 exec_lo, exec_lo, s3
	s_waitcnt lgkmcnt(0)
	s_barrier
	buffer_gl0_inv
	s_and_saveexec_b32 s3, s1
	s_cbranch_execz .LBB442_1373
; %bb.1372:
	ds_load_b32 v2, v36 offset:240
.LBB442_1373:
	s_or_b32 exec_lo, exec_lo, s3
	s_waitcnt lgkmcnt(0)
	ds_bpermute_b32 v3, v20, v2
	s_waitcnt lgkmcnt(0)
	v_add_f32_e32 v2, v2, v3
	ds_bpermute_b32 v3, v19, v2
	s_waitcnt lgkmcnt(0)
	v_dual_add_f32 v2, v2, v3 :: v_dual_mov_b32 v3, 0
	ds_bpermute_b32 v2, v3, v2
	s_and_saveexec_b32 s1, s2
	s_cbranch_execz .LBB442_1376
; %bb.1374:
	s_waitcnt lgkmcnt(0)
	v_add_f32_e32 v4, 0x358637bd, v2
	s_getpc_b64 s[2:3]
	s_add_u32 s2, s2, llvm.amdgcn.dynlds.offset.table@rel32@lo+4
	s_addc_u32 s3, s3, llvm.amdgcn.dynlds.offset.table@rel32@hi+12
	s_ashr_i32 s11, s10, 31
	s_delay_alu instid0(SALU_CYCLE_1) | instskip(SKIP_4) | instid1(VALU_DEP_1)
	s_lshl_b64 s[16:17], s[10:11], 2
	v_div_scale_f32 v3, null, v4, v4, 1.0
	s_add_u32 s2, s16, s2
	s_addc_u32 s3, s17, s3
	s_load_b32 s2, s[2:3], 0x0
	v_rcp_f32_e32 v5, v3
	s_waitcnt_depctr 0xfff
	v_fma_f32 v6, -v3, v5, 1.0
	s_delay_alu instid0(VALU_DEP_1) | instskip(SKIP_1) | instid1(VALU_DEP_1)
	v_fmac_f32_e32 v5, v6, v5
	v_div_scale_f32 v7, vcc_lo, 1.0, v4, 1.0
	v_mul_f32_e32 v6, v7, v5
	s_delay_alu instid0(VALU_DEP_1) | instskip(NEXT) | instid1(VALU_DEP_1)
	v_fma_f32 v8, -v3, v6, v7
	v_fmac_f32_e32 v6, v8, v5
	s_delay_alu instid0(VALU_DEP_1) | instskip(NEXT) | instid1(VALU_DEP_1)
	v_fma_f32 v3, -v3, v6, v7
	v_div_fmas_f32 v5, v3, v5, v6
	s_waitcnt lgkmcnt(0)
	v_lshl_add_u32 v3, v31, 2, s2
	s_mov_b32 s2, 0
	s_delay_alu instid0(VALU_DEP_2)
	v_div_fixup_f32 v4, v5, v4, 1.0
	v_mov_b32_e32 v5, v31
.LBB442_1375:                           ; =>This Inner Loop Header: Depth=1
	ds_load_b32 v6, v3
	s_waitcnt lgkmcnt(0)
	v_dual_mul_f32 v6, v4, v6 :: v_dual_add_nc_u32 v5, 0x80, v5
	s_delay_alu instid0(VALU_DEP_1) | instskip(SKIP_3) | instid1(SALU_CYCLE_1)
	v_cmp_ge_i32_e32 vcc_lo, v5, v1
	ds_store_b32 v3, v6
	v_add_nc_u32_e32 v3, 0x200, v3
	s_or_b32 s2, vcc_lo, s2
	s_and_not1_b32 exec_lo, exec_lo, s2
	s_cbranch_execnz .LBB442_1375
.LBB442_1376:
	s_or_b32 exec_lo, exec_lo, s1
	v_cmp_ne_u16_e64 s1, s8, 0
	s_mov_b32 s2, exec_lo
	s_waitcnt lgkmcnt(0)
	s_barrier
	buffer_gl0_inv
	s_cmp_lg_u32 s1, 0
	s_addc_u32 s1, s7, 0
	v_cmpx_eq_u32_e32 0, v31
	s_cbranch_execz .LBB442_1378
; %bb.1377:
	s_mul_i32 s3, s1, s4
	s_mul_i32 s8, s1, s12
	;; [unrolled: 1-line block ×3, first 2 shown]
	s_ashr_i32 s9, s8, 31
	s_ashr_i32 s15, s14, 31
	;; [unrolled: 1-line block ×3, first 2 shown]
	s_lshl_b64 s[8:9], s[8:9], 2
	s_lshl_b64 s[16:17], s[14:15], 2
	;; [unrolled: 1-line block ×3, first 2 shown]
	s_add_u32 s3, s16, s8
	s_addc_u32 s7, s17, s9
	s_add_u32 s3, s3, s12
	s_addc_u32 s7, s7, s13
	v_add_co_u32 v3, vcc_lo, s3, v35
	v_add_co_ci_u32_e32 v4, vcc_lo, s7, v34, vcc_lo
	v_add_co_u32 v5, vcc_lo, s3, v33
	v_add_co_ci_u32_e32 v6, vcc_lo, s7, v32, vcc_lo
	flat_store_b32 v[3:4], v0
	flat_store_b32 v[5:6], v2
.LBB442_1378:
	s_or_b32 exec_lo, exec_lo, s2
	s_ashr_i32 s11, s10, 31
	s_getpc_b64 s[2:3]
	s_add_u32 s2, s2, llvm.amdgcn.dynlds.offset.table@rel32@lo+4
	s_addc_u32 s3, s3, llvm.amdgcn.dynlds.offset.table@rel32@hi+12
	s_lshl_b64 s[8:9], s[10:11], 2
	v_dual_mov_b32 v64, 0 :: v_dual_mov_b32 v157, v31
	v_dual_mov_b32 v65, 0 :: v_dual_and_b32 v24, 3, v31
	v_dual_mov_b32 v55, 0 :: v_dual_mov_b32 v54, 0
	v_dual_mov_b32 v53, 0 :: v_dual_mov_b32 v36, 0
	;; [unrolled: 1-line block ×5, first 2 shown]
	v_mov_b32_e32 v29, 0
	v_mov_b32_e32 v25, 0
	s_add_u32 s2, s8, s2
	s_addc_u32 s3, s9, s3
	s_mov_b32 s10, 0
	s_and_saveexec_b32 s7, s0
	s_cbranch_execz .LBB442_3236
; %bb.1379:
	scratch_load_b32 v8, off, s32 offset:604 ; 4-byte Folded Reload
	v_max_i32_e32 v30, v30, v39
	v_add_co_u32 v3, vcc_lo, v10, v21
	s_load_b32 s0, s[2:3], 0x0
	v_dual_mov_b32 v25, 0 :: v_dual_lshlrev_b32 v2, 3, v157
	s_delay_alu instid0(VALU_DEP_3) | instskip(SKIP_3) | instid1(VALU_DEP_4)
	v_cvt_f32_u32_e32 v0, v30
	v_sub_nc_u32_e32 v7, 0, v30
	v_dual_mov_b32 v31, 0 :: v_dual_lshlrev_b32 v6, 5, v24
	v_add_co_ci_u32_e32 v4, vcc_lo, v11, v12, vcc_lo
	v_rcp_iflag_f32_e32 v5, v0
	v_mov_b32_e32 v10, 0
	v_lshlrev_b64 v[0:1], 2, v[17:18]
	v_dual_mov_b32 v55, 0 :: v_dual_and_b32 v18, 24, v2
	v_dual_mov_b32 v65, 0 :: v_dual_and_b32 v2, 0xf8, v2
	v_dual_mov_b32 v29, 0 :: v_dual_add_nc_u32 v66, -1, v37
	s_delay_alu instid0(VALU_DEP_4) | instskip(NEXT) | instid1(TRANS32_DEP_1)
	v_add_co_u32 v0, vcc_lo, v68, v0
	v_mul_f32_e32 v5, 0x4f7ffffe, v5
	v_add_co_ci_u32_e32 v1, vcc_lo, v69, v1, vcc_lo
	v_add_co_u32 v11, vcc_lo, v3, v2
	s_delay_alu instid0(VALU_DEP_3) | instskip(SKIP_2) | instid1(VALU_DEP_3)
	v_cvt_u32_f32_e32 v5, v5
	v_add_co_ci_u32_e32 v12, vcc_lo, 0, v4, vcc_lo
	v_add_co_u32 v13, vcc_lo, v14, v0
	v_mul_lo_u32 v7, v7, v5
	v_dual_mov_b32 v28, 0 :: v_dual_mov_b32 v33, 0
	v_dual_mov_b32 v32, 0 :: v_dual_mov_b32 v35, 0
	;; [unrolled: 1-line block ×3, first 2 shown]
	v_add_co_ci_u32_e32 v14, vcc_lo, v15, v1, vcc_lo
	v_mul_hi_u32 v7, v5, v7
	v_mov_b32_e32 v64, 0
	s_mov_b32 s8, -1
	v_mov_b32_e32 v54, 0
	s_mov_b32 s9, 0xffffff
	s_delay_alu instid0(VALU_DEP_3) | instskip(SKIP_3) | instid1(VALU_DEP_1)
	v_add_nc_u32_e32 v67, v5, v7
	s_waitcnt vmcnt(0)
	v_lshl_or_b32 v6, v8, 7, v6
	s_waitcnt lgkmcnt(0)
	v_dual_mov_b32 v36, 0 :: v_dual_add_nc_u32 v15, s0, v6
	s_branch .LBB442_1382
.LBB442_1380:                           ;   in Loop: Header=BB442_1382 Depth=1
	s_or_b32 exec_lo, exec_lo, s0
	v_and_b32_e32 v6, 0xffff0000, v6
	v_and_b32_e32 v96, 0xffff0000, v138
	;; [unrolled: 1-line block ×7, first 2 shown]
	v_dual_add_f32 v96, v97, v96 :: v_dual_and_b32 v87, 0xffff0000, v127
	v_add_f32_e32 v6, v6, v7
	v_and_b32_e32 v98, 0xffff0000, v111
	v_and_b32_e32 v100, 0xffff0000, v126
	;; [unrolled: 1-line block ×3, first 2 shown]
	v_dual_add_f32 v7, v87, v86 :: v_dual_and_b32 v86, 0xffff0000, v139
	v_and_b32_e32 v87, 0xffff0000, v140
	v_and_b32_e32 v103, 0xffff0000, v63
	;; [unrolled: 1-line block ×3, first 2 shown]
	s_delay_alu instid0(VALU_DEP_4) | instskip(NEXT) | instid1(VALU_DEP_4)
	v_dual_add_f32 v6, v6, v7 :: v_dual_and_b32 v7, 0xffff0000, v124
	v_dual_add_f32 v86, v86, v87 :: v_dual_and_b32 v37, 0xffff0000, v37
	s_delay_alu instid0(VALU_DEP_2) | instskip(SKIP_3) | instid1(VALU_DEP_4)
	v_dual_add_f32 v6, v6, v96 :: v_dual_and_b32 v21, 0xffff0000, v21
	v_and_b32_e32 v96, 0xffff0000, v120
	v_and_b32_e32 v87, 0xffff0000, v122
	v_and_b32_e32 v97, 0xffff0000, v123
	v_dual_add_f32 v6, v6, v86 :: v_dual_and_b32 v39, 0xffff0000, v39
	s_delay_alu instid0(VALU_DEP_4) | instskip(NEXT) | instid1(VALU_DEP_3)
	v_add_f32_e32 v96, v98, v96
	v_dual_add_f32 v7, v97, v7 :: v_dual_and_b32 v98, 0xffff0000, v106
	s_delay_alu instid0(VALU_DEP_3) | instskip(NEXT) | instid1(VALU_DEP_2)
	v_dual_add_f32 v28, v28, v6 :: v_dual_and_b32 v5, 0xffff0000, v5
	v_dual_add_f32 v98, v102, v98 :: v_dual_and_b32 v71, 0xffff0000, v71
	v_add_f32_e32 v87, v99, v87
	v_and_b32_e32 v99, 0xffff0000, v104
	v_and_b32_e32 v69, 0xffff0000, v69
	;; [unrolled: 1-line block ×4, first 2 shown]
	v_dual_add_f32 v87, v96, v87 :: v_dual_and_b32 v86, 0xffff0000, v125
	v_and_b32_e32 v96, 0xffff0000, v108
	v_and_b32_e32 v1, 0xffff0000, v1
	;; [unrolled: 1-line block ×3, first 2 shown]
	s_delay_alu instid0(VALU_DEP_4) | instskip(SKIP_3) | instid1(VALU_DEP_4)
	v_dual_add_f32 v7, v87, v7 :: v_dual_add_f32 v86, v86, v100
	v_add_f32_e32 v97, v101, v99
	v_and_b32_e32 v99, 0xffff0000, v107
	v_dual_add_f32 v21, v21, v37 :: v_dual_and_b32 v100, 0xffff0000, v91
	v_dual_add_f32 v6, v7, v86 :: v_dual_and_b32 v87, 0xffff0000, v109
	s_delay_alu instid0(VALU_DEP_3) | instskip(SKIP_1) | instid1(VALU_DEP_3)
	v_dual_add_f32 v96, v99, v96 :: v_dual_add_f32 v97, v97, v98
	v_and_b32_e32 v98, 0xffff0000, v110
	v_dual_add_f32 v29, v29, v6 :: v_dual_and_b32 v4, 0xffff0000, v4
	s_delay_alu instid0(VALU_DEP_3) | instskip(NEXT) | instid1(VALU_DEP_3)
	v_dual_add_f32 v68, v68, v69 :: v_dual_add_f32 v7, v97, v96
	v_dual_add_f32 v86, v87, v98 :: v_dual_and_b32 v87, 0xffff0000, v92
	v_and_b32_e32 v97, 0xffff0000, v88
	v_and_b32_e32 v98, 0xffff0000, v79
	;; [unrolled: 1-line block ×3, first 2 shown]
	s_delay_alu instid0(VALU_DEP_4) | instskip(NEXT) | instid1(VALU_DEP_3)
	v_dual_add_f32 v6, v7, v86 :: v_dual_add_f32 v87, v100, v87
	v_dual_add_f32 v97, v98, v97 :: v_dual_and_b32 v0, 0xffff0000, v0
	v_and_b32_e32 v98, 0xffff0000, v74
	v_and_b32_e32 v99, 0xffff0000, v89
	s_delay_alu instid0(VALU_DEP_3) | instskip(NEXT) | instid1(VALU_DEP_3)
	v_dual_add_f32 v31, v31, v6 :: v_dual_add_f32 v0, v0, v1
	v_dual_add_f32 v1, v2, v3 :: v_dual_add_f32 v98, v112, v98
	v_and_b32_e32 v112, 0xffff0000, v42
	v_and_b32_e32 v100, 0xffff0000, v75
	;; [unrolled: 1-line block ×3, first 2 shown]
	s_delay_alu instid0(VALU_DEP_4) | instskip(SKIP_4) | instid1(VALU_DEP_3)
	v_add_f32_e32 v0, v0, v1
	v_and_b32_e32 v80, 0xffff0000, v80
	v_dual_add_f32 v37, v39, v112 :: v_dual_and_b32 v96, 0xffff0000, v90
	v_and_b32_e32 v101, 0xffff0000, v93
	v_dual_add_f32 v1, v2, v9 :: v_dual_and_b32 v70, 0xffff0000, v70
	v_dual_add_f32 v21, v21, v37 :: v_dual_add_f32 v96, v99, v96
	s_delay_alu instid0(VALU_DEP_2) | instskip(NEXT) | instid1(VALU_DEP_3)
	v_dual_add_f32 v0, v0, v1 :: v_dual_and_b32 v99, 0xffff0000, v72
	v_dual_add_f32 v69, v70, v71 :: v_dual_and_b32 v2, 0xffff0000, v85
	s_delay_alu instid0(VALU_DEP_3) | instskip(SKIP_1) | instid1(VALU_DEP_4)
	v_add_f32_e32 v96, v97, v96
	v_and_b32_e32 v97, 0xffff0000, v76
	v_add_f32_e32 v99, v103, v99
	s_delay_alu instid0(VALU_DEP_4) | instskip(NEXT) | instid1(VALU_DEP_4)
	v_add_f32_e32 v3, v68, v69
	v_add_f32_e32 v87, v96, v87
	s_delay_alu instid0(VALU_DEP_3) | instskip(SKIP_2) | instid1(VALU_DEP_3)
	v_dual_add_f32 v97, v100, v97 :: v_dual_add_f32 v98, v99, v98
	v_and_b32_e32 v99, 0xffff0000, v78
	v_and_b32_e32 v100, 0xffff0000, v56
	v_add_f32_e32 v86, v98, v97
	v_and_b32_e32 v102, 0xffff0000, v94
	v_and_b32_e32 v98, 0xffff0000, v58
	s_delay_alu instid0(VALU_DEP_2) | instskip(NEXT) | instid1(VALU_DEP_1)
	v_dual_add_f32 v96, v101, v102 :: v_dual_and_b32 v101, 0xffff0000, v77
	v_add_f32_e32 v7, v87, v96
	s_delay_alu instid0(VALU_DEP_2) | instskip(SKIP_2) | instid1(VALU_DEP_4)
	v_dual_add_f32 v87, v101, v99 :: v_dual_and_b32 v96, 0xffff0000, v60
	v_and_b32_e32 v101, 0xffff0000, v47
	v_and_b32_e32 v97, 0xffff0000, v59
	v_dual_add_f32 v32, v32, v7 :: v_dual_and_b32 v103, 0xffff0000, v62
	s_delay_alu instid0(VALU_DEP_4) | instskip(NEXT) | instid1(VALU_DEP_4)
	v_add_f32_e32 v86, v86, v87
	v_dual_add_f32 v100, v101, v100 :: v_dual_and_b32 v99, 0xffff0000, v57
	s_delay_alu instid0(VALU_DEP_4) | instskip(NEXT) | instid1(VALU_DEP_3)
	v_add_f32_e32 v96, v97, v96
	v_dual_add_f32 v33, v33, v86 :: v_dual_and_b32 v86, 0xffff0000, v183
	s_delay_alu instid0(VALU_DEP_3) | instskip(NEXT) | instid1(VALU_DEP_2)
	v_dual_add_f32 v98, v99, v98 :: v_dual_and_b32 v39, 0xffff0000, v43
	v_add_f32_e32 v4, v86, v4
	s_delay_alu instid0(VALU_DEP_2) | instskip(SKIP_3) | instid1(VALU_DEP_4)
	v_add_f32_e32 v98, v100, v98
	v_and_b32_e32 v102, 0xffff0000, v61
	v_and_b32_e32 v97, 0xffff0000, v45
	;; [unrolled: 1-line block ×3, first 2 shown]
	v_add_f32_e32 v87, v98, v96
	s_delay_alu instid0(VALU_DEP_4) | instskip(SKIP_1) | instid1(VALU_DEP_2)
	v_add_f32_e32 v96, v102, v103
	v_and_b32_e32 v98, 0xffff0000, v166
	v_add_f32_e32 v6, v87, v96
	v_and_b32_e32 v99, 0xffff0000, v44
	s_delay_alu instid0(VALU_DEP_2) | instskip(NEXT) | instid1(VALU_DEP_2)
	v_dual_add_f32 v34, v34, v6 :: v_dual_and_b32 v87, 0xffff0000, v40
	v_add_f32_e32 v37, v39, v99
	v_and_b32_e32 v39, 0xffff0000, v46
	s_delay_alu instid0(VALU_DEP_2) | instskip(NEXT) | instid1(VALU_DEP_2)
	v_add_f32_e32 v21, v21, v37
	v_add_f32_e32 v37, v97, v39
	v_and_b32_e32 v39, 0xffff0000, v180
	v_and_b32_e32 v97, 0xffff0000, v164
	s_delay_alu instid0(VALU_DEP_3) | instskip(SKIP_2) | instid1(VALU_DEP_3)
	v_add_f32_e32 v7, v21, v37
	v_and_b32_e32 v21, 0xffff0000, v182
	v_and_b32_e32 v37, 0xffff0000, v181
	v_add_f32_e32 v35, v35, v7
	s_delay_alu instid0(VALU_DEP_3) | instskip(NEXT) | instid1(VALU_DEP_3)
	v_add_f32_e32 v5, v5, v21
	v_add_f32_e32 v37, v39, v37
	v_and_b32_e32 v39, 0xffff0000, v165
	v_and_b32_e32 v96, 0xffff0000, v41
	;; [unrolled: 1-line block ×3, first 2 shown]
	s_delay_alu instid0(VALU_DEP_4) | instskip(SKIP_2) | instid1(VALU_DEP_3)
	v_add_f32_e32 v5, v37, v5
	v_and_b32_e32 v37, 0xffff0000, v177
	v_add_f32_e32 v39, v97, v39
	v_dual_add_f32 v4, v5, v4 :: v_dual_and_b32 v97, 0xffff0000, v118
	v_add_f32_e32 v5, v87, v96
	s_delay_alu instid0(VALU_DEP_4) | instskip(SKIP_4) | instid1(VALU_DEP_4)
	v_dual_add_f32 v37, v86, v37 :: v_dual_and_b32 v96, 0xffff0000, v116
	v_and_b32_e32 v21, 0xffff0000, v167
	v_and_b32_e32 v87, 0xffff0000, v178
	;; [unrolled: 1-line block ×3, first 2 shown]
	v_add_f32_e32 v4, v4, v5
	v_dual_add_f32 v21, v98, v21 :: v_dual_and_b32 v98, 0xffff0000, v146
	s_delay_alu instid0(VALU_DEP_1) | instskip(SKIP_1) | instid1(VALU_DEP_1)
	v_dual_add_f32 v36, v36, v4 :: v_dual_add_f32 v21, v39, v21
	v_and_b32_e32 v39, 0xffff0000, v179
	v_dual_add_f32 v5, v21, v37 :: v_dual_add_f32 v6, v87, v39
	v_and_b32_e32 v21, 0xffff0000, v149
	v_and_b32_e32 v37, 0xffff0000, v148
	v_and_b32_e32 v39, 0xffff0000, v150
	s_delay_alu instid0(VALU_DEP_4) | instskip(SKIP_1) | instid1(VALU_DEP_4)
	v_dual_add_f32 v4, v5, v6 :: v_dual_and_b32 v87, 0xffff0000, v144
	v_and_b32_e32 v5, 0xffff0000, v161
	v_dual_add_f32 v6, v37, v21 :: v_dual_and_b32 v21, 0xffff0000, v160
	s_delay_alu instid0(VALU_DEP_4) | instskip(SKIP_2) | instid1(VALU_DEP_3)
	v_add_f32_e32 v7, v39, v7
	v_and_b32_e32 v39, 0xffff0000, v132
	v_dual_add_f32 v53, v53, v4 :: v_dual_and_b32 v4, 0xffff0000, v162
	v_dual_add_f32 v5, v21, v5 :: v_dual_add_f32 v6, v6, v7
	v_and_b32_e32 v7, 0xffff0000, v135
	v_and_b32_e32 v21, 0xffff0000, v133
	s_delay_alu instid0(VALU_DEP_3) | instskip(NEXT) | instid1(VALU_DEP_3)
	v_add_f32_e32 v5, v6, v5
	v_add_f32_e32 v7, v86, v7
	s_delay_alu instid0(VALU_DEP_3) | instskip(SKIP_3) | instid1(VALU_DEP_4)
	v_add_f32_e32 v21, v39, v21
	v_and_b32_e32 v39, 0xffff0000, v119
	v_and_b32_e32 v86, 0xffff0000, v117
	;; [unrolled: 1-line block ×3, first 2 shown]
	v_dual_add_f32 v7, v21, v7 :: v_dual_and_b32 v6, 0xffff0000, v145
	s_delay_alu instid0(VALU_DEP_3) | instskip(SKIP_1) | instid1(VALU_DEP_4)
	v_dual_add_f32 v86, v96, v86 :: v_dual_and_b32 v21, 0xffff0000, v129
	v_dual_add_f32 v39, v97, v39 :: v_dual_and_b32 v96, 0xffff0000, v128
	v_add_f32_e32 v4, v4, v37
	s_delay_alu instid0(VALU_DEP_4) | instskip(NEXT) | instid1(VALU_DEP_3)
	v_dual_add_f32 v6, v87, v6 :: v_dual_and_b32 v87, 0xffff0000, v147
	v_add_f32_e32 v37, v86, v39
	s_delay_alu instid0(VALU_DEP_4) | instskip(SKIP_3) | instid1(VALU_DEP_4)
	v_add_f32_e32 v21, v96, v21
	v_and_b32_e32 v39, 0xffff0000, v130
	v_and_b32_e32 v86, 0xffff0000, v131
	v_dual_add_f32 v6, v7, v6 :: v_dual_add_f32 v7, v98, v87
	v_add_f32_e32 v21, v37, v21
	v_and_b32_e32 v37, 0xffff0000, v81
	v_and_b32_e32 v81, 0xffff0000, v82
	v_dual_add_f32 v9, v39, v86 :: v_dual_and_b32 v82, 0xffff0000, v83
	s_delay_alu instid0(VALU_DEP_3) | instskip(NEXT) | instid1(VALU_DEP_1)
	v_dual_add_f32 v8, v80, v37 :: v_dual_and_b32 v37, 0xffff0000, v84
	v_dual_add_f32 v3, v3, v8 :: v_dual_add_f32 v8, v81, v82
	s_delay_alu instid0(VALU_DEP_2) | instskip(SKIP_2) | instid1(VALU_DEP_3)
	v_add_f32_e32 v1, v37, v2
	v_add_f32_e32 v2, v5, v4
	v_dual_add_f32 v4, v6, v7 :: v_dual_add_f32 v5, v21, v9
	v_dual_add_f32 v3, v3, v8 :: v_dual_add_f32 v0, v0, v1
	s_delay_alu instid0(VALU_DEP_2) | instskip(NEXT) | instid1(VALU_DEP_2)
	v_dual_add_f32 v54, v54, v2 :: v_dual_add_f32 v55, v55, v4
	v_dual_add_f32 v65, v65, v5 :: v_dual_add_f32 v64, v64, v3
	s_delay_alu instid0(VALU_DEP_3)
	v_add_f32_e32 v25, v25, v0
.LBB442_1381:                           ;   in Loop: Header=BB442_1382 Depth=1
	s_or_b32 exec_lo, exec_lo, s11
	v_add_nc_u32_e32 v17, 4, v17
	v_add_co_u32 v13, s0, v13, 16
	s_delay_alu instid0(VALU_DEP_1) | instskip(NEXT) | instid1(VALU_DEP_3)
	v_add_co_ci_u32_e64 v14, s0, 0, v14, s0
	v_cmp_ge_i32_e32 vcc_lo, v17, v51
	v_add_nc_u32_e32 v23, 0x80, v23
	v_add_nc_u32_e32 v15, 0x200, v15
	s_or_b32 s10, vcc_lo, s10
	s_delay_alu instid0(SALU_CYCLE_1)
	s_and_not1_b32 exec_lo, exec_lo, s10
	s_cbranch_execz .LBB442_3235
.LBB442_1382:                           ; =>This Inner Loop Header: Depth=1
	v_sub_nc_u32_e32 v0, 0, v23
	s_delay_alu instid0(VALU_DEP_1) | instskip(NEXT) | instid1(VALU_DEP_1)
	v_max_i32_e32 v0, v23, v0
	v_mul_hi_u32 v1, v0, v49
	s_delay_alu instid0(VALU_DEP_1) | instskip(NEXT) | instid1(VALU_DEP_1)
	v_mul_lo_u32 v2, v1, v48
	v_sub_nc_u32_e32 v0, v0, v2
	v_add_nc_u32_e32 v2, 1, v1
	s_delay_alu instid0(VALU_DEP_2) | instskip(SKIP_1) | instid1(VALU_DEP_2)
	v_sub_nc_u32_e32 v3, v0, v48
	v_cmp_ge_u32_e32 vcc_lo, v0, v48
	v_dual_cndmask_b32 v1, v1, v2 :: v_dual_cndmask_b32 v0, v0, v3
	v_ashrrev_i32_e32 v2, 31, v23
	s_delay_alu instid0(VALU_DEP_2) | instskip(NEXT) | instid1(VALU_DEP_3)
	v_add_nc_u32_e32 v3, 1, v1
	v_cmp_ge_u32_e32 vcc_lo, v0, v48
	s_delay_alu instid0(VALU_DEP_3) | instskip(NEXT) | instid1(VALU_DEP_3)
	v_xor_b32_e32 v2, v2, v50
	v_cndmask_b32_e32 v0, v1, v3, vcc_lo
	s_delay_alu instid0(VALU_DEP_1) | instskip(NEXT) | instid1(VALU_DEP_1)
	v_xor_b32_e32 v0, v0, v2
	v_sub_nc_u32_e32 v0, v0, v2
	s_delay_alu instid0(VALU_DEP_1) | instskip(SKIP_1) | instid1(VALU_DEP_2)
	v_add_nc_u32_e32 v1, v0, v16
	v_cmp_gt_i32_e64 s0, v0, v52
	v_sub_nc_u32_e32 v2, 0, v1
	s_delay_alu instid0(VALU_DEP_1) | instskip(NEXT) | instid1(VALU_DEP_1)
	v_max_i32_e32 v2, v1, v2
	v_mul_hi_u32 v3, v2, v67
	s_delay_alu instid0(VALU_DEP_1) | instskip(NEXT) | instid1(VALU_DEP_1)
	v_mul_lo_u32 v3, v3, v30
	v_sub_nc_u32_e32 v2, v2, v3
	s_delay_alu instid0(VALU_DEP_1) | instskip(SKIP_1) | instid1(VALU_DEP_2)
	v_sub_nc_u32_e32 v3, v2, v30
	v_cmp_ge_u32_e32 vcc_lo, v2, v30
	v_cndmask_b32_e32 v2, v2, v3, vcc_lo
	v_ashrrev_i32_e32 v1, 31, v1
	s_delay_alu instid0(VALU_DEP_2) | instskip(SKIP_1) | instid1(VALU_DEP_2)
	v_sub_nc_u32_e32 v3, v2, v30
	v_cmp_ge_u32_e32 vcc_lo, v2, v30
	v_cndmask_b32_e32 v2, v2, v3, vcc_lo
	s_delay_alu instid0(VALU_DEP_1) | instskip(NEXT) | instid1(VALU_DEP_1)
	v_xor_b32_e32 v2, v2, v1
	v_sub_nc_u32_e32 v1, v2, v1
	s_delay_alu instid0(VALU_DEP_1) | instskip(SKIP_1) | instid1(SALU_CYCLE_1)
	v_cmp_eq_u32_e32 vcc_lo, 0, v1
	s_or_b32 s0, vcc_lo, s0
	s_and_saveexec_b32 s11, s0
	s_cbranch_execz .LBB442_1381
; %bb.1383:                             ;   in Loop: Header=BB442_1382 Depth=1
	flat_load_b32 v71, v[13:14]
	ds_load_2addr_b64 v[6:9], v15 offset1:1
	ds_load_2addr_b64 v[0:3], v15 offset0:2 offset1:3
	s_mov_b32 s0, exec_lo
                                        ; implicit-def: $vgpr68
	s_waitcnt lgkmcnt(1)
	v_and_b32_e32 v4, 0x7f800000, v6
	s_delay_alu instid0(VALU_DEP_1)
	v_cmpx_ne_u32_e32 0x7f800000, v4
	s_xor_b32 s0, exec_lo, s0
; %bb.1384:                             ;   in Loop: Header=BB442_1382 Depth=1
	v_bfe_u32 v4, v6, 16, 1
	s_delay_alu instid0(VALU_DEP_1)
	v_add3_u32 v68, v6, v4, 0x7fff
; %bb.1385:                             ;   in Loop: Header=BB442_1382 Depth=1
	s_and_not1_saveexec_b32 s0, s0
; %bb.1386:                             ;   in Loop: Header=BB442_1382 Depth=1
	v_and_b32_e32 v4, 0xffff, v6
	v_or_b32_e32 v5, 0x10000, v6
	s_delay_alu instid0(VALU_DEP_2) | instskip(NEXT) | instid1(VALU_DEP_2)
	v_cmp_eq_u32_e32 vcc_lo, 0, v4
	v_cndmask_b32_e32 v68, v5, v6, vcc_lo
; %bb.1387:                             ;   in Loop: Header=BB442_1382 Depth=1
	s_or_b32 exec_lo, exec_lo, s0
	v_and_b32_e32 v4, 0x7f800000, v7
	s_mov_b32 s0, exec_lo
                                        ; implicit-def: $vgpr69
	s_delay_alu instid0(VALU_DEP_1)
	v_cmpx_ne_u32_e32 0x7f800000, v4
	s_xor_b32 s0, exec_lo, s0
; %bb.1388:                             ;   in Loop: Header=BB442_1382 Depth=1
	v_bfe_u32 v4, v7, 16, 1
	s_delay_alu instid0(VALU_DEP_1)
	v_add3_u32 v69, v7, v4, 0x7fff
; %bb.1389:                             ;   in Loop: Header=BB442_1382 Depth=1
	s_and_not1_saveexec_b32 s0, s0
; %bb.1390:                             ;   in Loop: Header=BB442_1382 Depth=1
	v_and_b32_e32 v4, 0xffff, v7
	v_or_b32_e32 v5, 0x10000, v7
	s_delay_alu instid0(VALU_DEP_2) | instskip(NEXT) | instid1(VALU_DEP_2)
	v_cmp_eq_u32_e32 vcc_lo, 0, v4
	v_cndmask_b32_e32 v69, v5, v7, vcc_lo
; %bb.1391:                             ;   in Loop: Header=BB442_1382 Depth=1
	s_or_b32 exec_lo, exec_lo, s0
	v_and_b32_e32 v4, 0x7f800000, v8
	s_mov_b32 s0, exec_lo
                                        ; implicit-def: $vgpr70
	s_delay_alu instid0(VALU_DEP_1)
	v_cmpx_ne_u32_e32 0x7f800000, v4
	s_xor_b32 s0, exec_lo, s0
; %bb.1392:                             ;   in Loop: Header=BB442_1382 Depth=1
	v_bfe_u32 v4, v8, 16, 1
	s_delay_alu instid0(VALU_DEP_1)
	v_add3_u32 v70, v8, v4, 0x7fff
; %bb.1393:                             ;   in Loop: Header=BB442_1382 Depth=1
	s_and_not1_saveexec_b32 s0, s0
; %bb.1394:                             ;   in Loop: Header=BB442_1382 Depth=1
	v_and_b32_e32 v4, 0xffff, v8
	v_or_b32_e32 v5, 0x10000, v8
	s_delay_alu instid0(VALU_DEP_2) | instskip(NEXT) | instid1(VALU_DEP_2)
	v_cmp_eq_u32_e32 vcc_lo, 0, v4
	v_cndmask_b32_e32 v70, v5, v8, vcc_lo
; %bb.1395:                             ;   in Loop: Header=BB442_1382 Depth=1
	s_or_b32 exec_lo, exec_lo, s0
	v_and_b32_e32 v4, 0x7f800000, v9
	s_mov_b32 s0, exec_lo
                                        ; implicit-def: $vgpr39
	s_delay_alu instid0(VALU_DEP_1)
	v_cmpx_ne_u32_e32 0x7f800000, v4
	s_xor_b32 s0, exec_lo, s0
; %bb.1396:                             ;   in Loop: Header=BB442_1382 Depth=1
	v_bfe_u32 v4, v9, 16, 1
	s_delay_alu instid0(VALU_DEP_1)
	v_add3_u32 v39, v9, v4, 0x7fff
                                        ; implicit-def: $vgpr6_vgpr7_vgpr8_vgpr9
; %bb.1397:                             ;   in Loop: Header=BB442_1382 Depth=1
	s_and_not1_saveexec_b32 s0, s0
; %bb.1398:                             ;   in Loop: Header=BB442_1382 Depth=1
	v_and_b32_e32 v4, 0xffff, v9
	v_or_b32_e32 v5, 0x10000, v9
	s_delay_alu instid0(VALU_DEP_2) | instskip(NEXT) | instid1(VALU_DEP_2)
	v_cmp_eq_u32_e32 vcc_lo, 0, v4
	v_cndmask_b32_e32 v39, v5, v9, vcc_lo
; %bb.1399:                             ;   in Loop: Header=BB442_1382 Depth=1
	s_or_b32 exec_lo, exec_lo, s0
	s_waitcnt lgkmcnt(0)
	v_and_b32_e32 v4, 0x7f800000, v0
	s_mov_b32 s0, exec_lo
                                        ; implicit-def: $vgpr37
	s_delay_alu instid0(VALU_DEP_1)
	v_cmpx_ne_u32_e32 0x7f800000, v4
	s_xor_b32 s0, exec_lo, s0
; %bb.1400:                             ;   in Loop: Header=BB442_1382 Depth=1
	v_bfe_u32 v4, v0, 16, 1
	s_delay_alu instid0(VALU_DEP_1)
	v_add3_u32 v37, v0, v4, 0x7fff
; %bb.1401:                             ;   in Loop: Header=BB442_1382 Depth=1
	s_and_not1_saveexec_b32 s0, s0
; %bb.1402:                             ;   in Loop: Header=BB442_1382 Depth=1
	v_and_b32_e32 v4, 0xffff, v0
	v_or_b32_e32 v5, 0x10000, v0
	s_delay_alu instid0(VALU_DEP_2) | instskip(NEXT) | instid1(VALU_DEP_2)
	v_cmp_eq_u32_e32 vcc_lo, 0, v4
	v_cndmask_b32_e32 v37, v5, v0, vcc_lo
; %bb.1403:                             ;   in Loop: Header=BB442_1382 Depth=1
	s_or_b32 exec_lo, exec_lo, s0
	v_and_b32_e32 v0, 0x7f800000, v1
	s_mov_b32 s0, exec_lo
                                        ; implicit-def: $vgpr21
	s_delay_alu instid0(VALU_DEP_1)
	v_cmpx_ne_u32_e32 0x7f800000, v0
	s_xor_b32 s0, exec_lo, s0
; %bb.1404:                             ;   in Loop: Header=BB442_1382 Depth=1
	v_bfe_u32 v0, v1, 16, 1
	s_delay_alu instid0(VALU_DEP_1)
	v_add3_u32 v21, v1, v0, 0x7fff
; %bb.1405:                             ;   in Loop: Header=BB442_1382 Depth=1
	s_and_not1_saveexec_b32 s0, s0
; %bb.1406:                             ;   in Loop: Header=BB442_1382 Depth=1
	v_and_b32_e32 v0, 0xffff, v1
	v_or_b32_e32 v4, 0x10000, v1
	s_delay_alu instid0(VALU_DEP_2) | instskip(NEXT) | instid1(VALU_DEP_2)
	v_cmp_eq_u32_e32 vcc_lo, 0, v0
	v_cndmask_b32_e32 v21, v4, v1, vcc_lo
; %bb.1407:                             ;   in Loop: Header=BB442_1382 Depth=1
	s_or_b32 exec_lo, exec_lo, s0
	v_and_b32_e32 v0, 0x7f800000, v2
	s_mov_b32 s0, exec_lo
                                        ; implicit-def: $vgpr5
	s_delay_alu instid0(VALU_DEP_1)
	v_cmpx_ne_u32_e32 0x7f800000, v0
	s_xor_b32 s0, exec_lo, s0
; %bb.1408:                             ;   in Loop: Header=BB442_1382 Depth=1
	v_bfe_u32 v0, v2, 16, 1
	s_delay_alu instid0(VALU_DEP_1)
	v_add3_u32 v5, v2, v0, 0x7fff
; %bb.1409:                             ;   in Loop: Header=BB442_1382 Depth=1
	s_and_not1_saveexec_b32 s0, s0
; %bb.1410:                             ;   in Loop: Header=BB442_1382 Depth=1
	v_and_b32_e32 v0, 0xffff, v2
	v_or_b32_e32 v1, 0x10000, v2
	s_delay_alu instid0(VALU_DEP_2) | instskip(NEXT) | instid1(VALU_DEP_2)
	v_cmp_eq_u32_e32 vcc_lo, 0, v0
	v_cndmask_b32_e32 v5, v1, v2, vcc_lo
; %bb.1411:                             ;   in Loop: Header=BB442_1382 Depth=1
	s_or_b32 exec_lo, exec_lo, s0
	v_and_b32_e32 v0, 0x7f800000, v3
	s_mov_b32 s0, exec_lo
                                        ; implicit-def: $vgpr4
	s_delay_alu instid0(VALU_DEP_1)
	v_cmpx_ne_u32_e32 0x7f800000, v0
	s_xor_b32 s0, exec_lo, s0
; %bb.1412:                             ;   in Loop: Header=BB442_1382 Depth=1
	v_bfe_u32 v0, v3, 16, 1
	s_delay_alu instid0(VALU_DEP_1)
	v_add3_u32 v4, v3, v0, 0x7fff
                                        ; implicit-def: $vgpr0_vgpr1_vgpr2_vgpr3
; %bb.1413:                             ;   in Loop: Header=BB442_1382 Depth=1
	s_and_not1_saveexec_b32 s0, s0
; %bb.1414:                             ;   in Loop: Header=BB442_1382 Depth=1
	v_and_b32_e32 v0, 0xffff, v3
	v_or_b32_e32 v1, 0x10000, v3
	s_delay_alu instid0(VALU_DEP_2) | instskip(NEXT) | instid1(VALU_DEP_2)
	v_cmp_eq_u32_e32 vcc_lo, 0, v0
	v_cndmask_b32_e32 v4, v1, v3, vcc_lo
; %bb.1415:                             ;   in Loop: Header=BB442_1382 Depth=1
	s_or_b32 exec_lo, exec_lo, s0
	s_waitcnt vmcnt(0)
	v_mad_i64_i32 v[0:1], null, v71, v22, v[11:12]
	s_mov_b32 s0, exec_lo
	flat_load_b64 v[2:3], v[0:1]
	flat_load_b32 v8, v[26:27]
	s_waitcnt vmcnt(1) lgkmcnt(1)
	v_dual_mov_b32 v6, 0 :: v_dual_and_b32 v7, 0xff, v2
	s_delay_alu instid0(VALU_DEP_1)
	v_cmpx_ne_u16_e32 0, v7
	s_cbranch_execz .LBB442_1423
; %bb.1416:                             ;   in Loop: Header=BB442_1382 Depth=1
	v_bfrev_b32_e32 v6, 1
	s_mov_b32 s12, exec_lo
	v_cmpx_ne_u16_e32 0x80, v7
	s_cbranch_execz .LBB442_1422
; %bb.1417:                             ;   in Loop: Header=BB442_1382 Depth=1
	v_and_b32_e32 v7, 0x7f, v2
	v_mov_b32_e32 v6, 0x7f800001
	s_mov_b32 s13, exec_lo
	s_delay_alu instid0(VALU_DEP_2)
	v_cmpx_ne_u32_e32 0x7f, v7
	s_cbranch_execz .LBB442_1421
; %bb.1418:                             ;   in Loop: Header=BB442_1382 Depth=1
	v_lshrrev_b32_e32 v9, 3, v7
	v_cmp_gt_u32_e32 vcc_lo, 8, v7
	v_dual_mov_b32 v7, v3 :: v_dual_mov_b32 v6, v2
	s_and_saveexec_b32 s15, vcc_lo
; %bb.1419:                             ;   in Loop: Header=BB442_1382 Depth=1
	v_and_b32_e32 v6, 7, v2
	s_delay_alu instid0(VALU_DEP_1) | instskip(NEXT) | instid1(VALU_DEP_1)
	v_clz_i32_u32_e32 v6, v6
	v_min_u32_e32 v9, 32, v6
	s_delay_alu instid0(VALU_DEP_1) | instskip(SKIP_1) | instid1(VALU_DEP_2)
	v_subrev_nc_u32_e32 v6, 28, v9
	v_sub_nc_u32_e32 v9, 29, v9
	v_lshlrev_b64 v[6:7], v6, v[2:3]
; %bb.1420:                             ;   in Loop: Header=BB442_1382 Depth=1
	s_or_b32 exec_lo, exec_lo, s15
	s_delay_alu instid0(VALU_DEP_1) | instskip(SKIP_2) | instid1(VALU_DEP_3)
	v_lshlrev_b32_e32 v6, 20, v6
	v_lshlrev_b32_e32 v7, 24, v2
	v_lshl_add_u32 v9, v9, 23, 0x3c000000
	v_and_b32_e32 v6, 0x700000, v6
	s_delay_alu instid0(VALU_DEP_3) | instskip(NEXT) | instid1(VALU_DEP_1)
	v_and_b32_e32 v7, 0x80000000, v7
	v_or3_b32 v6, v6, v7, v9
.LBB442_1421:                           ;   in Loop: Header=BB442_1382 Depth=1
	s_or_b32 exec_lo, exec_lo, s13
.LBB442_1422:                           ;   in Loop: Header=BB442_1382 Depth=1
	s_delay_alu instid0(SALU_CYCLE_1)
	s_or_b32 exec_lo, exec_lo, s12
.LBB442_1423:                           ;   in Loop: Header=BB442_1382 Depth=1
	s_delay_alu instid0(SALU_CYCLE_1) | instskip(SKIP_3) | instid1(VALU_DEP_1)
	s_or_b32 exec_lo, exec_lo, s0
	s_waitcnt vmcnt(0) lgkmcnt(0)
	v_mul_f32_e32 v6, v8, v6
	s_mov_b32 s0, exec_lo
                                        ; implicit-def: $vgpr71
	v_and_b32_e32 v7, 0x7f800000, v6
	s_delay_alu instid0(VALU_DEP_1)
	v_cmpx_ne_u32_e32 0x7f800000, v7
	s_xor_b32 s0, exec_lo, s0
; %bb.1424:                             ;   in Loop: Header=BB442_1382 Depth=1
	v_bfe_u32 v7, v6, 16, 1
	s_delay_alu instid0(VALU_DEP_1)
	v_add3_u32 v71, v6, v7, 0x7fff
                                        ; implicit-def: $vgpr6
; %bb.1425:                             ;   in Loop: Header=BB442_1382 Depth=1
	s_and_not1_saveexec_b32 s0, s0
; %bb.1426:                             ;   in Loop: Header=BB442_1382 Depth=1
	v_and_b32_e32 v7, 0xffff, v6
	v_or_b32_e32 v9, 0x10000, v6
	s_delay_alu instid0(VALU_DEP_2) | instskip(NEXT) | instid1(VALU_DEP_2)
	v_cmp_eq_u32_e32 vcc_lo, 0, v7
	v_cndmask_b32_e32 v71, v9, v6, vcc_lo
; %bb.1427:                             ;   in Loop: Header=BB442_1382 Depth=1
	s_or_b32 exec_lo, exec_lo, s0
	v_lshrrev_b16 v7, 8, v2
	v_mov_b32_e32 v6, 0
	s_mov_b32 s0, exec_lo
	s_delay_alu instid0(VALU_DEP_2)
	v_cmpx_ne_u16_e32 0, v7
	s_cbranch_execz .LBB442_1435
; %bb.1428:                             ;   in Loop: Header=BB442_1382 Depth=1
	v_bfrev_b32_e32 v6, 1
	s_mov_b32 s12, exec_lo
	v_cmpx_ne_u16_e32 0x80, v7
	s_cbranch_execz .LBB442_1434
; %bb.1429:                             ;   in Loop: Header=BB442_1382 Depth=1
	v_and_b32_e32 v9, 0xffff, v7
	v_mov_b32_e32 v6, 0x7f800001
	s_mov_b32 s13, exec_lo
	s_delay_alu instid0(VALU_DEP_2) | instskip(NEXT) | instid1(VALU_DEP_1)
	v_and_b32_e32 v7, 0x7f, v9
	v_cmpx_ne_u32_e32 0x7f, v7
	s_cbranch_execz .LBB442_1433
; %bb.1430:                             ;   in Loop: Header=BB442_1382 Depth=1
	v_and_b32_e32 v9, 7, v9
	v_lshrrev_b32_e32 v80, 3, v7
	v_cmp_gt_u32_e32 vcc_lo, 8, v7
	s_delay_alu instid0(VALU_DEP_3)
	v_dual_mov_b32 v6, v9 :: v_dual_mov_b32 v7, v10
	s_and_saveexec_b32 s15, vcc_lo
; %bb.1431:                             ;   in Loop: Header=BB442_1382 Depth=1
	v_clz_i32_u32_e32 v6, v9
	s_delay_alu instid0(VALU_DEP_1) | instskip(NEXT) | instid1(VALU_DEP_1)
	v_min_u32_e32 v80, 32, v6
	v_subrev_nc_u32_e32 v6, 28, v80
	v_sub_nc_u32_e32 v80, 29, v80
	s_delay_alu instid0(VALU_DEP_2) | instskip(NEXT) | instid1(VALU_DEP_1)
	v_lshlrev_b64 v[6:7], v6, v[9:10]
	v_and_b32_e32 v6, 7, v6
; %bb.1432:                             ;   in Loop: Header=BB442_1382 Depth=1
	s_or_b32 exec_lo, exec_lo, s15
	v_lshlrev_b32_e32 v7, 16, v2
	s_delay_alu instid0(VALU_DEP_2) | instskip(SKIP_1) | instid1(VALU_DEP_3)
	v_lshlrev_b32_e32 v6, 20, v6
	v_lshl_add_u32 v9, v80, 23, 0x3c000000
	v_and_b32_e32 v7, 0x80000000, v7
	s_delay_alu instid0(VALU_DEP_1)
	v_or3_b32 v6, v6, v7, v9
.LBB442_1433:                           ;   in Loop: Header=BB442_1382 Depth=1
	s_or_b32 exec_lo, exec_lo, s13
.LBB442_1434:                           ;   in Loop: Header=BB442_1382 Depth=1
	s_delay_alu instid0(SALU_CYCLE_1)
	s_or_b32 exec_lo, exec_lo, s12
.LBB442_1435:                           ;   in Loop: Header=BB442_1382 Depth=1
	s_delay_alu instid0(SALU_CYCLE_1) | instskip(NEXT) | instid1(VALU_DEP_1)
	s_or_b32 exec_lo, exec_lo, s0
	v_mul_f32_e32 v6, v8, v6
	s_mov_b32 s0, exec_lo
                                        ; implicit-def: $vgpr80
	s_delay_alu instid0(VALU_DEP_1) | instskip(NEXT) | instid1(VALU_DEP_1)
	v_and_b32_e32 v7, 0x7f800000, v6
	v_cmpx_ne_u32_e32 0x7f800000, v7
	s_xor_b32 s0, exec_lo, s0
; %bb.1436:                             ;   in Loop: Header=BB442_1382 Depth=1
	v_bfe_u32 v7, v6, 16, 1
	s_delay_alu instid0(VALU_DEP_1)
	v_add3_u32 v80, v6, v7, 0x7fff
                                        ; implicit-def: $vgpr6
; %bb.1437:                             ;   in Loop: Header=BB442_1382 Depth=1
	s_and_not1_saveexec_b32 s0, s0
; %bb.1438:                             ;   in Loop: Header=BB442_1382 Depth=1
	v_and_b32_e32 v7, 0xffff, v6
	v_or_b32_e32 v9, 0x10000, v6
	s_delay_alu instid0(VALU_DEP_2) | instskip(NEXT) | instid1(VALU_DEP_2)
	v_cmp_eq_u32_e32 vcc_lo, 0, v7
	v_cndmask_b32_e32 v80, v9, v6, vcc_lo
; %bb.1439:                             ;   in Loop: Header=BB442_1382 Depth=1
	s_or_b32 exec_lo, exec_lo, s0
	v_lshrrev_b32_e32 v81, 16, v2
	s_mov_b32 s0, exec_lo
	s_delay_alu instid0(VALU_DEP_1) | instskip(NEXT) | instid1(VALU_DEP_1)
	v_dual_mov_b32 v6, 0 :: v_dual_and_b32 v7, 0xff, v81
	v_cmpx_ne_u16_e32 0, v7
	s_cbranch_execz .LBB442_1447
; %bb.1440:                             ;   in Loop: Header=BB442_1382 Depth=1
	v_bfrev_b32_e32 v6, 1
	s_mov_b32 s12, exec_lo
	v_cmpx_ne_u16_e32 0x80, v7
	s_cbranch_execz .LBB442_1446
; %bb.1441:                             ;   in Loop: Header=BB442_1382 Depth=1
	v_bfe_u32 v7, v2, 16, 7
	v_mov_b32_e32 v6, 0x7f800001
	s_mov_b32 s13, exec_lo
	s_delay_alu instid0(VALU_DEP_2)
	v_cmpx_ne_u32_e32 0x7f, v7
	s_cbranch_execz .LBB442_1445
; %bb.1442:                             ;   in Loop: Header=BB442_1382 Depth=1
	v_and_b32_e32 v9, 7, v81
	v_lshrrev_b32_e32 v82, 3, v7
	v_cmp_gt_u32_e32 vcc_lo, 8, v7
	s_delay_alu instid0(VALU_DEP_3)
	v_dual_mov_b32 v6, v9 :: v_dual_mov_b32 v7, v10
	s_and_saveexec_b32 s15, vcc_lo
; %bb.1443:                             ;   in Loop: Header=BB442_1382 Depth=1
	v_clz_i32_u32_e32 v6, v9
	s_delay_alu instid0(VALU_DEP_1) | instskip(NEXT) | instid1(VALU_DEP_1)
	v_min_u32_e32 v82, 32, v6
	v_subrev_nc_u32_e32 v6, 28, v82
	v_sub_nc_u32_e32 v82, 29, v82
	s_delay_alu instid0(VALU_DEP_2) | instskip(NEXT) | instid1(VALU_DEP_1)
	v_lshlrev_b64 v[6:7], v6, v[9:10]
	v_and_b32_e32 v6, 7, v6
; %bb.1444:                             ;   in Loop: Header=BB442_1382 Depth=1
	s_or_b32 exec_lo, exec_lo, s15
	v_lshlrev_b32_e32 v7, 24, v81
	s_delay_alu instid0(VALU_DEP_2) | instskip(SKIP_1) | instid1(VALU_DEP_3)
	v_lshlrev_b32_e32 v6, 20, v6
	v_lshl_add_u32 v9, v82, 23, 0x3c000000
	v_and_b32_e32 v7, 0x80000000, v7
	s_delay_alu instid0(VALU_DEP_1)
	v_or3_b32 v6, v6, v7, v9
.LBB442_1445:                           ;   in Loop: Header=BB442_1382 Depth=1
	s_or_b32 exec_lo, exec_lo, s13
.LBB442_1446:                           ;   in Loop: Header=BB442_1382 Depth=1
	s_delay_alu instid0(SALU_CYCLE_1)
	s_or_b32 exec_lo, exec_lo, s12
.LBB442_1447:                           ;   in Loop: Header=BB442_1382 Depth=1
	s_delay_alu instid0(SALU_CYCLE_1) | instskip(NEXT) | instid1(VALU_DEP_1)
	s_or_b32 exec_lo, exec_lo, s0
	v_mul_f32_e32 v6, v8, v6
	s_mov_b32 s0, exec_lo
                                        ; implicit-def: $vgpr81
	s_delay_alu instid0(VALU_DEP_1) | instskip(NEXT) | instid1(VALU_DEP_1)
	v_and_b32_e32 v7, 0x7f800000, v6
	v_cmpx_ne_u32_e32 0x7f800000, v7
	s_xor_b32 s0, exec_lo, s0
; %bb.1448:                             ;   in Loop: Header=BB442_1382 Depth=1
	v_bfe_u32 v7, v6, 16, 1
	s_delay_alu instid0(VALU_DEP_1)
	v_add3_u32 v81, v6, v7, 0x7fff
                                        ; implicit-def: $vgpr6
; %bb.1449:                             ;   in Loop: Header=BB442_1382 Depth=1
	s_and_not1_saveexec_b32 s0, s0
; %bb.1450:                             ;   in Loop: Header=BB442_1382 Depth=1
	v_and_b32_e32 v7, 0xffff, v6
	v_or_b32_e32 v9, 0x10000, v6
	s_delay_alu instid0(VALU_DEP_2) | instskip(NEXT) | instid1(VALU_DEP_2)
	v_cmp_eq_u32_e32 vcc_lo, 0, v7
	v_cndmask_b32_e32 v81, v9, v6, vcc_lo
; %bb.1451:                             ;   in Loop: Header=BB442_1382 Depth=1
	s_or_b32 exec_lo, exec_lo, s0
	v_mov_b32_e32 v6, 0
	s_mov_b32 s0, exec_lo
	v_cmpx_lt_u32_e32 0xffffff, v2
	s_cbranch_execz .LBB442_1459
; %bb.1452:                             ;   in Loop: Header=BB442_1382 Depth=1
	v_lshrrev_b32_e32 v82, 24, v2
	v_bfrev_b32_e32 v6, 1
	s_mov_b32 s12, exec_lo
	s_delay_alu instid0(VALU_DEP_2)
	v_cmpx_ne_u32_e32 0x80, v82
	s_cbranch_execz .LBB442_1458
; %bb.1453:                             ;   in Loop: Header=BB442_1382 Depth=1
	v_bfe_u32 v7, v2, 24, 7
	v_mov_b32_e32 v6, 0x7f800001
	s_mov_b32 s13, exec_lo
	s_delay_alu instid0(VALU_DEP_2)
	v_cmpx_ne_u32_e32 0x7f, v7
	s_cbranch_execz .LBB442_1457
; %bb.1454:                             ;   in Loop: Header=BB442_1382 Depth=1
	v_and_b32_e32 v9, 7, v82
	v_lshrrev_b32_e32 v83, 3, v7
	v_cmp_gt_u32_e32 vcc_lo, 8, v7
	s_delay_alu instid0(VALU_DEP_3)
	v_dual_mov_b32 v6, v9 :: v_dual_mov_b32 v7, v10
	s_and_saveexec_b32 s15, vcc_lo
; %bb.1455:                             ;   in Loop: Header=BB442_1382 Depth=1
	v_clz_i32_u32_e32 v6, v9
	s_delay_alu instid0(VALU_DEP_1) | instskip(NEXT) | instid1(VALU_DEP_1)
	v_min_u32_e32 v83, 32, v6
	v_subrev_nc_u32_e32 v6, 28, v83
	v_sub_nc_u32_e32 v83, 29, v83
	s_delay_alu instid0(VALU_DEP_2) | instskip(NEXT) | instid1(VALU_DEP_1)
	v_lshlrev_b64 v[6:7], v6, v[9:10]
	v_and_b32_e32 v6, 7, v6
; %bb.1456:                             ;   in Loop: Header=BB442_1382 Depth=1
	s_or_b32 exec_lo, exec_lo, s15
	v_lshlrev_b32_e32 v7, 24, v82
	s_delay_alu instid0(VALU_DEP_2) | instskip(SKIP_1) | instid1(VALU_DEP_3)
	v_lshlrev_b32_e32 v6, 20, v6
	v_lshl_add_u32 v9, v83, 23, 0x3c000000
	v_and_b32_e32 v7, 0x80000000, v7
	s_delay_alu instid0(VALU_DEP_1)
	v_or3_b32 v6, v6, v7, v9
.LBB442_1457:                           ;   in Loop: Header=BB442_1382 Depth=1
	s_or_b32 exec_lo, exec_lo, s13
.LBB442_1458:                           ;   in Loop: Header=BB442_1382 Depth=1
	s_delay_alu instid0(SALU_CYCLE_1)
	s_or_b32 exec_lo, exec_lo, s12
.LBB442_1459:                           ;   in Loop: Header=BB442_1382 Depth=1
	s_delay_alu instid0(SALU_CYCLE_1) | instskip(NEXT) | instid1(VALU_DEP_1)
	s_or_b32 exec_lo, exec_lo, s0
	v_mul_f32_e32 v6, v8, v6
	s_mov_b32 s0, exec_lo
                                        ; implicit-def: $vgpr82
	s_delay_alu instid0(VALU_DEP_1) | instskip(NEXT) | instid1(VALU_DEP_1)
	v_and_b32_e32 v7, 0x7f800000, v6
	v_cmpx_ne_u32_e32 0x7f800000, v7
	s_xor_b32 s0, exec_lo, s0
; %bb.1460:                             ;   in Loop: Header=BB442_1382 Depth=1
	v_bfe_u32 v7, v6, 16, 1
	s_delay_alu instid0(VALU_DEP_1)
	v_add3_u32 v82, v6, v7, 0x7fff
                                        ; implicit-def: $vgpr6
; %bb.1461:                             ;   in Loop: Header=BB442_1382 Depth=1
	s_and_not1_saveexec_b32 s0, s0
; %bb.1462:                             ;   in Loop: Header=BB442_1382 Depth=1
	v_and_b32_e32 v7, 0xffff, v6
	v_or_b32_e32 v9, 0x10000, v6
	s_delay_alu instid0(VALU_DEP_2) | instskip(NEXT) | instid1(VALU_DEP_2)
	v_cmp_eq_u32_e32 vcc_lo, 0, v7
	v_cndmask_b32_e32 v82, v9, v6, vcc_lo
; %bb.1463:                             ;   in Loop: Header=BB442_1382 Depth=1
	s_or_b32 exec_lo, exec_lo, s0
	v_dual_mov_b32 v6, 0 :: v_dual_and_b32 v7, 0xff, v3
	v_mov_b32_e32 v9, v3
	s_mov_b32 s0, exec_lo
	s_delay_alu instid0(VALU_DEP_2)
	v_cmpx_ne_u16_e32 0, v7
	s_cbranch_execz .LBB442_1471
; %bb.1464:                             ;   in Loop: Header=BB442_1382 Depth=1
	v_bfrev_b32_e32 v6, 1
	s_mov_b32 s12, exec_lo
	v_cmpx_ne_u16_e32 0x80, v7
	s_cbranch_execz .LBB442_1470
; %bb.1465:                             ;   in Loop: Header=BB442_1382 Depth=1
	v_and_b32_e32 v7, 0x7f, v3
	v_mov_b32_e32 v6, 0x7f800001
	s_mov_b32 s13, exec_lo
	s_delay_alu instid0(VALU_DEP_2)
	v_cmpx_ne_u32_e32 0x7f, v7
	s_cbranch_execz .LBB442_1469
; %bb.1466:                             ;   in Loop: Header=BB442_1382 Depth=1
	v_lshrrev_b32_e32 v83, 3, v7
	v_cmp_gt_u32_e32 vcc_lo, 8, v7
	v_dual_mov_b32 v6, v9 :: v_dual_mov_b32 v7, v10
	s_and_saveexec_b32 s15, vcc_lo
; %bb.1467:                             ;   in Loop: Header=BB442_1382 Depth=1
	v_and_b32_e32 v6, 7, v3
	s_delay_alu instid0(VALU_DEP_1) | instskip(NEXT) | instid1(VALU_DEP_1)
	v_clz_i32_u32_e32 v6, v6
	v_min_u32_e32 v83, 32, v6
	s_delay_alu instid0(VALU_DEP_1) | instskip(SKIP_1) | instid1(VALU_DEP_2)
	v_subrev_nc_u32_e32 v6, 28, v83
	v_sub_nc_u32_e32 v83, 29, v83
	v_lshlrev_b64 v[6:7], v6, v[9:10]
; %bb.1468:                             ;   in Loop: Header=BB442_1382 Depth=1
	s_or_b32 exec_lo, exec_lo, s15
	s_delay_alu instid0(VALU_DEP_1) | instskip(SKIP_2) | instid1(VALU_DEP_3)
	v_lshlrev_b32_e32 v6, 20, v6
	v_lshlrev_b32_e32 v7, 24, v9
	v_lshl_add_u32 v83, v83, 23, 0x3c000000
	v_and_b32_e32 v6, 0x700000, v6
	s_delay_alu instid0(VALU_DEP_3) | instskip(NEXT) | instid1(VALU_DEP_1)
	v_and_b32_e32 v7, 0x80000000, v7
	v_or3_b32 v6, v6, v7, v83
.LBB442_1469:                           ;   in Loop: Header=BB442_1382 Depth=1
	s_or_b32 exec_lo, exec_lo, s13
.LBB442_1470:                           ;   in Loop: Header=BB442_1382 Depth=1
	s_delay_alu instid0(SALU_CYCLE_1)
	s_or_b32 exec_lo, exec_lo, s12
.LBB442_1471:                           ;   in Loop: Header=BB442_1382 Depth=1
	s_delay_alu instid0(SALU_CYCLE_1) | instskip(NEXT) | instid1(VALU_DEP_1)
	s_or_b32 exec_lo, exec_lo, s0
	v_mul_f32_e32 v6, v8, v6
	s_mov_b32 s0, exec_lo
                                        ; implicit-def: $vgpr83
	s_delay_alu instid0(VALU_DEP_1) | instskip(NEXT) | instid1(VALU_DEP_1)
	v_and_b32_e32 v7, 0x7f800000, v6
	v_cmpx_ne_u32_e32 0x7f800000, v7
	s_xor_b32 s0, exec_lo, s0
; %bb.1472:                             ;   in Loop: Header=BB442_1382 Depth=1
	v_bfe_u32 v7, v6, 16, 1
	s_delay_alu instid0(VALU_DEP_1)
	v_add3_u32 v83, v6, v7, 0x7fff
                                        ; implicit-def: $vgpr6
; %bb.1473:                             ;   in Loop: Header=BB442_1382 Depth=1
	s_and_not1_saveexec_b32 s0, s0
; %bb.1474:                             ;   in Loop: Header=BB442_1382 Depth=1
	v_and_b32_e32 v7, 0xffff, v6
	v_or_b32_e32 v83, 0x10000, v6
	s_delay_alu instid0(VALU_DEP_2) | instskip(NEXT) | instid1(VALU_DEP_2)
	v_cmp_eq_u32_e32 vcc_lo, 0, v7
	v_cndmask_b32_e32 v83, v83, v6, vcc_lo
; %bb.1475:                             ;   in Loop: Header=BB442_1382 Depth=1
	s_or_b32 exec_lo, exec_lo, s0
	v_lshrrev_b16 v7, 8, v9
	v_mov_b32_e32 v6, 0
	s_mov_b32 s0, exec_lo
	s_delay_alu instid0(VALU_DEP_2)
	v_cmpx_ne_u16_e32 0, v7
	s_cbranch_execz .LBB442_1483
; %bb.1476:                             ;   in Loop: Header=BB442_1382 Depth=1
	v_bfrev_b32_e32 v6, 1
	s_mov_b32 s12, exec_lo
	v_cmpx_ne_u16_e32 0x80, v7
	s_cbranch_execz .LBB442_1482
; %bb.1477:                             ;   in Loop: Header=BB442_1382 Depth=1
	v_and_b32_e32 v7, 0xffff, v7
	v_mov_b32_e32 v6, 0x7f800001
	s_mov_b32 s13, exec_lo
	s_delay_alu instid0(VALU_DEP_2) | instskip(NEXT) | instid1(VALU_DEP_1)
	v_and_b32_e32 v85, 0x7f, v7
	v_cmpx_ne_u32_e32 0x7f, v85
	s_cbranch_execz .LBB442_1481
; %bb.1478:                             ;   in Loop: Header=BB442_1382 Depth=1
	v_dual_mov_b32 v7, v10 :: v_dual_and_b32 v6, 7, v7
	v_lshrrev_b32_e32 v84, 3, v85
	s_mov_b32 s15, exec_lo
	v_cmpx_gt_u32_e32 8, v85
; %bb.1479:                             ;   in Loop: Header=BB442_1382 Depth=1
	s_delay_alu instid0(VALU_DEP_3) | instskip(NEXT) | instid1(VALU_DEP_1)
	v_clz_i32_u32_e32 v84, v6
	v_min_u32_e32 v84, 32, v84
	s_delay_alu instid0(VALU_DEP_1) | instskip(SKIP_1) | instid1(VALU_DEP_2)
	v_subrev_nc_u32_e32 v85, 28, v84
	v_sub_nc_u32_e32 v84, 29, v84
	v_lshlrev_b64 v[6:7], v85, v[6:7]
	s_delay_alu instid0(VALU_DEP_1)
	v_and_b32_e32 v6, 7, v6
; %bb.1480:                             ;   in Loop: Header=BB442_1382 Depth=1
	s_or_b32 exec_lo, exec_lo, s15
	v_lshlrev_b32_e32 v7, 16, v9
	s_delay_alu instid0(VALU_DEP_2) | instskip(SKIP_1) | instid1(VALU_DEP_3)
	v_lshlrev_b32_e32 v6, 20, v6
	v_lshl_add_u32 v9, v84, 23, 0x3c000000
	v_and_b32_e32 v7, 0x80000000, v7
	s_delay_alu instid0(VALU_DEP_1)
	v_or3_b32 v6, v6, v7, v9
.LBB442_1481:                           ;   in Loop: Header=BB442_1382 Depth=1
	s_or_b32 exec_lo, exec_lo, s13
.LBB442_1482:                           ;   in Loop: Header=BB442_1382 Depth=1
	s_delay_alu instid0(SALU_CYCLE_1)
	s_or_b32 exec_lo, exec_lo, s12
.LBB442_1483:                           ;   in Loop: Header=BB442_1382 Depth=1
	s_delay_alu instid0(SALU_CYCLE_1) | instskip(NEXT) | instid1(VALU_DEP_1)
	s_or_b32 exec_lo, exec_lo, s0
	v_mul_f32_e32 v6, v8, v6
	s_mov_b32 s0, exec_lo
                                        ; implicit-def: $vgpr85
	s_delay_alu instid0(VALU_DEP_1) | instskip(NEXT) | instid1(VALU_DEP_1)
	v_and_b32_e32 v7, 0x7f800000, v6
	v_cmpx_ne_u32_e32 0x7f800000, v7
	s_xor_b32 s0, exec_lo, s0
; %bb.1484:                             ;   in Loop: Header=BB442_1382 Depth=1
	v_bfe_u32 v7, v6, 16, 1
	s_delay_alu instid0(VALU_DEP_1)
	v_add3_u32 v85, v6, v7, 0x7fff
                                        ; implicit-def: $vgpr6
; %bb.1485:                             ;   in Loop: Header=BB442_1382 Depth=1
	s_and_not1_saveexec_b32 s0, s0
; %bb.1486:                             ;   in Loop: Header=BB442_1382 Depth=1
	v_and_b32_e32 v7, 0xffff, v6
	v_or_b32_e32 v9, 0x10000, v6
	s_delay_alu instid0(VALU_DEP_2) | instskip(NEXT) | instid1(VALU_DEP_2)
	v_cmp_eq_u32_e32 vcc_lo, 0, v7
	v_cndmask_b32_e32 v85, v9, v6, vcc_lo
; %bb.1487:                             ;   in Loop: Header=BB442_1382 Depth=1
	s_or_b32 exec_lo, exec_lo, s0
	v_lshrrev_b32_e32 v84, 16, v3
	s_mov_b32 s0, exec_lo
	s_delay_alu instid0(VALU_DEP_1) | instskip(NEXT) | instid1(VALU_DEP_1)
	v_dual_mov_b32 v6, 0 :: v_dual_and_b32 v7, 0xff, v84
	v_cmpx_ne_u16_e32 0, v7
	s_cbranch_execz .LBB442_1495
; %bb.1488:                             ;   in Loop: Header=BB442_1382 Depth=1
	v_bfrev_b32_e32 v6, 1
	s_mov_b32 s12, exec_lo
	v_cmpx_ne_u16_e32 0x80, v7
	s_cbranch_execz .LBB442_1494
; %bb.1489:                             ;   in Loop: Header=BB442_1382 Depth=1
	v_bfe_u32 v7, v3, 16, 7
	v_mov_b32_e32 v6, 0x7f800001
	s_mov_b32 s13, exec_lo
	s_delay_alu instid0(VALU_DEP_2)
	v_cmpx_ne_u32_e32 0x7f, v7
	s_cbranch_execz .LBB442_1493
; %bb.1490:                             ;   in Loop: Header=BB442_1382 Depth=1
	v_and_b32_e32 v9, 7, v84
	v_lshrrev_b32_e32 v86, 3, v7
	v_cmp_gt_u32_e32 vcc_lo, 8, v7
	s_delay_alu instid0(VALU_DEP_3)
	v_dual_mov_b32 v6, v9 :: v_dual_mov_b32 v7, v10
	s_and_saveexec_b32 s15, vcc_lo
; %bb.1491:                             ;   in Loop: Header=BB442_1382 Depth=1
	v_clz_i32_u32_e32 v6, v9
	s_delay_alu instid0(VALU_DEP_1) | instskip(NEXT) | instid1(VALU_DEP_1)
	v_min_u32_e32 v86, 32, v6
	v_subrev_nc_u32_e32 v6, 28, v86
	v_sub_nc_u32_e32 v86, 29, v86
	s_delay_alu instid0(VALU_DEP_2) | instskip(NEXT) | instid1(VALU_DEP_1)
	v_lshlrev_b64 v[6:7], v6, v[9:10]
	v_and_b32_e32 v6, 7, v6
; %bb.1492:                             ;   in Loop: Header=BB442_1382 Depth=1
	s_or_b32 exec_lo, exec_lo, s15
	v_lshlrev_b32_e32 v7, 24, v84
	s_delay_alu instid0(VALU_DEP_2) | instskip(SKIP_1) | instid1(VALU_DEP_3)
	v_lshlrev_b32_e32 v6, 20, v6
	v_lshl_add_u32 v9, v86, 23, 0x3c000000
	v_and_b32_e32 v7, 0x80000000, v7
	s_delay_alu instid0(VALU_DEP_1)
	v_or3_b32 v6, v6, v7, v9
.LBB442_1493:                           ;   in Loop: Header=BB442_1382 Depth=1
	s_or_b32 exec_lo, exec_lo, s13
.LBB442_1494:                           ;   in Loop: Header=BB442_1382 Depth=1
	s_delay_alu instid0(SALU_CYCLE_1)
	s_or_b32 exec_lo, exec_lo, s12
.LBB442_1495:                           ;   in Loop: Header=BB442_1382 Depth=1
	s_delay_alu instid0(SALU_CYCLE_1) | instskip(NEXT) | instid1(VALU_DEP_1)
	s_or_b32 exec_lo, exec_lo, s0
	v_mul_f32_e32 v6, v8, v6
	s_mov_b32 s0, exec_lo
                                        ; implicit-def: $vgpr86
	s_delay_alu instid0(VALU_DEP_1) | instskip(NEXT) | instid1(VALU_DEP_1)
	v_and_b32_e32 v7, 0x7f800000, v6
	v_cmpx_ne_u32_e32 0x7f800000, v7
	s_xor_b32 s0, exec_lo, s0
; %bb.1496:                             ;   in Loop: Header=BB442_1382 Depth=1
	v_bfe_u32 v7, v6, 16, 1
	s_delay_alu instid0(VALU_DEP_1)
	v_add3_u32 v86, v6, v7, 0x7fff
                                        ; implicit-def: $vgpr6
; %bb.1497:                             ;   in Loop: Header=BB442_1382 Depth=1
	s_and_not1_saveexec_b32 s0, s0
; %bb.1498:                             ;   in Loop: Header=BB442_1382 Depth=1
	v_and_b32_e32 v7, 0xffff, v6
	v_or_b32_e32 v9, 0x10000, v6
	s_delay_alu instid0(VALU_DEP_2) | instskip(NEXT) | instid1(VALU_DEP_2)
	v_cmp_eq_u32_e32 vcc_lo, 0, v7
	v_cndmask_b32_e32 v86, v9, v6, vcc_lo
; %bb.1499:                             ;   in Loop: Header=BB442_1382 Depth=1
	s_or_b32 exec_lo, exec_lo, s0
	v_cmp_lt_u64_e32 vcc_lo, s[8:9], v[2:3]
	v_mov_b32_e32 v2, 0
	s_and_saveexec_b32 s0, vcc_lo
	s_cbranch_execz .LBB442_1507
; %bb.1500:                             ;   in Loop: Header=BB442_1382 Depth=1
	v_lshrrev_b32_e32 v6, 24, v3
	v_bfrev_b32_e32 v2, 1
	s_mov_b32 s12, exec_lo
	s_delay_alu instid0(VALU_DEP_2)
	v_cmpx_ne_u32_e32 0x80, v6
	s_cbranch_execz .LBB442_1506
; %bb.1501:                             ;   in Loop: Header=BB442_1382 Depth=1
	v_bfe_u32 v3, v3, 24, 7
	v_mov_b32_e32 v2, 0x7f800001
	s_mov_b32 s13, exec_lo
	s_delay_alu instid0(VALU_DEP_2)
	v_cmpx_ne_u32_e32 0x7f, v3
	s_cbranch_execz .LBB442_1505
; %bb.1502:                             ;   in Loop: Header=BB442_1382 Depth=1
	v_and_b32_e32 v9, 7, v6
	v_lshrrev_b32_e32 v7, 3, v3
	v_cmp_gt_u32_e32 vcc_lo, 8, v3
	s_delay_alu instid0(VALU_DEP_3)
	v_dual_mov_b32 v2, v9 :: v_dual_mov_b32 v3, v10
	s_and_saveexec_b32 s15, vcc_lo
; %bb.1503:                             ;   in Loop: Header=BB442_1382 Depth=1
	v_clz_i32_u32_e32 v2, v9
	s_delay_alu instid0(VALU_DEP_1) | instskip(NEXT) | instid1(VALU_DEP_1)
	v_min_u32_e32 v7, 32, v2
	v_subrev_nc_u32_e32 v2, 28, v7
	v_sub_nc_u32_e32 v7, 29, v7
	s_delay_alu instid0(VALU_DEP_2) | instskip(NEXT) | instid1(VALU_DEP_1)
	v_lshlrev_b64 v[2:3], v2, v[9:10]
	v_and_b32_e32 v2, 7, v2
; %bb.1504:                             ;   in Loop: Header=BB442_1382 Depth=1
	s_or_b32 exec_lo, exec_lo, s15
	v_lshlrev_b32_e32 v3, 24, v6
	s_delay_alu instid0(VALU_DEP_2) | instskip(SKIP_1) | instid1(VALU_DEP_3)
	v_lshlrev_b32_e32 v2, 20, v2
	v_lshl_add_u32 v6, v7, 23, 0x3c000000
	v_and_b32_e32 v3, 0x80000000, v3
	s_delay_alu instid0(VALU_DEP_1)
	v_or3_b32 v2, v2, v3, v6
.LBB442_1505:                           ;   in Loop: Header=BB442_1382 Depth=1
	s_or_b32 exec_lo, exec_lo, s13
.LBB442_1506:                           ;   in Loop: Header=BB442_1382 Depth=1
	s_delay_alu instid0(SALU_CYCLE_1)
	s_or_b32 exec_lo, exec_lo, s12
.LBB442_1507:                           ;   in Loop: Header=BB442_1382 Depth=1
	s_delay_alu instid0(SALU_CYCLE_1) | instskip(NEXT) | instid1(VALU_DEP_1)
	s_or_b32 exec_lo, exec_lo, s0
	v_mul_f32_e32 v3, v8, v2
	s_delay_alu instid0(VALU_DEP_1) | instskip(NEXT) | instid1(VALU_DEP_1)
	v_and_b32_e32 v2, 0x7f800000, v3
	v_cmp_ne_u32_e32 vcc_lo, 0x7f800000, v2
                                        ; implicit-def: $vgpr2
	s_and_saveexec_b32 s0, vcc_lo
	s_delay_alu instid0(SALU_CYCLE_1)
	s_xor_b32 s0, exec_lo, s0
; %bb.1508:                             ;   in Loop: Header=BB442_1382 Depth=1
	v_bfe_u32 v2, v3, 16, 1
	s_delay_alu instid0(VALU_DEP_1)
	v_add3_u32 v2, v3, v2, 0x7fff
                                        ; implicit-def: $vgpr3
; %bb.1509:                             ;   in Loop: Header=BB442_1382 Depth=1
	s_and_not1_saveexec_b32 s0, s0
; %bb.1510:                             ;   in Loop: Header=BB442_1382 Depth=1
	v_and_b32_e32 v2, 0xffff, v3
	v_or_b32_e32 v6, 0x10000, v3
	s_delay_alu instid0(VALU_DEP_2) | instskip(NEXT) | instid1(VALU_DEP_2)
	v_cmp_eq_u32_e32 vcc_lo, 0, v2
	v_cndmask_b32_e32 v2, v6, v3, vcc_lo
; %bb.1511:                             ;   in Loop: Header=BB442_1382 Depth=1
	s_or_b32 exec_lo, exec_lo, s0
	v_add_nc_u32_e32 v84, v18, v23
	v_cmp_eq_u32_e32 vcc_lo, v66, v17
	v_lshrrev_b32_e32 v6, 16, v85
	v_lshrrev_b32_e32 v7, 16, v83
	;; [unrolled: 1-line block ×8, first 2 shown]
	v_add_nc_u32_e32 v99, 1, v84
	v_add_nc_u32_e32 v98, 2, v84
	;; [unrolled: 1-line block ×7, first 2 shown]
	s_and_saveexec_b32 s12, vcc_lo
	s_cbranch_execz .LBB442_1513
; %bb.1512:                             ;   in Loop: Header=BB442_1382 Depth=1
	v_cmp_lt_i32_e64 s0, v84, v38
	s_delay_alu instid0(VALU_DEP_1) | instskip(SKIP_1) | instid1(VALU_DEP_1)
	v_cndmask_b32_e64 v71, 0, v71, s0
	v_cmp_lt_i32_e64 s0, v99, v38
	v_cndmask_b32_e64 v80, 0, v80, s0
	v_cmp_lt_i32_e64 s0, v98, v38
	s_delay_alu instid0(VALU_DEP_1) | instskip(SKIP_1) | instid1(VALU_DEP_1)
	v_cndmask_b32_e64 v81, 0, v81, s0
	v_cmp_lt_i32_e64 s0, v97, v38
	v_cndmask_b32_e64 v9, 0, v9, s0
	v_cmp_lt_i32_e64 s0, v96, v38
	s_delay_alu instid0(VALU_DEP_1) | instskip(SKIP_1) | instid1(VALU_DEP_1)
	v_cndmask_b32_e64 v7, 0, v7, s0
	v_cmp_lt_i32_e64 s0, v87, v38
	v_cndmask_b32_e64 v6, 0, v6, s0
	v_cmp_lt_i32_e64 s0, v86, v38
	s_delay_alu instid0(VALU_DEP_1) | instskip(SKIP_1) | instid1(VALU_DEP_1)
	v_cndmask_b32_e64 v3, 0, v3, s0
	v_cmp_lt_i32_e64 s0, v85, v38
	v_cndmask_b32_e64 v2, 0, v2, s0
.LBB442_1513:                           ;   in Loop: Header=BB442_1382 Depth=1
	s_or_b32 exec_lo, exec_lo, s12
	v_and_b32_e32 v100, 0xffff0000, v68
	v_lshlrev_b32_e32 v68, 16, v71
	s_delay_alu instid0(VALU_DEP_1) | instskip(NEXT) | instid1(VALU_DEP_1)
	v_mul_f32_e32 v71, v100, v68
	v_and_b32_e32 v68, 0x7f800000, v71
	s_delay_alu instid0(VALU_DEP_1) | instskip(NEXT) | instid1(VALU_DEP_1)
	v_cmp_ne_u32_e64 s0, 0x7f800000, v68
                                        ; implicit-def: $vgpr68
	s_and_saveexec_b32 s12, s0
	s_delay_alu instid0(SALU_CYCLE_1)
	s_xor_b32 s0, exec_lo, s12
; %bb.1514:                             ;   in Loop: Header=BB442_1382 Depth=1
	v_bfe_u32 v68, v71, 16, 1
	s_delay_alu instid0(VALU_DEP_1)
	v_add3_u32 v68, v71, v68, 0x7fff
                                        ; implicit-def: $vgpr71
; %bb.1515:                             ;   in Loop: Header=BB442_1382 Depth=1
	s_and_not1_saveexec_b32 s12, s0
; %bb.1516:                             ;   in Loop: Header=BB442_1382 Depth=1
	v_and_b32_e32 v68, 0xffff, v71
	v_or_b32_e32 v82, 0x10000, v71
	s_delay_alu instid0(VALU_DEP_2) | instskip(NEXT) | instid1(VALU_DEP_1)
	v_cmp_eq_u32_e64 s0, 0, v68
	v_cndmask_b32_e64 v68, v82, v71, s0
; %bb.1517:                             ;   in Loop: Header=BB442_1382 Depth=1
	s_or_b32 exec_lo, exec_lo, s12
	v_and_b32_e32 v101, 0xffff0000, v69
	v_lshlrev_b32_e32 v69, 16, v80
	s_delay_alu instid0(VALU_DEP_1) | instskip(NEXT) | instid1(VALU_DEP_1)
	v_mul_f32_e32 v71, v101, v69
	v_and_b32_e32 v69, 0x7f800000, v71
	s_delay_alu instid0(VALU_DEP_1) | instskip(NEXT) | instid1(VALU_DEP_1)
	v_cmp_ne_u32_e64 s0, 0x7f800000, v69
                                        ; implicit-def: $vgpr69
	s_and_saveexec_b32 s12, s0
	s_delay_alu instid0(SALU_CYCLE_1)
	s_xor_b32 s0, exec_lo, s12
; %bb.1518:                             ;   in Loop: Header=BB442_1382 Depth=1
	v_bfe_u32 v69, v71, 16, 1
	s_delay_alu instid0(VALU_DEP_1)
	v_add3_u32 v69, v71, v69, 0x7fff
                                        ; implicit-def: $vgpr71
; %bb.1519:                             ;   in Loop: Header=BB442_1382 Depth=1
	s_and_not1_saveexec_b32 s12, s0
; %bb.1520:                             ;   in Loop: Header=BB442_1382 Depth=1
	v_and_b32_e32 v69, 0xffff, v71
	v_or_b32_e32 v80, 0x10000, v71
	s_delay_alu instid0(VALU_DEP_2) | instskip(NEXT) | instid1(VALU_DEP_1)
	v_cmp_eq_u32_e64 s0, 0, v69
	v_cndmask_b32_e64 v69, v80, v71, s0
; %bb.1521:                             ;   in Loop: Header=BB442_1382 Depth=1
	s_or_b32 exec_lo, exec_lo, s12
	v_and_b32_e32 v102, 0xffff0000, v70
	v_lshlrev_b32_e32 v70, 16, v81
	s_delay_alu instid0(VALU_DEP_1) | instskip(NEXT) | instid1(VALU_DEP_1)
	v_mul_f32_e32 v71, v102, v70
	v_and_b32_e32 v70, 0x7f800000, v71
	s_delay_alu instid0(VALU_DEP_1) | instskip(NEXT) | instid1(VALU_DEP_1)
	v_cmp_ne_u32_e64 s0, 0x7f800000, v70
                                        ; implicit-def: $vgpr70
	s_and_saveexec_b32 s12, s0
	s_delay_alu instid0(SALU_CYCLE_1)
	s_xor_b32 s0, exec_lo, s12
; %bb.1522:                             ;   in Loop: Header=BB442_1382 Depth=1
	v_bfe_u32 v70, v71, 16, 1
	s_delay_alu instid0(VALU_DEP_1)
	v_add3_u32 v70, v71, v70, 0x7fff
                                        ; implicit-def: $vgpr71
; %bb.1523:                             ;   in Loop: Header=BB442_1382 Depth=1
	s_and_not1_saveexec_b32 s12, s0
; %bb.1524:                             ;   in Loop: Header=BB442_1382 Depth=1
	v_and_b32_e32 v70, 0xffff, v71
	v_or_b32_e32 v80, 0x10000, v71
	s_delay_alu instid0(VALU_DEP_2) | instskip(NEXT) | instid1(VALU_DEP_1)
	v_cmp_eq_u32_e64 s0, 0, v70
	v_cndmask_b32_e64 v70, v80, v71, s0
; %bb.1525:                             ;   in Loop: Header=BB442_1382 Depth=1
	s_or_b32 exec_lo, exec_lo, s12
	v_and_b32_e32 v103, 0xffff0000, v39
	v_lshlrev_b32_e32 v9, 16, v9
                                        ; implicit-def: $vgpr71
	s_delay_alu instid0(VALU_DEP_1) | instskip(NEXT) | instid1(VALU_DEP_1)
	v_mul_f32_e32 v9, v103, v9
	v_and_b32_e32 v39, 0x7f800000, v9
	s_delay_alu instid0(VALU_DEP_1) | instskip(NEXT) | instid1(VALU_DEP_1)
	v_cmp_ne_u32_e64 s0, 0x7f800000, v39
	s_and_saveexec_b32 s12, s0
	s_delay_alu instid0(SALU_CYCLE_1)
	s_xor_b32 s0, exec_lo, s12
; %bb.1526:                             ;   in Loop: Header=BB442_1382 Depth=1
	v_bfe_u32 v39, v9, 16, 1
	s_delay_alu instid0(VALU_DEP_1)
	v_add3_u32 v71, v9, v39, 0x7fff
                                        ; implicit-def: $vgpr9
; %bb.1527:                             ;   in Loop: Header=BB442_1382 Depth=1
	s_and_not1_saveexec_b32 s12, s0
; %bb.1528:                             ;   in Loop: Header=BB442_1382 Depth=1
	v_and_b32_e32 v39, 0xffff, v9
	v_or_b32_e32 v71, 0x10000, v9
	s_delay_alu instid0(VALU_DEP_2) | instskip(NEXT) | instid1(VALU_DEP_1)
	v_cmp_eq_u32_e64 s0, 0, v39
	v_cndmask_b32_e64 v71, v71, v9, s0
; %bb.1529:                             ;   in Loop: Header=BB442_1382 Depth=1
	s_or_b32 exec_lo, exec_lo, s12
	v_and_b32_e32 v112, 0xffff0000, v37
	v_lshlrev_b32_e32 v7, 16, v7
                                        ; implicit-def: $vgpr80
	s_delay_alu instid0(VALU_DEP_1) | instskip(NEXT) | instid1(VALU_DEP_1)
	v_mul_f32_e32 v7, v112, v7
	v_and_b32_e32 v9, 0x7f800000, v7
	s_delay_alu instid0(VALU_DEP_1) | instskip(NEXT) | instid1(VALU_DEP_1)
	v_cmp_ne_u32_e64 s0, 0x7f800000, v9
	s_and_saveexec_b32 s12, s0
	s_delay_alu instid0(SALU_CYCLE_1)
	s_xor_b32 s0, exec_lo, s12
; %bb.1530:                             ;   in Loop: Header=BB442_1382 Depth=1
	v_bfe_u32 v9, v7, 16, 1
	s_delay_alu instid0(VALU_DEP_1)
	v_add3_u32 v80, v7, v9, 0x7fff
                                        ; implicit-def: $vgpr7
; %bb.1531:                             ;   in Loop: Header=BB442_1382 Depth=1
	s_and_not1_saveexec_b32 s12, s0
; %bb.1532:                             ;   in Loop: Header=BB442_1382 Depth=1
	v_and_b32_e32 v9, 0xffff, v7
	v_or_b32_e32 v37, 0x10000, v7
	s_delay_alu instid0(VALU_DEP_2) | instskip(NEXT) | instid1(VALU_DEP_1)
	v_cmp_eq_u32_e64 s0, 0, v9
	v_cndmask_b32_e64 v80, v37, v7, s0
; %bb.1533:                             ;   in Loop: Header=BB442_1382 Depth=1
	s_or_b32 exec_lo, exec_lo, s12
	v_and_b32_e32 v113, 0xffff0000, v21
	v_lshlrev_b32_e32 v6, 16, v6
                                        ; implicit-def: $vgpr81
	s_delay_alu instid0(VALU_DEP_1) | instskip(NEXT) | instid1(VALU_DEP_1)
	v_mul_f32_e32 v6, v113, v6
	v_and_b32_e32 v7, 0x7f800000, v6
	s_delay_alu instid0(VALU_DEP_1) | instskip(NEXT) | instid1(VALU_DEP_1)
	v_cmp_ne_u32_e64 s0, 0x7f800000, v7
	s_and_saveexec_b32 s12, s0
	s_delay_alu instid0(SALU_CYCLE_1)
	s_xor_b32 s0, exec_lo, s12
; %bb.1534:                             ;   in Loop: Header=BB442_1382 Depth=1
	v_bfe_u32 v7, v6, 16, 1
	s_delay_alu instid0(VALU_DEP_1)
	v_add3_u32 v81, v6, v7, 0x7fff
                                        ; implicit-def: $vgpr6
; %bb.1535:                             ;   in Loop: Header=BB442_1382 Depth=1
	s_and_not1_saveexec_b32 s12, s0
; %bb.1536:                             ;   in Loop: Header=BB442_1382 Depth=1
	v_and_b32_e32 v7, 0xffff, v6
	v_or_b32_e32 v9, 0x10000, v6
	s_delay_alu instid0(VALU_DEP_2) | instskip(NEXT) | instid1(VALU_DEP_1)
	v_cmp_eq_u32_e64 s0, 0, v7
	v_cndmask_b32_e64 v81, v9, v6, s0
; %bb.1537:                             ;   in Loop: Header=BB442_1382 Depth=1
	s_or_b32 exec_lo, exec_lo, s12
	v_and_b32_e32 v114, 0xffff0000, v5
	v_lshlrev_b32_e32 v3, 16, v3
                                        ; implicit-def: $vgpr82
	s_delay_alu instid0(VALU_DEP_1) | instskip(NEXT) | instid1(VALU_DEP_1)
	v_mul_f32_e32 v3, v114, v3
	v_and_b32_e32 v5, 0x7f800000, v3
	s_delay_alu instid0(VALU_DEP_1) | instskip(NEXT) | instid1(VALU_DEP_1)
	v_cmp_ne_u32_e64 s0, 0x7f800000, v5
	s_and_saveexec_b32 s12, s0
	s_delay_alu instid0(SALU_CYCLE_1)
	s_xor_b32 s0, exec_lo, s12
; %bb.1538:                             ;   in Loop: Header=BB442_1382 Depth=1
	v_bfe_u32 v5, v3, 16, 1
	s_delay_alu instid0(VALU_DEP_1)
	v_add3_u32 v82, v3, v5, 0x7fff
                                        ; implicit-def: $vgpr3
; %bb.1539:                             ;   in Loop: Header=BB442_1382 Depth=1
	s_and_not1_saveexec_b32 s12, s0
; %bb.1540:                             ;   in Loop: Header=BB442_1382 Depth=1
	v_and_b32_e32 v5, 0xffff, v3
	v_or_b32_e32 v6, 0x10000, v3
	s_delay_alu instid0(VALU_DEP_2) | instskip(NEXT) | instid1(VALU_DEP_1)
	v_cmp_eq_u32_e64 s0, 0, v5
	v_cndmask_b32_e64 v82, v6, v3, s0
; %bb.1541:                             ;   in Loop: Header=BB442_1382 Depth=1
	s_or_b32 exec_lo, exec_lo, s12
	v_and_b32_e32 v115, 0xffff0000, v4
	v_lshlrev_b32_e32 v2, 16, v2
                                        ; implicit-def: $vgpr83
	s_delay_alu instid0(VALU_DEP_1) | instskip(NEXT) | instid1(VALU_DEP_1)
	v_mul_f32_e32 v2, v115, v2
	v_and_b32_e32 v3, 0x7f800000, v2
	s_delay_alu instid0(VALU_DEP_1) | instskip(NEXT) | instid1(VALU_DEP_1)
	v_cmp_ne_u32_e64 s0, 0x7f800000, v3
	s_and_saveexec_b32 s12, s0
	s_delay_alu instid0(SALU_CYCLE_1)
	s_xor_b32 s0, exec_lo, s12
; %bb.1542:                             ;   in Loop: Header=BB442_1382 Depth=1
	v_bfe_u32 v3, v2, 16, 1
	s_delay_alu instid0(VALU_DEP_1)
	v_add3_u32 v83, v2, v3, 0x7fff
                                        ; implicit-def: $vgpr2
; %bb.1543:                             ;   in Loop: Header=BB442_1382 Depth=1
	s_and_not1_saveexec_b32 s12, s0
; %bb.1544:                             ;   in Loop: Header=BB442_1382 Depth=1
	v_and_b32_e32 v3, 0xffff, v2
	v_or_b32_e32 v4, 0x10000, v2
	s_delay_alu instid0(VALU_DEP_2) | instskip(NEXT) | instid1(VALU_DEP_1)
	v_cmp_eq_u32_e64 s0, 0, v3
	v_cndmask_b32_e64 v83, v4, v2, s0
; %bb.1545:                             ;   in Loop: Header=BB442_1382 Depth=1
	s_or_b32 exec_lo, exec_lo, s12
	flat_load_b64 v[2:3], v[0:1] offset:256
	s_mov_b32 s12, exec_lo
	s_waitcnt vmcnt(0) lgkmcnt(0)
	v_dual_mov_b32 v4, 0 :: v_dual_and_b32 v5, 0xff, v2
	s_delay_alu instid0(VALU_DEP_1)
	v_cmpx_ne_u16_e32 0, v5
	s_cbranch_execz .LBB442_1553
; %bb.1546:                             ;   in Loop: Header=BB442_1382 Depth=1
	v_bfrev_b32_e32 v4, 1
	s_mov_b32 s13, exec_lo
	v_cmpx_ne_u16_e32 0x80, v5
	s_cbranch_execz .LBB442_1552
; %bb.1547:                             ;   in Loop: Header=BB442_1382 Depth=1
	v_and_b32_e32 v5, 0x7f, v2
	v_mov_b32_e32 v4, 0x7f800001
	s_mov_b32 s15, exec_lo
	s_delay_alu instid0(VALU_DEP_2)
	v_cmpx_ne_u32_e32 0x7f, v5
	s_cbranch_execz .LBB442_1551
; %bb.1548:                             ;   in Loop: Header=BB442_1382 Depth=1
	v_lshrrev_b32_e32 v4, 3, v5
	v_dual_mov_b32 v7, v3 :: v_dual_mov_b32 v6, v2
	s_mov_b32 s16, exec_lo
	v_cmpx_gt_u32_e32 8, v5
; %bb.1549:                             ;   in Loop: Header=BB442_1382 Depth=1
	v_and_b32_e32 v4, 7, v2
	s_delay_alu instid0(VALU_DEP_1) | instskip(NEXT) | instid1(VALU_DEP_1)
	v_clz_i32_u32_e32 v4, v4
	v_min_u32_e32 v4, 32, v4
	s_delay_alu instid0(VALU_DEP_1) | instskip(SKIP_1) | instid1(VALU_DEP_2)
	v_subrev_nc_u32_e32 v5, 28, v4
	v_sub_nc_u32_e32 v4, 29, v4
	v_lshlrev_b64 v[6:7], v5, v[2:3]
; %bb.1550:                             ;   in Loop: Header=BB442_1382 Depth=1
	s_or_b32 exec_lo, exec_lo, s16
	s_delay_alu instid0(VALU_DEP_1) | instskip(SKIP_2) | instid1(VALU_DEP_3)
	v_lshlrev_b32_e32 v5, 20, v6
	v_lshlrev_b32_e32 v6, 24, v2
	v_lshl_add_u32 v4, v4, 23, 0x3c000000
	v_and_b32_e32 v5, 0x700000, v5
	s_delay_alu instid0(VALU_DEP_3) | instskip(NEXT) | instid1(VALU_DEP_1)
	v_and_b32_e32 v6, 0x80000000, v6
	v_or3_b32 v4, v5, v6, v4
.LBB442_1551:                           ;   in Loop: Header=BB442_1382 Depth=1
	s_or_b32 exec_lo, exec_lo, s15
.LBB442_1552:                           ;   in Loop: Header=BB442_1382 Depth=1
	s_delay_alu instid0(SALU_CYCLE_1)
	s_or_b32 exec_lo, exec_lo, s13
.LBB442_1553:                           ;   in Loop: Header=BB442_1382 Depth=1
	s_delay_alu instid0(SALU_CYCLE_1) | instskip(NEXT) | instid1(VALU_DEP_1)
	s_or_b32 exec_lo, exec_lo, s12
	v_mul_f32_e32 v5, v8, v4
	s_delay_alu instid0(VALU_DEP_1) | instskip(NEXT) | instid1(VALU_DEP_1)
	v_and_b32_e32 v4, 0x7f800000, v5
	v_cmp_ne_u32_e64 s0, 0x7f800000, v4
                                        ; implicit-def: $vgpr4
	s_delay_alu instid0(VALU_DEP_1) | instskip(NEXT) | instid1(SALU_CYCLE_1)
	s_and_saveexec_b32 s12, s0
	s_xor_b32 s0, exec_lo, s12
; %bb.1554:                             ;   in Loop: Header=BB442_1382 Depth=1
	v_bfe_u32 v4, v5, 16, 1
	s_delay_alu instid0(VALU_DEP_1)
	v_add3_u32 v4, v5, v4, 0x7fff
                                        ; implicit-def: $vgpr5
; %bb.1555:                             ;   in Loop: Header=BB442_1382 Depth=1
	s_and_not1_saveexec_b32 s12, s0
; %bb.1556:                             ;   in Loop: Header=BB442_1382 Depth=1
	v_and_b32_e32 v4, 0xffff, v5
	v_or_b32_e32 v6, 0x10000, v5
	s_delay_alu instid0(VALU_DEP_2) | instskip(NEXT) | instid1(VALU_DEP_1)
	v_cmp_eq_u32_e64 s0, 0, v4
	v_cndmask_b32_e64 v4, v6, v5, s0
; %bb.1557:                             ;   in Loop: Header=BB442_1382 Depth=1
	s_or_b32 exec_lo, exec_lo, s12
	v_lshrrev_b16 v6, 8, v2
	v_mov_b32_e32 v5, 0
	s_mov_b32 s12, exec_lo
	s_delay_alu instid0(VALU_DEP_2)
	v_cmpx_ne_u16_e32 0, v6
	s_cbranch_execz .LBB442_1565
; %bb.1558:                             ;   in Loop: Header=BB442_1382 Depth=1
	v_bfrev_b32_e32 v5, 1
	s_mov_b32 s13, exec_lo
	v_cmpx_ne_u16_e32 0x80, v6
	s_cbranch_execz .LBB442_1564
; %bb.1559:                             ;   in Loop: Header=BB442_1382 Depth=1
	v_and_b32_e32 v7, 0xffff, v6
	v_mov_b32_e32 v5, 0x7f800001
	s_mov_b32 s15, exec_lo
	s_delay_alu instid0(VALU_DEP_2) | instskip(NEXT) | instid1(VALU_DEP_1)
	v_and_b32_e32 v6, 0x7f, v7
	v_cmpx_ne_u32_e32 0x7f, v6
	s_cbranch_execz .LBB442_1563
; %bb.1560:                             ;   in Loop: Header=BB442_1382 Depth=1
	v_and_b32_e32 v9, 7, v7
	v_lshrrev_b32_e32 v5, 3, v6
	v_cmp_gt_u32_e64 s0, 8, v6
	s_delay_alu instid0(VALU_DEP_3) | instskip(NEXT) | instid1(VALU_DEP_2)
	v_dual_mov_b32 v6, v9 :: v_dual_mov_b32 v7, v10
	s_and_saveexec_b32 s16, s0
; %bb.1561:                             ;   in Loop: Header=BB442_1382 Depth=1
	v_clz_i32_u32_e32 v5, v9
	s_delay_alu instid0(VALU_DEP_1) | instskip(NEXT) | instid1(VALU_DEP_1)
	v_min_u32_e32 v5, 32, v5
	v_subrev_nc_u32_e32 v6, 28, v5
	v_sub_nc_u32_e32 v5, 29, v5
	s_delay_alu instid0(VALU_DEP_2) | instskip(NEXT) | instid1(VALU_DEP_1)
	v_lshlrev_b64 v[6:7], v6, v[9:10]
	v_and_b32_e32 v6, 7, v6
; %bb.1562:                             ;   in Loop: Header=BB442_1382 Depth=1
	s_or_b32 exec_lo, exec_lo, s16
	v_lshlrev_b32_e32 v7, 16, v2
	s_delay_alu instid0(VALU_DEP_2) | instskip(SKIP_1) | instid1(VALU_DEP_3)
	v_lshlrev_b32_e32 v6, 20, v6
	v_lshl_add_u32 v5, v5, 23, 0x3c000000
	v_and_b32_e32 v7, 0x80000000, v7
	s_delay_alu instid0(VALU_DEP_1)
	v_or3_b32 v5, v6, v7, v5
.LBB442_1563:                           ;   in Loop: Header=BB442_1382 Depth=1
	s_or_b32 exec_lo, exec_lo, s15
.LBB442_1564:                           ;   in Loop: Header=BB442_1382 Depth=1
	s_delay_alu instid0(SALU_CYCLE_1)
	s_or_b32 exec_lo, exec_lo, s13
.LBB442_1565:                           ;   in Loop: Header=BB442_1382 Depth=1
	s_delay_alu instid0(SALU_CYCLE_1) | instskip(NEXT) | instid1(VALU_DEP_1)
	s_or_b32 exec_lo, exec_lo, s12
	v_mul_f32_e32 v6, v8, v5
	s_delay_alu instid0(VALU_DEP_1) | instskip(NEXT) | instid1(VALU_DEP_1)
	v_and_b32_e32 v5, 0x7f800000, v6
	v_cmp_ne_u32_e64 s0, 0x7f800000, v5
                                        ; implicit-def: $vgpr5
	s_delay_alu instid0(VALU_DEP_1) | instskip(NEXT) | instid1(SALU_CYCLE_1)
	s_and_saveexec_b32 s12, s0
	s_xor_b32 s0, exec_lo, s12
; %bb.1566:                             ;   in Loop: Header=BB442_1382 Depth=1
	v_bfe_u32 v5, v6, 16, 1
	s_delay_alu instid0(VALU_DEP_1)
	v_add3_u32 v5, v6, v5, 0x7fff
                                        ; implicit-def: $vgpr6
; %bb.1567:                             ;   in Loop: Header=BB442_1382 Depth=1
	s_and_not1_saveexec_b32 s12, s0
; %bb.1568:                             ;   in Loop: Header=BB442_1382 Depth=1
	v_and_b32_e32 v5, 0xffff, v6
	v_or_b32_e32 v7, 0x10000, v6
	s_delay_alu instid0(VALU_DEP_2) | instskip(NEXT) | instid1(VALU_DEP_1)
	v_cmp_eq_u32_e64 s0, 0, v5
	v_cndmask_b32_e64 v5, v7, v6, s0
; %bb.1569:                             ;   in Loop: Header=BB442_1382 Depth=1
	s_or_b32 exec_lo, exec_lo, s12
	v_lshrrev_b32_e32 v21, 16, v2
	s_mov_b32 s12, exec_lo
	s_delay_alu instid0(VALU_DEP_1) | instskip(NEXT) | instid1(VALU_DEP_1)
	v_dual_mov_b32 v6, 0 :: v_dual_and_b32 v7, 0xff, v21
	v_cmpx_ne_u16_e32 0, v7
	s_cbranch_execz .LBB442_1577
; %bb.1570:                             ;   in Loop: Header=BB442_1382 Depth=1
	v_bfrev_b32_e32 v6, 1
	s_mov_b32 s13, exec_lo
	v_cmpx_ne_u16_e32 0x80, v7
	s_cbranch_execz .LBB442_1576
; %bb.1571:                             ;   in Loop: Header=BB442_1382 Depth=1
	v_bfe_u32 v7, v2, 16, 7
	v_mov_b32_e32 v6, 0x7f800001
	s_mov_b32 s15, exec_lo
	s_delay_alu instid0(VALU_DEP_2)
	v_cmpx_ne_u32_e32 0x7f, v7
	s_cbranch_execz .LBB442_1575
; %bb.1572:                             ;   in Loop: Header=BB442_1382 Depth=1
	v_and_b32_e32 v9, 7, v21
	v_lshrrev_b32_e32 v37, 3, v7
	v_cmp_gt_u32_e64 s0, 8, v7
	s_delay_alu instid0(VALU_DEP_3) | instskip(NEXT) | instid1(VALU_DEP_2)
	v_dual_mov_b32 v6, v9 :: v_dual_mov_b32 v7, v10
	s_and_saveexec_b32 s16, s0
; %bb.1573:                             ;   in Loop: Header=BB442_1382 Depth=1
	v_clz_i32_u32_e32 v6, v9
	s_delay_alu instid0(VALU_DEP_1) | instskip(NEXT) | instid1(VALU_DEP_1)
	v_min_u32_e32 v37, 32, v6
	v_subrev_nc_u32_e32 v6, 28, v37
	v_sub_nc_u32_e32 v37, 29, v37
	s_delay_alu instid0(VALU_DEP_2) | instskip(NEXT) | instid1(VALU_DEP_1)
	v_lshlrev_b64 v[6:7], v6, v[9:10]
	v_and_b32_e32 v6, 7, v6
; %bb.1574:                             ;   in Loop: Header=BB442_1382 Depth=1
	s_or_b32 exec_lo, exec_lo, s16
	v_lshlrev_b32_e32 v7, 24, v21
	s_delay_alu instid0(VALU_DEP_2) | instskip(SKIP_1) | instid1(VALU_DEP_3)
	v_lshlrev_b32_e32 v6, 20, v6
	v_lshl_add_u32 v9, v37, 23, 0x3c000000
	v_and_b32_e32 v7, 0x80000000, v7
	s_delay_alu instid0(VALU_DEP_1)
	v_or3_b32 v6, v6, v7, v9
.LBB442_1575:                           ;   in Loop: Header=BB442_1382 Depth=1
	s_or_b32 exec_lo, exec_lo, s15
.LBB442_1576:                           ;   in Loop: Header=BB442_1382 Depth=1
	s_delay_alu instid0(SALU_CYCLE_1)
	s_or_b32 exec_lo, exec_lo, s13
.LBB442_1577:                           ;   in Loop: Header=BB442_1382 Depth=1
	s_delay_alu instid0(SALU_CYCLE_1) | instskip(NEXT) | instid1(VALU_DEP_1)
	s_or_b32 exec_lo, exec_lo, s12
	v_mul_f32_e32 v6, v8, v6
                                        ; implicit-def: $vgpr21
	s_delay_alu instid0(VALU_DEP_1) | instskip(NEXT) | instid1(VALU_DEP_1)
	v_and_b32_e32 v7, 0x7f800000, v6
	v_cmp_ne_u32_e64 s0, 0x7f800000, v7
	s_delay_alu instid0(VALU_DEP_1) | instskip(NEXT) | instid1(SALU_CYCLE_1)
	s_and_saveexec_b32 s12, s0
	s_xor_b32 s0, exec_lo, s12
; %bb.1578:                             ;   in Loop: Header=BB442_1382 Depth=1
	v_bfe_u32 v7, v6, 16, 1
	s_delay_alu instid0(VALU_DEP_1)
	v_add3_u32 v21, v6, v7, 0x7fff
                                        ; implicit-def: $vgpr6
; %bb.1579:                             ;   in Loop: Header=BB442_1382 Depth=1
	s_and_not1_saveexec_b32 s12, s0
; %bb.1580:                             ;   in Loop: Header=BB442_1382 Depth=1
	v_and_b32_e32 v7, 0xffff, v6
	v_or_b32_e32 v9, 0x10000, v6
	s_delay_alu instid0(VALU_DEP_2) | instskip(NEXT) | instid1(VALU_DEP_1)
	v_cmp_eq_u32_e64 s0, 0, v7
	v_cndmask_b32_e64 v21, v9, v6, s0
; %bb.1581:                             ;   in Loop: Header=BB442_1382 Depth=1
	s_or_b32 exec_lo, exec_lo, s12
	v_mov_b32_e32 v6, 0
	s_mov_b32 s12, exec_lo
	v_cmpx_lt_u32_e32 0xffffff, v2
	s_cbranch_execz .LBB442_1589
; %bb.1582:                             ;   in Loop: Header=BB442_1382 Depth=1
	v_lshrrev_b32_e32 v37, 24, v2
	v_bfrev_b32_e32 v6, 1
	s_mov_b32 s13, exec_lo
	s_delay_alu instid0(VALU_DEP_2)
	v_cmpx_ne_u32_e32 0x80, v37
	s_cbranch_execz .LBB442_1588
; %bb.1583:                             ;   in Loop: Header=BB442_1382 Depth=1
	v_bfe_u32 v7, v2, 24, 7
	v_mov_b32_e32 v6, 0x7f800001
	s_mov_b32 s15, exec_lo
	s_delay_alu instid0(VALU_DEP_2)
	v_cmpx_ne_u32_e32 0x7f, v7
	s_cbranch_execz .LBB442_1587
; %bb.1584:                             ;   in Loop: Header=BB442_1382 Depth=1
	v_and_b32_e32 v9, 7, v37
	v_lshrrev_b32_e32 v39, 3, v7
	v_cmp_gt_u32_e64 s0, 8, v7
	s_delay_alu instid0(VALU_DEP_3) | instskip(NEXT) | instid1(VALU_DEP_2)
	v_dual_mov_b32 v6, v9 :: v_dual_mov_b32 v7, v10
	s_and_saveexec_b32 s16, s0
; %bb.1585:                             ;   in Loop: Header=BB442_1382 Depth=1
	v_clz_i32_u32_e32 v6, v9
	s_delay_alu instid0(VALU_DEP_1) | instskip(NEXT) | instid1(VALU_DEP_1)
	v_min_u32_e32 v39, 32, v6
	v_subrev_nc_u32_e32 v6, 28, v39
	v_sub_nc_u32_e32 v39, 29, v39
	s_delay_alu instid0(VALU_DEP_2) | instskip(NEXT) | instid1(VALU_DEP_1)
	v_lshlrev_b64 v[6:7], v6, v[9:10]
	v_and_b32_e32 v6, 7, v6
; %bb.1586:                             ;   in Loop: Header=BB442_1382 Depth=1
	s_or_b32 exec_lo, exec_lo, s16
	v_lshlrev_b32_e32 v7, 24, v37
	s_delay_alu instid0(VALU_DEP_2) | instskip(SKIP_1) | instid1(VALU_DEP_3)
	v_lshlrev_b32_e32 v6, 20, v6
	v_lshl_add_u32 v9, v39, 23, 0x3c000000
	v_and_b32_e32 v7, 0x80000000, v7
	s_delay_alu instid0(VALU_DEP_1)
	v_or3_b32 v6, v6, v7, v9
.LBB442_1587:                           ;   in Loop: Header=BB442_1382 Depth=1
	s_or_b32 exec_lo, exec_lo, s15
.LBB442_1588:                           ;   in Loop: Header=BB442_1382 Depth=1
	s_delay_alu instid0(SALU_CYCLE_1)
	s_or_b32 exec_lo, exec_lo, s13
.LBB442_1589:                           ;   in Loop: Header=BB442_1382 Depth=1
	s_delay_alu instid0(SALU_CYCLE_1) | instskip(NEXT) | instid1(VALU_DEP_1)
	s_or_b32 exec_lo, exec_lo, s12
	v_mul_f32_e32 v6, v8, v6
                                        ; implicit-def: $vgpr37
	s_delay_alu instid0(VALU_DEP_1) | instskip(NEXT) | instid1(VALU_DEP_1)
	v_and_b32_e32 v7, 0x7f800000, v6
	v_cmp_ne_u32_e64 s0, 0x7f800000, v7
	s_delay_alu instid0(VALU_DEP_1) | instskip(NEXT) | instid1(SALU_CYCLE_1)
	s_and_saveexec_b32 s12, s0
	s_xor_b32 s0, exec_lo, s12
; %bb.1590:                             ;   in Loop: Header=BB442_1382 Depth=1
	v_bfe_u32 v7, v6, 16, 1
	s_delay_alu instid0(VALU_DEP_1)
	v_add3_u32 v37, v6, v7, 0x7fff
                                        ; implicit-def: $vgpr6
; %bb.1591:                             ;   in Loop: Header=BB442_1382 Depth=1
	s_and_not1_saveexec_b32 s12, s0
; %bb.1592:                             ;   in Loop: Header=BB442_1382 Depth=1
	v_and_b32_e32 v7, 0xffff, v6
	v_or_b32_e32 v9, 0x10000, v6
	s_delay_alu instid0(VALU_DEP_2) | instskip(NEXT) | instid1(VALU_DEP_1)
	v_cmp_eq_u32_e64 s0, 0, v7
	v_cndmask_b32_e64 v37, v9, v6, s0
; %bb.1593:                             ;   in Loop: Header=BB442_1382 Depth=1
	s_or_b32 exec_lo, exec_lo, s12
	v_dual_mov_b32 v6, 0 :: v_dual_and_b32 v7, 0xff, v3
	v_mov_b32_e32 v9, v3
	s_mov_b32 s12, exec_lo
	s_delay_alu instid0(VALU_DEP_2)
	v_cmpx_ne_u16_e32 0, v7
	s_cbranch_execz .LBB442_1601
; %bb.1594:                             ;   in Loop: Header=BB442_1382 Depth=1
	v_bfrev_b32_e32 v6, 1
	s_mov_b32 s13, exec_lo
	v_cmpx_ne_u16_e32 0x80, v7
	s_cbranch_execz .LBB442_1600
; %bb.1595:                             ;   in Loop: Header=BB442_1382 Depth=1
	v_and_b32_e32 v7, 0x7f, v3
	v_mov_b32_e32 v6, 0x7f800001
	s_mov_b32 s15, exec_lo
	s_delay_alu instid0(VALU_DEP_2)
	v_cmpx_ne_u32_e32 0x7f, v7
	s_cbranch_execz .LBB442_1599
; %bb.1596:                             ;   in Loop: Header=BB442_1382 Depth=1
	v_lshrrev_b32_e32 v39, 3, v7
	v_cmp_gt_u32_e64 s0, 8, v7
	v_dual_mov_b32 v6, v9 :: v_dual_mov_b32 v7, v10
	s_delay_alu instid0(VALU_DEP_2)
	s_and_saveexec_b32 s16, s0
; %bb.1597:                             ;   in Loop: Header=BB442_1382 Depth=1
	v_and_b32_e32 v6, 7, v3
	s_delay_alu instid0(VALU_DEP_1) | instskip(NEXT) | instid1(VALU_DEP_1)
	v_clz_i32_u32_e32 v6, v6
	v_min_u32_e32 v39, 32, v6
	s_delay_alu instid0(VALU_DEP_1) | instskip(SKIP_1) | instid1(VALU_DEP_2)
	v_subrev_nc_u32_e32 v6, 28, v39
	v_sub_nc_u32_e32 v39, 29, v39
	v_lshlrev_b64 v[6:7], v6, v[9:10]
; %bb.1598:                             ;   in Loop: Header=BB442_1382 Depth=1
	s_or_b32 exec_lo, exec_lo, s16
	s_delay_alu instid0(VALU_DEP_1) | instskip(SKIP_2) | instid1(VALU_DEP_3)
	v_lshlrev_b32_e32 v6, 20, v6
	v_lshlrev_b32_e32 v7, 24, v9
	v_lshl_add_u32 v39, v39, 23, 0x3c000000
	v_and_b32_e32 v6, 0x700000, v6
	s_delay_alu instid0(VALU_DEP_3) | instskip(NEXT) | instid1(VALU_DEP_1)
	v_and_b32_e32 v7, 0x80000000, v7
	v_or3_b32 v6, v6, v7, v39
.LBB442_1599:                           ;   in Loop: Header=BB442_1382 Depth=1
	s_or_b32 exec_lo, exec_lo, s15
.LBB442_1600:                           ;   in Loop: Header=BB442_1382 Depth=1
	s_delay_alu instid0(SALU_CYCLE_1)
	s_or_b32 exec_lo, exec_lo, s13
.LBB442_1601:                           ;   in Loop: Header=BB442_1382 Depth=1
	s_delay_alu instid0(SALU_CYCLE_1) | instskip(NEXT) | instid1(VALU_DEP_1)
	s_or_b32 exec_lo, exec_lo, s12
	v_mul_f32_e32 v6, v8, v6
                                        ; implicit-def: $vgpr39
	s_delay_alu instid0(VALU_DEP_1) | instskip(NEXT) | instid1(VALU_DEP_1)
	v_and_b32_e32 v7, 0x7f800000, v6
	v_cmp_ne_u32_e64 s0, 0x7f800000, v7
	s_delay_alu instid0(VALU_DEP_1) | instskip(NEXT) | instid1(SALU_CYCLE_1)
	s_and_saveexec_b32 s12, s0
	s_xor_b32 s0, exec_lo, s12
; %bb.1602:                             ;   in Loop: Header=BB442_1382 Depth=1
	v_bfe_u32 v7, v6, 16, 1
	s_delay_alu instid0(VALU_DEP_1)
	v_add3_u32 v39, v6, v7, 0x7fff
                                        ; implicit-def: $vgpr6
; %bb.1603:                             ;   in Loop: Header=BB442_1382 Depth=1
	s_and_not1_saveexec_b32 s12, s0
; %bb.1604:                             ;   in Loop: Header=BB442_1382 Depth=1
	v_and_b32_e32 v7, 0xffff, v6
	v_or_b32_e32 v39, 0x10000, v6
	s_delay_alu instid0(VALU_DEP_2) | instskip(NEXT) | instid1(VALU_DEP_1)
	v_cmp_eq_u32_e64 s0, 0, v7
	v_cndmask_b32_e64 v39, v39, v6, s0
; %bb.1605:                             ;   in Loop: Header=BB442_1382 Depth=1
	s_or_b32 exec_lo, exec_lo, s12
	v_lshrrev_b16 v7, 8, v9
	v_mov_b32_e32 v6, 0
	s_mov_b32 s12, exec_lo
	s_delay_alu instid0(VALU_DEP_2)
	v_cmpx_ne_u16_e32 0, v7
	s_cbranch_execz .LBB442_1613
; %bb.1606:                             ;   in Loop: Header=BB442_1382 Depth=1
	v_bfrev_b32_e32 v6, 1
	s_mov_b32 s13, exec_lo
	v_cmpx_ne_u16_e32 0x80, v7
	s_cbranch_execz .LBB442_1612
; %bb.1607:                             ;   in Loop: Header=BB442_1382 Depth=1
	v_and_b32_e32 v7, 0xffff, v7
	v_mov_b32_e32 v6, 0x7f800001
	s_mov_b32 s15, exec_lo
	s_delay_alu instid0(VALU_DEP_2) | instskip(NEXT) | instid1(VALU_DEP_1)
	v_and_b32_e32 v117, 0x7f, v7
	v_cmpx_ne_u32_e32 0x7f, v117
	s_cbranch_execz .LBB442_1611
; %bb.1608:                             ;   in Loop: Header=BB442_1382 Depth=1
	v_dual_mov_b32 v7, v10 :: v_dual_and_b32 v6, 7, v7
	v_lshrrev_b32_e32 v116, 3, v117
	s_mov_b32 s16, exec_lo
	v_cmpx_gt_u32_e32 8, v117
; %bb.1609:                             ;   in Loop: Header=BB442_1382 Depth=1
	s_delay_alu instid0(VALU_DEP_3) | instskip(NEXT) | instid1(VALU_DEP_1)
	v_clz_i32_u32_e32 v116, v6
	v_min_u32_e32 v116, 32, v116
	s_delay_alu instid0(VALU_DEP_1) | instskip(SKIP_1) | instid1(VALU_DEP_2)
	v_subrev_nc_u32_e32 v117, 28, v116
	v_sub_nc_u32_e32 v116, 29, v116
	v_lshlrev_b64 v[6:7], v117, v[6:7]
	s_delay_alu instid0(VALU_DEP_1)
	v_and_b32_e32 v6, 7, v6
; %bb.1610:                             ;   in Loop: Header=BB442_1382 Depth=1
	s_or_b32 exec_lo, exec_lo, s16
	v_lshlrev_b32_e32 v7, 16, v9
	s_delay_alu instid0(VALU_DEP_2) | instskip(SKIP_1) | instid1(VALU_DEP_3)
	v_lshlrev_b32_e32 v6, 20, v6
	v_lshl_add_u32 v9, v116, 23, 0x3c000000
	v_and_b32_e32 v7, 0x80000000, v7
	s_delay_alu instid0(VALU_DEP_1)
	v_or3_b32 v6, v6, v7, v9
.LBB442_1611:                           ;   in Loop: Header=BB442_1382 Depth=1
	s_or_b32 exec_lo, exec_lo, s15
.LBB442_1612:                           ;   in Loop: Header=BB442_1382 Depth=1
	s_delay_alu instid0(SALU_CYCLE_1)
	s_or_b32 exec_lo, exec_lo, s13
.LBB442_1613:                           ;   in Loop: Header=BB442_1382 Depth=1
	s_delay_alu instid0(SALU_CYCLE_1) | instskip(NEXT) | instid1(VALU_DEP_1)
	s_or_b32 exec_lo, exec_lo, s12
	v_mul_f32_e32 v6, v8, v6
                                        ; implicit-def: $vgpr116
	s_delay_alu instid0(VALU_DEP_1) | instskip(NEXT) | instid1(VALU_DEP_1)
	v_and_b32_e32 v7, 0x7f800000, v6
	v_cmp_ne_u32_e64 s0, 0x7f800000, v7
	s_delay_alu instid0(VALU_DEP_1) | instskip(NEXT) | instid1(SALU_CYCLE_1)
	s_and_saveexec_b32 s12, s0
	s_xor_b32 s0, exec_lo, s12
; %bb.1614:                             ;   in Loop: Header=BB442_1382 Depth=1
	v_bfe_u32 v7, v6, 16, 1
	s_delay_alu instid0(VALU_DEP_1)
	v_add3_u32 v116, v6, v7, 0x7fff
                                        ; implicit-def: $vgpr6
; %bb.1615:                             ;   in Loop: Header=BB442_1382 Depth=1
	s_and_not1_saveexec_b32 s12, s0
; %bb.1616:                             ;   in Loop: Header=BB442_1382 Depth=1
	v_and_b32_e32 v7, 0xffff, v6
	v_or_b32_e32 v9, 0x10000, v6
	s_delay_alu instid0(VALU_DEP_2) | instskip(NEXT) | instid1(VALU_DEP_1)
	v_cmp_eq_u32_e64 s0, 0, v7
	v_cndmask_b32_e64 v116, v9, v6, s0
; %bb.1617:                             ;   in Loop: Header=BB442_1382 Depth=1
	s_or_b32 exec_lo, exec_lo, s12
	v_lshrrev_b32_e32 v117, 16, v3
	s_mov_b32 s12, exec_lo
	s_delay_alu instid0(VALU_DEP_1) | instskip(NEXT) | instid1(VALU_DEP_1)
	v_dual_mov_b32 v6, 0 :: v_dual_and_b32 v7, 0xff, v117
	v_cmpx_ne_u16_e32 0, v7
	s_cbranch_execz .LBB442_1625
; %bb.1618:                             ;   in Loop: Header=BB442_1382 Depth=1
	v_bfrev_b32_e32 v6, 1
	s_mov_b32 s13, exec_lo
	v_cmpx_ne_u16_e32 0x80, v7
	s_cbranch_execz .LBB442_1624
; %bb.1619:                             ;   in Loop: Header=BB442_1382 Depth=1
	v_bfe_u32 v7, v3, 16, 7
	v_mov_b32_e32 v6, 0x7f800001
	s_mov_b32 s15, exec_lo
	s_delay_alu instid0(VALU_DEP_2)
	v_cmpx_ne_u32_e32 0x7f, v7
	s_cbranch_execz .LBB442_1623
; %bb.1620:                             ;   in Loop: Header=BB442_1382 Depth=1
	v_and_b32_e32 v9, 7, v117
	v_lshrrev_b32_e32 v118, 3, v7
	v_cmp_gt_u32_e64 s0, 8, v7
	s_delay_alu instid0(VALU_DEP_3) | instskip(NEXT) | instid1(VALU_DEP_2)
	v_dual_mov_b32 v6, v9 :: v_dual_mov_b32 v7, v10
	s_and_saveexec_b32 s16, s0
; %bb.1621:                             ;   in Loop: Header=BB442_1382 Depth=1
	v_clz_i32_u32_e32 v6, v9
	s_delay_alu instid0(VALU_DEP_1) | instskip(NEXT) | instid1(VALU_DEP_1)
	v_min_u32_e32 v118, 32, v6
	v_subrev_nc_u32_e32 v6, 28, v118
	v_sub_nc_u32_e32 v118, 29, v118
	s_delay_alu instid0(VALU_DEP_2) | instskip(NEXT) | instid1(VALU_DEP_1)
	v_lshlrev_b64 v[6:7], v6, v[9:10]
	v_and_b32_e32 v6, 7, v6
; %bb.1622:                             ;   in Loop: Header=BB442_1382 Depth=1
	s_or_b32 exec_lo, exec_lo, s16
	v_lshlrev_b32_e32 v7, 24, v117
	s_delay_alu instid0(VALU_DEP_2) | instskip(SKIP_1) | instid1(VALU_DEP_3)
	v_lshlrev_b32_e32 v6, 20, v6
	v_lshl_add_u32 v9, v118, 23, 0x3c000000
	v_and_b32_e32 v7, 0x80000000, v7
	s_delay_alu instid0(VALU_DEP_1)
	v_or3_b32 v6, v6, v7, v9
.LBB442_1623:                           ;   in Loop: Header=BB442_1382 Depth=1
	s_or_b32 exec_lo, exec_lo, s15
.LBB442_1624:                           ;   in Loop: Header=BB442_1382 Depth=1
	s_delay_alu instid0(SALU_CYCLE_1)
	s_or_b32 exec_lo, exec_lo, s13
.LBB442_1625:                           ;   in Loop: Header=BB442_1382 Depth=1
	s_delay_alu instid0(SALU_CYCLE_1) | instskip(NEXT) | instid1(VALU_DEP_1)
	s_or_b32 exec_lo, exec_lo, s12
	v_mul_f32_e32 v6, v8, v6
                                        ; implicit-def: $vgpr117
	s_delay_alu instid0(VALU_DEP_1) | instskip(NEXT) | instid1(VALU_DEP_1)
	v_and_b32_e32 v7, 0x7f800000, v6
	v_cmp_ne_u32_e64 s0, 0x7f800000, v7
	s_delay_alu instid0(VALU_DEP_1) | instskip(NEXT) | instid1(SALU_CYCLE_1)
	s_and_saveexec_b32 s12, s0
	s_xor_b32 s0, exec_lo, s12
; %bb.1626:                             ;   in Loop: Header=BB442_1382 Depth=1
	v_bfe_u32 v7, v6, 16, 1
	s_delay_alu instid0(VALU_DEP_1)
	v_add3_u32 v117, v6, v7, 0x7fff
                                        ; implicit-def: $vgpr6
; %bb.1627:                             ;   in Loop: Header=BB442_1382 Depth=1
	s_and_not1_saveexec_b32 s12, s0
; %bb.1628:                             ;   in Loop: Header=BB442_1382 Depth=1
	v_and_b32_e32 v7, 0xffff, v6
	v_or_b32_e32 v9, 0x10000, v6
	s_delay_alu instid0(VALU_DEP_2) | instskip(NEXT) | instid1(VALU_DEP_1)
	v_cmp_eq_u32_e64 s0, 0, v7
	v_cndmask_b32_e64 v117, v9, v6, s0
; %bb.1629:                             ;   in Loop: Header=BB442_1382 Depth=1
	s_or_b32 exec_lo, exec_lo, s12
	v_cmp_lt_u64_e64 s0, s[8:9], v[2:3]
	v_mov_b32_e32 v2, 0
	s_delay_alu instid0(VALU_DEP_2)
	s_and_saveexec_b32 s12, s0
	s_cbranch_execz .LBB442_1637
; %bb.1630:                             ;   in Loop: Header=BB442_1382 Depth=1
	v_lshrrev_b32_e32 v6, 24, v3
	v_bfrev_b32_e32 v2, 1
	s_mov_b32 s13, exec_lo
	s_delay_alu instid0(VALU_DEP_2)
	v_cmpx_ne_u32_e32 0x80, v6
	s_cbranch_execz .LBB442_1636
; %bb.1631:                             ;   in Loop: Header=BB442_1382 Depth=1
	v_bfe_u32 v3, v3, 24, 7
	v_mov_b32_e32 v2, 0x7f800001
	s_mov_b32 s15, exec_lo
	s_delay_alu instid0(VALU_DEP_2)
	v_cmpx_ne_u32_e32 0x7f, v3
	s_cbranch_execz .LBB442_1635
; %bb.1632:                             ;   in Loop: Header=BB442_1382 Depth=1
	v_and_b32_e32 v9, 7, v6
	v_lshrrev_b32_e32 v7, 3, v3
	v_cmp_gt_u32_e64 s0, 8, v3
	s_delay_alu instid0(VALU_DEP_3) | instskip(NEXT) | instid1(VALU_DEP_2)
	v_dual_mov_b32 v2, v9 :: v_dual_mov_b32 v3, v10
	s_and_saveexec_b32 s16, s0
; %bb.1633:                             ;   in Loop: Header=BB442_1382 Depth=1
	v_clz_i32_u32_e32 v2, v9
	s_delay_alu instid0(VALU_DEP_1) | instskip(NEXT) | instid1(VALU_DEP_1)
	v_min_u32_e32 v7, 32, v2
	v_subrev_nc_u32_e32 v2, 28, v7
	v_sub_nc_u32_e32 v7, 29, v7
	s_delay_alu instid0(VALU_DEP_2) | instskip(NEXT) | instid1(VALU_DEP_1)
	v_lshlrev_b64 v[2:3], v2, v[9:10]
	v_and_b32_e32 v2, 7, v2
; %bb.1634:                             ;   in Loop: Header=BB442_1382 Depth=1
	s_or_b32 exec_lo, exec_lo, s16
	v_lshlrev_b32_e32 v3, 24, v6
	s_delay_alu instid0(VALU_DEP_2) | instskip(SKIP_1) | instid1(VALU_DEP_3)
	v_lshlrev_b32_e32 v2, 20, v2
	v_lshl_add_u32 v6, v7, 23, 0x3c000000
	v_and_b32_e32 v3, 0x80000000, v3
	s_delay_alu instid0(VALU_DEP_1)
	v_or3_b32 v2, v2, v3, v6
.LBB442_1635:                           ;   in Loop: Header=BB442_1382 Depth=1
	s_or_b32 exec_lo, exec_lo, s15
.LBB442_1636:                           ;   in Loop: Header=BB442_1382 Depth=1
	s_delay_alu instid0(SALU_CYCLE_1)
	s_or_b32 exec_lo, exec_lo, s13
.LBB442_1637:                           ;   in Loop: Header=BB442_1382 Depth=1
	s_delay_alu instid0(SALU_CYCLE_1) | instskip(NEXT) | instid1(VALU_DEP_1)
	s_or_b32 exec_lo, exec_lo, s12
	v_mul_f32_e32 v3, v8, v2
	s_delay_alu instid0(VALU_DEP_1) | instskip(NEXT) | instid1(VALU_DEP_1)
	v_and_b32_e32 v2, 0x7f800000, v3
	v_cmp_ne_u32_e64 s0, 0x7f800000, v2
                                        ; implicit-def: $vgpr2
	s_delay_alu instid0(VALU_DEP_1) | instskip(NEXT) | instid1(SALU_CYCLE_1)
	s_and_saveexec_b32 s12, s0
	s_xor_b32 s0, exec_lo, s12
; %bb.1638:                             ;   in Loop: Header=BB442_1382 Depth=1
	v_bfe_u32 v2, v3, 16, 1
	s_delay_alu instid0(VALU_DEP_1)
	v_add3_u32 v2, v3, v2, 0x7fff
                                        ; implicit-def: $vgpr3
; %bb.1639:                             ;   in Loop: Header=BB442_1382 Depth=1
	s_and_not1_saveexec_b32 s12, s0
; %bb.1640:                             ;   in Loop: Header=BB442_1382 Depth=1
	v_and_b32_e32 v2, 0xffff, v3
	v_or_b32_e32 v6, 0x10000, v3
	s_delay_alu instid0(VALU_DEP_2) | instskip(NEXT) | instid1(VALU_DEP_1)
	v_cmp_eq_u32_e64 s0, 0, v2
	v_cndmask_b32_e64 v2, v6, v3, s0
; %bb.1641:                             ;   in Loop: Header=BB442_1382 Depth=1
	s_or_b32 exec_lo, exec_lo, s12
	v_lshrrev_b32_e32 v6, 16, v116
	v_lshrrev_b32_e32 v7, 16, v39
	;; [unrolled: 1-line block ×8, first 2 shown]
	s_and_saveexec_b32 s12, vcc_lo
	s_cbranch_execz .LBB442_1643
; %bb.1642:                             ;   in Loop: Header=BB442_1382 Depth=1
	v_cmp_lt_i32_e64 s0, v84, v38
	s_delay_alu instid0(VALU_DEP_1) | instskip(SKIP_1) | instid1(VALU_DEP_1)
	v_cndmask_b32_e64 v4, 0, v4, s0
	v_cmp_lt_i32_e64 s0, v99, v38
	v_cndmask_b32_e64 v5, 0, v5, s0
	v_cmp_lt_i32_e64 s0, v98, v38
	s_delay_alu instid0(VALU_DEP_1) | instskip(SKIP_1) | instid1(VALU_DEP_1)
	v_cndmask_b32_e64 v21, 0, v21, s0
	v_cmp_lt_i32_e64 s0, v97, v38
	v_cndmask_b32_e64 v9, 0, v9, s0
	;; [unrolled: 5-line block ×4, first 2 shown]
.LBB442_1643:                           ;   in Loop: Header=BB442_1382 Depth=1
	s_or_b32 exec_lo, exec_lo, s12
	v_lshlrev_b32_e32 v4, 16, v4
                                        ; implicit-def: $vgpr116
	s_delay_alu instid0(VALU_DEP_1) | instskip(NEXT) | instid1(VALU_DEP_1)
	v_mul_f32_e32 v4, v100, v4
	v_and_b32_e32 v37, 0x7f800000, v4
	s_delay_alu instid0(VALU_DEP_1) | instskip(NEXT) | instid1(VALU_DEP_1)
	v_cmp_ne_u32_e64 s0, 0x7f800000, v37
	s_and_saveexec_b32 s12, s0
	s_delay_alu instid0(SALU_CYCLE_1)
	s_xor_b32 s0, exec_lo, s12
; %bb.1644:                             ;   in Loop: Header=BB442_1382 Depth=1
	v_bfe_u32 v37, v4, 16, 1
	s_delay_alu instid0(VALU_DEP_1)
	v_add3_u32 v116, v4, v37, 0x7fff
                                        ; implicit-def: $vgpr4
; %bb.1645:                             ;   in Loop: Header=BB442_1382 Depth=1
	s_and_not1_saveexec_b32 s12, s0
; %bb.1646:                             ;   in Loop: Header=BB442_1382 Depth=1
	v_and_b32_e32 v37, 0xffff, v4
	v_or_b32_e32 v39, 0x10000, v4
	s_delay_alu instid0(VALU_DEP_2) | instskip(NEXT) | instid1(VALU_DEP_1)
	v_cmp_eq_u32_e64 s0, 0, v37
	v_cndmask_b32_e64 v116, v39, v4, s0
; %bb.1647:                             ;   in Loop: Header=BB442_1382 Depth=1
	s_or_b32 exec_lo, exec_lo, s12
	v_lshlrev_b32_e32 v4, 16, v5
                                        ; implicit-def: $vgpr117
	s_delay_alu instid0(VALU_DEP_1) | instskip(NEXT) | instid1(VALU_DEP_1)
	v_mul_f32_e32 v4, v101, v4
	v_and_b32_e32 v5, 0x7f800000, v4
	s_delay_alu instid0(VALU_DEP_1) | instskip(NEXT) | instid1(VALU_DEP_1)
	v_cmp_ne_u32_e64 s0, 0x7f800000, v5
	s_and_saveexec_b32 s12, s0
	s_delay_alu instid0(SALU_CYCLE_1)
	s_xor_b32 s0, exec_lo, s12
; %bb.1648:                             ;   in Loop: Header=BB442_1382 Depth=1
	v_bfe_u32 v5, v4, 16, 1
	s_delay_alu instid0(VALU_DEP_1)
	v_add3_u32 v117, v4, v5, 0x7fff
                                        ; implicit-def: $vgpr4
; %bb.1649:                             ;   in Loop: Header=BB442_1382 Depth=1
	s_and_not1_saveexec_b32 s12, s0
; %bb.1650:                             ;   in Loop: Header=BB442_1382 Depth=1
	v_and_b32_e32 v5, 0xffff, v4
	v_or_b32_e32 v37, 0x10000, v4
	s_delay_alu instid0(VALU_DEP_2) | instskip(NEXT) | instid1(VALU_DEP_1)
	v_cmp_eq_u32_e64 s0, 0, v5
	v_cndmask_b32_e64 v117, v37, v4, s0
; %bb.1651:                             ;   in Loop: Header=BB442_1382 Depth=1
	s_or_b32 exec_lo, exec_lo, s12
	v_lshlrev_b32_e32 v4, 16, v21
                                        ; implicit-def: $vgpr118
	s_delay_alu instid0(VALU_DEP_1) | instskip(NEXT) | instid1(VALU_DEP_1)
	v_mul_f32_e32 v4, v102, v4
	v_and_b32_e32 v5, 0x7f800000, v4
	s_delay_alu instid0(VALU_DEP_1) | instskip(NEXT) | instid1(VALU_DEP_1)
	v_cmp_ne_u32_e64 s0, 0x7f800000, v5
	s_and_saveexec_b32 s12, s0
	s_delay_alu instid0(SALU_CYCLE_1)
	s_xor_b32 s0, exec_lo, s12
; %bb.1652:                             ;   in Loop: Header=BB442_1382 Depth=1
	v_bfe_u32 v5, v4, 16, 1
	s_delay_alu instid0(VALU_DEP_1)
	v_add3_u32 v118, v4, v5, 0x7fff
                                        ; implicit-def: $vgpr4
; %bb.1653:                             ;   in Loop: Header=BB442_1382 Depth=1
	s_and_not1_saveexec_b32 s12, s0
; %bb.1654:                             ;   in Loop: Header=BB442_1382 Depth=1
	v_and_b32_e32 v5, 0xffff, v4
	v_or_b32_e32 v21, 0x10000, v4
	s_delay_alu instid0(VALU_DEP_2) | instskip(NEXT) | instid1(VALU_DEP_1)
	v_cmp_eq_u32_e64 s0, 0, v5
	v_cndmask_b32_e64 v118, v21, v4, s0
; %bb.1655:                             ;   in Loop: Header=BB442_1382 Depth=1
	s_or_b32 exec_lo, exec_lo, s12
	v_lshlrev_b32_e32 v4, 16, v9
                                        ; implicit-def: $vgpr119
	s_delay_alu instid0(VALU_DEP_1) | instskip(NEXT) | instid1(VALU_DEP_1)
	v_mul_f32_e32 v4, v103, v4
	v_and_b32_e32 v5, 0x7f800000, v4
	s_delay_alu instid0(VALU_DEP_1) | instskip(NEXT) | instid1(VALU_DEP_1)
	v_cmp_ne_u32_e64 s0, 0x7f800000, v5
	s_and_saveexec_b32 s12, s0
	s_delay_alu instid0(SALU_CYCLE_1)
	s_xor_b32 s0, exec_lo, s12
; %bb.1656:                             ;   in Loop: Header=BB442_1382 Depth=1
	v_bfe_u32 v5, v4, 16, 1
	s_delay_alu instid0(VALU_DEP_1)
	v_add3_u32 v119, v4, v5, 0x7fff
                                        ; implicit-def: $vgpr4
; %bb.1657:                             ;   in Loop: Header=BB442_1382 Depth=1
	s_and_not1_saveexec_b32 s12, s0
; %bb.1658:                             ;   in Loop: Header=BB442_1382 Depth=1
	v_and_b32_e32 v5, 0xffff, v4
	v_or_b32_e32 v9, 0x10000, v4
	s_delay_alu instid0(VALU_DEP_2) | instskip(NEXT) | instid1(VALU_DEP_1)
	v_cmp_eq_u32_e64 s0, 0, v5
	v_cndmask_b32_e64 v119, v9, v4, s0
; %bb.1659:                             ;   in Loop: Header=BB442_1382 Depth=1
	s_or_b32 exec_lo, exec_lo, s12
	v_lshlrev_b32_e32 v4, 16, v7
                                        ; implicit-def: $vgpr128
	s_delay_alu instid0(VALU_DEP_1) | instskip(NEXT) | instid1(VALU_DEP_1)
	v_mul_f32_e32 v4, v112, v4
	v_and_b32_e32 v5, 0x7f800000, v4
	s_delay_alu instid0(VALU_DEP_1) | instskip(NEXT) | instid1(VALU_DEP_1)
	v_cmp_ne_u32_e64 s0, 0x7f800000, v5
	s_and_saveexec_b32 s12, s0
	s_delay_alu instid0(SALU_CYCLE_1)
	s_xor_b32 s0, exec_lo, s12
; %bb.1660:                             ;   in Loop: Header=BB442_1382 Depth=1
	v_bfe_u32 v5, v4, 16, 1
	s_delay_alu instid0(VALU_DEP_1)
	v_add3_u32 v128, v4, v5, 0x7fff
                                        ; implicit-def: $vgpr4
; %bb.1661:                             ;   in Loop: Header=BB442_1382 Depth=1
	s_and_not1_saveexec_b32 s12, s0
; %bb.1662:                             ;   in Loop: Header=BB442_1382 Depth=1
	v_and_b32_e32 v5, 0xffff, v4
	v_or_b32_e32 v7, 0x10000, v4
	s_delay_alu instid0(VALU_DEP_2) | instskip(NEXT) | instid1(VALU_DEP_1)
	v_cmp_eq_u32_e64 s0, 0, v5
	v_cndmask_b32_e64 v128, v7, v4, s0
; %bb.1663:                             ;   in Loop: Header=BB442_1382 Depth=1
	s_or_b32 exec_lo, exec_lo, s12
	v_lshlrev_b32_e32 v4, 16, v6
                                        ; implicit-def: $vgpr129
	s_delay_alu instid0(VALU_DEP_1) | instskip(NEXT) | instid1(VALU_DEP_1)
	v_mul_f32_e32 v4, v113, v4
	v_and_b32_e32 v5, 0x7f800000, v4
	s_delay_alu instid0(VALU_DEP_1) | instskip(NEXT) | instid1(VALU_DEP_1)
	v_cmp_ne_u32_e64 s0, 0x7f800000, v5
	s_and_saveexec_b32 s12, s0
	s_delay_alu instid0(SALU_CYCLE_1)
	s_xor_b32 s0, exec_lo, s12
; %bb.1664:                             ;   in Loop: Header=BB442_1382 Depth=1
	v_bfe_u32 v5, v4, 16, 1
	s_delay_alu instid0(VALU_DEP_1)
	v_add3_u32 v129, v4, v5, 0x7fff
                                        ; implicit-def: $vgpr4
; %bb.1665:                             ;   in Loop: Header=BB442_1382 Depth=1
	s_and_not1_saveexec_b32 s12, s0
; %bb.1666:                             ;   in Loop: Header=BB442_1382 Depth=1
	v_and_b32_e32 v5, 0xffff, v4
	v_or_b32_e32 v6, 0x10000, v4
	s_delay_alu instid0(VALU_DEP_2) | instskip(NEXT) | instid1(VALU_DEP_1)
	v_cmp_eq_u32_e64 s0, 0, v5
	v_cndmask_b32_e64 v129, v6, v4, s0
; %bb.1667:                             ;   in Loop: Header=BB442_1382 Depth=1
	s_or_b32 exec_lo, exec_lo, s12
	v_lshlrev_b32_e32 v3, 16, v3
                                        ; implicit-def: $vgpr130
	s_delay_alu instid0(VALU_DEP_1) | instskip(NEXT) | instid1(VALU_DEP_1)
	v_mul_f32_e32 v3, v114, v3
	v_and_b32_e32 v4, 0x7f800000, v3
	s_delay_alu instid0(VALU_DEP_1) | instskip(NEXT) | instid1(VALU_DEP_1)
	v_cmp_ne_u32_e64 s0, 0x7f800000, v4
	s_and_saveexec_b32 s12, s0
	s_delay_alu instid0(SALU_CYCLE_1)
	s_xor_b32 s0, exec_lo, s12
; %bb.1668:                             ;   in Loop: Header=BB442_1382 Depth=1
	v_bfe_u32 v4, v3, 16, 1
	s_delay_alu instid0(VALU_DEP_1)
	v_add3_u32 v130, v3, v4, 0x7fff
                                        ; implicit-def: $vgpr3
; %bb.1669:                             ;   in Loop: Header=BB442_1382 Depth=1
	s_and_not1_saveexec_b32 s12, s0
; %bb.1670:                             ;   in Loop: Header=BB442_1382 Depth=1
	v_and_b32_e32 v4, 0xffff, v3
	v_or_b32_e32 v5, 0x10000, v3
	s_delay_alu instid0(VALU_DEP_2) | instskip(NEXT) | instid1(VALU_DEP_1)
	v_cmp_eq_u32_e64 s0, 0, v4
	v_cndmask_b32_e64 v130, v5, v3, s0
; %bb.1671:                             ;   in Loop: Header=BB442_1382 Depth=1
	s_or_b32 exec_lo, exec_lo, s12
	v_lshlrev_b32_e32 v2, 16, v2
                                        ; implicit-def: $vgpr131
	s_delay_alu instid0(VALU_DEP_1) | instskip(NEXT) | instid1(VALU_DEP_1)
	v_mul_f32_e32 v2, v115, v2
	v_and_b32_e32 v3, 0x7f800000, v2
	s_delay_alu instid0(VALU_DEP_1) | instskip(NEXT) | instid1(VALU_DEP_1)
	v_cmp_ne_u32_e64 s0, 0x7f800000, v3
	s_and_saveexec_b32 s12, s0
	s_delay_alu instid0(SALU_CYCLE_1)
	s_xor_b32 s0, exec_lo, s12
; %bb.1672:                             ;   in Loop: Header=BB442_1382 Depth=1
	v_bfe_u32 v3, v2, 16, 1
	s_delay_alu instid0(VALU_DEP_1)
	v_add3_u32 v131, v2, v3, 0x7fff
                                        ; implicit-def: $vgpr2
; %bb.1673:                             ;   in Loop: Header=BB442_1382 Depth=1
	s_and_not1_saveexec_b32 s12, s0
; %bb.1674:                             ;   in Loop: Header=BB442_1382 Depth=1
	v_and_b32_e32 v3, 0xffff, v2
	v_or_b32_e32 v4, 0x10000, v2
	s_delay_alu instid0(VALU_DEP_2) | instskip(NEXT) | instid1(VALU_DEP_1)
	v_cmp_eq_u32_e64 s0, 0, v3
	v_cndmask_b32_e64 v131, v4, v2, s0
; %bb.1675:                             ;   in Loop: Header=BB442_1382 Depth=1
	s_or_b32 exec_lo, exec_lo, s12
	flat_load_b64 v[2:3], v[0:1] offset:512
	s_mov_b32 s12, exec_lo
	s_waitcnt vmcnt(0) lgkmcnt(0)
	v_dual_mov_b32 v4, 0 :: v_dual_and_b32 v5, 0xff, v2
	s_delay_alu instid0(VALU_DEP_1)
	v_cmpx_ne_u16_e32 0, v5
	s_cbranch_execz .LBB442_1683
; %bb.1676:                             ;   in Loop: Header=BB442_1382 Depth=1
	v_bfrev_b32_e32 v4, 1
	s_mov_b32 s13, exec_lo
	v_cmpx_ne_u16_e32 0x80, v5
	s_cbranch_execz .LBB442_1682
; %bb.1677:                             ;   in Loop: Header=BB442_1382 Depth=1
	v_and_b32_e32 v5, 0x7f, v2
	v_mov_b32_e32 v4, 0x7f800001
	s_mov_b32 s15, exec_lo
	s_delay_alu instid0(VALU_DEP_2)
	v_cmpx_ne_u32_e32 0x7f, v5
	s_cbranch_execz .LBB442_1681
; %bb.1678:                             ;   in Loop: Header=BB442_1382 Depth=1
	v_lshrrev_b32_e32 v4, 3, v5
	v_dual_mov_b32 v7, v3 :: v_dual_mov_b32 v6, v2
	s_mov_b32 s16, exec_lo
	v_cmpx_gt_u32_e32 8, v5
; %bb.1679:                             ;   in Loop: Header=BB442_1382 Depth=1
	v_and_b32_e32 v4, 7, v2
	s_delay_alu instid0(VALU_DEP_1) | instskip(NEXT) | instid1(VALU_DEP_1)
	v_clz_i32_u32_e32 v4, v4
	v_min_u32_e32 v4, 32, v4
	s_delay_alu instid0(VALU_DEP_1) | instskip(SKIP_1) | instid1(VALU_DEP_2)
	v_subrev_nc_u32_e32 v5, 28, v4
	v_sub_nc_u32_e32 v4, 29, v4
	v_lshlrev_b64 v[6:7], v5, v[2:3]
; %bb.1680:                             ;   in Loop: Header=BB442_1382 Depth=1
	s_or_b32 exec_lo, exec_lo, s16
	s_delay_alu instid0(VALU_DEP_1) | instskip(SKIP_2) | instid1(VALU_DEP_3)
	v_lshlrev_b32_e32 v5, 20, v6
	v_lshlrev_b32_e32 v6, 24, v2
	v_lshl_add_u32 v4, v4, 23, 0x3c000000
	v_and_b32_e32 v5, 0x700000, v5
	s_delay_alu instid0(VALU_DEP_3) | instskip(NEXT) | instid1(VALU_DEP_1)
	v_and_b32_e32 v6, 0x80000000, v6
	v_or3_b32 v4, v5, v6, v4
.LBB442_1681:                           ;   in Loop: Header=BB442_1382 Depth=1
	s_or_b32 exec_lo, exec_lo, s15
.LBB442_1682:                           ;   in Loop: Header=BB442_1382 Depth=1
	s_delay_alu instid0(SALU_CYCLE_1)
	s_or_b32 exec_lo, exec_lo, s13
.LBB442_1683:                           ;   in Loop: Header=BB442_1382 Depth=1
	s_delay_alu instid0(SALU_CYCLE_1) | instskip(NEXT) | instid1(VALU_DEP_1)
	s_or_b32 exec_lo, exec_lo, s12
	v_mul_f32_e32 v5, v8, v4
	s_delay_alu instid0(VALU_DEP_1) | instskip(NEXT) | instid1(VALU_DEP_1)
	v_and_b32_e32 v4, 0x7f800000, v5
	v_cmp_ne_u32_e64 s0, 0x7f800000, v4
                                        ; implicit-def: $vgpr4
	s_delay_alu instid0(VALU_DEP_1) | instskip(NEXT) | instid1(SALU_CYCLE_1)
	s_and_saveexec_b32 s12, s0
	s_xor_b32 s0, exec_lo, s12
; %bb.1684:                             ;   in Loop: Header=BB442_1382 Depth=1
	v_bfe_u32 v4, v5, 16, 1
	s_delay_alu instid0(VALU_DEP_1)
	v_add3_u32 v4, v5, v4, 0x7fff
                                        ; implicit-def: $vgpr5
; %bb.1685:                             ;   in Loop: Header=BB442_1382 Depth=1
	s_and_not1_saveexec_b32 s12, s0
; %bb.1686:                             ;   in Loop: Header=BB442_1382 Depth=1
	v_and_b32_e32 v4, 0xffff, v5
	v_or_b32_e32 v6, 0x10000, v5
	s_delay_alu instid0(VALU_DEP_2) | instskip(NEXT) | instid1(VALU_DEP_1)
	v_cmp_eq_u32_e64 s0, 0, v4
	v_cndmask_b32_e64 v4, v6, v5, s0
; %bb.1687:                             ;   in Loop: Header=BB442_1382 Depth=1
	s_or_b32 exec_lo, exec_lo, s12
	v_lshrrev_b16 v6, 8, v2
	v_mov_b32_e32 v5, 0
	s_mov_b32 s12, exec_lo
	s_delay_alu instid0(VALU_DEP_2)
	v_cmpx_ne_u16_e32 0, v6
	s_cbranch_execz .LBB442_1695
; %bb.1688:                             ;   in Loop: Header=BB442_1382 Depth=1
	v_bfrev_b32_e32 v5, 1
	s_mov_b32 s13, exec_lo
	v_cmpx_ne_u16_e32 0x80, v6
	s_cbranch_execz .LBB442_1694
; %bb.1689:                             ;   in Loop: Header=BB442_1382 Depth=1
	v_and_b32_e32 v7, 0xffff, v6
	v_mov_b32_e32 v5, 0x7f800001
	s_mov_b32 s15, exec_lo
	s_delay_alu instid0(VALU_DEP_2) | instskip(NEXT) | instid1(VALU_DEP_1)
	v_and_b32_e32 v6, 0x7f, v7
	v_cmpx_ne_u32_e32 0x7f, v6
	s_cbranch_execz .LBB442_1693
; %bb.1690:                             ;   in Loop: Header=BB442_1382 Depth=1
	v_and_b32_e32 v9, 7, v7
	v_lshrrev_b32_e32 v5, 3, v6
	v_cmp_gt_u32_e64 s0, 8, v6
	s_delay_alu instid0(VALU_DEP_3) | instskip(NEXT) | instid1(VALU_DEP_2)
	v_dual_mov_b32 v6, v9 :: v_dual_mov_b32 v7, v10
	s_and_saveexec_b32 s16, s0
; %bb.1691:                             ;   in Loop: Header=BB442_1382 Depth=1
	v_clz_i32_u32_e32 v5, v9
	s_delay_alu instid0(VALU_DEP_1) | instskip(NEXT) | instid1(VALU_DEP_1)
	v_min_u32_e32 v5, 32, v5
	v_subrev_nc_u32_e32 v6, 28, v5
	v_sub_nc_u32_e32 v5, 29, v5
	s_delay_alu instid0(VALU_DEP_2) | instskip(NEXT) | instid1(VALU_DEP_1)
	v_lshlrev_b64 v[6:7], v6, v[9:10]
	v_and_b32_e32 v6, 7, v6
; %bb.1692:                             ;   in Loop: Header=BB442_1382 Depth=1
	s_or_b32 exec_lo, exec_lo, s16
	v_lshlrev_b32_e32 v7, 16, v2
	s_delay_alu instid0(VALU_DEP_2) | instskip(SKIP_1) | instid1(VALU_DEP_3)
	v_lshlrev_b32_e32 v6, 20, v6
	v_lshl_add_u32 v5, v5, 23, 0x3c000000
	v_and_b32_e32 v7, 0x80000000, v7
	s_delay_alu instid0(VALU_DEP_1)
	v_or3_b32 v5, v6, v7, v5
.LBB442_1693:                           ;   in Loop: Header=BB442_1382 Depth=1
	s_or_b32 exec_lo, exec_lo, s15
.LBB442_1694:                           ;   in Loop: Header=BB442_1382 Depth=1
	s_delay_alu instid0(SALU_CYCLE_1)
	s_or_b32 exec_lo, exec_lo, s13
.LBB442_1695:                           ;   in Loop: Header=BB442_1382 Depth=1
	s_delay_alu instid0(SALU_CYCLE_1) | instskip(NEXT) | instid1(VALU_DEP_1)
	s_or_b32 exec_lo, exec_lo, s12
	v_mul_f32_e32 v6, v8, v5
	s_delay_alu instid0(VALU_DEP_1) | instskip(NEXT) | instid1(VALU_DEP_1)
	v_and_b32_e32 v5, 0x7f800000, v6
	v_cmp_ne_u32_e64 s0, 0x7f800000, v5
                                        ; implicit-def: $vgpr5
	s_delay_alu instid0(VALU_DEP_1) | instskip(NEXT) | instid1(SALU_CYCLE_1)
	s_and_saveexec_b32 s12, s0
	s_xor_b32 s0, exec_lo, s12
; %bb.1696:                             ;   in Loop: Header=BB442_1382 Depth=1
	v_bfe_u32 v5, v6, 16, 1
	s_delay_alu instid0(VALU_DEP_1)
	v_add3_u32 v5, v6, v5, 0x7fff
                                        ; implicit-def: $vgpr6
; %bb.1697:                             ;   in Loop: Header=BB442_1382 Depth=1
	s_and_not1_saveexec_b32 s12, s0
; %bb.1698:                             ;   in Loop: Header=BB442_1382 Depth=1
	v_and_b32_e32 v5, 0xffff, v6
	v_or_b32_e32 v7, 0x10000, v6
	s_delay_alu instid0(VALU_DEP_2) | instskip(NEXT) | instid1(VALU_DEP_1)
	v_cmp_eq_u32_e64 s0, 0, v5
	v_cndmask_b32_e64 v5, v7, v6, s0
; %bb.1699:                             ;   in Loop: Header=BB442_1382 Depth=1
	s_or_b32 exec_lo, exec_lo, s12
	v_lshrrev_b32_e32 v21, 16, v2
	s_mov_b32 s12, exec_lo
	s_delay_alu instid0(VALU_DEP_1) | instskip(NEXT) | instid1(VALU_DEP_1)
	v_dual_mov_b32 v6, 0 :: v_dual_and_b32 v7, 0xff, v21
	v_cmpx_ne_u16_e32 0, v7
	s_cbranch_execz .LBB442_1707
; %bb.1700:                             ;   in Loop: Header=BB442_1382 Depth=1
	v_bfrev_b32_e32 v6, 1
	s_mov_b32 s13, exec_lo
	v_cmpx_ne_u16_e32 0x80, v7
	s_cbranch_execz .LBB442_1706
; %bb.1701:                             ;   in Loop: Header=BB442_1382 Depth=1
	v_bfe_u32 v7, v2, 16, 7
	v_mov_b32_e32 v6, 0x7f800001
	s_mov_b32 s15, exec_lo
	s_delay_alu instid0(VALU_DEP_2)
	v_cmpx_ne_u32_e32 0x7f, v7
	s_cbranch_execz .LBB442_1705
; %bb.1702:                             ;   in Loop: Header=BB442_1382 Depth=1
	v_and_b32_e32 v9, 7, v21
	v_lshrrev_b32_e32 v37, 3, v7
	v_cmp_gt_u32_e64 s0, 8, v7
	s_delay_alu instid0(VALU_DEP_3) | instskip(NEXT) | instid1(VALU_DEP_2)
	v_dual_mov_b32 v6, v9 :: v_dual_mov_b32 v7, v10
	s_and_saveexec_b32 s16, s0
; %bb.1703:                             ;   in Loop: Header=BB442_1382 Depth=1
	v_clz_i32_u32_e32 v6, v9
	s_delay_alu instid0(VALU_DEP_1) | instskip(NEXT) | instid1(VALU_DEP_1)
	v_min_u32_e32 v37, 32, v6
	v_subrev_nc_u32_e32 v6, 28, v37
	v_sub_nc_u32_e32 v37, 29, v37
	s_delay_alu instid0(VALU_DEP_2) | instskip(NEXT) | instid1(VALU_DEP_1)
	v_lshlrev_b64 v[6:7], v6, v[9:10]
	v_and_b32_e32 v6, 7, v6
; %bb.1704:                             ;   in Loop: Header=BB442_1382 Depth=1
	s_or_b32 exec_lo, exec_lo, s16
	v_lshlrev_b32_e32 v7, 24, v21
	s_delay_alu instid0(VALU_DEP_2) | instskip(SKIP_1) | instid1(VALU_DEP_3)
	v_lshlrev_b32_e32 v6, 20, v6
	v_lshl_add_u32 v9, v37, 23, 0x3c000000
	v_and_b32_e32 v7, 0x80000000, v7
	s_delay_alu instid0(VALU_DEP_1)
	v_or3_b32 v6, v6, v7, v9
.LBB442_1705:                           ;   in Loop: Header=BB442_1382 Depth=1
	s_or_b32 exec_lo, exec_lo, s15
.LBB442_1706:                           ;   in Loop: Header=BB442_1382 Depth=1
	s_delay_alu instid0(SALU_CYCLE_1)
	s_or_b32 exec_lo, exec_lo, s13
.LBB442_1707:                           ;   in Loop: Header=BB442_1382 Depth=1
	s_delay_alu instid0(SALU_CYCLE_1) | instskip(NEXT) | instid1(VALU_DEP_1)
	s_or_b32 exec_lo, exec_lo, s12
	v_mul_f32_e32 v6, v8, v6
                                        ; implicit-def: $vgpr21
	s_delay_alu instid0(VALU_DEP_1) | instskip(NEXT) | instid1(VALU_DEP_1)
	v_and_b32_e32 v7, 0x7f800000, v6
	v_cmp_ne_u32_e64 s0, 0x7f800000, v7
	s_delay_alu instid0(VALU_DEP_1) | instskip(NEXT) | instid1(SALU_CYCLE_1)
	s_and_saveexec_b32 s12, s0
	s_xor_b32 s0, exec_lo, s12
; %bb.1708:                             ;   in Loop: Header=BB442_1382 Depth=1
	v_bfe_u32 v7, v6, 16, 1
	s_delay_alu instid0(VALU_DEP_1)
	v_add3_u32 v21, v6, v7, 0x7fff
                                        ; implicit-def: $vgpr6
; %bb.1709:                             ;   in Loop: Header=BB442_1382 Depth=1
	s_and_not1_saveexec_b32 s12, s0
; %bb.1710:                             ;   in Loop: Header=BB442_1382 Depth=1
	v_and_b32_e32 v7, 0xffff, v6
	v_or_b32_e32 v9, 0x10000, v6
	s_delay_alu instid0(VALU_DEP_2) | instskip(NEXT) | instid1(VALU_DEP_1)
	v_cmp_eq_u32_e64 s0, 0, v7
	v_cndmask_b32_e64 v21, v9, v6, s0
; %bb.1711:                             ;   in Loop: Header=BB442_1382 Depth=1
	s_or_b32 exec_lo, exec_lo, s12
	v_mov_b32_e32 v6, 0
	s_mov_b32 s12, exec_lo
	v_cmpx_lt_u32_e32 0xffffff, v2
	s_cbranch_execz .LBB442_1719
; %bb.1712:                             ;   in Loop: Header=BB442_1382 Depth=1
	v_lshrrev_b32_e32 v37, 24, v2
	v_bfrev_b32_e32 v6, 1
	s_mov_b32 s13, exec_lo
	s_delay_alu instid0(VALU_DEP_2)
	v_cmpx_ne_u32_e32 0x80, v37
	s_cbranch_execz .LBB442_1718
; %bb.1713:                             ;   in Loop: Header=BB442_1382 Depth=1
	v_bfe_u32 v7, v2, 24, 7
	v_mov_b32_e32 v6, 0x7f800001
	s_mov_b32 s15, exec_lo
	s_delay_alu instid0(VALU_DEP_2)
	v_cmpx_ne_u32_e32 0x7f, v7
	s_cbranch_execz .LBB442_1717
; %bb.1714:                             ;   in Loop: Header=BB442_1382 Depth=1
	v_and_b32_e32 v9, 7, v37
	v_lshrrev_b32_e32 v39, 3, v7
	v_cmp_gt_u32_e64 s0, 8, v7
	s_delay_alu instid0(VALU_DEP_3) | instskip(NEXT) | instid1(VALU_DEP_2)
	v_dual_mov_b32 v6, v9 :: v_dual_mov_b32 v7, v10
	s_and_saveexec_b32 s16, s0
; %bb.1715:                             ;   in Loop: Header=BB442_1382 Depth=1
	v_clz_i32_u32_e32 v6, v9
	s_delay_alu instid0(VALU_DEP_1) | instskip(NEXT) | instid1(VALU_DEP_1)
	v_min_u32_e32 v39, 32, v6
	v_subrev_nc_u32_e32 v6, 28, v39
	v_sub_nc_u32_e32 v39, 29, v39
	s_delay_alu instid0(VALU_DEP_2) | instskip(NEXT) | instid1(VALU_DEP_1)
	v_lshlrev_b64 v[6:7], v6, v[9:10]
	v_and_b32_e32 v6, 7, v6
; %bb.1716:                             ;   in Loop: Header=BB442_1382 Depth=1
	s_or_b32 exec_lo, exec_lo, s16
	v_lshlrev_b32_e32 v7, 24, v37
	s_delay_alu instid0(VALU_DEP_2) | instskip(SKIP_1) | instid1(VALU_DEP_3)
	v_lshlrev_b32_e32 v6, 20, v6
	v_lshl_add_u32 v9, v39, 23, 0x3c000000
	v_and_b32_e32 v7, 0x80000000, v7
	s_delay_alu instid0(VALU_DEP_1)
	v_or3_b32 v6, v6, v7, v9
.LBB442_1717:                           ;   in Loop: Header=BB442_1382 Depth=1
	s_or_b32 exec_lo, exec_lo, s15
.LBB442_1718:                           ;   in Loop: Header=BB442_1382 Depth=1
	s_delay_alu instid0(SALU_CYCLE_1)
	s_or_b32 exec_lo, exec_lo, s13
.LBB442_1719:                           ;   in Loop: Header=BB442_1382 Depth=1
	s_delay_alu instid0(SALU_CYCLE_1) | instskip(NEXT) | instid1(VALU_DEP_1)
	s_or_b32 exec_lo, exec_lo, s12
	v_mul_f32_e32 v6, v8, v6
                                        ; implicit-def: $vgpr37
	s_delay_alu instid0(VALU_DEP_1) | instskip(NEXT) | instid1(VALU_DEP_1)
	v_and_b32_e32 v7, 0x7f800000, v6
	v_cmp_ne_u32_e64 s0, 0x7f800000, v7
	s_delay_alu instid0(VALU_DEP_1) | instskip(NEXT) | instid1(SALU_CYCLE_1)
	s_and_saveexec_b32 s12, s0
	s_xor_b32 s0, exec_lo, s12
; %bb.1720:                             ;   in Loop: Header=BB442_1382 Depth=1
	v_bfe_u32 v7, v6, 16, 1
	s_delay_alu instid0(VALU_DEP_1)
	v_add3_u32 v37, v6, v7, 0x7fff
                                        ; implicit-def: $vgpr6
; %bb.1721:                             ;   in Loop: Header=BB442_1382 Depth=1
	s_and_not1_saveexec_b32 s12, s0
; %bb.1722:                             ;   in Loop: Header=BB442_1382 Depth=1
	v_and_b32_e32 v7, 0xffff, v6
	v_or_b32_e32 v9, 0x10000, v6
	s_delay_alu instid0(VALU_DEP_2) | instskip(NEXT) | instid1(VALU_DEP_1)
	v_cmp_eq_u32_e64 s0, 0, v7
	v_cndmask_b32_e64 v37, v9, v6, s0
; %bb.1723:                             ;   in Loop: Header=BB442_1382 Depth=1
	s_or_b32 exec_lo, exec_lo, s12
	v_dual_mov_b32 v6, 0 :: v_dual_and_b32 v7, 0xff, v3
	v_mov_b32_e32 v9, v3
	s_mov_b32 s12, exec_lo
	s_delay_alu instid0(VALU_DEP_2)
	v_cmpx_ne_u16_e32 0, v7
	s_cbranch_execz .LBB442_1731
; %bb.1724:                             ;   in Loop: Header=BB442_1382 Depth=1
	v_bfrev_b32_e32 v6, 1
	s_mov_b32 s13, exec_lo
	v_cmpx_ne_u16_e32 0x80, v7
	s_cbranch_execz .LBB442_1730
; %bb.1725:                             ;   in Loop: Header=BB442_1382 Depth=1
	v_and_b32_e32 v7, 0x7f, v3
	v_mov_b32_e32 v6, 0x7f800001
	s_mov_b32 s15, exec_lo
	s_delay_alu instid0(VALU_DEP_2)
	v_cmpx_ne_u32_e32 0x7f, v7
	s_cbranch_execz .LBB442_1729
; %bb.1726:                             ;   in Loop: Header=BB442_1382 Depth=1
	v_lshrrev_b32_e32 v39, 3, v7
	v_cmp_gt_u32_e64 s0, 8, v7
	v_dual_mov_b32 v6, v9 :: v_dual_mov_b32 v7, v10
	s_delay_alu instid0(VALU_DEP_2)
	s_and_saveexec_b32 s16, s0
; %bb.1727:                             ;   in Loop: Header=BB442_1382 Depth=1
	v_and_b32_e32 v6, 7, v3
	s_delay_alu instid0(VALU_DEP_1) | instskip(NEXT) | instid1(VALU_DEP_1)
	v_clz_i32_u32_e32 v6, v6
	v_min_u32_e32 v39, 32, v6
	s_delay_alu instid0(VALU_DEP_1) | instskip(SKIP_1) | instid1(VALU_DEP_2)
	v_subrev_nc_u32_e32 v6, 28, v39
	v_sub_nc_u32_e32 v39, 29, v39
	v_lshlrev_b64 v[6:7], v6, v[9:10]
; %bb.1728:                             ;   in Loop: Header=BB442_1382 Depth=1
	s_or_b32 exec_lo, exec_lo, s16
	s_delay_alu instid0(VALU_DEP_1) | instskip(SKIP_2) | instid1(VALU_DEP_3)
	v_lshlrev_b32_e32 v6, 20, v6
	v_lshlrev_b32_e32 v7, 24, v9
	v_lshl_add_u32 v39, v39, 23, 0x3c000000
	v_and_b32_e32 v6, 0x700000, v6
	s_delay_alu instid0(VALU_DEP_3) | instskip(NEXT) | instid1(VALU_DEP_1)
	v_and_b32_e32 v7, 0x80000000, v7
	v_or3_b32 v6, v6, v7, v39
.LBB442_1729:                           ;   in Loop: Header=BB442_1382 Depth=1
	s_or_b32 exec_lo, exec_lo, s15
.LBB442_1730:                           ;   in Loop: Header=BB442_1382 Depth=1
	s_delay_alu instid0(SALU_CYCLE_1)
	s_or_b32 exec_lo, exec_lo, s13
.LBB442_1731:                           ;   in Loop: Header=BB442_1382 Depth=1
	s_delay_alu instid0(SALU_CYCLE_1) | instskip(NEXT) | instid1(VALU_DEP_1)
	s_or_b32 exec_lo, exec_lo, s12
	v_mul_f32_e32 v6, v8, v6
                                        ; implicit-def: $vgpr39
	s_delay_alu instid0(VALU_DEP_1) | instskip(NEXT) | instid1(VALU_DEP_1)
	v_and_b32_e32 v7, 0x7f800000, v6
	v_cmp_ne_u32_e64 s0, 0x7f800000, v7
	s_delay_alu instid0(VALU_DEP_1) | instskip(NEXT) | instid1(SALU_CYCLE_1)
	s_and_saveexec_b32 s12, s0
	s_xor_b32 s0, exec_lo, s12
; %bb.1732:                             ;   in Loop: Header=BB442_1382 Depth=1
	v_bfe_u32 v7, v6, 16, 1
	s_delay_alu instid0(VALU_DEP_1)
	v_add3_u32 v39, v6, v7, 0x7fff
                                        ; implicit-def: $vgpr6
; %bb.1733:                             ;   in Loop: Header=BB442_1382 Depth=1
	s_and_not1_saveexec_b32 s12, s0
; %bb.1734:                             ;   in Loop: Header=BB442_1382 Depth=1
	v_and_b32_e32 v7, 0xffff, v6
	v_or_b32_e32 v39, 0x10000, v6
	s_delay_alu instid0(VALU_DEP_2) | instskip(NEXT) | instid1(VALU_DEP_1)
	v_cmp_eq_u32_e64 s0, 0, v7
	v_cndmask_b32_e64 v39, v39, v6, s0
; %bb.1735:                             ;   in Loop: Header=BB442_1382 Depth=1
	s_or_b32 exec_lo, exec_lo, s12
	v_lshrrev_b16 v7, 8, v9
	v_mov_b32_e32 v6, 0
	s_mov_b32 s12, exec_lo
	s_delay_alu instid0(VALU_DEP_2)
	v_cmpx_ne_u16_e32 0, v7
	s_cbranch_execz .LBB442_1743
; %bb.1736:                             ;   in Loop: Header=BB442_1382 Depth=1
	v_bfrev_b32_e32 v6, 1
	s_mov_b32 s13, exec_lo
	v_cmpx_ne_u16_e32 0x80, v7
	s_cbranch_execz .LBB442_1742
; %bb.1737:                             ;   in Loop: Header=BB442_1382 Depth=1
	v_and_b32_e32 v7, 0xffff, v7
	v_mov_b32_e32 v6, 0x7f800001
	s_mov_b32 s15, exec_lo
	s_delay_alu instid0(VALU_DEP_2) | instskip(NEXT) | instid1(VALU_DEP_1)
	v_and_b32_e32 v133, 0x7f, v7
	v_cmpx_ne_u32_e32 0x7f, v133
	s_cbranch_execz .LBB442_1741
; %bb.1738:                             ;   in Loop: Header=BB442_1382 Depth=1
	v_dual_mov_b32 v7, v10 :: v_dual_and_b32 v6, 7, v7
	v_lshrrev_b32_e32 v132, 3, v133
	s_mov_b32 s16, exec_lo
	v_cmpx_gt_u32_e32 8, v133
; %bb.1739:                             ;   in Loop: Header=BB442_1382 Depth=1
	s_delay_alu instid0(VALU_DEP_3) | instskip(NEXT) | instid1(VALU_DEP_1)
	v_clz_i32_u32_e32 v132, v6
	v_min_u32_e32 v132, 32, v132
	s_delay_alu instid0(VALU_DEP_1) | instskip(SKIP_1) | instid1(VALU_DEP_2)
	v_subrev_nc_u32_e32 v133, 28, v132
	v_sub_nc_u32_e32 v132, 29, v132
	v_lshlrev_b64 v[6:7], v133, v[6:7]
	s_delay_alu instid0(VALU_DEP_1)
	v_and_b32_e32 v6, 7, v6
; %bb.1740:                             ;   in Loop: Header=BB442_1382 Depth=1
	s_or_b32 exec_lo, exec_lo, s16
	v_lshlrev_b32_e32 v7, 16, v9
	s_delay_alu instid0(VALU_DEP_2) | instskip(SKIP_1) | instid1(VALU_DEP_3)
	v_lshlrev_b32_e32 v6, 20, v6
	v_lshl_add_u32 v9, v132, 23, 0x3c000000
	v_and_b32_e32 v7, 0x80000000, v7
	s_delay_alu instid0(VALU_DEP_1)
	v_or3_b32 v6, v6, v7, v9
.LBB442_1741:                           ;   in Loop: Header=BB442_1382 Depth=1
	s_or_b32 exec_lo, exec_lo, s15
.LBB442_1742:                           ;   in Loop: Header=BB442_1382 Depth=1
	s_delay_alu instid0(SALU_CYCLE_1)
	s_or_b32 exec_lo, exec_lo, s13
.LBB442_1743:                           ;   in Loop: Header=BB442_1382 Depth=1
	s_delay_alu instid0(SALU_CYCLE_1) | instskip(NEXT) | instid1(VALU_DEP_1)
	s_or_b32 exec_lo, exec_lo, s12
	v_mul_f32_e32 v6, v8, v6
                                        ; implicit-def: $vgpr132
	s_delay_alu instid0(VALU_DEP_1) | instskip(NEXT) | instid1(VALU_DEP_1)
	v_and_b32_e32 v7, 0x7f800000, v6
	v_cmp_ne_u32_e64 s0, 0x7f800000, v7
	s_delay_alu instid0(VALU_DEP_1) | instskip(NEXT) | instid1(SALU_CYCLE_1)
	s_and_saveexec_b32 s12, s0
	s_xor_b32 s0, exec_lo, s12
; %bb.1744:                             ;   in Loop: Header=BB442_1382 Depth=1
	v_bfe_u32 v7, v6, 16, 1
	s_delay_alu instid0(VALU_DEP_1)
	v_add3_u32 v132, v6, v7, 0x7fff
                                        ; implicit-def: $vgpr6
; %bb.1745:                             ;   in Loop: Header=BB442_1382 Depth=1
	s_and_not1_saveexec_b32 s12, s0
; %bb.1746:                             ;   in Loop: Header=BB442_1382 Depth=1
	v_and_b32_e32 v7, 0xffff, v6
	v_or_b32_e32 v9, 0x10000, v6
	s_delay_alu instid0(VALU_DEP_2) | instskip(NEXT) | instid1(VALU_DEP_1)
	v_cmp_eq_u32_e64 s0, 0, v7
	v_cndmask_b32_e64 v132, v9, v6, s0
; %bb.1747:                             ;   in Loop: Header=BB442_1382 Depth=1
	s_or_b32 exec_lo, exec_lo, s12
	v_lshrrev_b32_e32 v133, 16, v3
	s_mov_b32 s12, exec_lo
	s_delay_alu instid0(VALU_DEP_1) | instskip(NEXT) | instid1(VALU_DEP_1)
	v_dual_mov_b32 v6, 0 :: v_dual_and_b32 v7, 0xff, v133
	v_cmpx_ne_u16_e32 0, v7
	s_cbranch_execz .LBB442_1755
; %bb.1748:                             ;   in Loop: Header=BB442_1382 Depth=1
	v_bfrev_b32_e32 v6, 1
	s_mov_b32 s13, exec_lo
	v_cmpx_ne_u16_e32 0x80, v7
	s_cbranch_execz .LBB442_1754
; %bb.1749:                             ;   in Loop: Header=BB442_1382 Depth=1
	v_bfe_u32 v7, v3, 16, 7
	v_mov_b32_e32 v6, 0x7f800001
	s_mov_b32 s15, exec_lo
	s_delay_alu instid0(VALU_DEP_2)
	v_cmpx_ne_u32_e32 0x7f, v7
	s_cbranch_execz .LBB442_1753
; %bb.1750:                             ;   in Loop: Header=BB442_1382 Depth=1
	v_and_b32_e32 v9, 7, v133
	v_lshrrev_b32_e32 v134, 3, v7
	v_cmp_gt_u32_e64 s0, 8, v7
	s_delay_alu instid0(VALU_DEP_3) | instskip(NEXT) | instid1(VALU_DEP_2)
	v_dual_mov_b32 v6, v9 :: v_dual_mov_b32 v7, v10
	s_and_saveexec_b32 s16, s0
; %bb.1751:                             ;   in Loop: Header=BB442_1382 Depth=1
	v_clz_i32_u32_e32 v6, v9
	s_delay_alu instid0(VALU_DEP_1) | instskip(NEXT) | instid1(VALU_DEP_1)
	v_min_u32_e32 v134, 32, v6
	v_subrev_nc_u32_e32 v6, 28, v134
	v_sub_nc_u32_e32 v134, 29, v134
	s_delay_alu instid0(VALU_DEP_2) | instskip(NEXT) | instid1(VALU_DEP_1)
	v_lshlrev_b64 v[6:7], v6, v[9:10]
	v_and_b32_e32 v6, 7, v6
; %bb.1752:                             ;   in Loop: Header=BB442_1382 Depth=1
	s_or_b32 exec_lo, exec_lo, s16
	v_lshlrev_b32_e32 v7, 24, v133
	s_delay_alu instid0(VALU_DEP_2) | instskip(SKIP_1) | instid1(VALU_DEP_3)
	v_lshlrev_b32_e32 v6, 20, v6
	v_lshl_add_u32 v9, v134, 23, 0x3c000000
	v_and_b32_e32 v7, 0x80000000, v7
	s_delay_alu instid0(VALU_DEP_1)
	v_or3_b32 v6, v6, v7, v9
.LBB442_1753:                           ;   in Loop: Header=BB442_1382 Depth=1
	s_or_b32 exec_lo, exec_lo, s15
.LBB442_1754:                           ;   in Loop: Header=BB442_1382 Depth=1
	s_delay_alu instid0(SALU_CYCLE_1)
	s_or_b32 exec_lo, exec_lo, s13
.LBB442_1755:                           ;   in Loop: Header=BB442_1382 Depth=1
	s_delay_alu instid0(SALU_CYCLE_1) | instskip(NEXT) | instid1(VALU_DEP_1)
	s_or_b32 exec_lo, exec_lo, s12
	v_mul_f32_e32 v6, v8, v6
                                        ; implicit-def: $vgpr133
	s_delay_alu instid0(VALU_DEP_1) | instskip(NEXT) | instid1(VALU_DEP_1)
	v_and_b32_e32 v7, 0x7f800000, v6
	v_cmp_ne_u32_e64 s0, 0x7f800000, v7
	s_delay_alu instid0(VALU_DEP_1) | instskip(NEXT) | instid1(SALU_CYCLE_1)
	s_and_saveexec_b32 s12, s0
	s_xor_b32 s0, exec_lo, s12
; %bb.1756:                             ;   in Loop: Header=BB442_1382 Depth=1
	v_bfe_u32 v7, v6, 16, 1
	s_delay_alu instid0(VALU_DEP_1)
	v_add3_u32 v133, v6, v7, 0x7fff
                                        ; implicit-def: $vgpr6
; %bb.1757:                             ;   in Loop: Header=BB442_1382 Depth=1
	s_and_not1_saveexec_b32 s12, s0
; %bb.1758:                             ;   in Loop: Header=BB442_1382 Depth=1
	v_and_b32_e32 v7, 0xffff, v6
	v_or_b32_e32 v9, 0x10000, v6
	s_delay_alu instid0(VALU_DEP_2) | instskip(NEXT) | instid1(VALU_DEP_1)
	v_cmp_eq_u32_e64 s0, 0, v7
	v_cndmask_b32_e64 v133, v9, v6, s0
; %bb.1759:                             ;   in Loop: Header=BB442_1382 Depth=1
	s_or_b32 exec_lo, exec_lo, s12
	v_cmp_lt_u64_e64 s0, s[8:9], v[2:3]
	v_mov_b32_e32 v2, 0
	s_delay_alu instid0(VALU_DEP_2)
	s_and_saveexec_b32 s12, s0
	s_cbranch_execz .LBB442_1767
; %bb.1760:                             ;   in Loop: Header=BB442_1382 Depth=1
	v_lshrrev_b32_e32 v6, 24, v3
	v_bfrev_b32_e32 v2, 1
	s_mov_b32 s13, exec_lo
	s_delay_alu instid0(VALU_DEP_2)
	v_cmpx_ne_u32_e32 0x80, v6
	s_cbranch_execz .LBB442_1766
; %bb.1761:                             ;   in Loop: Header=BB442_1382 Depth=1
	v_bfe_u32 v3, v3, 24, 7
	v_mov_b32_e32 v2, 0x7f800001
	s_mov_b32 s15, exec_lo
	s_delay_alu instid0(VALU_DEP_2)
	v_cmpx_ne_u32_e32 0x7f, v3
	s_cbranch_execz .LBB442_1765
; %bb.1762:                             ;   in Loop: Header=BB442_1382 Depth=1
	v_and_b32_e32 v9, 7, v6
	v_lshrrev_b32_e32 v7, 3, v3
	v_cmp_gt_u32_e64 s0, 8, v3
	s_delay_alu instid0(VALU_DEP_3) | instskip(NEXT) | instid1(VALU_DEP_2)
	v_dual_mov_b32 v2, v9 :: v_dual_mov_b32 v3, v10
	s_and_saveexec_b32 s16, s0
; %bb.1763:                             ;   in Loop: Header=BB442_1382 Depth=1
	v_clz_i32_u32_e32 v2, v9
	s_delay_alu instid0(VALU_DEP_1) | instskip(NEXT) | instid1(VALU_DEP_1)
	v_min_u32_e32 v7, 32, v2
	v_subrev_nc_u32_e32 v2, 28, v7
	v_sub_nc_u32_e32 v7, 29, v7
	s_delay_alu instid0(VALU_DEP_2) | instskip(NEXT) | instid1(VALU_DEP_1)
	v_lshlrev_b64 v[2:3], v2, v[9:10]
	v_and_b32_e32 v2, 7, v2
; %bb.1764:                             ;   in Loop: Header=BB442_1382 Depth=1
	s_or_b32 exec_lo, exec_lo, s16
	v_lshlrev_b32_e32 v3, 24, v6
	s_delay_alu instid0(VALU_DEP_2) | instskip(SKIP_1) | instid1(VALU_DEP_3)
	v_lshlrev_b32_e32 v2, 20, v2
	v_lshl_add_u32 v6, v7, 23, 0x3c000000
	v_and_b32_e32 v3, 0x80000000, v3
	s_delay_alu instid0(VALU_DEP_1)
	v_or3_b32 v2, v2, v3, v6
.LBB442_1765:                           ;   in Loop: Header=BB442_1382 Depth=1
	s_or_b32 exec_lo, exec_lo, s15
.LBB442_1766:                           ;   in Loop: Header=BB442_1382 Depth=1
	s_delay_alu instid0(SALU_CYCLE_1)
	s_or_b32 exec_lo, exec_lo, s13
.LBB442_1767:                           ;   in Loop: Header=BB442_1382 Depth=1
	s_delay_alu instid0(SALU_CYCLE_1) | instskip(NEXT) | instid1(VALU_DEP_1)
	s_or_b32 exec_lo, exec_lo, s12
	v_mul_f32_e32 v3, v8, v2
	s_delay_alu instid0(VALU_DEP_1) | instskip(NEXT) | instid1(VALU_DEP_1)
	v_and_b32_e32 v2, 0x7f800000, v3
	v_cmp_ne_u32_e64 s0, 0x7f800000, v2
                                        ; implicit-def: $vgpr2
	s_delay_alu instid0(VALU_DEP_1) | instskip(NEXT) | instid1(SALU_CYCLE_1)
	s_and_saveexec_b32 s12, s0
	s_xor_b32 s0, exec_lo, s12
; %bb.1768:                             ;   in Loop: Header=BB442_1382 Depth=1
	v_bfe_u32 v2, v3, 16, 1
	s_delay_alu instid0(VALU_DEP_1)
	v_add3_u32 v2, v3, v2, 0x7fff
                                        ; implicit-def: $vgpr3
; %bb.1769:                             ;   in Loop: Header=BB442_1382 Depth=1
	s_and_not1_saveexec_b32 s12, s0
; %bb.1770:                             ;   in Loop: Header=BB442_1382 Depth=1
	v_and_b32_e32 v2, 0xffff, v3
	v_or_b32_e32 v6, 0x10000, v3
	s_delay_alu instid0(VALU_DEP_2) | instskip(NEXT) | instid1(VALU_DEP_1)
	v_cmp_eq_u32_e64 s0, 0, v2
	v_cndmask_b32_e64 v2, v6, v3, s0
; %bb.1771:                             ;   in Loop: Header=BB442_1382 Depth=1
	s_or_b32 exec_lo, exec_lo, s12
	v_lshrrev_b32_e32 v6, 16, v132
	v_lshrrev_b32_e32 v7, 16, v39
	;; [unrolled: 1-line block ×8, first 2 shown]
	s_and_saveexec_b32 s12, vcc_lo
	s_cbranch_execz .LBB442_1773
; %bb.1772:                             ;   in Loop: Header=BB442_1382 Depth=1
	v_cmp_lt_i32_e64 s0, v84, v38
	s_delay_alu instid0(VALU_DEP_1) | instskip(SKIP_1) | instid1(VALU_DEP_1)
	v_cndmask_b32_e64 v4, 0, v4, s0
	v_cmp_lt_i32_e64 s0, v99, v38
	v_cndmask_b32_e64 v5, 0, v5, s0
	v_cmp_lt_i32_e64 s0, v98, v38
	s_delay_alu instid0(VALU_DEP_1) | instskip(SKIP_1) | instid1(VALU_DEP_1)
	v_cndmask_b32_e64 v21, 0, v21, s0
	v_cmp_lt_i32_e64 s0, v97, v38
	v_cndmask_b32_e64 v9, 0, v9, s0
	;; [unrolled: 5-line block ×4, first 2 shown]
.LBB442_1773:                           ;   in Loop: Header=BB442_1382 Depth=1
	s_or_b32 exec_lo, exec_lo, s12
	v_lshlrev_b32_e32 v4, 16, v4
                                        ; implicit-def: $vgpr132
	s_delay_alu instid0(VALU_DEP_1) | instskip(NEXT) | instid1(VALU_DEP_1)
	v_mul_f32_e32 v4, v100, v4
	v_and_b32_e32 v37, 0x7f800000, v4
	s_delay_alu instid0(VALU_DEP_1) | instskip(NEXT) | instid1(VALU_DEP_1)
	v_cmp_ne_u32_e64 s0, 0x7f800000, v37
	s_and_saveexec_b32 s12, s0
	s_delay_alu instid0(SALU_CYCLE_1)
	s_xor_b32 s0, exec_lo, s12
; %bb.1774:                             ;   in Loop: Header=BB442_1382 Depth=1
	v_bfe_u32 v37, v4, 16, 1
	s_delay_alu instid0(VALU_DEP_1)
	v_add3_u32 v132, v4, v37, 0x7fff
                                        ; implicit-def: $vgpr4
; %bb.1775:                             ;   in Loop: Header=BB442_1382 Depth=1
	s_and_not1_saveexec_b32 s12, s0
; %bb.1776:                             ;   in Loop: Header=BB442_1382 Depth=1
	v_and_b32_e32 v37, 0xffff, v4
	v_or_b32_e32 v39, 0x10000, v4
	s_delay_alu instid0(VALU_DEP_2) | instskip(NEXT) | instid1(VALU_DEP_1)
	v_cmp_eq_u32_e64 s0, 0, v37
	v_cndmask_b32_e64 v132, v39, v4, s0
; %bb.1777:                             ;   in Loop: Header=BB442_1382 Depth=1
	s_or_b32 exec_lo, exec_lo, s12
	v_lshlrev_b32_e32 v4, 16, v5
                                        ; implicit-def: $vgpr133
	s_delay_alu instid0(VALU_DEP_1) | instskip(NEXT) | instid1(VALU_DEP_1)
	v_mul_f32_e32 v4, v101, v4
	v_and_b32_e32 v5, 0x7f800000, v4
	s_delay_alu instid0(VALU_DEP_1) | instskip(NEXT) | instid1(VALU_DEP_1)
	v_cmp_ne_u32_e64 s0, 0x7f800000, v5
	s_and_saveexec_b32 s12, s0
	s_delay_alu instid0(SALU_CYCLE_1)
	s_xor_b32 s0, exec_lo, s12
; %bb.1778:                             ;   in Loop: Header=BB442_1382 Depth=1
	v_bfe_u32 v5, v4, 16, 1
	s_delay_alu instid0(VALU_DEP_1)
	v_add3_u32 v133, v4, v5, 0x7fff
                                        ; implicit-def: $vgpr4
; %bb.1779:                             ;   in Loop: Header=BB442_1382 Depth=1
	s_and_not1_saveexec_b32 s12, s0
; %bb.1780:                             ;   in Loop: Header=BB442_1382 Depth=1
	v_and_b32_e32 v5, 0xffff, v4
	v_or_b32_e32 v37, 0x10000, v4
	s_delay_alu instid0(VALU_DEP_2) | instskip(NEXT) | instid1(VALU_DEP_1)
	v_cmp_eq_u32_e64 s0, 0, v5
	v_cndmask_b32_e64 v133, v37, v4, s0
; %bb.1781:                             ;   in Loop: Header=BB442_1382 Depth=1
	s_or_b32 exec_lo, exec_lo, s12
	v_lshlrev_b32_e32 v4, 16, v21
                                        ; implicit-def: $vgpr134
	s_delay_alu instid0(VALU_DEP_1) | instskip(NEXT) | instid1(VALU_DEP_1)
	v_mul_f32_e32 v4, v102, v4
	v_and_b32_e32 v5, 0x7f800000, v4
	s_delay_alu instid0(VALU_DEP_1) | instskip(NEXT) | instid1(VALU_DEP_1)
	v_cmp_ne_u32_e64 s0, 0x7f800000, v5
	s_and_saveexec_b32 s12, s0
	s_delay_alu instid0(SALU_CYCLE_1)
	s_xor_b32 s0, exec_lo, s12
; %bb.1782:                             ;   in Loop: Header=BB442_1382 Depth=1
	v_bfe_u32 v5, v4, 16, 1
	s_delay_alu instid0(VALU_DEP_1)
	v_add3_u32 v134, v4, v5, 0x7fff
                                        ; implicit-def: $vgpr4
; %bb.1783:                             ;   in Loop: Header=BB442_1382 Depth=1
	s_and_not1_saveexec_b32 s12, s0
; %bb.1784:                             ;   in Loop: Header=BB442_1382 Depth=1
	v_and_b32_e32 v5, 0xffff, v4
	v_or_b32_e32 v21, 0x10000, v4
	s_delay_alu instid0(VALU_DEP_2) | instskip(NEXT) | instid1(VALU_DEP_1)
	v_cmp_eq_u32_e64 s0, 0, v5
	v_cndmask_b32_e64 v134, v21, v4, s0
; %bb.1785:                             ;   in Loop: Header=BB442_1382 Depth=1
	s_or_b32 exec_lo, exec_lo, s12
	v_lshlrev_b32_e32 v4, 16, v9
                                        ; implicit-def: $vgpr135
	s_delay_alu instid0(VALU_DEP_1) | instskip(NEXT) | instid1(VALU_DEP_1)
	v_mul_f32_e32 v4, v103, v4
	v_and_b32_e32 v5, 0x7f800000, v4
	s_delay_alu instid0(VALU_DEP_1) | instskip(NEXT) | instid1(VALU_DEP_1)
	v_cmp_ne_u32_e64 s0, 0x7f800000, v5
	s_and_saveexec_b32 s12, s0
	s_delay_alu instid0(SALU_CYCLE_1)
	s_xor_b32 s0, exec_lo, s12
; %bb.1786:                             ;   in Loop: Header=BB442_1382 Depth=1
	v_bfe_u32 v5, v4, 16, 1
	s_delay_alu instid0(VALU_DEP_1)
	v_add3_u32 v135, v4, v5, 0x7fff
                                        ; implicit-def: $vgpr4
; %bb.1787:                             ;   in Loop: Header=BB442_1382 Depth=1
	s_and_not1_saveexec_b32 s12, s0
; %bb.1788:                             ;   in Loop: Header=BB442_1382 Depth=1
	v_and_b32_e32 v5, 0xffff, v4
	v_or_b32_e32 v9, 0x10000, v4
	s_delay_alu instid0(VALU_DEP_2) | instskip(NEXT) | instid1(VALU_DEP_1)
	v_cmp_eq_u32_e64 s0, 0, v5
	v_cndmask_b32_e64 v135, v9, v4, s0
; %bb.1789:                             ;   in Loop: Header=BB442_1382 Depth=1
	s_or_b32 exec_lo, exec_lo, s12
	v_lshlrev_b32_e32 v4, 16, v7
                                        ; implicit-def: $vgpr144
	s_delay_alu instid0(VALU_DEP_1) | instskip(NEXT) | instid1(VALU_DEP_1)
	v_mul_f32_e32 v4, v112, v4
	v_and_b32_e32 v5, 0x7f800000, v4
	s_delay_alu instid0(VALU_DEP_1) | instskip(NEXT) | instid1(VALU_DEP_1)
	v_cmp_ne_u32_e64 s0, 0x7f800000, v5
	s_and_saveexec_b32 s12, s0
	s_delay_alu instid0(SALU_CYCLE_1)
	s_xor_b32 s0, exec_lo, s12
; %bb.1790:                             ;   in Loop: Header=BB442_1382 Depth=1
	v_bfe_u32 v5, v4, 16, 1
	s_delay_alu instid0(VALU_DEP_1)
	v_add3_u32 v144, v4, v5, 0x7fff
                                        ; implicit-def: $vgpr4
; %bb.1791:                             ;   in Loop: Header=BB442_1382 Depth=1
	s_and_not1_saveexec_b32 s12, s0
; %bb.1792:                             ;   in Loop: Header=BB442_1382 Depth=1
	v_and_b32_e32 v5, 0xffff, v4
	v_or_b32_e32 v7, 0x10000, v4
	s_delay_alu instid0(VALU_DEP_2) | instskip(NEXT) | instid1(VALU_DEP_1)
	v_cmp_eq_u32_e64 s0, 0, v5
	v_cndmask_b32_e64 v144, v7, v4, s0
; %bb.1793:                             ;   in Loop: Header=BB442_1382 Depth=1
	s_or_b32 exec_lo, exec_lo, s12
	v_lshlrev_b32_e32 v4, 16, v6
                                        ; implicit-def: $vgpr145
	s_delay_alu instid0(VALU_DEP_1) | instskip(NEXT) | instid1(VALU_DEP_1)
	v_mul_f32_e32 v4, v113, v4
	v_and_b32_e32 v5, 0x7f800000, v4
	s_delay_alu instid0(VALU_DEP_1) | instskip(NEXT) | instid1(VALU_DEP_1)
	v_cmp_ne_u32_e64 s0, 0x7f800000, v5
	s_and_saveexec_b32 s12, s0
	s_delay_alu instid0(SALU_CYCLE_1)
	s_xor_b32 s0, exec_lo, s12
; %bb.1794:                             ;   in Loop: Header=BB442_1382 Depth=1
	v_bfe_u32 v5, v4, 16, 1
	s_delay_alu instid0(VALU_DEP_1)
	v_add3_u32 v145, v4, v5, 0x7fff
                                        ; implicit-def: $vgpr4
; %bb.1795:                             ;   in Loop: Header=BB442_1382 Depth=1
	s_and_not1_saveexec_b32 s12, s0
; %bb.1796:                             ;   in Loop: Header=BB442_1382 Depth=1
	v_and_b32_e32 v5, 0xffff, v4
	v_or_b32_e32 v6, 0x10000, v4
	s_delay_alu instid0(VALU_DEP_2) | instskip(NEXT) | instid1(VALU_DEP_1)
	v_cmp_eq_u32_e64 s0, 0, v5
	v_cndmask_b32_e64 v145, v6, v4, s0
; %bb.1797:                             ;   in Loop: Header=BB442_1382 Depth=1
	s_or_b32 exec_lo, exec_lo, s12
	v_lshlrev_b32_e32 v3, 16, v3
                                        ; implicit-def: $vgpr146
	s_delay_alu instid0(VALU_DEP_1) | instskip(NEXT) | instid1(VALU_DEP_1)
	v_mul_f32_e32 v3, v114, v3
	v_and_b32_e32 v4, 0x7f800000, v3
	s_delay_alu instid0(VALU_DEP_1) | instskip(NEXT) | instid1(VALU_DEP_1)
	v_cmp_ne_u32_e64 s0, 0x7f800000, v4
	s_and_saveexec_b32 s12, s0
	s_delay_alu instid0(SALU_CYCLE_1)
	s_xor_b32 s0, exec_lo, s12
; %bb.1798:                             ;   in Loop: Header=BB442_1382 Depth=1
	v_bfe_u32 v4, v3, 16, 1
	s_delay_alu instid0(VALU_DEP_1)
	v_add3_u32 v146, v3, v4, 0x7fff
                                        ; implicit-def: $vgpr3
; %bb.1799:                             ;   in Loop: Header=BB442_1382 Depth=1
	s_and_not1_saveexec_b32 s12, s0
; %bb.1800:                             ;   in Loop: Header=BB442_1382 Depth=1
	v_and_b32_e32 v4, 0xffff, v3
	v_or_b32_e32 v5, 0x10000, v3
	s_delay_alu instid0(VALU_DEP_2) | instskip(NEXT) | instid1(VALU_DEP_1)
	v_cmp_eq_u32_e64 s0, 0, v4
	v_cndmask_b32_e64 v146, v5, v3, s0
; %bb.1801:                             ;   in Loop: Header=BB442_1382 Depth=1
	s_or_b32 exec_lo, exec_lo, s12
	v_lshlrev_b32_e32 v2, 16, v2
                                        ; implicit-def: $vgpr147
	s_delay_alu instid0(VALU_DEP_1) | instskip(NEXT) | instid1(VALU_DEP_1)
	v_mul_f32_e32 v2, v115, v2
	v_and_b32_e32 v3, 0x7f800000, v2
	s_delay_alu instid0(VALU_DEP_1) | instskip(NEXT) | instid1(VALU_DEP_1)
	v_cmp_ne_u32_e64 s0, 0x7f800000, v3
	s_and_saveexec_b32 s12, s0
	s_delay_alu instid0(SALU_CYCLE_1)
	s_xor_b32 s0, exec_lo, s12
; %bb.1802:                             ;   in Loop: Header=BB442_1382 Depth=1
	v_bfe_u32 v3, v2, 16, 1
	s_delay_alu instid0(VALU_DEP_1)
	v_add3_u32 v147, v2, v3, 0x7fff
                                        ; implicit-def: $vgpr2
; %bb.1803:                             ;   in Loop: Header=BB442_1382 Depth=1
	s_and_not1_saveexec_b32 s12, s0
; %bb.1804:                             ;   in Loop: Header=BB442_1382 Depth=1
	v_and_b32_e32 v3, 0xffff, v2
	v_or_b32_e32 v4, 0x10000, v2
	s_delay_alu instid0(VALU_DEP_2) | instskip(NEXT) | instid1(VALU_DEP_1)
	v_cmp_eq_u32_e64 s0, 0, v3
	v_cndmask_b32_e64 v147, v4, v2, s0
; %bb.1805:                             ;   in Loop: Header=BB442_1382 Depth=1
	s_or_b32 exec_lo, exec_lo, s12
	flat_load_b64 v[2:3], v[0:1] offset:768
	s_mov_b32 s12, exec_lo
	s_waitcnt vmcnt(0) lgkmcnt(0)
	v_dual_mov_b32 v4, 0 :: v_dual_and_b32 v5, 0xff, v2
	s_delay_alu instid0(VALU_DEP_1)
	v_cmpx_ne_u16_e32 0, v5
	s_cbranch_execz .LBB442_1813
; %bb.1806:                             ;   in Loop: Header=BB442_1382 Depth=1
	v_bfrev_b32_e32 v4, 1
	s_mov_b32 s13, exec_lo
	v_cmpx_ne_u16_e32 0x80, v5
	s_cbranch_execz .LBB442_1812
; %bb.1807:                             ;   in Loop: Header=BB442_1382 Depth=1
	v_and_b32_e32 v5, 0x7f, v2
	v_mov_b32_e32 v4, 0x7f800001
	s_mov_b32 s15, exec_lo
	s_delay_alu instid0(VALU_DEP_2)
	v_cmpx_ne_u32_e32 0x7f, v5
	s_cbranch_execz .LBB442_1811
; %bb.1808:                             ;   in Loop: Header=BB442_1382 Depth=1
	v_lshrrev_b32_e32 v4, 3, v5
	v_dual_mov_b32 v7, v3 :: v_dual_mov_b32 v6, v2
	s_mov_b32 s16, exec_lo
	v_cmpx_gt_u32_e32 8, v5
; %bb.1809:                             ;   in Loop: Header=BB442_1382 Depth=1
	v_and_b32_e32 v4, 7, v2
	s_delay_alu instid0(VALU_DEP_1) | instskip(NEXT) | instid1(VALU_DEP_1)
	v_clz_i32_u32_e32 v4, v4
	v_min_u32_e32 v4, 32, v4
	s_delay_alu instid0(VALU_DEP_1) | instskip(SKIP_1) | instid1(VALU_DEP_2)
	v_subrev_nc_u32_e32 v5, 28, v4
	v_sub_nc_u32_e32 v4, 29, v4
	v_lshlrev_b64 v[6:7], v5, v[2:3]
; %bb.1810:                             ;   in Loop: Header=BB442_1382 Depth=1
	s_or_b32 exec_lo, exec_lo, s16
	s_delay_alu instid0(VALU_DEP_1) | instskip(SKIP_2) | instid1(VALU_DEP_3)
	v_lshlrev_b32_e32 v5, 20, v6
	v_lshlrev_b32_e32 v6, 24, v2
	v_lshl_add_u32 v4, v4, 23, 0x3c000000
	v_and_b32_e32 v5, 0x700000, v5
	s_delay_alu instid0(VALU_DEP_3) | instskip(NEXT) | instid1(VALU_DEP_1)
	v_and_b32_e32 v6, 0x80000000, v6
	v_or3_b32 v4, v5, v6, v4
.LBB442_1811:                           ;   in Loop: Header=BB442_1382 Depth=1
	s_or_b32 exec_lo, exec_lo, s15
.LBB442_1812:                           ;   in Loop: Header=BB442_1382 Depth=1
	s_delay_alu instid0(SALU_CYCLE_1)
	s_or_b32 exec_lo, exec_lo, s13
.LBB442_1813:                           ;   in Loop: Header=BB442_1382 Depth=1
	s_delay_alu instid0(SALU_CYCLE_1) | instskip(NEXT) | instid1(VALU_DEP_1)
	s_or_b32 exec_lo, exec_lo, s12
	v_mul_f32_e32 v5, v8, v4
	s_delay_alu instid0(VALU_DEP_1) | instskip(NEXT) | instid1(VALU_DEP_1)
	v_and_b32_e32 v4, 0x7f800000, v5
	v_cmp_ne_u32_e64 s0, 0x7f800000, v4
                                        ; implicit-def: $vgpr4
	s_delay_alu instid0(VALU_DEP_1) | instskip(NEXT) | instid1(SALU_CYCLE_1)
	s_and_saveexec_b32 s12, s0
	s_xor_b32 s0, exec_lo, s12
; %bb.1814:                             ;   in Loop: Header=BB442_1382 Depth=1
	v_bfe_u32 v4, v5, 16, 1
	s_delay_alu instid0(VALU_DEP_1)
	v_add3_u32 v4, v5, v4, 0x7fff
                                        ; implicit-def: $vgpr5
; %bb.1815:                             ;   in Loop: Header=BB442_1382 Depth=1
	s_and_not1_saveexec_b32 s12, s0
; %bb.1816:                             ;   in Loop: Header=BB442_1382 Depth=1
	v_and_b32_e32 v4, 0xffff, v5
	v_or_b32_e32 v6, 0x10000, v5
	s_delay_alu instid0(VALU_DEP_2) | instskip(NEXT) | instid1(VALU_DEP_1)
	v_cmp_eq_u32_e64 s0, 0, v4
	v_cndmask_b32_e64 v4, v6, v5, s0
; %bb.1817:                             ;   in Loop: Header=BB442_1382 Depth=1
	s_or_b32 exec_lo, exec_lo, s12
	v_lshrrev_b16 v6, 8, v2
	v_mov_b32_e32 v5, 0
	s_mov_b32 s12, exec_lo
	s_delay_alu instid0(VALU_DEP_2)
	v_cmpx_ne_u16_e32 0, v6
	s_cbranch_execz .LBB442_1825
; %bb.1818:                             ;   in Loop: Header=BB442_1382 Depth=1
	v_bfrev_b32_e32 v5, 1
	s_mov_b32 s13, exec_lo
	v_cmpx_ne_u16_e32 0x80, v6
	s_cbranch_execz .LBB442_1824
; %bb.1819:                             ;   in Loop: Header=BB442_1382 Depth=1
	v_and_b32_e32 v7, 0xffff, v6
	v_mov_b32_e32 v5, 0x7f800001
	s_mov_b32 s15, exec_lo
	s_delay_alu instid0(VALU_DEP_2) | instskip(NEXT) | instid1(VALU_DEP_1)
	v_and_b32_e32 v6, 0x7f, v7
	v_cmpx_ne_u32_e32 0x7f, v6
	s_cbranch_execz .LBB442_1823
; %bb.1820:                             ;   in Loop: Header=BB442_1382 Depth=1
	v_and_b32_e32 v9, 7, v7
	v_lshrrev_b32_e32 v5, 3, v6
	v_cmp_gt_u32_e64 s0, 8, v6
	s_delay_alu instid0(VALU_DEP_3) | instskip(NEXT) | instid1(VALU_DEP_2)
	v_dual_mov_b32 v6, v9 :: v_dual_mov_b32 v7, v10
	s_and_saveexec_b32 s16, s0
; %bb.1821:                             ;   in Loop: Header=BB442_1382 Depth=1
	v_clz_i32_u32_e32 v5, v9
	s_delay_alu instid0(VALU_DEP_1) | instskip(NEXT) | instid1(VALU_DEP_1)
	v_min_u32_e32 v5, 32, v5
	v_subrev_nc_u32_e32 v6, 28, v5
	v_sub_nc_u32_e32 v5, 29, v5
	s_delay_alu instid0(VALU_DEP_2) | instskip(NEXT) | instid1(VALU_DEP_1)
	v_lshlrev_b64 v[6:7], v6, v[9:10]
	v_and_b32_e32 v6, 7, v6
; %bb.1822:                             ;   in Loop: Header=BB442_1382 Depth=1
	s_or_b32 exec_lo, exec_lo, s16
	v_lshlrev_b32_e32 v7, 16, v2
	s_delay_alu instid0(VALU_DEP_2) | instskip(SKIP_1) | instid1(VALU_DEP_3)
	v_lshlrev_b32_e32 v6, 20, v6
	v_lshl_add_u32 v5, v5, 23, 0x3c000000
	v_and_b32_e32 v7, 0x80000000, v7
	s_delay_alu instid0(VALU_DEP_1)
	v_or3_b32 v5, v6, v7, v5
.LBB442_1823:                           ;   in Loop: Header=BB442_1382 Depth=1
	s_or_b32 exec_lo, exec_lo, s15
.LBB442_1824:                           ;   in Loop: Header=BB442_1382 Depth=1
	s_delay_alu instid0(SALU_CYCLE_1)
	s_or_b32 exec_lo, exec_lo, s13
.LBB442_1825:                           ;   in Loop: Header=BB442_1382 Depth=1
	s_delay_alu instid0(SALU_CYCLE_1) | instskip(NEXT) | instid1(VALU_DEP_1)
	s_or_b32 exec_lo, exec_lo, s12
	v_mul_f32_e32 v6, v8, v5
	s_delay_alu instid0(VALU_DEP_1) | instskip(NEXT) | instid1(VALU_DEP_1)
	v_and_b32_e32 v5, 0x7f800000, v6
	v_cmp_ne_u32_e64 s0, 0x7f800000, v5
                                        ; implicit-def: $vgpr5
	s_delay_alu instid0(VALU_DEP_1) | instskip(NEXT) | instid1(SALU_CYCLE_1)
	s_and_saveexec_b32 s12, s0
	s_xor_b32 s0, exec_lo, s12
; %bb.1826:                             ;   in Loop: Header=BB442_1382 Depth=1
	v_bfe_u32 v5, v6, 16, 1
	s_delay_alu instid0(VALU_DEP_1)
	v_add3_u32 v5, v6, v5, 0x7fff
                                        ; implicit-def: $vgpr6
; %bb.1827:                             ;   in Loop: Header=BB442_1382 Depth=1
	s_and_not1_saveexec_b32 s12, s0
; %bb.1828:                             ;   in Loop: Header=BB442_1382 Depth=1
	v_and_b32_e32 v5, 0xffff, v6
	v_or_b32_e32 v7, 0x10000, v6
	s_delay_alu instid0(VALU_DEP_2) | instskip(NEXT) | instid1(VALU_DEP_1)
	v_cmp_eq_u32_e64 s0, 0, v5
	v_cndmask_b32_e64 v5, v7, v6, s0
; %bb.1829:                             ;   in Loop: Header=BB442_1382 Depth=1
	s_or_b32 exec_lo, exec_lo, s12
	v_lshrrev_b32_e32 v21, 16, v2
	s_mov_b32 s12, exec_lo
	s_delay_alu instid0(VALU_DEP_1) | instskip(NEXT) | instid1(VALU_DEP_1)
	v_dual_mov_b32 v6, 0 :: v_dual_and_b32 v7, 0xff, v21
	v_cmpx_ne_u16_e32 0, v7
	s_cbranch_execz .LBB442_1837
; %bb.1830:                             ;   in Loop: Header=BB442_1382 Depth=1
	v_bfrev_b32_e32 v6, 1
	s_mov_b32 s13, exec_lo
	v_cmpx_ne_u16_e32 0x80, v7
	s_cbranch_execz .LBB442_1836
; %bb.1831:                             ;   in Loop: Header=BB442_1382 Depth=1
	v_bfe_u32 v7, v2, 16, 7
	v_mov_b32_e32 v6, 0x7f800001
	s_mov_b32 s15, exec_lo
	s_delay_alu instid0(VALU_DEP_2)
	v_cmpx_ne_u32_e32 0x7f, v7
	s_cbranch_execz .LBB442_1835
; %bb.1832:                             ;   in Loop: Header=BB442_1382 Depth=1
	v_and_b32_e32 v9, 7, v21
	v_lshrrev_b32_e32 v37, 3, v7
	v_cmp_gt_u32_e64 s0, 8, v7
	s_delay_alu instid0(VALU_DEP_3) | instskip(NEXT) | instid1(VALU_DEP_2)
	v_dual_mov_b32 v6, v9 :: v_dual_mov_b32 v7, v10
	s_and_saveexec_b32 s16, s0
; %bb.1833:                             ;   in Loop: Header=BB442_1382 Depth=1
	v_clz_i32_u32_e32 v6, v9
	s_delay_alu instid0(VALU_DEP_1) | instskip(NEXT) | instid1(VALU_DEP_1)
	v_min_u32_e32 v37, 32, v6
	v_subrev_nc_u32_e32 v6, 28, v37
	v_sub_nc_u32_e32 v37, 29, v37
	s_delay_alu instid0(VALU_DEP_2) | instskip(NEXT) | instid1(VALU_DEP_1)
	v_lshlrev_b64 v[6:7], v6, v[9:10]
	v_and_b32_e32 v6, 7, v6
; %bb.1834:                             ;   in Loop: Header=BB442_1382 Depth=1
	s_or_b32 exec_lo, exec_lo, s16
	v_lshlrev_b32_e32 v7, 24, v21
	s_delay_alu instid0(VALU_DEP_2) | instskip(SKIP_1) | instid1(VALU_DEP_3)
	v_lshlrev_b32_e32 v6, 20, v6
	v_lshl_add_u32 v9, v37, 23, 0x3c000000
	v_and_b32_e32 v7, 0x80000000, v7
	s_delay_alu instid0(VALU_DEP_1)
	v_or3_b32 v6, v6, v7, v9
.LBB442_1835:                           ;   in Loop: Header=BB442_1382 Depth=1
	s_or_b32 exec_lo, exec_lo, s15
.LBB442_1836:                           ;   in Loop: Header=BB442_1382 Depth=1
	s_delay_alu instid0(SALU_CYCLE_1)
	s_or_b32 exec_lo, exec_lo, s13
.LBB442_1837:                           ;   in Loop: Header=BB442_1382 Depth=1
	s_delay_alu instid0(SALU_CYCLE_1) | instskip(NEXT) | instid1(VALU_DEP_1)
	s_or_b32 exec_lo, exec_lo, s12
	v_mul_f32_e32 v6, v8, v6
                                        ; implicit-def: $vgpr21
	s_delay_alu instid0(VALU_DEP_1) | instskip(NEXT) | instid1(VALU_DEP_1)
	v_and_b32_e32 v7, 0x7f800000, v6
	v_cmp_ne_u32_e64 s0, 0x7f800000, v7
	s_delay_alu instid0(VALU_DEP_1) | instskip(NEXT) | instid1(SALU_CYCLE_1)
	s_and_saveexec_b32 s12, s0
	s_xor_b32 s0, exec_lo, s12
; %bb.1838:                             ;   in Loop: Header=BB442_1382 Depth=1
	v_bfe_u32 v7, v6, 16, 1
	s_delay_alu instid0(VALU_DEP_1)
	v_add3_u32 v21, v6, v7, 0x7fff
                                        ; implicit-def: $vgpr6
; %bb.1839:                             ;   in Loop: Header=BB442_1382 Depth=1
	s_and_not1_saveexec_b32 s12, s0
; %bb.1840:                             ;   in Loop: Header=BB442_1382 Depth=1
	v_and_b32_e32 v7, 0xffff, v6
	v_or_b32_e32 v9, 0x10000, v6
	s_delay_alu instid0(VALU_DEP_2) | instskip(NEXT) | instid1(VALU_DEP_1)
	v_cmp_eq_u32_e64 s0, 0, v7
	v_cndmask_b32_e64 v21, v9, v6, s0
; %bb.1841:                             ;   in Loop: Header=BB442_1382 Depth=1
	s_or_b32 exec_lo, exec_lo, s12
	v_mov_b32_e32 v6, 0
	s_mov_b32 s12, exec_lo
	v_cmpx_lt_u32_e32 0xffffff, v2
	s_cbranch_execz .LBB442_1849
; %bb.1842:                             ;   in Loop: Header=BB442_1382 Depth=1
	v_lshrrev_b32_e32 v37, 24, v2
	v_bfrev_b32_e32 v6, 1
	s_mov_b32 s13, exec_lo
	s_delay_alu instid0(VALU_DEP_2)
	v_cmpx_ne_u32_e32 0x80, v37
	s_cbranch_execz .LBB442_1848
; %bb.1843:                             ;   in Loop: Header=BB442_1382 Depth=1
	v_bfe_u32 v7, v2, 24, 7
	v_mov_b32_e32 v6, 0x7f800001
	s_mov_b32 s15, exec_lo
	s_delay_alu instid0(VALU_DEP_2)
	v_cmpx_ne_u32_e32 0x7f, v7
	s_cbranch_execz .LBB442_1847
; %bb.1844:                             ;   in Loop: Header=BB442_1382 Depth=1
	v_and_b32_e32 v9, 7, v37
	v_lshrrev_b32_e32 v39, 3, v7
	v_cmp_gt_u32_e64 s0, 8, v7
	s_delay_alu instid0(VALU_DEP_3) | instskip(NEXT) | instid1(VALU_DEP_2)
	v_dual_mov_b32 v6, v9 :: v_dual_mov_b32 v7, v10
	s_and_saveexec_b32 s16, s0
; %bb.1845:                             ;   in Loop: Header=BB442_1382 Depth=1
	v_clz_i32_u32_e32 v6, v9
	s_delay_alu instid0(VALU_DEP_1) | instskip(NEXT) | instid1(VALU_DEP_1)
	v_min_u32_e32 v39, 32, v6
	v_subrev_nc_u32_e32 v6, 28, v39
	v_sub_nc_u32_e32 v39, 29, v39
	s_delay_alu instid0(VALU_DEP_2) | instskip(NEXT) | instid1(VALU_DEP_1)
	v_lshlrev_b64 v[6:7], v6, v[9:10]
	v_and_b32_e32 v6, 7, v6
; %bb.1846:                             ;   in Loop: Header=BB442_1382 Depth=1
	s_or_b32 exec_lo, exec_lo, s16
	v_lshlrev_b32_e32 v7, 24, v37
	s_delay_alu instid0(VALU_DEP_2) | instskip(SKIP_1) | instid1(VALU_DEP_3)
	v_lshlrev_b32_e32 v6, 20, v6
	v_lshl_add_u32 v9, v39, 23, 0x3c000000
	v_and_b32_e32 v7, 0x80000000, v7
	s_delay_alu instid0(VALU_DEP_1)
	v_or3_b32 v6, v6, v7, v9
.LBB442_1847:                           ;   in Loop: Header=BB442_1382 Depth=1
	s_or_b32 exec_lo, exec_lo, s15
.LBB442_1848:                           ;   in Loop: Header=BB442_1382 Depth=1
	s_delay_alu instid0(SALU_CYCLE_1)
	s_or_b32 exec_lo, exec_lo, s13
.LBB442_1849:                           ;   in Loop: Header=BB442_1382 Depth=1
	s_delay_alu instid0(SALU_CYCLE_1) | instskip(NEXT) | instid1(VALU_DEP_1)
	s_or_b32 exec_lo, exec_lo, s12
	v_mul_f32_e32 v6, v8, v6
                                        ; implicit-def: $vgpr37
	s_delay_alu instid0(VALU_DEP_1) | instskip(NEXT) | instid1(VALU_DEP_1)
	v_and_b32_e32 v7, 0x7f800000, v6
	v_cmp_ne_u32_e64 s0, 0x7f800000, v7
	s_delay_alu instid0(VALU_DEP_1) | instskip(NEXT) | instid1(SALU_CYCLE_1)
	s_and_saveexec_b32 s12, s0
	s_xor_b32 s0, exec_lo, s12
; %bb.1850:                             ;   in Loop: Header=BB442_1382 Depth=1
	v_bfe_u32 v7, v6, 16, 1
	s_delay_alu instid0(VALU_DEP_1)
	v_add3_u32 v37, v6, v7, 0x7fff
                                        ; implicit-def: $vgpr6
; %bb.1851:                             ;   in Loop: Header=BB442_1382 Depth=1
	s_and_not1_saveexec_b32 s12, s0
; %bb.1852:                             ;   in Loop: Header=BB442_1382 Depth=1
	v_and_b32_e32 v7, 0xffff, v6
	v_or_b32_e32 v9, 0x10000, v6
	s_delay_alu instid0(VALU_DEP_2) | instskip(NEXT) | instid1(VALU_DEP_1)
	v_cmp_eq_u32_e64 s0, 0, v7
	v_cndmask_b32_e64 v37, v9, v6, s0
; %bb.1853:                             ;   in Loop: Header=BB442_1382 Depth=1
	s_or_b32 exec_lo, exec_lo, s12
	v_dual_mov_b32 v6, 0 :: v_dual_and_b32 v7, 0xff, v3
	v_mov_b32_e32 v9, v3
	s_mov_b32 s12, exec_lo
	s_delay_alu instid0(VALU_DEP_2)
	v_cmpx_ne_u16_e32 0, v7
	s_cbranch_execz .LBB442_1861
; %bb.1854:                             ;   in Loop: Header=BB442_1382 Depth=1
	v_bfrev_b32_e32 v6, 1
	s_mov_b32 s13, exec_lo
	v_cmpx_ne_u16_e32 0x80, v7
	s_cbranch_execz .LBB442_1860
; %bb.1855:                             ;   in Loop: Header=BB442_1382 Depth=1
	v_and_b32_e32 v7, 0x7f, v3
	v_mov_b32_e32 v6, 0x7f800001
	s_mov_b32 s15, exec_lo
	s_delay_alu instid0(VALU_DEP_2)
	v_cmpx_ne_u32_e32 0x7f, v7
	s_cbranch_execz .LBB442_1859
; %bb.1856:                             ;   in Loop: Header=BB442_1382 Depth=1
	v_lshrrev_b32_e32 v39, 3, v7
	v_cmp_gt_u32_e64 s0, 8, v7
	v_dual_mov_b32 v6, v9 :: v_dual_mov_b32 v7, v10
	s_delay_alu instid0(VALU_DEP_2)
	s_and_saveexec_b32 s16, s0
; %bb.1857:                             ;   in Loop: Header=BB442_1382 Depth=1
	v_and_b32_e32 v6, 7, v3
	s_delay_alu instid0(VALU_DEP_1) | instskip(NEXT) | instid1(VALU_DEP_1)
	v_clz_i32_u32_e32 v6, v6
	v_min_u32_e32 v39, 32, v6
	s_delay_alu instid0(VALU_DEP_1) | instskip(SKIP_1) | instid1(VALU_DEP_2)
	v_subrev_nc_u32_e32 v6, 28, v39
	v_sub_nc_u32_e32 v39, 29, v39
	v_lshlrev_b64 v[6:7], v6, v[9:10]
; %bb.1858:                             ;   in Loop: Header=BB442_1382 Depth=1
	s_or_b32 exec_lo, exec_lo, s16
	s_delay_alu instid0(VALU_DEP_1) | instskip(SKIP_2) | instid1(VALU_DEP_3)
	v_lshlrev_b32_e32 v6, 20, v6
	v_lshlrev_b32_e32 v7, 24, v9
	v_lshl_add_u32 v39, v39, 23, 0x3c000000
	v_and_b32_e32 v6, 0x700000, v6
	s_delay_alu instid0(VALU_DEP_3) | instskip(NEXT) | instid1(VALU_DEP_1)
	v_and_b32_e32 v7, 0x80000000, v7
	v_or3_b32 v6, v6, v7, v39
.LBB442_1859:                           ;   in Loop: Header=BB442_1382 Depth=1
	s_or_b32 exec_lo, exec_lo, s15
.LBB442_1860:                           ;   in Loop: Header=BB442_1382 Depth=1
	s_delay_alu instid0(SALU_CYCLE_1)
	s_or_b32 exec_lo, exec_lo, s13
.LBB442_1861:                           ;   in Loop: Header=BB442_1382 Depth=1
	s_delay_alu instid0(SALU_CYCLE_1) | instskip(NEXT) | instid1(VALU_DEP_1)
	s_or_b32 exec_lo, exec_lo, s12
	v_mul_f32_e32 v6, v8, v6
                                        ; implicit-def: $vgpr39
	s_delay_alu instid0(VALU_DEP_1) | instskip(NEXT) | instid1(VALU_DEP_1)
	v_and_b32_e32 v7, 0x7f800000, v6
	v_cmp_ne_u32_e64 s0, 0x7f800000, v7
	s_delay_alu instid0(VALU_DEP_1) | instskip(NEXT) | instid1(SALU_CYCLE_1)
	s_and_saveexec_b32 s12, s0
	s_xor_b32 s0, exec_lo, s12
; %bb.1862:                             ;   in Loop: Header=BB442_1382 Depth=1
	v_bfe_u32 v7, v6, 16, 1
	s_delay_alu instid0(VALU_DEP_1)
	v_add3_u32 v39, v6, v7, 0x7fff
                                        ; implicit-def: $vgpr6
; %bb.1863:                             ;   in Loop: Header=BB442_1382 Depth=1
	s_and_not1_saveexec_b32 s12, s0
; %bb.1864:                             ;   in Loop: Header=BB442_1382 Depth=1
	v_and_b32_e32 v7, 0xffff, v6
	v_or_b32_e32 v39, 0x10000, v6
	s_delay_alu instid0(VALU_DEP_2) | instskip(NEXT) | instid1(VALU_DEP_1)
	v_cmp_eq_u32_e64 s0, 0, v7
	v_cndmask_b32_e64 v39, v39, v6, s0
; %bb.1865:                             ;   in Loop: Header=BB442_1382 Depth=1
	s_or_b32 exec_lo, exec_lo, s12
	v_lshrrev_b16 v7, 8, v9
	v_mov_b32_e32 v6, 0
	s_mov_b32 s12, exec_lo
	s_delay_alu instid0(VALU_DEP_2)
	v_cmpx_ne_u16_e32 0, v7
	s_cbranch_execz .LBB442_1873
; %bb.1866:                             ;   in Loop: Header=BB442_1382 Depth=1
	v_bfrev_b32_e32 v6, 1
	s_mov_b32 s13, exec_lo
	v_cmpx_ne_u16_e32 0x80, v7
	s_cbranch_execz .LBB442_1872
; %bb.1867:                             ;   in Loop: Header=BB442_1382 Depth=1
	v_and_b32_e32 v7, 0xffff, v7
	v_mov_b32_e32 v6, 0x7f800001
	s_mov_b32 s15, exec_lo
	s_delay_alu instid0(VALU_DEP_2) | instskip(NEXT) | instid1(VALU_DEP_1)
	v_and_b32_e32 v149, 0x7f, v7
	v_cmpx_ne_u32_e32 0x7f, v149
	s_cbranch_execz .LBB442_1871
; %bb.1868:                             ;   in Loop: Header=BB442_1382 Depth=1
	v_dual_mov_b32 v7, v10 :: v_dual_and_b32 v6, 7, v7
	v_lshrrev_b32_e32 v148, 3, v149
	s_mov_b32 s16, exec_lo
	v_cmpx_gt_u32_e32 8, v149
; %bb.1869:                             ;   in Loop: Header=BB442_1382 Depth=1
	s_delay_alu instid0(VALU_DEP_3) | instskip(NEXT) | instid1(VALU_DEP_1)
	v_clz_i32_u32_e32 v148, v6
	v_min_u32_e32 v148, 32, v148
	s_delay_alu instid0(VALU_DEP_1) | instskip(SKIP_1) | instid1(VALU_DEP_2)
	v_subrev_nc_u32_e32 v149, 28, v148
	v_sub_nc_u32_e32 v148, 29, v148
	v_lshlrev_b64 v[6:7], v149, v[6:7]
	s_delay_alu instid0(VALU_DEP_1)
	v_and_b32_e32 v6, 7, v6
; %bb.1870:                             ;   in Loop: Header=BB442_1382 Depth=1
	s_or_b32 exec_lo, exec_lo, s16
	v_lshlrev_b32_e32 v7, 16, v9
	s_delay_alu instid0(VALU_DEP_2) | instskip(SKIP_1) | instid1(VALU_DEP_3)
	v_lshlrev_b32_e32 v6, 20, v6
	v_lshl_add_u32 v9, v148, 23, 0x3c000000
	v_and_b32_e32 v7, 0x80000000, v7
	s_delay_alu instid0(VALU_DEP_1)
	v_or3_b32 v6, v6, v7, v9
.LBB442_1871:                           ;   in Loop: Header=BB442_1382 Depth=1
	s_or_b32 exec_lo, exec_lo, s15
.LBB442_1872:                           ;   in Loop: Header=BB442_1382 Depth=1
	s_delay_alu instid0(SALU_CYCLE_1)
	s_or_b32 exec_lo, exec_lo, s13
.LBB442_1873:                           ;   in Loop: Header=BB442_1382 Depth=1
	s_delay_alu instid0(SALU_CYCLE_1) | instskip(NEXT) | instid1(VALU_DEP_1)
	s_or_b32 exec_lo, exec_lo, s12
	v_mul_f32_e32 v6, v8, v6
                                        ; implicit-def: $vgpr148
	s_delay_alu instid0(VALU_DEP_1) | instskip(NEXT) | instid1(VALU_DEP_1)
	v_and_b32_e32 v7, 0x7f800000, v6
	v_cmp_ne_u32_e64 s0, 0x7f800000, v7
	s_delay_alu instid0(VALU_DEP_1) | instskip(NEXT) | instid1(SALU_CYCLE_1)
	s_and_saveexec_b32 s12, s0
	s_xor_b32 s0, exec_lo, s12
; %bb.1874:                             ;   in Loop: Header=BB442_1382 Depth=1
	v_bfe_u32 v7, v6, 16, 1
	s_delay_alu instid0(VALU_DEP_1)
	v_add3_u32 v148, v6, v7, 0x7fff
                                        ; implicit-def: $vgpr6
; %bb.1875:                             ;   in Loop: Header=BB442_1382 Depth=1
	s_and_not1_saveexec_b32 s12, s0
; %bb.1876:                             ;   in Loop: Header=BB442_1382 Depth=1
	v_and_b32_e32 v7, 0xffff, v6
	v_or_b32_e32 v9, 0x10000, v6
	s_delay_alu instid0(VALU_DEP_2) | instskip(NEXT) | instid1(VALU_DEP_1)
	v_cmp_eq_u32_e64 s0, 0, v7
	v_cndmask_b32_e64 v148, v9, v6, s0
; %bb.1877:                             ;   in Loop: Header=BB442_1382 Depth=1
	s_or_b32 exec_lo, exec_lo, s12
	v_lshrrev_b32_e32 v149, 16, v3
	s_mov_b32 s12, exec_lo
	s_delay_alu instid0(VALU_DEP_1) | instskip(NEXT) | instid1(VALU_DEP_1)
	v_dual_mov_b32 v6, 0 :: v_dual_and_b32 v7, 0xff, v149
	v_cmpx_ne_u16_e32 0, v7
	s_cbranch_execz .LBB442_1885
; %bb.1878:                             ;   in Loop: Header=BB442_1382 Depth=1
	v_bfrev_b32_e32 v6, 1
	s_mov_b32 s13, exec_lo
	v_cmpx_ne_u16_e32 0x80, v7
	s_cbranch_execz .LBB442_1884
; %bb.1879:                             ;   in Loop: Header=BB442_1382 Depth=1
	v_bfe_u32 v7, v3, 16, 7
	v_mov_b32_e32 v6, 0x7f800001
	s_mov_b32 s15, exec_lo
	s_delay_alu instid0(VALU_DEP_2)
	v_cmpx_ne_u32_e32 0x7f, v7
	s_cbranch_execz .LBB442_1883
; %bb.1880:                             ;   in Loop: Header=BB442_1382 Depth=1
	v_and_b32_e32 v9, 7, v149
	v_lshrrev_b32_e32 v150, 3, v7
	v_cmp_gt_u32_e64 s0, 8, v7
	s_delay_alu instid0(VALU_DEP_3) | instskip(NEXT) | instid1(VALU_DEP_2)
	v_dual_mov_b32 v6, v9 :: v_dual_mov_b32 v7, v10
	s_and_saveexec_b32 s16, s0
; %bb.1881:                             ;   in Loop: Header=BB442_1382 Depth=1
	v_clz_i32_u32_e32 v6, v9
	s_delay_alu instid0(VALU_DEP_1) | instskip(NEXT) | instid1(VALU_DEP_1)
	v_min_u32_e32 v150, 32, v6
	v_subrev_nc_u32_e32 v6, 28, v150
	v_sub_nc_u32_e32 v150, 29, v150
	s_delay_alu instid0(VALU_DEP_2) | instskip(NEXT) | instid1(VALU_DEP_1)
	v_lshlrev_b64 v[6:7], v6, v[9:10]
	v_and_b32_e32 v6, 7, v6
; %bb.1882:                             ;   in Loop: Header=BB442_1382 Depth=1
	s_or_b32 exec_lo, exec_lo, s16
	v_lshlrev_b32_e32 v7, 24, v149
	s_delay_alu instid0(VALU_DEP_2) | instskip(SKIP_1) | instid1(VALU_DEP_3)
	v_lshlrev_b32_e32 v6, 20, v6
	v_lshl_add_u32 v9, v150, 23, 0x3c000000
	v_and_b32_e32 v7, 0x80000000, v7
	s_delay_alu instid0(VALU_DEP_1)
	v_or3_b32 v6, v6, v7, v9
.LBB442_1883:                           ;   in Loop: Header=BB442_1382 Depth=1
	s_or_b32 exec_lo, exec_lo, s15
.LBB442_1884:                           ;   in Loop: Header=BB442_1382 Depth=1
	s_delay_alu instid0(SALU_CYCLE_1)
	s_or_b32 exec_lo, exec_lo, s13
.LBB442_1885:                           ;   in Loop: Header=BB442_1382 Depth=1
	s_delay_alu instid0(SALU_CYCLE_1) | instskip(NEXT) | instid1(VALU_DEP_1)
	s_or_b32 exec_lo, exec_lo, s12
	v_mul_f32_e32 v6, v8, v6
                                        ; implicit-def: $vgpr149
	s_delay_alu instid0(VALU_DEP_1) | instskip(NEXT) | instid1(VALU_DEP_1)
	v_and_b32_e32 v7, 0x7f800000, v6
	v_cmp_ne_u32_e64 s0, 0x7f800000, v7
	s_delay_alu instid0(VALU_DEP_1) | instskip(NEXT) | instid1(SALU_CYCLE_1)
	s_and_saveexec_b32 s12, s0
	s_xor_b32 s0, exec_lo, s12
; %bb.1886:                             ;   in Loop: Header=BB442_1382 Depth=1
	v_bfe_u32 v7, v6, 16, 1
	s_delay_alu instid0(VALU_DEP_1)
	v_add3_u32 v149, v6, v7, 0x7fff
                                        ; implicit-def: $vgpr6
; %bb.1887:                             ;   in Loop: Header=BB442_1382 Depth=1
	s_and_not1_saveexec_b32 s12, s0
; %bb.1888:                             ;   in Loop: Header=BB442_1382 Depth=1
	v_and_b32_e32 v7, 0xffff, v6
	v_or_b32_e32 v9, 0x10000, v6
	s_delay_alu instid0(VALU_DEP_2) | instskip(NEXT) | instid1(VALU_DEP_1)
	v_cmp_eq_u32_e64 s0, 0, v7
	v_cndmask_b32_e64 v149, v9, v6, s0
; %bb.1889:                             ;   in Loop: Header=BB442_1382 Depth=1
	s_or_b32 exec_lo, exec_lo, s12
	v_cmp_lt_u64_e64 s0, s[8:9], v[2:3]
	v_mov_b32_e32 v2, 0
	s_delay_alu instid0(VALU_DEP_2)
	s_and_saveexec_b32 s12, s0
	s_cbranch_execz .LBB442_1897
; %bb.1890:                             ;   in Loop: Header=BB442_1382 Depth=1
	v_lshrrev_b32_e32 v6, 24, v3
	v_bfrev_b32_e32 v2, 1
	s_mov_b32 s13, exec_lo
	s_delay_alu instid0(VALU_DEP_2)
	v_cmpx_ne_u32_e32 0x80, v6
	s_cbranch_execz .LBB442_1896
; %bb.1891:                             ;   in Loop: Header=BB442_1382 Depth=1
	v_bfe_u32 v3, v3, 24, 7
	v_mov_b32_e32 v2, 0x7f800001
	s_mov_b32 s15, exec_lo
	s_delay_alu instid0(VALU_DEP_2)
	v_cmpx_ne_u32_e32 0x7f, v3
	s_cbranch_execz .LBB442_1895
; %bb.1892:                             ;   in Loop: Header=BB442_1382 Depth=1
	v_and_b32_e32 v9, 7, v6
	v_lshrrev_b32_e32 v7, 3, v3
	v_cmp_gt_u32_e64 s0, 8, v3
	s_delay_alu instid0(VALU_DEP_3) | instskip(NEXT) | instid1(VALU_DEP_2)
	v_dual_mov_b32 v2, v9 :: v_dual_mov_b32 v3, v10
	s_and_saveexec_b32 s16, s0
; %bb.1893:                             ;   in Loop: Header=BB442_1382 Depth=1
	v_clz_i32_u32_e32 v2, v9
	s_delay_alu instid0(VALU_DEP_1) | instskip(NEXT) | instid1(VALU_DEP_1)
	v_min_u32_e32 v7, 32, v2
	v_subrev_nc_u32_e32 v2, 28, v7
	v_sub_nc_u32_e32 v7, 29, v7
	s_delay_alu instid0(VALU_DEP_2) | instskip(NEXT) | instid1(VALU_DEP_1)
	v_lshlrev_b64 v[2:3], v2, v[9:10]
	v_and_b32_e32 v2, 7, v2
; %bb.1894:                             ;   in Loop: Header=BB442_1382 Depth=1
	s_or_b32 exec_lo, exec_lo, s16
	v_lshlrev_b32_e32 v3, 24, v6
	s_delay_alu instid0(VALU_DEP_2) | instskip(SKIP_1) | instid1(VALU_DEP_3)
	v_lshlrev_b32_e32 v2, 20, v2
	v_lshl_add_u32 v6, v7, 23, 0x3c000000
	v_and_b32_e32 v3, 0x80000000, v3
	s_delay_alu instid0(VALU_DEP_1)
	v_or3_b32 v2, v2, v3, v6
.LBB442_1895:                           ;   in Loop: Header=BB442_1382 Depth=1
	s_or_b32 exec_lo, exec_lo, s15
.LBB442_1896:                           ;   in Loop: Header=BB442_1382 Depth=1
	s_delay_alu instid0(SALU_CYCLE_1)
	s_or_b32 exec_lo, exec_lo, s13
.LBB442_1897:                           ;   in Loop: Header=BB442_1382 Depth=1
	s_delay_alu instid0(SALU_CYCLE_1) | instskip(NEXT) | instid1(VALU_DEP_1)
	s_or_b32 exec_lo, exec_lo, s12
	v_mul_f32_e32 v3, v8, v2
	s_delay_alu instid0(VALU_DEP_1) | instskip(NEXT) | instid1(VALU_DEP_1)
	v_and_b32_e32 v2, 0x7f800000, v3
	v_cmp_ne_u32_e64 s0, 0x7f800000, v2
                                        ; implicit-def: $vgpr2
	s_delay_alu instid0(VALU_DEP_1) | instskip(NEXT) | instid1(SALU_CYCLE_1)
	s_and_saveexec_b32 s12, s0
	s_xor_b32 s0, exec_lo, s12
; %bb.1898:                             ;   in Loop: Header=BB442_1382 Depth=1
	v_bfe_u32 v2, v3, 16, 1
	s_delay_alu instid0(VALU_DEP_1)
	v_add3_u32 v2, v3, v2, 0x7fff
                                        ; implicit-def: $vgpr3
; %bb.1899:                             ;   in Loop: Header=BB442_1382 Depth=1
	s_and_not1_saveexec_b32 s12, s0
; %bb.1900:                             ;   in Loop: Header=BB442_1382 Depth=1
	v_and_b32_e32 v2, 0xffff, v3
	v_or_b32_e32 v6, 0x10000, v3
	s_delay_alu instid0(VALU_DEP_2) | instskip(NEXT) | instid1(VALU_DEP_1)
	v_cmp_eq_u32_e64 s0, 0, v2
	v_cndmask_b32_e64 v2, v6, v3, s0
; %bb.1901:                             ;   in Loop: Header=BB442_1382 Depth=1
	s_or_b32 exec_lo, exec_lo, s12
	v_lshrrev_b32_e32 v6, 16, v148
	v_lshrrev_b32_e32 v7, 16, v39
	;; [unrolled: 1-line block ×8, first 2 shown]
	s_and_saveexec_b32 s12, vcc_lo
	s_cbranch_execz .LBB442_1903
; %bb.1902:                             ;   in Loop: Header=BB442_1382 Depth=1
	v_cmp_lt_i32_e64 s0, v84, v38
	s_delay_alu instid0(VALU_DEP_1) | instskip(SKIP_1) | instid1(VALU_DEP_1)
	v_cndmask_b32_e64 v4, 0, v4, s0
	v_cmp_lt_i32_e64 s0, v99, v38
	v_cndmask_b32_e64 v5, 0, v5, s0
	v_cmp_lt_i32_e64 s0, v98, v38
	s_delay_alu instid0(VALU_DEP_1) | instskip(SKIP_1) | instid1(VALU_DEP_1)
	v_cndmask_b32_e64 v21, 0, v21, s0
	v_cmp_lt_i32_e64 s0, v97, v38
	v_cndmask_b32_e64 v9, 0, v9, s0
	;; [unrolled: 5-line block ×4, first 2 shown]
.LBB442_1903:                           ;   in Loop: Header=BB442_1382 Depth=1
	s_or_b32 exec_lo, exec_lo, s12
	v_lshlrev_b32_e32 v4, 16, v4
                                        ; implicit-def: $vgpr148
	s_delay_alu instid0(VALU_DEP_1) | instskip(NEXT) | instid1(VALU_DEP_1)
	v_mul_f32_e32 v4, v100, v4
	v_and_b32_e32 v37, 0x7f800000, v4
	s_delay_alu instid0(VALU_DEP_1) | instskip(NEXT) | instid1(VALU_DEP_1)
	v_cmp_ne_u32_e64 s0, 0x7f800000, v37
	s_and_saveexec_b32 s12, s0
	s_delay_alu instid0(SALU_CYCLE_1)
	s_xor_b32 s0, exec_lo, s12
; %bb.1904:                             ;   in Loop: Header=BB442_1382 Depth=1
	v_bfe_u32 v37, v4, 16, 1
	s_delay_alu instid0(VALU_DEP_1)
	v_add3_u32 v148, v4, v37, 0x7fff
                                        ; implicit-def: $vgpr4
; %bb.1905:                             ;   in Loop: Header=BB442_1382 Depth=1
	s_and_not1_saveexec_b32 s12, s0
; %bb.1906:                             ;   in Loop: Header=BB442_1382 Depth=1
	v_and_b32_e32 v37, 0xffff, v4
	v_or_b32_e32 v39, 0x10000, v4
	s_delay_alu instid0(VALU_DEP_2) | instskip(NEXT) | instid1(VALU_DEP_1)
	v_cmp_eq_u32_e64 s0, 0, v37
	v_cndmask_b32_e64 v148, v39, v4, s0
; %bb.1907:                             ;   in Loop: Header=BB442_1382 Depth=1
	s_or_b32 exec_lo, exec_lo, s12
	v_lshlrev_b32_e32 v4, 16, v5
                                        ; implicit-def: $vgpr149
	s_delay_alu instid0(VALU_DEP_1) | instskip(NEXT) | instid1(VALU_DEP_1)
	v_mul_f32_e32 v4, v101, v4
	v_and_b32_e32 v5, 0x7f800000, v4
	s_delay_alu instid0(VALU_DEP_1) | instskip(NEXT) | instid1(VALU_DEP_1)
	v_cmp_ne_u32_e64 s0, 0x7f800000, v5
	s_and_saveexec_b32 s12, s0
	s_delay_alu instid0(SALU_CYCLE_1)
	s_xor_b32 s0, exec_lo, s12
; %bb.1908:                             ;   in Loop: Header=BB442_1382 Depth=1
	v_bfe_u32 v5, v4, 16, 1
	s_delay_alu instid0(VALU_DEP_1)
	v_add3_u32 v149, v4, v5, 0x7fff
                                        ; implicit-def: $vgpr4
; %bb.1909:                             ;   in Loop: Header=BB442_1382 Depth=1
	s_and_not1_saveexec_b32 s12, s0
; %bb.1910:                             ;   in Loop: Header=BB442_1382 Depth=1
	v_and_b32_e32 v5, 0xffff, v4
	v_or_b32_e32 v37, 0x10000, v4
	s_delay_alu instid0(VALU_DEP_2) | instskip(NEXT) | instid1(VALU_DEP_1)
	v_cmp_eq_u32_e64 s0, 0, v5
	v_cndmask_b32_e64 v149, v37, v4, s0
; %bb.1911:                             ;   in Loop: Header=BB442_1382 Depth=1
	s_or_b32 exec_lo, exec_lo, s12
	v_lshlrev_b32_e32 v4, 16, v21
                                        ; implicit-def: $vgpr150
	s_delay_alu instid0(VALU_DEP_1) | instskip(NEXT) | instid1(VALU_DEP_1)
	v_mul_f32_e32 v4, v102, v4
	v_and_b32_e32 v5, 0x7f800000, v4
	s_delay_alu instid0(VALU_DEP_1) | instskip(NEXT) | instid1(VALU_DEP_1)
	v_cmp_ne_u32_e64 s0, 0x7f800000, v5
	s_and_saveexec_b32 s12, s0
	s_delay_alu instid0(SALU_CYCLE_1)
	s_xor_b32 s0, exec_lo, s12
; %bb.1912:                             ;   in Loop: Header=BB442_1382 Depth=1
	v_bfe_u32 v5, v4, 16, 1
	s_delay_alu instid0(VALU_DEP_1)
	v_add3_u32 v150, v4, v5, 0x7fff
                                        ; implicit-def: $vgpr4
; %bb.1913:                             ;   in Loop: Header=BB442_1382 Depth=1
	s_and_not1_saveexec_b32 s12, s0
; %bb.1914:                             ;   in Loop: Header=BB442_1382 Depth=1
	v_and_b32_e32 v5, 0xffff, v4
	v_or_b32_e32 v21, 0x10000, v4
	s_delay_alu instid0(VALU_DEP_2) | instskip(NEXT) | instid1(VALU_DEP_1)
	v_cmp_eq_u32_e64 s0, 0, v5
	v_cndmask_b32_e64 v150, v21, v4, s0
; %bb.1915:                             ;   in Loop: Header=BB442_1382 Depth=1
	s_or_b32 exec_lo, exec_lo, s12
	v_lshlrev_b32_e32 v4, 16, v9
                                        ; implicit-def: $vgpr151
	s_delay_alu instid0(VALU_DEP_1) | instskip(NEXT) | instid1(VALU_DEP_1)
	v_mul_f32_e32 v4, v103, v4
	v_and_b32_e32 v5, 0x7f800000, v4
	s_delay_alu instid0(VALU_DEP_1) | instskip(NEXT) | instid1(VALU_DEP_1)
	v_cmp_ne_u32_e64 s0, 0x7f800000, v5
	s_and_saveexec_b32 s12, s0
	s_delay_alu instid0(SALU_CYCLE_1)
	s_xor_b32 s0, exec_lo, s12
; %bb.1916:                             ;   in Loop: Header=BB442_1382 Depth=1
	v_bfe_u32 v5, v4, 16, 1
	s_delay_alu instid0(VALU_DEP_1)
	v_add3_u32 v151, v4, v5, 0x7fff
                                        ; implicit-def: $vgpr4
; %bb.1917:                             ;   in Loop: Header=BB442_1382 Depth=1
	s_and_not1_saveexec_b32 s12, s0
; %bb.1918:                             ;   in Loop: Header=BB442_1382 Depth=1
	v_and_b32_e32 v5, 0xffff, v4
	v_or_b32_e32 v9, 0x10000, v4
	s_delay_alu instid0(VALU_DEP_2) | instskip(NEXT) | instid1(VALU_DEP_1)
	v_cmp_eq_u32_e64 s0, 0, v5
	v_cndmask_b32_e64 v151, v9, v4, s0
; %bb.1919:                             ;   in Loop: Header=BB442_1382 Depth=1
	s_or_b32 exec_lo, exec_lo, s12
	v_lshlrev_b32_e32 v4, 16, v7
                                        ; implicit-def: $vgpr160
	s_delay_alu instid0(VALU_DEP_1) | instskip(NEXT) | instid1(VALU_DEP_1)
	v_mul_f32_e32 v4, v112, v4
	v_and_b32_e32 v5, 0x7f800000, v4
	s_delay_alu instid0(VALU_DEP_1) | instskip(NEXT) | instid1(VALU_DEP_1)
	v_cmp_ne_u32_e64 s0, 0x7f800000, v5
	s_and_saveexec_b32 s12, s0
	s_delay_alu instid0(SALU_CYCLE_1)
	s_xor_b32 s0, exec_lo, s12
; %bb.1920:                             ;   in Loop: Header=BB442_1382 Depth=1
	v_bfe_u32 v5, v4, 16, 1
	s_delay_alu instid0(VALU_DEP_1)
	v_add3_u32 v160, v4, v5, 0x7fff
                                        ; implicit-def: $vgpr4
; %bb.1921:                             ;   in Loop: Header=BB442_1382 Depth=1
	s_and_not1_saveexec_b32 s12, s0
; %bb.1922:                             ;   in Loop: Header=BB442_1382 Depth=1
	v_and_b32_e32 v5, 0xffff, v4
	v_or_b32_e32 v7, 0x10000, v4
	s_delay_alu instid0(VALU_DEP_2) | instskip(NEXT) | instid1(VALU_DEP_1)
	v_cmp_eq_u32_e64 s0, 0, v5
	v_cndmask_b32_e64 v160, v7, v4, s0
; %bb.1923:                             ;   in Loop: Header=BB442_1382 Depth=1
	s_or_b32 exec_lo, exec_lo, s12
	v_lshlrev_b32_e32 v4, 16, v6
                                        ; implicit-def: $vgpr161
	s_delay_alu instid0(VALU_DEP_1) | instskip(NEXT) | instid1(VALU_DEP_1)
	v_mul_f32_e32 v4, v113, v4
	v_and_b32_e32 v5, 0x7f800000, v4
	s_delay_alu instid0(VALU_DEP_1) | instskip(NEXT) | instid1(VALU_DEP_1)
	v_cmp_ne_u32_e64 s0, 0x7f800000, v5
	s_and_saveexec_b32 s12, s0
	s_delay_alu instid0(SALU_CYCLE_1)
	s_xor_b32 s0, exec_lo, s12
; %bb.1924:                             ;   in Loop: Header=BB442_1382 Depth=1
	v_bfe_u32 v5, v4, 16, 1
	s_delay_alu instid0(VALU_DEP_1)
	v_add3_u32 v161, v4, v5, 0x7fff
                                        ; implicit-def: $vgpr4
; %bb.1925:                             ;   in Loop: Header=BB442_1382 Depth=1
	s_and_not1_saveexec_b32 s12, s0
; %bb.1926:                             ;   in Loop: Header=BB442_1382 Depth=1
	v_and_b32_e32 v5, 0xffff, v4
	v_or_b32_e32 v6, 0x10000, v4
	s_delay_alu instid0(VALU_DEP_2) | instskip(NEXT) | instid1(VALU_DEP_1)
	v_cmp_eq_u32_e64 s0, 0, v5
	v_cndmask_b32_e64 v161, v6, v4, s0
; %bb.1927:                             ;   in Loop: Header=BB442_1382 Depth=1
	s_or_b32 exec_lo, exec_lo, s12
	v_lshlrev_b32_e32 v3, 16, v3
                                        ; implicit-def: $vgpr162
	s_delay_alu instid0(VALU_DEP_1) | instskip(NEXT) | instid1(VALU_DEP_1)
	v_mul_f32_e32 v3, v114, v3
	v_and_b32_e32 v4, 0x7f800000, v3
	s_delay_alu instid0(VALU_DEP_1) | instskip(NEXT) | instid1(VALU_DEP_1)
	v_cmp_ne_u32_e64 s0, 0x7f800000, v4
	s_and_saveexec_b32 s12, s0
	s_delay_alu instid0(SALU_CYCLE_1)
	s_xor_b32 s0, exec_lo, s12
; %bb.1928:                             ;   in Loop: Header=BB442_1382 Depth=1
	v_bfe_u32 v4, v3, 16, 1
	s_delay_alu instid0(VALU_DEP_1)
	v_add3_u32 v162, v3, v4, 0x7fff
                                        ; implicit-def: $vgpr3
; %bb.1929:                             ;   in Loop: Header=BB442_1382 Depth=1
	s_and_not1_saveexec_b32 s12, s0
; %bb.1930:                             ;   in Loop: Header=BB442_1382 Depth=1
	v_and_b32_e32 v4, 0xffff, v3
	v_or_b32_e32 v5, 0x10000, v3
	s_delay_alu instid0(VALU_DEP_2) | instskip(NEXT) | instid1(VALU_DEP_1)
	v_cmp_eq_u32_e64 s0, 0, v4
	v_cndmask_b32_e64 v162, v5, v3, s0
; %bb.1931:                             ;   in Loop: Header=BB442_1382 Depth=1
	s_or_b32 exec_lo, exec_lo, s12
	v_lshlrev_b32_e32 v2, 16, v2
                                        ; implicit-def: $vgpr163
	s_delay_alu instid0(VALU_DEP_1) | instskip(NEXT) | instid1(VALU_DEP_1)
	v_mul_f32_e32 v2, v115, v2
	v_and_b32_e32 v3, 0x7f800000, v2
	s_delay_alu instid0(VALU_DEP_1) | instskip(NEXT) | instid1(VALU_DEP_1)
	v_cmp_ne_u32_e64 s0, 0x7f800000, v3
	s_and_saveexec_b32 s12, s0
	s_delay_alu instid0(SALU_CYCLE_1)
	s_xor_b32 s0, exec_lo, s12
; %bb.1932:                             ;   in Loop: Header=BB442_1382 Depth=1
	v_bfe_u32 v3, v2, 16, 1
	s_delay_alu instid0(VALU_DEP_1)
	v_add3_u32 v163, v2, v3, 0x7fff
                                        ; implicit-def: $vgpr2
; %bb.1933:                             ;   in Loop: Header=BB442_1382 Depth=1
	s_and_not1_saveexec_b32 s12, s0
; %bb.1934:                             ;   in Loop: Header=BB442_1382 Depth=1
	v_and_b32_e32 v3, 0xffff, v2
	v_or_b32_e32 v4, 0x10000, v2
	s_delay_alu instid0(VALU_DEP_2) | instskip(NEXT) | instid1(VALU_DEP_1)
	v_cmp_eq_u32_e64 s0, 0, v3
	v_cndmask_b32_e64 v163, v4, v2, s0
; %bb.1935:                             ;   in Loop: Header=BB442_1382 Depth=1
	s_or_b32 exec_lo, exec_lo, s12
	flat_load_b64 v[2:3], v[0:1] offset:1024
	s_mov_b32 s12, exec_lo
	s_waitcnt vmcnt(0) lgkmcnt(0)
	v_dual_mov_b32 v4, 0 :: v_dual_and_b32 v5, 0xff, v2
	s_delay_alu instid0(VALU_DEP_1)
	v_cmpx_ne_u16_e32 0, v5
	s_cbranch_execz .LBB442_1943
; %bb.1936:                             ;   in Loop: Header=BB442_1382 Depth=1
	v_bfrev_b32_e32 v4, 1
	s_mov_b32 s13, exec_lo
	v_cmpx_ne_u16_e32 0x80, v5
	s_cbranch_execz .LBB442_1942
; %bb.1937:                             ;   in Loop: Header=BB442_1382 Depth=1
	v_and_b32_e32 v5, 0x7f, v2
	v_mov_b32_e32 v4, 0x7f800001
	s_mov_b32 s15, exec_lo
	s_delay_alu instid0(VALU_DEP_2)
	v_cmpx_ne_u32_e32 0x7f, v5
	s_cbranch_execz .LBB442_1941
; %bb.1938:                             ;   in Loop: Header=BB442_1382 Depth=1
	v_lshrrev_b32_e32 v4, 3, v5
	v_dual_mov_b32 v7, v3 :: v_dual_mov_b32 v6, v2
	s_mov_b32 s16, exec_lo
	v_cmpx_gt_u32_e32 8, v5
; %bb.1939:                             ;   in Loop: Header=BB442_1382 Depth=1
	v_and_b32_e32 v4, 7, v2
	s_delay_alu instid0(VALU_DEP_1) | instskip(NEXT) | instid1(VALU_DEP_1)
	v_clz_i32_u32_e32 v4, v4
	v_min_u32_e32 v4, 32, v4
	s_delay_alu instid0(VALU_DEP_1) | instskip(SKIP_1) | instid1(VALU_DEP_2)
	v_subrev_nc_u32_e32 v5, 28, v4
	v_sub_nc_u32_e32 v4, 29, v4
	v_lshlrev_b64 v[6:7], v5, v[2:3]
; %bb.1940:                             ;   in Loop: Header=BB442_1382 Depth=1
	s_or_b32 exec_lo, exec_lo, s16
	s_delay_alu instid0(VALU_DEP_1) | instskip(SKIP_2) | instid1(VALU_DEP_3)
	v_lshlrev_b32_e32 v5, 20, v6
	v_lshlrev_b32_e32 v6, 24, v2
	v_lshl_add_u32 v4, v4, 23, 0x3c000000
	v_and_b32_e32 v5, 0x700000, v5
	s_delay_alu instid0(VALU_DEP_3) | instskip(NEXT) | instid1(VALU_DEP_1)
	v_and_b32_e32 v6, 0x80000000, v6
	v_or3_b32 v4, v5, v6, v4
.LBB442_1941:                           ;   in Loop: Header=BB442_1382 Depth=1
	s_or_b32 exec_lo, exec_lo, s15
.LBB442_1942:                           ;   in Loop: Header=BB442_1382 Depth=1
	s_delay_alu instid0(SALU_CYCLE_1)
	s_or_b32 exec_lo, exec_lo, s13
.LBB442_1943:                           ;   in Loop: Header=BB442_1382 Depth=1
	s_delay_alu instid0(SALU_CYCLE_1) | instskip(NEXT) | instid1(VALU_DEP_1)
	s_or_b32 exec_lo, exec_lo, s12
	v_mul_f32_e32 v5, v8, v4
	s_delay_alu instid0(VALU_DEP_1) | instskip(NEXT) | instid1(VALU_DEP_1)
	v_and_b32_e32 v4, 0x7f800000, v5
	v_cmp_ne_u32_e64 s0, 0x7f800000, v4
                                        ; implicit-def: $vgpr4
	s_delay_alu instid0(VALU_DEP_1) | instskip(NEXT) | instid1(SALU_CYCLE_1)
	s_and_saveexec_b32 s12, s0
	s_xor_b32 s0, exec_lo, s12
; %bb.1944:                             ;   in Loop: Header=BB442_1382 Depth=1
	v_bfe_u32 v4, v5, 16, 1
	s_delay_alu instid0(VALU_DEP_1)
	v_add3_u32 v4, v5, v4, 0x7fff
                                        ; implicit-def: $vgpr5
; %bb.1945:                             ;   in Loop: Header=BB442_1382 Depth=1
	s_and_not1_saveexec_b32 s12, s0
; %bb.1946:                             ;   in Loop: Header=BB442_1382 Depth=1
	v_and_b32_e32 v4, 0xffff, v5
	v_or_b32_e32 v6, 0x10000, v5
	s_delay_alu instid0(VALU_DEP_2) | instskip(NEXT) | instid1(VALU_DEP_1)
	v_cmp_eq_u32_e64 s0, 0, v4
	v_cndmask_b32_e64 v4, v6, v5, s0
; %bb.1947:                             ;   in Loop: Header=BB442_1382 Depth=1
	s_or_b32 exec_lo, exec_lo, s12
	v_lshrrev_b16 v6, 8, v2
	v_mov_b32_e32 v5, 0
	s_mov_b32 s12, exec_lo
	s_delay_alu instid0(VALU_DEP_2)
	v_cmpx_ne_u16_e32 0, v6
	s_cbranch_execz .LBB442_1955
; %bb.1948:                             ;   in Loop: Header=BB442_1382 Depth=1
	v_bfrev_b32_e32 v5, 1
	s_mov_b32 s13, exec_lo
	v_cmpx_ne_u16_e32 0x80, v6
	s_cbranch_execz .LBB442_1954
; %bb.1949:                             ;   in Loop: Header=BB442_1382 Depth=1
	v_and_b32_e32 v7, 0xffff, v6
	v_mov_b32_e32 v5, 0x7f800001
	s_mov_b32 s15, exec_lo
	s_delay_alu instid0(VALU_DEP_2) | instskip(NEXT) | instid1(VALU_DEP_1)
	v_and_b32_e32 v6, 0x7f, v7
	v_cmpx_ne_u32_e32 0x7f, v6
	s_cbranch_execz .LBB442_1953
; %bb.1950:                             ;   in Loop: Header=BB442_1382 Depth=1
	v_and_b32_e32 v9, 7, v7
	v_lshrrev_b32_e32 v5, 3, v6
	v_cmp_gt_u32_e64 s0, 8, v6
	s_delay_alu instid0(VALU_DEP_3) | instskip(NEXT) | instid1(VALU_DEP_2)
	v_dual_mov_b32 v6, v9 :: v_dual_mov_b32 v7, v10
	s_and_saveexec_b32 s16, s0
; %bb.1951:                             ;   in Loop: Header=BB442_1382 Depth=1
	v_clz_i32_u32_e32 v5, v9
	s_delay_alu instid0(VALU_DEP_1) | instskip(NEXT) | instid1(VALU_DEP_1)
	v_min_u32_e32 v5, 32, v5
	v_subrev_nc_u32_e32 v6, 28, v5
	v_sub_nc_u32_e32 v5, 29, v5
	s_delay_alu instid0(VALU_DEP_2) | instskip(NEXT) | instid1(VALU_DEP_1)
	v_lshlrev_b64 v[6:7], v6, v[9:10]
	v_and_b32_e32 v6, 7, v6
; %bb.1952:                             ;   in Loop: Header=BB442_1382 Depth=1
	s_or_b32 exec_lo, exec_lo, s16
	v_lshlrev_b32_e32 v7, 16, v2
	s_delay_alu instid0(VALU_DEP_2) | instskip(SKIP_1) | instid1(VALU_DEP_3)
	v_lshlrev_b32_e32 v6, 20, v6
	v_lshl_add_u32 v5, v5, 23, 0x3c000000
	v_and_b32_e32 v7, 0x80000000, v7
	s_delay_alu instid0(VALU_DEP_1)
	v_or3_b32 v5, v6, v7, v5
.LBB442_1953:                           ;   in Loop: Header=BB442_1382 Depth=1
	s_or_b32 exec_lo, exec_lo, s15
.LBB442_1954:                           ;   in Loop: Header=BB442_1382 Depth=1
	s_delay_alu instid0(SALU_CYCLE_1)
	s_or_b32 exec_lo, exec_lo, s13
.LBB442_1955:                           ;   in Loop: Header=BB442_1382 Depth=1
	s_delay_alu instid0(SALU_CYCLE_1) | instskip(NEXT) | instid1(VALU_DEP_1)
	s_or_b32 exec_lo, exec_lo, s12
	v_mul_f32_e32 v6, v8, v5
	s_delay_alu instid0(VALU_DEP_1) | instskip(NEXT) | instid1(VALU_DEP_1)
	v_and_b32_e32 v5, 0x7f800000, v6
	v_cmp_ne_u32_e64 s0, 0x7f800000, v5
                                        ; implicit-def: $vgpr5
	s_delay_alu instid0(VALU_DEP_1) | instskip(NEXT) | instid1(SALU_CYCLE_1)
	s_and_saveexec_b32 s12, s0
	s_xor_b32 s0, exec_lo, s12
; %bb.1956:                             ;   in Loop: Header=BB442_1382 Depth=1
	v_bfe_u32 v5, v6, 16, 1
	s_delay_alu instid0(VALU_DEP_1)
	v_add3_u32 v5, v6, v5, 0x7fff
                                        ; implicit-def: $vgpr6
; %bb.1957:                             ;   in Loop: Header=BB442_1382 Depth=1
	s_and_not1_saveexec_b32 s12, s0
; %bb.1958:                             ;   in Loop: Header=BB442_1382 Depth=1
	v_and_b32_e32 v5, 0xffff, v6
	v_or_b32_e32 v7, 0x10000, v6
	s_delay_alu instid0(VALU_DEP_2) | instskip(NEXT) | instid1(VALU_DEP_1)
	v_cmp_eq_u32_e64 s0, 0, v5
	v_cndmask_b32_e64 v5, v7, v6, s0
; %bb.1959:                             ;   in Loop: Header=BB442_1382 Depth=1
	s_or_b32 exec_lo, exec_lo, s12
	v_lshrrev_b32_e32 v21, 16, v2
	s_mov_b32 s12, exec_lo
	s_delay_alu instid0(VALU_DEP_1) | instskip(NEXT) | instid1(VALU_DEP_1)
	v_dual_mov_b32 v6, 0 :: v_dual_and_b32 v7, 0xff, v21
	v_cmpx_ne_u16_e32 0, v7
	s_cbranch_execz .LBB442_1967
; %bb.1960:                             ;   in Loop: Header=BB442_1382 Depth=1
	v_bfrev_b32_e32 v6, 1
	s_mov_b32 s13, exec_lo
	v_cmpx_ne_u16_e32 0x80, v7
	s_cbranch_execz .LBB442_1966
; %bb.1961:                             ;   in Loop: Header=BB442_1382 Depth=1
	v_bfe_u32 v7, v2, 16, 7
	v_mov_b32_e32 v6, 0x7f800001
	s_mov_b32 s15, exec_lo
	s_delay_alu instid0(VALU_DEP_2)
	v_cmpx_ne_u32_e32 0x7f, v7
	s_cbranch_execz .LBB442_1965
; %bb.1962:                             ;   in Loop: Header=BB442_1382 Depth=1
	v_and_b32_e32 v9, 7, v21
	v_lshrrev_b32_e32 v37, 3, v7
	v_cmp_gt_u32_e64 s0, 8, v7
	s_delay_alu instid0(VALU_DEP_3) | instskip(NEXT) | instid1(VALU_DEP_2)
	v_dual_mov_b32 v6, v9 :: v_dual_mov_b32 v7, v10
	s_and_saveexec_b32 s16, s0
; %bb.1963:                             ;   in Loop: Header=BB442_1382 Depth=1
	v_clz_i32_u32_e32 v6, v9
	s_delay_alu instid0(VALU_DEP_1) | instskip(NEXT) | instid1(VALU_DEP_1)
	v_min_u32_e32 v37, 32, v6
	v_subrev_nc_u32_e32 v6, 28, v37
	v_sub_nc_u32_e32 v37, 29, v37
	s_delay_alu instid0(VALU_DEP_2) | instskip(NEXT) | instid1(VALU_DEP_1)
	v_lshlrev_b64 v[6:7], v6, v[9:10]
	v_and_b32_e32 v6, 7, v6
; %bb.1964:                             ;   in Loop: Header=BB442_1382 Depth=1
	s_or_b32 exec_lo, exec_lo, s16
	v_lshlrev_b32_e32 v7, 24, v21
	s_delay_alu instid0(VALU_DEP_2) | instskip(SKIP_1) | instid1(VALU_DEP_3)
	v_lshlrev_b32_e32 v6, 20, v6
	v_lshl_add_u32 v9, v37, 23, 0x3c000000
	v_and_b32_e32 v7, 0x80000000, v7
	s_delay_alu instid0(VALU_DEP_1)
	v_or3_b32 v6, v6, v7, v9
.LBB442_1965:                           ;   in Loop: Header=BB442_1382 Depth=1
	s_or_b32 exec_lo, exec_lo, s15
.LBB442_1966:                           ;   in Loop: Header=BB442_1382 Depth=1
	s_delay_alu instid0(SALU_CYCLE_1)
	s_or_b32 exec_lo, exec_lo, s13
.LBB442_1967:                           ;   in Loop: Header=BB442_1382 Depth=1
	s_delay_alu instid0(SALU_CYCLE_1) | instskip(NEXT) | instid1(VALU_DEP_1)
	s_or_b32 exec_lo, exec_lo, s12
	v_mul_f32_e32 v6, v8, v6
                                        ; implicit-def: $vgpr21
	s_delay_alu instid0(VALU_DEP_1) | instskip(NEXT) | instid1(VALU_DEP_1)
	v_and_b32_e32 v7, 0x7f800000, v6
	v_cmp_ne_u32_e64 s0, 0x7f800000, v7
	s_delay_alu instid0(VALU_DEP_1) | instskip(NEXT) | instid1(SALU_CYCLE_1)
	s_and_saveexec_b32 s12, s0
	s_xor_b32 s0, exec_lo, s12
; %bb.1968:                             ;   in Loop: Header=BB442_1382 Depth=1
	v_bfe_u32 v7, v6, 16, 1
	s_delay_alu instid0(VALU_DEP_1)
	v_add3_u32 v21, v6, v7, 0x7fff
                                        ; implicit-def: $vgpr6
; %bb.1969:                             ;   in Loop: Header=BB442_1382 Depth=1
	s_and_not1_saveexec_b32 s12, s0
; %bb.1970:                             ;   in Loop: Header=BB442_1382 Depth=1
	v_and_b32_e32 v7, 0xffff, v6
	v_or_b32_e32 v9, 0x10000, v6
	s_delay_alu instid0(VALU_DEP_2) | instskip(NEXT) | instid1(VALU_DEP_1)
	v_cmp_eq_u32_e64 s0, 0, v7
	v_cndmask_b32_e64 v21, v9, v6, s0
; %bb.1971:                             ;   in Loop: Header=BB442_1382 Depth=1
	s_or_b32 exec_lo, exec_lo, s12
	v_mov_b32_e32 v6, 0
	s_mov_b32 s12, exec_lo
	v_cmpx_lt_u32_e32 0xffffff, v2
	s_cbranch_execz .LBB442_1979
; %bb.1972:                             ;   in Loop: Header=BB442_1382 Depth=1
	v_lshrrev_b32_e32 v37, 24, v2
	v_bfrev_b32_e32 v6, 1
	s_mov_b32 s13, exec_lo
	s_delay_alu instid0(VALU_DEP_2)
	v_cmpx_ne_u32_e32 0x80, v37
	s_cbranch_execz .LBB442_1978
; %bb.1973:                             ;   in Loop: Header=BB442_1382 Depth=1
	v_bfe_u32 v7, v2, 24, 7
	v_mov_b32_e32 v6, 0x7f800001
	s_mov_b32 s15, exec_lo
	s_delay_alu instid0(VALU_DEP_2)
	v_cmpx_ne_u32_e32 0x7f, v7
	s_cbranch_execz .LBB442_1977
; %bb.1974:                             ;   in Loop: Header=BB442_1382 Depth=1
	v_and_b32_e32 v9, 7, v37
	v_lshrrev_b32_e32 v39, 3, v7
	v_cmp_gt_u32_e64 s0, 8, v7
	s_delay_alu instid0(VALU_DEP_3) | instskip(NEXT) | instid1(VALU_DEP_2)
	v_dual_mov_b32 v6, v9 :: v_dual_mov_b32 v7, v10
	s_and_saveexec_b32 s16, s0
; %bb.1975:                             ;   in Loop: Header=BB442_1382 Depth=1
	v_clz_i32_u32_e32 v6, v9
	s_delay_alu instid0(VALU_DEP_1) | instskip(NEXT) | instid1(VALU_DEP_1)
	v_min_u32_e32 v39, 32, v6
	v_subrev_nc_u32_e32 v6, 28, v39
	v_sub_nc_u32_e32 v39, 29, v39
	s_delay_alu instid0(VALU_DEP_2) | instskip(NEXT) | instid1(VALU_DEP_1)
	v_lshlrev_b64 v[6:7], v6, v[9:10]
	v_and_b32_e32 v6, 7, v6
; %bb.1976:                             ;   in Loop: Header=BB442_1382 Depth=1
	s_or_b32 exec_lo, exec_lo, s16
	v_lshlrev_b32_e32 v7, 24, v37
	s_delay_alu instid0(VALU_DEP_2) | instskip(SKIP_1) | instid1(VALU_DEP_3)
	v_lshlrev_b32_e32 v6, 20, v6
	v_lshl_add_u32 v9, v39, 23, 0x3c000000
	v_and_b32_e32 v7, 0x80000000, v7
	s_delay_alu instid0(VALU_DEP_1)
	v_or3_b32 v6, v6, v7, v9
.LBB442_1977:                           ;   in Loop: Header=BB442_1382 Depth=1
	s_or_b32 exec_lo, exec_lo, s15
.LBB442_1978:                           ;   in Loop: Header=BB442_1382 Depth=1
	s_delay_alu instid0(SALU_CYCLE_1)
	s_or_b32 exec_lo, exec_lo, s13
.LBB442_1979:                           ;   in Loop: Header=BB442_1382 Depth=1
	s_delay_alu instid0(SALU_CYCLE_1) | instskip(NEXT) | instid1(VALU_DEP_1)
	s_or_b32 exec_lo, exec_lo, s12
	v_mul_f32_e32 v6, v8, v6
                                        ; implicit-def: $vgpr37
	s_delay_alu instid0(VALU_DEP_1) | instskip(NEXT) | instid1(VALU_DEP_1)
	v_and_b32_e32 v7, 0x7f800000, v6
	v_cmp_ne_u32_e64 s0, 0x7f800000, v7
	s_delay_alu instid0(VALU_DEP_1) | instskip(NEXT) | instid1(SALU_CYCLE_1)
	s_and_saveexec_b32 s12, s0
	s_xor_b32 s0, exec_lo, s12
; %bb.1980:                             ;   in Loop: Header=BB442_1382 Depth=1
	v_bfe_u32 v7, v6, 16, 1
	s_delay_alu instid0(VALU_DEP_1)
	v_add3_u32 v37, v6, v7, 0x7fff
                                        ; implicit-def: $vgpr6
; %bb.1981:                             ;   in Loop: Header=BB442_1382 Depth=1
	s_and_not1_saveexec_b32 s12, s0
; %bb.1982:                             ;   in Loop: Header=BB442_1382 Depth=1
	v_and_b32_e32 v7, 0xffff, v6
	v_or_b32_e32 v9, 0x10000, v6
	s_delay_alu instid0(VALU_DEP_2) | instskip(NEXT) | instid1(VALU_DEP_1)
	v_cmp_eq_u32_e64 s0, 0, v7
	v_cndmask_b32_e64 v37, v9, v6, s0
; %bb.1983:                             ;   in Loop: Header=BB442_1382 Depth=1
	s_or_b32 exec_lo, exec_lo, s12
	v_dual_mov_b32 v6, 0 :: v_dual_and_b32 v7, 0xff, v3
	v_mov_b32_e32 v9, v3
	s_mov_b32 s12, exec_lo
	s_delay_alu instid0(VALU_DEP_2)
	v_cmpx_ne_u16_e32 0, v7
	s_cbranch_execz .LBB442_1991
; %bb.1984:                             ;   in Loop: Header=BB442_1382 Depth=1
	v_bfrev_b32_e32 v6, 1
	s_mov_b32 s13, exec_lo
	v_cmpx_ne_u16_e32 0x80, v7
	s_cbranch_execz .LBB442_1990
; %bb.1985:                             ;   in Loop: Header=BB442_1382 Depth=1
	v_and_b32_e32 v7, 0x7f, v3
	v_mov_b32_e32 v6, 0x7f800001
	s_mov_b32 s15, exec_lo
	s_delay_alu instid0(VALU_DEP_2)
	v_cmpx_ne_u32_e32 0x7f, v7
	s_cbranch_execz .LBB442_1989
; %bb.1986:                             ;   in Loop: Header=BB442_1382 Depth=1
	v_lshrrev_b32_e32 v39, 3, v7
	v_cmp_gt_u32_e64 s0, 8, v7
	v_dual_mov_b32 v6, v9 :: v_dual_mov_b32 v7, v10
	s_delay_alu instid0(VALU_DEP_2)
	s_and_saveexec_b32 s16, s0
; %bb.1987:                             ;   in Loop: Header=BB442_1382 Depth=1
	v_and_b32_e32 v6, 7, v3
	s_delay_alu instid0(VALU_DEP_1) | instskip(NEXT) | instid1(VALU_DEP_1)
	v_clz_i32_u32_e32 v6, v6
	v_min_u32_e32 v39, 32, v6
	s_delay_alu instid0(VALU_DEP_1) | instskip(SKIP_1) | instid1(VALU_DEP_2)
	v_subrev_nc_u32_e32 v6, 28, v39
	v_sub_nc_u32_e32 v39, 29, v39
	v_lshlrev_b64 v[6:7], v6, v[9:10]
; %bb.1988:                             ;   in Loop: Header=BB442_1382 Depth=1
	s_or_b32 exec_lo, exec_lo, s16
	s_delay_alu instid0(VALU_DEP_1) | instskip(SKIP_2) | instid1(VALU_DEP_3)
	v_lshlrev_b32_e32 v6, 20, v6
	v_lshlrev_b32_e32 v7, 24, v9
	v_lshl_add_u32 v39, v39, 23, 0x3c000000
	v_and_b32_e32 v6, 0x700000, v6
	s_delay_alu instid0(VALU_DEP_3) | instskip(NEXT) | instid1(VALU_DEP_1)
	v_and_b32_e32 v7, 0x80000000, v7
	v_or3_b32 v6, v6, v7, v39
.LBB442_1989:                           ;   in Loop: Header=BB442_1382 Depth=1
	s_or_b32 exec_lo, exec_lo, s15
.LBB442_1990:                           ;   in Loop: Header=BB442_1382 Depth=1
	s_delay_alu instid0(SALU_CYCLE_1)
	s_or_b32 exec_lo, exec_lo, s13
.LBB442_1991:                           ;   in Loop: Header=BB442_1382 Depth=1
	s_delay_alu instid0(SALU_CYCLE_1) | instskip(NEXT) | instid1(VALU_DEP_1)
	s_or_b32 exec_lo, exec_lo, s12
	v_mul_f32_e32 v6, v8, v6
                                        ; implicit-def: $vgpr39
	s_delay_alu instid0(VALU_DEP_1) | instskip(NEXT) | instid1(VALU_DEP_1)
	v_and_b32_e32 v7, 0x7f800000, v6
	v_cmp_ne_u32_e64 s0, 0x7f800000, v7
	s_delay_alu instid0(VALU_DEP_1) | instskip(NEXT) | instid1(SALU_CYCLE_1)
	s_and_saveexec_b32 s12, s0
	s_xor_b32 s0, exec_lo, s12
; %bb.1992:                             ;   in Loop: Header=BB442_1382 Depth=1
	v_bfe_u32 v7, v6, 16, 1
	s_delay_alu instid0(VALU_DEP_1)
	v_add3_u32 v39, v6, v7, 0x7fff
                                        ; implicit-def: $vgpr6
; %bb.1993:                             ;   in Loop: Header=BB442_1382 Depth=1
	s_and_not1_saveexec_b32 s12, s0
; %bb.1994:                             ;   in Loop: Header=BB442_1382 Depth=1
	v_and_b32_e32 v7, 0xffff, v6
	v_or_b32_e32 v39, 0x10000, v6
	s_delay_alu instid0(VALU_DEP_2) | instskip(NEXT) | instid1(VALU_DEP_1)
	v_cmp_eq_u32_e64 s0, 0, v7
	v_cndmask_b32_e64 v39, v39, v6, s0
; %bb.1995:                             ;   in Loop: Header=BB442_1382 Depth=1
	s_or_b32 exec_lo, exec_lo, s12
	v_lshrrev_b16 v7, 8, v9
	v_mov_b32_e32 v6, 0
	s_mov_b32 s12, exec_lo
	s_delay_alu instid0(VALU_DEP_2)
	v_cmpx_ne_u16_e32 0, v7
	s_cbranch_execz .LBB442_2003
; %bb.1996:                             ;   in Loop: Header=BB442_1382 Depth=1
	v_bfrev_b32_e32 v6, 1
	s_mov_b32 s13, exec_lo
	v_cmpx_ne_u16_e32 0x80, v7
	s_cbranch_execz .LBB442_2002
; %bb.1997:                             ;   in Loop: Header=BB442_1382 Depth=1
	v_and_b32_e32 v7, 0xffff, v7
	v_mov_b32_e32 v6, 0x7f800001
	s_mov_b32 s15, exec_lo
	s_delay_alu instid0(VALU_DEP_2) | instskip(NEXT) | instid1(VALU_DEP_1)
	v_and_b32_e32 v165, 0x7f, v7
	v_cmpx_ne_u32_e32 0x7f, v165
	s_cbranch_execz .LBB442_2001
; %bb.1998:                             ;   in Loop: Header=BB442_1382 Depth=1
	v_dual_mov_b32 v7, v10 :: v_dual_and_b32 v6, 7, v7
	v_lshrrev_b32_e32 v164, 3, v165
	s_mov_b32 s16, exec_lo
	v_cmpx_gt_u32_e32 8, v165
; %bb.1999:                             ;   in Loop: Header=BB442_1382 Depth=1
	s_delay_alu instid0(VALU_DEP_3) | instskip(NEXT) | instid1(VALU_DEP_1)
	v_clz_i32_u32_e32 v164, v6
	v_min_u32_e32 v164, 32, v164
	s_delay_alu instid0(VALU_DEP_1) | instskip(SKIP_1) | instid1(VALU_DEP_2)
	v_subrev_nc_u32_e32 v165, 28, v164
	v_sub_nc_u32_e32 v164, 29, v164
	v_lshlrev_b64 v[6:7], v165, v[6:7]
	s_delay_alu instid0(VALU_DEP_1)
	v_and_b32_e32 v6, 7, v6
; %bb.2000:                             ;   in Loop: Header=BB442_1382 Depth=1
	s_or_b32 exec_lo, exec_lo, s16
	v_lshlrev_b32_e32 v7, 16, v9
	s_delay_alu instid0(VALU_DEP_2) | instskip(SKIP_1) | instid1(VALU_DEP_3)
	v_lshlrev_b32_e32 v6, 20, v6
	v_lshl_add_u32 v9, v164, 23, 0x3c000000
	v_and_b32_e32 v7, 0x80000000, v7
	s_delay_alu instid0(VALU_DEP_1)
	v_or3_b32 v6, v6, v7, v9
.LBB442_2001:                           ;   in Loop: Header=BB442_1382 Depth=1
	s_or_b32 exec_lo, exec_lo, s15
.LBB442_2002:                           ;   in Loop: Header=BB442_1382 Depth=1
	s_delay_alu instid0(SALU_CYCLE_1)
	s_or_b32 exec_lo, exec_lo, s13
.LBB442_2003:                           ;   in Loop: Header=BB442_1382 Depth=1
	s_delay_alu instid0(SALU_CYCLE_1) | instskip(NEXT) | instid1(VALU_DEP_1)
	s_or_b32 exec_lo, exec_lo, s12
	v_mul_f32_e32 v6, v8, v6
                                        ; implicit-def: $vgpr164
	s_delay_alu instid0(VALU_DEP_1) | instskip(NEXT) | instid1(VALU_DEP_1)
	v_and_b32_e32 v7, 0x7f800000, v6
	v_cmp_ne_u32_e64 s0, 0x7f800000, v7
	s_delay_alu instid0(VALU_DEP_1) | instskip(NEXT) | instid1(SALU_CYCLE_1)
	s_and_saveexec_b32 s12, s0
	s_xor_b32 s0, exec_lo, s12
; %bb.2004:                             ;   in Loop: Header=BB442_1382 Depth=1
	v_bfe_u32 v7, v6, 16, 1
	s_delay_alu instid0(VALU_DEP_1)
	v_add3_u32 v164, v6, v7, 0x7fff
                                        ; implicit-def: $vgpr6
; %bb.2005:                             ;   in Loop: Header=BB442_1382 Depth=1
	s_and_not1_saveexec_b32 s12, s0
; %bb.2006:                             ;   in Loop: Header=BB442_1382 Depth=1
	v_and_b32_e32 v7, 0xffff, v6
	v_or_b32_e32 v9, 0x10000, v6
	s_delay_alu instid0(VALU_DEP_2) | instskip(NEXT) | instid1(VALU_DEP_1)
	v_cmp_eq_u32_e64 s0, 0, v7
	v_cndmask_b32_e64 v164, v9, v6, s0
; %bb.2007:                             ;   in Loop: Header=BB442_1382 Depth=1
	s_or_b32 exec_lo, exec_lo, s12
	v_lshrrev_b32_e32 v165, 16, v3
	s_mov_b32 s12, exec_lo
	s_delay_alu instid0(VALU_DEP_1) | instskip(NEXT) | instid1(VALU_DEP_1)
	v_dual_mov_b32 v6, 0 :: v_dual_and_b32 v7, 0xff, v165
	v_cmpx_ne_u16_e32 0, v7
	s_cbranch_execz .LBB442_2015
; %bb.2008:                             ;   in Loop: Header=BB442_1382 Depth=1
	v_bfrev_b32_e32 v6, 1
	s_mov_b32 s13, exec_lo
	v_cmpx_ne_u16_e32 0x80, v7
	s_cbranch_execz .LBB442_2014
; %bb.2009:                             ;   in Loop: Header=BB442_1382 Depth=1
	v_bfe_u32 v7, v3, 16, 7
	v_mov_b32_e32 v6, 0x7f800001
	s_mov_b32 s15, exec_lo
	s_delay_alu instid0(VALU_DEP_2)
	v_cmpx_ne_u32_e32 0x7f, v7
	s_cbranch_execz .LBB442_2013
; %bb.2010:                             ;   in Loop: Header=BB442_1382 Depth=1
	v_and_b32_e32 v9, 7, v165
	v_lshrrev_b32_e32 v166, 3, v7
	v_cmp_gt_u32_e64 s0, 8, v7
	s_delay_alu instid0(VALU_DEP_3) | instskip(NEXT) | instid1(VALU_DEP_2)
	v_dual_mov_b32 v6, v9 :: v_dual_mov_b32 v7, v10
	s_and_saveexec_b32 s16, s0
; %bb.2011:                             ;   in Loop: Header=BB442_1382 Depth=1
	v_clz_i32_u32_e32 v6, v9
	s_delay_alu instid0(VALU_DEP_1) | instskip(NEXT) | instid1(VALU_DEP_1)
	v_min_u32_e32 v166, 32, v6
	v_subrev_nc_u32_e32 v6, 28, v166
	v_sub_nc_u32_e32 v166, 29, v166
	s_delay_alu instid0(VALU_DEP_2) | instskip(NEXT) | instid1(VALU_DEP_1)
	v_lshlrev_b64 v[6:7], v6, v[9:10]
	v_and_b32_e32 v6, 7, v6
; %bb.2012:                             ;   in Loop: Header=BB442_1382 Depth=1
	s_or_b32 exec_lo, exec_lo, s16
	v_lshlrev_b32_e32 v7, 24, v165
	s_delay_alu instid0(VALU_DEP_2) | instskip(SKIP_1) | instid1(VALU_DEP_3)
	v_lshlrev_b32_e32 v6, 20, v6
	v_lshl_add_u32 v9, v166, 23, 0x3c000000
	v_and_b32_e32 v7, 0x80000000, v7
	s_delay_alu instid0(VALU_DEP_1)
	v_or3_b32 v6, v6, v7, v9
.LBB442_2013:                           ;   in Loop: Header=BB442_1382 Depth=1
	s_or_b32 exec_lo, exec_lo, s15
.LBB442_2014:                           ;   in Loop: Header=BB442_1382 Depth=1
	s_delay_alu instid0(SALU_CYCLE_1)
	s_or_b32 exec_lo, exec_lo, s13
.LBB442_2015:                           ;   in Loop: Header=BB442_1382 Depth=1
	s_delay_alu instid0(SALU_CYCLE_1) | instskip(NEXT) | instid1(VALU_DEP_1)
	s_or_b32 exec_lo, exec_lo, s12
	v_mul_f32_e32 v6, v8, v6
                                        ; implicit-def: $vgpr165
	s_delay_alu instid0(VALU_DEP_1) | instskip(NEXT) | instid1(VALU_DEP_1)
	v_and_b32_e32 v7, 0x7f800000, v6
	v_cmp_ne_u32_e64 s0, 0x7f800000, v7
	s_delay_alu instid0(VALU_DEP_1) | instskip(NEXT) | instid1(SALU_CYCLE_1)
	s_and_saveexec_b32 s12, s0
	s_xor_b32 s0, exec_lo, s12
; %bb.2016:                             ;   in Loop: Header=BB442_1382 Depth=1
	v_bfe_u32 v7, v6, 16, 1
	s_delay_alu instid0(VALU_DEP_1)
	v_add3_u32 v165, v6, v7, 0x7fff
                                        ; implicit-def: $vgpr6
; %bb.2017:                             ;   in Loop: Header=BB442_1382 Depth=1
	s_and_not1_saveexec_b32 s12, s0
; %bb.2018:                             ;   in Loop: Header=BB442_1382 Depth=1
	v_and_b32_e32 v7, 0xffff, v6
	v_or_b32_e32 v9, 0x10000, v6
	s_delay_alu instid0(VALU_DEP_2) | instskip(NEXT) | instid1(VALU_DEP_1)
	v_cmp_eq_u32_e64 s0, 0, v7
	v_cndmask_b32_e64 v165, v9, v6, s0
; %bb.2019:                             ;   in Loop: Header=BB442_1382 Depth=1
	s_or_b32 exec_lo, exec_lo, s12
	v_cmp_lt_u64_e64 s0, s[8:9], v[2:3]
	v_mov_b32_e32 v2, 0
	s_delay_alu instid0(VALU_DEP_2)
	s_and_saveexec_b32 s12, s0
	s_cbranch_execz .LBB442_2027
; %bb.2020:                             ;   in Loop: Header=BB442_1382 Depth=1
	v_lshrrev_b32_e32 v6, 24, v3
	v_bfrev_b32_e32 v2, 1
	s_mov_b32 s13, exec_lo
	s_delay_alu instid0(VALU_DEP_2)
	v_cmpx_ne_u32_e32 0x80, v6
	s_cbranch_execz .LBB442_2026
; %bb.2021:                             ;   in Loop: Header=BB442_1382 Depth=1
	v_bfe_u32 v3, v3, 24, 7
	v_mov_b32_e32 v2, 0x7f800001
	s_mov_b32 s15, exec_lo
	s_delay_alu instid0(VALU_DEP_2)
	v_cmpx_ne_u32_e32 0x7f, v3
	s_cbranch_execz .LBB442_2025
; %bb.2022:                             ;   in Loop: Header=BB442_1382 Depth=1
	v_and_b32_e32 v9, 7, v6
	v_lshrrev_b32_e32 v7, 3, v3
	v_cmp_gt_u32_e64 s0, 8, v3
	s_delay_alu instid0(VALU_DEP_3) | instskip(NEXT) | instid1(VALU_DEP_2)
	v_dual_mov_b32 v2, v9 :: v_dual_mov_b32 v3, v10
	s_and_saveexec_b32 s16, s0
; %bb.2023:                             ;   in Loop: Header=BB442_1382 Depth=1
	v_clz_i32_u32_e32 v2, v9
	s_delay_alu instid0(VALU_DEP_1) | instskip(NEXT) | instid1(VALU_DEP_1)
	v_min_u32_e32 v7, 32, v2
	v_subrev_nc_u32_e32 v2, 28, v7
	v_sub_nc_u32_e32 v7, 29, v7
	s_delay_alu instid0(VALU_DEP_2) | instskip(NEXT) | instid1(VALU_DEP_1)
	v_lshlrev_b64 v[2:3], v2, v[9:10]
	v_and_b32_e32 v2, 7, v2
; %bb.2024:                             ;   in Loop: Header=BB442_1382 Depth=1
	s_or_b32 exec_lo, exec_lo, s16
	v_lshlrev_b32_e32 v3, 24, v6
	s_delay_alu instid0(VALU_DEP_2) | instskip(SKIP_1) | instid1(VALU_DEP_3)
	v_lshlrev_b32_e32 v2, 20, v2
	v_lshl_add_u32 v6, v7, 23, 0x3c000000
	v_and_b32_e32 v3, 0x80000000, v3
	s_delay_alu instid0(VALU_DEP_1)
	v_or3_b32 v2, v2, v3, v6
.LBB442_2025:                           ;   in Loop: Header=BB442_1382 Depth=1
	s_or_b32 exec_lo, exec_lo, s15
.LBB442_2026:                           ;   in Loop: Header=BB442_1382 Depth=1
	s_delay_alu instid0(SALU_CYCLE_1)
	s_or_b32 exec_lo, exec_lo, s13
.LBB442_2027:                           ;   in Loop: Header=BB442_1382 Depth=1
	s_delay_alu instid0(SALU_CYCLE_1) | instskip(NEXT) | instid1(VALU_DEP_1)
	s_or_b32 exec_lo, exec_lo, s12
	v_mul_f32_e32 v3, v8, v2
	s_delay_alu instid0(VALU_DEP_1) | instskip(NEXT) | instid1(VALU_DEP_1)
	v_and_b32_e32 v2, 0x7f800000, v3
	v_cmp_ne_u32_e64 s0, 0x7f800000, v2
                                        ; implicit-def: $vgpr2
	s_delay_alu instid0(VALU_DEP_1) | instskip(NEXT) | instid1(SALU_CYCLE_1)
	s_and_saveexec_b32 s12, s0
	s_xor_b32 s0, exec_lo, s12
; %bb.2028:                             ;   in Loop: Header=BB442_1382 Depth=1
	v_bfe_u32 v2, v3, 16, 1
	s_delay_alu instid0(VALU_DEP_1)
	v_add3_u32 v2, v3, v2, 0x7fff
                                        ; implicit-def: $vgpr3
; %bb.2029:                             ;   in Loop: Header=BB442_1382 Depth=1
	s_and_not1_saveexec_b32 s12, s0
; %bb.2030:                             ;   in Loop: Header=BB442_1382 Depth=1
	v_and_b32_e32 v2, 0xffff, v3
	v_or_b32_e32 v6, 0x10000, v3
	s_delay_alu instid0(VALU_DEP_2) | instskip(NEXT) | instid1(VALU_DEP_1)
	v_cmp_eq_u32_e64 s0, 0, v2
	v_cndmask_b32_e64 v2, v6, v3, s0
; %bb.2031:                             ;   in Loop: Header=BB442_1382 Depth=1
	s_or_b32 exec_lo, exec_lo, s12
	v_lshrrev_b32_e32 v6, 16, v164
	v_lshrrev_b32_e32 v7, 16, v39
	;; [unrolled: 1-line block ×8, first 2 shown]
	s_and_saveexec_b32 s12, vcc_lo
	s_cbranch_execz .LBB442_2033
; %bb.2032:                             ;   in Loop: Header=BB442_1382 Depth=1
	v_cmp_lt_i32_e64 s0, v84, v38
	s_delay_alu instid0(VALU_DEP_1) | instskip(SKIP_1) | instid1(VALU_DEP_1)
	v_cndmask_b32_e64 v4, 0, v4, s0
	v_cmp_lt_i32_e64 s0, v99, v38
	v_cndmask_b32_e64 v5, 0, v5, s0
	v_cmp_lt_i32_e64 s0, v98, v38
	s_delay_alu instid0(VALU_DEP_1) | instskip(SKIP_1) | instid1(VALU_DEP_1)
	v_cndmask_b32_e64 v21, 0, v21, s0
	v_cmp_lt_i32_e64 s0, v97, v38
	v_cndmask_b32_e64 v9, 0, v9, s0
	;; [unrolled: 5-line block ×4, first 2 shown]
.LBB442_2033:                           ;   in Loop: Header=BB442_1382 Depth=1
	s_or_b32 exec_lo, exec_lo, s12
	v_lshlrev_b32_e32 v4, 16, v4
                                        ; implicit-def: $vgpr164
	s_delay_alu instid0(VALU_DEP_1) | instskip(NEXT) | instid1(VALU_DEP_1)
	v_mul_f32_e32 v4, v100, v4
	v_and_b32_e32 v37, 0x7f800000, v4
	s_delay_alu instid0(VALU_DEP_1) | instskip(NEXT) | instid1(VALU_DEP_1)
	v_cmp_ne_u32_e64 s0, 0x7f800000, v37
	s_and_saveexec_b32 s12, s0
	s_delay_alu instid0(SALU_CYCLE_1)
	s_xor_b32 s0, exec_lo, s12
; %bb.2034:                             ;   in Loop: Header=BB442_1382 Depth=1
	v_bfe_u32 v37, v4, 16, 1
	s_delay_alu instid0(VALU_DEP_1)
	v_add3_u32 v164, v4, v37, 0x7fff
                                        ; implicit-def: $vgpr4
; %bb.2035:                             ;   in Loop: Header=BB442_1382 Depth=1
	s_and_not1_saveexec_b32 s12, s0
; %bb.2036:                             ;   in Loop: Header=BB442_1382 Depth=1
	v_and_b32_e32 v37, 0xffff, v4
	v_or_b32_e32 v39, 0x10000, v4
	s_delay_alu instid0(VALU_DEP_2) | instskip(NEXT) | instid1(VALU_DEP_1)
	v_cmp_eq_u32_e64 s0, 0, v37
	v_cndmask_b32_e64 v164, v39, v4, s0
; %bb.2037:                             ;   in Loop: Header=BB442_1382 Depth=1
	s_or_b32 exec_lo, exec_lo, s12
	v_lshlrev_b32_e32 v4, 16, v5
                                        ; implicit-def: $vgpr165
	s_delay_alu instid0(VALU_DEP_1) | instskip(NEXT) | instid1(VALU_DEP_1)
	v_mul_f32_e32 v4, v101, v4
	v_and_b32_e32 v5, 0x7f800000, v4
	s_delay_alu instid0(VALU_DEP_1) | instskip(NEXT) | instid1(VALU_DEP_1)
	v_cmp_ne_u32_e64 s0, 0x7f800000, v5
	s_and_saveexec_b32 s12, s0
	s_delay_alu instid0(SALU_CYCLE_1)
	s_xor_b32 s0, exec_lo, s12
; %bb.2038:                             ;   in Loop: Header=BB442_1382 Depth=1
	v_bfe_u32 v5, v4, 16, 1
	s_delay_alu instid0(VALU_DEP_1)
	v_add3_u32 v165, v4, v5, 0x7fff
                                        ; implicit-def: $vgpr4
; %bb.2039:                             ;   in Loop: Header=BB442_1382 Depth=1
	s_and_not1_saveexec_b32 s12, s0
; %bb.2040:                             ;   in Loop: Header=BB442_1382 Depth=1
	v_and_b32_e32 v5, 0xffff, v4
	v_or_b32_e32 v37, 0x10000, v4
	s_delay_alu instid0(VALU_DEP_2) | instskip(NEXT) | instid1(VALU_DEP_1)
	v_cmp_eq_u32_e64 s0, 0, v5
	v_cndmask_b32_e64 v165, v37, v4, s0
; %bb.2041:                             ;   in Loop: Header=BB442_1382 Depth=1
	s_or_b32 exec_lo, exec_lo, s12
	v_lshlrev_b32_e32 v4, 16, v21
                                        ; implicit-def: $vgpr166
	s_delay_alu instid0(VALU_DEP_1) | instskip(NEXT) | instid1(VALU_DEP_1)
	v_mul_f32_e32 v4, v102, v4
	v_and_b32_e32 v5, 0x7f800000, v4
	s_delay_alu instid0(VALU_DEP_1) | instskip(NEXT) | instid1(VALU_DEP_1)
	v_cmp_ne_u32_e64 s0, 0x7f800000, v5
	s_and_saveexec_b32 s12, s0
	s_delay_alu instid0(SALU_CYCLE_1)
	s_xor_b32 s0, exec_lo, s12
; %bb.2042:                             ;   in Loop: Header=BB442_1382 Depth=1
	v_bfe_u32 v5, v4, 16, 1
	s_delay_alu instid0(VALU_DEP_1)
	v_add3_u32 v166, v4, v5, 0x7fff
                                        ; implicit-def: $vgpr4
; %bb.2043:                             ;   in Loop: Header=BB442_1382 Depth=1
	s_and_not1_saveexec_b32 s12, s0
; %bb.2044:                             ;   in Loop: Header=BB442_1382 Depth=1
	v_and_b32_e32 v5, 0xffff, v4
	v_or_b32_e32 v21, 0x10000, v4
	s_delay_alu instid0(VALU_DEP_2) | instskip(NEXT) | instid1(VALU_DEP_1)
	v_cmp_eq_u32_e64 s0, 0, v5
	v_cndmask_b32_e64 v166, v21, v4, s0
; %bb.2045:                             ;   in Loop: Header=BB442_1382 Depth=1
	s_or_b32 exec_lo, exec_lo, s12
	v_lshlrev_b32_e32 v4, 16, v9
                                        ; implicit-def: $vgpr167
	s_delay_alu instid0(VALU_DEP_1) | instskip(NEXT) | instid1(VALU_DEP_1)
	v_mul_f32_e32 v4, v103, v4
	v_and_b32_e32 v5, 0x7f800000, v4
	s_delay_alu instid0(VALU_DEP_1) | instskip(NEXT) | instid1(VALU_DEP_1)
	v_cmp_ne_u32_e64 s0, 0x7f800000, v5
	s_and_saveexec_b32 s12, s0
	s_delay_alu instid0(SALU_CYCLE_1)
	s_xor_b32 s0, exec_lo, s12
; %bb.2046:                             ;   in Loop: Header=BB442_1382 Depth=1
	v_bfe_u32 v5, v4, 16, 1
	s_delay_alu instid0(VALU_DEP_1)
	v_add3_u32 v167, v4, v5, 0x7fff
                                        ; implicit-def: $vgpr4
; %bb.2047:                             ;   in Loop: Header=BB442_1382 Depth=1
	s_and_not1_saveexec_b32 s12, s0
; %bb.2048:                             ;   in Loop: Header=BB442_1382 Depth=1
	v_and_b32_e32 v5, 0xffff, v4
	v_or_b32_e32 v9, 0x10000, v4
	s_delay_alu instid0(VALU_DEP_2) | instskip(NEXT) | instid1(VALU_DEP_1)
	v_cmp_eq_u32_e64 s0, 0, v5
	v_cndmask_b32_e64 v167, v9, v4, s0
; %bb.2049:                             ;   in Loop: Header=BB442_1382 Depth=1
	s_or_b32 exec_lo, exec_lo, s12
	v_lshlrev_b32_e32 v4, 16, v7
                                        ; implicit-def: $vgpr176
	s_delay_alu instid0(VALU_DEP_1) | instskip(NEXT) | instid1(VALU_DEP_1)
	v_mul_f32_e32 v4, v112, v4
	v_and_b32_e32 v5, 0x7f800000, v4
	s_delay_alu instid0(VALU_DEP_1) | instskip(NEXT) | instid1(VALU_DEP_1)
	v_cmp_ne_u32_e64 s0, 0x7f800000, v5
	s_and_saveexec_b32 s12, s0
	s_delay_alu instid0(SALU_CYCLE_1)
	s_xor_b32 s0, exec_lo, s12
; %bb.2050:                             ;   in Loop: Header=BB442_1382 Depth=1
	v_bfe_u32 v5, v4, 16, 1
	s_delay_alu instid0(VALU_DEP_1)
	v_add3_u32 v176, v4, v5, 0x7fff
                                        ; implicit-def: $vgpr4
; %bb.2051:                             ;   in Loop: Header=BB442_1382 Depth=1
	s_and_not1_saveexec_b32 s12, s0
; %bb.2052:                             ;   in Loop: Header=BB442_1382 Depth=1
	v_and_b32_e32 v5, 0xffff, v4
	v_or_b32_e32 v7, 0x10000, v4
	s_delay_alu instid0(VALU_DEP_2) | instskip(NEXT) | instid1(VALU_DEP_1)
	v_cmp_eq_u32_e64 s0, 0, v5
	v_cndmask_b32_e64 v176, v7, v4, s0
; %bb.2053:                             ;   in Loop: Header=BB442_1382 Depth=1
	s_or_b32 exec_lo, exec_lo, s12
	v_lshlrev_b32_e32 v4, 16, v6
                                        ; implicit-def: $vgpr177
	s_delay_alu instid0(VALU_DEP_1) | instskip(NEXT) | instid1(VALU_DEP_1)
	v_mul_f32_e32 v4, v113, v4
	v_and_b32_e32 v5, 0x7f800000, v4
	s_delay_alu instid0(VALU_DEP_1) | instskip(NEXT) | instid1(VALU_DEP_1)
	v_cmp_ne_u32_e64 s0, 0x7f800000, v5
	s_and_saveexec_b32 s12, s0
	s_delay_alu instid0(SALU_CYCLE_1)
	s_xor_b32 s0, exec_lo, s12
; %bb.2054:                             ;   in Loop: Header=BB442_1382 Depth=1
	v_bfe_u32 v5, v4, 16, 1
	s_delay_alu instid0(VALU_DEP_1)
	v_add3_u32 v177, v4, v5, 0x7fff
                                        ; implicit-def: $vgpr4
; %bb.2055:                             ;   in Loop: Header=BB442_1382 Depth=1
	s_and_not1_saveexec_b32 s12, s0
; %bb.2056:                             ;   in Loop: Header=BB442_1382 Depth=1
	v_and_b32_e32 v5, 0xffff, v4
	v_or_b32_e32 v6, 0x10000, v4
	s_delay_alu instid0(VALU_DEP_2) | instskip(NEXT) | instid1(VALU_DEP_1)
	v_cmp_eq_u32_e64 s0, 0, v5
	v_cndmask_b32_e64 v177, v6, v4, s0
; %bb.2057:                             ;   in Loop: Header=BB442_1382 Depth=1
	s_or_b32 exec_lo, exec_lo, s12
	v_lshlrev_b32_e32 v3, 16, v3
                                        ; implicit-def: $vgpr178
	s_delay_alu instid0(VALU_DEP_1) | instskip(NEXT) | instid1(VALU_DEP_1)
	v_mul_f32_e32 v3, v114, v3
	v_and_b32_e32 v4, 0x7f800000, v3
	s_delay_alu instid0(VALU_DEP_1) | instskip(NEXT) | instid1(VALU_DEP_1)
	v_cmp_ne_u32_e64 s0, 0x7f800000, v4
	s_and_saveexec_b32 s12, s0
	s_delay_alu instid0(SALU_CYCLE_1)
	s_xor_b32 s0, exec_lo, s12
; %bb.2058:                             ;   in Loop: Header=BB442_1382 Depth=1
	v_bfe_u32 v4, v3, 16, 1
	s_delay_alu instid0(VALU_DEP_1)
	v_add3_u32 v178, v3, v4, 0x7fff
                                        ; implicit-def: $vgpr3
; %bb.2059:                             ;   in Loop: Header=BB442_1382 Depth=1
	s_and_not1_saveexec_b32 s12, s0
; %bb.2060:                             ;   in Loop: Header=BB442_1382 Depth=1
	v_and_b32_e32 v4, 0xffff, v3
	v_or_b32_e32 v5, 0x10000, v3
	s_delay_alu instid0(VALU_DEP_2) | instskip(NEXT) | instid1(VALU_DEP_1)
	v_cmp_eq_u32_e64 s0, 0, v4
	v_cndmask_b32_e64 v178, v5, v3, s0
; %bb.2061:                             ;   in Loop: Header=BB442_1382 Depth=1
	s_or_b32 exec_lo, exec_lo, s12
	v_lshlrev_b32_e32 v2, 16, v2
                                        ; implicit-def: $vgpr179
	s_delay_alu instid0(VALU_DEP_1) | instskip(NEXT) | instid1(VALU_DEP_1)
	v_mul_f32_e32 v2, v115, v2
	v_and_b32_e32 v3, 0x7f800000, v2
	s_delay_alu instid0(VALU_DEP_1) | instskip(NEXT) | instid1(VALU_DEP_1)
	v_cmp_ne_u32_e64 s0, 0x7f800000, v3
	s_and_saveexec_b32 s12, s0
	s_delay_alu instid0(SALU_CYCLE_1)
	s_xor_b32 s0, exec_lo, s12
; %bb.2062:                             ;   in Loop: Header=BB442_1382 Depth=1
	v_bfe_u32 v3, v2, 16, 1
	s_delay_alu instid0(VALU_DEP_1)
	v_add3_u32 v179, v2, v3, 0x7fff
                                        ; implicit-def: $vgpr2
; %bb.2063:                             ;   in Loop: Header=BB442_1382 Depth=1
	s_and_not1_saveexec_b32 s12, s0
; %bb.2064:                             ;   in Loop: Header=BB442_1382 Depth=1
	v_and_b32_e32 v3, 0xffff, v2
	v_or_b32_e32 v4, 0x10000, v2
	s_delay_alu instid0(VALU_DEP_2) | instskip(NEXT) | instid1(VALU_DEP_1)
	v_cmp_eq_u32_e64 s0, 0, v3
	v_cndmask_b32_e64 v179, v4, v2, s0
; %bb.2065:                             ;   in Loop: Header=BB442_1382 Depth=1
	s_or_b32 exec_lo, exec_lo, s12
	flat_load_b64 v[2:3], v[0:1] offset:1280
	s_mov_b32 s12, exec_lo
	s_waitcnt vmcnt(0) lgkmcnt(0)
	v_dual_mov_b32 v4, 0 :: v_dual_and_b32 v5, 0xff, v2
	s_delay_alu instid0(VALU_DEP_1)
	v_cmpx_ne_u16_e32 0, v5
	s_cbranch_execz .LBB442_2073
; %bb.2066:                             ;   in Loop: Header=BB442_1382 Depth=1
	v_bfrev_b32_e32 v4, 1
	s_mov_b32 s13, exec_lo
	v_cmpx_ne_u16_e32 0x80, v5
	s_cbranch_execz .LBB442_2072
; %bb.2067:                             ;   in Loop: Header=BB442_1382 Depth=1
	v_and_b32_e32 v5, 0x7f, v2
	v_mov_b32_e32 v4, 0x7f800001
	s_mov_b32 s15, exec_lo
	s_delay_alu instid0(VALU_DEP_2)
	v_cmpx_ne_u32_e32 0x7f, v5
	s_cbranch_execz .LBB442_2071
; %bb.2068:                             ;   in Loop: Header=BB442_1382 Depth=1
	v_lshrrev_b32_e32 v4, 3, v5
	v_dual_mov_b32 v7, v3 :: v_dual_mov_b32 v6, v2
	s_mov_b32 s16, exec_lo
	v_cmpx_gt_u32_e32 8, v5
; %bb.2069:                             ;   in Loop: Header=BB442_1382 Depth=1
	v_and_b32_e32 v4, 7, v2
	s_delay_alu instid0(VALU_DEP_1) | instskip(NEXT) | instid1(VALU_DEP_1)
	v_clz_i32_u32_e32 v4, v4
	v_min_u32_e32 v4, 32, v4
	s_delay_alu instid0(VALU_DEP_1) | instskip(SKIP_1) | instid1(VALU_DEP_2)
	v_subrev_nc_u32_e32 v5, 28, v4
	v_sub_nc_u32_e32 v4, 29, v4
	v_lshlrev_b64 v[6:7], v5, v[2:3]
; %bb.2070:                             ;   in Loop: Header=BB442_1382 Depth=1
	s_or_b32 exec_lo, exec_lo, s16
	s_delay_alu instid0(VALU_DEP_1) | instskip(SKIP_2) | instid1(VALU_DEP_3)
	v_lshlrev_b32_e32 v5, 20, v6
	v_lshlrev_b32_e32 v6, 24, v2
	v_lshl_add_u32 v4, v4, 23, 0x3c000000
	v_and_b32_e32 v5, 0x700000, v5
	s_delay_alu instid0(VALU_DEP_3) | instskip(NEXT) | instid1(VALU_DEP_1)
	v_and_b32_e32 v6, 0x80000000, v6
	v_or3_b32 v4, v5, v6, v4
.LBB442_2071:                           ;   in Loop: Header=BB442_1382 Depth=1
	s_or_b32 exec_lo, exec_lo, s15
.LBB442_2072:                           ;   in Loop: Header=BB442_1382 Depth=1
	s_delay_alu instid0(SALU_CYCLE_1)
	s_or_b32 exec_lo, exec_lo, s13
.LBB442_2073:                           ;   in Loop: Header=BB442_1382 Depth=1
	s_delay_alu instid0(SALU_CYCLE_1) | instskip(NEXT) | instid1(VALU_DEP_1)
	s_or_b32 exec_lo, exec_lo, s12
	v_mul_f32_e32 v5, v8, v4
	s_delay_alu instid0(VALU_DEP_1) | instskip(NEXT) | instid1(VALU_DEP_1)
	v_and_b32_e32 v4, 0x7f800000, v5
	v_cmp_ne_u32_e64 s0, 0x7f800000, v4
                                        ; implicit-def: $vgpr4
	s_delay_alu instid0(VALU_DEP_1) | instskip(NEXT) | instid1(SALU_CYCLE_1)
	s_and_saveexec_b32 s12, s0
	s_xor_b32 s0, exec_lo, s12
; %bb.2074:                             ;   in Loop: Header=BB442_1382 Depth=1
	v_bfe_u32 v4, v5, 16, 1
	s_delay_alu instid0(VALU_DEP_1)
	v_add3_u32 v4, v5, v4, 0x7fff
                                        ; implicit-def: $vgpr5
; %bb.2075:                             ;   in Loop: Header=BB442_1382 Depth=1
	s_and_not1_saveexec_b32 s12, s0
; %bb.2076:                             ;   in Loop: Header=BB442_1382 Depth=1
	v_and_b32_e32 v4, 0xffff, v5
	v_or_b32_e32 v6, 0x10000, v5
	s_delay_alu instid0(VALU_DEP_2) | instskip(NEXT) | instid1(VALU_DEP_1)
	v_cmp_eq_u32_e64 s0, 0, v4
	v_cndmask_b32_e64 v4, v6, v5, s0
; %bb.2077:                             ;   in Loop: Header=BB442_1382 Depth=1
	s_or_b32 exec_lo, exec_lo, s12
	v_lshrrev_b16 v6, 8, v2
	v_mov_b32_e32 v5, 0
	s_mov_b32 s12, exec_lo
	s_delay_alu instid0(VALU_DEP_2)
	v_cmpx_ne_u16_e32 0, v6
	s_cbranch_execz .LBB442_2085
; %bb.2078:                             ;   in Loop: Header=BB442_1382 Depth=1
	v_bfrev_b32_e32 v5, 1
	s_mov_b32 s13, exec_lo
	v_cmpx_ne_u16_e32 0x80, v6
	s_cbranch_execz .LBB442_2084
; %bb.2079:                             ;   in Loop: Header=BB442_1382 Depth=1
	v_and_b32_e32 v7, 0xffff, v6
	v_mov_b32_e32 v5, 0x7f800001
	s_mov_b32 s15, exec_lo
	s_delay_alu instid0(VALU_DEP_2) | instskip(NEXT) | instid1(VALU_DEP_1)
	v_and_b32_e32 v6, 0x7f, v7
	v_cmpx_ne_u32_e32 0x7f, v6
	s_cbranch_execz .LBB442_2083
; %bb.2080:                             ;   in Loop: Header=BB442_1382 Depth=1
	v_and_b32_e32 v9, 7, v7
	v_lshrrev_b32_e32 v5, 3, v6
	v_cmp_gt_u32_e64 s0, 8, v6
	s_delay_alu instid0(VALU_DEP_3) | instskip(NEXT) | instid1(VALU_DEP_2)
	v_dual_mov_b32 v6, v9 :: v_dual_mov_b32 v7, v10
	s_and_saveexec_b32 s16, s0
; %bb.2081:                             ;   in Loop: Header=BB442_1382 Depth=1
	v_clz_i32_u32_e32 v5, v9
	s_delay_alu instid0(VALU_DEP_1) | instskip(NEXT) | instid1(VALU_DEP_1)
	v_min_u32_e32 v5, 32, v5
	v_subrev_nc_u32_e32 v6, 28, v5
	v_sub_nc_u32_e32 v5, 29, v5
	s_delay_alu instid0(VALU_DEP_2) | instskip(NEXT) | instid1(VALU_DEP_1)
	v_lshlrev_b64 v[6:7], v6, v[9:10]
	v_and_b32_e32 v6, 7, v6
; %bb.2082:                             ;   in Loop: Header=BB442_1382 Depth=1
	s_or_b32 exec_lo, exec_lo, s16
	v_lshlrev_b32_e32 v7, 16, v2
	s_delay_alu instid0(VALU_DEP_2) | instskip(SKIP_1) | instid1(VALU_DEP_3)
	v_lshlrev_b32_e32 v6, 20, v6
	v_lshl_add_u32 v5, v5, 23, 0x3c000000
	v_and_b32_e32 v7, 0x80000000, v7
	s_delay_alu instid0(VALU_DEP_1)
	v_or3_b32 v5, v6, v7, v5
.LBB442_2083:                           ;   in Loop: Header=BB442_1382 Depth=1
	s_or_b32 exec_lo, exec_lo, s15
.LBB442_2084:                           ;   in Loop: Header=BB442_1382 Depth=1
	s_delay_alu instid0(SALU_CYCLE_1)
	s_or_b32 exec_lo, exec_lo, s13
.LBB442_2085:                           ;   in Loop: Header=BB442_1382 Depth=1
	s_delay_alu instid0(SALU_CYCLE_1) | instskip(NEXT) | instid1(VALU_DEP_1)
	s_or_b32 exec_lo, exec_lo, s12
	v_mul_f32_e32 v6, v8, v5
	s_delay_alu instid0(VALU_DEP_1) | instskip(NEXT) | instid1(VALU_DEP_1)
	v_and_b32_e32 v5, 0x7f800000, v6
	v_cmp_ne_u32_e64 s0, 0x7f800000, v5
                                        ; implicit-def: $vgpr5
	s_delay_alu instid0(VALU_DEP_1) | instskip(NEXT) | instid1(SALU_CYCLE_1)
	s_and_saveexec_b32 s12, s0
	s_xor_b32 s0, exec_lo, s12
; %bb.2086:                             ;   in Loop: Header=BB442_1382 Depth=1
	v_bfe_u32 v5, v6, 16, 1
	s_delay_alu instid0(VALU_DEP_1)
	v_add3_u32 v5, v6, v5, 0x7fff
                                        ; implicit-def: $vgpr6
; %bb.2087:                             ;   in Loop: Header=BB442_1382 Depth=1
	s_and_not1_saveexec_b32 s12, s0
; %bb.2088:                             ;   in Loop: Header=BB442_1382 Depth=1
	v_and_b32_e32 v5, 0xffff, v6
	v_or_b32_e32 v7, 0x10000, v6
	s_delay_alu instid0(VALU_DEP_2) | instskip(NEXT) | instid1(VALU_DEP_1)
	v_cmp_eq_u32_e64 s0, 0, v5
	v_cndmask_b32_e64 v5, v7, v6, s0
; %bb.2089:                             ;   in Loop: Header=BB442_1382 Depth=1
	s_or_b32 exec_lo, exec_lo, s12
	v_lshrrev_b32_e32 v21, 16, v2
	s_mov_b32 s12, exec_lo
	s_delay_alu instid0(VALU_DEP_1) | instskip(NEXT) | instid1(VALU_DEP_1)
	v_dual_mov_b32 v6, 0 :: v_dual_and_b32 v7, 0xff, v21
	v_cmpx_ne_u16_e32 0, v7
	s_cbranch_execz .LBB442_2097
; %bb.2090:                             ;   in Loop: Header=BB442_1382 Depth=1
	v_bfrev_b32_e32 v6, 1
	s_mov_b32 s13, exec_lo
	v_cmpx_ne_u16_e32 0x80, v7
	s_cbranch_execz .LBB442_2096
; %bb.2091:                             ;   in Loop: Header=BB442_1382 Depth=1
	v_bfe_u32 v7, v2, 16, 7
	v_mov_b32_e32 v6, 0x7f800001
	s_mov_b32 s15, exec_lo
	s_delay_alu instid0(VALU_DEP_2)
	v_cmpx_ne_u32_e32 0x7f, v7
	s_cbranch_execz .LBB442_2095
; %bb.2092:                             ;   in Loop: Header=BB442_1382 Depth=1
	v_and_b32_e32 v9, 7, v21
	v_lshrrev_b32_e32 v37, 3, v7
	v_cmp_gt_u32_e64 s0, 8, v7
	s_delay_alu instid0(VALU_DEP_3) | instskip(NEXT) | instid1(VALU_DEP_2)
	v_dual_mov_b32 v6, v9 :: v_dual_mov_b32 v7, v10
	s_and_saveexec_b32 s16, s0
; %bb.2093:                             ;   in Loop: Header=BB442_1382 Depth=1
	v_clz_i32_u32_e32 v6, v9
	s_delay_alu instid0(VALU_DEP_1) | instskip(NEXT) | instid1(VALU_DEP_1)
	v_min_u32_e32 v37, 32, v6
	v_subrev_nc_u32_e32 v6, 28, v37
	v_sub_nc_u32_e32 v37, 29, v37
	s_delay_alu instid0(VALU_DEP_2) | instskip(NEXT) | instid1(VALU_DEP_1)
	v_lshlrev_b64 v[6:7], v6, v[9:10]
	v_and_b32_e32 v6, 7, v6
; %bb.2094:                             ;   in Loop: Header=BB442_1382 Depth=1
	s_or_b32 exec_lo, exec_lo, s16
	v_lshlrev_b32_e32 v7, 24, v21
	s_delay_alu instid0(VALU_DEP_2) | instskip(SKIP_1) | instid1(VALU_DEP_3)
	v_lshlrev_b32_e32 v6, 20, v6
	v_lshl_add_u32 v9, v37, 23, 0x3c000000
	v_and_b32_e32 v7, 0x80000000, v7
	s_delay_alu instid0(VALU_DEP_1)
	v_or3_b32 v6, v6, v7, v9
.LBB442_2095:                           ;   in Loop: Header=BB442_1382 Depth=1
	s_or_b32 exec_lo, exec_lo, s15
.LBB442_2096:                           ;   in Loop: Header=BB442_1382 Depth=1
	s_delay_alu instid0(SALU_CYCLE_1)
	s_or_b32 exec_lo, exec_lo, s13
.LBB442_2097:                           ;   in Loop: Header=BB442_1382 Depth=1
	s_delay_alu instid0(SALU_CYCLE_1) | instskip(NEXT) | instid1(VALU_DEP_1)
	s_or_b32 exec_lo, exec_lo, s12
	v_mul_f32_e32 v6, v8, v6
                                        ; implicit-def: $vgpr21
	s_delay_alu instid0(VALU_DEP_1) | instskip(NEXT) | instid1(VALU_DEP_1)
	v_and_b32_e32 v7, 0x7f800000, v6
	v_cmp_ne_u32_e64 s0, 0x7f800000, v7
	s_delay_alu instid0(VALU_DEP_1) | instskip(NEXT) | instid1(SALU_CYCLE_1)
	s_and_saveexec_b32 s12, s0
	s_xor_b32 s0, exec_lo, s12
; %bb.2098:                             ;   in Loop: Header=BB442_1382 Depth=1
	v_bfe_u32 v7, v6, 16, 1
	s_delay_alu instid0(VALU_DEP_1)
	v_add3_u32 v21, v6, v7, 0x7fff
                                        ; implicit-def: $vgpr6
; %bb.2099:                             ;   in Loop: Header=BB442_1382 Depth=1
	s_and_not1_saveexec_b32 s12, s0
; %bb.2100:                             ;   in Loop: Header=BB442_1382 Depth=1
	v_and_b32_e32 v7, 0xffff, v6
	v_or_b32_e32 v9, 0x10000, v6
	s_delay_alu instid0(VALU_DEP_2) | instskip(NEXT) | instid1(VALU_DEP_1)
	v_cmp_eq_u32_e64 s0, 0, v7
	v_cndmask_b32_e64 v21, v9, v6, s0
; %bb.2101:                             ;   in Loop: Header=BB442_1382 Depth=1
	s_or_b32 exec_lo, exec_lo, s12
	v_mov_b32_e32 v6, 0
	s_mov_b32 s12, exec_lo
	v_cmpx_lt_u32_e32 0xffffff, v2
	s_cbranch_execz .LBB442_2109
; %bb.2102:                             ;   in Loop: Header=BB442_1382 Depth=1
	v_lshrrev_b32_e32 v37, 24, v2
	v_bfrev_b32_e32 v6, 1
	s_mov_b32 s13, exec_lo
	s_delay_alu instid0(VALU_DEP_2)
	v_cmpx_ne_u32_e32 0x80, v37
	s_cbranch_execz .LBB442_2108
; %bb.2103:                             ;   in Loop: Header=BB442_1382 Depth=1
	v_bfe_u32 v7, v2, 24, 7
	v_mov_b32_e32 v6, 0x7f800001
	s_mov_b32 s15, exec_lo
	s_delay_alu instid0(VALU_DEP_2)
	v_cmpx_ne_u32_e32 0x7f, v7
	s_cbranch_execz .LBB442_2107
; %bb.2104:                             ;   in Loop: Header=BB442_1382 Depth=1
	v_and_b32_e32 v9, 7, v37
	v_lshrrev_b32_e32 v39, 3, v7
	v_cmp_gt_u32_e64 s0, 8, v7
	s_delay_alu instid0(VALU_DEP_3) | instskip(NEXT) | instid1(VALU_DEP_2)
	v_dual_mov_b32 v6, v9 :: v_dual_mov_b32 v7, v10
	s_and_saveexec_b32 s16, s0
; %bb.2105:                             ;   in Loop: Header=BB442_1382 Depth=1
	v_clz_i32_u32_e32 v6, v9
	s_delay_alu instid0(VALU_DEP_1) | instskip(NEXT) | instid1(VALU_DEP_1)
	v_min_u32_e32 v39, 32, v6
	v_subrev_nc_u32_e32 v6, 28, v39
	v_sub_nc_u32_e32 v39, 29, v39
	s_delay_alu instid0(VALU_DEP_2) | instskip(NEXT) | instid1(VALU_DEP_1)
	v_lshlrev_b64 v[6:7], v6, v[9:10]
	v_and_b32_e32 v6, 7, v6
; %bb.2106:                             ;   in Loop: Header=BB442_1382 Depth=1
	s_or_b32 exec_lo, exec_lo, s16
	v_lshlrev_b32_e32 v7, 24, v37
	s_delay_alu instid0(VALU_DEP_2) | instskip(SKIP_1) | instid1(VALU_DEP_3)
	v_lshlrev_b32_e32 v6, 20, v6
	v_lshl_add_u32 v9, v39, 23, 0x3c000000
	v_and_b32_e32 v7, 0x80000000, v7
	s_delay_alu instid0(VALU_DEP_1)
	v_or3_b32 v6, v6, v7, v9
.LBB442_2107:                           ;   in Loop: Header=BB442_1382 Depth=1
	s_or_b32 exec_lo, exec_lo, s15
.LBB442_2108:                           ;   in Loop: Header=BB442_1382 Depth=1
	s_delay_alu instid0(SALU_CYCLE_1)
	s_or_b32 exec_lo, exec_lo, s13
.LBB442_2109:                           ;   in Loop: Header=BB442_1382 Depth=1
	s_delay_alu instid0(SALU_CYCLE_1) | instskip(NEXT) | instid1(VALU_DEP_1)
	s_or_b32 exec_lo, exec_lo, s12
	v_mul_f32_e32 v6, v8, v6
                                        ; implicit-def: $vgpr37
	s_delay_alu instid0(VALU_DEP_1) | instskip(NEXT) | instid1(VALU_DEP_1)
	v_and_b32_e32 v7, 0x7f800000, v6
	v_cmp_ne_u32_e64 s0, 0x7f800000, v7
	s_delay_alu instid0(VALU_DEP_1) | instskip(NEXT) | instid1(SALU_CYCLE_1)
	s_and_saveexec_b32 s12, s0
	s_xor_b32 s0, exec_lo, s12
; %bb.2110:                             ;   in Loop: Header=BB442_1382 Depth=1
	v_bfe_u32 v7, v6, 16, 1
	s_delay_alu instid0(VALU_DEP_1)
	v_add3_u32 v37, v6, v7, 0x7fff
                                        ; implicit-def: $vgpr6
; %bb.2111:                             ;   in Loop: Header=BB442_1382 Depth=1
	s_and_not1_saveexec_b32 s12, s0
; %bb.2112:                             ;   in Loop: Header=BB442_1382 Depth=1
	v_and_b32_e32 v7, 0xffff, v6
	v_or_b32_e32 v9, 0x10000, v6
	s_delay_alu instid0(VALU_DEP_2) | instskip(NEXT) | instid1(VALU_DEP_1)
	v_cmp_eq_u32_e64 s0, 0, v7
	v_cndmask_b32_e64 v37, v9, v6, s0
; %bb.2113:                             ;   in Loop: Header=BB442_1382 Depth=1
	s_or_b32 exec_lo, exec_lo, s12
	v_dual_mov_b32 v6, 0 :: v_dual_and_b32 v7, 0xff, v3
	v_mov_b32_e32 v9, v3
	s_mov_b32 s12, exec_lo
	s_delay_alu instid0(VALU_DEP_2)
	v_cmpx_ne_u16_e32 0, v7
	s_cbranch_execz .LBB442_2121
; %bb.2114:                             ;   in Loop: Header=BB442_1382 Depth=1
	v_bfrev_b32_e32 v6, 1
	s_mov_b32 s13, exec_lo
	v_cmpx_ne_u16_e32 0x80, v7
	s_cbranch_execz .LBB442_2120
; %bb.2115:                             ;   in Loop: Header=BB442_1382 Depth=1
	v_and_b32_e32 v7, 0x7f, v3
	v_mov_b32_e32 v6, 0x7f800001
	s_mov_b32 s15, exec_lo
	s_delay_alu instid0(VALU_DEP_2)
	v_cmpx_ne_u32_e32 0x7f, v7
	s_cbranch_execz .LBB442_2119
; %bb.2116:                             ;   in Loop: Header=BB442_1382 Depth=1
	v_lshrrev_b32_e32 v39, 3, v7
	v_cmp_gt_u32_e64 s0, 8, v7
	v_dual_mov_b32 v6, v9 :: v_dual_mov_b32 v7, v10
	s_delay_alu instid0(VALU_DEP_2)
	s_and_saveexec_b32 s16, s0
; %bb.2117:                             ;   in Loop: Header=BB442_1382 Depth=1
	v_and_b32_e32 v6, 7, v3
	s_delay_alu instid0(VALU_DEP_1) | instskip(NEXT) | instid1(VALU_DEP_1)
	v_clz_i32_u32_e32 v6, v6
	v_min_u32_e32 v39, 32, v6
	s_delay_alu instid0(VALU_DEP_1) | instskip(SKIP_1) | instid1(VALU_DEP_2)
	v_subrev_nc_u32_e32 v6, 28, v39
	v_sub_nc_u32_e32 v39, 29, v39
	v_lshlrev_b64 v[6:7], v6, v[9:10]
; %bb.2118:                             ;   in Loop: Header=BB442_1382 Depth=1
	s_or_b32 exec_lo, exec_lo, s16
	s_delay_alu instid0(VALU_DEP_1) | instskip(SKIP_2) | instid1(VALU_DEP_3)
	v_lshlrev_b32_e32 v6, 20, v6
	v_lshlrev_b32_e32 v7, 24, v9
	v_lshl_add_u32 v39, v39, 23, 0x3c000000
	v_and_b32_e32 v6, 0x700000, v6
	s_delay_alu instid0(VALU_DEP_3) | instskip(NEXT) | instid1(VALU_DEP_1)
	v_and_b32_e32 v7, 0x80000000, v7
	v_or3_b32 v6, v6, v7, v39
.LBB442_2119:                           ;   in Loop: Header=BB442_1382 Depth=1
	s_or_b32 exec_lo, exec_lo, s15
.LBB442_2120:                           ;   in Loop: Header=BB442_1382 Depth=1
	s_delay_alu instid0(SALU_CYCLE_1)
	s_or_b32 exec_lo, exec_lo, s13
.LBB442_2121:                           ;   in Loop: Header=BB442_1382 Depth=1
	s_delay_alu instid0(SALU_CYCLE_1) | instskip(NEXT) | instid1(VALU_DEP_1)
	s_or_b32 exec_lo, exec_lo, s12
	v_mul_f32_e32 v6, v8, v6
                                        ; implicit-def: $vgpr39
	s_delay_alu instid0(VALU_DEP_1) | instskip(NEXT) | instid1(VALU_DEP_1)
	v_and_b32_e32 v7, 0x7f800000, v6
	v_cmp_ne_u32_e64 s0, 0x7f800000, v7
	s_delay_alu instid0(VALU_DEP_1) | instskip(NEXT) | instid1(SALU_CYCLE_1)
	s_and_saveexec_b32 s12, s0
	s_xor_b32 s0, exec_lo, s12
; %bb.2122:                             ;   in Loop: Header=BB442_1382 Depth=1
	v_bfe_u32 v7, v6, 16, 1
	s_delay_alu instid0(VALU_DEP_1)
	v_add3_u32 v39, v6, v7, 0x7fff
                                        ; implicit-def: $vgpr6
; %bb.2123:                             ;   in Loop: Header=BB442_1382 Depth=1
	s_and_not1_saveexec_b32 s12, s0
; %bb.2124:                             ;   in Loop: Header=BB442_1382 Depth=1
	v_and_b32_e32 v7, 0xffff, v6
	v_or_b32_e32 v39, 0x10000, v6
	s_delay_alu instid0(VALU_DEP_2) | instskip(NEXT) | instid1(VALU_DEP_1)
	v_cmp_eq_u32_e64 s0, 0, v7
	v_cndmask_b32_e64 v39, v39, v6, s0
; %bb.2125:                             ;   in Loop: Header=BB442_1382 Depth=1
	s_or_b32 exec_lo, exec_lo, s12
	v_lshrrev_b16 v7, 8, v9
	v_mov_b32_e32 v6, 0
	s_mov_b32 s12, exec_lo
	s_delay_alu instid0(VALU_DEP_2)
	v_cmpx_ne_u16_e32 0, v7
	s_cbranch_execz .LBB442_2133
; %bb.2126:                             ;   in Loop: Header=BB442_1382 Depth=1
	v_bfrev_b32_e32 v6, 1
	s_mov_b32 s13, exec_lo
	v_cmpx_ne_u16_e32 0x80, v7
	s_cbranch_execz .LBB442_2132
; %bb.2127:                             ;   in Loop: Header=BB442_1382 Depth=1
	v_and_b32_e32 v7, 0xffff, v7
	v_mov_b32_e32 v6, 0x7f800001
	s_mov_b32 s15, exec_lo
	s_delay_alu instid0(VALU_DEP_2) | instskip(NEXT) | instid1(VALU_DEP_1)
	v_and_b32_e32 v181, 0x7f, v7
	v_cmpx_ne_u32_e32 0x7f, v181
	s_cbranch_execz .LBB442_2131
; %bb.2128:                             ;   in Loop: Header=BB442_1382 Depth=1
	v_dual_mov_b32 v7, v10 :: v_dual_and_b32 v6, 7, v7
	v_lshrrev_b32_e32 v180, 3, v181
	s_mov_b32 s16, exec_lo
	v_cmpx_gt_u32_e32 8, v181
; %bb.2129:                             ;   in Loop: Header=BB442_1382 Depth=1
	s_delay_alu instid0(VALU_DEP_3) | instskip(NEXT) | instid1(VALU_DEP_1)
	v_clz_i32_u32_e32 v180, v6
	v_min_u32_e32 v180, 32, v180
	s_delay_alu instid0(VALU_DEP_1) | instskip(SKIP_1) | instid1(VALU_DEP_2)
	v_subrev_nc_u32_e32 v181, 28, v180
	v_sub_nc_u32_e32 v180, 29, v180
	v_lshlrev_b64 v[6:7], v181, v[6:7]
	s_delay_alu instid0(VALU_DEP_1)
	v_and_b32_e32 v6, 7, v6
; %bb.2130:                             ;   in Loop: Header=BB442_1382 Depth=1
	s_or_b32 exec_lo, exec_lo, s16
	v_lshlrev_b32_e32 v7, 16, v9
	s_delay_alu instid0(VALU_DEP_2) | instskip(SKIP_1) | instid1(VALU_DEP_3)
	v_lshlrev_b32_e32 v6, 20, v6
	v_lshl_add_u32 v9, v180, 23, 0x3c000000
	v_and_b32_e32 v7, 0x80000000, v7
	s_delay_alu instid0(VALU_DEP_1)
	v_or3_b32 v6, v6, v7, v9
.LBB442_2131:                           ;   in Loop: Header=BB442_1382 Depth=1
	s_or_b32 exec_lo, exec_lo, s15
.LBB442_2132:                           ;   in Loop: Header=BB442_1382 Depth=1
	s_delay_alu instid0(SALU_CYCLE_1)
	s_or_b32 exec_lo, exec_lo, s13
.LBB442_2133:                           ;   in Loop: Header=BB442_1382 Depth=1
	s_delay_alu instid0(SALU_CYCLE_1) | instskip(NEXT) | instid1(VALU_DEP_1)
	s_or_b32 exec_lo, exec_lo, s12
	v_mul_f32_e32 v6, v8, v6
                                        ; implicit-def: $vgpr180
	s_delay_alu instid0(VALU_DEP_1) | instskip(NEXT) | instid1(VALU_DEP_1)
	v_and_b32_e32 v7, 0x7f800000, v6
	v_cmp_ne_u32_e64 s0, 0x7f800000, v7
	s_delay_alu instid0(VALU_DEP_1) | instskip(NEXT) | instid1(SALU_CYCLE_1)
	s_and_saveexec_b32 s12, s0
	s_xor_b32 s0, exec_lo, s12
; %bb.2134:                             ;   in Loop: Header=BB442_1382 Depth=1
	v_bfe_u32 v7, v6, 16, 1
	s_delay_alu instid0(VALU_DEP_1)
	v_add3_u32 v180, v6, v7, 0x7fff
                                        ; implicit-def: $vgpr6
; %bb.2135:                             ;   in Loop: Header=BB442_1382 Depth=1
	s_and_not1_saveexec_b32 s12, s0
; %bb.2136:                             ;   in Loop: Header=BB442_1382 Depth=1
	v_and_b32_e32 v7, 0xffff, v6
	v_or_b32_e32 v9, 0x10000, v6
	s_delay_alu instid0(VALU_DEP_2) | instskip(NEXT) | instid1(VALU_DEP_1)
	v_cmp_eq_u32_e64 s0, 0, v7
	v_cndmask_b32_e64 v180, v9, v6, s0
; %bb.2137:                             ;   in Loop: Header=BB442_1382 Depth=1
	s_or_b32 exec_lo, exec_lo, s12
	v_lshrrev_b32_e32 v181, 16, v3
	s_mov_b32 s12, exec_lo
	s_delay_alu instid0(VALU_DEP_1) | instskip(NEXT) | instid1(VALU_DEP_1)
	v_dual_mov_b32 v6, 0 :: v_dual_and_b32 v7, 0xff, v181
	v_cmpx_ne_u16_e32 0, v7
	s_cbranch_execz .LBB442_2145
; %bb.2138:                             ;   in Loop: Header=BB442_1382 Depth=1
	v_bfrev_b32_e32 v6, 1
	s_mov_b32 s13, exec_lo
	v_cmpx_ne_u16_e32 0x80, v7
	s_cbranch_execz .LBB442_2144
; %bb.2139:                             ;   in Loop: Header=BB442_1382 Depth=1
	v_bfe_u32 v7, v3, 16, 7
	v_mov_b32_e32 v6, 0x7f800001
	s_mov_b32 s15, exec_lo
	s_delay_alu instid0(VALU_DEP_2)
	v_cmpx_ne_u32_e32 0x7f, v7
	s_cbranch_execz .LBB442_2143
; %bb.2140:                             ;   in Loop: Header=BB442_1382 Depth=1
	v_and_b32_e32 v9, 7, v181
	v_lshrrev_b32_e32 v182, 3, v7
	v_cmp_gt_u32_e64 s0, 8, v7
	s_delay_alu instid0(VALU_DEP_3) | instskip(NEXT) | instid1(VALU_DEP_2)
	v_dual_mov_b32 v6, v9 :: v_dual_mov_b32 v7, v10
	s_and_saveexec_b32 s16, s0
; %bb.2141:                             ;   in Loop: Header=BB442_1382 Depth=1
	v_clz_i32_u32_e32 v6, v9
	s_delay_alu instid0(VALU_DEP_1) | instskip(NEXT) | instid1(VALU_DEP_1)
	v_min_u32_e32 v182, 32, v6
	v_subrev_nc_u32_e32 v6, 28, v182
	v_sub_nc_u32_e32 v182, 29, v182
	s_delay_alu instid0(VALU_DEP_2) | instskip(NEXT) | instid1(VALU_DEP_1)
	v_lshlrev_b64 v[6:7], v6, v[9:10]
	v_and_b32_e32 v6, 7, v6
; %bb.2142:                             ;   in Loop: Header=BB442_1382 Depth=1
	s_or_b32 exec_lo, exec_lo, s16
	v_lshlrev_b32_e32 v7, 24, v181
	s_delay_alu instid0(VALU_DEP_2) | instskip(SKIP_1) | instid1(VALU_DEP_3)
	v_lshlrev_b32_e32 v6, 20, v6
	v_lshl_add_u32 v9, v182, 23, 0x3c000000
	v_and_b32_e32 v7, 0x80000000, v7
	s_delay_alu instid0(VALU_DEP_1)
	v_or3_b32 v6, v6, v7, v9
.LBB442_2143:                           ;   in Loop: Header=BB442_1382 Depth=1
	s_or_b32 exec_lo, exec_lo, s15
.LBB442_2144:                           ;   in Loop: Header=BB442_1382 Depth=1
	s_delay_alu instid0(SALU_CYCLE_1)
	s_or_b32 exec_lo, exec_lo, s13
.LBB442_2145:                           ;   in Loop: Header=BB442_1382 Depth=1
	s_delay_alu instid0(SALU_CYCLE_1) | instskip(NEXT) | instid1(VALU_DEP_1)
	s_or_b32 exec_lo, exec_lo, s12
	v_mul_f32_e32 v6, v8, v6
                                        ; implicit-def: $vgpr181
	s_delay_alu instid0(VALU_DEP_1) | instskip(NEXT) | instid1(VALU_DEP_1)
	v_and_b32_e32 v7, 0x7f800000, v6
	v_cmp_ne_u32_e64 s0, 0x7f800000, v7
	s_delay_alu instid0(VALU_DEP_1) | instskip(NEXT) | instid1(SALU_CYCLE_1)
	s_and_saveexec_b32 s12, s0
	s_xor_b32 s0, exec_lo, s12
; %bb.2146:                             ;   in Loop: Header=BB442_1382 Depth=1
	v_bfe_u32 v7, v6, 16, 1
	s_delay_alu instid0(VALU_DEP_1)
	v_add3_u32 v181, v6, v7, 0x7fff
                                        ; implicit-def: $vgpr6
; %bb.2147:                             ;   in Loop: Header=BB442_1382 Depth=1
	s_and_not1_saveexec_b32 s12, s0
; %bb.2148:                             ;   in Loop: Header=BB442_1382 Depth=1
	v_and_b32_e32 v7, 0xffff, v6
	v_or_b32_e32 v9, 0x10000, v6
	s_delay_alu instid0(VALU_DEP_2) | instskip(NEXT) | instid1(VALU_DEP_1)
	v_cmp_eq_u32_e64 s0, 0, v7
	v_cndmask_b32_e64 v181, v9, v6, s0
; %bb.2149:                             ;   in Loop: Header=BB442_1382 Depth=1
	s_or_b32 exec_lo, exec_lo, s12
	v_cmp_lt_u64_e64 s0, s[8:9], v[2:3]
	v_mov_b32_e32 v2, 0
	s_delay_alu instid0(VALU_DEP_2)
	s_and_saveexec_b32 s12, s0
	s_cbranch_execz .LBB442_2157
; %bb.2150:                             ;   in Loop: Header=BB442_1382 Depth=1
	v_lshrrev_b32_e32 v6, 24, v3
	v_bfrev_b32_e32 v2, 1
	s_mov_b32 s13, exec_lo
	s_delay_alu instid0(VALU_DEP_2)
	v_cmpx_ne_u32_e32 0x80, v6
	s_cbranch_execz .LBB442_2156
; %bb.2151:                             ;   in Loop: Header=BB442_1382 Depth=1
	v_bfe_u32 v3, v3, 24, 7
	v_mov_b32_e32 v2, 0x7f800001
	s_mov_b32 s15, exec_lo
	s_delay_alu instid0(VALU_DEP_2)
	v_cmpx_ne_u32_e32 0x7f, v3
	s_cbranch_execz .LBB442_2155
; %bb.2152:                             ;   in Loop: Header=BB442_1382 Depth=1
	v_and_b32_e32 v9, 7, v6
	v_lshrrev_b32_e32 v7, 3, v3
	v_cmp_gt_u32_e64 s0, 8, v3
	s_delay_alu instid0(VALU_DEP_3) | instskip(NEXT) | instid1(VALU_DEP_2)
	v_dual_mov_b32 v2, v9 :: v_dual_mov_b32 v3, v10
	s_and_saveexec_b32 s16, s0
; %bb.2153:                             ;   in Loop: Header=BB442_1382 Depth=1
	v_clz_i32_u32_e32 v2, v9
	s_delay_alu instid0(VALU_DEP_1) | instskip(NEXT) | instid1(VALU_DEP_1)
	v_min_u32_e32 v7, 32, v2
	v_subrev_nc_u32_e32 v2, 28, v7
	v_sub_nc_u32_e32 v7, 29, v7
	s_delay_alu instid0(VALU_DEP_2) | instskip(NEXT) | instid1(VALU_DEP_1)
	v_lshlrev_b64 v[2:3], v2, v[9:10]
	v_and_b32_e32 v2, 7, v2
; %bb.2154:                             ;   in Loop: Header=BB442_1382 Depth=1
	s_or_b32 exec_lo, exec_lo, s16
	v_lshlrev_b32_e32 v3, 24, v6
	s_delay_alu instid0(VALU_DEP_2) | instskip(SKIP_1) | instid1(VALU_DEP_3)
	v_lshlrev_b32_e32 v2, 20, v2
	v_lshl_add_u32 v6, v7, 23, 0x3c000000
	v_and_b32_e32 v3, 0x80000000, v3
	s_delay_alu instid0(VALU_DEP_1)
	v_or3_b32 v2, v2, v3, v6
.LBB442_2155:                           ;   in Loop: Header=BB442_1382 Depth=1
	s_or_b32 exec_lo, exec_lo, s15
.LBB442_2156:                           ;   in Loop: Header=BB442_1382 Depth=1
	s_delay_alu instid0(SALU_CYCLE_1)
	s_or_b32 exec_lo, exec_lo, s13
.LBB442_2157:                           ;   in Loop: Header=BB442_1382 Depth=1
	s_delay_alu instid0(SALU_CYCLE_1) | instskip(NEXT) | instid1(VALU_DEP_1)
	s_or_b32 exec_lo, exec_lo, s12
	v_mul_f32_e32 v3, v8, v2
	s_delay_alu instid0(VALU_DEP_1) | instskip(NEXT) | instid1(VALU_DEP_1)
	v_and_b32_e32 v2, 0x7f800000, v3
	v_cmp_ne_u32_e64 s0, 0x7f800000, v2
                                        ; implicit-def: $vgpr2
	s_delay_alu instid0(VALU_DEP_1) | instskip(NEXT) | instid1(SALU_CYCLE_1)
	s_and_saveexec_b32 s12, s0
	s_xor_b32 s0, exec_lo, s12
; %bb.2158:                             ;   in Loop: Header=BB442_1382 Depth=1
	v_bfe_u32 v2, v3, 16, 1
	s_delay_alu instid0(VALU_DEP_1)
	v_add3_u32 v2, v3, v2, 0x7fff
                                        ; implicit-def: $vgpr3
; %bb.2159:                             ;   in Loop: Header=BB442_1382 Depth=1
	s_and_not1_saveexec_b32 s12, s0
; %bb.2160:                             ;   in Loop: Header=BB442_1382 Depth=1
	v_and_b32_e32 v2, 0xffff, v3
	v_or_b32_e32 v6, 0x10000, v3
	s_delay_alu instid0(VALU_DEP_2) | instskip(NEXT) | instid1(VALU_DEP_1)
	v_cmp_eq_u32_e64 s0, 0, v2
	v_cndmask_b32_e64 v2, v6, v3, s0
; %bb.2161:                             ;   in Loop: Header=BB442_1382 Depth=1
	s_or_b32 exec_lo, exec_lo, s12
	v_lshrrev_b32_e32 v6, 16, v180
	v_lshrrev_b32_e32 v7, 16, v39
	;; [unrolled: 1-line block ×8, first 2 shown]
	s_and_saveexec_b32 s12, vcc_lo
	s_cbranch_execz .LBB442_2163
; %bb.2162:                             ;   in Loop: Header=BB442_1382 Depth=1
	v_cmp_lt_i32_e64 s0, v84, v38
	s_delay_alu instid0(VALU_DEP_1) | instskip(SKIP_1) | instid1(VALU_DEP_1)
	v_cndmask_b32_e64 v4, 0, v4, s0
	v_cmp_lt_i32_e64 s0, v99, v38
	v_cndmask_b32_e64 v5, 0, v5, s0
	v_cmp_lt_i32_e64 s0, v98, v38
	s_delay_alu instid0(VALU_DEP_1) | instskip(SKIP_1) | instid1(VALU_DEP_1)
	v_cndmask_b32_e64 v21, 0, v21, s0
	v_cmp_lt_i32_e64 s0, v97, v38
	v_cndmask_b32_e64 v9, 0, v9, s0
	v_cmp_lt_i32_e64 s0, v96, v38
	s_delay_alu instid0(VALU_DEP_1) | instskip(SKIP_1) | instid1(VALU_DEP_1)
	v_cndmask_b32_e64 v7, 0, v7, s0
	v_cmp_lt_i32_e64 s0, v87, v38
	v_cndmask_b32_e64 v6, 0, v6, s0
	v_cmp_lt_i32_e64 s0, v86, v38
	s_delay_alu instid0(VALU_DEP_1) | instskip(SKIP_1) | instid1(VALU_DEP_1)
	v_cndmask_b32_e64 v3, 0, v3, s0
	v_cmp_lt_i32_e64 s0, v85, v38
	v_cndmask_b32_e64 v2, 0, v2, s0
.LBB442_2163:                           ;   in Loop: Header=BB442_1382 Depth=1
	s_or_b32 exec_lo, exec_lo, s12
	v_lshlrev_b32_e32 v4, 16, v4
                                        ; implicit-def: $vgpr180
	s_delay_alu instid0(VALU_DEP_1) | instskip(NEXT) | instid1(VALU_DEP_1)
	v_mul_f32_e32 v4, v100, v4
	v_and_b32_e32 v37, 0x7f800000, v4
	s_delay_alu instid0(VALU_DEP_1) | instskip(NEXT) | instid1(VALU_DEP_1)
	v_cmp_ne_u32_e64 s0, 0x7f800000, v37
	s_and_saveexec_b32 s12, s0
	s_delay_alu instid0(SALU_CYCLE_1)
	s_xor_b32 s0, exec_lo, s12
; %bb.2164:                             ;   in Loop: Header=BB442_1382 Depth=1
	v_bfe_u32 v37, v4, 16, 1
	s_delay_alu instid0(VALU_DEP_1)
	v_add3_u32 v180, v4, v37, 0x7fff
                                        ; implicit-def: $vgpr4
; %bb.2165:                             ;   in Loop: Header=BB442_1382 Depth=1
	s_and_not1_saveexec_b32 s12, s0
; %bb.2166:                             ;   in Loop: Header=BB442_1382 Depth=1
	v_and_b32_e32 v37, 0xffff, v4
	v_or_b32_e32 v39, 0x10000, v4
	s_delay_alu instid0(VALU_DEP_2) | instskip(NEXT) | instid1(VALU_DEP_1)
	v_cmp_eq_u32_e64 s0, 0, v37
	v_cndmask_b32_e64 v180, v39, v4, s0
; %bb.2167:                             ;   in Loop: Header=BB442_1382 Depth=1
	s_or_b32 exec_lo, exec_lo, s12
	v_lshlrev_b32_e32 v4, 16, v5
                                        ; implicit-def: $vgpr181
	s_delay_alu instid0(VALU_DEP_1) | instskip(NEXT) | instid1(VALU_DEP_1)
	v_mul_f32_e32 v4, v101, v4
	v_and_b32_e32 v5, 0x7f800000, v4
	s_delay_alu instid0(VALU_DEP_1) | instskip(NEXT) | instid1(VALU_DEP_1)
	v_cmp_ne_u32_e64 s0, 0x7f800000, v5
	s_and_saveexec_b32 s12, s0
	s_delay_alu instid0(SALU_CYCLE_1)
	s_xor_b32 s0, exec_lo, s12
; %bb.2168:                             ;   in Loop: Header=BB442_1382 Depth=1
	v_bfe_u32 v5, v4, 16, 1
	s_delay_alu instid0(VALU_DEP_1)
	v_add3_u32 v181, v4, v5, 0x7fff
                                        ; implicit-def: $vgpr4
; %bb.2169:                             ;   in Loop: Header=BB442_1382 Depth=1
	s_and_not1_saveexec_b32 s12, s0
; %bb.2170:                             ;   in Loop: Header=BB442_1382 Depth=1
	v_and_b32_e32 v5, 0xffff, v4
	v_or_b32_e32 v37, 0x10000, v4
	s_delay_alu instid0(VALU_DEP_2) | instskip(NEXT) | instid1(VALU_DEP_1)
	v_cmp_eq_u32_e64 s0, 0, v5
	v_cndmask_b32_e64 v181, v37, v4, s0
; %bb.2171:                             ;   in Loop: Header=BB442_1382 Depth=1
	s_or_b32 exec_lo, exec_lo, s12
	v_lshlrev_b32_e32 v4, 16, v21
	s_delay_alu instid0(VALU_DEP_1) | instskip(NEXT) | instid1(VALU_DEP_1)
	v_mul_f32_e32 v4, v102, v4
	v_and_b32_e32 v5, 0x7f800000, v4
	s_delay_alu instid0(VALU_DEP_1) | instskip(NEXT) | instid1(VALU_DEP_1)
	v_cmp_ne_u32_e64 s0, 0x7f800000, v5
                                        ; implicit-def: $vgpr5
	s_and_saveexec_b32 s12, s0
	s_delay_alu instid0(SALU_CYCLE_1)
	s_xor_b32 s0, exec_lo, s12
; %bb.2172:                             ;   in Loop: Header=BB442_1382 Depth=1
	v_bfe_u32 v5, v4, 16, 1
	s_delay_alu instid0(VALU_DEP_1)
	v_add3_u32 v5, v4, v5, 0x7fff
                                        ; implicit-def: $vgpr4
; %bb.2173:                             ;   in Loop: Header=BB442_1382 Depth=1
	s_and_not1_saveexec_b32 s12, s0
; %bb.2174:                             ;   in Loop: Header=BB442_1382 Depth=1
	v_and_b32_e32 v5, 0xffff, v4
	v_or_b32_e32 v21, 0x10000, v4
	s_delay_alu instid0(VALU_DEP_2) | instskip(NEXT) | instid1(VALU_DEP_1)
	v_cmp_eq_u32_e64 s0, 0, v5
	v_cndmask_b32_e64 v5, v21, v4, s0
; %bb.2175:                             ;   in Loop: Header=BB442_1382 Depth=1
	s_or_b32 exec_lo, exec_lo, s12
	v_lshlrev_b32_e32 v4, 16, v9
                                        ; implicit-def: $vgpr182
	s_delay_alu instid0(VALU_DEP_1) | instskip(NEXT) | instid1(VALU_DEP_1)
	v_mul_f32_e32 v4, v103, v4
	v_and_b32_e32 v9, 0x7f800000, v4
	s_delay_alu instid0(VALU_DEP_1) | instskip(NEXT) | instid1(VALU_DEP_1)
	v_cmp_ne_u32_e64 s0, 0x7f800000, v9
	s_and_saveexec_b32 s12, s0
	s_delay_alu instid0(SALU_CYCLE_1)
	s_xor_b32 s0, exec_lo, s12
; %bb.2176:                             ;   in Loop: Header=BB442_1382 Depth=1
	v_bfe_u32 v9, v4, 16, 1
	s_delay_alu instid0(VALU_DEP_1)
	v_add3_u32 v182, v4, v9, 0x7fff
                                        ; implicit-def: $vgpr4
; %bb.2177:                             ;   in Loop: Header=BB442_1382 Depth=1
	s_and_not1_saveexec_b32 s12, s0
; %bb.2178:                             ;   in Loop: Header=BB442_1382 Depth=1
	v_and_b32_e32 v9, 0xffff, v4
	v_or_b32_e32 v21, 0x10000, v4
	s_delay_alu instid0(VALU_DEP_2) | instskip(NEXT) | instid1(VALU_DEP_1)
	v_cmp_eq_u32_e64 s0, 0, v9
	v_cndmask_b32_e64 v182, v21, v4, s0
; %bb.2179:                             ;   in Loop: Header=BB442_1382 Depth=1
	s_or_b32 exec_lo, exec_lo, s12
	v_lshlrev_b32_e32 v4, 16, v7
                                        ; implicit-def: $vgpr183
	s_delay_alu instid0(VALU_DEP_1) | instskip(NEXT) | instid1(VALU_DEP_1)
	v_mul_f32_e32 v4, v112, v4
	v_and_b32_e32 v7, 0x7f800000, v4
	s_delay_alu instid0(VALU_DEP_1) | instskip(NEXT) | instid1(VALU_DEP_1)
	v_cmp_ne_u32_e64 s0, 0x7f800000, v7
	s_and_saveexec_b32 s12, s0
	s_delay_alu instid0(SALU_CYCLE_1)
	s_xor_b32 s0, exec_lo, s12
; %bb.2180:                             ;   in Loop: Header=BB442_1382 Depth=1
	v_bfe_u32 v7, v4, 16, 1
	s_delay_alu instid0(VALU_DEP_1)
	v_add3_u32 v183, v4, v7, 0x7fff
                                        ; implicit-def: $vgpr4
; %bb.2181:                             ;   in Loop: Header=BB442_1382 Depth=1
	s_and_not1_saveexec_b32 s12, s0
; %bb.2182:                             ;   in Loop: Header=BB442_1382 Depth=1
	v_and_b32_e32 v7, 0xffff, v4
	v_or_b32_e32 v9, 0x10000, v4
	s_delay_alu instid0(VALU_DEP_2) | instskip(NEXT) | instid1(VALU_DEP_1)
	v_cmp_eq_u32_e64 s0, 0, v7
	v_cndmask_b32_e64 v183, v9, v4, s0
; %bb.2183:                             ;   in Loop: Header=BB442_1382 Depth=1
	s_or_b32 exec_lo, exec_lo, s12
	v_lshlrev_b32_e32 v4, 16, v6
	s_delay_alu instid0(VALU_DEP_1) | instskip(NEXT) | instid1(VALU_DEP_1)
	v_mul_f32_e32 v6, v113, v4
	v_and_b32_e32 v4, 0x7f800000, v6
	s_delay_alu instid0(VALU_DEP_1) | instskip(NEXT) | instid1(VALU_DEP_1)
	v_cmp_ne_u32_e64 s0, 0x7f800000, v4
                                        ; implicit-def: $vgpr4
	s_and_saveexec_b32 s12, s0
	s_delay_alu instid0(SALU_CYCLE_1)
	s_xor_b32 s0, exec_lo, s12
; %bb.2184:                             ;   in Loop: Header=BB442_1382 Depth=1
	v_bfe_u32 v4, v6, 16, 1
	s_delay_alu instid0(VALU_DEP_1)
	v_add3_u32 v4, v6, v4, 0x7fff
                                        ; implicit-def: $vgpr6
; %bb.2185:                             ;   in Loop: Header=BB442_1382 Depth=1
	s_and_not1_saveexec_b32 s12, s0
; %bb.2186:                             ;   in Loop: Header=BB442_1382 Depth=1
	v_and_b32_e32 v4, 0xffff, v6
	v_or_b32_e32 v7, 0x10000, v6
	s_delay_alu instid0(VALU_DEP_2) | instskip(NEXT) | instid1(VALU_DEP_1)
	v_cmp_eq_u32_e64 s0, 0, v4
	v_cndmask_b32_e64 v4, v7, v6, s0
; %bb.2187:                             ;   in Loop: Header=BB442_1382 Depth=1
	s_or_b32 exec_lo, exec_lo, s12
	v_lshlrev_b32_e32 v3, 16, v3
                                        ; implicit-def: $vgpr40
	s_delay_alu instid0(VALU_DEP_1) | instskip(NEXT) | instid1(VALU_DEP_1)
	v_mul_f32_e32 v3, v114, v3
	v_and_b32_e32 v6, 0x7f800000, v3
	s_delay_alu instid0(VALU_DEP_1) | instskip(NEXT) | instid1(VALU_DEP_1)
	v_cmp_ne_u32_e64 s0, 0x7f800000, v6
	s_and_saveexec_b32 s12, s0
	s_delay_alu instid0(SALU_CYCLE_1)
	s_xor_b32 s0, exec_lo, s12
; %bb.2188:                             ;   in Loop: Header=BB442_1382 Depth=1
	v_bfe_u32 v6, v3, 16, 1
	s_delay_alu instid0(VALU_DEP_1)
	v_add3_u32 v40, v3, v6, 0x7fff
                                        ; implicit-def: $vgpr3
; %bb.2189:                             ;   in Loop: Header=BB442_1382 Depth=1
	s_and_not1_saveexec_b32 s12, s0
; %bb.2190:                             ;   in Loop: Header=BB442_1382 Depth=1
	v_and_b32_e32 v6, 0xffff, v3
	v_or_b32_e32 v7, 0x10000, v3
	s_delay_alu instid0(VALU_DEP_2) | instskip(NEXT) | instid1(VALU_DEP_1)
	v_cmp_eq_u32_e64 s0, 0, v6
	v_cndmask_b32_e64 v40, v7, v3, s0
; %bb.2191:                             ;   in Loop: Header=BB442_1382 Depth=1
	s_or_b32 exec_lo, exec_lo, s12
	v_lshlrev_b32_e32 v2, 16, v2
                                        ; implicit-def: $vgpr41
	s_delay_alu instid0(VALU_DEP_1) | instskip(NEXT) | instid1(VALU_DEP_1)
	v_mul_f32_e32 v2, v115, v2
	v_and_b32_e32 v3, 0x7f800000, v2
	s_delay_alu instid0(VALU_DEP_1) | instskip(NEXT) | instid1(VALU_DEP_1)
	v_cmp_ne_u32_e64 s0, 0x7f800000, v3
	s_and_saveexec_b32 s12, s0
	s_delay_alu instid0(SALU_CYCLE_1)
	s_xor_b32 s0, exec_lo, s12
; %bb.2192:                             ;   in Loop: Header=BB442_1382 Depth=1
	v_bfe_u32 v3, v2, 16, 1
	s_delay_alu instid0(VALU_DEP_1)
	v_add3_u32 v41, v2, v3, 0x7fff
                                        ; implicit-def: $vgpr2
; %bb.2193:                             ;   in Loop: Header=BB442_1382 Depth=1
	s_and_not1_saveexec_b32 s12, s0
; %bb.2194:                             ;   in Loop: Header=BB442_1382 Depth=1
	v_and_b32_e32 v3, 0xffff, v2
	v_or_b32_e32 v6, 0x10000, v2
	s_delay_alu instid0(VALU_DEP_2) | instskip(NEXT) | instid1(VALU_DEP_1)
	v_cmp_eq_u32_e64 s0, 0, v3
	v_cndmask_b32_e64 v41, v6, v2, s0
; %bb.2195:                             ;   in Loop: Header=BB442_1382 Depth=1
	s_or_b32 exec_lo, exec_lo, s12
	flat_load_b64 v[2:3], v[0:1] offset:1536
	s_mov_b32 s12, exec_lo
	s_waitcnt vmcnt(0) lgkmcnt(0)
	v_dual_mov_b32 v6, 0 :: v_dual_and_b32 v7, 0xff, v2
	s_delay_alu instid0(VALU_DEP_1)
	v_cmpx_ne_u16_e32 0, v7
	s_cbranch_execz .LBB442_2203
; %bb.2196:                             ;   in Loop: Header=BB442_1382 Depth=1
	v_bfrev_b32_e32 v6, 1
	s_mov_b32 s13, exec_lo
	v_cmpx_ne_u16_e32 0x80, v7
	s_cbranch_execz .LBB442_2202
; %bb.2197:                             ;   in Loop: Header=BB442_1382 Depth=1
	v_and_b32_e32 v7, 0x7f, v2
	v_mov_b32_e32 v6, 0x7f800001
	s_mov_b32 s15, exec_lo
	s_delay_alu instid0(VALU_DEP_2)
	v_cmpx_ne_u32_e32 0x7f, v7
	s_cbranch_execz .LBB442_2201
; %bb.2198:                             ;   in Loop: Header=BB442_1382 Depth=1
	v_lshrrev_b32_e32 v9, 3, v7
	v_cmp_gt_u32_e64 s0, 8, v7
	v_dual_mov_b32 v7, v3 :: v_dual_mov_b32 v6, v2
	s_delay_alu instid0(VALU_DEP_2)
	s_and_saveexec_b32 s16, s0
; %bb.2199:                             ;   in Loop: Header=BB442_1382 Depth=1
	v_and_b32_e32 v6, 7, v2
	s_delay_alu instid0(VALU_DEP_1) | instskip(NEXT) | instid1(VALU_DEP_1)
	v_clz_i32_u32_e32 v6, v6
	v_min_u32_e32 v9, 32, v6
	s_delay_alu instid0(VALU_DEP_1) | instskip(SKIP_1) | instid1(VALU_DEP_2)
	v_subrev_nc_u32_e32 v6, 28, v9
	v_sub_nc_u32_e32 v9, 29, v9
	v_lshlrev_b64 v[6:7], v6, v[2:3]
; %bb.2200:                             ;   in Loop: Header=BB442_1382 Depth=1
	s_or_b32 exec_lo, exec_lo, s16
	s_delay_alu instid0(VALU_DEP_1) | instskip(SKIP_2) | instid1(VALU_DEP_3)
	v_lshlrev_b32_e32 v6, 20, v6
	v_lshlrev_b32_e32 v7, 24, v2
	v_lshl_add_u32 v9, v9, 23, 0x3c000000
	v_and_b32_e32 v6, 0x700000, v6
	s_delay_alu instid0(VALU_DEP_3) | instskip(NEXT) | instid1(VALU_DEP_1)
	v_and_b32_e32 v7, 0x80000000, v7
	v_or3_b32 v6, v6, v7, v9
.LBB442_2201:                           ;   in Loop: Header=BB442_1382 Depth=1
	s_or_b32 exec_lo, exec_lo, s15
.LBB442_2202:                           ;   in Loop: Header=BB442_1382 Depth=1
	s_delay_alu instid0(SALU_CYCLE_1)
	s_or_b32 exec_lo, exec_lo, s13
.LBB442_2203:                           ;   in Loop: Header=BB442_1382 Depth=1
	s_delay_alu instid0(SALU_CYCLE_1) | instskip(NEXT) | instid1(VALU_DEP_1)
	s_or_b32 exec_lo, exec_lo, s12
	v_mul_f32_e32 v6, v8, v6
                                        ; implicit-def: $vgpr21
	s_delay_alu instid0(VALU_DEP_1) | instskip(NEXT) | instid1(VALU_DEP_1)
	v_and_b32_e32 v7, 0x7f800000, v6
	v_cmp_ne_u32_e64 s0, 0x7f800000, v7
	s_delay_alu instid0(VALU_DEP_1) | instskip(NEXT) | instid1(SALU_CYCLE_1)
	s_and_saveexec_b32 s12, s0
	s_xor_b32 s0, exec_lo, s12
; %bb.2204:                             ;   in Loop: Header=BB442_1382 Depth=1
	v_bfe_u32 v7, v6, 16, 1
	s_delay_alu instid0(VALU_DEP_1)
	v_add3_u32 v21, v6, v7, 0x7fff
                                        ; implicit-def: $vgpr6
; %bb.2205:                             ;   in Loop: Header=BB442_1382 Depth=1
	s_and_not1_saveexec_b32 s12, s0
; %bb.2206:                             ;   in Loop: Header=BB442_1382 Depth=1
	v_and_b32_e32 v7, 0xffff, v6
	v_or_b32_e32 v9, 0x10000, v6
	s_delay_alu instid0(VALU_DEP_2) | instskip(NEXT) | instid1(VALU_DEP_1)
	v_cmp_eq_u32_e64 s0, 0, v7
	v_cndmask_b32_e64 v21, v9, v6, s0
; %bb.2207:                             ;   in Loop: Header=BB442_1382 Depth=1
	s_or_b32 exec_lo, exec_lo, s12
	v_lshrrev_b16 v7, 8, v2
	v_mov_b32_e32 v6, 0
	s_mov_b32 s12, exec_lo
	s_delay_alu instid0(VALU_DEP_2)
	v_cmpx_ne_u16_e32 0, v7
	s_cbranch_execz .LBB442_2215
; %bb.2208:                             ;   in Loop: Header=BB442_1382 Depth=1
	v_bfrev_b32_e32 v6, 1
	s_mov_b32 s13, exec_lo
	v_cmpx_ne_u16_e32 0x80, v7
	s_cbranch_execz .LBB442_2214
; %bb.2209:                             ;   in Loop: Header=BB442_1382 Depth=1
	v_and_b32_e32 v9, 0xffff, v7
	v_mov_b32_e32 v6, 0x7f800001
	s_mov_b32 s15, exec_lo
	s_delay_alu instid0(VALU_DEP_2) | instskip(NEXT) | instid1(VALU_DEP_1)
	v_and_b32_e32 v7, 0x7f, v9
	v_cmpx_ne_u32_e32 0x7f, v7
	s_cbranch_execz .LBB442_2213
; %bb.2210:                             ;   in Loop: Header=BB442_1382 Depth=1
	v_and_b32_e32 v9, 7, v9
	v_lshrrev_b32_e32 v37, 3, v7
	v_cmp_gt_u32_e64 s0, 8, v7
	s_delay_alu instid0(VALU_DEP_3) | instskip(NEXT) | instid1(VALU_DEP_2)
	v_dual_mov_b32 v6, v9 :: v_dual_mov_b32 v7, v10
	s_and_saveexec_b32 s16, s0
; %bb.2211:                             ;   in Loop: Header=BB442_1382 Depth=1
	v_clz_i32_u32_e32 v6, v9
	s_delay_alu instid0(VALU_DEP_1) | instskip(NEXT) | instid1(VALU_DEP_1)
	v_min_u32_e32 v37, 32, v6
	v_subrev_nc_u32_e32 v6, 28, v37
	v_sub_nc_u32_e32 v37, 29, v37
	s_delay_alu instid0(VALU_DEP_2) | instskip(NEXT) | instid1(VALU_DEP_1)
	v_lshlrev_b64 v[6:7], v6, v[9:10]
	v_and_b32_e32 v6, 7, v6
; %bb.2212:                             ;   in Loop: Header=BB442_1382 Depth=1
	s_or_b32 exec_lo, exec_lo, s16
	v_lshlrev_b32_e32 v7, 16, v2
	s_delay_alu instid0(VALU_DEP_2) | instskip(SKIP_1) | instid1(VALU_DEP_3)
	v_lshlrev_b32_e32 v6, 20, v6
	v_lshl_add_u32 v9, v37, 23, 0x3c000000
	v_and_b32_e32 v7, 0x80000000, v7
	s_delay_alu instid0(VALU_DEP_1)
	v_or3_b32 v6, v6, v7, v9
.LBB442_2213:                           ;   in Loop: Header=BB442_1382 Depth=1
	s_or_b32 exec_lo, exec_lo, s15
.LBB442_2214:                           ;   in Loop: Header=BB442_1382 Depth=1
	s_delay_alu instid0(SALU_CYCLE_1)
	s_or_b32 exec_lo, exec_lo, s13
.LBB442_2215:                           ;   in Loop: Header=BB442_1382 Depth=1
	s_delay_alu instid0(SALU_CYCLE_1) | instskip(NEXT) | instid1(VALU_DEP_1)
	s_or_b32 exec_lo, exec_lo, s12
	v_mul_f32_e32 v6, v8, v6
                                        ; implicit-def: $vgpr37
	s_delay_alu instid0(VALU_DEP_1) | instskip(NEXT) | instid1(VALU_DEP_1)
	v_and_b32_e32 v7, 0x7f800000, v6
	v_cmp_ne_u32_e64 s0, 0x7f800000, v7
	s_delay_alu instid0(VALU_DEP_1) | instskip(NEXT) | instid1(SALU_CYCLE_1)
	s_and_saveexec_b32 s12, s0
	s_xor_b32 s0, exec_lo, s12
; %bb.2216:                             ;   in Loop: Header=BB442_1382 Depth=1
	v_bfe_u32 v7, v6, 16, 1
	s_delay_alu instid0(VALU_DEP_1)
	v_add3_u32 v37, v6, v7, 0x7fff
                                        ; implicit-def: $vgpr6
; %bb.2217:                             ;   in Loop: Header=BB442_1382 Depth=1
	s_and_not1_saveexec_b32 s12, s0
; %bb.2218:                             ;   in Loop: Header=BB442_1382 Depth=1
	v_and_b32_e32 v7, 0xffff, v6
	v_or_b32_e32 v9, 0x10000, v6
	s_delay_alu instid0(VALU_DEP_2) | instskip(NEXT) | instid1(VALU_DEP_1)
	v_cmp_eq_u32_e64 s0, 0, v7
	v_cndmask_b32_e64 v37, v9, v6, s0
; %bb.2219:                             ;   in Loop: Header=BB442_1382 Depth=1
	s_or_b32 exec_lo, exec_lo, s12
	v_lshrrev_b32_e32 v39, 16, v2
	s_mov_b32 s12, exec_lo
	s_delay_alu instid0(VALU_DEP_1) | instskip(NEXT) | instid1(VALU_DEP_1)
	v_dual_mov_b32 v6, 0 :: v_dual_and_b32 v7, 0xff, v39
	v_cmpx_ne_u16_e32 0, v7
	s_cbranch_execz .LBB442_2227
; %bb.2220:                             ;   in Loop: Header=BB442_1382 Depth=1
	v_bfrev_b32_e32 v6, 1
	s_mov_b32 s13, exec_lo
	v_cmpx_ne_u16_e32 0x80, v7
	s_cbranch_execz .LBB442_2226
; %bb.2221:                             ;   in Loop: Header=BB442_1382 Depth=1
	v_bfe_u32 v7, v2, 16, 7
	v_mov_b32_e32 v6, 0x7f800001
	s_mov_b32 s15, exec_lo
	s_delay_alu instid0(VALU_DEP_2)
	v_cmpx_ne_u32_e32 0x7f, v7
	s_cbranch_execz .LBB442_2225
; %bb.2222:                             ;   in Loop: Header=BB442_1382 Depth=1
	v_and_b32_e32 v9, 7, v39
	v_lshrrev_b32_e32 v42, 3, v7
	v_cmp_gt_u32_e64 s0, 8, v7
	s_delay_alu instid0(VALU_DEP_3) | instskip(NEXT) | instid1(VALU_DEP_2)
	v_dual_mov_b32 v6, v9 :: v_dual_mov_b32 v7, v10
	s_and_saveexec_b32 s16, s0
; %bb.2223:                             ;   in Loop: Header=BB442_1382 Depth=1
	v_clz_i32_u32_e32 v6, v9
	s_delay_alu instid0(VALU_DEP_1) | instskip(NEXT) | instid1(VALU_DEP_1)
	v_min_u32_e32 v42, 32, v6
	v_subrev_nc_u32_e32 v6, 28, v42
	v_sub_nc_u32_e32 v42, 29, v42
	s_delay_alu instid0(VALU_DEP_2) | instskip(NEXT) | instid1(VALU_DEP_1)
	v_lshlrev_b64 v[6:7], v6, v[9:10]
	v_and_b32_e32 v6, 7, v6
; %bb.2224:                             ;   in Loop: Header=BB442_1382 Depth=1
	s_or_b32 exec_lo, exec_lo, s16
	v_lshlrev_b32_e32 v7, 24, v39
	s_delay_alu instid0(VALU_DEP_2) | instskip(SKIP_1) | instid1(VALU_DEP_3)
	v_lshlrev_b32_e32 v6, 20, v6
	v_lshl_add_u32 v9, v42, 23, 0x3c000000
	v_and_b32_e32 v7, 0x80000000, v7
	s_delay_alu instid0(VALU_DEP_1)
	v_or3_b32 v6, v6, v7, v9
.LBB442_2225:                           ;   in Loop: Header=BB442_1382 Depth=1
	s_or_b32 exec_lo, exec_lo, s15
.LBB442_2226:                           ;   in Loop: Header=BB442_1382 Depth=1
	s_delay_alu instid0(SALU_CYCLE_1)
	s_or_b32 exec_lo, exec_lo, s13
.LBB442_2227:                           ;   in Loop: Header=BB442_1382 Depth=1
	s_delay_alu instid0(SALU_CYCLE_1) | instskip(NEXT) | instid1(VALU_DEP_1)
	s_or_b32 exec_lo, exec_lo, s12
	v_mul_f32_e32 v6, v8, v6
                                        ; implicit-def: $vgpr39
	s_delay_alu instid0(VALU_DEP_1) | instskip(NEXT) | instid1(VALU_DEP_1)
	v_and_b32_e32 v7, 0x7f800000, v6
	v_cmp_ne_u32_e64 s0, 0x7f800000, v7
	s_delay_alu instid0(VALU_DEP_1) | instskip(NEXT) | instid1(SALU_CYCLE_1)
	s_and_saveexec_b32 s12, s0
	s_xor_b32 s0, exec_lo, s12
; %bb.2228:                             ;   in Loop: Header=BB442_1382 Depth=1
	v_bfe_u32 v7, v6, 16, 1
	s_delay_alu instid0(VALU_DEP_1)
	v_add3_u32 v39, v6, v7, 0x7fff
                                        ; implicit-def: $vgpr6
; %bb.2229:                             ;   in Loop: Header=BB442_1382 Depth=1
	s_and_not1_saveexec_b32 s12, s0
; %bb.2230:                             ;   in Loop: Header=BB442_1382 Depth=1
	v_and_b32_e32 v7, 0xffff, v6
	v_or_b32_e32 v9, 0x10000, v6
	s_delay_alu instid0(VALU_DEP_2) | instskip(NEXT) | instid1(VALU_DEP_1)
	v_cmp_eq_u32_e64 s0, 0, v7
	v_cndmask_b32_e64 v39, v9, v6, s0
; %bb.2231:                             ;   in Loop: Header=BB442_1382 Depth=1
	s_or_b32 exec_lo, exec_lo, s12
	v_mov_b32_e32 v6, 0
	s_mov_b32 s12, exec_lo
	v_cmpx_lt_u32_e32 0xffffff, v2
	s_cbranch_execz .LBB442_2239
; %bb.2232:                             ;   in Loop: Header=BB442_1382 Depth=1
	v_lshrrev_b32_e32 v42, 24, v2
	v_bfrev_b32_e32 v6, 1
	s_mov_b32 s13, exec_lo
	s_delay_alu instid0(VALU_DEP_2)
	v_cmpx_ne_u32_e32 0x80, v42
	s_cbranch_execz .LBB442_2238
; %bb.2233:                             ;   in Loop: Header=BB442_1382 Depth=1
	v_bfe_u32 v7, v2, 24, 7
	v_mov_b32_e32 v6, 0x7f800001
	s_mov_b32 s15, exec_lo
	s_delay_alu instid0(VALU_DEP_2)
	v_cmpx_ne_u32_e32 0x7f, v7
	s_cbranch_execz .LBB442_2237
; %bb.2234:                             ;   in Loop: Header=BB442_1382 Depth=1
	v_and_b32_e32 v9, 7, v42
	v_lshrrev_b32_e32 v43, 3, v7
	v_cmp_gt_u32_e64 s0, 8, v7
	s_delay_alu instid0(VALU_DEP_3) | instskip(NEXT) | instid1(VALU_DEP_2)
	v_dual_mov_b32 v6, v9 :: v_dual_mov_b32 v7, v10
	s_and_saveexec_b32 s16, s0
; %bb.2235:                             ;   in Loop: Header=BB442_1382 Depth=1
	v_clz_i32_u32_e32 v6, v9
	s_delay_alu instid0(VALU_DEP_1) | instskip(NEXT) | instid1(VALU_DEP_1)
	v_min_u32_e32 v43, 32, v6
	v_subrev_nc_u32_e32 v6, 28, v43
	v_sub_nc_u32_e32 v43, 29, v43
	s_delay_alu instid0(VALU_DEP_2) | instskip(NEXT) | instid1(VALU_DEP_1)
	v_lshlrev_b64 v[6:7], v6, v[9:10]
	v_and_b32_e32 v6, 7, v6
; %bb.2236:                             ;   in Loop: Header=BB442_1382 Depth=1
	s_or_b32 exec_lo, exec_lo, s16
	v_lshlrev_b32_e32 v7, 24, v42
	s_delay_alu instid0(VALU_DEP_2) | instskip(SKIP_1) | instid1(VALU_DEP_3)
	v_lshlrev_b32_e32 v6, 20, v6
	v_lshl_add_u32 v9, v43, 23, 0x3c000000
	v_and_b32_e32 v7, 0x80000000, v7
	s_delay_alu instid0(VALU_DEP_1)
	v_or3_b32 v6, v6, v7, v9
.LBB442_2237:                           ;   in Loop: Header=BB442_1382 Depth=1
	s_or_b32 exec_lo, exec_lo, s15
.LBB442_2238:                           ;   in Loop: Header=BB442_1382 Depth=1
	s_delay_alu instid0(SALU_CYCLE_1)
	s_or_b32 exec_lo, exec_lo, s13
.LBB442_2239:                           ;   in Loop: Header=BB442_1382 Depth=1
	s_delay_alu instid0(SALU_CYCLE_1) | instskip(NEXT) | instid1(VALU_DEP_1)
	s_or_b32 exec_lo, exec_lo, s12
	v_mul_f32_e32 v6, v8, v6
                                        ; implicit-def: $vgpr42
	s_delay_alu instid0(VALU_DEP_1) | instskip(NEXT) | instid1(VALU_DEP_1)
	v_and_b32_e32 v7, 0x7f800000, v6
	v_cmp_ne_u32_e64 s0, 0x7f800000, v7
	s_delay_alu instid0(VALU_DEP_1) | instskip(NEXT) | instid1(SALU_CYCLE_1)
	s_and_saveexec_b32 s12, s0
	s_xor_b32 s0, exec_lo, s12
; %bb.2240:                             ;   in Loop: Header=BB442_1382 Depth=1
	v_bfe_u32 v7, v6, 16, 1
	s_delay_alu instid0(VALU_DEP_1)
	v_add3_u32 v42, v6, v7, 0x7fff
                                        ; implicit-def: $vgpr6
; %bb.2241:                             ;   in Loop: Header=BB442_1382 Depth=1
	s_and_not1_saveexec_b32 s12, s0
; %bb.2242:                             ;   in Loop: Header=BB442_1382 Depth=1
	v_and_b32_e32 v7, 0xffff, v6
	v_or_b32_e32 v9, 0x10000, v6
	s_delay_alu instid0(VALU_DEP_2) | instskip(NEXT) | instid1(VALU_DEP_1)
	v_cmp_eq_u32_e64 s0, 0, v7
	v_cndmask_b32_e64 v42, v9, v6, s0
; %bb.2243:                             ;   in Loop: Header=BB442_1382 Depth=1
	s_or_b32 exec_lo, exec_lo, s12
	v_dual_mov_b32 v6, 0 :: v_dual_and_b32 v7, 0xff, v3
	v_mov_b32_e32 v9, v3
	s_mov_b32 s12, exec_lo
	s_delay_alu instid0(VALU_DEP_2)
	v_cmpx_ne_u16_e32 0, v7
	s_cbranch_execz .LBB442_2251
; %bb.2244:                             ;   in Loop: Header=BB442_1382 Depth=1
	v_bfrev_b32_e32 v6, 1
	s_mov_b32 s13, exec_lo
	v_cmpx_ne_u16_e32 0x80, v7
	s_cbranch_execz .LBB442_2250
; %bb.2245:                             ;   in Loop: Header=BB442_1382 Depth=1
	v_and_b32_e32 v7, 0x7f, v3
	v_mov_b32_e32 v6, 0x7f800001
	s_mov_b32 s15, exec_lo
	s_delay_alu instid0(VALU_DEP_2)
	v_cmpx_ne_u32_e32 0x7f, v7
	s_cbranch_execz .LBB442_2249
; %bb.2246:                             ;   in Loop: Header=BB442_1382 Depth=1
	v_lshrrev_b32_e32 v43, 3, v7
	v_cmp_gt_u32_e64 s0, 8, v7
	v_dual_mov_b32 v6, v9 :: v_dual_mov_b32 v7, v10
	s_delay_alu instid0(VALU_DEP_2)
	s_and_saveexec_b32 s16, s0
; %bb.2247:                             ;   in Loop: Header=BB442_1382 Depth=1
	v_and_b32_e32 v6, 7, v3
	s_delay_alu instid0(VALU_DEP_1) | instskip(NEXT) | instid1(VALU_DEP_1)
	v_clz_i32_u32_e32 v6, v6
	v_min_u32_e32 v43, 32, v6
	s_delay_alu instid0(VALU_DEP_1) | instskip(SKIP_1) | instid1(VALU_DEP_2)
	v_subrev_nc_u32_e32 v6, 28, v43
	v_sub_nc_u32_e32 v43, 29, v43
	v_lshlrev_b64 v[6:7], v6, v[9:10]
; %bb.2248:                             ;   in Loop: Header=BB442_1382 Depth=1
	s_or_b32 exec_lo, exec_lo, s16
	s_delay_alu instid0(VALU_DEP_1) | instskip(SKIP_2) | instid1(VALU_DEP_3)
	v_lshlrev_b32_e32 v6, 20, v6
	v_lshlrev_b32_e32 v7, 24, v9
	v_lshl_add_u32 v43, v43, 23, 0x3c000000
	v_and_b32_e32 v6, 0x700000, v6
	s_delay_alu instid0(VALU_DEP_3) | instskip(NEXT) | instid1(VALU_DEP_1)
	v_and_b32_e32 v7, 0x80000000, v7
	v_or3_b32 v6, v6, v7, v43
.LBB442_2249:                           ;   in Loop: Header=BB442_1382 Depth=1
	s_or_b32 exec_lo, exec_lo, s15
.LBB442_2250:                           ;   in Loop: Header=BB442_1382 Depth=1
	s_delay_alu instid0(SALU_CYCLE_1)
	s_or_b32 exec_lo, exec_lo, s13
.LBB442_2251:                           ;   in Loop: Header=BB442_1382 Depth=1
	s_delay_alu instid0(SALU_CYCLE_1) | instskip(NEXT) | instid1(VALU_DEP_1)
	s_or_b32 exec_lo, exec_lo, s12
	v_mul_f32_e32 v6, v8, v6
                                        ; implicit-def: $vgpr43
	s_delay_alu instid0(VALU_DEP_1) | instskip(NEXT) | instid1(VALU_DEP_1)
	v_and_b32_e32 v7, 0x7f800000, v6
	v_cmp_ne_u32_e64 s0, 0x7f800000, v7
	s_delay_alu instid0(VALU_DEP_1) | instskip(NEXT) | instid1(SALU_CYCLE_1)
	s_and_saveexec_b32 s12, s0
	s_xor_b32 s0, exec_lo, s12
; %bb.2252:                             ;   in Loop: Header=BB442_1382 Depth=1
	v_bfe_u32 v7, v6, 16, 1
	s_delay_alu instid0(VALU_DEP_1)
	v_add3_u32 v43, v6, v7, 0x7fff
                                        ; implicit-def: $vgpr6
; %bb.2253:                             ;   in Loop: Header=BB442_1382 Depth=1
	s_and_not1_saveexec_b32 s12, s0
; %bb.2254:                             ;   in Loop: Header=BB442_1382 Depth=1
	v_and_b32_e32 v7, 0xffff, v6
	v_or_b32_e32 v43, 0x10000, v6
	s_delay_alu instid0(VALU_DEP_2) | instskip(NEXT) | instid1(VALU_DEP_1)
	v_cmp_eq_u32_e64 s0, 0, v7
	v_cndmask_b32_e64 v43, v43, v6, s0
; %bb.2255:                             ;   in Loop: Header=BB442_1382 Depth=1
	s_or_b32 exec_lo, exec_lo, s12
	v_lshrrev_b16 v7, 8, v9
	v_mov_b32_e32 v6, 0
	s_mov_b32 s12, exec_lo
	s_delay_alu instid0(VALU_DEP_2)
	v_cmpx_ne_u16_e32 0, v7
	s_cbranch_execz .LBB442_2263
; %bb.2256:                             ;   in Loop: Header=BB442_1382 Depth=1
	v_bfrev_b32_e32 v6, 1
	s_mov_b32 s13, exec_lo
	v_cmpx_ne_u16_e32 0x80, v7
	s_cbranch_execz .LBB442_2262
; %bb.2257:                             ;   in Loop: Header=BB442_1382 Depth=1
	v_and_b32_e32 v7, 0xffff, v7
	v_mov_b32_e32 v6, 0x7f800001
	s_mov_b32 s15, exec_lo
	s_delay_alu instid0(VALU_DEP_2) | instskip(NEXT) | instid1(VALU_DEP_1)
	v_and_b32_e32 v45, 0x7f, v7
	v_cmpx_ne_u32_e32 0x7f, v45
	s_cbranch_execz .LBB442_2261
; %bb.2258:                             ;   in Loop: Header=BB442_1382 Depth=1
	v_dual_mov_b32 v7, v10 :: v_dual_and_b32 v6, 7, v7
	v_lshrrev_b32_e32 v44, 3, v45
	s_mov_b32 s16, exec_lo
	v_cmpx_gt_u32_e32 8, v45
; %bb.2259:                             ;   in Loop: Header=BB442_1382 Depth=1
	s_delay_alu instid0(VALU_DEP_3) | instskip(NEXT) | instid1(VALU_DEP_1)
	v_clz_i32_u32_e32 v44, v6
	v_min_u32_e32 v44, 32, v44
	s_delay_alu instid0(VALU_DEP_1) | instskip(SKIP_1) | instid1(VALU_DEP_2)
	v_subrev_nc_u32_e32 v45, 28, v44
	v_sub_nc_u32_e32 v44, 29, v44
	v_lshlrev_b64 v[6:7], v45, v[6:7]
	s_delay_alu instid0(VALU_DEP_1)
	v_and_b32_e32 v6, 7, v6
; %bb.2260:                             ;   in Loop: Header=BB442_1382 Depth=1
	s_or_b32 exec_lo, exec_lo, s16
	v_lshlrev_b32_e32 v7, 16, v9
	s_delay_alu instid0(VALU_DEP_2) | instskip(SKIP_1) | instid1(VALU_DEP_3)
	v_lshlrev_b32_e32 v6, 20, v6
	v_lshl_add_u32 v9, v44, 23, 0x3c000000
	v_and_b32_e32 v7, 0x80000000, v7
	s_delay_alu instid0(VALU_DEP_1)
	v_or3_b32 v6, v6, v7, v9
.LBB442_2261:                           ;   in Loop: Header=BB442_1382 Depth=1
	s_or_b32 exec_lo, exec_lo, s15
.LBB442_2262:                           ;   in Loop: Header=BB442_1382 Depth=1
	s_delay_alu instid0(SALU_CYCLE_1)
	s_or_b32 exec_lo, exec_lo, s13
.LBB442_2263:                           ;   in Loop: Header=BB442_1382 Depth=1
	s_delay_alu instid0(SALU_CYCLE_1) | instskip(NEXT) | instid1(VALU_DEP_1)
	s_or_b32 exec_lo, exec_lo, s12
	v_mul_f32_e32 v6, v8, v6
                                        ; implicit-def: $vgpr44
	s_delay_alu instid0(VALU_DEP_1) | instskip(NEXT) | instid1(VALU_DEP_1)
	v_and_b32_e32 v7, 0x7f800000, v6
	v_cmp_ne_u32_e64 s0, 0x7f800000, v7
	s_delay_alu instid0(VALU_DEP_1) | instskip(NEXT) | instid1(SALU_CYCLE_1)
	s_and_saveexec_b32 s12, s0
	s_xor_b32 s0, exec_lo, s12
; %bb.2264:                             ;   in Loop: Header=BB442_1382 Depth=1
	v_bfe_u32 v7, v6, 16, 1
	s_delay_alu instid0(VALU_DEP_1)
	v_add3_u32 v44, v6, v7, 0x7fff
                                        ; implicit-def: $vgpr6
; %bb.2265:                             ;   in Loop: Header=BB442_1382 Depth=1
	s_and_not1_saveexec_b32 s12, s0
; %bb.2266:                             ;   in Loop: Header=BB442_1382 Depth=1
	v_and_b32_e32 v7, 0xffff, v6
	v_or_b32_e32 v9, 0x10000, v6
	s_delay_alu instid0(VALU_DEP_2) | instskip(NEXT) | instid1(VALU_DEP_1)
	v_cmp_eq_u32_e64 s0, 0, v7
	v_cndmask_b32_e64 v44, v9, v6, s0
; %bb.2267:                             ;   in Loop: Header=BB442_1382 Depth=1
	s_or_b32 exec_lo, exec_lo, s12
	v_lshrrev_b32_e32 v45, 16, v3
	s_mov_b32 s12, exec_lo
	s_delay_alu instid0(VALU_DEP_1) | instskip(NEXT) | instid1(VALU_DEP_1)
	v_dual_mov_b32 v6, 0 :: v_dual_and_b32 v7, 0xff, v45
	v_cmpx_ne_u16_e32 0, v7
	s_cbranch_execz .LBB442_2275
; %bb.2268:                             ;   in Loop: Header=BB442_1382 Depth=1
	v_bfrev_b32_e32 v6, 1
	s_mov_b32 s13, exec_lo
	v_cmpx_ne_u16_e32 0x80, v7
	s_cbranch_execz .LBB442_2274
; %bb.2269:                             ;   in Loop: Header=BB442_1382 Depth=1
	v_bfe_u32 v7, v3, 16, 7
	v_mov_b32_e32 v6, 0x7f800001
	s_mov_b32 s15, exec_lo
	s_delay_alu instid0(VALU_DEP_2)
	v_cmpx_ne_u32_e32 0x7f, v7
	s_cbranch_execz .LBB442_2273
; %bb.2270:                             ;   in Loop: Header=BB442_1382 Depth=1
	v_and_b32_e32 v9, 7, v45
	v_lshrrev_b32_e32 v46, 3, v7
	v_cmp_gt_u32_e64 s0, 8, v7
	s_delay_alu instid0(VALU_DEP_3) | instskip(NEXT) | instid1(VALU_DEP_2)
	v_dual_mov_b32 v6, v9 :: v_dual_mov_b32 v7, v10
	s_and_saveexec_b32 s16, s0
; %bb.2271:                             ;   in Loop: Header=BB442_1382 Depth=1
	v_clz_i32_u32_e32 v6, v9
	s_delay_alu instid0(VALU_DEP_1) | instskip(NEXT) | instid1(VALU_DEP_1)
	v_min_u32_e32 v46, 32, v6
	v_subrev_nc_u32_e32 v6, 28, v46
	v_sub_nc_u32_e32 v46, 29, v46
	s_delay_alu instid0(VALU_DEP_2) | instskip(NEXT) | instid1(VALU_DEP_1)
	v_lshlrev_b64 v[6:7], v6, v[9:10]
	v_and_b32_e32 v6, 7, v6
; %bb.2272:                             ;   in Loop: Header=BB442_1382 Depth=1
	s_or_b32 exec_lo, exec_lo, s16
	v_lshlrev_b32_e32 v7, 24, v45
	s_delay_alu instid0(VALU_DEP_2) | instskip(SKIP_1) | instid1(VALU_DEP_3)
	v_lshlrev_b32_e32 v6, 20, v6
	v_lshl_add_u32 v9, v46, 23, 0x3c000000
	v_and_b32_e32 v7, 0x80000000, v7
	s_delay_alu instid0(VALU_DEP_1)
	v_or3_b32 v6, v6, v7, v9
.LBB442_2273:                           ;   in Loop: Header=BB442_1382 Depth=1
	s_or_b32 exec_lo, exec_lo, s15
.LBB442_2274:                           ;   in Loop: Header=BB442_1382 Depth=1
	s_delay_alu instid0(SALU_CYCLE_1)
	s_or_b32 exec_lo, exec_lo, s13
.LBB442_2275:                           ;   in Loop: Header=BB442_1382 Depth=1
	s_delay_alu instid0(SALU_CYCLE_1) | instskip(NEXT) | instid1(VALU_DEP_1)
	s_or_b32 exec_lo, exec_lo, s12
	v_mul_f32_e32 v6, v8, v6
                                        ; implicit-def: $vgpr45
	s_delay_alu instid0(VALU_DEP_1) | instskip(NEXT) | instid1(VALU_DEP_1)
	v_and_b32_e32 v7, 0x7f800000, v6
	v_cmp_ne_u32_e64 s0, 0x7f800000, v7
	s_delay_alu instid0(VALU_DEP_1) | instskip(NEXT) | instid1(SALU_CYCLE_1)
	s_and_saveexec_b32 s12, s0
	s_xor_b32 s0, exec_lo, s12
; %bb.2276:                             ;   in Loop: Header=BB442_1382 Depth=1
	v_bfe_u32 v7, v6, 16, 1
	s_delay_alu instid0(VALU_DEP_1)
	v_add3_u32 v45, v6, v7, 0x7fff
                                        ; implicit-def: $vgpr6
; %bb.2277:                             ;   in Loop: Header=BB442_1382 Depth=1
	s_and_not1_saveexec_b32 s12, s0
; %bb.2278:                             ;   in Loop: Header=BB442_1382 Depth=1
	v_and_b32_e32 v7, 0xffff, v6
	v_or_b32_e32 v9, 0x10000, v6
	s_delay_alu instid0(VALU_DEP_2) | instskip(NEXT) | instid1(VALU_DEP_1)
	v_cmp_eq_u32_e64 s0, 0, v7
	v_cndmask_b32_e64 v45, v9, v6, s0
; %bb.2279:                             ;   in Loop: Header=BB442_1382 Depth=1
	s_or_b32 exec_lo, exec_lo, s12
	v_cmp_lt_u64_e64 s0, s[8:9], v[2:3]
	v_mov_b32_e32 v2, 0
	s_delay_alu instid0(VALU_DEP_2)
	s_and_saveexec_b32 s12, s0
	s_cbranch_execz .LBB442_2287
; %bb.2280:                             ;   in Loop: Header=BB442_1382 Depth=1
	v_lshrrev_b32_e32 v6, 24, v3
	v_bfrev_b32_e32 v2, 1
	s_mov_b32 s13, exec_lo
	s_delay_alu instid0(VALU_DEP_2)
	v_cmpx_ne_u32_e32 0x80, v6
	s_cbranch_execz .LBB442_2286
; %bb.2281:                             ;   in Loop: Header=BB442_1382 Depth=1
	v_bfe_u32 v3, v3, 24, 7
	v_mov_b32_e32 v2, 0x7f800001
	s_mov_b32 s15, exec_lo
	s_delay_alu instid0(VALU_DEP_2)
	v_cmpx_ne_u32_e32 0x7f, v3
	s_cbranch_execz .LBB442_2285
; %bb.2282:                             ;   in Loop: Header=BB442_1382 Depth=1
	v_and_b32_e32 v9, 7, v6
	v_lshrrev_b32_e32 v7, 3, v3
	v_cmp_gt_u32_e64 s0, 8, v3
	s_delay_alu instid0(VALU_DEP_3) | instskip(NEXT) | instid1(VALU_DEP_2)
	v_dual_mov_b32 v2, v9 :: v_dual_mov_b32 v3, v10
	s_and_saveexec_b32 s16, s0
; %bb.2283:                             ;   in Loop: Header=BB442_1382 Depth=1
	v_clz_i32_u32_e32 v2, v9
	s_delay_alu instid0(VALU_DEP_1) | instskip(NEXT) | instid1(VALU_DEP_1)
	v_min_u32_e32 v7, 32, v2
	v_subrev_nc_u32_e32 v2, 28, v7
	v_sub_nc_u32_e32 v7, 29, v7
	s_delay_alu instid0(VALU_DEP_2) | instskip(NEXT) | instid1(VALU_DEP_1)
	v_lshlrev_b64 v[2:3], v2, v[9:10]
	v_and_b32_e32 v2, 7, v2
; %bb.2284:                             ;   in Loop: Header=BB442_1382 Depth=1
	s_or_b32 exec_lo, exec_lo, s16
	v_lshlrev_b32_e32 v3, 24, v6
	s_delay_alu instid0(VALU_DEP_2) | instskip(SKIP_1) | instid1(VALU_DEP_3)
	v_lshlrev_b32_e32 v2, 20, v2
	v_lshl_add_u32 v6, v7, 23, 0x3c000000
	v_and_b32_e32 v3, 0x80000000, v3
	s_delay_alu instid0(VALU_DEP_1)
	v_or3_b32 v2, v2, v3, v6
.LBB442_2285:                           ;   in Loop: Header=BB442_1382 Depth=1
	s_or_b32 exec_lo, exec_lo, s15
.LBB442_2286:                           ;   in Loop: Header=BB442_1382 Depth=1
	s_delay_alu instid0(SALU_CYCLE_1)
	s_or_b32 exec_lo, exec_lo, s13
.LBB442_2287:                           ;   in Loop: Header=BB442_1382 Depth=1
	s_delay_alu instid0(SALU_CYCLE_1) | instskip(NEXT) | instid1(VALU_DEP_1)
	s_or_b32 exec_lo, exec_lo, s12
	v_mul_f32_e32 v3, v8, v2
	s_delay_alu instid0(VALU_DEP_1) | instskip(NEXT) | instid1(VALU_DEP_1)
	v_and_b32_e32 v2, 0x7f800000, v3
	v_cmp_ne_u32_e64 s0, 0x7f800000, v2
                                        ; implicit-def: $vgpr2
	s_delay_alu instid0(VALU_DEP_1) | instskip(NEXT) | instid1(SALU_CYCLE_1)
	s_and_saveexec_b32 s12, s0
	s_xor_b32 s0, exec_lo, s12
; %bb.2288:                             ;   in Loop: Header=BB442_1382 Depth=1
	v_bfe_u32 v2, v3, 16, 1
	s_delay_alu instid0(VALU_DEP_1)
	v_add3_u32 v2, v3, v2, 0x7fff
                                        ; implicit-def: $vgpr3
; %bb.2289:                             ;   in Loop: Header=BB442_1382 Depth=1
	s_and_not1_saveexec_b32 s12, s0
; %bb.2290:                             ;   in Loop: Header=BB442_1382 Depth=1
	v_and_b32_e32 v2, 0xffff, v3
	v_or_b32_e32 v6, 0x10000, v3
	s_delay_alu instid0(VALU_DEP_2) | instskip(NEXT) | instid1(VALU_DEP_1)
	v_cmp_eq_u32_e64 s0, 0, v2
	v_cndmask_b32_e64 v2, v6, v3, s0
; %bb.2291:                             ;   in Loop: Header=BB442_1382 Depth=1
	s_or_b32 exec_lo, exec_lo, s12
	v_lshrrev_b32_e32 v6, 16, v44
	v_lshrrev_b32_e32 v7, 16, v43
	;; [unrolled: 1-line block ×8, first 2 shown]
	s_and_saveexec_b32 s12, vcc_lo
	s_cbranch_execz .LBB442_2293
; %bb.2292:                             ;   in Loop: Header=BB442_1382 Depth=1
	v_cmp_lt_i32_e64 s0, v84, v38
	s_delay_alu instid0(VALU_DEP_1) | instskip(SKIP_1) | instid1(VALU_DEP_1)
	v_cndmask_b32_e64 v21, 0, v21, s0
	v_cmp_lt_i32_e64 s0, v99, v38
	v_cndmask_b32_e64 v37, 0, v37, s0
	v_cmp_lt_i32_e64 s0, v98, v38
	s_delay_alu instid0(VALU_DEP_1) | instskip(SKIP_1) | instid1(VALU_DEP_1)
	v_cndmask_b32_e64 v39, 0, v39, s0
	v_cmp_lt_i32_e64 s0, v97, v38
	v_cndmask_b32_e64 v9, 0, v9, s0
	;; [unrolled: 5-line block ×4, first 2 shown]
.LBB442_2293:                           ;   in Loop: Header=BB442_1382 Depth=1
	s_or_b32 exec_lo, exec_lo, s12
	v_lshlrev_b32_e32 v21, 16, v21
	s_delay_alu instid0(VALU_DEP_1) | instskip(NEXT) | instid1(VALU_DEP_1)
	v_mul_f32_e32 v42, v100, v21
	v_and_b32_e32 v21, 0x7f800000, v42
	s_delay_alu instid0(VALU_DEP_1) | instskip(NEXT) | instid1(VALU_DEP_1)
	v_cmp_ne_u32_e64 s0, 0x7f800000, v21
                                        ; implicit-def: $vgpr21
	s_and_saveexec_b32 s12, s0
	s_delay_alu instid0(SALU_CYCLE_1)
	s_xor_b32 s0, exec_lo, s12
; %bb.2294:                             ;   in Loop: Header=BB442_1382 Depth=1
	v_bfe_u32 v21, v42, 16, 1
	s_delay_alu instid0(VALU_DEP_1)
	v_add3_u32 v21, v42, v21, 0x7fff
                                        ; implicit-def: $vgpr42
; %bb.2295:                             ;   in Loop: Header=BB442_1382 Depth=1
	s_and_not1_saveexec_b32 s12, s0
; %bb.2296:                             ;   in Loop: Header=BB442_1382 Depth=1
	v_and_b32_e32 v21, 0xffff, v42
	v_or_b32_e32 v43, 0x10000, v42
	s_delay_alu instid0(VALU_DEP_2) | instskip(NEXT) | instid1(VALU_DEP_1)
	v_cmp_eq_u32_e64 s0, 0, v21
	v_cndmask_b32_e64 v21, v43, v42, s0
; %bb.2297:                             ;   in Loop: Header=BB442_1382 Depth=1
	s_or_b32 exec_lo, exec_lo, s12
	v_lshlrev_b32_e32 v37, 16, v37
	s_delay_alu instid0(VALU_DEP_1) | instskip(NEXT) | instid1(VALU_DEP_1)
	v_mul_f32_e32 v42, v101, v37
	v_and_b32_e32 v37, 0x7f800000, v42
	s_delay_alu instid0(VALU_DEP_1) | instskip(NEXT) | instid1(VALU_DEP_1)
	v_cmp_ne_u32_e64 s0, 0x7f800000, v37
                                        ; implicit-def: $vgpr37
	s_and_saveexec_b32 s12, s0
	s_delay_alu instid0(SALU_CYCLE_1)
	s_xor_b32 s0, exec_lo, s12
; %bb.2298:                             ;   in Loop: Header=BB442_1382 Depth=1
	v_bfe_u32 v37, v42, 16, 1
	s_delay_alu instid0(VALU_DEP_1)
	v_add3_u32 v37, v42, v37, 0x7fff
                                        ; implicit-def: $vgpr42
; %bb.2299:                             ;   in Loop: Header=BB442_1382 Depth=1
	s_and_not1_saveexec_b32 s12, s0
; %bb.2300:                             ;   in Loop: Header=BB442_1382 Depth=1
	v_and_b32_e32 v37, 0xffff, v42
	v_or_b32_e32 v43, 0x10000, v42
	s_delay_alu instid0(VALU_DEP_2) | instskip(NEXT) | instid1(VALU_DEP_1)
	v_cmp_eq_u32_e64 s0, 0, v37
	v_cndmask_b32_e64 v37, v43, v42, s0
; %bb.2301:                             ;   in Loop: Header=BB442_1382 Depth=1
	s_or_b32 exec_lo, exec_lo, s12
	v_lshlrev_b32_e32 v39, 16, v39
	s_delay_alu instid0(VALU_DEP_1) | instskip(NEXT) | instid1(VALU_DEP_1)
	v_mul_f32_e32 v42, v102, v39
	v_and_b32_e32 v39, 0x7f800000, v42
	s_delay_alu instid0(VALU_DEP_1) | instskip(NEXT) | instid1(VALU_DEP_1)
	v_cmp_ne_u32_e64 s0, 0x7f800000, v39
                                        ; implicit-def: $vgpr39
	s_and_saveexec_b32 s12, s0
	s_delay_alu instid0(SALU_CYCLE_1)
	s_xor_b32 s0, exec_lo, s12
; %bb.2302:                             ;   in Loop: Header=BB442_1382 Depth=1
	v_bfe_u32 v39, v42, 16, 1
	s_delay_alu instid0(VALU_DEP_1)
	v_add3_u32 v39, v42, v39, 0x7fff
                                        ; implicit-def: $vgpr42
; %bb.2303:                             ;   in Loop: Header=BB442_1382 Depth=1
	s_and_not1_saveexec_b32 s12, s0
; %bb.2304:                             ;   in Loop: Header=BB442_1382 Depth=1
	v_and_b32_e32 v39, 0xffff, v42
	v_or_b32_e32 v43, 0x10000, v42
	s_delay_alu instid0(VALU_DEP_2) | instskip(NEXT) | instid1(VALU_DEP_1)
	v_cmp_eq_u32_e64 s0, 0, v39
	v_cndmask_b32_e64 v39, v43, v42, s0
; %bb.2305:                             ;   in Loop: Header=BB442_1382 Depth=1
	s_or_b32 exec_lo, exec_lo, s12
	v_lshlrev_b32_e32 v9, 16, v9
	s_delay_alu instid0(VALU_DEP_1) | instskip(NEXT) | instid1(VALU_DEP_1)
	v_mul_f32_e32 v9, v103, v9
	v_and_b32_e32 v42, 0x7f800000, v9
	s_delay_alu instid0(VALU_DEP_1) | instskip(NEXT) | instid1(VALU_DEP_1)
	v_cmp_ne_u32_e64 s0, 0x7f800000, v42
                                        ; implicit-def: $vgpr42
	s_and_saveexec_b32 s12, s0
	s_delay_alu instid0(SALU_CYCLE_1)
	s_xor_b32 s0, exec_lo, s12
; %bb.2306:                             ;   in Loop: Header=BB442_1382 Depth=1
	v_bfe_u32 v42, v9, 16, 1
	s_delay_alu instid0(VALU_DEP_1)
	v_add3_u32 v42, v9, v42, 0x7fff
                                        ; implicit-def: $vgpr9
; %bb.2307:                             ;   in Loop: Header=BB442_1382 Depth=1
	s_and_not1_saveexec_b32 s12, s0
; %bb.2308:                             ;   in Loop: Header=BB442_1382 Depth=1
	v_and_b32_e32 v42, 0xffff, v9
	v_or_b32_e32 v43, 0x10000, v9
	s_delay_alu instid0(VALU_DEP_2) | instskip(NEXT) | instid1(VALU_DEP_1)
	v_cmp_eq_u32_e64 s0, 0, v42
	v_cndmask_b32_e64 v42, v43, v9, s0
; %bb.2309:                             ;   in Loop: Header=BB442_1382 Depth=1
	s_or_b32 exec_lo, exec_lo, s12
	v_lshlrev_b32_e32 v7, 16, v7
                                        ; implicit-def: $vgpr43
	s_delay_alu instid0(VALU_DEP_1) | instskip(NEXT) | instid1(VALU_DEP_1)
	v_mul_f32_e32 v7, v112, v7
	v_and_b32_e32 v9, 0x7f800000, v7
	s_delay_alu instid0(VALU_DEP_1) | instskip(NEXT) | instid1(VALU_DEP_1)
	v_cmp_ne_u32_e64 s0, 0x7f800000, v9
	s_and_saveexec_b32 s12, s0
	s_delay_alu instid0(SALU_CYCLE_1)
	s_xor_b32 s0, exec_lo, s12
; %bb.2310:                             ;   in Loop: Header=BB442_1382 Depth=1
	v_bfe_u32 v9, v7, 16, 1
	s_delay_alu instid0(VALU_DEP_1)
	v_add3_u32 v43, v7, v9, 0x7fff
                                        ; implicit-def: $vgpr7
; %bb.2311:                             ;   in Loop: Header=BB442_1382 Depth=1
	s_and_not1_saveexec_b32 s12, s0
; %bb.2312:                             ;   in Loop: Header=BB442_1382 Depth=1
	v_and_b32_e32 v9, 0xffff, v7
	v_or_b32_e32 v43, 0x10000, v7
	s_delay_alu instid0(VALU_DEP_2) | instskip(NEXT) | instid1(VALU_DEP_1)
	v_cmp_eq_u32_e64 s0, 0, v9
	v_cndmask_b32_e64 v43, v43, v7, s0
; %bb.2313:                             ;   in Loop: Header=BB442_1382 Depth=1
	s_or_b32 exec_lo, exec_lo, s12
	v_lshlrev_b32_e32 v6, 16, v6
                                        ; implicit-def: $vgpr44
	s_delay_alu instid0(VALU_DEP_1) | instskip(NEXT) | instid1(VALU_DEP_1)
	v_mul_f32_e32 v6, v113, v6
	v_and_b32_e32 v7, 0x7f800000, v6
	s_delay_alu instid0(VALU_DEP_1) | instskip(NEXT) | instid1(VALU_DEP_1)
	v_cmp_ne_u32_e64 s0, 0x7f800000, v7
	s_and_saveexec_b32 s12, s0
	s_delay_alu instid0(SALU_CYCLE_1)
	s_xor_b32 s0, exec_lo, s12
; %bb.2314:                             ;   in Loop: Header=BB442_1382 Depth=1
	v_bfe_u32 v7, v6, 16, 1
	s_delay_alu instid0(VALU_DEP_1)
	v_add3_u32 v44, v6, v7, 0x7fff
                                        ; implicit-def: $vgpr6
; %bb.2315:                             ;   in Loop: Header=BB442_1382 Depth=1
	s_and_not1_saveexec_b32 s12, s0
; %bb.2316:                             ;   in Loop: Header=BB442_1382 Depth=1
	v_and_b32_e32 v7, 0xffff, v6
	v_or_b32_e32 v9, 0x10000, v6
	s_delay_alu instid0(VALU_DEP_2) | instskip(NEXT) | instid1(VALU_DEP_1)
	v_cmp_eq_u32_e64 s0, 0, v7
	v_cndmask_b32_e64 v44, v9, v6, s0
; %bb.2317:                             ;   in Loop: Header=BB442_1382 Depth=1
	s_or_b32 exec_lo, exec_lo, s12
	v_lshlrev_b32_e32 v3, 16, v3
                                        ; implicit-def: $vgpr45
	s_delay_alu instid0(VALU_DEP_1) | instskip(NEXT) | instid1(VALU_DEP_1)
	v_mul_f32_e32 v3, v114, v3
	v_and_b32_e32 v6, 0x7f800000, v3
	s_delay_alu instid0(VALU_DEP_1) | instskip(NEXT) | instid1(VALU_DEP_1)
	v_cmp_ne_u32_e64 s0, 0x7f800000, v6
	s_and_saveexec_b32 s12, s0
	s_delay_alu instid0(SALU_CYCLE_1)
	s_xor_b32 s0, exec_lo, s12
; %bb.2318:                             ;   in Loop: Header=BB442_1382 Depth=1
	v_bfe_u32 v6, v3, 16, 1
	s_delay_alu instid0(VALU_DEP_1)
	v_add3_u32 v45, v3, v6, 0x7fff
                                        ; implicit-def: $vgpr3
; %bb.2319:                             ;   in Loop: Header=BB442_1382 Depth=1
	s_and_not1_saveexec_b32 s12, s0
; %bb.2320:                             ;   in Loop: Header=BB442_1382 Depth=1
	v_and_b32_e32 v6, 0xffff, v3
	v_or_b32_e32 v7, 0x10000, v3
	s_delay_alu instid0(VALU_DEP_2) | instskip(NEXT) | instid1(VALU_DEP_1)
	v_cmp_eq_u32_e64 s0, 0, v6
	v_cndmask_b32_e64 v45, v7, v3, s0
; %bb.2321:                             ;   in Loop: Header=BB442_1382 Depth=1
	s_or_b32 exec_lo, exec_lo, s12
	v_lshlrev_b32_e32 v2, 16, v2
                                        ; implicit-def: $vgpr46
	s_delay_alu instid0(VALU_DEP_1) | instskip(NEXT) | instid1(VALU_DEP_1)
	v_mul_f32_e32 v2, v115, v2
	v_and_b32_e32 v3, 0x7f800000, v2
	s_delay_alu instid0(VALU_DEP_1) | instskip(NEXT) | instid1(VALU_DEP_1)
	v_cmp_ne_u32_e64 s0, 0x7f800000, v3
	s_and_saveexec_b32 s12, s0
	s_delay_alu instid0(SALU_CYCLE_1)
	s_xor_b32 s0, exec_lo, s12
; %bb.2322:                             ;   in Loop: Header=BB442_1382 Depth=1
	v_bfe_u32 v3, v2, 16, 1
	s_delay_alu instid0(VALU_DEP_1)
	v_add3_u32 v46, v2, v3, 0x7fff
                                        ; implicit-def: $vgpr2
; %bb.2323:                             ;   in Loop: Header=BB442_1382 Depth=1
	s_and_not1_saveexec_b32 s12, s0
; %bb.2324:                             ;   in Loop: Header=BB442_1382 Depth=1
	v_and_b32_e32 v3, 0xffff, v2
	v_or_b32_e32 v6, 0x10000, v2
	s_delay_alu instid0(VALU_DEP_2) | instskip(NEXT) | instid1(VALU_DEP_1)
	v_cmp_eq_u32_e64 s0, 0, v3
	v_cndmask_b32_e64 v46, v6, v2, s0
; %bb.2325:                             ;   in Loop: Header=BB442_1382 Depth=1
	s_or_b32 exec_lo, exec_lo, s12
	flat_load_b64 v[2:3], v[0:1] offset:1792
	s_mov_b32 s12, exec_lo
	s_waitcnt vmcnt(0) lgkmcnt(0)
	v_dual_mov_b32 v6, 0 :: v_dual_and_b32 v7, 0xff, v2
	s_delay_alu instid0(VALU_DEP_1)
	v_cmpx_ne_u16_e32 0, v7
	s_cbranch_execz .LBB442_2333
; %bb.2326:                             ;   in Loop: Header=BB442_1382 Depth=1
	v_bfrev_b32_e32 v6, 1
	s_mov_b32 s13, exec_lo
	v_cmpx_ne_u16_e32 0x80, v7
	s_cbranch_execz .LBB442_2332
; %bb.2327:                             ;   in Loop: Header=BB442_1382 Depth=1
	v_and_b32_e32 v7, 0x7f, v2
	v_mov_b32_e32 v6, 0x7f800001
	s_mov_b32 s15, exec_lo
	s_delay_alu instid0(VALU_DEP_2)
	v_cmpx_ne_u32_e32 0x7f, v7
	s_cbranch_execz .LBB442_2331
; %bb.2328:                             ;   in Loop: Header=BB442_1382 Depth=1
	v_lshrrev_b32_e32 v9, 3, v7
	v_cmp_gt_u32_e64 s0, 8, v7
	v_dual_mov_b32 v7, v3 :: v_dual_mov_b32 v6, v2
	s_delay_alu instid0(VALU_DEP_2)
	s_and_saveexec_b32 s16, s0
; %bb.2329:                             ;   in Loop: Header=BB442_1382 Depth=1
	v_and_b32_e32 v6, 7, v2
	s_delay_alu instid0(VALU_DEP_1) | instskip(NEXT) | instid1(VALU_DEP_1)
	v_clz_i32_u32_e32 v6, v6
	v_min_u32_e32 v9, 32, v6
	s_delay_alu instid0(VALU_DEP_1) | instskip(SKIP_1) | instid1(VALU_DEP_2)
	v_subrev_nc_u32_e32 v6, 28, v9
	v_sub_nc_u32_e32 v9, 29, v9
	v_lshlrev_b64 v[6:7], v6, v[2:3]
; %bb.2330:                             ;   in Loop: Header=BB442_1382 Depth=1
	s_or_b32 exec_lo, exec_lo, s16
	s_delay_alu instid0(VALU_DEP_1) | instskip(SKIP_2) | instid1(VALU_DEP_3)
	v_lshlrev_b32_e32 v6, 20, v6
	v_lshlrev_b32_e32 v7, 24, v2
	v_lshl_add_u32 v9, v9, 23, 0x3c000000
	v_and_b32_e32 v6, 0x700000, v6
	s_delay_alu instid0(VALU_DEP_3) | instskip(NEXT) | instid1(VALU_DEP_1)
	v_and_b32_e32 v7, 0x80000000, v7
	v_or3_b32 v6, v6, v7, v9
.LBB442_2331:                           ;   in Loop: Header=BB442_1382 Depth=1
	s_or_b32 exec_lo, exec_lo, s15
.LBB442_2332:                           ;   in Loop: Header=BB442_1382 Depth=1
	s_delay_alu instid0(SALU_CYCLE_1)
	s_or_b32 exec_lo, exec_lo, s13
.LBB442_2333:                           ;   in Loop: Header=BB442_1382 Depth=1
	s_delay_alu instid0(SALU_CYCLE_1) | instskip(NEXT) | instid1(VALU_DEP_1)
	s_or_b32 exec_lo, exec_lo, s12
	v_mul_f32_e32 v6, v8, v6
                                        ; implicit-def: $vgpr47
	s_delay_alu instid0(VALU_DEP_1) | instskip(NEXT) | instid1(VALU_DEP_1)
	v_and_b32_e32 v7, 0x7f800000, v6
	v_cmp_ne_u32_e64 s0, 0x7f800000, v7
	s_delay_alu instid0(VALU_DEP_1) | instskip(NEXT) | instid1(SALU_CYCLE_1)
	s_and_saveexec_b32 s12, s0
	s_xor_b32 s0, exec_lo, s12
; %bb.2334:                             ;   in Loop: Header=BB442_1382 Depth=1
	v_bfe_u32 v7, v6, 16, 1
	s_delay_alu instid0(VALU_DEP_1)
	v_add3_u32 v47, v6, v7, 0x7fff
                                        ; implicit-def: $vgpr6
; %bb.2335:                             ;   in Loop: Header=BB442_1382 Depth=1
	s_and_not1_saveexec_b32 s12, s0
; %bb.2336:                             ;   in Loop: Header=BB442_1382 Depth=1
	v_and_b32_e32 v7, 0xffff, v6
	v_or_b32_e32 v9, 0x10000, v6
	s_delay_alu instid0(VALU_DEP_2) | instskip(NEXT) | instid1(VALU_DEP_1)
	v_cmp_eq_u32_e64 s0, 0, v7
	v_cndmask_b32_e64 v47, v9, v6, s0
; %bb.2337:                             ;   in Loop: Header=BB442_1382 Depth=1
	s_or_b32 exec_lo, exec_lo, s12
	v_lshrrev_b16 v7, 8, v2
	v_mov_b32_e32 v6, 0
	s_mov_b32 s12, exec_lo
	s_delay_alu instid0(VALU_DEP_2)
	v_cmpx_ne_u16_e32 0, v7
	s_cbranch_execz .LBB442_2345
; %bb.2338:                             ;   in Loop: Header=BB442_1382 Depth=1
	v_bfrev_b32_e32 v6, 1
	s_mov_b32 s13, exec_lo
	v_cmpx_ne_u16_e32 0x80, v7
	s_cbranch_execz .LBB442_2344
; %bb.2339:                             ;   in Loop: Header=BB442_1382 Depth=1
	v_and_b32_e32 v9, 0xffff, v7
	v_mov_b32_e32 v6, 0x7f800001
	s_mov_b32 s15, exec_lo
	s_delay_alu instid0(VALU_DEP_2) | instskip(NEXT) | instid1(VALU_DEP_1)
	v_and_b32_e32 v7, 0x7f, v9
	v_cmpx_ne_u32_e32 0x7f, v7
	s_cbranch_execz .LBB442_2343
; %bb.2340:                             ;   in Loop: Header=BB442_1382 Depth=1
	v_and_b32_e32 v9, 7, v9
	v_lshrrev_b32_e32 v56, 3, v7
	v_cmp_gt_u32_e64 s0, 8, v7
	s_delay_alu instid0(VALU_DEP_3) | instskip(NEXT) | instid1(VALU_DEP_2)
	v_dual_mov_b32 v6, v9 :: v_dual_mov_b32 v7, v10
	s_and_saveexec_b32 s16, s0
; %bb.2341:                             ;   in Loop: Header=BB442_1382 Depth=1
	v_clz_i32_u32_e32 v6, v9
	s_delay_alu instid0(VALU_DEP_1) | instskip(NEXT) | instid1(VALU_DEP_1)
	v_min_u32_e32 v56, 32, v6
	v_subrev_nc_u32_e32 v6, 28, v56
	v_sub_nc_u32_e32 v56, 29, v56
	s_delay_alu instid0(VALU_DEP_2) | instskip(NEXT) | instid1(VALU_DEP_1)
	v_lshlrev_b64 v[6:7], v6, v[9:10]
	v_and_b32_e32 v6, 7, v6
; %bb.2342:                             ;   in Loop: Header=BB442_1382 Depth=1
	s_or_b32 exec_lo, exec_lo, s16
	v_lshlrev_b32_e32 v7, 16, v2
	s_delay_alu instid0(VALU_DEP_2) | instskip(SKIP_1) | instid1(VALU_DEP_3)
	v_lshlrev_b32_e32 v6, 20, v6
	v_lshl_add_u32 v9, v56, 23, 0x3c000000
	v_and_b32_e32 v7, 0x80000000, v7
	s_delay_alu instid0(VALU_DEP_1)
	v_or3_b32 v6, v6, v7, v9
.LBB442_2343:                           ;   in Loop: Header=BB442_1382 Depth=1
	s_or_b32 exec_lo, exec_lo, s15
.LBB442_2344:                           ;   in Loop: Header=BB442_1382 Depth=1
	s_delay_alu instid0(SALU_CYCLE_1)
	s_or_b32 exec_lo, exec_lo, s13
.LBB442_2345:                           ;   in Loop: Header=BB442_1382 Depth=1
	s_delay_alu instid0(SALU_CYCLE_1) | instskip(NEXT) | instid1(VALU_DEP_1)
	s_or_b32 exec_lo, exec_lo, s12
	v_mul_f32_e32 v6, v8, v6
                                        ; implicit-def: $vgpr56
	s_delay_alu instid0(VALU_DEP_1) | instskip(NEXT) | instid1(VALU_DEP_1)
	v_and_b32_e32 v7, 0x7f800000, v6
	v_cmp_ne_u32_e64 s0, 0x7f800000, v7
	s_delay_alu instid0(VALU_DEP_1) | instskip(NEXT) | instid1(SALU_CYCLE_1)
	s_and_saveexec_b32 s12, s0
	s_xor_b32 s0, exec_lo, s12
; %bb.2346:                             ;   in Loop: Header=BB442_1382 Depth=1
	v_bfe_u32 v7, v6, 16, 1
	s_delay_alu instid0(VALU_DEP_1)
	v_add3_u32 v56, v6, v7, 0x7fff
                                        ; implicit-def: $vgpr6
; %bb.2347:                             ;   in Loop: Header=BB442_1382 Depth=1
	s_and_not1_saveexec_b32 s12, s0
; %bb.2348:                             ;   in Loop: Header=BB442_1382 Depth=1
	v_and_b32_e32 v7, 0xffff, v6
	v_or_b32_e32 v9, 0x10000, v6
	s_delay_alu instid0(VALU_DEP_2) | instskip(NEXT) | instid1(VALU_DEP_1)
	v_cmp_eq_u32_e64 s0, 0, v7
	v_cndmask_b32_e64 v56, v9, v6, s0
; %bb.2349:                             ;   in Loop: Header=BB442_1382 Depth=1
	s_or_b32 exec_lo, exec_lo, s12
	v_lshrrev_b32_e32 v57, 16, v2
	s_mov_b32 s12, exec_lo
	s_delay_alu instid0(VALU_DEP_1) | instskip(NEXT) | instid1(VALU_DEP_1)
	v_dual_mov_b32 v6, 0 :: v_dual_and_b32 v7, 0xff, v57
	v_cmpx_ne_u16_e32 0, v7
	s_cbranch_execz .LBB442_2357
; %bb.2350:                             ;   in Loop: Header=BB442_1382 Depth=1
	v_bfrev_b32_e32 v6, 1
	s_mov_b32 s13, exec_lo
	v_cmpx_ne_u16_e32 0x80, v7
	s_cbranch_execz .LBB442_2356
; %bb.2351:                             ;   in Loop: Header=BB442_1382 Depth=1
	v_bfe_u32 v7, v2, 16, 7
	v_mov_b32_e32 v6, 0x7f800001
	s_mov_b32 s15, exec_lo
	s_delay_alu instid0(VALU_DEP_2)
	v_cmpx_ne_u32_e32 0x7f, v7
	s_cbranch_execz .LBB442_2355
; %bb.2352:                             ;   in Loop: Header=BB442_1382 Depth=1
	v_and_b32_e32 v9, 7, v57
	v_lshrrev_b32_e32 v58, 3, v7
	v_cmp_gt_u32_e64 s0, 8, v7
	s_delay_alu instid0(VALU_DEP_3) | instskip(NEXT) | instid1(VALU_DEP_2)
	v_dual_mov_b32 v6, v9 :: v_dual_mov_b32 v7, v10
	s_and_saveexec_b32 s16, s0
; %bb.2353:                             ;   in Loop: Header=BB442_1382 Depth=1
	v_clz_i32_u32_e32 v6, v9
	s_delay_alu instid0(VALU_DEP_1) | instskip(NEXT) | instid1(VALU_DEP_1)
	v_min_u32_e32 v58, 32, v6
	v_subrev_nc_u32_e32 v6, 28, v58
	v_sub_nc_u32_e32 v58, 29, v58
	s_delay_alu instid0(VALU_DEP_2) | instskip(NEXT) | instid1(VALU_DEP_1)
	v_lshlrev_b64 v[6:7], v6, v[9:10]
	v_and_b32_e32 v6, 7, v6
; %bb.2354:                             ;   in Loop: Header=BB442_1382 Depth=1
	s_or_b32 exec_lo, exec_lo, s16
	v_lshlrev_b32_e32 v7, 24, v57
	s_delay_alu instid0(VALU_DEP_2) | instskip(SKIP_1) | instid1(VALU_DEP_3)
	v_lshlrev_b32_e32 v6, 20, v6
	v_lshl_add_u32 v9, v58, 23, 0x3c000000
	v_and_b32_e32 v7, 0x80000000, v7
	s_delay_alu instid0(VALU_DEP_1)
	v_or3_b32 v6, v6, v7, v9
.LBB442_2355:                           ;   in Loop: Header=BB442_1382 Depth=1
	s_or_b32 exec_lo, exec_lo, s15
.LBB442_2356:                           ;   in Loop: Header=BB442_1382 Depth=1
	s_delay_alu instid0(SALU_CYCLE_1)
	s_or_b32 exec_lo, exec_lo, s13
.LBB442_2357:                           ;   in Loop: Header=BB442_1382 Depth=1
	s_delay_alu instid0(SALU_CYCLE_1) | instskip(NEXT) | instid1(VALU_DEP_1)
	s_or_b32 exec_lo, exec_lo, s12
	v_mul_f32_e32 v6, v8, v6
                                        ; implicit-def: $vgpr57
	s_delay_alu instid0(VALU_DEP_1) | instskip(NEXT) | instid1(VALU_DEP_1)
	v_and_b32_e32 v7, 0x7f800000, v6
	v_cmp_ne_u32_e64 s0, 0x7f800000, v7
	s_delay_alu instid0(VALU_DEP_1) | instskip(NEXT) | instid1(SALU_CYCLE_1)
	s_and_saveexec_b32 s12, s0
	s_xor_b32 s0, exec_lo, s12
; %bb.2358:                             ;   in Loop: Header=BB442_1382 Depth=1
	v_bfe_u32 v7, v6, 16, 1
	s_delay_alu instid0(VALU_DEP_1)
	v_add3_u32 v57, v6, v7, 0x7fff
                                        ; implicit-def: $vgpr6
; %bb.2359:                             ;   in Loop: Header=BB442_1382 Depth=1
	s_and_not1_saveexec_b32 s12, s0
; %bb.2360:                             ;   in Loop: Header=BB442_1382 Depth=1
	v_and_b32_e32 v7, 0xffff, v6
	v_or_b32_e32 v9, 0x10000, v6
	s_delay_alu instid0(VALU_DEP_2) | instskip(NEXT) | instid1(VALU_DEP_1)
	v_cmp_eq_u32_e64 s0, 0, v7
	v_cndmask_b32_e64 v57, v9, v6, s0
; %bb.2361:                             ;   in Loop: Header=BB442_1382 Depth=1
	s_or_b32 exec_lo, exec_lo, s12
	v_mov_b32_e32 v6, 0
	s_mov_b32 s12, exec_lo
	v_cmpx_lt_u32_e32 0xffffff, v2
	s_cbranch_execz .LBB442_2369
; %bb.2362:                             ;   in Loop: Header=BB442_1382 Depth=1
	v_lshrrev_b32_e32 v58, 24, v2
	v_bfrev_b32_e32 v6, 1
	s_mov_b32 s13, exec_lo
	s_delay_alu instid0(VALU_DEP_2)
	v_cmpx_ne_u32_e32 0x80, v58
	s_cbranch_execz .LBB442_2368
; %bb.2363:                             ;   in Loop: Header=BB442_1382 Depth=1
	v_bfe_u32 v7, v2, 24, 7
	v_mov_b32_e32 v6, 0x7f800001
	s_mov_b32 s15, exec_lo
	s_delay_alu instid0(VALU_DEP_2)
	v_cmpx_ne_u32_e32 0x7f, v7
	s_cbranch_execz .LBB442_2367
; %bb.2364:                             ;   in Loop: Header=BB442_1382 Depth=1
	v_and_b32_e32 v9, 7, v58
	v_lshrrev_b32_e32 v59, 3, v7
	v_cmp_gt_u32_e64 s0, 8, v7
	s_delay_alu instid0(VALU_DEP_3) | instskip(NEXT) | instid1(VALU_DEP_2)
	v_dual_mov_b32 v6, v9 :: v_dual_mov_b32 v7, v10
	s_and_saveexec_b32 s16, s0
; %bb.2365:                             ;   in Loop: Header=BB442_1382 Depth=1
	v_clz_i32_u32_e32 v6, v9
	s_delay_alu instid0(VALU_DEP_1) | instskip(NEXT) | instid1(VALU_DEP_1)
	v_min_u32_e32 v59, 32, v6
	v_subrev_nc_u32_e32 v6, 28, v59
	v_sub_nc_u32_e32 v59, 29, v59
	s_delay_alu instid0(VALU_DEP_2) | instskip(NEXT) | instid1(VALU_DEP_1)
	v_lshlrev_b64 v[6:7], v6, v[9:10]
	v_and_b32_e32 v6, 7, v6
; %bb.2366:                             ;   in Loop: Header=BB442_1382 Depth=1
	s_or_b32 exec_lo, exec_lo, s16
	v_lshlrev_b32_e32 v7, 24, v58
	s_delay_alu instid0(VALU_DEP_2) | instskip(SKIP_1) | instid1(VALU_DEP_3)
	v_lshlrev_b32_e32 v6, 20, v6
	v_lshl_add_u32 v9, v59, 23, 0x3c000000
	v_and_b32_e32 v7, 0x80000000, v7
	s_delay_alu instid0(VALU_DEP_1)
	v_or3_b32 v6, v6, v7, v9
.LBB442_2367:                           ;   in Loop: Header=BB442_1382 Depth=1
	s_or_b32 exec_lo, exec_lo, s15
.LBB442_2368:                           ;   in Loop: Header=BB442_1382 Depth=1
	s_delay_alu instid0(SALU_CYCLE_1)
	s_or_b32 exec_lo, exec_lo, s13
.LBB442_2369:                           ;   in Loop: Header=BB442_1382 Depth=1
	s_delay_alu instid0(SALU_CYCLE_1) | instskip(NEXT) | instid1(VALU_DEP_1)
	s_or_b32 exec_lo, exec_lo, s12
	v_mul_f32_e32 v6, v8, v6
                                        ; implicit-def: $vgpr58
	s_delay_alu instid0(VALU_DEP_1) | instskip(NEXT) | instid1(VALU_DEP_1)
	v_and_b32_e32 v7, 0x7f800000, v6
	v_cmp_ne_u32_e64 s0, 0x7f800000, v7
	s_delay_alu instid0(VALU_DEP_1) | instskip(NEXT) | instid1(SALU_CYCLE_1)
	s_and_saveexec_b32 s12, s0
	s_xor_b32 s0, exec_lo, s12
; %bb.2370:                             ;   in Loop: Header=BB442_1382 Depth=1
	v_bfe_u32 v7, v6, 16, 1
	s_delay_alu instid0(VALU_DEP_1)
	v_add3_u32 v58, v6, v7, 0x7fff
                                        ; implicit-def: $vgpr6
; %bb.2371:                             ;   in Loop: Header=BB442_1382 Depth=1
	s_and_not1_saveexec_b32 s12, s0
; %bb.2372:                             ;   in Loop: Header=BB442_1382 Depth=1
	v_and_b32_e32 v7, 0xffff, v6
	v_or_b32_e32 v9, 0x10000, v6
	s_delay_alu instid0(VALU_DEP_2) | instskip(NEXT) | instid1(VALU_DEP_1)
	v_cmp_eq_u32_e64 s0, 0, v7
	v_cndmask_b32_e64 v58, v9, v6, s0
; %bb.2373:                             ;   in Loop: Header=BB442_1382 Depth=1
	s_or_b32 exec_lo, exec_lo, s12
	v_dual_mov_b32 v6, 0 :: v_dual_and_b32 v7, 0xff, v3
	v_mov_b32_e32 v9, v3
	s_mov_b32 s12, exec_lo
	s_delay_alu instid0(VALU_DEP_2)
	v_cmpx_ne_u16_e32 0, v7
	s_cbranch_execz .LBB442_2381
; %bb.2374:                             ;   in Loop: Header=BB442_1382 Depth=1
	v_bfrev_b32_e32 v6, 1
	s_mov_b32 s13, exec_lo
	v_cmpx_ne_u16_e32 0x80, v7
	s_cbranch_execz .LBB442_2380
; %bb.2375:                             ;   in Loop: Header=BB442_1382 Depth=1
	v_and_b32_e32 v7, 0x7f, v3
	v_mov_b32_e32 v6, 0x7f800001
	s_mov_b32 s15, exec_lo
	s_delay_alu instid0(VALU_DEP_2)
	v_cmpx_ne_u32_e32 0x7f, v7
	s_cbranch_execz .LBB442_2379
; %bb.2376:                             ;   in Loop: Header=BB442_1382 Depth=1
	v_lshrrev_b32_e32 v59, 3, v7
	v_cmp_gt_u32_e64 s0, 8, v7
	v_dual_mov_b32 v6, v9 :: v_dual_mov_b32 v7, v10
	s_delay_alu instid0(VALU_DEP_2)
	s_and_saveexec_b32 s16, s0
; %bb.2377:                             ;   in Loop: Header=BB442_1382 Depth=1
	v_and_b32_e32 v6, 7, v3
	s_delay_alu instid0(VALU_DEP_1) | instskip(NEXT) | instid1(VALU_DEP_1)
	v_clz_i32_u32_e32 v6, v6
	v_min_u32_e32 v59, 32, v6
	s_delay_alu instid0(VALU_DEP_1) | instskip(SKIP_1) | instid1(VALU_DEP_2)
	v_subrev_nc_u32_e32 v6, 28, v59
	v_sub_nc_u32_e32 v59, 29, v59
	v_lshlrev_b64 v[6:7], v6, v[9:10]
; %bb.2378:                             ;   in Loop: Header=BB442_1382 Depth=1
	s_or_b32 exec_lo, exec_lo, s16
	s_delay_alu instid0(VALU_DEP_1) | instskip(SKIP_2) | instid1(VALU_DEP_3)
	v_lshlrev_b32_e32 v6, 20, v6
	v_lshlrev_b32_e32 v7, 24, v9
	v_lshl_add_u32 v59, v59, 23, 0x3c000000
	v_and_b32_e32 v6, 0x700000, v6
	s_delay_alu instid0(VALU_DEP_3) | instskip(NEXT) | instid1(VALU_DEP_1)
	v_and_b32_e32 v7, 0x80000000, v7
	v_or3_b32 v6, v6, v7, v59
.LBB442_2379:                           ;   in Loop: Header=BB442_1382 Depth=1
	s_or_b32 exec_lo, exec_lo, s15
.LBB442_2380:                           ;   in Loop: Header=BB442_1382 Depth=1
	s_delay_alu instid0(SALU_CYCLE_1)
	s_or_b32 exec_lo, exec_lo, s13
.LBB442_2381:                           ;   in Loop: Header=BB442_1382 Depth=1
	s_delay_alu instid0(SALU_CYCLE_1) | instskip(NEXT) | instid1(VALU_DEP_1)
	s_or_b32 exec_lo, exec_lo, s12
	v_mul_f32_e32 v6, v8, v6
                                        ; implicit-def: $vgpr59
	s_delay_alu instid0(VALU_DEP_1) | instskip(NEXT) | instid1(VALU_DEP_1)
	v_and_b32_e32 v7, 0x7f800000, v6
	v_cmp_ne_u32_e64 s0, 0x7f800000, v7
	s_delay_alu instid0(VALU_DEP_1) | instskip(NEXT) | instid1(SALU_CYCLE_1)
	s_and_saveexec_b32 s12, s0
	s_xor_b32 s0, exec_lo, s12
; %bb.2382:                             ;   in Loop: Header=BB442_1382 Depth=1
	v_bfe_u32 v7, v6, 16, 1
	s_delay_alu instid0(VALU_DEP_1)
	v_add3_u32 v59, v6, v7, 0x7fff
                                        ; implicit-def: $vgpr6
; %bb.2383:                             ;   in Loop: Header=BB442_1382 Depth=1
	s_and_not1_saveexec_b32 s12, s0
; %bb.2384:                             ;   in Loop: Header=BB442_1382 Depth=1
	v_and_b32_e32 v7, 0xffff, v6
	v_or_b32_e32 v59, 0x10000, v6
	s_delay_alu instid0(VALU_DEP_2) | instskip(NEXT) | instid1(VALU_DEP_1)
	v_cmp_eq_u32_e64 s0, 0, v7
	v_cndmask_b32_e64 v59, v59, v6, s0
; %bb.2385:                             ;   in Loop: Header=BB442_1382 Depth=1
	s_or_b32 exec_lo, exec_lo, s12
	v_lshrrev_b16 v7, 8, v9
	v_mov_b32_e32 v6, 0
	s_mov_b32 s12, exec_lo
	s_delay_alu instid0(VALU_DEP_2)
	v_cmpx_ne_u16_e32 0, v7
	s_cbranch_execz .LBB442_2393
; %bb.2386:                             ;   in Loop: Header=BB442_1382 Depth=1
	v_bfrev_b32_e32 v6, 1
	s_mov_b32 s13, exec_lo
	v_cmpx_ne_u16_e32 0x80, v7
	s_cbranch_execz .LBB442_2392
; %bb.2387:                             ;   in Loop: Header=BB442_1382 Depth=1
	v_and_b32_e32 v7, 0xffff, v7
	v_mov_b32_e32 v6, 0x7f800001
	s_mov_b32 s15, exec_lo
	s_delay_alu instid0(VALU_DEP_2) | instskip(NEXT) | instid1(VALU_DEP_1)
	v_and_b32_e32 v61, 0x7f, v7
	v_cmpx_ne_u32_e32 0x7f, v61
	s_cbranch_execz .LBB442_2391
; %bb.2388:                             ;   in Loop: Header=BB442_1382 Depth=1
	v_dual_mov_b32 v7, v10 :: v_dual_and_b32 v6, 7, v7
	v_lshrrev_b32_e32 v60, 3, v61
	s_mov_b32 s16, exec_lo
	v_cmpx_gt_u32_e32 8, v61
; %bb.2389:                             ;   in Loop: Header=BB442_1382 Depth=1
	s_delay_alu instid0(VALU_DEP_3) | instskip(NEXT) | instid1(VALU_DEP_1)
	v_clz_i32_u32_e32 v60, v6
	v_min_u32_e32 v60, 32, v60
	s_delay_alu instid0(VALU_DEP_1) | instskip(SKIP_1) | instid1(VALU_DEP_2)
	v_subrev_nc_u32_e32 v61, 28, v60
	v_sub_nc_u32_e32 v60, 29, v60
	v_lshlrev_b64 v[6:7], v61, v[6:7]
	s_delay_alu instid0(VALU_DEP_1)
	v_and_b32_e32 v6, 7, v6
; %bb.2390:                             ;   in Loop: Header=BB442_1382 Depth=1
	s_or_b32 exec_lo, exec_lo, s16
	v_lshlrev_b32_e32 v7, 16, v9
	s_delay_alu instid0(VALU_DEP_2) | instskip(SKIP_1) | instid1(VALU_DEP_3)
	v_lshlrev_b32_e32 v6, 20, v6
	v_lshl_add_u32 v9, v60, 23, 0x3c000000
	v_and_b32_e32 v7, 0x80000000, v7
	s_delay_alu instid0(VALU_DEP_1)
	v_or3_b32 v6, v6, v7, v9
.LBB442_2391:                           ;   in Loop: Header=BB442_1382 Depth=1
	s_or_b32 exec_lo, exec_lo, s15
.LBB442_2392:                           ;   in Loop: Header=BB442_1382 Depth=1
	s_delay_alu instid0(SALU_CYCLE_1)
	s_or_b32 exec_lo, exec_lo, s13
.LBB442_2393:                           ;   in Loop: Header=BB442_1382 Depth=1
	s_delay_alu instid0(SALU_CYCLE_1) | instskip(NEXT) | instid1(VALU_DEP_1)
	s_or_b32 exec_lo, exec_lo, s12
	v_mul_f32_e32 v6, v8, v6
                                        ; implicit-def: $vgpr60
	s_delay_alu instid0(VALU_DEP_1) | instskip(NEXT) | instid1(VALU_DEP_1)
	v_and_b32_e32 v7, 0x7f800000, v6
	v_cmp_ne_u32_e64 s0, 0x7f800000, v7
	s_delay_alu instid0(VALU_DEP_1) | instskip(NEXT) | instid1(SALU_CYCLE_1)
	s_and_saveexec_b32 s12, s0
	s_xor_b32 s0, exec_lo, s12
; %bb.2394:                             ;   in Loop: Header=BB442_1382 Depth=1
	v_bfe_u32 v7, v6, 16, 1
	s_delay_alu instid0(VALU_DEP_1)
	v_add3_u32 v60, v6, v7, 0x7fff
                                        ; implicit-def: $vgpr6
; %bb.2395:                             ;   in Loop: Header=BB442_1382 Depth=1
	s_and_not1_saveexec_b32 s12, s0
; %bb.2396:                             ;   in Loop: Header=BB442_1382 Depth=1
	v_and_b32_e32 v7, 0xffff, v6
	v_or_b32_e32 v9, 0x10000, v6
	s_delay_alu instid0(VALU_DEP_2) | instskip(NEXT) | instid1(VALU_DEP_1)
	v_cmp_eq_u32_e64 s0, 0, v7
	v_cndmask_b32_e64 v60, v9, v6, s0
; %bb.2397:                             ;   in Loop: Header=BB442_1382 Depth=1
	s_or_b32 exec_lo, exec_lo, s12
	v_lshrrev_b32_e32 v61, 16, v3
	s_mov_b32 s12, exec_lo
	s_delay_alu instid0(VALU_DEP_1) | instskip(NEXT) | instid1(VALU_DEP_1)
	v_dual_mov_b32 v6, 0 :: v_dual_and_b32 v7, 0xff, v61
	v_cmpx_ne_u16_e32 0, v7
	s_cbranch_execz .LBB442_2405
; %bb.2398:                             ;   in Loop: Header=BB442_1382 Depth=1
	v_bfrev_b32_e32 v6, 1
	s_mov_b32 s13, exec_lo
	v_cmpx_ne_u16_e32 0x80, v7
	s_cbranch_execz .LBB442_2404
; %bb.2399:                             ;   in Loop: Header=BB442_1382 Depth=1
	v_bfe_u32 v7, v3, 16, 7
	v_mov_b32_e32 v6, 0x7f800001
	s_mov_b32 s15, exec_lo
	s_delay_alu instid0(VALU_DEP_2)
	v_cmpx_ne_u32_e32 0x7f, v7
	s_cbranch_execz .LBB442_2403
; %bb.2400:                             ;   in Loop: Header=BB442_1382 Depth=1
	v_and_b32_e32 v9, 7, v61
	v_lshrrev_b32_e32 v62, 3, v7
	v_cmp_gt_u32_e64 s0, 8, v7
	s_delay_alu instid0(VALU_DEP_3) | instskip(NEXT) | instid1(VALU_DEP_2)
	v_dual_mov_b32 v6, v9 :: v_dual_mov_b32 v7, v10
	s_and_saveexec_b32 s16, s0
; %bb.2401:                             ;   in Loop: Header=BB442_1382 Depth=1
	v_clz_i32_u32_e32 v6, v9
	s_delay_alu instid0(VALU_DEP_1) | instskip(NEXT) | instid1(VALU_DEP_1)
	v_min_u32_e32 v62, 32, v6
	v_subrev_nc_u32_e32 v6, 28, v62
	v_sub_nc_u32_e32 v62, 29, v62
	s_delay_alu instid0(VALU_DEP_2) | instskip(NEXT) | instid1(VALU_DEP_1)
	v_lshlrev_b64 v[6:7], v6, v[9:10]
	v_and_b32_e32 v6, 7, v6
; %bb.2402:                             ;   in Loop: Header=BB442_1382 Depth=1
	s_or_b32 exec_lo, exec_lo, s16
	v_lshlrev_b32_e32 v7, 24, v61
	s_delay_alu instid0(VALU_DEP_2) | instskip(SKIP_1) | instid1(VALU_DEP_3)
	v_lshlrev_b32_e32 v6, 20, v6
	v_lshl_add_u32 v9, v62, 23, 0x3c000000
	v_and_b32_e32 v7, 0x80000000, v7
	s_delay_alu instid0(VALU_DEP_1)
	v_or3_b32 v6, v6, v7, v9
.LBB442_2403:                           ;   in Loop: Header=BB442_1382 Depth=1
	s_or_b32 exec_lo, exec_lo, s15
.LBB442_2404:                           ;   in Loop: Header=BB442_1382 Depth=1
	s_delay_alu instid0(SALU_CYCLE_1)
	s_or_b32 exec_lo, exec_lo, s13
.LBB442_2405:                           ;   in Loop: Header=BB442_1382 Depth=1
	s_delay_alu instid0(SALU_CYCLE_1) | instskip(NEXT) | instid1(VALU_DEP_1)
	s_or_b32 exec_lo, exec_lo, s12
	v_mul_f32_e32 v6, v8, v6
                                        ; implicit-def: $vgpr61
	s_delay_alu instid0(VALU_DEP_1) | instskip(NEXT) | instid1(VALU_DEP_1)
	v_and_b32_e32 v7, 0x7f800000, v6
	v_cmp_ne_u32_e64 s0, 0x7f800000, v7
	s_delay_alu instid0(VALU_DEP_1) | instskip(NEXT) | instid1(SALU_CYCLE_1)
	s_and_saveexec_b32 s12, s0
	s_xor_b32 s0, exec_lo, s12
; %bb.2406:                             ;   in Loop: Header=BB442_1382 Depth=1
	v_bfe_u32 v7, v6, 16, 1
	s_delay_alu instid0(VALU_DEP_1)
	v_add3_u32 v61, v6, v7, 0x7fff
                                        ; implicit-def: $vgpr6
; %bb.2407:                             ;   in Loop: Header=BB442_1382 Depth=1
	s_and_not1_saveexec_b32 s12, s0
; %bb.2408:                             ;   in Loop: Header=BB442_1382 Depth=1
	v_and_b32_e32 v7, 0xffff, v6
	v_or_b32_e32 v9, 0x10000, v6
	s_delay_alu instid0(VALU_DEP_2) | instskip(NEXT) | instid1(VALU_DEP_1)
	v_cmp_eq_u32_e64 s0, 0, v7
	v_cndmask_b32_e64 v61, v9, v6, s0
; %bb.2409:                             ;   in Loop: Header=BB442_1382 Depth=1
	s_or_b32 exec_lo, exec_lo, s12
	v_cmp_lt_u64_e64 s0, s[8:9], v[2:3]
	v_mov_b32_e32 v2, 0
	s_delay_alu instid0(VALU_DEP_2)
	s_and_saveexec_b32 s12, s0
	s_cbranch_execz .LBB442_2417
; %bb.2410:                             ;   in Loop: Header=BB442_1382 Depth=1
	v_lshrrev_b32_e32 v6, 24, v3
	v_bfrev_b32_e32 v2, 1
	s_mov_b32 s13, exec_lo
	s_delay_alu instid0(VALU_DEP_2)
	v_cmpx_ne_u32_e32 0x80, v6
	s_cbranch_execz .LBB442_2416
; %bb.2411:                             ;   in Loop: Header=BB442_1382 Depth=1
	v_bfe_u32 v3, v3, 24, 7
	v_mov_b32_e32 v2, 0x7f800001
	s_mov_b32 s15, exec_lo
	s_delay_alu instid0(VALU_DEP_2)
	v_cmpx_ne_u32_e32 0x7f, v3
	s_cbranch_execz .LBB442_2415
; %bb.2412:                             ;   in Loop: Header=BB442_1382 Depth=1
	v_and_b32_e32 v9, 7, v6
	v_lshrrev_b32_e32 v7, 3, v3
	v_cmp_gt_u32_e64 s0, 8, v3
	s_delay_alu instid0(VALU_DEP_3) | instskip(NEXT) | instid1(VALU_DEP_2)
	v_dual_mov_b32 v2, v9 :: v_dual_mov_b32 v3, v10
	s_and_saveexec_b32 s16, s0
; %bb.2413:                             ;   in Loop: Header=BB442_1382 Depth=1
	v_clz_i32_u32_e32 v2, v9
	s_delay_alu instid0(VALU_DEP_1) | instskip(NEXT) | instid1(VALU_DEP_1)
	v_min_u32_e32 v7, 32, v2
	v_subrev_nc_u32_e32 v2, 28, v7
	v_sub_nc_u32_e32 v7, 29, v7
	s_delay_alu instid0(VALU_DEP_2) | instskip(NEXT) | instid1(VALU_DEP_1)
	v_lshlrev_b64 v[2:3], v2, v[9:10]
	v_and_b32_e32 v2, 7, v2
; %bb.2414:                             ;   in Loop: Header=BB442_1382 Depth=1
	s_or_b32 exec_lo, exec_lo, s16
	v_lshlrev_b32_e32 v3, 24, v6
	s_delay_alu instid0(VALU_DEP_2) | instskip(SKIP_1) | instid1(VALU_DEP_3)
	v_lshlrev_b32_e32 v2, 20, v2
	v_lshl_add_u32 v6, v7, 23, 0x3c000000
	v_and_b32_e32 v3, 0x80000000, v3
	s_delay_alu instid0(VALU_DEP_1)
	v_or3_b32 v2, v2, v3, v6
.LBB442_2415:                           ;   in Loop: Header=BB442_1382 Depth=1
	s_or_b32 exec_lo, exec_lo, s15
.LBB442_2416:                           ;   in Loop: Header=BB442_1382 Depth=1
	s_delay_alu instid0(SALU_CYCLE_1)
	s_or_b32 exec_lo, exec_lo, s13
.LBB442_2417:                           ;   in Loop: Header=BB442_1382 Depth=1
	s_delay_alu instid0(SALU_CYCLE_1) | instskip(NEXT) | instid1(VALU_DEP_1)
	s_or_b32 exec_lo, exec_lo, s12
	v_mul_f32_e32 v3, v8, v2
	s_delay_alu instid0(VALU_DEP_1) | instskip(NEXT) | instid1(VALU_DEP_1)
	v_and_b32_e32 v2, 0x7f800000, v3
	v_cmp_ne_u32_e64 s0, 0x7f800000, v2
                                        ; implicit-def: $vgpr2
	s_delay_alu instid0(VALU_DEP_1) | instskip(NEXT) | instid1(SALU_CYCLE_1)
	s_and_saveexec_b32 s12, s0
	s_xor_b32 s0, exec_lo, s12
; %bb.2418:                             ;   in Loop: Header=BB442_1382 Depth=1
	v_bfe_u32 v2, v3, 16, 1
	s_delay_alu instid0(VALU_DEP_1)
	v_add3_u32 v2, v3, v2, 0x7fff
                                        ; implicit-def: $vgpr3
; %bb.2419:                             ;   in Loop: Header=BB442_1382 Depth=1
	s_and_not1_saveexec_b32 s12, s0
; %bb.2420:                             ;   in Loop: Header=BB442_1382 Depth=1
	v_and_b32_e32 v2, 0xffff, v3
	v_or_b32_e32 v6, 0x10000, v3
	s_delay_alu instid0(VALU_DEP_2) | instskip(NEXT) | instid1(VALU_DEP_1)
	v_cmp_eq_u32_e64 s0, 0, v2
	v_cndmask_b32_e64 v2, v6, v3, s0
; %bb.2421:                             ;   in Loop: Header=BB442_1382 Depth=1
	s_or_b32 exec_lo, exec_lo, s12
	v_lshrrev_b32_e32 v6, 16, v60
	v_lshrrev_b32_e32 v7, 16, v59
	;; [unrolled: 1-line block ×8, first 2 shown]
	s_and_saveexec_b32 s12, vcc_lo
	s_cbranch_execz .LBB442_2423
; %bb.2422:                             ;   in Loop: Header=BB442_1382 Depth=1
	v_cmp_lt_i32_e64 s0, v84, v38
	s_delay_alu instid0(VALU_DEP_1) | instskip(SKIP_1) | instid1(VALU_DEP_1)
	v_cndmask_b32_e64 v47, 0, v47, s0
	v_cmp_lt_i32_e64 s0, v99, v38
	v_cndmask_b32_e64 v56, 0, v56, s0
	v_cmp_lt_i32_e64 s0, v98, v38
	s_delay_alu instid0(VALU_DEP_1) | instskip(SKIP_1) | instid1(VALU_DEP_1)
	v_cndmask_b32_e64 v57, 0, v57, s0
	v_cmp_lt_i32_e64 s0, v97, v38
	v_cndmask_b32_e64 v9, 0, v9, s0
	;; [unrolled: 5-line block ×4, first 2 shown]
.LBB442_2423:                           ;   in Loop: Header=BB442_1382 Depth=1
	s_or_b32 exec_lo, exec_lo, s12
	v_lshlrev_b32_e32 v47, 16, v47
	s_delay_alu instid0(VALU_DEP_1) | instskip(NEXT) | instid1(VALU_DEP_1)
	v_mul_f32_e32 v58, v100, v47
	v_and_b32_e32 v47, 0x7f800000, v58
	s_delay_alu instid0(VALU_DEP_1) | instskip(NEXT) | instid1(VALU_DEP_1)
	v_cmp_ne_u32_e64 s0, 0x7f800000, v47
                                        ; implicit-def: $vgpr47
	s_and_saveexec_b32 s12, s0
	s_delay_alu instid0(SALU_CYCLE_1)
	s_xor_b32 s0, exec_lo, s12
; %bb.2424:                             ;   in Loop: Header=BB442_1382 Depth=1
	v_bfe_u32 v47, v58, 16, 1
	s_delay_alu instid0(VALU_DEP_1)
	v_add3_u32 v47, v58, v47, 0x7fff
                                        ; implicit-def: $vgpr58
; %bb.2425:                             ;   in Loop: Header=BB442_1382 Depth=1
	s_and_not1_saveexec_b32 s12, s0
; %bb.2426:                             ;   in Loop: Header=BB442_1382 Depth=1
	v_and_b32_e32 v47, 0xffff, v58
	v_or_b32_e32 v59, 0x10000, v58
	s_delay_alu instid0(VALU_DEP_2) | instskip(NEXT) | instid1(VALU_DEP_1)
	v_cmp_eq_u32_e64 s0, 0, v47
	v_cndmask_b32_e64 v47, v59, v58, s0
; %bb.2427:                             ;   in Loop: Header=BB442_1382 Depth=1
	s_or_b32 exec_lo, exec_lo, s12
	v_lshlrev_b32_e32 v56, 16, v56
	s_delay_alu instid0(VALU_DEP_1) | instskip(NEXT) | instid1(VALU_DEP_1)
	v_mul_f32_e32 v58, v101, v56
	v_and_b32_e32 v56, 0x7f800000, v58
	s_delay_alu instid0(VALU_DEP_1) | instskip(NEXT) | instid1(VALU_DEP_1)
	v_cmp_ne_u32_e64 s0, 0x7f800000, v56
                                        ; implicit-def: $vgpr56
	s_and_saveexec_b32 s12, s0
	s_delay_alu instid0(SALU_CYCLE_1)
	s_xor_b32 s0, exec_lo, s12
; %bb.2428:                             ;   in Loop: Header=BB442_1382 Depth=1
	v_bfe_u32 v56, v58, 16, 1
	s_delay_alu instid0(VALU_DEP_1)
	v_add3_u32 v56, v58, v56, 0x7fff
                                        ; implicit-def: $vgpr58
; %bb.2429:                             ;   in Loop: Header=BB442_1382 Depth=1
	s_and_not1_saveexec_b32 s12, s0
; %bb.2430:                             ;   in Loop: Header=BB442_1382 Depth=1
	v_and_b32_e32 v56, 0xffff, v58
	v_or_b32_e32 v59, 0x10000, v58
	s_delay_alu instid0(VALU_DEP_2) | instskip(NEXT) | instid1(VALU_DEP_1)
	v_cmp_eq_u32_e64 s0, 0, v56
	v_cndmask_b32_e64 v56, v59, v58, s0
; %bb.2431:                             ;   in Loop: Header=BB442_1382 Depth=1
	s_or_b32 exec_lo, exec_lo, s12
	v_lshlrev_b32_e32 v57, 16, v57
	s_delay_alu instid0(VALU_DEP_1) | instskip(NEXT) | instid1(VALU_DEP_1)
	v_mul_f32_e32 v58, v102, v57
	v_and_b32_e32 v57, 0x7f800000, v58
	s_delay_alu instid0(VALU_DEP_1) | instskip(NEXT) | instid1(VALU_DEP_1)
	v_cmp_ne_u32_e64 s0, 0x7f800000, v57
                                        ; implicit-def: $vgpr57
	s_and_saveexec_b32 s12, s0
	s_delay_alu instid0(SALU_CYCLE_1)
	s_xor_b32 s0, exec_lo, s12
; %bb.2432:                             ;   in Loop: Header=BB442_1382 Depth=1
	v_bfe_u32 v57, v58, 16, 1
	s_delay_alu instid0(VALU_DEP_1)
	v_add3_u32 v57, v58, v57, 0x7fff
                                        ; implicit-def: $vgpr58
; %bb.2433:                             ;   in Loop: Header=BB442_1382 Depth=1
	s_and_not1_saveexec_b32 s12, s0
; %bb.2434:                             ;   in Loop: Header=BB442_1382 Depth=1
	v_and_b32_e32 v57, 0xffff, v58
	v_or_b32_e32 v59, 0x10000, v58
	s_delay_alu instid0(VALU_DEP_2) | instskip(NEXT) | instid1(VALU_DEP_1)
	v_cmp_eq_u32_e64 s0, 0, v57
	v_cndmask_b32_e64 v57, v59, v58, s0
; %bb.2435:                             ;   in Loop: Header=BB442_1382 Depth=1
	s_or_b32 exec_lo, exec_lo, s12
	v_lshlrev_b32_e32 v9, 16, v9
	s_delay_alu instid0(VALU_DEP_1) | instskip(NEXT) | instid1(VALU_DEP_1)
	v_mul_f32_e32 v9, v103, v9
	v_and_b32_e32 v58, 0x7f800000, v9
	s_delay_alu instid0(VALU_DEP_1) | instskip(NEXT) | instid1(VALU_DEP_1)
	v_cmp_ne_u32_e64 s0, 0x7f800000, v58
                                        ; implicit-def: $vgpr58
	s_and_saveexec_b32 s12, s0
	s_delay_alu instid0(SALU_CYCLE_1)
	s_xor_b32 s0, exec_lo, s12
; %bb.2436:                             ;   in Loop: Header=BB442_1382 Depth=1
	v_bfe_u32 v58, v9, 16, 1
	s_delay_alu instid0(VALU_DEP_1)
	v_add3_u32 v58, v9, v58, 0x7fff
                                        ; implicit-def: $vgpr9
; %bb.2437:                             ;   in Loop: Header=BB442_1382 Depth=1
	s_and_not1_saveexec_b32 s12, s0
; %bb.2438:                             ;   in Loop: Header=BB442_1382 Depth=1
	v_and_b32_e32 v58, 0xffff, v9
	v_or_b32_e32 v59, 0x10000, v9
	s_delay_alu instid0(VALU_DEP_2) | instskip(NEXT) | instid1(VALU_DEP_1)
	v_cmp_eq_u32_e64 s0, 0, v58
	v_cndmask_b32_e64 v58, v59, v9, s0
; %bb.2439:                             ;   in Loop: Header=BB442_1382 Depth=1
	s_or_b32 exec_lo, exec_lo, s12
	v_lshlrev_b32_e32 v7, 16, v7
                                        ; implicit-def: $vgpr59
	s_delay_alu instid0(VALU_DEP_1) | instskip(NEXT) | instid1(VALU_DEP_1)
	v_mul_f32_e32 v7, v112, v7
	v_and_b32_e32 v9, 0x7f800000, v7
	s_delay_alu instid0(VALU_DEP_1) | instskip(NEXT) | instid1(VALU_DEP_1)
	v_cmp_ne_u32_e64 s0, 0x7f800000, v9
	s_and_saveexec_b32 s12, s0
	s_delay_alu instid0(SALU_CYCLE_1)
	s_xor_b32 s0, exec_lo, s12
; %bb.2440:                             ;   in Loop: Header=BB442_1382 Depth=1
	v_bfe_u32 v9, v7, 16, 1
	s_delay_alu instid0(VALU_DEP_1)
	v_add3_u32 v59, v7, v9, 0x7fff
                                        ; implicit-def: $vgpr7
; %bb.2441:                             ;   in Loop: Header=BB442_1382 Depth=1
	s_and_not1_saveexec_b32 s12, s0
; %bb.2442:                             ;   in Loop: Header=BB442_1382 Depth=1
	v_and_b32_e32 v9, 0xffff, v7
	v_or_b32_e32 v59, 0x10000, v7
	s_delay_alu instid0(VALU_DEP_2) | instskip(NEXT) | instid1(VALU_DEP_1)
	v_cmp_eq_u32_e64 s0, 0, v9
	v_cndmask_b32_e64 v59, v59, v7, s0
; %bb.2443:                             ;   in Loop: Header=BB442_1382 Depth=1
	s_or_b32 exec_lo, exec_lo, s12
	v_lshlrev_b32_e32 v6, 16, v6
                                        ; implicit-def: $vgpr60
	s_delay_alu instid0(VALU_DEP_1) | instskip(NEXT) | instid1(VALU_DEP_1)
	v_mul_f32_e32 v6, v113, v6
	v_and_b32_e32 v7, 0x7f800000, v6
	s_delay_alu instid0(VALU_DEP_1) | instskip(NEXT) | instid1(VALU_DEP_1)
	v_cmp_ne_u32_e64 s0, 0x7f800000, v7
	s_and_saveexec_b32 s12, s0
	s_delay_alu instid0(SALU_CYCLE_1)
	s_xor_b32 s0, exec_lo, s12
; %bb.2444:                             ;   in Loop: Header=BB442_1382 Depth=1
	v_bfe_u32 v7, v6, 16, 1
	s_delay_alu instid0(VALU_DEP_1)
	v_add3_u32 v60, v6, v7, 0x7fff
                                        ; implicit-def: $vgpr6
; %bb.2445:                             ;   in Loop: Header=BB442_1382 Depth=1
	s_and_not1_saveexec_b32 s12, s0
; %bb.2446:                             ;   in Loop: Header=BB442_1382 Depth=1
	v_and_b32_e32 v7, 0xffff, v6
	v_or_b32_e32 v9, 0x10000, v6
	s_delay_alu instid0(VALU_DEP_2) | instskip(NEXT) | instid1(VALU_DEP_1)
	v_cmp_eq_u32_e64 s0, 0, v7
	v_cndmask_b32_e64 v60, v9, v6, s0
; %bb.2447:                             ;   in Loop: Header=BB442_1382 Depth=1
	s_or_b32 exec_lo, exec_lo, s12
	v_lshlrev_b32_e32 v3, 16, v3
                                        ; implicit-def: $vgpr61
	s_delay_alu instid0(VALU_DEP_1) | instskip(NEXT) | instid1(VALU_DEP_1)
	v_mul_f32_e32 v3, v114, v3
	v_and_b32_e32 v6, 0x7f800000, v3
	s_delay_alu instid0(VALU_DEP_1) | instskip(NEXT) | instid1(VALU_DEP_1)
	v_cmp_ne_u32_e64 s0, 0x7f800000, v6
	s_and_saveexec_b32 s12, s0
	s_delay_alu instid0(SALU_CYCLE_1)
	s_xor_b32 s0, exec_lo, s12
; %bb.2448:                             ;   in Loop: Header=BB442_1382 Depth=1
	v_bfe_u32 v6, v3, 16, 1
	s_delay_alu instid0(VALU_DEP_1)
	v_add3_u32 v61, v3, v6, 0x7fff
                                        ; implicit-def: $vgpr3
; %bb.2449:                             ;   in Loop: Header=BB442_1382 Depth=1
	s_and_not1_saveexec_b32 s12, s0
; %bb.2450:                             ;   in Loop: Header=BB442_1382 Depth=1
	v_and_b32_e32 v6, 0xffff, v3
	v_or_b32_e32 v7, 0x10000, v3
	s_delay_alu instid0(VALU_DEP_2) | instskip(NEXT) | instid1(VALU_DEP_1)
	v_cmp_eq_u32_e64 s0, 0, v6
	v_cndmask_b32_e64 v61, v7, v3, s0
; %bb.2451:                             ;   in Loop: Header=BB442_1382 Depth=1
	s_or_b32 exec_lo, exec_lo, s12
	v_lshlrev_b32_e32 v2, 16, v2
                                        ; implicit-def: $vgpr62
	s_delay_alu instid0(VALU_DEP_1) | instskip(NEXT) | instid1(VALU_DEP_1)
	v_mul_f32_e32 v2, v115, v2
	v_and_b32_e32 v3, 0x7f800000, v2
	s_delay_alu instid0(VALU_DEP_1) | instskip(NEXT) | instid1(VALU_DEP_1)
	v_cmp_ne_u32_e64 s0, 0x7f800000, v3
	s_and_saveexec_b32 s12, s0
	s_delay_alu instid0(SALU_CYCLE_1)
	s_xor_b32 s0, exec_lo, s12
; %bb.2452:                             ;   in Loop: Header=BB442_1382 Depth=1
	v_bfe_u32 v3, v2, 16, 1
	s_delay_alu instid0(VALU_DEP_1)
	v_add3_u32 v62, v2, v3, 0x7fff
                                        ; implicit-def: $vgpr2
; %bb.2453:                             ;   in Loop: Header=BB442_1382 Depth=1
	s_and_not1_saveexec_b32 s12, s0
; %bb.2454:                             ;   in Loop: Header=BB442_1382 Depth=1
	v_and_b32_e32 v3, 0xffff, v2
	v_or_b32_e32 v6, 0x10000, v2
	s_delay_alu instid0(VALU_DEP_2) | instskip(NEXT) | instid1(VALU_DEP_1)
	v_cmp_eq_u32_e64 s0, 0, v3
	v_cndmask_b32_e64 v62, v6, v2, s0
; %bb.2455:                             ;   in Loop: Header=BB442_1382 Depth=1
	s_or_b32 exec_lo, exec_lo, s12
	flat_load_b64 v[2:3], v[0:1] offset:2048
	s_mov_b32 s12, exec_lo
	s_waitcnt vmcnt(0) lgkmcnt(0)
	v_dual_mov_b32 v6, 0 :: v_dual_and_b32 v7, 0xff, v2
	s_delay_alu instid0(VALU_DEP_1)
	v_cmpx_ne_u16_e32 0, v7
	s_cbranch_execz .LBB442_2463
; %bb.2456:                             ;   in Loop: Header=BB442_1382 Depth=1
	v_bfrev_b32_e32 v6, 1
	s_mov_b32 s13, exec_lo
	v_cmpx_ne_u16_e32 0x80, v7
	s_cbranch_execz .LBB442_2462
; %bb.2457:                             ;   in Loop: Header=BB442_1382 Depth=1
	v_and_b32_e32 v7, 0x7f, v2
	v_mov_b32_e32 v6, 0x7f800001
	s_mov_b32 s15, exec_lo
	s_delay_alu instid0(VALU_DEP_2)
	v_cmpx_ne_u32_e32 0x7f, v7
	s_cbranch_execz .LBB442_2461
; %bb.2458:                             ;   in Loop: Header=BB442_1382 Depth=1
	v_lshrrev_b32_e32 v9, 3, v7
	v_cmp_gt_u32_e64 s0, 8, v7
	v_dual_mov_b32 v7, v3 :: v_dual_mov_b32 v6, v2
	s_delay_alu instid0(VALU_DEP_2)
	s_and_saveexec_b32 s16, s0
; %bb.2459:                             ;   in Loop: Header=BB442_1382 Depth=1
	v_and_b32_e32 v6, 7, v2
	s_delay_alu instid0(VALU_DEP_1) | instskip(NEXT) | instid1(VALU_DEP_1)
	v_clz_i32_u32_e32 v6, v6
	v_min_u32_e32 v9, 32, v6
	s_delay_alu instid0(VALU_DEP_1) | instskip(SKIP_1) | instid1(VALU_DEP_2)
	v_subrev_nc_u32_e32 v6, 28, v9
	v_sub_nc_u32_e32 v9, 29, v9
	v_lshlrev_b64 v[6:7], v6, v[2:3]
; %bb.2460:                             ;   in Loop: Header=BB442_1382 Depth=1
	s_or_b32 exec_lo, exec_lo, s16
	s_delay_alu instid0(VALU_DEP_1) | instskip(SKIP_2) | instid1(VALU_DEP_3)
	v_lshlrev_b32_e32 v6, 20, v6
	v_lshlrev_b32_e32 v7, 24, v2
	v_lshl_add_u32 v9, v9, 23, 0x3c000000
	v_and_b32_e32 v6, 0x700000, v6
	s_delay_alu instid0(VALU_DEP_3) | instskip(NEXT) | instid1(VALU_DEP_1)
	v_and_b32_e32 v7, 0x80000000, v7
	v_or3_b32 v6, v6, v7, v9
.LBB442_2461:                           ;   in Loop: Header=BB442_1382 Depth=1
	s_or_b32 exec_lo, exec_lo, s15
.LBB442_2462:                           ;   in Loop: Header=BB442_1382 Depth=1
	s_delay_alu instid0(SALU_CYCLE_1)
	s_or_b32 exec_lo, exec_lo, s13
.LBB442_2463:                           ;   in Loop: Header=BB442_1382 Depth=1
	s_delay_alu instid0(SALU_CYCLE_1) | instskip(NEXT) | instid1(VALU_DEP_1)
	s_or_b32 exec_lo, exec_lo, s12
	v_mul_f32_e32 v6, v8, v6
                                        ; implicit-def: $vgpr63
	s_delay_alu instid0(VALU_DEP_1) | instskip(NEXT) | instid1(VALU_DEP_1)
	v_and_b32_e32 v7, 0x7f800000, v6
	v_cmp_ne_u32_e64 s0, 0x7f800000, v7
	s_delay_alu instid0(VALU_DEP_1) | instskip(NEXT) | instid1(SALU_CYCLE_1)
	s_and_saveexec_b32 s12, s0
	s_xor_b32 s0, exec_lo, s12
; %bb.2464:                             ;   in Loop: Header=BB442_1382 Depth=1
	v_bfe_u32 v7, v6, 16, 1
	s_delay_alu instid0(VALU_DEP_1)
	v_add3_u32 v63, v6, v7, 0x7fff
                                        ; implicit-def: $vgpr6
; %bb.2465:                             ;   in Loop: Header=BB442_1382 Depth=1
	s_and_not1_saveexec_b32 s12, s0
; %bb.2466:                             ;   in Loop: Header=BB442_1382 Depth=1
	v_and_b32_e32 v7, 0xffff, v6
	v_or_b32_e32 v9, 0x10000, v6
	s_delay_alu instid0(VALU_DEP_2) | instskip(NEXT) | instid1(VALU_DEP_1)
	v_cmp_eq_u32_e64 s0, 0, v7
	v_cndmask_b32_e64 v63, v9, v6, s0
; %bb.2467:                             ;   in Loop: Header=BB442_1382 Depth=1
	s_or_b32 exec_lo, exec_lo, s12
	v_lshrrev_b16 v7, 8, v2
	v_mov_b32_e32 v6, 0
	s_mov_b32 s12, exec_lo
	s_delay_alu instid0(VALU_DEP_2)
	v_cmpx_ne_u16_e32 0, v7
	s_cbranch_execz .LBB442_2475
; %bb.2468:                             ;   in Loop: Header=BB442_1382 Depth=1
	v_bfrev_b32_e32 v6, 1
	s_mov_b32 s13, exec_lo
	v_cmpx_ne_u16_e32 0x80, v7
	s_cbranch_execz .LBB442_2474
; %bb.2469:                             ;   in Loop: Header=BB442_1382 Depth=1
	v_and_b32_e32 v9, 0xffff, v7
	v_mov_b32_e32 v6, 0x7f800001
	s_mov_b32 s15, exec_lo
	s_delay_alu instid0(VALU_DEP_2) | instskip(NEXT) | instid1(VALU_DEP_1)
	v_and_b32_e32 v7, 0x7f, v9
	v_cmpx_ne_u32_e32 0x7f, v7
	s_cbranch_execz .LBB442_2473
; %bb.2470:                             ;   in Loop: Header=BB442_1382 Depth=1
	v_and_b32_e32 v9, 7, v9
	v_lshrrev_b32_e32 v72, 3, v7
	v_cmp_gt_u32_e64 s0, 8, v7
	s_delay_alu instid0(VALU_DEP_3) | instskip(NEXT) | instid1(VALU_DEP_2)
	v_dual_mov_b32 v6, v9 :: v_dual_mov_b32 v7, v10
	s_and_saveexec_b32 s16, s0
; %bb.2471:                             ;   in Loop: Header=BB442_1382 Depth=1
	v_clz_i32_u32_e32 v6, v9
	s_delay_alu instid0(VALU_DEP_1) | instskip(NEXT) | instid1(VALU_DEP_1)
	v_min_u32_e32 v72, 32, v6
	v_subrev_nc_u32_e32 v6, 28, v72
	v_sub_nc_u32_e32 v72, 29, v72
	s_delay_alu instid0(VALU_DEP_2) | instskip(NEXT) | instid1(VALU_DEP_1)
	v_lshlrev_b64 v[6:7], v6, v[9:10]
	v_and_b32_e32 v6, 7, v6
; %bb.2472:                             ;   in Loop: Header=BB442_1382 Depth=1
	s_or_b32 exec_lo, exec_lo, s16
	v_lshlrev_b32_e32 v7, 16, v2
	s_delay_alu instid0(VALU_DEP_2) | instskip(SKIP_1) | instid1(VALU_DEP_3)
	v_lshlrev_b32_e32 v6, 20, v6
	v_lshl_add_u32 v9, v72, 23, 0x3c000000
	v_and_b32_e32 v7, 0x80000000, v7
	s_delay_alu instid0(VALU_DEP_1)
	v_or3_b32 v6, v6, v7, v9
.LBB442_2473:                           ;   in Loop: Header=BB442_1382 Depth=1
	s_or_b32 exec_lo, exec_lo, s15
.LBB442_2474:                           ;   in Loop: Header=BB442_1382 Depth=1
	s_delay_alu instid0(SALU_CYCLE_1)
	s_or_b32 exec_lo, exec_lo, s13
.LBB442_2475:                           ;   in Loop: Header=BB442_1382 Depth=1
	s_delay_alu instid0(SALU_CYCLE_1) | instskip(NEXT) | instid1(VALU_DEP_1)
	s_or_b32 exec_lo, exec_lo, s12
	v_mul_f32_e32 v6, v8, v6
                                        ; implicit-def: $vgpr72
	s_delay_alu instid0(VALU_DEP_1) | instskip(NEXT) | instid1(VALU_DEP_1)
	v_and_b32_e32 v7, 0x7f800000, v6
	v_cmp_ne_u32_e64 s0, 0x7f800000, v7
	s_delay_alu instid0(VALU_DEP_1) | instskip(NEXT) | instid1(SALU_CYCLE_1)
	s_and_saveexec_b32 s12, s0
	s_xor_b32 s0, exec_lo, s12
; %bb.2476:                             ;   in Loop: Header=BB442_1382 Depth=1
	v_bfe_u32 v7, v6, 16, 1
	s_delay_alu instid0(VALU_DEP_1)
	v_add3_u32 v72, v6, v7, 0x7fff
                                        ; implicit-def: $vgpr6
; %bb.2477:                             ;   in Loop: Header=BB442_1382 Depth=1
	s_and_not1_saveexec_b32 s12, s0
; %bb.2478:                             ;   in Loop: Header=BB442_1382 Depth=1
	v_and_b32_e32 v7, 0xffff, v6
	v_or_b32_e32 v9, 0x10000, v6
	s_delay_alu instid0(VALU_DEP_2) | instskip(NEXT) | instid1(VALU_DEP_1)
	v_cmp_eq_u32_e64 s0, 0, v7
	v_cndmask_b32_e64 v72, v9, v6, s0
; %bb.2479:                             ;   in Loop: Header=BB442_1382 Depth=1
	s_or_b32 exec_lo, exec_lo, s12
	v_lshrrev_b32_e32 v73, 16, v2
	s_mov_b32 s12, exec_lo
	s_delay_alu instid0(VALU_DEP_1) | instskip(NEXT) | instid1(VALU_DEP_1)
	v_dual_mov_b32 v6, 0 :: v_dual_and_b32 v7, 0xff, v73
	v_cmpx_ne_u16_e32 0, v7
	s_cbranch_execz .LBB442_2487
; %bb.2480:                             ;   in Loop: Header=BB442_1382 Depth=1
	v_bfrev_b32_e32 v6, 1
	s_mov_b32 s13, exec_lo
	v_cmpx_ne_u16_e32 0x80, v7
	s_cbranch_execz .LBB442_2486
; %bb.2481:                             ;   in Loop: Header=BB442_1382 Depth=1
	v_bfe_u32 v7, v2, 16, 7
	v_mov_b32_e32 v6, 0x7f800001
	s_mov_b32 s15, exec_lo
	s_delay_alu instid0(VALU_DEP_2)
	v_cmpx_ne_u32_e32 0x7f, v7
	s_cbranch_execz .LBB442_2485
; %bb.2482:                             ;   in Loop: Header=BB442_1382 Depth=1
	v_and_b32_e32 v9, 7, v73
	v_lshrrev_b32_e32 v74, 3, v7
	v_cmp_gt_u32_e64 s0, 8, v7
	s_delay_alu instid0(VALU_DEP_3) | instskip(NEXT) | instid1(VALU_DEP_2)
	v_dual_mov_b32 v6, v9 :: v_dual_mov_b32 v7, v10
	s_and_saveexec_b32 s16, s0
; %bb.2483:                             ;   in Loop: Header=BB442_1382 Depth=1
	v_clz_i32_u32_e32 v6, v9
	s_delay_alu instid0(VALU_DEP_1) | instskip(NEXT) | instid1(VALU_DEP_1)
	v_min_u32_e32 v74, 32, v6
	v_subrev_nc_u32_e32 v6, 28, v74
	v_sub_nc_u32_e32 v74, 29, v74
	s_delay_alu instid0(VALU_DEP_2) | instskip(NEXT) | instid1(VALU_DEP_1)
	v_lshlrev_b64 v[6:7], v6, v[9:10]
	v_and_b32_e32 v6, 7, v6
; %bb.2484:                             ;   in Loop: Header=BB442_1382 Depth=1
	s_or_b32 exec_lo, exec_lo, s16
	v_lshlrev_b32_e32 v7, 24, v73
	s_delay_alu instid0(VALU_DEP_2) | instskip(SKIP_1) | instid1(VALU_DEP_3)
	v_lshlrev_b32_e32 v6, 20, v6
	v_lshl_add_u32 v9, v74, 23, 0x3c000000
	v_and_b32_e32 v7, 0x80000000, v7
	s_delay_alu instid0(VALU_DEP_1)
	v_or3_b32 v6, v6, v7, v9
.LBB442_2485:                           ;   in Loop: Header=BB442_1382 Depth=1
	s_or_b32 exec_lo, exec_lo, s15
.LBB442_2486:                           ;   in Loop: Header=BB442_1382 Depth=1
	s_delay_alu instid0(SALU_CYCLE_1)
	s_or_b32 exec_lo, exec_lo, s13
.LBB442_2487:                           ;   in Loop: Header=BB442_1382 Depth=1
	s_delay_alu instid0(SALU_CYCLE_1) | instskip(NEXT) | instid1(VALU_DEP_1)
	s_or_b32 exec_lo, exec_lo, s12
	v_mul_f32_e32 v6, v8, v6
                                        ; implicit-def: $vgpr73
	s_delay_alu instid0(VALU_DEP_1) | instskip(NEXT) | instid1(VALU_DEP_1)
	v_and_b32_e32 v7, 0x7f800000, v6
	v_cmp_ne_u32_e64 s0, 0x7f800000, v7
	s_delay_alu instid0(VALU_DEP_1) | instskip(NEXT) | instid1(SALU_CYCLE_1)
	s_and_saveexec_b32 s12, s0
	s_xor_b32 s0, exec_lo, s12
; %bb.2488:                             ;   in Loop: Header=BB442_1382 Depth=1
	v_bfe_u32 v7, v6, 16, 1
	s_delay_alu instid0(VALU_DEP_1)
	v_add3_u32 v73, v6, v7, 0x7fff
                                        ; implicit-def: $vgpr6
; %bb.2489:                             ;   in Loop: Header=BB442_1382 Depth=1
	s_and_not1_saveexec_b32 s12, s0
; %bb.2490:                             ;   in Loop: Header=BB442_1382 Depth=1
	v_and_b32_e32 v7, 0xffff, v6
	v_or_b32_e32 v9, 0x10000, v6
	s_delay_alu instid0(VALU_DEP_2) | instskip(NEXT) | instid1(VALU_DEP_1)
	v_cmp_eq_u32_e64 s0, 0, v7
	v_cndmask_b32_e64 v73, v9, v6, s0
; %bb.2491:                             ;   in Loop: Header=BB442_1382 Depth=1
	s_or_b32 exec_lo, exec_lo, s12
	v_mov_b32_e32 v6, 0
	s_mov_b32 s12, exec_lo
	v_cmpx_lt_u32_e32 0xffffff, v2
	s_cbranch_execz .LBB442_2499
; %bb.2492:                             ;   in Loop: Header=BB442_1382 Depth=1
	v_lshrrev_b32_e32 v74, 24, v2
	v_bfrev_b32_e32 v6, 1
	s_mov_b32 s13, exec_lo
	s_delay_alu instid0(VALU_DEP_2)
	v_cmpx_ne_u32_e32 0x80, v74
	s_cbranch_execz .LBB442_2498
; %bb.2493:                             ;   in Loop: Header=BB442_1382 Depth=1
	v_bfe_u32 v7, v2, 24, 7
	v_mov_b32_e32 v6, 0x7f800001
	s_mov_b32 s15, exec_lo
	s_delay_alu instid0(VALU_DEP_2)
	v_cmpx_ne_u32_e32 0x7f, v7
	s_cbranch_execz .LBB442_2497
; %bb.2494:                             ;   in Loop: Header=BB442_1382 Depth=1
	v_and_b32_e32 v9, 7, v74
	v_lshrrev_b32_e32 v75, 3, v7
	v_cmp_gt_u32_e64 s0, 8, v7
	s_delay_alu instid0(VALU_DEP_3) | instskip(NEXT) | instid1(VALU_DEP_2)
	v_dual_mov_b32 v6, v9 :: v_dual_mov_b32 v7, v10
	s_and_saveexec_b32 s16, s0
; %bb.2495:                             ;   in Loop: Header=BB442_1382 Depth=1
	v_clz_i32_u32_e32 v6, v9
	s_delay_alu instid0(VALU_DEP_1) | instskip(NEXT) | instid1(VALU_DEP_1)
	v_min_u32_e32 v75, 32, v6
	v_subrev_nc_u32_e32 v6, 28, v75
	v_sub_nc_u32_e32 v75, 29, v75
	s_delay_alu instid0(VALU_DEP_2) | instskip(NEXT) | instid1(VALU_DEP_1)
	v_lshlrev_b64 v[6:7], v6, v[9:10]
	v_and_b32_e32 v6, 7, v6
; %bb.2496:                             ;   in Loop: Header=BB442_1382 Depth=1
	s_or_b32 exec_lo, exec_lo, s16
	v_lshlrev_b32_e32 v7, 24, v74
	s_delay_alu instid0(VALU_DEP_2) | instskip(SKIP_1) | instid1(VALU_DEP_3)
	v_lshlrev_b32_e32 v6, 20, v6
	v_lshl_add_u32 v9, v75, 23, 0x3c000000
	v_and_b32_e32 v7, 0x80000000, v7
	s_delay_alu instid0(VALU_DEP_1)
	v_or3_b32 v6, v6, v7, v9
.LBB442_2497:                           ;   in Loop: Header=BB442_1382 Depth=1
	s_or_b32 exec_lo, exec_lo, s15
.LBB442_2498:                           ;   in Loop: Header=BB442_1382 Depth=1
	s_delay_alu instid0(SALU_CYCLE_1)
	s_or_b32 exec_lo, exec_lo, s13
.LBB442_2499:                           ;   in Loop: Header=BB442_1382 Depth=1
	s_delay_alu instid0(SALU_CYCLE_1) | instskip(NEXT) | instid1(VALU_DEP_1)
	s_or_b32 exec_lo, exec_lo, s12
	v_mul_f32_e32 v6, v8, v6
                                        ; implicit-def: $vgpr74
	s_delay_alu instid0(VALU_DEP_1) | instskip(NEXT) | instid1(VALU_DEP_1)
	v_and_b32_e32 v7, 0x7f800000, v6
	v_cmp_ne_u32_e64 s0, 0x7f800000, v7
	s_delay_alu instid0(VALU_DEP_1) | instskip(NEXT) | instid1(SALU_CYCLE_1)
	s_and_saveexec_b32 s12, s0
	s_xor_b32 s0, exec_lo, s12
; %bb.2500:                             ;   in Loop: Header=BB442_1382 Depth=1
	v_bfe_u32 v7, v6, 16, 1
	s_delay_alu instid0(VALU_DEP_1)
	v_add3_u32 v74, v6, v7, 0x7fff
                                        ; implicit-def: $vgpr6
; %bb.2501:                             ;   in Loop: Header=BB442_1382 Depth=1
	s_and_not1_saveexec_b32 s12, s0
; %bb.2502:                             ;   in Loop: Header=BB442_1382 Depth=1
	v_and_b32_e32 v7, 0xffff, v6
	v_or_b32_e32 v9, 0x10000, v6
	s_delay_alu instid0(VALU_DEP_2) | instskip(NEXT) | instid1(VALU_DEP_1)
	v_cmp_eq_u32_e64 s0, 0, v7
	v_cndmask_b32_e64 v74, v9, v6, s0
; %bb.2503:                             ;   in Loop: Header=BB442_1382 Depth=1
	s_or_b32 exec_lo, exec_lo, s12
	v_dual_mov_b32 v6, 0 :: v_dual_and_b32 v7, 0xff, v3
	v_mov_b32_e32 v9, v3
	s_mov_b32 s12, exec_lo
	s_delay_alu instid0(VALU_DEP_2)
	v_cmpx_ne_u16_e32 0, v7
	s_cbranch_execz .LBB442_2511
; %bb.2504:                             ;   in Loop: Header=BB442_1382 Depth=1
	v_bfrev_b32_e32 v6, 1
	s_mov_b32 s13, exec_lo
	v_cmpx_ne_u16_e32 0x80, v7
	s_cbranch_execz .LBB442_2510
; %bb.2505:                             ;   in Loop: Header=BB442_1382 Depth=1
	v_and_b32_e32 v7, 0x7f, v3
	v_mov_b32_e32 v6, 0x7f800001
	s_mov_b32 s15, exec_lo
	s_delay_alu instid0(VALU_DEP_2)
	v_cmpx_ne_u32_e32 0x7f, v7
	s_cbranch_execz .LBB442_2509
; %bb.2506:                             ;   in Loop: Header=BB442_1382 Depth=1
	v_lshrrev_b32_e32 v75, 3, v7
	v_cmp_gt_u32_e64 s0, 8, v7
	v_dual_mov_b32 v6, v9 :: v_dual_mov_b32 v7, v10
	s_delay_alu instid0(VALU_DEP_2)
	s_and_saveexec_b32 s16, s0
; %bb.2507:                             ;   in Loop: Header=BB442_1382 Depth=1
	v_and_b32_e32 v6, 7, v3
	s_delay_alu instid0(VALU_DEP_1) | instskip(NEXT) | instid1(VALU_DEP_1)
	v_clz_i32_u32_e32 v6, v6
	v_min_u32_e32 v75, 32, v6
	s_delay_alu instid0(VALU_DEP_1) | instskip(SKIP_1) | instid1(VALU_DEP_2)
	v_subrev_nc_u32_e32 v6, 28, v75
	v_sub_nc_u32_e32 v75, 29, v75
	v_lshlrev_b64 v[6:7], v6, v[9:10]
; %bb.2508:                             ;   in Loop: Header=BB442_1382 Depth=1
	s_or_b32 exec_lo, exec_lo, s16
	s_delay_alu instid0(VALU_DEP_1) | instskip(SKIP_2) | instid1(VALU_DEP_3)
	v_lshlrev_b32_e32 v6, 20, v6
	v_lshlrev_b32_e32 v7, 24, v9
	v_lshl_add_u32 v75, v75, 23, 0x3c000000
	v_and_b32_e32 v6, 0x700000, v6
	s_delay_alu instid0(VALU_DEP_3) | instskip(NEXT) | instid1(VALU_DEP_1)
	v_and_b32_e32 v7, 0x80000000, v7
	v_or3_b32 v6, v6, v7, v75
.LBB442_2509:                           ;   in Loop: Header=BB442_1382 Depth=1
	s_or_b32 exec_lo, exec_lo, s15
.LBB442_2510:                           ;   in Loop: Header=BB442_1382 Depth=1
	s_delay_alu instid0(SALU_CYCLE_1)
	s_or_b32 exec_lo, exec_lo, s13
.LBB442_2511:                           ;   in Loop: Header=BB442_1382 Depth=1
	s_delay_alu instid0(SALU_CYCLE_1) | instskip(NEXT) | instid1(VALU_DEP_1)
	s_or_b32 exec_lo, exec_lo, s12
	v_mul_f32_e32 v6, v8, v6
                                        ; implicit-def: $vgpr75
	s_delay_alu instid0(VALU_DEP_1) | instskip(NEXT) | instid1(VALU_DEP_1)
	v_and_b32_e32 v7, 0x7f800000, v6
	v_cmp_ne_u32_e64 s0, 0x7f800000, v7
	s_delay_alu instid0(VALU_DEP_1) | instskip(NEXT) | instid1(SALU_CYCLE_1)
	s_and_saveexec_b32 s12, s0
	s_xor_b32 s0, exec_lo, s12
; %bb.2512:                             ;   in Loop: Header=BB442_1382 Depth=1
	v_bfe_u32 v7, v6, 16, 1
	s_delay_alu instid0(VALU_DEP_1)
	v_add3_u32 v75, v6, v7, 0x7fff
                                        ; implicit-def: $vgpr6
; %bb.2513:                             ;   in Loop: Header=BB442_1382 Depth=1
	s_and_not1_saveexec_b32 s12, s0
; %bb.2514:                             ;   in Loop: Header=BB442_1382 Depth=1
	v_and_b32_e32 v7, 0xffff, v6
	v_or_b32_e32 v75, 0x10000, v6
	s_delay_alu instid0(VALU_DEP_2) | instskip(NEXT) | instid1(VALU_DEP_1)
	v_cmp_eq_u32_e64 s0, 0, v7
	v_cndmask_b32_e64 v75, v75, v6, s0
; %bb.2515:                             ;   in Loop: Header=BB442_1382 Depth=1
	s_or_b32 exec_lo, exec_lo, s12
	v_lshrrev_b16 v7, 8, v9
	v_mov_b32_e32 v6, 0
	s_mov_b32 s12, exec_lo
	s_delay_alu instid0(VALU_DEP_2)
	v_cmpx_ne_u16_e32 0, v7
	s_cbranch_execz .LBB442_2523
; %bb.2516:                             ;   in Loop: Header=BB442_1382 Depth=1
	v_bfrev_b32_e32 v6, 1
	s_mov_b32 s13, exec_lo
	v_cmpx_ne_u16_e32 0x80, v7
	s_cbranch_execz .LBB442_2522
; %bb.2517:                             ;   in Loop: Header=BB442_1382 Depth=1
	v_and_b32_e32 v7, 0xffff, v7
	v_mov_b32_e32 v6, 0x7f800001
	s_mov_b32 s15, exec_lo
	s_delay_alu instid0(VALU_DEP_2) | instskip(NEXT) | instid1(VALU_DEP_1)
	v_and_b32_e32 v77, 0x7f, v7
	v_cmpx_ne_u32_e32 0x7f, v77
	s_cbranch_execz .LBB442_2521
; %bb.2518:                             ;   in Loop: Header=BB442_1382 Depth=1
	v_dual_mov_b32 v7, v10 :: v_dual_and_b32 v6, 7, v7
	v_lshrrev_b32_e32 v76, 3, v77
	s_mov_b32 s16, exec_lo
	v_cmpx_gt_u32_e32 8, v77
; %bb.2519:                             ;   in Loop: Header=BB442_1382 Depth=1
	s_delay_alu instid0(VALU_DEP_3) | instskip(NEXT) | instid1(VALU_DEP_1)
	v_clz_i32_u32_e32 v76, v6
	v_min_u32_e32 v76, 32, v76
	s_delay_alu instid0(VALU_DEP_1) | instskip(SKIP_1) | instid1(VALU_DEP_2)
	v_subrev_nc_u32_e32 v77, 28, v76
	v_sub_nc_u32_e32 v76, 29, v76
	v_lshlrev_b64 v[6:7], v77, v[6:7]
	s_delay_alu instid0(VALU_DEP_1)
	v_and_b32_e32 v6, 7, v6
; %bb.2520:                             ;   in Loop: Header=BB442_1382 Depth=1
	s_or_b32 exec_lo, exec_lo, s16
	v_lshlrev_b32_e32 v7, 16, v9
	s_delay_alu instid0(VALU_DEP_2) | instskip(SKIP_1) | instid1(VALU_DEP_3)
	v_lshlrev_b32_e32 v6, 20, v6
	v_lshl_add_u32 v9, v76, 23, 0x3c000000
	v_and_b32_e32 v7, 0x80000000, v7
	s_delay_alu instid0(VALU_DEP_1)
	v_or3_b32 v6, v6, v7, v9
.LBB442_2521:                           ;   in Loop: Header=BB442_1382 Depth=1
	s_or_b32 exec_lo, exec_lo, s15
.LBB442_2522:                           ;   in Loop: Header=BB442_1382 Depth=1
	s_delay_alu instid0(SALU_CYCLE_1)
	s_or_b32 exec_lo, exec_lo, s13
.LBB442_2523:                           ;   in Loop: Header=BB442_1382 Depth=1
	s_delay_alu instid0(SALU_CYCLE_1) | instskip(NEXT) | instid1(VALU_DEP_1)
	s_or_b32 exec_lo, exec_lo, s12
	v_mul_f32_e32 v6, v8, v6
                                        ; implicit-def: $vgpr76
	s_delay_alu instid0(VALU_DEP_1) | instskip(NEXT) | instid1(VALU_DEP_1)
	v_and_b32_e32 v7, 0x7f800000, v6
	v_cmp_ne_u32_e64 s0, 0x7f800000, v7
	s_delay_alu instid0(VALU_DEP_1) | instskip(NEXT) | instid1(SALU_CYCLE_1)
	s_and_saveexec_b32 s12, s0
	s_xor_b32 s0, exec_lo, s12
; %bb.2524:                             ;   in Loop: Header=BB442_1382 Depth=1
	v_bfe_u32 v7, v6, 16, 1
	s_delay_alu instid0(VALU_DEP_1)
	v_add3_u32 v76, v6, v7, 0x7fff
                                        ; implicit-def: $vgpr6
; %bb.2525:                             ;   in Loop: Header=BB442_1382 Depth=1
	s_and_not1_saveexec_b32 s12, s0
; %bb.2526:                             ;   in Loop: Header=BB442_1382 Depth=1
	v_and_b32_e32 v7, 0xffff, v6
	v_or_b32_e32 v9, 0x10000, v6
	s_delay_alu instid0(VALU_DEP_2) | instskip(NEXT) | instid1(VALU_DEP_1)
	v_cmp_eq_u32_e64 s0, 0, v7
	v_cndmask_b32_e64 v76, v9, v6, s0
; %bb.2527:                             ;   in Loop: Header=BB442_1382 Depth=1
	s_or_b32 exec_lo, exec_lo, s12
	v_lshrrev_b32_e32 v77, 16, v3
	s_mov_b32 s12, exec_lo
	s_delay_alu instid0(VALU_DEP_1) | instskip(NEXT) | instid1(VALU_DEP_1)
	v_dual_mov_b32 v6, 0 :: v_dual_and_b32 v7, 0xff, v77
	v_cmpx_ne_u16_e32 0, v7
	s_cbranch_execz .LBB442_2535
; %bb.2528:                             ;   in Loop: Header=BB442_1382 Depth=1
	v_bfrev_b32_e32 v6, 1
	s_mov_b32 s13, exec_lo
	v_cmpx_ne_u16_e32 0x80, v7
	s_cbranch_execz .LBB442_2534
; %bb.2529:                             ;   in Loop: Header=BB442_1382 Depth=1
	v_bfe_u32 v7, v3, 16, 7
	v_mov_b32_e32 v6, 0x7f800001
	s_mov_b32 s15, exec_lo
	s_delay_alu instid0(VALU_DEP_2)
	v_cmpx_ne_u32_e32 0x7f, v7
	s_cbranch_execz .LBB442_2533
; %bb.2530:                             ;   in Loop: Header=BB442_1382 Depth=1
	v_and_b32_e32 v9, 7, v77
	v_lshrrev_b32_e32 v78, 3, v7
	v_cmp_gt_u32_e64 s0, 8, v7
	s_delay_alu instid0(VALU_DEP_3) | instskip(NEXT) | instid1(VALU_DEP_2)
	v_dual_mov_b32 v6, v9 :: v_dual_mov_b32 v7, v10
	s_and_saveexec_b32 s16, s0
; %bb.2531:                             ;   in Loop: Header=BB442_1382 Depth=1
	v_clz_i32_u32_e32 v6, v9
	s_delay_alu instid0(VALU_DEP_1) | instskip(NEXT) | instid1(VALU_DEP_1)
	v_min_u32_e32 v78, 32, v6
	v_subrev_nc_u32_e32 v6, 28, v78
	v_sub_nc_u32_e32 v78, 29, v78
	s_delay_alu instid0(VALU_DEP_2) | instskip(NEXT) | instid1(VALU_DEP_1)
	v_lshlrev_b64 v[6:7], v6, v[9:10]
	v_and_b32_e32 v6, 7, v6
; %bb.2532:                             ;   in Loop: Header=BB442_1382 Depth=1
	s_or_b32 exec_lo, exec_lo, s16
	v_lshlrev_b32_e32 v7, 24, v77
	s_delay_alu instid0(VALU_DEP_2) | instskip(SKIP_1) | instid1(VALU_DEP_3)
	v_lshlrev_b32_e32 v6, 20, v6
	v_lshl_add_u32 v9, v78, 23, 0x3c000000
	v_and_b32_e32 v7, 0x80000000, v7
	s_delay_alu instid0(VALU_DEP_1)
	v_or3_b32 v6, v6, v7, v9
.LBB442_2533:                           ;   in Loop: Header=BB442_1382 Depth=1
	s_or_b32 exec_lo, exec_lo, s15
.LBB442_2534:                           ;   in Loop: Header=BB442_1382 Depth=1
	s_delay_alu instid0(SALU_CYCLE_1)
	s_or_b32 exec_lo, exec_lo, s13
.LBB442_2535:                           ;   in Loop: Header=BB442_1382 Depth=1
	s_delay_alu instid0(SALU_CYCLE_1) | instskip(NEXT) | instid1(VALU_DEP_1)
	s_or_b32 exec_lo, exec_lo, s12
	v_mul_f32_e32 v6, v8, v6
                                        ; implicit-def: $vgpr77
	s_delay_alu instid0(VALU_DEP_1) | instskip(NEXT) | instid1(VALU_DEP_1)
	v_and_b32_e32 v7, 0x7f800000, v6
	v_cmp_ne_u32_e64 s0, 0x7f800000, v7
	s_delay_alu instid0(VALU_DEP_1) | instskip(NEXT) | instid1(SALU_CYCLE_1)
	s_and_saveexec_b32 s12, s0
	s_xor_b32 s0, exec_lo, s12
; %bb.2536:                             ;   in Loop: Header=BB442_1382 Depth=1
	v_bfe_u32 v7, v6, 16, 1
	s_delay_alu instid0(VALU_DEP_1)
	v_add3_u32 v77, v6, v7, 0x7fff
                                        ; implicit-def: $vgpr6
; %bb.2537:                             ;   in Loop: Header=BB442_1382 Depth=1
	s_and_not1_saveexec_b32 s12, s0
; %bb.2538:                             ;   in Loop: Header=BB442_1382 Depth=1
	v_and_b32_e32 v7, 0xffff, v6
	v_or_b32_e32 v9, 0x10000, v6
	s_delay_alu instid0(VALU_DEP_2) | instskip(NEXT) | instid1(VALU_DEP_1)
	v_cmp_eq_u32_e64 s0, 0, v7
	v_cndmask_b32_e64 v77, v9, v6, s0
; %bb.2539:                             ;   in Loop: Header=BB442_1382 Depth=1
	s_or_b32 exec_lo, exec_lo, s12
	v_cmp_lt_u64_e64 s0, s[8:9], v[2:3]
	v_mov_b32_e32 v2, 0
	s_delay_alu instid0(VALU_DEP_2)
	s_and_saveexec_b32 s12, s0
	s_cbranch_execz .LBB442_2547
; %bb.2540:                             ;   in Loop: Header=BB442_1382 Depth=1
	v_lshrrev_b32_e32 v6, 24, v3
	v_bfrev_b32_e32 v2, 1
	s_mov_b32 s13, exec_lo
	s_delay_alu instid0(VALU_DEP_2)
	v_cmpx_ne_u32_e32 0x80, v6
	s_cbranch_execz .LBB442_2546
; %bb.2541:                             ;   in Loop: Header=BB442_1382 Depth=1
	v_bfe_u32 v3, v3, 24, 7
	v_mov_b32_e32 v2, 0x7f800001
	s_mov_b32 s15, exec_lo
	s_delay_alu instid0(VALU_DEP_2)
	v_cmpx_ne_u32_e32 0x7f, v3
	s_cbranch_execz .LBB442_2545
; %bb.2542:                             ;   in Loop: Header=BB442_1382 Depth=1
	v_and_b32_e32 v9, 7, v6
	v_lshrrev_b32_e32 v7, 3, v3
	v_cmp_gt_u32_e64 s0, 8, v3
	s_delay_alu instid0(VALU_DEP_3) | instskip(NEXT) | instid1(VALU_DEP_2)
	v_dual_mov_b32 v2, v9 :: v_dual_mov_b32 v3, v10
	s_and_saveexec_b32 s16, s0
; %bb.2543:                             ;   in Loop: Header=BB442_1382 Depth=1
	v_clz_i32_u32_e32 v2, v9
	s_delay_alu instid0(VALU_DEP_1) | instskip(NEXT) | instid1(VALU_DEP_1)
	v_min_u32_e32 v7, 32, v2
	v_subrev_nc_u32_e32 v2, 28, v7
	v_sub_nc_u32_e32 v7, 29, v7
	s_delay_alu instid0(VALU_DEP_2) | instskip(NEXT) | instid1(VALU_DEP_1)
	v_lshlrev_b64 v[2:3], v2, v[9:10]
	v_and_b32_e32 v2, 7, v2
; %bb.2544:                             ;   in Loop: Header=BB442_1382 Depth=1
	s_or_b32 exec_lo, exec_lo, s16
	v_lshlrev_b32_e32 v3, 24, v6
	s_delay_alu instid0(VALU_DEP_2) | instskip(SKIP_1) | instid1(VALU_DEP_3)
	v_lshlrev_b32_e32 v2, 20, v2
	v_lshl_add_u32 v6, v7, 23, 0x3c000000
	v_and_b32_e32 v3, 0x80000000, v3
	s_delay_alu instid0(VALU_DEP_1)
	v_or3_b32 v2, v2, v3, v6
.LBB442_2545:                           ;   in Loop: Header=BB442_1382 Depth=1
	s_or_b32 exec_lo, exec_lo, s15
.LBB442_2546:                           ;   in Loop: Header=BB442_1382 Depth=1
	s_delay_alu instid0(SALU_CYCLE_1)
	s_or_b32 exec_lo, exec_lo, s13
.LBB442_2547:                           ;   in Loop: Header=BB442_1382 Depth=1
	s_delay_alu instid0(SALU_CYCLE_1) | instskip(NEXT) | instid1(VALU_DEP_1)
	s_or_b32 exec_lo, exec_lo, s12
	v_mul_f32_e32 v3, v8, v2
	s_delay_alu instid0(VALU_DEP_1) | instskip(NEXT) | instid1(VALU_DEP_1)
	v_and_b32_e32 v2, 0x7f800000, v3
	v_cmp_ne_u32_e64 s0, 0x7f800000, v2
                                        ; implicit-def: $vgpr2
	s_delay_alu instid0(VALU_DEP_1) | instskip(NEXT) | instid1(SALU_CYCLE_1)
	s_and_saveexec_b32 s12, s0
	s_xor_b32 s0, exec_lo, s12
; %bb.2548:                             ;   in Loop: Header=BB442_1382 Depth=1
	v_bfe_u32 v2, v3, 16, 1
	s_delay_alu instid0(VALU_DEP_1)
	v_add3_u32 v2, v3, v2, 0x7fff
                                        ; implicit-def: $vgpr3
; %bb.2549:                             ;   in Loop: Header=BB442_1382 Depth=1
	s_and_not1_saveexec_b32 s12, s0
; %bb.2550:                             ;   in Loop: Header=BB442_1382 Depth=1
	v_and_b32_e32 v2, 0xffff, v3
	v_or_b32_e32 v6, 0x10000, v3
	s_delay_alu instid0(VALU_DEP_2) | instskip(NEXT) | instid1(VALU_DEP_1)
	v_cmp_eq_u32_e64 s0, 0, v2
	v_cndmask_b32_e64 v2, v6, v3, s0
; %bb.2551:                             ;   in Loop: Header=BB442_1382 Depth=1
	s_or_b32 exec_lo, exec_lo, s12
	v_lshrrev_b32_e32 v6, 16, v76
	v_lshrrev_b32_e32 v7, 16, v75
	;; [unrolled: 1-line block ×8, first 2 shown]
	s_and_saveexec_b32 s12, vcc_lo
	s_cbranch_execz .LBB442_2553
; %bb.2552:                             ;   in Loop: Header=BB442_1382 Depth=1
	v_cmp_lt_i32_e64 s0, v84, v38
	s_delay_alu instid0(VALU_DEP_1) | instskip(SKIP_1) | instid1(VALU_DEP_1)
	v_cndmask_b32_e64 v63, 0, v63, s0
	v_cmp_lt_i32_e64 s0, v99, v38
	v_cndmask_b32_e64 v72, 0, v72, s0
	v_cmp_lt_i32_e64 s0, v98, v38
	s_delay_alu instid0(VALU_DEP_1) | instskip(SKIP_1) | instid1(VALU_DEP_1)
	v_cndmask_b32_e64 v73, 0, v73, s0
	v_cmp_lt_i32_e64 s0, v97, v38
	v_cndmask_b32_e64 v9, 0, v9, s0
	v_cmp_lt_i32_e64 s0, v96, v38
	s_delay_alu instid0(VALU_DEP_1) | instskip(SKIP_1) | instid1(VALU_DEP_1)
	v_cndmask_b32_e64 v7, 0, v7, s0
	v_cmp_lt_i32_e64 s0, v87, v38
	v_cndmask_b32_e64 v6, 0, v6, s0
	v_cmp_lt_i32_e64 s0, v86, v38
	s_delay_alu instid0(VALU_DEP_1) | instskip(SKIP_1) | instid1(VALU_DEP_1)
	v_cndmask_b32_e64 v3, 0, v3, s0
	v_cmp_lt_i32_e64 s0, v85, v38
	v_cndmask_b32_e64 v2, 0, v2, s0
.LBB442_2553:                           ;   in Loop: Header=BB442_1382 Depth=1
	s_or_b32 exec_lo, exec_lo, s12
	v_lshlrev_b32_e32 v63, 16, v63
	s_delay_alu instid0(VALU_DEP_1) | instskip(NEXT) | instid1(VALU_DEP_1)
	v_mul_f32_e32 v74, v100, v63
	v_and_b32_e32 v63, 0x7f800000, v74
	s_delay_alu instid0(VALU_DEP_1) | instskip(NEXT) | instid1(VALU_DEP_1)
	v_cmp_ne_u32_e64 s0, 0x7f800000, v63
                                        ; implicit-def: $vgpr63
	s_and_saveexec_b32 s12, s0
	s_delay_alu instid0(SALU_CYCLE_1)
	s_xor_b32 s0, exec_lo, s12
; %bb.2554:                             ;   in Loop: Header=BB442_1382 Depth=1
	v_bfe_u32 v63, v74, 16, 1
	s_delay_alu instid0(VALU_DEP_1)
	v_add3_u32 v63, v74, v63, 0x7fff
                                        ; implicit-def: $vgpr74
; %bb.2555:                             ;   in Loop: Header=BB442_1382 Depth=1
	s_and_not1_saveexec_b32 s12, s0
; %bb.2556:                             ;   in Loop: Header=BB442_1382 Depth=1
	v_and_b32_e32 v63, 0xffff, v74
	v_or_b32_e32 v75, 0x10000, v74
	s_delay_alu instid0(VALU_DEP_2) | instskip(NEXT) | instid1(VALU_DEP_1)
	v_cmp_eq_u32_e64 s0, 0, v63
	v_cndmask_b32_e64 v63, v75, v74, s0
; %bb.2557:                             ;   in Loop: Header=BB442_1382 Depth=1
	s_or_b32 exec_lo, exec_lo, s12
	v_lshlrev_b32_e32 v72, 16, v72
	s_delay_alu instid0(VALU_DEP_1) | instskip(NEXT) | instid1(VALU_DEP_1)
	v_mul_f32_e32 v74, v101, v72
	v_and_b32_e32 v72, 0x7f800000, v74
	s_delay_alu instid0(VALU_DEP_1) | instskip(NEXT) | instid1(VALU_DEP_1)
	v_cmp_ne_u32_e64 s0, 0x7f800000, v72
                                        ; implicit-def: $vgpr72
	s_and_saveexec_b32 s12, s0
	s_delay_alu instid0(SALU_CYCLE_1)
	s_xor_b32 s0, exec_lo, s12
; %bb.2558:                             ;   in Loop: Header=BB442_1382 Depth=1
	v_bfe_u32 v72, v74, 16, 1
	s_delay_alu instid0(VALU_DEP_1)
	v_add3_u32 v72, v74, v72, 0x7fff
                                        ; implicit-def: $vgpr74
; %bb.2559:                             ;   in Loop: Header=BB442_1382 Depth=1
	s_and_not1_saveexec_b32 s12, s0
; %bb.2560:                             ;   in Loop: Header=BB442_1382 Depth=1
	v_and_b32_e32 v72, 0xffff, v74
	v_or_b32_e32 v75, 0x10000, v74
	s_delay_alu instid0(VALU_DEP_2) | instskip(NEXT) | instid1(VALU_DEP_1)
	v_cmp_eq_u32_e64 s0, 0, v72
	v_cndmask_b32_e64 v72, v75, v74, s0
; %bb.2561:                             ;   in Loop: Header=BB442_1382 Depth=1
	s_or_b32 exec_lo, exec_lo, s12
	v_lshlrev_b32_e32 v73, 16, v73
	s_delay_alu instid0(VALU_DEP_1) | instskip(NEXT) | instid1(VALU_DEP_1)
	v_mul_f32_e32 v74, v102, v73
	v_and_b32_e32 v73, 0x7f800000, v74
	s_delay_alu instid0(VALU_DEP_1) | instskip(NEXT) | instid1(VALU_DEP_1)
	v_cmp_ne_u32_e64 s0, 0x7f800000, v73
                                        ; implicit-def: $vgpr73
	s_and_saveexec_b32 s12, s0
	s_delay_alu instid0(SALU_CYCLE_1)
	s_xor_b32 s0, exec_lo, s12
; %bb.2562:                             ;   in Loop: Header=BB442_1382 Depth=1
	v_bfe_u32 v73, v74, 16, 1
	s_delay_alu instid0(VALU_DEP_1)
	v_add3_u32 v73, v74, v73, 0x7fff
                                        ; implicit-def: $vgpr74
; %bb.2563:                             ;   in Loop: Header=BB442_1382 Depth=1
	s_and_not1_saveexec_b32 s12, s0
; %bb.2564:                             ;   in Loop: Header=BB442_1382 Depth=1
	v_and_b32_e32 v73, 0xffff, v74
	v_or_b32_e32 v75, 0x10000, v74
	s_delay_alu instid0(VALU_DEP_2) | instskip(NEXT) | instid1(VALU_DEP_1)
	v_cmp_eq_u32_e64 s0, 0, v73
	v_cndmask_b32_e64 v73, v75, v74, s0
; %bb.2565:                             ;   in Loop: Header=BB442_1382 Depth=1
	s_or_b32 exec_lo, exec_lo, s12
	v_lshlrev_b32_e32 v9, 16, v9
	s_delay_alu instid0(VALU_DEP_1) | instskip(NEXT) | instid1(VALU_DEP_1)
	v_mul_f32_e32 v9, v103, v9
	v_and_b32_e32 v74, 0x7f800000, v9
	s_delay_alu instid0(VALU_DEP_1) | instskip(NEXT) | instid1(VALU_DEP_1)
	v_cmp_ne_u32_e64 s0, 0x7f800000, v74
                                        ; implicit-def: $vgpr74
	s_and_saveexec_b32 s12, s0
	s_delay_alu instid0(SALU_CYCLE_1)
	s_xor_b32 s0, exec_lo, s12
; %bb.2566:                             ;   in Loop: Header=BB442_1382 Depth=1
	v_bfe_u32 v74, v9, 16, 1
	s_delay_alu instid0(VALU_DEP_1)
	v_add3_u32 v74, v9, v74, 0x7fff
                                        ; implicit-def: $vgpr9
; %bb.2567:                             ;   in Loop: Header=BB442_1382 Depth=1
	s_and_not1_saveexec_b32 s12, s0
; %bb.2568:                             ;   in Loop: Header=BB442_1382 Depth=1
	v_and_b32_e32 v74, 0xffff, v9
	v_or_b32_e32 v75, 0x10000, v9
	s_delay_alu instid0(VALU_DEP_2) | instskip(NEXT) | instid1(VALU_DEP_1)
	v_cmp_eq_u32_e64 s0, 0, v74
	v_cndmask_b32_e64 v74, v75, v9, s0
; %bb.2569:                             ;   in Loop: Header=BB442_1382 Depth=1
	s_or_b32 exec_lo, exec_lo, s12
	v_lshlrev_b32_e32 v7, 16, v7
                                        ; implicit-def: $vgpr75
	s_delay_alu instid0(VALU_DEP_1) | instskip(NEXT) | instid1(VALU_DEP_1)
	v_mul_f32_e32 v7, v112, v7
	v_and_b32_e32 v9, 0x7f800000, v7
	s_delay_alu instid0(VALU_DEP_1) | instskip(NEXT) | instid1(VALU_DEP_1)
	v_cmp_ne_u32_e64 s0, 0x7f800000, v9
	s_and_saveexec_b32 s12, s0
	s_delay_alu instid0(SALU_CYCLE_1)
	s_xor_b32 s0, exec_lo, s12
; %bb.2570:                             ;   in Loop: Header=BB442_1382 Depth=1
	v_bfe_u32 v9, v7, 16, 1
	s_delay_alu instid0(VALU_DEP_1)
	v_add3_u32 v75, v7, v9, 0x7fff
                                        ; implicit-def: $vgpr7
; %bb.2571:                             ;   in Loop: Header=BB442_1382 Depth=1
	s_and_not1_saveexec_b32 s12, s0
; %bb.2572:                             ;   in Loop: Header=BB442_1382 Depth=1
	v_and_b32_e32 v9, 0xffff, v7
	v_or_b32_e32 v75, 0x10000, v7
	s_delay_alu instid0(VALU_DEP_2) | instskip(NEXT) | instid1(VALU_DEP_1)
	v_cmp_eq_u32_e64 s0, 0, v9
	v_cndmask_b32_e64 v75, v75, v7, s0
; %bb.2573:                             ;   in Loop: Header=BB442_1382 Depth=1
	s_or_b32 exec_lo, exec_lo, s12
	v_lshlrev_b32_e32 v6, 16, v6
                                        ; implicit-def: $vgpr76
	s_delay_alu instid0(VALU_DEP_1) | instskip(NEXT) | instid1(VALU_DEP_1)
	v_mul_f32_e32 v6, v113, v6
	v_and_b32_e32 v7, 0x7f800000, v6
	s_delay_alu instid0(VALU_DEP_1) | instskip(NEXT) | instid1(VALU_DEP_1)
	v_cmp_ne_u32_e64 s0, 0x7f800000, v7
	s_and_saveexec_b32 s12, s0
	s_delay_alu instid0(SALU_CYCLE_1)
	s_xor_b32 s0, exec_lo, s12
; %bb.2574:                             ;   in Loop: Header=BB442_1382 Depth=1
	v_bfe_u32 v7, v6, 16, 1
	s_delay_alu instid0(VALU_DEP_1)
	v_add3_u32 v76, v6, v7, 0x7fff
                                        ; implicit-def: $vgpr6
; %bb.2575:                             ;   in Loop: Header=BB442_1382 Depth=1
	s_and_not1_saveexec_b32 s12, s0
; %bb.2576:                             ;   in Loop: Header=BB442_1382 Depth=1
	v_and_b32_e32 v7, 0xffff, v6
	v_or_b32_e32 v9, 0x10000, v6
	s_delay_alu instid0(VALU_DEP_2) | instskip(NEXT) | instid1(VALU_DEP_1)
	v_cmp_eq_u32_e64 s0, 0, v7
	v_cndmask_b32_e64 v76, v9, v6, s0
; %bb.2577:                             ;   in Loop: Header=BB442_1382 Depth=1
	s_or_b32 exec_lo, exec_lo, s12
	v_lshlrev_b32_e32 v3, 16, v3
                                        ; implicit-def: $vgpr77
	s_delay_alu instid0(VALU_DEP_1) | instskip(NEXT) | instid1(VALU_DEP_1)
	v_mul_f32_e32 v3, v114, v3
	v_and_b32_e32 v6, 0x7f800000, v3
	s_delay_alu instid0(VALU_DEP_1) | instskip(NEXT) | instid1(VALU_DEP_1)
	v_cmp_ne_u32_e64 s0, 0x7f800000, v6
	s_and_saveexec_b32 s12, s0
	s_delay_alu instid0(SALU_CYCLE_1)
	s_xor_b32 s0, exec_lo, s12
; %bb.2578:                             ;   in Loop: Header=BB442_1382 Depth=1
	v_bfe_u32 v6, v3, 16, 1
	s_delay_alu instid0(VALU_DEP_1)
	v_add3_u32 v77, v3, v6, 0x7fff
                                        ; implicit-def: $vgpr3
; %bb.2579:                             ;   in Loop: Header=BB442_1382 Depth=1
	s_and_not1_saveexec_b32 s12, s0
; %bb.2580:                             ;   in Loop: Header=BB442_1382 Depth=1
	v_and_b32_e32 v6, 0xffff, v3
	v_or_b32_e32 v7, 0x10000, v3
	s_delay_alu instid0(VALU_DEP_2) | instskip(NEXT) | instid1(VALU_DEP_1)
	v_cmp_eq_u32_e64 s0, 0, v6
	v_cndmask_b32_e64 v77, v7, v3, s0
; %bb.2581:                             ;   in Loop: Header=BB442_1382 Depth=1
	s_or_b32 exec_lo, exec_lo, s12
	v_lshlrev_b32_e32 v2, 16, v2
                                        ; implicit-def: $vgpr78
	s_delay_alu instid0(VALU_DEP_1) | instskip(NEXT) | instid1(VALU_DEP_1)
	v_mul_f32_e32 v2, v115, v2
	v_and_b32_e32 v3, 0x7f800000, v2
	s_delay_alu instid0(VALU_DEP_1) | instskip(NEXT) | instid1(VALU_DEP_1)
	v_cmp_ne_u32_e64 s0, 0x7f800000, v3
	s_and_saveexec_b32 s12, s0
	s_delay_alu instid0(SALU_CYCLE_1)
	s_xor_b32 s0, exec_lo, s12
; %bb.2582:                             ;   in Loop: Header=BB442_1382 Depth=1
	v_bfe_u32 v3, v2, 16, 1
	s_delay_alu instid0(VALU_DEP_1)
	v_add3_u32 v78, v2, v3, 0x7fff
                                        ; implicit-def: $vgpr2
; %bb.2583:                             ;   in Loop: Header=BB442_1382 Depth=1
	s_and_not1_saveexec_b32 s12, s0
; %bb.2584:                             ;   in Loop: Header=BB442_1382 Depth=1
	v_and_b32_e32 v3, 0xffff, v2
	v_or_b32_e32 v6, 0x10000, v2
	s_delay_alu instid0(VALU_DEP_2) | instskip(NEXT) | instid1(VALU_DEP_1)
	v_cmp_eq_u32_e64 s0, 0, v3
	v_cndmask_b32_e64 v78, v6, v2, s0
; %bb.2585:                             ;   in Loop: Header=BB442_1382 Depth=1
	s_or_b32 exec_lo, exec_lo, s12
	flat_load_b64 v[2:3], v[0:1] offset:2304
	s_mov_b32 s12, exec_lo
	s_waitcnt vmcnt(0) lgkmcnt(0)
	v_dual_mov_b32 v6, 0 :: v_dual_and_b32 v7, 0xff, v2
	s_delay_alu instid0(VALU_DEP_1)
	v_cmpx_ne_u16_e32 0, v7
	s_cbranch_execz .LBB442_2593
; %bb.2586:                             ;   in Loop: Header=BB442_1382 Depth=1
	v_bfrev_b32_e32 v6, 1
	s_mov_b32 s13, exec_lo
	v_cmpx_ne_u16_e32 0x80, v7
	s_cbranch_execz .LBB442_2592
; %bb.2587:                             ;   in Loop: Header=BB442_1382 Depth=1
	v_and_b32_e32 v7, 0x7f, v2
	v_mov_b32_e32 v6, 0x7f800001
	s_mov_b32 s15, exec_lo
	s_delay_alu instid0(VALU_DEP_2)
	v_cmpx_ne_u32_e32 0x7f, v7
	s_cbranch_execz .LBB442_2591
; %bb.2588:                             ;   in Loop: Header=BB442_1382 Depth=1
	v_lshrrev_b32_e32 v9, 3, v7
	v_cmp_gt_u32_e64 s0, 8, v7
	v_dual_mov_b32 v7, v3 :: v_dual_mov_b32 v6, v2
	s_delay_alu instid0(VALU_DEP_2)
	s_and_saveexec_b32 s16, s0
; %bb.2589:                             ;   in Loop: Header=BB442_1382 Depth=1
	v_and_b32_e32 v6, 7, v2
	s_delay_alu instid0(VALU_DEP_1) | instskip(NEXT) | instid1(VALU_DEP_1)
	v_clz_i32_u32_e32 v6, v6
	v_min_u32_e32 v9, 32, v6
	s_delay_alu instid0(VALU_DEP_1) | instskip(SKIP_1) | instid1(VALU_DEP_2)
	v_subrev_nc_u32_e32 v6, 28, v9
	v_sub_nc_u32_e32 v9, 29, v9
	v_lshlrev_b64 v[6:7], v6, v[2:3]
; %bb.2590:                             ;   in Loop: Header=BB442_1382 Depth=1
	s_or_b32 exec_lo, exec_lo, s16
	s_delay_alu instid0(VALU_DEP_1) | instskip(SKIP_2) | instid1(VALU_DEP_3)
	v_lshlrev_b32_e32 v6, 20, v6
	v_lshlrev_b32_e32 v7, 24, v2
	v_lshl_add_u32 v9, v9, 23, 0x3c000000
	v_and_b32_e32 v6, 0x700000, v6
	s_delay_alu instid0(VALU_DEP_3) | instskip(NEXT) | instid1(VALU_DEP_1)
	v_and_b32_e32 v7, 0x80000000, v7
	v_or3_b32 v6, v6, v7, v9
.LBB442_2591:                           ;   in Loop: Header=BB442_1382 Depth=1
	s_or_b32 exec_lo, exec_lo, s15
.LBB442_2592:                           ;   in Loop: Header=BB442_1382 Depth=1
	s_delay_alu instid0(SALU_CYCLE_1)
	s_or_b32 exec_lo, exec_lo, s13
.LBB442_2593:                           ;   in Loop: Header=BB442_1382 Depth=1
	s_delay_alu instid0(SALU_CYCLE_1) | instskip(NEXT) | instid1(VALU_DEP_1)
	s_or_b32 exec_lo, exec_lo, s12
	v_mul_f32_e32 v6, v8, v6
                                        ; implicit-def: $vgpr79
	s_delay_alu instid0(VALU_DEP_1) | instskip(NEXT) | instid1(VALU_DEP_1)
	v_and_b32_e32 v7, 0x7f800000, v6
	v_cmp_ne_u32_e64 s0, 0x7f800000, v7
	s_delay_alu instid0(VALU_DEP_1) | instskip(NEXT) | instid1(SALU_CYCLE_1)
	s_and_saveexec_b32 s12, s0
	s_xor_b32 s0, exec_lo, s12
; %bb.2594:                             ;   in Loop: Header=BB442_1382 Depth=1
	v_bfe_u32 v7, v6, 16, 1
	s_delay_alu instid0(VALU_DEP_1)
	v_add3_u32 v79, v6, v7, 0x7fff
                                        ; implicit-def: $vgpr6
; %bb.2595:                             ;   in Loop: Header=BB442_1382 Depth=1
	s_and_not1_saveexec_b32 s12, s0
; %bb.2596:                             ;   in Loop: Header=BB442_1382 Depth=1
	v_and_b32_e32 v7, 0xffff, v6
	v_or_b32_e32 v9, 0x10000, v6
	s_delay_alu instid0(VALU_DEP_2) | instskip(NEXT) | instid1(VALU_DEP_1)
	v_cmp_eq_u32_e64 s0, 0, v7
	v_cndmask_b32_e64 v79, v9, v6, s0
; %bb.2597:                             ;   in Loop: Header=BB442_1382 Depth=1
	s_or_b32 exec_lo, exec_lo, s12
	v_lshrrev_b16 v7, 8, v2
	v_mov_b32_e32 v6, 0
	s_mov_b32 s12, exec_lo
	s_delay_alu instid0(VALU_DEP_2)
	v_cmpx_ne_u16_e32 0, v7
	s_cbranch_execz .LBB442_2605
; %bb.2598:                             ;   in Loop: Header=BB442_1382 Depth=1
	v_bfrev_b32_e32 v6, 1
	s_mov_b32 s13, exec_lo
	v_cmpx_ne_u16_e32 0x80, v7
	s_cbranch_execz .LBB442_2604
; %bb.2599:                             ;   in Loop: Header=BB442_1382 Depth=1
	v_and_b32_e32 v9, 0xffff, v7
	v_mov_b32_e32 v6, 0x7f800001
	s_mov_b32 s15, exec_lo
	s_delay_alu instid0(VALU_DEP_2) | instskip(NEXT) | instid1(VALU_DEP_1)
	v_and_b32_e32 v7, 0x7f, v9
	v_cmpx_ne_u32_e32 0x7f, v7
	s_cbranch_execz .LBB442_2603
; %bb.2600:                             ;   in Loop: Header=BB442_1382 Depth=1
	v_and_b32_e32 v9, 7, v9
	v_lshrrev_b32_e32 v88, 3, v7
	v_cmp_gt_u32_e64 s0, 8, v7
	s_delay_alu instid0(VALU_DEP_3) | instskip(NEXT) | instid1(VALU_DEP_2)
	v_dual_mov_b32 v6, v9 :: v_dual_mov_b32 v7, v10
	s_and_saveexec_b32 s16, s0
; %bb.2601:                             ;   in Loop: Header=BB442_1382 Depth=1
	v_clz_i32_u32_e32 v6, v9
	s_delay_alu instid0(VALU_DEP_1) | instskip(NEXT) | instid1(VALU_DEP_1)
	v_min_u32_e32 v88, 32, v6
	v_subrev_nc_u32_e32 v6, 28, v88
	v_sub_nc_u32_e32 v88, 29, v88
	s_delay_alu instid0(VALU_DEP_2) | instskip(NEXT) | instid1(VALU_DEP_1)
	v_lshlrev_b64 v[6:7], v6, v[9:10]
	v_and_b32_e32 v6, 7, v6
; %bb.2602:                             ;   in Loop: Header=BB442_1382 Depth=1
	s_or_b32 exec_lo, exec_lo, s16
	v_lshlrev_b32_e32 v7, 16, v2
	s_delay_alu instid0(VALU_DEP_2) | instskip(SKIP_1) | instid1(VALU_DEP_3)
	v_lshlrev_b32_e32 v6, 20, v6
	v_lshl_add_u32 v9, v88, 23, 0x3c000000
	v_and_b32_e32 v7, 0x80000000, v7
	s_delay_alu instid0(VALU_DEP_1)
	v_or3_b32 v6, v6, v7, v9
.LBB442_2603:                           ;   in Loop: Header=BB442_1382 Depth=1
	s_or_b32 exec_lo, exec_lo, s15
.LBB442_2604:                           ;   in Loop: Header=BB442_1382 Depth=1
	s_delay_alu instid0(SALU_CYCLE_1)
	s_or_b32 exec_lo, exec_lo, s13
.LBB442_2605:                           ;   in Loop: Header=BB442_1382 Depth=1
	s_delay_alu instid0(SALU_CYCLE_1) | instskip(NEXT) | instid1(VALU_DEP_1)
	s_or_b32 exec_lo, exec_lo, s12
	v_mul_f32_e32 v6, v8, v6
                                        ; implicit-def: $vgpr88
	s_delay_alu instid0(VALU_DEP_1) | instskip(NEXT) | instid1(VALU_DEP_1)
	v_and_b32_e32 v7, 0x7f800000, v6
	v_cmp_ne_u32_e64 s0, 0x7f800000, v7
	s_delay_alu instid0(VALU_DEP_1) | instskip(NEXT) | instid1(SALU_CYCLE_1)
	s_and_saveexec_b32 s12, s0
	s_xor_b32 s0, exec_lo, s12
; %bb.2606:                             ;   in Loop: Header=BB442_1382 Depth=1
	v_bfe_u32 v7, v6, 16, 1
	s_delay_alu instid0(VALU_DEP_1)
	v_add3_u32 v88, v6, v7, 0x7fff
                                        ; implicit-def: $vgpr6
; %bb.2607:                             ;   in Loop: Header=BB442_1382 Depth=1
	s_and_not1_saveexec_b32 s12, s0
; %bb.2608:                             ;   in Loop: Header=BB442_1382 Depth=1
	v_and_b32_e32 v7, 0xffff, v6
	v_or_b32_e32 v9, 0x10000, v6
	s_delay_alu instid0(VALU_DEP_2) | instskip(NEXT) | instid1(VALU_DEP_1)
	v_cmp_eq_u32_e64 s0, 0, v7
	v_cndmask_b32_e64 v88, v9, v6, s0
; %bb.2609:                             ;   in Loop: Header=BB442_1382 Depth=1
	s_or_b32 exec_lo, exec_lo, s12
	v_lshrrev_b32_e32 v89, 16, v2
	s_mov_b32 s12, exec_lo
	s_delay_alu instid0(VALU_DEP_1) | instskip(NEXT) | instid1(VALU_DEP_1)
	v_dual_mov_b32 v6, 0 :: v_dual_and_b32 v7, 0xff, v89
	v_cmpx_ne_u16_e32 0, v7
	s_cbranch_execz .LBB442_2617
; %bb.2610:                             ;   in Loop: Header=BB442_1382 Depth=1
	v_bfrev_b32_e32 v6, 1
	s_mov_b32 s13, exec_lo
	v_cmpx_ne_u16_e32 0x80, v7
	s_cbranch_execz .LBB442_2616
; %bb.2611:                             ;   in Loop: Header=BB442_1382 Depth=1
	v_bfe_u32 v7, v2, 16, 7
	v_mov_b32_e32 v6, 0x7f800001
	s_mov_b32 s15, exec_lo
	s_delay_alu instid0(VALU_DEP_2)
	v_cmpx_ne_u32_e32 0x7f, v7
	s_cbranch_execz .LBB442_2615
; %bb.2612:                             ;   in Loop: Header=BB442_1382 Depth=1
	v_and_b32_e32 v9, 7, v89
	v_lshrrev_b32_e32 v90, 3, v7
	v_cmp_gt_u32_e64 s0, 8, v7
	s_delay_alu instid0(VALU_DEP_3) | instskip(NEXT) | instid1(VALU_DEP_2)
	v_dual_mov_b32 v6, v9 :: v_dual_mov_b32 v7, v10
	s_and_saveexec_b32 s16, s0
; %bb.2613:                             ;   in Loop: Header=BB442_1382 Depth=1
	v_clz_i32_u32_e32 v6, v9
	s_delay_alu instid0(VALU_DEP_1) | instskip(NEXT) | instid1(VALU_DEP_1)
	v_min_u32_e32 v90, 32, v6
	v_subrev_nc_u32_e32 v6, 28, v90
	v_sub_nc_u32_e32 v90, 29, v90
	s_delay_alu instid0(VALU_DEP_2) | instskip(NEXT) | instid1(VALU_DEP_1)
	v_lshlrev_b64 v[6:7], v6, v[9:10]
	v_and_b32_e32 v6, 7, v6
; %bb.2614:                             ;   in Loop: Header=BB442_1382 Depth=1
	s_or_b32 exec_lo, exec_lo, s16
	v_lshlrev_b32_e32 v7, 24, v89
	s_delay_alu instid0(VALU_DEP_2) | instskip(SKIP_1) | instid1(VALU_DEP_3)
	v_lshlrev_b32_e32 v6, 20, v6
	v_lshl_add_u32 v9, v90, 23, 0x3c000000
	v_and_b32_e32 v7, 0x80000000, v7
	s_delay_alu instid0(VALU_DEP_1)
	v_or3_b32 v6, v6, v7, v9
.LBB442_2615:                           ;   in Loop: Header=BB442_1382 Depth=1
	s_or_b32 exec_lo, exec_lo, s15
.LBB442_2616:                           ;   in Loop: Header=BB442_1382 Depth=1
	s_delay_alu instid0(SALU_CYCLE_1)
	s_or_b32 exec_lo, exec_lo, s13
.LBB442_2617:                           ;   in Loop: Header=BB442_1382 Depth=1
	s_delay_alu instid0(SALU_CYCLE_1) | instskip(NEXT) | instid1(VALU_DEP_1)
	s_or_b32 exec_lo, exec_lo, s12
	v_mul_f32_e32 v6, v8, v6
                                        ; implicit-def: $vgpr89
	s_delay_alu instid0(VALU_DEP_1) | instskip(NEXT) | instid1(VALU_DEP_1)
	v_and_b32_e32 v7, 0x7f800000, v6
	v_cmp_ne_u32_e64 s0, 0x7f800000, v7
	s_delay_alu instid0(VALU_DEP_1) | instskip(NEXT) | instid1(SALU_CYCLE_1)
	s_and_saveexec_b32 s12, s0
	s_xor_b32 s0, exec_lo, s12
; %bb.2618:                             ;   in Loop: Header=BB442_1382 Depth=1
	v_bfe_u32 v7, v6, 16, 1
	s_delay_alu instid0(VALU_DEP_1)
	v_add3_u32 v89, v6, v7, 0x7fff
                                        ; implicit-def: $vgpr6
; %bb.2619:                             ;   in Loop: Header=BB442_1382 Depth=1
	s_and_not1_saveexec_b32 s12, s0
; %bb.2620:                             ;   in Loop: Header=BB442_1382 Depth=1
	v_and_b32_e32 v7, 0xffff, v6
	v_or_b32_e32 v9, 0x10000, v6
	s_delay_alu instid0(VALU_DEP_2) | instskip(NEXT) | instid1(VALU_DEP_1)
	v_cmp_eq_u32_e64 s0, 0, v7
	v_cndmask_b32_e64 v89, v9, v6, s0
; %bb.2621:                             ;   in Loop: Header=BB442_1382 Depth=1
	s_or_b32 exec_lo, exec_lo, s12
	v_mov_b32_e32 v6, 0
	s_mov_b32 s12, exec_lo
	v_cmpx_lt_u32_e32 0xffffff, v2
	s_cbranch_execz .LBB442_2629
; %bb.2622:                             ;   in Loop: Header=BB442_1382 Depth=1
	v_lshrrev_b32_e32 v90, 24, v2
	v_bfrev_b32_e32 v6, 1
	s_mov_b32 s13, exec_lo
	s_delay_alu instid0(VALU_DEP_2)
	v_cmpx_ne_u32_e32 0x80, v90
	s_cbranch_execz .LBB442_2628
; %bb.2623:                             ;   in Loop: Header=BB442_1382 Depth=1
	v_bfe_u32 v7, v2, 24, 7
	v_mov_b32_e32 v6, 0x7f800001
	s_mov_b32 s15, exec_lo
	s_delay_alu instid0(VALU_DEP_2)
	v_cmpx_ne_u32_e32 0x7f, v7
	s_cbranch_execz .LBB442_2627
; %bb.2624:                             ;   in Loop: Header=BB442_1382 Depth=1
	v_and_b32_e32 v9, 7, v90
	v_lshrrev_b32_e32 v91, 3, v7
	v_cmp_gt_u32_e64 s0, 8, v7
	s_delay_alu instid0(VALU_DEP_3) | instskip(NEXT) | instid1(VALU_DEP_2)
	v_dual_mov_b32 v6, v9 :: v_dual_mov_b32 v7, v10
	s_and_saveexec_b32 s16, s0
; %bb.2625:                             ;   in Loop: Header=BB442_1382 Depth=1
	v_clz_i32_u32_e32 v6, v9
	s_delay_alu instid0(VALU_DEP_1) | instskip(NEXT) | instid1(VALU_DEP_1)
	v_min_u32_e32 v91, 32, v6
	v_subrev_nc_u32_e32 v6, 28, v91
	v_sub_nc_u32_e32 v91, 29, v91
	s_delay_alu instid0(VALU_DEP_2) | instskip(NEXT) | instid1(VALU_DEP_1)
	v_lshlrev_b64 v[6:7], v6, v[9:10]
	v_and_b32_e32 v6, 7, v6
; %bb.2626:                             ;   in Loop: Header=BB442_1382 Depth=1
	s_or_b32 exec_lo, exec_lo, s16
	v_lshlrev_b32_e32 v7, 24, v90
	s_delay_alu instid0(VALU_DEP_2) | instskip(SKIP_1) | instid1(VALU_DEP_3)
	v_lshlrev_b32_e32 v6, 20, v6
	v_lshl_add_u32 v9, v91, 23, 0x3c000000
	v_and_b32_e32 v7, 0x80000000, v7
	s_delay_alu instid0(VALU_DEP_1)
	v_or3_b32 v6, v6, v7, v9
.LBB442_2627:                           ;   in Loop: Header=BB442_1382 Depth=1
	s_or_b32 exec_lo, exec_lo, s15
.LBB442_2628:                           ;   in Loop: Header=BB442_1382 Depth=1
	s_delay_alu instid0(SALU_CYCLE_1)
	s_or_b32 exec_lo, exec_lo, s13
.LBB442_2629:                           ;   in Loop: Header=BB442_1382 Depth=1
	s_delay_alu instid0(SALU_CYCLE_1) | instskip(NEXT) | instid1(VALU_DEP_1)
	s_or_b32 exec_lo, exec_lo, s12
	v_mul_f32_e32 v6, v8, v6
                                        ; implicit-def: $vgpr90
	s_delay_alu instid0(VALU_DEP_1) | instskip(NEXT) | instid1(VALU_DEP_1)
	v_and_b32_e32 v7, 0x7f800000, v6
	v_cmp_ne_u32_e64 s0, 0x7f800000, v7
	s_delay_alu instid0(VALU_DEP_1) | instskip(NEXT) | instid1(SALU_CYCLE_1)
	s_and_saveexec_b32 s12, s0
	s_xor_b32 s0, exec_lo, s12
; %bb.2630:                             ;   in Loop: Header=BB442_1382 Depth=1
	v_bfe_u32 v7, v6, 16, 1
	s_delay_alu instid0(VALU_DEP_1)
	v_add3_u32 v90, v6, v7, 0x7fff
                                        ; implicit-def: $vgpr6
; %bb.2631:                             ;   in Loop: Header=BB442_1382 Depth=1
	s_and_not1_saveexec_b32 s12, s0
; %bb.2632:                             ;   in Loop: Header=BB442_1382 Depth=1
	v_and_b32_e32 v7, 0xffff, v6
	v_or_b32_e32 v9, 0x10000, v6
	s_delay_alu instid0(VALU_DEP_2) | instskip(NEXT) | instid1(VALU_DEP_1)
	v_cmp_eq_u32_e64 s0, 0, v7
	v_cndmask_b32_e64 v90, v9, v6, s0
; %bb.2633:                             ;   in Loop: Header=BB442_1382 Depth=1
	s_or_b32 exec_lo, exec_lo, s12
	v_dual_mov_b32 v6, 0 :: v_dual_and_b32 v7, 0xff, v3
	v_mov_b32_e32 v9, v3
	s_mov_b32 s12, exec_lo
	s_delay_alu instid0(VALU_DEP_2)
	v_cmpx_ne_u16_e32 0, v7
	s_cbranch_execz .LBB442_2641
; %bb.2634:                             ;   in Loop: Header=BB442_1382 Depth=1
	v_bfrev_b32_e32 v6, 1
	s_mov_b32 s13, exec_lo
	v_cmpx_ne_u16_e32 0x80, v7
	s_cbranch_execz .LBB442_2640
; %bb.2635:                             ;   in Loop: Header=BB442_1382 Depth=1
	v_and_b32_e32 v7, 0x7f, v3
	v_mov_b32_e32 v6, 0x7f800001
	s_mov_b32 s15, exec_lo
	s_delay_alu instid0(VALU_DEP_2)
	v_cmpx_ne_u32_e32 0x7f, v7
	s_cbranch_execz .LBB442_2639
; %bb.2636:                             ;   in Loop: Header=BB442_1382 Depth=1
	v_lshrrev_b32_e32 v91, 3, v7
	v_cmp_gt_u32_e64 s0, 8, v7
	v_dual_mov_b32 v6, v9 :: v_dual_mov_b32 v7, v10
	s_delay_alu instid0(VALU_DEP_2)
	s_and_saveexec_b32 s16, s0
; %bb.2637:                             ;   in Loop: Header=BB442_1382 Depth=1
	v_and_b32_e32 v6, 7, v3
	s_delay_alu instid0(VALU_DEP_1) | instskip(NEXT) | instid1(VALU_DEP_1)
	v_clz_i32_u32_e32 v6, v6
	v_min_u32_e32 v91, 32, v6
	s_delay_alu instid0(VALU_DEP_1) | instskip(SKIP_1) | instid1(VALU_DEP_2)
	v_subrev_nc_u32_e32 v6, 28, v91
	v_sub_nc_u32_e32 v91, 29, v91
	v_lshlrev_b64 v[6:7], v6, v[9:10]
; %bb.2638:                             ;   in Loop: Header=BB442_1382 Depth=1
	s_or_b32 exec_lo, exec_lo, s16
	s_delay_alu instid0(VALU_DEP_1) | instskip(SKIP_2) | instid1(VALU_DEP_3)
	v_lshlrev_b32_e32 v6, 20, v6
	v_lshlrev_b32_e32 v7, 24, v9
	v_lshl_add_u32 v91, v91, 23, 0x3c000000
	v_and_b32_e32 v6, 0x700000, v6
	s_delay_alu instid0(VALU_DEP_3) | instskip(NEXT) | instid1(VALU_DEP_1)
	v_and_b32_e32 v7, 0x80000000, v7
	v_or3_b32 v6, v6, v7, v91
.LBB442_2639:                           ;   in Loop: Header=BB442_1382 Depth=1
	s_or_b32 exec_lo, exec_lo, s15
.LBB442_2640:                           ;   in Loop: Header=BB442_1382 Depth=1
	s_delay_alu instid0(SALU_CYCLE_1)
	s_or_b32 exec_lo, exec_lo, s13
.LBB442_2641:                           ;   in Loop: Header=BB442_1382 Depth=1
	s_delay_alu instid0(SALU_CYCLE_1) | instskip(NEXT) | instid1(VALU_DEP_1)
	s_or_b32 exec_lo, exec_lo, s12
	v_mul_f32_e32 v6, v8, v6
                                        ; implicit-def: $vgpr91
	s_delay_alu instid0(VALU_DEP_1) | instskip(NEXT) | instid1(VALU_DEP_1)
	v_and_b32_e32 v7, 0x7f800000, v6
	v_cmp_ne_u32_e64 s0, 0x7f800000, v7
	s_delay_alu instid0(VALU_DEP_1) | instskip(NEXT) | instid1(SALU_CYCLE_1)
	s_and_saveexec_b32 s12, s0
	s_xor_b32 s0, exec_lo, s12
; %bb.2642:                             ;   in Loop: Header=BB442_1382 Depth=1
	v_bfe_u32 v7, v6, 16, 1
	s_delay_alu instid0(VALU_DEP_1)
	v_add3_u32 v91, v6, v7, 0x7fff
                                        ; implicit-def: $vgpr6
; %bb.2643:                             ;   in Loop: Header=BB442_1382 Depth=1
	s_and_not1_saveexec_b32 s12, s0
; %bb.2644:                             ;   in Loop: Header=BB442_1382 Depth=1
	v_and_b32_e32 v7, 0xffff, v6
	v_or_b32_e32 v91, 0x10000, v6
	s_delay_alu instid0(VALU_DEP_2) | instskip(NEXT) | instid1(VALU_DEP_1)
	v_cmp_eq_u32_e64 s0, 0, v7
	v_cndmask_b32_e64 v91, v91, v6, s0
; %bb.2645:                             ;   in Loop: Header=BB442_1382 Depth=1
	s_or_b32 exec_lo, exec_lo, s12
	v_lshrrev_b16 v7, 8, v9
	v_mov_b32_e32 v6, 0
	s_mov_b32 s12, exec_lo
	s_delay_alu instid0(VALU_DEP_2)
	v_cmpx_ne_u16_e32 0, v7
	s_cbranch_execz .LBB442_2653
; %bb.2646:                             ;   in Loop: Header=BB442_1382 Depth=1
	v_bfrev_b32_e32 v6, 1
	s_mov_b32 s13, exec_lo
	v_cmpx_ne_u16_e32 0x80, v7
	s_cbranch_execz .LBB442_2652
; %bb.2647:                             ;   in Loop: Header=BB442_1382 Depth=1
	v_and_b32_e32 v7, 0xffff, v7
	v_mov_b32_e32 v6, 0x7f800001
	s_mov_b32 s15, exec_lo
	s_delay_alu instid0(VALU_DEP_2) | instskip(NEXT) | instid1(VALU_DEP_1)
	v_and_b32_e32 v93, 0x7f, v7
	v_cmpx_ne_u32_e32 0x7f, v93
	s_cbranch_execz .LBB442_2651
; %bb.2648:                             ;   in Loop: Header=BB442_1382 Depth=1
	v_dual_mov_b32 v7, v10 :: v_dual_and_b32 v6, 7, v7
	v_lshrrev_b32_e32 v92, 3, v93
	s_mov_b32 s16, exec_lo
	v_cmpx_gt_u32_e32 8, v93
; %bb.2649:                             ;   in Loop: Header=BB442_1382 Depth=1
	s_delay_alu instid0(VALU_DEP_3) | instskip(NEXT) | instid1(VALU_DEP_1)
	v_clz_i32_u32_e32 v92, v6
	v_min_u32_e32 v92, 32, v92
	s_delay_alu instid0(VALU_DEP_1) | instskip(SKIP_1) | instid1(VALU_DEP_2)
	v_subrev_nc_u32_e32 v93, 28, v92
	v_sub_nc_u32_e32 v92, 29, v92
	v_lshlrev_b64 v[6:7], v93, v[6:7]
	s_delay_alu instid0(VALU_DEP_1)
	v_and_b32_e32 v6, 7, v6
; %bb.2650:                             ;   in Loop: Header=BB442_1382 Depth=1
	s_or_b32 exec_lo, exec_lo, s16
	v_lshlrev_b32_e32 v7, 16, v9
	s_delay_alu instid0(VALU_DEP_2) | instskip(SKIP_1) | instid1(VALU_DEP_3)
	v_lshlrev_b32_e32 v6, 20, v6
	v_lshl_add_u32 v9, v92, 23, 0x3c000000
	v_and_b32_e32 v7, 0x80000000, v7
	s_delay_alu instid0(VALU_DEP_1)
	v_or3_b32 v6, v6, v7, v9
.LBB442_2651:                           ;   in Loop: Header=BB442_1382 Depth=1
	s_or_b32 exec_lo, exec_lo, s15
.LBB442_2652:                           ;   in Loop: Header=BB442_1382 Depth=1
	s_delay_alu instid0(SALU_CYCLE_1)
	s_or_b32 exec_lo, exec_lo, s13
.LBB442_2653:                           ;   in Loop: Header=BB442_1382 Depth=1
	s_delay_alu instid0(SALU_CYCLE_1) | instskip(NEXT) | instid1(VALU_DEP_1)
	s_or_b32 exec_lo, exec_lo, s12
	v_mul_f32_e32 v6, v8, v6
                                        ; implicit-def: $vgpr92
	s_delay_alu instid0(VALU_DEP_1) | instskip(NEXT) | instid1(VALU_DEP_1)
	v_and_b32_e32 v7, 0x7f800000, v6
	v_cmp_ne_u32_e64 s0, 0x7f800000, v7
	s_delay_alu instid0(VALU_DEP_1) | instskip(NEXT) | instid1(SALU_CYCLE_1)
	s_and_saveexec_b32 s12, s0
	s_xor_b32 s0, exec_lo, s12
; %bb.2654:                             ;   in Loop: Header=BB442_1382 Depth=1
	v_bfe_u32 v7, v6, 16, 1
	s_delay_alu instid0(VALU_DEP_1)
	v_add3_u32 v92, v6, v7, 0x7fff
                                        ; implicit-def: $vgpr6
; %bb.2655:                             ;   in Loop: Header=BB442_1382 Depth=1
	s_and_not1_saveexec_b32 s12, s0
; %bb.2656:                             ;   in Loop: Header=BB442_1382 Depth=1
	v_and_b32_e32 v7, 0xffff, v6
	v_or_b32_e32 v9, 0x10000, v6
	s_delay_alu instid0(VALU_DEP_2) | instskip(NEXT) | instid1(VALU_DEP_1)
	v_cmp_eq_u32_e64 s0, 0, v7
	v_cndmask_b32_e64 v92, v9, v6, s0
; %bb.2657:                             ;   in Loop: Header=BB442_1382 Depth=1
	s_or_b32 exec_lo, exec_lo, s12
	v_lshrrev_b32_e32 v93, 16, v3
	s_mov_b32 s12, exec_lo
	s_delay_alu instid0(VALU_DEP_1) | instskip(NEXT) | instid1(VALU_DEP_1)
	v_dual_mov_b32 v6, 0 :: v_dual_and_b32 v7, 0xff, v93
	v_cmpx_ne_u16_e32 0, v7
	s_cbranch_execz .LBB442_2665
; %bb.2658:                             ;   in Loop: Header=BB442_1382 Depth=1
	v_bfrev_b32_e32 v6, 1
	s_mov_b32 s13, exec_lo
	v_cmpx_ne_u16_e32 0x80, v7
	s_cbranch_execz .LBB442_2664
; %bb.2659:                             ;   in Loop: Header=BB442_1382 Depth=1
	v_bfe_u32 v7, v3, 16, 7
	v_mov_b32_e32 v6, 0x7f800001
	s_mov_b32 s15, exec_lo
	s_delay_alu instid0(VALU_DEP_2)
	v_cmpx_ne_u32_e32 0x7f, v7
	s_cbranch_execz .LBB442_2663
; %bb.2660:                             ;   in Loop: Header=BB442_1382 Depth=1
	v_and_b32_e32 v9, 7, v93
	v_lshrrev_b32_e32 v94, 3, v7
	v_cmp_gt_u32_e64 s0, 8, v7
	s_delay_alu instid0(VALU_DEP_3) | instskip(NEXT) | instid1(VALU_DEP_2)
	v_dual_mov_b32 v6, v9 :: v_dual_mov_b32 v7, v10
	s_and_saveexec_b32 s16, s0
; %bb.2661:                             ;   in Loop: Header=BB442_1382 Depth=1
	v_clz_i32_u32_e32 v6, v9
	s_delay_alu instid0(VALU_DEP_1) | instskip(NEXT) | instid1(VALU_DEP_1)
	v_min_u32_e32 v94, 32, v6
	v_subrev_nc_u32_e32 v6, 28, v94
	v_sub_nc_u32_e32 v94, 29, v94
	s_delay_alu instid0(VALU_DEP_2) | instskip(NEXT) | instid1(VALU_DEP_1)
	v_lshlrev_b64 v[6:7], v6, v[9:10]
	v_and_b32_e32 v6, 7, v6
; %bb.2662:                             ;   in Loop: Header=BB442_1382 Depth=1
	s_or_b32 exec_lo, exec_lo, s16
	v_lshlrev_b32_e32 v7, 24, v93
	s_delay_alu instid0(VALU_DEP_2) | instskip(SKIP_1) | instid1(VALU_DEP_3)
	v_lshlrev_b32_e32 v6, 20, v6
	v_lshl_add_u32 v9, v94, 23, 0x3c000000
	v_and_b32_e32 v7, 0x80000000, v7
	s_delay_alu instid0(VALU_DEP_1)
	v_or3_b32 v6, v6, v7, v9
.LBB442_2663:                           ;   in Loop: Header=BB442_1382 Depth=1
	s_or_b32 exec_lo, exec_lo, s15
.LBB442_2664:                           ;   in Loop: Header=BB442_1382 Depth=1
	s_delay_alu instid0(SALU_CYCLE_1)
	s_or_b32 exec_lo, exec_lo, s13
.LBB442_2665:                           ;   in Loop: Header=BB442_1382 Depth=1
	s_delay_alu instid0(SALU_CYCLE_1) | instskip(NEXT) | instid1(VALU_DEP_1)
	s_or_b32 exec_lo, exec_lo, s12
	v_mul_f32_e32 v6, v8, v6
                                        ; implicit-def: $vgpr93
	s_delay_alu instid0(VALU_DEP_1) | instskip(NEXT) | instid1(VALU_DEP_1)
	v_and_b32_e32 v7, 0x7f800000, v6
	v_cmp_ne_u32_e64 s0, 0x7f800000, v7
	s_delay_alu instid0(VALU_DEP_1) | instskip(NEXT) | instid1(SALU_CYCLE_1)
	s_and_saveexec_b32 s12, s0
	s_xor_b32 s0, exec_lo, s12
; %bb.2666:                             ;   in Loop: Header=BB442_1382 Depth=1
	v_bfe_u32 v7, v6, 16, 1
	s_delay_alu instid0(VALU_DEP_1)
	v_add3_u32 v93, v6, v7, 0x7fff
                                        ; implicit-def: $vgpr6
; %bb.2667:                             ;   in Loop: Header=BB442_1382 Depth=1
	s_and_not1_saveexec_b32 s12, s0
; %bb.2668:                             ;   in Loop: Header=BB442_1382 Depth=1
	v_and_b32_e32 v7, 0xffff, v6
	v_or_b32_e32 v9, 0x10000, v6
	s_delay_alu instid0(VALU_DEP_2) | instskip(NEXT) | instid1(VALU_DEP_1)
	v_cmp_eq_u32_e64 s0, 0, v7
	v_cndmask_b32_e64 v93, v9, v6, s0
; %bb.2669:                             ;   in Loop: Header=BB442_1382 Depth=1
	s_or_b32 exec_lo, exec_lo, s12
	v_cmp_lt_u64_e64 s0, s[8:9], v[2:3]
	v_mov_b32_e32 v2, 0
	s_delay_alu instid0(VALU_DEP_2)
	s_and_saveexec_b32 s12, s0
	s_cbranch_execz .LBB442_2677
; %bb.2670:                             ;   in Loop: Header=BB442_1382 Depth=1
	v_lshrrev_b32_e32 v6, 24, v3
	v_bfrev_b32_e32 v2, 1
	s_mov_b32 s13, exec_lo
	s_delay_alu instid0(VALU_DEP_2)
	v_cmpx_ne_u32_e32 0x80, v6
	s_cbranch_execz .LBB442_2676
; %bb.2671:                             ;   in Loop: Header=BB442_1382 Depth=1
	v_bfe_u32 v3, v3, 24, 7
	v_mov_b32_e32 v2, 0x7f800001
	s_mov_b32 s15, exec_lo
	s_delay_alu instid0(VALU_DEP_2)
	v_cmpx_ne_u32_e32 0x7f, v3
	s_cbranch_execz .LBB442_2675
; %bb.2672:                             ;   in Loop: Header=BB442_1382 Depth=1
	v_and_b32_e32 v9, 7, v6
	v_lshrrev_b32_e32 v7, 3, v3
	v_cmp_gt_u32_e64 s0, 8, v3
	s_delay_alu instid0(VALU_DEP_3) | instskip(NEXT) | instid1(VALU_DEP_2)
	v_dual_mov_b32 v2, v9 :: v_dual_mov_b32 v3, v10
	s_and_saveexec_b32 s16, s0
; %bb.2673:                             ;   in Loop: Header=BB442_1382 Depth=1
	v_clz_i32_u32_e32 v2, v9
	s_delay_alu instid0(VALU_DEP_1) | instskip(NEXT) | instid1(VALU_DEP_1)
	v_min_u32_e32 v7, 32, v2
	v_subrev_nc_u32_e32 v2, 28, v7
	v_sub_nc_u32_e32 v7, 29, v7
	s_delay_alu instid0(VALU_DEP_2) | instskip(NEXT) | instid1(VALU_DEP_1)
	v_lshlrev_b64 v[2:3], v2, v[9:10]
	v_and_b32_e32 v2, 7, v2
; %bb.2674:                             ;   in Loop: Header=BB442_1382 Depth=1
	s_or_b32 exec_lo, exec_lo, s16
	v_lshlrev_b32_e32 v3, 24, v6
	s_delay_alu instid0(VALU_DEP_2) | instskip(SKIP_1) | instid1(VALU_DEP_3)
	v_lshlrev_b32_e32 v2, 20, v2
	v_lshl_add_u32 v6, v7, 23, 0x3c000000
	v_and_b32_e32 v3, 0x80000000, v3
	s_delay_alu instid0(VALU_DEP_1)
	v_or3_b32 v2, v2, v3, v6
.LBB442_2675:                           ;   in Loop: Header=BB442_1382 Depth=1
	s_or_b32 exec_lo, exec_lo, s15
.LBB442_2676:                           ;   in Loop: Header=BB442_1382 Depth=1
	s_delay_alu instid0(SALU_CYCLE_1)
	s_or_b32 exec_lo, exec_lo, s13
.LBB442_2677:                           ;   in Loop: Header=BB442_1382 Depth=1
	s_delay_alu instid0(SALU_CYCLE_1) | instskip(NEXT) | instid1(VALU_DEP_1)
	s_or_b32 exec_lo, exec_lo, s12
	v_mul_f32_e32 v3, v8, v2
	s_delay_alu instid0(VALU_DEP_1) | instskip(NEXT) | instid1(VALU_DEP_1)
	v_and_b32_e32 v2, 0x7f800000, v3
	v_cmp_ne_u32_e64 s0, 0x7f800000, v2
                                        ; implicit-def: $vgpr2
	s_delay_alu instid0(VALU_DEP_1) | instskip(NEXT) | instid1(SALU_CYCLE_1)
	s_and_saveexec_b32 s12, s0
	s_xor_b32 s0, exec_lo, s12
; %bb.2678:                             ;   in Loop: Header=BB442_1382 Depth=1
	v_bfe_u32 v2, v3, 16, 1
	s_delay_alu instid0(VALU_DEP_1)
	v_add3_u32 v2, v3, v2, 0x7fff
                                        ; implicit-def: $vgpr3
; %bb.2679:                             ;   in Loop: Header=BB442_1382 Depth=1
	s_and_not1_saveexec_b32 s12, s0
; %bb.2680:                             ;   in Loop: Header=BB442_1382 Depth=1
	v_and_b32_e32 v2, 0xffff, v3
	v_or_b32_e32 v6, 0x10000, v3
	s_delay_alu instid0(VALU_DEP_2) | instskip(NEXT) | instid1(VALU_DEP_1)
	v_cmp_eq_u32_e64 s0, 0, v2
	v_cndmask_b32_e64 v2, v6, v3, s0
; %bb.2681:                             ;   in Loop: Header=BB442_1382 Depth=1
	s_or_b32 exec_lo, exec_lo, s12
	v_lshrrev_b32_e32 v6, 16, v92
	v_lshrrev_b32_e32 v7, 16, v91
	;; [unrolled: 1-line block ×8, first 2 shown]
	s_and_saveexec_b32 s12, vcc_lo
	s_cbranch_execz .LBB442_2683
; %bb.2682:                             ;   in Loop: Header=BB442_1382 Depth=1
	v_cmp_lt_i32_e64 s0, v84, v38
	s_delay_alu instid0(VALU_DEP_1) | instskip(SKIP_1) | instid1(VALU_DEP_1)
	v_cndmask_b32_e64 v79, 0, v79, s0
	v_cmp_lt_i32_e64 s0, v99, v38
	v_cndmask_b32_e64 v88, 0, v88, s0
	v_cmp_lt_i32_e64 s0, v98, v38
	s_delay_alu instid0(VALU_DEP_1) | instskip(SKIP_1) | instid1(VALU_DEP_1)
	v_cndmask_b32_e64 v89, 0, v89, s0
	v_cmp_lt_i32_e64 s0, v97, v38
	v_cndmask_b32_e64 v9, 0, v9, s0
	;; [unrolled: 5-line block ×4, first 2 shown]
.LBB442_2683:                           ;   in Loop: Header=BB442_1382 Depth=1
	s_or_b32 exec_lo, exec_lo, s12
	v_lshlrev_b32_e32 v79, 16, v79
	s_delay_alu instid0(VALU_DEP_1) | instskip(NEXT) | instid1(VALU_DEP_1)
	v_mul_f32_e32 v90, v100, v79
	v_and_b32_e32 v79, 0x7f800000, v90
	s_delay_alu instid0(VALU_DEP_1) | instskip(NEXT) | instid1(VALU_DEP_1)
	v_cmp_ne_u32_e64 s0, 0x7f800000, v79
                                        ; implicit-def: $vgpr79
	s_and_saveexec_b32 s12, s0
	s_delay_alu instid0(SALU_CYCLE_1)
	s_xor_b32 s0, exec_lo, s12
; %bb.2684:                             ;   in Loop: Header=BB442_1382 Depth=1
	v_bfe_u32 v79, v90, 16, 1
	s_delay_alu instid0(VALU_DEP_1)
	v_add3_u32 v79, v90, v79, 0x7fff
                                        ; implicit-def: $vgpr90
; %bb.2685:                             ;   in Loop: Header=BB442_1382 Depth=1
	s_and_not1_saveexec_b32 s12, s0
; %bb.2686:                             ;   in Loop: Header=BB442_1382 Depth=1
	v_and_b32_e32 v79, 0xffff, v90
	v_or_b32_e32 v91, 0x10000, v90
	s_delay_alu instid0(VALU_DEP_2) | instskip(NEXT) | instid1(VALU_DEP_1)
	v_cmp_eq_u32_e64 s0, 0, v79
	v_cndmask_b32_e64 v79, v91, v90, s0
; %bb.2687:                             ;   in Loop: Header=BB442_1382 Depth=1
	s_or_b32 exec_lo, exec_lo, s12
	v_lshlrev_b32_e32 v88, 16, v88
	s_delay_alu instid0(VALU_DEP_1) | instskip(NEXT) | instid1(VALU_DEP_1)
	v_mul_f32_e32 v90, v101, v88
	v_and_b32_e32 v88, 0x7f800000, v90
	s_delay_alu instid0(VALU_DEP_1) | instskip(NEXT) | instid1(VALU_DEP_1)
	v_cmp_ne_u32_e64 s0, 0x7f800000, v88
                                        ; implicit-def: $vgpr88
	s_and_saveexec_b32 s12, s0
	s_delay_alu instid0(SALU_CYCLE_1)
	s_xor_b32 s0, exec_lo, s12
; %bb.2688:                             ;   in Loop: Header=BB442_1382 Depth=1
	v_bfe_u32 v88, v90, 16, 1
	s_delay_alu instid0(VALU_DEP_1)
	v_add3_u32 v88, v90, v88, 0x7fff
                                        ; implicit-def: $vgpr90
; %bb.2689:                             ;   in Loop: Header=BB442_1382 Depth=1
	s_and_not1_saveexec_b32 s12, s0
; %bb.2690:                             ;   in Loop: Header=BB442_1382 Depth=1
	v_and_b32_e32 v88, 0xffff, v90
	v_or_b32_e32 v91, 0x10000, v90
	s_delay_alu instid0(VALU_DEP_2) | instskip(NEXT) | instid1(VALU_DEP_1)
	v_cmp_eq_u32_e64 s0, 0, v88
	v_cndmask_b32_e64 v88, v91, v90, s0
; %bb.2691:                             ;   in Loop: Header=BB442_1382 Depth=1
	s_or_b32 exec_lo, exec_lo, s12
	v_lshlrev_b32_e32 v89, 16, v89
	s_delay_alu instid0(VALU_DEP_1) | instskip(NEXT) | instid1(VALU_DEP_1)
	v_mul_f32_e32 v90, v102, v89
	v_and_b32_e32 v89, 0x7f800000, v90
	s_delay_alu instid0(VALU_DEP_1) | instskip(NEXT) | instid1(VALU_DEP_1)
	v_cmp_ne_u32_e64 s0, 0x7f800000, v89
                                        ; implicit-def: $vgpr89
	s_and_saveexec_b32 s12, s0
	s_delay_alu instid0(SALU_CYCLE_1)
	s_xor_b32 s0, exec_lo, s12
; %bb.2692:                             ;   in Loop: Header=BB442_1382 Depth=1
	v_bfe_u32 v89, v90, 16, 1
	s_delay_alu instid0(VALU_DEP_1)
	v_add3_u32 v89, v90, v89, 0x7fff
                                        ; implicit-def: $vgpr90
; %bb.2693:                             ;   in Loop: Header=BB442_1382 Depth=1
	s_and_not1_saveexec_b32 s12, s0
; %bb.2694:                             ;   in Loop: Header=BB442_1382 Depth=1
	v_and_b32_e32 v89, 0xffff, v90
	v_or_b32_e32 v91, 0x10000, v90
	s_delay_alu instid0(VALU_DEP_2) | instskip(NEXT) | instid1(VALU_DEP_1)
	v_cmp_eq_u32_e64 s0, 0, v89
	v_cndmask_b32_e64 v89, v91, v90, s0
; %bb.2695:                             ;   in Loop: Header=BB442_1382 Depth=1
	s_or_b32 exec_lo, exec_lo, s12
	v_lshlrev_b32_e32 v9, 16, v9
	s_delay_alu instid0(VALU_DEP_1) | instskip(NEXT) | instid1(VALU_DEP_1)
	v_mul_f32_e32 v9, v103, v9
	v_and_b32_e32 v90, 0x7f800000, v9
	s_delay_alu instid0(VALU_DEP_1) | instskip(NEXT) | instid1(VALU_DEP_1)
	v_cmp_ne_u32_e64 s0, 0x7f800000, v90
                                        ; implicit-def: $vgpr90
	s_and_saveexec_b32 s12, s0
	s_delay_alu instid0(SALU_CYCLE_1)
	s_xor_b32 s0, exec_lo, s12
; %bb.2696:                             ;   in Loop: Header=BB442_1382 Depth=1
	v_bfe_u32 v90, v9, 16, 1
	s_delay_alu instid0(VALU_DEP_1)
	v_add3_u32 v90, v9, v90, 0x7fff
                                        ; implicit-def: $vgpr9
; %bb.2697:                             ;   in Loop: Header=BB442_1382 Depth=1
	s_and_not1_saveexec_b32 s12, s0
; %bb.2698:                             ;   in Loop: Header=BB442_1382 Depth=1
	v_and_b32_e32 v90, 0xffff, v9
	v_or_b32_e32 v91, 0x10000, v9
	s_delay_alu instid0(VALU_DEP_2) | instskip(NEXT) | instid1(VALU_DEP_1)
	v_cmp_eq_u32_e64 s0, 0, v90
	v_cndmask_b32_e64 v90, v91, v9, s0
; %bb.2699:                             ;   in Loop: Header=BB442_1382 Depth=1
	s_or_b32 exec_lo, exec_lo, s12
	v_lshlrev_b32_e32 v7, 16, v7
                                        ; implicit-def: $vgpr91
	s_delay_alu instid0(VALU_DEP_1) | instskip(NEXT) | instid1(VALU_DEP_1)
	v_mul_f32_e32 v7, v112, v7
	v_and_b32_e32 v9, 0x7f800000, v7
	s_delay_alu instid0(VALU_DEP_1) | instskip(NEXT) | instid1(VALU_DEP_1)
	v_cmp_ne_u32_e64 s0, 0x7f800000, v9
	s_and_saveexec_b32 s12, s0
	s_delay_alu instid0(SALU_CYCLE_1)
	s_xor_b32 s0, exec_lo, s12
; %bb.2700:                             ;   in Loop: Header=BB442_1382 Depth=1
	v_bfe_u32 v9, v7, 16, 1
	s_delay_alu instid0(VALU_DEP_1)
	v_add3_u32 v91, v7, v9, 0x7fff
                                        ; implicit-def: $vgpr7
; %bb.2701:                             ;   in Loop: Header=BB442_1382 Depth=1
	s_and_not1_saveexec_b32 s12, s0
; %bb.2702:                             ;   in Loop: Header=BB442_1382 Depth=1
	v_and_b32_e32 v9, 0xffff, v7
	v_or_b32_e32 v91, 0x10000, v7
	s_delay_alu instid0(VALU_DEP_2) | instskip(NEXT) | instid1(VALU_DEP_1)
	v_cmp_eq_u32_e64 s0, 0, v9
	v_cndmask_b32_e64 v91, v91, v7, s0
; %bb.2703:                             ;   in Loop: Header=BB442_1382 Depth=1
	s_or_b32 exec_lo, exec_lo, s12
	v_lshlrev_b32_e32 v6, 16, v6
                                        ; implicit-def: $vgpr92
	s_delay_alu instid0(VALU_DEP_1) | instskip(NEXT) | instid1(VALU_DEP_1)
	v_mul_f32_e32 v6, v113, v6
	v_and_b32_e32 v7, 0x7f800000, v6
	s_delay_alu instid0(VALU_DEP_1) | instskip(NEXT) | instid1(VALU_DEP_1)
	v_cmp_ne_u32_e64 s0, 0x7f800000, v7
	s_and_saveexec_b32 s12, s0
	s_delay_alu instid0(SALU_CYCLE_1)
	s_xor_b32 s0, exec_lo, s12
; %bb.2704:                             ;   in Loop: Header=BB442_1382 Depth=1
	v_bfe_u32 v7, v6, 16, 1
	s_delay_alu instid0(VALU_DEP_1)
	v_add3_u32 v92, v6, v7, 0x7fff
                                        ; implicit-def: $vgpr6
; %bb.2705:                             ;   in Loop: Header=BB442_1382 Depth=1
	s_and_not1_saveexec_b32 s12, s0
; %bb.2706:                             ;   in Loop: Header=BB442_1382 Depth=1
	v_and_b32_e32 v7, 0xffff, v6
	v_or_b32_e32 v9, 0x10000, v6
	s_delay_alu instid0(VALU_DEP_2) | instskip(NEXT) | instid1(VALU_DEP_1)
	v_cmp_eq_u32_e64 s0, 0, v7
	v_cndmask_b32_e64 v92, v9, v6, s0
; %bb.2707:                             ;   in Loop: Header=BB442_1382 Depth=1
	s_or_b32 exec_lo, exec_lo, s12
	v_lshlrev_b32_e32 v3, 16, v3
                                        ; implicit-def: $vgpr93
	s_delay_alu instid0(VALU_DEP_1) | instskip(NEXT) | instid1(VALU_DEP_1)
	v_mul_f32_e32 v3, v114, v3
	v_and_b32_e32 v6, 0x7f800000, v3
	s_delay_alu instid0(VALU_DEP_1) | instskip(NEXT) | instid1(VALU_DEP_1)
	v_cmp_ne_u32_e64 s0, 0x7f800000, v6
	s_and_saveexec_b32 s12, s0
	s_delay_alu instid0(SALU_CYCLE_1)
	s_xor_b32 s0, exec_lo, s12
; %bb.2708:                             ;   in Loop: Header=BB442_1382 Depth=1
	v_bfe_u32 v6, v3, 16, 1
	s_delay_alu instid0(VALU_DEP_1)
	v_add3_u32 v93, v3, v6, 0x7fff
                                        ; implicit-def: $vgpr3
; %bb.2709:                             ;   in Loop: Header=BB442_1382 Depth=1
	s_and_not1_saveexec_b32 s12, s0
; %bb.2710:                             ;   in Loop: Header=BB442_1382 Depth=1
	v_and_b32_e32 v6, 0xffff, v3
	v_or_b32_e32 v7, 0x10000, v3
	s_delay_alu instid0(VALU_DEP_2) | instskip(NEXT) | instid1(VALU_DEP_1)
	v_cmp_eq_u32_e64 s0, 0, v6
	v_cndmask_b32_e64 v93, v7, v3, s0
; %bb.2711:                             ;   in Loop: Header=BB442_1382 Depth=1
	s_or_b32 exec_lo, exec_lo, s12
	v_lshlrev_b32_e32 v2, 16, v2
                                        ; implicit-def: $vgpr94
	s_delay_alu instid0(VALU_DEP_1) | instskip(NEXT) | instid1(VALU_DEP_1)
	v_mul_f32_e32 v2, v115, v2
	v_and_b32_e32 v3, 0x7f800000, v2
	s_delay_alu instid0(VALU_DEP_1) | instskip(NEXT) | instid1(VALU_DEP_1)
	v_cmp_ne_u32_e64 s0, 0x7f800000, v3
	s_and_saveexec_b32 s12, s0
	s_delay_alu instid0(SALU_CYCLE_1)
	s_xor_b32 s0, exec_lo, s12
; %bb.2712:                             ;   in Loop: Header=BB442_1382 Depth=1
	v_bfe_u32 v3, v2, 16, 1
	s_delay_alu instid0(VALU_DEP_1)
	v_add3_u32 v94, v2, v3, 0x7fff
                                        ; implicit-def: $vgpr2
; %bb.2713:                             ;   in Loop: Header=BB442_1382 Depth=1
	s_and_not1_saveexec_b32 s12, s0
; %bb.2714:                             ;   in Loop: Header=BB442_1382 Depth=1
	v_and_b32_e32 v3, 0xffff, v2
	v_or_b32_e32 v6, 0x10000, v2
	s_delay_alu instid0(VALU_DEP_2) | instskip(NEXT) | instid1(VALU_DEP_1)
	v_cmp_eq_u32_e64 s0, 0, v3
	v_cndmask_b32_e64 v94, v6, v2, s0
; %bb.2715:                             ;   in Loop: Header=BB442_1382 Depth=1
	s_or_b32 exec_lo, exec_lo, s12
	flat_load_b64 v[2:3], v[0:1] offset:2560
	s_mov_b32 s12, exec_lo
	s_waitcnt vmcnt(0) lgkmcnt(0)
	v_dual_mov_b32 v6, 0 :: v_dual_and_b32 v7, 0xff, v2
	s_delay_alu instid0(VALU_DEP_1)
	v_cmpx_ne_u16_e32 0, v7
	s_cbranch_execz .LBB442_2723
; %bb.2716:                             ;   in Loop: Header=BB442_1382 Depth=1
	v_bfrev_b32_e32 v6, 1
	s_mov_b32 s13, exec_lo
	v_cmpx_ne_u16_e32 0x80, v7
	s_cbranch_execz .LBB442_2722
; %bb.2717:                             ;   in Loop: Header=BB442_1382 Depth=1
	v_and_b32_e32 v7, 0x7f, v2
	v_mov_b32_e32 v6, 0x7f800001
	s_mov_b32 s15, exec_lo
	s_delay_alu instid0(VALU_DEP_2)
	v_cmpx_ne_u32_e32 0x7f, v7
	s_cbranch_execz .LBB442_2721
; %bb.2718:                             ;   in Loop: Header=BB442_1382 Depth=1
	v_lshrrev_b32_e32 v9, 3, v7
	v_cmp_gt_u32_e64 s0, 8, v7
	v_dual_mov_b32 v7, v3 :: v_dual_mov_b32 v6, v2
	s_delay_alu instid0(VALU_DEP_2)
	s_and_saveexec_b32 s16, s0
; %bb.2719:                             ;   in Loop: Header=BB442_1382 Depth=1
	v_and_b32_e32 v6, 7, v2
	s_delay_alu instid0(VALU_DEP_1) | instskip(NEXT) | instid1(VALU_DEP_1)
	v_clz_i32_u32_e32 v6, v6
	v_min_u32_e32 v9, 32, v6
	s_delay_alu instid0(VALU_DEP_1) | instskip(SKIP_1) | instid1(VALU_DEP_2)
	v_subrev_nc_u32_e32 v6, 28, v9
	v_sub_nc_u32_e32 v9, 29, v9
	v_lshlrev_b64 v[6:7], v6, v[2:3]
; %bb.2720:                             ;   in Loop: Header=BB442_1382 Depth=1
	s_or_b32 exec_lo, exec_lo, s16
	s_delay_alu instid0(VALU_DEP_1) | instskip(SKIP_2) | instid1(VALU_DEP_3)
	v_lshlrev_b32_e32 v6, 20, v6
	v_lshlrev_b32_e32 v7, 24, v2
	v_lshl_add_u32 v9, v9, 23, 0x3c000000
	v_and_b32_e32 v6, 0x700000, v6
	s_delay_alu instid0(VALU_DEP_3) | instskip(NEXT) | instid1(VALU_DEP_1)
	v_and_b32_e32 v7, 0x80000000, v7
	v_or3_b32 v6, v6, v7, v9
.LBB442_2721:                           ;   in Loop: Header=BB442_1382 Depth=1
	s_or_b32 exec_lo, exec_lo, s15
.LBB442_2722:                           ;   in Loop: Header=BB442_1382 Depth=1
	s_delay_alu instid0(SALU_CYCLE_1)
	s_or_b32 exec_lo, exec_lo, s13
.LBB442_2723:                           ;   in Loop: Header=BB442_1382 Depth=1
	s_delay_alu instid0(SALU_CYCLE_1) | instskip(NEXT) | instid1(VALU_DEP_1)
	s_or_b32 exec_lo, exec_lo, s12
	v_mul_f32_e32 v6, v8, v6
                                        ; implicit-def: $vgpr95
	s_delay_alu instid0(VALU_DEP_1) | instskip(NEXT) | instid1(VALU_DEP_1)
	v_and_b32_e32 v7, 0x7f800000, v6
	v_cmp_ne_u32_e64 s0, 0x7f800000, v7
	s_delay_alu instid0(VALU_DEP_1) | instskip(NEXT) | instid1(SALU_CYCLE_1)
	s_and_saveexec_b32 s12, s0
	s_xor_b32 s0, exec_lo, s12
; %bb.2724:                             ;   in Loop: Header=BB442_1382 Depth=1
	v_bfe_u32 v7, v6, 16, 1
	s_delay_alu instid0(VALU_DEP_1)
	v_add3_u32 v95, v6, v7, 0x7fff
                                        ; implicit-def: $vgpr6
; %bb.2725:                             ;   in Loop: Header=BB442_1382 Depth=1
	s_and_not1_saveexec_b32 s12, s0
; %bb.2726:                             ;   in Loop: Header=BB442_1382 Depth=1
	v_and_b32_e32 v7, 0xffff, v6
	v_or_b32_e32 v9, 0x10000, v6
	s_delay_alu instid0(VALU_DEP_2) | instskip(NEXT) | instid1(VALU_DEP_1)
	v_cmp_eq_u32_e64 s0, 0, v7
	v_cndmask_b32_e64 v95, v9, v6, s0
; %bb.2727:                             ;   in Loop: Header=BB442_1382 Depth=1
	s_or_b32 exec_lo, exec_lo, s12
	v_lshrrev_b16 v7, 8, v2
	v_mov_b32_e32 v6, 0
	s_mov_b32 s12, exec_lo
	s_delay_alu instid0(VALU_DEP_2)
	v_cmpx_ne_u16_e32 0, v7
	s_cbranch_execz .LBB442_2735
; %bb.2728:                             ;   in Loop: Header=BB442_1382 Depth=1
	v_bfrev_b32_e32 v6, 1
	s_mov_b32 s13, exec_lo
	v_cmpx_ne_u16_e32 0x80, v7
	s_cbranch_execz .LBB442_2734
; %bb.2729:                             ;   in Loop: Header=BB442_1382 Depth=1
	v_and_b32_e32 v9, 0xffff, v7
	v_mov_b32_e32 v6, 0x7f800001
	s_mov_b32 s15, exec_lo
	s_delay_alu instid0(VALU_DEP_2) | instskip(NEXT) | instid1(VALU_DEP_1)
	v_and_b32_e32 v7, 0x7f, v9
	v_cmpx_ne_u32_e32 0x7f, v7
	s_cbranch_execz .LBB442_2733
; %bb.2730:                             ;   in Loop: Header=BB442_1382 Depth=1
	v_and_b32_e32 v9, 7, v9
	v_lshrrev_b32_e32 v104, 3, v7
	v_cmp_gt_u32_e64 s0, 8, v7
	s_delay_alu instid0(VALU_DEP_3) | instskip(NEXT) | instid1(VALU_DEP_2)
	v_dual_mov_b32 v6, v9 :: v_dual_mov_b32 v7, v10
	s_and_saveexec_b32 s16, s0
; %bb.2731:                             ;   in Loop: Header=BB442_1382 Depth=1
	v_clz_i32_u32_e32 v6, v9
	s_delay_alu instid0(VALU_DEP_1) | instskip(NEXT) | instid1(VALU_DEP_1)
	v_min_u32_e32 v104, 32, v6
	v_subrev_nc_u32_e32 v6, 28, v104
	v_sub_nc_u32_e32 v104, 29, v104
	s_delay_alu instid0(VALU_DEP_2) | instskip(NEXT) | instid1(VALU_DEP_1)
	v_lshlrev_b64 v[6:7], v6, v[9:10]
	v_and_b32_e32 v6, 7, v6
; %bb.2732:                             ;   in Loop: Header=BB442_1382 Depth=1
	s_or_b32 exec_lo, exec_lo, s16
	v_lshlrev_b32_e32 v7, 16, v2
	s_delay_alu instid0(VALU_DEP_2) | instskip(SKIP_1) | instid1(VALU_DEP_3)
	v_lshlrev_b32_e32 v6, 20, v6
	v_lshl_add_u32 v9, v104, 23, 0x3c000000
	v_and_b32_e32 v7, 0x80000000, v7
	s_delay_alu instid0(VALU_DEP_1)
	v_or3_b32 v6, v6, v7, v9
.LBB442_2733:                           ;   in Loop: Header=BB442_1382 Depth=1
	s_or_b32 exec_lo, exec_lo, s15
.LBB442_2734:                           ;   in Loop: Header=BB442_1382 Depth=1
	s_delay_alu instid0(SALU_CYCLE_1)
	s_or_b32 exec_lo, exec_lo, s13
.LBB442_2735:                           ;   in Loop: Header=BB442_1382 Depth=1
	s_delay_alu instid0(SALU_CYCLE_1) | instskip(NEXT) | instid1(VALU_DEP_1)
	s_or_b32 exec_lo, exec_lo, s12
	v_mul_f32_e32 v6, v8, v6
                                        ; implicit-def: $vgpr104
	s_delay_alu instid0(VALU_DEP_1) | instskip(NEXT) | instid1(VALU_DEP_1)
	v_and_b32_e32 v7, 0x7f800000, v6
	v_cmp_ne_u32_e64 s0, 0x7f800000, v7
	s_delay_alu instid0(VALU_DEP_1) | instskip(NEXT) | instid1(SALU_CYCLE_1)
	s_and_saveexec_b32 s12, s0
	s_xor_b32 s0, exec_lo, s12
; %bb.2736:                             ;   in Loop: Header=BB442_1382 Depth=1
	v_bfe_u32 v7, v6, 16, 1
	s_delay_alu instid0(VALU_DEP_1)
	v_add3_u32 v104, v6, v7, 0x7fff
                                        ; implicit-def: $vgpr6
; %bb.2737:                             ;   in Loop: Header=BB442_1382 Depth=1
	s_and_not1_saveexec_b32 s12, s0
; %bb.2738:                             ;   in Loop: Header=BB442_1382 Depth=1
	v_and_b32_e32 v7, 0xffff, v6
	v_or_b32_e32 v9, 0x10000, v6
	s_delay_alu instid0(VALU_DEP_2) | instskip(NEXT) | instid1(VALU_DEP_1)
	v_cmp_eq_u32_e64 s0, 0, v7
	v_cndmask_b32_e64 v104, v9, v6, s0
; %bb.2739:                             ;   in Loop: Header=BB442_1382 Depth=1
	s_or_b32 exec_lo, exec_lo, s12
	v_lshrrev_b32_e32 v105, 16, v2
	s_mov_b32 s12, exec_lo
	s_delay_alu instid0(VALU_DEP_1) | instskip(NEXT) | instid1(VALU_DEP_1)
	v_dual_mov_b32 v6, 0 :: v_dual_and_b32 v7, 0xff, v105
	v_cmpx_ne_u16_e32 0, v7
	s_cbranch_execz .LBB442_2747
; %bb.2740:                             ;   in Loop: Header=BB442_1382 Depth=1
	v_bfrev_b32_e32 v6, 1
	s_mov_b32 s13, exec_lo
	v_cmpx_ne_u16_e32 0x80, v7
	s_cbranch_execz .LBB442_2746
; %bb.2741:                             ;   in Loop: Header=BB442_1382 Depth=1
	v_bfe_u32 v7, v2, 16, 7
	v_mov_b32_e32 v6, 0x7f800001
	s_mov_b32 s15, exec_lo
	s_delay_alu instid0(VALU_DEP_2)
	v_cmpx_ne_u32_e32 0x7f, v7
	s_cbranch_execz .LBB442_2745
; %bb.2742:                             ;   in Loop: Header=BB442_1382 Depth=1
	v_and_b32_e32 v9, 7, v105
	v_lshrrev_b32_e32 v106, 3, v7
	v_cmp_gt_u32_e64 s0, 8, v7
	s_delay_alu instid0(VALU_DEP_3) | instskip(NEXT) | instid1(VALU_DEP_2)
	v_dual_mov_b32 v6, v9 :: v_dual_mov_b32 v7, v10
	s_and_saveexec_b32 s16, s0
; %bb.2743:                             ;   in Loop: Header=BB442_1382 Depth=1
	v_clz_i32_u32_e32 v6, v9
	s_delay_alu instid0(VALU_DEP_1) | instskip(NEXT) | instid1(VALU_DEP_1)
	v_min_u32_e32 v106, 32, v6
	v_subrev_nc_u32_e32 v6, 28, v106
	v_sub_nc_u32_e32 v106, 29, v106
	s_delay_alu instid0(VALU_DEP_2) | instskip(NEXT) | instid1(VALU_DEP_1)
	v_lshlrev_b64 v[6:7], v6, v[9:10]
	v_and_b32_e32 v6, 7, v6
; %bb.2744:                             ;   in Loop: Header=BB442_1382 Depth=1
	s_or_b32 exec_lo, exec_lo, s16
	v_lshlrev_b32_e32 v7, 24, v105
	s_delay_alu instid0(VALU_DEP_2) | instskip(SKIP_1) | instid1(VALU_DEP_3)
	v_lshlrev_b32_e32 v6, 20, v6
	v_lshl_add_u32 v9, v106, 23, 0x3c000000
	v_and_b32_e32 v7, 0x80000000, v7
	s_delay_alu instid0(VALU_DEP_1)
	v_or3_b32 v6, v6, v7, v9
.LBB442_2745:                           ;   in Loop: Header=BB442_1382 Depth=1
	s_or_b32 exec_lo, exec_lo, s15
.LBB442_2746:                           ;   in Loop: Header=BB442_1382 Depth=1
	s_delay_alu instid0(SALU_CYCLE_1)
	s_or_b32 exec_lo, exec_lo, s13
.LBB442_2747:                           ;   in Loop: Header=BB442_1382 Depth=1
	s_delay_alu instid0(SALU_CYCLE_1) | instskip(NEXT) | instid1(VALU_DEP_1)
	s_or_b32 exec_lo, exec_lo, s12
	v_mul_f32_e32 v6, v8, v6
                                        ; implicit-def: $vgpr105
	s_delay_alu instid0(VALU_DEP_1) | instskip(NEXT) | instid1(VALU_DEP_1)
	v_and_b32_e32 v7, 0x7f800000, v6
	v_cmp_ne_u32_e64 s0, 0x7f800000, v7
	s_delay_alu instid0(VALU_DEP_1) | instskip(NEXT) | instid1(SALU_CYCLE_1)
	s_and_saveexec_b32 s12, s0
	s_xor_b32 s0, exec_lo, s12
; %bb.2748:                             ;   in Loop: Header=BB442_1382 Depth=1
	v_bfe_u32 v7, v6, 16, 1
	s_delay_alu instid0(VALU_DEP_1)
	v_add3_u32 v105, v6, v7, 0x7fff
                                        ; implicit-def: $vgpr6
; %bb.2749:                             ;   in Loop: Header=BB442_1382 Depth=1
	s_and_not1_saveexec_b32 s12, s0
; %bb.2750:                             ;   in Loop: Header=BB442_1382 Depth=1
	v_and_b32_e32 v7, 0xffff, v6
	v_or_b32_e32 v9, 0x10000, v6
	s_delay_alu instid0(VALU_DEP_2) | instskip(NEXT) | instid1(VALU_DEP_1)
	v_cmp_eq_u32_e64 s0, 0, v7
	v_cndmask_b32_e64 v105, v9, v6, s0
; %bb.2751:                             ;   in Loop: Header=BB442_1382 Depth=1
	s_or_b32 exec_lo, exec_lo, s12
	v_mov_b32_e32 v6, 0
	s_mov_b32 s12, exec_lo
	v_cmpx_lt_u32_e32 0xffffff, v2
	s_cbranch_execz .LBB442_2759
; %bb.2752:                             ;   in Loop: Header=BB442_1382 Depth=1
	v_lshrrev_b32_e32 v106, 24, v2
	v_bfrev_b32_e32 v6, 1
	s_mov_b32 s13, exec_lo
	s_delay_alu instid0(VALU_DEP_2)
	v_cmpx_ne_u32_e32 0x80, v106
	s_cbranch_execz .LBB442_2758
; %bb.2753:                             ;   in Loop: Header=BB442_1382 Depth=1
	v_bfe_u32 v7, v2, 24, 7
	v_mov_b32_e32 v6, 0x7f800001
	s_mov_b32 s15, exec_lo
	s_delay_alu instid0(VALU_DEP_2)
	v_cmpx_ne_u32_e32 0x7f, v7
	s_cbranch_execz .LBB442_2757
; %bb.2754:                             ;   in Loop: Header=BB442_1382 Depth=1
	v_and_b32_e32 v9, 7, v106
	v_lshrrev_b32_e32 v107, 3, v7
	v_cmp_gt_u32_e64 s0, 8, v7
	s_delay_alu instid0(VALU_DEP_3) | instskip(NEXT) | instid1(VALU_DEP_2)
	v_dual_mov_b32 v6, v9 :: v_dual_mov_b32 v7, v10
	s_and_saveexec_b32 s16, s0
; %bb.2755:                             ;   in Loop: Header=BB442_1382 Depth=1
	v_clz_i32_u32_e32 v6, v9
	s_delay_alu instid0(VALU_DEP_1) | instskip(NEXT) | instid1(VALU_DEP_1)
	v_min_u32_e32 v107, 32, v6
	v_subrev_nc_u32_e32 v6, 28, v107
	v_sub_nc_u32_e32 v107, 29, v107
	s_delay_alu instid0(VALU_DEP_2) | instskip(NEXT) | instid1(VALU_DEP_1)
	v_lshlrev_b64 v[6:7], v6, v[9:10]
	v_and_b32_e32 v6, 7, v6
; %bb.2756:                             ;   in Loop: Header=BB442_1382 Depth=1
	s_or_b32 exec_lo, exec_lo, s16
	v_lshlrev_b32_e32 v7, 24, v106
	s_delay_alu instid0(VALU_DEP_2) | instskip(SKIP_1) | instid1(VALU_DEP_3)
	v_lshlrev_b32_e32 v6, 20, v6
	v_lshl_add_u32 v9, v107, 23, 0x3c000000
	v_and_b32_e32 v7, 0x80000000, v7
	s_delay_alu instid0(VALU_DEP_1)
	v_or3_b32 v6, v6, v7, v9
.LBB442_2757:                           ;   in Loop: Header=BB442_1382 Depth=1
	s_or_b32 exec_lo, exec_lo, s15
.LBB442_2758:                           ;   in Loop: Header=BB442_1382 Depth=1
	s_delay_alu instid0(SALU_CYCLE_1)
	s_or_b32 exec_lo, exec_lo, s13
.LBB442_2759:                           ;   in Loop: Header=BB442_1382 Depth=1
	s_delay_alu instid0(SALU_CYCLE_1) | instskip(NEXT) | instid1(VALU_DEP_1)
	s_or_b32 exec_lo, exec_lo, s12
	v_mul_f32_e32 v6, v8, v6
                                        ; implicit-def: $vgpr106
	s_delay_alu instid0(VALU_DEP_1) | instskip(NEXT) | instid1(VALU_DEP_1)
	v_and_b32_e32 v7, 0x7f800000, v6
	v_cmp_ne_u32_e64 s0, 0x7f800000, v7
	s_delay_alu instid0(VALU_DEP_1) | instskip(NEXT) | instid1(SALU_CYCLE_1)
	s_and_saveexec_b32 s12, s0
	s_xor_b32 s0, exec_lo, s12
; %bb.2760:                             ;   in Loop: Header=BB442_1382 Depth=1
	v_bfe_u32 v7, v6, 16, 1
	s_delay_alu instid0(VALU_DEP_1)
	v_add3_u32 v106, v6, v7, 0x7fff
                                        ; implicit-def: $vgpr6
; %bb.2761:                             ;   in Loop: Header=BB442_1382 Depth=1
	s_and_not1_saveexec_b32 s12, s0
; %bb.2762:                             ;   in Loop: Header=BB442_1382 Depth=1
	v_and_b32_e32 v7, 0xffff, v6
	v_or_b32_e32 v9, 0x10000, v6
	s_delay_alu instid0(VALU_DEP_2) | instskip(NEXT) | instid1(VALU_DEP_1)
	v_cmp_eq_u32_e64 s0, 0, v7
	v_cndmask_b32_e64 v106, v9, v6, s0
; %bb.2763:                             ;   in Loop: Header=BB442_1382 Depth=1
	s_or_b32 exec_lo, exec_lo, s12
	v_dual_mov_b32 v6, 0 :: v_dual_and_b32 v7, 0xff, v3
	v_mov_b32_e32 v9, v3
	s_mov_b32 s12, exec_lo
	s_delay_alu instid0(VALU_DEP_2)
	v_cmpx_ne_u16_e32 0, v7
	s_cbranch_execz .LBB442_2771
; %bb.2764:                             ;   in Loop: Header=BB442_1382 Depth=1
	v_bfrev_b32_e32 v6, 1
	s_mov_b32 s13, exec_lo
	v_cmpx_ne_u16_e32 0x80, v7
	s_cbranch_execz .LBB442_2770
; %bb.2765:                             ;   in Loop: Header=BB442_1382 Depth=1
	v_and_b32_e32 v7, 0x7f, v3
	v_mov_b32_e32 v6, 0x7f800001
	s_mov_b32 s15, exec_lo
	s_delay_alu instid0(VALU_DEP_2)
	v_cmpx_ne_u32_e32 0x7f, v7
	s_cbranch_execz .LBB442_2769
; %bb.2766:                             ;   in Loop: Header=BB442_1382 Depth=1
	v_lshrrev_b32_e32 v107, 3, v7
	v_cmp_gt_u32_e64 s0, 8, v7
	v_dual_mov_b32 v6, v9 :: v_dual_mov_b32 v7, v10
	s_delay_alu instid0(VALU_DEP_2)
	s_and_saveexec_b32 s16, s0
; %bb.2767:                             ;   in Loop: Header=BB442_1382 Depth=1
	v_and_b32_e32 v6, 7, v3
	s_delay_alu instid0(VALU_DEP_1) | instskip(NEXT) | instid1(VALU_DEP_1)
	v_clz_i32_u32_e32 v6, v6
	v_min_u32_e32 v107, 32, v6
	s_delay_alu instid0(VALU_DEP_1) | instskip(SKIP_1) | instid1(VALU_DEP_2)
	v_subrev_nc_u32_e32 v6, 28, v107
	v_sub_nc_u32_e32 v107, 29, v107
	v_lshlrev_b64 v[6:7], v6, v[9:10]
; %bb.2768:                             ;   in Loop: Header=BB442_1382 Depth=1
	s_or_b32 exec_lo, exec_lo, s16
	s_delay_alu instid0(VALU_DEP_1) | instskip(SKIP_2) | instid1(VALU_DEP_3)
	v_lshlrev_b32_e32 v6, 20, v6
	v_lshlrev_b32_e32 v7, 24, v9
	v_lshl_add_u32 v107, v107, 23, 0x3c000000
	v_and_b32_e32 v6, 0x700000, v6
	s_delay_alu instid0(VALU_DEP_3) | instskip(NEXT) | instid1(VALU_DEP_1)
	v_and_b32_e32 v7, 0x80000000, v7
	v_or3_b32 v6, v6, v7, v107
.LBB442_2769:                           ;   in Loop: Header=BB442_1382 Depth=1
	s_or_b32 exec_lo, exec_lo, s15
.LBB442_2770:                           ;   in Loop: Header=BB442_1382 Depth=1
	s_delay_alu instid0(SALU_CYCLE_1)
	s_or_b32 exec_lo, exec_lo, s13
.LBB442_2771:                           ;   in Loop: Header=BB442_1382 Depth=1
	s_delay_alu instid0(SALU_CYCLE_1) | instskip(NEXT) | instid1(VALU_DEP_1)
	s_or_b32 exec_lo, exec_lo, s12
	v_mul_f32_e32 v6, v8, v6
                                        ; implicit-def: $vgpr107
	s_delay_alu instid0(VALU_DEP_1) | instskip(NEXT) | instid1(VALU_DEP_1)
	v_and_b32_e32 v7, 0x7f800000, v6
	v_cmp_ne_u32_e64 s0, 0x7f800000, v7
	s_delay_alu instid0(VALU_DEP_1) | instskip(NEXT) | instid1(SALU_CYCLE_1)
	s_and_saveexec_b32 s12, s0
	s_xor_b32 s0, exec_lo, s12
; %bb.2772:                             ;   in Loop: Header=BB442_1382 Depth=1
	v_bfe_u32 v7, v6, 16, 1
	s_delay_alu instid0(VALU_DEP_1)
	v_add3_u32 v107, v6, v7, 0x7fff
                                        ; implicit-def: $vgpr6
; %bb.2773:                             ;   in Loop: Header=BB442_1382 Depth=1
	s_and_not1_saveexec_b32 s12, s0
; %bb.2774:                             ;   in Loop: Header=BB442_1382 Depth=1
	v_and_b32_e32 v7, 0xffff, v6
	v_or_b32_e32 v107, 0x10000, v6
	s_delay_alu instid0(VALU_DEP_2) | instskip(NEXT) | instid1(VALU_DEP_1)
	v_cmp_eq_u32_e64 s0, 0, v7
	v_cndmask_b32_e64 v107, v107, v6, s0
; %bb.2775:                             ;   in Loop: Header=BB442_1382 Depth=1
	s_or_b32 exec_lo, exec_lo, s12
	v_lshrrev_b16 v7, 8, v9
	v_mov_b32_e32 v6, 0
	s_mov_b32 s12, exec_lo
	s_delay_alu instid0(VALU_DEP_2)
	v_cmpx_ne_u16_e32 0, v7
	s_cbranch_execz .LBB442_2783
; %bb.2776:                             ;   in Loop: Header=BB442_1382 Depth=1
	v_bfrev_b32_e32 v6, 1
	s_mov_b32 s13, exec_lo
	v_cmpx_ne_u16_e32 0x80, v7
	s_cbranch_execz .LBB442_2782
; %bb.2777:                             ;   in Loop: Header=BB442_1382 Depth=1
	v_and_b32_e32 v7, 0xffff, v7
	v_mov_b32_e32 v6, 0x7f800001
	s_mov_b32 s15, exec_lo
	s_delay_alu instid0(VALU_DEP_2) | instskip(NEXT) | instid1(VALU_DEP_1)
	v_and_b32_e32 v109, 0x7f, v7
	v_cmpx_ne_u32_e32 0x7f, v109
	s_cbranch_execz .LBB442_2781
; %bb.2778:                             ;   in Loop: Header=BB442_1382 Depth=1
	v_dual_mov_b32 v7, v10 :: v_dual_and_b32 v6, 7, v7
	v_lshrrev_b32_e32 v108, 3, v109
	s_mov_b32 s16, exec_lo
	v_cmpx_gt_u32_e32 8, v109
; %bb.2779:                             ;   in Loop: Header=BB442_1382 Depth=1
	s_delay_alu instid0(VALU_DEP_3) | instskip(NEXT) | instid1(VALU_DEP_1)
	v_clz_i32_u32_e32 v108, v6
	v_min_u32_e32 v108, 32, v108
	s_delay_alu instid0(VALU_DEP_1) | instskip(SKIP_1) | instid1(VALU_DEP_2)
	v_subrev_nc_u32_e32 v109, 28, v108
	v_sub_nc_u32_e32 v108, 29, v108
	v_lshlrev_b64 v[6:7], v109, v[6:7]
	s_delay_alu instid0(VALU_DEP_1)
	v_and_b32_e32 v6, 7, v6
; %bb.2780:                             ;   in Loop: Header=BB442_1382 Depth=1
	s_or_b32 exec_lo, exec_lo, s16
	v_lshlrev_b32_e32 v7, 16, v9
	s_delay_alu instid0(VALU_DEP_2) | instskip(SKIP_1) | instid1(VALU_DEP_3)
	v_lshlrev_b32_e32 v6, 20, v6
	v_lshl_add_u32 v9, v108, 23, 0x3c000000
	v_and_b32_e32 v7, 0x80000000, v7
	s_delay_alu instid0(VALU_DEP_1)
	v_or3_b32 v6, v6, v7, v9
.LBB442_2781:                           ;   in Loop: Header=BB442_1382 Depth=1
	s_or_b32 exec_lo, exec_lo, s15
.LBB442_2782:                           ;   in Loop: Header=BB442_1382 Depth=1
	s_delay_alu instid0(SALU_CYCLE_1)
	s_or_b32 exec_lo, exec_lo, s13
.LBB442_2783:                           ;   in Loop: Header=BB442_1382 Depth=1
	s_delay_alu instid0(SALU_CYCLE_1) | instskip(NEXT) | instid1(VALU_DEP_1)
	s_or_b32 exec_lo, exec_lo, s12
	v_mul_f32_e32 v6, v8, v6
                                        ; implicit-def: $vgpr108
	s_delay_alu instid0(VALU_DEP_1) | instskip(NEXT) | instid1(VALU_DEP_1)
	v_and_b32_e32 v7, 0x7f800000, v6
	v_cmp_ne_u32_e64 s0, 0x7f800000, v7
	s_delay_alu instid0(VALU_DEP_1) | instskip(NEXT) | instid1(SALU_CYCLE_1)
	s_and_saveexec_b32 s12, s0
	s_xor_b32 s0, exec_lo, s12
; %bb.2784:                             ;   in Loop: Header=BB442_1382 Depth=1
	v_bfe_u32 v7, v6, 16, 1
	s_delay_alu instid0(VALU_DEP_1)
	v_add3_u32 v108, v6, v7, 0x7fff
                                        ; implicit-def: $vgpr6
; %bb.2785:                             ;   in Loop: Header=BB442_1382 Depth=1
	s_and_not1_saveexec_b32 s12, s0
; %bb.2786:                             ;   in Loop: Header=BB442_1382 Depth=1
	v_and_b32_e32 v7, 0xffff, v6
	v_or_b32_e32 v9, 0x10000, v6
	s_delay_alu instid0(VALU_DEP_2) | instskip(NEXT) | instid1(VALU_DEP_1)
	v_cmp_eq_u32_e64 s0, 0, v7
	v_cndmask_b32_e64 v108, v9, v6, s0
; %bb.2787:                             ;   in Loop: Header=BB442_1382 Depth=1
	s_or_b32 exec_lo, exec_lo, s12
	v_lshrrev_b32_e32 v109, 16, v3
	s_mov_b32 s12, exec_lo
	s_delay_alu instid0(VALU_DEP_1) | instskip(NEXT) | instid1(VALU_DEP_1)
	v_dual_mov_b32 v6, 0 :: v_dual_and_b32 v7, 0xff, v109
	v_cmpx_ne_u16_e32 0, v7
	s_cbranch_execz .LBB442_2795
; %bb.2788:                             ;   in Loop: Header=BB442_1382 Depth=1
	v_bfrev_b32_e32 v6, 1
	s_mov_b32 s13, exec_lo
	v_cmpx_ne_u16_e32 0x80, v7
	s_cbranch_execz .LBB442_2794
; %bb.2789:                             ;   in Loop: Header=BB442_1382 Depth=1
	v_bfe_u32 v7, v3, 16, 7
	v_mov_b32_e32 v6, 0x7f800001
	s_mov_b32 s15, exec_lo
	s_delay_alu instid0(VALU_DEP_2)
	v_cmpx_ne_u32_e32 0x7f, v7
	s_cbranch_execz .LBB442_2793
; %bb.2790:                             ;   in Loop: Header=BB442_1382 Depth=1
	v_and_b32_e32 v9, 7, v109
	v_lshrrev_b32_e32 v110, 3, v7
	v_cmp_gt_u32_e64 s0, 8, v7
	s_delay_alu instid0(VALU_DEP_3) | instskip(NEXT) | instid1(VALU_DEP_2)
	v_dual_mov_b32 v6, v9 :: v_dual_mov_b32 v7, v10
	s_and_saveexec_b32 s16, s0
; %bb.2791:                             ;   in Loop: Header=BB442_1382 Depth=1
	v_clz_i32_u32_e32 v6, v9
	s_delay_alu instid0(VALU_DEP_1) | instskip(NEXT) | instid1(VALU_DEP_1)
	v_min_u32_e32 v110, 32, v6
	v_subrev_nc_u32_e32 v6, 28, v110
	v_sub_nc_u32_e32 v110, 29, v110
	s_delay_alu instid0(VALU_DEP_2) | instskip(NEXT) | instid1(VALU_DEP_1)
	v_lshlrev_b64 v[6:7], v6, v[9:10]
	v_and_b32_e32 v6, 7, v6
; %bb.2792:                             ;   in Loop: Header=BB442_1382 Depth=1
	s_or_b32 exec_lo, exec_lo, s16
	v_lshlrev_b32_e32 v7, 24, v109
	s_delay_alu instid0(VALU_DEP_2) | instskip(SKIP_1) | instid1(VALU_DEP_3)
	v_lshlrev_b32_e32 v6, 20, v6
	v_lshl_add_u32 v9, v110, 23, 0x3c000000
	v_and_b32_e32 v7, 0x80000000, v7
	s_delay_alu instid0(VALU_DEP_1)
	v_or3_b32 v6, v6, v7, v9
.LBB442_2793:                           ;   in Loop: Header=BB442_1382 Depth=1
	s_or_b32 exec_lo, exec_lo, s15
.LBB442_2794:                           ;   in Loop: Header=BB442_1382 Depth=1
	s_delay_alu instid0(SALU_CYCLE_1)
	s_or_b32 exec_lo, exec_lo, s13
.LBB442_2795:                           ;   in Loop: Header=BB442_1382 Depth=1
	s_delay_alu instid0(SALU_CYCLE_1) | instskip(NEXT) | instid1(VALU_DEP_1)
	s_or_b32 exec_lo, exec_lo, s12
	v_mul_f32_e32 v6, v8, v6
                                        ; implicit-def: $vgpr109
	s_delay_alu instid0(VALU_DEP_1) | instskip(NEXT) | instid1(VALU_DEP_1)
	v_and_b32_e32 v7, 0x7f800000, v6
	v_cmp_ne_u32_e64 s0, 0x7f800000, v7
	s_delay_alu instid0(VALU_DEP_1) | instskip(NEXT) | instid1(SALU_CYCLE_1)
	s_and_saveexec_b32 s12, s0
	s_xor_b32 s0, exec_lo, s12
; %bb.2796:                             ;   in Loop: Header=BB442_1382 Depth=1
	v_bfe_u32 v7, v6, 16, 1
	s_delay_alu instid0(VALU_DEP_1)
	v_add3_u32 v109, v6, v7, 0x7fff
                                        ; implicit-def: $vgpr6
; %bb.2797:                             ;   in Loop: Header=BB442_1382 Depth=1
	s_and_not1_saveexec_b32 s12, s0
; %bb.2798:                             ;   in Loop: Header=BB442_1382 Depth=1
	v_and_b32_e32 v7, 0xffff, v6
	v_or_b32_e32 v9, 0x10000, v6
	s_delay_alu instid0(VALU_DEP_2) | instskip(NEXT) | instid1(VALU_DEP_1)
	v_cmp_eq_u32_e64 s0, 0, v7
	v_cndmask_b32_e64 v109, v9, v6, s0
; %bb.2799:                             ;   in Loop: Header=BB442_1382 Depth=1
	s_or_b32 exec_lo, exec_lo, s12
	v_cmp_lt_u64_e64 s0, s[8:9], v[2:3]
	v_mov_b32_e32 v2, 0
	s_delay_alu instid0(VALU_DEP_2)
	s_and_saveexec_b32 s12, s0
	s_cbranch_execz .LBB442_2807
; %bb.2800:                             ;   in Loop: Header=BB442_1382 Depth=1
	v_lshrrev_b32_e32 v6, 24, v3
	v_bfrev_b32_e32 v2, 1
	s_mov_b32 s13, exec_lo
	s_delay_alu instid0(VALU_DEP_2)
	v_cmpx_ne_u32_e32 0x80, v6
	s_cbranch_execz .LBB442_2806
; %bb.2801:                             ;   in Loop: Header=BB442_1382 Depth=1
	v_bfe_u32 v3, v3, 24, 7
	v_mov_b32_e32 v2, 0x7f800001
	s_mov_b32 s15, exec_lo
	s_delay_alu instid0(VALU_DEP_2)
	v_cmpx_ne_u32_e32 0x7f, v3
	s_cbranch_execz .LBB442_2805
; %bb.2802:                             ;   in Loop: Header=BB442_1382 Depth=1
	v_and_b32_e32 v9, 7, v6
	v_lshrrev_b32_e32 v7, 3, v3
	v_cmp_gt_u32_e64 s0, 8, v3
	s_delay_alu instid0(VALU_DEP_3) | instskip(NEXT) | instid1(VALU_DEP_2)
	v_dual_mov_b32 v2, v9 :: v_dual_mov_b32 v3, v10
	s_and_saveexec_b32 s16, s0
; %bb.2803:                             ;   in Loop: Header=BB442_1382 Depth=1
	v_clz_i32_u32_e32 v2, v9
	s_delay_alu instid0(VALU_DEP_1) | instskip(NEXT) | instid1(VALU_DEP_1)
	v_min_u32_e32 v7, 32, v2
	v_subrev_nc_u32_e32 v2, 28, v7
	v_sub_nc_u32_e32 v7, 29, v7
	s_delay_alu instid0(VALU_DEP_2) | instskip(NEXT) | instid1(VALU_DEP_1)
	v_lshlrev_b64 v[2:3], v2, v[9:10]
	v_and_b32_e32 v2, 7, v2
; %bb.2804:                             ;   in Loop: Header=BB442_1382 Depth=1
	s_or_b32 exec_lo, exec_lo, s16
	v_lshlrev_b32_e32 v3, 24, v6
	s_delay_alu instid0(VALU_DEP_2) | instskip(SKIP_1) | instid1(VALU_DEP_3)
	v_lshlrev_b32_e32 v2, 20, v2
	v_lshl_add_u32 v6, v7, 23, 0x3c000000
	v_and_b32_e32 v3, 0x80000000, v3
	s_delay_alu instid0(VALU_DEP_1)
	v_or3_b32 v2, v2, v3, v6
.LBB442_2805:                           ;   in Loop: Header=BB442_1382 Depth=1
	s_or_b32 exec_lo, exec_lo, s15
.LBB442_2806:                           ;   in Loop: Header=BB442_1382 Depth=1
	s_delay_alu instid0(SALU_CYCLE_1)
	s_or_b32 exec_lo, exec_lo, s13
.LBB442_2807:                           ;   in Loop: Header=BB442_1382 Depth=1
	s_delay_alu instid0(SALU_CYCLE_1) | instskip(NEXT) | instid1(VALU_DEP_1)
	s_or_b32 exec_lo, exec_lo, s12
	v_mul_f32_e32 v3, v8, v2
	s_delay_alu instid0(VALU_DEP_1) | instskip(NEXT) | instid1(VALU_DEP_1)
	v_and_b32_e32 v2, 0x7f800000, v3
	v_cmp_ne_u32_e64 s0, 0x7f800000, v2
                                        ; implicit-def: $vgpr2
	s_delay_alu instid0(VALU_DEP_1) | instskip(NEXT) | instid1(SALU_CYCLE_1)
	s_and_saveexec_b32 s12, s0
	s_xor_b32 s0, exec_lo, s12
; %bb.2808:                             ;   in Loop: Header=BB442_1382 Depth=1
	v_bfe_u32 v2, v3, 16, 1
	s_delay_alu instid0(VALU_DEP_1)
	v_add3_u32 v2, v3, v2, 0x7fff
                                        ; implicit-def: $vgpr3
; %bb.2809:                             ;   in Loop: Header=BB442_1382 Depth=1
	s_and_not1_saveexec_b32 s12, s0
; %bb.2810:                             ;   in Loop: Header=BB442_1382 Depth=1
	v_and_b32_e32 v2, 0xffff, v3
	v_or_b32_e32 v6, 0x10000, v3
	s_delay_alu instid0(VALU_DEP_2) | instskip(NEXT) | instid1(VALU_DEP_1)
	v_cmp_eq_u32_e64 s0, 0, v2
	v_cndmask_b32_e64 v2, v6, v3, s0
; %bb.2811:                             ;   in Loop: Header=BB442_1382 Depth=1
	s_or_b32 exec_lo, exec_lo, s12
	v_lshrrev_b32_e32 v6, 16, v108
	v_lshrrev_b32_e32 v7, 16, v107
	;; [unrolled: 1-line block ×8, first 2 shown]
	s_and_saveexec_b32 s12, vcc_lo
	s_cbranch_execz .LBB442_2813
; %bb.2812:                             ;   in Loop: Header=BB442_1382 Depth=1
	v_cmp_lt_i32_e64 s0, v84, v38
	s_delay_alu instid0(VALU_DEP_1) | instskip(SKIP_1) | instid1(VALU_DEP_1)
	v_cndmask_b32_e64 v95, 0, v95, s0
	v_cmp_lt_i32_e64 s0, v99, v38
	v_cndmask_b32_e64 v104, 0, v104, s0
	v_cmp_lt_i32_e64 s0, v98, v38
	s_delay_alu instid0(VALU_DEP_1) | instskip(SKIP_1) | instid1(VALU_DEP_1)
	v_cndmask_b32_e64 v105, 0, v105, s0
	v_cmp_lt_i32_e64 s0, v97, v38
	v_cndmask_b32_e64 v9, 0, v9, s0
	;; [unrolled: 5-line block ×4, first 2 shown]
.LBB442_2813:                           ;   in Loop: Header=BB442_1382 Depth=1
	s_or_b32 exec_lo, exec_lo, s12
	v_lshlrev_b32_e32 v95, 16, v95
	s_delay_alu instid0(VALU_DEP_1) | instskip(NEXT) | instid1(VALU_DEP_1)
	v_mul_f32_e32 v106, v100, v95
	v_and_b32_e32 v95, 0x7f800000, v106
	s_delay_alu instid0(VALU_DEP_1) | instskip(NEXT) | instid1(VALU_DEP_1)
	v_cmp_ne_u32_e64 s0, 0x7f800000, v95
                                        ; implicit-def: $vgpr95
	s_and_saveexec_b32 s12, s0
	s_delay_alu instid0(SALU_CYCLE_1)
	s_xor_b32 s0, exec_lo, s12
; %bb.2814:                             ;   in Loop: Header=BB442_1382 Depth=1
	v_bfe_u32 v95, v106, 16, 1
	s_delay_alu instid0(VALU_DEP_1)
	v_add3_u32 v95, v106, v95, 0x7fff
                                        ; implicit-def: $vgpr106
; %bb.2815:                             ;   in Loop: Header=BB442_1382 Depth=1
	s_and_not1_saveexec_b32 s12, s0
; %bb.2816:                             ;   in Loop: Header=BB442_1382 Depth=1
	v_and_b32_e32 v95, 0xffff, v106
	v_or_b32_e32 v107, 0x10000, v106
	s_delay_alu instid0(VALU_DEP_2) | instskip(NEXT) | instid1(VALU_DEP_1)
	v_cmp_eq_u32_e64 s0, 0, v95
	v_cndmask_b32_e64 v95, v107, v106, s0
; %bb.2817:                             ;   in Loop: Header=BB442_1382 Depth=1
	s_or_b32 exec_lo, exec_lo, s12
	v_lshlrev_b32_e32 v104, 16, v104
	s_delay_alu instid0(VALU_DEP_1) | instskip(NEXT) | instid1(VALU_DEP_1)
	v_mul_f32_e32 v106, v101, v104
	v_and_b32_e32 v104, 0x7f800000, v106
	s_delay_alu instid0(VALU_DEP_1) | instskip(NEXT) | instid1(VALU_DEP_1)
	v_cmp_ne_u32_e64 s0, 0x7f800000, v104
                                        ; implicit-def: $vgpr104
	s_and_saveexec_b32 s12, s0
	s_delay_alu instid0(SALU_CYCLE_1)
	s_xor_b32 s0, exec_lo, s12
; %bb.2818:                             ;   in Loop: Header=BB442_1382 Depth=1
	v_bfe_u32 v104, v106, 16, 1
	s_delay_alu instid0(VALU_DEP_1)
	v_add3_u32 v104, v106, v104, 0x7fff
                                        ; implicit-def: $vgpr106
; %bb.2819:                             ;   in Loop: Header=BB442_1382 Depth=1
	s_and_not1_saveexec_b32 s12, s0
; %bb.2820:                             ;   in Loop: Header=BB442_1382 Depth=1
	v_and_b32_e32 v104, 0xffff, v106
	v_or_b32_e32 v107, 0x10000, v106
	s_delay_alu instid0(VALU_DEP_2) | instskip(NEXT) | instid1(VALU_DEP_1)
	v_cmp_eq_u32_e64 s0, 0, v104
	v_cndmask_b32_e64 v104, v107, v106, s0
; %bb.2821:                             ;   in Loop: Header=BB442_1382 Depth=1
	s_or_b32 exec_lo, exec_lo, s12
	v_lshlrev_b32_e32 v105, 16, v105
	s_delay_alu instid0(VALU_DEP_1) | instskip(NEXT) | instid1(VALU_DEP_1)
	v_mul_f32_e32 v106, v102, v105
	v_and_b32_e32 v105, 0x7f800000, v106
	s_delay_alu instid0(VALU_DEP_1) | instskip(NEXT) | instid1(VALU_DEP_1)
	v_cmp_ne_u32_e64 s0, 0x7f800000, v105
                                        ; implicit-def: $vgpr105
	s_and_saveexec_b32 s12, s0
	s_delay_alu instid0(SALU_CYCLE_1)
	s_xor_b32 s0, exec_lo, s12
; %bb.2822:                             ;   in Loop: Header=BB442_1382 Depth=1
	v_bfe_u32 v105, v106, 16, 1
	s_delay_alu instid0(VALU_DEP_1)
	v_add3_u32 v105, v106, v105, 0x7fff
                                        ; implicit-def: $vgpr106
; %bb.2823:                             ;   in Loop: Header=BB442_1382 Depth=1
	s_and_not1_saveexec_b32 s12, s0
; %bb.2824:                             ;   in Loop: Header=BB442_1382 Depth=1
	v_and_b32_e32 v105, 0xffff, v106
	v_or_b32_e32 v107, 0x10000, v106
	s_delay_alu instid0(VALU_DEP_2) | instskip(NEXT) | instid1(VALU_DEP_1)
	v_cmp_eq_u32_e64 s0, 0, v105
	v_cndmask_b32_e64 v105, v107, v106, s0
; %bb.2825:                             ;   in Loop: Header=BB442_1382 Depth=1
	s_or_b32 exec_lo, exec_lo, s12
	v_lshlrev_b32_e32 v9, 16, v9
	s_delay_alu instid0(VALU_DEP_1) | instskip(NEXT) | instid1(VALU_DEP_1)
	v_mul_f32_e32 v9, v103, v9
	v_and_b32_e32 v106, 0x7f800000, v9
	s_delay_alu instid0(VALU_DEP_1) | instskip(NEXT) | instid1(VALU_DEP_1)
	v_cmp_ne_u32_e64 s0, 0x7f800000, v106
                                        ; implicit-def: $vgpr106
	s_and_saveexec_b32 s12, s0
	s_delay_alu instid0(SALU_CYCLE_1)
	s_xor_b32 s0, exec_lo, s12
; %bb.2826:                             ;   in Loop: Header=BB442_1382 Depth=1
	v_bfe_u32 v106, v9, 16, 1
	s_delay_alu instid0(VALU_DEP_1)
	v_add3_u32 v106, v9, v106, 0x7fff
                                        ; implicit-def: $vgpr9
; %bb.2827:                             ;   in Loop: Header=BB442_1382 Depth=1
	s_and_not1_saveexec_b32 s12, s0
; %bb.2828:                             ;   in Loop: Header=BB442_1382 Depth=1
	v_and_b32_e32 v106, 0xffff, v9
	v_or_b32_e32 v107, 0x10000, v9
	s_delay_alu instid0(VALU_DEP_2) | instskip(NEXT) | instid1(VALU_DEP_1)
	v_cmp_eq_u32_e64 s0, 0, v106
	v_cndmask_b32_e64 v106, v107, v9, s0
; %bb.2829:                             ;   in Loop: Header=BB442_1382 Depth=1
	s_or_b32 exec_lo, exec_lo, s12
	v_lshlrev_b32_e32 v7, 16, v7
                                        ; implicit-def: $vgpr107
	s_delay_alu instid0(VALU_DEP_1) | instskip(NEXT) | instid1(VALU_DEP_1)
	v_mul_f32_e32 v7, v112, v7
	v_and_b32_e32 v9, 0x7f800000, v7
	s_delay_alu instid0(VALU_DEP_1) | instskip(NEXT) | instid1(VALU_DEP_1)
	v_cmp_ne_u32_e64 s0, 0x7f800000, v9
	s_and_saveexec_b32 s12, s0
	s_delay_alu instid0(SALU_CYCLE_1)
	s_xor_b32 s0, exec_lo, s12
; %bb.2830:                             ;   in Loop: Header=BB442_1382 Depth=1
	v_bfe_u32 v9, v7, 16, 1
	s_delay_alu instid0(VALU_DEP_1)
	v_add3_u32 v107, v7, v9, 0x7fff
                                        ; implicit-def: $vgpr7
; %bb.2831:                             ;   in Loop: Header=BB442_1382 Depth=1
	s_and_not1_saveexec_b32 s12, s0
; %bb.2832:                             ;   in Loop: Header=BB442_1382 Depth=1
	v_and_b32_e32 v9, 0xffff, v7
	v_or_b32_e32 v107, 0x10000, v7
	s_delay_alu instid0(VALU_DEP_2) | instskip(NEXT) | instid1(VALU_DEP_1)
	v_cmp_eq_u32_e64 s0, 0, v9
	v_cndmask_b32_e64 v107, v107, v7, s0
; %bb.2833:                             ;   in Loop: Header=BB442_1382 Depth=1
	s_or_b32 exec_lo, exec_lo, s12
	v_lshlrev_b32_e32 v6, 16, v6
                                        ; implicit-def: $vgpr108
	s_delay_alu instid0(VALU_DEP_1) | instskip(NEXT) | instid1(VALU_DEP_1)
	v_mul_f32_e32 v6, v113, v6
	v_and_b32_e32 v7, 0x7f800000, v6
	s_delay_alu instid0(VALU_DEP_1) | instskip(NEXT) | instid1(VALU_DEP_1)
	v_cmp_ne_u32_e64 s0, 0x7f800000, v7
	s_and_saveexec_b32 s12, s0
	s_delay_alu instid0(SALU_CYCLE_1)
	s_xor_b32 s0, exec_lo, s12
; %bb.2834:                             ;   in Loop: Header=BB442_1382 Depth=1
	v_bfe_u32 v7, v6, 16, 1
	s_delay_alu instid0(VALU_DEP_1)
	v_add3_u32 v108, v6, v7, 0x7fff
                                        ; implicit-def: $vgpr6
; %bb.2835:                             ;   in Loop: Header=BB442_1382 Depth=1
	s_and_not1_saveexec_b32 s12, s0
; %bb.2836:                             ;   in Loop: Header=BB442_1382 Depth=1
	v_and_b32_e32 v7, 0xffff, v6
	v_or_b32_e32 v9, 0x10000, v6
	s_delay_alu instid0(VALU_DEP_2) | instskip(NEXT) | instid1(VALU_DEP_1)
	v_cmp_eq_u32_e64 s0, 0, v7
	v_cndmask_b32_e64 v108, v9, v6, s0
; %bb.2837:                             ;   in Loop: Header=BB442_1382 Depth=1
	s_or_b32 exec_lo, exec_lo, s12
	v_lshlrev_b32_e32 v3, 16, v3
                                        ; implicit-def: $vgpr109
	s_delay_alu instid0(VALU_DEP_1) | instskip(NEXT) | instid1(VALU_DEP_1)
	v_mul_f32_e32 v3, v114, v3
	v_and_b32_e32 v6, 0x7f800000, v3
	s_delay_alu instid0(VALU_DEP_1) | instskip(NEXT) | instid1(VALU_DEP_1)
	v_cmp_ne_u32_e64 s0, 0x7f800000, v6
	s_and_saveexec_b32 s12, s0
	s_delay_alu instid0(SALU_CYCLE_1)
	s_xor_b32 s0, exec_lo, s12
; %bb.2838:                             ;   in Loop: Header=BB442_1382 Depth=1
	v_bfe_u32 v6, v3, 16, 1
	s_delay_alu instid0(VALU_DEP_1)
	v_add3_u32 v109, v3, v6, 0x7fff
                                        ; implicit-def: $vgpr3
; %bb.2839:                             ;   in Loop: Header=BB442_1382 Depth=1
	s_and_not1_saveexec_b32 s12, s0
; %bb.2840:                             ;   in Loop: Header=BB442_1382 Depth=1
	v_and_b32_e32 v6, 0xffff, v3
	v_or_b32_e32 v7, 0x10000, v3
	s_delay_alu instid0(VALU_DEP_2) | instskip(NEXT) | instid1(VALU_DEP_1)
	v_cmp_eq_u32_e64 s0, 0, v6
	v_cndmask_b32_e64 v109, v7, v3, s0
; %bb.2841:                             ;   in Loop: Header=BB442_1382 Depth=1
	s_or_b32 exec_lo, exec_lo, s12
	v_lshlrev_b32_e32 v2, 16, v2
                                        ; implicit-def: $vgpr110
	s_delay_alu instid0(VALU_DEP_1) | instskip(NEXT) | instid1(VALU_DEP_1)
	v_mul_f32_e32 v2, v115, v2
	v_and_b32_e32 v3, 0x7f800000, v2
	s_delay_alu instid0(VALU_DEP_1) | instskip(NEXT) | instid1(VALU_DEP_1)
	v_cmp_ne_u32_e64 s0, 0x7f800000, v3
	s_and_saveexec_b32 s12, s0
	s_delay_alu instid0(SALU_CYCLE_1)
	s_xor_b32 s0, exec_lo, s12
; %bb.2842:                             ;   in Loop: Header=BB442_1382 Depth=1
	v_bfe_u32 v3, v2, 16, 1
	s_delay_alu instid0(VALU_DEP_1)
	v_add3_u32 v110, v2, v3, 0x7fff
                                        ; implicit-def: $vgpr2
; %bb.2843:                             ;   in Loop: Header=BB442_1382 Depth=1
	s_and_not1_saveexec_b32 s12, s0
; %bb.2844:                             ;   in Loop: Header=BB442_1382 Depth=1
	v_and_b32_e32 v3, 0xffff, v2
	v_or_b32_e32 v6, 0x10000, v2
	s_delay_alu instid0(VALU_DEP_2) | instskip(NEXT) | instid1(VALU_DEP_1)
	v_cmp_eq_u32_e64 s0, 0, v3
	v_cndmask_b32_e64 v110, v6, v2, s0
; %bb.2845:                             ;   in Loop: Header=BB442_1382 Depth=1
	s_or_b32 exec_lo, exec_lo, s12
	flat_load_b64 v[2:3], v[0:1] offset:2816
	s_mov_b32 s12, exec_lo
	s_waitcnt vmcnt(0) lgkmcnt(0)
	v_dual_mov_b32 v6, 0 :: v_dual_and_b32 v7, 0xff, v2
	s_delay_alu instid0(VALU_DEP_1)
	v_cmpx_ne_u16_e32 0, v7
	s_cbranch_execz .LBB442_2853
; %bb.2846:                             ;   in Loop: Header=BB442_1382 Depth=1
	v_bfrev_b32_e32 v6, 1
	s_mov_b32 s13, exec_lo
	v_cmpx_ne_u16_e32 0x80, v7
	s_cbranch_execz .LBB442_2852
; %bb.2847:                             ;   in Loop: Header=BB442_1382 Depth=1
	v_and_b32_e32 v7, 0x7f, v2
	v_mov_b32_e32 v6, 0x7f800001
	s_mov_b32 s15, exec_lo
	s_delay_alu instid0(VALU_DEP_2)
	v_cmpx_ne_u32_e32 0x7f, v7
	s_cbranch_execz .LBB442_2851
; %bb.2848:                             ;   in Loop: Header=BB442_1382 Depth=1
	v_lshrrev_b32_e32 v9, 3, v7
	v_cmp_gt_u32_e64 s0, 8, v7
	v_dual_mov_b32 v7, v3 :: v_dual_mov_b32 v6, v2
	s_delay_alu instid0(VALU_DEP_2)
	s_and_saveexec_b32 s16, s0
; %bb.2849:                             ;   in Loop: Header=BB442_1382 Depth=1
	v_and_b32_e32 v6, 7, v2
	s_delay_alu instid0(VALU_DEP_1) | instskip(NEXT) | instid1(VALU_DEP_1)
	v_clz_i32_u32_e32 v6, v6
	v_min_u32_e32 v9, 32, v6
	s_delay_alu instid0(VALU_DEP_1) | instskip(SKIP_1) | instid1(VALU_DEP_2)
	v_subrev_nc_u32_e32 v6, 28, v9
	v_sub_nc_u32_e32 v9, 29, v9
	v_lshlrev_b64 v[6:7], v6, v[2:3]
; %bb.2850:                             ;   in Loop: Header=BB442_1382 Depth=1
	s_or_b32 exec_lo, exec_lo, s16
	s_delay_alu instid0(VALU_DEP_1) | instskip(SKIP_2) | instid1(VALU_DEP_3)
	v_lshlrev_b32_e32 v6, 20, v6
	v_lshlrev_b32_e32 v7, 24, v2
	v_lshl_add_u32 v9, v9, 23, 0x3c000000
	v_and_b32_e32 v6, 0x700000, v6
	s_delay_alu instid0(VALU_DEP_3) | instskip(NEXT) | instid1(VALU_DEP_1)
	v_and_b32_e32 v7, 0x80000000, v7
	v_or3_b32 v6, v6, v7, v9
.LBB442_2851:                           ;   in Loop: Header=BB442_1382 Depth=1
	s_or_b32 exec_lo, exec_lo, s15
.LBB442_2852:                           ;   in Loop: Header=BB442_1382 Depth=1
	s_delay_alu instid0(SALU_CYCLE_1)
	s_or_b32 exec_lo, exec_lo, s13
.LBB442_2853:                           ;   in Loop: Header=BB442_1382 Depth=1
	s_delay_alu instid0(SALU_CYCLE_1) | instskip(NEXT) | instid1(VALU_DEP_1)
	s_or_b32 exec_lo, exec_lo, s12
	v_mul_f32_e32 v6, v8, v6
                                        ; implicit-def: $vgpr111
	s_delay_alu instid0(VALU_DEP_1) | instskip(NEXT) | instid1(VALU_DEP_1)
	v_and_b32_e32 v7, 0x7f800000, v6
	v_cmp_ne_u32_e64 s0, 0x7f800000, v7
	s_delay_alu instid0(VALU_DEP_1) | instskip(NEXT) | instid1(SALU_CYCLE_1)
	s_and_saveexec_b32 s12, s0
	s_xor_b32 s0, exec_lo, s12
; %bb.2854:                             ;   in Loop: Header=BB442_1382 Depth=1
	v_bfe_u32 v7, v6, 16, 1
	s_delay_alu instid0(VALU_DEP_1)
	v_add3_u32 v111, v6, v7, 0x7fff
                                        ; implicit-def: $vgpr6
; %bb.2855:                             ;   in Loop: Header=BB442_1382 Depth=1
	s_and_not1_saveexec_b32 s12, s0
; %bb.2856:                             ;   in Loop: Header=BB442_1382 Depth=1
	v_and_b32_e32 v7, 0xffff, v6
	v_or_b32_e32 v9, 0x10000, v6
	s_delay_alu instid0(VALU_DEP_2) | instskip(NEXT) | instid1(VALU_DEP_1)
	v_cmp_eq_u32_e64 s0, 0, v7
	v_cndmask_b32_e64 v111, v9, v6, s0
; %bb.2857:                             ;   in Loop: Header=BB442_1382 Depth=1
	s_or_b32 exec_lo, exec_lo, s12
	v_lshrrev_b16 v7, 8, v2
	v_mov_b32_e32 v6, 0
	s_mov_b32 s12, exec_lo
	s_delay_alu instid0(VALU_DEP_2)
	v_cmpx_ne_u16_e32 0, v7
	s_cbranch_execz .LBB442_2865
; %bb.2858:                             ;   in Loop: Header=BB442_1382 Depth=1
	v_bfrev_b32_e32 v6, 1
	s_mov_b32 s13, exec_lo
	v_cmpx_ne_u16_e32 0x80, v7
	s_cbranch_execz .LBB442_2864
; %bb.2859:                             ;   in Loop: Header=BB442_1382 Depth=1
	v_and_b32_e32 v9, 0xffff, v7
	v_mov_b32_e32 v6, 0x7f800001
	s_mov_b32 s15, exec_lo
	s_delay_alu instid0(VALU_DEP_2) | instskip(NEXT) | instid1(VALU_DEP_1)
	v_and_b32_e32 v7, 0x7f, v9
	v_cmpx_ne_u32_e32 0x7f, v7
	s_cbranch_execz .LBB442_2863
; %bb.2860:                             ;   in Loop: Header=BB442_1382 Depth=1
	v_and_b32_e32 v9, 7, v9
	v_lshrrev_b32_e32 v120, 3, v7
	v_cmp_gt_u32_e64 s0, 8, v7
	s_delay_alu instid0(VALU_DEP_3) | instskip(NEXT) | instid1(VALU_DEP_2)
	v_dual_mov_b32 v6, v9 :: v_dual_mov_b32 v7, v10
	s_and_saveexec_b32 s16, s0
; %bb.2861:                             ;   in Loop: Header=BB442_1382 Depth=1
	v_clz_i32_u32_e32 v6, v9
	s_delay_alu instid0(VALU_DEP_1) | instskip(NEXT) | instid1(VALU_DEP_1)
	v_min_u32_e32 v120, 32, v6
	v_subrev_nc_u32_e32 v6, 28, v120
	v_sub_nc_u32_e32 v120, 29, v120
	s_delay_alu instid0(VALU_DEP_2) | instskip(NEXT) | instid1(VALU_DEP_1)
	v_lshlrev_b64 v[6:7], v6, v[9:10]
	v_and_b32_e32 v6, 7, v6
; %bb.2862:                             ;   in Loop: Header=BB442_1382 Depth=1
	s_or_b32 exec_lo, exec_lo, s16
	v_lshlrev_b32_e32 v7, 16, v2
	s_delay_alu instid0(VALU_DEP_2) | instskip(SKIP_1) | instid1(VALU_DEP_3)
	v_lshlrev_b32_e32 v6, 20, v6
	v_lshl_add_u32 v9, v120, 23, 0x3c000000
	v_and_b32_e32 v7, 0x80000000, v7
	s_delay_alu instid0(VALU_DEP_1)
	v_or3_b32 v6, v6, v7, v9
.LBB442_2863:                           ;   in Loop: Header=BB442_1382 Depth=1
	s_or_b32 exec_lo, exec_lo, s15
.LBB442_2864:                           ;   in Loop: Header=BB442_1382 Depth=1
	s_delay_alu instid0(SALU_CYCLE_1)
	s_or_b32 exec_lo, exec_lo, s13
.LBB442_2865:                           ;   in Loop: Header=BB442_1382 Depth=1
	s_delay_alu instid0(SALU_CYCLE_1) | instskip(NEXT) | instid1(VALU_DEP_1)
	s_or_b32 exec_lo, exec_lo, s12
	v_mul_f32_e32 v6, v8, v6
                                        ; implicit-def: $vgpr120
	s_delay_alu instid0(VALU_DEP_1) | instskip(NEXT) | instid1(VALU_DEP_1)
	v_and_b32_e32 v7, 0x7f800000, v6
	v_cmp_ne_u32_e64 s0, 0x7f800000, v7
	s_delay_alu instid0(VALU_DEP_1) | instskip(NEXT) | instid1(SALU_CYCLE_1)
	s_and_saveexec_b32 s12, s0
	s_xor_b32 s0, exec_lo, s12
; %bb.2866:                             ;   in Loop: Header=BB442_1382 Depth=1
	v_bfe_u32 v7, v6, 16, 1
	s_delay_alu instid0(VALU_DEP_1)
	v_add3_u32 v120, v6, v7, 0x7fff
                                        ; implicit-def: $vgpr6
; %bb.2867:                             ;   in Loop: Header=BB442_1382 Depth=1
	s_and_not1_saveexec_b32 s12, s0
; %bb.2868:                             ;   in Loop: Header=BB442_1382 Depth=1
	v_and_b32_e32 v7, 0xffff, v6
	v_or_b32_e32 v9, 0x10000, v6
	s_delay_alu instid0(VALU_DEP_2) | instskip(NEXT) | instid1(VALU_DEP_1)
	v_cmp_eq_u32_e64 s0, 0, v7
	v_cndmask_b32_e64 v120, v9, v6, s0
; %bb.2869:                             ;   in Loop: Header=BB442_1382 Depth=1
	s_or_b32 exec_lo, exec_lo, s12
	v_lshrrev_b32_e32 v121, 16, v2
	s_mov_b32 s12, exec_lo
	s_delay_alu instid0(VALU_DEP_1) | instskip(NEXT) | instid1(VALU_DEP_1)
	v_dual_mov_b32 v6, 0 :: v_dual_and_b32 v7, 0xff, v121
	v_cmpx_ne_u16_e32 0, v7
	s_cbranch_execz .LBB442_2877
; %bb.2870:                             ;   in Loop: Header=BB442_1382 Depth=1
	v_bfrev_b32_e32 v6, 1
	s_mov_b32 s13, exec_lo
	v_cmpx_ne_u16_e32 0x80, v7
	s_cbranch_execz .LBB442_2876
; %bb.2871:                             ;   in Loop: Header=BB442_1382 Depth=1
	v_bfe_u32 v7, v2, 16, 7
	v_mov_b32_e32 v6, 0x7f800001
	s_mov_b32 s15, exec_lo
	s_delay_alu instid0(VALU_DEP_2)
	v_cmpx_ne_u32_e32 0x7f, v7
	s_cbranch_execz .LBB442_2875
; %bb.2872:                             ;   in Loop: Header=BB442_1382 Depth=1
	v_and_b32_e32 v9, 7, v121
	v_lshrrev_b32_e32 v122, 3, v7
	v_cmp_gt_u32_e64 s0, 8, v7
	s_delay_alu instid0(VALU_DEP_3) | instskip(NEXT) | instid1(VALU_DEP_2)
	v_dual_mov_b32 v6, v9 :: v_dual_mov_b32 v7, v10
	s_and_saveexec_b32 s16, s0
; %bb.2873:                             ;   in Loop: Header=BB442_1382 Depth=1
	v_clz_i32_u32_e32 v6, v9
	s_delay_alu instid0(VALU_DEP_1) | instskip(NEXT) | instid1(VALU_DEP_1)
	v_min_u32_e32 v122, 32, v6
	v_subrev_nc_u32_e32 v6, 28, v122
	v_sub_nc_u32_e32 v122, 29, v122
	s_delay_alu instid0(VALU_DEP_2) | instskip(NEXT) | instid1(VALU_DEP_1)
	v_lshlrev_b64 v[6:7], v6, v[9:10]
	v_and_b32_e32 v6, 7, v6
; %bb.2874:                             ;   in Loop: Header=BB442_1382 Depth=1
	s_or_b32 exec_lo, exec_lo, s16
	v_lshlrev_b32_e32 v7, 24, v121
	s_delay_alu instid0(VALU_DEP_2) | instskip(SKIP_1) | instid1(VALU_DEP_3)
	v_lshlrev_b32_e32 v6, 20, v6
	v_lshl_add_u32 v9, v122, 23, 0x3c000000
	v_and_b32_e32 v7, 0x80000000, v7
	s_delay_alu instid0(VALU_DEP_1)
	v_or3_b32 v6, v6, v7, v9
.LBB442_2875:                           ;   in Loop: Header=BB442_1382 Depth=1
	s_or_b32 exec_lo, exec_lo, s15
.LBB442_2876:                           ;   in Loop: Header=BB442_1382 Depth=1
	s_delay_alu instid0(SALU_CYCLE_1)
	s_or_b32 exec_lo, exec_lo, s13
.LBB442_2877:                           ;   in Loop: Header=BB442_1382 Depth=1
	s_delay_alu instid0(SALU_CYCLE_1) | instskip(NEXT) | instid1(VALU_DEP_1)
	s_or_b32 exec_lo, exec_lo, s12
	v_mul_f32_e32 v6, v8, v6
                                        ; implicit-def: $vgpr121
	s_delay_alu instid0(VALU_DEP_1) | instskip(NEXT) | instid1(VALU_DEP_1)
	v_and_b32_e32 v7, 0x7f800000, v6
	v_cmp_ne_u32_e64 s0, 0x7f800000, v7
	s_delay_alu instid0(VALU_DEP_1) | instskip(NEXT) | instid1(SALU_CYCLE_1)
	s_and_saveexec_b32 s12, s0
	s_xor_b32 s0, exec_lo, s12
; %bb.2878:                             ;   in Loop: Header=BB442_1382 Depth=1
	v_bfe_u32 v7, v6, 16, 1
	s_delay_alu instid0(VALU_DEP_1)
	v_add3_u32 v121, v6, v7, 0x7fff
                                        ; implicit-def: $vgpr6
; %bb.2879:                             ;   in Loop: Header=BB442_1382 Depth=1
	s_and_not1_saveexec_b32 s12, s0
; %bb.2880:                             ;   in Loop: Header=BB442_1382 Depth=1
	v_and_b32_e32 v7, 0xffff, v6
	v_or_b32_e32 v9, 0x10000, v6
	s_delay_alu instid0(VALU_DEP_2) | instskip(NEXT) | instid1(VALU_DEP_1)
	v_cmp_eq_u32_e64 s0, 0, v7
	v_cndmask_b32_e64 v121, v9, v6, s0
; %bb.2881:                             ;   in Loop: Header=BB442_1382 Depth=1
	s_or_b32 exec_lo, exec_lo, s12
	v_mov_b32_e32 v6, 0
	s_mov_b32 s12, exec_lo
	v_cmpx_lt_u32_e32 0xffffff, v2
	s_cbranch_execz .LBB442_2889
; %bb.2882:                             ;   in Loop: Header=BB442_1382 Depth=1
	v_lshrrev_b32_e32 v122, 24, v2
	v_bfrev_b32_e32 v6, 1
	s_mov_b32 s13, exec_lo
	s_delay_alu instid0(VALU_DEP_2)
	v_cmpx_ne_u32_e32 0x80, v122
	s_cbranch_execz .LBB442_2888
; %bb.2883:                             ;   in Loop: Header=BB442_1382 Depth=1
	v_bfe_u32 v7, v2, 24, 7
	v_mov_b32_e32 v6, 0x7f800001
	s_mov_b32 s15, exec_lo
	s_delay_alu instid0(VALU_DEP_2)
	v_cmpx_ne_u32_e32 0x7f, v7
	s_cbranch_execz .LBB442_2887
; %bb.2884:                             ;   in Loop: Header=BB442_1382 Depth=1
	v_and_b32_e32 v9, 7, v122
	v_lshrrev_b32_e32 v123, 3, v7
	v_cmp_gt_u32_e64 s0, 8, v7
	s_delay_alu instid0(VALU_DEP_3) | instskip(NEXT) | instid1(VALU_DEP_2)
	v_dual_mov_b32 v6, v9 :: v_dual_mov_b32 v7, v10
	s_and_saveexec_b32 s16, s0
; %bb.2885:                             ;   in Loop: Header=BB442_1382 Depth=1
	v_clz_i32_u32_e32 v6, v9
	s_delay_alu instid0(VALU_DEP_1) | instskip(NEXT) | instid1(VALU_DEP_1)
	v_min_u32_e32 v123, 32, v6
	v_subrev_nc_u32_e32 v6, 28, v123
	v_sub_nc_u32_e32 v123, 29, v123
	s_delay_alu instid0(VALU_DEP_2) | instskip(NEXT) | instid1(VALU_DEP_1)
	v_lshlrev_b64 v[6:7], v6, v[9:10]
	v_and_b32_e32 v6, 7, v6
; %bb.2886:                             ;   in Loop: Header=BB442_1382 Depth=1
	s_or_b32 exec_lo, exec_lo, s16
	v_lshlrev_b32_e32 v7, 24, v122
	s_delay_alu instid0(VALU_DEP_2) | instskip(SKIP_1) | instid1(VALU_DEP_3)
	v_lshlrev_b32_e32 v6, 20, v6
	v_lshl_add_u32 v9, v123, 23, 0x3c000000
	v_and_b32_e32 v7, 0x80000000, v7
	s_delay_alu instid0(VALU_DEP_1)
	v_or3_b32 v6, v6, v7, v9
.LBB442_2887:                           ;   in Loop: Header=BB442_1382 Depth=1
	s_or_b32 exec_lo, exec_lo, s15
.LBB442_2888:                           ;   in Loop: Header=BB442_1382 Depth=1
	s_delay_alu instid0(SALU_CYCLE_1)
	s_or_b32 exec_lo, exec_lo, s13
.LBB442_2889:                           ;   in Loop: Header=BB442_1382 Depth=1
	s_delay_alu instid0(SALU_CYCLE_1) | instskip(NEXT) | instid1(VALU_DEP_1)
	s_or_b32 exec_lo, exec_lo, s12
	v_mul_f32_e32 v6, v8, v6
                                        ; implicit-def: $vgpr122
	s_delay_alu instid0(VALU_DEP_1) | instskip(NEXT) | instid1(VALU_DEP_1)
	v_and_b32_e32 v7, 0x7f800000, v6
	v_cmp_ne_u32_e64 s0, 0x7f800000, v7
	s_delay_alu instid0(VALU_DEP_1) | instskip(NEXT) | instid1(SALU_CYCLE_1)
	s_and_saveexec_b32 s12, s0
	s_xor_b32 s0, exec_lo, s12
; %bb.2890:                             ;   in Loop: Header=BB442_1382 Depth=1
	v_bfe_u32 v7, v6, 16, 1
	s_delay_alu instid0(VALU_DEP_1)
	v_add3_u32 v122, v6, v7, 0x7fff
                                        ; implicit-def: $vgpr6
; %bb.2891:                             ;   in Loop: Header=BB442_1382 Depth=1
	s_and_not1_saveexec_b32 s12, s0
; %bb.2892:                             ;   in Loop: Header=BB442_1382 Depth=1
	v_and_b32_e32 v7, 0xffff, v6
	v_or_b32_e32 v9, 0x10000, v6
	s_delay_alu instid0(VALU_DEP_2) | instskip(NEXT) | instid1(VALU_DEP_1)
	v_cmp_eq_u32_e64 s0, 0, v7
	v_cndmask_b32_e64 v122, v9, v6, s0
; %bb.2893:                             ;   in Loop: Header=BB442_1382 Depth=1
	s_or_b32 exec_lo, exec_lo, s12
	v_dual_mov_b32 v6, 0 :: v_dual_and_b32 v7, 0xff, v3
	v_mov_b32_e32 v9, v3
	s_mov_b32 s12, exec_lo
	s_delay_alu instid0(VALU_DEP_2)
	v_cmpx_ne_u16_e32 0, v7
	s_cbranch_execz .LBB442_2901
; %bb.2894:                             ;   in Loop: Header=BB442_1382 Depth=1
	v_bfrev_b32_e32 v6, 1
	s_mov_b32 s13, exec_lo
	v_cmpx_ne_u16_e32 0x80, v7
	s_cbranch_execz .LBB442_2900
; %bb.2895:                             ;   in Loop: Header=BB442_1382 Depth=1
	v_and_b32_e32 v7, 0x7f, v3
	v_mov_b32_e32 v6, 0x7f800001
	s_mov_b32 s15, exec_lo
	s_delay_alu instid0(VALU_DEP_2)
	v_cmpx_ne_u32_e32 0x7f, v7
	s_cbranch_execz .LBB442_2899
; %bb.2896:                             ;   in Loop: Header=BB442_1382 Depth=1
	v_lshrrev_b32_e32 v123, 3, v7
	v_cmp_gt_u32_e64 s0, 8, v7
	v_dual_mov_b32 v6, v9 :: v_dual_mov_b32 v7, v10
	s_delay_alu instid0(VALU_DEP_2)
	s_and_saveexec_b32 s16, s0
; %bb.2897:                             ;   in Loop: Header=BB442_1382 Depth=1
	v_and_b32_e32 v6, 7, v3
	s_delay_alu instid0(VALU_DEP_1) | instskip(NEXT) | instid1(VALU_DEP_1)
	v_clz_i32_u32_e32 v6, v6
	v_min_u32_e32 v123, 32, v6
	s_delay_alu instid0(VALU_DEP_1) | instskip(SKIP_1) | instid1(VALU_DEP_2)
	v_subrev_nc_u32_e32 v6, 28, v123
	v_sub_nc_u32_e32 v123, 29, v123
	v_lshlrev_b64 v[6:7], v6, v[9:10]
; %bb.2898:                             ;   in Loop: Header=BB442_1382 Depth=1
	s_or_b32 exec_lo, exec_lo, s16
	s_delay_alu instid0(VALU_DEP_1) | instskip(SKIP_2) | instid1(VALU_DEP_3)
	v_lshlrev_b32_e32 v6, 20, v6
	v_lshlrev_b32_e32 v7, 24, v9
	v_lshl_add_u32 v123, v123, 23, 0x3c000000
	v_and_b32_e32 v6, 0x700000, v6
	s_delay_alu instid0(VALU_DEP_3) | instskip(NEXT) | instid1(VALU_DEP_1)
	v_and_b32_e32 v7, 0x80000000, v7
	v_or3_b32 v6, v6, v7, v123
.LBB442_2899:                           ;   in Loop: Header=BB442_1382 Depth=1
	s_or_b32 exec_lo, exec_lo, s15
.LBB442_2900:                           ;   in Loop: Header=BB442_1382 Depth=1
	s_delay_alu instid0(SALU_CYCLE_1)
	s_or_b32 exec_lo, exec_lo, s13
.LBB442_2901:                           ;   in Loop: Header=BB442_1382 Depth=1
	s_delay_alu instid0(SALU_CYCLE_1) | instskip(NEXT) | instid1(VALU_DEP_1)
	s_or_b32 exec_lo, exec_lo, s12
	v_mul_f32_e32 v6, v8, v6
                                        ; implicit-def: $vgpr123
	s_delay_alu instid0(VALU_DEP_1) | instskip(NEXT) | instid1(VALU_DEP_1)
	v_and_b32_e32 v7, 0x7f800000, v6
	v_cmp_ne_u32_e64 s0, 0x7f800000, v7
	s_delay_alu instid0(VALU_DEP_1) | instskip(NEXT) | instid1(SALU_CYCLE_1)
	s_and_saveexec_b32 s12, s0
	s_xor_b32 s0, exec_lo, s12
; %bb.2902:                             ;   in Loop: Header=BB442_1382 Depth=1
	v_bfe_u32 v7, v6, 16, 1
	s_delay_alu instid0(VALU_DEP_1)
	v_add3_u32 v123, v6, v7, 0x7fff
                                        ; implicit-def: $vgpr6
; %bb.2903:                             ;   in Loop: Header=BB442_1382 Depth=1
	s_and_not1_saveexec_b32 s12, s0
; %bb.2904:                             ;   in Loop: Header=BB442_1382 Depth=1
	v_and_b32_e32 v7, 0xffff, v6
	v_or_b32_e32 v123, 0x10000, v6
	s_delay_alu instid0(VALU_DEP_2) | instskip(NEXT) | instid1(VALU_DEP_1)
	v_cmp_eq_u32_e64 s0, 0, v7
	v_cndmask_b32_e64 v123, v123, v6, s0
; %bb.2905:                             ;   in Loop: Header=BB442_1382 Depth=1
	s_or_b32 exec_lo, exec_lo, s12
	v_lshrrev_b16 v7, 8, v9
	v_mov_b32_e32 v6, 0
	s_mov_b32 s12, exec_lo
	s_delay_alu instid0(VALU_DEP_2)
	v_cmpx_ne_u16_e32 0, v7
	s_cbranch_execz .LBB442_2913
; %bb.2906:                             ;   in Loop: Header=BB442_1382 Depth=1
	v_bfrev_b32_e32 v6, 1
	s_mov_b32 s13, exec_lo
	v_cmpx_ne_u16_e32 0x80, v7
	s_cbranch_execz .LBB442_2912
; %bb.2907:                             ;   in Loop: Header=BB442_1382 Depth=1
	v_and_b32_e32 v7, 0xffff, v7
	v_mov_b32_e32 v6, 0x7f800001
	s_mov_b32 s15, exec_lo
	s_delay_alu instid0(VALU_DEP_2) | instskip(NEXT) | instid1(VALU_DEP_1)
	v_and_b32_e32 v125, 0x7f, v7
	v_cmpx_ne_u32_e32 0x7f, v125
	s_cbranch_execz .LBB442_2911
; %bb.2908:                             ;   in Loop: Header=BB442_1382 Depth=1
	v_dual_mov_b32 v7, v10 :: v_dual_and_b32 v6, 7, v7
	v_lshrrev_b32_e32 v124, 3, v125
	s_mov_b32 s16, exec_lo
	v_cmpx_gt_u32_e32 8, v125
; %bb.2909:                             ;   in Loop: Header=BB442_1382 Depth=1
	s_delay_alu instid0(VALU_DEP_3) | instskip(NEXT) | instid1(VALU_DEP_1)
	v_clz_i32_u32_e32 v124, v6
	v_min_u32_e32 v124, 32, v124
	s_delay_alu instid0(VALU_DEP_1) | instskip(SKIP_1) | instid1(VALU_DEP_2)
	v_subrev_nc_u32_e32 v125, 28, v124
	v_sub_nc_u32_e32 v124, 29, v124
	v_lshlrev_b64 v[6:7], v125, v[6:7]
	s_delay_alu instid0(VALU_DEP_1)
	v_and_b32_e32 v6, 7, v6
; %bb.2910:                             ;   in Loop: Header=BB442_1382 Depth=1
	s_or_b32 exec_lo, exec_lo, s16
	v_lshlrev_b32_e32 v7, 16, v9
	s_delay_alu instid0(VALU_DEP_2) | instskip(SKIP_1) | instid1(VALU_DEP_3)
	v_lshlrev_b32_e32 v6, 20, v6
	v_lshl_add_u32 v9, v124, 23, 0x3c000000
	v_and_b32_e32 v7, 0x80000000, v7
	s_delay_alu instid0(VALU_DEP_1)
	v_or3_b32 v6, v6, v7, v9
.LBB442_2911:                           ;   in Loop: Header=BB442_1382 Depth=1
	s_or_b32 exec_lo, exec_lo, s15
.LBB442_2912:                           ;   in Loop: Header=BB442_1382 Depth=1
	s_delay_alu instid0(SALU_CYCLE_1)
	s_or_b32 exec_lo, exec_lo, s13
.LBB442_2913:                           ;   in Loop: Header=BB442_1382 Depth=1
	s_delay_alu instid0(SALU_CYCLE_1) | instskip(NEXT) | instid1(VALU_DEP_1)
	s_or_b32 exec_lo, exec_lo, s12
	v_mul_f32_e32 v6, v8, v6
                                        ; implicit-def: $vgpr124
	s_delay_alu instid0(VALU_DEP_1) | instskip(NEXT) | instid1(VALU_DEP_1)
	v_and_b32_e32 v7, 0x7f800000, v6
	v_cmp_ne_u32_e64 s0, 0x7f800000, v7
	s_delay_alu instid0(VALU_DEP_1) | instskip(NEXT) | instid1(SALU_CYCLE_1)
	s_and_saveexec_b32 s12, s0
	s_xor_b32 s0, exec_lo, s12
; %bb.2914:                             ;   in Loop: Header=BB442_1382 Depth=1
	v_bfe_u32 v7, v6, 16, 1
	s_delay_alu instid0(VALU_DEP_1)
	v_add3_u32 v124, v6, v7, 0x7fff
                                        ; implicit-def: $vgpr6
; %bb.2915:                             ;   in Loop: Header=BB442_1382 Depth=1
	s_and_not1_saveexec_b32 s12, s0
; %bb.2916:                             ;   in Loop: Header=BB442_1382 Depth=1
	v_and_b32_e32 v7, 0xffff, v6
	v_or_b32_e32 v9, 0x10000, v6
	s_delay_alu instid0(VALU_DEP_2) | instskip(NEXT) | instid1(VALU_DEP_1)
	v_cmp_eq_u32_e64 s0, 0, v7
	v_cndmask_b32_e64 v124, v9, v6, s0
; %bb.2917:                             ;   in Loop: Header=BB442_1382 Depth=1
	s_or_b32 exec_lo, exec_lo, s12
	v_lshrrev_b32_e32 v125, 16, v3
	s_mov_b32 s12, exec_lo
	s_delay_alu instid0(VALU_DEP_1) | instskip(NEXT) | instid1(VALU_DEP_1)
	v_dual_mov_b32 v6, 0 :: v_dual_and_b32 v7, 0xff, v125
	v_cmpx_ne_u16_e32 0, v7
	s_cbranch_execz .LBB442_2925
; %bb.2918:                             ;   in Loop: Header=BB442_1382 Depth=1
	v_bfrev_b32_e32 v6, 1
	s_mov_b32 s13, exec_lo
	v_cmpx_ne_u16_e32 0x80, v7
	s_cbranch_execz .LBB442_2924
; %bb.2919:                             ;   in Loop: Header=BB442_1382 Depth=1
	v_bfe_u32 v7, v3, 16, 7
	v_mov_b32_e32 v6, 0x7f800001
	s_mov_b32 s15, exec_lo
	s_delay_alu instid0(VALU_DEP_2)
	v_cmpx_ne_u32_e32 0x7f, v7
	s_cbranch_execz .LBB442_2923
; %bb.2920:                             ;   in Loop: Header=BB442_1382 Depth=1
	v_and_b32_e32 v9, 7, v125
	v_lshrrev_b32_e32 v126, 3, v7
	v_cmp_gt_u32_e64 s0, 8, v7
	s_delay_alu instid0(VALU_DEP_3) | instskip(NEXT) | instid1(VALU_DEP_2)
	v_dual_mov_b32 v6, v9 :: v_dual_mov_b32 v7, v10
	s_and_saveexec_b32 s16, s0
; %bb.2921:                             ;   in Loop: Header=BB442_1382 Depth=1
	v_clz_i32_u32_e32 v6, v9
	s_delay_alu instid0(VALU_DEP_1) | instskip(NEXT) | instid1(VALU_DEP_1)
	v_min_u32_e32 v126, 32, v6
	v_subrev_nc_u32_e32 v6, 28, v126
	v_sub_nc_u32_e32 v126, 29, v126
	s_delay_alu instid0(VALU_DEP_2) | instskip(NEXT) | instid1(VALU_DEP_1)
	v_lshlrev_b64 v[6:7], v6, v[9:10]
	v_and_b32_e32 v6, 7, v6
; %bb.2922:                             ;   in Loop: Header=BB442_1382 Depth=1
	s_or_b32 exec_lo, exec_lo, s16
	v_lshlrev_b32_e32 v7, 24, v125
	s_delay_alu instid0(VALU_DEP_2) | instskip(SKIP_1) | instid1(VALU_DEP_3)
	v_lshlrev_b32_e32 v6, 20, v6
	v_lshl_add_u32 v9, v126, 23, 0x3c000000
	v_and_b32_e32 v7, 0x80000000, v7
	s_delay_alu instid0(VALU_DEP_1)
	v_or3_b32 v6, v6, v7, v9
.LBB442_2923:                           ;   in Loop: Header=BB442_1382 Depth=1
	s_or_b32 exec_lo, exec_lo, s15
.LBB442_2924:                           ;   in Loop: Header=BB442_1382 Depth=1
	s_delay_alu instid0(SALU_CYCLE_1)
	s_or_b32 exec_lo, exec_lo, s13
.LBB442_2925:                           ;   in Loop: Header=BB442_1382 Depth=1
	s_delay_alu instid0(SALU_CYCLE_1) | instskip(NEXT) | instid1(VALU_DEP_1)
	s_or_b32 exec_lo, exec_lo, s12
	v_mul_f32_e32 v6, v8, v6
                                        ; implicit-def: $vgpr125
	s_delay_alu instid0(VALU_DEP_1) | instskip(NEXT) | instid1(VALU_DEP_1)
	v_and_b32_e32 v7, 0x7f800000, v6
	v_cmp_ne_u32_e64 s0, 0x7f800000, v7
	s_delay_alu instid0(VALU_DEP_1) | instskip(NEXT) | instid1(SALU_CYCLE_1)
	s_and_saveexec_b32 s12, s0
	s_xor_b32 s0, exec_lo, s12
; %bb.2926:                             ;   in Loop: Header=BB442_1382 Depth=1
	v_bfe_u32 v7, v6, 16, 1
	s_delay_alu instid0(VALU_DEP_1)
	v_add3_u32 v125, v6, v7, 0x7fff
                                        ; implicit-def: $vgpr6
; %bb.2927:                             ;   in Loop: Header=BB442_1382 Depth=1
	s_and_not1_saveexec_b32 s12, s0
; %bb.2928:                             ;   in Loop: Header=BB442_1382 Depth=1
	v_and_b32_e32 v7, 0xffff, v6
	v_or_b32_e32 v9, 0x10000, v6
	s_delay_alu instid0(VALU_DEP_2) | instskip(NEXT) | instid1(VALU_DEP_1)
	v_cmp_eq_u32_e64 s0, 0, v7
	v_cndmask_b32_e64 v125, v9, v6, s0
; %bb.2929:                             ;   in Loop: Header=BB442_1382 Depth=1
	s_or_b32 exec_lo, exec_lo, s12
	v_cmp_lt_u64_e64 s0, s[8:9], v[2:3]
	v_mov_b32_e32 v2, 0
	s_delay_alu instid0(VALU_DEP_2)
	s_and_saveexec_b32 s12, s0
	s_cbranch_execz .LBB442_2937
; %bb.2930:                             ;   in Loop: Header=BB442_1382 Depth=1
	v_lshrrev_b32_e32 v6, 24, v3
	v_bfrev_b32_e32 v2, 1
	s_mov_b32 s13, exec_lo
	s_delay_alu instid0(VALU_DEP_2)
	v_cmpx_ne_u32_e32 0x80, v6
	s_cbranch_execz .LBB442_2936
; %bb.2931:                             ;   in Loop: Header=BB442_1382 Depth=1
	v_bfe_u32 v3, v3, 24, 7
	v_mov_b32_e32 v2, 0x7f800001
	s_mov_b32 s15, exec_lo
	s_delay_alu instid0(VALU_DEP_2)
	v_cmpx_ne_u32_e32 0x7f, v3
	s_cbranch_execz .LBB442_2935
; %bb.2932:                             ;   in Loop: Header=BB442_1382 Depth=1
	v_and_b32_e32 v9, 7, v6
	v_lshrrev_b32_e32 v7, 3, v3
	v_cmp_gt_u32_e64 s0, 8, v3
	s_delay_alu instid0(VALU_DEP_3) | instskip(NEXT) | instid1(VALU_DEP_2)
	v_dual_mov_b32 v2, v9 :: v_dual_mov_b32 v3, v10
	s_and_saveexec_b32 s16, s0
; %bb.2933:                             ;   in Loop: Header=BB442_1382 Depth=1
	v_clz_i32_u32_e32 v2, v9
	s_delay_alu instid0(VALU_DEP_1) | instskip(NEXT) | instid1(VALU_DEP_1)
	v_min_u32_e32 v7, 32, v2
	v_subrev_nc_u32_e32 v2, 28, v7
	v_sub_nc_u32_e32 v7, 29, v7
	s_delay_alu instid0(VALU_DEP_2) | instskip(NEXT) | instid1(VALU_DEP_1)
	v_lshlrev_b64 v[2:3], v2, v[9:10]
	v_and_b32_e32 v2, 7, v2
; %bb.2934:                             ;   in Loop: Header=BB442_1382 Depth=1
	s_or_b32 exec_lo, exec_lo, s16
	v_lshlrev_b32_e32 v3, 24, v6
	s_delay_alu instid0(VALU_DEP_2) | instskip(SKIP_1) | instid1(VALU_DEP_3)
	v_lshlrev_b32_e32 v2, 20, v2
	v_lshl_add_u32 v6, v7, 23, 0x3c000000
	v_and_b32_e32 v3, 0x80000000, v3
	s_delay_alu instid0(VALU_DEP_1)
	v_or3_b32 v2, v2, v3, v6
.LBB442_2935:                           ;   in Loop: Header=BB442_1382 Depth=1
	s_or_b32 exec_lo, exec_lo, s15
.LBB442_2936:                           ;   in Loop: Header=BB442_1382 Depth=1
	s_delay_alu instid0(SALU_CYCLE_1)
	s_or_b32 exec_lo, exec_lo, s13
.LBB442_2937:                           ;   in Loop: Header=BB442_1382 Depth=1
	s_delay_alu instid0(SALU_CYCLE_1) | instskip(NEXT) | instid1(VALU_DEP_1)
	s_or_b32 exec_lo, exec_lo, s12
	v_mul_f32_e32 v3, v8, v2
	s_delay_alu instid0(VALU_DEP_1) | instskip(NEXT) | instid1(VALU_DEP_1)
	v_and_b32_e32 v2, 0x7f800000, v3
	v_cmp_ne_u32_e64 s0, 0x7f800000, v2
                                        ; implicit-def: $vgpr2
	s_delay_alu instid0(VALU_DEP_1) | instskip(NEXT) | instid1(SALU_CYCLE_1)
	s_and_saveexec_b32 s12, s0
	s_xor_b32 s0, exec_lo, s12
; %bb.2938:                             ;   in Loop: Header=BB442_1382 Depth=1
	v_bfe_u32 v2, v3, 16, 1
	s_delay_alu instid0(VALU_DEP_1)
	v_add3_u32 v2, v3, v2, 0x7fff
                                        ; implicit-def: $vgpr3
; %bb.2939:                             ;   in Loop: Header=BB442_1382 Depth=1
	s_and_not1_saveexec_b32 s12, s0
; %bb.2940:                             ;   in Loop: Header=BB442_1382 Depth=1
	v_and_b32_e32 v2, 0xffff, v3
	v_or_b32_e32 v6, 0x10000, v3
	s_delay_alu instid0(VALU_DEP_2) | instskip(NEXT) | instid1(VALU_DEP_1)
	v_cmp_eq_u32_e64 s0, 0, v2
	v_cndmask_b32_e64 v2, v6, v3, s0
; %bb.2941:                             ;   in Loop: Header=BB442_1382 Depth=1
	s_or_b32 exec_lo, exec_lo, s12
	v_lshrrev_b32_e32 v6, 16, v124
	v_lshrrev_b32_e32 v7, 16, v123
	;; [unrolled: 1-line block ×8, first 2 shown]
	s_and_saveexec_b32 s12, vcc_lo
	s_cbranch_execz .LBB442_2943
; %bb.2942:                             ;   in Loop: Header=BB442_1382 Depth=1
	v_cmp_lt_i32_e64 s0, v84, v38
	s_delay_alu instid0(VALU_DEP_1) | instskip(SKIP_1) | instid1(VALU_DEP_1)
	v_cndmask_b32_e64 v111, 0, v111, s0
	v_cmp_lt_i32_e64 s0, v99, v38
	v_cndmask_b32_e64 v120, 0, v120, s0
	v_cmp_lt_i32_e64 s0, v98, v38
	s_delay_alu instid0(VALU_DEP_1) | instskip(SKIP_1) | instid1(VALU_DEP_1)
	v_cndmask_b32_e64 v121, 0, v121, s0
	v_cmp_lt_i32_e64 s0, v97, v38
	v_cndmask_b32_e64 v9, 0, v9, s0
	;; [unrolled: 5-line block ×4, first 2 shown]
.LBB442_2943:                           ;   in Loop: Header=BB442_1382 Depth=1
	s_or_b32 exec_lo, exec_lo, s12
	v_lshlrev_b32_e32 v111, 16, v111
	s_delay_alu instid0(VALU_DEP_1) | instskip(NEXT) | instid1(VALU_DEP_1)
	v_mul_f32_e32 v122, v100, v111
	v_and_b32_e32 v111, 0x7f800000, v122
	s_delay_alu instid0(VALU_DEP_1) | instskip(NEXT) | instid1(VALU_DEP_1)
	v_cmp_ne_u32_e64 s0, 0x7f800000, v111
                                        ; implicit-def: $vgpr111
	s_and_saveexec_b32 s12, s0
	s_delay_alu instid0(SALU_CYCLE_1)
	s_xor_b32 s0, exec_lo, s12
; %bb.2944:                             ;   in Loop: Header=BB442_1382 Depth=1
	v_bfe_u32 v111, v122, 16, 1
	s_delay_alu instid0(VALU_DEP_1)
	v_add3_u32 v111, v122, v111, 0x7fff
                                        ; implicit-def: $vgpr122
; %bb.2945:                             ;   in Loop: Header=BB442_1382 Depth=1
	s_and_not1_saveexec_b32 s12, s0
; %bb.2946:                             ;   in Loop: Header=BB442_1382 Depth=1
	v_and_b32_e32 v111, 0xffff, v122
	v_or_b32_e32 v123, 0x10000, v122
	s_delay_alu instid0(VALU_DEP_2) | instskip(NEXT) | instid1(VALU_DEP_1)
	v_cmp_eq_u32_e64 s0, 0, v111
	v_cndmask_b32_e64 v111, v123, v122, s0
; %bb.2947:                             ;   in Loop: Header=BB442_1382 Depth=1
	s_or_b32 exec_lo, exec_lo, s12
	v_lshlrev_b32_e32 v120, 16, v120
	s_delay_alu instid0(VALU_DEP_1) | instskip(NEXT) | instid1(VALU_DEP_1)
	v_mul_f32_e32 v122, v101, v120
	v_and_b32_e32 v120, 0x7f800000, v122
	s_delay_alu instid0(VALU_DEP_1) | instskip(NEXT) | instid1(VALU_DEP_1)
	v_cmp_ne_u32_e64 s0, 0x7f800000, v120
                                        ; implicit-def: $vgpr120
	s_and_saveexec_b32 s12, s0
	s_delay_alu instid0(SALU_CYCLE_1)
	s_xor_b32 s0, exec_lo, s12
; %bb.2948:                             ;   in Loop: Header=BB442_1382 Depth=1
	v_bfe_u32 v120, v122, 16, 1
	s_delay_alu instid0(VALU_DEP_1)
	v_add3_u32 v120, v122, v120, 0x7fff
                                        ; implicit-def: $vgpr122
; %bb.2949:                             ;   in Loop: Header=BB442_1382 Depth=1
	s_and_not1_saveexec_b32 s12, s0
; %bb.2950:                             ;   in Loop: Header=BB442_1382 Depth=1
	v_and_b32_e32 v120, 0xffff, v122
	v_or_b32_e32 v123, 0x10000, v122
	s_delay_alu instid0(VALU_DEP_2) | instskip(NEXT) | instid1(VALU_DEP_1)
	v_cmp_eq_u32_e64 s0, 0, v120
	v_cndmask_b32_e64 v120, v123, v122, s0
; %bb.2951:                             ;   in Loop: Header=BB442_1382 Depth=1
	s_or_b32 exec_lo, exec_lo, s12
	v_lshlrev_b32_e32 v121, 16, v121
	s_delay_alu instid0(VALU_DEP_1) | instskip(NEXT) | instid1(VALU_DEP_1)
	v_mul_f32_e32 v122, v102, v121
	v_and_b32_e32 v121, 0x7f800000, v122
	s_delay_alu instid0(VALU_DEP_1) | instskip(NEXT) | instid1(VALU_DEP_1)
	v_cmp_ne_u32_e64 s0, 0x7f800000, v121
                                        ; implicit-def: $vgpr121
	s_and_saveexec_b32 s12, s0
	s_delay_alu instid0(SALU_CYCLE_1)
	s_xor_b32 s0, exec_lo, s12
; %bb.2952:                             ;   in Loop: Header=BB442_1382 Depth=1
	v_bfe_u32 v121, v122, 16, 1
	s_delay_alu instid0(VALU_DEP_1)
	v_add3_u32 v121, v122, v121, 0x7fff
                                        ; implicit-def: $vgpr122
; %bb.2953:                             ;   in Loop: Header=BB442_1382 Depth=1
	s_and_not1_saveexec_b32 s12, s0
; %bb.2954:                             ;   in Loop: Header=BB442_1382 Depth=1
	v_and_b32_e32 v121, 0xffff, v122
	v_or_b32_e32 v123, 0x10000, v122
	s_delay_alu instid0(VALU_DEP_2) | instskip(NEXT) | instid1(VALU_DEP_1)
	v_cmp_eq_u32_e64 s0, 0, v121
	v_cndmask_b32_e64 v121, v123, v122, s0
; %bb.2955:                             ;   in Loop: Header=BB442_1382 Depth=1
	s_or_b32 exec_lo, exec_lo, s12
	v_lshlrev_b32_e32 v9, 16, v9
	s_delay_alu instid0(VALU_DEP_1) | instskip(NEXT) | instid1(VALU_DEP_1)
	v_mul_f32_e32 v9, v103, v9
	v_and_b32_e32 v122, 0x7f800000, v9
	s_delay_alu instid0(VALU_DEP_1) | instskip(NEXT) | instid1(VALU_DEP_1)
	v_cmp_ne_u32_e64 s0, 0x7f800000, v122
                                        ; implicit-def: $vgpr122
	s_and_saveexec_b32 s12, s0
	s_delay_alu instid0(SALU_CYCLE_1)
	s_xor_b32 s0, exec_lo, s12
; %bb.2956:                             ;   in Loop: Header=BB442_1382 Depth=1
	v_bfe_u32 v122, v9, 16, 1
	s_delay_alu instid0(VALU_DEP_1)
	v_add3_u32 v122, v9, v122, 0x7fff
                                        ; implicit-def: $vgpr9
; %bb.2957:                             ;   in Loop: Header=BB442_1382 Depth=1
	s_and_not1_saveexec_b32 s12, s0
; %bb.2958:                             ;   in Loop: Header=BB442_1382 Depth=1
	v_and_b32_e32 v122, 0xffff, v9
	v_or_b32_e32 v123, 0x10000, v9
	s_delay_alu instid0(VALU_DEP_2) | instskip(NEXT) | instid1(VALU_DEP_1)
	v_cmp_eq_u32_e64 s0, 0, v122
	v_cndmask_b32_e64 v122, v123, v9, s0
; %bb.2959:                             ;   in Loop: Header=BB442_1382 Depth=1
	s_or_b32 exec_lo, exec_lo, s12
	v_lshlrev_b32_e32 v7, 16, v7
                                        ; implicit-def: $vgpr123
	s_delay_alu instid0(VALU_DEP_1) | instskip(NEXT) | instid1(VALU_DEP_1)
	v_mul_f32_e32 v7, v112, v7
	v_and_b32_e32 v9, 0x7f800000, v7
	s_delay_alu instid0(VALU_DEP_1) | instskip(NEXT) | instid1(VALU_DEP_1)
	v_cmp_ne_u32_e64 s0, 0x7f800000, v9
	s_and_saveexec_b32 s12, s0
	s_delay_alu instid0(SALU_CYCLE_1)
	s_xor_b32 s0, exec_lo, s12
; %bb.2960:                             ;   in Loop: Header=BB442_1382 Depth=1
	v_bfe_u32 v9, v7, 16, 1
	s_delay_alu instid0(VALU_DEP_1)
	v_add3_u32 v123, v7, v9, 0x7fff
                                        ; implicit-def: $vgpr7
; %bb.2961:                             ;   in Loop: Header=BB442_1382 Depth=1
	s_and_not1_saveexec_b32 s12, s0
; %bb.2962:                             ;   in Loop: Header=BB442_1382 Depth=1
	v_and_b32_e32 v9, 0xffff, v7
	v_or_b32_e32 v123, 0x10000, v7
	s_delay_alu instid0(VALU_DEP_2) | instskip(NEXT) | instid1(VALU_DEP_1)
	v_cmp_eq_u32_e64 s0, 0, v9
	v_cndmask_b32_e64 v123, v123, v7, s0
; %bb.2963:                             ;   in Loop: Header=BB442_1382 Depth=1
	s_or_b32 exec_lo, exec_lo, s12
	v_lshlrev_b32_e32 v6, 16, v6
                                        ; implicit-def: $vgpr124
	s_delay_alu instid0(VALU_DEP_1) | instskip(NEXT) | instid1(VALU_DEP_1)
	v_mul_f32_e32 v6, v113, v6
	v_and_b32_e32 v7, 0x7f800000, v6
	s_delay_alu instid0(VALU_DEP_1) | instskip(NEXT) | instid1(VALU_DEP_1)
	v_cmp_ne_u32_e64 s0, 0x7f800000, v7
	s_and_saveexec_b32 s12, s0
	s_delay_alu instid0(SALU_CYCLE_1)
	s_xor_b32 s0, exec_lo, s12
; %bb.2964:                             ;   in Loop: Header=BB442_1382 Depth=1
	v_bfe_u32 v7, v6, 16, 1
	s_delay_alu instid0(VALU_DEP_1)
	v_add3_u32 v124, v6, v7, 0x7fff
                                        ; implicit-def: $vgpr6
; %bb.2965:                             ;   in Loop: Header=BB442_1382 Depth=1
	s_and_not1_saveexec_b32 s12, s0
; %bb.2966:                             ;   in Loop: Header=BB442_1382 Depth=1
	v_and_b32_e32 v7, 0xffff, v6
	v_or_b32_e32 v9, 0x10000, v6
	s_delay_alu instid0(VALU_DEP_2) | instskip(NEXT) | instid1(VALU_DEP_1)
	v_cmp_eq_u32_e64 s0, 0, v7
	v_cndmask_b32_e64 v124, v9, v6, s0
; %bb.2967:                             ;   in Loop: Header=BB442_1382 Depth=1
	s_or_b32 exec_lo, exec_lo, s12
	v_lshlrev_b32_e32 v3, 16, v3
                                        ; implicit-def: $vgpr125
	s_delay_alu instid0(VALU_DEP_1) | instskip(NEXT) | instid1(VALU_DEP_1)
	v_mul_f32_e32 v3, v114, v3
	v_and_b32_e32 v6, 0x7f800000, v3
	s_delay_alu instid0(VALU_DEP_1) | instskip(NEXT) | instid1(VALU_DEP_1)
	v_cmp_ne_u32_e64 s0, 0x7f800000, v6
	s_and_saveexec_b32 s12, s0
	s_delay_alu instid0(SALU_CYCLE_1)
	s_xor_b32 s0, exec_lo, s12
; %bb.2968:                             ;   in Loop: Header=BB442_1382 Depth=1
	v_bfe_u32 v6, v3, 16, 1
	s_delay_alu instid0(VALU_DEP_1)
	v_add3_u32 v125, v3, v6, 0x7fff
                                        ; implicit-def: $vgpr3
; %bb.2969:                             ;   in Loop: Header=BB442_1382 Depth=1
	s_and_not1_saveexec_b32 s12, s0
; %bb.2970:                             ;   in Loop: Header=BB442_1382 Depth=1
	v_and_b32_e32 v6, 0xffff, v3
	v_or_b32_e32 v7, 0x10000, v3
	s_delay_alu instid0(VALU_DEP_2) | instskip(NEXT) | instid1(VALU_DEP_1)
	v_cmp_eq_u32_e64 s0, 0, v6
	v_cndmask_b32_e64 v125, v7, v3, s0
; %bb.2971:                             ;   in Loop: Header=BB442_1382 Depth=1
	s_or_b32 exec_lo, exec_lo, s12
	v_lshlrev_b32_e32 v2, 16, v2
                                        ; implicit-def: $vgpr126
	s_delay_alu instid0(VALU_DEP_1) | instskip(NEXT) | instid1(VALU_DEP_1)
	v_mul_f32_e32 v2, v115, v2
	v_and_b32_e32 v3, 0x7f800000, v2
	s_delay_alu instid0(VALU_DEP_1) | instskip(NEXT) | instid1(VALU_DEP_1)
	v_cmp_ne_u32_e64 s0, 0x7f800000, v3
	s_and_saveexec_b32 s12, s0
	s_delay_alu instid0(SALU_CYCLE_1)
	s_xor_b32 s0, exec_lo, s12
; %bb.2972:                             ;   in Loop: Header=BB442_1382 Depth=1
	v_bfe_u32 v3, v2, 16, 1
	s_delay_alu instid0(VALU_DEP_1)
	v_add3_u32 v126, v2, v3, 0x7fff
                                        ; implicit-def: $vgpr2
; %bb.2973:                             ;   in Loop: Header=BB442_1382 Depth=1
	s_and_not1_saveexec_b32 s12, s0
; %bb.2974:                             ;   in Loop: Header=BB442_1382 Depth=1
	v_and_b32_e32 v3, 0xffff, v2
	v_or_b32_e32 v6, 0x10000, v2
	s_delay_alu instid0(VALU_DEP_2) | instskip(NEXT) | instid1(VALU_DEP_1)
	v_cmp_eq_u32_e64 s0, 0, v3
	v_cndmask_b32_e64 v126, v6, v2, s0
; %bb.2975:                             ;   in Loop: Header=BB442_1382 Depth=1
	s_or_b32 exec_lo, exec_lo, s12
	flat_load_b64 v[2:3], v[0:1] offset:3072
	s_mov_b32 s12, exec_lo
	s_waitcnt vmcnt(0) lgkmcnt(0)
	v_dual_mov_b32 v6, 0 :: v_dual_and_b32 v7, 0xff, v2
	s_delay_alu instid0(VALU_DEP_1)
	v_cmpx_ne_u16_e32 0, v7
	s_cbranch_execz .LBB442_2983
; %bb.2976:                             ;   in Loop: Header=BB442_1382 Depth=1
	v_bfrev_b32_e32 v6, 1
	s_mov_b32 s13, exec_lo
	v_cmpx_ne_u16_e32 0x80, v7
	s_cbranch_execz .LBB442_2982
; %bb.2977:                             ;   in Loop: Header=BB442_1382 Depth=1
	v_and_b32_e32 v7, 0x7f, v2
	v_mov_b32_e32 v6, 0x7f800001
	s_mov_b32 s15, exec_lo
	s_delay_alu instid0(VALU_DEP_2)
	v_cmpx_ne_u32_e32 0x7f, v7
	s_cbranch_execz .LBB442_2981
; %bb.2978:                             ;   in Loop: Header=BB442_1382 Depth=1
	v_lshrrev_b32_e32 v9, 3, v7
	v_cmp_gt_u32_e64 s0, 8, v7
	v_dual_mov_b32 v7, v3 :: v_dual_mov_b32 v6, v2
	s_delay_alu instid0(VALU_DEP_2)
	s_and_saveexec_b32 s16, s0
; %bb.2979:                             ;   in Loop: Header=BB442_1382 Depth=1
	v_and_b32_e32 v6, 7, v2
	s_delay_alu instid0(VALU_DEP_1) | instskip(NEXT) | instid1(VALU_DEP_1)
	v_clz_i32_u32_e32 v6, v6
	v_min_u32_e32 v9, 32, v6
	s_delay_alu instid0(VALU_DEP_1) | instskip(SKIP_1) | instid1(VALU_DEP_2)
	v_subrev_nc_u32_e32 v6, 28, v9
	v_sub_nc_u32_e32 v9, 29, v9
	v_lshlrev_b64 v[6:7], v6, v[2:3]
; %bb.2980:                             ;   in Loop: Header=BB442_1382 Depth=1
	s_or_b32 exec_lo, exec_lo, s16
	s_delay_alu instid0(VALU_DEP_1) | instskip(SKIP_2) | instid1(VALU_DEP_3)
	v_lshlrev_b32_e32 v6, 20, v6
	v_lshlrev_b32_e32 v7, 24, v2
	v_lshl_add_u32 v9, v9, 23, 0x3c000000
	v_and_b32_e32 v6, 0x700000, v6
	s_delay_alu instid0(VALU_DEP_3) | instskip(NEXT) | instid1(VALU_DEP_1)
	v_and_b32_e32 v7, 0x80000000, v7
	v_or3_b32 v6, v6, v7, v9
.LBB442_2981:                           ;   in Loop: Header=BB442_1382 Depth=1
	s_or_b32 exec_lo, exec_lo, s15
.LBB442_2982:                           ;   in Loop: Header=BB442_1382 Depth=1
	s_delay_alu instid0(SALU_CYCLE_1)
	s_or_b32 exec_lo, exec_lo, s13
.LBB442_2983:                           ;   in Loop: Header=BB442_1382 Depth=1
	s_delay_alu instid0(SALU_CYCLE_1) | instskip(NEXT) | instid1(VALU_DEP_1)
	s_or_b32 exec_lo, exec_lo, s12
	v_mul_f32_e32 v6, v8, v6
                                        ; implicit-def: $vgpr127
	s_delay_alu instid0(VALU_DEP_1) | instskip(NEXT) | instid1(VALU_DEP_1)
	v_and_b32_e32 v7, 0x7f800000, v6
	v_cmp_ne_u32_e64 s0, 0x7f800000, v7
	s_delay_alu instid0(VALU_DEP_1) | instskip(NEXT) | instid1(SALU_CYCLE_1)
	s_and_saveexec_b32 s12, s0
	s_xor_b32 s0, exec_lo, s12
; %bb.2984:                             ;   in Loop: Header=BB442_1382 Depth=1
	v_bfe_u32 v7, v6, 16, 1
	s_delay_alu instid0(VALU_DEP_1)
	v_add3_u32 v127, v6, v7, 0x7fff
                                        ; implicit-def: $vgpr6
; %bb.2985:                             ;   in Loop: Header=BB442_1382 Depth=1
	s_and_not1_saveexec_b32 s12, s0
; %bb.2986:                             ;   in Loop: Header=BB442_1382 Depth=1
	v_and_b32_e32 v7, 0xffff, v6
	v_or_b32_e32 v9, 0x10000, v6
	s_delay_alu instid0(VALU_DEP_2) | instskip(NEXT) | instid1(VALU_DEP_1)
	v_cmp_eq_u32_e64 s0, 0, v7
	v_cndmask_b32_e64 v127, v9, v6, s0
; %bb.2987:                             ;   in Loop: Header=BB442_1382 Depth=1
	s_or_b32 exec_lo, exec_lo, s12
	v_lshrrev_b16 v7, 8, v2
	v_mov_b32_e32 v6, 0
	s_mov_b32 s12, exec_lo
	s_delay_alu instid0(VALU_DEP_2)
	v_cmpx_ne_u16_e32 0, v7
	s_cbranch_execz .LBB442_2995
; %bb.2988:                             ;   in Loop: Header=BB442_1382 Depth=1
	v_bfrev_b32_e32 v6, 1
	s_mov_b32 s13, exec_lo
	v_cmpx_ne_u16_e32 0x80, v7
	s_cbranch_execz .LBB442_2994
; %bb.2989:                             ;   in Loop: Header=BB442_1382 Depth=1
	v_and_b32_e32 v9, 0xffff, v7
	v_mov_b32_e32 v6, 0x7f800001
	s_mov_b32 s15, exec_lo
	s_delay_alu instid0(VALU_DEP_2) | instskip(NEXT) | instid1(VALU_DEP_1)
	v_and_b32_e32 v7, 0x7f, v9
	v_cmpx_ne_u32_e32 0x7f, v7
	s_cbranch_execz .LBB442_2993
; %bb.2990:                             ;   in Loop: Header=BB442_1382 Depth=1
	v_and_b32_e32 v9, 7, v9
	v_lshrrev_b32_e32 v136, 3, v7
	v_cmp_gt_u32_e64 s0, 8, v7
	s_delay_alu instid0(VALU_DEP_3) | instskip(NEXT) | instid1(VALU_DEP_2)
	v_dual_mov_b32 v6, v9 :: v_dual_mov_b32 v7, v10
	s_and_saveexec_b32 s16, s0
; %bb.2991:                             ;   in Loop: Header=BB442_1382 Depth=1
	v_clz_i32_u32_e32 v6, v9
	s_delay_alu instid0(VALU_DEP_1) | instskip(NEXT) | instid1(VALU_DEP_1)
	v_min_u32_e32 v136, 32, v6
	v_subrev_nc_u32_e32 v6, 28, v136
	v_sub_nc_u32_e32 v136, 29, v136
	s_delay_alu instid0(VALU_DEP_2) | instskip(NEXT) | instid1(VALU_DEP_1)
	v_lshlrev_b64 v[6:7], v6, v[9:10]
	v_and_b32_e32 v6, 7, v6
; %bb.2992:                             ;   in Loop: Header=BB442_1382 Depth=1
	s_or_b32 exec_lo, exec_lo, s16
	v_lshlrev_b32_e32 v7, 16, v2
	s_delay_alu instid0(VALU_DEP_2) | instskip(SKIP_1) | instid1(VALU_DEP_3)
	v_lshlrev_b32_e32 v6, 20, v6
	v_lshl_add_u32 v9, v136, 23, 0x3c000000
	v_and_b32_e32 v7, 0x80000000, v7
	s_delay_alu instid0(VALU_DEP_1)
	v_or3_b32 v6, v6, v7, v9
.LBB442_2993:                           ;   in Loop: Header=BB442_1382 Depth=1
	s_or_b32 exec_lo, exec_lo, s15
.LBB442_2994:                           ;   in Loop: Header=BB442_1382 Depth=1
	s_delay_alu instid0(SALU_CYCLE_1)
	s_or_b32 exec_lo, exec_lo, s13
.LBB442_2995:                           ;   in Loop: Header=BB442_1382 Depth=1
	s_delay_alu instid0(SALU_CYCLE_1) | instskip(NEXT) | instid1(VALU_DEP_1)
	s_or_b32 exec_lo, exec_lo, s12
	v_mul_f32_e32 v6, v8, v6
                                        ; implicit-def: $vgpr136
	s_delay_alu instid0(VALU_DEP_1) | instskip(NEXT) | instid1(VALU_DEP_1)
	v_and_b32_e32 v7, 0x7f800000, v6
	v_cmp_ne_u32_e64 s0, 0x7f800000, v7
	s_delay_alu instid0(VALU_DEP_1) | instskip(NEXT) | instid1(SALU_CYCLE_1)
	s_and_saveexec_b32 s12, s0
	s_xor_b32 s0, exec_lo, s12
; %bb.2996:                             ;   in Loop: Header=BB442_1382 Depth=1
	v_bfe_u32 v7, v6, 16, 1
	s_delay_alu instid0(VALU_DEP_1)
	v_add3_u32 v136, v6, v7, 0x7fff
                                        ; implicit-def: $vgpr6
; %bb.2997:                             ;   in Loop: Header=BB442_1382 Depth=1
	s_and_not1_saveexec_b32 s12, s0
; %bb.2998:                             ;   in Loop: Header=BB442_1382 Depth=1
	v_and_b32_e32 v7, 0xffff, v6
	v_or_b32_e32 v9, 0x10000, v6
	s_delay_alu instid0(VALU_DEP_2) | instskip(NEXT) | instid1(VALU_DEP_1)
	v_cmp_eq_u32_e64 s0, 0, v7
	v_cndmask_b32_e64 v136, v9, v6, s0
; %bb.2999:                             ;   in Loop: Header=BB442_1382 Depth=1
	s_or_b32 exec_lo, exec_lo, s12
	v_lshrrev_b32_e32 v137, 16, v2
	s_mov_b32 s12, exec_lo
	s_delay_alu instid0(VALU_DEP_1) | instskip(NEXT) | instid1(VALU_DEP_1)
	v_dual_mov_b32 v6, 0 :: v_dual_and_b32 v7, 0xff, v137
	v_cmpx_ne_u16_e32 0, v7
	s_cbranch_execz .LBB442_3007
; %bb.3000:                             ;   in Loop: Header=BB442_1382 Depth=1
	v_bfrev_b32_e32 v6, 1
	s_mov_b32 s13, exec_lo
	v_cmpx_ne_u16_e32 0x80, v7
	s_cbranch_execz .LBB442_3006
; %bb.3001:                             ;   in Loop: Header=BB442_1382 Depth=1
	v_bfe_u32 v7, v2, 16, 7
	v_mov_b32_e32 v6, 0x7f800001
	s_mov_b32 s15, exec_lo
	s_delay_alu instid0(VALU_DEP_2)
	v_cmpx_ne_u32_e32 0x7f, v7
	s_cbranch_execz .LBB442_3005
; %bb.3002:                             ;   in Loop: Header=BB442_1382 Depth=1
	v_and_b32_e32 v9, 7, v137
	v_lshrrev_b32_e32 v138, 3, v7
	v_cmp_gt_u32_e64 s0, 8, v7
	s_delay_alu instid0(VALU_DEP_3) | instskip(NEXT) | instid1(VALU_DEP_2)
	v_dual_mov_b32 v6, v9 :: v_dual_mov_b32 v7, v10
	s_and_saveexec_b32 s16, s0
; %bb.3003:                             ;   in Loop: Header=BB442_1382 Depth=1
	v_clz_i32_u32_e32 v6, v9
	s_delay_alu instid0(VALU_DEP_1) | instskip(NEXT) | instid1(VALU_DEP_1)
	v_min_u32_e32 v138, 32, v6
	v_subrev_nc_u32_e32 v6, 28, v138
	v_sub_nc_u32_e32 v138, 29, v138
	s_delay_alu instid0(VALU_DEP_2) | instskip(NEXT) | instid1(VALU_DEP_1)
	v_lshlrev_b64 v[6:7], v6, v[9:10]
	v_and_b32_e32 v6, 7, v6
; %bb.3004:                             ;   in Loop: Header=BB442_1382 Depth=1
	s_or_b32 exec_lo, exec_lo, s16
	v_lshlrev_b32_e32 v7, 24, v137
	s_delay_alu instid0(VALU_DEP_2) | instskip(SKIP_1) | instid1(VALU_DEP_3)
	v_lshlrev_b32_e32 v6, 20, v6
	v_lshl_add_u32 v9, v138, 23, 0x3c000000
	v_and_b32_e32 v7, 0x80000000, v7
	s_delay_alu instid0(VALU_DEP_1)
	v_or3_b32 v6, v6, v7, v9
.LBB442_3005:                           ;   in Loop: Header=BB442_1382 Depth=1
	s_or_b32 exec_lo, exec_lo, s15
.LBB442_3006:                           ;   in Loop: Header=BB442_1382 Depth=1
	s_delay_alu instid0(SALU_CYCLE_1)
	s_or_b32 exec_lo, exec_lo, s13
.LBB442_3007:                           ;   in Loop: Header=BB442_1382 Depth=1
	s_delay_alu instid0(SALU_CYCLE_1) | instskip(NEXT) | instid1(VALU_DEP_1)
	s_or_b32 exec_lo, exec_lo, s12
	v_mul_f32_e32 v6, v8, v6
                                        ; implicit-def: $vgpr137
	s_delay_alu instid0(VALU_DEP_1) | instskip(NEXT) | instid1(VALU_DEP_1)
	v_and_b32_e32 v7, 0x7f800000, v6
	v_cmp_ne_u32_e64 s0, 0x7f800000, v7
	s_delay_alu instid0(VALU_DEP_1) | instskip(NEXT) | instid1(SALU_CYCLE_1)
	s_and_saveexec_b32 s12, s0
	s_xor_b32 s0, exec_lo, s12
; %bb.3008:                             ;   in Loop: Header=BB442_1382 Depth=1
	v_bfe_u32 v7, v6, 16, 1
	s_delay_alu instid0(VALU_DEP_1)
	v_add3_u32 v137, v6, v7, 0x7fff
                                        ; implicit-def: $vgpr6
; %bb.3009:                             ;   in Loop: Header=BB442_1382 Depth=1
	s_and_not1_saveexec_b32 s12, s0
; %bb.3010:                             ;   in Loop: Header=BB442_1382 Depth=1
	v_and_b32_e32 v7, 0xffff, v6
	v_or_b32_e32 v9, 0x10000, v6
	s_delay_alu instid0(VALU_DEP_2) | instskip(NEXT) | instid1(VALU_DEP_1)
	v_cmp_eq_u32_e64 s0, 0, v7
	v_cndmask_b32_e64 v137, v9, v6, s0
; %bb.3011:                             ;   in Loop: Header=BB442_1382 Depth=1
	s_or_b32 exec_lo, exec_lo, s12
	v_mov_b32_e32 v6, 0
	s_mov_b32 s12, exec_lo
	v_cmpx_lt_u32_e32 0xffffff, v2
	s_cbranch_execz .LBB442_3019
; %bb.3012:                             ;   in Loop: Header=BB442_1382 Depth=1
	v_lshrrev_b32_e32 v138, 24, v2
	v_bfrev_b32_e32 v6, 1
	s_mov_b32 s13, exec_lo
	s_delay_alu instid0(VALU_DEP_2)
	v_cmpx_ne_u32_e32 0x80, v138
	s_cbranch_execz .LBB442_3018
; %bb.3013:                             ;   in Loop: Header=BB442_1382 Depth=1
	v_bfe_u32 v7, v2, 24, 7
	v_mov_b32_e32 v6, 0x7f800001
	s_mov_b32 s15, exec_lo
	s_delay_alu instid0(VALU_DEP_2)
	v_cmpx_ne_u32_e32 0x7f, v7
	s_cbranch_execz .LBB442_3017
; %bb.3014:                             ;   in Loop: Header=BB442_1382 Depth=1
	v_and_b32_e32 v9, 7, v138
	v_lshrrev_b32_e32 v139, 3, v7
	v_cmp_gt_u32_e64 s0, 8, v7
	s_delay_alu instid0(VALU_DEP_3) | instskip(NEXT) | instid1(VALU_DEP_2)
	v_dual_mov_b32 v6, v9 :: v_dual_mov_b32 v7, v10
	s_and_saveexec_b32 s16, s0
; %bb.3015:                             ;   in Loop: Header=BB442_1382 Depth=1
	v_clz_i32_u32_e32 v6, v9
	s_delay_alu instid0(VALU_DEP_1) | instskip(NEXT) | instid1(VALU_DEP_1)
	v_min_u32_e32 v139, 32, v6
	v_subrev_nc_u32_e32 v6, 28, v139
	v_sub_nc_u32_e32 v139, 29, v139
	s_delay_alu instid0(VALU_DEP_2) | instskip(NEXT) | instid1(VALU_DEP_1)
	v_lshlrev_b64 v[6:7], v6, v[9:10]
	v_and_b32_e32 v6, 7, v6
; %bb.3016:                             ;   in Loop: Header=BB442_1382 Depth=1
	s_or_b32 exec_lo, exec_lo, s16
	v_lshlrev_b32_e32 v7, 24, v138
	s_delay_alu instid0(VALU_DEP_2) | instskip(SKIP_1) | instid1(VALU_DEP_3)
	v_lshlrev_b32_e32 v6, 20, v6
	v_lshl_add_u32 v9, v139, 23, 0x3c000000
	v_and_b32_e32 v7, 0x80000000, v7
	s_delay_alu instid0(VALU_DEP_1)
	v_or3_b32 v6, v6, v7, v9
.LBB442_3017:                           ;   in Loop: Header=BB442_1382 Depth=1
	s_or_b32 exec_lo, exec_lo, s15
.LBB442_3018:                           ;   in Loop: Header=BB442_1382 Depth=1
	s_delay_alu instid0(SALU_CYCLE_1)
	s_or_b32 exec_lo, exec_lo, s13
.LBB442_3019:                           ;   in Loop: Header=BB442_1382 Depth=1
	s_delay_alu instid0(SALU_CYCLE_1) | instskip(NEXT) | instid1(VALU_DEP_1)
	s_or_b32 exec_lo, exec_lo, s12
	v_mul_f32_e32 v6, v8, v6
                                        ; implicit-def: $vgpr138
	s_delay_alu instid0(VALU_DEP_1) | instskip(NEXT) | instid1(VALU_DEP_1)
	v_and_b32_e32 v7, 0x7f800000, v6
	v_cmp_ne_u32_e64 s0, 0x7f800000, v7
	s_delay_alu instid0(VALU_DEP_1) | instskip(NEXT) | instid1(SALU_CYCLE_1)
	s_and_saveexec_b32 s12, s0
	s_xor_b32 s0, exec_lo, s12
; %bb.3020:                             ;   in Loop: Header=BB442_1382 Depth=1
	v_bfe_u32 v7, v6, 16, 1
	s_delay_alu instid0(VALU_DEP_1)
	v_add3_u32 v138, v6, v7, 0x7fff
                                        ; implicit-def: $vgpr6
; %bb.3021:                             ;   in Loop: Header=BB442_1382 Depth=1
	s_and_not1_saveexec_b32 s12, s0
; %bb.3022:                             ;   in Loop: Header=BB442_1382 Depth=1
	v_and_b32_e32 v7, 0xffff, v6
	v_or_b32_e32 v9, 0x10000, v6
	s_delay_alu instid0(VALU_DEP_2) | instskip(NEXT) | instid1(VALU_DEP_1)
	v_cmp_eq_u32_e64 s0, 0, v7
	v_cndmask_b32_e64 v138, v9, v6, s0
; %bb.3023:                             ;   in Loop: Header=BB442_1382 Depth=1
	s_or_b32 exec_lo, exec_lo, s12
	v_dual_mov_b32 v6, 0 :: v_dual_and_b32 v7, 0xff, v3
	v_mov_b32_e32 v9, v3
	s_mov_b32 s12, exec_lo
	s_delay_alu instid0(VALU_DEP_2)
	v_cmpx_ne_u16_e32 0, v7
	s_cbranch_execz .LBB442_3031
; %bb.3024:                             ;   in Loop: Header=BB442_1382 Depth=1
	v_bfrev_b32_e32 v6, 1
	s_mov_b32 s13, exec_lo
	v_cmpx_ne_u16_e32 0x80, v7
	s_cbranch_execz .LBB442_3030
; %bb.3025:                             ;   in Loop: Header=BB442_1382 Depth=1
	v_and_b32_e32 v7, 0x7f, v3
	v_mov_b32_e32 v6, 0x7f800001
	s_mov_b32 s15, exec_lo
	s_delay_alu instid0(VALU_DEP_2)
	v_cmpx_ne_u32_e32 0x7f, v7
	s_cbranch_execz .LBB442_3029
; %bb.3026:                             ;   in Loop: Header=BB442_1382 Depth=1
	v_lshrrev_b32_e32 v139, 3, v7
	v_cmp_gt_u32_e64 s0, 8, v7
	v_dual_mov_b32 v6, v9 :: v_dual_mov_b32 v7, v10
	s_delay_alu instid0(VALU_DEP_2)
	s_and_saveexec_b32 s16, s0
; %bb.3027:                             ;   in Loop: Header=BB442_1382 Depth=1
	v_and_b32_e32 v6, 7, v3
	s_delay_alu instid0(VALU_DEP_1) | instskip(NEXT) | instid1(VALU_DEP_1)
	v_clz_i32_u32_e32 v6, v6
	v_min_u32_e32 v139, 32, v6
	s_delay_alu instid0(VALU_DEP_1) | instskip(SKIP_1) | instid1(VALU_DEP_2)
	v_subrev_nc_u32_e32 v6, 28, v139
	v_sub_nc_u32_e32 v139, 29, v139
	v_lshlrev_b64 v[6:7], v6, v[9:10]
; %bb.3028:                             ;   in Loop: Header=BB442_1382 Depth=1
	s_or_b32 exec_lo, exec_lo, s16
	s_delay_alu instid0(VALU_DEP_1) | instskip(SKIP_2) | instid1(VALU_DEP_3)
	v_lshlrev_b32_e32 v6, 20, v6
	v_lshlrev_b32_e32 v7, 24, v9
	v_lshl_add_u32 v139, v139, 23, 0x3c000000
	v_and_b32_e32 v6, 0x700000, v6
	s_delay_alu instid0(VALU_DEP_3) | instskip(NEXT) | instid1(VALU_DEP_1)
	v_and_b32_e32 v7, 0x80000000, v7
	v_or3_b32 v6, v6, v7, v139
.LBB442_3029:                           ;   in Loop: Header=BB442_1382 Depth=1
	s_or_b32 exec_lo, exec_lo, s15
.LBB442_3030:                           ;   in Loop: Header=BB442_1382 Depth=1
	s_delay_alu instid0(SALU_CYCLE_1)
	s_or_b32 exec_lo, exec_lo, s13
.LBB442_3031:                           ;   in Loop: Header=BB442_1382 Depth=1
	s_delay_alu instid0(SALU_CYCLE_1) | instskip(NEXT) | instid1(VALU_DEP_1)
	s_or_b32 exec_lo, exec_lo, s12
	v_mul_f32_e32 v6, v8, v6
                                        ; implicit-def: $vgpr139
	s_delay_alu instid0(VALU_DEP_1) | instskip(NEXT) | instid1(VALU_DEP_1)
	v_and_b32_e32 v7, 0x7f800000, v6
	v_cmp_ne_u32_e64 s0, 0x7f800000, v7
	s_delay_alu instid0(VALU_DEP_1) | instskip(NEXT) | instid1(SALU_CYCLE_1)
	s_and_saveexec_b32 s12, s0
	s_xor_b32 s0, exec_lo, s12
; %bb.3032:                             ;   in Loop: Header=BB442_1382 Depth=1
	v_bfe_u32 v7, v6, 16, 1
	s_delay_alu instid0(VALU_DEP_1)
	v_add3_u32 v139, v6, v7, 0x7fff
                                        ; implicit-def: $vgpr6
; %bb.3033:                             ;   in Loop: Header=BB442_1382 Depth=1
	s_and_not1_saveexec_b32 s12, s0
; %bb.3034:                             ;   in Loop: Header=BB442_1382 Depth=1
	v_and_b32_e32 v7, 0xffff, v6
	v_or_b32_e32 v139, 0x10000, v6
	s_delay_alu instid0(VALU_DEP_2) | instskip(NEXT) | instid1(VALU_DEP_1)
	v_cmp_eq_u32_e64 s0, 0, v7
	v_cndmask_b32_e64 v139, v139, v6, s0
; %bb.3035:                             ;   in Loop: Header=BB442_1382 Depth=1
	s_or_b32 exec_lo, exec_lo, s12
	v_lshrrev_b16 v7, 8, v9
	v_mov_b32_e32 v6, 0
	s_mov_b32 s12, exec_lo
	s_delay_alu instid0(VALU_DEP_2)
	v_cmpx_ne_u16_e32 0, v7
	s_cbranch_execz .LBB442_3043
; %bb.3036:                             ;   in Loop: Header=BB442_1382 Depth=1
	v_bfrev_b32_e32 v6, 1
	s_mov_b32 s13, exec_lo
	v_cmpx_ne_u16_e32 0x80, v7
	s_cbranch_execz .LBB442_3042
; %bb.3037:                             ;   in Loop: Header=BB442_1382 Depth=1
	v_and_b32_e32 v7, 0xffff, v7
	v_mov_b32_e32 v6, 0x7f800001
	s_mov_b32 s15, exec_lo
	s_delay_alu instid0(VALU_DEP_2) | instskip(NEXT) | instid1(VALU_DEP_1)
	v_and_b32_e32 v141, 0x7f, v7
	v_cmpx_ne_u32_e32 0x7f, v141
	s_cbranch_execz .LBB442_3041
; %bb.3038:                             ;   in Loop: Header=BB442_1382 Depth=1
	v_dual_mov_b32 v7, v10 :: v_dual_and_b32 v6, 7, v7
	v_lshrrev_b32_e32 v140, 3, v141
	s_mov_b32 s16, exec_lo
	v_cmpx_gt_u32_e32 8, v141
; %bb.3039:                             ;   in Loop: Header=BB442_1382 Depth=1
	s_delay_alu instid0(VALU_DEP_3) | instskip(NEXT) | instid1(VALU_DEP_1)
	v_clz_i32_u32_e32 v140, v6
	v_min_u32_e32 v140, 32, v140
	s_delay_alu instid0(VALU_DEP_1) | instskip(SKIP_1) | instid1(VALU_DEP_2)
	v_subrev_nc_u32_e32 v141, 28, v140
	v_sub_nc_u32_e32 v140, 29, v140
	v_lshlrev_b64 v[6:7], v141, v[6:7]
	s_delay_alu instid0(VALU_DEP_1)
	v_and_b32_e32 v6, 7, v6
; %bb.3040:                             ;   in Loop: Header=BB442_1382 Depth=1
	s_or_b32 exec_lo, exec_lo, s16
	v_lshlrev_b32_e32 v7, 16, v9
	s_delay_alu instid0(VALU_DEP_2) | instskip(SKIP_1) | instid1(VALU_DEP_3)
	v_lshlrev_b32_e32 v6, 20, v6
	v_lshl_add_u32 v9, v140, 23, 0x3c000000
	v_and_b32_e32 v7, 0x80000000, v7
	s_delay_alu instid0(VALU_DEP_1)
	v_or3_b32 v6, v6, v7, v9
.LBB442_3041:                           ;   in Loop: Header=BB442_1382 Depth=1
	s_or_b32 exec_lo, exec_lo, s15
.LBB442_3042:                           ;   in Loop: Header=BB442_1382 Depth=1
	s_delay_alu instid0(SALU_CYCLE_1)
	s_or_b32 exec_lo, exec_lo, s13
.LBB442_3043:                           ;   in Loop: Header=BB442_1382 Depth=1
	s_delay_alu instid0(SALU_CYCLE_1) | instskip(NEXT) | instid1(VALU_DEP_1)
	s_or_b32 exec_lo, exec_lo, s12
	v_mul_f32_e32 v6, v8, v6
                                        ; implicit-def: $vgpr140
	s_delay_alu instid0(VALU_DEP_1) | instskip(NEXT) | instid1(VALU_DEP_1)
	v_and_b32_e32 v7, 0x7f800000, v6
	v_cmp_ne_u32_e64 s0, 0x7f800000, v7
	s_delay_alu instid0(VALU_DEP_1) | instskip(NEXT) | instid1(SALU_CYCLE_1)
	s_and_saveexec_b32 s12, s0
	s_xor_b32 s0, exec_lo, s12
; %bb.3044:                             ;   in Loop: Header=BB442_1382 Depth=1
	v_bfe_u32 v7, v6, 16, 1
	s_delay_alu instid0(VALU_DEP_1)
	v_add3_u32 v140, v6, v7, 0x7fff
                                        ; implicit-def: $vgpr6
; %bb.3045:                             ;   in Loop: Header=BB442_1382 Depth=1
	s_and_not1_saveexec_b32 s12, s0
; %bb.3046:                             ;   in Loop: Header=BB442_1382 Depth=1
	v_and_b32_e32 v7, 0xffff, v6
	v_or_b32_e32 v9, 0x10000, v6
	s_delay_alu instid0(VALU_DEP_2) | instskip(NEXT) | instid1(VALU_DEP_1)
	v_cmp_eq_u32_e64 s0, 0, v7
	v_cndmask_b32_e64 v140, v9, v6, s0
; %bb.3047:                             ;   in Loop: Header=BB442_1382 Depth=1
	s_or_b32 exec_lo, exec_lo, s12
	v_lshrrev_b32_e32 v141, 16, v3
	s_mov_b32 s12, exec_lo
	s_delay_alu instid0(VALU_DEP_1) | instskip(NEXT) | instid1(VALU_DEP_1)
	v_dual_mov_b32 v6, 0 :: v_dual_and_b32 v7, 0xff, v141
	v_cmpx_ne_u16_e32 0, v7
	s_cbranch_execz .LBB442_3055
; %bb.3048:                             ;   in Loop: Header=BB442_1382 Depth=1
	v_bfrev_b32_e32 v6, 1
	s_mov_b32 s13, exec_lo
	v_cmpx_ne_u16_e32 0x80, v7
	s_cbranch_execz .LBB442_3054
; %bb.3049:                             ;   in Loop: Header=BB442_1382 Depth=1
	v_bfe_u32 v7, v3, 16, 7
	v_mov_b32_e32 v6, 0x7f800001
	s_mov_b32 s15, exec_lo
	s_delay_alu instid0(VALU_DEP_2)
	v_cmpx_ne_u32_e32 0x7f, v7
	s_cbranch_execz .LBB442_3053
; %bb.3050:                             ;   in Loop: Header=BB442_1382 Depth=1
	v_and_b32_e32 v9, 7, v141
	v_lshrrev_b32_e32 v142, 3, v7
	v_cmp_gt_u32_e64 s0, 8, v7
	s_delay_alu instid0(VALU_DEP_3) | instskip(NEXT) | instid1(VALU_DEP_2)
	v_dual_mov_b32 v6, v9 :: v_dual_mov_b32 v7, v10
	s_and_saveexec_b32 s16, s0
; %bb.3051:                             ;   in Loop: Header=BB442_1382 Depth=1
	v_clz_i32_u32_e32 v6, v9
	s_delay_alu instid0(VALU_DEP_1) | instskip(NEXT) | instid1(VALU_DEP_1)
	v_min_u32_e32 v142, 32, v6
	v_subrev_nc_u32_e32 v6, 28, v142
	v_sub_nc_u32_e32 v142, 29, v142
	s_delay_alu instid0(VALU_DEP_2) | instskip(NEXT) | instid1(VALU_DEP_1)
	v_lshlrev_b64 v[6:7], v6, v[9:10]
	v_and_b32_e32 v6, 7, v6
; %bb.3052:                             ;   in Loop: Header=BB442_1382 Depth=1
	s_or_b32 exec_lo, exec_lo, s16
	v_lshlrev_b32_e32 v7, 24, v141
	s_delay_alu instid0(VALU_DEP_2) | instskip(SKIP_1) | instid1(VALU_DEP_3)
	v_lshlrev_b32_e32 v6, 20, v6
	v_lshl_add_u32 v9, v142, 23, 0x3c000000
	v_and_b32_e32 v7, 0x80000000, v7
	s_delay_alu instid0(VALU_DEP_1)
	v_or3_b32 v6, v6, v7, v9
.LBB442_3053:                           ;   in Loop: Header=BB442_1382 Depth=1
	s_or_b32 exec_lo, exec_lo, s15
.LBB442_3054:                           ;   in Loop: Header=BB442_1382 Depth=1
	s_delay_alu instid0(SALU_CYCLE_1)
	s_or_b32 exec_lo, exec_lo, s13
.LBB442_3055:                           ;   in Loop: Header=BB442_1382 Depth=1
	s_delay_alu instid0(SALU_CYCLE_1) | instskip(NEXT) | instid1(VALU_DEP_1)
	s_or_b32 exec_lo, exec_lo, s12
	v_mul_f32_e32 v7, v8, v6
	s_delay_alu instid0(VALU_DEP_1) | instskip(NEXT) | instid1(VALU_DEP_1)
	v_and_b32_e32 v6, 0x7f800000, v7
	v_cmp_ne_u32_e64 s0, 0x7f800000, v6
                                        ; implicit-def: $vgpr6
	s_delay_alu instid0(VALU_DEP_1) | instskip(NEXT) | instid1(SALU_CYCLE_1)
	s_and_saveexec_b32 s12, s0
	s_xor_b32 s0, exec_lo, s12
; %bb.3056:                             ;   in Loop: Header=BB442_1382 Depth=1
	v_bfe_u32 v6, v7, 16, 1
	s_delay_alu instid0(VALU_DEP_1)
	v_add3_u32 v6, v7, v6, 0x7fff
                                        ; implicit-def: $vgpr7
; %bb.3057:                             ;   in Loop: Header=BB442_1382 Depth=1
	s_and_not1_saveexec_b32 s12, s0
; %bb.3058:                             ;   in Loop: Header=BB442_1382 Depth=1
	v_and_b32_e32 v6, 0xffff, v7
	v_or_b32_e32 v9, 0x10000, v7
	s_delay_alu instid0(VALU_DEP_2) | instskip(NEXT) | instid1(VALU_DEP_1)
	v_cmp_eq_u32_e64 s0, 0, v6
	v_cndmask_b32_e64 v6, v9, v7, s0
; %bb.3059:                             ;   in Loop: Header=BB442_1382 Depth=1
	s_or_b32 exec_lo, exec_lo, s12
	v_cmp_lt_u64_e64 s0, s[8:9], v[2:3]
	v_mov_b32_e32 v2, 0
	s_delay_alu instid0(VALU_DEP_2)
	s_and_saveexec_b32 s12, s0
	s_cbranch_execz .LBB442_3067
; %bb.3060:                             ;   in Loop: Header=BB442_1382 Depth=1
	v_lshrrev_b32_e32 v7, 24, v3
	v_bfrev_b32_e32 v2, 1
	s_mov_b32 s13, exec_lo
	s_delay_alu instid0(VALU_DEP_2)
	v_cmpx_ne_u32_e32 0x80, v7
	s_cbranch_execz .LBB442_3066
; %bb.3061:                             ;   in Loop: Header=BB442_1382 Depth=1
	v_bfe_u32 v3, v3, 24, 7
	v_mov_b32_e32 v2, 0x7f800001
	s_mov_b32 s15, exec_lo
	s_delay_alu instid0(VALU_DEP_2)
	v_cmpx_ne_u32_e32 0x7f, v3
	s_cbranch_execz .LBB442_3065
; %bb.3062:                             ;   in Loop: Header=BB442_1382 Depth=1
	v_and_b32_e32 v9, 7, v7
	v_lshrrev_b32_e32 v141, 3, v3
	v_cmp_gt_u32_e64 s0, 8, v3
	s_delay_alu instid0(VALU_DEP_3) | instskip(NEXT) | instid1(VALU_DEP_2)
	v_dual_mov_b32 v2, v9 :: v_dual_mov_b32 v3, v10
	s_and_saveexec_b32 s16, s0
; %bb.3063:                             ;   in Loop: Header=BB442_1382 Depth=1
	v_clz_i32_u32_e32 v2, v9
	s_delay_alu instid0(VALU_DEP_1) | instskip(NEXT) | instid1(VALU_DEP_1)
	v_min_u32_e32 v141, 32, v2
	v_subrev_nc_u32_e32 v2, 28, v141
	v_sub_nc_u32_e32 v141, 29, v141
	s_delay_alu instid0(VALU_DEP_2) | instskip(NEXT) | instid1(VALU_DEP_1)
	v_lshlrev_b64 v[2:3], v2, v[9:10]
	v_and_b32_e32 v2, 7, v2
; %bb.3064:                             ;   in Loop: Header=BB442_1382 Depth=1
	s_or_b32 exec_lo, exec_lo, s16
	v_lshlrev_b32_e32 v3, 24, v7
	s_delay_alu instid0(VALU_DEP_2) | instskip(SKIP_1) | instid1(VALU_DEP_3)
	v_lshlrev_b32_e32 v2, 20, v2
	v_lshl_add_u32 v7, v141, 23, 0x3c000000
	v_and_b32_e32 v3, 0x80000000, v3
	s_delay_alu instid0(VALU_DEP_1)
	v_or3_b32 v2, v2, v3, v7
.LBB442_3065:                           ;   in Loop: Header=BB442_1382 Depth=1
	s_or_b32 exec_lo, exec_lo, s15
.LBB442_3066:                           ;   in Loop: Header=BB442_1382 Depth=1
	s_delay_alu instid0(SALU_CYCLE_1)
	s_or_b32 exec_lo, exec_lo, s13
.LBB442_3067:                           ;   in Loop: Header=BB442_1382 Depth=1
	s_delay_alu instid0(SALU_CYCLE_1) | instskip(NEXT) | instid1(VALU_DEP_1)
	s_or_b32 exec_lo, exec_lo, s12
	v_mul_f32_e32 v3, v8, v2
	s_delay_alu instid0(VALU_DEP_1) | instskip(NEXT) | instid1(VALU_DEP_1)
	v_and_b32_e32 v2, 0x7f800000, v3
	v_cmp_ne_u32_e64 s0, 0x7f800000, v2
                                        ; implicit-def: $vgpr2
	s_delay_alu instid0(VALU_DEP_1) | instskip(NEXT) | instid1(SALU_CYCLE_1)
	s_and_saveexec_b32 s12, s0
	s_xor_b32 s0, exec_lo, s12
; %bb.3068:                             ;   in Loop: Header=BB442_1382 Depth=1
	v_bfe_u32 v2, v3, 16, 1
	s_delay_alu instid0(VALU_DEP_1)
	v_add3_u32 v2, v3, v2, 0x7fff
                                        ; implicit-def: $vgpr3
; %bb.3069:                             ;   in Loop: Header=BB442_1382 Depth=1
	s_and_not1_saveexec_b32 s12, s0
; %bb.3070:                             ;   in Loop: Header=BB442_1382 Depth=1
	v_and_b32_e32 v2, 0xffff, v3
	v_or_b32_e32 v7, 0x10000, v3
	s_delay_alu instid0(VALU_DEP_2) | instskip(NEXT) | instid1(VALU_DEP_1)
	v_cmp_eq_u32_e64 s0, 0, v2
	v_cndmask_b32_e64 v2, v7, v3, s0
; %bb.3071:                             ;   in Loop: Header=BB442_1382 Depth=1
	s_or_b32 exec_lo, exec_lo, s12
	v_lshrrev_b32_e32 v9, 16, v140
	v_lshrrev_b32_e32 v139, 16, v139
	;; [unrolled: 1-line block ×8, first 2 shown]
	s_and_saveexec_b32 s12, vcc_lo
	s_cbranch_execz .LBB442_3073
; %bb.3072:                             ;   in Loop: Header=BB442_1382 Depth=1
	v_cmp_lt_i32_e64 s0, v84, v38
	s_delay_alu instid0(VALU_DEP_1) | instskip(SKIP_1) | instid1(VALU_DEP_1)
	v_cndmask_b32_e64 v127, 0, v127, s0
	v_cmp_lt_i32_e64 s0, v99, v38
	v_cndmask_b32_e64 v7, 0, v7, s0
	v_cmp_lt_i32_e64 s0, v98, v38
	s_delay_alu instid0(VALU_DEP_1) | instskip(SKIP_1) | instid1(VALU_DEP_1)
	v_cndmask_b32_e64 v137, 0, v137, s0
	v_cmp_lt_i32_e64 s0, v97, v38
	v_cndmask_b32_e64 v138, 0, v138, s0
	;; [unrolled: 5-line block ×4, first 2 shown]
.LBB442_3073:                           ;   in Loop: Header=BB442_1382 Depth=1
	s_or_b32 exec_lo, exec_lo, s12
	v_lshlrev_b32_e32 v6, 16, v127
	s_delay_alu instid0(VALU_DEP_1) | instskip(NEXT) | instid1(VALU_DEP_1)
	v_mul_f32_e32 v127, v100, v6
	v_and_b32_e32 v6, 0x7f800000, v127
	s_delay_alu instid0(VALU_DEP_1) | instskip(NEXT) | instid1(VALU_DEP_1)
	v_cmp_ne_u32_e64 s0, 0x7f800000, v6
                                        ; implicit-def: $vgpr6
	s_and_saveexec_b32 s12, s0
	s_delay_alu instid0(SALU_CYCLE_1)
	s_xor_b32 s0, exec_lo, s12
; %bb.3074:                             ;   in Loop: Header=BB442_1382 Depth=1
	v_bfe_u32 v6, v127, 16, 1
	s_delay_alu instid0(VALU_DEP_1)
	v_add3_u32 v6, v127, v6, 0x7fff
                                        ; implicit-def: $vgpr127
; %bb.3075:                             ;   in Loop: Header=BB442_1382 Depth=1
	s_and_not1_saveexec_b32 s12, s0
; %bb.3076:                             ;   in Loop: Header=BB442_1382 Depth=1
	v_and_b32_e32 v6, 0xffff, v127
	v_or_b32_e32 v136, 0x10000, v127
	s_delay_alu instid0(VALU_DEP_2) | instskip(NEXT) | instid1(VALU_DEP_1)
	v_cmp_eq_u32_e64 s0, 0, v6
	v_cndmask_b32_e64 v6, v136, v127, s0
; %bb.3077:                             ;   in Loop: Header=BB442_1382 Depth=1
	s_or_b32 exec_lo, exec_lo, s12
	v_lshlrev_b32_e32 v7, 16, v7
	s_delay_alu instid0(VALU_DEP_1) | instskip(NEXT) | instid1(VALU_DEP_1)
	v_mul_f32_e32 v127, v101, v7
	v_and_b32_e32 v7, 0x7f800000, v127
	s_delay_alu instid0(VALU_DEP_1) | instskip(NEXT) | instid1(VALU_DEP_1)
	v_cmp_ne_u32_e64 s0, 0x7f800000, v7
                                        ; implicit-def: $vgpr7
	s_and_saveexec_b32 s12, s0
	s_delay_alu instid0(SALU_CYCLE_1)
	s_xor_b32 s0, exec_lo, s12
; %bb.3078:                             ;   in Loop: Header=BB442_1382 Depth=1
	v_bfe_u32 v7, v127, 16, 1
	s_delay_alu instid0(VALU_DEP_1)
	v_add3_u32 v7, v127, v7, 0x7fff
                                        ; implicit-def: $vgpr127
; %bb.3079:                             ;   in Loop: Header=BB442_1382 Depth=1
	s_and_not1_saveexec_b32 s12, s0
; %bb.3080:                             ;   in Loop: Header=BB442_1382 Depth=1
	v_and_b32_e32 v7, 0xffff, v127
	v_or_b32_e32 v136, 0x10000, v127
	s_delay_alu instid0(VALU_DEP_2) | instskip(NEXT) | instid1(VALU_DEP_1)
	v_cmp_eq_u32_e64 s0, 0, v7
	v_cndmask_b32_e64 v7, v136, v127, s0
; %bb.3081:                             ;   in Loop: Header=BB442_1382 Depth=1
	s_or_b32 exec_lo, exec_lo, s12
	v_lshlrev_b32_e32 v127, 16, v137
	s_delay_alu instid0(VALU_DEP_1) | instskip(NEXT) | instid1(VALU_DEP_1)
	v_mul_f32_e32 v136, v102, v127
	v_and_b32_e32 v127, 0x7f800000, v136
	s_delay_alu instid0(VALU_DEP_1) | instskip(NEXT) | instid1(VALU_DEP_1)
	v_cmp_ne_u32_e64 s0, 0x7f800000, v127
                                        ; implicit-def: $vgpr127
	s_and_saveexec_b32 s12, s0
	s_delay_alu instid0(SALU_CYCLE_1)
	s_xor_b32 s0, exec_lo, s12
; %bb.3082:                             ;   in Loop: Header=BB442_1382 Depth=1
	v_bfe_u32 v127, v136, 16, 1
	s_delay_alu instid0(VALU_DEP_1)
	v_add3_u32 v127, v136, v127, 0x7fff
                                        ; implicit-def: $vgpr136
; %bb.3083:                             ;   in Loop: Header=BB442_1382 Depth=1
	s_and_not1_saveexec_b32 s12, s0
; %bb.3084:                             ;   in Loop: Header=BB442_1382 Depth=1
	v_and_b32_e32 v127, 0xffff, v136
	v_or_b32_e32 v137, 0x10000, v136
	s_delay_alu instid0(VALU_DEP_2) | instskip(NEXT) | instid1(VALU_DEP_1)
	v_cmp_eq_u32_e64 s0, 0, v127
	v_cndmask_b32_e64 v127, v137, v136, s0
; %bb.3085:                             ;   in Loop: Header=BB442_1382 Depth=1
	s_or_b32 exec_lo, exec_lo, s12
	v_lshlrev_b32_e32 v136, 16, v138
	s_delay_alu instid0(VALU_DEP_1) | instskip(NEXT) | instid1(VALU_DEP_1)
	v_mul_f32_e32 v137, v103, v136
	v_and_b32_e32 v136, 0x7f800000, v137
	s_delay_alu instid0(VALU_DEP_1) | instskip(NEXT) | instid1(VALU_DEP_1)
	v_cmp_ne_u32_e64 s0, 0x7f800000, v136
                                        ; implicit-def: $vgpr136
	s_and_saveexec_b32 s12, s0
	s_delay_alu instid0(SALU_CYCLE_1)
	s_xor_b32 s0, exec_lo, s12
; %bb.3086:                             ;   in Loop: Header=BB442_1382 Depth=1
	v_bfe_u32 v136, v137, 16, 1
	s_delay_alu instid0(VALU_DEP_1)
	v_add3_u32 v136, v137, v136, 0x7fff
                                        ; implicit-def: $vgpr137
; %bb.3087:                             ;   in Loop: Header=BB442_1382 Depth=1
	s_and_not1_saveexec_b32 s12, s0
; %bb.3088:                             ;   in Loop: Header=BB442_1382 Depth=1
	v_and_b32_e32 v136, 0xffff, v137
	v_or_b32_e32 v138, 0x10000, v137
	s_delay_alu instid0(VALU_DEP_2) | instskip(NEXT) | instid1(VALU_DEP_1)
	v_cmp_eq_u32_e64 s0, 0, v136
	v_cndmask_b32_e64 v136, v138, v137, s0
; %bb.3089:                             ;   in Loop: Header=BB442_1382 Depth=1
	s_or_b32 exec_lo, exec_lo, s12
	v_lshlrev_b32_e32 v137, 16, v139
	s_delay_alu instid0(VALU_DEP_1) | instskip(NEXT) | instid1(VALU_DEP_1)
	v_mul_f32_e32 v138, v112, v137
	v_and_b32_e32 v137, 0x7f800000, v138
	s_delay_alu instid0(VALU_DEP_1) | instskip(NEXT) | instid1(VALU_DEP_1)
	v_cmp_ne_u32_e64 s0, 0x7f800000, v137
                                        ; implicit-def: $vgpr137
	s_and_saveexec_b32 s12, s0
	s_delay_alu instid0(SALU_CYCLE_1)
	s_xor_b32 s0, exec_lo, s12
; %bb.3090:                             ;   in Loop: Header=BB442_1382 Depth=1
	v_bfe_u32 v137, v138, 16, 1
	s_delay_alu instid0(VALU_DEP_1)
	v_add3_u32 v137, v138, v137, 0x7fff
                                        ; implicit-def: $vgpr138
; %bb.3091:                             ;   in Loop: Header=BB442_1382 Depth=1
	s_and_not1_saveexec_b32 s12, s0
; %bb.3092:                             ;   in Loop: Header=BB442_1382 Depth=1
	v_and_b32_e32 v137, 0xffff, v138
	v_or_b32_e32 v139, 0x10000, v138
	s_delay_alu instid0(VALU_DEP_2) | instskip(NEXT) | instid1(VALU_DEP_1)
	v_cmp_eq_u32_e64 s0, 0, v137
	v_cndmask_b32_e64 v137, v139, v138, s0
; %bb.3093:                             ;   in Loop: Header=BB442_1382 Depth=1
	s_or_b32 exec_lo, exec_lo, s12
	v_lshlrev_b32_e32 v9, 16, v9
	s_delay_alu instid0(VALU_DEP_1) | instskip(NEXT) | instid1(VALU_DEP_1)
	v_mul_f32_e32 v9, v113, v9
	v_and_b32_e32 v138, 0x7f800000, v9
	s_delay_alu instid0(VALU_DEP_1) | instskip(NEXT) | instid1(VALU_DEP_1)
	v_cmp_ne_u32_e64 s0, 0x7f800000, v138
                                        ; implicit-def: $vgpr138
	s_and_saveexec_b32 s12, s0
	s_delay_alu instid0(SALU_CYCLE_1)
	s_xor_b32 s0, exec_lo, s12
; %bb.3094:                             ;   in Loop: Header=BB442_1382 Depth=1
	v_bfe_u32 v138, v9, 16, 1
	s_delay_alu instid0(VALU_DEP_1)
	v_add3_u32 v138, v9, v138, 0x7fff
                                        ; implicit-def: $vgpr9
; %bb.3095:                             ;   in Loop: Header=BB442_1382 Depth=1
	s_and_not1_saveexec_b32 s12, s0
; %bb.3096:                             ;   in Loop: Header=BB442_1382 Depth=1
	v_and_b32_e32 v138, 0xffff, v9
	v_or_b32_e32 v139, 0x10000, v9
	s_delay_alu instid0(VALU_DEP_2) | instskip(NEXT) | instid1(VALU_DEP_1)
	v_cmp_eq_u32_e64 s0, 0, v138
	v_cndmask_b32_e64 v138, v139, v9, s0
; %bb.3097:                             ;   in Loop: Header=BB442_1382 Depth=1
	s_or_b32 exec_lo, exec_lo, s12
	v_lshlrev_b32_e32 v3, 16, v3
                                        ; implicit-def: $vgpr139
	s_delay_alu instid0(VALU_DEP_1) | instskip(NEXT) | instid1(VALU_DEP_1)
	v_mul_f32_e32 v3, v114, v3
	v_and_b32_e32 v9, 0x7f800000, v3
	s_delay_alu instid0(VALU_DEP_1) | instskip(NEXT) | instid1(VALU_DEP_1)
	v_cmp_ne_u32_e64 s0, 0x7f800000, v9
	s_and_saveexec_b32 s12, s0
	s_delay_alu instid0(SALU_CYCLE_1)
	s_xor_b32 s0, exec_lo, s12
; %bb.3098:                             ;   in Loop: Header=BB442_1382 Depth=1
	v_bfe_u32 v9, v3, 16, 1
	s_delay_alu instid0(VALU_DEP_1)
	v_add3_u32 v139, v3, v9, 0x7fff
                                        ; implicit-def: $vgpr3
; %bb.3099:                             ;   in Loop: Header=BB442_1382 Depth=1
	s_and_not1_saveexec_b32 s12, s0
; %bb.3100:                             ;   in Loop: Header=BB442_1382 Depth=1
	v_and_b32_e32 v9, 0xffff, v3
	v_or_b32_e32 v139, 0x10000, v3
	s_delay_alu instid0(VALU_DEP_2) | instskip(NEXT) | instid1(VALU_DEP_1)
	v_cmp_eq_u32_e64 s0, 0, v9
	v_cndmask_b32_e64 v139, v139, v3, s0
; %bb.3101:                             ;   in Loop: Header=BB442_1382 Depth=1
	s_or_b32 exec_lo, exec_lo, s12
	v_lshlrev_b32_e32 v2, 16, v2
                                        ; implicit-def: $vgpr140
	s_delay_alu instid0(VALU_DEP_1) | instskip(NEXT) | instid1(VALU_DEP_1)
	v_mul_f32_e32 v2, v115, v2
	v_and_b32_e32 v3, 0x7f800000, v2
	s_delay_alu instid0(VALU_DEP_1) | instskip(NEXT) | instid1(VALU_DEP_1)
	v_cmp_ne_u32_e64 s0, 0x7f800000, v3
	s_and_saveexec_b32 s12, s0
	s_delay_alu instid0(SALU_CYCLE_1)
	s_xor_b32 s0, exec_lo, s12
; %bb.3102:                             ;   in Loop: Header=BB442_1382 Depth=1
	v_bfe_u32 v3, v2, 16, 1
	s_delay_alu instid0(VALU_DEP_1)
	v_add3_u32 v140, v2, v3, 0x7fff
                                        ; implicit-def: $vgpr2
; %bb.3103:                             ;   in Loop: Header=BB442_1382 Depth=1
	s_and_not1_saveexec_b32 s12, s0
; %bb.3104:                             ;   in Loop: Header=BB442_1382 Depth=1
	v_and_b32_e32 v3, 0xffff, v2
	v_or_b32_e32 v9, 0x10000, v2
	s_delay_alu instid0(VALU_DEP_2) | instskip(NEXT) | instid1(VALU_DEP_1)
	v_cmp_eq_u32_e64 s0, 0, v3
	v_cndmask_b32_e64 v140, v9, v2, s0
; %bb.3105:                             ;   in Loop: Header=BB442_1382 Depth=1
	s_or_b32 exec_lo, exec_lo, s12
	flat_load_b64 v[0:1], v[0:1] offset:3328
	s_mov_b32 s12, exec_lo
	s_waitcnt vmcnt(0) lgkmcnt(0)
	v_dual_mov_b32 v2, 0 :: v_dual_and_b32 v3, 0xff, v0
	s_delay_alu instid0(VALU_DEP_1)
	v_cmpx_ne_u16_e32 0, v3
	s_cbranch_execz .LBB442_3113
; %bb.3106:                             ;   in Loop: Header=BB442_1382 Depth=1
	v_bfrev_b32_e32 v2, 1
	s_mov_b32 s13, exec_lo
	v_cmpx_ne_u16_e32 0x80, v3
	s_cbranch_execz .LBB442_3112
; %bb.3107:                             ;   in Loop: Header=BB442_1382 Depth=1
	v_and_b32_e32 v3, 0x7f, v0
	v_mov_b32_e32 v2, 0x7f800001
	s_mov_b32 s15, exec_lo
	s_delay_alu instid0(VALU_DEP_2)
	v_cmpx_ne_u32_e32 0x7f, v3
	s_cbranch_execz .LBB442_3111
; %bb.3108:                             ;   in Loop: Header=BB442_1382 Depth=1
	v_lshrrev_b32_e32 v9, 3, v3
	v_cmp_gt_u32_e64 s0, 8, v3
	v_dual_mov_b32 v3, v1 :: v_dual_mov_b32 v2, v0
	s_delay_alu instid0(VALU_DEP_2)
	s_and_saveexec_b32 s16, s0
; %bb.3109:                             ;   in Loop: Header=BB442_1382 Depth=1
	v_and_b32_e32 v2, 7, v0
	s_delay_alu instid0(VALU_DEP_1) | instskip(NEXT) | instid1(VALU_DEP_1)
	v_clz_i32_u32_e32 v2, v2
	v_min_u32_e32 v9, 32, v2
	s_delay_alu instid0(VALU_DEP_1) | instskip(SKIP_1) | instid1(VALU_DEP_2)
	v_subrev_nc_u32_e32 v2, 28, v9
	v_sub_nc_u32_e32 v9, 29, v9
	v_lshlrev_b64 v[2:3], v2, v[0:1]
; %bb.3110:                             ;   in Loop: Header=BB442_1382 Depth=1
	s_or_b32 exec_lo, exec_lo, s16
	s_delay_alu instid0(VALU_DEP_1) | instskip(SKIP_2) | instid1(VALU_DEP_3)
	v_lshlrev_b32_e32 v2, 20, v2
	v_lshlrev_b32_e32 v3, 24, v0
	v_lshl_add_u32 v9, v9, 23, 0x3c000000
	v_and_b32_e32 v2, 0x700000, v2
	s_delay_alu instid0(VALU_DEP_3) | instskip(NEXT) | instid1(VALU_DEP_1)
	v_and_b32_e32 v3, 0x80000000, v3
	v_or3_b32 v2, v2, v3, v9
.LBB442_3111:                           ;   in Loop: Header=BB442_1382 Depth=1
	s_or_b32 exec_lo, exec_lo, s15
.LBB442_3112:                           ;   in Loop: Header=BB442_1382 Depth=1
	s_delay_alu instid0(SALU_CYCLE_1)
	s_or_b32 exec_lo, exec_lo, s13
.LBB442_3113:                           ;   in Loop: Header=BB442_1382 Depth=1
	s_delay_alu instid0(SALU_CYCLE_1) | instskip(NEXT) | instid1(VALU_DEP_1)
	s_or_b32 exec_lo, exec_lo, s12
	v_mul_f32_e32 v2, v8, v2
                                        ; implicit-def: $vgpr141
	s_delay_alu instid0(VALU_DEP_1) | instskip(NEXT) | instid1(VALU_DEP_1)
	v_and_b32_e32 v3, 0x7f800000, v2
	v_cmp_ne_u32_e64 s0, 0x7f800000, v3
	s_delay_alu instid0(VALU_DEP_1) | instskip(NEXT) | instid1(SALU_CYCLE_1)
	s_and_saveexec_b32 s12, s0
	s_xor_b32 s0, exec_lo, s12
; %bb.3114:                             ;   in Loop: Header=BB442_1382 Depth=1
	v_bfe_u32 v3, v2, 16, 1
	s_delay_alu instid0(VALU_DEP_1)
	v_add3_u32 v141, v2, v3, 0x7fff
                                        ; implicit-def: $vgpr2
; %bb.3115:                             ;   in Loop: Header=BB442_1382 Depth=1
	s_and_not1_saveexec_b32 s12, s0
; %bb.3116:                             ;   in Loop: Header=BB442_1382 Depth=1
	v_and_b32_e32 v3, 0xffff, v2
	v_or_b32_e32 v9, 0x10000, v2
	s_delay_alu instid0(VALU_DEP_2) | instskip(NEXT) | instid1(VALU_DEP_1)
	v_cmp_eq_u32_e64 s0, 0, v3
	v_cndmask_b32_e64 v141, v9, v2, s0
; %bb.3117:                             ;   in Loop: Header=BB442_1382 Depth=1
	s_or_b32 exec_lo, exec_lo, s12
	v_lshrrev_b16 v3, 8, v0
	v_mov_b32_e32 v2, 0
	s_mov_b32 s12, exec_lo
	s_delay_alu instid0(VALU_DEP_2)
	v_cmpx_ne_u16_e32 0, v3
	s_cbranch_execz .LBB442_3125
; %bb.3118:                             ;   in Loop: Header=BB442_1382 Depth=1
	v_bfrev_b32_e32 v2, 1
	s_mov_b32 s13, exec_lo
	v_cmpx_ne_u16_e32 0x80, v3
	s_cbranch_execz .LBB442_3124
; %bb.3119:                             ;   in Loop: Header=BB442_1382 Depth=1
	v_and_b32_e32 v9, 0xffff, v3
	v_mov_b32_e32 v2, 0x7f800001
	s_mov_b32 s15, exec_lo
	s_delay_alu instid0(VALU_DEP_2) | instskip(NEXT) | instid1(VALU_DEP_1)
	v_and_b32_e32 v3, 0x7f, v9
	v_cmpx_ne_u32_e32 0x7f, v3
	s_cbranch_execz .LBB442_3123
; %bb.3120:                             ;   in Loop: Header=BB442_1382 Depth=1
	v_and_b32_e32 v9, 7, v9
	v_lshrrev_b32_e32 v142, 3, v3
	v_cmp_gt_u32_e64 s0, 8, v3
	s_delay_alu instid0(VALU_DEP_3) | instskip(NEXT) | instid1(VALU_DEP_2)
	v_dual_mov_b32 v2, v9 :: v_dual_mov_b32 v3, v10
	s_and_saveexec_b32 s16, s0
; %bb.3121:                             ;   in Loop: Header=BB442_1382 Depth=1
	v_clz_i32_u32_e32 v2, v9
	s_delay_alu instid0(VALU_DEP_1) | instskip(NEXT) | instid1(VALU_DEP_1)
	v_min_u32_e32 v142, 32, v2
	v_subrev_nc_u32_e32 v2, 28, v142
	v_sub_nc_u32_e32 v142, 29, v142
	s_delay_alu instid0(VALU_DEP_2) | instskip(NEXT) | instid1(VALU_DEP_1)
	v_lshlrev_b64 v[2:3], v2, v[9:10]
	v_and_b32_e32 v2, 7, v2
; %bb.3122:                             ;   in Loop: Header=BB442_1382 Depth=1
	s_or_b32 exec_lo, exec_lo, s16
	v_lshlrev_b32_e32 v3, 16, v0
	s_delay_alu instid0(VALU_DEP_2) | instskip(SKIP_1) | instid1(VALU_DEP_3)
	v_lshlrev_b32_e32 v2, 20, v2
	v_lshl_add_u32 v9, v142, 23, 0x3c000000
	v_and_b32_e32 v3, 0x80000000, v3
	s_delay_alu instid0(VALU_DEP_1)
	v_or3_b32 v2, v2, v3, v9
.LBB442_3123:                           ;   in Loop: Header=BB442_1382 Depth=1
	s_or_b32 exec_lo, exec_lo, s15
.LBB442_3124:                           ;   in Loop: Header=BB442_1382 Depth=1
	s_delay_alu instid0(SALU_CYCLE_1)
	s_or_b32 exec_lo, exec_lo, s13
.LBB442_3125:                           ;   in Loop: Header=BB442_1382 Depth=1
	s_delay_alu instid0(SALU_CYCLE_1) | instskip(NEXT) | instid1(VALU_DEP_1)
	s_or_b32 exec_lo, exec_lo, s12
	v_mul_f32_e32 v2, v8, v2
                                        ; implicit-def: $vgpr142
	s_delay_alu instid0(VALU_DEP_1) | instskip(NEXT) | instid1(VALU_DEP_1)
	v_and_b32_e32 v3, 0x7f800000, v2
	v_cmp_ne_u32_e64 s0, 0x7f800000, v3
	s_delay_alu instid0(VALU_DEP_1) | instskip(NEXT) | instid1(SALU_CYCLE_1)
	s_and_saveexec_b32 s12, s0
	s_xor_b32 s0, exec_lo, s12
; %bb.3126:                             ;   in Loop: Header=BB442_1382 Depth=1
	v_bfe_u32 v3, v2, 16, 1
	s_delay_alu instid0(VALU_DEP_1)
	v_add3_u32 v142, v2, v3, 0x7fff
                                        ; implicit-def: $vgpr2
; %bb.3127:                             ;   in Loop: Header=BB442_1382 Depth=1
	s_and_not1_saveexec_b32 s12, s0
; %bb.3128:                             ;   in Loop: Header=BB442_1382 Depth=1
	v_and_b32_e32 v3, 0xffff, v2
	v_or_b32_e32 v9, 0x10000, v2
	s_delay_alu instid0(VALU_DEP_2) | instskip(NEXT) | instid1(VALU_DEP_1)
	v_cmp_eq_u32_e64 s0, 0, v3
	v_cndmask_b32_e64 v142, v9, v2, s0
; %bb.3129:                             ;   in Loop: Header=BB442_1382 Depth=1
	s_or_b32 exec_lo, exec_lo, s12
	v_lshrrev_b32_e32 v143, 16, v0
	s_mov_b32 s12, exec_lo
	s_delay_alu instid0(VALU_DEP_1) | instskip(NEXT) | instid1(VALU_DEP_1)
	v_dual_mov_b32 v2, 0 :: v_dual_and_b32 v3, 0xff, v143
	v_cmpx_ne_u16_e32 0, v3
	s_cbranch_execz .LBB442_3137
; %bb.3130:                             ;   in Loop: Header=BB442_1382 Depth=1
	v_bfrev_b32_e32 v2, 1
	s_mov_b32 s13, exec_lo
	v_cmpx_ne_u16_e32 0x80, v3
	s_cbranch_execz .LBB442_3136
; %bb.3131:                             ;   in Loop: Header=BB442_1382 Depth=1
	v_bfe_u32 v3, v0, 16, 7
	v_mov_b32_e32 v2, 0x7f800001
	s_mov_b32 s15, exec_lo
	s_delay_alu instid0(VALU_DEP_2)
	v_cmpx_ne_u32_e32 0x7f, v3
	s_cbranch_execz .LBB442_3135
; %bb.3132:                             ;   in Loop: Header=BB442_1382 Depth=1
	v_and_b32_e32 v9, 7, v143
	v_lshrrev_b32_e32 v152, 3, v3
	v_cmp_gt_u32_e64 s0, 8, v3
	s_delay_alu instid0(VALU_DEP_3) | instskip(NEXT) | instid1(VALU_DEP_2)
	v_dual_mov_b32 v2, v9 :: v_dual_mov_b32 v3, v10
	s_and_saveexec_b32 s16, s0
; %bb.3133:                             ;   in Loop: Header=BB442_1382 Depth=1
	v_clz_i32_u32_e32 v2, v9
	s_delay_alu instid0(VALU_DEP_1) | instskip(NEXT) | instid1(VALU_DEP_1)
	v_min_u32_e32 v152, 32, v2
	v_subrev_nc_u32_e32 v2, 28, v152
	v_sub_nc_u32_e32 v152, 29, v152
	s_delay_alu instid0(VALU_DEP_2) | instskip(NEXT) | instid1(VALU_DEP_1)
	v_lshlrev_b64 v[2:3], v2, v[9:10]
	v_and_b32_e32 v2, 7, v2
; %bb.3134:                             ;   in Loop: Header=BB442_1382 Depth=1
	s_or_b32 exec_lo, exec_lo, s16
	v_lshlrev_b32_e32 v3, 24, v143
	s_delay_alu instid0(VALU_DEP_2) | instskip(SKIP_1) | instid1(VALU_DEP_3)
	v_lshlrev_b32_e32 v2, 20, v2
	v_lshl_add_u32 v9, v152, 23, 0x3c000000
	v_and_b32_e32 v3, 0x80000000, v3
	s_delay_alu instid0(VALU_DEP_1)
	v_or3_b32 v2, v2, v3, v9
.LBB442_3135:                           ;   in Loop: Header=BB442_1382 Depth=1
	s_or_b32 exec_lo, exec_lo, s15
.LBB442_3136:                           ;   in Loop: Header=BB442_1382 Depth=1
	s_delay_alu instid0(SALU_CYCLE_1)
	s_or_b32 exec_lo, exec_lo, s13
.LBB442_3137:                           ;   in Loop: Header=BB442_1382 Depth=1
	s_delay_alu instid0(SALU_CYCLE_1) | instskip(NEXT) | instid1(VALU_DEP_1)
	s_or_b32 exec_lo, exec_lo, s12
	v_mul_f32_e32 v2, v8, v2
                                        ; implicit-def: $vgpr143
	s_delay_alu instid0(VALU_DEP_1) | instskip(NEXT) | instid1(VALU_DEP_1)
	v_and_b32_e32 v3, 0x7f800000, v2
	v_cmp_ne_u32_e64 s0, 0x7f800000, v3
	s_delay_alu instid0(VALU_DEP_1) | instskip(NEXT) | instid1(SALU_CYCLE_1)
	s_and_saveexec_b32 s12, s0
	s_xor_b32 s0, exec_lo, s12
; %bb.3138:                             ;   in Loop: Header=BB442_1382 Depth=1
	v_bfe_u32 v3, v2, 16, 1
	s_delay_alu instid0(VALU_DEP_1)
	v_add3_u32 v143, v2, v3, 0x7fff
                                        ; implicit-def: $vgpr2
; %bb.3139:                             ;   in Loop: Header=BB442_1382 Depth=1
	s_and_not1_saveexec_b32 s12, s0
; %bb.3140:                             ;   in Loop: Header=BB442_1382 Depth=1
	v_and_b32_e32 v3, 0xffff, v2
	v_or_b32_e32 v9, 0x10000, v2
	s_delay_alu instid0(VALU_DEP_2) | instskip(NEXT) | instid1(VALU_DEP_1)
	v_cmp_eq_u32_e64 s0, 0, v3
	v_cndmask_b32_e64 v143, v9, v2, s0
; %bb.3141:                             ;   in Loop: Header=BB442_1382 Depth=1
	s_or_b32 exec_lo, exec_lo, s12
	v_mov_b32_e32 v2, 0
	s_mov_b32 s12, exec_lo
	v_cmpx_lt_u32_e32 0xffffff, v0
	s_cbranch_execz .LBB442_3149
; %bb.3142:                             ;   in Loop: Header=BB442_1382 Depth=1
	v_lshrrev_b32_e32 v152, 24, v0
	v_bfrev_b32_e32 v2, 1
	s_mov_b32 s13, exec_lo
	s_delay_alu instid0(VALU_DEP_2)
	v_cmpx_ne_u32_e32 0x80, v152
	s_cbranch_execz .LBB442_3148
; %bb.3143:                             ;   in Loop: Header=BB442_1382 Depth=1
	v_bfe_u32 v3, v0, 24, 7
	v_mov_b32_e32 v2, 0x7f800001
	s_mov_b32 s15, exec_lo
	s_delay_alu instid0(VALU_DEP_2)
	v_cmpx_ne_u32_e32 0x7f, v3
	s_cbranch_execz .LBB442_3147
; %bb.3144:                             ;   in Loop: Header=BB442_1382 Depth=1
	v_and_b32_e32 v9, 7, v152
	v_lshrrev_b32_e32 v153, 3, v3
	v_cmp_gt_u32_e64 s0, 8, v3
	s_delay_alu instid0(VALU_DEP_3) | instskip(NEXT) | instid1(VALU_DEP_2)
	v_dual_mov_b32 v2, v9 :: v_dual_mov_b32 v3, v10
	s_and_saveexec_b32 s16, s0
; %bb.3145:                             ;   in Loop: Header=BB442_1382 Depth=1
	v_clz_i32_u32_e32 v2, v9
	s_delay_alu instid0(VALU_DEP_1) | instskip(NEXT) | instid1(VALU_DEP_1)
	v_min_u32_e32 v153, 32, v2
	v_subrev_nc_u32_e32 v2, 28, v153
	v_sub_nc_u32_e32 v153, 29, v153
	s_delay_alu instid0(VALU_DEP_2) | instskip(NEXT) | instid1(VALU_DEP_1)
	v_lshlrev_b64 v[2:3], v2, v[9:10]
	v_and_b32_e32 v2, 7, v2
; %bb.3146:                             ;   in Loop: Header=BB442_1382 Depth=1
	s_or_b32 exec_lo, exec_lo, s16
	v_lshlrev_b32_e32 v3, 24, v152
	s_delay_alu instid0(VALU_DEP_2) | instskip(SKIP_1) | instid1(VALU_DEP_3)
	v_lshlrev_b32_e32 v2, 20, v2
	v_lshl_add_u32 v9, v153, 23, 0x3c000000
	v_and_b32_e32 v3, 0x80000000, v3
	s_delay_alu instid0(VALU_DEP_1)
	v_or3_b32 v2, v2, v3, v9
.LBB442_3147:                           ;   in Loop: Header=BB442_1382 Depth=1
	s_or_b32 exec_lo, exec_lo, s15
.LBB442_3148:                           ;   in Loop: Header=BB442_1382 Depth=1
	s_delay_alu instid0(SALU_CYCLE_1)
	s_or_b32 exec_lo, exec_lo, s13
.LBB442_3149:                           ;   in Loop: Header=BB442_1382 Depth=1
	s_delay_alu instid0(SALU_CYCLE_1) | instskip(NEXT) | instid1(VALU_DEP_1)
	s_or_b32 exec_lo, exec_lo, s12
	v_mul_f32_e32 v2, v8, v2
                                        ; implicit-def: $vgpr152
	s_delay_alu instid0(VALU_DEP_1) | instskip(NEXT) | instid1(VALU_DEP_1)
	v_and_b32_e32 v3, 0x7f800000, v2
	v_cmp_ne_u32_e64 s0, 0x7f800000, v3
	s_delay_alu instid0(VALU_DEP_1) | instskip(NEXT) | instid1(SALU_CYCLE_1)
	s_and_saveexec_b32 s12, s0
	s_xor_b32 s0, exec_lo, s12
; %bb.3150:                             ;   in Loop: Header=BB442_1382 Depth=1
	v_bfe_u32 v3, v2, 16, 1
	s_delay_alu instid0(VALU_DEP_1)
	v_add3_u32 v152, v2, v3, 0x7fff
                                        ; implicit-def: $vgpr2
; %bb.3151:                             ;   in Loop: Header=BB442_1382 Depth=1
	s_and_not1_saveexec_b32 s12, s0
; %bb.3152:                             ;   in Loop: Header=BB442_1382 Depth=1
	v_and_b32_e32 v3, 0xffff, v2
	v_or_b32_e32 v9, 0x10000, v2
	s_delay_alu instid0(VALU_DEP_2) | instskip(NEXT) | instid1(VALU_DEP_1)
	v_cmp_eq_u32_e64 s0, 0, v3
	v_cndmask_b32_e64 v152, v9, v2, s0
; %bb.3153:                             ;   in Loop: Header=BB442_1382 Depth=1
	s_or_b32 exec_lo, exec_lo, s12
	v_dual_mov_b32 v2, 0 :: v_dual_and_b32 v3, 0xff, v1
	v_mov_b32_e32 v9, v1
	s_mov_b32 s12, exec_lo
	s_delay_alu instid0(VALU_DEP_2)
	v_cmpx_ne_u16_e32 0, v3
	s_cbranch_execz .LBB442_3161
; %bb.3154:                             ;   in Loop: Header=BB442_1382 Depth=1
	v_bfrev_b32_e32 v2, 1
	s_mov_b32 s13, exec_lo
	v_cmpx_ne_u16_e32 0x80, v3
	s_cbranch_execz .LBB442_3160
; %bb.3155:                             ;   in Loop: Header=BB442_1382 Depth=1
	v_and_b32_e32 v3, 0x7f, v1
	v_mov_b32_e32 v2, 0x7f800001
	s_mov_b32 s15, exec_lo
	s_delay_alu instid0(VALU_DEP_2)
	v_cmpx_ne_u32_e32 0x7f, v3
	s_cbranch_execz .LBB442_3159
; %bb.3156:                             ;   in Loop: Header=BB442_1382 Depth=1
	v_lshrrev_b32_e32 v153, 3, v3
	v_cmp_gt_u32_e64 s0, 8, v3
	v_dual_mov_b32 v2, v9 :: v_dual_mov_b32 v3, v10
	s_delay_alu instid0(VALU_DEP_2)
	s_and_saveexec_b32 s16, s0
; %bb.3157:                             ;   in Loop: Header=BB442_1382 Depth=1
	v_and_b32_e32 v2, 7, v1
	s_delay_alu instid0(VALU_DEP_1) | instskip(NEXT) | instid1(VALU_DEP_1)
	v_clz_i32_u32_e32 v2, v2
	v_min_u32_e32 v153, 32, v2
	s_delay_alu instid0(VALU_DEP_1) | instskip(SKIP_1) | instid1(VALU_DEP_2)
	v_subrev_nc_u32_e32 v2, 28, v153
	v_sub_nc_u32_e32 v153, 29, v153
	v_lshlrev_b64 v[2:3], v2, v[9:10]
; %bb.3158:                             ;   in Loop: Header=BB442_1382 Depth=1
	s_or_b32 exec_lo, exec_lo, s16
	s_delay_alu instid0(VALU_DEP_1) | instskip(SKIP_2) | instid1(VALU_DEP_3)
	v_lshlrev_b32_e32 v2, 20, v2
	v_lshlrev_b32_e32 v3, 24, v9
	v_lshl_add_u32 v153, v153, 23, 0x3c000000
	v_and_b32_e32 v2, 0x700000, v2
	s_delay_alu instid0(VALU_DEP_3) | instskip(NEXT) | instid1(VALU_DEP_1)
	v_and_b32_e32 v3, 0x80000000, v3
	v_or3_b32 v2, v2, v3, v153
.LBB442_3159:                           ;   in Loop: Header=BB442_1382 Depth=1
	s_or_b32 exec_lo, exec_lo, s15
.LBB442_3160:                           ;   in Loop: Header=BB442_1382 Depth=1
	s_delay_alu instid0(SALU_CYCLE_1)
	s_or_b32 exec_lo, exec_lo, s13
.LBB442_3161:                           ;   in Loop: Header=BB442_1382 Depth=1
	s_delay_alu instid0(SALU_CYCLE_1) | instskip(NEXT) | instid1(VALU_DEP_1)
	s_or_b32 exec_lo, exec_lo, s12
	v_mul_f32_e32 v2, v8, v2
                                        ; implicit-def: $vgpr153
	s_delay_alu instid0(VALU_DEP_1) | instskip(NEXT) | instid1(VALU_DEP_1)
	v_and_b32_e32 v3, 0x7f800000, v2
	v_cmp_ne_u32_e64 s0, 0x7f800000, v3
	s_delay_alu instid0(VALU_DEP_1) | instskip(NEXT) | instid1(SALU_CYCLE_1)
	s_and_saveexec_b32 s12, s0
	s_xor_b32 s0, exec_lo, s12
; %bb.3162:                             ;   in Loop: Header=BB442_1382 Depth=1
	v_bfe_u32 v3, v2, 16, 1
	s_delay_alu instid0(VALU_DEP_1)
	v_add3_u32 v153, v2, v3, 0x7fff
                                        ; implicit-def: $vgpr2
; %bb.3163:                             ;   in Loop: Header=BB442_1382 Depth=1
	s_and_not1_saveexec_b32 s12, s0
; %bb.3164:                             ;   in Loop: Header=BB442_1382 Depth=1
	v_and_b32_e32 v3, 0xffff, v2
	v_or_b32_e32 v153, 0x10000, v2
	s_delay_alu instid0(VALU_DEP_2) | instskip(NEXT) | instid1(VALU_DEP_1)
	v_cmp_eq_u32_e64 s0, 0, v3
	v_cndmask_b32_e64 v153, v153, v2, s0
; %bb.3165:                             ;   in Loop: Header=BB442_1382 Depth=1
	s_or_b32 exec_lo, exec_lo, s12
	v_lshrrev_b16 v3, 8, v9
	v_mov_b32_e32 v2, 0
	s_mov_b32 s12, exec_lo
	s_delay_alu instid0(VALU_DEP_2)
	v_cmpx_ne_u16_e32 0, v3
	s_cbranch_execz .LBB442_3173
; %bb.3166:                             ;   in Loop: Header=BB442_1382 Depth=1
	v_bfrev_b32_e32 v2, 1
	s_mov_b32 s13, exec_lo
	v_cmpx_ne_u16_e32 0x80, v3
	s_cbranch_execz .LBB442_3172
; %bb.3167:                             ;   in Loop: Header=BB442_1382 Depth=1
	v_and_b32_e32 v3, 0xffff, v3
	v_mov_b32_e32 v2, 0x7f800001
	s_mov_b32 s15, exec_lo
	s_delay_alu instid0(VALU_DEP_2) | instskip(NEXT) | instid1(VALU_DEP_1)
	v_and_b32_e32 v155, 0x7f, v3
	v_cmpx_ne_u32_e32 0x7f, v155
	s_cbranch_execz .LBB442_3171
; %bb.3168:                             ;   in Loop: Header=BB442_1382 Depth=1
	v_dual_mov_b32 v3, v10 :: v_dual_and_b32 v2, 7, v3
	v_lshrrev_b32_e32 v154, 3, v155
	s_mov_b32 s16, exec_lo
	v_cmpx_gt_u32_e32 8, v155
; %bb.3169:                             ;   in Loop: Header=BB442_1382 Depth=1
	s_delay_alu instid0(VALU_DEP_3) | instskip(NEXT) | instid1(VALU_DEP_1)
	v_clz_i32_u32_e32 v154, v2
	v_min_u32_e32 v154, 32, v154
	s_delay_alu instid0(VALU_DEP_1) | instskip(SKIP_1) | instid1(VALU_DEP_2)
	v_subrev_nc_u32_e32 v155, 28, v154
	v_sub_nc_u32_e32 v154, 29, v154
	v_lshlrev_b64 v[2:3], v155, v[2:3]
	s_delay_alu instid0(VALU_DEP_1)
	v_and_b32_e32 v2, 7, v2
; %bb.3170:                             ;   in Loop: Header=BB442_1382 Depth=1
	s_or_b32 exec_lo, exec_lo, s16
	v_lshlrev_b32_e32 v3, 16, v9
	s_delay_alu instid0(VALU_DEP_2) | instskip(SKIP_1) | instid1(VALU_DEP_3)
	v_lshlrev_b32_e32 v2, 20, v2
	v_lshl_add_u32 v9, v154, 23, 0x3c000000
	v_and_b32_e32 v3, 0x80000000, v3
	s_delay_alu instid0(VALU_DEP_1)
	v_or3_b32 v2, v2, v3, v9
.LBB442_3171:                           ;   in Loop: Header=BB442_1382 Depth=1
	s_or_b32 exec_lo, exec_lo, s15
.LBB442_3172:                           ;   in Loop: Header=BB442_1382 Depth=1
	s_delay_alu instid0(SALU_CYCLE_1)
	s_or_b32 exec_lo, exec_lo, s13
.LBB442_3173:                           ;   in Loop: Header=BB442_1382 Depth=1
	s_delay_alu instid0(SALU_CYCLE_1) | instskip(NEXT) | instid1(VALU_DEP_1)
	s_or_b32 exec_lo, exec_lo, s12
	v_mul_f32_e32 v2, v8, v2
                                        ; implicit-def: $vgpr154
	s_delay_alu instid0(VALU_DEP_1) | instskip(NEXT) | instid1(VALU_DEP_1)
	v_and_b32_e32 v3, 0x7f800000, v2
	v_cmp_ne_u32_e64 s0, 0x7f800000, v3
	s_delay_alu instid0(VALU_DEP_1) | instskip(NEXT) | instid1(SALU_CYCLE_1)
	s_and_saveexec_b32 s12, s0
	s_xor_b32 s0, exec_lo, s12
; %bb.3174:                             ;   in Loop: Header=BB442_1382 Depth=1
	v_bfe_u32 v3, v2, 16, 1
	s_delay_alu instid0(VALU_DEP_1)
	v_add3_u32 v154, v2, v3, 0x7fff
                                        ; implicit-def: $vgpr2
; %bb.3175:                             ;   in Loop: Header=BB442_1382 Depth=1
	s_and_not1_saveexec_b32 s12, s0
; %bb.3176:                             ;   in Loop: Header=BB442_1382 Depth=1
	v_and_b32_e32 v3, 0xffff, v2
	v_or_b32_e32 v9, 0x10000, v2
	s_delay_alu instid0(VALU_DEP_2) | instskip(NEXT) | instid1(VALU_DEP_1)
	v_cmp_eq_u32_e64 s0, 0, v3
	v_cndmask_b32_e64 v154, v9, v2, s0
; %bb.3177:                             ;   in Loop: Header=BB442_1382 Depth=1
	s_or_b32 exec_lo, exec_lo, s12
	v_lshrrev_b32_e32 v155, 16, v1
	s_mov_b32 s12, exec_lo
	s_delay_alu instid0(VALU_DEP_1) | instskip(NEXT) | instid1(VALU_DEP_1)
	v_dual_mov_b32 v2, 0 :: v_dual_and_b32 v3, 0xff, v155
	v_cmpx_ne_u16_e32 0, v3
	s_cbranch_execz .LBB442_3185
; %bb.3178:                             ;   in Loop: Header=BB442_1382 Depth=1
	v_bfrev_b32_e32 v2, 1
	s_mov_b32 s13, exec_lo
	v_cmpx_ne_u16_e32 0x80, v3
	s_cbranch_execz .LBB442_3184
; %bb.3179:                             ;   in Loop: Header=BB442_1382 Depth=1
	v_bfe_u32 v3, v1, 16, 7
	v_mov_b32_e32 v2, 0x7f800001
	s_mov_b32 s15, exec_lo
	s_delay_alu instid0(VALU_DEP_2)
	v_cmpx_ne_u32_e32 0x7f, v3
	s_cbranch_execz .LBB442_3183
; %bb.3180:                             ;   in Loop: Header=BB442_1382 Depth=1
	v_and_b32_e32 v9, 7, v155
	v_lshrrev_b32_e32 v156, 3, v3
	v_cmp_gt_u32_e64 s0, 8, v3
	s_delay_alu instid0(VALU_DEP_3) | instskip(NEXT) | instid1(VALU_DEP_2)
	v_dual_mov_b32 v2, v9 :: v_dual_mov_b32 v3, v10
	s_and_saveexec_b32 s16, s0
; %bb.3181:                             ;   in Loop: Header=BB442_1382 Depth=1
	v_clz_i32_u32_e32 v2, v9
	s_delay_alu instid0(VALU_DEP_1) | instskip(NEXT) | instid1(VALU_DEP_1)
	v_min_u32_e32 v156, 32, v2
	v_subrev_nc_u32_e32 v2, 28, v156
	v_sub_nc_u32_e32 v156, 29, v156
	s_delay_alu instid0(VALU_DEP_2) | instskip(NEXT) | instid1(VALU_DEP_1)
	v_lshlrev_b64 v[2:3], v2, v[9:10]
	v_and_b32_e32 v2, 7, v2
; %bb.3182:                             ;   in Loop: Header=BB442_1382 Depth=1
	s_or_b32 exec_lo, exec_lo, s16
	v_lshlrev_b32_e32 v3, 24, v155
	s_delay_alu instid0(VALU_DEP_2) | instskip(SKIP_1) | instid1(VALU_DEP_3)
	v_lshlrev_b32_e32 v2, 20, v2
	v_lshl_add_u32 v9, v156, 23, 0x3c000000
	v_and_b32_e32 v3, 0x80000000, v3
	s_delay_alu instid0(VALU_DEP_1)
	v_or3_b32 v2, v2, v3, v9
.LBB442_3183:                           ;   in Loop: Header=BB442_1382 Depth=1
	s_or_b32 exec_lo, exec_lo, s15
.LBB442_3184:                           ;   in Loop: Header=BB442_1382 Depth=1
	s_delay_alu instid0(SALU_CYCLE_1)
	s_or_b32 exec_lo, exec_lo, s13
.LBB442_3185:                           ;   in Loop: Header=BB442_1382 Depth=1
	s_delay_alu instid0(SALU_CYCLE_1) | instskip(NEXT) | instid1(VALU_DEP_1)
	s_or_b32 exec_lo, exec_lo, s12
	v_mul_f32_e32 v3, v8, v2
	s_delay_alu instid0(VALU_DEP_1) | instskip(NEXT) | instid1(VALU_DEP_1)
	v_and_b32_e32 v2, 0x7f800000, v3
	v_cmp_ne_u32_e64 s0, 0x7f800000, v2
                                        ; implicit-def: $vgpr2
	s_delay_alu instid0(VALU_DEP_1) | instskip(NEXT) | instid1(SALU_CYCLE_1)
	s_and_saveexec_b32 s12, s0
	s_xor_b32 s0, exec_lo, s12
; %bb.3186:                             ;   in Loop: Header=BB442_1382 Depth=1
	v_bfe_u32 v2, v3, 16, 1
	s_delay_alu instid0(VALU_DEP_1)
	v_add3_u32 v2, v3, v2, 0x7fff
                                        ; implicit-def: $vgpr3
; %bb.3187:                             ;   in Loop: Header=BB442_1382 Depth=1
	s_and_not1_saveexec_b32 s12, s0
; %bb.3188:                             ;   in Loop: Header=BB442_1382 Depth=1
	v_and_b32_e32 v2, 0xffff, v3
	v_or_b32_e32 v9, 0x10000, v3
	s_delay_alu instid0(VALU_DEP_2) | instskip(NEXT) | instid1(VALU_DEP_1)
	v_cmp_eq_u32_e64 s0, 0, v2
	v_cndmask_b32_e64 v2, v9, v3, s0
; %bb.3189:                             ;   in Loop: Header=BB442_1382 Depth=1
	s_or_b32 exec_lo, exec_lo, s12
	v_cmp_lt_u64_e64 s0, s[8:9], v[0:1]
	v_mov_b32_e32 v0, 0
	s_delay_alu instid0(VALU_DEP_2)
	s_and_saveexec_b32 s12, s0
	s_cbranch_execz .LBB442_3197
; %bb.3190:                             ;   in Loop: Header=BB442_1382 Depth=1
	v_lshrrev_b32_e32 v3, 24, v1
	v_bfrev_b32_e32 v0, 1
	s_mov_b32 s13, exec_lo
	s_delay_alu instid0(VALU_DEP_2)
	v_cmpx_ne_u32_e32 0x80, v3
	s_cbranch_execz .LBB442_3196
; %bb.3191:                             ;   in Loop: Header=BB442_1382 Depth=1
	v_bfe_u32 v1, v1, 24, 7
	v_mov_b32_e32 v0, 0x7f800001
	s_mov_b32 s15, exec_lo
	s_delay_alu instid0(VALU_DEP_2)
	v_cmpx_ne_u32_e32 0x7f, v1
	s_cbranch_execz .LBB442_3195
; %bb.3192:                             ;   in Loop: Header=BB442_1382 Depth=1
	v_and_b32_e32 v9, 7, v3
	v_lshrrev_b32_e32 v155, 3, v1
	v_cmp_gt_u32_e64 s0, 8, v1
	s_delay_alu instid0(VALU_DEP_3) | instskip(NEXT) | instid1(VALU_DEP_2)
	v_dual_mov_b32 v0, v9 :: v_dual_mov_b32 v1, v10
	s_and_saveexec_b32 s16, s0
; %bb.3193:                             ;   in Loop: Header=BB442_1382 Depth=1
	v_clz_i32_u32_e32 v0, v9
	s_delay_alu instid0(VALU_DEP_1) | instskip(NEXT) | instid1(VALU_DEP_1)
	v_min_u32_e32 v155, 32, v0
	v_subrev_nc_u32_e32 v0, 28, v155
	v_sub_nc_u32_e32 v155, 29, v155
	s_delay_alu instid0(VALU_DEP_2) | instskip(NEXT) | instid1(VALU_DEP_1)
	v_lshlrev_b64 v[0:1], v0, v[9:10]
	v_and_b32_e32 v0, 7, v0
; %bb.3194:                             ;   in Loop: Header=BB442_1382 Depth=1
	s_or_b32 exec_lo, exec_lo, s16
	v_lshlrev_b32_e32 v1, 24, v3
	s_delay_alu instid0(VALU_DEP_2) | instskip(SKIP_1) | instid1(VALU_DEP_3)
	v_lshlrev_b32_e32 v0, 20, v0
	v_lshl_add_u32 v3, v155, 23, 0x3c000000
	v_and_b32_e32 v1, 0x80000000, v1
	s_delay_alu instid0(VALU_DEP_1)
	v_or3_b32 v0, v0, v1, v3
.LBB442_3195:                           ;   in Loop: Header=BB442_1382 Depth=1
	s_or_b32 exec_lo, exec_lo, s15
.LBB442_3196:                           ;   in Loop: Header=BB442_1382 Depth=1
	s_delay_alu instid0(SALU_CYCLE_1)
	s_or_b32 exec_lo, exec_lo, s13
.LBB442_3197:                           ;   in Loop: Header=BB442_1382 Depth=1
	s_delay_alu instid0(SALU_CYCLE_1) | instskip(NEXT) | instid1(VALU_DEP_1)
	s_or_b32 exec_lo, exec_lo, s12
	v_mul_f32_e32 v0, v8, v0
                                        ; implicit-def: $vgpr155
	s_delay_alu instid0(VALU_DEP_1) | instskip(NEXT) | instid1(VALU_DEP_1)
	v_and_b32_e32 v1, 0x7f800000, v0
	v_cmp_ne_u32_e64 s0, 0x7f800000, v1
	s_delay_alu instid0(VALU_DEP_1) | instskip(NEXT) | instid1(SALU_CYCLE_1)
	s_and_saveexec_b32 s12, s0
	s_xor_b32 s0, exec_lo, s12
; %bb.3198:                             ;   in Loop: Header=BB442_1382 Depth=1
	v_bfe_u32 v1, v0, 16, 1
	s_delay_alu instid0(VALU_DEP_1)
	v_add3_u32 v155, v0, v1, 0x7fff
                                        ; implicit-def: $vgpr0
; %bb.3199:                             ;   in Loop: Header=BB442_1382 Depth=1
	s_and_not1_saveexec_b32 s12, s0
; %bb.3200:                             ;   in Loop: Header=BB442_1382 Depth=1
	v_and_b32_e32 v1, 0xffff, v0
	v_or_b32_e32 v3, 0x10000, v0
	s_delay_alu instid0(VALU_DEP_2) | instskip(NEXT) | instid1(VALU_DEP_1)
	v_cmp_eq_u32_e64 s0, 0, v1
	v_cndmask_b32_e64 v155, v3, v0, s0
; %bb.3201:                             ;   in Loop: Header=BB442_1382 Depth=1
	s_or_b32 exec_lo, exec_lo, s12
	v_lshrrev_b32_e32 v9, 16, v154
	v_lshrrev_b32_e32 v8, 16, v153
	;; [unrolled: 1-line block ×8, first 2 shown]
	s_and_saveexec_b32 s0, vcc_lo
	s_cbranch_execz .LBB442_3203
; %bb.3202:                             ;   in Loop: Header=BB442_1382 Depth=1
	v_cmp_lt_i32_e32 vcc_lo, v84, v38
	v_cndmask_b32_e32 v0, 0, v0, vcc_lo
	v_cmp_lt_i32_e32 vcc_lo, v99, v38
	v_cndmask_b32_e32 v1, 0, v1, vcc_lo
	;; [unrolled: 2-line block ×8, first 2 shown]
.LBB442_3203:                           ;   in Loop: Header=BB442_1382 Depth=1
	s_or_b32 exec_lo, exec_lo, s0
	v_lshlrev_b32_e32 v0, 16, v0
	s_delay_alu instid0(VALU_DEP_1) | instskip(NEXT) | instid1(VALU_DEP_1)
	v_mul_f32_e32 v2, v100, v0
	v_and_b32_e32 v0, 0x7f800000, v2
	s_delay_alu instid0(VALU_DEP_1) | instskip(SKIP_1) | instid1(SALU_CYCLE_1)
	v_cmp_ne_u32_e32 vcc_lo, 0x7f800000, v0
                                        ; implicit-def: $vgpr0
	s_and_saveexec_b32 s0, vcc_lo
	s_xor_b32 s0, exec_lo, s0
; %bb.3204:                             ;   in Loop: Header=BB442_1382 Depth=1
	v_bfe_u32 v0, v2, 16, 1
	s_delay_alu instid0(VALU_DEP_1)
	v_add3_u32 v0, v2, v0, 0x7fff
                                        ; implicit-def: $vgpr2
; %bb.3205:                             ;   in Loop: Header=BB442_1382 Depth=1
	s_and_not1_saveexec_b32 s0, s0
; %bb.3206:                             ;   in Loop: Header=BB442_1382 Depth=1
	v_and_b32_e32 v0, 0xffff, v2
	v_or_b32_e32 v84, 0x10000, v2
	s_delay_alu instid0(VALU_DEP_2) | instskip(NEXT) | instid1(VALU_DEP_2)
	v_cmp_eq_u32_e32 vcc_lo, 0, v0
	v_cndmask_b32_e32 v0, v84, v2, vcc_lo
; %bb.3207:                             ;   in Loop: Header=BB442_1382 Depth=1
	s_or_b32 exec_lo, exec_lo, s0
	v_lshlrev_b32_e32 v1, 16, v1
	s_delay_alu instid0(VALU_DEP_1) | instskip(NEXT) | instid1(VALU_DEP_1)
	v_mul_f32_e32 v2, v101, v1
	v_and_b32_e32 v1, 0x7f800000, v2
	s_delay_alu instid0(VALU_DEP_1) | instskip(SKIP_1) | instid1(SALU_CYCLE_1)
	v_cmp_ne_u32_e32 vcc_lo, 0x7f800000, v1
                                        ; implicit-def: $vgpr1
	s_and_saveexec_b32 s0, vcc_lo
	s_xor_b32 s0, exec_lo, s0
; %bb.3208:                             ;   in Loop: Header=BB442_1382 Depth=1
	v_bfe_u32 v1, v2, 16, 1
	s_delay_alu instid0(VALU_DEP_1)
	v_add3_u32 v1, v2, v1, 0x7fff
                                        ; implicit-def: $vgpr2
; %bb.3209:                             ;   in Loop: Header=BB442_1382 Depth=1
	s_and_not1_saveexec_b32 s0, s0
; %bb.3210:                             ;   in Loop: Header=BB442_1382 Depth=1
	v_and_b32_e32 v1, 0xffff, v2
	v_or_b32_e32 v84, 0x10000, v2
	s_delay_alu instid0(VALU_DEP_2) | instskip(NEXT) | instid1(VALU_DEP_2)
	v_cmp_eq_u32_e32 vcc_lo, 0, v1
	v_cndmask_b32_e32 v1, v84, v2, vcc_lo
; %bb.3211:                             ;   in Loop: Header=BB442_1382 Depth=1
	s_or_b32 exec_lo, exec_lo, s0
	v_lshlrev_b32_e32 v2, 16, v143
	s_delay_alu instid0(VALU_DEP_1) | instskip(NEXT) | instid1(VALU_DEP_1)
	v_mul_f32_e32 v84, v102, v2
	v_and_b32_e32 v2, 0x7f800000, v84
	s_delay_alu instid0(VALU_DEP_1) | instskip(SKIP_1) | instid1(SALU_CYCLE_1)
	v_cmp_ne_u32_e32 vcc_lo, 0x7f800000, v2
                                        ; implicit-def: $vgpr2
	s_and_saveexec_b32 s0, vcc_lo
	s_xor_b32 s0, exec_lo, s0
; %bb.3212:                             ;   in Loop: Header=BB442_1382 Depth=1
	v_bfe_u32 v2, v84, 16, 1
	s_delay_alu instid0(VALU_DEP_1)
	v_add3_u32 v2, v84, v2, 0x7fff
                                        ; implicit-def: $vgpr84
; %bb.3213:                             ;   in Loop: Header=BB442_1382 Depth=1
	s_and_not1_saveexec_b32 s0, s0
; %bb.3214:                             ;   in Loop: Header=BB442_1382 Depth=1
	v_and_b32_e32 v2, 0xffff, v84
	v_or_b32_e32 v85, 0x10000, v84
	s_delay_alu instid0(VALU_DEP_2) | instskip(NEXT) | instid1(VALU_DEP_2)
	v_cmp_eq_u32_e32 vcc_lo, 0, v2
	v_cndmask_b32_e32 v2, v85, v84, vcc_lo
; %bb.3215:                             ;   in Loop: Header=BB442_1382 Depth=1
	s_or_b32 exec_lo, exec_lo, s0
	v_lshlrev_b32_e32 v3, 16, v3
	s_delay_alu instid0(VALU_DEP_1) | instskip(NEXT) | instid1(VALU_DEP_1)
	v_mul_f32_e32 v84, v103, v3
	v_and_b32_e32 v3, 0x7f800000, v84
	s_delay_alu instid0(VALU_DEP_1) | instskip(SKIP_1) | instid1(SALU_CYCLE_1)
	v_cmp_ne_u32_e32 vcc_lo, 0x7f800000, v3
                                        ; implicit-def: $vgpr3
	s_and_saveexec_b32 s0, vcc_lo
	s_xor_b32 s0, exec_lo, s0
; %bb.3216:                             ;   in Loop: Header=BB442_1382 Depth=1
	v_bfe_u32 v3, v84, 16, 1
	s_delay_alu instid0(VALU_DEP_1)
	v_add3_u32 v3, v84, v3, 0x7fff
                                        ; implicit-def: $vgpr84
; %bb.3217:                             ;   in Loop: Header=BB442_1382 Depth=1
	s_and_not1_saveexec_b32 s0, s0
; %bb.3218:                             ;   in Loop: Header=BB442_1382 Depth=1
	v_and_b32_e32 v3, 0xffff, v84
	v_or_b32_e32 v85, 0x10000, v84
	s_delay_alu instid0(VALU_DEP_2) | instskip(NEXT) | instid1(VALU_DEP_2)
	v_cmp_eq_u32_e32 vcc_lo, 0, v3
	v_cndmask_b32_e32 v3, v85, v84, vcc_lo
; %bb.3219:                             ;   in Loop: Header=BB442_1382 Depth=1
	s_or_b32 exec_lo, exec_lo, s0
	v_lshlrev_b32_e32 v8, 16, v8
	s_delay_alu instid0(VALU_DEP_1) | instskip(NEXT) | instid1(VALU_DEP_1)
	v_mul_f32_e32 v84, v112, v8
	v_and_b32_e32 v8, 0x7f800000, v84
	s_delay_alu instid0(VALU_DEP_1) | instskip(SKIP_1) | instid1(SALU_CYCLE_1)
	v_cmp_ne_u32_e32 vcc_lo, 0x7f800000, v8
                                        ; implicit-def: $vgpr8
	s_and_saveexec_b32 s0, vcc_lo
	s_xor_b32 s0, exec_lo, s0
; %bb.3220:                             ;   in Loop: Header=BB442_1382 Depth=1
	v_bfe_u32 v8, v84, 16, 1
	s_delay_alu instid0(VALU_DEP_1)
	v_add3_u32 v8, v84, v8, 0x7fff
                                        ; implicit-def: $vgpr84
; %bb.3221:                             ;   in Loop: Header=BB442_1382 Depth=1
	s_and_not1_saveexec_b32 s0, s0
; %bb.3222:                             ;   in Loop: Header=BB442_1382 Depth=1
	v_and_b32_e32 v8, 0xffff, v84
	v_or_b32_e32 v85, 0x10000, v84
	s_delay_alu instid0(VALU_DEP_2) | instskip(NEXT) | instid1(VALU_DEP_2)
	v_cmp_eq_u32_e32 vcc_lo, 0, v8
	v_cndmask_b32_e32 v8, v85, v84, vcc_lo
; %bb.3223:                             ;   in Loop: Header=BB442_1382 Depth=1
	s_or_b32 exec_lo, exec_lo, s0
	v_lshlrev_b32_e32 v9, 16, v9
	s_delay_alu instid0(VALU_DEP_1) | instskip(NEXT) | instid1(VALU_DEP_1)
	v_mul_f32_e32 v84, v113, v9
	v_and_b32_e32 v9, 0x7f800000, v84
	s_delay_alu instid0(VALU_DEP_1) | instskip(SKIP_1) | instid1(SALU_CYCLE_1)
	v_cmp_ne_u32_e32 vcc_lo, 0x7f800000, v9
                                        ; implicit-def: $vgpr9
	s_and_saveexec_b32 s0, vcc_lo
	s_xor_b32 s0, exec_lo, s0
; %bb.3224:                             ;   in Loop: Header=BB442_1382 Depth=1
	v_bfe_u32 v9, v84, 16, 1
	s_delay_alu instid0(VALU_DEP_1)
	v_add3_u32 v9, v84, v9, 0x7fff
                                        ; implicit-def: $vgpr84
; %bb.3225:                             ;   in Loop: Header=BB442_1382 Depth=1
	s_and_not1_saveexec_b32 s0, s0
; %bb.3226:                             ;   in Loop: Header=BB442_1382 Depth=1
	v_and_b32_e32 v9, 0xffff, v84
	v_or_b32_e32 v85, 0x10000, v84
	s_delay_alu instid0(VALU_DEP_2) | instskip(NEXT) | instid1(VALU_DEP_2)
	v_cmp_eq_u32_e32 vcc_lo, 0, v9
	v_cndmask_b32_e32 v9, v85, v84, vcc_lo
; %bb.3227:                             ;   in Loop: Header=BB442_1382 Depth=1
	s_or_b32 exec_lo, exec_lo, s0
	v_lshlrev_b32_e32 v84, 16, v142
	s_delay_alu instid0(VALU_DEP_1) | instskip(NEXT) | instid1(VALU_DEP_1)
	v_mul_f32_e32 v85, v114, v84
	v_and_b32_e32 v84, 0x7f800000, v85
	s_delay_alu instid0(VALU_DEP_1) | instskip(SKIP_1) | instid1(SALU_CYCLE_1)
	v_cmp_ne_u32_e32 vcc_lo, 0x7f800000, v84
                                        ; implicit-def: $vgpr84
	s_and_saveexec_b32 s0, vcc_lo
	s_xor_b32 s0, exec_lo, s0
; %bb.3228:                             ;   in Loop: Header=BB442_1382 Depth=1
	v_bfe_u32 v84, v85, 16, 1
	s_delay_alu instid0(VALU_DEP_1)
	v_add3_u32 v84, v85, v84, 0x7fff
                                        ; implicit-def: $vgpr85
; %bb.3229:                             ;   in Loop: Header=BB442_1382 Depth=1
	s_and_not1_saveexec_b32 s0, s0
; %bb.3230:                             ;   in Loop: Header=BB442_1382 Depth=1
	v_and_b32_e32 v84, 0xffff, v85
	v_or_b32_e32 v86, 0x10000, v85
	s_delay_alu instid0(VALU_DEP_2) | instskip(NEXT) | instid1(VALU_DEP_2)
	v_cmp_eq_u32_e32 vcc_lo, 0, v84
	v_cndmask_b32_e32 v84, v86, v85, vcc_lo
; %bb.3231:                             ;   in Loop: Header=BB442_1382 Depth=1
	s_or_b32 exec_lo, exec_lo, s0
	v_lshlrev_b32_e32 v85, 16, v141
	s_delay_alu instid0(VALU_DEP_1) | instskip(NEXT) | instid1(VALU_DEP_1)
	v_mul_f32_e32 v86, v115, v85
	v_and_b32_e32 v85, 0x7f800000, v86
	s_delay_alu instid0(VALU_DEP_1) | instskip(SKIP_1) | instid1(SALU_CYCLE_1)
	v_cmp_ne_u32_e32 vcc_lo, 0x7f800000, v85
                                        ; implicit-def: $vgpr85
	s_and_saveexec_b32 s0, vcc_lo
	s_xor_b32 s0, exec_lo, s0
; %bb.3232:                             ;   in Loop: Header=BB442_1382 Depth=1
	v_bfe_u32 v85, v86, 16, 1
	s_delay_alu instid0(VALU_DEP_1)
	v_add3_u32 v85, v86, v85, 0x7fff
                                        ; implicit-def: $vgpr86
; %bb.3233:                             ;   in Loop: Header=BB442_1382 Depth=1
	s_and_not1_saveexec_b32 s0, s0
	s_cbranch_execz .LBB442_1380
; %bb.3234:                             ;   in Loop: Header=BB442_1382 Depth=1
	v_and_b32_e32 v85, 0xffff, v86
	v_or_b32_e32 v87, 0x10000, v86
	s_delay_alu instid0(VALU_DEP_2) | instskip(NEXT) | instid1(VALU_DEP_2)
	v_cmp_eq_u32_e32 vcc_lo, 0, v85
	v_cndmask_b32_e32 v85, v87, v86, vcc_lo
	s_branch .LBB442_1380
.LBB442_3235:
	s_or_b32 exec_lo, exec_lo, s10
.LBB442_3236:
	s_delay_alu instid0(SALU_CYCLE_1)
	s_or_b32 exec_lo, exec_lo, s7
	ds_bpermute_b32 v0, v20, v64
	ds_bpermute_b32 v1, v20, v65
	ds_bpermute_b32 v2, v20, v55
	ds_bpermute_b32 v4, v20, v53
	ds_bpermute_b32 v3, v20, v54
	ds_bpermute_b32 v5, v20, v36
	ds_bpermute_b32 v8, v20, v33
	ds_bpermute_b32 v10, v20, v31
	s_waitcnt lgkmcnt(0)
	s_waitcnt_vscnt null, 0x0
	s_barrier
	buffer_gl0_inv
	ds_bpermute_b32 v6, v20, v35
	ds_bpermute_b32 v7, v20, v34
	;; [unrolled: 1-line block ×6, first 2 shown]
	s_load_b32 s0, s[2:3], 0x0
	v_dual_add_f32 v0, v64, v0 :: v_dual_add_f32 v1, v65, v1
	v_add_f32_e32 v2, v55, v2
	v_dual_add_f32 v4, v53, v4 :: v_dual_add_f32 v3, v54, v3
	v_add_f32_e32 v5, v36, v5
	ds_bpermute_b32 v14, v19, v0
	ds_bpermute_b32 v15, v19, v1
	;; [unrolled: 1-line block ×3, first 2 shown]
	v_dual_add_f32 v18, v33, v8 :: v_dual_add_f32 v27, v31, v10
	ds_bpermute_b32 v8, v19, v4
	s_waitcnt lgkmcnt(0)
	v_dual_add_f32 v6, v35, v6 :: v_dual_add_f32 v7, v34, v7
	v_dual_add_f32 v26, v32, v9 :: v_dual_add_f32 v29, v29, v11
	v_dual_add_f32 v28, v28, v12 :: v_dual_add_f32 v25, v25, v13
	ds_bpermute_b32 v17, v19, v3
	ds_bpermute_b32 v20, v19, v5
	;; [unrolled: 1-line block ×8, first 2 shown]
	v_add_f32_e32 v0, v0, v14
	v_add_f32_e32 v14, v1, v15
	s_clause 0x1
	scratch_load_b32 v1, off, s32 offset:328
	scratch_load_b32 v15, off, s32 offset:604
	ds_bpermute_b32 v33, v19, v28
	ds_bpermute_b32 v19, v19, v25
	v_dual_add_f32 v13, v2, v16 :: v_dual_and_b32 v16, 0x3c3, v157
	s_waitcnt lgkmcnt(9)
	v_dual_add_f32 v11, v4, v8 :: v_dual_add_f32 v12, v3, v17
	s_waitcnt lgkmcnt(7)
	v_dual_add_f32 v10, v5, v20 :: v_dual_add_f32 v9, v6, v21
	;; [unrolled: 2-line block ×4, first 2 shown]
	s_waitcnt lgkmcnt(2)
	v_add_f32_e32 v4, v29, v32
	v_cmp_eq_u32_e32 vcc_lo, 64, v16
	s_waitcnt lgkmcnt(0)
	v_dual_add_f32 v3, v28, v33 :: v_dual_add_f32 v2, v25, v19
	s_waitcnt vmcnt(1)
	v_lshrrev_b32_e32 v1, 2, v1
	s_waitcnt vmcnt(0)
	v_mad_u32_u24 v15, 0x1c0, v15, s0
	s_delay_alu instid0(VALU_DEP_2)
	v_lshlrev_b32_e32 v16, 2, v1
	s_and_saveexec_b32 s0, vcc_lo
	s_cbranch_execz .LBB442_3238
; %bb.3237:
	s_delay_alu instid0(VALU_DEP_1)
	v_add3_u32 v17, v15, v16, 0xfffffc80
	ds_store_2addr_b32 v17, v0, v14 offset1:8
	ds_store_2addr_b32 v17, v13, v12 offset0:16 offset1:24
	ds_store_2addr_b32 v17, v11, v10 offset0:32 offset1:40
	;; [unrolled: 1-line block ×6, first 2 shown]
.LBB442_3238:
	s_or_b32 exec_lo, exec_lo, s0
	v_cmp_eq_u32_e32 vcc_lo, 0, v24
	v_cmp_gt_u32_e64 s0, 64, v157
	s_waitcnt lgkmcnt(0)
	s_barrier
	buffer_gl0_inv
	s_mov_b32 s2, exec_lo
	s_clause 0x1
	scratch_load_b32 v18, off, s32 offset:608
	scratch_load_b32 v19, off, s32 offset:612
	s_and_b32 s0, s2, s0
	s_delay_alu instid0(SALU_CYCLE_1)
	s_mov_b32 exec_lo, s0
	s_cbranch_execz .LBB442_3255
; %bb.3239:
	s_and_saveexec_b32 s0, vcc_lo
	s_cbranch_execnz .LBB442_3334
; %bb.3240:
	s_or_b32 exec_lo, exec_lo, s0
	s_and_saveexec_b32 s0, vcc_lo
	s_cbranch_execnz .LBB442_3335
.LBB442_3241:
	s_or_b32 exec_lo, exec_lo, s0
	s_and_saveexec_b32 s0, vcc_lo
	s_cbranch_execnz .LBB442_3336
.LBB442_3242:
	s_or_b32 exec_lo, exec_lo, s0
	s_and_saveexec_b32 s0, vcc_lo
	s_cbranch_execnz .LBB442_3337
.LBB442_3243:
	s_or_b32 exec_lo, exec_lo, s0
	s_and_saveexec_b32 s0, vcc_lo
	s_cbranch_execnz .LBB442_3338
.LBB442_3244:
	s_or_b32 exec_lo, exec_lo, s0
	s_and_saveexec_b32 s0, vcc_lo
	s_cbranch_execnz .LBB442_3339
.LBB442_3245:
	s_or_b32 exec_lo, exec_lo, s0
	s_and_saveexec_b32 s0, vcc_lo
	s_cbranch_execnz .LBB442_3340
.LBB442_3246:
	s_or_b32 exec_lo, exec_lo, s0
	s_and_saveexec_b32 s0, vcc_lo
	s_cbranch_execnz .LBB442_3341
.LBB442_3247:
	s_or_b32 exec_lo, exec_lo, s0
	s_and_saveexec_b32 s0, vcc_lo
	s_cbranch_execnz .LBB442_3342
.LBB442_3248:
	s_or_b32 exec_lo, exec_lo, s0
	s_and_saveexec_b32 s0, vcc_lo
	s_cbranch_execnz .LBB442_3343
.LBB442_3249:
	s_or_b32 exec_lo, exec_lo, s0
	s_and_saveexec_b32 s0, vcc_lo
	s_cbranch_execnz .LBB442_3344
.LBB442_3250:
	s_or_b32 exec_lo, exec_lo, s0
	s_and_saveexec_b32 s0, vcc_lo
	s_cbranch_execnz .LBB442_3345
.LBB442_3251:
	s_or_b32 exec_lo, exec_lo, s0
	s_and_saveexec_b32 s0, vcc_lo
	s_cbranch_execnz .LBB442_3346
.LBB442_3252:
	s_or_b32 exec_lo, exec_lo, s0
	s_and_saveexec_b32 s0, vcc_lo
	s_cbranch_execz .LBB442_3254
.LBB442_3253:
	v_lshl_add_u32 v17, v1, 2, v15
	ds_load_b32 v17, v17 offset:416
	s_waitcnt lgkmcnt(0)
	v_add_f32_e32 v2, v17, v2
.LBB442_3254:
	s_or_b32 exec_lo, exec_lo, s0
.LBB442_3255:
	s_delay_alu instid0(SALU_CYCLE_1)
	s_or_b32 exec_lo, exec_lo, s2
	v_and_b32_e32 v17, 0x3e3, v157
	s_mov_b32 s2, exec_lo
	s_waitcnt vmcnt(0)
	s_barrier
	buffer_gl0_inv
	v_cmpx_eq_u32_e32 32, v17
	s_cbranch_execz .LBB442_3257
; %bb.3256:
	v_add3_u32 v16, v15, v16, 0xfffffe40
	ds_store_2addr_b32 v16, v0, v14 offset1:8
	ds_store_2addr_b32 v16, v13, v12 offset0:16 offset1:24
	ds_store_2addr_b32 v16, v11, v10 offset0:32 offset1:40
	;; [unrolled: 1-line block ×6, first 2 shown]
.LBB442_3257:
	s_or_b32 exec_lo, exec_lo, s2
	v_cmp_gt_u32_e64 s0, 32, v157
	s_waitcnt lgkmcnt(0)
	s_barrier
	buffer_gl0_inv
	s_and_saveexec_b32 s2, s0
	s_cbranch_execz .LBB442_3274
; %bb.3258:
	v_lshl_add_u32 v1, v1, 2, v15
	s_and_saveexec_b32 s3, vcc_lo
	s_cbranch_execnz .LBB442_3347
; %bb.3259:
	s_or_b32 exec_lo, exec_lo, s3
	s_and_saveexec_b32 s3, vcc_lo
	s_cbranch_execnz .LBB442_3348
.LBB442_3260:
	s_or_b32 exec_lo, exec_lo, s3
	s_and_saveexec_b32 s3, vcc_lo
	s_cbranch_execnz .LBB442_3349
.LBB442_3261:
	s_or_b32 exec_lo, exec_lo, s3
	s_and_saveexec_b32 s3, vcc_lo
	s_cbranch_execnz .LBB442_3350
.LBB442_3262:
	s_or_b32 exec_lo, exec_lo, s3
	s_and_saveexec_b32 s3, vcc_lo
	s_cbranch_execnz .LBB442_3351
.LBB442_3263:
	s_or_b32 exec_lo, exec_lo, s3
	s_and_saveexec_b32 s3, vcc_lo
	s_cbranch_execnz .LBB442_3352
.LBB442_3264:
	s_or_b32 exec_lo, exec_lo, s3
	s_and_saveexec_b32 s3, vcc_lo
	s_cbranch_execnz .LBB442_3353
.LBB442_3265:
	s_or_b32 exec_lo, exec_lo, s3
	s_and_saveexec_b32 s3, vcc_lo
	s_cbranch_execnz .LBB442_3354
.LBB442_3266:
	s_or_b32 exec_lo, exec_lo, s3
	s_and_saveexec_b32 s3, vcc_lo
	s_cbranch_execnz .LBB442_3355
.LBB442_3267:
	s_or_b32 exec_lo, exec_lo, s3
	s_and_saveexec_b32 s3, vcc_lo
	s_cbranch_execnz .LBB442_3356
.LBB442_3268:
	s_or_b32 exec_lo, exec_lo, s3
	s_and_saveexec_b32 s3, vcc_lo
	s_cbranch_execnz .LBB442_3357
.LBB442_3269:
	s_or_b32 exec_lo, exec_lo, s3
	s_and_saveexec_b32 s3, vcc_lo
	s_cbranch_execnz .LBB442_3358
.LBB442_3270:
	s_or_b32 exec_lo, exec_lo, s3
	s_and_saveexec_b32 s3, vcc_lo
	s_cbranch_execnz .LBB442_3359
.LBB442_3271:
	s_or_b32 exec_lo, exec_lo, s3
	s_and_saveexec_b32 s3, vcc_lo
	s_cbranch_execz .LBB442_3273
.LBB442_3272:
	ds_load_b32 v1, v1 offset:416
	s_waitcnt lgkmcnt(0)
	v_add_f32_e32 v2, v1, v2
.LBB442_3273:
	s_or_b32 exec_lo, exec_lo, s3
.LBB442_3274:
	s_delay_alu instid0(SALU_CYCLE_1)
	s_or_b32 exec_lo, exec_lo, s2
	s_barrier
	buffer_gl0_inv
	s_and_b32 exec_lo, exec_lo, s0
	s_cbranch_execz .LBB442_3333
; %bb.3275:
	s_and_b32 exec_lo, exec_lo, vcc_lo
	s_cbranch_execz .LBB442_3333
; %bb.3276:
	v_and_b32_e32 v1, 0x7f800000, v0
	s_mov_b32 s0, exec_lo
                                        ; implicit-def: $vgpr15
	s_delay_alu instid0(VALU_DEP_1)
	v_cmpx_ne_u32_e32 0x7f800000, v1
	s_xor_b32 s0, exec_lo, s0
; %bb.3277:
	v_bfe_u32 v1, v0, 16, 1
	s_delay_alu instid0(VALU_DEP_1)
	v_add3_u32 v15, v0, v1, 0x7fff
                                        ; implicit-def: $vgpr0
; %bb.3278:
	s_and_not1_saveexec_b32 s0, s0
; %bb.3279:
	v_and_b32_e32 v1, 0xffff, v0
	v_or_b32_e32 v15, 0x10000, v0
	s_delay_alu instid0(VALU_DEP_2) | instskip(NEXT) | instid1(VALU_DEP_2)
	v_cmp_eq_u32_e32 vcc_lo, 0, v1
	v_cndmask_b32_e32 v15, v15, v0, vcc_lo
; %bb.3280:
	s_or_b32 exec_lo, exec_lo, s0
	s_mul_i32 s2, s1, s4
	s_mul_i32 s0, s6, s1
	s_mul_i32 s1, s2, s18
	s_mul_i32 s2, s14, 0x70
	s_mul_i32 s6, s1, 0x70
	s_ashr_i32 s1, s0, 31
	s_ashr_i32 s3, s2, 31
	;; [unrolled: 1-line block ×3, first 2 shown]
	s_lshl_b64 s[0:1], s[0:1], 1
	s_lshl_b64 s[2:3], s[2:3], 1
	;; [unrolled: 1-line block ×3, first 2 shown]
	v_lshrrev_b32_e32 v0, 1, v157
	s_add_u32 s0, s2, s0
	s_addc_u32 s1, s3, s1
	s_add_u32 s0, s0, s6
	s_addc_u32 s1, s1, s7
	v_and_b32_e32 v0, 0x1fe, v0
	v_add_co_u32 v1, vcc_lo, s0, v19
	v_add_co_ci_u32_e32 v16, vcc_lo, s1, v18, vcc_lo
	v_and_b32_e32 v17, 0x7f800000, v14
	s_delay_alu instid0(VALU_DEP_3) | instskip(NEXT) | instid1(VALU_DEP_3)
	v_add_co_u32 v0, vcc_lo, v1, v0
	v_add_co_ci_u32_e32 v1, vcc_lo, 0, v16, vcc_lo
	s_mov_b32 s0, exec_lo
	flat_store_d16_hi_b16 v[0:1], v15
                                        ; implicit-def: $vgpr15
	v_cmpx_ne_u32_e32 0x7f800000, v17
	s_xor_b32 s0, exec_lo, s0
; %bb.3281:
	v_bfe_u32 v15, v14, 16, 1
	s_delay_alu instid0(VALU_DEP_1)
	v_add3_u32 v15, v14, v15, 0x7fff
                                        ; implicit-def: $vgpr14
; %bb.3282:
	s_and_not1_saveexec_b32 s0, s0
; %bb.3283:
	v_and_b32_e32 v15, 0xffff, v14
	v_or_b32_e32 v16, 0x10000, v14
	s_delay_alu instid0(VALU_DEP_2) | instskip(NEXT) | instid1(VALU_DEP_2)
	v_cmp_eq_u32_e32 vcc_lo, 0, v15
	v_cndmask_b32_e32 v15, v16, v14, vcc_lo
; %bb.3284:
	s_or_b32 exec_lo, exec_lo, s0
	v_and_b32_e32 v14, 0x7f800000, v13
	flat_store_d16_hi_b16 v[0:1], v15 offset:16
	v_cmp_ne_u32_e32 vcc_lo, 0x7f800000, v14
                                        ; implicit-def: $vgpr14
	s_and_saveexec_b32 s0, vcc_lo
	s_delay_alu instid0(SALU_CYCLE_1)
	s_xor_b32 s0, exec_lo, s0
; %bb.3285:
	v_bfe_u32 v14, v13, 16, 1
	s_delay_alu instid0(VALU_DEP_1)
	v_add3_u32 v14, v13, v14, 0x7fff
                                        ; implicit-def: $vgpr13
; %bb.3286:
	s_and_not1_saveexec_b32 s0, s0
; %bb.3287:
	v_and_b32_e32 v14, 0xffff, v13
	v_or_b32_e32 v15, 0x10000, v13
	s_delay_alu instid0(VALU_DEP_2) | instskip(NEXT) | instid1(VALU_DEP_2)
	v_cmp_eq_u32_e32 vcc_lo, 0, v14
	v_cndmask_b32_e32 v14, v15, v13, vcc_lo
; %bb.3288:
	s_or_b32 exec_lo, exec_lo, s0
	v_and_b32_e32 v13, 0x7f800000, v12
	flat_store_d16_hi_b16 v[0:1], v14 offset:32
	v_cmp_ne_u32_e32 vcc_lo, 0x7f800000, v13
                                        ; implicit-def: $vgpr13
	s_and_saveexec_b32 s0, vcc_lo
	s_delay_alu instid0(SALU_CYCLE_1)
	s_xor_b32 s0, exec_lo, s0
; %bb.3289:
	v_bfe_u32 v13, v12, 16, 1
	s_delay_alu instid0(VALU_DEP_1)
	v_add3_u32 v13, v12, v13, 0x7fff
                                        ; implicit-def: $vgpr12
; %bb.3290:
	s_and_not1_saveexec_b32 s0, s0
; %bb.3291:
	v_and_b32_e32 v13, 0xffff, v12
	v_or_b32_e32 v14, 0x10000, v12
	s_delay_alu instid0(VALU_DEP_2) | instskip(NEXT) | instid1(VALU_DEP_2)
	v_cmp_eq_u32_e32 vcc_lo, 0, v13
	v_cndmask_b32_e32 v13, v14, v12, vcc_lo
; %bb.3292:
	s_or_b32 exec_lo, exec_lo, s0
	v_and_b32_e32 v12, 0x7f800000, v11
	flat_store_d16_hi_b16 v[0:1], v13 offset:48
	v_cmp_ne_u32_e32 vcc_lo, 0x7f800000, v12
                                        ; implicit-def: $vgpr12
	s_and_saveexec_b32 s0, vcc_lo
	s_delay_alu instid0(SALU_CYCLE_1)
	s_xor_b32 s0, exec_lo, s0
; %bb.3293:
	v_bfe_u32 v12, v11, 16, 1
	s_delay_alu instid0(VALU_DEP_1)
	v_add3_u32 v12, v11, v12, 0x7fff
                                        ; implicit-def: $vgpr11
; %bb.3294:
	s_and_not1_saveexec_b32 s0, s0
; %bb.3295:
	v_and_b32_e32 v12, 0xffff, v11
	v_or_b32_e32 v13, 0x10000, v11
	s_delay_alu instid0(VALU_DEP_2) | instskip(NEXT) | instid1(VALU_DEP_2)
	v_cmp_eq_u32_e32 vcc_lo, 0, v12
	v_cndmask_b32_e32 v12, v13, v11, vcc_lo
; %bb.3296:
	s_or_b32 exec_lo, exec_lo, s0
	v_and_b32_e32 v11, 0x7f800000, v10
	flat_store_d16_hi_b16 v[0:1], v12 offset:64
	v_cmp_ne_u32_e32 vcc_lo, 0x7f800000, v11
                                        ; implicit-def: $vgpr11
	s_and_saveexec_b32 s0, vcc_lo
	s_delay_alu instid0(SALU_CYCLE_1)
	s_xor_b32 s0, exec_lo, s0
; %bb.3297:
	v_bfe_u32 v11, v10, 16, 1
	s_delay_alu instid0(VALU_DEP_1)
	v_add3_u32 v11, v10, v11, 0x7fff
                                        ; implicit-def: $vgpr10
; %bb.3298:
	s_and_not1_saveexec_b32 s0, s0
; %bb.3299:
	v_and_b32_e32 v11, 0xffff, v10
	v_or_b32_e32 v12, 0x10000, v10
	s_delay_alu instid0(VALU_DEP_2) | instskip(NEXT) | instid1(VALU_DEP_2)
	v_cmp_eq_u32_e32 vcc_lo, 0, v11
	v_cndmask_b32_e32 v11, v12, v10, vcc_lo
; %bb.3300:
	s_or_b32 exec_lo, exec_lo, s0
	v_and_b32_e32 v10, 0x7f800000, v9
	flat_store_d16_hi_b16 v[0:1], v11 offset:80
	v_cmp_ne_u32_e32 vcc_lo, 0x7f800000, v10
                                        ; implicit-def: $vgpr10
	s_and_saveexec_b32 s0, vcc_lo
	s_delay_alu instid0(SALU_CYCLE_1)
	s_xor_b32 s0, exec_lo, s0
; %bb.3301:
	v_bfe_u32 v10, v9, 16, 1
	s_delay_alu instid0(VALU_DEP_1)
	v_add3_u32 v10, v9, v10, 0x7fff
                                        ; implicit-def: $vgpr9
; %bb.3302:
	s_and_not1_saveexec_b32 s0, s0
; %bb.3303:
	v_and_b32_e32 v10, 0xffff, v9
	v_or_b32_e32 v11, 0x10000, v9
	s_delay_alu instid0(VALU_DEP_2) | instskip(NEXT) | instid1(VALU_DEP_2)
	v_cmp_eq_u32_e32 vcc_lo, 0, v10
	v_cndmask_b32_e32 v10, v11, v9, vcc_lo
; %bb.3304:
	s_or_b32 exec_lo, exec_lo, s0
	v_and_b32_e32 v9, 0x7f800000, v8
	flat_store_d16_hi_b16 v[0:1], v10 offset:96
	v_cmp_ne_u32_e32 vcc_lo, 0x7f800000, v9
                                        ; implicit-def: $vgpr9
	s_and_saveexec_b32 s0, vcc_lo
	s_delay_alu instid0(SALU_CYCLE_1)
	s_xor_b32 s0, exec_lo, s0
; %bb.3305:
	v_bfe_u32 v9, v8, 16, 1
	s_delay_alu instid0(VALU_DEP_1)
	v_add3_u32 v9, v8, v9, 0x7fff
                                        ; implicit-def: $vgpr8
; %bb.3306:
	s_and_not1_saveexec_b32 s0, s0
; %bb.3307:
	v_and_b32_e32 v9, 0xffff, v8
	v_or_b32_e32 v10, 0x10000, v8
	s_delay_alu instid0(VALU_DEP_2) | instskip(NEXT) | instid1(VALU_DEP_2)
	v_cmp_eq_u32_e32 vcc_lo, 0, v9
	v_cndmask_b32_e32 v9, v10, v8, vcc_lo
; %bb.3308:
	s_or_b32 exec_lo, exec_lo, s0
	v_and_b32_e32 v8, 0x7f800000, v7
	flat_store_d16_hi_b16 v[0:1], v9 offset:112
	v_cmp_ne_u32_e32 vcc_lo, 0x7f800000, v8
                                        ; implicit-def: $vgpr8
	s_and_saveexec_b32 s0, vcc_lo
	s_delay_alu instid0(SALU_CYCLE_1)
	s_xor_b32 s0, exec_lo, s0
; %bb.3309:
	v_bfe_u32 v8, v7, 16, 1
	s_delay_alu instid0(VALU_DEP_1)
	v_add3_u32 v8, v7, v8, 0x7fff
                                        ; implicit-def: $vgpr7
; %bb.3310:
	s_and_not1_saveexec_b32 s0, s0
; %bb.3311:
	v_and_b32_e32 v8, 0xffff, v7
	v_or_b32_e32 v9, 0x10000, v7
	s_delay_alu instid0(VALU_DEP_2) | instskip(NEXT) | instid1(VALU_DEP_2)
	v_cmp_eq_u32_e32 vcc_lo, 0, v8
	v_cndmask_b32_e32 v8, v9, v7, vcc_lo
; %bb.3312:
	s_or_b32 exec_lo, exec_lo, s0
	v_and_b32_e32 v7, 0x7f800000, v6
	flat_store_d16_hi_b16 v[0:1], v8 offset:128
	v_cmp_ne_u32_e32 vcc_lo, 0x7f800000, v7
                                        ; implicit-def: $vgpr7
	s_and_saveexec_b32 s0, vcc_lo
	s_delay_alu instid0(SALU_CYCLE_1)
	s_xor_b32 s0, exec_lo, s0
; %bb.3313:
	v_bfe_u32 v7, v6, 16, 1
	s_delay_alu instid0(VALU_DEP_1)
	v_add3_u32 v7, v6, v7, 0x7fff
                                        ; implicit-def: $vgpr6
; %bb.3314:
	s_and_not1_saveexec_b32 s0, s0
; %bb.3315:
	v_and_b32_e32 v7, 0xffff, v6
	v_or_b32_e32 v8, 0x10000, v6
	s_delay_alu instid0(VALU_DEP_2) | instskip(NEXT) | instid1(VALU_DEP_2)
	v_cmp_eq_u32_e32 vcc_lo, 0, v7
	v_cndmask_b32_e32 v7, v8, v6, vcc_lo
; %bb.3316:
	s_or_b32 exec_lo, exec_lo, s0
	v_and_b32_e32 v6, 0x7f800000, v5
	flat_store_d16_hi_b16 v[0:1], v7 offset:144
	v_cmp_ne_u32_e32 vcc_lo, 0x7f800000, v6
                                        ; implicit-def: $vgpr6
	s_and_saveexec_b32 s0, vcc_lo
	s_delay_alu instid0(SALU_CYCLE_1)
	s_xor_b32 s0, exec_lo, s0
; %bb.3317:
	v_bfe_u32 v6, v5, 16, 1
	s_delay_alu instid0(VALU_DEP_1)
	v_add3_u32 v6, v5, v6, 0x7fff
                                        ; implicit-def: $vgpr5
; %bb.3318:
	s_and_not1_saveexec_b32 s0, s0
; %bb.3319:
	v_and_b32_e32 v6, 0xffff, v5
	v_or_b32_e32 v7, 0x10000, v5
	s_delay_alu instid0(VALU_DEP_2) | instskip(NEXT) | instid1(VALU_DEP_2)
	v_cmp_eq_u32_e32 vcc_lo, 0, v6
	v_cndmask_b32_e32 v6, v7, v5, vcc_lo
; %bb.3320:
	s_or_b32 exec_lo, exec_lo, s0
	v_and_b32_e32 v5, 0x7f800000, v4
	flat_store_d16_hi_b16 v[0:1], v6 offset:160
	v_cmp_ne_u32_e32 vcc_lo, 0x7f800000, v5
                                        ; implicit-def: $vgpr5
	s_and_saveexec_b32 s0, vcc_lo
	s_delay_alu instid0(SALU_CYCLE_1)
	s_xor_b32 s0, exec_lo, s0
; %bb.3321:
	v_bfe_u32 v5, v4, 16, 1
	s_delay_alu instid0(VALU_DEP_1)
	v_add3_u32 v5, v4, v5, 0x7fff
                                        ; implicit-def: $vgpr4
; %bb.3322:
	s_and_not1_saveexec_b32 s0, s0
; %bb.3323:
	v_and_b32_e32 v5, 0xffff, v4
	v_or_b32_e32 v6, 0x10000, v4
	s_delay_alu instid0(VALU_DEP_2) | instskip(NEXT) | instid1(VALU_DEP_2)
	v_cmp_eq_u32_e32 vcc_lo, 0, v5
	v_cndmask_b32_e32 v5, v6, v4, vcc_lo
; %bb.3324:
	s_or_b32 exec_lo, exec_lo, s0
	v_and_b32_e32 v4, 0x7f800000, v3
	flat_store_d16_hi_b16 v[0:1], v5 offset:176
	v_cmp_ne_u32_e32 vcc_lo, 0x7f800000, v4
                                        ; implicit-def: $vgpr4
	s_and_saveexec_b32 s0, vcc_lo
	s_delay_alu instid0(SALU_CYCLE_1)
	s_xor_b32 s0, exec_lo, s0
; %bb.3325:
	v_bfe_u32 v4, v3, 16, 1
	s_delay_alu instid0(VALU_DEP_1)
	v_add3_u32 v4, v3, v4, 0x7fff
                                        ; implicit-def: $vgpr3
; %bb.3326:
	s_and_not1_saveexec_b32 s0, s0
; %bb.3327:
	v_and_b32_e32 v4, 0xffff, v3
	v_or_b32_e32 v5, 0x10000, v3
	s_delay_alu instid0(VALU_DEP_2) | instskip(NEXT) | instid1(VALU_DEP_2)
	v_cmp_eq_u32_e32 vcc_lo, 0, v4
	v_cndmask_b32_e32 v4, v5, v3, vcc_lo
; %bb.3328:
	s_or_b32 exec_lo, exec_lo, s0
	v_and_b32_e32 v3, 0x7f800000, v2
	flat_store_d16_hi_b16 v[0:1], v4 offset:192
	v_cmp_ne_u32_e32 vcc_lo, 0x7f800000, v3
                                        ; implicit-def: $vgpr3
	s_and_saveexec_b32 s0, vcc_lo
	s_delay_alu instid0(SALU_CYCLE_1)
	s_xor_b32 s0, exec_lo, s0
; %bb.3329:
	v_bfe_u32 v3, v2, 16, 1
	s_delay_alu instid0(VALU_DEP_1)
	v_add3_u32 v3, v2, v3, 0x7fff
                                        ; implicit-def: $vgpr2
; %bb.3330:
	s_and_not1_saveexec_b32 s0, s0
; %bb.3331:
	v_and_b32_e32 v3, 0xffff, v2
	v_or_b32_e32 v4, 0x10000, v2
	s_delay_alu instid0(VALU_DEP_2) | instskip(NEXT) | instid1(VALU_DEP_2)
	v_cmp_eq_u32_e32 vcc_lo, 0, v3
	v_cndmask_b32_e32 v3, v4, v2, vcc_lo
; %bb.3332:
	s_or_b32 exec_lo, exec_lo, s0
	flat_store_d16_hi_b16 v[0:1], v3 offset:208
.LBB442_3333:
	s_or_b32 exec_lo, exec_lo, s5
	s_clause 0x1f
	scratch_load_b32 v191, off, s32 offset:8
	scratch_load_b32 v190, off, s32 offset:12
	;; [unrolled: 1-line block ×32, first 2 shown]
	s_clause 0x1f
	scratch_load_b32 v127, off, s32 offset:136
	scratch_load_b32 v126, off, s32 offset:140
	;; [unrolled: 1-line block ×32, first 2 shown]
	s_clause 0xf
	scratch_load_b32 v63, off, s32 offset:264
	scratch_load_b32 v62, off, s32 offset:268
	scratch_load_b32 v61, off, s32 offset:272
	scratch_load_b32 v60, off, s32 offset:276
	scratch_load_b32 v59, off, s32 offset:280
	scratch_load_b32 v58, off, s32 offset:284
	scratch_load_b32 v57, off, s32 offset:288
	scratch_load_b32 v56, off, s32 offset:292
	scratch_load_b32 v47, off, s32 offset:296
	scratch_load_b32 v46, off, s32 offset:300
	scratch_load_b32 v45, off, s32 offset:304
	scratch_load_b32 v44, off, s32 offset:308
	scratch_load_b32 v43, off, s32 offset:312
	scratch_load_b32 v42, off, s32 offset:316
	scratch_load_b32 v41, off, s32 offset:320
	scratch_load_b32 v40, off, s32 offset:324
	s_waitcnt vmcnt(0) lgkmcnt(0)
	s_setpc_b64 s[30:31]
.LBB442_3334:
	v_lshl_add_u32 v17, v1, 2, v15
	ds_load_b32 v17, v17
	s_waitcnt lgkmcnt(0)
	v_add_f32_e32 v0, v17, v0
	s_or_b32 exec_lo, exec_lo, s0
	s_and_saveexec_b32 s0, vcc_lo
	s_cbranch_execz .LBB442_3241
.LBB442_3335:
	v_lshl_add_u32 v17, v1, 2, v15
	ds_load_b32 v17, v17 offset:32
	s_waitcnt lgkmcnt(0)
	v_add_f32_e32 v14, v17, v14
	s_or_b32 exec_lo, exec_lo, s0
	s_and_saveexec_b32 s0, vcc_lo
	s_cbranch_execz .LBB442_3242
.LBB442_3336:
	v_lshl_add_u32 v17, v1, 2, v15
	ds_load_b32 v17, v17 offset:64
	s_waitcnt lgkmcnt(0)
	v_add_f32_e32 v13, v17, v13
	s_or_b32 exec_lo, exec_lo, s0
	s_and_saveexec_b32 s0, vcc_lo
	s_cbranch_execz .LBB442_3243
.LBB442_3337:
	v_lshl_add_u32 v17, v1, 2, v15
	ds_load_b32 v17, v17 offset:96
	s_waitcnt lgkmcnt(0)
	v_add_f32_e32 v12, v17, v12
	s_or_b32 exec_lo, exec_lo, s0
	s_and_saveexec_b32 s0, vcc_lo
	s_cbranch_execz .LBB442_3244
.LBB442_3338:
	v_lshl_add_u32 v17, v1, 2, v15
	ds_load_b32 v17, v17 offset:128
	s_waitcnt lgkmcnt(0)
	v_add_f32_e32 v11, v17, v11
	s_or_b32 exec_lo, exec_lo, s0
	s_and_saveexec_b32 s0, vcc_lo
	s_cbranch_execz .LBB442_3245
.LBB442_3339:
	v_lshl_add_u32 v17, v1, 2, v15
	ds_load_b32 v17, v17 offset:160
	s_waitcnt lgkmcnt(0)
	v_add_f32_e32 v10, v17, v10
	s_or_b32 exec_lo, exec_lo, s0
	s_and_saveexec_b32 s0, vcc_lo
	s_cbranch_execz .LBB442_3246
.LBB442_3340:
	v_lshl_add_u32 v17, v1, 2, v15
	ds_load_b32 v17, v17 offset:192
	s_waitcnt lgkmcnt(0)
	v_add_f32_e32 v9, v17, v9
	s_or_b32 exec_lo, exec_lo, s0
	s_and_saveexec_b32 s0, vcc_lo
	s_cbranch_execz .LBB442_3247
.LBB442_3341:
	v_lshl_add_u32 v17, v1, 2, v15
	ds_load_b32 v17, v17 offset:224
	s_waitcnt lgkmcnt(0)
	v_add_f32_e32 v8, v17, v8
	s_or_b32 exec_lo, exec_lo, s0
	s_and_saveexec_b32 s0, vcc_lo
	s_cbranch_execz .LBB442_3248
.LBB442_3342:
	v_lshl_add_u32 v17, v1, 2, v15
	ds_load_b32 v17, v17 offset:256
	s_waitcnt lgkmcnt(0)
	v_add_f32_e32 v7, v17, v7
	s_or_b32 exec_lo, exec_lo, s0
	s_and_saveexec_b32 s0, vcc_lo
	s_cbranch_execz .LBB442_3249
.LBB442_3343:
	v_lshl_add_u32 v17, v1, 2, v15
	ds_load_b32 v17, v17 offset:288
	s_waitcnt lgkmcnt(0)
	v_add_f32_e32 v6, v17, v6
	s_or_b32 exec_lo, exec_lo, s0
	s_and_saveexec_b32 s0, vcc_lo
	s_cbranch_execz .LBB442_3250
.LBB442_3344:
	v_lshl_add_u32 v17, v1, 2, v15
	ds_load_b32 v17, v17 offset:320
	s_waitcnt lgkmcnt(0)
	v_add_f32_e32 v5, v17, v5
	s_or_b32 exec_lo, exec_lo, s0
	s_and_saveexec_b32 s0, vcc_lo
	s_cbranch_execz .LBB442_3251
.LBB442_3345:
	v_lshl_add_u32 v17, v1, 2, v15
	ds_load_b32 v17, v17 offset:352
	s_waitcnt lgkmcnt(0)
	v_add_f32_e32 v4, v17, v4
	s_or_b32 exec_lo, exec_lo, s0
	s_and_saveexec_b32 s0, vcc_lo
	s_cbranch_execz .LBB442_3252
.LBB442_3346:
	v_lshl_add_u32 v17, v1, 2, v15
	ds_load_b32 v17, v17 offset:384
	s_waitcnt lgkmcnt(0)
	v_add_f32_e32 v3, v17, v3
	s_or_b32 exec_lo, exec_lo, s0
	s_and_saveexec_b32 s0, vcc_lo
	s_cbranch_execnz .LBB442_3253
	s_branch .LBB442_3254
.LBB442_3347:
	ds_load_b32 v15, v1
	s_waitcnt lgkmcnt(0)
	v_add_f32_e32 v0, v15, v0
	s_or_b32 exec_lo, exec_lo, s3
	s_and_saveexec_b32 s3, vcc_lo
	s_cbranch_execz .LBB442_3260
.LBB442_3348:
	ds_load_b32 v15, v1 offset:32
	s_waitcnt lgkmcnt(0)
	v_add_f32_e32 v14, v15, v14
	s_or_b32 exec_lo, exec_lo, s3
	s_and_saveexec_b32 s3, vcc_lo
	s_cbranch_execz .LBB442_3261
.LBB442_3349:
	ds_load_b32 v15, v1 offset:64
	s_waitcnt lgkmcnt(0)
	v_add_f32_e32 v13, v15, v13
	s_or_b32 exec_lo, exec_lo, s3
	s_and_saveexec_b32 s3, vcc_lo
	s_cbranch_execz .LBB442_3262
.LBB442_3350:
	ds_load_b32 v15, v1 offset:96
	s_waitcnt lgkmcnt(0)
	v_add_f32_e32 v12, v15, v12
	s_or_b32 exec_lo, exec_lo, s3
	s_and_saveexec_b32 s3, vcc_lo
	s_cbranch_execz .LBB442_3263
.LBB442_3351:
	ds_load_b32 v15, v1 offset:128
	s_waitcnt lgkmcnt(0)
	v_add_f32_e32 v11, v15, v11
	s_or_b32 exec_lo, exec_lo, s3
	s_and_saveexec_b32 s3, vcc_lo
	s_cbranch_execz .LBB442_3264
.LBB442_3352:
	ds_load_b32 v15, v1 offset:160
	s_waitcnt lgkmcnt(0)
	v_add_f32_e32 v10, v15, v10
	s_or_b32 exec_lo, exec_lo, s3
	s_and_saveexec_b32 s3, vcc_lo
	s_cbranch_execz .LBB442_3265
.LBB442_3353:
	ds_load_b32 v15, v1 offset:192
	s_waitcnt lgkmcnt(0)
	v_add_f32_e32 v9, v15, v9
	s_or_b32 exec_lo, exec_lo, s3
	s_and_saveexec_b32 s3, vcc_lo
	s_cbranch_execz .LBB442_3266
.LBB442_3354:
	ds_load_b32 v15, v1 offset:224
	s_waitcnt lgkmcnt(0)
	v_add_f32_e32 v8, v15, v8
	s_or_b32 exec_lo, exec_lo, s3
	s_and_saveexec_b32 s3, vcc_lo
	s_cbranch_execz .LBB442_3267
.LBB442_3355:
	ds_load_b32 v15, v1 offset:256
	s_waitcnt lgkmcnt(0)
	v_add_f32_e32 v7, v15, v7
	s_or_b32 exec_lo, exec_lo, s3
	s_and_saveexec_b32 s3, vcc_lo
	s_cbranch_execz .LBB442_3268
.LBB442_3356:
	ds_load_b32 v15, v1 offset:288
	s_waitcnt lgkmcnt(0)
	v_add_f32_e32 v6, v15, v6
	s_or_b32 exec_lo, exec_lo, s3
	s_and_saveexec_b32 s3, vcc_lo
	s_cbranch_execz .LBB442_3269
.LBB442_3357:
	ds_load_b32 v15, v1 offset:320
	s_waitcnt lgkmcnt(0)
	v_add_f32_e32 v5, v15, v5
	s_or_b32 exec_lo, exec_lo, s3
	s_and_saveexec_b32 s3, vcc_lo
	s_cbranch_execz .LBB442_3270
.LBB442_3358:
	ds_load_b32 v15, v1 offset:352
	s_waitcnt lgkmcnt(0)
	v_add_f32_e32 v4, v15, v4
	s_or_b32 exec_lo, exec_lo, s3
	s_and_saveexec_b32 s3, vcc_lo
	s_cbranch_execz .LBB442_3271
.LBB442_3359:
	ds_load_b32 v15, v1 offset:384
	s_waitcnt lgkmcnt(0)
	v_add_f32_e32 v3, v15, v3
	s_or_b32 exec_lo, exec_lo, s3
	s_and_saveexec_b32 s3, vcc_lo
	s_cbranch_execnz .LBB442_3272
	s_branch .LBB442_3273
.Lfunc_end442:
	.size	_ZN4vllm22paged_attention_kernelI14__hip_bfloat16hLi112ELi32ELi128ELNS_18Fp8KVCacheDataTypeE1ELb1ELi512EEEvPfS3_PT_PKS4_PKT0_SA_ifPKiSC_iPKfiiiSE_SE_iiiii, .Lfunc_end442-_ZN4vllm22paged_attention_kernelI14__hip_bfloat16hLi112ELi32ELi128ELNS_18Fp8KVCacheDataTypeE1ELb1ELi512EEEvPfS3_PT_PKS4_PKT0_SA_ifPKiSC_iPKfiiiSE_SE_iiiii
                                        ; -- End function
	.section	.AMDGPU.csdata,"",@progbits
; Function info:
; codeLenInByte = 104640
; NumSgprs: 35
; NumVgprs: 192
; ScratchSize: 688
; MemoryBound: 0
	.section	.text._ZN4vllm25paged_attention_v2_kernelI14__hip_bfloat16hLi112ELi32ELi128ELNS_18Fp8KVCacheDataTypeE1ELb1ELi512EEEvPfS3_PT_PKS4_PKT0_SA_ifPKiSC_iPKfiiiSE_SE_iiiii,"axG",@progbits,_ZN4vllm25paged_attention_v2_kernelI14__hip_bfloat16hLi112ELi32ELi128ELNS_18Fp8KVCacheDataTypeE1ELb1ELi512EEEvPfS3_PT_PKS4_PKT0_SA_ifPKiSC_iPKfiiiSE_SE_iiiii,comdat
	.protected	_ZN4vllm25paged_attention_v2_kernelI14__hip_bfloat16hLi112ELi32ELi128ELNS_18Fp8KVCacheDataTypeE1ELb1ELi512EEEvPfS3_PT_PKS4_PKT0_SA_ifPKiSC_iPKfiiiSE_SE_iiiii ; -- Begin function _ZN4vllm25paged_attention_v2_kernelI14__hip_bfloat16hLi112ELi32ELi128ELNS_18Fp8KVCacheDataTypeE1ELb1ELi512EEEvPfS3_PT_PKS4_PKT0_SA_ifPKiSC_iPKfiiiSE_SE_iiiii
	.globl	_ZN4vllm25paged_attention_v2_kernelI14__hip_bfloat16hLi112ELi32ELi128ELNS_18Fp8KVCacheDataTypeE1ELb1ELi512EEEvPfS3_PT_PKS4_PKT0_SA_ifPKiSC_iPKfiiiSE_SE_iiiii
	.p2align	8
	.type	_ZN4vllm25paged_attention_v2_kernelI14__hip_bfloat16hLi112ELi32ELi128ELNS_18Fp8KVCacheDataTypeE1ELb1ELi512EEEvPfS3_PT_PKS4_PKT0_SA_ifPKiSC_iPKfiiiSE_SE_iiiii,@function
_ZN4vllm25paged_attention_v2_kernelI14__hip_bfloat16hLi112ELi32ELi128ELNS_18Fp8KVCacheDataTypeE1ELb1ELi512EEEvPfS3_PT_PKS4_PKT0_SA_ifPKiSC_iPKfiiiSE_SE_iiiii: ; @_ZN4vllm25paged_attention_v2_kernelI14__hip_bfloat16hLi112ELi32ELi128ELNS_18Fp8KVCacheDataTypeE1ELb1ELi512EEEvPfS3_PT_PKS4_PKT0_SA_ifPKiSC_iPKfiiiSE_SE_iiiii
; %bb.0:
	s_mov_b32 s12, s13
	s_clause 0x7
	s_load_b128 s[4:7], s[0:1], 0x78
	s_load_b32 s8, s[0:1], 0x88
	s_load_b256 s[24:31], s[0:1], 0x0
	s_load_b256 s[36:43], s[0:1], 0x20
	s_load_b64 s[2:3], s[0:1], 0x40
	s_load_b64 s[10:11], s[0:1], 0x50
	s_load_b32 s13, s[0:1], 0x48
	s_load_b256 s[16:23], s[0:1], 0x58
	s_mov_b32 s32, 0
	v_mov_b32_e32 v31, v0
	s_waitcnt lgkmcnt(0)
	v_dual_mov_b32 v1, s7 :: v_dual_mov_b32 v2, s8
	v_dual_mov_b32 v0, s24 :: v_dual_mov_b32 v3, s27
	;; [unrolled: 1-line block ×3, first 2 shown]
	v_mov_b32_e32 v6, s30
	scratch_store_b64 off, v[1:2], s32
	v_dual_mov_b32 v1, s25 :: v_dual_mov_b32 v2, s26
	v_dual_mov_b32 v7, s31 :: v_dual_mov_b32 v8, s36
	;; [unrolled: 1-line block ×13, first 2 shown]
	s_add_u32 s8, s0, 0x90
	s_addc_u32 s9, s1, 0
	s_mov_b32 s13, s14
	s_mov_b32 s14, s15
	;; [unrolled: 1-line block ×3, first 2 shown]
	s_getpc_b64 s[0:1]
	s_add_u32 s0, s0, _ZN4vllm22paged_attention_kernelI14__hip_bfloat16hLi112ELi32ELi128ELNS_18Fp8KVCacheDataTypeE1ELb1ELi512EEEvPfS3_PT_PKS4_PKT0_SA_ifPKiSC_iPKfiiiSE_SE_iiiii@rel32@lo+4
	s_addc_u32 s1, s1, _ZN4vllm22paged_attention_kernelI14__hip_bfloat16hLi112ELi32ELi128ELNS_18Fp8KVCacheDataTypeE1ELb1ELi512EEEvPfS3_PT_PKS4_PKT0_SA_ifPKiSC_iPKfiiiSE_SE_iiiii@rel32@hi+12
	s_delay_alu instid0(SALU_CYCLE_1)
	s_swappc_b64 s[30:31], s[0:1]
	s_endpgm
	.section	.rodata,"a",@progbits
	.p2align	6, 0x0
	.amdhsa_kernel _ZN4vllm25paged_attention_v2_kernelI14__hip_bfloat16hLi112ELi32ELi128ELNS_18Fp8KVCacheDataTypeE1ELb1ELi512EEEvPfS3_PT_PKS4_PKT0_SA_ifPKiSC_iPKfiiiSE_SE_iiiii
		.amdhsa_group_segment_fixed_size 256
		.amdhsa_private_segment_fixed_size 688
		.amdhsa_kernarg_size 400
		.amdhsa_user_sgpr_count 13
		.amdhsa_user_sgpr_dispatch_ptr 0
		.amdhsa_user_sgpr_queue_ptr 0
		.amdhsa_user_sgpr_kernarg_segment_ptr 1
		.amdhsa_user_sgpr_dispatch_id 0
		.amdhsa_user_sgpr_private_segment_size 0
		.amdhsa_wavefront_size32 1
		.amdhsa_uses_dynamic_stack 0
		.amdhsa_enable_private_segment 1
		.amdhsa_system_sgpr_workgroup_id_x 1
		.amdhsa_system_sgpr_workgroup_id_y 1
		.amdhsa_system_sgpr_workgroup_id_z 1
		.amdhsa_system_sgpr_workgroup_info 0
		.amdhsa_system_vgpr_workitem_id 0
		.amdhsa_next_free_vgpr 192
		.amdhsa_next_free_sgpr 44
		.amdhsa_reserve_vcc 1
		.amdhsa_float_round_mode_32 0
		.amdhsa_float_round_mode_16_64 0
		.amdhsa_float_denorm_mode_32 3
		.amdhsa_float_denorm_mode_16_64 3
		.amdhsa_dx10_clamp 1
		.amdhsa_ieee_mode 1
		.amdhsa_fp16_overflow 0
		.amdhsa_workgroup_processor_mode 1
		.amdhsa_memory_ordered 1
		.amdhsa_forward_progress 0
		.amdhsa_shared_vgpr_count 0
		.amdhsa_exception_fp_ieee_invalid_op 0
		.amdhsa_exception_fp_denorm_src 0
		.amdhsa_exception_fp_ieee_div_zero 0
		.amdhsa_exception_fp_ieee_overflow 0
		.amdhsa_exception_fp_ieee_underflow 0
		.amdhsa_exception_fp_ieee_inexact 0
		.amdhsa_exception_int_div_zero 0
	.end_amdhsa_kernel
	.section	.text._ZN4vllm25paged_attention_v2_kernelI14__hip_bfloat16hLi112ELi32ELi128ELNS_18Fp8KVCacheDataTypeE1ELb1ELi512EEEvPfS3_PT_PKS4_PKT0_SA_ifPKiSC_iPKfiiiSE_SE_iiiii,"axG",@progbits,_ZN4vllm25paged_attention_v2_kernelI14__hip_bfloat16hLi112ELi32ELi128ELNS_18Fp8KVCacheDataTypeE1ELb1ELi512EEEvPfS3_PT_PKS4_PKT0_SA_ifPKiSC_iPKfiiiSE_SE_iiiii,comdat
.Lfunc_end443:
	.size	_ZN4vllm25paged_attention_v2_kernelI14__hip_bfloat16hLi112ELi32ELi128ELNS_18Fp8KVCacheDataTypeE1ELb1ELi512EEEvPfS3_PT_PKS4_PKT0_SA_ifPKiSC_iPKfiiiSE_SE_iiiii, .Lfunc_end443-_ZN4vllm25paged_attention_v2_kernelI14__hip_bfloat16hLi112ELi32ELi128ELNS_18Fp8KVCacheDataTypeE1ELb1ELi512EEEvPfS3_PT_PKS4_PKT0_SA_ifPKiSC_iPKfiiiSE_SE_iiiii
                                        ; -- End function
	.section	.AMDGPU.csdata,"",@progbits
; Kernel info:
; codeLenInByte = 280
; NumSgprs: 46
; NumVgprs: 192
; ScratchSize: 688
; MemoryBound: 0
; FloatMode: 240
; IeeeMode: 1
; LDSByteSize: 256 bytes/workgroup (compile time only)
; SGPRBlocks: 5
; VGPRBlocks: 23
; NumSGPRsForWavesPerEU: 46
; NumVGPRsForWavesPerEU: 192
; Occupancy: 8
; WaveLimiterHint : 1
; COMPUTE_PGM_RSRC2:SCRATCH_EN: 1
; COMPUTE_PGM_RSRC2:USER_SGPR: 13
; COMPUTE_PGM_RSRC2:TRAP_HANDLER: 0
; COMPUTE_PGM_RSRC2:TGID_X_EN: 1
; COMPUTE_PGM_RSRC2:TGID_Y_EN: 1
; COMPUTE_PGM_RSRC2:TGID_Z_EN: 1
; COMPUTE_PGM_RSRC2:TIDIG_COMP_CNT: 0
	.text
	.p2align	2                               ; -- Begin function _ZN4vllm22paged_attention_kernelI14__hip_bfloat16hLi120ELi32ELi128ELNS_18Fp8KVCacheDataTypeE1ELb1ELi512EEEvPfS3_PT_PKS4_PKT0_SA_ifPKiSC_iPKfiiiSE_SE_iiiii
	.type	_ZN4vllm22paged_attention_kernelI14__hip_bfloat16hLi120ELi32ELi128ELNS_18Fp8KVCacheDataTypeE1ELb1ELi512EEEvPfS3_PT_PKS4_PKT0_SA_ifPKiSC_iPKfiiiSE_SE_iiiii,@function
_ZN4vllm22paged_attention_kernelI14__hip_bfloat16hLi120ELi32ELi128ELNS_18Fp8KVCacheDataTypeE1ELb1ELi512EEEvPfS3_PT_PKS4_PKT0_SA_ifPKiSC_iPKfiiiSE_SE_iiiii: ; @_ZN4vllm22paged_attention_kernelI14__hip_bfloat16hLi120ELi32ELi128ELNS_18Fp8KVCacheDataTypeE1ELb1ELi512EEEvPfS3_PT_PKS4_PKT0_SA_ifPKiSC_iPKfiiiSE_SE_iiiii
; %bb.0:
	s_waitcnt vmcnt(0) expcnt(0) lgkmcnt(0)
	s_clause 0x1f
	scratch_store_b32 off, v40, s32 offset:324
	; meta instruction
	scratch_store_b32 off, v41, s32 offset:320
	; meta instruction
	;; [unrolled: 2-line block ×31, first 2 shown]
	scratch_store_b32 off, v95, s32 offset:200
	s_clause 0x1f
	scratch_store_b32 off, v104, s32 offset:196
	; meta instruction
	scratch_store_b32 off, v105, s32 offset:192
	; meta instruction
	;; [unrolled: 2-line block ×31, first 2 shown]
	scratch_store_b32 off, v159, s32 offset:72
	s_clause 0xf
	scratch_store_b32 off, v168, s32 offset:68
	; meta instruction
	scratch_store_b32 off, v169, s32 offset:64
	; meta instruction
	;; [unrolled: 2-line block ×15, first 2 shown]
	scratch_store_b32 off, v191, s32 offset:8
	s_mov_b32 s4, s13
	s_ashr_i32 s5, s13, 31
	v_dual_mov_b32 v32, v1 :: v_dual_mov_b32 v33, v0
	s_lshl_b64 s[0:1], s[4:5], 2
	v_dual_mov_b32 v34, v3 :: v_dual_mov_b32 v35, v2
	v_add_co_u32 v0, vcc_lo, v16, s0
	v_add_co_ci_u32_e32 v1, vcc_lo, s1, v17, vcc_lo
	flat_load_b32 v38, v[0:1]
	s_clause 0x1
	scratch_load_b32 v0, off, s32 offset:4
	scratch_load_b32 v1, off, s32
	s_lshl_b32 s3, s14, 9
	s_mov_b32 s5, exec_lo
	s_waitcnt vmcnt(2) lgkmcnt(0)
	v_cmpx_lt_i32_e64 s3, v38
	s_cbranch_execz .LBB444_3565
; %bb.1:
	v_sub_nc_u32_e32 v2, 0, v12
	s_clause 0x1
	scratch_store_b32 off, v4, s32 offset:676
	scratch_store_b32 off, v5, s32 offset:672
	s_clause 0x1
	s_load_b32 s0, s[8:9], 0x10
	s_load_b32 s1, s[8:9], 0x0
	s_mov_b32 s10, s15
	v_max_i32_e32 v2, v12, v2
	v_mov_b32_e32 v53, 0
	s_delay_alu instid0(VALU_DEP_2) | instskip(SKIP_1) | instid1(VALU_DEP_2)
	v_cvt_f32_u32_e32 v3, v2
	v_sub_nc_u32_e32 v4, 0, v2
	v_rcp_iflag_f32_e32 v3, v3
	s_waitcnt lgkmcnt(0)
	s_lshr_b32 s0, s0, 16
	s_delay_alu instid0(SALU_CYCLE_1) | instskip(SKIP_3) | instid1(SALU_CYCLE_1)
	s_cmp_lg_u32 s0, 0
	s_waitcnt_depctr 0xfff
	v_mul_f32_e32 v3, 0x4f7ffffe, v3
	s_cselect_b32 s0, -1, 0
	s_cmp_lg_u32 s0, 0
	s_delay_alu instid0(VALU_DEP_1) | instskip(SKIP_3) | instid1(VALU_DEP_1)
	v_cvt_u32_f32_e32 v3, v3
	s_addc_u32 s18, s1, 0
	s_mov_b32 s1, exec_lo
	s_abs_i32 s0, s18
	v_mul_lo_u32 v4, v4, v3
	s_delay_alu instid0(VALU_DEP_1) | instskip(NEXT) | instid1(VALU_DEP_1)
	v_mul_hi_u32 v4, v3, v4
	v_add_nc_u32_e32 v3, v3, v4
	s_delay_alu instid0(VALU_DEP_1) | instskip(NEXT) | instid1(VALU_DEP_1)
	v_mul_hi_u32 v3, s0, v3
	v_mul_lo_u32 v4, v3, v2
	v_add_nc_u32_e32 v5, 1, v3
	s_delay_alu instid0(VALU_DEP_2) | instskip(SKIP_1) | instid1(VALU_DEP_1)
	v_sub_nc_u32_e32 v4, s0, v4
	s_abs_i32 s0, s12
	v_sub_nc_u32_e32 v16, v4, v2
	v_cmp_ge_u32_e32 vcc_lo, v4, v2
	s_delay_alu instid0(VALU_DEP_2) | instskip(SKIP_1) | instid1(VALU_DEP_2)
	v_dual_cndmask_b32 v3, v3, v5 :: v_dual_cndmask_b32 v4, v4, v16
	v_xor_b32_e32 v5, s18, v12
	v_add_nc_u32_e32 v16, 1, v3
	s_delay_alu instid0(VALU_DEP_3) | instskip(NEXT) | instid1(VALU_DEP_3)
	v_cmp_ge_u32_e32 vcc_lo, v4, v2
	v_ashrrev_i32_e32 v5, 31, v5
	s_delay_alu instid0(VALU_DEP_3) | instskip(NEXT) | instid1(VALU_DEP_1)
	v_cndmask_b32_e32 v2, v3, v16, vcc_lo
	v_xor_b32_e32 v2, v2, v5
	s_delay_alu instid0(VALU_DEP_1) | instskip(NEXT) | instid1(VALU_DEP_1)
	v_sub_nc_u32_e32 v3, v2, v5
	v_sub_nc_u32_e32 v2, 0, v3
	s_delay_alu instid0(VALU_DEP_1) | instskip(NEXT) | instid1(VALU_DEP_1)
	v_max_i32_e32 v2, v3, v2
	v_cvt_f32_u32_e32 v4, v2
	v_sub_nc_u32_e32 v5, 0, v2
	s_delay_alu instid0(VALU_DEP_2) | instskip(SKIP_2) | instid1(VALU_DEP_1)
	v_rcp_iflag_f32_e32 v4, v4
	s_waitcnt_depctr 0xfff
	v_mul_f32_e32 v4, 0x4f7ffffe, v4
	v_cvt_u32_f32_e32 v4, v4
	s_delay_alu instid0(VALU_DEP_1) | instskip(NEXT) | instid1(VALU_DEP_1)
	v_mul_lo_u32 v5, v5, v4
	v_mul_hi_u32 v5, v4, v5
	s_delay_alu instid0(VALU_DEP_1) | instskip(NEXT) | instid1(VALU_DEP_1)
	v_add_nc_u32_e32 v4, v4, v5
	v_mad_u64_u32 v[16:17], null, s0, v4, 0
	v_cmpx_ne_u64_e32 0, v[19:20]
	s_cbranch_execz .LBB444_3
; %bb.2:
	s_ashr_i32 s13, s12, 31
	s_delay_alu instid0(SALU_CYCLE_1) | instskip(NEXT) | instid1(SALU_CYCLE_1)
	s_lshl_b64 s[6:7], s[12:13], 2
	v_add_co_u32 v4, vcc_lo, v19, s6
	v_add_co_ci_u32_e32 v5, vcc_lo, s7, v20, vcc_lo
	flat_load_b32 v53, v[4:5]
.LBB444_3:
	s_or_b32 exec_lo, exec_lo, s1
	v_and_b32_e32 v31, 0x3ff, v31
	v_ashrrev_i32_e32 v3, 31, v3
	s_ashr_i32 s1, s12, 31
	s_mul_i32 s6, s12, 0x78
	s_mov_b32 s2, exec_lo
	v_cmpx_gt_u32_e32 15, v31
	s_cbranch_execz .LBB444_5
; %bb.4:
	v_mul_lo_u32 v4, s4, v21
	s_ashr_i32 s7, s6, 31
	v_lshlrev_b32_e32 v16, 4, v31
	s_lshl_b64 s[16:17], s[6:7], 1
	s_delay_alu instid0(VALU_DEP_2) | instskip(NEXT) | instid1(VALU_DEP_1)
	v_ashrrev_i32_e32 v5, 31, v4
	v_lshlrev_b64 v[4:5], 1, v[4:5]
	s_delay_alu instid0(VALU_DEP_1) | instskip(NEXT) | instid1(VALU_DEP_2)
	v_add_co_u32 v4, vcc_lo, v6, v4
	v_add_co_ci_u32_e32 v5, vcc_lo, v7, v5, vcc_lo
	s_delay_alu instid0(VALU_DEP_2) | instskip(NEXT) | instid1(VALU_DEP_2)
	v_add_co_u32 v4, vcc_lo, v4, s16
	v_add_co_ci_u32_e32 v5, vcc_lo, s17, v5, vcc_lo
	s_delay_alu instid0(VALU_DEP_2) | instskip(NEXT) | instid1(VALU_DEP_2)
	v_add_co_u32 v4, vcc_lo, v4, v16
	v_add_co_ci_u32_e32 v5, vcc_lo, 0, v5, vcc_lo
	flat_load_b128 v[4:7], v[4:5]
	s_waitcnt vmcnt(0) lgkmcnt(0)
	ds_store_b128 v16, v[4:7]
.LBB444_5:
	s_or_b32 exec_lo, exec_lo, s2
	s_waitcnt vmcnt(0)
	v_sub_nc_u32_e32 v4, 0, v1
	v_mul_lo_u32 v5, v17, v2
	v_xor_b32_e32 v3, s1, v3
	s_waitcnt lgkmcnt(0)
	s_waitcnt_vscnt null, 0x0
	s_barrier
	v_max_i32_e32 v48, v1, v4
	buffer_gl0_inv
	v_add_nc_u32_e32 v7, 1, v17
	v_sub_nc_u32_e32 v5, s0, v5
	v_cvt_f32_u32_e32 v4, v48
	s_mov_b32 s0, exec_lo
	s_delay_alu instid0(VALU_DEP_2) | instskip(NEXT) | instid1(VALU_DEP_2)
	v_sub_nc_u32_e32 v19, v5, v2
	v_rcp_iflag_f32_e32 v4, v4
	v_cmp_ge_u32_e32 vcc_lo, v5, v2
	s_delay_alu instid0(VALU_DEP_2) | instskip(SKIP_3) | instid1(VALU_DEP_2)
	v_cndmask_b32_e32 v5, v5, v19, vcc_lo
	s_waitcnt_depctr 0xfff
	v_dual_cndmask_b32 v7, v17, v7 :: v_dual_mul_f32 v4, 0x4f7ffffe, v4
	v_cmp_ge_u32_e32 vcc_lo, v5, v2
	v_cvt_u32_f32_e32 v6, v4
	v_sub_nc_u32_e32 v4, 0, v48
	s_delay_alu instid0(VALU_DEP_1) | instskip(SKIP_2) | instid1(VALU_DEP_1)
	v_mul_lo_u32 v16, v4, v6
	v_add_nc_u32_e32 v4, -1, v38
	v_add_nc_u32_e32 v19, 1, v7
	v_cndmask_b32_e32 v5, v7, v19, vcc_lo
	s_delay_alu instid0(VALU_DEP_4) | instskip(NEXT) | instid1(VALU_DEP_4)
	v_mul_hi_u32 v17, v6, v16
	v_sub_nc_u32_e32 v16, 0, v4
	s_delay_alu instid0(VALU_DEP_3) | instskip(NEXT) | instid1(VALU_DEP_2)
	v_xor_b32_e32 v5, v5, v3
	v_max_i32_e32 v2, v4, v16
                                        ; implicit-def: $vgpr16
	s_delay_alu instid0(VALU_DEP_4) | instskip(NEXT) | instid1(VALU_DEP_1)
	v_add_nc_u32_e32 v49, v6, v17
	v_mad_u64_u32 v[6:7], null, v2, v49, 0
	s_delay_alu instid0(VALU_DEP_4)
	v_sub_nc_u32_e32 v6, v5, v3
	v_cmpx_gt_i32_e32 0, v0
	s_xor_b32 s0, exec_lo, s0
; %bb.6:
	s_delay_alu instid0(VALU_DEP_2) | instskip(NEXT) | instid1(VALU_DEP_1)
	v_mad_u64_u32 v[16:17], null, v28, v12, v[6:7]
                                        ; implicit-def: $vgpr28
	v_mul_lo_u32 v0, v16, v0
	s_delay_alu instid0(VALU_DEP_1)
	v_sub_nc_u32_e32 v16, 1, v0
                                        ; implicit-def: $vgpr0
; %bb.7:
	s_or_saveexec_b32 s0, s0
	v_ashrrev_i32_e32 v3, 31, v4
	v_ashrrev_i32_e32 v50, 31, v1
	s_xor_b32 exec_lo, exec_lo, s0
; %bb.8:
	v_mad_u64_u32 v[4:5], null, s18, v28, s[12:13]
	s_delay_alu instid0(VALU_DEP_1)
	v_mad_u64_u32 v[16:17], null, v4, v0, 1
; %bb.9:
	s_or_b32 exec_lo, exec_lo, s0
	v_mul_lo_u32 v0, v7, v48
	v_dual_mov_b32 v141, 0xff7fffff :: v_dual_add_nc_u32 v4, 1, v7
	s_clause 0x1
	s_load_b32 s15, s[8:9], 0x14
	s_load_b32 s7, s[8:9], 0x8
	v_xor_b32_e32 v3, v3, v50
	v_lshrrev_b32_e32 v12, 5, v31
	s_lshl_b32 s13, s14, 4
	v_mul_lo_u32 v21, v6, v23
	v_sub_nc_u32_e32 v2, v2, v0
	v_mul_lo_u32 v0, s4, v18
	s_add_i32 s0, s13, 16
	v_and_b32_e32 v19, 31, v31
	v_sub_nc_u32_e32 v39, 0, v30
	v_sub_nc_u32_e32 v17, v2, v48
	v_cmp_ge_u32_e32 vcc_lo, v2, v48
	v_add_nc_u32_e32 v1, 31, v38
	s_clause 0x1
	scratch_store_b32 off, v12, s32 offset:668
	scratch_store_b32 off, v19, s32 offset:328
	v_lshl_add_u32 v23, v12, 5, s3
	v_cndmask_b32_e32 v4, v7, v4, vcc_lo
	v_ashrrev_i32_e32 v5, 31, v1
	v_dual_cndmask_b32 v2, v2, v17 :: v_dual_add_nc_u32 v17, s13, v12
	v_ashrrev_i32_e32 v12, 31, v21
	s_delay_alu instid0(VALU_DEP_4) | instskip(NEXT) | instid1(VALU_DEP_4)
	v_add_nc_u32_e32 v7, 1, v4
	v_lshrrev_b32_e32 v5, 27, v5
	s_delay_alu instid0(VALU_DEP_4) | instskip(SKIP_2) | instid1(VALU_DEP_4)
	v_cmp_ge_u32_e32 vcc_lo, v2, v48
	v_ashrrev_i32_e32 v18, 31, v17
	v_lshlrev_b32_e32 v36, 2, v19
	v_dual_cndmask_b32 v2, v4, v7 :: v_dual_add_nc_u32 v1, v1, v5
	s_delay_alu instid0(VALU_DEP_1) | instskip(NEXT) | instid1(VALU_DEP_2)
	v_ashrrev_i32_e32 v37, 5, v1
	v_xor_b32_e32 v2, v2, v3
	v_ashrrev_i32_e32 v1, 31, v0
	s_delay_alu instid0(VALU_DEP_3) | instskip(NEXT) | instid1(VALU_DEP_3)
	v_min_i32_e32 v51, s0, v37
	v_sub_nc_u32_e32 v2, v2, v3
	s_delay_alu instid0(VALU_DEP_3) | instskip(NEXT) | instid1(VALU_DEP_3)
	v_lshlrev_b64 v[68:69], 2, v[0:1]
	v_cmp_lt_i32_e64 s0, v17, v51
	s_delay_alu instid0(VALU_DEP_3) | instskip(NEXT) | instid1(VALU_DEP_2)
	v_sub_nc_u32_e32 v52, v2, v29
	s_and_saveexec_b32 s19, s0
	s_cbranch_execz .LBB444_1457
; %bb.10:
	v_mov_b32_e32 v20, 0
	s_clause 0x7
	scratch_store_b32 off, v37, s32 offset:732
	scratch_store_b32 off, v35, s32 offset:716
	scratch_store_b32 off, v34, s32 offset:712
	scratch_store_b32 off, v33, s32 offset:708
	scratch_store_b32 off, v32, s32 offset:704
	scratch_store_b32 off, v10, s32 offset:700
	scratch_store_b32 off, v11, s32 offset:696
	scratch_store_b32 off, v31, s32 offset:680
	v_max_i32_e32 v110, v30, v39
	s_getpc_b64 s[8:9]
	s_add_u32 s8, s8, llvm.amdgcn.dynlds.offset.table@rel32@lo+4
	s_addc_u32 s9, s9, llvm.amdgcn.dynlds.offset.table@rel32@hi+12
	s_ashr_i32 s11, s10, 31
	ds_load_b128 v[0:3], v20
	ds_load_b128 v[4:7], v20 offset:16
	ds_load_b128 v[64:67], v20 offset:32
	ds_load_b128 v[32:35], v20 offset:48
	s_lshl_b64 s[16:17], s[10:11], 2
	s_mov_b32 s20, 0
	s_add_u32 s8, s16, s8
	s_addc_u32 s9, s17, s9
	s_mov_b32 s16, -1
	s_mov_b32 s17, 0xffffff
	v_mov_b32_e32 v141, 0xff7fffff
	v_dual_mov_b32 v169, v17 :: v_dual_mov_b32 v168, 0xff7fffff
	s_waitcnt lgkmcnt(0)
	v_lshlrev_b32_e32 v10, 16, v0
	v_and_b32_e32 v0, 0xffff0000, v0
	scratch_store_b32 off, v10, s32 offset:332 ; 4-byte Folded Spill
	v_and_b32_e32 v10, 0xffff0000, v67
	scratch_store_b32 off, v0, s32 offset:336 ; 4-byte Folded Spill
	v_lshlrev_b32_e32 v0, 16, v1
	scratch_store_b32 off, v10, s32 offset:424 ; 4-byte Folded Spill
	v_lshlrev_b32_e32 v10, 16, v32
	scratch_store_b32 off, v0, s32 offset:340 ; 4-byte Folded Spill
	v_and_b32_e32 v0, 0xffff0000, v1
	scratch_store_b32 off, v10, s32 offset:428 ; 4-byte Folded Spill
	v_and_b32_e32 v10, 0xffff0000, v32
	scratch_store_b32 off, v0, s32 offset:344 ; 4-byte Folded Spill
	v_lshlrev_b32_e32 v0, 16, v2
	scratch_store_b32 off, v10, s32 offset:432 ; 4-byte Folded Spill
	v_lshlrev_b32_e32 v10, 16, v33
	scratch_store_b32 off, v0, s32 offset:348 ; 4-byte Folded Spill
	;; [unrolled: 8-line block ×4, first 2 shown]
	v_and_b32_e32 v0, 0xffff0000, v4
	v_and_b32_e32 v4, 0xffff0000, v7
	scratch_store_b32 off, v10, s32 offset:452 ; 4-byte Folded Spill
	v_and_b32_e32 v10, 0xffff0000, v35
	s_clause 0x1
	scratch_store_b32 off, v0, s32 offset:368
	scratch_store_b32 off, v4, s32 offset:392
	v_lshlrev_b32_e32 v0, 16, v5
	v_lshlrev_b32_e32 v4, 16, v64
	scratch_store_b32 off, v10, s32 offset:456 ; 4-byte Folded Spill
	ds_load_b128 v[32:35], v20 offset:112
	s_clause 0x1
	scratch_store_b32 off, v0, s32 offset:372
	scratch_store_b32 off, v4, s32 offset:396
	v_and_b32_e32 v0, 0xffff0000, v5
	v_and_b32_e32 v4, 0xffff0000, v64
	s_clause 0x1
	scratch_store_b32 off, v0, s32 offset:376
	scratch_store_b32 off, v4, s32 offset:400
	v_lshlrev_b32_e32 v0, 16, v6
	v_lshlrev_b32_e32 v4, 16, v65
	s_clause 0x1
	scratch_store_b32 off, v0, s32 offset:380
	scratch_store_b32 off, v4, s32 offset:404
	v_and_b32_e32 v0, 0xffff0000, v6
	v_and_b32_e32 v4, 0xffff0000, v65
	s_clause 0x1
	scratch_store_b32 off, v0, s32 offset:384
	scratch_store_b32 off, v4, s32 offset:408
	v_lshlrev_b32_e32 v0, 16, v7
	v_lshlrev_b32_e32 v4, 16, v66
	s_clause 0x1
	scratch_store_b32 off, v0, s32 offset:388
	scratch_store_b32 off, v4, s32 offset:412
	ds_load_b128 v[0:3], v20 offset:64
	v_and_b32_e32 v4, 0xffff0000, v66
	scratch_store_b32 off, v4, s32 offset:416 ; 4-byte Folded Spill
	v_lshlrev_b32_e32 v4, 16, v67
	ds_load_b128 v[64:67], v20 offset:96
	scratch_store_b32 off, v4, s32 offset:420 ; 4-byte Folded Spill
	ds_load_b128 v[4:7], v20 offset:80
	s_waitcnt lgkmcnt(2)
	v_lshlrev_b32_e32 v10, 16, v0
	v_and_b32_e32 v0, 0xffff0000, v0
	scratch_store_b32 off, v10, s32 offset:460 ; 4-byte Folded Spill
	s_waitcnt lgkmcnt(1)
	v_and_b32_e32 v10, 0xffff0000, v67
	scratch_store_b32 off, v0, s32 offset:464 ; 4-byte Folded Spill
	v_lshlrev_b32_e32 v0, 16, v1
	scratch_store_b32 off, v10, s32 offset:552 ; 4-byte Folded Spill
	v_lshlrev_b32_e32 v10, 16, v32
	scratch_store_b32 off, v0, s32 offset:468 ; 4-byte Folded Spill
	v_and_b32_e32 v0, 0xffff0000, v1
	scratch_store_b32 off, v10, s32 offset:556 ; 4-byte Folded Spill
	v_and_b32_e32 v10, 0xffff0000, v32
	scratch_store_b32 off, v0, s32 offset:472 ; 4-byte Folded Spill
	v_lshlrev_b32_e32 v0, 16, v2
	scratch_store_b32 off, v10, s32 offset:560 ; 4-byte Folded Spill
	v_lshlrev_b32_e32 v10, 16, v33
	scratch_store_b32 off, v0, s32 offset:476 ; 4-byte Folded Spill
	v_and_b32_e32 v0, 0xffff0000, v2
	scratch_store_b32 off, v10, s32 offset:564 ; 4-byte Folded Spill
	;; [unrolled: 8-line block ×3, first 2 shown]
	v_and_b32_e32 v10, 0xffff0000, v34
	scratch_store_b32 off, v0, s32 offset:488 ; 4-byte Folded Spill
	s_waitcnt lgkmcnt(0)
	v_lshlrev_b32_e32 v0, 16, v4
	scratch_store_b32 off, v10, s32 offset:576 ; 4-byte Folded Spill
	v_lshlrev_b32_e32 v10, 16, v35
	scratch_store_b32 off, v0, s32 offset:492 ; 4-byte Folded Spill
	v_and_b32_e32 v0, 0xffff0000, v4
	v_and_b32_e32 v4, 0xffff0000, v7
	scratch_store_b32 off, v10, s32 offset:580 ; 4-byte Folded Spill
	v_and_b32_e32 v10, 0xffff0000, v35
	s_clause 0x1
	scratch_store_b32 off, v0, s32 offset:496
	scratch_store_b32 off, v4, s32 offset:520
	v_lshlrev_b32_e32 v0, 16, v5
	v_lshlrev_b32_e32 v4, 16, v64
	scratch_store_b32 off, v10, s32 offset:584 ; 4-byte Folded Spill
	ds_load_b128 v[32:35], v20 offset:176
	s_clause 0x1
	scratch_store_b32 off, v0, s32 offset:500
	scratch_store_b32 off, v4, s32 offset:524
	v_and_b32_e32 v0, 0xffff0000, v5
	v_and_b32_e32 v4, 0xffff0000, v64
	s_clause 0x1
	scratch_store_b32 off, v0, s32 offset:504
	scratch_store_b32 off, v4, s32 offset:528
	v_lshlrev_b32_e32 v0, 16, v6
	v_lshlrev_b32_e32 v4, 16, v65
	s_clause 0x1
	scratch_store_b32 off, v0, s32 offset:508
	scratch_store_b32 off, v4, s32 offset:532
	v_and_b32_e32 v0, 0xffff0000, v6
	v_and_b32_e32 v4, 0xffff0000, v65
	s_waitcnt lgkmcnt(0)
	v_lshlrev_b32_e32 v90, 16, v32
	v_and_b32_e32 v91, 0xffff0000, v32
	v_lshlrev_b32_e32 v92, 16, v33
	s_clause 0x1
	scratch_store_b32 off, v0, s32 offset:512
	scratch_store_b32 off, v4, s32 offset:536
	v_lshlrev_b32_e32 v0, 16, v7
	v_lshlrev_b32_e32 v4, 16, v66
	v_and_b32_e32 v93, 0xffff0000, v33
	v_lshlrev_b32_e32 v94, 16, v34
	v_and_b32_e32 v95, 0xffff0000, v34
	s_clause 0x1
	scratch_store_b32 off, v0, s32 offset:516
	scratch_store_b32 off, v4, s32 offset:540
	v_and_b32_e32 v4, 0xffff0000, v66
	v_lshlrev_b32_e32 v104, 16, v35
	v_and_b32_e32 v105, 0xffff0000, v35
	scratch_store_b32 off, v4, s32 offset:544 ; 4-byte Folded Spill
	v_lshlrev_b32_e32 v4, 16, v67
	ds_load_b128 v[64:67], v20 offset:160
	scratch_store_b32 off, v4, s32 offset:548 ; 4-byte Folded Spill
	s_waitcnt lgkmcnt(0)
	v_and_b32_e32 v79, 0xffff0000, v66
	ds_load_b128 v[0:3], v20 offset:128
	ds_load_b128 v[4:7], v20 offset:144
	;; [unrolled: 1-line block ×3, first 2 shown]
	v_lshlrev_b32_e32 v78, 16, v66
	v_lshlrev_b32_e32 v88, 16, v67
	v_and_b32_e32 v89, 0xffff0000, v67
	s_waitcnt lgkmcnt(2)
	v_lshlrev_b32_e32 v10, 16, v0
	v_and_b32_e32 v0, 0xffff0000, v0
	s_waitcnt lgkmcnt(0)
	v_lshlrev_b32_e32 v139, 16, v31
	v_and_b32_e32 v140, 0xffff0000, v31
	v_lshlrev_b32_e32 v142, 16, v32
	s_clause 0x1
	scratch_store_b32 off, v10, s32 offset:588
	scratch_store_b32 off, v0, s32 offset:592
	v_lshlrev_b32_e32 v0, 16, v1
	v_and_b32_e32 v143, 0xffff0000, v32
	v_lshlrev_b32_e32 v152, 16, v33
	v_and_b32_e32 v153, 0xffff0000, v33
	v_lshlrev_b32_e32 v154, 16, v34
	scratch_store_b32 off, v0, s32 offset:596 ; 4-byte Folded Spill
	v_and_b32_e32 v0, 0xffff0000, v1
	v_and_b32_e32 v155, 0xffff0000, v34
	scratch_store_b32 off, v0, s32 offset:600 ; 4-byte Folded Spill
	v_lshlrev_b32_e32 v0, 16, v2
	scratch_store_b32 off, v0, s32 offset:604 ; 4-byte Folded Spill
	v_and_b32_e32 v0, 0xffff0000, v2
	scratch_store_b32 off, v0, s32 offset:608 ; 4-byte Folded Spill
	v_lshlrev_b32_e32 v0, 16, v3
	scratch_store_b32 off, v0, s32 offset:612 ; 4-byte Folded Spill
	;; [unrolled: 4-line block ×3, first 2 shown]
	v_and_b32_e32 v0, 0xffff0000, v4
	v_and_b32_e32 v4, 0xffff0000, v7
	s_clause 0x1
	scratch_store_b32 off, v0, s32 offset:624
	scratch_store_b32 off, v4, s32 offset:648
	v_lshlrev_b32_e32 v0, 16, v5
	v_lshlrev_b32_e32 v4, 16, v64
	s_clause 0x1
	scratch_store_b32 off, v0, s32 offset:628
	scratch_store_b32 off, v4, s32 offset:652
	v_and_b32_e32 v0, 0xffff0000, v5
	v_and_b32_e32 v4, 0xffff0000, v64
	s_clause 0x1
	scratch_store_b32 off, v0, s32 offset:632
	scratch_store_b32 off, v4, s32 offset:656
	v_lshlrev_b32_e32 v0, 16, v6
	v_lshlrev_b32_e32 v4, 16, v65
	s_clause 0x1
	scratch_store_b32 off, v0, s32 offset:636
	scratch_store_b32 off, v4, s32 offset:660
	v_and_b32_e32 v0, 0xffff0000, v6
	v_and_b32_e32 v4, 0xffff0000, v65
	s_clause 0x1
	scratch_store_b32 off, v0, s32 offset:640
	scratch_store_b32 off, v4, s32 offset:664
	v_lshlrev_b32_e32 v0, 16, v7
	ds_load_b128 v[4:7], v20 offset:208
	scratch_store_b32 off, v0, s32 offset:644 ; 4-byte Folded Spill
	ds_load_b128 v[0:3], v20 offset:192
	s_clause 0x1
	scratch_store_b32 off, v30, s32 offset:692
	scratch_store_b32 off, v39, s32 offset:736
	s_load_b32 s11, s[8:9], 0x0
	s_clause 0x5
	scratch_store_b32 off, v21, s32 offset:728
	scratch_store_b32 off, v12, s32 offset:740
	;; [unrolled: 1-line block ×3, first 2 shown]
	scratch_store_b64 off, v[68:69], s32 offset:720
	scratch_store_b32 off, v14, s32 offset:688
	scratch_store_b32 off, v15, s32 offset:684
	s_waitcnt lgkmcnt(0)
	v_lshlrev_b32_e32 v127, 16, v6
	v_and_b32_e32 v136, 0xffff0000, v6
	scratch_load_b32 v6, off, s32 offset:328 ; 4-byte Folded Reload
	v_lshlrev_b32_e32 v123, 16, v4
	v_and_b32_e32 v124, 0xffff0000, v4
	v_lshlrev_b32_e32 v106, 16, v0
	v_and_b32_e32 v107, 0xffff0000, v0
	v_cvt_f32_u32_e32 v0, v110
	v_lshlrev_b32_e32 v108, 16, v1
	v_and_b32_e32 v109, 0xffff0000, v1
	v_and_b32_e32 v120, 0xffff0000, v2
	v_lshlrev_b32_e32 v121, 16, v3
	v_rcp_iflag_f32_e32 v0, v0
	v_lshlrev_b32_e32 v111, 16, v2
	v_and_b32_e32 v122, 0xffff0000, v3
	v_add_co_u32 v3, vcc_lo, v8, v21
	v_add_co_ci_u32_e32 v4, vcc_lo, v9, v12, vcc_lo
	v_lshlrev_b32_e32 v125, 16, v5
	v_and_b32_e32 v126, 0xffff0000, v5
	s_delay_alu instid0(TRANS32_DEP_1) | instskip(SKIP_1) | instid1(VALU_DEP_2)
	v_dual_mul_f32 v0, 0x4f7ffffe, v0 :: v_dual_lshlrev_b32 v137, 16, v7
	v_and_b32_e32 v138, 0xffff0000, v7
	v_cvt_u32_f32_e32 v2, v0
	v_sub_nc_u32_e32 v0, 0, v110
	s_delay_alu instid0(VALU_DEP_1) | instskip(SKIP_2) | instid1(VALU_DEP_1)
	v_mul_lo_u32 v5, v0, v2
	s_waitcnt vmcnt(0)
	v_lshlrev_b32_e32 v1, 4, v6
	v_add_co_u32 v8, vcc_lo, v3, v1
	v_lshlrev_b64 v[0:1], 2, v[17:18]
	v_add_co_ci_u32_e32 v9, vcc_lo, 0, v4, vcc_lo
	v_mul_hi_u32 v3, v2, v5
	s_delay_alu instid0(VALU_DEP_3) | instskip(NEXT) | instid1(VALU_DEP_4)
	v_add_co_u32 v0, vcc_lo, v68, v0
	v_add_co_ci_u32_e32 v1, vcc_lo, v69, v1, vcc_lo
	s_delay_alu instid0(VALU_DEP_2)
	v_add_co_u32 v28, vcc_lo, v14, v0
	scratch_load_b32 v0, off, s32 offset:668 ; 4-byte Folded Reload
	v_add_nc_u32_e32 v156, v2, v3
	v_sub_nc_u32_e32 v2, v6, v38
	v_add_co_ci_u32_e32 v29, vcc_lo, v15, v1, vcc_lo
	v_cmp_neq_f32_e32 vcc_lo, 0, v53
	s_delay_alu instid0(VALU_DEP_3)
	v_add_nc_u32_e32 v157, 1, v2
	s_waitcnt vmcnt(0)
	v_lshl_add_u32 v158, v0, 5, s3
	v_lshl_or_b32 v159, v0, 7, v36
	s_branch .LBB444_13
.LBB444_11:                             ;   in Loop: Header=BB444_13 Depth=1
	s_or_b32 exec_lo, exec_lo, s21
	scratch_load_b32 v34, off, s32 offset:364 ; 4-byte Folded Reload
	v_and_b32_e32 v4, 0xffff0000, v4
	v_and_b32_e32 v31, 0xffff0000, v187
	;; [unrolled: 1-line block ×8, first 2 shown]
	s_load_b32 s21, s[8:9], 0x0
	v_and_b32_e32 v21, 0xffff0000, v21
	v_and_b32_e32 v1, 0xffff0000, v1
	s_waitcnt vmcnt(0)
	v_mul_f32_e32 v171, v34, v31
	s_clause 0x1
	scratch_load_b32 v31, off, s32 offset:332
	scratch_load_b32 v34, off, s32 offset:368
	s_waitcnt vmcnt(1)
	v_fmac_f32_e32 v171, v31, v32
	v_and_b32_e32 v31, 0xffff0000, v188
	v_and_b32_e32 v32, 0xffff0000, v172
	s_waitcnt vmcnt(0)
	s_delay_alu instid0(VALU_DEP_2)
	v_mul_f32_e32 v172, v34, v31
	s_clause 0x1
	scratch_load_b32 v31, off, s32 offset:336
	scratch_load_b32 v34, off, s32 offset:372
	v_and_b32_e32 v76, 0xffff0000, v175
	s_waitcnt vmcnt(1)
	v_dual_fmac_f32 v172, v31, v32 :: v_dual_and_b32 v31, 0xffff0000, v189
	v_and_b32_e32 v32, 0xffff0000, v173
	s_waitcnt vmcnt(0)
	s_delay_alu instid0(VALU_DEP_2)
	v_mul_f32_e32 v170, v34, v31
	s_clause 0x1
	scratch_load_b32 v31, off, s32 offset:340
	scratch_load_b32 v34, off, s32 offset:376
	s_waitcnt vmcnt(1)
	v_dual_fmac_f32 v170, v31, v32 :: v_dual_and_b32 v31, 0xffff0000, v190
	v_and_b32_e32 v32, 0xffff0000, v174
	s_waitcnt vmcnt(0)
	s_delay_alu instid0(VALU_DEP_2)
	v_mul_f32_e32 v34, v34, v31
	scratch_load_b32 v31, off, s32 offset:344 ; 4-byte Folded Reload
	s_waitcnt vmcnt(0)
	v_fmac_f32_e32 v34, v31, v32
	scratch_load_b32 v32, off, s32 offset:380 ; 4-byte Folded Reload
	v_and_b32_e32 v31, 0xffff0000, v191
	s_waitcnt vmcnt(0)
	s_delay_alu instid0(VALU_DEP_1)
	v_mul_f32_e32 v32, v32, v31
	scratch_load_b32 v31, off, s32 offset:348 ; 4-byte Folded Reload
	s_waitcnt vmcnt(0)
	v_fmac_f32_e32 v32, v31, v76
	scratch_load_b32 v76, off, s32 offset:384 ; 4-byte Folded Reload
	v_and_b32_e32 v31, 0xffff0000, v68
	s_waitcnt vmcnt(0)
	s_delay_alu instid0(VALU_DEP_1)
	v_dual_mul_f32 v31, v76, v31 :: v_dual_and_b32 v68, 0xffff0000, v184
	scratch_load_b32 v76, off, s32 offset:352 ; 4-byte Folded Reload
	s_waitcnt vmcnt(0)
	v_fmac_f32_e32 v31, v76, v68
	scratch_load_b32 v76, off, s32 offset:388 ; 4-byte Folded Reload
	v_and_b32_e32 v68, 0xffff0000, v185
	s_waitcnt vmcnt(0)
	v_mul_f32_e32 v5, v76, v5
	scratch_load_b32 v76, off, s32 offset:356 ; 4-byte Folded Reload
	s_waitcnt vmcnt(0)
	v_dual_fmac_f32 v5, v76, v68 :: v_dual_and_b32 v68, 0xffff0000, v186
	scratch_load_b32 v76, off, s32 offset:392 ; 4-byte Folded Reload
	s_waitcnt vmcnt(0)
	v_mul_f32_e32 v4, v76, v4
	scratch_load_b32 v76, off, s32 offset:360 ; 4-byte Folded Reload
	s_waitcnt vmcnt(0)
	v_fmac_f32_e32 v4, v76, v68
	v_and_b32_e32 v68, 0xffff0000, v69
	scratch_load_b32 v69, off, s32 offset:396 ; 4-byte Folded Reload
	s_waitcnt vmcnt(0)
	v_fmac_f32_e32 v171, v69, v68
	scratch_load_b32 v68, off, s32 offset:400 ; 4-byte Folded Reload
	s_waitcnt vmcnt(0)
	v_fmac_f32_e32 v172, v68, v67
	;; [unrolled: 3-line block ×5, first 2 shown]
	v_and_b32_e32 v6, 0xffff0000, v7
	scratch_load_b32 v7, off, s32 offset:416 ; 4-byte Folded Reload
	s_waitcnt vmcnt(0)
	v_fmac_f32_e32 v31, v7, v6
	scratch_load_b32 v7, off, s32 offset:420 ; 4-byte Folded Reload
	v_and_b32_e32 v6, 0xffff0000, v12
	s_waitcnt vmcnt(0)
	s_delay_alu instid0(VALU_DEP_1) | instskip(SKIP_3) | instid1(VALU_DEP_1)
	v_fmac_f32_e32 v5, v7, v6
	scratch_load_b32 v7, off, s32 offset:424 ; 4-byte Folded Reload
	v_and_b32_e32 v6, 0xffff0000, v39
	s_waitcnt vmcnt(0)
	v_fmac_f32_e32 v4, v7, v6
	scratch_load_b32 v7, off, s32 offset:428 ; 4-byte Folded Reload
	v_and_b32_e32 v6, 0xffff0000, v37
	s_waitcnt vmcnt(0)
	s_delay_alu instid0(VALU_DEP_1) | instskip(SKIP_3) | instid1(VALU_DEP_1)
	v_fmac_f32_e32 v171, v7, v6
	scratch_load_b32 v7, off, s32 offset:432 ; 4-byte Folded Reload
	v_and_b32_e32 v6, 0xffff0000, v55
	;; [unrolled: 9-line block ×3, first 2 shown]
	s_waitcnt vmcnt(0)
	v_fmac_f32_e32 v34, v7, v6
	scratch_load_b32 v6, off, s32 offset:444 ; 4-byte Folded Reload
	s_waitcnt vmcnt(0)
	v_fmac_f32_e32 v32, v6, v1
	scratch_load_b32 v1, off, s32 offset:448 ; 4-byte Folded Reload
	;; [unrolled: 3-line block ×3, first 2 shown]
	v_and_b32_e32 v0, 0xffff0000, v3
	s_waitcnt vmcnt(0)
	s_delay_alu instid0(VALU_DEP_1) | instskip(SKIP_3) | instid1(VALU_DEP_1)
	v_fmac_f32_e32 v5, v1, v0
	scratch_load_b32 v1, off, s32 offset:456 ; 4-byte Folded Reload
	v_and_b32_e32 v0, 0xffff0000, v2
	s_waitcnt vmcnt(0)
	v_fmac_f32_e32 v4, v1, v0
	scratch_load_b32 v1, off, s32 offset:460 ; 4-byte Folded Reload
	v_and_b32_e32 v0, 0xffff0000, v15
	s_waitcnt vmcnt(0)
	s_delay_alu instid0(VALU_DEP_1) | instskip(SKIP_3) | instid1(VALU_DEP_1)
	v_fmac_f32_e32 v171, v1, v0
	scratch_load_b32 v1, off, s32 offset:464 ; 4-byte Folded Reload
	v_and_b32_e32 v0, 0xffff0000, v14
	s_waitcnt vmcnt(0)
	v_fmac_f32_e32 v172, v1, v0
	scratch_load_b32 v1, off, s32 offset:468 ; 4-byte Folded Reload
	;; [unrolled: 9-line block ×19, first 2 shown]
	v_and_b32_e32 v0, 0xffff0000, v132
	s_waitcnt vmcnt(0)
	s_delay_alu instid0(VALU_DEP_1) | instskip(SKIP_3) | instid1(VALU_DEP_1)
	v_fmac_f32_e32 v32, v1, v0
	scratch_load_b32 v1, off, s32 offset:608 ; 4-byte Folded Reload
	v_and_b32_e32 v0, 0xffff0000, v133
	s_waitcnt vmcnt(0)
	v_dual_fmac_f32 v31, v1, v0 :: v_dual_and_b32 v0, 0xffff0000, v134
	scratch_load_b32 v1, off, s32 offset:612 ; 4-byte Folded Reload
	s_waitcnt vmcnt(0)
	v_dual_fmac_f32 v5, v1, v0 :: v_dual_and_b32 v0, 0xffff0000, v135
	scratch_load_b32 v1, off, s32 offset:616 ; 4-byte Folded Reload
	s_waitcnt vmcnt(0)
	v_fmac_f32_e32 v4, v1, v0
	scratch_load_b32 v1, off, s32 offset:620 ; 4-byte Folded Reload
	v_and_b32_e32 v0, 0xffff0000, v144
	s_waitcnt vmcnt(0)
	s_delay_alu instid0(VALU_DEP_1)
	v_dual_fmac_f32 v171, v1, v0 :: v_dual_and_b32 v0, 0xffff0000, v145
	scratch_load_b32 v1, off, s32 offset:624 ; 4-byte Folded Reload
	s_waitcnt vmcnt(0)
	v_fmac_f32_e32 v172, v1, v0
	scratch_load_b32 v1, off, s32 offset:628 ; 4-byte Folded Reload
	v_and_b32_e32 v0, 0xffff0000, v146
	s_waitcnt vmcnt(0)
	s_delay_alu instid0(VALU_DEP_1) | instskip(SKIP_3) | instid1(VALU_DEP_1)
	v_fmac_f32_e32 v170, v1, v0
	scratch_load_b32 v1, off, s32 offset:632 ; 4-byte Folded Reload
	v_and_b32_e32 v0, 0xffff0000, v147
	s_waitcnt vmcnt(0)
	v_fmac_f32_e32 v34, v1, v0
	scratch_load_b32 v1, off, s32 offset:636 ; 4-byte Folded Reload
	v_and_b32_e32 v0, 0xffff0000, v148
	s_waitcnt vmcnt(0)
	s_delay_alu instid0(VALU_DEP_1) | instskip(SKIP_3) | instid1(VALU_DEP_1)
	v_fmac_f32_e32 v32, v1, v0
	scratch_load_b32 v1, off, s32 offset:640 ; 4-byte Folded Reload
	v_and_b32_e32 v0, 0xffff0000, v149
	s_waitcnt vmcnt(0)
	v_dual_fmac_f32 v31, v1, v0 :: v_dual_and_b32 v0, 0xffff0000, v150
	scratch_load_b32 v1, off, s32 offset:644 ; 4-byte Folded Reload
	s_waitcnt vmcnt(0)
	v_dual_fmac_f32 v5, v1, v0 :: v_dual_and_b32 v0, 0xffff0000, v151
	scratch_load_b32 v1, off, s32 offset:648 ; 4-byte Folded Reload
	s_waitcnt vmcnt(0)
	v_fmac_f32_e32 v4, v1, v0
	scratch_load_b32 v1, off, s32 offset:652 ; 4-byte Folded Reload
	v_and_b32_e32 v0, 0xffff0000, v160
	s_waitcnt vmcnt(0)
	s_delay_alu instid0(VALU_DEP_1)
	v_dual_fmac_f32 v171, v1, v0 :: v_dual_and_b32 v0, 0xffff0000, v161
	scratch_load_b32 v1, off, s32 offset:656 ; 4-byte Folded Reload
	s_waitcnt vmcnt(0)
	v_fmac_f32_e32 v172, v1, v0
	scratch_load_b32 v1, off, s32 offset:660 ; 4-byte Folded Reload
	v_and_b32_e32 v0, 0xffff0000, v162
	s_waitcnt vmcnt(0)
	s_delay_alu instid0(VALU_DEP_1) | instskip(SKIP_3) | instid1(VALU_DEP_1)
	v_fmac_f32_e32 v170, v1, v0
	scratch_load_b32 v1, off, s32 offset:664 ; 4-byte Folded Reload
	v_and_b32_e32 v0, 0xffff0000, v163
	s_waitcnt vmcnt(0)
	v_fmac_f32_e32 v34, v1, v0
	v_and_b32_e32 v0, 0xffff0000, v164
	s_delay_alu instid0(VALU_DEP_1) | instskip(SKIP_1) | instid1(VALU_DEP_1)
	v_dual_fmac_f32 v32, v78, v0 :: v_dual_and_b32 v1, 0xffff0000, v182
	v_and_b32_e32 v0, 0xffff0000, v176
	v_dual_fmac_f32 v171, v90, v0 :: v_dual_and_b32 v0, 0xffff0000, v177
	s_delay_alu instid0(VALU_DEP_1) | instskip(SKIP_1) | instid1(VALU_DEP_1)
	v_fmac_f32_e32 v172, v91, v0
	v_and_b32_e32 v0, 0xffff0000, v165
	v_dual_fmac_f32 v31, v79, v0 :: v_dual_and_b32 v0, 0xffff0000, v166
	s_delay_alu instid0(VALU_DEP_1) | instskip(NEXT) | instid1(VALU_DEP_1)
	v_dual_fmac_f32 v5, v88, v0 :: v_dual_and_b32 v0, 0xffff0000, v178
	v_fmac_f32_e32 v5, v104, v1
	s_delay_alu instid0(VALU_DEP_2) | instskip(SKIP_2) | instid1(VALU_DEP_2)
	v_fmac_f32_e32 v170, v92, v0
	v_and_b32_e32 v0, 0xffff0000, v40
	v_and_b32_e32 v1, 0xffff0000, v45
	v_dual_fmac_f32 v171, v106, v0 :: v_dual_and_b32 v0, 0xffff0000, v41
	s_delay_alu instid0(VALU_DEP_1) | instskip(SKIP_1) | instid1(VALU_DEP_1)
	v_fmac_f32_e32 v172, v107, v0
	v_and_b32_e32 v0, 0xffff0000, v167
	v_fmac_f32_e32 v4, v89, v0
	v_and_b32_e32 v0, 0xffff0000, v179
	s_delay_alu instid0(VALU_DEP_1) | instskip(SKIP_1) | instid1(VALU_DEP_1)
	v_fmac_f32_e32 v34, v93, v0
	v_and_b32_e32 v0, 0xffff0000, v42
	v_fmac_f32_e32 v170, v108, v0
	v_and_b32_e32 v0, 0xffff0000, v56
	s_delay_alu instid0(VALU_DEP_1) | instskip(NEXT) | instid1(VALU_DEP_1)
	v_dual_fmac_f32 v171, v123, v0 :: v_dual_and_b32 v0, 0xffff0000, v57
	v_fmac_f32_e32 v172, v124, v0
	v_and_b32_e32 v0, 0xffff0000, v180
	s_delay_alu instid0(VALU_DEP_1) | instskip(SKIP_1) | instid1(VALU_DEP_1)
	v_fmac_f32_e32 v32, v94, v0
	v_and_b32_e32 v0, 0xffff0000, v43
	v_fmac_f32_e32 v34, v109, v0
	v_and_b32_e32 v0, 0xffff0000, v58
	s_delay_alu instid0(VALU_DEP_1) | instskip(SKIP_1) | instid1(VALU_DEP_1)
	v_fmac_f32_e32 v170, v125, v0
	v_and_b32_e32 v0, 0xffff0000, v62
	v_dual_fmac_f32 v171, v139, v0 :: v_dual_and_b32 v0, 0xffff0000, v63
	s_delay_alu instid0(VALU_DEP_1) | instskip(SKIP_1) | instid1(VALU_DEP_1)
	v_fmac_f32_e32 v172, v140, v0
	v_and_b32_e32 v0, 0xffff0000, v181
	v_fmac_f32_e32 v31, v95, v0
	v_and_b32_e32 v0, 0xffff0000, v44
	s_delay_alu instid0(VALU_DEP_1) | instskip(NEXT) | instid1(VALU_DEP_3)
	v_fmac_f32_e32 v32, v111, v0
	v_dual_fmac_f32 v31, v120, v1 :: v_dual_and_b32 v0, 0xffff0000, v59
	s_delay_alu instid0(VALU_DEP_1) | instskip(SKIP_1) | instid1(VALU_DEP_1)
	v_fmac_f32_e32 v34, v126, v0
	v_and_b32_e32 v0, 0xffff0000, v72
	v_fmac_f32_e32 v170, v142, v0
	v_add_f32_e32 v0, v171, v172
	s_delay_alu instid0(VALU_DEP_1) | instskip(NEXT) | instid1(VALU_DEP_1)
	v_dual_add_f32 v0, v0, v170 :: v_dual_and_b32 v1, 0xffff0000, v60
	v_fmac_f32_e32 v32, v127, v1
	v_and_b32_e32 v1, 0xffff0000, v73
	s_delay_alu instid0(VALU_DEP_1) | instskip(NEXT) | instid1(VALU_DEP_1)
	v_dual_fmac_f32 v34, v143, v1 :: v_dual_and_b32 v1, 0xffff0000, v183
	v_add_f32_e32 v0, v34, v0
	s_delay_alu instid0(VALU_DEP_2) | instskip(NEXT) | instid1(VALU_DEP_1)
	v_dual_fmac_f32 v4, v105, v1 :: v_dual_and_b32 v1, 0xffff0000, v46
	v_fmac_f32_e32 v5, v121, v1
	v_and_b32_e32 v1, 0xffff0000, v61
	s_delay_alu instid0(VALU_DEP_1) | instskip(SKIP_1) | instid1(VALU_DEP_1)
	v_fmac_f32_e32 v31, v136, v1
	v_and_b32_e32 v1, 0xffff0000, v74
	v_dual_fmac_f32 v32, v152, v1 :: v_dual_and_b32 v1, 0xffff0000, v47
	s_delay_alu instid0(VALU_DEP_1) | instskip(NEXT) | instid1(VALU_DEP_2)
	v_add_f32_e32 v0, v32, v0
	v_dual_fmac_f32 v4, v122, v1 :: v_dual_and_b32 v1, 0xffff0000, v35
	s_delay_alu instid0(VALU_DEP_1) | instskip(SKIP_1) | instid1(VALU_DEP_1)
	v_fmac_f32_e32 v5, v137, v1
	v_and_b32_e32 v1, 0xffff0000, v75
	v_fmac_f32_e32 v31, v153, v1
	v_and_b32_e32 v1, 0xffff0000, v36
	s_delay_alu instid0(VALU_DEP_2) | instskip(NEXT) | instid1(VALU_DEP_2)
	v_add_f32_e32 v0, v31, v0
	v_fmac_f32_e32 v4, v138, v1
	v_and_b32_e32 v1, 0xffff0000, v33
	s_delay_alu instid0(VALU_DEP_1) | instskip(NEXT) | instid1(VALU_DEP_1)
	v_fmac_f32_e32 v5, v154, v1
	v_dual_add_f32 v0, v5, v0 :: v_dual_and_b32 v1, 0xffff0000, v19
	s_delay_alu instid0(VALU_DEP_1) | instskip(NEXT) | instid1(VALU_DEP_1)
	v_dual_fmac_f32 v4, v155, v1 :: v_dual_add_nc_u32 v1, v157, v158
	v_add_f32_e32 v0, v4, v0
	s_delay_alu instid0(VALU_DEP_2) | instskip(NEXT) | instid1(VALU_DEP_1)
	v_cvt_f32_i32_e32 v1, v1
	v_mul_f32_e32 v1, v53, v1
	s_delay_alu instid0(VALU_DEP_1) | instskip(NEXT) | instid1(VALU_DEP_1)
	v_cndmask_b32_e32 v1, 0, v1, vcc_lo
	v_fmac_f32_e32 v1, v0, v13
	scratch_load_b32 v0, off, s32 offset:328 ; 4-byte Folded Reload
	s_waitcnt vmcnt(0)
	v_add_nc_u32_e32 v0, v0, v158
	s_delay_alu instid0(VALU_DEP_1) | instskip(SKIP_2) | instid1(VALU_DEP_2)
	v_cmp_lt_i32_e64 s1, v0, v38
	s_waitcnt lgkmcnt(0)
	v_add_nc_u32_e32 v0, s21, v159
	v_cndmask_b32_e64 v2, 0, v1, s1
	ds_store_b32 v0, v2
	v_max_f32_e32 v0, v141, v141
	s_delay_alu instid0(VALU_DEP_1) | instskip(NEXT) | instid1(VALU_DEP_1)
	v_max_f32_e32 v0, v0, v1
	v_cndmask_b32_e64 v141, v141, v0, s1
.LBB444_12:                             ;   in Loop: Header=BB444_13 Depth=1
	s_or_b32 exec_lo, exec_lo, s2
	v_add_nc_u32_e32 v169, 4, v169
	v_add_co_u32 v28, s2, v28, 16
	s_delay_alu instid0(VALU_DEP_1) | instskip(NEXT) | instid1(VALU_DEP_3)
	v_add_co_ci_u32_e64 v29, s2, 0, v29, s2
	v_cmp_ge_i32_e64 s1, v169, v51
	v_add_nc_u32_e32 v158, 0x80, v158
	v_add_nc_u32_e32 v159, 0x200, v159
	s_delay_alu instid0(VALU_DEP_3) | instskip(NEXT) | instid1(SALU_CYCLE_1)
	s_or_b32 s20, s1, s20
	s_and_not1_b32 exec_lo, exec_lo, s20
	s_cbranch_execz .LBB444_1456
.LBB444_13:                             ; =>This Inner Loop Header: Depth=1
	s_delay_alu instid0(VALU_DEP_2) | instskip(NEXT) | instid1(VALU_DEP_1)
	v_sub_nc_u32_e32 v0, 0, v158
	v_max_i32_e32 v0, v158, v0
	s_delay_alu instid0(VALU_DEP_1) | instskip(NEXT) | instid1(VALU_DEP_1)
	v_mul_hi_u32 v1, v0, v49
	v_mul_lo_u32 v2, v1, v48
	s_delay_alu instid0(VALU_DEP_1) | instskip(SKIP_1) | instid1(VALU_DEP_2)
	v_sub_nc_u32_e32 v0, v0, v2
	v_add_nc_u32_e32 v2, 1, v1
	v_sub_nc_u32_e32 v3, v0, v48
	v_cmp_ge_u32_e64 s1, v0, v48
	s_delay_alu instid0(VALU_DEP_1) | instskip(NEXT) | instid1(VALU_DEP_3)
	v_cndmask_b32_e64 v1, v1, v2, s1
	v_cndmask_b32_e64 v0, v0, v3, s1
	v_ashrrev_i32_e32 v2, 31, v158
	s_delay_alu instid0(VALU_DEP_3) | instskip(NEXT) | instid1(VALU_DEP_3)
	v_add_nc_u32_e32 v3, 1, v1
	v_cmp_ge_u32_e64 s1, v0, v48
	s_delay_alu instid0(VALU_DEP_3) | instskip(NEXT) | instid1(VALU_DEP_2)
	v_xor_b32_e32 v2, v2, v50
	v_cndmask_b32_e64 v0, v1, v3, s1
	s_delay_alu instid0(VALU_DEP_1) | instskip(NEXT) | instid1(VALU_DEP_1)
	v_xor_b32_e32 v0, v0, v2
	v_sub_nc_u32_e32 v0, v0, v2
	s_delay_alu instid0(VALU_DEP_1) | instskip(SKIP_1) | instid1(VALU_DEP_2)
	v_add_nc_u32_e32 v1, v0, v16
	v_cmp_le_i32_e64 s2, v0, v52
	v_sub_nc_u32_e32 v2, 0, v1
	s_delay_alu instid0(VALU_DEP_1) | instskip(SKIP_1) | instid1(VALU_DEP_2)
	v_max_i32_e32 v2, v1, v2
	v_ashrrev_i32_e32 v1, 31, v1
	v_mul_hi_u32 v3, v2, v156
	s_delay_alu instid0(VALU_DEP_1) | instskip(NEXT) | instid1(VALU_DEP_1)
	v_mul_lo_u32 v3, v3, v110
	v_sub_nc_u32_e32 v2, v2, v3
	s_delay_alu instid0(VALU_DEP_1) | instskip(SKIP_1) | instid1(VALU_DEP_1)
	v_sub_nc_u32_e32 v3, v2, v110
	v_cmp_ge_u32_e64 s1, v2, v110
	v_cndmask_b32_e64 v2, v2, v3, s1
	s_delay_alu instid0(VALU_DEP_1) | instskip(SKIP_1) | instid1(VALU_DEP_1)
	v_sub_nc_u32_e32 v3, v2, v110
	v_cmp_ge_u32_e64 s1, v2, v110
	v_cndmask_b32_e64 v2, v2, v3, s1
	s_delay_alu instid0(VALU_DEP_1) | instskip(NEXT) | instid1(VALU_DEP_1)
	v_xor_b32_e32 v2, v2, v1
	v_sub_nc_u32_e32 v1, v2, v1
	s_delay_alu instid0(VALU_DEP_1) | instskip(NEXT) | instid1(VALU_DEP_1)
	v_cmp_ne_u32_e64 s1, 0, v1
	s_and_b32 s1, s1, s2
	s_delay_alu instid0(SALU_CYCLE_1) | instskip(NEXT) | instid1(SALU_CYCLE_1)
	s_and_saveexec_b32 s2, s1
	s_xor_b32 s1, exec_lo, s2
	s_cbranch_execz .LBB444_15
; %bb.14:                               ;   in Loop: Header=BB444_13 Depth=1
	v_add_nc_u32_e32 v0, s11, v159
	ds_store_b32 v0, v168
.LBB444_15:                             ;   in Loop: Header=BB444_13 Depth=1
	s_and_not1_saveexec_b32 s2, s1
	s_cbranch_execz .LBB444_12
; %bb.16:                               ;   in Loop: Header=BB444_13 Depth=1
	flat_load_b32 v0, v[28:29]
	s_mov_b32 s21, exec_lo
	s_waitcnt vmcnt(0) lgkmcnt(0)
	v_mad_i64_i32 v[31:32], null, v0, v22, v[8:9]
	flat_load_b64 v[33:34], v[31:32]
	flat_load_b32 v171, v[24:25]
	s_waitcnt vmcnt(1) lgkmcnt(1)
	v_dual_mov_b32 v0, 0 :: v_dual_and_b32 v1, 0xff, v33
	s_delay_alu instid0(VALU_DEP_1)
	v_cmpx_ne_u16_e32 0, v1
	s_cbranch_execz .LBB444_24
; %bb.17:                               ;   in Loop: Header=BB444_13 Depth=1
	v_bfrev_b32_e32 v0, 1
	s_mov_b32 s22, exec_lo
	v_cmpx_ne_u16_e32 0x80, v1
	s_cbranch_execz .LBB444_23
; %bb.18:                               ;   in Loop: Header=BB444_13 Depth=1
	v_and_b32_e32 v1, 0x7f, v33
	v_mov_b32_e32 v0, 0x7f800001
	s_mov_b32 s23, exec_lo
	s_delay_alu instid0(VALU_DEP_2)
	v_cmpx_ne_u32_e32 0x7f, v1
	s_cbranch_execz .LBB444_22
; %bb.19:                               ;   in Loop: Header=BB444_13 Depth=1
	v_lshrrev_b32_e32 v0, 3, v1
	v_dual_mov_b32 v36, v34 :: v_dual_mov_b32 v35, v33
	s_mov_b32 s24, exec_lo
	v_cmpx_gt_u32_e32 8, v1
; %bb.20:                               ;   in Loop: Header=BB444_13 Depth=1
	v_and_b32_e32 v0, 7, v33
	s_delay_alu instid0(VALU_DEP_1) | instskip(NEXT) | instid1(VALU_DEP_1)
	v_clz_i32_u32_e32 v0, v0
	v_min_u32_e32 v0, 32, v0
	s_delay_alu instid0(VALU_DEP_1) | instskip(SKIP_1) | instid1(VALU_DEP_2)
	v_subrev_nc_u32_e32 v1, 28, v0
	v_sub_nc_u32_e32 v0, 29, v0
	v_lshlrev_b64 v[35:36], v1, v[33:34]
; %bb.21:                               ;   in Loop: Header=BB444_13 Depth=1
	s_or_b32 exec_lo, exec_lo, s24
	s_delay_alu instid0(VALU_DEP_1) | instskip(SKIP_2) | instid1(VALU_DEP_3)
	v_lshlrev_b32_e32 v1, 20, v35
	v_lshlrev_b32_e32 v2, 24, v33
	v_lshl_add_u32 v0, v0, 23, 0x3c000000
	v_and_b32_e32 v1, 0x700000, v1
	s_delay_alu instid0(VALU_DEP_3) | instskip(NEXT) | instid1(VALU_DEP_1)
	v_and_b32_e32 v2, 0x80000000, v2
	v_or3_b32 v0, v1, v2, v0
.LBB444_22:                             ;   in Loop: Header=BB444_13 Depth=1
	s_or_b32 exec_lo, exec_lo, s23
.LBB444_23:                             ;   in Loop: Header=BB444_13 Depth=1
	s_delay_alu instid0(SALU_CYCLE_1)
	s_or_b32 exec_lo, exec_lo, s22
.LBB444_24:                             ;   in Loop: Header=BB444_13 Depth=1
	s_delay_alu instid0(SALU_CYCLE_1) | instskip(SKIP_2) | instid1(VALU_DEP_1)
	s_or_b32 exec_lo, exec_lo, s21
	s_waitcnt vmcnt(0) lgkmcnt(0)
	v_mul_f32_e32 v0, v171, v0
                                        ; implicit-def: $vgpr170
	v_and_b32_e32 v1, 0x7f800000, v0
	s_delay_alu instid0(VALU_DEP_1) | instskip(NEXT) | instid1(VALU_DEP_1)
	v_cmp_ne_u32_e64 s1, 0x7f800000, v1
	s_and_saveexec_b32 s21, s1
	s_delay_alu instid0(SALU_CYCLE_1)
	s_xor_b32 s1, exec_lo, s21
; %bb.25:                               ;   in Loop: Header=BB444_13 Depth=1
	v_bfe_u32 v1, v0, 16, 1
	s_delay_alu instid0(VALU_DEP_1)
	v_add3_u32 v170, v0, v1, 0x7fff
                                        ; implicit-def: $vgpr0
; %bb.26:                               ;   in Loop: Header=BB444_13 Depth=1
	s_and_not1_saveexec_b32 s21, s1
; %bb.27:                               ;   in Loop: Header=BB444_13 Depth=1
	v_and_b32_e32 v1, 0xffff, v0
	v_or_b32_e32 v2, 0x10000, v0
	s_delay_alu instid0(VALU_DEP_2) | instskip(NEXT) | instid1(VALU_DEP_1)
	v_cmp_eq_u32_e64 s1, 0, v1
	v_cndmask_b32_e64 v170, v2, v0, s1
; %bb.28:                               ;   in Loop: Header=BB444_13 Depth=1
	s_or_b32 exec_lo, exec_lo, s21
	v_lshrrev_b16 v1, 8, v33
	v_mov_b32_e32 v0, 0
	s_mov_b32 s21, exec_lo
	s_delay_alu instid0(VALU_DEP_2)
	v_cmpx_ne_u16_e32 0, v1
	s_cbranch_execz .LBB444_36
; %bb.29:                               ;   in Loop: Header=BB444_13 Depth=1
	v_bfrev_b32_e32 v0, 1
	s_mov_b32 s22, exec_lo
	v_cmpx_ne_u16_e32 0x80, v1
	s_cbranch_execz .LBB444_35
; %bb.30:                               ;   in Loop: Header=BB444_13 Depth=1
	v_and_b32_e32 v2, 0xffff, v1
	v_mov_b32_e32 v0, 0x7f800001
	s_mov_b32 s23, exec_lo
	s_delay_alu instid0(VALU_DEP_2) | instskip(NEXT) | instid1(VALU_DEP_1)
	v_and_b32_e32 v1, 0x7f, v2
	v_cmpx_ne_u32_e32 0x7f, v1
	s_cbranch_execz .LBB444_34
; %bb.31:                               ;   in Loop: Header=BB444_13 Depth=1
	v_and_b32_e32 v19, 7, v2
	v_lshrrev_b32_e32 v0, 3, v1
	v_mov_b32_e32 v36, v20
	s_mov_b32 s24, exec_lo
	s_delay_alu instid0(VALU_DEP_3)
	v_mov_b32_e32 v35, v19
	v_cmpx_gt_u32_e32 8, v1
; %bb.32:                               ;   in Loop: Header=BB444_13 Depth=1
	v_clz_i32_u32_e32 v0, v19
	s_delay_alu instid0(VALU_DEP_1) | instskip(NEXT) | instid1(VALU_DEP_1)
	v_min_u32_e32 v0, 32, v0
	v_subrev_nc_u32_e32 v1, 28, v0
	v_sub_nc_u32_e32 v0, 29, v0
	s_delay_alu instid0(VALU_DEP_2) | instskip(NEXT) | instid1(VALU_DEP_1)
	v_lshlrev_b64 v[1:2], v1, v[19:20]
	v_and_b32_e32 v35, 7, v1
; %bb.33:                               ;   in Loop: Header=BB444_13 Depth=1
	s_or_b32 exec_lo, exec_lo, s24
	v_lshlrev_b32_e32 v1, 16, v33
	s_delay_alu instid0(VALU_DEP_2) | instskip(SKIP_1) | instid1(VALU_DEP_3)
	v_lshlrev_b32_e32 v2, 20, v35
	v_lshl_add_u32 v0, v0, 23, 0x3c000000
	v_and_b32_e32 v1, 0x80000000, v1
	s_delay_alu instid0(VALU_DEP_1)
	v_or3_b32 v0, v2, v1, v0
.LBB444_34:                             ;   in Loop: Header=BB444_13 Depth=1
	s_or_b32 exec_lo, exec_lo, s23
.LBB444_35:                             ;   in Loop: Header=BB444_13 Depth=1
	s_delay_alu instid0(SALU_CYCLE_1)
	s_or_b32 exec_lo, exec_lo, s22
.LBB444_36:                             ;   in Loop: Header=BB444_13 Depth=1
	s_delay_alu instid0(SALU_CYCLE_1) | instskip(NEXT) | instid1(VALU_DEP_1)
	s_or_b32 exec_lo, exec_lo, s21
	v_mul_f32_e32 v0, v171, v0
                                        ; implicit-def: $vgpr172
	s_delay_alu instid0(VALU_DEP_1) | instskip(NEXT) | instid1(VALU_DEP_1)
	v_and_b32_e32 v1, 0x7f800000, v0
	v_cmp_ne_u32_e64 s1, 0x7f800000, v1
	s_delay_alu instid0(VALU_DEP_1) | instskip(NEXT) | instid1(SALU_CYCLE_1)
	s_and_saveexec_b32 s21, s1
	s_xor_b32 s1, exec_lo, s21
; %bb.37:                               ;   in Loop: Header=BB444_13 Depth=1
	v_bfe_u32 v1, v0, 16, 1
	s_delay_alu instid0(VALU_DEP_1)
	v_add3_u32 v172, v0, v1, 0x7fff
                                        ; implicit-def: $vgpr0
; %bb.38:                               ;   in Loop: Header=BB444_13 Depth=1
	s_and_not1_saveexec_b32 s21, s1
; %bb.39:                               ;   in Loop: Header=BB444_13 Depth=1
	v_and_b32_e32 v1, 0xffff, v0
	v_or_b32_e32 v2, 0x10000, v0
	s_delay_alu instid0(VALU_DEP_2) | instskip(NEXT) | instid1(VALU_DEP_1)
	v_cmp_eq_u32_e64 s1, 0, v1
	v_cndmask_b32_e64 v172, v2, v0, s1
; %bb.40:                               ;   in Loop: Header=BB444_13 Depth=1
	s_or_b32 exec_lo, exec_lo, s21
	v_lshrrev_b32_e32 v0, 16, v33
	s_mov_b32 s21, exec_lo
	s_delay_alu instid0(VALU_DEP_1) | instskip(NEXT) | instid1(VALU_DEP_1)
	v_dual_mov_b32 v1, 0 :: v_dual_and_b32 v2, 0xff, v0
	v_cmpx_ne_u16_e32 0, v2
	s_cbranch_execz .LBB444_48
; %bb.41:                               ;   in Loop: Header=BB444_13 Depth=1
	v_bfrev_b32_e32 v1, 1
	s_mov_b32 s22, exec_lo
	v_cmpx_ne_u16_e32 0x80, v2
	s_cbranch_execz .LBB444_47
; %bb.42:                               ;   in Loop: Header=BB444_13 Depth=1
	v_bfe_u32 v2, v33, 16, 7
	v_mov_b32_e32 v1, 0x7f800001
	s_mov_b32 s23, exec_lo
	s_delay_alu instid0(VALU_DEP_2)
	v_cmpx_ne_u32_e32 0x7f, v2
	s_cbranch_execz .LBB444_46
; %bb.43:                               ;   in Loop: Header=BB444_13 Depth=1
	v_and_b32_e32 v19, 7, v0
	v_lshrrev_b32_e32 v1, 3, v2
	v_mov_b32_e32 v36, v20
	s_mov_b32 s24, exec_lo
	s_delay_alu instid0(VALU_DEP_3)
	v_mov_b32_e32 v35, v19
	v_cmpx_gt_u32_e32 8, v2
; %bb.44:                               ;   in Loop: Header=BB444_13 Depth=1
	v_clz_i32_u32_e32 v1, v19
	s_delay_alu instid0(VALU_DEP_1) | instskip(NEXT) | instid1(VALU_DEP_1)
	v_min_u32_e32 v1, 32, v1
	v_subrev_nc_u32_e32 v2, 28, v1
	v_sub_nc_u32_e32 v1, 29, v1
	s_delay_alu instid0(VALU_DEP_2) | instskip(NEXT) | instid1(VALU_DEP_1)
	v_lshlrev_b64 v[2:3], v2, v[19:20]
	v_and_b32_e32 v35, 7, v2
; %bb.45:                               ;   in Loop: Header=BB444_13 Depth=1
	s_or_b32 exec_lo, exec_lo, s24
	v_lshlrev_b32_e32 v0, 24, v0
	s_delay_alu instid0(VALU_DEP_2) | instskip(SKIP_1) | instid1(VALU_DEP_3)
	v_lshlrev_b32_e32 v2, 20, v35
	v_lshl_add_u32 v1, v1, 23, 0x3c000000
	v_and_b32_e32 v0, 0x80000000, v0
	s_delay_alu instid0(VALU_DEP_1)
	v_or3_b32 v1, v2, v0, v1
.LBB444_46:                             ;   in Loop: Header=BB444_13 Depth=1
	s_or_b32 exec_lo, exec_lo, s23
.LBB444_47:                             ;   in Loop: Header=BB444_13 Depth=1
	s_delay_alu instid0(SALU_CYCLE_1)
	s_or_b32 exec_lo, exec_lo, s22
.LBB444_48:                             ;   in Loop: Header=BB444_13 Depth=1
	s_delay_alu instid0(SALU_CYCLE_1) | instskip(NEXT) | instid1(VALU_DEP_1)
	s_or_b32 exec_lo, exec_lo, s21
	v_mul_f32_e32 v0, v171, v1
                                        ; implicit-def: $vgpr173
	s_delay_alu instid0(VALU_DEP_1) | instskip(NEXT) | instid1(VALU_DEP_1)
	v_and_b32_e32 v1, 0x7f800000, v0
	v_cmp_ne_u32_e64 s1, 0x7f800000, v1
	s_delay_alu instid0(VALU_DEP_1) | instskip(NEXT) | instid1(SALU_CYCLE_1)
	s_and_saveexec_b32 s21, s1
	s_xor_b32 s1, exec_lo, s21
; %bb.49:                               ;   in Loop: Header=BB444_13 Depth=1
	v_bfe_u32 v1, v0, 16, 1
	s_delay_alu instid0(VALU_DEP_1)
	v_add3_u32 v173, v0, v1, 0x7fff
                                        ; implicit-def: $vgpr0
; %bb.50:                               ;   in Loop: Header=BB444_13 Depth=1
	s_and_not1_saveexec_b32 s21, s1
; %bb.51:                               ;   in Loop: Header=BB444_13 Depth=1
	v_and_b32_e32 v1, 0xffff, v0
	v_or_b32_e32 v2, 0x10000, v0
	s_delay_alu instid0(VALU_DEP_2) | instskip(NEXT) | instid1(VALU_DEP_1)
	v_cmp_eq_u32_e64 s1, 0, v1
	v_cndmask_b32_e64 v173, v2, v0, s1
; %bb.52:                               ;   in Loop: Header=BB444_13 Depth=1
	s_or_b32 exec_lo, exec_lo, s21
	v_mov_b32_e32 v1, 0
	s_mov_b32 s21, exec_lo
	v_cmpx_lt_u32_e32 0xffffff, v33
	s_cbranch_execz .LBB444_60
; %bb.53:                               ;   in Loop: Header=BB444_13 Depth=1
	v_lshrrev_b32_e32 v0, 24, v33
	v_bfrev_b32_e32 v1, 1
	s_mov_b32 s22, exec_lo
	s_delay_alu instid0(VALU_DEP_2)
	v_cmpx_ne_u32_e32 0x80, v0
	s_cbranch_execz .LBB444_59
; %bb.54:                               ;   in Loop: Header=BB444_13 Depth=1
	v_bfe_u32 v2, v33, 24, 7
	v_mov_b32_e32 v1, 0x7f800001
	s_mov_b32 s23, exec_lo
	s_delay_alu instid0(VALU_DEP_2)
	v_cmpx_ne_u32_e32 0x7f, v2
	s_cbranch_execz .LBB444_58
; %bb.55:                               ;   in Loop: Header=BB444_13 Depth=1
	v_and_b32_e32 v19, 7, v0
	v_lshrrev_b32_e32 v1, 3, v2
	v_mov_b32_e32 v36, v20
	s_mov_b32 s24, exec_lo
	s_delay_alu instid0(VALU_DEP_3)
	v_mov_b32_e32 v35, v19
	v_cmpx_gt_u32_e32 8, v2
; %bb.56:                               ;   in Loop: Header=BB444_13 Depth=1
	v_clz_i32_u32_e32 v1, v19
	s_delay_alu instid0(VALU_DEP_1) | instskip(NEXT) | instid1(VALU_DEP_1)
	v_min_u32_e32 v1, 32, v1
	v_subrev_nc_u32_e32 v2, 28, v1
	v_sub_nc_u32_e32 v1, 29, v1
	s_delay_alu instid0(VALU_DEP_2) | instskip(NEXT) | instid1(VALU_DEP_1)
	v_lshlrev_b64 v[2:3], v2, v[19:20]
	v_and_b32_e32 v35, 7, v2
; %bb.57:                               ;   in Loop: Header=BB444_13 Depth=1
	s_or_b32 exec_lo, exec_lo, s24
	v_lshlrev_b32_e32 v0, 24, v0
	s_delay_alu instid0(VALU_DEP_2) | instskip(SKIP_1) | instid1(VALU_DEP_3)
	v_lshlrev_b32_e32 v2, 20, v35
	v_lshl_add_u32 v1, v1, 23, 0x3c000000
	v_and_b32_e32 v0, 0x80000000, v0
	s_delay_alu instid0(VALU_DEP_1)
	v_or3_b32 v1, v2, v0, v1
.LBB444_58:                             ;   in Loop: Header=BB444_13 Depth=1
	s_or_b32 exec_lo, exec_lo, s23
.LBB444_59:                             ;   in Loop: Header=BB444_13 Depth=1
	s_delay_alu instid0(SALU_CYCLE_1)
	s_or_b32 exec_lo, exec_lo, s22
.LBB444_60:                             ;   in Loop: Header=BB444_13 Depth=1
	s_delay_alu instid0(SALU_CYCLE_1) | instskip(NEXT) | instid1(VALU_DEP_1)
	s_or_b32 exec_lo, exec_lo, s21
	v_mul_f32_e32 v0, v171, v1
                                        ; implicit-def: $vgpr174
	s_delay_alu instid0(VALU_DEP_1) | instskip(NEXT) | instid1(VALU_DEP_1)
	v_and_b32_e32 v1, 0x7f800000, v0
	v_cmp_ne_u32_e64 s1, 0x7f800000, v1
	s_delay_alu instid0(VALU_DEP_1) | instskip(NEXT) | instid1(SALU_CYCLE_1)
	s_and_saveexec_b32 s21, s1
	s_xor_b32 s1, exec_lo, s21
; %bb.61:                               ;   in Loop: Header=BB444_13 Depth=1
	v_bfe_u32 v1, v0, 16, 1
	s_delay_alu instid0(VALU_DEP_1)
	v_add3_u32 v174, v0, v1, 0x7fff
                                        ; implicit-def: $vgpr0
; %bb.62:                               ;   in Loop: Header=BB444_13 Depth=1
	s_and_not1_saveexec_b32 s21, s1
; %bb.63:                               ;   in Loop: Header=BB444_13 Depth=1
	v_and_b32_e32 v1, 0xffff, v0
	v_or_b32_e32 v2, 0x10000, v0
	s_delay_alu instid0(VALU_DEP_2) | instskip(NEXT) | instid1(VALU_DEP_1)
	v_cmp_eq_u32_e64 s1, 0, v1
	v_cndmask_b32_e64 v174, v2, v0, s1
; %bb.64:                               ;   in Loop: Header=BB444_13 Depth=1
	s_or_b32 exec_lo, exec_lo, s21
	v_dual_mov_b32 v0, 0 :: v_dual_and_b32 v1, 0xff, v34
	v_mov_b32_e32 v19, v34
	s_mov_b32 s21, exec_lo
	s_delay_alu instid0(VALU_DEP_2)
	v_cmpx_ne_u16_e32 0, v1
	s_cbranch_execz .LBB444_72
; %bb.65:                               ;   in Loop: Header=BB444_13 Depth=1
	v_bfrev_b32_e32 v0, 1
	s_mov_b32 s22, exec_lo
	v_cmpx_ne_u16_e32 0x80, v1
	s_cbranch_execz .LBB444_71
; %bb.66:                               ;   in Loop: Header=BB444_13 Depth=1
	v_and_b32_e32 v1, 0x7f, v34
	v_mov_b32_e32 v0, 0x7f800001
	s_mov_b32 s23, exec_lo
	s_delay_alu instid0(VALU_DEP_2)
	v_cmpx_ne_u32_e32 0x7f, v1
	s_cbranch_execz .LBB444_70
; %bb.67:                               ;   in Loop: Header=BB444_13 Depth=1
	v_lshrrev_b32_e32 v0, 3, v1
	v_dual_mov_b32 v36, v20 :: v_dual_mov_b32 v35, v19
	s_mov_b32 s24, exec_lo
	v_cmpx_gt_u32_e32 8, v1
; %bb.68:                               ;   in Loop: Header=BB444_13 Depth=1
	v_and_b32_e32 v0, 7, v34
	s_delay_alu instid0(VALU_DEP_1) | instskip(NEXT) | instid1(VALU_DEP_1)
	v_clz_i32_u32_e32 v0, v0
	v_min_u32_e32 v0, 32, v0
	s_delay_alu instid0(VALU_DEP_1) | instskip(SKIP_1) | instid1(VALU_DEP_2)
	v_subrev_nc_u32_e32 v1, 28, v0
	v_sub_nc_u32_e32 v0, 29, v0
	v_lshlrev_b64 v[35:36], v1, v[19:20]
; %bb.69:                               ;   in Loop: Header=BB444_13 Depth=1
	s_or_b32 exec_lo, exec_lo, s24
	s_delay_alu instid0(VALU_DEP_1) | instskip(SKIP_2) | instid1(VALU_DEP_3)
	v_lshlrev_b32_e32 v1, 20, v35
	v_lshlrev_b32_e32 v2, 24, v19
	v_lshl_add_u32 v0, v0, 23, 0x3c000000
	v_and_b32_e32 v1, 0x700000, v1
	s_delay_alu instid0(VALU_DEP_3) | instskip(NEXT) | instid1(VALU_DEP_1)
	v_and_b32_e32 v2, 0x80000000, v2
	v_or3_b32 v0, v1, v2, v0
.LBB444_70:                             ;   in Loop: Header=BB444_13 Depth=1
	s_or_b32 exec_lo, exec_lo, s23
.LBB444_71:                             ;   in Loop: Header=BB444_13 Depth=1
	s_delay_alu instid0(SALU_CYCLE_1)
	s_or_b32 exec_lo, exec_lo, s22
.LBB444_72:                             ;   in Loop: Header=BB444_13 Depth=1
	s_delay_alu instid0(SALU_CYCLE_1) | instskip(NEXT) | instid1(VALU_DEP_1)
	s_or_b32 exec_lo, exec_lo, s21
	v_mul_f32_e32 v0, v171, v0
                                        ; implicit-def: $vgpr175
	s_delay_alu instid0(VALU_DEP_1) | instskip(NEXT) | instid1(VALU_DEP_1)
	v_and_b32_e32 v1, 0x7f800000, v0
	v_cmp_ne_u32_e64 s1, 0x7f800000, v1
	s_delay_alu instid0(VALU_DEP_1) | instskip(NEXT) | instid1(SALU_CYCLE_1)
	s_and_saveexec_b32 s21, s1
	s_xor_b32 s1, exec_lo, s21
; %bb.73:                               ;   in Loop: Header=BB444_13 Depth=1
	v_bfe_u32 v1, v0, 16, 1
	s_delay_alu instid0(VALU_DEP_1)
	v_add3_u32 v175, v0, v1, 0x7fff
                                        ; implicit-def: $vgpr0
; %bb.74:                               ;   in Loop: Header=BB444_13 Depth=1
	s_and_not1_saveexec_b32 s21, s1
; %bb.75:                               ;   in Loop: Header=BB444_13 Depth=1
	v_and_b32_e32 v1, 0xffff, v0
	v_or_b32_e32 v2, 0x10000, v0
	s_delay_alu instid0(VALU_DEP_2) | instskip(NEXT) | instid1(VALU_DEP_1)
	v_cmp_eq_u32_e64 s1, 0, v1
	v_cndmask_b32_e64 v175, v2, v0, s1
; %bb.76:                               ;   in Loop: Header=BB444_13 Depth=1
	s_or_b32 exec_lo, exec_lo, s21
	v_lshrrev_b16 v1, 8, v19
	v_mov_b32_e32 v0, 0
	s_mov_b32 s21, exec_lo
	s_delay_alu instid0(VALU_DEP_2)
	v_cmpx_ne_u16_e32 0, v1
	s_cbranch_execz .LBB444_84
; %bb.77:                               ;   in Loop: Header=BB444_13 Depth=1
	v_bfrev_b32_e32 v0, 1
	s_mov_b32 s22, exec_lo
	v_cmpx_ne_u16_e32 0x80, v1
	s_cbranch_execz .LBB444_83
; %bb.78:                               ;   in Loop: Header=BB444_13 Depth=1
	v_and_b32_e32 v2, 0xffff, v1
	v_mov_b32_e32 v0, 0x7f800001
	s_mov_b32 s23, exec_lo
	s_delay_alu instid0(VALU_DEP_2) | instskip(NEXT) | instid1(VALU_DEP_1)
	v_and_b32_e32 v1, 0x7f, v2
	v_cmpx_ne_u32_e32 0x7f, v1
	s_cbranch_execz .LBB444_82
; %bb.79:                               ;   in Loop: Header=BB444_13 Depth=1
	v_dual_mov_b32 v36, v20 :: v_dual_and_b32 v35, 7, v2
	v_lshrrev_b32_e32 v0, 3, v1
	s_mov_b32 s24, exec_lo
	v_cmpx_gt_u32_e32 8, v1
; %bb.80:                               ;   in Loop: Header=BB444_13 Depth=1
	s_delay_alu instid0(VALU_DEP_3) | instskip(NEXT) | instid1(VALU_DEP_1)
	v_clz_i32_u32_e32 v0, v35
	v_min_u32_e32 v0, 32, v0
	s_delay_alu instid0(VALU_DEP_1) | instskip(SKIP_1) | instid1(VALU_DEP_2)
	v_subrev_nc_u32_e32 v1, 28, v0
	v_sub_nc_u32_e32 v0, 29, v0
	v_lshlrev_b64 v[1:2], v1, v[35:36]
	s_delay_alu instid0(VALU_DEP_1)
	v_and_b32_e32 v35, 7, v1
; %bb.81:                               ;   in Loop: Header=BB444_13 Depth=1
	s_or_b32 exec_lo, exec_lo, s24
	v_lshlrev_b32_e32 v1, 16, v19
	s_delay_alu instid0(VALU_DEP_2) | instskip(SKIP_1) | instid1(VALU_DEP_3)
	v_lshlrev_b32_e32 v2, 20, v35
	v_lshl_add_u32 v0, v0, 23, 0x3c000000
	v_and_b32_e32 v1, 0x80000000, v1
	s_delay_alu instid0(VALU_DEP_1)
	v_or3_b32 v0, v2, v1, v0
.LBB444_82:                             ;   in Loop: Header=BB444_13 Depth=1
	s_or_b32 exec_lo, exec_lo, s23
.LBB444_83:                             ;   in Loop: Header=BB444_13 Depth=1
	s_delay_alu instid0(SALU_CYCLE_1)
	s_or_b32 exec_lo, exec_lo, s22
.LBB444_84:                             ;   in Loop: Header=BB444_13 Depth=1
	s_delay_alu instid0(SALU_CYCLE_1) | instskip(NEXT) | instid1(VALU_DEP_1)
	s_or_b32 exec_lo, exec_lo, s21
	v_mul_f32_e32 v0, v171, v0
                                        ; implicit-def: $vgpr184
	s_delay_alu instid0(VALU_DEP_1) | instskip(NEXT) | instid1(VALU_DEP_1)
	v_and_b32_e32 v1, 0x7f800000, v0
	v_cmp_ne_u32_e64 s1, 0x7f800000, v1
	s_delay_alu instid0(VALU_DEP_1) | instskip(NEXT) | instid1(SALU_CYCLE_1)
	s_and_saveexec_b32 s21, s1
	s_xor_b32 s1, exec_lo, s21
; %bb.85:                               ;   in Loop: Header=BB444_13 Depth=1
	v_bfe_u32 v1, v0, 16, 1
	s_delay_alu instid0(VALU_DEP_1)
	v_add3_u32 v184, v0, v1, 0x7fff
                                        ; implicit-def: $vgpr0
; %bb.86:                               ;   in Loop: Header=BB444_13 Depth=1
	s_and_not1_saveexec_b32 s21, s1
; %bb.87:                               ;   in Loop: Header=BB444_13 Depth=1
	v_and_b32_e32 v1, 0xffff, v0
	v_or_b32_e32 v2, 0x10000, v0
	s_delay_alu instid0(VALU_DEP_2) | instskip(NEXT) | instid1(VALU_DEP_1)
	v_cmp_eq_u32_e64 s1, 0, v1
	v_cndmask_b32_e64 v184, v2, v0, s1
; %bb.88:                               ;   in Loop: Header=BB444_13 Depth=1
	s_or_b32 exec_lo, exec_lo, s21
	v_lshrrev_b32_e32 v0, 16, v34
	s_mov_b32 s21, exec_lo
	s_delay_alu instid0(VALU_DEP_1) | instskip(NEXT) | instid1(VALU_DEP_1)
	v_dual_mov_b32 v1, 0 :: v_dual_and_b32 v2, 0xff, v0
	v_cmpx_ne_u16_e32 0, v2
	s_cbranch_execz .LBB444_96
; %bb.89:                               ;   in Loop: Header=BB444_13 Depth=1
	v_bfrev_b32_e32 v1, 1
	s_mov_b32 s22, exec_lo
	v_cmpx_ne_u16_e32 0x80, v2
	s_cbranch_execz .LBB444_95
; %bb.90:                               ;   in Loop: Header=BB444_13 Depth=1
	v_bfe_u32 v2, v34, 16, 7
	v_mov_b32_e32 v1, 0x7f800001
	s_mov_b32 s23, exec_lo
	s_delay_alu instid0(VALU_DEP_2)
	v_cmpx_ne_u32_e32 0x7f, v2
	s_cbranch_execz .LBB444_94
; %bb.91:                               ;   in Loop: Header=BB444_13 Depth=1
	v_and_b32_e32 v19, 7, v0
	v_lshrrev_b32_e32 v1, 3, v2
	v_mov_b32_e32 v36, v20
	s_mov_b32 s24, exec_lo
	s_delay_alu instid0(VALU_DEP_3)
	v_mov_b32_e32 v35, v19
	v_cmpx_gt_u32_e32 8, v2
; %bb.92:                               ;   in Loop: Header=BB444_13 Depth=1
	v_clz_i32_u32_e32 v1, v19
	s_delay_alu instid0(VALU_DEP_1) | instskip(NEXT) | instid1(VALU_DEP_1)
	v_min_u32_e32 v1, 32, v1
	v_subrev_nc_u32_e32 v2, 28, v1
	v_sub_nc_u32_e32 v1, 29, v1
	s_delay_alu instid0(VALU_DEP_2) | instskip(NEXT) | instid1(VALU_DEP_1)
	v_lshlrev_b64 v[2:3], v2, v[19:20]
	v_and_b32_e32 v35, 7, v2
; %bb.93:                               ;   in Loop: Header=BB444_13 Depth=1
	s_or_b32 exec_lo, exec_lo, s24
	v_lshlrev_b32_e32 v0, 24, v0
	s_delay_alu instid0(VALU_DEP_2) | instskip(SKIP_1) | instid1(VALU_DEP_3)
	v_lshlrev_b32_e32 v2, 20, v35
	v_lshl_add_u32 v1, v1, 23, 0x3c000000
	v_and_b32_e32 v0, 0x80000000, v0
	s_delay_alu instid0(VALU_DEP_1)
	v_or3_b32 v1, v2, v0, v1
.LBB444_94:                             ;   in Loop: Header=BB444_13 Depth=1
	s_or_b32 exec_lo, exec_lo, s23
.LBB444_95:                             ;   in Loop: Header=BB444_13 Depth=1
	s_delay_alu instid0(SALU_CYCLE_1)
	s_or_b32 exec_lo, exec_lo, s22
.LBB444_96:                             ;   in Loop: Header=BB444_13 Depth=1
	s_delay_alu instid0(SALU_CYCLE_1) | instskip(NEXT) | instid1(VALU_DEP_1)
	s_or_b32 exec_lo, exec_lo, s21
	v_mul_f32_e32 v0, v171, v1
                                        ; implicit-def: $vgpr185
	s_delay_alu instid0(VALU_DEP_1) | instskip(NEXT) | instid1(VALU_DEP_1)
	v_and_b32_e32 v1, 0x7f800000, v0
	v_cmp_ne_u32_e64 s1, 0x7f800000, v1
	s_delay_alu instid0(VALU_DEP_1) | instskip(NEXT) | instid1(SALU_CYCLE_1)
	s_and_saveexec_b32 s21, s1
	s_xor_b32 s1, exec_lo, s21
; %bb.97:                               ;   in Loop: Header=BB444_13 Depth=1
	v_bfe_u32 v1, v0, 16, 1
	s_delay_alu instid0(VALU_DEP_1)
	v_add3_u32 v185, v0, v1, 0x7fff
                                        ; implicit-def: $vgpr0
; %bb.98:                               ;   in Loop: Header=BB444_13 Depth=1
	s_and_not1_saveexec_b32 s21, s1
; %bb.99:                               ;   in Loop: Header=BB444_13 Depth=1
	v_and_b32_e32 v1, 0xffff, v0
	v_or_b32_e32 v2, 0x10000, v0
	s_delay_alu instid0(VALU_DEP_2) | instskip(NEXT) | instid1(VALU_DEP_1)
	v_cmp_eq_u32_e64 s1, 0, v1
	v_cndmask_b32_e64 v185, v2, v0, s1
; %bb.100:                              ;   in Loop: Header=BB444_13 Depth=1
	s_or_b32 exec_lo, exec_lo, s21
	v_mov_b32_e32 v1, 0
	s_mov_b32 s21, exec_lo
	v_cmpx_lt_u64_e64 s[16:17], v[33:34]
	s_cbranch_execz .LBB444_108
; %bb.101:                              ;   in Loop: Header=BB444_13 Depth=1
	v_lshrrev_b32_e32 v0, 24, v34
	v_bfrev_b32_e32 v1, 1
	s_mov_b32 s22, exec_lo
	s_delay_alu instid0(VALU_DEP_2)
	v_cmpx_ne_u32_e32 0x80, v0
	s_cbranch_execz .LBB444_107
; %bb.102:                              ;   in Loop: Header=BB444_13 Depth=1
	v_bfe_u32 v2, v34, 24, 7
	v_mov_b32_e32 v1, 0x7f800001
	s_mov_b32 s23, exec_lo
	s_delay_alu instid0(VALU_DEP_2)
	v_cmpx_ne_u32_e32 0x7f, v2
	s_cbranch_execz .LBB444_106
; %bb.103:                              ;   in Loop: Header=BB444_13 Depth=1
	v_and_b32_e32 v19, 7, v0
	v_lshrrev_b32_e32 v1, 3, v2
	v_mov_b32_e32 v34, v20
	s_mov_b32 s24, exec_lo
	s_delay_alu instid0(VALU_DEP_3)
	v_mov_b32_e32 v33, v19
	v_cmpx_gt_u32_e32 8, v2
; %bb.104:                              ;   in Loop: Header=BB444_13 Depth=1
	v_clz_i32_u32_e32 v1, v19
	s_delay_alu instid0(VALU_DEP_1) | instskip(NEXT) | instid1(VALU_DEP_1)
	v_min_u32_e32 v1, 32, v1
	v_subrev_nc_u32_e32 v2, 28, v1
	v_sub_nc_u32_e32 v1, 29, v1
	s_delay_alu instid0(VALU_DEP_2) | instskip(NEXT) | instid1(VALU_DEP_1)
	v_lshlrev_b64 v[2:3], v2, v[19:20]
	v_and_b32_e32 v33, 7, v2
; %bb.105:                              ;   in Loop: Header=BB444_13 Depth=1
	s_or_b32 exec_lo, exec_lo, s24
	v_lshlrev_b32_e32 v0, 24, v0
	s_delay_alu instid0(VALU_DEP_2) | instskip(SKIP_1) | instid1(VALU_DEP_3)
	v_lshlrev_b32_e32 v2, 20, v33
	v_lshl_add_u32 v1, v1, 23, 0x3c000000
	v_and_b32_e32 v0, 0x80000000, v0
	s_delay_alu instid0(VALU_DEP_1)
	v_or3_b32 v1, v2, v0, v1
.LBB444_106:                            ;   in Loop: Header=BB444_13 Depth=1
	s_or_b32 exec_lo, exec_lo, s23
.LBB444_107:                            ;   in Loop: Header=BB444_13 Depth=1
	s_delay_alu instid0(SALU_CYCLE_1)
	s_or_b32 exec_lo, exec_lo, s22
.LBB444_108:                            ;   in Loop: Header=BB444_13 Depth=1
	s_delay_alu instid0(SALU_CYCLE_1) | instskip(NEXT) | instid1(VALU_DEP_1)
	s_or_b32 exec_lo, exec_lo, s21
	v_mul_f32_e32 v0, v171, v1
                                        ; implicit-def: $vgpr186
	s_delay_alu instid0(VALU_DEP_1) | instskip(NEXT) | instid1(VALU_DEP_1)
	v_and_b32_e32 v1, 0x7f800000, v0
	v_cmp_ne_u32_e64 s1, 0x7f800000, v1
	s_delay_alu instid0(VALU_DEP_1) | instskip(NEXT) | instid1(SALU_CYCLE_1)
	s_and_saveexec_b32 s21, s1
	s_xor_b32 s1, exec_lo, s21
; %bb.109:                              ;   in Loop: Header=BB444_13 Depth=1
	v_bfe_u32 v1, v0, 16, 1
	s_delay_alu instid0(VALU_DEP_1)
	v_add3_u32 v186, v0, v1, 0x7fff
                                        ; implicit-def: $vgpr0
; %bb.110:                              ;   in Loop: Header=BB444_13 Depth=1
	s_and_not1_saveexec_b32 s21, s1
; %bb.111:                              ;   in Loop: Header=BB444_13 Depth=1
	v_and_b32_e32 v1, 0xffff, v0
	v_or_b32_e32 v2, 0x10000, v0
	s_delay_alu instid0(VALU_DEP_2) | instskip(NEXT) | instid1(VALU_DEP_1)
	v_cmp_eq_u32_e64 s1, 0, v1
	v_cndmask_b32_e64 v186, v2, v0, s1
; %bb.112:                              ;   in Loop: Header=BB444_13 Depth=1
	s_or_b32 exec_lo, exec_lo, s21
	flat_load_b64 v[33:34], v[31:32] offset:8
	s_mov_b32 s21, exec_lo
	s_waitcnt vmcnt(0) lgkmcnt(0)
	v_dual_mov_b32 v0, 0 :: v_dual_and_b32 v1, 0xff, v33
	s_delay_alu instid0(VALU_DEP_1)
	v_cmpx_ne_u16_e32 0, v1
	s_cbranch_execz .LBB444_120
; %bb.113:                              ;   in Loop: Header=BB444_13 Depth=1
	v_bfrev_b32_e32 v0, 1
	s_mov_b32 s22, exec_lo
	v_cmpx_ne_u16_e32 0x80, v1
	s_cbranch_execz .LBB444_119
; %bb.114:                              ;   in Loop: Header=BB444_13 Depth=1
	v_and_b32_e32 v1, 0x7f, v33
	v_mov_b32_e32 v0, 0x7f800001
	s_mov_b32 s23, exec_lo
	s_delay_alu instid0(VALU_DEP_2)
	v_cmpx_ne_u32_e32 0x7f, v1
	s_cbranch_execz .LBB444_118
; %bb.115:                              ;   in Loop: Header=BB444_13 Depth=1
	v_lshrrev_b32_e32 v0, 3, v1
	v_dual_mov_b32 v36, v34 :: v_dual_mov_b32 v35, v33
	s_mov_b32 s24, exec_lo
	v_cmpx_gt_u32_e32 8, v1
; %bb.116:                              ;   in Loop: Header=BB444_13 Depth=1
	v_and_b32_e32 v0, 7, v33
	s_delay_alu instid0(VALU_DEP_1) | instskip(NEXT) | instid1(VALU_DEP_1)
	v_clz_i32_u32_e32 v0, v0
	v_min_u32_e32 v0, 32, v0
	s_delay_alu instid0(VALU_DEP_1) | instskip(SKIP_1) | instid1(VALU_DEP_2)
	v_subrev_nc_u32_e32 v1, 28, v0
	v_sub_nc_u32_e32 v0, 29, v0
	v_lshlrev_b64 v[35:36], v1, v[33:34]
; %bb.117:                              ;   in Loop: Header=BB444_13 Depth=1
	s_or_b32 exec_lo, exec_lo, s24
	s_delay_alu instid0(VALU_DEP_1) | instskip(SKIP_2) | instid1(VALU_DEP_3)
	v_lshlrev_b32_e32 v1, 20, v35
	v_lshlrev_b32_e32 v2, 24, v33
	v_lshl_add_u32 v0, v0, 23, 0x3c000000
	v_and_b32_e32 v1, 0x700000, v1
	s_delay_alu instid0(VALU_DEP_3) | instskip(NEXT) | instid1(VALU_DEP_1)
	v_and_b32_e32 v2, 0x80000000, v2
	v_or3_b32 v0, v1, v2, v0
.LBB444_118:                            ;   in Loop: Header=BB444_13 Depth=1
	s_or_b32 exec_lo, exec_lo, s23
.LBB444_119:                            ;   in Loop: Header=BB444_13 Depth=1
	s_delay_alu instid0(SALU_CYCLE_1)
	s_or_b32 exec_lo, exec_lo, s22
.LBB444_120:                            ;   in Loop: Header=BB444_13 Depth=1
	s_delay_alu instid0(SALU_CYCLE_1) | instskip(NEXT) | instid1(VALU_DEP_1)
	s_or_b32 exec_lo, exec_lo, s21
	v_mul_f32_e32 v0, v171, v0
                                        ; implicit-def: $vgpr187
	s_delay_alu instid0(VALU_DEP_1) | instskip(NEXT) | instid1(VALU_DEP_1)
	v_and_b32_e32 v1, 0x7f800000, v0
	v_cmp_ne_u32_e64 s1, 0x7f800000, v1
	s_delay_alu instid0(VALU_DEP_1) | instskip(NEXT) | instid1(SALU_CYCLE_1)
	s_and_saveexec_b32 s21, s1
	s_xor_b32 s1, exec_lo, s21
; %bb.121:                              ;   in Loop: Header=BB444_13 Depth=1
	v_bfe_u32 v1, v0, 16, 1
	s_delay_alu instid0(VALU_DEP_1)
	v_add3_u32 v187, v0, v1, 0x7fff
                                        ; implicit-def: $vgpr0
; %bb.122:                              ;   in Loop: Header=BB444_13 Depth=1
	s_and_not1_saveexec_b32 s21, s1
; %bb.123:                              ;   in Loop: Header=BB444_13 Depth=1
	v_and_b32_e32 v1, 0xffff, v0
	v_or_b32_e32 v2, 0x10000, v0
	s_delay_alu instid0(VALU_DEP_2) | instskip(NEXT) | instid1(VALU_DEP_1)
	v_cmp_eq_u32_e64 s1, 0, v1
	v_cndmask_b32_e64 v187, v2, v0, s1
; %bb.124:                              ;   in Loop: Header=BB444_13 Depth=1
	s_or_b32 exec_lo, exec_lo, s21
	v_lshrrev_b16 v1, 8, v33
	v_mov_b32_e32 v0, 0
	s_mov_b32 s21, exec_lo
	s_delay_alu instid0(VALU_DEP_2)
	v_cmpx_ne_u16_e32 0, v1
	s_cbranch_execz .LBB444_132
; %bb.125:                              ;   in Loop: Header=BB444_13 Depth=1
	v_bfrev_b32_e32 v0, 1
	s_mov_b32 s22, exec_lo
	v_cmpx_ne_u16_e32 0x80, v1
	s_cbranch_execz .LBB444_131
; %bb.126:                              ;   in Loop: Header=BB444_13 Depth=1
	v_and_b32_e32 v2, 0xffff, v1
	v_mov_b32_e32 v0, 0x7f800001
	s_mov_b32 s23, exec_lo
	s_delay_alu instid0(VALU_DEP_2) | instskip(NEXT) | instid1(VALU_DEP_1)
	v_and_b32_e32 v1, 0x7f, v2
	v_cmpx_ne_u32_e32 0x7f, v1
	s_cbranch_execz .LBB444_130
; %bb.127:                              ;   in Loop: Header=BB444_13 Depth=1
	v_and_b32_e32 v19, 7, v2
	v_lshrrev_b32_e32 v0, 3, v1
	v_mov_b32_e32 v36, v20
	s_mov_b32 s24, exec_lo
	s_delay_alu instid0(VALU_DEP_3)
	v_mov_b32_e32 v35, v19
	v_cmpx_gt_u32_e32 8, v1
; %bb.128:                              ;   in Loop: Header=BB444_13 Depth=1
	v_clz_i32_u32_e32 v0, v19
	s_delay_alu instid0(VALU_DEP_1) | instskip(NEXT) | instid1(VALU_DEP_1)
	v_min_u32_e32 v0, 32, v0
	v_subrev_nc_u32_e32 v1, 28, v0
	v_sub_nc_u32_e32 v0, 29, v0
	s_delay_alu instid0(VALU_DEP_2) | instskip(NEXT) | instid1(VALU_DEP_1)
	v_lshlrev_b64 v[1:2], v1, v[19:20]
	v_and_b32_e32 v35, 7, v1
; %bb.129:                              ;   in Loop: Header=BB444_13 Depth=1
	s_or_b32 exec_lo, exec_lo, s24
	v_lshlrev_b32_e32 v1, 16, v33
	s_delay_alu instid0(VALU_DEP_2) | instskip(SKIP_1) | instid1(VALU_DEP_3)
	v_lshlrev_b32_e32 v2, 20, v35
	v_lshl_add_u32 v0, v0, 23, 0x3c000000
	v_and_b32_e32 v1, 0x80000000, v1
	s_delay_alu instid0(VALU_DEP_1)
	v_or3_b32 v0, v2, v1, v0
.LBB444_130:                            ;   in Loop: Header=BB444_13 Depth=1
	s_or_b32 exec_lo, exec_lo, s23
.LBB444_131:                            ;   in Loop: Header=BB444_13 Depth=1
	s_delay_alu instid0(SALU_CYCLE_1)
	s_or_b32 exec_lo, exec_lo, s22
.LBB444_132:                            ;   in Loop: Header=BB444_13 Depth=1
	s_delay_alu instid0(SALU_CYCLE_1) | instskip(NEXT) | instid1(VALU_DEP_1)
	s_or_b32 exec_lo, exec_lo, s21
	v_mul_f32_e32 v0, v171, v0
                                        ; implicit-def: $vgpr188
	s_delay_alu instid0(VALU_DEP_1) | instskip(NEXT) | instid1(VALU_DEP_1)
	v_and_b32_e32 v1, 0x7f800000, v0
	v_cmp_ne_u32_e64 s1, 0x7f800000, v1
	s_delay_alu instid0(VALU_DEP_1) | instskip(NEXT) | instid1(SALU_CYCLE_1)
	s_and_saveexec_b32 s21, s1
	s_xor_b32 s1, exec_lo, s21
; %bb.133:                              ;   in Loop: Header=BB444_13 Depth=1
	v_bfe_u32 v1, v0, 16, 1
	s_delay_alu instid0(VALU_DEP_1)
	v_add3_u32 v188, v0, v1, 0x7fff
                                        ; implicit-def: $vgpr0
; %bb.134:                              ;   in Loop: Header=BB444_13 Depth=1
	s_and_not1_saveexec_b32 s21, s1
; %bb.135:                              ;   in Loop: Header=BB444_13 Depth=1
	v_and_b32_e32 v1, 0xffff, v0
	v_or_b32_e32 v2, 0x10000, v0
	s_delay_alu instid0(VALU_DEP_2) | instskip(NEXT) | instid1(VALU_DEP_1)
	v_cmp_eq_u32_e64 s1, 0, v1
	v_cndmask_b32_e64 v188, v2, v0, s1
; %bb.136:                              ;   in Loop: Header=BB444_13 Depth=1
	s_or_b32 exec_lo, exec_lo, s21
	v_lshrrev_b32_e32 v0, 16, v33
	s_mov_b32 s21, exec_lo
	s_delay_alu instid0(VALU_DEP_1) | instskip(NEXT) | instid1(VALU_DEP_1)
	v_dual_mov_b32 v1, 0 :: v_dual_and_b32 v2, 0xff, v0
	v_cmpx_ne_u16_e32 0, v2
	s_cbranch_execz .LBB444_144
; %bb.137:                              ;   in Loop: Header=BB444_13 Depth=1
	v_bfrev_b32_e32 v1, 1
	s_mov_b32 s22, exec_lo
	v_cmpx_ne_u16_e32 0x80, v2
	s_cbranch_execz .LBB444_143
; %bb.138:                              ;   in Loop: Header=BB444_13 Depth=1
	v_bfe_u32 v2, v33, 16, 7
	v_mov_b32_e32 v1, 0x7f800001
	s_mov_b32 s23, exec_lo
	s_delay_alu instid0(VALU_DEP_2)
	v_cmpx_ne_u32_e32 0x7f, v2
	s_cbranch_execz .LBB444_142
; %bb.139:                              ;   in Loop: Header=BB444_13 Depth=1
	v_and_b32_e32 v19, 7, v0
	v_lshrrev_b32_e32 v1, 3, v2
	v_mov_b32_e32 v36, v20
	s_mov_b32 s24, exec_lo
	s_delay_alu instid0(VALU_DEP_3)
	v_mov_b32_e32 v35, v19
	v_cmpx_gt_u32_e32 8, v2
; %bb.140:                              ;   in Loop: Header=BB444_13 Depth=1
	v_clz_i32_u32_e32 v1, v19
	s_delay_alu instid0(VALU_DEP_1) | instskip(NEXT) | instid1(VALU_DEP_1)
	v_min_u32_e32 v1, 32, v1
	v_subrev_nc_u32_e32 v2, 28, v1
	v_sub_nc_u32_e32 v1, 29, v1
	s_delay_alu instid0(VALU_DEP_2) | instskip(NEXT) | instid1(VALU_DEP_1)
	v_lshlrev_b64 v[2:3], v2, v[19:20]
	v_and_b32_e32 v35, 7, v2
; %bb.141:                              ;   in Loop: Header=BB444_13 Depth=1
	s_or_b32 exec_lo, exec_lo, s24
	v_lshlrev_b32_e32 v0, 24, v0
	s_delay_alu instid0(VALU_DEP_2) | instskip(SKIP_1) | instid1(VALU_DEP_3)
	v_lshlrev_b32_e32 v2, 20, v35
	v_lshl_add_u32 v1, v1, 23, 0x3c000000
	v_and_b32_e32 v0, 0x80000000, v0
	s_delay_alu instid0(VALU_DEP_1)
	v_or3_b32 v1, v2, v0, v1
.LBB444_142:                            ;   in Loop: Header=BB444_13 Depth=1
	s_or_b32 exec_lo, exec_lo, s23
.LBB444_143:                            ;   in Loop: Header=BB444_13 Depth=1
	s_delay_alu instid0(SALU_CYCLE_1)
	s_or_b32 exec_lo, exec_lo, s22
.LBB444_144:                            ;   in Loop: Header=BB444_13 Depth=1
	s_delay_alu instid0(SALU_CYCLE_1) | instskip(NEXT) | instid1(VALU_DEP_1)
	s_or_b32 exec_lo, exec_lo, s21
	v_mul_f32_e32 v0, v171, v1
                                        ; implicit-def: $vgpr189
	s_delay_alu instid0(VALU_DEP_1) | instskip(NEXT) | instid1(VALU_DEP_1)
	v_and_b32_e32 v1, 0x7f800000, v0
	v_cmp_ne_u32_e64 s1, 0x7f800000, v1
	s_delay_alu instid0(VALU_DEP_1) | instskip(NEXT) | instid1(SALU_CYCLE_1)
	s_and_saveexec_b32 s21, s1
	s_xor_b32 s1, exec_lo, s21
; %bb.145:                              ;   in Loop: Header=BB444_13 Depth=1
	v_bfe_u32 v1, v0, 16, 1
	s_delay_alu instid0(VALU_DEP_1)
	v_add3_u32 v189, v0, v1, 0x7fff
                                        ; implicit-def: $vgpr0
; %bb.146:                              ;   in Loop: Header=BB444_13 Depth=1
	s_and_not1_saveexec_b32 s21, s1
; %bb.147:                              ;   in Loop: Header=BB444_13 Depth=1
	v_and_b32_e32 v1, 0xffff, v0
	v_or_b32_e32 v2, 0x10000, v0
	s_delay_alu instid0(VALU_DEP_2) | instskip(NEXT) | instid1(VALU_DEP_1)
	v_cmp_eq_u32_e64 s1, 0, v1
	v_cndmask_b32_e64 v189, v2, v0, s1
; %bb.148:                              ;   in Loop: Header=BB444_13 Depth=1
	s_or_b32 exec_lo, exec_lo, s21
	v_mov_b32_e32 v1, 0
	s_mov_b32 s21, exec_lo
	v_cmpx_lt_u32_e32 0xffffff, v33
	s_cbranch_execz .LBB444_156
; %bb.149:                              ;   in Loop: Header=BB444_13 Depth=1
	v_lshrrev_b32_e32 v0, 24, v33
	v_bfrev_b32_e32 v1, 1
	s_mov_b32 s22, exec_lo
	s_delay_alu instid0(VALU_DEP_2)
	v_cmpx_ne_u32_e32 0x80, v0
	s_cbranch_execz .LBB444_155
; %bb.150:                              ;   in Loop: Header=BB444_13 Depth=1
	v_bfe_u32 v2, v33, 24, 7
	v_mov_b32_e32 v1, 0x7f800001
	s_mov_b32 s23, exec_lo
	s_delay_alu instid0(VALU_DEP_2)
	v_cmpx_ne_u32_e32 0x7f, v2
	s_cbranch_execz .LBB444_154
; %bb.151:                              ;   in Loop: Header=BB444_13 Depth=1
	v_and_b32_e32 v19, 7, v0
	v_lshrrev_b32_e32 v1, 3, v2
	v_mov_b32_e32 v36, v20
	s_mov_b32 s24, exec_lo
	s_delay_alu instid0(VALU_DEP_3)
	v_mov_b32_e32 v35, v19
	v_cmpx_gt_u32_e32 8, v2
; %bb.152:                              ;   in Loop: Header=BB444_13 Depth=1
	v_clz_i32_u32_e32 v1, v19
	s_delay_alu instid0(VALU_DEP_1) | instskip(NEXT) | instid1(VALU_DEP_1)
	v_min_u32_e32 v1, 32, v1
	v_subrev_nc_u32_e32 v2, 28, v1
	v_sub_nc_u32_e32 v1, 29, v1
	s_delay_alu instid0(VALU_DEP_2) | instskip(NEXT) | instid1(VALU_DEP_1)
	v_lshlrev_b64 v[2:3], v2, v[19:20]
	v_and_b32_e32 v35, 7, v2
; %bb.153:                              ;   in Loop: Header=BB444_13 Depth=1
	s_or_b32 exec_lo, exec_lo, s24
	v_lshlrev_b32_e32 v0, 24, v0
	s_delay_alu instid0(VALU_DEP_2) | instskip(SKIP_1) | instid1(VALU_DEP_3)
	v_lshlrev_b32_e32 v2, 20, v35
	v_lshl_add_u32 v1, v1, 23, 0x3c000000
	v_and_b32_e32 v0, 0x80000000, v0
	s_delay_alu instid0(VALU_DEP_1)
	v_or3_b32 v1, v2, v0, v1
.LBB444_154:                            ;   in Loop: Header=BB444_13 Depth=1
	s_or_b32 exec_lo, exec_lo, s23
.LBB444_155:                            ;   in Loop: Header=BB444_13 Depth=1
	s_delay_alu instid0(SALU_CYCLE_1)
	s_or_b32 exec_lo, exec_lo, s22
.LBB444_156:                            ;   in Loop: Header=BB444_13 Depth=1
	s_delay_alu instid0(SALU_CYCLE_1) | instskip(NEXT) | instid1(VALU_DEP_1)
	s_or_b32 exec_lo, exec_lo, s21
	v_mul_f32_e32 v0, v171, v1
                                        ; implicit-def: $vgpr190
	s_delay_alu instid0(VALU_DEP_1) | instskip(NEXT) | instid1(VALU_DEP_1)
	v_and_b32_e32 v1, 0x7f800000, v0
	v_cmp_ne_u32_e64 s1, 0x7f800000, v1
	s_delay_alu instid0(VALU_DEP_1) | instskip(NEXT) | instid1(SALU_CYCLE_1)
	s_and_saveexec_b32 s21, s1
	s_xor_b32 s1, exec_lo, s21
; %bb.157:                              ;   in Loop: Header=BB444_13 Depth=1
	v_bfe_u32 v1, v0, 16, 1
	s_delay_alu instid0(VALU_DEP_1)
	v_add3_u32 v190, v0, v1, 0x7fff
                                        ; implicit-def: $vgpr0
; %bb.158:                              ;   in Loop: Header=BB444_13 Depth=1
	s_and_not1_saveexec_b32 s21, s1
; %bb.159:                              ;   in Loop: Header=BB444_13 Depth=1
	v_and_b32_e32 v1, 0xffff, v0
	v_or_b32_e32 v2, 0x10000, v0
	s_delay_alu instid0(VALU_DEP_2) | instskip(NEXT) | instid1(VALU_DEP_1)
	v_cmp_eq_u32_e64 s1, 0, v1
	v_cndmask_b32_e64 v190, v2, v0, s1
; %bb.160:                              ;   in Loop: Header=BB444_13 Depth=1
	s_or_b32 exec_lo, exec_lo, s21
	v_dual_mov_b32 v0, 0 :: v_dual_and_b32 v1, 0xff, v34
	v_mov_b32_e32 v19, v34
	s_mov_b32 s21, exec_lo
	s_delay_alu instid0(VALU_DEP_2)
	v_cmpx_ne_u16_e32 0, v1
	s_cbranch_execz .LBB444_168
; %bb.161:                              ;   in Loop: Header=BB444_13 Depth=1
	v_bfrev_b32_e32 v0, 1
	s_mov_b32 s22, exec_lo
	v_cmpx_ne_u16_e32 0x80, v1
	s_cbranch_execz .LBB444_167
; %bb.162:                              ;   in Loop: Header=BB444_13 Depth=1
	v_and_b32_e32 v1, 0x7f, v34
	v_mov_b32_e32 v0, 0x7f800001
	s_mov_b32 s23, exec_lo
	s_delay_alu instid0(VALU_DEP_2)
	v_cmpx_ne_u32_e32 0x7f, v1
	s_cbranch_execz .LBB444_166
; %bb.163:                              ;   in Loop: Header=BB444_13 Depth=1
	v_lshrrev_b32_e32 v0, 3, v1
	v_dual_mov_b32 v36, v20 :: v_dual_mov_b32 v35, v19
	s_mov_b32 s24, exec_lo
	v_cmpx_gt_u32_e32 8, v1
; %bb.164:                              ;   in Loop: Header=BB444_13 Depth=1
	v_and_b32_e32 v0, 7, v34
	s_delay_alu instid0(VALU_DEP_1) | instskip(NEXT) | instid1(VALU_DEP_1)
	v_clz_i32_u32_e32 v0, v0
	v_min_u32_e32 v0, 32, v0
	s_delay_alu instid0(VALU_DEP_1) | instskip(SKIP_1) | instid1(VALU_DEP_2)
	v_subrev_nc_u32_e32 v1, 28, v0
	v_sub_nc_u32_e32 v0, 29, v0
	v_lshlrev_b64 v[35:36], v1, v[19:20]
; %bb.165:                              ;   in Loop: Header=BB444_13 Depth=1
	s_or_b32 exec_lo, exec_lo, s24
	s_delay_alu instid0(VALU_DEP_1) | instskip(SKIP_2) | instid1(VALU_DEP_3)
	v_lshlrev_b32_e32 v1, 20, v35
	v_lshlrev_b32_e32 v2, 24, v19
	v_lshl_add_u32 v0, v0, 23, 0x3c000000
	v_and_b32_e32 v1, 0x700000, v1
	s_delay_alu instid0(VALU_DEP_3) | instskip(NEXT) | instid1(VALU_DEP_1)
	v_and_b32_e32 v2, 0x80000000, v2
	v_or3_b32 v0, v1, v2, v0
.LBB444_166:                            ;   in Loop: Header=BB444_13 Depth=1
	s_or_b32 exec_lo, exec_lo, s23
.LBB444_167:                            ;   in Loop: Header=BB444_13 Depth=1
	s_delay_alu instid0(SALU_CYCLE_1)
	s_or_b32 exec_lo, exec_lo, s22
.LBB444_168:                            ;   in Loop: Header=BB444_13 Depth=1
	s_delay_alu instid0(SALU_CYCLE_1) | instskip(NEXT) | instid1(VALU_DEP_1)
	s_or_b32 exec_lo, exec_lo, s21
	v_mul_f32_e32 v0, v171, v0
                                        ; implicit-def: $vgpr191
	s_delay_alu instid0(VALU_DEP_1) | instskip(NEXT) | instid1(VALU_DEP_1)
	v_and_b32_e32 v1, 0x7f800000, v0
	v_cmp_ne_u32_e64 s1, 0x7f800000, v1
	s_delay_alu instid0(VALU_DEP_1) | instskip(NEXT) | instid1(SALU_CYCLE_1)
	s_and_saveexec_b32 s21, s1
	s_xor_b32 s1, exec_lo, s21
; %bb.169:                              ;   in Loop: Header=BB444_13 Depth=1
	v_bfe_u32 v1, v0, 16, 1
	s_delay_alu instid0(VALU_DEP_1)
	v_add3_u32 v191, v0, v1, 0x7fff
                                        ; implicit-def: $vgpr0
; %bb.170:                              ;   in Loop: Header=BB444_13 Depth=1
	s_and_not1_saveexec_b32 s21, s1
; %bb.171:                              ;   in Loop: Header=BB444_13 Depth=1
	v_and_b32_e32 v1, 0xffff, v0
	v_or_b32_e32 v2, 0x10000, v0
	s_delay_alu instid0(VALU_DEP_2) | instskip(NEXT) | instid1(VALU_DEP_1)
	v_cmp_eq_u32_e64 s1, 0, v1
	v_cndmask_b32_e64 v191, v2, v0, s1
; %bb.172:                              ;   in Loop: Header=BB444_13 Depth=1
	s_or_b32 exec_lo, exec_lo, s21
	v_lshrrev_b16 v1, 8, v19
	v_mov_b32_e32 v0, 0
	s_mov_b32 s21, exec_lo
	s_delay_alu instid0(VALU_DEP_2)
	v_cmpx_ne_u16_e32 0, v1
	s_cbranch_execz .LBB444_180
; %bb.173:                              ;   in Loop: Header=BB444_13 Depth=1
	v_bfrev_b32_e32 v0, 1
	s_mov_b32 s22, exec_lo
	v_cmpx_ne_u16_e32 0x80, v1
	s_cbranch_execz .LBB444_179
; %bb.174:                              ;   in Loop: Header=BB444_13 Depth=1
	v_and_b32_e32 v2, 0xffff, v1
	v_mov_b32_e32 v0, 0x7f800001
	s_mov_b32 s23, exec_lo
	s_delay_alu instid0(VALU_DEP_2) | instskip(NEXT) | instid1(VALU_DEP_1)
	v_and_b32_e32 v1, 0x7f, v2
	v_cmpx_ne_u32_e32 0x7f, v1
	s_cbranch_execz .LBB444_178
; %bb.175:                              ;   in Loop: Header=BB444_13 Depth=1
	v_dual_mov_b32 v36, v20 :: v_dual_and_b32 v35, 7, v2
	v_lshrrev_b32_e32 v0, 3, v1
	s_mov_b32 s24, exec_lo
	v_cmpx_gt_u32_e32 8, v1
; %bb.176:                              ;   in Loop: Header=BB444_13 Depth=1
	s_delay_alu instid0(VALU_DEP_3) | instskip(NEXT) | instid1(VALU_DEP_1)
	v_clz_i32_u32_e32 v0, v35
	v_min_u32_e32 v0, 32, v0
	s_delay_alu instid0(VALU_DEP_1) | instskip(SKIP_1) | instid1(VALU_DEP_2)
	v_subrev_nc_u32_e32 v1, 28, v0
	v_sub_nc_u32_e32 v0, 29, v0
	v_lshlrev_b64 v[1:2], v1, v[35:36]
	s_delay_alu instid0(VALU_DEP_1)
	v_and_b32_e32 v35, 7, v1
; %bb.177:                              ;   in Loop: Header=BB444_13 Depth=1
	s_or_b32 exec_lo, exec_lo, s24
	v_lshlrev_b32_e32 v1, 16, v19
	s_delay_alu instid0(VALU_DEP_2) | instskip(SKIP_1) | instid1(VALU_DEP_3)
	v_lshlrev_b32_e32 v2, 20, v35
	v_lshl_add_u32 v0, v0, 23, 0x3c000000
	v_and_b32_e32 v1, 0x80000000, v1
	s_delay_alu instid0(VALU_DEP_1)
	v_or3_b32 v0, v2, v1, v0
.LBB444_178:                            ;   in Loop: Header=BB444_13 Depth=1
	s_or_b32 exec_lo, exec_lo, s23
.LBB444_179:                            ;   in Loop: Header=BB444_13 Depth=1
	s_delay_alu instid0(SALU_CYCLE_1)
	s_or_b32 exec_lo, exec_lo, s22
.LBB444_180:                            ;   in Loop: Header=BB444_13 Depth=1
	s_delay_alu instid0(SALU_CYCLE_1) | instskip(NEXT) | instid1(VALU_DEP_1)
	s_or_b32 exec_lo, exec_lo, s21
	v_mul_f32_e32 v0, v171, v0
                                        ; implicit-def: $vgpr68
	s_delay_alu instid0(VALU_DEP_1) | instskip(NEXT) | instid1(VALU_DEP_1)
	v_and_b32_e32 v1, 0x7f800000, v0
	v_cmp_ne_u32_e64 s1, 0x7f800000, v1
	s_delay_alu instid0(VALU_DEP_1) | instskip(NEXT) | instid1(SALU_CYCLE_1)
	s_and_saveexec_b32 s21, s1
	s_xor_b32 s1, exec_lo, s21
; %bb.181:                              ;   in Loop: Header=BB444_13 Depth=1
	v_bfe_u32 v1, v0, 16, 1
	s_delay_alu instid0(VALU_DEP_1)
	v_add3_u32 v68, v0, v1, 0x7fff
                                        ; implicit-def: $vgpr0
; %bb.182:                              ;   in Loop: Header=BB444_13 Depth=1
	s_and_not1_saveexec_b32 s21, s1
; %bb.183:                              ;   in Loop: Header=BB444_13 Depth=1
	v_and_b32_e32 v1, 0xffff, v0
	v_or_b32_e32 v2, 0x10000, v0
	s_delay_alu instid0(VALU_DEP_2) | instskip(NEXT) | instid1(VALU_DEP_1)
	v_cmp_eq_u32_e64 s1, 0, v1
	v_cndmask_b32_e64 v68, v2, v0, s1
; %bb.184:                              ;   in Loop: Header=BB444_13 Depth=1
	s_or_b32 exec_lo, exec_lo, s21
	v_lshrrev_b32_e32 v0, 16, v34
	s_mov_b32 s21, exec_lo
	s_delay_alu instid0(VALU_DEP_1) | instskip(NEXT) | instid1(VALU_DEP_1)
	v_dual_mov_b32 v1, 0 :: v_dual_and_b32 v2, 0xff, v0
	v_cmpx_ne_u16_e32 0, v2
	s_cbranch_execz .LBB444_192
; %bb.185:                              ;   in Loop: Header=BB444_13 Depth=1
	v_bfrev_b32_e32 v1, 1
	s_mov_b32 s22, exec_lo
	v_cmpx_ne_u16_e32 0x80, v2
	s_cbranch_execz .LBB444_191
; %bb.186:                              ;   in Loop: Header=BB444_13 Depth=1
	v_bfe_u32 v2, v34, 16, 7
	v_mov_b32_e32 v1, 0x7f800001
	s_mov_b32 s23, exec_lo
	s_delay_alu instid0(VALU_DEP_2)
	v_cmpx_ne_u32_e32 0x7f, v2
	s_cbranch_execz .LBB444_190
; %bb.187:                              ;   in Loop: Header=BB444_13 Depth=1
	v_and_b32_e32 v19, 7, v0
	v_lshrrev_b32_e32 v1, 3, v2
	v_mov_b32_e32 v36, v20
	s_mov_b32 s24, exec_lo
	s_delay_alu instid0(VALU_DEP_3)
	v_mov_b32_e32 v35, v19
	v_cmpx_gt_u32_e32 8, v2
; %bb.188:                              ;   in Loop: Header=BB444_13 Depth=1
	v_clz_i32_u32_e32 v1, v19
	s_delay_alu instid0(VALU_DEP_1) | instskip(NEXT) | instid1(VALU_DEP_1)
	v_min_u32_e32 v1, 32, v1
	v_subrev_nc_u32_e32 v2, 28, v1
	v_sub_nc_u32_e32 v1, 29, v1
	s_delay_alu instid0(VALU_DEP_2) | instskip(NEXT) | instid1(VALU_DEP_1)
	v_lshlrev_b64 v[2:3], v2, v[19:20]
	v_and_b32_e32 v35, 7, v2
; %bb.189:                              ;   in Loop: Header=BB444_13 Depth=1
	s_or_b32 exec_lo, exec_lo, s24
	v_lshlrev_b32_e32 v0, 24, v0
	s_delay_alu instid0(VALU_DEP_2) | instskip(SKIP_1) | instid1(VALU_DEP_3)
	v_lshlrev_b32_e32 v2, 20, v35
	v_lshl_add_u32 v1, v1, 23, 0x3c000000
	v_and_b32_e32 v0, 0x80000000, v0
	s_delay_alu instid0(VALU_DEP_1)
	v_or3_b32 v1, v2, v0, v1
.LBB444_190:                            ;   in Loop: Header=BB444_13 Depth=1
	s_or_b32 exec_lo, exec_lo, s23
.LBB444_191:                            ;   in Loop: Header=BB444_13 Depth=1
	s_delay_alu instid0(SALU_CYCLE_1)
	s_or_b32 exec_lo, exec_lo, s22
.LBB444_192:                            ;   in Loop: Header=BB444_13 Depth=1
	s_delay_alu instid0(SALU_CYCLE_1) | instskip(NEXT) | instid1(VALU_DEP_1)
	s_or_b32 exec_lo, exec_lo, s21
	v_mul_f32_e32 v0, v171, v1
                                        ; implicit-def: $vgpr5
	s_delay_alu instid0(VALU_DEP_1) | instskip(NEXT) | instid1(VALU_DEP_1)
	v_and_b32_e32 v1, 0x7f800000, v0
	v_cmp_ne_u32_e64 s1, 0x7f800000, v1
	s_delay_alu instid0(VALU_DEP_1) | instskip(NEXT) | instid1(SALU_CYCLE_1)
	s_and_saveexec_b32 s21, s1
	s_xor_b32 s1, exec_lo, s21
; %bb.193:                              ;   in Loop: Header=BB444_13 Depth=1
	v_bfe_u32 v1, v0, 16, 1
	s_delay_alu instid0(VALU_DEP_1)
	v_add3_u32 v5, v0, v1, 0x7fff
                                        ; implicit-def: $vgpr0
; %bb.194:                              ;   in Loop: Header=BB444_13 Depth=1
	s_and_not1_saveexec_b32 s21, s1
; %bb.195:                              ;   in Loop: Header=BB444_13 Depth=1
	v_and_b32_e32 v1, 0xffff, v0
	v_or_b32_e32 v2, 0x10000, v0
	s_delay_alu instid0(VALU_DEP_2) | instskip(NEXT) | instid1(VALU_DEP_1)
	v_cmp_eq_u32_e64 s1, 0, v1
	v_cndmask_b32_e64 v5, v2, v0, s1
; %bb.196:                              ;   in Loop: Header=BB444_13 Depth=1
	s_or_b32 exec_lo, exec_lo, s21
	v_mov_b32_e32 v1, 0
	s_mov_b32 s21, exec_lo
	v_cmpx_lt_u64_e64 s[16:17], v[33:34]
	s_cbranch_execz .LBB444_204
; %bb.197:                              ;   in Loop: Header=BB444_13 Depth=1
	v_lshrrev_b32_e32 v0, 24, v34
	v_bfrev_b32_e32 v1, 1
	s_mov_b32 s22, exec_lo
	s_delay_alu instid0(VALU_DEP_2)
	v_cmpx_ne_u32_e32 0x80, v0
	s_cbranch_execz .LBB444_203
; %bb.198:                              ;   in Loop: Header=BB444_13 Depth=1
	v_bfe_u32 v2, v34, 24, 7
	v_mov_b32_e32 v1, 0x7f800001
	s_mov_b32 s23, exec_lo
	s_delay_alu instid0(VALU_DEP_2)
	v_cmpx_ne_u32_e32 0x7f, v2
	s_cbranch_execz .LBB444_202
; %bb.199:                              ;   in Loop: Header=BB444_13 Depth=1
	v_and_b32_e32 v19, 7, v0
	v_lshrrev_b32_e32 v1, 3, v2
	v_mov_b32_e32 v34, v20
	s_mov_b32 s24, exec_lo
	s_delay_alu instid0(VALU_DEP_3)
	v_mov_b32_e32 v33, v19
	v_cmpx_gt_u32_e32 8, v2
; %bb.200:                              ;   in Loop: Header=BB444_13 Depth=1
	v_clz_i32_u32_e32 v1, v19
	s_delay_alu instid0(VALU_DEP_1) | instskip(NEXT) | instid1(VALU_DEP_1)
	v_min_u32_e32 v1, 32, v1
	v_subrev_nc_u32_e32 v2, 28, v1
	v_sub_nc_u32_e32 v1, 29, v1
	s_delay_alu instid0(VALU_DEP_2) | instskip(NEXT) | instid1(VALU_DEP_1)
	v_lshlrev_b64 v[2:3], v2, v[19:20]
	v_and_b32_e32 v33, 7, v2
; %bb.201:                              ;   in Loop: Header=BB444_13 Depth=1
	s_or_b32 exec_lo, exec_lo, s24
	v_lshlrev_b32_e32 v0, 24, v0
	s_delay_alu instid0(VALU_DEP_2) | instskip(SKIP_1) | instid1(VALU_DEP_3)
	v_lshlrev_b32_e32 v2, 20, v33
	v_lshl_add_u32 v1, v1, 23, 0x3c000000
	v_and_b32_e32 v0, 0x80000000, v0
	s_delay_alu instid0(VALU_DEP_1)
	v_or3_b32 v1, v2, v0, v1
.LBB444_202:                            ;   in Loop: Header=BB444_13 Depth=1
	s_or_b32 exec_lo, exec_lo, s23
.LBB444_203:                            ;   in Loop: Header=BB444_13 Depth=1
	s_delay_alu instid0(SALU_CYCLE_1)
	s_or_b32 exec_lo, exec_lo, s22
.LBB444_204:                            ;   in Loop: Header=BB444_13 Depth=1
	s_delay_alu instid0(SALU_CYCLE_1) | instskip(NEXT) | instid1(VALU_DEP_1)
	s_or_b32 exec_lo, exec_lo, s21
	v_mul_f32_e32 v0, v171, v1
                                        ; implicit-def: $vgpr4
	s_delay_alu instid0(VALU_DEP_1) | instskip(NEXT) | instid1(VALU_DEP_1)
	v_and_b32_e32 v1, 0x7f800000, v0
	v_cmp_ne_u32_e64 s1, 0x7f800000, v1
	s_delay_alu instid0(VALU_DEP_1) | instskip(NEXT) | instid1(SALU_CYCLE_1)
	s_and_saveexec_b32 s21, s1
	s_xor_b32 s1, exec_lo, s21
; %bb.205:                              ;   in Loop: Header=BB444_13 Depth=1
	v_bfe_u32 v1, v0, 16, 1
	s_delay_alu instid0(VALU_DEP_1)
	v_add3_u32 v4, v0, v1, 0x7fff
                                        ; implicit-def: $vgpr0
; %bb.206:                              ;   in Loop: Header=BB444_13 Depth=1
	s_and_not1_saveexec_b32 s21, s1
; %bb.207:                              ;   in Loop: Header=BB444_13 Depth=1
	v_and_b32_e32 v1, 0xffff, v0
	v_or_b32_e32 v2, 0x10000, v0
	s_delay_alu instid0(VALU_DEP_2) | instskip(NEXT) | instid1(VALU_DEP_1)
	v_cmp_eq_u32_e64 s1, 0, v1
	v_cndmask_b32_e64 v4, v2, v0, s1
; %bb.208:                              ;   in Loop: Header=BB444_13 Depth=1
	s_or_b32 exec_lo, exec_lo, s21
	flat_load_b64 v[33:34], v[31:32] offset:512
	s_mov_b32 s21, exec_lo
	s_waitcnt vmcnt(0) lgkmcnt(0)
	v_dual_mov_b32 v0, 0 :: v_dual_and_b32 v1, 0xff, v33
	s_delay_alu instid0(VALU_DEP_1)
	v_cmpx_ne_u16_e32 0, v1
	s_cbranch_execz .LBB444_216
; %bb.209:                              ;   in Loop: Header=BB444_13 Depth=1
	v_bfrev_b32_e32 v0, 1
	s_mov_b32 s22, exec_lo
	v_cmpx_ne_u16_e32 0x80, v1
	s_cbranch_execz .LBB444_215
; %bb.210:                              ;   in Loop: Header=BB444_13 Depth=1
	v_and_b32_e32 v1, 0x7f, v33
	v_mov_b32_e32 v0, 0x7f800001
	s_mov_b32 s23, exec_lo
	s_delay_alu instid0(VALU_DEP_2)
	v_cmpx_ne_u32_e32 0x7f, v1
	s_cbranch_execz .LBB444_214
; %bb.211:                              ;   in Loop: Header=BB444_13 Depth=1
	v_lshrrev_b32_e32 v0, 3, v1
	v_dual_mov_b32 v36, v34 :: v_dual_mov_b32 v35, v33
	s_mov_b32 s24, exec_lo
	v_cmpx_gt_u32_e32 8, v1
; %bb.212:                              ;   in Loop: Header=BB444_13 Depth=1
	v_and_b32_e32 v0, 7, v33
	s_delay_alu instid0(VALU_DEP_1) | instskip(NEXT) | instid1(VALU_DEP_1)
	v_clz_i32_u32_e32 v0, v0
	v_min_u32_e32 v0, 32, v0
	s_delay_alu instid0(VALU_DEP_1) | instskip(SKIP_1) | instid1(VALU_DEP_2)
	v_subrev_nc_u32_e32 v1, 28, v0
	v_sub_nc_u32_e32 v0, 29, v0
	v_lshlrev_b64 v[35:36], v1, v[33:34]
; %bb.213:                              ;   in Loop: Header=BB444_13 Depth=1
	s_or_b32 exec_lo, exec_lo, s24
	s_delay_alu instid0(VALU_DEP_1) | instskip(SKIP_2) | instid1(VALU_DEP_3)
	v_lshlrev_b32_e32 v1, 20, v35
	v_lshlrev_b32_e32 v2, 24, v33
	v_lshl_add_u32 v0, v0, 23, 0x3c000000
	v_and_b32_e32 v1, 0x700000, v1
	s_delay_alu instid0(VALU_DEP_3) | instskip(NEXT) | instid1(VALU_DEP_1)
	v_and_b32_e32 v2, 0x80000000, v2
	v_or3_b32 v0, v1, v2, v0
.LBB444_214:                            ;   in Loop: Header=BB444_13 Depth=1
	s_or_b32 exec_lo, exec_lo, s23
.LBB444_215:                            ;   in Loop: Header=BB444_13 Depth=1
	s_delay_alu instid0(SALU_CYCLE_1)
	s_or_b32 exec_lo, exec_lo, s22
.LBB444_216:                            ;   in Loop: Header=BB444_13 Depth=1
	s_delay_alu instid0(SALU_CYCLE_1) | instskip(NEXT) | instid1(VALU_DEP_1)
	s_or_b32 exec_lo, exec_lo, s21
	v_mul_f32_e32 v0, v171, v0
                                        ; implicit-def: $vgpr69
	s_delay_alu instid0(VALU_DEP_1) | instskip(NEXT) | instid1(VALU_DEP_1)
	v_and_b32_e32 v1, 0x7f800000, v0
	v_cmp_ne_u32_e64 s1, 0x7f800000, v1
	s_delay_alu instid0(VALU_DEP_1) | instskip(NEXT) | instid1(SALU_CYCLE_1)
	s_and_saveexec_b32 s21, s1
	s_xor_b32 s1, exec_lo, s21
; %bb.217:                              ;   in Loop: Header=BB444_13 Depth=1
	v_bfe_u32 v1, v0, 16, 1
	s_delay_alu instid0(VALU_DEP_1)
	v_add3_u32 v69, v0, v1, 0x7fff
                                        ; implicit-def: $vgpr0
; %bb.218:                              ;   in Loop: Header=BB444_13 Depth=1
	s_and_not1_saveexec_b32 s21, s1
; %bb.219:                              ;   in Loop: Header=BB444_13 Depth=1
	v_and_b32_e32 v1, 0xffff, v0
	v_or_b32_e32 v2, 0x10000, v0
	s_delay_alu instid0(VALU_DEP_2) | instskip(NEXT) | instid1(VALU_DEP_1)
	v_cmp_eq_u32_e64 s1, 0, v1
	v_cndmask_b32_e64 v69, v2, v0, s1
; %bb.220:                              ;   in Loop: Header=BB444_13 Depth=1
	s_or_b32 exec_lo, exec_lo, s21
	v_lshrrev_b16 v1, 8, v33
	v_mov_b32_e32 v0, 0
	s_mov_b32 s21, exec_lo
	s_delay_alu instid0(VALU_DEP_2)
	v_cmpx_ne_u16_e32 0, v1
	s_cbranch_execz .LBB444_228
; %bb.221:                              ;   in Loop: Header=BB444_13 Depth=1
	v_bfrev_b32_e32 v0, 1
	s_mov_b32 s22, exec_lo
	v_cmpx_ne_u16_e32 0x80, v1
	s_cbranch_execz .LBB444_227
; %bb.222:                              ;   in Loop: Header=BB444_13 Depth=1
	v_and_b32_e32 v2, 0xffff, v1
	v_mov_b32_e32 v0, 0x7f800001
	s_mov_b32 s23, exec_lo
	s_delay_alu instid0(VALU_DEP_2) | instskip(NEXT) | instid1(VALU_DEP_1)
	v_and_b32_e32 v1, 0x7f, v2
	v_cmpx_ne_u32_e32 0x7f, v1
	s_cbranch_execz .LBB444_226
; %bb.223:                              ;   in Loop: Header=BB444_13 Depth=1
	v_and_b32_e32 v19, 7, v2
	v_lshrrev_b32_e32 v0, 3, v1
	v_mov_b32_e32 v36, v20
	s_mov_b32 s24, exec_lo
	s_delay_alu instid0(VALU_DEP_3)
	v_mov_b32_e32 v35, v19
	v_cmpx_gt_u32_e32 8, v1
; %bb.224:                              ;   in Loop: Header=BB444_13 Depth=1
	v_clz_i32_u32_e32 v0, v19
	s_delay_alu instid0(VALU_DEP_1) | instskip(NEXT) | instid1(VALU_DEP_1)
	v_min_u32_e32 v0, 32, v0
	v_subrev_nc_u32_e32 v1, 28, v0
	v_sub_nc_u32_e32 v0, 29, v0
	s_delay_alu instid0(VALU_DEP_2) | instskip(NEXT) | instid1(VALU_DEP_1)
	v_lshlrev_b64 v[1:2], v1, v[19:20]
	v_and_b32_e32 v35, 7, v1
; %bb.225:                              ;   in Loop: Header=BB444_13 Depth=1
	s_or_b32 exec_lo, exec_lo, s24
	v_lshlrev_b32_e32 v1, 16, v33
	s_delay_alu instid0(VALU_DEP_2) | instskip(SKIP_1) | instid1(VALU_DEP_3)
	v_lshlrev_b32_e32 v2, 20, v35
	v_lshl_add_u32 v0, v0, 23, 0x3c000000
	v_and_b32_e32 v1, 0x80000000, v1
	s_delay_alu instid0(VALU_DEP_1)
	v_or3_b32 v0, v2, v1, v0
.LBB444_226:                            ;   in Loop: Header=BB444_13 Depth=1
	s_or_b32 exec_lo, exec_lo, s23
.LBB444_227:                            ;   in Loop: Header=BB444_13 Depth=1
	s_delay_alu instid0(SALU_CYCLE_1)
	s_or_b32 exec_lo, exec_lo, s22
.LBB444_228:                            ;   in Loop: Header=BB444_13 Depth=1
	s_delay_alu instid0(SALU_CYCLE_1) | instskip(NEXT) | instid1(VALU_DEP_1)
	s_or_b32 exec_lo, exec_lo, s21
	v_mul_f32_e32 v0, v171, v0
                                        ; implicit-def: $vgpr67
	s_delay_alu instid0(VALU_DEP_1) | instskip(NEXT) | instid1(VALU_DEP_1)
	v_and_b32_e32 v1, 0x7f800000, v0
	v_cmp_ne_u32_e64 s1, 0x7f800000, v1
	s_delay_alu instid0(VALU_DEP_1) | instskip(NEXT) | instid1(SALU_CYCLE_1)
	s_and_saveexec_b32 s21, s1
	s_xor_b32 s1, exec_lo, s21
; %bb.229:                              ;   in Loop: Header=BB444_13 Depth=1
	v_bfe_u32 v1, v0, 16, 1
	s_delay_alu instid0(VALU_DEP_1)
	v_add3_u32 v67, v0, v1, 0x7fff
                                        ; implicit-def: $vgpr0
; %bb.230:                              ;   in Loop: Header=BB444_13 Depth=1
	s_and_not1_saveexec_b32 s21, s1
; %bb.231:                              ;   in Loop: Header=BB444_13 Depth=1
	v_and_b32_e32 v1, 0xffff, v0
	v_or_b32_e32 v2, 0x10000, v0
	s_delay_alu instid0(VALU_DEP_2) | instskip(NEXT) | instid1(VALU_DEP_1)
	v_cmp_eq_u32_e64 s1, 0, v1
	v_cndmask_b32_e64 v67, v2, v0, s1
; %bb.232:                              ;   in Loop: Header=BB444_13 Depth=1
	s_or_b32 exec_lo, exec_lo, s21
	v_lshrrev_b32_e32 v0, 16, v33
	s_mov_b32 s21, exec_lo
	s_delay_alu instid0(VALU_DEP_1) | instskip(NEXT) | instid1(VALU_DEP_1)
	v_dual_mov_b32 v1, 0 :: v_dual_and_b32 v2, 0xff, v0
	v_cmpx_ne_u16_e32 0, v2
	s_cbranch_execz .LBB444_240
; %bb.233:                              ;   in Loop: Header=BB444_13 Depth=1
	v_bfrev_b32_e32 v1, 1
	s_mov_b32 s22, exec_lo
	v_cmpx_ne_u16_e32 0x80, v2
	s_cbranch_execz .LBB444_239
; %bb.234:                              ;   in Loop: Header=BB444_13 Depth=1
	v_bfe_u32 v2, v33, 16, 7
	v_mov_b32_e32 v1, 0x7f800001
	s_mov_b32 s23, exec_lo
	s_delay_alu instid0(VALU_DEP_2)
	v_cmpx_ne_u32_e32 0x7f, v2
	s_cbranch_execz .LBB444_238
; %bb.235:                              ;   in Loop: Header=BB444_13 Depth=1
	v_and_b32_e32 v19, 7, v0
	v_lshrrev_b32_e32 v1, 3, v2
	v_mov_b32_e32 v36, v20
	s_mov_b32 s24, exec_lo
	s_delay_alu instid0(VALU_DEP_3)
	v_mov_b32_e32 v35, v19
	v_cmpx_gt_u32_e32 8, v2
; %bb.236:                              ;   in Loop: Header=BB444_13 Depth=1
	v_clz_i32_u32_e32 v1, v19
	s_delay_alu instid0(VALU_DEP_1) | instskip(NEXT) | instid1(VALU_DEP_1)
	v_min_u32_e32 v1, 32, v1
	v_subrev_nc_u32_e32 v2, 28, v1
	v_sub_nc_u32_e32 v1, 29, v1
	s_delay_alu instid0(VALU_DEP_2) | instskip(NEXT) | instid1(VALU_DEP_1)
	v_lshlrev_b64 v[2:3], v2, v[19:20]
	v_and_b32_e32 v35, 7, v2
; %bb.237:                              ;   in Loop: Header=BB444_13 Depth=1
	s_or_b32 exec_lo, exec_lo, s24
	v_lshlrev_b32_e32 v0, 24, v0
	s_delay_alu instid0(VALU_DEP_2) | instskip(SKIP_1) | instid1(VALU_DEP_3)
	v_lshlrev_b32_e32 v2, 20, v35
	v_lshl_add_u32 v1, v1, 23, 0x3c000000
	v_and_b32_e32 v0, 0x80000000, v0
	s_delay_alu instid0(VALU_DEP_1)
	v_or3_b32 v1, v2, v0, v1
.LBB444_238:                            ;   in Loop: Header=BB444_13 Depth=1
	s_or_b32 exec_lo, exec_lo, s23
.LBB444_239:                            ;   in Loop: Header=BB444_13 Depth=1
	s_delay_alu instid0(SALU_CYCLE_1)
	s_or_b32 exec_lo, exec_lo, s22
.LBB444_240:                            ;   in Loop: Header=BB444_13 Depth=1
	s_delay_alu instid0(SALU_CYCLE_1) | instskip(NEXT) | instid1(VALU_DEP_1)
	s_or_b32 exec_lo, exec_lo, s21
	v_mul_f32_e32 v0, v171, v1
                                        ; implicit-def: $vgpr54
	s_delay_alu instid0(VALU_DEP_1) | instskip(NEXT) | instid1(VALU_DEP_1)
	v_and_b32_e32 v1, 0x7f800000, v0
	v_cmp_ne_u32_e64 s1, 0x7f800000, v1
	s_delay_alu instid0(VALU_DEP_1) | instskip(NEXT) | instid1(SALU_CYCLE_1)
	s_and_saveexec_b32 s21, s1
	s_xor_b32 s1, exec_lo, s21
; %bb.241:                              ;   in Loop: Header=BB444_13 Depth=1
	v_bfe_u32 v1, v0, 16, 1
	s_delay_alu instid0(VALU_DEP_1)
	v_add3_u32 v54, v0, v1, 0x7fff
                                        ; implicit-def: $vgpr0
; %bb.242:                              ;   in Loop: Header=BB444_13 Depth=1
	s_and_not1_saveexec_b32 s21, s1
; %bb.243:                              ;   in Loop: Header=BB444_13 Depth=1
	v_and_b32_e32 v1, 0xffff, v0
	v_or_b32_e32 v2, 0x10000, v0
	s_delay_alu instid0(VALU_DEP_2) | instskip(NEXT) | instid1(VALU_DEP_1)
	v_cmp_eq_u32_e64 s1, 0, v1
	v_cndmask_b32_e64 v54, v2, v0, s1
; %bb.244:                              ;   in Loop: Header=BB444_13 Depth=1
	s_or_b32 exec_lo, exec_lo, s21
	v_mov_b32_e32 v1, 0
	s_mov_b32 s21, exec_lo
	v_cmpx_lt_u32_e32 0xffffff, v33
	s_cbranch_execz .LBB444_252
; %bb.245:                              ;   in Loop: Header=BB444_13 Depth=1
	v_lshrrev_b32_e32 v0, 24, v33
	v_bfrev_b32_e32 v1, 1
	s_mov_b32 s22, exec_lo
	s_delay_alu instid0(VALU_DEP_2)
	v_cmpx_ne_u32_e32 0x80, v0
	s_cbranch_execz .LBB444_251
; %bb.246:                              ;   in Loop: Header=BB444_13 Depth=1
	v_bfe_u32 v2, v33, 24, 7
	v_mov_b32_e32 v1, 0x7f800001
	s_mov_b32 s23, exec_lo
	s_delay_alu instid0(VALU_DEP_2)
	v_cmpx_ne_u32_e32 0x7f, v2
	s_cbranch_execz .LBB444_250
; %bb.247:                              ;   in Loop: Header=BB444_13 Depth=1
	v_and_b32_e32 v19, 7, v0
	v_lshrrev_b32_e32 v1, 3, v2
	v_mov_b32_e32 v36, v20
	s_mov_b32 s24, exec_lo
	s_delay_alu instid0(VALU_DEP_3)
	v_mov_b32_e32 v35, v19
	v_cmpx_gt_u32_e32 8, v2
; %bb.248:                              ;   in Loop: Header=BB444_13 Depth=1
	v_clz_i32_u32_e32 v1, v19
	s_delay_alu instid0(VALU_DEP_1) | instskip(NEXT) | instid1(VALU_DEP_1)
	v_min_u32_e32 v1, 32, v1
	v_subrev_nc_u32_e32 v2, 28, v1
	v_sub_nc_u32_e32 v1, 29, v1
	s_delay_alu instid0(VALU_DEP_2) | instskip(NEXT) | instid1(VALU_DEP_1)
	v_lshlrev_b64 v[2:3], v2, v[19:20]
	v_and_b32_e32 v35, 7, v2
; %bb.249:                              ;   in Loop: Header=BB444_13 Depth=1
	s_or_b32 exec_lo, exec_lo, s24
	v_lshlrev_b32_e32 v0, 24, v0
	s_delay_alu instid0(VALU_DEP_2) | instskip(SKIP_1) | instid1(VALU_DEP_3)
	v_lshlrev_b32_e32 v2, 20, v35
	v_lshl_add_u32 v1, v1, 23, 0x3c000000
	v_and_b32_e32 v0, 0x80000000, v0
	s_delay_alu instid0(VALU_DEP_1)
	v_or3_b32 v1, v2, v0, v1
.LBB444_250:                            ;   in Loop: Header=BB444_13 Depth=1
	s_or_b32 exec_lo, exec_lo, s23
.LBB444_251:                            ;   in Loop: Header=BB444_13 Depth=1
	s_delay_alu instid0(SALU_CYCLE_1)
	s_or_b32 exec_lo, exec_lo, s22
.LBB444_252:                            ;   in Loop: Header=BB444_13 Depth=1
	s_delay_alu instid0(SALU_CYCLE_1) | instskip(NEXT) | instid1(VALU_DEP_1)
	s_or_b32 exec_lo, exec_lo, s21
	v_mul_f32_e32 v0, v171, v1
                                        ; implicit-def: $vgpr21
	s_delay_alu instid0(VALU_DEP_1) | instskip(NEXT) | instid1(VALU_DEP_1)
	v_and_b32_e32 v1, 0x7f800000, v0
	v_cmp_ne_u32_e64 s1, 0x7f800000, v1
	s_delay_alu instid0(VALU_DEP_1) | instskip(NEXT) | instid1(SALU_CYCLE_1)
	s_and_saveexec_b32 s21, s1
	s_xor_b32 s1, exec_lo, s21
; %bb.253:                              ;   in Loop: Header=BB444_13 Depth=1
	v_bfe_u32 v1, v0, 16, 1
	s_delay_alu instid0(VALU_DEP_1)
	v_add3_u32 v21, v0, v1, 0x7fff
                                        ; implicit-def: $vgpr0
; %bb.254:                              ;   in Loop: Header=BB444_13 Depth=1
	s_and_not1_saveexec_b32 s21, s1
; %bb.255:                              ;   in Loop: Header=BB444_13 Depth=1
	v_and_b32_e32 v1, 0xffff, v0
	v_or_b32_e32 v2, 0x10000, v0
	s_delay_alu instid0(VALU_DEP_2) | instskip(NEXT) | instid1(VALU_DEP_1)
	v_cmp_eq_u32_e64 s1, 0, v1
	v_cndmask_b32_e64 v21, v2, v0, s1
; %bb.256:                              ;   in Loop: Header=BB444_13 Depth=1
	s_or_b32 exec_lo, exec_lo, s21
	v_dual_mov_b32 v0, 0 :: v_dual_and_b32 v1, 0xff, v34
	v_mov_b32_e32 v19, v34
	s_mov_b32 s21, exec_lo
	s_delay_alu instid0(VALU_DEP_2)
	v_cmpx_ne_u16_e32 0, v1
	s_cbranch_execz .LBB444_264
; %bb.257:                              ;   in Loop: Header=BB444_13 Depth=1
	v_bfrev_b32_e32 v0, 1
	s_mov_b32 s22, exec_lo
	v_cmpx_ne_u16_e32 0x80, v1
	s_cbranch_execz .LBB444_263
; %bb.258:                              ;   in Loop: Header=BB444_13 Depth=1
	v_and_b32_e32 v1, 0x7f, v34
	v_mov_b32_e32 v0, 0x7f800001
	s_mov_b32 s23, exec_lo
	s_delay_alu instid0(VALU_DEP_2)
	v_cmpx_ne_u32_e32 0x7f, v1
	s_cbranch_execz .LBB444_262
; %bb.259:                              ;   in Loop: Header=BB444_13 Depth=1
	v_lshrrev_b32_e32 v0, 3, v1
	v_dual_mov_b32 v36, v20 :: v_dual_mov_b32 v35, v19
	s_mov_b32 s24, exec_lo
	v_cmpx_gt_u32_e32 8, v1
; %bb.260:                              ;   in Loop: Header=BB444_13 Depth=1
	v_and_b32_e32 v0, 7, v34
	s_delay_alu instid0(VALU_DEP_1) | instskip(NEXT) | instid1(VALU_DEP_1)
	v_clz_i32_u32_e32 v0, v0
	v_min_u32_e32 v0, 32, v0
	s_delay_alu instid0(VALU_DEP_1) | instskip(SKIP_1) | instid1(VALU_DEP_2)
	v_subrev_nc_u32_e32 v1, 28, v0
	v_sub_nc_u32_e32 v0, 29, v0
	v_lshlrev_b64 v[35:36], v1, v[19:20]
; %bb.261:                              ;   in Loop: Header=BB444_13 Depth=1
	s_or_b32 exec_lo, exec_lo, s24
	s_delay_alu instid0(VALU_DEP_1) | instskip(SKIP_2) | instid1(VALU_DEP_3)
	v_lshlrev_b32_e32 v1, 20, v35
	v_lshlrev_b32_e32 v2, 24, v19
	v_lshl_add_u32 v0, v0, 23, 0x3c000000
	v_and_b32_e32 v1, 0x700000, v1
	s_delay_alu instid0(VALU_DEP_3) | instskip(NEXT) | instid1(VALU_DEP_1)
	v_and_b32_e32 v2, 0x80000000, v2
	v_or3_b32 v0, v1, v2, v0
.LBB444_262:                            ;   in Loop: Header=BB444_13 Depth=1
	s_or_b32 exec_lo, exec_lo, s23
.LBB444_263:                            ;   in Loop: Header=BB444_13 Depth=1
	s_delay_alu instid0(SALU_CYCLE_1)
	s_or_b32 exec_lo, exec_lo, s22
.LBB444_264:                            ;   in Loop: Header=BB444_13 Depth=1
	s_delay_alu instid0(SALU_CYCLE_1) | instskip(NEXT) | instid1(VALU_DEP_1)
	s_or_b32 exec_lo, exec_lo, s21
	v_mul_f32_e32 v0, v171, v0
                                        ; implicit-def: $vgpr6
	s_delay_alu instid0(VALU_DEP_1) | instskip(NEXT) | instid1(VALU_DEP_1)
	v_and_b32_e32 v1, 0x7f800000, v0
	v_cmp_ne_u32_e64 s1, 0x7f800000, v1
	s_delay_alu instid0(VALU_DEP_1) | instskip(NEXT) | instid1(SALU_CYCLE_1)
	s_and_saveexec_b32 s21, s1
	s_xor_b32 s1, exec_lo, s21
; %bb.265:                              ;   in Loop: Header=BB444_13 Depth=1
	v_bfe_u32 v1, v0, 16, 1
	s_delay_alu instid0(VALU_DEP_1)
	v_add3_u32 v6, v0, v1, 0x7fff
                                        ; implicit-def: $vgpr0
; %bb.266:                              ;   in Loop: Header=BB444_13 Depth=1
	s_and_not1_saveexec_b32 s21, s1
; %bb.267:                              ;   in Loop: Header=BB444_13 Depth=1
	v_and_b32_e32 v1, 0xffff, v0
	v_or_b32_e32 v2, 0x10000, v0
	s_delay_alu instid0(VALU_DEP_2) | instskip(NEXT) | instid1(VALU_DEP_1)
	v_cmp_eq_u32_e64 s1, 0, v1
	v_cndmask_b32_e64 v6, v2, v0, s1
; %bb.268:                              ;   in Loop: Header=BB444_13 Depth=1
	s_or_b32 exec_lo, exec_lo, s21
	v_lshrrev_b16 v1, 8, v19
	v_mov_b32_e32 v0, 0
	s_mov_b32 s21, exec_lo
	s_delay_alu instid0(VALU_DEP_2)
	v_cmpx_ne_u16_e32 0, v1
	s_cbranch_execz .LBB444_276
; %bb.269:                              ;   in Loop: Header=BB444_13 Depth=1
	v_bfrev_b32_e32 v0, 1
	s_mov_b32 s22, exec_lo
	v_cmpx_ne_u16_e32 0x80, v1
	s_cbranch_execz .LBB444_275
; %bb.270:                              ;   in Loop: Header=BB444_13 Depth=1
	v_and_b32_e32 v2, 0xffff, v1
	v_mov_b32_e32 v0, 0x7f800001
	s_mov_b32 s23, exec_lo
	s_delay_alu instid0(VALU_DEP_2) | instskip(NEXT) | instid1(VALU_DEP_1)
	v_and_b32_e32 v1, 0x7f, v2
	v_cmpx_ne_u32_e32 0x7f, v1
	s_cbranch_execz .LBB444_274
; %bb.271:                              ;   in Loop: Header=BB444_13 Depth=1
	v_dual_mov_b32 v36, v20 :: v_dual_and_b32 v35, 7, v2
	v_lshrrev_b32_e32 v0, 3, v1
	s_mov_b32 s24, exec_lo
	v_cmpx_gt_u32_e32 8, v1
; %bb.272:                              ;   in Loop: Header=BB444_13 Depth=1
	s_delay_alu instid0(VALU_DEP_3) | instskip(NEXT) | instid1(VALU_DEP_1)
	v_clz_i32_u32_e32 v0, v35
	v_min_u32_e32 v0, 32, v0
	s_delay_alu instid0(VALU_DEP_1) | instskip(SKIP_1) | instid1(VALU_DEP_2)
	v_subrev_nc_u32_e32 v1, 28, v0
	v_sub_nc_u32_e32 v0, 29, v0
	v_lshlrev_b64 v[1:2], v1, v[35:36]
	s_delay_alu instid0(VALU_DEP_1)
	v_and_b32_e32 v35, 7, v1
; %bb.273:                              ;   in Loop: Header=BB444_13 Depth=1
	s_or_b32 exec_lo, exec_lo, s24
	v_lshlrev_b32_e32 v1, 16, v19
	s_delay_alu instid0(VALU_DEP_2) | instskip(SKIP_1) | instid1(VALU_DEP_3)
	v_lshlrev_b32_e32 v2, 20, v35
	v_lshl_add_u32 v0, v0, 23, 0x3c000000
	v_and_b32_e32 v1, 0x80000000, v1
	s_delay_alu instid0(VALU_DEP_1)
	v_or3_b32 v0, v2, v1, v0
.LBB444_274:                            ;   in Loop: Header=BB444_13 Depth=1
	s_or_b32 exec_lo, exec_lo, s23
.LBB444_275:                            ;   in Loop: Header=BB444_13 Depth=1
	s_delay_alu instid0(SALU_CYCLE_1)
	s_or_b32 exec_lo, exec_lo, s22
.LBB444_276:                            ;   in Loop: Header=BB444_13 Depth=1
	s_delay_alu instid0(SALU_CYCLE_1) | instskip(NEXT) | instid1(VALU_DEP_1)
	s_or_b32 exec_lo, exec_lo, s21
	v_mul_f32_e32 v0, v171, v0
                                        ; implicit-def: $vgpr7
	s_delay_alu instid0(VALU_DEP_1) | instskip(NEXT) | instid1(VALU_DEP_1)
	v_and_b32_e32 v1, 0x7f800000, v0
	v_cmp_ne_u32_e64 s1, 0x7f800000, v1
	s_delay_alu instid0(VALU_DEP_1) | instskip(NEXT) | instid1(SALU_CYCLE_1)
	s_and_saveexec_b32 s21, s1
	s_xor_b32 s1, exec_lo, s21
; %bb.277:                              ;   in Loop: Header=BB444_13 Depth=1
	v_bfe_u32 v1, v0, 16, 1
	s_delay_alu instid0(VALU_DEP_1)
	v_add3_u32 v7, v0, v1, 0x7fff
                                        ; implicit-def: $vgpr0
; %bb.278:                              ;   in Loop: Header=BB444_13 Depth=1
	s_and_not1_saveexec_b32 s21, s1
; %bb.279:                              ;   in Loop: Header=BB444_13 Depth=1
	v_and_b32_e32 v1, 0xffff, v0
	v_or_b32_e32 v2, 0x10000, v0
	s_delay_alu instid0(VALU_DEP_2) | instskip(NEXT) | instid1(VALU_DEP_1)
	v_cmp_eq_u32_e64 s1, 0, v1
	v_cndmask_b32_e64 v7, v2, v0, s1
; %bb.280:                              ;   in Loop: Header=BB444_13 Depth=1
	s_or_b32 exec_lo, exec_lo, s21
	v_lshrrev_b32_e32 v0, 16, v34
	s_mov_b32 s21, exec_lo
	s_delay_alu instid0(VALU_DEP_1) | instskip(NEXT) | instid1(VALU_DEP_1)
	v_dual_mov_b32 v1, 0 :: v_dual_and_b32 v2, 0xff, v0
	v_cmpx_ne_u16_e32 0, v2
	s_cbranch_execz .LBB444_288
; %bb.281:                              ;   in Loop: Header=BB444_13 Depth=1
	v_bfrev_b32_e32 v1, 1
	s_mov_b32 s22, exec_lo
	v_cmpx_ne_u16_e32 0x80, v2
	s_cbranch_execz .LBB444_287
; %bb.282:                              ;   in Loop: Header=BB444_13 Depth=1
	v_bfe_u32 v2, v34, 16, 7
	v_mov_b32_e32 v1, 0x7f800001
	s_mov_b32 s23, exec_lo
	s_delay_alu instid0(VALU_DEP_2)
	v_cmpx_ne_u32_e32 0x7f, v2
	s_cbranch_execz .LBB444_286
; %bb.283:                              ;   in Loop: Header=BB444_13 Depth=1
	v_and_b32_e32 v19, 7, v0
	v_lshrrev_b32_e32 v1, 3, v2
	v_mov_b32_e32 v36, v20
	s_mov_b32 s24, exec_lo
	s_delay_alu instid0(VALU_DEP_3)
	v_mov_b32_e32 v35, v19
	v_cmpx_gt_u32_e32 8, v2
; %bb.284:                              ;   in Loop: Header=BB444_13 Depth=1
	v_clz_i32_u32_e32 v1, v19
	s_delay_alu instid0(VALU_DEP_1) | instskip(NEXT) | instid1(VALU_DEP_1)
	v_min_u32_e32 v1, 32, v1
	v_subrev_nc_u32_e32 v2, 28, v1
	v_sub_nc_u32_e32 v1, 29, v1
	s_delay_alu instid0(VALU_DEP_2) | instskip(NEXT) | instid1(VALU_DEP_1)
	v_lshlrev_b64 v[2:3], v2, v[19:20]
	v_and_b32_e32 v35, 7, v2
; %bb.285:                              ;   in Loop: Header=BB444_13 Depth=1
	s_or_b32 exec_lo, exec_lo, s24
	v_lshlrev_b32_e32 v0, 24, v0
	s_delay_alu instid0(VALU_DEP_2) | instskip(SKIP_1) | instid1(VALU_DEP_3)
	v_lshlrev_b32_e32 v2, 20, v35
	v_lshl_add_u32 v1, v1, 23, 0x3c000000
	v_and_b32_e32 v0, 0x80000000, v0
	s_delay_alu instid0(VALU_DEP_1)
	v_or3_b32 v1, v2, v0, v1
.LBB444_286:                            ;   in Loop: Header=BB444_13 Depth=1
	s_or_b32 exec_lo, exec_lo, s23
.LBB444_287:                            ;   in Loop: Header=BB444_13 Depth=1
	s_delay_alu instid0(SALU_CYCLE_1)
	s_or_b32 exec_lo, exec_lo, s22
.LBB444_288:                            ;   in Loop: Header=BB444_13 Depth=1
	s_delay_alu instid0(SALU_CYCLE_1) | instskip(NEXT) | instid1(VALU_DEP_1)
	s_or_b32 exec_lo, exec_lo, s21
	v_mul_f32_e32 v0, v171, v1
                                        ; implicit-def: $vgpr12
	s_delay_alu instid0(VALU_DEP_1) | instskip(NEXT) | instid1(VALU_DEP_1)
	v_and_b32_e32 v1, 0x7f800000, v0
	v_cmp_ne_u32_e64 s1, 0x7f800000, v1
	s_delay_alu instid0(VALU_DEP_1) | instskip(NEXT) | instid1(SALU_CYCLE_1)
	s_and_saveexec_b32 s21, s1
	s_xor_b32 s1, exec_lo, s21
; %bb.289:                              ;   in Loop: Header=BB444_13 Depth=1
	v_bfe_u32 v1, v0, 16, 1
	s_delay_alu instid0(VALU_DEP_1)
	v_add3_u32 v12, v0, v1, 0x7fff
                                        ; implicit-def: $vgpr0
; %bb.290:                              ;   in Loop: Header=BB444_13 Depth=1
	s_and_not1_saveexec_b32 s21, s1
; %bb.291:                              ;   in Loop: Header=BB444_13 Depth=1
	v_and_b32_e32 v1, 0xffff, v0
	v_or_b32_e32 v2, 0x10000, v0
	s_delay_alu instid0(VALU_DEP_2) | instskip(NEXT) | instid1(VALU_DEP_1)
	v_cmp_eq_u32_e64 s1, 0, v1
	v_cndmask_b32_e64 v12, v2, v0, s1
; %bb.292:                              ;   in Loop: Header=BB444_13 Depth=1
	s_or_b32 exec_lo, exec_lo, s21
	v_mov_b32_e32 v1, 0
	s_mov_b32 s21, exec_lo
	v_cmpx_lt_u64_e64 s[16:17], v[33:34]
	s_cbranch_execz .LBB444_300
; %bb.293:                              ;   in Loop: Header=BB444_13 Depth=1
	v_lshrrev_b32_e32 v0, 24, v34
	v_bfrev_b32_e32 v1, 1
	s_mov_b32 s22, exec_lo
	s_delay_alu instid0(VALU_DEP_2)
	v_cmpx_ne_u32_e32 0x80, v0
	s_cbranch_execz .LBB444_299
; %bb.294:                              ;   in Loop: Header=BB444_13 Depth=1
	v_bfe_u32 v2, v34, 24, 7
	v_mov_b32_e32 v1, 0x7f800001
	s_mov_b32 s23, exec_lo
	s_delay_alu instid0(VALU_DEP_2)
	v_cmpx_ne_u32_e32 0x7f, v2
	s_cbranch_execz .LBB444_298
; %bb.295:                              ;   in Loop: Header=BB444_13 Depth=1
	v_and_b32_e32 v19, 7, v0
	v_lshrrev_b32_e32 v1, 3, v2
	v_mov_b32_e32 v34, v20
	s_mov_b32 s24, exec_lo
	s_delay_alu instid0(VALU_DEP_3)
	v_mov_b32_e32 v33, v19
	v_cmpx_gt_u32_e32 8, v2
; %bb.296:                              ;   in Loop: Header=BB444_13 Depth=1
	v_clz_i32_u32_e32 v1, v19
	s_delay_alu instid0(VALU_DEP_1) | instskip(NEXT) | instid1(VALU_DEP_1)
	v_min_u32_e32 v1, 32, v1
	v_subrev_nc_u32_e32 v2, 28, v1
	v_sub_nc_u32_e32 v1, 29, v1
	s_delay_alu instid0(VALU_DEP_2) | instskip(NEXT) | instid1(VALU_DEP_1)
	v_lshlrev_b64 v[2:3], v2, v[19:20]
	v_and_b32_e32 v33, 7, v2
; %bb.297:                              ;   in Loop: Header=BB444_13 Depth=1
	s_or_b32 exec_lo, exec_lo, s24
	v_lshlrev_b32_e32 v0, 24, v0
	s_delay_alu instid0(VALU_DEP_2) | instskip(SKIP_1) | instid1(VALU_DEP_3)
	v_lshlrev_b32_e32 v2, 20, v33
	v_lshl_add_u32 v1, v1, 23, 0x3c000000
	v_and_b32_e32 v0, 0x80000000, v0
	s_delay_alu instid0(VALU_DEP_1)
	v_or3_b32 v1, v2, v0, v1
.LBB444_298:                            ;   in Loop: Header=BB444_13 Depth=1
	s_or_b32 exec_lo, exec_lo, s23
.LBB444_299:                            ;   in Loop: Header=BB444_13 Depth=1
	s_delay_alu instid0(SALU_CYCLE_1)
	s_or_b32 exec_lo, exec_lo, s22
.LBB444_300:                            ;   in Loop: Header=BB444_13 Depth=1
	s_delay_alu instid0(SALU_CYCLE_1) | instskip(NEXT) | instid1(VALU_DEP_1)
	s_or_b32 exec_lo, exec_lo, s21
	v_mul_f32_e32 v0, v171, v1
                                        ; implicit-def: $vgpr39
	s_delay_alu instid0(VALU_DEP_1) | instskip(NEXT) | instid1(VALU_DEP_1)
	v_and_b32_e32 v1, 0x7f800000, v0
	v_cmp_ne_u32_e64 s1, 0x7f800000, v1
	s_delay_alu instid0(VALU_DEP_1) | instskip(NEXT) | instid1(SALU_CYCLE_1)
	s_and_saveexec_b32 s21, s1
	s_xor_b32 s1, exec_lo, s21
; %bb.301:                              ;   in Loop: Header=BB444_13 Depth=1
	v_bfe_u32 v1, v0, 16, 1
	s_delay_alu instid0(VALU_DEP_1)
	v_add3_u32 v39, v0, v1, 0x7fff
                                        ; implicit-def: $vgpr0
; %bb.302:                              ;   in Loop: Header=BB444_13 Depth=1
	s_and_not1_saveexec_b32 s21, s1
; %bb.303:                              ;   in Loop: Header=BB444_13 Depth=1
	v_and_b32_e32 v1, 0xffff, v0
	v_or_b32_e32 v2, 0x10000, v0
	s_delay_alu instid0(VALU_DEP_2) | instskip(NEXT) | instid1(VALU_DEP_1)
	v_cmp_eq_u32_e64 s1, 0, v1
	v_cndmask_b32_e64 v39, v2, v0, s1
; %bb.304:                              ;   in Loop: Header=BB444_13 Depth=1
	s_or_b32 exec_lo, exec_lo, s21
	flat_load_b64 v[33:34], v[31:32] offset:520
	s_mov_b32 s21, exec_lo
	s_waitcnt vmcnt(0) lgkmcnt(0)
	v_dual_mov_b32 v0, 0 :: v_dual_and_b32 v1, 0xff, v33
	s_delay_alu instid0(VALU_DEP_1)
	v_cmpx_ne_u16_e32 0, v1
	s_cbranch_execz .LBB444_312
; %bb.305:                              ;   in Loop: Header=BB444_13 Depth=1
	v_bfrev_b32_e32 v0, 1
	s_mov_b32 s22, exec_lo
	v_cmpx_ne_u16_e32 0x80, v1
	s_cbranch_execz .LBB444_311
; %bb.306:                              ;   in Loop: Header=BB444_13 Depth=1
	v_and_b32_e32 v1, 0x7f, v33
	v_mov_b32_e32 v0, 0x7f800001
	s_mov_b32 s23, exec_lo
	s_delay_alu instid0(VALU_DEP_2)
	v_cmpx_ne_u32_e32 0x7f, v1
	s_cbranch_execz .LBB444_310
; %bb.307:                              ;   in Loop: Header=BB444_13 Depth=1
	v_lshrrev_b32_e32 v0, 3, v1
	v_dual_mov_b32 v36, v34 :: v_dual_mov_b32 v35, v33
	s_mov_b32 s24, exec_lo
	v_cmpx_gt_u32_e32 8, v1
; %bb.308:                              ;   in Loop: Header=BB444_13 Depth=1
	v_and_b32_e32 v0, 7, v33
	s_delay_alu instid0(VALU_DEP_1) | instskip(NEXT) | instid1(VALU_DEP_1)
	v_clz_i32_u32_e32 v0, v0
	v_min_u32_e32 v0, 32, v0
	s_delay_alu instid0(VALU_DEP_1) | instskip(SKIP_1) | instid1(VALU_DEP_2)
	v_subrev_nc_u32_e32 v1, 28, v0
	v_sub_nc_u32_e32 v0, 29, v0
	v_lshlrev_b64 v[35:36], v1, v[33:34]
; %bb.309:                              ;   in Loop: Header=BB444_13 Depth=1
	s_or_b32 exec_lo, exec_lo, s24
	s_delay_alu instid0(VALU_DEP_1) | instskip(SKIP_2) | instid1(VALU_DEP_3)
	v_lshlrev_b32_e32 v1, 20, v35
	v_lshlrev_b32_e32 v2, 24, v33
	v_lshl_add_u32 v0, v0, 23, 0x3c000000
	v_and_b32_e32 v1, 0x700000, v1
	s_delay_alu instid0(VALU_DEP_3) | instskip(NEXT) | instid1(VALU_DEP_1)
	v_and_b32_e32 v2, 0x80000000, v2
	v_or3_b32 v0, v1, v2, v0
.LBB444_310:                            ;   in Loop: Header=BB444_13 Depth=1
	s_or_b32 exec_lo, exec_lo, s23
.LBB444_311:                            ;   in Loop: Header=BB444_13 Depth=1
	s_delay_alu instid0(SALU_CYCLE_1)
	s_or_b32 exec_lo, exec_lo, s22
.LBB444_312:                            ;   in Loop: Header=BB444_13 Depth=1
	s_delay_alu instid0(SALU_CYCLE_1) | instskip(NEXT) | instid1(VALU_DEP_1)
	s_or_b32 exec_lo, exec_lo, s21
	v_mul_f32_e32 v0, v171, v0
                                        ; implicit-def: $vgpr37
	s_delay_alu instid0(VALU_DEP_1) | instskip(NEXT) | instid1(VALU_DEP_1)
	v_and_b32_e32 v1, 0x7f800000, v0
	v_cmp_ne_u32_e64 s1, 0x7f800000, v1
	s_delay_alu instid0(VALU_DEP_1) | instskip(NEXT) | instid1(SALU_CYCLE_1)
	s_and_saveexec_b32 s21, s1
	s_xor_b32 s1, exec_lo, s21
; %bb.313:                              ;   in Loop: Header=BB444_13 Depth=1
	v_bfe_u32 v1, v0, 16, 1
	s_delay_alu instid0(VALU_DEP_1)
	v_add3_u32 v37, v0, v1, 0x7fff
                                        ; implicit-def: $vgpr0
; %bb.314:                              ;   in Loop: Header=BB444_13 Depth=1
	s_and_not1_saveexec_b32 s21, s1
; %bb.315:                              ;   in Loop: Header=BB444_13 Depth=1
	v_and_b32_e32 v1, 0xffff, v0
	v_or_b32_e32 v2, 0x10000, v0
	s_delay_alu instid0(VALU_DEP_2) | instskip(NEXT) | instid1(VALU_DEP_1)
	v_cmp_eq_u32_e64 s1, 0, v1
	v_cndmask_b32_e64 v37, v2, v0, s1
; %bb.316:                              ;   in Loop: Header=BB444_13 Depth=1
	s_or_b32 exec_lo, exec_lo, s21
	v_lshrrev_b16 v1, 8, v33
	v_mov_b32_e32 v0, 0
	s_mov_b32 s21, exec_lo
	s_delay_alu instid0(VALU_DEP_2)
	v_cmpx_ne_u16_e32 0, v1
	s_cbranch_execz .LBB444_324
; %bb.317:                              ;   in Loop: Header=BB444_13 Depth=1
	v_bfrev_b32_e32 v0, 1
	s_mov_b32 s22, exec_lo
	v_cmpx_ne_u16_e32 0x80, v1
	s_cbranch_execz .LBB444_323
; %bb.318:                              ;   in Loop: Header=BB444_13 Depth=1
	v_and_b32_e32 v2, 0xffff, v1
	v_mov_b32_e32 v0, 0x7f800001
	s_mov_b32 s23, exec_lo
	s_delay_alu instid0(VALU_DEP_2) | instskip(NEXT) | instid1(VALU_DEP_1)
	v_and_b32_e32 v1, 0x7f, v2
	v_cmpx_ne_u32_e32 0x7f, v1
	s_cbranch_execz .LBB444_322
; %bb.319:                              ;   in Loop: Header=BB444_13 Depth=1
	v_and_b32_e32 v19, 7, v2
	v_lshrrev_b32_e32 v0, 3, v1
	v_mov_b32_e32 v36, v20
	s_mov_b32 s24, exec_lo
	s_delay_alu instid0(VALU_DEP_3)
	v_mov_b32_e32 v35, v19
	v_cmpx_gt_u32_e32 8, v1
; %bb.320:                              ;   in Loop: Header=BB444_13 Depth=1
	v_clz_i32_u32_e32 v0, v19
	s_delay_alu instid0(VALU_DEP_1) | instskip(NEXT) | instid1(VALU_DEP_1)
	v_min_u32_e32 v0, 32, v0
	v_subrev_nc_u32_e32 v1, 28, v0
	v_sub_nc_u32_e32 v0, 29, v0
	s_delay_alu instid0(VALU_DEP_2) | instskip(NEXT) | instid1(VALU_DEP_1)
	v_lshlrev_b64 v[1:2], v1, v[19:20]
	v_and_b32_e32 v35, 7, v1
; %bb.321:                              ;   in Loop: Header=BB444_13 Depth=1
	s_or_b32 exec_lo, exec_lo, s24
	v_lshlrev_b32_e32 v1, 16, v33
	s_delay_alu instid0(VALU_DEP_2) | instskip(SKIP_1) | instid1(VALU_DEP_3)
	v_lshlrev_b32_e32 v2, 20, v35
	v_lshl_add_u32 v0, v0, 23, 0x3c000000
	v_and_b32_e32 v1, 0x80000000, v1
	s_delay_alu instid0(VALU_DEP_1)
	v_or3_b32 v0, v2, v1, v0
.LBB444_322:                            ;   in Loop: Header=BB444_13 Depth=1
	s_or_b32 exec_lo, exec_lo, s23
.LBB444_323:                            ;   in Loop: Header=BB444_13 Depth=1
	s_delay_alu instid0(SALU_CYCLE_1)
	s_or_b32 exec_lo, exec_lo, s22
.LBB444_324:                            ;   in Loop: Header=BB444_13 Depth=1
	s_delay_alu instid0(SALU_CYCLE_1) | instskip(NEXT) | instid1(VALU_DEP_1)
	s_or_b32 exec_lo, exec_lo, s21
	v_mul_f32_e32 v0, v171, v0
                                        ; implicit-def: $vgpr55
	s_delay_alu instid0(VALU_DEP_1) | instskip(NEXT) | instid1(VALU_DEP_1)
	v_and_b32_e32 v1, 0x7f800000, v0
	v_cmp_ne_u32_e64 s1, 0x7f800000, v1
	s_delay_alu instid0(VALU_DEP_1) | instskip(NEXT) | instid1(SALU_CYCLE_1)
	s_and_saveexec_b32 s21, s1
	s_xor_b32 s1, exec_lo, s21
; %bb.325:                              ;   in Loop: Header=BB444_13 Depth=1
	v_bfe_u32 v1, v0, 16, 1
	s_delay_alu instid0(VALU_DEP_1)
	v_add3_u32 v55, v0, v1, 0x7fff
                                        ; implicit-def: $vgpr0
; %bb.326:                              ;   in Loop: Header=BB444_13 Depth=1
	s_and_not1_saveexec_b32 s21, s1
; %bb.327:                              ;   in Loop: Header=BB444_13 Depth=1
	v_and_b32_e32 v1, 0xffff, v0
	v_or_b32_e32 v2, 0x10000, v0
	s_delay_alu instid0(VALU_DEP_2) | instskip(NEXT) | instid1(VALU_DEP_1)
	v_cmp_eq_u32_e64 s1, 0, v1
	v_cndmask_b32_e64 v55, v2, v0, s1
; %bb.328:                              ;   in Loop: Header=BB444_13 Depth=1
	s_or_b32 exec_lo, exec_lo, s21
	v_lshrrev_b32_e32 v0, 16, v33
	s_mov_b32 s21, exec_lo
	s_delay_alu instid0(VALU_DEP_1) | instskip(NEXT) | instid1(VALU_DEP_1)
	v_dual_mov_b32 v1, 0 :: v_dual_and_b32 v2, 0xff, v0
	v_cmpx_ne_u16_e32 0, v2
	s_cbranch_execz .LBB444_336
; %bb.329:                              ;   in Loop: Header=BB444_13 Depth=1
	v_bfrev_b32_e32 v1, 1
	s_mov_b32 s22, exec_lo
	v_cmpx_ne_u16_e32 0x80, v2
	s_cbranch_execz .LBB444_335
; %bb.330:                              ;   in Loop: Header=BB444_13 Depth=1
	v_bfe_u32 v2, v33, 16, 7
	v_mov_b32_e32 v1, 0x7f800001
	s_mov_b32 s23, exec_lo
	s_delay_alu instid0(VALU_DEP_2)
	v_cmpx_ne_u32_e32 0x7f, v2
	s_cbranch_execz .LBB444_334
; %bb.331:                              ;   in Loop: Header=BB444_13 Depth=1
	v_and_b32_e32 v19, 7, v0
	v_lshrrev_b32_e32 v1, 3, v2
	v_mov_b32_e32 v36, v20
	s_mov_b32 s24, exec_lo
	s_delay_alu instid0(VALU_DEP_3)
	v_mov_b32_e32 v35, v19
	v_cmpx_gt_u32_e32 8, v2
; %bb.332:                              ;   in Loop: Header=BB444_13 Depth=1
	v_clz_i32_u32_e32 v1, v19
	s_delay_alu instid0(VALU_DEP_1) | instskip(NEXT) | instid1(VALU_DEP_1)
	v_min_u32_e32 v1, 32, v1
	v_subrev_nc_u32_e32 v2, 28, v1
	v_sub_nc_u32_e32 v1, 29, v1
	s_delay_alu instid0(VALU_DEP_2) | instskip(NEXT) | instid1(VALU_DEP_1)
	v_lshlrev_b64 v[2:3], v2, v[19:20]
	v_and_b32_e32 v35, 7, v2
; %bb.333:                              ;   in Loop: Header=BB444_13 Depth=1
	s_or_b32 exec_lo, exec_lo, s24
	v_lshlrev_b32_e32 v0, 24, v0
	s_delay_alu instid0(VALU_DEP_2) | instskip(SKIP_1) | instid1(VALU_DEP_3)
	v_lshlrev_b32_e32 v2, 20, v35
	v_lshl_add_u32 v1, v1, 23, 0x3c000000
	v_and_b32_e32 v0, 0x80000000, v0
	s_delay_alu instid0(VALU_DEP_1)
	v_or3_b32 v1, v2, v0, v1
.LBB444_334:                            ;   in Loop: Header=BB444_13 Depth=1
	s_or_b32 exec_lo, exec_lo, s23
.LBB444_335:                            ;   in Loop: Header=BB444_13 Depth=1
	s_delay_alu instid0(SALU_CYCLE_1)
	s_or_b32 exec_lo, exec_lo, s22
.LBB444_336:                            ;   in Loop: Header=BB444_13 Depth=1
	s_delay_alu instid0(SALU_CYCLE_1) | instskip(NEXT) | instid1(VALU_DEP_1)
	s_or_b32 exec_lo, exec_lo, s21
	v_mul_f32_e32 v0, v171, v1
                                        ; implicit-def: $vgpr11
	s_delay_alu instid0(VALU_DEP_1) | instskip(NEXT) | instid1(VALU_DEP_1)
	v_and_b32_e32 v1, 0x7f800000, v0
	v_cmp_ne_u32_e64 s1, 0x7f800000, v1
	s_delay_alu instid0(VALU_DEP_1) | instskip(NEXT) | instid1(SALU_CYCLE_1)
	s_and_saveexec_b32 s21, s1
	s_xor_b32 s1, exec_lo, s21
; %bb.337:                              ;   in Loop: Header=BB444_13 Depth=1
	v_bfe_u32 v1, v0, 16, 1
	s_delay_alu instid0(VALU_DEP_1)
	v_add3_u32 v11, v0, v1, 0x7fff
                                        ; implicit-def: $vgpr0
; %bb.338:                              ;   in Loop: Header=BB444_13 Depth=1
	s_and_not1_saveexec_b32 s21, s1
; %bb.339:                              ;   in Loop: Header=BB444_13 Depth=1
	v_and_b32_e32 v1, 0xffff, v0
	v_or_b32_e32 v2, 0x10000, v0
	s_delay_alu instid0(VALU_DEP_2) | instskip(NEXT) | instid1(VALU_DEP_1)
	v_cmp_eq_u32_e64 s1, 0, v1
	v_cndmask_b32_e64 v11, v2, v0, s1
; %bb.340:                              ;   in Loop: Header=BB444_13 Depth=1
	s_or_b32 exec_lo, exec_lo, s21
	v_mov_b32_e32 v1, 0
	s_mov_b32 s21, exec_lo
	v_cmpx_lt_u32_e32 0xffffff, v33
	s_cbranch_execz .LBB444_348
; %bb.341:                              ;   in Loop: Header=BB444_13 Depth=1
	v_lshrrev_b32_e32 v0, 24, v33
	v_bfrev_b32_e32 v1, 1
	s_mov_b32 s22, exec_lo
	s_delay_alu instid0(VALU_DEP_2)
	v_cmpx_ne_u32_e32 0x80, v0
	s_cbranch_execz .LBB444_347
; %bb.342:                              ;   in Loop: Header=BB444_13 Depth=1
	v_bfe_u32 v2, v33, 24, 7
	v_mov_b32_e32 v1, 0x7f800001
	s_mov_b32 s23, exec_lo
	s_delay_alu instid0(VALU_DEP_2)
	v_cmpx_ne_u32_e32 0x7f, v2
	s_cbranch_execz .LBB444_346
; %bb.343:                              ;   in Loop: Header=BB444_13 Depth=1
	v_and_b32_e32 v19, 7, v0
	v_lshrrev_b32_e32 v1, 3, v2
	v_mov_b32_e32 v36, v20
	s_mov_b32 s24, exec_lo
	s_delay_alu instid0(VALU_DEP_3)
	v_mov_b32_e32 v35, v19
	v_cmpx_gt_u32_e32 8, v2
; %bb.344:                              ;   in Loop: Header=BB444_13 Depth=1
	v_clz_i32_u32_e32 v1, v19
	s_delay_alu instid0(VALU_DEP_1) | instskip(NEXT) | instid1(VALU_DEP_1)
	v_min_u32_e32 v1, 32, v1
	v_subrev_nc_u32_e32 v2, 28, v1
	v_sub_nc_u32_e32 v1, 29, v1
	s_delay_alu instid0(VALU_DEP_2) | instskip(NEXT) | instid1(VALU_DEP_1)
	v_lshlrev_b64 v[2:3], v2, v[19:20]
	v_and_b32_e32 v35, 7, v2
; %bb.345:                              ;   in Loop: Header=BB444_13 Depth=1
	s_or_b32 exec_lo, exec_lo, s24
	v_lshlrev_b32_e32 v0, 24, v0
	s_delay_alu instid0(VALU_DEP_2) | instskip(SKIP_1) | instid1(VALU_DEP_3)
	v_lshlrev_b32_e32 v2, 20, v35
	v_lshl_add_u32 v1, v1, 23, 0x3c000000
	v_and_b32_e32 v0, 0x80000000, v0
	s_delay_alu instid0(VALU_DEP_1)
	v_or3_b32 v1, v2, v0, v1
.LBB444_346:                            ;   in Loop: Header=BB444_13 Depth=1
	s_or_b32 exec_lo, exec_lo, s23
.LBB444_347:                            ;   in Loop: Header=BB444_13 Depth=1
	s_delay_alu instid0(SALU_CYCLE_1)
	s_or_b32 exec_lo, exec_lo, s22
.LBB444_348:                            ;   in Loop: Header=BB444_13 Depth=1
	s_delay_alu instid0(SALU_CYCLE_1) | instskip(NEXT) | instid1(VALU_DEP_1)
	s_or_b32 exec_lo, exec_lo, s21
	v_mul_f32_e32 v0, v171, v1
                                        ; implicit-def: $vgpr10
	s_delay_alu instid0(VALU_DEP_1) | instskip(NEXT) | instid1(VALU_DEP_1)
	v_and_b32_e32 v1, 0x7f800000, v0
	v_cmp_ne_u32_e64 s1, 0x7f800000, v1
	s_delay_alu instid0(VALU_DEP_1) | instskip(NEXT) | instid1(SALU_CYCLE_1)
	s_and_saveexec_b32 s21, s1
	s_xor_b32 s1, exec_lo, s21
; %bb.349:                              ;   in Loop: Header=BB444_13 Depth=1
	v_bfe_u32 v1, v0, 16, 1
	s_delay_alu instid0(VALU_DEP_1)
	v_add3_u32 v10, v0, v1, 0x7fff
                                        ; implicit-def: $vgpr0
; %bb.350:                              ;   in Loop: Header=BB444_13 Depth=1
	s_and_not1_saveexec_b32 s21, s1
; %bb.351:                              ;   in Loop: Header=BB444_13 Depth=1
	v_and_b32_e32 v1, 0xffff, v0
	v_or_b32_e32 v2, 0x10000, v0
	s_delay_alu instid0(VALU_DEP_2) | instskip(NEXT) | instid1(VALU_DEP_1)
	v_cmp_eq_u32_e64 s1, 0, v1
	v_cndmask_b32_e64 v10, v2, v0, s1
; %bb.352:                              ;   in Loop: Header=BB444_13 Depth=1
	s_or_b32 exec_lo, exec_lo, s21
	v_dual_mov_b32 v0, 0 :: v_dual_and_b32 v1, 0xff, v34
	v_mov_b32_e32 v19, v34
	s_mov_b32 s21, exec_lo
	s_delay_alu instid0(VALU_DEP_2)
	v_cmpx_ne_u16_e32 0, v1
	s_cbranch_execz .LBB444_360
; %bb.353:                              ;   in Loop: Header=BB444_13 Depth=1
	v_bfrev_b32_e32 v0, 1
	s_mov_b32 s22, exec_lo
	v_cmpx_ne_u16_e32 0x80, v1
	s_cbranch_execz .LBB444_359
; %bb.354:                              ;   in Loop: Header=BB444_13 Depth=1
	v_and_b32_e32 v1, 0x7f, v34
	v_mov_b32_e32 v0, 0x7f800001
	s_mov_b32 s23, exec_lo
	s_delay_alu instid0(VALU_DEP_2)
	v_cmpx_ne_u32_e32 0x7f, v1
	s_cbranch_execz .LBB444_358
; %bb.355:                              ;   in Loop: Header=BB444_13 Depth=1
	v_lshrrev_b32_e32 v0, 3, v1
	v_dual_mov_b32 v36, v20 :: v_dual_mov_b32 v35, v19
	s_mov_b32 s24, exec_lo
	v_cmpx_gt_u32_e32 8, v1
; %bb.356:                              ;   in Loop: Header=BB444_13 Depth=1
	v_and_b32_e32 v0, 7, v34
	s_delay_alu instid0(VALU_DEP_1) | instskip(NEXT) | instid1(VALU_DEP_1)
	v_clz_i32_u32_e32 v0, v0
	v_min_u32_e32 v0, 32, v0
	s_delay_alu instid0(VALU_DEP_1) | instskip(SKIP_1) | instid1(VALU_DEP_2)
	v_subrev_nc_u32_e32 v1, 28, v0
	v_sub_nc_u32_e32 v0, 29, v0
	v_lshlrev_b64 v[35:36], v1, v[19:20]
; %bb.357:                              ;   in Loop: Header=BB444_13 Depth=1
	s_or_b32 exec_lo, exec_lo, s24
	s_delay_alu instid0(VALU_DEP_1) | instskip(SKIP_2) | instid1(VALU_DEP_3)
	v_lshlrev_b32_e32 v1, 20, v35
	v_lshlrev_b32_e32 v2, 24, v19
	v_lshl_add_u32 v0, v0, 23, 0x3c000000
	v_and_b32_e32 v1, 0x700000, v1
	s_delay_alu instid0(VALU_DEP_3) | instskip(NEXT) | instid1(VALU_DEP_1)
	v_and_b32_e32 v2, 0x80000000, v2
	v_or3_b32 v0, v1, v2, v0
.LBB444_358:                            ;   in Loop: Header=BB444_13 Depth=1
	s_or_b32 exec_lo, exec_lo, s23
.LBB444_359:                            ;   in Loop: Header=BB444_13 Depth=1
	s_delay_alu instid0(SALU_CYCLE_1)
	s_or_b32 exec_lo, exec_lo, s22
.LBB444_360:                            ;   in Loop: Header=BB444_13 Depth=1
	s_delay_alu instid0(SALU_CYCLE_1) | instskip(NEXT) | instid1(VALU_DEP_1)
	s_or_b32 exec_lo, exec_lo, s21
	v_mul_f32_e32 v0, v171, v0
	s_delay_alu instid0(VALU_DEP_1) | instskip(NEXT) | instid1(VALU_DEP_1)
	v_and_b32_e32 v1, 0x7f800000, v0
	v_cmp_ne_u32_e64 s1, 0x7f800000, v1
                                        ; implicit-def: $vgpr1
	s_delay_alu instid0(VALU_DEP_1) | instskip(NEXT) | instid1(SALU_CYCLE_1)
	s_and_saveexec_b32 s21, s1
	s_xor_b32 s1, exec_lo, s21
; %bb.361:                              ;   in Loop: Header=BB444_13 Depth=1
	v_bfe_u32 v1, v0, 16, 1
	s_delay_alu instid0(VALU_DEP_1)
	v_add3_u32 v1, v0, v1, 0x7fff
                                        ; implicit-def: $vgpr0
; %bb.362:                              ;   in Loop: Header=BB444_13 Depth=1
	s_and_not1_saveexec_b32 s21, s1
; %bb.363:                              ;   in Loop: Header=BB444_13 Depth=1
	v_and_b32_e32 v1, 0xffff, v0
	v_or_b32_e32 v2, 0x10000, v0
	s_delay_alu instid0(VALU_DEP_2) | instskip(NEXT) | instid1(VALU_DEP_1)
	v_cmp_eq_u32_e64 s1, 0, v1
	v_cndmask_b32_e64 v1, v2, v0, s1
; %bb.364:                              ;   in Loop: Header=BB444_13 Depth=1
	s_or_b32 exec_lo, exec_lo, s21
	v_lshrrev_b16 v2, 8, v19
	v_mov_b32_e32 v0, 0
	s_mov_b32 s21, exec_lo
	s_delay_alu instid0(VALU_DEP_2)
	v_cmpx_ne_u16_e32 0, v2
	s_cbranch_execz .LBB444_372
; %bb.365:                              ;   in Loop: Header=BB444_13 Depth=1
	v_bfrev_b32_e32 v0, 1
	s_mov_b32 s22, exec_lo
	v_cmpx_ne_u16_e32 0x80, v2
	s_cbranch_execz .LBB444_371
; %bb.366:                              ;   in Loop: Header=BB444_13 Depth=1
	v_and_b32_e32 v3, 0xffff, v2
	v_mov_b32_e32 v0, 0x7f800001
	s_mov_b32 s23, exec_lo
	s_delay_alu instid0(VALU_DEP_2) | instskip(NEXT) | instid1(VALU_DEP_1)
	v_and_b32_e32 v2, 0x7f, v3
	v_cmpx_ne_u32_e32 0x7f, v2
	s_cbranch_execz .LBB444_370
; %bb.367:                              ;   in Loop: Header=BB444_13 Depth=1
	v_dual_mov_b32 v36, v20 :: v_dual_and_b32 v35, 7, v3
	v_lshrrev_b32_e32 v0, 3, v2
	s_mov_b32 s24, exec_lo
	v_cmpx_gt_u32_e32 8, v2
; %bb.368:                              ;   in Loop: Header=BB444_13 Depth=1
	s_delay_alu instid0(VALU_DEP_3) | instskip(NEXT) | instid1(VALU_DEP_1)
	v_clz_i32_u32_e32 v0, v35
	v_min_u32_e32 v0, 32, v0
	s_delay_alu instid0(VALU_DEP_1) | instskip(SKIP_1) | instid1(VALU_DEP_2)
	v_subrev_nc_u32_e32 v2, 28, v0
	v_sub_nc_u32_e32 v0, 29, v0
	v_lshlrev_b64 v[2:3], v2, v[35:36]
	s_delay_alu instid0(VALU_DEP_1)
	v_and_b32_e32 v35, 7, v2
; %bb.369:                              ;   in Loop: Header=BB444_13 Depth=1
	s_or_b32 exec_lo, exec_lo, s24
	v_lshlrev_b32_e32 v2, 16, v19
	s_delay_alu instid0(VALU_DEP_2) | instskip(SKIP_1) | instid1(VALU_DEP_3)
	v_lshlrev_b32_e32 v3, 20, v35
	v_lshl_add_u32 v0, v0, 23, 0x3c000000
	v_and_b32_e32 v2, 0x80000000, v2
	s_delay_alu instid0(VALU_DEP_1)
	v_or3_b32 v0, v3, v2, v0
.LBB444_370:                            ;   in Loop: Header=BB444_13 Depth=1
	s_or_b32 exec_lo, exec_lo, s23
.LBB444_371:                            ;   in Loop: Header=BB444_13 Depth=1
	s_delay_alu instid0(SALU_CYCLE_1)
	s_or_b32 exec_lo, exec_lo, s22
.LBB444_372:                            ;   in Loop: Header=BB444_13 Depth=1
	s_delay_alu instid0(SALU_CYCLE_1) | instskip(NEXT) | instid1(VALU_DEP_1)
	s_or_b32 exec_lo, exec_lo, s21
	v_mul_f32_e32 v2, v171, v0
	s_delay_alu instid0(VALU_DEP_1) | instskip(NEXT) | instid1(VALU_DEP_1)
	v_and_b32_e32 v0, 0x7f800000, v2
	v_cmp_ne_u32_e64 s1, 0x7f800000, v0
                                        ; implicit-def: $vgpr0
	s_delay_alu instid0(VALU_DEP_1) | instskip(NEXT) | instid1(SALU_CYCLE_1)
	s_and_saveexec_b32 s21, s1
	s_xor_b32 s1, exec_lo, s21
; %bb.373:                              ;   in Loop: Header=BB444_13 Depth=1
	v_bfe_u32 v0, v2, 16, 1
	s_delay_alu instid0(VALU_DEP_1)
	v_add3_u32 v0, v2, v0, 0x7fff
                                        ; implicit-def: $vgpr2
; %bb.374:                              ;   in Loop: Header=BB444_13 Depth=1
	s_and_not1_saveexec_b32 s21, s1
; %bb.375:                              ;   in Loop: Header=BB444_13 Depth=1
	v_and_b32_e32 v0, 0xffff, v2
	v_or_b32_e32 v3, 0x10000, v2
	s_delay_alu instid0(VALU_DEP_2) | instskip(NEXT) | instid1(VALU_DEP_1)
	v_cmp_eq_u32_e64 s1, 0, v0
	v_cndmask_b32_e64 v0, v3, v2, s1
; %bb.376:                              ;   in Loop: Header=BB444_13 Depth=1
	s_or_b32 exec_lo, exec_lo, s21
	v_lshrrev_b32_e32 v2, 16, v34
	s_mov_b32 s21, exec_lo
	s_delay_alu instid0(VALU_DEP_1) | instskip(NEXT) | instid1(VALU_DEP_1)
	v_dual_mov_b32 v3, 0 :: v_dual_and_b32 v14, 0xff, v2
	v_cmpx_ne_u16_e32 0, v14
	s_cbranch_execz .LBB444_384
; %bb.377:                              ;   in Loop: Header=BB444_13 Depth=1
	v_bfrev_b32_e32 v3, 1
	s_mov_b32 s22, exec_lo
	v_cmpx_ne_u16_e32 0x80, v14
	s_cbranch_execz .LBB444_383
; %bb.378:                              ;   in Loop: Header=BB444_13 Depth=1
	v_bfe_u32 v14, v34, 16, 7
	v_mov_b32_e32 v3, 0x7f800001
	s_mov_b32 s23, exec_lo
	s_delay_alu instid0(VALU_DEP_2)
	v_cmpx_ne_u32_e32 0x7f, v14
	s_cbranch_execz .LBB444_382
; %bb.379:                              ;   in Loop: Header=BB444_13 Depth=1
	v_and_b32_e32 v19, 7, v2
	v_lshrrev_b32_e32 v3, 3, v14
	v_mov_b32_e32 v36, v20
	s_mov_b32 s24, exec_lo
	s_delay_alu instid0(VALU_DEP_3)
	v_mov_b32_e32 v35, v19
	v_cmpx_gt_u32_e32 8, v14
; %bb.380:                              ;   in Loop: Header=BB444_13 Depth=1
	v_clz_i32_u32_e32 v3, v19
	s_delay_alu instid0(VALU_DEP_1) | instskip(NEXT) | instid1(VALU_DEP_1)
	v_min_u32_e32 v3, 32, v3
	v_subrev_nc_u32_e32 v14, 28, v3
	v_sub_nc_u32_e32 v3, 29, v3
	s_delay_alu instid0(VALU_DEP_2) | instskip(NEXT) | instid1(VALU_DEP_1)
	v_lshlrev_b64 v[14:15], v14, v[19:20]
	v_and_b32_e32 v35, 7, v14
; %bb.381:                              ;   in Loop: Header=BB444_13 Depth=1
	s_or_b32 exec_lo, exec_lo, s24
	v_lshlrev_b32_e32 v2, 24, v2
	s_delay_alu instid0(VALU_DEP_2) | instskip(SKIP_1) | instid1(VALU_DEP_3)
	v_lshlrev_b32_e32 v14, 20, v35
	v_lshl_add_u32 v3, v3, 23, 0x3c000000
	v_and_b32_e32 v2, 0x80000000, v2
	s_delay_alu instid0(VALU_DEP_1)
	v_or3_b32 v3, v14, v2, v3
.LBB444_382:                            ;   in Loop: Header=BB444_13 Depth=1
	s_or_b32 exec_lo, exec_lo, s23
.LBB444_383:                            ;   in Loop: Header=BB444_13 Depth=1
	s_delay_alu instid0(SALU_CYCLE_1)
	s_or_b32 exec_lo, exec_lo, s22
.LBB444_384:                            ;   in Loop: Header=BB444_13 Depth=1
	s_delay_alu instid0(SALU_CYCLE_1) | instskip(NEXT) | instid1(VALU_DEP_1)
	s_or_b32 exec_lo, exec_lo, s21
	v_mul_f32_e32 v2, v171, v3
	s_delay_alu instid0(VALU_DEP_1) | instskip(NEXT) | instid1(VALU_DEP_1)
	v_and_b32_e32 v3, 0x7f800000, v2
	v_cmp_ne_u32_e64 s1, 0x7f800000, v3
                                        ; implicit-def: $vgpr3
	s_delay_alu instid0(VALU_DEP_1) | instskip(NEXT) | instid1(SALU_CYCLE_1)
	s_and_saveexec_b32 s21, s1
	s_xor_b32 s1, exec_lo, s21
; %bb.385:                              ;   in Loop: Header=BB444_13 Depth=1
	v_bfe_u32 v3, v2, 16, 1
	s_delay_alu instid0(VALU_DEP_1)
	v_add3_u32 v3, v2, v3, 0x7fff
                                        ; implicit-def: $vgpr2
; %bb.386:                              ;   in Loop: Header=BB444_13 Depth=1
	s_and_not1_saveexec_b32 s21, s1
; %bb.387:                              ;   in Loop: Header=BB444_13 Depth=1
	v_and_b32_e32 v3, 0xffff, v2
	v_or_b32_e32 v14, 0x10000, v2
	s_delay_alu instid0(VALU_DEP_2) | instskip(NEXT) | instid1(VALU_DEP_1)
	v_cmp_eq_u32_e64 s1, 0, v3
	v_cndmask_b32_e64 v3, v14, v2, s1
; %bb.388:                              ;   in Loop: Header=BB444_13 Depth=1
	s_or_b32 exec_lo, exec_lo, s21
	v_mov_b32_e32 v14, 0
	s_mov_b32 s21, exec_lo
	v_cmpx_lt_u64_e64 s[16:17], v[33:34]
	s_cbranch_execz .LBB444_396
; %bb.389:                              ;   in Loop: Header=BB444_13 Depth=1
	v_lshrrev_b32_e32 v2, 24, v34
	v_bfrev_b32_e32 v14, 1
	s_mov_b32 s22, exec_lo
	s_delay_alu instid0(VALU_DEP_2)
	v_cmpx_ne_u32_e32 0x80, v2
	s_cbranch_execz .LBB444_395
; %bb.390:                              ;   in Loop: Header=BB444_13 Depth=1
	v_bfe_u32 v15, v34, 24, 7
	v_mov_b32_e32 v14, 0x7f800001
	s_mov_b32 s23, exec_lo
	s_delay_alu instid0(VALU_DEP_2)
	v_cmpx_ne_u32_e32 0x7f, v15
	s_cbranch_execz .LBB444_394
; %bb.391:                              ;   in Loop: Header=BB444_13 Depth=1
	v_and_b32_e32 v19, 7, v2
	v_lshrrev_b32_e32 v14, 3, v15
	v_mov_b32_e32 v34, v20
	s_mov_b32 s24, exec_lo
	s_delay_alu instid0(VALU_DEP_3)
	v_mov_b32_e32 v33, v19
	v_cmpx_gt_u32_e32 8, v15
; %bb.392:                              ;   in Loop: Header=BB444_13 Depth=1
	v_clz_i32_u32_e32 v14, v19
	s_delay_alu instid0(VALU_DEP_1) | instskip(NEXT) | instid1(VALU_DEP_1)
	v_min_u32_e32 v14, 32, v14
	v_subrev_nc_u32_e32 v15, 28, v14
	v_sub_nc_u32_e32 v14, 29, v14
	s_delay_alu instid0(VALU_DEP_2) | instskip(NEXT) | instid1(VALU_DEP_1)
	v_lshlrev_b64 v[33:34], v15, v[19:20]
	v_and_b32_e32 v33, 7, v33
; %bb.393:                              ;   in Loop: Header=BB444_13 Depth=1
	s_or_b32 exec_lo, exec_lo, s24
	v_lshlrev_b32_e32 v2, 24, v2
	s_delay_alu instid0(VALU_DEP_2) | instskip(SKIP_1) | instid1(VALU_DEP_3)
	v_lshlrev_b32_e32 v15, 20, v33
	v_lshl_add_u32 v14, v14, 23, 0x3c000000
	v_and_b32_e32 v2, 0x80000000, v2
	s_delay_alu instid0(VALU_DEP_1)
	v_or3_b32 v14, v15, v2, v14
.LBB444_394:                            ;   in Loop: Header=BB444_13 Depth=1
	s_or_b32 exec_lo, exec_lo, s23
.LBB444_395:                            ;   in Loop: Header=BB444_13 Depth=1
	s_delay_alu instid0(SALU_CYCLE_1)
	s_or_b32 exec_lo, exec_lo, s22
.LBB444_396:                            ;   in Loop: Header=BB444_13 Depth=1
	s_delay_alu instid0(SALU_CYCLE_1) | instskip(NEXT) | instid1(VALU_DEP_1)
	s_or_b32 exec_lo, exec_lo, s21
	v_mul_f32_e32 v14, v171, v14
	s_delay_alu instid0(VALU_DEP_1) | instskip(NEXT) | instid1(VALU_DEP_1)
	v_and_b32_e32 v2, 0x7f800000, v14
	v_cmp_ne_u32_e64 s1, 0x7f800000, v2
                                        ; implicit-def: $vgpr2
	s_delay_alu instid0(VALU_DEP_1) | instskip(NEXT) | instid1(SALU_CYCLE_1)
	s_and_saveexec_b32 s21, s1
	s_xor_b32 s1, exec_lo, s21
; %bb.397:                              ;   in Loop: Header=BB444_13 Depth=1
	v_bfe_u32 v2, v14, 16, 1
	s_delay_alu instid0(VALU_DEP_1)
	v_add3_u32 v2, v14, v2, 0x7fff
                                        ; implicit-def: $vgpr14
; %bb.398:                              ;   in Loop: Header=BB444_13 Depth=1
	s_and_not1_saveexec_b32 s21, s1
; %bb.399:                              ;   in Loop: Header=BB444_13 Depth=1
	v_and_b32_e32 v2, 0xffff, v14
	v_or_b32_e32 v15, 0x10000, v14
	s_delay_alu instid0(VALU_DEP_2) | instskip(NEXT) | instid1(VALU_DEP_1)
	v_cmp_eq_u32_e64 s1, 0, v2
	v_cndmask_b32_e64 v2, v15, v14, s1
; %bb.400:                              ;   in Loop: Header=BB444_13 Depth=1
	s_or_b32 exec_lo, exec_lo, s21
	flat_load_b64 v[33:34], v[31:32] offset:1024
	s_mov_b32 s21, exec_lo
	s_waitcnt vmcnt(0) lgkmcnt(0)
	v_dual_mov_b32 v14, 0 :: v_dual_and_b32 v15, 0xff, v33
	s_delay_alu instid0(VALU_DEP_1)
	v_cmpx_ne_u16_e32 0, v15
	s_cbranch_execz .LBB444_408
; %bb.401:                              ;   in Loop: Header=BB444_13 Depth=1
	v_bfrev_b32_e32 v14, 1
	s_mov_b32 s22, exec_lo
	v_cmpx_ne_u16_e32 0x80, v15
	s_cbranch_execz .LBB444_407
; %bb.402:                              ;   in Loop: Header=BB444_13 Depth=1
	v_and_b32_e32 v15, 0x7f, v33
	v_mov_b32_e32 v14, 0x7f800001
	s_mov_b32 s23, exec_lo
	s_delay_alu instid0(VALU_DEP_2)
	v_cmpx_ne_u32_e32 0x7f, v15
	s_cbranch_execz .LBB444_406
; %bb.403:                              ;   in Loop: Header=BB444_13 Depth=1
	v_lshrrev_b32_e32 v14, 3, v15
	v_dual_mov_b32 v36, v34 :: v_dual_mov_b32 v35, v33
	s_mov_b32 s24, exec_lo
	v_cmpx_gt_u32_e32 8, v15
; %bb.404:                              ;   in Loop: Header=BB444_13 Depth=1
	v_and_b32_e32 v14, 7, v33
	s_delay_alu instid0(VALU_DEP_1) | instskip(NEXT) | instid1(VALU_DEP_1)
	v_clz_i32_u32_e32 v14, v14
	v_min_u32_e32 v14, 32, v14
	s_delay_alu instid0(VALU_DEP_1) | instskip(SKIP_1) | instid1(VALU_DEP_2)
	v_subrev_nc_u32_e32 v15, 28, v14
	v_sub_nc_u32_e32 v14, 29, v14
	v_lshlrev_b64 v[35:36], v15, v[33:34]
; %bb.405:                              ;   in Loop: Header=BB444_13 Depth=1
	s_or_b32 exec_lo, exec_lo, s24
	s_delay_alu instid0(VALU_DEP_1) | instskip(SKIP_2) | instid1(VALU_DEP_3)
	v_lshlrev_b32_e32 v15, 20, v35
	v_lshlrev_b32_e32 v19, 24, v33
	v_lshl_add_u32 v14, v14, 23, 0x3c000000
	v_and_b32_e32 v15, 0x700000, v15
	s_delay_alu instid0(VALU_DEP_3) | instskip(NEXT) | instid1(VALU_DEP_1)
	v_and_b32_e32 v19, 0x80000000, v19
	v_or3_b32 v14, v15, v19, v14
.LBB444_406:                            ;   in Loop: Header=BB444_13 Depth=1
	s_or_b32 exec_lo, exec_lo, s23
.LBB444_407:                            ;   in Loop: Header=BB444_13 Depth=1
	s_delay_alu instid0(SALU_CYCLE_1)
	s_or_b32 exec_lo, exec_lo, s22
.LBB444_408:                            ;   in Loop: Header=BB444_13 Depth=1
	s_delay_alu instid0(SALU_CYCLE_1) | instskip(NEXT) | instid1(VALU_DEP_1)
	s_or_b32 exec_lo, exec_lo, s21
	v_mul_f32_e32 v14, v171, v14
	s_delay_alu instid0(VALU_DEP_1) | instskip(NEXT) | instid1(VALU_DEP_1)
	v_and_b32_e32 v15, 0x7f800000, v14
	v_cmp_ne_u32_e64 s1, 0x7f800000, v15
                                        ; implicit-def: $vgpr15
	s_delay_alu instid0(VALU_DEP_1) | instskip(NEXT) | instid1(SALU_CYCLE_1)
	s_and_saveexec_b32 s21, s1
	s_xor_b32 s1, exec_lo, s21
; %bb.409:                              ;   in Loop: Header=BB444_13 Depth=1
	v_bfe_u32 v15, v14, 16, 1
	s_delay_alu instid0(VALU_DEP_1)
	v_add3_u32 v15, v14, v15, 0x7fff
                                        ; implicit-def: $vgpr14
; %bb.410:                              ;   in Loop: Header=BB444_13 Depth=1
	s_and_not1_saveexec_b32 s21, s1
; %bb.411:                              ;   in Loop: Header=BB444_13 Depth=1
	v_and_b32_e32 v15, 0xffff, v14
	v_or_b32_e32 v19, 0x10000, v14
	s_delay_alu instid0(VALU_DEP_2) | instskip(NEXT) | instid1(VALU_DEP_1)
	v_cmp_eq_u32_e64 s1, 0, v15
	v_cndmask_b32_e64 v15, v19, v14, s1
; %bb.412:                              ;   in Loop: Header=BB444_13 Depth=1
	s_or_b32 exec_lo, exec_lo, s21
	v_lshrrev_b16 v19, 8, v33
	v_mov_b32_e32 v14, 0
	s_mov_b32 s21, exec_lo
	s_delay_alu instid0(VALU_DEP_2)
	v_cmpx_ne_u16_e32 0, v19
	s_cbranch_execz .LBB444_420
; %bb.413:                              ;   in Loop: Header=BB444_13 Depth=1
	v_bfrev_b32_e32 v14, 1
	s_mov_b32 s22, exec_lo
	v_cmpx_ne_u16_e32 0x80, v19
	s_cbranch_execz .LBB444_419
; %bb.414:                              ;   in Loop: Header=BB444_13 Depth=1
	v_and_b32_e32 v19, 0xffff, v19
	v_mov_b32_e32 v14, 0x7f800001
	s_mov_b32 s23, exec_lo
	s_delay_alu instid0(VALU_DEP_2) | instskip(NEXT) | instid1(VALU_DEP_1)
	v_and_b32_e32 v30, 0x7f, v19
	v_cmpx_ne_u32_e32 0x7f, v30
	s_cbranch_execz .LBB444_418
; %bb.415:                              ;   in Loop: Header=BB444_13 Depth=1
	v_and_b32_e32 v19, 7, v19
	v_lshrrev_b32_e32 v14, 3, v30
	v_mov_b32_e32 v36, v20
	s_mov_b32 s24, exec_lo
	s_delay_alu instid0(VALU_DEP_3)
	v_mov_b32_e32 v35, v19
	v_cmpx_gt_u32_e32 8, v30
; %bb.416:                              ;   in Loop: Header=BB444_13 Depth=1
	v_clz_i32_u32_e32 v14, v19
	s_delay_alu instid0(VALU_DEP_1) | instskip(NEXT) | instid1(VALU_DEP_1)
	v_min_u32_e32 v14, 32, v14
	v_subrev_nc_u32_e32 v30, 28, v14
	v_sub_nc_u32_e32 v14, 29, v14
	s_delay_alu instid0(VALU_DEP_2) | instskip(NEXT) | instid1(VALU_DEP_1)
	v_lshlrev_b64 v[35:36], v30, v[19:20]
	v_and_b32_e32 v35, 7, v35
; %bb.417:                              ;   in Loop: Header=BB444_13 Depth=1
	s_or_b32 exec_lo, exec_lo, s24
	v_lshlrev_b32_e32 v19, 16, v33
	s_delay_alu instid0(VALU_DEP_2) | instskip(SKIP_1) | instid1(VALU_DEP_3)
	v_lshlrev_b32_e32 v30, 20, v35
	v_lshl_add_u32 v14, v14, 23, 0x3c000000
	v_and_b32_e32 v19, 0x80000000, v19
	s_delay_alu instid0(VALU_DEP_1)
	v_or3_b32 v14, v30, v19, v14
.LBB444_418:                            ;   in Loop: Header=BB444_13 Depth=1
	s_or_b32 exec_lo, exec_lo, s23
.LBB444_419:                            ;   in Loop: Header=BB444_13 Depth=1
	s_delay_alu instid0(SALU_CYCLE_1)
	s_or_b32 exec_lo, exec_lo, s22
.LBB444_420:                            ;   in Loop: Header=BB444_13 Depth=1
	s_delay_alu instid0(SALU_CYCLE_1) | instskip(NEXT) | instid1(VALU_DEP_1)
	s_or_b32 exec_lo, exec_lo, s21
	v_mul_f32_e32 v19, v171, v14
	s_delay_alu instid0(VALU_DEP_1) | instskip(NEXT) | instid1(VALU_DEP_1)
	v_and_b32_e32 v14, 0x7f800000, v19
	v_cmp_ne_u32_e64 s1, 0x7f800000, v14
                                        ; implicit-def: $vgpr14
	s_delay_alu instid0(VALU_DEP_1) | instskip(NEXT) | instid1(SALU_CYCLE_1)
	s_and_saveexec_b32 s21, s1
	s_xor_b32 s1, exec_lo, s21
; %bb.421:                              ;   in Loop: Header=BB444_13 Depth=1
	v_bfe_u32 v14, v19, 16, 1
	s_delay_alu instid0(VALU_DEP_1)
	v_add3_u32 v14, v19, v14, 0x7fff
                                        ; implicit-def: $vgpr19
; %bb.422:                              ;   in Loop: Header=BB444_13 Depth=1
	s_and_not1_saveexec_b32 s21, s1
; %bb.423:                              ;   in Loop: Header=BB444_13 Depth=1
	v_and_b32_e32 v14, 0xffff, v19
	v_or_b32_e32 v30, 0x10000, v19
	s_delay_alu instid0(VALU_DEP_2) | instskip(NEXT) | instid1(VALU_DEP_1)
	v_cmp_eq_u32_e64 s1, 0, v14
	v_cndmask_b32_e64 v14, v30, v19, s1
; %bb.424:                              ;   in Loop: Header=BB444_13 Depth=1
	s_or_b32 exec_lo, exec_lo, s21
	v_lshrrev_b32_e32 v30, 16, v33
	v_mov_b32_e32 v19, 0
	s_mov_b32 s21, exec_lo
	s_delay_alu instid0(VALU_DEP_2) | instskip(NEXT) | instid1(VALU_DEP_1)
	v_and_b32_e32 v35, 0xff, v30
	v_cmpx_ne_u16_e32 0, v35
	s_cbranch_execz .LBB444_432
; %bb.425:                              ;   in Loop: Header=BB444_13 Depth=1
	v_bfrev_b32_e32 v19, 1
	s_mov_b32 s22, exec_lo
	v_cmpx_ne_u16_e32 0x80, v35
	s_cbranch_execz .LBB444_431
; %bb.426:                              ;   in Loop: Header=BB444_13 Depth=1
	v_bfe_u32 v35, v33, 16, 7
	v_mov_b32_e32 v19, 0x7f800001
	s_mov_b32 s23, exec_lo
	s_delay_alu instid0(VALU_DEP_2)
	v_cmpx_ne_u32_e32 0x7f, v35
	s_cbranch_execz .LBB444_430
; %bb.427:                              ;   in Loop: Header=BB444_13 Depth=1
	v_and_b32_e32 v19, 7, v30
	v_lshrrev_b32_e32 v64, 3, v35
	v_cmp_gt_u32_e64 s1, 8, v35
	s_delay_alu instid0(VALU_DEP_3) | instskip(NEXT) | instid1(VALU_DEP_2)
	v_dual_mov_b32 v36, v20 :: v_dual_mov_b32 v35, v19
	s_and_saveexec_b32 s24, s1
; %bb.428:                              ;   in Loop: Header=BB444_13 Depth=1
	v_clz_i32_u32_e32 v35, v19
	s_delay_alu instid0(VALU_DEP_1) | instskip(NEXT) | instid1(VALU_DEP_1)
	v_min_u32_e32 v64, 32, v35
	v_subrev_nc_u32_e32 v35, 28, v64
	v_sub_nc_u32_e32 v64, 29, v64
	s_delay_alu instid0(VALU_DEP_2) | instskip(NEXT) | instid1(VALU_DEP_1)
	v_lshlrev_b64 v[35:36], v35, v[19:20]
	v_and_b32_e32 v35, 7, v35
; %bb.429:                              ;   in Loop: Header=BB444_13 Depth=1
	s_or_b32 exec_lo, exec_lo, s24
	v_lshlrev_b32_e32 v19, 24, v30
	s_delay_alu instid0(VALU_DEP_2) | instskip(SKIP_1) | instid1(VALU_DEP_3)
	v_lshlrev_b32_e32 v30, 20, v35
	v_lshl_add_u32 v35, v64, 23, 0x3c000000
	v_and_b32_e32 v19, 0x80000000, v19
	s_delay_alu instid0(VALU_DEP_1)
	v_or3_b32 v19, v30, v19, v35
.LBB444_430:                            ;   in Loop: Header=BB444_13 Depth=1
	s_or_b32 exec_lo, exec_lo, s23
.LBB444_431:                            ;   in Loop: Header=BB444_13 Depth=1
	s_delay_alu instid0(SALU_CYCLE_1)
	s_or_b32 exec_lo, exec_lo, s22
.LBB444_432:                            ;   in Loop: Header=BB444_13 Depth=1
	s_delay_alu instid0(SALU_CYCLE_1) | instskip(NEXT) | instid1(VALU_DEP_1)
	s_or_b32 exec_lo, exec_lo, s21
	v_mul_f32_e32 v19, v171, v19
	s_delay_alu instid0(VALU_DEP_1) | instskip(NEXT) | instid1(VALU_DEP_1)
	v_and_b32_e32 v30, 0x7f800000, v19
	v_cmp_ne_u32_e64 s1, 0x7f800000, v30
                                        ; implicit-def: $vgpr30
	s_delay_alu instid0(VALU_DEP_1) | instskip(NEXT) | instid1(SALU_CYCLE_1)
	s_and_saveexec_b32 s21, s1
	s_xor_b32 s1, exec_lo, s21
; %bb.433:                              ;   in Loop: Header=BB444_13 Depth=1
	v_bfe_u32 v30, v19, 16, 1
	s_delay_alu instid0(VALU_DEP_1)
	v_add3_u32 v30, v19, v30, 0x7fff
                                        ; implicit-def: $vgpr19
; %bb.434:                              ;   in Loop: Header=BB444_13 Depth=1
	s_and_not1_saveexec_b32 s21, s1
; %bb.435:                              ;   in Loop: Header=BB444_13 Depth=1
	v_and_b32_e32 v30, 0xffff, v19
	v_or_b32_e32 v35, 0x10000, v19
	s_delay_alu instid0(VALU_DEP_2) | instskip(NEXT) | instid1(VALU_DEP_1)
	v_cmp_eq_u32_e64 s1, 0, v30
	v_cndmask_b32_e64 v30, v35, v19, s1
; %bb.436:                              ;   in Loop: Header=BB444_13 Depth=1
	s_or_b32 exec_lo, exec_lo, s21
	v_mov_b32_e32 v19, 0
	s_mov_b32 s21, exec_lo
	v_cmpx_lt_u32_e32 0xffffff, v33
	s_cbranch_execz .LBB444_444
; %bb.437:                              ;   in Loop: Header=BB444_13 Depth=1
	v_lshrrev_b32_e32 v64, 24, v33
	v_bfrev_b32_e32 v19, 1
	s_mov_b32 s22, exec_lo
	s_delay_alu instid0(VALU_DEP_2)
	v_cmpx_ne_u32_e32 0x80, v64
	s_cbranch_execz .LBB444_443
; %bb.438:                              ;   in Loop: Header=BB444_13 Depth=1
	v_bfe_u32 v35, v33, 24, 7
	v_mov_b32_e32 v19, 0x7f800001
	s_mov_b32 s23, exec_lo
	s_delay_alu instid0(VALU_DEP_2)
	v_cmpx_ne_u32_e32 0x7f, v35
	s_cbranch_execz .LBB444_442
; %bb.439:                              ;   in Loop: Header=BB444_13 Depth=1
	v_and_b32_e32 v19, 7, v64
	v_lshrrev_b32_e32 v65, 3, v35
	v_cmp_gt_u32_e64 s1, 8, v35
	s_delay_alu instid0(VALU_DEP_3) | instskip(NEXT) | instid1(VALU_DEP_2)
	v_dual_mov_b32 v36, v20 :: v_dual_mov_b32 v35, v19
	s_and_saveexec_b32 s24, s1
; %bb.440:                              ;   in Loop: Header=BB444_13 Depth=1
	v_clz_i32_u32_e32 v35, v19
	s_delay_alu instid0(VALU_DEP_1) | instskip(NEXT) | instid1(VALU_DEP_1)
	v_min_u32_e32 v65, 32, v35
	v_subrev_nc_u32_e32 v35, 28, v65
	v_sub_nc_u32_e32 v65, 29, v65
	s_delay_alu instid0(VALU_DEP_2) | instskip(NEXT) | instid1(VALU_DEP_1)
	v_lshlrev_b64 v[35:36], v35, v[19:20]
	v_and_b32_e32 v35, 7, v35
; %bb.441:                              ;   in Loop: Header=BB444_13 Depth=1
	s_or_b32 exec_lo, exec_lo, s24
	v_lshlrev_b32_e32 v19, 24, v64
	s_delay_alu instid0(VALU_DEP_2) | instskip(SKIP_1) | instid1(VALU_DEP_3)
	v_lshlrev_b32_e32 v35, 20, v35
	v_lshl_add_u32 v36, v65, 23, 0x3c000000
	v_and_b32_e32 v19, 0x80000000, v19
	s_delay_alu instid0(VALU_DEP_1)
	v_or3_b32 v19, v35, v19, v36
.LBB444_442:                            ;   in Loop: Header=BB444_13 Depth=1
	s_or_b32 exec_lo, exec_lo, s23
.LBB444_443:                            ;   in Loop: Header=BB444_13 Depth=1
	s_delay_alu instid0(SALU_CYCLE_1)
	s_or_b32 exec_lo, exec_lo, s22
.LBB444_444:                            ;   in Loop: Header=BB444_13 Depth=1
	s_delay_alu instid0(SALU_CYCLE_1) | instskip(NEXT) | instid1(VALU_DEP_1)
	s_or_b32 exec_lo, exec_lo, s21
	v_mul_f32_e32 v19, v171, v19
                                        ; implicit-def: $vgpr64
	s_delay_alu instid0(VALU_DEP_1) | instskip(NEXT) | instid1(VALU_DEP_1)
	v_and_b32_e32 v35, 0x7f800000, v19
	v_cmp_ne_u32_e64 s1, 0x7f800000, v35
	s_delay_alu instid0(VALU_DEP_1) | instskip(NEXT) | instid1(SALU_CYCLE_1)
	s_and_saveexec_b32 s21, s1
	s_xor_b32 s1, exec_lo, s21
; %bb.445:                              ;   in Loop: Header=BB444_13 Depth=1
	v_bfe_u32 v35, v19, 16, 1
	s_delay_alu instid0(VALU_DEP_1)
	v_add3_u32 v64, v19, v35, 0x7fff
                                        ; implicit-def: $vgpr19
; %bb.446:                              ;   in Loop: Header=BB444_13 Depth=1
	s_and_not1_saveexec_b32 s21, s1
; %bb.447:                              ;   in Loop: Header=BB444_13 Depth=1
	v_and_b32_e32 v35, 0xffff, v19
	v_or_b32_e32 v36, 0x10000, v19
	s_delay_alu instid0(VALU_DEP_2) | instskip(NEXT) | instid1(VALU_DEP_1)
	v_cmp_eq_u32_e64 s1, 0, v35
	v_cndmask_b32_e64 v64, v36, v19, s1
; %bb.448:                              ;   in Loop: Header=BB444_13 Depth=1
	s_or_b32 exec_lo, exec_lo, s21
	v_dual_mov_b32 v19, v34 :: v_dual_and_b32 v36, 0xff, v34
	v_mov_b32_e32 v35, 0
	s_mov_b32 s21, exec_lo
	s_delay_alu instid0(VALU_DEP_2)
	v_cmpx_ne_u16_e32 0, v36
	s_cbranch_execz .LBB444_456
; %bb.449:                              ;   in Loop: Header=BB444_13 Depth=1
	v_bfrev_b32_e32 v35, 1
	s_mov_b32 s22, exec_lo
	v_cmpx_ne_u16_e32 0x80, v36
	s_cbranch_execz .LBB444_455
; %bb.450:                              ;   in Loop: Header=BB444_13 Depth=1
	v_and_b32_e32 v36, 0x7f, v34
	v_mov_b32_e32 v35, 0x7f800001
	s_mov_b32 s23, exec_lo
	s_delay_alu instid0(VALU_DEP_2)
	v_cmpx_ne_u32_e32 0x7f, v36
	s_cbranch_execz .LBB444_454
; %bb.451:                              ;   in Loop: Header=BB444_13 Depth=1
	v_lshrrev_b32_e32 v65, 3, v36
	v_cmp_gt_u32_e64 s1, 8, v36
	v_dual_mov_b32 v36, v20 :: v_dual_mov_b32 v35, v19
	s_delay_alu instid0(VALU_DEP_2)
	s_and_saveexec_b32 s24, s1
; %bb.452:                              ;   in Loop: Header=BB444_13 Depth=1
	v_and_b32_e32 v35, 7, v34
	s_delay_alu instid0(VALU_DEP_1) | instskip(NEXT) | instid1(VALU_DEP_1)
	v_clz_i32_u32_e32 v35, v35
	v_min_u32_e32 v65, 32, v35
	s_delay_alu instid0(VALU_DEP_1) | instskip(SKIP_1) | instid1(VALU_DEP_2)
	v_subrev_nc_u32_e32 v35, 28, v65
	v_sub_nc_u32_e32 v65, 29, v65
	v_lshlrev_b64 v[35:36], v35, v[19:20]
; %bb.453:                              ;   in Loop: Header=BB444_13 Depth=1
	s_or_b32 exec_lo, exec_lo, s24
	s_delay_alu instid0(VALU_DEP_1) | instskip(SKIP_2) | instid1(VALU_DEP_3)
	v_lshlrev_b32_e32 v35, 20, v35
	v_lshlrev_b32_e32 v36, 24, v19
	v_lshl_add_u32 v65, v65, 23, 0x3c000000
	v_and_b32_e32 v35, 0x700000, v35
	s_delay_alu instid0(VALU_DEP_3) | instskip(NEXT) | instid1(VALU_DEP_1)
	v_and_b32_e32 v36, 0x80000000, v36
	v_or3_b32 v35, v35, v36, v65
.LBB444_454:                            ;   in Loop: Header=BB444_13 Depth=1
	s_or_b32 exec_lo, exec_lo, s23
.LBB444_455:                            ;   in Loop: Header=BB444_13 Depth=1
	s_delay_alu instid0(SALU_CYCLE_1)
	s_or_b32 exec_lo, exec_lo, s22
.LBB444_456:                            ;   in Loop: Header=BB444_13 Depth=1
	s_delay_alu instid0(SALU_CYCLE_1) | instskip(NEXT) | instid1(VALU_DEP_1)
	s_or_b32 exec_lo, exec_lo, s21
	v_mul_f32_e32 v35, v171, v35
                                        ; implicit-def: $vgpr65
	s_delay_alu instid0(VALU_DEP_1) | instskip(NEXT) | instid1(VALU_DEP_1)
	v_and_b32_e32 v36, 0x7f800000, v35
	v_cmp_ne_u32_e64 s1, 0x7f800000, v36
	s_delay_alu instid0(VALU_DEP_1) | instskip(NEXT) | instid1(SALU_CYCLE_1)
	s_and_saveexec_b32 s21, s1
	s_xor_b32 s1, exec_lo, s21
; %bb.457:                              ;   in Loop: Header=BB444_13 Depth=1
	v_bfe_u32 v36, v35, 16, 1
	s_delay_alu instid0(VALU_DEP_1)
	v_add3_u32 v65, v35, v36, 0x7fff
                                        ; implicit-def: $vgpr35
; %bb.458:                              ;   in Loop: Header=BB444_13 Depth=1
	s_and_not1_saveexec_b32 s21, s1
; %bb.459:                              ;   in Loop: Header=BB444_13 Depth=1
	v_and_b32_e32 v36, 0xffff, v35
	v_or_b32_e32 v65, 0x10000, v35
	s_delay_alu instid0(VALU_DEP_2) | instskip(NEXT) | instid1(VALU_DEP_1)
	v_cmp_eq_u32_e64 s1, 0, v36
	v_cndmask_b32_e64 v65, v65, v35, s1
; %bb.460:                              ;   in Loop: Header=BB444_13 Depth=1
	s_or_b32 exec_lo, exec_lo, s21
	v_lshrrev_b16 v36, 8, v19
	v_mov_b32_e32 v35, 0
	s_mov_b32 s21, exec_lo
	s_delay_alu instid0(VALU_DEP_2)
	v_cmpx_ne_u16_e32 0, v36
	s_cbranch_execz .LBB444_468
; %bb.461:                              ;   in Loop: Header=BB444_13 Depth=1
	v_bfrev_b32_e32 v35, 1
	s_mov_b32 s22, exec_lo
	v_cmpx_ne_u16_e32 0x80, v36
	s_cbranch_execz .LBB444_467
; %bb.462:                              ;   in Loop: Header=BB444_13 Depth=1
	v_and_b32_e32 v36, 0xffff, v36
	v_mov_b32_e32 v35, 0x7f800001
	s_mov_b32 s23, exec_lo
	s_delay_alu instid0(VALU_DEP_2) | instskip(NEXT) | instid1(VALU_DEP_1)
	v_and_b32_e32 v70, 0x7f, v36
	v_cmpx_ne_u32_e32 0x7f, v70
	s_cbranch_execz .LBB444_466
; %bb.463:                              ;   in Loop: Header=BB444_13 Depth=1
	v_dual_mov_b32 v36, v20 :: v_dual_and_b32 v35, 7, v36
	v_lshrrev_b32_e32 v66, 3, v70
	s_mov_b32 s24, exec_lo
	v_cmpx_gt_u32_e32 8, v70
; %bb.464:                              ;   in Loop: Header=BB444_13 Depth=1
	s_delay_alu instid0(VALU_DEP_3) | instskip(NEXT) | instid1(VALU_DEP_1)
	v_clz_i32_u32_e32 v66, v35
	v_min_u32_e32 v66, 32, v66
	s_delay_alu instid0(VALU_DEP_1) | instskip(SKIP_1) | instid1(VALU_DEP_2)
	v_subrev_nc_u32_e32 v70, 28, v66
	v_sub_nc_u32_e32 v66, 29, v66
	v_lshlrev_b64 v[35:36], v70, v[35:36]
	s_delay_alu instid0(VALU_DEP_1)
	v_and_b32_e32 v35, 7, v35
; %bb.465:                              ;   in Loop: Header=BB444_13 Depth=1
	s_or_b32 exec_lo, exec_lo, s24
	v_lshlrev_b32_e32 v19, 16, v19
	s_delay_alu instid0(VALU_DEP_2) | instskip(SKIP_1) | instid1(VALU_DEP_3)
	v_lshlrev_b32_e32 v35, 20, v35
	v_lshl_add_u32 v36, v66, 23, 0x3c000000
	v_and_b32_e32 v19, 0x80000000, v19
	s_delay_alu instid0(VALU_DEP_1)
	v_or3_b32 v35, v35, v19, v36
.LBB444_466:                            ;   in Loop: Header=BB444_13 Depth=1
	s_or_b32 exec_lo, exec_lo, s23
.LBB444_467:                            ;   in Loop: Header=BB444_13 Depth=1
	s_delay_alu instid0(SALU_CYCLE_1)
	s_or_b32 exec_lo, exec_lo, s22
.LBB444_468:                            ;   in Loop: Header=BB444_13 Depth=1
	s_delay_alu instid0(SALU_CYCLE_1) | instskip(NEXT) | instid1(VALU_DEP_1)
	s_or_b32 exec_lo, exec_lo, s21
	v_mul_f32_e32 v19, v171, v35
                                        ; implicit-def: $vgpr66
	s_delay_alu instid0(VALU_DEP_1) | instskip(NEXT) | instid1(VALU_DEP_1)
	v_and_b32_e32 v35, 0x7f800000, v19
	v_cmp_ne_u32_e64 s1, 0x7f800000, v35
	s_delay_alu instid0(VALU_DEP_1) | instskip(NEXT) | instid1(SALU_CYCLE_1)
	s_and_saveexec_b32 s21, s1
	s_xor_b32 s1, exec_lo, s21
; %bb.469:                              ;   in Loop: Header=BB444_13 Depth=1
	v_bfe_u32 v35, v19, 16, 1
	s_delay_alu instid0(VALU_DEP_1)
	v_add3_u32 v66, v19, v35, 0x7fff
                                        ; implicit-def: $vgpr19
; %bb.470:                              ;   in Loop: Header=BB444_13 Depth=1
	s_and_not1_saveexec_b32 s21, s1
; %bb.471:                              ;   in Loop: Header=BB444_13 Depth=1
	v_and_b32_e32 v35, 0xffff, v19
	v_or_b32_e32 v36, 0x10000, v19
	s_delay_alu instid0(VALU_DEP_2) | instskip(NEXT) | instid1(VALU_DEP_1)
	v_cmp_eq_u32_e64 s1, 0, v35
	v_cndmask_b32_e64 v66, v36, v19, s1
; %bb.472:                              ;   in Loop: Header=BB444_13 Depth=1
	s_or_b32 exec_lo, exec_lo, s21
	v_lshrrev_b32_e32 v70, 16, v34
	v_mov_b32_e32 v19, 0
	s_mov_b32 s21, exec_lo
	s_delay_alu instid0(VALU_DEP_2) | instskip(NEXT) | instid1(VALU_DEP_1)
	v_and_b32_e32 v35, 0xff, v70
	v_cmpx_ne_u16_e32 0, v35
	s_cbranch_execz .LBB444_480
; %bb.473:                              ;   in Loop: Header=BB444_13 Depth=1
	v_bfrev_b32_e32 v19, 1
	s_mov_b32 s22, exec_lo
	v_cmpx_ne_u16_e32 0x80, v35
	s_cbranch_execz .LBB444_479
; %bb.474:                              ;   in Loop: Header=BB444_13 Depth=1
	v_bfe_u32 v35, v34, 16, 7
	v_mov_b32_e32 v19, 0x7f800001
	s_mov_b32 s23, exec_lo
	s_delay_alu instid0(VALU_DEP_2)
	v_cmpx_ne_u32_e32 0x7f, v35
	s_cbranch_execz .LBB444_478
; %bb.475:                              ;   in Loop: Header=BB444_13 Depth=1
	v_and_b32_e32 v19, 7, v70
	v_lshrrev_b32_e32 v71, 3, v35
	v_cmp_gt_u32_e64 s1, 8, v35
	s_delay_alu instid0(VALU_DEP_3) | instskip(NEXT) | instid1(VALU_DEP_2)
	v_dual_mov_b32 v36, v20 :: v_dual_mov_b32 v35, v19
	s_and_saveexec_b32 s24, s1
; %bb.476:                              ;   in Loop: Header=BB444_13 Depth=1
	v_clz_i32_u32_e32 v35, v19
	s_delay_alu instid0(VALU_DEP_1) | instskip(NEXT) | instid1(VALU_DEP_1)
	v_min_u32_e32 v71, 32, v35
	v_subrev_nc_u32_e32 v35, 28, v71
	v_sub_nc_u32_e32 v71, 29, v71
	s_delay_alu instid0(VALU_DEP_2) | instskip(NEXT) | instid1(VALU_DEP_1)
	v_lshlrev_b64 v[35:36], v35, v[19:20]
	v_and_b32_e32 v35, 7, v35
; %bb.477:                              ;   in Loop: Header=BB444_13 Depth=1
	s_or_b32 exec_lo, exec_lo, s24
	v_lshlrev_b32_e32 v19, 24, v70
	s_delay_alu instid0(VALU_DEP_2) | instskip(SKIP_1) | instid1(VALU_DEP_3)
	v_lshlrev_b32_e32 v35, 20, v35
	v_lshl_add_u32 v36, v71, 23, 0x3c000000
	v_and_b32_e32 v19, 0x80000000, v19
	s_delay_alu instid0(VALU_DEP_1)
	v_or3_b32 v19, v35, v19, v36
.LBB444_478:                            ;   in Loop: Header=BB444_13 Depth=1
	s_or_b32 exec_lo, exec_lo, s23
.LBB444_479:                            ;   in Loop: Header=BB444_13 Depth=1
	s_delay_alu instid0(SALU_CYCLE_1)
	s_or_b32 exec_lo, exec_lo, s22
.LBB444_480:                            ;   in Loop: Header=BB444_13 Depth=1
	s_delay_alu instid0(SALU_CYCLE_1) | instskip(NEXT) | instid1(VALU_DEP_1)
	s_or_b32 exec_lo, exec_lo, s21
	v_mul_f32_e32 v19, v171, v19
                                        ; implicit-def: $vgpr70
	s_delay_alu instid0(VALU_DEP_1) | instskip(NEXT) | instid1(VALU_DEP_1)
	v_and_b32_e32 v35, 0x7f800000, v19
	v_cmp_ne_u32_e64 s1, 0x7f800000, v35
	s_delay_alu instid0(VALU_DEP_1) | instskip(NEXT) | instid1(SALU_CYCLE_1)
	s_and_saveexec_b32 s21, s1
	s_xor_b32 s1, exec_lo, s21
; %bb.481:                              ;   in Loop: Header=BB444_13 Depth=1
	v_bfe_u32 v35, v19, 16, 1
	s_delay_alu instid0(VALU_DEP_1)
	v_add3_u32 v70, v19, v35, 0x7fff
                                        ; implicit-def: $vgpr19
; %bb.482:                              ;   in Loop: Header=BB444_13 Depth=1
	s_and_not1_saveexec_b32 s21, s1
; %bb.483:                              ;   in Loop: Header=BB444_13 Depth=1
	v_and_b32_e32 v35, 0xffff, v19
	v_or_b32_e32 v36, 0x10000, v19
	s_delay_alu instid0(VALU_DEP_2) | instskip(NEXT) | instid1(VALU_DEP_1)
	v_cmp_eq_u32_e64 s1, 0, v35
	v_cndmask_b32_e64 v70, v36, v19, s1
; %bb.484:                              ;   in Loop: Header=BB444_13 Depth=1
	s_or_b32 exec_lo, exec_lo, s21
	v_mov_b32_e32 v19, 0
	s_mov_b32 s21, exec_lo
	v_cmpx_lt_u64_e64 s[16:17], v[33:34]
	s_cbranch_execz .LBB444_492
; %bb.485:                              ;   in Loop: Header=BB444_13 Depth=1
	v_lshrrev_b32_e32 v35, 24, v34
	v_bfrev_b32_e32 v19, 1
	s_mov_b32 s22, exec_lo
	s_delay_alu instid0(VALU_DEP_2)
	v_cmpx_ne_u32_e32 0x80, v35
	s_cbranch_execz .LBB444_491
; %bb.486:                              ;   in Loop: Header=BB444_13 Depth=1
	v_bfe_u32 v33, v34, 24, 7
	v_mov_b32_e32 v19, 0x7f800001
	s_mov_b32 s23, exec_lo
	s_delay_alu instid0(VALU_DEP_2)
	v_cmpx_ne_u32_e32 0x7f, v33
	s_cbranch_execz .LBB444_490
; %bb.487:                              ;   in Loop: Header=BB444_13 Depth=1
	v_and_b32_e32 v19, 7, v35
	v_lshrrev_b32_e32 v36, 3, v33
	v_cmp_gt_u32_e64 s1, 8, v33
	s_delay_alu instid0(VALU_DEP_3) | instskip(NEXT) | instid1(VALU_DEP_2)
	v_dual_mov_b32 v34, v20 :: v_dual_mov_b32 v33, v19
	s_and_saveexec_b32 s24, s1
; %bb.488:                              ;   in Loop: Header=BB444_13 Depth=1
	v_clz_i32_u32_e32 v33, v19
	s_delay_alu instid0(VALU_DEP_1) | instskip(NEXT) | instid1(VALU_DEP_1)
	v_min_u32_e32 v36, 32, v33
	v_subrev_nc_u32_e32 v33, 28, v36
	v_sub_nc_u32_e32 v36, 29, v36
	s_delay_alu instid0(VALU_DEP_2) | instskip(NEXT) | instid1(VALU_DEP_1)
	v_lshlrev_b64 v[33:34], v33, v[19:20]
	v_and_b32_e32 v33, 7, v33
; %bb.489:                              ;   in Loop: Header=BB444_13 Depth=1
	s_or_b32 exec_lo, exec_lo, s24
	v_lshlrev_b32_e32 v19, 24, v35
	s_delay_alu instid0(VALU_DEP_2) | instskip(SKIP_1) | instid1(VALU_DEP_3)
	v_lshlrev_b32_e32 v33, 20, v33
	v_lshl_add_u32 v34, v36, 23, 0x3c000000
	v_and_b32_e32 v19, 0x80000000, v19
	s_delay_alu instid0(VALU_DEP_1)
	v_or3_b32 v19, v33, v19, v34
.LBB444_490:                            ;   in Loop: Header=BB444_13 Depth=1
	s_or_b32 exec_lo, exec_lo, s23
.LBB444_491:                            ;   in Loop: Header=BB444_13 Depth=1
	s_delay_alu instid0(SALU_CYCLE_1)
	s_or_b32 exec_lo, exec_lo, s22
.LBB444_492:                            ;   in Loop: Header=BB444_13 Depth=1
	s_delay_alu instid0(SALU_CYCLE_1) | instskip(NEXT) | instid1(VALU_DEP_1)
	s_or_b32 exec_lo, exec_lo, s21
	v_mul_f32_e32 v19, v171, v19
                                        ; implicit-def: $vgpr71
	s_delay_alu instid0(VALU_DEP_1) | instskip(NEXT) | instid1(VALU_DEP_1)
	v_and_b32_e32 v33, 0x7f800000, v19
	v_cmp_ne_u32_e64 s1, 0x7f800000, v33
	s_delay_alu instid0(VALU_DEP_1) | instskip(NEXT) | instid1(SALU_CYCLE_1)
	s_and_saveexec_b32 s21, s1
	s_xor_b32 s1, exec_lo, s21
; %bb.493:                              ;   in Loop: Header=BB444_13 Depth=1
	v_bfe_u32 v33, v19, 16, 1
	s_delay_alu instid0(VALU_DEP_1)
	v_add3_u32 v71, v19, v33, 0x7fff
                                        ; implicit-def: $vgpr19
; %bb.494:                              ;   in Loop: Header=BB444_13 Depth=1
	s_and_not1_saveexec_b32 s21, s1
; %bb.495:                              ;   in Loop: Header=BB444_13 Depth=1
	v_and_b32_e32 v33, 0xffff, v19
	v_or_b32_e32 v34, 0x10000, v19
	s_delay_alu instid0(VALU_DEP_2) | instskip(NEXT) | instid1(VALU_DEP_1)
	v_cmp_eq_u32_e64 s1, 0, v33
	v_cndmask_b32_e64 v71, v34, v19, s1
; %bb.496:                              ;   in Loop: Header=BB444_13 Depth=1
	s_or_b32 exec_lo, exec_lo, s21
	flat_load_b64 v[33:34], v[31:32] offset:1032
	v_mov_b32_e32 v19, 0
	s_mov_b32 s21, exec_lo
	s_waitcnt vmcnt(0) lgkmcnt(0)
	v_and_b32_e32 v35, 0xff, v33
	s_delay_alu instid0(VALU_DEP_1)
	v_cmpx_ne_u16_e32 0, v35
	s_cbranch_execz .LBB444_504
; %bb.497:                              ;   in Loop: Header=BB444_13 Depth=1
	v_bfrev_b32_e32 v19, 1
	s_mov_b32 s22, exec_lo
	v_cmpx_ne_u16_e32 0x80, v35
	s_cbranch_execz .LBB444_503
; %bb.498:                              ;   in Loop: Header=BB444_13 Depth=1
	v_and_b32_e32 v35, 0x7f, v33
	v_mov_b32_e32 v19, 0x7f800001
	s_mov_b32 s23, exec_lo
	s_delay_alu instid0(VALU_DEP_2)
	v_cmpx_ne_u32_e32 0x7f, v35
	s_cbranch_execz .LBB444_502
; %bb.499:                              ;   in Loop: Header=BB444_13 Depth=1
	v_lshrrev_b32_e32 v19, 3, v35
	v_cmp_gt_u32_e64 s1, 8, v35
	v_dual_mov_b32 v36, v34 :: v_dual_mov_b32 v35, v33
	s_delay_alu instid0(VALU_DEP_2)
	s_and_saveexec_b32 s24, s1
; %bb.500:                              ;   in Loop: Header=BB444_13 Depth=1
	v_and_b32_e32 v19, 7, v33
	s_delay_alu instid0(VALU_DEP_1) | instskip(NEXT) | instid1(VALU_DEP_1)
	v_clz_i32_u32_e32 v19, v19
	v_min_u32_e32 v19, 32, v19
	s_delay_alu instid0(VALU_DEP_1) | instskip(SKIP_1) | instid1(VALU_DEP_2)
	v_subrev_nc_u32_e32 v35, 28, v19
	v_sub_nc_u32_e32 v19, 29, v19
	v_lshlrev_b64 v[35:36], v35, v[33:34]
; %bb.501:                              ;   in Loop: Header=BB444_13 Depth=1
	s_or_b32 exec_lo, exec_lo, s24
	s_delay_alu instid0(VALU_DEP_1) | instskip(SKIP_2) | instid1(VALU_DEP_3)
	v_lshlrev_b32_e32 v35, 20, v35
	v_lshlrev_b32_e32 v36, 24, v33
	v_lshl_add_u32 v19, v19, 23, 0x3c000000
	v_and_b32_e32 v35, 0x700000, v35
	s_delay_alu instid0(VALU_DEP_3) | instskip(NEXT) | instid1(VALU_DEP_1)
	v_and_b32_e32 v36, 0x80000000, v36
	v_or3_b32 v19, v35, v36, v19
.LBB444_502:                            ;   in Loop: Header=BB444_13 Depth=1
	s_or_b32 exec_lo, exec_lo, s23
.LBB444_503:                            ;   in Loop: Header=BB444_13 Depth=1
	s_delay_alu instid0(SALU_CYCLE_1)
	s_or_b32 exec_lo, exec_lo, s22
.LBB444_504:                            ;   in Loop: Header=BB444_13 Depth=1
	s_delay_alu instid0(SALU_CYCLE_1) | instskip(NEXT) | instid1(VALU_DEP_1)
	s_or_b32 exec_lo, exec_lo, s21
	v_mul_f32_e32 v19, v171, v19
                                        ; implicit-def: $vgpr80
	s_delay_alu instid0(VALU_DEP_1) | instskip(NEXT) | instid1(VALU_DEP_1)
	v_and_b32_e32 v35, 0x7f800000, v19
	v_cmp_ne_u32_e64 s1, 0x7f800000, v35
	s_delay_alu instid0(VALU_DEP_1) | instskip(NEXT) | instid1(SALU_CYCLE_1)
	s_and_saveexec_b32 s21, s1
	s_xor_b32 s1, exec_lo, s21
; %bb.505:                              ;   in Loop: Header=BB444_13 Depth=1
	v_bfe_u32 v35, v19, 16, 1
	s_delay_alu instid0(VALU_DEP_1)
	v_add3_u32 v80, v19, v35, 0x7fff
                                        ; implicit-def: $vgpr19
; %bb.506:                              ;   in Loop: Header=BB444_13 Depth=1
	s_and_not1_saveexec_b32 s21, s1
; %bb.507:                              ;   in Loop: Header=BB444_13 Depth=1
	v_and_b32_e32 v35, 0xffff, v19
	v_or_b32_e32 v36, 0x10000, v19
	s_delay_alu instid0(VALU_DEP_2) | instskip(NEXT) | instid1(VALU_DEP_1)
	v_cmp_eq_u32_e64 s1, 0, v35
	v_cndmask_b32_e64 v80, v36, v19, s1
; %bb.508:                              ;   in Loop: Header=BB444_13 Depth=1
	s_or_b32 exec_lo, exec_lo, s21
	v_lshrrev_b16 v35, 8, v33
	v_mov_b32_e32 v19, 0
	s_mov_b32 s21, exec_lo
	s_delay_alu instid0(VALU_DEP_2)
	v_cmpx_ne_u16_e32 0, v35
	s_cbranch_execz .LBB444_516
; %bb.509:                              ;   in Loop: Header=BB444_13 Depth=1
	v_bfrev_b32_e32 v19, 1
	s_mov_b32 s22, exec_lo
	v_cmpx_ne_u16_e32 0x80, v35
	s_cbranch_execz .LBB444_515
; %bb.510:                              ;   in Loop: Header=BB444_13 Depth=1
	v_and_b32_e32 v36, 0xffff, v35
	v_mov_b32_e32 v19, 0x7f800001
	s_mov_b32 s23, exec_lo
	s_delay_alu instid0(VALU_DEP_2) | instskip(NEXT) | instid1(VALU_DEP_1)
	v_and_b32_e32 v35, 0x7f, v36
	v_cmpx_ne_u32_e32 0x7f, v35
	s_cbranch_execz .LBB444_514
; %bb.511:                              ;   in Loop: Header=BB444_13 Depth=1
	v_and_b32_e32 v19, 7, v36
	v_lshrrev_b32_e32 v81, 3, v35
	v_cmp_gt_u32_e64 s1, 8, v35
	s_delay_alu instid0(VALU_DEP_3) | instskip(NEXT) | instid1(VALU_DEP_2)
	v_dual_mov_b32 v36, v20 :: v_dual_mov_b32 v35, v19
	s_and_saveexec_b32 s24, s1
; %bb.512:                              ;   in Loop: Header=BB444_13 Depth=1
	v_clz_i32_u32_e32 v35, v19
	s_delay_alu instid0(VALU_DEP_1) | instskip(NEXT) | instid1(VALU_DEP_1)
	v_min_u32_e32 v81, 32, v35
	v_subrev_nc_u32_e32 v35, 28, v81
	v_sub_nc_u32_e32 v81, 29, v81
	s_delay_alu instid0(VALU_DEP_2) | instskip(NEXT) | instid1(VALU_DEP_1)
	v_lshlrev_b64 v[35:36], v35, v[19:20]
	v_and_b32_e32 v35, 7, v35
; %bb.513:                              ;   in Loop: Header=BB444_13 Depth=1
	s_or_b32 exec_lo, exec_lo, s24
	v_lshlrev_b32_e32 v19, 16, v33
	s_delay_alu instid0(VALU_DEP_2) | instskip(SKIP_1) | instid1(VALU_DEP_3)
	v_lshlrev_b32_e32 v35, 20, v35
	v_lshl_add_u32 v36, v81, 23, 0x3c000000
	v_and_b32_e32 v19, 0x80000000, v19
	s_delay_alu instid0(VALU_DEP_1)
	v_or3_b32 v19, v35, v19, v36
.LBB444_514:                            ;   in Loop: Header=BB444_13 Depth=1
	s_or_b32 exec_lo, exec_lo, s23
.LBB444_515:                            ;   in Loop: Header=BB444_13 Depth=1
	s_delay_alu instid0(SALU_CYCLE_1)
	s_or_b32 exec_lo, exec_lo, s22
.LBB444_516:                            ;   in Loop: Header=BB444_13 Depth=1
	s_delay_alu instid0(SALU_CYCLE_1) | instskip(NEXT) | instid1(VALU_DEP_1)
	s_or_b32 exec_lo, exec_lo, s21
	v_mul_f32_e32 v19, v171, v19
                                        ; implicit-def: $vgpr81
	s_delay_alu instid0(VALU_DEP_1) | instskip(NEXT) | instid1(VALU_DEP_1)
	v_and_b32_e32 v35, 0x7f800000, v19
	v_cmp_ne_u32_e64 s1, 0x7f800000, v35
	s_delay_alu instid0(VALU_DEP_1) | instskip(NEXT) | instid1(SALU_CYCLE_1)
	s_and_saveexec_b32 s21, s1
	s_xor_b32 s1, exec_lo, s21
; %bb.517:                              ;   in Loop: Header=BB444_13 Depth=1
	v_bfe_u32 v35, v19, 16, 1
	s_delay_alu instid0(VALU_DEP_1)
	v_add3_u32 v81, v19, v35, 0x7fff
                                        ; implicit-def: $vgpr19
; %bb.518:                              ;   in Loop: Header=BB444_13 Depth=1
	s_and_not1_saveexec_b32 s21, s1
; %bb.519:                              ;   in Loop: Header=BB444_13 Depth=1
	v_and_b32_e32 v35, 0xffff, v19
	v_or_b32_e32 v36, 0x10000, v19
	s_delay_alu instid0(VALU_DEP_2) | instskip(NEXT) | instid1(VALU_DEP_1)
	v_cmp_eq_u32_e64 s1, 0, v35
	v_cndmask_b32_e64 v81, v36, v19, s1
; %bb.520:                              ;   in Loop: Header=BB444_13 Depth=1
	s_or_b32 exec_lo, exec_lo, s21
	v_lshrrev_b32_e32 v82, 16, v33
	v_mov_b32_e32 v19, 0
	s_mov_b32 s21, exec_lo
	s_delay_alu instid0(VALU_DEP_2) | instskip(NEXT) | instid1(VALU_DEP_1)
	v_and_b32_e32 v35, 0xff, v82
	v_cmpx_ne_u16_e32 0, v35
	s_cbranch_execz .LBB444_528
; %bb.521:                              ;   in Loop: Header=BB444_13 Depth=1
	v_bfrev_b32_e32 v19, 1
	s_mov_b32 s22, exec_lo
	v_cmpx_ne_u16_e32 0x80, v35
	s_cbranch_execz .LBB444_527
; %bb.522:                              ;   in Loop: Header=BB444_13 Depth=1
	v_bfe_u32 v35, v33, 16, 7
	v_mov_b32_e32 v19, 0x7f800001
	s_mov_b32 s23, exec_lo
	s_delay_alu instid0(VALU_DEP_2)
	v_cmpx_ne_u32_e32 0x7f, v35
	s_cbranch_execz .LBB444_526
; %bb.523:                              ;   in Loop: Header=BB444_13 Depth=1
	v_and_b32_e32 v19, 7, v82
	v_lshrrev_b32_e32 v83, 3, v35
	v_cmp_gt_u32_e64 s1, 8, v35
	s_delay_alu instid0(VALU_DEP_3) | instskip(NEXT) | instid1(VALU_DEP_2)
	v_dual_mov_b32 v36, v20 :: v_dual_mov_b32 v35, v19
	s_and_saveexec_b32 s24, s1
; %bb.524:                              ;   in Loop: Header=BB444_13 Depth=1
	v_clz_i32_u32_e32 v35, v19
	s_delay_alu instid0(VALU_DEP_1) | instskip(NEXT) | instid1(VALU_DEP_1)
	v_min_u32_e32 v83, 32, v35
	v_subrev_nc_u32_e32 v35, 28, v83
	v_sub_nc_u32_e32 v83, 29, v83
	s_delay_alu instid0(VALU_DEP_2) | instskip(NEXT) | instid1(VALU_DEP_1)
	v_lshlrev_b64 v[35:36], v35, v[19:20]
	v_and_b32_e32 v35, 7, v35
; %bb.525:                              ;   in Loop: Header=BB444_13 Depth=1
	s_or_b32 exec_lo, exec_lo, s24
	v_lshlrev_b32_e32 v19, 24, v82
	s_delay_alu instid0(VALU_DEP_2) | instskip(SKIP_1) | instid1(VALU_DEP_3)
	v_lshlrev_b32_e32 v35, 20, v35
	v_lshl_add_u32 v36, v83, 23, 0x3c000000
	v_and_b32_e32 v19, 0x80000000, v19
	s_delay_alu instid0(VALU_DEP_1)
	v_or3_b32 v19, v35, v19, v36
.LBB444_526:                            ;   in Loop: Header=BB444_13 Depth=1
	s_or_b32 exec_lo, exec_lo, s23
.LBB444_527:                            ;   in Loop: Header=BB444_13 Depth=1
	s_delay_alu instid0(SALU_CYCLE_1)
	s_or_b32 exec_lo, exec_lo, s22
.LBB444_528:                            ;   in Loop: Header=BB444_13 Depth=1
	s_delay_alu instid0(SALU_CYCLE_1) | instskip(NEXT) | instid1(VALU_DEP_1)
	s_or_b32 exec_lo, exec_lo, s21
	v_mul_f32_e32 v19, v171, v19
                                        ; implicit-def: $vgpr82
	s_delay_alu instid0(VALU_DEP_1) | instskip(NEXT) | instid1(VALU_DEP_1)
	v_and_b32_e32 v35, 0x7f800000, v19
	v_cmp_ne_u32_e64 s1, 0x7f800000, v35
	s_delay_alu instid0(VALU_DEP_1) | instskip(NEXT) | instid1(SALU_CYCLE_1)
	s_and_saveexec_b32 s21, s1
	s_xor_b32 s1, exec_lo, s21
; %bb.529:                              ;   in Loop: Header=BB444_13 Depth=1
	v_bfe_u32 v35, v19, 16, 1
	s_delay_alu instid0(VALU_DEP_1)
	v_add3_u32 v82, v19, v35, 0x7fff
                                        ; implicit-def: $vgpr19
; %bb.530:                              ;   in Loop: Header=BB444_13 Depth=1
	s_and_not1_saveexec_b32 s21, s1
; %bb.531:                              ;   in Loop: Header=BB444_13 Depth=1
	v_and_b32_e32 v35, 0xffff, v19
	v_or_b32_e32 v36, 0x10000, v19
	s_delay_alu instid0(VALU_DEP_2) | instskip(NEXT) | instid1(VALU_DEP_1)
	v_cmp_eq_u32_e64 s1, 0, v35
	v_cndmask_b32_e64 v82, v36, v19, s1
; %bb.532:                              ;   in Loop: Header=BB444_13 Depth=1
	s_or_b32 exec_lo, exec_lo, s21
	v_mov_b32_e32 v19, 0
	s_mov_b32 s21, exec_lo
	v_cmpx_lt_u32_e32 0xffffff, v33
	s_cbranch_execz .LBB444_540
; %bb.533:                              ;   in Loop: Header=BB444_13 Depth=1
	v_lshrrev_b32_e32 v83, 24, v33
	v_bfrev_b32_e32 v19, 1
	s_mov_b32 s22, exec_lo
	s_delay_alu instid0(VALU_DEP_2)
	v_cmpx_ne_u32_e32 0x80, v83
	s_cbranch_execz .LBB444_539
; %bb.534:                              ;   in Loop: Header=BB444_13 Depth=1
	v_bfe_u32 v35, v33, 24, 7
	v_mov_b32_e32 v19, 0x7f800001
	s_mov_b32 s23, exec_lo
	s_delay_alu instid0(VALU_DEP_2)
	v_cmpx_ne_u32_e32 0x7f, v35
	s_cbranch_execz .LBB444_538
; %bb.535:                              ;   in Loop: Header=BB444_13 Depth=1
	v_and_b32_e32 v19, 7, v83
	v_lshrrev_b32_e32 v84, 3, v35
	v_cmp_gt_u32_e64 s1, 8, v35
	s_delay_alu instid0(VALU_DEP_3) | instskip(NEXT) | instid1(VALU_DEP_2)
	v_dual_mov_b32 v36, v20 :: v_dual_mov_b32 v35, v19
	s_and_saveexec_b32 s24, s1
; %bb.536:                              ;   in Loop: Header=BB444_13 Depth=1
	v_clz_i32_u32_e32 v35, v19
	s_delay_alu instid0(VALU_DEP_1) | instskip(NEXT) | instid1(VALU_DEP_1)
	v_min_u32_e32 v84, 32, v35
	v_subrev_nc_u32_e32 v35, 28, v84
	v_sub_nc_u32_e32 v84, 29, v84
	s_delay_alu instid0(VALU_DEP_2) | instskip(NEXT) | instid1(VALU_DEP_1)
	v_lshlrev_b64 v[35:36], v35, v[19:20]
	v_and_b32_e32 v35, 7, v35
; %bb.537:                              ;   in Loop: Header=BB444_13 Depth=1
	s_or_b32 exec_lo, exec_lo, s24
	v_lshlrev_b32_e32 v19, 24, v83
	s_delay_alu instid0(VALU_DEP_2) | instskip(SKIP_1) | instid1(VALU_DEP_3)
	v_lshlrev_b32_e32 v35, 20, v35
	v_lshl_add_u32 v36, v84, 23, 0x3c000000
	v_and_b32_e32 v19, 0x80000000, v19
	s_delay_alu instid0(VALU_DEP_1)
	v_or3_b32 v19, v35, v19, v36
.LBB444_538:                            ;   in Loop: Header=BB444_13 Depth=1
	s_or_b32 exec_lo, exec_lo, s23
.LBB444_539:                            ;   in Loop: Header=BB444_13 Depth=1
	s_delay_alu instid0(SALU_CYCLE_1)
	s_or_b32 exec_lo, exec_lo, s22
.LBB444_540:                            ;   in Loop: Header=BB444_13 Depth=1
	s_delay_alu instid0(SALU_CYCLE_1) | instskip(NEXT) | instid1(VALU_DEP_1)
	s_or_b32 exec_lo, exec_lo, s21
	v_mul_f32_e32 v19, v171, v19
                                        ; implicit-def: $vgpr83
	s_delay_alu instid0(VALU_DEP_1) | instskip(NEXT) | instid1(VALU_DEP_1)
	v_and_b32_e32 v35, 0x7f800000, v19
	v_cmp_ne_u32_e64 s1, 0x7f800000, v35
	s_delay_alu instid0(VALU_DEP_1) | instskip(NEXT) | instid1(SALU_CYCLE_1)
	s_and_saveexec_b32 s21, s1
	s_xor_b32 s1, exec_lo, s21
; %bb.541:                              ;   in Loop: Header=BB444_13 Depth=1
	v_bfe_u32 v35, v19, 16, 1
	s_delay_alu instid0(VALU_DEP_1)
	v_add3_u32 v83, v19, v35, 0x7fff
                                        ; implicit-def: $vgpr19
; %bb.542:                              ;   in Loop: Header=BB444_13 Depth=1
	s_and_not1_saveexec_b32 s21, s1
; %bb.543:                              ;   in Loop: Header=BB444_13 Depth=1
	v_and_b32_e32 v35, 0xffff, v19
	v_or_b32_e32 v36, 0x10000, v19
	s_delay_alu instid0(VALU_DEP_2) | instskip(NEXT) | instid1(VALU_DEP_1)
	v_cmp_eq_u32_e64 s1, 0, v35
	v_cndmask_b32_e64 v83, v36, v19, s1
; %bb.544:                              ;   in Loop: Header=BB444_13 Depth=1
	s_or_b32 exec_lo, exec_lo, s21
	v_dual_mov_b32 v19, v34 :: v_dual_and_b32 v36, 0xff, v34
	v_mov_b32_e32 v35, 0
	s_mov_b32 s21, exec_lo
	s_delay_alu instid0(VALU_DEP_2)
	v_cmpx_ne_u16_e32 0, v36
	s_cbranch_execz .LBB444_552
; %bb.545:                              ;   in Loop: Header=BB444_13 Depth=1
	v_bfrev_b32_e32 v35, 1
	s_mov_b32 s22, exec_lo
	v_cmpx_ne_u16_e32 0x80, v36
	s_cbranch_execz .LBB444_551
; %bb.546:                              ;   in Loop: Header=BB444_13 Depth=1
	v_and_b32_e32 v36, 0x7f, v34
	v_mov_b32_e32 v35, 0x7f800001
	s_mov_b32 s23, exec_lo
	s_delay_alu instid0(VALU_DEP_2)
	v_cmpx_ne_u32_e32 0x7f, v36
	s_cbranch_execz .LBB444_550
; %bb.547:                              ;   in Loop: Header=BB444_13 Depth=1
	v_lshrrev_b32_e32 v84, 3, v36
	v_cmp_gt_u32_e64 s1, 8, v36
	v_dual_mov_b32 v36, v20 :: v_dual_mov_b32 v35, v19
	s_delay_alu instid0(VALU_DEP_2)
	s_and_saveexec_b32 s24, s1
; %bb.548:                              ;   in Loop: Header=BB444_13 Depth=1
	v_and_b32_e32 v35, 7, v34
	s_delay_alu instid0(VALU_DEP_1) | instskip(NEXT) | instid1(VALU_DEP_1)
	v_clz_i32_u32_e32 v35, v35
	v_min_u32_e32 v84, 32, v35
	s_delay_alu instid0(VALU_DEP_1) | instskip(SKIP_1) | instid1(VALU_DEP_2)
	v_subrev_nc_u32_e32 v35, 28, v84
	v_sub_nc_u32_e32 v84, 29, v84
	v_lshlrev_b64 v[35:36], v35, v[19:20]
; %bb.549:                              ;   in Loop: Header=BB444_13 Depth=1
	s_or_b32 exec_lo, exec_lo, s24
	s_delay_alu instid0(VALU_DEP_1) | instskip(SKIP_2) | instid1(VALU_DEP_3)
	v_lshlrev_b32_e32 v35, 20, v35
	v_lshlrev_b32_e32 v36, 24, v19
	v_lshl_add_u32 v84, v84, 23, 0x3c000000
	v_and_b32_e32 v35, 0x700000, v35
	s_delay_alu instid0(VALU_DEP_3) | instskip(NEXT) | instid1(VALU_DEP_1)
	v_and_b32_e32 v36, 0x80000000, v36
	v_or3_b32 v35, v35, v36, v84
.LBB444_550:                            ;   in Loop: Header=BB444_13 Depth=1
	s_or_b32 exec_lo, exec_lo, s23
.LBB444_551:                            ;   in Loop: Header=BB444_13 Depth=1
	s_delay_alu instid0(SALU_CYCLE_1)
	s_or_b32 exec_lo, exec_lo, s22
.LBB444_552:                            ;   in Loop: Header=BB444_13 Depth=1
	s_delay_alu instid0(SALU_CYCLE_1) | instskip(NEXT) | instid1(VALU_DEP_1)
	s_or_b32 exec_lo, exec_lo, s21
	v_mul_f32_e32 v35, v171, v35
                                        ; implicit-def: $vgpr84
	s_delay_alu instid0(VALU_DEP_1) | instskip(NEXT) | instid1(VALU_DEP_1)
	v_and_b32_e32 v36, 0x7f800000, v35
	v_cmp_ne_u32_e64 s1, 0x7f800000, v36
	s_delay_alu instid0(VALU_DEP_1) | instskip(NEXT) | instid1(SALU_CYCLE_1)
	s_and_saveexec_b32 s21, s1
	s_xor_b32 s1, exec_lo, s21
; %bb.553:                              ;   in Loop: Header=BB444_13 Depth=1
	v_bfe_u32 v36, v35, 16, 1
	s_delay_alu instid0(VALU_DEP_1)
	v_add3_u32 v84, v35, v36, 0x7fff
                                        ; implicit-def: $vgpr35
; %bb.554:                              ;   in Loop: Header=BB444_13 Depth=1
	s_and_not1_saveexec_b32 s21, s1
; %bb.555:                              ;   in Loop: Header=BB444_13 Depth=1
	v_and_b32_e32 v36, 0xffff, v35
	v_or_b32_e32 v84, 0x10000, v35
	s_delay_alu instid0(VALU_DEP_2) | instskip(NEXT) | instid1(VALU_DEP_1)
	v_cmp_eq_u32_e64 s1, 0, v36
	v_cndmask_b32_e64 v84, v84, v35, s1
; %bb.556:                              ;   in Loop: Header=BB444_13 Depth=1
	s_or_b32 exec_lo, exec_lo, s21
	v_lshrrev_b16 v36, 8, v19
	v_mov_b32_e32 v35, 0
	s_mov_b32 s21, exec_lo
	s_delay_alu instid0(VALU_DEP_2)
	v_cmpx_ne_u16_e32 0, v36
	s_cbranch_execz .LBB444_564
; %bb.557:                              ;   in Loop: Header=BB444_13 Depth=1
	v_bfrev_b32_e32 v35, 1
	s_mov_b32 s22, exec_lo
	v_cmpx_ne_u16_e32 0x80, v36
	s_cbranch_execz .LBB444_563
; %bb.558:                              ;   in Loop: Header=BB444_13 Depth=1
	v_and_b32_e32 v36, 0xffff, v36
	v_mov_b32_e32 v35, 0x7f800001
	s_mov_b32 s23, exec_lo
	s_delay_alu instid0(VALU_DEP_2) | instskip(NEXT) | instid1(VALU_DEP_1)
	v_and_b32_e32 v86, 0x7f, v36
	v_cmpx_ne_u32_e32 0x7f, v86
	s_cbranch_execz .LBB444_562
; %bb.559:                              ;   in Loop: Header=BB444_13 Depth=1
	v_dual_mov_b32 v36, v20 :: v_dual_and_b32 v35, 7, v36
	v_lshrrev_b32_e32 v85, 3, v86
	s_mov_b32 s24, exec_lo
	v_cmpx_gt_u32_e32 8, v86
; %bb.560:                              ;   in Loop: Header=BB444_13 Depth=1
	s_delay_alu instid0(VALU_DEP_3) | instskip(NEXT) | instid1(VALU_DEP_1)
	v_clz_i32_u32_e32 v85, v35
	v_min_u32_e32 v85, 32, v85
	s_delay_alu instid0(VALU_DEP_1) | instskip(SKIP_1) | instid1(VALU_DEP_2)
	v_subrev_nc_u32_e32 v86, 28, v85
	v_sub_nc_u32_e32 v85, 29, v85
	v_lshlrev_b64 v[35:36], v86, v[35:36]
	s_delay_alu instid0(VALU_DEP_1)
	v_and_b32_e32 v35, 7, v35
; %bb.561:                              ;   in Loop: Header=BB444_13 Depth=1
	s_or_b32 exec_lo, exec_lo, s24
	v_lshlrev_b32_e32 v19, 16, v19
	s_delay_alu instid0(VALU_DEP_2) | instskip(SKIP_1) | instid1(VALU_DEP_3)
	v_lshlrev_b32_e32 v35, 20, v35
	v_lshl_add_u32 v36, v85, 23, 0x3c000000
	v_and_b32_e32 v19, 0x80000000, v19
	s_delay_alu instid0(VALU_DEP_1)
	v_or3_b32 v35, v35, v19, v36
.LBB444_562:                            ;   in Loop: Header=BB444_13 Depth=1
	s_or_b32 exec_lo, exec_lo, s23
.LBB444_563:                            ;   in Loop: Header=BB444_13 Depth=1
	s_delay_alu instid0(SALU_CYCLE_1)
	s_or_b32 exec_lo, exec_lo, s22
.LBB444_564:                            ;   in Loop: Header=BB444_13 Depth=1
	s_delay_alu instid0(SALU_CYCLE_1) | instskip(NEXT) | instid1(VALU_DEP_1)
	s_or_b32 exec_lo, exec_lo, s21
	v_mul_f32_e32 v19, v171, v35
                                        ; implicit-def: $vgpr85
	s_delay_alu instid0(VALU_DEP_1) | instskip(NEXT) | instid1(VALU_DEP_1)
	v_and_b32_e32 v35, 0x7f800000, v19
	v_cmp_ne_u32_e64 s1, 0x7f800000, v35
	s_delay_alu instid0(VALU_DEP_1) | instskip(NEXT) | instid1(SALU_CYCLE_1)
	s_and_saveexec_b32 s21, s1
	s_xor_b32 s1, exec_lo, s21
; %bb.565:                              ;   in Loop: Header=BB444_13 Depth=1
	v_bfe_u32 v35, v19, 16, 1
	s_delay_alu instid0(VALU_DEP_1)
	v_add3_u32 v85, v19, v35, 0x7fff
                                        ; implicit-def: $vgpr19
; %bb.566:                              ;   in Loop: Header=BB444_13 Depth=1
	s_and_not1_saveexec_b32 s21, s1
; %bb.567:                              ;   in Loop: Header=BB444_13 Depth=1
	v_and_b32_e32 v35, 0xffff, v19
	v_or_b32_e32 v36, 0x10000, v19
	s_delay_alu instid0(VALU_DEP_2) | instskip(NEXT) | instid1(VALU_DEP_1)
	v_cmp_eq_u32_e64 s1, 0, v35
	v_cndmask_b32_e64 v85, v36, v19, s1
; %bb.568:                              ;   in Loop: Header=BB444_13 Depth=1
	s_or_b32 exec_lo, exec_lo, s21
	v_lshrrev_b32_e32 v86, 16, v34
	v_mov_b32_e32 v19, 0
	s_mov_b32 s21, exec_lo
	s_delay_alu instid0(VALU_DEP_2) | instskip(NEXT) | instid1(VALU_DEP_1)
	v_and_b32_e32 v35, 0xff, v86
	v_cmpx_ne_u16_e32 0, v35
	s_cbranch_execz .LBB444_576
; %bb.569:                              ;   in Loop: Header=BB444_13 Depth=1
	v_bfrev_b32_e32 v19, 1
	s_mov_b32 s22, exec_lo
	v_cmpx_ne_u16_e32 0x80, v35
	s_cbranch_execz .LBB444_575
; %bb.570:                              ;   in Loop: Header=BB444_13 Depth=1
	v_bfe_u32 v35, v34, 16, 7
	v_mov_b32_e32 v19, 0x7f800001
	s_mov_b32 s23, exec_lo
	s_delay_alu instid0(VALU_DEP_2)
	v_cmpx_ne_u32_e32 0x7f, v35
	s_cbranch_execz .LBB444_574
; %bb.571:                              ;   in Loop: Header=BB444_13 Depth=1
	v_and_b32_e32 v19, 7, v86
	v_lshrrev_b32_e32 v87, 3, v35
	v_cmp_gt_u32_e64 s1, 8, v35
	s_delay_alu instid0(VALU_DEP_3) | instskip(NEXT) | instid1(VALU_DEP_2)
	v_dual_mov_b32 v36, v20 :: v_dual_mov_b32 v35, v19
	s_and_saveexec_b32 s24, s1
; %bb.572:                              ;   in Loop: Header=BB444_13 Depth=1
	v_clz_i32_u32_e32 v35, v19
	s_delay_alu instid0(VALU_DEP_1) | instskip(NEXT) | instid1(VALU_DEP_1)
	v_min_u32_e32 v87, 32, v35
	v_subrev_nc_u32_e32 v35, 28, v87
	v_sub_nc_u32_e32 v87, 29, v87
	s_delay_alu instid0(VALU_DEP_2) | instskip(NEXT) | instid1(VALU_DEP_1)
	v_lshlrev_b64 v[35:36], v35, v[19:20]
	v_and_b32_e32 v35, 7, v35
; %bb.573:                              ;   in Loop: Header=BB444_13 Depth=1
	s_or_b32 exec_lo, exec_lo, s24
	v_lshlrev_b32_e32 v19, 24, v86
	s_delay_alu instid0(VALU_DEP_2) | instskip(SKIP_1) | instid1(VALU_DEP_3)
	v_lshlrev_b32_e32 v35, 20, v35
	v_lshl_add_u32 v36, v87, 23, 0x3c000000
	v_and_b32_e32 v19, 0x80000000, v19
	s_delay_alu instid0(VALU_DEP_1)
	v_or3_b32 v19, v35, v19, v36
.LBB444_574:                            ;   in Loop: Header=BB444_13 Depth=1
	s_or_b32 exec_lo, exec_lo, s23
.LBB444_575:                            ;   in Loop: Header=BB444_13 Depth=1
	s_delay_alu instid0(SALU_CYCLE_1)
	s_or_b32 exec_lo, exec_lo, s22
.LBB444_576:                            ;   in Loop: Header=BB444_13 Depth=1
	s_delay_alu instid0(SALU_CYCLE_1) | instskip(NEXT) | instid1(VALU_DEP_1)
	s_or_b32 exec_lo, exec_lo, s21
	v_mul_f32_e32 v19, v171, v19
                                        ; implicit-def: $vgpr86
	s_delay_alu instid0(VALU_DEP_1) | instskip(NEXT) | instid1(VALU_DEP_1)
	v_and_b32_e32 v35, 0x7f800000, v19
	v_cmp_ne_u32_e64 s1, 0x7f800000, v35
	s_delay_alu instid0(VALU_DEP_1) | instskip(NEXT) | instid1(SALU_CYCLE_1)
	s_and_saveexec_b32 s21, s1
	s_xor_b32 s1, exec_lo, s21
; %bb.577:                              ;   in Loop: Header=BB444_13 Depth=1
	v_bfe_u32 v35, v19, 16, 1
	s_delay_alu instid0(VALU_DEP_1)
	v_add3_u32 v86, v19, v35, 0x7fff
                                        ; implicit-def: $vgpr19
; %bb.578:                              ;   in Loop: Header=BB444_13 Depth=1
	s_and_not1_saveexec_b32 s21, s1
; %bb.579:                              ;   in Loop: Header=BB444_13 Depth=1
	v_and_b32_e32 v35, 0xffff, v19
	v_or_b32_e32 v36, 0x10000, v19
	s_delay_alu instid0(VALU_DEP_2) | instskip(NEXT) | instid1(VALU_DEP_1)
	v_cmp_eq_u32_e64 s1, 0, v35
	v_cndmask_b32_e64 v86, v36, v19, s1
; %bb.580:                              ;   in Loop: Header=BB444_13 Depth=1
	s_or_b32 exec_lo, exec_lo, s21
	v_mov_b32_e32 v19, 0
	s_mov_b32 s21, exec_lo
	v_cmpx_lt_u64_e64 s[16:17], v[33:34]
	s_cbranch_execz .LBB444_588
; %bb.581:                              ;   in Loop: Header=BB444_13 Depth=1
	v_lshrrev_b32_e32 v35, 24, v34
	v_bfrev_b32_e32 v19, 1
	s_mov_b32 s22, exec_lo
	s_delay_alu instid0(VALU_DEP_2)
	v_cmpx_ne_u32_e32 0x80, v35
	s_cbranch_execz .LBB444_587
; %bb.582:                              ;   in Loop: Header=BB444_13 Depth=1
	v_bfe_u32 v33, v34, 24, 7
	v_mov_b32_e32 v19, 0x7f800001
	s_mov_b32 s23, exec_lo
	s_delay_alu instid0(VALU_DEP_2)
	v_cmpx_ne_u32_e32 0x7f, v33
	s_cbranch_execz .LBB444_586
; %bb.583:                              ;   in Loop: Header=BB444_13 Depth=1
	v_and_b32_e32 v19, 7, v35
	v_lshrrev_b32_e32 v36, 3, v33
	v_cmp_gt_u32_e64 s1, 8, v33
	s_delay_alu instid0(VALU_DEP_3) | instskip(NEXT) | instid1(VALU_DEP_2)
	v_dual_mov_b32 v34, v20 :: v_dual_mov_b32 v33, v19
	s_and_saveexec_b32 s24, s1
; %bb.584:                              ;   in Loop: Header=BB444_13 Depth=1
	v_clz_i32_u32_e32 v33, v19
	s_delay_alu instid0(VALU_DEP_1) | instskip(NEXT) | instid1(VALU_DEP_1)
	v_min_u32_e32 v36, 32, v33
	v_subrev_nc_u32_e32 v33, 28, v36
	v_sub_nc_u32_e32 v36, 29, v36
	s_delay_alu instid0(VALU_DEP_2) | instskip(NEXT) | instid1(VALU_DEP_1)
	v_lshlrev_b64 v[33:34], v33, v[19:20]
	v_and_b32_e32 v33, 7, v33
; %bb.585:                              ;   in Loop: Header=BB444_13 Depth=1
	s_or_b32 exec_lo, exec_lo, s24
	v_lshlrev_b32_e32 v19, 24, v35
	s_delay_alu instid0(VALU_DEP_2) | instskip(SKIP_1) | instid1(VALU_DEP_3)
	v_lshlrev_b32_e32 v33, 20, v33
	v_lshl_add_u32 v34, v36, 23, 0x3c000000
	v_and_b32_e32 v19, 0x80000000, v19
	s_delay_alu instid0(VALU_DEP_1)
	v_or3_b32 v19, v33, v19, v34
.LBB444_586:                            ;   in Loop: Header=BB444_13 Depth=1
	s_or_b32 exec_lo, exec_lo, s23
.LBB444_587:                            ;   in Loop: Header=BB444_13 Depth=1
	s_delay_alu instid0(SALU_CYCLE_1)
	s_or_b32 exec_lo, exec_lo, s22
.LBB444_588:                            ;   in Loop: Header=BB444_13 Depth=1
	s_delay_alu instid0(SALU_CYCLE_1) | instskip(NEXT) | instid1(VALU_DEP_1)
	s_or_b32 exec_lo, exec_lo, s21
	v_mul_f32_e32 v19, v171, v19
                                        ; implicit-def: $vgpr87
	s_delay_alu instid0(VALU_DEP_1) | instskip(NEXT) | instid1(VALU_DEP_1)
	v_and_b32_e32 v33, 0x7f800000, v19
	v_cmp_ne_u32_e64 s1, 0x7f800000, v33
	s_delay_alu instid0(VALU_DEP_1) | instskip(NEXT) | instid1(SALU_CYCLE_1)
	s_and_saveexec_b32 s21, s1
	s_xor_b32 s1, exec_lo, s21
; %bb.589:                              ;   in Loop: Header=BB444_13 Depth=1
	v_bfe_u32 v33, v19, 16, 1
	s_delay_alu instid0(VALU_DEP_1)
	v_add3_u32 v87, v19, v33, 0x7fff
                                        ; implicit-def: $vgpr19
; %bb.590:                              ;   in Loop: Header=BB444_13 Depth=1
	s_and_not1_saveexec_b32 s21, s1
; %bb.591:                              ;   in Loop: Header=BB444_13 Depth=1
	v_and_b32_e32 v33, 0xffff, v19
	v_or_b32_e32 v34, 0x10000, v19
	s_delay_alu instid0(VALU_DEP_2) | instskip(NEXT) | instid1(VALU_DEP_1)
	v_cmp_eq_u32_e64 s1, 0, v33
	v_cndmask_b32_e64 v87, v34, v19, s1
; %bb.592:                              ;   in Loop: Header=BB444_13 Depth=1
	s_or_b32 exec_lo, exec_lo, s21
	flat_load_b64 v[33:34], v[31:32] offset:1536
	v_mov_b32_e32 v19, 0
	s_mov_b32 s21, exec_lo
	s_waitcnt vmcnt(0) lgkmcnt(0)
	v_and_b32_e32 v35, 0xff, v33
	s_delay_alu instid0(VALU_DEP_1)
	v_cmpx_ne_u16_e32 0, v35
	s_cbranch_execz .LBB444_600
; %bb.593:                              ;   in Loop: Header=BB444_13 Depth=1
	v_bfrev_b32_e32 v19, 1
	s_mov_b32 s22, exec_lo
	v_cmpx_ne_u16_e32 0x80, v35
	s_cbranch_execz .LBB444_599
; %bb.594:                              ;   in Loop: Header=BB444_13 Depth=1
	v_and_b32_e32 v35, 0x7f, v33
	v_mov_b32_e32 v19, 0x7f800001
	s_mov_b32 s23, exec_lo
	s_delay_alu instid0(VALU_DEP_2)
	v_cmpx_ne_u32_e32 0x7f, v35
	s_cbranch_execz .LBB444_598
; %bb.595:                              ;   in Loop: Header=BB444_13 Depth=1
	v_lshrrev_b32_e32 v19, 3, v35
	v_cmp_gt_u32_e64 s1, 8, v35
	v_dual_mov_b32 v36, v34 :: v_dual_mov_b32 v35, v33
	s_delay_alu instid0(VALU_DEP_2)
	s_and_saveexec_b32 s24, s1
; %bb.596:                              ;   in Loop: Header=BB444_13 Depth=1
	v_and_b32_e32 v19, 7, v33
	s_delay_alu instid0(VALU_DEP_1) | instskip(NEXT) | instid1(VALU_DEP_1)
	v_clz_i32_u32_e32 v19, v19
	v_min_u32_e32 v19, 32, v19
	s_delay_alu instid0(VALU_DEP_1) | instskip(SKIP_1) | instid1(VALU_DEP_2)
	v_subrev_nc_u32_e32 v35, 28, v19
	v_sub_nc_u32_e32 v19, 29, v19
	v_lshlrev_b64 v[35:36], v35, v[33:34]
; %bb.597:                              ;   in Loop: Header=BB444_13 Depth=1
	s_or_b32 exec_lo, exec_lo, s24
	s_delay_alu instid0(VALU_DEP_1) | instskip(SKIP_2) | instid1(VALU_DEP_3)
	v_lshlrev_b32_e32 v35, 20, v35
	v_lshlrev_b32_e32 v36, 24, v33
	v_lshl_add_u32 v19, v19, 23, 0x3c000000
	v_and_b32_e32 v35, 0x700000, v35
	s_delay_alu instid0(VALU_DEP_3) | instskip(NEXT) | instid1(VALU_DEP_1)
	v_and_b32_e32 v36, 0x80000000, v36
	v_or3_b32 v19, v35, v36, v19
.LBB444_598:                            ;   in Loop: Header=BB444_13 Depth=1
	s_or_b32 exec_lo, exec_lo, s23
.LBB444_599:                            ;   in Loop: Header=BB444_13 Depth=1
	s_delay_alu instid0(SALU_CYCLE_1)
	s_or_b32 exec_lo, exec_lo, s22
.LBB444_600:                            ;   in Loop: Header=BB444_13 Depth=1
	s_delay_alu instid0(SALU_CYCLE_1) | instskip(NEXT) | instid1(VALU_DEP_1)
	s_or_b32 exec_lo, exec_lo, s21
	v_mul_f32_e32 v19, v171, v19
                                        ; implicit-def: $vgpr96
	s_delay_alu instid0(VALU_DEP_1) | instskip(NEXT) | instid1(VALU_DEP_1)
	v_and_b32_e32 v35, 0x7f800000, v19
	v_cmp_ne_u32_e64 s1, 0x7f800000, v35
	s_delay_alu instid0(VALU_DEP_1) | instskip(NEXT) | instid1(SALU_CYCLE_1)
	s_and_saveexec_b32 s21, s1
	s_xor_b32 s1, exec_lo, s21
; %bb.601:                              ;   in Loop: Header=BB444_13 Depth=1
	v_bfe_u32 v35, v19, 16, 1
	s_delay_alu instid0(VALU_DEP_1)
	v_add3_u32 v96, v19, v35, 0x7fff
                                        ; implicit-def: $vgpr19
; %bb.602:                              ;   in Loop: Header=BB444_13 Depth=1
	s_and_not1_saveexec_b32 s21, s1
; %bb.603:                              ;   in Loop: Header=BB444_13 Depth=1
	v_and_b32_e32 v35, 0xffff, v19
	v_or_b32_e32 v36, 0x10000, v19
	s_delay_alu instid0(VALU_DEP_2) | instskip(NEXT) | instid1(VALU_DEP_1)
	v_cmp_eq_u32_e64 s1, 0, v35
	v_cndmask_b32_e64 v96, v36, v19, s1
; %bb.604:                              ;   in Loop: Header=BB444_13 Depth=1
	s_or_b32 exec_lo, exec_lo, s21
	v_lshrrev_b16 v35, 8, v33
	v_mov_b32_e32 v19, 0
	s_mov_b32 s21, exec_lo
	s_delay_alu instid0(VALU_DEP_2)
	v_cmpx_ne_u16_e32 0, v35
	s_cbranch_execz .LBB444_612
; %bb.605:                              ;   in Loop: Header=BB444_13 Depth=1
	v_bfrev_b32_e32 v19, 1
	s_mov_b32 s22, exec_lo
	v_cmpx_ne_u16_e32 0x80, v35
	s_cbranch_execz .LBB444_611
; %bb.606:                              ;   in Loop: Header=BB444_13 Depth=1
	v_and_b32_e32 v36, 0xffff, v35
	v_mov_b32_e32 v19, 0x7f800001
	s_mov_b32 s23, exec_lo
	s_delay_alu instid0(VALU_DEP_2) | instskip(NEXT) | instid1(VALU_DEP_1)
	v_and_b32_e32 v35, 0x7f, v36
	v_cmpx_ne_u32_e32 0x7f, v35
	s_cbranch_execz .LBB444_610
; %bb.607:                              ;   in Loop: Header=BB444_13 Depth=1
	v_and_b32_e32 v19, 7, v36
	v_lshrrev_b32_e32 v97, 3, v35
	v_cmp_gt_u32_e64 s1, 8, v35
	s_delay_alu instid0(VALU_DEP_3) | instskip(NEXT) | instid1(VALU_DEP_2)
	v_dual_mov_b32 v36, v20 :: v_dual_mov_b32 v35, v19
	s_and_saveexec_b32 s24, s1
; %bb.608:                              ;   in Loop: Header=BB444_13 Depth=1
	v_clz_i32_u32_e32 v35, v19
	s_delay_alu instid0(VALU_DEP_1) | instskip(NEXT) | instid1(VALU_DEP_1)
	v_min_u32_e32 v97, 32, v35
	v_subrev_nc_u32_e32 v35, 28, v97
	v_sub_nc_u32_e32 v97, 29, v97
	s_delay_alu instid0(VALU_DEP_2) | instskip(NEXT) | instid1(VALU_DEP_1)
	v_lshlrev_b64 v[35:36], v35, v[19:20]
	v_and_b32_e32 v35, 7, v35
; %bb.609:                              ;   in Loop: Header=BB444_13 Depth=1
	s_or_b32 exec_lo, exec_lo, s24
	v_lshlrev_b32_e32 v19, 16, v33
	s_delay_alu instid0(VALU_DEP_2) | instskip(SKIP_1) | instid1(VALU_DEP_3)
	v_lshlrev_b32_e32 v35, 20, v35
	v_lshl_add_u32 v36, v97, 23, 0x3c000000
	v_and_b32_e32 v19, 0x80000000, v19
	s_delay_alu instid0(VALU_DEP_1)
	v_or3_b32 v19, v35, v19, v36
.LBB444_610:                            ;   in Loop: Header=BB444_13 Depth=1
	s_or_b32 exec_lo, exec_lo, s23
.LBB444_611:                            ;   in Loop: Header=BB444_13 Depth=1
	s_delay_alu instid0(SALU_CYCLE_1)
	s_or_b32 exec_lo, exec_lo, s22
.LBB444_612:                            ;   in Loop: Header=BB444_13 Depth=1
	s_delay_alu instid0(SALU_CYCLE_1) | instskip(NEXT) | instid1(VALU_DEP_1)
	s_or_b32 exec_lo, exec_lo, s21
	v_mul_f32_e32 v19, v171, v19
                                        ; implicit-def: $vgpr97
	s_delay_alu instid0(VALU_DEP_1) | instskip(NEXT) | instid1(VALU_DEP_1)
	v_and_b32_e32 v35, 0x7f800000, v19
	v_cmp_ne_u32_e64 s1, 0x7f800000, v35
	s_delay_alu instid0(VALU_DEP_1) | instskip(NEXT) | instid1(SALU_CYCLE_1)
	s_and_saveexec_b32 s21, s1
	s_xor_b32 s1, exec_lo, s21
; %bb.613:                              ;   in Loop: Header=BB444_13 Depth=1
	v_bfe_u32 v35, v19, 16, 1
	s_delay_alu instid0(VALU_DEP_1)
	v_add3_u32 v97, v19, v35, 0x7fff
                                        ; implicit-def: $vgpr19
; %bb.614:                              ;   in Loop: Header=BB444_13 Depth=1
	s_and_not1_saveexec_b32 s21, s1
; %bb.615:                              ;   in Loop: Header=BB444_13 Depth=1
	v_and_b32_e32 v35, 0xffff, v19
	v_or_b32_e32 v36, 0x10000, v19
	s_delay_alu instid0(VALU_DEP_2) | instskip(NEXT) | instid1(VALU_DEP_1)
	v_cmp_eq_u32_e64 s1, 0, v35
	v_cndmask_b32_e64 v97, v36, v19, s1
; %bb.616:                              ;   in Loop: Header=BB444_13 Depth=1
	s_or_b32 exec_lo, exec_lo, s21
	v_lshrrev_b32_e32 v98, 16, v33
	v_mov_b32_e32 v19, 0
	s_mov_b32 s21, exec_lo
	s_delay_alu instid0(VALU_DEP_2) | instskip(NEXT) | instid1(VALU_DEP_1)
	v_and_b32_e32 v35, 0xff, v98
	v_cmpx_ne_u16_e32 0, v35
	s_cbranch_execz .LBB444_624
; %bb.617:                              ;   in Loop: Header=BB444_13 Depth=1
	v_bfrev_b32_e32 v19, 1
	s_mov_b32 s22, exec_lo
	v_cmpx_ne_u16_e32 0x80, v35
	s_cbranch_execz .LBB444_623
; %bb.618:                              ;   in Loop: Header=BB444_13 Depth=1
	v_bfe_u32 v35, v33, 16, 7
	v_mov_b32_e32 v19, 0x7f800001
	s_mov_b32 s23, exec_lo
	s_delay_alu instid0(VALU_DEP_2)
	v_cmpx_ne_u32_e32 0x7f, v35
	s_cbranch_execz .LBB444_622
; %bb.619:                              ;   in Loop: Header=BB444_13 Depth=1
	v_and_b32_e32 v19, 7, v98
	v_lshrrev_b32_e32 v99, 3, v35
	v_cmp_gt_u32_e64 s1, 8, v35
	s_delay_alu instid0(VALU_DEP_3) | instskip(NEXT) | instid1(VALU_DEP_2)
	v_dual_mov_b32 v36, v20 :: v_dual_mov_b32 v35, v19
	s_and_saveexec_b32 s24, s1
; %bb.620:                              ;   in Loop: Header=BB444_13 Depth=1
	v_clz_i32_u32_e32 v35, v19
	s_delay_alu instid0(VALU_DEP_1) | instskip(NEXT) | instid1(VALU_DEP_1)
	v_min_u32_e32 v99, 32, v35
	v_subrev_nc_u32_e32 v35, 28, v99
	v_sub_nc_u32_e32 v99, 29, v99
	s_delay_alu instid0(VALU_DEP_2) | instskip(NEXT) | instid1(VALU_DEP_1)
	v_lshlrev_b64 v[35:36], v35, v[19:20]
	v_and_b32_e32 v35, 7, v35
; %bb.621:                              ;   in Loop: Header=BB444_13 Depth=1
	s_or_b32 exec_lo, exec_lo, s24
	v_lshlrev_b32_e32 v19, 24, v98
	s_delay_alu instid0(VALU_DEP_2) | instskip(SKIP_1) | instid1(VALU_DEP_3)
	v_lshlrev_b32_e32 v35, 20, v35
	v_lshl_add_u32 v36, v99, 23, 0x3c000000
	v_and_b32_e32 v19, 0x80000000, v19
	s_delay_alu instid0(VALU_DEP_1)
	v_or3_b32 v19, v35, v19, v36
.LBB444_622:                            ;   in Loop: Header=BB444_13 Depth=1
	s_or_b32 exec_lo, exec_lo, s23
.LBB444_623:                            ;   in Loop: Header=BB444_13 Depth=1
	s_delay_alu instid0(SALU_CYCLE_1)
	s_or_b32 exec_lo, exec_lo, s22
.LBB444_624:                            ;   in Loop: Header=BB444_13 Depth=1
	s_delay_alu instid0(SALU_CYCLE_1) | instskip(NEXT) | instid1(VALU_DEP_1)
	s_or_b32 exec_lo, exec_lo, s21
	v_mul_f32_e32 v19, v171, v19
                                        ; implicit-def: $vgpr98
	s_delay_alu instid0(VALU_DEP_1) | instskip(NEXT) | instid1(VALU_DEP_1)
	v_and_b32_e32 v35, 0x7f800000, v19
	v_cmp_ne_u32_e64 s1, 0x7f800000, v35
	s_delay_alu instid0(VALU_DEP_1) | instskip(NEXT) | instid1(SALU_CYCLE_1)
	s_and_saveexec_b32 s21, s1
	s_xor_b32 s1, exec_lo, s21
; %bb.625:                              ;   in Loop: Header=BB444_13 Depth=1
	v_bfe_u32 v35, v19, 16, 1
	s_delay_alu instid0(VALU_DEP_1)
	v_add3_u32 v98, v19, v35, 0x7fff
                                        ; implicit-def: $vgpr19
; %bb.626:                              ;   in Loop: Header=BB444_13 Depth=1
	s_and_not1_saveexec_b32 s21, s1
; %bb.627:                              ;   in Loop: Header=BB444_13 Depth=1
	v_and_b32_e32 v35, 0xffff, v19
	v_or_b32_e32 v36, 0x10000, v19
	s_delay_alu instid0(VALU_DEP_2) | instskip(NEXT) | instid1(VALU_DEP_1)
	v_cmp_eq_u32_e64 s1, 0, v35
	v_cndmask_b32_e64 v98, v36, v19, s1
; %bb.628:                              ;   in Loop: Header=BB444_13 Depth=1
	s_or_b32 exec_lo, exec_lo, s21
	v_mov_b32_e32 v19, 0
	s_mov_b32 s21, exec_lo
	v_cmpx_lt_u32_e32 0xffffff, v33
	s_cbranch_execz .LBB444_636
; %bb.629:                              ;   in Loop: Header=BB444_13 Depth=1
	v_lshrrev_b32_e32 v99, 24, v33
	v_bfrev_b32_e32 v19, 1
	s_mov_b32 s22, exec_lo
	s_delay_alu instid0(VALU_DEP_2)
	v_cmpx_ne_u32_e32 0x80, v99
	s_cbranch_execz .LBB444_635
; %bb.630:                              ;   in Loop: Header=BB444_13 Depth=1
	v_bfe_u32 v35, v33, 24, 7
	v_mov_b32_e32 v19, 0x7f800001
	s_mov_b32 s23, exec_lo
	s_delay_alu instid0(VALU_DEP_2)
	v_cmpx_ne_u32_e32 0x7f, v35
	s_cbranch_execz .LBB444_634
; %bb.631:                              ;   in Loop: Header=BB444_13 Depth=1
	v_and_b32_e32 v19, 7, v99
	v_lshrrev_b32_e32 v100, 3, v35
	v_cmp_gt_u32_e64 s1, 8, v35
	s_delay_alu instid0(VALU_DEP_3) | instskip(NEXT) | instid1(VALU_DEP_2)
	v_dual_mov_b32 v36, v20 :: v_dual_mov_b32 v35, v19
	s_and_saveexec_b32 s24, s1
; %bb.632:                              ;   in Loop: Header=BB444_13 Depth=1
	v_clz_i32_u32_e32 v35, v19
	s_delay_alu instid0(VALU_DEP_1) | instskip(NEXT) | instid1(VALU_DEP_1)
	v_min_u32_e32 v100, 32, v35
	v_subrev_nc_u32_e32 v35, 28, v100
	v_sub_nc_u32_e32 v100, 29, v100
	s_delay_alu instid0(VALU_DEP_2) | instskip(NEXT) | instid1(VALU_DEP_1)
	v_lshlrev_b64 v[35:36], v35, v[19:20]
	v_and_b32_e32 v35, 7, v35
; %bb.633:                              ;   in Loop: Header=BB444_13 Depth=1
	s_or_b32 exec_lo, exec_lo, s24
	v_lshlrev_b32_e32 v19, 24, v99
	s_delay_alu instid0(VALU_DEP_2) | instskip(SKIP_1) | instid1(VALU_DEP_3)
	v_lshlrev_b32_e32 v35, 20, v35
	v_lshl_add_u32 v36, v100, 23, 0x3c000000
	v_and_b32_e32 v19, 0x80000000, v19
	s_delay_alu instid0(VALU_DEP_1)
	v_or3_b32 v19, v35, v19, v36
.LBB444_634:                            ;   in Loop: Header=BB444_13 Depth=1
	s_or_b32 exec_lo, exec_lo, s23
.LBB444_635:                            ;   in Loop: Header=BB444_13 Depth=1
	s_delay_alu instid0(SALU_CYCLE_1)
	s_or_b32 exec_lo, exec_lo, s22
.LBB444_636:                            ;   in Loop: Header=BB444_13 Depth=1
	s_delay_alu instid0(SALU_CYCLE_1) | instskip(NEXT) | instid1(VALU_DEP_1)
	s_or_b32 exec_lo, exec_lo, s21
	v_mul_f32_e32 v19, v171, v19
                                        ; implicit-def: $vgpr99
	s_delay_alu instid0(VALU_DEP_1) | instskip(NEXT) | instid1(VALU_DEP_1)
	v_and_b32_e32 v35, 0x7f800000, v19
	v_cmp_ne_u32_e64 s1, 0x7f800000, v35
	s_delay_alu instid0(VALU_DEP_1) | instskip(NEXT) | instid1(SALU_CYCLE_1)
	s_and_saveexec_b32 s21, s1
	s_xor_b32 s1, exec_lo, s21
; %bb.637:                              ;   in Loop: Header=BB444_13 Depth=1
	v_bfe_u32 v35, v19, 16, 1
	s_delay_alu instid0(VALU_DEP_1)
	v_add3_u32 v99, v19, v35, 0x7fff
                                        ; implicit-def: $vgpr19
; %bb.638:                              ;   in Loop: Header=BB444_13 Depth=1
	s_and_not1_saveexec_b32 s21, s1
; %bb.639:                              ;   in Loop: Header=BB444_13 Depth=1
	v_and_b32_e32 v35, 0xffff, v19
	v_or_b32_e32 v36, 0x10000, v19
	s_delay_alu instid0(VALU_DEP_2) | instskip(NEXT) | instid1(VALU_DEP_1)
	v_cmp_eq_u32_e64 s1, 0, v35
	v_cndmask_b32_e64 v99, v36, v19, s1
; %bb.640:                              ;   in Loop: Header=BB444_13 Depth=1
	s_or_b32 exec_lo, exec_lo, s21
	v_dual_mov_b32 v19, v34 :: v_dual_and_b32 v36, 0xff, v34
	v_mov_b32_e32 v35, 0
	s_mov_b32 s21, exec_lo
	s_delay_alu instid0(VALU_DEP_2)
	v_cmpx_ne_u16_e32 0, v36
	s_cbranch_execz .LBB444_648
; %bb.641:                              ;   in Loop: Header=BB444_13 Depth=1
	v_bfrev_b32_e32 v35, 1
	s_mov_b32 s22, exec_lo
	v_cmpx_ne_u16_e32 0x80, v36
	s_cbranch_execz .LBB444_647
; %bb.642:                              ;   in Loop: Header=BB444_13 Depth=1
	v_and_b32_e32 v36, 0x7f, v34
	v_mov_b32_e32 v35, 0x7f800001
	s_mov_b32 s23, exec_lo
	s_delay_alu instid0(VALU_DEP_2)
	v_cmpx_ne_u32_e32 0x7f, v36
	s_cbranch_execz .LBB444_646
; %bb.643:                              ;   in Loop: Header=BB444_13 Depth=1
	v_lshrrev_b32_e32 v100, 3, v36
	v_cmp_gt_u32_e64 s1, 8, v36
	v_dual_mov_b32 v36, v20 :: v_dual_mov_b32 v35, v19
	s_delay_alu instid0(VALU_DEP_2)
	s_and_saveexec_b32 s24, s1
; %bb.644:                              ;   in Loop: Header=BB444_13 Depth=1
	v_and_b32_e32 v35, 7, v34
	s_delay_alu instid0(VALU_DEP_1) | instskip(NEXT) | instid1(VALU_DEP_1)
	v_clz_i32_u32_e32 v35, v35
	v_min_u32_e32 v100, 32, v35
	s_delay_alu instid0(VALU_DEP_1) | instskip(SKIP_1) | instid1(VALU_DEP_2)
	v_subrev_nc_u32_e32 v35, 28, v100
	v_sub_nc_u32_e32 v100, 29, v100
	v_lshlrev_b64 v[35:36], v35, v[19:20]
; %bb.645:                              ;   in Loop: Header=BB444_13 Depth=1
	s_or_b32 exec_lo, exec_lo, s24
	s_delay_alu instid0(VALU_DEP_1) | instskip(SKIP_2) | instid1(VALU_DEP_3)
	v_lshlrev_b32_e32 v35, 20, v35
	v_lshlrev_b32_e32 v36, 24, v19
	v_lshl_add_u32 v100, v100, 23, 0x3c000000
	v_and_b32_e32 v35, 0x700000, v35
	s_delay_alu instid0(VALU_DEP_3) | instskip(NEXT) | instid1(VALU_DEP_1)
	v_and_b32_e32 v36, 0x80000000, v36
	v_or3_b32 v35, v35, v36, v100
.LBB444_646:                            ;   in Loop: Header=BB444_13 Depth=1
	s_or_b32 exec_lo, exec_lo, s23
.LBB444_647:                            ;   in Loop: Header=BB444_13 Depth=1
	s_delay_alu instid0(SALU_CYCLE_1)
	s_or_b32 exec_lo, exec_lo, s22
.LBB444_648:                            ;   in Loop: Header=BB444_13 Depth=1
	s_delay_alu instid0(SALU_CYCLE_1) | instskip(NEXT) | instid1(VALU_DEP_1)
	s_or_b32 exec_lo, exec_lo, s21
	v_mul_f32_e32 v35, v171, v35
                                        ; implicit-def: $vgpr100
	s_delay_alu instid0(VALU_DEP_1) | instskip(NEXT) | instid1(VALU_DEP_1)
	v_and_b32_e32 v36, 0x7f800000, v35
	v_cmp_ne_u32_e64 s1, 0x7f800000, v36
	s_delay_alu instid0(VALU_DEP_1) | instskip(NEXT) | instid1(SALU_CYCLE_1)
	s_and_saveexec_b32 s21, s1
	s_xor_b32 s1, exec_lo, s21
; %bb.649:                              ;   in Loop: Header=BB444_13 Depth=1
	v_bfe_u32 v36, v35, 16, 1
	s_delay_alu instid0(VALU_DEP_1)
	v_add3_u32 v100, v35, v36, 0x7fff
                                        ; implicit-def: $vgpr35
; %bb.650:                              ;   in Loop: Header=BB444_13 Depth=1
	s_and_not1_saveexec_b32 s21, s1
; %bb.651:                              ;   in Loop: Header=BB444_13 Depth=1
	v_and_b32_e32 v36, 0xffff, v35
	v_or_b32_e32 v100, 0x10000, v35
	s_delay_alu instid0(VALU_DEP_2) | instskip(NEXT) | instid1(VALU_DEP_1)
	v_cmp_eq_u32_e64 s1, 0, v36
	v_cndmask_b32_e64 v100, v100, v35, s1
; %bb.652:                              ;   in Loop: Header=BB444_13 Depth=1
	s_or_b32 exec_lo, exec_lo, s21
	v_lshrrev_b16 v36, 8, v19
	v_mov_b32_e32 v35, 0
	s_mov_b32 s21, exec_lo
	s_delay_alu instid0(VALU_DEP_2)
	v_cmpx_ne_u16_e32 0, v36
	s_cbranch_execz .LBB444_660
; %bb.653:                              ;   in Loop: Header=BB444_13 Depth=1
	v_bfrev_b32_e32 v35, 1
	s_mov_b32 s22, exec_lo
	v_cmpx_ne_u16_e32 0x80, v36
	s_cbranch_execz .LBB444_659
; %bb.654:                              ;   in Loop: Header=BB444_13 Depth=1
	v_and_b32_e32 v36, 0xffff, v36
	v_mov_b32_e32 v35, 0x7f800001
	s_mov_b32 s23, exec_lo
	s_delay_alu instid0(VALU_DEP_2) | instskip(NEXT) | instid1(VALU_DEP_1)
	v_and_b32_e32 v102, 0x7f, v36
	v_cmpx_ne_u32_e32 0x7f, v102
	s_cbranch_execz .LBB444_658
; %bb.655:                              ;   in Loop: Header=BB444_13 Depth=1
	v_dual_mov_b32 v36, v20 :: v_dual_and_b32 v35, 7, v36
	v_lshrrev_b32_e32 v101, 3, v102
	s_mov_b32 s24, exec_lo
	v_cmpx_gt_u32_e32 8, v102
; %bb.656:                              ;   in Loop: Header=BB444_13 Depth=1
	s_delay_alu instid0(VALU_DEP_3) | instskip(NEXT) | instid1(VALU_DEP_1)
	v_clz_i32_u32_e32 v101, v35
	v_min_u32_e32 v101, 32, v101
	s_delay_alu instid0(VALU_DEP_1) | instskip(SKIP_1) | instid1(VALU_DEP_2)
	v_subrev_nc_u32_e32 v102, 28, v101
	v_sub_nc_u32_e32 v101, 29, v101
	v_lshlrev_b64 v[35:36], v102, v[35:36]
	s_delay_alu instid0(VALU_DEP_1)
	v_and_b32_e32 v35, 7, v35
; %bb.657:                              ;   in Loop: Header=BB444_13 Depth=1
	s_or_b32 exec_lo, exec_lo, s24
	v_lshlrev_b32_e32 v19, 16, v19
	s_delay_alu instid0(VALU_DEP_2) | instskip(SKIP_1) | instid1(VALU_DEP_3)
	v_lshlrev_b32_e32 v35, 20, v35
	v_lshl_add_u32 v36, v101, 23, 0x3c000000
	v_and_b32_e32 v19, 0x80000000, v19
	s_delay_alu instid0(VALU_DEP_1)
	v_or3_b32 v35, v35, v19, v36
.LBB444_658:                            ;   in Loop: Header=BB444_13 Depth=1
	s_or_b32 exec_lo, exec_lo, s23
.LBB444_659:                            ;   in Loop: Header=BB444_13 Depth=1
	s_delay_alu instid0(SALU_CYCLE_1)
	s_or_b32 exec_lo, exec_lo, s22
.LBB444_660:                            ;   in Loop: Header=BB444_13 Depth=1
	s_delay_alu instid0(SALU_CYCLE_1) | instskip(NEXT) | instid1(VALU_DEP_1)
	s_or_b32 exec_lo, exec_lo, s21
	v_mul_f32_e32 v19, v171, v35
                                        ; implicit-def: $vgpr101
	s_delay_alu instid0(VALU_DEP_1) | instskip(NEXT) | instid1(VALU_DEP_1)
	v_and_b32_e32 v35, 0x7f800000, v19
	v_cmp_ne_u32_e64 s1, 0x7f800000, v35
	s_delay_alu instid0(VALU_DEP_1) | instskip(NEXT) | instid1(SALU_CYCLE_1)
	s_and_saveexec_b32 s21, s1
	s_xor_b32 s1, exec_lo, s21
; %bb.661:                              ;   in Loop: Header=BB444_13 Depth=1
	v_bfe_u32 v35, v19, 16, 1
	s_delay_alu instid0(VALU_DEP_1)
	v_add3_u32 v101, v19, v35, 0x7fff
                                        ; implicit-def: $vgpr19
; %bb.662:                              ;   in Loop: Header=BB444_13 Depth=1
	s_and_not1_saveexec_b32 s21, s1
; %bb.663:                              ;   in Loop: Header=BB444_13 Depth=1
	v_and_b32_e32 v35, 0xffff, v19
	v_or_b32_e32 v36, 0x10000, v19
	s_delay_alu instid0(VALU_DEP_2) | instskip(NEXT) | instid1(VALU_DEP_1)
	v_cmp_eq_u32_e64 s1, 0, v35
	v_cndmask_b32_e64 v101, v36, v19, s1
; %bb.664:                              ;   in Loop: Header=BB444_13 Depth=1
	s_or_b32 exec_lo, exec_lo, s21
	v_lshrrev_b32_e32 v102, 16, v34
	v_mov_b32_e32 v19, 0
	s_mov_b32 s21, exec_lo
	s_delay_alu instid0(VALU_DEP_2) | instskip(NEXT) | instid1(VALU_DEP_1)
	v_and_b32_e32 v35, 0xff, v102
	v_cmpx_ne_u16_e32 0, v35
	s_cbranch_execz .LBB444_672
; %bb.665:                              ;   in Loop: Header=BB444_13 Depth=1
	v_bfrev_b32_e32 v19, 1
	s_mov_b32 s22, exec_lo
	v_cmpx_ne_u16_e32 0x80, v35
	s_cbranch_execz .LBB444_671
; %bb.666:                              ;   in Loop: Header=BB444_13 Depth=1
	v_bfe_u32 v35, v34, 16, 7
	v_mov_b32_e32 v19, 0x7f800001
	s_mov_b32 s23, exec_lo
	s_delay_alu instid0(VALU_DEP_2)
	v_cmpx_ne_u32_e32 0x7f, v35
	s_cbranch_execz .LBB444_670
; %bb.667:                              ;   in Loop: Header=BB444_13 Depth=1
	v_and_b32_e32 v19, 7, v102
	v_lshrrev_b32_e32 v103, 3, v35
	v_cmp_gt_u32_e64 s1, 8, v35
	s_delay_alu instid0(VALU_DEP_3) | instskip(NEXT) | instid1(VALU_DEP_2)
	v_dual_mov_b32 v36, v20 :: v_dual_mov_b32 v35, v19
	s_and_saveexec_b32 s24, s1
; %bb.668:                              ;   in Loop: Header=BB444_13 Depth=1
	v_clz_i32_u32_e32 v35, v19
	s_delay_alu instid0(VALU_DEP_1) | instskip(NEXT) | instid1(VALU_DEP_1)
	v_min_u32_e32 v103, 32, v35
	v_subrev_nc_u32_e32 v35, 28, v103
	v_sub_nc_u32_e32 v103, 29, v103
	s_delay_alu instid0(VALU_DEP_2) | instskip(NEXT) | instid1(VALU_DEP_1)
	v_lshlrev_b64 v[35:36], v35, v[19:20]
	v_and_b32_e32 v35, 7, v35
; %bb.669:                              ;   in Loop: Header=BB444_13 Depth=1
	s_or_b32 exec_lo, exec_lo, s24
	v_lshlrev_b32_e32 v19, 24, v102
	s_delay_alu instid0(VALU_DEP_2) | instskip(SKIP_1) | instid1(VALU_DEP_3)
	v_lshlrev_b32_e32 v35, 20, v35
	v_lshl_add_u32 v36, v103, 23, 0x3c000000
	v_and_b32_e32 v19, 0x80000000, v19
	s_delay_alu instid0(VALU_DEP_1)
	v_or3_b32 v19, v35, v19, v36
.LBB444_670:                            ;   in Loop: Header=BB444_13 Depth=1
	s_or_b32 exec_lo, exec_lo, s23
.LBB444_671:                            ;   in Loop: Header=BB444_13 Depth=1
	s_delay_alu instid0(SALU_CYCLE_1)
	s_or_b32 exec_lo, exec_lo, s22
.LBB444_672:                            ;   in Loop: Header=BB444_13 Depth=1
	s_delay_alu instid0(SALU_CYCLE_1) | instskip(NEXT) | instid1(VALU_DEP_1)
	s_or_b32 exec_lo, exec_lo, s21
	v_mul_f32_e32 v19, v171, v19
                                        ; implicit-def: $vgpr102
	s_delay_alu instid0(VALU_DEP_1) | instskip(NEXT) | instid1(VALU_DEP_1)
	v_and_b32_e32 v35, 0x7f800000, v19
	v_cmp_ne_u32_e64 s1, 0x7f800000, v35
	s_delay_alu instid0(VALU_DEP_1) | instskip(NEXT) | instid1(SALU_CYCLE_1)
	s_and_saveexec_b32 s21, s1
	s_xor_b32 s1, exec_lo, s21
; %bb.673:                              ;   in Loop: Header=BB444_13 Depth=1
	v_bfe_u32 v35, v19, 16, 1
	s_delay_alu instid0(VALU_DEP_1)
	v_add3_u32 v102, v19, v35, 0x7fff
                                        ; implicit-def: $vgpr19
; %bb.674:                              ;   in Loop: Header=BB444_13 Depth=1
	s_and_not1_saveexec_b32 s21, s1
; %bb.675:                              ;   in Loop: Header=BB444_13 Depth=1
	v_and_b32_e32 v35, 0xffff, v19
	v_or_b32_e32 v36, 0x10000, v19
	s_delay_alu instid0(VALU_DEP_2) | instskip(NEXT) | instid1(VALU_DEP_1)
	v_cmp_eq_u32_e64 s1, 0, v35
	v_cndmask_b32_e64 v102, v36, v19, s1
; %bb.676:                              ;   in Loop: Header=BB444_13 Depth=1
	s_or_b32 exec_lo, exec_lo, s21
	v_mov_b32_e32 v19, 0
	s_mov_b32 s21, exec_lo
	v_cmpx_lt_u64_e64 s[16:17], v[33:34]
	s_cbranch_execz .LBB444_684
; %bb.677:                              ;   in Loop: Header=BB444_13 Depth=1
	v_lshrrev_b32_e32 v35, 24, v34
	v_bfrev_b32_e32 v19, 1
	s_mov_b32 s22, exec_lo
	s_delay_alu instid0(VALU_DEP_2)
	v_cmpx_ne_u32_e32 0x80, v35
	s_cbranch_execz .LBB444_683
; %bb.678:                              ;   in Loop: Header=BB444_13 Depth=1
	v_bfe_u32 v33, v34, 24, 7
	v_mov_b32_e32 v19, 0x7f800001
	s_mov_b32 s23, exec_lo
	s_delay_alu instid0(VALU_DEP_2)
	v_cmpx_ne_u32_e32 0x7f, v33
	s_cbranch_execz .LBB444_682
; %bb.679:                              ;   in Loop: Header=BB444_13 Depth=1
	v_and_b32_e32 v19, 7, v35
	v_lshrrev_b32_e32 v36, 3, v33
	v_cmp_gt_u32_e64 s1, 8, v33
	s_delay_alu instid0(VALU_DEP_3) | instskip(NEXT) | instid1(VALU_DEP_2)
	v_dual_mov_b32 v34, v20 :: v_dual_mov_b32 v33, v19
	s_and_saveexec_b32 s24, s1
; %bb.680:                              ;   in Loop: Header=BB444_13 Depth=1
	v_clz_i32_u32_e32 v33, v19
	s_delay_alu instid0(VALU_DEP_1) | instskip(NEXT) | instid1(VALU_DEP_1)
	v_min_u32_e32 v36, 32, v33
	v_subrev_nc_u32_e32 v33, 28, v36
	v_sub_nc_u32_e32 v36, 29, v36
	s_delay_alu instid0(VALU_DEP_2) | instskip(NEXT) | instid1(VALU_DEP_1)
	v_lshlrev_b64 v[33:34], v33, v[19:20]
	v_and_b32_e32 v33, 7, v33
; %bb.681:                              ;   in Loop: Header=BB444_13 Depth=1
	s_or_b32 exec_lo, exec_lo, s24
	v_lshlrev_b32_e32 v19, 24, v35
	s_delay_alu instid0(VALU_DEP_2) | instskip(SKIP_1) | instid1(VALU_DEP_3)
	v_lshlrev_b32_e32 v33, 20, v33
	v_lshl_add_u32 v34, v36, 23, 0x3c000000
	v_and_b32_e32 v19, 0x80000000, v19
	s_delay_alu instid0(VALU_DEP_1)
	v_or3_b32 v19, v33, v19, v34
.LBB444_682:                            ;   in Loop: Header=BB444_13 Depth=1
	s_or_b32 exec_lo, exec_lo, s23
.LBB444_683:                            ;   in Loop: Header=BB444_13 Depth=1
	s_delay_alu instid0(SALU_CYCLE_1)
	s_or_b32 exec_lo, exec_lo, s22
.LBB444_684:                            ;   in Loop: Header=BB444_13 Depth=1
	s_delay_alu instid0(SALU_CYCLE_1) | instskip(NEXT) | instid1(VALU_DEP_1)
	s_or_b32 exec_lo, exec_lo, s21
	v_mul_f32_e32 v19, v171, v19
                                        ; implicit-def: $vgpr103
	s_delay_alu instid0(VALU_DEP_1) | instskip(NEXT) | instid1(VALU_DEP_1)
	v_and_b32_e32 v33, 0x7f800000, v19
	v_cmp_ne_u32_e64 s1, 0x7f800000, v33
	s_delay_alu instid0(VALU_DEP_1) | instskip(NEXT) | instid1(SALU_CYCLE_1)
	s_and_saveexec_b32 s21, s1
	s_xor_b32 s1, exec_lo, s21
; %bb.685:                              ;   in Loop: Header=BB444_13 Depth=1
	v_bfe_u32 v33, v19, 16, 1
	s_delay_alu instid0(VALU_DEP_1)
	v_add3_u32 v103, v19, v33, 0x7fff
                                        ; implicit-def: $vgpr19
; %bb.686:                              ;   in Loop: Header=BB444_13 Depth=1
	s_and_not1_saveexec_b32 s21, s1
; %bb.687:                              ;   in Loop: Header=BB444_13 Depth=1
	v_and_b32_e32 v33, 0xffff, v19
	v_or_b32_e32 v34, 0x10000, v19
	s_delay_alu instid0(VALU_DEP_2) | instskip(NEXT) | instid1(VALU_DEP_1)
	v_cmp_eq_u32_e64 s1, 0, v33
	v_cndmask_b32_e64 v103, v34, v19, s1
; %bb.688:                              ;   in Loop: Header=BB444_13 Depth=1
	s_or_b32 exec_lo, exec_lo, s21
	flat_load_b64 v[33:34], v[31:32] offset:1544
	v_mov_b32_e32 v19, 0
	s_mov_b32 s21, exec_lo
	s_waitcnt vmcnt(0) lgkmcnt(0)
	v_and_b32_e32 v35, 0xff, v33
	s_delay_alu instid0(VALU_DEP_1)
	v_cmpx_ne_u16_e32 0, v35
	s_cbranch_execz .LBB444_696
; %bb.689:                              ;   in Loop: Header=BB444_13 Depth=1
	v_bfrev_b32_e32 v19, 1
	s_mov_b32 s22, exec_lo
	v_cmpx_ne_u16_e32 0x80, v35
	s_cbranch_execz .LBB444_695
; %bb.690:                              ;   in Loop: Header=BB444_13 Depth=1
	v_and_b32_e32 v35, 0x7f, v33
	v_mov_b32_e32 v19, 0x7f800001
	s_mov_b32 s23, exec_lo
	s_delay_alu instid0(VALU_DEP_2)
	v_cmpx_ne_u32_e32 0x7f, v35
	s_cbranch_execz .LBB444_694
; %bb.691:                              ;   in Loop: Header=BB444_13 Depth=1
	v_lshrrev_b32_e32 v19, 3, v35
	v_cmp_gt_u32_e64 s1, 8, v35
	v_dual_mov_b32 v36, v34 :: v_dual_mov_b32 v35, v33
	s_delay_alu instid0(VALU_DEP_2)
	s_and_saveexec_b32 s24, s1
; %bb.692:                              ;   in Loop: Header=BB444_13 Depth=1
	v_and_b32_e32 v19, 7, v33
	s_delay_alu instid0(VALU_DEP_1) | instskip(NEXT) | instid1(VALU_DEP_1)
	v_clz_i32_u32_e32 v19, v19
	v_min_u32_e32 v19, 32, v19
	s_delay_alu instid0(VALU_DEP_1) | instskip(SKIP_1) | instid1(VALU_DEP_2)
	v_subrev_nc_u32_e32 v35, 28, v19
	v_sub_nc_u32_e32 v19, 29, v19
	v_lshlrev_b64 v[35:36], v35, v[33:34]
; %bb.693:                              ;   in Loop: Header=BB444_13 Depth=1
	s_or_b32 exec_lo, exec_lo, s24
	s_delay_alu instid0(VALU_DEP_1) | instskip(SKIP_2) | instid1(VALU_DEP_3)
	v_lshlrev_b32_e32 v35, 20, v35
	v_lshlrev_b32_e32 v36, 24, v33
	v_lshl_add_u32 v19, v19, 23, 0x3c000000
	v_and_b32_e32 v35, 0x700000, v35
	s_delay_alu instid0(VALU_DEP_3) | instskip(NEXT) | instid1(VALU_DEP_1)
	v_and_b32_e32 v36, 0x80000000, v36
	v_or3_b32 v19, v35, v36, v19
.LBB444_694:                            ;   in Loop: Header=BB444_13 Depth=1
	s_or_b32 exec_lo, exec_lo, s23
.LBB444_695:                            ;   in Loop: Header=BB444_13 Depth=1
	s_delay_alu instid0(SALU_CYCLE_1)
	s_or_b32 exec_lo, exec_lo, s22
.LBB444_696:                            ;   in Loop: Header=BB444_13 Depth=1
	s_delay_alu instid0(SALU_CYCLE_1) | instskip(NEXT) | instid1(VALU_DEP_1)
	s_or_b32 exec_lo, exec_lo, s21
	v_mul_f32_e32 v19, v171, v19
                                        ; implicit-def: $vgpr112
	s_delay_alu instid0(VALU_DEP_1) | instskip(NEXT) | instid1(VALU_DEP_1)
	v_and_b32_e32 v35, 0x7f800000, v19
	v_cmp_ne_u32_e64 s1, 0x7f800000, v35
	s_delay_alu instid0(VALU_DEP_1) | instskip(NEXT) | instid1(SALU_CYCLE_1)
	s_and_saveexec_b32 s21, s1
	s_xor_b32 s1, exec_lo, s21
; %bb.697:                              ;   in Loop: Header=BB444_13 Depth=1
	v_bfe_u32 v35, v19, 16, 1
	s_delay_alu instid0(VALU_DEP_1)
	v_add3_u32 v112, v19, v35, 0x7fff
                                        ; implicit-def: $vgpr19
; %bb.698:                              ;   in Loop: Header=BB444_13 Depth=1
	s_and_not1_saveexec_b32 s21, s1
; %bb.699:                              ;   in Loop: Header=BB444_13 Depth=1
	v_and_b32_e32 v35, 0xffff, v19
	v_or_b32_e32 v36, 0x10000, v19
	s_delay_alu instid0(VALU_DEP_2) | instskip(NEXT) | instid1(VALU_DEP_1)
	v_cmp_eq_u32_e64 s1, 0, v35
	v_cndmask_b32_e64 v112, v36, v19, s1
; %bb.700:                              ;   in Loop: Header=BB444_13 Depth=1
	s_or_b32 exec_lo, exec_lo, s21
	v_lshrrev_b16 v35, 8, v33
	v_mov_b32_e32 v19, 0
	s_mov_b32 s21, exec_lo
	s_delay_alu instid0(VALU_DEP_2)
	v_cmpx_ne_u16_e32 0, v35
	s_cbranch_execz .LBB444_708
; %bb.701:                              ;   in Loop: Header=BB444_13 Depth=1
	v_bfrev_b32_e32 v19, 1
	s_mov_b32 s22, exec_lo
	v_cmpx_ne_u16_e32 0x80, v35
	s_cbranch_execz .LBB444_707
; %bb.702:                              ;   in Loop: Header=BB444_13 Depth=1
	v_and_b32_e32 v36, 0xffff, v35
	v_mov_b32_e32 v19, 0x7f800001
	s_mov_b32 s23, exec_lo
	s_delay_alu instid0(VALU_DEP_2) | instskip(NEXT) | instid1(VALU_DEP_1)
	v_and_b32_e32 v35, 0x7f, v36
	v_cmpx_ne_u32_e32 0x7f, v35
	s_cbranch_execz .LBB444_706
; %bb.703:                              ;   in Loop: Header=BB444_13 Depth=1
	v_and_b32_e32 v19, 7, v36
	v_lshrrev_b32_e32 v113, 3, v35
	v_cmp_gt_u32_e64 s1, 8, v35
	s_delay_alu instid0(VALU_DEP_3) | instskip(NEXT) | instid1(VALU_DEP_2)
	v_dual_mov_b32 v36, v20 :: v_dual_mov_b32 v35, v19
	s_and_saveexec_b32 s24, s1
; %bb.704:                              ;   in Loop: Header=BB444_13 Depth=1
	v_clz_i32_u32_e32 v35, v19
	s_delay_alu instid0(VALU_DEP_1) | instskip(NEXT) | instid1(VALU_DEP_1)
	v_min_u32_e32 v113, 32, v35
	v_subrev_nc_u32_e32 v35, 28, v113
	v_sub_nc_u32_e32 v113, 29, v113
	s_delay_alu instid0(VALU_DEP_2) | instskip(NEXT) | instid1(VALU_DEP_1)
	v_lshlrev_b64 v[35:36], v35, v[19:20]
	v_and_b32_e32 v35, 7, v35
; %bb.705:                              ;   in Loop: Header=BB444_13 Depth=1
	s_or_b32 exec_lo, exec_lo, s24
	v_lshlrev_b32_e32 v19, 16, v33
	s_delay_alu instid0(VALU_DEP_2) | instskip(SKIP_1) | instid1(VALU_DEP_3)
	v_lshlrev_b32_e32 v35, 20, v35
	v_lshl_add_u32 v36, v113, 23, 0x3c000000
	v_and_b32_e32 v19, 0x80000000, v19
	s_delay_alu instid0(VALU_DEP_1)
	v_or3_b32 v19, v35, v19, v36
.LBB444_706:                            ;   in Loop: Header=BB444_13 Depth=1
	s_or_b32 exec_lo, exec_lo, s23
.LBB444_707:                            ;   in Loop: Header=BB444_13 Depth=1
	s_delay_alu instid0(SALU_CYCLE_1)
	s_or_b32 exec_lo, exec_lo, s22
.LBB444_708:                            ;   in Loop: Header=BB444_13 Depth=1
	s_delay_alu instid0(SALU_CYCLE_1) | instskip(NEXT) | instid1(VALU_DEP_1)
	s_or_b32 exec_lo, exec_lo, s21
	v_mul_f32_e32 v19, v171, v19
                                        ; implicit-def: $vgpr113
	s_delay_alu instid0(VALU_DEP_1) | instskip(NEXT) | instid1(VALU_DEP_1)
	v_and_b32_e32 v35, 0x7f800000, v19
	v_cmp_ne_u32_e64 s1, 0x7f800000, v35
	s_delay_alu instid0(VALU_DEP_1) | instskip(NEXT) | instid1(SALU_CYCLE_1)
	s_and_saveexec_b32 s21, s1
	s_xor_b32 s1, exec_lo, s21
; %bb.709:                              ;   in Loop: Header=BB444_13 Depth=1
	v_bfe_u32 v35, v19, 16, 1
	s_delay_alu instid0(VALU_DEP_1)
	v_add3_u32 v113, v19, v35, 0x7fff
                                        ; implicit-def: $vgpr19
; %bb.710:                              ;   in Loop: Header=BB444_13 Depth=1
	s_and_not1_saveexec_b32 s21, s1
; %bb.711:                              ;   in Loop: Header=BB444_13 Depth=1
	v_and_b32_e32 v35, 0xffff, v19
	v_or_b32_e32 v36, 0x10000, v19
	s_delay_alu instid0(VALU_DEP_2) | instskip(NEXT) | instid1(VALU_DEP_1)
	v_cmp_eq_u32_e64 s1, 0, v35
	v_cndmask_b32_e64 v113, v36, v19, s1
; %bb.712:                              ;   in Loop: Header=BB444_13 Depth=1
	s_or_b32 exec_lo, exec_lo, s21
	v_lshrrev_b32_e32 v114, 16, v33
	v_mov_b32_e32 v19, 0
	s_mov_b32 s21, exec_lo
	s_delay_alu instid0(VALU_DEP_2) | instskip(NEXT) | instid1(VALU_DEP_1)
	v_and_b32_e32 v35, 0xff, v114
	v_cmpx_ne_u16_e32 0, v35
	s_cbranch_execz .LBB444_720
; %bb.713:                              ;   in Loop: Header=BB444_13 Depth=1
	v_bfrev_b32_e32 v19, 1
	s_mov_b32 s22, exec_lo
	v_cmpx_ne_u16_e32 0x80, v35
	s_cbranch_execz .LBB444_719
; %bb.714:                              ;   in Loop: Header=BB444_13 Depth=1
	v_bfe_u32 v35, v33, 16, 7
	v_mov_b32_e32 v19, 0x7f800001
	s_mov_b32 s23, exec_lo
	s_delay_alu instid0(VALU_DEP_2)
	v_cmpx_ne_u32_e32 0x7f, v35
	s_cbranch_execz .LBB444_718
; %bb.715:                              ;   in Loop: Header=BB444_13 Depth=1
	v_and_b32_e32 v19, 7, v114
	v_lshrrev_b32_e32 v115, 3, v35
	v_cmp_gt_u32_e64 s1, 8, v35
	s_delay_alu instid0(VALU_DEP_3) | instskip(NEXT) | instid1(VALU_DEP_2)
	v_dual_mov_b32 v36, v20 :: v_dual_mov_b32 v35, v19
	s_and_saveexec_b32 s24, s1
; %bb.716:                              ;   in Loop: Header=BB444_13 Depth=1
	v_clz_i32_u32_e32 v35, v19
	s_delay_alu instid0(VALU_DEP_1) | instskip(NEXT) | instid1(VALU_DEP_1)
	v_min_u32_e32 v115, 32, v35
	v_subrev_nc_u32_e32 v35, 28, v115
	v_sub_nc_u32_e32 v115, 29, v115
	s_delay_alu instid0(VALU_DEP_2) | instskip(NEXT) | instid1(VALU_DEP_1)
	v_lshlrev_b64 v[35:36], v35, v[19:20]
	v_and_b32_e32 v35, 7, v35
; %bb.717:                              ;   in Loop: Header=BB444_13 Depth=1
	s_or_b32 exec_lo, exec_lo, s24
	v_lshlrev_b32_e32 v19, 24, v114
	s_delay_alu instid0(VALU_DEP_2) | instskip(SKIP_1) | instid1(VALU_DEP_3)
	v_lshlrev_b32_e32 v35, 20, v35
	v_lshl_add_u32 v36, v115, 23, 0x3c000000
	v_and_b32_e32 v19, 0x80000000, v19
	s_delay_alu instid0(VALU_DEP_1)
	v_or3_b32 v19, v35, v19, v36
.LBB444_718:                            ;   in Loop: Header=BB444_13 Depth=1
	s_or_b32 exec_lo, exec_lo, s23
.LBB444_719:                            ;   in Loop: Header=BB444_13 Depth=1
	s_delay_alu instid0(SALU_CYCLE_1)
	s_or_b32 exec_lo, exec_lo, s22
.LBB444_720:                            ;   in Loop: Header=BB444_13 Depth=1
	s_delay_alu instid0(SALU_CYCLE_1) | instskip(NEXT) | instid1(VALU_DEP_1)
	s_or_b32 exec_lo, exec_lo, s21
	v_mul_f32_e32 v19, v171, v19
                                        ; implicit-def: $vgpr114
	s_delay_alu instid0(VALU_DEP_1) | instskip(NEXT) | instid1(VALU_DEP_1)
	v_and_b32_e32 v35, 0x7f800000, v19
	v_cmp_ne_u32_e64 s1, 0x7f800000, v35
	s_delay_alu instid0(VALU_DEP_1) | instskip(NEXT) | instid1(SALU_CYCLE_1)
	s_and_saveexec_b32 s21, s1
	s_xor_b32 s1, exec_lo, s21
; %bb.721:                              ;   in Loop: Header=BB444_13 Depth=1
	v_bfe_u32 v35, v19, 16, 1
	s_delay_alu instid0(VALU_DEP_1)
	v_add3_u32 v114, v19, v35, 0x7fff
                                        ; implicit-def: $vgpr19
; %bb.722:                              ;   in Loop: Header=BB444_13 Depth=1
	s_and_not1_saveexec_b32 s21, s1
; %bb.723:                              ;   in Loop: Header=BB444_13 Depth=1
	v_and_b32_e32 v35, 0xffff, v19
	v_or_b32_e32 v36, 0x10000, v19
	s_delay_alu instid0(VALU_DEP_2) | instskip(NEXT) | instid1(VALU_DEP_1)
	v_cmp_eq_u32_e64 s1, 0, v35
	v_cndmask_b32_e64 v114, v36, v19, s1
; %bb.724:                              ;   in Loop: Header=BB444_13 Depth=1
	s_or_b32 exec_lo, exec_lo, s21
	v_mov_b32_e32 v19, 0
	s_mov_b32 s21, exec_lo
	v_cmpx_lt_u32_e32 0xffffff, v33
	s_cbranch_execz .LBB444_732
; %bb.725:                              ;   in Loop: Header=BB444_13 Depth=1
	v_lshrrev_b32_e32 v115, 24, v33
	v_bfrev_b32_e32 v19, 1
	s_mov_b32 s22, exec_lo
	s_delay_alu instid0(VALU_DEP_2)
	v_cmpx_ne_u32_e32 0x80, v115
	s_cbranch_execz .LBB444_731
; %bb.726:                              ;   in Loop: Header=BB444_13 Depth=1
	v_bfe_u32 v35, v33, 24, 7
	v_mov_b32_e32 v19, 0x7f800001
	s_mov_b32 s23, exec_lo
	s_delay_alu instid0(VALU_DEP_2)
	v_cmpx_ne_u32_e32 0x7f, v35
	s_cbranch_execz .LBB444_730
; %bb.727:                              ;   in Loop: Header=BB444_13 Depth=1
	v_and_b32_e32 v19, 7, v115
	v_lshrrev_b32_e32 v116, 3, v35
	v_cmp_gt_u32_e64 s1, 8, v35
	s_delay_alu instid0(VALU_DEP_3) | instskip(NEXT) | instid1(VALU_DEP_2)
	v_dual_mov_b32 v36, v20 :: v_dual_mov_b32 v35, v19
	s_and_saveexec_b32 s24, s1
; %bb.728:                              ;   in Loop: Header=BB444_13 Depth=1
	v_clz_i32_u32_e32 v35, v19
	s_delay_alu instid0(VALU_DEP_1) | instskip(NEXT) | instid1(VALU_DEP_1)
	v_min_u32_e32 v116, 32, v35
	v_subrev_nc_u32_e32 v35, 28, v116
	v_sub_nc_u32_e32 v116, 29, v116
	s_delay_alu instid0(VALU_DEP_2) | instskip(NEXT) | instid1(VALU_DEP_1)
	v_lshlrev_b64 v[35:36], v35, v[19:20]
	v_and_b32_e32 v35, 7, v35
; %bb.729:                              ;   in Loop: Header=BB444_13 Depth=1
	s_or_b32 exec_lo, exec_lo, s24
	v_lshlrev_b32_e32 v19, 24, v115
	s_delay_alu instid0(VALU_DEP_2) | instskip(SKIP_1) | instid1(VALU_DEP_3)
	v_lshlrev_b32_e32 v35, 20, v35
	v_lshl_add_u32 v36, v116, 23, 0x3c000000
	v_and_b32_e32 v19, 0x80000000, v19
	s_delay_alu instid0(VALU_DEP_1)
	v_or3_b32 v19, v35, v19, v36
.LBB444_730:                            ;   in Loop: Header=BB444_13 Depth=1
	s_or_b32 exec_lo, exec_lo, s23
.LBB444_731:                            ;   in Loop: Header=BB444_13 Depth=1
	s_delay_alu instid0(SALU_CYCLE_1)
	s_or_b32 exec_lo, exec_lo, s22
.LBB444_732:                            ;   in Loop: Header=BB444_13 Depth=1
	s_delay_alu instid0(SALU_CYCLE_1) | instskip(NEXT) | instid1(VALU_DEP_1)
	s_or_b32 exec_lo, exec_lo, s21
	v_mul_f32_e32 v19, v171, v19
                                        ; implicit-def: $vgpr115
	s_delay_alu instid0(VALU_DEP_1) | instskip(NEXT) | instid1(VALU_DEP_1)
	v_and_b32_e32 v35, 0x7f800000, v19
	v_cmp_ne_u32_e64 s1, 0x7f800000, v35
	s_delay_alu instid0(VALU_DEP_1) | instskip(NEXT) | instid1(SALU_CYCLE_1)
	s_and_saveexec_b32 s21, s1
	s_xor_b32 s1, exec_lo, s21
; %bb.733:                              ;   in Loop: Header=BB444_13 Depth=1
	v_bfe_u32 v35, v19, 16, 1
	s_delay_alu instid0(VALU_DEP_1)
	v_add3_u32 v115, v19, v35, 0x7fff
                                        ; implicit-def: $vgpr19
; %bb.734:                              ;   in Loop: Header=BB444_13 Depth=1
	s_and_not1_saveexec_b32 s21, s1
; %bb.735:                              ;   in Loop: Header=BB444_13 Depth=1
	v_and_b32_e32 v35, 0xffff, v19
	v_or_b32_e32 v36, 0x10000, v19
	s_delay_alu instid0(VALU_DEP_2) | instskip(NEXT) | instid1(VALU_DEP_1)
	v_cmp_eq_u32_e64 s1, 0, v35
	v_cndmask_b32_e64 v115, v36, v19, s1
; %bb.736:                              ;   in Loop: Header=BB444_13 Depth=1
	s_or_b32 exec_lo, exec_lo, s21
	v_dual_mov_b32 v19, v34 :: v_dual_and_b32 v36, 0xff, v34
	v_mov_b32_e32 v35, 0
	s_mov_b32 s21, exec_lo
	s_delay_alu instid0(VALU_DEP_2)
	v_cmpx_ne_u16_e32 0, v36
	s_cbranch_execz .LBB444_744
; %bb.737:                              ;   in Loop: Header=BB444_13 Depth=1
	v_bfrev_b32_e32 v35, 1
	s_mov_b32 s22, exec_lo
	v_cmpx_ne_u16_e32 0x80, v36
	s_cbranch_execz .LBB444_743
; %bb.738:                              ;   in Loop: Header=BB444_13 Depth=1
	v_and_b32_e32 v36, 0x7f, v34
	v_mov_b32_e32 v35, 0x7f800001
	s_mov_b32 s23, exec_lo
	s_delay_alu instid0(VALU_DEP_2)
	v_cmpx_ne_u32_e32 0x7f, v36
	s_cbranch_execz .LBB444_742
; %bb.739:                              ;   in Loop: Header=BB444_13 Depth=1
	v_lshrrev_b32_e32 v116, 3, v36
	v_cmp_gt_u32_e64 s1, 8, v36
	v_dual_mov_b32 v36, v20 :: v_dual_mov_b32 v35, v19
	s_delay_alu instid0(VALU_DEP_2)
	s_and_saveexec_b32 s24, s1
; %bb.740:                              ;   in Loop: Header=BB444_13 Depth=1
	v_and_b32_e32 v35, 7, v34
	s_delay_alu instid0(VALU_DEP_1) | instskip(NEXT) | instid1(VALU_DEP_1)
	v_clz_i32_u32_e32 v35, v35
	v_min_u32_e32 v116, 32, v35
	s_delay_alu instid0(VALU_DEP_1) | instskip(SKIP_1) | instid1(VALU_DEP_2)
	v_subrev_nc_u32_e32 v35, 28, v116
	v_sub_nc_u32_e32 v116, 29, v116
	v_lshlrev_b64 v[35:36], v35, v[19:20]
; %bb.741:                              ;   in Loop: Header=BB444_13 Depth=1
	s_or_b32 exec_lo, exec_lo, s24
	s_delay_alu instid0(VALU_DEP_1) | instskip(SKIP_2) | instid1(VALU_DEP_3)
	v_lshlrev_b32_e32 v35, 20, v35
	v_lshlrev_b32_e32 v36, 24, v19
	v_lshl_add_u32 v116, v116, 23, 0x3c000000
	v_and_b32_e32 v35, 0x700000, v35
	s_delay_alu instid0(VALU_DEP_3) | instskip(NEXT) | instid1(VALU_DEP_1)
	v_and_b32_e32 v36, 0x80000000, v36
	v_or3_b32 v35, v35, v36, v116
.LBB444_742:                            ;   in Loop: Header=BB444_13 Depth=1
	s_or_b32 exec_lo, exec_lo, s23
.LBB444_743:                            ;   in Loop: Header=BB444_13 Depth=1
	s_delay_alu instid0(SALU_CYCLE_1)
	s_or_b32 exec_lo, exec_lo, s22
.LBB444_744:                            ;   in Loop: Header=BB444_13 Depth=1
	s_delay_alu instid0(SALU_CYCLE_1) | instskip(NEXT) | instid1(VALU_DEP_1)
	s_or_b32 exec_lo, exec_lo, s21
	v_mul_f32_e32 v35, v171, v35
                                        ; implicit-def: $vgpr116
	s_delay_alu instid0(VALU_DEP_1) | instskip(NEXT) | instid1(VALU_DEP_1)
	v_and_b32_e32 v36, 0x7f800000, v35
	v_cmp_ne_u32_e64 s1, 0x7f800000, v36
	s_delay_alu instid0(VALU_DEP_1) | instskip(NEXT) | instid1(SALU_CYCLE_1)
	s_and_saveexec_b32 s21, s1
	s_xor_b32 s1, exec_lo, s21
; %bb.745:                              ;   in Loop: Header=BB444_13 Depth=1
	v_bfe_u32 v36, v35, 16, 1
	s_delay_alu instid0(VALU_DEP_1)
	v_add3_u32 v116, v35, v36, 0x7fff
                                        ; implicit-def: $vgpr35
; %bb.746:                              ;   in Loop: Header=BB444_13 Depth=1
	s_and_not1_saveexec_b32 s21, s1
; %bb.747:                              ;   in Loop: Header=BB444_13 Depth=1
	v_and_b32_e32 v36, 0xffff, v35
	v_or_b32_e32 v116, 0x10000, v35
	s_delay_alu instid0(VALU_DEP_2) | instskip(NEXT) | instid1(VALU_DEP_1)
	v_cmp_eq_u32_e64 s1, 0, v36
	v_cndmask_b32_e64 v116, v116, v35, s1
; %bb.748:                              ;   in Loop: Header=BB444_13 Depth=1
	s_or_b32 exec_lo, exec_lo, s21
	v_lshrrev_b16 v36, 8, v19
	v_mov_b32_e32 v35, 0
	s_mov_b32 s21, exec_lo
	s_delay_alu instid0(VALU_DEP_2)
	v_cmpx_ne_u16_e32 0, v36
	s_cbranch_execz .LBB444_756
; %bb.749:                              ;   in Loop: Header=BB444_13 Depth=1
	v_bfrev_b32_e32 v35, 1
	s_mov_b32 s22, exec_lo
	v_cmpx_ne_u16_e32 0x80, v36
	s_cbranch_execz .LBB444_755
; %bb.750:                              ;   in Loop: Header=BB444_13 Depth=1
	v_and_b32_e32 v36, 0xffff, v36
	v_mov_b32_e32 v35, 0x7f800001
	s_mov_b32 s23, exec_lo
	s_delay_alu instid0(VALU_DEP_2) | instskip(NEXT) | instid1(VALU_DEP_1)
	v_and_b32_e32 v118, 0x7f, v36
	v_cmpx_ne_u32_e32 0x7f, v118
	s_cbranch_execz .LBB444_754
; %bb.751:                              ;   in Loop: Header=BB444_13 Depth=1
	v_dual_mov_b32 v36, v20 :: v_dual_and_b32 v35, 7, v36
	v_lshrrev_b32_e32 v117, 3, v118
	s_mov_b32 s24, exec_lo
	v_cmpx_gt_u32_e32 8, v118
; %bb.752:                              ;   in Loop: Header=BB444_13 Depth=1
	s_delay_alu instid0(VALU_DEP_3) | instskip(NEXT) | instid1(VALU_DEP_1)
	v_clz_i32_u32_e32 v117, v35
	v_min_u32_e32 v117, 32, v117
	s_delay_alu instid0(VALU_DEP_1) | instskip(SKIP_1) | instid1(VALU_DEP_2)
	v_subrev_nc_u32_e32 v118, 28, v117
	v_sub_nc_u32_e32 v117, 29, v117
	v_lshlrev_b64 v[35:36], v118, v[35:36]
	s_delay_alu instid0(VALU_DEP_1)
	v_and_b32_e32 v35, 7, v35
; %bb.753:                              ;   in Loop: Header=BB444_13 Depth=1
	s_or_b32 exec_lo, exec_lo, s24
	v_lshlrev_b32_e32 v19, 16, v19
	s_delay_alu instid0(VALU_DEP_2) | instskip(SKIP_1) | instid1(VALU_DEP_3)
	v_lshlrev_b32_e32 v35, 20, v35
	v_lshl_add_u32 v36, v117, 23, 0x3c000000
	v_and_b32_e32 v19, 0x80000000, v19
	s_delay_alu instid0(VALU_DEP_1)
	v_or3_b32 v35, v35, v19, v36
.LBB444_754:                            ;   in Loop: Header=BB444_13 Depth=1
	s_or_b32 exec_lo, exec_lo, s23
.LBB444_755:                            ;   in Loop: Header=BB444_13 Depth=1
	s_delay_alu instid0(SALU_CYCLE_1)
	s_or_b32 exec_lo, exec_lo, s22
.LBB444_756:                            ;   in Loop: Header=BB444_13 Depth=1
	s_delay_alu instid0(SALU_CYCLE_1) | instskip(NEXT) | instid1(VALU_DEP_1)
	s_or_b32 exec_lo, exec_lo, s21
	v_mul_f32_e32 v19, v171, v35
                                        ; implicit-def: $vgpr117
	s_delay_alu instid0(VALU_DEP_1) | instskip(NEXT) | instid1(VALU_DEP_1)
	v_and_b32_e32 v35, 0x7f800000, v19
	v_cmp_ne_u32_e64 s1, 0x7f800000, v35
	s_delay_alu instid0(VALU_DEP_1) | instskip(NEXT) | instid1(SALU_CYCLE_1)
	s_and_saveexec_b32 s21, s1
	s_xor_b32 s1, exec_lo, s21
; %bb.757:                              ;   in Loop: Header=BB444_13 Depth=1
	v_bfe_u32 v35, v19, 16, 1
	s_delay_alu instid0(VALU_DEP_1)
	v_add3_u32 v117, v19, v35, 0x7fff
                                        ; implicit-def: $vgpr19
; %bb.758:                              ;   in Loop: Header=BB444_13 Depth=1
	s_and_not1_saveexec_b32 s21, s1
; %bb.759:                              ;   in Loop: Header=BB444_13 Depth=1
	v_and_b32_e32 v35, 0xffff, v19
	v_or_b32_e32 v36, 0x10000, v19
	s_delay_alu instid0(VALU_DEP_2) | instskip(NEXT) | instid1(VALU_DEP_1)
	v_cmp_eq_u32_e64 s1, 0, v35
	v_cndmask_b32_e64 v117, v36, v19, s1
; %bb.760:                              ;   in Loop: Header=BB444_13 Depth=1
	s_or_b32 exec_lo, exec_lo, s21
	v_lshrrev_b32_e32 v118, 16, v34
	v_mov_b32_e32 v19, 0
	s_mov_b32 s21, exec_lo
	s_delay_alu instid0(VALU_DEP_2) | instskip(NEXT) | instid1(VALU_DEP_1)
	v_and_b32_e32 v35, 0xff, v118
	v_cmpx_ne_u16_e32 0, v35
	s_cbranch_execz .LBB444_768
; %bb.761:                              ;   in Loop: Header=BB444_13 Depth=1
	v_bfrev_b32_e32 v19, 1
	s_mov_b32 s22, exec_lo
	v_cmpx_ne_u16_e32 0x80, v35
	s_cbranch_execz .LBB444_767
; %bb.762:                              ;   in Loop: Header=BB444_13 Depth=1
	v_bfe_u32 v35, v34, 16, 7
	v_mov_b32_e32 v19, 0x7f800001
	s_mov_b32 s23, exec_lo
	s_delay_alu instid0(VALU_DEP_2)
	v_cmpx_ne_u32_e32 0x7f, v35
	s_cbranch_execz .LBB444_766
; %bb.763:                              ;   in Loop: Header=BB444_13 Depth=1
	v_and_b32_e32 v19, 7, v118
	v_lshrrev_b32_e32 v119, 3, v35
	v_cmp_gt_u32_e64 s1, 8, v35
	s_delay_alu instid0(VALU_DEP_3) | instskip(NEXT) | instid1(VALU_DEP_2)
	v_dual_mov_b32 v36, v20 :: v_dual_mov_b32 v35, v19
	s_and_saveexec_b32 s24, s1
; %bb.764:                              ;   in Loop: Header=BB444_13 Depth=1
	v_clz_i32_u32_e32 v35, v19
	s_delay_alu instid0(VALU_DEP_1) | instskip(NEXT) | instid1(VALU_DEP_1)
	v_min_u32_e32 v119, 32, v35
	v_subrev_nc_u32_e32 v35, 28, v119
	v_sub_nc_u32_e32 v119, 29, v119
	s_delay_alu instid0(VALU_DEP_2) | instskip(NEXT) | instid1(VALU_DEP_1)
	v_lshlrev_b64 v[35:36], v35, v[19:20]
	v_and_b32_e32 v35, 7, v35
; %bb.765:                              ;   in Loop: Header=BB444_13 Depth=1
	s_or_b32 exec_lo, exec_lo, s24
	v_lshlrev_b32_e32 v19, 24, v118
	s_delay_alu instid0(VALU_DEP_2) | instskip(SKIP_1) | instid1(VALU_DEP_3)
	v_lshlrev_b32_e32 v35, 20, v35
	v_lshl_add_u32 v36, v119, 23, 0x3c000000
	v_and_b32_e32 v19, 0x80000000, v19
	s_delay_alu instid0(VALU_DEP_1)
	v_or3_b32 v19, v35, v19, v36
.LBB444_766:                            ;   in Loop: Header=BB444_13 Depth=1
	s_or_b32 exec_lo, exec_lo, s23
.LBB444_767:                            ;   in Loop: Header=BB444_13 Depth=1
	s_delay_alu instid0(SALU_CYCLE_1)
	s_or_b32 exec_lo, exec_lo, s22
.LBB444_768:                            ;   in Loop: Header=BB444_13 Depth=1
	s_delay_alu instid0(SALU_CYCLE_1) | instskip(NEXT) | instid1(VALU_DEP_1)
	s_or_b32 exec_lo, exec_lo, s21
	v_mul_f32_e32 v19, v171, v19
                                        ; implicit-def: $vgpr118
	s_delay_alu instid0(VALU_DEP_1) | instskip(NEXT) | instid1(VALU_DEP_1)
	v_and_b32_e32 v35, 0x7f800000, v19
	v_cmp_ne_u32_e64 s1, 0x7f800000, v35
	s_delay_alu instid0(VALU_DEP_1) | instskip(NEXT) | instid1(SALU_CYCLE_1)
	s_and_saveexec_b32 s21, s1
	s_xor_b32 s1, exec_lo, s21
; %bb.769:                              ;   in Loop: Header=BB444_13 Depth=1
	v_bfe_u32 v35, v19, 16, 1
	s_delay_alu instid0(VALU_DEP_1)
	v_add3_u32 v118, v19, v35, 0x7fff
                                        ; implicit-def: $vgpr19
; %bb.770:                              ;   in Loop: Header=BB444_13 Depth=1
	s_and_not1_saveexec_b32 s21, s1
; %bb.771:                              ;   in Loop: Header=BB444_13 Depth=1
	v_and_b32_e32 v35, 0xffff, v19
	v_or_b32_e32 v36, 0x10000, v19
	s_delay_alu instid0(VALU_DEP_2) | instskip(NEXT) | instid1(VALU_DEP_1)
	v_cmp_eq_u32_e64 s1, 0, v35
	v_cndmask_b32_e64 v118, v36, v19, s1
; %bb.772:                              ;   in Loop: Header=BB444_13 Depth=1
	s_or_b32 exec_lo, exec_lo, s21
	v_mov_b32_e32 v19, 0
	s_mov_b32 s21, exec_lo
	v_cmpx_lt_u64_e64 s[16:17], v[33:34]
	s_cbranch_execz .LBB444_780
; %bb.773:                              ;   in Loop: Header=BB444_13 Depth=1
	v_lshrrev_b32_e32 v35, 24, v34
	v_bfrev_b32_e32 v19, 1
	s_mov_b32 s22, exec_lo
	s_delay_alu instid0(VALU_DEP_2)
	v_cmpx_ne_u32_e32 0x80, v35
	s_cbranch_execz .LBB444_779
; %bb.774:                              ;   in Loop: Header=BB444_13 Depth=1
	v_bfe_u32 v33, v34, 24, 7
	v_mov_b32_e32 v19, 0x7f800001
	s_mov_b32 s23, exec_lo
	s_delay_alu instid0(VALU_DEP_2)
	v_cmpx_ne_u32_e32 0x7f, v33
	s_cbranch_execz .LBB444_778
; %bb.775:                              ;   in Loop: Header=BB444_13 Depth=1
	v_and_b32_e32 v19, 7, v35
	v_lshrrev_b32_e32 v36, 3, v33
	v_cmp_gt_u32_e64 s1, 8, v33
	s_delay_alu instid0(VALU_DEP_3) | instskip(NEXT) | instid1(VALU_DEP_2)
	v_dual_mov_b32 v34, v20 :: v_dual_mov_b32 v33, v19
	s_and_saveexec_b32 s24, s1
; %bb.776:                              ;   in Loop: Header=BB444_13 Depth=1
	v_clz_i32_u32_e32 v33, v19
	s_delay_alu instid0(VALU_DEP_1) | instskip(NEXT) | instid1(VALU_DEP_1)
	v_min_u32_e32 v36, 32, v33
	v_subrev_nc_u32_e32 v33, 28, v36
	v_sub_nc_u32_e32 v36, 29, v36
	s_delay_alu instid0(VALU_DEP_2) | instskip(NEXT) | instid1(VALU_DEP_1)
	v_lshlrev_b64 v[33:34], v33, v[19:20]
	v_and_b32_e32 v33, 7, v33
; %bb.777:                              ;   in Loop: Header=BB444_13 Depth=1
	s_or_b32 exec_lo, exec_lo, s24
	v_lshlrev_b32_e32 v19, 24, v35
	s_delay_alu instid0(VALU_DEP_2) | instskip(SKIP_1) | instid1(VALU_DEP_3)
	v_lshlrev_b32_e32 v33, 20, v33
	v_lshl_add_u32 v34, v36, 23, 0x3c000000
	v_and_b32_e32 v19, 0x80000000, v19
	s_delay_alu instid0(VALU_DEP_1)
	v_or3_b32 v19, v33, v19, v34
.LBB444_778:                            ;   in Loop: Header=BB444_13 Depth=1
	s_or_b32 exec_lo, exec_lo, s23
.LBB444_779:                            ;   in Loop: Header=BB444_13 Depth=1
	s_delay_alu instid0(SALU_CYCLE_1)
	s_or_b32 exec_lo, exec_lo, s22
.LBB444_780:                            ;   in Loop: Header=BB444_13 Depth=1
	s_delay_alu instid0(SALU_CYCLE_1) | instskip(NEXT) | instid1(VALU_DEP_1)
	s_or_b32 exec_lo, exec_lo, s21
	v_mul_f32_e32 v19, v171, v19
                                        ; implicit-def: $vgpr119
	s_delay_alu instid0(VALU_DEP_1) | instskip(NEXT) | instid1(VALU_DEP_1)
	v_and_b32_e32 v33, 0x7f800000, v19
	v_cmp_ne_u32_e64 s1, 0x7f800000, v33
	s_delay_alu instid0(VALU_DEP_1) | instskip(NEXT) | instid1(SALU_CYCLE_1)
	s_and_saveexec_b32 s21, s1
	s_xor_b32 s1, exec_lo, s21
; %bb.781:                              ;   in Loop: Header=BB444_13 Depth=1
	v_bfe_u32 v33, v19, 16, 1
	s_delay_alu instid0(VALU_DEP_1)
	v_add3_u32 v119, v19, v33, 0x7fff
                                        ; implicit-def: $vgpr19
; %bb.782:                              ;   in Loop: Header=BB444_13 Depth=1
	s_and_not1_saveexec_b32 s21, s1
; %bb.783:                              ;   in Loop: Header=BB444_13 Depth=1
	v_and_b32_e32 v33, 0xffff, v19
	v_or_b32_e32 v34, 0x10000, v19
	s_delay_alu instid0(VALU_DEP_2) | instskip(NEXT) | instid1(VALU_DEP_1)
	v_cmp_eq_u32_e64 s1, 0, v33
	v_cndmask_b32_e64 v119, v34, v19, s1
; %bb.784:                              ;   in Loop: Header=BB444_13 Depth=1
	s_or_b32 exec_lo, exec_lo, s21
	flat_load_b64 v[33:34], v[31:32] offset:2048
	v_mov_b32_e32 v19, 0
	s_mov_b32 s21, exec_lo
	s_waitcnt vmcnt(0) lgkmcnt(0)
	v_and_b32_e32 v35, 0xff, v33
	s_delay_alu instid0(VALU_DEP_1)
	v_cmpx_ne_u16_e32 0, v35
	s_cbranch_execz .LBB444_792
; %bb.785:                              ;   in Loop: Header=BB444_13 Depth=1
	v_bfrev_b32_e32 v19, 1
	s_mov_b32 s22, exec_lo
	v_cmpx_ne_u16_e32 0x80, v35
	s_cbranch_execz .LBB444_791
; %bb.786:                              ;   in Loop: Header=BB444_13 Depth=1
	v_and_b32_e32 v35, 0x7f, v33
	v_mov_b32_e32 v19, 0x7f800001
	s_mov_b32 s23, exec_lo
	s_delay_alu instid0(VALU_DEP_2)
	v_cmpx_ne_u32_e32 0x7f, v35
	s_cbranch_execz .LBB444_790
; %bb.787:                              ;   in Loop: Header=BB444_13 Depth=1
	v_lshrrev_b32_e32 v19, 3, v35
	v_cmp_gt_u32_e64 s1, 8, v35
	v_dual_mov_b32 v36, v34 :: v_dual_mov_b32 v35, v33
	s_delay_alu instid0(VALU_DEP_2)
	s_and_saveexec_b32 s24, s1
; %bb.788:                              ;   in Loop: Header=BB444_13 Depth=1
	v_and_b32_e32 v19, 7, v33
	s_delay_alu instid0(VALU_DEP_1) | instskip(NEXT) | instid1(VALU_DEP_1)
	v_clz_i32_u32_e32 v19, v19
	v_min_u32_e32 v19, 32, v19
	s_delay_alu instid0(VALU_DEP_1) | instskip(SKIP_1) | instid1(VALU_DEP_2)
	v_subrev_nc_u32_e32 v35, 28, v19
	v_sub_nc_u32_e32 v19, 29, v19
	v_lshlrev_b64 v[35:36], v35, v[33:34]
; %bb.789:                              ;   in Loop: Header=BB444_13 Depth=1
	s_or_b32 exec_lo, exec_lo, s24
	s_delay_alu instid0(VALU_DEP_1) | instskip(SKIP_2) | instid1(VALU_DEP_3)
	v_lshlrev_b32_e32 v35, 20, v35
	v_lshlrev_b32_e32 v36, 24, v33
	v_lshl_add_u32 v19, v19, 23, 0x3c000000
	v_and_b32_e32 v35, 0x700000, v35
	s_delay_alu instid0(VALU_DEP_3) | instskip(NEXT) | instid1(VALU_DEP_1)
	v_and_b32_e32 v36, 0x80000000, v36
	v_or3_b32 v19, v35, v36, v19
.LBB444_790:                            ;   in Loop: Header=BB444_13 Depth=1
	s_or_b32 exec_lo, exec_lo, s23
.LBB444_791:                            ;   in Loop: Header=BB444_13 Depth=1
	s_delay_alu instid0(SALU_CYCLE_1)
	s_or_b32 exec_lo, exec_lo, s22
.LBB444_792:                            ;   in Loop: Header=BB444_13 Depth=1
	s_delay_alu instid0(SALU_CYCLE_1) | instskip(NEXT) | instid1(VALU_DEP_1)
	s_or_b32 exec_lo, exec_lo, s21
	v_mul_f32_e32 v19, v171, v19
                                        ; implicit-def: $vgpr128
	s_delay_alu instid0(VALU_DEP_1) | instskip(NEXT) | instid1(VALU_DEP_1)
	v_and_b32_e32 v35, 0x7f800000, v19
	v_cmp_ne_u32_e64 s1, 0x7f800000, v35
	s_delay_alu instid0(VALU_DEP_1) | instskip(NEXT) | instid1(SALU_CYCLE_1)
	s_and_saveexec_b32 s21, s1
	s_xor_b32 s1, exec_lo, s21
; %bb.793:                              ;   in Loop: Header=BB444_13 Depth=1
	v_bfe_u32 v35, v19, 16, 1
	s_delay_alu instid0(VALU_DEP_1)
	v_add3_u32 v128, v19, v35, 0x7fff
                                        ; implicit-def: $vgpr19
; %bb.794:                              ;   in Loop: Header=BB444_13 Depth=1
	s_and_not1_saveexec_b32 s21, s1
; %bb.795:                              ;   in Loop: Header=BB444_13 Depth=1
	v_and_b32_e32 v35, 0xffff, v19
	v_or_b32_e32 v36, 0x10000, v19
	s_delay_alu instid0(VALU_DEP_2) | instskip(NEXT) | instid1(VALU_DEP_1)
	v_cmp_eq_u32_e64 s1, 0, v35
	v_cndmask_b32_e64 v128, v36, v19, s1
; %bb.796:                              ;   in Loop: Header=BB444_13 Depth=1
	s_or_b32 exec_lo, exec_lo, s21
	v_lshrrev_b16 v35, 8, v33
	v_mov_b32_e32 v19, 0
	s_mov_b32 s21, exec_lo
	s_delay_alu instid0(VALU_DEP_2)
	v_cmpx_ne_u16_e32 0, v35
	s_cbranch_execz .LBB444_804
; %bb.797:                              ;   in Loop: Header=BB444_13 Depth=1
	v_bfrev_b32_e32 v19, 1
	s_mov_b32 s22, exec_lo
	v_cmpx_ne_u16_e32 0x80, v35
	s_cbranch_execz .LBB444_803
; %bb.798:                              ;   in Loop: Header=BB444_13 Depth=1
	v_and_b32_e32 v36, 0xffff, v35
	v_mov_b32_e32 v19, 0x7f800001
	s_mov_b32 s23, exec_lo
	s_delay_alu instid0(VALU_DEP_2) | instskip(NEXT) | instid1(VALU_DEP_1)
	v_and_b32_e32 v35, 0x7f, v36
	v_cmpx_ne_u32_e32 0x7f, v35
	s_cbranch_execz .LBB444_802
; %bb.799:                              ;   in Loop: Header=BB444_13 Depth=1
	v_and_b32_e32 v19, 7, v36
	v_lshrrev_b32_e32 v129, 3, v35
	v_cmp_gt_u32_e64 s1, 8, v35
	s_delay_alu instid0(VALU_DEP_3) | instskip(NEXT) | instid1(VALU_DEP_2)
	v_dual_mov_b32 v36, v20 :: v_dual_mov_b32 v35, v19
	s_and_saveexec_b32 s24, s1
; %bb.800:                              ;   in Loop: Header=BB444_13 Depth=1
	v_clz_i32_u32_e32 v35, v19
	s_delay_alu instid0(VALU_DEP_1) | instskip(NEXT) | instid1(VALU_DEP_1)
	v_min_u32_e32 v129, 32, v35
	v_subrev_nc_u32_e32 v35, 28, v129
	v_sub_nc_u32_e32 v129, 29, v129
	s_delay_alu instid0(VALU_DEP_2) | instskip(NEXT) | instid1(VALU_DEP_1)
	v_lshlrev_b64 v[35:36], v35, v[19:20]
	v_and_b32_e32 v35, 7, v35
; %bb.801:                              ;   in Loop: Header=BB444_13 Depth=1
	s_or_b32 exec_lo, exec_lo, s24
	v_lshlrev_b32_e32 v19, 16, v33
	s_delay_alu instid0(VALU_DEP_2) | instskip(SKIP_1) | instid1(VALU_DEP_3)
	v_lshlrev_b32_e32 v35, 20, v35
	v_lshl_add_u32 v36, v129, 23, 0x3c000000
	v_and_b32_e32 v19, 0x80000000, v19
	s_delay_alu instid0(VALU_DEP_1)
	v_or3_b32 v19, v35, v19, v36
.LBB444_802:                            ;   in Loop: Header=BB444_13 Depth=1
	s_or_b32 exec_lo, exec_lo, s23
.LBB444_803:                            ;   in Loop: Header=BB444_13 Depth=1
	s_delay_alu instid0(SALU_CYCLE_1)
	s_or_b32 exec_lo, exec_lo, s22
.LBB444_804:                            ;   in Loop: Header=BB444_13 Depth=1
	s_delay_alu instid0(SALU_CYCLE_1) | instskip(NEXT) | instid1(VALU_DEP_1)
	s_or_b32 exec_lo, exec_lo, s21
	v_mul_f32_e32 v19, v171, v19
                                        ; implicit-def: $vgpr129
	s_delay_alu instid0(VALU_DEP_1) | instskip(NEXT) | instid1(VALU_DEP_1)
	v_and_b32_e32 v35, 0x7f800000, v19
	v_cmp_ne_u32_e64 s1, 0x7f800000, v35
	s_delay_alu instid0(VALU_DEP_1) | instskip(NEXT) | instid1(SALU_CYCLE_1)
	s_and_saveexec_b32 s21, s1
	s_xor_b32 s1, exec_lo, s21
; %bb.805:                              ;   in Loop: Header=BB444_13 Depth=1
	v_bfe_u32 v35, v19, 16, 1
	s_delay_alu instid0(VALU_DEP_1)
	v_add3_u32 v129, v19, v35, 0x7fff
                                        ; implicit-def: $vgpr19
; %bb.806:                              ;   in Loop: Header=BB444_13 Depth=1
	s_and_not1_saveexec_b32 s21, s1
; %bb.807:                              ;   in Loop: Header=BB444_13 Depth=1
	v_and_b32_e32 v35, 0xffff, v19
	v_or_b32_e32 v36, 0x10000, v19
	s_delay_alu instid0(VALU_DEP_2) | instskip(NEXT) | instid1(VALU_DEP_1)
	v_cmp_eq_u32_e64 s1, 0, v35
	v_cndmask_b32_e64 v129, v36, v19, s1
; %bb.808:                              ;   in Loop: Header=BB444_13 Depth=1
	s_or_b32 exec_lo, exec_lo, s21
	v_lshrrev_b32_e32 v130, 16, v33
	v_mov_b32_e32 v19, 0
	s_mov_b32 s21, exec_lo
	s_delay_alu instid0(VALU_DEP_2) | instskip(NEXT) | instid1(VALU_DEP_1)
	v_and_b32_e32 v35, 0xff, v130
	v_cmpx_ne_u16_e32 0, v35
	s_cbranch_execz .LBB444_816
; %bb.809:                              ;   in Loop: Header=BB444_13 Depth=1
	v_bfrev_b32_e32 v19, 1
	s_mov_b32 s22, exec_lo
	v_cmpx_ne_u16_e32 0x80, v35
	s_cbranch_execz .LBB444_815
; %bb.810:                              ;   in Loop: Header=BB444_13 Depth=1
	v_bfe_u32 v35, v33, 16, 7
	v_mov_b32_e32 v19, 0x7f800001
	s_mov_b32 s23, exec_lo
	s_delay_alu instid0(VALU_DEP_2)
	v_cmpx_ne_u32_e32 0x7f, v35
	s_cbranch_execz .LBB444_814
; %bb.811:                              ;   in Loop: Header=BB444_13 Depth=1
	v_and_b32_e32 v19, 7, v130
	v_lshrrev_b32_e32 v131, 3, v35
	v_cmp_gt_u32_e64 s1, 8, v35
	s_delay_alu instid0(VALU_DEP_3) | instskip(NEXT) | instid1(VALU_DEP_2)
	v_dual_mov_b32 v36, v20 :: v_dual_mov_b32 v35, v19
	s_and_saveexec_b32 s24, s1
; %bb.812:                              ;   in Loop: Header=BB444_13 Depth=1
	v_clz_i32_u32_e32 v35, v19
	s_delay_alu instid0(VALU_DEP_1) | instskip(NEXT) | instid1(VALU_DEP_1)
	v_min_u32_e32 v131, 32, v35
	v_subrev_nc_u32_e32 v35, 28, v131
	v_sub_nc_u32_e32 v131, 29, v131
	s_delay_alu instid0(VALU_DEP_2) | instskip(NEXT) | instid1(VALU_DEP_1)
	v_lshlrev_b64 v[35:36], v35, v[19:20]
	v_and_b32_e32 v35, 7, v35
; %bb.813:                              ;   in Loop: Header=BB444_13 Depth=1
	s_or_b32 exec_lo, exec_lo, s24
	v_lshlrev_b32_e32 v19, 24, v130
	s_delay_alu instid0(VALU_DEP_2) | instskip(SKIP_1) | instid1(VALU_DEP_3)
	v_lshlrev_b32_e32 v35, 20, v35
	v_lshl_add_u32 v36, v131, 23, 0x3c000000
	v_and_b32_e32 v19, 0x80000000, v19
	s_delay_alu instid0(VALU_DEP_1)
	v_or3_b32 v19, v35, v19, v36
.LBB444_814:                            ;   in Loop: Header=BB444_13 Depth=1
	s_or_b32 exec_lo, exec_lo, s23
.LBB444_815:                            ;   in Loop: Header=BB444_13 Depth=1
	s_delay_alu instid0(SALU_CYCLE_1)
	s_or_b32 exec_lo, exec_lo, s22
.LBB444_816:                            ;   in Loop: Header=BB444_13 Depth=1
	s_delay_alu instid0(SALU_CYCLE_1) | instskip(NEXT) | instid1(VALU_DEP_1)
	s_or_b32 exec_lo, exec_lo, s21
	v_mul_f32_e32 v19, v171, v19
                                        ; implicit-def: $vgpr130
	s_delay_alu instid0(VALU_DEP_1) | instskip(NEXT) | instid1(VALU_DEP_1)
	v_and_b32_e32 v35, 0x7f800000, v19
	v_cmp_ne_u32_e64 s1, 0x7f800000, v35
	s_delay_alu instid0(VALU_DEP_1) | instskip(NEXT) | instid1(SALU_CYCLE_1)
	s_and_saveexec_b32 s21, s1
	s_xor_b32 s1, exec_lo, s21
; %bb.817:                              ;   in Loop: Header=BB444_13 Depth=1
	v_bfe_u32 v35, v19, 16, 1
	s_delay_alu instid0(VALU_DEP_1)
	v_add3_u32 v130, v19, v35, 0x7fff
                                        ; implicit-def: $vgpr19
; %bb.818:                              ;   in Loop: Header=BB444_13 Depth=1
	s_and_not1_saveexec_b32 s21, s1
; %bb.819:                              ;   in Loop: Header=BB444_13 Depth=1
	v_and_b32_e32 v35, 0xffff, v19
	v_or_b32_e32 v36, 0x10000, v19
	s_delay_alu instid0(VALU_DEP_2) | instskip(NEXT) | instid1(VALU_DEP_1)
	v_cmp_eq_u32_e64 s1, 0, v35
	v_cndmask_b32_e64 v130, v36, v19, s1
; %bb.820:                              ;   in Loop: Header=BB444_13 Depth=1
	s_or_b32 exec_lo, exec_lo, s21
	v_mov_b32_e32 v19, 0
	s_mov_b32 s21, exec_lo
	v_cmpx_lt_u32_e32 0xffffff, v33
	s_cbranch_execz .LBB444_828
; %bb.821:                              ;   in Loop: Header=BB444_13 Depth=1
	v_lshrrev_b32_e32 v131, 24, v33
	v_bfrev_b32_e32 v19, 1
	s_mov_b32 s22, exec_lo
	s_delay_alu instid0(VALU_DEP_2)
	v_cmpx_ne_u32_e32 0x80, v131
	s_cbranch_execz .LBB444_827
; %bb.822:                              ;   in Loop: Header=BB444_13 Depth=1
	v_bfe_u32 v35, v33, 24, 7
	v_mov_b32_e32 v19, 0x7f800001
	s_mov_b32 s23, exec_lo
	s_delay_alu instid0(VALU_DEP_2)
	v_cmpx_ne_u32_e32 0x7f, v35
	s_cbranch_execz .LBB444_826
; %bb.823:                              ;   in Loop: Header=BB444_13 Depth=1
	v_and_b32_e32 v19, 7, v131
	v_lshrrev_b32_e32 v132, 3, v35
	v_cmp_gt_u32_e64 s1, 8, v35
	s_delay_alu instid0(VALU_DEP_3) | instskip(NEXT) | instid1(VALU_DEP_2)
	v_dual_mov_b32 v36, v20 :: v_dual_mov_b32 v35, v19
	s_and_saveexec_b32 s24, s1
; %bb.824:                              ;   in Loop: Header=BB444_13 Depth=1
	v_clz_i32_u32_e32 v35, v19
	s_delay_alu instid0(VALU_DEP_1) | instskip(NEXT) | instid1(VALU_DEP_1)
	v_min_u32_e32 v132, 32, v35
	v_subrev_nc_u32_e32 v35, 28, v132
	v_sub_nc_u32_e32 v132, 29, v132
	s_delay_alu instid0(VALU_DEP_2) | instskip(NEXT) | instid1(VALU_DEP_1)
	v_lshlrev_b64 v[35:36], v35, v[19:20]
	v_and_b32_e32 v35, 7, v35
; %bb.825:                              ;   in Loop: Header=BB444_13 Depth=1
	s_or_b32 exec_lo, exec_lo, s24
	v_lshlrev_b32_e32 v19, 24, v131
	s_delay_alu instid0(VALU_DEP_2) | instskip(SKIP_1) | instid1(VALU_DEP_3)
	v_lshlrev_b32_e32 v35, 20, v35
	v_lshl_add_u32 v36, v132, 23, 0x3c000000
	v_and_b32_e32 v19, 0x80000000, v19
	s_delay_alu instid0(VALU_DEP_1)
	v_or3_b32 v19, v35, v19, v36
.LBB444_826:                            ;   in Loop: Header=BB444_13 Depth=1
	s_or_b32 exec_lo, exec_lo, s23
.LBB444_827:                            ;   in Loop: Header=BB444_13 Depth=1
	s_delay_alu instid0(SALU_CYCLE_1)
	s_or_b32 exec_lo, exec_lo, s22
.LBB444_828:                            ;   in Loop: Header=BB444_13 Depth=1
	s_delay_alu instid0(SALU_CYCLE_1) | instskip(NEXT) | instid1(VALU_DEP_1)
	s_or_b32 exec_lo, exec_lo, s21
	v_mul_f32_e32 v19, v171, v19
                                        ; implicit-def: $vgpr131
	s_delay_alu instid0(VALU_DEP_1) | instskip(NEXT) | instid1(VALU_DEP_1)
	v_and_b32_e32 v35, 0x7f800000, v19
	v_cmp_ne_u32_e64 s1, 0x7f800000, v35
	s_delay_alu instid0(VALU_DEP_1) | instskip(NEXT) | instid1(SALU_CYCLE_1)
	s_and_saveexec_b32 s21, s1
	s_xor_b32 s1, exec_lo, s21
; %bb.829:                              ;   in Loop: Header=BB444_13 Depth=1
	v_bfe_u32 v35, v19, 16, 1
	s_delay_alu instid0(VALU_DEP_1)
	v_add3_u32 v131, v19, v35, 0x7fff
                                        ; implicit-def: $vgpr19
; %bb.830:                              ;   in Loop: Header=BB444_13 Depth=1
	s_and_not1_saveexec_b32 s21, s1
; %bb.831:                              ;   in Loop: Header=BB444_13 Depth=1
	v_and_b32_e32 v35, 0xffff, v19
	v_or_b32_e32 v36, 0x10000, v19
	s_delay_alu instid0(VALU_DEP_2) | instskip(NEXT) | instid1(VALU_DEP_1)
	v_cmp_eq_u32_e64 s1, 0, v35
	v_cndmask_b32_e64 v131, v36, v19, s1
; %bb.832:                              ;   in Loop: Header=BB444_13 Depth=1
	s_or_b32 exec_lo, exec_lo, s21
	v_dual_mov_b32 v19, v34 :: v_dual_and_b32 v36, 0xff, v34
	v_mov_b32_e32 v35, 0
	s_mov_b32 s21, exec_lo
	s_delay_alu instid0(VALU_DEP_2)
	v_cmpx_ne_u16_e32 0, v36
	s_cbranch_execz .LBB444_840
; %bb.833:                              ;   in Loop: Header=BB444_13 Depth=1
	v_bfrev_b32_e32 v35, 1
	s_mov_b32 s22, exec_lo
	v_cmpx_ne_u16_e32 0x80, v36
	s_cbranch_execz .LBB444_839
; %bb.834:                              ;   in Loop: Header=BB444_13 Depth=1
	v_and_b32_e32 v36, 0x7f, v34
	v_mov_b32_e32 v35, 0x7f800001
	s_mov_b32 s23, exec_lo
	s_delay_alu instid0(VALU_DEP_2)
	v_cmpx_ne_u32_e32 0x7f, v36
	s_cbranch_execz .LBB444_838
; %bb.835:                              ;   in Loop: Header=BB444_13 Depth=1
	v_lshrrev_b32_e32 v132, 3, v36
	v_cmp_gt_u32_e64 s1, 8, v36
	v_dual_mov_b32 v36, v20 :: v_dual_mov_b32 v35, v19
	s_delay_alu instid0(VALU_DEP_2)
	s_and_saveexec_b32 s24, s1
; %bb.836:                              ;   in Loop: Header=BB444_13 Depth=1
	v_and_b32_e32 v35, 7, v34
	s_delay_alu instid0(VALU_DEP_1) | instskip(NEXT) | instid1(VALU_DEP_1)
	v_clz_i32_u32_e32 v35, v35
	v_min_u32_e32 v132, 32, v35
	s_delay_alu instid0(VALU_DEP_1) | instskip(SKIP_1) | instid1(VALU_DEP_2)
	v_subrev_nc_u32_e32 v35, 28, v132
	v_sub_nc_u32_e32 v132, 29, v132
	v_lshlrev_b64 v[35:36], v35, v[19:20]
; %bb.837:                              ;   in Loop: Header=BB444_13 Depth=1
	s_or_b32 exec_lo, exec_lo, s24
	s_delay_alu instid0(VALU_DEP_1) | instskip(SKIP_2) | instid1(VALU_DEP_3)
	v_lshlrev_b32_e32 v35, 20, v35
	v_lshlrev_b32_e32 v36, 24, v19
	v_lshl_add_u32 v132, v132, 23, 0x3c000000
	v_and_b32_e32 v35, 0x700000, v35
	s_delay_alu instid0(VALU_DEP_3) | instskip(NEXT) | instid1(VALU_DEP_1)
	v_and_b32_e32 v36, 0x80000000, v36
	v_or3_b32 v35, v35, v36, v132
.LBB444_838:                            ;   in Loop: Header=BB444_13 Depth=1
	s_or_b32 exec_lo, exec_lo, s23
.LBB444_839:                            ;   in Loop: Header=BB444_13 Depth=1
	s_delay_alu instid0(SALU_CYCLE_1)
	s_or_b32 exec_lo, exec_lo, s22
.LBB444_840:                            ;   in Loop: Header=BB444_13 Depth=1
	s_delay_alu instid0(SALU_CYCLE_1) | instskip(NEXT) | instid1(VALU_DEP_1)
	s_or_b32 exec_lo, exec_lo, s21
	v_mul_f32_e32 v35, v171, v35
                                        ; implicit-def: $vgpr132
	s_delay_alu instid0(VALU_DEP_1) | instskip(NEXT) | instid1(VALU_DEP_1)
	v_and_b32_e32 v36, 0x7f800000, v35
	v_cmp_ne_u32_e64 s1, 0x7f800000, v36
	s_delay_alu instid0(VALU_DEP_1) | instskip(NEXT) | instid1(SALU_CYCLE_1)
	s_and_saveexec_b32 s21, s1
	s_xor_b32 s1, exec_lo, s21
; %bb.841:                              ;   in Loop: Header=BB444_13 Depth=1
	v_bfe_u32 v36, v35, 16, 1
	s_delay_alu instid0(VALU_DEP_1)
	v_add3_u32 v132, v35, v36, 0x7fff
                                        ; implicit-def: $vgpr35
; %bb.842:                              ;   in Loop: Header=BB444_13 Depth=1
	s_and_not1_saveexec_b32 s21, s1
; %bb.843:                              ;   in Loop: Header=BB444_13 Depth=1
	v_and_b32_e32 v36, 0xffff, v35
	v_or_b32_e32 v132, 0x10000, v35
	s_delay_alu instid0(VALU_DEP_2) | instskip(NEXT) | instid1(VALU_DEP_1)
	v_cmp_eq_u32_e64 s1, 0, v36
	v_cndmask_b32_e64 v132, v132, v35, s1
; %bb.844:                              ;   in Loop: Header=BB444_13 Depth=1
	s_or_b32 exec_lo, exec_lo, s21
	v_lshrrev_b16 v36, 8, v19
	v_mov_b32_e32 v35, 0
	s_mov_b32 s21, exec_lo
	s_delay_alu instid0(VALU_DEP_2)
	v_cmpx_ne_u16_e32 0, v36
	s_cbranch_execz .LBB444_852
; %bb.845:                              ;   in Loop: Header=BB444_13 Depth=1
	v_bfrev_b32_e32 v35, 1
	s_mov_b32 s22, exec_lo
	v_cmpx_ne_u16_e32 0x80, v36
	s_cbranch_execz .LBB444_851
; %bb.846:                              ;   in Loop: Header=BB444_13 Depth=1
	v_and_b32_e32 v36, 0xffff, v36
	v_mov_b32_e32 v35, 0x7f800001
	s_mov_b32 s23, exec_lo
	s_delay_alu instid0(VALU_DEP_2) | instskip(NEXT) | instid1(VALU_DEP_1)
	v_and_b32_e32 v134, 0x7f, v36
	v_cmpx_ne_u32_e32 0x7f, v134
	s_cbranch_execz .LBB444_850
; %bb.847:                              ;   in Loop: Header=BB444_13 Depth=1
	v_dual_mov_b32 v36, v20 :: v_dual_and_b32 v35, 7, v36
	v_lshrrev_b32_e32 v133, 3, v134
	s_mov_b32 s24, exec_lo
	v_cmpx_gt_u32_e32 8, v134
; %bb.848:                              ;   in Loop: Header=BB444_13 Depth=1
	s_delay_alu instid0(VALU_DEP_3) | instskip(NEXT) | instid1(VALU_DEP_1)
	v_clz_i32_u32_e32 v133, v35
	v_min_u32_e32 v133, 32, v133
	s_delay_alu instid0(VALU_DEP_1) | instskip(SKIP_1) | instid1(VALU_DEP_2)
	v_subrev_nc_u32_e32 v134, 28, v133
	v_sub_nc_u32_e32 v133, 29, v133
	v_lshlrev_b64 v[35:36], v134, v[35:36]
	s_delay_alu instid0(VALU_DEP_1)
	v_and_b32_e32 v35, 7, v35
; %bb.849:                              ;   in Loop: Header=BB444_13 Depth=1
	s_or_b32 exec_lo, exec_lo, s24
	v_lshlrev_b32_e32 v19, 16, v19
	s_delay_alu instid0(VALU_DEP_2) | instskip(SKIP_1) | instid1(VALU_DEP_3)
	v_lshlrev_b32_e32 v35, 20, v35
	v_lshl_add_u32 v36, v133, 23, 0x3c000000
	v_and_b32_e32 v19, 0x80000000, v19
	s_delay_alu instid0(VALU_DEP_1)
	v_or3_b32 v35, v35, v19, v36
.LBB444_850:                            ;   in Loop: Header=BB444_13 Depth=1
	s_or_b32 exec_lo, exec_lo, s23
.LBB444_851:                            ;   in Loop: Header=BB444_13 Depth=1
	s_delay_alu instid0(SALU_CYCLE_1)
	s_or_b32 exec_lo, exec_lo, s22
.LBB444_852:                            ;   in Loop: Header=BB444_13 Depth=1
	s_delay_alu instid0(SALU_CYCLE_1) | instskip(NEXT) | instid1(VALU_DEP_1)
	s_or_b32 exec_lo, exec_lo, s21
	v_mul_f32_e32 v19, v171, v35
                                        ; implicit-def: $vgpr133
	s_delay_alu instid0(VALU_DEP_1) | instskip(NEXT) | instid1(VALU_DEP_1)
	v_and_b32_e32 v35, 0x7f800000, v19
	v_cmp_ne_u32_e64 s1, 0x7f800000, v35
	s_delay_alu instid0(VALU_DEP_1) | instskip(NEXT) | instid1(SALU_CYCLE_1)
	s_and_saveexec_b32 s21, s1
	s_xor_b32 s1, exec_lo, s21
; %bb.853:                              ;   in Loop: Header=BB444_13 Depth=1
	v_bfe_u32 v35, v19, 16, 1
	s_delay_alu instid0(VALU_DEP_1)
	v_add3_u32 v133, v19, v35, 0x7fff
                                        ; implicit-def: $vgpr19
; %bb.854:                              ;   in Loop: Header=BB444_13 Depth=1
	s_and_not1_saveexec_b32 s21, s1
; %bb.855:                              ;   in Loop: Header=BB444_13 Depth=1
	v_and_b32_e32 v35, 0xffff, v19
	v_or_b32_e32 v36, 0x10000, v19
	s_delay_alu instid0(VALU_DEP_2) | instskip(NEXT) | instid1(VALU_DEP_1)
	v_cmp_eq_u32_e64 s1, 0, v35
	v_cndmask_b32_e64 v133, v36, v19, s1
; %bb.856:                              ;   in Loop: Header=BB444_13 Depth=1
	s_or_b32 exec_lo, exec_lo, s21
	v_lshrrev_b32_e32 v134, 16, v34
	v_mov_b32_e32 v19, 0
	s_mov_b32 s21, exec_lo
	s_delay_alu instid0(VALU_DEP_2) | instskip(NEXT) | instid1(VALU_DEP_1)
	v_and_b32_e32 v35, 0xff, v134
	v_cmpx_ne_u16_e32 0, v35
	s_cbranch_execz .LBB444_864
; %bb.857:                              ;   in Loop: Header=BB444_13 Depth=1
	v_bfrev_b32_e32 v19, 1
	s_mov_b32 s22, exec_lo
	v_cmpx_ne_u16_e32 0x80, v35
	s_cbranch_execz .LBB444_863
; %bb.858:                              ;   in Loop: Header=BB444_13 Depth=1
	v_bfe_u32 v35, v34, 16, 7
	v_mov_b32_e32 v19, 0x7f800001
	s_mov_b32 s23, exec_lo
	s_delay_alu instid0(VALU_DEP_2)
	v_cmpx_ne_u32_e32 0x7f, v35
	s_cbranch_execz .LBB444_862
; %bb.859:                              ;   in Loop: Header=BB444_13 Depth=1
	v_and_b32_e32 v19, 7, v134
	v_lshrrev_b32_e32 v135, 3, v35
	v_cmp_gt_u32_e64 s1, 8, v35
	s_delay_alu instid0(VALU_DEP_3) | instskip(NEXT) | instid1(VALU_DEP_2)
	v_dual_mov_b32 v36, v20 :: v_dual_mov_b32 v35, v19
	s_and_saveexec_b32 s24, s1
; %bb.860:                              ;   in Loop: Header=BB444_13 Depth=1
	v_clz_i32_u32_e32 v35, v19
	s_delay_alu instid0(VALU_DEP_1) | instskip(NEXT) | instid1(VALU_DEP_1)
	v_min_u32_e32 v135, 32, v35
	v_subrev_nc_u32_e32 v35, 28, v135
	v_sub_nc_u32_e32 v135, 29, v135
	s_delay_alu instid0(VALU_DEP_2) | instskip(NEXT) | instid1(VALU_DEP_1)
	v_lshlrev_b64 v[35:36], v35, v[19:20]
	v_and_b32_e32 v35, 7, v35
; %bb.861:                              ;   in Loop: Header=BB444_13 Depth=1
	s_or_b32 exec_lo, exec_lo, s24
	v_lshlrev_b32_e32 v19, 24, v134
	s_delay_alu instid0(VALU_DEP_2) | instskip(SKIP_1) | instid1(VALU_DEP_3)
	v_lshlrev_b32_e32 v35, 20, v35
	v_lshl_add_u32 v36, v135, 23, 0x3c000000
	v_and_b32_e32 v19, 0x80000000, v19
	s_delay_alu instid0(VALU_DEP_1)
	v_or3_b32 v19, v35, v19, v36
.LBB444_862:                            ;   in Loop: Header=BB444_13 Depth=1
	s_or_b32 exec_lo, exec_lo, s23
.LBB444_863:                            ;   in Loop: Header=BB444_13 Depth=1
	s_delay_alu instid0(SALU_CYCLE_1)
	s_or_b32 exec_lo, exec_lo, s22
.LBB444_864:                            ;   in Loop: Header=BB444_13 Depth=1
	s_delay_alu instid0(SALU_CYCLE_1) | instskip(NEXT) | instid1(VALU_DEP_1)
	s_or_b32 exec_lo, exec_lo, s21
	v_mul_f32_e32 v19, v171, v19
                                        ; implicit-def: $vgpr134
	s_delay_alu instid0(VALU_DEP_1) | instskip(NEXT) | instid1(VALU_DEP_1)
	v_and_b32_e32 v35, 0x7f800000, v19
	v_cmp_ne_u32_e64 s1, 0x7f800000, v35
	s_delay_alu instid0(VALU_DEP_1) | instskip(NEXT) | instid1(SALU_CYCLE_1)
	s_and_saveexec_b32 s21, s1
	s_xor_b32 s1, exec_lo, s21
; %bb.865:                              ;   in Loop: Header=BB444_13 Depth=1
	v_bfe_u32 v35, v19, 16, 1
	s_delay_alu instid0(VALU_DEP_1)
	v_add3_u32 v134, v19, v35, 0x7fff
                                        ; implicit-def: $vgpr19
; %bb.866:                              ;   in Loop: Header=BB444_13 Depth=1
	s_and_not1_saveexec_b32 s21, s1
; %bb.867:                              ;   in Loop: Header=BB444_13 Depth=1
	v_and_b32_e32 v35, 0xffff, v19
	v_or_b32_e32 v36, 0x10000, v19
	s_delay_alu instid0(VALU_DEP_2) | instskip(NEXT) | instid1(VALU_DEP_1)
	v_cmp_eq_u32_e64 s1, 0, v35
	v_cndmask_b32_e64 v134, v36, v19, s1
; %bb.868:                              ;   in Loop: Header=BB444_13 Depth=1
	s_or_b32 exec_lo, exec_lo, s21
	v_mov_b32_e32 v19, 0
	s_mov_b32 s21, exec_lo
	v_cmpx_lt_u64_e64 s[16:17], v[33:34]
	s_cbranch_execz .LBB444_876
; %bb.869:                              ;   in Loop: Header=BB444_13 Depth=1
	v_lshrrev_b32_e32 v35, 24, v34
	v_bfrev_b32_e32 v19, 1
	s_mov_b32 s22, exec_lo
	s_delay_alu instid0(VALU_DEP_2)
	v_cmpx_ne_u32_e32 0x80, v35
	s_cbranch_execz .LBB444_875
; %bb.870:                              ;   in Loop: Header=BB444_13 Depth=1
	v_bfe_u32 v33, v34, 24, 7
	v_mov_b32_e32 v19, 0x7f800001
	s_mov_b32 s23, exec_lo
	s_delay_alu instid0(VALU_DEP_2)
	v_cmpx_ne_u32_e32 0x7f, v33
	s_cbranch_execz .LBB444_874
; %bb.871:                              ;   in Loop: Header=BB444_13 Depth=1
	v_and_b32_e32 v19, 7, v35
	v_lshrrev_b32_e32 v36, 3, v33
	v_cmp_gt_u32_e64 s1, 8, v33
	s_delay_alu instid0(VALU_DEP_3) | instskip(NEXT) | instid1(VALU_DEP_2)
	v_dual_mov_b32 v34, v20 :: v_dual_mov_b32 v33, v19
	s_and_saveexec_b32 s24, s1
; %bb.872:                              ;   in Loop: Header=BB444_13 Depth=1
	v_clz_i32_u32_e32 v33, v19
	s_delay_alu instid0(VALU_DEP_1) | instskip(NEXT) | instid1(VALU_DEP_1)
	v_min_u32_e32 v36, 32, v33
	v_subrev_nc_u32_e32 v33, 28, v36
	v_sub_nc_u32_e32 v36, 29, v36
	s_delay_alu instid0(VALU_DEP_2) | instskip(NEXT) | instid1(VALU_DEP_1)
	v_lshlrev_b64 v[33:34], v33, v[19:20]
	v_and_b32_e32 v33, 7, v33
; %bb.873:                              ;   in Loop: Header=BB444_13 Depth=1
	s_or_b32 exec_lo, exec_lo, s24
	v_lshlrev_b32_e32 v19, 24, v35
	s_delay_alu instid0(VALU_DEP_2) | instskip(SKIP_1) | instid1(VALU_DEP_3)
	v_lshlrev_b32_e32 v33, 20, v33
	v_lshl_add_u32 v34, v36, 23, 0x3c000000
	v_and_b32_e32 v19, 0x80000000, v19
	s_delay_alu instid0(VALU_DEP_1)
	v_or3_b32 v19, v33, v19, v34
.LBB444_874:                            ;   in Loop: Header=BB444_13 Depth=1
	s_or_b32 exec_lo, exec_lo, s23
.LBB444_875:                            ;   in Loop: Header=BB444_13 Depth=1
	s_delay_alu instid0(SALU_CYCLE_1)
	s_or_b32 exec_lo, exec_lo, s22
.LBB444_876:                            ;   in Loop: Header=BB444_13 Depth=1
	s_delay_alu instid0(SALU_CYCLE_1) | instskip(NEXT) | instid1(VALU_DEP_1)
	s_or_b32 exec_lo, exec_lo, s21
	v_mul_f32_e32 v19, v171, v19
                                        ; implicit-def: $vgpr135
	s_delay_alu instid0(VALU_DEP_1) | instskip(NEXT) | instid1(VALU_DEP_1)
	v_and_b32_e32 v33, 0x7f800000, v19
	v_cmp_ne_u32_e64 s1, 0x7f800000, v33
	s_delay_alu instid0(VALU_DEP_1) | instskip(NEXT) | instid1(SALU_CYCLE_1)
	s_and_saveexec_b32 s21, s1
	s_xor_b32 s1, exec_lo, s21
; %bb.877:                              ;   in Loop: Header=BB444_13 Depth=1
	v_bfe_u32 v33, v19, 16, 1
	s_delay_alu instid0(VALU_DEP_1)
	v_add3_u32 v135, v19, v33, 0x7fff
                                        ; implicit-def: $vgpr19
; %bb.878:                              ;   in Loop: Header=BB444_13 Depth=1
	s_and_not1_saveexec_b32 s21, s1
; %bb.879:                              ;   in Loop: Header=BB444_13 Depth=1
	v_and_b32_e32 v33, 0xffff, v19
	v_or_b32_e32 v34, 0x10000, v19
	s_delay_alu instid0(VALU_DEP_2) | instskip(NEXT) | instid1(VALU_DEP_1)
	v_cmp_eq_u32_e64 s1, 0, v33
	v_cndmask_b32_e64 v135, v34, v19, s1
; %bb.880:                              ;   in Loop: Header=BB444_13 Depth=1
	s_or_b32 exec_lo, exec_lo, s21
	flat_load_b64 v[33:34], v[31:32] offset:2056
	v_mov_b32_e32 v19, 0
	s_mov_b32 s21, exec_lo
	s_waitcnt vmcnt(0) lgkmcnt(0)
	v_and_b32_e32 v35, 0xff, v33
	s_delay_alu instid0(VALU_DEP_1)
	v_cmpx_ne_u16_e32 0, v35
	s_cbranch_execz .LBB444_888
; %bb.881:                              ;   in Loop: Header=BB444_13 Depth=1
	v_bfrev_b32_e32 v19, 1
	s_mov_b32 s22, exec_lo
	v_cmpx_ne_u16_e32 0x80, v35
	s_cbranch_execz .LBB444_887
; %bb.882:                              ;   in Loop: Header=BB444_13 Depth=1
	v_and_b32_e32 v35, 0x7f, v33
	v_mov_b32_e32 v19, 0x7f800001
	s_mov_b32 s23, exec_lo
	s_delay_alu instid0(VALU_DEP_2)
	v_cmpx_ne_u32_e32 0x7f, v35
	s_cbranch_execz .LBB444_886
; %bb.883:                              ;   in Loop: Header=BB444_13 Depth=1
	v_lshrrev_b32_e32 v19, 3, v35
	v_cmp_gt_u32_e64 s1, 8, v35
	v_dual_mov_b32 v36, v34 :: v_dual_mov_b32 v35, v33
	s_delay_alu instid0(VALU_DEP_2)
	s_and_saveexec_b32 s24, s1
; %bb.884:                              ;   in Loop: Header=BB444_13 Depth=1
	v_and_b32_e32 v19, 7, v33
	s_delay_alu instid0(VALU_DEP_1) | instskip(NEXT) | instid1(VALU_DEP_1)
	v_clz_i32_u32_e32 v19, v19
	v_min_u32_e32 v19, 32, v19
	s_delay_alu instid0(VALU_DEP_1) | instskip(SKIP_1) | instid1(VALU_DEP_2)
	v_subrev_nc_u32_e32 v35, 28, v19
	v_sub_nc_u32_e32 v19, 29, v19
	v_lshlrev_b64 v[35:36], v35, v[33:34]
; %bb.885:                              ;   in Loop: Header=BB444_13 Depth=1
	s_or_b32 exec_lo, exec_lo, s24
	s_delay_alu instid0(VALU_DEP_1) | instskip(SKIP_2) | instid1(VALU_DEP_3)
	v_lshlrev_b32_e32 v35, 20, v35
	v_lshlrev_b32_e32 v36, 24, v33
	v_lshl_add_u32 v19, v19, 23, 0x3c000000
	v_and_b32_e32 v35, 0x700000, v35
	s_delay_alu instid0(VALU_DEP_3) | instskip(NEXT) | instid1(VALU_DEP_1)
	v_and_b32_e32 v36, 0x80000000, v36
	v_or3_b32 v19, v35, v36, v19
.LBB444_886:                            ;   in Loop: Header=BB444_13 Depth=1
	s_or_b32 exec_lo, exec_lo, s23
.LBB444_887:                            ;   in Loop: Header=BB444_13 Depth=1
	s_delay_alu instid0(SALU_CYCLE_1)
	s_or_b32 exec_lo, exec_lo, s22
.LBB444_888:                            ;   in Loop: Header=BB444_13 Depth=1
	s_delay_alu instid0(SALU_CYCLE_1) | instskip(NEXT) | instid1(VALU_DEP_1)
	s_or_b32 exec_lo, exec_lo, s21
	v_mul_f32_e32 v19, v171, v19
                                        ; implicit-def: $vgpr144
	s_delay_alu instid0(VALU_DEP_1) | instskip(NEXT) | instid1(VALU_DEP_1)
	v_and_b32_e32 v35, 0x7f800000, v19
	v_cmp_ne_u32_e64 s1, 0x7f800000, v35
	s_delay_alu instid0(VALU_DEP_1) | instskip(NEXT) | instid1(SALU_CYCLE_1)
	s_and_saveexec_b32 s21, s1
	s_xor_b32 s1, exec_lo, s21
; %bb.889:                              ;   in Loop: Header=BB444_13 Depth=1
	v_bfe_u32 v35, v19, 16, 1
	s_delay_alu instid0(VALU_DEP_1)
	v_add3_u32 v144, v19, v35, 0x7fff
                                        ; implicit-def: $vgpr19
; %bb.890:                              ;   in Loop: Header=BB444_13 Depth=1
	s_and_not1_saveexec_b32 s21, s1
; %bb.891:                              ;   in Loop: Header=BB444_13 Depth=1
	v_and_b32_e32 v35, 0xffff, v19
	v_or_b32_e32 v36, 0x10000, v19
	s_delay_alu instid0(VALU_DEP_2) | instskip(NEXT) | instid1(VALU_DEP_1)
	v_cmp_eq_u32_e64 s1, 0, v35
	v_cndmask_b32_e64 v144, v36, v19, s1
; %bb.892:                              ;   in Loop: Header=BB444_13 Depth=1
	s_or_b32 exec_lo, exec_lo, s21
	v_lshrrev_b16 v35, 8, v33
	v_mov_b32_e32 v19, 0
	s_mov_b32 s21, exec_lo
	s_delay_alu instid0(VALU_DEP_2)
	v_cmpx_ne_u16_e32 0, v35
	s_cbranch_execz .LBB444_900
; %bb.893:                              ;   in Loop: Header=BB444_13 Depth=1
	v_bfrev_b32_e32 v19, 1
	s_mov_b32 s22, exec_lo
	v_cmpx_ne_u16_e32 0x80, v35
	s_cbranch_execz .LBB444_899
; %bb.894:                              ;   in Loop: Header=BB444_13 Depth=1
	v_and_b32_e32 v36, 0xffff, v35
	v_mov_b32_e32 v19, 0x7f800001
	s_mov_b32 s23, exec_lo
	s_delay_alu instid0(VALU_DEP_2) | instskip(NEXT) | instid1(VALU_DEP_1)
	v_and_b32_e32 v35, 0x7f, v36
	v_cmpx_ne_u32_e32 0x7f, v35
	s_cbranch_execz .LBB444_898
; %bb.895:                              ;   in Loop: Header=BB444_13 Depth=1
	v_and_b32_e32 v19, 7, v36
	v_lshrrev_b32_e32 v145, 3, v35
	v_cmp_gt_u32_e64 s1, 8, v35
	s_delay_alu instid0(VALU_DEP_3) | instskip(NEXT) | instid1(VALU_DEP_2)
	v_dual_mov_b32 v36, v20 :: v_dual_mov_b32 v35, v19
	s_and_saveexec_b32 s24, s1
; %bb.896:                              ;   in Loop: Header=BB444_13 Depth=1
	v_clz_i32_u32_e32 v35, v19
	s_delay_alu instid0(VALU_DEP_1) | instskip(NEXT) | instid1(VALU_DEP_1)
	v_min_u32_e32 v145, 32, v35
	v_subrev_nc_u32_e32 v35, 28, v145
	v_sub_nc_u32_e32 v145, 29, v145
	s_delay_alu instid0(VALU_DEP_2) | instskip(NEXT) | instid1(VALU_DEP_1)
	v_lshlrev_b64 v[35:36], v35, v[19:20]
	v_and_b32_e32 v35, 7, v35
; %bb.897:                              ;   in Loop: Header=BB444_13 Depth=1
	s_or_b32 exec_lo, exec_lo, s24
	v_lshlrev_b32_e32 v19, 16, v33
	s_delay_alu instid0(VALU_DEP_2) | instskip(SKIP_1) | instid1(VALU_DEP_3)
	v_lshlrev_b32_e32 v35, 20, v35
	v_lshl_add_u32 v36, v145, 23, 0x3c000000
	v_and_b32_e32 v19, 0x80000000, v19
	s_delay_alu instid0(VALU_DEP_1)
	v_or3_b32 v19, v35, v19, v36
.LBB444_898:                            ;   in Loop: Header=BB444_13 Depth=1
	s_or_b32 exec_lo, exec_lo, s23
.LBB444_899:                            ;   in Loop: Header=BB444_13 Depth=1
	s_delay_alu instid0(SALU_CYCLE_1)
	s_or_b32 exec_lo, exec_lo, s22
.LBB444_900:                            ;   in Loop: Header=BB444_13 Depth=1
	s_delay_alu instid0(SALU_CYCLE_1) | instskip(NEXT) | instid1(VALU_DEP_1)
	s_or_b32 exec_lo, exec_lo, s21
	v_mul_f32_e32 v19, v171, v19
                                        ; implicit-def: $vgpr145
	s_delay_alu instid0(VALU_DEP_1) | instskip(NEXT) | instid1(VALU_DEP_1)
	v_and_b32_e32 v35, 0x7f800000, v19
	v_cmp_ne_u32_e64 s1, 0x7f800000, v35
	s_delay_alu instid0(VALU_DEP_1) | instskip(NEXT) | instid1(SALU_CYCLE_1)
	s_and_saveexec_b32 s21, s1
	s_xor_b32 s1, exec_lo, s21
; %bb.901:                              ;   in Loop: Header=BB444_13 Depth=1
	v_bfe_u32 v35, v19, 16, 1
	s_delay_alu instid0(VALU_DEP_1)
	v_add3_u32 v145, v19, v35, 0x7fff
                                        ; implicit-def: $vgpr19
; %bb.902:                              ;   in Loop: Header=BB444_13 Depth=1
	s_and_not1_saveexec_b32 s21, s1
; %bb.903:                              ;   in Loop: Header=BB444_13 Depth=1
	v_and_b32_e32 v35, 0xffff, v19
	v_or_b32_e32 v36, 0x10000, v19
	s_delay_alu instid0(VALU_DEP_2) | instskip(NEXT) | instid1(VALU_DEP_1)
	v_cmp_eq_u32_e64 s1, 0, v35
	v_cndmask_b32_e64 v145, v36, v19, s1
; %bb.904:                              ;   in Loop: Header=BB444_13 Depth=1
	s_or_b32 exec_lo, exec_lo, s21
	v_lshrrev_b32_e32 v146, 16, v33
	v_mov_b32_e32 v19, 0
	s_mov_b32 s21, exec_lo
	s_delay_alu instid0(VALU_DEP_2) | instskip(NEXT) | instid1(VALU_DEP_1)
	v_and_b32_e32 v35, 0xff, v146
	v_cmpx_ne_u16_e32 0, v35
	s_cbranch_execz .LBB444_912
; %bb.905:                              ;   in Loop: Header=BB444_13 Depth=1
	v_bfrev_b32_e32 v19, 1
	s_mov_b32 s22, exec_lo
	v_cmpx_ne_u16_e32 0x80, v35
	s_cbranch_execz .LBB444_911
; %bb.906:                              ;   in Loop: Header=BB444_13 Depth=1
	v_bfe_u32 v35, v33, 16, 7
	v_mov_b32_e32 v19, 0x7f800001
	s_mov_b32 s23, exec_lo
	s_delay_alu instid0(VALU_DEP_2)
	v_cmpx_ne_u32_e32 0x7f, v35
	s_cbranch_execz .LBB444_910
; %bb.907:                              ;   in Loop: Header=BB444_13 Depth=1
	v_and_b32_e32 v19, 7, v146
	v_lshrrev_b32_e32 v147, 3, v35
	v_cmp_gt_u32_e64 s1, 8, v35
	s_delay_alu instid0(VALU_DEP_3) | instskip(NEXT) | instid1(VALU_DEP_2)
	v_dual_mov_b32 v36, v20 :: v_dual_mov_b32 v35, v19
	s_and_saveexec_b32 s24, s1
; %bb.908:                              ;   in Loop: Header=BB444_13 Depth=1
	v_clz_i32_u32_e32 v35, v19
	s_delay_alu instid0(VALU_DEP_1) | instskip(NEXT) | instid1(VALU_DEP_1)
	v_min_u32_e32 v147, 32, v35
	v_subrev_nc_u32_e32 v35, 28, v147
	v_sub_nc_u32_e32 v147, 29, v147
	s_delay_alu instid0(VALU_DEP_2) | instskip(NEXT) | instid1(VALU_DEP_1)
	v_lshlrev_b64 v[35:36], v35, v[19:20]
	v_and_b32_e32 v35, 7, v35
; %bb.909:                              ;   in Loop: Header=BB444_13 Depth=1
	s_or_b32 exec_lo, exec_lo, s24
	v_lshlrev_b32_e32 v19, 24, v146
	s_delay_alu instid0(VALU_DEP_2) | instskip(SKIP_1) | instid1(VALU_DEP_3)
	v_lshlrev_b32_e32 v35, 20, v35
	v_lshl_add_u32 v36, v147, 23, 0x3c000000
	v_and_b32_e32 v19, 0x80000000, v19
	s_delay_alu instid0(VALU_DEP_1)
	v_or3_b32 v19, v35, v19, v36
.LBB444_910:                            ;   in Loop: Header=BB444_13 Depth=1
	s_or_b32 exec_lo, exec_lo, s23
.LBB444_911:                            ;   in Loop: Header=BB444_13 Depth=1
	s_delay_alu instid0(SALU_CYCLE_1)
	s_or_b32 exec_lo, exec_lo, s22
.LBB444_912:                            ;   in Loop: Header=BB444_13 Depth=1
	s_delay_alu instid0(SALU_CYCLE_1) | instskip(NEXT) | instid1(VALU_DEP_1)
	s_or_b32 exec_lo, exec_lo, s21
	v_mul_f32_e32 v19, v171, v19
                                        ; implicit-def: $vgpr146
	s_delay_alu instid0(VALU_DEP_1) | instskip(NEXT) | instid1(VALU_DEP_1)
	v_and_b32_e32 v35, 0x7f800000, v19
	v_cmp_ne_u32_e64 s1, 0x7f800000, v35
	s_delay_alu instid0(VALU_DEP_1) | instskip(NEXT) | instid1(SALU_CYCLE_1)
	s_and_saveexec_b32 s21, s1
	s_xor_b32 s1, exec_lo, s21
; %bb.913:                              ;   in Loop: Header=BB444_13 Depth=1
	v_bfe_u32 v35, v19, 16, 1
	s_delay_alu instid0(VALU_DEP_1)
	v_add3_u32 v146, v19, v35, 0x7fff
                                        ; implicit-def: $vgpr19
; %bb.914:                              ;   in Loop: Header=BB444_13 Depth=1
	s_and_not1_saveexec_b32 s21, s1
; %bb.915:                              ;   in Loop: Header=BB444_13 Depth=1
	v_and_b32_e32 v35, 0xffff, v19
	v_or_b32_e32 v36, 0x10000, v19
	s_delay_alu instid0(VALU_DEP_2) | instskip(NEXT) | instid1(VALU_DEP_1)
	v_cmp_eq_u32_e64 s1, 0, v35
	v_cndmask_b32_e64 v146, v36, v19, s1
; %bb.916:                              ;   in Loop: Header=BB444_13 Depth=1
	s_or_b32 exec_lo, exec_lo, s21
	v_mov_b32_e32 v19, 0
	s_mov_b32 s21, exec_lo
	v_cmpx_lt_u32_e32 0xffffff, v33
	s_cbranch_execz .LBB444_924
; %bb.917:                              ;   in Loop: Header=BB444_13 Depth=1
	v_lshrrev_b32_e32 v147, 24, v33
	v_bfrev_b32_e32 v19, 1
	s_mov_b32 s22, exec_lo
	s_delay_alu instid0(VALU_DEP_2)
	v_cmpx_ne_u32_e32 0x80, v147
	s_cbranch_execz .LBB444_923
; %bb.918:                              ;   in Loop: Header=BB444_13 Depth=1
	v_bfe_u32 v35, v33, 24, 7
	v_mov_b32_e32 v19, 0x7f800001
	s_mov_b32 s23, exec_lo
	s_delay_alu instid0(VALU_DEP_2)
	v_cmpx_ne_u32_e32 0x7f, v35
	s_cbranch_execz .LBB444_922
; %bb.919:                              ;   in Loop: Header=BB444_13 Depth=1
	v_and_b32_e32 v19, 7, v147
	v_lshrrev_b32_e32 v148, 3, v35
	v_cmp_gt_u32_e64 s1, 8, v35
	s_delay_alu instid0(VALU_DEP_3) | instskip(NEXT) | instid1(VALU_DEP_2)
	v_dual_mov_b32 v36, v20 :: v_dual_mov_b32 v35, v19
	s_and_saveexec_b32 s24, s1
; %bb.920:                              ;   in Loop: Header=BB444_13 Depth=1
	v_clz_i32_u32_e32 v35, v19
	s_delay_alu instid0(VALU_DEP_1) | instskip(NEXT) | instid1(VALU_DEP_1)
	v_min_u32_e32 v148, 32, v35
	v_subrev_nc_u32_e32 v35, 28, v148
	v_sub_nc_u32_e32 v148, 29, v148
	s_delay_alu instid0(VALU_DEP_2) | instskip(NEXT) | instid1(VALU_DEP_1)
	v_lshlrev_b64 v[35:36], v35, v[19:20]
	v_and_b32_e32 v35, 7, v35
; %bb.921:                              ;   in Loop: Header=BB444_13 Depth=1
	s_or_b32 exec_lo, exec_lo, s24
	v_lshlrev_b32_e32 v19, 24, v147
	s_delay_alu instid0(VALU_DEP_2) | instskip(SKIP_1) | instid1(VALU_DEP_3)
	v_lshlrev_b32_e32 v35, 20, v35
	v_lshl_add_u32 v36, v148, 23, 0x3c000000
	v_and_b32_e32 v19, 0x80000000, v19
	s_delay_alu instid0(VALU_DEP_1)
	v_or3_b32 v19, v35, v19, v36
.LBB444_922:                            ;   in Loop: Header=BB444_13 Depth=1
	s_or_b32 exec_lo, exec_lo, s23
.LBB444_923:                            ;   in Loop: Header=BB444_13 Depth=1
	s_delay_alu instid0(SALU_CYCLE_1)
	s_or_b32 exec_lo, exec_lo, s22
.LBB444_924:                            ;   in Loop: Header=BB444_13 Depth=1
	s_delay_alu instid0(SALU_CYCLE_1) | instskip(NEXT) | instid1(VALU_DEP_1)
	s_or_b32 exec_lo, exec_lo, s21
	v_mul_f32_e32 v19, v171, v19
                                        ; implicit-def: $vgpr147
	s_delay_alu instid0(VALU_DEP_1) | instskip(NEXT) | instid1(VALU_DEP_1)
	v_and_b32_e32 v35, 0x7f800000, v19
	v_cmp_ne_u32_e64 s1, 0x7f800000, v35
	s_delay_alu instid0(VALU_DEP_1) | instskip(NEXT) | instid1(SALU_CYCLE_1)
	s_and_saveexec_b32 s21, s1
	s_xor_b32 s1, exec_lo, s21
; %bb.925:                              ;   in Loop: Header=BB444_13 Depth=1
	v_bfe_u32 v35, v19, 16, 1
	s_delay_alu instid0(VALU_DEP_1)
	v_add3_u32 v147, v19, v35, 0x7fff
                                        ; implicit-def: $vgpr19
; %bb.926:                              ;   in Loop: Header=BB444_13 Depth=1
	s_and_not1_saveexec_b32 s21, s1
; %bb.927:                              ;   in Loop: Header=BB444_13 Depth=1
	v_and_b32_e32 v35, 0xffff, v19
	v_or_b32_e32 v36, 0x10000, v19
	s_delay_alu instid0(VALU_DEP_2) | instskip(NEXT) | instid1(VALU_DEP_1)
	v_cmp_eq_u32_e64 s1, 0, v35
	v_cndmask_b32_e64 v147, v36, v19, s1
; %bb.928:                              ;   in Loop: Header=BB444_13 Depth=1
	s_or_b32 exec_lo, exec_lo, s21
	v_dual_mov_b32 v19, v34 :: v_dual_and_b32 v36, 0xff, v34
	v_mov_b32_e32 v35, 0
	s_mov_b32 s21, exec_lo
	s_delay_alu instid0(VALU_DEP_2)
	v_cmpx_ne_u16_e32 0, v36
	s_cbranch_execz .LBB444_936
; %bb.929:                              ;   in Loop: Header=BB444_13 Depth=1
	v_bfrev_b32_e32 v35, 1
	s_mov_b32 s22, exec_lo
	v_cmpx_ne_u16_e32 0x80, v36
	s_cbranch_execz .LBB444_935
; %bb.930:                              ;   in Loop: Header=BB444_13 Depth=1
	v_and_b32_e32 v36, 0x7f, v34
	v_mov_b32_e32 v35, 0x7f800001
	s_mov_b32 s23, exec_lo
	s_delay_alu instid0(VALU_DEP_2)
	v_cmpx_ne_u32_e32 0x7f, v36
	s_cbranch_execz .LBB444_934
; %bb.931:                              ;   in Loop: Header=BB444_13 Depth=1
	v_lshrrev_b32_e32 v148, 3, v36
	v_cmp_gt_u32_e64 s1, 8, v36
	v_dual_mov_b32 v36, v20 :: v_dual_mov_b32 v35, v19
	s_delay_alu instid0(VALU_DEP_2)
	s_and_saveexec_b32 s24, s1
; %bb.932:                              ;   in Loop: Header=BB444_13 Depth=1
	v_and_b32_e32 v35, 7, v34
	s_delay_alu instid0(VALU_DEP_1) | instskip(NEXT) | instid1(VALU_DEP_1)
	v_clz_i32_u32_e32 v35, v35
	v_min_u32_e32 v148, 32, v35
	s_delay_alu instid0(VALU_DEP_1) | instskip(SKIP_1) | instid1(VALU_DEP_2)
	v_subrev_nc_u32_e32 v35, 28, v148
	v_sub_nc_u32_e32 v148, 29, v148
	v_lshlrev_b64 v[35:36], v35, v[19:20]
; %bb.933:                              ;   in Loop: Header=BB444_13 Depth=1
	s_or_b32 exec_lo, exec_lo, s24
	s_delay_alu instid0(VALU_DEP_1) | instskip(SKIP_2) | instid1(VALU_DEP_3)
	v_lshlrev_b32_e32 v35, 20, v35
	v_lshlrev_b32_e32 v36, 24, v19
	v_lshl_add_u32 v148, v148, 23, 0x3c000000
	v_and_b32_e32 v35, 0x700000, v35
	s_delay_alu instid0(VALU_DEP_3) | instskip(NEXT) | instid1(VALU_DEP_1)
	v_and_b32_e32 v36, 0x80000000, v36
	v_or3_b32 v35, v35, v36, v148
.LBB444_934:                            ;   in Loop: Header=BB444_13 Depth=1
	s_or_b32 exec_lo, exec_lo, s23
.LBB444_935:                            ;   in Loop: Header=BB444_13 Depth=1
	s_delay_alu instid0(SALU_CYCLE_1)
	s_or_b32 exec_lo, exec_lo, s22
.LBB444_936:                            ;   in Loop: Header=BB444_13 Depth=1
	s_delay_alu instid0(SALU_CYCLE_1) | instskip(NEXT) | instid1(VALU_DEP_1)
	s_or_b32 exec_lo, exec_lo, s21
	v_mul_f32_e32 v35, v171, v35
                                        ; implicit-def: $vgpr148
	s_delay_alu instid0(VALU_DEP_1) | instskip(NEXT) | instid1(VALU_DEP_1)
	v_and_b32_e32 v36, 0x7f800000, v35
	v_cmp_ne_u32_e64 s1, 0x7f800000, v36
	s_delay_alu instid0(VALU_DEP_1) | instskip(NEXT) | instid1(SALU_CYCLE_1)
	s_and_saveexec_b32 s21, s1
	s_xor_b32 s1, exec_lo, s21
; %bb.937:                              ;   in Loop: Header=BB444_13 Depth=1
	v_bfe_u32 v36, v35, 16, 1
	s_delay_alu instid0(VALU_DEP_1)
	v_add3_u32 v148, v35, v36, 0x7fff
                                        ; implicit-def: $vgpr35
; %bb.938:                              ;   in Loop: Header=BB444_13 Depth=1
	s_and_not1_saveexec_b32 s21, s1
; %bb.939:                              ;   in Loop: Header=BB444_13 Depth=1
	v_and_b32_e32 v36, 0xffff, v35
	v_or_b32_e32 v148, 0x10000, v35
	s_delay_alu instid0(VALU_DEP_2) | instskip(NEXT) | instid1(VALU_DEP_1)
	v_cmp_eq_u32_e64 s1, 0, v36
	v_cndmask_b32_e64 v148, v148, v35, s1
; %bb.940:                              ;   in Loop: Header=BB444_13 Depth=1
	s_or_b32 exec_lo, exec_lo, s21
	v_lshrrev_b16 v36, 8, v19
	v_mov_b32_e32 v35, 0
	s_mov_b32 s21, exec_lo
	s_delay_alu instid0(VALU_DEP_2)
	v_cmpx_ne_u16_e32 0, v36
	s_cbranch_execz .LBB444_948
; %bb.941:                              ;   in Loop: Header=BB444_13 Depth=1
	v_bfrev_b32_e32 v35, 1
	s_mov_b32 s22, exec_lo
	v_cmpx_ne_u16_e32 0x80, v36
	s_cbranch_execz .LBB444_947
; %bb.942:                              ;   in Loop: Header=BB444_13 Depth=1
	v_and_b32_e32 v36, 0xffff, v36
	v_mov_b32_e32 v35, 0x7f800001
	s_mov_b32 s23, exec_lo
	s_delay_alu instid0(VALU_DEP_2) | instskip(NEXT) | instid1(VALU_DEP_1)
	v_and_b32_e32 v150, 0x7f, v36
	v_cmpx_ne_u32_e32 0x7f, v150
	s_cbranch_execz .LBB444_946
; %bb.943:                              ;   in Loop: Header=BB444_13 Depth=1
	v_dual_mov_b32 v36, v20 :: v_dual_and_b32 v35, 7, v36
	v_lshrrev_b32_e32 v149, 3, v150
	s_mov_b32 s24, exec_lo
	v_cmpx_gt_u32_e32 8, v150
; %bb.944:                              ;   in Loop: Header=BB444_13 Depth=1
	s_delay_alu instid0(VALU_DEP_3) | instskip(NEXT) | instid1(VALU_DEP_1)
	v_clz_i32_u32_e32 v149, v35
	v_min_u32_e32 v149, 32, v149
	s_delay_alu instid0(VALU_DEP_1) | instskip(SKIP_1) | instid1(VALU_DEP_2)
	v_subrev_nc_u32_e32 v150, 28, v149
	v_sub_nc_u32_e32 v149, 29, v149
	v_lshlrev_b64 v[35:36], v150, v[35:36]
	s_delay_alu instid0(VALU_DEP_1)
	v_and_b32_e32 v35, 7, v35
; %bb.945:                              ;   in Loop: Header=BB444_13 Depth=1
	s_or_b32 exec_lo, exec_lo, s24
	v_lshlrev_b32_e32 v19, 16, v19
	s_delay_alu instid0(VALU_DEP_2) | instskip(SKIP_1) | instid1(VALU_DEP_3)
	v_lshlrev_b32_e32 v35, 20, v35
	v_lshl_add_u32 v36, v149, 23, 0x3c000000
	v_and_b32_e32 v19, 0x80000000, v19
	s_delay_alu instid0(VALU_DEP_1)
	v_or3_b32 v35, v35, v19, v36
.LBB444_946:                            ;   in Loop: Header=BB444_13 Depth=1
	s_or_b32 exec_lo, exec_lo, s23
.LBB444_947:                            ;   in Loop: Header=BB444_13 Depth=1
	s_delay_alu instid0(SALU_CYCLE_1)
	s_or_b32 exec_lo, exec_lo, s22
.LBB444_948:                            ;   in Loop: Header=BB444_13 Depth=1
	s_delay_alu instid0(SALU_CYCLE_1) | instskip(NEXT) | instid1(VALU_DEP_1)
	s_or_b32 exec_lo, exec_lo, s21
	v_mul_f32_e32 v19, v171, v35
                                        ; implicit-def: $vgpr149
	s_delay_alu instid0(VALU_DEP_1) | instskip(NEXT) | instid1(VALU_DEP_1)
	v_and_b32_e32 v35, 0x7f800000, v19
	v_cmp_ne_u32_e64 s1, 0x7f800000, v35
	s_delay_alu instid0(VALU_DEP_1) | instskip(NEXT) | instid1(SALU_CYCLE_1)
	s_and_saveexec_b32 s21, s1
	s_xor_b32 s1, exec_lo, s21
; %bb.949:                              ;   in Loop: Header=BB444_13 Depth=1
	v_bfe_u32 v35, v19, 16, 1
	s_delay_alu instid0(VALU_DEP_1)
	v_add3_u32 v149, v19, v35, 0x7fff
                                        ; implicit-def: $vgpr19
; %bb.950:                              ;   in Loop: Header=BB444_13 Depth=1
	s_and_not1_saveexec_b32 s21, s1
; %bb.951:                              ;   in Loop: Header=BB444_13 Depth=1
	v_and_b32_e32 v35, 0xffff, v19
	v_or_b32_e32 v36, 0x10000, v19
	s_delay_alu instid0(VALU_DEP_2) | instskip(NEXT) | instid1(VALU_DEP_1)
	v_cmp_eq_u32_e64 s1, 0, v35
	v_cndmask_b32_e64 v149, v36, v19, s1
; %bb.952:                              ;   in Loop: Header=BB444_13 Depth=1
	s_or_b32 exec_lo, exec_lo, s21
	v_lshrrev_b32_e32 v150, 16, v34
	v_mov_b32_e32 v19, 0
	s_mov_b32 s21, exec_lo
	s_delay_alu instid0(VALU_DEP_2) | instskip(NEXT) | instid1(VALU_DEP_1)
	v_and_b32_e32 v35, 0xff, v150
	v_cmpx_ne_u16_e32 0, v35
	s_cbranch_execz .LBB444_960
; %bb.953:                              ;   in Loop: Header=BB444_13 Depth=1
	v_bfrev_b32_e32 v19, 1
	s_mov_b32 s22, exec_lo
	v_cmpx_ne_u16_e32 0x80, v35
	s_cbranch_execz .LBB444_959
; %bb.954:                              ;   in Loop: Header=BB444_13 Depth=1
	v_bfe_u32 v35, v34, 16, 7
	v_mov_b32_e32 v19, 0x7f800001
	s_mov_b32 s23, exec_lo
	s_delay_alu instid0(VALU_DEP_2)
	v_cmpx_ne_u32_e32 0x7f, v35
	s_cbranch_execz .LBB444_958
; %bb.955:                              ;   in Loop: Header=BB444_13 Depth=1
	v_and_b32_e32 v19, 7, v150
	v_lshrrev_b32_e32 v151, 3, v35
	v_cmp_gt_u32_e64 s1, 8, v35
	s_delay_alu instid0(VALU_DEP_3) | instskip(NEXT) | instid1(VALU_DEP_2)
	v_dual_mov_b32 v36, v20 :: v_dual_mov_b32 v35, v19
	s_and_saveexec_b32 s24, s1
; %bb.956:                              ;   in Loop: Header=BB444_13 Depth=1
	v_clz_i32_u32_e32 v35, v19
	s_delay_alu instid0(VALU_DEP_1) | instskip(NEXT) | instid1(VALU_DEP_1)
	v_min_u32_e32 v151, 32, v35
	v_subrev_nc_u32_e32 v35, 28, v151
	v_sub_nc_u32_e32 v151, 29, v151
	s_delay_alu instid0(VALU_DEP_2) | instskip(NEXT) | instid1(VALU_DEP_1)
	v_lshlrev_b64 v[35:36], v35, v[19:20]
	v_and_b32_e32 v35, 7, v35
; %bb.957:                              ;   in Loop: Header=BB444_13 Depth=1
	s_or_b32 exec_lo, exec_lo, s24
	v_lshlrev_b32_e32 v19, 24, v150
	s_delay_alu instid0(VALU_DEP_2) | instskip(SKIP_1) | instid1(VALU_DEP_3)
	v_lshlrev_b32_e32 v35, 20, v35
	v_lshl_add_u32 v36, v151, 23, 0x3c000000
	v_and_b32_e32 v19, 0x80000000, v19
	s_delay_alu instid0(VALU_DEP_1)
	v_or3_b32 v19, v35, v19, v36
.LBB444_958:                            ;   in Loop: Header=BB444_13 Depth=1
	s_or_b32 exec_lo, exec_lo, s23
.LBB444_959:                            ;   in Loop: Header=BB444_13 Depth=1
	s_delay_alu instid0(SALU_CYCLE_1)
	s_or_b32 exec_lo, exec_lo, s22
.LBB444_960:                            ;   in Loop: Header=BB444_13 Depth=1
	s_delay_alu instid0(SALU_CYCLE_1) | instskip(NEXT) | instid1(VALU_DEP_1)
	s_or_b32 exec_lo, exec_lo, s21
	v_mul_f32_e32 v19, v171, v19
                                        ; implicit-def: $vgpr150
	s_delay_alu instid0(VALU_DEP_1) | instskip(NEXT) | instid1(VALU_DEP_1)
	v_and_b32_e32 v35, 0x7f800000, v19
	v_cmp_ne_u32_e64 s1, 0x7f800000, v35
	s_delay_alu instid0(VALU_DEP_1) | instskip(NEXT) | instid1(SALU_CYCLE_1)
	s_and_saveexec_b32 s21, s1
	s_xor_b32 s1, exec_lo, s21
; %bb.961:                              ;   in Loop: Header=BB444_13 Depth=1
	v_bfe_u32 v35, v19, 16, 1
	s_delay_alu instid0(VALU_DEP_1)
	v_add3_u32 v150, v19, v35, 0x7fff
                                        ; implicit-def: $vgpr19
; %bb.962:                              ;   in Loop: Header=BB444_13 Depth=1
	s_and_not1_saveexec_b32 s21, s1
; %bb.963:                              ;   in Loop: Header=BB444_13 Depth=1
	v_and_b32_e32 v35, 0xffff, v19
	v_or_b32_e32 v36, 0x10000, v19
	s_delay_alu instid0(VALU_DEP_2) | instskip(NEXT) | instid1(VALU_DEP_1)
	v_cmp_eq_u32_e64 s1, 0, v35
	v_cndmask_b32_e64 v150, v36, v19, s1
; %bb.964:                              ;   in Loop: Header=BB444_13 Depth=1
	s_or_b32 exec_lo, exec_lo, s21
	v_mov_b32_e32 v19, 0
	s_mov_b32 s21, exec_lo
	v_cmpx_lt_u64_e64 s[16:17], v[33:34]
	s_cbranch_execz .LBB444_972
; %bb.965:                              ;   in Loop: Header=BB444_13 Depth=1
	v_lshrrev_b32_e32 v35, 24, v34
	v_bfrev_b32_e32 v19, 1
	s_mov_b32 s22, exec_lo
	s_delay_alu instid0(VALU_DEP_2)
	v_cmpx_ne_u32_e32 0x80, v35
	s_cbranch_execz .LBB444_971
; %bb.966:                              ;   in Loop: Header=BB444_13 Depth=1
	v_bfe_u32 v33, v34, 24, 7
	v_mov_b32_e32 v19, 0x7f800001
	s_mov_b32 s23, exec_lo
	s_delay_alu instid0(VALU_DEP_2)
	v_cmpx_ne_u32_e32 0x7f, v33
	s_cbranch_execz .LBB444_970
; %bb.967:                              ;   in Loop: Header=BB444_13 Depth=1
	v_and_b32_e32 v19, 7, v35
	v_lshrrev_b32_e32 v36, 3, v33
	v_cmp_gt_u32_e64 s1, 8, v33
	s_delay_alu instid0(VALU_DEP_3) | instskip(NEXT) | instid1(VALU_DEP_2)
	v_dual_mov_b32 v34, v20 :: v_dual_mov_b32 v33, v19
	s_and_saveexec_b32 s24, s1
; %bb.968:                              ;   in Loop: Header=BB444_13 Depth=1
	v_clz_i32_u32_e32 v33, v19
	s_delay_alu instid0(VALU_DEP_1) | instskip(NEXT) | instid1(VALU_DEP_1)
	v_min_u32_e32 v36, 32, v33
	v_subrev_nc_u32_e32 v33, 28, v36
	v_sub_nc_u32_e32 v36, 29, v36
	s_delay_alu instid0(VALU_DEP_2) | instskip(NEXT) | instid1(VALU_DEP_1)
	v_lshlrev_b64 v[33:34], v33, v[19:20]
	v_and_b32_e32 v33, 7, v33
; %bb.969:                              ;   in Loop: Header=BB444_13 Depth=1
	s_or_b32 exec_lo, exec_lo, s24
	v_lshlrev_b32_e32 v19, 24, v35
	s_delay_alu instid0(VALU_DEP_2) | instskip(SKIP_1) | instid1(VALU_DEP_3)
	v_lshlrev_b32_e32 v33, 20, v33
	v_lshl_add_u32 v34, v36, 23, 0x3c000000
	v_and_b32_e32 v19, 0x80000000, v19
	s_delay_alu instid0(VALU_DEP_1)
	v_or3_b32 v19, v33, v19, v34
.LBB444_970:                            ;   in Loop: Header=BB444_13 Depth=1
	s_or_b32 exec_lo, exec_lo, s23
.LBB444_971:                            ;   in Loop: Header=BB444_13 Depth=1
	s_delay_alu instid0(SALU_CYCLE_1)
	s_or_b32 exec_lo, exec_lo, s22
.LBB444_972:                            ;   in Loop: Header=BB444_13 Depth=1
	s_delay_alu instid0(SALU_CYCLE_1) | instskip(NEXT) | instid1(VALU_DEP_1)
	s_or_b32 exec_lo, exec_lo, s21
	v_mul_f32_e32 v19, v171, v19
                                        ; implicit-def: $vgpr151
	s_delay_alu instid0(VALU_DEP_1) | instskip(NEXT) | instid1(VALU_DEP_1)
	v_and_b32_e32 v33, 0x7f800000, v19
	v_cmp_ne_u32_e64 s1, 0x7f800000, v33
	s_delay_alu instid0(VALU_DEP_1) | instskip(NEXT) | instid1(SALU_CYCLE_1)
	s_and_saveexec_b32 s21, s1
	s_xor_b32 s1, exec_lo, s21
; %bb.973:                              ;   in Loop: Header=BB444_13 Depth=1
	v_bfe_u32 v33, v19, 16, 1
	s_delay_alu instid0(VALU_DEP_1)
	v_add3_u32 v151, v19, v33, 0x7fff
                                        ; implicit-def: $vgpr19
; %bb.974:                              ;   in Loop: Header=BB444_13 Depth=1
	s_and_not1_saveexec_b32 s21, s1
; %bb.975:                              ;   in Loop: Header=BB444_13 Depth=1
	v_and_b32_e32 v33, 0xffff, v19
	v_or_b32_e32 v34, 0x10000, v19
	s_delay_alu instid0(VALU_DEP_2) | instskip(NEXT) | instid1(VALU_DEP_1)
	v_cmp_eq_u32_e64 s1, 0, v33
	v_cndmask_b32_e64 v151, v34, v19, s1
; %bb.976:                              ;   in Loop: Header=BB444_13 Depth=1
	s_or_b32 exec_lo, exec_lo, s21
	flat_load_b64 v[33:34], v[31:32] offset:2560
	v_mov_b32_e32 v19, 0
	s_mov_b32 s21, exec_lo
	s_waitcnt vmcnt(0) lgkmcnt(0)
	v_and_b32_e32 v35, 0xff, v33
	s_delay_alu instid0(VALU_DEP_1)
	v_cmpx_ne_u16_e32 0, v35
	s_cbranch_execz .LBB444_984
; %bb.977:                              ;   in Loop: Header=BB444_13 Depth=1
	v_bfrev_b32_e32 v19, 1
	s_mov_b32 s22, exec_lo
	v_cmpx_ne_u16_e32 0x80, v35
	s_cbranch_execz .LBB444_983
; %bb.978:                              ;   in Loop: Header=BB444_13 Depth=1
	v_and_b32_e32 v35, 0x7f, v33
	v_mov_b32_e32 v19, 0x7f800001
	s_mov_b32 s23, exec_lo
	s_delay_alu instid0(VALU_DEP_2)
	v_cmpx_ne_u32_e32 0x7f, v35
	s_cbranch_execz .LBB444_982
; %bb.979:                              ;   in Loop: Header=BB444_13 Depth=1
	v_lshrrev_b32_e32 v19, 3, v35
	v_cmp_gt_u32_e64 s1, 8, v35
	v_dual_mov_b32 v36, v34 :: v_dual_mov_b32 v35, v33
	s_delay_alu instid0(VALU_DEP_2)
	s_and_saveexec_b32 s24, s1
; %bb.980:                              ;   in Loop: Header=BB444_13 Depth=1
	v_and_b32_e32 v19, 7, v33
	s_delay_alu instid0(VALU_DEP_1) | instskip(NEXT) | instid1(VALU_DEP_1)
	v_clz_i32_u32_e32 v19, v19
	v_min_u32_e32 v19, 32, v19
	s_delay_alu instid0(VALU_DEP_1) | instskip(SKIP_1) | instid1(VALU_DEP_2)
	v_subrev_nc_u32_e32 v35, 28, v19
	v_sub_nc_u32_e32 v19, 29, v19
	v_lshlrev_b64 v[35:36], v35, v[33:34]
; %bb.981:                              ;   in Loop: Header=BB444_13 Depth=1
	s_or_b32 exec_lo, exec_lo, s24
	s_delay_alu instid0(VALU_DEP_1) | instskip(SKIP_2) | instid1(VALU_DEP_3)
	v_lshlrev_b32_e32 v35, 20, v35
	v_lshlrev_b32_e32 v36, 24, v33
	v_lshl_add_u32 v19, v19, 23, 0x3c000000
	v_and_b32_e32 v35, 0x700000, v35
	s_delay_alu instid0(VALU_DEP_3) | instskip(NEXT) | instid1(VALU_DEP_1)
	v_and_b32_e32 v36, 0x80000000, v36
	v_or3_b32 v19, v35, v36, v19
.LBB444_982:                            ;   in Loop: Header=BB444_13 Depth=1
	s_or_b32 exec_lo, exec_lo, s23
.LBB444_983:                            ;   in Loop: Header=BB444_13 Depth=1
	s_delay_alu instid0(SALU_CYCLE_1)
	s_or_b32 exec_lo, exec_lo, s22
.LBB444_984:                            ;   in Loop: Header=BB444_13 Depth=1
	s_delay_alu instid0(SALU_CYCLE_1) | instskip(NEXT) | instid1(VALU_DEP_1)
	s_or_b32 exec_lo, exec_lo, s21
	v_mul_f32_e32 v19, v171, v19
                                        ; implicit-def: $vgpr160
	s_delay_alu instid0(VALU_DEP_1) | instskip(NEXT) | instid1(VALU_DEP_1)
	v_and_b32_e32 v35, 0x7f800000, v19
	v_cmp_ne_u32_e64 s1, 0x7f800000, v35
	s_delay_alu instid0(VALU_DEP_1) | instskip(NEXT) | instid1(SALU_CYCLE_1)
	s_and_saveexec_b32 s21, s1
	s_xor_b32 s1, exec_lo, s21
; %bb.985:                              ;   in Loop: Header=BB444_13 Depth=1
	v_bfe_u32 v35, v19, 16, 1
	s_delay_alu instid0(VALU_DEP_1)
	v_add3_u32 v160, v19, v35, 0x7fff
                                        ; implicit-def: $vgpr19
; %bb.986:                              ;   in Loop: Header=BB444_13 Depth=1
	s_and_not1_saveexec_b32 s21, s1
; %bb.987:                              ;   in Loop: Header=BB444_13 Depth=1
	v_and_b32_e32 v35, 0xffff, v19
	v_or_b32_e32 v36, 0x10000, v19
	s_delay_alu instid0(VALU_DEP_2) | instskip(NEXT) | instid1(VALU_DEP_1)
	v_cmp_eq_u32_e64 s1, 0, v35
	v_cndmask_b32_e64 v160, v36, v19, s1
; %bb.988:                              ;   in Loop: Header=BB444_13 Depth=1
	s_or_b32 exec_lo, exec_lo, s21
	v_lshrrev_b16 v35, 8, v33
	v_mov_b32_e32 v19, 0
	s_mov_b32 s21, exec_lo
	s_delay_alu instid0(VALU_DEP_2)
	v_cmpx_ne_u16_e32 0, v35
	s_cbranch_execz .LBB444_996
; %bb.989:                              ;   in Loop: Header=BB444_13 Depth=1
	v_bfrev_b32_e32 v19, 1
	s_mov_b32 s22, exec_lo
	v_cmpx_ne_u16_e32 0x80, v35
	s_cbranch_execz .LBB444_995
; %bb.990:                              ;   in Loop: Header=BB444_13 Depth=1
	v_and_b32_e32 v36, 0xffff, v35
	v_mov_b32_e32 v19, 0x7f800001
	s_mov_b32 s23, exec_lo
	s_delay_alu instid0(VALU_DEP_2) | instskip(NEXT) | instid1(VALU_DEP_1)
	v_and_b32_e32 v35, 0x7f, v36
	v_cmpx_ne_u32_e32 0x7f, v35
	s_cbranch_execz .LBB444_994
; %bb.991:                              ;   in Loop: Header=BB444_13 Depth=1
	v_and_b32_e32 v19, 7, v36
	v_lshrrev_b32_e32 v161, 3, v35
	v_cmp_gt_u32_e64 s1, 8, v35
	s_delay_alu instid0(VALU_DEP_3) | instskip(NEXT) | instid1(VALU_DEP_2)
	v_dual_mov_b32 v36, v20 :: v_dual_mov_b32 v35, v19
	s_and_saveexec_b32 s24, s1
; %bb.992:                              ;   in Loop: Header=BB444_13 Depth=1
	v_clz_i32_u32_e32 v35, v19
	s_delay_alu instid0(VALU_DEP_1) | instskip(NEXT) | instid1(VALU_DEP_1)
	v_min_u32_e32 v161, 32, v35
	v_subrev_nc_u32_e32 v35, 28, v161
	v_sub_nc_u32_e32 v161, 29, v161
	s_delay_alu instid0(VALU_DEP_2) | instskip(NEXT) | instid1(VALU_DEP_1)
	v_lshlrev_b64 v[35:36], v35, v[19:20]
	v_and_b32_e32 v35, 7, v35
; %bb.993:                              ;   in Loop: Header=BB444_13 Depth=1
	s_or_b32 exec_lo, exec_lo, s24
	v_lshlrev_b32_e32 v19, 16, v33
	s_delay_alu instid0(VALU_DEP_2) | instskip(SKIP_1) | instid1(VALU_DEP_3)
	v_lshlrev_b32_e32 v35, 20, v35
	v_lshl_add_u32 v36, v161, 23, 0x3c000000
	v_and_b32_e32 v19, 0x80000000, v19
	s_delay_alu instid0(VALU_DEP_1)
	v_or3_b32 v19, v35, v19, v36
.LBB444_994:                            ;   in Loop: Header=BB444_13 Depth=1
	s_or_b32 exec_lo, exec_lo, s23
.LBB444_995:                            ;   in Loop: Header=BB444_13 Depth=1
	s_delay_alu instid0(SALU_CYCLE_1)
	s_or_b32 exec_lo, exec_lo, s22
.LBB444_996:                            ;   in Loop: Header=BB444_13 Depth=1
	s_delay_alu instid0(SALU_CYCLE_1) | instskip(NEXT) | instid1(VALU_DEP_1)
	s_or_b32 exec_lo, exec_lo, s21
	v_mul_f32_e32 v19, v171, v19
                                        ; implicit-def: $vgpr161
	s_delay_alu instid0(VALU_DEP_1) | instskip(NEXT) | instid1(VALU_DEP_1)
	v_and_b32_e32 v35, 0x7f800000, v19
	v_cmp_ne_u32_e64 s1, 0x7f800000, v35
	s_delay_alu instid0(VALU_DEP_1) | instskip(NEXT) | instid1(SALU_CYCLE_1)
	s_and_saveexec_b32 s21, s1
	s_xor_b32 s1, exec_lo, s21
; %bb.997:                              ;   in Loop: Header=BB444_13 Depth=1
	v_bfe_u32 v35, v19, 16, 1
	s_delay_alu instid0(VALU_DEP_1)
	v_add3_u32 v161, v19, v35, 0x7fff
                                        ; implicit-def: $vgpr19
; %bb.998:                              ;   in Loop: Header=BB444_13 Depth=1
	s_and_not1_saveexec_b32 s21, s1
; %bb.999:                              ;   in Loop: Header=BB444_13 Depth=1
	v_and_b32_e32 v35, 0xffff, v19
	v_or_b32_e32 v36, 0x10000, v19
	s_delay_alu instid0(VALU_DEP_2) | instskip(NEXT) | instid1(VALU_DEP_1)
	v_cmp_eq_u32_e64 s1, 0, v35
	v_cndmask_b32_e64 v161, v36, v19, s1
; %bb.1000:                             ;   in Loop: Header=BB444_13 Depth=1
	s_or_b32 exec_lo, exec_lo, s21
	v_lshrrev_b32_e32 v162, 16, v33
	v_mov_b32_e32 v19, 0
	s_mov_b32 s21, exec_lo
	s_delay_alu instid0(VALU_DEP_2) | instskip(NEXT) | instid1(VALU_DEP_1)
	v_and_b32_e32 v35, 0xff, v162
	v_cmpx_ne_u16_e32 0, v35
	s_cbranch_execz .LBB444_1008
; %bb.1001:                             ;   in Loop: Header=BB444_13 Depth=1
	v_bfrev_b32_e32 v19, 1
	s_mov_b32 s22, exec_lo
	v_cmpx_ne_u16_e32 0x80, v35
	s_cbranch_execz .LBB444_1007
; %bb.1002:                             ;   in Loop: Header=BB444_13 Depth=1
	v_bfe_u32 v35, v33, 16, 7
	v_mov_b32_e32 v19, 0x7f800001
	s_mov_b32 s23, exec_lo
	s_delay_alu instid0(VALU_DEP_2)
	v_cmpx_ne_u32_e32 0x7f, v35
	s_cbranch_execz .LBB444_1006
; %bb.1003:                             ;   in Loop: Header=BB444_13 Depth=1
	v_and_b32_e32 v19, 7, v162
	v_lshrrev_b32_e32 v163, 3, v35
	v_cmp_gt_u32_e64 s1, 8, v35
	s_delay_alu instid0(VALU_DEP_3) | instskip(NEXT) | instid1(VALU_DEP_2)
	v_dual_mov_b32 v36, v20 :: v_dual_mov_b32 v35, v19
	s_and_saveexec_b32 s24, s1
; %bb.1004:                             ;   in Loop: Header=BB444_13 Depth=1
	v_clz_i32_u32_e32 v35, v19
	s_delay_alu instid0(VALU_DEP_1) | instskip(NEXT) | instid1(VALU_DEP_1)
	v_min_u32_e32 v163, 32, v35
	v_subrev_nc_u32_e32 v35, 28, v163
	v_sub_nc_u32_e32 v163, 29, v163
	s_delay_alu instid0(VALU_DEP_2) | instskip(NEXT) | instid1(VALU_DEP_1)
	v_lshlrev_b64 v[35:36], v35, v[19:20]
	v_and_b32_e32 v35, 7, v35
; %bb.1005:                             ;   in Loop: Header=BB444_13 Depth=1
	s_or_b32 exec_lo, exec_lo, s24
	v_lshlrev_b32_e32 v19, 24, v162
	s_delay_alu instid0(VALU_DEP_2) | instskip(SKIP_1) | instid1(VALU_DEP_3)
	v_lshlrev_b32_e32 v35, 20, v35
	v_lshl_add_u32 v36, v163, 23, 0x3c000000
	v_and_b32_e32 v19, 0x80000000, v19
	s_delay_alu instid0(VALU_DEP_1)
	v_or3_b32 v19, v35, v19, v36
.LBB444_1006:                           ;   in Loop: Header=BB444_13 Depth=1
	s_or_b32 exec_lo, exec_lo, s23
.LBB444_1007:                           ;   in Loop: Header=BB444_13 Depth=1
	s_delay_alu instid0(SALU_CYCLE_1)
	s_or_b32 exec_lo, exec_lo, s22
.LBB444_1008:                           ;   in Loop: Header=BB444_13 Depth=1
	s_delay_alu instid0(SALU_CYCLE_1) | instskip(NEXT) | instid1(VALU_DEP_1)
	s_or_b32 exec_lo, exec_lo, s21
	v_mul_f32_e32 v19, v171, v19
                                        ; implicit-def: $vgpr162
	s_delay_alu instid0(VALU_DEP_1) | instskip(NEXT) | instid1(VALU_DEP_1)
	v_and_b32_e32 v35, 0x7f800000, v19
	v_cmp_ne_u32_e64 s1, 0x7f800000, v35
	s_delay_alu instid0(VALU_DEP_1) | instskip(NEXT) | instid1(SALU_CYCLE_1)
	s_and_saveexec_b32 s21, s1
	s_xor_b32 s1, exec_lo, s21
; %bb.1009:                             ;   in Loop: Header=BB444_13 Depth=1
	v_bfe_u32 v35, v19, 16, 1
	s_delay_alu instid0(VALU_DEP_1)
	v_add3_u32 v162, v19, v35, 0x7fff
                                        ; implicit-def: $vgpr19
; %bb.1010:                             ;   in Loop: Header=BB444_13 Depth=1
	s_and_not1_saveexec_b32 s21, s1
; %bb.1011:                             ;   in Loop: Header=BB444_13 Depth=1
	v_and_b32_e32 v35, 0xffff, v19
	v_or_b32_e32 v36, 0x10000, v19
	s_delay_alu instid0(VALU_DEP_2) | instskip(NEXT) | instid1(VALU_DEP_1)
	v_cmp_eq_u32_e64 s1, 0, v35
	v_cndmask_b32_e64 v162, v36, v19, s1
; %bb.1012:                             ;   in Loop: Header=BB444_13 Depth=1
	s_or_b32 exec_lo, exec_lo, s21
	v_mov_b32_e32 v19, 0
	s_mov_b32 s21, exec_lo
	v_cmpx_lt_u32_e32 0xffffff, v33
	s_cbranch_execz .LBB444_1020
; %bb.1013:                             ;   in Loop: Header=BB444_13 Depth=1
	v_lshrrev_b32_e32 v163, 24, v33
	v_bfrev_b32_e32 v19, 1
	s_mov_b32 s22, exec_lo
	s_delay_alu instid0(VALU_DEP_2)
	v_cmpx_ne_u32_e32 0x80, v163
	s_cbranch_execz .LBB444_1019
; %bb.1014:                             ;   in Loop: Header=BB444_13 Depth=1
	v_bfe_u32 v35, v33, 24, 7
	v_mov_b32_e32 v19, 0x7f800001
	s_mov_b32 s23, exec_lo
	s_delay_alu instid0(VALU_DEP_2)
	v_cmpx_ne_u32_e32 0x7f, v35
	s_cbranch_execz .LBB444_1018
; %bb.1015:                             ;   in Loop: Header=BB444_13 Depth=1
	v_and_b32_e32 v19, 7, v163
	v_lshrrev_b32_e32 v164, 3, v35
	v_cmp_gt_u32_e64 s1, 8, v35
	s_delay_alu instid0(VALU_DEP_3) | instskip(NEXT) | instid1(VALU_DEP_2)
	v_dual_mov_b32 v36, v20 :: v_dual_mov_b32 v35, v19
	s_and_saveexec_b32 s24, s1
; %bb.1016:                             ;   in Loop: Header=BB444_13 Depth=1
	v_clz_i32_u32_e32 v35, v19
	s_delay_alu instid0(VALU_DEP_1) | instskip(NEXT) | instid1(VALU_DEP_1)
	v_min_u32_e32 v164, 32, v35
	v_subrev_nc_u32_e32 v35, 28, v164
	v_sub_nc_u32_e32 v164, 29, v164
	s_delay_alu instid0(VALU_DEP_2) | instskip(NEXT) | instid1(VALU_DEP_1)
	v_lshlrev_b64 v[35:36], v35, v[19:20]
	v_and_b32_e32 v35, 7, v35
; %bb.1017:                             ;   in Loop: Header=BB444_13 Depth=1
	s_or_b32 exec_lo, exec_lo, s24
	v_lshlrev_b32_e32 v19, 24, v163
	s_delay_alu instid0(VALU_DEP_2) | instskip(SKIP_1) | instid1(VALU_DEP_3)
	v_lshlrev_b32_e32 v35, 20, v35
	v_lshl_add_u32 v36, v164, 23, 0x3c000000
	v_and_b32_e32 v19, 0x80000000, v19
	s_delay_alu instid0(VALU_DEP_1)
	v_or3_b32 v19, v35, v19, v36
.LBB444_1018:                           ;   in Loop: Header=BB444_13 Depth=1
	s_or_b32 exec_lo, exec_lo, s23
.LBB444_1019:                           ;   in Loop: Header=BB444_13 Depth=1
	s_delay_alu instid0(SALU_CYCLE_1)
	s_or_b32 exec_lo, exec_lo, s22
.LBB444_1020:                           ;   in Loop: Header=BB444_13 Depth=1
	s_delay_alu instid0(SALU_CYCLE_1) | instskip(NEXT) | instid1(VALU_DEP_1)
	s_or_b32 exec_lo, exec_lo, s21
	v_mul_f32_e32 v19, v171, v19
                                        ; implicit-def: $vgpr163
	s_delay_alu instid0(VALU_DEP_1) | instskip(NEXT) | instid1(VALU_DEP_1)
	v_and_b32_e32 v35, 0x7f800000, v19
	v_cmp_ne_u32_e64 s1, 0x7f800000, v35
	s_delay_alu instid0(VALU_DEP_1) | instskip(NEXT) | instid1(SALU_CYCLE_1)
	s_and_saveexec_b32 s21, s1
	s_xor_b32 s1, exec_lo, s21
; %bb.1021:                             ;   in Loop: Header=BB444_13 Depth=1
	v_bfe_u32 v35, v19, 16, 1
	s_delay_alu instid0(VALU_DEP_1)
	v_add3_u32 v163, v19, v35, 0x7fff
                                        ; implicit-def: $vgpr19
; %bb.1022:                             ;   in Loop: Header=BB444_13 Depth=1
	s_and_not1_saveexec_b32 s21, s1
; %bb.1023:                             ;   in Loop: Header=BB444_13 Depth=1
	v_and_b32_e32 v35, 0xffff, v19
	v_or_b32_e32 v36, 0x10000, v19
	s_delay_alu instid0(VALU_DEP_2) | instskip(NEXT) | instid1(VALU_DEP_1)
	v_cmp_eq_u32_e64 s1, 0, v35
	v_cndmask_b32_e64 v163, v36, v19, s1
; %bb.1024:                             ;   in Loop: Header=BB444_13 Depth=1
	s_or_b32 exec_lo, exec_lo, s21
	v_dual_mov_b32 v19, v34 :: v_dual_and_b32 v36, 0xff, v34
	v_mov_b32_e32 v35, 0
	s_mov_b32 s21, exec_lo
	s_delay_alu instid0(VALU_DEP_2)
	v_cmpx_ne_u16_e32 0, v36
	s_cbranch_execz .LBB444_1032
; %bb.1025:                             ;   in Loop: Header=BB444_13 Depth=1
	v_bfrev_b32_e32 v35, 1
	s_mov_b32 s22, exec_lo
	v_cmpx_ne_u16_e32 0x80, v36
	s_cbranch_execz .LBB444_1031
; %bb.1026:                             ;   in Loop: Header=BB444_13 Depth=1
	v_and_b32_e32 v36, 0x7f, v34
	v_mov_b32_e32 v35, 0x7f800001
	s_mov_b32 s23, exec_lo
	s_delay_alu instid0(VALU_DEP_2)
	v_cmpx_ne_u32_e32 0x7f, v36
	s_cbranch_execz .LBB444_1030
; %bb.1027:                             ;   in Loop: Header=BB444_13 Depth=1
	v_lshrrev_b32_e32 v164, 3, v36
	v_cmp_gt_u32_e64 s1, 8, v36
	v_dual_mov_b32 v36, v20 :: v_dual_mov_b32 v35, v19
	s_delay_alu instid0(VALU_DEP_2)
	s_and_saveexec_b32 s24, s1
; %bb.1028:                             ;   in Loop: Header=BB444_13 Depth=1
	v_and_b32_e32 v35, 7, v34
	s_delay_alu instid0(VALU_DEP_1) | instskip(NEXT) | instid1(VALU_DEP_1)
	v_clz_i32_u32_e32 v35, v35
	v_min_u32_e32 v164, 32, v35
	s_delay_alu instid0(VALU_DEP_1) | instskip(SKIP_1) | instid1(VALU_DEP_2)
	v_subrev_nc_u32_e32 v35, 28, v164
	v_sub_nc_u32_e32 v164, 29, v164
	v_lshlrev_b64 v[35:36], v35, v[19:20]
; %bb.1029:                             ;   in Loop: Header=BB444_13 Depth=1
	s_or_b32 exec_lo, exec_lo, s24
	s_delay_alu instid0(VALU_DEP_1) | instskip(SKIP_2) | instid1(VALU_DEP_3)
	v_lshlrev_b32_e32 v35, 20, v35
	v_lshlrev_b32_e32 v36, 24, v19
	v_lshl_add_u32 v164, v164, 23, 0x3c000000
	v_and_b32_e32 v35, 0x700000, v35
	s_delay_alu instid0(VALU_DEP_3) | instskip(NEXT) | instid1(VALU_DEP_1)
	v_and_b32_e32 v36, 0x80000000, v36
	v_or3_b32 v35, v35, v36, v164
.LBB444_1030:                           ;   in Loop: Header=BB444_13 Depth=1
	s_or_b32 exec_lo, exec_lo, s23
.LBB444_1031:                           ;   in Loop: Header=BB444_13 Depth=1
	s_delay_alu instid0(SALU_CYCLE_1)
	s_or_b32 exec_lo, exec_lo, s22
.LBB444_1032:                           ;   in Loop: Header=BB444_13 Depth=1
	s_delay_alu instid0(SALU_CYCLE_1) | instskip(NEXT) | instid1(VALU_DEP_1)
	s_or_b32 exec_lo, exec_lo, s21
	v_mul_f32_e32 v35, v171, v35
                                        ; implicit-def: $vgpr164
	s_delay_alu instid0(VALU_DEP_1) | instskip(NEXT) | instid1(VALU_DEP_1)
	v_and_b32_e32 v36, 0x7f800000, v35
	v_cmp_ne_u32_e64 s1, 0x7f800000, v36
	s_delay_alu instid0(VALU_DEP_1) | instskip(NEXT) | instid1(SALU_CYCLE_1)
	s_and_saveexec_b32 s21, s1
	s_xor_b32 s1, exec_lo, s21
; %bb.1033:                             ;   in Loop: Header=BB444_13 Depth=1
	v_bfe_u32 v36, v35, 16, 1
	s_delay_alu instid0(VALU_DEP_1)
	v_add3_u32 v164, v35, v36, 0x7fff
                                        ; implicit-def: $vgpr35
; %bb.1034:                             ;   in Loop: Header=BB444_13 Depth=1
	s_and_not1_saveexec_b32 s21, s1
; %bb.1035:                             ;   in Loop: Header=BB444_13 Depth=1
	v_and_b32_e32 v36, 0xffff, v35
	v_or_b32_e32 v164, 0x10000, v35
	s_delay_alu instid0(VALU_DEP_2) | instskip(NEXT) | instid1(VALU_DEP_1)
	v_cmp_eq_u32_e64 s1, 0, v36
	v_cndmask_b32_e64 v164, v164, v35, s1
; %bb.1036:                             ;   in Loop: Header=BB444_13 Depth=1
	s_or_b32 exec_lo, exec_lo, s21
	v_lshrrev_b16 v36, 8, v19
	v_mov_b32_e32 v35, 0
	s_mov_b32 s21, exec_lo
	s_delay_alu instid0(VALU_DEP_2)
	v_cmpx_ne_u16_e32 0, v36
	s_cbranch_execz .LBB444_1044
; %bb.1037:                             ;   in Loop: Header=BB444_13 Depth=1
	v_bfrev_b32_e32 v35, 1
	s_mov_b32 s22, exec_lo
	v_cmpx_ne_u16_e32 0x80, v36
	s_cbranch_execz .LBB444_1043
; %bb.1038:                             ;   in Loop: Header=BB444_13 Depth=1
	v_and_b32_e32 v36, 0xffff, v36
	v_mov_b32_e32 v35, 0x7f800001
	s_mov_b32 s23, exec_lo
	s_delay_alu instid0(VALU_DEP_2) | instskip(NEXT) | instid1(VALU_DEP_1)
	v_and_b32_e32 v166, 0x7f, v36
	v_cmpx_ne_u32_e32 0x7f, v166
	s_cbranch_execz .LBB444_1042
; %bb.1039:                             ;   in Loop: Header=BB444_13 Depth=1
	v_dual_mov_b32 v36, v20 :: v_dual_and_b32 v35, 7, v36
	v_lshrrev_b32_e32 v165, 3, v166
	s_mov_b32 s24, exec_lo
	v_cmpx_gt_u32_e32 8, v166
; %bb.1040:                             ;   in Loop: Header=BB444_13 Depth=1
	s_delay_alu instid0(VALU_DEP_3) | instskip(NEXT) | instid1(VALU_DEP_1)
	v_clz_i32_u32_e32 v165, v35
	v_min_u32_e32 v165, 32, v165
	s_delay_alu instid0(VALU_DEP_1) | instskip(SKIP_1) | instid1(VALU_DEP_2)
	v_subrev_nc_u32_e32 v166, 28, v165
	v_sub_nc_u32_e32 v165, 29, v165
	v_lshlrev_b64 v[35:36], v166, v[35:36]
	s_delay_alu instid0(VALU_DEP_1)
	v_and_b32_e32 v35, 7, v35
; %bb.1041:                             ;   in Loop: Header=BB444_13 Depth=1
	s_or_b32 exec_lo, exec_lo, s24
	v_lshlrev_b32_e32 v19, 16, v19
	s_delay_alu instid0(VALU_DEP_2) | instskip(SKIP_1) | instid1(VALU_DEP_3)
	v_lshlrev_b32_e32 v35, 20, v35
	v_lshl_add_u32 v36, v165, 23, 0x3c000000
	v_and_b32_e32 v19, 0x80000000, v19
	s_delay_alu instid0(VALU_DEP_1)
	v_or3_b32 v35, v35, v19, v36
.LBB444_1042:                           ;   in Loop: Header=BB444_13 Depth=1
	s_or_b32 exec_lo, exec_lo, s23
.LBB444_1043:                           ;   in Loop: Header=BB444_13 Depth=1
	s_delay_alu instid0(SALU_CYCLE_1)
	s_or_b32 exec_lo, exec_lo, s22
.LBB444_1044:                           ;   in Loop: Header=BB444_13 Depth=1
	s_delay_alu instid0(SALU_CYCLE_1) | instskip(NEXT) | instid1(VALU_DEP_1)
	s_or_b32 exec_lo, exec_lo, s21
	v_mul_f32_e32 v19, v171, v35
                                        ; implicit-def: $vgpr165
	s_delay_alu instid0(VALU_DEP_1) | instskip(NEXT) | instid1(VALU_DEP_1)
	v_and_b32_e32 v35, 0x7f800000, v19
	v_cmp_ne_u32_e64 s1, 0x7f800000, v35
	s_delay_alu instid0(VALU_DEP_1) | instskip(NEXT) | instid1(SALU_CYCLE_1)
	s_and_saveexec_b32 s21, s1
	s_xor_b32 s1, exec_lo, s21
; %bb.1045:                             ;   in Loop: Header=BB444_13 Depth=1
	v_bfe_u32 v35, v19, 16, 1
	s_delay_alu instid0(VALU_DEP_1)
	v_add3_u32 v165, v19, v35, 0x7fff
                                        ; implicit-def: $vgpr19
; %bb.1046:                             ;   in Loop: Header=BB444_13 Depth=1
	s_and_not1_saveexec_b32 s21, s1
; %bb.1047:                             ;   in Loop: Header=BB444_13 Depth=1
	v_and_b32_e32 v35, 0xffff, v19
	v_or_b32_e32 v36, 0x10000, v19
	s_delay_alu instid0(VALU_DEP_2) | instskip(NEXT) | instid1(VALU_DEP_1)
	v_cmp_eq_u32_e64 s1, 0, v35
	v_cndmask_b32_e64 v165, v36, v19, s1
; %bb.1048:                             ;   in Loop: Header=BB444_13 Depth=1
	s_or_b32 exec_lo, exec_lo, s21
	v_lshrrev_b32_e32 v166, 16, v34
	v_mov_b32_e32 v19, 0
	s_mov_b32 s21, exec_lo
	s_delay_alu instid0(VALU_DEP_2) | instskip(NEXT) | instid1(VALU_DEP_1)
	v_and_b32_e32 v35, 0xff, v166
	v_cmpx_ne_u16_e32 0, v35
	s_cbranch_execz .LBB444_1056
; %bb.1049:                             ;   in Loop: Header=BB444_13 Depth=1
	v_bfrev_b32_e32 v19, 1
	s_mov_b32 s22, exec_lo
	v_cmpx_ne_u16_e32 0x80, v35
	s_cbranch_execz .LBB444_1055
; %bb.1050:                             ;   in Loop: Header=BB444_13 Depth=1
	v_bfe_u32 v35, v34, 16, 7
	v_mov_b32_e32 v19, 0x7f800001
	s_mov_b32 s23, exec_lo
	s_delay_alu instid0(VALU_DEP_2)
	v_cmpx_ne_u32_e32 0x7f, v35
	s_cbranch_execz .LBB444_1054
; %bb.1051:                             ;   in Loop: Header=BB444_13 Depth=1
	v_and_b32_e32 v19, 7, v166
	v_lshrrev_b32_e32 v167, 3, v35
	v_cmp_gt_u32_e64 s1, 8, v35
	s_delay_alu instid0(VALU_DEP_3) | instskip(NEXT) | instid1(VALU_DEP_2)
	v_dual_mov_b32 v36, v20 :: v_dual_mov_b32 v35, v19
	s_and_saveexec_b32 s24, s1
; %bb.1052:                             ;   in Loop: Header=BB444_13 Depth=1
	v_clz_i32_u32_e32 v35, v19
	s_delay_alu instid0(VALU_DEP_1) | instskip(NEXT) | instid1(VALU_DEP_1)
	v_min_u32_e32 v167, 32, v35
	v_subrev_nc_u32_e32 v35, 28, v167
	v_sub_nc_u32_e32 v167, 29, v167
	s_delay_alu instid0(VALU_DEP_2) | instskip(NEXT) | instid1(VALU_DEP_1)
	v_lshlrev_b64 v[35:36], v35, v[19:20]
	v_and_b32_e32 v35, 7, v35
; %bb.1053:                             ;   in Loop: Header=BB444_13 Depth=1
	s_or_b32 exec_lo, exec_lo, s24
	v_lshlrev_b32_e32 v19, 24, v166
	s_delay_alu instid0(VALU_DEP_2) | instskip(SKIP_1) | instid1(VALU_DEP_3)
	v_lshlrev_b32_e32 v35, 20, v35
	v_lshl_add_u32 v36, v167, 23, 0x3c000000
	v_and_b32_e32 v19, 0x80000000, v19
	s_delay_alu instid0(VALU_DEP_1)
	v_or3_b32 v19, v35, v19, v36
.LBB444_1054:                           ;   in Loop: Header=BB444_13 Depth=1
	s_or_b32 exec_lo, exec_lo, s23
.LBB444_1055:                           ;   in Loop: Header=BB444_13 Depth=1
	s_delay_alu instid0(SALU_CYCLE_1)
	s_or_b32 exec_lo, exec_lo, s22
.LBB444_1056:                           ;   in Loop: Header=BB444_13 Depth=1
	s_delay_alu instid0(SALU_CYCLE_1) | instskip(NEXT) | instid1(VALU_DEP_1)
	s_or_b32 exec_lo, exec_lo, s21
	v_mul_f32_e32 v19, v171, v19
                                        ; implicit-def: $vgpr166
	s_delay_alu instid0(VALU_DEP_1) | instskip(NEXT) | instid1(VALU_DEP_1)
	v_and_b32_e32 v35, 0x7f800000, v19
	v_cmp_ne_u32_e64 s1, 0x7f800000, v35
	s_delay_alu instid0(VALU_DEP_1) | instskip(NEXT) | instid1(SALU_CYCLE_1)
	s_and_saveexec_b32 s21, s1
	s_xor_b32 s1, exec_lo, s21
; %bb.1057:                             ;   in Loop: Header=BB444_13 Depth=1
	v_bfe_u32 v35, v19, 16, 1
	s_delay_alu instid0(VALU_DEP_1)
	v_add3_u32 v166, v19, v35, 0x7fff
                                        ; implicit-def: $vgpr19
; %bb.1058:                             ;   in Loop: Header=BB444_13 Depth=1
	s_and_not1_saveexec_b32 s21, s1
; %bb.1059:                             ;   in Loop: Header=BB444_13 Depth=1
	v_and_b32_e32 v35, 0xffff, v19
	v_or_b32_e32 v36, 0x10000, v19
	s_delay_alu instid0(VALU_DEP_2) | instskip(NEXT) | instid1(VALU_DEP_1)
	v_cmp_eq_u32_e64 s1, 0, v35
	v_cndmask_b32_e64 v166, v36, v19, s1
; %bb.1060:                             ;   in Loop: Header=BB444_13 Depth=1
	s_or_b32 exec_lo, exec_lo, s21
	v_mov_b32_e32 v19, 0
	s_mov_b32 s21, exec_lo
	v_cmpx_lt_u64_e64 s[16:17], v[33:34]
	s_cbranch_execz .LBB444_1068
; %bb.1061:                             ;   in Loop: Header=BB444_13 Depth=1
	v_lshrrev_b32_e32 v35, 24, v34
	v_bfrev_b32_e32 v19, 1
	s_mov_b32 s22, exec_lo
	s_delay_alu instid0(VALU_DEP_2)
	v_cmpx_ne_u32_e32 0x80, v35
	s_cbranch_execz .LBB444_1067
; %bb.1062:                             ;   in Loop: Header=BB444_13 Depth=1
	v_bfe_u32 v33, v34, 24, 7
	v_mov_b32_e32 v19, 0x7f800001
	s_mov_b32 s23, exec_lo
	s_delay_alu instid0(VALU_DEP_2)
	v_cmpx_ne_u32_e32 0x7f, v33
	s_cbranch_execz .LBB444_1066
; %bb.1063:                             ;   in Loop: Header=BB444_13 Depth=1
	v_and_b32_e32 v19, 7, v35
	v_lshrrev_b32_e32 v36, 3, v33
	v_cmp_gt_u32_e64 s1, 8, v33
	s_delay_alu instid0(VALU_DEP_3) | instskip(NEXT) | instid1(VALU_DEP_2)
	v_dual_mov_b32 v34, v20 :: v_dual_mov_b32 v33, v19
	s_and_saveexec_b32 s24, s1
; %bb.1064:                             ;   in Loop: Header=BB444_13 Depth=1
	v_clz_i32_u32_e32 v33, v19
	s_delay_alu instid0(VALU_DEP_1) | instskip(NEXT) | instid1(VALU_DEP_1)
	v_min_u32_e32 v36, 32, v33
	v_subrev_nc_u32_e32 v33, 28, v36
	v_sub_nc_u32_e32 v36, 29, v36
	s_delay_alu instid0(VALU_DEP_2) | instskip(NEXT) | instid1(VALU_DEP_1)
	v_lshlrev_b64 v[33:34], v33, v[19:20]
	v_and_b32_e32 v33, 7, v33
; %bb.1065:                             ;   in Loop: Header=BB444_13 Depth=1
	s_or_b32 exec_lo, exec_lo, s24
	v_lshlrev_b32_e32 v19, 24, v35
	s_delay_alu instid0(VALU_DEP_2) | instskip(SKIP_1) | instid1(VALU_DEP_3)
	v_lshlrev_b32_e32 v33, 20, v33
	v_lshl_add_u32 v34, v36, 23, 0x3c000000
	v_and_b32_e32 v19, 0x80000000, v19
	s_delay_alu instid0(VALU_DEP_1)
	v_or3_b32 v19, v33, v19, v34
.LBB444_1066:                           ;   in Loop: Header=BB444_13 Depth=1
	s_or_b32 exec_lo, exec_lo, s23
.LBB444_1067:                           ;   in Loop: Header=BB444_13 Depth=1
	s_delay_alu instid0(SALU_CYCLE_1)
	s_or_b32 exec_lo, exec_lo, s22
.LBB444_1068:                           ;   in Loop: Header=BB444_13 Depth=1
	s_delay_alu instid0(SALU_CYCLE_1) | instskip(NEXT) | instid1(VALU_DEP_1)
	s_or_b32 exec_lo, exec_lo, s21
	v_mul_f32_e32 v19, v171, v19
                                        ; implicit-def: $vgpr167
	s_delay_alu instid0(VALU_DEP_1) | instskip(NEXT) | instid1(VALU_DEP_1)
	v_and_b32_e32 v33, 0x7f800000, v19
	v_cmp_ne_u32_e64 s1, 0x7f800000, v33
	s_delay_alu instid0(VALU_DEP_1) | instskip(NEXT) | instid1(SALU_CYCLE_1)
	s_and_saveexec_b32 s21, s1
	s_xor_b32 s1, exec_lo, s21
; %bb.1069:                             ;   in Loop: Header=BB444_13 Depth=1
	v_bfe_u32 v33, v19, 16, 1
	s_delay_alu instid0(VALU_DEP_1)
	v_add3_u32 v167, v19, v33, 0x7fff
                                        ; implicit-def: $vgpr19
; %bb.1070:                             ;   in Loop: Header=BB444_13 Depth=1
	s_and_not1_saveexec_b32 s21, s1
; %bb.1071:                             ;   in Loop: Header=BB444_13 Depth=1
	v_and_b32_e32 v33, 0xffff, v19
	v_or_b32_e32 v34, 0x10000, v19
	s_delay_alu instid0(VALU_DEP_2) | instskip(NEXT) | instid1(VALU_DEP_1)
	v_cmp_eq_u32_e64 s1, 0, v33
	v_cndmask_b32_e64 v167, v34, v19, s1
; %bb.1072:                             ;   in Loop: Header=BB444_13 Depth=1
	s_or_b32 exec_lo, exec_lo, s21
	flat_load_b64 v[33:34], v[31:32] offset:2568
	v_mov_b32_e32 v19, 0
	s_mov_b32 s21, exec_lo
	s_waitcnt vmcnt(0) lgkmcnt(0)
	v_and_b32_e32 v35, 0xff, v33
	s_delay_alu instid0(VALU_DEP_1)
	v_cmpx_ne_u16_e32 0, v35
	s_cbranch_execz .LBB444_1080
; %bb.1073:                             ;   in Loop: Header=BB444_13 Depth=1
	v_bfrev_b32_e32 v19, 1
	s_mov_b32 s22, exec_lo
	v_cmpx_ne_u16_e32 0x80, v35
	s_cbranch_execz .LBB444_1079
; %bb.1074:                             ;   in Loop: Header=BB444_13 Depth=1
	v_and_b32_e32 v35, 0x7f, v33
	v_mov_b32_e32 v19, 0x7f800001
	s_mov_b32 s23, exec_lo
	s_delay_alu instid0(VALU_DEP_2)
	v_cmpx_ne_u32_e32 0x7f, v35
	s_cbranch_execz .LBB444_1078
; %bb.1075:                             ;   in Loop: Header=BB444_13 Depth=1
	v_lshrrev_b32_e32 v19, 3, v35
	v_cmp_gt_u32_e64 s1, 8, v35
	v_dual_mov_b32 v36, v34 :: v_dual_mov_b32 v35, v33
	s_delay_alu instid0(VALU_DEP_2)
	s_and_saveexec_b32 s24, s1
; %bb.1076:                             ;   in Loop: Header=BB444_13 Depth=1
	v_and_b32_e32 v19, 7, v33
	s_delay_alu instid0(VALU_DEP_1) | instskip(NEXT) | instid1(VALU_DEP_1)
	v_clz_i32_u32_e32 v19, v19
	v_min_u32_e32 v19, 32, v19
	s_delay_alu instid0(VALU_DEP_1) | instskip(SKIP_1) | instid1(VALU_DEP_2)
	v_subrev_nc_u32_e32 v35, 28, v19
	v_sub_nc_u32_e32 v19, 29, v19
	v_lshlrev_b64 v[35:36], v35, v[33:34]
; %bb.1077:                             ;   in Loop: Header=BB444_13 Depth=1
	s_or_b32 exec_lo, exec_lo, s24
	s_delay_alu instid0(VALU_DEP_1) | instskip(SKIP_2) | instid1(VALU_DEP_3)
	v_lshlrev_b32_e32 v35, 20, v35
	v_lshlrev_b32_e32 v36, 24, v33
	v_lshl_add_u32 v19, v19, 23, 0x3c000000
	v_and_b32_e32 v35, 0x700000, v35
	s_delay_alu instid0(VALU_DEP_3) | instskip(NEXT) | instid1(VALU_DEP_1)
	v_and_b32_e32 v36, 0x80000000, v36
	v_or3_b32 v19, v35, v36, v19
.LBB444_1078:                           ;   in Loop: Header=BB444_13 Depth=1
	s_or_b32 exec_lo, exec_lo, s23
.LBB444_1079:                           ;   in Loop: Header=BB444_13 Depth=1
	s_delay_alu instid0(SALU_CYCLE_1)
	s_or_b32 exec_lo, exec_lo, s22
.LBB444_1080:                           ;   in Loop: Header=BB444_13 Depth=1
	s_delay_alu instid0(SALU_CYCLE_1) | instskip(NEXT) | instid1(VALU_DEP_1)
	s_or_b32 exec_lo, exec_lo, s21
	v_mul_f32_e32 v19, v171, v19
                                        ; implicit-def: $vgpr176
	s_delay_alu instid0(VALU_DEP_1) | instskip(NEXT) | instid1(VALU_DEP_1)
	v_and_b32_e32 v35, 0x7f800000, v19
	v_cmp_ne_u32_e64 s1, 0x7f800000, v35
	s_delay_alu instid0(VALU_DEP_1) | instskip(NEXT) | instid1(SALU_CYCLE_1)
	s_and_saveexec_b32 s21, s1
	s_xor_b32 s1, exec_lo, s21
; %bb.1081:                             ;   in Loop: Header=BB444_13 Depth=1
	v_bfe_u32 v35, v19, 16, 1
	s_delay_alu instid0(VALU_DEP_1)
	v_add3_u32 v176, v19, v35, 0x7fff
                                        ; implicit-def: $vgpr19
; %bb.1082:                             ;   in Loop: Header=BB444_13 Depth=1
	s_and_not1_saveexec_b32 s21, s1
; %bb.1083:                             ;   in Loop: Header=BB444_13 Depth=1
	v_and_b32_e32 v35, 0xffff, v19
	v_or_b32_e32 v36, 0x10000, v19
	s_delay_alu instid0(VALU_DEP_2) | instskip(NEXT) | instid1(VALU_DEP_1)
	v_cmp_eq_u32_e64 s1, 0, v35
	v_cndmask_b32_e64 v176, v36, v19, s1
; %bb.1084:                             ;   in Loop: Header=BB444_13 Depth=1
	s_or_b32 exec_lo, exec_lo, s21
	v_lshrrev_b16 v35, 8, v33
	v_mov_b32_e32 v19, 0
	s_mov_b32 s21, exec_lo
	s_delay_alu instid0(VALU_DEP_2)
	v_cmpx_ne_u16_e32 0, v35
	s_cbranch_execz .LBB444_1092
; %bb.1085:                             ;   in Loop: Header=BB444_13 Depth=1
	v_bfrev_b32_e32 v19, 1
	s_mov_b32 s22, exec_lo
	v_cmpx_ne_u16_e32 0x80, v35
	s_cbranch_execz .LBB444_1091
; %bb.1086:                             ;   in Loop: Header=BB444_13 Depth=1
	v_and_b32_e32 v36, 0xffff, v35
	v_mov_b32_e32 v19, 0x7f800001
	s_mov_b32 s23, exec_lo
	s_delay_alu instid0(VALU_DEP_2) | instskip(NEXT) | instid1(VALU_DEP_1)
	v_and_b32_e32 v35, 0x7f, v36
	v_cmpx_ne_u32_e32 0x7f, v35
	s_cbranch_execz .LBB444_1090
; %bb.1087:                             ;   in Loop: Header=BB444_13 Depth=1
	v_and_b32_e32 v19, 7, v36
	v_lshrrev_b32_e32 v177, 3, v35
	v_cmp_gt_u32_e64 s1, 8, v35
	s_delay_alu instid0(VALU_DEP_3) | instskip(NEXT) | instid1(VALU_DEP_2)
	v_dual_mov_b32 v36, v20 :: v_dual_mov_b32 v35, v19
	s_and_saveexec_b32 s24, s1
; %bb.1088:                             ;   in Loop: Header=BB444_13 Depth=1
	v_clz_i32_u32_e32 v35, v19
	s_delay_alu instid0(VALU_DEP_1) | instskip(NEXT) | instid1(VALU_DEP_1)
	v_min_u32_e32 v177, 32, v35
	v_subrev_nc_u32_e32 v35, 28, v177
	v_sub_nc_u32_e32 v177, 29, v177
	s_delay_alu instid0(VALU_DEP_2) | instskip(NEXT) | instid1(VALU_DEP_1)
	v_lshlrev_b64 v[35:36], v35, v[19:20]
	v_and_b32_e32 v35, 7, v35
; %bb.1089:                             ;   in Loop: Header=BB444_13 Depth=1
	s_or_b32 exec_lo, exec_lo, s24
	v_lshlrev_b32_e32 v19, 16, v33
	s_delay_alu instid0(VALU_DEP_2) | instskip(SKIP_1) | instid1(VALU_DEP_3)
	v_lshlrev_b32_e32 v35, 20, v35
	v_lshl_add_u32 v36, v177, 23, 0x3c000000
	v_and_b32_e32 v19, 0x80000000, v19
	s_delay_alu instid0(VALU_DEP_1)
	v_or3_b32 v19, v35, v19, v36
.LBB444_1090:                           ;   in Loop: Header=BB444_13 Depth=1
	s_or_b32 exec_lo, exec_lo, s23
.LBB444_1091:                           ;   in Loop: Header=BB444_13 Depth=1
	s_delay_alu instid0(SALU_CYCLE_1)
	s_or_b32 exec_lo, exec_lo, s22
.LBB444_1092:                           ;   in Loop: Header=BB444_13 Depth=1
	s_delay_alu instid0(SALU_CYCLE_1) | instskip(NEXT) | instid1(VALU_DEP_1)
	s_or_b32 exec_lo, exec_lo, s21
	v_mul_f32_e32 v19, v171, v19
                                        ; implicit-def: $vgpr177
	s_delay_alu instid0(VALU_DEP_1) | instskip(NEXT) | instid1(VALU_DEP_1)
	v_and_b32_e32 v35, 0x7f800000, v19
	v_cmp_ne_u32_e64 s1, 0x7f800000, v35
	s_delay_alu instid0(VALU_DEP_1) | instskip(NEXT) | instid1(SALU_CYCLE_1)
	s_and_saveexec_b32 s21, s1
	s_xor_b32 s1, exec_lo, s21
; %bb.1093:                             ;   in Loop: Header=BB444_13 Depth=1
	v_bfe_u32 v35, v19, 16, 1
	s_delay_alu instid0(VALU_DEP_1)
	v_add3_u32 v177, v19, v35, 0x7fff
                                        ; implicit-def: $vgpr19
; %bb.1094:                             ;   in Loop: Header=BB444_13 Depth=1
	s_and_not1_saveexec_b32 s21, s1
; %bb.1095:                             ;   in Loop: Header=BB444_13 Depth=1
	v_and_b32_e32 v35, 0xffff, v19
	v_or_b32_e32 v36, 0x10000, v19
	s_delay_alu instid0(VALU_DEP_2) | instskip(NEXT) | instid1(VALU_DEP_1)
	v_cmp_eq_u32_e64 s1, 0, v35
	v_cndmask_b32_e64 v177, v36, v19, s1
; %bb.1096:                             ;   in Loop: Header=BB444_13 Depth=1
	s_or_b32 exec_lo, exec_lo, s21
	v_lshrrev_b32_e32 v178, 16, v33
	v_mov_b32_e32 v19, 0
	s_mov_b32 s21, exec_lo
	s_delay_alu instid0(VALU_DEP_2) | instskip(NEXT) | instid1(VALU_DEP_1)
	v_and_b32_e32 v35, 0xff, v178
	v_cmpx_ne_u16_e32 0, v35
	s_cbranch_execz .LBB444_1104
; %bb.1097:                             ;   in Loop: Header=BB444_13 Depth=1
	v_bfrev_b32_e32 v19, 1
	s_mov_b32 s22, exec_lo
	v_cmpx_ne_u16_e32 0x80, v35
	s_cbranch_execz .LBB444_1103
; %bb.1098:                             ;   in Loop: Header=BB444_13 Depth=1
	v_bfe_u32 v35, v33, 16, 7
	v_mov_b32_e32 v19, 0x7f800001
	s_mov_b32 s23, exec_lo
	s_delay_alu instid0(VALU_DEP_2)
	v_cmpx_ne_u32_e32 0x7f, v35
	s_cbranch_execz .LBB444_1102
; %bb.1099:                             ;   in Loop: Header=BB444_13 Depth=1
	v_and_b32_e32 v19, 7, v178
	v_lshrrev_b32_e32 v179, 3, v35
	v_cmp_gt_u32_e64 s1, 8, v35
	s_delay_alu instid0(VALU_DEP_3) | instskip(NEXT) | instid1(VALU_DEP_2)
	v_dual_mov_b32 v36, v20 :: v_dual_mov_b32 v35, v19
	s_and_saveexec_b32 s24, s1
; %bb.1100:                             ;   in Loop: Header=BB444_13 Depth=1
	v_clz_i32_u32_e32 v35, v19
	s_delay_alu instid0(VALU_DEP_1) | instskip(NEXT) | instid1(VALU_DEP_1)
	v_min_u32_e32 v179, 32, v35
	v_subrev_nc_u32_e32 v35, 28, v179
	v_sub_nc_u32_e32 v179, 29, v179
	s_delay_alu instid0(VALU_DEP_2) | instskip(NEXT) | instid1(VALU_DEP_1)
	v_lshlrev_b64 v[35:36], v35, v[19:20]
	v_and_b32_e32 v35, 7, v35
; %bb.1101:                             ;   in Loop: Header=BB444_13 Depth=1
	s_or_b32 exec_lo, exec_lo, s24
	v_lshlrev_b32_e32 v19, 24, v178
	s_delay_alu instid0(VALU_DEP_2) | instskip(SKIP_1) | instid1(VALU_DEP_3)
	v_lshlrev_b32_e32 v35, 20, v35
	v_lshl_add_u32 v36, v179, 23, 0x3c000000
	v_and_b32_e32 v19, 0x80000000, v19
	s_delay_alu instid0(VALU_DEP_1)
	v_or3_b32 v19, v35, v19, v36
.LBB444_1102:                           ;   in Loop: Header=BB444_13 Depth=1
	s_or_b32 exec_lo, exec_lo, s23
.LBB444_1103:                           ;   in Loop: Header=BB444_13 Depth=1
	s_delay_alu instid0(SALU_CYCLE_1)
	s_or_b32 exec_lo, exec_lo, s22
.LBB444_1104:                           ;   in Loop: Header=BB444_13 Depth=1
	s_delay_alu instid0(SALU_CYCLE_1) | instskip(NEXT) | instid1(VALU_DEP_1)
	s_or_b32 exec_lo, exec_lo, s21
	v_mul_f32_e32 v19, v171, v19
                                        ; implicit-def: $vgpr178
	s_delay_alu instid0(VALU_DEP_1) | instskip(NEXT) | instid1(VALU_DEP_1)
	v_and_b32_e32 v35, 0x7f800000, v19
	v_cmp_ne_u32_e64 s1, 0x7f800000, v35
	s_delay_alu instid0(VALU_DEP_1) | instskip(NEXT) | instid1(SALU_CYCLE_1)
	s_and_saveexec_b32 s21, s1
	s_xor_b32 s1, exec_lo, s21
; %bb.1105:                             ;   in Loop: Header=BB444_13 Depth=1
	v_bfe_u32 v35, v19, 16, 1
	s_delay_alu instid0(VALU_DEP_1)
	v_add3_u32 v178, v19, v35, 0x7fff
                                        ; implicit-def: $vgpr19
; %bb.1106:                             ;   in Loop: Header=BB444_13 Depth=1
	s_and_not1_saveexec_b32 s21, s1
; %bb.1107:                             ;   in Loop: Header=BB444_13 Depth=1
	v_and_b32_e32 v35, 0xffff, v19
	v_or_b32_e32 v36, 0x10000, v19
	s_delay_alu instid0(VALU_DEP_2) | instskip(NEXT) | instid1(VALU_DEP_1)
	v_cmp_eq_u32_e64 s1, 0, v35
	v_cndmask_b32_e64 v178, v36, v19, s1
; %bb.1108:                             ;   in Loop: Header=BB444_13 Depth=1
	s_or_b32 exec_lo, exec_lo, s21
	v_mov_b32_e32 v19, 0
	s_mov_b32 s21, exec_lo
	v_cmpx_lt_u32_e32 0xffffff, v33
	s_cbranch_execz .LBB444_1116
; %bb.1109:                             ;   in Loop: Header=BB444_13 Depth=1
	v_lshrrev_b32_e32 v179, 24, v33
	v_bfrev_b32_e32 v19, 1
	s_mov_b32 s22, exec_lo
	s_delay_alu instid0(VALU_DEP_2)
	v_cmpx_ne_u32_e32 0x80, v179
	s_cbranch_execz .LBB444_1115
; %bb.1110:                             ;   in Loop: Header=BB444_13 Depth=1
	v_bfe_u32 v35, v33, 24, 7
	v_mov_b32_e32 v19, 0x7f800001
	s_mov_b32 s23, exec_lo
	s_delay_alu instid0(VALU_DEP_2)
	v_cmpx_ne_u32_e32 0x7f, v35
	s_cbranch_execz .LBB444_1114
; %bb.1111:                             ;   in Loop: Header=BB444_13 Depth=1
	v_and_b32_e32 v19, 7, v179
	v_lshrrev_b32_e32 v180, 3, v35
	v_cmp_gt_u32_e64 s1, 8, v35
	s_delay_alu instid0(VALU_DEP_3) | instskip(NEXT) | instid1(VALU_DEP_2)
	v_dual_mov_b32 v36, v20 :: v_dual_mov_b32 v35, v19
	s_and_saveexec_b32 s24, s1
; %bb.1112:                             ;   in Loop: Header=BB444_13 Depth=1
	v_clz_i32_u32_e32 v35, v19
	s_delay_alu instid0(VALU_DEP_1) | instskip(NEXT) | instid1(VALU_DEP_1)
	v_min_u32_e32 v180, 32, v35
	v_subrev_nc_u32_e32 v35, 28, v180
	v_sub_nc_u32_e32 v180, 29, v180
	s_delay_alu instid0(VALU_DEP_2) | instskip(NEXT) | instid1(VALU_DEP_1)
	v_lshlrev_b64 v[35:36], v35, v[19:20]
	v_and_b32_e32 v35, 7, v35
; %bb.1113:                             ;   in Loop: Header=BB444_13 Depth=1
	s_or_b32 exec_lo, exec_lo, s24
	v_lshlrev_b32_e32 v19, 24, v179
	s_delay_alu instid0(VALU_DEP_2) | instskip(SKIP_1) | instid1(VALU_DEP_3)
	v_lshlrev_b32_e32 v35, 20, v35
	v_lshl_add_u32 v36, v180, 23, 0x3c000000
	v_and_b32_e32 v19, 0x80000000, v19
	s_delay_alu instid0(VALU_DEP_1)
	v_or3_b32 v19, v35, v19, v36
.LBB444_1114:                           ;   in Loop: Header=BB444_13 Depth=1
	s_or_b32 exec_lo, exec_lo, s23
.LBB444_1115:                           ;   in Loop: Header=BB444_13 Depth=1
	s_delay_alu instid0(SALU_CYCLE_1)
	s_or_b32 exec_lo, exec_lo, s22
.LBB444_1116:                           ;   in Loop: Header=BB444_13 Depth=1
	s_delay_alu instid0(SALU_CYCLE_1) | instskip(NEXT) | instid1(VALU_DEP_1)
	s_or_b32 exec_lo, exec_lo, s21
	v_mul_f32_e32 v19, v171, v19
                                        ; implicit-def: $vgpr179
	s_delay_alu instid0(VALU_DEP_1) | instskip(NEXT) | instid1(VALU_DEP_1)
	v_and_b32_e32 v35, 0x7f800000, v19
	v_cmp_ne_u32_e64 s1, 0x7f800000, v35
	s_delay_alu instid0(VALU_DEP_1) | instskip(NEXT) | instid1(SALU_CYCLE_1)
	s_and_saveexec_b32 s21, s1
	s_xor_b32 s1, exec_lo, s21
; %bb.1117:                             ;   in Loop: Header=BB444_13 Depth=1
	v_bfe_u32 v35, v19, 16, 1
	s_delay_alu instid0(VALU_DEP_1)
	v_add3_u32 v179, v19, v35, 0x7fff
                                        ; implicit-def: $vgpr19
; %bb.1118:                             ;   in Loop: Header=BB444_13 Depth=1
	s_and_not1_saveexec_b32 s21, s1
; %bb.1119:                             ;   in Loop: Header=BB444_13 Depth=1
	v_and_b32_e32 v35, 0xffff, v19
	v_or_b32_e32 v36, 0x10000, v19
	s_delay_alu instid0(VALU_DEP_2) | instskip(NEXT) | instid1(VALU_DEP_1)
	v_cmp_eq_u32_e64 s1, 0, v35
	v_cndmask_b32_e64 v179, v36, v19, s1
; %bb.1120:                             ;   in Loop: Header=BB444_13 Depth=1
	s_or_b32 exec_lo, exec_lo, s21
	v_dual_mov_b32 v19, v34 :: v_dual_and_b32 v36, 0xff, v34
	v_mov_b32_e32 v35, 0
	s_mov_b32 s21, exec_lo
	s_delay_alu instid0(VALU_DEP_2)
	v_cmpx_ne_u16_e32 0, v36
	s_cbranch_execz .LBB444_1128
; %bb.1121:                             ;   in Loop: Header=BB444_13 Depth=1
	v_bfrev_b32_e32 v35, 1
	s_mov_b32 s22, exec_lo
	v_cmpx_ne_u16_e32 0x80, v36
	s_cbranch_execz .LBB444_1127
; %bb.1122:                             ;   in Loop: Header=BB444_13 Depth=1
	v_and_b32_e32 v36, 0x7f, v34
	v_mov_b32_e32 v35, 0x7f800001
	s_mov_b32 s23, exec_lo
	s_delay_alu instid0(VALU_DEP_2)
	v_cmpx_ne_u32_e32 0x7f, v36
	s_cbranch_execz .LBB444_1126
; %bb.1123:                             ;   in Loop: Header=BB444_13 Depth=1
	v_lshrrev_b32_e32 v180, 3, v36
	v_cmp_gt_u32_e64 s1, 8, v36
	v_dual_mov_b32 v36, v20 :: v_dual_mov_b32 v35, v19
	s_delay_alu instid0(VALU_DEP_2)
	s_and_saveexec_b32 s24, s1
; %bb.1124:                             ;   in Loop: Header=BB444_13 Depth=1
	v_and_b32_e32 v35, 7, v34
	s_delay_alu instid0(VALU_DEP_1) | instskip(NEXT) | instid1(VALU_DEP_1)
	v_clz_i32_u32_e32 v35, v35
	v_min_u32_e32 v180, 32, v35
	s_delay_alu instid0(VALU_DEP_1) | instskip(SKIP_1) | instid1(VALU_DEP_2)
	v_subrev_nc_u32_e32 v35, 28, v180
	v_sub_nc_u32_e32 v180, 29, v180
	v_lshlrev_b64 v[35:36], v35, v[19:20]
; %bb.1125:                             ;   in Loop: Header=BB444_13 Depth=1
	s_or_b32 exec_lo, exec_lo, s24
	s_delay_alu instid0(VALU_DEP_1) | instskip(SKIP_2) | instid1(VALU_DEP_3)
	v_lshlrev_b32_e32 v35, 20, v35
	v_lshlrev_b32_e32 v36, 24, v19
	v_lshl_add_u32 v180, v180, 23, 0x3c000000
	v_and_b32_e32 v35, 0x700000, v35
	s_delay_alu instid0(VALU_DEP_3) | instskip(NEXT) | instid1(VALU_DEP_1)
	v_and_b32_e32 v36, 0x80000000, v36
	v_or3_b32 v35, v35, v36, v180
.LBB444_1126:                           ;   in Loop: Header=BB444_13 Depth=1
	s_or_b32 exec_lo, exec_lo, s23
.LBB444_1127:                           ;   in Loop: Header=BB444_13 Depth=1
	s_delay_alu instid0(SALU_CYCLE_1)
	s_or_b32 exec_lo, exec_lo, s22
.LBB444_1128:                           ;   in Loop: Header=BB444_13 Depth=1
	s_delay_alu instid0(SALU_CYCLE_1) | instskip(NEXT) | instid1(VALU_DEP_1)
	s_or_b32 exec_lo, exec_lo, s21
	v_mul_f32_e32 v35, v171, v35
                                        ; implicit-def: $vgpr180
	s_delay_alu instid0(VALU_DEP_1) | instskip(NEXT) | instid1(VALU_DEP_1)
	v_and_b32_e32 v36, 0x7f800000, v35
	v_cmp_ne_u32_e64 s1, 0x7f800000, v36
	s_delay_alu instid0(VALU_DEP_1) | instskip(NEXT) | instid1(SALU_CYCLE_1)
	s_and_saveexec_b32 s21, s1
	s_xor_b32 s1, exec_lo, s21
; %bb.1129:                             ;   in Loop: Header=BB444_13 Depth=1
	v_bfe_u32 v36, v35, 16, 1
	s_delay_alu instid0(VALU_DEP_1)
	v_add3_u32 v180, v35, v36, 0x7fff
                                        ; implicit-def: $vgpr35
; %bb.1130:                             ;   in Loop: Header=BB444_13 Depth=1
	s_and_not1_saveexec_b32 s21, s1
; %bb.1131:                             ;   in Loop: Header=BB444_13 Depth=1
	v_and_b32_e32 v36, 0xffff, v35
	v_or_b32_e32 v180, 0x10000, v35
	s_delay_alu instid0(VALU_DEP_2) | instskip(NEXT) | instid1(VALU_DEP_1)
	v_cmp_eq_u32_e64 s1, 0, v36
	v_cndmask_b32_e64 v180, v180, v35, s1
; %bb.1132:                             ;   in Loop: Header=BB444_13 Depth=1
	s_or_b32 exec_lo, exec_lo, s21
	v_lshrrev_b16 v36, 8, v19
	v_mov_b32_e32 v35, 0
	s_mov_b32 s21, exec_lo
	s_delay_alu instid0(VALU_DEP_2)
	v_cmpx_ne_u16_e32 0, v36
	s_cbranch_execz .LBB444_1140
; %bb.1133:                             ;   in Loop: Header=BB444_13 Depth=1
	v_bfrev_b32_e32 v35, 1
	s_mov_b32 s22, exec_lo
	v_cmpx_ne_u16_e32 0x80, v36
	s_cbranch_execz .LBB444_1139
; %bb.1134:                             ;   in Loop: Header=BB444_13 Depth=1
	v_and_b32_e32 v36, 0xffff, v36
	v_mov_b32_e32 v35, 0x7f800001
	s_mov_b32 s23, exec_lo
	s_delay_alu instid0(VALU_DEP_2) | instskip(NEXT) | instid1(VALU_DEP_1)
	v_and_b32_e32 v182, 0x7f, v36
	v_cmpx_ne_u32_e32 0x7f, v182
	s_cbranch_execz .LBB444_1138
; %bb.1135:                             ;   in Loop: Header=BB444_13 Depth=1
	v_dual_mov_b32 v36, v20 :: v_dual_and_b32 v35, 7, v36
	v_lshrrev_b32_e32 v181, 3, v182
	s_mov_b32 s24, exec_lo
	v_cmpx_gt_u32_e32 8, v182
; %bb.1136:                             ;   in Loop: Header=BB444_13 Depth=1
	s_delay_alu instid0(VALU_DEP_3) | instskip(NEXT) | instid1(VALU_DEP_1)
	v_clz_i32_u32_e32 v181, v35
	v_min_u32_e32 v181, 32, v181
	s_delay_alu instid0(VALU_DEP_1) | instskip(SKIP_1) | instid1(VALU_DEP_2)
	v_subrev_nc_u32_e32 v182, 28, v181
	v_sub_nc_u32_e32 v181, 29, v181
	v_lshlrev_b64 v[35:36], v182, v[35:36]
	s_delay_alu instid0(VALU_DEP_1)
	v_and_b32_e32 v35, 7, v35
; %bb.1137:                             ;   in Loop: Header=BB444_13 Depth=1
	s_or_b32 exec_lo, exec_lo, s24
	v_lshlrev_b32_e32 v19, 16, v19
	s_delay_alu instid0(VALU_DEP_2) | instskip(SKIP_1) | instid1(VALU_DEP_3)
	v_lshlrev_b32_e32 v35, 20, v35
	v_lshl_add_u32 v36, v181, 23, 0x3c000000
	v_and_b32_e32 v19, 0x80000000, v19
	s_delay_alu instid0(VALU_DEP_1)
	v_or3_b32 v35, v35, v19, v36
.LBB444_1138:                           ;   in Loop: Header=BB444_13 Depth=1
	s_or_b32 exec_lo, exec_lo, s23
.LBB444_1139:                           ;   in Loop: Header=BB444_13 Depth=1
	s_delay_alu instid0(SALU_CYCLE_1)
	s_or_b32 exec_lo, exec_lo, s22
.LBB444_1140:                           ;   in Loop: Header=BB444_13 Depth=1
	s_delay_alu instid0(SALU_CYCLE_1) | instskip(NEXT) | instid1(VALU_DEP_1)
	s_or_b32 exec_lo, exec_lo, s21
	v_mul_f32_e32 v19, v171, v35
                                        ; implicit-def: $vgpr181
	s_delay_alu instid0(VALU_DEP_1) | instskip(NEXT) | instid1(VALU_DEP_1)
	v_and_b32_e32 v35, 0x7f800000, v19
	v_cmp_ne_u32_e64 s1, 0x7f800000, v35
	s_delay_alu instid0(VALU_DEP_1) | instskip(NEXT) | instid1(SALU_CYCLE_1)
	s_and_saveexec_b32 s21, s1
	s_xor_b32 s1, exec_lo, s21
; %bb.1141:                             ;   in Loop: Header=BB444_13 Depth=1
	v_bfe_u32 v35, v19, 16, 1
	s_delay_alu instid0(VALU_DEP_1)
	v_add3_u32 v181, v19, v35, 0x7fff
                                        ; implicit-def: $vgpr19
; %bb.1142:                             ;   in Loop: Header=BB444_13 Depth=1
	s_and_not1_saveexec_b32 s21, s1
; %bb.1143:                             ;   in Loop: Header=BB444_13 Depth=1
	v_and_b32_e32 v35, 0xffff, v19
	v_or_b32_e32 v36, 0x10000, v19
	s_delay_alu instid0(VALU_DEP_2) | instskip(NEXT) | instid1(VALU_DEP_1)
	v_cmp_eq_u32_e64 s1, 0, v35
	v_cndmask_b32_e64 v181, v36, v19, s1
; %bb.1144:                             ;   in Loop: Header=BB444_13 Depth=1
	s_or_b32 exec_lo, exec_lo, s21
	v_lshrrev_b32_e32 v182, 16, v34
	v_mov_b32_e32 v19, 0
	s_mov_b32 s21, exec_lo
	s_delay_alu instid0(VALU_DEP_2) | instskip(NEXT) | instid1(VALU_DEP_1)
	v_and_b32_e32 v35, 0xff, v182
	v_cmpx_ne_u16_e32 0, v35
	s_cbranch_execz .LBB444_1152
; %bb.1145:                             ;   in Loop: Header=BB444_13 Depth=1
	v_bfrev_b32_e32 v19, 1
	s_mov_b32 s22, exec_lo
	v_cmpx_ne_u16_e32 0x80, v35
	s_cbranch_execz .LBB444_1151
; %bb.1146:                             ;   in Loop: Header=BB444_13 Depth=1
	v_bfe_u32 v35, v34, 16, 7
	v_mov_b32_e32 v19, 0x7f800001
	s_mov_b32 s23, exec_lo
	s_delay_alu instid0(VALU_DEP_2)
	v_cmpx_ne_u32_e32 0x7f, v35
	s_cbranch_execz .LBB444_1150
; %bb.1147:                             ;   in Loop: Header=BB444_13 Depth=1
	v_and_b32_e32 v19, 7, v182
	v_lshrrev_b32_e32 v183, 3, v35
	v_cmp_gt_u32_e64 s1, 8, v35
	s_delay_alu instid0(VALU_DEP_3) | instskip(NEXT) | instid1(VALU_DEP_2)
	v_dual_mov_b32 v36, v20 :: v_dual_mov_b32 v35, v19
	s_and_saveexec_b32 s24, s1
; %bb.1148:                             ;   in Loop: Header=BB444_13 Depth=1
	v_clz_i32_u32_e32 v35, v19
	s_delay_alu instid0(VALU_DEP_1) | instskip(NEXT) | instid1(VALU_DEP_1)
	v_min_u32_e32 v183, 32, v35
	v_subrev_nc_u32_e32 v35, 28, v183
	v_sub_nc_u32_e32 v183, 29, v183
	s_delay_alu instid0(VALU_DEP_2) | instskip(NEXT) | instid1(VALU_DEP_1)
	v_lshlrev_b64 v[35:36], v35, v[19:20]
	v_and_b32_e32 v35, 7, v35
; %bb.1149:                             ;   in Loop: Header=BB444_13 Depth=1
	s_or_b32 exec_lo, exec_lo, s24
	v_lshlrev_b32_e32 v19, 24, v182
	s_delay_alu instid0(VALU_DEP_2) | instskip(SKIP_1) | instid1(VALU_DEP_3)
	v_lshlrev_b32_e32 v35, 20, v35
	v_lshl_add_u32 v36, v183, 23, 0x3c000000
	v_and_b32_e32 v19, 0x80000000, v19
	s_delay_alu instid0(VALU_DEP_1)
	v_or3_b32 v19, v35, v19, v36
.LBB444_1150:                           ;   in Loop: Header=BB444_13 Depth=1
	s_or_b32 exec_lo, exec_lo, s23
.LBB444_1151:                           ;   in Loop: Header=BB444_13 Depth=1
	s_delay_alu instid0(SALU_CYCLE_1)
	s_or_b32 exec_lo, exec_lo, s22
.LBB444_1152:                           ;   in Loop: Header=BB444_13 Depth=1
	s_delay_alu instid0(SALU_CYCLE_1) | instskip(NEXT) | instid1(VALU_DEP_1)
	s_or_b32 exec_lo, exec_lo, s21
	v_mul_f32_e32 v19, v171, v19
                                        ; implicit-def: $vgpr182
	s_delay_alu instid0(VALU_DEP_1) | instskip(NEXT) | instid1(VALU_DEP_1)
	v_and_b32_e32 v35, 0x7f800000, v19
	v_cmp_ne_u32_e64 s1, 0x7f800000, v35
	s_delay_alu instid0(VALU_DEP_1) | instskip(NEXT) | instid1(SALU_CYCLE_1)
	s_and_saveexec_b32 s21, s1
	s_xor_b32 s1, exec_lo, s21
; %bb.1153:                             ;   in Loop: Header=BB444_13 Depth=1
	v_bfe_u32 v35, v19, 16, 1
	s_delay_alu instid0(VALU_DEP_1)
	v_add3_u32 v182, v19, v35, 0x7fff
                                        ; implicit-def: $vgpr19
; %bb.1154:                             ;   in Loop: Header=BB444_13 Depth=1
	s_and_not1_saveexec_b32 s21, s1
; %bb.1155:                             ;   in Loop: Header=BB444_13 Depth=1
	v_and_b32_e32 v35, 0xffff, v19
	v_or_b32_e32 v36, 0x10000, v19
	s_delay_alu instid0(VALU_DEP_2) | instskip(NEXT) | instid1(VALU_DEP_1)
	v_cmp_eq_u32_e64 s1, 0, v35
	v_cndmask_b32_e64 v182, v36, v19, s1
; %bb.1156:                             ;   in Loop: Header=BB444_13 Depth=1
	s_or_b32 exec_lo, exec_lo, s21
	v_mov_b32_e32 v19, 0
	s_mov_b32 s21, exec_lo
	v_cmpx_lt_u64_e64 s[16:17], v[33:34]
	s_cbranch_execz .LBB444_1164
; %bb.1157:                             ;   in Loop: Header=BB444_13 Depth=1
	v_lshrrev_b32_e32 v35, 24, v34
	v_bfrev_b32_e32 v19, 1
	s_mov_b32 s22, exec_lo
	s_delay_alu instid0(VALU_DEP_2)
	v_cmpx_ne_u32_e32 0x80, v35
	s_cbranch_execz .LBB444_1163
; %bb.1158:                             ;   in Loop: Header=BB444_13 Depth=1
	v_bfe_u32 v33, v34, 24, 7
	v_mov_b32_e32 v19, 0x7f800001
	s_mov_b32 s23, exec_lo
	s_delay_alu instid0(VALU_DEP_2)
	v_cmpx_ne_u32_e32 0x7f, v33
	s_cbranch_execz .LBB444_1162
; %bb.1159:                             ;   in Loop: Header=BB444_13 Depth=1
	v_and_b32_e32 v19, 7, v35
	v_lshrrev_b32_e32 v36, 3, v33
	v_cmp_gt_u32_e64 s1, 8, v33
	s_delay_alu instid0(VALU_DEP_3) | instskip(NEXT) | instid1(VALU_DEP_2)
	v_dual_mov_b32 v34, v20 :: v_dual_mov_b32 v33, v19
	s_and_saveexec_b32 s24, s1
; %bb.1160:                             ;   in Loop: Header=BB444_13 Depth=1
	v_clz_i32_u32_e32 v33, v19
	s_delay_alu instid0(VALU_DEP_1) | instskip(NEXT) | instid1(VALU_DEP_1)
	v_min_u32_e32 v36, 32, v33
	v_subrev_nc_u32_e32 v33, 28, v36
	v_sub_nc_u32_e32 v36, 29, v36
	s_delay_alu instid0(VALU_DEP_2) | instskip(NEXT) | instid1(VALU_DEP_1)
	v_lshlrev_b64 v[33:34], v33, v[19:20]
	v_and_b32_e32 v33, 7, v33
; %bb.1161:                             ;   in Loop: Header=BB444_13 Depth=1
	s_or_b32 exec_lo, exec_lo, s24
	v_lshlrev_b32_e32 v19, 24, v35
	s_delay_alu instid0(VALU_DEP_2) | instskip(SKIP_1) | instid1(VALU_DEP_3)
	v_lshlrev_b32_e32 v33, 20, v33
	v_lshl_add_u32 v34, v36, 23, 0x3c000000
	v_and_b32_e32 v19, 0x80000000, v19
	s_delay_alu instid0(VALU_DEP_1)
	v_or3_b32 v19, v33, v19, v34
.LBB444_1162:                           ;   in Loop: Header=BB444_13 Depth=1
	s_or_b32 exec_lo, exec_lo, s23
.LBB444_1163:                           ;   in Loop: Header=BB444_13 Depth=1
	s_delay_alu instid0(SALU_CYCLE_1)
	s_or_b32 exec_lo, exec_lo, s22
.LBB444_1164:                           ;   in Loop: Header=BB444_13 Depth=1
	s_delay_alu instid0(SALU_CYCLE_1) | instskip(NEXT) | instid1(VALU_DEP_1)
	s_or_b32 exec_lo, exec_lo, s21
	v_mul_f32_e32 v19, v171, v19
                                        ; implicit-def: $vgpr183
	s_delay_alu instid0(VALU_DEP_1) | instskip(NEXT) | instid1(VALU_DEP_1)
	v_and_b32_e32 v33, 0x7f800000, v19
	v_cmp_ne_u32_e64 s1, 0x7f800000, v33
	s_delay_alu instid0(VALU_DEP_1) | instskip(NEXT) | instid1(SALU_CYCLE_1)
	s_and_saveexec_b32 s21, s1
	s_xor_b32 s1, exec_lo, s21
; %bb.1165:                             ;   in Loop: Header=BB444_13 Depth=1
	v_bfe_u32 v33, v19, 16, 1
	s_delay_alu instid0(VALU_DEP_1)
	v_add3_u32 v183, v19, v33, 0x7fff
                                        ; implicit-def: $vgpr19
; %bb.1166:                             ;   in Loop: Header=BB444_13 Depth=1
	s_and_not1_saveexec_b32 s21, s1
; %bb.1167:                             ;   in Loop: Header=BB444_13 Depth=1
	v_and_b32_e32 v33, 0xffff, v19
	v_or_b32_e32 v34, 0x10000, v19
	s_delay_alu instid0(VALU_DEP_2) | instskip(NEXT) | instid1(VALU_DEP_1)
	v_cmp_eq_u32_e64 s1, 0, v33
	v_cndmask_b32_e64 v183, v34, v19, s1
; %bb.1168:                             ;   in Loop: Header=BB444_13 Depth=1
	s_or_b32 exec_lo, exec_lo, s21
	flat_load_b64 v[33:34], v[31:32] offset:3072
	v_mov_b32_e32 v19, 0
	s_mov_b32 s21, exec_lo
	s_waitcnt vmcnt(0) lgkmcnt(0)
	v_and_b32_e32 v35, 0xff, v33
	s_delay_alu instid0(VALU_DEP_1)
	v_cmpx_ne_u16_e32 0, v35
	s_cbranch_execz .LBB444_1176
; %bb.1169:                             ;   in Loop: Header=BB444_13 Depth=1
	v_bfrev_b32_e32 v19, 1
	s_mov_b32 s22, exec_lo
	v_cmpx_ne_u16_e32 0x80, v35
	s_cbranch_execz .LBB444_1175
; %bb.1170:                             ;   in Loop: Header=BB444_13 Depth=1
	v_and_b32_e32 v35, 0x7f, v33
	v_mov_b32_e32 v19, 0x7f800001
	s_mov_b32 s23, exec_lo
	s_delay_alu instid0(VALU_DEP_2)
	v_cmpx_ne_u32_e32 0x7f, v35
	s_cbranch_execz .LBB444_1174
; %bb.1171:                             ;   in Loop: Header=BB444_13 Depth=1
	v_lshrrev_b32_e32 v19, 3, v35
	v_cmp_gt_u32_e64 s1, 8, v35
	v_dual_mov_b32 v36, v34 :: v_dual_mov_b32 v35, v33
	s_delay_alu instid0(VALU_DEP_2)
	s_and_saveexec_b32 s24, s1
; %bb.1172:                             ;   in Loop: Header=BB444_13 Depth=1
	v_and_b32_e32 v19, 7, v33
	s_delay_alu instid0(VALU_DEP_1) | instskip(NEXT) | instid1(VALU_DEP_1)
	v_clz_i32_u32_e32 v19, v19
	v_min_u32_e32 v19, 32, v19
	s_delay_alu instid0(VALU_DEP_1) | instskip(SKIP_1) | instid1(VALU_DEP_2)
	v_subrev_nc_u32_e32 v35, 28, v19
	v_sub_nc_u32_e32 v19, 29, v19
	v_lshlrev_b64 v[35:36], v35, v[33:34]
; %bb.1173:                             ;   in Loop: Header=BB444_13 Depth=1
	s_or_b32 exec_lo, exec_lo, s24
	s_delay_alu instid0(VALU_DEP_1) | instskip(SKIP_2) | instid1(VALU_DEP_3)
	v_lshlrev_b32_e32 v35, 20, v35
	v_lshlrev_b32_e32 v36, 24, v33
	v_lshl_add_u32 v19, v19, 23, 0x3c000000
	v_and_b32_e32 v35, 0x700000, v35
	s_delay_alu instid0(VALU_DEP_3) | instskip(NEXT) | instid1(VALU_DEP_1)
	v_and_b32_e32 v36, 0x80000000, v36
	v_or3_b32 v19, v35, v36, v19
.LBB444_1174:                           ;   in Loop: Header=BB444_13 Depth=1
	s_or_b32 exec_lo, exec_lo, s23
.LBB444_1175:                           ;   in Loop: Header=BB444_13 Depth=1
	s_delay_alu instid0(SALU_CYCLE_1)
	s_or_b32 exec_lo, exec_lo, s22
.LBB444_1176:                           ;   in Loop: Header=BB444_13 Depth=1
	s_delay_alu instid0(SALU_CYCLE_1) | instskip(NEXT) | instid1(VALU_DEP_1)
	s_or_b32 exec_lo, exec_lo, s21
	v_mul_f32_e32 v19, v171, v19
                                        ; implicit-def: $vgpr40
	s_delay_alu instid0(VALU_DEP_1) | instskip(NEXT) | instid1(VALU_DEP_1)
	v_and_b32_e32 v35, 0x7f800000, v19
	v_cmp_ne_u32_e64 s1, 0x7f800000, v35
	s_delay_alu instid0(VALU_DEP_1) | instskip(NEXT) | instid1(SALU_CYCLE_1)
	s_and_saveexec_b32 s21, s1
	s_xor_b32 s1, exec_lo, s21
; %bb.1177:                             ;   in Loop: Header=BB444_13 Depth=1
	v_bfe_u32 v35, v19, 16, 1
	s_delay_alu instid0(VALU_DEP_1)
	v_add3_u32 v40, v19, v35, 0x7fff
                                        ; implicit-def: $vgpr19
; %bb.1178:                             ;   in Loop: Header=BB444_13 Depth=1
	s_and_not1_saveexec_b32 s21, s1
; %bb.1179:                             ;   in Loop: Header=BB444_13 Depth=1
	v_and_b32_e32 v35, 0xffff, v19
	v_or_b32_e32 v36, 0x10000, v19
	s_delay_alu instid0(VALU_DEP_2) | instskip(NEXT) | instid1(VALU_DEP_1)
	v_cmp_eq_u32_e64 s1, 0, v35
	v_cndmask_b32_e64 v40, v36, v19, s1
; %bb.1180:                             ;   in Loop: Header=BB444_13 Depth=1
	s_or_b32 exec_lo, exec_lo, s21
	v_lshrrev_b16 v35, 8, v33
	v_mov_b32_e32 v19, 0
	s_mov_b32 s21, exec_lo
	s_delay_alu instid0(VALU_DEP_2)
	v_cmpx_ne_u16_e32 0, v35
	s_cbranch_execz .LBB444_1188
; %bb.1181:                             ;   in Loop: Header=BB444_13 Depth=1
	v_bfrev_b32_e32 v19, 1
	s_mov_b32 s22, exec_lo
	v_cmpx_ne_u16_e32 0x80, v35
	s_cbranch_execz .LBB444_1187
; %bb.1182:                             ;   in Loop: Header=BB444_13 Depth=1
	v_and_b32_e32 v36, 0xffff, v35
	v_mov_b32_e32 v19, 0x7f800001
	s_mov_b32 s23, exec_lo
	s_delay_alu instid0(VALU_DEP_2) | instskip(NEXT) | instid1(VALU_DEP_1)
	v_and_b32_e32 v35, 0x7f, v36
	v_cmpx_ne_u32_e32 0x7f, v35
	s_cbranch_execz .LBB444_1186
; %bb.1183:                             ;   in Loop: Header=BB444_13 Depth=1
	v_and_b32_e32 v19, 7, v36
	v_lshrrev_b32_e32 v41, 3, v35
	v_cmp_gt_u32_e64 s1, 8, v35
	s_delay_alu instid0(VALU_DEP_3) | instskip(NEXT) | instid1(VALU_DEP_2)
	v_dual_mov_b32 v36, v20 :: v_dual_mov_b32 v35, v19
	s_and_saveexec_b32 s24, s1
; %bb.1184:                             ;   in Loop: Header=BB444_13 Depth=1
	v_clz_i32_u32_e32 v35, v19
	s_delay_alu instid0(VALU_DEP_1) | instskip(NEXT) | instid1(VALU_DEP_1)
	v_min_u32_e32 v41, 32, v35
	v_subrev_nc_u32_e32 v35, 28, v41
	v_sub_nc_u32_e32 v41, 29, v41
	s_delay_alu instid0(VALU_DEP_2) | instskip(NEXT) | instid1(VALU_DEP_1)
	v_lshlrev_b64 v[35:36], v35, v[19:20]
	v_and_b32_e32 v35, 7, v35
; %bb.1185:                             ;   in Loop: Header=BB444_13 Depth=1
	s_or_b32 exec_lo, exec_lo, s24
	v_lshlrev_b32_e32 v19, 16, v33
	s_delay_alu instid0(VALU_DEP_2) | instskip(SKIP_1) | instid1(VALU_DEP_3)
	v_lshlrev_b32_e32 v35, 20, v35
	v_lshl_add_u32 v36, v41, 23, 0x3c000000
	v_and_b32_e32 v19, 0x80000000, v19
	s_delay_alu instid0(VALU_DEP_1)
	v_or3_b32 v19, v35, v19, v36
.LBB444_1186:                           ;   in Loop: Header=BB444_13 Depth=1
	s_or_b32 exec_lo, exec_lo, s23
.LBB444_1187:                           ;   in Loop: Header=BB444_13 Depth=1
	s_delay_alu instid0(SALU_CYCLE_1)
	s_or_b32 exec_lo, exec_lo, s22
.LBB444_1188:                           ;   in Loop: Header=BB444_13 Depth=1
	s_delay_alu instid0(SALU_CYCLE_1) | instskip(NEXT) | instid1(VALU_DEP_1)
	s_or_b32 exec_lo, exec_lo, s21
	v_mul_f32_e32 v19, v171, v19
                                        ; implicit-def: $vgpr41
	s_delay_alu instid0(VALU_DEP_1) | instskip(NEXT) | instid1(VALU_DEP_1)
	v_and_b32_e32 v35, 0x7f800000, v19
	v_cmp_ne_u32_e64 s1, 0x7f800000, v35
	s_delay_alu instid0(VALU_DEP_1) | instskip(NEXT) | instid1(SALU_CYCLE_1)
	s_and_saveexec_b32 s21, s1
	s_xor_b32 s1, exec_lo, s21
; %bb.1189:                             ;   in Loop: Header=BB444_13 Depth=1
	v_bfe_u32 v35, v19, 16, 1
	s_delay_alu instid0(VALU_DEP_1)
	v_add3_u32 v41, v19, v35, 0x7fff
                                        ; implicit-def: $vgpr19
; %bb.1190:                             ;   in Loop: Header=BB444_13 Depth=1
	s_and_not1_saveexec_b32 s21, s1
; %bb.1191:                             ;   in Loop: Header=BB444_13 Depth=1
	v_and_b32_e32 v35, 0xffff, v19
	v_or_b32_e32 v36, 0x10000, v19
	s_delay_alu instid0(VALU_DEP_2) | instskip(NEXT) | instid1(VALU_DEP_1)
	v_cmp_eq_u32_e64 s1, 0, v35
	v_cndmask_b32_e64 v41, v36, v19, s1
; %bb.1192:                             ;   in Loop: Header=BB444_13 Depth=1
	s_or_b32 exec_lo, exec_lo, s21
	v_lshrrev_b32_e32 v42, 16, v33
	v_mov_b32_e32 v19, 0
	s_mov_b32 s21, exec_lo
	s_delay_alu instid0(VALU_DEP_2) | instskip(NEXT) | instid1(VALU_DEP_1)
	v_and_b32_e32 v35, 0xff, v42
	v_cmpx_ne_u16_e32 0, v35
	s_cbranch_execz .LBB444_1200
; %bb.1193:                             ;   in Loop: Header=BB444_13 Depth=1
	v_bfrev_b32_e32 v19, 1
	s_mov_b32 s22, exec_lo
	v_cmpx_ne_u16_e32 0x80, v35
	s_cbranch_execz .LBB444_1199
; %bb.1194:                             ;   in Loop: Header=BB444_13 Depth=1
	v_bfe_u32 v35, v33, 16, 7
	v_mov_b32_e32 v19, 0x7f800001
	s_mov_b32 s23, exec_lo
	s_delay_alu instid0(VALU_DEP_2)
	v_cmpx_ne_u32_e32 0x7f, v35
	s_cbranch_execz .LBB444_1198
; %bb.1195:                             ;   in Loop: Header=BB444_13 Depth=1
	v_and_b32_e32 v19, 7, v42
	v_lshrrev_b32_e32 v43, 3, v35
	v_cmp_gt_u32_e64 s1, 8, v35
	s_delay_alu instid0(VALU_DEP_3) | instskip(NEXT) | instid1(VALU_DEP_2)
	v_dual_mov_b32 v36, v20 :: v_dual_mov_b32 v35, v19
	s_and_saveexec_b32 s24, s1
; %bb.1196:                             ;   in Loop: Header=BB444_13 Depth=1
	v_clz_i32_u32_e32 v35, v19
	s_delay_alu instid0(VALU_DEP_1) | instskip(NEXT) | instid1(VALU_DEP_1)
	v_min_u32_e32 v43, 32, v35
	v_subrev_nc_u32_e32 v35, 28, v43
	v_sub_nc_u32_e32 v43, 29, v43
	s_delay_alu instid0(VALU_DEP_2) | instskip(NEXT) | instid1(VALU_DEP_1)
	v_lshlrev_b64 v[35:36], v35, v[19:20]
	v_and_b32_e32 v35, 7, v35
; %bb.1197:                             ;   in Loop: Header=BB444_13 Depth=1
	s_or_b32 exec_lo, exec_lo, s24
	v_lshlrev_b32_e32 v19, 24, v42
	s_delay_alu instid0(VALU_DEP_2) | instskip(SKIP_1) | instid1(VALU_DEP_3)
	v_lshlrev_b32_e32 v35, 20, v35
	v_lshl_add_u32 v36, v43, 23, 0x3c000000
	v_and_b32_e32 v19, 0x80000000, v19
	s_delay_alu instid0(VALU_DEP_1)
	v_or3_b32 v19, v35, v19, v36
.LBB444_1198:                           ;   in Loop: Header=BB444_13 Depth=1
	s_or_b32 exec_lo, exec_lo, s23
.LBB444_1199:                           ;   in Loop: Header=BB444_13 Depth=1
	s_delay_alu instid0(SALU_CYCLE_1)
	s_or_b32 exec_lo, exec_lo, s22
.LBB444_1200:                           ;   in Loop: Header=BB444_13 Depth=1
	s_delay_alu instid0(SALU_CYCLE_1) | instskip(NEXT) | instid1(VALU_DEP_1)
	s_or_b32 exec_lo, exec_lo, s21
	v_mul_f32_e32 v19, v171, v19
                                        ; implicit-def: $vgpr42
	s_delay_alu instid0(VALU_DEP_1) | instskip(NEXT) | instid1(VALU_DEP_1)
	v_and_b32_e32 v35, 0x7f800000, v19
	v_cmp_ne_u32_e64 s1, 0x7f800000, v35
	s_delay_alu instid0(VALU_DEP_1) | instskip(NEXT) | instid1(SALU_CYCLE_1)
	s_and_saveexec_b32 s21, s1
	s_xor_b32 s1, exec_lo, s21
; %bb.1201:                             ;   in Loop: Header=BB444_13 Depth=1
	v_bfe_u32 v35, v19, 16, 1
	s_delay_alu instid0(VALU_DEP_1)
	v_add3_u32 v42, v19, v35, 0x7fff
                                        ; implicit-def: $vgpr19
; %bb.1202:                             ;   in Loop: Header=BB444_13 Depth=1
	s_and_not1_saveexec_b32 s21, s1
; %bb.1203:                             ;   in Loop: Header=BB444_13 Depth=1
	v_and_b32_e32 v35, 0xffff, v19
	v_or_b32_e32 v36, 0x10000, v19
	s_delay_alu instid0(VALU_DEP_2) | instskip(NEXT) | instid1(VALU_DEP_1)
	v_cmp_eq_u32_e64 s1, 0, v35
	v_cndmask_b32_e64 v42, v36, v19, s1
; %bb.1204:                             ;   in Loop: Header=BB444_13 Depth=1
	s_or_b32 exec_lo, exec_lo, s21
	v_mov_b32_e32 v19, 0
	s_mov_b32 s21, exec_lo
	v_cmpx_lt_u32_e32 0xffffff, v33
	s_cbranch_execz .LBB444_1212
; %bb.1205:                             ;   in Loop: Header=BB444_13 Depth=1
	v_lshrrev_b32_e32 v43, 24, v33
	v_bfrev_b32_e32 v19, 1
	s_mov_b32 s22, exec_lo
	s_delay_alu instid0(VALU_DEP_2)
	v_cmpx_ne_u32_e32 0x80, v43
	s_cbranch_execz .LBB444_1211
; %bb.1206:                             ;   in Loop: Header=BB444_13 Depth=1
	v_bfe_u32 v35, v33, 24, 7
	v_mov_b32_e32 v19, 0x7f800001
	s_mov_b32 s23, exec_lo
	s_delay_alu instid0(VALU_DEP_2)
	v_cmpx_ne_u32_e32 0x7f, v35
	s_cbranch_execz .LBB444_1210
; %bb.1207:                             ;   in Loop: Header=BB444_13 Depth=1
	v_and_b32_e32 v19, 7, v43
	v_lshrrev_b32_e32 v44, 3, v35
	v_cmp_gt_u32_e64 s1, 8, v35
	s_delay_alu instid0(VALU_DEP_3) | instskip(NEXT) | instid1(VALU_DEP_2)
	v_dual_mov_b32 v36, v20 :: v_dual_mov_b32 v35, v19
	s_and_saveexec_b32 s24, s1
; %bb.1208:                             ;   in Loop: Header=BB444_13 Depth=1
	v_clz_i32_u32_e32 v35, v19
	s_delay_alu instid0(VALU_DEP_1) | instskip(NEXT) | instid1(VALU_DEP_1)
	v_min_u32_e32 v44, 32, v35
	v_subrev_nc_u32_e32 v35, 28, v44
	v_sub_nc_u32_e32 v44, 29, v44
	s_delay_alu instid0(VALU_DEP_2) | instskip(NEXT) | instid1(VALU_DEP_1)
	v_lshlrev_b64 v[35:36], v35, v[19:20]
	v_and_b32_e32 v35, 7, v35
; %bb.1209:                             ;   in Loop: Header=BB444_13 Depth=1
	s_or_b32 exec_lo, exec_lo, s24
	v_lshlrev_b32_e32 v19, 24, v43
	s_delay_alu instid0(VALU_DEP_2) | instskip(SKIP_1) | instid1(VALU_DEP_3)
	v_lshlrev_b32_e32 v35, 20, v35
	v_lshl_add_u32 v36, v44, 23, 0x3c000000
	v_and_b32_e32 v19, 0x80000000, v19
	s_delay_alu instid0(VALU_DEP_1)
	v_or3_b32 v19, v35, v19, v36
.LBB444_1210:                           ;   in Loop: Header=BB444_13 Depth=1
	s_or_b32 exec_lo, exec_lo, s23
.LBB444_1211:                           ;   in Loop: Header=BB444_13 Depth=1
	s_delay_alu instid0(SALU_CYCLE_1)
	s_or_b32 exec_lo, exec_lo, s22
.LBB444_1212:                           ;   in Loop: Header=BB444_13 Depth=1
	s_delay_alu instid0(SALU_CYCLE_1) | instskip(NEXT) | instid1(VALU_DEP_1)
	s_or_b32 exec_lo, exec_lo, s21
	v_mul_f32_e32 v19, v171, v19
                                        ; implicit-def: $vgpr43
	s_delay_alu instid0(VALU_DEP_1) | instskip(NEXT) | instid1(VALU_DEP_1)
	v_and_b32_e32 v35, 0x7f800000, v19
	v_cmp_ne_u32_e64 s1, 0x7f800000, v35
	s_delay_alu instid0(VALU_DEP_1) | instskip(NEXT) | instid1(SALU_CYCLE_1)
	s_and_saveexec_b32 s21, s1
	s_xor_b32 s1, exec_lo, s21
; %bb.1213:                             ;   in Loop: Header=BB444_13 Depth=1
	v_bfe_u32 v35, v19, 16, 1
	s_delay_alu instid0(VALU_DEP_1)
	v_add3_u32 v43, v19, v35, 0x7fff
                                        ; implicit-def: $vgpr19
; %bb.1214:                             ;   in Loop: Header=BB444_13 Depth=1
	s_and_not1_saveexec_b32 s21, s1
; %bb.1215:                             ;   in Loop: Header=BB444_13 Depth=1
	v_and_b32_e32 v35, 0xffff, v19
	v_or_b32_e32 v36, 0x10000, v19
	s_delay_alu instid0(VALU_DEP_2) | instskip(NEXT) | instid1(VALU_DEP_1)
	v_cmp_eq_u32_e64 s1, 0, v35
	v_cndmask_b32_e64 v43, v36, v19, s1
; %bb.1216:                             ;   in Loop: Header=BB444_13 Depth=1
	s_or_b32 exec_lo, exec_lo, s21
	v_dual_mov_b32 v19, v34 :: v_dual_and_b32 v36, 0xff, v34
	v_mov_b32_e32 v35, 0
	s_mov_b32 s21, exec_lo
	s_delay_alu instid0(VALU_DEP_2)
	v_cmpx_ne_u16_e32 0, v36
	s_cbranch_execz .LBB444_1224
; %bb.1217:                             ;   in Loop: Header=BB444_13 Depth=1
	v_bfrev_b32_e32 v35, 1
	s_mov_b32 s22, exec_lo
	v_cmpx_ne_u16_e32 0x80, v36
	s_cbranch_execz .LBB444_1223
; %bb.1218:                             ;   in Loop: Header=BB444_13 Depth=1
	v_and_b32_e32 v36, 0x7f, v34
	v_mov_b32_e32 v35, 0x7f800001
	s_mov_b32 s23, exec_lo
	s_delay_alu instid0(VALU_DEP_2)
	v_cmpx_ne_u32_e32 0x7f, v36
	s_cbranch_execz .LBB444_1222
; %bb.1219:                             ;   in Loop: Header=BB444_13 Depth=1
	v_lshrrev_b32_e32 v44, 3, v36
	v_cmp_gt_u32_e64 s1, 8, v36
	v_dual_mov_b32 v36, v20 :: v_dual_mov_b32 v35, v19
	s_delay_alu instid0(VALU_DEP_2)
	s_and_saveexec_b32 s24, s1
; %bb.1220:                             ;   in Loop: Header=BB444_13 Depth=1
	v_and_b32_e32 v35, 7, v34
	s_delay_alu instid0(VALU_DEP_1) | instskip(NEXT) | instid1(VALU_DEP_1)
	v_clz_i32_u32_e32 v35, v35
	v_min_u32_e32 v44, 32, v35
	s_delay_alu instid0(VALU_DEP_1) | instskip(SKIP_1) | instid1(VALU_DEP_2)
	v_subrev_nc_u32_e32 v35, 28, v44
	v_sub_nc_u32_e32 v44, 29, v44
	v_lshlrev_b64 v[35:36], v35, v[19:20]
; %bb.1221:                             ;   in Loop: Header=BB444_13 Depth=1
	s_or_b32 exec_lo, exec_lo, s24
	s_delay_alu instid0(VALU_DEP_1) | instskip(SKIP_2) | instid1(VALU_DEP_3)
	v_lshlrev_b32_e32 v35, 20, v35
	v_lshlrev_b32_e32 v36, 24, v19
	v_lshl_add_u32 v44, v44, 23, 0x3c000000
	v_and_b32_e32 v35, 0x700000, v35
	s_delay_alu instid0(VALU_DEP_3) | instskip(NEXT) | instid1(VALU_DEP_1)
	v_and_b32_e32 v36, 0x80000000, v36
	v_or3_b32 v35, v35, v36, v44
.LBB444_1222:                           ;   in Loop: Header=BB444_13 Depth=1
	s_or_b32 exec_lo, exec_lo, s23
.LBB444_1223:                           ;   in Loop: Header=BB444_13 Depth=1
	s_delay_alu instid0(SALU_CYCLE_1)
	s_or_b32 exec_lo, exec_lo, s22
.LBB444_1224:                           ;   in Loop: Header=BB444_13 Depth=1
	s_delay_alu instid0(SALU_CYCLE_1) | instskip(NEXT) | instid1(VALU_DEP_1)
	s_or_b32 exec_lo, exec_lo, s21
	v_mul_f32_e32 v35, v171, v35
                                        ; implicit-def: $vgpr44
	s_delay_alu instid0(VALU_DEP_1) | instskip(NEXT) | instid1(VALU_DEP_1)
	v_and_b32_e32 v36, 0x7f800000, v35
	v_cmp_ne_u32_e64 s1, 0x7f800000, v36
	s_delay_alu instid0(VALU_DEP_1) | instskip(NEXT) | instid1(SALU_CYCLE_1)
	s_and_saveexec_b32 s21, s1
	s_xor_b32 s1, exec_lo, s21
; %bb.1225:                             ;   in Loop: Header=BB444_13 Depth=1
	v_bfe_u32 v36, v35, 16, 1
	s_delay_alu instid0(VALU_DEP_1)
	v_add3_u32 v44, v35, v36, 0x7fff
                                        ; implicit-def: $vgpr35
; %bb.1226:                             ;   in Loop: Header=BB444_13 Depth=1
	s_and_not1_saveexec_b32 s21, s1
; %bb.1227:                             ;   in Loop: Header=BB444_13 Depth=1
	v_and_b32_e32 v36, 0xffff, v35
	v_or_b32_e32 v44, 0x10000, v35
	s_delay_alu instid0(VALU_DEP_2) | instskip(NEXT) | instid1(VALU_DEP_1)
	v_cmp_eq_u32_e64 s1, 0, v36
	v_cndmask_b32_e64 v44, v44, v35, s1
; %bb.1228:                             ;   in Loop: Header=BB444_13 Depth=1
	s_or_b32 exec_lo, exec_lo, s21
	v_lshrrev_b16 v36, 8, v19
	v_mov_b32_e32 v35, 0
	s_mov_b32 s21, exec_lo
	s_delay_alu instid0(VALU_DEP_2)
	v_cmpx_ne_u16_e32 0, v36
	s_cbranch_execz .LBB444_1236
; %bb.1229:                             ;   in Loop: Header=BB444_13 Depth=1
	v_bfrev_b32_e32 v35, 1
	s_mov_b32 s22, exec_lo
	v_cmpx_ne_u16_e32 0x80, v36
	s_cbranch_execz .LBB444_1235
; %bb.1230:                             ;   in Loop: Header=BB444_13 Depth=1
	v_and_b32_e32 v36, 0xffff, v36
	v_mov_b32_e32 v35, 0x7f800001
	s_mov_b32 s23, exec_lo
	s_delay_alu instid0(VALU_DEP_2) | instskip(NEXT) | instid1(VALU_DEP_1)
	v_and_b32_e32 v46, 0x7f, v36
	v_cmpx_ne_u32_e32 0x7f, v46
	s_cbranch_execz .LBB444_1234
; %bb.1231:                             ;   in Loop: Header=BB444_13 Depth=1
	v_dual_mov_b32 v36, v20 :: v_dual_and_b32 v35, 7, v36
	v_lshrrev_b32_e32 v45, 3, v46
	s_mov_b32 s24, exec_lo
	v_cmpx_gt_u32_e32 8, v46
; %bb.1232:                             ;   in Loop: Header=BB444_13 Depth=1
	s_delay_alu instid0(VALU_DEP_3) | instskip(NEXT) | instid1(VALU_DEP_1)
	v_clz_i32_u32_e32 v45, v35
	v_min_u32_e32 v45, 32, v45
	s_delay_alu instid0(VALU_DEP_1) | instskip(SKIP_1) | instid1(VALU_DEP_2)
	v_subrev_nc_u32_e32 v46, 28, v45
	v_sub_nc_u32_e32 v45, 29, v45
	v_lshlrev_b64 v[35:36], v46, v[35:36]
	s_delay_alu instid0(VALU_DEP_1)
	v_and_b32_e32 v35, 7, v35
; %bb.1233:                             ;   in Loop: Header=BB444_13 Depth=1
	s_or_b32 exec_lo, exec_lo, s24
	v_lshlrev_b32_e32 v19, 16, v19
	s_delay_alu instid0(VALU_DEP_2) | instskip(SKIP_1) | instid1(VALU_DEP_3)
	v_lshlrev_b32_e32 v35, 20, v35
	v_lshl_add_u32 v36, v45, 23, 0x3c000000
	v_and_b32_e32 v19, 0x80000000, v19
	s_delay_alu instid0(VALU_DEP_1)
	v_or3_b32 v35, v35, v19, v36
.LBB444_1234:                           ;   in Loop: Header=BB444_13 Depth=1
	s_or_b32 exec_lo, exec_lo, s23
.LBB444_1235:                           ;   in Loop: Header=BB444_13 Depth=1
	s_delay_alu instid0(SALU_CYCLE_1)
	s_or_b32 exec_lo, exec_lo, s22
.LBB444_1236:                           ;   in Loop: Header=BB444_13 Depth=1
	s_delay_alu instid0(SALU_CYCLE_1) | instskip(NEXT) | instid1(VALU_DEP_1)
	s_or_b32 exec_lo, exec_lo, s21
	v_mul_f32_e32 v19, v171, v35
                                        ; implicit-def: $vgpr45
	s_delay_alu instid0(VALU_DEP_1) | instskip(NEXT) | instid1(VALU_DEP_1)
	v_and_b32_e32 v35, 0x7f800000, v19
	v_cmp_ne_u32_e64 s1, 0x7f800000, v35
	s_delay_alu instid0(VALU_DEP_1) | instskip(NEXT) | instid1(SALU_CYCLE_1)
	s_and_saveexec_b32 s21, s1
	s_xor_b32 s1, exec_lo, s21
; %bb.1237:                             ;   in Loop: Header=BB444_13 Depth=1
	v_bfe_u32 v35, v19, 16, 1
	s_delay_alu instid0(VALU_DEP_1)
	v_add3_u32 v45, v19, v35, 0x7fff
                                        ; implicit-def: $vgpr19
; %bb.1238:                             ;   in Loop: Header=BB444_13 Depth=1
	s_and_not1_saveexec_b32 s21, s1
; %bb.1239:                             ;   in Loop: Header=BB444_13 Depth=1
	v_and_b32_e32 v35, 0xffff, v19
	v_or_b32_e32 v36, 0x10000, v19
	s_delay_alu instid0(VALU_DEP_2) | instskip(NEXT) | instid1(VALU_DEP_1)
	v_cmp_eq_u32_e64 s1, 0, v35
	v_cndmask_b32_e64 v45, v36, v19, s1
; %bb.1240:                             ;   in Loop: Header=BB444_13 Depth=1
	s_or_b32 exec_lo, exec_lo, s21
	v_lshrrev_b32_e32 v46, 16, v34
	v_mov_b32_e32 v19, 0
	s_mov_b32 s21, exec_lo
	s_delay_alu instid0(VALU_DEP_2) | instskip(NEXT) | instid1(VALU_DEP_1)
	v_and_b32_e32 v35, 0xff, v46
	v_cmpx_ne_u16_e32 0, v35
	s_cbranch_execz .LBB444_1248
; %bb.1241:                             ;   in Loop: Header=BB444_13 Depth=1
	v_bfrev_b32_e32 v19, 1
	s_mov_b32 s22, exec_lo
	v_cmpx_ne_u16_e32 0x80, v35
	s_cbranch_execz .LBB444_1247
; %bb.1242:                             ;   in Loop: Header=BB444_13 Depth=1
	v_bfe_u32 v35, v34, 16, 7
	v_mov_b32_e32 v19, 0x7f800001
	s_mov_b32 s23, exec_lo
	s_delay_alu instid0(VALU_DEP_2)
	v_cmpx_ne_u32_e32 0x7f, v35
	s_cbranch_execz .LBB444_1246
; %bb.1243:                             ;   in Loop: Header=BB444_13 Depth=1
	v_and_b32_e32 v19, 7, v46
	v_lshrrev_b32_e32 v47, 3, v35
	v_cmp_gt_u32_e64 s1, 8, v35
	s_delay_alu instid0(VALU_DEP_3) | instskip(NEXT) | instid1(VALU_DEP_2)
	v_dual_mov_b32 v36, v20 :: v_dual_mov_b32 v35, v19
	s_and_saveexec_b32 s24, s1
; %bb.1244:                             ;   in Loop: Header=BB444_13 Depth=1
	v_clz_i32_u32_e32 v35, v19
	s_delay_alu instid0(VALU_DEP_1) | instskip(NEXT) | instid1(VALU_DEP_1)
	v_min_u32_e32 v47, 32, v35
	v_subrev_nc_u32_e32 v35, 28, v47
	v_sub_nc_u32_e32 v47, 29, v47
	s_delay_alu instid0(VALU_DEP_2) | instskip(NEXT) | instid1(VALU_DEP_1)
	v_lshlrev_b64 v[35:36], v35, v[19:20]
	v_and_b32_e32 v35, 7, v35
; %bb.1245:                             ;   in Loop: Header=BB444_13 Depth=1
	s_or_b32 exec_lo, exec_lo, s24
	v_lshlrev_b32_e32 v19, 24, v46
	s_delay_alu instid0(VALU_DEP_2) | instskip(SKIP_1) | instid1(VALU_DEP_3)
	v_lshlrev_b32_e32 v35, 20, v35
	v_lshl_add_u32 v36, v47, 23, 0x3c000000
	v_and_b32_e32 v19, 0x80000000, v19
	s_delay_alu instid0(VALU_DEP_1)
	v_or3_b32 v19, v35, v19, v36
.LBB444_1246:                           ;   in Loop: Header=BB444_13 Depth=1
	s_or_b32 exec_lo, exec_lo, s23
.LBB444_1247:                           ;   in Loop: Header=BB444_13 Depth=1
	s_delay_alu instid0(SALU_CYCLE_1)
	s_or_b32 exec_lo, exec_lo, s22
.LBB444_1248:                           ;   in Loop: Header=BB444_13 Depth=1
	s_delay_alu instid0(SALU_CYCLE_1) | instskip(NEXT) | instid1(VALU_DEP_1)
	s_or_b32 exec_lo, exec_lo, s21
	v_mul_f32_e32 v19, v171, v19
                                        ; implicit-def: $vgpr46
	s_delay_alu instid0(VALU_DEP_1) | instskip(NEXT) | instid1(VALU_DEP_1)
	v_and_b32_e32 v35, 0x7f800000, v19
	v_cmp_ne_u32_e64 s1, 0x7f800000, v35
	s_delay_alu instid0(VALU_DEP_1) | instskip(NEXT) | instid1(SALU_CYCLE_1)
	s_and_saveexec_b32 s21, s1
	s_xor_b32 s1, exec_lo, s21
; %bb.1249:                             ;   in Loop: Header=BB444_13 Depth=1
	v_bfe_u32 v35, v19, 16, 1
	s_delay_alu instid0(VALU_DEP_1)
	v_add3_u32 v46, v19, v35, 0x7fff
                                        ; implicit-def: $vgpr19
; %bb.1250:                             ;   in Loop: Header=BB444_13 Depth=1
	s_and_not1_saveexec_b32 s21, s1
; %bb.1251:                             ;   in Loop: Header=BB444_13 Depth=1
	v_and_b32_e32 v35, 0xffff, v19
	v_or_b32_e32 v36, 0x10000, v19
	s_delay_alu instid0(VALU_DEP_2) | instskip(NEXT) | instid1(VALU_DEP_1)
	v_cmp_eq_u32_e64 s1, 0, v35
	v_cndmask_b32_e64 v46, v36, v19, s1
; %bb.1252:                             ;   in Loop: Header=BB444_13 Depth=1
	s_or_b32 exec_lo, exec_lo, s21
	v_mov_b32_e32 v19, 0
	s_mov_b32 s21, exec_lo
	v_cmpx_lt_u64_e64 s[16:17], v[33:34]
	s_cbranch_execz .LBB444_1260
; %bb.1253:                             ;   in Loop: Header=BB444_13 Depth=1
	v_lshrrev_b32_e32 v35, 24, v34
	v_bfrev_b32_e32 v19, 1
	s_mov_b32 s22, exec_lo
	s_delay_alu instid0(VALU_DEP_2)
	v_cmpx_ne_u32_e32 0x80, v35
	s_cbranch_execz .LBB444_1259
; %bb.1254:                             ;   in Loop: Header=BB444_13 Depth=1
	v_bfe_u32 v33, v34, 24, 7
	v_mov_b32_e32 v19, 0x7f800001
	s_mov_b32 s23, exec_lo
	s_delay_alu instid0(VALU_DEP_2)
	v_cmpx_ne_u32_e32 0x7f, v33
	s_cbranch_execz .LBB444_1258
; %bb.1255:                             ;   in Loop: Header=BB444_13 Depth=1
	v_and_b32_e32 v19, 7, v35
	v_lshrrev_b32_e32 v36, 3, v33
	v_cmp_gt_u32_e64 s1, 8, v33
	s_delay_alu instid0(VALU_DEP_3) | instskip(NEXT) | instid1(VALU_DEP_2)
	v_dual_mov_b32 v34, v20 :: v_dual_mov_b32 v33, v19
	s_and_saveexec_b32 s24, s1
; %bb.1256:                             ;   in Loop: Header=BB444_13 Depth=1
	v_clz_i32_u32_e32 v33, v19
	s_delay_alu instid0(VALU_DEP_1) | instskip(NEXT) | instid1(VALU_DEP_1)
	v_min_u32_e32 v36, 32, v33
	v_subrev_nc_u32_e32 v33, 28, v36
	v_sub_nc_u32_e32 v36, 29, v36
	s_delay_alu instid0(VALU_DEP_2) | instskip(NEXT) | instid1(VALU_DEP_1)
	v_lshlrev_b64 v[33:34], v33, v[19:20]
	v_and_b32_e32 v33, 7, v33
; %bb.1257:                             ;   in Loop: Header=BB444_13 Depth=1
	s_or_b32 exec_lo, exec_lo, s24
	v_lshlrev_b32_e32 v19, 24, v35
	s_delay_alu instid0(VALU_DEP_2) | instskip(SKIP_1) | instid1(VALU_DEP_3)
	v_lshlrev_b32_e32 v33, 20, v33
	v_lshl_add_u32 v34, v36, 23, 0x3c000000
	v_and_b32_e32 v19, 0x80000000, v19
	s_delay_alu instid0(VALU_DEP_1)
	v_or3_b32 v19, v33, v19, v34
.LBB444_1258:                           ;   in Loop: Header=BB444_13 Depth=1
	s_or_b32 exec_lo, exec_lo, s23
.LBB444_1259:                           ;   in Loop: Header=BB444_13 Depth=1
	s_delay_alu instid0(SALU_CYCLE_1)
	s_or_b32 exec_lo, exec_lo, s22
.LBB444_1260:                           ;   in Loop: Header=BB444_13 Depth=1
	s_delay_alu instid0(SALU_CYCLE_1) | instskip(NEXT) | instid1(VALU_DEP_1)
	s_or_b32 exec_lo, exec_lo, s21
	v_mul_f32_e32 v19, v171, v19
                                        ; implicit-def: $vgpr47
	s_delay_alu instid0(VALU_DEP_1) | instskip(NEXT) | instid1(VALU_DEP_1)
	v_and_b32_e32 v33, 0x7f800000, v19
	v_cmp_ne_u32_e64 s1, 0x7f800000, v33
	s_delay_alu instid0(VALU_DEP_1) | instskip(NEXT) | instid1(SALU_CYCLE_1)
	s_and_saveexec_b32 s21, s1
	s_xor_b32 s1, exec_lo, s21
; %bb.1261:                             ;   in Loop: Header=BB444_13 Depth=1
	v_bfe_u32 v33, v19, 16, 1
	s_delay_alu instid0(VALU_DEP_1)
	v_add3_u32 v47, v19, v33, 0x7fff
                                        ; implicit-def: $vgpr19
; %bb.1262:                             ;   in Loop: Header=BB444_13 Depth=1
	s_and_not1_saveexec_b32 s21, s1
; %bb.1263:                             ;   in Loop: Header=BB444_13 Depth=1
	v_and_b32_e32 v33, 0xffff, v19
	v_or_b32_e32 v34, 0x10000, v19
	s_delay_alu instid0(VALU_DEP_2) | instskip(NEXT) | instid1(VALU_DEP_1)
	v_cmp_eq_u32_e64 s1, 0, v33
	v_cndmask_b32_e64 v47, v34, v19, s1
; %bb.1264:                             ;   in Loop: Header=BB444_13 Depth=1
	s_or_b32 exec_lo, exec_lo, s21
	flat_load_b64 v[33:34], v[31:32] offset:3080
	v_mov_b32_e32 v19, 0
	s_mov_b32 s21, exec_lo
	s_waitcnt vmcnt(0) lgkmcnt(0)
	v_and_b32_e32 v35, 0xff, v33
	s_delay_alu instid0(VALU_DEP_1)
	v_cmpx_ne_u16_e32 0, v35
	s_cbranch_execz .LBB444_1272
; %bb.1265:                             ;   in Loop: Header=BB444_13 Depth=1
	v_bfrev_b32_e32 v19, 1
	s_mov_b32 s22, exec_lo
	v_cmpx_ne_u16_e32 0x80, v35
	s_cbranch_execz .LBB444_1271
; %bb.1266:                             ;   in Loop: Header=BB444_13 Depth=1
	v_and_b32_e32 v35, 0x7f, v33
	v_mov_b32_e32 v19, 0x7f800001
	s_mov_b32 s23, exec_lo
	s_delay_alu instid0(VALU_DEP_2)
	v_cmpx_ne_u32_e32 0x7f, v35
	s_cbranch_execz .LBB444_1270
; %bb.1267:                             ;   in Loop: Header=BB444_13 Depth=1
	v_lshrrev_b32_e32 v19, 3, v35
	v_cmp_gt_u32_e64 s1, 8, v35
	v_dual_mov_b32 v36, v34 :: v_dual_mov_b32 v35, v33
	s_delay_alu instid0(VALU_DEP_2)
	s_and_saveexec_b32 s24, s1
; %bb.1268:                             ;   in Loop: Header=BB444_13 Depth=1
	v_and_b32_e32 v19, 7, v33
	s_delay_alu instid0(VALU_DEP_1) | instskip(NEXT) | instid1(VALU_DEP_1)
	v_clz_i32_u32_e32 v19, v19
	v_min_u32_e32 v19, 32, v19
	s_delay_alu instid0(VALU_DEP_1) | instskip(SKIP_1) | instid1(VALU_DEP_2)
	v_subrev_nc_u32_e32 v35, 28, v19
	v_sub_nc_u32_e32 v19, 29, v19
	v_lshlrev_b64 v[35:36], v35, v[33:34]
; %bb.1269:                             ;   in Loop: Header=BB444_13 Depth=1
	s_or_b32 exec_lo, exec_lo, s24
	s_delay_alu instid0(VALU_DEP_1) | instskip(SKIP_2) | instid1(VALU_DEP_3)
	v_lshlrev_b32_e32 v35, 20, v35
	v_lshlrev_b32_e32 v36, 24, v33
	v_lshl_add_u32 v19, v19, 23, 0x3c000000
	v_and_b32_e32 v35, 0x700000, v35
	s_delay_alu instid0(VALU_DEP_3) | instskip(NEXT) | instid1(VALU_DEP_1)
	v_and_b32_e32 v36, 0x80000000, v36
	v_or3_b32 v19, v35, v36, v19
.LBB444_1270:                           ;   in Loop: Header=BB444_13 Depth=1
	s_or_b32 exec_lo, exec_lo, s23
.LBB444_1271:                           ;   in Loop: Header=BB444_13 Depth=1
	s_delay_alu instid0(SALU_CYCLE_1)
	s_or_b32 exec_lo, exec_lo, s22
.LBB444_1272:                           ;   in Loop: Header=BB444_13 Depth=1
	s_delay_alu instid0(SALU_CYCLE_1) | instskip(NEXT) | instid1(VALU_DEP_1)
	s_or_b32 exec_lo, exec_lo, s21
	v_mul_f32_e32 v19, v171, v19
                                        ; implicit-def: $vgpr56
	s_delay_alu instid0(VALU_DEP_1) | instskip(NEXT) | instid1(VALU_DEP_1)
	v_and_b32_e32 v35, 0x7f800000, v19
	v_cmp_ne_u32_e64 s1, 0x7f800000, v35
	s_delay_alu instid0(VALU_DEP_1) | instskip(NEXT) | instid1(SALU_CYCLE_1)
	s_and_saveexec_b32 s21, s1
	s_xor_b32 s1, exec_lo, s21
; %bb.1273:                             ;   in Loop: Header=BB444_13 Depth=1
	v_bfe_u32 v35, v19, 16, 1
	s_delay_alu instid0(VALU_DEP_1)
	v_add3_u32 v56, v19, v35, 0x7fff
                                        ; implicit-def: $vgpr19
; %bb.1274:                             ;   in Loop: Header=BB444_13 Depth=1
	s_and_not1_saveexec_b32 s21, s1
; %bb.1275:                             ;   in Loop: Header=BB444_13 Depth=1
	v_and_b32_e32 v35, 0xffff, v19
	v_or_b32_e32 v36, 0x10000, v19
	s_delay_alu instid0(VALU_DEP_2) | instskip(NEXT) | instid1(VALU_DEP_1)
	v_cmp_eq_u32_e64 s1, 0, v35
	v_cndmask_b32_e64 v56, v36, v19, s1
; %bb.1276:                             ;   in Loop: Header=BB444_13 Depth=1
	s_or_b32 exec_lo, exec_lo, s21
	v_lshrrev_b16 v35, 8, v33
	v_mov_b32_e32 v19, 0
	s_mov_b32 s21, exec_lo
	s_delay_alu instid0(VALU_DEP_2)
	v_cmpx_ne_u16_e32 0, v35
	s_cbranch_execz .LBB444_1284
; %bb.1277:                             ;   in Loop: Header=BB444_13 Depth=1
	v_bfrev_b32_e32 v19, 1
	s_mov_b32 s22, exec_lo
	v_cmpx_ne_u16_e32 0x80, v35
	s_cbranch_execz .LBB444_1283
; %bb.1278:                             ;   in Loop: Header=BB444_13 Depth=1
	v_and_b32_e32 v36, 0xffff, v35
	v_mov_b32_e32 v19, 0x7f800001
	s_mov_b32 s23, exec_lo
	s_delay_alu instid0(VALU_DEP_2) | instskip(NEXT) | instid1(VALU_DEP_1)
	v_and_b32_e32 v35, 0x7f, v36
	v_cmpx_ne_u32_e32 0x7f, v35
	s_cbranch_execz .LBB444_1282
; %bb.1279:                             ;   in Loop: Header=BB444_13 Depth=1
	v_and_b32_e32 v19, 7, v36
	v_lshrrev_b32_e32 v57, 3, v35
	v_cmp_gt_u32_e64 s1, 8, v35
	s_delay_alu instid0(VALU_DEP_3) | instskip(NEXT) | instid1(VALU_DEP_2)
	v_dual_mov_b32 v36, v20 :: v_dual_mov_b32 v35, v19
	s_and_saveexec_b32 s24, s1
; %bb.1280:                             ;   in Loop: Header=BB444_13 Depth=1
	v_clz_i32_u32_e32 v35, v19
	s_delay_alu instid0(VALU_DEP_1) | instskip(NEXT) | instid1(VALU_DEP_1)
	v_min_u32_e32 v57, 32, v35
	v_subrev_nc_u32_e32 v35, 28, v57
	v_sub_nc_u32_e32 v57, 29, v57
	s_delay_alu instid0(VALU_DEP_2) | instskip(NEXT) | instid1(VALU_DEP_1)
	v_lshlrev_b64 v[35:36], v35, v[19:20]
	v_and_b32_e32 v35, 7, v35
; %bb.1281:                             ;   in Loop: Header=BB444_13 Depth=1
	s_or_b32 exec_lo, exec_lo, s24
	v_lshlrev_b32_e32 v19, 16, v33
	s_delay_alu instid0(VALU_DEP_2) | instskip(SKIP_1) | instid1(VALU_DEP_3)
	v_lshlrev_b32_e32 v35, 20, v35
	v_lshl_add_u32 v36, v57, 23, 0x3c000000
	v_and_b32_e32 v19, 0x80000000, v19
	s_delay_alu instid0(VALU_DEP_1)
	v_or3_b32 v19, v35, v19, v36
.LBB444_1282:                           ;   in Loop: Header=BB444_13 Depth=1
	s_or_b32 exec_lo, exec_lo, s23
.LBB444_1283:                           ;   in Loop: Header=BB444_13 Depth=1
	s_delay_alu instid0(SALU_CYCLE_1)
	s_or_b32 exec_lo, exec_lo, s22
.LBB444_1284:                           ;   in Loop: Header=BB444_13 Depth=1
	s_delay_alu instid0(SALU_CYCLE_1) | instskip(NEXT) | instid1(VALU_DEP_1)
	s_or_b32 exec_lo, exec_lo, s21
	v_mul_f32_e32 v19, v171, v19
                                        ; implicit-def: $vgpr57
	s_delay_alu instid0(VALU_DEP_1) | instskip(NEXT) | instid1(VALU_DEP_1)
	v_and_b32_e32 v35, 0x7f800000, v19
	v_cmp_ne_u32_e64 s1, 0x7f800000, v35
	s_delay_alu instid0(VALU_DEP_1) | instskip(NEXT) | instid1(SALU_CYCLE_1)
	s_and_saveexec_b32 s21, s1
	s_xor_b32 s1, exec_lo, s21
; %bb.1285:                             ;   in Loop: Header=BB444_13 Depth=1
	v_bfe_u32 v35, v19, 16, 1
	s_delay_alu instid0(VALU_DEP_1)
	v_add3_u32 v57, v19, v35, 0x7fff
                                        ; implicit-def: $vgpr19
; %bb.1286:                             ;   in Loop: Header=BB444_13 Depth=1
	s_and_not1_saveexec_b32 s21, s1
; %bb.1287:                             ;   in Loop: Header=BB444_13 Depth=1
	v_and_b32_e32 v35, 0xffff, v19
	v_or_b32_e32 v36, 0x10000, v19
	s_delay_alu instid0(VALU_DEP_2) | instskip(NEXT) | instid1(VALU_DEP_1)
	v_cmp_eq_u32_e64 s1, 0, v35
	v_cndmask_b32_e64 v57, v36, v19, s1
; %bb.1288:                             ;   in Loop: Header=BB444_13 Depth=1
	s_or_b32 exec_lo, exec_lo, s21
	v_lshrrev_b32_e32 v58, 16, v33
	v_mov_b32_e32 v19, 0
	s_mov_b32 s21, exec_lo
	s_delay_alu instid0(VALU_DEP_2) | instskip(NEXT) | instid1(VALU_DEP_1)
	v_and_b32_e32 v35, 0xff, v58
	v_cmpx_ne_u16_e32 0, v35
	s_cbranch_execz .LBB444_1296
; %bb.1289:                             ;   in Loop: Header=BB444_13 Depth=1
	v_bfrev_b32_e32 v19, 1
	s_mov_b32 s22, exec_lo
	v_cmpx_ne_u16_e32 0x80, v35
	s_cbranch_execz .LBB444_1295
; %bb.1290:                             ;   in Loop: Header=BB444_13 Depth=1
	v_bfe_u32 v35, v33, 16, 7
	v_mov_b32_e32 v19, 0x7f800001
	s_mov_b32 s23, exec_lo
	s_delay_alu instid0(VALU_DEP_2)
	v_cmpx_ne_u32_e32 0x7f, v35
	s_cbranch_execz .LBB444_1294
; %bb.1291:                             ;   in Loop: Header=BB444_13 Depth=1
	v_and_b32_e32 v19, 7, v58
	v_lshrrev_b32_e32 v59, 3, v35
	v_cmp_gt_u32_e64 s1, 8, v35
	s_delay_alu instid0(VALU_DEP_3) | instskip(NEXT) | instid1(VALU_DEP_2)
	v_dual_mov_b32 v36, v20 :: v_dual_mov_b32 v35, v19
	s_and_saveexec_b32 s24, s1
; %bb.1292:                             ;   in Loop: Header=BB444_13 Depth=1
	v_clz_i32_u32_e32 v35, v19
	s_delay_alu instid0(VALU_DEP_1) | instskip(NEXT) | instid1(VALU_DEP_1)
	v_min_u32_e32 v59, 32, v35
	v_subrev_nc_u32_e32 v35, 28, v59
	v_sub_nc_u32_e32 v59, 29, v59
	s_delay_alu instid0(VALU_DEP_2) | instskip(NEXT) | instid1(VALU_DEP_1)
	v_lshlrev_b64 v[35:36], v35, v[19:20]
	v_and_b32_e32 v35, 7, v35
; %bb.1293:                             ;   in Loop: Header=BB444_13 Depth=1
	s_or_b32 exec_lo, exec_lo, s24
	v_lshlrev_b32_e32 v19, 24, v58
	s_delay_alu instid0(VALU_DEP_2) | instskip(SKIP_1) | instid1(VALU_DEP_3)
	v_lshlrev_b32_e32 v35, 20, v35
	v_lshl_add_u32 v36, v59, 23, 0x3c000000
	v_and_b32_e32 v19, 0x80000000, v19
	s_delay_alu instid0(VALU_DEP_1)
	v_or3_b32 v19, v35, v19, v36
.LBB444_1294:                           ;   in Loop: Header=BB444_13 Depth=1
	s_or_b32 exec_lo, exec_lo, s23
.LBB444_1295:                           ;   in Loop: Header=BB444_13 Depth=1
	s_delay_alu instid0(SALU_CYCLE_1)
	s_or_b32 exec_lo, exec_lo, s22
.LBB444_1296:                           ;   in Loop: Header=BB444_13 Depth=1
	s_delay_alu instid0(SALU_CYCLE_1) | instskip(NEXT) | instid1(VALU_DEP_1)
	s_or_b32 exec_lo, exec_lo, s21
	v_mul_f32_e32 v19, v171, v19
                                        ; implicit-def: $vgpr58
	s_delay_alu instid0(VALU_DEP_1) | instskip(NEXT) | instid1(VALU_DEP_1)
	v_and_b32_e32 v35, 0x7f800000, v19
	v_cmp_ne_u32_e64 s1, 0x7f800000, v35
	s_delay_alu instid0(VALU_DEP_1) | instskip(NEXT) | instid1(SALU_CYCLE_1)
	s_and_saveexec_b32 s21, s1
	s_xor_b32 s1, exec_lo, s21
; %bb.1297:                             ;   in Loop: Header=BB444_13 Depth=1
	v_bfe_u32 v35, v19, 16, 1
	s_delay_alu instid0(VALU_DEP_1)
	v_add3_u32 v58, v19, v35, 0x7fff
                                        ; implicit-def: $vgpr19
; %bb.1298:                             ;   in Loop: Header=BB444_13 Depth=1
	s_and_not1_saveexec_b32 s21, s1
; %bb.1299:                             ;   in Loop: Header=BB444_13 Depth=1
	v_and_b32_e32 v35, 0xffff, v19
	v_or_b32_e32 v36, 0x10000, v19
	s_delay_alu instid0(VALU_DEP_2) | instskip(NEXT) | instid1(VALU_DEP_1)
	v_cmp_eq_u32_e64 s1, 0, v35
	v_cndmask_b32_e64 v58, v36, v19, s1
; %bb.1300:                             ;   in Loop: Header=BB444_13 Depth=1
	s_or_b32 exec_lo, exec_lo, s21
	v_mov_b32_e32 v19, 0
	s_mov_b32 s21, exec_lo
	v_cmpx_lt_u32_e32 0xffffff, v33
	s_cbranch_execz .LBB444_1308
; %bb.1301:                             ;   in Loop: Header=BB444_13 Depth=1
	v_lshrrev_b32_e32 v59, 24, v33
	v_bfrev_b32_e32 v19, 1
	s_mov_b32 s22, exec_lo
	s_delay_alu instid0(VALU_DEP_2)
	v_cmpx_ne_u32_e32 0x80, v59
	s_cbranch_execz .LBB444_1307
; %bb.1302:                             ;   in Loop: Header=BB444_13 Depth=1
	v_bfe_u32 v35, v33, 24, 7
	v_mov_b32_e32 v19, 0x7f800001
	s_mov_b32 s23, exec_lo
	s_delay_alu instid0(VALU_DEP_2)
	v_cmpx_ne_u32_e32 0x7f, v35
	s_cbranch_execz .LBB444_1306
; %bb.1303:                             ;   in Loop: Header=BB444_13 Depth=1
	v_and_b32_e32 v19, 7, v59
	v_lshrrev_b32_e32 v60, 3, v35
	v_cmp_gt_u32_e64 s1, 8, v35
	s_delay_alu instid0(VALU_DEP_3) | instskip(NEXT) | instid1(VALU_DEP_2)
	v_dual_mov_b32 v36, v20 :: v_dual_mov_b32 v35, v19
	s_and_saveexec_b32 s24, s1
; %bb.1304:                             ;   in Loop: Header=BB444_13 Depth=1
	v_clz_i32_u32_e32 v35, v19
	s_delay_alu instid0(VALU_DEP_1) | instskip(NEXT) | instid1(VALU_DEP_1)
	v_min_u32_e32 v60, 32, v35
	v_subrev_nc_u32_e32 v35, 28, v60
	v_sub_nc_u32_e32 v60, 29, v60
	s_delay_alu instid0(VALU_DEP_2) | instskip(NEXT) | instid1(VALU_DEP_1)
	v_lshlrev_b64 v[35:36], v35, v[19:20]
	v_and_b32_e32 v35, 7, v35
; %bb.1305:                             ;   in Loop: Header=BB444_13 Depth=1
	s_or_b32 exec_lo, exec_lo, s24
	v_lshlrev_b32_e32 v19, 24, v59
	s_delay_alu instid0(VALU_DEP_2) | instskip(SKIP_1) | instid1(VALU_DEP_3)
	v_lshlrev_b32_e32 v35, 20, v35
	v_lshl_add_u32 v36, v60, 23, 0x3c000000
	v_and_b32_e32 v19, 0x80000000, v19
	s_delay_alu instid0(VALU_DEP_1)
	v_or3_b32 v19, v35, v19, v36
.LBB444_1306:                           ;   in Loop: Header=BB444_13 Depth=1
	s_or_b32 exec_lo, exec_lo, s23
.LBB444_1307:                           ;   in Loop: Header=BB444_13 Depth=1
	s_delay_alu instid0(SALU_CYCLE_1)
	s_or_b32 exec_lo, exec_lo, s22
.LBB444_1308:                           ;   in Loop: Header=BB444_13 Depth=1
	s_delay_alu instid0(SALU_CYCLE_1) | instskip(NEXT) | instid1(VALU_DEP_1)
	s_or_b32 exec_lo, exec_lo, s21
	v_mul_f32_e32 v19, v171, v19
                                        ; implicit-def: $vgpr59
	s_delay_alu instid0(VALU_DEP_1) | instskip(NEXT) | instid1(VALU_DEP_1)
	v_and_b32_e32 v35, 0x7f800000, v19
	v_cmp_ne_u32_e64 s1, 0x7f800000, v35
	s_delay_alu instid0(VALU_DEP_1) | instskip(NEXT) | instid1(SALU_CYCLE_1)
	s_and_saveexec_b32 s21, s1
	s_xor_b32 s1, exec_lo, s21
; %bb.1309:                             ;   in Loop: Header=BB444_13 Depth=1
	v_bfe_u32 v35, v19, 16, 1
	s_delay_alu instid0(VALU_DEP_1)
	v_add3_u32 v59, v19, v35, 0x7fff
                                        ; implicit-def: $vgpr19
; %bb.1310:                             ;   in Loop: Header=BB444_13 Depth=1
	s_and_not1_saveexec_b32 s21, s1
; %bb.1311:                             ;   in Loop: Header=BB444_13 Depth=1
	v_and_b32_e32 v35, 0xffff, v19
	v_or_b32_e32 v36, 0x10000, v19
	s_delay_alu instid0(VALU_DEP_2) | instskip(NEXT) | instid1(VALU_DEP_1)
	v_cmp_eq_u32_e64 s1, 0, v35
	v_cndmask_b32_e64 v59, v36, v19, s1
; %bb.1312:                             ;   in Loop: Header=BB444_13 Depth=1
	s_or_b32 exec_lo, exec_lo, s21
	v_dual_mov_b32 v19, v34 :: v_dual_and_b32 v36, 0xff, v34
	v_mov_b32_e32 v35, 0
	s_mov_b32 s21, exec_lo
	s_delay_alu instid0(VALU_DEP_2)
	v_cmpx_ne_u16_e32 0, v36
	s_cbranch_execz .LBB444_1320
; %bb.1313:                             ;   in Loop: Header=BB444_13 Depth=1
	v_bfrev_b32_e32 v35, 1
	s_mov_b32 s22, exec_lo
	v_cmpx_ne_u16_e32 0x80, v36
	s_cbranch_execz .LBB444_1319
; %bb.1314:                             ;   in Loop: Header=BB444_13 Depth=1
	v_and_b32_e32 v36, 0x7f, v34
	v_mov_b32_e32 v35, 0x7f800001
	s_mov_b32 s23, exec_lo
	s_delay_alu instid0(VALU_DEP_2)
	v_cmpx_ne_u32_e32 0x7f, v36
	s_cbranch_execz .LBB444_1318
; %bb.1315:                             ;   in Loop: Header=BB444_13 Depth=1
	v_lshrrev_b32_e32 v60, 3, v36
	v_cmp_gt_u32_e64 s1, 8, v36
	v_dual_mov_b32 v36, v20 :: v_dual_mov_b32 v35, v19
	s_delay_alu instid0(VALU_DEP_2)
	s_and_saveexec_b32 s24, s1
; %bb.1316:                             ;   in Loop: Header=BB444_13 Depth=1
	v_and_b32_e32 v35, 7, v34
	s_delay_alu instid0(VALU_DEP_1) | instskip(NEXT) | instid1(VALU_DEP_1)
	v_clz_i32_u32_e32 v35, v35
	v_min_u32_e32 v60, 32, v35
	s_delay_alu instid0(VALU_DEP_1) | instskip(SKIP_1) | instid1(VALU_DEP_2)
	v_subrev_nc_u32_e32 v35, 28, v60
	v_sub_nc_u32_e32 v60, 29, v60
	v_lshlrev_b64 v[35:36], v35, v[19:20]
; %bb.1317:                             ;   in Loop: Header=BB444_13 Depth=1
	s_or_b32 exec_lo, exec_lo, s24
	s_delay_alu instid0(VALU_DEP_1) | instskip(SKIP_2) | instid1(VALU_DEP_3)
	v_lshlrev_b32_e32 v35, 20, v35
	v_lshlrev_b32_e32 v36, 24, v19
	v_lshl_add_u32 v60, v60, 23, 0x3c000000
	v_and_b32_e32 v35, 0x700000, v35
	s_delay_alu instid0(VALU_DEP_3) | instskip(NEXT) | instid1(VALU_DEP_1)
	v_and_b32_e32 v36, 0x80000000, v36
	v_or3_b32 v35, v35, v36, v60
.LBB444_1318:                           ;   in Loop: Header=BB444_13 Depth=1
	s_or_b32 exec_lo, exec_lo, s23
.LBB444_1319:                           ;   in Loop: Header=BB444_13 Depth=1
	s_delay_alu instid0(SALU_CYCLE_1)
	s_or_b32 exec_lo, exec_lo, s22
.LBB444_1320:                           ;   in Loop: Header=BB444_13 Depth=1
	s_delay_alu instid0(SALU_CYCLE_1) | instskip(NEXT) | instid1(VALU_DEP_1)
	s_or_b32 exec_lo, exec_lo, s21
	v_mul_f32_e32 v35, v171, v35
                                        ; implicit-def: $vgpr60
	s_delay_alu instid0(VALU_DEP_1) | instskip(NEXT) | instid1(VALU_DEP_1)
	v_and_b32_e32 v36, 0x7f800000, v35
	v_cmp_ne_u32_e64 s1, 0x7f800000, v36
	s_delay_alu instid0(VALU_DEP_1) | instskip(NEXT) | instid1(SALU_CYCLE_1)
	s_and_saveexec_b32 s21, s1
	s_xor_b32 s1, exec_lo, s21
; %bb.1321:                             ;   in Loop: Header=BB444_13 Depth=1
	v_bfe_u32 v36, v35, 16, 1
	s_delay_alu instid0(VALU_DEP_1)
	v_add3_u32 v60, v35, v36, 0x7fff
                                        ; implicit-def: $vgpr35
; %bb.1322:                             ;   in Loop: Header=BB444_13 Depth=1
	s_and_not1_saveexec_b32 s21, s1
; %bb.1323:                             ;   in Loop: Header=BB444_13 Depth=1
	v_and_b32_e32 v36, 0xffff, v35
	v_or_b32_e32 v60, 0x10000, v35
	s_delay_alu instid0(VALU_DEP_2) | instskip(NEXT) | instid1(VALU_DEP_1)
	v_cmp_eq_u32_e64 s1, 0, v36
	v_cndmask_b32_e64 v60, v60, v35, s1
; %bb.1324:                             ;   in Loop: Header=BB444_13 Depth=1
	s_or_b32 exec_lo, exec_lo, s21
	v_lshrrev_b16 v36, 8, v19
	v_mov_b32_e32 v35, 0
	s_mov_b32 s21, exec_lo
	s_delay_alu instid0(VALU_DEP_2)
	v_cmpx_ne_u16_e32 0, v36
	s_cbranch_execz .LBB444_1332
; %bb.1325:                             ;   in Loop: Header=BB444_13 Depth=1
	v_bfrev_b32_e32 v35, 1
	s_mov_b32 s22, exec_lo
	v_cmpx_ne_u16_e32 0x80, v36
	s_cbranch_execz .LBB444_1331
; %bb.1326:                             ;   in Loop: Header=BB444_13 Depth=1
	v_and_b32_e32 v36, 0xffff, v36
	v_mov_b32_e32 v35, 0x7f800001
	s_mov_b32 s23, exec_lo
	s_delay_alu instid0(VALU_DEP_2) | instskip(NEXT) | instid1(VALU_DEP_1)
	v_and_b32_e32 v62, 0x7f, v36
	v_cmpx_ne_u32_e32 0x7f, v62
	s_cbranch_execz .LBB444_1330
; %bb.1327:                             ;   in Loop: Header=BB444_13 Depth=1
	v_dual_mov_b32 v36, v20 :: v_dual_and_b32 v35, 7, v36
	v_lshrrev_b32_e32 v61, 3, v62
	s_mov_b32 s24, exec_lo
	v_cmpx_gt_u32_e32 8, v62
; %bb.1328:                             ;   in Loop: Header=BB444_13 Depth=1
	s_delay_alu instid0(VALU_DEP_3) | instskip(NEXT) | instid1(VALU_DEP_1)
	v_clz_i32_u32_e32 v61, v35
	v_min_u32_e32 v61, 32, v61
	s_delay_alu instid0(VALU_DEP_1) | instskip(SKIP_1) | instid1(VALU_DEP_2)
	v_subrev_nc_u32_e32 v62, 28, v61
	v_sub_nc_u32_e32 v61, 29, v61
	v_lshlrev_b64 v[35:36], v62, v[35:36]
	s_delay_alu instid0(VALU_DEP_1)
	v_and_b32_e32 v35, 7, v35
; %bb.1329:                             ;   in Loop: Header=BB444_13 Depth=1
	s_or_b32 exec_lo, exec_lo, s24
	v_lshlrev_b32_e32 v19, 16, v19
	s_delay_alu instid0(VALU_DEP_2) | instskip(SKIP_1) | instid1(VALU_DEP_3)
	v_lshlrev_b32_e32 v35, 20, v35
	v_lshl_add_u32 v36, v61, 23, 0x3c000000
	v_and_b32_e32 v19, 0x80000000, v19
	s_delay_alu instid0(VALU_DEP_1)
	v_or3_b32 v35, v35, v19, v36
.LBB444_1330:                           ;   in Loop: Header=BB444_13 Depth=1
	s_or_b32 exec_lo, exec_lo, s23
.LBB444_1331:                           ;   in Loop: Header=BB444_13 Depth=1
	s_delay_alu instid0(SALU_CYCLE_1)
	s_or_b32 exec_lo, exec_lo, s22
.LBB444_1332:                           ;   in Loop: Header=BB444_13 Depth=1
	s_delay_alu instid0(SALU_CYCLE_1) | instskip(NEXT) | instid1(VALU_DEP_1)
	s_or_b32 exec_lo, exec_lo, s21
	v_mul_f32_e32 v19, v171, v35
                                        ; implicit-def: $vgpr61
	s_delay_alu instid0(VALU_DEP_1) | instskip(NEXT) | instid1(VALU_DEP_1)
	v_and_b32_e32 v35, 0x7f800000, v19
	v_cmp_ne_u32_e64 s1, 0x7f800000, v35
	s_delay_alu instid0(VALU_DEP_1) | instskip(NEXT) | instid1(SALU_CYCLE_1)
	s_and_saveexec_b32 s21, s1
	s_xor_b32 s1, exec_lo, s21
; %bb.1333:                             ;   in Loop: Header=BB444_13 Depth=1
	v_bfe_u32 v35, v19, 16, 1
	s_delay_alu instid0(VALU_DEP_1)
	v_add3_u32 v61, v19, v35, 0x7fff
                                        ; implicit-def: $vgpr19
; %bb.1334:                             ;   in Loop: Header=BB444_13 Depth=1
	s_and_not1_saveexec_b32 s21, s1
; %bb.1335:                             ;   in Loop: Header=BB444_13 Depth=1
	v_and_b32_e32 v35, 0xffff, v19
	v_or_b32_e32 v36, 0x10000, v19
	s_delay_alu instid0(VALU_DEP_2) | instskip(NEXT) | instid1(VALU_DEP_1)
	v_cmp_eq_u32_e64 s1, 0, v35
	v_cndmask_b32_e64 v61, v36, v19, s1
; %bb.1336:                             ;   in Loop: Header=BB444_13 Depth=1
	s_or_b32 exec_lo, exec_lo, s21
	v_lshrrev_b32_e32 v62, 16, v34
	v_mov_b32_e32 v19, 0
	s_mov_b32 s21, exec_lo
	s_delay_alu instid0(VALU_DEP_2) | instskip(NEXT) | instid1(VALU_DEP_1)
	v_and_b32_e32 v35, 0xff, v62
	v_cmpx_ne_u16_e32 0, v35
	s_cbranch_execz .LBB444_1344
; %bb.1337:                             ;   in Loop: Header=BB444_13 Depth=1
	v_bfrev_b32_e32 v19, 1
	s_mov_b32 s22, exec_lo
	v_cmpx_ne_u16_e32 0x80, v35
	s_cbranch_execz .LBB444_1343
; %bb.1338:                             ;   in Loop: Header=BB444_13 Depth=1
	v_bfe_u32 v35, v34, 16, 7
	v_mov_b32_e32 v19, 0x7f800001
	s_mov_b32 s23, exec_lo
	s_delay_alu instid0(VALU_DEP_2)
	v_cmpx_ne_u32_e32 0x7f, v35
	s_cbranch_execz .LBB444_1342
; %bb.1339:                             ;   in Loop: Header=BB444_13 Depth=1
	v_and_b32_e32 v19, 7, v62
	v_lshrrev_b32_e32 v63, 3, v35
	v_cmp_gt_u32_e64 s1, 8, v35
	s_delay_alu instid0(VALU_DEP_3) | instskip(NEXT) | instid1(VALU_DEP_2)
	v_dual_mov_b32 v36, v20 :: v_dual_mov_b32 v35, v19
	s_and_saveexec_b32 s24, s1
; %bb.1340:                             ;   in Loop: Header=BB444_13 Depth=1
	v_clz_i32_u32_e32 v35, v19
	s_delay_alu instid0(VALU_DEP_1) | instskip(NEXT) | instid1(VALU_DEP_1)
	v_min_u32_e32 v63, 32, v35
	v_subrev_nc_u32_e32 v35, 28, v63
	v_sub_nc_u32_e32 v63, 29, v63
	s_delay_alu instid0(VALU_DEP_2) | instskip(NEXT) | instid1(VALU_DEP_1)
	v_lshlrev_b64 v[35:36], v35, v[19:20]
	v_and_b32_e32 v35, 7, v35
; %bb.1341:                             ;   in Loop: Header=BB444_13 Depth=1
	s_or_b32 exec_lo, exec_lo, s24
	v_lshlrev_b32_e32 v19, 24, v62
	s_delay_alu instid0(VALU_DEP_2) | instskip(SKIP_1) | instid1(VALU_DEP_3)
	v_lshlrev_b32_e32 v35, 20, v35
	v_lshl_add_u32 v36, v63, 23, 0x3c000000
	v_and_b32_e32 v19, 0x80000000, v19
	s_delay_alu instid0(VALU_DEP_1)
	v_or3_b32 v19, v35, v19, v36
.LBB444_1342:                           ;   in Loop: Header=BB444_13 Depth=1
	s_or_b32 exec_lo, exec_lo, s23
.LBB444_1343:                           ;   in Loop: Header=BB444_13 Depth=1
	s_delay_alu instid0(SALU_CYCLE_1)
	s_or_b32 exec_lo, exec_lo, s22
.LBB444_1344:                           ;   in Loop: Header=BB444_13 Depth=1
	s_delay_alu instid0(SALU_CYCLE_1) | instskip(NEXT) | instid1(VALU_DEP_1)
	s_or_b32 exec_lo, exec_lo, s21
	v_mul_f32_e32 v19, v171, v19
	s_delay_alu instid0(VALU_DEP_1) | instskip(NEXT) | instid1(VALU_DEP_1)
	v_and_b32_e32 v35, 0x7f800000, v19
	v_cmp_ne_u32_e64 s1, 0x7f800000, v35
                                        ; implicit-def: $vgpr35
	s_delay_alu instid0(VALU_DEP_1) | instskip(NEXT) | instid1(SALU_CYCLE_1)
	s_and_saveexec_b32 s21, s1
	s_xor_b32 s1, exec_lo, s21
; %bb.1345:                             ;   in Loop: Header=BB444_13 Depth=1
	v_bfe_u32 v35, v19, 16, 1
	s_delay_alu instid0(VALU_DEP_1)
	v_add3_u32 v35, v19, v35, 0x7fff
                                        ; implicit-def: $vgpr19
; %bb.1346:                             ;   in Loop: Header=BB444_13 Depth=1
	s_and_not1_saveexec_b32 s21, s1
; %bb.1347:                             ;   in Loop: Header=BB444_13 Depth=1
	v_and_b32_e32 v35, 0xffff, v19
	v_or_b32_e32 v36, 0x10000, v19
	s_delay_alu instid0(VALU_DEP_2) | instskip(NEXT) | instid1(VALU_DEP_1)
	v_cmp_eq_u32_e64 s1, 0, v35
	v_cndmask_b32_e64 v35, v36, v19, s1
; %bb.1348:                             ;   in Loop: Header=BB444_13 Depth=1
	s_or_b32 exec_lo, exec_lo, s21
	v_mov_b32_e32 v19, 0
	s_mov_b32 s21, exec_lo
	v_cmpx_lt_u64_e64 s[16:17], v[33:34]
	s_cbranch_execz .LBB444_1356
; %bb.1349:                             ;   in Loop: Header=BB444_13 Depth=1
	v_lshrrev_b32_e32 v36, 24, v34
	v_bfrev_b32_e32 v19, 1
	s_mov_b32 s22, exec_lo
	s_delay_alu instid0(VALU_DEP_2)
	v_cmpx_ne_u32_e32 0x80, v36
	s_cbranch_execz .LBB444_1355
; %bb.1350:                             ;   in Loop: Header=BB444_13 Depth=1
	v_bfe_u32 v33, v34, 24, 7
	v_mov_b32_e32 v19, 0x7f800001
	s_mov_b32 s23, exec_lo
	s_delay_alu instid0(VALU_DEP_2)
	v_cmpx_ne_u32_e32 0x7f, v33
	s_cbranch_execz .LBB444_1354
; %bb.1351:                             ;   in Loop: Header=BB444_13 Depth=1
	v_and_b32_e32 v19, 7, v36
	v_lshrrev_b32_e32 v62, 3, v33
	v_cmp_gt_u32_e64 s1, 8, v33
	s_delay_alu instid0(VALU_DEP_3) | instskip(NEXT) | instid1(VALU_DEP_2)
	v_dual_mov_b32 v34, v20 :: v_dual_mov_b32 v33, v19
	s_and_saveexec_b32 s24, s1
; %bb.1352:                             ;   in Loop: Header=BB444_13 Depth=1
	v_clz_i32_u32_e32 v33, v19
	s_delay_alu instid0(VALU_DEP_1) | instskip(NEXT) | instid1(VALU_DEP_1)
	v_min_u32_e32 v62, 32, v33
	v_subrev_nc_u32_e32 v33, 28, v62
	v_sub_nc_u32_e32 v62, 29, v62
	s_delay_alu instid0(VALU_DEP_2) | instskip(NEXT) | instid1(VALU_DEP_1)
	v_lshlrev_b64 v[33:34], v33, v[19:20]
	v_and_b32_e32 v33, 7, v33
; %bb.1353:                             ;   in Loop: Header=BB444_13 Depth=1
	s_or_b32 exec_lo, exec_lo, s24
	v_lshlrev_b32_e32 v19, 24, v36
	s_delay_alu instid0(VALU_DEP_2) | instskip(SKIP_1) | instid1(VALU_DEP_3)
	v_lshlrev_b32_e32 v33, 20, v33
	v_lshl_add_u32 v34, v62, 23, 0x3c000000
	v_and_b32_e32 v19, 0x80000000, v19
	s_delay_alu instid0(VALU_DEP_1)
	v_or3_b32 v19, v33, v19, v34
.LBB444_1354:                           ;   in Loop: Header=BB444_13 Depth=1
	s_or_b32 exec_lo, exec_lo, s23
.LBB444_1355:                           ;   in Loop: Header=BB444_13 Depth=1
	s_delay_alu instid0(SALU_CYCLE_1)
	s_or_b32 exec_lo, exec_lo, s22
.LBB444_1356:                           ;   in Loop: Header=BB444_13 Depth=1
	s_delay_alu instid0(SALU_CYCLE_1) | instskip(NEXT) | instid1(VALU_DEP_1)
	s_or_b32 exec_lo, exec_lo, s21
	v_mul_f32_e32 v19, v171, v19
                                        ; implicit-def: $vgpr36
	s_delay_alu instid0(VALU_DEP_1) | instskip(NEXT) | instid1(VALU_DEP_1)
	v_and_b32_e32 v33, 0x7f800000, v19
	v_cmp_ne_u32_e64 s1, 0x7f800000, v33
	s_delay_alu instid0(VALU_DEP_1) | instskip(NEXT) | instid1(SALU_CYCLE_1)
	s_and_saveexec_b32 s21, s1
	s_xor_b32 s1, exec_lo, s21
; %bb.1357:                             ;   in Loop: Header=BB444_13 Depth=1
	v_bfe_u32 v33, v19, 16, 1
	s_delay_alu instid0(VALU_DEP_1)
	v_add3_u32 v36, v19, v33, 0x7fff
                                        ; implicit-def: $vgpr19
; %bb.1358:                             ;   in Loop: Header=BB444_13 Depth=1
	s_and_not1_saveexec_b32 s21, s1
; %bb.1359:                             ;   in Loop: Header=BB444_13 Depth=1
	v_and_b32_e32 v33, 0xffff, v19
	v_or_b32_e32 v34, 0x10000, v19
	s_delay_alu instid0(VALU_DEP_2) | instskip(NEXT) | instid1(VALU_DEP_1)
	v_cmp_eq_u32_e64 s1, 0, v33
	v_cndmask_b32_e64 v36, v34, v19, s1
; %bb.1360:                             ;   in Loop: Header=BB444_13 Depth=1
	s_or_b32 exec_lo, exec_lo, s21
	flat_load_b64 v[31:32], v[31:32] offset:3584
	v_mov_b32_e32 v19, 0
	s_mov_b32 s21, exec_lo
	s_waitcnt vmcnt(0) lgkmcnt(0)
	v_and_b32_e32 v33, 0xff, v31
	s_delay_alu instid0(VALU_DEP_1)
	v_cmpx_ne_u16_e32 0, v33
	s_cbranch_execz .LBB444_1368
; %bb.1361:                             ;   in Loop: Header=BB444_13 Depth=1
	v_bfrev_b32_e32 v19, 1
	s_mov_b32 s22, exec_lo
	v_cmpx_ne_u16_e32 0x80, v33
	s_cbranch_execz .LBB444_1367
; %bb.1362:                             ;   in Loop: Header=BB444_13 Depth=1
	v_and_b32_e32 v33, 0x7f, v31
	v_mov_b32_e32 v19, 0x7f800001
	s_mov_b32 s23, exec_lo
	s_delay_alu instid0(VALU_DEP_2)
	v_cmpx_ne_u32_e32 0x7f, v33
	s_cbranch_execz .LBB444_1366
; %bb.1363:                             ;   in Loop: Header=BB444_13 Depth=1
	v_lshrrev_b32_e32 v19, 3, v33
	v_cmp_gt_u32_e64 s1, 8, v33
	v_dual_mov_b32 v34, v32 :: v_dual_mov_b32 v33, v31
	s_delay_alu instid0(VALU_DEP_2)
	s_and_saveexec_b32 s24, s1
; %bb.1364:                             ;   in Loop: Header=BB444_13 Depth=1
	v_and_b32_e32 v19, 7, v31
	s_delay_alu instid0(VALU_DEP_1) | instskip(NEXT) | instid1(VALU_DEP_1)
	v_clz_i32_u32_e32 v19, v19
	v_min_u32_e32 v19, 32, v19
	s_delay_alu instid0(VALU_DEP_1) | instskip(SKIP_1) | instid1(VALU_DEP_2)
	v_subrev_nc_u32_e32 v33, 28, v19
	v_sub_nc_u32_e32 v19, 29, v19
	v_lshlrev_b64 v[33:34], v33, v[31:32]
; %bb.1365:                             ;   in Loop: Header=BB444_13 Depth=1
	s_or_b32 exec_lo, exec_lo, s24
	s_delay_alu instid0(VALU_DEP_1) | instskip(SKIP_2) | instid1(VALU_DEP_3)
	v_lshlrev_b32_e32 v33, 20, v33
	v_lshlrev_b32_e32 v34, 24, v31
	v_lshl_add_u32 v19, v19, 23, 0x3c000000
	v_and_b32_e32 v33, 0x700000, v33
	s_delay_alu instid0(VALU_DEP_3) | instskip(NEXT) | instid1(VALU_DEP_1)
	v_and_b32_e32 v34, 0x80000000, v34
	v_or3_b32 v19, v33, v34, v19
.LBB444_1366:                           ;   in Loop: Header=BB444_13 Depth=1
	s_or_b32 exec_lo, exec_lo, s23
.LBB444_1367:                           ;   in Loop: Header=BB444_13 Depth=1
	s_delay_alu instid0(SALU_CYCLE_1)
	s_or_b32 exec_lo, exec_lo, s22
.LBB444_1368:                           ;   in Loop: Header=BB444_13 Depth=1
	s_delay_alu instid0(SALU_CYCLE_1) | instskip(NEXT) | instid1(VALU_DEP_1)
	s_or_b32 exec_lo, exec_lo, s21
	v_mul_f32_e32 v19, v171, v19
                                        ; implicit-def: $vgpr62
	s_delay_alu instid0(VALU_DEP_1) | instskip(NEXT) | instid1(VALU_DEP_1)
	v_and_b32_e32 v33, 0x7f800000, v19
	v_cmp_ne_u32_e64 s1, 0x7f800000, v33
	s_delay_alu instid0(VALU_DEP_1) | instskip(NEXT) | instid1(SALU_CYCLE_1)
	s_and_saveexec_b32 s21, s1
	s_xor_b32 s1, exec_lo, s21
; %bb.1369:                             ;   in Loop: Header=BB444_13 Depth=1
	v_bfe_u32 v33, v19, 16, 1
	s_delay_alu instid0(VALU_DEP_1)
	v_add3_u32 v62, v19, v33, 0x7fff
                                        ; implicit-def: $vgpr19
; %bb.1370:                             ;   in Loop: Header=BB444_13 Depth=1
	s_and_not1_saveexec_b32 s21, s1
; %bb.1371:                             ;   in Loop: Header=BB444_13 Depth=1
	v_and_b32_e32 v33, 0xffff, v19
	v_or_b32_e32 v34, 0x10000, v19
	s_delay_alu instid0(VALU_DEP_2) | instskip(NEXT) | instid1(VALU_DEP_1)
	v_cmp_eq_u32_e64 s1, 0, v33
	v_cndmask_b32_e64 v62, v34, v19, s1
; %bb.1372:                             ;   in Loop: Header=BB444_13 Depth=1
	s_or_b32 exec_lo, exec_lo, s21
	v_lshrrev_b16 v33, 8, v31
	v_mov_b32_e32 v19, 0
	s_mov_b32 s21, exec_lo
	s_delay_alu instid0(VALU_DEP_2)
	v_cmpx_ne_u16_e32 0, v33
	s_cbranch_execz .LBB444_1380
; %bb.1373:                             ;   in Loop: Header=BB444_13 Depth=1
	v_bfrev_b32_e32 v19, 1
	s_mov_b32 s22, exec_lo
	v_cmpx_ne_u16_e32 0x80, v33
	s_cbranch_execz .LBB444_1379
; %bb.1374:                             ;   in Loop: Header=BB444_13 Depth=1
	v_and_b32_e32 v34, 0xffff, v33
	v_mov_b32_e32 v19, 0x7f800001
	s_mov_b32 s23, exec_lo
	s_delay_alu instid0(VALU_DEP_2) | instskip(NEXT) | instid1(VALU_DEP_1)
	v_and_b32_e32 v33, 0x7f, v34
	v_cmpx_ne_u32_e32 0x7f, v33
	s_cbranch_execz .LBB444_1378
; %bb.1375:                             ;   in Loop: Header=BB444_13 Depth=1
	v_and_b32_e32 v19, 7, v34
	v_lshrrev_b32_e32 v63, 3, v33
	v_cmp_gt_u32_e64 s1, 8, v33
	s_delay_alu instid0(VALU_DEP_3) | instskip(NEXT) | instid1(VALU_DEP_2)
	v_dual_mov_b32 v34, v20 :: v_dual_mov_b32 v33, v19
	s_and_saveexec_b32 s24, s1
; %bb.1376:                             ;   in Loop: Header=BB444_13 Depth=1
	v_clz_i32_u32_e32 v33, v19
	s_delay_alu instid0(VALU_DEP_1) | instskip(NEXT) | instid1(VALU_DEP_1)
	v_min_u32_e32 v63, 32, v33
	v_subrev_nc_u32_e32 v33, 28, v63
	v_sub_nc_u32_e32 v63, 29, v63
	s_delay_alu instid0(VALU_DEP_2) | instskip(NEXT) | instid1(VALU_DEP_1)
	v_lshlrev_b64 v[33:34], v33, v[19:20]
	v_and_b32_e32 v33, 7, v33
; %bb.1377:                             ;   in Loop: Header=BB444_13 Depth=1
	s_or_b32 exec_lo, exec_lo, s24
	v_lshlrev_b32_e32 v19, 16, v31
	s_delay_alu instid0(VALU_DEP_2) | instskip(SKIP_1) | instid1(VALU_DEP_3)
	v_lshlrev_b32_e32 v33, 20, v33
	v_lshl_add_u32 v34, v63, 23, 0x3c000000
	v_and_b32_e32 v19, 0x80000000, v19
	s_delay_alu instid0(VALU_DEP_1)
	v_or3_b32 v19, v33, v19, v34
.LBB444_1378:                           ;   in Loop: Header=BB444_13 Depth=1
	s_or_b32 exec_lo, exec_lo, s23
.LBB444_1379:                           ;   in Loop: Header=BB444_13 Depth=1
	s_delay_alu instid0(SALU_CYCLE_1)
	s_or_b32 exec_lo, exec_lo, s22
.LBB444_1380:                           ;   in Loop: Header=BB444_13 Depth=1
	s_delay_alu instid0(SALU_CYCLE_1) | instskip(NEXT) | instid1(VALU_DEP_1)
	s_or_b32 exec_lo, exec_lo, s21
	v_mul_f32_e32 v19, v171, v19
                                        ; implicit-def: $vgpr63
	s_delay_alu instid0(VALU_DEP_1) | instskip(NEXT) | instid1(VALU_DEP_1)
	v_and_b32_e32 v33, 0x7f800000, v19
	v_cmp_ne_u32_e64 s1, 0x7f800000, v33
	s_delay_alu instid0(VALU_DEP_1) | instskip(NEXT) | instid1(SALU_CYCLE_1)
	s_and_saveexec_b32 s21, s1
	s_xor_b32 s1, exec_lo, s21
; %bb.1381:                             ;   in Loop: Header=BB444_13 Depth=1
	v_bfe_u32 v33, v19, 16, 1
	s_delay_alu instid0(VALU_DEP_1)
	v_add3_u32 v63, v19, v33, 0x7fff
                                        ; implicit-def: $vgpr19
; %bb.1382:                             ;   in Loop: Header=BB444_13 Depth=1
	s_and_not1_saveexec_b32 s21, s1
; %bb.1383:                             ;   in Loop: Header=BB444_13 Depth=1
	v_and_b32_e32 v33, 0xffff, v19
	v_or_b32_e32 v34, 0x10000, v19
	s_delay_alu instid0(VALU_DEP_2) | instskip(NEXT) | instid1(VALU_DEP_1)
	v_cmp_eq_u32_e64 s1, 0, v33
	v_cndmask_b32_e64 v63, v34, v19, s1
; %bb.1384:                             ;   in Loop: Header=BB444_13 Depth=1
	s_or_b32 exec_lo, exec_lo, s21
	v_lshrrev_b32_e32 v72, 16, v31
	v_mov_b32_e32 v19, 0
	s_mov_b32 s21, exec_lo
	s_delay_alu instid0(VALU_DEP_2) | instskip(NEXT) | instid1(VALU_DEP_1)
	v_and_b32_e32 v33, 0xff, v72
	v_cmpx_ne_u16_e32 0, v33
	s_cbranch_execz .LBB444_1392
; %bb.1385:                             ;   in Loop: Header=BB444_13 Depth=1
	v_bfrev_b32_e32 v19, 1
	s_mov_b32 s22, exec_lo
	v_cmpx_ne_u16_e32 0x80, v33
	s_cbranch_execz .LBB444_1391
; %bb.1386:                             ;   in Loop: Header=BB444_13 Depth=1
	v_bfe_u32 v33, v31, 16, 7
	v_mov_b32_e32 v19, 0x7f800001
	s_mov_b32 s23, exec_lo
	s_delay_alu instid0(VALU_DEP_2)
	v_cmpx_ne_u32_e32 0x7f, v33
	s_cbranch_execz .LBB444_1390
; %bb.1387:                             ;   in Loop: Header=BB444_13 Depth=1
	v_and_b32_e32 v19, 7, v72
	v_lshrrev_b32_e32 v73, 3, v33
	v_cmp_gt_u32_e64 s1, 8, v33
	s_delay_alu instid0(VALU_DEP_3) | instskip(NEXT) | instid1(VALU_DEP_2)
	v_dual_mov_b32 v34, v20 :: v_dual_mov_b32 v33, v19
	s_and_saveexec_b32 s24, s1
; %bb.1388:                             ;   in Loop: Header=BB444_13 Depth=1
	v_clz_i32_u32_e32 v33, v19
	s_delay_alu instid0(VALU_DEP_1) | instskip(NEXT) | instid1(VALU_DEP_1)
	v_min_u32_e32 v73, 32, v33
	v_subrev_nc_u32_e32 v33, 28, v73
	v_sub_nc_u32_e32 v73, 29, v73
	s_delay_alu instid0(VALU_DEP_2) | instskip(NEXT) | instid1(VALU_DEP_1)
	v_lshlrev_b64 v[33:34], v33, v[19:20]
	v_and_b32_e32 v33, 7, v33
; %bb.1389:                             ;   in Loop: Header=BB444_13 Depth=1
	s_or_b32 exec_lo, exec_lo, s24
	v_lshlrev_b32_e32 v19, 24, v72
	s_delay_alu instid0(VALU_DEP_2) | instskip(SKIP_1) | instid1(VALU_DEP_3)
	v_lshlrev_b32_e32 v33, 20, v33
	v_lshl_add_u32 v34, v73, 23, 0x3c000000
	v_and_b32_e32 v19, 0x80000000, v19
	s_delay_alu instid0(VALU_DEP_1)
	v_or3_b32 v19, v33, v19, v34
.LBB444_1390:                           ;   in Loop: Header=BB444_13 Depth=1
	s_or_b32 exec_lo, exec_lo, s23
.LBB444_1391:                           ;   in Loop: Header=BB444_13 Depth=1
	s_delay_alu instid0(SALU_CYCLE_1)
	s_or_b32 exec_lo, exec_lo, s22
.LBB444_1392:                           ;   in Loop: Header=BB444_13 Depth=1
	s_delay_alu instid0(SALU_CYCLE_1) | instskip(NEXT) | instid1(VALU_DEP_1)
	s_or_b32 exec_lo, exec_lo, s21
	v_mul_f32_e32 v19, v171, v19
                                        ; implicit-def: $vgpr72
	s_delay_alu instid0(VALU_DEP_1) | instskip(NEXT) | instid1(VALU_DEP_1)
	v_and_b32_e32 v33, 0x7f800000, v19
	v_cmp_ne_u32_e64 s1, 0x7f800000, v33
	s_delay_alu instid0(VALU_DEP_1) | instskip(NEXT) | instid1(SALU_CYCLE_1)
	s_and_saveexec_b32 s21, s1
	s_xor_b32 s1, exec_lo, s21
; %bb.1393:                             ;   in Loop: Header=BB444_13 Depth=1
	v_bfe_u32 v33, v19, 16, 1
	s_delay_alu instid0(VALU_DEP_1)
	v_add3_u32 v72, v19, v33, 0x7fff
                                        ; implicit-def: $vgpr19
; %bb.1394:                             ;   in Loop: Header=BB444_13 Depth=1
	s_and_not1_saveexec_b32 s21, s1
; %bb.1395:                             ;   in Loop: Header=BB444_13 Depth=1
	v_and_b32_e32 v33, 0xffff, v19
	v_or_b32_e32 v34, 0x10000, v19
	s_delay_alu instid0(VALU_DEP_2) | instskip(NEXT) | instid1(VALU_DEP_1)
	v_cmp_eq_u32_e64 s1, 0, v33
	v_cndmask_b32_e64 v72, v34, v19, s1
; %bb.1396:                             ;   in Loop: Header=BB444_13 Depth=1
	s_or_b32 exec_lo, exec_lo, s21
	v_mov_b32_e32 v19, 0
	s_mov_b32 s21, exec_lo
	v_cmpx_lt_u32_e32 0xffffff, v31
	s_cbranch_execz .LBB444_1404
; %bb.1397:                             ;   in Loop: Header=BB444_13 Depth=1
	v_lshrrev_b32_e32 v73, 24, v31
	v_bfrev_b32_e32 v19, 1
	s_mov_b32 s22, exec_lo
	s_delay_alu instid0(VALU_DEP_2)
	v_cmpx_ne_u32_e32 0x80, v73
	s_cbranch_execz .LBB444_1403
; %bb.1398:                             ;   in Loop: Header=BB444_13 Depth=1
	v_bfe_u32 v33, v31, 24, 7
	v_mov_b32_e32 v19, 0x7f800001
	s_mov_b32 s23, exec_lo
	s_delay_alu instid0(VALU_DEP_2)
	v_cmpx_ne_u32_e32 0x7f, v33
	s_cbranch_execz .LBB444_1402
; %bb.1399:                             ;   in Loop: Header=BB444_13 Depth=1
	v_and_b32_e32 v19, 7, v73
	v_lshrrev_b32_e32 v74, 3, v33
	v_cmp_gt_u32_e64 s1, 8, v33
	s_delay_alu instid0(VALU_DEP_3) | instskip(NEXT) | instid1(VALU_DEP_2)
	v_dual_mov_b32 v34, v20 :: v_dual_mov_b32 v33, v19
	s_and_saveexec_b32 s24, s1
; %bb.1400:                             ;   in Loop: Header=BB444_13 Depth=1
	v_clz_i32_u32_e32 v33, v19
	s_delay_alu instid0(VALU_DEP_1) | instskip(NEXT) | instid1(VALU_DEP_1)
	v_min_u32_e32 v74, 32, v33
	v_subrev_nc_u32_e32 v33, 28, v74
	v_sub_nc_u32_e32 v74, 29, v74
	s_delay_alu instid0(VALU_DEP_2) | instskip(NEXT) | instid1(VALU_DEP_1)
	v_lshlrev_b64 v[33:34], v33, v[19:20]
	v_and_b32_e32 v33, 7, v33
; %bb.1401:                             ;   in Loop: Header=BB444_13 Depth=1
	s_or_b32 exec_lo, exec_lo, s24
	v_lshlrev_b32_e32 v19, 24, v73
	s_delay_alu instid0(VALU_DEP_2) | instskip(SKIP_1) | instid1(VALU_DEP_3)
	v_lshlrev_b32_e32 v33, 20, v33
	v_lshl_add_u32 v34, v74, 23, 0x3c000000
	v_and_b32_e32 v19, 0x80000000, v19
	s_delay_alu instid0(VALU_DEP_1)
	v_or3_b32 v19, v33, v19, v34
.LBB444_1402:                           ;   in Loop: Header=BB444_13 Depth=1
	s_or_b32 exec_lo, exec_lo, s23
.LBB444_1403:                           ;   in Loop: Header=BB444_13 Depth=1
	s_delay_alu instid0(SALU_CYCLE_1)
	s_or_b32 exec_lo, exec_lo, s22
.LBB444_1404:                           ;   in Loop: Header=BB444_13 Depth=1
	s_delay_alu instid0(SALU_CYCLE_1) | instskip(NEXT) | instid1(VALU_DEP_1)
	s_or_b32 exec_lo, exec_lo, s21
	v_mul_f32_e32 v19, v171, v19
                                        ; implicit-def: $vgpr73
	s_delay_alu instid0(VALU_DEP_1) | instskip(NEXT) | instid1(VALU_DEP_1)
	v_and_b32_e32 v33, 0x7f800000, v19
	v_cmp_ne_u32_e64 s1, 0x7f800000, v33
	s_delay_alu instid0(VALU_DEP_1) | instskip(NEXT) | instid1(SALU_CYCLE_1)
	s_and_saveexec_b32 s21, s1
	s_xor_b32 s1, exec_lo, s21
; %bb.1405:                             ;   in Loop: Header=BB444_13 Depth=1
	v_bfe_u32 v33, v19, 16, 1
	s_delay_alu instid0(VALU_DEP_1)
	v_add3_u32 v73, v19, v33, 0x7fff
                                        ; implicit-def: $vgpr19
; %bb.1406:                             ;   in Loop: Header=BB444_13 Depth=1
	s_and_not1_saveexec_b32 s21, s1
; %bb.1407:                             ;   in Loop: Header=BB444_13 Depth=1
	v_and_b32_e32 v33, 0xffff, v19
	v_or_b32_e32 v34, 0x10000, v19
	s_delay_alu instid0(VALU_DEP_2) | instskip(NEXT) | instid1(VALU_DEP_1)
	v_cmp_eq_u32_e64 s1, 0, v33
	v_cndmask_b32_e64 v73, v34, v19, s1
; %bb.1408:                             ;   in Loop: Header=BB444_13 Depth=1
	s_or_b32 exec_lo, exec_lo, s21
	v_dual_mov_b32 v19, v32 :: v_dual_and_b32 v34, 0xff, v32
	v_mov_b32_e32 v33, 0
	s_mov_b32 s21, exec_lo
	s_delay_alu instid0(VALU_DEP_2)
	v_cmpx_ne_u16_e32 0, v34
	s_cbranch_execz .LBB444_1416
; %bb.1409:                             ;   in Loop: Header=BB444_13 Depth=1
	v_bfrev_b32_e32 v33, 1
	s_mov_b32 s22, exec_lo
	v_cmpx_ne_u16_e32 0x80, v34
	s_cbranch_execz .LBB444_1415
; %bb.1410:                             ;   in Loop: Header=BB444_13 Depth=1
	v_and_b32_e32 v34, 0x7f, v32
	v_mov_b32_e32 v33, 0x7f800001
	s_mov_b32 s23, exec_lo
	s_delay_alu instid0(VALU_DEP_2)
	v_cmpx_ne_u32_e32 0x7f, v34
	s_cbranch_execz .LBB444_1414
; %bb.1411:                             ;   in Loop: Header=BB444_13 Depth=1
	v_lshrrev_b32_e32 v74, 3, v34
	v_cmp_gt_u32_e64 s1, 8, v34
	v_dual_mov_b32 v34, v20 :: v_dual_mov_b32 v33, v19
	s_delay_alu instid0(VALU_DEP_2)
	s_and_saveexec_b32 s24, s1
; %bb.1412:                             ;   in Loop: Header=BB444_13 Depth=1
	v_and_b32_e32 v33, 7, v32
	s_delay_alu instid0(VALU_DEP_1) | instskip(NEXT) | instid1(VALU_DEP_1)
	v_clz_i32_u32_e32 v33, v33
	v_min_u32_e32 v74, 32, v33
	s_delay_alu instid0(VALU_DEP_1) | instskip(SKIP_1) | instid1(VALU_DEP_2)
	v_subrev_nc_u32_e32 v33, 28, v74
	v_sub_nc_u32_e32 v74, 29, v74
	v_lshlrev_b64 v[33:34], v33, v[19:20]
; %bb.1413:                             ;   in Loop: Header=BB444_13 Depth=1
	s_or_b32 exec_lo, exec_lo, s24
	s_delay_alu instid0(VALU_DEP_1) | instskip(SKIP_2) | instid1(VALU_DEP_3)
	v_lshlrev_b32_e32 v33, 20, v33
	v_lshlrev_b32_e32 v34, 24, v19
	v_lshl_add_u32 v74, v74, 23, 0x3c000000
	v_and_b32_e32 v33, 0x700000, v33
	s_delay_alu instid0(VALU_DEP_3) | instskip(NEXT) | instid1(VALU_DEP_1)
	v_and_b32_e32 v34, 0x80000000, v34
	v_or3_b32 v33, v33, v34, v74
.LBB444_1414:                           ;   in Loop: Header=BB444_13 Depth=1
	s_or_b32 exec_lo, exec_lo, s23
.LBB444_1415:                           ;   in Loop: Header=BB444_13 Depth=1
	s_delay_alu instid0(SALU_CYCLE_1)
	s_or_b32 exec_lo, exec_lo, s22
.LBB444_1416:                           ;   in Loop: Header=BB444_13 Depth=1
	s_delay_alu instid0(SALU_CYCLE_1) | instskip(NEXT) | instid1(VALU_DEP_1)
	s_or_b32 exec_lo, exec_lo, s21
	v_mul_f32_e32 v33, v171, v33
                                        ; implicit-def: $vgpr74
	s_delay_alu instid0(VALU_DEP_1) | instskip(NEXT) | instid1(VALU_DEP_1)
	v_and_b32_e32 v34, 0x7f800000, v33
	v_cmp_ne_u32_e64 s1, 0x7f800000, v34
	s_delay_alu instid0(VALU_DEP_1) | instskip(NEXT) | instid1(SALU_CYCLE_1)
	s_and_saveexec_b32 s21, s1
	s_xor_b32 s1, exec_lo, s21
; %bb.1417:                             ;   in Loop: Header=BB444_13 Depth=1
	v_bfe_u32 v34, v33, 16, 1
	s_delay_alu instid0(VALU_DEP_1)
	v_add3_u32 v74, v33, v34, 0x7fff
                                        ; implicit-def: $vgpr33
; %bb.1418:                             ;   in Loop: Header=BB444_13 Depth=1
	s_and_not1_saveexec_b32 s21, s1
; %bb.1419:                             ;   in Loop: Header=BB444_13 Depth=1
	v_and_b32_e32 v34, 0xffff, v33
	v_or_b32_e32 v74, 0x10000, v33
	s_delay_alu instid0(VALU_DEP_2) | instskip(NEXT) | instid1(VALU_DEP_1)
	v_cmp_eq_u32_e64 s1, 0, v34
	v_cndmask_b32_e64 v74, v74, v33, s1
; %bb.1420:                             ;   in Loop: Header=BB444_13 Depth=1
	s_or_b32 exec_lo, exec_lo, s21
	v_lshrrev_b16 v34, 8, v19
	v_mov_b32_e32 v33, 0
	s_mov_b32 s21, exec_lo
	s_delay_alu instid0(VALU_DEP_2)
	v_cmpx_ne_u16_e32 0, v34
	s_cbranch_execz .LBB444_1428
; %bb.1421:                             ;   in Loop: Header=BB444_13 Depth=1
	v_bfrev_b32_e32 v33, 1
	s_mov_b32 s22, exec_lo
	v_cmpx_ne_u16_e32 0x80, v34
	s_cbranch_execz .LBB444_1427
; %bb.1422:                             ;   in Loop: Header=BB444_13 Depth=1
	v_and_b32_e32 v34, 0xffff, v34
	v_mov_b32_e32 v33, 0x7f800001
	s_mov_b32 s23, exec_lo
	s_delay_alu instid0(VALU_DEP_2) | instskip(NEXT) | instid1(VALU_DEP_1)
	v_and_b32_e32 v76, 0x7f, v34
	v_cmpx_ne_u32_e32 0x7f, v76
	s_cbranch_execz .LBB444_1426
; %bb.1423:                             ;   in Loop: Header=BB444_13 Depth=1
	v_dual_mov_b32 v34, v20 :: v_dual_and_b32 v33, 7, v34
	v_lshrrev_b32_e32 v75, 3, v76
	s_mov_b32 s24, exec_lo
	v_cmpx_gt_u32_e32 8, v76
; %bb.1424:                             ;   in Loop: Header=BB444_13 Depth=1
	s_delay_alu instid0(VALU_DEP_3) | instskip(NEXT) | instid1(VALU_DEP_1)
	v_clz_i32_u32_e32 v75, v33
	v_min_u32_e32 v75, 32, v75
	s_delay_alu instid0(VALU_DEP_1) | instskip(SKIP_1) | instid1(VALU_DEP_2)
	v_subrev_nc_u32_e32 v76, 28, v75
	v_sub_nc_u32_e32 v75, 29, v75
	v_lshlrev_b64 v[33:34], v76, v[33:34]
	s_delay_alu instid0(VALU_DEP_1)
	v_and_b32_e32 v33, 7, v33
; %bb.1425:                             ;   in Loop: Header=BB444_13 Depth=1
	s_or_b32 exec_lo, exec_lo, s24
	v_lshlrev_b32_e32 v19, 16, v19
	s_delay_alu instid0(VALU_DEP_2) | instskip(SKIP_1) | instid1(VALU_DEP_3)
	v_lshlrev_b32_e32 v33, 20, v33
	v_lshl_add_u32 v34, v75, 23, 0x3c000000
	v_and_b32_e32 v19, 0x80000000, v19
	s_delay_alu instid0(VALU_DEP_1)
	v_or3_b32 v33, v33, v19, v34
.LBB444_1426:                           ;   in Loop: Header=BB444_13 Depth=1
	s_or_b32 exec_lo, exec_lo, s23
.LBB444_1427:                           ;   in Loop: Header=BB444_13 Depth=1
	s_delay_alu instid0(SALU_CYCLE_1)
	s_or_b32 exec_lo, exec_lo, s22
.LBB444_1428:                           ;   in Loop: Header=BB444_13 Depth=1
	s_delay_alu instid0(SALU_CYCLE_1) | instskip(NEXT) | instid1(VALU_DEP_1)
	s_or_b32 exec_lo, exec_lo, s21
	v_mul_f32_e32 v19, v171, v33
                                        ; implicit-def: $vgpr75
	s_delay_alu instid0(VALU_DEP_1) | instskip(NEXT) | instid1(VALU_DEP_1)
	v_and_b32_e32 v33, 0x7f800000, v19
	v_cmp_ne_u32_e64 s1, 0x7f800000, v33
	s_delay_alu instid0(VALU_DEP_1) | instskip(NEXT) | instid1(SALU_CYCLE_1)
	s_and_saveexec_b32 s21, s1
	s_xor_b32 s1, exec_lo, s21
; %bb.1429:                             ;   in Loop: Header=BB444_13 Depth=1
	v_bfe_u32 v33, v19, 16, 1
	s_delay_alu instid0(VALU_DEP_1)
	v_add3_u32 v75, v19, v33, 0x7fff
                                        ; implicit-def: $vgpr19
; %bb.1430:                             ;   in Loop: Header=BB444_13 Depth=1
	s_and_not1_saveexec_b32 s21, s1
; %bb.1431:                             ;   in Loop: Header=BB444_13 Depth=1
	v_and_b32_e32 v33, 0xffff, v19
	v_or_b32_e32 v34, 0x10000, v19
	s_delay_alu instid0(VALU_DEP_2) | instskip(NEXT) | instid1(VALU_DEP_1)
	v_cmp_eq_u32_e64 s1, 0, v33
	v_cndmask_b32_e64 v75, v34, v19, s1
; %bb.1432:                             ;   in Loop: Header=BB444_13 Depth=1
	s_or_b32 exec_lo, exec_lo, s21
	v_lshrrev_b32_e32 v76, 16, v32
	v_mov_b32_e32 v19, 0
	s_mov_b32 s21, exec_lo
	s_delay_alu instid0(VALU_DEP_2) | instskip(NEXT) | instid1(VALU_DEP_1)
	v_and_b32_e32 v33, 0xff, v76
	v_cmpx_ne_u16_e32 0, v33
	s_cbranch_execz .LBB444_1440
; %bb.1433:                             ;   in Loop: Header=BB444_13 Depth=1
	v_bfrev_b32_e32 v19, 1
	s_mov_b32 s22, exec_lo
	v_cmpx_ne_u16_e32 0x80, v33
	s_cbranch_execz .LBB444_1439
; %bb.1434:                             ;   in Loop: Header=BB444_13 Depth=1
	v_bfe_u32 v33, v32, 16, 7
	v_mov_b32_e32 v19, 0x7f800001
	s_mov_b32 s23, exec_lo
	s_delay_alu instid0(VALU_DEP_2)
	v_cmpx_ne_u32_e32 0x7f, v33
	s_cbranch_execz .LBB444_1438
; %bb.1435:                             ;   in Loop: Header=BB444_13 Depth=1
	v_and_b32_e32 v19, 7, v76
	v_lshrrev_b32_e32 v77, 3, v33
	v_cmp_gt_u32_e64 s1, 8, v33
	s_delay_alu instid0(VALU_DEP_3) | instskip(NEXT) | instid1(VALU_DEP_2)
	v_dual_mov_b32 v34, v20 :: v_dual_mov_b32 v33, v19
	s_and_saveexec_b32 s24, s1
; %bb.1436:                             ;   in Loop: Header=BB444_13 Depth=1
	v_clz_i32_u32_e32 v33, v19
	s_delay_alu instid0(VALU_DEP_1) | instskip(NEXT) | instid1(VALU_DEP_1)
	v_min_u32_e32 v77, 32, v33
	v_subrev_nc_u32_e32 v33, 28, v77
	v_sub_nc_u32_e32 v77, 29, v77
	s_delay_alu instid0(VALU_DEP_2) | instskip(NEXT) | instid1(VALU_DEP_1)
	v_lshlrev_b64 v[33:34], v33, v[19:20]
	v_and_b32_e32 v33, 7, v33
; %bb.1437:                             ;   in Loop: Header=BB444_13 Depth=1
	s_or_b32 exec_lo, exec_lo, s24
	v_lshlrev_b32_e32 v19, 24, v76
	s_delay_alu instid0(VALU_DEP_2) | instskip(SKIP_1) | instid1(VALU_DEP_3)
	v_lshlrev_b32_e32 v33, 20, v33
	v_lshl_add_u32 v34, v77, 23, 0x3c000000
	v_and_b32_e32 v19, 0x80000000, v19
	s_delay_alu instid0(VALU_DEP_1)
	v_or3_b32 v19, v33, v19, v34
.LBB444_1438:                           ;   in Loop: Header=BB444_13 Depth=1
	s_or_b32 exec_lo, exec_lo, s23
.LBB444_1439:                           ;   in Loop: Header=BB444_13 Depth=1
	s_delay_alu instid0(SALU_CYCLE_1)
	s_or_b32 exec_lo, exec_lo, s22
.LBB444_1440:                           ;   in Loop: Header=BB444_13 Depth=1
	s_delay_alu instid0(SALU_CYCLE_1) | instskip(NEXT) | instid1(VALU_DEP_1)
	s_or_b32 exec_lo, exec_lo, s21
	v_mul_f32_e32 v19, v171, v19
	s_delay_alu instid0(VALU_DEP_1) | instskip(NEXT) | instid1(VALU_DEP_1)
	v_and_b32_e32 v33, 0x7f800000, v19
	v_cmp_ne_u32_e64 s1, 0x7f800000, v33
                                        ; implicit-def: $vgpr33
	s_delay_alu instid0(VALU_DEP_1) | instskip(NEXT) | instid1(SALU_CYCLE_1)
	s_and_saveexec_b32 s21, s1
	s_xor_b32 s1, exec_lo, s21
; %bb.1441:                             ;   in Loop: Header=BB444_13 Depth=1
	v_bfe_u32 v33, v19, 16, 1
	s_delay_alu instid0(VALU_DEP_1)
	v_add3_u32 v33, v19, v33, 0x7fff
                                        ; implicit-def: $vgpr19
; %bb.1442:                             ;   in Loop: Header=BB444_13 Depth=1
	s_and_not1_saveexec_b32 s21, s1
; %bb.1443:                             ;   in Loop: Header=BB444_13 Depth=1
	v_and_b32_e32 v33, 0xffff, v19
	v_or_b32_e32 v34, 0x10000, v19
	s_delay_alu instid0(VALU_DEP_2) | instskip(NEXT) | instid1(VALU_DEP_1)
	v_cmp_eq_u32_e64 s1, 0, v33
	v_cndmask_b32_e64 v33, v34, v19, s1
; %bb.1444:                             ;   in Loop: Header=BB444_13 Depth=1
	s_or_b32 exec_lo, exec_lo, s21
	v_mov_b32_e32 v19, 0
	s_mov_b32 s21, exec_lo
	v_cmpx_lt_u64_e64 s[16:17], v[31:32]
	s_cbranch_execz .LBB444_1452
; %bb.1445:                             ;   in Loop: Header=BB444_13 Depth=1
	v_lshrrev_b32_e32 v34, 24, v32
	v_bfrev_b32_e32 v19, 1
	s_mov_b32 s22, exec_lo
	s_delay_alu instid0(VALU_DEP_2)
	v_cmpx_ne_u32_e32 0x80, v34
	s_cbranch_execz .LBB444_1451
; %bb.1446:                             ;   in Loop: Header=BB444_13 Depth=1
	v_bfe_u32 v31, v32, 24, 7
	v_mov_b32_e32 v19, 0x7f800001
	s_mov_b32 s23, exec_lo
	s_delay_alu instid0(VALU_DEP_2)
	v_cmpx_ne_u32_e32 0x7f, v31
	s_cbranch_execz .LBB444_1450
; %bb.1447:                             ;   in Loop: Header=BB444_13 Depth=1
	v_and_b32_e32 v19, 7, v34
	v_lshrrev_b32_e32 v76, 3, v31
	v_cmp_gt_u32_e64 s1, 8, v31
	s_delay_alu instid0(VALU_DEP_3) | instskip(NEXT) | instid1(VALU_DEP_2)
	v_dual_mov_b32 v32, v20 :: v_dual_mov_b32 v31, v19
	s_and_saveexec_b32 s24, s1
; %bb.1448:                             ;   in Loop: Header=BB444_13 Depth=1
	v_clz_i32_u32_e32 v31, v19
	s_delay_alu instid0(VALU_DEP_1) | instskip(NEXT) | instid1(VALU_DEP_1)
	v_min_u32_e32 v76, 32, v31
	v_subrev_nc_u32_e32 v31, 28, v76
	v_sub_nc_u32_e32 v76, 29, v76
	s_delay_alu instid0(VALU_DEP_2) | instskip(NEXT) | instid1(VALU_DEP_1)
	v_lshlrev_b64 v[31:32], v31, v[19:20]
	v_and_b32_e32 v31, 7, v31
; %bb.1449:                             ;   in Loop: Header=BB444_13 Depth=1
	s_or_b32 exec_lo, exec_lo, s24
	v_lshlrev_b32_e32 v19, 24, v34
	s_delay_alu instid0(VALU_DEP_2) | instskip(SKIP_1) | instid1(VALU_DEP_3)
	v_lshlrev_b32_e32 v31, 20, v31
	v_lshl_add_u32 v32, v76, 23, 0x3c000000
	v_and_b32_e32 v19, 0x80000000, v19
	s_delay_alu instid0(VALU_DEP_1)
	v_or3_b32 v19, v31, v19, v32
.LBB444_1450:                           ;   in Loop: Header=BB444_13 Depth=1
	s_or_b32 exec_lo, exec_lo, s23
.LBB444_1451:                           ;   in Loop: Header=BB444_13 Depth=1
	s_delay_alu instid0(SALU_CYCLE_1)
	s_or_b32 exec_lo, exec_lo, s22
.LBB444_1452:                           ;   in Loop: Header=BB444_13 Depth=1
	s_delay_alu instid0(SALU_CYCLE_1) | instskip(NEXT) | instid1(VALU_DEP_1)
	s_or_b32 exec_lo, exec_lo, s21
	v_mul_f32_e32 v31, v171, v19
	s_delay_alu instid0(VALU_DEP_1) | instskip(NEXT) | instid1(VALU_DEP_1)
	v_and_b32_e32 v19, 0x7f800000, v31
	v_cmp_ne_u32_e64 s1, 0x7f800000, v19
                                        ; implicit-def: $vgpr19
	s_delay_alu instid0(VALU_DEP_1) | instskip(NEXT) | instid1(SALU_CYCLE_1)
	s_and_saveexec_b32 s21, s1
	s_xor_b32 s1, exec_lo, s21
; %bb.1453:                             ;   in Loop: Header=BB444_13 Depth=1
	v_bfe_u32 v19, v31, 16, 1
	s_delay_alu instid0(VALU_DEP_1)
	v_add3_u32 v19, v31, v19, 0x7fff
                                        ; implicit-def: $vgpr31
; %bb.1454:                             ;   in Loop: Header=BB444_13 Depth=1
	s_and_not1_saveexec_b32 s21, s1
	s_cbranch_execz .LBB444_11
; %bb.1455:                             ;   in Loop: Header=BB444_13 Depth=1
	v_and_b32_e32 v19, 0xffff, v31
	v_or_b32_e32 v32, 0x10000, v31
	s_delay_alu instid0(VALU_DEP_2) | instskip(NEXT) | instid1(VALU_DEP_1)
	v_cmp_eq_u32_e64 s1, 0, v19
	v_cndmask_b32_e64 v19, v32, v31, s1
	s_branch .LBB444_11
.LBB444_1456:
	s_or_b32 exec_lo, exec_lo, s20
	s_clause 0xf
	scratch_load_b32 v31, off, s32 offset:680
	scratch_load_b32 v15, off, s32 offset:684
	;; [unrolled: 1-line block ×10, first 2 shown]
	scratch_load_b64 v[68:69], off, s32 offset:720
	scratch_load_b32 v21, off, s32 offset:728
	scratch_load_b32 v37, off, s32 offset:732
	;; [unrolled: 1-line block ×5, first 2 shown]
.LBB444_1457:
	s_or_b32 exec_lo, exec_lo, s19
	v_mbcnt_lo_u32_b32 v0, -1, 0
	s_waitcnt lgkmcnt(0)
	s_lshr_b32 s8, s15, 16
	s_delay_alu instid0(VALU_DEP_1) | instskip(SKIP_2) | instid1(VALU_DEP_3)
	v_xor_b32_e32 v1, 16, v0
	v_xor_b32_e32 v3, 8, v0
	;; [unrolled: 1-line block ×3, first 2 shown]
	v_cmp_gt_i32_e32 vcc_lo, 32, v1
	v_cndmask_b32_e32 v1, v0, v1, vcc_lo
	s_delay_alu instid0(VALU_DEP_4) | instskip(NEXT) | instid1(VALU_DEP_2)
	v_cmp_gt_i32_e32 vcc_lo, 32, v3
	v_dual_cndmask_b32 v3, v0, v3 :: v_dual_lshlrev_b32 v2, 2, v1
	v_max_f32_e32 v4, v141, v141
	v_cmp_gt_i32_e32 vcc_lo, 32, v5
	ds_bpermute_b32 v1, v2, v141
	v_lshlrev_b32_e32 v3, 2, v3
	v_cndmask_b32_e32 v5, v0, v5, vcc_lo
	s_waitcnt lgkmcnt(0)
	v_max_f32_e32 v1, v1, v1
	s_delay_alu instid0(VALU_DEP_1) | instskip(SKIP_3) | instid1(VALU_DEP_1)
	v_max_f32_e32 v1, v4, v1
	ds_bpermute_b32 v4, v3, v1
	s_waitcnt lgkmcnt(0)
	v_max_f32_e32 v6, v4, v4
	v_dual_max_f32 v1, v1, v6 :: v_dual_lshlrev_b32 v4, 2, v5
	v_xor_b32_e32 v6, 2, v0
	ds_bpermute_b32 v5, v4, v1
	v_cmp_gt_i32_e32 vcc_lo, 32, v6
	s_waitcnt lgkmcnt(0)
	v_dual_cndmask_b32 v6, v0, v6 :: v_dual_max_f32 v5, v5, v5
	s_delay_alu instid0(VALU_DEP_1) | instskip(SKIP_1) | instid1(VALU_DEP_1)
	v_lshlrev_b32_e32 v20, 2, v6
	v_xor_b32_e32 v6, 1, v0
	v_cmp_gt_i32_e32 vcc_lo, 32, v6
	s_delay_alu instid0(VALU_DEP_4) | instskip(SKIP_4) | instid1(VALU_DEP_1)
	v_dual_max_f32 v1, v1, v5 :: v_dual_cndmask_b32 v6, v0, v6
	ds_bpermute_b32 v5, v20, v1
	v_lshlrev_b32_e32 v19, 2, v6
	s_waitcnt lgkmcnt(0)
	v_max_f32_e32 v5, v5, v5
	v_max_f32_e32 v0, v1, v5
	scratch_load_b32 v5, off, s32 offset:328 ; 4-byte Folded Reload
	ds_bpermute_b32 v1, v19, v0
	s_waitcnt vmcnt(0)
	v_cmp_eq_u32_e32 vcc_lo, 0, v5
	scratch_load_b32 v5, off, s32 offset:668 ; 4-byte Folded Reload
	s_waitcnt vmcnt(0)
	v_lshlrev_b32_e32 v5, 2, v5
	s_and_saveexec_b32 s1, vcc_lo
	s_cbranch_execz .LBB444_1459
; %bb.1458:
	s_waitcnt lgkmcnt(0)
	v_dual_max_f32 v1, v1, v1 :: v_dual_max_f32 v0, v0, v0
	s_delay_alu instid0(VALU_DEP_1)
	v_max_f32_e32 v0, v0, v1
	ds_store_b32 v5, v0 offset:240
.LBB444_1459:
	s_or_b32 exec_lo, exec_lo, s1
	scratch_load_b32 v0, off, s32 offset:328 ; 4-byte Folded Reload
	s_waitcnt vmcnt(0) lgkmcnt(0)
	s_waitcnt_vscnt null, 0x0
	s_barrier
	buffer_gl0_inv
	v_cmp_gt_u32_e64 s1, 4, v0
	v_mov_b32_e32 v0, 0xff7fffff
	s_delay_alu instid0(VALU_DEP_2)
	s_and_saveexec_b32 s2, s1
	s_cbranch_execz .LBB444_1461
; %bb.1460:
	ds_load_b32 v0, v36 offset:240
.LBB444_1461:
	s_or_b32 exec_lo, exec_lo, s2
	s_waitcnt lgkmcnt(0)
	ds_bpermute_b32 v1, v20, v0
	v_max_f32_e32 v0, v0, v0
	v_subrev_nc_u32_e32 v7, s13, v51
	s_waitcnt lgkmcnt(0)
	v_dual_mov_b32 v6, 0 :: v_dual_max_f32 v1, v1, v1
	s_delay_alu instid0(VALU_DEP_1) | instskip(SKIP_3) | instid1(VALU_DEP_1)
	v_max_f32_e32 v0, v0, v1
	ds_bpermute_b32 v1, v19, v0
	s_waitcnt lgkmcnt(0)
	v_max_f32_e32 v1, v1, v1
	v_max_f32_e32 v0, v0, v1
	v_lshl_add_u32 v1, v7, 5, s3
	ds_bpermute_b32 v0, v6, v0
	v_min_i32_e32 v1, v1, v38
	s_delay_alu instid0(VALU_DEP_1) | instskip(NEXT) | instid1(VALU_DEP_1)
	v_subrev_nc_u32_e32 v1, s3, v1
	v_cmp_lt_i32_e64 s2, v31, v1
	s_delay_alu instid0(VALU_DEP_1)
	s_and_saveexec_b32 s9, s2
	s_cbranch_execz .LBB444_1465
; %bb.1462:
	s_getpc_b64 s[16:17]
	s_add_u32 s16, s16, llvm.amdgcn.dynlds.offset.table@rel32@lo+4
	s_addc_u32 s17, s17, llvm.amdgcn.dynlds.offset.table@rel32@hi+12
	s_ashr_i32 s11, s10, 31
	v_mov_b32_e32 v6, 0
	s_lshl_b64 s[20:21], s[10:11], 2
	v_mov_b32_e32 v8, v31
	s_add_u32 s16, s20, s16
	s_addc_u32 s17, s21, s17
	s_mov_b32 s11, 0
	s_load_b32 s3, s[16:17], 0x0
	s_waitcnt lgkmcnt(0)
	v_lshl_add_u32 v7, v31, 2, s3
	.p2align	6
.LBB444_1463:                           ; =>This Inner Loop Header: Depth=1
	ds_load_b32 v9, v7
	v_add_nc_u32_e32 v8, 0x80, v8
	s_delay_alu instid0(VALU_DEP_1) | instskip(NEXT) | instid1(VALU_DEP_1)
	v_cmp_ge_i32_e64 s3, v8, v1
	s_or_b32 s11, s3, s11
	s_waitcnt lgkmcnt(0)
	v_sub_f32_e32 v9, v9, v0
	s_delay_alu instid0(VALU_DEP_1) | instskip(NEXT) | instid1(VALU_DEP_1)
	v_mul_f32_e32 v9, 0x3fb8aa3b, v9
	v_exp_f32_e32 v9, v9
	ds_store_b32 v7, v9
	v_dual_add_f32 v6, v6, v9 :: v_dual_add_nc_u32 v7, 0x200, v7
	s_and_not1_b32 exec_lo, exec_lo, s11
	s_cbranch_execnz .LBB444_1463
; %bb.1464:
	s_or_b32 exec_lo, exec_lo, s11
.LBB444_1465:
	s_delay_alu instid0(SALU_CYCLE_1)
	s_or_b32 exec_lo, exec_lo, s9
	ds_bpermute_b32 v2, v2, v6
	s_waitcnt lgkmcnt(0)
	v_add_f32_e32 v2, v6, v2
	ds_bpermute_b32 v3, v3, v2
	s_waitcnt lgkmcnt(0)
	v_add_f32_e32 v2, v2, v3
	;; [unrolled: 3-line block ×5, first 2 shown]
	s_and_saveexec_b32 s3, vcc_lo
	s_cbranch_execz .LBB444_1467
; %bb.1466:
	ds_store_b32 v5, v2 offset:256
.LBB444_1467:
	s_or_b32 exec_lo, exec_lo, s3
	s_waitcnt lgkmcnt(0)
	s_barrier
	buffer_gl0_inv
	s_and_saveexec_b32 s3, s1
	s_cbranch_execz .LBB444_1469
; %bb.1468:
	ds_load_b32 v2, v36 offset:256
.LBB444_1469:
	s_or_b32 exec_lo, exec_lo, s3
	s_waitcnt lgkmcnt(0)
	ds_bpermute_b32 v3, v20, v2
	s_waitcnt lgkmcnt(0)
	v_add_f32_e32 v2, v2, v3
	ds_bpermute_b32 v3, v19, v2
	s_waitcnt lgkmcnt(0)
	v_dual_add_f32 v2, v2, v3 :: v_dual_mov_b32 v3, 0
	ds_bpermute_b32 v2, v3, v2
	s_and_saveexec_b32 s1, s2
	s_cbranch_execz .LBB444_1472
; %bb.1470:
	s_waitcnt lgkmcnt(0)
	v_add_f32_e32 v4, 0x358637bd, v2
	s_getpc_b64 s[2:3]
	s_add_u32 s2, s2, llvm.amdgcn.dynlds.offset.table@rel32@lo+4
	s_addc_u32 s3, s3, llvm.amdgcn.dynlds.offset.table@rel32@hi+12
	s_ashr_i32 s11, s10, 31
	s_delay_alu instid0(SALU_CYCLE_1) | instskip(SKIP_4) | instid1(VALU_DEP_1)
	s_lshl_b64 s[16:17], s[10:11], 2
	v_div_scale_f32 v3, null, v4, v4, 1.0
	s_add_u32 s2, s16, s2
	s_addc_u32 s3, s17, s3
	s_load_b32 s2, s[2:3], 0x0
	v_rcp_f32_e32 v5, v3
	s_waitcnt_depctr 0xfff
	v_fma_f32 v6, -v3, v5, 1.0
	s_delay_alu instid0(VALU_DEP_1) | instskip(SKIP_1) | instid1(VALU_DEP_1)
	v_fmac_f32_e32 v5, v6, v5
	v_div_scale_f32 v7, vcc_lo, 1.0, v4, 1.0
	v_mul_f32_e32 v6, v7, v5
	s_delay_alu instid0(VALU_DEP_1) | instskip(NEXT) | instid1(VALU_DEP_1)
	v_fma_f32 v8, -v3, v6, v7
	v_fmac_f32_e32 v6, v8, v5
	s_delay_alu instid0(VALU_DEP_1) | instskip(NEXT) | instid1(VALU_DEP_1)
	v_fma_f32 v3, -v3, v6, v7
	v_div_fmas_f32 v5, v3, v5, v6
	s_waitcnt lgkmcnt(0)
	v_lshl_add_u32 v3, v31, 2, s2
	s_mov_b32 s2, 0
	s_delay_alu instid0(VALU_DEP_2)
	v_div_fixup_f32 v4, v5, v4, 1.0
	v_mov_b32_e32 v5, v31
.LBB444_1471:                           ; =>This Inner Loop Header: Depth=1
	ds_load_b32 v6, v3
	s_waitcnt lgkmcnt(0)
	v_dual_mul_f32 v6, v4, v6 :: v_dual_add_nc_u32 v5, 0x80, v5
	s_delay_alu instid0(VALU_DEP_1) | instskip(SKIP_3) | instid1(SALU_CYCLE_1)
	v_cmp_ge_i32_e32 vcc_lo, v5, v1
	ds_store_b32 v3, v6
	v_add_nc_u32_e32 v3, 0x200, v3
	s_or_b32 s2, vcc_lo, s2
	s_and_not1_b32 exec_lo, exec_lo, s2
	s_cbranch_execnz .LBB444_1471
.LBB444_1472:
	s_or_b32 exec_lo, exec_lo, s1
	v_cmp_ne_u16_e64 s1, s8, 0
	s_mov_b32 s2, exec_lo
	s_waitcnt lgkmcnt(0)
	s_barrier
	buffer_gl0_inv
	s_cmp_lg_u32 s1, 0
	s_addc_u32 s1, s7, 0
	v_cmpx_eq_u32_e32 0, v31
	s_cbranch_execz .LBB444_1474
; %bb.1473:
	s_mul_i32 s3, s1, s4
	s_mul_i32 s8, s1, s12
	;; [unrolled: 1-line block ×3, first 2 shown]
	s_ashr_i32 s9, s8, 31
	s_ashr_i32 s15, s14, 31
	;; [unrolled: 1-line block ×3, first 2 shown]
	s_lshl_b64 s[8:9], s[8:9], 2
	s_lshl_b64 s[16:17], s[14:15], 2
	;; [unrolled: 1-line block ×3, first 2 shown]
	s_add_u32 s3, s16, s8
	s_addc_u32 s7, s17, s9
	s_add_u32 s3, s3, s12
	s_addc_u32 s7, s7, s13
	v_add_co_u32 v3, vcc_lo, s3, v35
	v_add_co_ci_u32_e32 v4, vcc_lo, s7, v34, vcc_lo
	v_add_co_u32 v5, vcc_lo, s3, v33
	v_add_co_ci_u32_e32 v6, vcc_lo, s7, v32, vcc_lo
	flat_store_b32 v[3:4], v0
	flat_store_b32 v[5:6], v2
.LBB444_1474:
	s_or_b32 exec_lo, exec_lo, s2
	s_ashr_i32 s11, s10, 31
	s_getpc_b64 s[2:3]
	s_add_u32 s2, s2, llvm.amdgcn.dynlds.offset.table@rel32@lo+4
	s_addc_u32 s3, s3, llvm.amdgcn.dynlds.offset.table@rel32@hi+12
	s_lshl_b64 s[8:9], s[10:11], 2
	v_dual_mov_b32 v65, 0 :: v_dual_mov_b32 v174, v31
	v_dual_mov_b32 v55, 0 :: v_dual_and_b32 v24, 3, v31
	v_dual_mov_b32 v66, 0 :: v_dual_mov_b32 v53, 0
	v_dual_mov_b32 v64, 0 :: v_dual_mov_b32 v35, 0
	;; [unrolled: 1-line block ×6, first 2 shown]
	v_mov_b32_e32 v28, 0
	s_add_u32 s2, s8, s2
	s_addc_u32 s3, s9, s3
	s_mov_b32 s10, 0
	s_and_saveexec_b32 s7, s0
	s_cbranch_execz .LBB444_3462
; %bb.1475:
	scratch_load_b32 v8, off, s32 offset:668 ; 4-byte Folded Reload
	v_max_i32_e32 v30, v30, v39
	s_load_b32 s0, s[2:3], 0x0
	v_dual_mov_b32 v25, 0 :: v_dual_lshlrev_b32 v2, 3, v174
	v_add_co_u32 v3, vcc_lo, v10, v21
	s_delay_alu instid0(VALU_DEP_3) | instskip(SKIP_3) | instid1(VALU_DEP_4)
	v_cvt_f32_u32_e32 v0, v30
	v_sub_nc_u32_e32 v7, 0, v30
	v_dual_mov_b32 v29, 0 :: v_dual_lshlrev_b32 v6, 5, v24
	v_mov_b32_e32 v53, 0
	v_rcp_iflag_f32_e32 v5, v0
	v_mov_b32_e32 v28, 0
	v_lshlrev_b64 v[0:1], 2, v[17:18]
	v_and_b32_e32 v18, 24, v2
	v_dual_mov_b32 v55, 0 :: v_dual_and_b32 v2, 0xf8, v2
	v_add_co_ci_u32_e32 v4, vcc_lo, v11, v12, vcc_lo
	s_delay_alu instid0(VALU_DEP_4) | instskip(NEXT) | instid1(TRANS32_DEP_1)
	v_add_co_u32 v0, vcc_lo, v68, v0
	v_mul_f32_e32 v5, 0x4f7ffffe, v5
	v_add_co_ci_u32_e32 v1, vcc_lo, v69, v1, vcc_lo
	v_add_co_u32 v11, vcc_lo, v3, v2
	s_delay_alu instid0(VALU_DEP_3) | instskip(SKIP_2) | instid1(VALU_DEP_3)
	v_cvt_u32_f32_e32 v5, v5
	v_add_co_ci_u32_e32 v12, vcc_lo, 0, v4, vcc_lo
	v_add_co_u32 v13, vcc_lo, v14, v0
	v_mul_lo_u32 v7, v7, v5
	v_dual_mov_b32 v10, 0 :: v_dual_add_nc_u32 v67, -1, v37
	v_dual_mov_b32 v31, 0 :: v_dual_mov_b32 v32, 0
	v_dual_mov_b32 v33, 0 :: v_dual_mov_b32 v34, 0
	;; [unrolled: 1-line block ×3, first 2 shown]
	v_mul_hi_u32 v7, v5, v7
	v_add_co_ci_u32_e32 v14, vcc_lo, v15, v1, vcc_lo
	v_mov_b32_e32 v64, 0
	v_dual_mov_b32 v66, 0 :: v_dual_mov_b32 v65, 0
	s_mov_b32 s8, -1
	s_mov_b32 s9, 0xffffff
	s_delay_alu instid0(VALU_DEP_4) | instskip(SKIP_4) | instid1(VALU_DEP_1)
	v_add_nc_u32_e32 v68, v5, v7
	v_mov_b32_e32 v54, 0
	s_waitcnt vmcnt(0)
	v_lshl_or_b32 v6, v8, 7, v6
	s_waitcnt lgkmcnt(0)
	v_add_nc_u32_e32 v15, s0, v6
	s_branch .LBB444_1478
.LBB444_1476:                           ;   in Loop: Header=BB444_1478 Depth=1
	s_or_b32 exec_lo, exec_lo, s0
	v_and_b32_e32 v101, 0xffff0000, v139
	v_and_b32_e32 v112, 0xffff0000, v138
	;; [unrolled: 1-line block ×6, first 2 shown]
	v_dual_add_f32 v101, v112, v101 :: v_dual_and_b32 v6, 0xffff0000, v6
	v_and_b32_e32 v7, 0xffff0000, v7
	v_and_b32_e32 v97, 0xffff0000, v153
	;; [unrolled: 1-line block ×5, first 2 shown]
	v_add_f32_e32 v6, v6, v7
	v_dual_add_f32 v7, v98, v97 :: v_dual_and_b32 v96, 0xffff0000, v154
	v_dual_add_f32 v98, v103, v102 :: v_dual_and_b32 v99, 0xffff0000, v156
	v_and_b32_e32 v103, 0xffff0000, v104
	s_delay_alu instid0(VALU_DEP_3) | instskip(NEXT) | instid1(VALU_DEP_4)
	v_dual_add_f32 v6, v6, v7 :: v_dual_and_b32 v37, 0xffff0000, v37
	v_add_f32_e32 v7, v96, v87
	s_delay_alu instid0(VALU_DEP_4) | instskip(SKIP_2) | instid1(VALU_DEP_4)
	v_dual_add_f32 v96, v98, v101 :: v_dual_and_b32 v87, 0xffff0000, v142
	v_and_b32_e32 v98, 0xffff0000, v143
	v_and_b32_e32 v100, 0xffff0000, v157
	v_dual_add_f32 v6, v6, v7 :: v_dual_and_b32 v5, 0xffff0000, v5
	v_and_b32_e32 v69, 0xffff0000, v69
	s_delay_alu instid0(VALU_DEP_4) | instskip(NEXT) | instid1(VALU_DEP_4)
	v_dual_add_f32 v87, v87, v98 :: v_dual_and_b32 v102, 0xffff0000, v140
	v_add_f32_e32 v7, v99, v100
	v_and_b32_e32 v97, 0xffff0000, v141
	v_and_b32_e32 v99, 0xffff0000, v122
	;; [unrolled: 1-line block ×4, first 2 shown]
	v_add_f32_e32 v6, v6, v7
	v_add_f32_e32 v97, v102, v97
	v_and_b32_e32 v3, 0xffff0000, v3
	v_and_b32_e32 v1, 0xffff0000, v1
	;; [unrolled: 1-line block ×4, first 2 shown]
	v_add_f32_e32 v96, v96, v97
	v_and_b32_e32 v97, 0xffff0000, v121
	v_and_b32_e32 v0, 0xffff0000, v0
	v_dual_add_f32 v28, v28, v6 :: v_dual_and_b32 v71, 0xffff0000, v71
	s_delay_alu instid0(VALU_DEP_4) | instskip(NEXT) | instid1(VALU_DEP_4)
	v_add_f32_e32 v7, v96, v87
	v_dual_add_f32 v97, v98, v97 :: v_dual_and_b32 v96, 0xffff0000, v123
	v_and_b32_e32 v9, 0xffff0000, v9
	v_and_b32_e32 v81, 0xffff0000, v81
	s_delay_alu instid0(VALU_DEP_3) | instskip(SKIP_3) | instid1(VALU_DEP_4)
	v_dual_add_f32 v29, v29, v7 :: v_dual_add_f32 v96, v99, v96
	v_and_b32_e32 v87, 0xffff0000, v125
	v_and_b32_e32 v99, 0xffff0000, v105
	v_dual_add_f32 v37, v37, v39 :: v_dual_and_b32 v4, 0xffff0000, v4
	v_dual_add_f32 v96, v97, v96 :: v_dual_and_b32 v97, 0xffff0000, v109
	s_delay_alu instid0(VALU_DEP_3) | instskip(SKIP_1) | instid1(VALU_DEP_4)
	v_add_f32_e32 v99, v103, v99
	v_dual_add_f32 v87, v100, v87 :: v_dual_and_b32 v100, 0xffff0000, v108
	v_add_f32_e32 v4, v4, v5
	v_dual_add_f32 v0, v0, v1 :: v_dual_add_f32 v1, v2, v3
	s_delay_alu instid0(VALU_DEP_3) | instskip(NEXT) | instid1(VALU_DEP_4)
	v_add_f32_e32 v87, v96, v87
	v_dual_add_f32 v97, v100, v97 :: v_dual_and_b32 v100, 0xffff0000, v90
	v_dual_add_f32 v69, v69, v70 :: v_dual_and_b32 v98, 0xffff0000, v107
	s_delay_alu instid0(VALU_DEP_4) | instskip(SKIP_2) | instid1(VALU_DEP_4)
	v_add_f32_e32 v0, v0, v1
	v_and_b32_e32 v80, 0xffff0000, v80
	v_and_b32_e32 v2, 0xffff0000, v8
	v_add_f32_e32 v98, v112, v98
	v_and_b32_e32 v112, 0xffff0000, v72
	s_delay_alu instid0(VALU_DEP_3) | instskip(NEXT) | instid1(VALU_DEP_3)
	v_dual_add_f32 v70, v71, v80 :: v_dual_add_f32 v1, v2, v9
	v_add_f32_e32 v98, v99, v98
	v_and_b32_e32 v102, 0xffff0000, v127
	v_and_b32_e32 v2, 0xffff0000, v86
	s_delay_alu instid0(VALU_DEP_4) | instskip(NEXT) | instid1(VALU_DEP_4)
	v_dual_add_f32 v3, v69, v70 :: v_dual_add_f32 v0, v0, v1
	v_add_f32_e32 v7, v98, v97
	v_and_b32_e32 v97, 0xffff0000, v91
	v_and_b32_e32 v98, 0xffff0000, v89
	s_delay_alu instid0(VALU_DEP_2) | instskip(SKIP_1) | instid1(VALU_DEP_1)
	v_add_f32_e32 v97, v100, v97
	v_and_b32_e32 v100, 0xffff0000, v73
	v_dual_add_f32 v100, v112, v100 :: v_dual_and_b32 v101, 0xffff0000, v126
	s_delay_alu instid0(VALU_DEP_1) | instskip(NEXT) | instid1(VALU_DEP_1)
	v_add_f32_e32 v96, v101, v102
	v_dual_add_f32 v6, v87, v96 :: v_dual_and_b32 v101, 0xffff0000, v110
	v_and_b32_e32 v96, 0xffff0000, v93
	v_and_b32_e32 v99, 0xffff0000, v111
	s_delay_alu instid0(VALU_DEP_3) | instskip(NEXT) | instid1(VALU_DEP_2)
	v_add_f32_e32 v31, v31, v6
	v_add_f32_e32 v87, v101, v99
	v_and_b32_e32 v99, 0xffff0000, v88
	s_delay_alu instid0(VALU_DEP_2) | instskip(NEXT) | instid1(VALU_DEP_2)
	v_dual_add_f32 v6, v7, v87 :: v_dual_and_b32 v101, 0xffff0000, v92
	v_dual_add_f32 v98, v99, v98 :: v_dual_and_b32 v99, 0xffff0000, v75
	s_delay_alu instid0(VALU_DEP_1) | instskip(NEXT) | instid1(VALU_DEP_2)
	v_dual_add_f32 v32, v32, v6 :: v_dual_add_f32 v97, v98, v97
	v_dual_add_f32 v99, v113, v99 :: v_dual_and_b32 v102, 0xffff0000, v94
	s_delay_alu instid0(VALU_DEP_4) | instskip(SKIP_2) | instid1(VALU_DEP_4)
	v_add_f32_e32 v96, v101, v96
	v_and_b32_e32 v101, 0xffff0000, v76
	v_and_b32_e32 v113, 0xffff0000, v43
	v_add_f32_e32 v99, v100, v99
	v_and_b32_e32 v100, 0xffff0000, v79
	v_dual_add_f32 v96, v97, v96 :: v_dual_and_b32 v103, 0xffff0000, v95
	s_delay_alu instid0(VALU_DEP_1) | instskip(SKIP_1) | instid1(VALU_DEP_2)
	v_dual_add_f32 v97, v102, v103 :: v_dual_and_b32 v102, 0xffff0000, v78
	v_and_b32_e32 v103, 0xffff0000, v62
	v_dual_add_f32 v7, v96, v97 :: v_dual_add_f32 v96, v102, v100
	v_and_b32_e32 v100, 0xffff0000, v58
	v_and_b32_e32 v98, 0xffff0000, v77
	;; [unrolled: 1-line block ×3, first 2 shown]
	s_delay_alu instid0(VALU_DEP_4) | instskip(NEXT) | instid1(VALU_DEP_3)
	v_add_f32_e32 v33, v33, v7
	v_dual_add_f32 v98, v101, v98 :: v_dual_and_b32 v101, 0xffff0000, v57
	s_delay_alu instid0(VALU_DEP_1) | instskip(SKIP_1) | instid1(VALU_DEP_2)
	v_add_f32_e32 v87, v99, v98
	v_and_b32_e32 v99, 0xffff0000, v59
	v_add_f32_e32 v87, v87, v96
	s_delay_alu instid0(VALU_DEP_2) | instskip(SKIP_1) | instid1(VALU_DEP_3)
	v_dual_add_f32 v99, v100, v99 :: v_dual_and_b32 v114, 0xffff0000, v42
	v_and_b32_e32 v102, 0xffff0000, v56
	v_dual_add_f32 v34, v34, v87 :: v_dual_and_b32 v87, 0xffff0000, v181
	s_delay_alu instid0(VALU_DEP_3) | instskip(NEXT) | instid1(VALU_DEP_3)
	v_dual_add_f32 v39, v114, v113 :: v_dual_and_b32 v98, 0xffff0000, v60
	v_add_f32_e32 v101, v102, v101
	v_and_b32_e32 v100, 0xffff0000, v45
	v_and_b32_e32 v112, 0xffff0000, v63
	s_delay_alu instid0(VALU_DEP_4) | instskip(SKIP_2) | instid1(VALU_DEP_2)
	v_add_f32_e32 v37, v37, v39
	v_dual_add_f32 v97, v98, v97 :: v_dual_and_b32 v102, 0xffff0000, v44
	v_dual_add_f32 v99, v101, v99 :: v_dual_and_b32 v98, 0xffff0000, v46
	;; [unrolled: 1-line block ×3, first 2 shown]
	s_delay_alu instid0(VALU_DEP_2) | instskip(SKIP_2) | instid1(VALU_DEP_4)
	v_add_f32_e32 v96, v99, v97
	v_add_f32_e32 v97, v103, v112
	v_and_b32_e32 v99, 0xffff0000, v167
	v_add_f32_e32 v37, v37, v39
	v_dual_add_f32 v39, v98, v100 :: v_dual_and_b32 v98, 0xffff0000, v165
	s_delay_alu instid0(VALU_DEP_4) | instskip(SKIP_2) | instid1(VALU_DEP_4)
	v_add_f32_e32 v6, v96, v97
	v_and_b32_e32 v96, 0xffff0000, v183
	v_and_b32_e32 v97, 0xffff0000, v41
	v_add_f32_e32 v7, v37, v39
	v_and_b32_e32 v39, 0xffff0000, v182
	v_and_b32_e32 v37, 0xffff0000, v40
	v_add_f32_e32 v35, v35, v6
	s_delay_alu instid0(VALU_DEP_3) | instskip(SKIP_1) | instid1(VALU_DEP_2)
	v_add_f32_e32 v5, v87, v39
	v_and_b32_e32 v39, 0xffff0000, v176
	v_dual_add_f32 v4, v4, v5 :: v_dual_and_b32 v87, 0xffff0000, v166
	v_add_f32_e32 v5, v96, v37
	v_and_b32_e32 v37, 0xffff0000, v178
	s_delay_alu instid0(VALU_DEP_3) | instskip(NEXT) | instid1(VALU_DEP_3)
	v_dual_add_f32 v87, v98, v87 :: v_dual_and_b32 v96, 0xffff0000, v177
	v_dual_add_f32 v39, v99, v39 :: v_dual_add_f32 v4, v4, v5
	v_add_f32_e32 v36, v36, v7
	s_delay_alu instid0(VALU_DEP_3)
	v_add_f32_e32 v37, v96, v37
	v_and_b32_e32 v96, 0xffff0000, v145
	v_and_b32_e32 v21, 0xffff0000, v21
	v_add_f32_e32 v39, v87, v39
	v_and_b32_e32 v87, 0xffff0000, v180
	v_and_b32_e32 v7, 0xffff0000, v160
	s_delay_alu instid0(VALU_DEP_4) | instskip(SKIP_2) | instid1(VALU_DEP_3)
	v_dual_add_f32 v5, v21, v97 :: v_dual_and_b32 v98, 0xffff0000, v119
	v_and_b32_e32 v21, 0xffff0000, v179
	v_and_b32_e32 v97, 0xffff0000, v117
	v_dual_add_f32 v4, v4, v5 :: v_dual_and_b32 v99, 0xffff0000, v147
	s_delay_alu instid0(VALU_DEP_3)
	v_dual_add_f32 v5, v39, v37 :: v_dual_add_f32 v6, v21, v87
	v_and_b32_e32 v21, 0xffff0000, v150
	v_and_b32_e32 v37, 0xffff0000, v149
	;; [unrolled: 1-line block ×3, first 2 shown]
	v_add_f32_e32 v53, v53, v4
	v_add_f32_e32 v4, v5, v6
	s_delay_alu instid0(VALU_DEP_4) | instskip(NEXT) | instid1(VALU_DEP_4)
	v_dual_add_f32 v6, v37, v21 :: v_dual_and_b32 v5, 0xffff0000, v162
	v_add_f32_e32 v7, v39, v7
	v_and_b32_e32 v21, 0xffff0000, v161
	v_and_b32_e32 v39, 0xffff0000, v133
	v_dual_add_f32 v54, v54, v4 :: v_dual_and_b32 v87, 0xffff0000, v135
	s_delay_alu instid0(VALU_DEP_3)
	v_dual_add_f32 v6, v6, v7 :: v_dual_add_f32 v5, v21, v5
	v_and_b32_e32 v7, 0xffff0000, v144
	v_and_b32_e32 v21, 0xffff0000, v134
	;; [unrolled: 1-line block ×4, first 2 shown]
	v_add_f32_e32 v5, v6, v5
	v_add_f32_e32 v7, v87, v7
	;; [unrolled: 1-line block ×3, first 2 shown]
	v_and_b32_e32 v39, 0xffff0000, v128
	v_dual_add_f32 v4, v4, v37 :: v_dual_and_b32 v87, 0xffff0000, v118
	s_delay_alu instid0(VALU_DEP_3) | instskip(SKIP_1) | instid1(VALU_DEP_3)
	v_dual_add_f32 v7, v21, v7 :: v_dual_and_b32 v6, 0xffff0000, v146
	v_and_b32_e32 v21, 0xffff0000, v130
	v_add_f32_e32 v87, v97, v87
	v_add_f32_e32 v39, v98, v39
	s_delay_alu instid0(VALU_DEP_4) | instskip(NEXT) | instid1(VALU_DEP_2)
	v_dual_add_f32 v6, v96, v6 :: v_dual_and_b32 v97, 0xffff0000, v129
	v_dual_add_f32 v37, v87, v39 :: v_dual_and_b32 v96, 0xffff0000, v148
	s_delay_alu instid0(VALU_DEP_2) | instskip(SKIP_1) | instid1(VALU_DEP_4)
	v_add_f32_e32 v21, v97, v21
	v_and_b32_e32 v39, 0xffff0000, v131
	v_dual_add_f32 v6, v7, v6 :: v_dual_and_b32 v87, 0xffff0000, v132
	s_delay_alu instid0(VALU_DEP_4) | instskip(NEXT) | instid1(VALU_DEP_4)
	v_add_f32_e32 v7, v99, v96
	v_add_f32_e32 v21, v37, v21
	v_and_b32_e32 v37, 0xffff0000, v82
	v_and_b32_e32 v82, 0xffff0000, v83
	;; [unrolled: 1-line block ×3, first 2 shown]
	s_delay_alu instid0(VALU_DEP_3) | instskip(SKIP_1) | instid1(VALU_DEP_2)
	v_dual_add_f32 v9, v39, v87 :: v_dual_add_f32 v8, v81, v37
	v_and_b32_e32 v37, 0xffff0000, v85
	v_dual_add_f32 v3, v3, v8 :: v_dual_add_f32 v8, v82, v83
	s_delay_alu instid0(VALU_DEP_2) | instskip(SKIP_2) | instid1(VALU_DEP_3)
	v_add_f32_e32 v1, v37, v2
	v_add_f32_e32 v2, v5, v4
	v_dual_add_f32 v4, v6, v7 :: v_dual_add_f32 v5, v21, v9
	v_dual_add_f32 v3, v3, v8 :: v_dual_add_f32 v0, v0, v1
	s_delay_alu instid0(VALU_DEP_2) | instskip(NEXT) | instid1(VALU_DEP_2)
	v_dual_add_f32 v55, v55, v2 :: v_dual_add_f32 v64, v64, v4
	v_dual_add_f32 v66, v66, v5 :: v_dual_add_f32 v65, v65, v3
	s_delay_alu instid0(VALU_DEP_3)
	v_add_f32_e32 v25, v25, v0
.LBB444_1477:                           ;   in Loop: Header=BB444_1478 Depth=1
	s_or_b32 exec_lo, exec_lo, s11
	v_add_nc_u32_e32 v17, 4, v17
	v_add_co_u32 v13, s0, v13, 16
	s_delay_alu instid0(VALU_DEP_1) | instskip(NEXT) | instid1(VALU_DEP_3)
	v_add_co_ci_u32_e64 v14, s0, 0, v14, s0
	v_cmp_ge_i32_e32 vcc_lo, v17, v51
	v_add_nc_u32_e32 v23, 0x80, v23
	v_add_nc_u32_e32 v15, 0x200, v15
	s_or_b32 s10, vcc_lo, s10
	s_delay_alu instid0(SALU_CYCLE_1)
	s_and_not1_b32 exec_lo, exec_lo, s10
	s_cbranch_execz .LBB444_3461
.LBB444_1478:                           ; =>This Inner Loop Header: Depth=1
	v_sub_nc_u32_e32 v0, 0, v23
	s_delay_alu instid0(VALU_DEP_1) | instskip(NEXT) | instid1(VALU_DEP_1)
	v_max_i32_e32 v0, v23, v0
	v_mul_hi_u32 v1, v0, v49
	s_delay_alu instid0(VALU_DEP_1) | instskip(NEXT) | instid1(VALU_DEP_1)
	v_mul_lo_u32 v2, v1, v48
	v_sub_nc_u32_e32 v0, v0, v2
	v_add_nc_u32_e32 v2, 1, v1
	s_delay_alu instid0(VALU_DEP_2) | instskip(SKIP_1) | instid1(VALU_DEP_2)
	v_sub_nc_u32_e32 v3, v0, v48
	v_cmp_ge_u32_e32 vcc_lo, v0, v48
	v_dual_cndmask_b32 v1, v1, v2 :: v_dual_cndmask_b32 v0, v0, v3
	v_ashrrev_i32_e32 v2, 31, v23
	s_delay_alu instid0(VALU_DEP_2) | instskip(NEXT) | instid1(VALU_DEP_3)
	v_add_nc_u32_e32 v3, 1, v1
	v_cmp_ge_u32_e32 vcc_lo, v0, v48
	s_delay_alu instid0(VALU_DEP_3) | instskip(NEXT) | instid1(VALU_DEP_3)
	v_xor_b32_e32 v2, v2, v50
	v_cndmask_b32_e32 v0, v1, v3, vcc_lo
	s_delay_alu instid0(VALU_DEP_1) | instskip(NEXT) | instid1(VALU_DEP_1)
	v_xor_b32_e32 v0, v0, v2
	v_sub_nc_u32_e32 v0, v0, v2
	s_delay_alu instid0(VALU_DEP_1) | instskip(SKIP_1) | instid1(VALU_DEP_2)
	v_add_nc_u32_e32 v1, v0, v16
	v_cmp_gt_i32_e64 s0, v0, v52
	v_sub_nc_u32_e32 v2, 0, v1
	s_delay_alu instid0(VALU_DEP_1) | instskip(NEXT) | instid1(VALU_DEP_1)
	v_max_i32_e32 v2, v1, v2
	v_mul_hi_u32 v3, v2, v68
	s_delay_alu instid0(VALU_DEP_1) | instskip(NEXT) | instid1(VALU_DEP_1)
	v_mul_lo_u32 v3, v3, v30
	v_sub_nc_u32_e32 v2, v2, v3
	s_delay_alu instid0(VALU_DEP_1) | instskip(SKIP_1) | instid1(VALU_DEP_2)
	v_sub_nc_u32_e32 v3, v2, v30
	v_cmp_ge_u32_e32 vcc_lo, v2, v30
	v_cndmask_b32_e32 v2, v2, v3, vcc_lo
	v_ashrrev_i32_e32 v1, 31, v1
	s_delay_alu instid0(VALU_DEP_2) | instskip(SKIP_1) | instid1(VALU_DEP_2)
	v_sub_nc_u32_e32 v3, v2, v30
	v_cmp_ge_u32_e32 vcc_lo, v2, v30
	v_cndmask_b32_e32 v2, v2, v3, vcc_lo
	s_delay_alu instid0(VALU_DEP_1) | instskip(NEXT) | instid1(VALU_DEP_1)
	v_xor_b32_e32 v2, v2, v1
	v_sub_nc_u32_e32 v1, v2, v1
	s_delay_alu instid0(VALU_DEP_1) | instskip(SKIP_1) | instid1(SALU_CYCLE_1)
	v_cmp_eq_u32_e32 vcc_lo, 0, v1
	s_or_b32 s0, vcc_lo, s0
	s_and_saveexec_b32 s11, s0
	s_cbranch_execz .LBB444_1477
; %bb.1479:                             ;   in Loop: Header=BB444_1478 Depth=1
	flat_load_b32 v80, v[13:14]
	ds_load_2addr_b64 v[6:9], v15 offset1:1
	ds_load_2addr_b64 v[0:3], v15 offset0:2 offset1:3
	s_mov_b32 s0, exec_lo
                                        ; implicit-def: $vgpr69
	s_waitcnt lgkmcnt(1)
	v_and_b32_e32 v4, 0x7f800000, v6
	s_delay_alu instid0(VALU_DEP_1)
	v_cmpx_ne_u32_e32 0x7f800000, v4
	s_xor_b32 s0, exec_lo, s0
; %bb.1480:                             ;   in Loop: Header=BB444_1478 Depth=1
	v_bfe_u32 v4, v6, 16, 1
	s_delay_alu instid0(VALU_DEP_1)
	v_add3_u32 v69, v6, v4, 0x7fff
; %bb.1481:                             ;   in Loop: Header=BB444_1478 Depth=1
	s_and_not1_saveexec_b32 s0, s0
; %bb.1482:                             ;   in Loop: Header=BB444_1478 Depth=1
	v_and_b32_e32 v4, 0xffff, v6
	v_or_b32_e32 v5, 0x10000, v6
	s_delay_alu instid0(VALU_DEP_2) | instskip(NEXT) | instid1(VALU_DEP_2)
	v_cmp_eq_u32_e32 vcc_lo, 0, v4
	v_cndmask_b32_e32 v69, v5, v6, vcc_lo
; %bb.1483:                             ;   in Loop: Header=BB444_1478 Depth=1
	s_or_b32 exec_lo, exec_lo, s0
	v_and_b32_e32 v4, 0x7f800000, v7
	s_mov_b32 s0, exec_lo
                                        ; implicit-def: $vgpr70
	s_delay_alu instid0(VALU_DEP_1)
	v_cmpx_ne_u32_e32 0x7f800000, v4
	s_xor_b32 s0, exec_lo, s0
; %bb.1484:                             ;   in Loop: Header=BB444_1478 Depth=1
	v_bfe_u32 v4, v7, 16, 1
	s_delay_alu instid0(VALU_DEP_1)
	v_add3_u32 v70, v7, v4, 0x7fff
; %bb.1485:                             ;   in Loop: Header=BB444_1478 Depth=1
	s_and_not1_saveexec_b32 s0, s0
; %bb.1486:                             ;   in Loop: Header=BB444_1478 Depth=1
	v_and_b32_e32 v4, 0xffff, v7
	v_or_b32_e32 v5, 0x10000, v7
	s_delay_alu instid0(VALU_DEP_2) | instskip(NEXT) | instid1(VALU_DEP_2)
	v_cmp_eq_u32_e32 vcc_lo, 0, v4
	v_cndmask_b32_e32 v70, v5, v7, vcc_lo
; %bb.1487:                             ;   in Loop: Header=BB444_1478 Depth=1
	s_or_b32 exec_lo, exec_lo, s0
	v_and_b32_e32 v4, 0x7f800000, v8
	s_mov_b32 s0, exec_lo
                                        ; implicit-def: $vgpr71
	s_delay_alu instid0(VALU_DEP_1)
	v_cmpx_ne_u32_e32 0x7f800000, v4
	s_xor_b32 s0, exec_lo, s0
; %bb.1488:                             ;   in Loop: Header=BB444_1478 Depth=1
	v_bfe_u32 v4, v8, 16, 1
	s_delay_alu instid0(VALU_DEP_1)
	v_add3_u32 v71, v8, v4, 0x7fff
; %bb.1489:                             ;   in Loop: Header=BB444_1478 Depth=1
	s_and_not1_saveexec_b32 s0, s0
; %bb.1490:                             ;   in Loop: Header=BB444_1478 Depth=1
	v_and_b32_e32 v4, 0xffff, v8
	v_or_b32_e32 v5, 0x10000, v8
	s_delay_alu instid0(VALU_DEP_2) | instskip(NEXT) | instid1(VALU_DEP_2)
	v_cmp_eq_u32_e32 vcc_lo, 0, v4
	v_cndmask_b32_e32 v71, v5, v8, vcc_lo
; %bb.1491:                             ;   in Loop: Header=BB444_1478 Depth=1
	s_or_b32 exec_lo, exec_lo, s0
	v_and_b32_e32 v4, 0x7f800000, v9
	s_mov_b32 s0, exec_lo
                                        ; implicit-def: $vgpr39
	s_delay_alu instid0(VALU_DEP_1)
	v_cmpx_ne_u32_e32 0x7f800000, v4
	s_xor_b32 s0, exec_lo, s0
; %bb.1492:                             ;   in Loop: Header=BB444_1478 Depth=1
	v_bfe_u32 v4, v9, 16, 1
	s_delay_alu instid0(VALU_DEP_1)
	v_add3_u32 v39, v9, v4, 0x7fff
                                        ; implicit-def: $vgpr6_vgpr7_vgpr8_vgpr9
; %bb.1493:                             ;   in Loop: Header=BB444_1478 Depth=1
	s_and_not1_saveexec_b32 s0, s0
; %bb.1494:                             ;   in Loop: Header=BB444_1478 Depth=1
	v_and_b32_e32 v4, 0xffff, v9
	v_or_b32_e32 v5, 0x10000, v9
	s_delay_alu instid0(VALU_DEP_2) | instskip(NEXT) | instid1(VALU_DEP_2)
	v_cmp_eq_u32_e32 vcc_lo, 0, v4
	v_cndmask_b32_e32 v39, v5, v9, vcc_lo
; %bb.1495:                             ;   in Loop: Header=BB444_1478 Depth=1
	s_or_b32 exec_lo, exec_lo, s0
	s_waitcnt lgkmcnt(0)
	v_and_b32_e32 v4, 0x7f800000, v0
	s_mov_b32 s0, exec_lo
                                        ; implicit-def: $vgpr37
	s_delay_alu instid0(VALU_DEP_1)
	v_cmpx_ne_u32_e32 0x7f800000, v4
	s_xor_b32 s0, exec_lo, s0
; %bb.1496:                             ;   in Loop: Header=BB444_1478 Depth=1
	v_bfe_u32 v4, v0, 16, 1
	s_delay_alu instid0(VALU_DEP_1)
	v_add3_u32 v37, v0, v4, 0x7fff
; %bb.1497:                             ;   in Loop: Header=BB444_1478 Depth=1
	s_and_not1_saveexec_b32 s0, s0
; %bb.1498:                             ;   in Loop: Header=BB444_1478 Depth=1
	v_and_b32_e32 v4, 0xffff, v0
	v_or_b32_e32 v5, 0x10000, v0
	s_delay_alu instid0(VALU_DEP_2) | instskip(NEXT) | instid1(VALU_DEP_2)
	v_cmp_eq_u32_e32 vcc_lo, 0, v4
	v_cndmask_b32_e32 v37, v5, v0, vcc_lo
; %bb.1499:                             ;   in Loop: Header=BB444_1478 Depth=1
	s_or_b32 exec_lo, exec_lo, s0
	v_and_b32_e32 v0, 0x7f800000, v1
	s_mov_b32 s0, exec_lo
                                        ; implicit-def: $vgpr21
	s_delay_alu instid0(VALU_DEP_1)
	v_cmpx_ne_u32_e32 0x7f800000, v0
	s_xor_b32 s0, exec_lo, s0
; %bb.1500:                             ;   in Loop: Header=BB444_1478 Depth=1
	v_bfe_u32 v0, v1, 16, 1
	s_delay_alu instid0(VALU_DEP_1)
	v_add3_u32 v21, v1, v0, 0x7fff
; %bb.1501:                             ;   in Loop: Header=BB444_1478 Depth=1
	s_and_not1_saveexec_b32 s0, s0
; %bb.1502:                             ;   in Loop: Header=BB444_1478 Depth=1
	v_and_b32_e32 v0, 0xffff, v1
	v_or_b32_e32 v4, 0x10000, v1
	s_delay_alu instid0(VALU_DEP_2) | instskip(NEXT) | instid1(VALU_DEP_2)
	v_cmp_eq_u32_e32 vcc_lo, 0, v0
	v_cndmask_b32_e32 v21, v4, v1, vcc_lo
; %bb.1503:                             ;   in Loop: Header=BB444_1478 Depth=1
	s_or_b32 exec_lo, exec_lo, s0
	v_and_b32_e32 v0, 0x7f800000, v2
	s_mov_b32 s0, exec_lo
                                        ; implicit-def: $vgpr5
	s_delay_alu instid0(VALU_DEP_1)
	v_cmpx_ne_u32_e32 0x7f800000, v0
	s_xor_b32 s0, exec_lo, s0
; %bb.1504:                             ;   in Loop: Header=BB444_1478 Depth=1
	v_bfe_u32 v0, v2, 16, 1
	s_delay_alu instid0(VALU_DEP_1)
	v_add3_u32 v5, v2, v0, 0x7fff
; %bb.1505:                             ;   in Loop: Header=BB444_1478 Depth=1
	s_and_not1_saveexec_b32 s0, s0
; %bb.1506:                             ;   in Loop: Header=BB444_1478 Depth=1
	v_and_b32_e32 v0, 0xffff, v2
	v_or_b32_e32 v1, 0x10000, v2
	s_delay_alu instid0(VALU_DEP_2) | instskip(NEXT) | instid1(VALU_DEP_2)
	v_cmp_eq_u32_e32 vcc_lo, 0, v0
	v_cndmask_b32_e32 v5, v1, v2, vcc_lo
; %bb.1507:                             ;   in Loop: Header=BB444_1478 Depth=1
	s_or_b32 exec_lo, exec_lo, s0
	v_and_b32_e32 v0, 0x7f800000, v3
	s_mov_b32 s0, exec_lo
                                        ; implicit-def: $vgpr4
	s_delay_alu instid0(VALU_DEP_1)
	v_cmpx_ne_u32_e32 0x7f800000, v0
	s_xor_b32 s0, exec_lo, s0
; %bb.1508:                             ;   in Loop: Header=BB444_1478 Depth=1
	v_bfe_u32 v0, v3, 16, 1
	s_delay_alu instid0(VALU_DEP_1)
	v_add3_u32 v4, v3, v0, 0x7fff
                                        ; implicit-def: $vgpr0_vgpr1_vgpr2_vgpr3
; %bb.1509:                             ;   in Loop: Header=BB444_1478 Depth=1
	s_and_not1_saveexec_b32 s0, s0
; %bb.1510:                             ;   in Loop: Header=BB444_1478 Depth=1
	v_and_b32_e32 v0, 0xffff, v3
	v_or_b32_e32 v1, 0x10000, v3
	s_delay_alu instid0(VALU_DEP_2) | instskip(NEXT) | instid1(VALU_DEP_2)
	v_cmp_eq_u32_e32 vcc_lo, 0, v0
	v_cndmask_b32_e32 v4, v1, v3, vcc_lo
; %bb.1511:                             ;   in Loop: Header=BB444_1478 Depth=1
	s_or_b32 exec_lo, exec_lo, s0
	s_waitcnt vmcnt(0)
	v_mad_i64_i32 v[0:1], null, v80, v22, v[11:12]
	s_mov_b32 s0, exec_lo
	flat_load_b64 v[2:3], v[0:1]
	flat_load_b32 v8, v[26:27]
	s_waitcnt vmcnt(1) lgkmcnt(1)
	v_dual_mov_b32 v6, 0 :: v_dual_and_b32 v7, 0xff, v2
	s_delay_alu instid0(VALU_DEP_1)
	v_cmpx_ne_u16_e32 0, v7
	s_cbranch_execz .LBB444_1519
; %bb.1512:                             ;   in Loop: Header=BB444_1478 Depth=1
	v_bfrev_b32_e32 v6, 1
	s_mov_b32 s12, exec_lo
	v_cmpx_ne_u16_e32 0x80, v7
	s_cbranch_execz .LBB444_1518
; %bb.1513:                             ;   in Loop: Header=BB444_1478 Depth=1
	v_and_b32_e32 v7, 0x7f, v2
	v_mov_b32_e32 v6, 0x7f800001
	s_mov_b32 s13, exec_lo
	s_delay_alu instid0(VALU_DEP_2)
	v_cmpx_ne_u32_e32 0x7f, v7
	s_cbranch_execz .LBB444_1517
; %bb.1514:                             ;   in Loop: Header=BB444_1478 Depth=1
	v_lshrrev_b32_e32 v9, 3, v7
	v_cmp_gt_u32_e32 vcc_lo, 8, v7
	v_dual_mov_b32 v7, v3 :: v_dual_mov_b32 v6, v2
	s_and_saveexec_b32 s15, vcc_lo
; %bb.1515:                             ;   in Loop: Header=BB444_1478 Depth=1
	v_and_b32_e32 v6, 7, v2
	s_delay_alu instid0(VALU_DEP_1) | instskip(NEXT) | instid1(VALU_DEP_1)
	v_clz_i32_u32_e32 v6, v6
	v_min_u32_e32 v9, 32, v6
	s_delay_alu instid0(VALU_DEP_1) | instskip(SKIP_1) | instid1(VALU_DEP_2)
	v_subrev_nc_u32_e32 v6, 28, v9
	v_sub_nc_u32_e32 v9, 29, v9
	v_lshlrev_b64 v[6:7], v6, v[2:3]
; %bb.1516:                             ;   in Loop: Header=BB444_1478 Depth=1
	s_or_b32 exec_lo, exec_lo, s15
	s_delay_alu instid0(VALU_DEP_1) | instskip(SKIP_2) | instid1(VALU_DEP_3)
	v_lshlrev_b32_e32 v6, 20, v6
	v_lshlrev_b32_e32 v7, 24, v2
	v_lshl_add_u32 v9, v9, 23, 0x3c000000
	v_and_b32_e32 v6, 0x700000, v6
	s_delay_alu instid0(VALU_DEP_3) | instskip(NEXT) | instid1(VALU_DEP_1)
	v_and_b32_e32 v7, 0x80000000, v7
	v_or3_b32 v6, v6, v7, v9
.LBB444_1517:                           ;   in Loop: Header=BB444_1478 Depth=1
	s_or_b32 exec_lo, exec_lo, s13
.LBB444_1518:                           ;   in Loop: Header=BB444_1478 Depth=1
	s_delay_alu instid0(SALU_CYCLE_1)
	s_or_b32 exec_lo, exec_lo, s12
.LBB444_1519:                           ;   in Loop: Header=BB444_1478 Depth=1
	s_delay_alu instid0(SALU_CYCLE_1) | instskip(SKIP_3) | instid1(VALU_DEP_1)
	s_or_b32 exec_lo, exec_lo, s0
	s_waitcnt vmcnt(0) lgkmcnt(0)
	v_mul_f32_e32 v6, v8, v6
	s_mov_b32 s0, exec_lo
                                        ; implicit-def: $vgpr80
	v_and_b32_e32 v7, 0x7f800000, v6
	s_delay_alu instid0(VALU_DEP_1)
	v_cmpx_ne_u32_e32 0x7f800000, v7
	s_xor_b32 s0, exec_lo, s0
; %bb.1520:                             ;   in Loop: Header=BB444_1478 Depth=1
	v_bfe_u32 v7, v6, 16, 1
	s_delay_alu instid0(VALU_DEP_1)
	v_add3_u32 v80, v6, v7, 0x7fff
                                        ; implicit-def: $vgpr6
; %bb.1521:                             ;   in Loop: Header=BB444_1478 Depth=1
	s_and_not1_saveexec_b32 s0, s0
; %bb.1522:                             ;   in Loop: Header=BB444_1478 Depth=1
	v_and_b32_e32 v7, 0xffff, v6
	v_or_b32_e32 v9, 0x10000, v6
	s_delay_alu instid0(VALU_DEP_2) | instskip(NEXT) | instid1(VALU_DEP_2)
	v_cmp_eq_u32_e32 vcc_lo, 0, v7
	v_cndmask_b32_e32 v80, v9, v6, vcc_lo
; %bb.1523:                             ;   in Loop: Header=BB444_1478 Depth=1
	s_or_b32 exec_lo, exec_lo, s0
	v_lshrrev_b16 v7, 8, v2
	v_mov_b32_e32 v6, 0
	s_mov_b32 s0, exec_lo
	s_delay_alu instid0(VALU_DEP_2)
	v_cmpx_ne_u16_e32 0, v7
	s_cbranch_execz .LBB444_1531
; %bb.1524:                             ;   in Loop: Header=BB444_1478 Depth=1
	v_bfrev_b32_e32 v6, 1
	s_mov_b32 s12, exec_lo
	v_cmpx_ne_u16_e32 0x80, v7
	s_cbranch_execz .LBB444_1530
; %bb.1525:                             ;   in Loop: Header=BB444_1478 Depth=1
	v_and_b32_e32 v9, 0xffff, v7
	v_mov_b32_e32 v6, 0x7f800001
	s_mov_b32 s13, exec_lo
	s_delay_alu instid0(VALU_DEP_2) | instskip(NEXT) | instid1(VALU_DEP_1)
	v_and_b32_e32 v7, 0x7f, v9
	v_cmpx_ne_u32_e32 0x7f, v7
	s_cbranch_execz .LBB444_1529
; %bb.1526:                             ;   in Loop: Header=BB444_1478 Depth=1
	v_and_b32_e32 v9, 7, v9
	v_lshrrev_b32_e32 v81, 3, v7
	v_cmp_gt_u32_e32 vcc_lo, 8, v7
	s_delay_alu instid0(VALU_DEP_3)
	v_dual_mov_b32 v6, v9 :: v_dual_mov_b32 v7, v10
	s_and_saveexec_b32 s15, vcc_lo
; %bb.1527:                             ;   in Loop: Header=BB444_1478 Depth=1
	v_clz_i32_u32_e32 v6, v9
	s_delay_alu instid0(VALU_DEP_1) | instskip(NEXT) | instid1(VALU_DEP_1)
	v_min_u32_e32 v81, 32, v6
	v_subrev_nc_u32_e32 v6, 28, v81
	v_sub_nc_u32_e32 v81, 29, v81
	s_delay_alu instid0(VALU_DEP_2) | instskip(NEXT) | instid1(VALU_DEP_1)
	v_lshlrev_b64 v[6:7], v6, v[9:10]
	v_and_b32_e32 v6, 7, v6
; %bb.1528:                             ;   in Loop: Header=BB444_1478 Depth=1
	s_or_b32 exec_lo, exec_lo, s15
	v_lshlrev_b32_e32 v7, 16, v2
	s_delay_alu instid0(VALU_DEP_2) | instskip(SKIP_1) | instid1(VALU_DEP_3)
	v_lshlrev_b32_e32 v6, 20, v6
	v_lshl_add_u32 v9, v81, 23, 0x3c000000
	v_and_b32_e32 v7, 0x80000000, v7
	s_delay_alu instid0(VALU_DEP_1)
	v_or3_b32 v6, v6, v7, v9
.LBB444_1529:                           ;   in Loop: Header=BB444_1478 Depth=1
	s_or_b32 exec_lo, exec_lo, s13
.LBB444_1530:                           ;   in Loop: Header=BB444_1478 Depth=1
	s_delay_alu instid0(SALU_CYCLE_1)
	s_or_b32 exec_lo, exec_lo, s12
.LBB444_1531:                           ;   in Loop: Header=BB444_1478 Depth=1
	s_delay_alu instid0(SALU_CYCLE_1) | instskip(NEXT) | instid1(VALU_DEP_1)
	s_or_b32 exec_lo, exec_lo, s0
	v_mul_f32_e32 v6, v8, v6
	s_mov_b32 s0, exec_lo
                                        ; implicit-def: $vgpr81
	s_delay_alu instid0(VALU_DEP_1) | instskip(NEXT) | instid1(VALU_DEP_1)
	v_and_b32_e32 v7, 0x7f800000, v6
	v_cmpx_ne_u32_e32 0x7f800000, v7
	s_xor_b32 s0, exec_lo, s0
; %bb.1532:                             ;   in Loop: Header=BB444_1478 Depth=1
	v_bfe_u32 v7, v6, 16, 1
	s_delay_alu instid0(VALU_DEP_1)
	v_add3_u32 v81, v6, v7, 0x7fff
                                        ; implicit-def: $vgpr6
; %bb.1533:                             ;   in Loop: Header=BB444_1478 Depth=1
	s_and_not1_saveexec_b32 s0, s0
; %bb.1534:                             ;   in Loop: Header=BB444_1478 Depth=1
	v_and_b32_e32 v7, 0xffff, v6
	v_or_b32_e32 v9, 0x10000, v6
	s_delay_alu instid0(VALU_DEP_2) | instskip(NEXT) | instid1(VALU_DEP_2)
	v_cmp_eq_u32_e32 vcc_lo, 0, v7
	v_cndmask_b32_e32 v81, v9, v6, vcc_lo
; %bb.1535:                             ;   in Loop: Header=BB444_1478 Depth=1
	s_or_b32 exec_lo, exec_lo, s0
	v_lshrrev_b32_e32 v82, 16, v2
	s_mov_b32 s0, exec_lo
	s_delay_alu instid0(VALU_DEP_1) | instskip(NEXT) | instid1(VALU_DEP_1)
	v_dual_mov_b32 v6, 0 :: v_dual_and_b32 v7, 0xff, v82
	v_cmpx_ne_u16_e32 0, v7
	s_cbranch_execz .LBB444_1543
; %bb.1536:                             ;   in Loop: Header=BB444_1478 Depth=1
	v_bfrev_b32_e32 v6, 1
	s_mov_b32 s12, exec_lo
	v_cmpx_ne_u16_e32 0x80, v7
	s_cbranch_execz .LBB444_1542
; %bb.1537:                             ;   in Loop: Header=BB444_1478 Depth=1
	v_bfe_u32 v7, v2, 16, 7
	v_mov_b32_e32 v6, 0x7f800001
	s_mov_b32 s13, exec_lo
	s_delay_alu instid0(VALU_DEP_2)
	v_cmpx_ne_u32_e32 0x7f, v7
	s_cbranch_execz .LBB444_1541
; %bb.1538:                             ;   in Loop: Header=BB444_1478 Depth=1
	v_and_b32_e32 v9, 7, v82
	v_lshrrev_b32_e32 v83, 3, v7
	v_cmp_gt_u32_e32 vcc_lo, 8, v7
	s_delay_alu instid0(VALU_DEP_3)
	v_dual_mov_b32 v6, v9 :: v_dual_mov_b32 v7, v10
	s_and_saveexec_b32 s15, vcc_lo
; %bb.1539:                             ;   in Loop: Header=BB444_1478 Depth=1
	v_clz_i32_u32_e32 v6, v9
	s_delay_alu instid0(VALU_DEP_1) | instskip(NEXT) | instid1(VALU_DEP_1)
	v_min_u32_e32 v83, 32, v6
	v_subrev_nc_u32_e32 v6, 28, v83
	v_sub_nc_u32_e32 v83, 29, v83
	s_delay_alu instid0(VALU_DEP_2) | instskip(NEXT) | instid1(VALU_DEP_1)
	v_lshlrev_b64 v[6:7], v6, v[9:10]
	v_and_b32_e32 v6, 7, v6
; %bb.1540:                             ;   in Loop: Header=BB444_1478 Depth=1
	s_or_b32 exec_lo, exec_lo, s15
	v_lshlrev_b32_e32 v7, 24, v82
	s_delay_alu instid0(VALU_DEP_2) | instskip(SKIP_1) | instid1(VALU_DEP_3)
	v_lshlrev_b32_e32 v6, 20, v6
	v_lshl_add_u32 v9, v83, 23, 0x3c000000
	v_and_b32_e32 v7, 0x80000000, v7
	s_delay_alu instid0(VALU_DEP_1)
	v_or3_b32 v6, v6, v7, v9
.LBB444_1541:                           ;   in Loop: Header=BB444_1478 Depth=1
	s_or_b32 exec_lo, exec_lo, s13
.LBB444_1542:                           ;   in Loop: Header=BB444_1478 Depth=1
	s_delay_alu instid0(SALU_CYCLE_1)
	s_or_b32 exec_lo, exec_lo, s12
.LBB444_1543:                           ;   in Loop: Header=BB444_1478 Depth=1
	s_delay_alu instid0(SALU_CYCLE_1) | instskip(NEXT) | instid1(VALU_DEP_1)
	s_or_b32 exec_lo, exec_lo, s0
	v_mul_f32_e32 v6, v8, v6
	s_mov_b32 s0, exec_lo
                                        ; implicit-def: $vgpr82
	s_delay_alu instid0(VALU_DEP_1) | instskip(NEXT) | instid1(VALU_DEP_1)
	v_and_b32_e32 v7, 0x7f800000, v6
	v_cmpx_ne_u32_e32 0x7f800000, v7
	s_xor_b32 s0, exec_lo, s0
; %bb.1544:                             ;   in Loop: Header=BB444_1478 Depth=1
	v_bfe_u32 v7, v6, 16, 1
	s_delay_alu instid0(VALU_DEP_1)
	v_add3_u32 v82, v6, v7, 0x7fff
                                        ; implicit-def: $vgpr6
; %bb.1545:                             ;   in Loop: Header=BB444_1478 Depth=1
	s_and_not1_saveexec_b32 s0, s0
; %bb.1546:                             ;   in Loop: Header=BB444_1478 Depth=1
	v_and_b32_e32 v7, 0xffff, v6
	v_or_b32_e32 v9, 0x10000, v6
	s_delay_alu instid0(VALU_DEP_2) | instskip(NEXT) | instid1(VALU_DEP_2)
	v_cmp_eq_u32_e32 vcc_lo, 0, v7
	v_cndmask_b32_e32 v82, v9, v6, vcc_lo
; %bb.1547:                             ;   in Loop: Header=BB444_1478 Depth=1
	s_or_b32 exec_lo, exec_lo, s0
	v_mov_b32_e32 v6, 0
	s_mov_b32 s0, exec_lo
	v_cmpx_lt_u32_e32 0xffffff, v2
	s_cbranch_execz .LBB444_1555
; %bb.1548:                             ;   in Loop: Header=BB444_1478 Depth=1
	v_lshrrev_b32_e32 v83, 24, v2
	v_bfrev_b32_e32 v6, 1
	s_mov_b32 s12, exec_lo
	s_delay_alu instid0(VALU_DEP_2)
	v_cmpx_ne_u32_e32 0x80, v83
	s_cbranch_execz .LBB444_1554
; %bb.1549:                             ;   in Loop: Header=BB444_1478 Depth=1
	v_bfe_u32 v7, v2, 24, 7
	v_mov_b32_e32 v6, 0x7f800001
	s_mov_b32 s13, exec_lo
	s_delay_alu instid0(VALU_DEP_2)
	v_cmpx_ne_u32_e32 0x7f, v7
	s_cbranch_execz .LBB444_1553
; %bb.1550:                             ;   in Loop: Header=BB444_1478 Depth=1
	v_and_b32_e32 v9, 7, v83
	v_lshrrev_b32_e32 v84, 3, v7
	v_cmp_gt_u32_e32 vcc_lo, 8, v7
	s_delay_alu instid0(VALU_DEP_3)
	v_dual_mov_b32 v6, v9 :: v_dual_mov_b32 v7, v10
	s_and_saveexec_b32 s15, vcc_lo
; %bb.1551:                             ;   in Loop: Header=BB444_1478 Depth=1
	v_clz_i32_u32_e32 v6, v9
	s_delay_alu instid0(VALU_DEP_1) | instskip(NEXT) | instid1(VALU_DEP_1)
	v_min_u32_e32 v84, 32, v6
	v_subrev_nc_u32_e32 v6, 28, v84
	v_sub_nc_u32_e32 v84, 29, v84
	s_delay_alu instid0(VALU_DEP_2) | instskip(NEXT) | instid1(VALU_DEP_1)
	v_lshlrev_b64 v[6:7], v6, v[9:10]
	v_and_b32_e32 v6, 7, v6
; %bb.1552:                             ;   in Loop: Header=BB444_1478 Depth=1
	s_or_b32 exec_lo, exec_lo, s15
	v_lshlrev_b32_e32 v7, 24, v83
	s_delay_alu instid0(VALU_DEP_2) | instskip(SKIP_1) | instid1(VALU_DEP_3)
	v_lshlrev_b32_e32 v6, 20, v6
	v_lshl_add_u32 v9, v84, 23, 0x3c000000
	v_and_b32_e32 v7, 0x80000000, v7
	s_delay_alu instid0(VALU_DEP_1)
	v_or3_b32 v6, v6, v7, v9
.LBB444_1553:                           ;   in Loop: Header=BB444_1478 Depth=1
	s_or_b32 exec_lo, exec_lo, s13
.LBB444_1554:                           ;   in Loop: Header=BB444_1478 Depth=1
	s_delay_alu instid0(SALU_CYCLE_1)
	s_or_b32 exec_lo, exec_lo, s12
.LBB444_1555:                           ;   in Loop: Header=BB444_1478 Depth=1
	s_delay_alu instid0(SALU_CYCLE_1) | instskip(NEXT) | instid1(VALU_DEP_1)
	s_or_b32 exec_lo, exec_lo, s0
	v_mul_f32_e32 v6, v8, v6
	s_mov_b32 s0, exec_lo
                                        ; implicit-def: $vgpr83
	s_delay_alu instid0(VALU_DEP_1) | instskip(NEXT) | instid1(VALU_DEP_1)
	v_and_b32_e32 v7, 0x7f800000, v6
	v_cmpx_ne_u32_e32 0x7f800000, v7
	s_xor_b32 s0, exec_lo, s0
; %bb.1556:                             ;   in Loop: Header=BB444_1478 Depth=1
	v_bfe_u32 v7, v6, 16, 1
	s_delay_alu instid0(VALU_DEP_1)
	v_add3_u32 v83, v6, v7, 0x7fff
                                        ; implicit-def: $vgpr6
; %bb.1557:                             ;   in Loop: Header=BB444_1478 Depth=1
	s_and_not1_saveexec_b32 s0, s0
; %bb.1558:                             ;   in Loop: Header=BB444_1478 Depth=1
	v_and_b32_e32 v7, 0xffff, v6
	v_or_b32_e32 v9, 0x10000, v6
	s_delay_alu instid0(VALU_DEP_2) | instskip(NEXT) | instid1(VALU_DEP_2)
	v_cmp_eq_u32_e32 vcc_lo, 0, v7
	v_cndmask_b32_e32 v83, v9, v6, vcc_lo
; %bb.1559:                             ;   in Loop: Header=BB444_1478 Depth=1
	s_or_b32 exec_lo, exec_lo, s0
	v_dual_mov_b32 v6, 0 :: v_dual_and_b32 v7, 0xff, v3
	v_mov_b32_e32 v9, v3
	s_mov_b32 s0, exec_lo
	s_delay_alu instid0(VALU_DEP_2)
	v_cmpx_ne_u16_e32 0, v7
	s_cbranch_execz .LBB444_1567
; %bb.1560:                             ;   in Loop: Header=BB444_1478 Depth=1
	v_bfrev_b32_e32 v6, 1
	s_mov_b32 s12, exec_lo
	v_cmpx_ne_u16_e32 0x80, v7
	s_cbranch_execz .LBB444_1566
; %bb.1561:                             ;   in Loop: Header=BB444_1478 Depth=1
	v_and_b32_e32 v7, 0x7f, v3
	v_mov_b32_e32 v6, 0x7f800001
	s_mov_b32 s13, exec_lo
	s_delay_alu instid0(VALU_DEP_2)
	v_cmpx_ne_u32_e32 0x7f, v7
	s_cbranch_execz .LBB444_1565
; %bb.1562:                             ;   in Loop: Header=BB444_1478 Depth=1
	v_lshrrev_b32_e32 v84, 3, v7
	v_cmp_gt_u32_e32 vcc_lo, 8, v7
	v_dual_mov_b32 v6, v9 :: v_dual_mov_b32 v7, v10
	s_and_saveexec_b32 s15, vcc_lo
; %bb.1563:                             ;   in Loop: Header=BB444_1478 Depth=1
	v_and_b32_e32 v6, 7, v3
	s_delay_alu instid0(VALU_DEP_1) | instskip(NEXT) | instid1(VALU_DEP_1)
	v_clz_i32_u32_e32 v6, v6
	v_min_u32_e32 v84, 32, v6
	s_delay_alu instid0(VALU_DEP_1) | instskip(SKIP_1) | instid1(VALU_DEP_2)
	v_subrev_nc_u32_e32 v6, 28, v84
	v_sub_nc_u32_e32 v84, 29, v84
	v_lshlrev_b64 v[6:7], v6, v[9:10]
; %bb.1564:                             ;   in Loop: Header=BB444_1478 Depth=1
	s_or_b32 exec_lo, exec_lo, s15
	s_delay_alu instid0(VALU_DEP_1) | instskip(SKIP_2) | instid1(VALU_DEP_3)
	v_lshlrev_b32_e32 v6, 20, v6
	v_lshlrev_b32_e32 v7, 24, v9
	v_lshl_add_u32 v84, v84, 23, 0x3c000000
	v_and_b32_e32 v6, 0x700000, v6
	s_delay_alu instid0(VALU_DEP_3) | instskip(NEXT) | instid1(VALU_DEP_1)
	v_and_b32_e32 v7, 0x80000000, v7
	v_or3_b32 v6, v6, v7, v84
.LBB444_1565:                           ;   in Loop: Header=BB444_1478 Depth=1
	s_or_b32 exec_lo, exec_lo, s13
.LBB444_1566:                           ;   in Loop: Header=BB444_1478 Depth=1
	s_delay_alu instid0(SALU_CYCLE_1)
	s_or_b32 exec_lo, exec_lo, s12
.LBB444_1567:                           ;   in Loop: Header=BB444_1478 Depth=1
	s_delay_alu instid0(SALU_CYCLE_1) | instskip(NEXT) | instid1(VALU_DEP_1)
	s_or_b32 exec_lo, exec_lo, s0
	v_mul_f32_e32 v6, v8, v6
	s_mov_b32 s0, exec_lo
                                        ; implicit-def: $vgpr84
	s_delay_alu instid0(VALU_DEP_1) | instskip(NEXT) | instid1(VALU_DEP_1)
	v_and_b32_e32 v7, 0x7f800000, v6
	v_cmpx_ne_u32_e32 0x7f800000, v7
	s_xor_b32 s0, exec_lo, s0
; %bb.1568:                             ;   in Loop: Header=BB444_1478 Depth=1
	v_bfe_u32 v7, v6, 16, 1
	s_delay_alu instid0(VALU_DEP_1)
	v_add3_u32 v84, v6, v7, 0x7fff
                                        ; implicit-def: $vgpr6
; %bb.1569:                             ;   in Loop: Header=BB444_1478 Depth=1
	s_and_not1_saveexec_b32 s0, s0
; %bb.1570:                             ;   in Loop: Header=BB444_1478 Depth=1
	v_and_b32_e32 v7, 0xffff, v6
	v_or_b32_e32 v84, 0x10000, v6
	s_delay_alu instid0(VALU_DEP_2) | instskip(NEXT) | instid1(VALU_DEP_2)
	v_cmp_eq_u32_e32 vcc_lo, 0, v7
	v_cndmask_b32_e32 v84, v84, v6, vcc_lo
; %bb.1571:                             ;   in Loop: Header=BB444_1478 Depth=1
	s_or_b32 exec_lo, exec_lo, s0
	v_lshrrev_b16 v7, 8, v9
	v_mov_b32_e32 v6, 0
	s_mov_b32 s0, exec_lo
	s_delay_alu instid0(VALU_DEP_2)
	v_cmpx_ne_u16_e32 0, v7
	s_cbranch_execz .LBB444_1579
; %bb.1572:                             ;   in Loop: Header=BB444_1478 Depth=1
	v_bfrev_b32_e32 v6, 1
	s_mov_b32 s12, exec_lo
	v_cmpx_ne_u16_e32 0x80, v7
	s_cbranch_execz .LBB444_1578
; %bb.1573:                             ;   in Loop: Header=BB444_1478 Depth=1
	v_and_b32_e32 v7, 0xffff, v7
	v_mov_b32_e32 v6, 0x7f800001
	s_mov_b32 s13, exec_lo
	s_delay_alu instid0(VALU_DEP_2) | instskip(NEXT) | instid1(VALU_DEP_1)
	v_and_b32_e32 v86, 0x7f, v7
	v_cmpx_ne_u32_e32 0x7f, v86
	s_cbranch_execz .LBB444_1577
; %bb.1574:                             ;   in Loop: Header=BB444_1478 Depth=1
	v_dual_mov_b32 v7, v10 :: v_dual_and_b32 v6, 7, v7
	v_lshrrev_b32_e32 v85, 3, v86
	s_mov_b32 s15, exec_lo
	v_cmpx_gt_u32_e32 8, v86
; %bb.1575:                             ;   in Loop: Header=BB444_1478 Depth=1
	s_delay_alu instid0(VALU_DEP_3) | instskip(NEXT) | instid1(VALU_DEP_1)
	v_clz_i32_u32_e32 v85, v6
	v_min_u32_e32 v85, 32, v85
	s_delay_alu instid0(VALU_DEP_1) | instskip(SKIP_1) | instid1(VALU_DEP_2)
	v_subrev_nc_u32_e32 v86, 28, v85
	v_sub_nc_u32_e32 v85, 29, v85
	v_lshlrev_b64 v[6:7], v86, v[6:7]
	s_delay_alu instid0(VALU_DEP_1)
	v_and_b32_e32 v6, 7, v6
; %bb.1576:                             ;   in Loop: Header=BB444_1478 Depth=1
	s_or_b32 exec_lo, exec_lo, s15
	v_lshlrev_b32_e32 v7, 16, v9
	s_delay_alu instid0(VALU_DEP_2) | instskip(SKIP_1) | instid1(VALU_DEP_3)
	v_lshlrev_b32_e32 v6, 20, v6
	v_lshl_add_u32 v9, v85, 23, 0x3c000000
	v_and_b32_e32 v7, 0x80000000, v7
	s_delay_alu instid0(VALU_DEP_1)
	v_or3_b32 v6, v6, v7, v9
.LBB444_1577:                           ;   in Loop: Header=BB444_1478 Depth=1
	s_or_b32 exec_lo, exec_lo, s13
.LBB444_1578:                           ;   in Loop: Header=BB444_1478 Depth=1
	s_delay_alu instid0(SALU_CYCLE_1)
	s_or_b32 exec_lo, exec_lo, s12
.LBB444_1579:                           ;   in Loop: Header=BB444_1478 Depth=1
	s_delay_alu instid0(SALU_CYCLE_1) | instskip(NEXT) | instid1(VALU_DEP_1)
	s_or_b32 exec_lo, exec_lo, s0
	v_mul_f32_e32 v6, v8, v6
	s_mov_b32 s0, exec_lo
                                        ; implicit-def: $vgpr86
	s_delay_alu instid0(VALU_DEP_1) | instskip(NEXT) | instid1(VALU_DEP_1)
	v_and_b32_e32 v7, 0x7f800000, v6
	v_cmpx_ne_u32_e32 0x7f800000, v7
	s_xor_b32 s0, exec_lo, s0
; %bb.1580:                             ;   in Loop: Header=BB444_1478 Depth=1
	v_bfe_u32 v7, v6, 16, 1
	s_delay_alu instid0(VALU_DEP_1)
	v_add3_u32 v86, v6, v7, 0x7fff
                                        ; implicit-def: $vgpr6
; %bb.1581:                             ;   in Loop: Header=BB444_1478 Depth=1
	s_and_not1_saveexec_b32 s0, s0
; %bb.1582:                             ;   in Loop: Header=BB444_1478 Depth=1
	v_and_b32_e32 v7, 0xffff, v6
	v_or_b32_e32 v9, 0x10000, v6
	s_delay_alu instid0(VALU_DEP_2) | instskip(NEXT) | instid1(VALU_DEP_2)
	v_cmp_eq_u32_e32 vcc_lo, 0, v7
	v_cndmask_b32_e32 v86, v9, v6, vcc_lo
; %bb.1583:                             ;   in Loop: Header=BB444_1478 Depth=1
	s_or_b32 exec_lo, exec_lo, s0
	v_lshrrev_b32_e32 v85, 16, v3
	s_mov_b32 s0, exec_lo
	s_delay_alu instid0(VALU_DEP_1) | instskip(NEXT) | instid1(VALU_DEP_1)
	v_dual_mov_b32 v6, 0 :: v_dual_and_b32 v7, 0xff, v85
	v_cmpx_ne_u16_e32 0, v7
	s_cbranch_execz .LBB444_1591
; %bb.1584:                             ;   in Loop: Header=BB444_1478 Depth=1
	v_bfrev_b32_e32 v6, 1
	s_mov_b32 s12, exec_lo
	v_cmpx_ne_u16_e32 0x80, v7
	s_cbranch_execz .LBB444_1590
; %bb.1585:                             ;   in Loop: Header=BB444_1478 Depth=1
	v_bfe_u32 v7, v3, 16, 7
	v_mov_b32_e32 v6, 0x7f800001
	s_mov_b32 s13, exec_lo
	s_delay_alu instid0(VALU_DEP_2)
	v_cmpx_ne_u32_e32 0x7f, v7
	s_cbranch_execz .LBB444_1589
; %bb.1586:                             ;   in Loop: Header=BB444_1478 Depth=1
	v_and_b32_e32 v9, 7, v85
	v_lshrrev_b32_e32 v87, 3, v7
	v_cmp_gt_u32_e32 vcc_lo, 8, v7
	s_delay_alu instid0(VALU_DEP_3)
	v_dual_mov_b32 v6, v9 :: v_dual_mov_b32 v7, v10
	s_and_saveexec_b32 s15, vcc_lo
; %bb.1587:                             ;   in Loop: Header=BB444_1478 Depth=1
	v_clz_i32_u32_e32 v6, v9
	s_delay_alu instid0(VALU_DEP_1) | instskip(NEXT) | instid1(VALU_DEP_1)
	v_min_u32_e32 v87, 32, v6
	v_subrev_nc_u32_e32 v6, 28, v87
	v_sub_nc_u32_e32 v87, 29, v87
	s_delay_alu instid0(VALU_DEP_2) | instskip(NEXT) | instid1(VALU_DEP_1)
	v_lshlrev_b64 v[6:7], v6, v[9:10]
	v_and_b32_e32 v6, 7, v6
; %bb.1588:                             ;   in Loop: Header=BB444_1478 Depth=1
	s_or_b32 exec_lo, exec_lo, s15
	v_lshlrev_b32_e32 v7, 24, v85
	s_delay_alu instid0(VALU_DEP_2) | instskip(SKIP_1) | instid1(VALU_DEP_3)
	v_lshlrev_b32_e32 v6, 20, v6
	v_lshl_add_u32 v9, v87, 23, 0x3c000000
	v_and_b32_e32 v7, 0x80000000, v7
	s_delay_alu instid0(VALU_DEP_1)
	v_or3_b32 v6, v6, v7, v9
.LBB444_1589:                           ;   in Loop: Header=BB444_1478 Depth=1
	s_or_b32 exec_lo, exec_lo, s13
.LBB444_1590:                           ;   in Loop: Header=BB444_1478 Depth=1
	s_delay_alu instid0(SALU_CYCLE_1)
	s_or_b32 exec_lo, exec_lo, s12
.LBB444_1591:                           ;   in Loop: Header=BB444_1478 Depth=1
	s_delay_alu instid0(SALU_CYCLE_1) | instskip(NEXT) | instid1(VALU_DEP_1)
	s_or_b32 exec_lo, exec_lo, s0
	v_mul_f32_e32 v6, v8, v6
	s_mov_b32 s0, exec_lo
                                        ; implicit-def: $vgpr87
	s_delay_alu instid0(VALU_DEP_1) | instskip(NEXT) | instid1(VALU_DEP_1)
	v_and_b32_e32 v7, 0x7f800000, v6
	v_cmpx_ne_u32_e32 0x7f800000, v7
	s_xor_b32 s0, exec_lo, s0
; %bb.1592:                             ;   in Loop: Header=BB444_1478 Depth=1
	v_bfe_u32 v7, v6, 16, 1
	s_delay_alu instid0(VALU_DEP_1)
	v_add3_u32 v87, v6, v7, 0x7fff
                                        ; implicit-def: $vgpr6
; %bb.1593:                             ;   in Loop: Header=BB444_1478 Depth=1
	s_and_not1_saveexec_b32 s0, s0
; %bb.1594:                             ;   in Loop: Header=BB444_1478 Depth=1
	v_and_b32_e32 v7, 0xffff, v6
	v_or_b32_e32 v9, 0x10000, v6
	s_delay_alu instid0(VALU_DEP_2) | instskip(NEXT) | instid1(VALU_DEP_2)
	v_cmp_eq_u32_e32 vcc_lo, 0, v7
	v_cndmask_b32_e32 v87, v9, v6, vcc_lo
; %bb.1595:                             ;   in Loop: Header=BB444_1478 Depth=1
	s_or_b32 exec_lo, exec_lo, s0
	v_cmp_lt_u64_e32 vcc_lo, s[8:9], v[2:3]
	v_mov_b32_e32 v2, 0
	s_and_saveexec_b32 s0, vcc_lo
	s_cbranch_execz .LBB444_1603
; %bb.1596:                             ;   in Loop: Header=BB444_1478 Depth=1
	v_lshrrev_b32_e32 v6, 24, v3
	v_bfrev_b32_e32 v2, 1
	s_mov_b32 s12, exec_lo
	s_delay_alu instid0(VALU_DEP_2)
	v_cmpx_ne_u32_e32 0x80, v6
	s_cbranch_execz .LBB444_1602
; %bb.1597:                             ;   in Loop: Header=BB444_1478 Depth=1
	v_bfe_u32 v3, v3, 24, 7
	v_mov_b32_e32 v2, 0x7f800001
	s_mov_b32 s13, exec_lo
	s_delay_alu instid0(VALU_DEP_2)
	v_cmpx_ne_u32_e32 0x7f, v3
	s_cbranch_execz .LBB444_1601
; %bb.1598:                             ;   in Loop: Header=BB444_1478 Depth=1
	v_and_b32_e32 v9, 7, v6
	v_lshrrev_b32_e32 v7, 3, v3
	v_cmp_gt_u32_e32 vcc_lo, 8, v3
	s_delay_alu instid0(VALU_DEP_3)
	v_dual_mov_b32 v2, v9 :: v_dual_mov_b32 v3, v10
	s_and_saveexec_b32 s15, vcc_lo
; %bb.1599:                             ;   in Loop: Header=BB444_1478 Depth=1
	v_clz_i32_u32_e32 v2, v9
	s_delay_alu instid0(VALU_DEP_1) | instskip(NEXT) | instid1(VALU_DEP_1)
	v_min_u32_e32 v7, 32, v2
	v_subrev_nc_u32_e32 v2, 28, v7
	v_sub_nc_u32_e32 v7, 29, v7
	s_delay_alu instid0(VALU_DEP_2) | instskip(NEXT) | instid1(VALU_DEP_1)
	v_lshlrev_b64 v[2:3], v2, v[9:10]
	v_and_b32_e32 v2, 7, v2
; %bb.1600:                             ;   in Loop: Header=BB444_1478 Depth=1
	s_or_b32 exec_lo, exec_lo, s15
	v_lshlrev_b32_e32 v3, 24, v6
	s_delay_alu instid0(VALU_DEP_2) | instskip(SKIP_1) | instid1(VALU_DEP_3)
	v_lshlrev_b32_e32 v2, 20, v2
	v_lshl_add_u32 v6, v7, 23, 0x3c000000
	v_and_b32_e32 v3, 0x80000000, v3
	s_delay_alu instid0(VALU_DEP_1)
	v_or3_b32 v2, v2, v3, v6
.LBB444_1601:                           ;   in Loop: Header=BB444_1478 Depth=1
	s_or_b32 exec_lo, exec_lo, s13
.LBB444_1602:                           ;   in Loop: Header=BB444_1478 Depth=1
	s_delay_alu instid0(SALU_CYCLE_1)
	s_or_b32 exec_lo, exec_lo, s12
.LBB444_1603:                           ;   in Loop: Header=BB444_1478 Depth=1
	s_delay_alu instid0(SALU_CYCLE_1) | instskip(NEXT) | instid1(VALU_DEP_1)
	s_or_b32 exec_lo, exec_lo, s0
	v_mul_f32_e32 v3, v8, v2
	s_delay_alu instid0(VALU_DEP_1) | instskip(NEXT) | instid1(VALU_DEP_1)
	v_and_b32_e32 v2, 0x7f800000, v3
	v_cmp_ne_u32_e32 vcc_lo, 0x7f800000, v2
                                        ; implicit-def: $vgpr2
	s_and_saveexec_b32 s0, vcc_lo
	s_delay_alu instid0(SALU_CYCLE_1)
	s_xor_b32 s0, exec_lo, s0
; %bb.1604:                             ;   in Loop: Header=BB444_1478 Depth=1
	v_bfe_u32 v2, v3, 16, 1
	s_delay_alu instid0(VALU_DEP_1)
	v_add3_u32 v2, v3, v2, 0x7fff
                                        ; implicit-def: $vgpr3
; %bb.1605:                             ;   in Loop: Header=BB444_1478 Depth=1
	s_and_not1_saveexec_b32 s0, s0
; %bb.1606:                             ;   in Loop: Header=BB444_1478 Depth=1
	v_and_b32_e32 v2, 0xffff, v3
	v_or_b32_e32 v6, 0x10000, v3
	s_delay_alu instid0(VALU_DEP_2) | instskip(NEXT) | instid1(VALU_DEP_2)
	v_cmp_eq_u32_e32 vcc_lo, 0, v2
	v_cndmask_b32_e32 v2, v6, v3, vcc_lo
; %bb.1607:                             ;   in Loop: Header=BB444_1478 Depth=1
	s_or_b32 exec_lo, exec_lo, s0
	v_add_nc_u32_e32 v85, v18, v23
	v_cmp_eq_u32_e32 vcc_lo, v67, v17
	v_lshrrev_b32_e32 v6, 16, v86
	v_lshrrev_b32_e32 v7, 16, v84
	;; [unrolled: 1-line block ×8, first 2 shown]
	v_add_nc_u32_e32 v100, 1, v85
	v_add_nc_u32_e32 v99, 2, v85
	;; [unrolled: 1-line block ×7, first 2 shown]
	s_and_saveexec_b32 s12, vcc_lo
	s_cbranch_execz .LBB444_1609
; %bb.1608:                             ;   in Loop: Header=BB444_1478 Depth=1
	v_cmp_lt_i32_e64 s0, v85, v38
	s_delay_alu instid0(VALU_DEP_1) | instskip(SKIP_1) | instid1(VALU_DEP_1)
	v_cndmask_b32_e64 v80, 0, v80, s0
	v_cmp_lt_i32_e64 s0, v100, v38
	v_cndmask_b32_e64 v81, 0, v81, s0
	v_cmp_lt_i32_e64 s0, v99, v38
	s_delay_alu instid0(VALU_DEP_1) | instskip(SKIP_1) | instid1(VALU_DEP_1)
	v_cndmask_b32_e64 v82, 0, v82, s0
	v_cmp_lt_i32_e64 s0, v98, v38
	v_cndmask_b32_e64 v9, 0, v9, s0
	;; [unrolled: 5-line block ×4, first 2 shown]
.LBB444_1609:                           ;   in Loop: Header=BB444_1478 Depth=1
	s_or_b32 exec_lo, exec_lo, s12
	v_and_b32_e32 v101, 0xffff0000, v69
	v_lshlrev_b32_e32 v69, 16, v80
	s_delay_alu instid0(VALU_DEP_1) | instskip(NEXT) | instid1(VALU_DEP_1)
	v_mul_f32_e32 v80, v101, v69
	v_and_b32_e32 v69, 0x7f800000, v80
	s_delay_alu instid0(VALU_DEP_1) | instskip(NEXT) | instid1(VALU_DEP_1)
	v_cmp_ne_u32_e64 s0, 0x7f800000, v69
                                        ; implicit-def: $vgpr69
	s_and_saveexec_b32 s12, s0
	s_delay_alu instid0(SALU_CYCLE_1)
	s_xor_b32 s0, exec_lo, s12
; %bb.1610:                             ;   in Loop: Header=BB444_1478 Depth=1
	v_bfe_u32 v69, v80, 16, 1
	s_delay_alu instid0(VALU_DEP_1)
	v_add3_u32 v69, v80, v69, 0x7fff
                                        ; implicit-def: $vgpr80
; %bb.1611:                             ;   in Loop: Header=BB444_1478 Depth=1
	s_and_not1_saveexec_b32 s12, s0
; %bb.1612:                             ;   in Loop: Header=BB444_1478 Depth=1
	v_and_b32_e32 v69, 0xffff, v80
	v_or_b32_e32 v83, 0x10000, v80
	s_delay_alu instid0(VALU_DEP_2) | instskip(NEXT) | instid1(VALU_DEP_1)
	v_cmp_eq_u32_e64 s0, 0, v69
	v_cndmask_b32_e64 v69, v83, v80, s0
; %bb.1613:                             ;   in Loop: Header=BB444_1478 Depth=1
	s_or_b32 exec_lo, exec_lo, s12
	v_and_b32_e32 v102, 0xffff0000, v70
	v_lshlrev_b32_e32 v70, 16, v81
	s_delay_alu instid0(VALU_DEP_1) | instskip(NEXT) | instid1(VALU_DEP_1)
	v_mul_f32_e32 v80, v102, v70
	v_and_b32_e32 v70, 0x7f800000, v80
	s_delay_alu instid0(VALU_DEP_1) | instskip(NEXT) | instid1(VALU_DEP_1)
	v_cmp_ne_u32_e64 s0, 0x7f800000, v70
                                        ; implicit-def: $vgpr70
	s_and_saveexec_b32 s12, s0
	s_delay_alu instid0(SALU_CYCLE_1)
	s_xor_b32 s0, exec_lo, s12
; %bb.1614:                             ;   in Loop: Header=BB444_1478 Depth=1
	v_bfe_u32 v70, v80, 16, 1
	s_delay_alu instid0(VALU_DEP_1)
	v_add3_u32 v70, v80, v70, 0x7fff
                                        ; implicit-def: $vgpr80
; %bb.1615:                             ;   in Loop: Header=BB444_1478 Depth=1
	s_and_not1_saveexec_b32 s12, s0
; %bb.1616:                             ;   in Loop: Header=BB444_1478 Depth=1
	v_and_b32_e32 v70, 0xffff, v80
	v_or_b32_e32 v81, 0x10000, v80
	s_delay_alu instid0(VALU_DEP_2) | instskip(NEXT) | instid1(VALU_DEP_1)
	v_cmp_eq_u32_e64 s0, 0, v70
	v_cndmask_b32_e64 v70, v81, v80, s0
; %bb.1617:                             ;   in Loop: Header=BB444_1478 Depth=1
	s_or_b32 exec_lo, exec_lo, s12
	v_and_b32_e32 v103, 0xffff0000, v71
	v_lshlrev_b32_e32 v71, 16, v82
	s_delay_alu instid0(VALU_DEP_1) | instskip(NEXT) | instid1(VALU_DEP_1)
	v_mul_f32_e32 v80, v103, v71
	v_and_b32_e32 v71, 0x7f800000, v80
	s_delay_alu instid0(VALU_DEP_1) | instskip(NEXT) | instid1(VALU_DEP_1)
	v_cmp_ne_u32_e64 s0, 0x7f800000, v71
                                        ; implicit-def: $vgpr71
	s_and_saveexec_b32 s12, s0
	s_delay_alu instid0(SALU_CYCLE_1)
	s_xor_b32 s0, exec_lo, s12
; %bb.1618:                             ;   in Loop: Header=BB444_1478 Depth=1
	v_bfe_u32 v71, v80, 16, 1
	s_delay_alu instid0(VALU_DEP_1)
	v_add3_u32 v71, v80, v71, 0x7fff
                                        ; implicit-def: $vgpr80
; %bb.1619:                             ;   in Loop: Header=BB444_1478 Depth=1
	s_and_not1_saveexec_b32 s12, s0
; %bb.1620:                             ;   in Loop: Header=BB444_1478 Depth=1
	v_and_b32_e32 v71, 0xffff, v80
	v_or_b32_e32 v81, 0x10000, v80
	s_delay_alu instid0(VALU_DEP_2) | instskip(NEXT) | instid1(VALU_DEP_1)
	v_cmp_eq_u32_e64 s0, 0, v71
	v_cndmask_b32_e64 v71, v81, v80, s0
; %bb.1621:                             ;   in Loop: Header=BB444_1478 Depth=1
	s_or_b32 exec_lo, exec_lo, s12
	v_and_b32_e32 v112, 0xffff0000, v39
	v_lshlrev_b32_e32 v9, 16, v9
                                        ; implicit-def: $vgpr80
	s_delay_alu instid0(VALU_DEP_1) | instskip(NEXT) | instid1(VALU_DEP_1)
	v_mul_f32_e32 v9, v112, v9
	v_and_b32_e32 v39, 0x7f800000, v9
	s_delay_alu instid0(VALU_DEP_1) | instskip(NEXT) | instid1(VALU_DEP_1)
	v_cmp_ne_u32_e64 s0, 0x7f800000, v39
	s_and_saveexec_b32 s12, s0
	s_delay_alu instid0(SALU_CYCLE_1)
	s_xor_b32 s0, exec_lo, s12
; %bb.1622:                             ;   in Loop: Header=BB444_1478 Depth=1
	v_bfe_u32 v39, v9, 16, 1
	s_delay_alu instid0(VALU_DEP_1)
	v_add3_u32 v80, v9, v39, 0x7fff
                                        ; implicit-def: $vgpr9
; %bb.1623:                             ;   in Loop: Header=BB444_1478 Depth=1
	s_and_not1_saveexec_b32 s12, s0
; %bb.1624:                             ;   in Loop: Header=BB444_1478 Depth=1
	v_and_b32_e32 v39, 0xffff, v9
	v_or_b32_e32 v80, 0x10000, v9
	s_delay_alu instid0(VALU_DEP_2) | instskip(NEXT) | instid1(VALU_DEP_1)
	v_cmp_eq_u32_e64 s0, 0, v39
	v_cndmask_b32_e64 v80, v80, v9, s0
; %bb.1625:                             ;   in Loop: Header=BB444_1478 Depth=1
	s_or_b32 exec_lo, exec_lo, s12
	v_and_b32_e32 v113, 0xffff0000, v37
	v_lshlrev_b32_e32 v7, 16, v7
                                        ; implicit-def: $vgpr81
	s_delay_alu instid0(VALU_DEP_1) | instskip(NEXT) | instid1(VALU_DEP_1)
	v_mul_f32_e32 v7, v113, v7
	v_and_b32_e32 v9, 0x7f800000, v7
	s_delay_alu instid0(VALU_DEP_1) | instskip(NEXT) | instid1(VALU_DEP_1)
	v_cmp_ne_u32_e64 s0, 0x7f800000, v9
	s_and_saveexec_b32 s12, s0
	s_delay_alu instid0(SALU_CYCLE_1)
	s_xor_b32 s0, exec_lo, s12
; %bb.1626:                             ;   in Loop: Header=BB444_1478 Depth=1
	v_bfe_u32 v9, v7, 16, 1
	s_delay_alu instid0(VALU_DEP_1)
	v_add3_u32 v81, v7, v9, 0x7fff
                                        ; implicit-def: $vgpr7
; %bb.1627:                             ;   in Loop: Header=BB444_1478 Depth=1
	s_and_not1_saveexec_b32 s12, s0
; %bb.1628:                             ;   in Loop: Header=BB444_1478 Depth=1
	v_and_b32_e32 v9, 0xffff, v7
	v_or_b32_e32 v37, 0x10000, v7
	s_delay_alu instid0(VALU_DEP_2) | instskip(NEXT) | instid1(VALU_DEP_1)
	v_cmp_eq_u32_e64 s0, 0, v9
	v_cndmask_b32_e64 v81, v37, v7, s0
; %bb.1629:                             ;   in Loop: Header=BB444_1478 Depth=1
	s_or_b32 exec_lo, exec_lo, s12
	v_and_b32_e32 v114, 0xffff0000, v21
	v_lshlrev_b32_e32 v6, 16, v6
                                        ; implicit-def: $vgpr82
	s_delay_alu instid0(VALU_DEP_1) | instskip(NEXT) | instid1(VALU_DEP_1)
	v_mul_f32_e32 v6, v114, v6
	v_and_b32_e32 v7, 0x7f800000, v6
	s_delay_alu instid0(VALU_DEP_1) | instskip(NEXT) | instid1(VALU_DEP_1)
	v_cmp_ne_u32_e64 s0, 0x7f800000, v7
	s_and_saveexec_b32 s12, s0
	s_delay_alu instid0(SALU_CYCLE_1)
	s_xor_b32 s0, exec_lo, s12
; %bb.1630:                             ;   in Loop: Header=BB444_1478 Depth=1
	v_bfe_u32 v7, v6, 16, 1
	s_delay_alu instid0(VALU_DEP_1)
	v_add3_u32 v82, v6, v7, 0x7fff
                                        ; implicit-def: $vgpr6
; %bb.1631:                             ;   in Loop: Header=BB444_1478 Depth=1
	s_and_not1_saveexec_b32 s12, s0
; %bb.1632:                             ;   in Loop: Header=BB444_1478 Depth=1
	v_and_b32_e32 v7, 0xffff, v6
	v_or_b32_e32 v9, 0x10000, v6
	s_delay_alu instid0(VALU_DEP_2) | instskip(NEXT) | instid1(VALU_DEP_1)
	v_cmp_eq_u32_e64 s0, 0, v7
	v_cndmask_b32_e64 v82, v9, v6, s0
; %bb.1633:                             ;   in Loop: Header=BB444_1478 Depth=1
	s_or_b32 exec_lo, exec_lo, s12
	v_and_b32_e32 v115, 0xffff0000, v5
	v_lshlrev_b32_e32 v3, 16, v3
                                        ; implicit-def: $vgpr83
	s_delay_alu instid0(VALU_DEP_1) | instskip(NEXT) | instid1(VALU_DEP_1)
	v_mul_f32_e32 v3, v115, v3
	v_and_b32_e32 v5, 0x7f800000, v3
	s_delay_alu instid0(VALU_DEP_1) | instskip(NEXT) | instid1(VALU_DEP_1)
	v_cmp_ne_u32_e64 s0, 0x7f800000, v5
	s_and_saveexec_b32 s12, s0
	s_delay_alu instid0(SALU_CYCLE_1)
	s_xor_b32 s0, exec_lo, s12
; %bb.1634:                             ;   in Loop: Header=BB444_1478 Depth=1
	v_bfe_u32 v5, v3, 16, 1
	s_delay_alu instid0(VALU_DEP_1)
	v_add3_u32 v83, v3, v5, 0x7fff
                                        ; implicit-def: $vgpr3
; %bb.1635:                             ;   in Loop: Header=BB444_1478 Depth=1
	s_and_not1_saveexec_b32 s12, s0
; %bb.1636:                             ;   in Loop: Header=BB444_1478 Depth=1
	v_and_b32_e32 v5, 0xffff, v3
	v_or_b32_e32 v6, 0x10000, v3
	s_delay_alu instid0(VALU_DEP_2) | instskip(NEXT) | instid1(VALU_DEP_1)
	v_cmp_eq_u32_e64 s0, 0, v5
	v_cndmask_b32_e64 v83, v6, v3, s0
; %bb.1637:                             ;   in Loop: Header=BB444_1478 Depth=1
	s_or_b32 exec_lo, exec_lo, s12
	v_and_b32_e32 v116, 0xffff0000, v4
	v_lshlrev_b32_e32 v2, 16, v2
                                        ; implicit-def: $vgpr84
	s_delay_alu instid0(VALU_DEP_1) | instskip(NEXT) | instid1(VALU_DEP_1)
	v_mul_f32_e32 v2, v116, v2
	v_and_b32_e32 v3, 0x7f800000, v2
	s_delay_alu instid0(VALU_DEP_1) | instskip(NEXT) | instid1(VALU_DEP_1)
	v_cmp_ne_u32_e64 s0, 0x7f800000, v3
	s_and_saveexec_b32 s12, s0
	s_delay_alu instid0(SALU_CYCLE_1)
	s_xor_b32 s0, exec_lo, s12
; %bb.1638:                             ;   in Loop: Header=BB444_1478 Depth=1
	v_bfe_u32 v3, v2, 16, 1
	s_delay_alu instid0(VALU_DEP_1)
	v_add3_u32 v84, v2, v3, 0x7fff
                                        ; implicit-def: $vgpr2
; %bb.1639:                             ;   in Loop: Header=BB444_1478 Depth=1
	s_and_not1_saveexec_b32 s12, s0
; %bb.1640:                             ;   in Loop: Header=BB444_1478 Depth=1
	v_and_b32_e32 v3, 0xffff, v2
	v_or_b32_e32 v4, 0x10000, v2
	s_delay_alu instid0(VALU_DEP_2) | instskip(NEXT) | instid1(VALU_DEP_1)
	v_cmp_eq_u32_e64 s0, 0, v3
	v_cndmask_b32_e64 v84, v4, v2, s0
; %bb.1641:                             ;   in Loop: Header=BB444_1478 Depth=1
	s_or_b32 exec_lo, exec_lo, s12
	flat_load_b64 v[2:3], v[0:1] offset:256
	s_mov_b32 s12, exec_lo
	s_waitcnt vmcnt(0) lgkmcnt(0)
	v_dual_mov_b32 v4, 0 :: v_dual_and_b32 v5, 0xff, v2
	s_delay_alu instid0(VALU_DEP_1)
	v_cmpx_ne_u16_e32 0, v5
	s_cbranch_execz .LBB444_1649
; %bb.1642:                             ;   in Loop: Header=BB444_1478 Depth=1
	v_bfrev_b32_e32 v4, 1
	s_mov_b32 s13, exec_lo
	v_cmpx_ne_u16_e32 0x80, v5
	s_cbranch_execz .LBB444_1648
; %bb.1643:                             ;   in Loop: Header=BB444_1478 Depth=1
	v_and_b32_e32 v5, 0x7f, v2
	v_mov_b32_e32 v4, 0x7f800001
	s_mov_b32 s15, exec_lo
	s_delay_alu instid0(VALU_DEP_2)
	v_cmpx_ne_u32_e32 0x7f, v5
	s_cbranch_execz .LBB444_1647
; %bb.1644:                             ;   in Loop: Header=BB444_1478 Depth=1
	v_lshrrev_b32_e32 v4, 3, v5
	v_dual_mov_b32 v7, v3 :: v_dual_mov_b32 v6, v2
	s_mov_b32 s16, exec_lo
	v_cmpx_gt_u32_e32 8, v5
; %bb.1645:                             ;   in Loop: Header=BB444_1478 Depth=1
	v_and_b32_e32 v4, 7, v2
	s_delay_alu instid0(VALU_DEP_1) | instskip(NEXT) | instid1(VALU_DEP_1)
	v_clz_i32_u32_e32 v4, v4
	v_min_u32_e32 v4, 32, v4
	s_delay_alu instid0(VALU_DEP_1) | instskip(SKIP_1) | instid1(VALU_DEP_2)
	v_subrev_nc_u32_e32 v5, 28, v4
	v_sub_nc_u32_e32 v4, 29, v4
	v_lshlrev_b64 v[6:7], v5, v[2:3]
; %bb.1646:                             ;   in Loop: Header=BB444_1478 Depth=1
	s_or_b32 exec_lo, exec_lo, s16
	s_delay_alu instid0(VALU_DEP_1) | instskip(SKIP_2) | instid1(VALU_DEP_3)
	v_lshlrev_b32_e32 v5, 20, v6
	v_lshlrev_b32_e32 v6, 24, v2
	v_lshl_add_u32 v4, v4, 23, 0x3c000000
	v_and_b32_e32 v5, 0x700000, v5
	s_delay_alu instid0(VALU_DEP_3) | instskip(NEXT) | instid1(VALU_DEP_1)
	v_and_b32_e32 v6, 0x80000000, v6
	v_or3_b32 v4, v5, v6, v4
.LBB444_1647:                           ;   in Loop: Header=BB444_1478 Depth=1
	s_or_b32 exec_lo, exec_lo, s15
.LBB444_1648:                           ;   in Loop: Header=BB444_1478 Depth=1
	s_delay_alu instid0(SALU_CYCLE_1)
	s_or_b32 exec_lo, exec_lo, s13
.LBB444_1649:                           ;   in Loop: Header=BB444_1478 Depth=1
	s_delay_alu instid0(SALU_CYCLE_1) | instskip(NEXT) | instid1(VALU_DEP_1)
	s_or_b32 exec_lo, exec_lo, s12
	v_mul_f32_e32 v5, v8, v4
	s_delay_alu instid0(VALU_DEP_1) | instskip(NEXT) | instid1(VALU_DEP_1)
	v_and_b32_e32 v4, 0x7f800000, v5
	v_cmp_ne_u32_e64 s0, 0x7f800000, v4
                                        ; implicit-def: $vgpr4
	s_delay_alu instid0(VALU_DEP_1) | instskip(NEXT) | instid1(SALU_CYCLE_1)
	s_and_saveexec_b32 s12, s0
	s_xor_b32 s0, exec_lo, s12
; %bb.1650:                             ;   in Loop: Header=BB444_1478 Depth=1
	v_bfe_u32 v4, v5, 16, 1
	s_delay_alu instid0(VALU_DEP_1)
	v_add3_u32 v4, v5, v4, 0x7fff
                                        ; implicit-def: $vgpr5
; %bb.1651:                             ;   in Loop: Header=BB444_1478 Depth=1
	s_and_not1_saveexec_b32 s12, s0
; %bb.1652:                             ;   in Loop: Header=BB444_1478 Depth=1
	v_and_b32_e32 v4, 0xffff, v5
	v_or_b32_e32 v6, 0x10000, v5
	s_delay_alu instid0(VALU_DEP_2) | instskip(NEXT) | instid1(VALU_DEP_1)
	v_cmp_eq_u32_e64 s0, 0, v4
	v_cndmask_b32_e64 v4, v6, v5, s0
; %bb.1653:                             ;   in Loop: Header=BB444_1478 Depth=1
	s_or_b32 exec_lo, exec_lo, s12
	v_lshrrev_b16 v6, 8, v2
	v_mov_b32_e32 v5, 0
	s_mov_b32 s12, exec_lo
	s_delay_alu instid0(VALU_DEP_2)
	v_cmpx_ne_u16_e32 0, v6
	s_cbranch_execz .LBB444_1661
; %bb.1654:                             ;   in Loop: Header=BB444_1478 Depth=1
	v_bfrev_b32_e32 v5, 1
	s_mov_b32 s13, exec_lo
	v_cmpx_ne_u16_e32 0x80, v6
	s_cbranch_execz .LBB444_1660
; %bb.1655:                             ;   in Loop: Header=BB444_1478 Depth=1
	v_and_b32_e32 v7, 0xffff, v6
	v_mov_b32_e32 v5, 0x7f800001
	s_mov_b32 s15, exec_lo
	s_delay_alu instid0(VALU_DEP_2) | instskip(NEXT) | instid1(VALU_DEP_1)
	v_and_b32_e32 v6, 0x7f, v7
	v_cmpx_ne_u32_e32 0x7f, v6
	s_cbranch_execz .LBB444_1659
; %bb.1656:                             ;   in Loop: Header=BB444_1478 Depth=1
	v_and_b32_e32 v9, 7, v7
	v_lshrrev_b32_e32 v5, 3, v6
	v_cmp_gt_u32_e64 s0, 8, v6
	s_delay_alu instid0(VALU_DEP_3) | instskip(NEXT) | instid1(VALU_DEP_2)
	v_dual_mov_b32 v6, v9 :: v_dual_mov_b32 v7, v10
	s_and_saveexec_b32 s16, s0
; %bb.1657:                             ;   in Loop: Header=BB444_1478 Depth=1
	v_clz_i32_u32_e32 v5, v9
	s_delay_alu instid0(VALU_DEP_1) | instskip(NEXT) | instid1(VALU_DEP_1)
	v_min_u32_e32 v5, 32, v5
	v_subrev_nc_u32_e32 v6, 28, v5
	v_sub_nc_u32_e32 v5, 29, v5
	s_delay_alu instid0(VALU_DEP_2) | instskip(NEXT) | instid1(VALU_DEP_1)
	v_lshlrev_b64 v[6:7], v6, v[9:10]
	v_and_b32_e32 v6, 7, v6
; %bb.1658:                             ;   in Loop: Header=BB444_1478 Depth=1
	s_or_b32 exec_lo, exec_lo, s16
	v_lshlrev_b32_e32 v7, 16, v2
	s_delay_alu instid0(VALU_DEP_2) | instskip(SKIP_1) | instid1(VALU_DEP_3)
	v_lshlrev_b32_e32 v6, 20, v6
	v_lshl_add_u32 v5, v5, 23, 0x3c000000
	v_and_b32_e32 v7, 0x80000000, v7
	s_delay_alu instid0(VALU_DEP_1)
	v_or3_b32 v5, v6, v7, v5
.LBB444_1659:                           ;   in Loop: Header=BB444_1478 Depth=1
	s_or_b32 exec_lo, exec_lo, s15
.LBB444_1660:                           ;   in Loop: Header=BB444_1478 Depth=1
	s_delay_alu instid0(SALU_CYCLE_1)
	s_or_b32 exec_lo, exec_lo, s13
.LBB444_1661:                           ;   in Loop: Header=BB444_1478 Depth=1
	s_delay_alu instid0(SALU_CYCLE_1) | instskip(NEXT) | instid1(VALU_DEP_1)
	s_or_b32 exec_lo, exec_lo, s12
	v_mul_f32_e32 v6, v8, v5
	s_delay_alu instid0(VALU_DEP_1) | instskip(NEXT) | instid1(VALU_DEP_1)
	v_and_b32_e32 v5, 0x7f800000, v6
	v_cmp_ne_u32_e64 s0, 0x7f800000, v5
                                        ; implicit-def: $vgpr5
	s_delay_alu instid0(VALU_DEP_1) | instskip(NEXT) | instid1(SALU_CYCLE_1)
	s_and_saveexec_b32 s12, s0
	s_xor_b32 s0, exec_lo, s12
; %bb.1662:                             ;   in Loop: Header=BB444_1478 Depth=1
	v_bfe_u32 v5, v6, 16, 1
	s_delay_alu instid0(VALU_DEP_1)
	v_add3_u32 v5, v6, v5, 0x7fff
                                        ; implicit-def: $vgpr6
; %bb.1663:                             ;   in Loop: Header=BB444_1478 Depth=1
	s_and_not1_saveexec_b32 s12, s0
; %bb.1664:                             ;   in Loop: Header=BB444_1478 Depth=1
	v_and_b32_e32 v5, 0xffff, v6
	v_or_b32_e32 v7, 0x10000, v6
	s_delay_alu instid0(VALU_DEP_2) | instskip(NEXT) | instid1(VALU_DEP_1)
	v_cmp_eq_u32_e64 s0, 0, v5
	v_cndmask_b32_e64 v5, v7, v6, s0
; %bb.1665:                             ;   in Loop: Header=BB444_1478 Depth=1
	s_or_b32 exec_lo, exec_lo, s12
	v_lshrrev_b32_e32 v21, 16, v2
	s_mov_b32 s12, exec_lo
	s_delay_alu instid0(VALU_DEP_1) | instskip(NEXT) | instid1(VALU_DEP_1)
	v_dual_mov_b32 v6, 0 :: v_dual_and_b32 v7, 0xff, v21
	v_cmpx_ne_u16_e32 0, v7
	s_cbranch_execz .LBB444_1673
; %bb.1666:                             ;   in Loop: Header=BB444_1478 Depth=1
	v_bfrev_b32_e32 v6, 1
	s_mov_b32 s13, exec_lo
	v_cmpx_ne_u16_e32 0x80, v7
	s_cbranch_execz .LBB444_1672
; %bb.1667:                             ;   in Loop: Header=BB444_1478 Depth=1
	v_bfe_u32 v7, v2, 16, 7
	v_mov_b32_e32 v6, 0x7f800001
	s_mov_b32 s15, exec_lo
	s_delay_alu instid0(VALU_DEP_2)
	v_cmpx_ne_u32_e32 0x7f, v7
	s_cbranch_execz .LBB444_1671
; %bb.1668:                             ;   in Loop: Header=BB444_1478 Depth=1
	v_and_b32_e32 v9, 7, v21
	v_lshrrev_b32_e32 v37, 3, v7
	v_cmp_gt_u32_e64 s0, 8, v7
	s_delay_alu instid0(VALU_DEP_3) | instskip(NEXT) | instid1(VALU_DEP_2)
	v_dual_mov_b32 v6, v9 :: v_dual_mov_b32 v7, v10
	s_and_saveexec_b32 s16, s0
; %bb.1669:                             ;   in Loop: Header=BB444_1478 Depth=1
	v_clz_i32_u32_e32 v6, v9
	s_delay_alu instid0(VALU_DEP_1) | instskip(NEXT) | instid1(VALU_DEP_1)
	v_min_u32_e32 v37, 32, v6
	v_subrev_nc_u32_e32 v6, 28, v37
	v_sub_nc_u32_e32 v37, 29, v37
	s_delay_alu instid0(VALU_DEP_2) | instskip(NEXT) | instid1(VALU_DEP_1)
	v_lshlrev_b64 v[6:7], v6, v[9:10]
	v_and_b32_e32 v6, 7, v6
; %bb.1670:                             ;   in Loop: Header=BB444_1478 Depth=1
	s_or_b32 exec_lo, exec_lo, s16
	v_lshlrev_b32_e32 v7, 24, v21
	s_delay_alu instid0(VALU_DEP_2) | instskip(SKIP_1) | instid1(VALU_DEP_3)
	v_lshlrev_b32_e32 v6, 20, v6
	v_lshl_add_u32 v9, v37, 23, 0x3c000000
	v_and_b32_e32 v7, 0x80000000, v7
	s_delay_alu instid0(VALU_DEP_1)
	v_or3_b32 v6, v6, v7, v9
.LBB444_1671:                           ;   in Loop: Header=BB444_1478 Depth=1
	s_or_b32 exec_lo, exec_lo, s15
.LBB444_1672:                           ;   in Loop: Header=BB444_1478 Depth=1
	s_delay_alu instid0(SALU_CYCLE_1)
	s_or_b32 exec_lo, exec_lo, s13
.LBB444_1673:                           ;   in Loop: Header=BB444_1478 Depth=1
	s_delay_alu instid0(SALU_CYCLE_1) | instskip(NEXT) | instid1(VALU_DEP_1)
	s_or_b32 exec_lo, exec_lo, s12
	v_mul_f32_e32 v6, v8, v6
                                        ; implicit-def: $vgpr21
	s_delay_alu instid0(VALU_DEP_1) | instskip(NEXT) | instid1(VALU_DEP_1)
	v_and_b32_e32 v7, 0x7f800000, v6
	v_cmp_ne_u32_e64 s0, 0x7f800000, v7
	s_delay_alu instid0(VALU_DEP_1) | instskip(NEXT) | instid1(SALU_CYCLE_1)
	s_and_saveexec_b32 s12, s0
	s_xor_b32 s0, exec_lo, s12
; %bb.1674:                             ;   in Loop: Header=BB444_1478 Depth=1
	v_bfe_u32 v7, v6, 16, 1
	s_delay_alu instid0(VALU_DEP_1)
	v_add3_u32 v21, v6, v7, 0x7fff
                                        ; implicit-def: $vgpr6
; %bb.1675:                             ;   in Loop: Header=BB444_1478 Depth=1
	s_and_not1_saveexec_b32 s12, s0
; %bb.1676:                             ;   in Loop: Header=BB444_1478 Depth=1
	v_and_b32_e32 v7, 0xffff, v6
	v_or_b32_e32 v9, 0x10000, v6
	s_delay_alu instid0(VALU_DEP_2) | instskip(NEXT) | instid1(VALU_DEP_1)
	v_cmp_eq_u32_e64 s0, 0, v7
	v_cndmask_b32_e64 v21, v9, v6, s0
; %bb.1677:                             ;   in Loop: Header=BB444_1478 Depth=1
	s_or_b32 exec_lo, exec_lo, s12
	v_mov_b32_e32 v6, 0
	s_mov_b32 s12, exec_lo
	v_cmpx_lt_u32_e32 0xffffff, v2
	s_cbranch_execz .LBB444_1685
; %bb.1678:                             ;   in Loop: Header=BB444_1478 Depth=1
	v_lshrrev_b32_e32 v37, 24, v2
	v_bfrev_b32_e32 v6, 1
	s_mov_b32 s13, exec_lo
	s_delay_alu instid0(VALU_DEP_2)
	v_cmpx_ne_u32_e32 0x80, v37
	s_cbranch_execz .LBB444_1684
; %bb.1679:                             ;   in Loop: Header=BB444_1478 Depth=1
	v_bfe_u32 v7, v2, 24, 7
	v_mov_b32_e32 v6, 0x7f800001
	s_mov_b32 s15, exec_lo
	s_delay_alu instid0(VALU_DEP_2)
	v_cmpx_ne_u32_e32 0x7f, v7
	s_cbranch_execz .LBB444_1683
; %bb.1680:                             ;   in Loop: Header=BB444_1478 Depth=1
	v_and_b32_e32 v9, 7, v37
	v_lshrrev_b32_e32 v39, 3, v7
	v_cmp_gt_u32_e64 s0, 8, v7
	s_delay_alu instid0(VALU_DEP_3) | instskip(NEXT) | instid1(VALU_DEP_2)
	v_dual_mov_b32 v6, v9 :: v_dual_mov_b32 v7, v10
	s_and_saveexec_b32 s16, s0
; %bb.1681:                             ;   in Loop: Header=BB444_1478 Depth=1
	v_clz_i32_u32_e32 v6, v9
	s_delay_alu instid0(VALU_DEP_1) | instskip(NEXT) | instid1(VALU_DEP_1)
	v_min_u32_e32 v39, 32, v6
	v_subrev_nc_u32_e32 v6, 28, v39
	v_sub_nc_u32_e32 v39, 29, v39
	s_delay_alu instid0(VALU_DEP_2) | instskip(NEXT) | instid1(VALU_DEP_1)
	v_lshlrev_b64 v[6:7], v6, v[9:10]
	v_and_b32_e32 v6, 7, v6
; %bb.1682:                             ;   in Loop: Header=BB444_1478 Depth=1
	s_or_b32 exec_lo, exec_lo, s16
	v_lshlrev_b32_e32 v7, 24, v37
	s_delay_alu instid0(VALU_DEP_2) | instskip(SKIP_1) | instid1(VALU_DEP_3)
	v_lshlrev_b32_e32 v6, 20, v6
	v_lshl_add_u32 v9, v39, 23, 0x3c000000
	v_and_b32_e32 v7, 0x80000000, v7
	s_delay_alu instid0(VALU_DEP_1)
	v_or3_b32 v6, v6, v7, v9
.LBB444_1683:                           ;   in Loop: Header=BB444_1478 Depth=1
	s_or_b32 exec_lo, exec_lo, s15
.LBB444_1684:                           ;   in Loop: Header=BB444_1478 Depth=1
	s_delay_alu instid0(SALU_CYCLE_1)
	s_or_b32 exec_lo, exec_lo, s13
.LBB444_1685:                           ;   in Loop: Header=BB444_1478 Depth=1
	s_delay_alu instid0(SALU_CYCLE_1) | instskip(NEXT) | instid1(VALU_DEP_1)
	s_or_b32 exec_lo, exec_lo, s12
	v_mul_f32_e32 v6, v8, v6
                                        ; implicit-def: $vgpr37
	s_delay_alu instid0(VALU_DEP_1) | instskip(NEXT) | instid1(VALU_DEP_1)
	v_and_b32_e32 v7, 0x7f800000, v6
	v_cmp_ne_u32_e64 s0, 0x7f800000, v7
	s_delay_alu instid0(VALU_DEP_1) | instskip(NEXT) | instid1(SALU_CYCLE_1)
	s_and_saveexec_b32 s12, s0
	s_xor_b32 s0, exec_lo, s12
; %bb.1686:                             ;   in Loop: Header=BB444_1478 Depth=1
	v_bfe_u32 v7, v6, 16, 1
	s_delay_alu instid0(VALU_DEP_1)
	v_add3_u32 v37, v6, v7, 0x7fff
                                        ; implicit-def: $vgpr6
; %bb.1687:                             ;   in Loop: Header=BB444_1478 Depth=1
	s_and_not1_saveexec_b32 s12, s0
; %bb.1688:                             ;   in Loop: Header=BB444_1478 Depth=1
	v_and_b32_e32 v7, 0xffff, v6
	v_or_b32_e32 v9, 0x10000, v6
	s_delay_alu instid0(VALU_DEP_2) | instskip(NEXT) | instid1(VALU_DEP_1)
	v_cmp_eq_u32_e64 s0, 0, v7
	v_cndmask_b32_e64 v37, v9, v6, s0
; %bb.1689:                             ;   in Loop: Header=BB444_1478 Depth=1
	s_or_b32 exec_lo, exec_lo, s12
	v_dual_mov_b32 v6, 0 :: v_dual_and_b32 v7, 0xff, v3
	v_mov_b32_e32 v9, v3
	s_mov_b32 s12, exec_lo
	s_delay_alu instid0(VALU_DEP_2)
	v_cmpx_ne_u16_e32 0, v7
	s_cbranch_execz .LBB444_1697
; %bb.1690:                             ;   in Loop: Header=BB444_1478 Depth=1
	v_bfrev_b32_e32 v6, 1
	s_mov_b32 s13, exec_lo
	v_cmpx_ne_u16_e32 0x80, v7
	s_cbranch_execz .LBB444_1696
; %bb.1691:                             ;   in Loop: Header=BB444_1478 Depth=1
	v_and_b32_e32 v7, 0x7f, v3
	v_mov_b32_e32 v6, 0x7f800001
	s_mov_b32 s15, exec_lo
	s_delay_alu instid0(VALU_DEP_2)
	v_cmpx_ne_u32_e32 0x7f, v7
	s_cbranch_execz .LBB444_1695
; %bb.1692:                             ;   in Loop: Header=BB444_1478 Depth=1
	v_lshrrev_b32_e32 v39, 3, v7
	v_cmp_gt_u32_e64 s0, 8, v7
	v_dual_mov_b32 v6, v9 :: v_dual_mov_b32 v7, v10
	s_delay_alu instid0(VALU_DEP_2)
	s_and_saveexec_b32 s16, s0
; %bb.1693:                             ;   in Loop: Header=BB444_1478 Depth=1
	v_and_b32_e32 v6, 7, v3
	s_delay_alu instid0(VALU_DEP_1) | instskip(NEXT) | instid1(VALU_DEP_1)
	v_clz_i32_u32_e32 v6, v6
	v_min_u32_e32 v39, 32, v6
	s_delay_alu instid0(VALU_DEP_1) | instskip(SKIP_1) | instid1(VALU_DEP_2)
	v_subrev_nc_u32_e32 v6, 28, v39
	v_sub_nc_u32_e32 v39, 29, v39
	v_lshlrev_b64 v[6:7], v6, v[9:10]
; %bb.1694:                             ;   in Loop: Header=BB444_1478 Depth=1
	s_or_b32 exec_lo, exec_lo, s16
	s_delay_alu instid0(VALU_DEP_1) | instskip(SKIP_2) | instid1(VALU_DEP_3)
	v_lshlrev_b32_e32 v6, 20, v6
	v_lshlrev_b32_e32 v7, 24, v9
	v_lshl_add_u32 v39, v39, 23, 0x3c000000
	v_and_b32_e32 v6, 0x700000, v6
	s_delay_alu instid0(VALU_DEP_3) | instskip(NEXT) | instid1(VALU_DEP_1)
	v_and_b32_e32 v7, 0x80000000, v7
	v_or3_b32 v6, v6, v7, v39
.LBB444_1695:                           ;   in Loop: Header=BB444_1478 Depth=1
	s_or_b32 exec_lo, exec_lo, s15
.LBB444_1696:                           ;   in Loop: Header=BB444_1478 Depth=1
	s_delay_alu instid0(SALU_CYCLE_1)
	s_or_b32 exec_lo, exec_lo, s13
.LBB444_1697:                           ;   in Loop: Header=BB444_1478 Depth=1
	s_delay_alu instid0(SALU_CYCLE_1) | instskip(NEXT) | instid1(VALU_DEP_1)
	s_or_b32 exec_lo, exec_lo, s12
	v_mul_f32_e32 v6, v8, v6
                                        ; implicit-def: $vgpr39
	s_delay_alu instid0(VALU_DEP_1) | instskip(NEXT) | instid1(VALU_DEP_1)
	v_and_b32_e32 v7, 0x7f800000, v6
	v_cmp_ne_u32_e64 s0, 0x7f800000, v7
	s_delay_alu instid0(VALU_DEP_1) | instskip(NEXT) | instid1(SALU_CYCLE_1)
	s_and_saveexec_b32 s12, s0
	s_xor_b32 s0, exec_lo, s12
; %bb.1698:                             ;   in Loop: Header=BB444_1478 Depth=1
	v_bfe_u32 v7, v6, 16, 1
	s_delay_alu instid0(VALU_DEP_1)
	v_add3_u32 v39, v6, v7, 0x7fff
                                        ; implicit-def: $vgpr6
; %bb.1699:                             ;   in Loop: Header=BB444_1478 Depth=1
	s_and_not1_saveexec_b32 s12, s0
; %bb.1700:                             ;   in Loop: Header=BB444_1478 Depth=1
	v_and_b32_e32 v7, 0xffff, v6
	v_or_b32_e32 v39, 0x10000, v6
	s_delay_alu instid0(VALU_DEP_2) | instskip(NEXT) | instid1(VALU_DEP_1)
	v_cmp_eq_u32_e64 s0, 0, v7
	v_cndmask_b32_e64 v39, v39, v6, s0
; %bb.1701:                             ;   in Loop: Header=BB444_1478 Depth=1
	s_or_b32 exec_lo, exec_lo, s12
	v_lshrrev_b16 v7, 8, v9
	v_mov_b32_e32 v6, 0
	s_mov_b32 s12, exec_lo
	s_delay_alu instid0(VALU_DEP_2)
	v_cmpx_ne_u16_e32 0, v7
	s_cbranch_execz .LBB444_1709
; %bb.1702:                             ;   in Loop: Header=BB444_1478 Depth=1
	v_bfrev_b32_e32 v6, 1
	s_mov_b32 s13, exec_lo
	v_cmpx_ne_u16_e32 0x80, v7
	s_cbranch_execz .LBB444_1708
; %bb.1703:                             ;   in Loop: Header=BB444_1478 Depth=1
	v_and_b32_e32 v7, 0xffff, v7
	v_mov_b32_e32 v6, 0x7f800001
	s_mov_b32 s15, exec_lo
	s_delay_alu instid0(VALU_DEP_2) | instskip(NEXT) | instid1(VALU_DEP_1)
	v_and_b32_e32 v118, 0x7f, v7
	v_cmpx_ne_u32_e32 0x7f, v118
	s_cbranch_execz .LBB444_1707
; %bb.1704:                             ;   in Loop: Header=BB444_1478 Depth=1
	v_dual_mov_b32 v7, v10 :: v_dual_and_b32 v6, 7, v7
	v_lshrrev_b32_e32 v117, 3, v118
	s_mov_b32 s16, exec_lo
	v_cmpx_gt_u32_e32 8, v118
; %bb.1705:                             ;   in Loop: Header=BB444_1478 Depth=1
	s_delay_alu instid0(VALU_DEP_3) | instskip(NEXT) | instid1(VALU_DEP_1)
	v_clz_i32_u32_e32 v117, v6
	v_min_u32_e32 v117, 32, v117
	s_delay_alu instid0(VALU_DEP_1) | instskip(SKIP_1) | instid1(VALU_DEP_2)
	v_subrev_nc_u32_e32 v118, 28, v117
	v_sub_nc_u32_e32 v117, 29, v117
	v_lshlrev_b64 v[6:7], v118, v[6:7]
	s_delay_alu instid0(VALU_DEP_1)
	v_and_b32_e32 v6, 7, v6
; %bb.1706:                             ;   in Loop: Header=BB444_1478 Depth=1
	s_or_b32 exec_lo, exec_lo, s16
	v_lshlrev_b32_e32 v7, 16, v9
	s_delay_alu instid0(VALU_DEP_2) | instskip(SKIP_1) | instid1(VALU_DEP_3)
	v_lshlrev_b32_e32 v6, 20, v6
	v_lshl_add_u32 v9, v117, 23, 0x3c000000
	v_and_b32_e32 v7, 0x80000000, v7
	s_delay_alu instid0(VALU_DEP_1)
	v_or3_b32 v6, v6, v7, v9
.LBB444_1707:                           ;   in Loop: Header=BB444_1478 Depth=1
	s_or_b32 exec_lo, exec_lo, s15
.LBB444_1708:                           ;   in Loop: Header=BB444_1478 Depth=1
	s_delay_alu instid0(SALU_CYCLE_1)
	s_or_b32 exec_lo, exec_lo, s13
.LBB444_1709:                           ;   in Loop: Header=BB444_1478 Depth=1
	s_delay_alu instid0(SALU_CYCLE_1) | instskip(NEXT) | instid1(VALU_DEP_1)
	s_or_b32 exec_lo, exec_lo, s12
	v_mul_f32_e32 v6, v8, v6
                                        ; implicit-def: $vgpr117
	s_delay_alu instid0(VALU_DEP_1) | instskip(NEXT) | instid1(VALU_DEP_1)
	v_and_b32_e32 v7, 0x7f800000, v6
	v_cmp_ne_u32_e64 s0, 0x7f800000, v7
	s_delay_alu instid0(VALU_DEP_1) | instskip(NEXT) | instid1(SALU_CYCLE_1)
	s_and_saveexec_b32 s12, s0
	s_xor_b32 s0, exec_lo, s12
; %bb.1710:                             ;   in Loop: Header=BB444_1478 Depth=1
	v_bfe_u32 v7, v6, 16, 1
	s_delay_alu instid0(VALU_DEP_1)
	v_add3_u32 v117, v6, v7, 0x7fff
                                        ; implicit-def: $vgpr6
; %bb.1711:                             ;   in Loop: Header=BB444_1478 Depth=1
	s_and_not1_saveexec_b32 s12, s0
; %bb.1712:                             ;   in Loop: Header=BB444_1478 Depth=1
	v_and_b32_e32 v7, 0xffff, v6
	v_or_b32_e32 v9, 0x10000, v6
	s_delay_alu instid0(VALU_DEP_2) | instskip(NEXT) | instid1(VALU_DEP_1)
	v_cmp_eq_u32_e64 s0, 0, v7
	v_cndmask_b32_e64 v117, v9, v6, s0
; %bb.1713:                             ;   in Loop: Header=BB444_1478 Depth=1
	s_or_b32 exec_lo, exec_lo, s12
	v_lshrrev_b32_e32 v118, 16, v3
	s_mov_b32 s12, exec_lo
	s_delay_alu instid0(VALU_DEP_1) | instskip(NEXT) | instid1(VALU_DEP_1)
	v_dual_mov_b32 v6, 0 :: v_dual_and_b32 v7, 0xff, v118
	v_cmpx_ne_u16_e32 0, v7
	s_cbranch_execz .LBB444_1721
; %bb.1714:                             ;   in Loop: Header=BB444_1478 Depth=1
	v_bfrev_b32_e32 v6, 1
	s_mov_b32 s13, exec_lo
	v_cmpx_ne_u16_e32 0x80, v7
	s_cbranch_execz .LBB444_1720
; %bb.1715:                             ;   in Loop: Header=BB444_1478 Depth=1
	v_bfe_u32 v7, v3, 16, 7
	v_mov_b32_e32 v6, 0x7f800001
	s_mov_b32 s15, exec_lo
	s_delay_alu instid0(VALU_DEP_2)
	v_cmpx_ne_u32_e32 0x7f, v7
	s_cbranch_execz .LBB444_1719
; %bb.1716:                             ;   in Loop: Header=BB444_1478 Depth=1
	v_and_b32_e32 v9, 7, v118
	v_lshrrev_b32_e32 v119, 3, v7
	v_cmp_gt_u32_e64 s0, 8, v7
	s_delay_alu instid0(VALU_DEP_3) | instskip(NEXT) | instid1(VALU_DEP_2)
	v_dual_mov_b32 v6, v9 :: v_dual_mov_b32 v7, v10
	s_and_saveexec_b32 s16, s0
; %bb.1717:                             ;   in Loop: Header=BB444_1478 Depth=1
	v_clz_i32_u32_e32 v6, v9
	s_delay_alu instid0(VALU_DEP_1) | instskip(NEXT) | instid1(VALU_DEP_1)
	v_min_u32_e32 v119, 32, v6
	v_subrev_nc_u32_e32 v6, 28, v119
	v_sub_nc_u32_e32 v119, 29, v119
	s_delay_alu instid0(VALU_DEP_2) | instskip(NEXT) | instid1(VALU_DEP_1)
	v_lshlrev_b64 v[6:7], v6, v[9:10]
	v_and_b32_e32 v6, 7, v6
; %bb.1718:                             ;   in Loop: Header=BB444_1478 Depth=1
	s_or_b32 exec_lo, exec_lo, s16
	v_lshlrev_b32_e32 v7, 24, v118
	s_delay_alu instid0(VALU_DEP_2) | instskip(SKIP_1) | instid1(VALU_DEP_3)
	v_lshlrev_b32_e32 v6, 20, v6
	v_lshl_add_u32 v9, v119, 23, 0x3c000000
	v_and_b32_e32 v7, 0x80000000, v7
	s_delay_alu instid0(VALU_DEP_1)
	v_or3_b32 v6, v6, v7, v9
.LBB444_1719:                           ;   in Loop: Header=BB444_1478 Depth=1
	s_or_b32 exec_lo, exec_lo, s15
.LBB444_1720:                           ;   in Loop: Header=BB444_1478 Depth=1
	s_delay_alu instid0(SALU_CYCLE_1)
	s_or_b32 exec_lo, exec_lo, s13
.LBB444_1721:                           ;   in Loop: Header=BB444_1478 Depth=1
	s_delay_alu instid0(SALU_CYCLE_1) | instskip(NEXT) | instid1(VALU_DEP_1)
	s_or_b32 exec_lo, exec_lo, s12
	v_mul_f32_e32 v6, v8, v6
                                        ; implicit-def: $vgpr118
	s_delay_alu instid0(VALU_DEP_1) | instskip(NEXT) | instid1(VALU_DEP_1)
	v_and_b32_e32 v7, 0x7f800000, v6
	v_cmp_ne_u32_e64 s0, 0x7f800000, v7
	s_delay_alu instid0(VALU_DEP_1) | instskip(NEXT) | instid1(SALU_CYCLE_1)
	s_and_saveexec_b32 s12, s0
	s_xor_b32 s0, exec_lo, s12
; %bb.1722:                             ;   in Loop: Header=BB444_1478 Depth=1
	v_bfe_u32 v7, v6, 16, 1
	s_delay_alu instid0(VALU_DEP_1)
	v_add3_u32 v118, v6, v7, 0x7fff
                                        ; implicit-def: $vgpr6
; %bb.1723:                             ;   in Loop: Header=BB444_1478 Depth=1
	s_and_not1_saveexec_b32 s12, s0
; %bb.1724:                             ;   in Loop: Header=BB444_1478 Depth=1
	v_and_b32_e32 v7, 0xffff, v6
	v_or_b32_e32 v9, 0x10000, v6
	s_delay_alu instid0(VALU_DEP_2) | instskip(NEXT) | instid1(VALU_DEP_1)
	v_cmp_eq_u32_e64 s0, 0, v7
	v_cndmask_b32_e64 v118, v9, v6, s0
; %bb.1725:                             ;   in Loop: Header=BB444_1478 Depth=1
	s_or_b32 exec_lo, exec_lo, s12
	v_cmp_lt_u64_e64 s0, s[8:9], v[2:3]
	v_mov_b32_e32 v2, 0
	s_delay_alu instid0(VALU_DEP_2)
	s_and_saveexec_b32 s12, s0
	s_cbranch_execz .LBB444_1733
; %bb.1726:                             ;   in Loop: Header=BB444_1478 Depth=1
	v_lshrrev_b32_e32 v6, 24, v3
	v_bfrev_b32_e32 v2, 1
	s_mov_b32 s13, exec_lo
	s_delay_alu instid0(VALU_DEP_2)
	v_cmpx_ne_u32_e32 0x80, v6
	s_cbranch_execz .LBB444_1732
; %bb.1727:                             ;   in Loop: Header=BB444_1478 Depth=1
	v_bfe_u32 v3, v3, 24, 7
	v_mov_b32_e32 v2, 0x7f800001
	s_mov_b32 s15, exec_lo
	s_delay_alu instid0(VALU_DEP_2)
	v_cmpx_ne_u32_e32 0x7f, v3
	s_cbranch_execz .LBB444_1731
; %bb.1728:                             ;   in Loop: Header=BB444_1478 Depth=1
	v_and_b32_e32 v9, 7, v6
	v_lshrrev_b32_e32 v7, 3, v3
	v_cmp_gt_u32_e64 s0, 8, v3
	s_delay_alu instid0(VALU_DEP_3) | instskip(NEXT) | instid1(VALU_DEP_2)
	v_dual_mov_b32 v2, v9 :: v_dual_mov_b32 v3, v10
	s_and_saveexec_b32 s16, s0
; %bb.1729:                             ;   in Loop: Header=BB444_1478 Depth=1
	v_clz_i32_u32_e32 v2, v9
	s_delay_alu instid0(VALU_DEP_1) | instskip(NEXT) | instid1(VALU_DEP_1)
	v_min_u32_e32 v7, 32, v2
	v_subrev_nc_u32_e32 v2, 28, v7
	v_sub_nc_u32_e32 v7, 29, v7
	s_delay_alu instid0(VALU_DEP_2) | instskip(NEXT) | instid1(VALU_DEP_1)
	v_lshlrev_b64 v[2:3], v2, v[9:10]
	v_and_b32_e32 v2, 7, v2
; %bb.1730:                             ;   in Loop: Header=BB444_1478 Depth=1
	s_or_b32 exec_lo, exec_lo, s16
	v_lshlrev_b32_e32 v3, 24, v6
	s_delay_alu instid0(VALU_DEP_2) | instskip(SKIP_1) | instid1(VALU_DEP_3)
	v_lshlrev_b32_e32 v2, 20, v2
	v_lshl_add_u32 v6, v7, 23, 0x3c000000
	v_and_b32_e32 v3, 0x80000000, v3
	s_delay_alu instid0(VALU_DEP_1)
	v_or3_b32 v2, v2, v3, v6
.LBB444_1731:                           ;   in Loop: Header=BB444_1478 Depth=1
	s_or_b32 exec_lo, exec_lo, s15
.LBB444_1732:                           ;   in Loop: Header=BB444_1478 Depth=1
	s_delay_alu instid0(SALU_CYCLE_1)
	s_or_b32 exec_lo, exec_lo, s13
.LBB444_1733:                           ;   in Loop: Header=BB444_1478 Depth=1
	s_delay_alu instid0(SALU_CYCLE_1) | instskip(NEXT) | instid1(VALU_DEP_1)
	s_or_b32 exec_lo, exec_lo, s12
	v_mul_f32_e32 v3, v8, v2
	s_delay_alu instid0(VALU_DEP_1) | instskip(NEXT) | instid1(VALU_DEP_1)
	v_and_b32_e32 v2, 0x7f800000, v3
	v_cmp_ne_u32_e64 s0, 0x7f800000, v2
                                        ; implicit-def: $vgpr2
	s_delay_alu instid0(VALU_DEP_1) | instskip(NEXT) | instid1(SALU_CYCLE_1)
	s_and_saveexec_b32 s12, s0
	s_xor_b32 s0, exec_lo, s12
; %bb.1734:                             ;   in Loop: Header=BB444_1478 Depth=1
	v_bfe_u32 v2, v3, 16, 1
	s_delay_alu instid0(VALU_DEP_1)
	v_add3_u32 v2, v3, v2, 0x7fff
                                        ; implicit-def: $vgpr3
; %bb.1735:                             ;   in Loop: Header=BB444_1478 Depth=1
	s_and_not1_saveexec_b32 s12, s0
; %bb.1736:                             ;   in Loop: Header=BB444_1478 Depth=1
	v_and_b32_e32 v2, 0xffff, v3
	v_or_b32_e32 v6, 0x10000, v3
	s_delay_alu instid0(VALU_DEP_2) | instskip(NEXT) | instid1(VALU_DEP_1)
	v_cmp_eq_u32_e64 s0, 0, v2
	v_cndmask_b32_e64 v2, v6, v3, s0
; %bb.1737:                             ;   in Loop: Header=BB444_1478 Depth=1
	s_or_b32 exec_lo, exec_lo, s12
	v_lshrrev_b32_e32 v6, 16, v117
	v_lshrrev_b32_e32 v7, 16, v39
	;; [unrolled: 1-line block ×8, first 2 shown]
	s_and_saveexec_b32 s12, vcc_lo
	s_cbranch_execz .LBB444_1739
; %bb.1738:                             ;   in Loop: Header=BB444_1478 Depth=1
	v_cmp_lt_i32_e64 s0, v85, v38
	s_delay_alu instid0(VALU_DEP_1) | instskip(SKIP_1) | instid1(VALU_DEP_1)
	v_cndmask_b32_e64 v4, 0, v4, s0
	v_cmp_lt_i32_e64 s0, v100, v38
	v_cndmask_b32_e64 v5, 0, v5, s0
	v_cmp_lt_i32_e64 s0, v99, v38
	s_delay_alu instid0(VALU_DEP_1) | instskip(SKIP_1) | instid1(VALU_DEP_1)
	v_cndmask_b32_e64 v21, 0, v21, s0
	v_cmp_lt_i32_e64 s0, v98, v38
	v_cndmask_b32_e64 v9, 0, v9, s0
	;; [unrolled: 5-line block ×4, first 2 shown]
.LBB444_1739:                           ;   in Loop: Header=BB444_1478 Depth=1
	s_or_b32 exec_lo, exec_lo, s12
	v_lshlrev_b32_e32 v4, 16, v4
                                        ; implicit-def: $vgpr117
	s_delay_alu instid0(VALU_DEP_1) | instskip(NEXT) | instid1(VALU_DEP_1)
	v_mul_f32_e32 v4, v101, v4
	v_and_b32_e32 v37, 0x7f800000, v4
	s_delay_alu instid0(VALU_DEP_1) | instskip(NEXT) | instid1(VALU_DEP_1)
	v_cmp_ne_u32_e64 s0, 0x7f800000, v37
	s_and_saveexec_b32 s12, s0
	s_delay_alu instid0(SALU_CYCLE_1)
	s_xor_b32 s0, exec_lo, s12
; %bb.1740:                             ;   in Loop: Header=BB444_1478 Depth=1
	v_bfe_u32 v37, v4, 16, 1
	s_delay_alu instid0(VALU_DEP_1)
	v_add3_u32 v117, v4, v37, 0x7fff
                                        ; implicit-def: $vgpr4
; %bb.1741:                             ;   in Loop: Header=BB444_1478 Depth=1
	s_and_not1_saveexec_b32 s12, s0
; %bb.1742:                             ;   in Loop: Header=BB444_1478 Depth=1
	v_and_b32_e32 v37, 0xffff, v4
	v_or_b32_e32 v39, 0x10000, v4
	s_delay_alu instid0(VALU_DEP_2) | instskip(NEXT) | instid1(VALU_DEP_1)
	v_cmp_eq_u32_e64 s0, 0, v37
	v_cndmask_b32_e64 v117, v39, v4, s0
; %bb.1743:                             ;   in Loop: Header=BB444_1478 Depth=1
	s_or_b32 exec_lo, exec_lo, s12
	v_lshlrev_b32_e32 v4, 16, v5
                                        ; implicit-def: $vgpr118
	s_delay_alu instid0(VALU_DEP_1) | instskip(NEXT) | instid1(VALU_DEP_1)
	v_mul_f32_e32 v4, v102, v4
	v_and_b32_e32 v5, 0x7f800000, v4
	s_delay_alu instid0(VALU_DEP_1) | instskip(NEXT) | instid1(VALU_DEP_1)
	v_cmp_ne_u32_e64 s0, 0x7f800000, v5
	s_and_saveexec_b32 s12, s0
	s_delay_alu instid0(SALU_CYCLE_1)
	s_xor_b32 s0, exec_lo, s12
; %bb.1744:                             ;   in Loop: Header=BB444_1478 Depth=1
	v_bfe_u32 v5, v4, 16, 1
	s_delay_alu instid0(VALU_DEP_1)
	v_add3_u32 v118, v4, v5, 0x7fff
                                        ; implicit-def: $vgpr4
; %bb.1745:                             ;   in Loop: Header=BB444_1478 Depth=1
	s_and_not1_saveexec_b32 s12, s0
; %bb.1746:                             ;   in Loop: Header=BB444_1478 Depth=1
	v_and_b32_e32 v5, 0xffff, v4
	v_or_b32_e32 v37, 0x10000, v4
	s_delay_alu instid0(VALU_DEP_2) | instskip(NEXT) | instid1(VALU_DEP_1)
	v_cmp_eq_u32_e64 s0, 0, v5
	v_cndmask_b32_e64 v118, v37, v4, s0
; %bb.1747:                             ;   in Loop: Header=BB444_1478 Depth=1
	s_or_b32 exec_lo, exec_lo, s12
	v_lshlrev_b32_e32 v4, 16, v21
                                        ; implicit-def: $vgpr119
	s_delay_alu instid0(VALU_DEP_1) | instskip(NEXT) | instid1(VALU_DEP_1)
	v_mul_f32_e32 v4, v103, v4
	v_and_b32_e32 v5, 0x7f800000, v4
	s_delay_alu instid0(VALU_DEP_1) | instskip(NEXT) | instid1(VALU_DEP_1)
	v_cmp_ne_u32_e64 s0, 0x7f800000, v5
	s_and_saveexec_b32 s12, s0
	s_delay_alu instid0(SALU_CYCLE_1)
	s_xor_b32 s0, exec_lo, s12
; %bb.1748:                             ;   in Loop: Header=BB444_1478 Depth=1
	v_bfe_u32 v5, v4, 16, 1
	s_delay_alu instid0(VALU_DEP_1)
	v_add3_u32 v119, v4, v5, 0x7fff
                                        ; implicit-def: $vgpr4
; %bb.1749:                             ;   in Loop: Header=BB444_1478 Depth=1
	s_and_not1_saveexec_b32 s12, s0
; %bb.1750:                             ;   in Loop: Header=BB444_1478 Depth=1
	v_and_b32_e32 v5, 0xffff, v4
	v_or_b32_e32 v21, 0x10000, v4
	s_delay_alu instid0(VALU_DEP_2) | instskip(NEXT) | instid1(VALU_DEP_1)
	v_cmp_eq_u32_e64 s0, 0, v5
	v_cndmask_b32_e64 v119, v21, v4, s0
; %bb.1751:                             ;   in Loop: Header=BB444_1478 Depth=1
	s_or_b32 exec_lo, exec_lo, s12
	v_lshlrev_b32_e32 v4, 16, v9
                                        ; implicit-def: $vgpr128
	s_delay_alu instid0(VALU_DEP_1) | instskip(NEXT) | instid1(VALU_DEP_1)
	v_mul_f32_e32 v4, v112, v4
	v_and_b32_e32 v5, 0x7f800000, v4
	s_delay_alu instid0(VALU_DEP_1) | instskip(NEXT) | instid1(VALU_DEP_1)
	v_cmp_ne_u32_e64 s0, 0x7f800000, v5
	s_and_saveexec_b32 s12, s0
	s_delay_alu instid0(SALU_CYCLE_1)
	s_xor_b32 s0, exec_lo, s12
; %bb.1752:                             ;   in Loop: Header=BB444_1478 Depth=1
	v_bfe_u32 v5, v4, 16, 1
	s_delay_alu instid0(VALU_DEP_1)
	v_add3_u32 v128, v4, v5, 0x7fff
                                        ; implicit-def: $vgpr4
; %bb.1753:                             ;   in Loop: Header=BB444_1478 Depth=1
	s_and_not1_saveexec_b32 s12, s0
; %bb.1754:                             ;   in Loop: Header=BB444_1478 Depth=1
	v_and_b32_e32 v5, 0xffff, v4
	v_or_b32_e32 v9, 0x10000, v4
	s_delay_alu instid0(VALU_DEP_2) | instskip(NEXT) | instid1(VALU_DEP_1)
	v_cmp_eq_u32_e64 s0, 0, v5
	v_cndmask_b32_e64 v128, v9, v4, s0
; %bb.1755:                             ;   in Loop: Header=BB444_1478 Depth=1
	s_or_b32 exec_lo, exec_lo, s12
	v_lshlrev_b32_e32 v4, 16, v7
                                        ; implicit-def: $vgpr129
	s_delay_alu instid0(VALU_DEP_1) | instskip(NEXT) | instid1(VALU_DEP_1)
	v_mul_f32_e32 v4, v113, v4
	v_and_b32_e32 v5, 0x7f800000, v4
	s_delay_alu instid0(VALU_DEP_1) | instskip(NEXT) | instid1(VALU_DEP_1)
	v_cmp_ne_u32_e64 s0, 0x7f800000, v5
	s_and_saveexec_b32 s12, s0
	s_delay_alu instid0(SALU_CYCLE_1)
	s_xor_b32 s0, exec_lo, s12
; %bb.1756:                             ;   in Loop: Header=BB444_1478 Depth=1
	v_bfe_u32 v5, v4, 16, 1
	s_delay_alu instid0(VALU_DEP_1)
	v_add3_u32 v129, v4, v5, 0x7fff
                                        ; implicit-def: $vgpr4
; %bb.1757:                             ;   in Loop: Header=BB444_1478 Depth=1
	s_and_not1_saveexec_b32 s12, s0
; %bb.1758:                             ;   in Loop: Header=BB444_1478 Depth=1
	v_and_b32_e32 v5, 0xffff, v4
	v_or_b32_e32 v7, 0x10000, v4
	s_delay_alu instid0(VALU_DEP_2) | instskip(NEXT) | instid1(VALU_DEP_1)
	v_cmp_eq_u32_e64 s0, 0, v5
	v_cndmask_b32_e64 v129, v7, v4, s0
; %bb.1759:                             ;   in Loop: Header=BB444_1478 Depth=1
	s_or_b32 exec_lo, exec_lo, s12
	v_lshlrev_b32_e32 v4, 16, v6
                                        ; implicit-def: $vgpr130
	s_delay_alu instid0(VALU_DEP_1) | instskip(NEXT) | instid1(VALU_DEP_1)
	v_mul_f32_e32 v4, v114, v4
	v_and_b32_e32 v5, 0x7f800000, v4
	s_delay_alu instid0(VALU_DEP_1) | instskip(NEXT) | instid1(VALU_DEP_1)
	v_cmp_ne_u32_e64 s0, 0x7f800000, v5
	s_and_saveexec_b32 s12, s0
	s_delay_alu instid0(SALU_CYCLE_1)
	s_xor_b32 s0, exec_lo, s12
; %bb.1760:                             ;   in Loop: Header=BB444_1478 Depth=1
	v_bfe_u32 v5, v4, 16, 1
	s_delay_alu instid0(VALU_DEP_1)
	v_add3_u32 v130, v4, v5, 0x7fff
                                        ; implicit-def: $vgpr4
; %bb.1761:                             ;   in Loop: Header=BB444_1478 Depth=1
	s_and_not1_saveexec_b32 s12, s0
; %bb.1762:                             ;   in Loop: Header=BB444_1478 Depth=1
	v_and_b32_e32 v5, 0xffff, v4
	v_or_b32_e32 v6, 0x10000, v4
	s_delay_alu instid0(VALU_DEP_2) | instskip(NEXT) | instid1(VALU_DEP_1)
	v_cmp_eq_u32_e64 s0, 0, v5
	v_cndmask_b32_e64 v130, v6, v4, s0
; %bb.1763:                             ;   in Loop: Header=BB444_1478 Depth=1
	s_or_b32 exec_lo, exec_lo, s12
	v_lshlrev_b32_e32 v3, 16, v3
                                        ; implicit-def: $vgpr131
	s_delay_alu instid0(VALU_DEP_1) | instskip(NEXT) | instid1(VALU_DEP_1)
	v_mul_f32_e32 v3, v115, v3
	v_and_b32_e32 v4, 0x7f800000, v3
	s_delay_alu instid0(VALU_DEP_1) | instskip(NEXT) | instid1(VALU_DEP_1)
	v_cmp_ne_u32_e64 s0, 0x7f800000, v4
	s_and_saveexec_b32 s12, s0
	s_delay_alu instid0(SALU_CYCLE_1)
	s_xor_b32 s0, exec_lo, s12
; %bb.1764:                             ;   in Loop: Header=BB444_1478 Depth=1
	v_bfe_u32 v4, v3, 16, 1
	s_delay_alu instid0(VALU_DEP_1)
	v_add3_u32 v131, v3, v4, 0x7fff
                                        ; implicit-def: $vgpr3
; %bb.1765:                             ;   in Loop: Header=BB444_1478 Depth=1
	s_and_not1_saveexec_b32 s12, s0
; %bb.1766:                             ;   in Loop: Header=BB444_1478 Depth=1
	v_and_b32_e32 v4, 0xffff, v3
	v_or_b32_e32 v5, 0x10000, v3
	s_delay_alu instid0(VALU_DEP_2) | instskip(NEXT) | instid1(VALU_DEP_1)
	v_cmp_eq_u32_e64 s0, 0, v4
	v_cndmask_b32_e64 v131, v5, v3, s0
; %bb.1767:                             ;   in Loop: Header=BB444_1478 Depth=1
	s_or_b32 exec_lo, exec_lo, s12
	v_lshlrev_b32_e32 v2, 16, v2
                                        ; implicit-def: $vgpr132
	s_delay_alu instid0(VALU_DEP_1) | instskip(NEXT) | instid1(VALU_DEP_1)
	v_mul_f32_e32 v2, v116, v2
	v_and_b32_e32 v3, 0x7f800000, v2
	s_delay_alu instid0(VALU_DEP_1) | instskip(NEXT) | instid1(VALU_DEP_1)
	v_cmp_ne_u32_e64 s0, 0x7f800000, v3
	s_and_saveexec_b32 s12, s0
	s_delay_alu instid0(SALU_CYCLE_1)
	s_xor_b32 s0, exec_lo, s12
; %bb.1768:                             ;   in Loop: Header=BB444_1478 Depth=1
	v_bfe_u32 v3, v2, 16, 1
	s_delay_alu instid0(VALU_DEP_1)
	v_add3_u32 v132, v2, v3, 0x7fff
                                        ; implicit-def: $vgpr2
; %bb.1769:                             ;   in Loop: Header=BB444_1478 Depth=1
	s_and_not1_saveexec_b32 s12, s0
; %bb.1770:                             ;   in Loop: Header=BB444_1478 Depth=1
	v_and_b32_e32 v3, 0xffff, v2
	v_or_b32_e32 v4, 0x10000, v2
	s_delay_alu instid0(VALU_DEP_2) | instskip(NEXT) | instid1(VALU_DEP_1)
	v_cmp_eq_u32_e64 s0, 0, v3
	v_cndmask_b32_e64 v132, v4, v2, s0
; %bb.1771:                             ;   in Loop: Header=BB444_1478 Depth=1
	s_or_b32 exec_lo, exec_lo, s12
	flat_load_b64 v[2:3], v[0:1] offset:512
	s_mov_b32 s12, exec_lo
	s_waitcnt vmcnt(0) lgkmcnt(0)
	v_dual_mov_b32 v4, 0 :: v_dual_and_b32 v5, 0xff, v2
	s_delay_alu instid0(VALU_DEP_1)
	v_cmpx_ne_u16_e32 0, v5
	s_cbranch_execz .LBB444_1779
; %bb.1772:                             ;   in Loop: Header=BB444_1478 Depth=1
	v_bfrev_b32_e32 v4, 1
	s_mov_b32 s13, exec_lo
	v_cmpx_ne_u16_e32 0x80, v5
	s_cbranch_execz .LBB444_1778
; %bb.1773:                             ;   in Loop: Header=BB444_1478 Depth=1
	v_and_b32_e32 v5, 0x7f, v2
	v_mov_b32_e32 v4, 0x7f800001
	s_mov_b32 s15, exec_lo
	s_delay_alu instid0(VALU_DEP_2)
	v_cmpx_ne_u32_e32 0x7f, v5
	s_cbranch_execz .LBB444_1777
; %bb.1774:                             ;   in Loop: Header=BB444_1478 Depth=1
	v_lshrrev_b32_e32 v4, 3, v5
	v_dual_mov_b32 v7, v3 :: v_dual_mov_b32 v6, v2
	s_mov_b32 s16, exec_lo
	v_cmpx_gt_u32_e32 8, v5
; %bb.1775:                             ;   in Loop: Header=BB444_1478 Depth=1
	v_and_b32_e32 v4, 7, v2
	s_delay_alu instid0(VALU_DEP_1) | instskip(NEXT) | instid1(VALU_DEP_1)
	v_clz_i32_u32_e32 v4, v4
	v_min_u32_e32 v4, 32, v4
	s_delay_alu instid0(VALU_DEP_1) | instskip(SKIP_1) | instid1(VALU_DEP_2)
	v_subrev_nc_u32_e32 v5, 28, v4
	v_sub_nc_u32_e32 v4, 29, v4
	v_lshlrev_b64 v[6:7], v5, v[2:3]
; %bb.1776:                             ;   in Loop: Header=BB444_1478 Depth=1
	s_or_b32 exec_lo, exec_lo, s16
	s_delay_alu instid0(VALU_DEP_1) | instskip(SKIP_2) | instid1(VALU_DEP_3)
	v_lshlrev_b32_e32 v5, 20, v6
	v_lshlrev_b32_e32 v6, 24, v2
	v_lshl_add_u32 v4, v4, 23, 0x3c000000
	v_and_b32_e32 v5, 0x700000, v5
	s_delay_alu instid0(VALU_DEP_3) | instskip(NEXT) | instid1(VALU_DEP_1)
	v_and_b32_e32 v6, 0x80000000, v6
	v_or3_b32 v4, v5, v6, v4
.LBB444_1777:                           ;   in Loop: Header=BB444_1478 Depth=1
	s_or_b32 exec_lo, exec_lo, s15
.LBB444_1778:                           ;   in Loop: Header=BB444_1478 Depth=1
	s_delay_alu instid0(SALU_CYCLE_1)
	s_or_b32 exec_lo, exec_lo, s13
.LBB444_1779:                           ;   in Loop: Header=BB444_1478 Depth=1
	s_delay_alu instid0(SALU_CYCLE_1) | instskip(NEXT) | instid1(VALU_DEP_1)
	s_or_b32 exec_lo, exec_lo, s12
	v_mul_f32_e32 v5, v8, v4
	s_delay_alu instid0(VALU_DEP_1) | instskip(NEXT) | instid1(VALU_DEP_1)
	v_and_b32_e32 v4, 0x7f800000, v5
	v_cmp_ne_u32_e64 s0, 0x7f800000, v4
                                        ; implicit-def: $vgpr4
	s_delay_alu instid0(VALU_DEP_1) | instskip(NEXT) | instid1(SALU_CYCLE_1)
	s_and_saveexec_b32 s12, s0
	s_xor_b32 s0, exec_lo, s12
; %bb.1780:                             ;   in Loop: Header=BB444_1478 Depth=1
	v_bfe_u32 v4, v5, 16, 1
	s_delay_alu instid0(VALU_DEP_1)
	v_add3_u32 v4, v5, v4, 0x7fff
                                        ; implicit-def: $vgpr5
; %bb.1781:                             ;   in Loop: Header=BB444_1478 Depth=1
	s_and_not1_saveexec_b32 s12, s0
; %bb.1782:                             ;   in Loop: Header=BB444_1478 Depth=1
	v_and_b32_e32 v4, 0xffff, v5
	v_or_b32_e32 v6, 0x10000, v5
	s_delay_alu instid0(VALU_DEP_2) | instskip(NEXT) | instid1(VALU_DEP_1)
	v_cmp_eq_u32_e64 s0, 0, v4
	v_cndmask_b32_e64 v4, v6, v5, s0
; %bb.1783:                             ;   in Loop: Header=BB444_1478 Depth=1
	s_or_b32 exec_lo, exec_lo, s12
	v_lshrrev_b16 v6, 8, v2
	v_mov_b32_e32 v5, 0
	s_mov_b32 s12, exec_lo
	s_delay_alu instid0(VALU_DEP_2)
	v_cmpx_ne_u16_e32 0, v6
	s_cbranch_execz .LBB444_1791
; %bb.1784:                             ;   in Loop: Header=BB444_1478 Depth=1
	v_bfrev_b32_e32 v5, 1
	s_mov_b32 s13, exec_lo
	v_cmpx_ne_u16_e32 0x80, v6
	s_cbranch_execz .LBB444_1790
; %bb.1785:                             ;   in Loop: Header=BB444_1478 Depth=1
	v_and_b32_e32 v7, 0xffff, v6
	v_mov_b32_e32 v5, 0x7f800001
	s_mov_b32 s15, exec_lo
	s_delay_alu instid0(VALU_DEP_2) | instskip(NEXT) | instid1(VALU_DEP_1)
	v_and_b32_e32 v6, 0x7f, v7
	v_cmpx_ne_u32_e32 0x7f, v6
	s_cbranch_execz .LBB444_1789
; %bb.1786:                             ;   in Loop: Header=BB444_1478 Depth=1
	v_and_b32_e32 v9, 7, v7
	v_lshrrev_b32_e32 v5, 3, v6
	v_cmp_gt_u32_e64 s0, 8, v6
	s_delay_alu instid0(VALU_DEP_3) | instskip(NEXT) | instid1(VALU_DEP_2)
	v_dual_mov_b32 v6, v9 :: v_dual_mov_b32 v7, v10
	s_and_saveexec_b32 s16, s0
; %bb.1787:                             ;   in Loop: Header=BB444_1478 Depth=1
	v_clz_i32_u32_e32 v5, v9
	s_delay_alu instid0(VALU_DEP_1) | instskip(NEXT) | instid1(VALU_DEP_1)
	v_min_u32_e32 v5, 32, v5
	v_subrev_nc_u32_e32 v6, 28, v5
	v_sub_nc_u32_e32 v5, 29, v5
	s_delay_alu instid0(VALU_DEP_2) | instskip(NEXT) | instid1(VALU_DEP_1)
	v_lshlrev_b64 v[6:7], v6, v[9:10]
	v_and_b32_e32 v6, 7, v6
; %bb.1788:                             ;   in Loop: Header=BB444_1478 Depth=1
	s_or_b32 exec_lo, exec_lo, s16
	v_lshlrev_b32_e32 v7, 16, v2
	s_delay_alu instid0(VALU_DEP_2) | instskip(SKIP_1) | instid1(VALU_DEP_3)
	v_lshlrev_b32_e32 v6, 20, v6
	v_lshl_add_u32 v5, v5, 23, 0x3c000000
	v_and_b32_e32 v7, 0x80000000, v7
	s_delay_alu instid0(VALU_DEP_1)
	v_or3_b32 v5, v6, v7, v5
.LBB444_1789:                           ;   in Loop: Header=BB444_1478 Depth=1
	s_or_b32 exec_lo, exec_lo, s15
.LBB444_1790:                           ;   in Loop: Header=BB444_1478 Depth=1
	s_delay_alu instid0(SALU_CYCLE_1)
	s_or_b32 exec_lo, exec_lo, s13
.LBB444_1791:                           ;   in Loop: Header=BB444_1478 Depth=1
	s_delay_alu instid0(SALU_CYCLE_1) | instskip(NEXT) | instid1(VALU_DEP_1)
	s_or_b32 exec_lo, exec_lo, s12
	v_mul_f32_e32 v6, v8, v5
	s_delay_alu instid0(VALU_DEP_1) | instskip(NEXT) | instid1(VALU_DEP_1)
	v_and_b32_e32 v5, 0x7f800000, v6
	v_cmp_ne_u32_e64 s0, 0x7f800000, v5
                                        ; implicit-def: $vgpr5
	s_delay_alu instid0(VALU_DEP_1) | instskip(NEXT) | instid1(SALU_CYCLE_1)
	s_and_saveexec_b32 s12, s0
	s_xor_b32 s0, exec_lo, s12
; %bb.1792:                             ;   in Loop: Header=BB444_1478 Depth=1
	v_bfe_u32 v5, v6, 16, 1
	s_delay_alu instid0(VALU_DEP_1)
	v_add3_u32 v5, v6, v5, 0x7fff
                                        ; implicit-def: $vgpr6
; %bb.1793:                             ;   in Loop: Header=BB444_1478 Depth=1
	s_and_not1_saveexec_b32 s12, s0
; %bb.1794:                             ;   in Loop: Header=BB444_1478 Depth=1
	v_and_b32_e32 v5, 0xffff, v6
	v_or_b32_e32 v7, 0x10000, v6
	s_delay_alu instid0(VALU_DEP_2) | instskip(NEXT) | instid1(VALU_DEP_1)
	v_cmp_eq_u32_e64 s0, 0, v5
	v_cndmask_b32_e64 v5, v7, v6, s0
; %bb.1795:                             ;   in Loop: Header=BB444_1478 Depth=1
	s_or_b32 exec_lo, exec_lo, s12
	v_lshrrev_b32_e32 v21, 16, v2
	s_mov_b32 s12, exec_lo
	s_delay_alu instid0(VALU_DEP_1) | instskip(NEXT) | instid1(VALU_DEP_1)
	v_dual_mov_b32 v6, 0 :: v_dual_and_b32 v7, 0xff, v21
	v_cmpx_ne_u16_e32 0, v7
	s_cbranch_execz .LBB444_1803
; %bb.1796:                             ;   in Loop: Header=BB444_1478 Depth=1
	v_bfrev_b32_e32 v6, 1
	s_mov_b32 s13, exec_lo
	v_cmpx_ne_u16_e32 0x80, v7
	s_cbranch_execz .LBB444_1802
; %bb.1797:                             ;   in Loop: Header=BB444_1478 Depth=1
	v_bfe_u32 v7, v2, 16, 7
	v_mov_b32_e32 v6, 0x7f800001
	s_mov_b32 s15, exec_lo
	s_delay_alu instid0(VALU_DEP_2)
	v_cmpx_ne_u32_e32 0x7f, v7
	s_cbranch_execz .LBB444_1801
; %bb.1798:                             ;   in Loop: Header=BB444_1478 Depth=1
	v_and_b32_e32 v9, 7, v21
	v_lshrrev_b32_e32 v37, 3, v7
	v_cmp_gt_u32_e64 s0, 8, v7
	s_delay_alu instid0(VALU_DEP_3) | instskip(NEXT) | instid1(VALU_DEP_2)
	v_dual_mov_b32 v6, v9 :: v_dual_mov_b32 v7, v10
	s_and_saveexec_b32 s16, s0
; %bb.1799:                             ;   in Loop: Header=BB444_1478 Depth=1
	v_clz_i32_u32_e32 v6, v9
	s_delay_alu instid0(VALU_DEP_1) | instskip(NEXT) | instid1(VALU_DEP_1)
	v_min_u32_e32 v37, 32, v6
	v_subrev_nc_u32_e32 v6, 28, v37
	v_sub_nc_u32_e32 v37, 29, v37
	s_delay_alu instid0(VALU_DEP_2) | instskip(NEXT) | instid1(VALU_DEP_1)
	v_lshlrev_b64 v[6:7], v6, v[9:10]
	v_and_b32_e32 v6, 7, v6
; %bb.1800:                             ;   in Loop: Header=BB444_1478 Depth=1
	s_or_b32 exec_lo, exec_lo, s16
	v_lshlrev_b32_e32 v7, 24, v21
	s_delay_alu instid0(VALU_DEP_2) | instskip(SKIP_1) | instid1(VALU_DEP_3)
	v_lshlrev_b32_e32 v6, 20, v6
	v_lshl_add_u32 v9, v37, 23, 0x3c000000
	v_and_b32_e32 v7, 0x80000000, v7
	s_delay_alu instid0(VALU_DEP_1)
	v_or3_b32 v6, v6, v7, v9
.LBB444_1801:                           ;   in Loop: Header=BB444_1478 Depth=1
	s_or_b32 exec_lo, exec_lo, s15
.LBB444_1802:                           ;   in Loop: Header=BB444_1478 Depth=1
	s_delay_alu instid0(SALU_CYCLE_1)
	s_or_b32 exec_lo, exec_lo, s13
.LBB444_1803:                           ;   in Loop: Header=BB444_1478 Depth=1
	s_delay_alu instid0(SALU_CYCLE_1) | instskip(NEXT) | instid1(VALU_DEP_1)
	s_or_b32 exec_lo, exec_lo, s12
	v_mul_f32_e32 v6, v8, v6
                                        ; implicit-def: $vgpr21
	s_delay_alu instid0(VALU_DEP_1) | instskip(NEXT) | instid1(VALU_DEP_1)
	v_and_b32_e32 v7, 0x7f800000, v6
	v_cmp_ne_u32_e64 s0, 0x7f800000, v7
	s_delay_alu instid0(VALU_DEP_1) | instskip(NEXT) | instid1(SALU_CYCLE_1)
	s_and_saveexec_b32 s12, s0
	s_xor_b32 s0, exec_lo, s12
; %bb.1804:                             ;   in Loop: Header=BB444_1478 Depth=1
	v_bfe_u32 v7, v6, 16, 1
	s_delay_alu instid0(VALU_DEP_1)
	v_add3_u32 v21, v6, v7, 0x7fff
                                        ; implicit-def: $vgpr6
; %bb.1805:                             ;   in Loop: Header=BB444_1478 Depth=1
	s_and_not1_saveexec_b32 s12, s0
; %bb.1806:                             ;   in Loop: Header=BB444_1478 Depth=1
	v_and_b32_e32 v7, 0xffff, v6
	v_or_b32_e32 v9, 0x10000, v6
	s_delay_alu instid0(VALU_DEP_2) | instskip(NEXT) | instid1(VALU_DEP_1)
	v_cmp_eq_u32_e64 s0, 0, v7
	v_cndmask_b32_e64 v21, v9, v6, s0
; %bb.1807:                             ;   in Loop: Header=BB444_1478 Depth=1
	s_or_b32 exec_lo, exec_lo, s12
	v_mov_b32_e32 v6, 0
	s_mov_b32 s12, exec_lo
	v_cmpx_lt_u32_e32 0xffffff, v2
	s_cbranch_execz .LBB444_1815
; %bb.1808:                             ;   in Loop: Header=BB444_1478 Depth=1
	v_lshrrev_b32_e32 v37, 24, v2
	v_bfrev_b32_e32 v6, 1
	s_mov_b32 s13, exec_lo
	s_delay_alu instid0(VALU_DEP_2)
	v_cmpx_ne_u32_e32 0x80, v37
	s_cbranch_execz .LBB444_1814
; %bb.1809:                             ;   in Loop: Header=BB444_1478 Depth=1
	v_bfe_u32 v7, v2, 24, 7
	v_mov_b32_e32 v6, 0x7f800001
	s_mov_b32 s15, exec_lo
	s_delay_alu instid0(VALU_DEP_2)
	v_cmpx_ne_u32_e32 0x7f, v7
	s_cbranch_execz .LBB444_1813
; %bb.1810:                             ;   in Loop: Header=BB444_1478 Depth=1
	v_and_b32_e32 v9, 7, v37
	v_lshrrev_b32_e32 v39, 3, v7
	v_cmp_gt_u32_e64 s0, 8, v7
	s_delay_alu instid0(VALU_DEP_3) | instskip(NEXT) | instid1(VALU_DEP_2)
	v_dual_mov_b32 v6, v9 :: v_dual_mov_b32 v7, v10
	s_and_saveexec_b32 s16, s0
; %bb.1811:                             ;   in Loop: Header=BB444_1478 Depth=1
	v_clz_i32_u32_e32 v6, v9
	s_delay_alu instid0(VALU_DEP_1) | instskip(NEXT) | instid1(VALU_DEP_1)
	v_min_u32_e32 v39, 32, v6
	v_subrev_nc_u32_e32 v6, 28, v39
	v_sub_nc_u32_e32 v39, 29, v39
	s_delay_alu instid0(VALU_DEP_2) | instskip(NEXT) | instid1(VALU_DEP_1)
	v_lshlrev_b64 v[6:7], v6, v[9:10]
	v_and_b32_e32 v6, 7, v6
; %bb.1812:                             ;   in Loop: Header=BB444_1478 Depth=1
	s_or_b32 exec_lo, exec_lo, s16
	v_lshlrev_b32_e32 v7, 24, v37
	s_delay_alu instid0(VALU_DEP_2) | instskip(SKIP_1) | instid1(VALU_DEP_3)
	v_lshlrev_b32_e32 v6, 20, v6
	v_lshl_add_u32 v9, v39, 23, 0x3c000000
	v_and_b32_e32 v7, 0x80000000, v7
	s_delay_alu instid0(VALU_DEP_1)
	v_or3_b32 v6, v6, v7, v9
.LBB444_1813:                           ;   in Loop: Header=BB444_1478 Depth=1
	s_or_b32 exec_lo, exec_lo, s15
.LBB444_1814:                           ;   in Loop: Header=BB444_1478 Depth=1
	s_delay_alu instid0(SALU_CYCLE_1)
	s_or_b32 exec_lo, exec_lo, s13
.LBB444_1815:                           ;   in Loop: Header=BB444_1478 Depth=1
	s_delay_alu instid0(SALU_CYCLE_1) | instskip(NEXT) | instid1(VALU_DEP_1)
	s_or_b32 exec_lo, exec_lo, s12
	v_mul_f32_e32 v6, v8, v6
                                        ; implicit-def: $vgpr37
	s_delay_alu instid0(VALU_DEP_1) | instskip(NEXT) | instid1(VALU_DEP_1)
	v_and_b32_e32 v7, 0x7f800000, v6
	v_cmp_ne_u32_e64 s0, 0x7f800000, v7
	s_delay_alu instid0(VALU_DEP_1) | instskip(NEXT) | instid1(SALU_CYCLE_1)
	s_and_saveexec_b32 s12, s0
	s_xor_b32 s0, exec_lo, s12
; %bb.1816:                             ;   in Loop: Header=BB444_1478 Depth=1
	v_bfe_u32 v7, v6, 16, 1
	s_delay_alu instid0(VALU_DEP_1)
	v_add3_u32 v37, v6, v7, 0x7fff
                                        ; implicit-def: $vgpr6
; %bb.1817:                             ;   in Loop: Header=BB444_1478 Depth=1
	s_and_not1_saveexec_b32 s12, s0
; %bb.1818:                             ;   in Loop: Header=BB444_1478 Depth=1
	v_and_b32_e32 v7, 0xffff, v6
	v_or_b32_e32 v9, 0x10000, v6
	s_delay_alu instid0(VALU_DEP_2) | instskip(NEXT) | instid1(VALU_DEP_1)
	v_cmp_eq_u32_e64 s0, 0, v7
	v_cndmask_b32_e64 v37, v9, v6, s0
; %bb.1819:                             ;   in Loop: Header=BB444_1478 Depth=1
	s_or_b32 exec_lo, exec_lo, s12
	v_dual_mov_b32 v6, 0 :: v_dual_and_b32 v7, 0xff, v3
	v_mov_b32_e32 v9, v3
	s_mov_b32 s12, exec_lo
	s_delay_alu instid0(VALU_DEP_2)
	v_cmpx_ne_u16_e32 0, v7
	s_cbranch_execz .LBB444_1827
; %bb.1820:                             ;   in Loop: Header=BB444_1478 Depth=1
	v_bfrev_b32_e32 v6, 1
	s_mov_b32 s13, exec_lo
	v_cmpx_ne_u16_e32 0x80, v7
	s_cbranch_execz .LBB444_1826
; %bb.1821:                             ;   in Loop: Header=BB444_1478 Depth=1
	v_and_b32_e32 v7, 0x7f, v3
	v_mov_b32_e32 v6, 0x7f800001
	s_mov_b32 s15, exec_lo
	s_delay_alu instid0(VALU_DEP_2)
	v_cmpx_ne_u32_e32 0x7f, v7
	s_cbranch_execz .LBB444_1825
; %bb.1822:                             ;   in Loop: Header=BB444_1478 Depth=1
	v_lshrrev_b32_e32 v39, 3, v7
	v_cmp_gt_u32_e64 s0, 8, v7
	v_dual_mov_b32 v6, v9 :: v_dual_mov_b32 v7, v10
	s_delay_alu instid0(VALU_DEP_2)
	s_and_saveexec_b32 s16, s0
; %bb.1823:                             ;   in Loop: Header=BB444_1478 Depth=1
	v_and_b32_e32 v6, 7, v3
	s_delay_alu instid0(VALU_DEP_1) | instskip(NEXT) | instid1(VALU_DEP_1)
	v_clz_i32_u32_e32 v6, v6
	v_min_u32_e32 v39, 32, v6
	s_delay_alu instid0(VALU_DEP_1) | instskip(SKIP_1) | instid1(VALU_DEP_2)
	v_subrev_nc_u32_e32 v6, 28, v39
	v_sub_nc_u32_e32 v39, 29, v39
	v_lshlrev_b64 v[6:7], v6, v[9:10]
; %bb.1824:                             ;   in Loop: Header=BB444_1478 Depth=1
	s_or_b32 exec_lo, exec_lo, s16
	s_delay_alu instid0(VALU_DEP_1) | instskip(SKIP_2) | instid1(VALU_DEP_3)
	v_lshlrev_b32_e32 v6, 20, v6
	v_lshlrev_b32_e32 v7, 24, v9
	v_lshl_add_u32 v39, v39, 23, 0x3c000000
	v_and_b32_e32 v6, 0x700000, v6
	s_delay_alu instid0(VALU_DEP_3) | instskip(NEXT) | instid1(VALU_DEP_1)
	v_and_b32_e32 v7, 0x80000000, v7
	v_or3_b32 v6, v6, v7, v39
.LBB444_1825:                           ;   in Loop: Header=BB444_1478 Depth=1
	s_or_b32 exec_lo, exec_lo, s15
.LBB444_1826:                           ;   in Loop: Header=BB444_1478 Depth=1
	s_delay_alu instid0(SALU_CYCLE_1)
	s_or_b32 exec_lo, exec_lo, s13
.LBB444_1827:                           ;   in Loop: Header=BB444_1478 Depth=1
	s_delay_alu instid0(SALU_CYCLE_1) | instskip(NEXT) | instid1(VALU_DEP_1)
	s_or_b32 exec_lo, exec_lo, s12
	v_mul_f32_e32 v6, v8, v6
                                        ; implicit-def: $vgpr39
	s_delay_alu instid0(VALU_DEP_1) | instskip(NEXT) | instid1(VALU_DEP_1)
	v_and_b32_e32 v7, 0x7f800000, v6
	v_cmp_ne_u32_e64 s0, 0x7f800000, v7
	s_delay_alu instid0(VALU_DEP_1) | instskip(NEXT) | instid1(SALU_CYCLE_1)
	s_and_saveexec_b32 s12, s0
	s_xor_b32 s0, exec_lo, s12
; %bb.1828:                             ;   in Loop: Header=BB444_1478 Depth=1
	v_bfe_u32 v7, v6, 16, 1
	s_delay_alu instid0(VALU_DEP_1)
	v_add3_u32 v39, v6, v7, 0x7fff
                                        ; implicit-def: $vgpr6
; %bb.1829:                             ;   in Loop: Header=BB444_1478 Depth=1
	s_and_not1_saveexec_b32 s12, s0
; %bb.1830:                             ;   in Loop: Header=BB444_1478 Depth=1
	v_and_b32_e32 v7, 0xffff, v6
	v_or_b32_e32 v39, 0x10000, v6
	s_delay_alu instid0(VALU_DEP_2) | instskip(NEXT) | instid1(VALU_DEP_1)
	v_cmp_eq_u32_e64 s0, 0, v7
	v_cndmask_b32_e64 v39, v39, v6, s0
; %bb.1831:                             ;   in Loop: Header=BB444_1478 Depth=1
	s_or_b32 exec_lo, exec_lo, s12
	v_lshrrev_b16 v7, 8, v9
	v_mov_b32_e32 v6, 0
	s_mov_b32 s12, exec_lo
	s_delay_alu instid0(VALU_DEP_2)
	v_cmpx_ne_u16_e32 0, v7
	s_cbranch_execz .LBB444_1839
; %bb.1832:                             ;   in Loop: Header=BB444_1478 Depth=1
	v_bfrev_b32_e32 v6, 1
	s_mov_b32 s13, exec_lo
	v_cmpx_ne_u16_e32 0x80, v7
	s_cbranch_execz .LBB444_1838
; %bb.1833:                             ;   in Loop: Header=BB444_1478 Depth=1
	v_and_b32_e32 v7, 0xffff, v7
	v_mov_b32_e32 v6, 0x7f800001
	s_mov_b32 s15, exec_lo
	s_delay_alu instid0(VALU_DEP_2) | instskip(NEXT) | instid1(VALU_DEP_1)
	v_and_b32_e32 v134, 0x7f, v7
	v_cmpx_ne_u32_e32 0x7f, v134
	s_cbranch_execz .LBB444_1837
; %bb.1834:                             ;   in Loop: Header=BB444_1478 Depth=1
	v_dual_mov_b32 v7, v10 :: v_dual_and_b32 v6, 7, v7
	v_lshrrev_b32_e32 v133, 3, v134
	s_mov_b32 s16, exec_lo
	v_cmpx_gt_u32_e32 8, v134
; %bb.1835:                             ;   in Loop: Header=BB444_1478 Depth=1
	s_delay_alu instid0(VALU_DEP_3) | instskip(NEXT) | instid1(VALU_DEP_1)
	v_clz_i32_u32_e32 v133, v6
	v_min_u32_e32 v133, 32, v133
	s_delay_alu instid0(VALU_DEP_1) | instskip(SKIP_1) | instid1(VALU_DEP_2)
	v_subrev_nc_u32_e32 v134, 28, v133
	v_sub_nc_u32_e32 v133, 29, v133
	v_lshlrev_b64 v[6:7], v134, v[6:7]
	s_delay_alu instid0(VALU_DEP_1)
	v_and_b32_e32 v6, 7, v6
; %bb.1836:                             ;   in Loop: Header=BB444_1478 Depth=1
	s_or_b32 exec_lo, exec_lo, s16
	v_lshlrev_b32_e32 v7, 16, v9
	s_delay_alu instid0(VALU_DEP_2) | instskip(SKIP_1) | instid1(VALU_DEP_3)
	v_lshlrev_b32_e32 v6, 20, v6
	v_lshl_add_u32 v9, v133, 23, 0x3c000000
	v_and_b32_e32 v7, 0x80000000, v7
	s_delay_alu instid0(VALU_DEP_1)
	v_or3_b32 v6, v6, v7, v9
.LBB444_1837:                           ;   in Loop: Header=BB444_1478 Depth=1
	s_or_b32 exec_lo, exec_lo, s15
.LBB444_1838:                           ;   in Loop: Header=BB444_1478 Depth=1
	s_delay_alu instid0(SALU_CYCLE_1)
	s_or_b32 exec_lo, exec_lo, s13
.LBB444_1839:                           ;   in Loop: Header=BB444_1478 Depth=1
	s_delay_alu instid0(SALU_CYCLE_1) | instskip(NEXT) | instid1(VALU_DEP_1)
	s_or_b32 exec_lo, exec_lo, s12
	v_mul_f32_e32 v6, v8, v6
                                        ; implicit-def: $vgpr133
	s_delay_alu instid0(VALU_DEP_1) | instskip(NEXT) | instid1(VALU_DEP_1)
	v_and_b32_e32 v7, 0x7f800000, v6
	v_cmp_ne_u32_e64 s0, 0x7f800000, v7
	s_delay_alu instid0(VALU_DEP_1) | instskip(NEXT) | instid1(SALU_CYCLE_1)
	s_and_saveexec_b32 s12, s0
	s_xor_b32 s0, exec_lo, s12
; %bb.1840:                             ;   in Loop: Header=BB444_1478 Depth=1
	v_bfe_u32 v7, v6, 16, 1
	s_delay_alu instid0(VALU_DEP_1)
	v_add3_u32 v133, v6, v7, 0x7fff
                                        ; implicit-def: $vgpr6
; %bb.1841:                             ;   in Loop: Header=BB444_1478 Depth=1
	s_and_not1_saveexec_b32 s12, s0
; %bb.1842:                             ;   in Loop: Header=BB444_1478 Depth=1
	v_and_b32_e32 v7, 0xffff, v6
	v_or_b32_e32 v9, 0x10000, v6
	s_delay_alu instid0(VALU_DEP_2) | instskip(NEXT) | instid1(VALU_DEP_1)
	v_cmp_eq_u32_e64 s0, 0, v7
	v_cndmask_b32_e64 v133, v9, v6, s0
; %bb.1843:                             ;   in Loop: Header=BB444_1478 Depth=1
	s_or_b32 exec_lo, exec_lo, s12
	v_lshrrev_b32_e32 v134, 16, v3
	s_mov_b32 s12, exec_lo
	s_delay_alu instid0(VALU_DEP_1) | instskip(NEXT) | instid1(VALU_DEP_1)
	v_dual_mov_b32 v6, 0 :: v_dual_and_b32 v7, 0xff, v134
	v_cmpx_ne_u16_e32 0, v7
	s_cbranch_execz .LBB444_1851
; %bb.1844:                             ;   in Loop: Header=BB444_1478 Depth=1
	v_bfrev_b32_e32 v6, 1
	s_mov_b32 s13, exec_lo
	v_cmpx_ne_u16_e32 0x80, v7
	s_cbranch_execz .LBB444_1850
; %bb.1845:                             ;   in Loop: Header=BB444_1478 Depth=1
	v_bfe_u32 v7, v3, 16, 7
	v_mov_b32_e32 v6, 0x7f800001
	s_mov_b32 s15, exec_lo
	s_delay_alu instid0(VALU_DEP_2)
	v_cmpx_ne_u32_e32 0x7f, v7
	s_cbranch_execz .LBB444_1849
; %bb.1846:                             ;   in Loop: Header=BB444_1478 Depth=1
	v_and_b32_e32 v9, 7, v134
	v_lshrrev_b32_e32 v135, 3, v7
	v_cmp_gt_u32_e64 s0, 8, v7
	s_delay_alu instid0(VALU_DEP_3) | instskip(NEXT) | instid1(VALU_DEP_2)
	v_dual_mov_b32 v6, v9 :: v_dual_mov_b32 v7, v10
	s_and_saveexec_b32 s16, s0
; %bb.1847:                             ;   in Loop: Header=BB444_1478 Depth=1
	v_clz_i32_u32_e32 v6, v9
	s_delay_alu instid0(VALU_DEP_1) | instskip(NEXT) | instid1(VALU_DEP_1)
	v_min_u32_e32 v135, 32, v6
	v_subrev_nc_u32_e32 v6, 28, v135
	v_sub_nc_u32_e32 v135, 29, v135
	s_delay_alu instid0(VALU_DEP_2) | instskip(NEXT) | instid1(VALU_DEP_1)
	v_lshlrev_b64 v[6:7], v6, v[9:10]
	v_and_b32_e32 v6, 7, v6
; %bb.1848:                             ;   in Loop: Header=BB444_1478 Depth=1
	s_or_b32 exec_lo, exec_lo, s16
	v_lshlrev_b32_e32 v7, 24, v134
	s_delay_alu instid0(VALU_DEP_2) | instskip(SKIP_1) | instid1(VALU_DEP_3)
	v_lshlrev_b32_e32 v6, 20, v6
	v_lshl_add_u32 v9, v135, 23, 0x3c000000
	v_and_b32_e32 v7, 0x80000000, v7
	s_delay_alu instid0(VALU_DEP_1)
	v_or3_b32 v6, v6, v7, v9
.LBB444_1849:                           ;   in Loop: Header=BB444_1478 Depth=1
	s_or_b32 exec_lo, exec_lo, s15
.LBB444_1850:                           ;   in Loop: Header=BB444_1478 Depth=1
	s_delay_alu instid0(SALU_CYCLE_1)
	s_or_b32 exec_lo, exec_lo, s13
.LBB444_1851:                           ;   in Loop: Header=BB444_1478 Depth=1
	s_delay_alu instid0(SALU_CYCLE_1) | instskip(NEXT) | instid1(VALU_DEP_1)
	s_or_b32 exec_lo, exec_lo, s12
	v_mul_f32_e32 v6, v8, v6
                                        ; implicit-def: $vgpr134
	s_delay_alu instid0(VALU_DEP_1) | instskip(NEXT) | instid1(VALU_DEP_1)
	v_and_b32_e32 v7, 0x7f800000, v6
	v_cmp_ne_u32_e64 s0, 0x7f800000, v7
	s_delay_alu instid0(VALU_DEP_1) | instskip(NEXT) | instid1(SALU_CYCLE_1)
	s_and_saveexec_b32 s12, s0
	s_xor_b32 s0, exec_lo, s12
; %bb.1852:                             ;   in Loop: Header=BB444_1478 Depth=1
	v_bfe_u32 v7, v6, 16, 1
	s_delay_alu instid0(VALU_DEP_1)
	v_add3_u32 v134, v6, v7, 0x7fff
                                        ; implicit-def: $vgpr6
; %bb.1853:                             ;   in Loop: Header=BB444_1478 Depth=1
	s_and_not1_saveexec_b32 s12, s0
; %bb.1854:                             ;   in Loop: Header=BB444_1478 Depth=1
	v_and_b32_e32 v7, 0xffff, v6
	v_or_b32_e32 v9, 0x10000, v6
	s_delay_alu instid0(VALU_DEP_2) | instskip(NEXT) | instid1(VALU_DEP_1)
	v_cmp_eq_u32_e64 s0, 0, v7
	v_cndmask_b32_e64 v134, v9, v6, s0
; %bb.1855:                             ;   in Loop: Header=BB444_1478 Depth=1
	s_or_b32 exec_lo, exec_lo, s12
	v_cmp_lt_u64_e64 s0, s[8:9], v[2:3]
	v_mov_b32_e32 v2, 0
	s_delay_alu instid0(VALU_DEP_2)
	s_and_saveexec_b32 s12, s0
	s_cbranch_execz .LBB444_1863
; %bb.1856:                             ;   in Loop: Header=BB444_1478 Depth=1
	v_lshrrev_b32_e32 v6, 24, v3
	v_bfrev_b32_e32 v2, 1
	s_mov_b32 s13, exec_lo
	s_delay_alu instid0(VALU_DEP_2)
	v_cmpx_ne_u32_e32 0x80, v6
	s_cbranch_execz .LBB444_1862
; %bb.1857:                             ;   in Loop: Header=BB444_1478 Depth=1
	v_bfe_u32 v3, v3, 24, 7
	v_mov_b32_e32 v2, 0x7f800001
	s_mov_b32 s15, exec_lo
	s_delay_alu instid0(VALU_DEP_2)
	v_cmpx_ne_u32_e32 0x7f, v3
	s_cbranch_execz .LBB444_1861
; %bb.1858:                             ;   in Loop: Header=BB444_1478 Depth=1
	v_and_b32_e32 v9, 7, v6
	v_lshrrev_b32_e32 v7, 3, v3
	v_cmp_gt_u32_e64 s0, 8, v3
	s_delay_alu instid0(VALU_DEP_3) | instskip(NEXT) | instid1(VALU_DEP_2)
	v_dual_mov_b32 v2, v9 :: v_dual_mov_b32 v3, v10
	s_and_saveexec_b32 s16, s0
; %bb.1859:                             ;   in Loop: Header=BB444_1478 Depth=1
	v_clz_i32_u32_e32 v2, v9
	s_delay_alu instid0(VALU_DEP_1) | instskip(NEXT) | instid1(VALU_DEP_1)
	v_min_u32_e32 v7, 32, v2
	v_subrev_nc_u32_e32 v2, 28, v7
	v_sub_nc_u32_e32 v7, 29, v7
	s_delay_alu instid0(VALU_DEP_2) | instskip(NEXT) | instid1(VALU_DEP_1)
	v_lshlrev_b64 v[2:3], v2, v[9:10]
	v_and_b32_e32 v2, 7, v2
; %bb.1860:                             ;   in Loop: Header=BB444_1478 Depth=1
	s_or_b32 exec_lo, exec_lo, s16
	v_lshlrev_b32_e32 v3, 24, v6
	s_delay_alu instid0(VALU_DEP_2) | instskip(SKIP_1) | instid1(VALU_DEP_3)
	v_lshlrev_b32_e32 v2, 20, v2
	v_lshl_add_u32 v6, v7, 23, 0x3c000000
	v_and_b32_e32 v3, 0x80000000, v3
	s_delay_alu instid0(VALU_DEP_1)
	v_or3_b32 v2, v2, v3, v6
.LBB444_1861:                           ;   in Loop: Header=BB444_1478 Depth=1
	s_or_b32 exec_lo, exec_lo, s15
.LBB444_1862:                           ;   in Loop: Header=BB444_1478 Depth=1
	s_delay_alu instid0(SALU_CYCLE_1)
	s_or_b32 exec_lo, exec_lo, s13
.LBB444_1863:                           ;   in Loop: Header=BB444_1478 Depth=1
	s_delay_alu instid0(SALU_CYCLE_1) | instskip(NEXT) | instid1(VALU_DEP_1)
	s_or_b32 exec_lo, exec_lo, s12
	v_mul_f32_e32 v3, v8, v2
	s_delay_alu instid0(VALU_DEP_1) | instskip(NEXT) | instid1(VALU_DEP_1)
	v_and_b32_e32 v2, 0x7f800000, v3
	v_cmp_ne_u32_e64 s0, 0x7f800000, v2
                                        ; implicit-def: $vgpr2
	s_delay_alu instid0(VALU_DEP_1) | instskip(NEXT) | instid1(SALU_CYCLE_1)
	s_and_saveexec_b32 s12, s0
	s_xor_b32 s0, exec_lo, s12
; %bb.1864:                             ;   in Loop: Header=BB444_1478 Depth=1
	v_bfe_u32 v2, v3, 16, 1
	s_delay_alu instid0(VALU_DEP_1)
	v_add3_u32 v2, v3, v2, 0x7fff
                                        ; implicit-def: $vgpr3
; %bb.1865:                             ;   in Loop: Header=BB444_1478 Depth=1
	s_and_not1_saveexec_b32 s12, s0
; %bb.1866:                             ;   in Loop: Header=BB444_1478 Depth=1
	v_and_b32_e32 v2, 0xffff, v3
	v_or_b32_e32 v6, 0x10000, v3
	s_delay_alu instid0(VALU_DEP_2) | instskip(NEXT) | instid1(VALU_DEP_1)
	v_cmp_eq_u32_e64 s0, 0, v2
	v_cndmask_b32_e64 v2, v6, v3, s0
; %bb.1867:                             ;   in Loop: Header=BB444_1478 Depth=1
	s_or_b32 exec_lo, exec_lo, s12
	v_lshrrev_b32_e32 v6, 16, v133
	v_lshrrev_b32_e32 v7, 16, v39
	v_lshrrev_b32_e32 v9, 16, v37
	v_lshrrev_b32_e32 v21, 16, v21
	v_lshrrev_b32_e32 v5, 16, v5
	v_lshrrev_b32_e32 v4, 16, v4
	v_lshrrev_b32_e32 v3, 16, v134
	v_lshrrev_b32_e32 v2, 16, v2
	s_and_saveexec_b32 s12, vcc_lo
	s_cbranch_execz .LBB444_1869
; %bb.1868:                             ;   in Loop: Header=BB444_1478 Depth=1
	v_cmp_lt_i32_e64 s0, v85, v38
	s_delay_alu instid0(VALU_DEP_1) | instskip(SKIP_1) | instid1(VALU_DEP_1)
	v_cndmask_b32_e64 v4, 0, v4, s0
	v_cmp_lt_i32_e64 s0, v100, v38
	v_cndmask_b32_e64 v5, 0, v5, s0
	v_cmp_lt_i32_e64 s0, v99, v38
	s_delay_alu instid0(VALU_DEP_1) | instskip(SKIP_1) | instid1(VALU_DEP_1)
	v_cndmask_b32_e64 v21, 0, v21, s0
	v_cmp_lt_i32_e64 s0, v98, v38
	v_cndmask_b32_e64 v9, 0, v9, s0
	;; [unrolled: 5-line block ×4, first 2 shown]
.LBB444_1869:                           ;   in Loop: Header=BB444_1478 Depth=1
	s_or_b32 exec_lo, exec_lo, s12
	v_lshlrev_b32_e32 v4, 16, v4
                                        ; implicit-def: $vgpr133
	s_delay_alu instid0(VALU_DEP_1) | instskip(NEXT) | instid1(VALU_DEP_1)
	v_mul_f32_e32 v4, v101, v4
	v_and_b32_e32 v37, 0x7f800000, v4
	s_delay_alu instid0(VALU_DEP_1) | instskip(NEXT) | instid1(VALU_DEP_1)
	v_cmp_ne_u32_e64 s0, 0x7f800000, v37
	s_and_saveexec_b32 s12, s0
	s_delay_alu instid0(SALU_CYCLE_1)
	s_xor_b32 s0, exec_lo, s12
; %bb.1870:                             ;   in Loop: Header=BB444_1478 Depth=1
	v_bfe_u32 v37, v4, 16, 1
	s_delay_alu instid0(VALU_DEP_1)
	v_add3_u32 v133, v4, v37, 0x7fff
                                        ; implicit-def: $vgpr4
; %bb.1871:                             ;   in Loop: Header=BB444_1478 Depth=1
	s_and_not1_saveexec_b32 s12, s0
; %bb.1872:                             ;   in Loop: Header=BB444_1478 Depth=1
	v_and_b32_e32 v37, 0xffff, v4
	v_or_b32_e32 v39, 0x10000, v4
	s_delay_alu instid0(VALU_DEP_2) | instskip(NEXT) | instid1(VALU_DEP_1)
	v_cmp_eq_u32_e64 s0, 0, v37
	v_cndmask_b32_e64 v133, v39, v4, s0
; %bb.1873:                             ;   in Loop: Header=BB444_1478 Depth=1
	s_or_b32 exec_lo, exec_lo, s12
	v_lshlrev_b32_e32 v4, 16, v5
                                        ; implicit-def: $vgpr134
	s_delay_alu instid0(VALU_DEP_1) | instskip(NEXT) | instid1(VALU_DEP_1)
	v_mul_f32_e32 v4, v102, v4
	v_and_b32_e32 v5, 0x7f800000, v4
	s_delay_alu instid0(VALU_DEP_1) | instskip(NEXT) | instid1(VALU_DEP_1)
	v_cmp_ne_u32_e64 s0, 0x7f800000, v5
	s_and_saveexec_b32 s12, s0
	s_delay_alu instid0(SALU_CYCLE_1)
	s_xor_b32 s0, exec_lo, s12
; %bb.1874:                             ;   in Loop: Header=BB444_1478 Depth=1
	v_bfe_u32 v5, v4, 16, 1
	s_delay_alu instid0(VALU_DEP_1)
	v_add3_u32 v134, v4, v5, 0x7fff
                                        ; implicit-def: $vgpr4
; %bb.1875:                             ;   in Loop: Header=BB444_1478 Depth=1
	s_and_not1_saveexec_b32 s12, s0
; %bb.1876:                             ;   in Loop: Header=BB444_1478 Depth=1
	v_and_b32_e32 v5, 0xffff, v4
	v_or_b32_e32 v37, 0x10000, v4
	s_delay_alu instid0(VALU_DEP_2) | instskip(NEXT) | instid1(VALU_DEP_1)
	v_cmp_eq_u32_e64 s0, 0, v5
	v_cndmask_b32_e64 v134, v37, v4, s0
; %bb.1877:                             ;   in Loop: Header=BB444_1478 Depth=1
	s_or_b32 exec_lo, exec_lo, s12
	v_lshlrev_b32_e32 v4, 16, v21
                                        ; implicit-def: $vgpr135
	s_delay_alu instid0(VALU_DEP_1) | instskip(NEXT) | instid1(VALU_DEP_1)
	v_mul_f32_e32 v4, v103, v4
	v_and_b32_e32 v5, 0x7f800000, v4
	s_delay_alu instid0(VALU_DEP_1) | instskip(NEXT) | instid1(VALU_DEP_1)
	v_cmp_ne_u32_e64 s0, 0x7f800000, v5
	s_and_saveexec_b32 s12, s0
	s_delay_alu instid0(SALU_CYCLE_1)
	s_xor_b32 s0, exec_lo, s12
; %bb.1878:                             ;   in Loop: Header=BB444_1478 Depth=1
	v_bfe_u32 v5, v4, 16, 1
	s_delay_alu instid0(VALU_DEP_1)
	v_add3_u32 v135, v4, v5, 0x7fff
                                        ; implicit-def: $vgpr4
; %bb.1879:                             ;   in Loop: Header=BB444_1478 Depth=1
	s_and_not1_saveexec_b32 s12, s0
; %bb.1880:                             ;   in Loop: Header=BB444_1478 Depth=1
	v_and_b32_e32 v5, 0xffff, v4
	v_or_b32_e32 v21, 0x10000, v4
	s_delay_alu instid0(VALU_DEP_2) | instskip(NEXT) | instid1(VALU_DEP_1)
	v_cmp_eq_u32_e64 s0, 0, v5
	v_cndmask_b32_e64 v135, v21, v4, s0
; %bb.1881:                             ;   in Loop: Header=BB444_1478 Depth=1
	s_or_b32 exec_lo, exec_lo, s12
	v_lshlrev_b32_e32 v4, 16, v9
                                        ; implicit-def: $vgpr144
	s_delay_alu instid0(VALU_DEP_1) | instskip(NEXT) | instid1(VALU_DEP_1)
	v_mul_f32_e32 v4, v112, v4
	v_and_b32_e32 v5, 0x7f800000, v4
	s_delay_alu instid0(VALU_DEP_1) | instskip(NEXT) | instid1(VALU_DEP_1)
	v_cmp_ne_u32_e64 s0, 0x7f800000, v5
	s_and_saveexec_b32 s12, s0
	s_delay_alu instid0(SALU_CYCLE_1)
	s_xor_b32 s0, exec_lo, s12
; %bb.1882:                             ;   in Loop: Header=BB444_1478 Depth=1
	v_bfe_u32 v5, v4, 16, 1
	s_delay_alu instid0(VALU_DEP_1)
	v_add3_u32 v144, v4, v5, 0x7fff
                                        ; implicit-def: $vgpr4
; %bb.1883:                             ;   in Loop: Header=BB444_1478 Depth=1
	s_and_not1_saveexec_b32 s12, s0
; %bb.1884:                             ;   in Loop: Header=BB444_1478 Depth=1
	v_and_b32_e32 v5, 0xffff, v4
	v_or_b32_e32 v9, 0x10000, v4
	s_delay_alu instid0(VALU_DEP_2) | instskip(NEXT) | instid1(VALU_DEP_1)
	v_cmp_eq_u32_e64 s0, 0, v5
	v_cndmask_b32_e64 v144, v9, v4, s0
; %bb.1885:                             ;   in Loop: Header=BB444_1478 Depth=1
	s_or_b32 exec_lo, exec_lo, s12
	v_lshlrev_b32_e32 v4, 16, v7
                                        ; implicit-def: $vgpr145
	s_delay_alu instid0(VALU_DEP_1) | instskip(NEXT) | instid1(VALU_DEP_1)
	v_mul_f32_e32 v4, v113, v4
	v_and_b32_e32 v5, 0x7f800000, v4
	s_delay_alu instid0(VALU_DEP_1) | instskip(NEXT) | instid1(VALU_DEP_1)
	v_cmp_ne_u32_e64 s0, 0x7f800000, v5
	s_and_saveexec_b32 s12, s0
	s_delay_alu instid0(SALU_CYCLE_1)
	s_xor_b32 s0, exec_lo, s12
; %bb.1886:                             ;   in Loop: Header=BB444_1478 Depth=1
	v_bfe_u32 v5, v4, 16, 1
	s_delay_alu instid0(VALU_DEP_1)
	v_add3_u32 v145, v4, v5, 0x7fff
                                        ; implicit-def: $vgpr4
; %bb.1887:                             ;   in Loop: Header=BB444_1478 Depth=1
	s_and_not1_saveexec_b32 s12, s0
; %bb.1888:                             ;   in Loop: Header=BB444_1478 Depth=1
	v_and_b32_e32 v5, 0xffff, v4
	v_or_b32_e32 v7, 0x10000, v4
	s_delay_alu instid0(VALU_DEP_2) | instskip(NEXT) | instid1(VALU_DEP_1)
	v_cmp_eq_u32_e64 s0, 0, v5
	v_cndmask_b32_e64 v145, v7, v4, s0
; %bb.1889:                             ;   in Loop: Header=BB444_1478 Depth=1
	s_or_b32 exec_lo, exec_lo, s12
	v_lshlrev_b32_e32 v4, 16, v6
                                        ; implicit-def: $vgpr146
	s_delay_alu instid0(VALU_DEP_1) | instskip(NEXT) | instid1(VALU_DEP_1)
	v_mul_f32_e32 v4, v114, v4
	v_and_b32_e32 v5, 0x7f800000, v4
	s_delay_alu instid0(VALU_DEP_1) | instskip(NEXT) | instid1(VALU_DEP_1)
	v_cmp_ne_u32_e64 s0, 0x7f800000, v5
	s_and_saveexec_b32 s12, s0
	s_delay_alu instid0(SALU_CYCLE_1)
	s_xor_b32 s0, exec_lo, s12
; %bb.1890:                             ;   in Loop: Header=BB444_1478 Depth=1
	v_bfe_u32 v5, v4, 16, 1
	s_delay_alu instid0(VALU_DEP_1)
	v_add3_u32 v146, v4, v5, 0x7fff
                                        ; implicit-def: $vgpr4
; %bb.1891:                             ;   in Loop: Header=BB444_1478 Depth=1
	s_and_not1_saveexec_b32 s12, s0
; %bb.1892:                             ;   in Loop: Header=BB444_1478 Depth=1
	v_and_b32_e32 v5, 0xffff, v4
	v_or_b32_e32 v6, 0x10000, v4
	s_delay_alu instid0(VALU_DEP_2) | instskip(NEXT) | instid1(VALU_DEP_1)
	v_cmp_eq_u32_e64 s0, 0, v5
	v_cndmask_b32_e64 v146, v6, v4, s0
; %bb.1893:                             ;   in Loop: Header=BB444_1478 Depth=1
	s_or_b32 exec_lo, exec_lo, s12
	v_lshlrev_b32_e32 v3, 16, v3
                                        ; implicit-def: $vgpr147
	s_delay_alu instid0(VALU_DEP_1) | instskip(NEXT) | instid1(VALU_DEP_1)
	v_mul_f32_e32 v3, v115, v3
	v_and_b32_e32 v4, 0x7f800000, v3
	s_delay_alu instid0(VALU_DEP_1) | instskip(NEXT) | instid1(VALU_DEP_1)
	v_cmp_ne_u32_e64 s0, 0x7f800000, v4
	s_and_saveexec_b32 s12, s0
	s_delay_alu instid0(SALU_CYCLE_1)
	s_xor_b32 s0, exec_lo, s12
; %bb.1894:                             ;   in Loop: Header=BB444_1478 Depth=1
	v_bfe_u32 v4, v3, 16, 1
	s_delay_alu instid0(VALU_DEP_1)
	v_add3_u32 v147, v3, v4, 0x7fff
                                        ; implicit-def: $vgpr3
; %bb.1895:                             ;   in Loop: Header=BB444_1478 Depth=1
	s_and_not1_saveexec_b32 s12, s0
; %bb.1896:                             ;   in Loop: Header=BB444_1478 Depth=1
	v_and_b32_e32 v4, 0xffff, v3
	v_or_b32_e32 v5, 0x10000, v3
	s_delay_alu instid0(VALU_DEP_2) | instskip(NEXT) | instid1(VALU_DEP_1)
	v_cmp_eq_u32_e64 s0, 0, v4
	v_cndmask_b32_e64 v147, v5, v3, s0
; %bb.1897:                             ;   in Loop: Header=BB444_1478 Depth=1
	s_or_b32 exec_lo, exec_lo, s12
	v_lshlrev_b32_e32 v2, 16, v2
                                        ; implicit-def: $vgpr148
	s_delay_alu instid0(VALU_DEP_1) | instskip(NEXT) | instid1(VALU_DEP_1)
	v_mul_f32_e32 v2, v116, v2
	v_and_b32_e32 v3, 0x7f800000, v2
	s_delay_alu instid0(VALU_DEP_1) | instskip(NEXT) | instid1(VALU_DEP_1)
	v_cmp_ne_u32_e64 s0, 0x7f800000, v3
	s_and_saveexec_b32 s12, s0
	s_delay_alu instid0(SALU_CYCLE_1)
	s_xor_b32 s0, exec_lo, s12
; %bb.1898:                             ;   in Loop: Header=BB444_1478 Depth=1
	v_bfe_u32 v3, v2, 16, 1
	s_delay_alu instid0(VALU_DEP_1)
	v_add3_u32 v148, v2, v3, 0x7fff
                                        ; implicit-def: $vgpr2
; %bb.1899:                             ;   in Loop: Header=BB444_1478 Depth=1
	s_and_not1_saveexec_b32 s12, s0
; %bb.1900:                             ;   in Loop: Header=BB444_1478 Depth=1
	v_and_b32_e32 v3, 0xffff, v2
	v_or_b32_e32 v4, 0x10000, v2
	s_delay_alu instid0(VALU_DEP_2) | instskip(NEXT) | instid1(VALU_DEP_1)
	v_cmp_eq_u32_e64 s0, 0, v3
	v_cndmask_b32_e64 v148, v4, v2, s0
; %bb.1901:                             ;   in Loop: Header=BB444_1478 Depth=1
	s_or_b32 exec_lo, exec_lo, s12
	flat_load_b64 v[2:3], v[0:1] offset:768
	s_mov_b32 s12, exec_lo
	s_waitcnt vmcnt(0) lgkmcnt(0)
	v_dual_mov_b32 v4, 0 :: v_dual_and_b32 v5, 0xff, v2
	s_delay_alu instid0(VALU_DEP_1)
	v_cmpx_ne_u16_e32 0, v5
	s_cbranch_execz .LBB444_1909
; %bb.1902:                             ;   in Loop: Header=BB444_1478 Depth=1
	v_bfrev_b32_e32 v4, 1
	s_mov_b32 s13, exec_lo
	v_cmpx_ne_u16_e32 0x80, v5
	s_cbranch_execz .LBB444_1908
; %bb.1903:                             ;   in Loop: Header=BB444_1478 Depth=1
	v_and_b32_e32 v5, 0x7f, v2
	v_mov_b32_e32 v4, 0x7f800001
	s_mov_b32 s15, exec_lo
	s_delay_alu instid0(VALU_DEP_2)
	v_cmpx_ne_u32_e32 0x7f, v5
	s_cbranch_execz .LBB444_1907
; %bb.1904:                             ;   in Loop: Header=BB444_1478 Depth=1
	v_lshrrev_b32_e32 v4, 3, v5
	v_dual_mov_b32 v7, v3 :: v_dual_mov_b32 v6, v2
	s_mov_b32 s16, exec_lo
	v_cmpx_gt_u32_e32 8, v5
; %bb.1905:                             ;   in Loop: Header=BB444_1478 Depth=1
	v_and_b32_e32 v4, 7, v2
	s_delay_alu instid0(VALU_DEP_1) | instskip(NEXT) | instid1(VALU_DEP_1)
	v_clz_i32_u32_e32 v4, v4
	v_min_u32_e32 v4, 32, v4
	s_delay_alu instid0(VALU_DEP_1) | instskip(SKIP_1) | instid1(VALU_DEP_2)
	v_subrev_nc_u32_e32 v5, 28, v4
	v_sub_nc_u32_e32 v4, 29, v4
	v_lshlrev_b64 v[6:7], v5, v[2:3]
; %bb.1906:                             ;   in Loop: Header=BB444_1478 Depth=1
	s_or_b32 exec_lo, exec_lo, s16
	s_delay_alu instid0(VALU_DEP_1) | instskip(SKIP_2) | instid1(VALU_DEP_3)
	v_lshlrev_b32_e32 v5, 20, v6
	v_lshlrev_b32_e32 v6, 24, v2
	v_lshl_add_u32 v4, v4, 23, 0x3c000000
	v_and_b32_e32 v5, 0x700000, v5
	s_delay_alu instid0(VALU_DEP_3) | instskip(NEXT) | instid1(VALU_DEP_1)
	v_and_b32_e32 v6, 0x80000000, v6
	v_or3_b32 v4, v5, v6, v4
.LBB444_1907:                           ;   in Loop: Header=BB444_1478 Depth=1
	s_or_b32 exec_lo, exec_lo, s15
.LBB444_1908:                           ;   in Loop: Header=BB444_1478 Depth=1
	s_delay_alu instid0(SALU_CYCLE_1)
	s_or_b32 exec_lo, exec_lo, s13
.LBB444_1909:                           ;   in Loop: Header=BB444_1478 Depth=1
	s_delay_alu instid0(SALU_CYCLE_1) | instskip(NEXT) | instid1(VALU_DEP_1)
	s_or_b32 exec_lo, exec_lo, s12
	v_mul_f32_e32 v5, v8, v4
	s_delay_alu instid0(VALU_DEP_1) | instskip(NEXT) | instid1(VALU_DEP_1)
	v_and_b32_e32 v4, 0x7f800000, v5
	v_cmp_ne_u32_e64 s0, 0x7f800000, v4
                                        ; implicit-def: $vgpr4
	s_delay_alu instid0(VALU_DEP_1) | instskip(NEXT) | instid1(SALU_CYCLE_1)
	s_and_saveexec_b32 s12, s0
	s_xor_b32 s0, exec_lo, s12
; %bb.1910:                             ;   in Loop: Header=BB444_1478 Depth=1
	v_bfe_u32 v4, v5, 16, 1
	s_delay_alu instid0(VALU_DEP_1)
	v_add3_u32 v4, v5, v4, 0x7fff
                                        ; implicit-def: $vgpr5
; %bb.1911:                             ;   in Loop: Header=BB444_1478 Depth=1
	s_and_not1_saveexec_b32 s12, s0
; %bb.1912:                             ;   in Loop: Header=BB444_1478 Depth=1
	v_and_b32_e32 v4, 0xffff, v5
	v_or_b32_e32 v6, 0x10000, v5
	s_delay_alu instid0(VALU_DEP_2) | instskip(NEXT) | instid1(VALU_DEP_1)
	v_cmp_eq_u32_e64 s0, 0, v4
	v_cndmask_b32_e64 v4, v6, v5, s0
; %bb.1913:                             ;   in Loop: Header=BB444_1478 Depth=1
	s_or_b32 exec_lo, exec_lo, s12
	v_lshrrev_b16 v6, 8, v2
	v_mov_b32_e32 v5, 0
	s_mov_b32 s12, exec_lo
	s_delay_alu instid0(VALU_DEP_2)
	v_cmpx_ne_u16_e32 0, v6
	s_cbranch_execz .LBB444_1921
; %bb.1914:                             ;   in Loop: Header=BB444_1478 Depth=1
	v_bfrev_b32_e32 v5, 1
	s_mov_b32 s13, exec_lo
	v_cmpx_ne_u16_e32 0x80, v6
	s_cbranch_execz .LBB444_1920
; %bb.1915:                             ;   in Loop: Header=BB444_1478 Depth=1
	v_and_b32_e32 v7, 0xffff, v6
	v_mov_b32_e32 v5, 0x7f800001
	s_mov_b32 s15, exec_lo
	s_delay_alu instid0(VALU_DEP_2) | instskip(NEXT) | instid1(VALU_DEP_1)
	v_and_b32_e32 v6, 0x7f, v7
	v_cmpx_ne_u32_e32 0x7f, v6
	s_cbranch_execz .LBB444_1919
; %bb.1916:                             ;   in Loop: Header=BB444_1478 Depth=1
	v_and_b32_e32 v9, 7, v7
	v_lshrrev_b32_e32 v5, 3, v6
	v_cmp_gt_u32_e64 s0, 8, v6
	s_delay_alu instid0(VALU_DEP_3) | instskip(NEXT) | instid1(VALU_DEP_2)
	v_dual_mov_b32 v6, v9 :: v_dual_mov_b32 v7, v10
	s_and_saveexec_b32 s16, s0
; %bb.1917:                             ;   in Loop: Header=BB444_1478 Depth=1
	v_clz_i32_u32_e32 v5, v9
	s_delay_alu instid0(VALU_DEP_1) | instskip(NEXT) | instid1(VALU_DEP_1)
	v_min_u32_e32 v5, 32, v5
	v_subrev_nc_u32_e32 v6, 28, v5
	v_sub_nc_u32_e32 v5, 29, v5
	s_delay_alu instid0(VALU_DEP_2) | instskip(NEXT) | instid1(VALU_DEP_1)
	v_lshlrev_b64 v[6:7], v6, v[9:10]
	v_and_b32_e32 v6, 7, v6
; %bb.1918:                             ;   in Loop: Header=BB444_1478 Depth=1
	s_or_b32 exec_lo, exec_lo, s16
	v_lshlrev_b32_e32 v7, 16, v2
	s_delay_alu instid0(VALU_DEP_2) | instskip(SKIP_1) | instid1(VALU_DEP_3)
	v_lshlrev_b32_e32 v6, 20, v6
	v_lshl_add_u32 v5, v5, 23, 0x3c000000
	v_and_b32_e32 v7, 0x80000000, v7
	s_delay_alu instid0(VALU_DEP_1)
	v_or3_b32 v5, v6, v7, v5
.LBB444_1919:                           ;   in Loop: Header=BB444_1478 Depth=1
	s_or_b32 exec_lo, exec_lo, s15
.LBB444_1920:                           ;   in Loop: Header=BB444_1478 Depth=1
	s_delay_alu instid0(SALU_CYCLE_1)
	s_or_b32 exec_lo, exec_lo, s13
.LBB444_1921:                           ;   in Loop: Header=BB444_1478 Depth=1
	s_delay_alu instid0(SALU_CYCLE_1) | instskip(NEXT) | instid1(VALU_DEP_1)
	s_or_b32 exec_lo, exec_lo, s12
	v_mul_f32_e32 v6, v8, v5
	s_delay_alu instid0(VALU_DEP_1) | instskip(NEXT) | instid1(VALU_DEP_1)
	v_and_b32_e32 v5, 0x7f800000, v6
	v_cmp_ne_u32_e64 s0, 0x7f800000, v5
                                        ; implicit-def: $vgpr5
	s_delay_alu instid0(VALU_DEP_1) | instskip(NEXT) | instid1(SALU_CYCLE_1)
	s_and_saveexec_b32 s12, s0
	s_xor_b32 s0, exec_lo, s12
; %bb.1922:                             ;   in Loop: Header=BB444_1478 Depth=1
	v_bfe_u32 v5, v6, 16, 1
	s_delay_alu instid0(VALU_DEP_1)
	v_add3_u32 v5, v6, v5, 0x7fff
                                        ; implicit-def: $vgpr6
; %bb.1923:                             ;   in Loop: Header=BB444_1478 Depth=1
	s_and_not1_saveexec_b32 s12, s0
; %bb.1924:                             ;   in Loop: Header=BB444_1478 Depth=1
	v_and_b32_e32 v5, 0xffff, v6
	v_or_b32_e32 v7, 0x10000, v6
	s_delay_alu instid0(VALU_DEP_2) | instskip(NEXT) | instid1(VALU_DEP_1)
	v_cmp_eq_u32_e64 s0, 0, v5
	v_cndmask_b32_e64 v5, v7, v6, s0
; %bb.1925:                             ;   in Loop: Header=BB444_1478 Depth=1
	s_or_b32 exec_lo, exec_lo, s12
	v_lshrrev_b32_e32 v21, 16, v2
	s_mov_b32 s12, exec_lo
	s_delay_alu instid0(VALU_DEP_1) | instskip(NEXT) | instid1(VALU_DEP_1)
	v_dual_mov_b32 v6, 0 :: v_dual_and_b32 v7, 0xff, v21
	v_cmpx_ne_u16_e32 0, v7
	s_cbranch_execz .LBB444_1933
; %bb.1926:                             ;   in Loop: Header=BB444_1478 Depth=1
	v_bfrev_b32_e32 v6, 1
	s_mov_b32 s13, exec_lo
	v_cmpx_ne_u16_e32 0x80, v7
	s_cbranch_execz .LBB444_1932
; %bb.1927:                             ;   in Loop: Header=BB444_1478 Depth=1
	v_bfe_u32 v7, v2, 16, 7
	v_mov_b32_e32 v6, 0x7f800001
	s_mov_b32 s15, exec_lo
	s_delay_alu instid0(VALU_DEP_2)
	v_cmpx_ne_u32_e32 0x7f, v7
	s_cbranch_execz .LBB444_1931
; %bb.1928:                             ;   in Loop: Header=BB444_1478 Depth=1
	v_and_b32_e32 v9, 7, v21
	v_lshrrev_b32_e32 v37, 3, v7
	v_cmp_gt_u32_e64 s0, 8, v7
	s_delay_alu instid0(VALU_DEP_3) | instskip(NEXT) | instid1(VALU_DEP_2)
	v_dual_mov_b32 v6, v9 :: v_dual_mov_b32 v7, v10
	s_and_saveexec_b32 s16, s0
; %bb.1929:                             ;   in Loop: Header=BB444_1478 Depth=1
	v_clz_i32_u32_e32 v6, v9
	s_delay_alu instid0(VALU_DEP_1) | instskip(NEXT) | instid1(VALU_DEP_1)
	v_min_u32_e32 v37, 32, v6
	v_subrev_nc_u32_e32 v6, 28, v37
	v_sub_nc_u32_e32 v37, 29, v37
	s_delay_alu instid0(VALU_DEP_2) | instskip(NEXT) | instid1(VALU_DEP_1)
	v_lshlrev_b64 v[6:7], v6, v[9:10]
	v_and_b32_e32 v6, 7, v6
; %bb.1930:                             ;   in Loop: Header=BB444_1478 Depth=1
	s_or_b32 exec_lo, exec_lo, s16
	v_lshlrev_b32_e32 v7, 24, v21
	s_delay_alu instid0(VALU_DEP_2) | instskip(SKIP_1) | instid1(VALU_DEP_3)
	v_lshlrev_b32_e32 v6, 20, v6
	v_lshl_add_u32 v9, v37, 23, 0x3c000000
	v_and_b32_e32 v7, 0x80000000, v7
	s_delay_alu instid0(VALU_DEP_1)
	v_or3_b32 v6, v6, v7, v9
.LBB444_1931:                           ;   in Loop: Header=BB444_1478 Depth=1
	s_or_b32 exec_lo, exec_lo, s15
.LBB444_1932:                           ;   in Loop: Header=BB444_1478 Depth=1
	s_delay_alu instid0(SALU_CYCLE_1)
	s_or_b32 exec_lo, exec_lo, s13
.LBB444_1933:                           ;   in Loop: Header=BB444_1478 Depth=1
	s_delay_alu instid0(SALU_CYCLE_1) | instskip(NEXT) | instid1(VALU_DEP_1)
	s_or_b32 exec_lo, exec_lo, s12
	v_mul_f32_e32 v6, v8, v6
                                        ; implicit-def: $vgpr21
	s_delay_alu instid0(VALU_DEP_1) | instskip(NEXT) | instid1(VALU_DEP_1)
	v_and_b32_e32 v7, 0x7f800000, v6
	v_cmp_ne_u32_e64 s0, 0x7f800000, v7
	s_delay_alu instid0(VALU_DEP_1) | instskip(NEXT) | instid1(SALU_CYCLE_1)
	s_and_saveexec_b32 s12, s0
	s_xor_b32 s0, exec_lo, s12
; %bb.1934:                             ;   in Loop: Header=BB444_1478 Depth=1
	v_bfe_u32 v7, v6, 16, 1
	s_delay_alu instid0(VALU_DEP_1)
	v_add3_u32 v21, v6, v7, 0x7fff
                                        ; implicit-def: $vgpr6
; %bb.1935:                             ;   in Loop: Header=BB444_1478 Depth=1
	s_and_not1_saveexec_b32 s12, s0
; %bb.1936:                             ;   in Loop: Header=BB444_1478 Depth=1
	v_and_b32_e32 v7, 0xffff, v6
	v_or_b32_e32 v9, 0x10000, v6
	s_delay_alu instid0(VALU_DEP_2) | instskip(NEXT) | instid1(VALU_DEP_1)
	v_cmp_eq_u32_e64 s0, 0, v7
	v_cndmask_b32_e64 v21, v9, v6, s0
; %bb.1937:                             ;   in Loop: Header=BB444_1478 Depth=1
	s_or_b32 exec_lo, exec_lo, s12
	v_mov_b32_e32 v6, 0
	s_mov_b32 s12, exec_lo
	v_cmpx_lt_u32_e32 0xffffff, v2
	s_cbranch_execz .LBB444_1945
; %bb.1938:                             ;   in Loop: Header=BB444_1478 Depth=1
	v_lshrrev_b32_e32 v37, 24, v2
	v_bfrev_b32_e32 v6, 1
	s_mov_b32 s13, exec_lo
	s_delay_alu instid0(VALU_DEP_2)
	v_cmpx_ne_u32_e32 0x80, v37
	s_cbranch_execz .LBB444_1944
; %bb.1939:                             ;   in Loop: Header=BB444_1478 Depth=1
	v_bfe_u32 v7, v2, 24, 7
	v_mov_b32_e32 v6, 0x7f800001
	s_mov_b32 s15, exec_lo
	s_delay_alu instid0(VALU_DEP_2)
	v_cmpx_ne_u32_e32 0x7f, v7
	s_cbranch_execz .LBB444_1943
; %bb.1940:                             ;   in Loop: Header=BB444_1478 Depth=1
	v_and_b32_e32 v9, 7, v37
	v_lshrrev_b32_e32 v39, 3, v7
	v_cmp_gt_u32_e64 s0, 8, v7
	s_delay_alu instid0(VALU_DEP_3) | instskip(NEXT) | instid1(VALU_DEP_2)
	v_dual_mov_b32 v6, v9 :: v_dual_mov_b32 v7, v10
	s_and_saveexec_b32 s16, s0
; %bb.1941:                             ;   in Loop: Header=BB444_1478 Depth=1
	v_clz_i32_u32_e32 v6, v9
	s_delay_alu instid0(VALU_DEP_1) | instskip(NEXT) | instid1(VALU_DEP_1)
	v_min_u32_e32 v39, 32, v6
	v_subrev_nc_u32_e32 v6, 28, v39
	v_sub_nc_u32_e32 v39, 29, v39
	s_delay_alu instid0(VALU_DEP_2) | instskip(NEXT) | instid1(VALU_DEP_1)
	v_lshlrev_b64 v[6:7], v6, v[9:10]
	v_and_b32_e32 v6, 7, v6
; %bb.1942:                             ;   in Loop: Header=BB444_1478 Depth=1
	s_or_b32 exec_lo, exec_lo, s16
	v_lshlrev_b32_e32 v7, 24, v37
	s_delay_alu instid0(VALU_DEP_2) | instskip(SKIP_1) | instid1(VALU_DEP_3)
	v_lshlrev_b32_e32 v6, 20, v6
	v_lshl_add_u32 v9, v39, 23, 0x3c000000
	v_and_b32_e32 v7, 0x80000000, v7
	s_delay_alu instid0(VALU_DEP_1)
	v_or3_b32 v6, v6, v7, v9
.LBB444_1943:                           ;   in Loop: Header=BB444_1478 Depth=1
	s_or_b32 exec_lo, exec_lo, s15
.LBB444_1944:                           ;   in Loop: Header=BB444_1478 Depth=1
	s_delay_alu instid0(SALU_CYCLE_1)
	s_or_b32 exec_lo, exec_lo, s13
.LBB444_1945:                           ;   in Loop: Header=BB444_1478 Depth=1
	s_delay_alu instid0(SALU_CYCLE_1) | instskip(NEXT) | instid1(VALU_DEP_1)
	s_or_b32 exec_lo, exec_lo, s12
	v_mul_f32_e32 v6, v8, v6
                                        ; implicit-def: $vgpr37
	s_delay_alu instid0(VALU_DEP_1) | instskip(NEXT) | instid1(VALU_DEP_1)
	v_and_b32_e32 v7, 0x7f800000, v6
	v_cmp_ne_u32_e64 s0, 0x7f800000, v7
	s_delay_alu instid0(VALU_DEP_1) | instskip(NEXT) | instid1(SALU_CYCLE_1)
	s_and_saveexec_b32 s12, s0
	s_xor_b32 s0, exec_lo, s12
; %bb.1946:                             ;   in Loop: Header=BB444_1478 Depth=1
	v_bfe_u32 v7, v6, 16, 1
	s_delay_alu instid0(VALU_DEP_1)
	v_add3_u32 v37, v6, v7, 0x7fff
                                        ; implicit-def: $vgpr6
; %bb.1947:                             ;   in Loop: Header=BB444_1478 Depth=1
	s_and_not1_saveexec_b32 s12, s0
; %bb.1948:                             ;   in Loop: Header=BB444_1478 Depth=1
	v_and_b32_e32 v7, 0xffff, v6
	v_or_b32_e32 v9, 0x10000, v6
	s_delay_alu instid0(VALU_DEP_2) | instskip(NEXT) | instid1(VALU_DEP_1)
	v_cmp_eq_u32_e64 s0, 0, v7
	v_cndmask_b32_e64 v37, v9, v6, s0
; %bb.1949:                             ;   in Loop: Header=BB444_1478 Depth=1
	s_or_b32 exec_lo, exec_lo, s12
	v_dual_mov_b32 v6, 0 :: v_dual_and_b32 v7, 0xff, v3
	v_mov_b32_e32 v9, v3
	s_mov_b32 s12, exec_lo
	s_delay_alu instid0(VALU_DEP_2)
	v_cmpx_ne_u16_e32 0, v7
	s_cbranch_execz .LBB444_1957
; %bb.1950:                             ;   in Loop: Header=BB444_1478 Depth=1
	v_bfrev_b32_e32 v6, 1
	s_mov_b32 s13, exec_lo
	v_cmpx_ne_u16_e32 0x80, v7
	s_cbranch_execz .LBB444_1956
; %bb.1951:                             ;   in Loop: Header=BB444_1478 Depth=1
	v_and_b32_e32 v7, 0x7f, v3
	v_mov_b32_e32 v6, 0x7f800001
	s_mov_b32 s15, exec_lo
	s_delay_alu instid0(VALU_DEP_2)
	v_cmpx_ne_u32_e32 0x7f, v7
	s_cbranch_execz .LBB444_1955
; %bb.1952:                             ;   in Loop: Header=BB444_1478 Depth=1
	v_lshrrev_b32_e32 v39, 3, v7
	v_cmp_gt_u32_e64 s0, 8, v7
	v_dual_mov_b32 v6, v9 :: v_dual_mov_b32 v7, v10
	s_delay_alu instid0(VALU_DEP_2)
	s_and_saveexec_b32 s16, s0
; %bb.1953:                             ;   in Loop: Header=BB444_1478 Depth=1
	v_and_b32_e32 v6, 7, v3
	s_delay_alu instid0(VALU_DEP_1) | instskip(NEXT) | instid1(VALU_DEP_1)
	v_clz_i32_u32_e32 v6, v6
	v_min_u32_e32 v39, 32, v6
	s_delay_alu instid0(VALU_DEP_1) | instskip(SKIP_1) | instid1(VALU_DEP_2)
	v_subrev_nc_u32_e32 v6, 28, v39
	v_sub_nc_u32_e32 v39, 29, v39
	v_lshlrev_b64 v[6:7], v6, v[9:10]
; %bb.1954:                             ;   in Loop: Header=BB444_1478 Depth=1
	s_or_b32 exec_lo, exec_lo, s16
	s_delay_alu instid0(VALU_DEP_1) | instskip(SKIP_2) | instid1(VALU_DEP_3)
	v_lshlrev_b32_e32 v6, 20, v6
	v_lshlrev_b32_e32 v7, 24, v9
	v_lshl_add_u32 v39, v39, 23, 0x3c000000
	v_and_b32_e32 v6, 0x700000, v6
	s_delay_alu instid0(VALU_DEP_3) | instskip(NEXT) | instid1(VALU_DEP_1)
	v_and_b32_e32 v7, 0x80000000, v7
	v_or3_b32 v6, v6, v7, v39
.LBB444_1955:                           ;   in Loop: Header=BB444_1478 Depth=1
	s_or_b32 exec_lo, exec_lo, s15
.LBB444_1956:                           ;   in Loop: Header=BB444_1478 Depth=1
	s_delay_alu instid0(SALU_CYCLE_1)
	s_or_b32 exec_lo, exec_lo, s13
.LBB444_1957:                           ;   in Loop: Header=BB444_1478 Depth=1
	s_delay_alu instid0(SALU_CYCLE_1) | instskip(NEXT) | instid1(VALU_DEP_1)
	s_or_b32 exec_lo, exec_lo, s12
	v_mul_f32_e32 v6, v8, v6
                                        ; implicit-def: $vgpr39
	s_delay_alu instid0(VALU_DEP_1) | instskip(NEXT) | instid1(VALU_DEP_1)
	v_and_b32_e32 v7, 0x7f800000, v6
	v_cmp_ne_u32_e64 s0, 0x7f800000, v7
	s_delay_alu instid0(VALU_DEP_1) | instskip(NEXT) | instid1(SALU_CYCLE_1)
	s_and_saveexec_b32 s12, s0
	s_xor_b32 s0, exec_lo, s12
; %bb.1958:                             ;   in Loop: Header=BB444_1478 Depth=1
	v_bfe_u32 v7, v6, 16, 1
	s_delay_alu instid0(VALU_DEP_1)
	v_add3_u32 v39, v6, v7, 0x7fff
                                        ; implicit-def: $vgpr6
; %bb.1959:                             ;   in Loop: Header=BB444_1478 Depth=1
	s_and_not1_saveexec_b32 s12, s0
; %bb.1960:                             ;   in Loop: Header=BB444_1478 Depth=1
	v_and_b32_e32 v7, 0xffff, v6
	v_or_b32_e32 v39, 0x10000, v6
	s_delay_alu instid0(VALU_DEP_2) | instskip(NEXT) | instid1(VALU_DEP_1)
	v_cmp_eq_u32_e64 s0, 0, v7
	v_cndmask_b32_e64 v39, v39, v6, s0
; %bb.1961:                             ;   in Loop: Header=BB444_1478 Depth=1
	s_or_b32 exec_lo, exec_lo, s12
	v_lshrrev_b16 v7, 8, v9
	v_mov_b32_e32 v6, 0
	s_mov_b32 s12, exec_lo
	s_delay_alu instid0(VALU_DEP_2)
	v_cmpx_ne_u16_e32 0, v7
	s_cbranch_execz .LBB444_1969
; %bb.1962:                             ;   in Loop: Header=BB444_1478 Depth=1
	v_bfrev_b32_e32 v6, 1
	s_mov_b32 s13, exec_lo
	v_cmpx_ne_u16_e32 0x80, v7
	s_cbranch_execz .LBB444_1968
; %bb.1963:                             ;   in Loop: Header=BB444_1478 Depth=1
	v_and_b32_e32 v7, 0xffff, v7
	v_mov_b32_e32 v6, 0x7f800001
	s_mov_b32 s15, exec_lo
	s_delay_alu instid0(VALU_DEP_2) | instskip(NEXT) | instid1(VALU_DEP_1)
	v_and_b32_e32 v150, 0x7f, v7
	v_cmpx_ne_u32_e32 0x7f, v150
	s_cbranch_execz .LBB444_1967
; %bb.1964:                             ;   in Loop: Header=BB444_1478 Depth=1
	v_dual_mov_b32 v7, v10 :: v_dual_and_b32 v6, 7, v7
	v_lshrrev_b32_e32 v149, 3, v150
	s_mov_b32 s16, exec_lo
	v_cmpx_gt_u32_e32 8, v150
; %bb.1965:                             ;   in Loop: Header=BB444_1478 Depth=1
	s_delay_alu instid0(VALU_DEP_3) | instskip(NEXT) | instid1(VALU_DEP_1)
	v_clz_i32_u32_e32 v149, v6
	v_min_u32_e32 v149, 32, v149
	s_delay_alu instid0(VALU_DEP_1) | instskip(SKIP_1) | instid1(VALU_DEP_2)
	v_subrev_nc_u32_e32 v150, 28, v149
	v_sub_nc_u32_e32 v149, 29, v149
	v_lshlrev_b64 v[6:7], v150, v[6:7]
	s_delay_alu instid0(VALU_DEP_1)
	v_and_b32_e32 v6, 7, v6
; %bb.1966:                             ;   in Loop: Header=BB444_1478 Depth=1
	s_or_b32 exec_lo, exec_lo, s16
	v_lshlrev_b32_e32 v7, 16, v9
	s_delay_alu instid0(VALU_DEP_2) | instskip(SKIP_1) | instid1(VALU_DEP_3)
	v_lshlrev_b32_e32 v6, 20, v6
	v_lshl_add_u32 v9, v149, 23, 0x3c000000
	v_and_b32_e32 v7, 0x80000000, v7
	s_delay_alu instid0(VALU_DEP_1)
	v_or3_b32 v6, v6, v7, v9
.LBB444_1967:                           ;   in Loop: Header=BB444_1478 Depth=1
	s_or_b32 exec_lo, exec_lo, s15
.LBB444_1968:                           ;   in Loop: Header=BB444_1478 Depth=1
	s_delay_alu instid0(SALU_CYCLE_1)
	s_or_b32 exec_lo, exec_lo, s13
.LBB444_1969:                           ;   in Loop: Header=BB444_1478 Depth=1
	s_delay_alu instid0(SALU_CYCLE_1) | instskip(NEXT) | instid1(VALU_DEP_1)
	s_or_b32 exec_lo, exec_lo, s12
	v_mul_f32_e32 v6, v8, v6
                                        ; implicit-def: $vgpr149
	s_delay_alu instid0(VALU_DEP_1) | instskip(NEXT) | instid1(VALU_DEP_1)
	v_and_b32_e32 v7, 0x7f800000, v6
	v_cmp_ne_u32_e64 s0, 0x7f800000, v7
	s_delay_alu instid0(VALU_DEP_1) | instskip(NEXT) | instid1(SALU_CYCLE_1)
	s_and_saveexec_b32 s12, s0
	s_xor_b32 s0, exec_lo, s12
; %bb.1970:                             ;   in Loop: Header=BB444_1478 Depth=1
	v_bfe_u32 v7, v6, 16, 1
	s_delay_alu instid0(VALU_DEP_1)
	v_add3_u32 v149, v6, v7, 0x7fff
                                        ; implicit-def: $vgpr6
; %bb.1971:                             ;   in Loop: Header=BB444_1478 Depth=1
	s_and_not1_saveexec_b32 s12, s0
; %bb.1972:                             ;   in Loop: Header=BB444_1478 Depth=1
	v_and_b32_e32 v7, 0xffff, v6
	v_or_b32_e32 v9, 0x10000, v6
	s_delay_alu instid0(VALU_DEP_2) | instskip(NEXT) | instid1(VALU_DEP_1)
	v_cmp_eq_u32_e64 s0, 0, v7
	v_cndmask_b32_e64 v149, v9, v6, s0
; %bb.1973:                             ;   in Loop: Header=BB444_1478 Depth=1
	s_or_b32 exec_lo, exec_lo, s12
	v_lshrrev_b32_e32 v150, 16, v3
	s_mov_b32 s12, exec_lo
	s_delay_alu instid0(VALU_DEP_1) | instskip(NEXT) | instid1(VALU_DEP_1)
	v_dual_mov_b32 v6, 0 :: v_dual_and_b32 v7, 0xff, v150
	v_cmpx_ne_u16_e32 0, v7
	s_cbranch_execz .LBB444_1981
; %bb.1974:                             ;   in Loop: Header=BB444_1478 Depth=1
	v_bfrev_b32_e32 v6, 1
	s_mov_b32 s13, exec_lo
	v_cmpx_ne_u16_e32 0x80, v7
	s_cbranch_execz .LBB444_1980
; %bb.1975:                             ;   in Loop: Header=BB444_1478 Depth=1
	v_bfe_u32 v7, v3, 16, 7
	v_mov_b32_e32 v6, 0x7f800001
	s_mov_b32 s15, exec_lo
	s_delay_alu instid0(VALU_DEP_2)
	v_cmpx_ne_u32_e32 0x7f, v7
	s_cbranch_execz .LBB444_1979
; %bb.1976:                             ;   in Loop: Header=BB444_1478 Depth=1
	v_and_b32_e32 v9, 7, v150
	v_lshrrev_b32_e32 v151, 3, v7
	v_cmp_gt_u32_e64 s0, 8, v7
	s_delay_alu instid0(VALU_DEP_3) | instskip(NEXT) | instid1(VALU_DEP_2)
	v_dual_mov_b32 v6, v9 :: v_dual_mov_b32 v7, v10
	s_and_saveexec_b32 s16, s0
; %bb.1977:                             ;   in Loop: Header=BB444_1478 Depth=1
	v_clz_i32_u32_e32 v6, v9
	s_delay_alu instid0(VALU_DEP_1) | instskip(NEXT) | instid1(VALU_DEP_1)
	v_min_u32_e32 v151, 32, v6
	v_subrev_nc_u32_e32 v6, 28, v151
	v_sub_nc_u32_e32 v151, 29, v151
	s_delay_alu instid0(VALU_DEP_2) | instskip(NEXT) | instid1(VALU_DEP_1)
	v_lshlrev_b64 v[6:7], v6, v[9:10]
	v_and_b32_e32 v6, 7, v6
; %bb.1978:                             ;   in Loop: Header=BB444_1478 Depth=1
	s_or_b32 exec_lo, exec_lo, s16
	v_lshlrev_b32_e32 v7, 24, v150
	s_delay_alu instid0(VALU_DEP_2) | instskip(SKIP_1) | instid1(VALU_DEP_3)
	v_lshlrev_b32_e32 v6, 20, v6
	v_lshl_add_u32 v9, v151, 23, 0x3c000000
	v_and_b32_e32 v7, 0x80000000, v7
	s_delay_alu instid0(VALU_DEP_1)
	v_or3_b32 v6, v6, v7, v9
.LBB444_1979:                           ;   in Loop: Header=BB444_1478 Depth=1
	s_or_b32 exec_lo, exec_lo, s15
.LBB444_1980:                           ;   in Loop: Header=BB444_1478 Depth=1
	s_delay_alu instid0(SALU_CYCLE_1)
	s_or_b32 exec_lo, exec_lo, s13
.LBB444_1981:                           ;   in Loop: Header=BB444_1478 Depth=1
	s_delay_alu instid0(SALU_CYCLE_1) | instskip(NEXT) | instid1(VALU_DEP_1)
	s_or_b32 exec_lo, exec_lo, s12
	v_mul_f32_e32 v6, v8, v6
                                        ; implicit-def: $vgpr150
	s_delay_alu instid0(VALU_DEP_1) | instskip(NEXT) | instid1(VALU_DEP_1)
	v_and_b32_e32 v7, 0x7f800000, v6
	v_cmp_ne_u32_e64 s0, 0x7f800000, v7
	s_delay_alu instid0(VALU_DEP_1) | instskip(NEXT) | instid1(SALU_CYCLE_1)
	s_and_saveexec_b32 s12, s0
	s_xor_b32 s0, exec_lo, s12
; %bb.1982:                             ;   in Loop: Header=BB444_1478 Depth=1
	v_bfe_u32 v7, v6, 16, 1
	s_delay_alu instid0(VALU_DEP_1)
	v_add3_u32 v150, v6, v7, 0x7fff
                                        ; implicit-def: $vgpr6
; %bb.1983:                             ;   in Loop: Header=BB444_1478 Depth=1
	s_and_not1_saveexec_b32 s12, s0
; %bb.1984:                             ;   in Loop: Header=BB444_1478 Depth=1
	v_and_b32_e32 v7, 0xffff, v6
	v_or_b32_e32 v9, 0x10000, v6
	s_delay_alu instid0(VALU_DEP_2) | instskip(NEXT) | instid1(VALU_DEP_1)
	v_cmp_eq_u32_e64 s0, 0, v7
	v_cndmask_b32_e64 v150, v9, v6, s0
; %bb.1985:                             ;   in Loop: Header=BB444_1478 Depth=1
	s_or_b32 exec_lo, exec_lo, s12
	v_cmp_lt_u64_e64 s0, s[8:9], v[2:3]
	v_mov_b32_e32 v2, 0
	s_delay_alu instid0(VALU_DEP_2)
	s_and_saveexec_b32 s12, s0
	s_cbranch_execz .LBB444_1993
; %bb.1986:                             ;   in Loop: Header=BB444_1478 Depth=1
	v_lshrrev_b32_e32 v6, 24, v3
	v_bfrev_b32_e32 v2, 1
	s_mov_b32 s13, exec_lo
	s_delay_alu instid0(VALU_DEP_2)
	v_cmpx_ne_u32_e32 0x80, v6
	s_cbranch_execz .LBB444_1992
; %bb.1987:                             ;   in Loop: Header=BB444_1478 Depth=1
	v_bfe_u32 v3, v3, 24, 7
	v_mov_b32_e32 v2, 0x7f800001
	s_mov_b32 s15, exec_lo
	s_delay_alu instid0(VALU_DEP_2)
	v_cmpx_ne_u32_e32 0x7f, v3
	s_cbranch_execz .LBB444_1991
; %bb.1988:                             ;   in Loop: Header=BB444_1478 Depth=1
	v_and_b32_e32 v9, 7, v6
	v_lshrrev_b32_e32 v7, 3, v3
	v_cmp_gt_u32_e64 s0, 8, v3
	s_delay_alu instid0(VALU_DEP_3) | instskip(NEXT) | instid1(VALU_DEP_2)
	v_dual_mov_b32 v2, v9 :: v_dual_mov_b32 v3, v10
	s_and_saveexec_b32 s16, s0
; %bb.1989:                             ;   in Loop: Header=BB444_1478 Depth=1
	v_clz_i32_u32_e32 v2, v9
	s_delay_alu instid0(VALU_DEP_1) | instskip(NEXT) | instid1(VALU_DEP_1)
	v_min_u32_e32 v7, 32, v2
	v_subrev_nc_u32_e32 v2, 28, v7
	v_sub_nc_u32_e32 v7, 29, v7
	s_delay_alu instid0(VALU_DEP_2) | instskip(NEXT) | instid1(VALU_DEP_1)
	v_lshlrev_b64 v[2:3], v2, v[9:10]
	v_and_b32_e32 v2, 7, v2
; %bb.1990:                             ;   in Loop: Header=BB444_1478 Depth=1
	s_or_b32 exec_lo, exec_lo, s16
	v_lshlrev_b32_e32 v3, 24, v6
	s_delay_alu instid0(VALU_DEP_2) | instskip(SKIP_1) | instid1(VALU_DEP_3)
	v_lshlrev_b32_e32 v2, 20, v2
	v_lshl_add_u32 v6, v7, 23, 0x3c000000
	v_and_b32_e32 v3, 0x80000000, v3
	s_delay_alu instid0(VALU_DEP_1)
	v_or3_b32 v2, v2, v3, v6
.LBB444_1991:                           ;   in Loop: Header=BB444_1478 Depth=1
	s_or_b32 exec_lo, exec_lo, s15
.LBB444_1992:                           ;   in Loop: Header=BB444_1478 Depth=1
	s_delay_alu instid0(SALU_CYCLE_1)
	s_or_b32 exec_lo, exec_lo, s13
.LBB444_1993:                           ;   in Loop: Header=BB444_1478 Depth=1
	s_delay_alu instid0(SALU_CYCLE_1) | instskip(NEXT) | instid1(VALU_DEP_1)
	s_or_b32 exec_lo, exec_lo, s12
	v_mul_f32_e32 v3, v8, v2
	s_delay_alu instid0(VALU_DEP_1) | instskip(NEXT) | instid1(VALU_DEP_1)
	v_and_b32_e32 v2, 0x7f800000, v3
	v_cmp_ne_u32_e64 s0, 0x7f800000, v2
                                        ; implicit-def: $vgpr2
	s_delay_alu instid0(VALU_DEP_1) | instskip(NEXT) | instid1(SALU_CYCLE_1)
	s_and_saveexec_b32 s12, s0
	s_xor_b32 s0, exec_lo, s12
; %bb.1994:                             ;   in Loop: Header=BB444_1478 Depth=1
	v_bfe_u32 v2, v3, 16, 1
	s_delay_alu instid0(VALU_DEP_1)
	v_add3_u32 v2, v3, v2, 0x7fff
                                        ; implicit-def: $vgpr3
; %bb.1995:                             ;   in Loop: Header=BB444_1478 Depth=1
	s_and_not1_saveexec_b32 s12, s0
; %bb.1996:                             ;   in Loop: Header=BB444_1478 Depth=1
	v_and_b32_e32 v2, 0xffff, v3
	v_or_b32_e32 v6, 0x10000, v3
	s_delay_alu instid0(VALU_DEP_2) | instskip(NEXT) | instid1(VALU_DEP_1)
	v_cmp_eq_u32_e64 s0, 0, v2
	v_cndmask_b32_e64 v2, v6, v3, s0
; %bb.1997:                             ;   in Loop: Header=BB444_1478 Depth=1
	s_or_b32 exec_lo, exec_lo, s12
	v_lshrrev_b32_e32 v6, 16, v149
	v_lshrrev_b32_e32 v7, 16, v39
	;; [unrolled: 1-line block ×8, first 2 shown]
	s_and_saveexec_b32 s12, vcc_lo
	s_cbranch_execz .LBB444_1999
; %bb.1998:                             ;   in Loop: Header=BB444_1478 Depth=1
	v_cmp_lt_i32_e64 s0, v85, v38
	s_delay_alu instid0(VALU_DEP_1) | instskip(SKIP_1) | instid1(VALU_DEP_1)
	v_cndmask_b32_e64 v4, 0, v4, s0
	v_cmp_lt_i32_e64 s0, v100, v38
	v_cndmask_b32_e64 v5, 0, v5, s0
	v_cmp_lt_i32_e64 s0, v99, v38
	s_delay_alu instid0(VALU_DEP_1) | instskip(SKIP_1) | instid1(VALU_DEP_1)
	v_cndmask_b32_e64 v21, 0, v21, s0
	v_cmp_lt_i32_e64 s0, v98, v38
	v_cndmask_b32_e64 v9, 0, v9, s0
	;; [unrolled: 5-line block ×4, first 2 shown]
.LBB444_1999:                           ;   in Loop: Header=BB444_1478 Depth=1
	s_or_b32 exec_lo, exec_lo, s12
	v_lshlrev_b32_e32 v4, 16, v4
                                        ; implicit-def: $vgpr149
	s_delay_alu instid0(VALU_DEP_1) | instskip(NEXT) | instid1(VALU_DEP_1)
	v_mul_f32_e32 v4, v101, v4
	v_and_b32_e32 v37, 0x7f800000, v4
	s_delay_alu instid0(VALU_DEP_1) | instskip(NEXT) | instid1(VALU_DEP_1)
	v_cmp_ne_u32_e64 s0, 0x7f800000, v37
	s_and_saveexec_b32 s12, s0
	s_delay_alu instid0(SALU_CYCLE_1)
	s_xor_b32 s0, exec_lo, s12
; %bb.2000:                             ;   in Loop: Header=BB444_1478 Depth=1
	v_bfe_u32 v37, v4, 16, 1
	s_delay_alu instid0(VALU_DEP_1)
	v_add3_u32 v149, v4, v37, 0x7fff
                                        ; implicit-def: $vgpr4
; %bb.2001:                             ;   in Loop: Header=BB444_1478 Depth=1
	s_and_not1_saveexec_b32 s12, s0
; %bb.2002:                             ;   in Loop: Header=BB444_1478 Depth=1
	v_and_b32_e32 v37, 0xffff, v4
	v_or_b32_e32 v39, 0x10000, v4
	s_delay_alu instid0(VALU_DEP_2) | instskip(NEXT) | instid1(VALU_DEP_1)
	v_cmp_eq_u32_e64 s0, 0, v37
	v_cndmask_b32_e64 v149, v39, v4, s0
; %bb.2003:                             ;   in Loop: Header=BB444_1478 Depth=1
	s_or_b32 exec_lo, exec_lo, s12
	v_lshlrev_b32_e32 v4, 16, v5
                                        ; implicit-def: $vgpr150
	s_delay_alu instid0(VALU_DEP_1) | instskip(NEXT) | instid1(VALU_DEP_1)
	v_mul_f32_e32 v4, v102, v4
	v_and_b32_e32 v5, 0x7f800000, v4
	s_delay_alu instid0(VALU_DEP_1) | instskip(NEXT) | instid1(VALU_DEP_1)
	v_cmp_ne_u32_e64 s0, 0x7f800000, v5
	s_and_saveexec_b32 s12, s0
	s_delay_alu instid0(SALU_CYCLE_1)
	s_xor_b32 s0, exec_lo, s12
; %bb.2004:                             ;   in Loop: Header=BB444_1478 Depth=1
	v_bfe_u32 v5, v4, 16, 1
	s_delay_alu instid0(VALU_DEP_1)
	v_add3_u32 v150, v4, v5, 0x7fff
                                        ; implicit-def: $vgpr4
; %bb.2005:                             ;   in Loop: Header=BB444_1478 Depth=1
	s_and_not1_saveexec_b32 s12, s0
; %bb.2006:                             ;   in Loop: Header=BB444_1478 Depth=1
	v_and_b32_e32 v5, 0xffff, v4
	v_or_b32_e32 v37, 0x10000, v4
	s_delay_alu instid0(VALU_DEP_2) | instskip(NEXT) | instid1(VALU_DEP_1)
	v_cmp_eq_u32_e64 s0, 0, v5
	v_cndmask_b32_e64 v150, v37, v4, s0
; %bb.2007:                             ;   in Loop: Header=BB444_1478 Depth=1
	s_or_b32 exec_lo, exec_lo, s12
	v_lshlrev_b32_e32 v4, 16, v21
                                        ; implicit-def: $vgpr151
	s_delay_alu instid0(VALU_DEP_1) | instskip(NEXT) | instid1(VALU_DEP_1)
	v_mul_f32_e32 v4, v103, v4
	v_and_b32_e32 v5, 0x7f800000, v4
	s_delay_alu instid0(VALU_DEP_1) | instskip(NEXT) | instid1(VALU_DEP_1)
	v_cmp_ne_u32_e64 s0, 0x7f800000, v5
	s_and_saveexec_b32 s12, s0
	s_delay_alu instid0(SALU_CYCLE_1)
	s_xor_b32 s0, exec_lo, s12
; %bb.2008:                             ;   in Loop: Header=BB444_1478 Depth=1
	v_bfe_u32 v5, v4, 16, 1
	s_delay_alu instid0(VALU_DEP_1)
	v_add3_u32 v151, v4, v5, 0x7fff
                                        ; implicit-def: $vgpr4
; %bb.2009:                             ;   in Loop: Header=BB444_1478 Depth=1
	s_and_not1_saveexec_b32 s12, s0
; %bb.2010:                             ;   in Loop: Header=BB444_1478 Depth=1
	v_and_b32_e32 v5, 0xffff, v4
	v_or_b32_e32 v21, 0x10000, v4
	s_delay_alu instid0(VALU_DEP_2) | instskip(NEXT) | instid1(VALU_DEP_1)
	v_cmp_eq_u32_e64 s0, 0, v5
	v_cndmask_b32_e64 v151, v21, v4, s0
; %bb.2011:                             ;   in Loop: Header=BB444_1478 Depth=1
	s_or_b32 exec_lo, exec_lo, s12
	v_lshlrev_b32_e32 v4, 16, v9
                                        ; implicit-def: $vgpr160
	s_delay_alu instid0(VALU_DEP_1) | instskip(NEXT) | instid1(VALU_DEP_1)
	v_mul_f32_e32 v4, v112, v4
	v_and_b32_e32 v5, 0x7f800000, v4
	s_delay_alu instid0(VALU_DEP_1) | instskip(NEXT) | instid1(VALU_DEP_1)
	v_cmp_ne_u32_e64 s0, 0x7f800000, v5
	s_and_saveexec_b32 s12, s0
	s_delay_alu instid0(SALU_CYCLE_1)
	s_xor_b32 s0, exec_lo, s12
; %bb.2012:                             ;   in Loop: Header=BB444_1478 Depth=1
	v_bfe_u32 v5, v4, 16, 1
	s_delay_alu instid0(VALU_DEP_1)
	v_add3_u32 v160, v4, v5, 0x7fff
                                        ; implicit-def: $vgpr4
; %bb.2013:                             ;   in Loop: Header=BB444_1478 Depth=1
	s_and_not1_saveexec_b32 s12, s0
; %bb.2014:                             ;   in Loop: Header=BB444_1478 Depth=1
	v_and_b32_e32 v5, 0xffff, v4
	v_or_b32_e32 v9, 0x10000, v4
	s_delay_alu instid0(VALU_DEP_2) | instskip(NEXT) | instid1(VALU_DEP_1)
	v_cmp_eq_u32_e64 s0, 0, v5
	v_cndmask_b32_e64 v160, v9, v4, s0
; %bb.2015:                             ;   in Loop: Header=BB444_1478 Depth=1
	s_or_b32 exec_lo, exec_lo, s12
	v_lshlrev_b32_e32 v4, 16, v7
                                        ; implicit-def: $vgpr161
	s_delay_alu instid0(VALU_DEP_1) | instskip(NEXT) | instid1(VALU_DEP_1)
	v_mul_f32_e32 v4, v113, v4
	v_and_b32_e32 v5, 0x7f800000, v4
	s_delay_alu instid0(VALU_DEP_1) | instskip(NEXT) | instid1(VALU_DEP_1)
	v_cmp_ne_u32_e64 s0, 0x7f800000, v5
	s_and_saveexec_b32 s12, s0
	s_delay_alu instid0(SALU_CYCLE_1)
	s_xor_b32 s0, exec_lo, s12
; %bb.2016:                             ;   in Loop: Header=BB444_1478 Depth=1
	v_bfe_u32 v5, v4, 16, 1
	s_delay_alu instid0(VALU_DEP_1)
	v_add3_u32 v161, v4, v5, 0x7fff
                                        ; implicit-def: $vgpr4
; %bb.2017:                             ;   in Loop: Header=BB444_1478 Depth=1
	s_and_not1_saveexec_b32 s12, s0
; %bb.2018:                             ;   in Loop: Header=BB444_1478 Depth=1
	v_and_b32_e32 v5, 0xffff, v4
	v_or_b32_e32 v7, 0x10000, v4
	s_delay_alu instid0(VALU_DEP_2) | instskip(NEXT) | instid1(VALU_DEP_1)
	v_cmp_eq_u32_e64 s0, 0, v5
	v_cndmask_b32_e64 v161, v7, v4, s0
; %bb.2019:                             ;   in Loop: Header=BB444_1478 Depth=1
	s_or_b32 exec_lo, exec_lo, s12
	v_lshlrev_b32_e32 v4, 16, v6
                                        ; implicit-def: $vgpr162
	s_delay_alu instid0(VALU_DEP_1) | instskip(NEXT) | instid1(VALU_DEP_1)
	v_mul_f32_e32 v4, v114, v4
	v_and_b32_e32 v5, 0x7f800000, v4
	s_delay_alu instid0(VALU_DEP_1) | instskip(NEXT) | instid1(VALU_DEP_1)
	v_cmp_ne_u32_e64 s0, 0x7f800000, v5
	s_and_saveexec_b32 s12, s0
	s_delay_alu instid0(SALU_CYCLE_1)
	s_xor_b32 s0, exec_lo, s12
; %bb.2020:                             ;   in Loop: Header=BB444_1478 Depth=1
	v_bfe_u32 v5, v4, 16, 1
	s_delay_alu instid0(VALU_DEP_1)
	v_add3_u32 v162, v4, v5, 0x7fff
                                        ; implicit-def: $vgpr4
; %bb.2021:                             ;   in Loop: Header=BB444_1478 Depth=1
	s_and_not1_saveexec_b32 s12, s0
; %bb.2022:                             ;   in Loop: Header=BB444_1478 Depth=1
	v_and_b32_e32 v5, 0xffff, v4
	v_or_b32_e32 v6, 0x10000, v4
	s_delay_alu instid0(VALU_DEP_2) | instskip(NEXT) | instid1(VALU_DEP_1)
	v_cmp_eq_u32_e64 s0, 0, v5
	v_cndmask_b32_e64 v162, v6, v4, s0
; %bb.2023:                             ;   in Loop: Header=BB444_1478 Depth=1
	s_or_b32 exec_lo, exec_lo, s12
	v_lshlrev_b32_e32 v3, 16, v3
                                        ; implicit-def: $vgpr163
	s_delay_alu instid0(VALU_DEP_1) | instskip(NEXT) | instid1(VALU_DEP_1)
	v_mul_f32_e32 v3, v115, v3
	v_and_b32_e32 v4, 0x7f800000, v3
	s_delay_alu instid0(VALU_DEP_1) | instskip(NEXT) | instid1(VALU_DEP_1)
	v_cmp_ne_u32_e64 s0, 0x7f800000, v4
	s_and_saveexec_b32 s12, s0
	s_delay_alu instid0(SALU_CYCLE_1)
	s_xor_b32 s0, exec_lo, s12
; %bb.2024:                             ;   in Loop: Header=BB444_1478 Depth=1
	v_bfe_u32 v4, v3, 16, 1
	s_delay_alu instid0(VALU_DEP_1)
	v_add3_u32 v163, v3, v4, 0x7fff
                                        ; implicit-def: $vgpr3
; %bb.2025:                             ;   in Loop: Header=BB444_1478 Depth=1
	s_and_not1_saveexec_b32 s12, s0
; %bb.2026:                             ;   in Loop: Header=BB444_1478 Depth=1
	v_and_b32_e32 v4, 0xffff, v3
	v_or_b32_e32 v5, 0x10000, v3
	s_delay_alu instid0(VALU_DEP_2) | instskip(NEXT) | instid1(VALU_DEP_1)
	v_cmp_eq_u32_e64 s0, 0, v4
	v_cndmask_b32_e64 v163, v5, v3, s0
; %bb.2027:                             ;   in Loop: Header=BB444_1478 Depth=1
	s_or_b32 exec_lo, exec_lo, s12
	v_lshlrev_b32_e32 v2, 16, v2
                                        ; implicit-def: $vgpr164
	s_delay_alu instid0(VALU_DEP_1) | instskip(NEXT) | instid1(VALU_DEP_1)
	v_mul_f32_e32 v2, v116, v2
	v_and_b32_e32 v3, 0x7f800000, v2
	s_delay_alu instid0(VALU_DEP_1) | instskip(NEXT) | instid1(VALU_DEP_1)
	v_cmp_ne_u32_e64 s0, 0x7f800000, v3
	s_and_saveexec_b32 s12, s0
	s_delay_alu instid0(SALU_CYCLE_1)
	s_xor_b32 s0, exec_lo, s12
; %bb.2028:                             ;   in Loop: Header=BB444_1478 Depth=1
	v_bfe_u32 v3, v2, 16, 1
	s_delay_alu instid0(VALU_DEP_1)
	v_add3_u32 v164, v2, v3, 0x7fff
                                        ; implicit-def: $vgpr2
; %bb.2029:                             ;   in Loop: Header=BB444_1478 Depth=1
	s_and_not1_saveexec_b32 s12, s0
; %bb.2030:                             ;   in Loop: Header=BB444_1478 Depth=1
	v_and_b32_e32 v3, 0xffff, v2
	v_or_b32_e32 v4, 0x10000, v2
	s_delay_alu instid0(VALU_DEP_2) | instskip(NEXT) | instid1(VALU_DEP_1)
	v_cmp_eq_u32_e64 s0, 0, v3
	v_cndmask_b32_e64 v164, v4, v2, s0
; %bb.2031:                             ;   in Loop: Header=BB444_1478 Depth=1
	s_or_b32 exec_lo, exec_lo, s12
	flat_load_b64 v[2:3], v[0:1] offset:1024
	s_mov_b32 s12, exec_lo
	s_waitcnt vmcnt(0) lgkmcnt(0)
	v_dual_mov_b32 v4, 0 :: v_dual_and_b32 v5, 0xff, v2
	s_delay_alu instid0(VALU_DEP_1)
	v_cmpx_ne_u16_e32 0, v5
	s_cbranch_execz .LBB444_2039
; %bb.2032:                             ;   in Loop: Header=BB444_1478 Depth=1
	v_bfrev_b32_e32 v4, 1
	s_mov_b32 s13, exec_lo
	v_cmpx_ne_u16_e32 0x80, v5
	s_cbranch_execz .LBB444_2038
; %bb.2033:                             ;   in Loop: Header=BB444_1478 Depth=1
	v_and_b32_e32 v5, 0x7f, v2
	v_mov_b32_e32 v4, 0x7f800001
	s_mov_b32 s15, exec_lo
	s_delay_alu instid0(VALU_DEP_2)
	v_cmpx_ne_u32_e32 0x7f, v5
	s_cbranch_execz .LBB444_2037
; %bb.2034:                             ;   in Loop: Header=BB444_1478 Depth=1
	v_lshrrev_b32_e32 v4, 3, v5
	v_dual_mov_b32 v7, v3 :: v_dual_mov_b32 v6, v2
	s_mov_b32 s16, exec_lo
	v_cmpx_gt_u32_e32 8, v5
; %bb.2035:                             ;   in Loop: Header=BB444_1478 Depth=1
	v_and_b32_e32 v4, 7, v2
	s_delay_alu instid0(VALU_DEP_1) | instskip(NEXT) | instid1(VALU_DEP_1)
	v_clz_i32_u32_e32 v4, v4
	v_min_u32_e32 v4, 32, v4
	s_delay_alu instid0(VALU_DEP_1) | instskip(SKIP_1) | instid1(VALU_DEP_2)
	v_subrev_nc_u32_e32 v5, 28, v4
	v_sub_nc_u32_e32 v4, 29, v4
	v_lshlrev_b64 v[6:7], v5, v[2:3]
; %bb.2036:                             ;   in Loop: Header=BB444_1478 Depth=1
	s_or_b32 exec_lo, exec_lo, s16
	s_delay_alu instid0(VALU_DEP_1) | instskip(SKIP_2) | instid1(VALU_DEP_3)
	v_lshlrev_b32_e32 v5, 20, v6
	v_lshlrev_b32_e32 v6, 24, v2
	v_lshl_add_u32 v4, v4, 23, 0x3c000000
	v_and_b32_e32 v5, 0x700000, v5
	s_delay_alu instid0(VALU_DEP_3) | instskip(NEXT) | instid1(VALU_DEP_1)
	v_and_b32_e32 v6, 0x80000000, v6
	v_or3_b32 v4, v5, v6, v4
.LBB444_2037:                           ;   in Loop: Header=BB444_1478 Depth=1
	s_or_b32 exec_lo, exec_lo, s15
.LBB444_2038:                           ;   in Loop: Header=BB444_1478 Depth=1
	s_delay_alu instid0(SALU_CYCLE_1)
	s_or_b32 exec_lo, exec_lo, s13
.LBB444_2039:                           ;   in Loop: Header=BB444_1478 Depth=1
	s_delay_alu instid0(SALU_CYCLE_1) | instskip(NEXT) | instid1(VALU_DEP_1)
	s_or_b32 exec_lo, exec_lo, s12
	v_mul_f32_e32 v5, v8, v4
	s_delay_alu instid0(VALU_DEP_1) | instskip(NEXT) | instid1(VALU_DEP_1)
	v_and_b32_e32 v4, 0x7f800000, v5
	v_cmp_ne_u32_e64 s0, 0x7f800000, v4
                                        ; implicit-def: $vgpr4
	s_delay_alu instid0(VALU_DEP_1) | instskip(NEXT) | instid1(SALU_CYCLE_1)
	s_and_saveexec_b32 s12, s0
	s_xor_b32 s0, exec_lo, s12
; %bb.2040:                             ;   in Loop: Header=BB444_1478 Depth=1
	v_bfe_u32 v4, v5, 16, 1
	s_delay_alu instid0(VALU_DEP_1)
	v_add3_u32 v4, v5, v4, 0x7fff
                                        ; implicit-def: $vgpr5
; %bb.2041:                             ;   in Loop: Header=BB444_1478 Depth=1
	s_and_not1_saveexec_b32 s12, s0
; %bb.2042:                             ;   in Loop: Header=BB444_1478 Depth=1
	v_and_b32_e32 v4, 0xffff, v5
	v_or_b32_e32 v6, 0x10000, v5
	s_delay_alu instid0(VALU_DEP_2) | instskip(NEXT) | instid1(VALU_DEP_1)
	v_cmp_eq_u32_e64 s0, 0, v4
	v_cndmask_b32_e64 v4, v6, v5, s0
; %bb.2043:                             ;   in Loop: Header=BB444_1478 Depth=1
	s_or_b32 exec_lo, exec_lo, s12
	v_lshrrev_b16 v6, 8, v2
	v_mov_b32_e32 v5, 0
	s_mov_b32 s12, exec_lo
	s_delay_alu instid0(VALU_DEP_2)
	v_cmpx_ne_u16_e32 0, v6
	s_cbranch_execz .LBB444_2051
; %bb.2044:                             ;   in Loop: Header=BB444_1478 Depth=1
	v_bfrev_b32_e32 v5, 1
	s_mov_b32 s13, exec_lo
	v_cmpx_ne_u16_e32 0x80, v6
	s_cbranch_execz .LBB444_2050
; %bb.2045:                             ;   in Loop: Header=BB444_1478 Depth=1
	v_and_b32_e32 v7, 0xffff, v6
	v_mov_b32_e32 v5, 0x7f800001
	s_mov_b32 s15, exec_lo
	s_delay_alu instid0(VALU_DEP_2) | instskip(NEXT) | instid1(VALU_DEP_1)
	v_and_b32_e32 v6, 0x7f, v7
	v_cmpx_ne_u32_e32 0x7f, v6
	s_cbranch_execz .LBB444_2049
; %bb.2046:                             ;   in Loop: Header=BB444_1478 Depth=1
	v_and_b32_e32 v9, 7, v7
	v_lshrrev_b32_e32 v5, 3, v6
	v_cmp_gt_u32_e64 s0, 8, v6
	s_delay_alu instid0(VALU_DEP_3) | instskip(NEXT) | instid1(VALU_DEP_2)
	v_dual_mov_b32 v6, v9 :: v_dual_mov_b32 v7, v10
	s_and_saveexec_b32 s16, s0
; %bb.2047:                             ;   in Loop: Header=BB444_1478 Depth=1
	v_clz_i32_u32_e32 v5, v9
	s_delay_alu instid0(VALU_DEP_1) | instskip(NEXT) | instid1(VALU_DEP_1)
	v_min_u32_e32 v5, 32, v5
	v_subrev_nc_u32_e32 v6, 28, v5
	v_sub_nc_u32_e32 v5, 29, v5
	s_delay_alu instid0(VALU_DEP_2) | instskip(NEXT) | instid1(VALU_DEP_1)
	v_lshlrev_b64 v[6:7], v6, v[9:10]
	v_and_b32_e32 v6, 7, v6
; %bb.2048:                             ;   in Loop: Header=BB444_1478 Depth=1
	s_or_b32 exec_lo, exec_lo, s16
	v_lshlrev_b32_e32 v7, 16, v2
	s_delay_alu instid0(VALU_DEP_2) | instskip(SKIP_1) | instid1(VALU_DEP_3)
	v_lshlrev_b32_e32 v6, 20, v6
	v_lshl_add_u32 v5, v5, 23, 0x3c000000
	v_and_b32_e32 v7, 0x80000000, v7
	s_delay_alu instid0(VALU_DEP_1)
	v_or3_b32 v5, v6, v7, v5
.LBB444_2049:                           ;   in Loop: Header=BB444_1478 Depth=1
	s_or_b32 exec_lo, exec_lo, s15
.LBB444_2050:                           ;   in Loop: Header=BB444_1478 Depth=1
	s_delay_alu instid0(SALU_CYCLE_1)
	s_or_b32 exec_lo, exec_lo, s13
.LBB444_2051:                           ;   in Loop: Header=BB444_1478 Depth=1
	s_delay_alu instid0(SALU_CYCLE_1) | instskip(NEXT) | instid1(VALU_DEP_1)
	s_or_b32 exec_lo, exec_lo, s12
	v_mul_f32_e32 v6, v8, v5
	s_delay_alu instid0(VALU_DEP_1) | instskip(NEXT) | instid1(VALU_DEP_1)
	v_and_b32_e32 v5, 0x7f800000, v6
	v_cmp_ne_u32_e64 s0, 0x7f800000, v5
                                        ; implicit-def: $vgpr5
	s_delay_alu instid0(VALU_DEP_1) | instskip(NEXT) | instid1(SALU_CYCLE_1)
	s_and_saveexec_b32 s12, s0
	s_xor_b32 s0, exec_lo, s12
; %bb.2052:                             ;   in Loop: Header=BB444_1478 Depth=1
	v_bfe_u32 v5, v6, 16, 1
	s_delay_alu instid0(VALU_DEP_1)
	v_add3_u32 v5, v6, v5, 0x7fff
                                        ; implicit-def: $vgpr6
; %bb.2053:                             ;   in Loop: Header=BB444_1478 Depth=1
	s_and_not1_saveexec_b32 s12, s0
; %bb.2054:                             ;   in Loop: Header=BB444_1478 Depth=1
	v_and_b32_e32 v5, 0xffff, v6
	v_or_b32_e32 v7, 0x10000, v6
	s_delay_alu instid0(VALU_DEP_2) | instskip(NEXT) | instid1(VALU_DEP_1)
	v_cmp_eq_u32_e64 s0, 0, v5
	v_cndmask_b32_e64 v5, v7, v6, s0
; %bb.2055:                             ;   in Loop: Header=BB444_1478 Depth=1
	s_or_b32 exec_lo, exec_lo, s12
	v_lshrrev_b32_e32 v21, 16, v2
	s_mov_b32 s12, exec_lo
	s_delay_alu instid0(VALU_DEP_1) | instskip(NEXT) | instid1(VALU_DEP_1)
	v_dual_mov_b32 v6, 0 :: v_dual_and_b32 v7, 0xff, v21
	v_cmpx_ne_u16_e32 0, v7
	s_cbranch_execz .LBB444_2063
; %bb.2056:                             ;   in Loop: Header=BB444_1478 Depth=1
	v_bfrev_b32_e32 v6, 1
	s_mov_b32 s13, exec_lo
	v_cmpx_ne_u16_e32 0x80, v7
	s_cbranch_execz .LBB444_2062
; %bb.2057:                             ;   in Loop: Header=BB444_1478 Depth=1
	v_bfe_u32 v7, v2, 16, 7
	v_mov_b32_e32 v6, 0x7f800001
	s_mov_b32 s15, exec_lo
	s_delay_alu instid0(VALU_DEP_2)
	v_cmpx_ne_u32_e32 0x7f, v7
	s_cbranch_execz .LBB444_2061
; %bb.2058:                             ;   in Loop: Header=BB444_1478 Depth=1
	v_and_b32_e32 v9, 7, v21
	v_lshrrev_b32_e32 v37, 3, v7
	v_cmp_gt_u32_e64 s0, 8, v7
	s_delay_alu instid0(VALU_DEP_3) | instskip(NEXT) | instid1(VALU_DEP_2)
	v_dual_mov_b32 v6, v9 :: v_dual_mov_b32 v7, v10
	s_and_saveexec_b32 s16, s0
; %bb.2059:                             ;   in Loop: Header=BB444_1478 Depth=1
	v_clz_i32_u32_e32 v6, v9
	s_delay_alu instid0(VALU_DEP_1) | instskip(NEXT) | instid1(VALU_DEP_1)
	v_min_u32_e32 v37, 32, v6
	v_subrev_nc_u32_e32 v6, 28, v37
	v_sub_nc_u32_e32 v37, 29, v37
	s_delay_alu instid0(VALU_DEP_2) | instskip(NEXT) | instid1(VALU_DEP_1)
	v_lshlrev_b64 v[6:7], v6, v[9:10]
	v_and_b32_e32 v6, 7, v6
; %bb.2060:                             ;   in Loop: Header=BB444_1478 Depth=1
	s_or_b32 exec_lo, exec_lo, s16
	v_lshlrev_b32_e32 v7, 24, v21
	s_delay_alu instid0(VALU_DEP_2) | instskip(SKIP_1) | instid1(VALU_DEP_3)
	v_lshlrev_b32_e32 v6, 20, v6
	v_lshl_add_u32 v9, v37, 23, 0x3c000000
	v_and_b32_e32 v7, 0x80000000, v7
	s_delay_alu instid0(VALU_DEP_1)
	v_or3_b32 v6, v6, v7, v9
.LBB444_2061:                           ;   in Loop: Header=BB444_1478 Depth=1
	s_or_b32 exec_lo, exec_lo, s15
.LBB444_2062:                           ;   in Loop: Header=BB444_1478 Depth=1
	s_delay_alu instid0(SALU_CYCLE_1)
	s_or_b32 exec_lo, exec_lo, s13
.LBB444_2063:                           ;   in Loop: Header=BB444_1478 Depth=1
	s_delay_alu instid0(SALU_CYCLE_1) | instskip(NEXT) | instid1(VALU_DEP_1)
	s_or_b32 exec_lo, exec_lo, s12
	v_mul_f32_e32 v6, v8, v6
                                        ; implicit-def: $vgpr21
	s_delay_alu instid0(VALU_DEP_1) | instskip(NEXT) | instid1(VALU_DEP_1)
	v_and_b32_e32 v7, 0x7f800000, v6
	v_cmp_ne_u32_e64 s0, 0x7f800000, v7
	s_delay_alu instid0(VALU_DEP_1) | instskip(NEXT) | instid1(SALU_CYCLE_1)
	s_and_saveexec_b32 s12, s0
	s_xor_b32 s0, exec_lo, s12
; %bb.2064:                             ;   in Loop: Header=BB444_1478 Depth=1
	v_bfe_u32 v7, v6, 16, 1
	s_delay_alu instid0(VALU_DEP_1)
	v_add3_u32 v21, v6, v7, 0x7fff
                                        ; implicit-def: $vgpr6
; %bb.2065:                             ;   in Loop: Header=BB444_1478 Depth=1
	s_and_not1_saveexec_b32 s12, s0
; %bb.2066:                             ;   in Loop: Header=BB444_1478 Depth=1
	v_and_b32_e32 v7, 0xffff, v6
	v_or_b32_e32 v9, 0x10000, v6
	s_delay_alu instid0(VALU_DEP_2) | instskip(NEXT) | instid1(VALU_DEP_1)
	v_cmp_eq_u32_e64 s0, 0, v7
	v_cndmask_b32_e64 v21, v9, v6, s0
; %bb.2067:                             ;   in Loop: Header=BB444_1478 Depth=1
	s_or_b32 exec_lo, exec_lo, s12
	v_mov_b32_e32 v6, 0
	s_mov_b32 s12, exec_lo
	v_cmpx_lt_u32_e32 0xffffff, v2
	s_cbranch_execz .LBB444_2075
; %bb.2068:                             ;   in Loop: Header=BB444_1478 Depth=1
	v_lshrrev_b32_e32 v37, 24, v2
	v_bfrev_b32_e32 v6, 1
	s_mov_b32 s13, exec_lo
	s_delay_alu instid0(VALU_DEP_2)
	v_cmpx_ne_u32_e32 0x80, v37
	s_cbranch_execz .LBB444_2074
; %bb.2069:                             ;   in Loop: Header=BB444_1478 Depth=1
	v_bfe_u32 v7, v2, 24, 7
	v_mov_b32_e32 v6, 0x7f800001
	s_mov_b32 s15, exec_lo
	s_delay_alu instid0(VALU_DEP_2)
	v_cmpx_ne_u32_e32 0x7f, v7
	s_cbranch_execz .LBB444_2073
; %bb.2070:                             ;   in Loop: Header=BB444_1478 Depth=1
	v_and_b32_e32 v9, 7, v37
	v_lshrrev_b32_e32 v39, 3, v7
	v_cmp_gt_u32_e64 s0, 8, v7
	s_delay_alu instid0(VALU_DEP_3) | instskip(NEXT) | instid1(VALU_DEP_2)
	v_dual_mov_b32 v6, v9 :: v_dual_mov_b32 v7, v10
	s_and_saveexec_b32 s16, s0
; %bb.2071:                             ;   in Loop: Header=BB444_1478 Depth=1
	v_clz_i32_u32_e32 v6, v9
	s_delay_alu instid0(VALU_DEP_1) | instskip(NEXT) | instid1(VALU_DEP_1)
	v_min_u32_e32 v39, 32, v6
	v_subrev_nc_u32_e32 v6, 28, v39
	v_sub_nc_u32_e32 v39, 29, v39
	s_delay_alu instid0(VALU_DEP_2) | instskip(NEXT) | instid1(VALU_DEP_1)
	v_lshlrev_b64 v[6:7], v6, v[9:10]
	v_and_b32_e32 v6, 7, v6
; %bb.2072:                             ;   in Loop: Header=BB444_1478 Depth=1
	s_or_b32 exec_lo, exec_lo, s16
	v_lshlrev_b32_e32 v7, 24, v37
	s_delay_alu instid0(VALU_DEP_2) | instskip(SKIP_1) | instid1(VALU_DEP_3)
	v_lshlrev_b32_e32 v6, 20, v6
	v_lshl_add_u32 v9, v39, 23, 0x3c000000
	v_and_b32_e32 v7, 0x80000000, v7
	s_delay_alu instid0(VALU_DEP_1)
	v_or3_b32 v6, v6, v7, v9
.LBB444_2073:                           ;   in Loop: Header=BB444_1478 Depth=1
	s_or_b32 exec_lo, exec_lo, s15
.LBB444_2074:                           ;   in Loop: Header=BB444_1478 Depth=1
	s_delay_alu instid0(SALU_CYCLE_1)
	s_or_b32 exec_lo, exec_lo, s13
.LBB444_2075:                           ;   in Loop: Header=BB444_1478 Depth=1
	s_delay_alu instid0(SALU_CYCLE_1) | instskip(NEXT) | instid1(VALU_DEP_1)
	s_or_b32 exec_lo, exec_lo, s12
	v_mul_f32_e32 v6, v8, v6
                                        ; implicit-def: $vgpr37
	s_delay_alu instid0(VALU_DEP_1) | instskip(NEXT) | instid1(VALU_DEP_1)
	v_and_b32_e32 v7, 0x7f800000, v6
	v_cmp_ne_u32_e64 s0, 0x7f800000, v7
	s_delay_alu instid0(VALU_DEP_1) | instskip(NEXT) | instid1(SALU_CYCLE_1)
	s_and_saveexec_b32 s12, s0
	s_xor_b32 s0, exec_lo, s12
; %bb.2076:                             ;   in Loop: Header=BB444_1478 Depth=1
	v_bfe_u32 v7, v6, 16, 1
	s_delay_alu instid0(VALU_DEP_1)
	v_add3_u32 v37, v6, v7, 0x7fff
                                        ; implicit-def: $vgpr6
; %bb.2077:                             ;   in Loop: Header=BB444_1478 Depth=1
	s_and_not1_saveexec_b32 s12, s0
; %bb.2078:                             ;   in Loop: Header=BB444_1478 Depth=1
	v_and_b32_e32 v7, 0xffff, v6
	v_or_b32_e32 v9, 0x10000, v6
	s_delay_alu instid0(VALU_DEP_2) | instskip(NEXT) | instid1(VALU_DEP_1)
	v_cmp_eq_u32_e64 s0, 0, v7
	v_cndmask_b32_e64 v37, v9, v6, s0
; %bb.2079:                             ;   in Loop: Header=BB444_1478 Depth=1
	s_or_b32 exec_lo, exec_lo, s12
	v_dual_mov_b32 v6, 0 :: v_dual_and_b32 v7, 0xff, v3
	v_mov_b32_e32 v9, v3
	s_mov_b32 s12, exec_lo
	s_delay_alu instid0(VALU_DEP_2)
	v_cmpx_ne_u16_e32 0, v7
	s_cbranch_execz .LBB444_2087
; %bb.2080:                             ;   in Loop: Header=BB444_1478 Depth=1
	v_bfrev_b32_e32 v6, 1
	s_mov_b32 s13, exec_lo
	v_cmpx_ne_u16_e32 0x80, v7
	s_cbranch_execz .LBB444_2086
; %bb.2081:                             ;   in Loop: Header=BB444_1478 Depth=1
	v_and_b32_e32 v7, 0x7f, v3
	v_mov_b32_e32 v6, 0x7f800001
	s_mov_b32 s15, exec_lo
	s_delay_alu instid0(VALU_DEP_2)
	v_cmpx_ne_u32_e32 0x7f, v7
	s_cbranch_execz .LBB444_2085
; %bb.2082:                             ;   in Loop: Header=BB444_1478 Depth=1
	v_lshrrev_b32_e32 v39, 3, v7
	v_cmp_gt_u32_e64 s0, 8, v7
	v_dual_mov_b32 v6, v9 :: v_dual_mov_b32 v7, v10
	s_delay_alu instid0(VALU_DEP_2)
	s_and_saveexec_b32 s16, s0
; %bb.2083:                             ;   in Loop: Header=BB444_1478 Depth=1
	v_and_b32_e32 v6, 7, v3
	s_delay_alu instid0(VALU_DEP_1) | instskip(NEXT) | instid1(VALU_DEP_1)
	v_clz_i32_u32_e32 v6, v6
	v_min_u32_e32 v39, 32, v6
	s_delay_alu instid0(VALU_DEP_1) | instskip(SKIP_1) | instid1(VALU_DEP_2)
	v_subrev_nc_u32_e32 v6, 28, v39
	v_sub_nc_u32_e32 v39, 29, v39
	v_lshlrev_b64 v[6:7], v6, v[9:10]
; %bb.2084:                             ;   in Loop: Header=BB444_1478 Depth=1
	s_or_b32 exec_lo, exec_lo, s16
	s_delay_alu instid0(VALU_DEP_1) | instskip(SKIP_2) | instid1(VALU_DEP_3)
	v_lshlrev_b32_e32 v6, 20, v6
	v_lshlrev_b32_e32 v7, 24, v9
	v_lshl_add_u32 v39, v39, 23, 0x3c000000
	v_and_b32_e32 v6, 0x700000, v6
	s_delay_alu instid0(VALU_DEP_3) | instskip(NEXT) | instid1(VALU_DEP_1)
	v_and_b32_e32 v7, 0x80000000, v7
	v_or3_b32 v6, v6, v7, v39
.LBB444_2085:                           ;   in Loop: Header=BB444_1478 Depth=1
	s_or_b32 exec_lo, exec_lo, s15
.LBB444_2086:                           ;   in Loop: Header=BB444_1478 Depth=1
	s_delay_alu instid0(SALU_CYCLE_1)
	s_or_b32 exec_lo, exec_lo, s13
.LBB444_2087:                           ;   in Loop: Header=BB444_1478 Depth=1
	s_delay_alu instid0(SALU_CYCLE_1) | instskip(NEXT) | instid1(VALU_DEP_1)
	s_or_b32 exec_lo, exec_lo, s12
	v_mul_f32_e32 v6, v8, v6
                                        ; implicit-def: $vgpr39
	s_delay_alu instid0(VALU_DEP_1) | instskip(NEXT) | instid1(VALU_DEP_1)
	v_and_b32_e32 v7, 0x7f800000, v6
	v_cmp_ne_u32_e64 s0, 0x7f800000, v7
	s_delay_alu instid0(VALU_DEP_1) | instskip(NEXT) | instid1(SALU_CYCLE_1)
	s_and_saveexec_b32 s12, s0
	s_xor_b32 s0, exec_lo, s12
; %bb.2088:                             ;   in Loop: Header=BB444_1478 Depth=1
	v_bfe_u32 v7, v6, 16, 1
	s_delay_alu instid0(VALU_DEP_1)
	v_add3_u32 v39, v6, v7, 0x7fff
                                        ; implicit-def: $vgpr6
; %bb.2089:                             ;   in Loop: Header=BB444_1478 Depth=1
	s_and_not1_saveexec_b32 s12, s0
; %bb.2090:                             ;   in Loop: Header=BB444_1478 Depth=1
	v_and_b32_e32 v7, 0xffff, v6
	v_or_b32_e32 v39, 0x10000, v6
	s_delay_alu instid0(VALU_DEP_2) | instskip(NEXT) | instid1(VALU_DEP_1)
	v_cmp_eq_u32_e64 s0, 0, v7
	v_cndmask_b32_e64 v39, v39, v6, s0
; %bb.2091:                             ;   in Loop: Header=BB444_1478 Depth=1
	s_or_b32 exec_lo, exec_lo, s12
	v_lshrrev_b16 v7, 8, v9
	v_mov_b32_e32 v6, 0
	s_mov_b32 s12, exec_lo
	s_delay_alu instid0(VALU_DEP_2)
	v_cmpx_ne_u16_e32 0, v7
	s_cbranch_execz .LBB444_2099
; %bb.2092:                             ;   in Loop: Header=BB444_1478 Depth=1
	v_bfrev_b32_e32 v6, 1
	s_mov_b32 s13, exec_lo
	v_cmpx_ne_u16_e32 0x80, v7
	s_cbranch_execz .LBB444_2098
; %bb.2093:                             ;   in Loop: Header=BB444_1478 Depth=1
	v_and_b32_e32 v7, 0xffff, v7
	v_mov_b32_e32 v6, 0x7f800001
	s_mov_b32 s15, exec_lo
	s_delay_alu instid0(VALU_DEP_2) | instskip(NEXT) | instid1(VALU_DEP_1)
	v_and_b32_e32 v166, 0x7f, v7
	v_cmpx_ne_u32_e32 0x7f, v166
	s_cbranch_execz .LBB444_2097
; %bb.2094:                             ;   in Loop: Header=BB444_1478 Depth=1
	v_dual_mov_b32 v7, v10 :: v_dual_and_b32 v6, 7, v7
	v_lshrrev_b32_e32 v165, 3, v166
	s_mov_b32 s16, exec_lo
	v_cmpx_gt_u32_e32 8, v166
; %bb.2095:                             ;   in Loop: Header=BB444_1478 Depth=1
	s_delay_alu instid0(VALU_DEP_3) | instskip(NEXT) | instid1(VALU_DEP_1)
	v_clz_i32_u32_e32 v165, v6
	v_min_u32_e32 v165, 32, v165
	s_delay_alu instid0(VALU_DEP_1) | instskip(SKIP_1) | instid1(VALU_DEP_2)
	v_subrev_nc_u32_e32 v166, 28, v165
	v_sub_nc_u32_e32 v165, 29, v165
	v_lshlrev_b64 v[6:7], v166, v[6:7]
	s_delay_alu instid0(VALU_DEP_1)
	v_and_b32_e32 v6, 7, v6
; %bb.2096:                             ;   in Loop: Header=BB444_1478 Depth=1
	s_or_b32 exec_lo, exec_lo, s16
	v_lshlrev_b32_e32 v7, 16, v9
	s_delay_alu instid0(VALU_DEP_2) | instskip(SKIP_1) | instid1(VALU_DEP_3)
	v_lshlrev_b32_e32 v6, 20, v6
	v_lshl_add_u32 v9, v165, 23, 0x3c000000
	v_and_b32_e32 v7, 0x80000000, v7
	s_delay_alu instid0(VALU_DEP_1)
	v_or3_b32 v6, v6, v7, v9
.LBB444_2097:                           ;   in Loop: Header=BB444_1478 Depth=1
	s_or_b32 exec_lo, exec_lo, s15
.LBB444_2098:                           ;   in Loop: Header=BB444_1478 Depth=1
	s_delay_alu instid0(SALU_CYCLE_1)
	s_or_b32 exec_lo, exec_lo, s13
.LBB444_2099:                           ;   in Loop: Header=BB444_1478 Depth=1
	s_delay_alu instid0(SALU_CYCLE_1) | instskip(NEXT) | instid1(VALU_DEP_1)
	s_or_b32 exec_lo, exec_lo, s12
	v_mul_f32_e32 v6, v8, v6
                                        ; implicit-def: $vgpr165
	s_delay_alu instid0(VALU_DEP_1) | instskip(NEXT) | instid1(VALU_DEP_1)
	v_and_b32_e32 v7, 0x7f800000, v6
	v_cmp_ne_u32_e64 s0, 0x7f800000, v7
	s_delay_alu instid0(VALU_DEP_1) | instskip(NEXT) | instid1(SALU_CYCLE_1)
	s_and_saveexec_b32 s12, s0
	s_xor_b32 s0, exec_lo, s12
; %bb.2100:                             ;   in Loop: Header=BB444_1478 Depth=1
	v_bfe_u32 v7, v6, 16, 1
	s_delay_alu instid0(VALU_DEP_1)
	v_add3_u32 v165, v6, v7, 0x7fff
                                        ; implicit-def: $vgpr6
; %bb.2101:                             ;   in Loop: Header=BB444_1478 Depth=1
	s_and_not1_saveexec_b32 s12, s0
; %bb.2102:                             ;   in Loop: Header=BB444_1478 Depth=1
	v_and_b32_e32 v7, 0xffff, v6
	v_or_b32_e32 v9, 0x10000, v6
	s_delay_alu instid0(VALU_DEP_2) | instskip(NEXT) | instid1(VALU_DEP_1)
	v_cmp_eq_u32_e64 s0, 0, v7
	v_cndmask_b32_e64 v165, v9, v6, s0
; %bb.2103:                             ;   in Loop: Header=BB444_1478 Depth=1
	s_or_b32 exec_lo, exec_lo, s12
	v_lshrrev_b32_e32 v166, 16, v3
	s_mov_b32 s12, exec_lo
	s_delay_alu instid0(VALU_DEP_1) | instskip(NEXT) | instid1(VALU_DEP_1)
	v_dual_mov_b32 v6, 0 :: v_dual_and_b32 v7, 0xff, v166
	v_cmpx_ne_u16_e32 0, v7
	s_cbranch_execz .LBB444_2111
; %bb.2104:                             ;   in Loop: Header=BB444_1478 Depth=1
	v_bfrev_b32_e32 v6, 1
	s_mov_b32 s13, exec_lo
	v_cmpx_ne_u16_e32 0x80, v7
	s_cbranch_execz .LBB444_2110
; %bb.2105:                             ;   in Loop: Header=BB444_1478 Depth=1
	v_bfe_u32 v7, v3, 16, 7
	v_mov_b32_e32 v6, 0x7f800001
	s_mov_b32 s15, exec_lo
	s_delay_alu instid0(VALU_DEP_2)
	v_cmpx_ne_u32_e32 0x7f, v7
	s_cbranch_execz .LBB444_2109
; %bb.2106:                             ;   in Loop: Header=BB444_1478 Depth=1
	v_and_b32_e32 v9, 7, v166
	v_lshrrev_b32_e32 v167, 3, v7
	v_cmp_gt_u32_e64 s0, 8, v7
	s_delay_alu instid0(VALU_DEP_3) | instskip(NEXT) | instid1(VALU_DEP_2)
	v_dual_mov_b32 v6, v9 :: v_dual_mov_b32 v7, v10
	s_and_saveexec_b32 s16, s0
; %bb.2107:                             ;   in Loop: Header=BB444_1478 Depth=1
	v_clz_i32_u32_e32 v6, v9
	s_delay_alu instid0(VALU_DEP_1) | instskip(NEXT) | instid1(VALU_DEP_1)
	v_min_u32_e32 v167, 32, v6
	v_subrev_nc_u32_e32 v6, 28, v167
	v_sub_nc_u32_e32 v167, 29, v167
	s_delay_alu instid0(VALU_DEP_2) | instskip(NEXT) | instid1(VALU_DEP_1)
	v_lshlrev_b64 v[6:7], v6, v[9:10]
	v_and_b32_e32 v6, 7, v6
; %bb.2108:                             ;   in Loop: Header=BB444_1478 Depth=1
	s_or_b32 exec_lo, exec_lo, s16
	v_lshlrev_b32_e32 v7, 24, v166
	s_delay_alu instid0(VALU_DEP_2) | instskip(SKIP_1) | instid1(VALU_DEP_3)
	v_lshlrev_b32_e32 v6, 20, v6
	v_lshl_add_u32 v9, v167, 23, 0x3c000000
	v_and_b32_e32 v7, 0x80000000, v7
	s_delay_alu instid0(VALU_DEP_1)
	v_or3_b32 v6, v6, v7, v9
.LBB444_2109:                           ;   in Loop: Header=BB444_1478 Depth=1
	s_or_b32 exec_lo, exec_lo, s15
.LBB444_2110:                           ;   in Loop: Header=BB444_1478 Depth=1
	s_delay_alu instid0(SALU_CYCLE_1)
	s_or_b32 exec_lo, exec_lo, s13
.LBB444_2111:                           ;   in Loop: Header=BB444_1478 Depth=1
	s_delay_alu instid0(SALU_CYCLE_1) | instskip(NEXT) | instid1(VALU_DEP_1)
	s_or_b32 exec_lo, exec_lo, s12
	v_mul_f32_e32 v6, v8, v6
                                        ; implicit-def: $vgpr166
	s_delay_alu instid0(VALU_DEP_1) | instskip(NEXT) | instid1(VALU_DEP_1)
	v_and_b32_e32 v7, 0x7f800000, v6
	v_cmp_ne_u32_e64 s0, 0x7f800000, v7
	s_delay_alu instid0(VALU_DEP_1) | instskip(NEXT) | instid1(SALU_CYCLE_1)
	s_and_saveexec_b32 s12, s0
	s_xor_b32 s0, exec_lo, s12
; %bb.2112:                             ;   in Loop: Header=BB444_1478 Depth=1
	v_bfe_u32 v7, v6, 16, 1
	s_delay_alu instid0(VALU_DEP_1)
	v_add3_u32 v166, v6, v7, 0x7fff
                                        ; implicit-def: $vgpr6
; %bb.2113:                             ;   in Loop: Header=BB444_1478 Depth=1
	s_and_not1_saveexec_b32 s12, s0
; %bb.2114:                             ;   in Loop: Header=BB444_1478 Depth=1
	v_and_b32_e32 v7, 0xffff, v6
	v_or_b32_e32 v9, 0x10000, v6
	s_delay_alu instid0(VALU_DEP_2) | instskip(NEXT) | instid1(VALU_DEP_1)
	v_cmp_eq_u32_e64 s0, 0, v7
	v_cndmask_b32_e64 v166, v9, v6, s0
; %bb.2115:                             ;   in Loop: Header=BB444_1478 Depth=1
	s_or_b32 exec_lo, exec_lo, s12
	v_cmp_lt_u64_e64 s0, s[8:9], v[2:3]
	v_mov_b32_e32 v2, 0
	s_delay_alu instid0(VALU_DEP_2)
	s_and_saveexec_b32 s12, s0
	s_cbranch_execz .LBB444_2123
; %bb.2116:                             ;   in Loop: Header=BB444_1478 Depth=1
	v_lshrrev_b32_e32 v6, 24, v3
	v_bfrev_b32_e32 v2, 1
	s_mov_b32 s13, exec_lo
	s_delay_alu instid0(VALU_DEP_2)
	v_cmpx_ne_u32_e32 0x80, v6
	s_cbranch_execz .LBB444_2122
; %bb.2117:                             ;   in Loop: Header=BB444_1478 Depth=1
	v_bfe_u32 v3, v3, 24, 7
	v_mov_b32_e32 v2, 0x7f800001
	s_mov_b32 s15, exec_lo
	s_delay_alu instid0(VALU_DEP_2)
	v_cmpx_ne_u32_e32 0x7f, v3
	s_cbranch_execz .LBB444_2121
; %bb.2118:                             ;   in Loop: Header=BB444_1478 Depth=1
	v_and_b32_e32 v9, 7, v6
	v_lshrrev_b32_e32 v7, 3, v3
	v_cmp_gt_u32_e64 s0, 8, v3
	s_delay_alu instid0(VALU_DEP_3) | instskip(NEXT) | instid1(VALU_DEP_2)
	v_dual_mov_b32 v2, v9 :: v_dual_mov_b32 v3, v10
	s_and_saveexec_b32 s16, s0
; %bb.2119:                             ;   in Loop: Header=BB444_1478 Depth=1
	v_clz_i32_u32_e32 v2, v9
	s_delay_alu instid0(VALU_DEP_1) | instskip(NEXT) | instid1(VALU_DEP_1)
	v_min_u32_e32 v7, 32, v2
	v_subrev_nc_u32_e32 v2, 28, v7
	v_sub_nc_u32_e32 v7, 29, v7
	s_delay_alu instid0(VALU_DEP_2) | instskip(NEXT) | instid1(VALU_DEP_1)
	v_lshlrev_b64 v[2:3], v2, v[9:10]
	v_and_b32_e32 v2, 7, v2
; %bb.2120:                             ;   in Loop: Header=BB444_1478 Depth=1
	s_or_b32 exec_lo, exec_lo, s16
	v_lshlrev_b32_e32 v3, 24, v6
	s_delay_alu instid0(VALU_DEP_2) | instskip(SKIP_1) | instid1(VALU_DEP_3)
	v_lshlrev_b32_e32 v2, 20, v2
	v_lshl_add_u32 v6, v7, 23, 0x3c000000
	v_and_b32_e32 v3, 0x80000000, v3
	s_delay_alu instid0(VALU_DEP_1)
	v_or3_b32 v2, v2, v3, v6
.LBB444_2121:                           ;   in Loop: Header=BB444_1478 Depth=1
	s_or_b32 exec_lo, exec_lo, s15
.LBB444_2122:                           ;   in Loop: Header=BB444_1478 Depth=1
	s_delay_alu instid0(SALU_CYCLE_1)
	s_or_b32 exec_lo, exec_lo, s13
.LBB444_2123:                           ;   in Loop: Header=BB444_1478 Depth=1
	s_delay_alu instid0(SALU_CYCLE_1) | instskip(NEXT) | instid1(VALU_DEP_1)
	s_or_b32 exec_lo, exec_lo, s12
	v_mul_f32_e32 v3, v8, v2
	s_delay_alu instid0(VALU_DEP_1) | instskip(NEXT) | instid1(VALU_DEP_1)
	v_and_b32_e32 v2, 0x7f800000, v3
	v_cmp_ne_u32_e64 s0, 0x7f800000, v2
                                        ; implicit-def: $vgpr2
	s_delay_alu instid0(VALU_DEP_1) | instskip(NEXT) | instid1(SALU_CYCLE_1)
	s_and_saveexec_b32 s12, s0
	s_xor_b32 s0, exec_lo, s12
; %bb.2124:                             ;   in Loop: Header=BB444_1478 Depth=1
	v_bfe_u32 v2, v3, 16, 1
	s_delay_alu instid0(VALU_DEP_1)
	v_add3_u32 v2, v3, v2, 0x7fff
                                        ; implicit-def: $vgpr3
; %bb.2125:                             ;   in Loop: Header=BB444_1478 Depth=1
	s_and_not1_saveexec_b32 s12, s0
; %bb.2126:                             ;   in Loop: Header=BB444_1478 Depth=1
	v_and_b32_e32 v2, 0xffff, v3
	v_or_b32_e32 v6, 0x10000, v3
	s_delay_alu instid0(VALU_DEP_2) | instskip(NEXT) | instid1(VALU_DEP_1)
	v_cmp_eq_u32_e64 s0, 0, v2
	v_cndmask_b32_e64 v2, v6, v3, s0
; %bb.2127:                             ;   in Loop: Header=BB444_1478 Depth=1
	s_or_b32 exec_lo, exec_lo, s12
	v_lshrrev_b32_e32 v6, 16, v165
	v_lshrrev_b32_e32 v7, 16, v39
	;; [unrolled: 1-line block ×8, first 2 shown]
	s_and_saveexec_b32 s12, vcc_lo
	s_cbranch_execz .LBB444_2129
; %bb.2128:                             ;   in Loop: Header=BB444_1478 Depth=1
	v_cmp_lt_i32_e64 s0, v85, v38
	s_delay_alu instid0(VALU_DEP_1) | instskip(SKIP_1) | instid1(VALU_DEP_1)
	v_cndmask_b32_e64 v4, 0, v4, s0
	v_cmp_lt_i32_e64 s0, v100, v38
	v_cndmask_b32_e64 v5, 0, v5, s0
	v_cmp_lt_i32_e64 s0, v99, v38
	s_delay_alu instid0(VALU_DEP_1) | instskip(SKIP_1) | instid1(VALU_DEP_1)
	v_cndmask_b32_e64 v21, 0, v21, s0
	v_cmp_lt_i32_e64 s0, v98, v38
	v_cndmask_b32_e64 v9, 0, v9, s0
	;; [unrolled: 5-line block ×4, first 2 shown]
.LBB444_2129:                           ;   in Loop: Header=BB444_1478 Depth=1
	s_or_b32 exec_lo, exec_lo, s12
	v_lshlrev_b32_e32 v4, 16, v4
                                        ; implicit-def: $vgpr165
	s_delay_alu instid0(VALU_DEP_1) | instskip(NEXT) | instid1(VALU_DEP_1)
	v_mul_f32_e32 v4, v101, v4
	v_and_b32_e32 v37, 0x7f800000, v4
	s_delay_alu instid0(VALU_DEP_1) | instskip(NEXT) | instid1(VALU_DEP_1)
	v_cmp_ne_u32_e64 s0, 0x7f800000, v37
	s_and_saveexec_b32 s12, s0
	s_delay_alu instid0(SALU_CYCLE_1)
	s_xor_b32 s0, exec_lo, s12
; %bb.2130:                             ;   in Loop: Header=BB444_1478 Depth=1
	v_bfe_u32 v37, v4, 16, 1
	s_delay_alu instid0(VALU_DEP_1)
	v_add3_u32 v165, v4, v37, 0x7fff
                                        ; implicit-def: $vgpr4
; %bb.2131:                             ;   in Loop: Header=BB444_1478 Depth=1
	s_and_not1_saveexec_b32 s12, s0
; %bb.2132:                             ;   in Loop: Header=BB444_1478 Depth=1
	v_and_b32_e32 v37, 0xffff, v4
	v_or_b32_e32 v39, 0x10000, v4
	s_delay_alu instid0(VALU_DEP_2) | instskip(NEXT) | instid1(VALU_DEP_1)
	v_cmp_eq_u32_e64 s0, 0, v37
	v_cndmask_b32_e64 v165, v39, v4, s0
; %bb.2133:                             ;   in Loop: Header=BB444_1478 Depth=1
	s_or_b32 exec_lo, exec_lo, s12
	v_lshlrev_b32_e32 v4, 16, v5
                                        ; implicit-def: $vgpr166
	s_delay_alu instid0(VALU_DEP_1) | instskip(NEXT) | instid1(VALU_DEP_1)
	v_mul_f32_e32 v4, v102, v4
	v_and_b32_e32 v5, 0x7f800000, v4
	s_delay_alu instid0(VALU_DEP_1) | instskip(NEXT) | instid1(VALU_DEP_1)
	v_cmp_ne_u32_e64 s0, 0x7f800000, v5
	s_and_saveexec_b32 s12, s0
	s_delay_alu instid0(SALU_CYCLE_1)
	s_xor_b32 s0, exec_lo, s12
; %bb.2134:                             ;   in Loop: Header=BB444_1478 Depth=1
	v_bfe_u32 v5, v4, 16, 1
	s_delay_alu instid0(VALU_DEP_1)
	v_add3_u32 v166, v4, v5, 0x7fff
                                        ; implicit-def: $vgpr4
; %bb.2135:                             ;   in Loop: Header=BB444_1478 Depth=1
	s_and_not1_saveexec_b32 s12, s0
; %bb.2136:                             ;   in Loop: Header=BB444_1478 Depth=1
	v_and_b32_e32 v5, 0xffff, v4
	v_or_b32_e32 v37, 0x10000, v4
	s_delay_alu instid0(VALU_DEP_2) | instskip(NEXT) | instid1(VALU_DEP_1)
	v_cmp_eq_u32_e64 s0, 0, v5
	v_cndmask_b32_e64 v166, v37, v4, s0
; %bb.2137:                             ;   in Loop: Header=BB444_1478 Depth=1
	s_or_b32 exec_lo, exec_lo, s12
	v_lshlrev_b32_e32 v4, 16, v21
                                        ; implicit-def: $vgpr167
	s_delay_alu instid0(VALU_DEP_1) | instskip(NEXT) | instid1(VALU_DEP_1)
	v_mul_f32_e32 v4, v103, v4
	v_and_b32_e32 v5, 0x7f800000, v4
	s_delay_alu instid0(VALU_DEP_1) | instskip(NEXT) | instid1(VALU_DEP_1)
	v_cmp_ne_u32_e64 s0, 0x7f800000, v5
	s_and_saveexec_b32 s12, s0
	s_delay_alu instid0(SALU_CYCLE_1)
	s_xor_b32 s0, exec_lo, s12
; %bb.2138:                             ;   in Loop: Header=BB444_1478 Depth=1
	v_bfe_u32 v5, v4, 16, 1
	s_delay_alu instid0(VALU_DEP_1)
	v_add3_u32 v167, v4, v5, 0x7fff
                                        ; implicit-def: $vgpr4
; %bb.2139:                             ;   in Loop: Header=BB444_1478 Depth=1
	s_and_not1_saveexec_b32 s12, s0
; %bb.2140:                             ;   in Loop: Header=BB444_1478 Depth=1
	v_and_b32_e32 v5, 0xffff, v4
	v_or_b32_e32 v21, 0x10000, v4
	s_delay_alu instid0(VALU_DEP_2) | instskip(NEXT) | instid1(VALU_DEP_1)
	v_cmp_eq_u32_e64 s0, 0, v5
	v_cndmask_b32_e64 v167, v21, v4, s0
; %bb.2141:                             ;   in Loop: Header=BB444_1478 Depth=1
	s_or_b32 exec_lo, exec_lo, s12
	v_lshlrev_b32_e32 v4, 16, v9
                                        ; implicit-def: $vgpr176
	s_delay_alu instid0(VALU_DEP_1) | instskip(NEXT) | instid1(VALU_DEP_1)
	v_mul_f32_e32 v4, v112, v4
	v_and_b32_e32 v5, 0x7f800000, v4
	s_delay_alu instid0(VALU_DEP_1) | instskip(NEXT) | instid1(VALU_DEP_1)
	v_cmp_ne_u32_e64 s0, 0x7f800000, v5
	s_and_saveexec_b32 s12, s0
	s_delay_alu instid0(SALU_CYCLE_1)
	s_xor_b32 s0, exec_lo, s12
; %bb.2142:                             ;   in Loop: Header=BB444_1478 Depth=1
	v_bfe_u32 v5, v4, 16, 1
	s_delay_alu instid0(VALU_DEP_1)
	v_add3_u32 v176, v4, v5, 0x7fff
                                        ; implicit-def: $vgpr4
; %bb.2143:                             ;   in Loop: Header=BB444_1478 Depth=1
	s_and_not1_saveexec_b32 s12, s0
; %bb.2144:                             ;   in Loop: Header=BB444_1478 Depth=1
	v_and_b32_e32 v5, 0xffff, v4
	v_or_b32_e32 v9, 0x10000, v4
	s_delay_alu instid0(VALU_DEP_2) | instskip(NEXT) | instid1(VALU_DEP_1)
	v_cmp_eq_u32_e64 s0, 0, v5
	v_cndmask_b32_e64 v176, v9, v4, s0
; %bb.2145:                             ;   in Loop: Header=BB444_1478 Depth=1
	s_or_b32 exec_lo, exec_lo, s12
	v_lshlrev_b32_e32 v4, 16, v7
                                        ; implicit-def: $vgpr177
	s_delay_alu instid0(VALU_DEP_1) | instskip(NEXT) | instid1(VALU_DEP_1)
	v_mul_f32_e32 v4, v113, v4
	v_and_b32_e32 v5, 0x7f800000, v4
	s_delay_alu instid0(VALU_DEP_1) | instskip(NEXT) | instid1(VALU_DEP_1)
	v_cmp_ne_u32_e64 s0, 0x7f800000, v5
	s_and_saveexec_b32 s12, s0
	s_delay_alu instid0(SALU_CYCLE_1)
	s_xor_b32 s0, exec_lo, s12
; %bb.2146:                             ;   in Loop: Header=BB444_1478 Depth=1
	v_bfe_u32 v5, v4, 16, 1
	s_delay_alu instid0(VALU_DEP_1)
	v_add3_u32 v177, v4, v5, 0x7fff
                                        ; implicit-def: $vgpr4
; %bb.2147:                             ;   in Loop: Header=BB444_1478 Depth=1
	s_and_not1_saveexec_b32 s12, s0
; %bb.2148:                             ;   in Loop: Header=BB444_1478 Depth=1
	v_and_b32_e32 v5, 0xffff, v4
	v_or_b32_e32 v7, 0x10000, v4
	s_delay_alu instid0(VALU_DEP_2) | instskip(NEXT) | instid1(VALU_DEP_1)
	v_cmp_eq_u32_e64 s0, 0, v5
	v_cndmask_b32_e64 v177, v7, v4, s0
; %bb.2149:                             ;   in Loop: Header=BB444_1478 Depth=1
	s_or_b32 exec_lo, exec_lo, s12
	v_lshlrev_b32_e32 v4, 16, v6
                                        ; implicit-def: $vgpr178
	s_delay_alu instid0(VALU_DEP_1) | instskip(NEXT) | instid1(VALU_DEP_1)
	v_mul_f32_e32 v4, v114, v4
	v_and_b32_e32 v5, 0x7f800000, v4
	s_delay_alu instid0(VALU_DEP_1) | instskip(NEXT) | instid1(VALU_DEP_1)
	v_cmp_ne_u32_e64 s0, 0x7f800000, v5
	s_and_saveexec_b32 s12, s0
	s_delay_alu instid0(SALU_CYCLE_1)
	s_xor_b32 s0, exec_lo, s12
; %bb.2150:                             ;   in Loop: Header=BB444_1478 Depth=1
	v_bfe_u32 v5, v4, 16, 1
	s_delay_alu instid0(VALU_DEP_1)
	v_add3_u32 v178, v4, v5, 0x7fff
                                        ; implicit-def: $vgpr4
; %bb.2151:                             ;   in Loop: Header=BB444_1478 Depth=1
	s_and_not1_saveexec_b32 s12, s0
; %bb.2152:                             ;   in Loop: Header=BB444_1478 Depth=1
	v_and_b32_e32 v5, 0xffff, v4
	v_or_b32_e32 v6, 0x10000, v4
	s_delay_alu instid0(VALU_DEP_2) | instskip(NEXT) | instid1(VALU_DEP_1)
	v_cmp_eq_u32_e64 s0, 0, v5
	v_cndmask_b32_e64 v178, v6, v4, s0
; %bb.2153:                             ;   in Loop: Header=BB444_1478 Depth=1
	s_or_b32 exec_lo, exec_lo, s12
	v_lshlrev_b32_e32 v3, 16, v3
                                        ; implicit-def: $vgpr179
	s_delay_alu instid0(VALU_DEP_1) | instskip(NEXT) | instid1(VALU_DEP_1)
	v_mul_f32_e32 v3, v115, v3
	v_and_b32_e32 v4, 0x7f800000, v3
	s_delay_alu instid0(VALU_DEP_1) | instskip(NEXT) | instid1(VALU_DEP_1)
	v_cmp_ne_u32_e64 s0, 0x7f800000, v4
	s_and_saveexec_b32 s12, s0
	s_delay_alu instid0(SALU_CYCLE_1)
	s_xor_b32 s0, exec_lo, s12
; %bb.2154:                             ;   in Loop: Header=BB444_1478 Depth=1
	v_bfe_u32 v4, v3, 16, 1
	s_delay_alu instid0(VALU_DEP_1)
	v_add3_u32 v179, v3, v4, 0x7fff
                                        ; implicit-def: $vgpr3
; %bb.2155:                             ;   in Loop: Header=BB444_1478 Depth=1
	s_and_not1_saveexec_b32 s12, s0
; %bb.2156:                             ;   in Loop: Header=BB444_1478 Depth=1
	v_and_b32_e32 v4, 0xffff, v3
	v_or_b32_e32 v5, 0x10000, v3
	s_delay_alu instid0(VALU_DEP_2) | instskip(NEXT) | instid1(VALU_DEP_1)
	v_cmp_eq_u32_e64 s0, 0, v4
	v_cndmask_b32_e64 v179, v5, v3, s0
; %bb.2157:                             ;   in Loop: Header=BB444_1478 Depth=1
	s_or_b32 exec_lo, exec_lo, s12
	v_lshlrev_b32_e32 v2, 16, v2
                                        ; implicit-def: $vgpr180
	s_delay_alu instid0(VALU_DEP_1) | instskip(NEXT) | instid1(VALU_DEP_1)
	v_mul_f32_e32 v2, v116, v2
	v_and_b32_e32 v3, 0x7f800000, v2
	s_delay_alu instid0(VALU_DEP_1) | instskip(NEXT) | instid1(VALU_DEP_1)
	v_cmp_ne_u32_e64 s0, 0x7f800000, v3
	s_and_saveexec_b32 s12, s0
	s_delay_alu instid0(SALU_CYCLE_1)
	s_xor_b32 s0, exec_lo, s12
; %bb.2158:                             ;   in Loop: Header=BB444_1478 Depth=1
	v_bfe_u32 v3, v2, 16, 1
	s_delay_alu instid0(VALU_DEP_1)
	v_add3_u32 v180, v2, v3, 0x7fff
                                        ; implicit-def: $vgpr2
; %bb.2159:                             ;   in Loop: Header=BB444_1478 Depth=1
	s_and_not1_saveexec_b32 s12, s0
; %bb.2160:                             ;   in Loop: Header=BB444_1478 Depth=1
	v_and_b32_e32 v3, 0xffff, v2
	v_or_b32_e32 v4, 0x10000, v2
	s_delay_alu instid0(VALU_DEP_2) | instskip(NEXT) | instid1(VALU_DEP_1)
	v_cmp_eq_u32_e64 s0, 0, v3
	v_cndmask_b32_e64 v180, v4, v2, s0
; %bb.2161:                             ;   in Loop: Header=BB444_1478 Depth=1
	s_or_b32 exec_lo, exec_lo, s12
	flat_load_b64 v[2:3], v[0:1] offset:1280
	s_mov_b32 s12, exec_lo
	s_waitcnt vmcnt(0) lgkmcnt(0)
	v_dual_mov_b32 v4, 0 :: v_dual_and_b32 v5, 0xff, v2
	s_delay_alu instid0(VALU_DEP_1)
	v_cmpx_ne_u16_e32 0, v5
	s_cbranch_execz .LBB444_2169
; %bb.2162:                             ;   in Loop: Header=BB444_1478 Depth=1
	v_bfrev_b32_e32 v4, 1
	s_mov_b32 s13, exec_lo
	v_cmpx_ne_u16_e32 0x80, v5
	s_cbranch_execz .LBB444_2168
; %bb.2163:                             ;   in Loop: Header=BB444_1478 Depth=1
	v_and_b32_e32 v5, 0x7f, v2
	v_mov_b32_e32 v4, 0x7f800001
	s_mov_b32 s15, exec_lo
	s_delay_alu instid0(VALU_DEP_2)
	v_cmpx_ne_u32_e32 0x7f, v5
	s_cbranch_execz .LBB444_2167
; %bb.2164:                             ;   in Loop: Header=BB444_1478 Depth=1
	v_lshrrev_b32_e32 v4, 3, v5
	v_dual_mov_b32 v7, v3 :: v_dual_mov_b32 v6, v2
	s_mov_b32 s16, exec_lo
	v_cmpx_gt_u32_e32 8, v5
; %bb.2165:                             ;   in Loop: Header=BB444_1478 Depth=1
	v_and_b32_e32 v4, 7, v2
	s_delay_alu instid0(VALU_DEP_1) | instskip(NEXT) | instid1(VALU_DEP_1)
	v_clz_i32_u32_e32 v4, v4
	v_min_u32_e32 v4, 32, v4
	s_delay_alu instid0(VALU_DEP_1) | instskip(SKIP_1) | instid1(VALU_DEP_2)
	v_subrev_nc_u32_e32 v5, 28, v4
	v_sub_nc_u32_e32 v4, 29, v4
	v_lshlrev_b64 v[6:7], v5, v[2:3]
; %bb.2166:                             ;   in Loop: Header=BB444_1478 Depth=1
	s_or_b32 exec_lo, exec_lo, s16
	s_delay_alu instid0(VALU_DEP_1) | instskip(SKIP_2) | instid1(VALU_DEP_3)
	v_lshlrev_b32_e32 v5, 20, v6
	v_lshlrev_b32_e32 v6, 24, v2
	v_lshl_add_u32 v4, v4, 23, 0x3c000000
	v_and_b32_e32 v5, 0x700000, v5
	s_delay_alu instid0(VALU_DEP_3) | instskip(NEXT) | instid1(VALU_DEP_1)
	v_and_b32_e32 v6, 0x80000000, v6
	v_or3_b32 v4, v5, v6, v4
.LBB444_2167:                           ;   in Loop: Header=BB444_1478 Depth=1
	s_or_b32 exec_lo, exec_lo, s15
.LBB444_2168:                           ;   in Loop: Header=BB444_1478 Depth=1
	s_delay_alu instid0(SALU_CYCLE_1)
	s_or_b32 exec_lo, exec_lo, s13
.LBB444_2169:                           ;   in Loop: Header=BB444_1478 Depth=1
	s_delay_alu instid0(SALU_CYCLE_1) | instskip(NEXT) | instid1(VALU_DEP_1)
	s_or_b32 exec_lo, exec_lo, s12
	v_mul_f32_e32 v5, v8, v4
	s_delay_alu instid0(VALU_DEP_1) | instskip(NEXT) | instid1(VALU_DEP_1)
	v_and_b32_e32 v4, 0x7f800000, v5
	v_cmp_ne_u32_e64 s0, 0x7f800000, v4
                                        ; implicit-def: $vgpr4
	s_delay_alu instid0(VALU_DEP_1) | instskip(NEXT) | instid1(SALU_CYCLE_1)
	s_and_saveexec_b32 s12, s0
	s_xor_b32 s0, exec_lo, s12
; %bb.2170:                             ;   in Loop: Header=BB444_1478 Depth=1
	v_bfe_u32 v4, v5, 16, 1
	s_delay_alu instid0(VALU_DEP_1)
	v_add3_u32 v4, v5, v4, 0x7fff
                                        ; implicit-def: $vgpr5
; %bb.2171:                             ;   in Loop: Header=BB444_1478 Depth=1
	s_and_not1_saveexec_b32 s12, s0
; %bb.2172:                             ;   in Loop: Header=BB444_1478 Depth=1
	v_and_b32_e32 v4, 0xffff, v5
	v_or_b32_e32 v6, 0x10000, v5
	s_delay_alu instid0(VALU_DEP_2) | instskip(NEXT) | instid1(VALU_DEP_1)
	v_cmp_eq_u32_e64 s0, 0, v4
	v_cndmask_b32_e64 v4, v6, v5, s0
; %bb.2173:                             ;   in Loop: Header=BB444_1478 Depth=1
	s_or_b32 exec_lo, exec_lo, s12
	v_lshrrev_b16 v6, 8, v2
	v_mov_b32_e32 v5, 0
	s_mov_b32 s12, exec_lo
	s_delay_alu instid0(VALU_DEP_2)
	v_cmpx_ne_u16_e32 0, v6
	s_cbranch_execz .LBB444_2181
; %bb.2174:                             ;   in Loop: Header=BB444_1478 Depth=1
	v_bfrev_b32_e32 v5, 1
	s_mov_b32 s13, exec_lo
	v_cmpx_ne_u16_e32 0x80, v6
	s_cbranch_execz .LBB444_2180
; %bb.2175:                             ;   in Loop: Header=BB444_1478 Depth=1
	v_and_b32_e32 v7, 0xffff, v6
	v_mov_b32_e32 v5, 0x7f800001
	s_mov_b32 s15, exec_lo
	s_delay_alu instid0(VALU_DEP_2) | instskip(NEXT) | instid1(VALU_DEP_1)
	v_and_b32_e32 v6, 0x7f, v7
	v_cmpx_ne_u32_e32 0x7f, v6
	s_cbranch_execz .LBB444_2179
; %bb.2176:                             ;   in Loop: Header=BB444_1478 Depth=1
	v_and_b32_e32 v9, 7, v7
	v_lshrrev_b32_e32 v5, 3, v6
	v_cmp_gt_u32_e64 s0, 8, v6
	s_delay_alu instid0(VALU_DEP_3) | instskip(NEXT) | instid1(VALU_DEP_2)
	v_dual_mov_b32 v6, v9 :: v_dual_mov_b32 v7, v10
	s_and_saveexec_b32 s16, s0
; %bb.2177:                             ;   in Loop: Header=BB444_1478 Depth=1
	v_clz_i32_u32_e32 v5, v9
	s_delay_alu instid0(VALU_DEP_1) | instskip(NEXT) | instid1(VALU_DEP_1)
	v_min_u32_e32 v5, 32, v5
	v_subrev_nc_u32_e32 v6, 28, v5
	v_sub_nc_u32_e32 v5, 29, v5
	s_delay_alu instid0(VALU_DEP_2) | instskip(NEXT) | instid1(VALU_DEP_1)
	v_lshlrev_b64 v[6:7], v6, v[9:10]
	v_and_b32_e32 v6, 7, v6
; %bb.2178:                             ;   in Loop: Header=BB444_1478 Depth=1
	s_or_b32 exec_lo, exec_lo, s16
	v_lshlrev_b32_e32 v7, 16, v2
	s_delay_alu instid0(VALU_DEP_2) | instskip(SKIP_1) | instid1(VALU_DEP_3)
	v_lshlrev_b32_e32 v6, 20, v6
	v_lshl_add_u32 v5, v5, 23, 0x3c000000
	v_and_b32_e32 v7, 0x80000000, v7
	s_delay_alu instid0(VALU_DEP_1)
	v_or3_b32 v5, v6, v7, v5
.LBB444_2179:                           ;   in Loop: Header=BB444_1478 Depth=1
	s_or_b32 exec_lo, exec_lo, s15
.LBB444_2180:                           ;   in Loop: Header=BB444_1478 Depth=1
	s_delay_alu instid0(SALU_CYCLE_1)
	s_or_b32 exec_lo, exec_lo, s13
.LBB444_2181:                           ;   in Loop: Header=BB444_1478 Depth=1
	s_delay_alu instid0(SALU_CYCLE_1) | instskip(NEXT) | instid1(VALU_DEP_1)
	s_or_b32 exec_lo, exec_lo, s12
	v_mul_f32_e32 v6, v8, v5
	s_delay_alu instid0(VALU_DEP_1) | instskip(NEXT) | instid1(VALU_DEP_1)
	v_and_b32_e32 v5, 0x7f800000, v6
	v_cmp_ne_u32_e64 s0, 0x7f800000, v5
                                        ; implicit-def: $vgpr5
	s_delay_alu instid0(VALU_DEP_1) | instskip(NEXT) | instid1(SALU_CYCLE_1)
	s_and_saveexec_b32 s12, s0
	s_xor_b32 s0, exec_lo, s12
; %bb.2182:                             ;   in Loop: Header=BB444_1478 Depth=1
	v_bfe_u32 v5, v6, 16, 1
	s_delay_alu instid0(VALU_DEP_1)
	v_add3_u32 v5, v6, v5, 0x7fff
                                        ; implicit-def: $vgpr6
; %bb.2183:                             ;   in Loop: Header=BB444_1478 Depth=1
	s_and_not1_saveexec_b32 s12, s0
; %bb.2184:                             ;   in Loop: Header=BB444_1478 Depth=1
	v_and_b32_e32 v5, 0xffff, v6
	v_or_b32_e32 v7, 0x10000, v6
	s_delay_alu instid0(VALU_DEP_2) | instskip(NEXT) | instid1(VALU_DEP_1)
	v_cmp_eq_u32_e64 s0, 0, v5
	v_cndmask_b32_e64 v5, v7, v6, s0
; %bb.2185:                             ;   in Loop: Header=BB444_1478 Depth=1
	s_or_b32 exec_lo, exec_lo, s12
	v_lshrrev_b32_e32 v21, 16, v2
	s_mov_b32 s12, exec_lo
	s_delay_alu instid0(VALU_DEP_1) | instskip(NEXT) | instid1(VALU_DEP_1)
	v_dual_mov_b32 v6, 0 :: v_dual_and_b32 v7, 0xff, v21
	v_cmpx_ne_u16_e32 0, v7
	s_cbranch_execz .LBB444_2193
; %bb.2186:                             ;   in Loop: Header=BB444_1478 Depth=1
	v_bfrev_b32_e32 v6, 1
	s_mov_b32 s13, exec_lo
	v_cmpx_ne_u16_e32 0x80, v7
	s_cbranch_execz .LBB444_2192
; %bb.2187:                             ;   in Loop: Header=BB444_1478 Depth=1
	v_bfe_u32 v7, v2, 16, 7
	v_mov_b32_e32 v6, 0x7f800001
	s_mov_b32 s15, exec_lo
	s_delay_alu instid0(VALU_DEP_2)
	v_cmpx_ne_u32_e32 0x7f, v7
	s_cbranch_execz .LBB444_2191
; %bb.2188:                             ;   in Loop: Header=BB444_1478 Depth=1
	v_and_b32_e32 v9, 7, v21
	v_lshrrev_b32_e32 v37, 3, v7
	v_cmp_gt_u32_e64 s0, 8, v7
	s_delay_alu instid0(VALU_DEP_3) | instskip(NEXT) | instid1(VALU_DEP_2)
	v_dual_mov_b32 v6, v9 :: v_dual_mov_b32 v7, v10
	s_and_saveexec_b32 s16, s0
; %bb.2189:                             ;   in Loop: Header=BB444_1478 Depth=1
	v_clz_i32_u32_e32 v6, v9
	s_delay_alu instid0(VALU_DEP_1) | instskip(NEXT) | instid1(VALU_DEP_1)
	v_min_u32_e32 v37, 32, v6
	v_subrev_nc_u32_e32 v6, 28, v37
	v_sub_nc_u32_e32 v37, 29, v37
	s_delay_alu instid0(VALU_DEP_2) | instskip(NEXT) | instid1(VALU_DEP_1)
	v_lshlrev_b64 v[6:7], v6, v[9:10]
	v_and_b32_e32 v6, 7, v6
; %bb.2190:                             ;   in Loop: Header=BB444_1478 Depth=1
	s_or_b32 exec_lo, exec_lo, s16
	v_lshlrev_b32_e32 v7, 24, v21
	s_delay_alu instid0(VALU_DEP_2) | instskip(SKIP_1) | instid1(VALU_DEP_3)
	v_lshlrev_b32_e32 v6, 20, v6
	v_lshl_add_u32 v9, v37, 23, 0x3c000000
	v_and_b32_e32 v7, 0x80000000, v7
	s_delay_alu instid0(VALU_DEP_1)
	v_or3_b32 v6, v6, v7, v9
.LBB444_2191:                           ;   in Loop: Header=BB444_1478 Depth=1
	s_or_b32 exec_lo, exec_lo, s15
.LBB444_2192:                           ;   in Loop: Header=BB444_1478 Depth=1
	s_delay_alu instid0(SALU_CYCLE_1)
	s_or_b32 exec_lo, exec_lo, s13
.LBB444_2193:                           ;   in Loop: Header=BB444_1478 Depth=1
	s_delay_alu instid0(SALU_CYCLE_1) | instskip(NEXT) | instid1(VALU_DEP_1)
	s_or_b32 exec_lo, exec_lo, s12
	v_mul_f32_e32 v6, v8, v6
                                        ; implicit-def: $vgpr21
	s_delay_alu instid0(VALU_DEP_1) | instskip(NEXT) | instid1(VALU_DEP_1)
	v_and_b32_e32 v7, 0x7f800000, v6
	v_cmp_ne_u32_e64 s0, 0x7f800000, v7
	s_delay_alu instid0(VALU_DEP_1) | instskip(NEXT) | instid1(SALU_CYCLE_1)
	s_and_saveexec_b32 s12, s0
	s_xor_b32 s0, exec_lo, s12
; %bb.2194:                             ;   in Loop: Header=BB444_1478 Depth=1
	v_bfe_u32 v7, v6, 16, 1
	s_delay_alu instid0(VALU_DEP_1)
	v_add3_u32 v21, v6, v7, 0x7fff
                                        ; implicit-def: $vgpr6
; %bb.2195:                             ;   in Loop: Header=BB444_1478 Depth=1
	s_and_not1_saveexec_b32 s12, s0
; %bb.2196:                             ;   in Loop: Header=BB444_1478 Depth=1
	v_and_b32_e32 v7, 0xffff, v6
	v_or_b32_e32 v9, 0x10000, v6
	s_delay_alu instid0(VALU_DEP_2) | instskip(NEXT) | instid1(VALU_DEP_1)
	v_cmp_eq_u32_e64 s0, 0, v7
	v_cndmask_b32_e64 v21, v9, v6, s0
; %bb.2197:                             ;   in Loop: Header=BB444_1478 Depth=1
	s_or_b32 exec_lo, exec_lo, s12
	v_mov_b32_e32 v6, 0
	s_mov_b32 s12, exec_lo
	v_cmpx_lt_u32_e32 0xffffff, v2
	s_cbranch_execz .LBB444_2205
; %bb.2198:                             ;   in Loop: Header=BB444_1478 Depth=1
	v_lshrrev_b32_e32 v37, 24, v2
	v_bfrev_b32_e32 v6, 1
	s_mov_b32 s13, exec_lo
	s_delay_alu instid0(VALU_DEP_2)
	v_cmpx_ne_u32_e32 0x80, v37
	s_cbranch_execz .LBB444_2204
; %bb.2199:                             ;   in Loop: Header=BB444_1478 Depth=1
	v_bfe_u32 v7, v2, 24, 7
	v_mov_b32_e32 v6, 0x7f800001
	s_mov_b32 s15, exec_lo
	s_delay_alu instid0(VALU_DEP_2)
	v_cmpx_ne_u32_e32 0x7f, v7
	s_cbranch_execz .LBB444_2203
; %bb.2200:                             ;   in Loop: Header=BB444_1478 Depth=1
	v_and_b32_e32 v9, 7, v37
	v_lshrrev_b32_e32 v39, 3, v7
	v_cmp_gt_u32_e64 s0, 8, v7
	s_delay_alu instid0(VALU_DEP_3) | instskip(NEXT) | instid1(VALU_DEP_2)
	v_dual_mov_b32 v6, v9 :: v_dual_mov_b32 v7, v10
	s_and_saveexec_b32 s16, s0
; %bb.2201:                             ;   in Loop: Header=BB444_1478 Depth=1
	v_clz_i32_u32_e32 v6, v9
	s_delay_alu instid0(VALU_DEP_1) | instskip(NEXT) | instid1(VALU_DEP_1)
	v_min_u32_e32 v39, 32, v6
	v_subrev_nc_u32_e32 v6, 28, v39
	v_sub_nc_u32_e32 v39, 29, v39
	s_delay_alu instid0(VALU_DEP_2) | instskip(NEXT) | instid1(VALU_DEP_1)
	v_lshlrev_b64 v[6:7], v6, v[9:10]
	v_and_b32_e32 v6, 7, v6
; %bb.2202:                             ;   in Loop: Header=BB444_1478 Depth=1
	s_or_b32 exec_lo, exec_lo, s16
	v_lshlrev_b32_e32 v7, 24, v37
	s_delay_alu instid0(VALU_DEP_2) | instskip(SKIP_1) | instid1(VALU_DEP_3)
	v_lshlrev_b32_e32 v6, 20, v6
	v_lshl_add_u32 v9, v39, 23, 0x3c000000
	v_and_b32_e32 v7, 0x80000000, v7
	s_delay_alu instid0(VALU_DEP_1)
	v_or3_b32 v6, v6, v7, v9
.LBB444_2203:                           ;   in Loop: Header=BB444_1478 Depth=1
	s_or_b32 exec_lo, exec_lo, s15
.LBB444_2204:                           ;   in Loop: Header=BB444_1478 Depth=1
	s_delay_alu instid0(SALU_CYCLE_1)
	s_or_b32 exec_lo, exec_lo, s13
.LBB444_2205:                           ;   in Loop: Header=BB444_1478 Depth=1
	s_delay_alu instid0(SALU_CYCLE_1) | instskip(NEXT) | instid1(VALU_DEP_1)
	s_or_b32 exec_lo, exec_lo, s12
	v_mul_f32_e32 v6, v8, v6
                                        ; implicit-def: $vgpr37
	s_delay_alu instid0(VALU_DEP_1) | instskip(NEXT) | instid1(VALU_DEP_1)
	v_and_b32_e32 v7, 0x7f800000, v6
	v_cmp_ne_u32_e64 s0, 0x7f800000, v7
	s_delay_alu instid0(VALU_DEP_1) | instskip(NEXT) | instid1(SALU_CYCLE_1)
	s_and_saveexec_b32 s12, s0
	s_xor_b32 s0, exec_lo, s12
; %bb.2206:                             ;   in Loop: Header=BB444_1478 Depth=1
	v_bfe_u32 v7, v6, 16, 1
	s_delay_alu instid0(VALU_DEP_1)
	v_add3_u32 v37, v6, v7, 0x7fff
                                        ; implicit-def: $vgpr6
; %bb.2207:                             ;   in Loop: Header=BB444_1478 Depth=1
	s_and_not1_saveexec_b32 s12, s0
; %bb.2208:                             ;   in Loop: Header=BB444_1478 Depth=1
	v_and_b32_e32 v7, 0xffff, v6
	v_or_b32_e32 v9, 0x10000, v6
	s_delay_alu instid0(VALU_DEP_2) | instskip(NEXT) | instid1(VALU_DEP_1)
	v_cmp_eq_u32_e64 s0, 0, v7
	v_cndmask_b32_e64 v37, v9, v6, s0
; %bb.2209:                             ;   in Loop: Header=BB444_1478 Depth=1
	s_or_b32 exec_lo, exec_lo, s12
	v_dual_mov_b32 v6, 0 :: v_dual_and_b32 v7, 0xff, v3
	v_mov_b32_e32 v9, v3
	s_mov_b32 s12, exec_lo
	s_delay_alu instid0(VALU_DEP_2)
	v_cmpx_ne_u16_e32 0, v7
	s_cbranch_execz .LBB444_2217
; %bb.2210:                             ;   in Loop: Header=BB444_1478 Depth=1
	v_bfrev_b32_e32 v6, 1
	s_mov_b32 s13, exec_lo
	v_cmpx_ne_u16_e32 0x80, v7
	s_cbranch_execz .LBB444_2216
; %bb.2211:                             ;   in Loop: Header=BB444_1478 Depth=1
	v_and_b32_e32 v7, 0x7f, v3
	v_mov_b32_e32 v6, 0x7f800001
	s_mov_b32 s15, exec_lo
	s_delay_alu instid0(VALU_DEP_2)
	v_cmpx_ne_u32_e32 0x7f, v7
	s_cbranch_execz .LBB444_2215
; %bb.2212:                             ;   in Loop: Header=BB444_1478 Depth=1
	v_lshrrev_b32_e32 v39, 3, v7
	v_cmp_gt_u32_e64 s0, 8, v7
	v_dual_mov_b32 v6, v9 :: v_dual_mov_b32 v7, v10
	s_delay_alu instid0(VALU_DEP_2)
	s_and_saveexec_b32 s16, s0
; %bb.2213:                             ;   in Loop: Header=BB444_1478 Depth=1
	v_and_b32_e32 v6, 7, v3
	s_delay_alu instid0(VALU_DEP_1) | instskip(NEXT) | instid1(VALU_DEP_1)
	v_clz_i32_u32_e32 v6, v6
	v_min_u32_e32 v39, 32, v6
	s_delay_alu instid0(VALU_DEP_1) | instskip(SKIP_1) | instid1(VALU_DEP_2)
	v_subrev_nc_u32_e32 v6, 28, v39
	v_sub_nc_u32_e32 v39, 29, v39
	v_lshlrev_b64 v[6:7], v6, v[9:10]
; %bb.2214:                             ;   in Loop: Header=BB444_1478 Depth=1
	s_or_b32 exec_lo, exec_lo, s16
	s_delay_alu instid0(VALU_DEP_1) | instskip(SKIP_2) | instid1(VALU_DEP_3)
	v_lshlrev_b32_e32 v6, 20, v6
	v_lshlrev_b32_e32 v7, 24, v9
	v_lshl_add_u32 v39, v39, 23, 0x3c000000
	v_and_b32_e32 v6, 0x700000, v6
	s_delay_alu instid0(VALU_DEP_3) | instskip(NEXT) | instid1(VALU_DEP_1)
	v_and_b32_e32 v7, 0x80000000, v7
	v_or3_b32 v6, v6, v7, v39
.LBB444_2215:                           ;   in Loop: Header=BB444_1478 Depth=1
	s_or_b32 exec_lo, exec_lo, s15
.LBB444_2216:                           ;   in Loop: Header=BB444_1478 Depth=1
	s_delay_alu instid0(SALU_CYCLE_1)
	s_or_b32 exec_lo, exec_lo, s13
.LBB444_2217:                           ;   in Loop: Header=BB444_1478 Depth=1
	s_delay_alu instid0(SALU_CYCLE_1) | instskip(NEXT) | instid1(VALU_DEP_1)
	s_or_b32 exec_lo, exec_lo, s12
	v_mul_f32_e32 v6, v8, v6
                                        ; implicit-def: $vgpr39
	s_delay_alu instid0(VALU_DEP_1) | instskip(NEXT) | instid1(VALU_DEP_1)
	v_and_b32_e32 v7, 0x7f800000, v6
	v_cmp_ne_u32_e64 s0, 0x7f800000, v7
	s_delay_alu instid0(VALU_DEP_1) | instskip(NEXT) | instid1(SALU_CYCLE_1)
	s_and_saveexec_b32 s12, s0
	s_xor_b32 s0, exec_lo, s12
; %bb.2218:                             ;   in Loop: Header=BB444_1478 Depth=1
	v_bfe_u32 v7, v6, 16, 1
	s_delay_alu instid0(VALU_DEP_1)
	v_add3_u32 v39, v6, v7, 0x7fff
                                        ; implicit-def: $vgpr6
; %bb.2219:                             ;   in Loop: Header=BB444_1478 Depth=1
	s_and_not1_saveexec_b32 s12, s0
; %bb.2220:                             ;   in Loop: Header=BB444_1478 Depth=1
	v_and_b32_e32 v7, 0xffff, v6
	v_or_b32_e32 v39, 0x10000, v6
	s_delay_alu instid0(VALU_DEP_2) | instskip(NEXT) | instid1(VALU_DEP_1)
	v_cmp_eq_u32_e64 s0, 0, v7
	v_cndmask_b32_e64 v39, v39, v6, s0
; %bb.2221:                             ;   in Loop: Header=BB444_1478 Depth=1
	s_or_b32 exec_lo, exec_lo, s12
	v_lshrrev_b16 v7, 8, v9
	v_mov_b32_e32 v6, 0
	s_mov_b32 s12, exec_lo
	s_delay_alu instid0(VALU_DEP_2)
	v_cmpx_ne_u16_e32 0, v7
	s_cbranch_execz .LBB444_2229
; %bb.2222:                             ;   in Loop: Header=BB444_1478 Depth=1
	v_bfrev_b32_e32 v6, 1
	s_mov_b32 s13, exec_lo
	v_cmpx_ne_u16_e32 0x80, v7
	s_cbranch_execz .LBB444_2228
; %bb.2223:                             ;   in Loop: Header=BB444_1478 Depth=1
	v_and_b32_e32 v7, 0xffff, v7
	v_mov_b32_e32 v6, 0x7f800001
	s_mov_b32 s15, exec_lo
	s_delay_alu instid0(VALU_DEP_2) | instskip(NEXT) | instid1(VALU_DEP_1)
	v_and_b32_e32 v182, 0x7f, v7
	v_cmpx_ne_u32_e32 0x7f, v182
	s_cbranch_execz .LBB444_2227
; %bb.2224:                             ;   in Loop: Header=BB444_1478 Depth=1
	v_dual_mov_b32 v7, v10 :: v_dual_and_b32 v6, 7, v7
	v_lshrrev_b32_e32 v181, 3, v182
	s_mov_b32 s16, exec_lo
	v_cmpx_gt_u32_e32 8, v182
; %bb.2225:                             ;   in Loop: Header=BB444_1478 Depth=1
	s_delay_alu instid0(VALU_DEP_3) | instskip(NEXT) | instid1(VALU_DEP_1)
	v_clz_i32_u32_e32 v181, v6
	v_min_u32_e32 v181, 32, v181
	s_delay_alu instid0(VALU_DEP_1) | instskip(SKIP_1) | instid1(VALU_DEP_2)
	v_subrev_nc_u32_e32 v182, 28, v181
	v_sub_nc_u32_e32 v181, 29, v181
	v_lshlrev_b64 v[6:7], v182, v[6:7]
	s_delay_alu instid0(VALU_DEP_1)
	v_and_b32_e32 v6, 7, v6
; %bb.2226:                             ;   in Loop: Header=BB444_1478 Depth=1
	s_or_b32 exec_lo, exec_lo, s16
	v_lshlrev_b32_e32 v7, 16, v9
	s_delay_alu instid0(VALU_DEP_2) | instskip(SKIP_1) | instid1(VALU_DEP_3)
	v_lshlrev_b32_e32 v6, 20, v6
	v_lshl_add_u32 v9, v181, 23, 0x3c000000
	v_and_b32_e32 v7, 0x80000000, v7
	s_delay_alu instid0(VALU_DEP_1)
	v_or3_b32 v6, v6, v7, v9
.LBB444_2227:                           ;   in Loop: Header=BB444_1478 Depth=1
	s_or_b32 exec_lo, exec_lo, s15
.LBB444_2228:                           ;   in Loop: Header=BB444_1478 Depth=1
	s_delay_alu instid0(SALU_CYCLE_1)
	s_or_b32 exec_lo, exec_lo, s13
.LBB444_2229:                           ;   in Loop: Header=BB444_1478 Depth=1
	s_delay_alu instid0(SALU_CYCLE_1) | instskip(NEXT) | instid1(VALU_DEP_1)
	s_or_b32 exec_lo, exec_lo, s12
	v_mul_f32_e32 v6, v8, v6
                                        ; implicit-def: $vgpr181
	s_delay_alu instid0(VALU_DEP_1) | instskip(NEXT) | instid1(VALU_DEP_1)
	v_and_b32_e32 v7, 0x7f800000, v6
	v_cmp_ne_u32_e64 s0, 0x7f800000, v7
	s_delay_alu instid0(VALU_DEP_1) | instskip(NEXT) | instid1(SALU_CYCLE_1)
	s_and_saveexec_b32 s12, s0
	s_xor_b32 s0, exec_lo, s12
; %bb.2230:                             ;   in Loop: Header=BB444_1478 Depth=1
	v_bfe_u32 v7, v6, 16, 1
	s_delay_alu instid0(VALU_DEP_1)
	v_add3_u32 v181, v6, v7, 0x7fff
                                        ; implicit-def: $vgpr6
; %bb.2231:                             ;   in Loop: Header=BB444_1478 Depth=1
	s_and_not1_saveexec_b32 s12, s0
; %bb.2232:                             ;   in Loop: Header=BB444_1478 Depth=1
	v_and_b32_e32 v7, 0xffff, v6
	v_or_b32_e32 v9, 0x10000, v6
	s_delay_alu instid0(VALU_DEP_2) | instskip(NEXT) | instid1(VALU_DEP_1)
	v_cmp_eq_u32_e64 s0, 0, v7
	v_cndmask_b32_e64 v181, v9, v6, s0
; %bb.2233:                             ;   in Loop: Header=BB444_1478 Depth=1
	s_or_b32 exec_lo, exec_lo, s12
	v_lshrrev_b32_e32 v182, 16, v3
	s_mov_b32 s12, exec_lo
	s_delay_alu instid0(VALU_DEP_1) | instskip(NEXT) | instid1(VALU_DEP_1)
	v_dual_mov_b32 v6, 0 :: v_dual_and_b32 v7, 0xff, v182
	v_cmpx_ne_u16_e32 0, v7
	s_cbranch_execz .LBB444_2241
; %bb.2234:                             ;   in Loop: Header=BB444_1478 Depth=1
	v_bfrev_b32_e32 v6, 1
	s_mov_b32 s13, exec_lo
	v_cmpx_ne_u16_e32 0x80, v7
	s_cbranch_execz .LBB444_2240
; %bb.2235:                             ;   in Loop: Header=BB444_1478 Depth=1
	v_bfe_u32 v7, v3, 16, 7
	v_mov_b32_e32 v6, 0x7f800001
	s_mov_b32 s15, exec_lo
	s_delay_alu instid0(VALU_DEP_2)
	v_cmpx_ne_u32_e32 0x7f, v7
	s_cbranch_execz .LBB444_2239
; %bb.2236:                             ;   in Loop: Header=BB444_1478 Depth=1
	v_and_b32_e32 v9, 7, v182
	v_lshrrev_b32_e32 v183, 3, v7
	v_cmp_gt_u32_e64 s0, 8, v7
	s_delay_alu instid0(VALU_DEP_3) | instskip(NEXT) | instid1(VALU_DEP_2)
	v_dual_mov_b32 v6, v9 :: v_dual_mov_b32 v7, v10
	s_and_saveexec_b32 s16, s0
; %bb.2237:                             ;   in Loop: Header=BB444_1478 Depth=1
	v_clz_i32_u32_e32 v6, v9
	s_delay_alu instid0(VALU_DEP_1) | instskip(NEXT) | instid1(VALU_DEP_1)
	v_min_u32_e32 v183, 32, v6
	v_subrev_nc_u32_e32 v6, 28, v183
	v_sub_nc_u32_e32 v183, 29, v183
	s_delay_alu instid0(VALU_DEP_2) | instskip(NEXT) | instid1(VALU_DEP_1)
	v_lshlrev_b64 v[6:7], v6, v[9:10]
	v_and_b32_e32 v6, 7, v6
; %bb.2238:                             ;   in Loop: Header=BB444_1478 Depth=1
	s_or_b32 exec_lo, exec_lo, s16
	v_lshlrev_b32_e32 v7, 24, v182
	s_delay_alu instid0(VALU_DEP_2) | instskip(SKIP_1) | instid1(VALU_DEP_3)
	v_lshlrev_b32_e32 v6, 20, v6
	v_lshl_add_u32 v9, v183, 23, 0x3c000000
	v_and_b32_e32 v7, 0x80000000, v7
	s_delay_alu instid0(VALU_DEP_1)
	v_or3_b32 v6, v6, v7, v9
.LBB444_2239:                           ;   in Loop: Header=BB444_1478 Depth=1
	s_or_b32 exec_lo, exec_lo, s15
.LBB444_2240:                           ;   in Loop: Header=BB444_1478 Depth=1
	s_delay_alu instid0(SALU_CYCLE_1)
	s_or_b32 exec_lo, exec_lo, s13
.LBB444_2241:                           ;   in Loop: Header=BB444_1478 Depth=1
	s_delay_alu instid0(SALU_CYCLE_1) | instskip(NEXT) | instid1(VALU_DEP_1)
	s_or_b32 exec_lo, exec_lo, s12
	v_mul_f32_e32 v6, v8, v6
                                        ; implicit-def: $vgpr182
	s_delay_alu instid0(VALU_DEP_1) | instskip(NEXT) | instid1(VALU_DEP_1)
	v_and_b32_e32 v7, 0x7f800000, v6
	v_cmp_ne_u32_e64 s0, 0x7f800000, v7
	s_delay_alu instid0(VALU_DEP_1) | instskip(NEXT) | instid1(SALU_CYCLE_1)
	s_and_saveexec_b32 s12, s0
	s_xor_b32 s0, exec_lo, s12
; %bb.2242:                             ;   in Loop: Header=BB444_1478 Depth=1
	v_bfe_u32 v7, v6, 16, 1
	s_delay_alu instid0(VALU_DEP_1)
	v_add3_u32 v182, v6, v7, 0x7fff
                                        ; implicit-def: $vgpr6
; %bb.2243:                             ;   in Loop: Header=BB444_1478 Depth=1
	s_and_not1_saveexec_b32 s12, s0
; %bb.2244:                             ;   in Loop: Header=BB444_1478 Depth=1
	v_and_b32_e32 v7, 0xffff, v6
	v_or_b32_e32 v9, 0x10000, v6
	s_delay_alu instid0(VALU_DEP_2) | instskip(NEXT) | instid1(VALU_DEP_1)
	v_cmp_eq_u32_e64 s0, 0, v7
	v_cndmask_b32_e64 v182, v9, v6, s0
; %bb.2245:                             ;   in Loop: Header=BB444_1478 Depth=1
	s_or_b32 exec_lo, exec_lo, s12
	v_cmp_lt_u64_e64 s0, s[8:9], v[2:3]
	v_mov_b32_e32 v2, 0
	s_delay_alu instid0(VALU_DEP_2)
	s_and_saveexec_b32 s12, s0
	s_cbranch_execz .LBB444_2253
; %bb.2246:                             ;   in Loop: Header=BB444_1478 Depth=1
	v_lshrrev_b32_e32 v6, 24, v3
	v_bfrev_b32_e32 v2, 1
	s_mov_b32 s13, exec_lo
	s_delay_alu instid0(VALU_DEP_2)
	v_cmpx_ne_u32_e32 0x80, v6
	s_cbranch_execz .LBB444_2252
; %bb.2247:                             ;   in Loop: Header=BB444_1478 Depth=1
	v_bfe_u32 v3, v3, 24, 7
	v_mov_b32_e32 v2, 0x7f800001
	s_mov_b32 s15, exec_lo
	s_delay_alu instid0(VALU_DEP_2)
	v_cmpx_ne_u32_e32 0x7f, v3
	s_cbranch_execz .LBB444_2251
; %bb.2248:                             ;   in Loop: Header=BB444_1478 Depth=1
	v_and_b32_e32 v9, 7, v6
	v_lshrrev_b32_e32 v7, 3, v3
	v_cmp_gt_u32_e64 s0, 8, v3
	s_delay_alu instid0(VALU_DEP_3) | instskip(NEXT) | instid1(VALU_DEP_2)
	v_dual_mov_b32 v2, v9 :: v_dual_mov_b32 v3, v10
	s_and_saveexec_b32 s16, s0
; %bb.2249:                             ;   in Loop: Header=BB444_1478 Depth=1
	v_clz_i32_u32_e32 v2, v9
	s_delay_alu instid0(VALU_DEP_1) | instskip(NEXT) | instid1(VALU_DEP_1)
	v_min_u32_e32 v7, 32, v2
	v_subrev_nc_u32_e32 v2, 28, v7
	v_sub_nc_u32_e32 v7, 29, v7
	s_delay_alu instid0(VALU_DEP_2) | instskip(NEXT) | instid1(VALU_DEP_1)
	v_lshlrev_b64 v[2:3], v2, v[9:10]
	v_and_b32_e32 v2, 7, v2
; %bb.2250:                             ;   in Loop: Header=BB444_1478 Depth=1
	s_or_b32 exec_lo, exec_lo, s16
	v_lshlrev_b32_e32 v3, 24, v6
	s_delay_alu instid0(VALU_DEP_2) | instskip(SKIP_1) | instid1(VALU_DEP_3)
	v_lshlrev_b32_e32 v2, 20, v2
	v_lshl_add_u32 v6, v7, 23, 0x3c000000
	v_and_b32_e32 v3, 0x80000000, v3
	s_delay_alu instid0(VALU_DEP_1)
	v_or3_b32 v2, v2, v3, v6
.LBB444_2251:                           ;   in Loop: Header=BB444_1478 Depth=1
	s_or_b32 exec_lo, exec_lo, s15
.LBB444_2252:                           ;   in Loop: Header=BB444_1478 Depth=1
	s_delay_alu instid0(SALU_CYCLE_1)
	s_or_b32 exec_lo, exec_lo, s13
.LBB444_2253:                           ;   in Loop: Header=BB444_1478 Depth=1
	s_delay_alu instid0(SALU_CYCLE_1) | instskip(NEXT) | instid1(VALU_DEP_1)
	s_or_b32 exec_lo, exec_lo, s12
	v_mul_f32_e32 v3, v8, v2
	s_delay_alu instid0(VALU_DEP_1) | instskip(NEXT) | instid1(VALU_DEP_1)
	v_and_b32_e32 v2, 0x7f800000, v3
	v_cmp_ne_u32_e64 s0, 0x7f800000, v2
                                        ; implicit-def: $vgpr2
	s_delay_alu instid0(VALU_DEP_1) | instskip(NEXT) | instid1(SALU_CYCLE_1)
	s_and_saveexec_b32 s12, s0
	s_xor_b32 s0, exec_lo, s12
; %bb.2254:                             ;   in Loop: Header=BB444_1478 Depth=1
	v_bfe_u32 v2, v3, 16, 1
	s_delay_alu instid0(VALU_DEP_1)
	v_add3_u32 v2, v3, v2, 0x7fff
                                        ; implicit-def: $vgpr3
; %bb.2255:                             ;   in Loop: Header=BB444_1478 Depth=1
	s_and_not1_saveexec_b32 s12, s0
; %bb.2256:                             ;   in Loop: Header=BB444_1478 Depth=1
	v_and_b32_e32 v2, 0xffff, v3
	v_or_b32_e32 v6, 0x10000, v3
	s_delay_alu instid0(VALU_DEP_2) | instskip(NEXT) | instid1(VALU_DEP_1)
	v_cmp_eq_u32_e64 s0, 0, v2
	v_cndmask_b32_e64 v2, v6, v3, s0
; %bb.2257:                             ;   in Loop: Header=BB444_1478 Depth=1
	s_or_b32 exec_lo, exec_lo, s12
	v_lshrrev_b32_e32 v6, 16, v181
	v_lshrrev_b32_e32 v7, 16, v39
	;; [unrolled: 1-line block ×8, first 2 shown]
	s_and_saveexec_b32 s12, vcc_lo
	s_cbranch_execz .LBB444_2259
; %bb.2258:                             ;   in Loop: Header=BB444_1478 Depth=1
	v_cmp_lt_i32_e64 s0, v85, v38
	s_delay_alu instid0(VALU_DEP_1) | instskip(SKIP_1) | instid1(VALU_DEP_1)
	v_cndmask_b32_e64 v4, 0, v4, s0
	v_cmp_lt_i32_e64 s0, v100, v38
	v_cndmask_b32_e64 v5, 0, v5, s0
	v_cmp_lt_i32_e64 s0, v99, v38
	s_delay_alu instid0(VALU_DEP_1) | instskip(SKIP_1) | instid1(VALU_DEP_1)
	v_cndmask_b32_e64 v21, 0, v21, s0
	v_cmp_lt_i32_e64 s0, v98, v38
	v_cndmask_b32_e64 v9, 0, v9, s0
	;; [unrolled: 5-line block ×4, first 2 shown]
.LBB444_2259:                           ;   in Loop: Header=BB444_1478 Depth=1
	s_or_b32 exec_lo, exec_lo, s12
	v_lshlrev_b32_e32 v4, 16, v4
	s_delay_alu instid0(VALU_DEP_1) | instskip(NEXT) | instid1(VALU_DEP_1)
	v_mul_f32_e32 v37, v101, v4
	v_and_b32_e32 v4, 0x7f800000, v37
	s_delay_alu instid0(VALU_DEP_1) | instskip(NEXT) | instid1(VALU_DEP_1)
	v_cmp_ne_u32_e64 s0, 0x7f800000, v4
                                        ; implicit-def: $vgpr4
	s_and_saveexec_b32 s12, s0
	s_delay_alu instid0(SALU_CYCLE_1)
	s_xor_b32 s0, exec_lo, s12
; %bb.2260:                             ;   in Loop: Header=BB444_1478 Depth=1
	v_bfe_u32 v4, v37, 16, 1
	s_delay_alu instid0(VALU_DEP_1)
	v_add3_u32 v4, v37, v4, 0x7fff
                                        ; implicit-def: $vgpr37
; %bb.2261:                             ;   in Loop: Header=BB444_1478 Depth=1
	s_and_not1_saveexec_b32 s12, s0
; %bb.2262:                             ;   in Loop: Header=BB444_1478 Depth=1
	v_and_b32_e32 v4, 0xffff, v37
	v_or_b32_e32 v39, 0x10000, v37
	s_delay_alu instid0(VALU_DEP_2) | instskip(NEXT) | instid1(VALU_DEP_1)
	v_cmp_eq_u32_e64 s0, 0, v4
	v_cndmask_b32_e64 v4, v39, v37, s0
; %bb.2263:                             ;   in Loop: Header=BB444_1478 Depth=1
	s_or_b32 exec_lo, exec_lo, s12
	v_lshlrev_b32_e32 v5, 16, v5
	s_delay_alu instid0(VALU_DEP_1) | instskip(NEXT) | instid1(VALU_DEP_1)
	v_mul_f32_e32 v37, v102, v5
	v_and_b32_e32 v5, 0x7f800000, v37
	s_delay_alu instid0(VALU_DEP_1) | instskip(NEXT) | instid1(VALU_DEP_1)
	v_cmp_ne_u32_e64 s0, 0x7f800000, v5
                                        ; implicit-def: $vgpr5
	s_and_saveexec_b32 s12, s0
	s_delay_alu instid0(SALU_CYCLE_1)
	s_xor_b32 s0, exec_lo, s12
; %bb.2264:                             ;   in Loop: Header=BB444_1478 Depth=1
	v_bfe_u32 v5, v37, 16, 1
	s_delay_alu instid0(VALU_DEP_1)
	v_add3_u32 v5, v37, v5, 0x7fff
                                        ; implicit-def: $vgpr37
; %bb.2265:                             ;   in Loop: Header=BB444_1478 Depth=1
	s_and_not1_saveexec_b32 s12, s0
; %bb.2266:                             ;   in Loop: Header=BB444_1478 Depth=1
	v_and_b32_e32 v5, 0xffff, v37
	v_or_b32_e32 v39, 0x10000, v37
	s_delay_alu instid0(VALU_DEP_2) | instskip(NEXT) | instid1(VALU_DEP_1)
	v_cmp_eq_u32_e64 s0, 0, v5
	v_cndmask_b32_e64 v5, v39, v37, s0
; %bb.2267:                             ;   in Loop: Header=BB444_1478 Depth=1
	s_or_b32 exec_lo, exec_lo, s12
	v_lshlrev_b32_e32 v21, 16, v21
                                        ; implicit-def: $vgpr181
	s_delay_alu instid0(VALU_DEP_1) | instskip(NEXT) | instid1(VALU_DEP_1)
	v_mul_f32_e32 v21, v103, v21
	v_and_b32_e32 v37, 0x7f800000, v21
	s_delay_alu instid0(VALU_DEP_1) | instskip(NEXT) | instid1(VALU_DEP_1)
	v_cmp_ne_u32_e64 s0, 0x7f800000, v37
	s_and_saveexec_b32 s12, s0
	s_delay_alu instid0(SALU_CYCLE_1)
	s_xor_b32 s0, exec_lo, s12
; %bb.2268:                             ;   in Loop: Header=BB444_1478 Depth=1
	v_bfe_u32 v37, v21, 16, 1
	s_delay_alu instid0(VALU_DEP_1)
	v_add3_u32 v181, v21, v37, 0x7fff
                                        ; implicit-def: $vgpr21
; %bb.2269:                             ;   in Loop: Header=BB444_1478 Depth=1
	s_and_not1_saveexec_b32 s12, s0
; %bb.2270:                             ;   in Loop: Header=BB444_1478 Depth=1
	v_and_b32_e32 v37, 0xffff, v21
	v_or_b32_e32 v39, 0x10000, v21
	s_delay_alu instid0(VALU_DEP_2) | instskip(NEXT) | instid1(VALU_DEP_1)
	v_cmp_eq_u32_e64 s0, 0, v37
	v_cndmask_b32_e64 v181, v39, v21, s0
; %bb.2271:                             ;   in Loop: Header=BB444_1478 Depth=1
	s_or_b32 exec_lo, exec_lo, s12
	v_lshlrev_b32_e32 v9, 16, v9
                                        ; implicit-def: $vgpr182
	s_delay_alu instid0(VALU_DEP_1) | instskip(NEXT) | instid1(VALU_DEP_1)
	v_mul_f32_e32 v9, v112, v9
	v_and_b32_e32 v21, 0x7f800000, v9
	s_delay_alu instid0(VALU_DEP_1) | instskip(NEXT) | instid1(VALU_DEP_1)
	v_cmp_ne_u32_e64 s0, 0x7f800000, v21
	s_and_saveexec_b32 s12, s0
	s_delay_alu instid0(SALU_CYCLE_1)
	s_xor_b32 s0, exec_lo, s12
; %bb.2272:                             ;   in Loop: Header=BB444_1478 Depth=1
	v_bfe_u32 v21, v9, 16, 1
	s_delay_alu instid0(VALU_DEP_1)
	v_add3_u32 v182, v9, v21, 0x7fff
                                        ; implicit-def: $vgpr9
; %bb.2273:                             ;   in Loop: Header=BB444_1478 Depth=1
	s_and_not1_saveexec_b32 s12, s0
; %bb.2274:                             ;   in Loop: Header=BB444_1478 Depth=1
	v_and_b32_e32 v21, 0xffff, v9
	v_or_b32_e32 v37, 0x10000, v9
	s_delay_alu instid0(VALU_DEP_2) | instskip(NEXT) | instid1(VALU_DEP_1)
	v_cmp_eq_u32_e64 s0, 0, v21
	v_cndmask_b32_e64 v182, v37, v9, s0
; %bb.2275:                             ;   in Loop: Header=BB444_1478 Depth=1
	s_or_b32 exec_lo, exec_lo, s12
	v_lshlrev_b32_e32 v7, 16, v7
                                        ; implicit-def: $vgpr183
	s_delay_alu instid0(VALU_DEP_1) | instskip(NEXT) | instid1(VALU_DEP_1)
	v_mul_f32_e32 v7, v113, v7
	v_and_b32_e32 v9, 0x7f800000, v7
	s_delay_alu instid0(VALU_DEP_1) | instskip(NEXT) | instid1(VALU_DEP_1)
	v_cmp_ne_u32_e64 s0, 0x7f800000, v9
	s_and_saveexec_b32 s12, s0
	s_delay_alu instid0(SALU_CYCLE_1)
	s_xor_b32 s0, exec_lo, s12
; %bb.2276:                             ;   in Loop: Header=BB444_1478 Depth=1
	v_bfe_u32 v9, v7, 16, 1
	s_delay_alu instid0(VALU_DEP_1)
	v_add3_u32 v183, v7, v9, 0x7fff
                                        ; implicit-def: $vgpr7
; %bb.2277:                             ;   in Loop: Header=BB444_1478 Depth=1
	s_and_not1_saveexec_b32 s12, s0
; %bb.2278:                             ;   in Loop: Header=BB444_1478 Depth=1
	v_and_b32_e32 v9, 0xffff, v7
	v_or_b32_e32 v21, 0x10000, v7
	s_delay_alu instid0(VALU_DEP_2) | instskip(NEXT) | instid1(VALU_DEP_1)
	v_cmp_eq_u32_e64 s0, 0, v9
	v_cndmask_b32_e64 v183, v21, v7, s0
; %bb.2279:                             ;   in Loop: Header=BB444_1478 Depth=1
	s_or_b32 exec_lo, exec_lo, s12
	v_lshlrev_b32_e32 v6, 16, v6
                                        ; implicit-def: $vgpr40
	s_delay_alu instid0(VALU_DEP_1) | instskip(NEXT) | instid1(VALU_DEP_1)
	v_mul_f32_e32 v6, v114, v6
	v_and_b32_e32 v7, 0x7f800000, v6
	s_delay_alu instid0(VALU_DEP_1) | instskip(NEXT) | instid1(VALU_DEP_1)
	v_cmp_ne_u32_e64 s0, 0x7f800000, v7
	s_and_saveexec_b32 s12, s0
	s_delay_alu instid0(SALU_CYCLE_1)
	s_xor_b32 s0, exec_lo, s12
; %bb.2280:                             ;   in Loop: Header=BB444_1478 Depth=1
	v_bfe_u32 v7, v6, 16, 1
	s_delay_alu instid0(VALU_DEP_1)
	v_add3_u32 v40, v6, v7, 0x7fff
                                        ; implicit-def: $vgpr6
; %bb.2281:                             ;   in Loop: Header=BB444_1478 Depth=1
	s_and_not1_saveexec_b32 s12, s0
; %bb.2282:                             ;   in Loop: Header=BB444_1478 Depth=1
	v_and_b32_e32 v7, 0xffff, v6
	v_or_b32_e32 v9, 0x10000, v6
	s_delay_alu instid0(VALU_DEP_2) | instskip(NEXT) | instid1(VALU_DEP_1)
	v_cmp_eq_u32_e64 s0, 0, v7
	v_cndmask_b32_e64 v40, v9, v6, s0
; %bb.2283:                             ;   in Loop: Header=BB444_1478 Depth=1
	s_or_b32 exec_lo, exec_lo, s12
	v_lshlrev_b32_e32 v3, 16, v3
                                        ; implicit-def: $vgpr21
	s_delay_alu instid0(VALU_DEP_1) | instskip(NEXT) | instid1(VALU_DEP_1)
	v_mul_f32_e32 v3, v115, v3
	v_and_b32_e32 v6, 0x7f800000, v3
	s_delay_alu instid0(VALU_DEP_1) | instskip(NEXT) | instid1(VALU_DEP_1)
	v_cmp_ne_u32_e64 s0, 0x7f800000, v6
	s_and_saveexec_b32 s12, s0
	s_delay_alu instid0(SALU_CYCLE_1)
	s_xor_b32 s0, exec_lo, s12
; %bb.2284:                             ;   in Loop: Header=BB444_1478 Depth=1
	v_bfe_u32 v6, v3, 16, 1
	s_delay_alu instid0(VALU_DEP_1)
	v_add3_u32 v21, v3, v6, 0x7fff
                                        ; implicit-def: $vgpr3
; %bb.2285:                             ;   in Loop: Header=BB444_1478 Depth=1
	s_and_not1_saveexec_b32 s12, s0
; %bb.2286:                             ;   in Loop: Header=BB444_1478 Depth=1
	v_and_b32_e32 v6, 0xffff, v3
	v_or_b32_e32 v7, 0x10000, v3
	s_delay_alu instid0(VALU_DEP_2) | instskip(NEXT) | instid1(VALU_DEP_1)
	v_cmp_eq_u32_e64 s0, 0, v6
	v_cndmask_b32_e64 v21, v7, v3, s0
; %bb.2287:                             ;   in Loop: Header=BB444_1478 Depth=1
	s_or_b32 exec_lo, exec_lo, s12
	v_lshlrev_b32_e32 v2, 16, v2
                                        ; implicit-def: $vgpr41
	s_delay_alu instid0(VALU_DEP_1) | instskip(NEXT) | instid1(VALU_DEP_1)
	v_mul_f32_e32 v2, v116, v2
	v_and_b32_e32 v3, 0x7f800000, v2
	s_delay_alu instid0(VALU_DEP_1) | instskip(NEXT) | instid1(VALU_DEP_1)
	v_cmp_ne_u32_e64 s0, 0x7f800000, v3
	s_and_saveexec_b32 s12, s0
	s_delay_alu instid0(SALU_CYCLE_1)
	s_xor_b32 s0, exec_lo, s12
; %bb.2288:                             ;   in Loop: Header=BB444_1478 Depth=1
	v_bfe_u32 v3, v2, 16, 1
	s_delay_alu instid0(VALU_DEP_1)
	v_add3_u32 v41, v2, v3, 0x7fff
                                        ; implicit-def: $vgpr2
; %bb.2289:                             ;   in Loop: Header=BB444_1478 Depth=1
	s_and_not1_saveexec_b32 s12, s0
; %bb.2290:                             ;   in Loop: Header=BB444_1478 Depth=1
	v_and_b32_e32 v3, 0xffff, v2
	v_or_b32_e32 v6, 0x10000, v2
	s_delay_alu instid0(VALU_DEP_2) | instskip(NEXT) | instid1(VALU_DEP_1)
	v_cmp_eq_u32_e64 s0, 0, v3
	v_cndmask_b32_e64 v41, v6, v2, s0
; %bb.2291:                             ;   in Loop: Header=BB444_1478 Depth=1
	s_or_b32 exec_lo, exec_lo, s12
	flat_load_b64 v[2:3], v[0:1] offset:1536
	s_mov_b32 s12, exec_lo
	s_waitcnt vmcnt(0) lgkmcnt(0)
	v_dual_mov_b32 v6, 0 :: v_dual_and_b32 v7, 0xff, v2
	s_delay_alu instid0(VALU_DEP_1)
	v_cmpx_ne_u16_e32 0, v7
	s_cbranch_execz .LBB444_2299
; %bb.2292:                             ;   in Loop: Header=BB444_1478 Depth=1
	v_bfrev_b32_e32 v6, 1
	s_mov_b32 s13, exec_lo
	v_cmpx_ne_u16_e32 0x80, v7
	s_cbranch_execz .LBB444_2298
; %bb.2293:                             ;   in Loop: Header=BB444_1478 Depth=1
	v_and_b32_e32 v7, 0x7f, v2
	v_mov_b32_e32 v6, 0x7f800001
	s_mov_b32 s15, exec_lo
	s_delay_alu instid0(VALU_DEP_2)
	v_cmpx_ne_u32_e32 0x7f, v7
	s_cbranch_execz .LBB444_2297
; %bb.2294:                             ;   in Loop: Header=BB444_1478 Depth=1
	v_lshrrev_b32_e32 v9, 3, v7
	v_cmp_gt_u32_e64 s0, 8, v7
	v_dual_mov_b32 v7, v3 :: v_dual_mov_b32 v6, v2
	s_delay_alu instid0(VALU_DEP_2)
	s_and_saveexec_b32 s16, s0
; %bb.2295:                             ;   in Loop: Header=BB444_1478 Depth=1
	v_and_b32_e32 v6, 7, v2
	s_delay_alu instid0(VALU_DEP_1) | instskip(NEXT) | instid1(VALU_DEP_1)
	v_clz_i32_u32_e32 v6, v6
	v_min_u32_e32 v9, 32, v6
	s_delay_alu instid0(VALU_DEP_1) | instskip(SKIP_1) | instid1(VALU_DEP_2)
	v_subrev_nc_u32_e32 v6, 28, v9
	v_sub_nc_u32_e32 v9, 29, v9
	v_lshlrev_b64 v[6:7], v6, v[2:3]
; %bb.2296:                             ;   in Loop: Header=BB444_1478 Depth=1
	s_or_b32 exec_lo, exec_lo, s16
	s_delay_alu instid0(VALU_DEP_1) | instskip(SKIP_2) | instid1(VALU_DEP_3)
	v_lshlrev_b32_e32 v6, 20, v6
	v_lshlrev_b32_e32 v7, 24, v2
	v_lshl_add_u32 v9, v9, 23, 0x3c000000
	v_and_b32_e32 v6, 0x700000, v6
	s_delay_alu instid0(VALU_DEP_3) | instskip(NEXT) | instid1(VALU_DEP_1)
	v_and_b32_e32 v7, 0x80000000, v7
	v_or3_b32 v6, v6, v7, v9
.LBB444_2297:                           ;   in Loop: Header=BB444_1478 Depth=1
	s_or_b32 exec_lo, exec_lo, s15
.LBB444_2298:                           ;   in Loop: Header=BB444_1478 Depth=1
	s_delay_alu instid0(SALU_CYCLE_1)
	s_or_b32 exec_lo, exec_lo, s13
.LBB444_2299:                           ;   in Loop: Header=BB444_1478 Depth=1
	s_delay_alu instid0(SALU_CYCLE_1) | instskip(NEXT) | instid1(VALU_DEP_1)
	s_or_b32 exec_lo, exec_lo, s12
	v_mul_f32_e32 v6, v8, v6
                                        ; implicit-def: $vgpr37
	s_delay_alu instid0(VALU_DEP_1) | instskip(NEXT) | instid1(VALU_DEP_1)
	v_and_b32_e32 v7, 0x7f800000, v6
	v_cmp_ne_u32_e64 s0, 0x7f800000, v7
	s_delay_alu instid0(VALU_DEP_1) | instskip(NEXT) | instid1(SALU_CYCLE_1)
	s_and_saveexec_b32 s12, s0
	s_xor_b32 s0, exec_lo, s12
; %bb.2300:                             ;   in Loop: Header=BB444_1478 Depth=1
	v_bfe_u32 v7, v6, 16, 1
	s_delay_alu instid0(VALU_DEP_1)
	v_add3_u32 v37, v6, v7, 0x7fff
                                        ; implicit-def: $vgpr6
; %bb.2301:                             ;   in Loop: Header=BB444_1478 Depth=1
	s_and_not1_saveexec_b32 s12, s0
; %bb.2302:                             ;   in Loop: Header=BB444_1478 Depth=1
	v_and_b32_e32 v7, 0xffff, v6
	v_or_b32_e32 v9, 0x10000, v6
	s_delay_alu instid0(VALU_DEP_2) | instskip(NEXT) | instid1(VALU_DEP_1)
	v_cmp_eq_u32_e64 s0, 0, v7
	v_cndmask_b32_e64 v37, v9, v6, s0
; %bb.2303:                             ;   in Loop: Header=BB444_1478 Depth=1
	s_or_b32 exec_lo, exec_lo, s12
	v_lshrrev_b16 v7, 8, v2
	v_mov_b32_e32 v6, 0
	s_mov_b32 s12, exec_lo
	s_delay_alu instid0(VALU_DEP_2)
	v_cmpx_ne_u16_e32 0, v7
	s_cbranch_execz .LBB444_2311
; %bb.2304:                             ;   in Loop: Header=BB444_1478 Depth=1
	v_bfrev_b32_e32 v6, 1
	s_mov_b32 s13, exec_lo
	v_cmpx_ne_u16_e32 0x80, v7
	s_cbranch_execz .LBB444_2310
; %bb.2305:                             ;   in Loop: Header=BB444_1478 Depth=1
	v_and_b32_e32 v9, 0xffff, v7
	v_mov_b32_e32 v6, 0x7f800001
	s_mov_b32 s15, exec_lo
	s_delay_alu instid0(VALU_DEP_2) | instskip(NEXT) | instid1(VALU_DEP_1)
	v_and_b32_e32 v7, 0x7f, v9
	v_cmpx_ne_u32_e32 0x7f, v7
	s_cbranch_execz .LBB444_2309
; %bb.2306:                             ;   in Loop: Header=BB444_1478 Depth=1
	v_and_b32_e32 v9, 7, v9
	v_lshrrev_b32_e32 v39, 3, v7
	v_cmp_gt_u32_e64 s0, 8, v7
	s_delay_alu instid0(VALU_DEP_3) | instskip(NEXT) | instid1(VALU_DEP_2)
	v_dual_mov_b32 v6, v9 :: v_dual_mov_b32 v7, v10
	s_and_saveexec_b32 s16, s0
; %bb.2307:                             ;   in Loop: Header=BB444_1478 Depth=1
	v_clz_i32_u32_e32 v6, v9
	s_delay_alu instid0(VALU_DEP_1) | instskip(NEXT) | instid1(VALU_DEP_1)
	v_min_u32_e32 v39, 32, v6
	v_subrev_nc_u32_e32 v6, 28, v39
	v_sub_nc_u32_e32 v39, 29, v39
	s_delay_alu instid0(VALU_DEP_2) | instskip(NEXT) | instid1(VALU_DEP_1)
	v_lshlrev_b64 v[6:7], v6, v[9:10]
	v_and_b32_e32 v6, 7, v6
; %bb.2308:                             ;   in Loop: Header=BB444_1478 Depth=1
	s_or_b32 exec_lo, exec_lo, s16
	v_lshlrev_b32_e32 v7, 16, v2
	s_delay_alu instid0(VALU_DEP_2) | instskip(SKIP_1) | instid1(VALU_DEP_3)
	v_lshlrev_b32_e32 v6, 20, v6
	v_lshl_add_u32 v9, v39, 23, 0x3c000000
	v_and_b32_e32 v7, 0x80000000, v7
	s_delay_alu instid0(VALU_DEP_1)
	v_or3_b32 v6, v6, v7, v9
.LBB444_2309:                           ;   in Loop: Header=BB444_1478 Depth=1
	s_or_b32 exec_lo, exec_lo, s15
.LBB444_2310:                           ;   in Loop: Header=BB444_1478 Depth=1
	s_delay_alu instid0(SALU_CYCLE_1)
	s_or_b32 exec_lo, exec_lo, s13
.LBB444_2311:                           ;   in Loop: Header=BB444_1478 Depth=1
	s_delay_alu instid0(SALU_CYCLE_1) | instskip(NEXT) | instid1(VALU_DEP_1)
	s_or_b32 exec_lo, exec_lo, s12
	v_mul_f32_e32 v6, v8, v6
                                        ; implicit-def: $vgpr39
	s_delay_alu instid0(VALU_DEP_1) | instskip(NEXT) | instid1(VALU_DEP_1)
	v_and_b32_e32 v7, 0x7f800000, v6
	v_cmp_ne_u32_e64 s0, 0x7f800000, v7
	s_delay_alu instid0(VALU_DEP_1) | instskip(NEXT) | instid1(SALU_CYCLE_1)
	s_and_saveexec_b32 s12, s0
	s_xor_b32 s0, exec_lo, s12
; %bb.2312:                             ;   in Loop: Header=BB444_1478 Depth=1
	v_bfe_u32 v7, v6, 16, 1
	s_delay_alu instid0(VALU_DEP_1)
	v_add3_u32 v39, v6, v7, 0x7fff
                                        ; implicit-def: $vgpr6
; %bb.2313:                             ;   in Loop: Header=BB444_1478 Depth=1
	s_and_not1_saveexec_b32 s12, s0
; %bb.2314:                             ;   in Loop: Header=BB444_1478 Depth=1
	v_and_b32_e32 v7, 0xffff, v6
	v_or_b32_e32 v9, 0x10000, v6
	s_delay_alu instid0(VALU_DEP_2) | instskip(NEXT) | instid1(VALU_DEP_1)
	v_cmp_eq_u32_e64 s0, 0, v7
	v_cndmask_b32_e64 v39, v9, v6, s0
; %bb.2315:                             ;   in Loop: Header=BB444_1478 Depth=1
	s_or_b32 exec_lo, exec_lo, s12
	v_lshrrev_b32_e32 v42, 16, v2
	s_mov_b32 s12, exec_lo
	s_delay_alu instid0(VALU_DEP_1) | instskip(NEXT) | instid1(VALU_DEP_1)
	v_dual_mov_b32 v6, 0 :: v_dual_and_b32 v7, 0xff, v42
	v_cmpx_ne_u16_e32 0, v7
	s_cbranch_execz .LBB444_2323
; %bb.2316:                             ;   in Loop: Header=BB444_1478 Depth=1
	v_bfrev_b32_e32 v6, 1
	s_mov_b32 s13, exec_lo
	v_cmpx_ne_u16_e32 0x80, v7
	s_cbranch_execz .LBB444_2322
; %bb.2317:                             ;   in Loop: Header=BB444_1478 Depth=1
	v_bfe_u32 v7, v2, 16, 7
	v_mov_b32_e32 v6, 0x7f800001
	s_mov_b32 s15, exec_lo
	s_delay_alu instid0(VALU_DEP_2)
	v_cmpx_ne_u32_e32 0x7f, v7
	s_cbranch_execz .LBB444_2321
; %bb.2318:                             ;   in Loop: Header=BB444_1478 Depth=1
	v_and_b32_e32 v9, 7, v42
	v_lshrrev_b32_e32 v43, 3, v7
	v_cmp_gt_u32_e64 s0, 8, v7
	s_delay_alu instid0(VALU_DEP_3) | instskip(NEXT) | instid1(VALU_DEP_2)
	v_dual_mov_b32 v6, v9 :: v_dual_mov_b32 v7, v10
	s_and_saveexec_b32 s16, s0
; %bb.2319:                             ;   in Loop: Header=BB444_1478 Depth=1
	v_clz_i32_u32_e32 v6, v9
	s_delay_alu instid0(VALU_DEP_1) | instskip(NEXT) | instid1(VALU_DEP_1)
	v_min_u32_e32 v43, 32, v6
	v_subrev_nc_u32_e32 v6, 28, v43
	v_sub_nc_u32_e32 v43, 29, v43
	s_delay_alu instid0(VALU_DEP_2) | instskip(NEXT) | instid1(VALU_DEP_1)
	v_lshlrev_b64 v[6:7], v6, v[9:10]
	v_and_b32_e32 v6, 7, v6
; %bb.2320:                             ;   in Loop: Header=BB444_1478 Depth=1
	s_or_b32 exec_lo, exec_lo, s16
	v_lshlrev_b32_e32 v7, 24, v42
	s_delay_alu instid0(VALU_DEP_2) | instskip(SKIP_1) | instid1(VALU_DEP_3)
	v_lshlrev_b32_e32 v6, 20, v6
	v_lshl_add_u32 v9, v43, 23, 0x3c000000
	v_and_b32_e32 v7, 0x80000000, v7
	s_delay_alu instid0(VALU_DEP_1)
	v_or3_b32 v6, v6, v7, v9
.LBB444_2321:                           ;   in Loop: Header=BB444_1478 Depth=1
	s_or_b32 exec_lo, exec_lo, s15
.LBB444_2322:                           ;   in Loop: Header=BB444_1478 Depth=1
	s_delay_alu instid0(SALU_CYCLE_1)
	s_or_b32 exec_lo, exec_lo, s13
.LBB444_2323:                           ;   in Loop: Header=BB444_1478 Depth=1
	s_delay_alu instid0(SALU_CYCLE_1) | instskip(NEXT) | instid1(VALU_DEP_1)
	s_or_b32 exec_lo, exec_lo, s12
	v_mul_f32_e32 v6, v8, v6
                                        ; implicit-def: $vgpr42
	s_delay_alu instid0(VALU_DEP_1) | instskip(NEXT) | instid1(VALU_DEP_1)
	v_and_b32_e32 v7, 0x7f800000, v6
	v_cmp_ne_u32_e64 s0, 0x7f800000, v7
	s_delay_alu instid0(VALU_DEP_1) | instskip(NEXT) | instid1(SALU_CYCLE_1)
	s_and_saveexec_b32 s12, s0
	s_xor_b32 s0, exec_lo, s12
; %bb.2324:                             ;   in Loop: Header=BB444_1478 Depth=1
	v_bfe_u32 v7, v6, 16, 1
	s_delay_alu instid0(VALU_DEP_1)
	v_add3_u32 v42, v6, v7, 0x7fff
                                        ; implicit-def: $vgpr6
; %bb.2325:                             ;   in Loop: Header=BB444_1478 Depth=1
	s_and_not1_saveexec_b32 s12, s0
; %bb.2326:                             ;   in Loop: Header=BB444_1478 Depth=1
	v_and_b32_e32 v7, 0xffff, v6
	v_or_b32_e32 v9, 0x10000, v6
	s_delay_alu instid0(VALU_DEP_2) | instskip(NEXT) | instid1(VALU_DEP_1)
	v_cmp_eq_u32_e64 s0, 0, v7
	v_cndmask_b32_e64 v42, v9, v6, s0
; %bb.2327:                             ;   in Loop: Header=BB444_1478 Depth=1
	s_or_b32 exec_lo, exec_lo, s12
	v_mov_b32_e32 v6, 0
	s_mov_b32 s12, exec_lo
	v_cmpx_lt_u32_e32 0xffffff, v2
	s_cbranch_execz .LBB444_2335
; %bb.2328:                             ;   in Loop: Header=BB444_1478 Depth=1
	v_lshrrev_b32_e32 v43, 24, v2
	v_bfrev_b32_e32 v6, 1
	s_mov_b32 s13, exec_lo
	s_delay_alu instid0(VALU_DEP_2)
	v_cmpx_ne_u32_e32 0x80, v43
	s_cbranch_execz .LBB444_2334
; %bb.2329:                             ;   in Loop: Header=BB444_1478 Depth=1
	v_bfe_u32 v7, v2, 24, 7
	v_mov_b32_e32 v6, 0x7f800001
	s_mov_b32 s15, exec_lo
	s_delay_alu instid0(VALU_DEP_2)
	v_cmpx_ne_u32_e32 0x7f, v7
	s_cbranch_execz .LBB444_2333
; %bb.2330:                             ;   in Loop: Header=BB444_1478 Depth=1
	v_and_b32_e32 v9, 7, v43
	v_lshrrev_b32_e32 v44, 3, v7
	v_cmp_gt_u32_e64 s0, 8, v7
	s_delay_alu instid0(VALU_DEP_3) | instskip(NEXT) | instid1(VALU_DEP_2)
	v_dual_mov_b32 v6, v9 :: v_dual_mov_b32 v7, v10
	s_and_saveexec_b32 s16, s0
; %bb.2331:                             ;   in Loop: Header=BB444_1478 Depth=1
	v_clz_i32_u32_e32 v6, v9
	s_delay_alu instid0(VALU_DEP_1) | instskip(NEXT) | instid1(VALU_DEP_1)
	v_min_u32_e32 v44, 32, v6
	v_subrev_nc_u32_e32 v6, 28, v44
	v_sub_nc_u32_e32 v44, 29, v44
	s_delay_alu instid0(VALU_DEP_2) | instskip(NEXT) | instid1(VALU_DEP_1)
	v_lshlrev_b64 v[6:7], v6, v[9:10]
	v_and_b32_e32 v6, 7, v6
; %bb.2332:                             ;   in Loop: Header=BB444_1478 Depth=1
	s_or_b32 exec_lo, exec_lo, s16
	v_lshlrev_b32_e32 v7, 24, v43
	s_delay_alu instid0(VALU_DEP_2) | instskip(SKIP_1) | instid1(VALU_DEP_3)
	v_lshlrev_b32_e32 v6, 20, v6
	v_lshl_add_u32 v9, v44, 23, 0x3c000000
	v_and_b32_e32 v7, 0x80000000, v7
	s_delay_alu instid0(VALU_DEP_1)
	v_or3_b32 v6, v6, v7, v9
.LBB444_2333:                           ;   in Loop: Header=BB444_1478 Depth=1
	s_or_b32 exec_lo, exec_lo, s15
.LBB444_2334:                           ;   in Loop: Header=BB444_1478 Depth=1
	s_delay_alu instid0(SALU_CYCLE_1)
	s_or_b32 exec_lo, exec_lo, s13
.LBB444_2335:                           ;   in Loop: Header=BB444_1478 Depth=1
	s_delay_alu instid0(SALU_CYCLE_1) | instskip(NEXT) | instid1(VALU_DEP_1)
	s_or_b32 exec_lo, exec_lo, s12
	v_mul_f32_e32 v6, v8, v6
                                        ; implicit-def: $vgpr43
	s_delay_alu instid0(VALU_DEP_1) | instskip(NEXT) | instid1(VALU_DEP_1)
	v_and_b32_e32 v7, 0x7f800000, v6
	v_cmp_ne_u32_e64 s0, 0x7f800000, v7
	s_delay_alu instid0(VALU_DEP_1) | instskip(NEXT) | instid1(SALU_CYCLE_1)
	s_and_saveexec_b32 s12, s0
	s_xor_b32 s0, exec_lo, s12
; %bb.2336:                             ;   in Loop: Header=BB444_1478 Depth=1
	v_bfe_u32 v7, v6, 16, 1
	s_delay_alu instid0(VALU_DEP_1)
	v_add3_u32 v43, v6, v7, 0x7fff
                                        ; implicit-def: $vgpr6
; %bb.2337:                             ;   in Loop: Header=BB444_1478 Depth=1
	s_and_not1_saveexec_b32 s12, s0
; %bb.2338:                             ;   in Loop: Header=BB444_1478 Depth=1
	v_and_b32_e32 v7, 0xffff, v6
	v_or_b32_e32 v9, 0x10000, v6
	s_delay_alu instid0(VALU_DEP_2) | instskip(NEXT) | instid1(VALU_DEP_1)
	v_cmp_eq_u32_e64 s0, 0, v7
	v_cndmask_b32_e64 v43, v9, v6, s0
; %bb.2339:                             ;   in Loop: Header=BB444_1478 Depth=1
	s_or_b32 exec_lo, exec_lo, s12
	v_dual_mov_b32 v6, 0 :: v_dual_and_b32 v7, 0xff, v3
	v_mov_b32_e32 v9, v3
	s_mov_b32 s12, exec_lo
	s_delay_alu instid0(VALU_DEP_2)
	v_cmpx_ne_u16_e32 0, v7
	s_cbranch_execz .LBB444_2347
; %bb.2340:                             ;   in Loop: Header=BB444_1478 Depth=1
	v_bfrev_b32_e32 v6, 1
	s_mov_b32 s13, exec_lo
	v_cmpx_ne_u16_e32 0x80, v7
	s_cbranch_execz .LBB444_2346
; %bb.2341:                             ;   in Loop: Header=BB444_1478 Depth=1
	v_and_b32_e32 v7, 0x7f, v3
	v_mov_b32_e32 v6, 0x7f800001
	s_mov_b32 s15, exec_lo
	s_delay_alu instid0(VALU_DEP_2)
	v_cmpx_ne_u32_e32 0x7f, v7
	s_cbranch_execz .LBB444_2345
; %bb.2342:                             ;   in Loop: Header=BB444_1478 Depth=1
	v_lshrrev_b32_e32 v44, 3, v7
	v_cmp_gt_u32_e64 s0, 8, v7
	v_dual_mov_b32 v6, v9 :: v_dual_mov_b32 v7, v10
	s_delay_alu instid0(VALU_DEP_2)
	s_and_saveexec_b32 s16, s0
; %bb.2343:                             ;   in Loop: Header=BB444_1478 Depth=1
	v_and_b32_e32 v6, 7, v3
	s_delay_alu instid0(VALU_DEP_1) | instskip(NEXT) | instid1(VALU_DEP_1)
	v_clz_i32_u32_e32 v6, v6
	v_min_u32_e32 v44, 32, v6
	s_delay_alu instid0(VALU_DEP_1) | instskip(SKIP_1) | instid1(VALU_DEP_2)
	v_subrev_nc_u32_e32 v6, 28, v44
	v_sub_nc_u32_e32 v44, 29, v44
	v_lshlrev_b64 v[6:7], v6, v[9:10]
; %bb.2344:                             ;   in Loop: Header=BB444_1478 Depth=1
	s_or_b32 exec_lo, exec_lo, s16
	s_delay_alu instid0(VALU_DEP_1) | instskip(SKIP_2) | instid1(VALU_DEP_3)
	v_lshlrev_b32_e32 v6, 20, v6
	v_lshlrev_b32_e32 v7, 24, v9
	v_lshl_add_u32 v44, v44, 23, 0x3c000000
	v_and_b32_e32 v6, 0x700000, v6
	s_delay_alu instid0(VALU_DEP_3) | instskip(NEXT) | instid1(VALU_DEP_1)
	v_and_b32_e32 v7, 0x80000000, v7
	v_or3_b32 v6, v6, v7, v44
.LBB444_2345:                           ;   in Loop: Header=BB444_1478 Depth=1
	s_or_b32 exec_lo, exec_lo, s15
.LBB444_2346:                           ;   in Loop: Header=BB444_1478 Depth=1
	s_delay_alu instid0(SALU_CYCLE_1)
	s_or_b32 exec_lo, exec_lo, s13
.LBB444_2347:                           ;   in Loop: Header=BB444_1478 Depth=1
	s_delay_alu instid0(SALU_CYCLE_1) | instskip(NEXT) | instid1(VALU_DEP_1)
	s_or_b32 exec_lo, exec_lo, s12
	v_mul_f32_e32 v6, v8, v6
                                        ; implicit-def: $vgpr44
	s_delay_alu instid0(VALU_DEP_1) | instskip(NEXT) | instid1(VALU_DEP_1)
	v_and_b32_e32 v7, 0x7f800000, v6
	v_cmp_ne_u32_e64 s0, 0x7f800000, v7
	s_delay_alu instid0(VALU_DEP_1) | instskip(NEXT) | instid1(SALU_CYCLE_1)
	s_and_saveexec_b32 s12, s0
	s_xor_b32 s0, exec_lo, s12
; %bb.2348:                             ;   in Loop: Header=BB444_1478 Depth=1
	v_bfe_u32 v7, v6, 16, 1
	s_delay_alu instid0(VALU_DEP_1)
	v_add3_u32 v44, v6, v7, 0x7fff
                                        ; implicit-def: $vgpr6
; %bb.2349:                             ;   in Loop: Header=BB444_1478 Depth=1
	s_and_not1_saveexec_b32 s12, s0
; %bb.2350:                             ;   in Loop: Header=BB444_1478 Depth=1
	v_and_b32_e32 v7, 0xffff, v6
	v_or_b32_e32 v44, 0x10000, v6
	s_delay_alu instid0(VALU_DEP_2) | instskip(NEXT) | instid1(VALU_DEP_1)
	v_cmp_eq_u32_e64 s0, 0, v7
	v_cndmask_b32_e64 v44, v44, v6, s0
; %bb.2351:                             ;   in Loop: Header=BB444_1478 Depth=1
	s_or_b32 exec_lo, exec_lo, s12
	v_lshrrev_b16 v7, 8, v9
	v_mov_b32_e32 v6, 0
	s_mov_b32 s12, exec_lo
	s_delay_alu instid0(VALU_DEP_2)
	v_cmpx_ne_u16_e32 0, v7
	s_cbranch_execz .LBB444_2359
; %bb.2352:                             ;   in Loop: Header=BB444_1478 Depth=1
	v_bfrev_b32_e32 v6, 1
	s_mov_b32 s13, exec_lo
	v_cmpx_ne_u16_e32 0x80, v7
	s_cbranch_execz .LBB444_2358
; %bb.2353:                             ;   in Loop: Header=BB444_1478 Depth=1
	v_and_b32_e32 v7, 0xffff, v7
	v_mov_b32_e32 v6, 0x7f800001
	s_mov_b32 s15, exec_lo
	s_delay_alu instid0(VALU_DEP_2) | instskip(NEXT) | instid1(VALU_DEP_1)
	v_and_b32_e32 v46, 0x7f, v7
	v_cmpx_ne_u32_e32 0x7f, v46
	s_cbranch_execz .LBB444_2357
; %bb.2354:                             ;   in Loop: Header=BB444_1478 Depth=1
	v_dual_mov_b32 v7, v10 :: v_dual_and_b32 v6, 7, v7
	v_lshrrev_b32_e32 v45, 3, v46
	s_mov_b32 s16, exec_lo
	v_cmpx_gt_u32_e32 8, v46
; %bb.2355:                             ;   in Loop: Header=BB444_1478 Depth=1
	s_delay_alu instid0(VALU_DEP_3) | instskip(NEXT) | instid1(VALU_DEP_1)
	v_clz_i32_u32_e32 v45, v6
	v_min_u32_e32 v45, 32, v45
	s_delay_alu instid0(VALU_DEP_1) | instskip(SKIP_1) | instid1(VALU_DEP_2)
	v_subrev_nc_u32_e32 v46, 28, v45
	v_sub_nc_u32_e32 v45, 29, v45
	v_lshlrev_b64 v[6:7], v46, v[6:7]
	s_delay_alu instid0(VALU_DEP_1)
	v_and_b32_e32 v6, 7, v6
; %bb.2356:                             ;   in Loop: Header=BB444_1478 Depth=1
	s_or_b32 exec_lo, exec_lo, s16
	v_lshlrev_b32_e32 v7, 16, v9
	s_delay_alu instid0(VALU_DEP_2) | instskip(SKIP_1) | instid1(VALU_DEP_3)
	v_lshlrev_b32_e32 v6, 20, v6
	v_lshl_add_u32 v9, v45, 23, 0x3c000000
	v_and_b32_e32 v7, 0x80000000, v7
	s_delay_alu instid0(VALU_DEP_1)
	v_or3_b32 v6, v6, v7, v9
.LBB444_2357:                           ;   in Loop: Header=BB444_1478 Depth=1
	s_or_b32 exec_lo, exec_lo, s15
.LBB444_2358:                           ;   in Loop: Header=BB444_1478 Depth=1
	s_delay_alu instid0(SALU_CYCLE_1)
	s_or_b32 exec_lo, exec_lo, s13
.LBB444_2359:                           ;   in Loop: Header=BB444_1478 Depth=1
	s_delay_alu instid0(SALU_CYCLE_1) | instskip(NEXT) | instid1(VALU_DEP_1)
	s_or_b32 exec_lo, exec_lo, s12
	v_mul_f32_e32 v6, v8, v6
                                        ; implicit-def: $vgpr45
	s_delay_alu instid0(VALU_DEP_1) | instskip(NEXT) | instid1(VALU_DEP_1)
	v_and_b32_e32 v7, 0x7f800000, v6
	v_cmp_ne_u32_e64 s0, 0x7f800000, v7
	s_delay_alu instid0(VALU_DEP_1) | instskip(NEXT) | instid1(SALU_CYCLE_1)
	s_and_saveexec_b32 s12, s0
	s_xor_b32 s0, exec_lo, s12
; %bb.2360:                             ;   in Loop: Header=BB444_1478 Depth=1
	v_bfe_u32 v7, v6, 16, 1
	s_delay_alu instid0(VALU_DEP_1)
	v_add3_u32 v45, v6, v7, 0x7fff
                                        ; implicit-def: $vgpr6
; %bb.2361:                             ;   in Loop: Header=BB444_1478 Depth=1
	s_and_not1_saveexec_b32 s12, s0
; %bb.2362:                             ;   in Loop: Header=BB444_1478 Depth=1
	v_and_b32_e32 v7, 0xffff, v6
	v_or_b32_e32 v9, 0x10000, v6
	s_delay_alu instid0(VALU_DEP_2) | instskip(NEXT) | instid1(VALU_DEP_1)
	v_cmp_eq_u32_e64 s0, 0, v7
	v_cndmask_b32_e64 v45, v9, v6, s0
; %bb.2363:                             ;   in Loop: Header=BB444_1478 Depth=1
	s_or_b32 exec_lo, exec_lo, s12
	v_lshrrev_b32_e32 v46, 16, v3
	s_mov_b32 s12, exec_lo
	s_delay_alu instid0(VALU_DEP_1) | instskip(NEXT) | instid1(VALU_DEP_1)
	v_dual_mov_b32 v6, 0 :: v_dual_and_b32 v7, 0xff, v46
	v_cmpx_ne_u16_e32 0, v7
	s_cbranch_execz .LBB444_2371
; %bb.2364:                             ;   in Loop: Header=BB444_1478 Depth=1
	v_bfrev_b32_e32 v6, 1
	s_mov_b32 s13, exec_lo
	v_cmpx_ne_u16_e32 0x80, v7
	s_cbranch_execz .LBB444_2370
; %bb.2365:                             ;   in Loop: Header=BB444_1478 Depth=1
	v_bfe_u32 v7, v3, 16, 7
	v_mov_b32_e32 v6, 0x7f800001
	s_mov_b32 s15, exec_lo
	s_delay_alu instid0(VALU_DEP_2)
	v_cmpx_ne_u32_e32 0x7f, v7
	s_cbranch_execz .LBB444_2369
; %bb.2366:                             ;   in Loop: Header=BB444_1478 Depth=1
	v_and_b32_e32 v9, 7, v46
	v_lshrrev_b32_e32 v47, 3, v7
	v_cmp_gt_u32_e64 s0, 8, v7
	s_delay_alu instid0(VALU_DEP_3) | instskip(NEXT) | instid1(VALU_DEP_2)
	v_dual_mov_b32 v6, v9 :: v_dual_mov_b32 v7, v10
	s_and_saveexec_b32 s16, s0
; %bb.2367:                             ;   in Loop: Header=BB444_1478 Depth=1
	v_clz_i32_u32_e32 v6, v9
	s_delay_alu instid0(VALU_DEP_1) | instskip(NEXT) | instid1(VALU_DEP_1)
	v_min_u32_e32 v47, 32, v6
	v_subrev_nc_u32_e32 v6, 28, v47
	v_sub_nc_u32_e32 v47, 29, v47
	s_delay_alu instid0(VALU_DEP_2) | instskip(NEXT) | instid1(VALU_DEP_1)
	v_lshlrev_b64 v[6:7], v6, v[9:10]
	v_and_b32_e32 v6, 7, v6
; %bb.2368:                             ;   in Loop: Header=BB444_1478 Depth=1
	s_or_b32 exec_lo, exec_lo, s16
	v_lshlrev_b32_e32 v7, 24, v46
	s_delay_alu instid0(VALU_DEP_2) | instskip(SKIP_1) | instid1(VALU_DEP_3)
	v_lshlrev_b32_e32 v6, 20, v6
	v_lshl_add_u32 v9, v47, 23, 0x3c000000
	v_and_b32_e32 v7, 0x80000000, v7
	s_delay_alu instid0(VALU_DEP_1)
	v_or3_b32 v6, v6, v7, v9
.LBB444_2369:                           ;   in Loop: Header=BB444_1478 Depth=1
	s_or_b32 exec_lo, exec_lo, s15
.LBB444_2370:                           ;   in Loop: Header=BB444_1478 Depth=1
	s_delay_alu instid0(SALU_CYCLE_1)
	s_or_b32 exec_lo, exec_lo, s13
.LBB444_2371:                           ;   in Loop: Header=BB444_1478 Depth=1
	s_delay_alu instid0(SALU_CYCLE_1) | instskip(NEXT) | instid1(VALU_DEP_1)
	s_or_b32 exec_lo, exec_lo, s12
	v_mul_f32_e32 v6, v8, v6
                                        ; implicit-def: $vgpr46
	s_delay_alu instid0(VALU_DEP_1) | instskip(NEXT) | instid1(VALU_DEP_1)
	v_and_b32_e32 v7, 0x7f800000, v6
	v_cmp_ne_u32_e64 s0, 0x7f800000, v7
	s_delay_alu instid0(VALU_DEP_1) | instskip(NEXT) | instid1(SALU_CYCLE_1)
	s_and_saveexec_b32 s12, s0
	s_xor_b32 s0, exec_lo, s12
; %bb.2372:                             ;   in Loop: Header=BB444_1478 Depth=1
	v_bfe_u32 v7, v6, 16, 1
	s_delay_alu instid0(VALU_DEP_1)
	v_add3_u32 v46, v6, v7, 0x7fff
                                        ; implicit-def: $vgpr6
; %bb.2373:                             ;   in Loop: Header=BB444_1478 Depth=1
	s_and_not1_saveexec_b32 s12, s0
; %bb.2374:                             ;   in Loop: Header=BB444_1478 Depth=1
	v_and_b32_e32 v7, 0xffff, v6
	v_or_b32_e32 v9, 0x10000, v6
	s_delay_alu instid0(VALU_DEP_2) | instskip(NEXT) | instid1(VALU_DEP_1)
	v_cmp_eq_u32_e64 s0, 0, v7
	v_cndmask_b32_e64 v46, v9, v6, s0
; %bb.2375:                             ;   in Loop: Header=BB444_1478 Depth=1
	s_or_b32 exec_lo, exec_lo, s12
	v_cmp_lt_u64_e64 s0, s[8:9], v[2:3]
	v_mov_b32_e32 v2, 0
	s_delay_alu instid0(VALU_DEP_2)
	s_and_saveexec_b32 s12, s0
	s_cbranch_execz .LBB444_2383
; %bb.2376:                             ;   in Loop: Header=BB444_1478 Depth=1
	v_lshrrev_b32_e32 v6, 24, v3
	v_bfrev_b32_e32 v2, 1
	s_mov_b32 s13, exec_lo
	s_delay_alu instid0(VALU_DEP_2)
	v_cmpx_ne_u32_e32 0x80, v6
	s_cbranch_execz .LBB444_2382
; %bb.2377:                             ;   in Loop: Header=BB444_1478 Depth=1
	v_bfe_u32 v3, v3, 24, 7
	v_mov_b32_e32 v2, 0x7f800001
	s_mov_b32 s15, exec_lo
	s_delay_alu instid0(VALU_DEP_2)
	v_cmpx_ne_u32_e32 0x7f, v3
	s_cbranch_execz .LBB444_2381
; %bb.2378:                             ;   in Loop: Header=BB444_1478 Depth=1
	v_and_b32_e32 v9, 7, v6
	v_lshrrev_b32_e32 v7, 3, v3
	v_cmp_gt_u32_e64 s0, 8, v3
	s_delay_alu instid0(VALU_DEP_3) | instskip(NEXT) | instid1(VALU_DEP_2)
	v_dual_mov_b32 v2, v9 :: v_dual_mov_b32 v3, v10
	s_and_saveexec_b32 s16, s0
; %bb.2379:                             ;   in Loop: Header=BB444_1478 Depth=1
	v_clz_i32_u32_e32 v2, v9
	s_delay_alu instid0(VALU_DEP_1) | instskip(NEXT) | instid1(VALU_DEP_1)
	v_min_u32_e32 v7, 32, v2
	v_subrev_nc_u32_e32 v2, 28, v7
	v_sub_nc_u32_e32 v7, 29, v7
	s_delay_alu instid0(VALU_DEP_2) | instskip(NEXT) | instid1(VALU_DEP_1)
	v_lshlrev_b64 v[2:3], v2, v[9:10]
	v_and_b32_e32 v2, 7, v2
; %bb.2380:                             ;   in Loop: Header=BB444_1478 Depth=1
	s_or_b32 exec_lo, exec_lo, s16
	v_lshlrev_b32_e32 v3, 24, v6
	s_delay_alu instid0(VALU_DEP_2) | instskip(SKIP_1) | instid1(VALU_DEP_3)
	v_lshlrev_b32_e32 v2, 20, v2
	v_lshl_add_u32 v6, v7, 23, 0x3c000000
	v_and_b32_e32 v3, 0x80000000, v3
	s_delay_alu instid0(VALU_DEP_1)
	v_or3_b32 v2, v2, v3, v6
.LBB444_2381:                           ;   in Loop: Header=BB444_1478 Depth=1
	s_or_b32 exec_lo, exec_lo, s15
.LBB444_2382:                           ;   in Loop: Header=BB444_1478 Depth=1
	s_delay_alu instid0(SALU_CYCLE_1)
	s_or_b32 exec_lo, exec_lo, s13
.LBB444_2383:                           ;   in Loop: Header=BB444_1478 Depth=1
	s_delay_alu instid0(SALU_CYCLE_1) | instskip(NEXT) | instid1(VALU_DEP_1)
	s_or_b32 exec_lo, exec_lo, s12
	v_mul_f32_e32 v3, v8, v2
	s_delay_alu instid0(VALU_DEP_1) | instskip(NEXT) | instid1(VALU_DEP_1)
	v_and_b32_e32 v2, 0x7f800000, v3
	v_cmp_ne_u32_e64 s0, 0x7f800000, v2
                                        ; implicit-def: $vgpr2
	s_delay_alu instid0(VALU_DEP_1) | instskip(NEXT) | instid1(SALU_CYCLE_1)
	s_and_saveexec_b32 s12, s0
	s_xor_b32 s0, exec_lo, s12
; %bb.2384:                             ;   in Loop: Header=BB444_1478 Depth=1
	v_bfe_u32 v2, v3, 16, 1
	s_delay_alu instid0(VALU_DEP_1)
	v_add3_u32 v2, v3, v2, 0x7fff
                                        ; implicit-def: $vgpr3
; %bb.2385:                             ;   in Loop: Header=BB444_1478 Depth=1
	s_and_not1_saveexec_b32 s12, s0
; %bb.2386:                             ;   in Loop: Header=BB444_1478 Depth=1
	v_and_b32_e32 v2, 0xffff, v3
	v_or_b32_e32 v6, 0x10000, v3
	s_delay_alu instid0(VALU_DEP_2) | instskip(NEXT) | instid1(VALU_DEP_1)
	v_cmp_eq_u32_e64 s0, 0, v2
	v_cndmask_b32_e64 v2, v6, v3, s0
; %bb.2387:                             ;   in Loop: Header=BB444_1478 Depth=1
	s_or_b32 exec_lo, exec_lo, s12
	v_lshrrev_b32_e32 v6, 16, v45
	v_lshrrev_b32_e32 v7, 16, v44
	;; [unrolled: 1-line block ×8, first 2 shown]
	s_and_saveexec_b32 s12, vcc_lo
	s_cbranch_execz .LBB444_2389
; %bb.2388:                             ;   in Loop: Header=BB444_1478 Depth=1
	v_cmp_lt_i32_e64 s0, v85, v38
	s_delay_alu instid0(VALU_DEP_1) | instskip(SKIP_1) | instid1(VALU_DEP_1)
	v_cndmask_b32_e64 v37, 0, v37, s0
	v_cmp_lt_i32_e64 s0, v100, v38
	v_cndmask_b32_e64 v39, 0, v39, s0
	v_cmp_lt_i32_e64 s0, v99, v38
	s_delay_alu instid0(VALU_DEP_1) | instskip(SKIP_1) | instid1(VALU_DEP_1)
	v_cndmask_b32_e64 v42, 0, v42, s0
	v_cmp_lt_i32_e64 s0, v98, v38
	v_cndmask_b32_e64 v9, 0, v9, s0
	;; [unrolled: 5-line block ×4, first 2 shown]
.LBB444_2389:                           ;   in Loop: Header=BB444_1478 Depth=1
	s_or_b32 exec_lo, exec_lo, s12
	v_lshlrev_b32_e32 v37, 16, v37
	s_delay_alu instid0(VALU_DEP_1) | instskip(NEXT) | instid1(VALU_DEP_1)
	v_mul_f32_e32 v43, v101, v37
	v_and_b32_e32 v37, 0x7f800000, v43
	s_delay_alu instid0(VALU_DEP_1) | instskip(NEXT) | instid1(VALU_DEP_1)
	v_cmp_ne_u32_e64 s0, 0x7f800000, v37
                                        ; implicit-def: $vgpr37
	s_and_saveexec_b32 s12, s0
	s_delay_alu instid0(SALU_CYCLE_1)
	s_xor_b32 s0, exec_lo, s12
; %bb.2390:                             ;   in Loop: Header=BB444_1478 Depth=1
	v_bfe_u32 v37, v43, 16, 1
	s_delay_alu instid0(VALU_DEP_1)
	v_add3_u32 v37, v43, v37, 0x7fff
                                        ; implicit-def: $vgpr43
; %bb.2391:                             ;   in Loop: Header=BB444_1478 Depth=1
	s_and_not1_saveexec_b32 s12, s0
; %bb.2392:                             ;   in Loop: Header=BB444_1478 Depth=1
	v_and_b32_e32 v37, 0xffff, v43
	v_or_b32_e32 v44, 0x10000, v43
	s_delay_alu instid0(VALU_DEP_2) | instskip(NEXT) | instid1(VALU_DEP_1)
	v_cmp_eq_u32_e64 s0, 0, v37
	v_cndmask_b32_e64 v37, v44, v43, s0
; %bb.2393:                             ;   in Loop: Header=BB444_1478 Depth=1
	s_or_b32 exec_lo, exec_lo, s12
	v_lshlrev_b32_e32 v39, 16, v39
	s_delay_alu instid0(VALU_DEP_1) | instskip(NEXT) | instid1(VALU_DEP_1)
	v_mul_f32_e32 v43, v102, v39
	v_and_b32_e32 v39, 0x7f800000, v43
	s_delay_alu instid0(VALU_DEP_1) | instskip(NEXT) | instid1(VALU_DEP_1)
	v_cmp_ne_u32_e64 s0, 0x7f800000, v39
                                        ; implicit-def: $vgpr39
	s_and_saveexec_b32 s12, s0
	s_delay_alu instid0(SALU_CYCLE_1)
	s_xor_b32 s0, exec_lo, s12
; %bb.2394:                             ;   in Loop: Header=BB444_1478 Depth=1
	v_bfe_u32 v39, v43, 16, 1
	s_delay_alu instid0(VALU_DEP_1)
	v_add3_u32 v39, v43, v39, 0x7fff
                                        ; implicit-def: $vgpr43
; %bb.2395:                             ;   in Loop: Header=BB444_1478 Depth=1
	s_and_not1_saveexec_b32 s12, s0
; %bb.2396:                             ;   in Loop: Header=BB444_1478 Depth=1
	v_and_b32_e32 v39, 0xffff, v43
	v_or_b32_e32 v44, 0x10000, v43
	s_delay_alu instid0(VALU_DEP_2) | instskip(NEXT) | instid1(VALU_DEP_1)
	v_cmp_eq_u32_e64 s0, 0, v39
	v_cndmask_b32_e64 v39, v44, v43, s0
; %bb.2397:                             ;   in Loop: Header=BB444_1478 Depth=1
	s_or_b32 exec_lo, exec_lo, s12
	v_lshlrev_b32_e32 v42, 16, v42
	s_delay_alu instid0(VALU_DEP_1) | instskip(NEXT) | instid1(VALU_DEP_1)
	v_mul_f32_e32 v43, v103, v42
	v_and_b32_e32 v42, 0x7f800000, v43
	s_delay_alu instid0(VALU_DEP_1) | instskip(NEXT) | instid1(VALU_DEP_1)
	v_cmp_ne_u32_e64 s0, 0x7f800000, v42
                                        ; implicit-def: $vgpr42
	s_and_saveexec_b32 s12, s0
	s_delay_alu instid0(SALU_CYCLE_1)
	s_xor_b32 s0, exec_lo, s12
; %bb.2398:                             ;   in Loop: Header=BB444_1478 Depth=1
	v_bfe_u32 v42, v43, 16, 1
	s_delay_alu instid0(VALU_DEP_1)
	v_add3_u32 v42, v43, v42, 0x7fff
                                        ; implicit-def: $vgpr43
; %bb.2399:                             ;   in Loop: Header=BB444_1478 Depth=1
	s_and_not1_saveexec_b32 s12, s0
; %bb.2400:                             ;   in Loop: Header=BB444_1478 Depth=1
	v_and_b32_e32 v42, 0xffff, v43
	v_or_b32_e32 v44, 0x10000, v43
	s_delay_alu instid0(VALU_DEP_2) | instskip(NEXT) | instid1(VALU_DEP_1)
	v_cmp_eq_u32_e64 s0, 0, v42
	v_cndmask_b32_e64 v42, v44, v43, s0
; %bb.2401:                             ;   in Loop: Header=BB444_1478 Depth=1
	s_or_b32 exec_lo, exec_lo, s12
	v_lshlrev_b32_e32 v9, 16, v9
	s_delay_alu instid0(VALU_DEP_1) | instskip(NEXT) | instid1(VALU_DEP_1)
	v_mul_f32_e32 v9, v112, v9
	v_and_b32_e32 v43, 0x7f800000, v9
	s_delay_alu instid0(VALU_DEP_1) | instskip(NEXT) | instid1(VALU_DEP_1)
	v_cmp_ne_u32_e64 s0, 0x7f800000, v43
                                        ; implicit-def: $vgpr43
	s_and_saveexec_b32 s12, s0
	s_delay_alu instid0(SALU_CYCLE_1)
	s_xor_b32 s0, exec_lo, s12
; %bb.2402:                             ;   in Loop: Header=BB444_1478 Depth=1
	v_bfe_u32 v43, v9, 16, 1
	s_delay_alu instid0(VALU_DEP_1)
	v_add3_u32 v43, v9, v43, 0x7fff
                                        ; implicit-def: $vgpr9
; %bb.2403:                             ;   in Loop: Header=BB444_1478 Depth=1
	s_and_not1_saveexec_b32 s12, s0
; %bb.2404:                             ;   in Loop: Header=BB444_1478 Depth=1
	v_and_b32_e32 v43, 0xffff, v9
	v_or_b32_e32 v44, 0x10000, v9
	s_delay_alu instid0(VALU_DEP_2) | instskip(NEXT) | instid1(VALU_DEP_1)
	v_cmp_eq_u32_e64 s0, 0, v43
	v_cndmask_b32_e64 v43, v44, v9, s0
; %bb.2405:                             ;   in Loop: Header=BB444_1478 Depth=1
	s_or_b32 exec_lo, exec_lo, s12
	v_lshlrev_b32_e32 v7, 16, v7
                                        ; implicit-def: $vgpr44
	s_delay_alu instid0(VALU_DEP_1) | instskip(NEXT) | instid1(VALU_DEP_1)
	v_mul_f32_e32 v7, v113, v7
	v_and_b32_e32 v9, 0x7f800000, v7
	s_delay_alu instid0(VALU_DEP_1) | instskip(NEXT) | instid1(VALU_DEP_1)
	v_cmp_ne_u32_e64 s0, 0x7f800000, v9
	s_and_saveexec_b32 s12, s0
	s_delay_alu instid0(SALU_CYCLE_1)
	s_xor_b32 s0, exec_lo, s12
; %bb.2406:                             ;   in Loop: Header=BB444_1478 Depth=1
	v_bfe_u32 v9, v7, 16, 1
	s_delay_alu instid0(VALU_DEP_1)
	v_add3_u32 v44, v7, v9, 0x7fff
                                        ; implicit-def: $vgpr7
; %bb.2407:                             ;   in Loop: Header=BB444_1478 Depth=1
	s_and_not1_saveexec_b32 s12, s0
; %bb.2408:                             ;   in Loop: Header=BB444_1478 Depth=1
	v_and_b32_e32 v9, 0xffff, v7
	v_or_b32_e32 v44, 0x10000, v7
	s_delay_alu instid0(VALU_DEP_2) | instskip(NEXT) | instid1(VALU_DEP_1)
	v_cmp_eq_u32_e64 s0, 0, v9
	v_cndmask_b32_e64 v44, v44, v7, s0
; %bb.2409:                             ;   in Loop: Header=BB444_1478 Depth=1
	s_or_b32 exec_lo, exec_lo, s12
	v_lshlrev_b32_e32 v6, 16, v6
                                        ; implicit-def: $vgpr45
	s_delay_alu instid0(VALU_DEP_1) | instskip(NEXT) | instid1(VALU_DEP_1)
	v_mul_f32_e32 v6, v114, v6
	v_and_b32_e32 v7, 0x7f800000, v6
	s_delay_alu instid0(VALU_DEP_1) | instskip(NEXT) | instid1(VALU_DEP_1)
	v_cmp_ne_u32_e64 s0, 0x7f800000, v7
	s_and_saveexec_b32 s12, s0
	s_delay_alu instid0(SALU_CYCLE_1)
	s_xor_b32 s0, exec_lo, s12
; %bb.2410:                             ;   in Loop: Header=BB444_1478 Depth=1
	v_bfe_u32 v7, v6, 16, 1
	s_delay_alu instid0(VALU_DEP_1)
	v_add3_u32 v45, v6, v7, 0x7fff
                                        ; implicit-def: $vgpr6
; %bb.2411:                             ;   in Loop: Header=BB444_1478 Depth=1
	s_and_not1_saveexec_b32 s12, s0
; %bb.2412:                             ;   in Loop: Header=BB444_1478 Depth=1
	v_and_b32_e32 v7, 0xffff, v6
	v_or_b32_e32 v9, 0x10000, v6
	s_delay_alu instid0(VALU_DEP_2) | instskip(NEXT) | instid1(VALU_DEP_1)
	v_cmp_eq_u32_e64 s0, 0, v7
	v_cndmask_b32_e64 v45, v9, v6, s0
; %bb.2413:                             ;   in Loop: Header=BB444_1478 Depth=1
	s_or_b32 exec_lo, exec_lo, s12
	v_lshlrev_b32_e32 v3, 16, v3
                                        ; implicit-def: $vgpr46
	s_delay_alu instid0(VALU_DEP_1) | instskip(NEXT) | instid1(VALU_DEP_1)
	v_mul_f32_e32 v3, v115, v3
	v_and_b32_e32 v6, 0x7f800000, v3
	s_delay_alu instid0(VALU_DEP_1) | instskip(NEXT) | instid1(VALU_DEP_1)
	v_cmp_ne_u32_e64 s0, 0x7f800000, v6
	s_and_saveexec_b32 s12, s0
	s_delay_alu instid0(SALU_CYCLE_1)
	s_xor_b32 s0, exec_lo, s12
; %bb.2414:                             ;   in Loop: Header=BB444_1478 Depth=1
	v_bfe_u32 v6, v3, 16, 1
	s_delay_alu instid0(VALU_DEP_1)
	v_add3_u32 v46, v3, v6, 0x7fff
                                        ; implicit-def: $vgpr3
; %bb.2415:                             ;   in Loop: Header=BB444_1478 Depth=1
	s_and_not1_saveexec_b32 s12, s0
; %bb.2416:                             ;   in Loop: Header=BB444_1478 Depth=1
	v_and_b32_e32 v6, 0xffff, v3
	v_or_b32_e32 v7, 0x10000, v3
	s_delay_alu instid0(VALU_DEP_2) | instskip(NEXT) | instid1(VALU_DEP_1)
	v_cmp_eq_u32_e64 s0, 0, v6
	v_cndmask_b32_e64 v46, v7, v3, s0
; %bb.2417:                             ;   in Loop: Header=BB444_1478 Depth=1
	s_or_b32 exec_lo, exec_lo, s12
	v_lshlrev_b32_e32 v2, 16, v2
                                        ; implicit-def: $vgpr47
	s_delay_alu instid0(VALU_DEP_1) | instskip(NEXT) | instid1(VALU_DEP_1)
	v_mul_f32_e32 v2, v116, v2
	v_and_b32_e32 v3, 0x7f800000, v2
	s_delay_alu instid0(VALU_DEP_1) | instskip(NEXT) | instid1(VALU_DEP_1)
	v_cmp_ne_u32_e64 s0, 0x7f800000, v3
	s_and_saveexec_b32 s12, s0
	s_delay_alu instid0(SALU_CYCLE_1)
	s_xor_b32 s0, exec_lo, s12
; %bb.2418:                             ;   in Loop: Header=BB444_1478 Depth=1
	v_bfe_u32 v3, v2, 16, 1
	s_delay_alu instid0(VALU_DEP_1)
	v_add3_u32 v47, v2, v3, 0x7fff
                                        ; implicit-def: $vgpr2
; %bb.2419:                             ;   in Loop: Header=BB444_1478 Depth=1
	s_and_not1_saveexec_b32 s12, s0
; %bb.2420:                             ;   in Loop: Header=BB444_1478 Depth=1
	v_and_b32_e32 v3, 0xffff, v2
	v_or_b32_e32 v6, 0x10000, v2
	s_delay_alu instid0(VALU_DEP_2) | instskip(NEXT) | instid1(VALU_DEP_1)
	v_cmp_eq_u32_e64 s0, 0, v3
	v_cndmask_b32_e64 v47, v6, v2, s0
; %bb.2421:                             ;   in Loop: Header=BB444_1478 Depth=1
	s_or_b32 exec_lo, exec_lo, s12
	flat_load_b64 v[2:3], v[0:1] offset:1792
	s_mov_b32 s12, exec_lo
	s_waitcnt vmcnt(0) lgkmcnt(0)
	v_dual_mov_b32 v6, 0 :: v_dual_and_b32 v7, 0xff, v2
	s_delay_alu instid0(VALU_DEP_1)
	v_cmpx_ne_u16_e32 0, v7
	s_cbranch_execz .LBB444_2429
; %bb.2422:                             ;   in Loop: Header=BB444_1478 Depth=1
	v_bfrev_b32_e32 v6, 1
	s_mov_b32 s13, exec_lo
	v_cmpx_ne_u16_e32 0x80, v7
	s_cbranch_execz .LBB444_2428
; %bb.2423:                             ;   in Loop: Header=BB444_1478 Depth=1
	v_and_b32_e32 v7, 0x7f, v2
	v_mov_b32_e32 v6, 0x7f800001
	s_mov_b32 s15, exec_lo
	s_delay_alu instid0(VALU_DEP_2)
	v_cmpx_ne_u32_e32 0x7f, v7
	s_cbranch_execz .LBB444_2427
; %bb.2424:                             ;   in Loop: Header=BB444_1478 Depth=1
	v_lshrrev_b32_e32 v9, 3, v7
	v_cmp_gt_u32_e64 s0, 8, v7
	v_dual_mov_b32 v7, v3 :: v_dual_mov_b32 v6, v2
	s_delay_alu instid0(VALU_DEP_2)
	s_and_saveexec_b32 s16, s0
; %bb.2425:                             ;   in Loop: Header=BB444_1478 Depth=1
	v_and_b32_e32 v6, 7, v2
	s_delay_alu instid0(VALU_DEP_1) | instskip(NEXT) | instid1(VALU_DEP_1)
	v_clz_i32_u32_e32 v6, v6
	v_min_u32_e32 v9, 32, v6
	s_delay_alu instid0(VALU_DEP_1) | instskip(SKIP_1) | instid1(VALU_DEP_2)
	v_subrev_nc_u32_e32 v6, 28, v9
	v_sub_nc_u32_e32 v9, 29, v9
	v_lshlrev_b64 v[6:7], v6, v[2:3]
; %bb.2426:                             ;   in Loop: Header=BB444_1478 Depth=1
	s_or_b32 exec_lo, exec_lo, s16
	s_delay_alu instid0(VALU_DEP_1) | instskip(SKIP_2) | instid1(VALU_DEP_3)
	v_lshlrev_b32_e32 v6, 20, v6
	v_lshlrev_b32_e32 v7, 24, v2
	v_lshl_add_u32 v9, v9, 23, 0x3c000000
	v_and_b32_e32 v6, 0x700000, v6
	s_delay_alu instid0(VALU_DEP_3) | instskip(NEXT) | instid1(VALU_DEP_1)
	v_and_b32_e32 v7, 0x80000000, v7
	v_or3_b32 v6, v6, v7, v9
.LBB444_2427:                           ;   in Loop: Header=BB444_1478 Depth=1
	s_or_b32 exec_lo, exec_lo, s15
.LBB444_2428:                           ;   in Loop: Header=BB444_1478 Depth=1
	s_delay_alu instid0(SALU_CYCLE_1)
	s_or_b32 exec_lo, exec_lo, s13
.LBB444_2429:                           ;   in Loop: Header=BB444_1478 Depth=1
	s_delay_alu instid0(SALU_CYCLE_1) | instskip(NEXT) | instid1(VALU_DEP_1)
	s_or_b32 exec_lo, exec_lo, s12
	v_mul_f32_e32 v6, v8, v6
                                        ; implicit-def: $vgpr56
	s_delay_alu instid0(VALU_DEP_1) | instskip(NEXT) | instid1(VALU_DEP_1)
	v_and_b32_e32 v7, 0x7f800000, v6
	v_cmp_ne_u32_e64 s0, 0x7f800000, v7
	s_delay_alu instid0(VALU_DEP_1) | instskip(NEXT) | instid1(SALU_CYCLE_1)
	s_and_saveexec_b32 s12, s0
	s_xor_b32 s0, exec_lo, s12
; %bb.2430:                             ;   in Loop: Header=BB444_1478 Depth=1
	v_bfe_u32 v7, v6, 16, 1
	s_delay_alu instid0(VALU_DEP_1)
	v_add3_u32 v56, v6, v7, 0x7fff
                                        ; implicit-def: $vgpr6
; %bb.2431:                             ;   in Loop: Header=BB444_1478 Depth=1
	s_and_not1_saveexec_b32 s12, s0
; %bb.2432:                             ;   in Loop: Header=BB444_1478 Depth=1
	v_and_b32_e32 v7, 0xffff, v6
	v_or_b32_e32 v9, 0x10000, v6
	s_delay_alu instid0(VALU_DEP_2) | instskip(NEXT) | instid1(VALU_DEP_1)
	v_cmp_eq_u32_e64 s0, 0, v7
	v_cndmask_b32_e64 v56, v9, v6, s0
; %bb.2433:                             ;   in Loop: Header=BB444_1478 Depth=1
	s_or_b32 exec_lo, exec_lo, s12
	v_lshrrev_b16 v7, 8, v2
	v_mov_b32_e32 v6, 0
	s_mov_b32 s12, exec_lo
	s_delay_alu instid0(VALU_DEP_2)
	v_cmpx_ne_u16_e32 0, v7
	s_cbranch_execz .LBB444_2441
; %bb.2434:                             ;   in Loop: Header=BB444_1478 Depth=1
	v_bfrev_b32_e32 v6, 1
	s_mov_b32 s13, exec_lo
	v_cmpx_ne_u16_e32 0x80, v7
	s_cbranch_execz .LBB444_2440
; %bb.2435:                             ;   in Loop: Header=BB444_1478 Depth=1
	v_and_b32_e32 v9, 0xffff, v7
	v_mov_b32_e32 v6, 0x7f800001
	s_mov_b32 s15, exec_lo
	s_delay_alu instid0(VALU_DEP_2) | instskip(NEXT) | instid1(VALU_DEP_1)
	v_and_b32_e32 v7, 0x7f, v9
	v_cmpx_ne_u32_e32 0x7f, v7
	s_cbranch_execz .LBB444_2439
; %bb.2436:                             ;   in Loop: Header=BB444_1478 Depth=1
	v_and_b32_e32 v9, 7, v9
	v_lshrrev_b32_e32 v57, 3, v7
	v_cmp_gt_u32_e64 s0, 8, v7
	s_delay_alu instid0(VALU_DEP_3) | instskip(NEXT) | instid1(VALU_DEP_2)
	v_dual_mov_b32 v6, v9 :: v_dual_mov_b32 v7, v10
	s_and_saveexec_b32 s16, s0
; %bb.2437:                             ;   in Loop: Header=BB444_1478 Depth=1
	v_clz_i32_u32_e32 v6, v9
	s_delay_alu instid0(VALU_DEP_1) | instskip(NEXT) | instid1(VALU_DEP_1)
	v_min_u32_e32 v57, 32, v6
	v_subrev_nc_u32_e32 v6, 28, v57
	v_sub_nc_u32_e32 v57, 29, v57
	s_delay_alu instid0(VALU_DEP_2) | instskip(NEXT) | instid1(VALU_DEP_1)
	v_lshlrev_b64 v[6:7], v6, v[9:10]
	v_and_b32_e32 v6, 7, v6
; %bb.2438:                             ;   in Loop: Header=BB444_1478 Depth=1
	s_or_b32 exec_lo, exec_lo, s16
	v_lshlrev_b32_e32 v7, 16, v2
	s_delay_alu instid0(VALU_DEP_2) | instskip(SKIP_1) | instid1(VALU_DEP_3)
	v_lshlrev_b32_e32 v6, 20, v6
	v_lshl_add_u32 v9, v57, 23, 0x3c000000
	v_and_b32_e32 v7, 0x80000000, v7
	s_delay_alu instid0(VALU_DEP_1)
	v_or3_b32 v6, v6, v7, v9
.LBB444_2439:                           ;   in Loop: Header=BB444_1478 Depth=1
	s_or_b32 exec_lo, exec_lo, s15
.LBB444_2440:                           ;   in Loop: Header=BB444_1478 Depth=1
	s_delay_alu instid0(SALU_CYCLE_1)
	s_or_b32 exec_lo, exec_lo, s13
.LBB444_2441:                           ;   in Loop: Header=BB444_1478 Depth=1
	s_delay_alu instid0(SALU_CYCLE_1) | instskip(NEXT) | instid1(VALU_DEP_1)
	s_or_b32 exec_lo, exec_lo, s12
	v_mul_f32_e32 v6, v8, v6
                                        ; implicit-def: $vgpr57
	s_delay_alu instid0(VALU_DEP_1) | instskip(NEXT) | instid1(VALU_DEP_1)
	v_and_b32_e32 v7, 0x7f800000, v6
	v_cmp_ne_u32_e64 s0, 0x7f800000, v7
	s_delay_alu instid0(VALU_DEP_1) | instskip(NEXT) | instid1(SALU_CYCLE_1)
	s_and_saveexec_b32 s12, s0
	s_xor_b32 s0, exec_lo, s12
; %bb.2442:                             ;   in Loop: Header=BB444_1478 Depth=1
	v_bfe_u32 v7, v6, 16, 1
	s_delay_alu instid0(VALU_DEP_1)
	v_add3_u32 v57, v6, v7, 0x7fff
                                        ; implicit-def: $vgpr6
; %bb.2443:                             ;   in Loop: Header=BB444_1478 Depth=1
	s_and_not1_saveexec_b32 s12, s0
; %bb.2444:                             ;   in Loop: Header=BB444_1478 Depth=1
	v_and_b32_e32 v7, 0xffff, v6
	v_or_b32_e32 v9, 0x10000, v6
	s_delay_alu instid0(VALU_DEP_2) | instskip(NEXT) | instid1(VALU_DEP_1)
	v_cmp_eq_u32_e64 s0, 0, v7
	v_cndmask_b32_e64 v57, v9, v6, s0
; %bb.2445:                             ;   in Loop: Header=BB444_1478 Depth=1
	s_or_b32 exec_lo, exec_lo, s12
	v_lshrrev_b32_e32 v58, 16, v2
	s_mov_b32 s12, exec_lo
	s_delay_alu instid0(VALU_DEP_1) | instskip(NEXT) | instid1(VALU_DEP_1)
	v_dual_mov_b32 v6, 0 :: v_dual_and_b32 v7, 0xff, v58
	v_cmpx_ne_u16_e32 0, v7
	s_cbranch_execz .LBB444_2453
; %bb.2446:                             ;   in Loop: Header=BB444_1478 Depth=1
	v_bfrev_b32_e32 v6, 1
	s_mov_b32 s13, exec_lo
	v_cmpx_ne_u16_e32 0x80, v7
	s_cbranch_execz .LBB444_2452
; %bb.2447:                             ;   in Loop: Header=BB444_1478 Depth=1
	v_bfe_u32 v7, v2, 16, 7
	v_mov_b32_e32 v6, 0x7f800001
	s_mov_b32 s15, exec_lo
	s_delay_alu instid0(VALU_DEP_2)
	v_cmpx_ne_u32_e32 0x7f, v7
	s_cbranch_execz .LBB444_2451
; %bb.2448:                             ;   in Loop: Header=BB444_1478 Depth=1
	v_and_b32_e32 v9, 7, v58
	v_lshrrev_b32_e32 v59, 3, v7
	v_cmp_gt_u32_e64 s0, 8, v7
	s_delay_alu instid0(VALU_DEP_3) | instskip(NEXT) | instid1(VALU_DEP_2)
	v_dual_mov_b32 v6, v9 :: v_dual_mov_b32 v7, v10
	s_and_saveexec_b32 s16, s0
; %bb.2449:                             ;   in Loop: Header=BB444_1478 Depth=1
	v_clz_i32_u32_e32 v6, v9
	s_delay_alu instid0(VALU_DEP_1) | instskip(NEXT) | instid1(VALU_DEP_1)
	v_min_u32_e32 v59, 32, v6
	v_subrev_nc_u32_e32 v6, 28, v59
	v_sub_nc_u32_e32 v59, 29, v59
	s_delay_alu instid0(VALU_DEP_2) | instskip(NEXT) | instid1(VALU_DEP_1)
	v_lshlrev_b64 v[6:7], v6, v[9:10]
	v_and_b32_e32 v6, 7, v6
; %bb.2450:                             ;   in Loop: Header=BB444_1478 Depth=1
	s_or_b32 exec_lo, exec_lo, s16
	v_lshlrev_b32_e32 v7, 24, v58
	s_delay_alu instid0(VALU_DEP_2) | instskip(SKIP_1) | instid1(VALU_DEP_3)
	v_lshlrev_b32_e32 v6, 20, v6
	v_lshl_add_u32 v9, v59, 23, 0x3c000000
	v_and_b32_e32 v7, 0x80000000, v7
	s_delay_alu instid0(VALU_DEP_1)
	v_or3_b32 v6, v6, v7, v9
.LBB444_2451:                           ;   in Loop: Header=BB444_1478 Depth=1
	s_or_b32 exec_lo, exec_lo, s15
.LBB444_2452:                           ;   in Loop: Header=BB444_1478 Depth=1
	s_delay_alu instid0(SALU_CYCLE_1)
	s_or_b32 exec_lo, exec_lo, s13
.LBB444_2453:                           ;   in Loop: Header=BB444_1478 Depth=1
	s_delay_alu instid0(SALU_CYCLE_1) | instskip(NEXT) | instid1(VALU_DEP_1)
	s_or_b32 exec_lo, exec_lo, s12
	v_mul_f32_e32 v6, v8, v6
                                        ; implicit-def: $vgpr58
	s_delay_alu instid0(VALU_DEP_1) | instskip(NEXT) | instid1(VALU_DEP_1)
	v_and_b32_e32 v7, 0x7f800000, v6
	v_cmp_ne_u32_e64 s0, 0x7f800000, v7
	s_delay_alu instid0(VALU_DEP_1) | instskip(NEXT) | instid1(SALU_CYCLE_1)
	s_and_saveexec_b32 s12, s0
	s_xor_b32 s0, exec_lo, s12
; %bb.2454:                             ;   in Loop: Header=BB444_1478 Depth=1
	v_bfe_u32 v7, v6, 16, 1
	s_delay_alu instid0(VALU_DEP_1)
	v_add3_u32 v58, v6, v7, 0x7fff
                                        ; implicit-def: $vgpr6
; %bb.2455:                             ;   in Loop: Header=BB444_1478 Depth=1
	s_and_not1_saveexec_b32 s12, s0
; %bb.2456:                             ;   in Loop: Header=BB444_1478 Depth=1
	v_and_b32_e32 v7, 0xffff, v6
	v_or_b32_e32 v9, 0x10000, v6
	s_delay_alu instid0(VALU_DEP_2) | instskip(NEXT) | instid1(VALU_DEP_1)
	v_cmp_eq_u32_e64 s0, 0, v7
	v_cndmask_b32_e64 v58, v9, v6, s0
; %bb.2457:                             ;   in Loop: Header=BB444_1478 Depth=1
	s_or_b32 exec_lo, exec_lo, s12
	v_mov_b32_e32 v6, 0
	s_mov_b32 s12, exec_lo
	v_cmpx_lt_u32_e32 0xffffff, v2
	s_cbranch_execz .LBB444_2465
; %bb.2458:                             ;   in Loop: Header=BB444_1478 Depth=1
	v_lshrrev_b32_e32 v59, 24, v2
	v_bfrev_b32_e32 v6, 1
	s_mov_b32 s13, exec_lo
	s_delay_alu instid0(VALU_DEP_2)
	v_cmpx_ne_u32_e32 0x80, v59
	s_cbranch_execz .LBB444_2464
; %bb.2459:                             ;   in Loop: Header=BB444_1478 Depth=1
	v_bfe_u32 v7, v2, 24, 7
	v_mov_b32_e32 v6, 0x7f800001
	s_mov_b32 s15, exec_lo
	s_delay_alu instid0(VALU_DEP_2)
	v_cmpx_ne_u32_e32 0x7f, v7
	s_cbranch_execz .LBB444_2463
; %bb.2460:                             ;   in Loop: Header=BB444_1478 Depth=1
	v_and_b32_e32 v9, 7, v59
	v_lshrrev_b32_e32 v60, 3, v7
	v_cmp_gt_u32_e64 s0, 8, v7
	s_delay_alu instid0(VALU_DEP_3) | instskip(NEXT) | instid1(VALU_DEP_2)
	v_dual_mov_b32 v6, v9 :: v_dual_mov_b32 v7, v10
	s_and_saveexec_b32 s16, s0
; %bb.2461:                             ;   in Loop: Header=BB444_1478 Depth=1
	v_clz_i32_u32_e32 v6, v9
	s_delay_alu instid0(VALU_DEP_1) | instskip(NEXT) | instid1(VALU_DEP_1)
	v_min_u32_e32 v60, 32, v6
	v_subrev_nc_u32_e32 v6, 28, v60
	v_sub_nc_u32_e32 v60, 29, v60
	s_delay_alu instid0(VALU_DEP_2) | instskip(NEXT) | instid1(VALU_DEP_1)
	v_lshlrev_b64 v[6:7], v6, v[9:10]
	v_and_b32_e32 v6, 7, v6
; %bb.2462:                             ;   in Loop: Header=BB444_1478 Depth=1
	s_or_b32 exec_lo, exec_lo, s16
	v_lshlrev_b32_e32 v7, 24, v59
	s_delay_alu instid0(VALU_DEP_2) | instskip(SKIP_1) | instid1(VALU_DEP_3)
	v_lshlrev_b32_e32 v6, 20, v6
	v_lshl_add_u32 v9, v60, 23, 0x3c000000
	v_and_b32_e32 v7, 0x80000000, v7
	s_delay_alu instid0(VALU_DEP_1)
	v_or3_b32 v6, v6, v7, v9
.LBB444_2463:                           ;   in Loop: Header=BB444_1478 Depth=1
	s_or_b32 exec_lo, exec_lo, s15
.LBB444_2464:                           ;   in Loop: Header=BB444_1478 Depth=1
	s_delay_alu instid0(SALU_CYCLE_1)
	s_or_b32 exec_lo, exec_lo, s13
.LBB444_2465:                           ;   in Loop: Header=BB444_1478 Depth=1
	s_delay_alu instid0(SALU_CYCLE_1) | instskip(NEXT) | instid1(VALU_DEP_1)
	s_or_b32 exec_lo, exec_lo, s12
	v_mul_f32_e32 v6, v8, v6
                                        ; implicit-def: $vgpr59
	s_delay_alu instid0(VALU_DEP_1) | instskip(NEXT) | instid1(VALU_DEP_1)
	v_and_b32_e32 v7, 0x7f800000, v6
	v_cmp_ne_u32_e64 s0, 0x7f800000, v7
	s_delay_alu instid0(VALU_DEP_1) | instskip(NEXT) | instid1(SALU_CYCLE_1)
	s_and_saveexec_b32 s12, s0
	s_xor_b32 s0, exec_lo, s12
; %bb.2466:                             ;   in Loop: Header=BB444_1478 Depth=1
	v_bfe_u32 v7, v6, 16, 1
	s_delay_alu instid0(VALU_DEP_1)
	v_add3_u32 v59, v6, v7, 0x7fff
                                        ; implicit-def: $vgpr6
; %bb.2467:                             ;   in Loop: Header=BB444_1478 Depth=1
	s_and_not1_saveexec_b32 s12, s0
; %bb.2468:                             ;   in Loop: Header=BB444_1478 Depth=1
	v_and_b32_e32 v7, 0xffff, v6
	v_or_b32_e32 v9, 0x10000, v6
	s_delay_alu instid0(VALU_DEP_2) | instskip(NEXT) | instid1(VALU_DEP_1)
	v_cmp_eq_u32_e64 s0, 0, v7
	v_cndmask_b32_e64 v59, v9, v6, s0
; %bb.2469:                             ;   in Loop: Header=BB444_1478 Depth=1
	s_or_b32 exec_lo, exec_lo, s12
	v_dual_mov_b32 v6, 0 :: v_dual_and_b32 v7, 0xff, v3
	v_mov_b32_e32 v9, v3
	s_mov_b32 s12, exec_lo
	s_delay_alu instid0(VALU_DEP_2)
	v_cmpx_ne_u16_e32 0, v7
	s_cbranch_execz .LBB444_2477
; %bb.2470:                             ;   in Loop: Header=BB444_1478 Depth=1
	v_bfrev_b32_e32 v6, 1
	s_mov_b32 s13, exec_lo
	v_cmpx_ne_u16_e32 0x80, v7
	s_cbranch_execz .LBB444_2476
; %bb.2471:                             ;   in Loop: Header=BB444_1478 Depth=1
	v_and_b32_e32 v7, 0x7f, v3
	v_mov_b32_e32 v6, 0x7f800001
	s_mov_b32 s15, exec_lo
	s_delay_alu instid0(VALU_DEP_2)
	v_cmpx_ne_u32_e32 0x7f, v7
	s_cbranch_execz .LBB444_2475
; %bb.2472:                             ;   in Loop: Header=BB444_1478 Depth=1
	v_lshrrev_b32_e32 v60, 3, v7
	v_cmp_gt_u32_e64 s0, 8, v7
	v_dual_mov_b32 v6, v9 :: v_dual_mov_b32 v7, v10
	s_delay_alu instid0(VALU_DEP_2)
	s_and_saveexec_b32 s16, s0
; %bb.2473:                             ;   in Loop: Header=BB444_1478 Depth=1
	v_and_b32_e32 v6, 7, v3
	s_delay_alu instid0(VALU_DEP_1) | instskip(NEXT) | instid1(VALU_DEP_1)
	v_clz_i32_u32_e32 v6, v6
	v_min_u32_e32 v60, 32, v6
	s_delay_alu instid0(VALU_DEP_1) | instskip(SKIP_1) | instid1(VALU_DEP_2)
	v_subrev_nc_u32_e32 v6, 28, v60
	v_sub_nc_u32_e32 v60, 29, v60
	v_lshlrev_b64 v[6:7], v6, v[9:10]
; %bb.2474:                             ;   in Loop: Header=BB444_1478 Depth=1
	s_or_b32 exec_lo, exec_lo, s16
	s_delay_alu instid0(VALU_DEP_1) | instskip(SKIP_2) | instid1(VALU_DEP_3)
	v_lshlrev_b32_e32 v6, 20, v6
	v_lshlrev_b32_e32 v7, 24, v9
	v_lshl_add_u32 v60, v60, 23, 0x3c000000
	v_and_b32_e32 v6, 0x700000, v6
	s_delay_alu instid0(VALU_DEP_3) | instskip(NEXT) | instid1(VALU_DEP_1)
	v_and_b32_e32 v7, 0x80000000, v7
	v_or3_b32 v6, v6, v7, v60
.LBB444_2475:                           ;   in Loop: Header=BB444_1478 Depth=1
	s_or_b32 exec_lo, exec_lo, s15
.LBB444_2476:                           ;   in Loop: Header=BB444_1478 Depth=1
	s_delay_alu instid0(SALU_CYCLE_1)
	s_or_b32 exec_lo, exec_lo, s13
.LBB444_2477:                           ;   in Loop: Header=BB444_1478 Depth=1
	s_delay_alu instid0(SALU_CYCLE_1) | instskip(NEXT) | instid1(VALU_DEP_1)
	s_or_b32 exec_lo, exec_lo, s12
	v_mul_f32_e32 v6, v8, v6
                                        ; implicit-def: $vgpr60
	s_delay_alu instid0(VALU_DEP_1) | instskip(NEXT) | instid1(VALU_DEP_1)
	v_and_b32_e32 v7, 0x7f800000, v6
	v_cmp_ne_u32_e64 s0, 0x7f800000, v7
	s_delay_alu instid0(VALU_DEP_1) | instskip(NEXT) | instid1(SALU_CYCLE_1)
	s_and_saveexec_b32 s12, s0
	s_xor_b32 s0, exec_lo, s12
; %bb.2478:                             ;   in Loop: Header=BB444_1478 Depth=1
	v_bfe_u32 v7, v6, 16, 1
	s_delay_alu instid0(VALU_DEP_1)
	v_add3_u32 v60, v6, v7, 0x7fff
                                        ; implicit-def: $vgpr6
; %bb.2479:                             ;   in Loop: Header=BB444_1478 Depth=1
	s_and_not1_saveexec_b32 s12, s0
; %bb.2480:                             ;   in Loop: Header=BB444_1478 Depth=1
	v_and_b32_e32 v7, 0xffff, v6
	v_or_b32_e32 v60, 0x10000, v6
	s_delay_alu instid0(VALU_DEP_2) | instskip(NEXT) | instid1(VALU_DEP_1)
	v_cmp_eq_u32_e64 s0, 0, v7
	v_cndmask_b32_e64 v60, v60, v6, s0
; %bb.2481:                             ;   in Loop: Header=BB444_1478 Depth=1
	s_or_b32 exec_lo, exec_lo, s12
	v_lshrrev_b16 v7, 8, v9
	v_mov_b32_e32 v6, 0
	s_mov_b32 s12, exec_lo
	s_delay_alu instid0(VALU_DEP_2)
	v_cmpx_ne_u16_e32 0, v7
	s_cbranch_execz .LBB444_2489
; %bb.2482:                             ;   in Loop: Header=BB444_1478 Depth=1
	v_bfrev_b32_e32 v6, 1
	s_mov_b32 s13, exec_lo
	v_cmpx_ne_u16_e32 0x80, v7
	s_cbranch_execz .LBB444_2488
; %bb.2483:                             ;   in Loop: Header=BB444_1478 Depth=1
	v_and_b32_e32 v7, 0xffff, v7
	v_mov_b32_e32 v6, 0x7f800001
	s_mov_b32 s15, exec_lo
	s_delay_alu instid0(VALU_DEP_2) | instskip(NEXT) | instid1(VALU_DEP_1)
	v_and_b32_e32 v62, 0x7f, v7
	v_cmpx_ne_u32_e32 0x7f, v62
	s_cbranch_execz .LBB444_2487
; %bb.2484:                             ;   in Loop: Header=BB444_1478 Depth=1
	v_dual_mov_b32 v7, v10 :: v_dual_and_b32 v6, 7, v7
	v_lshrrev_b32_e32 v61, 3, v62
	s_mov_b32 s16, exec_lo
	v_cmpx_gt_u32_e32 8, v62
; %bb.2485:                             ;   in Loop: Header=BB444_1478 Depth=1
	s_delay_alu instid0(VALU_DEP_3) | instskip(NEXT) | instid1(VALU_DEP_1)
	v_clz_i32_u32_e32 v61, v6
	v_min_u32_e32 v61, 32, v61
	s_delay_alu instid0(VALU_DEP_1) | instskip(SKIP_1) | instid1(VALU_DEP_2)
	v_subrev_nc_u32_e32 v62, 28, v61
	v_sub_nc_u32_e32 v61, 29, v61
	v_lshlrev_b64 v[6:7], v62, v[6:7]
	s_delay_alu instid0(VALU_DEP_1)
	v_and_b32_e32 v6, 7, v6
; %bb.2486:                             ;   in Loop: Header=BB444_1478 Depth=1
	s_or_b32 exec_lo, exec_lo, s16
	v_lshlrev_b32_e32 v7, 16, v9
	s_delay_alu instid0(VALU_DEP_2) | instskip(SKIP_1) | instid1(VALU_DEP_3)
	v_lshlrev_b32_e32 v6, 20, v6
	v_lshl_add_u32 v9, v61, 23, 0x3c000000
	v_and_b32_e32 v7, 0x80000000, v7
	s_delay_alu instid0(VALU_DEP_1)
	v_or3_b32 v6, v6, v7, v9
.LBB444_2487:                           ;   in Loop: Header=BB444_1478 Depth=1
	s_or_b32 exec_lo, exec_lo, s15
.LBB444_2488:                           ;   in Loop: Header=BB444_1478 Depth=1
	s_delay_alu instid0(SALU_CYCLE_1)
	s_or_b32 exec_lo, exec_lo, s13
.LBB444_2489:                           ;   in Loop: Header=BB444_1478 Depth=1
	s_delay_alu instid0(SALU_CYCLE_1) | instskip(NEXT) | instid1(VALU_DEP_1)
	s_or_b32 exec_lo, exec_lo, s12
	v_mul_f32_e32 v6, v8, v6
                                        ; implicit-def: $vgpr61
	s_delay_alu instid0(VALU_DEP_1) | instskip(NEXT) | instid1(VALU_DEP_1)
	v_and_b32_e32 v7, 0x7f800000, v6
	v_cmp_ne_u32_e64 s0, 0x7f800000, v7
	s_delay_alu instid0(VALU_DEP_1) | instskip(NEXT) | instid1(SALU_CYCLE_1)
	s_and_saveexec_b32 s12, s0
	s_xor_b32 s0, exec_lo, s12
; %bb.2490:                             ;   in Loop: Header=BB444_1478 Depth=1
	v_bfe_u32 v7, v6, 16, 1
	s_delay_alu instid0(VALU_DEP_1)
	v_add3_u32 v61, v6, v7, 0x7fff
                                        ; implicit-def: $vgpr6
; %bb.2491:                             ;   in Loop: Header=BB444_1478 Depth=1
	s_and_not1_saveexec_b32 s12, s0
; %bb.2492:                             ;   in Loop: Header=BB444_1478 Depth=1
	v_and_b32_e32 v7, 0xffff, v6
	v_or_b32_e32 v9, 0x10000, v6
	s_delay_alu instid0(VALU_DEP_2) | instskip(NEXT) | instid1(VALU_DEP_1)
	v_cmp_eq_u32_e64 s0, 0, v7
	v_cndmask_b32_e64 v61, v9, v6, s0
; %bb.2493:                             ;   in Loop: Header=BB444_1478 Depth=1
	s_or_b32 exec_lo, exec_lo, s12
	v_lshrrev_b32_e32 v62, 16, v3
	s_mov_b32 s12, exec_lo
	s_delay_alu instid0(VALU_DEP_1) | instskip(NEXT) | instid1(VALU_DEP_1)
	v_dual_mov_b32 v6, 0 :: v_dual_and_b32 v7, 0xff, v62
	v_cmpx_ne_u16_e32 0, v7
	s_cbranch_execz .LBB444_2501
; %bb.2494:                             ;   in Loop: Header=BB444_1478 Depth=1
	v_bfrev_b32_e32 v6, 1
	s_mov_b32 s13, exec_lo
	v_cmpx_ne_u16_e32 0x80, v7
	s_cbranch_execz .LBB444_2500
; %bb.2495:                             ;   in Loop: Header=BB444_1478 Depth=1
	v_bfe_u32 v7, v3, 16, 7
	v_mov_b32_e32 v6, 0x7f800001
	s_mov_b32 s15, exec_lo
	s_delay_alu instid0(VALU_DEP_2)
	v_cmpx_ne_u32_e32 0x7f, v7
	s_cbranch_execz .LBB444_2499
; %bb.2496:                             ;   in Loop: Header=BB444_1478 Depth=1
	v_and_b32_e32 v9, 7, v62
	v_lshrrev_b32_e32 v63, 3, v7
	v_cmp_gt_u32_e64 s0, 8, v7
	s_delay_alu instid0(VALU_DEP_3) | instskip(NEXT) | instid1(VALU_DEP_2)
	v_dual_mov_b32 v6, v9 :: v_dual_mov_b32 v7, v10
	s_and_saveexec_b32 s16, s0
; %bb.2497:                             ;   in Loop: Header=BB444_1478 Depth=1
	v_clz_i32_u32_e32 v6, v9
	s_delay_alu instid0(VALU_DEP_1) | instskip(NEXT) | instid1(VALU_DEP_1)
	v_min_u32_e32 v63, 32, v6
	v_subrev_nc_u32_e32 v6, 28, v63
	v_sub_nc_u32_e32 v63, 29, v63
	s_delay_alu instid0(VALU_DEP_2) | instskip(NEXT) | instid1(VALU_DEP_1)
	v_lshlrev_b64 v[6:7], v6, v[9:10]
	v_and_b32_e32 v6, 7, v6
; %bb.2498:                             ;   in Loop: Header=BB444_1478 Depth=1
	s_or_b32 exec_lo, exec_lo, s16
	v_lshlrev_b32_e32 v7, 24, v62
	s_delay_alu instid0(VALU_DEP_2) | instskip(SKIP_1) | instid1(VALU_DEP_3)
	v_lshlrev_b32_e32 v6, 20, v6
	v_lshl_add_u32 v9, v63, 23, 0x3c000000
	v_and_b32_e32 v7, 0x80000000, v7
	s_delay_alu instid0(VALU_DEP_1)
	v_or3_b32 v6, v6, v7, v9
.LBB444_2499:                           ;   in Loop: Header=BB444_1478 Depth=1
	s_or_b32 exec_lo, exec_lo, s15
.LBB444_2500:                           ;   in Loop: Header=BB444_1478 Depth=1
	s_delay_alu instid0(SALU_CYCLE_1)
	s_or_b32 exec_lo, exec_lo, s13
.LBB444_2501:                           ;   in Loop: Header=BB444_1478 Depth=1
	s_delay_alu instid0(SALU_CYCLE_1) | instskip(NEXT) | instid1(VALU_DEP_1)
	s_or_b32 exec_lo, exec_lo, s12
	v_mul_f32_e32 v6, v8, v6
                                        ; implicit-def: $vgpr62
	s_delay_alu instid0(VALU_DEP_1) | instskip(NEXT) | instid1(VALU_DEP_1)
	v_and_b32_e32 v7, 0x7f800000, v6
	v_cmp_ne_u32_e64 s0, 0x7f800000, v7
	s_delay_alu instid0(VALU_DEP_1) | instskip(NEXT) | instid1(SALU_CYCLE_1)
	s_and_saveexec_b32 s12, s0
	s_xor_b32 s0, exec_lo, s12
; %bb.2502:                             ;   in Loop: Header=BB444_1478 Depth=1
	v_bfe_u32 v7, v6, 16, 1
	s_delay_alu instid0(VALU_DEP_1)
	v_add3_u32 v62, v6, v7, 0x7fff
                                        ; implicit-def: $vgpr6
; %bb.2503:                             ;   in Loop: Header=BB444_1478 Depth=1
	s_and_not1_saveexec_b32 s12, s0
; %bb.2504:                             ;   in Loop: Header=BB444_1478 Depth=1
	v_and_b32_e32 v7, 0xffff, v6
	v_or_b32_e32 v9, 0x10000, v6
	s_delay_alu instid0(VALU_DEP_2) | instskip(NEXT) | instid1(VALU_DEP_1)
	v_cmp_eq_u32_e64 s0, 0, v7
	v_cndmask_b32_e64 v62, v9, v6, s0
; %bb.2505:                             ;   in Loop: Header=BB444_1478 Depth=1
	s_or_b32 exec_lo, exec_lo, s12
	v_cmp_lt_u64_e64 s0, s[8:9], v[2:3]
	v_mov_b32_e32 v2, 0
	s_delay_alu instid0(VALU_DEP_2)
	s_and_saveexec_b32 s12, s0
	s_cbranch_execz .LBB444_2513
; %bb.2506:                             ;   in Loop: Header=BB444_1478 Depth=1
	v_lshrrev_b32_e32 v6, 24, v3
	v_bfrev_b32_e32 v2, 1
	s_mov_b32 s13, exec_lo
	s_delay_alu instid0(VALU_DEP_2)
	v_cmpx_ne_u32_e32 0x80, v6
	s_cbranch_execz .LBB444_2512
; %bb.2507:                             ;   in Loop: Header=BB444_1478 Depth=1
	v_bfe_u32 v3, v3, 24, 7
	v_mov_b32_e32 v2, 0x7f800001
	s_mov_b32 s15, exec_lo
	s_delay_alu instid0(VALU_DEP_2)
	v_cmpx_ne_u32_e32 0x7f, v3
	s_cbranch_execz .LBB444_2511
; %bb.2508:                             ;   in Loop: Header=BB444_1478 Depth=1
	v_and_b32_e32 v9, 7, v6
	v_lshrrev_b32_e32 v7, 3, v3
	v_cmp_gt_u32_e64 s0, 8, v3
	s_delay_alu instid0(VALU_DEP_3) | instskip(NEXT) | instid1(VALU_DEP_2)
	v_dual_mov_b32 v2, v9 :: v_dual_mov_b32 v3, v10
	s_and_saveexec_b32 s16, s0
; %bb.2509:                             ;   in Loop: Header=BB444_1478 Depth=1
	v_clz_i32_u32_e32 v2, v9
	s_delay_alu instid0(VALU_DEP_1) | instskip(NEXT) | instid1(VALU_DEP_1)
	v_min_u32_e32 v7, 32, v2
	v_subrev_nc_u32_e32 v2, 28, v7
	v_sub_nc_u32_e32 v7, 29, v7
	s_delay_alu instid0(VALU_DEP_2) | instskip(NEXT) | instid1(VALU_DEP_1)
	v_lshlrev_b64 v[2:3], v2, v[9:10]
	v_and_b32_e32 v2, 7, v2
; %bb.2510:                             ;   in Loop: Header=BB444_1478 Depth=1
	s_or_b32 exec_lo, exec_lo, s16
	v_lshlrev_b32_e32 v3, 24, v6
	s_delay_alu instid0(VALU_DEP_2) | instskip(SKIP_1) | instid1(VALU_DEP_3)
	v_lshlrev_b32_e32 v2, 20, v2
	v_lshl_add_u32 v6, v7, 23, 0x3c000000
	v_and_b32_e32 v3, 0x80000000, v3
	s_delay_alu instid0(VALU_DEP_1)
	v_or3_b32 v2, v2, v3, v6
.LBB444_2511:                           ;   in Loop: Header=BB444_1478 Depth=1
	s_or_b32 exec_lo, exec_lo, s15
.LBB444_2512:                           ;   in Loop: Header=BB444_1478 Depth=1
	s_delay_alu instid0(SALU_CYCLE_1)
	s_or_b32 exec_lo, exec_lo, s13
.LBB444_2513:                           ;   in Loop: Header=BB444_1478 Depth=1
	s_delay_alu instid0(SALU_CYCLE_1) | instskip(NEXT) | instid1(VALU_DEP_1)
	s_or_b32 exec_lo, exec_lo, s12
	v_mul_f32_e32 v3, v8, v2
	s_delay_alu instid0(VALU_DEP_1) | instskip(NEXT) | instid1(VALU_DEP_1)
	v_and_b32_e32 v2, 0x7f800000, v3
	v_cmp_ne_u32_e64 s0, 0x7f800000, v2
                                        ; implicit-def: $vgpr2
	s_delay_alu instid0(VALU_DEP_1) | instskip(NEXT) | instid1(SALU_CYCLE_1)
	s_and_saveexec_b32 s12, s0
	s_xor_b32 s0, exec_lo, s12
; %bb.2514:                             ;   in Loop: Header=BB444_1478 Depth=1
	v_bfe_u32 v2, v3, 16, 1
	s_delay_alu instid0(VALU_DEP_1)
	v_add3_u32 v2, v3, v2, 0x7fff
                                        ; implicit-def: $vgpr3
; %bb.2515:                             ;   in Loop: Header=BB444_1478 Depth=1
	s_and_not1_saveexec_b32 s12, s0
; %bb.2516:                             ;   in Loop: Header=BB444_1478 Depth=1
	v_and_b32_e32 v2, 0xffff, v3
	v_or_b32_e32 v6, 0x10000, v3
	s_delay_alu instid0(VALU_DEP_2) | instskip(NEXT) | instid1(VALU_DEP_1)
	v_cmp_eq_u32_e64 s0, 0, v2
	v_cndmask_b32_e64 v2, v6, v3, s0
; %bb.2517:                             ;   in Loop: Header=BB444_1478 Depth=1
	s_or_b32 exec_lo, exec_lo, s12
	v_lshrrev_b32_e32 v6, 16, v61
	v_lshrrev_b32_e32 v7, 16, v60
	;; [unrolled: 1-line block ×8, first 2 shown]
	s_and_saveexec_b32 s12, vcc_lo
	s_cbranch_execz .LBB444_2519
; %bb.2518:                             ;   in Loop: Header=BB444_1478 Depth=1
	v_cmp_lt_i32_e64 s0, v85, v38
	s_delay_alu instid0(VALU_DEP_1) | instskip(SKIP_1) | instid1(VALU_DEP_1)
	v_cndmask_b32_e64 v56, 0, v56, s0
	v_cmp_lt_i32_e64 s0, v100, v38
	v_cndmask_b32_e64 v57, 0, v57, s0
	v_cmp_lt_i32_e64 s0, v99, v38
	s_delay_alu instid0(VALU_DEP_1) | instskip(SKIP_1) | instid1(VALU_DEP_1)
	v_cndmask_b32_e64 v58, 0, v58, s0
	v_cmp_lt_i32_e64 s0, v98, v38
	v_cndmask_b32_e64 v9, 0, v9, s0
	;; [unrolled: 5-line block ×4, first 2 shown]
.LBB444_2519:                           ;   in Loop: Header=BB444_1478 Depth=1
	s_or_b32 exec_lo, exec_lo, s12
	v_lshlrev_b32_e32 v56, 16, v56
	s_delay_alu instid0(VALU_DEP_1) | instskip(NEXT) | instid1(VALU_DEP_1)
	v_mul_f32_e32 v59, v101, v56
	v_and_b32_e32 v56, 0x7f800000, v59
	s_delay_alu instid0(VALU_DEP_1) | instskip(NEXT) | instid1(VALU_DEP_1)
	v_cmp_ne_u32_e64 s0, 0x7f800000, v56
                                        ; implicit-def: $vgpr56
	s_and_saveexec_b32 s12, s0
	s_delay_alu instid0(SALU_CYCLE_1)
	s_xor_b32 s0, exec_lo, s12
; %bb.2520:                             ;   in Loop: Header=BB444_1478 Depth=1
	v_bfe_u32 v56, v59, 16, 1
	s_delay_alu instid0(VALU_DEP_1)
	v_add3_u32 v56, v59, v56, 0x7fff
                                        ; implicit-def: $vgpr59
; %bb.2521:                             ;   in Loop: Header=BB444_1478 Depth=1
	s_and_not1_saveexec_b32 s12, s0
; %bb.2522:                             ;   in Loop: Header=BB444_1478 Depth=1
	v_and_b32_e32 v56, 0xffff, v59
	v_or_b32_e32 v60, 0x10000, v59
	s_delay_alu instid0(VALU_DEP_2) | instskip(NEXT) | instid1(VALU_DEP_1)
	v_cmp_eq_u32_e64 s0, 0, v56
	v_cndmask_b32_e64 v56, v60, v59, s0
; %bb.2523:                             ;   in Loop: Header=BB444_1478 Depth=1
	s_or_b32 exec_lo, exec_lo, s12
	v_lshlrev_b32_e32 v57, 16, v57
	s_delay_alu instid0(VALU_DEP_1) | instskip(NEXT) | instid1(VALU_DEP_1)
	v_mul_f32_e32 v59, v102, v57
	v_and_b32_e32 v57, 0x7f800000, v59
	s_delay_alu instid0(VALU_DEP_1) | instskip(NEXT) | instid1(VALU_DEP_1)
	v_cmp_ne_u32_e64 s0, 0x7f800000, v57
                                        ; implicit-def: $vgpr57
	s_and_saveexec_b32 s12, s0
	s_delay_alu instid0(SALU_CYCLE_1)
	s_xor_b32 s0, exec_lo, s12
; %bb.2524:                             ;   in Loop: Header=BB444_1478 Depth=1
	v_bfe_u32 v57, v59, 16, 1
	s_delay_alu instid0(VALU_DEP_1)
	v_add3_u32 v57, v59, v57, 0x7fff
                                        ; implicit-def: $vgpr59
; %bb.2525:                             ;   in Loop: Header=BB444_1478 Depth=1
	s_and_not1_saveexec_b32 s12, s0
; %bb.2526:                             ;   in Loop: Header=BB444_1478 Depth=1
	v_and_b32_e32 v57, 0xffff, v59
	v_or_b32_e32 v60, 0x10000, v59
	s_delay_alu instid0(VALU_DEP_2) | instskip(NEXT) | instid1(VALU_DEP_1)
	v_cmp_eq_u32_e64 s0, 0, v57
	v_cndmask_b32_e64 v57, v60, v59, s0
; %bb.2527:                             ;   in Loop: Header=BB444_1478 Depth=1
	s_or_b32 exec_lo, exec_lo, s12
	v_lshlrev_b32_e32 v58, 16, v58
	s_delay_alu instid0(VALU_DEP_1) | instskip(NEXT) | instid1(VALU_DEP_1)
	v_mul_f32_e32 v59, v103, v58
	v_and_b32_e32 v58, 0x7f800000, v59
	s_delay_alu instid0(VALU_DEP_1) | instskip(NEXT) | instid1(VALU_DEP_1)
	v_cmp_ne_u32_e64 s0, 0x7f800000, v58
                                        ; implicit-def: $vgpr58
	s_and_saveexec_b32 s12, s0
	s_delay_alu instid0(SALU_CYCLE_1)
	s_xor_b32 s0, exec_lo, s12
; %bb.2528:                             ;   in Loop: Header=BB444_1478 Depth=1
	v_bfe_u32 v58, v59, 16, 1
	s_delay_alu instid0(VALU_DEP_1)
	v_add3_u32 v58, v59, v58, 0x7fff
                                        ; implicit-def: $vgpr59
; %bb.2529:                             ;   in Loop: Header=BB444_1478 Depth=1
	s_and_not1_saveexec_b32 s12, s0
; %bb.2530:                             ;   in Loop: Header=BB444_1478 Depth=1
	v_and_b32_e32 v58, 0xffff, v59
	v_or_b32_e32 v60, 0x10000, v59
	s_delay_alu instid0(VALU_DEP_2) | instskip(NEXT) | instid1(VALU_DEP_1)
	v_cmp_eq_u32_e64 s0, 0, v58
	v_cndmask_b32_e64 v58, v60, v59, s0
; %bb.2531:                             ;   in Loop: Header=BB444_1478 Depth=1
	s_or_b32 exec_lo, exec_lo, s12
	v_lshlrev_b32_e32 v9, 16, v9
	s_delay_alu instid0(VALU_DEP_1) | instskip(NEXT) | instid1(VALU_DEP_1)
	v_mul_f32_e32 v9, v112, v9
	v_and_b32_e32 v59, 0x7f800000, v9
	s_delay_alu instid0(VALU_DEP_1) | instskip(NEXT) | instid1(VALU_DEP_1)
	v_cmp_ne_u32_e64 s0, 0x7f800000, v59
                                        ; implicit-def: $vgpr59
	s_and_saveexec_b32 s12, s0
	s_delay_alu instid0(SALU_CYCLE_1)
	s_xor_b32 s0, exec_lo, s12
; %bb.2532:                             ;   in Loop: Header=BB444_1478 Depth=1
	v_bfe_u32 v59, v9, 16, 1
	s_delay_alu instid0(VALU_DEP_1)
	v_add3_u32 v59, v9, v59, 0x7fff
                                        ; implicit-def: $vgpr9
; %bb.2533:                             ;   in Loop: Header=BB444_1478 Depth=1
	s_and_not1_saveexec_b32 s12, s0
; %bb.2534:                             ;   in Loop: Header=BB444_1478 Depth=1
	v_and_b32_e32 v59, 0xffff, v9
	v_or_b32_e32 v60, 0x10000, v9
	s_delay_alu instid0(VALU_DEP_2) | instskip(NEXT) | instid1(VALU_DEP_1)
	v_cmp_eq_u32_e64 s0, 0, v59
	v_cndmask_b32_e64 v59, v60, v9, s0
; %bb.2535:                             ;   in Loop: Header=BB444_1478 Depth=1
	s_or_b32 exec_lo, exec_lo, s12
	v_lshlrev_b32_e32 v7, 16, v7
                                        ; implicit-def: $vgpr60
	s_delay_alu instid0(VALU_DEP_1) | instskip(NEXT) | instid1(VALU_DEP_1)
	v_mul_f32_e32 v7, v113, v7
	v_and_b32_e32 v9, 0x7f800000, v7
	s_delay_alu instid0(VALU_DEP_1) | instskip(NEXT) | instid1(VALU_DEP_1)
	v_cmp_ne_u32_e64 s0, 0x7f800000, v9
	s_and_saveexec_b32 s12, s0
	s_delay_alu instid0(SALU_CYCLE_1)
	s_xor_b32 s0, exec_lo, s12
; %bb.2536:                             ;   in Loop: Header=BB444_1478 Depth=1
	v_bfe_u32 v9, v7, 16, 1
	s_delay_alu instid0(VALU_DEP_1)
	v_add3_u32 v60, v7, v9, 0x7fff
                                        ; implicit-def: $vgpr7
; %bb.2537:                             ;   in Loop: Header=BB444_1478 Depth=1
	s_and_not1_saveexec_b32 s12, s0
; %bb.2538:                             ;   in Loop: Header=BB444_1478 Depth=1
	v_and_b32_e32 v9, 0xffff, v7
	v_or_b32_e32 v60, 0x10000, v7
	s_delay_alu instid0(VALU_DEP_2) | instskip(NEXT) | instid1(VALU_DEP_1)
	v_cmp_eq_u32_e64 s0, 0, v9
	v_cndmask_b32_e64 v60, v60, v7, s0
; %bb.2539:                             ;   in Loop: Header=BB444_1478 Depth=1
	s_or_b32 exec_lo, exec_lo, s12
	v_lshlrev_b32_e32 v6, 16, v6
                                        ; implicit-def: $vgpr61
	s_delay_alu instid0(VALU_DEP_1) | instskip(NEXT) | instid1(VALU_DEP_1)
	v_mul_f32_e32 v6, v114, v6
	v_and_b32_e32 v7, 0x7f800000, v6
	s_delay_alu instid0(VALU_DEP_1) | instskip(NEXT) | instid1(VALU_DEP_1)
	v_cmp_ne_u32_e64 s0, 0x7f800000, v7
	s_and_saveexec_b32 s12, s0
	s_delay_alu instid0(SALU_CYCLE_1)
	s_xor_b32 s0, exec_lo, s12
; %bb.2540:                             ;   in Loop: Header=BB444_1478 Depth=1
	v_bfe_u32 v7, v6, 16, 1
	s_delay_alu instid0(VALU_DEP_1)
	v_add3_u32 v61, v6, v7, 0x7fff
                                        ; implicit-def: $vgpr6
; %bb.2541:                             ;   in Loop: Header=BB444_1478 Depth=1
	s_and_not1_saveexec_b32 s12, s0
; %bb.2542:                             ;   in Loop: Header=BB444_1478 Depth=1
	v_and_b32_e32 v7, 0xffff, v6
	v_or_b32_e32 v9, 0x10000, v6
	s_delay_alu instid0(VALU_DEP_2) | instskip(NEXT) | instid1(VALU_DEP_1)
	v_cmp_eq_u32_e64 s0, 0, v7
	v_cndmask_b32_e64 v61, v9, v6, s0
; %bb.2543:                             ;   in Loop: Header=BB444_1478 Depth=1
	s_or_b32 exec_lo, exec_lo, s12
	v_lshlrev_b32_e32 v3, 16, v3
                                        ; implicit-def: $vgpr62
	s_delay_alu instid0(VALU_DEP_1) | instskip(NEXT) | instid1(VALU_DEP_1)
	v_mul_f32_e32 v3, v115, v3
	v_and_b32_e32 v6, 0x7f800000, v3
	s_delay_alu instid0(VALU_DEP_1) | instskip(NEXT) | instid1(VALU_DEP_1)
	v_cmp_ne_u32_e64 s0, 0x7f800000, v6
	s_and_saveexec_b32 s12, s0
	s_delay_alu instid0(SALU_CYCLE_1)
	s_xor_b32 s0, exec_lo, s12
; %bb.2544:                             ;   in Loop: Header=BB444_1478 Depth=1
	v_bfe_u32 v6, v3, 16, 1
	s_delay_alu instid0(VALU_DEP_1)
	v_add3_u32 v62, v3, v6, 0x7fff
                                        ; implicit-def: $vgpr3
; %bb.2545:                             ;   in Loop: Header=BB444_1478 Depth=1
	s_and_not1_saveexec_b32 s12, s0
; %bb.2546:                             ;   in Loop: Header=BB444_1478 Depth=1
	v_and_b32_e32 v6, 0xffff, v3
	v_or_b32_e32 v7, 0x10000, v3
	s_delay_alu instid0(VALU_DEP_2) | instskip(NEXT) | instid1(VALU_DEP_1)
	v_cmp_eq_u32_e64 s0, 0, v6
	v_cndmask_b32_e64 v62, v7, v3, s0
; %bb.2547:                             ;   in Loop: Header=BB444_1478 Depth=1
	s_or_b32 exec_lo, exec_lo, s12
	v_lshlrev_b32_e32 v2, 16, v2
                                        ; implicit-def: $vgpr63
	s_delay_alu instid0(VALU_DEP_1) | instskip(NEXT) | instid1(VALU_DEP_1)
	v_mul_f32_e32 v2, v116, v2
	v_and_b32_e32 v3, 0x7f800000, v2
	s_delay_alu instid0(VALU_DEP_1) | instskip(NEXT) | instid1(VALU_DEP_1)
	v_cmp_ne_u32_e64 s0, 0x7f800000, v3
	s_and_saveexec_b32 s12, s0
	s_delay_alu instid0(SALU_CYCLE_1)
	s_xor_b32 s0, exec_lo, s12
; %bb.2548:                             ;   in Loop: Header=BB444_1478 Depth=1
	v_bfe_u32 v3, v2, 16, 1
	s_delay_alu instid0(VALU_DEP_1)
	v_add3_u32 v63, v2, v3, 0x7fff
                                        ; implicit-def: $vgpr2
; %bb.2549:                             ;   in Loop: Header=BB444_1478 Depth=1
	s_and_not1_saveexec_b32 s12, s0
; %bb.2550:                             ;   in Loop: Header=BB444_1478 Depth=1
	v_and_b32_e32 v3, 0xffff, v2
	v_or_b32_e32 v6, 0x10000, v2
	s_delay_alu instid0(VALU_DEP_2) | instskip(NEXT) | instid1(VALU_DEP_1)
	v_cmp_eq_u32_e64 s0, 0, v3
	v_cndmask_b32_e64 v63, v6, v2, s0
; %bb.2551:                             ;   in Loop: Header=BB444_1478 Depth=1
	s_or_b32 exec_lo, exec_lo, s12
	flat_load_b64 v[2:3], v[0:1] offset:2048
	s_mov_b32 s12, exec_lo
	s_waitcnt vmcnt(0) lgkmcnt(0)
	v_dual_mov_b32 v6, 0 :: v_dual_and_b32 v7, 0xff, v2
	s_delay_alu instid0(VALU_DEP_1)
	v_cmpx_ne_u16_e32 0, v7
	s_cbranch_execz .LBB444_2559
; %bb.2552:                             ;   in Loop: Header=BB444_1478 Depth=1
	v_bfrev_b32_e32 v6, 1
	s_mov_b32 s13, exec_lo
	v_cmpx_ne_u16_e32 0x80, v7
	s_cbranch_execz .LBB444_2558
; %bb.2553:                             ;   in Loop: Header=BB444_1478 Depth=1
	v_and_b32_e32 v7, 0x7f, v2
	v_mov_b32_e32 v6, 0x7f800001
	s_mov_b32 s15, exec_lo
	s_delay_alu instid0(VALU_DEP_2)
	v_cmpx_ne_u32_e32 0x7f, v7
	s_cbranch_execz .LBB444_2557
; %bb.2554:                             ;   in Loop: Header=BB444_1478 Depth=1
	v_lshrrev_b32_e32 v9, 3, v7
	v_cmp_gt_u32_e64 s0, 8, v7
	v_dual_mov_b32 v7, v3 :: v_dual_mov_b32 v6, v2
	s_delay_alu instid0(VALU_DEP_2)
	s_and_saveexec_b32 s16, s0
; %bb.2555:                             ;   in Loop: Header=BB444_1478 Depth=1
	v_and_b32_e32 v6, 7, v2
	s_delay_alu instid0(VALU_DEP_1) | instskip(NEXT) | instid1(VALU_DEP_1)
	v_clz_i32_u32_e32 v6, v6
	v_min_u32_e32 v9, 32, v6
	s_delay_alu instid0(VALU_DEP_1) | instskip(SKIP_1) | instid1(VALU_DEP_2)
	v_subrev_nc_u32_e32 v6, 28, v9
	v_sub_nc_u32_e32 v9, 29, v9
	v_lshlrev_b64 v[6:7], v6, v[2:3]
; %bb.2556:                             ;   in Loop: Header=BB444_1478 Depth=1
	s_or_b32 exec_lo, exec_lo, s16
	s_delay_alu instid0(VALU_DEP_1) | instskip(SKIP_2) | instid1(VALU_DEP_3)
	v_lshlrev_b32_e32 v6, 20, v6
	v_lshlrev_b32_e32 v7, 24, v2
	v_lshl_add_u32 v9, v9, 23, 0x3c000000
	v_and_b32_e32 v6, 0x700000, v6
	s_delay_alu instid0(VALU_DEP_3) | instskip(NEXT) | instid1(VALU_DEP_1)
	v_and_b32_e32 v7, 0x80000000, v7
	v_or3_b32 v6, v6, v7, v9
.LBB444_2557:                           ;   in Loop: Header=BB444_1478 Depth=1
	s_or_b32 exec_lo, exec_lo, s15
.LBB444_2558:                           ;   in Loop: Header=BB444_1478 Depth=1
	s_delay_alu instid0(SALU_CYCLE_1)
	s_or_b32 exec_lo, exec_lo, s13
.LBB444_2559:                           ;   in Loop: Header=BB444_1478 Depth=1
	s_delay_alu instid0(SALU_CYCLE_1) | instskip(NEXT) | instid1(VALU_DEP_1)
	s_or_b32 exec_lo, exec_lo, s12
	v_mul_f32_e32 v6, v8, v6
                                        ; implicit-def: $vgpr72
	s_delay_alu instid0(VALU_DEP_1) | instskip(NEXT) | instid1(VALU_DEP_1)
	v_and_b32_e32 v7, 0x7f800000, v6
	v_cmp_ne_u32_e64 s0, 0x7f800000, v7
	s_delay_alu instid0(VALU_DEP_1) | instskip(NEXT) | instid1(SALU_CYCLE_1)
	s_and_saveexec_b32 s12, s0
	s_xor_b32 s0, exec_lo, s12
; %bb.2560:                             ;   in Loop: Header=BB444_1478 Depth=1
	v_bfe_u32 v7, v6, 16, 1
	s_delay_alu instid0(VALU_DEP_1)
	v_add3_u32 v72, v6, v7, 0x7fff
                                        ; implicit-def: $vgpr6
; %bb.2561:                             ;   in Loop: Header=BB444_1478 Depth=1
	s_and_not1_saveexec_b32 s12, s0
; %bb.2562:                             ;   in Loop: Header=BB444_1478 Depth=1
	v_and_b32_e32 v7, 0xffff, v6
	v_or_b32_e32 v9, 0x10000, v6
	s_delay_alu instid0(VALU_DEP_2) | instskip(NEXT) | instid1(VALU_DEP_1)
	v_cmp_eq_u32_e64 s0, 0, v7
	v_cndmask_b32_e64 v72, v9, v6, s0
; %bb.2563:                             ;   in Loop: Header=BB444_1478 Depth=1
	s_or_b32 exec_lo, exec_lo, s12
	v_lshrrev_b16 v7, 8, v2
	v_mov_b32_e32 v6, 0
	s_mov_b32 s12, exec_lo
	s_delay_alu instid0(VALU_DEP_2)
	v_cmpx_ne_u16_e32 0, v7
	s_cbranch_execz .LBB444_2571
; %bb.2564:                             ;   in Loop: Header=BB444_1478 Depth=1
	v_bfrev_b32_e32 v6, 1
	s_mov_b32 s13, exec_lo
	v_cmpx_ne_u16_e32 0x80, v7
	s_cbranch_execz .LBB444_2570
; %bb.2565:                             ;   in Loop: Header=BB444_1478 Depth=1
	v_and_b32_e32 v9, 0xffff, v7
	v_mov_b32_e32 v6, 0x7f800001
	s_mov_b32 s15, exec_lo
	s_delay_alu instid0(VALU_DEP_2) | instskip(NEXT) | instid1(VALU_DEP_1)
	v_and_b32_e32 v7, 0x7f, v9
	v_cmpx_ne_u32_e32 0x7f, v7
	s_cbranch_execz .LBB444_2569
; %bb.2566:                             ;   in Loop: Header=BB444_1478 Depth=1
	v_and_b32_e32 v9, 7, v9
	v_lshrrev_b32_e32 v73, 3, v7
	v_cmp_gt_u32_e64 s0, 8, v7
	s_delay_alu instid0(VALU_DEP_3) | instskip(NEXT) | instid1(VALU_DEP_2)
	v_dual_mov_b32 v6, v9 :: v_dual_mov_b32 v7, v10
	s_and_saveexec_b32 s16, s0
; %bb.2567:                             ;   in Loop: Header=BB444_1478 Depth=1
	v_clz_i32_u32_e32 v6, v9
	s_delay_alu instid0(VALU_DEP_1) | instskip(NEXT) | instid1(VALU_DEP_1)
	v_min_u32_e32 v73, 32, v6
	v_subrev_nc_u32_e32 v6, 28, v73
	v_sub_nc_u32_e32 v73, 29, v73
	s_delay_alu instid0(VALU_DEP_2) | instskip(NEXT) | instid1(VALU_DEP_1)
	v_lshlrev_b64 v[6:7], v6, v[9:10]
	v_and_b32_e32 v6, 7, v6
; %bb.2568:                             ;   in Loop: Header=BB444_1478 Depth=1
	s_or_b32 exec_lo, exec_lo, s16
	v_lshlrev_b32_e32 v7, 16, v2
	s_delay_alu instid0(VALU_DEP_2) | instskip(SKIP_1) | instid1(VALU_DEP_3)
	v_lshlrev_b32_e32 v6, 20, v6
	v_lshl_add_u32 v9, v73, 23, 0x3c000000
	v_and_b32_e32 v7, 0x80000000, v7
	s_delay_alu instid0(VALU_DEP_1)
	v_or3_b32 v6, v6, v7, v9
.LBB444_2569:                           ;   in Loop: Header=BB444_1478 Depth=1
	s_or_b32 exec_lo, exec_lo, s15
.LBB444_2570:                           ;   in Loop: Header=BB444_1478 Depth=1
	s_delay_alu instid0(SALU_CYCLE_1)
	s_or_b32 exec_lo, exec_lo, s13
.LBB444_2571:                           ;   in Loop: Header=BB444_1478 Depth=1
	s_delay_alu instid0(SALU_CYCLE_1) | instskip(NEXT) | instid1(VALU_DEP_1)
	s_or_b32 exec_lo, exec_lo, s12
	v_mul_f32_e32 v6, v8, v6
                                        ; implicit-def: $vgpr73
	s_delay_alu instid0(VALU_DEP_1) | instskip(NEXT) | instid1(VALU_DEP_1)
	v_and_b32_e32 v7, 0x7f800000, v6
	v_cmp_ne_u32_e64 s0, 0x7f800000, v7
	s_delay_alu instid0(VALU_DEP_1) | instskip(NEXT) | instid1(SALU_CYCLE_1)
	s_and_saveexec_b32 s12, s0
	s_xor_b32 s0, exec_lo, s12
; %bb.2572:                             ;   in Loop: Header=BB444_1478 Depth=1
	v_bfe_u32 v7, v6, 16, 1
	s_delay_alu instid0(VALU_DEP_1)
	v_add3_u32 v73, v6, v7, 0x7fff
                                        ; implicit-def: $vgpr6
; %bb.2573:                             ;   in Loop: Header=BB444_1478 Depth=1
	s_and_not1_saveexec_b32 s12, s0
; %bb.2574:                             ;   in Loop: Header=BB444_1478 Depth=1
	v_and_b32_e32 v7, 0xffff, v6
	v_or_b32_e32 v9, 0x10000, v6
	s_delay_alu instid0(VALU_DEP_2) | instskip(NEXT) | instid1(VALU_DEP_1)
	v_cmp_eq_u32_e64 s0, 0, v7
	v_cndmask_b32_e64 v73, v9, v6, s0
; %bb.2575:                             ;   in Loop: Header=BB444_1478 Depth=1
	s_or_b32 exec_lo, exec_lo, s12
	v_lshrrev_b32_e32 v74, 16, v2
	s_mov_b32 s12, exec_lo
	s_delay_alu instid0(VALU_DEP_1) | instskip(NEXT) | instid1(VALU_DEP_1)
	v_dual_mov_b32 v6, 0 :: v_dual_and_b32 v7, 0xff, v74
	v_cmpx_ne_u16_e32 0, v7
	s_cbranch_execz .LBB444_2583
; %bb.2576:                             ;   in Loop: Header=BB444_1478 Depth=1
	v_bfrev_b32_e32 v6, 1
	s_mov_b32 s13, exec_lo
	v_cmpx_ne_u16_e32 0x80, v7
	s_cbranch_execz .LBB444_2582
; %bb.2577:                             ;   in Loop: Header=BB444_1478 Depth=1
	v_bfe_u32 v7, v2, 16, 7
	v_mov_b32_e32 v6, 0x7f800001
	s_mov_b32 s15, exec_lo
	s_delay_alu instid0(VALU_DEP_2)
	v_cmpx_ne_u32_e32 0x7f, v7
	s_cbranch_execz .LBB444_2581
; %bb.2578:                             ;   in Loop: Header=BB444_1478 Depth=1
	v_and_b32_e32 v9, 7, v74
	v_lshrrev_b32_e32 v75, 3, v7
	v_cmp_gt_u32_e64 s0, 8, v7
	s_delay_alu instid0(VALU_DEP_3) | instskip(NEXT) | instid1(VALU_DEP_2)
	v_dual_mov_b32 v6, v9 :: v_dual_mov_b32 v7, v10
	s_and_saveexec_b32 s16, s0
; %bb.2579:                             ;   in Loop: Header=BB444_1478 Depth=1
	v_clz_i32_u32_e32 v6, v9
	s_delay_alu instid0(VALU_DEP_1) | instskip(NEXT) | instid1(VALU_DEP_1)
	v_min_u32_e32 v75, 32, v6
	v_subrev_nc_u32_e32 v6, 28, v75
	v_sub_nc_u32_e32 v75, 29, v75
	s_delay_alu instid0(VALU_DEP_2) | instskip(NEXT) | instid1(VALU_DEP_1)
	v_lshlrev_b64 v[6:7], v6, v[9:10]
	v_and_b32_e32 v6, 7, v6
; %bb.2580:                             ;   in Loop: Header=BB444_1478 Depth=1
	s_or_b32 exec_lo, exec_lo, s16
	v_lshlrev_b32_e32 v7, 24, v74
	s_delay_alu instid0(VALU_DEP_2) | instskip(SKIP_1) | instid1(VALU_DEP_3)
	v_lshlrev_b32_e32 v6, 20, v6
	v_lshl_add_u32 v9, v75, 23, 0x3c000000
	v_and_b32_e32 v7, 0x80000000, v7
	s_delay_alu instid0(VALU_DEP_1)
	v_or3_b32 v6, v6, v7, v9
.LBB444_2581:                           ;   in Loop: Header=BB444_1478 Depth=1
	s_or_b32 exec_lo, exec_lo, s15
.LBB444_2582:                           ;   in Loop: Header=BB444_1478 Depth=1
	s_delay_alu instid0(SALU_CYCLE_1)
	s_or_b32 exec_lo, exec_lo, s13
.LBB444_2583:                           ;   in Loop: Header=BB444_1478 Depth=1
	s_delay_alu instid0(SALU_CYCLE_1) | instskip(NEXT) | instid1(VALU_DEP_1)
	s_or_b32 exec_lo, exec_lo, s12
	v_mul_f32_e32 v6, v8, v6
                                        ; implicit-def: $vgpr74
	s_delay_alu instid0(VALU_DEP_1) | instskip(NEXT) | instid1(VALU_DEP_1)
	v_and_b32_e32 v7, 0x7f800000, v6
	v_cmp_ne_u32_e64 s0, 0x7f800000, v7
	s_delay_alu instid0(VALU_DEP_1) | instskip(NEXT) | instid1(SALU_CYCLE_1)
	s_and_saveexec_b32 s12, s0
	s_xor_b32 s0, exec_lo, s12
; %bb.2584:                             ;   in Loop: Header=BB444_1478 Depth=1
	v_bfe_u32 v7, v6, 16, 1
	s_delay_alu instid0(VALU_DEP_1)
	v_add3_u32 v74, v6, v7, 0x7fff
                                        ; implicit-def: $vgpr6
; %bb.2585:                             ;   in Loop: Header=BB444_1478 Depth=1
	s_and_not1_saveexec_b32 s12, s0
; %bb.2586:                             ;   in Loop: Header=BB444_1478 Depth=1
	v_and_b32_e32 v7, 0xffff, v6
	v_or_b32_e32 v9, 0x10000, v6
	s_delay_alu instid0(VALU_DEP_2) | instskip(NEXT) | instid1(VALU_DEP_1)
	v_cmp_eq_u32_e64 s0, 0, v7
	v_cndmask_b32_e64 v74, v9, v6, s0
; %bb.2587:                             ;   in Loop: Header=BB444_1478 Depth=1
	s_or_b32 exec_lo, exec_lo, s12
	v_mov_b32_e32 v6, 0
	s_mov_b32 s12, exec_lo
	v_cmpx_lt_u32_e32 0xffffff, v2
	s_cbranch_execz .LBB444_2595
; %bb.2588:                             ;   in Loop: Header=BB444_1478 Depth=1
	v_lshrrev_b32_e32 v75, 24, v2
	v_bfrev_b32_e32 v6, 1
	s_mov_b32 s13, exec_lo
	s_delay_alu instid0(VALU_DEP_2)
	v_cmpx_ne_u32_e32 0x80, v75
	s_cbranch_execz .LBB444_2594
; %bb.2589:                             ;   in Loop: Header=BB444_1478 Depth=1
	v_bfe_u32 v7, v2, 24, 7
	v_mov_b32_e32 v6, 0x7f800001
	s_mov_b32 s15, exec_lo
	s_delay_alu instid0(VALU_DEP_2)
	v_cmpx_ne_u32_e32 0x7f, v7
	s_cbranch_execz .LBB444_2593
; %bb.2590:                             ;   in Loop: Header=BB444_1478 Depth=1
	v_and_b32_e32 v9, 7, v75
	v_lshrrev_b32_e32 v76, 3, v7
	v_cmp_gt_u32_e64 s0, 8, v7
	s_delay_alu instid0(VALU_DEP_3) | instskip(NEXT) | instid1(VALU_DEP_2)
	v_dual_mov_b32 v6, v9 :: v_dual_mov_b32 v7, v10
	s_and_saveexec_b32 s16, s0
; %bb.2591:                             ;   in Loop: Header=BB444_1478 Depth=1
	v_clz_i32_u32_e32 v6, v9
	s_delay_alu instid0(VALU_DEP_1) | instskip(NEXT) | instid1(VALU_DEP_1)
	v_min_u32_e32 v76, 32, v6
	v_subrev_nc_u32_e32 v6, 28, v76
	v_sub_nc_u32_e32 v76, 29, v76
	s_delay_alu instid0(VALU_DEP_2) | instskip(NEXT) | instid1(VALU_DEP_1)
	v_lshlrev_b64 v[6:7], v6, v[9:10]
	v_and_b32_e32 v6, 7, v6
; %bb.2592:                             ;   in Loop: Header=BB444_1478 Depth=1
	s_or_b32 exec_lo, exec_lo, s16
	v_lshlrev_b32_e32 v7, 24, v75
	s_delay_alu instid0(VALU_DEP_2) | instskip(SKIP_1) | instid1(VALU_DEP_3)
	v_lshlrev_b32_e32 v6, 20, v6
	v_lshl_add_u32 v9, v76, 23, 0x3c000000
	v_and_b32_e32 v7, 0x80000000, v7
	s_delay_alu instid0(VALU_DEP_1)
	v_or3_b32 v6, v6, v7, v9
.LBB444_2593:                           ;   in Loop: Header=BB444_1478 Depth=1
	s_or_b32 exec_lo, exec_lo, s15
.LBB444_2594:                           ;   in Loop: Header=BB444_1478 Depth=1
	s_delay_alu instid0(SALU_CYCLE_1)
	s_or_b32 exec_lo, exec_lo, s13
.LBB444_2595:                           ;   in Loop: Header=BB444_1478 Depth=1
	s_delay_alu instid0(SALU_CYCLE_1) | instskip(NEXT) | instid1(VALU_DEP_1)
	s_or_b32 exec_lo, exec_lo, s12
	v_mul_f32_e32 v6, v8, v6
                                        ; implicit-def: $vgpr75
	s_delay_alu instid0(VALU_DEP_1) | instskip(NEXT) | instid1(VALU_DEP_1)
	v_and_b32_e32 v7, 0x7f800000, v6
	v_cmp_ne_u32_e64 s0, 0x7f800000, v7
	s_delay_alu instid0(VALU_DEP_1) | instskip(NEXT) | instid1(SALU_CYCLE_1)
	s_and_saveexec_b32 s12, s0
	s_xor_b32 s0, exec_lo, s12
; %bb.2596:                             ;   in Loop: Header=BB444_1478 Depth=1
	v_bfe_u32 v7, v6, 16, 1
	s_delay_alu instid0(VALU_DEP_1)
	v_add3_u32 v75, v6, v7, 0x7fff
                                        ; implicit-def: $vgpr6
; %bb.2597:                             ;   in Loop: Header=BB444_1478 Depth=1
	s_and_not1_saveexec_b32 s12, s0
; %bb.2598:                             ;   in Loop: Header=BB444_1478 Depth=1
	v_and_b32_e32 v7, 0xffff, v6
	v_or_b32_e32 v9, 0x10000, v6
	s_delay_alu instid0(VALU_DEP_2) | instskip(NEXT) | instid1(VALU_DEP_1)
	v_cmp_eq_u32_e64 s0, 0, v7
	v_cndmask_b32_e64 v75, v9, v6, s0
; %bb.2599:                             ;   in Loop: Header=BB444_1478 Depth=1
	s_or_b32 exec_lo, exec_lo, s12
	v_dual_mov_b32 v6, 0 :: v_dual_and_b32 v7, 0xff, v3
	v_mov_b32_e32 v9, v3
	s_mov_b32 s12, exec_lo
	s_delay_alu instid0(VALU_DEP_2)
	v_cmpx_ne_u16_e32 0, v7
	s_cbranch_execz .LBB444_2607
; %bb.2600:                             ;   in Loop: Header=BB444_1478 Depth=1
	v_bfrev_b32_e32 v6, 1
	s_mov_b32 s13, exec_lo
	v_cmpx_ne_u16_e32 0x80, v7
	s_cbranch_execz .LBB444_2606
; %bb.2601:                             ;   in Loop: Header=BB444_1478 Depth=1
	v_and_b32_e32 v7, 0x7f, v3
	v_mov_b32_e32 v6, 0x7f800001
	s_mov_b32 s15, exec_lo
	s_delay_alu instid0(VALU_DEP_2)
	v_cmpx_ne_u32_e32 0x7f, v7
	s_cbranch_execz .LBB444_2605
; %bb.2602:                             ;   in Loop: Header=BB444_1478 Depth=1
	v_lshrrev_b32_e32 v76, 3, v7
	v_cmp_gt_u32_e64 s0, 8, v7
	v_dual_mov_b32 v6, v9 :: v_dual_mov_b32 v7, v10
	s_delay_alu instid0(VALU_DEP_2)
	s_and_saveexec_b32 s16, s0
; %bb.2603:                             ;   in Loop: Header=BB444_1478 Depth=1
	v_and_b32_e32 v6, 7, v3
	s_delay_alu instid0(VALU_DEP_1) | instskip(NEXT) | instid1(VALU_DEP_1)
	v_clz_i32_u32_e32 v6, v6
	v_min_u32_e32 v76, 32, v6
	s_delay_alu instid0(VALU_DEP_1) | instskip(SKIP_1) | instid1(VALU_DEP_2)
	v_subrev_nc_u32_e32 v6, 28, v76
	v_sub_nc_u32_e32 v76, 29, v76
	v_lshlrev_b64 v[6:7], v6, v[9:10]
; %bb.2604:                             ;   in Loop: Header=BB444_1478 Depth=1
	s_or_b32 exec_lo, exec_lo, s16
	s_delay_alu instid0(VALU_DEP_1) | instskip(SKIP_2) | instid1(VALU_DEP_3)
	v_lshlrev_b32_e32 v6, 20, v6
	v_lshlrev_b32_e32 v7, 24, v9
	v_lshl_add_u32 v76, v76, 23, 0x3c000000
	v_and_b32_e32 v6, 0x700000, v6
	s_delay_alu instid0(VALU_DEP_3) | instskip(NEXT) | instid1(VALU_DEP_1)
	v_and_b32_e32 v7, 0x80000000, v7
	v_or3_b32 v6, v6, v7, v76
.LBB444_2605:                           ;   in Loop: Header=BB444_1478 Depth=1
	s_or_b32 exec_lo, exec_lo, s15
.LBB444_2606:                           ;   in Loop: Header=BB444_1478 Depth=1
	s_delay_alu instid0(SALU_CYCLE_1)
	s_or_b32 exec_lo, exec_lo, s13
.LBB444_2607:                           ;   in Loop: Header=BB444_1478 Depth=1
	s_delay_alu instid0(SALU_CYCLE_1) | instskip(NEXT) | instid1(VALU_DEP_1)
	s_or_b32 exec_lo, exec_lo, s12
	v_mul_f32_e32 v6, v8, v6
                                        ; implicit-def: $vgpr76
	s_delay_alu instid0(VALU_DEP_1) | instskip(NEXT) | instid1(VALU_DEP_1)
	v_and_b32_e32 v7, 0x7f800000, v6
	v_cmp_ne_u32_e64 s0, 0x7f800000, v7
	s_delay_alu instid0(VALU_DEP_1) | instskip(NEXT) | instid1(SALU_CYCLE_1)
	s_and_saveexec_b32 s12, s0
	s_xor_b32 s0, exec_lo, s12
; %bb.2608:                             ;   in Loop: Header=BB444_1478 Depth=1
	v_bfe_u32 v7, v6, 16, 1
	s_delay_alu instid0(VALU_DEP_1)
	v_add3_u32 v76, v6, v7, 0x7fff
                                        ; implicit-def: $vgpr6
; %bb.2609:                             ;   in Loop: Header=BB444_1478 Depth=1
	s_and_not1_saveexec_b32 s12, s0
; %bb.2610:                             ;   in Loop: Header=BB444_1478 Depth=1
	v_and_b32_e32 v7, 0xffff, v6
	v_or_b32_e32 v76, 0x10000, v6
	s_delay_alu instid0(VALU_DEP_2) | instskip(NEXT) | instid1(VALU_DEP_1)
	v_cmp_eq_u32_e64 s0, 0, v7
	v_cndmask_b32_e64 v76, v76, v6, s0
; %bb.2611:                             ;   in Loop: Header=BB444_1478 Depth=1
	s_or_b32 exec_lo, exec_lo, s12
	v_lshrrev_b16 v7, 8, v9
	v_mov_b32_e32 v6, 0
	s_mov_b32 s12, exec_lo
	s_delay_alu instid0(VALU_DEP_2)
	v_cmpx_ne_u16_e32 0, v7
	s_cbranch_execz .LBB444_2619
; %bb.2612:                             ;   in Loop: Header=BB444_1478 Depth=1
	v_bfrev_b32_e32 v6, 1
	s_mov_b32 s13, exec_lo
	v_cmpx_ne_u16_e32 0x80, v7
	s_cbranch_execz .LBB444_2618
; %bb.2613:                             ;   in Loop: Header=BB444_1478 Depth=1
	v_and_b32_e32 v7, 0xffff, v7
	v_mov_b32_e32 v6, 0x7f800001
	s_mov_b32 s15, exec_lo
	s_delay_alu instid0(VALU_DEP_2) | instskip(NEXT) | instid1(VALU_DEP_1)
	v_and_b32_e32 v78, 0x7f, v7
	v_cmpx_ne_u32_e32 0x7f, v78
	s_cbranch_execz .LBB444_2617
; %bb.2614:                             ;   in Loop: Header=BB444_1478 Depth=1
	v_dual_mov_b32 v7, v10 :: v_dual_and_b32 v6, 7, v7
	v_lshrrev_b32_e32 v77, 3, v78
	s_mov_b32 s16, exec_lo
	v_cmpx_gt_u32_e32 8, v78
; %bb.2615:                             ;   in Loop: Header=BB444_1478 Depth=1
	s_delay_alu instid0(VALU_DEP_3) | instskip(NEXT) | instid1(VALU_DEP_1)
	v_clz_i32_u32_e32 v77, v6
	v_min_u32_e32 v77, 32, v77
	s_delay_alu instid0(VALU_DEP_1) | instskip(SKIP_1) | instid1(VALU_DEP_2)
	v_subrev_nc_u32_e32 v78, 28, v77
	v_sub_nc_u32_e32 v77, 29, v77
	v_lshlrev_b64 v[6:7], v78, v[6:7]
	s_delay_alu instid0(VALU_DEP_1)
	v_and_b32_e32 v6, 7, v6
; %bb.2616:                             ;   in Loop: Header=BB444_1478 Depth=1
	s_or_b32 exec_lo, exec_lo, s16
	v_lshlrev_b32_e32 v7, 16, v9
	s_delay_alu instid0(VALU_DEP_2) | instskip(SKIP_1) | instid1(VALU_DEP_3)
	v_lshlrev_b32_e32 v6, 20, v6
	v_lshl_add_u32 v9, v77, 23, 0x3c000000
	v_and_b32_e32 v7, 0x80000000, v7
	s_delay_alu instid0(VALU_DEP_1)
	v_or3_b32 v6, v6, v7, v9
.LBB444_2617:                           ;   in Loop: Header=BB444_1478 Depth=1
	s_or_b32 exec_lo, exec_lo, s15
.LBB444_2618:                           ;   in Loop: Header=BB444_1478 Depth=1
	s_delay_alu instid0(SALU_CYCLE_1)
	s_or_b32 exec_lo, exec_lo, s13
.LBB444_2619:                           ;   in Loop: Header=BB444_1478 Depth=1
	s_delay_alu instid0(SALU_CYCLE_1) | instskip(NEXT) | instid1(VALU_DEP_1)
	s_or_b32 exec_lo, exec_lo, s12
	v_mul_f32_e32 v6, v8, v6
                                        ; implicit-def: $vgpr77
	s_delay_alu instid0(VALU_DEP_1) | instskip(NEXT) | instid1(VALU_DEP_1)
	v_and_b32_e32 v7, 0x7f800000, v6
	v_cmp_ne_u32_e64 s0, 0x7f800000, v7
	s_delay_alu instid0(VALU_DEP_1) | instskip(NEXT) | instid1(SALU_CYCLE_1)
	s_and_saveexec_b32 s12, s0
	s_xor_b32 s0, exec_lo, s12
; %bb.2620:                             ;   in Loop: Header=BB444_1478 Depth=1
	v_bfe_u32 v7, v6, 16, 1
	s_delay_alu instid0(VALU_DEP_1)
	v_add3_u32 v77, v6, v7, 0x7fff
                                        ; implicit-def: $vgpr6
; %bb.2621:                             ;   in Loop: Header=BB444_1478 Depth=1
	s_and_not1_saveexec_b32 s12, s0
; %bb.2622:                             ;   in Loop: Header=BB444_1478 Depth=1
	v_and_b32_e32 v7, 0xffff, v6
	v_or_b32_e32 v9, 0x10000, v6
	s_delay_alu instid0(VALU_DEP_2) | instskip(NEXT) | instid1(VALU_DEP_1)
	v_cmp_eq_u32_e64 s0, 0, v7
	v_cndmask_b32_e64 v77, v9, v6, s0
; %bb.2623:                             ;   in Loop: Header=BB444_1478 Depth=1
	s_or_b32 exec_lo, exec_lo, s12
	v_lshrrev_b32_e32 v78, 16, v3
	s_mov_b32 s12, exec_lo
	s_delay_alu instid0(VALU_DEP_1) | instskip(NEXT) | instid1(VALU_DEP_1)
	v_dual_mov_b32 v6, 0 :: v_dual_and_b32 v7, 0xff, v78
	v_cmpx_ne_u16_e32 0, v7
	s_cbranch_execz .LBB444_2631
; %bb.2624:                             ;   in Loop: Header=BB444_1478 Depth=1
	v_bfrev_b32_e32 v6, 1
	s_mov_b32 s13, exec_lo
	v_cmpx_ne_u16_e32 0x80, v7
	s_cbranch_execz .LBB444_2630
; %bb.2625:                             ;   in Loop: Header=BB444_1478 Depth=1
	v_bfe_u32 v7, v3, 16, 7
	v_mov_b32_e32 v6, 0x7f800001
	s_mov_b32 s15, exec_lo
	s_delay_alu instid0(VALU_DEP_2)
	v_cmpx_ne_u32_e32 0x7f, v7
	s_cbranch_execz .LBB444_2629
; %bb.2626:                             ;   in Loop: Header=BB444_1478 Depth=1
	v_and_b32_e32 v9, 7, v78
	v_lshrrev_b32_e32 v79, 3, v7
	v_cmp_gt_u32_e64 s0, 8, v7
	s_delay_alu instid0(VALU_DEP_3) | instskip(NEXT) | instid1(VALU_DEP_2)
	v_dual_mov_b32 v6, v9 :: v_dual_mov_b32 v7, v10
	s_and_saveexec_b32 s16, s0
; %bb.2627:                             ;   in Loop: Header=BB444_1478 Depth=1
	v_clz_i32_u32_e32 v6, v9
	s_delay_alu instid0(VALU_DEP_1) | instskip(NEXT) | instid1(VALU_DEP_1)
	v_min_u32_e32 v79, 32, v6
	v_subrev_nc_u32_e32 v6, 28, v79
	v_sub_nc_u32_e32 v79, 29, v79
	s_delay_alu instid0(VALU_DEP_2) | instskip(NEXT) | instid1(VALU_DEP_1)
	v_lshlrev_b64 v[6:7], v6, v[9:10]
	v_and_b32_e32 v6, 7, v6
; %bb.2628:                             ;   in Loop: Header=BB444_1478 Depth=1
	s_or_b32 exec_lo, exec_lo, s16
	v_lshlrev_b32_e32 v7, 24, v78
	s_delay_alu instid0(VALU_DEP_2) | instskip(SKIP_1) | instid1(VALU_DEP_3)
	v_lshlrev_b32_e32 v6, 20, v6
	v_lshl_add_u32 v9, v79, 23, 0x3c000000
	v_and_b32_e32 v7, 0x80000000, v7
	s_delay_alu instid0(VALU_DEP_1)
	v_or3_b32 v6, v6, v7, v9
.LBB444_2629:                           ;   in Loop: Header=BB444_1478 Depth=1
	s_or_b32 exec_lo, exec_lo, s15
.LBB444_2630:                           ;   in Loop: Header=BB444_1478 Depth=1
	s_delay_alu instid0(SALU_CYCLE_1)
	s_or_b32 exec_lo, exec_lo, s13
.LBB444_2631:                           ;   in Loop: Header=BB444_1478 Depth=1
	s_delay_alu instid0(SALU_CYCLE_1) | instskip(NEXT) | instid1(VALU_DEP_1)
	s_or_b32 exec_lo, exec_lo, s12
	v_mul_f32_e32 v6, v8, v6
                                        ; implicit-def: $vgpr78
	s_delay_alu instid0(VALU_DEP_1) | instskip(NEXT) | instid1(VALU_DEP_1)
	v_and_b32_e32 v7, 0x7f800000, v6
	v_cmp_ne_u32_e64 s0, 0x7f800000, v7
	s_delay_alu instid0(VALU_DEP_1) | instskip(NEXT) | instid1(SALU_CYCLE_1)
	s_and_saveexec_b32 s12, s0
	s_xor_b32 s0, exec_lo, s12
; %bb.2632:                             ;   in Loop: Header=BB444_1478 Depth=1
	v_bfe_u32 v7, v6, 16, 1
	s_delay_alu instid0(VALU_DEP_1)
	v_add3_u32 v78, v6, v7, 0x7fff
                                        ; implicit-def: $vgpr6
; %bb.2633:                             ;   in Loop: Header=BB444_1478 Depth=1
	s_and_not1_saveexec_b32 s12, s0
; %bb.2634:                             ;   in Loop: Header=BB444_1478 Depth=1
	v_and_b32_e32 v7, 0xffff, v6
	v_or_b32_e32 v9, 0x10000, v6
	s_delay_alu instid0(VALU_DEP_2) | instskip(NEXT) | instid1(VALU_DEP_1)
	v_cmp_eq_u32_e64 s0, 0, v7
	v_cndmask_b32_e64 v78, v9, v6, s0
; %bb.2635:                             ;   in Loop: Header=BB444_1478 Depth=1
	s_or_b32 exec_lo, exec_lo, s12
	v_cmp_lt_u64_e64 s0, s[8:9], v[2:3]
	v_mov_b32_e32 v2, 0
	s_delay_alu instid0(VALU_DEP_2)
	s_and_saveexec_b32 s12, s0
	s_cbranch_execz .LBB444_2643
; %bb.2636:                             ;   in Loop: Header=BB444_1478 Depth=1
	v_lshrrev_b32_e32 v6, 24, v3
	v_bfrev_b32_e32 v2, 1
	s_mov_b32 s13, exec_lo
	s_delay_alu instid0(VALU_DEP_2)
	v_cmpx_ne_u32_e32 0x80, v6
	s_cbranch_execz .LBB444_2642
; %bb.2637:                             ;   in Loop: Header=BB444_1478 Depth=1
	v_bfe_u32 v3, v3, 24, 7
	v_mov_b32_e32 v2, 0x7f800001
	s_mov_b32 s15, exec_lo
	s_delay_alu instid0(VALU_DEP_2)
	v_cmpx_ne_u32_e32 0x7f, v3
	s_cbranch_execz .LBB444_2641
; %bb.2638:                             ;   in Loop: Header=BB444_1478 Depth=1
	v_and_b32_e32 v9, 7, v6
	v_lshrrev_b32_e32 v7, 3, v3
	v_cmp_gt_u32_e64 s0, 8, v3
	s_delay_alu instid0(VALU_DEP_3) | instskip(NEXT) | instid1(VALU_DEP_2)
	v_dual_mov_b32 v2, v9 :: v_dual_mov_b32 v3, v10
	s_and_saveexec_b32 s16, s0
; %bb.2639:                             ;   in Loop: Header=BB444_1478 Depth=1
	v_clz_i32_u32_e32 v2, v9
	s_delay_alu instid0(VALU_DEP_1) | instskip(NEXT) | instid1(VALU_DEP_1)
	v_min_u32_e32 v7, 32, v2
	v_subrev_nc_u32_e32 v2, 28, v7
	v_sub_nc_u32_e32 v7, 29, v7
	s_delay_alu instid0(VALU_DEP_2) | instskip(NEXT) | instid1(VALU_DEP_1)
	v_lshlrev_b64 v[2:3], v2, v[9:10]
	v_and_b32_e32 v2, 7, v2
; %bb.2640:                             ;   in Loop: Header=BB444_1478 Depth=1
	s_or_b32 exec_lo, exec_lo, s16
	v_lshlrev_b32_e32 v3, 24, v6
	s_delay_alu instid0(VALU_DEP_2) | instskip(SKIP_1) | instid1(VALU_DEP_3)
	v_lshlrev_b32_e32 v2, 20, v2
	v_lshl_add_u32 v6, v7, 23, 0x3c000000
	v_and_b32_e32 v3, 0x80000000, v3
	s_delay_alu instid0(VALU_DEP_1)
	v_or3_b32 v2, v2, v3, v6
.LBB444_2641:                           ;   in Loop: Header=BB444_1478 Depth=1
	s_or_b32 exec_lo, exec_lo, s15
.LBB444_2642:                           ;   in Loop: Header=BB444_1478 Depth=1
	s_delay_alu instid0(SALU_CYCLE_1)
	s_or_b32 exec_lo, exec_lo, s13
.LBB444_2643:                           ;   in Loop: Header=BB444_1478 Depth=1
	s_delay_alu instid0(SALU_CYCLE_1) | instskip(NEXT) | instid1(VALU_DEP_1)
	s_or_b32 exec_lo, exec_lo, s12
	v_mul_f32_e32 v3, v8, v2
	s_delay_alu instid0(VALU_DEP_1) | instskip(NEXT) | instid1(VALU_DEP_1)
	v_and_b32_e32 v2, 0x7f800000, v3
	v_cmp_ne_u32_e64 s0, 0x7f800000, v2
                                        ; implicit-def: $vgpr2
	s_delay_alu instid0(VALU_DEP_1) | instskip(NEXT) | instid1(SALU_CYCLE_1)
	s_and_saveexec_b32 s12, s0
	s_xor_b32 s0, exec_lo, s12
; %bb.2644:                             ;   in Loop: Header=BB444_1478 Depth=1
	v_bfe_u32 v2, v3, 16, 1
	s_delay_alu instid0(VALU_DEP_1)
	v_add3_u32 v2, v3, v2, 0x7fff
                                        ; implicit-def: $vgpr3
; %bb.2645:                             ;   in Loop: Header=BB444_1478 Depth=1
	s_and_not1_saveexec_b32 s12, s0
; %bb.2646:                             ;   in Loop: Header=BB444_1478 Depth=1
	v_and_b32_e32 v2, 0xffff, v3
	v_or_b32_e32 v6, 0x10000, v3
	s_delay_alu instid0(VALU_DEP_2) | instskip(NEXT) | instid1(VALU_DEP_1)
	v_cmp_eq_u32_e64 s0, 0, v2
	v_cndmask_b32_e64 v2, v6, v3, s0
; %bb.2647:                             ;   in Loop: Header=BB444_1478 Depth=1
	s_or_b32 exec_lo, exec_lo, s12
	v_lshrrev_b32_e32 v6, 16, v77
	v_lshrrev_b32_e32 v7, 16, v76
	;; [unrolled: 1-line block ×8, first 2 shown]
	s_and_saveexec_b32 s12, vcc_lo
	s_cbranch_execz .LBB444_2649
; %bb.2648:                             ;   in Loop: Header=BB444_1478 Depth=1
	v_cmp_lt_i32_e64 s0, v85, v38
	s_delay_alu instid0(VALU_DEP_1) | instskip(SKIP_1) | instid1(VALU_DEP_1)
	v_cndmask_b32_e64 v72, 0, v72, s0
	v_cmp_lt_i32_e64 s0, v100, v38
	v_cndmask_b32_e64 v73, 0, v73, s0
	v_cmp_lt_i32_e64 s0, v99, v38
	s_delay_alu instid0(VALU_DEP_1) | instskip(SKIP_1) | instid1(VALU_DEP_1)
	v_cndmask_b32_e64 v74, 0, v74, s0
	v_cmp_lt_i32_e64 s0, v98, v38
	v_cndmask_b32_e64 v9, 0, v9, s0
	;; [unrolled: 5-line block ×4, first 2 shown]
.LBB444_2649:                           ;   in Loop: Header=BB444_1478 Depth=1
	s_or_b32 exec_lo, exec_lo, s12
	v_lshlrev_b32_e32 v72, 16, v72
	s_delay_alu instid0(VALU_DEP_1) | instskip(NEXT) | instid1(VALU_DEP_1)
	v_mul_f32_e32 v75, v101, v72
	v_and_b32_e32 v72, 0x7f800000, v75
	s_delay_alu instid0(VALU_DEP_1) | instskip(NEXT) | instid1(VALU_DEP_1)
	v_cmp_ne_u32_e64 s0, 0x7f800000, v72
                                        ; implicit-def: $vgpr72
	s_and_saveexec_b32 s12, s0
	s_delay_alu instid0(SALU_CYCLE_1)
	s_xor_b32 s0, exec_lo, s12
; %bb.2650:                             ;   in Loop: Header=BB444_1478 Depth=1
	v_bfe_u32 v72, v75, 16, 1
	s_delay_alu instid0(VALU_DEP_1)
	v_add3_u32 v72, v75, v72, 0x7fff
                                        ; implicit-def: $vgpr75
; %bb.2651:                             ;   in Loop: Header=BB444_1478 Depth=1
	s_and_not1_saveexec_b32 s12, s0
; %bb.2652:                             ;   in Loop: Header=BB444_1478 Depth=1
	v_and_b32_e32 v72, 0xffff, v75
	v_or_b32_e32 v76, 0x10000, v75
	s_delay_alu instid0(VALU_DEP_2) | instskip(NEXT) | instid1(VALU_DEP_1)
	v_cmp_eq_u32_e64 s0, 0, v72
	v_cndmask_b32_e64 v72, v76, v75, s0
; %bb.2653:                             ;   in Loop: Header=BB444_1478 Depth=1
	s_or_b32 exec_lo, exec_lo, s12
	v_lshlrev_b32_e32 v73, 16, v73
	s_delay_alu instid0(VALU_DEP_1) | instskip(NEXT) | instid1(VALU_DEP_1)
	v_mul_f32_e32 v75, v102, v73
	v_and_b32_e32 v73, 0x7f800000, v75
	s_delay_alu instid0(VALU_DEP_1) | instskip(NEXT) | instid1(VALU_DEP_1)
	v_cmp_ne_u32_e64 s0, 0x7f800000, v73
                                        ; implicit-def: $vgpr73
	s_and_saveexec_b32 s12, s0
	s_delay_alu instid0(SALU_CYCLE_1)
	s_xor_b32 s0, exec_lo, s12
; %bb.2654:                             ;   in Loop: Header=BB444_1478 Depth=1
	v_bfe_u32 v73, v75, 16, 1
	s_delay_alu instid0(VALU_DEP_1)
	v_add3_u32 v73, v75, v73, 0x7fff
                                        ; implicit-def: $vgpr75
; %bb.2655:                             ;   in Loop: Header=BB444_1478 Depth=1
	s_and_not1_saveexec_b32 s12, s0
; %bb.2656:                             ;   in Loop: Header=BB444_1478 Depth=1
	v_and_b32_e32 v73, 0xffff, v75
	v_or_b32_e32 v76, 0x10000, v75
	s_delay_alu instid0(VALU_DEP_2) | instskip(NEXT) | instid1(VALU_DEP_1)
	v_cmp_eq_u32_e64 s0, 0, v73
	v_cndmask_b32_e64 v73, v76, v75, s0
; %bb.2657:                             ;   in Loop: Header=BB444_1478 Depth=1
	s_or_b32 exec_lo, exec_lo, s12
	v_lshlrev_b32_e32 v74, 16, v74
	s_delay_alu instid0(VALU_DEP_1) | instskip(NEXT) | instid1(VALU_DEP_1)
	v_mul_f32_e32 v75, v103, v74
	v_and_b32_e32 v74, 0x7f800000, v75
	s_delay_alu instid0(VALU_DEP_1) | instskip(NEXT) | instid1(VALU_DEP_1)
	v_cmp_ne_u32_e64 s0, 0x7f800000, v74
                                        ; implicit-def: $vgpr74
	s_and_saveexec_b32 s12, s0
	s_delay_alu instid0(SALU_CYCLE_1)
	s_xor_b32 s0, exec_lo, s12
; %bb.2658:                             ;   in Loop: Header=BB444_1478 Depth=1
	v_bfe_u32 v74, v75, 16, 1
	s_delay_alu instid0(VALU_DEP_1)
	v_add3_u32 v74, v75, v74, 0x7fff
                                        ; implicit-def: $vgpr75
; %bb.2659:                             ;   in Loop: Header=BB444_1478 Depth=1
	s_and_not1_saveexec_b32 s12, s0
; %bb.2660:                             ;   in Loop: Header=BB444_1478 Depth=1
	v_and_b32_e32 v74, 0xffff, v75
	v_or_b32_e32 v76, 0x10000, v75
	s_delay_alu instid0(VALU_DEP_2) | instskip(NEXT) | instid1(VALU_DEP_1)
	v_cmp_eq_u32_e64 s0, 0, v74
	v_cndmask_b32_e64 v74, v76, v75, s0
; %bb.2661:                             ;   in Loop: Header=BB444_1478 Depth=1
	s_or_b32 exec_lo, exec_lo, s12
	v_lshlrev_b32_e32 v9, 16, v9
	s_delay_alu instid0(VALU_DEP_1) | instskip(NEXT) | instid1(VALU_DEP_1)
	v_mul_f32_e32 v9, v112, v9
	v_and_b32_e32 v75, 0x7f800000, v9
	s_delay_alu instid0(VALU_DEP_1) | instskip(NEXT) | instid1(VALU_DEP_1)
	v_cmp_ne_u32_e64 s0, 0x7f800000, v75
                                        ; implicit-def: $vgpr75
	s_and_saveexec_b32 s12, s0
	s_delay_alu instid0(SALU_CYCLE_1)
	s_xor_b32 s0, exec_lo, s12
; %bb.2662:                             ;   in Loop: Header=BB444_1478 Depth=1
	v_bfe_u32 v75, v9, 16, 1
	s_delay_alu instid0(VALU_DEP_1)
	v_add3_u32 v75, v9, v75, 0x7fff
                                        ; implicit-def: $vgpr9
; %bb.2663:                             ;   in Loop: Header=BB444_1478 Depth=1
	s_and_not1_saveexec_b32 s12, s0
; %bb.2664:                             ;   in Loop: Header=BB444_1478 Depth=1
	v_and_b32_e32 v75, 0xffff, v9
	v_or_b32_e32 v76, 0x10000, v9
	s_delay_alu instid0(VALU_DEP_2) | instskip(NEXT) | instid1(VALU_DEP_1)
	v_cmp_eq_u32_e64 s0, 0, v75
	v_cndmask_b32_e64 v75, v76, v9, s0
; %bb.2665:                             ;   in Loop: Header=BB444_1478 Depth=1
	s_or_b32 exec_lo, exec_lo, s12
	v_lshlrev_b32_e32 v7, 16, v7
                                        ; implicit-def: $vgpr76
	s_delay_alu instid0(VALU_DEP_1) | instskip(NEXT) | instid1(VALU_DEP_1)
	v_mul_f32_e32 v7, v113, v7
	v_and_b32_e32 v9, 0x7f800000, v7
	s_delay_alu instid0(VALU_DEP_1) | instskip(NEXT) | instid1(VALU_DEP_1)
	v_cmp_ne_u32_e64 s0, 0x7f800000, v9
	s_and_saveexec_b32 s12, s0
	s_delay_alu instid0(SALU_CYCLE_1)
	s_xor_b32 s0, exec_lo, s12
; %bb.2666:                             ;   in Loop: Header=BB444_1478 Depth=1
	v_bfe_u32 v9, v7, 16, 1
	s_delay_alu instid0(VALU_DEP_1)
	v_add3_u32 v76, v7, v9, 0x7fff
                                        ; implicit-def: $vgpr7
; %bb.2667:                             ;   in Loop: Header=BB444_1478 Depth=1
	s_and_not1_saveexec_b32 s12, s0
; %bb.2668:                             ;   in Loop: Header=BB444_1478 Depth=1
	v_and_b32_e32 v9, 0xffff, v7
	v_or_b32_e32 v76, 0x10000, v7
	s_delay_alu instid0(VALU_DEP_2) | instskip(NEXT) | instid1(VALU_DEP_1)
	v_cmp_eq_u32_e64 s0, 0, v9
	v_cndmask_b32_e64 v76, v76, v7, s0
; %bb.2669:                             ;   in Loop: Header=BB444_1478 Depth=1
	s_or_b32 exec_lo, exec_lo, s12
	v_lshlrev_b32_e32 v6, 16, v6
                                        ; implicit-def: $vgpr77
	s_delay_alu instid0(VALU_DEP_1) | instskip(NEXT) | instid1(VALU_DEP_1)
	v_mul_f32_e32 v6, v114, v6
	v_and_b32_e32 v7, 0x7f800000, v6
	s_delay_alu instid0(VALU_DEP_1) | instskip(NEXT) | instid1(VALU_DEP_1)
	v_cmp_ne_u32_e64 s0, 0x7f800000, v7
	s_and_saveexec_b32 s12, s0
	s_delay_alu instid0(SALU_CYCLE_1)
	s_xor_b32 s0, exec_lo, s12
; %bb.2670:                             ;   in Loop: Header=BB444_1478 Depth=1
	v_bfe_u32 v7, v6, 16, 1
	s_delay_alu instid0(VALU_DEP_1)
	v_add3_u32 v77, v6, v7, 0x7fff
                                        ; implicit-def: $vgpr6
; %bb.2671:                             ;   in Loop: Header=BB444_1478 Depth=1
	s_and_not1_saveexec_b32 s12, s0
; %bb.2672:                             ;   in Loop: Header=BB444_1478 Depth=1
	v_and_b32_e32 v7, 0xffff, v6
	v_or_b32_e32 v9, 0x10000, v6
	s_delay_alu instid0(VALU_DEP_2) | instskip(NEXT) | instid1(VALU_DEP_1)
	v_cmp_eq_u32_e64 s0, 0, v7
	v_cndmask_b32_e64 v77, v9, v6, s0
; %bb.2673:                             ;   in Loop: Header=BB444_1478 Depth=1
	s_or_b32 exec_lo, exec_lo, s12
	v_lshlrev_b32_e32 v3, 16, v3
                                        ; implicit-def: $vgpr78
	s_delay_alu instid0(VALU_DEP_1) | instskip(NEXT) | instid1(VALU_DEP_1)
	v_mul_f32_e32 v3, v115, v3
	v_and_b32_e32 v6, 0x7f800000, v3
	s_delay_alu instid0(VALU_DEP_1) | instskip(NEXT) | instid1(VALU_DEP_1)
	v_cmp_ne_u32_e64 s0, 0x7f800000, v6
	s_and_saveexec_b32 s12, s0
	s_delay_alu instid0(SALU_CYCLE_1)
	s_xor_b32 s0, exec_lo, s12
; %bb.2674:                             ;   in Loop: Header=BB444_1478 Depth=1
	v_bfe_u32 v6, v3, 16, 1
	s_delay_alu instid0(VALU_DEP_1)
	v_add3_u32 v78, v3, v6, 0x7fff
                                        ; implicit-def: $vgpr3
; %bb.2675:                             ;   in Loop: Header=BB444_1478 Depth=1
	s_and_not1_saveexec_b32 s12, s0
; %bb.2676:                             ;   in Loop: Header=BB444_1478 Depth=1
	v_and_b32_e32 v6, 0xffff, v3
	v_or_b32_e32 v7, 0x10000, v3
	s_delay_alu instid0(VALU_DEP_2) | instskip(NEXT) | instid1(VALU_DEP_1)
	v_cmp_eq_u32_e64 s0, 0, v6
	v_cndmask_b32_e64 v78, v7, v3, s0
; %bb.2677:                             ;   in Loop: Header=BB444_1478 Depth=1
	s_or_b32 exec_lo, exec_lo, s12
	v_lshlrev_b32_e32 v2, 16, v2
                                        ; implicit-def: $vgpr79
	s_delay_alu instid0(VALU_DEP_1) | instskip(NEXT) | instid1(VALU_DEP_1)
	v_mul_f32_e32 v2, v116, v2
	v_and_b32_e32 v3, 0x7f800000, v2
	s_delay_alu instid0(VALU_DEP_1) | instskip(NEXT) | instid1(VALU_DEP_1)
	v_cmp_ne_u32_e64 s0, 0x7f800000, v3
	s_and_saveexec_b32 s12, s0
	s_delay_alu instid0(SALU_CYCLE_1)
	s_xor_b32 s0, exec_lo, s12
; %bb.2678:                             ;   in Loop: Header=BB444_1478 Depth=1
	v_bfe_u32 v3, v2, 16, 1
	s_delay_alu instid0(VALU_DEP_1)
	v_add3_u32 v79, v2, v3, 0x7fff
                                        ; implicit-def: $vgpr2
; %bb.2679:                             ;   in Loop: Header=BB444_1478 Depth=1
	s_and_not1_saveexec_b32 s12, s0
; %bb.2680:                             ;   in Loop: Header=BB444_1478 Depth=1
	v_and_b32_e32 v3, 0xffff, v2
	v_or_b32_e32 v6, 0x10000, v2
	s_delay_alu instid0(VALU_DEP_2) | instskip(NEXT) | instid1(VALU_DEP_1)
	v_cmp_eq_u32_e64 s0, 0, v3
	v_cndmask_b32_e64 v79, v6, v2, s0
; %bb.2681:                             ;   in Loop: Header=BB444_1478 Depth=1
	s_or_b32 exec_lo, exec_lo, s12
	flat_load_b64 v[2:3], v[0:1] offset:2304
	s_mov_b32 s12, exec_lo
	s_waitcnt vmcnt(0) lgkmcnt(0)
	v_dual_mov_b32 v6, 0 :: v_dual_and_b32 v7, 0xff, v2
	s_delay_alu instid0(VALU_DEP_1)
	v_cmpx_ne_u16_e32 0, v7
	s_cbranch_execz .LBB444_2689
; %bb.2682:                             ;   in Loop: Header=BB444_1478 Depth=1
	v_bfrev_b32_e32 v6, 1
	s_mov_b32 s13, exec_lo
	v_cmpx_ne_u16_e32 0x80, v7
	s_cbranch_execz .LBB444_2688
; %bb.2683:                             ;   in Loop: Header=BB444_1478 Depth=1
	v_and_b32_e32 v7, 0x7f, v2
	v_mov_b32_e32 v6, 0x7f800001
	s_mov_b32 s15, exec_lo
	s_delay_alu instid0(VALU_DEP_2)
	v_cmpx_ne_u32_e32 0x7f, v7
	s_cbranch_execz .LBB444_2687
; %bb.2684:                             ;   in Loop: Header=BB444_1478 Depth=1
	v_lshrrev_b32_e32 v9, 3, v7
	v_cmp_gt_u32_e64 s0, 8, v7
	v_dual_mov_b32 v7, v3 :: v_dual_mov_b32 v6, v2
	s_delay_alu instid0(VALU_DEP_2)
	s_and_saveexec_b32 s16, s0
; %bb.2685:                             ;   in Loop: Header=BB444_1478 Depth=1
	v_and_b32_e32 v6, 7, v2
	s_delay_alu instid0(VALU_DEP_1) | instskip(NEXT) | instid1(VALU_DEP_1)
	v_clz_i32_u32_e32 v6, v6
	v_min_u32_e32 v9, 32, v6
	s_delay_alu instid0(VALU_DEP_1) | instskip(SKIP_1) | instid1(VALU_DEP_2)
	v_subrev_nc_u32_e32 v6, 28, v9
	v_sub_nc_u32_e32 v9, 29, v9
	v_lshlrev_b64 v[6:7], v6, v[2:3]
; %bb.2686:                             ;   in Loop: Header=BB444_1478 Depth=1
	s_or_b32 exec_lo, exec_lo, s16
	s_delay_alu instid0(VALU_DEP_1) | instskip(SKIP_2) | instid1(VALU_DEP_3)
	v_lshlrev_b32_e32 v6, 20, v6
	v_lshlrev_b32_e32 v7, 24, v2
	v_lshl_add_u32 v9, v9, 23, 0x3c000000
	v_and_b32_e32 v6, 0x700000, v6
	s_delay_alu instid0(VALU_DEP_3) | instskip(NEXT) | instid1(VALU_DEP_1)
	v_and_b32_e32 v7, 0x80000000, v7
	v_or3_b32 v6, v6, v7, v9
.LBB444_2687:                           ;   in Loop: Header=BB444_1478 Depth=1
	s_or_b32 exec_lo, exec_lo, s15
.LBB444_2688:                           ;   in Loop: Header=BB444_1478 Depth=1
	s_delay_alu instid0(SALU_CYCLE_1)
	s_or_b32 exec_lo, exec_lo, s13
.LBB444_2689:                           ;   in Loop: Header=BB444_1478 Depth=1
	s_delay_alu instid0(SALU_CYCLE_1) | instskip(NEXT) | instid1(VALU_DEP_1)
	s_or_b32 exec_lo, exec_lo, s12
	v_mul_f32_e32 v6, v8, v6
                                        ; implicit-def: $vgpr88
	s_delay_alu instid0(VALU_DEP_1) | instskip(NEXT) | instid1(VALU_DEP_1)
	v_and_b32_e32 v7, 0x7f800000, v6
	v_cmp_ne_u32_e64 s0, 0x7f800000, v7
	s_delay_alu instid0(VALU_DEP_1) | instskip(NEXT) | instid1(SALU_CYCLE_1)
	s_and_saveexec_b32 s12, s0
	s_xor_b32 s0, exec_lo, s12
; %bb.2690:                             ;   in Loop: Header=BB444_1478 Depth=1
	v_bfe_u32 v7, v6, 16, 1
	s_delay_alu instid0(VALU_DEP_1)
	v_add3_u32 v88, v6, v7, 0x7fff
                                        ; implicit-def: $vgpr6
; %bb.2691:                             ;   in Loop: Header=BB444_1478 Depth=1
	s_and_not1_saveexec_b32 s12, s0
; %bb.2692:                             ;   in Loop: Header=BB444_1478 Depth=1
	v_and_b32_e32 v7, 0xffff, v6
	v_or_b32_e32 v9, 0x10000, v6
	s_delay_alu instid0(VALU_DEP_2) | instskip(NEXT) | instid1(VALU_DEP_1)
	v_cmp_eq_u32_e64 s0, 0, v7
	v_cndmask_b32_e64 v88, v9, v6, s0
; %bb.2693:                             ;   in Loop: Header=BB444_1478 Depth=1
	s_or_b32 exec_lo, exec_lo, s12
	v_lshrrev_b16 v7, 8, v2
	v_mov_b32_e32 v6, 0
	s_mov_b32 s12, exec_lo
	s_delay_alu instid0(VALU_DEP_2)
	v_cmpx_ne_u16_e32 0, v7
	s_cbranch_execz .LBB444_2701
; %bb.2694:                             ;   in Loop: Header=BB444_1478 Depth=1
	v_bfrev_b32_e32 v6, 1
	s_mov_b32 s13, exec_lo
	v_cmpx_ne_u16_e32 0x80, v7
	s_cbranch_execz .LBB444_2700
; %bb.2695:                             ;   in Loop: Header=BB444_1478 Depth=1
	v_and_b32_e32 v9, 0xffff, v7
	v_mov_b32_e32 v6, 0x7f800001
	s_mov_b32 s15, exec_lo
	s_delay_alu instid0(VALU_DEP_2) | instskip(NEXT) | instid1(VALU_DEP_1)
	v_and_b32_e32 v7, 0x7f, v9
	v_cmpx_ne_u32_e32 0x7f, v7
	s_cbranch_execz .LBB444_2699
; %bb.2696:                             ;   in Loop: Header=BB444_1478 Depth=1
	v_and_b32_e32 v9, 7, v9
	v_lshrrev_b32_e32 v89, 3, v7
	v_cmp_gt_u32_e64 s0, 8, v7
	s_delay_alu instid0(VALU_DEP_3) | instskip(NEXT) | instid1(VALU_DEP_2)
	v_dual_mov_b32 v6, v9 :: v_dual_mov_b32 v7, v10
	s_and_saveexec_b32 s16, s0
; %bb.2697:                             ;   in Loop: Header=BB444_1478 Depth=1
	v_clz_i32_u32_e32 v6, v9
	s_delay_alu instid0(VALU_DEP_1) | instskip(NEXT) | instid1(VALU_DEP_1)
	v_min_u32_e32 v89, 32, v6
	v_subrev_nc_u32_e32 v6, 28, v89
	v_sub_nc_u32_e32 v89, 29, v89
	s_delay_alu instid0(VALU_DEP_2) | instskip(NEXT) | instid1(VALU_DEP_1)
	v_lshlrev_b64 v[6:7], v6, v[9:10]
	v_and_b32_e32 v6, 7, v6
; %bb.2698:                             ;   in Loop: Header=BB444_1478 Depth=1
	s_or_b32 exec_lo, exec_lo, s16
	v_lshlrev_b32_e32 v7, 16, v2
	s_delay_alu instid0(VALU_DEP_2) | instskip(SKIP_1) | instid1(VALU_DEP_3)
	v_lshlrev_b32_e32 v6, 20, v6
	v_lshl_add_u32 v9, v89, 23, 0x3c000000
	v_and_b32_e32 v7, 0x80000000, v7
	s_delay_alu instid0(VALU_DEP_1)
	v_or3_b32 v6, v6, v7, v9
.LBB444_2699:                           ;   in Loop: Header=BB444_1478 Depth=1
	s_or_b32 exec_lo, exec_lo, s15
.LBB444_2700:                           ;   in Loop: Header=BB444_1478 Depth=1
	s_delay_alu instid0(SALU_CYCLE_1)
	s_or_b32 exec_lo, exec_lo, s13
.LBB444_2701:                           ;   in Loop: Header=BB444_1478 Depth=1
	s_delay_alu instid0(SALU_CYCLE_1) | instskip(NEXT) | instid1(VALU_DEP_1)
	s_or_b32 exec_lo, exec_lo, s12
	v_mul_f32_e32 v6, v8, v6
                                        ; implicit-def: $vgpr89
	s_delay_alu instid0(VALU_DEP_1) | instskip(NEXT) | instid1(VALU_DEP_1)
	v_and_b32_e32 v7, 0x7f800000, v6
	v_cmp_ne_u32_e64 s0, 0x7f800000, v7
	s_delay_alu instid0(VALU_DEP_1) | instskip(NEXT) | instid1(SALU_CYCLE_1)
	s_and_saveexec_b32 s12, s0
	s_xor_b32 s0, exec_lo, s12
; %bb.2702:                             ;   in Loop: Header=BB444_1478 Depth=1
	v_bfe_u32 v7, v6, 16, 1
	s_delay_alu instid0(VALU_DEP_1)
	v_add3_u32 v89, v6, v7, 0x7fff
                                        ; implicit-def: $vgpr6
; %bb.2703:                             ;   in Loop: Header=BB444_1478 Depth=1
	s_and_not1_saveexec_b32 s12, s0
; %bb.2704:                             ;   in Loop: Header=BB444_1478 Depth=1
	v_and_b32_e32 v7, 0xffff, v6
	v_or_b32_e32 v9, 0x10000, v6
	s_delay_alu instid0(VALU_DEP_2) | instskip(NEXT) | instid1(VALU_DEP_1)
	v_cmp_eq_u32_e64 s0, 0, v7
	v_cndmask_b32_e64 v89, v9, v6, s0
; %bb.2705:                             ;   in Loop: Header=BB444_1478 Depth=1
	s_or_b32 exec_lo, exec_lo, s12
	v_lshrrev_b32_e32 v90, 16, v2
	s_mov_b32 s12, exec_lo
	s_delay_alu instid0(VALU_DEP_1) | instskip(NEXT) | instid1(VALU_DEP_1)
	v_dual_mov_b32 v6, 0 :: v_dual_and_b32 v7, 0xff, v90
	v_cmpx_ne_u16_e32 0, v7
	s_cbranch_execz .LBB444_2713
; %bb.2706:                             ;   in Loop: Header=BB444_1478 Depth=1
	v_bfrev_b32_e32 v6, 1
	s_mov_b32 s13, exec_lo
	v_cmpx_ne_u16_e32 0x80, v7
	s_cbranch_execz .LBB444_2712
; %bb.2707:                             ;   in Loop: Header=BB444_1478 Depth=1
	v_bfe_u32 v7, v2, 16, 7
	v_mov_b32_e32 v6, 0x7f800001
	s_mov_b32 s15, exec_lo
	s_delay_alu instid0(VALU_DEP_2)
	v_cmpx_ne_u32_e32 0x7f, v7
	s_cbranch_execz .LBB444_2711
; %bb.2708:                             ;   in Loop: Header=BB444_1478 Depth=1
	v_and_b32_e32 v9, 7, v90
	v_lshrrev_b32_e32 v91, 3, v7
	v_cmp_gt_u32_e64 s0, 8, v7
	s_delay_alu instid0(VALU_DEP_3) | instskip(NEXT) | instid1(VALU_DEP_2)
	v_dual_mov_b32 v6, v9 :: v_dual_mov_b32 v7, v10
	s_and_saveexec_b32 s16, s0
; %bb.2709:                             ;   in Loop: Header=BB444_1478 Depth=1
	v_clz_i32_u32_e32 v6, v9
	s_delay_alu instid0(VALU_DEP_1) | instskip(NEXT) | instid1(VALU_DEP_1)
	v_min_u32_e32 v91, 32, v6
	v_subrev_nc_u32_e32 v6, 28, v91
	v_sub_nc_u32_e32 v91, 29, v91
	s_delay_alu instid0(VALU_DEP_2) | instskip(NEXT) | instid1(VALU_DEP_1)
	v_lshlrev_b64 v[6:7], v6, v[9:10]
	v_and_b32_e32 v6, 7, v6
; %bb.2710:                             ;   in Loop: Header=BB444_1478 Depth=1
	s_or_b32 exec_lo, exec_lo, s16
	v_lshlrev_b32_e32 v7, 24, v90
	s_delay_alu instid0(VALU_DEP_2) | instskip(SKIP_1) | instid1(VALU_DEP_3)
	v_lshlrev_b32_e32 v6, 20, v6
	v_lshl_add_u32 v9, v91, 23, 0x3c000000
	v_and_b32_e32 v7, 0x80000000, v7
	s_delay_alu instid0(VALU_DEP_1)
	v_or3_b32 v6, v6, v7, v9
.LBB444_2711:                           ;   in Loop: Header=BB444_1478 Depth=1
	s_or_b32 exec_lo, exec_lo, s15
.LBB444_2712:                           ;   in Loop: Header=BB444_1478 Depth=1
	s_delay_alu instid0(SALU_CYCLE_1)
	s_or_b32 exec_lo, exec_lo, s13
.LBB444_2713:                           ;   in Loop: Header=BB444_1478 Depth=1
	s_delay_alu instid0(SALU_CYCLE_1) | instskip(NEXT) | instid1(VALU_DEP_1)
	s_or_b32 exec_lo, exec_lo, s12
	v_mul_f32_e32 v6, v8, v6
                                        ; implicit-def: $vgpr90
	s_delay_alu instid0(VALU_DEP_1) | instskip(NEXT) | instid1(VALU_DEP_1)
	v_and_b32_e32 v7, 0x7f800000, v6
	v_cmp_ne_u32_e64 s0, 0x7f800000, v7
	s_delay_alu instid0(VALU_DEP_1) | instskip(NEXT) | instid1(SALU_CYCLE_1)
	s_and_saveexec_b32 s12, s0
	s_xor_b32 s0, exec_lo, s12
; %bb.2714:                             ;   in Loop: Header=BB444_1478 Depth=1
	v_bfe_u32 v7, v6, 16, 1
	s_delay_alu instid0(VALU_DEP_1)
	v_add3_u32 v90, v6, v7, 0x7fff
                                        ; implicit-def: $vgpr6
; %bb.2715:                             ;   in Loop: Header=BB444_1478 Depth=1
	s_and_not1_saveexec_b32 s12, s0
; %bb.2716:                             ;   in Loop: Header=BB444_1478 Depth=1
	v_and_b32_e32 v7, 0xffff, v6
	v_or_b32_e32 v9, 0x10000, v6
	s_delay_alu instid0(VALU_DEP_2) | instskip(NEXT) | instid1(VALU_DEP_1)
	v_cmp_eq_u32_e64 s0, 0, v7
	v_cndmask_b32_e64 v90, v9, v6, s0
; %bb.2717:                             ;   in Loop: Header=BB444_1478 Depth=1
	s_or_b32 exec_lo, exec_lo, s12
	v_mov_b32_e32 v6, 0
	s_mov_b32 s12, exec_lo
	v_cmpx_lt_u32_e32 0xffffff, v2
	s_cbranch_execz .LBB444_2725
; %bb.2718:                             ;   in Loop: Header=BB444_1478 Depth=1
	v_lshrrev_b32_e32 v91, 24, v2
	v_bfrev_b32_e32 v6, 1
	s_mov_b32 s13, exec_lo
	s_delay_alu instid0(VALU_DEP_2)
	v_cmpx_ne_u32_e32 0x80, v91
	s_cbranch_execz .LBB444_2724
; %bb.2719:                             ;   in Loop: Header=BB444_1478 Depth=1
	v_bfe_u32 v7, v2, 24, 7
	v_mov_b32_e32 v6, 0x7f800001
	s_mov_b32 s15, exec_lo
	s_delay_alu instid0(VALU_DEP_2)
	v_cmpx_ne_u32_e32 0x7f, v7
	s_cbranch_execz .LBB444_2723
; %bb.2720:                             ;   in Loop: Header=BB444_1478 Depth=1
	v_and_b32_e32 v9, 7, v91
	v_lshrrev_b32_e32 v92, 3, v7
	v_cmp_gt_u32_e64 s0, 8, v7
	s_delay_alu instid0(VALU_DEP_3) | instskip(NEXT) | instid1(VALU_DEP_2)
	v_dual_mov_b32 v6, v9 :: v_dual_mov_b32 v7, v10
	s_and_saveexec_b32 s16, s0
; %bb.2721:                             ;   in Loop: Header=BB444_1478 Depth=1
	v_clz_i32_u32_e32 v6, v9
	s_delay_alu instid0(VALU_DEP_1) | instskip(NEXT) | instid1(VALU_DEP_1)
	v_min_u32_e32 v92, 32, v6
	v_subrev_nc_u32_e32 v6, 28, v92
	v_sub_nc_u32_e32 v92, 29, v92
	s_delay_alu instid0(VALU_DEP_2) | instskip(NEXT) | instid1(VALU_DEP_1)
	v_lshlrev_b64 v[6:7], v6, v[9:10]
	v_and_b32_e32 v6, 7, v6
; %bb.2722:                             ;   in Loop: Header=BB444_1478 Depth=1
	s_or_b32 exec_lo, exec_lo, s16
	v_lshlrev_b32_e32 v7, 24, v91
	s_delay_alu instid0(VALU_DEP_2) | instskip(SKIP_1) | instid1(VALU_DEP_3)
	v_lshlrev_b32_e32 v6, 20, v6
	v_lshl_add_u32 v9, v92, 23, 0x3c000000
	v_and_b32_e32 v7, 0x80000000, v7
	s_delay_alu instid0(VALU_DEP_1)
	v_or3_b32 v6, v6, v7, v9
.LBB444_2723:                           ;   in Loop: Header=BB444_1478 Depth=1
	s_or_b32 exec_lo, exec_lo, s15
.LBB444_2724:                           ;   in Loop: Header=BB444_1478 Depth=1
	s_delay_alu instid0(SALU_CYCLE_1)
	s_or_b32 exec_lo, exec_lo, s13
.LBB444_2725:                           ;   in Loop: Header=BB444_1478 Depth=1
	s_delay_alu instid0(SALU_CYCLE_1) | instskip(NEXT) | instid1(VALU_DEP_1)
	s_or_b32 exec_lo, exec_lo, s12
	v_mul_f32_e32 v6, v8, v6
                                        ; implicit-def: $vgpr91
	s_delay_alu instid0(VALU_DEP_1) | instskip(NEXT) | instid1(VALU_DEP_1)
	v_and_b32_e32 v7, 0x7f800000, v6
	v_cmp_ne_u32_e64 s0, 0x7f800000, v7
	s_delay_alu instid0(VALU_DEP_1) | instskip(NEXT) | instid1(SALU_CYCLE_1)
	s_and_saveexec_b32 s12, s0
	s_xor_b32 s0, exec_lo, s12
; %bb.2726:                             ;   in Loop: Header=BB444_1478 Depth=1
	v_bfe_u32 v7, v6, 16, 1
	s_delay_alu instid0(VALU_DEP_1)
	v_add3_u32 v91, v6, v7, 0x7fff
                                        ; implicit-def: $vgpr6
; %bb.2727:                             ;   in Loop: Header=BB444_1478 Depth=1
	s_and_not1_saveexec_b32 s12, s0
; %bb.2728:                             ;   in Loop: Header=BB444_1478 Depth=1
	v_and_b32_e32 v7, 0xffff, v6
	v_or_b32_e32 v9, 0x10000, v6
	s_delay_alu instid0(VALU_DEP_2) | instskip(NEXT) | instid1(VALU_DEP_1)
	v_cmp_eq_u32_e64 s0, 0, v7
	v_cndmask_b32_e64 v91, v9, v6, s0
; %bb.2729:                             ;   in Loop: Header=BB444_1478 Depth=1
	s_or_b32 exec_lo, exec_lo, s12
	v_dual_mov_b32 v6, 0 :: v_dual_and_b32 v7, 0xff, v3
	v_mov_b32_e32 v9, v3
	s_mov_b32 s12, exec_lo
	s_delay_alu instid0(VALU_DEP_2)
	v_cmpx_ne_u16_e32 0, v7
	s_cbranch_execz .LBB444_2737
; %bb.2730:                             ;   in Loop: Header=BB444_1478 Depth=1
	v_bfrev_b32_e32 v6, 1
	s_mov_b32 s13, exec_lo
	v_cmpx_ne_u16_e32 0x80, v7
	s_cbranch_execz .LBB444_2736
; %bb.2731:                             ;   in Loop: Header=BB444_1478 Depth=1
	v_and_b32_e32 v7, 0x7f, v3
	v_mov_b32_e32 v6, 0x7f800001
	s_mov_b32 s15, exec_lo
	s_delay_alu instid0(VALU_DEP_2)
	v_cmpx_ne_u32_e32 0x7f, v7
	s_cbranch_execz .LBB444_2735
; %bb.2732:                             ;   in Loop: Header=BB444_1478 Depth=1
	v_lshrrev_b32_e32 v92, 3, v7
	v_cmp_gt_u32_e64 s0, 8, v7
	v_dual_mov_b32 v6, v9 :: v_dual_mov_b32 v7, v10
	s_delay_alu instid0(VALU_DEP_2)
	s_and_saveexec_b32 s16, s0
; %bb.2733:                             ;   in Loop: Header=BB444_1478 Depth=1
	v_and_b32_e32 v6, 7, v3
	s_delay_alu instid0(VALU_DEP_1) | instskip(NEXT) | instid1(VALU_DEP_1)
	v_clz_i32_u32_e32 v6, v6
	v_min_u32_e32 v92, 32, v6
	s_delay_alu instid0(VALU_DEP_1) | instskip(SKIP_1) | instid1(VALU_DEP_2)
	v_subrev_nc_u32_e32 v6, 28, v92
	v_sub_nc_u32_e32 v92, 29, v92
	v_lshlrev_b64 v[6:7], v6, v[9:10]
; %bb.2734:                             ;   in Loop: Header=BB444_1478 Depth=1
	s_or_b32 exec_lo, exec_lo, s16
	s_delay_alu instid0(VALU_DEP_1) | instskip(SKIP_2) | instid1(VALU_DEP_3)
	v_lshlrev_b32_e32 v6, 20, v6
	v_lshlrev_b32_e32 v7, 24, v9
	v_lshl_add_u32 v92, v92, 23, 0x3c000000
	v_and_b32_e32 v6, 0x700000, v6
	s_delay_alu instid0(VALU_DEP_3) | instskip(NEXT) | instid1(VALU_DEP_1)
	v_and_b32_e32 v7, 0x80000000, v7
	v_or3_b32 v6, v6, v7, v92
.LBB444_2735:                           ;   in Loop: Header=BB444_1478 Depth=1
	s_or_b32 exec_lo, exec_lo, s15
.LBB444_2736:                           ;   in Loop: Header=BB444_1478 Depth=1
	s_delay_alu instid0(SALU_CYCLE_1)
	s_or_b32 exec_lo, exec_lo, s13
.LBB444_2737:                           ;   in Loop: Header=BB444_1478 Depth=1
	s_delay_alu instid0(SALU_CYCLE_1) | instskip(NEXT) | instid1(VALU_DEP_1)
	s_or_b32 exec_lo, exec_lo, s12
	v_mul_f32_e32 v6, v8, v6
                                        ; implicit-def: $vgpr92
	s_delay_alu instid0(VALU_DEP_1) | instskip(NEXT) | instid1(VALU_DEP_1)
	v_and_b32_e32 v7, 0x7f800000, v6
	v_cmp_ne_u32_e64 s0, 0x7f800000, v7
	s_delay_alu instid0(VALU_DEP_1) | instskip(NEXT) | instid1(SALU_CYCLE_1)
	s_and_saveexec_b32 s12, s0
	s_xor_b32 s0, exec_lo, s12
; %bb.2738:                             ;   in Loop: Header=BB444_1478 Depth=1
	v_bfe_u32 v7, v6, 16, 1
	s_delay_alu instid0(VALU_DEP_1)
	v_add3_u32 v92, v6, v7, 0x7fff
                                        ; implicit-def: $vgpr6
; %bb.2739:                             ;   in Loop: Header=BB444_1478 Depth=1
	s_and_not1_saveexec_b32 s12, s0
; %bb.2740:                             ;   in Loop: Header=BB444_1478 Depth=1
	v_and_b32_e32 v7, 0xffff, v6
	v_or_b32_e32 v92, 0x10000, v6
	s_delay_alu instid0(VALU_DEP_2) | instskip(NEXT) | instid1(VALU_DEP_1)
	v_cmp_eq_u32_e64 s0, 0, v7
	v_cndmask_b32_e64 v92, v92, v6, s0
; %bb.2741:                             ;   in Loop: Header=BB444_1478 Depth=1
	s_or_b32 exec_lo, exec_lo, s12
	v_lshrrev_b16 v7, 8, v9
	v_mov_b32_e32 v6, 0
	s_mov_b32 s12, exec_lo
	s_delay_alu instid0(VALU_DEP_2)
	v_cmpx_ne_u16_e32 0, v7
	s_cbranch_execz .LBB444_2749
; %bb.2742:                             ;   in Loop: Header=BB444_1478 Depth=1
	v_bfrev_b32_e32 v6, 1
	s_mov_b32 s13, exec_lo
	v_cmpx_ne_u16_e32 0x80, v7
	s_cbranch_execz .LBB444_2748
; %bb.2743:                             ;   in Loop: Header=BB444_1478 Depth=1
	v_and_b32_e32 v7, 0xffff, v7
	v_mov_b32_e32 v6, 0x7f800001
	s_mov_b32 s15, exec_lo
	s_delay_alu instid0(VALU_DEP_2) | instskip(NEXT) | instid1(VALU_DEP_1)
	v_and_b32_e32 v94, 0x7f, v7
	v_cmpx_ne_u32_e32 0x7f, v94
	s_cbranch_execz .LBB444_2747
; %bb.2744:                             ;   in Loop: Header=BB444_1478 Depth=1
	v_dual_mov_b32 v7, v10 :: v_dual_and_b32 v6, 7, v7
	v_lshrrev_b32_e32 v93, 3, v94
	s_mov_b32 s16, exec_lo
	v_cmpx_gt_u32_e32 8, v94
; %bb.2745:                             ;   in Loop: Header=BB444_1478 Depth=1
	s_delay_alu instid0(VALU_DEP_3) | instskip(NEXT) | instid1(VALU_DEP_1)
	v_clz_i32_u32_e32 v93, v6
	v_min_u32_e32 v93, 32, v93
	s_delay_alu instid0(VALU_DEP_1) | instskip(SKIP_1) | instid1(VALU_DEP_2)
	v_subrev_nc_u32_e32 v94, 28, v93
	v_sub_nc_u32_e32 v93, 29, v93
	v_lshlrev_b64 v[6:7], v94, v[6:7]
	s_delay_alu instid0(VALU_DEP_1)
	v_and_b32_e32 v6, 7, v6
; %bb.2746:                             ;   in Loop: Header=BB444_1478 Depth=1
	s_or_b32 exec_lo, exec_lo, s16
	v_lshlrev_b32_e32 v7, 16, v9
	s_delay_alu instid0(VALU_DEP_2) | instskip(SKIP_1) | instid1(VALU_DEP_3)
	v_lshlrev_b32_e32 v6, 20, v6
	v_lshl_add_u32 v9, v93, 23, 0x3c000000
	v_and_b32_e32 v7, 0x80000000, v7
	s_delay_alu instid0(VALU_DEP_1)
	v_or3_b32 v6, v6, v7, v9
.LBB444_2747:                           ;   in Loop: Header=BB444_1478 Depth=1
	s_or_b32 exec_lo, exec_lo, s15
.LBB444_2748:                           ;   in Loop: Header=BB444_1478 Depth=1
	s_delay_alu instid0(SALU_CYCLE_1)
	s_or_b32 exec_lo, exec_lo, s13
.LBB444_2749:                           ;   in Loop: Header=BB444_1478 Depth=1
	s_delay_alu instid0(SALU_CYCLE_1) | instskip(NEXT) | instid1(VALU_DEP_1)
	s_or_b32 exec_lo, exec_lo, s12
	v_mul_f32_e32 v6, v8, v6
                                        ; implicit-def: $vgpr93
	s_delay_alu instid0(VALU_DEP_1) | instskip(NEXT) | instid1(VALU_DEP_1)
	v_and_b32_e32 v7, 0x7f800000, v6
	v_cmp_ne_u32_e64 s0, 0x7f800000, v7
	s_delay_alu instid0(VALU_DEP_1) | instskip(NEXT) | instid1(SALU_CYCLE_1)
	s_and_saveexec_b32 s12, s0
	s_xor_b32 s0, exec_lo, s12
; %bb.2750:                             ;   in Loop: Header=BB444_1478 Depth=1
	v_bfe_u32 v7, v6, 16, 1
	s_delay_alu instid0(VALU_DEP_1)
	v_add3_u32 v93, v6, v7, 0x7fff
                                        ; implicit-def: $vgpr6
; %bb.2751:                             ;   in Loop: Header=BB444_1478 Depth=1
	s_and_not1_saveexec_b32 s12, s0
; %bb.2752:                             ;   in Loop: Header=BB444_1478 Depth=1
	v_and_b32_e32 v7, 0xffff, v6
	v_or_b32_e32 v9, 0x10000, v6
	s_delay_alu instid0(VALU_DEP_2) | instskip(NEXT) | instid1(VALU_DEP_1)
	v_cmp_eq_u32_e64 s0, 0, v7
	v_cndmask_b32_e64 v93, v9, v6, s0
; %bb.2753:                             ;   in Loop: Header=BB444_1478 Depth=1
	s_or_b32 exec_lo, exec_lo, s12
	v_lshrrev_b32_e32 v94, 16, v3
	s_mov_b32 s12, exec_lo
	s_delay_alu instid0(VALU_DEP_1) | instskip(NEXT) | instid1(VALU_DEP_1)
	v_dual_mov_b32 v6, 0 :: v_dual_and_b32 v7, 0xff, v94
	v_cmpx_ne_u16_e32 0, v7
	s_cbranch_execz .LBB444_2761
; %bb.2754:                             ;   in Loop: Header=BB444_1478 Depth=1
	v_bfrev_b32_e32 v6, 1
	s_mov_b32 s13, exec_lo
	v_cmpx_ne_u16_e32 0x80, v7
	s_cbranch_execz .LBB444_2760
; %bb.2755:                             ;   in Loop: Header=BB444_1478 Depth=1
	v_bfe_u32 v7, v3, 16, 7
	v_mov_b32_e32 v6, 0x7f800001
	s_mov_b32 s15, exec_lo
	s_delay_alu instid0(VALU_DEP_2)
	v_cmpx_ne_u32_e32 0x7f, v7
	s_cbranch_execz .LBB444_2759
; %bb.2756:                             ;   in Loop: Header=BB444_1478 Depth=1
	v_and_b32_e32 v9, 7, v94
	v_lshrrev_b32_e32 v95, 3, v7
	v_cmp_gt_u32_e64 s0, 8, v7
	s_delay_alu instid0(VALU_DEP_3) | instskip(NEXT) | instid1(VALU_DEP_2)
	v_dual_mov_b32 v6, v9 :: v_dual_mov_b32 v7, v10
	s_and_saveexec_b32 s16, s0
; %bb.2757:                             ;   in Loop: Header=BB444_1478 Depth=1
	v_clz_i32_u32_e32 v6, v9
	s_delay_alu instid0(VALU_DEP_1) | instskip(NEXT) | instid1(VALU_DEP_1)
	v_min_u32_e32 v95, 32, v6
	v_subrev_nc_u32_e32 v6, 28, v95
	v_sub_nc_u32_e32 v95, 29, v95
	s_delay_alu instid0(VALU_DEP_2) | instskip(NEXT) | instid1(VALU_DEP_1)
	v_lshlrev_b64 v[6:7], v6, v[9:10]
	v_and_b32_e32 v6, 7, v6
; %bb.2758:                             ;   in Loop: Header=BB444_1478 Depth=1
	s_or_b32 exec_lo, exec_lo, s16
	v_lshlrev_b32_e32 v7, 24, v94
	s_delay_alu instid0(VALU_DEP_2) | instskip(SKIP_1) | instid1(VALU_DEP_3)
	v_lshlrev_b32_e32 v6, 20, v6
	v_lshl_add_u32 v9, v95, 23, 0x3c000000
	v_and_b32_e32 v7, 0x80000000, v7
	s_delay_alu instid0(VALU_DEP_1)
	v_or3_b32 v6, v6, v7, v9
.LBB444_2759:                           ;   in Loop: Header=BB444_1478 Depth=1
	s_or_b32 exec_lo, exec_lo, s15
.LBB444_2760:                           ;   in Loop: Header=BB444_1478 Depth=1
	s_delay_alu instid0(SALU_CYCLE_1)
	s_or_b32 exec_lo, exec_lo, s13
.LBB444_2761:                           ;   in Loop: Header=BB444_1478 Depth=1
	s_delay_alu instid0(SALU_CYCLE_1) | instskip(NEXT) | instid1(VALU_DEP_1)
	s_or_b32 exec_lo, exec_lo, s12
	v_mul_f32_e32 v6, v8, v6
                                        ; implicit-def: $vgpr94
	s_delay_alu instid0(VALU_DEP_1) | instskip(NEXT) | instid1(VALU_DEP_1)
	v_and_b32_e32 v7, 0x7f800000, v6
	v_cmp_ne_u32_e64 s0, 0x7f800000, v7
	s_delay_alu instid0(VALU_DEP_1) | instskip(NEXT) | instid1(SALU_CYCLE_1)
	s_and_saveexec_b32 s12, s0
	s_xor_b32 s0, exec_lo, s12
; %bb.2762:                             ;   in Loop: Header=BB444_1478 Depth=1
	v_bfe_u32 v7, v6, 16, 1
	s_delay_alu instid0(VALU_DEP_1)
	v_add3_u32 v94, v6, v7, 0x7fff
                                        ; implicit-def: $vgpr6
; %bb.2763:                             ;   in Loop: Header=BB444_1478 Depth=1
	s_and_not1_saveexec_b32 s12, s0
; %bb.2764:                             ;   in Loop: Header=BB444_1478 Depth=1
	v_and_b32_e32 v7, 0xffff, v6
	v_or_b32_e32 v9, 0x10000, v6
	s_delay_alu instid0(VALU_DEP_2) | instskip(NEXT) | instid1(VALU_DEP_1)
	v_cmp_eq_u32_e64 s0, 0, v7
	v_cndmask_b32_e64 v94, v9, v6, s0
; %bb.2765:                             ;   in Loop: Header=BB444_1478 Depth=1
	s_or_b32 exec_lo, exec_lo, s12
	v_cmp_lt_u64_e64 s0, s[8:9], v[2:3]
	v_mov_b32_e32 v2, 0
	s_delay_alu instid0(VALU_DEP_2)
	s_and_saveexec_b32 s12, s0
	s_cbranch_execz .LBB444_2773
; %bb.2766:                             ;   in Loop: Header=BB444_1478 Depth=1
	v_lshrrev_b32_e32 v6, 24, v3
	v_bfrev_b32_e32 v2, 1
	s_mov_b32 s13, exec_lo
	s_delay_alu instid0(VALU_DEP_2)
	v_cmpx_ne_u32_e32 0x80, v6
	s_cbranch_execz .LBB444_2772
; %bb.2767:                             ;   in Loop: Header=BB444_1478 Depth=1
	v_bfe_u32 v3, v3, 24, 7
	v_mov_b32_e32 v2, 0x7f800001
	s_mov_b32 s15, exec_lo
	s_delay_alu instid0(VALU_DEP_2)
	v_cmpx_ne_u32_e32 0x7f, v3
	s_cbranch_execz .LBB444_2771
; %bb.2768:                             ;   in Loop: Header=BB444_1478 Depth=1
	v_and_b32_e32 v9, 7, v6
	v_lshrrev_b32_e32 v7, 3, v3
	v_cmp_gt_u32_e64 s0, 8, v3
	s_delay_alu instid0(VALU_DEP_3) | instskip(NEXT) | instid1(VALU_DEP_2)
	v_dual_mov_b32 v2, v9 :: v_dual_mov_b32 v3, v10
	s_and_saveexec_b32 s16, s0
; %bb.2769:                             ;   in Loop: Header=BB444_1478 Depth=1
	v_clz_i32_u32_e32 v2, v9
	s_delay_alu instid0(VALU_DEP_1) | instskip(NEXT) | instid1(VALU_DEP_1)
	v_min_u32_e32 v7, 32, v2
	v_subrev_nc_u32_e32 v2, 28, v7
	v_sub_nc_u32_e32 v7, 29, v7
	s_delay_alu instid0(VALU_DEP_2) | instskip(NEXT) | instid1(VALU_DEP_1)
	v_lshlrev_b64 v[2:3], v2, v[9:10]
	v_and_b32_e32 v2, 7, v2
; %bb.2770:                             ;   in Loop: Header=BB444_1478 Depth=1
	s_or_b32 exec_lo, exec_lo, s16
	v_lshlrev_b32_e32 v3, 24, v6
	s_delay_alu instid0(VALU_DEP_2) | instskip(SKIP_1) | instid1(VALU_DEP_3)
	v_lshlrev_b32_e32 v2, 20, v2
	v_lshl_add_u32 v6, v7, 23, 0x3c000000
	v_and_b32_e32 v3, 0x80000000, v3
	s_delay_alu instid0(VALU_DEP_1)
	v_or3_b32 v2, v2, v3, v6
.LBB444_2771:                           ;   in Loop: Header=BB444_1478 Depth=1
	s_or_b32 exec_lo, exec_lo, s15
.LBB444_2772:                           ;   in Loop: Header=BB444_1478 Depth=1
	s_delay_alu instid0(SALU_CYCLE_1)
	s_or_b32 exec_lo, exec_lo, s13
.LBB444_2773:                           ;   in Loop: Header=BB444_1478 Depth=1
	s_delay_alu instid0(SALU_CYCLE_1) | instskip(NEXT) | instid1(VALU_DEP_1)
	s_or_b32 exec_lo, exec_lo, s12
	v_mul_f32_e32 v3, v8, v2
	s_delay_alu instid0(VALU_DEP_1) | instskip(NEXT) | instid1(VALU_DEP_1)
	v_and_b32_e32 v2, 0x7f800000, v3
	v_cmp_ne_u32_e64 s0, 0x7f800000, v2
                                        ; implicit-def: $vgpr2
	s_delay_alu instid0(VALU_DEP_1) | instskip(NEXT) | instid1(SALU_CYCLE_1)
	s_and_saveexec_b32 s12, s0
	s_xor_b32 s0, exec_lo, s12
; %bb.2774:                             ;   in Loop: Header=BB444_1478 Depth=1
	v_bfe_u32 v2, v3, 16, 1
	s_delay_alu instid0(VALU_DEP_1)
	v_add3_u32 v2, v3, v2, 0x7fff
                                        ; implicit-def: $vgpr3
; %bb.2775:                             ;   in Loop: Header=BB444_1478 Depth=1
	s_and_not1_saveexec_b32 s12, s0
; %bb.2776:                             ;   in Loop: Header=BB444_1478 Depth=1
	v_and_b32_e32 v2, 0xffff, v3
	v_or_b32_e32 v6, 0x10000, v3
	s_delay_alu instid0(VALU_DEP_2) | instskip(NEXT) | instid1(VALU_DEP_1)
	v_cmp_eq_u32_e64 s0, 0, v2
	v_cndmask_b32_e64 v2, v6, v3, s0
; %bb.2777:                             ;   in Loop: Header=BB444_1478 Depth=1
	s_or_b32 exec_lo, exec_lo, s12
	v_lshrrev_b32_e32 v6, 16, v93
	v_lshrrev_b32_e32 v7, 16, v92
	;; [unrolled: 1-line block ×8, first 2 shown]
	s_and_saveexec_b32 s12, vcc_lo
	s_cbranch_execz .LBB444_2779
; %bb.2778:                             ;   in Loop: Header=BB444_1478 Depth=1
	v_cmp_lt_i32_e64 s0, v85, v38
	s_delay_alu instid0(VALU_DEP_1) | instskip(SKIP_1) | instid1(VALU_DEP_1)
	v_cndmask_b32_e64 v88, 0, v88, s0
	v_cmp_lt_i32_e64 s0, v100, v38
	v_cndmask_b32_e64 v89, 0, v89, s0
	v_cmp_lt_i32_e64 s0, v99, v38
	s_delay_alu instid0(VALU_DEP_1) | instskip(SKIP_1) | instid1(VALU_DEP_1)
	v_cndmask_b32_e64 v90, 0, v90, s0
	v_cmp_lt_i32_e64 s0, v98, v38
	v_cndmask_b32_e64 v9, 0, v9, s0
	;; [unrolled: 5-line block ×4, first 2 shown]
.LBB444_2779:                           ;   in Loop: Header=BB444_1478 Depth=1
	s_or_b32 exec_lo, exec_lo, s12
	v_lshlrev_b32_e32 v88, 16, v88
	s_delay_alu instid0(VALU_DEP_1) | instskip(NEXT) | instid1(VALU_DEP_1)
	v_mul_f32_e32 v91, v101, v88
	v_and_b32_e32 v88, 0x7f800000, v91
	s_delay_alu instid0(VALU_DEP_1) | instskip(NEXT) | instid1(VALU_DEP_1)
	v_cmp_ne_u32_e64 s0, 0x7f800000, v88
                                        ; implicit-def: $vgpr88
	s_and_saveexec_b32 s12, s0
	s_delay_alu instid0(SALU_CYCLE_1)
	s_xor_b32 s0, exec_lo, s12
; %bb.2780:                             ;   in Loop: Header=BB444_1478 Depth=1
	v_bfe_u32 v88, v91, 16, 1
	s_delay_alu instid0(VALU_DEP_1)
	v_add3_u32 v88, v91, v88, 0x7fff
                                        ; implicit-def: $vgpr91
; %bb.2781:                             ;   in Loop: Header=BB444_1478 Depth=1
	s_and_not1_saveexec_b32 s12, s0
; %bb.2782:                             ;   in Loop: Header=BB444_1478 Depth=1
	v_and_b32_e32 v88, 0xffff, v91
	v_or_b32_e32 v92, 0x10000, v91
	s_delay_alu instid0(VALU_DEP_2) | instskip(NEXT) | instid1(VALU_DEP_1)
	v_cmp_eq_u32_e64 s0, 0, v88
	v_cndmask_b32_e64 v88, v92, v91, s0
; %bb.2783:                             ;   in Loop: Header=BB444_1478 Depth=1
	s_or_b32 exec_lo, exec_lo, s12
	v_lshlrev_b32_e32 v89, 16, v89
	s_delay_alu instid0(VALU_DEP_1) | instskip(NEXT) | instid1(VALU_DEP_1)
	v_mul_f32_e32 v91, v102, v89
	v_and_b32_e32 v89, 0x7f800000, v91
	s_delay_alu instid0(VALU_DEP_1) | instskip(NEXT) | instid1(VALU_DEP_1)
	v_cmp_ne_u32_e64 s0, 0x7f800000, v89
                                        ; implicit-def: $vgpr89
	s_and_saveexec_b32 s12, s0
	s_delay_alu instid0(SALU_CYCLE_1)
	s_xor_b32 s0, exec_lo, s12
; %bb.2784:                             ;   in Loop: Header=BB444_1478 Depth=1
	v_bfe_u32 v89, v91, 16, 1
	s_delay_alu instid0(VALU_DEP_1)
	v_add3_u32 v89, v91, v89, 0x7fff
                                        ; implicit-def: $vgpr91
; %bb.2785:                             ;   in Loop: Header=BB444_1478 Depth=1
	s_and_not1_saveexec_b32 s12, s0
; %bb.2786:                             ;   in Loop: Header=BB444_1478 Depth=1
	v_and_b32_e32 v89, 0xffff, v91
	v_or_b32_e32 v92, 0x10000, v91
	s_delay_alu instid0(VALU_DEP_2) | instskip(NEXT) | instid1(VALU_DEP_1)
	v_cmp_eq_u32_e64 s0, 0, v89
	v_cndmask_b32_e64 v89, v92, v91, s0
; %bb.2787:                             ;   in Loop: Header=BB444_1478 Depth=1
	s_or_b32 exec_lo, exec_lo, s12
	v_lshlrev_b32_e32 v90, 16, v90
	s_delay_alu instid0(VALU_DEP_1) | instskip(NEXT) | instid1(VALU_DEP_1)
	v_mul_f32_e32 v91, v103, v90
	v_and_b32_e32 v90, 0x7f800000, v91
	s_delay_alu instid0(VALU_DEP_1) | instskip(NEXT) | instid1(VALU_DEP_1)
	v_cmp_ne_u32_e64 s0, 0x7f800000, v90
                                        ; implicit-def: $vgpr90
	s_and_saveexec_b32 s12, s0
	s_delay_alu instid0(SALU_CYCLE_1)
	s_xor_b32 s0, exec_lo, s12
; %bb.2788:                             ;   in Loop: Header=BB444_1478 Depth=1
	v_bfe_u32 v90, v91, 16, 1
	s_delay_alu instid0(VALU_DEP_1)
	v_add3_u32 v90, v91, v90, 0x7fff
                                        ; implicit-def: $vgpr91
; %bb.2789:                             ;   in Loop: Header=BB444_1478 Depth=1
	s_and_not1_saveexec_b32 s12, s0
; %bb.2790:                             ;   in Loop: Header=BB444_1478 Depth=1
	v_and_b32_e32 v90, 0xffff, v91
	v_or_b32_e32 v92, 0x10000, v91
	s_delay_alu instid0(VALU_DEP_2) | instskip(NEXT) | instid1(VALU_DEP_1)
	v_cmp_eq_u32_e64 s0, 0, v90
	v_cndmask_b32_e64 v90, v92, v91, s0
; %bb.2791:                             ;   in Loop: Header=BB444_1478 Depth=1
	s_or_b32 exec_lo, exec_lo, s12
	v_lshlrev_b32_e32 v9, 16, v9
	s_delay_alu instid0(VALU_DEP_1) | instskip(NEXT) | instid1(VALU_DEP_1)
	v_mul_f32_e32 v9, v112, v9
	v_and_b32_e32 v91, 0x7f800000, v9
	s_delay_alu instid0(VALU_DEP_1) | instskip(NEXT) | instid1(VALU_DEP_1)
	v_cmp_ne_u32_e64 s0, 0x7f800000, v91
                                        ; implicit-def: $vgpr91
	s_and_saveexec_b32 s12, s0
	s_delay_alu instid0(SALU_CYCLE_1)
	s_xor_b32 s0, exec_lo, s12
; %bb.2792:                             ;   in Loop: Header=BB444_1478 Depth=1
	v_bfe_u32 v91, v9, 16, 1
	s_delay_alu instid0(VALU_DEP_1)
	v_add3_u32 v91, v9, v91, 0x7fff
                                        ; implicit-def: $vgpr9
; %bb.2793:                             ;   in Loop: Header=BB444_1478 Depth=1
	s_and_not1_saveexec_b32 s12, s0
; %bb.2794:                             ;   in Loop: Header=BB444_1478 Depth=1
	v_and_b32_e32 v91, 0xffff, v9
	v_or_b32_e32 v92, 0x10000, v9
	s_delay_alu instid0(VALU_DEP_2) | instskip(NEXT) | instid1(VALU_DEP_1)
	v_cmp_eq_u32_e64 s0, 0, v91
	v_cndmask_b32_e64 v91, v92, v9, s0
; %bb.2795:                             ;   in Loop: Header=BB444_1478 Depth=1
	s_or_b32 exec_lo, exec_lo, s12
	v_lshlrev_b32_e32 v7, 16, v7
                                        ; implicit-def: $vgpr92
	s_delay_alu instid0(VALU_DEP_1) | instskip(NEXT) | instid1(VALU_DEP_1)
	v_mul_f32_e32 v7, v113, v7
	v_and_b32_e32 v9, 0x7f800000, v7
	s_delay_alu instid0(VALU_DEP_1) | instskip(NEXT) | instid1(VALU_DEP_1)
	v_cmp_ne_u32_e64 s0, 0x7f800000, v9
	s_and_saveexec_b32 s12, s0
	s_delay_alu instid0(SALU_CYCLE_1)
	s_xor_b32 s0, exec_lo, s12
; %bb.2796:                             ;   in Loop: Header=BB444_1478 Depth=1
	v_bfe_u32 v9, v7, 16, 1
	s_delay_alu instid0(VALU_DEP_1)
	v_add3_u32 v92, v7, v9, 0x7fff
                                        ; implicit-def: $vgpr7
; %bb.2797:                             ;   in Loop: Header=BB444_1478 Depth=1
	s_and_not1_saveexec_b32 s12, s0
; %bb.2798:                             ;   in Loop: Header=BB444_1478 Depth=1
	v_and_b32_e32 v9, 0xffff, v7
	v_or_b32_e32 v92, 0x10000, v7
	s_delay_alu instid0(VALU_DEP_2) | instskip(NEXT) | instid1(VALU_DEP_1)
	v_cmp_eq_u32_e64 s0, 0, v9
	v_cndmask_b32_e64 v92, v92, v7, s0
; %bb.2799:                             ;   in Loop: Header=BB444_1478 Depth=1
	s_or_b32 exec_lo, exec_lo, s12
	v_lshlrev_b32_e32 v6, 16, v6
                                        ; implicit-def: $vgpr93
	s_delay_alu instid0(VALU_DEP_1) | instskip(NEXT) | instid1(VALU_DEP_1)
	v_mul_f32_e32 v6, v114, v6
	v_and_b32_e32 v7, 0x7f800000, v6
	s_delay_alu instid0(VALU_DEP_1) | instskip(NEXT) | instid1(VALU_DEP_1)
	v_cmp_ne_u32_e64 s0, 0x7f800000, v7
	s_and_saveexec_b32 s12, s0
	s_delay_alu instid0(SALU_CYCLE_1)
	s_xor_b32 s0, exec_lo, s12
; %bb.2800:                             ;   in Loop: Header=BB444_1478 Depth=1
	v_bfe_u32 v7, v6, 16, 1
	s_delay_alu instid0(VALU_DEP_1)
	v_add3_u32 v93, v6, v7, 0x7fff
                                        ; implicit-def: $vgpr6
; %bb.2801:                             ;   in Loop: Header=BB444_1478 Depth=1
	s_and_not1_saveexec_b32 s12, s0
; %bb.2802:                             ;   in Loop: Header=BB444_1478 Depth=1
	v_and_b32_e32 v7, 0xffff, v6
	v_or_b32_e32 v9, 0x10000, v6
	s_delay_alu instid0(VALU_DEP_2) | instskip(NEXT) | instid1(VALU_DEP_1)
	v_cmp_eq_u32_e64 s0, 0, v7
	v_cndmask_b32_e64 v93, v9, v6, s0
; %bb.2803:                             ;   in Loop: Header=BB444_1478 Depth=1
	s_or_b32 exec_lo, exec_lo, s12
	v_lshlrev_b32_e32 v3, 16, v3
                                        ; implicit-def: $vgpr94
	s_delay_alu instid0(VALU_DEP_1) | instskip(NEXT) | instid1(VALU_DEP_1)
	v_mul_f32_e32 v3, v115, v3
	v_and_b32_e32 v6, 0x7f800000, v3
	s_delay_alu instid0(VALU_DEP_1) | instskip(NEXT) | instid1(VALU_DEP_1)
	v_cmp_ne_u32_e64 s0, 0x7f800000, v6
	s_and_saveexec_b32 s12, s0
	s_delay_alu instid0(SALU_CYCLE_1)
	s_xor_b32 s0, exec_lo, s12
; %bb.2804:                             ;   in Loop: Header=BB444_1478 Depth=1
	v_bfe_u32 v6, v3, 16, 1
	s_delay_alu instid0(VALU_DEP_1)
	v_add3_u32 v94, v3, v6, 0x7fff
                                        ; implicit-def: $vgpr3
; %bb.2805:                             ;   in Loop: Header=BB444_1478 Depth=1
	s_and_not1_saveexec_b32 s12, s0
; %bb.2806:                             ;   in Loop: Header=BB444_1478 Depth=1
	v_and_b32_e32 v6, 0xffff, v3
	v_or_b32_e32 v7, 0x10000, v3
	s_delay_alu instid0(VALU_DEP_2) | instskip(NEXT) | instid1(VALU_DEP_1)
	v_cmp_eq_u32_e64 s0, 0, v6
	v_cndmask_b32_e64 v94, v7, v3, s0
; %bb.2807:                             ;   in Loop: Header=BB444_1478 Depth=1
	s_or_b32 exec_lo, exec_lo, s12
	v_lshlrev_b32_e32 v2, 16, v2
                                        ; implicit-def: $vgpr95
	s_delay_alu instid0(VALU_DEP_1) | instskip(NEXT) | instid1(VALU_DEP_1)
	v_mul_f32_e32 v2, v116, v2
	v_and_b32_e32 v3, 0x7f800000, v2
	s_delay_alu instid0(VALU_DEP_1) | instskip(NEXT) | instid1(VALU_DEP_1)
	v_cmp_ne_u32_e64 s0, 0x7f800000, v3
	s_and_saveexec_b32 s12, s0
	s_delay_alu instid0(SALU_CYCLE_1)
	s_xor_b32 s0, exec_lo, s12
; %bb.2808:                             ;   in Loop: Header=BB444_1478 Depth=1
	v_bfe_u32 v3, v2, 16, 1
	s_delay_alu instid0(VALU_DEP_1)
	v_add3_u32 v95, v2, v3, 0x7fff
                                        ; implicit-def: $vgpr2
; %bb.2809:                             ;   in Loop: Header=BB444_1478 Depth=1
	s_and_not1_saveexec_b32 s12, s0
; %bb.2810:                             ;   in Loop: Header=BB444_1478 Depth=1
	v_and_b32_e32 v3, 0xffff, v2
	v_or_b32_e32 v6, 0x10000, v2
	s_delay_alu instid0(VALU_DEP_2) | instskip(NEXT) | instid1(VALU_DEP_1)
	v_cmp_eq_u32_e64 s0, 0, v3
	v_cndmask_b32_e64 v95, v6, v2, s0
; %bb.2811:                             ;   in Loop: Header=BB444_1478 Depth=1
	s_or_b32 exec_lo, exec_lo, s12
	flat_load_b64 v[2:3], v[0:1] offset:2560
	s_mov_b32 s12, exec_lo
	s_waitcnt vmcnt(0) lgkmcnt(0)
	v_dual_mov_b32 v6, 0 :: v_dual_and_b32 v7, 0xff, v2
	s_delay_alu instid0(VALU_DEP_1)
	v_cmpx_ne_u16_e32 0, v7
	s_cbranch_execz .LBB444_2819
; %bb.2812:                             ;   in Loop: Header=BB444_1478 Depth=1
	v_bfrev_b32_e32 v6, 1
	s_mov_b32 s13, exec_lo
	v_cmpx_ne_u16_e32 0x80, v7
	s_cbranch_execz .LBB444_2818
; %bb.2813:                             ;   in Loop: Header=BB444_1478 Depth=1
	v_and_b32_e32 v7, 0x7f, v2
	v_mov_b32_e32 v6, 0x7f800001
	s_mov_b32 s15, exec_lo
	s_delay_alu instid0(VALU_DEP_2)
	v_cmpx_ne_u32_e32 0x7f, v7
	s_cbranch_execz .LBB444_2817
; %bb.2814:                             ;   in Loop: Header=BB444_1478 Depth=1
	v_lshrrev_b32_e32 v9, 3, v7
	v_cmp_gt_u32_e64 s0, 8, v7
	v_dual_mov_b32 v7, v3 :: v_dual_mov_b32 v6, v2
	s_delay_alu instid0(VALU_DEP_2)
	s_and_saveexec_b32 s16, s0
; %bb.2815:                             ;   in Loop: Header=BB444_1478 Depth=1
	v_and_b32_e32 v6, 7, v2
	s_delay_alu instid0(VALU_DEP_1) | instskip(NEXT) | instid1(VALU_DEP_1)
	v_clz_i32_u32_e32 v6, v6
	v_min_u32_e32 v9, 32, v6
	s_delay_alu instid0(VALU_DEP_1) | instskip(SKIP_1) | instid1(VALU_DEP_2)
	v_subrev_nc_u32_e32 v6, 28, v9
	v_sub_nc_u32_e32 v9, 29, v9
	v_lshlrev_b64 v[6:7], v6, v[2:3]
; %bb.2816:                             ;   in Loop: Header=BB444_1478 Depth=1
	s_or_b32 exec_lo, exec_lo, s16
	s_delay_alu instid0(VALU_DEP_1) | instskip(SKIP_2) | instid1(VALU_DEP_3)
	v_lshlrev_b32_e32 v6, 20, v6
	v_lshlrev_b32_e32 v7, 24, v2
	v_lshl_add_u32 v9, v9, 23, 0x3c000000
	v_and_b32_e32 v6, 0x700000, v6
	s_delay_alu instid0(VALU_DEP_3) | instskip(NEXT) | instid1(VALU_DEP_1)
	v_and_b32_e32 v7, 0x80000000, v7
	v_or3_b32 v6, v6, v7, v9
.LBB444_2817:                           ;   in Loop: Header=BB444_1478 Depth=1
	s_or_b32 exec_lo, exec_lo, s15
.LBB444_2818:                           ;   in Loop: Header=BB444_1478 Depth=1
	s_delay_alu instid0(SALU_CYCLE_1)
	s_or_b32 exec_lo, exec_lo, s13
.LBB444_2819:                           ;   in Loop: Header=BB444_1478 Depth=1
	s_delay_alu instid0(SALU_CYCLE_1) | instskip(NEXT) | instid1(VALU_DEP_1)
	s_or_b32 exec_lo, exec_lo, s12
	v_mul_f32_e32 v6, v8, v6
                                        ; implicit-def: $vgpr104
	s_delay_alu instid0(VALU_DEP_1) | instskip(NEXT) | instid1(VALU_DEP_1)
	v_and_b32_e32 v7, 0x7f800000, v6
	v_cmp_ne_u32_e64 s0, 0x7f800000, v7
	s_delay_alu instid0(VALU_DEP_1) | instskip(NEXT) | instid1(SALU_CYCLE_1)
	s_and_saveexec_b32 s12, s0
	s_xor_b32 s0, exec_lo, s12
; %bb.2820:                             ;   in Loop: Header=BB444_1478 Depth=1
	v_bfe_u32 v7, v6, 16, 1
	s_delay_alu instid0(VALU_DEP_1)
	v_add3_u32 v104, v6, v7, 0x7fff
                                        ; implicit-def: $vgpr6
; %bb.2821:                             ;   in Loop: Header=BB444_1478 Depth=1
	s_and_not1_saveexec_b32 s12, s0
; %bb.2822:                             ;   in Loop: Header=BB444_1478 Depth=1
	v_and_b32_e32 v7, 0xffff, v6
	v_or_b32_e32 v9, 0x10000, v6
	s_delay_alu instid0(VALU_DEP_2) | instskip(NEXT) | instid1(VALU_DEP_1)
	v_cmp_eq_u32_e64 s0, 0, v7
	v_cndmask_b32_e64 v104, v9, v6, s0
; %bb.2823:                             ;   in Loop: Header=BB444_1478 Depth=1
	s_or_b32 exec_lo, exec_lo, s12
	v_lshrrev_b16 v7, 8, v2
	v_mov_b32_e32 v6, 0
	s_mov_b32 s12, exec_lo
	s_delay_alu instid0(VALU_DEP_2)
	v_cmpx_ne_u16_e32 0, v7
	s_cbranch_execz .LBB444_2831
; %bb.2824:                             ;   in Loop: Header=BB444_1478 Depth=1
	v_bfrev_b32_e32 v6, 1
	s_mov_b32 s13, exec_lo
	v_cmpx_ne_u16_e32 0x80, v7
	s_cbranch_execz .LBB444_2830
; %bb.2825:                             ;   in Loop: Header=BB444_1478 Depth=1
	v_and_b32_e32 v9, 0xffff, v7
	v_mov_b32_e32 v6, 0x7f800001
	s_mov_b32 s15, exec_lo
	s_delay_alu instid0(VALU_DEP_2) | instskip(NEXT) | instid1(VALU_DEP_1)
	v_and_b32_e32 v7, 0x7f, v9
	v_cmpx_ne_u32_e32 0x7f, v7
	s_cbranch_execz .LBB444_2829
; %bb.2826:                             ;   in Loop: Header=BB444_1478 Depth=1
	v_and_b32_e32 v9, 7, v9
	v_lshrrev_b32_e32 v105, 3, v7
	v_cmp_gt_u32_e64 s0, 8, v7
	s_delay_alu instid0(VALU_DEP_3) | instskip(NEXT) | instid1(VALU_DEP_2)
	v_dual_mov_b32 v6, v9 :: v_dual_mov_b32 v7, v10
	s_and_saveexec_b32 s16, s0
; %bb.2827:                             ;   in Loop: Header=BB444_1478 Depth=1
	v_clz_i32_u32_e32 v6, v9
	s_delay_alu instid0(VALU_DEP_1) | instskip(NEXT) | instid1(VALU_DEP_1)
	v_min_u32_e32 v105, 32, v6
	v_subrev_nc_u32_e32 v6, 28, v105
	v_sub_nc_u32_e32 v105, 29, v105
	s_delay_alu instid0(VALU_DEP_2) | instskip(NEXT) | instid1(VALU_DEP_1)
	v_lshlrev_b64 v[6:7], v6, v[9:10]
	v_and_b32_e32 v6, 7, v6
; %bb.2828:                             ;   in Loop: Header=BB444_1478 Depth=1
	s_or_b32 exec_lo, exec_lo, s16
	v_lshlrev_b32_e32 v7, 16, v2
	s_delay_alu instid0(VALU_DEP_2) | instskip(SKIP_1) | instid1(VALU_DEP_3)
	v_lshlrev_b32_e32 v6, 20, v6
	v_lshl_add_u32 v9, v105, 23, 0x3c000000
	v_and_b32_e32 v7, 0x80000000, v7
	s_delay_alu instid0(VALU_DEP_1)
	v_or3_b32 v6, v6, v7, v9
.LBB444_2829:                           ;   in Loop: Header=BB444_1478 Depth=1
	s_or_b32 exec_lo, exec_lo, s15
.LBB444_2830:                           ;   in Loop: Header=BB444_1478 Depth=1
	s_delay_alu instid0(SALU_CYCLE_1)
	s_or_b32 exec_lo, exec_lo, s13
.LBB444_2831:                           ;   in Loop: Header=BB444_1478 Depth=1
	s_delay_alu instid0(SALU_CYCLE_1) | instskip(NEXT) | instid1(VALU_DEP_1)
	s_or_b32 exec_lo, exec_lo, s12
	v_mul_f32_e32 v6, v8, v6
                                        ; implicit-def: $vgpr105
	s_delay_alu instid0(VALU_DEP_1) | instskip(NEXT) | instid1(VALU_DEP_1)
	v_and_b32_e32 v7, 0x7f800000, v6
	v_cmp_ne_u32_e64 s0, 0x7f800000, v7
	s_delay_alu instid0(VALU_DEP_1) | instskip(NEXT) | instid1(SALU_CYCLE_1)
	s_and_saveexec_b32 s12, s0
	s_xor_b32 s0, exec_lo, s12
; %bb.2832:                             ;   in Loop: Header=BB444_1478 Depth=1
	v_bfe_u32 v7, v6, 16, 1
	s_delay_alu instid0(VALU_DEP_1)
	v_add3_u32 v105, v6, v7, 0x7fff
                                        ; implicit-def: $vgpr6
; %bb.2833:                             ;   in Loop: Header=BB444_1478 Depth=1
	s_and_not1_saveexec_b32 s12, s0
; %bb.2834:                             ;   in Loop: Header=BB444_1478 Depth=1
	v_and_b32_e32 v7, 0xffff, v6
	v_or_b32_e32 v9, 0x10000, v6
	s_delay_alu instid0(VALU_DEP_2) | instskip(NEXT) | instid1(VALU_DEP_1)
	v_cmp_eq_u32_e64 s0, 0, v7
	v_cndmask_b32_e64 v105, v9, v6, s0
; %bb.2835:                             ;   in Loop: Header=BB444_1478 Depth=1
	s_or_b32 exec_lo, exec_lo, s12
	v_lshrrev_b32_e32 v106, 16, v2
	s_mov_b32 s12, exec_lo
	s_delay_alu instid0(VALU_DEP_1) | instskip(NEXT) | instid1(VALU_DEP_1)
	v_dual_mov_b32 v6, 0 :: v_dual_and_b32 v7, 0xff, v106
	v_cmpx_ne_u16_e32 0, v7
	s_cbranch_execz .LBB444_2843
; %bb.2836:                             ;   in Loop: Header=BB444_1478 Depth=1
	v_bfrev_b32_e32 v6, 1
	s_mov_b32 s13, exec_lo
	v_cmpx_ne_u16_e32 0x80, v7
	s_cbranch_execz .LBB444_2842
; %bb.2837:                             ;   in Loop: Header=BB444_1478 Depth=1
	v_bfe_u32 v7, v2, 16, 7
	v_mov_b32_e32 v6, 0x7f800001
	s_mov_b32 s15, exec_lo
	s_delay_alu instid0(VALU_DEP_2)
	v_cmpx_ne_u32_e32 0x7f, v7
	s_cbranch_execz .LBB444_2841
; %bb.2838:                             ;   in Loop: Header=BB444_1478 Depth=1
	v_and_b32_e32 v9, 7, v106
	v_lshrrev_b32_e32 v107, 3, v7
	v_cmp_gt_u32_e64 s0, 8, v7
	s_delay_alu instid0(VALU_DEP_3) | instskip(NEXT) | instid1(VALU_DEP_2)
	v_dual_mov_b32 v6, v9 :: v_dual_mov_b32 v7, v10
	s_and_saveexec_b32 s16, s0
; %bb.2839:                             ;   in Loop: Header=BB444_1478 Depth=1
	v_clz_i32_u32_e32 v6, v9
	s_delay_alu instid0(VALU_DEP_1) | instskip(NEXT) | instid1(VALU_DEP_1)
	v_min_u32_e32 v107, 32, v6
	v_subrev_nc_u32_e32 v6, 28, v107
	v_sub_nc_u32_e32 v107, 29, v107
	s_delay_alu instid0(VALU_DEP_2) | instskip(NEXT) | instid1(VALU_DEP_1)
	v_lshlrev_b64 v[6:7], v6, v[9:10]
	v_and_b32_e32 v6, 7, v6
; %bb.2840:                             ;   in Loop: Header=BB444_1478 Depth=1
	s_or_b32 exec_lo, exec_lo, s16
	v_lshlrev_b32_e32 v7, 24, v106
	s_delay_alu instid0(VALU_DEP_2) | instskip(SKIP_1) | instid1(VALU_DEP_3)
	v_lshlrev_b32_e32 v6, 20, v6
	v_lshl_add_u32 v9, v107, 23, 0x3c000000
	v_and_b32_e32 v7, 0x80000000, v7
	s_delay_alu instid0(VALU_DEP_1)
	v_or3_b32 v6, v6, v7, v9
.LBB444_2841:                           ;   in Loop: Header=BB444_1478 Depth=1
	s_or_b32 exec_lo, exec_lo, s15
.LBB444_2842:                           ;   in Loop: Header=BB444_1478 Depth=1
	s_delay_alu instid0(SALU_CYCLE_1)
	s_or_b32 exec_lo, exec_lo, s13
.LBB444_2843:                           ;   in Loop: Header=BB444_1478 Depth=1
	s_delay_alu instid0(SALU_CYCLE_1) | instskip(NEXT) | instid1(VALU_DEP_1)
	s_or_b32 exec_lo, exec_lo, s12
	v_mul_f32_e32 v6, v8, v6
                                        ; implicit-def: $vgpr106
	s_delay_alu instid0(VALU_DEP_1) | instskip(NEXT) | instid1(VALU_DEP_1)
	v_and_b32_e32 v7, 0x7f800000, v6
	v_cmp_ne_u32_e64 s0, 0x7f800000, v7
	s_delay_alu instid0(VALU_DEP_1) | instskip(NEXT) | instid1(SALU_CYCLE_1)
	s_and_saveexec_b32 s12, s0
	s_xor_b32 s0, exec_lo, s12
; %bb.2844:                             ;   in Loop: Header=BB444_1478 Depth=1
	v_bfe_u32 v7, v6, 16, 1
	s_delay_alu instid0(VALU_DEP_1)
	v_add3_u32 v106, v6, v7, 0x7fff
                                        ; implicit-def: $vgpr6
; %bb.2845:                             ;   in Loop: Header=BB444_1478 Depth=1
	s_and_not1_saveexec_b32 s12, s0
; %bb.2846:                             ;   in Loop: Header=BB444_1478 Depth=1
	v_and_b32_e32 v7, 0xffff, v6
	v_or_b32_e32 v9, 0x10000, v6
	s_delay_alu instid0(VALU_DEP_2) | instskip(NEXT) | instid1(VALU_DEP_1)
	v_cmp_eq_u32_e64 s0, 0, v7
	v_cndmask_b32_e64 v106, v9, v6, s0
; %bb.2847:                             ;   in Loop: Header=BB444_1478 Depth=1
	s_or_b32 exec_lo, exec_lo, s12
	v_mov_b32_e32 v6, 0
	s_mov_b32 s12, exec_lo
	v_cmpx_lt_u32_e32 0xffffff, v2
	s_cbranch_execz .LBB444_2855
; %bb.2848:                             ;   in Loop: Header=BB444_1478 Depth=1
	v_lshrrev_b32_e32 v107, 24, v2
	v_bfrev_b32_e32 v6, 1
	s_mov_b32 s13, exec_lo
	s_delay_alu instid0(VALU_DEP_2)
	v_cmpx_ne_u32_e32 0x80, v107
	s_cbranch_execz .LBB444_2854
; %bb.2849:                             ;   in Loop: Header=BB444_1478 Depth=1
	v_bfe_u32 v7, v2, 24, 7
	v_mov_b32_e32 v6, 0x7f800001
	s_mov_b32 s15, exec_lo
	s_delay_alu instid0(VALU_DEP_2)
	v_cmpx_ne_u32_e32 0x7f, v7
	s_cbranch_execz .LBB444_2853
; %bb.2850:                             ;   in Loop: Header=BB444_1478 Depth=1
	v_and_b32_e32 v9, 7, v107
	v_lshrrev_b32_e32 v108, 3, v7
	v_cmp_gt_u32_e64 s0, 8, v7
	s_delay_alu instid0(VALU_DEP_3) | instskip(NEXT) | instid1(VALU_DEP_2)
	v_dual_mov_b32 v6, v9 :: v_dual_mov_b32 v7, v10
	s_and_saveexec_b32 s16, s0
; %bb.2851:                             ;   in Loop: Header=BB444_1478 Depth=1
	v_clz_i32_u32_e32 v6, v9
	s_delay_alu instid0(VALU_DEP_1) | instskip(NEXT) | instid1(VALU_DEP_1)
	v_min_u32_e32 v108, 32, v6
	v_subrev_nc_u32_e32 v6, 28, v108
	v_sub_nc_u32_e32 v108, 29, v108
	s_delay_alu instid0(VALU_DEP_2) | instskip(NEXT) | instid1(VALU_DEP_1)
	v_lshlrev_b64 v[6:7], v6, v[9:10]
	v_and_b32_e32 v6, 7, v6
; %bb.2852:                             ;   in Loop: Header=BB444_1478 Depth=1
	s_or_b32 exec_lo, exec_lo, s16
	v_lshlrev_b32_e32 v7, 24, v107
	s_delay_alu instid0(VALU_DEP_2) | instskip(SKIP_1) | instid1(VALU_DEP_3)
	v_lshlrev_b32_e32 v6, 20, v6
	v_lshl_add_u32 v9, v108, 23, 0x3c000000
	v_and_b32_e32 v7, 0x80000000, v7
	s_delay_alu instid0(VALU_DEP_1)
	v_or3_b32 v6, v6, v7, v9
.LBB444_2853:                           ;   in Loop: Header=BB444_1478 Depth=1
	s_or_b32 exec_lo, exec_lo, s15
.LBB444_2854:                           ;   in Loop: Header=BB444_1478 Depth=1
	s_delay_alu instid0(SALU_CYCLE_1)
	s_or_b32 exec_lo, exec_lo, s13
.LBB444_2855:                           ;   in Loop: Header=BB444_1478 Depth=1
	s_delay_alu instid0(SALU_CYCLE_1) | instskip(NEXT) | instid1(VALU_DEP_1)
	s_or_b32 exec_lo, exec_lo, s12
	v_mul_f32_e32 v6, v8, v6
                                        ; implicit-def: $vgpr107
	s_delay_alu instid0(VALU_DEP_1) | instskip(NEXT) | instid1(VALU_DEP_1)
	v_and_b32_e32 v7, 0x7f800000, v6
	v_cmp_ne_u32_e64 s0, 0x7f800000, v7
	s_delay_alu instid0(VALU_DEP_1) | instskip(NEXT) | instid1(SALU_CYCLE_1)
	s_and_saveexec_b32 s12, s0
	s_xor_b32 s0, exec_lo, s12
; %bb.2856:                             ;   in Loop: Header=BB444_1478 Depth=1
	v_bfe_u32 v7, v6, 16, 1
	s_delay_alu instid0(VALU_DEP_1)
	v_add3_u32 v107, v6, v7, 0x7fff
                                        ; implicit-def: $vgpr6
; %bb.2857:                             ;   in Loop: Header=BB444_1478 Depth=1
	s_and_not1_saveexec_b32 s12, s0
; %bb.2858:                             ;   in Loop: Header=BB444_1478 Depth=1
	v_and_b32_e32 v7, 0xffff, v6
	v_or_b32_e32 v9, 0x10000, v6
	s_delay_alu instid0(VALU_DEP_2) | instskip(NEXT) | instid1(VALU_DEP_1)
	v_cmp_eq_u32_e64 s0, 0, v7
	v_cndmask_b32_e64 v107, v9, v6, s0
; %bb.2859:                             ;   in Loop: Header=BB444_1478 Depth=1
	s_or_b32 exec_lo, exec_lo, s12
	v_dual_mov_b32 v6, 0 :: v_dual_and_b32 v7, 0xff, v3
	v_mov_b32_e32 v9, v3
	s_mov_b32 s12, exec_lo
	s_delay_alu instid0(VALU_DEP_2)
	v_cmpx_ne_u16_e32 0, v7
	s_cbranch_execz .LBB444_2867
; %bb.2860:                             ;   in Loop: Header=BB444_1478 Depth=1
	v_bfrev_b32_e32 v6, 1
	s_mov_b32 s13, exec_lo
	v_cmpx_ne_u16_e32 0x80, v7
	s_cbranch_execz .LBB444_2866
; %bb.2861:                             ;   in Loop: Header=BB444_1478 Depth=1
	v_and_b32_e32 v7, 0x7f, v3
	v_mov_b32_e32 v6, 0x7f800001
	s_mov_b32 s15, exec_lo
	s_delay_alu instid0(VALU_DEP_2)
	v_cmpx_ne_u32_e32 0x7f, v7
	s_cbranch_execz .LBB444_2865
; %bb.2862:                             ;   in Loop: Header=BB444_1478 Depth=1
	v_lshrrev_b32_e32 v108, 3, v7
	v_cmp_gt_u32_e64 s0, 8, v7
	v_dual_mov_b32 v6, v9 :: v_dual_mov_b32 v7, v10
	s_delay_alu instid0(VALU_DEP_2)
	s_and_saveexec_b32 s16, s0
; %bb.2863:                             ;   in Loop: Header=BB444_1478 Depth=1
	v_and_b32_e32 v6, 7, v3
	s_delay_alu instid0(VALU_DEP_1) | instskip(NEXT) | instid1(VALU_DEP_1)
	v_clz_i32_u32_e32 v6, v6
	v_min_u32_e32 v108, 32, v6
	s_delay_alu instid0(VALU_DEP_1) | instskip(SKIP_1) | instid1(VALU_DEP_2)
	v_subrev_nc_u32_e32 v6, 28, v108
	v_sub_nc_u32_e32 v108, 29, v108
	v_lshlrev_b64 v[6:7], v6, v[9:10]
; %bb.2864:                             ;   in Loop: Header=BB444_1478 Depth=1
	s_or_b32 exec_lo, exec_lo, s16
	s_delay_alu instid0(VALU_DEP_1) | instskip(SKIP_2) | instid1(VALU_DEP_3)
	v_lshlrev_b32_e32 v6, 20, v6
	v_lshlrev_b32_e32 v7, 24, v9
	v_lshl_add_u32 v108, v108, 23, 0x3c000000
	v_and_b32_e32 v6, 0x700000, v6
	s_delay_alu instid0(VALU_DEP_3) | instskip(NEXT) | instid1(VALU_DEP_1)
	v_and_b32_e32 v7, 0x80000000, v7
	v_or3_b32 v6, v6, v7, v108
.LBB444_2865:                           ;   in Loop: Header=BB444_1478 Depth=1
	s_or_b32 exec_lo, exec_lo, s15
.LBB444_2866:                           ;   in Loop: Header=BB444_1478 Depth=1
	s_delay_alu instid0(SALU_CYCLE_1)
	s_or_b32 exec_lo, exec_lo, s13
.LBB444_2867:                           ;   in Loop: Header=BB444_1478 Depth=1
	s_delay_alu instid0(SALU_CYCLE_1) | instskip(NEXT) | instid1(VALU_DEP_1)
	s_or_b32 exec_lo, exec_lo, s12
	v_mul_f32_e32 v6, v8, v6
                                        ; implicit-def: $vgpr108
	s_delay_alu instid0(VALU_DEP_1) | instskip(NEXT) | instid1(VALU_DEP_1)
	v_and_b32_e32 v7, 0x7f800000, v6
	v_cmp_ne_u32_e64 s0, 0x7f800000, v7
	s_delay_alu instid0(VALU_DEP_1) | instskip(NEXT) | instid1(SALU_CYCLE_1)
	s_and_saveexec_b32 s12, s0
	s_xor_b32 s0, exec_lo, s12
; %bb.2868:                             ;   in Loop: Header=BB444_1478 Depth=1
	v_bfe_u32 v7, v6, 16, 1
	s_delay_alu instid0(VALU_DEP_1)
	v_add3_u32 v108, v6, v7, 0x7fff
                                        ; implicit-def: $vgpr6
; %bb.2869:                             ;   in Loop: Header=BB444_1478 Depth=1
	s_and_not1_saveexec_b32 s12, s0
; %bb.2870:                             ;   in Loop: Header=BB444_1478 Depth=1
	v_and_b32_e32 v7, 0xffff, v6
	v_or_b32_e32 v108, 0x10000, v6
	s_delay_alu instid0(VALU_DEP_2) | instskip(NEXT) | instid1(VALU_DEP_1)
	v_cmp_eq_u32_e64 s0, 0, v7
	v_cndmask_b32_e64 v108, v108, v6, s0
; %bb.2871:                             ;   in Loop: Header=BB444_1478 Depth=1
	s_or_b32 exec_lo, exec_lo, s12
	v_lshrrev_b16 v7, 8, v9
	v_mov_b32_e32 v6, 0
	s_mov_b32 s12, exec_lo
	s_delay_alu instid0(VALU_DEP_2)
	v_cmpx_ne_u16_e32 0, v7
	s_cbranch_execz .LBB444_2879
; %bb.2872:                             ;   in Loop: Header=BB444_1478 Depth=1
	v_bfrev_b32_e32 v6, 1
	s_mov_b32 s13, exec_lo
	v_cmpx_ne_u16_e32 0x80, v7
	s_cbranch_execz .LBB444_2878
; %bb.2873:                             ;   in Loop: Header=BB444_1478 Depth=1
	v_and_b32_e32 v7, 0xffff, v7
	v_mov_b32_e32 v6, 0x7f800001
	s_mov_b32 s15, exec_lo
	s_delay_alu instid0(VALU_DEP_2) | instskip(NEXT) | instid1(VALU_DEP_1)
	v_and_b32_e32 v110, 0x7f, v7
	v_cmpx_ne_u32_e32 0x7f, v110
	s_cbranch_execz .LBB444_2877
; %bb.2874:                             ;   in Loop: Header=BB444_1478 Depth=1
	v_dual_mov_b32 v7, v10 :: v_dual_and_b32 v6, 7, v7
	v_lshrrev_b32_e32 v109, 3, v110
	s_mov_b32 s16, exec_lo
	v_cmpx_gt_u32_e32 8, v110
; %bb.2875:                             ;   in Loop: Header=BB444_1478 Depth=1
	s_delay_alu instid0(VALU_DEP_3) | instskip(NEXT) | instid1(VALU_DEP_1)
	v_clz_i32_u32_e32 v109, v6
	v_min_u32_e32 v109, 32, v109
	s_delay_alu instid0(VALU_DEP_1) | instskip(SKIP_1) | instid1(VALU_DEP_2)
	v_subrev_nc_u32_e32 v110, 28, v109
	v_sub_nc_u32_e32 v109, 29, v109
	v_lshlrev_b64 v[6:7], v110, v[6:7]
	s_delay_alu instid0(VALU_DEP_1)
	v_and_b32_e32 v6, 7, v6
; %bb.2876:                             ;   in Loop: Header=BB444_1478 Depth=1
	s_or_b32 exec_lo, exec_lo, s16
	v_lshlrev_b32_e32 v7, 16, v9
	s_delay_alu instid0(VALU_DEP_2) | instskip(SKIP_1) | instid1(VALU_DEP_3)
	v_lshlrev_b32_e32 v6, 20, v6
	v_lshl_add_u32 v9, v109, 23, 0x3c000000
	v_and_b32_e32 v7, 0x80000000, v7
	s_delay_alu instid0(VALU_DEP_1)
	v_or3_b32 v6, v6, v7, v9
.LBB444_2877:                           ;   in Loop: Header=BB444_1478 Depth=1
	s_or_b32 exec_lo, exec_lo, s15
.LBB444_2878:                           ;   in Loop: Header=BB444_1478 Depth=1
	s_delay_alu instid0(SALU_CYCLE_1)
	s_or_b32 exec_lo, exec_lo, s13
.LBB444_2879:                           ;   in Loop: Header=BB444_1478 Depth=1
	s_delay_alu instid0(SALU_CYCLE_1) | instskip(NEXT) | instid1(VALU_DEP_1)
	s_or_b32 exec_lo, exec_lo, s12
	v_mul_f32_e32 v6, v8, v6
                                        ; implicit-def: $vgpr109
	s_delay_alu instid0(VALU_DEP_1) | instskip(NEXT) | instid1(VALU_DEP_1)
	v_and_b32_e32 v7, 0x7f800000, v6
	v_cmp_ne_u32_e64 s0, 0x7f800000, v7
	s_delay_alu instid0(VALU_DEP_1) | instskip(NEXT) | instid1(SALU_CYCLE_1)
	s_and_saveexec_b32 s12, s0
	s_xor_b32 s0, exec_lo, s12
; %bb.2880:                             ;   in Loop: Header=BB444_1478 Depth=1
	v_bfe_u32 v7, v6, 16, 1
	s_delay_alu instid0(VALU_DEP_1)
	v_add3_u32 v109, v6, v7, 0x7fff
                                        ; implicit-def: $vgpr6
; %bb.2881:                             ;   in Loop: Header=BB444_1478 Depth=1
	s_and_not1_saveexec_b32 s12, s0
; %bb.2882:                             ;   in Loop: Header=BB444_1478 Depth=1
	v_and_b32_e32 v7, 0xffff, v6
	v_or_b32_e32 v9, 0x10000, v6
	s_delay_alu instid0(VALU_DEP_2) | instskip(NEXT) | instid1(VALU_DEP_1)
	v_cmp_eq_u32_e64 s0, 0, v7
	v_cndmask_b32_e64 v109, v9, v6, s0
; %bb.2883:                             ;   in Loop: Header=BB444_1478 Depth=1
	s_or_b32 exec_lo, exec_lo, s12
	v_lshrrev_b32_e32 v110, 16, v3
	s_mov_b32 s12, exec_lo
	s_delay_alu instid0(VALU_DEP_1) | instskip(NEXT) | instid1(VALU_DEP_1)
	v_dual_mov_b32 v6, 0 :: v_dual_and_b32 v7, 0xff, v110
	v_cmpx_ne_u16_e32 0, v7
	s_cbranch_execz .LBB444_2891
; %bb.2884:                             ;   in Loop: Header=BB444_1478 Depth=1
	v_bfrev_b32_e32 v6, 1
	s_mov_b32 s13, exec_lo
	v_cmpx_ne_u16_e32 0x80, v7
	s_cbranch_execz .LBB444_2890
; %bb.2885:                             ;   in Loop: Header=BB444_1478 Depth=1
	v_bfe_u32 v7, v3, 16, 7
	v_mov_b32_e32 v6, 0x7f800001
	s_mov_b32 s15, exec_lo
	s_delay_alu instid0(VALU_DEP_2)
	v_cmpx_ne_u32_e32 0x7f, v7
	s_cbranch_execz .LBB444_2889
; %bb.2886:                             ;   in Loop: Header=BB444_1478 Depth=1
	v_and_b32_e32 v9, 7, v110
	v_lshrrev_b32_e32 v111, 3, v7
	v_cmp_gt_u32_e64 s0, 8, v7
	s_delay_alu instid0(VALU_DEP_3) | instskip(NEXT) | instid1(VALU_DEP_2)
	v_dual_mov_b32 v6, v9 :: v_dual_mov_b32 v7, v10
	s_and_saveexec_b32 s16, s0
; %bb.2887:                             ;   in Loop: Header=BB444_1478 Depth=1
	v_clz_i32_u32_e32 v6, v9
	s_delay_alu instid0(VALU_DEP_1) | instskip(NEXT) | instid1(VALU_DEP_1)
	v_min_u32_e32 v111, 32, v6
	v_subrev_nc_u32_e32 v6, 28, v111
	v_sub_nc_u32_e32 v111, 29, v111
	s_delay_alu instid0(VALU_DEP_2) | instskip(NEXT) | instid1(VALU_DEP_1)
	v_lshlrev_b64 v[6:7], v6, v[9:10]
	v_and_b32_e32 v6, 7, v6
; %bb.2888:                             ;   in Loop: Header=BB444_1478 Depth=1
	s_or_b32 exec_lo, exec_lo, s16
	v_lshlrev_b32_e32 v7, 24, v110
	s_delay_alu instid0(VALU_DEP_2) | instskip(SKIP_1) | instid1(VALU_DEP_3)
	v_lshlrev_b32_e32 v6, 20, v6
	v_lshl_add_u32 v9, v111, 23, 0x3c000000
	v_and_b32_e32 v7, 0x80000000, v7
	s_delay_alu instid0(VALU_DEP_1)
	v_or3_b32 v6, v6, v7, v9
.LBB444_2889:                           ;   in Loop: Header=BB444_1478 Depth=1
	s_or_b32 exec_lo, exec_lo, s15
.LBB444_2890:                           ;   in Loop: Header=BB444_1478 Depth=1
	s_delay_alu instid0(SALU_CYCLE_1)
	s_or_b32 exec_lo, exec_lo, s13
.LBB444_2891:                           ;   in Loop: Header=BB444_1478 Depth=1
	s_delay_alu instid0(SALU_CYCLE_1) | instskip(NEXT) | instid1(VALU_DEP_1)
	s_or_b32 exec_lo, exec_lo, s12
	v_mul_f32_e32 v6, v8, v6
                                        ; implicit-def: $vgpr110
	s_delay_alu instid0(VALU_DEP_1) | instskip(NEXT) | instid1(VALU_DEP_1)
	v_and_b32_e32 v7, 0x7f800000, v6
	v_cmp_ne_u32_e64 s0, 0x7f800000, v7
	s_delay_alu instid0(VALU_DEP_1) | instskip(NEXT) | instid1(SALU_CYCLE_1)
	s_and_saveexec_b32 s12, s0
	s_xor_b32 s0, exec_lo, s12
; %bb.2892:                             ;   in Loop: Header=BB444_1478 Depth=1
	v_bfe_u32 v7, v6, 16, 1
	s_delay_alu instid0(VALU_DEP_1)
	v_add3_u32 v110, v6, v7, 0x7fff
                                        ; implicit-def: $vgpr6
; %bb.2893:                             ;   in Loop: Header=BB444_1478 Depth=1
	s_and_not1_saveexec_b32 s12, s0
; %bb.2894:                             ;   in Loop: Header=BB444_1478 Depth=1
	v_and_b32_e32 v7, 0xffff, v6
	v_or_b32_e32 v9, 0x10000, v6
	s_delay_alu instid0(VALU_DEP_2) | instskip(NEXT) | instid1(VALU_DEP_1)
	v_cmp_eq_u32_e64 s0, 0, v7
	v_cndmask_b32_e64 v110, v9, v6, s0
; %bb.2895:                             ;   in Loop: Header=BB444_1478 Depth=1
	s_or_b32 exec_lo, exec_lo, s12
	v_cmp_lt_u64_e64 s0, s[8:9], v[2:3]
	v_mov_b32_e32 v2, 0
	s_delay_alu instid0(VALU_DEP_2)
	s_and_saveexec_b32 s12, s0
	s_cbranch_execz .LBB444_2903
; %bb.2896:                             ;   in Loop: Header=BB444_1478 Depth=1
	v_lshrrev_b32_e32 v6, 24, v3
	v_bfrev_b32_e32 v2, 1
	s_mov_b32 s13, exec_lo
	s_delay_alu instid0(VALU_DEP_2)
	v_cmpx_ne_u32_e32 0x80, v6
	s_cbranch_execz .LBB444_2902
; %bb.2897:                             ;   in Loop: Header=BB444_1478 Depth=1
	v_bfe_u32 v3, v3, 24, 7
	v_mov_b32_e32 v2, 0x7f800001
	s_mov_b32 s15, exec_lo
	s_delay_alu instid0(VALU_DEP_2)
	v_cmpx_ne_u32_e32 0x7f, v3
	s_cbranch_execz .LBB444_2901
; %bb.2898:                             ;   in Loop: Header=BB444_1478 Depth=1
	v_and_b32_e32 v9, 7, v6
	v_lshrrev_b32_e32 v7, 3, v3
	v_cmp_gt_u32_e64 s0, 8, v3
	s_delay_alu instid0(VALU_DEP_3) | instskip(NEXT) | instid1(VALU_DEP_2)
	v_dual_mov_b32 v2, v9 :: v_dual_mov_b32 v3, v10
	s_and_saveexec_b32 s16, s0
; %bb.2899:                             ;   in Loop: Header=BB444_1478 Depth=1
	v_clz_i32_u32_e32 v2, v9
	s_delay_alu instid0(VALU_DEP_1) | instskip(NEXT) | instid1(VALU_DEP_1)
	v_min_u32_e32 v7, 32, v2
	v_subrev_nc_u32_e32 v2, 28, v7
	v_sub_nc_u32_e32 v7, 29, v7
	s_delay_alu instid0(VALU_DEP_2) | instskip(NEXT) | instid1(VALU_DEP_1)
	v_lshlrev_b64 v[2:3], v2, v[9:10]
	v_and_b32_e32 v2, 7, v2
; %bb.2900:                             ;   in Loop: Header=BB444_1478 Depth=1
	s_or_b32 exec_lo, exec_lo, s16
	v_lshlrev_b32_e32 v3, 24, v6
	s_delay_alu instid0(VALU_DEP_2) | instskip(SKIP_1) | instid1(VALU_DEP_3)
	v_lshlrev_b32_e32 v2, 20, v2
	v_lshl_add_u32 v6, v7, 23, 0x3c000000
	v_and_b32_e32 v3, 0x80000000, v3
	s_delay_alu instid0(VALU_DEP_1)
	v_or3_b32 v2, v2, v3, v6
.LBB444_2901:                           ;   in Loop: Header=BB444_1478 Depth=1
	s_or_b32 exec_lo, exec_lo, s15
.LBB444_2902:                           ;   in Loop: Header=BB444_1478 Depth=1
	s_delay_alu instid0(SALU_CYCLE_1)
	s_or_b32 exec_lo, exec_lo, s13
.LBB444_2903:                           ;   in Loop: Header=BB444_1478 Depth=1
	s_delay_alu instid0(SALU_CYCLE_1) | instskip(NEXT) | instid1(VALU_DEP_1)
	s_or_b32 exec_lo, exec_lo, s12
	v_mul_f32_e32 v3, v8, v2
	s_delay_alu instid0(VALU_DEP_1) | instskip(NEXT) | instid1(VALU_DEP_1)
	v_and_b32_e32 v2, 0x7f800000, v3
	v_cmp_ne_u32_e64 s0, 0x7f800000, v2
                                        ; implicit-def: $vgpr2
	s_delay_alu instid0(VALU_DEP_1) | instskip(NEXT) | instid1(SALU_CYCLE_1)
	s_and_saveexec_b32 s12, s0
	s_xor_b32 s0, exec_lo, s12
; %bb.2904:                             ;   in Loop: Header=BB444_1478 Depth=1
	v_bfe_u32 v2, v3, 16, 1
	s_delay_alu instid0(VALU_DEP_1)
	v_add3_u32 v2, v3, v2, 0x7fff
                                        ; implicit-def: $vgpr3
; %bb.2905:                             ;   in Loop: Header=BB444_1478 Depth=1
	s_and_not1_saveexec_b32 s12, s0
; %bb.2906:                             ;   in Loop: Header=BB444_1478 Depth=1
	v_and_b32_e32 v2, 0xffff, v3
	v_or_b32_e32 v6, 0x10000, v3
	s_delay_alu instid0(VALU_DEP_2) | instskip(NEXT) | instid1(VALU_DEP_1)
	v_cmp_eq_u32_e64 s0, 0, v2
	v_cndmask_b32_e64 v2, v6, v3, s0
; %bb.2907:                             ;   in Loop: Header=BB444_1478 Depth=1
	s_or_b32 exec_lo, exec_lo, s12
	v_lshrrev_b32_e32 v6, 16, v109
	v_lshrrev_b32_e32 v7, 16, v108
	;; [unrolled: 1-line block ×8, first 2 shown]
	s_and_saveexec_b32 s12, vcc_lo
	s_cbranch_execz .LBB444_2909
; %bb.2908:                             ;   in Loop: Header=BB444_1478 Depth=1
	v_cmp_lt_i32_e64 s0, v85, v38
	s_delay_alu instid0(VALU_DEP_1) | instskip(SKIP_1) | instid1(VALU_DEP_1)
	v_cndmask_b32_e64 v104, 0, v104, s0
	v_cmp_lt_i32_e64 s0, v100, v38
	v_cndmask_b32_e64 v105, 0, v105, s0
	v_cmp_lt_i32_e64 s0, v99, v38
	s_delay_alu instid0(VALU_DEP_1) | instskip(SKIP_1) | instid1(VALU_DEP_1)
	v_cndmask_b32_e64 v106, 0, v106, s0
	v_cmp_lt_i32_e64 s0, v98, v38
	v_cndmask_b32_e64 v9, 0, v9, s0
	;; [unrolled: 5-line block ×4, first 2 shown]
.LBB444_2909:                           ;   in Loop: Header=BB444_1478 Depth=1
	s_or_b32 exec_lo, exec_lo, s12
	v_lshlrev_b32_e32 v104, 16, v104
	s_delay_alu instid0(VALU_DEP_1) | instskip(NEXT) | instid1(VALU_DEP_1)
	v_mul_f32_e32 v107, v101, v104
	v_and_b32_e32 v104, 0x7f800000, v107
	s_delay_alu instid0(VALU_DEP_1) | instskip(NEXT) | instid1(VALU_DEP_1)
	v_cmp_ne_u32_e64 s0, 0x7f800000, v104
                                        ; implicit-def: $vgpr104
	s_and_saveexec_b32 s12, s0
	s_delay_alu instid0(SALU_CYCLE_1)
	s_xor_b32 s0, exec_lo, s12
; %bb.2910:                             ;   in Loop: Header=BB444_1478 Depth=1
	v_bfe_u32 v104, v107, 16, 1
	s_delay_alu instid0(VALU_DEP_1)
	v_add3_u32 v104, v107, v104, 0x7fff
                                        ; implicit-def: $vgpr107
; %bb.2911:                             ;   in Loop: Header=BB444_1478 Depth=1
	s_and_not1_saveexec_b32 s12, s0
; %bb.2912:                             ;   in Loop: Header=BB444_1478 Depth=1
	v_and_b32_e32 v104, 0xffff, v107
	v_or_b32_e32 v108, 0x10000, v107
	s_delay_alu instid0(VALU_DEP_2) | instskip(NEXT) | instid1(VALU_DEP_1)
	v_cmp_eq_u32_e64 s0, 0, v104
	v_cndmask_b32_e64 v104, v108, v107, s0
; %bb.2913:                             ;   in Loop: Header=BB444_1478 Depth=1
	s_or_b32 exec_lo, exec_lo, s12
	v_lshlrev_b32_e32 v105, 16, v105
	s_delay_alu instid0(VALU_DEP_1) | instskip(NEXT) | instid1(VALU_DEP_1)
	v_mul_f32_e32 v107, v102, v105
	v_and_b32_e32 v105, 0x7f800000, v107
	s_delay_alu instid0(VALU_DEP_1) | instskip(NEXT) | instid1(VALU_DEP_1)
	v_cmp_ne_u32_e64 s0, 0x7f800000, v105
                                        ; implicit-def: $vgpr105
	s_and_saveexec_b32 s12, s0
	s_delay_alu instid0(SALU_CYCLE_1)
	s_xor_b32 s0, exec_lo, s12
; %bb.2914:                             ;   in Loop: Header=BB444_1478 Depth=1
	v_bfe_u32 v105, v107, 16, 1
	s_delay_alu instid0(VALU_DEP_1)
	v_add3_u32 v105, v107, v105, 0x7fff
                                        ; implicit-def: $vgpr107
; %bb.2915:                             ;   in Loop: Header=BB444_1478 Depth=1
	s_and_not1_saveexec_b32 s12, s0
; %bb.2916:                             ;   in Loop: Header=BB444_1478 Depth=1
	v_and_b32_e32 v105, 0xffff, v107
	v_or_b32_e32 v108, 0x10000, v107
	s_delay_alu instid0(VALU_DEP_2) | instskip(NEXT) | instid1(VALU_DEP_1)
	v_cmp_eq_u32_e64 s0, 0, v105
	v_cndmask_b32_e64 v105, v108, v107, s0
; %bb.2917:                             ;   in Loop: Header=BB444_1478 Depth=1
	s_or_b32 exec_lo, exec_lo, s12
	v_lshlrev_b32_e32 v106, 16, v106
	s_delay_alu instid0(VALU_DEP_1) | instskip(NEXT) | instid1(VALU_DEP_1)
	v_mul_f32_e32 v107, v103, v106
	v_and_b32_e32 v106, 0x7f800000, v107
	s_delay_alu instid0(VALU_DEP_1) | instskip(NEXT) | instid1(VALU_DEP_1)
	v_cmp_ne_u32_e64 s0, 0x7f800000, v106
                                        ; implicit-def: $vgpr106
	s_and_saveexec_b32 s12, s0
	s_delay_alu instid0(SALU_CYCLE_1)
	s_xor_b32 s0, exec_lo, s12
; %bb.2918:                             ;   in Loop: Header=BB444_1478 Depth=1
	v_bfe_u32 v106, v107, 16, 1
	s_delay_alu instid0(VALU_DEP_1)
	v_add3_u32 v106, v107, v106, 0x7fff
                                        ; implicit-def: $vgpr107
; %bb.2919:                             ;   in Loop: Header=BB444_1478 Depth=1
	s_and_not1_saveexec_b32 s12, s0
; %bb.2920:                             ;   in Loop: Header=BB444_1478 Depth=1
	v_and_b32_e32 v106, 0xffff, v107
	v_or_b32_e32 v108, 0x10000, v107
	s_delay_alu instid0(VALU_DEP_2) | instskip(NEXT) | instid1(VALU_DEP_1)
	v_cmp_eq_u32_e64 s0, 0, v106
	v_cndmask_b32_e64 v106, v108, v107, s0
; %bb.2921:                             ;   in Loop: Header=BB444_1478 Depth=1
	s_or_b32 exec_lo, exec_lo, s12
	v_lshlrev_b32_e32 v9, 16, v9
	s_delay_alu instid0(VALU_DEP_1) | instskip(NEXT) | instid1(VALU_DEP_1)
	v_mul_f32_e32 v9, v112, v9
	v_and_b32_e32 v107, 0x7f800000, v9
	s_delay_alu instid0(VALU_DEP_1) | instskip(NEXT) | instid1(VALU_DEP_1)
	v_cmp_ne_u32_e64 s0, 0x7f800000, v107
                                        ; implicit-def: $vgpr107
	s_and_saveexec_b32 s12, s0
	s_delay_alu instid0(SALU_CYCLE_1)
	s_xor_b32 s0, exec_lo, s12
; %bb.2922:                             ;   in Loop: Header=BB444_1478 Depth=1
	v_bfe_u32 v107, v9, 16, 1
	s_delay_alu instid0(VALU_DEP_1)
	v_add3_u32 v107, v9, v107, 0x7fff
                                        ; implicit-def: $vgpr9
; %bb.2923:                             ;   in Loop: Header=BB444_1478 Depth=1
	s_and_not1_saveexec_b32 s12, s0
; %bb.2924:                             ;   in Loop: Header=BB444_1478 Depth=1
	v_and_b32_e32 v107, 0xffff, v9
	v_or_b32_e32 v108, 0x10000, v9
	s_delay_alu instid0(VALU_DEP_2) | instskip(NEXT) | instid1(VALU_DEP_1)
	v_cmp_eq_u32_e64 s0, 0, v107
	v_cndmask_b32_e64 v107, v108, v9, s0
; %bb.2925:                             ;   in Loop: Header=BB444_1478 Depth=1
	s_or_b32 exec_lo, exec_lo, s12
	v_lshlrev_b32_e32 v7, 16, v7
                                        ; implicit-def: $vgpr108
	s_delay_alu instid0(VALU_DEP_1) | instskip(NEXT) | instid1(VALU_DEP_1)
	v_mul_f32_e32 v7, v113, v7
	v_and_b32_e32 v9, 0x7f800000, v7
	s_delay_alu instid0(VALU_DEP_1) | instskip(NEXT) | instid1(VALU_DEP_1)
	v_cmp_ne_u32_e64 s0, 0x7f800000, v9
	s_and_saveexec_b32 s12, s0
	s_delay_alu instid0(SALU_CYCLE_1)
	s_xor_b32 s0, exec_lo, s12
; %bb.2926:                             ;   in Loop: Header=BB444_1478 Depth=1
	v_bfe_u32 v9, v7, 16, 1
	s_delay_alu instid0(VALU_DEP_1)
	v_add3_u32 v108, v7, v9, 0x7fff
                                        ; implicit-def: $vgpr7
; %bb.2927:                             ;   in Loop: Header=BB444_1478 Depth=1
	s_and_not1_saveexec_b32 s12, s0
; %bb.2928:                             ;   in Loop: Header=BB444_1478 Depth=1
	v_and_b32_e32 v9, 0xffff, v7
	v_or_b32_e32 v108, 0x10000, v7
	s_delay_alu instid0(VALU_DEP_2) | instskip(NEXT) | instid1(VALU_DEP_1)
	v_cmp_eq_u32_e64 s0, 0, v9
	v_cndmask_b32_e64 v108, v108, v7, s0
; %bb.2929:                             ;   in Loop: Header=BB444_1478 Depth=1
	s_or_b32 exec_lo, exec_lo, s12
	v_lshlrev_b32_e32 v6, 16, v6
                                        ; implicit-def: $vgpr109
	s_delay_alu instid0(VALU_DEP_1) | instskip(NEXT) | instid1(VALU_DEP_1)
	v_mul_f32_e32 v6, v114, v6
	v_and_b32_e32 v7, 0x7f800000, v6
	s_delay_alu instid0(VALU_DEP_1) | instskip(NEXT) | instid1(VALU_DEP_1)
	v_cmp_ne_u32_e64 s0, 0x7f800000, v7
	s_and_saveexec_b32 s12, s0
	s_delay_alu instid0(SALU_CYCLE_1)
	s_xor_b32 s0, exec_lo, s12
; %bb.2930:                             ;   in Loop: Header=BB444_1478 Depth=1
	v_bfe_u32 v7, v6, 16, 1
	s_delay_alu instid0(VALU_DEP_1)
	v_add3_u32 v109, v6, v7, 0x7fff
                                        ; implicit-def: $vgpr6
; %bb.2931:                             ;   in Loop: Header=BB444_1478 Depth=1
	s_and_not1_saveexec_b32 s12, s0
; %bb.2932:                             ;   in Loop: Header=BB444_1478 Depth=1
	v_and_b32_e32 v7, 0xffff, v6
	v_or_b32_e32 v9, 0x10000, v6
	s_delay_alu instid0(VALU_DEP_2) | instskip(NEXT) | instid1(VALU_DEP_1)
	v_cmp_eq_u32_e64 s0, 0, v7
	v_cndmask_b32_e64 v109, v9, v6, s0
; %bb.2933:                             ;   in Loop: Header=BB444_1478 Depth=1
	s_or_b32 exec_lo, exec_lo, s12
	v_lshlrev_b32_e32 v3, 16, v3
                                        ; implicit-def: $vgpr110
	s_delay_alu instid0(VALU_DEP_1) | instskip(NEXT) | instid1(VALU_DEP_1)
	v_mul_f32_e32 v3, v115, v3
	v_and_b32_e32 v6, 0x7f800000, v3
	s_delay_alu instid0(VALU_DEP_1) | instskip(NEXT) | instid1(VALU_DEP_1)
	v_cmp_ne_u32_e64 s0, 0x7f800000, v6
	s_and_saveexec_b32 s12, s0
	s_delay_alu instid0(SALU_CYCLE_1)
	s_xor_b32 s0, exec_lo, s12
; %bb.2934:                             ;   in Loop: Header=BB444_1478 Depth=1
	v_bfe_u32 v6, v3, 16, 1
	s_delay_alu instid0(VALU_DEP_1)
	v_add3_u32 v110, v3, v6, 0x7fff
                                        ; implicit-def: $vgpr3
; %bb.2935:                             ;   in Loop: Header=BB444_1478 Depth=1
	s_and_not1_saveexec_b32 s12, s0
; %bb.2936:                             ;   in Loop: Header=BB444_1478 Depth=1
	v_and_b32_e32 v6, 0xffff, v3
	v_or_b32_e32 v7, 0x10000, v3
	s_delay_alu instid0(VALU_DEP_2) | instskip(NEXT) | instid1(VALU_DEP_1)
	v_cmp_eq_u32_e64 s0, 0, v6
	v_cndmask_b32_e64 v110, v7, v3, s0
; %bb.2937:                             ;   in Loop: Header=BB444_1478 Depth=1
	s_or_b32 exec_lo, exec_lo, s12
	v_lshlrev_b32_e32 v2, 16, v2
                                        ; implicit-def: $vgpr111
	s_delay_alu instid0(VALU_DEP_1) | instskip(NEXT) | instid1(VALU_DEP_1)
	v_mul_f32_e32 v2, v116, v2
	v_and_b32_e32 v3, 0x7f800000, v2
	s_delay_alu instid0(VALU_DEP_1) | instskip(NEXT) | instid1(VALU_DEP_1)
	v_cmp_ne_u32_e64 s0, 0x7f800000, v3
	s_and_saveexec_b32 s12, s0
	s_delay_alu instid0(SALU_CYCLE_1)
	s_xor_b32 s0, exec_lo, s12
; %bb.2938:                             ;   in Loop: Header=BB444_1478 Depth=1
	v_bfe_u32 v3, v2, 16, 1
	s_delay_alu instid0(VALU_DEP_1)
	v_add3_u32 v111, v2, v3, 0x7fff
                                        ; implicit-def: $vgpr2
; %bb.2939:                             ;   in Loop: Header=BB444_1478 Depth=1
	s_and_not1_saveexec_b32 s12, s0
; %bb.2940:                             ;   in Loop: Header=BB444_1478 Depth=1
	v_and_b32_e32 v3, 0xffff, v2
	v_or_b32_e32 v6, 0x10000, v2
	s_delay_alu instid0(VALU_DEP_2) | instskip(NEXT) | instid1(VALU_DEP_1)
	v_cmp_eq_u32_e64 s0, 0, v3
	v_cndmask_b32_e64 v111, v6, v2, s0
; %bb.2941:                             ;   in Loop: Header=BB444_1478 Depth=1
	s_or_b32 exec_lo, exec_lo, s12
	flat_load_b64 v[2:3], v[0:1] offset:2816
	s_mov_b32 s12, exec_lo
	s_waitcnt vmcnt(0) lgkmcnt(0)
	v_dual_mov_b32 v6, 0 :: v_dual_and_b32 v7, 0xff, v2
	s_delay_alu instid0(VALU_DEP_1)
	v_cmpx_ne_u16_e32 0, v7
	s_cbranch_execz .LBB444_2949
; %bb.2942:                             ;   in Loop: Header=BB444_1478 Depth=1
	v_bfrev_b32_e32 v6, 1
	s_mov_b32 s13, exec_lo
	v_cmpx_ne_u16_e32 0x80, v7
	s_cbranch_execz .LBB444_2948
; %bb.2943:                             ;   in Loop: Header=BB444_1478 Depth=1
	v_and_b32_e32 v7, 0x7f, v2
	v_mov_b32_e32 v6, 0x7f800001
	s_mov_b32 s15, exec_lo
	s_delay_alu instid0(VALU_DEP_2)
	v_cmpx_ne_u32_e32 0x7f, v7
	s_cbranch_execz .LBB444_2947
; %bb.2944:                             ;   in Loop: Header=BB444_1478 Depth=1
	v_lshrrev_b32_e32 v9, 3, v7
	v_cmp_gt_u32_e64 s0, 8, v7
	v_dual_mov_b32 v7, v3 :: v_dual_mov_b32 v6, v2
	s_delay_alu instid0(VALU_DEP_2)
	s_and_saveexec_b32 s16, s0
; %bb.2945:                             ;   in Loop: Header=BB444_1478 Depth=1
	v_and_b32_e32 v6, 7, v2
	s_delay_alu instid0(VALU_DEP_1) | instskip(NEXT) | instid1(VALU_DEP_1)
	v_clz_i32_u32_e32 v6, v6
	v_min_u32_e32 v9, 32, v6
	s_delay_alu instid0(VALU_DEP_1) | instskip(SKIP_1) | instid1(VALU_DEP_2)
	v_subrev_nc_u32_e32 v6, 28, v9
	v_sub_nc_u32_e32 v9, 29, v9
	v_lshlrev_b64 v[6:7], v6, v[2:3]
; %bb.2946:                             ;   in Loop: Header=BB444_1478 Depth=1
	s_or_b32 exec_lo, exec_lo, s16
	s_delay_alu instid0(VALU_DEP_1) | instskip(SKIP_2) | instid1(VALU_DEP_3)
	v_lshlrev_b32_e32 v6, 20, v6
	v_lshlrev_b32_e32 v7, 24, v2
	v_lshl_add_u32 v9, v9, 23, 0x3c000000
	v_and_b32_e32 v6, 0x700000, v6
	s_delay_alu instid0(VALU_DEP_3) | instskip(NEXT) | instid1(VALU_DEP_1)
	v_and_b32_e32 v7, 0x80000000, v7
	v_or3_b32 v6, v6, v7, v9
.LBB444_2947:                           ;   in Loop: Header=BB444_1478 Depth=1
	s_or_b32 exec_lo, exec_lo, s15
.LBB444_2948:                           ;   in Loop: Header=BB444_1478 Depth=1
	s_delay_alu instid0(SALU_CYCLE_1)
	s_or_b32 exec_lo, exec_lo, s13
.LBB444_2949:                           ;   in Loop: Header=BB444_1478 Depth=1
	s_delay_alu instid0(SALU_CYCLE_1) | instskip(NEXT) | instid1(VALU_DEP_1)
	s_or_b32 exec_lo, exec_lo, s12
	v_mul_f32_e32 v6, v8, v6
                                        ; implicit-def: $vgpr120
	s_delay_alu instid0(VALU_DEP_1) | instskip(NEXT) | instid1(VALU_DEP_1)
	v_and_b32_e32 v7, 0x7f800000, v6
	v_cmp_ne_u32_e64 s0, 0x7f800000, v7
	s_delay_alu instid0(VALU_DEP_1) | instskip(NEXT) | instid1(SALU_CYCLE_1)
	s_and_saveexec_b32 s12, s0
	s_xor_b32 s0, exec_lo, s12
; %bb.2950:                             ;   in Loop: Header=BB444_1478 Depth=1
	v_bfe_u32 v7, v6, 16, 1
	s_delay_alu instid0(VALU_DEP_1)
	v_add3_u32 v120, v6, v7, 0x7fff
                                        ; implicit-def: $vgpr6
; %bb.2951:                             ;   in Loop: Header=BB444_1478 Depth=1
	s_and_not1_saveexec_b32 s12, s0
; %bb.2952:                             ;   in Loop: Header=BB444_1478 Depth=1
	v_and_b32_e32 v7, 0xffff, v6
	v_or_b32_e32 v9, 0x10000, v6
	s_delay_alu instid0(VALU_DEP_2) | instskip(NEXT) | instid1(VALU_DEP_1)
	v_cmp_eq_u32_e64 s0, 0, v7
	v_cndmask_b32_e64 v120, v9, v6, s0
; %bb.2953:                             ;   in Loop: Header=BB444_1478 Depth=1
	s_or_b32 exec_lo, exec_lo, s12
	v_lshrrev_b16 v7, 8, v2
	v_mov_b32_e32 v6, 0
	s_mov_b32 s12, exec_lo
	s_delay_alu instid0(VALU_DEP_2)
	v_cmpx_ne_u16_e32 0, v7
	s_cbranch_execz .LBB444_2961
; %bb.2954:                             ;   in Loop: Header=BB444_1478 Depth=1
	v_bfrev_b32_e32 v6, 1
	s_mov_b32 s13, exec_lo
	v_cmpx_ne_u16_e32 0x80, v7
	s_cbranch_execz .LBB444_2960
; %bb.2955:                             ;   in Loop: Header=BB444_1478 Depth=1
	v_and_b32_e32 v9, 0xffff, v7
	v_mov_b32_e32 v6, 0x7f800001
	s_mov_b32 s15, exec_lo
	s_delay_alu instid0(VALU_DEP_2) | instskip(NEXT) | instid1(VALU_DEP_1)
	v_and_b32_e32 v7, 0x7f, v9
	v_cmpx_ne_u32_e32 0x7f, v7
	s_cbranch_execz .LBB444_2959
; %bb.2956:                             ;   in Loop: Header=BB444_1478 Depth=1
	v_and_b32_e32 v9, 7, v9
	v_lshrrev_b32_e32 v121, 3, v7
	v_cmp_gt_u32_e64 s0, 8, v7
	s_delay_alu instid0(VALU_DEP_3) | instskip(NEXT) | instid1(VALU_DEP_2)
	v_dual_mov_b32 v6, v9 :: v_dual_mov_b32 v7, v10
	s_and_saveexec_b32 s16, s0
; %bb.2957:                             ;   in Loop: Header=BB444_1478 Depth=1
	v_clz_i32_u32_e32 v6, v9
	s_delay_alu instid0(VALU_DEP_1) | instskip(NEXT) | instid1(VALU_DEP_1)
	v_min_u32_e32 v121, 32, v6
	v_subrev_nc_u32_e32 v6, 28, v121
	v_sub_nc_u32_e32 v121, 29, v121
	s_delay_alu instid0(VALU_DEP_2) | instskip(NEXT) | instid1(VALU_DEP_1)
	v_lshlrev_b64 v[6:7], v6, v[9:10]
	v_and_b32_e32 v6, 7, v6
; %bb.2958:                             ;   in Loop: Header=BB444_1478 Depth=1
	s_or_b32 exec_lo, exec_lo, s16
	v_lshlrev_b32_e32 v7, 16, v2
	s_delay_alu instid0(VALU_DEP_2) | instskip(SKIP_1) | instid1(VALU_DEP_3)
	v_lshlrev_b32_e32 v6, 20, v6
	v_lshl_add_u32 v9, v121, 23, 0x3c000000
	v_and_b32_e32 v7, 0x80000000, v7
	s_delay_alu instid0(VALU_DEP_1)
	v_or3_b32 v6, v6, v7, v9
.LBB444_2959:                           ;   in Loop: Header=BB444_1478 Depth=1
	s_or_b32 exec_lo, exec_lo, s15
.LBB444_2960:                           ;   in Loop: Header=BB444_1478 Depth=1
	s_delay_alu instid0(SALU_CYCLE_1)
	s_or_b32 exec_lo, exec_lo, s13
.LBB444_2961:                           ;   in Loop: Header=BB444_1478 Depth=1
	s_delay_alu instid0(SALU_CYCLE_1) | instskip(NEXT) | instid1(VALU_DEP_1)
	s_or_b32 exec_lo, exec_lo, s12
	v_mul_f32_e32 v6, v8, v6
                                        ; implicit-def: $vgpr121
	s_delay_alu instid0(VALU_DEP_1) | instskip(NEXT) | instid1(VALU_DEP_1)
	v_and_b32_e32 v7, 0x7f800000, v6
	v_cmp_ne_u32_e64 s0, 0x7f800000, v7
	s_delay_alu instid0(VALU_DEP_1) | instskip(NEXT) | instid1(SALU_CYCLE_1)
	s_and_saveexec_b32 s12, s0
	s_xor_b32 s0, exec_lo, s12
; %bb.2962:                             ;   in Loop: Header=BB444_1478 Depth=1
	v_bfe_u32 v7, v6, 16, 1
	s_delay_alu instid0(VALU_DEP_1)
	v_add3_u32 v121, v6, v7, 0x7fff
                                        ; implicit-def: $vgpr6
; %bb.2963:                             ;   in Loop: Header=BB444_1478 Depth=1
	s_and_not1_saveexec_b32 s12, s0
; %bb.2964:                             ;   in Loop: Header=BB444_1478 Depth=1
	v_and_b32_e32 v7, 0xffff, v6
	v_or_b32_e32 v9, 0x10000, v6
	s_delay_alu instid0(VALU_DEP_2) | instskip(NEXT) | instid1(VALU_DEP_1)
	v_cmp_eq_u32_e64 s0, 0, v7
	v_cndmask_b32_e64 v121, v9, v6, s0
; %bb.2965:                             ;   in Loop: Header=BB444_1478 Depth=1
	s_or_b32 exec_lo, exec_lo, s12
	v_lshrrev_b32_e32 v122, 16, v2
	s_mov_b32 s12, exec_lo
	s_delay_alu instid0(VALU_DEP_1) | instskip(NEXT) | instid1(VALU_DEP_1)
	v_dual_mov_b32 v6, 0 :: v_dual_and_b32 v7, 0xff, v122
	v_cmpx_ne_u16_e32 0, v7
	s_cbranch_execz .LBB444_2973
; %bb.2966:                             ;   in Loop: Header=BB444_1478 Depth=1
	v_bfrev_b32_e32 v6, 1
	s_mov_b32 s13, exec_lo
	v_cmpx_ne_u16_e32 0x80, v7
	s_cbranch_execz .LBB444_2972
; %bb.2967:                             ;   in Loop: Header=BB444_1478 Depth=1
	v_bfe_u32 v7, v2, 16, 7
	v_mov_b32_e32 v6, 0x7f800001
	s_mov_b32 s15, exec_lo
	s_delay_alu instid0(VALU_DEP_2)
	v_cmpx_ne_u32_e32 0x7f, v7
	s_cbranch_execz .LBB444_2971
; %bb.2968:                             ;   in Loop: Header=BB444_1478 Depth=1
	v_and_b32_e32 v9, 7, v122
	v_lshrrev_b32_e32 v123, 3, v7
	v_cmp_gt_u32_e64 s0, 8, v7
	s_delay_alu instid0(VALU_DEP_3) | instskip(NEXT) | instid1(VALU_DEP_2)
	v_dual_mov_b32 v6, v9 :: v_dual_mov_b32 v7, v10
	s_and_saveexec_b32 s16, s0
; %bb.2969:                             ;   in Loop: Header=BB444_1478 Depth=1
	v_clz_i32_u32_e32 v6, v9
	s_delay_alu instid0(VALU_DEP_1) | instskip(NEXT) | instid1(VALU_DEP_1)
	v_min_u32_e32 v123, 32, v6
	v_subrev_nc_u32_e32 v6, 28, v123
	v_sub_nc_u32_e32 v123, 29, v123
	s_delay_alu instid0(VALU_DEP_2) | instskip(NEXT) | instid1(VALU_DEP_1)
	v_lshlrev_b64 v[6:7], v6, v[9:10]
	v_and_b32_e32 v6, 7, v6
; %bb.2970:                             ;   in Loop: Header=BB444_1478 Depth=1
	s_or_b32 exec_lo, exec_lo, s16
	v_lshlrev_b32_e32 v7, 24, v122
	s_delay_alu instid0(VALU_DEP_2) | instskip(SKIP_1) | instid1(VALU_DEP_3)
	v_lshlrev_b32_e32 v6, 20, v6
	v_lshl_add_u32 v9, v123, 23, 0x3c000000
	v_and_b32_e32 v7, 0x80000000, v7
	s_delay_alu instid0(VALU_DEP_1)
	v_or3_b32 v6, v6, v7, v9
.LBB444_2971:                           ;   in Loop: Header=BB444_1478 Depth=1
	s_or_b32 exec_lo, exec_lo, s15
.LBB444_2972:                           ;   in Loop: Header=BB444_1478 Depth=1
	s_delay_alu instid0(SALU_CYCLE_1)
	s_or_b32 exec_lo, exec_lo, s13
.LBB444_2973:                           ;   in Loop: Header=BB444_1478 Depth=1
	s_delay_alu instid0(SALU_CYCLE_1) | instskip(NEXT) | instid1(VALU_DEP_1)
	s_or_b32 exec_lo, exec_lo, s12
	v_mul_f32_e32 v6, v8, v6
                                        ; implicit-def: $vgpr122
	s_delay_alu instid0(VALU_DEP_1) | instskip(NEXT) | instid1(VALU_DEP_1)
	v_and_b32_e32 v7, 0x7f800000, v6
	v_cmp_ne_u32_e64 s0, 0x7f800000, v7
	s_delay_alu instid0(VALU_DEP_1) | instskip(NEXT) | instid1(SALU_CYCLE_1)
	s_and_saveexec_b32 s12, s0
	s_xor_b32 s0, exec_lo, s12
; %bb.2974:                             ;   in Loop: Header=BB444_1478 Depth=1
	v_bfe_u32 v7, v6, 16, 1
	s_delay_alu instid0(VALU_DEP_1)
	v_add3_u32 v122, v6, v7, 0x7fff
                                        ; implicit-def: $vgpr6
; %bb.2975:                             ;   in Loop: Header=BB444_1478 Depth=1
	s_and_not1_saveexec_b32 s12, s0
; %bb.2976:                             ;   in Loop: Header=BB444_1478 Depth=1
	v_and_b32_e32 v7, 0xffff, v6
	v_or_b32_e32 v9, 0x10000, v6
	s_delay_alu instid0(VALU_DEP_2) | instskip(NEXT) | instid1(VALU_DEP_1)
	v_cmp_eq_u32_e64 s0, 0, v7
	v_cndmask_b32_e64 v122, v9, v6, s0
; %bb.2977:                             ;   in Loop: Header=BB444_1478 Depth=1
	s_or_b32 exec_lo, exec_lo, s12
	v_mov_b32_e32 v6, 0
	s_mov_b32 s12, exec_lo
	v_cmpx_lt_u32_e32 0xffffff, v2
	s_cbranch_execz .LBB444_2985
; %bb.2978:                             ;   in Loop: Header=BB444_1478 Depth=1
	v_lshrrev_b32_e32 v123, 24, v2
	v_bfrev_b32_e32 v6, 1
	s_mov_b32 s13, exec_lo
	s_delay_alu instid0(VALU_DEP_2)
	v_cmpx_ne_u32_e32 0x80, v123
	s_cbranch_execz .LBB444_2984
; %bb.2979:                             ;   in Loop: Header=BB444_1478 Depth=1
	v_bfe_u32 v7, v2, 24, 7
	v_mov_b32_e32 v6, 0x7f800001
	s_mov_b32 s15, exec_lo
	s_delay_alu instid0(VALU_DEP_2)
	v_cmpx_ne_u32_e32 0x7f, v7
	s_cbranch_execz .LBB444_2983
; %bb.2980:                             ;   in Loop: Header=BB444_1478 Depth=1
	v_and_b32_e32 v9, 7, v123
	v_lshrrev_b32_e32 v124, 3, v7
	v_cmp_gt_u32_e64 s0, 8, v7
	s_delay_alu instid0(VALU_DEP_3) | instskip(NEXT) | instid1(VALU_DEP_2)
	v_dual_mov_b32 v6, v9 :: v_dual_mov_b32 v7, v10
	s_and_saveexec_b32 s16, s0
; %bb.2981:                             ;   in Loop: Header=BB444_1478 Depth=1
	v_clz_i32_u32_e32 v6, v9
	s_delay_alu instid0(VALU_DEP_1) | instskip(NEXT) | instid1(VALU_DEP_1)
	v_min_u32_e32 v124, 32, v6
	v_subrev_nc_u32_e32 v6, 28, v124
	v_sub_nc_u32_e32 v124, 29, v124
	s_delay_alu instid0(VALU_DEP_2) | instskip(NEXT) | instid1(VALU_DEP_1)
	v_lshlrev_b64 v[6:7], v6, v[9:10]
	v_and_b32_e32 v6, 7, v6
; %bb.2982:                             ;   in Loop: Header=BB444_1478 Depth=1
	s_or_b32 exec_lo, exec_lo, s16
	v_lshlrev_b32_e32 v7, 24, v123
	s_delay_alu instid0(VALU_DEP_2) | instskip(SKIP_1) | instid1(VALU_DEP_3)
	v_lshlrev_b32_e32 v6, 20, v6
	v_lshl_add_u32 v9, v124, 23, 0x3c000000
	v_and_b32_e32 v7, 0x80000000, v7
	s_delay_alu instid0(VALU_DEP_1)
	v_or3_b32 v6, v6, v7, v9
.LBB444_2983:                           ;   in Loop: Header=BB444_1478 Depth=1
	s_or_b32 exec_lo, exec_lo, s15
.LBB444_2984:                           ;   in Loop: Header=BB444_1478 Depth=1
	s_delay_alu instid0(SALU_CYCLE_1)
	s_or_b32 exec_lo, exec_lo, s13
.LBB444_2985:                           ;   in Loop: Header=BB444_1478 Depth=1
	s_delay_alu instid0(SALU_CYCLE_1) | instskip(NEXT) | instid1(VALU_DEP_1)
	s_or_b32 exec_lo, exec_lo, s12
	v_mul_f32_e32 v6, v8, v6
                                        ; implicit-def: $vgpr123
	s_delay_alu instid0(VALU_DEP_1) | instskip(NEXT) | instid1(VALU_DEP_1)
	v_and_b32_e32 v7, 0x7f800000, v6
	v_cmp_ne_u32_e64 s0, 0x7f800000, v7
	s_delay_alu instid0(VALU_DEP_1) | instskip(NEXT) | instid1(SALU_CYCLE_1)
	s_and_saveexec_b32 s12, s0
	s_xor_b32 s0, exec_lo, s12
; %bb.2986:                             ;   in Loop: Header=BB444_1478 Depth=1
	v_bfe_u32 v7, v6, 16, 1
	s_delay_alu instid0(VALU_DEP_1)
	v_add3_u32 v123, v6, v7, 0x7fff
                                        ; implicit-def: $vgpr6
; %bb.2987:                             ;   in Loop: Header=BB444_1478 Depth=1
	s_and_not1_saveexec_b32 s12, s0
; %bb.2988:                             ;   in Loop: Header=BB444_1478 Depth=1
	v_and_b32_e32 v7, 0xffff, v6
	v_or_b32_e32 v9, 0x10000, v6
	s_delay_alu instid0(VALU_DEP_2) | instskip(NEXT) | instid1(VALU_DEP_1)
	v_cmp_eq_u32_e64 s0, 0, v7
	v_cndmask_b32_e64 v123, v9, v6, s0
; %bb.2989:                             ;   in Loop: Header=BB444_1478 Depth=1
	s_or_b32 exec_lo, exec_lo, s12
	v_dual_mov_b32 v6, 0 :: v_dual_and_b32 v7, 0xff, v3
	v_mov_b32_e32 v9, v3
	s_mov_b32 s12, exec_lo
	s_delay_alu instid0(VALU_DEP_2)
	v_cmpx_ne_u16_e32 0, v7
	s_cbranch_execz .LBB444_2997
; %bb.2990:                             ;   in Loop: Header=BB444_1478 Depth=1
	v_bfrev_b32_e32 v6, 1
	s_mov_b32 s13, exec_lo
	v_cmpx_ne_u16_e32 0x80, v7
	s_cbranch_execz .LBB444_2996
; %bb.2991:                             ;   in Loop: Header=BB444_1478 Depth=1
	v_and_b32_e32 v7, 0x7f, v3
	v_mov_b32_e32 v6, 0x7f800001
	s_mov_b32 s15, exec_lo
	s_delay_alu instid0(VALU_DEP_2)
	v_cmpx_ne_u32_e32 0x7f, v7
	s_cbranch_execz .LBB444_2995
; %bb.2992:                             ;   in Loop: Header=BB444_1478 Depth=1
	v_lshrrev_b32_e32 v124, 3, v7
	v_cmp_gt_u32_e64 s0, 8, v7
	v_dual_mov_b32 v6, v9 :: v_dual_mov_b32 v7, v10
	s_delay_alu instid0(VALU_DEP_2)
	s_and_saveexec_b32 s16, s0
; %bb.2993:                             ;   in Loop: Header=BB444_1478 Depth=1
	v_and_b32_e32 v6, 7, v3
	s_delay_alu instid0(VALU_DEP_1) | instskip(NEXT) | instid1(VALU_DEP_1)
	v_clz_i32_u32_e32 v6, v6
	v_min_u32_e32 v124, 32, v6
	s_delay_alu instid0(VALU_DEP_1) | instskip(SKIP_1) | instid1(VALU_DEP_2)
	v_subrev_nc_u32_e32 v6, 28, v124
	v_sub_nc_u32_e32 v124, 29, v124
	v_lshlrev_b64 v[6:7], v6, v[9:10]
; %bb.2994:                             ;   in Loop: Header=BB444_1478 Depth=1
	s_or_b32 exec_lo, exec_lo, s16
	s_delay_alu instid0(VALU_DEP_1) | instskip(SKIP_2) | instid1(VALU_DEP_3)
	v_lshlrev_b32_e32 v6, 20, v6
	v_lshlrev_b32_e32 v7, 24, v9
	v_lshl_add_u32 v124, v124, 23, 0x3c000000
	v_and_b32_e32 v6, 0x700000, v6
	s_delay_alu instid0(VALU_DEP_3) | instskip(NEXT) | instid1(VALU_DEP_1)
	v_and_b32_e32 v7, 0x80000000, v7
	v_or3_b32 v6, v6, v7, v124
.LBB444_2995:                           ;   in Loop: Header=BB444_1478 Depth=1
	s_or_b32 exec_lo, exec_lo, s15
.LBB444_2996:                           ;   in Loop: Header=BB444_1478 Depth=1
	s_delay_alu instid0(SALU_CYCLE_1)
	s_or_b32 exec_lo, exec_lo, s13
.LBB444_2997:                           ;   in Loop: Header=BB444_1478 Depth=1
	s_delay_alu instid0(SALU_CYCLE_1) | instskip(NEXT) | instid1(VALU_DEP_1)
	s_or_b32 exec_lo, exec_lo, s12
	v_mul_f32_e32 v6, v8, v6
                                        ; implicit-def: $vgpr124
	s_delay_alu instid0(VALU_DEP_1) | instskip(NEXT) | instid1(VALU_DEP_1)
	v_and_b32_e32 v7, 0x7f800000, v6
	v_cmp_ne_u32_e64 s0, 0x7f800000, v7
	s_delay_alu instid0(VALU_DEP_1) | instskip(NEXT) | instid1(SALU_CYCLE_1)
	s_and_saveexec_b32 s12, s0
	s_xor_b32 s0, exec_lo, s12
; %bb.2998:                             ;   in Loop: Header=BB444_1478 Depth=1
	v_bfe_u32 v7, v6, 16, 1
	s_delay_alu instid0(VALU_DEP_1)
	v_add3_u32 v124, v6, v7, 0x7fff
                                        ; implicit-def: $vgpr6
; %bb.2999:                             ;   in Loop: Header=BB444_1478 Depth=1
	s_and_not1_saveexec_b32 s12, s0
; %bb.3000:                             ;   in Loop: Header=BB444_1478 Depth=1
	v_and_b32_e32 v7, 0xffff, v6
	v_or_b32_e32 v124, 0x10000, v6
	s_delay_alu instid0(VALU_DEP_2) | instskip(NEXT) | instid1(VALU_DEP_1)
	v_cmp_eq_u32_e64 s0, 0, v7
	v_cndmask_b32_e64 v124, v124, v6, s0
; %bb.3001:                             ;   in Loop: Header=BB444_1478 Depth=1
	s_or_b32 exec_lo, exec_lo, s12
	v_lshrrev_b16 v7, 8, v9
	v_mov_b32_e32 v6, 0
	s_mov_b32 s12, exec_lo
	s_delay_alu instid0(VALU_DEP_2)
	v_cmpx_ne_u16_e32 0, v7
	s_cbranch_execz .LBB444_3009
; %bb.3002:                             ;   in Loop: Header=BB444_1478 Depth=1
	v_bfrev_b32_e32 v6, 1
	s_mov_b32 s13, exec_lo
	v_cmpx_ne_u16_e32 0x80, v7
	s_cbranch_execz .LBB444_3008
; %bb.3003:                             ;   in Loop: Header=BB444_1478 Depth=1
	v_and_b32_e32 v7, 0xffff, v7
	v_mov_b32_e32 v6, 0x7f800001
	s_mov_b32 s15, exec_lo
	s_delay_alu instid0(VALU_DEP_2) | instskip(NEXT) | instid1(VALU_DEP_1)
	v_and_b32_e32 v126, 0x7f, v7
	v_cmpx_ne_u32_e32 0x7f, v126
	s_cbranch_execz .LBB444_3007
; %bb.3004:                             ;   in Loop: Header=BB444_1478 Depth=1
	v_dual_mov_b32 v7, v10 :: v_dual_and_b32 v6, 7, v7
	v_lshrrev_b32_e32 v125, 3, v126
	s_mov_b32 s16, exec_lo
	v_cmpx_gt_u32_e32 8, v126
; %bb.3005:                             ;   in Loop: Header=BB444_1478 Depth=1
	s_delay_alu instid0(VALU_DEP_3) | instskip(NEXT) | instid1(VALU_DEP_1)
	v_clz_i32_u32_e32 v125, v6
	v_min_u32_e32 v125, 32, v125
	s_delay_alu instid0(VALU_DEP_1) | instskip(SKIP_1) | instid1(VALU_DEP_2)
	v_subrev_nc_u32_e32 v126, 28, v125
	v_sub_nc_u32_e32 v125, 29, v125
	v_lshlrev_b64 v[6:7], v126, v[6:7]
	s_delay_alu instid0(VALU_DEP_1)
	v_and_b32_e32 v6, 7, v6
; %bb.3006:                             ;   in Loop: Header=BB444_1478 Depth=1
	s_or_b32 exec_lo, exec_lo, s16
	v_lshlrev_b32_e32 v7, 16, v9
	s_delay_alu instid0(VALU_DEP_2) | instskip(SKIP_1) | instid1(VALU_DEP_3)
	v_lshlrev_b32_e32 v6, 20, v6
	v_lshl_add_u32 v9, v125, 23, 0x3c000000
	v_and_b32_e32 v7, 0x80000000, v7
	s_delay_alu instid0(VALU_DEP_1)
	v_or3_b32 v6, v6, v7, v9
.LBB444_3007:                           ;   in Loop: Header=BB444_1478 Depth=1
	s_or_b32 exec_lo, exec_lo, s15
.LBB444_3008:                           ;   in Loop: Header=BB444_1478 Depth=1
	s_delay_alu instid0(SALU_CYCLE_1)
	s_or_b32 exec_lo, exec_lo, s13
.LBB444_3009:                           ;   in Loop: Header=BB444_1478 Depth=1
	s_delay_alu instid0(SALU_CYCLE_1) | instskip(NEXT) | instid1(VALU_DEP_1)
	s_or_b32 exec_lo, exec_lo, s12
	v_mul_f32_e32 v6, v8, v6
                                        ; implicit-def: $vgpr125
	s_delay_alu instid0(VALU_DEP_1) | instskip(NEXT) | instid1(VALU_DEP_1)
	v_and_b32_e32 v7, 0x7f800000, v6
	v_cmp_ne_u32_e64 s0, 0x7f800000, v7
	s_delay_alu instid0(VALU_DEP_1) | instskip(NEXT) | instid1(SALU_CYCLE_1)
	s_and_saveexec_b32 s12, s0
	s_xor_b32 s0, exec_lo, s12
; %bb.3010:                             ;   in Loop: Header=BB444_1478 Depth=1
	v_bfe_u32 v7, v6, 16, 1
	s_delay_alu instid0(VALU_DEP_1)
	v_add3_u32 v125, v6, v7, 0x7fff
                                        ; implicit-def: $vgpr6
; %bb.3011:                             ;   in Loop: Header=BB444_1478 Depth=1
	s_and_not1_saveexec_b32 s12, s0
; %bb.3012:                             ;   in Loop: Header=BB444_1478 Depth=1
	v_and_b32_e32 v7, 0xffff, v6
	v_or_b32_e32 v9, 0x10000, v6
	s_delay_alu instid0(VALU_DEP_2) | instskip(NEXT) | instid1(VALU_DEP_1)
	v_cmp_eq_u32_e64 s0, 0, v7
	v_cndmask_b32_e64 v125, v9, v6, s0
; %bb.3013:                             ;   in Loop: Header=BB444_1478 Depth=1
	s_or_b32 exec_lo, exec_lo, s12
	v_lshrrev_b32_e32 v126, 16, v3
	s_mov_b32 s12, exec_lo
	s_delay_alu instid0(VALU_DEP_1) | instskip(NEXT) | instid1(VALU_DEP_1)
	v_dual_mov_b32 v6, 0 :: v_dual_and_b32 v7, 0xff, v126
	v_cmpx_ne_u16_e32 0, v7
	s_cbranch_execz .LBB444_3021
; %bb.3014:                             ;   in Loop: Header=BB444_1478 Depth=1
	v_bfrev_b32_e32 v6, 1
	s_mov_b32 s13, exec_lo
	v_cmpx_ne_u16_e32 0x80, v7
	s_cbranch_execz .LBB444_3020
; %bb.3015:                             ;   in Loop: Header=BB444_1478 Depth=1
	v_bfe_u32 v7, v3, 16, 7
	v_mov_b32_e32 v6, 0x7f800001
	s_mov_b32 s15, exec_lo
	s_delay_alu instid0(VALU_DEP_2)
	v_cmpx_ne_u32_e32 0x7f, v7
	s_cbranch_execz .LBB444_3019
; %bb.3016:                             ;   in Loop: Header=BB444_1478 Depth=1
	v_and_b32_e32 v9, 7, v126
	v_lshrrev_b32_e32 v127, 3, v7
	v_cmp_gt_u32_e64 s0, 8, v7
	s_delay_alu instid0(VALU_DEP_3) | instskip(NEXT) | instid1(VALU_DEP_2)
	v_dual_mov_b32 v6, v9 :: v_dual_mov_b32 v7, v10
	s_and_saveexec_b32 s16, s0
; %bb.3017:                             ;   in Loop: Header=BB444_1478 Depth=1
	v_clz_i32_u32_e32 v6, v9
	s_delay_alu instid0(VALU_DEP_1) | instskip(NEXT) | instid1(VALU_DEP_1)
	v_min_u32_e32 v127, 32, v6
	v_subrev_nc_u32_e32 v6, 28, v127
	v_sub_nc_u32_e32 v127, 29, v127
	s_delay_alu instid0(VALU_DEP_2) | instskip(NEXT) | instid1(VALU_DEP_1)
	v_lshlrev_b64 v[6:7], v6, v[9:10]
	v_and_b32_e32 v6, 7, v6
; %bb.3018:                             ;   in Loop: Header=BB444_1478 Depth=1
	s_or_b32 exec_lo, exec_lo, s16
	v_lshlrev_b32_e32 v7, 24, v126
	s_delay_alu instid0(VALU_DEP_2) | instskip(SKIP_1) | instid1(VALU_DEP_3)
	v_lshlrev_b32_e32 v6, 20, v6
	v_lshl_add_u32 v9, v127, 23, 0x3c000000
	v_and_b32_e32 v7, 0x80000000, v7
	s_delay_alu instid0(VALU_DEP_1)
	v_or3_b32 v6, v6, v7, v9
.LBB444_3019:                           ;   in Loop: Header=BB444_1478 Depth=1
	s_or_b32 exec_lo, exec_lo, s15
.LBB444_3020:                           ;   in Loop: Header=BB444_1478 Depth=1
	s_delay_alu instid0(SALU_CYCLE_1)
	s_or_b32 exec_lo, exec_lo, s13
.LBB444_3021:                           ;   in Loop: Header=BB444_1478 Depth=1
	s_delay_alu instid0(SALU_CYCLE_1) | instskip(NEXT) | instid1(VALU_DEP_1)
	s_or_b32 exec_lo, exec_lo, s12
	v_mul_f32_e32 v6, v8, v6
                                        ; implicit-def: $vgpr126
	s_delay_alu instid0(VALU_DEP_1) | instskip(NEXT) | instid1(VALU_DEP_1)
	v_and_b32_e32 v7, 0x7f800000, v6
	v_cmp_ne_u32_e64 s0, 0x7f800000, v7
	s_delay_alu instid0(VALU_DEP_1) | instskip(NEXT) | instid1(SALU_CYCLE_1)
	s_and_saveexec_b32 s12, s0
	s_xor_b32 s0, exec_lo, s12
; %bb.3022:                             ;   in Loop: Header=BB444_1478 Depth=1
	v_bfe_u32 v7, v6, 16, 1
	s_delay_alu instid0(VALU_DEP_1)
	v_add3_u32 v126, v6, v7, 0x7fff
                                        ; implicit-def: $vgpr6
; %bb.3023:                             ;   in Loop: Header=BB444_1478 Depth=1
	s_and_not1_saveexec_b32 s12, s0
; %bb.3024:                             ;   in Loop: Header=BB444_1478 Depth=1
	v_and_b32_e32 v7, 0xffff, v6
	v_or_b32_e32 v9, 0x10000, v6
	s_delay_alu instid0(VALU_DEP_2) | instskip(NEXT) | instid1(VALU_DEP_1)
	v_cmp_eq_u32_e64 s0, 0, v7
	v_cndmask_b32_e64 v126, v9, v6, s0
; %bb.3025:                             ;   in Loop: Header=BB444_1478 Depth=1
	s_or_b32 exec_lo, exec_lo, s12
	v_cmp_lt_u64_e64 s0, s[8:9], v[2:3]
	v_mov_b32_e32 v2, 0
	s_delay_alu instid0(VALU_DEP_2)
	s_and_saveexec_b32 s12, s0
	s_cbranch_execz .LBB444_3033
; %bb.3026:                             ;   in Loop: Header=BB444_1478 Depth=1
	v_lshrrev_b32_e32 v6, 24, v3
	v_bfrev_b32_e32 v2, 1
	s_mov_b32 s13, exec_lo
	s_delay_alu instid0(VALU_DEP_2)
	v_cmpx_ne_u32_e32 0x80, v6
	s_cbranch_execz .LBB444_3032
; %bb.3027:                             ;   in Loop: Header=BB444_1478 Depth=1
	v_bfe_u32 v3, v3, 24, 7
	v_mov_b32_e32 v2, 0x7f800001
	s_mov_b32 s15, exec_lo
	s_delay_alu instid0(VALU_DEP_2)
	v_cmpx_ne_u32_e32 0x7f, v3
	s_cbranch_execz .LBB444_3031
; %bb.3028:                             ;   in Loop: Header=BB444_1478 Depth=1
	v_and_b32_e32 v9, 7, v6
	v_lshrrev_b32_e32 v7, 3, v3
	v_cmp_gt_u32_e64 s0, 8, v3
	s_delay_alu instid0(VALU_DEP_3) | instskip(NEXT) | instid1(VALU_DEP_2)
	v_dual_mov_b32 v2, v9 :: v_dual_mov_b32 v3, v10
	s_and_saveexec_b32 s16, s0
; %bb.3029:                             ;   in Loop: Header=BB444_1478 Depth=1
	v_clz_i32_u32_e32 v2, v9
	s_delay_alu instid0(VALU_DEP_1) | instskip(NEXT) | instid1(VALU_DEP_1)
	v_min_u32_e32 v7, 32, v2
	v_subrev_nc_u32_e32 v2, 28, v7
	v_sub_nc_u32_e32 v7, 29, v7
	s_delay_alu instid0(VALU_DEP_2) | instskip(NEXT) | instid1(VALU_DEP_1)
	v_lshlrev_b64 v[2:3], v2, v[9:10]
	v_and_b32_e32 v2, 7, v2
; %bb.3030:                             ;   in Loop: Header=BB444_1478 Depth=1
	s_or_b32 exec_lo, exec_lo, s16
	v_lshlrev_b32_e32 v3, 24, v6
	s_delay_alu instid0(VALU_DEP_2) | instskip(SKIP_1) | instid1(VALU_DEP_3)
	v_lshlrev_b32_e32 v2, 20, v2
	v_lshl_add_u32 v6, v7, 23, 0x3c000000
	v_and_b32_e32 v3, 0x80000000, v3
	s_delay_alu instid0(VALU_DEP_1)
	v_or3_b32 v2, v2, v3, v6
.LBB444_3031:                           ;   in Loop: Header=BB444_1478 Depth=1
	s_or_b32 exec_lo, exec_lo, s15
.LBB444_3032:                           ;   in Loop: Header=BB444_1478 Depth=1
	s_delay_alu instid0(SALU_CYCLE_1)
	s_or_b32 exec_lo, exec_lo, s13
.LBB444_3033:                           ;   in Loop: Header=BB444_1478 Depth=1
	s_delay_alu instid0(SALU_CYCLE_1) | instskip(NEXT) | instid1(VALU_DEP_1)
	s_or_b32 exec_lo, exec_lo, s12
	v_mul_f32_e32 v3, v8, v2
	s_delay_alu instid0(VALU_DEP_1) | instskip(NEXT) | instid1(VALU_DEP_1)
	v_and_b32_e32 v2, 0x7f800000, v3
	v_cmp_ne_u32_e64 s0, 0x7f800000, v2
                                        ; implicit-def: $vgpr2
	s_delay_alu instid0(VALU_DEP_1) | instskip(NEXT) | instid1(SALU_CYCLE_1)
	s_and_saveexec_b32 s12, s0
	s_xor_b32 s0, exec_lo, s12
; %bb.3034:                             ;   in Loop: Header=BB444_1478 Depth=1
	v_bfe_u32 v2, v3, 16, 1
	s_delay_alu instid0(VALU_DEP_1)
	v_add3_u32 v2, v3, v2, 0x7fff
                                        ; implicit-def: $vgpr3
; %bb.3035:                             ;   in Loop: Header=BB444_1478 Depth=1
	s_and_not1_saveexec_b32 s12, s0
; %bb.3036:                             ;   in Loop: Header=BB444_1478 Depth=1
	v_and_b32_e32 v2, 0xffff, v3
	v_or_b32_e32 v6, 0x10000, v3
	s_delay_alu instid0(VALU_DEP_2) | instskip(NEXT) | instid1(VALU_DEP_1)
	v_cmp_eq_u32_e64 s0, 0, v2
	v_cndmask_b32_e64 v2, v6, v3, s0
; %bb.3037:                             ;   in Loop: Header=BB444_1478 Depth=1
	s_or_b32 exec_lo, exec_lo, s12
	v_lshrrev_b32_e32 v6, 16, v125
	v_lshrrev_b32_e32 v7, 16, v124
	;; [unrolled: 1-line block ×8, first 2 shown]
	s_and_saveexec_b32 s12, vcc_lo
	s_cbranch_execz .LBB444_3039
; %bb.3038:                             ;   in Loop: Header=BB444_1478 Depth=1
	v_cmp_lt_i32_e64 s0, v85, v38
	s_delay_alu instid0(VALU_DEP_1) | instskip(SKIP_1) | instid1(VALU_DEP_1)
	v_cndmask_b32_e64 v120, 0, v120, s0
	v_cmp_lt_i32_e64 s0, v100, v38
	v_cndmask_b32_e64 v121, 0, v121, s0
	v_cmp_lt_i32_e64 s0, v99, v38
	s_delay_alu instid0(VALU_DEP_1) | instskip(SKIP_1) | instid1(VALU_DEP_1)
	v_cndmask_b32_e64 v122, 0, v122, s0
	v_cmp_lt_i32_e64 s0, v98, v38
	v_cndmask_b32_e64 v9, 0, v9, s0
	;; [unrolled: 5-line block ×4, first 2 shown]
.LBB444_3039:                           ;   in Loop: Header=BB444_1478 Depth=1
	s_or_b32 exec_lo, exec_lo, s12
	v_lshlrev_b32_e32 v120, 16, v120
	s_delay_alu instid0(VALU_DEP_1) | instskip(NEXT) | instid1(VALU_DEP_1)
	v_mul_f32_e32 v123, v101, v120
	v_and_b32_e32 v120, 0x7f800000, v123
	s_delay_alu instid0(VALU_DEP_1) | instskip(NEXT) | instid1(VALU_DEP_1)
	v_cmp_ne_u32_e64 s0, 0x7f800000, v120
                                        ; implicit-def: $vgpr120
	s_and_saveexec_b32 s12, s0
	s_delay_alu instid0(SALU_CYCLE_1)
	s_xor_b32 s0, exec_lo, s12
; %bb.3040:                             ;   in Loop: Header=BB444_1478 Depth=1
	v_bfe_u32 v120, v123, 16, 1
	s_delay_alu instid0(VALU_DEP_1)
	v_add3_u32 v120, v123, v120, 0x7fff
                                        ; implicit-def: $vgpr123
; %bb.3041:                             ;   in Loop: Header=BB444_1478 Depth=1
	s_and_not1_saveexec_b32 s12, s0
; %bb.3042:                             ;   in Loop: Header=BB444_1478 Depth=1
	v_and_b32_e32 v120, 0xffff, v123
	v_or_b32_e32 v124, 0x10000, v123
	s_delay_alu instid0(VALU_DEP_2) | instskip(NEXT) | instid1(VALU_DEP_1)
	v_cmp_eq_u32_e64 s0, 0, v120
	v_cndmask_b32_e64 v120, v124, v123, s0
; %bb.3043:                             ;   in Loop: Header=BB444_1478 Depth=1
	s_or_b32 exec_lo, exec_lo, s12
	v_lshlrev_b32_e32 v121, 16, v121
	s_delay_alu instid0(VALU_DEP_1) | instskip(NEXT) | instid1(VALU_DEP_1)
	v_mul_f32_e32 v123, v102, v121
	v_and_b32_e32 v121, 0x7f800000, v123
	s_delay_alu instid0(VALU_DEP_1) | instskip(NEXT) | instid1(VALU_DEP_1)
	v_cmp_ne_u32_e64 s0, 0x7f800000, v121
                                        ; implicit-def: $vgpr121
	s_and_saveexec_b32 s12, s0
	s_delay_alu instid0(SALU_CYCLE_1)
	s_xor_b32 s0, exec_lo, s12
; %bb.3044:                             ;   in Loop: Header=BB444_1478 Depth=1
	v_bfe_u32 v121, v123, 16, 1
	s_delay_alu instid0(VALU_DEP_1)
	v_add3_u32 v121, v123, v121, 0x7fff
                                        ; implicit-def: $vgpr123
; %bb.3045:                             ;   in Loop: Header=BB444_1478 Depth=1
	s_and_not1_saveexec_b32 s12, s0
; %bb.3046:                             ;   in Loop: Header=BB444_1478 Depth=1
	v_and_b32_e32 v121, 0xffff, v123
	v_or_b32_e32 v124, 0x10000, v123
	s_delay_alu instid0(VALU_DEP_2) | instskip(NEXT) | instid1(VALU_DEP_1)
	v_cmp_eq_u32_e64 s0, 0, v121
	v_cndmask_b32_e64 v121, v124, v123, s0
; %bb.3047:                             ;   in Loop: Header=BB444_1478 Depth=1
	s_or_b32 exec_lo, exec_lo, s12
	v_lshlrev_b32_e32 v122, 16, v122
	s_delay_alu instid0(VALU_DEP_1) | instskip(NEXT) | instid1(VALU_DEP_1)
	v_mul_f32_e32 v123, v103, v122
	v_and_b32_e32 v122, 0x7f800000, v123
	s_delay_alu instid0(VALU_DEP_1) | instskip(NEXT) | instid1(VALU_DEP_1)
	v_cmp_ne_u32_e64 s0, 0x7f800000, v122
                                        ; implicit-def: $vgpr122
	s_and_saveexec_b32 s12, s0
	s_delay_alu instid0(SALU_CYCLE_1)
	s_xor_b32 s0, exec_lo, s12
; %bb.3048:                             ;   in Loop: Header=BB444_1478 Depth=1
	v_bfe_u32 v122, v123, 16, 1
	s_delay_alu instid0(VALU_DEP_1)
	v_add3_u32 v122, v123, v122, 0x7fff
                                        ; implicit-def: $vgpr123
; %bb.3049:                             ;   in Loop: Header=BB444_1478 Depth=1
	s_and_not1_saveexec_b32 s12, s0
; %bb.3050:                             ;   in Loop: Header=BB444_1478 Depth=1
	v_and_b32_e32 v122, 0xffff, v123
	v_or_b32_e32 v124, 0x10000, v123
	s_delay_alu instid0(VALU_DEP_2) | instskip(NEXT) | instid1(VALU_DEP_1)
	v_cmp_eq_u32_e64 s0, 0, v122
	v_cndmask_b32_e64 v122, v124, v123, s0
; %bb.3051:                             ;   in Loop: Header=BB444_1478 Depth=1
	s_or_b32 exec_lo, exec_lo, s12
	v_lshlrev_b32_e32 v9, 16, v9
	s_delay_alu instid0(VALU_DEP_1) | instskip(NEXT) | instid1(VALU_DEP_1)
	v_mul_f32_e32 v9, v112, v9
	v_and_b32_e32 v123, 0x7f800000, v9
	s_delay_alu instid0(VALU_DEP_1) | instskip(NEXT) | instid1(VALU_DEP_1)
	v_cmp_ne_u32_e64 s0, 0x7f800000, v123
                                        ; implicit-def: $vgpr123
	s_and_saveexec_b32 s12, s0
	s_delay_alu instid0(SALU_CYCLE_1)
	s_xor_b32 s0, exec_lo, s12
; %bb.3052:                             ;   in Loop: Header=BB444_1478 Depth=1
	v_bfe_u32 v123, v9, 16, 1
	s_delay_alu instid0(VALU_DEP_1)
	v_add3_u32 v123, v9, v123, 0x7fff
                                        ; implicit-def: $vgpr9
; %bb.3053:                             ;   in Loop: Header=BB444_1478 Depth=1
	s_and_not1_saveexec_b32 s12, s0
; %bb.3054:                             ;   in Loop: Header=BB444_1478 Depth=1
	v_and_b32_e32 v123, 0xffff, v9
	v_or_b32_e32 v124, 0x10000, v9
	s_delay_alu instid0(VALU_DEP_2) | instskip(NEXT) | instid1(VALU_DEP_1)
	v_cmp_eq_u32_e64 s0, 0, v123
	v_cndmask_b32_e64 v123, v124, v9, s0
; %bb.3055:                             ;   in Loop: Header=BB444_1478 Depth=1
	s_or_b32 exec_lo, exec_lo, s12
	v_lshlrev_b32_e32 v7, 16, v7
                                        ; implicit-def: $vgpr124
	s_delay_alu instid0(VALU_DEP_1) | instskip(NEXT) | instid1(VALU_DEP_1)
	v_mul_f32_e32 v7, v113, v7
	v_and_b32_e32 v9, 0x7f800000, v7
	s_delay_alu instid0(VALU_DEP_1) | instskip(NEXT) | instid1(VALU_DEP_1)
	v_cmp_ne_u32_e64 s0, 0x7f800000, v9
	s_and_saveexec_b32 s12, s0
	s_delay_alu instid0(SALU_CYCLE_1)
	s_xor_b32 s0, exec_lo, s12
; %bb.3056:                             ;   in Loop: Header=BB444_1478 Depth=1
	v_bfe_u32 v9, v7, 16, 1
	s_delay_alu instid0(VALU_DEP_1)
	v_add3_u32 v124, v7, v9, 0x7fff
                                        ; implicit-def: $vgpr7
; %bb.3057:                             ;   in Loop: Header=BB444_1478 Depth=1
	s_and_not1_saveexec_b32 s12, s0
; %bb.3058:                             ;   in Loop: Header=BB444_1478 Depth=1
	v_and_b32_e32 v9, 0xffff, v7
	v_or_b32_e32 v124, 0x10000, v7
	s_delay_alu instid0(VALU_DEP_2) | instskip(NEXT) | instid1(VALU_DEP_1)
	v_cmp_eq_u32_e64 s0, 0, v9
	v_cndmask_b32_e64 v124, v124, v7, s0
; %bb.3059:                             ;   in Loop: Header=BB444_1478 Depth=1
	s_or_b32 exec_lo, exec_lo, s12
	v_lshlrev_b32_e32 v6, 16, v6
                                        ; implicit-def: $vgpr125
	s_delay_alu instid0(VALU_DEP_1) | instskip(NEXT) | instid1(VALU_DEP_1)
	v_mul_f32_e32 v6, v114, v6
	v_and_b32_e32 v7, 0x7f800000, v6
	s_delay_alu instid0(VALU_DEP_1) | instskip(NEXT) | instid1(VALU_DEP_1)
	v_cmp_ne_u32_e64 s0, 0x7f800000, v7
	s_and_saveexec_b32 s12, s0
	s_delay_alu instid0(SALU_CYCLE_1)
	s_xor_b32 s0, exec_lo, s12
; %bb.3060:                             ;   in Loop: Header=BB444_1478 Depth=1
	v_bfe_u32 v7, v6, 16, 1
	s_delay_alu instid0(VALU_DEP_1)
	v_add3_u32 v125, v6, v7, 0x7fff
                                        ; implicit-def: $vgpr6
; %bb.3061:                             ;   in Loop: Header=BB444_1478 Depth=1
	s_and_not1_saveexec_b32 s12, s0
; %bb.3062:                             ;   in Loop: Header=BB444_1478 Depth=1
	v_and_b32_e32 v7, 0xffff, v6
	v_or_b32_e32 v9, 0x10000, v6
	s_delay_alu instid0(VALU_DEP_2) | instskip(NEXT) | instid1(VALU_DEP_1)
	v_cmp_eq_u32_e64 s0, 0, v7
	v_cndmask_b32_e64 v125, v9, v6, s0
; %bb.3063:                             ;   in Loop: Header=BB444_1478 Depth=1
	s_or_b32 exec_lo, exec_lo, s12
	v_lshlrev_b32_e32 v3, 16, v3
                                        ; implicit-def: $vgpr126
	s_delay_alu instid0(VALU_DEP_1) | instskip(NEXT) | instid1(VALU_DEP_1)
	v_mul_f32_e32 v3, v115, v3
	v_and_b32_e32 v6, 0x7f800000, v3
	s_delay_alu instid0(VALU_DEP_1) | instskip(NEXT) | instid1(VALU_DEP_1)
	v_cmp_ne_u32_e64 s0, 0x7f800000, v6
	s_and_saveexec_b32 s12, s0
	s_delay_alu instid0(SALU_CYCLE_1)
	s_xor_b32 s0, exec_lo, s12
; %bb.3064:                             ;   in Loop: Header=BB444_1478 Depth=1
	v_bfe_u32 v6, v3, 16, 1
	s_delay_alu instid0(VALU_DEP_1)
	v_add3_u32 v126, v3, v6, 0x7fff
                                        ; implicit-def: $vgpr3
; %bb.3065:                             ;   in Loop: Header=BB444_1478 Depth=1
	s_and_not1_saveexec_b32 s12, s0
; %bb.3066:                             ;   in Loop: Header=BB444_1478 Depth=1
	v_and_b32_e32 v6, 0xffff, v3
	v_or_b32_e32 v7, 0x10000, v3
	s_delay_alu instid0(VALU_DEP_2) | instskip(NEXT) | instid1(VALU_DEP_1)
	v_cmp_eq_u32_e64 s0, 0, v6
	v_cndmask_b32_e64 v126, v7, v3, s0
; %bb.3067:                             ;   in Loop: Header=BB444_1478 Depth=1
	s_or_b32 exec_lo, exec_lo, s12
	v_lshlrev_b32_e32 v2, 16, v2
                                        ; implicit-def: $vgpr127
	s_delay_alu instid0(VALU_DEP_1) | instskip(NEXT) | instid1(VALU_DEP_1)
	v_mul_f32_e32 v2, v116, v2
	v_and_b32_e32 v3, 0x7f800000, v2
	s_delay_alu instid0(VALU_DEP_1) | instskip(NEXT) | instid1(VALU_DEP_1)
	v_cmp_ne_u32_e64 s0, 0x7f800000, v3
	s_and_saveexec_b32 s12, s0
	s_delay_alu instid0(SALU_CYCLE_1)
	s_xor_b32 s0, exec_lo, s12
; %bb.3068:                             ;   in Loop: Header=BB444_1478 Depth=1
	v_bfe_u32 v3, v2, 16, 1
	s_delay_alu instid0(VALU_DEP_1)
	v_add3_u32 v127, v2, v3, 0x7fff
                                        ; implicit-def: $vgpr2
; %bb.3069:                             ;   in Loop: Header=BB444_1478 Depth=1
	s_and_not1_saveexec_b32 s12, s0
; %bb.3070:                             ;   in Loop: Header=BB444_1478 Depth=1
	v_and_b32_e32 v3, 0xffff, v2
	v_or_b32_e32 v6, 0x10000, v2
	s_delay_alu instid0(VALU_DEP_2) | instskip(NEXT) | instid1(VALU_DEP_1)
	v_cmp_eq_u32_e64 s0, 0, v3
	v_cndmask_b32_e64 v127, v6, v2, s0
; %bb.3071:                             ;   in Loop: Header=BB444_1478 Depth=1
	s_or_b32 exec_lo, exec_lo, s12
	flat_load_b64 v[2:3], v[0:1] offset:3072
	s_mov_b32 s12, exec_lo
	s_waitcnt vmcnt(0) lgkmcnt(0)
	v_dual_mov_b32 v6, 0 :: v_dual_and_b32 v7, 0xff, v2
	s_delay_alu instid0(VALU_DEP_1)
	v_cmpx_ne_u16_e32 0, v7
	s_cbranch_execz .LBB444_3079
; %bb.3072:                             ;   in Loop: Header=BB444_1478 Depth=1
	v_bfrev_b32_e32 v6, 1
	s_mov_b32 s13, exec_lo
	v_cmpx_ne_u16_e32 0x80, v7
	s_cbranch_execz .LBB444_3078
; %bb.3073:                             ;   in Loop: Header=BB444_1478 Depth=1
	v_and_b32_e32 v7, 0x7f, v2
	v_mov_b32_e32 v6, 0x7f800001
	s_mov_b32 s15, exec_lo
	s_delay_alu instid0(VALU_DEP_2)
	v_cmpx_ne_u32_e32 0x7f, v7
	s_cbranch_execz .LBB444_3077
; %bb.3074:                             ;   in Loop: Header=BB444_1478 Depth=1
	v_lshrrev_b32_e32 v9, 3, v7
	v_cmp_gt_u32_e64 s0, 8, v7
	v_dual_mov_b32 v7, v3 :: v_dual_mov_b32 v6, v2
	s_delay_alu instid0(VALU_DEP_2)
	s_and_saveexec_b32 s16, s0
; %bb.3075:                             ;   in Loop: Header=BB444_1478 Depth=1
	v_and_b32_e32 v6, 7, v2
	s_delay_alu instid0(VALU_DEP_1) | instskip(NEXT) | instid1(VALU_DEP_1)
	v_clz_i32_u32_e32 v6, v6
	v_min_u32_e32 v9, 32, v6
	s_delay_alu instid0(VALU_DEP_1) | instskip(SKIP_1) | instid1(VALU_DEP_2)
	v_subrev_nc_u32_e32 v6, 28, v9
	v_sub_nc_u32_e32 v9, 29, v9
	v_lshlrev_b64 v[6:7], v6, v[2:3]
; %bb.3076:                             ;   in Loop: Header=BB444_1478 Depth=1
	s_or_b32 exec_lo, exec_lo, s16
	s_delay_alu instid0(VALU_DEP_1) | instskip(SKIP_2) | instid1(VALU_DEP_3)
	v_lshlrev_b32_e32 v6, 20, v6
	v_lshlrev_b32_e32 v7, 24, v2
	v_lshl_add_u32 v9, v9, 23, 0x3c000000
	v_and_b32_e32 v6, 0x700000, v6
	s_delay_alu instid0(VALU_DEP_3) | instskip(NEXT) | instid1(VALU_DEP_1)
	v_and_b32_e32 v7, 0x80000000, v7
	v_or3_b32 v6, v6, v7, v9
.LBB444_3077:                           ;   in Loop: Header=BB444_1478 Depth=1
	s_or_b32 exec_lo, exec_lo, s15
.LBB444_3078:                           ;   in Loop: Header=BB444_1478 Depth=1
	s_delay_alu instid0(SALU_CYCLE_1)
	s_or_b32 exec_lo, exec_lo, s13
.LBB444_3079:                           ;   in Loop: Header=BB444_1478 Depth=1
	s_delay_alu instid0(SALU_CYCLE_1) | instskip(NEXT) | instid1(VALU_DEP_1)
	s_or_b32 exec_lo, exec_lo, s12
	v_mul_f32_e32 v6, v8, v6
                                        ; implicit-def: $vgpr136
	s_delay_alu instid0(VALU_DEP_1) | instskip(NEXT) | instid1(VALU_DEP_1)
	v_and_b32_e32 v7, 0x7f800000, v6
	v_cmp_ne_u32_e64 s0, 0x7f800000, v7
	s_delay_alu instid0(VALU_DEP_1) | instskip(NEXT) | instid1(SALU_CYCLE_1)
	s_and_saveexec_b32 s12, s0
	s_xor_b32 s0, exec_lo, s12
; %bb.3080:                             ;   in Loop: Header=BB444_1478 Depth=1
	v_bfe_u32 v7, v6, 16, 1
	s_delay_alu instid0(VALU_DEP_1)
	v_add3_u32 v136, v6, v7, 0x7fff
                                        ; implicit-def: $vgpr6
; %bb.3081:                             ;   in Loop: Header=BB444_1478 Depth=1
	s_and_not1_saveexec_b32 s12, s0
; %bb.3082:                             ;   in Loop: Header=BB444_1478 Depth=1
	v_and_b32_e32 v7, 0xffff, v6
	v_or_b32_e32 v9, 0x10000, v6
	s_delay_alu instid0(VALU_DEP_2) | instskip(NEXT) | instid1(VALU_DEP_1)
	v_cmp_eq_u32_e64 s0, 0, v7
	v_cndmask_b32_e64 v136, v9, v6, s0
; %bb.3083:                             ;   in Loop: Header=BB444_1478 Depth=1
	s_or_b32 exec_lo, exec_lo, s12
	v_lshrrev_b16 v7, 8, v2
	v_mov_b32_e32 v6, 0
	s_mov_b32 s12, exec_lo
	s_delay_alu instid0(VALU_DEP_2)
	v_cmpx_ne_u16_e32 0, v7
	s_cbranch_execz .LBB444_3091
; %bb.3084:                             ;   in Loop: Header=BB444_1478 Depth=1
	v_bfrev_b32_e32 v6, 1
	s_mov_b32 s13, exec_lo
	v_cmpx_ne_u16_e32 0x80, v7
	s_cbranch_execz .LBB444_3090
; %bb.3085:                             ;   in Loop: Header=BB444_1478 Depth=1
	v_and_b32_e32 v9, 0xffff, v7
	v_mov_b32_e32 v6, 0x7f800001
	s_mov_b32 s15, exec_lo
	s_delay_alu instid0(VALU_DEP_2) | instskip(NEXT) | instid1(VALU_DEP_1)
	v_and_b32_e32 v7, 0x7f, v9
	v_cmpx_ne_u32_e32 0x7f, v7
	s_cbranch_execz .LBB444_3089
; %bb.3086:                             ;   in Loop: Header=BB444_1478 Depth=1
	v_and_b32_e32 v9, 7, v9
	v_lshrrev_b32_e32 v137, 3, v7
	v_cmp_gt_u32_e64 s0, 8, v7
	s_delay_alu instid0(VALU_DEP_3) | instskip(NEXT) | instid1(VALU_DEP_2)
	v_dual_mov_b32 v6, v9 :: v_dual_mov_b32 v7, v10
	s_and_saveexec_b32 s16, s0
; %bb.3087:                             ;   in Loop: Header=BB444_1478 Depth=1
	v_clz_i32_u32_e32 v6, v9
	s_delay_alu instid0(VALU_DEP_1) | instskip(NEXT) | instid1(VALU_DEP_1)
	v_min_u32_e32 v137, 32, v6
	v_subrev_nc_u32_e32 v6, 28, v137
	v_sub_nc_u32_e32 v137, 29, v137
	s_delay_alu instid0(VALU_DEP_2) | instskip(NEXT) | instid1(VALU_DEP_1)
	v_lshlrev_b64 v[6:7], v6, v[9:10]
	v_and_b32_e32 v6, 7, v6
; %bb.3088:                             ;   in Loop: Header=BB444_1478 Depth=1
	s_or_b32 exec_lo, exec_lo, s16
	v_lshlrev_b32_e32 v7, 16, v2
	s_delay_alu instid0(VALU_DEP_2) | instskip(SKIP_1) | instid1(VALU_DEP_3)
	v_lshlrev_b32_e32 v6, 20, v6
	v_lshl_add_u32 v9, v137, 23, 0x3c000000
	v_and_b32_e32 v7, 0x80000000, v7
	s_delay_alu instid0(VALU_DEP_1)
	v_or3_b32 v6, v6, v7, v9
.LBB444_3089:                           ;   in Loop: Header=BB444_1478 Depth=1
	s_or_b32 exec_lo, exec_lo, s15
.LBB444_3090:                           ;   in Loop: Header=BB444_1478 Depth=1
	s_delay_alu instid0(SALU_CYCLE_1)
	s_or_b32 exec_lo, exec_lo, s13
.LBB444_3091:                           ;   in Loop: Header=BB444_1478 Depth=1
	s_delay_alu instid0(SALU_CYCLE_1) | instskip(NEXT) | instid1(VALU_DEP_1)
	s_or_b32 exec_lo, exec_lo, s12
	v_mul_f32_e32 v6, v8, v6
                                        ; implicit-def: $vgpr137
	s_delay_alu instid0(VALU_DEP_1) | instskip(NEXT) | instid1(VALU_DEP_1)
	v_and_b32_e32 v7, 0x7f800000, v6
	v_cmp_ne_u32_e64 s0, 0x7f800000, v7
	s_delay_alu instid0(VALU_DEP_1) | instskip(NEXT) | instid1(SALU_CYCLE_1)
	s_and_saveexec_b32 s12, s0
	s_xor_b32 s0, exec_lo, s12
; %bb.3092:                             ;   in Loop: Header=BB444_1478 Depth=1
	v_bfe_u32 v7, v6, 16, 1
	s_delay_alu instid0(VALU_DEP_1)
	v_add3_u32 v137, v6, v7, 0x7fff
                                        ; implicit-def: $vgpr6
; %bb.3093:                             ;   in Loop: Header=BB444_1478 Depth=1
	s_and_not1_saveexec_b32 s12, s0
; %bb.3094:                             ;   in Loop: Header=BB444_1478 Depth=1
	v_and_b32_e32 v7, 0xffff, v6
	v_or_b32_e32 v9, 0x10000, v6
	s_delay_alu instid0(VALU_DEP_2) | instskip(NEXT) | instid1(VALU_DEP_1)
	v_cmp_eq_u32_e64 s0, 0, v7
	v_cndmask_b32_e64 v137, v9, v6, s0
; %bb.3095:                             ;   in Loop: Header=BB444_1478 Depth=1
	s_or_b32 exec_lo, exec_lo, s12
	v_lshrrev_b32_e32 v138, 16, v2
	s_mov_b32 s12, exec_lo
	s_delay_alu instid0(VALU_DEP_1) | instskip(NEXT) | instid1(VALU_DEP_1)
	v_dual_mov_b32 v6, 0 :: v_dual_and_b32 v7, 0xff, v138
	v_cmpx_ne_u16_e32 0, v7
	s_cbranch_execz .LBB444_3103
; %bb.3096:                             ;   in Loop: Header=BB444_1478 Depth=1
	v_bfrev_b32_e32 v6, 1
	s_mov_b32 s13, exec_lo
	v_cmpx_ne_u16_e32 0x80, v7
	s_cbranch_execz .LBB444_3102
; %bb.3097:                             ;   in Loop: Header=BB444_1478 Depth=1
	v_bfe_u32 v7, v2, 16, 7
	v_mov_b32_e32 v6, 0x7f800001
	s_mov_b32 s15, exec_lo
	s_delay_alu instid0(VALU_DEP_2)
	v_cmpx_ne_u32_e32 0x7f, v7
	s_cbranch_execz .LBB444_3101
; %bb.3098:                             ;   in Loop: Header=BB444_1478 Depth=1
	v_and_b32_e32 v9, 7, v138
	v_lshrrev_b32_e32 v139, 3, v7
	v_cmp_gt_u32_e64 s0, 8, v7
	s_delay_alu instid0(VALU_DEP_3) | instskip(NEXT) | instid1(VALU_DEP_2)
	v_dual_mov_b32 v6, v9 :: v_dual_mov_b32 v7, v10
	s_and_saveexec_b32 s16, s0
; %bb.3099:                             ;   in Loop: Header=BB444_1478 Depth=1
	v_clz_i32_u32_e32 v6, v9
	s_delay_alu instid0(VALU_DEP_1) | instskip(NEXT) | instid1(VALU_DEP_1)
	v_min_u32_e32 v139, 32, v6
	v_subrev_nc_u32_e32 v6, 28, v139
	v_sub_nc_u32_e32 v139, 29, v139
	s_delay_alu instid0(VALU_DEP_2) | instskip(NEXT) | instid1(VALU_DEP_1)
	v_lshlrev_b64 v[6:7], v6, v[9:10]
	v_and_b32_e32 v6, 7, v6
; %bb.3100:                             ;   in Loop: Header=BB444_1478 Depth=1
	s_or_b32 exec_lo, exec_lo, s16
	v_lshlrev_b32_e32 v7, 24, v138
	s_delay_alu instid0(VALU_DEP_2) | instskip(SKIP_1) | instid1(VALU_DEP_3)
	v_lshlrev_b32_e32 v6, 20, v6
	v_lshl_add_u32 v9, v139, 23, 0x3c000000
	v_and_b32_e32 v7, 0x80000000, v7
	s_delay_alu instid0(VALU_DEP_1)
	v_or3_b32 v6, v6, v7, v9
.LBB444_3101:                           ;   in Loop: Header=BB444_1478 Depth=1
	s_or_b32 exec_lo, exec_lo, s15
.LBB444_3102:                           ;   in Loop: Header=BB444_1478 Depth=1
	s_delay_alu instid0(SALU_CYCLE_1)
	s_or_b32 exec_lo, exec_lo, s13
.LBB444_3103:                           ;   in Loop: Header=BB444_1478 Depth=1
	s_delay_alu instid0(SALU_CYCLE_1) | instskip(NEXT) | instid1(VALU_DEP_1)
	s_or_b32 exec_lo, exec_lo, s12
	v_mul_f32_e32 v6, v8, v6
                                        ; implicit-def: $vgpr138
	s_delay_alu instid0(VALU_DEP_1) | instskip(NEXT) | instid1(VALU_DEP_1)
	v_and_b32_e32 v7, 0x7f800000, v6
	v_cmp_ne_u32_e64 s0, 0x7f800000, v7
	s_delay_alu instid0(VALU_DEP_1) | instskip(NEXT) | instid1(SALU_CYCLE_1)
	s_and_saveexec_b32 s12, s0
	s_xor_b32 s0, exec_lo, s12
; %bb.3104:                             ;   in Loop: Header=BB444_1478 Depth=1
	v_bfe_u32 v7, v6, 16, 1
	s_delay_alu instid0(VALU_DEP_1)
	v_add3_u32 v138, v6, v7, 0x7fff
                                        ; implicit-def: $vgpr6
; %bb.3105:                             ;   in Loop: Header=BB444_1478 Depth=1
	s_and_not1_saveexec_b32 s12, s0
; %bb.3106:                             ;   in Loop: Header=BB444_1478 Depth=1
	v_and_b32_e32 v7, 0xffff, v6
	v_or_b32_e32 v9, 0x10000, v6
	s_delay_alu instid0(VALU_DEP_2) | instskip(NEXT) | instid1(VALU_DEP_1)
	v_cmp_eq_u32_e64 s0, 0, v7
	v_cndmask_b32_e64 v138, v9, v6, s0
; %bb.3107:                             ;   in Loop: Header=BB444_1478 Depth=1
	s_or_b32 exec_lo, exec_lo, s12
	v_mov_b32_e32 v6, 0
	s_mov_b32 s12, exec_lo
	v_cmpx_lt_u32_e32 0xffffff, v2
	s_cbranch_execz .LBB444_3115
; %bb.3108:                             ;   in Loop: Header=BB444_1478 Depth=1
	v_lshrrev_b32_e32 v139, 24, v2
	v_bfrev_b32_e32 v6, 1
	s_mov_b32 s13, exec_lo
	s_delay_alu instid0(VALU_DEP_2)
	v_cmpx_ne_u32_e32 0x80, v139
	s_cbranch_execz .LBB444_3114
; %bb.3109:                             ;   in Loop: Header=BB444_1478 Depth=1
	v_bfe_u32 v7, v2, 24, 7
	v_mov_b32_e32 v6, 0x7f800001
	s_mov_b32 s15, exec_lo
	s_delay_alu instid0(VALU_DEP_2)
	v_cmpx_ne_u32_e32 0x7f, v7
	s_cbranch_execz .LBB444_3113
; %bb.3110:                             ;   in Loop: Header=BB444_1478 Depth=1
	v_and_b32_e32 v9, 7, v139
	v_lshrrev_b32_e32 v140, 3, v7
	v_cmp_gt_u32_e64 s0, 8, v7
	s_delay_alu instid0(VALU_DEP_3) | instskip(NEXT) | instid1(VALU_DEP_2)
	v_dual_mov_b32 v6, v9 :: v_dual_mov_b32 v7, v10
	s_and_saveexec_b32 s16, s0
; %bb.3111:                             ;   in Loop: Header=BB444_1478 Depth=1
	v_clz_i32_u32_e32 v6, v9
	s_delay_alu instid0(VALU_DEP_1) | instskip(NEXT) | instid1(VALU_DEP_1)
	v_min_u32_e32 v140, 32, v6
	v_subrev_nc_u32_e32 v6, 28, v140
	v_sub_nc_u32_e32 v140, 29, v140
	s_delay_alu instid0(VALU_DEP_2) | instskip(NEXT) | instid1(VALU_DEP_1)
	v_lshlrev_b64 v[6:7], v6, v[9:10]
	v_and_b32_e32 v6, 7, v6
; %bb.3112:                             ;   in Loop: Header=BB444_1478 Depth=1
	s_or_b32 exec_lo, exec_lo, s16
	v_lshlrev_b32_e32 v7, 24, v139
	s_delay_alu instid0(VALU_DEP_2) | instskip(SKIP_1) | instid1(VALU_DEP_3)
	v_lshlrev_b32_e32 v6, 20, v6
	v_lshl_add_u32 v9, v140, 23, 0x3c000000
	v_and_b32_e32 v7, 0x80000000, v7
	s_delay_alu instid0(VALU_DEP_1)
	v_or3_b32 v6, v6, v7, v9
.LBB444_3113:                           ;   in Loop: Header=BB444_1478 Depth=1
	s_or_b32 exec_lo, exec_lo, s15
.LBB444_3114:                           ;   in Loop: Header=BB444_1478 Depth=1
	s_delay_alu instid0(SALU_CYCLE_1)
	s_or_b32 exec_lo, exec_lo, s13
.LBB444_3115:                           ;   in Loop: Header=BB444_1478 Depth=1
	s_delay_alu instid0(SALU_CYCLE_1) | instskip(NEXT) | instid1(VALU_DEP_1)
	s_or_b32 exec_lo, exec_lo, s12
	v_mul_f32_e32 v6, v8, v6
                                        ; implicit-def: $vgpr139
	s_delay_alu instid0(VALU_DEP_1) | instskip(NEXT) | instid1(VALU_DEP_1)
	v_and_b32_e32 v7, 0x7f800000, v6
	v_cmp_ne_u32_e64 s0, 0x7f800000, v7
	s_delay_alu instid0(VALU_DEP_1) | instskip(NEXT) | instid1(SALU_CYCLE_1)
	s_and_saveexec_b32 s12, s0
	s_xor_b32 s0, exec_lo, s12
; %bb.3116:                             ;   in Loop: Header=BB444_1478 Depth=1
	v_bfe_u32 v7, v6, 16, 1
	s_delay_alu instid0(VALU_DEP_1)
	v_add3_u32 v139, v6, v7, 0x7fff
                                        ; implicit-def: $vgpr6
; %bb.3117:                             ;   in Loop: Header=BB444_1478 Depth=1
	s_and_not1_saveexec_b32 s12, s0
; %bb.3118:                             ;   in Loop: Header=BB444_1478 Depth=1
	v_and_b32_e32 v7, 0xffff, v6
	v_or_b32_e32 v9, 0x10000, v6
	s_delay_alu instid0(VALU_DEP_2) | instskip(NEXT) | instid1(VALU_DEP_1)
	v_cmp_eq_u32_e64 s0, 0, v7
	v_cndmask_b32_e64 v139, v9, v6, s0
; %bb.3119:                             ;   in Loop: Header=BB444_1478 Depth=1
	s_or_b32 exec_lo, exec_lo, s12
	v_dual_mov_b32 v6, 0 :: v_dual_and_b32 v7, 0xff, v3
	v_mov_b32_e32 v9, v3
	s_mov_b32 s12, exec_lo
	s_delay_alu instid0(VALU_DEP_2)
	v_cmpx_ne_u16_e32 0, v7
	s_cbranch_execz .LBB444_3127
; %bb.3120:                             ;   in Loop: Header=BB444_1478 Depth=1
	v_bfrev_b32_e32 v6, 1
	s_mov_b32 s13, exec_lo
	v_cmpx_ne_u16_e32 0x80, v7
	s_cbranch_execz .LBB444_3126
; %bb.3121:                             ;   in Loop: Header=BB444_1478 Depth=1
	v_and_b32_e32 v7, 0x7f, v3
	v_mov_b32_e32 v6, 0x7f800001
	s_mov_b32 s15, exec_lo
	s_delay_alu instid0(VALU_DEP_2)
	v_cmpx_ne_u32_e32 0x7f, v7
	s_cbranch_execz .LBB444_3125
; %bb.3122:                             ;   in Loop: Header=BB444_1478 Depth=1
	v_lshrrev_b32_e32 v140, 3, v7
	v_cmp_gt_u32_e64 s0, 8, v7
	v_dual_mov_b32 v6, v9 :: v_dual_mov_b32 v7, v10
	s_delay_alu instid0(VALU_DEP_2)
	s_and_saveexec_b32 s16, s0
; %bb.3123:                             ;   in Loop: Header=BB444_1478 Depth=1
	v_and_b32_e32 v6, 7, v3
	s_delay_alu instid0(VALU_DEP_1) | instskip(NEXT) | instid1(VALU_DEP_1)
	v_clz_i32_u32_e32 v6, v6
	v_min_u32_e32 v140, 32, v6
	s_delay_alu instid0(VALU_DEP_1) | instskip(SKIP_1) | instid1(VALU_DEP_2)
	v_subrev_nc_u32_e32 v6, 28, v140
	v_sub_nc_u32_e32 v140, 29, v140
	v_lshlrev_b64 v[6:7], v6, v[9:10]
; %bb.3124:                             ;   in Loop: Header=BB444_1478 Depth=1
	s_or_b32 exec_lo, exec_lo, s16
	s_delay_alu instid0(VALU_DEP_1) | instskip(SKIP_2) | instid1(VALU_DEP_3)
	v_lshlrev_b32_e32 v6, 20, v6
	v_lshlrev_b32_e32 v7, 24, v9
	v_lshl_add_u32 v140, v140, 23, 0x3c000000
	v_and_b32_e32 v6, 0x700000, v6
	s_delay_alu instid0(VALU_DEP_3) | instskip(NEXT) | instid1(VALU_DEP_1)
	v_and_b32_e32 v7, 0x80000000, v7
	v_or3_b32 v6, v6, v7, v140
.LBB444_3125:                           ;   in Loop: Header=BB444_1478 Depth=1
	s_or_b32 exec_lo, exec_lo, s15
.LBB444_3126:                           ;   in Loop: Header=BB444_1478 Depth=1
	s_delay_alu instid0(SALU_CYCLE_1)
	s_or_b32 exec_lo, exec_lo, s13
.LBB444_3127:                           ;   in Loop: Header=BB444_1478 Depth=1
	s_delay_alu instid0(SALU_CYCLE_1) | instskip(NEXT) | instid1(VALU_DEP_1)
	s_or_b32 exec_lo, exec_lo, s12
	v_mul_f32_e32 v6, v8, v6
                                        ; implicit-def: $vgpr140
	s_delay_alu instid0(VALU_DEP_1) | instskip(NEXT) | instid1(VALU_DEP_1)
	v_and_b32_e32 v7, 0x7f800000, v6
	v_cmp_ne_u32_e64 s0, 0x7f800000, v7
	s_delay_alu instid0(VALU_DEP_1) | instskip(NEXT) | instid1(SALU_CYCLE_1)
	s_and_saveexec_b32 s12, s0
	s_xor_b32 s0, exec_lo, s12
; %bb.3128:                             ;   in Loop: Header=BB444_1478 Depth=1
	v_bfe_u32 v7, v6, 16, 1
	s_delay_alu instid0(VALU_DEP_1)
	v_add3_u32 v140, v6, v7, 0x7fff
                                        ; implicit-def: $vgpr6
; %bb.3129:                             ;   in Loop: Header=BB444_1478 Depth=1
	s_and_not1_saveexec_b32 s12, s0
; %bb.3130:                             ;   in Loop: Header=BB444_1478 Depth=1
	v_and_b32_e32 v7, 0xffff, v6
	v_or_b32_e32 v140, 0x10000, v6
	s_delay_alu instid0(VALU_DEP_2) | instskip(NEXT) | instid1(VALU_DEP_1)
	v_cmp_eq_u32_e64 s0, 0, v7
	v_cndmask_b32_e64 v140, v140, v6, s0
; %bb.3131:                             ;   in Loop: Header=BB444_1478 Depth=1
	s_or_b32 exec_lo, exec_lo, s12
	v_lshrrev_b16 v7, 8, v9
	v_mov_b32_e32 v6, 0
	s_mov_b32 s12, exec_lo
	s_delay_alu instid0(VALU_DEP_2)
	v_cmpx_ne_u16_e32 0, v7
	s_cbranch_execz .LBB444_3139
; %bb.3132:                             ;   in Loop: Header=BB444_1478 Depth=1
	v_bfrev_b32_e32 v6, 1
	s_mov_b32 s13, exec_lo
	v_cmpx_ne_u16_e32 0x80, v7
	s_cbranch_execz .LBB444_3138
; %bb.3133:                             ;   in Loop: Header=BB444_1478 Depth=1
	v_and_b32_e32 v7, 0xffff, v7
	v_mov_b32_e32 v6, 0x7f800001
	s_mov_b32 s15, exec_lo
	s_delay_alu instid0(VALU_DEP_2) | instskip(NEXT) | instid1(VALU_DEP_1)
	v_and_b32_e32 v142, 0x7f, v7
	v_cmpx_ne_u32_e32 0x7f, v142
	s_cbranch_execz .LBB444_3137
; %bb.3134:                             ;   in Loop: Header=BB444_1478 Depth=1
	v_dual_mov_b32 v7, v10 :: v_dual_and_b32 v6, 7, v7
	v_lshrrev_b32_e32 v141, 3, v142
	s_mov_b32 s16, exec_lo
	v_cmpx_gt_u32_e32 8, v142
; %bb.3135:                             ;   in Loop: Header=BB444_1478 Depth=1
	s_delay_alu instid0(VALU_DEP_3) | instskip(NEXT) | instid1(VALU_DEP_1)
	v_clz_i32_u32_e32 v141, v6
	v_min_u32_e32 v141, 32, v141
	s_delay_alu instid0(VALU_DEP_1) | instskip(SKIP_1) | instid1(VALU_DEP_2)
	v_subrev_nc_u32_e32 v142, 28, v141
	v_sub_nc_u32_e32 v141, 29, v141
	v_lshlrev_b64 v[6:7], v142, v[6:7]
	s_delay_alu instid0(VALU_DEP_1)
	v_and_b32_e32 v6, 7, v6
; %bb.3136:                             ;   in Loop: Header=BB444_1478 Depth=1
	s_or_b32 exec_lo, exec_lo, s16
	v_lshlrev_b32_e32 v7, 16, v9
	s_delay_alu instid0(VALU_DEP_2) | instskip(SKIP_1) | instid1(VALU_DEP_3)
	v_lshlrev_b32_e32 v6, 20, v6
	v_lshl_add_u32 v9, v141, 23, 0x3c000000
	v_and_b32_e32 v7, 0x80000000, v7
	s_delay_alu instid0(VALU_DEP_1)
	v_or3_b32 v6, v6, v7, v9
.LBB444_3137:                           ;   in Loop: Header=BB444_1478 Depth=1
	s_or_b32 exec_lo, exec_lo, s15
.LBB444_3138:                           ;   in Loop: Header=BB444_1478 Depth=1
	s_delay_alu instid0(SALU_CYCLE_1)
	s_or_b32 exec_lo, exec_lo, s13
.LBB444_3139:                           ;   in Loop: Header=BB444_1478 Depth=1
	s_delay_alu instid0(SALU_CYCLE_1) | instskip(NEXT) | instid1(VALU_DEP_1)
	s_or_b32 exec_lo, exec_lo, s12
	v_mul_f32_e32 v6, v8, v6
                                        ; implicit-def: $vgpr141
	s_delay_alu instid0(VALU_DEP_1) | instskip(NEXT) | instid1(VALU_DEP_1)
	v_and_b32_e32 v7, 0x7f800000, v6
	v_cmp_ne_u32_e64 s0, 0x7f800000, v7
	s_delay_alu instid0(VALU_DEP_1) | instskip(NEXT) | instid1(SALU_CYCLE_1)
	s_and_saveexec_b32 s12, s0
	s_xor_b32 s0, exec_lo, s12
; %bb.3140:                             ;   in Loop: Header=BB444_1478 Depth=1
	v_bfe_u32 v7, v6, 16, 1
	s_delay_alu instid0(VALU_DEP_1)
	v_add3_u32 v141, v6, v7, 0x7fff
                                        ; implicit-def: $vgpr6
; %bb.3141:                             ;   in Loop: Header=BB444_1478 Depth=1
	s_and_not1_saveexec_b32 s12, s0
; %bb.3142:                             ;   in Loop: Header=BB444_1478 Depth=1
	v_and_b32_e32 v7, 0xffff, v6
	v_or_b32_e32 v9, 0x10000, v6
	s_delay_alu instid0(VALU_DEP_2) | instskip(NEXT) | instid1(VALU_DEP_1)
	v_cmp_eq_u32_e64 s0, 0, v7
	v_cndmask_b32_e64 v141, v9, v6, s0
; %bb.3143:                             ;   in Loop: Header=BB444_1478 Depth=1
	s_or_b32 exec_lo, exec_lo, s12
	v_lshrrev_b32_e32 v142, 16, v3
	s_mov_b32 s12, exec_lo
	s_delay_alu instid0(VALU_DEP_1) | instskip(NEXT) | instid1(VALU_DEP_1)
	v_dual_mov_b32 v6, 0 :: v_dual_and_b32 v7, 0xff, v142
	v_cmpx_ne_u16_e32 0, v7
	s_cbranch_execz .LBB444_3151
; %bb.3144:                             ;   in Loop: Header=BB444_1478 Depth=1
	v_bfrev_b32_e32 v6, 1
	s_mov_b32 s13, exec_lo
	v_cmpx_ne_u16_e32 0x80, v7
	s_cbranch_execz .LBB444_3150
; %bb.3145:                             ;   in Loop: Header=BB444_1478 Depth=1
	v_bfe_u32 v7, v3, 16, 7
	v_mov_b32_e32 v6, 0x7f800001
	s_mov_b32 s15, exec_lo
	s_delay_alu instid0(VALU_DEP_2)
	v_cmpx_ne_u32_e32 0x7f, v7
	s_cbranch_execz .LBB444_3149
; %bb.3146:                             ;   in Loop: Header=BB444_1478 Depth=1
	v_and_b32_e32 v9, 7, v142
	v_lshrrev_b32_e32 v143, 3, v7
	v_cmp_gt_u32_e64 s0, 8, v7
	s_delay_alu instid0(VALU_DEP_3) | instskip(NEXT) | instid1(VALU_DEP_2)
	v_dual_mov_b32 v6, v9 :: v_dual_mov_b32 v7, v10
	s_and_saveexec_b32 s16, s0
; %bb.3147:                             ;   in Loop: Header=BB444_1478 Depth=1
	v_clz_i32_u32_e32 v6, v9
	s_delay_alu instid0(VALU_DEP_1) | instskip(NEXT) | instid1(VALU_DEP_1)
	v_min_u32_e32 v143, 32, v6
	v_subrev_nc_u32_e32 v6, 28, v143
	v_sub_nc_u32_e32 v143, 29, v143
	s_delay_alu instid0(VALU_DEP_2) | instskip(NEXT) | instid1(VALU_DEP_1)
	v_lshlrev_b64 v[6:7], v6, v[9:10]
	v_and_b32_e32 v6, 7, v6
; %bb.3148:                             ;   in Loop: Header=BB444_1478 Depth=1
	s_or_b32 exec_lo, exec_lo, s16
	v_lshlrev_b32_e32 v7, 24, v142
	s_delay_alu instid0(VALU_DEP_2) | instskip(SKIP_1) | instid1(VALU_DEP_3)
	v_lshlrev_b32_e32 v6, 20, v6
	v_lshl_add_u32 v9, v143, 23, 0x3c000000
	v_and_b32_e32 v7, 0x80000000, v7
	s_delay_alu instid0(VALU_DEP_1)
	v_or3_b32 v6, v6, v7, v9
.LBB444_3149:                           ;   in Loop: Header=BB444_1478 Depth=1
	s_or_b32 exec_lo, exec_lo, s15
.LBB444_3150:                           ;   in Loop: Header=BB444_1478 Depth=1
	s_delay_alu instid0(SALU_CYCLE_1)
	s_or_b32 exec_lo, exec_lo, s13
.LBB444_3151:                           ;   in Loop: Header=BB444_1478 Depth=1
	s_delay_alu instid0(SALU_CYCLE_1) | instskip(NEXT) | instid1(VALU_DEP_1)
	s_or_b32 exec_lo, exec_lo, s12
	v_mul_f32_e32 v6, v8, v6
                                        ; implicit-def: $vgpr142
	s_delay_alu instid0(VALU_DEP_1) | instskip(NEXT) | instid1(VALU_DEP_1)
	v_and_b32_e32 v7, 0x7f800000, v6
	v_cmp_ne_u32_e64 s0, 0x7f800000, v7
	s_delay_alu instid0(VALU_DEP_1) | instskip(NEXT) | instid1(SALU_CYCLE_1)
	s_and_saveexec_b32 s12, s0
	s_xor_b32 s0, exec_lo, s12
; %bb.3152:                             ;   in Loop: Header=BB444_1478 Depth=1
	v_bfe_u32 v7, v6, 16, 1
	s_delay_alu instid0(VALU_DEP_1)
	v_add3_u32 v142, v6, v7, 0x7fff
                                        ; implicit-def: $vgpr6
; %bb.3153:                             ;   in Loop: Header=BB444_1478 Depth=1
	s_and_not1_saveexec_b32 s12, s0
; %bb.3154:                             ;   in Loop: Header=BB444_1478 Depth=1
	v_and_b32_e32 v7, 0xffff, v6
	v_or_b32_e32 v9, 0x10000, v6
	s_delay_alu instid0(VALU_DEP_2) | instskip(NEXT) | instid1(VALU_DEP_1)
	v_cmp_eq_u32_e64 s0, 0, v7
	v_cndmask_b32_e64 v142, v9, v6, s0
; %bb.3155:                             ;   in Loop: Header=BB444_1478 Depth=1
	s_or_b32 exec_lo, exec_lo, s12
	v_cmp_lt_u64_e64 s0, s[8:9], v[2:3]
	v_mov_b32_e32 v2, 0
	s_delay_alu instid0(VALU_DEP_2)
	s_and_saveexec_b32 s12, s0
	s_cbranch_execz .LBB444_3163
; %bb.3156:                             ;   in Loop: Header=BB444_1478 Depth=1
	v_lshrrev_b32_e32 v6, 24, v3
	v_bfrev_b32_e32 v2, 1
	s_mov_b32 s13, exec_lo
	s_delay_alu instid0(VALU_DEP_2)
	v_cmpx_ne_u32_e32 0x80, v6
	s_cbranch_execz .LBB444_3162
; %bb.3157:                             ;   in Loop: Header=BB444_1478 Depth=1
	v_bfe_u32 v3, v3, 24, 7
	v_mov_b32_e32 v2, 0x7f800001
	s_mov_b32 s15, exec_lo
	s_delay_alu instid0(VALU_DEP_2)
	v_cmpx_ne_u32_e32 0x7f, v3
	s_cbranch_execz .LBB444_3161
; %bb.3158:                             ;   in Loop: Header=BB444_1478 Depth=1
	v_and_b32_e32 v9, 7, v6
	v_lshrrev_b32_e32 v7, 3, v3
	v_cmp_gt_u32_e64 s0, 8, v3
	s_delay_alu instid0(VALU_DEP_3) | instskip(NEXT) | instid1(VALU_DEP_2)
	v_dual_mov_b32 v2, v9 :: v_dual_mov_b32 v3, v10
	s_and_saveexec_b32 s16, s0
; %bb.3159:                             ;   in Loop: Header=BB444_1478 Depth=1
	v_clz_i32_u32_e32 v2, v9
	s_delay_alu instid0(VALU_DEP_1) | instskip(NEXT) | instid1(VALU_DEP_1)
	v_min_u32_e32 v7, 32, v2
	v_subrev_nc_u32_e32 v2, 28, v7
	v_sub_nc_u32_e32 v7, 29, v7
	s_delay_alu instid0(VALU_DEP_2) | instskip(NEXT) | instid1(VALU_DEP_1)
	v_lshlrev_b64 v[2:3], v2, v[9:10]
	v_and_b32_e32 v2, 7, v2
; %bb.3160:                             ;   in Loop: Header=BB444_1478 Depth=1
	s_or_b32 exec_lo, exec_lo, s16
	v_lshlrev_b32_e32 v3, 24, v6
	s_delay_alu instid0(VALU_DEP_2) | instskip(SKIP_1) | instid1(VALU_DEP_3)
	v_lshlrev_b32_e32 v2, 20, v2
	v_lshl_add_u32 v6, v7, 23, 0x3c000000
	v_and_b32_e32 v3, 0x80000000, v3
	s_delay_alu instid0(VALU_DEP_1)
	v_or3_b32 v2, v2, v3, v6
.LBB444_3161:                           ;   in Loop: Header=BB444_1478 Depth=1
	s_or_b32 exec_lo, exec_lo, s15
.LBB444_3162:                           ;   in Loop: Header=BB444_1478 Depth=1
	s_delay_alu instid0(SALU_CYCLE_1)
	s_or_b32 exec_lo, exec_lo, s13
.LBB444_3163:                           ;   in Loop: Header=BB444_1478 Depth=1
	s_delay_alu instid0(SALU_CYCLE_1) | instskip(NEXT) | instid1(VALU_DEP_1)
	s_or_b32 exec_lo, exec_lo, s12
	v_mul_f32_e32 v3, v8, v2
	s_delay_alu instid0(VALU_DEP_1) | instskip(NEXT) | instid1(VALU_DEP_1)
	v_and_b32_e32 v2, 0x7f800000, v3
	v_cmp_ne_u32_e64 s0, 0x7f800000, v2
                                        ; implicit-def: $vgpr2
	s_delay_alu instid0(VALU_DEP_1) | instskip(NEXT) | instid1(SALU_CYCLE_1)
	s_and_saveexec_b32 s12, s0
	s_xor_b32 s0, exec_lo, s12
; %bb.3164:                             ;   in Loop: Header=BB444_1478 Depth=1
	v_bfe_u32 v2, v3, 16, 1
	s_delay_alu instid0(VALU_DEP_1)
	v_add3_u32 v2, v3, v2, 0x7fff
                                        ; implicit-def: $vgpr3
; %bb.3165:                             ;   in Loop: Header=BB444_1478 Depth=1
	s_and_not1_saveexec_b32 s12, s0
; %bb.3166:                             ;   in Loop: Header=BB444_1478 Depth=1
	v_and_b32_e32 v2, 0xffff, v3
	v_or_b32_e32 v6, 0x10000, v3
	s_delay_alu instid0(VALU_DEP_2) | instskip(NEXT) | instid1(VALU_DEP_1)
	v_cmp_eq_u32_e64 s0, 0, v2
	v_cndmask_b32_e64 v2, v6, v3, s0
; %bb.3167:                             ;   in Loop: Header=BB444_1478 Depth=1
	s_or_b32 exec_lo, exec_lo, s12
	v_lshrrev_b32_e32 v6, 16, v141
	v_lshrrev_b32_e32 v7, 16, v140
	;; [unrolled: 1-line block ×8, first 2 shown]
	s_and_saveexec_b32 s12, vcc_lo
	s_cbranch_execz .LBB444_3169
; %bb.3168:                             ;   in Loop: Header=BB444_1478 Depth=1
	v_cmp_lt_i32_e64 s0, v85, v38
	s_delay_alu instid0(VALU_DEP_1) | instskip(SKIP_1) | instid1(VALU_DEP_1)
	v_cndmask_b32_e64 v136, 0, v136, s0
	v_cmp_lt_i32_e64 s0, v100, v38
	v_cndmask_b32_e64 v137, 0, v137, s0
	v_cmp_lt_i32_e64 s0, v99, v38
	s_delay_alu instid0(VALU_DEP_1) | instskip(SKIP_1) | instid1(VALU_DEP_1)
	v_cndmask_b32_e64 v138, 0, v138, s0
	v_cmp_lt_i32_e64 s0, v98, v38
	v_cndmask_b32_e64 v9, 0, v9, s0
	;; [unrolled: 5-line block ×4, first 2 shown]
.LBB444_3169:                           ;   in Loop: Header=BB444_1478 Depth=1
	s_or_b32 exec_lo, exec_lo, s12
	v_lshlrev_b32_e32 v136, 16, v136
	s_delay_alu instid0(VALU_DEP_1) | instskip(NEXT) | instid1(VALU_DEP_1)
	v_mul_f32_e32 v139, v101, v136
	v_and_b32_e32 v136, 0x7f800000, v139
	s_delay_alu instid0(VALU_DEP_1) | instskip(NEXT) | instid1(VALU_DEP_1)
	v_cmp_ne_u32_e64 s0, 0x7f800000, v136
                                        ; implicit-def: $vgpr136
	s_and_saveexec_b32 s12, s0
	s_delay_alu instid0(SALU_CYCLE_1)
	s_xor_b32 s0, exec_lo, s12
; %bb.3170:                             ;   in Loop: Header=BB444_1478 Depth=1
	v_bfe_u32 v136, v139, 16, 1
	s_delay_alu instid0(VALU_DEP_1)
	v_add3_u32 v136, v139, v136, 0x7fff
                                        ; implicit-def: $vgpr139
; %bb.3171:                             ;   in Loop: Header=BB444_1478 Depth=1
	s_and_not1_saveexec_b32 s12, s0
; %bb.3172:                             ;   in Loop: Header=BB444_1478 Depth=1
	v_and_b32_e32 v136, 0xffff, v139
	v_or_b32_e32 v140, 0x10000, v139
	s_delay_alu instid0(VALU_DEP_2) | instskip(NEXT) | instid1(VALU_DEP_1)
	v_cmp_eq_u32_e64 s0, 0, v136
	v_cndmask_b32_e64 v136, v140, v139, s0
; %bb.3173:                             ;   in Loop: Header=BB444_1478 Depth=1
	s_or_b32 exec_lo, exec_lo, s12
	v_lshlrev_b32_e32 v137, 16, v137
	s_delay_alu instid0(VALU_DEP_1) | instskip(NEXT) | instid1(VALU_DEP_1)
	v_mul_f32_e32 v139, v102, v137
	v_and_b32_e32 v137, 0x7f800000, v139
	s_delay_alu instid0(VALU_DEP_1) | instskip(NEXT) | instid1(VALU_DEP_1)
	v_cmp_ne_u32_e64 s0, 0x7f800000, v137
                                        ; implicit-def: $vgpr137
	s_and_saveexec_b32 s12, s0
	s_delay_alu instid0(SALU_CYCLE_1)
	s_xor_b32 s0, exec_lo, s12
; %bb.3174:                             ;   in Loop: Header=BB444_1478 Depth=1
	v_bfe_u32 v137, v139, 16, 1
	s_delay_alu instid0(VALU_DEP_1)
	v_add3_u32 v137, v139, v137, 0x7fff
                                        ; implicit-def: $vgpr139
; %bb.3175:                             ;   in Loop: Header=BB444_1478 Depth=1
	s_and_not1_saveexec_b32 s12, s0
; %bb.3176:                             ;   in Loop: Header=BB444_1478 Depth=1
	v_and_b32_e32 v137, 0xffff, v139
	v_or_b32_e32 v140, 0x10000, v139
	s_delay_alu instid0(VALU_DEP_2) | instskip(NEXT) | instid1(VALU_DEP_1)
	v_cmp_eq_u32_e64 s0, 0, v137
	v_cndmask_b32_e64 v137, v140, v139, s0
; %bb.3177:                             ;   in Loop: Header=BB444_1478 Depth=1
	s_or_b32 exec_lo, exec_lo, s12
	v_lshlrev_b32_e32 v138, 16, v138
	s_delay_alu instid0(VALU_DEP_1) | instskip(NEXT) | instid1(VALU_DEP_1)
	v_mul_f32_e32 v139, v103, v138
	v_and_b32_e32 v138, 0x7f800000, v139
	s_delay_alu instid0(VALU_DEP_1) | instskip(NEXT) | instid1(VALU_DEP_1)
	v_cmp_ne_u32_e64 s0, 0x7f800000, v138
                                        ; implicit-def: $vgpr138
	s_and_saveexec_b32 s12, s0
	s_delay_alu instid0(SALU_CYCLE_1)
	s_xor_b32 s0, exec_lo, s12
; %bb.3178:                             ;   in Loop: Header=BB444_1478 Depth=1
	v_bfe_u32 v138, v139, 16, 1
	s_delay_alu instid0(VALU_DEP_1)
	v_add3_u32 v138, v139, v138, 0x7fff
                                        ; implicit-def: $vgpr139
; %bb.3179:                             ;   in Loop: Header=BB444_1478 Depth=1
	s_and_not1_saveexec_b32 s12, s0
; %bb.3180:                             ;   in Loop: Header=BB444_1478 Depth=1
	v_and_b32_e32 v138, 0xffff, v139
	v_or_b32_e32 v140, 0x10000, v139
	s_delay_alu instid0(VALU_DEP_2) | instskip(NEXT) | instid1(VALU_DEP_1)
	v_cmp_eq_u32_e64 s0, 0, v138
	v_cndmask_b32_e64 v138, v140, v139, s0
; %bb.3181:                             ;   in Loop: Header=BB444_1478 Depth=1
	s_or_b32 exec_lo, exec_lo, s12
	v_lshlrev_b32_e32 v9, 16, v9
	s_delay_alu instid0(VALU_DEP_1) | instskip(NEXT) | instid1(VALU_DEP_1)
	v_mul_f32_e32 v9, v112, v9
	v_and_b32_e32 v139, 0x7f800000, v9
	s_delay_alu instid0(VALU_DEP_1) | instskip(NEXT) | instid1(VALU_DEP_1)
	v_cmp_ne_u32_e64 s0, 0x7f800000, v139
                                        ; implicit-def: $vgpr139
	s_and_saveexec_b32 s12, s0
	s_delay_alu instid0(SALU_CYCLE_1)
	s_xor_b32 s0, exec_lo, s12
; %bb.3182:                             ;   in Loop: Header=BB444_1478 Depth=1
	v_bfe_u32 v139, v9, 16, 1
	s_delay_alu instid0(VALU_DEP_1)
	v_add3_u32 v139, v9, v139, 0x7fff
                                        ; implicit-def: $vgpr9
; %bb.3183:                             ;   in Loop: Header=BB444_1478 Depth=1
	s_and_not1_saveexec_b32 s12, s0
; %bb.3184:                             ;   in Loop: Header=BB444_1478 Depth=1
	v_and_b32_e32 v139, 0xffff, v9
	v_or_b32_e32 v140, 0x10000, v9
	s_delay_alu instid0(VALU_DEP_2) | instskip(NEXT) | instid1(VALU_DEP_1)
	v_cmp_eq_u32_e64 s0, 0, v139
	v_cndmask_b32_e64 v139, v140, v9, s0
; %bb.3185:                             ;   in Loop: Header=BB444_1478 Depth=1
	s_or_b32 exec_lo, exec_lo, s12
	v_lshlrev_b32_e32 v7, 16, v7
                                        ; implicit-def: $vgpr140
	s_delay_alu instid0(VALU_DEP_1) | instskip(NEXT) | instid1(VALU_DEP_1)
	v_mul_f32_e32 v7, v113, v7
	v_and_b32_e32 v9, 0x7f800000, v7
	s_delay_alu instid0(VALU_DEP_1) | instskip(NEXT) | instid1(VALU_DEP_1)
	v_cmp_ne_u32_e64 s0, 0x7f800000, v9
	s_and_saveexec_b32 s12, s0
	s_delay_alu instid0(SALU_CYCLE_1)
	s_xor_b32 s0, exec_lo, s12
; %bb.3186:                             ;   in Loop: Header=BB444_1478 Depth=1
	v_bfe_u32 v9, v7, 16, 1
	s_delay_alu instid0(VALU_DEP_1)
	v_add3_u32 v140, v7, v9, 0x7fff
                                        ; implicit-def: $vgpr7
; %bb.3187:                             ;   in Loop: Header=BB444_1478 Depth=1
	s_and_not1_saveexec_b32 s12, s0
; %bb.3188:                             ;   in Loop: Header=BB444_1478 Depth=1
	v_and_b32_e32 v9, 0xffff, v7
	v_or_b32_e32 v140, 0x10000, v7
	s_delay_alu instid0(VALU_DEP_2) | instskip(NEXT) | instid1(VALU_DEP_1)
	v_cmp_eq_u32_e64 s0, 0, v9
	v_cndmask_b32_e64 v140, v140, v7, s0
; %bb.3189:                             ;   in Loop: Header=BB444_1478 Depth=1
	s_or_b32 exec_lo, exec_lo, s12
	v_lshlrev_b32_e32 v6, 16, v6
                                        ; implicit-def: $vgpr141
	s_delay_alu instid0(VALU_DEP_1) | instskip(NEXT) | instid1(VALU_DEP_1)
	v_mul_f32_e32 v6, v114, v6
	v_and_b32_e32 v7, 0x7f800000, v6
	s_delay_alu instid0(VALU_DEP_1) | instskip(NEXT) | instid1(VALU_DEP_1)
	v_cmp_ne_u32_e64 s0, 0x7f800000, v7
	s_and_saveexec_b32 s12, s0
	s_delay_alu instid0(SALU_CYCLE_1)
	s_xor_b32 s0, exec_lo, s12
; %bb.3190:                             ;   in Loop: Header=BB444_1478 Depth=1
	v_bfe_u32 v7, v6, 16, 1
	s_delay_alu instid0(VALU_DEP_1)
	v_add3_u32 v141, v6, v7, 0x7fff
                                        ; implicit-def: $vgpr6
; %bb.3191:                             ;   in Loop: Header=BB444_1478 Depth=1
	s_and_not1_saveexec_b32 s12, s0
; %bb.3192:                             ;   in Loop: Header=BB444_1478 Depth=1
	v_and_b32_e32 v7, 0xffff, v6
	v_or_b32_e32 v9, 0x10000, v6
	s_delay_alu instid0(VALU_DEP_2) | instskip(NEXT) | instid1(VALU_DEP_1)
	v_cmp_eq_u32_e64 s0, 0, v7
	v_cndmask_b32_e64 v141, v9, v6, s0
; %bb.3193:                             ;   in Loop: Header=BB444_1478 Depth=1
	s_or_b32 exec_lo, exec_lo, s12
	v_lshlrev_b32_e32 v3, 16, v3
                                        ; implicit-def: $vgpr142
	s_delay_alu instid0(VALU_DEP_1) | instskip(NEXT) | instid1(VALU_DEP_1)
	v_mul_f32_e32 v3, v115, v3
	v_and_b32_e32 v6, 0x7f800000, v3
	s_delay_alu instid0(VALU_DEP_1) | instskip(NEXT) | instid1(VALU_DEP_1)
	v_cmp_ne_u32_e64 s0, 0x7f800000, v6
	s_and_saveexec_b32 s12, s0
	s_delay_alu instid0(SALU_CYCLE_1)
	s_xor_b32 s0, exec_lo, s12
; %bb.3194:                             ;   in Loop: Header=BB444_1478 Depth=1
	v_bfe_u32 v6, v3, 16, 1
	s_delay_alu instid0(VALU_DEP_1)
	v_add3_u32 v142, v3, v6, 0x7fff
                                        ; implicit-def: $vgpr3
; %bb.3195:                             ;   in Loop: Header=BB444_1478 Depth=1
	s_and_not1_saveexec_b32 s12, s0
; %bb.3196:                             ;   in Loop: Header=BB444_1478 Depth=1
	v_and_b32_e32 v6, 0xffff, v3
	v_or_b32_e32 v7, 0x10000, v3
	s_delay_alu instid0(VALU_DEP_2) | instskip(NEXT) | instid1(VALU_DEP_1)
	v_cmp_eq_u32_e64 s0, 0, v6
	v_cndmask_b32_e64 v142, v7, v3, s0
; %bb.3197:                             ;   in Loop: Header=BB444_1478 Depth=1
	s_or_b32 exec_lo, exec_lo, s12
	v_lshlrev_b32_e32 v2, 16, v2
                                        ; implicit-def: $vgpr143
	s_delay_alu instid0(VALU_DEP_1) | instskip(NEXT) | instid1(VALU_DEP_1)
	v_mul_f32_e32 v2, v116, v2
	v_and_b32_e32 v3, 0x7f800000, v2
	s_delay_alu instid0(VALU_DEP_1) | instskip(NEXT) | instid1(VALU_DEP_1)
	v_cmp_ne_u32_e64 s0, 0x7f800000, v3
	s_and_saveexec_b32 s12, s0
	s_delay_alu instid0(SALU_CYCLE_1)
	s_xor_b32 s0, exec_lo, s12
; %bb.3198:                             ;   in Loop: Header=BB444_1478 Depth=1
	v_bfe_u32 v3, v2, 16, 1
	s_delay_alu instid0(VALU_DEP_1)
	v_add3_u32 v143, v2, v3, 0x7fff
                                        ; implicit-def: $vgpr2
; %bb.3199:                             ;   in Loop: Header=BB444_1478 Depth=1
	s_and_not1_saveexec_b32 s12, s0
; %bb.3200:                             ;   in Loop: Header=BB444_1478 Depth=1
	v_and_b32_e32 v3, 0xffff, v2
	v_or_b32_e32 v6, 0x10000, v2
	s_delay_alu instid0(VALU_DEP_2) | instskip(NEXT) | instid1(VALU_DEP_1)
	v_cmp_eq_u32_e64 s0, 0, v3
	v_cndmask_b32_e64 v143, v6, v2, s0
; %bb.3201:                             ;   in Loop: Header=BB444_1478 Depth=1
	s_or_b32 exec_lo, exec_lo, s12
	flat_load_b64 v[2:3], v[0:1] offset:3328
	s_mov_b32 s12, exec_lo
	s_waitcnt vmcnt(0) lgkmcnt(0)
	v_dual_mov_b32 v6, 0 :: v_dual_and_b32 v7, 0xff, v2
	s_delay_alu instid0(VALU_DEP_1)
	v_cmpx_ne_u16_e32 0, v7
	s_cbranch_execz .LBB444_3209
; %bb.3202:                             ;   in Loop: Header=BB444_1478 Depth=1
	v_bfrev_b32_e32 v6, 1
	s_mov_b32 s13, exec_lo
	v_cmpx_ne_u16_e32 0x80, v7
	s_cbranch_execz .LBB444_3208
; %bb.3203:                             ;   in Loop: Header=BB444_1478 Depth=1
	v_and_b32_e32 v7, 0x7f, v2
	v_mov_b32_e32 v6, 0x7f800001
	s_mov_b32 s15, exec_lo
	s_delay_alu instid0(VALU_DEP_2)
	v_cmpx_ne_u32_e32 0x7f, v7
	s_cbranch_execz .LBB444_3207
; %bb.3204:                             ;   in Loop: Header=BB444_1478 Depth=1
	v_lshrrev_b32_e32 v9, 3, v7
	v_cmp_gt_u32_e64 s0, 8, v7
	v_dual_mov_b32 v7, v3 :: v_dual_mov_b32 v6, v2
	s_delay_alu instid0(VALU_DEP_2)
	s_and_saveexec_b32 s16, s0
; %bb.3205:                             ;   in Loop: Header=BB444_1478 Depth=1
	v_and_b32_e32 v6, 7, v2
	s_delay_alu instid0(VALU_DEP_1) | instskip(NEXT) | instid1(VALU_DEP_1)
	v_clz_i32_u32_e32 v6, v6
	v_min_u32_e32 v9, 32, v6
	s_delay_alu instid0(VALU_DEP_1) | instskip(SKIP_1) | instid1(VALU_DEP_2)
	v_subrev_nc_u32_e32 v6, 28, v9
	v_sub_nc_u32_e32 v9, 29, v9
	v_lshlrev_b64 v[6:7], v6, v[2:3]
; %bb.3206:                             ;   in Loop: Header=BB444_1478 Depth=1
	s_or_b32 exec_lo, exec_lo, s16
	s_delay_alu instid0(VALU_DEP_1) | instskip(SKIP_2) | instid1(VALU_DEP_3)
	v_lshlrev_b32_e32 v6, 20, v6
	v_lshlrev_b32_e32 v7, 24, v2
	v_lshl_add_u32 v9, v9, 23, 0x3c000000
	v_and_b32_e32 v6, 0x700000, v6
	s_delay_alu instid0(VALU_DEP_3) | instskip(NEXT) | instid1(VALU_DEP_1)
	v_and_b32_e32 v7, 0x80000000, v7
	v_or3_b32 v6, v6, v7, v9
.LBB444_3207:                           ;   in Loop: Header=BB444_1478 Depth=1
	s_or_b32 exec_lo, exec_lo, s15
.LBB444_3208:                           ;   in Loop: Header=BB444_1478 Depth=1
	s_delay_alu instid0(SALU_CYCLE_1)
	s_or_b32 exec_lo, exec_lo, s13
.LBB444_3209:                           ;   in Loop: Header=BB444_1478 Depth=1
	s_delay_alu instid0(SALU_CYCLE_1) | instskip(NEXT) | instid1(VALU_DEP_1)
	s_or_b32 exec_lo, exec_lo, s12
	v_mul_f32_e32 v6, v8, v6
                                        ; implicit-def: $vgpr152
	s_delay_alu instid0(VALU_DEP_1) | instskip(NEXT) | instid1(VALU_DEP_1)
	v_and_b32_e32 v7, 0x7f800000, v6
	v_cmp_ne_u32_e64 s0, 0x7f800000, v7
	s_delay_alu instid0(VALU_DEP_1) | instskip(NEXT) | instid1(SALU_CYCLE_1)
	s_and_saveexec_b32 s12, s0
	s_xor_b32 s0, exec_lo, s12
; %bb.3210:                             ;   in Loop: Header=BB444_1478 Depth=1
	v_bfe_u32 v7, v6, 16, 1
	s_delay_alu instid0(VALU_DEP_1)
	v_add3_u32 v152, v6, v7, 0x7fff
                                        ; implicit-def: $vgpr6
; %bb.3211:                             ;   in Loop: Header=BB444_1478 Depth=1
	s_and_not1_saveexec_b32 s12, s0
; %bb.3212:                             ;   in Loop: Header=BB444_1478 Depth=1
	v_and_b32_e32 v7, 0xffff, v6
	v_or_b32_e32 v9, 0x10000, v6
	s_delay_alu instid0(VALU_DEP_2) | instskip(NEXT) | instid1(VALU_DEP_1)
	v_cmp_eq_u32_e64 s0, 0, v7
	v_cndmask_b32_e64 v152, v9, v6, s0
; %bb.3213:                             ;   in Loop: Header=BB444_1478 Depth=1
	s_or_b32 exec_lo, exec_lo, s12
	v_lshrrev_b16 v7, 8, v2
	v_mov_b32_e32 v6, 0
	s_mov_b32 s12, exec_lo
	s_delay_alu instid0(VALU_DEP_2)
	v_cmpx_ne_u16_e32 0, v7
	s_cbranch_execz .LBB444_3221
; %bb.3214:                             ;   in Loop: Header=BB444_1478 Depth=1
	v_bfrev_b32_e32 v6, 1
	s_mov_b32 s13, exec_lo
	v_cmpx_ne_u16_e32 0x80, v7
	s_cbranch_execz .LBB444_3220
; %bb.3215:                             ;   in Loop: Header=BB444_1478 Depth=1
	v_and_b32_e32 v9, 0xffff, v7
	v_mov_b32_e32 v6, 0x7f800001
	s_mov_b32 s15, exec_lo
	s_delay_alu instid0(VALU_DEP_2) | instskip(NEXT) | instid1(VALU_DEP_1)
	v_and_b32_e32 v7, 0x7f, v9
	v_cmpx_ne_u32_e32 0x7f, v7
	s_cbranch_execz .LBB444_3219
; %bb.3216:                             ;   in Loop: Header=BB444_1478 Depth=1
	v_and_b32_e32 v9, 7, v9
	v_lshrrev_b32_e32 v153, 3, v7
	v_cmp_gt_u32_e64 s0, 8, v7
	s_delay_alu instid0(VALU_DEP_3) | instskip(NEXT) | instid1(VALU_DEP_2)
	v_dual_mov_b32 v6, v9 :: v_dual_mov_b32 v7, v10
	s_and_saveexec_b32 s16, s0
; %bb.3217:                             ;   in Loop: Header=BB444_1478 Depth=1
	v_clz_i32_u32_e32 v6, v9
	s_delay_alu instid0(VALU_DEP_1) | instskip(NEXT) | instid1(VALU_DEP_1)
	v_min_u32_e32 v153, 32, v6
	v_subrev_nc_u32_e32 v6, 28, v153
	v_sub_nc_u32_e32 v153, 29, v153
	s_delay_alu instid0(VALU_DEP_2) | instskip(NEXT) | instid1(VALU_DEP_1)
	v_lshlrev_b64 v[6:7], v6, v[9:10]
	v_and_b32_e32 v6, 7, v6
; %bb.3218:                             ;   in Loop: Header=BB444_1478 Depth=1
	s_or_b32 exec_lo, exec_lo, s16
	v_lshlrev_b32_e32 v7, 16, v2
	s_delay_alu instid0(VALU_DEP_2) | instskip(SKIP_1) | instid1(VALU_DEP_3)
	v_lshlrev_b32_e32 v6, 20, v6
	v_lshl_add_u32 v9, v153, 23, 0x3c000000
	v_and_b32_e32 v7, 0x80000000, v7
	s_delay_alu instid0(VALU_DEP_1)
	v_or3_b32 v6, v6, v7, v9
.LBB444_3219:                           ;   in Loop: Header=BB444_1478 Depth=1
	s_or_b32 exec_lo, exec_lo, s15
.LBB444_3220:                           ;   in Loop: Header=BB444_1478 Depth=1
	s_delay_alu instid0(SALU_CYCLE_1)
	s_or_b32 exec_lo, exec_lo, s13
.LBB444_3221:                           ;   in Loop: Header=BB444_1478 Depth=1
	s_delay_alu instid0(SALU_CYCLE_1) | instskip(NEXT) | instid1(VALU_DEP_1)
	s_or_b32 exec_lo, exec_lo, s12
	v_mul_f32_e32 v6, v8, v6
                                        ; implicit-def: $vgpr153
	s_delay_alu instid0(VALU_DEP_1) | instskip(NEXT) | instid1(VALU_DEP_1)
	v_and_b32_e32 v7, 0x7f800000, v6
	v_cmp_ne_u32_e64 s0, 0x7f800000, v7
	s_delay_alu instid0(VALU_DEP_1) | instskip(NEXT) | instid1(SALU_CYCLE_1)
	s_and_saveexec_b32 s12, s0
	s_xor_b32 s0, exec_lo, s12
; %bb.3222:                             ;   in Loop: Header=BB444_1478 Depth=1
	v_bfe_u32 v7, v6, 16, 1
	s_delay_alu instid0(VALU_DEP_1)
	v_add3_u32 v153, v6, v7, 0x7fff
                                        ; implicit-def: $vgpr6
; %bb.3223:                             ;   in Loop: Header=BB444_1478 Depth=1
	s_and_not1_saveexec_b32 s12, s0
; %bb.3224:                             ;   in Loop: Header=BB444_1478 Depth=1
	v_and_b32_e32 v7, 0xffff, v6
	v_or_b32_e32 v9, 0x10000, v6
	s_delay_alu instid0(VALU_DEP_2) | instskip(NEXT) | instid1(VALU_DEP_1)
	v_cmp_eq_u32_e64 s0, 0, v7
	v_cndmask_b32_e64 v153, v9, v6, s0
; %bb.3225:                             ;   in Loop: Header=BB444_1478 Depth=1
	s_or_b32 exec_lo, exec_lo, s12
	v_lshrrev_b32_e32 v154, 16, v2
	s_mov_b32 s12, exec_lo
	s_delay_alu instid0(VALU_DEP_1) | instskip(NEXT) | instid1(VALU_DEP_1)
	v_dual_mov_b32 v6, 0 :: v_dual_and_b32 v7, 0xff, v154
	v_cmpx_ne_u16_e32 0, v7
	s_cbranch_execz .LBB444_3233
; %bb.3226:                             ;   in Loop: Header=BB444_1478 Depth=1
	v_bfrev_b32_e32 v6, 1
	s_mov_b32 s13, exec_lo
	v_cmpx_ne_u16_e32 0x80, v7
	s_cbranch_execz .LBB444_3232
; %bb.3227:                             ;   in Loop: Header=BB444_1478 Depth=1
	v_bfe_u32 v7, v2, 16, 7
	v_mov_b32_e32 v6, 0x7f800001
	s_mov_b32 s15, exec_lo
	s_delay_alu instid0(VALU_DEP_2)
	v_cmpx_ne_u32_e32 0x7f, v7
	s_cbranch_execz .LBB444_3231
; %bb.3228:                             ;   in Loop: Header=BB444_1478 Depth=1
	v_and_b32_e32 v9, 7, v154
	v_lshrrev_b32_e32 v155, 3, v7
	v_cmp_gt_u32_e64 s0, 8, v7
	s_delay_alu instid0(VALU_DEP_3) | instskip(NEXT) | instid1(VALU_DEP_2)
	v_dual_mov_b32 v6, v9 :: v_dual_mov_b32 v7, v10
	s_and_saveexec_b32 s16, s0
; %bb.3229:                             ;   in Loop: Header=BB444_1478 Depth=1
	v_clz_i32_u32_e32 v6, v9
	s_delay_alu instid0(VALU_DEP_1) | instskip(NEXT) | instid1(VALU_DEP_1)
	v_min_u32_e32 v155, 32, v6
	v_subrev_nc_u32_e32 v6, 28, v155
	v_sub_nc_u32_e32 v155, 29, v155
	s_delay_alu instid0(VALU_DEP_2) | instskip(NEXT) | instid1(VALU_DEP_1)
	v_lshlrev_b64 v[6:7], v6, v[9:10]
	v_and_b32_e32 v6, 7, v6
; %bb.3230:                             ;   in Loop: Header=BB444_1478 Depth=1
	s_or_b32 exec_lo, exec_lo, s16
	v_lshlrev_b32_e32 v7, 24, v154
	s_delay_alu instid0(VALU_DEP_2) | instskip(SKIP_1) | instid1(VALU_DEP_3)
	v_lshlrev_b32_e32 v6, 20, v6
	v_lshl_add_u32 v9, v155, 23, 0x3c000000
	v_and_b32_e32 v7, 0x80000000, v7
	s_delay_alu instid0(VALU_DEP_1)
	v_or3_b32 v6, v6, v7, v9
.LBB444_3231:                           ;   in Loop: Header=BB444_1478 Depth=1
	s_or_b32 exec_lo, exec_lo, s15
.LBB444_3232:                           ;   in Loop: Header=BB444_1478 Depth=1
	s_delay_alu instid0(SALU_CYCLE_1)
	s_or_b32 exec_lo, exec_lo, s13
.LBB444_3233:                           ;   in Loop: Header=BB444_1478 Depth=1
	s_delay_alu instid0(SALU_CYCLE_1) | instskip(NEXT) | instid1(VALU_DEP_1)
	s_or_b32 exec_lo, exec_lo, s12
	v_mul_f32_e32 v6, v8, v6
                                        ; implicit-def: $vgpr154
	s_delay_alu instid0(VALU_DEP_1) | instskip(NEXT) | instid1(VALU_DEP_1)
	v_and_b32_e32 v7, 0x7f800000, v6
	v_cmp_ne_u32_e64 s0, 0x7f800000, v7
	s_delay_alu instid0(VALU_DEP_1) | instskip(NEXT) | instid1(SALU_CYCLE_1)
	s_and_saveexec_b32 s12, s0
	s_xor_b32 s0, exec_lo, s12
; %bb.3234:                             ;   in Loop: Header=BB444_1478 Depth=1
	v_bfe_u32 v7, v6, 16, 1
	s_delay_alu instid0(VALU_DEP_1)
	v_add3_u32 v154, v6, v7, 0x7fff
                                        ; implicit-def: $vgpr6
; %bb.3235:                             ;   in Loop: Header=BB444_1478 Depth=1
	s_and_not1_saveexec_b32 s12, s0
; %bb.3236:                             ;   in Loop: Header=BB444_1478 Depth=1
	v_and_b32_e32 v7, 0xffff, v6
	v_or_b32_e32 v9, 0x10000, v6
	s_delay_alu instid0(VALU_DEP_2) | instskip(NEXT) | instid1(VALU_DEP_1)
	v_cmp_eq_u32_e64 s0, 0, v7
	v_cndmask_b32_e64 v154, v9, v6, s0
; %bb.3237:                             ;   in Loop: Header=BB444_1478 Depth=1
	s_or_b32 exec_lo, exec_lo, s12
	v_mov_b32_e32 v6, 0
	s_mov_b32 s12, exec_lo
	v_cmpx_lt_u32_e32 0xffffff, v2
	s_cbranch_execz .LBB444_3245
; %bb.3238:                             ;   in Loop: Header=BB444_1478 Depth=1
	v_lshrrev_b32_e32 v155, 24, v2
	v_bfrev_b32_e32 v6, 1
	s_mov_b32 s13, exec_lo
	s_delay_alu instid0(VALU_DEP_2)
	v_cmpx_ne_u32_e32 0x80, v155
	s_cbranch_execz .LBB444_3244
; %bb.3239:                             ;   in Loop: Header=BB444_1478 Depth=1
	v_bfe_u32 v7, v2, 24, 7
	v_mov_b32_e32 v6, 0x7f800001
	s_mov_b32 s15, exec_lo
	s_delay_alu instid0(VALU_DEP_2)
	v_cmpx_ne_u32_e32 0x7f, v7
	s_cbranch_execz .LBB444_3243
; %bb.3240:                             ;   in Loop: Header=BB444_1478 Depth=1
	v_and_b32_e32 v9, 7, v155
	v_lshrrev_b32_e32 v156, 3, v7
	v_cmp_gt_u32_e64 s0, 8, v7
	s_delay_alu instid0(VALU_DEP_3) | instskip(NEXT) | instid1(VALU_DEP_2)
	v_dual_mov_b32 v6, v9 :: v_dual_mov_b32 v7, v10
	s_and_saveexec_b32 s16, s0
; %bb.3241:                             ;   in Loop: Header=BB444_1478 Depth=1
	v_clz_i32_u32_e32 v6, v9
	s_delay_alu instid0(VALU_DEP_1) | instskip(NEXT) | instid1(VALU_DEP_1)
	v_min_u32_e32 v156, 32, v6
	v_subrev_nc_u32_e32 v6, 28, v156
	v_sub_nc_u32_e32 v156, 29, v156
	s_delay_alu instid0(VALU_DEP_2) | instskip(NEXT) | instid1(VALU_DEP_1)
	v_lshlrev_b64 v[6:7], v6, v[9:10]
	v_and_b32_e32 v6, 7, v6
; %bb.3242:                             ;   in Loop: Header=BB444_1478 Depth=1
	s_or_b32 exec_lo, exec_lo, s16
	v_lshlrev_b32_e32 v7, 24, v155
	s_delay_alu instid0(VALU_DEP_2) | instskip(SKIP_1) | instid1(VALU_DEP_3)
	v_lshlrev_b32_e32 v6, 20, v6
	v_lshl_add_u32 v9, v156, 23, 0x3c000000
	v_and_b32_e32 v7, 0x80000000, v7
	s_delay_alu instid0(VALU_DEP_1)
	v_or3_b32 v6, v6, v7, v9
.LBB444_3243:                           ;   in Loop: Header=BB444_1478 Depth=1
	s_or_b32 exec_lo, exec_lo, s15
.LBB444_3244:                           ;   in Loop: Header=BB444_1478 Depth=1
	s_delay_alu instid0(SALU_CYCLE_1)
	s_or_b32 exec_lo, exec_lo, s13
.LBB444_3245:                           ;   in Loop: Header=BB444_1478 Depth=1
	s_delay_alu instid0(SALU_CYCLE_1) | instskip(NEXT) | instid1(VALU_DEP_1)
	s_or_b32 exec_lo, exec_lo, s12
	v_mul_f32_e32 v6, v8, v6
                                        ; implicit-def: $vgpr155
	s_delay_alu instid0(VALU_DEP_1) | instskip(NEXT) | instid1(VALU_DEP_1)
	v_and_b32_e32 v7, 0x7f800000, v6
	v_cmp_ne_u32_e64 s0, 0x7f800000, v7
	s_delay_alu instid0(VALU_DEP_1) | instskip(NEXT) | instid1(SALU_CYCLE_1)
	s_and_saveexec_b32 s12, s0
	s_xor_b32 s0, exec_lo, s12
; %bb.3246:                             ;   in Loop: Header=BB444_1478 Depth=1
	v_bfe_u32 v7, v6, 16, 1
	s_delay_alu instid0(VALU_DEP_1)
	v_add3_u32 v155, v6, v7, 0x7fff
                                        ; implicit-def: $vgpr6
; %bb.3247:                             ;   in Loop: Header=BB444_1478 Depth=1
	s_and_not1_saveexec_b32 s12, s0
; %bb.3248:                             ;   in Loop: Header=BB444_1478 Depth=1
	v_and_b32_e32 v7, 0xffff, v6
	v_or_b32_e32 v9, 0x10000, v6
	s_delay_alu instid0(VALU_DEP_2) | instskip(NEXT) | instid1(VALU_DEP_1)
	v_cmp_eq_u32_e64 s0, 0, v7
	v_cndmask_b32_e64 v155, v9, v6, s0
; %bb.3249:                             ;   in Loop: Header=BB444_1478 Depth=1
	s_or_b32 exec_lo, exec_lo, s12
	v_dual_mov_b32 v6, 0 :: v_dual_and_b32 v7, 0xff, v3
	v_mov_b32_e32 v9, v3
	s_mov_b32 s12, exec_lo
	s_delay_alu instid0(VALU_DEP_2)
	v_cmpx_ne_u16_e32 0, v7
	s_cbranch_execz .LBB444_3257
; %bb.3250:                             ;   in Loop: Header=BB444_1478 Depth=1
	v_bfrev_b32_e32 v6, 1
	s_mov_b32 s13, exec_lo
	v_cmpx_ne_u16_e32 0x80, v7
	s_cbranch_execz .LBB444_3256
; %bb.3251:                             ;   in Loop: Header=BB444_1478 Depth=1
	v_and_b32_e32 v7, 0x7f, v3
	v_mov_b32_e32 v6, 0x7f800001
	s_mov_b32 s15, exec_lo
	s_delay_alu instid0(VALU_DEP_2)
	v_cmpx_ne_u32_e32 0x7f, v7
	s_cbranch_execz .LBB444_3255
; %bb.3252:                             ;   in Loop: Header=BB444_1478 Depth=1
	v_lshrrev_b32_e32 v156, 3, v7
	v_cmp_gt_u32_e64 s0, 8, v7
	v_dual_mov_b32 v6, v9 :: v_dual_mov_b32 v7, v10
	s_delay_alu instid0(VALU_DEP_2)
	s_and_saveexec_b32 s16, s0
; %bb.3253:                             ;   in Loop: Header=BB444_1478 Depth=1
	v_and_b32_e32 v6, 7, v3
	s_delay_alu instid0(VALU_DEP_1) | instskip(NEXT) | instid1(VALU_DEP_1)
	v_clz_i32_u32_e32 v6, v6
	v_min_u32_e32 v156, 32, v6
	s_delay_alu instid0(VALU_DEP_1) | instskip(SKIP_1) | instid1(VALU_DEP_2)
	v_subrev_nc_u32_e32 v6, 28, v156
	v_sub_nc_u32_e32 v156, 29, v156
	v_lshlrev_b64 v[6:7], v6, v[9:10]
; %bb.3254:                             ;   in Loop: Header=BB444_1478 Depth=1
	s_or_b32 exec_lo, exec_lo, s16
	s_delay_alu instid0(VALU_DEP_1) | instskip(SKIP_2) | instid1(VALU_DEP_3)
	v_lshlrev_b32_e32 v6, 20, v6
	v_lshlrev_b32_e32 v7, 24, v9
	v_lshl_add_u32 v156, v156, 23, 0x3c000000
	v_and_b32_e32 v6, 0x700000, v6
	s_delay_alu instid0(VALU_DEP_3) | instskip(NEXT) | instid1(VALU_DEP_1)
	v_and_b32_e32 v7, 0x80000000, v7
	v_or3_b32 v6, v6, v7, v156
.LBB444_3255:                           ;   in Loop: Header=BB444_1478 Depth=1
	s_or_b32 exec_lo, exec_lo, s15
.LBB444_3256:                           ;   in Loop: Header=BB444_1478 Depth=1
	s_delay_alu instid0(SALU_CYCLE_1)
	s_or_b32 exec_lo, exec_lo, s13
.LBB444_3257:                           ;   in Loop: Header=BB444_1478 Depth=1
	s_delay_alu instid0(SALU_CYCLE_1) | instskip(NEXT) | instid1(VALU_DEP_1)
	s_or_b32 exec_lo, exec_lo, s12
	v_mul_f32_e32 v6, v8, v6
                                        ; implicit-def: $vgpr156
	s_delay_alu instid0(VALU_DEP_1) | instskip(NEXT) | instid1(VALU_DEP_1)
	v_and_b32_e32 v7, 0x7f800000, v6
	v_cmp_ne_u32_e64 s0, 0x7f800000, v7
	s_delay_alu instid0(VALU_DEP_1) | instskip(NEXT) | instid1(SALU_CYCLE_1)
	s_and_saveexec_b32 s12, s0
	s_xor_b32 s0, exec_lo, s12
; %bb.3258:                             ;   in Loop: Header=BB444_1478 Depth=1
	v_bfe_u32 v7, v6, 16, 1
	s_delay_alu instid0(VALU_DEP_1)
	v_add3_u32 v156, v6, v7, 0x7fff
                                        ; implicit-def: $vgpr6
; %bb.3259:                             ;   in Loop: Header=BB444_1478 Depth=1
	s_and_not1_saveexec_b32 s12, s0
; %bb.3260:                             ;   in Loop: Header=BB444_1478 Depth=1
	v_and_b32_e32 v7, 0xffff, v6
	v_or_b32_e32 v156, 0x10000, v6
	s_delay_alu instid0(VALU_DEP_2) | instskip(NEXT) | instid1(VALU_DEP_1)
	v_cmp_eq_u32_e64 s0, 0, v7
	v_cndmask_b32_e64 v156, v156, v6, s0
; %bb.3261:                             ;   in Loop: Header=BB444_1478 Depth=1
	s_or_b32 exec_lo, exec_lo, s12
	v_lshrrev_b16 v7, 8, v9
	v_mov_b32_e32 v6, 0
	s_mov_b32 s12, exec_lo
	s_delay_alu instid0(VALU_DEP_2)
	v_cmpx_ne_u16_e32 0, v7
	s_cbranch_execz .LBB444_3269
; %bb.3262:                             ;   in Loop: Header=BB444_1478 Depth=1
	v_bfrev_b32_e32 v6, 1
	s_mov_b32 s13, exec_lo
	v_cmpx_ne_u16_e32 0x80, v7
	s_cbranch_execz .LBB444_3268
; %bb.3263:                             ;   in Loop: Header=BB444_1478 Depth=1
	v_and_b32_e32 v7, 0xffff, v7
	v_mov_b32_e32 v6, 0x7f800001
	s_mov_b32 s15, exec_lo
	s_delay_alu instid0(VALU_DEP_2) | instskip(NEXT) | instid1(VALU_DEP_1)
	v_and_b32_e32 v158, 0x7f, v7
	v_cmpx_ne_u32_e32 0x7f, v158
	s_cbranch_execz .LBB444_3267
; %bb.3264:                             ;   in Loop: Header=BB444_1478 Depth=1
	v_dual_mov_b32 v7, v10 :: v_dual_and_b32 v6, 7, v7
	v_lshrrev_b32_e32 v157, 3, v158
	s_mov_b32 s16, exec_lo
	v_cmpx_gt_u32_e32 8, v158
; %bb.3265:                             ;   in Loop: Header=BB444_1478 Depth=1
	s_delay_alu instid0(VALU_DEP_3) | instskip(NEXT) | instid1(VALU_DEP_1)
	v_clz_i32_u32_e32 v157, v6
	v_min_u32_e32 v157, 32, v157
	s_delay_alu instid0(VALU_DEP_1) | instskip(SKIP_1) | instid1(VALU_DEP_2)
	v_subrev_nc_u32_e32 v158, 28, v157
	v_sub_nc_u32_e32 v157, 29, v157
	v_lshlrev_b64 v[6:7], v158, v[6:7]
	s_delay_alu instid0(VALU_DEP_1)
	v_and_b32_e32 v6, 7, v6
; %bb.3266:                             ;   in Loop: Header=BB444_1478 Depth=1
	s_or_b32 exec_lo, exec_lo, s16
	v_lshlrev_b32_e32 v7, 16, v9
	s_delay_alu instid0(VALU_DEP_2) | instskip(SKIP_1) | instid1(VALU_DEP_3)
	v_lshlrev_b32_e32 v6, 20, v6
	v_lshl_add_u32 v9, v157, 23, 0x3c000000
	v_and_b32_e32 v7, 0x80000000, v7
	s_delay_alu instid0(VALU_DEP_1)
	v_or3_b32 v6, v6, v7, v9
.LBB444_3267:                           ;   in Loop: Header=BB444_1478 Depth=1
	s_or_b32 exec_lo, exec_lo, s15
.LBB444_3268:                           ;   in Loop: Header=BB444_1478 Depth=1
	s_delay_alu instid0(SALU_CYCLE_1)
	s_or_b32 exec_lo, exec_lo, s13
.LBB444_3269:                           ;   in Loop: Header=BB444_1478 Depth=1
	s_delay_alu instid0(SALU_CYCLE_1) | instskip(NEXT) | instid1(VALU_DEP_1)
	s_or_b32 exec_lo, exec_lo, s12
	v_mul_f32_e32 v6, v8, v6
                                        ; implicit-def: $vgpr157
	s_delay_alu instid0(VALU_DEP_1) | instskip(NEXT) | instid1(VALU_DEP_1)
	v_and_b32_e32 v7, 0x7f800000, v6
	v_cmp_ne_u32_e64 s0, 0x7f800000, v7
	s_delay_alu instid0(VALU_DEP_1) | instskip(NEXT) | instid1(SALU_CYCLE_1)
	s_and_saveexec_b32 s12, s0
	s_xor_b32 s0, exec_lo, s12
; %bb.3270:                             ;   in Loop: Header=BB444_1478 Depth=1
	v_bfe_u32 v7, v6, 16, 1
	s_delay_alu instid0(VALU_DEP_1)
	v_add3_u32 v157, v6, v7, 0x7fff
                                        ; implicit-def: $vgpr6
; %bb.3271:                             ;   in Loop: Header=BB444_1478 Depth=1
	s_and_not1_saveexec_b32 s12, s0
; %bb.3272:                             ;   in Loop: Header=BB444_1478 Depth=1
	v_and_b32_e32 v7, 0xffff, v6
	v_or_b32_e32 v9, 0x10000, v6
	s_delay_alu instid0(VALU_DEP_2) | instskip(NEXT) | instid1(VALU_DEP_1)
	v_cmp_eq_u32_e64 s0, 0, v7
	v_cndmask_b32_e64 v157, v9, v6, s0
; %bb.3273:                             ;   in Loop: Header=BB444_1478 Depth=1
	s_or_b32 exec_lo, exec_lo, s12
	v_lshrrev_b32_e32 v158, 16, v3
	s_mov_b32 s12, exec_lo
	s_delay_alu instid0(VALU_DEP_1) | instskip(NEXT) | instid1(VALU_DEP_1)
	v_dual_mov_b32 v6, 0 :: v_dual_and_b32 v7, 0xff, v158
	v_cmpx_ne_u16_e32 0, v7
	s_cbranch_execz .LBB444_3281
; %bb.3274:                             ;   in Loop: Header=BB444_1478 Depth=1
	v_bfrev_b32_e32 v6, 1
	s_mov_b32 s13, exec_lo
	v_cmpx_ne_u16_e32 0x80, v7
	s_cbranch_execz .LBB444_3280
; %bb.3275:                             ;   in Loop: Header=BB444_1478 Depth=1
	v_bfe_u32 v7, v3, 16, 7
	v_mov_b32_e32 v6, 0x7f800001
	s_mov_b32 s15, exec_lo
	s_delay_alu instid0(VALU_DEP_2)
	v_cmpx_ne_u32_e32 0x7f, v7
	s_cbranch_execz .LBB444_3279
; %bb.3276:                             ;   in Loop: Header=BB444_1478 Depth=1
	v_and_b32_e32 v9, 7, v158
	v_lshrrev_b32_e32 v159, 3, v7
	v_cmp_gt_u32_e64 s0, 8, v7
	s_delay_alu instid0(VALU_DEP_3) | instskip(NEXT) | instid1(VALU_DEP_2)
	v_dual_mov_b32 v6, v9 :: v_dual_mov_b32 v7, v10
	s_and_saveexec_b32 s16, s0
; %bb.3277:                             ;   in Loop: Header=BB444_1478 Depth=1
	v_clz_i32_u32_e32 v6, v9
	s_delay_alu instid0(VALU_DEP_1) | instskip(NEXT) | instid1(VALU_DEP_1)
	v_min_u32_e32 v159, 32, v6
	v_subrev_nc_u32_e32 v6, 28, v159
	v_sub_nc_u32_e32 v159, 29, v159
	s_delay_alu instid0(VALU_DEP_2) | instskip(NEXT) | instid1(VALU_DEP_1)
	v_lshlrev_b64 v[6:7], v6, v[9:10]
	v_and_b32_e32 v6, 7, v6
; %bb.3278:                             ;   in Loop: Header=BB444_1478 Depth=1
	s_or_b32 exec_lo, exec_lo, s16
	v_lshlrev_b32_e32 v7, 24, v158
	s_delay_alu instid0(VALU_DEP_2) | instskip(SKIP_1) | instid1(VALU_DEP_3)
	v_lshlrev_b32_e32 v6, 20, v6
	v_lshl_add_u32 v9, v159, 23, 0x3c000000
	v_and_b32_e32 v7, 0x80000000, v7
	s_delay_alu instid0(VALU_DEP_1)
	v_or3_b32 v6, v6, v7, v9
.LBB444_3279:                           ;   in Loop: Header=BB444_1478 Depth=1
	s_or_b32 exec_lo, exec_lo, s15
.LBB444_3280:                           ;   in Loop: Header=BB444_1478 Depth=1
	s_delay_alu instid0(SALU_CYCLE_1)
	s_or_b32 exec_lo, exec_lo, s13
.LBB444_3281:                           ;   in Loop: Header=BB444_1478 Depth=1
	s_delay_alu instid0(SALU_CYCLE_1) | instskip(NEXT) | instid1(VALU_DEP_1)
	s_or_b32 exec_lo, exec_lo, s12
	v_mul_f32_e32 v7, v8, v6
	s_delay_alu instid0(VALU_DEP_1) | instskip(NEXT) | instid1(VALU_DEP_1)
	v_and_b32_e32 v6, 0x7f800000, v7
	v_cmp_ne_u32_e64 s0, 0x7f800000, v6
                                        ; implicit-def: $vgpr6
	s_delay_alu instid0(VALU_DEP_1) | instskip(NEXT) | instid1(SALU_CYCLE_1)
	s_and_saveexec_b32 s12, s0
	s_xor_b32 s0, exec_lo, s12
; %bb.3282:                             ;   in Loop: Header=BB444_1478 Depth=1
	v_bfe_u32 v6, v7, 16, 1
	s_delay_alu instid0(VALU_DEP_1)
	v_add3_u32 v6, v7, v6, 0x7fff
                                        ; implicit-def: $vgpr7
; %bb.3283:                             ;   in Loop: Header=BB444_1478 Depth=1
	s_and_not1_saveexec_b32 s12, s0
; %bb.3284:                             ;   in Loop: Header=BB444_1478 Depth=1
	v_and_b32_e32 v6, 0xffff, v7
	v_or_b32_e32 v9, 0x10000, v7
	s_delay_alu instid0(VALU_DEP_2) | instskip(NEXT) | instid1(VALU_DEP_1)
	v_cmp_eq_u32_e64 s0, 0, v6
	v_cndmask_b32_e64 v6, v9, v7, s0
; %bb.3285:                             ;   in Loop: Header=BB444_1478 Depth=1
	s_or_b32 exec_lo, exec_lo, s12
	v_cmp_lt_u64_e64 s0, s[8:9], v[2:3]
	v_mov_b32_e32 v2, 0
	s_delay_alu instid0(VALU_DEP_2)
	s_and_saveexec_b32 s12, s0
	s_cbranch_execz .LBB444_3293
; %bb.3286:                             ;   in Loop: Header=BB444_1478 Depth=1
	v_lshrrev_b32_e32 v7, 24, v3
	v_bfrev_b32_e32 v2, 1
	s_mov_b32 s13, exec_lo
	s_delay_alu instid0(VALU_DEP_2)
	v_cmpx_ne_u32_e32 0x80, v7
	s_cbranch_execz .LBB444_3292
; %bb.3287:                             ;   in Loop: Header=BB444_1478 Depth=1
	v_bfe_u32 v3, v3, 24, 7
	v_mov_b32_e32 v2, 0x7f800001
	s_mov_b32 s15, exec_lo
	s_delay_alu instid0(VALU_DEP_2)
	v_cmpx_ne_u32_e32 0x7f, v3
	s_cbranch_execz .LBB444_3291
; %bb.3288:                             ;   in Loop: Header=BB444_1478 Depth=1
	v_and_b32_e32 v9, 7, v7
	v_lshrrev_b32_e32 v158, 3, v3
	v_cmp_gt_u32_e64 s0, 8, v3
	s_delay_alu instid0(VALU_DEP_3) | instskip(NEXT) | instid1(VALU_DEP_2)
	v_dual_mov_b32 v2, v9 :: v_dual_mov_b32 v3, v10
	s_and_saveexec_b32 s16, s0
; %bb.3289:                             ;   in Loop: Header=BB444_1478 Depth=1
	v_clz_i32_u32_e32 v2, v9
	s_delay_alu instid0(VALU_DEP_1) | instskip(NEXT) | instid1(VALU_DEP_1)
	v_min_u32_e32 v158, 32, v2
	v_subrev_nc_u32_e32 v2, 28, v158
	v_sub_nc_u32_e32 v158, 29, v158
	s_delay_alu instid0(VALU_DEP_2) | instskip(NEXT) | instid1(VALU_DEP_1)
	v_lshlrev_b64 v[2:3], v2, v[9:10]
	v_and_b32_e32 v2, 7, v2
; %bb.3290:                             ;   in Loop: Header=BB444_1478 Depth=1
	s_or_b32 exec_lo, exec_lo, s16
	v_lshlrev_b32_e32 v3, 24, v7
	s_delay_alu instid0(VALU_DEP_2) | instskip(SKIP_1) | instid1(VALU_DEP_3)
	v_lshlrev_b32_e32 v2, 20, v2
	v_lshl_add_u32 v7, v158, 23, 0x3c000000
	v_and_b32_e32 v3, 0x80000000, v3
	s_delay_alu instid0(VALU_DEP_1)
	v_or3_b32 v2, v2, v3, v7
.LBB444_3291:                           ;   in Loop: Header=BB444_1478 Depth=1
	s_or_b32 exec_lo, exec_lo, s15
.LBB444_3292:                           ;   in Loop: Header=BB444_1478 Depth=1
	s_delay_alu instid0(SALU_CYCLE_1)
	s_or_b32 exec_lo, exec_lo, s13
.LBB444_3293:                           ;   in Loop: Header=BB444_1478 Depth=1
	s_delay_alu instid0(SALU_CYCLE_1) | instskip(NEXT) | instid1(VALU_DEP_1)
	s_or_b32 exec_lo, exec_lo, s12
	v_mul_f32_e32 v3, v8, v2
	s_delay_alu instid0(VALU_DEP_1) | instskip(NEXT) | instid1(VALU_DEP_1)
	v_and_b32_e32 v2, 0x7f800000, v3
	v_cmp_ne_u32_e64 s0, 0x7f800000, v2
                                        ; implicit-def: $vgpr2
	s_delay_alu instid0(VALU_DEP_1) | instskip(NEXT) | instid1(SALU_CYCLE_1)
	s_and_saveexec_b32 s12, s0
	s_xor_b32 s0, exec_lo, s12
; %bb.3294:                             ;   in Loop: Header=BB444_1478 Depth=1
	v_bfe_u32 v2, v3, 16, 1
	s_delay_alu instid0(VALU_DEP_1)
	v_add3_u32 v2, v3, v2, 0x7fff
                                        ; implicit-def: $vgpr3
; %bb.3295:                             ;   in Loop: Header=BB444_1478 Depth=1
	s_and_not1_saveexec_b32 s12, s0
; %bb.3296:                             ;   in Loop: Header=BB444_1478 Depth=1
	v_and_b32_e32 v2, 0xffff, v3
	v_or_b32_e32 v7, 0x10000, v3
	s_delay_alu instid0(VALU_DEP_2) | instskip(NEXT) | instid1(VALU_DEP_1)
	v_cmp_eq_u32_e64 s0, 0, v2
	v_cndmask_b32_e64 v2, v7, v3, s0
; %bb.3297:                             ;   in Loop: Header=BB444_1478 Depth=1
	s_or_b32 exec_lo, exec_lo, s12
	v_lshrrev_b32_e32 v9, 16, v157
	v_lshrrev_b32_e32 v156, 16, v156
	v_lshrrev_b32_e32 v155, 16, v155
	v_lshrrev_b32_e32 v154, 16, v154
	v_lshrrev_b32_e32 v7, 16, v153
	v_lshrrev_b32_e32 v152, 16, v152
	v_lshrrev_b32_e32 v3, 16, v6
	v_lshrrev_b32_e32 v2, 16, v2
	s_and_saveexec_b32 s12, vcc_lo
	s_cbranch_execz .LBB444_3299
; %bb.3298:                             ;   in Loop: Header=BB444_1478 Depth=1
	v_cmp_lt_i32_e64 s0, v85, v38
	s_delay_alu instid0(VALU_DEP_1) | instskip(SKIP_1) | instid1(VALU_DEP_1)
	v_cndmask_b32_e64 v152, 0, v152, s0
	v_cmp_lt_i32_e64 s0, v100, v38
	v_cndmask_b32_e64 v7, 0, v7, s0
	v_cmp_lt_i32_e64 s0, v99, v38
	s_delay_alu instid0(VALU_DEP_1) | instskip(SKIP_1) | instid1(VALU_DEP_1)
	v_cndmask_b32_e64 v154, 0, v154, s0
	v_cmp_lt_i32_e64 s0, v98, v38
	v_cndmask_b32_e64 v155, 0, v155, s0
	;; [unrolled: 5-line block ×4, first 2 shown]
.LBB444_3299:                           ;   in Loop: Header=BB444_1478 Depth=1
	s_or_b32 exec_lo, exec_lo, s12
	v_lshlrev_b32_e32 v6, 16, v152
	s_delay_alu instid0(VALU_DEP_1) | instskip(NEXT) | instid1(VALU_DEP_1)
	v_mul_f32_e32 v152, v101, v6
	v_and_b32_e32 v6, 0x7f800000, v152
	s_delay_alu instid0(VALU_DEP_1) | instskip(NEXT) | instid1(VALU_DEP_1)
	v_cmp_ne_u32_e64 s0, 0x7f800000, v6
                                        ; implicit-def: $vgpr6
	s_and_saveexec_b32 s12, s0
	s_delay_alu instid0(SALU_CYCLE_1)
	s_xor_b32 s0, exec_lo, s12
; %bb.3300:                             ;   in Loop: Header=BB444_1478 Depth=1
	v_bfe_u32 v6, v152, 16, 1
	s_delay_alu instid0(VALU_DEP_1)
	v_add3_u32 v6, v152, v6, 0x7fff
                                        ; implicit-def: $vgpr152
; %bb.3301:                             ;   in Loop: Header=BB444_1478 Depth=1
	s_and_not1_saveexec_b32 s12, s0
; %bb.3302:                             ;   in Loop: Header=BB444_1478 Depth=1
	v_and_b32_e32 v6, 0xffff, v152
	v_or_b32_e32 v153, 0x10000, v152
	s_delay_alu instid0(VALU_DEP_2) | instskip(NEXT) | instid1(VALU_DEP_1)
	v_cmp_eq_u32_e64 s0, 0, v6
	v_cndmask_b32_e64 v6, v153, v152, s0
; %bb.3303:                             ;   in Loop: Header=BB444_1478 Depth=1
	s_or_b32 exec_lo, exec_lo, s12
	v_lshlrev_b32_e32 v7, 16, v7
	s_delay_alu instid0(VALU_DEP_1) | instskip(NEXT) | instid1(VALU_DEP_1)
	v_mul_f32_e32 v152, v102, v7
	v_and_b32_e32 v7, 0x7f800000, v152
	s_delay_alu instid0(VALU_DEP_1) | instskip(NEXT) | instid1(VALU_DEP_1)
	v_cmp_ne_u32_e64 s0, 0x7f800000, v7
                                        ; implicit-def: $vgpr7
	s_and_saveexec_b32 s12, s0
	s_delay_alu instid0(SALU_CYCLE_1)
	s_xor_b32 s0, exec_lo, s12
; %bb.3304:                             ;   in Loop: Header=BB444_1478 Depth=1
	v_bfe_u32 v7, v152, 16, 1
	s_delay_alu instid0(VALU_DEP_1)
	v_add3_u32 v7, v152, v7, 0x7fff
                                        ; implicit-def: $vgpr152
; %bb.3305:                             ;   in Loop: Header=BB444_1478 Depth=1
	s_and_not1_saveexec_b32 s12, s0
; %bb.3306:                             ;   in Loop: Header=BB444_1478 Depth=1
	v_and_b32_e32 v7, 0xffff, v152
	v_or_b32_e32 v153, 0x10000, v152
	s_delay_alu instid0(VALU_DEP_2) | instskip(NEXT) | instid1(VALU_DEP_1)
	v_cmp_eq_u32_e64 s0, 0, v7
	v_cndmask_b32_e64 v7, v153, v152, s0
; %bb.3307:                             ;   in Loop: Header=BB444_1478 Depth=1
	s_or_b32 exec_lo, exec_lo, s12
	v_lshlrev_b32_e32 v152, 16, v154
	s_delay_alu instid0(VALU_DEP_1) | instskip(NEXT) | instid1(VALU_DEP_1)
	v_mul_f32_e32 v153, v103, v152
	v_and_b32_e32 v152, 0x7f800000, v153
	s_delay_alu instid0(VALU_DEP_1) | instskip(NEXT) | instid1(VALU_DEP_1)
	v_cmp_ne_u32_e64 s0, 0x7f800000, v152
                                        ; implicit-def: $vgpr152
	s_and_saveexec_b32 s12, s0
	s_delay_alu instid0(SALU_CYCLE_1)
	s_xor_b32 s0, exec_lo, s12
; %bb.3308:                             ;   in Loop: Header=BB444_1478 Depth=1
	v_bfe_u32 v152, v153, 16, 1
	s_delay_alu instid0(VALU_DEP_1)
	v_add3_u32 v152, v153, v152, 0x7fff
                                        ; implicit-def: $vgpr153
; %bb.3309:                             ;   in Loop: Header=BB444_1478 Depth=1
	s_and_not1_saveexec_b32 s12, s0
; %bb.3310:                             ;   in Loop: Header=BB444_1478 Depth=1
	v_and_b32_e32 v152, 0xffff, v153
	v_or_b32_e32 v154, 0x10000, v153
	s_delay_alu instid0(VALU_DEP_2) | instskip(NEXT) | instid1(VALU_DEP_1)
	v_cmp_eq_u32_e64 s0, 0, v152
	v_cndmask_b32_e64 v152, v154, v153, s0
; %bb.3311:                             ;   in Loop: Header=BB444_1478 Depth=1
	s_or_b32 exec_lo, exec_lo, s12
	v_lshlrev_b32_e32 v153, 16, v155
	s_delay_alu instid0(VALU_DEP_1) | instskip(NEXT) | instid1(VALU_DEP_1)
	v_mul_f32_e32 v154, v112, v153
	v_and_b32_e32 v153, 0x7f800000, v154
	s_delay_alu instid0(VALU_DEP_1) | instskip(NEXT) | instid1(VALU_DEP_1)
	v_cmp_ne_u32_e64 s0, 0x7f800000, v153
                                        ; implicit-def: $vgpr153
	s_and_saveexec_b32 s12, s0
	s_delay_alu instid0(SALU_CYCLE_1)
	s_xor_b32 s0, exec_lo, s12
; %bb.3312:                             ;   in Loop: Header=BB444_1478 Depth=1
	v_bfe_u32 v153, v154, 16, 1
	s_delay_alu instid0(VALU_DEP_1)
	v_add3_u32 v153, v154, v153, 0x7fff
                                        ; implicit-def: $vgpr154
; %bb.3313:                             ;   in Loop: Header=BB444_1478 Depth=1
	s_and_not1_saveexec_b32 s12, s0
; %bb.3314:                             ;   in Loop: Header=BB444_1478 Depth=1
	v_and_b32_e32 v153, 0xffff, v154
	v_or_b32_e32 v155, 0x10000, v154
	s_delay_alu instid0(VALU_DEP_2) | instskip(NEXT) | instid1(VALU_DEP_1)
	v_cmp_eq_u32_e64 s0, 0, v153
	v_cndmask_b32_e64 v153, v155, v154, s0
; %bb.3315:                             ;   in Loop: Header=BB444_1478 Depth=1
	s_or_b32 exec_lo, exec_lo, s12
	v_lshlrev_b32_e32 v154, 16, v156
	s_delay_alu instid0(VALU_DEP_1) | instskip(NEXT) | instid1(VALU_DEP_1)
	v_mul_f32_e32 v155, v113, v154
	v_and_b32_e32 v154, 0x7f800000, v155
	s_delay_alu instid0(VALU_DEP_1) | instskip(NEXT) | instid1(VALU_DEP_1)
	v_cmp_ne_u32_e64 s0, 0x7f800000, v154
                                        ; implicit-def: $vgpr154
	s_and_saveexec_b32 s12, s0
	s_delay_alu instid0(SALU_CYCLE_1)
	s_xor_b32 s0, exec_lo, s12
; %bb.3316:                             ;   in Loop: Header=BB444_1478 Depth=1
	v_bfe_u32 v154, v155, 16, 1
	s_delay_alu instid0(VALU_DEP_1)
	v_add3_u32 v154, v155, v154, 0x7fff
                                        ; implicit-def: $vgpr155
; %bb.3317:                             ;   in Loop: Header=BB444_1478 Depth=1
	s_and_not1_saveexec_b32 s12, s0
; %bb.3318:                             ;   in Loop: Header=BB444_1478 Depth=1
	v_and_b32_e32 v154, 0xffff, v155
	v_or_b32_e32 v156, 0x10000, v155
	s_delay_alu instid0(VALU_DEP_2) | instskip(NEXT) | instid1(VALU_DEP_1)
	v_cmp_eq_u32_e64 s0, 0, v154
	v_cndmask_b32_e64 v154, v156, v155, s0
; %bb.3319:                             ;   in Loop: Header=BB444_1478 Depth=1
	s_or_b32 exec_lo, exec_lo, s12
	v_lshlrev_b32_e32 v9, 16, v9
	s_delay_alu instid0(VALU_DEP_1) | instskip(NEXT) | instid1(VALU_DEP_1)
	v_mul_f32_e32 v9, v114, v9
	v_and_b32_e32 v155, 0x7f800000, v9
	s_delay_alu instid0(VALU_DEP_1) | instskip(NEXT) | instid1(VALU_DEP_1)
	v_cmp_ne_u32_e64 s0, 0x7f800000, v155
                                        ; implicit-def: $vgpr155
	s_and_saveexec_b32 s12, s0
	s_delay_alu instid0(SALU_CYCLE_1)
	s_xor_b32 s0, exec_lo, s12
; %bb.3320:                             ;   in Loop: Header=BB444_1478 Depth=1
	v_bfe_u32 v155, v9, 16, 1
	s_delay_alu instid0(VALU_DEP_1)
	v_add3_u32 v155, v9, v155, 0x7fff
                                        ; implicit-def: $vgpr9
; %bb.3321:                             ;   in Loop: Header=BB444_1478 Depth=1
	s_and_not1_saveexec_b32 s12, s0
; %bb.3322:                             ;   in Loop: Header=BB444_1478 Depth=1
	v_and_b32_e32 v155, 0xffff, v9
	v_or_b32_e32 v156, 0x10000, v9
	s_delay_alu instid0(VALU_DEP_2) | instskip(NEXT) | instid1(VALU_DEP_1)
	v_cmp_eq_u32_e64 s0, 0, v155
	v_cndmask_b32_e64 v155, v156, v9, s0
; %bb.3323:                             ;   in Loop: Header=BB444_1478 Depth=1
	s_or_b32 exec_lo, exec_lo, s12
	v_lshlrev_b32_e32 v3, 16, v3
                                        ; implicit-def: $vgpr156
	s_delay_alu instid0(VALU_DEP_1) | instskip(NEXT) | instid1(VALU_DEP_1)
	v_mul_f32_e32 v3, v115, v3
	v_and_b32_e32 v9, 0x7f800000, v3
	s_delay_alu instid0(VALU_DEP_1) | instskip(NEXT) | instid1(VALU_DEP_1)
	v_cmp_ne_u32_e64 s0, 0x7f800000, v9
	s_and_saveexec_b32 s12, s0
	s_delay_alu instid0(SALU_CYCLE_1)
	s_xor_b32 s0, exec_lo, s12
; %bb.3324:                             ;   in Loop: Header=BB444_1478 Depth=1
	v_bfe_u32 v9, v3, 16, 1
	s_delay_alu instid0(VALU_DEP_1)
	v_add3_u32 v156, v3, v9, 0x7fff
                                        ; implicit-def: $vgpr3
; %bb.3325:                             ;   in Loop: Header=BB444_1478 Depth=1
	s_and_not1_saveexec_b32 s12, s0
; %bb.3326:                             ;   in Loop: Header=BB444_1478 Depth=1
	v_and_b32_e32 v9, 0xffff, v3
	v_or_b32_e32 v156, 0x10000, v3
	s_delay_alu instid0(VALU_DEP_2) | instskip(NEXT) | instid1(VALU_DEP_1)
	v_cmp_eq_u32_e64 s0, 0, v9
	v_cndmask_b32_e64 v156, v156, v3, s0
; %bb.3327:                             ;   in Loop: Header=BB444_1478 Depth=1
	s_or_b32 exec_lo, exec_lo, s12
	v_lshlrev_b32_e32 v2, 16, v2
                                        ; implicit-def: $vgpr157
	s_delay_alu instid0(VALU_DEP_1) | instskip(NEXT) | instid1(VALU_DEP_1)
	v_mul_f32_e32 v2, v116, v2
	v_and_b32_e32 v3, 0x7f800000, v2
	s_delay_alu instid0(VALU_DEP_1) | instskip(NEXT) | instid1(VALU_DEP_1)
	v_cmp_ne_u32_e64 s0, 0x7f800000, v3
	s_and_saveexec_b32 s12, s0
	s_delay_alu instid0(SALU_CYCLE_1)
	s_xor_b32 s0, exec_lo, s12
; %bb.3328:                             ;   in Loop: Header=BB444_1478 Depth=1
	v_bfe_u32 v3, v2, 16, 1
	s_delay_alu instid0(VALU_DEP_1)
	v_add3_u32 v157, v2, v3, 0x7fff
                                        ; implicit-def: $vgpr2
; %bb.3329:                             ;   in Loop: Header=BB444_1478 Depth=1
	s_and_not1_saveexec_b32 s12, s0
; %bb.3330:                             ;   in Loop: Header=BB444_1478 Depth=1
	v_and_b32_e32 v3, 0xffff, v2
	v_or_b32_e32 v9, 0x10000, v2
	s_delay_alu instid0(VALU_DEP_2) | instskip(NEXT) | instid1(VALU_DEP_1)
	v_cmp_eq_u32_e64 s0, 0, v3
	v_cndmask_b32_e64 v157, v9, v2, s0
; %bb.3331:                             ;   in Loop: Header=BB444_1478 Depth=1
	s_or_b32 exec_lo, exec_lo, s12
	flat_load_b64 v[0:1], v[0:1] offset:3584
	s_mov_b32 s12, exec_lo
	s_waitcnt vmcnt(0) lgkmcnt(0)
	v_dual_mov_b32 v2, 0 :: v_dual_and_b32 v3, 0xff, v0
	s_delay_alu instid0(VALU_DEP_1)
	v_cmpx_ne_u16_e32 0, v3
	s_cbranch_execz .LBB444_3339
; %bb.3332:                             ;   in Loop: Header=BB444_1478 Depth=1
	v_bfrev_b32_e32 v2, 1
	s_mov_b32 s13, exec_lo
	v_cmpx_ne_u16_e32 0x80, v3
	s_cbranch_execz .LBB444_3338
; %bb.3333:                             ;   in Loop: Header=BB444_1478 Depth=1
	v_and_b32_e32 v3, 0x7f, v0
	v_mov_b32_e32 v2, 0x7f800001
	s_mov_b32 s15, exec_lo
	s_delay_alu instid0(VALU_DEP_2)
	v_cmpx_ne_u32_e32 0x7f, v3
	s_cbranch_execz .LBB444_3337
; %bb.3334:                             ;   in Loop: Header=BB444_1478 Depth=1
	v_lshrrev_b32_e32 v9, 3, v3
	v_cmp_gt_u32_e64 s0, 8, v3
	v_dual_mov_b32 v3, v1 :: v_dual_mov_b32 v2, v0
	s_delay_alu instid0(VALU_DEP_2)
	s_and_saveexec_b32 s16, s0
; %bb.3335:                             ;   in Loop: Header=BB444_1478 Depth=1
	v_and_b32_e32 v2, 7, v0
	s_delay_alu instid0(VALU_DEP_1) | instskip(NEXT) | instid1(VALU_DEP_1)
	v_clz_i32_u32_e32 v2, v2
	v_min_u32_e32 v9, 32, v2
	s_delay_alu instid0(VALU_DEP_1) | instskip(SKIP_1) | instid1(VALU_DEP_2)
	v_subrev_nc_u32_e32 v2, 28, v9
	v_sub_nc_u32_e32 v9, 29, v9
	v_lshlrev_b64 v[2:3], v2, v[0:1]
; %bb.3336:                             ;   in Loop: Header=BB444_1478 Depth=1
	s_or_b32 exec_lo, exec_lo, s16
	s_delay_alu instid0(VALU_DEP_1) | instskip(SKIP_2) | instid1(VALU_DEP_3)
	v_lshlrev_b32_e32 v2, 20, v2
	v_lshlrev_b32_e32 v3, 24, v0
	v_lshl_add_u32 v9, v9, 23, 0x3c000000
	v_and_b32_e32 v2, 0x700000, v2
	s_delay_alu instid0(VALU_DEP_3) | instskip(NEXT) | instid1(VALU_DEP_1)
	v_and_b32_e32 v3, 0x80000000, v3
	v_or3_b32 v2, v2, v3, v9
.LBB444_3337:                           ;   in Loop: Header=BB444_1478 Depth=1
	s_or_b32 exec_lo, exec_lo, s15
.LBB444_3338:                           ;   in Loop: Header=BB444_1478 Depth=1
	s_delay_alu instid0(SALU_CYCLE_1)
	s_or_b32 exec_lo, exec_lo, s13
.LBB444_3339:                           ;   in Loop: Header=BB444_1478 Depth=1
	s_delay_alu instid0(SALU_CYCLE_1) | instskip(NEXT) | instid1(VALU_DEP_1)
	s_or_b32 exec_lo, exec_lo, s12
	v_mul_f32_e32 v2, v8, v2
                                        ; implicit-def: $vgpr158
	s_delay_alu instid0(VALU_DEP_1) | instskip(NEXT) | instid1(VALU_DEP_1)
	v_and_b32_e32 v3, 0x7f800000, v2
	v_cmp_ne_u32_e64 s0, 0x7f800000, v3
	s_delay_alu instid0(VALU_DEP_1) | instskip(NEXT) | instid1(SALU_CYCLE_1)
	s_and_saveexec_b32 s12, s0
	s_xor_b32 s0, exec_lo, s12
; %bb.3340:                             ;   in Loop: Header=BB444_1478 Depth=1
	v_bfe_u32 v3, v2, 16, 1
	s_delay_alu instid0(VALU_DEP_1)
	v_add3_u32 v158, v2, v3, 0x7fff
                                        ; implicit-def: $vgpr2
; %bb.3341:                             ;   in Loop: Header=BB444_1478 Depth=1
	s_and_not1_saveexec_b32 s12, s0
; %bb.3342:                             ;   in Loop: Header=BB444_1478 Depth=1
	v_and_b32_e32 v3, 0xffff, v2
	v_or_b32_e32 v9, 0x10000, v2
	s_delay_alu instid0(VALU_DEP_2) | instskip(NEXT) | instid1(VALU_DEP_1)
	v_cmp_eq_u32_e64 s0, 0, v3
	v_cndmask_b32_e64 v158, v9, v2, s0
; %bb.3343:                             ;   in Loop: Header=BB444_1478 Depth=1
	s_or_b32 exec_lo, exec_lo, s12
	v_lshrrev_b16 v3, 8, v0
	v_mov_b32_e32 v2, 0
	s_mov_b32 s12, exec_lo
	s_delay_alu instid0(VALU_DEP_2)
	v_cmpx_ne_u16_e32 0, v3
	s_cbranch_execz .LBB444_3351
; %bb.3344:                             ;   in Loop: Header=BB444_1478 Depth=1
	v_bfrev_b32_e32 v2, 1
	s_mov_b32 s13, exec_lo
	v_cmpx_ne_u16_e32 0x80, v3
	s_cbranch_execz .LBB444_3350
; %bb.3345:                             ;   in Loop: Header=BB444_1478 Depth=1
	v_and_b32_e32 v9, 0xffff, v3
	v_mov_b32_e32 v2, 0x7f800001
	s_mov_b32 s15, exec_lo
	s_delay_alu instid0(VALU_DEP_2) | instskip(NEXT) | instid1(VALU_DEP_1)
	v_and_b32_e32 v3, 0x7f, v9
	v_cmpx_ne_u32_e32 0x7f, v3
	s_cbranch_execz .LBB444_3349
; %bb.3346:                             ;   in Loop: Header=BB444_1478 Depth=1
	v_and_b32_e32 v9, 7, v9
	v_lshrrev_b32_e32 v159, 3, v3
	v_cmp_gt_u32_e64 s0, 8, v3
	s_delay_alu instid0(VALU_DEP_3) | instskip(NEXT) | instid1(VALU_DEP_2)
	v_dual_mov_b32 v2, v9 :: v_dual_mov_b32 v3, v10
	s_and_saveexec_b32 s16, s0
; %bb.3347:                             ;   in Loop: Header=BB444_1478 Depth=1
	v_clz_i32_u32_e32 v2, v9
	s_delay_alu instid0(VALU_DEP_1) | instskip(NEXT) | instid1(VALU_DEP_1)
	v_min_u32_e32 v159, 32, v2
	v_subrev_nc_u32_e32 v2, 28, v159
	v_sub_nc_u32_e32 v159, 29, v159
	s_delay_alu instid0(VALU_DEP_2) | instskip(NEXT) | instid1(VALU_DEP_1)
	v_lshlrev_b64 v[2:3], v2, v[9:10]
	v_and_b32_e32 v2, 7, v2
; %bb.3348:                             ;   in Loop: Header=BB444_1478 Depth=1
	s_or_b32 exec_lo, exec_lo, s16
	v_lshlrev_b32_e32 v3, 16, v0
	s_delay_alu instid0(VALU_DEP_2) | instskip(SKIP_1) | instid1(VALU_DEP_3)
	v_lshlrev_b32_e32 v2, 20, v2
	v_lshl_add_u32 v9, v159, 23, 0x3c000000
	v_and_b32_e32 v3, 0x80000000, v3
	s_delay_alu instid0(VALU_DEP_1)
	v_or3_b32 v2, v2, v3, v9
.LBB444_3349:                           ;   in Loop: Header=BB444_1478 Depth=1
	s_or_b32 exec_lo, exec_lo, s15
.LBB444_3350:                           ;   in Loop: Header=BB444_1478 Depth=1
	s_delay_alu instid0(SALU_CYCLE_1)
	s_or_b32 exec_lo, exec_lo, s13
.LBB444_3351:                           ;   in Loop: Header=BB444_1478 Depth=1
	s_delay_alu instid0(SALU_CYCLE_1) | instskip(NEXT) | instid1(VALU_DEP_1)
	s_or_b32 exec_lo, exec_lo, s12
	v_mul_f32_e32 v2, v8, v2
                                        ; implicit-def: $vgpr159
	s_delay_alu instid0(VALU_DEP_1) | instskip(NEXT) | instid1(VALU_DEP_1)
	v_and_b32_e32 v3, 0x7f800000, v2
	v_cmp_ne_u32_e64 s0, 0x7f800000, v3
	s_delay_alu instid0(VALU_DEP_1) | instskip(NEXT) | instid1(SALU_CYCLE_1)
	s_and_saveexec_b32 s12, s0
	s_xor_b32 s0, exec_lo, s12
; %bb.3352:                             ;   in Loop: Header=BB444_1478 Depth=1
	v_bfe_u32 v3, v2, 16, 1
	s_delay_alu instid0(VALU_DEP_1)
	v_add3_u32 v159, v2, v3, 0x7fff
                                        ; implicit-def: $vgpr2
; %bb.3353:                             ;   in Loop: Header=BB444_1478 Depth=1
	s_and_not1_saveexec_b32 s12, s0
; %bb.3354:                             ;   in Loop: Header=BB444_1478 Depth=1
	v_and_b32_e32 v3, 0xffff, v2
	v_or_b32_e32 v9, 0x10000, v2
	s_delay_alu instid0(VALU_DEP_2) | instskip(NEXT) | instid1(VALU_DEP_1)
	v_cmp_eq_u32_e64 s0, 0, v3
	v_cndmask_b32_e64 v159, v9, v2, s0
; %bb.3355:                             ;   in Loop: Header=BB444_1478 Depth=1
	s_or_b32 exec_lo, exec_lo, s12
	v_lshrrev_b32_e32 v168, 16, v0
	s_mov_b32 s12, exec_lo
	s_delay_alu instid0(VALU_DEP_1) | instskip(NEXT) | instid1(VALU_DEP_1)
	v_dual_mov_b32 v2, 0 :: v_dual_and_b32 v3, 0xff, v168
	v_cmpx_ne_u16_e32 0, v3
	s_cbranch_execz .LBB444_3363
; %bb.3356:                             ;   in Loop: Header=BB444_1478 Depth=1
	v_bfrev_b32_e32 v2, 1
	s_mov_b32 s13, exec_lo
	v_cmpx_ne_u16_e32 0x80, v3
	s_cbranch_execz .LBB444_3362
; %bb.3357:                             ;   in Loop: Header=BB444_1478 Depth=1
	v_bfe_u32 v3, v0, 16, 7
	v_mov_b32_e32 v2, 0x7f800001
	s_mov_b32 s15, exec_lo
	s_delay_alu instid0(VALU_DEP_2)
	v_cmpx_ne_u32_e32 0x7f, v3
	s_cbranch_execz .LBB444_3361
; %bb.3358:                             ;   in Loop: Header=BB444_1478 Depth=1
	v_and_b32_e32 v9, 7, v168
	v_lshrrev_b32_e32 v169, 3, v3
	v_cmp_gt_u32_e64 s0, 8, v3
	s_delay_alu instid0(VALU_DEP_3) | instskip(NEXT) | instid1(VALU_DEP_2)
	v_dual_mov_b32 v2, v9 :: v_dual_mov_b32 v3, v10
	s_and_saveexec_b32 s16, s0
; %bb.3359:                             ;   in Loop: Header=BB444_1478 Depth=1
	v_clz_i32_u32_e32 v2, v9
	s_delay_alu instid0(VALU_DEP_1) | instskip(NEXT) | instid1(VALU_DEP_1)
	v_min_u32_e32 v169, 32, v2
	v_subrev_nc_u32_e32 v2, 28, v169
	v_sub_nc_u32_e32 v169, 29, v169
	s_delay_alu instid0(VALU_DEP_2) | instskip(NEXT) | instid1(VALU_DEP_1)
	v_lshlrev_b64 v[2:3], v2, v[9:10]
	v_and_b32_e32 v2, 7, v2
; %bb.3360:                             ;   in Loop: Header=BB444_1478 Depth=1
	s_or_b32 exec_lo, exec_lo, s16
	v_lshlrev_b32_e32 v3, 24, v168
	s_delay_alu instid0(VALU_DEP_2) | instskip(SKIP_1) | instid1(VALU_DEP_3)
	v_lshlrev_b32_e32 v2, 20, v2
	v_lshl_add_u32 v9, v169, 23, 0x3c000000
	v_and_b32_e32 v3, 0x80000000, v3
	s_delay_alu instid0(VALU_DEP_1)
	v_or3_b32 v2, v2, v3, v9
.LBB444_3361:                           ;   in Loop: Header=BB444_1478 Depth=1
	s_or_b32 exec_lo, exec_lo, s15
.LBB444_3362:                           ;   in Loop: Header=BB444_1478 Depth=1
	s_delay_alu instid0(SALU_CYCLE_1)
	s_or_b32 exec_lo, exec_lo, s13
.LBB444_3363:                           ;   in Loop: Header=BB444_1478 Depth=1
	s_delay_alu instid0(SALU_CYCLE_1) | instskip(NEXT) | instid1(VALU_DEP_1)
	s_or_b32 exec_lo, exec_lo, s12
	v_mul_f32_e32 v2, v8, v2
                                        ; implicit-def: $vgpr168
	s_delay_alu instid0(VALU_DEP_1) | instskip(NEXT) | instid1(VALU_DEP_1)
	v_and_b32_e32 v3, 0x7f800000, v2
	v_cmp_ne_u32_e64 s0, 0x7f800000, v3
	s_delay_alu instid0(VALU_DEP_1) | instskip(NEXT) | instid1(SALU_CYCLE_1)
	s_and_saveexec_b32 s12, s0
	s_xor_b32 s0, exec_lo, s12
; %bb.3364:                             ;   in Loop: Header=BB444_1478 Depth=1
	v_bfe_u32 v3, v2, 16, 1
	s_delay_alu instid0(VALU_DEP_1)
	v_add3_u32 v168, v2, v3, 0x7fff
                                        ; implicit-def: $vgpr2
; %bb.3365:                             ;   in Loop: Header=BB444_1478 Depth=1
	s_and_not1_saveexec_b32 s12, s0
; %bb.3366:                             ;   in Loop: Header=BB444_1478 Depth=1
	v_and_b32_e32 v3, 0xffff, v2
	v_or_b32_e32 v9, 0x10000, v2
	s_delay_alu instid0(VALU_DEP_2) | instskip(NEXT) | instid1(VALU_DEP_1)
	v_cmp_eq_u32_e64 s0, 0, v3
	v_cndmask_b32_e64 v168, v9, v2, s0
; %bb.3367:                             ;   in Loop: Header=BB444_1478 Depth=1
	s_or_b32 exec_lo, exec_lo, s12
	v_mov_b32_e32 v2, 0
	s_mov_b32 s12, exec_lo
	v_cmpx_lt_u32_e32 0xffffff, v0
	s_cbranch_execz .LBB444_3375
; %bb.3368:                             ;   in Loop: Header=BB444_1478 Depth=1
	v_lshrrev_b32_e32 v169, 24, v0
	v_bfrev_b32_e32 v2, 1
	s_mov_b32 s13, exec_lo
	s_delay_alu instid0(VALU_DEP_2)
	v_cmpx_ne_u32_e32 0x80, v169
	s_cbranch_execz .LBB444_3374
; %bb.3369:                             ;   in Loop: Header=BB444_1478 Depth=1
	v_bfe_u32 v3, v0, 24, 7
	v_mov_b32_e32 v2, 0x7f800001
	s_mov_b32 s15, exec_lo
	s_delay_alu instid0(VALU_DEP_2)
	v_cmpx_ne_u32_e32 0x7f, v3
	s_cbranch_execz .LBB444_3373
; %bb.3370:                             ;   in Loop: Header=BB444_1478 Depth=1
	v_and_b32_e32 v9, 7, v169
	v_lshrrev_b32_e32 v170, 3, v3
	v_cmp_gt_u32_e64 s0, 8, v3
	s_delay_alu instid0(VALU_DEP_3) | instskip(NEXT) | instid1(VALU_DEP_2)
	v_dual_mov_b32 v2, v9 :: v_dual_mov_b32 v3, v10
	s_and_saveexec_b32 s16, s0
; %bb.3371:                             ;   in Loop: Header=BB444_1478 Depth=1
	v_clz_i32_u32_e32 v2, v9
	s_delay_alu instid0(VALU_DEP_1) | instskip(NEXT) | instid1(VALU_DEP_1)
	v_min_u32_e32 v170, 32, v2
	v_subrev_nc_u32_e32 v2, 28, v170
	v_sub_nc_u32_e32 v170, 29, v170
	s_delay_alu instid0(VALU_DEP_2) | instskip(NEXT) | instid1(VALU_DEP_1)
	v_lshlrev_b64 v[2:3], v2, v[9:10]
	v_and_b32_e32 v2, 7, v2
; %bb.3372:                             ;   in Loop: Header=BB444_1478 Depth=1
	s_or_b32 exec_lo, exec_lo, s16
	v_lshlrev_b32_e32 v3, 24, v169
	s_delay_alu instid0(VALU_DEP_2) | instskip(SKIP_1) | instid1(VALU_DEP_3)
	v_lshlrev_b32_e32 v2, 20, v2
	v_lshl_add_u32 v9, v170, 23, 0x3c000000
	v_and_b32_e32 v3, 0x80000000, v3
	s_delay_alu instid0(VALU_DEP_1)
	v_or3_b32 v2, v2, v3, v9
.LBB444_3373:                           ;   in Loop: Header=BB444_1478 Depth=1
	s_or_b32 exec_lo, exec_lo, s15
.LBB444_3374:                           ;   in Loop: Header=BB444_1478 Depth=1
	s_delay_alu instid0(SALU_CYCLE_1)
	s_or_b32 exec_lo, exec_lo, s13
.LBB444_3375:                           ;   in Loop: Header=BB444_1478 Depth=1
	s_delay_alu instid0(SALU_CYCLE_1) | instskip(NEXT) | instid1(VALU_DEP_1)
	s_or_b32 exec_lo, exec_lo, s12
	v_mul_f32_e32 v2, v8, v2
                                        ; implicit-def: $vgpr169
	s_delay_alu instid0(VALU_DEP_1) | instskip(NEXT) | instid1(VALU_DEP_1)
	v_and_b32_e32 v3, 0x7f800000, v2
	v_cmp_ne_u32_e64 s0, 0x7f800000, v3
	s_delay_alu instid0(VALU_DEP_1) | instskip(NEXT) | instid1(SALU_CYCLE_1)
	s_and_saveexec_b32 s12, s0
	s_xor_b32 s0, exec_lo, s12
; %bb.3376:                             ;   in Loop: Header=BB444_1478 Depth=1
	v_bfe_u32 v3, v2, 16, 1
	s_delay_alu instid0(VALU_DEP_1)
	v_add3_u32 v169, v2, v3, 0x7fff
                                        ; implicit-def: $vgpr2
; %bb.3377:                             ;   in Loop: Header=BB444_1478 Depth=1
	s_and_not1_saveexec_b32 s12, s0
; %bb.3378:                             ;   in Loop: Header=BB444_1478 Depth=1
	v_and_b32_e32 v3, 0xffff, v2
	v_or_b32_e32 v9, 0x10000, v2
	s_delay_alu instid0(VALU_DEP_2) | instskip(NEXT) | instid1(VALU_DEP_1)
	v_cmp_eq_u32_e64 s0, 0, v3
	v_cndmask_b32_e64 v169, v9, v2, s0
; %bb.3379:                             ;   in Loop: Header=BB444_1478 Depth=1
	s_or_b32 exec_lo, exec_lo, s12
	v_dual_mov_b32 v2, 0 :: v_dual_and_b32 v3, 0xff, v1
	v_mov_b32_e32 v9, v1
	s_mov_b32 s12, exec_lo
	s_delay_alu instid0(VALU_DEP_2)
	v_cmpx_ne_u16_e32 0, v3
	s_cbranch_execz .LBB444_3387
; %bb.3380:                             ;   in Loop: Header=BB444_1478 Depth=1
	v_bfrev_b32_e32 v2, 1
	s_mov_b32 s13, exec_lo
	v_cmpx_ne_u16_e32 0x80, v3
	s_cbranch_execz .LBB444_3386
; %bb.3381:                             ;   in Loop: Header=BB444_1478 Depth=1
	v_and_b32_e32 v3, 0x7f, v1
	v_mov_b32_e32 v2, 0x7f800001
	s_mov_b32 s15, exec_lo
	s_delay_alu instid0(VALU_DEP_2)
	v_cmpx_ne_u32_e32 0x7f, v3
	s_cbranch_execz .LBB444_3385
; %bb.3382:                             ;   in Loop: Header=BB444_1478 Depth=1
	v_lshrrev_b32_e32 v170, 3, v3
	v_cmp_gt_u32_e64 s0, 8, v3
	v_dual_mov_b32 v2, v9 :: v_dual_mov_b32 v3, v10
	s_delay_alu instid0(VALU_DEP_2)
	s_and_saveexec_b32 s16, s0
; %bb.3383:                             ;   in Loop: Header=BB444_1478 Depth=1
	v_and_b32_e32 v2, 7, v1
	s_delay_alu instid0(VALU_DEP_1) | instskip(NEXT) | instid1(VALU_DEP_1)
	v_clz_i32_u32_e32 v2, v2
	v_min_u32_e32 v170, 32, v2
	s_delay_alu instid0(VALU_DEP_1) | instskip(SKIP_1) | instid1(VALU_DEP_2)
	v_subrev_nc_u32_e32 v2, 28, v170
	v_sub_nc_u32_e32 v170, 29, v170
	v_lshlrev_b64 v[2:3], v2, v[9:10]
; %bb.3384:                             ;   in Loop: Header=BB444_1478 Depth=1
	s_or_b32 exec_lo, exec_lo, s16
	s_delay_alu instid0(VALU_DEP_1) | instskip(SKIP_2) | instid1(VALU_DEP_3)
	v_lshlrev_b32_e32 v2, 20, v2
	v_lshlrev_b32_e32 v3, 24, v9
	v_lshl_add_u32 v170, v170, 23, 0x3c000000
	v_and_b32_e32 v2, 0x700000, v2
	s_delay_alu instid0(VALU_DEP_3) | instskip(NEXT) | instid1(VALU_DEP_1)
	v_and_b32_e32 v3, 0x80000000, v3
	v_or3_b32 v2, v2, v3, v170
.LBB444_3385:                           ;   in Loop: Header=BB444_1478 Depth=1
	s_or_b32 exec_lo, exec_lo, s15
.LBB444_3386:                           ;   in Loop: Header=BB444_1478 Depth=1
	s_delay_alu instid0(SALU_CYCLE_1)
	s_or_b32 exec_lo, exec_lo, s13
.LBB444_3387:                           ;   in Loop: Header=BB444_1478 Depth=1
	s_delay_alu instid0(SALU_CYCLE_1) | instskip(NEXT) | instid1(VALU_DEP_1)
	s_or_b32 exec_lo, exec_lo, s12
	v_mul_f32_e32 v2, v8, v2
                                        ; implicit-def: $vgpr170
	s_delay_alu instid0(VALU_DEP_1) | instskip(NEXT) | instid1(VALU_DEP_1)
	v_and_b32_e32 v3, 0x7f800000, v2
	v_cmp_ne_u32_e64 s0, 0x7f800000, v3
	s_delay_alu instid0(VALU_DEP_1) | instskip(NEXT) | instid1(SALU_CYCLE_1)
	s_and_saveexec_b32 s12, s0
	s_xor_b32 s0, exec_lo, s12
; %bb.3388:                             ;   in Loop: Header=BB444_1478 Depth=1
	v_bfe_u32 v3, v2, 16, 1
	s_delay_alu instid0(VALU_DEP_1)
	v_add3_u32 v170, v2, v3, 0x7fff
                                        ; implicit-def: $vgpr2
; %bb.3389:                             ;   in Loop: Header=BB444_1478 Depth=1
	s_and_not1_saveexec_b32 s12, s0
; %bb.3390:                             ;   in Loop: Header=BB444_1478 Depth=1
	v_and_b32_e32 v3, 0xffff, v2
	v_or_b32_e32 v170, 0x10000, v2
	s_delay_alu instid0(VALU_DEP_2) | instskip(NEXT) | instid1(VALU_DEP_1)
	v_cmp_eq_u32_e64 s0, 0, v3
	v_cndmask_b32_e64 v170, v170, v2, s0
; %bb.3391:                             ;   in Loop: Header=BB444_1478 Depth=1
	s_or_b32 exec_lo, exec_lo, s12
	v_lshrrev_b16 v3, 8, v9
	v_mov_b32_e32 v2, 0
	s_mov_b32 s12, exec_lo
	s_delay_alu instid0(VALU_DEP_2)
	v_cmpx_ne_u16_e32 0, v3
	s_cbranch_execz .LBB444_3399
; %bb.3392:                             ;   in Loop: Header=BB444_1478 Depth=1
	v_bfrev_b32_e32 v2, 1
	s_mov_b32 s13, exec_lo
	v_cmpx_ne_u16_e32 0x80, v3
	s_cbranch_execz .LBB444_3398
; %bb.3393:                             ;   in Loop: Header=BB444_1478 Depth=1
	v_and_b32_e32 v3, 0xffff, v3
	v_mov_b32_e32 v2, 0x7f800001
	s_mov_b32 s15, exec_lo
	s_delay_alu instid0(VALU_DEP_2) | instskip(NEXT) | instid1(VALU_DEP_1)
	v_and_b32_e32 v172, 0x7f, v3
	v_cmpx_ne_u32_e32 0x7f, v172
	s_cbranch_execz .LBB444_3397
; %bb.3394:                             ;   in Loop: Header=BB444_1478 Depth=1
	v_dual_mov_b32 v3, v10 :: v_dual_and_b32 v2, 7, v3
	v_lshrrev_b32_e32 v171, 3, v172
	s_mov_b32 s16, exec_lo
	v_cmpx_gt_u32_e32 8, v172
; %bb.3395:                             ;   in Loop: Header=BB444_1478 Depth=1
	s_delay_alu instid0(VALU_DEP_3) | instskip(NEXT) | instid1(VALU_DEP_1)
	v_clz_i32_u32_e32 v171, v2
	v_min_u32_e32 v171, 32, v171
	s_delay_alu instid0(VALU_DEP_1) | instskip(SKIP_1) | instid1(VALU_DEP_2)
	v_subrev_nc_u32_e32 v172, 28, v171
	v_sub_nc_u32_e32 v171, 29, v171
	v_lshlrev_b64 v[2:3], v172, v[2:3]
	s_delay_alu instid0(VALU_DEP_1)
	v_and_b32_e32 v2, 7, v2
; %bb.3396:                             ;   in Loop: Header=BB444_1478 Depth=1
	s_or_b32 exec_lo, exec_lo, s16
	v_lshlrev_b32_e32 v3, 16, v9
	s_delay_alu instid0(VALU_DEP_2) | instskip(SKIP_1) | instid1(VALU_DEP_3)
	v_lshlrev_b32_e32 v2, 20, v2
	v_lshl_add_u32 v9, v171, 23, 0x3c000000
	v_and_b32_e32 v3, 0x80000000, v3
	s_delay_alu instid0(VALU_DEP_1)
	v_or3_b32 v2, v2, v3, v9
.LBB444_3397:                           ;   in Loop: Header=BB444_1478 Depth=1
	s_or_b32 exec_lo, exec_lo, s15
.LBB444_3398:                           ;   in Loop: Header=BB444_1478 Depth=1
	s_delay_alu instid0(SALU_CYCLE_1)
	s_or_b32 exec_lo, exec_lo, s13
.LBB444_3399:                           ;   in Loop: Header=BB444_1478 Depth=1
	s_delay_alu instid0(SALU_CYCLE_1) | instskip(NEXT) | instid1(VALU_DEP_1)
	s_or_b32 exec_lo, exec_lo, s12
	v_mul_f32_e32 v2, v8, v2
                                        ; implicit-def: $vgpr171
	s_delay_alu instid0(VALU_DEP_1) | instskip(NEXT) | instid1(VALU_DEP_1)
	v_and_b32_e32 v3, 0x7f800000, v2
	v_cmp_ne_u32_e64 s0, 0x7f800000, v3
	s_delay_alu instid0(VALU_DEP_1) | instskip(NEXT) | instid1(SALU_CYCLE_1)
	s_and_saveexec_b32 s12, s0
	s_xor_b32 s0, exec_lo, s12
; %bb.3400:                             ;   in Loop: Header=BB444_1478 Depth=1
	v_bfe_u32 v3, v2, 16, 1
	s_delay_alu instid0(VALU_DEP_1)
	v_add3_u32 v171, v2, v3, 0x7fff
                                        ; implicit-def: $vgpr2
; %bb.3401:                             ;   in Loop: Header=BB444_1478 Depth=1
	s_and_not1_saveexec_b32 s12, s0
; %bb.3402:                             ;   in Loop: Header=BB444_1478 Depth=1
	v_and_b32_e32 v3, 0xffff, v2
	v_or_b32_e32 v9, 0x10000, v2
	s_delay_alu instid0(VALU_DEP_2) | instskip(NEXT) | instid1(VALU_DEP_1)
	v_cmp_eq_u32_e64 s0, 0, v3
	v_cndmask_b32_e64 v171, v9, v2, s0
; %bb.3403:                             ;   in Loop: Header=BB444_1478 Depth=1
	s_or_b32 exec_lo, exec_lo, s12
	v_lshrrev_b32_e32 v172, 16, v1
	s_mov_b32 s12, exec_lo
	s_delay_alu instid0(VALU_DEP_1) | instskip(NEXT) | instid1(VALU_DEP_1)
	v_dual_mov_b32 v2, 0 :: v_dual_and_b32 v3, 0xff, v172
	v_cmpx_ne_u16_e32 0, v3
	s_cbranch_execz .LBB444_3411
; %bb.3404:                             ;   in Loop: Header=BB444_1478 Depth=1
	v_bfrev_b32_e32 v2, 1
	s_mov_b32 s13, exec_lo
	v_cmpx_ne_u16_e32 0x80, v3
	s_cbranch_execz .LBB444_3410
; %bb.3405:                             ;   in Loop: Header=BB444_1478 Depth=1
	v_bfe_u32 v3, v1, 16, 7
	v_mov_b32_e32 v2, 0x7f800001
	s_mov_b32 s15, exec_lo
	s_delay_alu instid0(VALU_DEP_2)
	v_cmpx_ne_u32_e32 0x7f, v3
	s_cbranch_execz .LBB444_3409
; %bb.3406:                             ;   in Loop: Header=BB444_1478 Depth=1
	v_and_b32_e32 v9, 7, v172
	v_lshrrev_b32_e32 v173, 3, v3
	v_cmp_gt_u32_e64 s0, 8, v3
	s_delay_alu instid0(VALU_DEP_3) | instskip(NEXT) | instid1(VALU_DEP_2)
	v_dual_mov_b32 v2, v9 :: v_dual_mov_b32 v3, v10
	s_and_saveexec_b32 s16, s0
; %bb.3407:                             ;   in Loop: Header=BB444_1478 Depth=1
	v_clz_i32_u32_e32 v2, v9
	s_delay_alu instid0(VALU_DEP_1) | instskip(NEXT) | instid1(VALU_DEP_1)
	v_min_u32_e32 v173, 32, v2
	v_subrev_nc_u32_e32 v2, 28, v173
	v_sub_nc_u32_e32 v173, 29, v173
	s_delay_alu instid0(VALU_DEP_2) | instskip(NEXT) | instid1(VALU_DEP_1)
	v_lshlrev_b64 v[2:3], v2, v[9:10]
	v_and_b32_e32 v2, 7, v2
; %bb.3408:                             ;   in Loop: Header=BB444_1478 Depth=1
	s_or_b32 exec_lo, exec_lo, s16
	v_lshlrev_b32_e32 v3, 24, v172
	s_delay_alu instid0(VALU_DEP_2) | instskip(SKIP_1) | instid1(VALU_DEP_3)
	v_lshlrev_b32_e32 v2, 20, v2
	v_lshl_add_u32 v9, v173, 23, 0x3c000000
	v_and_b32_e32 v3, 0x80000000, v3
	s_delay_alu instid0(VALU_DEP_1)
	v_or3_b32 v2, v2, v3, v9
.LBB444_3409:                           ;   in Loop: Header=BB444_1478 Depth=1
	s_or_b32 exec_lo, exec_lo, s15
.LBB444_3410:                           ;   in Loop: Header=BB444_1478 Depth=1
	s_delay_alu instid0(SALU_CYCLE_1)
	s_or_b32 exec_lo, exec_lo, s13
.LBB444_3411:                           ;   in Loop: Header=BB444_1478 Depth=1
	s_delay_alu instid0(SALU_CYCLE_1) | instskip(NEXT) | instid1(VALU_DEP_1)
	s_or_b32 exec_lo, exec_lo, s12
	v_mul_f32_e32 v3, v8, v2
	s_delay_alu instid0(VALU_DEP_1) | instskip(NEXT) | instid1(VALU_DEP_1)
	v_and_b32_e32 v2, 0x7f800000, v3
	v_cmp_ne_u32_e64 s0, 0x7f800000, v2
                                        ; implicit-def: $vgpr2
	s_delay_alu instid0(VALU_DEP_1) | instskip(NEXT) | instid1(SALU_CYCLE_1)
	s_and_saveexec_b32 s12, s0
	s_xor_b32 s0, exec_lo, s12
; %bb.3412:                             ;   in Loop: Header=BB444_1478 Depth=1
	v_bfe_u32 v2, v3, 16, 1
	s_delay_alu instid0(VALU_DEP_1)
	v_add3_u32 v2, v3, v2, 0x7fff
                                        ; implicit-def: $vgpr3
; %bb.3413:                             ;   in Loop: Header=BB444_1478 Depth=1
	s_and_not1_saveexec_b32 s12, s0
; %bb.3414:                             ;   in Loop: Header=BB444_1478 Depth=1
	v_and_b32_e32 v2, 0xffff, v3
	v_or_b32_e32 v9, 0x10000, v3
	s_delay_alu instid0(VALU_DEP_2) | instskip(NEXT) | instid1(VALU_DEP_1)
	v_cmp_eq_u32_e64 s0, 0, v2
	v_cndmask_b32_e64 v2, v9, v3, s0
; %bb.3415:                             ;   in Loop: Header=BB444_1478 Depth=1
	s_or_b32 exec_lo, exec_lo, s12
	v_cmp_lt_u64_e64 s0, s[8:9], v[0:1]
	v_mov_b32_e32 v0, 0
	s_delay_alu instid0(VALU_DEP_2)
	s_and_saveexec_b32 s12, s0
	s_cbranch_execz .LBB444_3423
; %bb.3416:                             ;   in Loop: Header=BB444_1478 Depth=1
	v_lshrrev_b32_e32 v3, 24, v1
	v_bfrev_b32_e32 v0, 1
	s_mov_b32 s13, exec_lo
	s_delay_alu instid0(VALU_DEP_2)
	v_cmpx_ne_u32_e32 0x80, v3
	s_cbranch_execz .LBB444_3422
; %bb.3417:                             ;   in Loop: Header=BB444_1478 Depth=1
	v_bfe_u32 v1, v1, 24, 7
	v_mov_b32_e32 v0, 0x7f800001
	s_mov_b32 s15, exec_lo
	s_delay_alu instid0(VALU_DEP_2)
	v_cmpx_ne_u32_e32 0x7f, v1
	s_cbranch_execz .LBB444_3421
; %bb.3418:                             ;   in Loop: Header=BB444_1478 Depth=1
	v_and_b32_e32 v9, 7, v3
	v_lshrrev_b32_e32 v172, 3, v1
	v_cmp_gt_u32_e64 s0, 8, v1
	s_delay_alu instid0(VALU_DEP_3) | instskip(NEXT) | instid1(VALU_DEP_2)
	v_dual_mov_b32 v0, v9 :: v_dual_mov_b32 v1, v10
	s_and_saveexec_b32 s16, s0
; %bb.3419:                             ;   in Loop: Header=BB444_1478 Depth=1
	v_clz_i32_u32_e32 v0, v9
	s_delay_alu instid0(VALU_DEP_1) | instskip(NEXT) | instid1(VALU_DEP_1)
	v_min_u32_e32 v172, 32, v0
	v_subrev_nc_u32_e32 v0, 28, v172
	v_sub_nc_u32_e32 v172, 29, v172
	s_delay_alu instid0(VALU_DEP_2) | instskip(NEXT) | instid1(VALU_DEP_1)
	v_lshlrev_b64 v[0:1], v0, v[9:10]
	v_and_b32_e32 v0, 7, v0
; %bb.3420:                             ;   in Loop: Header=BB444_1478 Depth=1
	s_or_b32 exec_lo, exec_lo, s16
	v_lshlrev_b32_e32 v1, 24, v3
	s_delay_alu instid0(VALU_DEP_2) | instskip(SKIP_1) | instid1(VALU_DEP_3)
	v_lshlrev_b32_e32 v0, 20, v0
	v_lshl_add_u32 v3, v172, 23, 0x3c000000
	v_and_b32_e32 v1, 0x80000000, v1
	s_delay_alu instid0(VALU_DEP_1)
	v_or3_b32 v0, v0, v1, v3
.LBB444_3421:                           ;   in Loop: Header=BB444_1478 Depth=1
	s_or_b32 exec_lo, exec_lo, s15
.LBB444_3422:                           ;   in Loop: Header=BB444_1478 Depth=1
	s_delay_alu instid0(SALU_CYCLE_1)
	s_or_b32 exec_lo, exec_lo, s13
.LBB444_3423:                           ;   in Loop: Header=BB444_1478 Depth=1
	s_delay_alu instid0(SALU_CYCLE_1) | instskip(NEXT) | instid1(VALU_DEP_1)
	s_or_b32 exec_lo, exec_lo, s12
	v_mul_f32_e32 v0, v8, v0
                                        ; implicit-def: $vgpr172
	s_delay_alu instid0(VALU_DEP_1) | instskip(NEXT) | instid1(VALU_DEP_1)
	v_and_b32_e32 v1, 0x7f800000, v0
	v_cmp_ne_u32_e64 s0, 0x7f800000, v1
	s_delay_alu instid0(VALU_DEP_1) | instskip(NEXT) | instid1(SALU_CYCLE_1)
	s_and_saveexec_b32 s12, s0
	s_xor_b32 s0, exec_lo, s12
; %bb.3424:                             ;   in Loop: Header=BB444_1478 Depth=1
	v_bfe_u32 v1, v0, 16, 1
	s_delay_alu instid0(VALU_DEP_1)
	v_add3_u32 v172, v0, v1, 0x7fff
                                        ; implicit-def: $vgpr0
; %bb.3425:                             ;   in Loop: Header=BB444_1478 Depth=1
	s_and_not1_saveexec_b32 s12, s0
; %bb.3426:                             ;   in Loop: Header=BB444_1478 Depth=1
	v_and_b32_e32 v1, 0xffff, v0
	v_or_b32_e32 v3, 0x10000, v0
	s_delay_alu instid0(VALU_DEP_2) | instskip(NEXT) | instid1(VALU_DEP_1)
	v_cmp_eq_u32_e64 s0, 0, v1
	v_cndmask_b32_e64 v172, v3, v0, s0
; %bb.3427:                             ;   in Loop: Header=BB444_1478 Depth=1
	s_or_b32 exec_lo, exec_lo, s12
	v_lshrrev_b32_e32 v9, 16, v171
	v_lshrrev_b32_e32 v8, 16, v170
	;; [unrolled: 1-line block ×8, first 2 shown]
	s_and_saveexec_b32 s0, vcc_lo
	s_cbranch_execz .LBB444_3429
; %bb.3428:                             ;   in Loop: Header=BB444_1478 Depth=1
	v_cmp_lt_i32_e32 vcc_lo, v85, v38
	v_cndmask_b32_e32 v0, 0, v0, vcc_lo
	v_cmp_lt_i32_e32 vcc_lo, v100, v38
	v_cndmask_b32_e32 v1, 0, v1, vcc_lo
	;; [unrolled: 2-line block ×8, first 2 shown]
.LBB444_3429:                           ;   in Loop: Header=BB444_1478 Depth=1
	s_or_b32 exec_lo, exec_lo, s0
	v_lshlrev_b32_e32 v0, 16, v0
	s_delay_alu instid0(VALU_DEP_1) | instskip(NEXT) | instid1(VALU_DEP_1)
	v_mul_f32_e32 v2, v101, v0
	v_and_b32_e32 v0, 0x7f800000, v2
	s_delay_alu instid0(VALU_DEP_1) | instskip(SKIP_1) | instid1(SALU_CYCLE_1)
	v_cmp_ne_u32_e32 vcc_lo, 0x7f800000, v0
                                        ; implicit-def: $vgpr0
	s_and_saveexec_b32 s0, vcc_lo
	s_xor_b32 s0, exec_lo, s0
; %bb.3430:                             ;   in Loop: Header=BB444_1478 Depth=1
	v_bfe_u32 v0, v2, 16, 1
	s_delay_alu instid0(VALU_DEP_1)
	v_add3_u32 v0, v2, v0, 0x7fff
                                        ; implicit-def: $vgpr2
; %bb.3431:                             ;   in Loop: Header=BB444_1478 Depth=1
	s_and_not1_saveexec_b32 s0, s0
; %bb.3432:                             ;   in Loop: Header=BB444_1478 Depth=1
	v_and_b32_e32 v0, 0xffff, v2
	v_or_b32_e32 v85, 0x10000, v2
	s_delay_alu instid0(VALU_DEP_2) | instskip(NEXT) | instid1(VALU_DEP_2)
	v_cmp_eq_u32_e32 vcc_lo, 0, v0
	v_cndmask_b32_e32 v0, v85, v2, vcc_lo
; %bb.3433:                             ;   in Loop: Header=BB444_1478 Depth=1
	s_or_b32 exec_lo, exec_lo, s0
	v_lshlrev_b32_e32 v1, 16, v1
	s_delay_alu instid0(VALU_DEP_1) | instskip(NEXT) | instid1(VALU_DEP_1)
	v_mul_f32_e32 v2, v102, v1
	v_and_b32_e32 v1, 0x7f800000, v2
	s_delay_alu instid0(VALU_DEP_1) | instskip(SKIP_1) | instid1(SALU_CYCLE_1)
	v_cmp_ne_u32_e32 vcc_lo, 0x7f800000, v1
                                        ; implicit-def: $vgpr1
	s_and_saveexec_b32 s0, vcc_lo
	s_xor_b32 s0, exec_lo, s0
; %bb.3434:                             ;   in Loop: Header=BB444_1478 Depth=1
	v_bfe_u32 v1, v2, 16, 1
	s_delay_alu instid0(VALU_DEP_1)
	v_add3_u32 v1, v2, v1, 0x7fff
                                        ; implicit-def: $vgpr2
; %bb.3435:                             ;   in Loop: Header=BB444_1478 Depth=1
	s_and_not1_saveexec_b32 s0, s0
; %bb.3436:                             ;   in Loop: Header=BB444_1478 Depth=1
	v_and_b32_e32 v1, 0xffff, v2
	v_or_b32_e32 v85, 0x10000, v2
	s_delay_alu instid0(VALU_DEP_2) | instskip(NEXT) | instid1(VALU_DEP_2)
	v_cmp_eq_u32_e32 vcc_lo, 0, v1
	v_cndmask_b32_e32 v1, v85, v2, vcc_lo
; %bb.3437:                             ;   in Loop: Header=BB444_1478 Depth=1
	s_or_b32 exec_lo, exec_lo, s0
	v_lshlrev_b32_e32 v2, 16, v168
	s_delay_alu instid0(VALU_DEP_1) | instskip(NEXT) | instid1(VALU_DEP_1)
	v_mul_f32_e32 v85, v103, v2
	v_and_b32_e32 v2, 0x7f800000, v85
	s_delay_alu instid0(VALU_DEP_1) | instskip(SKIP_1) | instid1(SALU_CYCLE_1)
	v_cmp_ne_u32_e32 vcc_lo, 0x7f800000, v2
                                        ; implicit-def: $vgpr2
	s_and_saveexec_b32 s0, vcc_lo
	s_xor_b32 s0, exec_lo, s0
; %bb.3438:                             ;   in Loop: Header=BB444_1478 Depth=1
	v_bfe_u32 v2, v85, 16, 1
	s_delay_alu instid0(VALU_DEP_1)
	v_add3_u32 v2, v85, v2, 0x7fff
                                        ; implicit-def: $vgpr85
; %bb.3439:                             ;   in Loop: Header=BB444_1478 Depth=1
	s_and_not1_saveexec_b32 s0, s0
; %bb.3440:                             ;   in Loop: Header=BB444_1478 Depth=1
	v_and_b32_e32 v2, 0xffff, v85
	v_or_b32_e32 v86, 0x10000, v85
	s_delay_alu instid0(VALU_DEP_2) | instskip(NEXT) | instid1(VALU_DEP_2)
	v_cmp_eq_u32_e32 vcc_lo, 0, v2
	v_cndmask_b32_e32 v2, v86, v85, vcc_lo
; %bb.3441:                             ;   in Loop: Header=BB444_1478 Depth=1
	s_or_b32 exec_lo, exec_lo, s0
	v_lshlrev_b32_e32 v3, 16, v3
	s_delay_alu instid0(VALU_DEP_1) | instskip(NEXT) | instid1(VALU_DEP_1)
	v_mul_f32_e32 v85, v112, v3
	v_and_b32_e32 v3, 0x7f800000, v85
	s_delay_alu instid0(VALU_DEP_1) | instskip(SKIP_1) | instid1(SALU_CYCLE_1)
	v_cmp_ne_u32_e32 vcc_lo, 0x7f800000, v3
                                        ; implicit-def: $vgpr3
	s_and_saveexec_b32 s0, vcc_lo
	s_xor_b32 s0, exec_lo, s0
; %bb.3442:                             ;   in Loop: Header=BB444_1478 Depth=1
	v_bfe_u32 v3, v85, 16, 1
	s_delay_alu instid0(VALU_DEP_1)
	v_add3_u32 v3, v85, v3, 0x7fff
                                        ; implicit-def: $vgpr85
; %bb.3443:                             ;   in Loop: Header=BB444_1478 Depth=1
	s_and_not1_saveexec_b32 s0, s0
; %bb.3444:                             ;   in Loop: Header=BB444_1478 Depth=1
	v_and_b32_e32 v3, 0xffff, v85
	v_or_b32_e32 v86, 0x10000, v85
	s_delay_alu instid0(VALU_DEP_2) | instskip(NEXT) | instid1(VALU_DEP_2)
	v_cmp_eq_u32_e32 vcc_lo, 0, v3
	v_cndmask_b32_e32 v3, v86, v85, vcc_lo
; %bb.3445:                             ;   in Loop: Header=BB444_1478 Depth=1
	s_or_b32 exec_lo, exec_lo, s0
	v_lshlrev_b32_e32 v8, 16, v8
	s_delay_alu instid0(VALU_DEP_1) | instskip(NEXT) | instid1(VALU_DEP_1)
	v_mul_f32_e32 v85, v113, v8
	v_and_b32_e32 v8, 0x7f800000, v85
	s_delay_alu instid0(VALU_DEP_1) | instskip(SKIP_1) | instid1(SALU_CYCLE_1)
	v_cmp_ne_u32_e32 vcc_lo, 0x7f800000, v8
                                        ; implicit-def: $vgpr8
	s_and_saveexec_b32 s0, vcc_lo
	s_xor_b32 s0, exec_lo, s0
; %bb.3446:                             ;   in Loop: Header=BB444_1478 Depth=1
	v_bfe_u32 v8, v85, 16, 1
	s_delay_alu instid0(VALU_DEP_1)
	v_add3_u32 v8, v85, v8, 0x7fff
                                        ; implicit-def: $vgpr85
; %bb.3447:                             ;   in Loop: Header=BB444_1478 Depth=1
	s_and_not1_saveexec_b32 s0, s0
; %bb.3448:                             ;   in Loop: Header=BB444_1478 Depth=1
	v_and_b32_e32 v8, 0xffff, v85
	v_or_b32_e32 v86, 0x10000, v85
	s_delay_alu instid0(VALU_DEP_2) | instskip(NEXT) | instid1(VALU_DEP_2)
	v_cmp_eq_u32_e32 vcc_lo, 0, v8
	v_cndmask_b32_e32 v8, v86, v85, vcc_lo
; %bb.3449:                             ;   in Loop: Header=BB444_1478 Depth=1
	s_or_b32 exec_lo, exec_lo, s0
	v_lshlrev_b32_e32 v9, 16, v9
	s_delay_alu instid0(VALU_DEP_1) | instskip(NEXT) | instid1(VALU_DEP_1)
	v_mul_f32_e32 v85, v114, v9
	v_and_b32_e32 v9, 0x7f800000, v85
	s_delay_alu instid0(VALU_DEP_1) | instskip(SKIP_1) | instid1(SALU_CYCLE_1)
	v_cmp_ne_u32_e32 vcc_lo, 0x7f800000, v9
                                        ; implicit-def: $vgpr9
	s_and_saveexec_b32 s0, vcc_lo
	s_xor_b32 s0, exec_lo, s0
; %bb.3450:                             ;   in Loop: Header=BB444_1478 Depth=1
	v_bfe_u32 v9, v85, 16, 1
	s_delay_alu instid0(VALU_DEP_1)
	v_add3_u32 v9, v85, v9, 0x7fff
                                        ; implicit-def: $vgpr85
; %bb.3451:                             ;   in Loop: Header=BB444_1478 Depth=1
	s_and_not1_saveexec_b32 s0, s0
; %bb.3452:                             ;   in Loop: Header=BB444_1478 Depth=1
	v_and_b32_e32 v9, 0xffff, v85
	v_or_b32_e32 v86, 0x10000, v85
	s_delay_alu instid0(VALU_DEP_2) | instskip(NEXT) | instid1(VALU_DEP_2)
	v_cmp_eq_u32_e32 vcc_lo, 0, v9
	v_cndmask_b32_e32 v9, v86, v85, vcc_lo
; %bb.3453:                             ;   in Loop: Header=BB444_1478 Depth=1
	s_or_b32 exec_lo, exec_lo, s0
	v_lshlrev_b32_e32 v85, 16, v159
	s_delay_alu instid0(VALU_DEP_1) | instskip(NEXT) | instid1(VALU_DEP_1)
	v_mul_f32_e32 v86, v115, v85
	v_and_b32_e32 v85, 0x7f800000, v86
	s_delay_alu instid0(VALU_DEP_1) | instskip(SKIP_1) | instid1(SALU_CYCLE_1)
	v_cmp_ne_u32_e32 vcc_lo, 0x7f800000, v85
                                        ; implicit-def: $vgpr85
	s_and_saveexec_b32 s0, vcc_lo
	s_xor_b32 s0, exec_lo, s0
; %bb.3454:                             ;   in Loop: Header=BB444_1478 Depth=1
	v_bfe_u32 v85, v86, 16, 1
	s_delay_alu instid0(VALU_DEP_1)
	v_add3_u32 v85, v86, v85, 0x7fff
                                        ; implicit-def: $vgpr86
; %bb.3455:                             ;   in Loop: Header=BB444_1478 Depth=1
	s_and_not1_saveexec_b32 s0, s0
; %bb.3456:                             ;   in Loop: Header=BB444_1478 Depth=1
	v_and_b32_e32 v85, 0xffff, v86
	v_or_b32_e32 v87, 0x10000, v86
	s_delay_alu instid0(VALU_DEP_2) | instskip(NEXT) | instid1(VALU_DEP_2)
	v_cmp_eq_u32_e32 vcc_lo, 0, v85
	v_cndmask_b32_e32 v85, v87, v86, vcc_lo
; %bb.3457:                             ;   in Loop: Header=BB444_1478 Depth=1
	s_or_b32 exec_lo, exec_lo, s0
	v_lshlrev_b32_e32 v86, 16, v158
	s_delay_alu instid0(VALU_DEP_1) | instskip(NEXT) | instid1(VALU_DEP_1)
	v_mul_f32_e32 v87, v116, v86
	v_and_b32_e32 v86, 0x7f800000, v87
	s_delay_alu instid0(VALU_DEP_1) | instskip(SKIP_1) | instid1(SALU_CYCLE_1)
	v_cmp_ne_u32_e32 vcc_lo, 0x7f800000, v86
                                        ; implicit-def: $vgpr86
	s_and_saveexec_b32 s0, vcc_lo
	s_xor_b32 s0, exec_lo, s0
; %bb.3458:                             ;   in Loop: Header=BB444_1478 Depth=1
	v_bfe_u32 v86, v87, 16, 1
	s_delay_alu instid0(VALU_DEP_1)
	v_add3_u32 v86, v87, v86, 0x7fff
                                        ; implicit-def: $vgpr87
; %bb.3459:                             ;   in Loop: Header=BB444_1478 Depth=1
	s_and_not1_saveexec_b32 s0, s0
	s_cbranch_execz .LBB444_1476
; %bb.3460:                             ;   in Loop: Header=BB444_1478 Depth=1
	v_and_b32_e32 v86, 0xffff, v87
	v_or_b32_e32 v96, 0x10000, v87
	s_delay_alu instid0(VALU_DEP_2) | instskip(NEXT) | instid1(VALU_DEP_2)
	v_cmp_eq_u32_e32 vcc_lo, 0, v86
	v_cndmask_b32_e32 v86, v96, v87, vcc_lo
	s_branch .LBB444_1476
.LBB444_3461:
	s_or_b32 exec_lo, exec_lo, s10
.LBB444_3462:
	s_delay_alu instid0(SALU_CYCLE_1)
	s_or_b32 exec_lo, exec_lo, s7
	ds_bpermute_b32 v0, v20, v65
	ds_bpermute_b32 v1, v20, v66
	;; [unrolled: 1-line block ×5, first 2 shown]
	s_waitcnt lgkmcnt(0)
	s_waitcnt_vscnt null, 0x0
	s_barrier
	buffer_gl0_inv
	ds_bpermute_b32 v4, v20, v54
	ds_bpermute_b32 v5, v20, v53
	;; [unrolled: 1-line block ×10, first 2 shown]
	s_load_b32 s0, s[2:3], 0x0
	v_dual_add_f32 v0, v65, v0 :: v_dual_add_f32 v1, v66, v1
	v_dual_add_f32 v2, v64, v2 :: v_dual_add_f32 v3, v55, v3
	ds_bpermute_b32 v15, v19, v0
	ds_bpermute_b32 v16, v19, v1
	;; [unrolled: 1-line block ×3, first 2 shown]
	s_waitcnt lgkmcnt(0)
	v_dual_add_f32 v25, v25, v14 :: v_dual_add_f32 v4, v54, v4
	v_dual_add_f32 v5, v53, v5 :: v_dual_add_f32 v6, v36, v6
	;; [unrolled: 1-line block ×4, first 2 shown]
	v_add_f32_e32 v31, v31, v11
	v_dual_add_f32 v29, v29, v12 :: v_dual_add_f32 v28, v28, v13
	ds_bpermute_b32 v18, v19, v3
	ds_bpermute_b32 v20, v19, v4
	;; [unrolled: 1-line block ×6, first 2 shown]
	v_dual_add_f32 v0, v0, v15 :: v_dual_add_f32 v15, v1, v16
	v_add_f32_e32 v14, v2, v17
	s_clause 0x1
	scratch_load_b32 v1, off, s32 offset:328
	scratch_load_b32 v16, off, s32 offset:668
	ds_bpermute_b32 v27, v19, v21
	ds_bpermute_b32 v32, v19, v30
	;; [unrolled: 1-line block ×6, first 2 shown]
	v_and_b32_e32 v17, 0x3c3, v174
	s_waitcnt lgkmcnt(10)
	v_dual_add_f32 v13, v3, v18 :: v_dual_add_f32 v12, v4, v20
	s_waitcnt lgkmcnt(8)
	v_dual_add_f32 v11, v5, v9 :: v_dual_add_f32 v10, v6, v22
	;; [unrolled: 2-line block ×5, first 2 shown]
	s_waitcnt lgkmcnt(1)
	v_add_f32_e32 v3, v28, v35
	s_waitcnt lgkmcnt(0)
	v_add_f32_e32 v2, v25, v19
	v_cmp_eq_u32_e32 vcc_lo, 64, v17
	s_waitcnt vmcnt(1)
	v_lshrrev_b32_e32 v1, 2, v1
	s_waitcnt vmcnt(0)
	v_mad_u32_u24 v16, 0x1e0, v16, s0
	s_delay_alu instid0(VALU_DEP_2)
	v_lshlrev_b32_e32 v17, 2, v1
	s_and_saveexec_b32 s0, vcc_lo
	s_cbranch_execz .LBB444_3464
; %bb.3463:
	s_delay_alu instid0(VALU_DEP_1)
	v_add3_u32 v18, v16, v17, 0xfffffc40
	ds_store_2addr_b32 v18, v0, v15 offset1:8
	ds_store_2addr_b32 v18, v14, v13 offset0:16 offset1:24
	ds_store_2addr_b32 v18, v12, v11 offset0:32 offset1:40
	;; [unrolled: 1-line block ×6, first 2 shown]
	ds_store_b32 v18, v2 offset:448
.LBB444_3464:
	s_or_b32 exec_lo, exec_lo, s0
	v_cmp_eq_u32_e32 vcc_lo, 0, v24
	v_cmp_gt_u32_e64 s0, 64, v174
	s_waitcnt lgkmcnt(0)
	s_barrier
	buffer_gl0_inv
	s_mov_b32 s2, exec_lo
	s_clause 0x1
	scratch_load_b32 v19, off, s32 offset:672
	scratch_load_b32 v20, off, s32 offset:676
	s_and_b32 s0, s2, s0
	s_delay_alu instid0(SALU_CYCLE_1)
	s_mov_b32 exec_lo, s0
	s_cbranch_execz .LBB444_3482
; %bb.3465:
	s_and_saveexec_b32 s0, vcc_lo
	s_cbranch_execnz .LBB444_3566
; %bb.3466:
	s_or_b32 exec_lo, exec_lo, s0
	s_and_saveexec_b32 s0, vcc_lo
	s_cbranch_execnz .LBB444_3567
.LBB444_3467:
	s_or_b32 exec_lo, exec_lo, s0
	s_and_saveexec_b32 s0, vcc_lo
	s_cbranch_execnz .LBB444_3568
.LBB444_3468:
	s_or_b32 exec_lo, exec_lo, s0
	s_and_saveexec_b32 s0, vcc_lo
	s_cbranch_execnz .LBB444_3569
.LBB444_3469:
	s_or_b32 exec_lo, exec_lo, s0
	s_and_saveexec_b32 s0, vcc_lo
	s_cbranch_execnz .LBB444_3570
.LBB444_3470:
	s_or_b32 exec_lo, exec_lo, s0
	s_and_saveexec_b32 s0, vcc_lo
	s_cbranch_execnz .LBB444_3571
.LBB444_3471:
	s_or_b32 exec_lo, exec_lo, s0
	s_and_saveexec_b32 s0, vcc_lo
	s_cbranch_execnz .LBB444_3572
.LBB444_3472:
	s_or_b32 exec_lo, exec_lo, s0
	s_and_saveexec_b32 s0, vcc_lo
	s_cbranch_execnz .LBB444_3573
.LBB444_3473:
	s_or_b32 exec_lo, exec_lo, s0
	s_and_saveexec_b32 s0, vcc_lo
	s_cbranch_execnz .LBB444_3574
.LBB444_3474:
	s_or_b32 exec_lo, exec_lo, s0
	s_and_saveexec_b32 s0, vcc_lo
	s_cbranch_execnz .LBB444_3575
.LBB444_3475:
	s_or_b32 exec_lo, exec_lo, s0
	s_and_saveexec_b32 s0, vcc_lo
	s_cbranch_execnz .LBB444_3576
.LBB444_3476:
	s_or_b32 exec_lo, exec_lo, s0
	s_and_saveexec_b32 s0, vcc_lo
	s_cbranch_execnz .LBB444_3577
.LBB444_3477:
	s_or_b32 exec_lo, exec_lo, s0
	s_and_saveexec_b32 s0, vcc_lo
	s_cbranch_execnz .LBB444_3578
.LBB444_3478:
	s_or_b32 exec_lo, exec_lo, s0
	s_and_saveexec_b32 s0, vcc_lo
	s_cbranch_execnz .LBB444_3579
.LBB444_3479:
	s_or_b32 exec_lo, exec_lo, s0
	s_and_saveexec_b32 s0, vcc_lo
	s_cbranch_execz .LBB444_3481
.LBB444_3480:
	v_lshl_add_u32 v18, v1, 2, v16
	ds_load_b32 v18, v18 offset:448
	s_waitcnt lgkmcnt(0)
	v_add_f32_e32 v2, v18, v2
.LBB444_3481:
	s_or_b32 exec_lo, exec_lo, s0
.LBB444_3482:
	s_delay_alu instid0(SALU_CYCLE_1)
	s_or_b32 exec_lo, exec_lo, s2
	v_and_b32_e32 v18, 0x3e3, v174
	s_mov_b32 s2, exec_lo
	s_waitcnt vmcnt(0)
	s_barrier
	buffer_gl0_inv
	v_cmpx_eq_u32_e32 32, v18
	s_cbranch_execz .LBB444_3484
; %bb.3483:
	v_add3_u32 v17, v16, v17, 0xfffffe20
	ds_store_2addr_b32 v17, v0, v15 offset1:8
	ds_store_2addr_b32 v17, v14, v13 offset0:16 offset1:24
	ds_store_2addr_b32 v17, v12, v11 offset0:32 offset1:40
	ds_store_2addr_b32 v17, v10, v9 offset0:48 offset1:56
	ds_store_2addr_b32 v17, v8, v7 offset0:64 offset1:72
	ds_store_2addr_b32 v17, v6, v5 offset0:80 offset1:88
	ds_store_2addr_b32 v17, v4, v3 offset0:96 offset1:104
	ds_store_b32 v17, v2 offset:448
.LBB444_3484:
	s_or_b32 exec_lo, exec_lo, s2
	v_cmp_gt_u32_e64 s0, 32, v174
	s_waitcnt lgkmcnt(0)
	s_barrier
	buffer_gl0_inv
	s_and_saveexec_b32 s2, s0
	s_cbranch_execz .LBB444_3502
; %bb.3485:
	v_lshl_add_u32 v1, v1, 2, v16
	s_and_saveexec_b32 s3, vcc_lo
	s_cbranch_execnz .LBB444_3580
; %bb.3486:
	s_or_b32 exec_lo, exec_lo, s3
	s_and_saveexec_b32 s3, vcc_lo
	s_cbranch_execnz .LBB444_3581
.LBB444_3487:
	s_or_b32 exec_lo, exec_lo, s3
	s_and_saveexec_b32 s3, vcc_lo
	s_cbranch_execnz .LBB444_3582
.LBB444_3488:
	s_or_b32 exec_lo, exec_lo, s3
	s_and_saveexec_b32 s3, vcc_lo
	s_cbranch_execnz .LBB444_3583
.LBB444_3489:
	s_or_b32 exec_lo, exec_lo, s3
	s_and_saveexec_b32 s3, vcc_lo
	s_cbranch_execnz .LBB444_3584
.LBB444_3490:
	s_or_b32 exec_lo, exec_lo, s3
	s_and_saveexec_b32 s3, vcc_lo
	s_cbranch_execnz .LBB444_3585
.LBB444_3491:
	s_or_b32 exec_lo, exec_lo, s3
	s_and_saveexec_b32 s3, vcc_lo
	s_cbranch_execnz .LBB444_3586
.LBB444_3492:
	s_or_b32 exec_lo, exec_lo, s3
	s_and_saveexec_b32 s3, vcc_lo
	s_cbranch_execnz .LBB444_3587
.LBB444_3493:
	s_or_b32 exec_lo, exec_lo, s3
	s_and_saveexec_b32 s3, vcc_lo
	s_cbranch_execnz .LBB444_3588
.LBB444_3494:
	s_or_b32 exec_lo, exec_lo, s3
	s_and_saveexec_b32 s3, vcc_lo
	s_cbranch_execnz .LBB444_3589
.LBB444_3495:
	s_or_b32 exec_lo, exec_lo, s3
	s_and_saveexec_b32 s3, vcc_lo
	s_cbranch_execnz .LBB444_3590
.LBB444_3496:
	s_or_b32 exec_lo, exec_lo, s3
	s_and_saveexec_b32 s3, vcc_lo
	s_cbranch_execnz .LBB444_3591
.LBB444_3497:
	s_or_b32 exec_lo, exec_lo, s3
	s_and_saveexec_b32 s3, vcc_lo
	s_cbranch_execnz .LBB444_3592
.LBB444_3498:
	s_or_b32 exec_lo, exec_lo, s3
	s_and_saveexec_b32 s3, vcc_lo
	s_cbranch_execnz .LBB444_3593
.LBB444_3499:
	s_or_b32 exec_lo, exec_lo, s3
	s_and_saveexec_b32 s3, vcc_lo
	s_cbranch_execz .LBB444_3501
.LBB444_3500:
	ds_load_b32 v1, v1 offset:448
	s_waitcnt lgkmcnt(0)
	v_add_f32_e32 v2, v1, v2
.LBB444_3501:
	s_or_b32 exec_lo, exec_lo, s3
.LBB444_3502:
	s_delay_alu instid0(SALU_CYCLE_1)
	s_or_b32 exec_lo, exec_lo, s2
	s_barrier
	buffer_gl0_inv
	s_and_b32 exec_lo, exec_lo, s0
	s_cbranch_execz .LBB444_3565
; %bb.3503:
	s_and_b32 exec_lo, exec_lo, vcc_lo
	s_cbranch_execz .LBB444_3565
; %bb.3504:
	v_and_b32_e32 v1, 0x7f800000, v0
	s_mov_b32 s0, exec_lo
                                        ; implicit-def: $vgpr16
	s_delay_alu instid0(VALU_DEP_1)
	v_cmpx_ne_u32_e32 0x7f800000, v1
	s_xor_b32 s0, exec_lo, s0
; %bb.3505:
	v_bfe_u32 v1, v0, 16, 1
	s_delay_alu instid0(VALU_DEP_1)
	v_add3_u32 v16, v0, v1, 0x7fff
                                        ; implicit-def: $vgpr0
; %bb.3506:
	s_and_not1_saveexec_b32 s0, s0
; %bb.3507:
	v_and_b32_e32 v1, 0xffff, v0
	v_or_b32_e32 v16, 0x10000, v0
	s_delay_alu instid0(VALU_DEP_2) | instskip(NEXT) | instid1(VALU_DEP_2)
	v_cmp_eq_u32_e32 vcc_lo, 0, v1
	v_cndmask_b32_e32 v16, v16, v0, vcc_lo
; %bb.3508:
	s_or_b32 exec_lo, exec_lo, s0
	s_mul_i32 s2, s1, s4
	s_mul_i32 s0, s6, s1
	;; [unrolled: 1-line block ×5, first 2 shown]
	s_ashr_i32 s1, s0, 31
	s_ashr_i32 s3, s2, 31
	;; [unrolled: 1-line block ×3, first 2 shown]
	s_lshl_b64 s[0:1], s[0:1], 1
	s_lshl_b64 s[2:3], s[2:3], 1
	;; [unrolled: 1-line block ×3, first 2 shown]
	v_lshrrev_b32_e32 v0, 1, v174
	s_add_u32 s0, s2, s0
	s_addc_u32 s1, s3, s1
	s_add_u32 s0, s0, s6
	s_addc_u32 s1, s1, s7
	v_and_b32_e32 v0, 0x1fe, v0
	v_add_co_u32 v1, vcc_lo, s0, v20
	v_add_co_ci_u32_e32 v17, vcc_lo, s1, v19, vcc_lo
	v_and_b32_e32 v18, 0x7f800000, v15
	s_delay_alu instid0(VALU_DEP_3) | instskip(NEXT) | instid1(VALU_DEP_3)
	v_add_co_u32 v0, vcc_lo, v1, v0
	v_add_co_ci_u32_e32 v1, vcc_lo, 0, v17, vcc_lo
	s_mov_b32 s0, exec_lo
	flat_store_d16_hi_b16 v[0:1], v16
                                        ; implicit-def: $vgpr16
	v_cmpx_ne_u32_e32 0x7f800000, v18
	s_xor_b32 s0, exec_lo, s0
; %bb.3509:
	v_bfe_u32 v16, v15, 16, 1
	s_delay_alu instid0(VALU_DEP_1)
	v_add3_u32 v16, v15, v16, 0x7fff
                                        ; implicit-def: $vgpr15
; %bb.3510:
	s_and_not1_saveexec_b32 s0, s0
; %bb.3511:
	v_and_b32_e32 v16, 0xffff, v15
	v_or_b32_e32 v17, 0x10000, v15
	s_delay_alu instid0(VALU_DEP_2) | instskip(NEXT) | instid1(VALU_DEP_2)
	v_cmp_eq_u32_e32 vcc_lo, 0, v16
	v_cndmask_b32_e32 v16, v17, v15, vcc_lo
; %bb.3512:
	s_or_b32 exec_lo, exec_lo, s0
	v_and_b32_e32 v15, 0x7f800000, v14
	flat_store_d16_hi_b16 v[0:1], v16 offset:16
	v_cmp_ne_u32_e32 vcc_lo, 0x7f800000, v15
                                        ; implicit-def: $vgpr15
	s_and_saveexec_b32 s0, vcc_lo
	s_delay_alu instid0(SALU_CYCLE_1)
	s_xor_b32 s0, exec_lo, s0
; %bb.3513:
	v_bfe_u32 v15, v14, 16, 1
	s_delay_alu instid0(VALU_DEP_1)
	v_add3_u32 v15, v14, v15, 0x7fff
                                        ; implicit-def: $vgpr14
; %bb.3514:
	s_and_not1_saveexec_b32 s0, s0
; %bb.3515:
	v_and_b32_e32 v15, 0xffff, v14
	v_or_b32_e32 v16, 0x10000, v14
	s_delay_alu instid0(VALU_DEP_2) | instskip(NEXT) | instid1(VALU_DEP_2)
	v_cmp_eq_u32_e32 vcc_lo, 0, v15
	v_cndmask_b32_e32 v15, v16, v14, vcc_lo
; %bb.3516:
	s_or_b32 exec_lo, exec_lo, s0
	v_and_b32_e32 v14, 0x7f800000, v13
	flat_store_d16_hi_b16 v[0:1], v15 offset:32
	v_cmp_ne_u32_e32 vcc_lo, 0x7f800000, v14
                                        ; implicit-def: $vgpr14
	s_and_saveexec_b32 s0, vcc_lo
	s_delay_alu instid0(SALU_CYCLE_1)
	s_xor_b32 s0, exec_lo, s0
; %bb.3517:
	v_bfe_u32 v14, v13, 16, 1
	s_delay_alu instid0(VALU_DEP_1)
	v_add3_u32 v14, v13, v14, 0x7fff
                                        ; implicit-def: $vgpr13
; %bb.3518:
	s_and_not1_saveexec_b32 s0, s0
; %bb.3519:
	v_and_b32_e32 v14, 0xffff, v13
	v_or_b32_e32 v15, 0x10000, v13
	s_delay_alu instid0(VALU_DEP_2) | instskip(NEXT) | instid1(VALU_DEP_2)
	v_cmp_eq_u32_e32 vcc_lo, 0, v14
	v_cndmask_b32_e32 v14, v15, v13, vcc_lo
; %bb.3520:
	s_or_b32 exec_lo, exec_lo, s0
	v_and_b32_e32 v13, 0x7f800000, v12
	flat_store_d16_hi_b16 v[0:1], v14 offset:48
	v_cmp_ne_u32_e32 vcc_lo, 0x7f800000, v13
                                        ; implicit-def: $vgpr13
	s_and_saveexec_b32 s0, vcc_lo
	s_delay_alu instid0(SALU_CYCLE_1)
	s_xor_b32 s0, exec_lo, s0
; %bb.3521:
	v_bfe_u32 v13, v12, 16, 1
	s_delay_alu instid0(VALU_DEP_1)
	v_add3_u32 v13, v12, v13, 0x7fff
                                        ; implicit-def: $vgpr12
; %bb.3522:
	s_and_not1_saveexec_b32 s0, s0
; %bb.3523:
	v_and_b32_e32 v13, 0xffff, v12
	v_or_b32_e32 v14, 0x10000, v12
	s_delay_alu instid0(VALU_DEP_2) | instskip(NEXT) | instid1(VALU_DEP_2)
	v_cmp_eq_u32_e32 vcc_lo, 0, v13
	v_cndmask_b32_e32 v13, v14, v12, vcc_lo
; %bb.3524:
	s_or_b32 exec_lo, exec_lo, s0
	v_and_b32_e32 v12, 0x7f800000, v11
	flat_store_d16_hi_b16 v[0:1], v13 offset:64
	v_cmp_ne_u32_e32 vcc_lo, 0x7f800000, v12
                                        ; implicit-def: $vgpr12
	s_and_saveexec_b32 s0, vcc_lo
	s_delay_alu instid0(SALU_CYCLE_1)
	s_xor_b32 s0, exec_lo, s0
; %bb.3525:
	v_bfe_u32 v12, v11, 16, 1
	s_delay_alu instid0(VALU_DEP_1)
	v_add3_u32 v12, v11, v12, 0x7fff
                                        ; implicit-def: $vgpr11
; %bb.3526:
	s_and_not1_saveexec_b32 s0, s0
; %bb.3527:
	v_and_b32_e32 v12, 0xffff, v11
	v_or_b32_e32 v13, 0x10000, v11
	s_delay_alu instid0(VALU_DEP_2) | instskip(NEXT) | instid1(VALU_DEP_2)
	v_cmp_eq_u32_e32 vcc_lo, 0, v12
	v_cndmask_b32_e32 v12, v13, v11, vcc_lo
; %bb.3528:
	s_or_b32 exec_lo, exec_lo, s0
	v_and_b32_e32 v11, 0x7f800000, v10
	flat_store_d16_hi_b16 v[0:1], v12 offset:80
	v_cmp_ne_u32_e32 vcc_lo, 0x7f800000, v11
                                        ; implicit-def: $vgpr11
	s_and_saveexec_b32 s0, vcc_lo
	s_delay_alu instid0(SALU_CYCLE_1)
	s_xor_b32 s0, exec_lo, s0
; %bb.3529:
	v_bfe_u32 v11, v10, 16, 1
	s_delay_alu instid0(VALU_DEP_1)
	v_add3_u32 v11, v10, v11, 0x7fff
                                        ; implicit-def: $vgpr10
; %bb.3530:
	s_and_not1_saveexec_b32 s0, s0
; %bb.3531:
	v_and_b32_e32 v11, 0xffff, v10
	v_or_b32_e32 v12, 0x10000, v10
	s_delay_alu instid0(VALU_DEP_2) | instskip(NEXT) | instid1(VALU_DEP_2)
	v_cmp_eq_u32_e32 vcc_lo, 0, v11
	v_cndmask_b32_e32 v11, v12, v10, vcc_lo
; %bb.3532:
	s_or_b32 exec_lo, exec_lo, s0
	v_and_b32_e32 v10, 0x7f800000, v9
	flat_store_d16_hi_b16 v[0:1], v11 offset:96
	v_cmp_ne_u32_e32 vcc_lo, 0x7f800000, v10
                                        ; implicit-def: $vgpr10
	s_and_saveexec_b32 s0, vcc_lo
	s_delay_alu instid0(SALU_CYCLE_1)
	s_xor_b32 s0, exec_lo, s0
; %bb.3533:
	v_bfe_u32 v10, v9, 16, 1
	s_delay_alu instid0(VALU_DEP_1)
	v_add3_u32 v10, v9, v10, 0x7fff
                                        ; implicit-def: $vgpr9
; %bb.3534:
	s_and_not1_saveexec_b32 s0, s0
; %bb.3535:
	v_and_b32_e32 v10, 0xffff, v9
	v_or_b32_e32 v11, 0x10000, v9
	s_delay_alu instid0(VALU_DEP_2) | instskip(NEXT) | instid1(VALU_DEP_2)
	v_cmp_eq_u32_e32 vcc_lo, 0, v10
	v_cndmask_b32_e32 v10, v11, v9, vcc_lo
; %bb.3536:
	s_or_b32 exec_lo, exec_lo, s0
	v_and_b32_e32 v9, 0x7f800000, v8
	flat_store_d16_hi_b16 v[0:1], v10 offset:112
	v_cmp_ne_u32_e32 vcc_lo, 0x7f800000, v9
                                        ; implicit-def: $vgpr9
	s_and_saveexec_b32 s0, vcc_lo
	s_delay_alu instid0(SALU_CYCLE_1)
	s_xor_b32 s0, exec_lo, s0
; %bb.3537:
	v_bfe_u32 v9, v8, 16, 1
	s_delay_alu instid0(VALU_DEP_1)
	v_add3_u32 v9, v8, v9, 0x7fff
                                        ; implicit-def: $vgpr8
; %bb.3538:
	s_and_not1_saveexec_b32 s0, s0
; %bb.3539:
	v_and_b32_e32 v9, 0xffff, v8
	v_or_b32_e32 v10, 0x10000, v8
	s_delay_alu instid0(VALU_DEP_2) | instskip(NEXT) | instid1(VALU_DEP_2)
	v_cmp_eq_u32_e32 vcc_lo, 0, v9
	v_cndmask_b32_e32 v9, v10, v8, vcc_lo
; %bb.3540:
	s_or_b32 exec_lo, exec_lo, s0
	v_and_b32_e32 v8, 0x7f800000, v7
	flat_store_d16_hi_b16 v[0:1], v9 offset:128
	v_cmp_ne_u32_e32 vcc_lo, 0x7f800000, v8
                                        ; implicit-def: $vgpr8
	s_and_saveexec_b32 s0, vcc_lo
	s_delay_alu instid0(SALU_CYCLE_1)
	s_xor_b32 s0, exec_lo, s0
; %bb.3541:
	v_bfe_u32 v8, v7, 16, 1
	s_delay_alu instid0(VALU_DEP_1)
	v_add3_u32 v8, v7, v8, 0x7fff
                                        ; implicit-def: $vgpr7
; %bb.3542:
	s_and_not1_saveexec_b32 s0, s0
; %bb.3543:
	v_and_b32_e32 v8, 0xffff, v7
	v_or_b32_e32 v9, 0x10000, v7
	s_delay_alu instid0(VALU_DEP_2) | instskip(NEXT) | instid1(VALU_DEP_2)
	v_cmp_eq_u32_e32 vcc_lo, 0, v8
	v_cndmask_b32_e32 v8, v9, v7, vcc_lo
; %bb.3544:
	s_or_b32 exec_lo, exec_lo, s0
	v_and_b32_e32 v7, 0x7f800000, v6
	flat_store_d16_hi_b16 v[0:1], v8 offset:144
	v_cmp_ne_u32_e32 vcc_lo, 0x7f800000, v7
                                        ; implicit-def: $vgpr7
	s_and_saveexec_b32 s0, vcc_lo
	s_delay_alu instid0(SALU_CYCLE_1)
	s_xor_b32 s0, exec_lo, s0
; %bb.3545:
	v_bfe_u32 v7, v6, 16, 1
	s_delay_alu instid0(VALU_DEP_1)
	v_add3_u32 v7, v6, v7, 0x7fff
                                        ; implicit-def: $vgpr6
; %bb.3546:
	s_and_not1_saveexec_b32 s0, s0
; %bb.3547:
	v_and_b32_e32 v7, 0xffff, v6
	v_or_b32_e32 v8, 0x10000, v6
	s_delay_alu instid0(VALU_DEP_2) | instskip(NEXT) | instid1(VALU_DEP_2)
	v_cmp_eq_u32_e32 vcc_lo, 0, v7
	v_cndmask_b32_e32 v7, v8, v6, vcc_lo
; %bb.3548:
	s_or_b32 exec_lo, exec_lo, s0
	v_and_b32_e32 v6, 0x7f800000, v5
	flat_store_d16_hi_b16 v[0:1], v7 offset:160
	v_cmp_ne_u32_e32 vcc_lo, 0x7f800000, v6
                                        ; implicit-def: $vgpr6
	s_and_saveexec_b32 s0, vcc_lo
	s_delay_alu instid0(SALU_CYCLE_1)
	s_xor_b32 s0, exec_lo, s0
; %bb.3549:
	v_bfe_u32 v6, v5, 16, 1
	s_delay_alu instid0(VALU_DEP_1)
	v_add3_u32 v6, v5, v6, 0x7fff
                                        ; implicit-def: $vgpr5
; %bb.3550:
	s_and_not1_saveexec_b32 s0, s0
; %bb.3551:
	v_and_b32_e32 v6, 0xffff, v5
	v_or_b32_e32 v7, 0x10000, v5
	s_delay_alu instid0(VALU_DEP_2) | instskip(NEXT) | instid1(VALU_DEP_2)
	v_cmp_eq_u32_e32 vcc_lo, 0, v6
	v_cndmask_b32_e32 v6, v7, v5, vcc_lo
; %bb.3552:
	s_or_b32 exec_lo, exec_lo, s0
	v_and_b32_e32 v5, 0x7f800000, v4
	flat_store_d16_hi_b16 v[0:1], v6 offset:176
	v_cmp_ne_u32_e32 vcc_lo, 0x7f800000, v5
                                        ; implicit-def: $vgpr5
	s_and_saveexec_b32 s0, vcc_lo
	s_delay_alu instid0(SALU_CYCLE_1)
	s_xor_b32 s0, exec_lo, s0
; %bb.3553:
	v_bfe_u32 v5, v4, 16, 1
	s_delay_alu instid0(VALU_DEP_1)
	v_add3_u32 v5, v4, v5, 0x7fff
                                        ; implicit-def: $vgpr4
; %bb.3554:
	s_and_not1_saveexec_b32 s0, s0
; %bb.3555:
	v_and_b32_e32 v5, 0xffff, v4
	v_or_b32_e32 v6, 0x10000, v4
	s_delay_alu instid0(VALU_DEP_2) | instskip(NEXT) | instid1(VALU_DEP_2)
	v_cmp_eq_u32_e32 vcc_lo, 0, v5
	v_cndmask_b32_e32 v5, v6, v4, vcc_lo
; %bb.3556:
	s_or_b32 exec_lo, exec_lo, s0
	v_and_b32_e32 v4, 0x7f800000, v3
	flat_store_d16_hi_b16 v[0:1], v5 offset:192
	v_cmp_ne_u32_e32 vcc_lo, 0x7f800000, v4
                                        ; implicit-def: $vgpr4
	s_and_saveexec_b32 s0, vcc_lo
	s_delay_alu instid0(SALU_CYCLE_1)
	s_xor_b32 s0, exec_lo, s0
; %bb.3557:
	v_bfe_u32 v4, v3, 16, 1
	s_delay_alu instid0(VALU_DEP_1)
	v_add3_u32 v4, v3, v4, 0x7fff
                                        ; implicit-def: $vgpr3
; %bb.3558:
	s_and_not1_saveexec_b32 s0, s0
; %bb.3559:
	v_and_b32_e32 v4, 0xffff, v3
	v_or_b32_e32 v5, 0x10000, v3
	s_delay_alu instid0(VALU_DEP_2) | instskip(NEXT) | instid1(VALU_DEP_2)
	v_cmp_eq_u32_e32 vcc_lo, 0, v4
	v_cndmask_b32_e32 v4, v5, v3, vcc_lo
; %bb.3560:
	s_or_b32 exec_lo, exec_lo, s0
	v_and_b32_e32 v3, 0x7f800000, v2
	flat_store_d16_hi_b16 v[0:1], v4 offset:208
	v_cmp_ne_u32_e32 vcc_lo, 0x7f800000, v3
                                        ; implicit-def: $vgpr3
	s_and_saveexec_b32 s0, vcc_lo
	s_delay_alu instid0(SALU_CYCLE_1)
	s_xor_b32 s0, exec_lo, s0
; %bb.3561:
	v_bfe_u32 v3, v2, 16, 1
	s_delay_alu instid0(VALU_DEP_1)
	v_add3_u32 v3, v2, v3, 0x7fff
                                        ; implicit-def: $vgpr2
; %bb.3562:
	s_and_not1_saveexec_b32 s0, s0
; %bb.3563:
	v_and_b32_e32 v3, 0xffff, v2
	v_or_b32_e32 v4, 0x10000, v2
	s_delay_alu instid0(VALU_DEP_2) | instskip(NEXT) | instid1(VALU_DEP_2)
	v_cmp_eq_u32_e32 vcc_lo, 0, v3
	v_cndmask_b32_e32 v3, v4, v2, vcc_lo
; %bb.3564:
	s_or_b32 exec_lo, exec_lo, s0
	flat_store_d16_hi_b16 v[0:1], v3 offset:224
.LBB444_3565:
	s_or_b32 exec_lo, exec_lo, s5
	s_clause 0x1f
	scratch_load_b32 v191, off, s32 offset:8
	scratch_load_b32 v190, off, s32 offset:12
	;; [unrolled: 1-line block ×32, first 2 shown]
	s_clause 0x1f
	scratch_load_b32 v127, off, s32 offset:136
	scratch_load_b32 v126, off, s32 offset:140
	;; [unrolled: 1-line block ×32, first 2 shown]
	s_clause 0xf
	scratch_load_b32 v63, off, s32 offset:264
	scratch_load_b32 v62, off, s32 offset:268
	;; [unrolled: 1-line block ×16, first 2 shown]
	s_waitcnt vmcnt(0) lgkmcnt(0)
	s_setpc_b64 s[30:31]
.LBB444_3566:
	v_lshl_add_u32 v18, v1, 2, v16
	ds_load_b32 v18, v18
	s_waitcnt lgkmcnt(0)
	v_add_f32_e32 v0, v18, v0
	s_or_b32 exec_lo, exec_lo, s0
	s_and_saveexec_b32 s0, vcc_lo
	s_cbranch_execz .LBB444_3467
.LBB444_3567:
	v_lshl_add_u32 v18, v1, 2, v16
	ds_load_b32 v18, v18 offset:32
	s_waitcnt lgkmcnt(0)
	v_add_f32_e32 v15, v18, v15
	s_or_b32 exec_lo, exec_lo, s0
	s_and_saveexec_b32 s0, vcc_lo
	s_cbranch_execz .LBB444_3468
.LBB444_3568:
	v_lshl_add_u32 v18, v1, 2, v16
	ds_load_b32 v18, v18 offset:64
	s_waitcnt lgkmcnt(0)
	v_add_f32_e32 v14, v18, v14
	s_or_b32 exec_lo, exec_lo, s0
	s_and_saveexec_b32 s0, vcc_lo
	s_cbranch_execz .LBB444_3469
.LBB444_3569:
	v_lshl_add_u32 v18, v1, 2, v16
	ds_load_b32 v18, v18 offset:96
	s_waitcnt lgkmcnt(0)
	v_add_f32_e32 v13, v18, v13
	s_or_b32 exec_lo, exec_lo, s0
	s_and_saveexec_b32 s0, vcc_lo
	s_cbranch_execz .LBB444_3470
.LBB444_3570:
	v_lshl_add_u32 v18, v1, 2, v16
	ds_load_b32 v18, v18 offset:128
	s_waitcnt lgkmcnt(0)
	v_add_f32_e32 v12, v18, v12
	s_or_b32 exec_lo, exec_lo, s0
	s_and_saveexec_b32 s0, vcc_lo
	s_cbranch_execz .LBB444_3471
.LBB444_3571:
	v_lshl_add_u32 v18, v1, 2, v16
	ds_load_b32 v18, v18 offset:160
	s_waitcnt lgkmcnt(0)
	v_add_f32_e32 v11, v18, v11
	s_or_b32 exec_lo, exec_lo, s0
	s_and_saveexec_b32 s0, vcc_lo
	s_cbranch_execz .LBB444_3472
.LBB444_3572:
	v_lshl_add_u32 v18, v1, 2, v16
	ds_load_b32 v18, v18 offset:192
	s_waitcnt lgkmcnt(0)
	v_add_f32_e32 v10, v18, v10
	s_or_b32 exec_lo, exec_lo, s0
	s_and_saveexec_b32 s0, vcc_lo
	s_cbranch_execz .LBB444_3473
.LBB444_3573:
	v_lshl_add_u32 v18, v1, 2, v16
	ds_load_b32 v18, v18 offset:224
	s_waitcnt lgkmcnt(0)
	v_add_f32_e32 v9, v18, v9
	s_or_b32 exec_lo, exec_lo, s0
	s_and_saveexec_b32 s0, vcc_lo
	s_cbranch_execz .LBB444_3474
.LBB444_3574:
	v_lshl_add_u32 v18, v1, 2, v16
	ds_load_b32 v18, v18 offset:256
	s_waitcnt lgkmcnt(0)
	v_add_f32_e32 v8, v18, v8
	s_or_b32 exec_lo, exec_lo, s0
	s_and_saveexec_b32 s0, vcc_lo
	s_cbranch_execz .LBB444_3475
.LBB444_3575:
	v_lshl_add_u32 v18, v1, 2, v16
	ds_load_b32 v18, v18 offset:288
	s_waitcnt lgkmcnt(0)
	v_add_f32_e32 v7, v18, v7
	s_or_b32 exec_lo, exec_lo, s0
	s_and_saveexec_b32 s0, vcc_lo
	s_cbranch_execz .LBB444_3476
.LBB444_3576:
	v_lshl_add_u32 v18, v1, 2, v16
	ds_load_b32 v18, v18 offset:320
	s_waitcnt lgkmcnt(0)
	v_add_f32_e32 v6, v18, v6
	s_or_b32 exec_lo, exec_lo, s0
	s_and_saveexec_b32 s0, vcc_lo
	s_cbranch_execz .LBB444_3477
.LBB444_3577:
	v_lshl_add_u32 v18, v1, 2, v16
	ds_load_b32 v18, v18 offset:352
	s_waitcnt lgkmcnt(0)
	v_add_f32_e32 v5, v18, v5
	s_or_b32 exec_lo, exec_lo, s0
	s_and_saveexec_b32 s0, vcc_lo
	s_cbranch_execz .LBB444_3478
.LBB444_3578:
	v_lshl_add_u32 v18, v1, 2, v16
	ds_load_b32 v18, v18 offset:384
	s_waitcnt lgkmcnt(0)
	v_add_f32_e32 v4, v18, v4
	s_or_b32 exec_lo, exec_lo, s0
	s_and_saveexec_b32 s0, vcc_lo
	s_cbranch_execz .LBB444_3479
.LBB444_3579:
	v_lshl_add_u32 v18, v1, 2, v16
	ds_load_b32 v18, v18 offset:416
	s_waitcnt lgkmcnt(0)
	v_add_f32_e32 v3, v18, v3
	s_or_b32 exec_lo, exec_lo, s0
	s_and_saveexec_b32 s0, vcc_lo
	s_cbranch_execnz .LBB444_3480
	s_branch .LBB444_3481
.LBB444_3580:
	ds_load_b32 v16, v1
	s_waitcnt lgkmcnt(0)
	v_add_f32_e32 v0, v16, v0
	s_or_b32 exec_lo, exec_lo, s3
	s_and_saveexec_b32 s3, vcc_lo
	s_cbranch_execz .LBB444_3487
.LBB444_3581:
	ds_load_b32 v16, v1 offset:32
	s_waitcnt lgkmcnt(0)
	v_add_f32_e32 v15, v16, v15
	s_or_b32 exec_lo, exec_lo, s3
	s_and_saveexec_b32 s3, vcc_lo
	s_cbranch_execz .LBB444_3488
.LBB444_3582:
	ds_load_b32 v16, v1 offset:64
	s_waitcnt lgkmcnt(0)
	v_add_f32_e32 v14, v16, v14
	s_or_b32 exec_lo, exec_lo, s3
	s_and_saveexec_b32 s3, vcc_lo
	s_cbranch_execz .LBB444_3489
.LBB444_3583:
	ds_load_b32 v16, v1 offset:96
	s_waitcnt lgkmcnt(0)
	v_add_f32_e32 v13, v16, v13
	s_or_b32 exec_lo, exec_lo, s3
	s_and_saveexec_b32 s3, vcc_lo
	s_cbranch_execz .LBB444_3490
.LBB444_3584:
	ds_load_b32 v16, v1 offset:128
	s_waitcnt lgkmcnt(0)
	v_add_f32_e32 v12, v16, v12
	s_or_b32 exec_lo, exec_lo, s3
	s_and_saveexec_b32 s3, vcc_lo
	s_cbranch_execz .LBB444_3491
.LBB444_3585:
	ds_load_b32 v16, v1 offset:160
	s_waitcnt lgkmcnt(0)
	v_add_f32_e32 v11, v16, v11
	s_or_b32 exec_lo, exec_lo, s3
	s_and_saveexec_b32 s3, vcc_lo
	s_cbranch_execz .LBB444_3492
.LBB444_3586:
	ds_load_b32 v16, v1 offset:192
	s_waitcnt lgkmcnt(0)
	v_add_f32_e32 v10, v16, v10
	s_or_b32 exec_lo, exec_lo, s3
	s_and_saveexec_b32 s3, vcc_lo
	s_cbranch_execz .LBB444_3493
.LBB444_3587:
	ds_load_b32 v16, v1 offset:224
	s_waitcnt lgkmcnt(0)
	v_add_f32_e32 v9, v16, v9
	s_or_b32 exec_lo, exec_lo, s3
	s_and_saveexec_b32 s3, vcc_lo
	s_cbranch_execz .LBB444_3494
.LBB444_3588:
	ds_load_b32 v16, v1 offset:256
	s_waitcnt lgkmcnt(0)
	v_add_f32_e32 v8, v16, v8
	s_or_b32 exec_lo, exec_lo, s3
	s_and_saveexec_b32 s3, vcc_lo
	s_cbranch_execz .LBB444_3495
.LBB444_3589:
	ds_load_b32 v16, v1 offset:288
	s_waitcnt lgkmcnt(0)
	v_add_f32_e32 v7, v16, v7
	s_or_b32 exec_lo, exec_lo, s3
	s_and_saveexec_b32 s3, vcc_lo
	s_cbranch_execz .LBB444_3496
.LBB444_3590:
	ds_load_b32 v16, v1 offset:320
	s_waitcnt lgkmcnt(0)
	v_add_f32_e32 v6, v16, v6
	s_or_b32 exec_lo, exec_lo, s3
	s_and_saveexec_b32 s3, vcc_lo
	s_cbranch_execz .LBB444_3497
.LBB444_3591:
	ds_load_b32 v16, v1 offset:352
	s_waitcnt lgkmcnt(0)
	v_add_f32_e32 v5, v16, v5
	s_or_b32 exec_lo, exec_lo, s3
	s_and_saveexec_b32 s3, vcc_lo
	s_cbranch_execz .LBB444_3498
.LBB444_3592:
	ds_load_b32 v16, v1 offset:384
	s_waitcnt lgkmcnt(0)
	v_add_f32_e32 v4, v16, v4
	s_or_b32 exec_lo, exec_lo, s3
	s_and_saveexec_b32 s3, vcc_lo
	s_cbranch_execz .LBB444_3499
.LBB444_3593:
	ds_load_b32 v16, v1 offset:416
	s_waitcnt lgkmcnt(0)
	v_add_f32_e32 v3, v16, v3
	s_or_b32 exec_lo, exec_lo, s3
	s_and_saveexec_b32 s3, vcc_lo
	s_cbranch_execnz .LBB444_3500
	s_branch .LBB444_3501
.Lfunc_end444:
	.size	_ZN4vllm22paged_attention_kernelI14__hip_bfloat16hLi120ELi32ELi128ELNS_18Fp8KVCacheDataTypeE1ELb1ELi512EEEvPfS3_PT_PKS4_PKT0_SA_ifPKiSC_iPKfiiiSE_SE_iiiii, .Lfunc_end444-_ZN4vllm22paged_attention_kernelI14__hip_bfloat16hLi120ELi32ELi128ELNS_18Fp8KVCacheDataTypeE1ELb1ELi512EEEvPfS3_PT_PKS4_PKT0_SA_ifPKiSC_iPKfiiiSE_SE_iiiii
                                        ; -- End function
	.section	.AMDGPU.csdata,"",@progbits
; Function info:
; codeLenInByte = 111980
; NumSgprs: 35
; NumVgprs: 192
; ScratchSize: 752
; MemoryBound: 0
	.section	.text._ZN4vllm25paged_attention_v2_kernelI14__hip_bfloat16hLi120ELi32ELi128ELNS_18Fp8KVCacheDataTypeE1ELb1ELi512EEEvPfS3_PT_PKS4_PKT0_SA_ifPKiSC_iPKfiiiSE_SE_iiiii,"axG",@progbits,_ZN4vllm25paged_attention_v2_kernelI14__hip_bfloat16hLi120ELi32ELi128ELNS_18Fp8KVCacheDataTypeE1ELb1ELi512EEEvPfS3_PT_PKS4_PKT0_SA_ifPKiSC_iPKfiiiSE_SE_iiiii,comdat
	.protected	_ZN4vllm25paged_attention_v2_kernelI14__hip_bfloat16hLi120ELi32ELi128ELNS_18Fp8KVCacheDataTypeE1ELb1ELi512EEEvPfS3_PT_PKS4_PKT0_SA_ifPKiSC_iPKfiiiSE_SE_iiiii ; -- Begin function _ZN4vllm25paged_attention_v2_kernelI14__hip_bfloat16hLi120ELi32ELi128ELNS_18Fp8KVCacheDataTypeE1ELb1ELi512EEEvPfS3_PT_PKS4_PKT0_SA_ifPKiSC_iPKfiiiSE_SE_iiiii
	.globl	_ZN4vllm25paged_attention_v2_kernelI14__hip_bfloat16hLi120ELi32ELi128ELNS_18Fp8KVCacheDataTypeE1ELb1ELi512EEEvPfS3_PT_PKS4_PKT0_SA_ifPKiSC_iPKfiiiSE_SE_iiiii
	.p2align	8
	.type	_ZN4vllm25paged_attention_v2_kernelI14__hip_bfloat16hLi120ELi32ELi128ELNS_18Fp8KVCacheDataTypeE1ELb1ELi512EEEvPfS3_PT_PKS4_PKT0_SA_ifPKiSC_iPKfiiiSE_SE_iiiii,@function
_ZN4vllm25paged_attention_v2_kernelI14__hip_bfloat16hLi120ELi32ELi128ELNS_18Fp8KVCacheDataTypeE1ELb1ELi512EEEvPfS3_PT_PKS4_PKT0_SA_ifPKiSC_iPKfiiiSE_SE_iiiii: ; @_ZN4vllm25paged_attention_v2_kernelI14__hip_bfloat16hLi120ELi32ELi128ELNS_18Fp8KVCacheDataTypeE1ELb1ELi512EEEvPfS3_PT_PKS4_PKT0_SA_ifPKiSC_iPKfiiiSE_SE_iiiii
; %bb.0:
	s_mov_b32 s12, s13
	s_clause 0x7
	s_load_b128 s[4:7], s[0:1], 0x78
	s_load_b32 s8, s[0:1], 0x88
	s_load_b256 s[24:31], s[0:1], 0x0
	s_load_b256 s[36:43], s[0:1], 0x20
	s_load_b64 s[2:3], s[0:1], 0x40
	s_load_b64 s[10:11], s[0:1], 0x50
	s_load_b32 s13, s[0:1], 0x48
	s_load_b256 s[16:23], s[0:1], 0x58
	s_mov_b32 s32, 0
	v_mov_b32_e32 v31, v0
	s_waitcnt lgkmcnt(0)
	v_dual_mov_b32 v1, s7 :: v_dual_mov_b32 v2, s8
	v_dual_mov_b32 v0, s24 :: v_dual_mov_b32 v3, s27
	;; [unrolled: 1-line block ×3, first 2 shown]
	v_mov_b32_e32 v6, s30
	scratch_store_b64 off, v[1:2], s32
	v_dual_mov_b32 v1, s25 :: v_dual_mov_b32 v2, s26
	v_dual_mov_b32 v7, s31 :: v_dual_mov_b32 v8, s36
	;; [unrolled: 1-line block ×13, first 2 shown]
	s_add_u32 s8, s0, 0x90
	s_addc_u32 s9, s1, 0
	s_mov_b32 s13, s14
	s_mov_b32 s14, s15
	;; [unrolled: 1-line block ×3, first 2 shown]
	s_getpc_b64 s[0:1]
	s_add_u32 s0, s0, _ZN4vllm22paged_attention_kernelI14__hip_bfloat16hLi120ELi32ELi128ELNS_18Fp8KVCacheDataTypeE1ELb1ELi512EEEvPfS3_PT_PKS4_PKT0_SA_ifPKiSC_iPKfiiiSE_SE_iiiii@rel32@lo+4
	s_addc_u32 s1, s1, _ZN4vllm22paged_attention_kernelI14__hip_bfloat16hLi120ELi32ELi128ELNS_18Fp8KVCacheDataTypeE1ELb1ELi512EEEvPfS3_PT_PKS4_PKT0_SA_ifPKiSC_iPKfiiiSE_SE_iiiii@rel32@hi+12
	s_delay_alu instid0(SALU_CYCLE_1)
	s_swappc_b64 s[30:31], s[0:1]
	s_endpgm
	.section	.rodata,"a",@progbits
	.p2align	6, 0x0
	.amdhsa_kernel _ZN4vllm25paged_attention_v2_kernelI14__hip_bfloat16hLi120ELi32ELi128ELNS_18Fp8KVCacheDataTypeE1ELb1ELi512EEEvPfS3_PT_PKS4_PKT0_SA_ifPKiSC_iPKfiiiSE_SE_iiiii
		.amdhsa_group_segment_fixed_size 272
		.amdhsa_private_segment_fixed_size 752
		.amdhsa_kernarg_size 400
		.amdhsa_user_sgpr_count 13
		.amdhsa_user_sgpr_dispatch_ptr 0
		.amdhsa_user_sgpr_queue_ptr 0
		.amdhsa_user_sgpr_kernarg_segment_ptr 1
		.amdhsa_user_sgpr_dispatch_id 0
		.amdhsa_user_sgpr_private_segment_size 0
		.amdhsa_wavefront_size32 1
		.amdhsa_uses_dynamic_stack 0
		.amdhsa_enable_private_segment 1
		.amdhsa_system_sgpr_workgroup_id_x 1
		.amdhsa_system_sgpr_workgroup_id_y 1
		.amdhsa_system_sgpr_workgroup_id_z 1
		.amdhsa_system_sgpr_workgroup_info 0
		.amdhsa_system_vgpr_workitem_id 0
		.amdhsa_next_free_vgpr 192
		.amdhsa_next_free_sgpr 44
		.amdhsa_reserve_vcc 1
		.amdhsa_float_round_mode_32 0
		.amdhsa_float_round_mode_16_64 0
		.amdhsa_float_denorm_mode_32 3
		.amdhsa_float_denorm_mode_16_64 3
		.amdhsa_dx10_clamp 1
		.amdhsa_ieee_mode 1
		.amdhsa_fp16_overflow 0
		.amdhsa_workgroup_processor_mode 1
		.amdhsa_memory_ordered 1
		.amdhsa_forward_progress 0
		.amdhsa_shared_vgpr_count 0
		.amdhsa_exception_fp_ieee_invalid_op 0
		.amdhsa_exception_fp_denorm_src 0
		.amdhsa_exception_fp_ieee_div_zero 0
		.amdhsa_exception_fp_ieee_overflow 0
		.amdhsa_exception_fp_ieee_underflow 0
		.amdhsa_exception_fp_ieee_inexact 0
		.amdhsa_exception_int_div_zero 0
	.end_amdhsa_kernel
	.section	.text._ZN4vllm25paged_attention_v2_kernelI14__hip_bfloat16hLi120ELi32ELi128ELNS_18Fp8KVCacheDataTypeE1ELb1ELi512EEEvPfS3_PT_PKS4_PKT0_SA_ifPKiSC_iPKfiiiSE_SE_iiiii,"axG",@progbits,_ZN4vllm25paged_attention_v2_kernelI14__hip_bfloat16hLi120ELi32ELi128ELNS_18Fp8KVCacheDataTypeE1ELb1ELi512EEEvPfS3_PT_PKS4_PKT0_SA_ifPKiSC_iPKfiiiSE_SE_iiiii,comdat
.Lfunc_end445:
	.size	_ZN4vllm25paged_attention_v2_kernelI14__hip_bfloat16hLi120ELi32ELi128ELNS_18Fp8KVCacheDataTypeE1ELb1ELi512EEEvPfS3_PT_PKS4_PKT0_SA_ifPKiSC_iPKfiiiSE_SE_iiiii, .Lfunc_end445-_ZN4vllm25paged_attention_v2_kernelI14__hip_bfloat16hLi120ELi32ELi128ELNS_18Fp8KVCacheDataTypeE1ELb1ELi512EEEvPfS3_PT_PKS4_PKT0_SA_ifPKiSC_iPKfiiiSE_SE_iiiii
                                        ; -- End function
	.section	.AMDGPU.csdata,"",@progbits
; Kernel info:
; codeLenInByte = 280
; NumSgprs: 46
; NumVgprs: 192
; ScratchSize: 752
; MemoryBound: 0
; FloatMode: 240
; IeeeMode: 1
; LDSByteSize: 272 bytes/workgroup (compile time only)
; SGPRBlocks: 5
; VGPRBlocks: 23
; NumSGPRsForWavesPerEU: 46
; NumVGPRsForWavesPerEU: 192
; Occupancy: 8
; WaveLimiterHint : 1
; COMPUTE_PGM_RSRC2:SCRATCH_EN: 1
; COMPUTE_PGM_RSRC2:USER_SGPR: 13
; COMPUTE_PGM_RSRC2:TRAP_HANDLER: 0
; COMPUTE_PGM_RSRC2:TGID_X_EN: 1
; COMPUTE_PGM_RSRC2:TGID_Y_EN: 1
; COMPUTE_PGM_RSRC2:TGID_Z_EN: 1
; COMPUTE_PGM_RSRC2:TIDIG_COMP_CNT: 0
	.text
	.p2align	2                               ; -- Begin function _ZN4vllm22paged_attention_kernelI14__hip_bfloat16hLi128ELi32ELi128ELNS_18Fp8KVCacheDataTypeE1ELb1ELi512EEEvPfS3_PT_PKS4_PKT0_SA_ifPKiSC_iPKfiiiSE_SE_iiiii
	.type	_ZN4vllm22paged_attention_kernelI14__hip_bfloat16hLi128ELi32ELi128ELNS_18Fp8KVCacheDataTypeE1ELb1ELi512EEEvPfS3_PT_PKS4_PKT0_SA_ifPKiSC_iPKfiiiSE_SE_iiiii,@function
_ZN4vllm22paged_attention_kernelI14__hip_bfloat16hLi128ELi32ELi128ELNS_18Fp8KVCacheDataTypeE1ELb1ELi512EEEvPfS3_PT_PKS4_PKT0_SA_ifPKiSC_iPKfiiiSE_SE_iiiii: ; @_ZN4vllm22paged_attention_kernelI14__hip_bfloat16hLi128ELi32ELi128ELNS_18Fp8KVCacheDataTypeE1ELb1ELi512EEEvPfS3_PT_PKS4_PKT0_SA_ifPKiSC_iPKfiiiSE_SE_iiiii
; %bb.0:
	s_waitcnt vmcnt(0) expcnt(0) lgkmcnt(0)
	s_clause 0x1f
	scratch_store_b32 off, v40, s32 offset:324
	; meta instruction
	scratch_store_b32 off, v41, s32 offset:320
	; meta instruction
	;; [unrolled: 2-line block ×31, first 2 shown]
	scratch_store_b32 off, v95, s32 offset:200
	s_clause 0x1f
	scratch_store_b32 off, v104, s32 offset:196
	; meta instruction
	scratch_store_b32 off, v105, s32 offset:192
	; meta instruction
	;; [unrolled: 2-line block ×31, first 2 shown]
	scratch_store_b32 off, v159, s32 offset:72
	s_clause 0xf
	scratch_store_b32 off, v168, s32 offset:68
	; meta instruction
	scratch_store_b32 off, v169, s32 offset:64
	; meta instruction
	;; [unrolled: 2-line block ×15, first 2 shown]
	scratch_store_b32 off, v191, s32 offset:8
	s_mov_b32 s4, s13
	s_ashr_i32 s5, s13, 31
	v_dual_mov_b32 v32, v1 :: v_dual_mov_b32 v33, v0
	s_lshl_b64 s[0:1], s[4:5], 2
	v_dual_mov_b32 v34, v3 :: v_dual_mov_b32 v35, v2
	v_add_co_u32 v0, vcc_lo, v16, s0
	v_add_co_ci_u32_e32 v1, vcc_lo, s1, v17, vcc_lo
	flat_load_b32 v38, v[0:1]
	s_clause 0x1
	scratch_load_b32 v0, off, s32 offset:4
	scratch_load_b32 v1, off, s32
	s_lshl_b32 s3, s14, 9
	s_mov_b32 s5, exec_lo
	s_waitcnt vmcnt(2) lgkmcnt(0)
	v_cmpx_lt_i32_e64 s3, v38
	s_cbranch_execz .LBB446_3797
; %bb.1:
	v_sub_nc_u32_e32 v2, 0, v12
	s_clause 0x1
	scratch_store_b32 off, v4, s32 offset:740
	scratch_store_b32 off, v5, s32 offset:736
	s_clause 0x1
	s_load_b32 s0, s[8:9], 0x10
	s_load_b32 s1, s[8:9], 0x0
	s_mov_b32 s10, s15
	v_max_i32_e32 v2, v12, v2
	v_mov_b32_e32 v53, 0
	s_delay_alu instid0(VALU_DEP_2) | instskip(SKIP_1) | instid1(VALU_DEP_2)
	v_cvt_f32_u32_e32 v3, v2
	v_sub_nc_u32_e32 v4, 0, v2
	v_rcp_iflag_f32_e32 v3, v3
	s_waitcnt lgkmcnt(0)
	s_lshr_b32 s0, s0, 16
	s_delay_alu instid0(SALU_CYCLE_1) | instskip(SKIP_3) | instid1(SALU_CYCLE_1)
	s_cmp_lg_u32 s0, 0
	s_waitcnt_depctr 0xfff
	v_mul_f32_e32 v3, 0x4f7ffffe, v3
	s_cselect_b32 s0, -1, 0
	s_cmp_lg_u32 s0, 0
	s_delay_alu instid0(VALU_DEP_1) | instskip(SKIP_3) | instid1(VALU_DEP_1)
	v_cvt_u32_f32_e32 v3, v3
	s_addc_u32 s18, s1, 0
	s_mov_b32 s1, exec_lo
	s_abs_i32 s0, s18
	v_mul_lo_u32 v4, v4, v3
	s_delay_alu instid0(VALU_DEP_1) | instskip(NEXT) | instid1(VALU_DEP_1)
	v_mul_hi_u32 v4, v3, v4
	v_add_nc_u32_e32 v3, v3, v4
	s_delay_alu instid0(VALU_DEP_1) | instskip(NEXT) | instid1(VALU_DEP_1)
	v_mul_hi_u32 v3, s0, v3
	v_mul_lo_u32 v4, v3, v2
	v_add_nc_u32_e32 v5, 1, v3
	s_delay_alu instid0(VALU_DEP_2) | instskip(SKIP_1) | instid1(VALU_DEP_1)
	v_sub_nc_u32_e32 v4, s0, v4
	s_abs_i32 s0, s12
	v_sub_nc_u32_e32 v16, v4, v2
	v_cmp_ge_u32_e32 vcc_lo, v4, v2
	s_delay_alu instid0(VALU_DEP_2) | instskip(SKIP_1) | instid1(VALU_DEP_2)
	v_dual_cndmask_b32 v3, v3, v5 :: v_dual_cndmask_b32 v4, v4, v16
	v_xor_b32_e32 v5, s18, v12
	v_add_nc_u32_e32 v16, 1, v3
	s_delay_alu instid0(VALU_DEP_3) | instskip(NEXT) | instid1(VALU_DEP_3)
	v_cmp_ge_u32_e32 vcc_lo, v4, v2
	v_ashrrev_i32_e32 v5, 31, v5
	s_delay_alu instid0(VALU_DEP_3) | instskip(NEXT) | instid1(VALU_DEP_1)
	v_cndmask_b32_e32 v2, v3, v16, vcc_lo
	v_xor_b32_e32 v2, v2, v5
	s_delay_alu instid0(VALU_DEP_1) | instskip(NEXT) | instid1(VALU_DEP_1)
	v_sub_nc_u32_e32 v3, v2, v5
	v_sub_nc_u32_e32 v2, 0, v3
	s_delay_alu instid0(VALU_DEP_1) | instskip(NEXT) | instid1(VALU_DEP_1)
	v_max_i32_e32 v2, v3, v2
	v_cvt_f32_u32_e32 v4, v2
	v_sub_nc_u32_e32 v5, 0, v2
	s_delay_alu instid0(VALU_DEP_2) | instskip(SKIP_2) | instid1(VALU_DEP_1)
	v_rcp_iflag_f32_e32 v4, v4
	s_waitcnt_depctr 0xfff
	v_mul_f32_e32 v4, 0x4f7ffffe, v4
	v_cvt_u32_f32_e32 v4, v4
	s_delay_alu instid0(VALU_DEP_1) | instskip(NEXT) | instid1(VALU_DEP_1)
	v_mul_lo_u32 v5, v5, v4
	v_mul_hi_u32 v5, v4, v5
	s_delay_alu instid0(VALU_DEP_1) | instskip(NEXT) | instid1(VALU_DEP_1)
	v_add_nc_u32_e32 v4, v4, v5
	v_mad_u64_u32 v[16:17], null, s0, v4, 0
	v_cmpx_ne_u64_e32 0, v[19:20]
	s_cbranch_execz .LBB446_3
; %bb.2:
	s_ashr_i32 s13, s12, 31
	s_delay_alu instid0(SALU_CYCLE_1) | instskip(NEXT) | instid1(SALU_CYCLE_1)
	s_lshl_b64 s[6:7], s[12:13], 2
	v_add_co_u32 v4, vcc_lo, v19, s6
	v_add_co_ci_u32_e32 v5, vcc_lo, s7, v20, vcc_lo
	flat_load_b32 v53, v[4:5]
.LBB446_3:
	s_or_b32 exec_lo, exec_lo, s1
	v_and_b32_e32 v31, 0x3ff, v31
	v_ashrrev_i32_e32 v3, 31, v3
	s_ashr_i32 s1, s12, 31
	s_lshl_b32 s6, s12, 7
	s_mov_b32 s2, exec_lo
	v_cmpx_gt_u32_e32 16, v31
	s_cbranch_execz .LBB446_5
; %bb.4:
	v_mul_lo_u32 v4, s4, v21
	s_ashr_i32 s7, s6, 31
	v_lshlrev_b32_e32 v16, 4, v31
	s_lshl_b64 s[16:17], s[6:7], 1
	s_delay_alu instid0(VALU_DEP_2) | instskip(NEXT) | instid1(VALU_DEP_1)
	v_ashrrev_i32_e32 v5, 31, v4
	v_lshlrev_b64 v[4:5], 1, v[4:5]
	s_delay_alu instid0(VALU_DEP_1) | instskip(NEXT) | instid1(VALU_DEP_2)
	v_add_co_u32 v4, vcc_lo, v6, v4
	v_add_co_ci_u32_e32 v5, vcc_lo, v7, v5, vcc_lo
	s_delay_alu instid0(VALU_DEP_2) | instskip(NEXT) | instid1(VALU_DEP_2)
	v_add_co_u32 v4, vcc_lo, v4, s16
	v_add_co_ci_u32_e32 v5, vcc_lo, s17, v5, vcc_lo
	s_delay_alu instid0(VALU_DEP_2) | instskip(NEXT) | instid1(VALU_DEP_2)
	v_add_co_u32 v4, vcc_lo, v4, v16
	v_add_co_ci_u32_e32 v5, vcc_lo, 0, v5, vcc_lo
	flat_load_b128 v[4:7], v[4:5]
	s_waitcnt vmcnt(0) lgkmcnt(0)
	ds_store_b128 v16, v[4:7]
.LBB446_5:
	s_or_b32 exec_lo, exec_lo, s2
	s_waitcnt vmcnt(0)
	v_sub_nc_u32_e32 v4, 0, v1
	v_mul_lo_u32 v5, v17, v2
	v_xor_b32_e32 v3, s1, v3
	s_waitcnt lgkmcnt(0)
	s_waitcnt_vscnt null, 0x0
	s_barrier
	v_max_i32_e32 v48, v1, v4
	buffer_gl0_inv
	v_add_nc_u32_e32 v7, 1, v17
	v_sub_nc_u32_e32 v5, s0, v5
	v_cvt_f32_u32_e32 v4, v48
	s_mov_b32 s0, exec_lo
	s_delay_alu instid0(VALU_DEP_2) | instskip(NEXT) | instid1(VALU_DEP_2)
	v_sub_nc_u32_e32 v19, v5, v2
	v_rcp_iflag_f32_e32 v4, v4
	v_cmp_ge_u32_e32 vcc_lo, v5, v2
	s_delay_alu instid0(VALU_DEP_2) | instskip(SKIP_3) | instid1(VALU_DEP_2)
	v_cndmask_b32_e32 v5, v5, v19, vcc_lo
	s_waitcnt_depctr 0xfff
	v_dual_cndmask_b32 v7, v17, v7 :: v_dual_mul_f32 v4, 0x4f7ffffe, v4
	v_cmp_ge_u32_e32 vcc_lo, v5, v2
	v_cvt_u32_f32_e32 v6, v4
	v_sub_nc_u32_e32 v4, 0, v48
	s_delay_alu instid0(VALU_DEP_1) | instskip(SKIP_2) | instid1(VALU_DEP_1)
	v_mul_lo_u32 v16, v4, v6
	v_add_nc_u32_e32 v4, -1, v38
	v_add_nc_u32_e32 v19, 1, v7
	v_cndmask_b32_e32 v5, v7, v19, vcc_lo
	s_delay_alu instid0(VALU_DEP_4) | instskip(NEXT) | instid1(VALU_DEP_4)
	v_mul_hi_u32 v17, v6, v16
	v_sub_nc_u32_e32 v16, 0, v4
	s_delay_alu instid0(VALU_DEP_3) | instskip(NEXT) | instid1(VALU_DEP_2)
	v_xor_b32_e32 v5, v5, v3
	v_max_i32_e32 v2, v4, v16
                                        ; implicit-def: $vgpr16
	s_delay_alu instid0(VALU_DEP_4) | instskip(NEXT) | instid1(VALU_DEP_1)
	v_add_nc_u32_e32 v49, v6, v17
	v_mad_u64_u32 v[6:7], null, v2, v49, 0
	s_delay_alu instid0(VALU_DEP_4)
	v_sub_nc_u32_e32 v6, v5, v3
	v_cmpx_gt_i32_e32 0, v0
	s_xor_b32 s0, exec_lo, s0
; %bb.6:
	s_delay_alu instid0(VALU_DEP_2) | instskip(NEXT) | instid1(VALU_DEP_1)
	v_mad_u64_u32 v[16:17], null, v28, v12, v[6:7]
                                        ; implicit-def: $vgpr28
	v_mul_lo_u32 v0, v16, v0
	s_delay_alu instid0(VALU_DEP_1)
	v_sub_nc_u32_e32 v16, 1, v0
                                        ; implicit-def: $vgpr0
; %bb.7:
	s_or_saveexec_b32 s0, s0
	v_ashrrev_i32_e32 v3, 31, v4
	v_ashrrev_i32_e32 v50, 31, v1
	s_xor_b32 exec_lo, exec_lo, s0
; %bb.8:
	v_mad_u64_u32 v[4:5], null, s18, v28, s[12:13]
	s_delay_alu instid0(VALU_DEP_1)
	v_mad_u64_u32 v[16:17], null, v4, v0, 1
; %bb.9:
	s_or_b32 exec_lo, exec_lo, s0
	v_mul_lo_u32 v0, v7, v48
	v_dual_mov_b32 v157, 0xff7fffff :: v_dual_add_nc_u32 v4, 1, v7
	s_clause 0x1
	s_load_b32 s15, s[8:9], 0x14
	s_load_b32 s7, s[8:9], 0x8
	v_xor_b32_e32 v3, v3, v50
	v_lshrrev_b32_e32 v12, 5, v31
	s_lshl_b32 s13, s14, 4
	v_mul_lo_u32 v21, v6, v23
	v_sub_nc_u32_e32 v2, v2, v0
	v_mul_lo_u32 v0, s4, v18
	s_add_i32 s0, s13, 16
	v_and_b32_e32 v19, 31, v31
	v_sub_nc_u32_e32 v39, 0, v30
	v_sub_nc_u32_e32 v17, v2, v48
	v_cmp_ge_u32_e32 vcc_lo, v2, v48
	v_add_nc_u32_e32 v1, 31, v38
	s_clause 0x1
	scratch_store_b32 off, v12, s32 offset:732
	scratch_store_b32 off, v19, s32 offset:328
	v_lshl_add_u32 v23, v12, 5, s3
	v_cndmask_b32_e32 v4, v7, v4, vcc_lo
	v_ashrrev_i32_e32 v5, 31, v1
	v_dual_cndmask_b32 v2, v2, v17 :: v_dual_add_nc_u32 v17, s13, v12
	v_ashrrev_i32_e32 v12, 31, v21
	s_delay_alu instid0(VALU_DEP_4) | instskip(NEXT) | instid1(VALU_DEP_4)
	v_add_nc_u32_e32 v7, 1, v4
	v_lshrrev_b32_e32 v5, 27, v5
	s_delay_alu instid0(VALU_DEP_4) | instskip(SKIP_2) | instid1(VALU_DEP_4)
	v_cmp_ge_u32_e32 vcc_lo, v2, v48
	v_ashrrev_i32_e32 v18, 31, v17
	v_lshlrev_b32_e32 v36, 2, v19
	v_dual_cndmask_b32 v2, v4, v7 :: v_dual_add_nc_u32 v1, v1, v5
	s_delay_alu instid0(VALU_DEP_1) | instskip(NEXT) | instid1(VALU_DEP_2)
	v_ashrrev_i32_e32 v37, 5, v1
	v_xor_b32_e32 v2, v2, v3
	v_ashrrev_i32_e32 v1, 31, v0
	s_delay_alu instid0(VALU_DEP_3) | instskip(NEXT) | instid1(VALU_DEP_3)
	v_min_i32_e32 v51, s0, v37
	v_sub_nc_u32_e32 v2, v2, v3
	s_delay_alu instid0(VALU_DEP_3) | instskip(NEXT) | instid1(VALU_DEP_3)
	v_lshlrev_b64 v[69:70], 2, v[0:1]
	v_cmp_lt_i32_e64 s0, v17, v51
	s_delay_alu instid0(VALU_DEP_3) | instskip(NEXT) | instid1(VALU_DEP_2)
	v_sub_nc_u32_e32 v52, v2, v29
	s_and_saveexec_b32 s19, s0
	s_cbranch_execz .LBB446_1553
; %bb.10:
	v_mov_b32_e32 v20, 0
	s_clause 0x7
	scratch_store_b32 off, v37, s32 offset:796
	scratch_store_b32 off, v35, s32 offset:780
	;; [unrolled: 1-line block ×8, first 2 shown]
	v_max_i32_e32 v126, v30, v39
	s_getpc_b64 s[8:9]
	s_add_u32 s8, s8, llvm.amdgcn.dynlds.offset.table@rel32@lo+4
	s_addc_u32 s9, s9, llvm.amdgcn.dynlds.offset.table@rel32@hi+12
	s_ashr_i32 s11, s10, 31
	ds_load_b128 v[0:3], v20
	ds_load_b128 v[4:7], v20 offset:16
	ds_load_b128 v[64:67], v20 offset:32
	;; [unrolled: 1-line block ×3, first 2 shown]
	s_lshl_b64 s[16:17], s[10:11], 2
	s_mov_b32 s20, 0
	s_add_u32 s8, s16, s8
	s_addc_u32 s9, s17, s9
	s_mov_b32 s16, -1
	s_mov_b32 s17, 0xffffff
	v_mov_b32_e32 v185, v17
	v_dual_mov_b32 v157, 0xff7fffff :: v_dual_mov_b32 v184, 0xff7fffff
	s_waitcnt lgkmcnt(0)
	v_lshlrev_b32_e32 v110, 16, v0
	v_and_b32_e32 v0, 0xffff0000, v0
	v_and_b32_e32 v10, 0xffff0000, v67
	s_clause 0x1
	scratch_store_b32 off, v0, s32 offset:332
	scratch_store_b32 off, v10, s32 offset:420
	v_lshlrev_b32_e32 v0, 16, v1
	v_lshlrev_b32_e32 v10, 16, v32
	s_clause 0x1
	scratch_store_b32 off, v0, s32 offset:336
	scratch_store_b32 off, v10, s32 offset:424
	v_and_b32_e32 v0, 0xffff0000, v1
	v_and_b32_e32 v10, 0xffff0000, v32
	s_clause 0x1
	scratch_store_b32 off, v0, s32 offset:340
	scratch_store_b32 off, v10, s32 offset:428
	v_lshlrev_b32_e32 v0, 16, v2
	v_lshlrev_b32_e32 v10, 16, v33
	s_clause 0x1
	scratch_store_b32 off, v0, s32 offset:344
	scratch_store_b32 off, v10, s32 offset:432
	;; [unrolled: 10-line block ×4, first 2 shown]
	v_and_b32_e32 v0, 0xffff0000, v4
	v_and_b32_e32 v4, 0xffff0000, v7
	;; [unrolled: 1-line block ×3, first 2 shown]
	ds_load_b128 v[32:35], v20 offset:112
	s_clause 0x2
	scratch_store_b32 off, v0, s32 offset:364
	scratch_store_b32 off, v4, s32 offset:388
	;; [unrolled: 1-line block ×3, first 2 shown]
	v_lshlrev_b32_e32 v0, 16, v5
	v_lshlrev_b32_e32 v4, 16, v64
	s_clause 0x1
	scratch_store_b32 off, v0, s32 offset:368
	scratch_store_b32 off, v4, s32 offset:392
	v_and_b32_e32 v0, 0xffff0000, v5
	v_and_b32_e32 v4, 0xffff0000, v64
	s_clause 0x1
	scratch_store_b32 off, v0, s32 offset:372
	scratch_store_b32 off, v4, s32 offset:396
	v_lshlrev_b32_e32 v0, 16, v6
	v_lshlrev_b32_e32 v4, 16, v65
	s_clause 0x1
	scratch_store_b32 off, v0, s32 offset:376
	scratch_store_b32 off, v4, s32 offset:400
	v_and_b32_e32 v0, 0xffff0000, v6
	v_and_b32_e32 v4, 0xffff0000, v65
	s_clause 0x1
	scratch_store_b32 off, v0, s32 offset:380
	scratch_store_b32 off, v4, s32 offset:404
	v_lshlrev_b32_e32 v0, 16, v7
	v_lshlrev_b32_e32 v4, 16, v66
	s_clause 0x1
	scratch_store_b32 off, v0, s32 offset:384
	scratch_store_b32 off, v4, s32 offset:408
	ds_load_b128 v[0:3], v20 offset:64
	v_and_b32_e32 v4, 0xffff0000, v66
	scratch_store_b32 off, v4, s32 offset:412 ; 4-byte Folded Spill
	v_lshlrev_b32_e32 v4, 16, v67
	ds_load_b128 v[64:67], v20 offset:96
	scratch_store_b32 off, v4, s32 offset:416 ; 4-byte Folded Spill
	ds_load_b128 v[4:7], v20 offset:80
	s_waitcnt lgkmcnt(2)
	v_lshlrev_b32_e32 v10, 16, v0
	v_and_b32_e32 v0, 0xffff0000, v0
	scratch_store_b32 off, v10, s32 offset:456 ; 4-byte Folded Spill
	s_waitcnt lgkmcnt(1)
	v_and_b32_e32 v10, 0xffff0000, v67
	scratch_store_b32 off, v0, s32 offset:460 ; 4-byte Folded Spill
	v_lshlrev_b32_e32 v0, 16, v1
	scratch_store_b32 off, v10, s32 offset:548 ; 4-byte Folded Spill
	v_lshlrev_b32_e32 v10, 16, v32
	scratch_store_b32 off, v0, s32 offset:464 ; 4-byte Folded Spill
	v_and_b32_e32 v0, 0xffff0000, v1
	scratch_store_b32 off, v10, s32 offset:552 ; 4-byte Folded Spill
	v_and_b32_e32 v10, 0xffff0000, v32
	scratch_store_b32 off, v0, s32 offset:468 ; 4-byte Folded Spill
	v_lshlrev_b32_e32 v0, 16, v2
	scratch_store_b32 off, v10, s32 offset:556 ; 4-byte Folded Spill
	v_lshlrev_b32_e32 v10, 16, v33
	scratch_store_b32 off, v0, s32 offset:472 ; 4-byte Folded Spill
	v_and_b32_e32 v0, 0xffff0000, v2
	scratch_store_b32 off, v10, s32 offset:560 ; 4-byte Folded Spill
	;; [unrolled: 8-line block ×3, first 2 shown]
	v_and_b32_e32 v10, 0xffff0000, v34
	scratch_store_b32 off, v0, s32 offset:484 ; 4-byte Folded Spill
	s_waitcnt lgkmcnt(0)
	v_lshlrev_b32_e32 v0, 16, v4
	scratch_store_b32 off, v10, s32 offset:572 ; 4-byte Folded Spill
	v_lshlrev_b32_e32 v10, 16, v35
	scratch_store_b32 off, v0, s32 offset:488 ; 4-byte Folded Spill
	v_and_b32_e32 v0, 0xffff0000, v4
	v_and_b32_e32 v4, 0xffff0000, v7
	scratch_store_b32 off, v10, s32 offset:576 ; 4-byte Folded Spill
	v_and_b32_e32 v10, 0xffff0000, v35
	s_clause 0x1
	scratch_store_b32 off, v0, s32 offset:492
	scratch_store_b32 off, v4, s32 offset:516
	v_lshlrev_b32_e32 v0, 16, v5
	v_lshlrev_b32_e32 v4, 16, v64
	scratch_store_b32 off, v10, s32 offset:580 ; 4-byte Folded Spill
	ds_load_b128 v[32:35], v20 offset:176
	s_clause 0x1
	scratch_store_b32 off, v0, s32 offset:496
	scratch_store_b32 off, v4, s32 offset:520
	v_and_b32_e32 v0, 0xffff0000, v5
	v_and_b32_e32 v4, 0xffff0000, v64
	s_clause 0x1
	scratch_store_b32 off, v0, s32 offset:500
	scratch_store_b32 off, v4, s32 offset:524
	v_lshlrev_b32_e32 v0, 16, v6
	v_lshlrev_b32_e32 v4, 16, v65
	s_clause 0x1
	scratch_store_b32 off, v0, s32 offset:504
	scratch_store_b32 off, v4, s32 offset:528
	v_and_b32_e32 v0, 0xffff0000, v6
	v_and_b32_e32 v4, 0xffff0000, v65
	s_clause 0x1
	scratch_store_b32 off, v0, s32 offset:508
	scratch_store_b32 off, v4, s32 offset:532
	v_lshlrev_b32_e32 v0, 16, v7
	v_lshlrev_b32_e32 v4, 16, v66
	s_clause 0x1
	scratch_store_b32 off, v0, s32 offset:512
	scratch_store_b32 off, v4, s32 offset:536
	ds_load_b128 v[0:3], v20 offset:128
	v_and_b32_e32 v4, 0xffff0000, v66
	scratch_store_b32 off, v4, s32 offset:540 ; 4-byte Folded Spill
	v_lshlrev_b32_e32 v4, 16, v67
	ds_load_b128 v[64:67], v20 offset:160
	scratch_store_b32 off, v4, s32 offset:544 ; 4-byte Folded Spill
	ds_load_b128 v[4:7], v20 offset:144
	s_waitcnt lgkmcnt(2)
	v_lshlrev_b32_e32 v10, 16, v0
	v_and_b32_e32 v0, 0xffff0000, v0
	scratch_store_b32 off, v10, s32 offset:584 ; 4-byte Folded Spill
	s_waitcnt lgkmcnt(1)
	v_and_b32_e32 v10, 0xffff0000, v67
	scratch_store_b32 off, v0, s32 offset:588 ; 4-byte Folded Spill
	v_lshlrev_b32_e32 v0, 16, v1
	scratch_store_b32 off, v10, s32 offset:676 ; 4-byte Folded Spill
	v_lshlrev_b32_e32 v10, 16, v32
	scratch_store_b32 off, v0, s32 offset:592 ; 4-byte Folded Spill
	v_and_b32_e32 v0, 0xffff0000, v1
	scratch_store_b32 off, v10, s32 offset:680 ; 4-byte Folded Spill
	v_and_b32_e32 v10, 0xffff0000, v32
	scratch_store_b32 off, v0, s32 offset:596 ; 4-byte Folded Spill
	v_lshlrev_b32_e32 v0, 16, v2
	scratch_store_b32 off, v10, s32 offset:684 ; 4-byte Folded Spill
	v_lshlrev_b32_e32 v10, 16, v33
	scratch_store_b32 off, v0, s32 offset:600 ; 4-byte Folded Spill
	v_and_b32_e32 v0, 0xffff0000, v2
	scratch_store_b32 off, v10, s32 offset:688 ; 4-byte Folded Spill
	;; [unrolled: 8-line block ×3, first 2 shown]
	v_and_b32_e32 v10, 0xffff0000, v34
	scratch_store_b32 off, v0, s32 offset:612 ; 4-byte Folded Spill
	s_waitcnt lgkmcnt(0)
	v_lshlrev_b32_e32 v0, 16, v4
	scratch_store_b32 off, v10, s32 offset:700 ; 4-byte Folded Spill
	v_lshlrev_b32_e32 v10, 16, v35
	scratch_store_b32 off, v0, s32 offset:616 ; 4-byte Folded Spill
	v_and_b32_e32 v0, 0xffff0000, v4
	v_and_b32_e32 v4, 0xffff0000, v7
	scratch_store_b32 off, v10, s32 offset:704 ; 4-byte Folded Spill
	v_and_b32_e32 v10, 0xffff0000, v35
	s_clause 0x1
	scratch_store_b32 off, v0, s32 offset:620
	scratch_store_b32 off, v4, s32 offset:644
	v_lshlrev_b32_e32 v0, 16, v5
	v_lshlrev_b32_e32 v4, 16, v64
	s_clause 0x2
	scratch_store_b32 off, v10, s32 offset:708
	scratch_store_b32 off, v0, s32 offset:624
	;; [unrolled: 1-line block ×3, first 2 shown]
	v_and_b32_e32 v0, 0xffff0000, v5
	v_and_b32_e32 v4, 0xffff0000, v64
	s_clause 0x1
	scratch_store_b32 off, v0, s32 offset:628
	scratch_store_b32 off, v4, s32 offset:652
	v_lshlrev_b32_e32 v0, 16, v6
	v_lshlrev_b32_e32 v4, 16, v65
	s_clause 0x1
	scratch_store_b32 off, v0, s32 offset:632
	scratch_store_b32 off, v4, s32 offset:656
	v_and_b32_e32 v0, 0xffff0000, v6
	v_and_b32_e32 v4, 0xffff0000, v65
	s_clause 0x1
	scratch_store_b32 off, v0, s32 offset:636
	scratch_store_b32 off, v4, s32 offset:660
	v_lshlrev_b32_e32 v0, 16, v7
	v_lshlrev_b32_e32 v4, 16, v66
	s_clause 0x1
	scratch_store_b32 off, v0, s32 offset:640
	scratch_store_b32 off, v4, s32 offset:664
	ds_load_b128 v[0:3], v20 offset:192
	v_and_b32_e32 v4, 0xffff0000, v66
	scratch_store_b32 off, v4, s32 offset:668 ; 4-byte Folded Spill
	v_lshlrev_b32_e32 v4, 16, v67
	scratch_store_b32 off, v4, s32 offset:672 ; 4-byte Folded Spill
	ds_load_b128 v[4:7], v20 offset:208
	s_waitcnt lgkmcnt(1)
	v_lshlrev_b32_e32 v10, 16, v0
	v_and_b32_e32 v0, 0xffff0000, v0
	v_and_b32_e32 v111, 0xffff0000, v2
	ds_load_b128 v[31:34], v20 offset:224
	v_lshlrev_b32_e32 v120, 16, v3
	s_clause 0x1
	scratch_store_b32 off, v10, s32 offset:712
	scratch_store_b32 off, v0, s32 offset:716
	v_lshlrev_b32_e32 v0, 16, v1
	v_and_b32_e32 v121, 0xffff0000, v3
	scratch_store_b32 off, v0, s32 offset:720 ; 4-byte Folded Spill
	v_and_b32_e32 v0, 0xffff0000, v1
	s_waitcnt lgkmcnt(1)
	v_lshlrev_b32_e32 v122, 16, v4
	v_and_b32_e32 v123, 0xffff0000, v4
	v_cvt_f32_u32_e32 v4, v126
	v_and_b32_e32 v136, 0xffff0000, v6
	scratch_store_b32 off, v0, s32 offset:724 ; 4-byte Folded Spill
	v_lshlrev_b32_e32 v0, 16, v2
	v_lshlrev_b32_e32 v124, 16, v5
	v_rcp_iflag_f32_e32 v4, v4
	v_lshlrev_b32_e32 v127, 16, v6
	v_and_b32_e32 v125, 0xffff0000, v5
	scratch_store_b32 off, v0, s32 offset:728 ; 4-byte Folded Spill
	ds_load_b128 v[0:3], v20 offset:240
	s_clause 0x1
	scratch_store_b32 off, v30, s32 offset:756
	scratch_store_b32 off, v39, s32 offset:800
	scratch_load_b32 v6, off, s32 offset:328 ; 4-byte Folded Reload
	s_load_b32 s11, s[8:9], 0x0
	v_lshlrev_b32_e32 v137, 16, v7
	v_and_b32_e32 v138, 0xffff0000, v7
	s_waitcnt lgkmcnt(0)
	v_lshlrev_b32_e32 v139, 16, v31
	v_and_b32_e32 v140, 0xffff0000, v31
	v_lshlrev_b32_e32 v141, 16, v32
	v_and_b32_e32 v142, 0xffff0000, v32
	;; [unrolled: 2-line block ×4, first 2 shown]
	s_clause 0x5
	scratch_store_b32 off, v21, s32 offset:792
	scratch_store_b32 off, v12, s32 offset:804
	;; [unrolled: 1-line block ×3, first 2 shown]
	scratch_store_b64 off, v[69:70], s32 offset:784
	scratch_store_b32 off, v14, s32 offset:752
	scratch_store_b32 off, v15, s32 offset:748
	v_lshlrev_b32_e32 v155, 16, v0
	v_and_b32_e32 v156, 0xffff0000, v0
	v_mul_f32_e32 v0, 0x4f7ffffe, v4
	v_lshlrev_b32_e32 v158, 16, v1
	v_and_b32_e32 v159, 0xffff0000, v1
	v_lshlrev_b32_e32 v168, 16, v2
	v_and_b32_e32 v169, 0xffff0000, v2
	;; [unrolled: 2-line block ×3, first 2 shown]
	v_cvt_u32_f32_e32 v2, v0
	v_sub_nc_u32_e32 v0, 0, v126
	v_add_co_u32 v3, vcc_lo, v8, v21
	v_add_co_ci_u32_e32 v4, vcc_lo, v9, v12, vcc_lo
	s_delay_alu instid0(VALU_DEP_3) | instskip(SKIP_2) | instid1(VALU_DEP_1)
	v_mul_lo_u32 v5, v0, v2
	s_waitcnt vmcnt(0)
	v_lshlrev_b32_e32 v1, 4, v6
	v_add_co_u32 v8, vcc_lo, v3, v1
	v_lshlrev_b64 v[0:1], 2, v[17:18]
	v_add_co_ci_u32_e32 v9, vcc_lo, 0, v4, vcc_lo
	v_mul_hi_u32 v3, v2, v5
	s_delay_alu instid0(VALU_DEP_3) | instskip(NEXT) | instid1(VALU_DEP_4)
	v_add_co_u32 v0, vcc_lo, v69, v0
	v_add_co_ci_u32_e32 v1, vcc_lo, v70, v1, vcc_lo
	s_delay_alu instid0(VALU_DEP_2)
	v_add_co_u32 v28, vcc_lo, v14, v0
	scratch_load_b32 v0, off, s32 offset:732 ; 4-byte Folded Reload
	v_add_nc_u32_e32 v172, v2, v3
	v_sub_nc_u32_e32 v2, v6, v38
	v_add_co_ci_u32_e32 v29, vcc_lo, v15, v1, vcc_lo
	v_cmp_neq_f32_e32 vcc_lo, 0, v53
	s_delay_alu instid0(VALU_DEP_3)
	v_add_nc_u32_e32 v173, 1, v2
	s_waitcnt vmcnt(0)
	v_lshl_add_u32 v174, v0, 5, s3
	v_lshl_or_b32 v175, v0, 7, v36
	s_branch .LBB446_13
.LBB446_11:                             ;   in Loop: Header=BB446_13 Depth=1
	s_or_b32 exec_lo, exec_lo, s21
	scratch_load_b32 v34, off, s32 offset:360 ; 4-byte Folded Reload
	v_and_b32_e32 v21, 0xffff0000, v21
	v_and_b32_e32 v32, 0xffff0000, v186
	;; [unrolled: 1-line block ×6, first 2 shown]
	s_load_b32 s21, s[8:9], 0x0
	s_waitcnt vmcnt(0)
	v_dual_mul_f32 v34, v34, v31 :: v_dual_and_b32 v31, 0xffff0000, v68
	scratch_load_b32 v68, off, s32 offset:364 ; 4-byte Folded Reload
	v_fmac_f32_e32 v34, v110, v32
	v_and_b32_e32 v32, 0xffff0000, v188
	s_waitcnt vmcnt(0)
	v_mul_f32_e32 v68, v68, v31
	scratch_load_b32 v31, off, s32 offset:332 ; 4-byte Folded Reload
	s_waitcnt vmcnt(0)
	v_fmac_f32_e32 v68, v31, v32
	scratch_load_b32 v32, off, s32 offset:368 ; 4-byte Folded Reload
	v_and_b32_e32 v31, 0xffff0000, v54
	v_and_b32_e32 v54, 0xffff0000, v189
	s_waitcnt vmcnt(0)
	s_delay_alu instid0(VALU_DEP_2)
	v_mul_f32_e32 v32, v32, v31
	scratch_load_b32 v31, off, s32 offset:336 ; 4-byte Folded Reload
	s_waitcnt vmcnt(0)
	v_fmac_f32_e32 v32, v31, v54
	scratch_load_b32 v31, off, s32 offset:372 ; 4-byte Folded Reload
	s_waitcnt vmcnt(0)
	v_dual_mul_f32 v31, v31, v21 :: v_dual_and_b32 v54, 0xffff0000, v190
	scratch_load_b32 v21, off, s32 offset:340 ; 4-byte Folded Reload
	s_waitcnt vmcnt(0)
	v_fmac_f32_e32 v31, v21, v54
	scratch_load_b32 v21, off, s32 offset:376 ; 4-byte Folded Reload
	s_waitcnt vmcnt(0)
	v_dual_mul_f32 v21, v21, v6 :: v_dual_and_b32 v54, 0xffff0000, v191
	scratch_load_b32 v6, off, s32 offset:344 ; 4-byte Folded Reload
	s_waitcnt vmcnt(0)
	v_fmac_f32_e32 v21, v6, v54
	scratch_load_b32 v54, off, s32 offset:380 ; 4-byte Folded Reload
	v_and_b32_e32 v6, 0xffff0000, v7
	s_waitcnt vmcnt(0)
	s_delay_alu instid0(VALU_DEP_1)
	v_dual_mul_f32 v6, v54, v6 :: v_dual_and_b32 v7, 0xffff0000, v69
	scratch_load_b32 v54, off, s32 offset:348 ; 4-byte Folded Reload
	s_waitcnt vmcnt(0)
	v_dual_fmac_f32 v6, v54, v7 :: v_dual_and_b32 v7, 0xffff0000, v12
	v_and_b32_e32 v12, 0xffff0000, v5
	scratch_load_b32 v5, off, s32 offset:384 ; 4-byte Folded Reload
	s_waitcnt vmcnt(0)
	v_mul_f32_e32 v5, v5, v7
	scratch_load_b32 v7, off, s32 offset:352 ; 4-byte Folded Reload
	s_waitcnt vmcnt(0)
	v_fmac_f32_e32 v5, v7, v12
	v_and_b32_e32 v12, 0xffff0000, v4
	scratch_load_b32 v4, off, s32 offset:388 ; 4-byte Folded Reload
	v_and_b32_e32 v7, 0xffff0000, v39
	s_waitcnt vmcnt(0)
	s_delay_alu instid0(VALU_DEP_1)
	v_mul_f32_e32 v4, v4, v7
	scratch_load_b32 v7, off, s32 offset:356 ; 4-byte Folded Reload
	s_waitcnt vmcnt(0)
	v_fmac_f32_e32 v4, v7, v12
	scratch_load_b32 v12, off, s32 offset:392 ; 4-byte Folded Reload
	v_and_b32_e32 v7, 0xffff0000, v37
	s_waitcnt vmcnt(0)
	s_delay_alu instid0(VALU_DEP_1) | instskip(SKIP_3) | instid1(VALU_DEP_1)
	v_fmac_f32_e32 v34, v12, v7
	scratch_load_b32 v12, off, s32 offset:396 ; 4-byte Folded Reload
	v_and_b32_e32 v7, 0xffff0000, v55
	s_waitcnt vmcnt(0)
	v_fmac_f32_e32 v68, v12, v7
	v_and_b32_e32 v7, 0xffff0000, v11
	scratch_load_b32 v11, off, s32 offset:400 ; 4-byte Folded Reload
	s_waitcnt vmcnt(0)
	v_dual_fmac_f32 v32, v11, v7 :: v_dual_and_b32 v7, 0xffff0000, v10
	scratch_load_b32 v10, off, s32 offset:404 ; 4-byte Folded Reload
	s_waitcnt vmcnt(0)
	v_fmac_f32_e32 v31, v10, v7
	scratch_load_b32 v7, off, s32 offset:408 ; 4-byte Folded Reload
	s_waitcnt vmcnt(0)
	v_fmac_f32_e32 v21, v7, v1
	;; [unrolled: 3-line block ×3, first 2 shown]
	scratch_load_b32 v1, off, s32 offset:416 ; 4-byte Folded Reload
	v_and_b32_e32 v0, 0xffff0000, v3
	s_waitcnt vmcnt(0)
	s_delay_alu instid0(VALU_DEP_1) | instskip(SKIP_3) | instid1(VALU_DEP_1)
	v_fmac_f32_e32 v5, v1, v0
	scratch_load_b32 v1, off, s32 offset:420 ; 4-byte Folded Reload
	v_and_b32_e32 v0, 0xffff0000, v2
	s_waitcnt vmcnt(0)
	v_fmac_f32_e32 v4, v1, v0
	scratch_load_b32 v1, off, s32 offset:424 ; 4-byte Folded Reload
	v_and_b32_e32 v0, 0xffff0000, v15
	s_waitcnt vmcnt(0)
	s_delay_alu instid0(VALU_DEP_1) | instskip(SKIP_3) | instid1(VALU_DEP_1)
	v_fmac_f32_e32 v34, v1, v0
	scratch_load_b32 v1, off, s32 offset:428 ; 4-byte Folded Reload
	v_and_b32_e32 v0, 0xffff0000, v14
	s_waitcnt vmcnt(0)
	v_fmac_f32_e32 v68, v1, v0
	;; [unrolled: 9-line block ×8, first 2 shown]
	scratch_load_b32 v1, off, s32 offset:480 ; 4-byte Folded Reload
	v_and_b32_e32 v0, 0xffff0000, v86
	s_waitcnt vmcnt(0)
	s_delay_alu instid0(VALU_DEP_1)
	v_dual_fmac_f32 v5, v1, v0 :: v_dual_and_b32 v0, 0xffff0000, v87
	scratch_load_b32 v1, off, s32 offset:484 ; 4-byte Folded Reload
	s_waitcnt vmcnt(0)
	v_fmac_f32_e32 v4, v1, v0
	scratch_load_b32 v1, off, s32 offset:488 ; 4-byte Folded Reload
	v_and_b32_e32 v0, 0xffff0000, v96
	s_waitcnt vmcnt(0)
	s_delay_alu instid0(VALU_DEP_1) | instskip(SKIP_3) | instid1(VALU_DEP_1)
	v_fmac_f32_e32 v34, v1, v0
	scratch_load_b32 v1, off, s32 offset:492 ; 4-byte Folded Reload
	v_and_b32_e32 v0, 0xffff0000, v97
	s_waitcnt vmcnt(0)
	v_fmac_f32_e32 v68, v1, v0
	scratch_load_b32 v1, off, s32 offset:496 ; 4-byte Folded Reload
	v_and_b32_e32 v0, 0xffff0000, v98
	s_waitcnt vmcnt(0)
	s_delay_alu instid0(VALU_DEP_1) | instskip(SKIP_3) | instid1(VALU_DEP_1)
	v_fmac_f32_e32 v32, v1, v0
	scratch_load_b32 v1, off, s32 offset:500 ; 4-byte Folded Reload
	v_and_b32_e32 v0, 0xffff0000, v99
	s_waitcnt vmcnt(0)
	v_fmac_f32_e32 v31, v1, v0
	scratch_load_b32 v1, off, s32 offset:504 ; 4-byte Folded Reload
	v_and_b32_e32 v0, 0xffff0000, v100
	s_waitcnt vmcnt(0)
	s_delay_alu instid0(VALU_DEP_1) | instskip(SKIP_3) | instid1(VALU_DEP_1)
	v_fmac_f32_e32 v21, v1, v0
	scratch_load_b32 v1, off, s32 offset:508 ; 4-byte Folded Reload
	v_and_b32_e32 v0, 0xffff0000, v101
	s_waitcnt vmcnt(0)
	v_fmac_f32_e32 v6, v1, v0
	v_and_b32_e32 v0, 0xffff0000, v102
	scratch_load_b32 v1, off, s32 offset:512 ; 4-byte Folded Reload
	s_waitcnt vmcnt(0)
	v_dual_fmac_f32 v5, v1, v0 :: v_dual_and_b32 v0, 0xffff0000, v103
	scratch_load_b32 v1, off, s32 offset:516 ; 4-byte Folded Reload
	s_waitcnt vmcnt(0)
	v_fmac_f32_e32 v4, v1, v0
	scratch_load_b32 v1, off, s32 offset:520 ; 4-byte Folded Reload
	v_and_b32_e32 v0, 0xffff0000, v112
	s_waitcnt vmcnt(0)
	s_delay_alu instid0(VALU_DEP_1) | instskip(SKIP_3) | instid1(VALU_DEP_1)
	v_fmac_f32_e32 v34, v1, v0
	scratch_load_b32 v1, off, s32 offset:524 ; 4-byte Folded Reload
	v_and_b32_e32 v0, 0xffff0000, v113
	s_waitcnt vmcnt(0)
	v_fmac_f32_e32 v68, v1, v0
	scratch_load_b32 v1, off, s32 offset:528 ; 4-byte Folded Reload
	v_and_b32_e32 v0, 0xffff0000, v114
	s_waitcnt vmcnt(0)
	s_delay_alu instid0(VALU_DEP_1) | instskip(SKIP_3) | instid1(VALU_DEP_1)
	v_fmac_f32_e32 v32, v1, v0
	scratch_load_b32 v1, off, s32 offset:532 ; 4-byte Folded Reload
	v_and_b32_e32 v0, 0xffff0000, v115
	s_waitcnt vmcnt(0)
	v_fmac_f32_e32 v31, v1, v0
	scratch_load_b32 v1, off, s32 offset:536 ; 4-byte Folded Reload
	v_and_b32_e32 v0, 0xffff0000, v116
	s_waitcnt vmcnt(0)
	s_delay_alu instid0(VALU_DEP_1) | instskip(SKIP_3) | instid1(VALU_DEP_1)
	v_fmac_f32_e32 v21, v1, v0
	scratch_load_b32 v1, off, s32 offset:540 ; 4-byte Folded Reload
	v_and_b32_e32 v0, 0xffff0000, v117
	s_waitcnt vmcnt(0)
	v_fmac_f32_e32 v6, v1, v0
	v_and_b32_e32 v0, 0xffff0000, v118
	scratch_load_b32 v1, off, s32 offset:544 ; 4-byte Folded Reload
	s_waitcnt vmcnt(0)
	;; [unrolled: 34-line block ×6, first 2 shown]
	v_dual_fmac_f32 v5, v1, v0 :: v_dual_and_b32 v0, 0xffff0000, v183
	scratch_load_b32 v1, off, s32 offset:676 ; 4-byte Folded Reload
	s_waitcnt vmcnt(0)
	v_fmac_f32_e32 v4, v1, v0
	scratch_load_b32 v1, off, s32 offset:680 ; 4-byte Folded Reload
	v_and_b32_e32 v0, 0xffff0000, v40
	s_waitcnt vmcnt(0)
	s_delay_alu instid0(VALU_DEP_1) | instskip(SKIP_3) | instid1(VALU_DEP_1)
	v_fmac_f32_e32 v34, v1, v0
	scratch_load_b32 v1, off, s32 offset:684 ; 4-byte Folded Reload
	v_and_b32_e32 v0, 0xffff0000, v41
	s_waitcnt vmcnt(0)
	v_fmac_f32_e32 v68, v1, v0
	scratch_load_b32 v1, off, s32 offset:688 ; 4-byte Folded Reload
	v_and_b32_e32 v0, 0xffff0000, v42
	s_waitcnt vmcnt(0)
	s_delay_alu instid0(VALU_DEP_1) | instskip(SKIP_3) | instid1(VALU_DEP_1)
	v_fmac_f32_e32 v32, v1, v0
	scratch_load_b32 v1, off, s32 offset:692 ; 4-byte Folded Reload
	v_and_b32_e32 v0, 0xffff0000, v43
	;; [unrolled: 9-line block ×3, first 2 shown]
	s_waitcnt vmcnt(0)
	v_fmac_f32_e32 v34, v1, v0
	scratch_load_b32 v1, off, s32 offset:716 ; 4-byte Folded Reload
	v_and_b32_e32 v0, 0xffff0000, v57
	s_waitcnt vmcnt(0)
	s_delay_alu instid0(VALU_DEP_1)
	v_fmac_f32_e32 v68, v1, v0
	v_and_b32_e32 v0, 0xffff0000, v45
	scratch_load_b32 v1, off, s32 offset:700 ; 4-byte Folded Reload
	s_waitcnt vmcnt(0)
	v_fmac_f32_e32 v6, v1, v0
	scratch_load_b32 v1, off, s32 offset:704 ; 4-byte Folded Reload
	v_and_b32_e32 v0, 0xffff0000, v46
	s_waitcnt vmcnt(0)
	s_delay_alu instid0(VALU_DEP_1)
	v_dual_fmac_f32 v5, v1, v0 :: v_dual_and_b32 v0, 0xffff0000, v58
	scratch_load_b32 v1, off, s32 offset:720 ; 4-byte Folded Reload
	s_waitcnt vmcnt(0)
	v_fmac_f32_e32 v32, v1, v0
	scratch_load_b32 v1, off, s32 offset:708 ; 4-byte Folded Reload
	v_and_b32_e32 v0, 0xffff0000, v72
	s_delay_alu instid0(VALU_DEP_1) | instskip(SKIP_1) | instid1(VALU_DEP_1)
	v_fmac_f32_e32 v34, v122, v0
	v_and_b32_e32 v0, 0xffff0000, v73
	v_fmac_f32_e32 v68, v123, v0
	v_and_b32_e32 v0, 0xffff0000, v47
	s_waitcnt vmcnt(0)
	s_delay_alu instid0(VALU_DEP_1) | instskip(SKIP_3) | instid1(VALU_DEP_1)
	v_fmac_f32_e32 v4, v1, v0
	scratch_load_b32 v1, off, s32 offset:724 ; 4-byte Folded Reload
	v_and_b32_e32 v0, 0xffff0000, v59
	s_waitcnt vmcnt(0)
	v_dual_fmac_f32 v31, v1, v0 :: v_dual_and_b32 v0, 0xffff0000, v74
	scratch_load_b32 v1, off, s32 offset:728 ; 4-byte Folded Reload
	v_fmac_f32_e32 v32, v124, v0
	v_and_b32_e32 v0, 0xffff0000, v88
	s_delay_alu instid0(VALU_DEP_1) | instskip(SKIP_1) | instid1(VALU_DEP_1)
	v_fmac_f32_e32 v34, v139, v0
	v_and_b32_e32 v0, 0xffff0000, v89
	v_fmac_f32_e32 v68, v140, v0
	v_and_b32_e32 v0, 0xffff0000, v60
	s_waitcnt vmcnt(0)
	s_delay_alu instid0(VALU_DEP_1) | instskip(SKIP_1) | instid1(VALU_DEP_2)
	v_dual_fmac_f32 v21, v1, v0 :: v_dual_and_b32 v0, 0xffff0000, v75
	v_and_b32_e32 v1, 0xffff0000, v62
	v_dual_fmac_f32 v31, v125, v0 :: v_dual_and_b32 v0, 0xffff0000, v90
	s_delay_alu instid0(VALU_DEP_2) | instskip(NEXT) | instid1(VALU_DEP_2)
	v_fmac_f32_e32 v5, v120, v1
	v_dual_fmac_f32 v32, v141, v0 :: v_dual_and_b32 v1, 0xffff0000, v77
	v_and_b32_e32 v0, 0xffff0000, v94
	s_delay_alu instid0(VALU_DEP_1) | instskip(SKIP_1) | instid1(VALU_DEP_1)
	v_fmac_f32_e32 v34, v155, v0
	v_and_b32_e32 v0, 0xffff0000, v95
	v_fmac_f32_e32 v68, v156, v0
	v_and_b32_e32 v0, 0xffff0000, v61
	s_delay_alu instid0(VALU_DEP_1) | instskip(SKIP_1) | instid1(VALU_DEP_1)
	v_fmac_f32_e32 v6, v111, v0
	v_and_b32_e32 v0, 0xffff0000, v76
	v_dual_fmac_f32 v6, v136, v1 :: v_dual_fmac_f32 v21, v127, v0
	v_and_b32_e32 v0, 0xffff0000, v91
	v_and_b32_e32 v1, 0xffff0000, v92
	s_delay_alu instid0(VALU_DEP_2) | instskip(NEXT) | instid1(VALU_DEP_2)
	v_fmac_f32_e32 v31, v142, v0
	v_fmac_f32_e32 v21, v143, v1
	v_and_b32_e32 v1, 0xffff0000, v105
	s_delay_alu instid0(VALU_DEP_1) | instskip(NEXT) | instid1(VALU_DEP_1)
	v_dual_fmac_f32 v31, v159, v1 :: v_dual_and_b32 v0, 0xffff0000, v104
	v_dual_fmac_f32 v32, v158, v0 :: v_dual_and_b32 v1, 0xffff0000, v63
	v_add_f32_e32 v0, v34, v68
	s_delay_alu instid0(VALU_DEP_2) | instskip(NEXT) | instid1(VALU_DEP_1)
	v_dual_fmac_f32 v4, v121, v1 :: v_dual_and_b32 v1, 0xffff0000, v78
	v_dual_add_f32 v0, v0, v32 :: v_dual_fmac_f32 v5, v137, v1
	s_delay_alu instid0(VALU_DEP_1) | instskip(NEXT) | instid1(VALU_DEP_1)
	v_dual_add_f32 v0, v31, v0 :: v_dual_and_b32 v1, 0xffff0000, v93
	v_dual_fmac_f32 v6, v152, v1 :: v_dual_and_b32 v1, 0xffff0000, v106
	s_delay_alu instid0(VALU_DEP_1) | instskip(NEXT) | instid1(VALU_DEP_1)
	v_fmac_f32_e32 v21, v168, v1
	v_dual_add_f32 v0, v21, v0 :: v_dual_and_b32 v1, 0xffff0000, v79
	s_delay_alu instid0(VALU_DEP_1) | instskip(NEXT) | instid1(VALU_DEP_1)
	v_dual_fmac_f32 v4, v138, v1 :: v_dual_and_b32 v1, 0xffff0000, v35
	v_fmac_f32_e32 v5, v153, v1
	v_and_b32_e32 v1, 0xffff0000, v107
	s_delay_alu instid0(VALU_DEP_1) | instskip(NEXT) | instid1(VALU_DEP_1)
	v_dual_fmac_f32 v6, v169, v1 :: v_dual_and_b32 v1, 0xffff0000, v36
	v_add_f32_e32 v0, v6, v0
	s_delay_alu instid0(VALU_DEP_2) | instskip(SKIP_1) | instid1(VALU_DEP_1)
	v_fmac_f32_e32 v4, v154, v1
	v_and_b32_e32 v1, 0xffff0000, v33
	v_fmac_f32_e32 v5, v170, v1
	s_delay_alu instid0(VALU_DEP_1) | instskip(NEXT) | instid1(VALU_DEP_1)
	v_dual_add_f32 v0, v5, v0 :: v_dual_and_b32 v1, 0xffff0000, v19
	v_dual_fmac_f32 v4, v171, v1 :: v_dual_add_nc_u32 v1, v173, v174
	s_delay_alu instid0(VALU_DEP_1) | instskip(NEXT) | instid1(VALU_DEP_2)
	v_add_f32_e32 v0, v4, v0
	v_cvt_f32_i32_e32 v1, v1
	s_delay_alu instid0(VALU_DEP_1) | instskip(NEXT) | instid1(VALU_DEP_1)
	v_mul_f32_e32 v1, v53, v1
	v_cndmask_b32_e32 v1, 0, v1, vcc_lo
	s_delay_alu instid0(VALU_DEP_1) | instskip(SKIP_3) | instid1(VALU_DEP_1)
	v_fmac_f32_e32 v1, v0, v13
	scratch_load_b32 v0, off, s32 offset:328 ; 4-byte Folded Reload
	s_waitcnt vmcnt(0)
	v_add_nc_u32_e32 v0, v0, v174
	v_cmp_lt_i32_e64 s1, v0, v38
	s_waitcnt lgkmcnt(0)
	v_add_nc_u32_e32 v0, s21, v175
	s_delay_alu instid0(VALU_DEP_2) | instskip(SKIP_2) | instid1(VALU_DEP_1)
	v_cndmask_b32_e64 v2, 0, v1, s1
	ds_store_b32 v0, v2
	v_max_f32_e32 v0, v157, v157
	v_max_f32_e32 v0, v0, v1
	s_delay_alu instid0(VALU_DEP_1)
	v_cndmask_b32_e64 v157, v157, v0, s1
.LBB446_12:                             ;   in Loop: Header=BB446_13 Depth=1
	s_or_b32 exec_lo, exec_lo, s2
	v_add_nc_u32_e32 v185, 4, v185
	v_add_co_u32 v28, s2, v28, 16
	s_delay_alu instid0(VALU_DEP_1) | instskip(NEXT) | instid1(VALU_DEP_3)
	v_add_co_ci_u32_e64 v29, s2, 0, v29, s2
	v_cmp_ge_i32_e64 s1, v185, v51
	v_add_nc_u32_e32 v174, 0x80, v174
	v_add_nc_u32_e32 v175, 0x200, v175
	s_delay_alu instid0(VALU_DEP_3) | instskip(NEXT) | instid1(SALU_CYCLE_1)
	s_or_b32 s20, s1, s20
	s_and_not1_b32 exec_lo, exec_lo, s20
	s_cbranch_execz .LBB446_1552
.LBB446_13:                             ; =>This Inner Loop Header: Depth=1
	s_delay_alu instid0(VALU_DEP_2) | instskip(NEXT) | instid1(VALU_DEP_1)
	v_sub_nc_u32_e32 v0, 0, v174
	v_max_i32_e32 v0, v174, v0
	s_delay_alu instid0(VALU_DEP_1) | instskip(NEXT) | instid1(VALU_DEP_1)
	v_mul_hi_u32 v1, v0, v49
	v_mul_lo_u32 v2, v1, v48
	s_delay_alu instid0(VALU_DEP_1) | instskip(SKIP_1) | instid1(VALU_DEP_2)
	v_sub_nc_u32_e32 v0, v0, v2
	v_add_nc_u32_e32 v2, 1, v1
	v_sub_nc_u32_e32 v3, v0, v48
	v_cmp_ge_u32_e64 s1, v0, v48
	s_delay_alu instid0(VALU_DEP_1) | instskip(NEXT) | instid1(VALU_DEP_3)
	v_cndmask_b32_e64 v1, v1, v2, s1
	v_cndmask_b32_e64 v0, v0, v3, s1
	v_ashrrev_i32_e32 v2, 31, v174
	s_delay_alu instid0(VALU_DEP_3) | instskip(NEXT) | instid1(VALU_DEP_3)
	v_add_nc_u32_e32 v3, 1, v1
	v_cmp_ge_u32_e64 s1, v0, v48
	s_delay_alu instid0(VALU_DEP_3) | instskip(NEXT) | instid1(VALU_DEP_2)
	v_xor_b32_e32 v2, v2, v50
	v_cndmask_b32_e64 v0, v1, v3, s1
	s_delay_alu instid0(VALU_DEP_1) | instskip(NEXT) | instid1(VALU_DEP_1)
	v_xor_b32_e32 v0, v0, v2
	v_sub_nc_u32_e32 v0, v0, v2
	s_delay_alu instid0(VALU_DEP_1) | instskip(SKIP_1) | instid1(VALU_DEP_2)
	v_add_nc_u32_e32 v1, v0, v16
	v_cmp_le_i32_e64 s2, v0, v52
	v_sub_nc_u32_e32 v2, 0, v1
	s_delay_alu instid0(VALU_DEP_1) | instskip(SKIP_1) | instid1(VALU_DEP_2)
	v_max_i32_e32 v2, v1, v2
	v_ashrrev_i32_e32 v1, 31, v1
	v_mul_hi_u32 v3, v2, v172
	s_delay_alu instid0(VALU_DEP_1) | instskip(NEXT) | instid1(VALU_DEP_1)
	v_mul_lo_u32 v3, v3, v126
	v_sub_nc_u32_e32 v2, v2, v3
	s_delay_alu instid0(VALU_DEP_1) | instskip(SKIP_1) | instid1(VALU_DEP_1)
	v_sub_nc_u32_e32 v3, v2, v126
	v_cmp_ge_u32_e64 s1, v2, v126
	v_cndmask_b32_e64 v2, v2, v3, s1
	s_delay_alu instid0(VALU_DEP_1) | instskip(SKIP_1) | instid1(VALU_DEP_1)
	v_sub_nc_u32_e32 v3, v2, v126
	v_cmp_ge_u32_e64 s1, v2, v126
	v_cndmask_b32_e64 v2, v2, v3, s1
	s_delay_alu instid0(VALU_DEP_1) | instskip(NEXT) | instid1(VALU_DEP_1)
	v_xor_b32_e32 v2, v2, v1
	v_sub_nc_u32_e32 v1, v2, v1
	s_delay_alu instid0(VALU_DEP_1) | instskip(NEXT) | instid1(VALU_DEP_1)
	v_cmp_ne_u32_e64 s1, 0, v1
	s_and_b32 s1, s1, s2
	s_delay_alu instid0(SALU_CYCLE_1) | instskip(NEXT) | instid1(SALU_CYCLE_1)
	s_and_saveexec_b32 s2, s1
	s_xor_b32 s1, exec_lo, s2
	s_cbranch_execz .LBB446_15
; %bb.14:                               ;   in Loop: Header=BB446_13 Depth=1
	v_add_nc_u32_e32 v0, s11, v175
	ds_store_b32 v0, v184
.LBB446_15:                             ;   in Loop: Header=BB446_13 Depth=1
	s_and_not1_saveexec_b32 s2, s1
	s_cbranch_execz .LBB446_12
; %bb.16:                               ;   in Loop: Header=BB446_13 Depth=1
	flat_load_b32 v0, v[28:29]
	s_mov_b32 s21, exec_lo
	s_waitcnt vmcnt(0) lgkmcnt(0)
	v_mad_i64_i32 v[31:32], null, v0, v22, v[8:9]
	flat_load_b64 v[33:34], v[31:32]
	flat_load_b32 v187, v[24:25]
	s_waitcnt vmcnt(1) lgkmcnt(1)
	v_dual_mov_b32 v0, 0 :: v_dual_and_b32 v1, 0xff, v33
	s_delay_alu instid0(VALU_DEP_1)
	v_cmpx_ne_u16_e32 0, v1
	s_cbranch_execz .LBB446_24
; %bb.17:                               ;   in Loop: Header=BB446_13 Depth=1
	v_bfrev_b32_e32 v0, 1
	s_mov_b32 s22, exec_lo
	v_cmpx_ne_u16_e32 0x80, v1
	s_cbranch_execz .LBB446_23
; %bb.18:                               ;   in Loop: Header=BB446_13 Depth=1
	v_and_b32_e32 v1, 0x7f, v33
	v_mov_b32_e32 v0, 0x7f800001
	s_mov_b32 s23, exec_lo
	s_delay_alu instid0(VALU_DEP_2)
	v_cmpx_ne_u32_e32 0x7f, v1
	s_cbranch_execz .LBB446_22
; %bb.19:                               ;   in Loop: Header=BB446_13 Depth=1
	v_lshrrev_b32_e32 v0, 3, v1
	v_dual_mov_b32 v36, v34 :: v_dual_mov_b32 v35, v33
	s_mov_b32 s24, exec_lo
	v_cmpx_gt_u32_e32 8, v1
; %bb.20:                               ;   in Loop: Header=BB446_13 Depth=1
	v_and_b32_e32 v0, 7, v33
	s_delay_alu instid0(VALU_DEP_1) | instskip(NEXT) | instid1(VALU_DEP_1)
	v_clz_i32_u32_e32 v0, v0
	v_min_u32_e32 v0, 32, v0
	s_delay_alu instid0(VALU_DEP_1) | instskip(SKIP_1) | instid1(VALU_DEP_2)
	v_subrev_nc_u32_e32 v1, 28, v0
	v_sub_nc_u32_e32 v0, 29, v0
	v_lshlrev_b64 v[35:36], v1, v[33:34]
; %bb.21:                               ;   in Loop: Header=BB446_13 Depth=1
	s_or_b32 exec_lo, exec_lo, s24
	s_delay_alu instid0(VALU_DEP_1) | instskip(SKIP_2) | instid1(VALU_DEP_3)
	v_lshlrev_b32_e32 v1, 20, v35
	v_lshlrev_b32_e32 v2, 24, v33
	v_lshl_add_u32 v0, v0, 23, 0x3c000000
	v_and_b32_e32 v1, 0x700000, v1
	s_delay_alu instid0(VALU_DEP_3) | instskip(NEXT) | instid1(VALU_DEP_1)
	v_and_b32_e32 v2, 0x80000000, v2
	v_or3_b32 v0, v1, v2, v0
.LBB446_22:                             ;   in Loop: Header=BB446_13 Depth=1
	s_or_b32 exec_lo, exec_lo, s23
.LBB446_23:                             ;   in Loop: Header=BB446_13 Depth=1
	s_delay_alu instid0(SALU_CYCLE_1)
	s_or_b32 exec_lo, exec_lo, s22
.LBB446_24:                             ;   in Loop: Header=BB446_13 Depth=1
	s_delay_alu instid0(SALU_CYCLE_1) | instskip(SKIP_2) | instid1(VALU_DEP_1)
	s_or_b32 exec_lo, exec_lo, s21
	s_waitcnt vmcnt(0) lgkmcnt(0)
	v_mul_f32_e32 v0, v187, v0
                                        ; implicit-def: $vgpr186
	v_and_b32_e32 v1, 0x7f800000, v0
	s_delay_alu instid0(VALU_DEP_1) | instskip(NEXT) | instid1(VALU_DEP_1)
	v_cmp_ne_u32_e64 s1, 0x7f800000, v1
	s_and_saveexec_b32 s21, s1
	s_delay_alu instid0(SALU_CYCLE_1)
	s_xor_b32 s1, exec_lo, s21
; %bb.25:                               ;   in Loop: Header=BB446_13 Depth=1
	v_bfe_u32 v1, v0, 16, 1
	s_delay_alu instid0(VALU_DEP_1)
	v_add3_u32 v186, v0, v1, 0x7fff
                                        ; implicit-def: $vgpr0
; %bb.26:                               ;   in Loop: Header=BB446_13 Depth=1
	s_and_not1_saveexec_b32 s21, s1
; %bb.27:                               ;   in Loop: Header=BB446_13 Depth=1
	v_and_b32_e32 v1, 0xffff, v0
	v_or_b32_e32 v2, 0x10000, v0
	s_delay_alu instid0(VALU_DEP_2) | instskip(NEXT) | instid1(VALU_DEP_1)
	v_cmp_eq_u32_e64 s1, 0, v1
	v_cndmask_b32_e64 v186, v2, v0, s1
; %bb.28:                               ;   in Loop: Header=BB446_13 Depth=1
	s_or_b32 exec_lo, exec_lo, s21
	v_lshrrev_b16 v1, 8, v33
	v_mov_b32_e32 v0, 0
	s_mov_b32 s21, exec_lo
	s_delay_alu instid0(VALU_DEP_2)
	v_cmpx_ne_u16_e32 0, v1
	s_cbranch_execz .LBB446_36
; %bb.29:                               ;   in Loop: Header=BB446_13 Depth=1
	v_bfrev_b32_e32 v0, 1
	s_mov_b32 s22, exec_lo
	v_cmpx_ne_u16_e32 0x80, v1
	s_cbranch_execz .LBB446_35
; %bb.30:                               ;   in Loop: Header=BB446_13 Depth=1
	v_and_b32_e32 v2, 0xffff, v1
	v_mov_b32_e32 v0, 0x7f800001
	s_mov_b32 s23, exec_lo
	s_delay_alu instid0(VALU_DEP_2) | instskip(NEXT) | instid1(VALU_DEP_1)
	v_and_b32_e32 v1, 0x7f, v2
	v_cmpx_ne_u32_e32 0x7f, v1
	s_cbranch_execz .LBB446_34
; %bb.31:                               ;   in Loop: Header=BB446_13 Depth=1
	v_and_b32_e32 v19, 7, v2
	v_lshrrev_b32_e32 v0, 3, v1
	v_mov_b32_e32 v36, v20
	s_mov_b32 s24, exec_lo
	s_delay_alu instid0(VALU_DEP_3)
	v_mov_b32_e32 v35, v19
	v_cmpx_gt_u32_e32 8, v1
; %bb.32:                               ;   in Loop: Header=BB446_13 Depth=1
	v_clz_i32_u32_e32 v0, v19
	s_delay_alu instid0(VALU_DEP_1) | instskip(NEXT) | instid1(VALU_DEP_1)
	v_min_u32_e32 v0, 32, v0
	v_subrev_nc_u32_e32 v1, 28, v0
	v_sub_nc_u32_e32 v0, 29, v0
	s_delay_alu instid0(VALU_DEP_2) | instskip(NEXT) | instid1(VALU_DEP_1)
	v_lshlrev_b64 v[1:2], v1, v[19:20]
	v_and_b32_e32 v35, 7, v1
; %bb.33:                               ;   in Loop: Header=BB446_13 Depth=1
	s_or_b32 exec_lo, exec_lo, s24
	v_lshlrev_b32_e32 v1, 16, v33
	s_delay_alu instid0(VALU_DEP_2) | instskip(SKIP_1) | instid1(VALU_DEP_3)
	v_lshlrev_b32_e32 v2, 20, v35
	v_lshl_add_u32 v0, v0, 23, 0x3c000000
	v_and_b32_e32 v1, 0x80000000, v1
	s_delay_alu instid0(VALU_DEP_1)
	v_or3_b32 v0, v2, v1, v0
.LBB446_34:                             ;   in Loop: Header=BB446_13 Depth=1
	s_or_b32 exec_lo, exec_lo, s23
.LBB446_35:                             ;   in Loop: Header=BB446_13 Depth=1
	s_delay_alu instid0(SALU_CYCLE_1)
	s_or_b32 exec_lo, exec_lo, s22
.LBB446_36:                             ;   in Loop: Header=BB446_13 Depth=1
	s_delay_alu instid0(SALU_CYCLE_1) | instskip(NEXT) | instid1(VALU_DEP_1)
	s_or_b32 exec_lo, exec_lo, s21
	v_mul_f32_e32 v0, v187, v0
                                        ; implicit-def: $vgpr188
	s_delay_alu instid0(VALU_DEP_1) | instskip(NEXT) | instid1(VALU_DEP_1)
	v_and_b32_e32 v1, 0x7f800000, v0
	v_cmp_ne_u32_e64 s1, 0x7f800000, v1
	s_delay_alu instid0(VALU_DEP_1) | instskip(NEXT) | instid1(SALU_CYCLE_1)
	s_and_saveexec_b32 s21, s1
	s_xor_b32 s1, exec_lo, s21
; %bb.37:                               ;   in Loop: Header=BB446_13 Depth=1
	v_bfe_u32 v1, v0, 16, 1
	s_delay_alu instid0(VALU_DEP_1)
	v_add3_u32 v188, v0, v1, 0x7fff
                                        ; implicit-def: $vgpr0
; %bb.38:                               ;   in Loop: Header=BB446_13 Depth=1
	s_and_not1_saveexec_b32 s21, s1
; %bb.39:                               ;   in Loop: Header=BB446_13 Depth=1
	v_and_b32_e32 v1, 0xffff, v0
	v_or_b32_e32 v2, 0x10000, v0
	s_delay_alu instid0(VALU_DEP_2) | instskip(NEXT) | instid1(VALU_DEP_1)
	v_cmp_eq_u32_e64 s1, 0, v1
	v_cndmask_b32_e64 v188, v2, v0, s1
; %bb.40:                               ;   in Loop: Header=BB446_13 Depth=1
	s_or_b32 exec_lo, exec_lo, s21
	v_lshrrev_b32_e32 v0, 16, v33
	s_mov_b32 s21, exec_lo
	s_delay_alu instid0(VALU_DEP_1) | instskip(NEXT) | instid1(VALU_DEP_1)
	v_dual_mov_b32 v1, 0 :: v_dual_and_b32 v2, 0xff, v0
	v_cmpx_ne_u16_e32 0, v2
	s_cbranch_execz .LBB446_48
; %bb.41:                               ;   in Loop: Header=BB446_13 Depth=1
	v_bfrev_b32_e32 v1, 1
	s_mov_b32 s22, exec_lo
	v_cmpx_ne_u16_e32 0x80, v2
	s_cbranch_execz .LBB446_47
; %bb.42:                               ;   in Loop: Header=BB446_13 Depth=1
	v_bfe_u32 v2, v33, 16, 7
	v_mov_b32_e32 v1, 0x7f800001
	s_mov_b32 s23, exec_lo
	s_delay_alu instid0(VALU_DEP_2)
	v_cmpx_ne_u32_e32 0x7f, v2
	s_cbranch_execz .LBB446_46
; %bb.43:                               ;   in Loop: Header=BB446_13 Depth=1
	v_and_b32_e32 v19, 7, v0
	v_lshrrev_b32_e32 v1, 3, v2
	v_mov_b32_e32 v36, v20
	s_mov_b32 s24, exec_lo
	s_delay_alu instid0(VALU_DEP_3)
	v_mov_b32_e32 v35, v19
	v_cmpx_gt_u32_e32 8, v2
; %bb.44:                               ;   in Loop: Header=BB446_13 Depth=1
	v_clz_i32_u32_e32 v1, v19
	s_delay_alu instid0(VALU_DEP_1) | instskip(NEXT) | instid1(VALU_DEP_1)
	v_min_u32_e32 v1, 32, v1
	v_subrev_nc_u32_e32 v2, 28, v1
	v_sub_nc_u32_e32 v1, 29, v1
	s_delay_alu instid0(VALU_DEP_2) | instskip(NEXT) | instid1(VALU_DEP_1)
	v_lshlrev_b64 v[2:3], v2, v[19:20]
	v_and_b32_e32 v35, 7, v2
; %bb.45:                               ;   in Loop: Header=BB446_13 Depth=1
	s_or_b32 exec_lo, exec_lo, s24
	v_lshlrev_b32_e32 v0, 24, v0
	s_delay_alu instid0(VALU_DEP_2) | instskip(SKIP_1) | instid1(VALU_DEP_3)
	v_lshlrev_b32_e32 v2, 20, v35
	v_lshl_add_u32 v1, v1, 23, 0x3c000000
	v_and_b32_e32 v0, 0x80000000, v0
	s_delay_alu instid0(VALU_DEP_1)
	v_or3_b32 v1, v2, v0, v1
.LBB446_46:                             ;   in Loop: Header=BB446_13 Depth=1
	s_or_b32 exec_lo, exec_lo, s23
.LBB446_47:                             ;   in Loop: Header=BB446_13 Depth=1
	s_delay_alu instid0(SALU_CYCLE_1)
	s_or_b32 exec_lo, exec_lo, s22
.LBB446_48:                             ;   in Loop: Header=BB446_13 Depth=1
	s_delay_alu instid0(SALU_CYCLE_1) | instskip(NEXT) | instid1(VALU_DEP_1)
	s_or_b32 exec_lo, exec_lo, s21
	v_mul_f32_e32 v0, v187, v1
                                        ; implicit-def: $vgpr189
	s_delay_alu instid0(VALU_DEP_1) | instskip(NEXT) | instid1(VALU_DEP_1)
	v_and_b32_e32 v1, 0x7f800000, v0
	v_cmp_ne_u32_e64 s1, 0x7f800000, v1
	s_delay_alu instid0(VALU_DEP_1) | instskip(NEXT) | instid1(SALU_CYCLE_1)
	s_and_saveexec_b32 s21, s1
	s_xor_b32 s1, exec_lo, s21
; %bb.49:                               ;   in Loop: Header=BB446_13 Depth=1
	v_bfe_u32 v1, v0, 16, 1
	s_delay_alu instid0(VALU_DEP_1)
	v_add3_u32 v189, v0, v1, 0x7fff
                                        ; implicit-def: $vgpr0
; %bb.50:                               ;   in Loop: Header=BB446_13 Depth=1
	s_and_not1_saveexec_b32 s21, s1
; %bb.51:                               ;   in Loop: Header=BB446_13 Depth=1
	v_and_b32_e32 v1, 0xffff, v0
	v_or_b32_e32 v2, 0x10000, v0
	s_delay_alu instid0(VALU_DEP_2) | instskip(NEXT) | instid1(VALU_DEP_1)
	v_cmp_eq_u32_e64 s1, 0, v1
	v_cndmask_b32_e64 v189, v2, v0, s1
; %bb.52:                               ;   in Loop: Header=BB446_13 Depth=1
	s_or_b32 exec_lo, exec_lo, s21
	v_mov_b32_e32 v1, 0
	s_mov_b32 s21, exec_lo
	v_cmpx_lt_u32_e32 0xffffff, v33
	s_cbranch_execz .LBB446_60
; %bb.53:                               ;   in Loop: Header=BB446_13 Depth=1
	v_lshrrev_b32_e32 v0, 24, v33
	v_bfrev_b32_e32 v1, 1
	s_mov_b32 s22, exec_lo
	s_delay_alu instid0(VALU_DEP_2)
	v_cmpx_ne_u32_e32 0x80, v0
	s_cbranch_execz .LBB446_59
; %bb.54:                               ;   in Loop: Header=BB446_13 Depth=1
	v_bfe_u32 v2, v33, 24, 7
	v_mov_b32_e32 v1, 0x7f800001
	s_mov_b32 s23, exec_lo
	s_delay_alu instid0(VALU_DEP_2)
	v_cmpx_ne_u32_e32 0x7f, v2
	s_cbranch_execz .LBB446_58
; %bb.55:                               ;   in Loop: Header=BB446_13 Depth=1
	v_and_b32_e32 v19, 7, v0
	v_lshrrev_b32_e32 v1, 3, v2
	v_mov_b32_e32 v36, v20
	s_mov_b32 s24, exec_lo
	s_delay_alu instid0(VALU_DEP_3)
	v_mov_b32_e32 v35, v19
	v_cmpx_gt_u32_e32 8, v2
; %bb.56:                               ;   in Loop: Header=BB446_13 Depth=1
	v_clz_i32_u32_e32 v1, v19
	s_delay_alu instid0(VALU_DEP_1) | instskip(NEXT) | instid1(VALU_DEP_1)
	v_min_u32_e32 v1, 32, v1
	v_subrev_nc_u32_e32 v2, 28, v1
	v_sub_nc_u32_e32 v1, 29, v1
	s_delay_alu instid0(VALU_DEP_2) | instskip(NEXT) | instid1(VALU_DEP_1)
	v_lshlrev_b64 v[2:3], v2, v[19:20]
	v_and_b32_e32 v35, 7, v2
; %bb.57:                               ;   in Loop: Header=BB446_13 Depth=1
	s_or_b32 exec_lo, exec_lo, s24
	v_lshlrev_b32_e32 v0, 24, v0
	s_delay_alu instid0(VALU_DEP_2) | instskip(SKIP_1) | instid1(VALU_DEP_3)
	v_lshlrev_b32_e32 v2, 20, v35
	v_lshl_add_u32 v1, v1, 23, 0x3c000000
	v_and_b32_e32 v0, 0x80000000, v0
	s_delay_alu instid0(VALU_DEP_1)
	v_or3_b32 v1, v2, v0, v1
.LBB446_58:                             ;   in Loop: Header=BB446_13 Depth=1
	s_or_b32 exec_lo, exec_lo, s23
.LBB446_59:                             ;   in Loop: Header=BB446_13 Depth=1
	s_delay_alu instid0(SALU_CYCLE_1)
	s_or_b32 exec_lo, exec_lo, s22
.LBB446_60:                             ;   in Loop: Header=BB446_13 Depth=1
	s_delay_alu instid0(SALU_CYCLE_1) | instskip(NEXT) | instid1(VALU_DEP_1)
	s_or_b32 exec_lo, exec_lo, s21
	v_mul_f32_e32 v0, v187, v1
                                        ; implicit-def: $vgpr190
	s_delay_alu instid0(VALU_DEP_1) | instskip(NEXT) | instid1(VALU_DEP_1)
	v_and_b32_e32 v1, 0x7f800000, v0
	v_cmp_ne_u32_e64 s1, 0x7f800000, v1
	s_delay_alu instid0(VALU_DEP_1) | instskip(NEXT) | instid1(SALU_CYCLE_1)
	s_and_saveexec_b32 s21, s1
	s_xor_b32 s1, exec_lo, s21
; %bb.61:                               ;   in Loop: Header=BB446_13 Depth=1
	v_bfe_u32 v1, v0, 16, 1
	s_delay_alu instid0(VALU_DEP_1)
	v_add3_u32 v190, v0, v1, 0x7fff
                                        ; implicit-def: $vgpr0
; %bb.62:                               ;   in Loop: Header=BB446_13 Depth=1
	s_and_not1_saveexec_b32 s21, s1
; %bb.63:                               ;   in Loop: Header=BB446_13 Depth=1
	v_and_b32_e32 v1, 0xffff, v0
	v_or_b32_e32 v2, 0x10000, v0
	s_delay_alu instid0(VALU_DEP_2) | instskip(NEXT) | instid1(VALU_DEP_1)
	v_cmp_eq_u32_e64 s1, 0, v1
	v_cndmask_b32_e64 v190, v2, v0, s1
; %bb.64:                               ;   in Loop: Header=BB446_13 Depth=1
	s_or_b32 exec_lo, exec_lo, s21
	v_dual_mov_b32 v0, 0 :: v_dual_and_b32 v1, 0xff, v34
	v_mov_b32_e32 v19, v34
	s_mov_b32 s21, exec_lo
	s_delay_alu instid0(VALU_DEP_2)
	v_cmpx_ne_u16_e32 0, v1
	s_cbranch_execz .LBB446_72
; %bb.65:                               ;   in Loop: Header=BB446_13 Depth=1
	v_bfrev_b32_e32 v0, 1
	s_mov_b32 s22, exec_lo
	v_cmpx_ne_u16_e32 0x80, v1
	s_cbranch_execz .LBB446_71
; %bb.66:                               ;   in Loop: Header=BB446_13 Depth=1
	v_and_b32_e32 v1, 0x7f, v34
	v_mov_b32_e32 v0, 0x7f800001
	s_mov_b32 s23, exec_lo
	s_delay_alu instid0(VALU_DEP_2)
	v_cmpx_ne_u32_e32 0x7f, v1
	s_cbranch_execz .LBB446_70
; %bb.67:                               ;   in Loop: Header=BB446_13 Depth=1
	v_lshrrev_b32_e32 v0, 3, v1
	v_dual_mov_b32 v36, v20 :: v_dual_mov_b32 v35, v19
	s_mov_b32 s24, exec_lo
	v_cmpx_gt_u32_e32 8, v1
; %bb.68:                               ;   in Loop: Header=BB446_13 Depth=1
	v_and_b32_e32 v0, 7, v34
	s_delay_alu instid0(VALU_DEP_1) | instskip(NEXT) | instid1(VALU_DEP_1)
	v_clz_i32_u32_e32 v0, v0
	v_min_u32_e32 v0, 32, v0
	s_delay_alu instid0(VALU_DEP_1) | instskip(SKIP_1) | instid1(VALU_DEP_2)
	v_subrev_nc_u32_e32 v1, 28, v0
	v_sub_nc_u32_e32 v0, 29, v0
	v_lshlrev_b64 v[35:36], v1, v[19:20]
; %bb.69:                               ;   in Loop: Header=BB446_13 Depth=1
	s_or_b32 exec_lo, exec_lo, s24
	s_delay_alu instid0(VALU_DEP_1) | instskip(SKIP_2) | instid1(VALU_DEP_3)
	v_lshlrev_b32_e32 v1, 20, v35
	v_lshlrev_b32_e32 v2, 24, v19
	v_lshl_add_u32 v0, v0, 23, 0x3c000000
	v_and_b32_e32 v1, 0x700000, v1
	s_delay_alu instid0(VALU_DEP_3) | instskip(NEXT) | instid1(VALU_DEP_1)
	v_and_b32_e32 v2, 0x80000000, v2
	v_or3_b32 v0, v1, v2, v0
.LBB446_70:                             ;   in Loop: Header=BB446_13 Depth=1
	s_or_b32 exec_lo, exec_lo, s23
.LBB446_71:                             ;   in Loop: Header=BB446_13 Depth=1
	s_delay_alu instid0(SALU_CYCLE_1)
	s_or_b32 exec_lo, exec_lo, s22
.LBB446_72:                             ;   in Loop: Header=BB446_13 Depth=1
	s_delay_alu instid0(SALU_CYCLE_1) | instskip(NEXT) | instid1(VALU_DEP_1)
	s_or_b32 exec_lo, exec_lo, s21
	v_mul_f32_e32 v0, v187, v0
                                        ; implicit-def: $vgpr191
	s_delay_alu instid0(VALU_DEP_1) | instskip(NEXT) | instid1(VALU_DEP_1)
	v_and_b32_e32 v1, 0x7f800000, v0
	v_cmp_ne_u32_e64 s1, 0x7f800000, v1
	s_delay_alu instid0(VALU_DEP_1) | instskip(NEXT) | instid1(SALU_CYCLE_1)
	s_and_saveexec_b32 s21, s1
	s_xor_b32 s1, exec_lo, s21
; %bb.73:                               ;   in Loop: Header=BB446_13 Depth=1
	v_bfe_u32 v1, v0, 16, 1
	s_delay_alu instid0(VALU_DEP_1)
	v_add3_u32 v191, v0, v1, 0x7fff
                                        ; implicit-def: $vgpr0
; %bb.74:                               ;   in Loop: Header=BB446_13 Depth=1
	s_and_not1_saveexec_b32 s21, s1
; %bb.75:                               ;   in Loop: Header=BB446_13 Depth=1
	v_and_b32_e32 v1, 0xffff, v0
	v_or_b32_e32 v2, 0x10000, v0
	s_delay_alu instid0(VALU_DEP_2) | instskip(NEXT) | instid1(VALU_DEP_1)
	v_cmp_eq_u32_e64 s1, 0, v1
	v_cndmask_b32_e64 v191, v2, v0, s1
; %bb.76:                               ;   in Loop: Header=BB446_13 Depth=1
	s_or_b32 exec_lo, exec_lo, s21
	v_lshrrev_b16 v1, 8, v19
	v_mov_b32_e32 v0, 0
	s_mov_b32 s21, exec_lo
	s_delay_alu instid0(VALU_DEP_2)
	v_cmpx_ne_u16_e32 0, v1
	s_cbranch_execz .LBB446_84
; %bb.77:                               ;   in Loop: Header=BB446_13 Depth=1
	v_bfrev_b32_e32 v0, 1
	s_mov_b32 s22, exec_lo
	v_cmpx_ne_u16_e32 0x80, v1
	s_cbranch_execz .LBB446_83
; %bb.78:                               ;   in Loop: Header=BB446_13 Depth=1
	v_and_b32_e32 v2, 0xffff, v1
	v_mov_b32_e32 v0, 0x7f800001
	s_mov_b32 s23, exec_lo
	s_delay_alu instid0(VALU_DEP_2) | instskip(NEXT) | instid1(VALU_DEP_1)
	v_and_b32_e32 v1, 0x7f, v2
	v_cmpx_ne_u32_e32 0x7f, v1
	s_cbranch_execz .LBB446_82
; %bb.79:                               ;   in Loop: Header=BB446_13 Depth=1
	v_dual_mov_b32 v36, v20 :: v_dual_and_b32 v35, 7, v2
	v_lshrrev_b32_e32 v0, 3, v1
	s_mov_b32 s24, exec_lo
	v_cmpx_gt_u32_e32 8, v1
; %bb.80:                               ;   in Loop: Header=BB446_13 Depth=1
	s_delay_alu instid0(VALU_DEP_3) | instskip(NEXT) | instid1(VALU_DEP_1)
	v_clz_i32_u32_e32 v0, v35
	v_min_u32_e32 v0, 32, v0
	s_delay_alu instid0(VALU_DEP_1) | instskip(SKIP_1) | instid1(VALU_DEP_2)
	v_subrev_nc_u32_e32 v1, 28, v0
	v_sub_nc_u32_e32 v0, 29, v0
	v_lshlrev_b64 v[1:2], v1, v[35:36]
	s_delay_alu instid0(VALU_DEP_1)
	v_and_b32_e32 v35, 7, v1
; %bb.81:                               ;   in Loop: Header=BB446_13 Depth=1
	s_or_b32 exec_lo, exec_lo, s24
	v_lshlrev_b32_e32 v1, 16, v19
	s_delay_alu instid0(VALU_DEP_2) | instskip(SKIP_1) | instid1(VALU_DEP_3)
	v_lshlrev_b32_e32 v2, 20, v35
	v_lshl_add_u32 v0, v0, 23, 0x3c000000
	v_and_b32_e32 v1, 0x80000000, v1
	s_delay_alu instid0(VALU_DEP_1)
	v_or3_b32 v0, v2, v1, v0
.LBB446_82:                             ;   in Loop: Header=BB446_13 Depth=1
	s_or_b32 exec_lo, exec_lo, s23
.LBB446_83:                             ;   in Loop: Header=BB446_13 Depth=1
	s_delay_alu instid0(SALU_CYCLE_1)
	s_or_b32 exec_lo, exec_lo, s22
.LBB446_84:                             ;   in Loop: Header=BB446_13 Depth=1
	s_delay_alu instid0(SALU_CYCLE_1) | instskip(NEXT) | instid1(VALU_DEP_1)
	s_or_b32 exec_lo, exec_lo, s21
	v_mul_f32_e32 v0, v187, v0
                                        ; implicit-def: $vgpr69
	s_delay_alu instid0(VALU_DEP_1) | instskip(NEXT) | instid1(VALU_DEP_1)
	v_and_b32_e32 v1, 0x7f800000, v0
	v_cmp_ne_u32_e64 s1, 0x7f800000, v1
	s_delay_alu instid0(VALU_DEP_1) | instskip(NEXT) | instid1(SALU_CYCLE_1)
	s_and_saveexec_b32 s21, s1
	s_xor_b32 s1, exec_lo, s21
; %bb.85:                               ;   in Loop: Header=BB446_13 Depth=1
	v_bfe_u32 v1, v0, 16, 1
	s_delay_alu instid0(VALU_DEP_1)
	v_add3_u32 v69, v0, v1, 0x7fff
                                        ; implicit-def: $vgpr0
; %bb.86:                               ;   in Loop: Header=BB446_13 Depth=1
	s_and_not1_saveexec_b32 s21, s1
; %bb.87:                               ;   in Loop: Header=BB446_13 Depth=1
	v_and_b32_e32 v1, 0xffff, v0
	v_or_b32_e32 v2, 0x10000, v0
	s_delay_alu instid0(VALU_DEP_2) | instskip(NEXT) | instid1(VALU_DEP_1)
	v_cmp_eq_u32_e64 s1, 0, v1
	v_cndmask_b32_e64 v69, v2, v0, s1
; %bb.88:                               ;   in Loop: Header=BB446_13 Depth=1
	s_or_b32 exec_lo, exec_lo, s21
	v_lshrrev_b32_e32 v0, 16, v34
	s_mov_b32 s21, exec_lo
	s_delay_alu instid0(VALU_DEP_1) | instskip(NEXT) | instid1(VALU_DEP_1)
	v_dual_mov_b32 v1, 0 :: v_dual_and_b32 v2, 0xff, v0
	v_cmpx_ne_u16_e32 0, v2
	s_cbranch_execz .LBB446_96
; %bb.89:                               ;   in Loop: Header=BB446_13 Depth=1
	v_bfrev_b32_e32 v1, 1
	s_mov_b32 s22, exec_lo
	v_cmpx_ne_u16_e32 0x80, v2
	s_cbranch_execz .LBB446_95
; %bb.90:                               ;   in Loop: Header=BB446_13 Depth=1
	v_bfe_u32 v2, v34, 16, 7
	v_mov_b32_e32 v1, 0x7f800001
	s_mov_b32 s23, exec_lo
	s_delay_alu instid0(VALU_DEP_2)
	v_cmpx_ne_u32_e32 0x7f, v2
	s_cbranch_execz .LBB446_94
; %bb.91:                               ;   in Loop: Header=BB446_13 Depth=1
	v_and_b32_e32 v19, 7, v0
	v_lshrrev_b32_e32 v1, 3, v2
	v_mov_b32_e32 v36, v20
	s_mov_b32 s24, exec_lo
	s_delay_alu instid0(VALU_DEP_3)
	v_mov_b32_e32 v35, v19
	v_cmpx_gt_u32_e32 8, v2
; %bb.92:                               ;   in Loop: Header=BB446_13 Depth=1
	v_clz_i32_u32_e32 v1, v19
	s_delay_alu instid0(VALU_DEP_1) | instskip(NEXT) | instid1(VALU_DEP_1)
	v_min_u32_e32 v1, 32, v1
	v_subrev_nc_u32_e32 v2, 28, v1
	v_sub_nc_u32_e32 v1, 29, v1
	s_delay_alu instid0(VALU_DEP_2) | instskip(NEXT) | instid1(VALU_DEP_1)
	v_lshlrev_b64 v[2:3], v2, v[19:20]
	v_and_b32_e32 v35, 7, v2
; %bb.93:                               ;   in Loop: Header=BB446_13 Depth=1
	s_or_b32 exec_lo, exec_lo, s24
	v_lshlrev_b32_e32 v0, 24, v0
	s_delay_alu instid0(VALU_DEP_2) | instskip(SKIP_1) | instid1(VALU_DEP_3)
	v_lshlrev_b32_e32 v2, 20, v35
	v_lshl_add_u32 v1, v1, 23, 0x3c000000
	v_and_b32_e32 v0, 0x80000000, v0
	s_delay_alu instid0(VALU_DEP_1)
	v_or3_b32 v1, v2, v0, v1
.LBB446_94:                             ;   in Loop: Header=BB446_13 Depth=1
	s_or_b32 exec_lo, exec_lo, s23
.LBB446_95:                             ;   in Loop: Header=BB446_13 Depth=1
	s_delay_alu instid0(SALU_CYCLE_1)
	s_or_b32 exec_lo, exec_lo, s22
.LBB446_96:                             ;   in Loop: Header=BB446_13 Depth=1
	s_delay_alu instid0(SALU_CYCLE_1) | instskip(NEXT) | instid1(VALU_DEP_1)
	s_or_b32 exec_lo, exec_lo, s21
	v_mul_f32_e32 v0, v187, v1
                                        ; implicit-def: $vgpr5
	s_delay_alu instid0(VALU_DEP_1) | instskip(NEXT) | instid1(VALU_DEP_1)
	v_and_b32_e32 v1, 0x7f800000, v0
	v_cmp_ne_u32_e64 s1, 0x7f800000, v1
	s_delay_alu instid0(VALU_DEP_1) | instskip(NEXT) | instid1(SALU_CYCLE_1)
	s_and_saveexec_b32 s21, s1
	s_xor_b32 s1, exec_lo, s21
; %bb.97:                               ;   in Loop: Header=BB446_13 Depth=1
	v_bfe_u32 v1, v0, 16, 1
	s_delay_alu instid0(VALU_DEP_1)
	v_add3_u32 v5, v0, v1, 0x7fff
                                        ; implicit-def: $vgpr0
; %bb.98:                               ;   in Loop: Header=BB446_13 Depth=1
	s_and_not1_saveexec_b32 s21, s1
; %bb.99:                               ;   in Loop: Header=BB446_13 Depth=1
	v_and_b32_e32 v1, 0xffff, v0
	v_or_b32_e32 v2, 0x10000, v0
	s_delay_alu instid0(VALU_DEP_2) | instskip(NEXT) | instid1(VALU_DEP_1)
	v_cmp_eq_u32_e64 s1, 0, v1
	v_cndmask_b32_e64 v5, v2, v0, s1
; %bb.100:                              ;   in Loop: Header=BB446_13 Depth=1
	s_or_b32 exec_lo, exec_lo, s21
	v_mov_b32_e32 v1, 0
	s_mov_b32 s21, exec_lo
	v_cmpx_lt_u64_e64 s[16:17], v[33:34]
	s_cbranch_execz .LBB446_108
; %bb.101:                              ;   in Loop: Header=BB446_13 Depth=1
	v_lshrrev_b32_e32 v0, 24, v34
	v_bfrev_b32_e32 v1, 1
	s_mov_b32 s22, exec_lo
	s_delay_alu instid0(VALU_DEP_2)
	v_cmpx_ne_u32_e32 0x80, v0
	s_cbranch_execz .LBB446_107
; %bb.102:                              ;   in Loop: Header=BB446_13 Depth=1
	v_bfe_u32 v2, v34, 24, 7
	v_mov_b32_e32 v1, 0x7f800001
	s_mov_b32 s23, exec_lo
	s_delay_alu instid0(VALU_DEP_2)
	v_cmpx_ne_u32_e32 0x7f, v2
	s_cbranch_execz .LBB446_106
; %bb.103:                              ;   in Loop: Header=BB446_13 Depth=1
	v_and_b32_e32 v19, 7, v0
	v_lshrrev_b32_e32 v1, 3, v2
	v_mov_b32_e32 v34, v20
	s_mov_b32 s24, exec_lo
	s_delay_alu instid0(VALU_DEP_3)
	v_mov_b32_e32 v33, v19
	v_cmpx_gt_u32_e32 8, v2
; %bb.104:                              ;   in Loop: Header=BB446_13 Depth=1
	v_clz_i32_u32_e32 v1, v19
	s_delay_alu instid0(VALU_DEP_1) | instskip(NEXT) | instid1(VALU_DEP_1)
	v_min_u32_e32 v1, 32, v1
	v_subrev_nc_u32_e32 v2, 28, v1
	v_sub_nc_u32_e32 v1, 29, v1
	s_delay_alu instid0(VALU_DEP_2) | instskip(NEXT) | instid1(VALU_DEP_1)
	v_lshlrev_b64 v[2:3], v2, v[19:20]
	v_and_b32_e32 v33, 7, v2
; %bb.105:                              ;   in Loop: Header=BB446_13 Depth=1
	s_or_b32 exec_lo, exec_lo, s24
	v_lshlrev_b32_e32 v0, 24, v0
	s_delay_alu instid0(VALU_DEP_2) | instskip(SKIP_1) | instid1(VALU_DEP_3)
	v_lshlrev_b32_e32 v2, 20, v33
	v_lshl_add_u32 v1, v1, 23, 0x3c000000
	v_and_b32_e32 v0, 0x80000000, v0
	s_delay_alu instid0(VALU_DEP_1)
	v_or3_b32 v1, v2, v0, v1
.LBB446_106:                            ;   in Loop: Header=BB446_13 Depth=1
	s_or_b32 exec_lo, exec_lo, s23
.LBB446_107:                            ;   in Loop: Header=BB446_13 Depth=1
	s_delay_alu instid0(SALU_CYCLE_1)
	s_or_b32 exec_lo, exec_lo, s22
.LBB446_108:                            ;   in Loop: Header=BB446_13 Depth=1
	s_delay_alu instid0(SALU_CYCLE_1) | instskip(NEXT) | instid1(VALU_DEP_1)
	s_or_b32 exec_lo, exec_lo, s21
	v_mul_f32_e32 v0, v187, v1
                                        ; implicit-def: $vgpr4
	s_delay_alu instid0(VALU_DEP_1) | instskip(NEXT) | instid1(VALU_DEP_1)
	v_and_b32_e32 v1, 0x7f800000, v0
	v_cmp_ne_u32_e64 s1, 0x7f800000, v1
	s_delay_alu instid0(VALU_DEP_1) | instskip(NEXT) | instid1(SALU_CYCLE_1)
	s_and_saveexec_b32 s21, s1
	s_xor_b32 s1, exec_lo, s21
; %bb.109:                              ;   in Loop: Header=BB446_13 Depth=1
	v_bfe_u32 v1, v0, 16, 1
	s_delay_alu instid0(VALU_DEP_1)
	v_add3_u32 v4, v0, v1, 0x7fff
                                        ; implicit-def: $vgpr0
; %bb.110:                              ;   in Loop: Header=BB446_13 Depth=1
	s_and_not1_saveexec_b32 s21, s1
; %bb.111:                              ;   in Loop: Header=BB446_13 Depth=1
	v_and_b32_e32 v1, 0xffff, v0
	v_or_b32_e32 v2, 0x10000, v0
	s_delay_alu instid0(VALU_DEP_2) | instskip(NEXT) | instid1(VALU_DEP_1)
	v_cmp_eq_u32_e64 s1, 0, v1
	v_cndmask_b32_e64 v4, v2, v0, s1
; %bb.112:                              ;   in Loop: Header=BB446_13 Depth=1
	s_or_b32 exec_lo, exec_lo, s21
	flat_load_b64 v[33:34], v[31:32] offset:8
	s_mov_b32 s21, exec_lo
	s_waitcnt vmcnt(0) lgkmcnt(0)
	v_dual_mov_b32 v0, 0 :: v_dual_and_b32 v1, 0xff, v33
	s_delay_alu instid0(VALU_DEP_1)
	v_cmpx_ne_u16_e32 0, v1
	s_cbranch_execz .LBB446_120
; %bb.113:                              ;   in Loop: Header=BB446_13 Depth=1
	v_bfrev_b32_e32 v0, 1
	s_mov_b32 s22, exec_lo
	v_cmpx_ne_u16_e32 0x80, v1
	s_cbranch_execz .LBB446_119
; %bb.114:                              ;   in Loop: Header=BB446_13 Depth=1
	v_and_b32_e32 v1, 0x7f, v33
	v_mov_b32_e32 v0, 0x7f800001
	s_mov_b32 s23, exec_lo
	s_delay_alu instid0(VALU_DEP_2)
	v_cmpx_ne_u32_e32 0x7f, v1
	s_cbranch_execz .LBB446_118
; %bb.115:                              ;   in Loop: Header=BB446_13 Depth=1
	v_lshrrev_b32_e32 v0, 3, v1
	v_dual_mov_b32 v36, v34 :: v_dual_mov_b32 v35, v33
	s_mov_b32 s24, exec_lo
	v_cmpx_gt_u32_e32 8, v1
; %bb.116:                              ;   in Loop: Header=BB446_13 Depth=1
	v_and_b32_e32 v0, 7, v33
	s_delay_alu instid0(VALU_DEP_1) | instskip(NEXT) | instid1(VALU_DEP_1)
	v_clz_i32_u32_e32 v0, v0
	v_min_u32_e32 v0, 32, v0
	s_delay_alu instid0(VALU_DEP_1) | instskip(SKIP_1) | instid1(VALU_DEP_2)
	v_subrev_nc_u32_e32 v1, 28, v0
	v_sub_nc_u32_e32 v0, 29, v0
	v_lshlrev_b64 v[35:36], v1, v[33:34]
; %bb.117:                              ;   in Loop: Header=BB446_13 Depth=1
	s_or_b32 exec_lo, exec_lo, s24
	s_delay_alu instid0(VALU_DEP_1) | instskip(SKIP_2) | instid1(VALU_DEP_3)
	v_lshlrev_b32_e32 v1, 20, v35
	v_lshlrev_b32_e32 v2, 24, v33
	v_lshl_add_u32 v0, v0, 23, 0x3c000000
	v_and_b32_e32 v1, 0x700000, v1
	s_delay_alu instid0(VALU_DEP_3) | instskip(NEXT) | instid1(VALU_DEP_1)
	v_and_b32_e32 v2, 0x80000000, v2
	v_or3_b32 v0, v1, v2, v0
.LBB446_118:                            ;   in Loop: Header=BB446_13 Depth=1
	s_or_b32 exec_lo, exec_lo, s23
.LBB446_119:                            ;   in Loop: Header=BB446_13 Depth=1
	s_delay_alu instid0(SALU_CYCLE_1)
	s_or_b32 exec_lo, exec_lo, s22
.LBB446_120:                            ;   in Loop: Header=BB446_13 Depth=1
	s_delay_alu instid0(SALU_CYCLE_1) | instskip(NEXT) | instid1(VALU_DEP_1)
	s_or_b32 exec_lo, exec_lo, s21
	v_mul_f32_e32 v0, v187, v0
                                        ; implicit-def: $vgpr70
	s_delay_alu instid0(VALU_DEP_1) | instskip(NEXT) | instid1(VALU_DEP_1)
	v_and_b32_e32 v1, 0x7f800000, v0
	v_cmp_ne_u32_e64 s1, 0x7f800000, v1
	s_delay_alu instid0(VALU_DEP_1) | instskip(NEXT) | instid1(SALU_CYCLE_1)
	s_and_saveexec_b32 s21, s1
	s_xor_b32 s1, exec_lo, s21
; %bb.121:                              ;   in Loop: Header=BB446_13 Depth=1
	v_bfe_u32 v1, v0, 16, 1
	s_delay_alu instid0(VALU_DEP_1)
	v_add3_u32 v70, v0, v1, 0x7fff
                                        ; implicit-def: $vgpr0
; %bb.122:                              ;   in Loop: Header=BB446_13 Depth=1
	s_and_not1_saveexec_b32 s21, s1
; %bb.123:                              ;   in Loop: Header=BB446_13 Depth=1
	v_and_b32_e32 v1, 0xffff, v0
	v_or_b32_e32 v2, 0x10000, v0
	s_delay_alu instid0(VALU_DEP_2) | instskip(NEXT) | instid1(VALU_DEP_1)
	v_cmp_eq_u32_e64 s1, 0, v1
	v_cndmask_b32_e64 v70, v2, v0, s1
; %bb.124:                              ;   in Loop: Header=BB446_13 Depth=1
	s_or_b32 exec_lo, exec_lo, s21
	v_lshrrev_b16 v1, 8, v33
	v_mov_b32_e32 v0, 0
	s_mov_b32 s21, exec_lo
	s_delay_alu instid0(VALU_DEP_2)
	v_cmpx_ne_u16_e32 0, v1
	s_cbranch_execz .LBB446_132
; %bb.125:                              ;   in Loop: Header=BB446_13 Depth=1
	v_bfrev_b32_e32 v0, 1
	s_mov_b32 s22, exec_lo
	v_cmpx_ne_u16_e32 0x80, v1
	s_cbranch_execz .LBB446_131
; %bb.126:                              ;   in Loop: Header=BB446_13 Depth=1
	v_and_b32_e32 v2, 0xffff, v1
	v_mov_b32_e32 v0, 0x7f800001
	s_mov_b32 s23, exec_lo
	s_delay_alu instid0(VALU_DEP_2) | instskip(NEXT) | instid1(VALU_DEP_1)
	v_and_b32_e32 v1, 0x7f, v2
	v_cmpx_ne_u32_e32 0x7f, v1
	s_cbranch_execz .LBB446_130
; %bb.127:                              ;   in Loop: Header=BB446_13 Depth=1
	v_and_b32_e32 v19, 7, v2
	v_lshrrev_b32_e32 v0, 3, v1
	v_mov_b32_e32 v36, v20
	s_mov_b32 s24, exec_lo
	s_delay_alu instid0(VALU_DEP_3)
	v_mov_b32_e32 v35, v19
	v_cmpx_gt_u32_e32 8, v1
; %bb.128:                              ;   in Loop: Header=BB446_13 Depth=1
	v_clz_i32_u32_e32 v0, v19
	s_delay_alu instid0(VALU_DEP_1) | instskip(NEXT) | instid1(VALU_DEP_1)
	v_min_u32_e32 v0, 32, v0
	v_subrev_nc_u32_e32 v1, 28, v0
	v_sub_nc_u32_e32 v0, 29, v0
	s_delay_alu instid0(VALU_DEP_2) | instskip(NEXT) | instid1(VALU_DEP_1)
	v_lshlrev_b64 v[1:2], v1, v[19:20]
	v_and_b32_e32 v35, 7, v1
; %bb.129:                              ;   in Loop: Header=BB446_13 Depth=1
	s_or_b32 exec_lo, exec_lo, s24
	v_lshlrev_b32_e32 v1, 16, v33
	s_delay_alu instid0(VALU_DEP_2) | instskip(SKIP_1) | instid1(VALU_DEP_3)
	v_lshlrev_b32_e32 v2, 20, v35
	v_lshl_add_u32 v0, v0, 23, 0x3c000000
	v_and_b32_e32 v1, 0x80000000, v1
	s_delay_alu instid0(VALU_DEP_1)
	v_or3_b32 v0, v2, v1, v0
.LBB446_130:                            ;   in Loop: Header=BB446_13 Depth=1
	s_or_b32 exec_lo, exec_lo, s23
.LBB446_131:                            ;   in Loop: Header=BB446_13 Depth=1
	s_delay_alu instid0(SALU_CYCLE_1)
	s_or_b32 exec_lo, exec_lo, s22
.LBB446_132:                            ;   in Loop: Header=BB446_13 Depth=1
	s_delay_alu instid0(SALU_CYCLE_1) | instskip(NEXT) | instid1(VALU_DEP_1)
	s_or_b32 exec_lo, exec_lo, s21
	v_mul_f32_e32 v0, v187, v0
                                        ; implicit-def: $vgpr68
	s_delay_alu instid0(VALU_DEP_1) | instskip(NEXT) | instid1(VALU_DEP_1)
	v_and_b32_e32 v1, 0x7f800000, v0
	v_cmp_ne_u32_e64 s1, 0x7f800000, v1
	s_delay_alu instid0(VALU_DEP_1) | instskip(NEXT) | instid1(SALU_CYCLE_1)
	s_and_saveexec_b32 s21, s1
	s_xor_b32 s1, exec_lo, s21
; %bb.133:                              ;   in Loop: Header=BB446_13 Depth=1
	v_bfe_u32 v1, v0, 16, 1
	s_delay_alu instid0(VALU_DEP_1)
	v_add3_u32 v68, v0, v1, 0x7fff
                                        ; implicit-def: $vgpr0
; %bb.134:                              ;   in Loop: Header=BB446_13 Depth=1
	s_and_not1_saveexec_b32 s21, s1
; %bb.135:                              ;   in Loop: Header=BB446_13 Depth=1
	v_and_b32_e32 v1, 0xffff, v0
	v_or_b32_e32 v2, 0x10000, v0
	s_delay_alu instid0(VALU_DEP_2) | instskip(NEXT) | instid1(VALU_DEP_1)
	v_cmp_eq_u32_e64 s1, 0, v1
	v_cndmask_b32_e64 v68, v2, v0, s1
; %bb.136:                              ;   in Loop: Header=BB446_13 Depth=1
	s_or_b32 exec_lo, exec_lo, s21
	v_lshrrev_b32_e32 v0, 16, v33
	s_mov_b32 s21, exec_lo
	s_delay_alu instid0(VALU_DEP_1) | instskip(NEXT) | instid1(VALU_DEP_1)
	v_dual_mov_b32 v1, 0 :: v_dual_and_b32 v2, 0xff, v0
	v_cmpx_ne_u16_e32 0, v2
	s_cbranch_execz .LBB446_144
; %bb.137:                              ;   in Loop: Header=BB446_13 Depth=1
	v_bfrev_b32_e32 v1, 1
	s_mov_b32 s22, exec_lo
	v_cmpx_ne_u16_e32 0x80, v2
	s_cbranch_execz .LBB446_143
; %bb.138:                              ;   in Loop: Header=BB446_13 Depth=1
	v_bfe_u32 v2, v33, 16, 7
	v_mov_b32_e32 v1, 0x7f800001
	s_mov_b32 s23, exec_lo
	s_delay_alu instid0(VALU_DEP_2)
	v_cmpx_ne_u32_e32 0x7f, v2
	s_cbranch_execz .LBB446_142
; %bb.139:                              ;   in Loop: Header=BB446_13 Depth=1
	v_and_b32_e32 v19, 7, v0
	v_lshrrev_b32_e32 v1, 3, v2
	v_mov_b32_e32 v36, v20
	s_mov_b32 s24, exec_lo
	s_delay_alu instid0(VALU_DEP_3)
	v_mov_b32_e32 v35, v19
	v_cmpx_gt_u32_e32 8, v2
; %bb.140:                              ;   in Loop: Header=BB446_13 Depth=1
	v_clz_i32_u32_e32 v1, v19
	s_delay_alu instid0(VALU_DEP_1) | instskip(NEXT) | instid1(VALU_DEP_1)
	v_min_u32_e32 v1, 32, v1
	v_subrev_nc_u32_e32 v2, 28, v1
	v_sub_nc_u32_e32 v1, 29, v1
	s_delay_alu instid0(VALU_DEP_2) | instskip(NEXT) | instid1(VALU_DEP_1)
	v_lshlrev_b64 v[2:3], v2, v[19:20]
	v_and_b32_e32 v35, 7, v2
; %bb.141:                              ;   in Loop: Header=BB446_13 Depth=1
	s_or_b32 exec_lo, exec_lo, s24
	v_lshlrev_b32_e32 v0, 24, v0
	s_delay_alu instid0(VALU_DEP_2) | instskip(SKIP_1) | instid1(VALU_DEP_3)
	v_lshlrev_b32_e32 v2, 20, v35
	v_lshl_add_u32 v1, v1, 23, 0x3c000000
	v_and_b32_e32 v0, 0x80000000, v0
	s_delay_alu instid0(VALU_DEP_1)
	v_or3_b32 v1, v2, v0, v1
.LBB446_142:                            ;   in Loop: Header=BB446_13 Depth=1
	s_or_b32 exec_lo, exec_lo, s23
.LBB446_143:                            ;   in Loop: Header=BB446_13 Depth=1
	s_delay_alu instid0(SALU_CYCLE_1)
	s_or_b32 exec_lo, exec_lo, s22
.LBB446_144:                            ;   in Loop: Header=BB446_13 Depth=1
	s_delay_alu instid0(SALU_CYCLE_1) | instskip(NEXT) | instid1(VALU_DEP_1)
	s_or_b32 exec_lo, exec_lo, s21
	v_mul_f32_e32 v0, v187, v1
                                        ; implicit-def: $vgpr54
	s_delay_alu instid0(VALU_DEP_1) | instskip(NEXT) | instid1(VALU_DEP_1)
	v_and_b32_e32 v1, 0x7f800000, v0
	v_cmp_ne_u32_e64 s1, 0x7f800000, v1
	s_delay_alu instid0(VALU_DEP_1) | instskip(NEXT) | instid1(SALU_CYCLE_1)
	s_and_saveexec_b32 s21, s1
	s_xor_b32 s1, exec_lo, s21
; %bb.145:                              ;   in Loop: Header=BB446_13 Depth=1
	v_bfe_u32 v1, v0, 16, 1
	s_delay_alu instid0(VALU_DEP_1)
	v_add3_u32 v54, v0, v1, 0x7fff
                                        ; implicit-def: $vgpr0
; %bb.146:                              ;   in Loop: Header=BB446_13 Depth=1
	s_and_not1_saveexec_b32 s21, s1
; %bb.147:                              ;   in Loop: Header=BB446_13 Depth=1
	v_and_b32_e32 v1, 0xffff, v0
	v_or_b32_e32 v2, 0x10000, v0
	s_delay_alu instid0(VALU_DEP_2) | instskip(NEXT) | instid1(VALU_DEP_1)
	v_cmp_eq_u32_e64 s1, 0, v1
	v_cndmask_b32_e64 v54, v2, v0, s1
; %bb.148:                              ;   in Loop: Header=BB446_13 Depth=1
	s_or_b32 exec_lo, exec_lo, s21
	v_mov_b32_e32 v1, 0
	s_mov_b32 s21, exec_lo
	v_cmpx_lt_u32_e32 0xffffff, v33
	s_cbranch_execz .LBB446_156
; %bb.149:                              ;   in Loop: Header=BB446_13 Depth=1
	v_lshrrev_b32_e32 v0, 24, v33
	v_bfrev_b32_e32 v1, 1
	s_mov_b32 s22, exec_lo
	s_delay_alu instid0(VALU_DEP_2)
	v_cmpx_ne_u32_e32 0x80, v0
	s_cbranch_execz .LBB446_155
; %bb.150:                              ;   in Loop: Header=BB446_13 Depth=1
	v_bfe_u32 v2, v33, 24, 7
	v_mov_b32_e32 v1, 0x7f800001
	s_mov_b32 s23, exec_lo
	s_delay_alu instid0(VALU_DEP_2)
	v_cmpx_ne_u32_e32 0x7f, v2
	s_cbranch_execz .LBB446_154
; %bb.151:                              ;   in Loop: Header=BB446_13 Depth=1
	v_and_b32_e32 v19, 7, v0
	v_lshrrev_b32_e32 v1, 3, v2
	v_mov_b32_e32 v36, v20
	s_mov_b32 s24, exec_lo
	s_delay_alu instid0(VALU_DEP_3)
	v_mov_b32_e32 v35, v19
	v_cmpx_gt_u32_e32 8, v2
; %bb.152:                              ;   in Loop: Header=BB446_13 Depth=1
	v_clz_i32_u32_e32 v1, v19
	s_delay_alu instid0(VALU_DEP_1) | instskip(NEXT) | instid1(VALU_DEP_1)
	v_min_u32_e32 v1, 32, v1
	v_subrev_nc_u32_e32 v2, 28, v1
	v_sub_nc_u32_e32 v1, 29, v1
	s_delay_alu instid0(VALU_DEP_2) | instskip(NEXT) | instid1(VALU_DEP_1)
	v_lshlrev_b64 v[2:3], v2, v[19:20]
	v_and_b32_e32 v35, 7, v2
; %bb.153:                              ;   in Loop: Header=BB446_13 Depth=1
	s_or_b32 exec_lo, exec_lo, s24
	v_lshlrev_b32_e32 v0, 24, v0
	s_delay_alu instid0(VALU_DEP_2) | instskip(SKIP_1) | instid1(VALU_DEP_3)
	v_lshlrev_b32_e32 v2, 20, v35
	v_lshl_add_u32 v1, v1, 23, 0x3c000000
	v_and_b32_e32 v0, 0x80000000, v0
	s_delay_alu instid0(VALU_DEP_1)
	v_or3_b32 v1, v2, v0, v1
.LBB446_154:                            ;   in Loop: Header=BB446_13 Depth=1
	s_or_b32 exec_lo, exec_lo, s23
.LBB446_155:                            ;   in Loop: Header=BB446_13 Depth=1
	s_delay_alu instid0(SALU_CYCLE_1)
	s_or_b32 exec_lo, exec_lo, s22
.LBB446_156:                            ;   in Loop: Header=BB446_13 Depth=1
	s_delay_alu instid0(SALU_CYCLE_1) | instskip(NEXT) | instid1(VALU_DEP_1)
	s_or_b32 exec_lo, exec_lo, s21
	v_mul_f32_e32 v0, v187, v1
                                        ; implicit-def: $vgpr21
	s_delay_alu instid0(VALU_DEP_1) | instskip(NEXT) | instid1(VALU_DEP_1)
	v_and_b32_e32 v1, 0x7f800000, v0
	v_cmp_ne_u32_e64 s1, 0x7f800000, v1
	s_delay_alu instid0(VALU_DEP_1) | instskip(NEXT) | instid1(SALU_CYCLE_1)
	s_and_saveexec_b32 s21, s1
	s_xor_b32 s1, exec_lo, s21
; %bb.157:                              ;   in Loop: Header=BB446_13 Depth=1
	v_bfe_u32 v1, v0, 16, 1
	s_delay_alu instid0(VALU_DEP_1)
	v_add3_u32 v21, v0, v1, 0x7fff
                                        ; implicit-def: $vgpr0
; %bb.158:                              ;   in Loop: Header=BB446_13 Depth=1
	s_and_not1_saveexec_b32 s21, s1
; %bb.159:                              ;   in Loop: Header=BB446_13 Depth=1
	v_and_b32_e32 v1, 0xffff, v0
	v_or_b32_e32 v2, 0x10000, v0
	s_delay_alu instid0(VALU_DEP_2) | instskip(NEXT) | instid1(VALU_DEP_1)
	v_cmp_eq_u32_e64 s1, 0, v1
	v_cndmask_b32_e64 v21, v2, v0, s1
; %bb.160:                              ;   in Loop: Header=BB446_13 Depth=1
	s_or_b32 exec_lo, exec_lo, s21
	v_dual_mov_b32 v0, 0 :: v_dual_and_b32 v1, 0xff, v34
	v_mov_b32_e32 v19, v34
	s_mov_b32 s21, exec_lo
	s_delay_alu instid0(VALU_DEP_2)
	v_cmpx_ne_u16_e32 0, v1
	s_cbranch_execz .LBB446_168
; %bb.161:                              ;   in Loop: Header=BB446_13 Depth=1
	v_bfrev_b32_e32 v0, 1
	s_mov_b32 s22, exec_lo
	v_cmpx_ne_u16_e32 0x80, v1
	s_cbranch_execz .LBB446_167
; %bb.162:                              ;   in Loop: Header=BB446_13 Depth=1
	v_and_b32_e32 v1, 0x7f, v34
	v_mov_b32_e32 v0, 0x7f800001
	s_mov_b32 s23, exec_lo
	s_delay_alu instid0(VALU_DEP_2)
	v_cmpx_ne_u32_e32 0x7f, v1
	s_cbranch_execz .LBB446_166
; %bb.163:                              ;   in Loop: Header=BB446_13 Depth=1
	v_lshrrev_b32_e32 v0, 3, v1
	v_dual_mov_b32 v36, v20 :: v_dual_mov_b32 v35, v19
	s_mov_b32 s24, exec_lo
	v_cmpx_gt_u32_e32 8, v1
; %bb.164:                              ;   in Loop: Header=BB446_13 Depth=1
	v_and_b32_e32 v0, 7, v34
	s_delay_alu instid0(VALU_DEP_1) | instskip(NEXT) | instid1(VALU_DEP_1)
	v_clz_i32_u32_e32 v0, v0
	v_min_u32_e32 v0, 32, v0
	s_delay_alu instid0(VALU_DEP_1) | instskip(SKIP_1) | instid1(VALU_DEP_2)
	v_subrev_nc_u32_e32 v1, 28, v0
	v_sub_nc_u32_e32 v0, 29, v0
	v_lshlrev_b64 v[35:36], v1, v[19:20]
; %bb.165:                              ;   in Loop: Header=BB446_13 Depth=1
	s_or_b32 exec_lo, exec_lo, s24
	s_delay_alu instid0(VALU_DEP_1) | instskip(SKIP_2) | instid1(VALU_DEP_3)
	v_lshlrev_b32_e32 v1, 20, v35
	v_lshlrev_b32_e32 v2, 24, v19
	v_lshl_add_u32 v0, v0, 23, 0x3c000000
	v_and_b32_e32 v1, 0x700000, v1
	s_delay_alu instid0(VALU_DEP_3) | instskip(NEXT) | instid1(VALU_DEP_1)
	v_and_b32_e32 v2, 0x80000000, v2
	v_or3_b32 v0, v1, v2, v0
.LBB446_166:                            ;   in Loop: Header=BB446_13 Depth=1
	s_or_b32 exec_lo, exec_lo, s23
.LBB446_167:                            ;   in Loop: Header=BB446_13 Depth=1
	s_delay_alu instid0(SALU_CYCLE_1)
	s_or_b32 exec_lo, exec_lo, s22
.LBB446_168:                            ;   in Loop: Header=BB446_13 Depth=1
	s_delay_alu instid0(SALU_CYCLE_1) | instskip(NEXT) | instid1(VALU_DEP_1)
	s_or_b32 exec_lo, exec_lo, s21
	v_mul_f32_e32 v0, v187, v0
                                        ; implicit-def: $vgpr6
	s_delay_alu instid0(VALU_DEP_1) | instskip(NEXT) | instid1(VALU_DEP_1)
	v_and_b32_e32 v1, 0x7f800000, v0
	v_cmp_ne_u32_e64 s1, 0x7f800000, v1
	s_delay_alu instid0(VALU_DEP_1) | instskip(NEXT) | instid1(SALU_CYCLE_1)
	s_and_saveexec_b32 s21, s1
	s_xor_b32 s1, exec_lo, s21
; %bb.169:                              ;   in Loop: Header=BB446_13 Depth=1
	v_bfe_u32 v1, v0, 16, 1
	s_delay_alu instid0(VALU_DEP_1)
	v_add3_u32 v6, v0, v1, 0x7fff
                                        ; implicit-def: $vgpr0
; %bb.170:                              ;   in Loop: Header=BB446_13 Depth=1
	s_and_not1_saveexec_b32 s21, s1
; %bb.171:                              ;   in Loop: Header=BB446_13 Depth=1
	v_and_b32_e32 v1, 0xffff, v0
	v_or_b32_e32 v2, 0x10000, v0
	s_delay_alu instid0(VALU_DEP_2) | instskip(NEXT) | instid1(VALU_DEP_1)
	v_cmp_eq_u32_e64 s1, 0, v1
	v_cndmask_b32_e64 v6, v2, v0, s1
; %bb.172:                              ;   in Loop: Header=BB446_13 Depth=1
	s_or_b32 exec_lo, exec_lo, s21
	v_lshrrev_b16 v1, 8, v19
	v_mov_b32_e32 v0, 0
	s_mov_b32 s21, exec_lo
	s_delay_alu instid0(VALU_DEP_2)
	v_cmpx_ne_u16_e32 0, v1
	s_cbranch_execz .LBB446_180
; %bb.173:                              ;   in Loop: Header=BB446_13 Depth=1
	v_bfrev_b32_e32 v0, 1
	s_mov_b32 s22, exec_lo
	v_cmpx_ne_u16_e32 0x80, v1
	s_cbranch_execz .LBB446_179
; %bb.174:                              ;   in Loop: Header=BB446_13 Depth=1
	v_and_b32_e32 v2, 0xffff, v1
	v_mov_b32_e32 v0, 0x7f800001
	s_mov_b32 s23, exec_lo
	s_delay_alu instid0(VALU_DEP_2) | instskip(NEXT) | instid1(VALU_DEP_1)
	v_and_b32_e32 v1, 0x7f, v2
	v_cmpx_ne_u32_e32 0x7f, v1
	s_cbranch_execz .LBB446_178
; %bb.175:                              ;   in Loop: Header=BB446_13 Depth=1
	v_dual_mov_b32 v36, v20 :: v_dual_and_b32 v35, 7, v2
	v_lshrrev_b32_e32 v0, 3, v1
	s_mov_b32 s24, exec_lo
	v_cmpx_gt_u32_e32 8, v1
; %bb.176:                              ;   in Loop: Header=BB446_13 Depth=1
	s_delay_alu instid0(VALU_DEP_3) | instskip(NEXT) | instid1(VALU_DEP_1)
	v_clz_i32_u32_e32 v0, v35
	v_min_u32_e32 v0, 32, v0
	s_delay_alu instid0(VALU_DEP_1) | instskip(SKIP_1) | instid1(VALU_DEP_2)
	v_subrev_nc_u32_e32 v1, 28, v0
	v_sub_nc_u32_e32 v0, 29, v0
	v_lshlrev_b64 v[1:2], v1, v[35:36]
	s_delay_alu instid0(VALU_DEP_1)
	v_and_b32_e32 v35, 7, v1
; %bb.177:                              ;   in Loop: Header=BB446_13 Depth=1
	s_or_b32 exec_lo, exec_lo, s24
	v_lshlrev_b32_e32 v1, 16, v19
	s_delay_alu instid0(VALU_DEP_2) | instskip(SKIP_1) | instid1(VALU_DEP_3)
	v_lshlrev_b32_e32 v2, 20, v35
	v_lshl_add_u32 v0, v0, 23, 0x3c000000
	v_and_b32_e32 v1, 0x80000000, v1
	s_delay_alu instid0(VALU_DEP_1)
	v_or3_b32 v0, v2, v1, v0
.LBB446_178:                            ;   in Loop: Header=BB446_13 Depth=1
	s_or_b32 exec_lo, exec_lo, s23
.LBB446_179:                            ;   in Loop: Header=BB446_13 Depth=1
	s_delay_alu instid0(SALU_CYCLE_1)
	s_or_b32 exec_lo, exec_lo, s22
.LBB446_180:                            ;   in Loop: Header=BB446_13 Depth=1
	s_delay_alu instid0(SALU_CYCLE_1) | instskip(NEXT) | instid1(VALU_DEP_1)
	s_or_b32 exec_lo, exec_lo, s21
	v_mul_f32_e32 v0, v187, v0
                                        ; implicit-def: $vgpr7
	s_delay_alu instid0(VALU_DEP_1) | instskip(NEXT) | instid1(VALU_DEP_1)
	v_and_b32_e32 v1, 0x7f800000, v0
	v_cmp_ne_u32_e64 s1, 0x7f800000, v1
	s_delay_alu instid0(VALU_DEP_1) | instskip(NEXT) | instid1(SALU_CYCLE_1)
	s_and_saveexec_b32 s21, s1
	s_xor_b32 s1, exec_lo, s21
; %bb.181:                              ;   in Loop: Header=BB446_13 Depth=1
	v_bfe_u32 v1, v0, 16, 1
	s_delay_alu instid0(VALU_DEP_1)
	v_add3_u32 v7, v0, v1, 0x7fff
                                        ; implicit-def: $vgpr0
; %bb.182:                              ;   in Loop: Header=BB446_13 Depth=1
	s_and_not1_saveexec_b32 s21, s1
; %bb.183:                              ;   in Loop: Header=BB446_13 Depth=1
	v_and_b32_e32 v1, 0xffff, v0
	v_or_b32_e32 v2, 0x10000, v0
	s_delay_alu instid0(VALU_DEP_2) | instskip(NEXT) | instid1(VALU_DEP_1)
	v_cmp_eq_u32_e64 s1, 0, v1
	v_cndmask_b32_e64 v7, v2, v0, s1
; %bb.184:                              ;   in Loop: Header=BB446_13 Depth=1
	s_or_b32 exec_lo, exec_lo, s21
	v_lshrrev_b32_e32 v0, 16, v34
	s_mov_b32 s21, exec_lo
	s_delay_alu instid0(VALU_DEP_1) | instskip(NEXT) | instid1(VALU_DEP_1)
	v_dual_mov_b32 v1, 0 :: v_dual_and_b32 v2, 0xff, v0
	v_cmpx_ne_u16_e32 0, v2
	s_cbranch_execz .LBB446_192
; %bb.185:                              ;   in Loop: Header=BB446_13 Depth=1
	v_bfrev_b32_e32 v1, 1
	s_mov_b32 s22, exec_lo
	v_cmpx_ne_u16_e32 0x80, v2
	s_cbranch_execz .LBB446_191
; %bb.186:                              ;   in Loop: Header=BB446_13 Depth=1
	v_bfe_u32 v2, v34, 16, 7
	v_mov_b32_e32 v1, 0x7f800001
	s_mov_b32 s23, exec_lo
	s_delay_alu instid0(VALU_DEP_2)
	v_cmpx_ne_u32_e32 0x7f, v2
	s_cbranch_execz .LBB446_190
; %bb.187:                              ;   in Loop: Header=BB446_13 Depth=1
	v_and_b32_e32 v19, 7, v0
	v_lshrrev_b32_e32 v1, 3, v2
	v_mov_b32_e32 v36, v20
	s_mov_b32 s24, exec_lo
	s_delay_alu instid0(VALU_DEP_3)
	v_mov_b32_e32 v35, v19
	v_cmpx_gt_u32_e32 8, v2
; %bb.188:                              ;   in Loop: Header=BB446_13 Depth=1
	v_clz_i32_u32_e32 v1, v19
	s_delay_alu instid0(VALU_DEP_1) | instskip(NEXT) | instid1(VALU_DEP_1)
	v_min_u32_e32 v1, 32, v1
	v_subrev_nc_u32_e32 v2, 28, v1
	v_sub_nc_u32_e32 v1, 29, v1
	s_delay_alu instid0(VALU_DEP_2) | instskip(NEXT) | instid1(VALU_DEP_1)
	v_lshlrev_b64 v[2:3], v2, v[19:20]
	v_and_b32_e32 v35, 7, v2
; %bb.189:                              ;   in Loop: Header=BB446_13 Depth=1
	s_or_b32 exec_lo, exec_lo, s24
	v_lshlrev_b32_e32 v0, 24, v0
	s_delay_alu instid0(VALU_DEP_2) | instskip(SKIP_1) | instid1(VALU_DEP_3)
	v_lshlrev_b32_e32 v2, 20, v35
	v_lshl_add_u32 v1, v1, 23, 0x3c000000
	v_and_b32_e32 v0, 0x80000000, v0
	s_delay_alu instid0(VALU_DEP_1)
	v_or3_b32 v1, v2, v0, v1
.LBB446_190:                            ;   in Loop: Header=BB446_13 Depth=1
	s_or_b32 exec_lo, exec_lo, s23
.LBB446_191:                            ;   in Loop: Header=BB446_13 Depth=1
	s_delay_alu instid0(SALU_CYCLE_1)
	s_or_b32 exec_lo, exec_lo, s22
.LBB446_192:                            ;   in Loop: Header=BB446_13 Depth=1
	s_delay_alu instid0(SALU_CYCLE_1) | instskip(NEXT) | instid1(VALU_DEP_1)
	s_or_b32 exec_lo, exec_lo, s21
	v_mul_f32_e32 v0, v187, v1
                                        ; implicit-def: $vgpr12
	s_delay_alu instid0(VALU_DEP_1) | instskip(NEXT) | instid1(VALU_DEP_1)
	v_and_b32_e32 v1, 0x7f800000, v0
	v_cmp_ne_u32_e64 s1, 0x7f800000, v1
	s_delay_alu instid0(VALU_DEP_1) | instskip(NEXT) | instid1(SALU_CYCLE_1)
	s_and_saveexec_b32 s21, s1
	s_xor_b32 s1, exec_lo, s21
; %bb.193:                              ;   in Loop: Header=BB446_13 Depth=1
	v_bfe_u32 v1, v0, 16, 1
	s_delay_alu instid0(VALU_DEP_1)
	v_add3_u32 v12, v0, v1, 0x7fff
                                        ; implicit-def: $vgpr0
; %bb.194:                              ;   in Loop: Header=BB446_13 Depth=1
	s_and_not1_saveexec_b32 s21, s1
; %bb.195:                              ;   in Loop: Header=BB446_13 Depth=1
	v_and_b32_e32 v1, 0xffff, v0
	v_or_b32_e32 v2, 0x10000, v0
	s_delay_alu instid0(VALU_DEP_2) | instskip(NEXT) | instid1(VALU_DEP_1)
	v_cmp_eq_u32_e64 s1, 0, v1
	v_cndmask_b32_e64 v12, v2, v0, s1
; %bb.196:                              ;   in Loop: Header=BB446_13 Depth=1
	s_or_b32 exec_lo, exec_lo, s21
	v_mov_b32_e32 v1, 0
	s_mov_b32 s21, exec_lo
	v_cmpx_lt_u64_e64 s[16:17], v[33:34]
	s_cbranch_execz .LBB446_204
; %bb.197:                              ;   in Loop: Header=BB446_13 Depth=1
	v_lshrrev_b32_e32 v0, 24, v34
	v_bfrev_b32_e32 v1, 1
	s_mov_b32 s22, exec_lo
	s_delay_alu instid0(VALU_DEP_2)
	v_cmpx_ne_u32_e32 0x80, v0
	s_cbranch_execz .LBB446_203
; %bb.198:                              ;   in Loop: Header=BB446_13 Depth=1
	v_bfe_u32 v2, v34, 24, 7
	v_mov_b32_e32 v1, 0x7f800001
	s_mov_b32 s23, exec_lo
	s_delay_alu instid0(VALU_DEP_2)
	v_cmpx_ne_u32_e32 0x7f, v2
	s_cbranch_execz .LBB446_202
; %bb.199:                              ;   in Loop: Header=BB446_13 Depth=1
	v_and_b32_e32 v19, 7, v0
	v_lshrrev_b32_e32 v1, 3, v2
	v_mov_b32_e32 v34, v20
	s_mov_b32 s24, exec_lo
	s_delay_alu instid0(VALU_DEP_3)
	v_mov_b32_e32 v33, v19
	v_cmpx_gt_u32_e32 8, v2
; %bb.200:                              ;   in Loop: Header=BB446_13 Depth=1
	v_clz_i32_u32_e32 v1, v19
	s_delay_alu instid0(VALU_DEP_1) | instskip(NEXT) | instid1(VALU_DEP_1)
	v_min_u32_e32 v1, 32, v1
	v_subrev_nc_u32_e32 v2, 28, v1
	v_sub_nc_u32_e32 v1, 29, v1
	s_delay_alu instid0(VALU_DEP_2) | instskip(NEXT) | instid1(VALU_DEP_1)
	v_lshlrev_b64 v[2:3], v2, v[19:20]
	v_and_b32_e32 v33, 7, v2
; %bb.201:                              ;   in Loop: Header=BB446_13 Depth=1
	s_or_b32 exec_lo, exec_lo, s24
	v_lshlrev_b32_e32 v0, 24, v0
	s_delay_alu instid0(VALU_DEP_2) | instskip(SKIP_1) | instid1(VALU_DEP_3)
	v_lshlrev_b32_e32 v2, 20, v33
	v_lshl_add_u32 v1, v1, 23, 0x3c000000
	v_and_b32_e32 v0, 0x80000000, v0
	s_delay_alu instid0(VALU_DEP_1)
	v_or3_b32 v1, v2, v0, v1
.LBB446_202:                            ;   in Loop: Header=BB446_13 Depth=1
	s_or_b32 exec_lo, exec_lo, s23
.LBB446_203:                            ;   in Loop: Header=BB446_13 Depth=1
	s_delay_alu instid0(SALU_CYCLE_1)
	s_or_b32 exec_lo, exec_lo, s22
.LBB446_204:                            ;   in Loop: Header=BB446_13 Depth=1
	s_delay_alu instid0(SALU_CYCLE_1) | instskip(NEXT) | instid1(VALU_DEP_1)
	s_or_b32 exec_lo, exec_lo, s21
	v_mul_f32_e32 v0, v187, v1
                                        ; implicit-def: $vgpr39
	s_delay_alu instid0(VALU_DEP_1) | instskip(NEXT) | instid1(VALU_DEP_1)
	v_and_b32_e32 v1, 0x7f800000, v0
	v_cmp_ne_u32_e64 s1, 0x7f800000, v1
	s_delay_alu instid0(VALU_DEP_1) | instskip(NEXT) | instid1(SALU_CYCLE_1)
	s_and_saveexec_b32 s21, s1
	s_xor_b32 s1, exec_lo, s21
; %bb.205:                              ;   in Loop: Header=BB446_13 Depth=1
	v_bfe_u32 v1, v0, 16, 1
	s_delay_alu instid0(VALU_DEP_1)
	v_add3_u32 v39, v0, v1, 0x7fff
                                        ; implicit-def: $vgpr0
; %bb.206:                              ;   in Loop: Header=BB446_13 Depth=1
	s_and_not1_saveexec_b32 s21, s1
; %bb.207:                              ;   in Loop: Header=BB446_13 Depth=1
	v_and_b32_e32 v1, 0xffff, v0
	v_or_b32_e32 v2, 0x10000, v0
	s_delay_alu instid0(VALU_DEP_2) | instskip(NEXT) | instid1(VALU_DEP_1)
	v_cmp_eq_u32_e64 s1, 0, v1
	v_cndmask_b32_e64 v39, v2, v0, s1
; %bb.208:                              ;   in Loop: Header=BB446_13 Depth=1
	s_or_b32 exec_lo, exec_lo, s21
	flat_load_b64 v[33:34], v[31:32] offset:512
	s_mov_b32 s21, exec_lo
	s_waitcnt vmcnt(0) lgkmcnt(0)
	v_dual_mov_b32 v0, 0 :: v_dual_and_b32 v1, 0xff, v33
	s_delay_alu instid0(VALU_DEP_1)
	v_cmpx_ne_u16_e32 0, v1
	s_cbranch_execz .LBB446_216
; %bb.209:                              ;   in Loop: Header=BB446_13 Depth=1
	v_bfrev_b32_e32 v0, 1
	s_mov_b32 s22, exec_lo
	v_cmpx_ne_u16_e32 0x80, v1
	s_cbranch_execz .LBB446_215
; %bb.210:                              ;   in Loop: Header=BB446_13 Depth=1
	v_and_b32_e32 v1, 0x7f, v33
	v_mov_b32_e32 v0, 0x7f800001
	s_mov_b32 s23, exec_lo
	s_delay_alu instid0(VALU_DEP_2)
	v_cmpx_ne_u32_e32 0x7f, v1
	s_cbranch_execz .LBB446_214
; %bb.211:                              ;   in Loop: Header=BB446_13 Depth=1
	v_lshrrev_b32_e32 v0, 3, v1
	v_dual_mov_b32 v36, v34 :: v_dual_mov_b32 v35, v33
	s_mov_b32 s24, exec_lo
	v_cmpx_gt_u32_e32 8, v1
; %bb.212:                              ;   in Loop: Header=BB446_13 Depth=1
	v_and_b32_e32 v0, 7, v33
	s_delay_alu instid0(VALU_DEP_1) | instskip(NEXT) | instid1(VALU_DEP_1)
	v_clz_i32_u32_e32 v0, v0
	v_min_u32_e32 v0, 32, v0
	s_delay_alu instid0(VALU_DEP_1) | instskip(SKIP_1) | instid1(VALU_DEP_2)
	v_subrev_nc_u32_e32 v1, 28, v0
	v_sub_nc_u32_e32 v0, 29, v0
	v_lshlrev_b64 v[35:36], v1, v[33:34]
; %bb.213:                              ;   in Loop: Header=BB446_13 Depth=1
	s_or_b32 exec_lo, exec_lo, s24
	s_delay_alu instid0(VALU_DEP_1) | instskip(SKIP_2) | instid1(VALU_DEP_3)
	v_lshlrev_b32_e32 v1, 20, v35
	v_lshlrev_b32_e32 v2, 24, v33
	v_lshl_add_u32 v0, v0, 23, 0x3c000000
	v_and_b32_e32 v1, 0x700000, v1
	s_delay_alu instid0(VALU_DEP_3) | instskip(NEXT) | instid1(VALU_DEP_1)
	v_and_b32_e32 v2, 0x80000000, v2
	v_or3_b32 v0, v1, v2, v0
.LBB446_214:                            ;   in Loop: Header=BB446_13 Depth=1
	s_or_b32 exec_lo, exec_lo, s23
.LBB446_215:                            ;   in Loop: Header=BB446_13 Depth=1
	s_delay_alu instid0(SALU_CYCLE_1)
	s_or_b32 exec_lo, exec_lo, s22
.LBB446_216:                            ;   in Loop: Header=BB446_13 Depth=1
	s_delay_alu instid0(SALU_CYCLE_1) | instskip(NEXT) | instid1(VALU_DEP_1)
	s_or_b32 exec_lo, exec_lo, s21
	v_mul_f32_e32 v0, v187, v0
                                        ; implicit-def: $vgpr37
	s_delay_alu instid0(VALU_DEP_1) | instskip(NEXT) | instid1(VALU_DEP_1)
	v_and_b32_e32 v1, 0x7f800000, v0
	v_cmp_ne_u32_e64 s1, 0x7f800000, v1
	s_delay_alu instid0(VALU_DEP_1) | instskip(NEXT) | instid1(SALU_CYCLE_1)
	s_and_saveexec_b32 s21, s1
	s_xor_b32 s1, exec_lo, s21
; %bb.217:                              ;   in Loop: Header=BB446_13 Depth=1
	v_bfe_u32 v1, v0, 16, 1
	s_delay_alu instid0(VALU_DEP_1)
	v_add3_u32 v37, v0, v1, 0x7fff
                                        ; implicit-def: $vgpr0
; %bb.218:                              ;   in Loop: Header=BB446_13 Depth=1
	s_and_not1_saveexec_b32 s21, s1
; %bb.219:                              ;   in Loop: Header=BB446_13 Depth=1
	v_and_b32_e32 v1, 0xffff, v0
	v_or_b32_e32 v2, 0x10000, v0
	s_delay_alu instid0(VALU_DEP_2) | instskip(NEXT) | instid1(VALU_DEP_1)
	v_cmp_eq_u32_e64 s1, 0, v1
	v_cndmask_b32_e64 v37, v2, v0, s1
; %bb.220:                              ;   in Loop: Header=BB446_13 Depth=1
	s_or_b32 exec_lo, exec_lo, s21
	v_lshrrev_b16 v1, 8, v33
	v_mov_b32_e32 v0, 0
	s_mov_b32 s21, exec_lo
	s_delay_alu instid0(VALU_DEP_2)
	v_cmpx_ne_u16_e32 0, v1
	s_cbranch_execz .LBB446_228
; %bb.221:                              ;   in Loop: Header=BB446_13 Depth=1
	v_bfrev_b32_e32 v0, 1
	s_mov_b32 s22, exec_lo
	v_cmpx_ne_u16_e32 0x80, v1
	s_cbranch_execz .LBB446_227
; %bb.222:                              ;   in Loop: Header=BB446_13 Depth=1
	v_and_b32_e32 v2, 0xffff, v1
	v_mov_b32_e32 v0, 0x7f800001
	s_mov_b32 s23, exec_lo
	s_delay_alu instid0(VALU_DEP_2) | instskip(NEXT) | instid1(VALU_DEP_1)
	v_and_b32_e32 v1, 0x7f, v2
	v_cmpx_ne_u32_e32 0x7f, v1
	s_cbranch_execz .LBB446_226
; %bb.223:                              ;   in Loop: Header=BB446_13 Depth=1
	v_and_b32_e32 v19, 7, v2
	v_lshrrev_b32_e32 v0, 3, v1
	v_mov_b32_e32 v36, v20
	s_mov_b32 s24, exec_lo
	s_delay_alu instid0(VALU_DEP_3)
	v_mov_b32_e32 v35, v19
	v_cmpx_gt_u32_e32 8, v1
; %bb.224:                              ;   in Loop: Header=BB446_13 Depth=1
	v_clz_i32_u32_e32 v0, v19
	s_delay_alu instid0(VALU_DEP_1) | instskip(NEXT) | instid1(VALU_DEP_1)
	v_min_u32_e32 v0, 32, v0
	v_subrev_nc_u32_e32 v1, 28, v0
	v_sub_nc_u32_e32 v0, 29, v0
	s_delay_alu instid0(VALU_DEP_2) | instskip(NEXT) | instid1(VALU_DEP_1)
	v_lshlrev_b64 v[1:2], v1, v[19:20]
	v_and_b32_e32 v35, 7, v1
; %bb.225:                              ;   in Loop: Header=BB446_13 Depth=1
	s_or_b32 exec_lo, exec_lo, s24
	v_lshlrev_b32_e32 v1, 16, v33
	s_delay_alu instid0(VALU_DEP_2) | instskip(SKIP_1) | instid1(VALU_DEP_3)
	v_lshlrev_b32_e32 v2, 20, v35
	v_lshl_add_u32 v0, v0, 23, 0x3c000000
	v_and_b32_e32 v1, 0x80000000, v1
	s_delay_alu instid0(VALU_DEP_1)
	v_or3_b32 v0, v2, v1, v0
.LBB446_226:                            ;   in Loop: Header=BB446_13 Depth=1
	s_or_b32 exec_lo, exec_lo, s23
.LBB446_227:                            ;   in Loop: Header=BB446_13 Depth=1
	s_delay_alu instid0(SALU_CYCLE_1)
	s_or_b32 exec_lo, exec_lo, s22
.LBB446_228:                            ;   in Loop: Header=BB446_13 Depth=1
	s_delay_alu instid0(SALU_CYCLE_1) | instskip(NEXT) | instid1(VALU_DEP_1)
	s_or_b32 exec_lo, exec_lo, s21
	v_mul_f32_e32 v0, v187, v0
                                        ; implicit-def: $vgpr55
	s_delay_alu instid0(VALU_DEP_1) | instskip(NEXT) | instid1(VALU_DEP_1)
	v_and_b32_e32 v1, 0x7f800000, v0
	v_cmp_ne_u32_e64 s1, 0x7f800000, v1
	s_delay_alu instid0(VALU_DEP_1) | instskip(NEXT) | instid1(SALU_CYCLE_1)
	s_and_saveexec_b32 s21, s1
	s_xor_b32 s1, exec_lo, s21
; %bb.229:                              ;   in Loop: Header=BB446_13 Depth=1
	v_bfe_u32 v1, v0, 16, 1
	s_delay_alu instid0(VALU_DEP_1)
	v_add3_u32 v55, v0, v1, 0x7fff
                                        ; implicit-def: $vgpr0
; %bb.230:                              ;   in Loop: Header=BB446_13 Depth=1
	s_and_not1_saveexec_b32 s21, s1
; %bb.231:                              ;   in Loop: Header=BB446_13 Depth=1
	v_and_b32_e32 v1, 0xffff, v0
	v_or_b32_e32 v2, 0x10000, v0
	s_delay_alu instid0(VALU_DEP_2) | instskip(NEXT) | instid1(VALU_DEP_1)
	v_cmp_eq_u32_e64 s1, 0, v1
	v_cndmask_b32_e64 v55, v2, v0, s1
; %bb.232:                              ;   in Loop: Header=BB446_13 Depth=1
	s_or_b32 exec_lo, exec_lo, s21
	v_lshrrev_b32_e32 v0, 16, v33
	s_mov_b32 s21, exec_lo
	s_delay_alu instid0(VALU_DEP_1) | instskip(NEXT) | instid1(VALU_DEP_1)
	v_dual_mov_b32 v1, 0 :: v_dual_and_b32 v2, 0xff, v0
	v_cmpx_ne_u16_e32 0, v2
	s_cbranch_execz .LBB446_240
; %bb.233:                              ;   in Loop: Header=BB446_13 Depth=1
	v_bfrev_b32_e32 v1, 1
	s_mov_b32 s22, exec_lo
	v_cmpx_ne_u16_e32 0x80, v2
	s_cbranch_execz .LBB446_239
; %bb.234:                              ;   in Loop: Header=BB446_13 Depth=1
	v_bfe_u32 v2, v33, 16, 7
	v_mov_b32_e32 v1, 0x7f800001
	s_mov_b32 s23, exec_lo
	s_delay_alu instid0(VALU_DEP_2)
	v_cmpx_ne_u32_e32 0x7f, v2
	s_cbranch_execz .LBB446_238
; %bb.235:                              ;   in Loop: Header=BB446_13 Depth=1
	v_and_b32_e32 v19, 7, v0
	v_lshrrev_b32_e32 v1, 3, v2
	v_mov_b32_e32 v36, v20
	s_mov_b32 s24, exec_lo
	s_delay_alu instid0(VALU_DEP_3)
	v_mov_b32_e32 v35, v19
	v_cmpx_gt_u32_e32 8, v2
; %bb.236:                              ;   in Loop: Header=BB446_13 Depth=1
	v_clz_i32_u32_e32 v1, v19
	s_delay_alu instid0(VALU_DEP_1) | instskip(NEXT) | instid1(VALU_DEP_1)
	v_min_u32_e32 v1, 32, v1
	v_subrev_nc_u32_e32 v2, 28, v1
	v_sub_nc_u32_e32 v1, 29, v1
	s_delay_alu instid0(VALU_DEP_2) | instskip(NEXT) | instid1(VALU_DEP_1)
	v_lshlrev_b64 v[2:3], v2, v[19:20]
	v_and_b32_e32 v35, 7, v2
; %bb.237:                              ;   in Loop: Header=BB446_13 Depth=1
	s_or_b32 exec_lo, exec_lo, s24
	v_lshlrev_b32_e32 v0, 24, v0
	s_delay_alu instid0(VALU_DEP_2) | instskip(SKIP_1) | instid1(VALU_DEP_3)
	v_lshlrev_b32_e32 v2, 20, v35
	v_lshl_add_u32 v1, v1, 23, 0x3c000000
	v_and_b32_e32 v0, 0x80000000, v0
	s_delay_alu instid0(VALU_DEP_1)
	v_or3_b32 v1, v2, v0, v1
.LBB446_238:                            ;   in Loop: Header=BB446_13 Depth=1
	s_or_b32 exec_lo, exec_lo, s23
.LBB446_239:                            ;   in Loop: Header=BB446_13 Depth=1
	s_delay_alu instid0(SALU_CYCLE_1)
	s_or_b32 exec_lo, exec_lo, s22
.LBB446_240:                            ;   in Loop: Header=BB446_13 Depth=1
	s_delay_alu instid0(SALU_CYCLE_1) | instskip(NEXT) | instid1(VALU_DEP_1)
	s_or_b32 exec_lo, exec_lo, s21
	v_mul_f32_e32 v0, v187, v1
                                        ; implicit-def: $vgpr11
	s_delay_alu instid0(VALU_DEP_1) | instskip(NEXT) | instid1(VALU_DEP_1)
	v_and_b32_e32 v1, 0x7f800000, v0
	v_cmp_ne_u32_e64 s1, 0x7f800000, v1
	s_delay_alu instid0(VALU_DEP_1) | instskip(NEXT) | instid1(SALU_CYCLE_1)
	s_and_saveexec_b32 s21, s1
	s_xor_b32 s1, exec_lo, s21
; %bb.241:                              ;   in Loop: Header=BB446_13 Depth=1
	v_bfe_u32 v1, v0, 16, 1
	s_delay_alu instid0(VALU_DEP_1)
	v_add3_u32 v11, v0, v1, 0x7fff
                                        ; implicit-def: $vgpr0
; %bb.242:                              ;   in Loop: Header=BB446_13 Depth=1
	s_and_not1_saveexec_b32 s21, s1
; %bb.243:                              ;   in Loop: Header=BB446_13 Depth=1
	v_and_b32_e32 v1, 0xffff, v0
	v_or_b32_e32 v2, 0x10000, v0
	s_delay_alu instid0(VALU_DEP_2) | instskip(NEXT) | instid1(VALU_DEP_1)
	v_cmp_eq_u32_e64 s1, 0, v1
	v_cndmask_b32_e64 v11, v2, v0, s1
; %bb.244:                              ;   in Loop: Header=BB446_13 Depth=1
	s_or_b32 exec_lo, exec_lo, s21
	v_mov_b32_e32 v1, 0
	s_mov_b32 s21, exec_lo
	v_cmpx_lt_u32_e32 0xffffff, v33
	s_cbranch_execz .LBB446_252
; %bb.245:                              ;   in Loop: Header=BB446_13 Depth=1
	v_lshrrev_b32_e32 v0, 24, v33
	v_bfrev_b32_e32 v1, 1
	s_mov_b32 s22, exec_lo
	s_delay_alu instid0(VALU_DEP_2)
	v_cmpx_ne_u32_e32 0x80, v0
	s_cbranch_execz .LBB446_251
; %bb.246:                              ;   in Loop: Header=BB446_13 Depth=1
	v_bfe_u32 v2, v33, 24, 7
	v_mov_b32_e32 v1, 0x7f800001
	s_mov_b32 s23, exec_lo
	s_delay_alu instid0(VALU_DEP_2)
	v_cmpx_ne_u32_e32 0x7f, v2
	s_cbranch_execz .LBB446_250
; %bb.247:                              ;   in Loop: Header=BB446_13 Depth=1
	v_and_b32_e32 v19, 7, v0
	v_lshrrev_b32_e32 v1, 3, v2
	v_mov_b32_e32 v36, v20
	s_mov_b32 s24, exec_lo
	s_delay_alu instid0(VALU_DEP_3)
	v_mov_b32_e32 v35, v19
	v_cmpx_gt_u32_e32 8, v2
; %bb.248:                              ;   in Loop: Header=BB446_13 Depth=1
	v_clz_i32_u32_e32 v1, v19
	s_delay_alu instid0(VALU_DEP_1) | instskip(NEXT) | instid1(VALU_DEP_1)
	v_min_u32_e32 v1, 32, v1
	v_subrev_nc_u32_e32 v2, 28, v1
	v_sub_nc_u32_e32 v1, 29, v1
	s_delay_alu instid0(VALU_DEP_2) | instskip(NEXT) | instid1(VALU_DEP_1)
	v_lshlrev_b64 v[2:3], v2, v[19:20]
	v_and_b32_e32 v35, 7, v2
; %bb.249:                              ;   in Loop: Header=BB446_13 Depth=1
	s_or_b32 exec_lo, exec_lo, s24
	v_lshlrev_b32_e32 v0, 24, v0
	s_delay_alu instid0(VALU_DEP_2) | instskip(SKIP_1) | instid1(VALU_DEP_3)
	v_lshlrev_b32_e32 v2, 20, v35
	v_lshl_add_u32 v1, v1, 23, 0x3c000000
	v_and_b32_e32 v0, 0x80000000, v0
	s_delay_alu instid0(VALU_DEP_1)
	v_or3_b32 v1, v2, v0, v1
.LBB446_250:                            ;   in Loop: Header=BB446_13 Depth=1
	s_or_b32 exec_lo, exec_lo, s23
.LBB446_251:                            ;   in Loop: Header=BB446_13 Depth=1
	s_delay_alu instid0(SALU_CYCLE_1)
	s_or_b32 exec_lo, exec_lo, s22
.LBB446_252:                            ;   in Loop: Header=BB446_13 Depth=1
	s_delay_alu instid0(SALU_CYCLE_1) | instskip(NEXT) | instid1(VALU_DEP_1)
	s_or_b32 exec_lo, exec_lo, s21
	v_mul_f32_e32 v0, v187, v1
                                        ; implicit-def: $vgpr10
	s_delay_alu instid0(VALU_DEP_1) | instskip(NEXT) | instid1(VALU_DEP_1)
	v_and_b32_e32 v1, 0x7f800000, v0
	v_cmp_ne_u32_e64 s1, 0x7f800000, v1
	s_delay_alu instid0(VALU_DEP_1) | instskip(NEXT) | instid1(SALU_CYCLE_1)
	s_and_saveexec_b32 s21, s1
	s_xor_b32 s1, exec_lo, s21
; %bb.253:                              ;   in Loop: Header=BB446_13 Depth=1
	v_bfe_u32 v1, v0, 16, 1
	s_delay_alu instid0(VALU_DEP_1)
	v_add3_u32 v10, v0, v1, 0x7fff
                                        ; implicit-def: $vgpr0
; %bb.254:                              ;   in Loop: Header=BB446_13 Depth=1
	s_and_not1_saveexec_b32 s21, s1
; %bb.255:                              ;   in Loop: Header=BB446_13 Depth=1
	v_and_b32_e32 v1, 0xffff, v0
	v_or_b32_e32 v2, 0x10000, v0
	s_delay_alu instid0(VALU_DEP_2) | instskip(NEXT) | instid1(VALU_DEP_1)
	v_cmp_eq_u32_e64 s1, 0, v1
	v_cndmask_b32_e64 v10, v2, v0, s1
; %bb.256:                              ;   in Loop: Header=BB446_13 Depth=1
	s_or_b32 exec_lo, exec_lo, s21
	v_dual_mov_b32 v0, 0 :: v_dual_and_b32 v1, 0xff, v34
	v_mov_b32_e32 v19, v34
	s_mov_b32 s21, exec_lo
	s_delay_alu instid0(VALU_DEP_2)
	v_cmpx_ne_u16_e32 0, v1
	s_cbranch_execz .LBB446_264
; %bb.257:                              ;   in Loop: Header=BB446_13 Depth=1
	v_bfrev_b32_e32 v0, 1
	s_mov_b32 s22, exec_lo
	v_cmpx_ne_u16_e32 0x80, v1
	s_cbranch_execz .LBB446_263
; %bb.258:                              ;   in Loop: Header=BB446_13 Depth=1
	v_and_b32_e32 v1, 0x7f, v34
	v_mov_b32_e32 v0, 0x7f800001
	s_mov_b32 s23, exec_lo
	s_delay_alu instid0(VALU_DEP_2)
	v_cmpx_ne_u32_e32 0x7f, v1
	s_cbranch_execz .LBB446_262
; %bb.259:                              ;   in Loop: Header=BB446_13 Depth=1
	v_lshrrev_b32_e32 v0, 3, v1
	v_dual_mov_b32 v36, v20 :: v_dual_mov_b32 v35, v19
	s_mov_b32 s24, exec_lo
	v_cmpx_gt_u32_e32 8, v1
; %bb.260:                              ;   in Loop: Header=BB446_13 Depth=1
	v_and_b32_e32 v0, 7, v34
	s_delay_alu instid0(VALU_DEP_1) | instskip(NEXT) | instid1(VALU_DEP_1)
	v_clz_i32_u32_e32 v0, v0
	v_min_u32_e32 v0, 32, v0
	s_delay_alu instid0(VALU_DEP_1) | instskip(SKIP_1) | instid1(VALU_DEP_2)
	v_subrev_nc_u32_e32 v1, 28, v0
	v_sub_nc_u32_e32 v0, 29, v0
	v_lshlrev_b64 v[35:36], v1, v[19:20]
; %bb.261:                              ;   in Loop: Header=BB446_13 Depth=1
	s_or_b32 exec_lo, exec_lo, s24
	s_delay_alu instid0(VALU_DEP_1) | instskip(SKIP_2) | instid1(VALU_DEP_3)
	v_lshlrev_b32_e32 v1, 20, v35
	v_lshlrev_b32_e32 v2, 24, v19
	v_lshl_add_u32 v0, v0, 23, 0x3c000000
	v_and_b32_e32 v1, 0x700000, v1
	s_delay_alu instid0(VALU_DEP_3) | instskip(NEXT) | instid1(VALU_DEP_1)
	v_and_b32_e32 v2, 0x80000000, v2
	v_or3_b32 v0, v1, v2, v0
.LBB446_262:                            ;   in Loop: Header=BB446_13 Depth=1
	s_or_b32 exec_lo, exec_lo, s23
.LBB446_263:                            ;   in Loop: Header=BB446_13 Depth=1
	s_delay_alu instid0(SALU_CYCLE_1)
	s_or_b32 exec_lo, exec_lo, s22
.LBB446_264:                            ;   in Loop: Header=BB446_13 Depth=1
	s_delay_alu instid0(SALU_CYCLE_1) | instskip(NEXT) | instid1(VALU_DEP_1)
	s_or_b32 exec_lo, exec_lo, s21
	v_mul_f32_e32 v0, v187, v0
	s_delay_alu instid0(VALU_DEP_1) | instskip(NEXT) | instid1(VALU_DEP_1)
	v_and_b32_e32 v1, 0x7f800000, v0
	v_cmp_ne_u32_e64 s1, 0x7f800000, v1
                                        ; implicit-def: $vgpr1
	s_delay_alu instid0(VALU_DEP_1) | instskip(NEXT) | instid1(SALU_CYCLE_1)
	s_and_saveexec_b32 s21, s1
	s_xor_b32 s1, exec_lo, s21
; %bb.265:                              ;   in Loop: Header=BB446_13 Depth=1
	v_bfe_u32 v1, v0, 16, 1
	s_delay_alu instid0(VALU_DEP_1)
	v_add3_u32 v1, v0, v1, 0x7fff
                                        ; implicit-def: $vgpr0
; %bb.266:                              ;   in Loop: Header=BB446_13 Depth=1
	s_and_not1_saveexec_b32 s21, s1
; %bb.267:                              ;   in Loop: Header=BB446_13 Depth=1
	v_and_b32_e32 v1, 0xffff, v0
	v_or_b32_e32 v2, 0x10000, v0
	s_delay_alu instid0(VALU_DEP_2) | instskip(NEXT) | instid1(VALU_DEP_1)
	v_cmp_eq_u32_e64 s1, 0, v1
	v_cndmask_b32_e64 v1, v2, v0, s1
; %bb.268:                              ;   in Loop: Header=BB446_13 Depth=1
	s_or_b32 exec_lo, exec_lo, s21
	v_lshrrev_b16 v2, 8, v19
	v_mov_b32_e32 v0, 0
	s_mov_b32 s21, exec_lo
	s_delay_alu instid0(VALU_DEP_2)
	v_cmpx_ne_u16_e32 0, v2
	s_cbranch_execz .LBB446_276
; %bb.269:                              ;   in Loop: Header=BB446_13 Depth=1
	v_bfrev_b32_e32 v0, 1
	s_mov_b32 s22, exec_lo
	v_cmpx_ne_u16_e32 0x80, v2
	s_cbranch_execz .LBB446_275
; %bb.270:                              ;   in Loop: Header=BB446_13 Depth=1
	v_and_b32_e32 v3, 0xffff, v2
	v_mov_b32_e32 v0, 0x7f800001
	s_mov_b32 s23, exec_lo
	s_delay_alu instid0(VALU_DEP_2) | instskip(NEXT) | instid1(VALU_DEP_1)
	v_and_b32_e32 v2, 0x7f, v3
	v_cmpx_ne_u32_e32 0x7f, v2
	s_cbranch_execz .LBB446_274
; %bb.271:                              ;   in Loop: Header=BB446_13 Depth=1
	v_dual_mov_b32 v36, v20 :: v_dual_and_b32 v35, 7, v3
	v_lshrrev_b32_e32 v0, 3, v2
	s_mov_b32 s24, exec_lo
	v_cmpx_gt_u32_e32 8, v2
; %bb.272:                              ;   in Loop: Header=BB446_13 Depth=1
	s_delay_alu instid0(VALU_DEP_3) | instskip(NEXT) | instid1(VALU_DEP_1)
	v_clz_i32_u32_e32 v0, v35
	v_min_u32_e32 v0, 32, v0
	s_delay_alu instid0(VALU_DEP_1) | instskip(SKIP_1) | instid1(VALU_DEP_2)
	v_subrev_nc_u32_e32 v2, 28, v0
	v_sub_nc_u32_e32 v0, 29, v0
	v_lshlrev_b64 v[2:3], v2, v[35:36]
	s_delay_alu instid0(VALU_DEP_1)
	v_and_b32_e32 v35, 7, v2
; %bb.273:                              ;   in Loop: Header=BB446_13 Depth=1
	s_or_b32 exec_lo, exec_lo, s24
	v_lshlrev_b32_e32 v2, 16, v19
	s_delay_alu instid0(VALU_DEP_2) | instskip(SKIP_1) | instid1(VALU_DEP_3)
	v_lshlrev_b32_e32 v3, 20, v35
	v_lshl_add_u32 v0, v0, 23, 0x3c000000
	v_and_b32_e32 v2, 0x80000000, v2
	s_delay_alu instid0(VALU_DEP_1)
	v_or3_b32 v0, v3, v2, v0
.LBB446_274:                            ;   in Loop: Header=BB446_13 Depth=1
	s_or_b32 exec_lo, exec_lo, s23
.LBB446_275:                            ;   in Loop: Header=BB446_13 Depth=1
	s_delay_alu instid0(SALU_CYCLE_1)
	s_or_b32 exec_lo, exec_lo, s22
.LBB446_276:                            ;   in Loop: Header=BB446_13 Depth=1
	s_delay_alu instid0(SALU_CYCLE_1) | instskip(NEXT) | instid1(VALU_DEP_1)
	s_or_b32 exec_lo, exec_lo, s21
	v_mul_f32_e32 v2, v187, v0
	s_delay_alu instid0(VALU_DEP_1) | instskip(NEXT) | instid1(VALU_DEP_1)
	v_and_b32_e32 v0, 0x7f800000, v2
	v_cmp_ne_u32_e64 s1, 0x7f800000, v0
                                        ; implicit-def: $vgpr0
	s_delay_alu instid0(VALU_DEP_1) | instskip(NEXT) | instid1(SALU_CYCLE_1)
	s_and_saveexec_b32 s21, s1
	s_xor_b32 s1, exec_lo, s21
; %bb.277:                              ;   in Loop: Header=BB446_13 Depth=1
	v_bfe_u32 v0, v2, 16, 1
	s_delay_alu instid0(VALU_DEP_1)
	v_add3_u32 v0, v2, v0, 0x7fff
                                        ; implicit-def: $vgpr2
; %bb.278:                              ;   in Loop: Header=BB446_13 Depth=1
	s_and_not1_saveexec_b32 s21, s1
; %bb.279:                              ;   in Loop: Header=BB446_13 Depth=1
	v_and_b32_e32 v0, 0xffff, v2
	v_or_b32_e32 v3, 0x10000, v2
	s_delay_alu instid0(VALU_DEP_2) | instskip(NEXT) | instid1(VALU_DEP_1)
	v_cmp_eq_u32_e64 s1, 0, v0
	v_cndmask_b32_e64 v0, v3, v2, s1
; %bb.280:                              ;   in Loop: Header=BB446_13 Depth=1
	s_or_b32 exec_lo, exec_lo, s21
	v_lshrrev_b32_e32 v2, 16, v34
	s_mov_b32 s21, exec_lo
	s_delay_alu instid0(VALU_DEP_1) | instskip(NEXT) | instid1(VALU_DEP_1)
	v_dual_mov_b32 v3, 0 :: v_dual_and_b32 v14, 0xff, v2
	v_cmpx_ne_u16_e32 0, v14
	s_cbranch_execz .LBB446_288
; %bb.281:                              ;   in Loop: Header=BB446_13 Depth=1
	v_bfrev_b32_e32 v3, 1
	s_mov_b32 s22, exec_lo
	v_cmpx_ne_u16_e32 0x80, v14
	s_cbranch_execz .LBB446_287
; %bb.282:                              ;   in Loop: Header=BB446_13 Depth=1
	v_bfe_u32 v14, v34, 16, 7
	v_mov_b32_e32 v3, 0x7f800001
	s_mov_b32 s23, exec_lo
	s_delay_alu instid0(VALU_DEP_2)
	v_cmpx_ne_u32_e32 0x7f, v14
	s_cbranch_execz .LBB446_286
; %bb.283:                              ;   in Loop: Header=BB446_13 Depth=1
	v_and_b32_e32 v19, 7, v2
	v_lshrrev_b32_e32 v3, 3, v14
	v_mov_b32_e32 v36, v20
	s_mov_b32 s24, exec_lo
	s_delay_alu instid0(VALU_DEP_3)
	v_mov_b32_e32 v35, v19
	v_cmpx_gt_u32_e32 8, v14
; %bb.284:                              ;   in Loop: Header=BB446_13 Depth=1
	v_clz_i32_u32_e32 v3, v19
	s_delay_alu instid0(VALU_DEP_1) | instskip(NEXT) | instid1(VALU_DEP_1)
	v_min_u32_e32 v3, 32, v3
	v_subrev_nc_u32_e32 v14, 28, v3
	v_sub_nc_u32_e32 v3, 29, v3
	s_delay_alu instid0(VALU_DEP_2) | instskip(NEXT) | instid1(VALU_DEP_1)
	v_lshlrev_b64 v[14:15], v14, v[19:20]
	v_and_b32_e32 v35, 7, v14
; %bb.285:                              ;   in Loop: Header=BB446_13 Depth=1
	s_or_b32 exec_lo, exec_lo, s24
	v_lshlrev_b32_e32 v2, 24, v2
	s_delay_alu instid0(VALU_DEP_2) | instskip(SKIP_1) | instid1(VALU_DEP_3)
	v_lshlrev_b32_e32 v14, 20, v35
	v_lshl_add_u32 v3, v3, 23, 0x3c000000
	v_and_b32_e32 v2, 0x80000000, v2
	s_delay_alu instid0(VALU_DEP_1)
	v_or3_b32 v3, v14, v2, v3
.LBB446_286:                            ;   in Loop: Header=BB446_13 Depth=1
	s_or_b32 exec_lo, exec_lo, s23
.LBB446_287:                            ;   in Loop: Header=BB446_13 Depth=1
	s_delay_alu instid0(SALU_CYCLE_1)
	s_or_b32 exec_lo, exec_lo, s22
.LBB446_288:                            ;   in Loop: Header=BB446_13 Depth=1
	s_delay_alu instid0(SALU_CYCLE_1) | instskip(NEXT) | instid1(VALU_DEP_1)
	s_or_b32 exec_lo, exec_lo, s21
	v_mul_f32_e32 v2, v187, v3
	s_delay_alu instid0(VALU_DEP_1) | instskip(NEXT) | instid1(VALU_DEP_1)
	v_and_b32_e32 v3, 0x7f800000, v2
	v_cmp_ne_u32_e64 s1, 0x7f800000, v3
                                        ; implicit-def: $vgpr3
	s_delay_alu instid0(VALU_DEP_1) | instskip(NEXT) | instid1(SALU_CYCLE_1)
	s_and_saveexec_b32 s21, s1
	s_xor_b32 s1, exec_lo, s21
; %bb.289:                              ;   in Loop: Header=BB446_13 Depth=1
	v_bfe_u32 v3, v2, 16, 1
	s_delay_alu instid0(VALU_DEP_1)
	v_add3_u32 v3, v2, v3, 0x7fff
                                        ; implicit-def: $vgpr2
; %bb.290:                              ;   in Loop: Header=BB446_13 Depth=1
	s_and_not1_saveexec_b32 s21, s1
; %bb.291:                              ;   in Loop: Header=BB446_13 Depth=1
	v_and_b32_e32 v3, 0xffff, v2
	v_or_b32_e32 v14, 0x10000, v2
	s_delay_alu instid0(VALU_DEP_2) | instskip(NEXT) | instid1(VALU_DEP_1)
	v_cmp_eq_u32_e64 s1, 0, v3
	v_cndmask_b32_e64 v3, v14, v2, s1
; %bb.292:                              ;   in Loop: Header=BB446_13 Depth=1
	s_or_b32 exec_lo, exec_lo, s21
	v_mov_b32_e32 v14, 0
	s_mov_b32 s21, exec_lo
	v_cmpx_lt_u64_e64 s[16:17], v[33:34]
	s_cbranch_execz .LBB446_300
; %bb.293:                              ;   in Loop: Header=BB446_13 Depth=1
	v_lshrrev_b32_e32 v2, 24, v34
	v_bfrev_b32_e32 v14, 1
	s_mov_b32 s22, exec_lo
	s_delay_alu instid0(VALU_DEP_2)
	v_cmpx_ne_u32_e32 0x80, v2
	s_cbranch_execz .LBB446_299
; %bb.294:                              ;   in Loop: Header=BB446_13 Depth=1
	v_bfe_u32 v15, v34, 24, 7
	v_mov_b32_e32 v14, 0x7f800001
	s_mov_b32 s23, exec_lo
	s_delay_alu instid0(VALU_DEP_2)
	v_cmpx_ne_u32_e32 0x7f, v15
	s_cbranch_execz .LBB446_298
; %bb.295:                              ;   in Loop: Header=BB446_13 Depth=1
	v_and_b32_e32 v19, 7, v2
	v_lshrrev_b32_e32 v14, 3, v15
	v_mov_b32_e32 v34, v20
	s_mov_b32 s24, exec_lo
	s_delay_alu instid0(VALU_DEP_3)
	v_mov_b32_e32 v33, v19
	v_cmpx_gt_u32_e32 8, v15
; %bb.296:                              ;   in Loop: Header=BB446_13 Depth=1
	v_clz_i32_u32_e32 v14, v19
	s_delay_alu instid0(VALU_DEP_1) | instskip(NEXT) | instid1(VALU_DEP_1)
	v_min_u32_e32 v14, 32, v14
	v_subrev_nc_u32_e32 v15, 28, v14
	v_sub_nc_u32_e32 v14, 29, v14
	s_delay_alu instid0(VALU_DEP_2) | instskip(NEXT) | instid1(VALU_DEP_1)
	v_lshlrev_b64 v[33:34], v15, v[19:20]
	v_and_b32_e32 v33, 7, v33
; %bb.297:                              ;   in Loop: Header=BB446_13 Depth=1
	s_or_b32 exec_lo, exec_lo, s24
	v_lshlrev_b32_e32 v2, 24, v2
	s_delay_alu instid0(VALU_DEP_2) | instskip(SKIP_1) | instid1(VALU_DEP_3)
	v_lshlrev_b32_e32 v15, 20, v33
	v_lshl_add_u32 v14, v14, 23, 0x3c000000
	v_and_b32_e32 v2, 0x80000000, v2
	s_delay_alu instid0(VALU_DEP_1)
	v_or3_b32 v14, v15, v2, v14
.LBB446_298:                            ;   in Loop: Header=BB446_13 Depth=1
	s_or_b32 exec_lo, exec_lo, s23
.LBB446_299:                            ;   in Loop: Header=BB446_13 Depth=1
	s_delay_alu instid0(SALU_CYCLE_1)
	s_or_b32 exec_lo, exec_lo, s22
.LBB446_300:                            ;   in Loop: Header=BB446_13 Depth=1
	s_delay_alu instid0(SALU_CYCLE_1) | instskip(NEXT) | instid1(VALU_DEP_1)
	s_or_b32 exec_lo, exec_lo, s21
	v_mul_f32_e32 v14, v187, v14
	s_delay_alu instid0(VALU_DEP_1) | instskip(NEXT) | instid1(VALU_DEP_1)
	v_and_b32_e32 v2, 0x7f800000, v14
	v_cmp_ne_u32_e64 s1, 0x7f800000, v2
                                        ; implicit-def: $vgpr2
	s_delay_alu instid0(VALU_DEP_1) | instskip(NEXT) | instid1(SALU_CYCLE_1)
	s_and_saveexec_b32 s21, s1
	s_xor_b32 s1, exec_lo, s21
; %bb.301:                              ;   in Loop: Header=BB446_13 Depth=1
	v_bfe_u32 v2, v14, 16, 1
	s_delay_alu instid0(VALU_DEP_1)
	v_add3_u32 v2, v14, v2, 0x7fff
                                        ; implicit-def: $vgpr14
; %bb.302:                              ;   in Loop: Header=BB446_13 Depth=1
	s_and_not1_saveexec_b32 s21, s1
; %bb.303:                              ;   in Loop: Header=BB446_13 Depth=1
	v_and_b32_e32 v2, 0xffff, v14
	v_or_b32_e32 v15, 0x10000, v14
	s_delay_alu instid0(VALU_DEP_2) | instskip(NEXT) | instid1(VALU_DEP_1)
	v_cmp_eq_u32_e64 s1, 0, v2
	v_cndmask_b32_e64 v2, v15, v14, s1
; %bb.304:                              ;   in Loop: Header=BB446_13 Depth=1
	s_or_b32 exec_lo, exec_lo, s21
	flat_load_b64 v[33:34], v[31:32] offset:520
	s_mov_b32 s21, exec_lo
	s_waitcnt vmcnt(0) lgkmcnt(0)
	v_dual_mov_b32 v14, 0 :: v_dual_and_b32 v15, 0xff, v33
	s_delay_alu instid0(VALU_DEP_1)
	v_cmpx_ne_u16_e32 0, v15
	s_cbranch_execz .LBB446_312
; %bb.305:                              ;   in Loop: Header=BB446_13 Depth=1
	v_bfrev_b32_e32 v14, 1
	s_mov_b32 s22, exec_lo
	v_cmpx_ne_u16_e32 0x80, v15
	s_cbranch_execz .LBB446_311
; %bb.306:                              ;   in Loop: Header=BB446_13 Depth=1
	v_and_b32_e32 v15, 0x7f, v33
	v_mov_b32_e32 v14, 0x7f800001
	s_mov_b32 s23, exec_lo
	s_delay_alu instid0(VALU_DEP_2)
	v_cmpx_ne_u32_e32 0x7f, v15
	s_cbranch_execz .LBB446_310
; %bb.307:                              ;   in Loop: Header=BB446_13 Depth=1
	v_lshrrev_b32_e32 v14, 3, v15
	v_dual_mov_b32 v36, v34 :: v_dual_mov_b32 v35, v33
	s_mov_b32 s24, exec_lo
	v_cmpx_gt_u32_e32 8, v15
; %bb.308:                              ;   in Loop: Header=BB446_13 Depth=1
	v_and_b32_e32 v14, 7, v33
	s_delay_alu instid0(VALU_DEP_1) | instskip(NEXT) | instid1(VALU_DEP_1)
	v_clz_i32_u32_e32 v14, v14
	v_min_u32_e32 v14, 32, v14
	s_delay_alu instid0(VALU_DEP_1) | instskip(SKIP_1) | instid1(VALU_DEP_2)
	v_subrev_nc_u32_e32 v15, 28, v14
	v_sub_nc_u32_e32 v14, 29, v14
	v_lshlrev_b64 v[35:36], v15, v[33:34]
; %bb.309:                              ;   in Loop: Header=BB446_13 Depth=1
	s_or_b32 exec_lo, exec_lo, s24
	s_delay_alu instid0(VALU_DEP_1) | instskip(SKIP_2) | instid1(VALU_DEP_3)
	v_lshlrev_b32_e32 v15, 20, v35
	v_lshlrev_b32_e32 v19, 24, v33
	v_lshl_add_u32 v14, v14, 23, 0x3c000000
	v_and_b32_e32 v15, 0x700000, v15
	s_delay_alu instid0(VALU_DEP_3) | instskip(NEXT) | instid1(VALU_DEP_1)
	v_and_b32_e32 v19, 0x80000000, v19
	v_or3_b32 v14, v15, v19, v14
.LBB446_310:                            ;   in Loop: Header=BB446_13 Depth=1
	s_or_b32 exec_lo, exec_lo, s23
.LBB446_311:                            ;   in Loop: Header=BB446_13 Depth=1
	s_delay_alu instid0(SALU_CYCLE_1)
	s_or_b32 exec_lo, exec_lo, s22
.LBB446_312:                            ;   in Loop: Header=BB446_13 Depth=1
	s_delay_alu instid0(SALU_CYCLE_1) | instskip(NEXT) | instid1(VALU_DEP_1)
	s_or_b32 exec_lo, exec_lo, s21
	v_mul_f32_e32 v14, v187, v14
	s_delay_alu instid0(VALU_DEP_1) | instskip(NEXT) | instid1(VALU_DEP_1)
	v_and_b32_e32 v15, 0x7f800000, v14
	v_cmp_ne_u32_e64 s1, 0x7f800000, v15
                                        ; implicit-def: $vgpr15
	s_delay_alu instid0(VALU_DEP_1) | instskip(NEXT) | instid1(SALU_CYCLE_1)
	s_and_saveexec_b32 s21, s1
	s_xor_b32 s1, exec_lo, s21
; %bb.313:                              ;   in Loop: Header=BB446_13 Depth=1
	v_bfe_u32 v15, v14, 16, 1
	s_delay_alu instid0(VALU_DEP_1)
	v_add3_u32 v15, v14, v15, 0x7fff
                                        ; implicit-def: $vgpr14
; %bb.314:                              ;   in Loop: Header=BB446_13 Depth=1
	s_and_not1_saveexec_b32 s21, s1
; %bb.315:                              ;   in Loop: Header=BB446_13 Depth=1
	v_and_b32_e32 v15, 0xffff, v14
	v_or_b32_e32 v19, 0x10000, v14
	s_delay_alu instid0(VALU_DEP_2) | instskip(NEXT) | instid1(VALU_DEP_1)
	v_cmp_eq_u32_e64 s1, 0, v15
	v_cndmask_b32_e64 v15, v19, v14, s1
; %bb.316:                              ;   in Loop: Header=BB446_13 Depth=1
	s_or_b32 exec_lo, exec_lo, s21
	v_lshrrev_b16 v19, 8, v33
	v_mov_b32_e32 v14, 0
	s_mov_b32 s21, exec_lo
	s_delay_alu instid0(VALU_DEP_2)
	v_cmpx_ne_u16_e32 0, v19
	s_cbranch_execz .LBB446_324
; %bb.317:                              ;   in Loop: Header=BB446_13 Depth=1
	v_bfrev_b32_e32 v14, 1
	s_mov_b32 s22, exec_lo
	v_cmpx_ne_u16_e32 0x80, v19
	s_cbranch_execz .LBB446_323
; %bb.318:                              ;   in Loop: Header=BB446_13 Depth=1
	v_and_b32_e32 v19, 0xffff, v19
	v_mov_b32_e32 v14, 0x7f800001
	s_mov_b32 s23, exec_lo
	s_delay_alu instid0(VALU_DEP_2) | instskip(NEXT) | instid1(VALU_DEP_1)
	v_and_b32_e32 v30, 0x7f, v19
	v_cmpx_ne_u32_e32 0x7f, v30
	s_cbranch_execz .LBB446_322
; %bb.319:                              ;   in Loop: Header=BB446_13 Depth=1
	v_and_b32_e32 v19, 7, v19
	v_lshrrev_b32_e32 v14, 3, v30
	v_mov_b32_e32 v36, v20
	s_mov_b32 s24, exec_lo
	s_delay_alu instid0(VALU_DEP_3)
	v_mov_b32_e32 v35, v19
	v_cmpx_gt_u32_e32 8, v30
; %bb.320:                              ;   in Loop: Header=BB446_13 Depth=1
	v_clz_i32_u32_e32 v14, v19
	s_delay_alu instid0(VALU_DEP_1) | instskip(NEXT) | instid1(VALU_DEP_1)
	v_min_u32_e32 v14, 32, v14
	v_subrev_nc_u32_e32 v30, 28, v14
	v_sub_nc_u32_e32 v14, 29, v14
	s_delay_alu instid0(VALU_DEP_2) | instskip(NEXT) | instid1(VALU_DEP_1)
	v_lshlrev_b64 v[35:36], v30, v[19:20]
	v_and_b32_e32 v35, 7, v35
; %bb.321:                              ;   in Loop: Header=BB446_13 Depth=1
	s_or_b32 exec_lo, exec_lo, s24
	v_lshlrev_b32_e32 v19, 16, v33
	s_delay_alu instid0(VALU_DEP_2) | instskip(SKIP_1) | instid1(VALU_DEP_3)
	v_lshlrev_b32_e32 v30, 20, v35
	v_lshl_add_u32 v14, v14, 23, 0x3c000000
	v_and_b32_e32 v19, 0x80000000, v19
	s_delay_alu instid0(VALU_DEP_1)
	v_or3_b32 v14, v30, v19, v14
.LBB446_322:                            ;   in Loop: Header=BB446_13 Depth=1
	s_or_b32 exec_lo, exec_lo, s23
.LBB446_323:                            ;   in Loop: Header=BB446_13 Depth=1
	s_delay_alu instid0(SALU_CYCLE_1)
	s_or_b32 exec_lo, exec_lo, s22
.LBB446_324:                            ;   in Loop: Header=BB446_13 Depth=1
	s_delay_alu instid0(SALU_CYCLE_1) | instskip(NEXT) | instid1(VALU_DEP_1)
	s_or_b32 exec_lo, exec_lo, s21
	v_mul_f32_e32 v19, v187, v14
	s_delay_alu instid0(VALU_DEP_1) | instskip(NEXT) | instid1(VALU_DEP_1)
	v_and_b32_e32 v14, 0x7f800000, v19
	v_cmp_ne_u32_e64 s1, 0x7f800000, v14
                                        ; implicit-def: $vgpr14
	s_delay_alu instid0(VALU_DEP_1) | instskip(NEXT) | instid1(SALU_CYCLE_1)
	s_and_saveexec_b32 s21, s1
	s_xor_b32 s1, exec_lo, s21
; %bb.325:                              ;   in Loop: Header=BB446_13 Depth=1
	v_bfe_u32 v14, v19, 16, 1
	s_delay_alu instid0(VALU_DEP_1)
	v_add3_u32 v14, v19, v14, 0x7fff
                                        ; implicit-def: $vgpr19
; %bb.326:                              ;   in Loop: Header=BB446_13 Depth=1
	s_and_not1_saveexec_b32 s21, s1
; %bb.327:                              ;   in Loop: Header=BB446_13 Depth=1
	v_and_b32_e32 v14, 0xffff, v19
	v_or_b32_e32 v30, 0x10000, v19
	s_delay_alu instid0(VALU_DEP_2) | instskip(NEXT) | instid1(VALU_DEP_1)
	v_cmp_eq_u32_e64 s1, 0, v14
	v_cndmask_b32_e64 v14, v30, v19, s1
; %bb.328:                              ;   in Loop: Header=BB446_13 Depth=1
	s_or_b32 exec_lo, exec_lo, s21
	v_lshrrev_b32_e32 v30, 16, v33
	v_mov_b32_e32 v19, 0
	s_mov_b32 s21, exec_lo
	s_delay_alu instid0(VALU_DEP_2) | instskip(NEXT) | instid1(VALU_DEP_1)
	v_and_b32_e32 v35, 0xff, v30
	v_cmpx_ne_u16_e32 0, v35
	s_cbranch_execz .LBB446_336
; %bb.329:                              ;   in Loop: Header=BB446_13 Depth=1
	v_bfrev_b32_e32 v19, 1
	s_mov_b32 s22, exec_lo
	v_cmpx_ne_u16_e32 0x80, v35
	s_cbranch_execz .LBB446_335
; %bb.330:                              ;   in Loop: Header=BB446_13 Depth=1
	v_bfe_u32 v35, v33, 16, 7
	v_mov_b32_e32 v19, 0x7f800001
	s_mov_b32 s23, exec_lo
	s_delay_alu instid0(VALU_DEP_2)
	v_cmpx_ne_u32_e32 0x7f, v35
	s_cbranch_execz .LBB446_334
; %bb.331:                              ;   in Loop: Header=BB446_13 Depth=1
	v_and_b32_e32 v19, 7, v30
	v_lshrrev_b32_e32 v64, 3, v35
	v_cmp_gt_u32_e64 s1, 8, v35
	s_delay_alu instid0(VALU_DEP_3) | instskip(NEXT) | instid1(VALU_DEP_2)
	v_dual_mov_b32 v36, v20 :: v_dual_mov_b32 v35, v19
	s_and_saveexec_b32 s24, s1
; %bb.332:                              ;   in Loop: Header=BB446_13 Depth=1
	v_clz_i32_u32_e32 v35, v19
	s_delay_alu instid0(VALU_DEP_1) | instskip(NEXT) | instid1(VALU_DEP_1)
	v_min_u32_e32 v64, 32, v35
	v_subrev_nc_u32_e32 v35, 28, v64
	v_sub_nc_u32_e32 v64, 29, v64
	s_delay_alu instid0(VALU_DEP_2) | instskip(NEXT) | instid1(VALU_DEP_1)
	v_lshlrev_b64 v[35:36], v35, v[19:20]
	v_and_b32_e32 v35, 7, v35
; %bb.333:                              ;   in Loop: Header=BB446_13 Depth=1
	s_or_b32 exec_lo, exec_lo, s24
	v_lshlrev_b32_e32 v19, 24, v30
	s_delay_alu instid0(VALU_DEP_2) | instskip(SKIP_1) | instid1(VALU_DEP_3)
	v_lshlrev_b32_e32 v30, 20, v35
	v_lshl_add_u32 v35, v64, 23, 0x3c000000
	v_and_b32_e32 v19, 0x80000000, v19
	s_delay_alu instid0(VALU_DEP_1)
	v_or3_b32 v19, v30, v19, v35
.LBB446_334:                            ;   in Loop: Header=BB446_13 Depth=1
	s_or_b32 exec_lo, exec_lo, s23
.LBB446_335:                            ;   in Loop: Header=BB446_13 Depth=1
	s_delay_alu instid0(SALU_CYCLE_1)
	s_or_b32 exec_lo, exec_lo, s22
.LBB446_336:                            ;   in Loop: Header=BB446_13 Depth=1
	s_delay_alu instid0(SALU_CYCLE_1) | instskip(NEXT) | instid1(VALU_DEP_1)
	s_or_b32 exec_lo, exec_lo, s21
	v_mul_f32_e32 v19, v187, v19
	s_delay_alu instid0(VALU_DEP_1) | instskip(NEXT) | instid1(VALU_DEP_1)
	v_and_b32_e32 v30, 0x7f800000, v19
	v_cmp_ne_u32_e64 s1, 0x7f800000, v30
                                        ; implicit-def: $vgpr30
	s_delay_alu instid0(VALU_DEP_1) | instskip(NEXT) | instid1(SALU_CYCLE_1)
	s_and_saveexec_b32 s21, s1
	s_xor_b32 s1, exec_lo, s21
; %bb.337:                              ;   in Loop: Header=BB446_13 Depth=1
	v_bfe_u32 v30, v19, 16, 1
	s_delay_alu instid0(VALU_DEP_1)
	v_add3_u32 v30, v19, v30, 0x7fff
                                        ; implicit-def: $vgpr19
; %bb.338:                              ;   in Loop: Header=BB446_13 Depth=1
	s_and_not1_saveexec_b32 s21, s1
; %bb.339:                              ;   in Loop: Header=BB446_13 Depth=1
	v_and_b32_e32 v30, 0xffff, v19
	v_or_b32_e32 v35, 0x10000, v19
	s_delay_alu instid0(VALU_DEP_2) | instskip(NEXT) | instid1(VALU_DEP_1)
	v_cmp_eq_u32_e64 s1, 0, v30
	v_cndmask_b32_e64 v30, v35, v19, s1
; %bb.340:                              ;   in Loop: Header=BB446_13 Depth=1
	s_or_b32 exec_lo, exec_lo, s21
	v_mov_b32_e32 v19, 0
	s_mov_b32 s21, exec_lo
	v_cmpx_lt_u32_e32 0xffffff, v33
	s_cbranch_execz .LBB446_348
; %bb.341:                              ;   in Loop: Header=BB446_13 Depth=1
	v_lshrrev_b32_e32 v64, 24, v33
	v_bfrev_b32_e32 v19, 1
	s_mov_b32 s22, exec_lo
	s_delay_alu instid0(VALU_DEP_2)
	v_cmpx_ne_u32_e32 0x80, v64
	s_cbranch_execz .LBB446_347
; %bb.342:                              ;   in Loop: Header=BB446_13 Depth=1
	v_bfe_u32 v35, v33, 24, 7
	v_mov_b32_e32 v19, 0x7f800001
	s_mov_b32 s23, exec_lo
	s_delay_alu instid0(VALU_DEP_2)
	v_cmpx_ne_u32_e32 0x7f, v35
	s_cbranch_execz .LBB446_346
; %bb.343:                              ;   in Loop: Header=BB446_13 Depth=1
	v_and_b32_e32 v19, 7, v64
	v_lshrrev_b32_e32 v65, 3, v35
	v_cmp_gt_u32_e64 s1, 8, v35
	s_delay_alu instid0(VALU_DEP_3) | instskip(NEXT) | instid1(VALU_DEP_2)
	v_dual_mov_b32 v36, v20 :: v_dual_mov_b32 v35, v19
	s_and_saveexec_b32 s24, s1
; %bb.344:                              ;   in Loop: Header=BB446_13 Depth=1
	v_clz_i32_u32_e32 v35, v19
	s_delay_alu instid0(VALU_DEP_1) | instskip(NEXT) | instid1(VALU_DEP_1)
	v_min_u32_e32 v65, 32, v35
	v_subrev_nc_u32_e32 v35, 28, v65
	v_sub_nc_u32_e32 v65, 29, v65
	s_delay_alu instid0(VALU_DEP_2) | instskip(NEXT) | instid1(VALU_DEP_1)
	v_lshlrev_b64 v[35:36], v35, v[19:20]
	v_and_b32_e32 v35, 7, v35
; %bb.345:                              ;   in Loop: Header=BB446_13 Depth=1
	s_or_b32 exec_lo, exec_lo, s24
	v_lshlrev_b32_e32 v19, 24, v64
	s_delay_alu instid0(VALU_DEP_2) | instskip(SKIP_1) | instid1(VALU_DEP_3)
	v_lshlrev_b32_e32 v35, 20, v35
	v_lshl_add_u32 v36, v65, 23, 0x3c000000
	v_and_b32_e32 v19, 0x80000000, v19
	s_delay_alu instid0(VALU_DEP_1)
	v_or3_b32 v19, v35, v19, v36
.LBB446_346:                            ;   in Loop: Header=BB446_13 Depth=1
	s_or_b32 exec_lo, exec_lo, s23
.LBB446_347:                            ;   in Loop: Header=BB446_13 Depth=1
	s_delay_alu instid0(SALU_CYCLE_1)
	s_or_b32 exec_lo, exec_lo, s22
.LBB446_348:                            ;   in Loop: Header=BB446_13 Depth=1
	s_delay_alu instid0(SALU_CYCLE_1) | instskip(NEXT) | instid1(VALU_DEP_1)
	s_or_b32 exec_lo, exec_lo, s21
	v_mul_f32_e32 v19, v187, v19
                                        ; implicit-def: $vgpr64
	s_delay_alu instid0(VALU_DEP_1) | instskip(NEXT) | instid1(VALU_DEP_1)
	v_and_b32_e32 v35, 0x7f800000, v19
	v_cmp_ne_u32_e64 s1, 0x7f800000, v35
	s_delay_alu instid0(VALU_DEP_1) | instskip(NEXT) | instid1(SALU_CYCLE_1)
	s_and_saveexec_b32 s21, s1
	s_xor_b32 s1, exec_lo, s21
; %bb.349:                              ;   in Loop: Header=BB446_13 Depth=1
	v_bfe_u32 v35, v19, 16, 1
	s_delay_alu instid0(VALU_DEP_1)
	v_add3_u32 v64, v19, v35, 0x7fff
                                        ; implicit-def: $vgpr19
; %bb.350:                              ;   in Loop: Header=BB446_13 Depth=1
	s_and_not1_saveexec_b32 s21, s1
; %bb.351:                              ;   in Loop: Header=BB446_13 Depth=1
	v_and_b32_e32 v35, 0xffff, v19
	v_or_b32_e32 v36, 0x10000, v19
	s_delay_alu instid0(VALU_DEP_2) | instskip(NEXT) | instid1(VALU_DEP_1)
	v_cmp_eq_u32_e64 s1, 0, v35
	v_cndmask_b32_e64 v64, v36, v19, s1
; %bb.352:                              ;   in Loop: Header=BB446_13 Depth=1
	s_or_b32 exec_lo, exec_lo, s21
	v_dual_mov_b32 v19, v34 :: v_dual_and_b32 v36, 0xff, v34
	v_mov_b32_e32 v35, 0
	s_mov_b32 s21, exec_lo
	s_delay_alu instid0(VALU_DEP_2)
	v_cmpx_ne_u16_e32 0, v36
	s_cbranch_execz .LBB446_360
; %bb.353:                              ;   in Loop: Header=BB446_13 Depth=1
	v_bfrev_b32_e32 v35, 1
	s_mov_b32 s22, exec_lo
	v_cmpx_ne_u16_e32 0x80, v36
	s_cbranch_execz .LBB446_359
; %bb.354:                              ;   in Loop: Header=BB446_13 Depth=1
	v_and_b32_e32 v36, 0x7f, v34
	v_mov_b32_e32 v35, 0x7f800001
	s_mov_b32 s23, exec_lo
	s_delay_alu instid0(VALU_DEP_2)
	v_cmpx_ne_u32_e32 0x7f, v36
	s_cbranch_execz .LBB446_358
; %bb.355:                              ;   in Loop: Header=BB446_13 Depth=1
	v_lshrrev_b32_e32 v65, 3, v36
	v_cmp_gt_u32_e64 s1, 8, v36
	v_dual_mov_b32 v36, v20 :: v_dual_mov_b32 v35, v19
	s_delay_alu instid0(VALU_DEP_2)
	s_and_saveexec_b32 s24, s1
; %bb.356:                              ;   in Loop: Header=BB446_13 Depth=1
	v_and_b32_e32 v35, 7, v34
	s_delay_alu instid0(VALU_DEP_1) | instskip(NEXT) | instid1(VALU_DEP_1)
	v_clz_i32_u32_e32 v35, v35
	v_min_u32_e32 v65, 32, v35
	s_delay_alu instid0(VALU_DEP_1) | instskip(SKIP_1) | instid1(VALU_DEP_2)
	v_subrev_nc_u32_e32 v35, 28, v65
	v_sub_nc_u32_e32 v65, 29, v65
	v_lshlrev_b64 v[35:36], v35, v[19:20]
; %bb.357:                              ;   in Loop: Header=BB446_13 Depth=1
	s_or_b32 exec_lo, exec_lo, s24
	s_delay_alu instid0(VALU_DEP_1) | instskip(SKIP_2) | instid1(VALU_DEP_3)
	v_lshlrev_b32_e32 v35, 20, v35
	v_lshlrev_b32_e32 v36, 24, v19
	v_lshl_add_u32 v65, v65, 23, 0x3c000000
	v_and_b32_e32 v35, 0x700000, v35
	s_delay_alu instid0(VALU_DEP_3) | instskip(NEXT) | instid1(VALU_DEP_1)
	v_and_b32_e32 v36, 0x80000000, v36
	v_or3_b32 v35, v35, v36, v65
.LBB446_358:                            ;   in Loop: Header=BB446_13 Depth=1
	s_or_b32 exec_lo, exec_lo, s23
.LBB446_359:                            ;   in Loop: Header=BB446_13 Depth=1
	s_delay_alu instid0(SALU_CYCLE_1)
	s_or_b32 exec_lo, exec_lo, s22
.LBB446_360:                            ;   in Loop: Header=BB446_13 Depth=1
	s_delay_alu instid0(SALU_CYCLE_1) | instskip(NEXT) | instid1(VALU_DEP_1)
	s_or_b32 exec_lo, exec_lo, s21
	v_mul_f32_e32 v35, v187, v35
                                        ; implicit-def: $vgpr65
	s_delay_alu instid0(VALU_DEP_1) | instskip(NEXT) | instid1(VALU_DEP_1)
	v_and_b32_e32 v36, 0x7f800000, v35
	v_cmp_ne_u32_e64 s1, 0x7f800000, v36
	s_delay_alu instid0(VALU_DEP_1) | instskip(NEXT) | instid1(SALU_CYCLE_1)
	s_and_saveexec_b32 s21, s1
	s_xor_b32 s1, exec_lo, s21
; %bb.361:                              ;   in Loop: Header=BB446_13 Depth=1
	v_bfe_u32 v36, v35, 16, 1
	s_delay_alu instid0(VALU_DEP_1)
	v_add3_u32 v65, v35, v36, 0x7fff
                                        ; implicit-def: $vgpr35
; %bb.362:                              ;   in Loop: Header=BB446_13 Depth=1
	s_and_not1_saveexec_b32 s21, s1
; %bb.363:                              ;   in Loop: Header=BB446_13 Depth=1
	v_and_b32_e32 v36, 0xffff, v35
	v_or_b32_e32 v65, 0x10000, v35
	s_delay_alu instid0(VALU_DEP_2) | instskip(NEXT) | instid1(VALU_DEP_1)
	v_cmp_eq_u32_e64 s1, 0, v36
	v_cndmask_b32_e64 v65, v65, v35, s1
; %bb.364:                              ;   in Loop: Header=BB446_13 Depth=1
	s_or_b32 exec_lo, exec_lo, s21
	v_lshrrev_b16 v36, 8, v19
	v_mov_b32_e32 v35, 0
	s_mov_b32 s21, exec_lo
	s_delay_alu instid0(VALU_DEP_2)
	v_cmpx_ne_u16_e32 0, v36
	s_cbranch_execz .LBB446_372
; %bb.365:                              ;   in Loop: Header=BB446_13 Depth=1
	v_bfrev_b32_e32 v35, 1
	s_mov_b32 s22, exec_lo
	v_cmpx_ne_u16_e32 0x80, v36
	s_cbranch_execz .LBB446_371
; %bb.366:                              ;   in Loop: Header=BB446_13 Depth=1
	v_and_b32_e32 v36, 0xffff, v36
	v_mov_b32_e32 v35, 0x7f800001
	s_mov_b32 s23, exec_lo
	s_delay_alu instid0(VALU_DEP_2) | instskip(NEXT) | instid1(VALU_DEP_1)
	v_and_b32_e32 v67, 0x7f, v36
	v_cmpx_ne_u32_e32 0x7f, v67
	s_cbranch_execz .LBB446_370
; %bb.367:                              ;   in Loop: Header=BB446_13 Depth=1
	v_dual_mov_b32 v36, v20 :: v_dual_and_b32 v35, 7, v36
	v_lshrrev_b32_e32 v66, 3, v67
	s_mov_b32 s24, exec_lo
	v_cmpx_gt_u32_e32 8, v67
; %bb.368:                              ;   in Loop: Header=BB446_13 Depth=1
	s_delay_alu instid0(VALU_DEP_3) | instskip(NEXT) | instid1(VALU_DEP_1)
	v_clz_i32_u32_e32 v66, v35
	v_min_u32_e32 v66, 32, v66
	s_delay_alu instid0(VALU_DEP_1) | instskip(SKIP_1) | instid1(VALU_DEP_2)
	v_subrev_nc_u32_e32 v67, 28, v66
	v_sub_nc_u32_e32 v66, 29, v66
	v_lshlrev_b64 v[35:36], v67, v[35:36]
	s_delay_alu instid0(VALU_DEP_1)
	v_and_b32_e32 v35, 7, v35
; %bb.369:                              ;   in Loop: Header=BB446_13 Depth=1
	s_or_b32 exec_lo, exec_lo, s24
	v_lshlrev_b32_e32 v19, 16, v19
	s_delay_alu instid0(VALU_DEP_2) | instskip(SKIP_1) | instid1(VALU_DEP_3)
	v_lshlrev_b32_e32 v35, 20, v35
	v_lshl_add_u32 v36, v66, 23, 0x3c000000
	v_and_b32_e32 v19, 0x80000000, v19
	s_delay_alu instid0(VALU_DEP_1)
	v_or3_b32 v35, v35, v19, v36
.LBB446_370:                            ;   in Loop: Header=BB446_13 Depth=1
	s_or_b32 exec_lo, exec_lo, s23
.LBB446_371:                            ;   in Loop: Header=BB446_13 Depth=1
	s_delay_alu instid0(SALU_CYCLE_1)
	s_or_b32 exec_lo, exec_lo, s22
.LBB446_372:                            ;   in Loop: Header=BB446_13 Depth=1
	s_delay_alu instid0(SALU_CYCLE_1) | instskip(NEXT) | instid1(VALU_DEP_1)
	s_or_b32 exec_lo, exec_lo, s21
	v_mul_f32_e32 v19, v187, v35
                                        ; implicit-def: $vgpr66
	s_delay_alu instid0(VALU_DEP_1) | instskip(NEXT) | instid1(VALU_DEP_1)
	v_and_b32_e32 v35, 0x7f800000, v19
	v_cmp_ne_u32_e64 s1, 0x7f800000, v35
	s_delay_alu instid0(VALU_DEP_1) | instskip(NEXT) | instid1(SALU_CYCLE_1)
	s_and_saveexec_b32 s21, s1
	s_xor_b32 s1, exec_lo, s21
; %bb.373:                              ;   in Loop: Header=BB446_13 Depth=1
	v_bfe_u32 v35, v19, 16, 1
	s_delay_alu instid0(VALU_DEP_1)
	v_add3_u32 v66, v19, v35, 0x7fff
                                        ; implicit-def: $vgpr19
; %bb.374:                              ;   in Loop: Header=BB446_13 Depth=1
	s_and_not1_saveexec_b32 s21, s1
; %bb.375:                              ;   in Loop: Header=BB446_13 Depth=1
	v_and_b32_e32 v35, 0xffff, v19
	v_or_b32_e32 v36, 0x10000, v19
	s_delay_alu instid0(VALU_DEP_2) | instskip(NEXT) | instid1(VALU_DEP_1)
	v_cmp_eq_u32_e64 s1, 0, v35
	v_cndmask_b32_e64 v66, v36, v19, s1
; %bb.376:                              ;   in Loop: Header=BB446_13 Depth=1
	s_or_b32 exec_lo, exec_lo, s21
	v_lshrrev_b32_e32 v67, 16, v34
	v_mov_b32_e32 v19, 0
	s_mov_b32 s21, exec_lo
	s_delay_alu instid0(VALU_DEP_2) | instskip(NEXT) | instid1(VALU_DEP_1)
	v_and_b32_e32 v35, 0xff, v67
	v_cmpx_ne_u16_e32 0, v35
	s_cbranch_execz .LBB446_384
; %bb.377:                              ;   in Loop: Header=BB446_13 Depth=1
	v_bfrev_b32_e32 v19, 1
	s_mov_b32 s22, exec_lo
	v_cmpx_ne_u16_e32 0x80, v35
	s_cbranch_execz .LBB446_383
; %bb.378:                              ;   in Loop: Header=BB446_13 Depth=1
	v_bfe_u32 v35, v34, 16, 7
	v_mov_b32_e32 v19, 0x7f800001
	s_mov_b32 s23, exec_lo
	s_delay_alu instid0(VALU_DEP_2)
	v_cmpx_ne_u32_e32 0x7f, v35
	s_cbranch_execz .LBB446_382
; %bb.379:                              ;   in Loop: Header=BB446_13 Depth=1
	v_and_b32_e32 v19, 7, v67
	v_lshrrev_b32_e32 v71, 3, v35
	v_cmp_gt_u32_e64 s1, 8, v35
	s_delay_alu instid0(VALU_DEP_3) | instskip(NEXT) | instid1(VALU_DEP_2)
	v_dual_mov_b32 v36, v20 :: v_dual_mov_b32 v35, v19
	s_and_saveexec_b32 s24, s1
; %bb.380:                              ;   in Loop: Header=BB446_13 Depth=1
	v_clz_i32_u32_e32 v35, v19
	s_delay_alu instid0(VALU_DEP_1) | instskip(NEXT) | instid1(VALU_DEP_1)
	v_min_u32_e32 v71, 32, v35
	v_subrev_nc_u32_e32 v35, 28, v71
	v_sub_nc_u32_e32 v71, 29, v71
	s_delay_alu instid0(VALU_DEP_2) | instskip(NEXT) | instid1(VALU_DEP_1)
	v_lshlrev_b64 v[35:36], v35, v[19:20]
	v_and_b32_e32 v35, 7, v35
; %bb.381:                              ;   in Loop: Header=BB446_13 Depth=1
	s_or_b32 exec_lo, exec_lo, s24
	v_lshlrev_b32_e32 v19, 24, v67
	s_delay_alu instid0(VALU_DEP_2) | instskip(SKIP_1) | instid1(VALU_DEP_3)
	v_lshlrev_b32_e32 v35, 20, v35
	v_lshl_add_u32 v36, v71, 23, 0x3c000000
	v_and_b32_e32 v19, 0x80000000, v19
	s_delay_alu instid0(VALU_DEP_1)
	v_or3_b32 v19, v35, v19, v36
.LBB446_382:                            ;   in Loop: Header=BB446_13 Depth=1
	s_or_b32 exec_lo, exec_lo, s23
.LBB446_383:                            ;   in Loop: Header=BB446_13 Depth=1
	s_delay_alu instid0(SALU_CYCLE_1)
	s_or_b32 exec_lo, exec_lo, s22
.LBB446_384:                            ;   in Loop: Header=BB446_13 Depth=1
	s_delay_alu instid0(SALU_CYCLE_1) | instskip(NEXT) | instid1(VALU_DEP_1)
	s_or_b32 exec_lo, exec_lo, s21
	v_mul_f32_e32 v19, v187, v19
                                        ; implicit-def: $vgpr67
	s_delay_alu instid0(VALU_DEP_1) | instskip(NEXT) | instid1(VALU_DEP_1)
	v_and_b32_e32 v35, 0x7f800000, v19
	v_cmp_ne_u32_e64 s1, 0x7f800000, v35
	s_delay_alu instid0(VALU_DEP_1) | instskip(NEXT) | instid1(SALU_CYCLE_1)
	s_and_saveexec_b32 s21, s1
	s_xor_b32 s1, exec_lo, s21
; %bb.385:                              ;   in Loop: Header=BB446_13 Depth=1
	v_bfe_u32 v35, v19, 16, 1
	s_delay_alu instid0(VALU_DEP_1)
	v_add3_u32 v67, v19, v35, 0x7fff
                                        ; implicit-def: $vgpr19
; %bb.386:                              ;   in Loop: Header=BB446_13 Depth=1
	s_and_not1_saveexec_b32 s21, s1
; %bb.387:                              ;   in Loop: Header=BB446_13 Depth=1
	v_and_b32_e32 v35, 0xffff, v19
	v_or_b32_e32 v36, 0x10000, v19
	s_delay_alu instid0(VALU_DEP_2) | instskip(NEXT) | instid1(VALU_DEP_1)
	v_cmp_eq_u32_e64 s1, 0, v35
	v_cndmask_b32_e64 v67, v36, v19, s1
; %bb.388:                              ;   in Loop: Header=BB446_13 Depth=1
	s_or_b32 exec_lo, exec_lo, s21
	v_mov_b32_e32 v19, 0
	s_mov_b32 s21, exec_lo
	v_cmpx_lt_u64_e64 s[16:17], v[33:34]
	s_cbranch_execz .LBB446_396
; %bb.389:                              ;   in Loop: Header=BB446_13 Depth=1
	v_lshrrev_b32_e32 v35, 24, v34
	v_bfrev_b32_e32 v19, 1
	s_mov_b32 s22, exec_lo
	s_delay_alu instid0(VALU_DEP_2)
	v_cmpx_ne_u32_e32 0x80, v35
	s_cbranch_execz .LBB446_395
; %bb.390:                              ;   in Loop: Header=BB446_13 Depth=1
	v_bfe_u32 v33, v34, 24, 7
	v_mov_b32_e32 v19, 0x7f800001
	s_mov_b32 s23, exec_lo
	s_delay_alu instid0(VALU_DEP_2)
	v_cmpx_ne_u32_e32 0x7f, v33
	s_cbranch_execz .LBB446_394
; %bb.391:                              ;   in Loop: Header=BB446_13 Depth=1
	v_and_b32_e32 v19, 7, v35
	v_lshrrev_b32_e32 v36, 3, v33
	v_cmp_gt_u32_e64 s1, 8, v33
	s_delay_alu instid0(VALU_DEP_3) | instskip(NEXT) | instid1(VALU_DEP_2)
	v_dual_mov_b32 v34, v20 :: v_dual_mov_b32 v33, v19
	s_and_saveexec_b32 s24, s1
; %bb.392:                              ;   in Loop: Header=BB446_13 Depth=1
	v_clz_i32_u32_e32 v33, v19
	s_delay_alu instid0(VALU_DEP_1) | instskip(NEXT) | instid1(VALU_DEP_1)
	v_min_u32_e32 v36, 32, v33
	v_subrev_nc_u32_e32 v33, 28, v36
	v_sub_nc_u32_e32 v36, 29, v36
	s_delay_alu instid0(VALU_DEP_2) | instskip(NEXT) | instid1(VALU_DEP_1)
	v_lshlrev_b64 v[33:34], v33, v[19:20]
	v_and_b32_e32 v33, 7, v33
; %bb.393:                              ;   in Loop: Header=BB446_13 Depth=1
	s_or_b32 exec_lo, exec_lo, s24
	v_lshlrev_b32_e32 v19, 24, v35
	s_delay_alu instid0(VALU_DEP_2) | instskip(SKIP_1) | instid1(VALU_DEP_3)
	v_lshlrev_b32_e32 v33, 20, v33
	v_lshl_add_u32 v34, v36, 23, 0x3c000000
	v_and_b32_e32 v19, 0x80000000, v19
	s_delay_alu instid0(VALU_DEP_1)
	v_or3_b32 v19, v33, v19, v34
.LBB446_394:                            ;   in Loop: Header=BB446_13 Depth=1
	s_or_b32 exec_lo, exec_lo, s23
.LBB446_395:                            ;   in Loop: Header=BB446_13 Depth=1
	s_delay_alu instid0(SALU_CYCLE_1)
	s_or_b32 exec_lo, exec_lo, s22
.LBB446_396:                            ;   in Loop: Header=BB446_13 Depth=1
	s_delay_alu instid0(SALU_CYCLE_1) | instskip(NEXT) | instid1(VALU_DEP_1)
	s_or_b32 exec_lo, exec_lo, s21
	v_mul_f32_e32 v19, v187, v19
                                        ; implicit-def: $vgpr71
	s_delay_alu instid0(VALU_DEP_1) | instskip(NEXT) | instid1(VALU_DEP_1)
	v_and_b32_e32 v33, 0x7f800000, v19
	v_cmp_ne_u32_e64 s1, 0x7f800000, v33
	s_delay_alu instid0(VALU_DEP_1) | instskip(NEXT) | instid1(SALU_CYCLE_1)
	s_and_saveexec_b32 s21, s1
	s_xor_b32 s1, exec_lo, s21
; %bb.397:                              ;   in Loop: Header=BB446_13 Depth=1
	v_bfe_u32 v33, v19, 16, 1
	s_delay_alu instid0(VALU_DEP_1)
	v_add3_u32 v71, v19, v33, 0x7fff
                                        ; implicit-def: $vgpr19
; %bb.398:                              ;   in Loop: Header=BB446_13 Depth=1
	s_and_not1_saveexec_b32 s21, s1
; %bb.399:                              ;   in Loop: Header=BB446_13 Depth=1
	v_and_b32_e32 v33, 0xffff, v19
	v_or_b32_e32 v34, 0x10000, v19
	s_delay_alu instid0(VALU_DEP_2) | instskip(NEXT) | instid1(VALU_DEP_1)
	v_cmp_eq_u32_e64 s1, 0, v33
	v_cndmask_b32_e64 v71, v34, v19, s1
; %bb.400:                              ;   in Loop: Header=BB446_13 Depth=1
	s_or_b32 exec_lo, exec_lo, s21
	flat_load_b64 v[33:34], v[31:32] offset:1024
	v_mov_b32_e32 v19, 0
	s_mov_b32 s21, exec_lo
	s_waitcnt vmcnt(0) lgkmcnt(0)
	v_and_b32_e32 v35, 0xff, v33
	s_delay_alu instid0(VALU_DEP_1)
	v_cmpx_ne_u16_e32 0, v35
	s_cbranch_execz .LBB446_408
; %bb.401:                              ;   in Loop: Header=BB446_13 Depth=1
	v_bfrev_b32_e32 v19, 1
	s_mov_b32 s22, exec_lo
	v_cmpx_ne_u16_e32 0x80, v35
	s_cbranch_execz .LBB446_407
; %bb.402:                              ;   in Loop: Header=BB446_13 Depth=1
	v_and_b32_e32 v35, 0x7f, v33
	v_mov_b32_e32 v19, 0x7f800001
	s_mov_b32 s23, exec_lo
	s_delay_alu instid0(VALU_DEP_2)
	v_cmpx_ne_u32_e32 0x7f, v35
	s_cbranch_execz .LBB446_406
; %bb.403:                              ;   in Loop: Header=BB446_13 Depth=1
	v_lshrrev_b32_e32 v19, 3, v35
	v_cmp_gt_u32_e64 s1, 8, v35
	v_dual_mov_b32 v36, v34 :: v_dual_mov_b32 v35, v33
	s_delay_alu instid0(VALU_DEP_2)
	s_and_saveexec_b32 s24, s1
; %bb.404:                              ;   in Loop: Header=BB446_13 Depth=1
	v_and_b32_e32 v19, 7, v33
	s_delay_alu instid0(VALU_DEP_1) | instskip(NEXT) | instid1(VALU_DEP_1)
	v_clz_i32_u32_e32 v19, v19
	v_min_u32_e32 v19, 32, v19
	s_delay_alu instid0(VALU_DEP_1) | instskip(SKIP_1) | instid1(VALU_DEP_2)
	v_subrev_nc_u32_e32 v35, 28, v19
	v_sub_nc_u32_e32 v19, 29, v19
	v_lshlrev_b64 v[35:36], v35, v[33:34]
; %bb.405:                              ;   in Loop: Header=BB446_13 Depth=1
	s_or_b32 exec_lo, exec_lo, s24
	s_delay_alu instid0(VALU_DEP_1) | instskip(SKIP_2) | instid1(VALU_DEP_3)
	v_lshlrev_b32_e32 v35, 20, v35
	v_lshlrev_b32_e32 v36, 24, v33
	v_lshl_add_u32 v19, v19, 23, 0x3c000000
	v_and_b32_e32 v35, 0x700000, v35
	s_delay_alu instid0(VALU_DEP_3) | instskip(NEXT) | instid1(VALU_DEP_1)
	v_and_b32_e32 v36, 0x80000000, v36
	v_or3_b32 v19, v35, v36, v19
.LBB446_406:                            ;   in Loop: Header=BB446_13 Depth=1
	s_or_b32 exec_lo, exec_lo, s23
.LBB446_407:                            ;   in Loop: Header=BB446_13 Depth=1
	s_delay_alu instid0(SALU_CYCLE_1)
	s_or_b32 exec_lo, exec_lo, s22
.LBB446_408:                            ;   in Loop: Header=BB446_13 Depth=1
	s_delay_alu instid0(SALU_CYCLE_1) | instskip(NEXT) | instid1(VALU_DEP_1)
	s_or_b32 exec_lo, exec_lo, s21
	v_mul_f32_e32 v19, v187, v19
                                        ; implicit-def: $vgpr80
	s_delay_alu instid0(VALU_DEP_1) | instskip(NEXT) | instid1(VALU_DEP_1)
	v_and_b32_e32 v35, 0x7f800000, v19
	v_cmp_ne_u32_e64 s1, 0x7f800000, v35
	s_delay_alu instid0(VALU_DEP_1) | instskip(NEXT) | instid1(SALU_CYCLE_1)
	s_and_saveexec_b32 s21, s1
	s_xor_b32 s1, exec_lo, s21
; %bb.409:                              ;   in Loop: Header=BB446_13 Depth=1
	v_bfe_u32 v35, v19, 16, 1
	s_delay_alu instid0(VALU_DEP_1)
	v_add3_u32 v80, v19, v35, 0x7fff
                                        ; implicit-def: $vgpr19
; %bb.410:                              ;   in Loop: Header=BB446_13 Depth=1
	s_and_not1_saveexec_b32 s21, s1
; %bb.411:                              ;   in Loop: Header=BB446_13 Depth=1
	v_and_b32_e32 v35, 0xffff, v19
	v_or_b32_e32 v36, 0x10000, v19
	s_delay_alu instid0(VALU_DEP_2) | instskip(NEXT) | instid1(VALU_DEP_1)
	v_cmp_eq_u32_e64 s1, 0, v35
	v_cndmask_b32_e64 v80, v36, v19, s1
; %bb.412:                              ;   in Loop: Header=BB446_13 Depth=1
	s_or_b32 exec_lo, exec_lo, s21
	v_lshrrev_b16 v35, 8, v33
	v_mov_b32_e32 v19, 0
	s_mov_b32 s21, exec_lo
	s_delay_alu instid0(VALU_DEP_2)
	v_cmpx_ne_u16_e32 0, v35
	s_cbranch_execz .LBB446_420
; %bb.413:                              ;   in Loop: Header=BB446_13 Depth=1
	v_bfrev_b32_e32 v19, 1
	s_mov_b32 s22, exec_lo
	v_cmpx_ne_u16_e32 0x80, v35
	s_cbranch_execz .LBB446_419
; %bb.414:                              ;   in Loop: Header=BB446_13 Depth=1
	v_and_b32_e32 v36, 0xffff, v35
	v_mov_b32_e32 v19, 0x7f800001
	s_mov_b32 s23, exec_lo
	s_delay_alu instid0(VALU_DEP_2) | instskip(NEXT) | instid1(VALU_DEP_1)
	v_and_b32_e32 v35, 0x7f, v36
	v_cmpx_ne_u32_e32 0x7f, v35
	s_cbranch_execz .LBB446_418
; %bb.415:                              ;   in Loop: Header=BB446_13 Depth=1
	v_and_b32_e32 v19, 7, v36
	v_lshrrev_b32_e32 v81, 3, v35
	v_cmp_gt_u32_e64 s1, 8, v35
	s_delay_alu instid0(VALU_DEP_3) | instskip(NEXT) | instid1(VALU_DEP_2)
	v_dual_mov_b32 v36, v20 :: v_dual_mov_b32 v35, v19
	s_and_saveexec_b32 s24, s1
; %bb.416:                              ;   in Loop: Header=BB446_13 Depth=1
	v_clz_i32_u32_e32 v35, v19
	s_delay_alu instid0(VALU_DEP_1) | instskip(NEXT) | instid1(VALU_DEP_1)
	v_min_u32_e32 v81, 32, v35
	v_subrev_nc_u32_e32 v35, 28, v81
	v_sub_nc_u32_e32 v81, 29, v81
	s_delay_alu instid0(VALU_DEP_2) | instskip(NEXT) | instid1(VALU_DEP_1)
	v_lshlrev_b64 v[35:36], v35, v[19:20]
	v_and_b32_e32 v35, 7, v35
; %bb.417:                              ;   in Loop: Header=BB446_13 Depth=1
	s_or_b32 exec_lo, exec_lo, s24
	v_lshlrev_b32_e32 v19, 16, v33
	s_delay_alu instid0(VALU_DEP_2) | instskip(SKIP_1) | instid1(VALU_DEP_3)
	v_lshlrev_b32_e32 v35, 20, v35
	v_lshl_add_u32 v36, v81, 23, 0x3c000000
	v_and_b32_e32 v19, 0x80000000, v19
	s_delay_alu instid0(VALU_DEP_1)
	v_or3_b32 v19, v35, v19, v36
.LBB446_418:                            ;   in Loop: Header=BB446_13 Depth=1
	s_or_b32 exec_lo, exec_lo, s23
.LBB446_419:                            ;   in Loop: Header=BB446_13 Depth=1
	s_delay_alu instid0(SALU_CYCLE_1)
	s_or_b32 exec_lo, exec_lo, s22
.LBB446_420:                            ;   in Loop: Header=BB446_13 Depth=1
	s_delay_alu instid0(SALU_CYCLE_1) | instskip(NEXT) | instid1(VALU_DEP_1)
	s_or_b32 exec_lo, exec_lo, s21
	v_mul_f32_e32 v19, v187, v19
                                        ; implicit-def: $vgpr81
	s_delay_alu instid0(VALU_DEP_1) | instskip(NEXT) | instid1(VALU_DEP_1)
	v_and_b32_e32 v35, 0x7f800000, v19
	v_cmp_ne_u32_e64 s1, 0x7f800000, v35
	s_delay_alu instid0(VALU_DEP_1) | instskip(NEXT) | instid1(SALU_CYCLE_1)
	s_and_saveexec_b32 s21, s1
	s_xor_b32 s1, exec_lo, s21
; %bb.421:                              ;   in Loop: Header=BB446_13 Depth=1
	v_bfe_u32 v35, v19, 16, 1
	s_delay_alu instid0(VALU_DEP_1)
	v_add3_u32 v81, v19, v35, 0x7fff
                                        ; implicit-def: $vgpr19
; %bb.422:                              ;   in Loop: Header=BB446_13 Depth=1
	s_and_not1_saveexec_b32 s21, s1
; %bb.423:                              ;   in Loop: Header=BB446_13 Depth=1
	v_and_b32_e32 v35, 0xffff, v19
	v_or_b32_e32 v36, 0x10000, v19
	s_delay_alu instid0(VALU_DEP_2) | instskip(NEXT) | instid1(VALU_DEP_1)
	v_cmp_eq_u32_e64 s1, 0, v35
	v_cndmask_b32_e64 v81, v36, v19, s1
; %bb.424:                              ;   in Loop: Header=BB446_13 Depth=1
	s_or_b32 exec_lo, exec_lo, s21
	v_lshrrev_b32_e32 v82, 16, v33
	v_mov_b32_e32 v19, 0
	s_mov_b32 s21, exec_lo
	s_delay_alu instid0(VALU_DEP_2) | instskip(NEXT) | instid1(VALU_DEP_1)
	v_and_b32_e32 v35, 0xff, v82
	v_cmpx_ne_u16_e32 0, v35
	s_cbranch_execz .LBB446_432
; %bb.425:                              ;   in Loop: Header=BB446_13 Depth=1
	v_bfrev_b32_e32 v19, 1
	s_mov_b32 s22, exec_lo
	v_cmpx_ne_u16_e32 0x80, v35
	s_cbranch_execz .LBB446_431
; %bb.426:                              ;   in Loop: Header=BB446_13 Depth=1
	v_bfe_u32 v35, v33, 16, 7
	v_mov_b32_e32 v19, 0x7f800001
	s_mov_b32 s23, exec_lo
	s_delay_alu instid0(VALU_DEP_2)
	v_cmpx_ne_u32_e32 0x7f, v35
	s_cbranch_execz .LBB446_430
; %bb.427:                              ;   in Loop: Header=BB446_13 Depth=1
	v_and_b32_e32 v19, 7, v82
	v_lshrrev_b32_e32 v83, 3, v35
	v_cmp_gt_u32_e64 s1, 8, v35
	s_delay_alu instid0(VALU_DEP_3) | instskip(NEXT) | instid1(VALU_DEP_2)
	v_dual_mov_b32 v36, v20 :: v_dual_mov_b32 v35, v19
	s_and_saveexec_b32 s24, s1
; %bb.428:                              ;   in Loop: Header=BB446_13 Depth=1
	v_clz_i32_u32_e32 v35, v19
	s_delay_alu instid0(VALU_DEP_1) | instskip(NEXT) | instid1(VALU_DEP_1)
	v_min_u32_e32 v83, 32, v35
	v_subrev_nc_u32_e32 v35, 28, v83
	v_sub_nc_u32_e32 v83, 29, v83
	s_delay_alu instid0(VALU_DEP_2) | instskip(NEXT) | instid1(VALU_DEP_1)
	v_lshlrev_b64 v[35:36], v35, v[19:20]
	v_and_b32_e32 v35, 7, v35
; %bb.429:                              ;   in Loop: Header=BB446_13 Depth=1
	s_or_b32 exec_lo, exec_lo, s24
	v_lshlrev_b32_e32 v19, 24, v82
	s_delay_alu instid0(VALU_DEP_2) | instskip(SKIP_1) | instid1(VALU_DEP_3)
	v_lshlrev_b32_e32 v35, 20, v35
	v_lshl_add_u32 v36, v83, 23, 0x3c000000
	v_and_b32_e32 v19, 0x80000000, v19
	s_delay_alu instid0(VALU_DEP_1)
	v_or3_b32 v19, v35, v19, v36
.LBB446_430:                            ;   in Loop: Header=BB446_13 Depth=1
	s_or_b32 exec_lo, exec_lo, s23
.LBB446_431:                            ;   in Loop: Header=BB446_13 Depth=1
	s_delay_alu instid0(SALU_CYCLE_1)
	s_or_b32 exec_lo, exec_lo, s22
.LBB446_432:                            ;   in Loop: Header=BB446_13 Depth=1
	s_delay_alu instid0(SALU_CYCLE_1) | instskip(NEXT) | instid1(VALU_DEP_1)
	s_or_b32 exec_lo, exec_lo, s21
	v_mul_f32_e32 v19, v187, v19
                                        ; implicit-def: $vgpr82
	s_delay_alu instid0(VALU_DEP_1) | instskip(NEXT) | instid1(VALU_DEP_1)
	v_and_b32_e32 v35, 0x7f800000, v19
	v_cmp_ne_u32_e64 s1, 0x7f800000, v35
	s_delay_alu instid0(VALU_DEP_1) | instskip(NEXT) | instid1(SALU_CYCLE_1)
	s_and_saveexec_b32 s21, s1
	s_xor_b32 s1, exec_lo, s21
; %bb.433:                              ;   in Loop: Header=BB446_13 Depth=1
	v_bfe_u32 v35, v19, 16, 1
	s_delay_alu instid0(VALU_DEP_1)
	v_add3_u32 v82, v19, v35, 0x7fff
                                        ; implicit-def: $vgpr19
; %bb.434:                              ;   in Loop: Header=BB446_13 Depth=1
	s_and_not1_saveexec_b32 s21, s1
; %bb.435:                              ;   in Loop: Header=BB446_13 Depth=1
	v_and_b32_e32 v35, 0xffff, v19
	v_or_b32_e32 v36, 0x10000, v19
	s_delay_alu instid0(VALU_DEP_2) | instskip(NEXT) | instid1(VALU_DEP_1)
	v_cmp_eq_u32_e64 s1, 0, v35
	v_cndmask_b32_e64 v82, v36, v19, s1
; %bb.436:                              ;   in Loop: Header=BB446_13 Depth=1
	s_or_b32 exec_lo, exec_lo, s21
	v_mov_b32_e32 v19, 0
	s_mov_b32 s21, exec_lo
	v_cmpx_lt_u32_e32 0xffffff, v33
	s_cbranch_execz .LBB446_444
; %bb.437:                              ;   in Loop: Header=BB446_13 Depth=1
	v_lshrrev_b32_e32 v83, 24, v33
	v_bfrev_b32_e32 v19, 1
	s_mov_b32 s22, exec_lo
	s_delay_alu instid0(VALU_DEP_2)
	v_cmpx_ne_u32_e32 0x80, v83
	s_cbranch_execz .LBB446_443
; %bb.438:                              ;   in Loop: Header=BB446_13 Depth=1
	v_bfe_u32 v35, v33, 24, 7
	v_mov_b32_e32 v19, 0x7f800001
	s_mov_b32 s23, exec_lo
	s_delay_alu instid0(VALU_DEP_2)
	v_cmpx_ne_u32_e32 0x7f, v35
	s_cbranch_execz .LBB446_442
; %bb.439:                              ;   in Loop: Header=BB446_13 Depth=1
	v_and_b32_e32 v19, 7, v83
	v_lshrrev_b32_e32 v84, 3, v35
	v_cmp_gt_u32_e64 s1, 8, v35
	s_delay_alu instid0(VALU_DEP_3) | instskip(NEXT) | instid1(VALU_DEP_2)
	v_dual_mov_b32 v36, v20 :: v_dual_mov_b32 v35, v19
	s_and_saveexec_b32 s24, s1
; %bb.440:                              ;   in Loop: Header=BB446_13 Depth=1
	v_clz_i32_u32_e32 v35, v19
	s_delay_alu instid0(VALU_DEP_1) | instskip(NEXT) | instid1(VALU_DEP_1)
	v_min_u32_e32 v84, 32, v35
	v_subrev_nc_u32_e32 v35, 28, v84
	v_sub_nc_u32_e32 v84, 29, v84
	s_delay_alu instid0(VALU_DEP_2) | instskip(NEXT) | instid1(VALU_DEP_1)
	v_lshlrev_b64 v[35:36], v35, v[19:20]
	v_and_b32_e32 v35, 7, v35
; %bb.441:                              ;   in Loop: Header=BB446_13 Depth=1
	s_or_b32 exec_lo, exec_lo, s24
	v_lshlrev_b32_e32 v19, 24, v83
	s_delay_alu instid0(VALU_DEP_2) | instskip(SKIP_1) | instid1(VALU_DEP_3)
	v_lshlrev_b32_e32 v35, 20, v35
	v_lshl_add_u32 v36, v84, 23, 0x3c000000
	v_and_b32_e32 v19, 0x80000000, v19
	s_delay_alu instid0(VALU_DEP_1)
	v_or3_b32 v19, v35, v19, v36
.LBB446_442:                            ;   in Loop: Header=BB446_13 Depth=1
	s_or_b32 exec_lo, exec_lo, s23
.LBB446_443:                            ;   in Loop: Header=BB446_13 Depth=1
	s_delay_alu instid0(SALU_CYCLE_1)
	s_or_b32 exec_lo, exec_lo, s22
.LBB446_444:                            ;   in Loop: Header=BB446_13 Depth=1
	s_delay_alu instid0(SALU_CYCLE_1) | instskip(NEXT) | instid1(VALU_DEP_1)
	s_or_b32 exec_lo, exec_lo, s21
	v_mul_f32_e32 v19, v187, v19
                                        ; implicit-def: $vgpr83
	s_delay_alu instid0(VALU_DEP_1) | instskip(NEXT) | instid1(VALU_DEP_1)
	v_and_b32_e32 v35, 0x7f800000, v19
	v_cmp_ne_u32_e64 s1, 0x7f800000, v35
	s_delay_alu instid0(VALU_DEP_1) | instskip(NEXT) | instid1(SALU_CYCLE_1)
	s_and_saveexec_b32 s21, s1
	s_xor_b32 s1, exec_lo, s21
; %bb.445:                              ;   in Loop: Header=BB446_13 Depth=1
	v_bfe_u32 v35, v19, 16, 1
	s_delay_alu instid0(VALU_DEP_1)
	v_add3_u32 v83, v19, v35, 0x7fff
                                        ; implicit-def: $vgpr19
; %bb.446:                              ;   in Loop: Header=BB446_13 Depth=1
	s_and_not1_saveexec_b32 s21, s1
; %bb.447:                              ;   in Loop: Header=BB446_13 Depth=1
	v_and_b32_e32 v35, 0xffff, v19
	v_or_b32_e32 v36, 0x10000, v19
	s_delay_alu instid0(VALU_DEP_2) | instskip(NEXT) | instid1(VALU_DEP_1)
	v_cmp_eq_u32_e64 s1, 0, v35
	v_cndmask_b32_e64 v83, v36, v19, s1
; %bb.448:                              ;   in Loop: Header=BB446_13 Depth=1
	s_or_b32 exec_lo, exec_lo, s21
	v_dual_mov_b32 v19, v34 :: v_dual_and_b32 v36, 0xff, v34
	v_mov_b32_e32 v35, 0
	s_mov_b32 s21, exec_lo
	s_delay_alu instid0(VALU_DEP_2)
	v_cmpx_ne_u16_e32 0, v36
	s_cbranch_execz .LBB446_456
; %bb.449:                              ;   in Loop: Header=BB446_13 Depth=1
	v_bfrev_b32_e32 v35, 1
	s_mov_b32 s22, exec_lo
	v_cmpx_ne_u16_e32 0x80, v36
	s_cbranch_execz .LBB446_455
; %bb.450:                              ;   in Loop: Header=BB446_13 Depth=1
	v_and_b32_e32 v36, 0x7f, v34
	v_mov_b32_e32 v35, 0x7f800001
	s_mov_b32 s23, exec_lo
	s_delay_alu instid0(VALU_DEP_2)
	v_cmpx_ne_u32_e32 0x7f, v36
	s_cbranch_execz .LBB446_454
; %bb.451:                              ;   in Loop: Header=BB446_13 Depth=1
	v_lshrrev_b32_e32 v84, 3, v36
	v_cmp_gt_u32_e64 s1, 8, v36
	v_dual_mov_b32 v36, v20 :: v_dual_mov_b32 v35, v19
	s_delay_alu instid0(VALU_DEP_2)
	s_and_saveexec_b32 s24, s1
; %bb.452:                              ;   in Loop: Header=BB446_13 Depth=1
	v_and_b32_e32 v35, 7, v34
	s_delay_alu instid0(VALU_DEP_1) | instskip(NEXT) | instid1(VALU_DEP_1)
	v_clz_i32_u32_e32 v35, v35
	v_min_u32_e32 v84, 32, v35
	s_delay_alu instid0(VALU_DEP_1) | instskip(SKIP_1) | instid1(VALU_DEP_2)
	v_subrev_nc_u32_e32 v35, 28, v84
	v_sub_nc_u32_e32 v84, 29, v84
	v_lshlrev_b64 v[35:36], v35, v[19:20]
; %bb.453:                              ;   in Loop: Header=BB446_13 Depth=1
	s_or_b32 exec_lo, exec_lo, s24
	s_delay_alu instid0(VALU_DEP_1) | instskip(SKIP_2) | instid1(VALU_DEP_3)
	v_lshlrev_b32_e32 v35, 20, v35
	v_lshlrev_b32_e32 v36, 24, v19
	v_lshl_add_u32 v84, v84, 23, 0x3c000000
	v_and_b32_e32 v35, 0x700000, v35
	s_delay_alu instid0(VALU_DEP_3) | instskip(NEXT) | instid1(VALU_DEP_1)
	v_and_b32_e32 v36, 0x80000000, v36
	v_or3_b32 v35, v35, v36, v84
.LBB446_454:                            ;   in Loop: Header=BB446_13 Depth=1
	s_or_b32 exec_lo, exec_lo, s23
.LBB446_455:                            ;   in Loop: Header=BB446_13 Depth=1
	s_delay_alu instid0(SALU_CYCLE_1)
	s_or_b32 exec_lo, exec_lo, s22
.LBB446_456:                            ;   in Loop: Header=BB446_13 Depth=1
	s_delay_alu instid0(SALU_CYCLE_1) | instskip(NEXT) | instid1(VALU_DEP_1)
	s_or_b32 exec_lo, exec_lo, s21
	v_mul_f32_e32 v35, v187, v35
                                        ; implicit-def: $vgpr84
	s_delay_alu instid0(VALU_DEP_1) | instskip(NEXT) | instid1(VALU_DEP_1)
	v_and_b32_e32 v36, 0x7f800000, v35
	v_cmp_ne_u32_e64 s1, 0x7f800000, v36
	s_delay_alu instid0(VALU_DEP_1) | instskip(NEXT) | instid1(SALU_CYCLE_1)
	s_and_saveexec_b32 s21, s1
	s_xor_b32 s1, exec_lo, s21
; %bb.457:                              ;   in Loop: Header=BB446_13 Depth=1
	v_bfe_u32 v36, v35, 16, 1
	s_delay_alu instid0(VALU_DEP_1)
	v_add3_u32 v84, v35, v36, 0x7fff
                                        ; implicit-def: $vgpr35
; %bb.458:                              ;   in Loop: Header=BB446_13 Depth=1
	s_and_not1_saveexec_b32 s21, s1
; %bb.459:                              ;   in Loop: Header=BB446_13 Depth=1
	v_and_b32_e32 v36, 0xffff, v35
	v_or_b32_e32 v84, 0x10000, v35
	s_delay_alu instid0(VALU_DEP_2) | instskip(NEXT) | instid1(VALU_DEP_1)
	v_cmp_eq_u32_e64 s1, 0, v36
	v_cndmask_b32_e64 v84, v84, v35, s1
; %bb.460:                              ;   in Loop: Header=BB446_13 Depth=1
	s_or_b32 exec_lo, exec_lo, s21
	v_lshrrev_b16 v36, 8, v19
	v_mov_b32_e32 v35, 0
	s_mov_b32 s21, exec_lo
	s_delay_alu instid0(VALU_DEP_2)
	v_cmpx_ne_u16_e32 0, v36
	s_cbranch_execz .LBB446_468
; %bb.461:                              ;   in Loop: Header=BB446_13 Depth=1
	v_bfrev_b32_e32 v35, 1
	s_mov_b32 s22, exec_lo
	v_cmpx_ne_u16_e32 0x80, v36
	s_cbranch_execz .LBB446_467
; %bb.462:                              ;   in Loop: Header=BB446_13 Depth=1
	v_and_b32_e32 v36, 0xffff, v36
	v_mov_b32_e32 v35, 0x7f800001
	s_mov_b32 s23, exec_lo
	s_delay_alu instid0(VALU_DEP_2) | instskip(NEXT) | instid1(VALU_DEP_1)
	v_and_b32_e32 v86, 0x7f, v36
	v_cmpx_ne_u32_e32 0x7f, v86
	s_cbranch_execz .LBB446_466
; %bb.463:                              ;   in Loop: Header=BB446_13 Depth=1
	v_dual_mov_b32 v36, v20 :: v_dual_and_b32 v35, 7, v36
	v_lshrrev_b32_e32 v85, 3, v86
	s_mov_b32 s24, exec_lo
	v_cmpx_gt_u32_e32 8, v86
; %bb.464:                              ;   in Loop: Header=BB446_13 Depth=1
	s_delay_alu instid0(VALU_DEP_3) | instskip(NEXT) | instid1(VALU_DEP_1)
	v_clz_i32_u32_e32 v85, v35
	v_min_u32_e32 v85, 32, v85
	s_delay_alu instid0(VALU_DEP_1) | instskip(SKIP_1) | instid1(VALU_DEP_2)
	v_subrev_nc_u32_e32 v86, 28, v85
	v_sub_nc_u32_e32 v85, 29, v85
	v_lshlrev_b64 v[35:36], v86, v[35:36]
	s_delay_alu instid0(VALU_DEP_1)
	v_and_b32_e32 v35, 7, v35
; %bb.465:                              ;   in Loop: Header=BB446_13 Depth=1
	s_or_b32 exec_lo, exec_lo, s24
	v_lshlrev_b32_e32 v19, 16, v19
	s_delay_alu instid0(VALU_DEP_2) | instskip(SKIP_1) | instid1(VALU_DEP_3)
	v_lshlrev_b32_e32 v35, 20, v35
	v_lshl_add_u32 v36, v85, 23, 0x3c000000
	v_and_b32_e32 v19, 0x80000000, v19
	s_delay_alu instid0(VALU_DEP_1)
	v_or3_b32 v35, v35, v19, v36
.LBB446_466:                            ;   in Loop: Header=BB446_13 Depth=1
	s_or_b32 exec_lo, exec_lo, s23
.LBB446_467:                            ;   in Loop: Header=BB446_13 Depth=1
	s_delay_alu instid0(SALU_CYCLE_1)
	s_or_b32 exec_lo, exec_lo, s22
.LBB446_468:                            ;   in Loop: Header=BB446_13 Depth=1
	s_delay_alu instid0(SALU_CYCLE_1) | instskip(NEXT) | instid1(VALU_DEP_1)
	s_or_b32 exec_lo, exec_lo, s21
	v_mul_f32_e32 v19, v187, v35
                                        ; implicit-def: $vgpr85
	s_delay_alu instid0(VALU_DEP_1) | instskip(NEXT) | instid1(VALU_DEP_1)
	v_and_b32_e32 v35, 0x7f800000, v19
	v_cmp_ne_u32_e64 s1, 0x7f800000, v35
	s_delay_alu instid0(VALU_DEP_1) | instskip(NEXT) | instid1(SALU_CYCLE_1)
	s_and_saveexec_b32 s21, s1
	s_xor_b32 s1, exec_lo, s21
; %bb.469:                              ;   in Loop: Header=BB446_13 Depth=1
	v_bfe_u32 v35, v19, 16, 1
	s_delay_alu instid0(VALU_DEP_1)
	v_add3_u32 v85, v19, v35, 0x7fff
                                        ; implicit-def: $vgpr19
; %bb.470:                              ;   in Loop: Header=BB446_13 Depth=1
	s_and_not1_saveexec_b32 s21, s1
; %bb.471:                              ;   in Loop: Header=BB446_13 Depth=1
	v_and_b32_e32 v35, 0xffff, v19
	v_or_b32_e32 v36, 0x10000, v19
	s_delay_alu instid0(VALU_DEP_2) | instskip(NEXT) | instid1(VALU_DEP_1)
	v_cmp_eq_u32_e64 s1, 0, v35
	v_cndmask_b32_e64 v85, v36, v19, s1
; %bb.472:                              ;   in Loop: Header=BB446_13 Depth=1
	s_or_b32 exec_lo, exec_lo, s21
	v_lshrrev_b32_e32 v86, 16, v34
	v_mov_b32_e32 v19, 0
	s_mov_b32 s21, exec_lo
	s_delay_alu instid0(VALU_DEP_2) | instskip(NEXT) | instid1(VALU_DEP_1)
	v_and_b32_e32 v35, 0xff, v86
	v_cmpx_ne_u16_e32 0, v35
	s_cbranch_execz .LBB446_480
; %bb.473:                              ;   in Loop: Header=BB446_13 Depth=1
	v_bfrev_b32_e32 v19, 1
	s_mov_b32 s22, exec_lo
	v_cmpx_ne_u16_e32 0x80, v35
	s_cbranch_execz .LBB446_479
; %bb.474:                              ;   in Loop: Header=BB446_13 Depth=1
	v_bfe_u32 v35, v34, 16, 7
	v_mov_b32_e32 v19, 0x7f800001
	s_mov_b32 s23, exec_lo
	s_delay_alu instid0(VALU_DEP_2)
	v_cmpx_ne_u32_e32 0x7f, v35
	s_cbranch_execz .LBB446_478
; %bb.475:                              ;   in Loop: Header=BB446_13 Depth=1
	v_and_b32_e32 v19, 7, v86
	v_lshrrev_b32_e32 v87, 3, v35
	v_cmp_gt_u32_e64 s1, 8, v35
	s_delay_alu instid0(VALU_DEP_3) | instskip(NEXT) | instid1(VALU_DEP_2)
	v_dual_mov_b32 v36, v20 :: v_dual_mov_b32 v35, v19
	s_and_saveexec_b32 s24, s1
; %bb.476:                              ;   in Loop: Header=BB446_13 Depth=1
	v_clz_i32_u32_e32 v35, v19
	s_delay_alu instid0(VALU_DEP_1) | instskip(NEXT) | instid1(VALU_DEP_1)
	v_min_u32_e32 v87, 32, v35
	v_subrev_nc_u32_e32 v35, 28, v87
	v_sub_nc_u32_e32 v87, 29, v87
	s_delay_alu instid0(VALU_DEP_2) | instskip(NEXT) | instid1(VALU_DEP_1)
	v_lshlrev_b64 v[35:36], v35, v[19:20]
	v_and_b32_e32 v35, 7, v35
; %bb.477:                              ;   in Loop: Header=BB446_13 Depth=1
	s_or_b32 exec_lo, exec_lo, s24
	v_lshlrev_b32_e32 v19, 24, v86
	s_delay_alu instid0(VALU_DEP_2) | instskip(SKIP_1) | instid1(VALU_DEP_3)
	v_lshlrev_b32_e32 v35, 20, v35
	v_lshl_add_u32 v36, v87, 23, 0x3c000000
	v_and_b32_e32 v19, 0x80000000, v19
	s_delay_alu instid0(VALU_DEP_1)
	v_or3_b32 v19, v35, v19, v36
.LBB446_478:                            ;   in Loop: Header=BB446_13 Depth=1
	s_or_b32 exec_lo, exec_lo, s23
.LBB446_479:                            ;   in Loop: Header=BB446_13 Depth=1
	s_delay_alu instid0(SALU_CYCLE_1)
	s_or_b32 exec_lo, exec_lo, s22
.LBB446_480:                            ;   in Loop: Header=BB446_13 Depth=1
	s_delay_alu instid0(SALU_CYCLE_1) | instskip(NEXT) | instid1(VALU_DEP_1)
	s_or_b32 exec_lo, exec_lo, s21
	v_mul_f32_e32 v19, v187, v19
                                        ; implicit-def: $vgpr86
	s_delay_alu instid0(VALU_DEP_1) | instskip(NEXT) | instid1(VALU_DEP_1)
	v_and_b32_e32 v35, 0x7f800000, v19
	v_cmp_ne_u32_e64 s1, 0x7f800000, v35
	s_delay_alu instid0(VALU_DEP_1) | instskip(NEXT) | instid1(SALU_CYCLE_1)
	s_and_saveexec_b32 s21, s1
	s_xor_b32 s1, exec_lo, s21
; %bb.481:                              ;   in Loop: Header=BB446_13 Depth=1
	v_bfe_u32 v35, v19, 16, 1
	s_delay_alu instid0(VALU_DEP_1)
	v_add3_u32 v86, v19, v35, 0x7fff
                                        ; implicit-def: $vgpr19
; %bb.482:                              ;   in Loop: Header=BB446_13 Depth=1
	s_and_not1_saveexec_b32 s21, s1
; %bb.483:                              ;   in Loop: Header=BB446_13 Depth=1
	v_and_b32_e32 v35, 0xffff, v19
	v_or_b32_e32 v36, 0x10000, v19
	s_delay_alu instid0(VALU_DEP_2) | instskip(NEXT) | instid1(VALU_DEP_1)
	v_cmp_eq_u32_e64 s1, 0, v35
	v_cndmask_b32_e64 v86, v36, v19, s1
; %bb.484:                              ;   in Loop: Header=BB446_13 Depth=1
	s_or_b32 exec_lo, exec_lo, s21
	v_mov_b32_e32 v19, 0
	s_mov_b32 s21, exec_lo
	v_cmpx_lt_u64_e64 s[16:17], v[33:34]
	s_cbranch_execz .LBB446_492
; %bb.485:                              ;   in Loop: Header=BB446_13 Depth=1
	v_lshrrev_b32_e32 v35, 24, v34
	v_bfrev_b32_e32 v19, 1
	s_mov_b32 s22, exec_lo
	s_delay_alu instid0(VALU_DEP_2)
	v_cmpx_ne_u32_e32 0x80, v35
	s_cbranch_execz .LBB446_491
; %bb.486:                              ;   in Loop: Header=BB446_13 Depth=1
	v_bfe_u32 v33, v34, 24, 7
	v_mov_b32_e32 v19, 0x7f800001
	s_mov_b32 s23, exec_lo
	s_delay_alu instid0(VALU_DEP_2)
	v_cmpx_ne_u32_e32 0x7f, v33
	s_cbranch_execz .LBB446_490
; %bb.487:                              ;   in Loop: Header=BB446_13 Depth=1
	v_and_b32_e32 v19, 7, v35
	v_lshrrev_b32_e32 v36, 3, v33
	v_cmp_gt_u32_e64 s1, 8, v33
	s_delay_alu instid0(VALU_DEP_3) | instskip(NEXT) | instid1(VALU_DEP_2)
	v_dual_mov_b32 v34, v20 :: v_dual_mov_b32 v33, v19
	s_and_saveexec_b32 s24, s1
; %bb.488:                              ;   in Loop: Header=BB446_13 Depth=1
	v_clz_i32_u32_e32 v33, v19
	s_delay_alu instid0(VALU_DEP_1) | instskip(NEXT) | instid1(VALU_DEP_1)
	v_min_u32_e32 v36, 32, v33
	v_subrev_nc_u32_e32 v33, 28, v36
	v_sub_nc_u32_e32 v36, 29, v36
	s_delay_alu instid0(VALU_DEP_2) | instskip(NEXT) | instid1(VALU_DEP_1)
	v_lshlrev_b64 v[33:34], v33, v[19:20]
	v_and_b32_e32 v33, 7, v33
; %bb.489:                              ;   in Loop: Header=BB446_13 Depth=1
	s_or_b32 exec_lo, exec_lo, s24
	v_lshlrev_b32_e32 v19, 24, v35
	s_delay_alu instid0(VALU_DEP_2) | instskip(SKIP_1) | instid1(VALU_DEP_3)
	v_lshlrev_b32_e32 v33, 20, v33
	v_lshl_add_u32 v34, v36, 23, 0x3c000000
	v_and_b32_e32 v19, 0x80000000, v19
	s_delay_alu instid0(VALU_DEP_1)
	v_or3_b32 v19, v33, v19, v34
.LBB446_490:                            ;   in Loop: Header=BB446_13 Depth=1
	s_or_b32 exec_lo, exec_lo, s23
.LBB446_491:                            ;   in Loop: Header=BB446_13 Depth=1
	s_delay_alu instid0(SALU_CYCLE_1)
	s_or_b32 exec_lo, exec_lo, s22
.LBB446_492:                            ;   in Loop: Header=BB446_13 Depth=1
	s_delay_alu instid0(SALU_CYCLE_1) | instskip(NEXT) | instid1(VALU_DEP_1)
	s_or_b32 exec_lo, exec_lo, s21
	v_mul_f32_e32 v19, v187, v19
                                        ; implicit-def: $vgpr87
	s_delay_alu instid0(VALU_DEP_1) | instskip(NEXT) | instid1(VALU_DEP_1)
	v_and_b32_e32 v33, 0x7f800000, v19
	v_cmp_ne_u32_e64 s1, 0x7f800000, v33
	s_delay_alu instid0(VALU_DEP_1) | instskip(NEXT) | instid1(SALU_CYCLE_1)
	s_and_saveexec_b32 s21, s1
	s_xor_b32 s1, exec_lo, s21
; %bb.493:                              ;   in Loop: Header=BB446_13 Depth=1
	v_bfe_u32 v33, v19, 16, 1
	s_delay_alu instid0(VALU_DEP_1)
	v_add3_u32 v87, v19, v33, 0x7fff
                                        ; implicit-def: $vgpr19
; %bb.494:                              ;   in Loop: Header=BB446_13 Depth=1
	s_and_not1_saveexec_b32 s21, s1
; %bb.495:                              ;   in Loop: Header=BB446_13 Depth=1
	v_and_b32_e32 v33, 0xffff, v19
	v_or_b32_e32 v34, 0x10000, v19
	s_delay_alu instid0(VALU_DEP_2) | instskip(NEXT) | instid1(VALU_DEP_1)
	v_cmp_eq_u32_e64 s1, 0, v33
	v_cndmask_b32_e64 v87, v34, v19, s1
; %bb.496:                              ;   in Loop: Header=BB446_13 Depth=1
	s_or_b32 exec_lo, exec_lo, s21
	flat_load_b64 v[33:34], v[31:32] offset:1032
	v_mov_b32_e32 v19, 0
	s_mov_b32 s21, exec_lo
	s_waitcnt vmcnt(0) lgkmcnt(0)
	v_and_b32_e32 v35, 0xff, v33
	s_delay_alu instid0(VALU_DEP_1)
	v_cmpx_ne_u16_e32 0, v35
	s_cbranch_execz .LBB446_504
; %bb.497:                              ;   in Loop: Header=BB446_13 Depth=1
	v_bfrev_b32_e32 v19, 1
	s_mov_b32 s22, exec_lo
	v_cmpx_ne_u16_e32 0x80, v35
	s_cbranch_execz .LBB446_503
; %bb.498:                              ;   in Loop: Header=BB446_13 Depth=1
	v_and_b32_e32 v35, 0x7f, v33
	v_mov_b32_e32 v19, 0x7f800001
	s_mov_b32 s23, exec_lo
	s_delay_alu instid0(VALU_DEP_2)
	v_cmpx_ne_u32_e32 0x7f, v35
	s_cbranch_execz .LBB446_502
; %bb.499:                              ;   in Loop: Header=BB446_13 Depth=1
	v_lshrrev_b32_e32 v19, 3, v35
	v_cmp_gt_u32_e64 s1, 8, v35
	v_dual_mov_b32 v36, v34 :: v_dual_mov_b32 v35, v33
	s_delay_alu instid0(VALU_DEP_2)
	s_and_saveexec_b32 s24, s1
; %bb.500:                              ;   in Loop: Header=BB446_13 Depth=1
	v_and_b32_e32 v19, 7, v33
	s_delay_alu instid0(VALU_DEP_1) | instskip(NEXT) | instid1(VALU_DEP_1)
	v_clz_i32_u32_e32 v19, v19
	v_min_u32_e32 v19, 32, v19
	s_delay_alu instid0(VALU_DEP_1) | instskip(SKIP_1) | instid1(VALU_DEP_2)
	v_subrev_nc_u32_e32 v35, 28, v19
	v_sub_nc_u32_e32 v19, 29, v19
	v_lshlrev_b64 v[35:36], v35, v[33:34]
; %bb.501:                              ;   in Loop: Header=BB446_13 Depth=1
	s_or_b32 exec_lo, exec_lo, s24
	s_delay_alu instid0(VALU_DEP_1) | instskip(SKIP_2) | instid1(VALU_DEP_3)
	v_lshlrev_b32_e32 v35, 20, v35
	v_lshlrev_b32_e32 v36, 24, v33
	v_lshl_add_u32 v19, v19, 23, 0x3c000000
	v_and_b32_e32 v35, 0x700000, v35
	s_delay_alu instid0(VALU_DEP_3) | instskip(NEXT) | instid1(VALU_DEP_1)
	v_and_b32_e32 v36, 0x80000000, v36
	v_or3_b32 v19, v35, v36, v19
.LBB446_502:                            ;   in Loop: Header=BB446_13 Depth=1
	s_or_b32 exec_lo, exec_lo, s23
.LBB446_503:                            ;   in Loop: Header=BB446_13 Depth=1
	s_delay_alu instid0(SALU_CYCLE_1)
	s_or_b32 exec_lo, exec_lo, s22
.LBB446_504:                            ;   in Loop: Header=BB446_13 Depth=1
	s_delay_alu instid0(SALU_CYCLE_1) | instskip(NEXT) | instid1(VALU_DEP_1)
	s_or_b32 exec_lo, exec_lo, s21
	v_mul_f32_e32 v19, v187, v19
                                        ; implicit-def: $vgpr96
	s_delay_alu instid0(VALU_DEP_1) | instskip(NEXT) | instid1(VALU_DEP_1)
	v_and_b32_e32 v35, 0x7f800000, v19
	v_cmp_ne_u32_e64 s1, 0x7f800000, v35
	s_delay_alu instid0(VALU_DEP_1) | instskip(NEXT) | instid1(SALU_CYCLE_1)
	s_and_saveexec_b32 s21, s1
	s_xor_b32 s1, exec_lo, s21
; %bb.505:                              ;   in Loop: Header=BB446_13 Depth=1
	v_bfe_u32 v35, v19, 16, 1
	s_delay_alu instid0(VALU_DEP_1)
	v_add3_u32 v96, v19, v35, 0x7fff
                                        ; implicit-def: $vgpr19
; %bb.506:                              ;   in Loop: Header=BB446_13 Depth=1
	s_and_not1_saveexec_b32 s21, s1
; %bb.507:                              ;   in Loop: Header=BB446_13 Depth=1
	v_and_b32_e32 v35, 0xffff, v19
	v_or_b32_e32 v36, 0x10000, v19
	s_delay_alu instid0(VALU_DEP_2) | instskip(NEXT) | instid1(VALU_DEP_1)
	v_cmp_eq_u32_e64 s1, 0, v35
	v_cndmask_b32_e64 v96, v36, v19, s1
; %bb.508:                              ;   in Loop: Header=BB446_13 Depth=1
	s_or_b32 exec_lo, exec_lo, s21
	v_lshrrev_b16 v35, 8, v33
	v_mov_b32_e32 v19, 0
	s_mov_b32 s21, exec_lo
	s_delay_alu instid0(VALU_DEP_2)
	v_cmpx_ne_u16_e32 0, v35
	s_cbranch_execz .LBB446_516
; %bb.509:                              ;   in Loop: Header=BB446_13 Depth=1
	v_bfrev_b32_e32 v19, 1
	s_mov_b32 s22, exec_lo
	v_cmpx_ne_u16_e32 0x80, v35
	s_cbranch_execz .LBB446_515
; %bb.510:                              ;   in Loop: Header=BB446_13 Depth=1
	v_and_b32_e32 v36, 0xffff, v35
	v_mov_b32_e32 v19, 0x7f800001
	s_mov_b32 s23, exec_lo
	s_delay_alu instid0(VALU_DEP_2) | instskip(NEXT) | instid1(VALU_DEP_1)
	v_and_b32_e32 v35, 0x7f, v36
	v_cmpx_ne_u32_e32 0x7f, v35
	s_cbranch_execz .LBB446_514
; %bb.511:                              ;   in Loop: Header=BB446_13 Depth=1
	v_and_b32_e32 v19, 7, v36
	v_lshrrev_b32_e32 v97, 3, v35
	v_cmp_gt_u32_e64 s1, 8, v35
	s_delay_alu instid0(VALU_DEP_3) | instskip(NEXT) | instid1(VALU_DEP_2)
	v_dual_mov_b32 v36, v20 :: v_dual_mov_b32 v35, v19
	s_and_saveexec_b32 s24, s1
; %bb.512:                              ;   in Loop: Header=BB446_13 Depth=1
	v_clz_i32_u32_e32 v35, v19
	s_delay_alu instid0(VALU_DEP_1) | instskip(NEXT) | instid1(VALU_DEP_1)
	v_min_u32_e32 v97, 32, v35
	v_subrev_nc_u32_e32 v35, 28, v97
	v_sub_nc_u32_e32 v97, 29, v97
	s_delay_alu instid0(VALU_DEP_2) | instskip(NEXT) | instid1(VALU_DEP_1)
	v_lshlrev_b64 v[35:36], v35, v[19:20]
	v_and_b32_e32 v35, 7, v35
; %bb.513:                              ;   in Loop: Header=BB446_13 Depth=1
	s_or_b32 exec_lo, exec_lo, s24
	v_lshlrev_b32_e32 v19, 16, v33
	s_delay_alu instid0(VALU_DEP_2) | instskip(SKIP_1) | instid1(VALU_DEP_3)
	v_lshlrev_b32_e32 v35, 20, v35
	v_lshl_add_u32 v36, v97, 23, 0x3c000000
	v_and_b32_e32 v19, 0x80000000, v19
	s_delay_alu instid0(VALU_DEP_1)
	v_or3_b32 v19, v35, v19, v36
.LBB446_514:                            ;   in Loop: Header=BB446_13 Depth=1
	s_or_b32 exec_lo, exec_lo, s23
.LBB446_515:                            ;   in Loop: Header=BB446_13 Depth=1
	s_delay_alu instid0(SALU_CYCLE_1)
	s_or_b32 exec_lo, exec_lo, s22
.LBB446_516:                            ;   in Loop: Header=BB446_13 Depth=1
	s_delay_alu instid0(SALU_CYCLE_1) | instskip(NEXT) | instid1(VALU_DEP_1)
	s_or_b32 exec_lo, exec_lo, s21
	v_mul_f32_e32 v19, v187, v19
                                        ; implicit-def: $vgpr97
	s_delay_alu instid0(VALU_DEP_1) | instskip(NEXT) | instid1(VALU_DEP_1)
	v_and_b32_e32 v35, 0x7f800000, v19
	v_cmp_ne_u32_e64 s1, 0x7f800000, v35
	s_delay_alu instid0(VALU_DEP_1) | instskip(NEXT) | instid1(SALU_CYCLE_1)
	s_and_saveexec_b32 s21, s1
	s_xor_b32 s1, exec_lo, s21
; %bb.517:                              ;   in Loop: Header=BB446_13 Depth=1
	v_bfe_u32 v35, v19, 16, 1
	s_delay_alu instid0(VALU_DEP_1)
	v_add3_u32 v97, v19, v35, 0x7fff
                                        ; implicit-def: $vgpr19
; %bb.518:                              ;   in Loop: Header=BB446_13 Depth=1
	s_and_not1_saveexec_b32 s21, s1
; %bb.519:                              ;   in Loop: Header=BB446_13 Depth=1
	v_and_b32_e32 v35, 0xffff, v19
	v_or_b32_e32 v36, 0x10000, v19
	s_delay_alu instid0(VALU_DEP_2) | instskip(NEXT) | instid1(VALU_DEP_1)
	v_cmp_eq_u32_e64 s1, 0, v35
	v_cndmask_b32_e64 v97, v36, v19, s1
; %bb.520:                              ;   in Loop: Header=BB446_13 Depth=1
	s_or_b32 exec_lo, exec_lo, s21
	v_lshrrev_b32_e32 v98, 16, v33
	v_mov_b32_e32 v19, 0
	s_mov_b32 s21, exec_lo
	s_delay_alu instid0(VALU_DEP_2) | instskip(NEXT) | instid1(VALU_DEP_1)
	v_and_b32_e32 v35, 0xff, v98
	v_cmpx_ne_u16_e32 0, v35
	s_cbranch_execz .LBB446_528
; %bb.521:                              ;   in Loop: Header=BB446_13 Depth=1
	v_bfrev_b32_e32 v19, 1
	s_mov_b32 s22, exec_lo
	v_cmpx_ne_u16_e32 0x80, v35
	s_cbranch_execz .LBB446_527
; %bb.522:                              ;   in Loop: Header=BB446_13 Depth=1
	v_bfe_u32 v35, v33, 16, 7
	v_mov_b32_e32 v19, 0x7f800001
	s_mov_b32 s23, exec_lo
	s_delay_alu instid0(VALU_DEP_2)
	v_cmpx_ne_u32_e32 0x7f, v35
	s_cbranch_execz .LBB446_526
; %bb.523:                              ;   in Loop: Header=BB446_13 Depth=1
	v_and_b32_e32 v19, 7, v98
	v_lshrrev_b32_e32 v99, 3, v35
	v_cmp_gt_u32_e64 s1, 8, v35
	s_delay_alu instid0(VALU_DEP_3) | instskip(NEXT) | instid1(VALU_DEP_2)
	v_dual_mov_b32 v36, v20 :: v_dual_mov_b32 v35, v19
	s_and_saveexec_b32 s24, s1
; %bb.524:                              ;   in Loop: Header=BB446_13 Depth=1
	v_clz_i32_u32_e32 v35, v19
	s_delay_alu instid0(VALU_DEP_1) | instskip(NEXT) | instid1(VALU_DEP_1)
	v_min_u32_e32 v99, 32, v35
	v_subrev_nc_u32_e32 v35, 28, v99
	v_sub_nc_u32_e32 v99, 29, v99
	s_delay_alu instid0(VALU_DEP_2) | instskip(NEXT) | instid1(VALU_DEP_1)
	v_lshlrev_b64 v[35:36], v35, v[19:20]
	v_and_b32_e32 v35, 7, v35
; %bb.525:                              ;   in Loop: Header=BB446_13 Depth=1
	s_or_b32 exec_lo, exec_lo, s24
	v_lshlrev_b32_e32 v19, 24, v98
	s_delay_alu instid0(VALU_DEP_2) | instskip(SKIP_1) | instid1(VALU_DEP_3)
	v_lshlrev_b32_e32 v35, 20, v35
	v_lshl_add_u32 v36, v99, 23, 0x3c000000
	v_and_b32_e32 v19, 0x80000000, v19
	s_delay_alu instid0(VALU_DEP_1)
	v_or3_b32 v19, v35, v19, v36
.LBB446_526:                            ;   in Loop: Header=BB446_13 Depth=1
	s_or_b32 exec_lo, exec_lo, s23
.LBB446_527:                            ;   in Loop: Header=BB446_13 Depth=1
	s_delay_alu instid0(SALU_CYCLE_1)
	s_or_b32 exec_lo, exec_lo, s22
.LBB446_528:                            ;   in Loop: Header=BB446_13 Depth=1
	s_delay_alu instid0(SALU_CYCLE_1) | instskip(NEXT) | instid1(VALU_DEP_1)
	s_or_b32 exec_lo, exec_lo, s21
	v_mul_f32_e32 v19, v187, v19
                                        ; implicit-def: $vgpr98
	s_delay_alu instid0(VALU_DEP_1) | instskip(NEXT) | instid1(VALU_DEP_1)
	v_and_b32_e32 v35, 0x7f800000, v19
	v_cmp_ne_u32_e64 s1, 0x7f800000, v35
	s_delay_alu instid0(VALU_DEP_1) | instskip(NEXT) | instid1(SALU_CYCLE_1)
	s_and_saveexec_b32 s21, s1
	s_xor_b32 s1, exec_lo, s21
; %bb.529:                              ;   in Loop: Header=BB446_13 Depth=1
	v_bfe_u32 v35, v19, 16, 1
	s_delay_alu instid0(VALU_DEP_1)
	v_add3_u32 v98, v19, v35, 0x7fff
                                        ; implicit-def: $vgpr19
; %bb.530:                              ;   in Loop: Header=BB446_13 Depth=1
	s_and_not1_saveexec_b32 s21, s1
; %bb.531:                              ;   in Loop: Header=BB446_13 Depth=1
	v_and_b32_e32 v35, 0xffff, v19
	v_or_b32_e32 v36, 0x10000, v19
	s_delay_alu instid0(VALU_DEP_2) | instskip(NEXT) | instid1(VALU_DEP_1)
	v_cmp_eq_u32_e64 s1, 0, v35
	v_cndmask_b32_e64 v98, v36, v19, s1
; %bb.532:                              ;   in Loop: Header=BB446_13 Depth=1
	s_or_b32 exec_lo, exec_lo, s21
	v_mov_b32_e32 v19, 0
	s_mov_b32 s21, exec_lo
	v_cmpx_lt_u32_e32 0xffffff, v33
	s_cbranch_execz .LBB446_540
; %bb.533:                              ;   in Loop: Header=BB446_13 Depth=1
	v_lshrrev_b32_e32 v99, 24, v33
	v_bfrev_b32_e32 v19, 1
	s_mov_b32 s22, exec_lo
	s_delay_alu instid0(VALU_DEP_2)
	v_cmpx_ne_u32_e32 0x80, v99
	s_cbranch_execz .LBB446_539
; %bb.534:                              ;   in Loop: Header=BB446_13 Depth=1
	v_bfe_u32 v35, v33, 24, 7
	v_mov_b32_e32 v19, 0x7f800001
	s_mov_b32 s23, exec_lo
	s_delay_alu instid0(VALU_DEP_2)
	v_cmpx_ne_u32_e32 0x7f, v35
	s_cbranch_execz .LBB446_538
; %bb.535:                              ;   in Loop: Header=BB446_13 Depth=1
	v_and_b32_e32 v19, 7, v99
	v_lshrrev_b32_e32 v100, 3, v35
	v_cmp_gt_u32_e64 s1, 8, v35
	s_delay_alu instid0(VALU_DEP_3) | instskip(NEXT) | instid1(VALU_DEP_2)
	v_dual_mov_b32 v36, v20 :: v_dual_mov_b32 v35, v19
	s_and_saveexec_b32 s24, s1
; %bb.536:                              ;   in Loop: Header=BB446_13 Depth=1
	v_clz_i32_u32_e32 v35, v19
	s_delay_alu instid0(VALU_DEP_1) | instskip(NEXT) | instid1(VALU_DEP_1)
	v_min_u32_e32 v100, 32, v35
	v_subrev_nc_u32_e32 v35, 28, v100
	v_sub_nc_u32_e32 v100, 29, v100
	s_delay_alu instid0(VALU_DEP_2) | instskip(NEXT) | instid1(VALU_DEP_1)
	v_lshlrev_b64 v[35:36], v35, v[19:20]
	v_and_b32_e32 v35, 7, v35
; %bb.537:                              ;   in Loop: Header=BB446_13 Depth=1
	s_or_b32 exec_lo, exec_lo, s24
	v_lshlrev_b32_e32 v19, 24, v99
	s_delay_alu instid0(VALU_DEP_2) | instskip(SKIP_1) | instid1(VALU_DEP_3)
	v_lshlrev_b32_e32 v35, 20, v35
	v_lshl_add_u32 v36, v100, 23, 0x3c000000
	v_and_b32_e32 v19, 0x80000000, v19
	s_delay_alu instid0(VALU_DEP_1)
	v_or3_b32 v19, v35, v19, v36
.LBB446_538:                            ;   in Loop: Header=BB446_13 Depth=1
	s_or_b32 exec_lo, exec_lo, s23
.LBB446_539:                            ;   in Loop: Header=BB446_13 Depth=1
	s_delay_alu instid0(SALU_CYCLE_1)
	s_or_b32 exec_lo, exec_lo, s22
.LBB446_540:                            ;   in Loop: Header=BB446_13 Depth=1
	s_delay_alu instid0(SALU_CYCLE_1) | instskip(NEXT) | instid1(VALU_DEP_1)
	s_or_b32 exec_lo, exec_lo, s21
	v_mul_f32_e32 v19, v187, v19
                                        ; implicit-def: $vgpr99
	s_delay_alu instid0(VALU_DEP_1) | instskip(NEXT) | instid1(VALU_DEP_1)
	v_and_b32_e32 v35, 0x7f800000, v19
	v_cmp_ne_u32_e64 s1, 0x7f800000, v35
	s_delay_alu instid0(VALU_DEP_1) | instskip(NEXT) | instid1(SALU_CYCLE_1)
	s_and_saveexec_b32 s21, s1
	s_xor_b32 s1, exec_lo, s21
; %bb.541:                              ;   in Loop: Header=BB446_13 Depth=1
	v_bfe_u32 v35, v19, 16, 1
	s_delay_alu instid0(VALU_DEP_1)
	v_add3_u32 v99, v19, v35, 0x7fff
                                        ; implicit-def: $vgpr19
; %bb.542:                              ;   in Loop: Header=BB446_13 Depth=1
	s_and_not1_saveexec_b32 s21, s1
; %bb.543:                              ;   in Loop: Header=BB446_13 Depth=1
	v_and_b32_e32 v35, 0xffff, v19
	v_or_b32_e32 v36, 0x10000, v19
	s_delay_alu instid0(VALU_DEP_2) | instskip(NEXT) | instid1(VALU_DEP_1)
	v_cmp_eq_u32_e64 s1, 0, v35
	v_cndmask_b32_e64 v99, v36, v19, s1
; %bb.544:                              ;   in Loop: Header=BB446_13 Depth=1
	s_or_b32 exec_lo, exec_lo, s21
	v_dual_mov_b32 v19, v34 :: v_dual_and_b32 v36, 0xff, v34
	v_mov_b32_e32 v35, 0
	s_mov_b32 s21, exec_lo
	s_delay_alu instid0(VALU_DEP_2)
	v_cmpx_ne_u16_e32 0, v36
	s_cbranch_execz .LBB446_552
; %bb.545:                              ;   in Loop: Header=BB446_13 Depth=1
	v_bfrev_b32_e32 v35, 1
	s_mov_b32 s22, exec_lo
	v_cmpx_ne_u16_e32 0x80, v36
	s_cbranch_execz .LBB446_551
; %bb.546:                              ;   in Loop: Header=BB446_13 Depth=1
	v_and_b32_e32 v36, 0x7f, v34
	v_mov_b32_e32 v35, 0x7f800001
	s_mov_b32 s23, exec_lo
	s_delay_alu instid0(VALU_DEP_2)
	v_cmpx_ne_u32_e32 0x7f, v36
	s_cbranch_execz .LBB446_550
; %bb.547:                              ;   in Loop: Header=BB446_13 Depth=1
	v_lshrrev_b32_e32 v100, 3, v36
	v_cmp_gt_u32_e64 s1, 8, v36
	v_dual_mov_b32 v36, v20 :: v_dual_mov_b32 v35, v19
	s_delay_alu instid0(VALU_DEP_2)
	s_and_saveexec_b32 s24, s1
; %bb.548:                              ;   in Loop: Header=BB446_13 Depth=1
	v_and_b32_e32 v35, 7, v34
	s_delay_alu instid0(VALU_DEP_1) | instskip(NEXT) | instid1(VALU_DEP_1)
	v_clz_i32_u32_e32 v35, v35
	v_min_u32_e32 v100, 32, v35
	s_delay_alu instid0(VALU_DEP_1) | instskip(SKIP_1) | instid1(VALU_DEP_2)
	v_subrev_nc_u32_e32 v35, 28, v100
	v_sub_nc_u32_e32 v100, 29, v100
	v_lshlrev_b64 v[35:36], v35, v[19:20]
; %bb.549:                              ;   in Loop: Header=BB446_13 Depth=1
	s_or_b32 exec_lo, exec_lo, s24
	s_delay_alu instid0(VALU_DEP_1) | instskip(SKIP_2) | instid1(VALU_DEP_3)
	v_lshlrev_b32_e32 v35, 20, v35
	v_lshlrev_b32_e32 v36, 24, v19
	v_lshl_add_u32 v100, v100, 23, 0x3c000000
	v_and_b32_e32 v35, 0x700000, v35
	s_delay_alu instid0(VALU_DEP_3) | instskip(NEXT) | instid1(VALU_DEP_1)
	v_and_b32_e32 v36, 0x80000000, v36
	v_or3_b32 v35, v35, v36, v100
.LBB446_550:                            ;   in Loop: Header=BB446_13 Depth=1
	s_or_b32 exec_lo, exec_lo, s23
.LBB446_551:                            ;   in Loop: Header=BB446_13 Depth=1
	s_delay_alu instid0(SALU_CYCLE_1)
	s_or_b32 exec_lo, exec_lo, s22
.LBB446_552:                            ;   in Loop: Header=BB446_13 Depth=1
	s_delay_alu instid0(SALU_CYCLE_1) | instskip(NEXT) | instid1(VALU_DEP_1)
	s_or_b32 exec_lo, exec_lo, s21
	v_mul_f32_e32 v35, v187, v35
                                        ; implicit-def: $vgpr100
	s_delay_alu instid0(VALU_DEP_1) | instskip(NEXT) | instid1(VALU_DEP_1)
	v_and_b32_e32 v36, 0x7f800000, v35
	v_cmp_ne_u32_e64 s1, 0x7f800000, v36
	s_delay_alu instid0(VALU_DEP_1) | instskip(NEXT) | instid1(SALU_CYCLE_1)
	s_and_saveexec_b32 s21, s1
	s_xor_b32 s1, exec_lo, s21
; %bb.553:                              ;   in Loop: Header=BB446_13 Depth=1
	v_bfe_u32 v36, v35, 16, 1
	s_delay_alu instid0(VALU_DEP_1)
	v_add3_u32 v100, v35, v36, 0x7fff
                                        ; implicit-def: $vgpr35
; %bb.554:                              ;   in Loop: Header=BB446_13 Depth=1
	s_and_not1_saveexec_b32 s21, s1
; %bb.555:                              ;   in Loop: Header=BB446_13 Depth=1
	v_and_b32_e32 v36, 0xffff, v35
	v_or_b32_e32 v100, 0x10000, v35
	s_delay_alu instid0(VALU_DEP_2) | instskip(NEXT) | instid1(VALU_DEP_1)
	v_cmp_eq_u32_e64 s1, 0, v36
	v_cndmask_b32_e64 v100, v100, v35, s1
; %bb.556:                              ;   in Loop: Header=BB446_13 Depth=1
	s_or_b32 exec_lo, exec_lo, s21
	v_lshrrev_b16 v36, 8, v19
	v_mov_b32_e32 v35, 0
	s_mov_b32 s21, exec_lo
	s_delay_alu instid0(VALU_DEP_2)
	v_cmpx_ne_u16_e32 0, v36
	s_cbranch_execz .LBB446_564
; %bb.557:                              ;   in Loop: Header=BB446_13 Depth=1
	v_bfrev_b32_e32 v35, 1
	s_mov_b32 s22, exec_lo
	v_cmpx_ne_u16_e32 0x80, v36
	s_cbranch_execz .LBB446_563
; %bb.558:                              ;   in Loop: Header=BB446_13 Depth=1
	v_and_b32_e32 v36, 0xffff, v36
	v_mov_b32_e32 v35, 0x7f800001
	s_mov_b32 s23, exec_lo
	s_delay_alu instid0(VALU_DEP_2) | instskip(NEXT) | instid1(VALU_DEP_1)
	v_and_b32_e32 v102, 0x7f, v36
	v_cmpx_ne_u32_e32 0x7f, v102
	s_cbranch_execz .LBB446_562
; %bb.559:                              ;   in Loop: Header=BB446_13 Depth=1
	v_dual_mov_b32 v36, v20 :: v_dual_and_b32 v35, 7, v36
	v_lshrrev_b32_e32 v101, 3, v102
	s_mov_b32 s24, exec_lo
	v_cmpx_gt_u32_e32 8, v102
; %bb.560:                              ;   in Loop: Header=BB446_13 Depth=1
	s_delay_alu instid0(VALU_DEP_3) | instskip(NEXT) | instid1(VALU_DEP_1)
	v_clz_i32_u32_e32 v101, v35
	v_min_u32_e32 v101, 32, v101
	s_delay_alu instid0(VALU_DEP_1) | instskip(SKIP_1) | instid1(VALU_DEP_2)
	v_subrev_nc_u32_e32 v102, 28, v101
	v_sub_nc_u32_e32 v101, 29, v101
	v_lshlrev_b64 v[35:36], v102, v[35:36]
	s_delay_alu instid0(VALU_DEP_1)
	v_and_b32_e32 v35, 7, v35
; %bb.561:                              ;   in Loop: Header=BB446_13 Depth=1
	s_or_b32 exec_lo, exec_lo, s24
	v_lshlrev_b32_e32 v19, 16, v19
	s_delay_alu instid0(VALU_DEP_2) | instskip(SKIP_1) | instid1(VALU_DEP_3)
	v_lshlrev_b32_e32 v35, 20, v35
	v_lshl_add_u32 v36, v101, 23, 0x3c000000
	v_and_b32_e32 v19, 0x80000000, v19
	s_delay_alu instid0(VALU_DEP_1)
	v_or3_b32 v35, v35, v19, v36
.LBB446_562:                            ;   in Loop: Header=BB446_13 Depth=1
	s_or_b32 exec_lo, exec_lo, s23
.LBB446_563:                            ;   in Loop: Header=BB446_13 Depth=1
	s_delay_alu instid0(SALU_CYCLE_1)
	s_or_b32 exec_lo, exec_lo, s22
.LBB446_564:                            ;   in Loop: Header=BB446_13 Depth=1
	s_delay_alu instid0(SALU_CYCLE_1) | instskip(NEXT) | instid1(VALU_DEP_1)
	s_or_b32 exec_lo, exec_lo, s21
	v_mul_f32_e32 v19, v187, v35
                                        ; implicit-def: $vgpr101
	s_delay_alu instid0(VALU_DEP_1) | instskip(NEXT) | instid1(VALU_DEP_1)
	v_and_b32_e32 v35, 0x7f800000, v19
	v_cmp_ne_u32_e64 s1, 0x7f800000, v35
	s_delay_alu instid0(VALU_DEP_1) | instskip(NEXT) | instid1(SALU_CYCLE_1)
	s_and_saveexec_b32 s21, s1
	s_xor_b32 s1, exec_lo, s21
; %bb.565:                              ;   in Loop: Header=BB446_13 Depth=1
	v_bfe_u32 v35, v19, 16, 1
	s_delay_alu instid0(VALU_DEP_1)
	v_add3_u32 v101, v19, v35, 0x7fff
                                        ; implicit-def: $vgpr19
; %bb.566:                              ;   in Loop: Header=BB446_13 Depth=1
	s_and_not1_saveexec_b32 s21, s1
; %bb.567:                              ;   in Loop: Header=BB446_13 Depth=1
	v_and_b32_e32 v35, 0xffff, v19
	v_or_b32_e32 v36, 0x10000, v19
	s_delay_alu instid0(VALU_DEP_2) | instskip(NEXT) | instid1(VALU_DEP_1)
	v_cmp_eq_u32_e64 s1, 0, v35
	v_cndmask_b32_e64 v101, v36, v19, s1
; %bb.568:                              ;   in Loop: Header=BB446_13 Depth=1
	s_or_b32 exec_lo, exec_lo, s21
	v_lshrrev_b32_e32 v102, 16, v34
	v_mov_b32_e32 v19, 0
	s_mov_b32 s21, exec_lo
	s_delay_alu instid0(VALU_DEP_2) | instskip(NEXT) | instid1(VALU_DEP_1)
	v_and_b32_e32 v35, 0xff, v102
	v_cmpx_ne_u16_e32 0, v35
	s_cbranch_execz .LBB446_576
; %bb.569:                              ;   in Loop: Header=BB446_13 Depth=1
	v_bfrev_b32_e32 v19, 1
	s_mov_b32 s22, exec_lo
	v_cmpx_ne_u16_e32 0x80, v35
	s_cbranch_execz .LBB446_575
; %bb.570:                              ;   in Loop: Header=BB446_13 Depth=1
	v_bfe_u32 v35, v34, 16, 7
	v_mov_b32_e32 v19, 0x7f800001
	s_mov_b32 s23, exec_lo
	s_delay_alu instid0(VALU_DEP_2)
	v_cmpx_ne_u32_e32 0x7f, v35
	s_cbranch_execz .LBB446_574
; %bb.571:                              ;   in Loop: Header=BB446_13 Depth=1
	v_and_b32_e32 v19, 7, v102
	v_lshrrev_b32_e32 v103, 3, v35
	v_cmp_gt_u32_e64 s1, 8, v35
	s_delay_alu instid0(VALU_DEP_3) | instskip(NEXT) | instid1(VALU_DEP_2)
	v_dual_mov_b32 v36, v20 :: v_dual_mov_b32 v35, v19
	s_and_saveexec_b32 s24, s1
; %bb.572:                              ;   in Loop: Header=BB446_13 Depth=1
	v_clz_i32_u32_e32 v35, v19
	s_delay_alu instid0(VALU_DEP_1) | instskip(NEXT) | instid1(VALU_DEP_1)
	v_min_u32_e32 v103, 32, v35
	v_subrev_nc_u32_e32 v35, 28, v103
	v_sub_nc_u32_e32 v103, 29, v103
	s_delay_alu instid0(VALU_DEP_2) | instskip(NEXT) | instid1(VALU_DEP_1)
	v_lshlrev_b64 v[35:36], v35, v[19:20]
	v_and_b32_e32 v35, 7, v35
; %bb.573:                              ;   in Loop: Header=BB446_13 Depth=1
	s_or_b32 exec_lo, exec_lo, s24
	v_lshlrev_b32_e32 v19, 24, v102
	s_delay_alu instid0(VALU_DEP_2) | instskip(SKIP_1) | instid1(VALU_DEP_3)
	v_lshlrev_b32_e32 v35, 20, v35
	v_lshl_add_u32 v36, v103, 23, 0x3c000000
	v_and_b32_e32 v19, 0x80000000, v19
	s_delay_alu instid0(VALU_DEP_1)
	v_or3_b32 v19, v35, v19, v36
.LBB446_574:                            ;   in Loop: Header=BB446_13 Depth=1
	s_or_b32 exec_lo, exec_lo, s23
.LBB446_575:                            ;   in Loop: Header=BB446_13 Depth=1
	s_delay_alu instid0(SALU_CYCLE_1)
	s_or_b32 exec_lo, exec_lo, s22
.LBB446_576:                            ;   in Loop: Header=BB446_13 Depth=1
	s_delay_alu instid0(SALU_CYCLE_1) | instskip(NEXT) | instid1(VALU_DEP_1)
	s_or_b32 exec_lo, exec_lo, s21
	v_mul_f32_e32 v19, v187, v19
                                        ; implicit-def: $vgpr102
	s_delay_alu instid0(VALU_DEP_1) | instskip(NEXT) | instid1(VALU_DEP_1)
	v_and_b32_e32 v35, 0x7f800000, v19
	v_cmp_ne_u32_e64 s1, 0x7f800000, v35
	s_delay_alu instid0(VALU_DEP_1) | instskip(NEXT) | instid1(SALU_CYCLE_1)
	s_and_saveexec_b32 s21, s1
	s_xor_b32 s1, exec_lo, s21
; %bb.577:                              ;   in Loop: Header=BB446_13 Depth=1
	v_bfe_u32 v35, v19, 16, 1
	s_delay_alu instid0(VALU_DEP_1)
	v_add3_u32 v102, v19, v35, 0x7fff
                                        ; implicit-def: $vgpr19
; %bb.578:                              ;   in Loop: Header=BB446_13 Depth=1
	s_and_not1_saveexec_b32 s21, s1
; %bb.579:                              ;   in Loop: Header=BB446_13 Depth=1
	v_and_b32_e32 v35, 0xffff, v19
	v_or_b32_e32 v36, 0x10000, v19
	s_delay_alu instid0(VALU_DEP_2) | instskip(NEXT) | instid1(VALU_DEP_1)
	v_cmp_eq_u32_e64 s1, 0, v35
	v_cndmask_b32_e64 v102, v36, v19, s1
; %bb.580:                              ;   in Loop: Header=BB446_13 Depth=1
	s_or_b32 exec_lo, exec_lo, s21
	v_mov_b32_e32 v19, 0
	s_mov_b32 s21, exec_lo
	v_cmpx_lt_u64_e64 s[16:17], v[33:34]
	s_cbranch_execz .LBB446_588
; %bb.581:                              ;   in Loop: Header=BB446_13 Depth=1
	v_lshrrev_b32_e32 v35, 24, v34
	v_bfrev_b32_e32 v19, 1
	s_mov_b32 s22, exec_lo
	s_delay_alu instid0(VALU_DEP_2)
	v_cmpx_ne_u32_e32 0x80, v35
	s_cbranch_execz .LBB446_587
; %bb.582:                              ;   in Loop: Header=BB446_13 Depth=1
	v_bfe_u32 v33, v34, 24, 7
	v_mov_b32_e32 v19, 0x7f800001
	s_mov_b32 s23, exec_lo
	s_delay_alu instid0(VALU_DEP_2)
	v_cmpx_ne_u32_e32 0x7f, v33
	s_cbranch_execz .LBB446_586
; %bb.583:                              ;   in Loop: Header=BB446_13 Depth=1
	v_and_b32_e32 v19, 7, v35
	v_lshrrev_b32_e32 v36, 3, v33
	v_cmp_gt_u32_e64 s1, 8, v33
	s_delay_alu instid0(VALU_DEP_3) | instskip(NEXT) | instid1(VALU_DEP_2)
	v_dual_mov_b32 v34, v20 :: v_dual_mov_b32 v33, v19
	s_and_saveexec_b32 s24, s1
; %bb.584:                              ;   in Loop: Header=BB446_13 Depth=1
	v_clz_i32_u32_e32 v33, v19
	s_delay_alu instid0(VALU_DEP_1) | instskip(NEXT) | instid1(VALU_DEP_1)
	v_min_u32_e32 v36, 32, v33
	v_subrev_nc_u32_e32 v33, 28, v36
	v_sub_nc_u32_e32 v36, 29, v36
	s_delay_alu instid0(VALU_DEP_2) | instskip(NEXT) | instid1(VALU_DEP_1)
	v_lshlrev_b64 v[33:34], v33, v[19:20]
	v_and_b32_e32 v33, 7, v33
; %bb.585:                              ;   in Loop: Header=BB446_13 Depth=1
	s_or_b32 exec_lo, exec_lo, s24
	v_lshlrev_b32_e32 v19, 24, v35
	s_delay_alu instid0(VALU_DEP_2) | instskip(SKIP_1) | instid1(VALU_DEP_3)
	v_lshlrev_b32_e32 v33, 20, v33
	v_lshl_add_u32 v34, v36, 23, 0x3c000000
	v_and_b32_e32 v19, 0x80000000, v19
	s_delay_alu instid0(VALU_DEP_1)
	v_or3_b32 v19, v33, v19, v34
.LBB446_586:                            ;   in Loop: Header=BB446_13 Depth=1
	s_or_b32 exec_lo, exec_lo, s23
.LBB446_587:                            ;   in Loop: Header=BB446_13 Depth=1
	s_delay_alu instid0(SALU_CYCLE_1)
	s_or_b32 exec_lo, exec_lo, s22
.LBB446_588:                            ;   in Loop: Header=BB446_13 Depth=1
	s_delay_alu instid0(SALU_CYCLE_1) | instskip(NEXT) | instid1(VALU_DEP_1)
	s_or_b32 exec_lo, exec_lo, s21
	v_mul_f32_e32 v19, v187, v19
                                        ; implicit-def: $vgpr103
	s_delay_alu instid0(VALU_DEP_1) | instskip(NEXT) | instid1(VALU_DEP_1)
	v_and_b32_e32 v33, 0x7f800000, v19
	v_cmp_ne_u32_e64 s1, 0x7f800000, v33
	s_delay_alu instid0(VALU_DEP_1) | instskip(NEXT) | instid1(SALU_CYCLE_1)
	s_and_saveexec_b32 s21, s1
	s_xor_b32 s1, exec_lo, s21
; %bb.589:                              ;   in Loop: Header=BB446_13 Depth=1
	v_bfe_u32 v33, v19, 16, 1
	s_delay_alu instid0(VALU_DEP_1)
	v_add3_u32 v103, v19, v33, 0x7fff
                                        ; implicit-def: $vgpr19
; %bb.590:                              ;   in Loop: Header=BB446_13 Depth=1
	s_and_not1_saveexec_b32 s21, s1
; %bb.591:                              ;   in Loop: Header=BB446_13 Depth=1
	v_and_b32_e32 v33, 0xffff, v19
	v_or_b32_e32 v34, 0x10000, v19
	s_delay_alu instid0(VALU_DEP_2) | instskip(NEXT) | instid1(VALU_DEP_1)
	v_cmp_eq_u32_e64 s1, 0, v33
	v_cndmask_b32_e64 v103, v34, v19, s1
; %bb.592:                              ;   in Loop: Header=BB446_13 Depth=1
	s_or_b32 exec_lo, exec_lo, s21
	flat_load_b64 v[33:34], v[31:32] offset:1536
	v_mov_b32_e32 v19, 0
	s_mov_b32 s21, exec_lo
	s_waitcnt vmcnt(0) lgkmcnt(0)
	v_and_b32_e32 v35, 0xff, v33
	s_delay_alu instid0(VALU_DEP_1)
	v_cmpx_ne_u16_e32 0, v35
	s_cbranch_execz .LBB446_600
; %bb.593:                              ;   in Loop: Header=BB446_13 Depth=1
	v_bfrev_b32_e32 v19, 1
	s_mov_b32 s22, exec_lo
	v_cmpx_ne_u16_e32 0x80, v35
	s_cbranch_execz .LBB446_599
; %bb.594:                              ;   in Loop: Header=BB446_13 Depth=1
	v_and_b32_e32 v35, 0x7f, v33
	v_mov_b32_e32 v19, 0x7f800001
	s_mov_b32 s23, exec_lo
	s_delay_alu instid0(VALU_DEP_2)
	v_cmpx_ne_u32_e32 0x7f, v35
	s_cbranch_execz .LBB446_598
; %bb.595:                              ;   in Loop: Header=BB446_13 Depth=1
	v_lshrrev_b32_e32 v19, 3, v35
	v_cmp_gt_u32_e64 s1, 8, v35
	v_dual_mov_b32 v36, v34 :: v_dual_mov_b32 v35, v33
	s_delay_alu instid0(VALU_DEP_2)
	s_and_saveexec_b32 s24, s1
; %bb.596:                              ;   in Loop: Header=BB446_13 Depth=1
	v_and_b32_e32 v19, 7, v33
	s_delay_alu instid0(VALU_DEP_1) | instskip(NEXT) | instid1(VALU_DEP_1)
	v_clz_i32_u32_e32 v19, v19
	v_min_u32_e32 v19, 32, v19
	s_delay_alu instid0(VALU_DEP_1) | instskip(SKIP_1) | instid1(VALU_DEP_2)
	v_subrev_nc_u32_e32 v35, 28, v19
	v_sub_nc_u32_e32 v19, 29, v19
	v_lshlrev_b64 v[35:36], v35, v[33:34]
; %bb.597:                              ;   in Loop: Header=BB446_13 Depth=1
	s_or_b32 exec_lo, exec_lo, s24
	s_delay_alu instid0(VALU_DEP_1) | instskip(SKIP_2) | instid1(VALU_DEP_3)
	v_lshlrev_b32_e32 v35, 20, v35
	v_lshlrev_b32_e32 v36, 24, v33
	v_lshl_add_u32 v19, v19, 23, 0x3c000000
	v_and_b32_e32 v35, 0x700000, v35
	s_delay_alu instid0(VALU_DEP_3) | instskip(NEXT) | instid1(VALU_DEP_1)
	v_and_b32_e32 v36, 0x80000000, v36
	v_or3_b32 v19, v35, v36, v19
.LBB446_598:                            ;   in Loop: Header=BB446_13 Depth=1
	s_or_b32 exec_lo, exec_lo, s23
.LBB446_599:                            ;   in Loop: Header=BB446_13 Depth=1
	s_delay_alu instid0(SALU_CYCLE_1)
	s_or_b32 exec_lo, exec_lo, s22
.LBB446_600:                            ;   in Loop: Header=BB446_13 Depth=1
	s_delay_alu instid0(SALU_CYCLE_1) | instskip(NEXT) | instid1(VALU_DEP_1)
	s_or_b32 exec_lo, exec_lo, s21
	v_mul_f32_e32 v19, v187, v19
                                        ; implicit-def: $vgpr112
	s_delay_alu instid0(VALU_DEP_1) | instskip(NEXT) | instid1(VALU_DEP_1)
	v_and_b32_e32 v35, 0x7f800000, v19
	v_cmp_ne_u32_e64 s1, 0x7f800000, v35
	s_delay_alu instid0(VALU_DEP_1) | instskip(NEXT) | instid1(SALU_CYCLE_1)
	s_and_saveexec_b32 s21, s1
	s_xor_b32 s1, exec_lo, s21
; %bb.601:                              ;   in Loop: Header=BB446_13 Depth=1
	v_bfe_u32 v35, v19, 16, 1
	s_delay_alu instid0(VALU_DEP_1)
	v_add3_u32 v112, v19, v35, 0x7fff
                                        ; implicit-def: $vgpr19
; %bb.602:                              ;   in Loop: Header=BB446_13 Depth=1
	s_and_not1_saveexec_b32 s21, s1
; %bb.603:                              ;   in Loop: Header=BB446_13 Depth=1
	v_and_b32_e32 v35, 0xffff, v19
	v_or_b32_e32 v36, 0x10000, v19
	s_delay_alu instid0(VALU_DEP_2) | instskip(NEXT) | instid1(VALU_DEP_1)
	v_cmp_eq_u32_e64 s1, 0, v35
	v_cndmask_b32_e64 v112, v36, v19, s1
; %bb.604:                              ;   in Loop: Header=BB446_13 Depth=1
	s_or_b32 exec_lo, exec_lo, s21
	v_lshrrev_b16 v35, 8, v33
	v_mov_b32_e32 v19, 0
	s_mov_b32 s21, exec_lo
	s_delay_alu instid0(VALU_DEP_2)
	v_cmpx_ne_u16_e32 0, v35
	s_cbranch_execz .LBB446_612
; %bb.605:                              ;   in Loop: Header=BB446_13 Depth=1
	v_bfrev_b32_e32 v19, 1
	s_mov_b32 s22, exec_lo
	v_cmpx_ne_u16_e32 0x80, v35
	s_cbranch_execz .LBB446_611
; %bb.606:                              ;   in Loop: Header=BB446_13 Depth=1
	v_and_b32_e32 v36, 0xffff, v35
	v_mov_b32_e32 v19, 0x7f800001
	s_mov_b32 s23, exec_lo
	s_delay_alu instid0(VALU_DEP_2) | instskip(NEXT) | instid1(VALU_DEP_1)
	v_and_b32_e32 v35, 0x7f, v36
	v_cmpx_ne_u32_e32 0x7f, v35
	s_cbranch_execz .LBB446_610
; %bb.607:                              ;   in Loop: Header=BB446_13 Depth=1
	v_and_b32_e32 v19, 7, v36
	v_lshrrev_b32_e32 v113, 3, v35
	v_cmp_gt_u32_e64 s1, 8, v35
	s_delay_alu instid0(VALU_DEP_3) | instskip(NEXT) | instid1(VALU_DEP_2)
	v_dual_mov_b32 v36, v20 :: v_dual_mov_b32 v35, v19
	s_and_saveexec_b32 s24, s1
; %bb.608:                              ;   in Loop: Header=BB446_13 Depth=1
	v_clz_i32_u32_e32 v35, v19
	s_delay_alu instid0(VALU_DEP_1) | instskip(NEXT) | instid1(VALU_DEP_1)
	v_min_u32_e32 v113, 32, v35
	v_subrev_nc_u32_e32 v35, 28, v113
	v_sub_nc_u32_e32 v113, 29, v113
	s_delay_alu instid0(VALU_DEP_2) | instskip(NEXT) | instid1(VALU_DEP_1)
	v_lshlrev_b64 v[35:36], v35, v[19:20]
	v_and_b32_e32 v35, 7, v35
; %bb.609:                              ;   in Loop: Header=BB446_13 Depth=1
	s_or_b32 exec_lo, exec_lo, s24
	v_lshlrev_b32_e32 v19, 16, v33
	s_delay_alu instid0(VALU_DEP_2) | instskip(SKIP_1) | instid1(VALU_DEP_3)
	v_lshlrev_b32_e32 v35, 20, v35
	v_lshl_add_u32 v36, v113, 23, 0x3c000000
	v_and_b32_e32 v19, 0x80000000, v19
	s_delay_alu instid0(VALU_DEP_1)
	v_or3_b32 v19, v35, v19, v36
.LBB446_610:                            ;   in Loop: Header=BB446_13 Depth=1
	s_or_b32 exec_lo, exec_lo, s23
.LBB446_611:                            ;   in Loop: Header=BB446_13 Depth=1
	s_delay_alu instid0(SALU_CYCLE_1)
	s_or_b32 exec_lo, exec_lo, s22
.LBB446_612:                            ;   in Loop: Header=BB446_13 Depth=1
	s_delay_alu instid0(SALU_CYCLE_1) | instskip(NEXT) | instid1(VALU_DEP_1)
	s_or_b32 exec_lo, exec_lo, s21
	v_mul_f32_e32 v19, v187, v19
                                        ; implicit-def: $vgpr113
	s_delay_alu instid0(VALU_DEP_1) | instskip(NEXT) | instid1(VALU_DEP_1)
	v_and_b32_e32 v35, 0x7f800000, v19
	v_cmp_ne_u32_e64 s1, 0x7f800000, v35
	s_delay_alu instid0(VALU_DEP_1) | instskip(NEXT) | instid1(SALU_CYCLE_1)
	s_and_saveexec_b32 s21, s1
	s_xor_b32 s1, exec_lo, s21
; %bb.613:                              ;   in Loop: Header=BB446_13 Depth=1
	v_bfe_u32 v35, v19, 16, 1
	s_delay_alu instid0(VALU_DEP_1)
	v_add3_u32 v113, v19, v35, 0x7fff
                                        ; implicit-def: $vgpr19
; %bb.614:                              ;   in Loop: Header=BB446_13 Depth=1
	s_and_not1_saveexec_b32 s21, s1
; %bb.615:                              ;   in Loop: Header=BB446_13 Depth=1
	v_and_b32_e32 v35, 0xffff, v19
	v_or_b32_e32 v36, 0x10000, v19
	s_delay_alu instid0(VALU_DEP_2) | instskip(NEXT) | instid1(VALU_DEP_1)
	v_cmp_eq_u32_e64 s1, 0, v35
	v_cndmask_b32_e64 v113, v36, v19, s1
; %bb.616:                              ;   in Loop: Header=BB446_13 Depth=1
	s_or_b32 exec_lo, exec_lo, s21
	v_lshrrev_b32_e32 v114, 16, v33
	v_mov_b32_e32 v19, 0
	s_mov_b32 s21, exec_lo
	s_delay_alu instid0(VALU_DEP_2) | instskip(NEXT) | instid1(VALU_DEP_1)
	v_and_b32_e32 v35, 0xff, v114
	v_cmpx_ne_u16_e32 0, v35
	s_cbranch_execz .LBB446_624
; %bb.617:                              ;   in Loop: Header=BB446_13 Depth=1
	v_bfrev_b32_e32 v19, 1
	s_mov_b32 s22, exec_lo
	v_cmpx_ne_u16_e32 0x80, v35
	s_cbranch_execz .LBB446_623
; %bb.618:                              ;   in Loop: Header=BB446_13 Depth=1
	v_bfe_u32 v35, v33, 16, 7
	v_mov_b32_e32 v19, 0x7f800001
	s_mov_b32 s23, exec_lo
	s_delay_alu instid0(VALU_DEP_2)
	v_cmpx_ne_u32_e32 0x7f, v35
	s_cbranch_execz .LBB446_622
; %bb.619:                              ;   in Loop: Header=BB446_13 Depth=1
	v_and_b32_e32 v19, 7, v114
	v_lshrrev_b32_e32 v115, 3, v35
	v_cmp_gt_u32_e64 s1, 8, v35
	s_delay_alu instid0(VALU_DEP_3) | instskip(NEXT) | instid1(VALU_DEP_2)
	v_dual_mov_b32 v36, v20 :: v_dual_mov_b32 v35, v19
	s_and_saveexec_b32 s24, s1
; %bb.620:                              ;   in Loop: Header=BB446_13 Depth=1
	v_clz_i32_u32_e32 v35, v19
	s_delay_alu instid0(VALU_DEP_1) | instskip(NEXT) | instid1(VALU_DEP_1)
	v_min_u32_e32 v115, 32, v35
	v_subrev_nc_u32_e32 v35, 28, v115
	v_sub_nc_u32_e32 v115, 29, v115
	s_delay_alu instid0(VALU_DEP_2) | instskip(NEXT) | instid1(VALU_DEP_1)
	v_lshlrev_b64 v[35:36], v35, v[19:20]
	v_and_b32_e32 v35, 7, v35
; %bb.621:                              ;   in Loop: Header=BB446_13 Depth=1
	s_or_b32 exec_lo, exec_lo, s24
	v_lshlrev_b32_e32 v19, 24, v114
	s_delay_alu instid0(VALU_DEP_2) | instskip(SKIP_1) | instid1(VALU_DEP_3)
	v_lshlrev_b32_e32 v35, 20, v35
	v_lshl_add_u32 v36, v115, 23, 0x3c000000
	v_and_b32_e32 v19, 0x80000000, v19
	s_delay_alu instid0(VALU_DEP_1)
	v_or3_b32 v19, v35, v19, v36
.LBB446_622:                            ;   in Loop: Header=BB446_13 Depth=1
	s_or_b32 exec_lo, exec_lo, s23
.LBB446_623:                            ;   in Loop: Header=BB446_13 Depth=1
	s_delay_alu instid0(SALU_CYCLE_1)
	s_or_b32 exec_lo, exec_lo, s22
.LBB446_624:                            ;   in Loop: Header=BB446_13 Depth=1
	s_delay_alu instid0(SALU_CYCLE_1) | instskip(NEXT) | instid1(VALU_DEP_1)
	s_or_b32 exec_lo, exec_lo, s21
	v_mul_f32_e32 v19, v187, v19
                                        ; implicit-def: $vgpr114
	s_delay_alu instid0(VALU_DEP_1) | instskip(NEXT) | instid1(VALU_DEP_1)
	v_and_b32_e32 v35, 0x7f800000, v19
	v_cmp_ne_u32_e64 s1, 0x7f800000, v35
	s_delay_alu instid0(VALU_DEP_1) | instskip(NEXT) | instid1(SALU_CYCLE_1)
	s_and_saveexec_b32 s21, s1
	s_xor_b32 s1, exec_lo, s21
; %bb.625:                              ;   in Loop: Header=BB446_13 Depth=1
	v_bfe_u32 v35, v19, 16, 1
	s_delay_alu instid0(VALU_DEP_1)
	v_add3_u32 v114, v19, v35, 0x7fff
                                        ; implicit-def: $vgpr19
; %bb.626:                              ;   in Loop: Header=BB446_13 Depth=1
	s_and_not1_saveexec_b32 s21, s1
; %bb.627:                              ;   in Loop: Header=BB446_13 Depth=1
	v_and_b32_e32 v35, 0xffff, v19
	v_or_b32_e32 v36, 0x10000, v19
	s_delay_alu instid0(VALU_DEP_2) | instskip(NEXT) | instid1(VALU_DEP_1)
	v_cmp_eq_u32_e64 s1, 0, v35
	v_cndmask_b32_e64 v114, v36, v19, s1
; %bb.628:                              ;   in Loop: Header=BB446_13 Depth=1
	s_or_b32 exec_lo, exec_lo, s21
	v_mov_b32_e32 v19, 0
	s_mov_b32 s21, exec_lo
	v_cmpx_lt_u32_e32 0xffffff, v33
	s_cbranch_execz .LBB446_636
; %bb.629:                              ;   in Loop: Header=BB446_13 Depth=1
	v_lshrrev_b32_e32 v115, 24, v33
	v_bfrev_b32_e32 v19, 1
	s_mov_b32 s22, exec_lo
	s_delay_alu instid0(VALU_DEP_2)
	v_cmpx_ne_u32_e32 0x80, v115
	s_cbranch_execz .LBB446_635
; %bb.630:                              ;   in Loop: Header=BB446_13 Depth=1
	v_bfe_u32 v35, v33, 24, 7
	v_mov_b32_e32 v19, 0x7f800001
	s_mov_b32 s23, exec_lo
	s_delay_alu instid0(VALU_DEP_2)
	v_cmpx_ne_u32_e32 0x7f, v35
	s_cbranch_execz .LBB446_634
; %bb.631:                              ;   in Loop: Header=BB446_13 Depth=1
	v_and_b32_e32 v19, 7, v115
	v_lshrrev_b32_e32 v116, 3, v35
	v_cmp_gt_u32_e64 s1, 8, v35
	s_delay_alu instid0(VALU_DEP_3) | instskip(NEXT) | instid1(VALU_DEP_2)
	v_dual_mov_b32 v36, v20 :: v_dual_mov_b32 v35, v19
	s_and_saveexec_b32 s24, s1
; %bb.632:                              ;   in Loop: Header=BB446_13 Depth=1
	v_clz_i32_u32_e32 v35, v19
	s_delay_alu instid0(VALU_DEP_1) | instskip(NEXT) | instid1(VALU_DEP_1)
	v_min_u32_e32 v116, 32, v35
	v_subrev_nc_u32_e32 v35, 28, v116
	v_sub_nc_u32_e32 v116, 29, v116
	s_delay_alu instid0(VALU_DEP_2) | instskip(NEXT) | instid1(VALU_DEP_1)
	v_lshlrev_b64 v[35:36], v35, v[19:20]
	v_and_b32_e32 v35, 7, v35
; %bb.633:                              ;   in Loop: Header=BB446_13 Depth=1
	s_or_b32 exec_lo, exec_lo, s24
	v_lshlrev_b32_e32 v19, 24, v115
	s_delay_alu instid0(VALU_DEP_2) | instskip(SKIP_1) | instid1(VALU_DEP_3)
	v_lshlrev_b32_e32 v35, 20, v35
	v_lshl_add_u32 v36, v116, 23, 0x3c000000
	v_and_b32_e32 v19, 0x80000000, v19
	s_delay_alu instid0(VALU_DEP_1)
	v_or3_b32 v19, v35, v19, v36
.LBB446_634:                            ;   in Loop: Header=BB446_13 Depth=1
	s_or_b32 exec_lo, exec_lo, s23
.LBB446_635:                            ;   in Loop: Header=BB446_13 Depth=1
	s_delay_alu instid0(SALU_CYCLE_1)
	s_or_b32 exec_lo, exec_lo, s22
.LBB446_636:                            ;   in Loop: Header=BB446_13 Depth=1
	s_delay_alu instid0(SALU_CYCLE_1) | instskip(NEXT) | instid1(VALU_DEP_1)
	s_or_b32 exec_lo, exec_lo, s21
	v_mul_f32_e32 v19, v187, v19
                                        ; implicit-def: $vgpr115
	s_delay_alu instid0(VALU_DEP_1) | instskip(NEXT) | instid1(VALU_DEP_1)
	v_and_b32_e32 v35, 0x7f800000, v19
	v_cmp_ne_u32_e64 s1, 0x7f800000, v35
	s_delay_alu instid0(VALU_DEP_1) | instskip(NEXT) | instid1(SALU_CYCLE_1)
	s_and_saveexec_b32 s21, s1
	s_xor_b32 s1, exec_lo, s21
; %bb.637:                              ;   in Loop: Header=BB446_13 Depth=1
	v_bfe_u32 v35, v19, 16, 1
	s_delay_alu instid0(VALU_DEP_1)
	v_add3_u32 v115, v19, v35, 0x7fff
                                        ; implicit-def: $vgpr19
; %bb.638:                              ;   in Loop: Header=BB446_13 Depth=1
	s_and_not1_saveexec_b32 s21, s1
; %bb.639:                              ;   in Loop: Header=BB446_13 Depth=1
	v_and_b32_e32 v35, 0xffff, v19
	v_or_b32_e32 v36, 0x10000, v19
	s_delay_alu instid0(VALU_DEP_2) | instskip(NEXT) | instid1(VALU_DEP_1)
	v_cmp_eq_u32_e64 s1, 0, v35
	v_cndmask_b32_e64 v115, v36, v19, s1
; %bb.640:                              ;   in Loop: Header=BB446_13 Depth=1
	s_or_b32 exec_lo, exec_lo, s21
	v_dual_mov_b32 v19, v34 :: v_dual_and_b32 v36, 0xff, v34
	v_mov_b32_e32 v35, 0
	s_mov_b32 s21, exec_lo
	s_delay_alu instid0(VALU_DEP_2)
	v_cmpx_ne_u16_e32 0, v36
	s_cbranch_execz .LBB446_648
; %bb.641:                              ;   in Loop: Header=BB446_13 Depth=1
	v_bfrev_b32_e32 v35, 1
	s_mov_b32 s22, exec_lo
	v_cmpx_ne_u16_e32 0x80, v36
	s_cbranch_execz .LBB446_647
; %bb.642:                              ;   in Loop: Header=BB446_13 Depth=1
	v_and_b32_e32 v36, 0x7f, v34
	v_mov_b32_e32 v35, 0x7f800001
	s_mov_b32 s23, exec_lo
	s_delay_alu instid0(VALU_DEP_2)
	v_cmpx_ne_u32_e32 0x7f, v36
	s_cbranch_execz .LBB446_646
; %bb.643:                              ;   in Loop: Header=BB446_13 Depth=1
	v_lshrrev_b32_e32 v116, 3, v36
	v_cmp_gt_u32_e64 s1, 8, v36
	v_dual_mov_b32 v36, v20 :: v_dual_mov_b32 v35, v19
	s_delay_alu instid0(VALU_DEP_2)
	s_and_saveexec_b32 s24, s1
; %bb.644:                              ;   in Loop: Header=BB446_13 Depth=1
	v_and_b32_e32 v35, 7, v34
	s_delay_alu instid0(VALU_DEP_1) | instskip(NEXT) | instid1(VALU_DEP_1)
	v_clz_i32_u32_e32 v35, v35
	v_min_u32_e32 v116, 32, v35
	s_delay_alu instid0(VALU_DEP_1) | instskip(SKIP_1) | instid1(VALU_DEP_2)
	v_subrev_nc_u32_e32 v35, 28, v116
	v_sub_nc_u32_e32 v116, 29, v116
	v_lshlrev_b64 v[35:36], v35, v[19:20]
; %bb.645:                              ;   in Loop: Header=BB446_13 Depth=1
	s_or_b32 exec_lo, exec_lo, s24
	s_delay_alu instid0(VALU_DEP_1) | instskip(SKIP_2) | instid1(VALU_DEP_3)
	v_lshlrev_b32_e32 v35, 20, v35
	v_lshlrev_b32_e32 v36, 24, v19
	v_lshl_add_u32 v116, v116, 23, 0x3c000000
	v_and_b32_e32 v35, 0x700000, v35
	s_delay_alu instid0(VALU_DEP_3) | instskip(NEXT) | instid1(VALU_DEP_1)
	v_and_b32_e32 v36, 0x80000000, v36
	v_or3_b32 v35, v35, v36, v116
.LBB446_646:                            ;   in Loop: Header=BB446_13 Depth=1
	s_or_b32 exec_lo, exec_lo, s23
.LBB446_647:                            ;   in Loop: Header=BB446_13 Depth=1
	s_delay_alu instid0(SALU_CYCLE_1)
	s_or_b32 exec_lo, exec_lo, s22
.LBB446_648:                            ;   in Loop: Header=BB446_13 Depth=1
	s_delay_alu instid0(SALU_CYCLE_1) | instskip(NEXT) | instid1(VALU_DEP_1)
	s_or_b32 exec_lo, exec_lo, s21
	v_mul_f32_e32 v35, v187, v35
                                        ; implicit-def: $vgpr116
	s_delay_alu instid0(VALU_DEP_1) | instskip(NEXT) | instid1(VALU_DEP_1)
	v_and_b32_e32 v36, 0x7f800000, v35
	v_cmp_ne_u32_e64 s1, 0x7f800000, v36
	s_delay_alu instid0(VALU_DEP_1) | instskip(NEXT) | instid1(SALU_CYCLE_1)
	s_and_saveexec_b32 s21, s1
	s_xor_b32 s1, exec_lo, s21
; %bb.649:                              ;   in Loop: Header=BB446_13 Depth=1
	v_bfe_u32 v36, v35, 16, 1
	s_delay_alu instid0(VALU_DEP_1)
	v_add3_u32 v116, v35, v36, 0x7fff
                                        ; implicit-def: $vgpr35
; %bb.650:                              ;   in Loop: Header=BB446_13 Depth=1
	s_and_not1_saveexec_b32 s21, s1
; %bb.651:                              ;   in Loop: Header=BB446_13 Depth=1
	v_and_b32_e32 v36, 0xffff, v35
	v_or_b32_e32 v116, 0x10000, v35
	s_delay_alu instid0(VALU_DEP_2) | instskip(NEXT) | instid1(VALU_DEP_1)
	v_cmp_eq_u32_e64 s1, 0, v36
	v_cndmask_b32_e64 v116, v116, v35, s1
; %bb.652:                              ;   in Loop: Header=BB446_13 Depth=1
	s_or_b32 exec_lo, exec_lo, s21
	v_lshrrev_b16 v36, 8, v19
	v_mov_b32_e32 v35, 0
	s_mov_b32 s21, exec_lo
	s_delay_alu instid0(VALU_DEP_2)
	v_cmpx_ne_u16_e32 0, v36
	s_cbranch_execz .LBB446_660
; %bb.653:                              ;   in Loop: Header=BB446_13 Depth=1
	v_bfrev_b32_e32 v35, 1
	s_mov_b32 s22, exec_lo
	v_cmpx_ne_u16_e32 0x80, v36
	s_cbranch_execz .LBB446_659
; %bb.654:                              ;   in Loop: Header=BB446_13 Depth=1
	v_and_b32_e32 v36, 0xffff, v36
	v_mov_b32_e32 v35, 0x7f800001
	s_mov_b32 s23, exec_lo
	s_delay_alu instid0(VALU_DEP_2) | instskip(NEXT) | instid1(VALU_DEP_1)
	v_and_b32_e32 v118, 0x7f, v36
	v_cmpx_ne_u32_e32 0x7f, v118
	s_cbranch_execz .LBB446_658
; %bb.655:                              ;   in Loop: Header=BB446_13 Depth=1
	v_dual_mov_b32 v36, v20 :: v_dual_and_b32 v35, 7, v36
	v_lshrrev_b32_e32 v117, 3, v118
	s_mov_b32 s24, exec_lo
	v_cmpx_gt_u32_e32 8, v118
; %bb.656:                              ;   in Loop: Header=BB446_13 Depth=1
	s_delay_alu instid0(VALU_DEP_3) | instskip(NEXT) | instid1(VALU_DEP_1)
	v_clz_i32_u32_e32 v117, v35
	v_min_u32_e32 v117, 32, v117
	s_delay_alu instid0(VALU_DEP_1) | instskip(SKIP_1) | instid1(VALU_DEP_2)
	v_subrev_nc_u32_e32 v118, 28, v117
	v_sub_nc_u32_e32 v117, 29, v117
	v_lshlrev_b64 v[35:36], v118, v[35:36]
	s_delay_alu instid0(VALU_DEP_1)
	v_and_b32_e32 v35, 7, v35
; %bb.657:                              ;   in Loop: Header=BB446_13 Depth=1
	s_or_b32 exec_lo, exec_lo, s24
	v_lshlrev_b32_e32 v19, 16, v19
	s_delay_alu instid0(VALU_DEP_2) | instskip(SKIP_1) | instid1(VALU_DEP_3)
	v_lshlrev_b32_e32 v35, 20, v35
	v_lshl_add_u32 v36, v117, 23, 0x3c000000
	v_and_b32_e32 v19, 0x80000000, v19
	s_delay_alu instid0(VALU_DEP_1)
	v_or3_b32 v35, v35, v19, v36
.LBB446_658:                            ;   in Loop: Header=BB446_13 Depth=1
	s_or_b32 exec_lo, exec_lo, s23
.LBB446_659:                            ;   in Loop: Header=BB446_13 Depth=1
	s_delay_alu instid0(SALU_CYCLE_1)
	s_or_b32 exec_lo, exec_lo, s22
.LBB446_660:                            ;   in Loop: Header=BB446_13 Depth=1
	s_delay_alu instid0(SALU_CYCLE_1) | instskip(NEXT) | instid1(VALU_DEP_1)
	s_or_b32 exec_lo, exec_lo, s21
	v_mul_f32_e32 v19, v187, v35
                                        ; implicit-def: $vgpr117
	s_delay_alu instid0(VALU_DEP_1) | instskip(NEXT) | instid1(VALU_DEP_1)
	v_and_b32_e32 v35, 0x7f800000, v19
	v_cmp_ne_u32_e64 s1, 0x7f800000, v35
	s_delay_alu instid0(VALU_DEP_1) | instskip(NEXT) | instid1(SALU_CYCLE_1)
	s_and_saveexec_b32 s21, s1
	s_xor_b32 s1, exec_lo, s21
; %bb.661:                              ;   in Loop: Header=BB446_13 Depth=1
	v_bfe_u32 v35, v19, 16, 1
	s_delay_alu instid0(VALU_DEP_1)
	v_add3_u32 v117, v19, v35, 0x7fff
                                        ; implicit-def: $vgpr19
; %bb.662:                              ;   in Loop: Header=BB446_13 Depth=1
	s_and_not1_saveexec_b32 s21, s1
; %bb.663:                              ;   in Loop: Header=BB446_13 Depth=1
	v_and_b32_e32 v35, 0xffff, v19
	v_or_b32_e32 v36, 0x10000, v19
	s_delay_alu instid0(VALU_DEP_2) | instskip(NEXT) | instid1(VALU_DEP_1)
	v_cmp_eq_u32_e64 s1, 0, v35
	v_cndmask_b32_e64 v117, v36, v19, s1
; %bb.664:                              ;   in Loop: Header=BB446_13 Depth=1
	s_or_b32 exec_lo, exec_lo, s21
	v_lshrrev_b32_e32 v118, 16, v34
	v_mov_b32_e32 v19, 0
	s_mov_b32 s21, exec_lo
	s_delay_alu instid0(VALU_DEP_2) | instskip(NEXT) | instid1(VALU_DEP_1)
	v_and_b32_e32 v35, 0xff, v118
	v_cmpx_ne_u16_e32 0, v35
	s_cbranch_execz .LBB446_672
; %bb.665:                              ;   in Loop: Header=BB446_13 Depth=1
	v_bfrev_b32_e32 v19, 1
	s_mov_b32 s22, exec_lo
	v_cmpx_ne_u16_e32 0x80, v35
	s_cbranch_execz .LBB446_671
; %bb.666:                              ;   in Loop: Header=BB446_13 Depth=1
	v_bfe_u32 v35, v34, 16, 7
	v_mov_b32_e32 v19, 0x7f800001
	s_mov_b32 s23, exec_lo
	s_delay_alu instid0(VALU_DEP_2)
	v_cmpx_ne_u32_e32 0x7f, v35
	s_cbranch_execz .LBB446_670
; %bb.667:                              ;   in Loop: Header=BB446_13 Depth=1
	v_and_b32_e32 v19, 7, v118
	v_lshrrev_b32_e32 v119, 3, v35
	v_cmp_gt_u32_e64 s1, 8, v35
	s_delay_alu instid0(VALU_DEP_3) | instskip(NEXT) | instid1(VALU_DEP_2)
	v_dual_mov_b32 v36, v20 :: v_dual_mov_b32 v35, v19
	s_and_saveexec_b32 s24, s1
; %bb.668:                              ;   in Loop: Header=BB446_13 Depth=1
	v_clz_i32_u32_e32 v35, v19
	s_delay_alu instid0(VALU_DEP_1) | instskip(NEXT) | instid1(VALU_DEP_1)
	v_min_u32_e32 v119, 32, v35
	v_subrev_nc_u32_e32 v35, 28, v119
	v_sub_nc_u32_e32 v119, 29, v119
	s_delay_alu instid0(VALU_DEP_2) | instskip(NEXT) | instid1(VALU_DEP_1)
	v_lshlrev_b64 v[35:36], v35, v[19:20]
	v_and_b32_e32 v35, 7, v35
; %bb.669:                              ;   in Loop: Header=BB446_13 Depth=1
	s_or_b32 exec_lo, exec_lo, s24
	v_lshlrev_b32_e32 v19, 24, v118
	s_delay_alu instid0(VALU_DEP_2) | instskip(SKIP_1) | instid1(VALU_DEP_3)
	v_lshlrev_b32_e32 v35, 20, v35
	v_lshl_add_u32 v36, v119, 23, 0x3c000000
	v_and_b32_e32 v19, 0x80000000, v19
	s_delay_alu instid0(VALU_DEP_1)
	v_or3_b32 v19, v35, v19, v36
.LBB446_670:                            ;   in Loop: Header=BB446_13 Depth=1
	s_or_b32 exec_lo, exec_lo, s23
.LBB446_671:                            ;   in Loop: Header=BB446_13 Depth=1
	s_delay_alu instid0(SALU_CYCLE_1)
	s_or_b32 exec_lo, exec_lo, s22
.LBB446_672:                            ;   in Loop: Header=BB446_13 Depth=1
	s_delay_alu instid0(SALU_CYCLE_1) | instskip(NEXT) | instid1(VALU_DEP_1)
	s_or_b32 exec_lo, exec_lo, s21
	v_mul_f32_e32 v19, v187, v19
                                        ; implicit-def: $vgpr118
	s_delay_alu instid0(VALU_DEP_1) | instskip(NEXT) | instid1(VALU_DEP_1)
	v_and_b32_e32 v35, 0x7f800000, v19
	v_cmp_ne_u32_e64 s1, 0x7f800000, v35
	s_delay_alu instid0(VALU_DEP_1) | instskip(NEXT) | instid1(SALU_CYCLE_1)
	s_and_saveexec_b32 s21, s1
	s_xor_b32 s1, exec_lo, s21
; %bb.673:                              ;   in Loop: Header=BB446_13 Depth=1
	v_bfe_u32 v35, v19, 16, 1
	s_delay_alu instid0(VALU_DEP_1)
	v_add3_u32 v118, v19, v35, 0x7fff
                                        ; implicit-def: $vgpr19
; %bb.674:                              ;   in Loop: Header=BB446_13 Depth=1
	s_and_not1_saveexec_b32 s21, s1
; %bb.675:                              ;   in Loop: Header=BB446_13 Depth=1
	v_and_b32_e32 v35, 0xffff, v19
	v_or_b32_e32 v36, 0x10000, v19
	s_delay_alu instid0(VALU_DEP_2) | instskip(NEXT) | instid1(VALU_DEP_1)
	v_cmp_eq_u32_e64 s1, 0, v35
	v_cndmask_b32_e64 v118, v36, v19, s1
; %bb.676:                              ;   in Loop: Header=BB446_13 Depth=1
	s_or_b32 exec_lo, exec_lo, s21
	v_mov_b32_e32 v19, 0
	s_mov_b32 s21, exec_lo
	v_cmpx_lt_u64_e64 s[16:17], v[33:34]
	s_cbranch_execz .LBB446_684
; %bb.677:                              ;   in Loop: Header=BB446_13 Depth=1
	v_lshrrev_b32_e32 v35, 24, v34
	v_bfrev_b32_e32 v19, 1
	s_mov_b32 s22, exec_lo
	s_delay_alu instid0(VALU_DEP_2)
	v_cmpx_ne_u32_e32 0x80, v35
	s_cbranch_execz .LBB446_683
; %bb.678:                              ;   in Loop: Header=BB446_13 Depth=1
	v_bfe_u32 v33, v34, 24, 7
	v_mov_b32_e32 v19, 0x7f800001
	s_mov_b32 s23, exec_lo
	s_delay_alu instid0(VALU_DEP_2)
	v_cmpx_ne_u32_e32 0x7f, v33
	s_cbranch_execz .LBB446_682
; %bb.679:                              ;   in Loop: Header=BB446_13 Depth=1
	v_and_b32_e32 v19, 7, v35
	v_lshrrev_b32_e32 v36, 3, v33
	v_cmp_gt_u32_e64 s1, 8, v33
	s_delay_alu instid0(VALU_DEP_3) | instskip(NEXT) | instid1(VALU_DEP_2)
	v_dual_mov_b32 v34, v20 :: v_dual_mov_b32 v33, v19
	s_and_saveexec_b32 s24, s1
; %bb.680:                              ;   in Loop: Header=BB446_13 Depth=1
	v_clz_i32_u32_e32 v33, v19
	s_delay_alu instid0(VALU_DEP_1) | instskip(NEXT) | instid1(VALU_DEP_1)
	v_min_u32_e32 v36, 32, v33
	v_subrev_nc_u32_e32 v33, 28, v36
	v_sub_nc_u32_e32 v36, 29, v36
	s_delay_alu instid0(VALU_DEP_2) | instskip(NEXT) | instid1(VALU_DEP_1)
	v_lshlrev_b64 v[33:34], v33, v[19:20]
	v_and_b32_e32 v33, 7, v33
; %bb.681:                              ;   in Loop: Header=BB446_13 Depth=1
	s_or_b32 exec_lo, exec_lo, s24
	v_lshlrev_b32_e32 v19, 24, v35
	s_delay_alu instid0(VALU_DEP_2) | instskip(SKIP_1) | instid1(VALU_DEP_3)
	v_lshlrev_b32_e32 v33, 20, v33
	v_lshl_add_u32 v34, v36, 23, 0x3c000000
	v_and_b32_e32 v19, 0x80000000, v19
	s_delay_alu instid0(VALU_DEP_1)
	v_or3_b32 v19, v33, v19, v34
.LBB446_682:                            ;   in Loop: Header=BB446_13 Depth=1
	s_or_b32 exec_lo, exec_lo, s23
.LBB446_683:                            ;   in Loop: Header=BB446_13 Depth=1
	s_delay_alu instid0(SALU_CYCLE_1)
	s_or_b32 exec_lo, exec_lo, s22
.LBB446_684:                            ;   in Loop: Header=BB446_13 Depth=1
	s_delay_alu instid0(SALU_CYCLE_1) | instskip(NEXT) | instid1(VALU_DEP_1)
	s_or_b32 exec_lo, exec_lo, s21
	v_mul_f32_e32 v19, v187, v19
                                        ; implicit-def: $vgpr119
	s_delay_alu instid0(VALU_DEP_1) | instskip(NEXT) | instid1(VALU_DEP_1)
	v_and_b32_e32 v33, 0x7f800000, v19
	v_cmp_ne_u32_e64 s1, 0x7f800000, v33
	s_delay_alu instid0(VALU_DEP_1) | instskip(NEXT) | instid1(SALU_CYCLE_1)
	s_and_saveexec_b32 s21, s1
	s_xor_b32 s1, exec_lo, s21
; %bb.685:                              ;   in Loop: Header=BB446_13 Depth=1
	v_bfe_u32 v33, v19, 16, 1
	s_delay_alu instid0(VALU_DEP_1)
	v_add3_u32 v119, v19, v33, 0x7fff
                                        ; implicit-def: $vgpr19
; %bb.686:                              ;   in Loop: Header=BB446_13 Depth=1
	s_and_not1_saveexec_b32 s21, s1
; %bb.687:                              ;   in Loop: Header=BB446_13 Depth=1
	v_and_b32_e32 v33, 0xffff, v19
	v_or_b32_e32 v34, 0x10000, v19
	s_delay_alu instid0(VALU_DEP_2) | instskip(NEXT) | instid1(VALU_DEP_1)
	v_cmp_eq_u32_e64 s1, 0, v33
	v_cndmask_b32_e64 v119, v34, v19, s1
; %bb.688:                              ;   in Loop: Header=BB446_13 Depth=1
	s_or_b32 exec_lo, exec_lo, s21
	flat_load_b64 v[33:34], v[31:32] offset:1544
	v_mov_b32_e32 v19, 0
	s_mov_b32 s21, exec_lo
	s_waitcnt vmcnt(0) lgkmcnt(0)
	v_and_b32_e32 v35, 0xff, v33
	s_delay_alu instid0(VALU_DEP_1)
	v_cmpx_ne_u16_e32 0, v35
	s_cbranch_execz .LBB446_696
; %bb.689:                              ;   in Loop: Header=BB446_13 Depth=1
	v_bfrev_b32_e32 v19, 1
	s_mov_b32 s22, exec_lo
	v_cmpx_ne_u16_e32 0x80, v35
	s_cbranch_execz .LBB446_695
; %bb.690:                              ;   in Loop: Header=BB446_13 Depth=1
	v_and_b32_e32 v35, 0x7f, v33
	v_mov_b32_e32 v19, 0x7f800001
	s_mov_b32 s23, exec_lo
	s_delay_alu instid0(VALU_DEP_2)
	v_cmpx_ne_u32_e32 0x7f, v35
	s_cbranch_execz .LBB446_694
; %bb.691:                              ;   in Loop: Header=BB446_13 Depth=1
	v_lshrrev_b32_e32 v19, 3, v35
	v_cmp_gt_u32_e64 s1, 8, v35
	v_dual_mov_b32 v36, v34 :: v_dual_mov_b32 v35, v33
	s_delay_alu instid0(VALU_DEP_2)
	s_and_saveexec_b32 s24, s1
; %bb.692:                              ;   in Loop: Header=BB446_13 Depth=1
	v_and_b32_e32 v19, 7, v33
	s_delay_alu instid0(VALU_DEP_1) | instskip(NEXT) | instid1(VALU_DEP_1)
	v_clz_i32_u32_e32 v19, v19
	v_min_u32_e32 v19, 32, v19
	s_delay_alu instid0(VALU_DEP_1) | instskip(SKIP_1) | instid1(VALU_DEP_2)
	v_subrev_nc_u32_e32 v35, 28, v19
	v_sub_nc_u32_e32 v19, 29, v19
	v_lshlrev_b64 v[35:36], v35, v[33:34]
; %bb.693:                              ;   in Loop: Header=BB446_13 Depth=1
	s_or_b32 exec_lo, exec_lo, s24
	s_delay_alu instid0(VALU_DEP_1) | instskip(SKIP_2) | instid1(VALU_DEP_3)
	v_lshlrev_b32_e32 v35, 20, v35
	v_lshlrev_b32_e32 v36, 24, v33
	v_lshl_add_u32 v19, v19, 23, 0x3c000000
	v_and_b32_e32 v35, 0x700000, v35
	s_delay_alu instid0(VALU_DEP_3) | instskip(NEXT) | instid1(VALU_DEP_1)
	v_and_b32_e32 v36, 0x80000000, v36
	v_or3_b32 v19, v35, v36, v19
.LBB446_694:                            ;   in Loop: Header=BB446_13 Depth=1
	s_or_b32 exec_lo, exec_lo, s23
.LBB446_695:                            ;   in Loop: Header=BB446_13 Depth=1
	s_delay_alu instid0(SALU_CYCLE_1)
	s_or_b32 exec_lo, exec_lo, s22
.LBB446_696:                            ;   in Loop: Header=BB446_13 Depth=1
	s_delay_alu instid0(SALU_CYCLE_1) | instskip(NEXT) | instid1(VALU_DEP_1)
	s_or_b32 exec_lo, exec_lo, s21
	v_mul_f32_e32 v19, v187, v19
                                        ; implicit-def: $vgpr128
	s_delay_alu instid0(VALU_DEP_1) | instskip(NEXT) | instid1(VALU_DEP_1)
	v_and_b32_e32 v35, 0x7f800000, v19
	v_cmp_ne_u32_e64 s1, 0x7f800000, v35
	s_delay_alu instid0(VALU_DEP_1) | instskip(NEXT) | instid1(SALU_CYCLE_1)
	s_and_saveexec_b32 s21, s1
	s_xor_b32 s1, exec_lo, s21
; %bb.697:                              ;   in Loop: Header=BB446_13 Depth=1
	v_bfe_u32 v35, v19, 16, 1
	s_delay_alu instid0(VALU_DEP_1)
	v_add3_u32 v128, v19, v35, 0x7fff
                                        ; implicit-def: $vgpr19
; %bb.698:                              ;   in Loop: Header=BB446_13 Depth=1
	s_and_not1_saveexec_b32 s21, s1
; %bb.699:                              ;   in Loop: Header=BB446_13 Depth=1
	v_and_b32_e32 v35, 0xffff, v19
	v_or_b32_e32 v36, 0x10000, v19
	s_delay_alu instid0(VALU_DEP_2) | instskip(NEXT) | instid1(VALU_DEP_1)
	v_cmp_eq_u32_e64 s1, 0, v35
	v_cndmask_b32_e64 v128, v36, v19, s1
; %bb.700:                              ;   in Loop: Header=BB446_13 Depth=1
	s_or_b32 exec_lo, exec_lo, s21
	v_lshrrev_b16 v35, 8, v33
	v_mov_b32_e32 v19, 0
	s_mov_b32 s21, exec_lo
	s_delay_alu instid0(VALU_DEP_2)
	v_cmpx_ne_u16_e32 0, v35
	s_cbranch_execz .LBB446_708
; %bb.701:                              ;   in Loop: Header=BB446_13 Depth=1
	v_bfrev_b32_e32 v19, 1
	s_mov_b32 s22, exec_lo
	v_cmpx_ne_u16_e32 0x80, v35
	s_cbranch_execz .LBB446_707
; %bb.702:                              ;   in Loop: Header=BB446_13 Depth=1
	v_and_b32_e32 v36, 0xffff, v35
	v_mov_b32_e32 v19, 0x7f800001
	s_mov_b32 s23, exec_lo
	s_delay_alu instid0(VALU_DEP_2) | instskip(NEXT) | instid1(VALU_DEP_1)
	v_and_b32_e32 v35, 0x7f, v36
	v_cmpx_ne_u32_e32 0x7f, v35
	s_cbranch_execz .LBB446_706
; %bb.703:                              ;   in Loop: Header=BB446_13 Depth=1
	v_and_b32_e32 v19, 7, v36
	v_lshrrev_b32_e32 v129, 3, v35
	v_cmp_gt_u32_e64 s1, 8, v35
	s_delay_alu instid0(VALU_DEP_3) | instskip(NEXT) | instid1(VALU_DEP_2)
	v_dual_mov_b32 v36, v20 :: v_dual_mov_b32 v35, v19
	s_and_saveexec_b32 s24, s1
; %bb.704:                              ;   in Loop: Header=BB446_13 Depth=1
	v_clz_i32_u32_e32 v35, v19
	s_delay_alu instid0(VALU_DEP_1) | instskip(NEXT) | instid1(VALU_DEP_1)
	v_min_u32_e32 v129, 32, v35
	v_subrev_nc_u32_e32 v35, 28, v129
	v_sub_nc_u32_e32 v129, 29, v129
	s_delay_alu instid0(VALU_DEP_2) | instskip(NEXT) | instid1(VALU_DEP_1)
	v_lshlrev_b64 v[35:36], v35, v[19:20]
	v_and_b32_e32 v35, 7, v35
; %bb.705:                              ;   in Loop: Header=BB446_13 Depth=1
	s_or_b32 exec_lo, exec_lo, s24
	v_lshlrev_b32_e32 v19, 16, v33
	s_delay_alu instid0(VALU_DEP_2) | instskip(SKIP_1) | instid1(VALU_DEP_3)
	v_lshlrev_b32_e32 v35, 20, v35
	v_lshl_add_u32 v36, v129, 23, 0x3c000000
	v_and_b32_e32 v19, 0x80000000, v19
	s_delay_alu instid0(VALU_DEP_1)
	v_or3_b32 v19, v35, v19, v36
.LBB446_706:                            ;   in Loop: Header=BB446_13 Depth=1
	s_or_b32 exec_lo, exec_lo, s23
.LBB446_707:                            ;   in Loop: Header=BB446_13 Depth=1
	s_delay_alu instid0(SALU_CYCLE_1)
	s_or_b32 exec_lo, exec_lo, s22
.LBB446_708:                            ;   in Loop: Header=BB446_13 Depth=1
	s_delay_alu instid0(SALU_CYCLE_1) | instskip(NEXT) | instid1(VALU_DEP_1)
	s_or_b32 exec_lo, exec_lo, s21
	v_mul_f32_e32 v19, v187, v19
                                        ; implicit-def: $vgpr129
	s_delay_alu instid0(VALU_DEP_1) | instskip(NEXT) | instid1(VALU_DEP_1)
	v_and_b32_e32 v35, 0x7f800000, v19
	v_cmp_ne_u32_e64 s1, 0x7f800000, v35
	s_delay_alu instid0(VALU_DEP_1) | instskip(NEXT) | instid1(SALU_CYCLE_1)
	s_and_saveexec_b32 s21, s1
	s_xor_b32 s1, exec_lo, s21
; %bb.709:                              ;   in Loop: Header=BB446_13 Depth=1
	v_bfe_u32 v35, v19, 16, 1
	s_delay_alu instid0(VALU_DEP_1)
	v_add3_u32 v129, v19, v35, 0x7fff
                                        ; implicit-def: $vgpr19
; %bb.710:                              ;   in Loop: Header=BB446_13 Depth=1
	s_and_not1_saveexec_b32 s21, s1
; %bb.711:                              ;   in Loop: Header=BB446_13 Depth=1
	v_and_b32_e32 v35, 0xffff, v19
	v_or_b32_e32 v36, 0x10000, v19
	s_delay_alu instid0(VALU_DEP_2) | instskip(NEXT) | instid1(VALU_DEP_1)
	v_cmp_eq_u32_e64 s1, 0, v35
	v_cndmask_b32_e64 v129, v36, v19, s1
; %bb.712:                              ;   in Loop: Header=BB446_13 Depth=1
	s_or_b32 exec_lo, exec_lo, s21
	v_lshrrev_b32_e32 v130, 16, v33
	v_mov_b32_e32 v19, 0
	s_mov_b32 s21, exec_lo
	s_delay_alu instid0(VALU_DEP_2) | instskip(NEXT) | instid1(VALU_DEP_1)
	v_and_b32_e32 v35, 0xff, v130
	v_cmpx_ne_u16_e32 0, v35
	s_cbranch_execz .LBB446_720
; %bb.713:                              ;   in Loop: Header=BB446_13 Depth=1
	v_bfrev_b32_e32 v19, 1
	s_mov_b32 s22, exec_lo
	v_cmpx_ne_u16_e32 0x80, v35
	s_cbranch_execz .LBB446_719
; %bb.714:                              ;   in Loop: Header=BB446_13 Depth=1
	v_bfe_u32 v35, v33, 16, 7
	v_mov_b32_e32 v19, 0x7f800001
	s_mov_b32 s23, exec_lo
	s_delay_alu instid0(VALU_DEP_2)
	v_cmpx_ne_u32_e32 0x7f, v35
	s_cbranch_execz .LBB446_718
; %bb.715:                              ;   in Loop: Header=BB446_13 Depth=1
	v_and_b32_e32 v19, 7, v130
	v_lshrrev_b32_e32 v131, 3, v35
	v_cmp_gt_u32_e64 s1, 8, v35
	s_delay_alu instid0(VALU_DEP_3) | instskip(NEXT) | instid1(VALU_DEP_2)
	v_dual_mov_b32 v36, v20 :: v_dual_mov_b32 v35, v19
	s_and_saveexec_b32 s24, s1
; %bb.716:                              ;   in Loop: Header=BB446_13 Depth=1
	v_clz_i32_u32_e32 v35, v19
	s_delay_alu instid0(VALU_DEP_1) | instskip(NEXT) | instid1(VALU_DEP_1)
	v_min_u32_e32 v131, 32, v35
	v_subrev_nc_u32_e32 v35, 28, v131
	v_sub_nc_u32_e32 v131, 29, v131
	s_delay_alu instid0(VALU_DEP_2) | instskip(NEXT) | instid1(VALU_DEP_1)
	v_lshlrev_b64 v[35:36], v35, v[19:20]
	v_and_b32_e32 v35, 7, v35
; %bb.717:                              ;   in Loop: Header=BB446_13 Depth=1
	s_or_b32 exec_lo, exec_lo, s24
	v_lshlrev_b32_e32 v19, 24, v130
	s_delay_alu instid0(VALU_DEP_2) | instskip(SKIP_1) | instid1(VALU_DEP_3)
	v_lshlrev_b32_e32 v35, 20, v35
	v_lshl_add_u32 v36, v131, 23, 0x3c000000
	v_and_b32_e32 v19, 0x80000000, v19
	s_delay_alu instid0(VALU_DEP_1)
	v_or3_b32 v19, v35, v19, v36
.LBB446_718:                            ;   in Loop: Header=BB446_13 Depth=1
	s_or_b32 exec_lo, exec_lo, s23
.LBB446_719:                            ;   in Loop: Header=BB446_13 Depth=1
	s_delay_alu instid0(SALU_CYCLE_1)
	s_or_b32 exec_lo, exec_lo, s22
.LBB446_720:                            ;   in Loop: Header=BB446_13 Depth=1
	s_delay_alu instid0(SALU_CYCLE_1) | instskip(NEXT) | instid1(VALU_DEP_1)
	s_or_b32 exec_lo, exec_lo, s21
	v_mul_f32_e32 v19, v187, v19
                                        ; implicit-def: $vgpr130
	s_delay_alu instid0(VALU_DEP_1) | instskip(NEXT) | instid1(VALU_DEP_1)
	v_and_b32_e32 v35, 0x7f800000, v19
	v_cmp_ne_u32_e64 s1, 0x7f800000, v35
	s_delay_alu instid0(VALU_DEP_1) | instskip(NEXT) | instid1(SALU_CYCLE_1)
	s_and_saveexec_b32 s21, s1
	s_xor_b32 s1, exec_lo, s21
; %bb.721:                              ;   in Loop: Header=BB446_13 Depth=1
	v_bfe_u32 v35, v19, 16, 1
	s_delay_alu instid0(VALU_DEP_1)
	v_add3_u32 v130, v19, v35, 0x7fff
                                        ; implicit-def: $vgpr19
; %bb.722:                              ;   in Loop: Header=BB446_13 Depth=1
	s_and_not1_saveexec_b32 s21, s1
; %bb.723:                              ;   in Loop: Header=BB446_13 Depth=1
	v_and_b32_e32 v35, 0xffff, v19
	v_or_b32_e32 v36, 0x10000, v19
	s_delay_alu instid0(VALU_DEP_2) | instskip(NEXT) | instid1(VALU_DEP_1)
	v_cmp_eq_u32_e64 s1, 0, v35
	v_cndmask_b32_e64 v130, v36, v19, s1
; %bb.724:                              ;   in Loop: Header=BB446_13 Depth=1
	s_or_b32 exec_lo, exec_lo, s21
	v_mov_b32_e32 v19, 0
	s_mov_b32 s21, exec_lo
	v_cmpx_lt_u32_e32 0xffffff, v33
	s_cbranch_execz .LBB446_732
; %bb.725:                              ;   in Loop: Header=BB446_13 Depth=1
	v_lshrrev_b32_e32 v131, 24, v33
	v_bfrev_b32_e32 v19, 1
	s_mov_b32 s22, exec_lo
	s_delay_alu instid0(VALU_DEP_2)
	v_cmpx_ne_u32_e32 0x80, v131
	s_cbranch_execz .LBB446_731
; %bb.726:                              ;   in Loop: Header=BB446_13 Depth=1
	v_bfe_u32 v35, v33, 24, 7
	v_mov_b32_e32 v19, 0x7f800001
	s_mov_b32 s23, exec_lo
	s_delay_alu instid0(VALU_DEP_2)
	v_cmpx_ne_u32_e32 0x7f, v35
	s_cbranch_execz .LBB446_730
; %bb.727:                              ;   in Loop: Header=BB446_13 Depth=1
	v_and_b32_e32 v19, 7, v131
	v_lshrrev_b32_e32 v132, 3, v35
	v_cmp_gt_u32_e64 s1, 8, v35
	s_delay_alu instid0(VALU_DEP_3) | instskip(NEXT) | instid1(VALU_DEP_2)
	v_dual_mov_b32 v36, v20 :: v_dual_mov_b32 v35, v19
	s_and_saveexec_b32 s24, s1
; %bb.728:                              ;   in Loop: Header=BB446_13 Depth=1
	v_clz_i32_u32_e32 v35, v19
	s_delay_alu instid0(VALU_DEP_1) | instskip(NEXT) | instid1(VALU_DEP_1)
	v_min_u32_e32 v132, 32, v35
	v_subrev_nc_u32_e32 v35, 28, v132
	v_sub_nc_u32_e32 v132, 29, v132
	s_delay_alu instid0(VALU_DEP_2) | instskip(NEXT) | instid1(VALU_DEP_1)
	v_lshlrev_b64 v[35:36], v35, v[19:20]
	v_and_b32_e32 v35, 7, v35
; %bb.729:                              ;   in Loop: Header=BB446_13 Depth=1
	s_or_b32 exec_lo, exec_lo, s24
	v_lshlrev_b32_e32 v19, 24, v131
	s_delay_alu instid0(VALU_DEP_2) | instskip(SKIP_1) | instid1(VALU_DEP_3)
	v_lshlrev_b32_e32 v35, 20, v35
	v_lshl_add_u32 v36, v132, 23, 0x3c000000
	v_and_b32_e32 v19, 0x80000000, v19
	s_delay_alu instid0(VALU_DEP_1)
	v_or3_b32 v19, v35, v19, v36
.LBB446_730:                            ;   in Loop: Header=BB446_13 Depth=1
	s_or_b32 exec_lo, exec_lo, s23
.LBB446_731:                            ;   in Loop: Header=BB446_13 Depth=1
	s_delay_alu instid0(SALU_CYCLE_1)
	s_or_b32 exec_lo, exec_lo, s22
.LBB446_732:                            ;   in Loop: Header=BB446_13 Depth=1
	s_delay_alu instid0(SALU_CYCLE_1) | instskip(NEXT) | instid1(VALU_DEP_1)
	s_or_b32 exec_lo, exec_lo, s21
	v_mul_f32_e32 v19, v187, v19
                                        ; implicit-def: $vgpr131
	s_delay_alu instid0(VALU_DEP_1) | instskip(NEXT) | instid1(VALU_DEP_1)
	v_and_b32_e32 v35, 0x7f800000, v19
	v_cmp_ne_u32_e64 s1, 0x7f800000, v35
	s_delay_alu instid0(VALU_DEP_1) | instskip(NEXT) | instid1(SALU_CYCLE_1)
	s_and_saveexec_b32 s21, s1
	s_xor_b32 s1, exec_lo, s21
; %bb.733:                              ;   in Loop: Header=BB446_13 Depth=1
	v_bfe_u32 v35, v19, 16, 1
	s_delay_alu instid0(VALU_DEP_1)
	v_add3_u32 v131, v19, v35, 0x7fff
                                        ; implicit-def: $vgpr19
; %bb.734:                              ;   in Loop: Header=BB446_13 Depth=1
	s_and_not1_saveexec_b32 s21, s1
; %bb.735:                              ;   in Loop: Header=BB446_13 Depth=1
	v_and_b32_e32 v35, 0xffff, v19
	v_or_b32_e32 v36, 0x10000, v19
	s_delay_alu instid0(VALU_DEP_2) | instskip(NEXT) | instid1(VALU_DEP_1)
	v_cmp_eq_u32_e64 s1, 0, v35
	v_cndmask_b32_e64 v131, v36, v19, s1
; %bb.736:                              ;   in Loop: Header=BB446_13 Depth=1
	s_or_b32 exec_lo, exec_lo, s21
	v_dual_mov_b32 v19, v34 :: v_dual_and_b32 v36, 0xff, v34
	v_mov_b32_e32 v35, 0
	s_mov_b32 s21, exec_lo
	s_delay_alu instid0(VALU_DEP_2)
	v_cmpx_ne_u16_e32 0, v36
	s_cbranch_execz .LBB446_744
; %bb.737:                              ;   in Loop: Header=BB446_13 Depth=1
	v_bfrev_b32_e32 v35, 1
	s_mov_b32 s22, exec_lo
	v_cmpx_ne_u16_e32 0x80, v36
	s_cbranch_execz .LBB446_743
; %bb.738:                              ;   in Loop: Header=BB446_13 Depth=1
	v_and_b32_e32 v36, 0x7f, v34
	v_mov_b32_e32 v35, 0x7f800001
	s_mov_b32 s23, exec_lo
	s_delay_alu instid0(VALU_DEP_2)
	v_cmpx_ne_u32_e32 0x7f, v36
	s_cbranch_execz .LBB446_742
; %bb.739:                              ;   in Loop: Header=BB446_13 Depth=1
	v_lshrrev_b32_e32 v132, 3, v36
	v_cmp_gt_u32_e64 s1, 8, v36
	v_dual_mov_b32 v36, v20 :: v_dual_mov_b32 v35, v19
	s_delay_alu instid0(VALU_DEP_2)
	s_and_saveexec_b32 s24, s1
; %bb.740:                              ;   in Loop: Header=BB446_13 Depth=1
	v_and_b32_e32 v35, 7, v34
	s_delay_alu instid0(VALU_DEP_1) | instskip(NEXT) | instid1(VALU_DEP_1)
	v_clz_i32_u32_e32 v35, v35
	v_min_u32_e32 v132, 32, v35
	s_delay_alu instid0(VALU_DEP_1) | instskip(SKIP_1) | instid1(VALU_DEP_2)
	v_subrev_nc_u32_e32 v35, 28, v132
	v_sub_nc_u32_e32 v132, 29, v132
	v_lshlrev_b64 v[35:36], v35, v[19:20]
; %bb.741:                              ;   in Loop: Header=BB446_13 Depth=1
	s_or_b32 exec_lo, exec_lo, s24
	s_delay_alu instid0(VALU_DEP_1) | instskip(SKIP_2) | instid1(VALU_DEP_3)
	v_lshlrev_b32_e32 v35, 20, v35
	v_lshlrev_b32_e32 v36, 24, v19
	v_lshl_add_u32 v132, v132, 23, 0x3c000000
	v_and_b32_e32 v35, 0x700000, v35
	s_delay_alu instid0(VALU_DEP_3) | instskip(NEXT) | instid1(VALU_DEP_1)
	v_and_b32_e32 v36, 0x80000000, v36
	v_or3_b32 v35, v35, v36, v132
.LBB446_742:                            ;   in Loop: Header=BB446_13 Depth=1
	s_or_b32 exec_lo, exec_lo, s23
.LBB446_743:                            ;   in Loop: Header=BB446_13 Depth=1
	s_delay_alu instid0(SALU_CYCLE_1)
	s_or_b32 exec_lo, exec_lo, s22
.LBB446_744:                            ;   in Loop: Header=BB446_13 Depth=1
	s_delay_alu instid0(SALU_CYCLE_1) | instskip(NEXT) | instid1(VALU_DEP_1)
	s_or_b32 exec_lo, exec_lo, s21
	v_mul_f32_e32 v35, v187, v35
                                        ; implicit-def: $vgpr132
	s_delay_alu instid0(VALU_DEP_1) | instskip(NEXT) | instid1(VALU_DEP_1)
	v_and_b32_e32 v36, 0x7f800000, v35
	v_cmp_ne_u32_e64 s1, 0x7f800000, v36
	s_delay_alu instid0(VALU_DEP_1) | instskip(NEXT) | instid1(SALU_CYCLE_1)
	s_and_saveexec_b32 s21, s1
	s_xor_b32 s1, exec_lo, s21
; %bb.745:                              ;   in Loop: Header=BB446_13 Depth=1
	v_bfe_u32 v36, v35, 16, 1
	s_delay_alu instid0(VALU_DEP_1)
	v_add3_u32 v132, v35, v36, 0x7fff
                                        ; implicit-def: $vgpr35
; %bb.746:                              ;   in Loop: Header=BB446_13 Depth=1
	s_and_not1_saveexec_b32 s21, s1
; %bb.747:                              ;   in Loop: Header=BB446_13 Depth=1
	v_and_b32_e32 v36, 0xffff, v35
	v_or_b32_e32 v132, 0x10000, v35
	s_delay_alu instid0(VALU_DEP_2) | instskip(NEXT) | instid1(VALU_DEP_1)
	v_cmp_eq_u32_e64 s1, 0, v36
	v_cndmask_b32_e64 v132, v132, v35, s1
; %bb.748:                              ;   in Loop: Header=BB446_13 Depth=1
	s_or_b32 exec_lo, exec_lo, s21
	v_lshrrev_b16 v36, 8, v19
	v_mov_b32_e32 v35, 0
	s_mov_b32 s21, exec_lo
	s_delay_alu instid0(VALU_DEP_2)
	v_cmpx_ne_u16_e32 0, v36
	s_cbranch_execz .LBB446_756
; %bb.749:                              ;   in Loop: Header=BB446_13 Depth=1
	v_bfrev_b32_e32 v35, 1
	s_mov_b32 s22, exec_lo
	v_cmpx_ne_u16_e32 0x80, v36
	s_cbranch_execz .LBB446_755
; %bb.750:                              ;   in Loop: Header=BB446_13 Depth=1
	v_and_b32_e32 v36, 0xffff, v36
	v_mov_b32_e32 v35, 0x7f800001
	s_mov_b32 s23, exec_lo
	s_delay_alu instid0(VALU_DEP_2) | instskip(NEXT) | instid1(VALU_DEP_1)
	v_and_b32_e32 v134, 0x7f, v36
	v_cmpx_ne_u32_e32 0x7f, v134
	s_cbranch_execz .LBB446_754
; %bb.751:                              ;   in Loop: Header=BB446_13 Depth=1
	v_dual_mov_b32 v36, v20 :: v_dual_and_b32 v35, 7, v36
	v_lshrrev_b32_e32 v133, 3, v134
	s_mov_b32 s24, exec_lo
	v_cmpx_gt_u32_e32 8, v134
; %bb.752:                              ;   in Loop: Header=BB446_13 Depth=1
	s_delay_alu instid0(VALU_DEP_3) | instskip(NEXT) | instid1(VALU_DEP_1)
	v_clz_i32_u32_e32 v133, v35
	v_min_u32_e32 v133, 32, v133
	s_delay_alu instid0(VALU_DEP_1) | instskip(SKIP_1) | instid1(VALU_DEP_2)
	v_subrev_nc_u32_e32 v134, 28, v133
	v_sub_nc_u32_e32 v133, 29, v133
	v_lshlrev_b64 v[35:36], v134, v[35:36]
	s_delay_alu instid0(VALU_DEP_1)
	v_and_b32_e32 v35, 7, v35
; %bb.753:                              ;   in Loop: Header=BB446_13 Depth=1
	s_or_b32 exec_lo, exec_lo, s24
	v_lshlrev_b32_e32 v19, 16, v19
	s_delay_alu instid0(VALU_DEP_2) | instskip(SKIP_1) | instid1(VALU_DEP_3)
	v_lshlrev_b32_e32 v35, 20, v35
	v_lshl_add_u32 v36, v133, 23, 0x3c000000
	v_and_b32_e32 v19, 0x80000000, v19
	s_delay_alu instid0(VALU_DEP_1)
	v_or3_b32 v35, v35, v19, v36
.LBB446_754:                            ;   in Loop: Header=BB446_13 Depth=1
	s_or_b32 exec_lo, exec_lo, s23
.LBB446_755:                            ;   in Loop: Header=BB446_13 Depth=1
	s_delay_alu instid0(SALU_CYCLE_1)
	s_or_b32 exec_lo, exec_lo, s22
.LBB446_756:                            ;   in Loop: Header=BB446_13 Depth=1
	s_delay_alu instid0(SALU_CYCLE_1) | instskip(NEXT) | instid1(VALU_DEP_1)
	s_or_b32 exec_lo, exec_lo, s21
	v_mul_f32_e32 v19, v187, v35
                                        ; implicit-def: $vgpr133
	s_delay_alu instid0(VALU_DEP_1) | instskip(NEXT) | instid1(VALU_DEP_1)
	v_and_b32_e32 v35, 0x7f800000, v19
	v_cmp_ne_u32_e64 s1, 0x7f800000, v35
	s_delay_alu instid0(VALU_DEP_1) | instskip(NEXT) | instid1(SALU_CYCLE_1)
	s_and_saveexec_b32 s21, s1
	s_xor_b32 s1, exec_lo, s21
; %bb.757:                              ;   in Loop: Header=BB446_13 Depth=1
	v_bfe_u32 v35, v19, 16, 1
	s_delay_alu instid0(VALU_DEP_1)
	v_add3_u32 v133, v19, v35, 0x7fff
                                        ; implicit-def: $vgpr19
; %bb.758:                              ;   in Loop: Header=BB446_13 Depth=1
	s_and_not1_saveexec_b32 s21, s1
; %bb.759:                              ;   in Loop: Header=BB446_13 Depth=1
	v_and_b32_e32 v35, 0xffff, v19
	v_or_b32_e32 v36, 0x10000, v19
	s_delay_alu instid0(VALU_DEP_2) | instskip(NEXT) | instid1(VALU_DEP_1)
	v_cmp_eq_u32_e64 s1, 0, v35
	v_cndmask_b32_e64 v133, v36, v19, s1
; %bb.760:                              ;   in Loop: Header=BB446_13 Depth=1
	s_or_b32 exec_lo, exec_lo, s21
	v_lshrrev_b32_e32 v134, 16, v34
	v_mov_b32_e32 v19, 0
	s_mov_b32 s21, exec_lo
	s_delay_alu instid0(VALU_DEP_2) | instskip(NEXT) | instid1(VALU_DEP_1)
	v_and_b32_e32 v35, 0xff, v134
	v_cmpx_ne_u16_e32 0, v35
	s_cbranch_execz .LBB446_768
; %bb.761:                              ;   in Loop: Header=BB446_13 Depth=1
	v_bfrev_b32_e32 v19, 1
	s_mov_b32 s22, exec_lo
	v_cmpx_ne_u16_e32 0x80, v35
	s_cbranch_execz .LBB446_767
; %bb.762:                              ;   in Loop: Header=BB446_13 Depth=1
	v_bfe_u32 v35, v34, 16, 7
	v_mov_b32_e32 v19, 0x7f800001
	s_mov_b32 s23, exec_lo
	s_delay_alu instid0(VALU_DEP_2)
	v_cmpx_ne_u32_e32 0x7f, v35
	s_cbranch_execz .LBB446_766
; %bb.763:                              ;   in Loop: Header=BB446_13 Depth=1
	v_and_b32_e32 v19, 7, v134
	v_lshrrev_b32_e32 v135, 3, v35
	v_cmp_gt_u32_e64 s1, 8, v35
	s_delay_alu instid0(VALU_DEP_3) | instskip(NEXT) | instid1(VALU_DEP_2)
	v_dual_mov_b32 v36, v20 :: v_dual_mov_b32 v35, v19
	s_and_saveexec_b32 s24, s1
; %bb.764:                              ;   in Loop: Header=BB446_13 Depth=1
	v_clz_i32_u32_e32 v35, v19
	s_delay_alu instid0(VALU_DEP_1) | instskip(NEXT) | instid1(VALU_DEP_1)
	v_min_u32_e32 v135, 32, v35
	v_subrev_nc_u32_e32 v35, 28, v135
	v_sub_nc_u32_e32 v135, 29, v135
	s_delay_alu instid0(VALU_DEP_2) | instskip(NEXT) | instid1(VALU_DEP_1)
	v_lshlrev_b64 v[35:36], v35, v[19:20]
	v_and_b32_e32 v35, 7, v35
; %bb.765:                              ;   in Loop: Header=BB446_13 Depth=1
	s_or_b32 exec_lo, exec_lo, s24
	v_lshlrev_b32_e32 v19, 24, v134
	s_delay_alu instid0(VALU_DEP_2) | instskip(SKIP_1) | instid1(VALU_DEP_3)
	v_lshlrev_b32_e32 v35, 20, v35
	v_lshl_add_u32 v36, v135, 23, 0x3c000000
	v_and_b32_e32 v19, 0x80000000, v19
	s_delay_alu instid0(VALU_DEP_1)
	v_or3_b32 v19, v35, v19, v36
.LBB446_766:                            ;   in Loop: Header=BB446_13 Depth=1
	s_or_b32 exec_lo, exec_lo, s23
.LBB446_767:                            ;   in Loop: Header=BB446_13 Depth=1
	s_delay_alu instid0(SALU_CYCLE_1)
	s_or_b32 exec_lo, exec_lo, s22
.LBB446_768:                            ;   in Loop: Header=BB446_13 Depth=1
	s_delay_alu instid0(SALU_CYCLE_1) | instskip(NEXT) | instid1(VALU_DEP_1)
	s_or_b32 exec_lo, exec_lo, s21
	v_mul_f32_e32 v19, v187, v19
                                        ; implicit-def: $vgpr134
	s_delay_alu instid0(VALU_DEP_1) | instskip(NEXT) | instid1(VALU_DEP_1)
	v_and_b32_e32 v35, 0x7f800000, v19
	v_cmp_ne_u32_e64 s1, 0x7f800000, v35
	s_delay_alu instid0(VALU_DEP_1) | instskip(NEXT) | instid1(SALU_CYCLE_1)
	s_and_saveexec_b32 s21, s1
	s_xor_b32 s1, exec_lo, s21
; %bb.769:                              ;   in Loop: Header=BB446_13 Depth=1
	v_bfe_u32 v35, v19, 16, 1
	s_delay_alu instid0(VALU_DEP_1)
	v_add3_u32 v134, v19, v35, 0x7fff
                                        ; implicit-def: $vgpr19
; %bb.770:                              ;   in Loop: Header=BB446_13 Depth=1
	s_and_not1_saveexec_b32 s21, s1
; %bb.771:                              ;   in Loop: Header=BB446_13 Depth=1
	v_and_b32_e32 v35, 0xffff, v19
	v_or_b32_e32 v36, 0x10000, v19
	s_delay_alu instid0(VALU_DEP_2) | instskip(NEXT) | instid1(VALU_DEP_1)
	v_cmp_eq_u32_e64 s1, 0, v35
	v_cndmask_b32_e64 v134, v36, v19, s1
; %bb.772:                              ;   in Loop: Header=BB446_13 Depth=1
	s_or_b32 exec_lo, exec_lo, s21
	v_mov_b32_e32 v19, 0
	s_mov_b32 s21, exec_lo
	v_cmpx_lt_u64_e64 s[16:17], v[33:34]
	s_cbranch_execz .LBB446_780
; %bb.773:                              ;   in Loop: Header=BB446_13 Depth=1
	v_lshrrev_b32_e32 v35, 24, v34
	v_bfrev_b32_e32 v19, 1
	s_mov_b32 s22, exec_lo
	s_delay_alu instid0(VALU_DEP_2)
	v_cmpx_ne_u32_e32 0x80, v35
	s_cbranch_execz .LBB446_779
; %bb.774:                              ;   in Loop: Header=BB446_13 Depth=1
	v_bfe_u32 v33, v34, 24, 7
	v_mov_b32_e32 v19, 0x7f800001
	s_mov_b32 s23, exec_lo
	s_delay_alu instid0(VALU_DEP_2)
	v_cmpx_ne_u32_e32 0x7f, v33
	s_cbranch_execz .LBB446_778
; %bb.775:                              ;   in Loop: Header=BB446_13 Depth=1
	v_and_b32_e32 v19, 7, v35
	v_lshrrev_b32_e32 v36, 3, v33
	v_cmp_gt_u32_e64 s1, 8, v33
	s_delay_alu instid0(VALU_DEP_3) | instskip(NEXT) | instid1(VALU_DEP_2)
	v_dual_mov_b32 v34, v20 :: v_dual_mov_b32 v33, v19
	s_and_saveexec_b32 s24, s1
; %bb.776:                              ;   in Loop: Header=BB446_13 Depth=1
	v_clz_i32_u32_e32 v33, v19
	s_delay_alu instid0(VALU_DEP_1) | instskip(NEXT) | instid1(VALU_DEP_1)
	v_min_u32_e32 v36, 32, v33
	v_subrev_nc_u32_e32 v33, 28, v36
	v_sub_nc_u32_e32 v36, 29, v36
	s_delay_alu instid0(VALU_DEP_2) | instskip(NEXT) | instid1(VALU_DEP_1)
	v_lshlrev_b64 v[33:34], v33, v[19:20]
	v_and_b32_e32 v33, 7, v33
; %bb.777:                              ;   in Loop: Header=BB446_13 Depth=1
	s_or_b32 exec_lo, exec_lo, s24
	v_lshlrev_b32_e32 v19, 24, v35
	s_delay_alu instid0(VALU_DEP_2) | instskip(SKIP_1) | instid1(VALU_DEP_3)
	v_lshlrev_b32_e32 v33, 20, v33
	v_lshl_add_u32 v34, v36, 23, 0x3c000000
	v_and_b32_e32 v19, 0x80000000, v19
	s_delay_alu instid0(VALU_DEP_1)
	v_or3_b32 v19, v33, v19, v34
.LBB446_778:                            ;   in Loop: Header=BB446_13 Depth=1
	s_or_b32 exec_lo, exec_lo, s23
.LBB446_779:                            ;   in Loop: Header=BB446_13 Depth=1
	s_delay_alu instid0(SALU_CYCLE_1)
	s_or_b32 exec_lo, exec_lo, s22
.LBB446_780:                            ;   in Loop: Header=BB446_13 Depth=1
	s_delay_alu instid0(SALU_CYCLE_1) | instskip(NEXT) | instid1(VALU_DEP_1)
	s_or_b32 exec_lo, exec_lo, s21
	v_mul_f32_e32 v19, v187, v19
                                        ; implicit-def: $vgpr135
	s_delay_alu instid0(VALU_DEP_1) | instskip(NEXT) | instid1(VALU_DEP_1)
	v_and_b32_e32 v33, 0x7f800000, v19
	v_cmp_ne_u32_e64 s1, 0x7f800000, v33
	s_delay_alu instid0(VALU_DEP_1) | instskip(NEXT) | instid1(SALU_CYCLE_1)
	s_and_saveexec_b32 s21, s1
	s_xor_b32 s1, exec_lo, s21
; %bb.781:                              ;   in Loop: Header=BB446_13 Depth=1
	v_bfe_u32 v33, v19, 16, 1
	s_delay_alu instid0(VALU_DEP_1)
	v_add3_u32 v135, v19, v33, 0x7fff
                                        ; implicit-def: $vgpr19
; %bb.782:                              ;   in Loop: Header=BB446_13 Depth=1
	s_and_not1_saveexec_b32 s21, s1
; %bb.783:                              ;   in Loop: Header=BB446_13 Depth=1
	v_and_b32_e32 v33, 0xffff, v19
	v_or_b32_e32 v34, 0x10000, v19
	s_delay_alu instid0(VALU_DEP_2) | instskip(NEXT) | instid1(VALU_DEP_1)
	v_cmp_eq_u32_e64 s1, 0, v33
	v_cndmask_b32_e64 v135, v34, v19, s1
; %bb.784:                              ;   in Loop: Header=BB446_13 Depth=1
	s_or_b32 exec_lo, exec_lo, s21
	flat_load_b64 v[33:34], v[31:32] offset:2048
	v_mov_b32_e32 v19, 0
	s_mov_b32 s21, exec_lo
	s_waitcnt vmcnt(0) lgkmcnt(0)
	v_and_b32_e32 v35, 0xff, v33
	s_delay_alu instid0(VALU_DEP_1)
	v_cmpx_ne_u16_e32 0, v35
	s_cbranch_execz .LBB446_792
; %bb.785:                              ;   in Loop: Header=BB446_13 Depth=1
	v_bfrev_b32_e32 v19, 1
	s_mov_b32 s22, exec_lo
	v_cmpx_ne_u16_e32 0x80, v35
	s_cbranch_execz .LBB446_791
; %bb.786:                              ;   in Loop: Header=BB446_13 Depth=1
	v_and_b32_e32 v35, 0x7f, v33
	v_mov_b32_e32 v19, 0x7f800001
	s_mov_b32 s23, exec_lo
	s_delay_alu instid0(VALU_DEP_2)
	v_cmpx_ne_u32_e32 0x7f, v35
	s_cbranch_execz .LBB446_790
; %bb.787:                              ;   in Loop: Header=BB446_13 Depth=1
	v_lshrrev_b32_e32 v19, 3, v35
	v_cmp_gt_u32_e64 s1, 8, v35
	v_dual_mov_b32 v36, v34 :: v_dual_mov_b32 v35, v33
	s_delay_alu instid0(VALU_DEP_2)
	s_and_saveexec_b32 s24, s1
; %bb.788:                              ;   in Loop: Header=BB446_13 Depth=1
	v_and_b32_e32 v19, 7, v33
	s_delay_alu instid0(VALU_DEP_1) | instskip(NEXT) | instid1(VALU_DEP_1)
	v_clz_i32_u32_e32 v19, v19
	v_min_u32_e32 v19, 32, v19
	s_delay_alu instid0(VALU_DEP_1) | instskip(SKIP_1) | instid1(VALU_DEP_2)
	v_subrev_nc_u32_e32 v35, 28, v19
	v_sub_nc_u32_e32 v19, 29, v19
	v_lshlrev_b64 v[35:36], v35, v[33:34]
; %bb.789:                              ;   in Loop: Header=BB446_13 Depth=1
	s_or_b32 exec_lo, exec_lo, s24
	s_delay_alu instid0(VALU_DEP_1) | instskip(SKIP_2) | instid1(VALU_DEP_3)
	v_lshlrev_b32_e32 v35, 20, v35
	v_lshlrev_b32_e32 v36, 24, v33
	v_lshl_add_u32 v19, v19, 23, 0x3c000000
	v_and_b32_e32 v35, 0x700000, v35
	s_delay_alu instid0(VALU_DEP_3) | instskip(NEXT) | instid1(VALU_DEP_1)
	v_and_b32_e32 v36, 0x80000000, v36
	v_or3_b32 v19, v35, v36, v19
.LBB446_790:                            ;   in Loop: Header=BB446_13 Depth=1
	s_or_b32 exec_lo, exec_lo, s23
.LBB446_791:                            ;   in Loop: Header=BB446_13 Depth=1
	s_delay_alu instid0(SALU_CYCLE_1)
	s_or_b32 exec_lo, exec_lo, s22
.LBB446_792:                            ;   in Loop: Header=BB446_13 Depth=1
	s_delay_alu instid0(SALU_CYCLE_1) | instskip(NEXT) | instid1(VALU_DEP_1)
	s_or_b32 exec_lo, exec_lo, s21
	v_mul_f32_e32 v19, v187, v19
                                        ; implicit-def: $vgpr144
	s_delay_alu instid0(VALU_DEP_1) | instskip(NEXT) | instid1(VALU_DEP_1)
	v_and_b32_e32 v35, 0x7f800000, v19
	v_cmp_ne_u32_e64 s1, 0x7f800000, v35
	s_delay_alu instid0(VALU_DEP_1) | instskip(NEXT) | instid1(SALU_CYCLE_1)
	s_and_saveexec_b32 s21, s1
	s_xor_b32 s1, exec_lo, s21
; %bb.793:                              ;   in Loop: Header=BB446_13 Depth=1
	v_bfe_u32 v35, v19, 16, 1
	s_delay_alu instid0(VALU_DEP_1)
	v_add3_u32 v144, v19, v35, 0x7fff
                                        ; implicit-def: $vgpr19
; %bb.794:                              ;   in Loop: Header=BB446_13 Depth=1
	s_and_not1_saveexec_b32 s21, s1
; %bb.795:                              ;   in Loop: Header=BB446_13 Depth=1
	v_and_b32_e32 v35, 0xffff, v19
	v_or_b32_e32 v36, 0x10000, v19
	s_delay_alu instid0(VALU_DEP_2) | instskip(NEXT) | instid1(VALU_DEP_1)
	v_cmp_eq_u32_e64 s1, 0, v35
	v_cndmask_b32_e64 v144, v36, v19, s1
; %bb.796:                              ;   in Loop: Header=BB446_13 Depth=1
	s_or_b32 exec_lo, exec_lo, s21
	v_lshrrev_b16 v35, 8, v33
	v_mov_b32_e32 v19, 0
	s_mov_b32 s21, exec_lo
	s_delay_alu instid0(VALU_DEP_2)
	v_cmpx_ne_u16_e32 0, v35
	s_cbranch_execz .LBB446_804
; %bb.797:                              ;   in Loop: Header=BB446_13 Depth=1
	v_bfrev_b32_e32 v19, 1
	s_mov_b32 s22, exec_lo
	v_cmpx_ne_u16_e32 0x80, v35
	s_cbranch_execz .LBB446_803
; %bb.798:                              ;   in Loop: Header=BB446_13 Depth=1
	v_and_b32_e32 v36, 0xffff, v35
	v_mov_b32_e32 v19, 0x7f800001
	s_mov_b32 s23, exec_lo
	s_delay_alu instid0(VALU_DEP_2) | instskip(NEXT) | instid1(VALU_DEP_1)
	v_and_b32_e32 v35, 0x7f, v36
	v_cmpx_ne_u32_e32 0x7f, v35
	s_cbranch_execz .LBB446_802
; %bb.799:                              ;   in Loop: Header=BB446_13 Depth=1
	v_and_b32_e32 v19, 7, v36
	v_lshrrev_b32_e32 v145, 3, v35
	v_cmp_gt_u32_e64 s1, 8, v35
	s_delay_alu instid0(VALU_DEP_3) | instskip(NEXT) | instid1(VALU_DEP_2)
	v_dual_mov_b32 v36, v20 :: v_dual_mov_b32 v35, v19
	s_and_saveexec_b32 s24, s1
; %bb.800:                              ;   in Loop: Header=BB446_13 Depth=1
	v_clz_i32_u32_e32 v35, v19
	s_delay_alu instid0(VALU_DEP_1) | instskip(NEXT) | instid1(VALU_DEP_1)
	v_min_u32_e32 v145, 32, v35
	v_subrev_nc_u32_e32 v35, 28, v145
	v_sub_nc_u32_e32 v145, 29, v145
	s_delay_alu instid0(VALU_DEP_2) | instskip(NEXT) | instid1(VALU_DEP_1)
	v_lshlrev_b64 v[35:36], v35, v[19:20]
	v_and_b32_e32 v35, 7, v35
; %bb.801:                              ;   in Loop: Header=BB446_13 Depth=1
	s_or_b32 exec_lo, exec_lo, s24
	v_lshlrev_b32_e32 v19, 16, v33
	s_delay_alu instid0(VALU_DEP_2) | instskip(SKIP_1) | instid1(VALU_DEP_3)
	v_lshlrev_b32_e32 v35, 20, v35
	v_lshl_add_u32 v36, v145, 23, 0x3c000000
	v_and_b32_e32 v19, 0x80000000, v19
	s_delay_alu instid0(VALU_DEP_1)
	v_or3_b32 v19, v35, v19, v36
.LBB446_802:                            ;   in Loop: Header=BB446_13 Depth=1
	s_or_b32 exec_lo, exec_lo, s23
.LBB446_803:                            ;   in Loop: Header=BB446_13 Depth=1
	s_delay_alu instid0(SALU_CYCLE_1)
	s_or_b32 exec_lo, exec_lo, s22
.LBB446_804:                            ;   in Loop: Header=BB446_13 Depth=1
	s_delay_alu instid0(SALU_CYCLE_1) | instskip(NEXT) | instid1(VALU_DEP_1)
	s_or_b32 exec_lo, exec_lo, s21
	v_mul_f32_e32 v19, v187, v19
                                        ; implicit-def: $vgpr145
	s_delay_alu instid0(VALU_DEP_1) | instskip(NEXT) | instid1(VALU_DEP_1)
	v_and_b32_e32 v35, 0x7f800000, v19
	v_cmp_ne_u32_e64 s1, 0x7f800000, v35
	s_delay_alu instid0(VALU_DEP_1) | instskip(NEXT) | instid1(SALU_CYCLE_1)
	s_and_saveexec_b32 s21, s1
	s_xor_b32 s1, exec_lo, s21
; %bb.805:                              ;   in Loop: Header=BB446_13 Depth=1
	v_bfe_u32 v35, v19, 16, 1
	s_delay_alu instid0(VALU_DEP_1)
	v_add3_u32 v145, v19, v35, 0x7fff
                                        ; implicit-def: $vgpr19
; %bb.806:                              ;   in Loop: Header=BB446_13 Depth=1
	s_and_not1_saveexec_b32 s21, s1
; %bb.807:                              ;   in Loop: Header=BB446_13 Depth=1
	v_and_b32_e32 v35, 0xffff, v19
	v_or_b32_e32 v36, 0x10000, v19
	s_delay_alu instid0(VALU_DEP_2) | instskip(NEXT) | instid1(VALU_DEP_1)
	v_cmp_eq_u32_e64 s1, 0, v35
	v_cndmask_b32_e64 v145, v36, v19, s1
; %bb.808:                              ;   in Loop: Header=BB446_13 Depth=1
	s_or_b32 exec_lo, exec_lo, s21
	v_lshrrev_b32_e32 v146, 16, v33
	v_mov_b32_e32 v19, 0
	s_mov_b32 s21, exec_lo
	s_delay_alu instid0(VALU_DEP_2) | instskip(NEXT) | instid1(VALU_DEP_1)
	v_and_b32_e32 v35, 0xff, v146
	v_cmpx_ne_u16_e32 0, v35
	s_cbranch_execz .LBB446_816
; %bb.809:                              ;   in Loop: Header=BB446_13 Depth=1
	v_bfrev_b32_e32 v19, 1
	s_mov_b32 s22, exec_lo
	v_cmpx_ne_u16_e32 0x80, v35
	s_cbranch_execz .LBB446_815
; %bb.810:                              ;   in Loop: Header=BB446_13 Depth=1
	v_bfe_u32 v35, v33, 16, 7
	v_mov_b32_e32 v19, 0x7f800001
	s_mov_b32 s23, exec_lo
	s_delay_alu instid0(VALU_DEP_2)
	v_cmpx_ne_u32_e32 0x7f, v35
	s_cbranch_execz .LBB446_814
; %bb.811:                              ;   in Loop: Header=BB446_13 Depth=1
	v_and_b32_e32 v19, 7, v146
	v_lshrrev_b32_e32 v147, 3, v35
	v_cmp_gt_u32_e64 s1, 8, v35
	s_delay_alu instid0(VALU_DEP_3) | instskip(NEXT) | instid1(VALU_DEP_2)
	v_dual_mov_b32 v36, v20 :: v_dual_mov_b32 v35, v19
	s_and_saveexec_b32 s24, s1
; %bb.812:                              ;   in Loop: Header=BB446_13 Depth=1
	v_clz_i32_u32_e32 v35, v19
	s_delay_alu instid0(VALU_DEP_1) | instskip(NEXT) | instid1(VALU_DEP_1)
	v_min_u32_e32 v147, 32, v35
	v_subrev_nc_u32_e32 v35, 28, v147
	v_sub_nc_u32_e32 v147, 29, v147
	s_delay_alu instid0(VALU_DEP_2) | instskip(NEXT) | instid1(VALU_DEP_1)
	v_lshlrev_b64 v[35:36], v35, v[19:20]
	v_and_b32_e32 v35, 7, v35
; %bb.813:                              ;   in Loop: Header=BB446_13 Depth=1
	s_or_b32 exec_lo, exec_lo, s24
	v_lshlrev_b32_e32 v19, 24, v146
	s_delay_alu instid0(VALU_DEP_2) | instskip(SKIP_1) | instid1(VALU_DEP_3)
	v_lshlrev_b32_e32 v35, 20, v35
	v_lshl_add_u32 v36, v147, 23, 0x3c000000
	v_and_b32_e32 v19, 0x80000000, v19
	s_delay_alu instid0(VALU_DEP_1)
	v_or3_b32 v19, v35, v19, v36
.LBB446_814:                            ;   in Loop: Header=BB446_13 Depth=1
	s_or_b32 exec_lo, exec_lo, s23
.LBB446_815:                            ;   in Loop: Header=BB446_13 Depth=1
	s_delay_alu instid0(SALU_CYCLE_1)
	s_or_b32 exec_lo, exec_lo, s22
.LBB446_816:                            ;   in Loop: Header=BB446_13 Depth=1
	s_delay_alu instid0(SALU_CYCLE_1) | instskip(NEXT) | instid1(VALU_DEP_1)
	s_or_b32 exec_lo, exec_lo, s21
	v_mul_f32_e32 v19, v187, v19
                                        ; implicit-def: $vgpr146
	s_delay_alu instid0(VALU_DEP_1) | instskip(NEXT) | instid1(VALU_DEP_1)
	v_and_b32_e32 v35, 0x7f800000, v19
	v_cmp_ne_u32_e64 s1, 0x7f800000, v35
	s_delay_alu instid0(VALU_DEP_1) | instskip(NEXT) | instid1(SALU_CYCLE_1)
	s_and_saveexec_b32 s21, s1
	s_xor_b32 s1, exec_lo, s21
; %bb.817:                              ;   in Loop: Header=BB446_13 Depth=1
	v_bfe_u32 v35, v19, 16, 1
	s_delay_alu instid0(VALU_DEP_1)
	v_add3_u32 v146, v19, v35, 0x7fff
                                        ; implicit-def: $vgpr19
; %bb.818:                              ;   in Loop: Header=BB446_13 Depth=1
	s_and_not1_saveexec_b32 s21, s1
; %bb.819:                              ;   in Loop: Header=BB446_13 Depth=1
	v_and_b32_e32 v35, 0xffff, v19
	v_or_b32_e32 v36, 0x10000, v19
	s_delay_alu instid0(VALU_DEP_2) | instskip(NEXT) | instid1(VALU_DEP_1)
	v_cmp_eq_u32_e64 s1, 0, v35
	v_cndmask_b32_e64 v146, v36, v19, s1
; %bb.820:                              ;   in Loop: Header=BB446_13 Depth=1
	s_or_b32 exec_lo, exec_lo, s21
	v_mov_b32_e32 v19, 0
	s_mov_b32 s21, exec_lo
	v_cmpx_lt_u32_e32 0xffffff, v33
	s_cbranch_execz .LBB446_828
; %bb.821:                              ;   in Loop: Header=BB446_13 Depth=1
	v_lshrrev_b32_e32 v147, 24, v33
	v_bfrev_b32_e32 v19, 1
	s_mov_b32 s22, exec_lo
	s_delay_alu instid0(VALU_DEP_2)
	v_cmpx_ne_u32_e32 0x80, v147
	s_cbranch_execz .LBB446_827
; %bb.822:                              ;   in Loop: Header=BB446_13 Depth=1
	v_bfe_u32 v35, v33, 24, 7
	v_mov_b32_e32 v19, 0x7f800001
	s_mov_b32 s23, exec_lo
	s_delay_alu instid0(VALU_DEP_2)
	v_cmpx_ne_u32_e32 0x7f, v35
	s_cbranch_execz .LBB446_826
; %bb.823:                              ;   in Loop: Header=BB446_13 Depth=1
	v_and_b32_e32 v19, 7, v147
	v_lshrrev_b32_e32 v148, 3, v35
	v_cmp_gt_u32_e64 s1, 8, v35
	s_delay_alu instid0(VALU_DEP_3) | instskip(NEXT) | instid1(VALU_DEP_2)
	v_dual_mov_b32 v36, v20 :: v_dual_mov_b32 v35, v19
	s_and_saveexec_b32 s24, s1
; %bb.824:                              ;   in Loop: Header=BB446_13 Depth=1
	v_clz_i32_u32_e32 v35, v19
	s_delay_alu instid0(VALU_DEP_1) | instskip(NEXT) | instid1(VALU_DEP_1)
	v_min_u32_e32 v148, 32, v35
	v_subrev_nc_u32_e32 v35, 28, v148
	v_sub_nc_u32_e32 v148, 29, v148
	s_delay_alu instid0(VALU_DEP_2) | instskip(NEXT) | instid1(VALU_DEP_1)
	v_lshlrev_b64 v[35:36], v35, v[19:20]
	v_and_b32_e32 v35, 7, v35
; %bb.825:                              ;   in Loop: Header=BB446_13 Depth=1
	s_or_b32 exec_lo, exec_lo, s24
	v_lshlrev_b32_e32 v19, 24, v147
	s_delay_alu instid0(VALU_DEP_2) | instskip(SKIP_1) | instid1(VALU_DEP_3)
	v_lshlrev_b32_e32 v35, 20, v35
	v_lshl_add_u32 v36, v148, 23, 0x3c000000
	v_and_b32_e32 v19, 0x80000000, v19
	s_delay_alu instid0(VALU_DEP_1)
	v_or3_b32 v19, v35, v19, v36
.LBB446_826:                            ;   in Loop: Header=BB446_13 Depth=1
	s_or_b32 exec_lo, exec_lo, s23
.LBB446_827:                            ;   in Loop: Header=BB446_13 Depth=1
	s_delay_alu instid0(SALU_CYCLE_1)
	s_or_b32 exec_lo, exec_lo, s22
.LBB446_828:                            ;   in Loop: Header=BB446_13 Depth=1
	s_delay_alu instid0(SALU_CYCLE_1) | instskip(NEXT) | instid1(VALU_DEP_1)
	s_or_b32 exec_lo, exec_lo, s21
	v_mul_f32_e32 v19, v187, v19
                                        ; implicit-def: $vgpr147
	s_delay_alu instid0(VALU_DEP_1) | instskip(NEXT) | instid1(VALU_DEP_1)
	v_and_b32_e32 v35, 0x7f800000, v19
	v_cmp_ne_u32_e64 s1, 0x7f800000, v35
	s_delay_alu instid0(VALU_DEP_1) | instskip(NEXT) | instid1(SALU_CYCLE_1)
	s_and_saveexec_b32 s21, s1
	s_xor_b32 s1, exec_lo, s21
; %bb.829:                              ;   in Loop: Header=BB446_13 Depth=1
	v_bfe_u32 v35, v19, 16, 1
	s_delay_alu instid0(VALU_DEP_1)
	v_add3_u32 v147, v19, v35, 0x7fff
                                        ; implicit-def: $vgpr19
; %bb.830:                              ;   in Loop: Header=BB446_13 Depth=1
	s_and_not1_saveexec_b32 s21, s1
; %bb.831:                              ;   in Loop: Header=BB446_13 Depth=1
	v_and_b32_e32 v35, 0xffff, v19
	v_or_b32_e32 v36, 0x10000, v19
	s_delay_alu instid0(VALU_DEP_2) | instskip(NEXT) | instid1(VALU_DEP_1)
	v_cmp_eq_u32_e64 s1, 0, v35
	v_cndmask_b32_e64 v147, v36, v19, s1
; %bb.832:                              ;   in Loop: Header=BB446_13 Depth=1
	s_or_b32 exec_lo, exec_lo, s21
	v_dual_mov_b32 v19, v34 :: v_dual_and_b32 v36, 0xff, v34
	v_mov_b32_e32 v35, 0
	s_mov_b32 s21, exec_lo
	s_delay_alu instid0(VALU_DEP_2)
	v_cmpx_ne_u16_e32 0, v36
	s_cbranch_execz .LBB446_840
; %bb.833:                              ;   in Loop: Header=BB446_13 Depth=1
	v_bfrev_b32_e32 v35, 1
	s_mov_b32 s22, exec_lo
	v_cmpx_ne_u16_e32 0x80, v36
	s_cbranch_execz .LBB446_839
; %bb.834:                              ;   in Loop: Header=BB446_13 Depth=1
	v_and_b32_e32 v36, 0x7f, v34
	v_mov_b32_e32 v35, 0x7f800001
	s_mov_b32 s23, exec_lo
	s_delay_alu instid0(VALU_DEP_2)
	v_cmpx_ne_u32_e32 0x7f, v36
	s_cbranch_execz .LBB446_838
; %bb.835:                              ;   in Loop: Header=BB446_13 Depth=1
	v_lshrrev_b32_e32 v148, 3, v36
	v_cmp_gt_u32_e64 s1, 8, v36
	v_dual_mov_b32 v36, v20 :: v_dual_mov_b32 v35, v19
	s_delay_alu instid0(VALU_DEP_2)
	s_and_saveexec_b32 s24, s1
; %bb.836:                              ;   in Loop: Header=BB446_13 Depth=1
	v_and_b32_e32 v35, 7, v34
	s_delay_alu instid0(VALU_DEP_1) | instskip(NEXT) | instid1(VALU_DEP_1)
	v_clz_i32_u32_e32 v35, v35
	v_min_u32_e32 v148, 32, v35
	s_delay_alu instid0(VALU_DEP_1) | instskip(SKIP_1) | instid1(VALU_DEP_2)
	v_subrev_nc_u32_e32 v35, 28, v148
	v_sub_nc_u32_e32 v148, 29, v148
	v_lshlrev_b64 v[35:36], v35, v[19:20]
; %bb.837:                              ;   in Loop: Header=BB446_13 Depth=1
	s_or_b32 exec_lo, exec_lo, s24
	s_delay_alu instid0(VALU_DEP_1) | instskip(SKIP_2) | instid1(VALU_DEP_3)
	v_lshlrev_b32_e32 v35, 20, v35
	v_lshlrev_b32_e32 v36, 24, v19
	v_lshl_add_u32 v148, v148, 23, 0x3c000000
	v_and_b32_e32 v35, 0x700000, v35
	s_delay_alu instid0(VALU_DEP_3) | instskip(NEXT) | instid1(VALU_DEP_1)
	v_and_b32_e32 v36, 0x80000000, v36
	v_or3_b32 v35, v35, v36, v148
.LBB446_838:                            ;   in Loop: Header=BB446_13 Depth=1
	s_or_b32 exec_lo, exec_lo, s23
.LBB446_839:                            ;   in Loop: Header=BB446_13 Depth=1
	s_delay_alu instid0(SALU_CYCLE_1)
	s_or_b32 exec_lo, exec_lo, s22
.LBB446_840:                            ;   in Loop: Header=BB446_13 Depth=1
	s_delay_alu instid0(SALU_CYCLE_1) | instskip(NEXT) | instid1(VALU_DEP_1)
	s_or_b32 exec_lo, exec_lo, s21
	v_mul_f32_e32 v35, v187, v35
                                        ; implicit-def: $vgpr148
	s_delay_alu instid0(VALU_DEP_1) | instskip(NEXT) | instid1(VALU_DEP_1)
	v_and_b32_e32 v36, 0x7f800000, v35
	v_cmp_ne_u32_e64 s1, 0x7f800000, v36
	s_delay_alu instid0(VALU_DEP_1) | instskip(NEXT) | instid1(SALU_CYCLE_1)
	s_and_saveexec_b32 s21, s1
	s_xor_b32 s1, exec_lo, s21
; %bb.841:                              ;   in Loop: Header=BB446_13 Depth=1
	v_bfe_u32 v36, v35, 16, 1
	s_delay_alu instid0(VALU_DEP_1)
	v_add3_u32 v148, v35, v36, 0x7fff
                                        ; implicit-def: $vgpr35
; %bb.842:                              ;   in Loop: Header=BB446_13 Depth=1
	s_and_not1_saveexec_b32 s21, s1
; %bb.843:                              ;   in Loop: Header=BB446_13 Depth=1
	v_and_b32_e32 v36, 0xffff, v35
	v_or_b32_e32 v148, 0x10000, v35
	s_delay_alu instid0(VALU_DEP_2) | instskip(NEXT) | instid1(VALU_DEP_1)
	v_cmp_eq_u32_e64 s1, 0, v36
	v_cndmask_b32_e64 v148, v148, v35, s1
; %bb.844:                              ;   in Loop: Header=BB446_13 Depth=1
	s_or_b32 exec_lo, exec_lo, s21
	v_lshrrev_b16 v36, 8, v19
	v_mov_b32_e32 v35, 0
	s_mov_b32 s21, exec_lo
	s_delay_alu instid0(VALU_DEP_2)
	v_cmpx_ne_u16_e32 0, v36
	s_cbranch_execz .LBB446_852
; %bb.845:                              ;   in Loop: Header=BB446_13 Depth=1
	v_bfrev_b32_e32 v35, 1
	s_mov_b32 s22, exec_lo
	v_cmpx_ne_u16_e32 0x80, v36
	s_cbranch_execz .LBB446_851
; %bb.846:                              ;   in Loop: Header=BB446_13 Depth=1
	v_and_b32_e32 v36, 0xffff, v36
	v_mov_b32_e32 v35, 0x7f800001
	s_mov_b32 s23, exec_lo
	s_delay_alu instid0(VALU_DEP_2) | instskip(NEXT) | instid1(VALU_DEP_1)
	v_and_b32_e32 v150, 0x7f, v36
	v_cmpx_ne_u32_e32 0x7f, v150
	s_cbranch_execz .LBB446_850
; %bb.847:                              ;   in Loop: Header=BB446_13 Depth=1
	v_dual_mov_b32 v36, v20 :: v_dual_and_b32 v35, 7, v36
	v_lshrrev_b32_e32 v149, 3, v150
	s_mov_b32 s24, exec_lo
	v_cmpx_gt_u32_e32 8, v150
; %bb.848:                              ;   in Loop: Header=BB446_13 Depth=1
	s_delay_alu instid0(VALU_DEP_3) | instskip(NEXT) | instid1(VALU_DEP_1)
	v_clz_i32_u32_e32 v149, v35
	v_min_u32_e32 v149, 32, v149
	s_delay_alu instid0(VALU_DEP_1) | instskip(SKIP_1) | instid1(VALU_DEP_2)
	v_subrev_nc_u32_e32 v150, 28, v149
	v_sub_nc_u32_e32 v149, 29, v149
	v_lshlrev_b64 v[35:36], v150, v[35:36]
	s_delay_alu instid0(VALU_DEP_1)
	v_and_b32_e32 v35, 7, v35
; %bb.849:                              ;   in Loop: Header=BB446_13 Depth=1
	s_or_b32 exec_lo, exec_lo, s24
	v_lshlrev_b32_e32 v19, 16, v19
	s_delay_alu instid0(VALU_DEP_2) | instskip(SKIP_1) | instid1(VALU_DEP_3)
	v_lshlrev_b32_e32 v35, 20, v35
	v_lshl_add_u32 v36, v149, 23, 0x3c000000
	v_and_b32_e32 v19, 0x80000000, v19
	s_delay_alu instid0(VALU_DEP_1)
	v_or3_b32 v35, v35, v19, v36
.LBB446_850:                            ;   in Loop: Header=BB446_13 Depth=1
	s_or_b32 exec_lo, exec_lo, s23
.LBB446_851:                            ;   in Loop: Header=BB446_13 Depth=1
	s_delay_alu instid0(SALU_CYCLE_1)
	s_or_b32 exec_lo, exec_lo, s22
.LBB446_852:                            ;   in Loop: Header=BB446_13 Depth=1
	s_delay_alu instid0(SALU_CYCLE_1) | instskip(NEXT) | instid1(VALU_DEP_1)
	s_or_b32 exec_lo, exec_lo, s21
	v_mul_f32_e32 v19, v187, v35
                                        ; implicit-def: $vgpr149
	s_delay_alu instid0(VALU_DEP_1) | instskip(NEXT) | instid1(VALU_DEP_1)
	v_and_b32_e32 v35, 0x7f800000, v19
	v_cmp_ne_u32_e64 s1, 0x7f800000, v35
	s_delay_alu instid0(VALU_DEP_1) | instskip(NEXT) | instid1(SALU_CYCLE_1)
	s_and_saveexec_b32 s21, s1
	s_xor_b32 s1, exec_lo, s21
; %bb.853:                              ;   in Loop: Header=BB446_13 Depth=1
	v_bfe_u32 v35, v19, 16, 1
	s_delay_alu instid0(VALU_DEP_1)
	v_add3_u32 v149, v19, v35, 0x7fff
                                        ; implicit-def: $vgpr19
; %bb.854:                              ;   in Loop: Header=BB446_13 Depth=1
	s_and_not1_saveexec_b32 s21, s1
; %bb.855:                              ;   in Loop: Header=BB446_13 Depth=1
	v_and_b32_e32 v35, 0xffff, v19
	v_or_b32_e32 v36, 0x10000, v19
	s_delay_alu instid0(VALU_DEP_2) | instskip(NEXT) | instid1(VALU_DEP_1)
	v_cmp_eq_u32_e64 s1, 0, v35
	v_cndmask_b32_e64 v149, v36, v19, s1
; %bb.856:                              ;   in Loop: Header=BB446_13 Depth=1
	s_or_b32 exec_lo, exec_lo, s21
	v_lshrrev_b32_e32 v150, 16, v34
	v_mov_b32_e32 v19, 0
	s_mov_b32 s21, exec_lo
	s_delay_alu instid0(VALU_DEP_2) | instskip(NEXT) | instid1(VALU_DEP_1)
	v_and_b32_e32 v35, 0xff, v150
	v_cmpx_ne_u16_e32 0, v35
	s_cbranch_execz .LBB446_864
; %bb.857:                              ;   in Loop: Header=BB446_13 Depth=1
	v_bfrev_b32_e32 v19, 1
	s_mov_b32 s22, exec_lo
	v_cmpx_ne_u16_e32 0x80, v35
	s_cbranch_execz .LBB446_863
; %bb.858:                              ;   in Loop: Header=BB446_13 Depth=1
	v_bfe_u32 v35, v34, 16, 7
	v_mov_b32_e32 v19, 0x7f800001
	s_mov_b32 s23, exec_lo
	s_delay_alu instid0(VALU_DEP_2)
	v_cmpx_ne_u32_e32 0x7f, v35
	s_cbranch_execz .LBB446_862
; %bb.859:                              ;   in Loop: Header=BB446_13 Depth=1
	v_and_b32_e32 v19, 7, v150
	v_lshrrev_b32_e32 v151, 3, v35
	v_cmp_gt_u32_e64 s1, 8, v35
	s_delay_alu instid0(VALU_DEP_3) | instskip(NEXT) | instid1(VALU_DEP_2)
	v_dual_mov_b32 v36, v20 :: v_dual_mov_b32 v35, v19
	s_and_saveexec_b32 s24, s1
; %bb.860:                              ;   in Loop: Header=BB446_13 Depth=1
	v_clz_i32_u32_e32 v35, v19
	s_delay_alu instid0(VALU_DEP_1) | instskip(NEXT) | instid1(VALU_DEP_1)
	v_min_u32_e32 v151, 32, v35
	v_subrev_nc_u32_e32 v35, 28, v151
	v_sub_nc_u32_e32 v151, 29, v151
	s_delay_alu instid0(VALU_DEP_2) | instskip(NEXT) | instid1(VALU_DEP_1)
	v_lshlrev_b64 v[35:36], v35, v[19:20]
	v_and_b32_e32 v35, 7, v35
; %bb.861:                              ;   in Loop: Header=BB446_13 Depth=1
	s_or_b32 exec_lo, exec_lo, s24
	v_lshlrev_b32_e32 v19, 24, v150
	s_delay_alu instid0(VALU_DEP_2) | instskip(SKIP_1) | instid1(VALU_DEP_3)
	v_lshlrev_b32_e32 v35, 20, v35
	v_lshl_add_u32 v36, v151, 23, 0x3c000000
	v_and_b32_e32 v19, 0x80000000, v19
	s_delay_alu instid0(VALU_DEP_1)
	v_or3_b32 v19, v35, v19, v36
.LBB446_862:                            ;   in Loop: Header=BB446_13 Depth=1
	s_or_b32 exec_lo, exec_lo, s23
.LBB446_863:                            ;   in Loop: Header=BB446_13 Depth=1
	s_delay_alu instid0(SALU_CYCLE_1)
	s_or_b32 exec_lo, exec_lo, s22
.LBB446_864:                            ;   in Loop: Header=BB446_13 Depth=1
	s_delay_alu instid0(SALU_CYCLE_1) | instskip(NEXT) | instid1(VALU_DEP_1)
	s_or_b32 exec_lo, exec_lo, s21
	v_mul_f32_e32 v19, v187, v19
                                        ; implicit-def: $vgpr150
	s_delay_alu instid0(VALU_DEP_1) | instskip(NEXT) | instid1(VALU_DEP_1)
	v_and_b32_e32 v35, 0x7f800000, v19
	v_cmp_ne_u32_e64 s1, 0x7f800000, v35
	s_delay_alu instid0(VALU_DEP_1) | instskip(NEXT) | instid1(SALU_CYCLE_1)
	s_and_saveexec_b32 s21, s1
	s_xor_b32 s1, exec_lo, s21
; %bb.865:                              ;   in Loop: Header=BB446_13 Depth=1
	v_bfe_u32 v35, v19, 16, 1
	s_delay_alu instid0(VALU_DEP_1)
	v_add3_u32 v150, v19, v35, 0x7fff
                                        ; implicit-def: $vgpr19
; %bb.866:                              ;   in Loop: Header=BB446_13 Depth=1
	s_and_not1_saveexec_b32 s21, s1
; %bb.867:                              ;   in Loop: Header=BB446_13 Depth=1
	v_and_b32_e32 v35, 0xffff, v19
	v_or_b32_e32 v36, 0x10000, v19
	s_delay_alu instid0(VALU_DEP_2) | instskip(NEXT) | instid1(VALU_DEP_1)
	v_cmp_eq_u32_e64 s1, 0, v35
	v_cndmask_b32_e64 v150, v36, v19, s1
; %bb.868:                              ;   in Loop: Header=BB446_13 Depth=1
	s_or_b32 exec_lo, exec_lo, s21
	v_mov_b32_e32 v19, 0
	s_mov_b32 s21, exec_lo
	v_cmpx_lt_u64_e64 s[16:17], v[33:34]
	s_cbranch_execz .LBB446_876
; %bb.869:                              ;   in Loop: Header=BB446_13 Depth=1
	v_lshrrev_b32_e32 v35, 24, v34
	v_bfrev_b32_e32 v19, 1
	s_mov_b32 s22, exec_lo
	s_delay_alu instid0(VALU_DEP_2)
	v_cmpx_ne_u32_e32 0x80, v35
	s_cbranch_execz .LBB446_875
; %bb.870:                              ;   in Loop: Header=BB446_13 Depth=1
	v_bfe_u32 v33, v34, 24, 7
	v_mov_b32_e32 v19, 0x7f800001
	s_mov_b32 s23, exec_lo
	s_delay_alu instid0(VALU_DEP_2)
	v_cmpx_ne_u32_e32 0x7f, v33
	s_cbranch_execz .LBB446_874
; %bb.871:                              ;   in Loop: Header=BB446_13 Depth=1
	v_and_b32_e32 v19, 7, v35
	v_lshrrev_b32_e32 v36, 3, v33
	v_cmp_gt_u32_e64 s1, 8, v33
	s_delay_alu instid0(VALU_DEP_3) | instskip(NEXT) | instid1(VALU_DEP_2)
	v_dual_mov_b32 v34, v20 :: v_dual_mov_b32 v33, v19
	s_and_saveexec_b32 s24, s1
; %bb.872:                              ;   in Loop: Header=BB446_13 Depth=1
	v_clz_i32_u32_e32 v33, v19
	s_delay_alu instid0(VALU_DEP_1) | instskip(NEXT) | instid1(VALU_DEP_1)
	v_min_u32_e32 v36, 32, v33
	v_subrev_nc_u32_e32 v33, 28, v36
	v_sub_nc_u32_e32 v36, 29, v36
	s_delay_alu instid0(VALU_DEP_2) | instskip(NEXT) | instid1(VALU_DEP_1)
	v_lshlrev_b64 v[33:34], v33, v[19:20]
	v_and_b32_e32 v33, 7, v33
; %bb.873:                              ;   in Loop: Header=BB446_13 Depth=1
	s_or_b32 exec_lo, exec_lo, s24
	v_lshlrev_b32_e32 v19, 24, v35
	s_delay_alu instid0(VALU_DEP_2) | instskip(SKIP_1) | instid1(VALU_DEP_3)
	v_lshlrev_b32_e32 v33, 20, v33
	v_lshl_add_u32 v34, v36, 23, 0x3c000000
	v_and_b32_e32 v19, 0x80000000, v19
	s_delay_alu instid0(VALU_DEP_1)
	v_or3_b32 v19, v33, v19, v34
.LBB446_874:                            ;   in Loop: Header=BB446_13 Depth=1
	s_or_b32 exec_lo, exec_lo, s23
.LBB446_875:                            ;   in Loop: Header=BB446_13 Depth=1
	s_delay_alu instid0(SALU_CYCLE_1)
	s_or_b32 exec_lo, exec_lo, s22
.LBB446_876:                            ;   in Loop: Header=BB446_13 Depth=1
	s_delay_alu instid0(SALU_CYCLE_1) | instskip(NEXT) | instid1(VALU_DEP_1)
	s_or_b32 exec_lo, exec_lo, s21
	v_mul_f32_e32 v19, v187, v19
                                        ; implicit-def: $vgpr151
	s_delay_alu instid0(VALU_DEP_1) | instskip(NEXT) | instid1(VALU_DEP_1)
	v_and_b32_e32 v33, 0x7f800000, v19
	v_cmp_ne_u32_e64 s1, 0x7f800000, v33
	s_delay_alu instid0(VALU_DEP_1) | instskip(NEXT) | instid1(SALU_CYCLE_1)
	s_and_saveexec_b32 s21, s1
	s_xor_b32 s1, exec_lo, s21
; %bb.877:                              ;   in Loop: Header=BB446_13 Depth=1
	v_bfe_u32 v33, v19, 16, 1
	s_delay_alu instid0(VALU_DEP_1)
	v_add3_u32 v151, v19, v33, 0x7fff
                                        ; implicit-def: $vgpr19
; %bb.878:                              ;   in Loop: Header=BB446_13 Depth=1
	s_and_not1_saveexec_b32 s21, s1
; %bb.879:                              ;   in Loop: Header=BB446_13 Depth=1
	v_and_b32_e32 v33, 0xffff, v19
	v_or_b32_e32 v34, 0x10000, v19
	s_delay_alu instid0(VALU_DEP_2) | instskip(NEXT) | instid1(VALU_DEP_1)
	v_cmp_eq_u32_e64 s1, 0, v33
	v_cndmask_b32_e64 v151, v34, v19, s1
; %bb.880:                              ;   in Loop: Header=BB446_13 Depth=1
	s_or_b32 exec_lo, exec_lo, s21
	flat_load_b64 v[33:34], v[31:32] offset:2056
	v_mov_b32_e32 v19, 0
	s_mov_b32 s21, exec_lo
	s_waitcnt vmcnt(0) lgkmcnt(0)
	v_and_b32_e32 v35, 0xff, v33
	s_delay_alu instid0(VALU_DEP_1)
	v_cmpx_ne_u16_e32 0, v35
	s_cbranch_execz .LBB446_888
; %bb.881:                              ;   in Loop: Header=BB446_13 Depth=1
	v_bfrev_b32_e32 v19, 1
	s_mov_b32 s22, exec_lo
	v_cmpx_ne_u16_e32 0x80, v35
	s_cbranch_execz .LBB446_887
; %bb.882:                              ;   in Loop: Header=BB446_13 Depth=1
	v_and_b32_e32 v35, 0x7f, v33
	v_mov_b32_e32 v19, 0x7f800001
	s_mov_b32 s23, exec_lo
	s_delay_alu instid0(VALU_DEP_2)
	v_cmpx_ne_u32_e32 0x7f, v35
	s_cbranch_execz .LBB446_886
; %bb.883:                              ;   in Loop: Header=BB446_13 Depth=1
	v_lshrrev_b32_e32 v19, 3, v35
	v_cmp_gt_u32_e64 s1, 8, v35
	v_dual_mov_b32 v36, v34 :: v_dual_mov_b32 v35, v33
	s_delay_alu instid0(VALU_DEP_2)
	s_and_saveexec_b32 s24, s1
; %bb.884:                              ;   in Loop: Header=BB446_13 Depth=1
	v_and_b32_e32 v19, 7, v33
	s_delay_alu instid0(VALU_DEP_1) | instskip(NEXT) | instid1(VALU_DEP_1)
	v_clz_i32_u32_e32 v19, v19
	v_min_u32_e32 v19, 32, v19
	s_delay_alu instid0(VALU_DEP_1) | instskip(SKIP_1) | instid1(VALU_DEP_2)
	v_subrev_nc_u32_e32 v35, 28, v19
	v_sub_nc_u32_e32 v19, 29, v19
	v_lshlrev_b64 v[35:36], v35, v[33:34]
; %bb.885:                              ;   in Loop: Header=BB446_13 Depth=1
	s_or_b32 exec_lo, exec_lo, s24
	s_delay_alu instid0(VALU_DEP_1) | instskip(SKIP_2) | instid1(VALU_DEP_3)
	v_lshlrev_b32_e32 v35, 20, v35
	v_lshlrev_b32_e32 v36, 24, v33
	v_lshl_add_u32 v19, v19, 23, 0x3c000000
	v_and_b32_e32 v35, 0x700000, v35
	s_delay_alu instid0(VALU_DEP_3) | instskip(NEXT) | instid1(VALU_DEP_1)
	v_and_b32_e32 v36, 0x80000000, v36
	v_or3_b32 v19, v35, v36, v19
.LBB446_886:                            ;   in Loop: Header=BB446_13 Depth=1
	s_or_b32 exec_lo, exec_lo, s23
.LBB446_887:                            ;   in Loop: Header=BB446_13 Depth=1
	s_delay_alu instid0(SALU_CYCLE_1)
	s_or_b32 exec_lo, exec_lo, s22
.LBB446_888:                            ;   in Loop: Header=BB446_13 Depth=1
	s_delay_alu instid0(SALU_CYCLE_1) | instskip(NEXT) | instid1(VALU_DEP_1)
	s_or_b32 exec_lo, exec_lo, s21
	v_mul_f32_e32 v19, v187, v19
                                        ; implicit-def: $vgpr160
	s_delay_alu instid0(VALU_DEP_1) | instskip(NEXT) | instid1(VALU_DEP_1)
	v_and_b32_e32 v35, 0x7f800000, v19
	v_cmp_ne_u32_e64 s1, 0x7f800000, v35
	s_delay_alu instid0(VALU_DEP_1) | instskip(NEXT) | instid1(SALU_CYCLE_1)
	s_and_saveexec_b32 s21, s1
	s_xor_b32 s1, exec_lo, s21
; %bb.889:                              ;   in Loop: Header=BB446_13 Depth=1
	v_bfe_u32 v35, v19, 16, 1
	s_delay_alu instid0(VALU_DEP_1)
	v_add3_u32 v160, v19, v35, 0x7fff
                                        ; implicit-def: $vgpr19
; %bb.890:                              ;   in Loop: Header=BB446_13 Depth=1
	s_and_not1_saveexec_b32 s21, s1
; %bb.891:                              ;   in Loop: Header=BB446_13 Depth=1
	v_and_b32_e32 v35, 0xffff, v19
	v_or_b32_e32 v36, 0x10000, v19
	s_delay_alu instid0(VALU_DEP_2) | instskip(NEXT) | instid1(VALU_DEP_1)
	v_cmp_eq_u32_e64 s1, 0, v35
	v_cndmask_b32_e64 v160, v36, v19, s1
; %bb.892:                              ;   in Loop: Header=BB446_13 Depth=1
	s_or_b32 exec_lo, exec_lo, s21
	v_lshrrev_b16 v35, 8, v33
	v_mov_b32_e32 v19, 0
	s_mov_b32 s21, exec_lo
	s_delay_alu instid0(VALU_DEP_2)
	v_cmpx_ne_u16_e32 0, v35
	s_cbranch_execz .LBB446_900
; %bb.893:                              ;   in Loop: Header=BB446_13 Depth=1
	v_bfrev_b32_e32 v19, 1
	s_mov_b32 s22, exec_lo
	v_cmpx_ne_u16_e32 0x80, v35
	s_cbranch_execz .LBB446_899
; %bb.894:                              ;   in Loop: Header=BB446_13 Depth=1
	v_and_b32_e32 v36, 0xffff, v35
	v_mov_b32_e32 v19, 0x7f800001
	s_mov_b32 s23, exec_lo
	s_delay_alu instid0(VALU_DEP_2) | instskip(NEXT) | instid1(VALU_DEP_1)
	v_and_b32_e32 v35, 0x7f, v36
	v_cmpx_ne_u32_e32 0x7f, v35
	s_cbranch_execz .LBB446_898
; %bb.895:                              ;   in Loop: Header=BB446_13 Depth=1
	v_and_b32_e32 v19, 7, v36
	v_lshrrev_b32_e32 v161, 3, v35
	v_cmp_gt_u32_e64 s1, 8, v35
	s_delay_alu instid0(VALU_DEP_3) | instskip(NEXT) | instid1(VALU_DEP_2)
	v_dual_mov_b32 v36, v20 :: v_dual_mov_b32 v35, v19
	s_and_saveexec_b32 s24, s1
; %bb.896:                              ;   in Loop: Header=BB446_13 Depth=1
	v_clz_i32_u32_e32 v35, v19
	s_delay_alu instid0(VALU_DEP_1) | instskip(NEXT) | instid1(VALU_DEP_1)
	v_min_u32_e32 v161, 32, v35
	v_subrev_nc_u32_e32 v35, 28, v161
	v_sub_nc_u32_e32 v161, 29, v161
	s_delay_alu instid0(VALU_DEP_2) | instskip(NEXT) | instid1(VALU_DEP_1)
	v_lshlrev_b64 v[35:36], v35, v[19:20]
	v_and_b32_e32 v35, 7, v35
; %bb.897:                              ;   in Loop: Header=BB446_13 Depth=1
	s_or_b32 exec_lo, exec_lo, s24
	v_lshlrev_b32_e32 v19, 16, v33
	s_delay_alu instid0(VALU_DEP_2) | instskip(SKIP_1) | instid1(VALU_DEP_3)
	v_lshlrev_b32_e32 v35, 20, v35
	v_lshl_add_u32 v36, v161, 23, 0x3c000000
	v_and_b32_e32 v19, 0x80000000, v19
	s_delay_alu instid0(VALU_DEP_1)
	v_or3_b32 v19, v35, v19, v36
.LBB446_898:                            ;   in Loop: Header=BB446_13 Depth=1
	s_or_b32 exec_lo, exec_lo, s23
.LBB446_899:                            ;   in Loop: Header=BB446_13 Depth=1
	s_delay_alu instid0(SALU_CYCLE_1)
	s_or_b32 exec_lo, exec_lo, s22
.LBB446_900:                            ;   in Loop: Header=BB446_13 Depth=1
	s_delay_alu instid0(SALU_CYCLE_1) | instskip(NEXT) | instid1(VALU_DEP_1)
	s_or_b32 exec_lo, exec_lo, s21
	v_mul_f32_e32 v19, v187, v19
                                        ; implicit-def: $vgpr161
	s_delay_alu instid0(VALU_DEP_1) | instskip(NEXT) | instid1(VALU_DEP_1)
	v_and_b32_e32 v35, 0x7f800000, v19
	v_cmp_ne_u32_e64 s1, 0x7f800000, v35
	s_delay_alu instid0(VALU_DEP_1) | instskip(NEXT) | instid1(SALU_CYCLE_1)
	s_and_saveexec_b32 s21, s1
	s_xor_b32 s1, exec_lo, s21
; %bb.901:                              ;   in Loop: Header=BB446_13 Depth=1
	v_bfe_u32 v35, v19, 16, 1
	s_delay_alu instid0(VALU_DEP_1)
	v_add3_u32 v161, v19, v35, 0x7fff
                                        ; implicit-def: $vgpr19
; %bb.902:                              ;   in Loop: Header=BB446_13 Depth=1
	s_and_not1_saveexec_b32 s21, s1
; %bb.903:                              ;   in Loop: Header=BB446_13 Depth=1
	v_and_b32_e32 v35, 0xffff, v19
	v_or_b32_e32 v36, 0x10000, v19
	s_delay_alu instid0(VALU_DEP_2) | instskip(NEXT) | instid1(VALU_DEP_1)
	v_cmp_eq_u32_e64 s1, 0, v35
	v_cndmask_b32_e64 v161, v36, v19, s1
; %bb.904:                              ;   in Loop: Header=BB446_13 Depth=1
	s_or_b32 exec_lo, exec_lo, s21
	v_lshrrev_b32_e32 v162, 16, v33
	v_mov_b32_e32 v19, 0
	s_mov_b32 s21, exec_lo
	s_delay_alu instid0(VALU_DEP_2) | instskip(NEXT) | instid1(VALU_DEP_1)
	v_and_b32_e32 v35, 0xff, v162
	v_cmpx_ne_u16_e32 0, v35
	s_cbranch_execz .LBB446_912
; %bb.905:                              ;   in Loop: Header=BB446_13 Depth=1
	v_bfrev_b32_e32 v19, 1
	s_mov_b32 s22, exec_lo
	v_cmpx_ne_u16_e32 0x80, v35
	s_cbranch_execz .LBB446_911
; %bb.906:                              ;   in Loop: Header=BB446_13 Depth=1
	v_bfe_u32 v35, v33, 16, 7
	v_mov_b32_e32 v19, 0x7f800001
	s_mov_b32 s23, exec_lo
	s_delay_alu instid0(VALU_DEP_2)
	v_cmpx_ne_u32_e32 0x7f, v35
	s_cbranch_execz .LBB446_910
; %bb.907:                              ;   in Loop: Header=BB446_13 Depth=1
	v_and_b32_e32 v19, 7, v162
	v_lshrrev_b32_e32 v163, 3, v35
	v_cmp_gt_u32_e64 s1, 8, v35
	s_delay_alu instid0(VALU_DEP_3) | instskip(NEXT) | instid1(VALU_DEP_2)
	v_dual_mov_b32 v36, v20 :: v_dual_mov_b32 v35, v19
	s_and_saveexec_b32 s24, s1
; %bb.908:                              ;   in Loop: Header=BB446_13 Depth=1
	v_clz_i32_u32_e32 v35, v19
	s_delay_alu instid0(VALU_DEP_1) | instskip(NEXT) | instid1(VALU_DEP_1)
	v_min_u32_e32 v163, 32, v35
	v_subrev_nc_u32_e32 v35, 28, v163
	v_sub_nc_u32_e32 v163, 29, v163
	s_delay_alu instid0(VALU_DEP_2) | instskip(NEXT) | instid1(VALU_DEP_1)
	v_lshlrev_b64 v[35:36], v35, v[19:20]
	v_and_b32_e32 v35, 7, v35
; %bb.909:                              ;   in Loop: Header=BB446_13 Depth=1
	s_or_b32 exec_lo, exec_lo, s24
	v_lshlrev_b32_e32 v19, 24, v162
	s_delay_alu instid0(VALU_DEP_2) | instskip(SKIP_1) | instid1(VALU_DEP_3)
	v_lshlrev_b32_e32 v35, 20, v35
	v_lshl_add_u32 v36, v163, 23, 0x3c000000
	v_and_b32_e32 v19, 0x80000000, v19
	s_delay_alu instid0(VALU_DEP_1)
	v_or3_b32 v19, v35, v19, v36
.LBB446_910:                            ;   in Loop: Header=BB446_13 Depth=1
	s_or_b32 exec_lo, exec_lo, s23
.LBB446_911:                            ;   in Loop: Header=BB446_13 Depth=1
	s_delay_alu instid0(SALU_CYCLE_1)
	s_or_b32 exec_lo, exec_lo, s22
.LBB446_912:                            ;   in Loop: Header=BB446_13 Depth=1
	s_delay_alu instid0(SALU_CYCLE_1) | instskip(NEXT) | instid1(VALU_DEP_1)
	s_or_b32 exec_lo, exec_lo, s21
	v_mul_f32_e32 v19, v187, v19
                                        ; implicit-def: $vgpr162
	s_delay_alu instid0(VALU_DEP_1) | instskip(NEXT) | instid1(VALU_DEP_1)
	v_and_b32_e32 v35, 0x7f800000, v19
	v_cmp_ne_u32_e64 s1, 0x7f800000, v35
	s_delay_alu instid0(VALU_DEP_1) | instskip(NEXT) | instid1(SALU_CYCLE_1)
	s_and_saveexec_b32 s21, s1
	s_xor_b32 s1, exec_lo, s21
; %bb.913:                              ;   in Loop: Header=BB446_13 Depth=1
	v_bfe_u32 v35, v19, 16, 1
	s_delay_alu instid0(VALU_DEP_1)
	v_add3_u32 v162, v19, v35, 0x7fff
                                        ; implicit-def: $vgpr19
; %bb.914:                              ;   in Loop: Header=BB446_13 Depth=1
	s_and_not1_saveexec_b32 s21, s1
; %bb.915:                              ;   in Loop: Header=BB446_13 Depth=1
	v_and_b32_e32 v35, 0xffff, v19
	v_or_b32_e32 v36, 0x10000, v19
	s_delay_alu instid0(VALU_DEP_2) | instskip(NEXT) | instid1(VALU_DEP_1)
	v_cmp_eq_u32_e64 s1, 0, v35
	v_cndmask_b32_e64 v162, v36, v19, s1
; %bb.916:                              ;   in Loop: Header=BB446_13 Depth=1
	s_or_b32 exec_lo, exec_lo, s21
	v_mov_b32_e32 v19, 0
	s_mov_b32 s21, exec_lo
	v_cmpx_lt_u32_e32 0xffffff, v33
	s_cbranch_execz .LBB446_924
; %bb.917:                              ;   in Loop: Header=BB446_13 Depth=1
	v_lshrrev_b32_e32 v163, 24, v33
	v_bfrev_b32_e32 v19, 1
	s_mov_b32 s22, exec_lo
	s_delay_alu instid0(VALU_DEP_2)
	v_cmpx_ne_u32_e32 0x80, v163
	s_cbranch_execz .LBB446_923
; %bb.918:                              ;   in Loop: Header=BB446_13 Depth=1
	v_bfe_u32 v35, v33, 24, 7
	v_mov_b32_e32 v19, 0x7f800001
	s_mov_b32 s23, exec_lo
	s_delay_alu instid0(VALU_DEP_2)
	v_cmpx_ne_u32_e32 0x7f, v35
	s_cbranch_execz .LBB446_922
; %bb.919:                              ;   in Loop: Header=BB446_13 Depth=1
	v_and_b32_e32 v19, 7, v163
	v_lshrrev_b32_e32 v164, 3, v35
	v_cmp_gt_u32_e64 s1, 8, v35
	s_delay_alu instid0(VALU_DEP_3) | instskip(NEXT) | instid1(VALU_DEP_2)
	v_dual_mov_b32 v36, v20 :: v_dual_mov_b32 v35, v19
	s_and_saveexec_b32 s24, s1
; %bb.920:                              ;   in Loop: Header=BB446_13 Depth=1
	v_clz_i32_u32_e32 v35, v19
	s_delay_alu instid0(VALU_DEP_1) | instskip(NEXT) | instid1(VALU_DEP_1)
	v_min_u32_e32 v164, 32, v35
	v_subrev_nc_u32_e32 v35, 28, v164
	v_sub_nc_u32_e32 v164, 29, v164
	s_delay_alu instid0(VALU_DEP_2) | instskip(NEXT) | instid1(VALU_DEP_1)
	v_lshlrev_b64 v[35:36], v35, v[19:20]
	v_and_b32_e32 v35, 7, v35
; %bb.921:                              ;   in Loop: Header=BB446_13 Depth=1
	s_or_b32 exec_lo, exec_lo, s24
	v_lshlrev_b32_e32 v19, 24, v163
	s_delay_alu instid0(VALU_DEP_2) | instskip(SKIP_1) | instid1(VALU_DEP_3)
	v_lshlrev_b32_e32 v35, 20, v35
	v_lshl_add_u32 v36, v164, 23, 0x3c000000
	v_and_b32_e32 v19, 0x80000000, v19
	s_delay_alu instid0(VALU_DEP_1)
	v_or3_b32 v19, v35, v19, v36
.LBB446_922:                            ;   in Loop: Header=BB446_13 Depth=1
	s_or_b32 exec_lo, exec_lo, s23
.LBB446_923:                            ;   in Loop: Header=BB446_13 Depth=1
	s_delay_alu instid0(SALU_CYCLE_1)
	s_or_b32 exec_lo, exec_lo, s22
.LBB446_924:                            ;   in Loop: Header=BB446_13 Depth=1
	s_delay_alu instid0(SALU_CYCLE_1) | instskip(NEXT) | instid1(VALU_DEP_1)
	s_or_b32 exec_lo, exec_lo, s21
	v_mul_f32_e32 v19, v187, v19
                                        ; implicit-def: $vgpr163
	s_delay_alu instid0(VALU_DEP_1) | instskip(NEXT) | instid1(VALU_DEP_1)
	v_and_b32_e32 v35, 0x7f800000, v19
	v_cmp_ne_u32_e64 s1, 0x7f800000, v35
	s_delay_alu instid0(VALU_DEP_1) | instskip(NEXT) | instid1(SALU_CYCLE_1)
	s_and_saveexec_b32 s21, s1
	s_xor_b32 s1, exec_lo, s21
; %bb.925:                              ;   in Loop: Header=BB446_13 Depth=1
	v_bfe_u32 v35, v19, 16, 1
	s_delay_alu instid0(VALU_DEP_1)
	v_add3_u32 v163, v19, v35, 0x7fff
                                        ; implicit-def: $vgpr19
; %bb.926:                              ;   in Loop: Header=BB446_13 Depth=1
	s_and_not1_saveexec_b32 s21, s1
; %bb.927:                              ;   in Loop: Header=BB446_13 Depth=1
	v_and_b32_e32 v35, 0xffff, v19
	v_or_b32_e32 v36, 0x10000, v19
	s_delay_alu instid0(VALU_DEP_2) | instskip(NEXT) | instid1(VALU_DEP_1)
	v_cmp_eq_u32_e64 s1, 0, v35
	v_cndmask_b32_e64 v163, v36, v19, s1
; %bb.928:                              ;   in Loop: Header=BB446_13 Depth=1
	s_or_b32 exec_lo, exec_lo, s21
	v_dual_mov_b32 v19, v34 :: v_dual_and_b32 v36, 0xff, v34
	v_mov_b32_e32 v35, 0
	s_mov_b32 s21, exec_lo
	s_delay_alu instid0(VALU_DEP_2)
	v_cmpx_ne_u16_e32 0, v36
	s_cbranch_execz .LBB446_936
; %bb.929:                              ;   in Loop: Header=BB446_13 Depth=1
	v_bfrev_b32_e32 v35, 1
	s_mov_b32 s22, exec_lo
	v_cmpx_ne_u16_e32 0x80, v36
	s_cbranch_execz .LBB446_935
; %bb.930:                              ;   in Loop: Header=BB446_13 Depth=1
	v_and_b32_e32 v36, 0x7f, v34
	v_mov_b32_e32 v35, 0x7f800001
	s_mov_b32 s23, exec_lo
	s_delay_alu instid0(VALU_DEP_2)
	v_cmpx_ne_u32_e32 0x7f, v36
	s_cbranch_execz .LBB446_934
; %bb.931:                              ;   in Loop: Header=BB446_13 Depth=1
	v_lshrrev_b32_e32 v164, 3, v36
	v_cmp_gt_u32_e64 s1, 8, v36
	v_dual_mov_b32 v36, v20 :: v_dual_mov_b32 v35, v19
	s_delay_alu instid0(VALU_DEP_2)
	s_and_saveexec_b32 s24, s1
; %bb.932:                              ;   in Loop: Header=BB446_13 Depth=1
	v_and_b32_e32 v35, 7, v34
	s_delay_alu instid0(VALU_DEP_1) | instskip(NEXT) | instid1(VALU_DEP_1)
	v_clz_i32_u32_e32 v35, v35
	v_min_u32_e32 v164, 32, v35
	s_delay_alu instid0(VALU_DEP_1) | instskip(SKIP_1) | instid1(VALU_DEP_2)
	v_subrev_nc_u32_e32 v35, 28, v164
	v_sub_nc_u32_e32 v164, 29, v164
	v_lshlrev_b64 v[35:36], v35, v[19:20]
; %bb.933:                              ;   in Loop: Header=BB446_13 Depth=1
	s_or_b32 exec_lo, exec_lo, s24
	s_delay_alu instid0(VALU_DEP_1) | instskip(SKIP_2) | instid1(VALU_DEP_3)
	v_lshlrev_b32_e32 v35, 20, v35
	v_lshlrev_b32_e32 v36, 24, v19
	v_lshl_add_u32 v164, v164, 23, 0x3c000000
	v_and_b32_e32 v35, 0x700000, v35
	s_delay_alu instid0(VALU_DEP_3) | instskip(NEXT) | instid1(VALU_DEP_1)
	v_and_b32_e32 v36, 0x80000000, v36
	v_or3_b32 v35, v35, v36, v164
.LBB446_934:                            ;   in Loop: Header=BB446_13 Depth=1
	s_or_b32 exec_lo, exec_lo, s23
.LBB446_935:                            ;   in Loop: Header=BB446_13 Depth=1
	s_delay_alu instid0(SALU_CYCLE_1)
	s_or_b32 exec_lo, exec_lo, s22
.LBB446_936:                            ;   in Loop: Header=BB446_13 Depth=1
	s_delay_alu instid0(SALU_CYCLE_1) | instskip(NEXT) | instid1(VALU_DEP_1)
	s_or_b32 exec_lo, exec_lo, s21
	v_mul_f32_e32 v35, v187, v35
                                        ; implicit-def: $vgpr164
	s_delay_alu instid0(VALU_DEP_1) | instskip(NEXT) | instid1(VALU_DEP_1)
	v_and_b32_e32 v36, 0x7f800000, v35
	v_cmp_ne_u32_e64 s1, 0x7f800000, v36
	s_delay_alu instid0(VALU_DEP_1) | instskip(NEXT) | instid1(SALU_CYCLE_1)
	s_and_saveexec_b32 s21, s1
	s_xor_b32 s1, exec_lo, s21
; %bb.937:                              ;   in Loop: Header=BB446_13 Depth=1
	v_bfe_u32 v36, v35, 16, 1
	s_delay_alu instid0(VALU_DEP_1)
	v_add3_u32 v164, v35, v36, 0x7fff
                                        ; implicit-def: $vgpr35
; %bb.938:                              ;   in Loop: Header=BB446_13 Depth=1
	s_and_not1_saveexec_b32 s21, s1
; %bb.939:                              ;   in Loop: Header=BB446_13 Depth=1
	v_and_b32_e32 v36, 0xffff, v35
	v_or_b32_e32 v164, 0x10000, v35
	s_delay_alu instid0(VALU_DEP_2) | instskip(NEXT) | instid1(VALU_DEP_1)
	v_cmp_eq_u32_e64 s1, 0, v36
	v_cndmask_b32_e64 v164, v164, v35, s1
; %bb.940:                              ;   in Loop: Header=BB446_13 Depth=1
	s_or_b32 exec_lo, exec_lo, s21
	v_lshrrev_b16 v36, 8, v19
	v_mov_b32_e32 v35, 0
	s_mov_b32 s21, exec_lo
	s_delay_alu instid0(VALU_DEP_2)
	v_cmpx_ne_u16_e32 0, v36
	s_cbranch_execz .LBB446_948
; %bb.941:                              ;   in Loop: Header=BB446_13 Depth=1
	v_bfrev_b32_e32 v35, 1
	s_mov_b32 s22, exec_lo
	v_cmpx_ne_u16_e32 0x80, v36
	s_cbranch_execz .LBB446_947
; %bb.942:                              ;   in Loop: Header=BB446_13 Depth=1
	v_and_b32_e32 v36, 0xffff, v36
	v_mov_b32_e32 v35, 0x7f800001
	s_mov_b32 s23, exec_lo
	s_delay_alu instid0(VALU_DEP_2) | instskip(NEXT) | instid1(VALU_DEP_1)
	v_and_b32_e32 v166, 0x7f, v36
	v_cmpx_ne_u32_e32 0x7f, v166
	s_cbranch_execz .LBB446_946
; %bb.943:                              ;   in Loop: Header=BB446_13 Depth=1
	v_dual_mov_b32 v36, v20 :: v_dual_and_b32 v35, 7, v36
	v_lshrrev_b32_e32 v165, 3, v166
	s_mov_b32 s24, exec_lo
	v_cmpx_gt_u32_e32 8, v166
; %bb.944:                              ;   in Loop: Header=BB446_13 Depth=1
	s_delay_alu instid0(VALU_DEP_3) | instskip(NEXT) | instid1(VALU_DEP_1)
	v_clz_i32_u32_e32 v165, v35
	v_min_u32_e32 v165, 32, v165
	s_delay_alu instid0(VALU_DEP_1) | instskip(SKIP_1) | instid1(VALU_DEP_2)
	v_subrev_nc_u32_e32 v166, 28, v165
	v_sub_nc_u32_e32 v165, 29, v165
	v_lshlrev_b64 v[35:36], v166, v[35:36]
	s_delay_alu instid0(VALU_DEP_1)
	v_and_b32_e32 v35, 7, v35
; %bb.945:                              ;   in Loop: Header=BB446_13 Depth=1
	s_or_b32 exec_lo, exec_lo, s24
	v_lshlrev_b32_e32 v19, 16, v19
	s_delay_alu instid0(VALU_DEP_2) | instskip(SKIP_1) | instid1(VALU_DEP_3)
	v_lshlrev_b32_e32 v35, 20, v35
	v_lshl_add_u32 v36, v165, 23, 0x3c000000
	v_and_b32_e32 v19, 0x80000000, v19
	s_delay_alu instid0(VALU_DEP_1)
	v_or3_b32 v35, v35, v19, v36
.LBB446_946:                            ;   in Loop: Header=BB446_13 Depth=1
	s_or_b32 exec_lo, exec_lo, s23
.LBB446_947:                            ;   in Loop: Header=BB446_13 Depth=1
	s_delay_alu instid0(SALU_CYCLE_1)
	s_or_b32 exec_lo, exec_lo, s22
.LBB446_948:                            ;   in Loop: Header=BB446_13 Depth=1
	s_delay_alu instid0(SALU_CYCLE_1) | instskip(NEXT) | instid1(VALU_DEP_1)
	s_or_b32 exec_lo, exec_lo, s21
	v_mul_f32_e32 v19, v187, v35
                                        ; implicit-def: $vgpr165
	s_delay_alu instid0(VALU_DEP_1) | instskip(NEXT) | instid1(VALU_DEP_1)
	v_and_b32_e32 v35, 0x7f800000, v19
	v_cmp_ne_u32_e64 s1, 0x7f800000, v35
	s_delay_alu instid0(VALU_DEP_1) | instskip(NEXT) | instid1(SALU_CYCLE_1)
	s_and_saveexec_b32 s21, s1
	s_xor_b32 s1, exec_lo, s21
; %bb.949:                              ;   in Loop: Header=BB446_13 Depth=1
	v_bfe_u32 v35, v19, 16, 1
	s_delay_alu instid0(VALU_DEP_1)
	v_add3_u32 v165, v19, v35, 0x7fff
                                        ; implicit-def: $vgpr19
; %bb.950:                              ;   in Loop: Header=BB446_13 Depth=1
	s_and_not1_saveexec_b32 s21, s1
; %bb.951:                              ;   in Loop: Header=BB446_13 Depth=1
	v_and_b32_e32 v35, 0xffff, v19
	v_or_b32_e32 v36, 0x10000, v19
	s_delay_alu instid0(VALU_DEP_2) | instskip(NEXT) | instid1(VALU_DEP_1)
	v_cmp_eq_u32_e64 s1, 0, v35
	v_cndmask_b32_e64 v165, v36, v19, s1
; %bb.952:                              ;   in Loop: Header=BB446_13 Depth=1
	s_or_b32 exec_lo, exec_lo, s21
	v_lshrrev_b32_e32 v166, 16, v34
	v_mov_b32_e32 v19, 0
	s_mov_b32 s21, exec_lo
	s_delay_alu instid0(VALU_DEP_2) | instskip(NEXT) | instid1(VALU_DEP_1)
	v_and_b32_e32 v35, 0xff, v166
	v_cmpx_ne_u16_e32 0, v35
	s_cbranch_execz .LBB446_960
; %bb.953:                              ;   in Loop: Header=BB446_13 Depth=1
	v_bfrev_b32_e32 v19, 1
	s_mov_b32 s22, exec_lo
	v_cmpx_ne_u16_e32 0x80, v35
	s_cbranch_execz .LBB446_959
; %bb.954:                              ;   in Loop: Header=BB446_13 Depth=1
	v_bfe_u32 v35, v34, 16, 7
	v_mov_b32_e32 v19, 0x7f800001
	s_mov_b32 s23, exec_lo
	s_delay_alu instid0(VALU_DEP_2)
	v_cmpx_ne_u32_e32 0x7f, v35
	s_cbranch_execz .LBB446_958
; %bb.955:                              ;   in Loop: Header=BB446_13 Depth=1
	v_and_b32_e32 v19, 7, v166
	v_lshrrev_b32_e32 v167, 3, v35
	v_cmp_gt_u32_e64 s1, 8, v35
	s_delay_alu instid0(VALU_DEP_3) | instskip(NEXT) | instid1(VALU_DEP_2)
	v_dual_mov_b32 v36, v20 :: v_dual_mov_b32 v35, v19
	s_and_saveexec_b32 s24, s1
; %bb.956:                              ;   in Loop: Header=BB446_13 Depth=1
	v_clz_i32_u32_e32 v35, v19
	s_delay_alu instid0(VALU_DEP_1) | instskip(NEXT) | instid1(VALU_DEP_1)
	v_min_u32_e32 v167, 32, v35
	v_subrev_nc_u32_e32 v35, 28, v167
	v_sub_nc_u32_e32 v167, 29, v167
	s_delay_alu instid0(VALU_DEP_2) | instskip(NEXT) | instid1(VALU_DEP_1)
	v_lshlrev_b64 v[35:36], v35, v[19:20]
	v_and_b32_e32 v35, 7, v35
; %bb.957:                              ;   in Loop: Header=BB446_13 Depth=1
	s_or_b32 exec_lo, exec_lo, s24
	v_lshlrev_b32_e32 v19, 24, v166
	s_delay_alu instid0(VALU_DEP_2) | instskip(SKIP_1) | instid1(VALU_DEP_3)
	v_lshlrev_b32_e32 v35, 20, v35
	v_lshl_add_u32 v36, v167, 23, 0x3c000000
	v_and_b32_e32 v19, 0x80000000, v19
	s_delay_alu instid0(VALU_DEP_1)
	v_or3_b32 v19, v35, v19, v36
.LBB446_958:                            ;   in Loop: Header=BB446_13 Depth=1
	s_or_b32 exec_lo, exec_lo, s23
.LBB446_959:                            ;   in Loop: Header=BB446_13 Depth=1
	s_delay_alu instid0(SALU_CYCLE_1)
	s_or_b32 exec_lo, exec_lo, s22
.LBB446_960:                            ;   in Loop: Header=BB446_13 Depth=1
	s_delay_alu instid0(SALU_CYCLE_1) | instskip(NEXT) | instid1(VALU_DEP_1)
	s_or_b32 exec_lo, exec_lo, s21
	v_mul_f32_e32 v19, v187, v19
                                        ; implicit-def: $vgpr166
	s_delay_alu instid0(VALU_DEP_1) | instskip(NEXT) | instid1(VALU_DEP_1)
	v_and_b32_e32 v35, 0x7f800000, v19
	v_cmp_ne_u32_e64 s1, 0x7f800000, v35
	s_delay_alu instid0(VALU_DEP_1) | instskip(NEXT) | instid1(SALU_CYCLE_1)
	s_and_saveexec_b32 s21, s1
	s_xor_b32 s1, exec_lo, s21
; %bb.961:                              ;   in Loop: Header=BB446_13 Depth=1
	v_bfe_u32 v35, v19, 16, 1
	s_delay_alu instid0(VALU_DEP_1)
	v_add3_u32 v166, v19, v35, 0x7fff
                                        ; implicit-def: $vgpr19
; %bb.962:                              ;   in Loop: Header=BB446_13 Depth=1
	s_and_not1_saveexec_b32 s21, s1
; %bb.963:                              ;   in Loop: Header=BB446_13 Depth=1
	v_and_b32_e32 v35, 0xffff, v19
	v_or_b32_e32 v36, 0x10000, v19
	s_delay_alu instid0(VALU_DEP_2) | instskip(NEXT) | instid1(VALU_DEP_1)
	v_cmp_eq_u32_e64 s1, 0, v35
	v_cndmask_b32_e64 v166, v36, v19, s1
; %bb.964:                              ;   in Loop: Header=BB446_13 Depth=1
	s_or_b32 exec_lo, exec_lo, s21
	v_mov_b32_e32 v19, 0
	s_mov_b32 s21, exec_lo
	v_cmpx_lt_u64_e64 s[16:17], v[33:34]
	s_cbranch_execz .LBB446_972
; %bb.965:                              ;   in Loop: Header=BB446_13 Depth=1
	v_lshrrev_b32_e32 v35, 24, v34
	v_bfrev_b32_e32 v19, 1
	s_mov_b32 s22, exec_lo
	s_delay_alu instid0(VALU_DEP_2)
	v_cmpx_ne_u32_e32 0x80, v35
	s_cbranch_execz .LBB446_971
; %bb.966:                              ;   in Loop: Header=BB446_13 Depth=1
	v_bfe_u32 v33, v34, 24, 7
	v_mov_b32_e32 v19, 0x7f800001
	s_mov_b32 s23, exec_lo
	s_delay_alu instid0(VALU_DEP_2)
	v_cmpx_ne_u32_e32 0x7f, v33
	s_cbranch_execz .LBB446_970
; %bb.967:                              ;   in Loop: Header=BB446_13 Depth=1
	v_and_b32_e32 v19, 7, v35
	v_lshrrev_b32_e32 v36, 3, v33
	v_cmp_gt_u32_e64 s1, 8, v33
	s_delay_alu instid0(VALU_DEP_3) | instskip(NEXT) | instid1(VALU_DEP_2)
	v_dual_mov_b32 v34, v20 :: v_dual_mov_b32 v33, v19
	s_and_saveexec_b32 s24, s1
; %bb.968:                              ;   in Loop: Header=BB446_13 Depth=1
	v_clz_i32_u32_e32 v33, v19
	s_delay_alu instid0(VALU_DEP_1) | instskip(NEXT) | instid1(VALU_DEP_1)
	v_min_u32_e32 v36, 32, v33
	v_subrev_nc_u32_e32 v33, 28, v36
	v_sub_nc_u32_e32 v36, 29, v36
	s_delay_alu instid0(VALU_DEP_2) | instskip(NEXT) | instid1(VALU_DEP_1)
	v_lshlrev_b64 v[33:34], v33, v[19:20]
	v_and_b32_e32 v33, 7, v33
; %bb.969:                              ;   in Loop: Header=BB446_13 Depth=1
	s_or_b32 exec_lo, exec_lo, s24
	v_lshlrev_b32_e32 v19, 24, v35
	s_delay_alu instid0(VALU_DEP_2) | instskip(SKIP_1) | instid1(VALU_DEP_3)
	v_lshlrev_b32_e32 v33, 20, v33
	v_lshl_add_u32 v34, v36, 23, 0x3c000000
	v_and_b32_e32 v19, 0x80000000, v19
	s_delay_alu instid0(VALU_DEP_1)
	v_or3_b32 v19, v33, v19, v34
.LBB446_970:                            ;   in Loop: Header=BB446_13 Depth=1
	s_or_b32 exec_lo, exec_lo, s23
.LBB446_971:                            ;   in Loop: Header=BB446_13 Depth=1
	s_delay_alu instid0(SALU_CYCLE_1)
	s_or_b32 exec_lo, exec_lo, s22
.LBB446_972:                            ;   in Loop: Header=BB446_13 Depth=1
	s_delay_alu instid0(SALU_CYCLE_1) | instskip(NEXT) | instid1(VALU_DEP_1)
	s_or_b32 exec_lo, exec_lo, s21
	v_mul_f32_e32 v19, v187, v19
                                        ; implicit-def: $vgpr167
	s_delay_alu instid0(VALU_DEP_1) | instskip(NEXT) | instid1(VALU_DEP_1)
	v_and_b32_e32 v33, 0x7f800000, v19
	v_cmp_ne_u32_e64 s1, 0x7f800000, v33
	s_delay_alu instid0(VALU_DEP_1) | instskip(NEXT) | instid1(SALU_CYCLE_1)
	s_and_saveexec_b32 s21, s1
	s_xor_b32 s1, exec_lo, s21
; %bb.973:                              ;   in Loop: Header=BB446_13 Depth=1
	v_bfe_u32 v33, v19, 16, 1
	s_delay_alu instid0(VALU_DEP_1)
	v_add3_u32 v167, v19, v33, 0x7fff
                                        ; implicit-def: $vgpr19
; %bb.974:                              ;   in Loop: Header=BB446_13 Depth=1
	s_and_not1_saveexec_b32 s21, s1
; %bb.975:                              ;   in Loop: Header=BB446_13 Depth=1
	v_and_b32_e32 v33, 0xffff, v19
	v_or_b32_e32 v34, 0x10000, v19
	s_delay_alu instid0(VALU_DEP_2) | instskip(NEXT) | instid1(VALU_DEP_1)
	v_cmp_eq_u32_e64 s1, 0, v33
	v_cndmask_b32_e64 v167, v34, v19, s1
; %bb.976:                              ;   in Loop: Header=BB446_13 Depth=1
	s_or_b32 exec_lo, exec_lo, s21
	flat_load_b64 v[33:34], v[31:32] offset:2560
	v_mov_b32_e32 v19, 0
	s_mov_b32 s21, exec_lo
	s_waitcnt vmcnt(0) lgkmcnt(0)
	v_and_b32_e32 v35, 0xff, v33
	s_delay_alu instid0(VALU_DEP_1)
	v_cmpx_ne_u16_e32 0, v35
	s_cbranch_execz .LBB446_984
; %bb.977:                              ;   in Loop: Header=BB446_13 Depth=1
	v_bfrev_b32_e32 v19, 1
	s_mov_b32 s22, exec_lo
	v_cmpx_ne_u16_e32 0x80, v35
	s_cbranch_execz .LBB446_983
; %bb.978:                              ;   in Loop: Header=BB446_13 Depth=1
	v_and_b32_e32 v35, 0x7f, v33
	v_mov_b32_e32 v19, 0x7f800001
	s_mov_b32 s23, exec_lo
	s_delay_alu instid0(VALU_DEP_2)
	v_cmpx_ne_u32_e32 0x7f, v35
	s_cbranch_execz .LBB446_982
; %bb.979:                              ;   in Loop: Header=BB446_13 Depth=1
	v_lshrrev_b32_e32 v19, 3, v35
	v_cmp_gt_u32_e64 s1, 8, v35
	v_dual_mov_b32 v36, v34 :: v_dual_mov_b32 v35, v33
	s_delay_alu instid0(VALU_DEP_2)
	s_and_saveexec_b32 s24, s1
; %bb.980:                              ;   in Loop: Header=BB446_13 Depth=1
	v_and_b32_e32 v19, 7, v33
	s_delay_alu instid0(VALU_DEP_1) | instskip(NEXT) | instid1(VALU_DEP_1)
	v_clz_i32_u32_e32 v19, v19
	v_min_u32_e32 v19, 32, v19
	s_delay_alu instid0(VALU_DEP_1) | instskip(SKIP_1) | instid1(VALU_DEP_2)
	v_subrev_nc_u32_e32 v35, 28, v19
	v_sub_nc_u32_e32 v19, 29, v19
	v_lshlrev_b64 v[35:36], v35, v[33:34]
; %bb.981:                              ;   in Loop: Header=BB446_13 Depth=1
	s_or_b32 exec_lo, exec_lo, s24
	s_delay_alu instid0(VALU_DEP_1) | instskip(SKIP_2) | instid1(VALU_DEP_3)
	v_lshlrev_b32_e32 v35, 20, v35
	v_lshlrev_b32_e32 v36, 24, v33
	v_lshl_add_u32 v19, v19, 23, 0x3c000000
	v_and_b32_e32 v35, 0x700000, v35
	s_delay_alu instid0(VALU_DEP_3) | instskip(NEXT) | instid1(VALU_DEP_1)
	v_and_b32_e32 v36, 0x80000000, v36
	v_or3_b32 v19, v35, v36, v19
.LBB446_982:                            ;   in Loop: Header=BB446_13 Depth=1
	s_or_b32 exec_lo, exec_lo, s23
.LBB446_983:                            ;   in Loop: Header=BB446_13 Depth=1
	s_delay_alu instid0(SALU_CYCLE_1)
	s_or_b32 exec_lo, exec_lo, s22
.LBB446_984:                            ;   in Loop: Header=BB446_13 Depth=1
	s_delay_alu instid0(SALU_CYCLE_1) | instskip(NEXT) | instid1(VALU_DEP_1)
	s_or_b32 exec_lo, exec_lo, s21
	v_mul_f32_e32 v19, v187, v19
                                        ; implicit-def: $vgpr176
	s_delay_alu instid0(VALU_DEP_1) | instskip(NEXT) | instid1(VALU_DEP_1)
	v_and_b32_e32 v35, 0x7f800000, v19
	v_cmp_ne_u32_e64 s1, 0x7f800000, v35
	s_delay_alu instid0(VALU_DEP_1) | instskip(NEXT) | instid1(SALU_CYCLE_1)
	s_and_saveexec_b32 s21, s1
	s_xor_b32 s1, exec_lo, s21
; %bb.985:                              ;   in Loop: Header=BB446_13 Depth=1
	v_bfe_u32 v35, v19, 16, 1
	s_delay_alu instid0(VALU_DEP_1)
	v_add3_u32 v176, v19, v35, 0x7fff
                                        ; implicit-def: $vgpr19
; %bb.986:                              ;   in Loop: Header=BB446_13 Depth=1
	s_and_not1_saveexec_b32 s21, s1
; %bb.987:                              ;   in Loop: Header=BB446_13 Depth=1
	v_and_b32_e32 v35, 0xffff, v19
	v_or_b32_e32 v36, 0x10000, v19
	s_delay_alu instid0(VALU_DEP_2) | instskip(NEXT) | instid1(VALU_DEP_1)
	v_cmp_eq_u32_e64 s1, 0, v35
	v_cndmask_b32_e64 v176, v36, v19, s1
; %bb.988:                              ;   in Loop: Header=BB446_13 Depth=1
	s_or_b32 exec_lo, exec_lo, s21
	v_lshrrev_b16 v35, 8, v33
	v_mov_b32_e32 v19, 0
	s_mov_b32 s21, exec_lo
	s_delay_alu instid0(VALU_DEP_2)
	v_cmpx_ne_u16_e32 0, v35
	s_cbranch_execz .LBB446_996
; %bb.989:                              ;   in Loop: Header=BB446_13 Depth=1
	v_bfrev_b32_e32 v19, 1
	s_mov_b32 s22, exec_lo
	v_cmpx_ne_u16_e32 0x80, v35
	s_cbranch_execz .LBB446_995
; %bb.990:                              ;   in Loop: Header=BB446_13 Depth=1
	v_and_b32_e32 v36, 0xffff, v35
	v_mov_b32_e32 v19, 0x7f800001
	s_mov_b32 s23, exec_lo
	s_delay_alu instid0(VALU_DEP_2) | instskip(NEXT) | instid1(VALU_DEP_1)
	v_and_b32_e32 v35, 0x7f, v36
	v_cmpx_ne_u32_e32 0x7f, v35
	s_cbranch_execz .LBB446_994
; %bb.991:                              ;   in Loop: Header=BB446_13 Depth=1
	v_and_b32_e32 v19, 7, v36
	v_lshrrev_b32_e32 v177, 3, v35
	v_cmp_gt_u32_e64 s1, 8, v35
	s_delay_alu instid0(VALU_DEP_3) | instskip(NEXT) | instid1(VALU_DEP_2)
	v_dual_mov_b32 v36, v20 :: v_dual_mov_b32 v35, v19
	s_and_saveexec_b32 s24, s1
; %bb.992:                              ;   in Loop: Header=BB446_13 Depth=1
	v_clz_i32_u32_e32 v35, v19
	s_delay_alu instid0(VALU_DEP_1) | instskip(NEXT) | instid1(VALU_DEP_1)
	v_min_u32_e32 v177, 32, v35
	v_subrev_nc_u32_e32 v35, 28, v177
	v_sub_nc_u32_e32 v177, 29, v177
	s_delay_alu instid0(VALU_DEP_2) | instskip(NEXT) | instid1(VALU_DEP_1)
	v_lshlrev_b64 v[35:36], v35, v[19:20]
	v_and_b32_e32 v35, 7, v35
; %bb.993:                              ;   in Loop: Header=BB446_13 Depth=1
	s_or_b32 exec_lo, exec_lo, s24
	v_lshlrev_b32_e32 v19, 16, v33
	s_delay_alu instid0(VALU_DEP_2) | instskip(SKIP_1) | instid1(VALU_DEP_3)
	v_lshlrev_b32_e32 v35, 20, v35
	v_lshl_add_u32 v36, v177, 23, 0x3c000000
	v_and_b32_e32 v19, 0x80000000, v19
	s_delay_alu instid0(VALU_DEP_1)
	v_or3_b32 v19, v35, v19, v36
.LBB446_994:                            ;   in Loop: Header=BB446_13 Depth=1
	s_or_b32 exec_lo, exec_lo, s23
.LBB446_995:                            ;   in Loop: Header=BB446_13 Depth=1
	s_delay_alu instid0(SALU_CYCLE_1)
	s_or_b32 exec_lo, exec_lo, s22
.LBB446_996:                            ;   in Loop: Header=BB446_13 Depth=1
	s_delay_alu instid0(SALU_CYCLE_1) | instskip(NEXT) | instid1(VALU_DEP_1)
	s_or_b32 exec_lo, exec_lo, s21
	v_mul_f32_e32 v19, v187, v19
                                        ; implicit-def: $vgpr177
	s_delay_alu instid0(VALU_DEP_1) | instskip(NEXT) | instid1(VALU_DEP_1)
	v_and_b32_e32 v35, 0x7f800000, v19
	v_cmp_ne_u32_e64 s1, 0x7f800000, v35
	s_delay_alu instid0(VALU_DEP_1) | instskip(NEXT) | instid1(SALU_CYCLE_1)
	s_and_saveexec_b32 s21, s1
	s_xor_b32 s1, exec_lo, s21
; %bb.997:                              ;   in Loop: Header=BB446_13 Depth=1
	v_bfe_u32 v35, v19, 16, 1
	s_delay_alu instid0(VALU_DEP_1)
	v_add3_u32 v177, v19, v35, 0x7fff
                                        ; implicit-def: $vgpr19
; %bb.998:                              ;   in Loop: Header=BB446_13 Depth=1
	s_and_not1_saveexec_b32 s21, s1
; %bb.999:                              ;   in Loop: Header=BB446_13 Depth=1
	v_and_b32_e32 v35, 0xffff, v19
	v_or_b32_e32 v36, 0x10000, v19
	s_delay_alu instid0(VALU_DEP_2) | instskip(NEXT) | instid1(VALU_DEP_1)
	v_cmp_eq_u32_e64 s1, 0, v35
	v_cndmask_b32_e64 v177, v36, v19, s1
; %bb.1000:                             ;   in Loop: Header=BB446_13 Depth=1
	s_or_b32 exec_lo, exec_lo, s21
	v_lshrrev_b32_e32 v178, 16, v33
	v_mov_b32_e32 v19, 0
	s_mov_b32 s21, exec_lo
	s_delay_alu instid0(VALU_DEP_2) | instskip(NEXT) | instid1(VALU_DEP_1)
	v_and_b32_e32 v35, 0xff, v178
	v_cmpx_ne_u16_e32 0, v35
	s_cbranch_execz .LBB446_1008
; %bb.1001:                             ;   in Loop: Header=BB446_13 Depth=1
	v_bfrev_b32_e32 v19, 1
	s_mov_b32 s22, exec_lo
	v_cmpx_ne_u16_e32 0x80, v35
	s_cbranch_execz .LBB446_1007
; %bb.1002:                             ;   in Loop: Header=BB446_13 Depth=1
	v_bfe_u32 v35, v33, 16, 7
	v_mov_b32_e32 v19, 0x7f800001
	s_mov_b32 s23, exec_lo
	s_delay_alu instid0(VALU_DEP_2)
	v_cmpx_ne_u32_e32 0x7f, v35
	s_cbranch_execz .LBB446_1006
; %bb.1003:                             ;   in Loop: Header=BB446_13 Depth=1
	v_and_b32_e32 v19, 7, v178
	v_lshrrev_b32_e32 v179, 3, v35
	v_cmp_gt_u32_e64 s1, 8, v35
	s_delay_alu instid0(VALU_DEP_3) | instskip(NEXT) | instid1(VALU_DEP_2)
	v_dual_mov_b32 v36, v20 :: v_dual_mov_b32 v35, v19
	s_and_saveexec_b32 s24, s1
; %bb.1004:                             ;   in Loop: Header=BB446_13 Depth=1
	v_clz_i32_u32_e32 v35, v19
	s_delay_alu instid0(VALU_DEP_1) | instskip(NEXT) | instid1(VALU_DEP_1)
	v_min_u32_e32 v179, 32, v35
	v_subrev_nc_u32_e32 v35, 28, v179
	v_sub_nc_u32_e32 v179, 29, v179
	s_delay_alu instid0(VALU_DEP_2) | instskip(NEXT) | instid1(VALU_DEP_1)
	v_lshlrev_b64 v[35:36], v35, v[19:20]
	v_and_b32_e32 v35, 7, v35
; %bb.1005:                             ;   in Loop: Header=BB446_13 Depth=1
	s_or_b32 exec_lo, exec_lo, s24
	v_lshlrev_b32_e32 v19, 24, v178
	s_delay_alu instid0(VALU_DEP_2) | instskip(SKIP_1) | instid1(VALU_DEP_3)
	v_lshlrev_b32_e32 v35, 20, v35
	v_lshl_add_u32 v36, v179, 23, 0x3c000000
	v_and_b32_e32 v19, 0x80000000, v19
	s_delay_alu instid0(VALU_DEP_1)
	v_or3_b32 v19, v35, v19, v36
.LBB446_1006:                           ;   in Loop: Header=BB446_13 Depth=1
	s_or_b32 exec_lo, exec_lo, s23
.LBB446_1007:                           ;   in Loop: Header=BB446_13 Depth=1
	s_delay_alu instid0(SALU_CYCLE_1)
	s_or_b32 exec_lo, exec_lo, s22
.LBB446_1008:                           ;   in Loop: Header=BB446_13 Depth=1
	s_delay_alu instid0(SALU_CYCLE_1) | instskip(NEXT) | instid1(VALU_DEP_1)
	s_or_b32 exec_lo, exec_lo, s21
	v_mul_f32_e32 v19, v187, v19
                                        ; implicit-def: $vgpr178
	s_delay_alu instid0(VALU_DEP_1) | instskip(NEXT) | instid1(VALU_DEP_1)
	v_and_b32_e32 v35, 0x7f800000, v19
	v_cmp_ne_u32_e64 s1, 0x7f800000, v35
	s_delay_alu instid0(VALU_DEP_1) | instskip(NEXT) | instid1(SALU_CYCLE_1)
	s_and_saveexec_b32 s21, s1
	s_xor_b32 s1, exec_lo, s21
; %bb.1009:                             ;   in Loop: Header=BB446_13 Depth=1
	v_bfe_u32 v35, v19, 16, 1
	s_delay_alu instid0(VALU_DEP_1)
	v_add3_u32 v178, v19, v35, 0x7fff
                                        ; implicit-def: $vgpr19
; %bb.1010:                             ;   in Loop: Header=BB446_13 Depth=1
	s_and_not1_saveexec_b32 s21, s1
; %bb.1011:                             ;   in Loop: Header=BB446_13 Depth=1
	v_and_b32_e32 v35, 0xffff, v19
	v_or_b32_e32 v36, 0x10000, v19
	s_delay_alu instid0(VALU_DEP_2) | instskip(NEXT) | instid1(VALU_DEP_1)
	v_cmp_eq_u32_e64 s1, 0, v35
	v_cndmask_b32_e64 v178, v36, v19, s1
; %bb.1012:                             ;   in Loop: Header=BB446_13 Depth=1
	s_or_b32 exec_lo, exec_lo, s21
	v_mov_b32_e32 v19, 0
	s_mov_b32 s21, exec_lo
	v_cmpx_lt_u32_e32 0xffffff, v33
	s_cbranch_execz .LBB446_1020
; %bb.1013:                             ;   in Loop: Header=BB446_13 Depth=1
	v_lshrrev_b32_e32 v179, 24, v33
	v_bfrev_b32_e32 v19, 1
	s_mov_b32 s22, exec_lo
	s_delay_alu instid0(VALU_DEP_2)
	v_cmpx_ne_u32_e32 0x80, v179
	s_cbranch_execz .LBB446_1019
; %bb.1014:                             ;   in Loop: Header=BB446_13 Depth=1
	v_bfe_u32 v35, v33, 24, 7
	v_mov_b32_e32 v19, 0x7f800001
	s_mov_b32 s23, exec_lo
	s_delay_alu instid0(VALU_DEP_2)
	v_cmpx_ne_u32_e32 0x7f, v35
	s_cbranch_execz .LBB446_1018
; %bb.1015:                             ;   in Loop: Header=BB446_13 Depth=1
	v_and_b32_e32 v19, 7, v179
	v_lshrrev_b32_e32 v180, 3, v35
	v_cmp_gt_u32_e64 s1, 8, v35
	s_delay_alu instid0(VALU_DEP_3) | instskip(NEXT) | instid1(VALU_DEP_2)
	v_dual_mov_b32 v36, v20 :: v_dual_mov_b32 v35, v19
	s_and_saveexec_b32 s24, s1
; %bb.1016:                             ;   in Loop: Header=BB446_13 Depth=1
	v_clz_i32_u32_e32 v35, v19
	s_delay_alu instid0(VALU_DEP_1) | instskip(NEXT) | instid1(VALU_DEP_1)
	v_min_u32_e32 v180, 32, v35
	v_subrev_nc_u32_e32 v35, 28, v180
	v_sub_nc_u32_e32 v180, 29, v180
	s_delay_alu instid0(VALU_DEP_2) | instskip(NEXT) | instid1(VALU_DEP_1)
	v_lshlrev_b64 v[35:36], v35, v[19:20]
	v_and_b32_e32 v35, 7, v35
; %bb.1017:                             ;   in Loop: Header=BB446_13 Depth=1
	s_or_b32 exec_lo, exec_lo, s24
	v_lshlrev_b32_e32 v19, 24, v179
	s_delay_alu instid0(VALU_DEP_2) | instskip(SKIP_1) | instid1(VALU_DEP_3)
	v_lshlrev_b32_e32 v35, 20, v35
	v_lshl_add_u32 v36, v180, 23, 0x3c000000
	v_and_b32_e32 v19, 0x80000000, v19
	s_delay_alu instid0(VALU_DEP_1)
	v_or3_b32 v19, v35, v19, v36
.LBB446_1018:                           ;   in Loop: Header=BB446_13 Depth=1
	s_or_b32 exec_lo, exec_lo, s23
.LBB446_1019:                           ;   in Loop: Header=BB446_13 Depth=1
	s_delay_alu instid0(SALU_CYCLE_1)
	s_or_b32 exec_lo, exec_lo, s22
.LBB446_1020:                           ;   in Loop: Header=BB446_13 Depth=1
	s_delay_alu instid0(SALU_CYCLE_1) | instskip(NEXT) | instid1(VALU_DEP_1)
	s_or_b32 exec_lo, exec_lo, s21
	v_mul_f32_e32 v19, v187, v19
                                        ; implicit-def: $vgpr179
	s_delay_alu instid0(VALU_DEP_1) | instskip(NEXT) | instid1(VALU_DEP_1)
	v_and_b32_e32 v35, 0x7f800000, v19
	v_cmp_ne_u32_e64 s1, 0x7f800000, v35
	s_delay_alu instid0(VALU_DEP_1) | instskip(NEXT) | instid1(SALU_CYCLE_1)
	s_and_saveexec_b32 s21, s1
	s_xor_b32 s1, exec_lo, s21
; %bb.1021:                             ;   in Loop: Header=BB446_13 Depth=1
	v_bfe_u32 v35, v19, 16, 1
	s_delay_alu instid0(VALU_DEP_1)
	v_add3_u32 v179, v19, v35, 0x7fff
                                        ; implicit-def: $vgpr19
; %bb.1022:                             ;   in Loop: Header=BB446_13 Depth=1
	s_and_not1_saveexec_b32 s21, s1
; %bb.1023:                             ;   in Loop: Header=BB446_13 Depth=1
	v_and_b32_e32 v35, 0xffff, v19
	v_or_b32_e32 v36, 0x10000, v19
	s_delay_alu instid0(VALU_DEP_2) | instskip(NEXT) | instid1(VALU_DEP_1)
	v_cmp_eq_u32_e64 s1, 0, v35
	v_cndmask_b32_e64 v179, v36, v19, s1
; %bb.1024:                             ;   in Loop: Header=BB446_13 Depth=1
	s_or_b32 exec_lo, exec_lo, s21
	v_dual_mov_b32 v19, v34 :: v_dual_and_b32 v36, 0xff, v34
	v_mov_b32_e32 v35, 0
	s_mov_b32 s21, exec_lo
	s_delay_alu instid0(VALU_DEP_2)
	v_cmpx_ne_u16_e32 0, v36
	s_cbranch_execz .LBB446_1032
; %bb.1025:                             ;   in Loop: Header=BB446_13 Depth=1
	v_bfrev_b32_e32 v35, 1
	s_mov_b32 s22, exec_lo
	v_cmpx_ne_u16_e32 0x80, v36
	s_cbranch_execz .LBB446_1031
; %bb.1026:                             ;   in Loop: Header=BB446_13 Depth=1
	v_and_b32_e32 v36, 0x7f, v34
	v_mov_b32_e32 v35, 0x7f800001
	s_mov_b32 s23, exec_lo
	s_delay_alu instid0(VALU_DEP_2)
	v_cmpx_ne_u32_e32 0x7f, v36
	s_cbranch_execz .LBB446_1030
; %bb.1027:                             ;   in Loop: Header=BB446_13 Depth=1
	v_lshrrev_b32_e32 v180, 3, v36
	v_cmp_gt_u32_e64 s1, 8, v36
	v_dual_mov_b32 v36, v20 :: v_dual_mov_b32 v35, v19
	s_delay_alu instid0(VALU_DEP_2)
	s_and_saveexec_b32 s24, s1
; %bb.1028:                             ;   in Loop: Header=BB446_13 Depth=1
	v_and_b32_e32 v35, 7, v34
	s_delay_alu instid0(VALU_DEP_1) | instskip(NEXT) | instid1(VALU_DEP_1)
	v_clz_i32_u32_e32 v35, v35
	v_min_u32_e32 v180, 32, v35
	s_delay_alu instid0(VALU_DEP_1) | instskip(SKIP_1) | instid1(VALU_DEP_2)
	v_subrev_nc_u32_e32 v35, 28, v180
	v_sub_nc_u32_e32 v180, 29, v180
	v_lshlrev_b64 v[35:36], v35, v[19:20]
; %bb.1029:                             ;   in Loop: Header=BB446_13 Depth=1
	s_or_b32 exec_lo, exec_lo, s24
	s_delay_alu instid0(VALU_DEP_1) | instskip(SKIP_2) | instid1(VALU_DEP_3)
	v_lshlrev_b32_e32 v35, 20, v35
	v_lshlrev_b32_e32 v36, 24, v19
	v_lshl_add_u32 v180, v180, 23, 0x3c000000
	v_and_b32_e32 v35, 0x700000, v35
	s_delay_alu instid0(VALU_DEP_3) | instskip(NEXT) | instid1(VALU_DEP_1)
	v_and_b32_e32 v36, 0x80000000, v36
	v_or3_b32 v35, v35, v36, v180
.LBB446_1030:                           ;   in Loop: Header=BB446_13 Depth=1
	s_or_b32 exec_lo, exec_lo, s23
.LBB446_1031:                           ;   in Loop: Header=BB446_13 Depth=1
	s_delay_alu instid0(SALU_CYCLE_1)
	s_or_b32 exec_lo, exec_lo, s22
.LBB446_1032:                           ;   in Loop: Header=BB446_13 Depth=1
	s_delay_alu instid0(SALU_CYCLE_1) | instskip(NEXT) | instid1(VALU_DEP_1)
	s_or_b32 exec_lo, exec_lo, s21
	v_mul_f32_e32 v35, v187, v35
                                        ; implicit-def: $vgpr180
	s_delay_alu instid0(VALU_DEP_1) | instskip(NEXT) | instid1(VALU_DEP_1)
	v_and_b32_e32 v36, 0x7f800000, v35
	v_cmp_ne_u32_e64 s1, 0x7f800000, v36
	s_delay_alu instid0(VALU_DEP_1) | instskip(NEXT) | instid1(SALU_CYCLE_1)
	s_and_saveexec_b32 s21, s1
	s_xor_b32 s1, exec_lo, s21
; %bb.1033:                             ;   in Loop: Header=BB446_13 Depth=1
	v_bfe_u32 v36, v35, 16, 1
	s_delay_alu instid0(VALU_DEP_1)
	v_add3_u32 v180, v35, v36, 0x7fff
                                        ; implicit-def: $vgpr35
; %bb.1034:                             ;   in Loop: Header=BB446_13 Depth=1
	s_and_not1_saveexec_b32 s21, s1
; %bb.1035:                             ;   in Loop: Header=BB446_13 Depth=1
	v_and_b32_e32 v36, 0xffff, v35
	v_or_b32_e32 v180, 0x10000, v35
	s_delay_alu instid0(VALU_DEP_2) | instskip(NEXT) | instid1(VALU_DEP_1)
	v_cmp_eq_u32_e64 s1, 0, v36
	v_cndmask_b32_e64 v180, v180, v35, s1
; %bb.1036:                             ;   in Loop: Header=BB446_13 Depth=1
	s_or_b32 exec_lo, exec_lo, s21
	v_lshrrev_b16 v36, 8, v19
	v_mov_b32_e32 v35, 0
	s_mov_b32 s21, exec_lo
	s_delay_alu instid0(VALU_DEP_2)
	v_cmpx_ne_u16_e32 0, v36
	s_cbranch_execz .LBB446_1044
; %bb.1037:                             ;   in Loop: Header=BB446_13 Depth=1
	v_bfrev_b32_e32 v35, 1
	s_mov_b32 s22, exec_lo
	v_cmpx_ne_u16_e32 0x80, v36
	s_cbranch_execz .LBB446_1043
; %bb.1038:                             ;   in Loop: Header=BB446_13 Depth=1
	v_and_b32_e32 v36, 0xffff, v36
	v_mov_b32_e32 v35, 0x7f800001
	s_mov_b32 s23, exec_lo
	s_delay_alu instid0(VALU_DEP_2) | instskip(NEXT) | instid1(VALU_DEP_1)
	v_and_b32_e32 v182, 0x7f, v36
	v_cmpx_ne_u32_e32 0x7f, v182
	s_cbranch_execz .LBB446_1042
; %bb.1039:                             ;   in Loop: Header=BB446_13 Depth=1
	v_dual_mov_b32 v36, v20 :: v_dual_and_b32 v35, 7, v36
	v_lshrrev_b32_e32 v181, 3, v182
	s_mov_b32 s24, exec_lo
	v_cmpx_gt_u32_e32 8, v182
; %bb.1040:                             ;   in Loop: Header=BB446_13 Depth=1
	s_delay_alu instid0(VALU_DEP_3) | instskip(NEXT) | instid1(VALU_DEP_1)
	v_clz_i32_u32_e32 v181, v35
	v_min_u32_e32 v181, 32, v181
	s_delay_alu instid0(VALU_DEP_1) | instskip(SKIP_1) | instid1(VALU_DEP_2)
	v_subrev_nc_u32_e32 v182, 28, v181
	v_sub_nc_u32_e32 v181, 29, v181
	v_lshlrev_b64 v[35:36], v182, v[35:36]
	s_delay_alu instid0(VALU_DEP_1)
	v_and_b32_e32 v35, 7, v35
; %bb.1041:                             ;   in Loop: Header=BB446_13 Depth=1
	s_or_b32 exec_lo, exec_lo, s24
	v_lshlrev_b32_e32 v19, 16, v19
	s_delay_alu instid0(VALU_DEP_2) | instskip(SKIP_1) | instid1(VALU_DEP_3)
	v_lshlrev_b32_e32 v35, 20, v35
	v_lshl_add_u32 v36, v181, 23, 0x3c000000
	v_and_b32_e32 v19, 0x80000000, v19
	s_delay_alu instid0(VALU_DEP_1)
	v_or3_b32 v35, v35, v19, v36
.LBB446_1042:                           ;   in Loop: Header=BB446_13 Depth=1
	s_or_b32 exec_lo, exec_lo, s23
.LBB446_1043:                           ;   in Loop: Header=BB446_13 Depth=1
	s_delay_alu instid0(SALU_CYCLE_1)
	s_or_b32 exec_lo, exec_lo, s22
.LBB446_1044:                           ;   in Loop: Header=BB446_13 Depth=1
	s_delay_alu instid0(SALU_CYCLE_1) | instskip(NEXT) | instid1(VALU_DEP_1)
	s_or_b32 exec_lo, exec_lo, s21
	v_mul_f32_e32 v19, v187, v35
                                        ; implicit-def: $vgpr181
	s_delay_alu instid0(VALU_DEP_1) | instskip(NEXT) | instid1(VALU_DEP_1)
	v_and_b32_e32 v35, 0x7f800000, v19
	v_cmp_ne_u32_e64 s1, 0x7f800000, v35
	s_delay_alu instid0(VALU_DEP_1) | instskip(NEXT) | instid1(SALU_CYCLE_1)
	s_and_saveexec_b32 s21, s1
	s_xor_b32 s1, exec_lo, s21
; %bb.1045:                             ;   in Loop: Header=BB446_13 Depth=1
	v_bfe_u32 v35, v19, 16, 1
	s_delay_alu instid0(VALU_DEP_1)
	v_add3_u32 v181, v19, v35, 0x7fff
                                        ; implicit-def: $vgpr19
; %bb.1046:                             ;   in Loop: Header=BB446_13 Depth=1
	s_and_not1_saveexec_b32 s21, s1
; %bb.1047:                             ;   in Loop: Header=BB446_13 Depth=1
	v_and_b32_e32 v35, 0xffff, v19
	v_or_b32_e32 v36, 0x10000, v19
	s_delay_alu instid0(VALU_DEP_2) | instskip(NEXT) | instid1(VALU_DEP_1)
	v_cmp_eq_u32_e64 s1, 0, v35
	v_cndmask_b32_e64 v181, v36, v19, s1
; %bb.1048:                             ;   in Loop: Header=BB446_13 Depth=1
	s_or_b32 exec_lo, exec_lo, s21
	v_lshrrev_b32_e32 v182, 16, v34
	v_mov_b32_e32 v19, 0
	s_mov_b32 s21, exec_lo
	s_delay_alu instid0(VALU_DEP_2) | instskip(NEXT) | instid1(VALU_DEP_1)
	v_and_b32_e32 v35, 0xff, v182
	v_cmpx_ne_u16_e32 0, v35
	s_cbranch_execz .LBB446_1056
; %bb.1049:                             ;   in Loop: Header=BB446_13 Depth=1
	v_bfrev_b32_e32 v19, 1
	s_mov_b32 s22, exec_lo
	v_cmpx_ne_u16_e32 0x80, v35
	s_cbranch_execz .LBB446_1055
; %bb.1050:                             ;   in Loop: Header=BB446_13 Depth=1
	v_bfe_u32 v35, v34, 16, 7
	v_mov_b32_e32 v19, 0x7f800001
	s_mov_b32 s23, exec_lo
	s_delay_alu instid0(VALU_DEP_2)
	v_cmpx_ne_u32_e32 0x7f, v35
	s_cbranch_execz .LBB446_1054
; %bb.1051:                             ;   in Loop: Header=BB446_13 Depth=1
	v_and_b32_e32 v19, 7, v182
	v_lshrrev_b32_e32 v183, 3, v35
	v_cmp_gt_u32_e64 s1, 8, v35
	s_delay_alu instid0(VALU_DEP_3) | instskip(NEXT) | instid1(VALU_DEP_2)
	v_dual_mov_b32 v36, v20 :: v_dual_mov_b32 v35, v19
	s_and_saveexec_b32 s24, s1
; %bb.1052:                             ;   in Loop: Header=BB446_13 Depth=1
	v_clz_i32_u32_e32 v35, v19
	s_delay_alu instid0(VALU_DEP_1) | instskip(NEXT) | instid1(VALU_DEP_1)
	v_min_u32_e32 v183, 32, v35
	v_subrev_nc_u32_e32 v35, 28, v183
	v_sub_nc_u32_e32 v183, 29, v183
	s_delay_alu instid0(VALU_DEP_2) | instskip(NEXT) | instid1(VALU_DEP_1)
	v_lshlrev_b64 v[35:36], v35, v[19:20]
	v_and_b32_e32 v35, 7, v35
; %bb.1053:                             ;   in Loop: Header=BB446_13 Depth=1
	s_or_b32 exec_lo, exec_lo, s24
	v_lshlrev_b32_e32 v19, 24, v182
	s_delay_alu instid0(VALU_DEP_2) | instskip(SKIP_1) | instid1(VALU_DEP_3)
	v_lshlrev_b32_e32 v35, 20, v35
	v_lshl_add_u32 v36, v183, 23, 0x3c000000
	v_and_b32_e32 v19, 0x80000000, v19
	s_delay_alu instid0(VALU_DEP_1)
	v_or3_b32 v19, v35, v19, v36
.LBB446_1054:                           ;   in Loop: Header=BB446_13 Depth=1
	s_or_b32 exec_lo, exec_lo, s23
.LBB446_1055:                           ;   in Loop: Header=BB446_13 Depth=1
	s_delay_alu instid0(SALU_CYCLE_1)
	s_or_b32 exec_lo, exec_lo, s22
.LBB446_1056:                           ;   in Loop: Header=BB446_13 Depth=1
	s_delay_alu instid0(SALU_CYCLE_1) | instskip(NEXT) | instid1(VALU_DEP_1)
	s_or_b32 exec_lo, exec_lo, s21
	v_mul_f32_e32 v19, v187, v19
                                        ; implicit-def: $vgpr182
	s_delay_alu instid0(VALU_DEP_1) | instskip(NEXT) | instid1(VALU_DEP_1)
	v_and_b32_e32 v35, 0x7f800000, v19
	v_cmp_ne_u32_e64 s1, 0x7f800000, v35
	s_delay_alu instid0(VALU_DEP_1) | instskip(NEXT) | instid1(SALU_CYCLE_1)
	s_and_saveexec_b32 s21, s1
	s_xor_b32 s1, exec_lo, s21
; %bb.1057:                             ;   in Loop: Header=BB446_13 Depth=1
	v_bfe_u32 v35, v19, 16, 1
	s_delay_alu instid0(VALU_DEP_1)
	v_add3_u32 v182, v19, v35, 0x7fff
                                        ; implicit-def: $vgpr19
; %bb.1058:                             ;   in Loop: Header=BB446_13 Depth=1
	s_and_not1_saveexec_b32 s21, s1
; %bb.1059:                             ;   in Loop: Header=BB446_13 Depth=1
	v_and_b32_e32 v35, 0xffff, v19
	v_or_b32_e32 v36, 0x10000, v19
	s_delay_alu instid0(VALU_DEP_2) | instskip(NEXT) | instid1(VALU_DEP_1)
	v_cmp_eq_u32_e64 s1, 0, v35
	v_cndmask_b32_e64 v182, v36, v19, s1
; %bb.1060:                             ;   in Loop: Header=BB446_13 Depth=1
	s_or_b32 exec_lo, exec_lo, s21
	v_mov_b32_e32 v19, 0
	s_mov_b32 s21, exec_lo
	v_cmpx_lt_u64_e64 s[16:17], v[33:34]
	s_cbranch_execz .LBB446_1068
; %bb.1061:                             ;   in Loop: Header=BB446_13 Depth=1
	v_lshrrev_b32_e32 v35, 24, v34
	v_bfrev_b32_e32 v19, 1
	s_mov_b32 s22, exec_lo
	s_delay_alu instid0(VALU_DEP_2)
	v_cmpx_ne_u32_e32 0x80, v35
	s_cbranch_execz .LBB446_1067
; %bb.1062:                             ;   in Loop: Header=BB446_13 Depth=1
	v_bfe_u32 v33, v34, 24, 7
	v_mov_b32_e32 v19, 0x7f800001
	s_mov_b32 s23, exec_lo
	s_delay_alu instid0(VALU_DEP_2)
	v_cmpx_ne_u32_e32 0x7f, v33
	s_cbranch_execz .LBB446_1066
; %bb.1063:                             ;   in Loop: Header=BB446_13 Depth=1
	v_and_b32_e32 v19, 7, v35
	v_lshrrev_b32_e32 v36, 3, v33
	v_cmp_gt_u32_e64 s1, 8, v33
	s_delay_alu instid0(VALU_DEP_3) | instskip(NEXT) | instid1(VALU_DEP_2)
	v_dual_mov_b32 v34, v20 :: v_dual_mov_b32 v33, v19
	s_and_saveexec_b32 s24, s1
; %bb.1064:                             ;   in Loop: Header=BB446_13 Depth=1
	v_clz_i32_u32_e32 v33, v19
	s_delay_alu instid0(VALU_DEP_1) | instskip(NEXT) | instid1(VALU_DEP_1)
	v_min_u32_e32 v36, 32, v33
	v_subrev_nc_u32_e32 v33, 28, v36
	v_sub_nc_u32_e32 v36, 29, v36
	s_delay_alu instid0(VALU_DEP_2) | instskip(NEXT) | instid1(VALU_DEP_1)
	v_lshlrev_b64 v[33:34], v33, v[19:20]
	v_and_b32_e32 v33, 7, v33
; %bb.1065:                             ;   in Loop: Header=BB446_13 Depth=1
	s_or_b32 exec_lo, exec_lo, s24
	v_lshlrev_b32_e32 v19, 24, v35
	s_delay_alu instid0(VALU_DEP_2) | instskip(SKIP_1) | instid1(VALU_DEP_3)
	v_lshlrev_b32_e32 v33, 20, v33
	v_lshl_add_u32 v34, v36, 23, 0x3c000000
	v_and_b32_e32 v19, 0x80000000, v19
	s_delay_alu instid0(VALU_DEP_1)
	v_or3_b32 v19, v33, v19, v34
.LBB446_1066:                           ;   in Loop: Header=BB446_13 Depth=1
	s_or_b32 exec_lo, exec_lo, s23
.LBB446_1067:                           ;   in Loop: Header=BB446_13 Depth=1
	s_delay_alu instid0(SALU_CYCLE_1)
	s_or_b32 exec_lo, exec_lo, s22
.LBB446_1068:                           ;   in Loop: Header=BB446_13 Depth=1
	s_delay_alu instid0(SALU_CYCLE_1) | instskip(NEXT) | instid1(VALU_DEP_1)
	s_or_b32 exec_lo, exec_lo, s21
	v_mul_f32_e32 v19, v187, v19
                                        ; implicit-def: $vgpr183
	s_delay_alu instid0(VALU_DEP_1) | instskip(NEXT) | instid1(VALU_DEP_1)
	v_and_b32_e32 v33, 0x7f800000, v19
	v_cmp_ne_u32_e64 s1, 0x7f800000, v33
	s_delay_alu instid0(VALU_DEP_1) | instskip(NEXT) | instid1(SALU_CYCLE_1)
	s_and_saveexec_b32 s21, s1
	s_xor_b32 s1, exec_lo, s21
; %bb.1069:                             ;   in Loop: Header=BB446_13 Depth=1
	v_bfe_u32 v33, v19, 16, 1
	s_delay_alu instid0(VALU_DEP_1)
	v_add3_u32 v183, v19, v33, 0x7fff
                                        ; implicit-def: $vgpr19
; %bb.1070:                             ;   in Loop: Header=BB446_13 Depth=1
	s_and_not1_saveexec_b32 s21, s1
; %bb.1071:                             ;   in Loop: Header=BB446_13 Depth=1
	v_and_b32_e32 v33, 0xffff, v19
	v_or_b32_e32 v34, 0x10000, v19
	s_delay_alu instid0(VALU_DEP_2) | instskip(NEXT) | instid1(VALU_DEP_1)
	v_cmp_eq_u32_e64 s1, 0, v33
	v_cndmask_b32_e64 v183, v34, v19, s1
; %bb.1072:                             ;   in Loop: Header=BB446_13 Depth=1
	s_or_b32 exec_lo, exec_lo, s21
	flat_load_b64 v[33:34], v[31:32] offset:2568
	v_mov_b32_e32 v19, 0
	s_mov_b32 s21, exec_lo
	s_waitcnt vmcnt(0) lgkmcnt(0)
	v_and_b32_e32 v35, 0xff, v33
	s_delay_alu instid0(VALU_DEP_1)
	v_cmpx_ne_u16_e32 0, v35
	s_cbranch_execz .LBB446_1080
; %bb.1073:                             ;   in Loop: Header=BB446_13 Depth=1
	v_bfrev_b32_e32 v19, 1
	s_mov_b32 s22, exec_lo
	v_cmpx_ne_u16_e32 0x80, v35
	s_cbranch_execz .LBB446_1079
; %bb.1074:                             ;   in Loop: Header=BB446_13 Depth=1
	v_and_b32_e32 v35, 0x7f, v33
	v_mov_b32_e32 v19, 0x7f800001
	s_mov_b32 s23, exec_lo
	s_delay_alu instid0(VALU_DEP_2)
	v_cmpx_ne_u32_e32 0x7f, v35
	s_cbranch_execz .LBB446_1078
; %bb.1075:                             ;   in Loop: Header=BB446_13 Depth=1
	v_lshrrev_b32_e32 v19, 3, v35
	v_cmp_gt_u32_e64 s1, 8, v35
	v_dual_mov_b32 v36, v34 :: v_dual_mov_b32 v35, v33
	s_delay_alu instid0(VALU_DEP_2)
	s_and_saveexec_b32 s24, s1
; %bb.1076:                             ;   in Loop: Header=BB446_13 Depth=1
	v_and_b32_e32 v19, 7, v33
	s_delay_alu instid0(VALU_DEP_1) | instskip(NEXT) | instid1(VALU_DEP_1)
	v_clz_i32_u32_e32 v19, v19
	v_min_u32_e32 v19, 32, v19
	s_delay_alu instid0(VALU_DEP_1) | instskip(SKIP_1) | instid1(VALU_DEP_2)
	v_subrev_nc_u32_e32 v35, 28, v19
	v_sub_nc_u32_e32 v19, 29, v19
	v_lshlrev_b64 v[35:36], v35, v[33:34]
; %bb.1077:                             ;   in Loop: Header=BB446_13 Depth=1
	s_or_b32 exec_lo, exec_lo, s24
	s_delay_alu instid0(VALU_DEP_1) | instskip(SKIP_2) | instid1(VALU_DEP_3)
	v_lshlrev_b32_e32 v35, 20, v35
	v_lshlrev_b32_e32 v36, 24, v33
	v_lshl_add_u32 v19, v19, 23, 0x3c000000
	v_and_b32_e32 v35, 0x700000, v35
	s_delay_alu instid0(VALU_DEP_3) | instskip(NEXT) | instid1(VALU_DEP_1)
	v_and_b32_e32 v36, 0x80000000, v36
	v_or3_b32 v19, v35, v36, v19
.LBB446_1078:                           ;   in Loop: Header=BB446_13 Depth=1
	s_or_b32 exec_lo, exec_lo, s23
.LBB446_1079:                           ;   in Loop: Header=BB446_13 Depth=1
	s_delay_alu instid0(SALU_CYCLE_1)
	s_or_b32 exec_lo, exec_lo, s22
.LBB446_1080:                           ;   in Loop: Header=BB446_13 Depth=1
	s_delay_alu instid0(SALU_CYCLE_1) | instskip(NEXT) | instid1(VALU_DEP_1)
	s_or_b32 exec_lo, exec_lo, s21
	v_mul_f32_e32 v19, v187, v19
                                        ; implicit-def: $vgpr40
	s_delay_alu instid0(VALU_DEP_1) | instskip(NEXT) | instid1(VALU_DEP_1)
	v_and_b32_e32 v35, 0x7f800000, v19
	v_cmp_ne_u32_e64 s1, 0x7f800000, v35
	s_delay_alu instid0(VALU_DEP_1) | instskip(NEXT) | instid1(SALU_CYCLE_1)
	s_and_saveexec_b32 s21, s1
	s_xor_b32 s1, exec_lo, s21
; %bb.1081:                             ;   in Loop: Header=BB446_13 Depth=1
	v_bfe_u32 v35, v19, 16, 1
	s_delay_alu instid0(VALU_DEP_1)
	v_add3_u32 v40, v19, v35, 0x7fff
                                        ; implicit-def: $vgpr19
; %bb.1082:                             ;   in Loop: Header=BB446_13 Depth=1
	s_and_not1_saveexec_b32 s21, s1
; %bb.1083:                             ;   in Loop: Header=BB446_13 Depth=1
	v_and_b32_e32 v35, 0xffff, v19
	v_or_b32_e32 v36, 0x10000, v19
	s_delay_alu instid0(VALU_DEP_2) | instskip(NEXT) | instid1(VALU_DEP_1)
	v_cmp_eq_u32_e64 s1, 0, v35
	v_cndmask_b32_e64 v40, v36, v19, s1
; %bb.1084:                             ;   in Loop: Header=BB446_13 Depth=1
	s_or_b32 exec_lo, exec_lo, s21
	v_lshrrev_b16 v35, 8, v33
	v_mov_b32_e32 v19, 0
	s_mov_b32 s21, exec_lo
	s_delay_alu instid0(VALU_DEP_2)
	v_cmpx_ne_u16_e32 0, v35
	s_cbranch_execz .LBB446_1092
; %bb.1085:                             ;   in Loop: Header=BB446_13 Depth=1
	v_bfrev_b32_e32 v19, 1
	s_mov_b32 s22, exec_lo
	v_cmpx_ne_u16_e32 0x80, v35
	s_cbranch_execz .LBB446_1091
; %bb.1086:                             ;   in Loop: Header=BB446_13 Depth=1
	v_and_b32_e32 v36, 0xffff, v35
	v_mov_b32_e32 v19, 0x7f800001
	s_mov_b32 s23, exec_lo
	s_delay_alu instid0(VALU_DEP_2) | instskip(NEXT) | instid1(VALU_DEP_1)
	v_and_b32_e32 v35, 0x7f, v36
	v_cmpx_ne_u32_e32 0x7f, v35
	s_cbranch_execz .LBB446_1090
; %bb.1087:                             ;   in Loop: Header=BB446_13 Depth=1
	v_and_b32_e32 v19, 7, v36
	v_lshrrev_b32_e32 v41, 3, v35
	v_cmp_gt_u32_e64 s1, 8, v35
	s_delay_alu instid0(VALU_DEP_3) | instskip(NEXT) | instid1(VALU_DEP_2)
	v_dual_mov_b32 v36, v20 :: v_dual_mov_b32 v35, v19
	s_and_saveexec_b32 s24, s1
; %bb.1088:                             ;   in Loop: Header=BB446_13 Depth=1
	v_clz_i32_u32_e32 v35, v19
	s_delay_alu instid0(VALU_DEP_1) | instskip(NEXT) | instid1(VALU_DEP_1)
	v_min_u32_e32 v41, 32, v35
	v_subrev_nc_u32_e32 v35, 28, v41
	v_sub_nc_u32_e32 v41, 29, v41
	s_delay_alu instid0(VALU_DEP_2) | instskip(NEXT) | instid1(VALU_DEP_1)
	v_lshlrev_b64 v[35:36], v35, v[19:20]
	v_and_b32_e32 v35, 7, v35
; %bb.1089:                             ;   in Loop: Header=BB446_13 Depth=1
	s_or_b32 exec_lo, exec_lo, s24
	v_lshlrev_b32_e32 v19, 16, v33
	s_delay_alu instid0(VALU_DEP_2) | instskip(SKIP_1) | instid1(VALU_DEP_3)
	v_lshlrev_b32_e32 v35, 20, v35
	v_lshl_add_u32 v36, v41, 23, 0x3c000000
	v_and_b32_e32 v19, 0x80000000, v19
	s_delay_alu instid0(VALU_DEP_1)
	v_or3_b32 v19, v35, v19, v36
.LBB446_1090:                           ;   in Loop: Header=BB446_13 Depth=1
	s_or_b32 exec_lo, exec_lo, s23
.LBB446_1091:                           ;   in Loop: Header=BB446_13 Depth=1
	s_delay_alu instid0(SALU_CYCLE_1)
	s_or_b32 exec_lo, exec_lo, s22
.LBB446_1092:                           ;   in Loop: Header=BB446_13 Depth=1
	s_delay_alu instid0(SALU_CYCLE_1) | instskip(NEXT) | instid1(VALU_DEP_1)
	s_or_b32 exec_lo, exec_lo, s21
	v_mul_f32_e32 v19, v187, v19
                                        ; implicit-def: $vgpr41
	s_delay_alu instid0(VALU_DEP_1) | instskip(NEXT) | instid1(VALU_DEP_1)
	v_and_b32_e32 v35, 0x7f800000, v19
	v_cmp_ne_u32_e64 s1, 0x7f800000, v35
	s_delay_alu instid0(VALU_DEP_1) | instskip(NEXT) | instid1(SALU_CYCLE_1)
	s_and_saveexec_b32 s21, s1
	s_xor_b32 s1, exec_lo, s21
; %bb.1093:                             ;   in Loop: Header=BB446_13 Depth=1
	v_bfe_u32 v35, v19, 16, 1
	s_delay_alu instid0(VALU_DEP_1)
	v_add3_u32 v41, v19, v35, 0x7fff
                                        ; implicit-def: $vgpr19
; %bb.1094:                             ;   in Loop: Header=BB446_13 Depth=1
	s_and_not1_saveexec_b32 s21, s1
; %bb.1095:                             ;   in Loop: Header=BB446_13 Depth=1
	v_and_b32_e32 v35, 0xffff, v19
	v_or_b32_e32 v36, 0x10000, v19
	s_delay_alu instid0(VALU_DEP_2) | instskip(NEXT) | instid1(VALU_DEP_1)
	v_cmp_eq_u32_e64 s1, 0, v35
	v_cndmask_b32_e64 v41, v36, v19, s1
; %bb.1096:                             ;   in Loop: Header=BB446_13 Depth=1
	s_or_b32 exec_lo, exec_lo, s21
	v_lshrrev_b32_e32 v42, 16, v33
	v_mov_b32_e32 v19, 0
	s_mov_b32 s21, exec_lo
	s_delay_alu instid0(VALU_DEP_2) | instskip(NEXT) | instid1(VALU_DEP_1)
	v_and_b32_e32 v35, 0xff, v42
	v_cmpx_ne_u16_e32 0, v35
	s_cbranch_execz .LBB446_1104
; %bb.1097:                             ;   in Loop: Header=BB446_13 Depth=1
	v_bfrev_b32_e32 v19, 1
	s_mov_b32 s22, exec_lo
	v_cmpx_ne_u16_e32 0x80, v35
	s_cbranch_execz .LBB446_1103
; %bb.1098:                             ;   in Loop: Header=BB446_13 Depth=1
	v_bfe_u32 v35, v33, 16, 7
	v_mov_b32_e32 v19, 0x7f800001
	s_mov_b32 s23, exec_lo
	s_delay_alu instid0(VALU_DEP_2)
	v_cmpx_ne_u32_e32 0x7f, v35
	s_cbranch_execz .LBB446_1102
; %bb.1099:                             ;   in Loop: Header=BB446_13 Depth=1
	v_and_b32_e32 v19, 7, v42
	v_lshrrev_b32_e32 v43, 3, v35
	v_cmp_gt_u32_e64 s1, 8, v35
	s_delay_alu instid0(VALU_DEP_3) | instskip(NEXT) | instid1(VALU_DEP_2)
	v_dual_mov_b32 v36, v20 :: v_dual_mov_b32 v35, v19
	s_and_saveexec_b32 s24, s1
; %bb.1100:                             ;   in Loop: Header=BB446_13 Depth=1
	v_clz_i32_u32_e32 v35, v19
	s_delay_alu instid0(VALU_DEP_1) | instskip(NEXT) | instid1(VALU_DEP_1)
	v_min_u32_e32 v43, 32, v35
	v_subrev_nc_u32_e32 v35, 28, v43
	v_sub_nc_u32_e32 v43, 29, v43
	s_delay_alu instid0(VALU_DEP_2) | instskip(NEXT) | instid1(VALU_DEP_1)
	v_lshlrev_b64 v[35:36], v35, v[19:20]
	v_and_b32_e32 v35, 7, v35
; %bb.1101:                             ;   in Loop: Header=BB446_13 Depth=1
	s_or_b32 exec_lo, exec_lo, s24
	v_lshlrev_b32_e32 v19, 24, v42
	s_delay_alu instid0(VALU_DEP_2) | instskip(SKIP_1) | instid1(VALU_DEP_3)
	v_lshlrev_b32_e32 v35, 20, v35
	v_lshl_add_u32 v36, v43, 23, 0x3c000000
	v_and_b32_e32 v19, 0x80000000, v19
	s_delay_alu instid0(VALU_DEP_1)
	v_or3_b32 v19, v35, v19, v36
.LBB446_1102:                           ;   in Loop: Header=BB446_13 Depth=1
	s_or_b32 exec_lo, exec_lo, s23
.LBB446_1103:                           ;   in Loop: Header=BB446_13 Depth=1
	s_delay_alu instid0(SALU_CYCLE_1)
	s_or_b32 exec_lo, exec_lo, s22
.LBB446_1104:                           ;   in Loop: Header=BB446_13 Depth=1
	s_delay_alu instid0(SALU_CYCLE_1) | instskip(NEXT) | instid1(VALU_DEP_1)
	s_or_b32 exec_lo, exec_lo, s21
	v_mul_f32_e32 v19, v187, v19
                                        ; implicit-def: $vgpr42
	s_delay_alu instid0(VALU_DEP_1) | instskip(NEXT) | instid1(VALU_DEP_1)
	v_and_b32_e32 v35, 0x7f800000, v19
	v_cmp_ne_u32_e64 s1, 0x7f800000, v35
	s_delay_alu instid0(VALU_DEP_1) | instskip(NEXT) | instid1(SALU_CYCLE_1)
	s_and_saveexec_b32 s21, s1
	s_xor_b32 s1, exec_lo, s21
; %bb.1105:                             ;   in Loop: Header=BB446_13 Depth=1
	v_bfe_u32 v35, v19, 16, 1
	s_delay_alu instid0(VALU_DEP_1)
	v_add3_u32 v42, v19, v35, 0x7fff
                                        ; implicit-def: $vgpr19
; %bb.1106:                             ;   in Loop: Header=BB446_13 Depth=1
	s_and_not1_saveexec_b32 s21, s1
; %bb.1107:                             ;   in Loop: Header=BB446_13 Depth=1
	v_and_b32_e32 v35, 0xffff, v19
	v_or_b32_e32 v36, 0x10000, v19
	s_delay_alu instid0(VALU_DEP_2) | instskip(NEXT) | instid1(VALU_DEP_1)
	v_cmp_eq_u32_e64 s1, 0, v35
	v_cndmask_b32_e64 v42, v36, v19, s1
; %bb.1108:                             ;   in Loop: Header=BB446_13 Depth=1
	s_or_b32 exec_lo, exec_lo, s21
	v_mov_b32_e32 v19, 0
	s_mov_b32 s21, exec_lo
	v_cmpx_lt_u32_e32 0xffffff, v33
	s_cbranch_execz .LBB446_1116
; %bb.1109:                             ;   in Loop: Header=BB446_13 Depth=1
	v_lshrrev_b32_e32 v43, 24, v33
	v_bfrev_b32_e32 v19, 1
	s_mov_b32 s22, exec_lo
	s_delay_alu instid0(VALU_DEP_2)
	v_cmpx_ne_u32_e32 0x80, v43
	s_cbranch_execz .LBB446_1115
; %bb.1110:                             ;   in Loop: Header=BB446_13 Depth=1
	v_bfe_u32 v35, v33, 24, 7
	v_mov_b32_e32 v19, 0x7f800001
	s_mov_b32 s23, exec_lo
	s_delay_alu instid0(VALU_DEP_2)
	v_cmpx_ne_u32_e32 0x7f, v35
	s_cbranch_execz .LBB446_1114
; %bb.1111:                             ;   in Loop: Header=BB446_13 Depth=1
	v_and_b32_e32 v19, 7, v43
	v_lshrrev_b32_e32 v44, 3, v35
	v_cmp_gt_u32_e64 s1, 8, v35
	s_delay_alu instid0(VALU_DEP_3) | instskip(NEXT) | instid1(VALU_DEP_2)
	v_dual_mov_b32 v36, v20 :: v_dual_mov_b32 v35, v19
	s_and_saveexec_b32 s24, s1
; %bb.1112:                             ;   in Loop: Header=BB446_13 Depth=1
	v_clz_i32_u32_e32 v35, v19
	s_delay_alu instid0(VALU_DEP_1) | instskip(NEXT) | instid1(VALU_DEP_1)
	v_min_u32_e32 v44, 32, v35
	v_subrev_nc_u32_e32 v35, 28, v44
	v_sub_nc_u32_e32 v44, 29, v44
	s_delay_alu instid0(VALU_DEP_2) | instskip(NEXT) | instid1(VALU_DEP_1)
	v_lshlrev_b64 v[35:36], v35, v[19:20]
	v_and_b32_e32 v35, 7, v35
; %bb.1113:                             ;   in Loop: Header=BB446_13 Depth=1
	s_or_b32 exec_lo, exec_lo, s24
	v_lshlrev_b32_e32 v19, 24, v43
	s_delay_alu instid0(VALU_DEP_2) | instskip(SKIP_1) | instid1(VALU_DEP_3)
	v_lshlrev_b32_e32 v35, 20, v35
	v_lshl_add_u32 v36, v44, 23, 0x3c000000
	v_and_b32_e32 v19, 0x80000000, v19
	s_delay_alu instid0(VALU_DEP_1)
	v_or3_b32 v19, v35, v19, v36
.LBB446_1114:                           ;   in Loop: Header=BB446_13 Depth=1
	s_or_b32 exec_lo, exec_lo, s23
.LBB446_1115:                           ;   in Loop: Header=BB446_13 Depth=1
	s_delay_alu instid0(SALU_CYCLE_1)
	s_or_b32 exec_lo, exec_lo, s22
.LBB446_1116:                           ;   in Loop: Header=BB446_13 Depth=1
	s_delay_alu instid0(SALU_CYCLE_1) | instskip(NEXT) | instid1(VALU_DEP_1)
	s_or_b32 exec_lo, exec_lo, s21
	v_mul_f32_e32 v19, v187, v19
                                        ; implicit-def: $vgpr43
	s_delay_alu instid0(VALU_DEP_1) | instskip(NEXT) | instid1(VALU_DEP_1)
	v_and_b32_e32 v35, 0x7f800000, v19
	v_cmp_ne_u32_e64 s1, 0x7f800000, v35
	s_delay_alu instid0(VALU_DEP_1) | instskip(NEXT) | instid1(SALU_CYCLE_1)
	s_and_saveexec_b32 s21, s1
	s_xor_b32 s1, exec_lo, s21
; %bb.1117:                             ;   in Loop: Header=BB446_13 Depth=1
	v_bfe_u32 v35, v19, 16, 1
	s_delay_alu instid0(VALU_DEP_1)
	v_add3_u32 v43, v19, v35, 0x7fff
                                        ; implicit-def: $vgpr19
; %bb.1118:                             ;   in Loop: Header=BB446_13 Depth=1
	s_and_not1_saveexec_b32 s21, s1
; %bb.1119:                             ;   in Loop: Header=BB446_13 Depth=1
	v_and_b32_e32 v35, 0xffff, v19
	v_or_b32_e32 v36, 0x10000, v19
	s_delay_alu instid0(VALU_DEP_2) | instskip(NEXT) | instid1(VALU_DEP_1)
	v_cmp_eq_u32_e64 s1, 0, v35
	v_cndmask_b32_e64 v43, v36, v19, s1
; %bb.1120:                             ;   in Loop: Header=BB446_13 Depth=1
	s_or_b32 exec_lo, exec_lo, s21
	v_dual_mov_b32 v19, v34 :: v_dual_and_b32 v36, 0xff, v34
	v_mov_b32_e32 v35, 0
	s_mov_b32 s21, exec_lo
	s_delay_alu instid0(VALU_DEP_2)
	v_cmpx_ne_u16_e32 0, v36
	s_cbranch_execz .LBB446_1128
; %bb.1121:                             ;   in Loop: Header=BB446_13 Depth=1
	v_bfrev_b32_e32 v35, 1
	s_mov_b32 s22, exec_lo
	v_cmpx_ne_u16_e32 0x80, v36
	s_cbranch_execz .LBB446_1127
; %bb.1122:                             ;   in Loop: Header=BB446_13 Depth=1
	v_and_b32_e32 v36, 0x7f, v34
	v_mov_b32_e32 v35, 0x7f800001
	s_mov_b32 s23, exec_lo
	s_delay_alu instid0(VALU_DEP_2)
	v_cmpx_ne_u32_e32 0x7f, v36
	s_cbranch_execz .LBB446_1126
; %bb.1123:                             ;   in Loop: Header=BB446_13 Depth=1
	v_lshrrev_b32_e32 v44, 3, v36
	v_cmp_gt_u32_e64 s1, 8, v36
	v_dual_mov_b32 v36, v20 :: v_dual_mov_b32 v35, v19
	s_delay_alu instid0(VALU_DEP_2)
	s_and_saveexec_b32 s24, s1
; %bb.1124:                             ;   in Loop: Header=BB446_13 Depth=1
	v_and_b32_e32 v35, 7, v34
	s_delay_alu instid0(VALU_DEP_1) | instskip(NEXT) | instid1(VALU_DEP_1)
	v_clz_i32_u32_e32 v35, v35
	v_min_u32_e32 v44, 32, v35
	s_delay_alu instid0(VALU_DEP_1) | instskip(SKIP_1) | instid1(VALU_DEP_2)
	v_subrev_nc_u32_e32 v35, 28, v44
	v_sub_nc_u32_e32 v44, 29, v44
	v_lshlrev_b64 v[35:36], v35, v[19:20]
; %bb.1125:                             ;   in Loop: Header=BB446_13 Depth=1
	s_or_b32 exec_lo, exec_lo, s24
	s_delay_alu instid0(VALU_DEP_1) | instskip(SKIP_2) | instid1(VALU_DEP_3)
	v_lshlrev_b32_e32 v35, 20, v35
	v_lshlrev_b32_e32 v36, 24, v19
	v_lshl_add_u32 v44, v44, 23, 0x3c000000
	v_and_b32_e32 v35, 0x700000, v35
	s_delay_alu instid0(VALU_DEP_3) | instskip(NEXT) | instid1(VALU_DEP_1)
	v_and_b32_e32 v36, 0x80000000, v36
	v_or3_b32 v35, v35, v36, v44
.LBB446_1126:                           ;   in Loop: Header=BB446_13 Depth=1
	s_or_b32 exec_lo, exec_lo, s23
.LBB446_1127:                           ;   in Loop: Header=BB446_13 Depth=1
	s_delay_alu instid0(SALU_CYCLE_1)
	s_or_b32 exec_lo, exec_lo, s22
.LBB446_1128:                           ;   in Loop: Header=BB446_13 Depth=1
	s_delay_alu instid0(SALU_CYCLE_1) | instskip(NEXT) | instid1(VALU_DEP_1)
	s_or_b32 exec_lo, exec_lo, s21
	v_mul_f32_e32 v35, v187, v35
                                        ; implicit-def: $vgpr44
	s_delay_alu instid0(VALU_DEP_1) | instskip(NEXT) | instid1(VALU_DEP_1)
	v_and_b32_e32 v36, 0x7f800000, v35
	v_cmp_ne_u32_e64 s1, 0x7f800000, v36
	s_delay_alu instid0(VALU_DEP_1) | instskip(NEXT) | instid1(SALU_CYCLE_1)
	s_and_saveexec_b32 s21, s1
	s_xor_b32 s1, exec_lo, s21
; %bb.1129:                             ;   in Loop: Header=BB446_13 Depth=1
	v_bfe_u32 v36, v35, 16, 1
	s_delay_alu instid0(VALU_DEP_1)
	v_add3_u32 v44, v35, v36, 0x7fff
                                        ; implicit-def: $vgpr35
; %bb.1130:                             ;   in Loop: Header=BB446_13 Depth=1
	s_and_not1_saveexec_b32 s21, s1
; %bb.1131:                             ;   in Loop: Header=BB446_13 Depth=1
	v_and_b32_e32 v36, 0xffff, v35
	v_or_b32_e32 v44, 0x10000, v35
	s_delay_alu instid0(VALU_DEP_2) | instskip(NEXT) | instid1(VALU_DEP_1)
	v_cmp_eq_u32_e64 s1, 0, v36
	v_cndmask_b32_e64 v44, v44, v35, s1
; %bb.1132:                             ;   in Loop: Header=BB446_13 Depth=1
	s_or_b32 exec_lo, exec_lo, s21
	v_lshrrev_b16 v36, 8, v19
	v_mov_b32_e32 v35, 0
	s_mov_b32 s21, exec_lo
	s_delay_alu instid0(VALU_DEP_2)
	v_cmpx_ne_u16_e32 0, v36
	s_cbranch_execz .LBB446_1140
; %bb.1133:                             ;   in Loop: Header=BB446_13 Depth=1
	v_bfrev_b32_e32 v35, 1
	s_mov_b32 s22, exec_lo
	v_cmpx_ne_u16_e32 0x80, v36
	s_cbranch_execz .LBB446_1139
; %bb.1134:                             ;   in Loop: Header=BB446_13 Depth=1
	v_and_b32_e32 v36, 0xffff, v36
	v_mov_b32_e32 v35, 0x7f800001
	s_mov_b32 s23, exec_lo
	s_delay_alu instid0(VALU_DEP_2) | instskip(NEXT) | instid1(VALU_DEP_1)
	v_and_b32_e32 v46, 0x7f, v36
	v_cmpx_ne_u32_e32 0x7f, v46
	s_cbranch_execz .LBB446_1138
; %bb.1135:                             ;   in Loop: Header=BB446_13 Depth=1
	v_dual_mov_b32 v36, v20 :: v_dual_and_b32 v35, 7, v36
	v_lshrrev_b32_e32 v45, 3, v46
	s_mov_b32 s24, exec_lo
	v_cmpx_gt_u32_e32 8, v46
; %bb.1136:                             ;   in Loop: Header=BB446_13 Depth=1
	s_delay_alu instid0(VALU_DEP_3) | instskip(NEXT) | instid1(VALU_DEP_1)
	v_clz_i32_u32_e32 v45, v35
	v_min_u32_e32 v45, 32, v45
	s_delay_alu instid0(VALU_DEP_1) | instskip(SKIP_1) | instid1(VALU_DEP_2)
	v_subrev_nc_u32_e32 v46, 28, v45
	v_sub_nc_u32_e32 v45, 29, v45
	v_lshlrev_b64 v[35:36], v46, v[35:36]
	s_delay_alu instid0(VALU_DEP_1)
	v_and_b32_e32 v35, 7, v35
; %bb.1137:                             ;   in Loop: Header=BB446_13 Depth=1
	s_or_b32 exec_lo, exec_lo, s24
	v_lshlrev_b32_e32 v19, 16, v19
	s_delay_alu instid0(VALU_DEP_2) | instskip(SKIP_1) | instid1(VALU_DEP_3)
	v_lshlrev_b32_e32 v35, 20, v35
	v_lshl_add_u32 v36, v45, 23, 0x3c000000
	v_and_b32_e32 v19, 0x80000000, v19
	s_delay_alu instid0(VALU_DEP_1)
	v_or3_b32 v35, v35, v19, v36
.LBB446_1138:                           ;   in Loop: Header=BB446_13 Depth=1
	s_or_b32 exec_lo, exec_lo, s23
.LBB446_1139:                           ;   in Loop: Header=BB446_13 Depth=1
	s_delay_alu instid0(SALU_CYCLE_1)
	s_or_b32 exec_lo, exec_lo, s22
.LBB446_1140:                           ;   in Loop: Header=BB446_13 Depth=1
	s_delay_alu instid0(SALU_CYCLE_1) | instskip(NEXT) | instid1(VALU_DEP_1)
	s_or_b32 exec_lo, exec_lo, s21
	v_mul_f32_e32 v19, v187, v35
                                        ; implicit-def: $vgpr45
	s_delay_alu instid0(VALU_DEP_1) | instskip(NEXT) | instid1(VALU_DEP_1)
	v_and_b32_e32 v35, 0x7f800000, v19
	v_cmp_ne_u32_e64 s1, 0x7f800000, v35
	s_delay_alu instid0(VALU_DEP_1) | instskip(NEXT) | instid1(SALU_CYCLE_1)
	s_and_saveexec_b32 s21, s1
	s_xor_b32 s1, exec_lo, s21
; %bb.1141:                             ;   in Loop: Header=BB446_13 Depth=1
	v_bfe_u32 v35, v19, 16, 1
	s_delay_alu instid0(VALU_DEP_1)
	v_add3_u32 v45, v19, v35, 0x7fff
                                        ; implicit-def: $vgpr19
; %bb.1142:                             ;   in Loop: Header=BB446_13 Depth=1
	s_and_not1_saveexec_b32 s21, s1
; %bb.1143:                             ;   in Loop: Header=BB446_13 Depth=1
	v_and_b32_e32 v35, 0xffff, v19
	v_or_b32_e32 v36, 0x10000, v19
	s_delay_alu instid0(VALU_DEP_2) | instskip(NEXT) | instid1(VALU_DEP_1)
	v_cmp_eq_u32_e64 s1, 0, v35
	v_cndmask_b32_e64 v45, v36, v19, s1
; %bb.1144:                             ;   in Loop: Header=BB446_13 Depth=1
	s_or_b32 exec_lo, exec_lo, s21
	v_lshrrev_b32_e32 v46, 16, v34
	v_mov_b32_e32 v19, 0
	s_mov_b32 s21, exec_lo
	s_delay_alu instid0(VALU_DEP_2) | instskip(NEXT) | instid1(VALU_DEP_1)
	v_and_b32_e32 v35, 0xff, v46
	v_cmpx_ne_u16_e32 0, v35
	s_cbranch_execz .LBB446_1152
; %bb.1145:                             ;   in Loop: Header=BB446_13 Depth=1
	v_bfrev_b32_e32 v19, 1
	s_mov_b32 s22, exec_lo
	v_cmpx_ne_u16_e32 0x80, v35
	s_cbranch_execz .LBB446_1151
; %bb.1146:                             ;   in Loop: Header=BB446_13 Depth=1
	v_bfe_u32 v35, v34, 16, 7
	v_mov_b32_e32 v19, 0x7f800001
	s_mov_b32 s23, exec_lo
	s_delay_alu instid0(VALU_DEP_2)
	v_cmpx_ne_u32_e32 0x7f, v35
	s_cbranch_execz .LBB446_1150
; %bb.1147:                             ;   in Loop: Header=BB446_13 Depth=1
	v_and_b32_e32 v19, 7, v46
	v_lshrrev_b32_e32 v47, 3, v35
	v_cmp_gt_u32_e64 s1, 8, v35
	s_delay_alu instid0(VALU_DEP_3) | instskip(NEXT) | instid1(VALU_DEP_2)
	v_dual_mov_b32 v36, v20 :: v_dual_mov_b32 v35, v19
	s_and_saveexec_b32 s24, s1
; %bb.1148:                             ;   in Loop: Header=BB446_13 Depth=1
	v_clz_i32_u32_e32 v35, v19
	s_delay_alu instid0(VALU_DEP_1) | instskip(NEXT) | instid1(VALU_DEP_1)
	v_min_u32_e32 v47, 32, v35
	v_subrev_nc_u32_e32 v35, 28, v47
	v_sub_nc_u32_e32 v47, 29, v47
	s_delay_alu instid0(VALU_DEP_2) | instskip(NEXT) | instid1(VALU_DEP_1)
	v_lshlrev_b64 v[35:36], v35, v[19:20]
	v_and_b32_e32 v35, 7, v35
; %bb.1149:                             ;   in Loop: Header=BB446_13 Depth=1
	s_or_b32 exec_lo, exec_lo, s24
	v_lshlrev_b32_e32 v19, 24, v46
	s_delay_alu instid0(VALU_DEP_2) | instskip(SKIP_1) | instid1(VALU_DEP_3)
	v_lshlrev_b32_e32 v35, 20, v35
	v_lshl_add_u32 v36, v47, 23, 0x3c000000
	v_and_b32_e32 v19, 0x80000000, v19
	s_delay_alu instid0(VALU_DEP_1)
	v_or3_b32 v19, v35, v19, v36
.LBB446_1150:                           ;   in Loop: Header=BB446_13 Depth=1
	s_or_b32 exec_lo, exec_lo, s23
.LBB446_1151:                           ;   in Loop: Header=BB446_13 Depth=1
	s_delay_alu instid0(SALU_CYCLE_1)
	s_or_b32 exec_lo, exec_lo, s22
.LBB446_1152:                           ;   in Loop: Header=BB446_13 Depth=1
	s_delay_alu instid0(SALU_CYCLE_1) | instskip(NEXT) | instid1(VALU_DEP_1)
	s_or_b32 exec_lo, exec_lo, s21
	v_mul_f32_e32 v19, v187, v19
                                        ; implicit-def: $vgpr46
	s_delay_alu instid0(VALU_DEP_1) | instskip(NEXT) | instid1(VALU_DEP_1)
	v_and_b32_e32 v35, 0x7f800000, v19
	v_cmp_ne_u32_e64 s1, 0x7f800000, v35
	s_delay_alu instid0(VALU_DEP_1) | instskip(NEXT) | instid1(SALU_CYCLE_1)
	s_and_saveexec_b32 s21, s1
	s_xor_b32 s1, exec_lo, s21
; %bb.1153:                             ;   in Loop: Header=BB446_13 Depth=1
	v_bfe_u32 v35, v19, 16, 1
	s_delay_alu instid0(VALU_DEP_1)
	v_add3_u32 v46, v19, v35, 0x7fff
                                        ; implicit-def: $vgpr19
; %bb.1154:                             ;   in Loop: Header=BB446_13 Depth=1
	s_and_not1_saveexec_b32 s21, s1
; %bb.1155:                             ;   in Loop: Header=BB446_13 Depth=1
	v_and_b32_e32 v35, 0xffff, v19
	v_or_b32_e32 v36, 0x10000, v19
	s_delay_alu instid0(VALU_DEP_2) | instskip(NEXT) | instid1(VALU_DEP_1)
	v_cmp_eq_u32_e64 s1, 0, v35
	v_cndmask_b32_e64 v46, v36, v19, s1
; %bb.1156:                             ;   in Loop: Header=BB446_13 Depth=1
	s_or_b32 exec_lo, exec_lo, s21
	v_mov_b32_e32 v19, 0
	s_mov_b32 s21, exec_lo
	v_cmpx_lt_u64_e64 s[16:17], v[33:34]
	s_cbranch_execz .LBB446_1164
; %bb.1157:                             ;   in Loop: Header=BB446_13 Depth=1
	v_lshrrev_b32_e32 v35, 24, v34
	v_bfrev_b32_e32 v19, 1
	s_mov_b32 s22, exec_lo
	s_delay_alu instid0(VALU_DEP_2)
	v_cmpx_ne_u32_e32 0x80, v35
	s_cbranch_execz .LBB446_1163
; %bb.1158:                             ;   in Loop: Header=BB446_13 Depth=1
	v_bfe_u32 v33, v34, 24, 7
	v_mov_b32_e32 v19, 0x7f800001
	s_mov_b32 s23, exec_lo
	s_delay_alu instid0(VALU_DEP_2)
	v_cmpx_ne_u32_e32 0x7f, v33
	s_cbranch_execz .LBB446_1162
; %bb.1159:                             ;   in Loop: Header=BB446_13 Depth=1
	v_and_b32_e32 v19, 7, v35
	v_lshrrev_b32_e32 v36, 3, v33
	v_cmp_gt_u32_e64 s1, 8, v33
	s_delay_alu instid0(VALU_DEP_3) | instskip(NEXT) | instid1(VALU_DEP_2)
	v_dual_mov_b32 v34, v20 :: v_dual_mov_b32 v33, v19
	s_and_saveexec_b32 s24, s1
; %bb.1160:                             ;   in Loop: Header=BB446_13 Depth=1
	v_clz_i32_u32_e32 v33, v19
	s_delay_alu instid0(VALU_DEP_1) | instskip(NEXT) | instid1(VALU_DEP_1)
	v_min_u32_e32 v36, 32, v33
	v_subrev_nc_u32_e32 v33, 28, v36
	v_sub_nc_u32_e32 v36, 29, v36
	s_delay_alu instid0(VALU_DEP_2) | instskip(NEXT) | instid1(VALU_DEP_1)
	v_lshlrev_b64 v[33:34], v33, v[19:20]
	v_and_b32_e32 v33, 7, v33
; %bb.1161:                             ;   in Loop: Header=BB446_13 Depth=1
	s_or_b32 exec_lo, exec_lo, s24
	v_lshlrev_b32_e32 v19, 24, v35
	s_delay_alu instid0(VALU_DEP_2) | instskip(SKIP_1) | instid1(VALU_DEP_3)
	v_lshlrev_b32_e32 v33, 20, v33
	v_lshl_add_u32 v34, v36, 23, 0x3c000000
	v_and_b32_e32 v19, 0x80000000, v19
	s_delay_alu instid0(VALU_DEP_1)
	v_or3_b32 v19, v33, v19, v34
.LBB446_1162:                           ;   in Loop: Header=BB446_13 Depth=1
	s_or_b32 exec_lo, exec_lo, s23
.LBB446_1163:                           ;   in Loop: Header=BB446_13 Depth=1
	s_delay_alu instid0(SALU_CYCLE_1)
	s_or_b32 exec_lo, exec_lo, s22
.LBB446_1164:                           ;   in Loop: Header=BB446_13 Depth=1
	s_delay_alu instid0(SALU_CYCLE_1) | instskip(NEXT) | instid1(VALU_DEP_1)
	s_or_b32 exec_lo, exec_lo, s21
	v_mul_f32_e32 v19, v187, v19
                                        ; implicit-def: $vgpr47
	s_delay_alu instid0(VALU_DEP_1) | instskip(NEXT) | instid1(VALU_DEP_1)
	v_and_b32_e32 v33, 0x7f800000, v19
	v_cmp_ne_u32_e64 s1, 0x7f800000, v33
	s_delay_alu instid0(VALU_DEP_1) | instskip(NEXT) | instid1(SALU_CYCLE_1)
	s_and_saveexec_b32 s21, s1
	s_xor_b32 s1, exec_lo, s21
; %bb.1165:                             ;   in Loop: Header=BB446_13 Depth=1
	v_bfe_u32 v33, v19, 16, 1
	s_delay_alu instid0(VALU_DEP_1)
	v_add3_u32 v47, v19, v33, 0x7fff
                                        ; implicit-def: $vgpr19
; %bb.1166:                             ;   in Loop: Header=BB446_13 Depth=1
	s_and_not1_saveexec_b32 s21, s1
; %bb.1167:                             ;   in Loop: Header=BB446_13 Depth=1
	v_and_b32_e32 v33, 0xffff, v19
	v_or_b32_e32 v34, 0x10000, v19
	s_delay_alu instid0(VALU_DEP_2) | instskip(NEXT) | instid1(VALU_DEP_1)
	v_cmp_eq_u32_e64 s1, 0, v33
	v_cndmask_b32_e64 v47, v34, v19, s1
; %bb.1168:                             ;   in Loop: Header=BB446_13 Depth=1
	s_or_b32 exec_lo, exec_lo, s21
	flat_load_b64 v[33:34], v[31:32] offset:3072
	v_mov_b32_e32 v19, 0
	s_mov_b32 s21, exec_lo
	s_waitcnt vmcnt(0) lgkmcnt(0)
	v_and_b32_e32 v35, 0xff, v33
	s_delay_alu instid0(VALU_DEP_1)
	v_cmpx_ne_u16_e32 0, v35
	s_cbranch_execz .LBB446_1176
; %bb.1169:                             ;   in Loop: Header=BB446_13 Depth=1
	v_bfrev_b32_e32 v19, 1
	s_mov_b32 s22, exec_lo
	v_cmpx_ne_u16_e32 0x80, v35
	s_cbranch_execz .LBB446_1175
; %bb.1170:                             ;   in Loop: Header=BB446_13 Depth=1
	v_and_b32_e32 v35, 0x7f, v33
	v_mov_b32_e32 v19, 0x7f800001
	s_mov_b32 s23, exec_lo
	s_delay_alu instid0(VALU_DEP_2)
	v_cmpx_ne_u32_e32 0x7f, v35
	s_cbranch_execz .LBB446_1174
; %bb.1171:                             ;   in Loop: Header=BB446_13 Depth=1
	v_lshrrev_b32_e32 v19, 3, v35
	v_cmp_gt_u32_e64 s1, 8, v35
	v_dual_mov_b32 v36, v34 :: v_dual_mov_b32 v35, v33
	s_delay_alu instid0(VALU_DEP_2)
	s_and_saveexec_b32 s24, s1
; %bb.1172:                             ;   in Loop: Header=BB446_13 Depth=1
	v_and_b32_e32 v19, 7, v33
	s_delay_alu instid0(VALU_DEP_1) | instskip(NEXT) | instid1(VALU_DEP_1)
	v_clz_i32_u32_e32 v19, v19
	v_min_u32_e32 v19, 32, v19
	s_delay_alu instid0(VALU_DEP_1) | instskip(SKIP_1) | instid1(VALU_DEP_2)
	v_subrev_nc_u32_e32 v35, 28, v19
	v_sub_nc_u32_e32 v19, 29, v19
	v_lshlrev_b64 v[35:36], v35, v[33:34]
; %bb.1173:                             ;   in Loop: Header=BB446_13 Depth=1
	s_or_b32 exec_lo, exec_lo, s24
	s_delay_alu instid0(VALU_DEP_1) | instskip(SKIP_2) | instid1(VALU_DEP_3)
	v_lshlrev_b32_e32 v35, 20, v35
	v_lshlrev_b32_e32 v36, 24, v33
	v_lshl_add_u32 v19, v19, 23, 0x3c000000
	v_and_b32_e32 v35, 0x700000, v35
	s_delay_alu instid0(VALU_DEP_3) | instskip(NEXT) | instid1(VALU_DEP_1)
	v_and_b32_e32 v36, 0x80000000, v36
	v_or3_b32 v19, v35, v36, v19
.LBB446_1174:                           ;   in Loop: Header=BB446_13 Depth=1
	s_or_b32 exec_lo, exec_lo, s23
.LBB446_1175:                           ;   in Loop: Header=BB446_13 Depth=1
	s_delay_alu instid0(SALU_CYCLE_1)
	s_or_b32 exec_lo, exec_lo, s22
.LBB446_1176:                           ;   in Loop: Header=BB446_13 Depth=1
	s_delay_alu instid0(SALU_CYCLE_1) | instskip(NEXT) | instid1(VALU_DEP_1)
	s_or_b32 exec_lo, exec_lo, s21
	v_mul_f32_e32 v19, v187, v19
                                        ; implicit-def: $vgpr56
	s_delay_alu instid0(VALU_DEP_1) | instskip(NEXT) | instid1(VALU_DEP_1)
	v_and_b32_e32 v35, 0x7f800000, v19
	v_cmp_ne_u32_e64 s1, 0x7f800000, v35
	s_delay_alu instid0(VALU_DEP_1) | instskip(NEXT) | instid1(SALU_CYCLE_1)
	s_and_saveexec_b32 s21, s1
	s_xor_b32 s1, exec_lo, s21
; %bb.1177:                             ;   in Loop: Header=BB446_13 Depth=1
	v_bfe_u32 v35, v19, 16, 1
	s_delay_alu instid0(VALU_DEP_1)
	v_add3_u32 v56, v19, v35, 0x7fff
                                        ; implicit-def: $vgpr19
; %bb.1178:                             ;   in Loop: Header=BB446_13 Depth=1
	s_and_not1_saveexec_b32 s21, s1
; %bb.1179:                             ;   in Loop: Header=BB446_13 Depth=1
	v_and_b32_e32 v35, 0xffff, v19
	v_or_b32_e32 v36, 0x10000, v19
	s_delay_alu instid0(VALU_DEP_2) | instskip(NEXT) | instid1(VALU_DEP_1)
	v_cmp_eq_u32_e64 s1, 0, v35
	v_cndmask_b32_e64 v56, v36, v19, s1
; %bb.1180:                             ;   in Loop: Header=BB446_13 Depth=1
	s_or_b32 exec_lo, exec_lo, s21
	v_lshrrev_b16 v35, 8, v33
	v_mov_b32_e32 v19, 0
	s_mov_b32 s21, exec_lo
	s_delay_alu instid0(VALU_DEP_2)
	v_cmpx_ne_u16_e32 0, v35
	s_cbranch_execz .LBB446_1188
; %bb.1181:                             ;   in Loop: Header=BB446_13 Depth=1
	v_bfrev_b32_e32 v19, 1
	s_mov_b32 s22, exec_lo
	v_cmpx_ne_u16_e32 0x80, v35
	s_cbranch_execz .LBB446_1187
; %bb.1182:                             ;   in Loop: Header=BB446_13 Depth=1
	v_and_b32_e32 v36, 0xffff, v35
	v_mov_b32_e32 v19, 0x7f800001
	s_mov_b32 s23, exec_lo
	s_delay_alu instid0(VALU_DEP_2) | instskip(NEXT) | instid1(VALU_DEP_1)
	v_and_b32_e32 v35, 0x7f, v36
	v_cmpx_ne_u32_e32 0x7f, v35
	s_cbranch_execz .LBB446_1186
; %bb.1183:                             ;   in Loop: Header=BB446_13 Depth=1
	v_and_b32_e32 v19, 7, v36
	v_lshrrev_b32_e32 v57, 3, v35
	v_cmp_gt_u32_e64 s1, 8, v35
	s_delay_alu instid0(VALU_DEP_3) | instskip(NEXT) | instid1(VALU_DEP_2)
	v_dual_mov_b32 v36, v20 :: v_dual_mov_b32 v35, v19
	s_and_saveexec_b32 s24, s1
; %bb.1184:                             ;   in Loop: Header=BB446_13 Depth=1
	v_clz_i32_u32_e32 v35, v19
	s_delay_alu instid0(VALU_DEP_1) | instskip(NEXT) | instid1(VALU_DEP_1)
	v_min_u32_e32 v57, 32, v35
	v_subrev_nc_u32_e32 v35, 28, v57
	v_sub_nc_u32_e32 v57, 29, v57
	s_delay_alu instid0(VALU_DEP_2) | instskip(NEXT) | instid1(VALU_DEP_1)
	v_lshlrev_b64 v[35:36], v35, v[19:20]
	v_and_b32_e32 v35, 7, v35
; %bb.1185:                             ;   in Loop: Header=BB446_13 Depth=1
	s_or_b32 exec_lo, exec_lo, s24
	v_lshlrev_b32_e32 v19, 16, v33
	s_delay_alu instid0(VALU_DEP_2) | instskip(SKIP_1) | instid1(VALU_DEP_3)
	v_lshlrev_b32_e32 v35, 20, v35
	v_lshl_add_u32 v36, v57, 23, 0x3c000000
	v_and_b32_e32 v19, 0x80000000, v19
	s_delay_alu instid0(VALU_DEP_1)
	v_or3_b32 v19, v35, v19, v36
.LBB446_1186:                           ;   in Loop: Header=BB446_13 Depth=1
	s_or_b32 exec_lo, exec_lo, s23
.LBB446_1187:                           ;   in Loop: Header=BB446_13 Depth=1
	s_delay_alu instid0(SALU_CYCLE_1)
	s_or_b32 exec_lo, exec_lo, s22
.LBB446_1188:                           ;   in Loop: Header=BB446_13 Depth=1
	s_delay_alu instid0(SALU_CYCLE_1) | instskip(NEXT) | instid1(VALU_DEP_1)
	s_or_b32 exec_lo, exec_lo, s21
	v_mul_f32_e32 v19, v187, v19
                                        ; implicit-def: $vgpr57
	s_delay_alu instid0(VALU_DEP_1) | instskip(NEXT) | instid1(VALU_DEP_1)
	v_and_b32_e32 v35, 0x7f800000, v19
	v_cmp_ne_u32_e64 s1, 0x7f800000, v35
	s_delay_alu instid0(VALU_DEP_1) | instskip(NEXT) | instid1(SALU_CYCLE_1)
	s_and_saveexec_b32 s21, s1
	s_xor_b32 s1, exec_lo, s21
; %bb.1189:                             ;   in Loop: Header=BB446_13 Depth=1
	v_bfe_u32 v35, v19, 16, 1
	s_delay_alu instid0(VALU_DEP_1)
	v_add3_u32 v57, v19, v35, 0x7fff
                                        ; implicit-def: $vgpr19
; %bb.1190:                             ;   in Loop: Header=BB446_13 Depth=1
	s_and_not1_saveexec_b32 s21, s1
; %bb.1191:                             ;   in Loop: Header=BB446_13 Depth=1
	v_and_b32_e32 v35, 0xffff, v19
	v_or_b32_e32 v36, 0x10000, v19
	s_delay_alu instid0(VALU_DEP_2) | instskip(NEXT) | instid1(VALU_DEP_1)
	v_cmp_eq_u32_e64 s1, 0, v35
	v_cndmask_b32_e64 v57, v36, v19, s1
; %bb.1192:                             ;   in Loop: Header=BB446_13 Depth=1
	s_or_b32 exec_lo, exec_lo, s21
	v_lshrrev_b32_e32 v58, 16, v33
	v_mov_b32_e32 v19, 0
	s_mov_b32 s21, exec_lo
	s_delay_alu instid0(VALU_DEP_2) | instskip(NEXT) | instid1(VALU_DEP_1)
	v_and_b32_e32 v35, 0xff, v58
	v_cmpx_ne_u16_e32 0, v35
	s_cbranch_execz .LBB446_1200
; %bb.1193:                             ;   in Loop: Header=BB446_13 Depth=1
	v_bfrev_b32_e32 v19, 1
	s_mov_b32 s22, exec_lo
	v_cmpx_ne_u16_e32 0x80, v35
	s_cbranch_execz .LBB446_1199
; %bb.1194:                             ;   in Loop: Header=BB446_13 Depth=1
	v_bfe_u32 v35, v33, 16, 7
	v_mov_b32_e32 v19, 0x7f800001
	s_mov_b32 s23, exec_lo
	s_delay_alu instid0(VALU_DEP_2)
	v_cmpx_ne_u32_e32 0x7f, v35
	s_cbranch_execz .LBB446_1198
; %bb.1195:                             ;   in Loop: Header=BB446_13 Depth=1
	v_and_b32_e32 v19, 7, v58
	v_lshrrev_b32_e32 v59, 3, v35
	v_cmp_gt_u32_e64 s1, 8, v35
	s_delay_alu instid0(VALU_DEP_3) | instskip(NEXT) | instid1(VALU_DEP_2)
	v_dual_mov_b32 v36, v20 :: v_dual_mov_b32 v35, v19
	s_and_saveexec_b32 s24, s1
; %bb.1196:                             ;   in Loop: Header=BB446_13 Depth=1
	v_clz_i32_u32_e32 v35, v19
	s_delay_alu instid0(VALU_DEP_1) | instskip(NEXT) | instid1(VALU_DEP_1)
	v_min_u32_e32 v59, 32, v35
	v_subrev_nc_u32_e32 v35, 28, v59
	v_sub_nc_u32_e32 v59, 29, v59
	s_delay_alu instid0(VALU_DEP_2) | instskip(NEXT) | instid1(VALU_DEP_1)
	v_lshlrev_b64 v[35:36], v35, v[19:20]
	v_and_b32_e32 v35, 7, v35
; %bb.1197:                             ;   in Loop: Header=BB446_13 Depth=1
	s_or_b32 exec_lo, exec_lo, s24
	v_lshlrev_b32_e32 v19, 24, v58
	s_delay_alu instid0(VALU_DEP_2) | instskip(SKIP_1) | instid1(VALU_DEP_3)
	v_lshlrev_b32_e32 v35, 20, v35
	v_lshl_add_u32 v36, v59, 23, 0x3c000000
	v_and_b32_e32 v19, 0x80000000, v19
	s_delay_alu instid0(VALU_DEP_1)
	v_or3_b32 v19, v35, v19, v36
.LBB446_1198:                           ;   in Loop: Header=BB446_13 Depth=1
	s_or_b32 exec_lo, exec_lo, s23
.LBB446_1199:                           ;   in Loop: Header=BB446_13 Depth=1
	s_delay_alu instid0(SALU_CYCLE_1)
	s_or_b32 exec_lo, exec_lo, s22
.LBB446_1200:                           ;   in Loop: Header=BB446_13 Depth=1
	s_delay_alu instid0(SALU_CYCLE_1) | instskip(NEXT) | instid1(VALU_DEP_1)
	s_or_b32 exec_lo, exec_lo, s21
	v_mul_f32_e32 v19, v187, v19
                                        ; implicit-def: $vgpr58
	s_delay_alu instid0(VALU_DEP_1) | instskip(NEXT) | instid1(VALU_DEP_1)
	v_and_b32_e32 v35, 0x7f800000, v19
	v_cmp_ne_u32_e64 s1, 0x7f800000, v35
	s_delay_alu instid0(VALU_DEP_1) | instskip(NEXT) | instid1(SALU_CYCLE_1)
	s_and_saveexec_b32 s21, s1
	s_xor_b32 s1, exec_lo, s21
; %bb.1201:                             ;   in Loop: Header=BB446_13 Depth=1
	v_bfe_u32 v35, v19, 16, 1
	s_delay_alu instid0(VALU_DEP_1)
	v_add3_u32 v58, v19, v35, 0x7fff
                                        ; implicit-def: $vgpr19
; %bb.1202:                             ;   in Loop: Header=BB446_13 Depth=1
	s_and_not1_saveexec_b32 s21, s1
; %bb.1203:                             ;   in Loop: Header=BB446_13 Depth=1
	v_and_b32_e32 v35, 0xffff, v19
	v_or_b32_e32 v36, 0x10000, v19
	s_delay_alu instid0(VALU_DEP_2) | instskip(NEXT) | instid1(VALU_DEP_1)
	v_cmp_eq_u32_e64 s1, 0, v35
	v_cndmask_b32_e64 v58, v36, v19, s1
; %bb.1204:                             ;   in Loop: Header=BB446_13 Depth=1
	s_or_b32 exec_lo, exec_lo, s21
	v_mov_b32_e32 v19, 0
	s_mov_b32 s21, exec_lo
	v_cmpx_lt_u32_e32 0xffffff, v33
	s_cbranch_execz .LBB446_1212
; %bb.1205:                             ;   in Loop: Header=BB446_13 Depth=1
	v_lshrrev_b32_e32 v59, 24, v33
	v_bfrev_b32_e32 v19, 1
	s_mov_b32 s22, exec_lo
	s_delay_alu instid0(VALU_DEP_2)
	v_cmpx_ne_u32_e32 0x80, v59
	s_cbranch_execz .LBB446_1211
; %bb.1206:                             ;   in Loop: Header=BB446_13 Depth=1
	v_bfe_u32 v35, v33, 24, 7
	v_mov_b32_e32 v19, 0x7f800001
	s_mov_b32 s23, exec_lo
	s_delay_alu instid0(VALU_DEP_2)
	v_cmpx_ne_u32_e32 0x7f, v35
	s_cbranch_execz .LBB446_1210
; %bb.1207:                             ;   in Loop: Header=BB446_13 Depth=1
	v_and_b32_e32 v19, 7, v59
	v_lshrrev_b32_e32 v60, 3, v35
	v_cmp_gt_u32_e64 s1, 8, v35
	s_delay_alu instid0(VALU_DEP_3) | instskip(NEXT) | instid1(VALU_DEP_2)
	v_dual_mov_b32 v36, v20 :: v_dual_mov_b32 v35, v19
	s_and_saveexec_b32 s24, s1
; %bb.1208:                             ;   in Loop: Header=BB446_13 Depth=1
	v_clz_i32_u32_e32 v35, v19
	s_delay_alu instid0(VALU_DEP_1) | instskip(NEXT) | instid1(VALU_DEP_1)
	v_min_u32_e32 v60, 32, v35
	v_subrev_nc_u32_e32 v35, 28, v60
	v_sub_nc_u32_e32 v60, 29, v60
	s_delay_alu instid0(VALU_DEP_2) | instskip(NEXT) | instid1(VALU_DEP_1)
	v_lshlrev_b64 v[35:36], v35, v[19:20]
	v_and_b32_e32 v35, 7, v35
; %bb.1209:                             ;   in Loop: Header=BB446_13 Depth=1
	s_or_b32 exec_lo, exec_lo, s24
	v_lshlrev_b32_e32 v19, 24, v59
	s_delay_alu instid0(VALU_DEP_2) | instskip(SKIP_1) | instid1(VALU_DEP_3)
	v_lshlrev_b32_e32 v35, 20, v35
	v_lshl_add_u32 v36, v60, 23, 0x3c000000
	v_and_b32_e32 v19, 0x80000000, v19
	s_delay_alu instid0(VALU_DEP_1)
	v_or3_b32 v19, v35, v19, v36
.LBB446_1210:                           ;   in Loop: Header=BB446_13 Depth=1
	s_or_b32 exec_lo, exec_lo, s23
.LBB446_1211:                           ;   in Loop: Header=BB446_13 Depth=1
	s_delay_alu instid0(SALU_CYCLE_1)
	s_or_b32 exec_lo, exec_lo, s22
.LBB446_1212:                           ;   in Loop: Header=BB446_13 Depth=1
	s_delay_alu instid0(SALU_CYCLE_1) | instskip(NEXT) | instid1(VALU_DEP_1)
	s_or_b32 exec_lo, exec_lo, s21
	v_mul_f32_e32 v19, v187, v19
                                        ; implicit-def: $vgpr59
	s_delay_alu instid0(VALU_DEP_1) | instskip(NEXT) | instid1(VALU_DEP_1)
	v_and_b32_e32 v35, 0x7f800000, v19
	v_cmp_ne_u32_e64 s1, 0x7f800000, v35
	s_delay_alu instid0(VALU_DEP_1) | instskip(NEXT) | instid1(SALU_CYCLE_1)
	s_and_saveexec_b32 s21, s1
	s_xor_b32 s1, exec_lo, s21
; %bb.1213:                             ;   in Loop: Header=BB446_13 Depth=1
	v_bfe_u32 v35, v19, 16, 1
	s_delay_alu instid0(VALU_DEP_1)
	v_add3_u32 v59, v19, v35, 0x7fff
                                        ; implicit-def: $vgpr19
; %bb.1214:                             ;   in Loop: Header=BB446_13 Depth=1
	s_and_not1_saveexec_b32 s21, s1
; %bb.1215:                             ;   in Loop: Header=BB446_13 Depth=1
	v_and_b32_e32 v35, 0xffff, v19
	v_or_b32_e32 v36, 0x10000, v19
	s_delay_alu instid0(VALU_DEP_2) | instskip(NEXT) | instid1(VALU_DEP_1)
	v_cmp_eq_u32_e64 s1, 0, v35
	v_cndmask_b32_e64 v59, v36, v19, s1
; %bb.1216:                             ;   in Loop: Header=BB446_13 Depth=1
	s_or_b32 exec_lo, exec_lo, s21
	v_dual_mov_b32 v19, v34 :: v_dual_and_b32 v36, 0xff, v34
	v_mov_b32_e32 v35, 0
	s_mov_b32 s21, exec_lo
	s_delay_alu instid0(VALU_DEP_2)
	v_cmpx_ne_u16_e32 0, v36
	s_cbranch_execz .LBB446_1224
; %bb.1217:                             ;   in Loop: Header=BB446_13 Depth=1
	v_bfrev_b32_e32 v35, 1
	s_mov_b32 s22, exec_lo
	v_cmpx_ne_u16_e32 0x80, v36
	s_cbranch_execz .LBB446_1223
; %bb.1218:                             ;   in Loop: Header=BB446_13 Depth=1
	v_and_b32_e32 v36, 0x7f, v34
	v_mov_b32_e32 v35, 0x7f800001
	s_mov_b32 s23, exec_lo
	s_delay_alu instid0(VALU_DEP_2)
	v_cmpx_ne_u32_e32 0x7f, v36
	s_cbranch_execz .LBB446_1222
; %bb.1219:                             ;   in Loop: Header=BB446_13 Depth=1
	v_lshrrev_b32_e32 v60, 3, v36
	v_cmp_gt_u32_e64 s1, 8, v36
	v_dual_mov_b32 v36, v20 :: v_dual_mov_b32 v35, v19
	s_delay_alu instid0(VALU_DEP_2)
	s_and_saveexec_b32 s24, s1
; %bb.1220:                             ;   in Loop: Header=BB446_13 Depth=1
	v_and_b32_e32 v35, 7, v34
	s_delay_alu instid0(VALU_DEP_1) | instskip(NEXT) | instid1(VALU_DEP_1)
	v_clz_i32_u32_e32 v35, v35
	v_min_u32_e32 v60, 32, v35
	s_delay_alu instid0(VALU_DEP_1) | instskip(SKIP_1) | instid1(VALU_DEP_2)
	v_subrev_nc_u32_e32 v35, 28, v60
	v_sub_nc_u32_e32 v60, 29, v60
	v_lshlrev_b64 v[35:36], v35, v[19:20]
; %bb.1221:                             ;   in Loop: Header=BB446_13 Depth=1
	s_or_b32 exec_lo, exec_lo, s24
	s_delay_alu instid0(VALU_DEP_1) | instskip(SKIP_2) | instid1(VALU_DEP_3)
	v_lshlrev_b32_e32 v35, 20, v35
	v_lshlrev_b32_e32 v36, 24, v19
	v_lshl_add_u32 v60, v60, 23, 0x3c000000
	v_and_b32_e32 v35, 0x700000, v35
	s_delay_alu instid0(VALU_DEP_3) | instskip(NEXT) | instid1(VALU_DEP_1)
	v_and_b32_e32 v36, 0x80000000, v36
	v_or3_b32 v35, v35, v36, v60
.LBB446_1222:                           ;   in Loop: Header=BB446_13 Depth=1
	s_or_b32 exec_lo, exec_lo, s23
.LBB446_1223:                           ;   in Loop: Header=BB446_13 Depth=1
	s_delay_alu instid0(SALU_CYCLE_1)
	s_or_b32 exec_lo, exec_lo, s22
.LBB446_1224:                           ;   in Loop: Header=BB446_13 Depth=1
	s_delay_alu instid0(SALU_CYCLE_1) | instskip(NEXT) | instid1(VALU_DEP_1)
	s_or_b32 exec_lo, exec_lo, s21
	v_mul_f32_e32 v35, v187, v35
                                        ; implicit-def: $vgpr60
	s_delay_alu instid0(VALU_DEP_1) | instskip(NEXT) | instid1(VALU_DEP_1)
	v_and_b32_e32 v36, 0x7f800000, v35
	v_cmp_ne_u32_e64 s1, 0x7f800000, v36
	s_delay_alu instid0(VALU_DEP_1) | instskip(NEXT) | instid1(SALU_CYCLE_1)
	s_and_saveexec_b32 s21, s1
	s_xor_b32 s1, exec_lo, s21
; %bb.1225:                             ;   in Loop: Header=BB446_13 Depth=1
	v_bfe_u32 v36, v35, 16, 1
	s_delay_alu instid0(VALU_DEP_1)
	v_add3_u32 v60, v35, v36, 0x7fff
                                        ; implicit-def: $vgpr35
; %bb.1226:                             ;   in Loop: Header=BB446_13 Depth=1
	s_and_not1_saveexec_b32 s21, s1
; %bb.1227:                             ;   in Loop: Header=BB446_13 Depth=1
	v_and_b32_e32 v36, 0xffff, v35
	v_or_b32_e32 v60, 0x10000, v35
	s_delay_alu instid0(VALU_DEP_2) | instskip(NEXT) | instid1(VALU_DEP_1)
	v_cmp_eq_u32_e64 s1, 0, v36
	v_cndmask_b32_e64 v60, v60, v35, s1
; %bb.1228:                             ;   in Loop: Header=BB446_13 Depth=1
	s_or_b32 exec_lo, exec_lo, s21
	v_lshrrev_b16 v36, 8, v19
	v_mov_b32_e32 v35, 0
	s_mov_b32 s21, exec_lo
	s_delay_alu instid0(VALU_DEP_2)
	v_cmpx_ne_u16_e32 0, v36
	s_cbranch_execz .LBB446_1236
; %bb.1229:                             ;   in Loop: Header=BB446_13 Depth=1
	v_bfrev_b32_e32 v35, 1
	s_mov_b32 s22, exec_lo
	v_cmpx_ne_u16_e32 0x80, v36
	s_cbranch_execz .LBB446_1235
; %bb.1230:                             ;   in Loop: Header=BB446_13 Depth=1
	v_and_b32_e32 v36, 0xffff, v36
	v_mov_b32_e32 v35, 0x7f800001
	s_mov_b32 s23, exec_lo
	s_delay_alu instid0(VALU_DEP_2) | instskip(NEXT) | instid1(VALU_DEP_1)
	v_and_b32_e32 v62, 0x7f, v36
	v_cmpx_ne_u32_e32 0x7f, v62
	s_cbranch_execz .LBB446_1234
; %bb.1231:                             ;   in Loop: Header=BB446_13 Depth=1
	v_dual_mov_b32 v36, v20 :: v_dual_and_b32 v35, 7, v36
	v_lshrrev_b32_e32 v61, 3, v62
	s_mov_b32 s24, exec_lo
	v_cmpx_gt_u32_e32 8, v62
; %bb.1232:                             ;   in Loop: Header=BB446_13 Depth=1
	s_delay_alu instid0(VALU_DEP_3) | instskip(NEXT) | instid1(VALU_DEP_1)
	v_clz_i32_u32_e32 v61, v35
	v_min_u32_e32 v61, 32, v61
	s_delay_alu instid0(VALU_DEP_1) | instskip(SKIP_1) | instid1(VALU_DEP_2)
	v_subrev_nc_u32_e32 v62, 28, v61
	v_sub_nc_u32_e32 v61, 29, v61
	v_lshlrev_b64 v[35:36], v62, v[35:36]
	s_delay_alu instid0(VALU_DEP_1)
	v_and_b32_e32 v35, 7, v35
; %bb.1233:                             ;   in Loop: Header=BB446_13 Depth=1
	s_or_b32 exec_lo, exec_lo, s24
	v_lshlrev_b32_e32 v19, 16, v19
	s_delay_alu instid0(VALU_DEP_2) | instskip(SKIP_1) | instid1(VALU_DEP_3)
	v_lshlrev_b32_e32 v35, 20, v35
	v_lshl_add_u32 v36, v61, 23, 0x3c000000
	v_and_b32_e32 v19, 0x80000000, v19
	s_delay_alu instid0(VALU_DEP_1)
	v_or3_b32 v35, v35, v19, v36
.LBB446_1234:                           ;   in Loop: Header=BB446_13 Depth=1
	s_or_b32 exec_lo, exec_lo, s23
.LBB446_1235:                           ;   in Loop: Header=BB446_13 Depth=1
	s_delay_alu instid0(SALU_CYCLE_1)
	s_or_b32 exec_lo, exec_lo, s22
.LBB446_1236:                           ;   in Loop: Header=BB446_13 Depth=1
	s_delay_alu instid0(SALU_CYCLE_1) | instskip(NEXT) | instid1(VALU_DEP_1)
	s_or_b32 exec_lo, exec_lo, s21
	v_mul_f32_e32 v19, v187, v35
                                        ; implicit-def: $vgpr61
	s_delay_alu instid0(VALU_DEP_1) | instskip(NEXT) | instid1(VALU_DEP_1)
	v_and_b32_e32 v35, 0x7f800000, v19
	v_cmp_ne_u32_e64 s1, 0x7f800000, v35
	s_delay_alu instid0(VALU_DEP_1) | instskip(NEXT) | instid1(SALU_CYCLE_1)
	s_and_saveexec_b32 s21, s1
	s_xor_b32 s1, exec_lo, s21
; %bb.1237:                             ;   in Loop: Header=BB446_13 Depth=1
	v_bfe_u32 v35, v19, 16, 1
	s_delay_alu instid0(VALU_DEP_1)
	v_add3_u32 v61, v19, v35, 0x7fff
                                        ; implicit-def: $vgpr19
; %bb.1238:                             ;   in Loop: Header=BB446_13 Depth=1
	s_and_not1_saveexec_b32 s21, s1
; %bb.1239:                             ;   in Loop: Header=BB446_13 Depth=1
	v_and_b32_e32 v35, 0xffff, v19
	v_or_b32_e32 v36, 0x10000, v19
	s_delay_alu instid0(VALU_DEP_2) | instskip(NEXT) | instid1(VALU_DEP_1)
	v_cmp_eq_u32_e64 s1, 0, v35
	v_cndmask_b32_e64 v61, v36, v19, s1
; %bb.1240:                             ;   in Loop: Header=BB446_13 Depth=1
	s_or_b32 exec_lo, exec_lo, s21
	v_lshrrev_b32_e32 v62, 16, v34
	v_mov_b32_e32 v19, 0
	s_mov_b32 s21, exec_lo
	s_delay_alu instid0(VALU_DEP_2) | instskip(NEXT) | instid1(VALU_DEP_1)
	v_and_b32_e32 v35, 0xff, v62
	v_cmpx_ne_u16_e32 0, v35
	s_cbranch_execz .LBB446_1248
; %bb.1241:                             ;   in Loop: Header=BB446_13 Depth=1
	v_bfrev_b32_e32 v19, 1
	s_mov_b32 s22, exec_lo
	v_cmpx_ne_u16_e32 0x80, v35
	s_cbranch_execz .LBB446_1247
; %bb.1242:                             ;   in Loop: Header=BB446_13 Depth=1
	v_bfe_u32 v35, v34, 16, 7
	v_mov_b32_e32 v19, 0x7f800001
	s_mov_b32 s23, exec_lo
	s_delay_alu instid0(VALU_DEP_2)
	v_cmpx_ne_u32_e32 0x7f, v35
	s_cbranch_execz .LBB446_1246
; %bb.1243:                             ;   in Loop: Header=BB446_13 Depth=1
	v_and_b32_e32 v19, 7, v62
	v_lshrrev_b32_e32 v63, 3, v35
	v_cmp_gt_u32_e64 s1, 8, v35
	s_delay_alu instid0(VALU_DEP_3) | instskip(NEXT) | instid1(VALU_DEP_2)
	v_dual_mov_b32 v36, v20 :: v_dual_mov_b32 v35, v19
	s_and_saveexec_b32 s24, s1
; %bb.1244:                             ;   in Loop: Header=BB446_13 Depth=1
	v_clz_i32_u32_e32 v35, v19
	s_delay_alu instid0(VALU_DEP_1) | instskip(NEXT) | instid1(VALU_DEP_1)
	v_min_u32_e32 v63, 32, v35
	v_subrev_nc_u32_e32 v35, 28, v63
	v_sub_nc_u32_e32 v63, 29, v63
	s_delay_alu instid0(VALU_DEP_2) | instskip(NEXT) | instid1(VALU_DEP_1)
	v_lshlrev_b64 v[35:36], v35, v[19:20]
	v_and_b32_e32 v35, 7, v35
; %bb.1245:                             ;   in Loop: Header=BB446_13 Depth=1
	s_or_b32 exec_lo, exec_lo, s24
	v_lshlrev_b32_e32 v19, 24, v62
	s_delay_alu instid0(VALU_DEP_2) | instskip(SKIP_1) | instid1(VALU_DEP_3)
	v_lshlrev_b32_e32 v35, 20, v35
	v_lshl_add_u32 v36, v63, 23, 0x3c000000
	v_and_b32_e32 v19, 0x80000000, v19
	s_delay_alu instid0(VALU_DEP_1)
	v_or3_b32 v19, v35, v19, v36
.LBB446_1246:                           ;   in Loop: Header=BB446_13 Depth=1
	s_or_b32 exec_lo, exec_lo, s23
.LBB446_1247:                           ;   in Loop: Header=BB446_13 Depth=1
	s_delay_alu instid0(SALU_CYCLE_1)
	s_or_b32 exec_lo, exec_lo, s22
.LBB446_1248:                           ;   in Loop: Header=BB446_13 Depth=1
	s_delay_alu instid0(SALU_CYCLE_1) | instskip(NEXT) | instid1(VALU_DEP_1)
	s_or_b32 exec_lo, exec_lo, s21
	v_mul_f32_e32 v19, v187, v19
                                        ; implicit-def: $vgpr62
	s_delay_alu instid0(VALU_DEP_1) | instskip(NEXT) | instid1(VALU_DEP_1)
	v_and_b32_e32 v35, 0x7f800000, v19
	v_cmp_ne_u32_e64 s1, 0x7f800000, v35
	s_delay_alu instid0(VALU_DEP_1) | instskip(NEXT) | instid1(SALU_CYCLE_1)
	s_and_saveexec_b32 s21, s1
	s_xor_b32 s1, exec_lo, s21
; %bb.1249:                             ;   in Loop: Header=BB446_13 Depth=1
	v_bfe_u32 v35, v19, 16, 1
	s_delay_alu instid0(VALU_DEP_1)
	v_add3_u32 v62, v19, v35, 0x7fff
                                        ; implicit-def: $vgpr19
; %bb.1250:                             ;   in Loop: Header=BB446_13 Depth=1
	s_and_not1_saveexec_b32 s21, s1
; %bb.1251:                             ;   in Loop: Header=BB446_13 Depth=1
	v_and_b32_e32 v35, 0xffff, v19
	v_or_b32_e32 v36, 0x10000, v19
	s_delay_alu instid0(VALU_DEP_2) | instskip(NEXT) | instid1(VALU_DEP_1)
	v_cmp_eq_u32_e64 s1, 0, v35
	v_cndmask_b32_e64 v62, v36, v19, s1
; %bb.1252:                             ;   in Loop: Header=BB446_13 Depth=1
	s_or_b32 exec_lo, exec_lo, s21
	v_mov_b32_e32 v19, 0
	s_mov_b32 s21, exec_lo
	v_cmpx_lt_u64_e64 s[16:17], v[33:34]
	s_cbranch_execz .LBB446_1260
; %bb.1253:                             ;   in Loop: Header=BB446_13 Depth=1
	v_lshrrev_b32_e32 v35, 24, v34
	v_bfrev_b32_e32 v19, 1
	s_mov_b32 s22, exec_lo
	s_delay_alu instid0(VALU_DEP_2)
	v_cmpx_ne_u32_e32 0x80, v35
	s_cbranch_execz .LBB446_1259
; %bb.1254:                             ;   in Loop: Header=BB446_13 Depth=1
	v_bfe_u32 v33, v34, 24, 7
	v_mov_b32_e32 v19, 0x7f800001
	s_mov_b32 s23, exec_lo
	s_delay_alu instid0(VALU_DEP_2)
	v_cmpx_ne_u32_e32 0x7f, v33
	s_cbranch_execz .LBB446_1258
; %bb.1255:                             ;   in Loop: Header=BB446_13 Depth=1
	v_and_b32_e32 v19, 7, v35
	v_lshrrev_b32_e32 v36, 3, v33
	v_cmp_gt_u32_e64 s1, 8, v33
	s_delay_alu instid0(VALU_DEP_3) | instskip(NEXT) | instid1(VALU_DEP_2)
	v_dual_mov_b32 v34, v20 :: v_dual_mov_b32 v33, v19
	s_and_saveexec_b32 s24, s1
; %bb.1256:                             ;   in Loop: Header=BB446_13 Depth=1
	v_clz_i32_u32_e32 v33, v19
	s_delay_alu instid0(VALU_DEP_1) | instskip(NEXT) | instid1(VALU_DEP_1)
	v_min_u32_e32 v36, 32, v33
	v_subrev_nc_u32_e32 v33, 28, v36
	v_sub_nc_u32_e32 v36, 29, v36
	s_delay_alu instid0(VALU_DEP_2) | instskip(NEXT) | instid1(VALU_DEP_1)
	v_lshlrev_b64 v[33:34], v33, v[19:20]
	v_and_b32_e32 v33, 7, v33
; %bb.1257:                             ;   in Loop: Header=BB446_13 Depth=1
	s_or_b32 exec_lo, exec_lo, s24
	v_lshlrev_b32_e32 v19, 24, v35
	s_delay_alu instid0(VALU_DEP_2) | instskip(SKIP_1) | instid1(VALU_DEP_3)
	v_lshlrev_b32_e32 v33, 20, v33
	v_lshl_add_u32 v34, v36, 23, 0x3c000000
	v_and_b32_e32 v19, 0x80000000, v19
	s_delay_alu instid0(VALU_DEP_1)
	v_or3_b32 v19, v33, v19, v34
.LBB446_1258:                           ;   in Loop: Header=BB446_13 Depth=1
	s_or_b32 exec_lo, exec_lo, s23
.LBB446_1259:                           ;   in Loop: Header=BB446_13 Depth=1
	s_delay_alu instid0(SALU_CYCLE_1)
	s_or_b32 exec_lo, exec_lo, s22
.LBB446_1260:                           ;   in Loop: Header=BB446_13 Depth=1
	s_delay_alu instid0(SALU_CYCLE_1) | instskip(NEXT) | instid1(VALU_DEP_1)
	s_or_b32 exec_lo, exec_lo, s21
	v_mul_f32_e32 v19, v187, v19
                                        ; implicit-def: $vgpr63
	s_delay_alu instid0(VALU_DEP_1) | instskip(NEXT) | instid1(VALU_DEP_1)
	v_and_b32_e32 v33, 0x7f800000, v19
	v_cmp_ne_u32_e64 s1, 0x7f800000, v33
	s_delay_alu instid0(VALU_DEP_1) | instskip(NEXT) | instid1(SALU_CYCLE_1)
	s_and_saveexec_b32 s21, s1
	s_xor_b32 s1, exec_lo, s21
; %bb.1261:                             ;   in Loop: Header=BB446_13 Depth=1
	v_bfe_u32 v33, v19, 16, 1
	s_delay_alu instid0(VALU_DEP_1)
	v_add3_u32 v63, v19, v33, 0x7fff
                                        ; implicit-def: $vgpr19
; %bb.1262:                             ;   in Loop: Header=BB446_13 Depth=1
	s_and_not1_saveexec_b32 s21, s1
; %bb.1263:                             ;   in Loop: Header=BB446_13 Depth=1
	v_and_b32_e32 v33, 0xffff, v19
	v_or_b32_e32 v34, 0x10000, v19
	s_delay_alu instid0(VALU_DEP_2) | instskip(NEXT) | instid1(VALU_DEP_1)
	v_cmp_eq_u32_e64 s1, 0, v33
	v_cndmask_b32_e64 v63, v34, v19, s1
; %bb.1264:                             ;   in Loop: Header=BB446_13 Depth=1
	s_or_b32 exec_lo, exec_lo, s21
	flat_load_b64 v[33:34], v[31:32] offset:3080
	v_mov_b32_e32 v19, 0
	s_mov_b32 s21, exec_lo
	s_waitcnt vmcnt(0) lgkmcnt(0)
	v_and_b32_e32 v35, 0xff, v33
	s_delay_alu instid0(VALU_DEP_1)
	v_cmpx_ne_u16_e32 0, v35
	s_cbranch_execz .LBB446_1272
; %bb.1265:                             ;   in Loop: Header=BB446_13 Depth=1
	v_bfrev_b32_e32 v19, 1
	s_mov_b32 s22, exec_lo
	v_cmpx_ne_u16_e32 0x80, v35
	s_cbranch_execz .LBB446_1271
; %bb.1266:                             ;   in Loop: Header=BB446_13 Depth=1
	v_and_b32_e32 v35, 0x7f, v33
	v_mov_b32_e32 v19, 0x7f800001
	s_mov_b32 s23, exec_lo
	s_delay_alu instid0(VALU_DEP_2)
	v_cmpx_ne_u32_e32 0x7f, v35
	s_cbranch_execz .LBB446_1270
; %bb.1267:                             ;   in Loop: Header=BB446_13 Depth=1
	v_lshrrev_b32_e32 v19, 3, v35
	v_cmp_gt_u32_e64 s1, 8, v35
	v_dual_mov_b32 v36, v34 :: v_dual_mov_b32 v35, v33
	s_delay_alu instid0(VALU_DEP_2)
	s_and_saveexec_b32 s24, s1
; %bb.1268:                             ;   in Loop: Header=BB446_13 Depth=1
	v_and_b32_e32 v19, 7, v33
	s_delay_alu instid0(VALU_DEP_1) | instskip(NEXT) | instid1(VALU_DEP_1)
	v_clz_i32_u32_e32 v19, v19
	v_min_u32_e32 v19, 32, v19
	s_delay_alu instid0(VALU_DEP_1) | instskip(SKIP_1) | instid1(VALU_DEP_2)
	v_subrev_nc_u32_e32 v35, 28, v19
	v_sub_nc_u32_e32 v19, 29, v19
	v_lshlrev_b64 v[35:36], v35, v[33:34]
; %bb.1269:                             ;   in Loop: Header=BB446_13 Depth=1
	s_or_b32 exec_lo, exec_lo, s24
	s_delay_alu instid0(VALU_DEP_1) | instskip(SKIP_2) | instid1(VALU_DEP_3)
	v_lshlrev_b32_e32 v35, 20, v35
	v_lshlrev_b32_e32 v36, 24, v33
	v_lshl_add_u32 v19, v19, 23, 0x3c000000
	v_and_b32_e32 v35, 0x700000, v35
	s_delay_alu instid0(VALU_DEP_3) | instskip(NEXT) | instid1(VALU_DEP_1)
	v_and_b32_e32 v36, 0x80000000, v36
	v_or3_b32 v19, v35, v36, v19
.LBB446_1270:                           ;   in Loop: Header=BB446_13 Depth=1
	s_or_b32 exec_lo, exec_lo, s23
.LBB446_1271:                           ;   in Loop: Header=BB446_13 Depth=1
	s_delay_alu instid0(SALU_CYCLE_1)
	s_or_b32 exec_lo, exec_lo, s22
.LBB446_1272:                           ;   in Loop: Header=BB446_13 Depth=1
	s_delay_alu instid0(SALU_CYCLE_1) | instskip(NEXT) | instid1(VALU_DEP_1)
	s_or_b32 exec_lo, exec_lo, s21
	v_mul_f32_e32 v19, v187, v19
                                        ; implicit-def: $vgpr72
	s_delay_alu instid0(VALU_DEP_1) | instskip(NEXT) | instid1(VALU_DEP_1)
	v_and_b32_e32 v35, 0x7f800000, v19
	v_cmp_ne_u32_e64 s1, 0x7f800000, v35
	s_delay_alu instid0(VALU_DEP_1) | instskip(NEXT) | instid1(SALU_CYCLE_1)
	s_and_saveexec_b32 s21, s1
	s_xor_b32 s1, exec_lo, s21
; %bb.1273:                             ;   in Loop: Header=BB446_13 Depth=1
	v_bfe_u32 v35, v19, 16, 1
	s_delay_alu instid0(VALU_DEP_1)
	v_add3_u32 v72, v19, v35, 0x7fff
                                        ; implicit-def: $vgpr19
; %bb.1274:                             ;   in Loop: Header=BB446_13 Depth=1
	s_and_not1_saveexec_b32 s21, s1
; %bb.1275:                             ;   in Loop: Header=BB446_13 Depth=1
	v_and_b32_e32 v35, 0xffff, v19
	v_or_b32_e32 v36, 0x10000, v19
	s_delay_alu instid0(VALU_DEP_2) | instskip(NEXT) | instid1(VALU_DEP_1)
	v_cmp_eq_u32_e64 s1, 0, v35
	v_cndmask_b32_e64 v72, v36, v19, s1
; %bb.1276:                             ;   in Loop: Header=BB446_13 Depth=1
	s_or_b32 exec_lo, exec_lo, s21
	v_lshrrev_b16 v35, 8, v33
	v_mov_b32_e32 v19, 0
	s_mov_b32 s21, exec_lo
	s_delay_alu instid0(VALU_DEP_2)
	v_cmpx_ne_u16_e32 0, v35
	s_cbranch_execz .LBB446_1284
; %bb.1277:                             ;   in Loop: Header=BB446_13 Depth=1
	v_bfrev_b32_e32 v19, 1
	s_mov_b32 s22, exec_lo
	v_cmpx_ne_u16_e32 0x80, v35
	s_cbranch_execz .LBB446_1283
; %bb.1278:                             ;   in Loop: Header=BB446_13 Depth=1
	v_and_b32_e32 v36, 0xffff, v35
	v_mov_b32_e32 v19, 0x7f800001
	s_mov_b32 s23, exec_lo
	s_delay_alu instid0(VALU_DEP_2) | instskip(NEXT) | instid1(VALU_DEP_1)
	v_and_b32_e32 v35, 0x7f, v36
	v_cmpx_ne_u32_e32 0x7f, v35
	s_cbranch_execz .LBB446_1282
; %bb.1279:                             ;   in Loop: Header=BB446_13 Depth=1
	v_and_b32_e32 v19, 7, v36
	v_lshrrev_b32_e32 v73, 3, v35
	v_cmp_gt_u32_e64 s1, 8, v35
	s_delay_alu instid0(VALU_DEP_3) | instskip(NEXT) | instid1(VALU_DEP_2)
	v_dual_mov_b32 v36, v20 :: v_dual_mov_b32 v35, v19
	s_and_saveexec_b32 s24, s1
; %bb.1280:                             ;   in Loop: Header=BB446_13 Depth=1
	v_clz_i32_u32_e32 v35, v19
	s_delay_alu instid0(VALU_DEP_1) | instskip(NEXT) | instid1(VALU_DEP_1)
	v_min_u32_e32 v73, 32, v35
	v_subrev_nc_u32_e32 v35, 28, v73
	v_sub_nc_u32_e32 v73, 29, v73
	s_delay_alu instid0(VALU_DEP_2) | instskip(NEXT) | instid1(VALU_DEP_1)
	v_lshlrev_b64 v[35:36], v35, v[19:20]
	v_and_b32_e32 v35, 7, v35
; %bb.1281:                             ;   in Loop: Header=BB446_13 Depth=1
	s_or_b32 exec_lo, exec_lo, s24
	v_lshlrev_b32_e32 v19, 16, v33
	s_delay_alu instid0(VALU_DEP_2) | instskip(SKIP_1) | instid1(VALU_DEP_3)
	v_lshlrev_b32_e32 v35, 20, v35
	v_lshl_add_u32 v36, v73, 23, 0x3c000000
	v_and_b32_e32 v19, 0x80000000, v19
	s_delay_alu instid0(VALU_DEP_1)
	v_or3_b32 v19, v35, v19, v36
.LBB446_1282:                           ;   in Loop: Header=BB446_13 Depth=1
	s_or_b32 exec_lo, exec_lo, s23
.LBB446_1283:                           ;   in Loop: Header=BB446_13 Depth=1
	s_delay_alu instid0(SALU_CYCLE_1)
	s_or_b32 exec_lo, exec_lo, s22
.LBB446_1284:                           ;   in Loop: Header=BB446_13 Depth=1
	s_delay_alu instid0(SALU_CYCLE_1) | instskip(NEXT) | instid1(VALU_DEP_1)
	s_or_b32 exec_lo, exec_lo, s21
	v_mul_f32_e32 v19, v187, v19
                                        ; implicit-def: $vgpr73
	s_delay_alu instid0(VALU_DEP_1) | instskip(NEXT) | instid1(VALU_DEP_1)
	v_and_b32_e32 v35, 0x7f800000, v19
	v_cmp_ne_u32_e64 s1, 0x7f800000, v35
	s_delay_alu instid0(VALU_DEP_1) | instskip(NEXT) | instid1(SALU_CYCLE_1)
	s_and_saveexec_b32 s21, s1
	s_xor_b32 s1, exec_lo, s21
; %bb.1285:                             ;   in Loop: Header=BB446_13 Depth=1
	v_bfe_u32 v35, v19, 16, 1
	s_delay_alu instid0(VALU_DEP_1)
	v_add3_u32 v73, v19, v35, 0x7fff
                                        ; implicit-def: $vgpr19
; %bb.1286:                             ;   in Loop: Header=BB446_13 Depth=1
	s_and_not1_saveexec_b32 s21, s1
; %bb.1287:                             ;   in Loop: Header=BB446_13 Depth=1
	v_and_b32_e32 v35, 0xffff, v19
	v_or_b32_e32 v36, 0x10000, v19
	s_delay_alu instid0(VALU_DEP_2) | instskip(NEXT) | instid1(VALU_DEP_1)
	v_cmp_eq_u32_e64 s1, 0, v35
	v_cndmask_b32_e64 v73, v36, v19, s1
; %bb.1288:                             ;   in Loop: Header=BB446_13 Depth=1
	s_or_b32 exec_lo, exec_lo, s21
	v_lshrrev_b32_e32 v74, 16, v33
	v_mov_b32_e32 v19, 0
	s_mov_b32 s21, exec_lo
	s_delay_alu instid0(VALU_DEP_2) | instskip(NEXT) | instid1(VALU_DEP_1)
	v_and_b32_e32 v35, 0xff, v74
	v_cmpx_ne_u16_e32 0, v35
	s_cbranch_execz .LBB446_1296
; %bb.1289:                             ;   in Loop: Header=BB446_13 Depth=1
	v_bfrev_b32_e32 v19, 1
	s_mov_b32 s22, exec_lo
	v_cmpx_ne_u16_e32 0x80, v35
	s_cbranch_execz .LBB446_1295
; %bb.1290:                             ;   in Loop: Header=BB446_13 Depth=1
	v_bfe_u32 v35, v33, 16, 7
	v_mov_b32_e32 v19, 0x7f800001
	s_mov_b32 s23, exec_lo
	s_delay_alu instid0(VALU_DEP_2)
	v_cmpx_ne_u32_e32 0x7f, v35
	s_cbranch_execz .LBB446_1294
; %bb.1291:                             ;   in Loop: Header=BB446_13 Depth=1
	v_and_b32_e32 v19, 7, v74
	v_lshrrev_b32_e32 v75, 3, v35
	v_cmp_gt_u32_e64 s1, 8, v35
	s_delay_alu instid0(VALU_DEP_3) | instskip(NEXT) | instid1(VALU_DEP_2)
	v_dual_mov_b32 v36, v20 :: v_dual_mov_b32 v35, v19
	s_and_saveexec_b32 s24, s1
; %bb.1292:                             ;   in Loop: Header=BB446_13 Depth=1
	v_clz_i32_u32_e32 v35, v19
	s_delay_alu instid0(VALU_DEP_1) | instskip(NEXT) | instid1(VALU_DEP_1)
	v_min_u32_e32 v75, 32, v35
	v_subrev_nc_u32_e32 v35, 28, v75
	v_sub_nc_u32_e32 v75, 29, v75
	s_delay_alu instid0(VALU_DEP_2) | instskip(NEXT) | instid1(VALU_DEP_1)
	v_lshlrev_b64 v[35:36], v35, v[19:20]
	v_and_b32_e32 v35, 7, v35
; %bb.1293:                             ;   in Loop: Header=BB446_13 Depth=1
	s_or_b32 exec_lo, exec_lo, s24
	v_lshlrev_b32_e32 v19, 24, v74
	s_delay_alu instid0(VALU_DEP_2) | instskip(SKIP_1) | instid1(VALU_DEP_3)
	v_lshlrev_b32_e32 v35, 20, v35
	v_lshl_add_u32 v36, v75, 23, 0x3c000000
	v_and_b32_e32 v19, 0x80000000, v19
	s_delay_alu instid0(VALU_DEP_1)
	v_or3_b32 v19, v35, v19, v36
.LBB446_1294:                           ;   in Loop: Header=BB446_13 Depth=1
	s_or_b32 exec_lo, exec_lo, s23
.LBB446_1295:                           ;   in Loop: Header=BB446_13 Depth=1
	s_delay_alu instid0(SALU_CYCLE_1)
	s_or_b32 exec_lo, exec_lo, s22
.LBB446_1296:                           ;   in Loop: Header=BB446_13 Depth=1
	s_delay_alu instid0(SALU_CYCLE_1) | instskip(NEXT) | instid1(VALU_DEP_1)
	s_or_b32 exec_lo, exec_lo, s21
	v_mul_f32_e32 v19, v187, v19
                                        ; implicit-def: $vgpr74
	s_delay_alu instid0(VALU_DEP_1) | instskip(NEXT) | instid1(VALU_DEP_1)
	v_and_b32_e32 v35, 0x7f800000, v19
	v_cmp_ne_u32_e64 s1, 0x7f800000, v35
	s_delay_alu instid0(VALU_DEP_1) | instskip(NEXT) | instid1(SALU_CYCLE_1)
	s_and_saveexec_b32 s21, s1
	s_xor_b32 s1, exec_lo, s21
; %bb.1297:                             ;   in Loop: Header=BB446_13 Depth=1
	v_bfe_u32 v35, v19, 16, 1
	s_delay_alu instid0(VALU_DEP_1)
	v_add3_u32 v74, v19, v35, 0x7fff
                                        ; implicit-def: $vgpr19
; %bb.1298:                             ;   in Loop: Header=BB446_13 Depth=1
	s_and_not1_saveexec_b32 s21, s1
; %bb.1299:                             ;   in Loop: Header=BB446_13 Depth=1
	v_and_b32_e32 v35, 0xffff, v19
	v_or_b32_e32 v36, 0x10000, v19
	s_delay_alu instid0(VALU_DEP_2) | instskip(NEXT) | instid1(VALU_DEP_1)
	v_cmp_eq_u32_e64 s1, 0, v35
	v_cndmask_b32_e64 v74, v36, v19, s1
; %bb.1300:                             ;   in Loop: Header=BB446_13 Depth=1
	s_or_b32 exec_lo, exec_lo, s21
	v_mov_b32_e32 v19, 0
	s_mov_b32 s21, exec_lo
	v_cmpx_lt_u32_e32 0xffffff, v33
	s_cbranch_execz .LBB446_1308
; %bb.1301:                             ;   in Loop: Header=BB446_13 Depth=1
	v_lshrrev_b32_e32 v75, 24, v33
	v_bfrev_b32_e32 v19, 1
	s_mov_b32 s22, exec_lo
	s_delay_alu instid0(VALU_DEP_2)
	v_cmpx_ne_u32_e32 0x80, v75
	s_cbranch_execz .LBB446_1307
; %bb.1302:                             ;   in Loop: Header=BB446_13 Depth=1
	v_bfe_u32 v35, v33, 24, 7
	v_mov_b32_e32 v19, 0x7f800001
	s_mov_b32 s23, exec_lo
	s_delay_alu instid0(VALU_DEP_2)
	v_cmpx_ne_u32_e32 0x7f, v35
	s_cbranch_execz .LBB446_1306
; %bb.1303:                             ;   in Loop: Header=BB446_13 Depth=1
	v_and_b32_e32 v19, 7, v75
	v_lshrrev_b32_e32 v76, 3, v35
	v_cmp_gt_u32_e64 s1, 8, v35
	s_delay_alu instid0(VALU_DEP_3) | instskip(NEXT) | instid1(VALU_DEP_2)
	v_dual_mov_b32 v36, v20 :: v_dual_mov_b32 v35, v19
	s_and_saveexec_b32 s24, s1
; %bb.1304:                             ;   in Loop: Header=BB446_13 Depth=1
	v_clz_i32_u32_e32 v35, v19
	s_delay_alu instid0(VALU_DEP_1) | instskip(NEXT) | instid1(VALU_DEP_1)
	v_min_u32_e32 v76, 32, v35
	v_subrev_nc_u32_e32 v35, 28, v76
	v_sub_nc_u32_e32 v76, 29, v76
	s_delay_alu instid0(VALU_DEP_2) | instskip(NEXT) | instid1(VALU_DEP_1)
	v_lshlrev_b64 v[35:36], v35, v[19:20]
	v_and_b32_e32 v35, 7, v35
; %bb.1305:                             ;   in Loop: Header=BB446_13 Depth=1
	s_or_b32 exec_lo, exec_lo, s24
	v_lshlrev_b32_e32 v19, 24, v75
	s_delay_alu instid0(VALU_DEP_2) | instskip(SKIP_1) | instid1(VALU_DEP_3)
	v_lshlrev_b32_e32 v35, 20, v35
	v_lshl_add_u32 v36, v76, 23, 0x3c000000
	v_and_b32_e32 v19, 0x80000000, v19
	s_delay_alu instid0(VALU_DEP_1)
	v_or3_b32 v19, v35, v19, v36
.LBB446_1306:                           ;   in Loop: Header=BB446_13 Depth=1
	s_or_b32 exec_lo, exec_lo, s23
.LBB446_1307:                           ;   in Loop: Header=BB446_13 Depth=1
	s_delay_alu instid0(SALU_CYCLE_1)
	s_or_b32 exec_lo, exec_lo, s22
.LBB446_1308:                           ;   in Loop: Header=BB446_13 Depth=1
	s_delay_alu instid0(SALU_CYCLE_1) | instskip(NEXT) | instid1(VALU_DEP_1)
	s_or_b32 exec_lo, exec_lo, s21
	v_mul_f32_e32 v19, v187, v19
                                        ; implicit-def: $vgpr75
	s_delay_alu instid0(VALU_DEP_1) | instskip(NEXT) | instid1(VALU_DEP_1)
	v_and_b32_e32 v35, 0x7f800000, v19
	v_cmp_ne_u32_e64 s1, 0x7f800000, v35
	s_delay_alu instid0(VALU_DEP_1) | instskip(NEXT) | instid1(SALU_CYCLE_1)
	s_and_saveexec_b32 s21, s1
	s_xor_b32 s1, exec_lo, s21
; %bb.1309:                             ;   in Loop: Header=BB446_13 Depth=1
	v_bfe_u32 v35, v19, 16, 1
	s_delay_alu instid0(VALU_DEP_1)
	v_add3_u32 v75, v19, v35, 0x7fff
                                        ; implicit-def: $vgpr19
; %bb.1310:                             ;   in Loop: Header=BB446_13 Depth=1
	s_and_not1_saveexec_b32 s21, s1
; %bb.1311:                             ;   in Loop: Header=BB446_13 Depth=1
	v_and_b32_e32 v35, 0xffff, v19
	v_or_b32_e32 v36, 0x10000, v19
	s_delay_alu instid0(VALU_DEP_2) | instskip(NEXT) | instid1(VALU_DEP_1)
	v_cmp_eq_u32_e64 s1, 0, v35
	v_cndmask_b32_e64 v75, v36, v19, s1
; %bb.1312:                             ;   in Loop: Header=BB446_13 Depth=1
	s_or_b32 exec_lo, exec_lo, s21
	v_dual_mov_b32 v19, v34 :: v_dual_and_b32 v36, 0xff, v34
	v_mov_b32_e32 v35, 0
	s_mov_b32 s21, exec_lo
	s_delay_alu instid0(VALU_DEP_2)
	v_cmpx_ne_u16_e32 0, v36
	s_cbranch_execz .LBB446_1320
; %bb.1313:                             ;   in Loop: Header=BB446_13 Depth=1
	v_bfrev_b32_e32 v35, 1
	s_mov_b32 s22, exec_lo
	v_cmpx_ne_u16_e32 0x80, v36
	s_cbranch_execz .LBB446_1319
; %bb.1314:                             ;   in Loop: Header=BB446_13 Depth=1
	v_and_b32_e32 v36, 0x7f, v34
	v_mov_b32_e32 v35, 0x7f800001
	s_mov_b32 s23, exec_lo
	s_delay_alu instid0(VALU_DEP_2)
	v_cmpx_ne_u32_e32 0x7f, v36
	s_cbranch_execz .LBB446_1318
; %bb.1315:                             ;   in Loop: Header=BB446_13 Depth=1
	v_lshrrev_b32_e32 v76, 3, v36
	v_cmp_gt_u32_e64 s1, 8, v36
	v_dual_mov_b32 v36, v20 :: v_dual_mov_b32 v35, v19
	s_delay_alu instid0(VALU_DEP_2)
	s_and_saveexec_b32 s24, s1
; %bb.1316:                             ;   in Loop: Header=BB446_13 Depth=1
	v_and_b32_e32 v35, 7, v34
	s_delay_alu instid0(VALU_DEP_1) | instskip(NEXT) | instid1(VALU_DEP_1)
	v_clz_i32_u32_e32 v35, v35
	v_min_u32_e32 v76, 32, v35
	s_delay_alu instid0(VALU_DEP_1) | instskip(SKIP_1) | instid1(VALU_DEP_2)
	v_subrev_nc_u32_e32 v35, 28, v76
	v_sub_nc_u32_e32 v76, 29, v76
	v_lshlrev_b64 v[35:36], v35, v[19:20]
; %bb.1317:                             ;   in Loop: Header=BB446_13 Depth=1
	s_or_b32 exec_lo, exec_lo, s24
	s_delay_alu instid0(VALU_DEP_1) | instskip(SKIP_2) | instid1(VALU_DEP_3)
	v_lshlrev_b32_e32 v35, 20, v35
	v_lshlrev_b32_e32 v36, 24, v19
	v_lshl_add_u32 v76, v76, 23, 0x3c000000
	v_and_b32_e32 v35, 0x700000, v35
	s_delay_alu instid0(VALU_DEP_3) | instskip(NEXT) | instid1(VALU_DEP_1)
	v_and_b32_e32 v36, 0x80000000, v36
	v_or3_b32 v35, v35, v36, v76
.LBB446_1318:                           ;   in Loop: Header=BB446_13 Depth=1
	s_or_b32 exec_lo, exec_lo, s23
.LBB446_1319:                           ;   in Loop: Header=BB446_13 Depth=1
	s_delay_alu instid0(SALU_CYCLE_1)
	s_or_b32 exec_lo, exec_lo, s22
.LBB446_1320:                           ;   in Loop: Header=BB446_13 Depth=1
	s_delay_alu instid0(SALU_CYCLE_1) | instskip(NEXT) | instid1(VALU_DEP_1)
	s_or_b32 exec_lo, exec_lo, s21
	v_mul_f32_e32 v35, v187, v35
                                        ; implicit-def: $vgpr76
	s_delay_alu instid0(VALU_DEP_1) | instskip(NEXT) | instid1(VALU_DEP_1)
	v_and_b32_e32 v36, 0x7f800000, v35
	v_cmp_ne_u32_e64 s1, 0x7f800000, v36
	s_delay_alu instid0(VALU_DEP_1) | instskip(NEXT) | instid1(SALU_CYCLE_1)
	s_and_saveexec_b32 s21, s1
	s_xor_b32 s1, exec_lo, s21
; %bb.1321:                             ;   in Loop: Header=BB446_13 Depth=1
	v_bfe_u32 v36, v35, 16, 1
	s_delay_alu instid0(VALU_DEP_1)
	v_add3_u32 v76, v35, v36, 0x7fff
                                        ; implicit-def: $vgpr35
; %bb.1322:                             ;   in Loop: Header=BB446_13 Depth=1
	s_and_not1_saveexec_b32 s21, s1
; %bb.1323:                             ;   in Loop: Header=BB446_13 Depth=1
	v_and_b32_e32 v36, 0xffff, v35
	v_or_b32_e32 v76, 0x10000, v35
	s_delay_alu instid0(VALU_DEP_2) | instskip(NEXT) | instid1(VALU_DEP_1)
	v_cmp_eq_u32_e64 s1, 0, v36
	v_cndmask_b32_e64 v76, v76, v35, s1
; %bb.1324:                             ;   in Loop: Header=BB446_13 Depth=1
	s_or_b32 exec_lo, exec_lo, s21
	v_lshrrev_b16 v36, 8, v19
	v_mov_b32_e32 v35, 0
	s_mov_b32 s21, exec_lo
	s_delay_alu instid0(VALU_DEP_2)
	v_cmpx_ne_u16_e32 0, v36
	s_cbranch_execz .LBB446_1332
; %bb.1325:                             ;   in Loop: Header=BB446_13 Depth=1
	v_bfrev_b32_e32 v35, 1
	s_mov_b32 s22, exec_lo
	v_cmpx_ne_u16_e32 0x80, v36
	s_cbranch_execz .LBB446_1331
; %bb.1326:                             ;   in Loop: Header=BB446_13 Depth=1
	v_and_b32_e32 v36, 0xffff, v36
	v_mov_b32_e32 v35, 0x7f800001
	s_mov_b32 s23, exec_lo
	s_delay_alu instid0(VALU_DEP_2) | instskip(NEXT) | instid1(VALU_DEP_1)
	v_and_b32_e32 v78, 0x7f, v36
	v_cmpx_ne_u32_e32 0x7f, v78
	s_cbranch_execz .LBB446_1330
; %bb.1327:                             ;   in Loop: Header=BB446_13 Depth=1
	v_dual_mov_b32 v36, v20 :: v_dual_and_b32 v35, 7, v36
	v_lshrrev_b32_e32 v77, 3, v78
	s_mov_b32 s24, exec_lo
	v_cmpx_gt_u32_e32 8, v78
; %bb.1328:                             ;   in Loop: Header=BB446_13 Depth=1
	s_delay_alu instid0(VALU_DEP_3) | instskip(NEXT) | instid1(VALU_DEP_1)
	v_clz_i32_u32_e32 v77, v35
	v_min_u32_e32 v77, 32, v77
	s_delay_alu instid0(VALU_DEP_1) | instskip(SKIP_1) | instid1(VALU_DEP_2)
	v_subrev_nc_u32_e32 v78, 28, v77
	v_sub_nc_u32_e32 v77, 29, v77
	v_lshlrev_b64 v[35:36], v78, v[35:36]
	s_delay_alu instid0(VALU_DEP_1)
	v_and_b32_e32 v35, 7, v35
; %bb.1329:                             ;   in Loop: Header=BB446_13 Depth=1
	s_or_b32 exec_lo, exec_lo, s24
	v_lshlrev_b32_e32 v19, 16, v19
	s_delay_alu instid0(VALU_DEP_2) | instskip(SKIP_1) | instid1(VALU_DEP_3)
	v_lshlrev_b32_e32 v35, 20, v35
	v_lshl_add_u32 v36, v77, 23, 0x3c000000
	v_and_b32_e32 v19, 0x80000000, v19
	s_delay_alu instid0(VALU_DEP_1)
	v_or3_b32 v35, v35, v19, v36
.LBB446_1330:                           ;   in Loop: Header=BB446_13 Depth=1
	s_or_b32 exec_lo, exec_lo, s23
.LBB446_1331:                           ;   in Loop: Header=BB446_13 Depth=1
	s_delay_alu instid0(SALU_CYCLE_1)
	s_or_b32 exec_lo, exec_lo, s22
.LBB446_1332:                           ;   in Loop: Header=BB446_13 Depth=1
	s_delay_alu instid0(SALU_CYCLE_1) | instskip(NEXT) | instid1(VALU_DEP_1)
	s_or_b32 exec_lo, exec_lo, s21
	v_mul_f32_e32 v19, v187, v35
                                        ; implicit-def: $vgpr77
	s_delay_alu instid0(VALU_DEP_1) | instskip(NEXT) | instid1(VALU_DEP_1)
	v_and_b32_e32 v35, 0x7f800000, v19
	v_cmp_ne_u32_e64 s1, 0x7f800000, v35
	s_delay_alu instid0(VALU_DEP_1) | instskip(NEXT) | instid1(SALU_CYCLE_1)
	s_and_saveexec_b32 s21, s1
	s_xor_b32 s1, exec_lo, s21
; %bb.1333:                             ;   in Loop: Header=BB446_13 Depth=1
	v_bfe_u32 v35, v19, 16, 1
	s_delay_alu instid0(VALU_DEP_1)
	v_add3_u32 v77, v19, v35, 0x7fff
                                        ; implicit-def: $vgpr19
; %bb.1334:                             ;   in Loop: Header=BB446_13 Depth=1
	s_and_not1_saveexec_b32 s21, s1
; %bb.1335:                             ;   in Loop: Header=BB446_13 Depth=1
	v_and_b32_e32 v35, 0xffff, v19
	v_or_b32_e32 v36, 0x10000, v19
	s_delay_alu instid0(VALU_DEP_2) | instskip(NEXT) | instid1(VALU_DEP_1)
	v_cmp_eq_u32_e64 s1, 0, v35
	v_cndmask_b32_e64 v77, v36, v19, s1
; %bb.1336:                             ;   in Loop: Header=BB446_13 Depth=1
	s_or_b32 exec_lo, exec_lo, s21
	v_lshrrev_b32_e32 v78, 16, v34
	v_mov_b32_e32 v19, 0
	s_mov_b32 s21, exec_lo
	s_delay_alu instid0(VALU_DEP_2) | instskip(NEXT) | instid1(VALU_DEP_1)
	v_and_b32_e32 v35, 0xff, v78
	v_cmpx_ne_u16_e32 0, v35
	s_cbranch_execz .LBB446_1344
; %bb.1337:                             ;   in Loop: Header=BB446_13 Depth=1
	v_bfrev_b32_e32 v19, 1
	s_mov_b32 s22, exec_lo
	v_cmpx_ne_u16_e32 0x80, v35
	s_cbranch_execz .LBB446_1343
; %bb.1338:                             ;   in Loop: Header=BB446_13 Depth=1
	v_bfe_u32 v35, v34, 16, 7
	v_mov_b32_e32 v19, 0x7f800001
	s_mov_b32 s23, exec_lo
	s_delay_alu instid0(VALU_DEP_2)
	v_cmpx_ne_u32_e32 0x7f, v35
	s_cbranch_execz .LBB446_1342
; %bb.1339:                             ;   in Loop: Header=BB446_13 Depth=1
	v_and_b32_e32 v19, 7, v78
	v_lshrrev_b32_e32 v79, 3, v35
	v_cmp_gt_u32_e64 s1, 8, v35
	s_delay_alu instid0(VALU_DEP_3) | instskip(NEXT) | instid1(VALU_DEP_2)
	v_dual_mov_b32 v36, v20 :: v_dual_mov_b32 v35, v19
	s_and_saveexec_b32 s24, s1
; %bb.1340:                             ;   in Loop: Header=BB446_13 Depth=1
	v_clz_i32_u32_e32 v35, v19
	s_delay_alu instid0(VALU_DEP_1) | instskip(NEXT) | instid1(VALU_DEP_1)
	v_min_u32_e32 v79, 32, v35
	v_subrev_nc_u32_e32 v35, 28, v79
	v_sub_nc_u32_e32 v79, 29, v79
	s_delay_alu instid0(VALU_DEP_2) | instskip(NEXT) | instid1(VALU_DEP_1)
	v_lshlrev_b64 v[35:36], v35, v[19:20]
	v_and_b32_e32 v35, 7, v35
; %bb.1341:                             ;   in Loop: Header=BB446_13 Depth=1
	s_or_b32 exec_lo, exec_lo, s24
	v_lshlrev_b32_e32 v19, 24, v78
	s_delay_alu instid0(VALU_DEP_2) | instskip(SKIP_1) | instid1(VALU_DEP_3)
	v_lshlrev_b32_e32 v35, 20, v35
	v_lshl_add_u32 v36, v79, 23, 0x3c000000
	v_and_b32_e32 v19, 0x80000000, v19
	s_delay_alu instid0(VALU_DEP_1)
	v_or3_b32 v19, v35, v19, v36
.LBB446_1342:                           ;   in Loop: Header=BB446_13 Depth=1
	s_or_b32 exec_lo, exec_lo, s23
.LBB446_1343:                           ;   in Loop: Header=BB446_13 Depth=1
	s_delay_alu instid0(SALU_CYCLE_1)
	s_or_b32 exec_lo, exec_lo, s22
.LBB446_1344:                           ;   in Loop: Header=BB446_13 Depth=1
	s_delay_alu instid0(SALU_CYCLE_1) | instskip(NEXT) | instid1(VALU_DEP_1)
	s_or_b32 exec_lo, exec_lo, s21
	v_mul_f32_e32 v19, v187, v19
                                        ; implicit-def: $vgpr78
	s_delay_alu instid0(VALU_DEP_1) | instskip(NEXT) | instid1(VALU_DEP_1)
	v_and_b32_e32 v35, 0x7f800000, v19
	v_cmp_ne_u32_e64 s1, 0x7f800000, v35
	s_delay_alu instid0(VALU_DEP_1) | instskip(NEXT) | instid1(SALU_CYCLE_1)
	s_and_saveexec_b32 s21, s1
	s_xor_b32 s1, exec_lo, s21
; %bb.1345:                             ;   in Loop: Header=BB446_13 Depth=1
	v_bfe_u32 v35, v19, 16, 1
	s_delay_alu instid0(VALU_DEP_1)
	v_add3_u32 v78, v19, v35, 0x7fff
                                        ; implicit-def: $vgpr19
; %bb.1346:                             ;   in Loop: Header=BB446_13 Depth=1
	s_and_not1_saveexec_b32 s21, s1
; %bb.1347:                             ;   in Loop: Header=BB446_13 Depth=1
	v_and_b32_e32 v35, 0xffff, v19
	v_or_b32_e32 v36, 0x10000, v19
	s_delay_alu instid0(VALU_DEP_2) | instskip(NEXT) | instid1(VALU_DEP_1)
	v_cmp_eq_u32_e64 s1, 0, v35
	v_cndmask_b32_e64 v78, v36, v19, s1
; %bb.1348:                             ;   in Loop: Header=BB446_13 Depth=1
	s_or_b32 exec_lo, exec_lo, s21
	v_mov_b32_e32 v19, 0
	s_mov_b32 s21, exec_lo
	v_cmpx_lt_u64_e64 s[16:17], v[33:34]
	s_cbranch_execz .LBB446_1356
; %bb.1349:                             ;   in Loop: Header=BB446_13 Depth=1
	v_lshrrev_b32_e32 v35, 24, v34
	v_bfrev_b32_e32 v19, 1
	s_mov_b32 s22, exec_lo
	s_delay_alu instid0(VALU_DEP_2)
	v_cmpx_ne_u32_e32 0x80, v35
	s_cbranch_execz .LBB446_1355
; %bb.1350:                             ;   in Loop: Header=BB446_13 Depth=1
	v_bfe_u32 v33, v34, 24, 7
	v_mov_b32_e32 v19, 0x7f800001
	s_mov_b32 s23, exec_lo
	s_delay_alu instid0(VALU_DEP_2)
	v_cmpx_ne_u32_e32 0x7f, v33
	s_cbranch_execz .LBB446_1354
; %bb.1351:                             ;   in Loop: Header=BB446_13 Depth=1
	v_and_b32_e32 v19, 7, v35
	v_lshrrev_b32_e32 v36, 3, v33
	v_cmp_gt_u32_e64 s1, 8, v33
	s_delay_alu instid0(VALU_DEP_3) | instskip(NEXT) | instid1(VALU_DEP_2)
	v_dual_mov_b32 v34, v20 :: v_dual_mov_b32 v33, v19
	s_and_saveexec_b32 s24, s1
; %bb.1352:                             ;   in Loop: Header=BB446_13 Depth=1
	v_clz_i32_u32_e32 v33, v19
	s_delay_alu instid0(VALU_DEP_1) | instskip(NEXT) | instid1(VALU_DEP_1)
	v_min_u32_e32 v36, 32, v33
	v_subrev_nc_u32_e32 v33, 28, v36
	v_sub_nc_u32_e32 v36, 29, v36
	s_delay_alu instid0(VALU_DEP_2) | instskip(NEXT) | instid1(VALU_DEP_1)
	v_lshlrev_b64 v[33:34], v33, v[19:20]
	v_and_b32_e32 v33, 7, v33
; %bb.1353:                             ;   in Loop: Header=BB446_13 Depth=1
	s_or_b32 exec_lo, exec_lo, s24
	v_lshlrev_b32_e32 v19, 24, v35
	s_delay_alu instid0(VALU_DEP_2) | instskip(SKIP_1) | instid1(VALU_DEP_3)
	v_lshlrev_b32_e32 v33, 20, v33
	v_lshl_add_u32 v34, v36, 23, 0x3c000000
	v_and_b32_e32 v19, 0x80000000, v19
	s_delay_alu instid0(VALU_DEP_1)
	v_or3_b32 v19, v33, v19, v34
.LBB446_1354:                           ;   in Loop: Header=BB446_13 Depth=1
	s_or_b32 exec_lo, exec_lo, s23
.LBB446_1355:                           ;   in Loop: Header=BB446_13 Depth=1
	s_delay_alu instid0(SALU_CYCLE_1)
	s_or_b32 exec_lo, exec_lo, s22
.LBB446_1356:                           ;   in Loop: Header=BB446_13 Depth=1
	s_delay_alu instid0(SALU_CYCLE_1) | instskip(NEXT) | instid1(VALU_DEP_1)
	s_or_b32 exec_lo, exec_lo, s21
	v_mul_f32_e32 v19, v187, v19
                                        ; implicit-def: $vgpr79
	s_delay_alu instid0(VALU_DEP_1) | instskip(NEXT) | instid1(VALU_DEP_1)
	v_and_b32_e32 v33, 0x7f800000, v19
	v_cmp_ne_u32_e64 s1, 0x7f800000, v33
	s_delay_alu instid0(VALU_DEP_1) | instskip(NEXT) | instid1(SALU_CYCLE_1)
	s_and_saveexec_b32 s21, s1
	s_xor_b32 s1, exec_lo, s21
; %bb.1357:                             ;   in Loop: Header=BB446_13 Depth=1
	v_bfe_u32 v33, v19, 16, 1
	s_delay_alu instid0(VALU_DEP_1)
	v_add3_u32 v79, v19, v33, 0x7fff
                                        ; implicit-def: $vgpr19
; %bb.1358:                             ;   in Loop: Header=BB446_13 Depth=1
	s_and_not1_saveexec_b32 s21, s1
; %bb.1359:                             ;   in Loop: Header=BB446_13 Depth=1
	v_and_b32_e32 v33, 0xffff, v19
	v_or_b32_e32 v34, 0x10000, v19
	s_delay_alu instid0(VALU_DEP_2) | instskip(NEXT) | instid1(VALU_DEP_1)
	v_cmp_eq_u32_e64 s1, 0, v33
	v_cndmask_b32_e64 v79, v34, v19, s1
; %bb.1360:                             ;   in Loop: Header=BB446_13 Depth=1
	s_or_b32 exec_lo, exec_lo, s21
	flat_load_b64 v[33:34], v[31:32] offset:3584
	v_mov_b32_e32 v19, 0
	s_mov_b32 s21, exec_lo
	s_waitcnt vmcnt(0) lgkmcnt(0)
	v_and_b32_e32 v35, 0xff, v33
	s_delay_alu instid0(VALU_DEP_1)
	v_cmpx_ne_u16_e32 0, v35
	s_cbranch_execz .LBB446_1368
; %bb.1361:                             ;   in Loop: Header=BB446_13 Depth=1
	v_bfrev_b32_e32 v19, 1
	s_mov_b32 s22, exec_lo
	v_cmpx_ne_u16_e32 0x80, v35
	s_cbranch_execz .LBB446_1367
; %bb.1362:                             ;   in Loop: Header=BB446_13 Depth=1
	v_and_b32_e32 v35, 0x7f, v33
	v_mov_b32_e32 v19, 0x7f800001
	s_mov_b32 s23, exec_lo
	s_delay_alu instid0(VALU_DEP_2)
	v_cmpx_ne_u32_e32 0x7f, v35
	s_cbranch_execz .LBB446_1366
; %bb.1363:                             ;   in Loop: Header=BB446_13 Depth=1
	v_lshrrev_b32_e32 v19, 3, v35
	v_cmp_gt_u32_e64 s1, 8, v35
	v_dual_mov_b32 v36, v34 :: v_dual_mov_b32 v35, v33
	s_delay_alu instid0(VALU_DEP_2)
	s_and_saveexec_b32 s24, s1
; %bb.1364:                             ;   in Loop: Header=BB446_13 Depth=1
	v_and_b32_e32 v19, 7, v33
	s_delay_alu instid0(VALU_DEP_1) | instskip(NEXT) | instid1(VALU_DEP_1)
	v_clz_i32_u32_e32 v19, v19
	v_min_u32_e32 v19, 32, v19
	s_delay_alu instid0(VALU_DEP_1) | instskip(SKIP_1) | instid1(VALU_DEP_2)
	v_subrev_nc_u32_e32 v35, 28, v19
	v_sub_nc_u32_e32 v19, 29, v19
	v_lshlrev_b64 v[35:36], v35, v[33:34]
; %bb.1365:                             ;   in Loop: Header=BB446_13 Depth=1
	s_or_b32 exec_lo, exec_lo, s24
	s_delay_alu instid0(VALU_DEP_1) | instskip(SKIP_2) | instid1(VALU_DEP_3)
	v_lshlrev_b32_e32 v35, 20, v35
	v_lshlrev_b32_e32 v36, 24, v33
	v_lshl_add_u32 v19, v19, 23, 0x3c000000
	v_and_b32_e32 v35, 0x700000, v35
	s_delay_alu instid0(VALU_DEP_3) | instskip(NEXT) | instid1(VALU_DEP_1)
	v_and_b32_e32 v36, 0x80000000, v36
	v_or3_b32 v19, v35, v36, v19
.LBB446_1366:                           ;   in Loop: Header=BB446_13 Depth=1
	s_or_b32 exec_lo, exec_lo, s23
.LBB446_1367:                           ;   in Loop: Header=BB446_13 Depth=1
	s_delay_alu instid0(SALU_CYCLE_1)
	s_or_b32 exec_lo, exec_lo, s22
.LBB446_1368:                           ;   in Loop: Header=BB446_13 Depth=1
	s_delay_alu instid0(SALU_CYCLE_1) | instskip(NEXT) | instid1(VALU_DEP_1)
	s_or_b32 exec_lo, exec_lo, s21
	v_mul_f32_e32 v19, v187, v19
                                        ; implicit-def: $vgpr88
	s_delay_alu instid0(VALU_DEP_1) | instskip(NEXT) | instid1(VALU_DEP_1)
	v_and_b32_e32 v35, 0x7f800000, v19
	v_cmp_ne_u32_e64 s1, 0x7f800000, v35
	s_delay_alu instid0(VALU_DEP_1) | instskip(NEXT) | instid1(SALU_CYCLE_1)
	s_and_saveexec_b32 s21, s1
	s_xor_b32 s1, exec_lo, s21
; %bb.1369:                             ;   in Loop: Header=BB446_13 Depth=1
	v_bfe_u32 v35, v19, 16, 1
	s_delay_alu instid0(VALU_DEP_1)
	v_add3_u32 v88, v19, v35, 0x7fff
                                        ; implicit-def: $vgpr19
; %bb.1370:                             ;   in Loop: Header=BB446_13 Depth=1
	s_and_not1_saveexec_b32 s21, s1
; %bb.1371:                             ;   in Loop: Header=BB446_13 Depth=1
	v_and_b32_e32 v35, 0xffff, v19
	v_or_b32_e32 v36, 0x10000, v19
	s_delay_alu instid0(VALU_DEP_2) | instskip(NEXT) | instid1(VALU_DEP_1)
	v_cmp_eq_u32_e64 s1, 0, v35
	v_cndmask_b32_e64 v88, v36, v19, s1
; %bb.1372:                             ;   in Loop: Header=BB446_13 Depth=1
	s_or_b32 exec_lo, exec_lo, s21
	v_lshrrev_b16 v35, 8, v33
	v_mov_b32_e32 v19, 0
	s_mov_b32 s21, exec_lo
	s_delay_alu instid0(VALU_DEP_2)
	v_cmpx_ne_u16_e32 0, v35
	s_cbranch_execz .LBB446_1380
; %bb.1373:                             ;   in Loop: Header=BB446_13 Depth=1
	v_bfrev_b32_e32 v19, 1
	s_mov_b32 s22, exec_lo
	v_cmpx_ne_u16_e32 0x80, v35
	s_cbranch_execz .LBB446_1379
; %bb.1374:                             ;   in Loop: Header=BB446_13 Depth=1
	v_and_b32_e32 v36, 0xffff, v35
	v_mov_b32_e32 v19, 0x7f800001
	s_mov_b32 s23, exec_lo
	s_delay_alu instid0(VALU_DEP_2) | instskip(NEXT) | instid1(VALU_DEP_1)
	v_and_b32_e32 v35, 0x7f, v36
	v_cmpx_ne_u32_e32 0x7f, v35
	s_cbranch_execz .LBB446_1378
; %bb.1375:                             ;   in Loop: Header=BB446_13 Depth=1
	v_and_b32_e32 v19, 7, v36
	v_lshrrev_b32_e32 v89, 3, v35
	v_cmp_gt_u32_e64 s1, 8, v35
	s_delay_alu instid0(VALU_DEP_3) | instskip(NEXT) | instid1(VALU_DEP_2)
	v_dual_mov_b32 v36, v20 :: v_dual_mov_b32 v35, v19
	s_and_saveexec_b32 s24, s1
; %bb.1376:                             ;   in Loop: Header=BB446_13 Depth=1
	v_clz_i32_u32_e32 v35, v19
	s_delay_alu instid0(VALU_DEP_1) | instskip(NEXT) | instid1(VALU_DEP_1)
	v_min_u32_e32 v89, 32, v35
	v_subrev_nc_u32_e32 v35, 28, v89
	v_sub_nc_u32_e32 v89, 29, v89
	s_delay_alu instid0(VALU_DEP_2) | instskip(NEXT) | instid1(VALU_DEP_1)
	v_lshlrev_b64 v[35:36], v35, v[19:20]
	v_and_b32_e32 v35, 7, v35
; %bb.1377:                             ;   in Loop: Header=BB446_13 Depth=1
	s_or_b32 exec_lo, exec_lo, s24
	v_lshlrev_b32_e32 v19, 16, v33
	s_delay_alu instid0(VALU_DEP_2) | instskip(SKIP_1) | instid1(VALU_DEP_3)
	v_lshlrev_b32_e32 v35, 20, v35
	v_lshl_add_u32 v36, v89, 23, 0x3c000000
	v_and_b32_e32 v19, 0x80000000, v19
	s_delay_alu instid0(VALU_DEP_1)
	v_or3_b32 v19, v35, v19, v36
.LBB446_1378:                           ;   in Loop: Header=BB446_13 Depth=1
	s_or_b32 exec_lo, exec_lo, s23
.LBB446_1379:                           ;   in Loop: Header=BB446_13 Depth=1
	s_delay_alu instid0(SALU_CYCLE_1)
	s_or_b32 exec_lo, exec_lo, s22
.LBB446_1380:                           ;   in Loop: Header=BB446_13 Depth=1
	s_delay_alu instid0(SALU_CYCLE_1) | instskip(NEXT) | instid1(VALU_DEP_1)
	s_or_b32 exec_lo, exec_lo, s21
	v_mul_f32_e32 v19, v187, v19
                                        ; implicit-def: $vgpr89
	s_delay_alu instid0(VALU_DEP_1) | instskip(NEXT) | instid1(VALU_DEP_1)
	v_and_b32_e32 v35, 0x7f800000, v19
	v_cmp_ne_u32_e64 s1, 0x7f800000, v35
	s_delay_alu instid0(VALU_DEP_1) | instskip(NEXT) | instid1(SALU_CYCLE_1)
	s_and_saveexec_b32 s21, s1
	s_xor_b32 s1, exec_lo, s21
; %bb.1381:                             ;   in Loop: Header=BB446_13 Depth=1
	v_bfe_u32 v35, v19, 16, 1
	s_delay_alu instid0(VALU_DEP_1)
	v_add3_u32 v89, v19, v35, 0x7fff
                                        ; implicit-def: $vgpr19
; %bb.1382:                             ;   in Loop: Header=BB446_13 Depth=1
	s_and_not1_saveexec_b32 s21, s1
; %bb.1383:                             ;   in Loop: Header=BB446_13 Depth=1
	v_and_b32_e32 v35, 0xffff, v19
	v_or_b32_e32 v36, 0x10000, v19
	s_delay_alu instid0(VALU_DEP_2) | instskip(NEXT) | instid1(VALU_DEP_1)
	v_cmp_eq_u32_e64 s1, 0, v35
	v_cndmask_b32_e64 v89, v36, v19, s1
; %bb.1384:                             ;   in Loop: Header=BB446_13 Depth=1
	s_or_b32 exec_lo, exec_lo, s21
	v_lshrrev_b32_e32 v90, 16, v33
	v_mov_b32_e32 v19, 0
	s_mov_b32 s21, exec_lo
	s_delay_alu instid0(VALU_DEP_2) | instskip(NEXT) | instid1(VALU_DEP_1)
	v_and_b32_e32 v35, 0xff, v90
	v_cmpx_ne_u16_e32 0, v35
	s_cbranch_execz .LBB446_1392
; %bb.1385:                             ;   in Loop: Header=BB446_13 Depth=1
	v_bfrev_b32_e32 v19, 1
	s_mov_b32 s22, exec_lo
	v_cmpx_ne_u16_e32 0x80, v35
	s_cbranch_execz .LBB446_1391
; %bb.1386:                             ;   in Loop: Header=BB446_13 Depth=1
	v_bfe_u32 v35, v33, 16, 7
	v_mov_b32_e32 v19, 0x7f800001
	s_mov_b32 s23, exec_lo
	s_delay_alu instid0(VALU_DEP_2)
	v_cmpx_ne_u32_e32 0x7f, v35
	s_cbranch_execz .LBB446_1390
; %bb.1387:                             ;   in Loop: Header=BB446_13 Depth=1
	v_and_b32_e32 v19, 7, v90
	v_lshrrev_b32_e32 v91, 3, v35
	v_cmp_gt_u32_e64 s1, 8, v35
	s_delay_alu instid0(VALU_DEP_3) | instskip(NEXT) | instid1(VALU_DEP_2)
	v_dual_mov_b32 v36, v20 :: v_dual_mov_b32 v35, v19
	s_and_saveexec_b32 s24, s1
; %bb.1388:                             ;   in Loop: Header=BB446_13 Depth=1
	v_clz_i32_u32_e32 v35, v19
	s_delay_alu instid0(VALU_DEP_1) | instskip(NEXT) | instid1(VALU_DEP_1)
	v_min_u32_e32 v91, 32, v35
	v_subrev_nc_u32_e32 v35, 28, v91
	v_sub_nc_u32_e32 v91, 29, v91
	s_delay_alu instid0(VALU_DEP_2) | instskip(NEXT) | instid1(VALU_DEP_1)
	v_lshlrev_b64 v[35:36], v35, v[19:20]
	v_and_b32_e32 v35, 7, v35
; %bb.1389:                             ;   in Loop: Header=BB446_13 Depth=1
	s_or_b32 exec_lo, exec_lo, s24
	v_lshlrev_b32_e32 v19, 24, v90
	s_delay_alu instid0(VALU_DEP_2) | instskip(SKIP_1) | instid1(VALU_DEP_3)
	v_lshlrev_b32_e32 v35, 20, v35
	v_lshl_add_u32 v36, v91, 23, 0x3c000000
	v_and_b32_e32 v19, 0x80000000, v19
	s_delay_alu instid0(VALU_DEP_1)
	v_or3_b32 v19, v35, v19, v36
.LBB446_1390:                           ;   in Loop: Header=BB446_13 Depth=1
	s_or_b32 exec_lo, exec_lo, s23
.LBB446_1391:                           ;   in Loop: Header=BB446_13 Depth=1
	s_delay_alu instid0(SALU_CYCLE_1)
	s_or_b32 exec_lo, exec_lo, s22
.LBB446_1392:                           ;   in Loop: Header=BB446_13 Depth=1
	s_delay_alu instid0(SALU_CYCLE_1) | instskip(NEXT) | instid1(VALU_DEP_1)
	s_or_b32 exec_lo, exec_lo, s21
	v_mul_f32_e32 v19, v187, v19
                                        ; implicit-def: $vgpr90
	s_delay_alu instid0(VALU_DEP_1) | instskip(NEXT) | instid1(VALU_DEP_1)
	v_and_b32_e32 v35, 0x7f800000, v19
	v_cmp_ne_u32_e64 s1, 0x7f800000, v35
	s_delay_alu instid0(VALU_DEP_1) | instskip(NEXT) | instid1(SALU_CYCLE_1)
	s_and_saveexec_b32 s21, s1
	s_xor_b32 s1, exec_lo, s21
; %bb.1393:                             ;   in Loop: Header=BB446_13 Depth=1
	v_bfe_u32 v35, v19, 16, 1
	s_delay_alu instid0(VALU_DEP_1)
	v_add3_u32 v90, v19, v35, 0x7fff
                                        ; implicit-def: $vgpr19
; %bb.1394:                             ;   in Loop: Header=BB446_13 Depth=1
	s_and_not1_saveexec_b32 s21, s1
; %bb.1395:                             ;   in Loop: Header=BB446_13 Depth=1
	v_and_b32_e32 v35, 0xffff, v19
	v_or_b32_e32 v36, 0x10000, v19
	s_delay_alu instid0(VALU_DEP_2) | instskip(NEXT) | instid1(VALU_DEP_1)
	v_cmp_eq_u32_e64 s1, 0, v35
	v_cndmask_b32_e64 v90, v36, v19, s1
; %bb.1396:                             ;   in Loop: Header=BB446_13 Depth=1
	s_or_b32 exec_lo, exec_lo, s21
	v_mov_b32_e32 v19, 0
	s_mov_b32 s21, exec_lo
	v_cmpx_lt_u32_e32 0xffffff, v33
	s_cbranch_execz .LBB446_1404
; %bb.1397:                             ;   in Loop: Header=BB446_13 Depth=1
	v_lshrrev_b32_e32 v91, 24, v33
	v_bfrev_b32_e32 v19, 1
	s_mov_b32 s22, exec_lo
	s_delay_alu instid0(VALU_DEP_2)
	v_cmpx_ne_u32_e32 0x80, v91
	s_cbranch_execz .LBB446_1403
; %bb.1398:                             ;   in Loop: Header=BB446_13 Depth=1
	v_bfe_u32 v35, v33, 24, 7
	v_mov_b32_e32 v19, 0x7f800001
	s_mov_b32 s23, exec_lo
	s_delay_alu instid0(VALU_DEP_2)
	v_cmpx_ne_u32_e32 0x7f, v35
	s_cbranch_execz .LBB446_1402
; %bb.1399:                             ;   in Loop: Header=BB446_13 Depth=1
	v_and_b32_e32 v19, 7, v91
	v_lshrrev_b32_e32 v92, 3, v35
	v_cmp_gt_u32_e64 s1, 8, v35
	s_delay_alu instid0(VALU_DEP_3) | instskip(NEXT) | instid1(VALU_DEP_2)
	v_dual_mov_b32 v36, v20 :: v_dual_mov_b32 v35, v19
	s_and_saveexec_b32 s24, s1
; %bb.1400:                             ;   in Loop: Header=BB446_13 Depth=1
	v_clz_i32_u32_e32 v35, v19
	s_delay_alu instid0(VALU_DEP_1) | instskip(NEXT) | instid1(VALU_DEP_1)
	v_min_u32_e32 v92, 32, v35
	v_subrev_nc_u32_e32 v35, 28, v92
	v_sub_nc_u32_e32 v92, 29, v92
	s_delay_alu instid0(VALU_DEP_2) | instskip(NEXT) | instid1(VALU_DEP_1)
	v_lshlrev_b64 v[35:36], v35, v[19:20]
	v_and_b32_e32 v35, 7, v35
; %bb.1401:                             ;   in Loop: Header=BB446_13 Depth=1
	s_or_b32 exec_lo, exec_lo, s24
	v_lshlrev_b32_e32 v19, 24, v91
	s_delay_alu instid0(VALU_DEP_2) | instskip(SKIP_1) | instid1(VALU_DEP_3)
	v_lshlrev_b32_e32 v35, 20, v35
	v_lshl_add_u32 v36, v92, 23, 0x3c000000
	v_and_b32_e32 v19, 0x80000000, v19
	s_delay_alu instid0(VALU_DEP_1)
	v_or3_b32 v19, v35, v19, v36
.LBB446_1402:                           ;   in Loop: Header=BB446_13 Depth=1
	s_or_b32 exec_lo, exec_lo, s23
.LBB446_1403:                           ;   in Loop: Header=BB446_13 Depth=1
	s_delay_alu instid0(SALU_CYCLE_1)
	s_or_b32 exec_lo, exec_lo, s22
.LBB446_1404:                           ;   in Loop: Header=BB446_13 Depth=1
	s_delay_alu instid0(SALU_CYCLE_1) | instskip(NEXT) | instid1(VALU_DEP_1)
	s_or_b32 exec_lo, exec_lo, s21
	v_mul_f32_e32 v19, v187, v19
                                        ; implicit-def: $vgpr91
	s_delay_alu instid0(VALU_DEP_1) | instskip(NEXT) | instid1(VALU_DEP_1)
	v_and_b32_e32 v35, 0x7f800000, v19
	v_cmp_ne_u32_e64 s1, 0x7f800000, v35
	s_delay_alu instid0(VALU_DEP_1) | instskip(NEXT) | instid1(SALU_CYCLE_1)
	s_and_saveexec_b32 s21, s1
	s_xor_b32 s1, exec_lo, s21
; %bb.1405:                             ;   in Loop: Header=BB446_13 Depth=1
	v_bfe_u32 v35, v19, 16, 1
	s_delay_alu instid0(VALU_DEP_1)
	v_add3_u32 v91, v19, v35, 0x7fff
                                        ; implicit-def: $vgpr19
; %bb.1406:                             ;   in Loop: Header=BB446_13 Depth=1
	s_and_not1_saveexec_b32 s21, s1
; %bb.1407:                             ;   in Loop: Header=BB446_13 Depth=1
	v_and_b32_e32 v35, 0xffff, v19
	v_or_b32_e32 v36, 0x10000, v19
	s_delay_alu instid0(VALU_DEP_2) | instskip(NEXT) | instid1(VALU_DEP_1)
	v_cmp_eq_u32_e64 s1, 0, v35
	v_cndmask_b32_e64 v91, v36, v19, s1
; %bb.1408:                             ;   in Loop: Header=BB446_13 Depth=1
	s_or_b32 exec_lo, exec_lo, s21
	v_dual_mov_b32 v19, v34 :: v_dual_and_b32 v36, 0xff, v34
	v_mov_b32_e32 v35, 0
	s_mov_b32 s21, exec_lo
	s_delay_alu instid0(VALU_DEP_2)
	v_cmpx_ne_u16_e32 0, v36
	s_cbranch_execz .LBB446_1416
; %bb.1409:                             ;   in Loop: Header=BB446_13 Depth=1
	v_bfrev_b32_e32 v35, 1
	s_mov_b32 s22, exec_lo
	v_cmpx_ne_u16_e32 0x80, v36
	s_cbranch_execz .LBB446_1415
; %bb.1410:                             ;   in Loop: Header=BB446_13 Depth=1
	v_and_b32_e32 v36, 0x7f, v34
	v_mov_b32_e32 v35, 0x7f800001
	s_mov_b32 s23, exec_lo
	s_delay_alu instid0(VALU_DEP_2)
	v_cmpx_ne_u32_e32 0x7f, v36
	s_cbranch_execz .LBB446_1414
; %bb.1411:                             ;   in Loop: Header=BB446_13 Depth=1
	v_lshrrev_b32_e32 v92, 3, v36
	v_cmp_gt_u32_e64 s1, 8, v36
	v_dual_mov_b32 v36, v20 :: v_dual_mov_b32 v35, v19
	s_delay_alu instid0(VALU_DEP_2)
	s_and_saveexec_b32 s24, s1
; %bb.1412:                             ;   in Loop: Header=BB446_13 Depth=1
	v_and_b32_e32 v35, 7, v34
	s_delay_alu instid0(VALU_DEP_1) | instskip(NEXT) | instid1(VALU_DEP_1)
	v_clz_i32_u32_e32 v35, v35
	v_min_u32_e32 v92, 32, v35
	s_delay_alu instid0(VALU_DEP_1) | instskip(SKIP_1) | instid1(VALU_DEP_2)
	v_subrev_nc_u32_e32 v35, 28, v92
	v_sub_nc_u32_e32 v92, 29, v92
	v_lshlrev_b64 v[35:36], v35, v[19:20]
; %bb.1413:                             ;   in Loop: Header=BB446_13 Depth=1
	s_or_b32 exec_lo, exec_lo, s24
	s_delay_alu instid0(VALU_DEP_1) | instskip(SKIP_2) | instid1(VALU_DEP_3)
	v_lshlrev_b32_e32 v35, 20, v35
	v_lshlrev_b32_e32 v36, 24, v19
	v_lshl_add_u32 v92, v92, 23, 0x3c000000
	v_and_b32_e32 v35, 0x700000, v35
	s_delay_alu instid0(VALU_DEP_3) | instskip(NEXT) | instid1(VALU_DEP_1)
	v_and_b32_e32 v36, 0x80000000, v36
	v_or3_b32 v35, v35, v36, v92
.LBB446_1414:                           ;   in Loop: Header=BB446_13 Depth=1
	s_or_b32 exec_lo, exec_lo, s23
.LBB446_1415:                           ;   in Loop: Header=BB446_13 Depth=1
	s_delay_alu instid0(SALU_CYCLE_1)
	s_or_b32 exec_lo, exec_lo, s22
.LBB446_1416:                           ;   in Loop: Header=BB446_13 Depth=1
	s_delay_alu instid0(SALU_CYCLE_1) | instskip(NEXT) | instid1(VALU_DEP_1)
	s_or_b32 exec_lo, exec_lo, s21
	v_mul_f32_e32 v35, v187, v35
                                        ; implicit-def: $vgpr92
	s_delay_alu instid0(VALU_DEP_1) | instskip(NEXT) | instid1(VALU_DEP_1)
	v_and_b32_e32 v36, 0x7f800000, v35
	v_cmp_ne_u32_e64 s1, 0x7f800000, v36
	s_delay_alu instid0(VALU_DEP_1) | instskip(NEXT) | instid1(SALU_CYCLE_1)
	s_and_saveexec_b32 s21, s1
	s_xor_b32 s1, exec_lo, s21
; %bb.1417:                             ;   in Loop: Header=BB446_13 Depth=1
	v_bfe_u32 v36, v35, 16, 1
	s_delay_alu instid0(VALU_DEP_1)
	v_add3_u32 v92, v35, v36, 0x7fff
                                        ; implicit-def: $vgpr35
; %bb.1418:                             ;   in Loop: Header=BB446_13 Depth=1
	s_and_not1_saveexec_b32 s21, s1
; %bb.1419:                             ;   in Loop: Header=BB446_13 Depth=1
	v_and_b32_e32 v36, 0xffff, v35
	v_or_b32_e32 v92, 0x10000, v35
	s_delay_alu instid0(VALU_DEP_2) | instskip(NEXT) | instid1(VALU_DEP_1)
	v_cmp_eq_u32_e64 s1, 0, v36
	v_cndmask_b32_e64 v92, v92, v35, s1
; %bb.1420:                             ;   in Loop: Header=BB446_13 Depth=1
	s_or_b32 exec_lo, exec_lo, s21
	v_lshrrev_b16 v36, 8, v19
	v_mov_b32_e32 v35, 0
	s_mov_b32 s21, exec_lo
	s_delay_alu instid0(VALU_DEP_2)
	v_cmpx_ne_u16_e32 0, v36
	s_cbranch_execz .LBB446_1428
; %bb.1421:                             ;   in Loop: Header=BB446_13 Depth=1
	v_bfrev_b32_e32 v35, 1
	s_mov_b32 s22, exec_lo
	v_cmpx_ne_u16_e32 0x80, v36
	s_cbranch_execz .LBB446_1427
; %bb.1422:                             ;   in Loop: Header=BB446_13 Depth=1
	v_and_b32_e32 v36, 0xffff, v36
	v_mov_b32_e32 v35, 0x7f800001
	s_mov_b32 s23, exec_lo
	s_delay_alu instid0(VALU_DEP_2) | instskip(NEXT) | instid1(VALU_DEP_1)
	v_and_b32_e32 v94, 0x7f, v36
	v_cmpx_ne_u32_e32 0x7f, v94
	s_cbranch_execz .LBB446_1426
; %bb.1423:                             ;   in Loop: Header=BB446_13 Depth=1
	v_dual_mov_b32 v36, v20 :: v_dual_and_b32 v35, 7, v36
	v_lshrrev_b32_e32 v93, 3, v94
	s_mov_b32 s24, exec_lo
	v_cmpx_gt_u32_e32 8, v94
; %bb.1424:                             ;   in Loop: Header=BB446_13 Depth=1
	s_delay_alu instid0(VALU_DEP_3) | instskip(NEXT) | instid1(VALU_DEP_1)
	v_clz_i32_u32_e32 v93, v35
	v_min_u32_e32 v93, 32, v93
	s_delay_alu instid0(VALU_DEP_1) | instskip(SKIP_1) | instid1(VALU_DEP_2)
	v_subrev_nc_u32_e32 v94, 28, v93
	v_sub_nc_u32_e32 v93, 29, v93
	v_lshlrev_b64 v[35:36], v94, v[35:36]
	s_delay_alu instid0(VALU_DEP_1)
	v_and_b32_e32 v35, 7, v35
; %bb.1425:                             ;   in Loop: Header=BB446_13 Depth=1
	s_or_b32 exec_lo, exec_lo, s24
	v_lshlrev_b32_e32 v19, 16, v19
	s_delay_alu instid0(VALU_DEP_2) | instskip(SKIP_1) | instid1(VALU_DEP_3)
	v_lshlrev_b32_e32 v35, 20, v35
	v_lshl_add_u32 v36, v93, 23, 0x3c000000
	v_and_b32_e32 v19, 0x80000000, v19
	s_delay_alu instid0(VALU_DEP_1)
	v_or3_b32 v35, v35, v19, v36
.LBB446_1426:                           ;   in Loop: Header=BB446_13 Depth=1
	s_or_b32 exec_lo, exec_lo, s23
.LBB446_1427:                           ;   in Loop: Header=BB446_13 Depth=1
	s_delay_alu instid0(SALU_CYCLE_1)
	s_or_b32 exec_lo, exec_lo, s22
.LBB446_1428:                           ;   in Loop: Header=BB446_13 Depth=1
	s_delay_alu instid0(SALU_CYCLE_1) | instskip(NEXT) | instid1(VALU_DEP_1)
	s_or_b32 exec_lo, exec_lo, s21
	v_mul_f32_e32 v19, v187, v35
                                        ; implicit-def: $vgpr93
	s_delay_alu instid0(VALU_DEP_1) | instskip(NEXT) | instid1(VALU_DEP_1)
	v_and_b32_e32 v35, 0x7f800000, v19
	v_cmp_ne_u32_e64 s1, 0x7f800000, v35
	s_delay_alu instid0(VALU_DEP_1) | instskip(NEXT) | instid1(SALU_CYCLE_1)
	s_and_saveexec_b32 s21, s1
	s_xor_b32 s1, exec_lo, s21
; %bb.1429:                             ;   in Loop: Header=BB446_13 Depth=1
	v_bfe_u32 v35, v19, 16, 1
	s_delay_alu instid0(VALU_DEP_1)
	v_add3_u32 v93, v19, v35, 0x7fff
                                        ; implicit-def: $vgpr19
; %bb.1430:                             ;   in Loop: Header=BB446_13 Depth=1
	s_and_not1_saveexec_b32 s21, s1
; %bb.1431:                             ;   in Loop: Header=BB446_13 Depth=1
	v_and_b32_e32 v35, 0xffff, v19
	v_or_b32_e32 v36, 0x10000, v19
	s_delay_alu instid0(VALU_DEP_2) | instskip(NEXT) | instid1(VALU_DEP_1)
	v_cmp_eq_u32_e64 s1, 0, v35
	v_cndmask_b32_e64 v93, v36, v19, s1
; %bb.1432:                             ;   in Loop: Header=BB446_13 Depth=1
	s_or_b32 exec_lo, exec_lo, s21
	v_lshrrev_b32_e32 v94, 16, v34
	v_mov_b32_e32 v19, 0
	s_mov_b32 s21, exec_lo
	s_delay_alu instid0(VALU_DEP_2) | instskip(NEXT) | instid1(VALU_DEP_1)
	v_and_b32_e32 v35, 0xff, v94
	v_cmpx_ne_u16_e32 0, v35
	s_cbranch_execz .LBB446_1440
; %bb.1433:                             ;   in Loop: Header=BB446_13 Depth=1
	v_bfrev_b32_e32 v19, 1
	s_mov_b32 s22, exec_lo
	v_cmpx_ne_u16_e32 0x80, v35
	s_cbranch_execz .LBB446_1439
; %bb.1434:                             ;   in Loop: Header=BB446_13 Depth=1
	v_bfe_u32 v35, v34, 16, 7
	v_mov_b32_e32 v19, 0x7f800001
	s_mov_b32 s23, exec_lo
	s_delay_alu instid0(VALU_DEP_2)
	v_cmpx_ne_u32_e32 0x7f, v35
	s_cbranch_execz .LBB446_1438
; %bb.1435:                             ;   in Loop: Header=BB446_13 Depth=1
	v_and_b32_e32 v19, 7, v94
	v_lshrrev_b32_e32 v95, 3, v35
	v_cmp_gt_u32_e64 s1, 8, v35
	s_delay_alu instid0(VALU_DEP_3) | instskip(NEXT) | instid1(VALU_DEP_2)
	v_dual_mov_b32 v36, v20 :: v_dual_mov_b32 v35, v19
	s_and_saveexec_b32 s24, s1
; %bb.1436:                             ;   in Loop: Header=BB446_13 Depth=1
	v_clz_i32_u32_e32 v35, v19
	s_delay_alu instid0(VALU_DEP_1) | instskip(NEXT) | instid1(VALU_DEP_1)
	v_min_u32_e32 v95, 32, v35
	v_subrev_nc_u32_e32 v35, 28, v95
	v_sub_nc_u32_e32 v95, 29, v95
	s_delay_alu instid0(VALU_DEP_2) | instskip(NEXT) | instid1(VALU_DEP_1)
	v_lshlrev_b64 v[35:36], v35, v[19:20]
	v_and_b32_e32 v35, 7, v35
; %bb.1437:                             ;   in Loop: Header=BB446_13 Depth=1
	s_or_b32 exec_lo, exec_lo, s24
	v_lshlrev_b32_e32 v19, 24, v94
	s_delay_alu instid0(VALU_DEP_2) | instskip(SKIP_1) | instid1(VALU_DEP_3)
	v_lshlrev_b32_e32 v35, 20, v35
	v_lshl_add_u32 v36, v95, 23, 0x3c000000
	v_and_b32_e32 v19, 0x80000000, v19
	s_delay_alu instid0(VALU_DEP_1)
	v_or3_b32 v19, v35, v19, v36
.LBB446_1438:                           ;   in Loop: Header=BB446_13 Depth=1
	s_or_b32 exec_lo, exec_lo, s23
.LBB446_1439:                           ;   in Loop: Header=BB446_13 Depth=1
	s_delay_alu instid0(SALU_CYCLE_1)
	s_or_b32 exec_lo, exec_lo, s22
.LBB446_1440:                           ;   in Loop: Header=BB446_13 Depth=1
	s_delay_alu instid0(SALU_CYCLE_1) | instskip(NEXT) | instid1(VALU_DEP_1)
	s_or_b32 exec_lo, exec_lo, s21
	v_mul_f32_e32 v19, v187, v19
	s_delay_alu instid0(VALU_DEP_1) | instskip(NEXT) | instid1(VALU_DEP_1)
	v_and_b32_e32 v35, 0x7f800000, v19
	v_cmp_ne_u32_e64 s1, 0x7f800000, v35
                                        ; implicit-def: $vgpr35
	s_delay_alu instid0(VALU_DEP_1) | instskip(NEXT) | instid1(SALU_CYCLE_1)
	s_and_saveexec_b32 s21, s1
	s_xor_b32 s1, exec_lo, s21
; %bb.1441:                             ;   in Loop: Header=BB446_13 Depth=1
	v_bfe_u32 v35, v19, 16, 1
	s_delay_alu instid0(VALU_DEP_1)
	v_add3_u32 v35, v19, v35, 0x7fff
                                        ; implicit-def: $vgpr19
; %bb.1442:                             ;   in Loop: Header=BB446_13 Depth=1
	s_and_not1_saveexec_b32 s21, s1
; %bb.1443:                             ;   in Loop: Header=BB446_13 Depth=1
	v_and_b32_e32 v35, 0xffff, v19
	v_or_b32_e32 v36, 0x10000, v19
	s_delay_alu instid0(VALU_DEP_2) | instskip(NEXT) | instid1(VALU_DEP_1)
	v_cmp_eq_u32_e64 s1, 0, v35
	v_cndmask_b32_e64 v35, v36, v19, s1
; %bb.1444:                             ;   in Loop: Header=BB446_13 Depth=1
	s_or_b32 exec_lo, exec_lo, s21
	v_mov_b32_e32 v19, 0
	s_mov_b32 s21, exec_lo
	v_cmpx_lt_u64_e64 s[16:17], v[33:34]
	s_cbranch_execz .LBB446_1452
; %bb.1445:                             ;   in Loop: Header=BB446_13 Depth=1
	v_lshrrev_b32_e32 v36, 24, v34
	v_bfrev_b32_e32 v19, 1
	s_mov_b32 s22, exec_lo
	s_delay_alu instid0(VALU_DEP_2)
	v_cmpx_ne_u32_e32 0x80, v36
	s_cbranch_execz .LBB446_1451
; %bb.1446:                             ;   in Loop: Header=BB446_13 Depth=1
	v_bfe_u32 v33, v34, 24, 7
	v_mov_b32_e32 v19, 0x7f800001
	s_mov_b32 s23, exec_lo
	s_delay_alu instid0(VALU_DEP_2)
	v_cmpx_ne_u32_e32 0x7f, v33
	s_cbranch_execz .LBB446_1450
; %bb.1447:                             ;   in Loop: Header=BB446_13 Depth=1
	v_and_b32_e32 v19, 7, v36
	v_lshrrev_b32_e32 v94, 3, v33
	v_cmp_gt_u32_e64 s1, 8, v33
	s_delay_alu instid0(VALU_DEP_3) | instskip(NEXT) | instid1(VALU_DEP_2)
	v_dual_mov_b32 v34, v20 :: v_dual_mov_b32 v33, v19
	s_and_saveexec_b32 s24, s1
; %bb.1448:                             ;   in Loop: Header=BB446_13 Depth=1
	v_clz_i32_u32_e32 v33, v19
	s_delay_alu instid0(VALU_DEP_1) | instskip(NEXT) | instid1(VALU_DEP_1)
	v_min_u32_e32 v94, 32, v33
	v_subrev_nc_u32_e32 v33, 28, v94
	v_sub_nc_u32_e32 v94, 29, v94
	s_delay_alu instid0(VALU_DEP_2) | instskip(NEXT) | instid1(VALU_DEP_1)
	v_lshlrev_b64 v[33:34], v33, v[19:20]
	v_and_b32_e32 v33, 7, v33
; %bb.1449:                             ;   in Loop: Header=BB446_13 Depth=1
	s_or_b32 exec_lo, exec_lo, s24
	v_lshlrev_b32_e32 v19, 24, v36
	s_delay_alu instid0(VALU_DEP_2) | instskip(SKIP_1) | instid1(VALU_DEP_3)
	v_lshlrev_b32_e32 v33, 20, v33
	v_lshl_add_u32 v34, v94, 23, 0x3c000000
	v_and_b32_e32 v19, 0x80000000, v19
	s_delay_alu instid0(VALU_DEP_1)
	v_or3_b32 v19, v33, v19, v34
.LBB446_1450:                           ;   in Loop: Header=BB446_13 Depth=1
	s_or_b32 exec_lo, exec_lo, s23
.LBB446_1451:                           ;   in Loop: Header=BB446_13 Depth=1
	s_delay_alu instid0(SALU_CYCLE_1)
	s_or_b32 exec_lo, exec_lo, s22
.LBB446_1452:                           ;   in Loop: Header=BB446_13 Depth=1
	s_delay_alu instid0(SALU_CYCLE_1) | instskip(NEXT) | instid1(VALU_DEP_1)
	s_or_b32 exec_lo, exec_lo, s21
	v_mul_f32_e32 v19, v187, v19
                                        ; implicit-def: $vgpr36
	s_delay_alu instid0(VALU_DEP_1) | instskip(NEXT) | instid1(VALU_DEP_1)
	v_and_b32_e32 v33, 0x7f800000, v19
	v_cmp_ne_u32_e64 s1, 0x7f800000, v33
	s_delay_alu instid0(VALU_DEP_1) | instskip(NEXT) | instid1(SALU_CYCLE_1)
	s_and_saveexec_b32 s21, s1
	s_xor_b32 s1, exec_lo, s21
; %bb.1453:                             ;   in Loop: Header=BB446_13 Depth=1
	v_bfe_u32 v33, v19, 16, 1
	s_delay_alu instid0(VALU_DEP_1)
	v_add3_u32 v36, v19, v33, 0x7fff
                                        ; implicit-def: $vgpr19
; %bb.1454:                             ;   in Loop: Header=BB446_13 Depth=1
	s_and_not1_saveexec_b32 s21, s1
; %bb.1455:                             ;   in Loop: Header=BB446_13 Depth=1
	v_and_b32_e32 v33, 0xffff, v19
	v_or_b32_e32 v34, 0x10000, v19
	s_delay_alu instid0(VALU_DEP_2) | instskip(NEXT) | instid1(VALU_DEP_1)
	v_cmp_eq_u32_e64 s1, 0, v33
	v_cndmask_b32_e64 v36, v34, v19, s1
; %bb.1456:                             ;   in Loop: Header=BB446_13 Depth=1
	s_or_b32 exec_lo, exec_lo, s21
	flat_load_b64 v[31:32], v[31:32] offset:3592
	v_mov_b32_e32 v19, 0
	s_mov_b32 s21, exec_lo
	s_waitcnt vmcnt(0) lgkmcnt(0)
	v_and_b32_e32 v33, 0xff, v31
	s_delay_alu instid0(VALU_DEP_1)
	v_cmpx_ne_u16_e32 0, v33
	s_cbranch_execz .LBB446_1464
; %bb.1457:                             ;   in Loop: Header=BB446_13 Depth=1
	v_bfrev_b32_e32 v19, 1
	s_mov_b32 s22, exec_lo
	v_cmpx_ne_u16_e32 0x80, v33
	s_cbranch_execz .LBB446_1463
; %bb.1458:                             ;   in Loop: Header=BB446_13 Depth=1
	v_and_b32_e32 v33, 0x7f, v31
	v_mov_b32_e32 v19, 0x7f800001
	s_mov_b32 s23, exec_lo
	s_delay_alu instid0(VALU_DEP_2)
	v_cmpx_ne_u32_e32 0x7f, v33
	s_cbranch_execz .LBB446_1462
; %bb.1459:                             ;   in Loop: Header=BB446_13 Depth=1
	v_lshrrev_b32_e32 v19, 3, v33
	v_cmp_gt_u32_e64 s1, 8, v33
	v_dual_mov_b32 v34, v32 :: v_dual_mov_b32 v33, v31
	s_delay_alu instid0(VALU_DEP_2)
	s_and_saveexec_b32 s24, s1
; %bb.1460:                             ;   in Loop: Header=BB446_13 Depth=1
	v_and_b32_e32 v19, 7, v31
	s_delay_alu instid0(VALU_DEP_1) | instskip(NEXT) | instid1(VALU_DEP_1)
	v_clz_i32_u32_e32 v19, v19
	v_min_u32_e32 v19, 32, v19
	s_delay_alu instid0(VALU_DEP_1) | instskip(SKIP_1) | instid1(VALU_DEP_2)
	v_subrev_nc_u32_e32 v33, 28, v19
	v_sub_nc_u32_e32 v19, 29, v19
	v_lshlrev_b64 v[33:34], v33, v[31:32]
; %bb.1461:                             ;   in Loop: Header=BB446_13 Depth=1
	s_or_b32 exec_lo, exec_lo, s24
	s_delay_alu instid0(VALU_DEP_1) | instskip(SKIP_2) | instid1(VALU_DEP_3)
	v_lshlrev_b32_e32 v33, 20, v33
	v_lshlrev_b32_e32 v34, 24, v31
	v_lshl_add_u32 v19, v19, 23, 0x3c000000
	v_and_b32_e32 v33, 0x700000, v33
	s_delay_alu instid0(VALU_DEP_3) | instskip(NEXT) | instid1(VALU_DEP_1)
	v_and_b32_e32 v34, 0x80000000, v34
	v_or3_b32 v19, v33, v34, v19
.LBB446_1462:                           ;   in Loop: Header=BB446_13 Depth=1
	s_or_b32 exec_lo, exec_lo, s23
.LBB446_1463:                           ;   in Loop: Header=BB446_13 Depth=1
	s_delay_alu instid0(SALU_CYCLE_1)
	s_or_b32 exec_lo, exec_lo, s22
.LBB446_1464:                           ;   in Loop: Header=BB446_13 Depth=1
	s_delay_alu instid0(SALU_CYCLE_1) | instskip(NEXT) | instid1(VALU_DEP_1)
	s_or_b32 exec_lo, exec_lo, s21
	v_mul_f32_e32 v19, v187, v19
                                        ; implicit-def: $vgpr94
	s_delay_alu instid0(VALU_DEP_1) | instskip(NEXT) | instid1(VALU_DEP_1)
	v_and_b32_e32 v33, 0x7f800000, v19
	v_cmp_ne_u32_e64 s1, 0x7f800000, v33
	s_delay_alu instid0(VALU_DEP_1) | instskip(NEXT) | instid1(SALU_CYCLE_1)
	s_and_saveexec_b32 s21, s1
	s_xor_b32 s1, exec_lo, s21
; %bb.1465:                             ;   in Loop: Header=BB446_13 Depth=1
	v_bfe_u32 v33, v19, 16, 1
	s_delay_alu instid0(VALU_DEP_1)
	v_add3_u32 v94, v19, v33, 0x7fff
                                        ; implicit-def: $vgpr19
; %bb.1466:                             ;   in Loop: Header=BB446_13 Depth=1
	s_and_not1_saveexec_b32 s21, s1
; %bb.1467:                             ;   in Loop: Header=BB446_13 Depth=1
	v_and_b32_e32 v33, 0xffff, v19
	v_or_b32_e32 v34, 0x10000, v19
	s_delay_alu instid0(VALU_DEP_2) | instskip(NEXT) | instid1(VALU_DEP_1)
	v_cmp_eq_u32_e64 s1, 0, v33
	v_cndmask_b32_e64 v94, v34, v19, s1
; %bb.1468:                             ;   in Loop: Header=BB446_13 Depth=1
	s_or_b32 exec_lo, exec_lo, s21
	v_lshrrev_b16 v33, 8, v31
	v_mov_b32_e32 v19, 0
	s_mov_b32 s21, exec_lo
	s_delay_alu instid0(VALU_DEP_2)
	v_cmpx_ne_u16_e32 0, v33
	s_cbranch_execz .LBB446_1476
; %bb.1469:                             ;   in Loop: Header=BB446_13 Depth=1
	v_bfrev_b32_e32 v19, 1
	s_mov_b32 s22, exec_lo
	v_cmpx_ne_u16_e32 0x80, v33
	s_cbranch_execz .LBB446_1475
; %bb.1470:                             ;   in Loop: Header=BB446_13 Depth=1
	v_and_b32_e32 v33, 0xffff, v33
	v_mov_b32_e32 v19, 0x7f800001
	s_mov_b32 s23, exec_lo
	s_delay_alu instid0(VALU_DEP_2) | instskip(NEXT) | instid1(VALU_DEP_1)
	v_and_b32_e32 v95, 0x7f, v33
	v_cmpx_ne_u32_e32 0x7f, v95
	s_cbranch_execz .LBB446_1474
; %bb.1471:                             ;   in Loop: Header=BB446_13 Depth=1
	v_and_b32_e32 v19, 7, v33
	v_mov_b32_e32 v34, v20
	v_lshrrev_b32_e32 v34, 3, v95
	s_mov_b32 s24, exec_lo
	s_delay_alu instid0(VALU_DEP_3)
	v_mov_b32_e32 v33, v19
	v_cmpx_gt_u32_e32 8, v95
; %bb.1472:                             ;   in Loop: Header=BB446_13 Depth=1
	v_clz_i32_u32_e32 v33, v19
	s_delay_alu instid0(VALU_DEP_1) | instskip(NEXT) | instid1(VALU_DEP_1)
	v_min_u32_e32 v95, 32, v33
	v_subrev_nc_u32_e32 v33, 28, v95
	s_delay_alu instid0(VALU_DEP_1) | instskip(SKIP_1) | instid1(VALU_DEP_2)
	v_lshlrev_b64 v[33:34], v33, v[19:20]
	v_sub_nc_u32_e32 v34, 29, v95
	v_and_b32_e32 v33, 7, v33
; %bb.1473:                             ;   in Loop: Header=BB446_13 Depth=1
	s_or_b32 exec_lo, exec_lo, s24
	v_lshlrev_b32_e32 v19, 16, v31
	s_delay_alu instid0(VALU_DEP_2) | instskip(SKIP_1) | instid1(VALU_DEP_3)
	v_lshlrev_b32_e32 v33, 20, v33
	v_lshl_add_u32 v34, v34, 23, 0x3c000000
	v_and_b32_e32 v19, 0x80000000, v19
	s_delay_alu instid0(VALU_DEP_1)
	v_or3_b32 v19, v33, v19, v34
.LBB446_1474:                           ;   in Loop: Header=BB446_13 Depth=1
	s_or_b32 exec_lo, exec_lo, s23
.LBB446_1475:                           ;   in Loop: Header=BB446_13 Depth=1
	s_delay_alu instid0(SALU_CYCLE_1)
	s_or_b32 exec_lo, exec_lo, s22
.LBB446_1476:                           ;   in Loop: Header=BB446_13 Depth=1
	s_delay_alu instid0(SALU_CYCLE_1) | instskip(NEXT) | instid1(VALU_DEP_1)
	s_or_b32 exec_lo, exec_lo, s21
	v_mul_f32_e32 v19, v187, v19
                                        ; implicit-def: $vgpr95
	s_delay_alu instid0(VALU_DEP_1) | instskip(NEXT) | instid1(VALU_DEP_1)
	v_and_b32_e32 v33, 0x7f800000, v19
	v_cmp_ne_u32_e64 s1, 0x7f800000, v33
	s_delay_alu instid0(VALU_DEP_1) | instskip(NEXT) | instid1(SALU_CYCLE_1)
	s_and_saveexec_b32 s21, s1
	s_xor_b32 s1, exec_lo, s21
; %bb.1477:                             ;   in Loop: Header=BB446_13 Depth=1
	v_bfe_u32 v33, v19, 16, 1
	s_delay_alu instid0(VALU_DEP_1)
	v_add3_u32 v95, v19, v33, 0x7fff
                                        ; implicit-def: $vgpr19
; %bb.1478:                             ;   in Loop: Header=BB446_13 Depth=1
	s_and_not1_saveexec_b32 s21, s1
; %bb.1479:                             ;   in Loop: Header=BB446_13 Depth=1
	v_and_b32_e32 v33, 0xffff, v19
	v_or_b32_e32 v34, 0x10000, v19
	s_delay_alu instid0(VALU_DEP_2) | instskip(NEXT) | instid1(VALU_DEP_1)
	v_cmp_eq_u32_e64 s1, 0, v33
	v_cndmask_b32_e64 v95, v34, v19, s1
; %bb.1480:                             ;   in Loop: Header=BB446_13 Depth=1
	s_or_b32 exec_lo, exec_lo, s21
	v_lshrrev_b32_e32 v104, 16, v31
	v_mov_b32_e32 v19, 0
	s_mov_b32 s21, exec_lo
	s_delay_alu instid0(VALU_DEP_2) | instskip(NEXT) | instid1(VALU_DEP_1)
	v_and_b32_e32 v33, 0xff, v104
	v_cmpx_ne_u16_e32 0, v33
	s_cbranch_execz .LBB446_1488
; %bb.1481:                             ;   in Loop: Header=BB446_13 Depth=1
	v_bfrev_b32_e32 v19, 1
	s_mov_b32 s22, exec_lo
	v_cmpx_ne_u16_e32 0x80, v33
	s_cbranch_execz .LBB446_1487
; %bb.1482:                             ;   in Loop: Header=BB446_13 Depth=1
	v_bfe_u32 v105, v31, 16, 7
	v_mov_b32_e32 v19, 0x7f800001
	s_mov_b32 s23, exec_lo
	s_delay_alu instid0(VALU_DEP_2)
	v_cmpx_ne_u32_e32 0x7f, v105
	s_cbranch_execz .LBB446_1486
; %bb.1483:                             ;   in Loop: Header=BB446_13 Depth=1
	v_and_b32_e32 v19, 7, v104
	v_mov_b32_e32 v34, v20
	v_lshrrev_b32_e32 v34, 3, v105
	s_mov_b32 s24, exec_lo
	s_delay_alu instid0(VALU_DEP_3)
	v_mov_b32_e32 v33, v19
	v_cmpx_gt_u32_e32 8, v105
; %bb.1484:                             ;   in Loop: Header=BB446_13 Depth=1
	v_clz_i32_u32_e32 v33, v19
	s_delay_alu instid0(VALU_DEP_1) | instskip(NEXT) | instid1(VALU_DEP_1)
	v_min_u32_e32 v105, 32, v33
	v_subrev_nc_u32_e32 v33, 28, v105
	s_delay_alu instid0(VALU_DEP_1) | instskip(SKIP_1) | instid1(VALU_DEP_2)
	v_lshlrev_b64 v[33:34], v33, v[19:20]
	v_sub_nc_u32_e32 v34, 29, v105
	v_and_b32_e32 v33, 7, v33
; %bb.1485:                             ;   in Loop: Header=BB446_13 Depth=1
	s_or_b32 exec_lo, exec_lo, s24
	v_lshlrev_b32_e32 v19, 24, v104
	s_delay_alu instid0(VALU_DEP_2) | instskip(SKIP_1) | instid1(VALU_DEP_3)
	v_lshlrev_b32_e32 v33, 20, v33
	v_lshl_add_u32 v34, v34, 23, 0x3c000000
	v_and_b32_e32 v19, 0x80000000, v19
	s_delay_alu instid0(VALU_DEP_1)
	v_or3_b32 v19, v33, v19, v34
.LBB446_1486:                           ;   in Loop: Header=BB446_13 Depth=1
	s_or_b32 exec_lo, exec_lo, s23
.LBB446_1487:                           ;   in Loop: Header=BB446_13 Depth=1
	s_delay_alu instid0(SALU_CYCLE_1)
	s_or_b32 exec_lo, exec_lo, s22
.LBB446_1488:                           ;   in Loop: Header=BB446_13 Depth=1
	s_delay_alu instid0(SALU_CYCLE_1) | instskip(NEXT) | instid1(VALU_DEP_1)
	s_or_b32 exec_lo, exec_lo, s21
	v_mul_f32_e32 v19, v187, v19
                                        ; implicit-def: $vgpr104
	s_delay_alu instid0(VALU_DEP_1) | instskip(NEXT) | instid1(VALU_DEP_1)
	v_and_b32_e32 v33, 0x7f800000, v19
	v_cmp_ne_u32_e64 s1, 0x7f800000, v33
	s_delay_alu instid0(VALU_DEP_1) | instskip(NEXT) | instid1(SALU_CYCLE_1)
	s_and_saveexec_b32 s21, s1
	s_xor_b32 s1, exec_lo, s21
; %bb.1489:                             ;   in Loop: Header=BB446_13 Depth=1
	v_bfe_u32 v33, v19, 16, 1
	s_delay_alu instid0(VALU_DEP_1)
	v_add3_u32 v104, v19, v33, 0x7fff
                                        ; implicit-def: $vgpr19
; %bb.1490:                             ;   in Loop: Header=BB446_13 Depth=1
	s_and_not1_saveexec_b32 s21, s1
; %bb.1491:                             ;   in Loop: Header=BB446_13 Depth=1
	v_and_b32_e32 v33, 0xffff, v19
	v_or_b32_e32 v34, 0x10000, v19
	s_delay_alu instid0(VALU_DEP_2) | instskip(NEXT) | instid1(VALU_DEP_1)
	v_cmp_eq_u32_e64 s1, 0, v33
	v_cndmask_b32_e64 v104, v34, v19, s1
; %bb.1492:                             ;   in Loop: Header=BB446_13 Depth=1
	s_or_b32 exec_lo, exec_lo, s21
	v_mov_b32_e32 v19, 0
	s_mov_b32 s21, exec_lo
	v_cmpx_lt_u32_e32 0xffffff, v31
	s_cbranch_execz .LBB446_1500
; %bb.1493:                             ;   in Loop: Header=BB446_13 Depth=1
	v_lshrrev_b32_e32 v105, 24, v31
	v_bfrev_b32_e32 v19, 1
	s_mov_b32 s22, exec_lo
	s_delay_alu instid0(VALU_DEP_2)
	v_cmpx_ne_u32_e32 0x80, v105
	s_cbranch_execz .LBB446_1499
; %bb.1494:                             ;   in Loop: Header=BB446_13 Depth=1
	v_bfe_u32 v106, v31, 24, 7
	v_mov_b32_e32 v19, 0x7f800001
	s_mov_b32 s23, exec_lo
	s_delay_alu instid0(VALU_DEP_2)
	v_cmpx_ne_u32_e32 0x7f, v106
	s_cbranch_execz .LBB446_1498
; %bb.1495:                             ;   in Loop: Header=BB446_13 Depth=1
	v_and_b32_e32 v19, 7, v105
	v_mov_b32_e32 v34, v20
	v_lshrrev_b32_e32 v34, 3, v106
	s_mov_b32 s24, exec_lo
	s_delay_alu instid0(VALU_DEP_3)
	v_mov_b32_e32 v33, v19
	v_cmpx_gt_u32_e32 8, v106
; %bb.1496:                             ;   in Loop: Header=BB446_13 Depth=1
	v_clz_i32_u32_e32 v33, v19
	s_delay_alu instid0(VALU_DEP_1) | instskip(NEXT) | instid1(VALU_DEP_1)
	v_min_u32_e32 v106, 32, v33
	v_subrev_nc_u32_e32 v33, 28, v106
	s_delay_alu instid0(VALU_DEP_1) | instskip(SKIP_1) | instid1(VALU_DEP_2)
	v_lshlrev_b64 v[33:34], v33, v[19:20]
	v_sub_nc_u32_e32 v34, 29, v106
	v_and_b32_e32 v33, 7, v33
; %bb.1497:                             ;   in Loop: Header=BB446_13 Depth=1
	s_or_b32 exec_lo, exec_lo, s24
	v_lshlrev_b32_e32 v19, 24, v105
	s_delay_alu instid0(VALU_DEP_2) | instskip(SKIP_1) | instid1(VALU_DEP_3)
	v_lshlrev_b32_e32 v33, 20, v33
	v_lshl_add_u32 v34, v34, 23, 0x3c000000
	v_and_b32_e32 v19, 0x80000000, v19
	s_delay_alu instid0(VALU_DEP_1)
	v_or3_b32 v19, v33, v19, v34
.LBB446_1498:                           ;   in Loop: Header=BB446_13 Depth=1
	s_or_b32 exec_lo, exec_lo, s23
.LBB446_1499:                           ;   in Loop: Header=BB446_13 Depth=1
	s_delay_alu instid0(SALU_CYCLE_1)
	s_or_b32 exec_lo, exec_lo, s22
.LBB446_1500:                           ;   in Loop: Header=BB446_13 Depth=1
	s_delay_alu instid0(SALU_CYCLE_1) | instskip(NEXT) | instid1(VALU_DEP_1)
	s_or_b32 exec_lo, exec_lo, s21
	v_mul_f32_e32 v19, v187, v19
                                        ; implicit-def: $vgpr105
	s_delay_alu instid0(VALU_DEP_1) | instskip(NEXT) | instid1(VALU_DEP_1)
	v_and_b32_e32 v33, 0x7f800000, v19
	v_cmp_ne_u32_e64 s1, 0x7f800000, v33
	s_delay_alu instid0(VALU_DEP_1) | instskip(NEXT) | instid1(SALU_CYCLE_1)
	s_and_saveexec_b32 s21, s1
	s_xor_b32 s1, exec_lo, s21
; %bb.1501:                             ;   in Loop: Header=BB446_13 Depth=1
	v_bfe_u32 v33, v19, 16, 1
	s_delay_alu instid0(VALU_DEP_1)
	v_add3_u32 v105, v19, v33, 0x7fff
                                        ; implicit-def: $vgpr19
; %bb.1502:                             ;   in Loop: Header=BB446_13 Depth=1
	s_and_not1_saveexec_b32 s21, s1
; %bb.1503:                             ;   in Loop: Header=BB446_13 Depth=1
	v_and_b32_e32 v33, 0xffff, v19
	v_or_b32_e32 v34, 0x10000, v19
	s_delay_alu instid0(VALU_DEP_2) | instskip(NEXT) | instid1(VALU_DEP_1)
	v_cmp_eq_u32_e64 s1, 0, v33
	v_cndmask_b32_e64 v105, v34, v19, s1
; %bb.1504:                             ;   in Loop: Header=BB446_13 Depth=1
	s_or_b32 exec_lo, exec_lo, s21
	v_dual_mov_b32 v19, v32 :: v_dual_and_b32 v34, 0xff, v32
	v_mov_b32_e32 v33, 0
	s_mov_b32 s21, exec_lo
	s_delay_alu instid0(VALU_DEP_2)
	v_cmpx_ne_u16_e32 0, v34
	s_cbranch_execz .LBB446_1512
; %bb.1505:                             ;   in Loop: Header=BB446_13 Depth=1
	v_bfrev_b32_e32 v33, 1
	s_mov_b32 s22, exec_lo
	v_cmpx_ne_u16_e32 0x80, v34
	s_cbranch_execz .LBB446_1511
; %bb.1506:                             ;   in Loop: Header=BB446_13 Depth=1
	v_and_b32_e32 v106, 0x7f, v32
	v_mov_b32_e32 v33, 0x7f800001
	s_mov_b32 s23, exec_lo
	s_delay_alu instid0(VALU_DEP_2)
	v_cmpx_ne_u32_e32 0x7f, v106
	s_cbranch_execz .LBB446_1510
; %bb.1507:                             ;   in Loop: Header=BB446_13 Depth=1
	v_dual_mov_b32 v34, v20 :: v_dual_mov_b32 v33, v19
	v_lshrrev_b32_e32 v34, 3, v106
	s_mov_b32 s24, exec_lo
	v_cmpx_gt_u32_e32 8, v106
; %bb.1508:                             ;   in Loop: Header=BB446_13 Depth=1
	v_and_b32_e32 v33, 7, v32
	s_delay_alu instid0(VALU_DEP_1) | instskip(NEXT) | instid1(VALU_DEP_1)
	v_clz_i32_u32_e32 v33, v33
	v_min_u32_e32 v106, 32, v33
	s_delay_alu instid0(VALU_DEP_1) | instskip(NEXT) | instid1(VALU_DEP_1)
	v_subrev_nc_u32_e32 v33, 28, v106
	v_lshlrev_b64 v[33:34], v33, v[19:20]
	v_sub_nc_u32_e32 v34, 29, v106
; %bb.1509:                             ;   in Loop: Header=BB446_13 Depth=1
	s_or_b32 exec_lo, exec_lo, s24
	s_delay_alu instid0(VALU_DEP_2) | instskip(SKIP_1) | instid1(VALU_DEP_3)
	v_lshlrev_b32_e32 v33, 20, v33
	v_lshlrev_b32_e32 v106, 24, v19
	v_lshl_add_u32 v34, v34, 23, 0x3c000000
	s_delay_alu instid0(VALU_DEP_3) | instskip(NEXT) | instid1(VALU_DEP_3)
	v_and_b32_e32 v33, 0x700000, v33
	v_and_b32_e32 v106, 0x80000000, v106
	s_delay_alu instid0(VALU_DEP_1)
	v_or3_b32 v33, v33, v106, v34
.LBB446_1510:                           ;   in Loop: Header=BB446_13 Depth=1
	s_or_b32 exec_lo, exec_lo, s23
.LBB446_1511:                           ;   in Loop: Header=BB446_13 Depth=1
	s_delay_alu instid0(SALU_CYCLE_1)
	s_or_b32 exec_lo, exec_lo, s22
.LBB446_1512:                           ;   in Loop: Header=BB446_13 Depth=1
	s_delay_alu instid0(SALU_CYCLE_1) | instskip(NEXT) | instid1(VALU_DEP_1)
	s_or_b32 exec_lo, exec_lo, s21
	v_mul_f32_e32 v33, v187, v33
                                        ; implicit-def: $vgpr106
	s_delay_alu instid0(VALU_DEP_1) | instskip(NEXT) | instid1(VALU_DEP_1)
	v_and_b32_e32 v34, 0x7f800000, v33
	v_cmp_ne_u32_e64 s1, 0x7f800000, v34
	s_delay_alu instid0(VALU_DEP_1) | instskip(NEXT) | instid1(SALU_CYCLE_1)
	s_and_saveexec_b32 s21, s1
	s_xor_b32 s1, exec_lo, s21
; %bb.1513:                             ;   in Loop: Header=BB446_13 Depth=1
	v_bfe_u32 v34, v33, 16, 1
	s_delay_alu instid0(VALU_DEP_1)
	v_add3_u32 v106, v33, v34, 0x7fff
                                        ; implicit-def: $vgpr33
; %bb.1514:                             ;   in Loop: Header=BB446_13 Depth=1
	s_and_not1_saveexec_b32 s21, s1
; %bb.1515:                             ;   in Loop: Header=BB446_13 Depth=1
	v_and_b32_e32 v34, 0xffff, v33
	v_or_b32_e32 v106, 0x10000, v33
	s_delay_alu instid0(VALU_DEP_2) | instskip(NEXT) | instid1(VALU_DEP_1)
	v_cmp_eq_u32_e64 s1, 0, v34
	v_cndmask_b32_e64 v106, v106, v33, s1
; %bb.1516:                             ;   in Loop: Header=BB446_13 Depth=1
	s_or_b32 exec_lo, exec_lo, s21
	v_lshrrev_b16 v34, 8, v19
	v_mov_b32_e32 v33, 0
	s_mov_b32 s21, exec_lo
	s_delay_alu instid0(VALU_DEP_2)
	v_cmpx_ne_u16_e32 0, v34
	s_cbranch_execz .LBB446_1524
; %bb.1517:                             ;   in Loop: Header=BB446_13 Depth=1
	v_bfrev_b32_e32 v33, 1
	s_mov_b32 s22, exec_lo
	v_cmpx_ne_u16_e32 0x80, v34
	s_cbranch_execz .LBB446_1523
; %bb.1518:                             ;   in Loop: Header=BB446_13 Depth=1
	v_and_b32_e32 v34, 0xffff, v34
	v_mov_b32_e32 v33, 0x7f800001
	s_mov_b32 s23, exec_lo
	s_delay_alu instid0(VALU_DEP_2) | instskip(NEXT) | instid1(VALU_DEP_1)
	v_and_b32_e32 v108, 0x7f, v34
	v_cmpx_ne_u32_e32 0x7f, v108
	s_cbranch_execz .LBB446_1522
; %bb.1519:                             ;   in Loop: Header=BB446_13 Depth=1
	v_dual_mov_b32 v34, v20 :: v_dual_and_b32 v33, 7, v34
	v_lshrrev_b32_e32 v107, 3, v108
	s_mov_b32 s24, exec_lo
	v_cmpx_gt_u32_e32 8, v108
; %bb.1520:                             ;   in Loop: Header=BB446_13 Depth=1
	s_delay_alu instid0(VALU_DEP_3) | instskip(NEXT) | instid1(VALU_DEP_1)
	v_clz_i32_u32_e32 v107, v33
	v_min_u32_e32 v107, 32, v107
	s_delay_alu instid0(VALU_DEP_1) | instskip(SKIP_1) | instid1(VALU_DEP_2)
	v_subrev_nc_u32_e32 v108, 28, v107
	v_sub_nc_u32_e32 v107, 29, v107
	v_lshlrev_b64 v[33:34], v108, v[33:34]
	s_delay_alu instid0(VALU_DEP_1)
	v_and_b32_e32 v33, 7, v33
; %bb.1521:                             ;   in Loop: Header=BB446_13 Depth=1
	s_or_b32 exec_lo, exec_lo, s24
	v_lshlrev_b32_e32 v19, 16, v19
	s_delay_alu instid0(VALU_DEP_2) | instskip(SKIP_1) | instid1(VALU_DEP_3)
	v_lshlrev_b32_e32 v33, 20, v33
	v_lshl_add_u32 v34, v107, 23, 0x3c000000
	v_and_b32_e32 v19, 0x80000000, v19
	s_delay_alu instid0(VALU_DEP_1)
	v_or3_b32 v33, v33, v19, v34
.LBB446_1522:                           ;   in Loop: Header=BB446_13 Depth=1
	s_or_b32 exec_lo, exec_lo, s23
.LBB446_1523:                           ;   in Loop: Header=BB446_13 Depth=1
	s_delay_alu instid0(SALU_CYCLE_1)
	s_or_b32 exec_lo, exec_lo, s22
.LBB446_1524:                           ;   in Loop: Header=BB446_13 Depth=1
	s_delay_alu instid0(SALU_CYCLE_1) | instskip(NEXT) | instid1(VALU_DEP_1)
	s_or_b32 exec_lo, exec_lo, s21
	v_mul_f32_e32 v19, v187, v33
                                        ; implicit-def: $vgpr107
	s_delay_alu instid0(VALU_DEP_1) | instskip(NEXT) | instid1(VALU_DEP_1)
	v_and_b32_e32 v33, 0x7f800000, v19
	v_cmp_ne_u32_e64 s1, 0x7f800000, v33
	s_delay_alu instid0(VALU_DEP_1) | instskip(NEXT) | instid1(SALU_CYCLE_1)
	s_and_saveexec_b32 s21, s1
	s_xor_b32 s1, exec_lo, s21
; %bb.1525:                             ;   in Loop: Header=BB446_13 Depth=1
	v_bfe_u32 v33, v19, 16, 1
	s_delay_alu instid0(VALU_DEP_1)
	v_add3_u32 v107, v19, v33, 0x7fff
                                        ; implicit-def: $vgpr19
; %bb.1526:                             ;   in Loop: Header=BB446_13 Depth=1
	s_and_not1_saveexec_b32 s21, s1
; %bb.1527:                             ;   in Loop: Header=BB446_13 Depth=1
	v_and_b32_e32 v33, 0xffff, v19
	v_or_b32_e32 v34, 0x10000, v19
	s_delay_alu instid0(VALU_DEP_2) | instskip(NEXT) | instid1(VALU_DEP_1)
	v_cmp_eq_u32_e64 s1, 0, v33
	v_cndmask_b32_e64 v107, v34, v19, s1
; %bb.1528:                             ;   in Loop: Header=BB446_13 Depth=1
	s_or_b32 exec_lo, exec_lo, s21
	v_lshrrev_b32_e32 v108, 16, v32
	v_mov_b32_e32 v19, 0
	s_mov_b32 s21, exec_lo
	s_delay_alu instid0(VALU_DEP_2) | instskip(NEXT) | instid1(VALU_DEP_1)
	v_and_b32_e32 v33, 0xff, v108
	v_cmpx_ne_u16_e32 0, v33
	s_cbranch_execz .LBB446_1536
; %bb.1529:                             ;   in Loop: Header=BB446_13 Depth=1
	v_bfrev_b32_e32 v19, 1
	s_mov_b32 s22, exec_lo
	v_cmpx_ne_u16_e32 0x80, v33
	s_cbranch_execz .LBB446_1535
; %bb.1530:                             ;   in Loop: Header=BB446_13 Depth=1
	v_bfe_u32 v109, v32, 16, 7
	v_mov_b32_e32 v19, 0x7f800001
	s_mov_b32 s23, exec_lo
	s_delay_alu instid0(VALU_DEP_2)
	v_cmpx_ne_u32_e32 0x7f, v109
	s_cbranch_execz .LBB446_1534
; %bb.1531:                             ;   in Loop: Header=BB446_13 Depth=1
	v_and_b32_e32 v19, 7, v108
	v_mov_b32_e32 v34, v20
	v_lshrrev_b32_e32 v34, 3, v109
	s_mov_b32 s24, exec_lo
	s_delay_alu instid0(VALU_DEP_3)
	v_mov_b32_e32 v33, v19
	v_cmpx_gt_u32_e32 8, v109
; %bb.1532:                             ;   in Loop: Header=BB446_13 Depth=1
	v_clz_i32_u32_e32 v33, v19
	s_delay_alu instid0(VALU_DEP_1) | instskip(NEXT) | instid1(VALU_DEP_1)
	v_min_u32_e32 v109, 32, v33
	v_subrev_nc_u32_e32 v33, 28, v109
	s_delay_alu instid0(VALU_DEP_1) | instskip(SKIP_1) | instid1(VALU_DEP_2)
	v_lshlrev_b64 v[33:34], v33, v[19:20]
	v_sub_nc_u32_e32 v34, 29, v109
	v_and_b32_e32 v33, 7, v33
; %bb.1533:                             ;   in Loop: Header=BB446_13 Depth=1
	s_or_b32 exec_lo, exec_lo, s24
	v_lshlrev_b32_e32 v19, 24, v108
	s_delay_alu instid0(VALU_DEP_2) | instskip(SKIP_1) | instid1(VALU_DEP_3)
	v_lshlrev_b32_e32 v33, 20, v33
	v_lshl_add_u32 v34, v34, 23, 0x3c000000
	v_and_b32_e32 v19, 0x80000000, v19
	s_delay_alu instid0(VALU_DEP_1)
	v_or3_b32 v19, v33, v19, v34
.LBB446_1534:                           ;   in Loop: Header=BB446_13 Depth=1
	s_or_b32 exec_lo, exec_lo, s23
.LBB446_1535:                           ;   in Loop: Header=BB446_13 Depth=1
	s_delay_alu instid0(SALU_CYCLE_1)
	s_or_b32 exec_lo, exec_lo, s22
.LBB446_1536:                           ;   in Loop: Header=BB446_13 Depth=1
	s_delay_alu instid0(SALU_CYCLE_1) | instskip(NEXT) | instid1(VALU_DEP_1)
	s_or_b32 exec_lo, exec_lo, s21
	v_mul_f32_e32 v19, v187, v19
	s_delay_alu instid0(VALU_DEP_1) | instskip(NEXT) | instid1(VALU_DEP_1)
	v_and_b32_e32 v33, 0x7f800000, v19
	v_cmp_ne_u32_e64 s1, 0x7f800000, v33
                                        ; implicit-def: $vgpr33
	s_delay_alu instid0(VALU_DEP_1) | instskip(NEXT) | instid1(SALU_CYCLE_1)
	s_and_saveexec_b32 s21, s1
	s_xor_b32 s1, exec_lo, s21
; %bb.1537:                             ;   in Loop: Header=BB446_13 Depth=1
	v_bfe_u32 v33, v19, 16, 1
	s_delay_alu instid0(VALU_DEP_1)
	v_add3_u32 v33, v19, v33, 0x7fff
                                        ; implicit-def: $vgpr19
; %bb.1538:                             ;   in Loop: Header=BB446_13 Depth=1
	s_and_not1_saveexec_b32 s21, s1
; %bb.1539:                             ;   in Loop: Header=BB446_13 Depth=1
	v_and_b32_e32 v33, 0xffff, v19
	v_or_b32_e32 v34, 0x10000, v19
	s_delay_alu instid0(VALU_DEP_2) | instskip(NEXT) | instid1(VALU_DEP_1)
	v_cmp_eq_u32_e64 s1, 0, v33
	v_cndmask_b32_e64 v33, v34, v19, s1
; %bb.1540:                             ;   in Loop: Header=BB446_13 Depth=1
	s_or_b32 exec_lo, exec_lo, s21
	v_mov_b32_e32 v19, 0
	s_mov_b32 s21, exec_lo
	v_cmpx_lt_u64_e64 s[16:17], v[31:32]
	s_cbranch_execz .LBB446_1548
; %bb.1541:                             ;   in Loop: Header=BB446_13 Depth=1
	v_lshrrev_b32_e32 v34, 24, v32
	v_bfrev_b32_e32 v19, 1
	s_mov_b32 s22, exec_lo
	s_delay_alu instid0(VALU_DEP_2)
	v_cmpx_ne_u32_e32 0x80, v34
	s_cbranch_execz .LBB446_1547
; %bb.1542:                             ;   in Loop: Header=BB446_13 Depth=1
	v_bfe_u32 v108, v32, 24, 7
	v_mov_b32_e32 v19, 0x7f800001
	s_mov_b32 s23, exec_lo
	s_delay_alu instid0(VALU_DEP_2)
	v_cmpx_ne_u32_e32 0x7f, v108
	s_cbranch_execz .LBB446_1546
; %bb.1543:                             ;   in Loop: Header=BB446_13 Depth=1
	v_and_b32_e32 v19, 7, v34
	v_mov_b32_e32 v32, v20
	v_lshrrev_b32_e32 v32, 3, v108
	s_mov_b32 s24, exec_lo
	s_delay_alu instid0(VALU_DEP_3)
	v_mov_b32_e32 v31, v19
	v_cmpx_gt_u32_e32 8, v108
; %bb.1544:                             ;   in Loop: Header=BB446_13 Depth=1
	v_clz_i32_u32_e32 v31, v19
	s_delay_alu instid0(VALU_DEP_1) | instskip(NEXT) | instid1(VALU_DEP_1)
	v_min_u32_e32 v108, 32, v31
	v_subrev_nc_u32_e32 v31, 28, v108
	s_delay_alu instid0(VALU_DEP_1) | instskip(SKIP_1) | instid1(VALU_DEP_2)
	v_lshlrev_b64 v[31:32], v31, v[19:20]
	v_sub_nc_u32_e32 v32, 29, v108
	v_and_b32_e32 v31, 7, v31
; %bb.1545:                             ;   in Loop: Header=BB446_13 Depth=1
	s_or_b32 exec_lo, exec_lo, s24
	v_lshlrev_b32_e32 v19, 24, v34
	s_delay_alu instid0(VALU_DEP_2) | instskip(SKIP_1) | instid1(VALU_DEP_3)
	v_lshlrev_b32_e32 v31, 20, v31
	v_lshl_add_u32 v32, v32, 23, 0x3c000000
	v_and_b32_e32 v19, 0x80000000, v19
	s_delay_alu instid0(VALU_DEP_1)
	v_or3_b32 v19, v31, v19, v32
.LBB446_1546:                           ;   in Loop: Header=BB446_13 Depth=1
	s_or_b32 exec_lo, exec_lo, s23
.LBB446_1547:                           ;   in Loop: Header=BB446_13 Depth=1
	s_delay_alu instid0(SALU_CYCLE_1)
	s_or_b32 exec_lo, exec_lo, s22
.LBB446_1548:                           ;   in Loop: Header=BB446_13 Depth=1
	s_delay_alu instid0(SALU_CYCLE_1) | instskip(NEXT) | instid1(VALU_DEP_1)
	s_or_b32 exec_lo, exec_lo, s21
	v_mul_f32_e32 v31, v187, v19
	s_delay_alu instid0(VALU_DEP_1) | instskip(NEXT) | instid1(VALU_DEP_1)
	v_and_b32_e32 v19, 0x7f800000, v31
	v_cmp_ne_u32_e64 s1, 0x7f800000, v19
                                        ; implicit-def: $vgpr19
	s_delay_alu instid0(VALU_DEP_1) | instskip(NEXT) | instid1(SALU_CYCLE_1)
	s_and_saveexec_b32 s21, s1
	s_xor_b32 s1, exec_lo, s21
; %bb.1549:                             ;   in Loop: Header=BB446_13 Depth=1
	v_bfe_u32 v19, v31, 16, 1
	s_delay_alu instid0(VALU_DEP_1)
	v_add3_u32 v19, v31, v19, 0x7fff
                                        ; implicit-def: $vgpr31
; %bb.1550:                             ;   in Loop: Header=BB446_13 Depth=1
	s_and_not1_saveexec_b32 s21, s1
	s_cbranch_execz .LBB446_11
; %bb.1551:                             ;   in Loop: Header=BB446_13 Depth=1
	v_and_b32_e32 v19, 0xffff, v31
	v_or_b32_e32 v32, 0x10000, v31
	s_delay_alu instid0(VALU_DEP_2) | instskip(NEXT) | instid1(VALU_DEP_1)
	v_cmp_eq_u32_e64 s1, 0, v19
	v_cndmask_b32_e64 v19, v32, v31, s1
	s_branch .LBB446_11
.LBB446_1552:
	s_or_b32 exec_lo, exec_lo, s20
	s_clause 0xf
	scratch_load_b32 v31, off, s32 offset:744
	scratch_load_b32 v15, off, s32 offset:748
	scratch_load_b32 v14, off, s32 offset:752
	scratch_load_b32 v30, off, s32 offset:756
	scratch_load_b32 v11, off, s32 offset:760
	scratch_load_b32 v10, off, s32 offset:764
	scratch_load_b32 v32, off, s32 offset:768
	scratch_load_b32 v33, off, s32 offset:772
	scratch_load_b32 v34, off, s32 offset:776
	scratch_load_b32 v35, off, s32 offset:780
	scratch_load_b64 v[69:70], off, s32 offset:784
	scratch_load_b32 v21, off, s32 offset:792
	scratch_load_b32 v37, off, s32 offset:796
	;; [unrolled: 1-line block ×5, first 2 shown]
.LBB446_1553:
	s_or_b32 exec_lo, exec_lo, s19
	v_mbcnt_lo_u32_b32 v0, -1, 0
	s_waitcnt lgkmcnt(0)
	s_lshr_b32 s8, s15, 16
	s_delay_alu instid0(VALU_DEP_1) | instskip(SKIP_2) | instid1(VALU_DEP_3)
	v_xor_b32_e32 v1, 16, v0
	v_xor_b32_e32 v3, 8, v0
	;; [unrolled: 1-line block ×3, first 2 shown]
	v_cmp_gt_i32_e32 vcc_lo, 32, v1
	v_cndmask_b32_e32 v1, v0, v1, vcc_lo
	s_delay_alu instid0(VALU_DEP_4) | instskip(NEXT) | instid1(VALU_DEP_2)
	v_cmp_gt_i32_e32 vcc_lo, 32, v3
	v_dual_cndmask_b32 v3, v0, v3 :: v_dual_lshlrev_b32 v2, 2, v1
	v_max_f32_e32 v4, v157, v157
	v_cmp_gt_i32_e32 vcc_lo, 32, v5
	ds_bpermute_b32 v1, v2, v157
	v_lshlrev_b32_e32 v3, 2, v3
	v_cndmask_b32_e32 v5, v0, v5, vcc_lo
	s_waitcnt lgkmcnt(0)
	v_max_f32_e32 v1, v1, v1
	s_delay_alu instid0(VALU_DEP_1) | instskip(SKIP_3) | instid1(VALU_DEP_1)
	v_max_f32_e32 v1, v4, v1
	ds_bpermute_b32 v4, v3, v1
	s_waitcnt lgkmcnt(0)
	v_max_f32_e32 v6, v4, v4
	v_dual_max_f32 v1, v1, v6 :: v_dual_lshlrev_b32 v4, 2, v5
	v_xor_b32_e32 v6, 2, v0
	ds_bpermute_b32 v5, v4, v1
	v_cmp_gt_i32_e32 vcc_lo, 32, v6
	s_waitcnt lgkmcnt(0)
	v_dual_cndmask_b32 v6, v0, v6 :: v_dual_max_f32 v5, v5, v5
	s_delay_alu instid0(VALU_DEP_1) | instskip(SKIP_1) | instid1(VALU_DEP_1)
	v_lshlrev_b32_e32 v20, 2, v6
	v_xor_b32_e32 v6, 1, v0
	v_cmp_gt_i32_e32 vcc_lo, 32, v6
	s_delay_alu instid0(VALU_DEP_4) | instskip(SKIP_4) | instid1(VALU_DEP_1)
	v_dual_max_f32 v1, v1, v5 :: v_dual_cndmask_b32 v6, v0, v6
	ds_bpermute_b32 v5, v20, v1
	v_lshlrev_b32_e32 v19, 2, v6
	s_waitcnt lgkmcnt(0)
	v_max_f32_e32 v5, v5, v5
	v_max_f32_e32 v0, v1, v5
	scratch_load_b32 v5, off, s32 offset:328 ; 4-byte Folded Reload
	ds_bpermute_b32 v1, v19, v0
	s_waitcnt vmcnt(0)
	v_cmp_eq_u32_e32 vcc_lo, 0, v5
	scratch_load_b32 v5, off, s32 offset:732 ; 4-byte Folded Reload
	s_waitcnt vmcnt(0)
	v_lshlrev_b32_e32 v5, 2, v5
	s_and_saveexec_b32 s1, vcc_lo
	s_cbranch_execz .LBB446_1555
; %bb.1554:
	s_waitcnt lgkmcnt(0)
	v_dual_max_f32 v1, v1, v1 :: v_dual_max_f32 v0, v0, v0
	s_delay_alu instid0(VALU_DEP_1)
	v_max_f32_e32 v0, v0, v1
	ds_store_b32 v5, v0 offset:256
.LBB446_1555:
	s_or_b32 exec_lo, exec_lo, s1
	scratch_load_b32 v0, off, s32 offset:328 ; 4-byte Folded Reload
	s_waitcnt vmcnt(0) lgkmcnt(0)
	s_waitcnt_vscnt null, 0x0
	s_barrier
	buffer_gl0_inv
	v_cmp_gt_u32_e64 s1, 4, v0
	v_mov_b32_e32 v0, 0xff7fffff
	s_delay_alu instid0(VALU_DEP_2)
	s_and_saveexec_b32 s2, s1
	s_cbranch_execz .LBB446_1557
; %bb.1556:
	ds_load_b32 v0, v36 offset:256
.LBB446_1557:
	s_or_b32 exec_lo, exec_lo, s2
	s_waitcnt lgkmcnt(0)
	ds_bpermute_b32 v1, v20, v0
	v_max_f32_e32 v0, v0, v0
	v_subrev_nc_u32_e32 v7, s13, v51
	s_waitcnt lgkmcnt(0)
	v_dual_mov_b32 v6, 0 :: v_dual_max_f32 v1, v1, v1
	s_delay_alu instid0(VALU_DEP_1) | instskip(SKIP_3) | instid1(VALU_DEP_1)
	v_max_f32_e32 v0, v0, v1
	ds_bpermute_b32 v1, v19, v0
	s_waitcnt lgkmcnt(0)
	v_max_f32_e32 v1, v1, v1
	v_max_f32_e32 v0, v0, v1
	v_lshl_add_u32 v1, v7, 5, s3
	ds_bpermute_b32 v0, v6, v0
	v_min_i32_e32 v1, v1, v38
	s_delay_alu instid0(VALU_DEP_1) | instskip(NEXT) | instid1(VALU_DEP_1)
	v_subrev_nc_u32_e32 v1, s3, v1
	v_cmp_lt_i32_e64 s2, v31, v1
	s_delay_alu instid0(VALU_DEP_1)
	s_and_saveexec_b32 s9, s2
	s_cbranch_execz .LBB446_1561
; %bb.1558:
	s_getpc_b64 s[16:17]
	s_add_u32 s16, s16, llvm.amdgcn.dynlds.offset.table@rel32@lo+4
	s_addc_u32 s17, s17, llvm.amdgcn.dynlds.offset.table@rel32@hi+12
	s_ashr_i32 s11, s10, 31
	v_mov_b32_e32 v6, 0
	s_lshl_b64 s[20:21], s[10:11], 2
	v_mov_b32_e32 v8, v31
	s_add_u32 s16, s20, s16
	s_addc_u32 s17, s21, s17
	s_mov_b32 s11, 0
	s_load_b32 s3, s[16:17], 0x0
	s_waitcnt lgkmcnt(0)
	v_lshl_add_u32 v7, v31, 2, s3
	.p2align	6
.LBB446_1559:                           ; =>This Inner Loop Header: Depth=1
	ds_load_b32 v9, v7
	v_add_nc_u32_e32 v8, 0x80, v8
	s_delay_alu instid0(VALU_DEP_1) | instskip(NEXT) | instid1(VALU_DEP_1)
	v_cmp_ge_i32_e64 s3, v8, v1
	s_or_b32 s11, s3, s11
	s_waitcnt lgkmcnt(0)
	v_sub_f32_e32 v9, v9, v0
	s_delay_alu instid0(VALU_DEP_1) | instskip(NEXT) | instid1(VALU_DEP_1)
	v_mul_f32_e32 v9, 0x3fb8aa3b, v9
	v_exp_f32_e32 v9, v9
	ds_store_b32 v7, v9
	v_dual_add_f32 v6, v6, v9 :: v_dual_add_nc_u32 v7, 0x200, v7
	s_and_not1_b32 exec_lo, exec_lo, s11
	s_cbranch_execnz .LBB446_1559
; %bb.1560:
	s_or_b32 exec_lo, exec_lo, s11
.LBB446_1561:
	s_delay_alu instid0(SALU_CYCLE_1)
	s_or_b32 exec_lo, exec_lo, s9
	ds_bpermute_b32 v2, v2, v6
	s_waitcnt lgkmcnt(0)
	v_add_f32_e32 v2, v6, v2
	ds_bpermute_b32 v3, v3, v2
	s_waitcnt lgkmcnt(0)
	v_add_f32_e32 v2, v2, v3
	;; [unrolled: 3-line block ×5, first 2 shown]
	s_and_saveexec_b32 s3, vcc_lo
	s_cbranch_execz .LBB446_1563
; %bb.1562:
	ds_store_b32 v5, v2 offset:272
.LBB446_1563:
	s_or_b32 exec_lo, exec_lo, s3
	s_waitcnt lgkmcnt(0)
	s_barrier
	buffer_gl0_inv
	s_and_saveexec_b32 s3, s1
	s_cbranch_execz .LBB446_1565
; %bb.1564:
	ds_load_b32 v2, v36 offset:272
.LBB446_1565:
	s_or_b32 exec_lo, exec_lo, s3
	s_waitcnt lgkmcnt(0)
	ds_bpermute_b32 v3, v20, v2
	s_waitcnt lgkmcnt(0)
	v_add_f32_e32 v2, v2, v3
	ds_bpermute_b32 v3, v19, v2
	s_waitcnt lgkmcnt(0)
	v_dual_add_f32 v2, v2, v3 :: v_dual_mov_b32 v3, 0
	ds_bpermute_b32 v2, v3, v2
	s_and_saveexec_b32 s1, s2
	s_cbranch_execz .LBB446_1568
; %bb.1566:
	s_waitcnt lgkmcnt(0)
	v_add_f32_e32 v4, 0x358637bd, v2
	s_getpc_b64 s[2:3]
	s_add_u32 s2, s2, llvm.amdgcn.dynlds.offset.table@rel32@lo+4
	s_addc_u32 s3, s3, llvm.amdgcn.dynlds.offset.table@rel32@hi+12
	s_ashr_i32 s11, s10, 31
	s_delay_alu instid0(SALU_CYCLE_1) | instskip(SKIP_4) | instid1(VALU_DEP_1)
	s_lshl_b64 s[16:17], s[10:11], 2
	v_div_scale_f32 v3, null, v4, v4, 1.0
	s_add_u32 s2, s16, s2
	s_addc_u32 s3, s17, s3
	s_load_b32 s2, s[2:3], 0x0
	v_rcp_f32_e32 v5, v3
	s_waitcnt_depctr 0xfff
	v_fma_f32 v6, -v3, v5, 1.0
	s_delay_alu instid0(VALU_DEP_1) | instskip(SKIP_1) | instid1(VALU_DEP_1)
	v_fmac_f32_e32 v5, v6, v5
	v_div_scale_f32 v7, vcc_lo, 1.0, v4, 1.0
	v_mul_f32_e32 v6, v7, v5
	s_delay_alu instid0(VALU_DEP_1) | instskip(NEXT) | instid1(VALU_DEP_1)
	v_fma_f32 v8, -v3, v6, v7
	v_fmac_f32_e32 v6, v8, v5
	s_delay_alu instid0(VALU_DEP_1) | instskip(NEXT) | instid1(VALU_DEP_1)
	v_fma_f32 v3, -v3, v6, v7
	v_div_fmas_f32 v5, v3, v5, v6
	s_waitcnt lgkmcnt(0)
	v_lshl_add_u32 v3, v31, 2, s2
	s_mov_b32 s2, 0
	s_delay_alu instid0(VALU_DEP_2)
	v_div_fixup_f32 v4, v5, v4, 1.0
	v_mov_b32_e32 v5, v31
.LBB446_1567:                           ; =>This Inner Loop Header: Depth=1
	ds_load_b32 v6, v3
	s_waitcnt lgkmcnt(0)
	v_dual_mul_f32 v6, v4, v6 :: v_dual_add_nc_u32 v5, 0x80, v5
	s_delay_alu instid0(VALU_DEP_1) | instskip(SKIP_3) | instid1(SALU_CYCLE_1)
	v_cmp_ge_i32_e32 vcc_lo, v5, v1
	ds_store_b32 v3, v6
	v_add_nc_u32_e32 v3, 0x200, v3
	s_or_b32 s2, vcc_lo, s2
	s_and_not1_b32 exec_lo, exec_lo, s2
	s_cbranch_execnz .LBB446_1567
.LBB446_1568:
	s_or_b32 exec_lo, exec_lo, s1
	v_cmp_ne_u16_e64 s1, s8, 0
	s_mov_b32 s2, exec_lo
	s_waitcnt lgkmcnt(0)
	s_barrier
	buffer_gl0_inv
	s_cmp_lg_u32 s1, 0
	s_addc_u32 s1, s7, 0
	v_cmpx_eq_u32_e32 0, v31
	s_cbranch_execz .LBB446_1570
; %bb.1569:
	s_mul_i32 s3, s1, s4
	s_mul_i32 s8, s1, s12
	;; [unrolled: 1-line block ×3, first 2 shown]
	s_ashr_i32 s9, s8, 31
	s_ashr_i32 s15, s14, 31
	;; [unrolled: 1-line block ×3, first 2 shown]
	s_lshl_b64 s[8:9], s[8:9], 2
	s_lshl_b64 s[16:17], s[14:15], 2
	;; [unrolled: 1-line block ×3, first 2 shown]
	s_add_u32 s3, s16, s8
	s_addc_u32 s7, s17, s9
	s_add_u32 s3, s3, s12
	s_addc_u32 s7, s7, s13
	v_add_co_u32 v3, vcc_lo, s3, v35
	v_add_co_ci_u32_e32 v4, vcc_lo, s7, v34, vcc_lo
	v_add_co_u32 v5, vcc_lo, s3, v33
	v_add_co_ci_u32_e32 v6, vcc_lo, s7, v32, vcc_lo
	flat_store_b32 v[3:4], v0
	flat_store_b32 v[5:6], v2
.LBB446_1570:
	s_or_b32 exec_lo, exec_lo, s2
	s_ashr_i32 s11, s10, 31
	s_getpc_b64 s[2:3]
	s_add_u32 s2, s2, llvm.amdgcn.dynlds.offset.table@rel32@lo+4
	s_addc_u32 s3, s3, llvm.amdgcn.dynlds.offset.table@rel32@hi+12
	s_lshl_b64 s[8:9], s[10:11], 2
	v_dual_mov_b32 v66, 0 :: v_dual_mov_b32 v191, v31
	v_dual_mov_b32 v67, 0 :: v_dual_and_b32 v24, 3, v31
	v_dual_mov_b32 v65, 0 :: v_dual_mov_b32 v64, 0
	v_dual_mov_b32 v55, 0 :: v_dual_mov_b32 v54, 0
	;; [unrolled: 1-line block ×6, first 2 shown]
	v_mov_b32_e32 v29, 0
	v_mov_b32_e32 v25, 0
	s_add_u32 s2, s8, s2
	s_addc_u32 s3, s9, s3
	s_mov_b32 s10, 0
	s_and_saveexec_b32 s7, s0
	s_cbranch_execz .LBB446_3688
; %bb.1571:
	scratch_load_b32 v8, off, s32 offset:732 ; 4-byte Folded Reload
	v_max_i32_e32 v30, v30, v39
	v_add_co_u32 v3, vcc_lo, v10, v21
	s_load_b32 s0, s[2:3], 0x0
	v_dual_mov_b32 v25, 0 :: v_dual_lshlrev_b32 v2, 3, v191
	s_delay_alu instid0(VALU_DEP_3) | instskip(SKIP_3) | instid1(VALU_DEP_4)
	v_cvt_f32_u32_e32 v0, v30
	v_sub_nc_u32_e32 v7, 0, v30
	v_dual_mov_b32 v31, 0 :: v_dual_lshlrev_b32 v6, 5, v24
	v_add_co_ci_u32_e32 v4, vcc_lo, v11, v12, vcc_lo
	v_rcp_iflag_f32_e32 v5, v0
	v_mov_b32_e32 v10, 0
	v_lshlrev_b64 v[0:1], 2, v[17:18]
	v_dual_mov_b32 v55, 0 :: v_dual_and_b32 v18, 24, v2
	v_dual_mov_b32 v65, 0 :: v_dual_and_b32 v2, 0xf8, v2
	v_dual_mov_b32 v29, 0 :: v_dual_add_nc_u32 v68, -1, v37
	s_delay_alu instid0(VALU_DEP_4) | instskip(NEXT) | instid1(TRANS32_DEP_1)
	v_add_co_u32 v0, vcc_lo, v69, v0
	v_mul_f32_e32 v5, 0x4f7ffffe, v5
	v_add_co_ci_u32_e32 v1, vcc_lo, v70, v1, vcc_lo
	v_add_co_u32 v11, vcc_lo, v3, v2
	s_delay_alu instid0(VALU_DEP_3) | instskip(SKIP_2) | instid1(VALU_DEP_3)
	v_cvt_u32_f32_e32 v5, v5
	v_add_co_ci_u32_e32 v12, vcc_lo, 0, v4, vcc_lo
	v_add_co_u32 v13, vcc_lo, v14, v0
	v_mul_lo_u32 v7, v7, v5
	v_dual_mov_b32 v28, 0 :: v_dual_mov_b32 v33, 0
	v_dual_mov_b32 v32, 0 :: v_dual_mov_b32 v35, 0
	;; [unrolled: 1-line block ×3, first 2 shown]
	v_add_co_ci_u32_e32 v14, vcc_lo, v15, v1, vcc_lo
	v_mul_hi_u32 v7, v5, v7
	v_dual_mov_b32 v64, 0 :: v_dual_mov_b32 v67, 0
	v_mov_b32_e32 v54, 0
	v_mov_b32_e32 v66, 0
	s_mov_b32 s8, -1
	s_mov_b32 s9, 0xffffff
	s_delay_alu instid0(VALU_DEP_4) | instskip(SKIP_3) | instid1(VALU_DEP_1)
	v_add_nc_u32_e32 v69, v5, v7
	s_waitcnt vmcnt(0)
	v_lshl_or_b32 v6, v8, 7, v6
	s_waitcnt lgkmcnt(0)
	v_dual_mov_b32 v36, 0 :: v_dual_add_nc_u32 v15, s0, v6
	s_branch .LBB446_1574
.LBB446_1572:                           ;   in Loop: Header=BB446_1574 Depth=1
	s_or_b32 exec_lo, exec_lo, s0
	v_and_b32_e32 v100, 0xffff0000, v154
	v_and_b32_e32 v101, 0xffff0000, v153
	;; [unrolled: 1-line block ×6, first 2 shown]
	v_add_f32_e32 v100, v101, v100
	v_and_b32_e32 v98, 0xffff0000, v172
	s_delay_alu instid0(VALU_DEP_4) | instskip(SKIP_1) | instid1(VALU_DEP_3)
	v_dual_add_f32 v101, v114, v113 :: v_dual_and_b32 v112, 0xffff0000, v140
	v_and_b32_e32 v7, 0xffff0000, v7
	v_dual_add_f32 v98, v99, v98 :: v_dual_and_b32 v115, 0xffff0000, v139
	v_and_b32_e32 v97, 0xffff0000, v169
	v_and_b32_e32 v6, 0xffff0000, v6
	;; [unrolled: 1-line block ×6, first 2 shown]
	v_dual_add_f32 v6, v6, v7 :: v_dual_add_f32 v7, v97, v96
	v_dual_add_f32 v112, v115, v112 :: v_dual_and_b32 v97, 0xffff0000, v174
	v_and_b32_e32 v115, 0xffff0000, v42
	v_and_b32_e32 v117, 0xffff0000, v43
	s_delay_alu instid0(VALU_DEP_4) | instskip(SKIP_2) | instid1(VALU_DEP_3)
	v_dual_add_f32 v6, v6, v7 :: v_dual_and_b32 v7, 0xffff0000, v158
	v_and_b32_e32 v99, 0xffff0000, v157
	v_and_b32_e32 v21, 0xffff0000, v21
	v_dual_add_f32 v6, v6, v98 :: v_dual_and_b32 v37, 0xffff0000, v37
	s_delay_alu instid0(VALU_DEP_3) | instskip(SKIP_2) | instid1(VALU_DEP_3)
	v_dual_add_f32 v7, v99, v7 :: v_dual_and_b32 v96, 0xffff0000, v173
	v_and_b32_e32 v98, 0xffff0000, v155
	v_and_b32_e32 v71, 0xffff0000, v71
	v_dual_add_f32 v96, v96, v97 :: v_dual_and_b32 v3, 0xffff0000, v3
	v_and_b32_e32 v97, 0xffff0000, v156
	v_and_b32_e32 v2, 0xffff0000, v2
	;; [unrolled: 1-line block ×3, first 2 shown]
	s_delay_alu instid0(VALU_DEP_4) | instskip(NEXT) | instid1(VALU_DEP_4)
	v_dual_add_f32 v6, v6, v96 :: v_dual_and_b32 v1, 0xffff0000, v1
	v_dual_add_f32 v97, v98, v97 :: v_dual_and_b32 v98, 0xffff0000, v142
	v_and_b32_e32 v99, 0xffff0000, v143
	s_delay_alu instid0(VALU_DEP_3) | instskip(NEXT) | instid1(VALU_DEP_3)
	v_dual_add_f32 v28, v28, v6 :: v_dual_and_b32 v9, 0xffff0000, v9
	v_dual_add_f32 v97, v100, v97 :: v_dual_add_f32 v100, v101, v112
	s_delay_alu instid0(VALU_DEP_4)
	v_add_f32_e32 v98, v113, v98
	v_and_b32_e32 v102, 0xffff0000, v159
	v_and_b32_e32 v101, 0xffff0000, v152
	;; [unrolled: 1-line block ×3, first 2 shown]
	v_add_f32_e32 v7, v97, v7
	v_dual_add_f32 v97, v100, v98 :: v_dual_and_b32 v112, 0xffff0000, v105
	s_delay_alu instid0(VALU_DEP_4) | instskip(NEXT) | instid1(VALU_DEP_4)
	v_add_f32_e32 v98, v99, v101
	v_dual_add_f32 v96, v102, v103 :: v_dual_and_b32 v99, 0xffff0000, v121
	v_and_b32_e32 v102, 0xffff0000, v127
	v_and_b32_e32 v103, 0xffff0000, v136
	s_delay_alu instid0(VALU_DEP_3) | instskip(SKIP_3) | instid1(VALU_DEP_4)
	v_dual_add_f32 v6, v7, v96 :: v_dual_and_b32 v81, 0xffff0000, v81
	v_add_f32_e32 v7, v97, v98
	v_and_b32_e32 v97, 0xffff0000, v124
	v_and_b32_e32 v98, 0xffff0000, v122
	v_dual_add_f32 v29, v29, v6 :: v_dual_and_b32 v100, 0xffff0000, v123
	s_delay_alu instid0(VALU_DEP_4) | instskip(NEXT) | instid1(VALU_DEP_2)
	v_dual_add_f32 v31, v31, v7 :: v_dual_and_b32 v82, 0xffff0000, v82
	v_dual_add_f32 v98, v99, v98 :: v_dual_add_f32 v97, v100, v97
	v_and_b32_e32 v96, 0xffff0000, v126
	v_and_b32_e32 v100, 0xffff0000, v106
	v_dual_add_f32 v70, v70, v71 :: v_dual_and_b32 v101, 0xffff0000, v125
	s_delay_alu instid0(VALU_DEP_4) | instskip(NEXT) | instid1(VALU_DEP_3)
	v_dual_add_f32 v97, v98, v97 :: v_dual_and_b32 v98, 0xffff0000, v110
	v_dual_add_f32 v100, v112, v100 :: v_dual_and_b32 v113, 0xffff0000, v107
	s_delay_alu instid0(VALU_DEP_3) | instskip(SKIP_2) | instid1(VALU_DEP_3)
	v_dual_add_f32 v96, v101, v96 :: v_dual_and_b32 v101, 0xffff0000, v109
	v_and_b32_e32 v0, 0xffff0000, v0
	v_and_b32_e32 v80, 0xffff0000, v80
	v_add_f32_e32 v96, v97, v96
	s_delay_alu instid0(VALU_DEP_4) | instskip(NEXT) | instid1(VALU_DEP_4)
	v_dual_add_f32 v98, v101, v98 :: v_dual_and_b32 v101, 0xffff0000, v91
	v_dual_add_f32 v0, v0, v1 :: v_dual_and_b32 v99, 0xffff0000, v108
	;; [unrolled: 1-line block ×3, first 2 shown]
	v_add_f32_e32 v71, v80, v81
	s_delay_alu instid0(VALU_DEP_2) | instskip(NEXT) | instid1(VALU_DEP_3)
	v_dual_add_f32 v99, v113, v99 :: v_dual_add_f32 v0, v0, v1
	v_add_f32_e32 v1, v2, v9
	s_delay_alu instid0(VALU_DEP_3) | instskip(NEXT) | instid1(VALU_DEP_3)
	v_add_f32_e32 v3, v70, v71
	v_add_f32_e32 v99, v100, v99
	v_and_b32_e32 v2, 0xffff0000, v87
	s_delay_alu instid0(VALU_DEP_2) | instskip(SKIP_1) | instid1(VALU_DEP_1)
	v_dual_add_f32 v0, v0, v1 :: v_dual_add_f32 v7, v99, v98
	v_dual_add_f32 v97, v102, v103 :: v_dual_and_b32 v98, 0xffff0000, v92
	v_dual_add_f32 v6, v96, v97 :: v_dual_and_b32 v99, 0xffff0000, v90
	v_and_b32_e32 v97, 0xffff0000, v94
	v_and_b32_e32 v100, 0xffff0000, v120
	s_delay_alu instid0(VALU_DEP_4) | instskip(SKIP_2) | instid1(VALU_DEP_1)
	v_add_f32_e32 v98, v101, v98
	v_and_b32_e32 v101, 0xffff0000, v74
	v_dual_add_f32 v32, v32, v6 :: v_dual_and_b32 v113, 0xffff0000, v73
	v_dual_add_f32 v101, v113, v101 :: v_dual_and_b32 v102, 0xffff0000, v111
	s_delay_alu instid0(VALU_DEP_1) | instskip(SKIP_2) | instid1(VALU_DEP_2)
	v_add_f32_e32 v96, v102, v100
	v_and_b32_e32 v100, 0xffff0000, v89
	v_and_b32_e32 v102, 0xffff0000, v93
	v_dual_add_f32 v6, v7, v96 :: v_dual_add_f32 v99, v100, v99
	s_delay_alu instid0(VALU_DEP_1) | instskip(NEXT) | instid1(VALU_DEP_2)
	v_dual_add_f32 v33, v33, v6 :: v_dual_and_b32 v100, 0xffff0000, v76
	v_add_f32_e32 v98, v99, v98
	s_delay_alu instid0(VALU_DEP_2) | instskip(SKIP_4) | instid1(VALU_DEP_4)
	v_dual_add_f32 v100, v114, v100 :: v_dual_and_b32 v99, 0xffff0000, v78
	v_add_f32_e32 v97, v102, v97
	v_and_b32_e32 v102, 0xffff0000, v77
	v_and_b32_e32 v103, 0xffff0000, v95
	v_and_b32_e32 v112, 0xffff0000, v104
	v_dual_add_f32 v100, v101, v100 :: v_dual_add_f32 v97, v98, v97
	s_delay_alu instid0(VALU_DEP_4) | instskip(SKIP_1) | instid1(VALU_DEP_4)
	v_add_f32_e32 v99, v102, v99
	v_and_b32_e32 v101, 0xffff0000, v88
	v_add_f32_e32 v98, v103, v112
	v_and_b32_e32 v114, 0xffff0000, v44
	v_and_b32_e32 v112, 0xffff0000, v63
	v_add_f32_e32 v96, v100, v99
	v_and_b32_e32 v100, 0xffff0000, v60
	v_and_b32_e32 v103, 0xffff0000, v79
	v_add_f32_e32 v7, v97, v98
	s_delay_alu instid0(VALU_DEP_2) | instskip(SKIP_1) | instid1(VALU_DEP_3)
	v_dual_add_f32 v114, v117, v114 :: v_dual_add_f32 v97, v103, v101
	v_and_b32_e32 v101, 0xffff0000, v59
	v_add_f32_e32 v34, v34, v7
	s_delay_alu instid0(VALU_DEP_3) | instskip(SKIP_1) | instid1(VALU_DEP_4)
	v_add_f32_e32 v96, v96, v97
	v_and_b32_e32 v102, 0xffff0000, v58
	v_dual_add_f32 v100, v101, v100 :: v_dual_and_b32 v103, 0xffff0000, v57
	s_delay_alu instid0(VALU_DEP_3) | instskip(NEXT) | instid1(VALU_DEP_2)
	v_add_f32_e32 v35, v35, v96
	v_dual_add_f32 v102, v103, v102 :: v_dual_and_b32 v99, 0xffff0000, v61
	v_add_f32_e32 v103, v116, v115
	s_delay_alu instid0(VALU_DEP_2) | instskip(NEXT) | instid1(VALU_DEP_2)
	v_dual_add_f32 v100, v102, v100 :: v_dual_and_b32 v115, 0xffff0000, v45
	v_dual_add_f32 v102, v103, v114 :: v_dual_and_b32 v103, 0xffff0000, v56
	v_and_b32_e32 v98, 0xffff0000, v62
	v_and_b32_e32 v113, 0xffff0000, v72
	;; [unrolled: 1-line block ×3, first 2 shown]
	s_delay_alu instid0(VALU_DEP_3) | instskip(NEXT) | instid1(VALU_DEP_1)
	v_add_f32_e32 v98, v99, v98
	v_add_f32_e32 v97, v100, v98
	s_delay_alu instid0(VALU_DEP_4) | instskip(NEXT) | instid1(VALU_DEP_4)
	v_add_f32_e32 v98, v112, v113
	v_add_f32_e32 v101, v115, v101
	s_delay_alu instid0(VALU_DEP_2) | instskip(NEXT) | instid1(VALU_DEP_1)
	v_dual_add_f32 v6, v97, v98 :: v_dual_and_b32 v99, 0xffff0000, v47
	v_dual_add_f32 v100, v102, v101 :: v_dual_add_f32 v99, v99, v103
	v_and_b32_e32 v5, 0xffff0000, v5
	v_and_b32_e32 v98, 0xffff0000, v40
	v_and_b32_e32 v4, 0xffff0000, v4
	v_add_f32_e32 v36, v36, v6
	v_and_b32_e32 v97, 0xffff0000, v182
	v_dual_add_f32 v7, v100, v99 :: v_dual_and_b32 v100, 0xffff0000, v176
	s_delay_alu instid0(VALU_DEP_4) | instskip(NEXT) | instid1(VALU_DEP_3)
	v_add_f32_e32 v4, v4, v5
	v_add_f32_e32 v5, v21, v97
	v_and_b32_e32 v21, 0xffff0000, v177
	v_and_b32_e32 v96, 0xffff0000, v183
	s_delay_alu instid0(VALU_DEP_3) | instskip(NEXT) | instid1(VALU_DEP_3)
	v_dual_add_f32 v53, v53, v7 :: v_dual_add_f32 v4, v4, v5
	v_add_f32_e32 v21, v100, v21
	s_delay_alu instid0(VALU_DEP_3) | instskip(SKIP_2) | instid1(VALU_DEP_3)
	v_add_f32_e32 v5, v39, v96
	v_and_b32_e32 v97, 0xffff0000, v167
	v_and_b32_e32 v100, 0xffff0000, v148
	v_dual_add_f32 v4, v4, v5 :: v_dual_and_b32 v99, 0xffff0000, v166
	s_delay_alu instid0(VALU_DEP_1) | instskip(SKIP_1) | instid1(VALU_DEP_2)
	v_dual_add_f32 v96, v99, v97 :: v_dual_and_b32 v39, 0xffff0000, v179
	v_and_b32_e32 v99, 0xffff0000, v128
	v_add_f32_e32 v21, v96, v21
	v_add_f32_e32 v5, v98, v37
	v_and_b32_e32 v37, 0xffff0000, v180
	v_and_b32_e32 v96, 0xffff0000, v181
	;; [unrolled: 1-line block ×4, first 2 shown]
	v_add_f32_e32 v4, v4, v5
	s_delay_alu instid0(VALU_DEP_4) | instskip(NEXT) | instid1(VALU_DEP_2)
	v_dual_add_f32 v6, v37, v96 :: v_dual_and_b32 v37, 0xffff0000, v150
	v_dual_add_f32 v54, v54, v4 :: v_dual_and_b32 v97, 0xffff0000, v178
	s_delay_alu instid0(VALU_DEP_1) | instskip(SKIP_1) | instid1(VALU_DEP_2)
	v_dual_add_f32 v39, v97, v39 :: v_dual_and_b32 v96, 0xffff0000, v144
	v_and_b32_e32 v97, 0xffff0000, v146
	v_add_f32_e32 v5, v21, v39
	s_delay_alu instid0(VALU_DEP_1) | instskip(NEXT) | instid1(VALU_DEP_1)
	v_dual_add_f32 v4, v5, v6 :: v_dual_and_b32 v21, 0xffff0000, v151
	v_add_f32_e32 v6, v37, v21
	v_and_b32_e32 v37, 0xffff0000, v165
	v_and_b32_e32 v5, 0xffff0000, v163
	;; [unrolled: 1-line block ×3, first 2 shown]
	v_add_f32_e32 v55, v55, v4
	v_and_b32_e32 v4, 0xffff0000, v164
	v_and_b32_e32 v39, 0xffff0000, v160
	s_delay_alu instid0(VALU_DEP_4) | instskip(NEXT) | instid1(VALU_DEP_3)
	v_add_f32_e32 v5, v21, v5
	v_dual_add_f32 v4, v4, v37 :: v_dual_and_b32 v21, 0xffff0000, v135
	s_delay_alu instid0(VALU_DEP_3) | instskip(NEXT) | instid1(VALU_DEP_1)
	v_add_f32_e32 v7, v39, v7
	v_dual_add_f32 v6, v6, v7 :: v_dual_and_b32 v39, 0xffff0000, v134
	v_and_b32_e32 v7, 0xffff0000, v145
	s_delay_alu instid0(VALU_DEP_2) | instskip(SKIP_1) | instid1(VALU_DEP_3)
	v_add_f32_e32 v21, v39, v21
	v_and_b32_e32 v39, 0xffff0000, v129
	v_add_f32_e32 v7, v96, v7
	v_and_b32_e32 v96, 0xffff0000, v119
	s_delay_alu instid0(VALU_DEP_3) | instskip(SKIP_1) | instid1(VALU_DEP_3)
	v_add_f32_e32 v39, v99, v39
	v_dual_add_f32 v5, v6, v5 :: v_dual_and_b32 v6, 0xffff0000, v147
	v_add_f32_e32 v96, v98, v96
	v_and_b32_e32 v98, 0xffff0000, v130
	s_delay_alu instid0(VALU_DEP_2) | instskip(SKIP_2) | instid1(VALU_DEP_2)
	v_dual_add_f32 v6, v97, v6 :: v_dual_add_f32 v37, v96, v39
	v_dual_add_f32 v7, v21, v7 :: v_dual_and_b32 v96, 0xffff0000, v133
	v_and_b32_e32 v21, 0xffff0000, v131
	v_dual_add_f32 v6, v7, v6 :: v_dual_and_b32 v39, 0xffff0000, v132
	s_delay_alu instid0(VALU_DEP_2) | instskip(NEXT) | instid1(VALU_DEP_2)
	v_add_f32_e32 v21, v98, v21
	v_add_f32_e32 v9, v39, v96
	s_delay_alu instid0(VALU_DEP_2) | instskip(SKIP_3) | instid1(VALU_DEP_3)
	v_add_f32_e32 v21, v37, v21
	v_and_b32_e32 v37, 0xffff0000, v83
	v_and_b32_e32 v83, 0xffff0000, v84
	;; [unrolled: 1-line block ×3, first 2 shown]
	v_dual_add_f32 v8, v82, v37 :: v_dual_and_b32 v37, 0xffff0000, v86
	s_delay_alu instid0(VALU_DEP_1) | instskip(NEXT) | instid1(VALU_DEP_2)
	v_add_f32_e32 v3, v3, v8
	v_dual_add_f32 v8, v83, v84 :: v_dual_add_f32 v1, v37, v2
	v_add_f32_e32 v2, v5, v4
	v_add_f32_e32 v5, v21, v9
	s_delay_alu instid0(VALU_DEP_3) | instskip(SKIP_2) | instid1(VALU_DEP_4)
	v_add_f32_e32 v3, v3, v8
	v_and_b32_e32 v97, 0xffff0000, v149
	v_add_f32_e32 v0, v0, v1
	v_dual_add_f32 v64, v64, v2 :: v_dual_add_f32 v67, v67, v5
	s_delay_alu instid0(VALU_DEP_3) | instskip(NEXT) | instid1(VALU_DEP_1)
	v_dual_add_f32 v66, v66, v3 :: v_dual_add_f32 v7, v100, v97
	v_dual_add_f32 v25, v25, v0 :: v_dual_add_f32 v4, v6, v7
	s_delay_alu instid0(VALU_DEP_1)
	v_add_f32_e32 v65, v65, v4
.LBB446_1573:                           ;   in Loop: Header=BB446_1574 Depth=1
	s_or_b32 exec_lo, exec_lo, s11
	v_add_nc_u32_e32 v17, 4, v17
	v_add_co_u32 v13, s0, v13, 16
	s_delay_alu instid0(VALU_DEP_1) | instskip(NEXT) | instid1(VALU_DEP_3)
	v_add_co_ci_u32_e64 v14, s0, 0, v14, s0
	v_cmp_ge_i32_e32 vcc_lo, v17, v51
	v_add_nc_u32_e32 v23, 0x80, v23
	v_add_nc_u32_e32 v15, 0x200, v15
	s_or_b32 s10, vcc_lo, s10
	s_delay_alu instid0(SALU_CYCLE_1)
	s_and_not1_b32 exec_lo, exec_lo, s10
	s_cbranch_execz .LBB446_3687
.LBB446_1574:                           ; =>This Inner Loop Header: Depth=1
	v_sub_nc_u32_e32 v0, 0, v23
	s_delay_alu instid0(VALU_DEP_1) | instskip(NEXT) | instid1(VALU_DEP_1)
	v_max_i32_e32 v0, v23, v0
	v_mul_hi_u32 v1, v0, v49
	s_delay_alu instid0(VALU_DEP_1) | instskip(NEXT) | instid1(VALU_DEP_1)
	v_mul_lo_u32 v2, v1, v48
	v_sub_nc_u32_e32 v0, v0, v2
	v_add_nc_u32_e32 v2, 1, v1
	s_delay_alu instid0(VALU_DEP_2) | instskip(SKIP_1) | instid1(VALU_DEP_2)
	v_sub_nc_u32_e32 v3, v0, v48
	v_cmp_ge_u32_e32 vcc_lo, v0, v48
	v_dual_cndmask_b32 v1, v1, v2 :: v_dual_cndmask_b32 v0, v0, v3
	v_ashrrev_i32_e32 v2, 31, v23
	s_delay_alu instid0(VALU_DEP_2) | instskip(NEXT) | instid1(VALU_DEP_3)
	v_add_nc_u32_e32 v3, 1, v1
	v_cmp_ge_u32_e32 vcc_lo, v0, v48
	s_delay_alu instid0(VALU_DEP_3) | instskip(NEXT) | instid1(VALU_DEP_3)
	v_xor_b32_e32 v2, v2, v50
	v_cndmask_b32_e32 v0, v1, v3, vcc_lo
	s_delay_alu instid0(VALU_DEP_1) | instskip(NEXT) | instid1(VALU_DEP_1)
	v_xor_b32_e32 v0, v0, v2
	v_sub_nc_u32_e32 v0, v0, v2
	s_delay_alu instid0(VALU_DEP_1) | instskip(SKIP_1) | instid1(VALU_DEP_2)
	v_add_nc_u32_e32 v1, v0, v16
	v_cmp_gt_i32_e64 s0, v0, v52
	v_sub_nc_u32_e32 v2, 0, v1
	s_delay_alu instid0(VALU_DEP_1) | instskip(NEXT) | instid1(VALU_DEP_1)
	v_max_i32_e32 v2, v1, v2
	v_mul_hi_u32 v3, v2, v69
	s_delay_alu instid0(VALU_DEP_1) | instskip(NEXT) | instid1(VALU_DEP_1)
	v_mul_lo_u32 v3, v3, v30
	v_sub_nc_u32_e32 v2, v2, v3
	s_delay_alu instid0(VALU_DEP_1) | instskip(SKIP_1) | instid1(VALU_DEP_2)
	v_sub_nc_u32_e32 v3, v2, v30
	v_cmp_ge_u32_e32 vcc_lo, v2, v30
	v_cndmask_b32_e32 v2, v2, v3, vcc_lo
	v_ashrrev_i32_e32 v1, 31, v1
	s_delay_alu instid0(VALU_DEP_2) | instskip(SKIP_1) | instid1(VALU_DEP_2)
	v_sub_nc_u32_e32 v3, v2, v30
	v_cmp_ge_u32_e32 vcc_lo, v2, v30
	v_cndmask_b32_e32 v2, v2, v3, vcc_lo
	s_delay_alu instid0(VALU_DEP_1) | instskip(NEXT) | instid1(VALU_DEP_1)
	v_xor_b32_e32 v2, v2, v1
	v_sub_nc_u32_e32 v1, v2, v1
	s_delay_alu instid0(VALU_DEP_1) | instskip(SKIP_1) | instid1(SALU_CYCLE_1)
	v_cmp_eq_u32_e32 vcc_lo, 0, v1
	s_or_b32 s0, vcc_lo, s0
	s_and_saveexec_b32 s11, s0
	s_cbranch_execz .LBB446_1573
; %bb.1575:                             ;   in Loop: Header=BB446_1574 Depth=1
	flat_load_b32 v81, v[13:14]
	ds_load_2addr_b64 v[6:9], v15 offset1:1
	ds_load_2addr_b64 v[0:3], v15 offset0:2 offset1:3
	s_mov_b32 s0, exec_lo
                                        ; implicit-def: $vgpr70
	s_waitcnt lgkmcnt(1)
	v_and_b32_e32 v4, 0x7f800000, v6
	s_delay_alu instid0(VALU_DEP_1)
	v_cmpx_ne_u32_e32 0x7f800000, v4
	s_xor_b32 s0, exec_lo, s0
; %bb.1576:                             ;   in Loop: Header=BB446_1574 Depth=1
	v_bfe_u32 v4, v6, 16, 1
	s_delay_alu instid0(VALU_DEP_1)
	v_add3_u32 v70, v6, v4, 0x7fff
; %bb.1577:                             ;   in Loop: Header=BB446_1574 Depth=1
	s_and_not1_saveexec_b32 s0, s0
; %bb.1578:                             ;   in Loop: Header=BB446_1574 Depth=1
	v_and_b32_e32 v4, 0xffff, v6
	v_or_b32_e32 v5, 0x10000, v6
	s_delay_alu instid0(VALU_DEP_2) | instskip(NEXT) | instid1(VALU_DEP_2)
	v_cmp_eq_u32_e32 vcc_lo, 0, v4
	v_cndmask_b32_e32 v70, v5, v6, vcc_lo
; %bb.1579:                             ;   in Loop: Header=BB446_1574 Depth=1
	s_or_b32 exec_lo, exec_lo, s0
	v_and_b32_e32 v4, 0x7f800000, v7
	s_mov_b32 s0, exec_lo
                                        ; implicit-def: $vgpr71
	s_delay_alu instid0(VALU_DEP_1)
	v_cmpx_ne_u32_e32 0x7f800000, v4
	s_xor_b32 s0, exec_lo, s0
; %bb.1580:                             ;   in Loop: Header=BB446_1574 Depth=1
	v_bfe_u32 v4, v7, 16, 1
	s_delay_alu instid0(VALU_DEP_1)
	v_add3_u32 v71, v7, v4, 0x7fff
; %bb.1581:                             ;   in Loop: Header=BB446_1574 Depth=1
	s_and_not1_saveexec_b32 s0, s0
; %bb.1582:                             ;   in Loop: Header=BB446_1574 Depth=1
	v_and_b32_e32 v4, 0xffff, v7
	v_or_b32_e32 v5, 0x10000, v7
	s_delay_alu instid0(VALU_DEP_2) | instskip(NEXT) | instid1(VALU_DEP_2)
	v_cmp_eq_u32_e32 vcc_lo, 0, v4
	v_cndmask_b32_e32 v71, v5, v7, vcc_lo
; %bb.1583:                             ;   in Loop: Header=BB446_1574 Depth=1
	s_or_b32 exec_lo, exec_lo, s0
	v_and_b32_e32 v4, 0x7f800000, v8
	s_mov_b32 s0, exec_lo
                                        ; implicit-def: $vgpr80
	s_delay_alu instid0(VALU_DEP_1)
	v_cmpx_ne_u32_e32 0x7f800000, v4
	s_xor_b32 s0, exec_lo, s0
; %bb.1584:                             ;   in Loop: Header=BB446_1574 Depth=1
	v_bfe_u32 v4, v8, 16, 1
	s_delay_alu instid0(VALU_DEP_1)
	v_add3_u32 v80, v8, v4, 0x7fff
; %bb.1585:                             ;   in Loop: Header=BB446_1574 Depth=1
	s_and_not1_saveexec_b32 s0, s0
; %bb.1586:                             ;   in Loop: Header=BB446_1574 Depth=1
	v_and_b32_e32 v4, 0xffff, v8
	v_or_b32_e32 v5, 0x10000, v8
	s_delay_alu instid0(VALU_DEP_2) | instskip(NEXT) | instid1(VALU_DEP_2)
	v_cmp_eq_u32_e32 vcc_lo, 0, v4
	v_cndmask_b32_e32 v80, v5, v8, vcc_lo
; %bb.1587:                             ;   in Loop: Header=BB446_1574 Depth=1
	s_or_b32 exec_lo, exec_lo, s0
	v_and_b32_e32 v4, 0x7f800000, v9
	s_mov_b32 s0, exec_lo
                                        ; implicit-def: $vgpr39
	s_delay_alu instid0(VALU_DEP_1)
	v_cmpx_ne_u32_e32 0x7f800000, v4
	s_xor_b32 s0, exec_lo, s0
; %bb.1588:                             ;   in Loop: Header=BB446_1574 Depth=1
	v_bfe_u32 v4, v9, 16, 1
	s_delay_alu instid0(VALU_DEP_1)
	v_add3_u32 v39, v9, v4, 0x7fff
                                        ; implicit-def: $vgpr6_vgpr7_vgpr8_vgpr9
; %bb.1589:                             ;   in Loop: Header=BB446_1574 Depth=1
	s_and_not1_saveexec_b32 s0, s0
; %bb.1590:                             ;   in Loop: Header=BB446_1574 Depth=1
	v_and_b32_e32 v4, 0xffff, v9
	v_or_b32_e32 v5, 0x10000, v9
	s_delay_alu instid0(VALU_DEP_2) | instskip(NEXT) | instid1(VALU_DEP_2)
	v_cmp_eq_u32_e32 vcc_lo, 0, v4
	v_cndmask_b32_e32 v39, v5, v9, vcc_lo
; %bb.1591:                             ;   in Loop: Header=BB446_1574 Depth=1
	s_or_b32 exec_lo, exec_lo, s0
	s_waitcnt lgkmcnt(0)
	v_and_b32_e32 v4, 0x7f800000, v0
	s_mov_b32 s0, exec_lo
                                        ; implicit-def: $vgpr37
	s_delay_alu instid0(VALU_DEP_1)
	v_cmpx_ne_u32_e32 0x7f800000, v4
	s_xor_b32 s0, exec_lo, s0
; %bb.1592:                             ;   in Loop: Header=BB446_1574 Depth=1
	v_bfe_u32 v4, v0, 16, 1
	s_delay_alu instid0(VALU_DEP_1)
	v_add3_u32 v37, v0, v4, 0x7fff
; %bb.1593:                             ;   in Loop: Header=BB446_1574 Depth=1
	s_and_not1_saveexec_b32 s0, s0
; %bb.1594:                             ;   in Loop: Header=BB446_1574 Depth=1
	v_and_b32_e32 v4, 0xffff, v0
	v_or_b32_e32 v5, 0x10000, v0
	s_delay_alu instid0(VALU_DEP_2) | instskip(NEXT) | instid1(VALU_DEP_2)
	v_cmp_eq_u32_e32 vcc_lo, 0, v4
	v_cndmask_b32_e32 v37, v5, v0, vcc_lo
; %bb.1595:                             ;   in Loop: Header=BB446_1574 Depth=1
	s_or_b32 exec_lo, exec_lo, s0
	v_and_b32_e32 v0, 0x7f800000, v1
	s_mov_b32 s0, exec_lo
                                        ; implicit-def: $vgpr21
	s_delay_alu instid0(VALU_DEP_1)
	v_cmpx_ne_u32_e32 0x7f800000, v0
	s_xor_b32 s0, exec_lo, s0
; %bb.1596:                             ;   in Loop: Header=BB446_1574 Depth=1
	v_bfe_u32 v0, v1, 16, 1
	s_delay_alu instid0(VALU_DEP_1)
	v_add3_u32 v21, v1, v0, 0x7fff
; %bb.1597:                             ;   in Loop: Header=BB446_1574 Depth=1
	s_and_not1_saveexec_b32 s0, s0
; %bb.1598:                             ;   in Loop: Header=BB446_1574 Depth=1
	v_and_b32_e32 v0, 0xffff, v1
	v_or_b32_e32 v4, 0x10000, v1
	s_delay_alu instid0(VALU_DEP_2) | instskip(NEXT) | instid1(VALU_DEP_2)
	v_cmp_eq_u32_e32 vcc_lo, 0, v0
	v_cndmask_b32_e32 v21, v4, v1, vcc_lo
; %bb.1599:                             ;   in Loop: Header=BB446_1574 Depth=1
	s_or_b32 exec_lo, exec_lo, s0
	v_and_b32_e32 v0, 0x7f800000, v2
	s_mov_b32 s0, exec_lo
                                        ; implicit-def: $vgpr5
	s_delay_alu instid0(VALU_DEP_1)
	v_cmpx_ne_u32_e32 0x7f800000, v0
	s_xor_b32 s0, exec_lo, s0
; %bb.1600:                             ;   in Loop: Header=BB446_1574 Depth=1
	v_bfe_u32 v0, v2, 16, 1
	s_delay_alu instid0(VALU_DEP_1)
	v_add3_u32 v5, v2, v0, 0x7fff
; %bb.1601:                             ;   in Loop: Header=BB446_1574 Depth=1
	s_and_not1_saveexec_b32 s0, s0
; %bb.1602:                             ;   in Loop: Header=BB446_1574 Depth=1
	v_and_b32_e32 v0, 0xffff, v2
	v_or_b32_e32 v1, 0x10000, v2
	s_delay_alu instid0(VALU_DEP_2) | instskip(NEXT) | instid1(VALU_DEP_2)
	v_cmp_eq_u32_e32 vcc_lo, 0, v0
	v_cndmask_b32_e32 v5, v1, v2, vcc_lo
; %bb.1603:                             ;   in Loop: Header=BB446_1574 Depth=1
	s_or_b32 exec_lo, exec_lo, s0
	v_and_b32_e32 v0, 0x7f800000, v3
	s_mov_b32 s0, exec_lo
                                        ; implicit-def: $vgpr4
	s_delay_alu instid0(VALU_DEP_1)
	v_cmpx_ne_u32_e32 0x7f800000, v0
	s_xor_b32 s0, exec_lo, s0
; %bb.1604:                             ;   in Loop: Header=BB446_1574 Depth=1
	v_bfe_u32 v0, v3, 16, 1
	s_delay_alu instid0(VALU_DEP_1)
	v_add3_u32 v4, v3, v0, 0x7fff
                                        ; implicit-def: $vgpr0_vgpr1_vgpr2_vgpr3
; %bb.1605:                             ;   in Loop: Header=BB446_1574 Depth=1
	s_and_not1_saveexec_b32 s0, s0
; %bb.1606:                             ;   in Loop: Header=BB446_1574 Depth=1
	v_and_b32_e32 v0, 0xffff, v3
	v_or_b32_e32 v1, 0x10000, v3
	s_delay_alu instid0(VALU_DEP_2) | instskip(NEXT) | instid1(VALU_DEP_2)
	v_cmp_eq_u32_e32 vcc_lo, 0, v0
	v_cndmask_b32_e32 v4, v1, v3, vcc_lo
; %bb.1607:                             ;   in Loop: Header=BB446_1574 Depth=1
	s_or_b32 exec_lo, exec_lo, s0
	s_waitcnt vmcnt(0)
	v_mad_i64_i32 v[0:1], null, v81, v22, v[11:12]
	s_mov_b32 s0, exec_lo
	flat_load_b64 v[2:3], v[0:1]
	flat_load_b32 v8, v[26:27]
	s_waitcnt vmcnt(1) lgkmcnt(1)
	v_dual_mov_b32 v6, 0 :: v_dual_and_b32 v7, 0xff, v2
	s_delay_alu instid0(VALU_DEP_1)
	v_cmpx_ne_u16_e32 0, v7
	s_cbranch_execz .LBB446_1615
; %bb.1608:                             ;   in Loop: Header=BB446_1574 Depth=1
	v_bfrev_b32_e32 v6, 1
	s_mov_b32 s12, exec_lo
	v_cmpx_ne_u16_e32 0x80, v7
	s_cbranch_execz .LBB446_1614
; %bb.1609:                             ;   in Loop: Header=BB446_1574 Depth=1
	v_and_b32_e32 v7, 0x7f, v2
	v_mov_b32_e32 v6, 0x7f800001
	s_mov_b32 s13, exec_lo
	s_delay_alu instid0(VALU_DEP_2)
	v_cmpx_ne_u32_e32 0x7f, v7
	s_cbranch_execz .LBB446_1613
; %bb.1610:                             ;   in Loop: Header=BB446_1574 Depth=1
	v_lshrrev_b32_e32 v9, 3, v7
	v_cmp_gt_u32_e32 vcc_lo, 8, v7
	v_dual_mov_b32 v7, v3 :: v_dual_mov_b32 v6, v2
	s_and_saveexec_b32 s15, vcc_lo
; %bb.1611:                             ;   in Loop: Header=BB446_1574 Depth=1
	v_and_b32_e32 v6, 7, v2
	s_delay_alu instid0(VALU_DEP_1) | instskip(NEXT) | instid1(VALU_DEP_1)
	v_clz_i32_u32_e32 v6, v6
	v_min_u32_e32 v9, 32, v6
	s_delay_alu instid0(VALU_DEP_1) | instskip(SKIP_1) | instid1(VALU_DEP_2)
	v_subrev_nc_u32_e32 v6, 28, v9
	v_sub_nc_u32_e32 v9, 29, v9
	v_lshlrev_b64 v[6:7], v6, v[2:3]
; %bb.1612:                             ;   in Loop: Header=BB446_1574 Depth=1
	s_or_b32 exec_lo, exec_lo, s15
	s_delay_alu instid0(VALU_DEP_1) | instskip(SKIP_2) | instid1(VALU_DEP_3)
	v_lshlrev_b32_e32 v6, 20, v6
	v_lshlrev_b32_e32 v7, 24, v2
	v_lshl_add_u32 v9, v9, 23, 0x3c000000
	v_and_b32_e32 v6, 0x700000, v6
	s_delay_alu instid0(VALU_DEP_3) | instskip(NEXT) | instid1(VALU_DEP_1)
	v_and_b32_e32 v7, 0x80000000, v7
	v_or3_b32 v6, v6, v7, v9
.LBB446_1613:                           ;   in Loop: Header=BB446_1574 Depth=1
	s_or_b32 exec_lo, exec_lo, s13
.LBB446_1614:                           ;   in Loop: Header=BB446_1574 Depth=1
	s_delay_alu instid0(SALU_CYCLE_1)
	s_or_b32 exec_lo, exec_lo, s12
.LBB446_1615:                           ;   in Loop: Header=BB446_1574 Depth=1
	s_delay_alu instid0(SALU_CYCLE_1) | instskip(SKIP_3) | instid1(VALU_DEP_1)
	s_or_b32 exec_lo, exec_lo, s0
	s_waitcnt vmcnt(0) lgkmcnt(0)
	v_mul_f32_e32 v6, v8, v6
	s_mov_b32 s0, exec_lo
                                        ; implicit-def: $vgpr81
	v_and_b32_e32 v7, 0x7f800000, v6
	s_delay_alu instid0(VALU_DEP_1)
	v_cmpx_ne_u32_e32 0x7f800000, v7
	s_xor_b32 s0, exec_lo, s0
; %bb.1616:                             ;   in Loop: Header=BB446_1574 Depth=1
	v_bfe_u32 v7, v6, 16, 1
	s_delay_alu instid0(VALU_DEP_1)
	v_add3_u32 v81, v6, v7, 0x7fff
                                        ; implicit-def: $vgpr6
; %bb.1617:                             ;   in Loop: Header=BB446_1574 Depth=1
	s_and_not1_saveexec_b32 s0, s0
; %bb.1618:                             ;   in Loop: Header=BB446_1574 Depth=1
	v_and_b32_e32 v7, 0xffff, v6
	v_or_b32_e32 v9, 0x10000, v6
	s_delay_alu instid0(VALU_DEP_2) | instskip(NEXT) | instid1(VALU_DEP_2)
	v_cmp_eq_u32_e32 vcc_lo, 0, v7
	v_cndmask_b32_e32 v81, v9, v6, vcc_lo
; %bb.1619:                             ;   in Loop: Header=BB446_1574 Depth=1
	s_or_b32 exec_lo, exec_lo, s0
	v_lshrrev_b16 v7, 8, v2
	v_mov_b32_e32 v6, 0
	s_mov_b32 s0, exec_lo
	s_delay_alu instid0(VALU_DEP_2)
	v_cmpx_ne_u16_e32 0, v7
	s_cbranch_execz .LBB446_1627
; %bb.1620:                             ;   in Loop: Header=BB446_1574 Depth=1
	v_bfrev_b32_e32 v6, 1
	s_mov_b32 s12, exec_lo
	v_cmpx_ne_u16_e32 0x80, v7
	s_cbranch_execz .LBB446_1626
; %bb.1621:                             ;   in Loop: Header=BB446_1574 Depth=1
	v_and_b32_e32 v9, 0xffff, v7
	v_mov_b32_e32 v6, 0x7f800001
	s_mov_b32 s13, exec_lo
	s_delay_alu instid0(VALU_DEP_2) | instskip(NEXT) | instid1(VALU_DEP_1)
	v_and_b32_e32 v7, 0x7f, v9
	v_cmpx_ne_u32_e32 0x7f, v7
	s_cbranch_execz .LBB446_1625
; %bb.1622:                             ;   in Loop: Header=BB446_1574 Depth=1
	v_and_b32_e32 v9, 7, v9
	v_lshrrev_b32_e32 v82, 3, v7
	v_cmp_gt_u32_e32 vcc_lo, 8, v7
	s_delay_alu instid0(VALU_DEP_3)
	v_dual_mov_b32 v6, v9 :: v_dual_mov_b32 v7, v10
	s_and_saveexec_b32 s15, vcc_lo
; %bb.1623:                             ;   in Loop: Header=BB446_1574 Depth=1
	v_clz_i32_u32_e32 v6, v9
	s_delay_alu instid0(VALU_DEP_1) | instskip(NEXT) | instid1(VALU_DEP_1)
	v_min_u32_e32 v82, 32, v6
	v_subrev_nc_u32_e32 v6, 28, v82
	v_sub_nc_u32_e32 v82, 29, v82
	s_delay_alu instid0(VALU_DEP_2) | instskip(NEXT) | instid1(VALU_DEP_1)
	v_lshlrev_b64 v[6:7], v6, v[9:10]
	v_and_b32_e32 v6, 7, v6
; %bb.1624:                             ;   in Loop: Header=BB446_1574 Depth=1
	s_or_b32 exec_lo, exec_lo, s15
	v_lshlrev_b32_e32 v7, 16, v2
	s_delay_alu instid0(VALU_DEP_2) | instskip(SKIP_1) | instid1(VALU_DEP_3)
	v_lshlrev_b32_e32 v6, 20, v6
	v_lshl_add_u32 v9, v82, 23, 0x3c000000
	v_and_b32_e32 v7, 0x80000000, v7
	s_delay_alu instid0(VALU_DEP_1)
	v_or3_b32 v6, v6, v7, v9
.LBB446_1625:                           ;   in Loop: Header=BB446_1574 Depth=1
	s_or_b32 exec_lo, exec_lo, s13
.LBB446_1626:                           ;   in Loop: Header=BB446_1574 Depth=1
	s_delay_alu instid0(SALU_CYCLE_1)
	s_or_b32 exec_lo, exec_lo, s12
.LBB446_1627:                           ;   in Loop: Header=BB446_1574 Depth=1
	s_delay_alu instid0(SALU_CYCLE_1) | instskip(NEXT) | instid1(VALU_DEP_1)
	s_or_b32 exec_lo, exec_lo, s0
	v_mul_f32_e32 v6, v8, v6
	s_mov_b32 s0, exec_lo
                                        ; implicit-def: $vgpr82
	s_delay_alu instid0(VALU_DEP_1) | instskip(NEXT) | instid1(VALU_DEP_1)
	v_and_b32_e32 v7, 0x7f800000, v6
	v_cmpx_ne_u32_e32 0x7f800000, v7
	s_xor_b32 s0, exec_lo, s0
; %bb.1628:                             ;   in Loop: Header=BB446_1574 Depth=1
	v_bfe_u32 v7, v6, 16, 1
	s_delay_alu instid0(VALU_DEP_1)
	v_add3_u32 v82, v6, v7, 0x7fff
                                        ; implicit-def: $vgpr6
; %bb.1629:                             ;   in Loop: Header=BB446_1574 Depth=1
	s_and_not1_saveexec_b32 s0, s0
; %bb.1630:                             ;   in Loop: Header=BB446_1574 Depth=1
	v_and_b32_e32 v7, 0xffff, v6
	v_or_b32_e32 v9, 0x10000, v6
	s_delay_alu instid0(VALU_DEP_2) | instskip(NEXT) | instid1(VALU_DEP_2)
	v_cmp_eq_u32_e32 vcc_lo, 0, v7
	v_cndmask_b32_e32 v82, v9, v6, vcc_lo
; %bb.1631:                             ;   in Loop: Header=BB446_1574 Depth=1
	s_or_b32 exec_lo, exec_lo, s0
	v_lshrrev_b32_e32 v83, 16, v2
	s_mov_b32 s0, exec_lo
	s_delay_alu instid0(VALU_DEP_1) | instskip(NEXT) | instid1(VALU_DEP_1)
	v_dual_mov_b32 v6, 0 :: v_dual_and_b32 v7, 0xff, v83
	v_cmpx_ne_u16_e32 0, v7
	s_cbranch_execz .LBB446_1639
; %bb.1632:                             ;   in Loop: Header=BB446_1574 Depth=1
	v_bfrev_b32_e32 v6, 1
	s_mov_b32 s12, exec_lo
	v_cmpx_ne_u16_e32 0x80, v7
	s_cbranch_execz .LBB446_1638
; %bb.1633:                             ;   in Loop: Header=BB446_1574 Depth=1
	v_bfe_u32 v7, v2, 16, 7
	v_mov_b32_e32 v6, 0x7f800001
	s_mov_b32 s13, exec_lo
	s_delay_alu instid0(VALU_DEP_2)
	v_cmpx_ne_u32_e32 0x7f, v7
	s_cbranch_execz .LBB446_1637
; %bb.1634:                             ;   in Loop: Header=BB446_1574 Depth=1
	v_and_b32_e32 v9, 7, v83
	v_lshrrev_b32_e32 v84, 3, v7
	v_cmp_gt_u32_e32 vcc_lo, 8, v7
	s_delay_alu instid0(VALU_DEP_3)
	v_dual_mov_b32 v6, v9 :: v_dual_mov_b32 v7, v10
	s_and_saveexec_b32 s15, vcc_lo
; %bb.1635:                             ;   in Loop: Header=BB446_1574 Depth=1
	v_clz_i32_u32_e32 v6, v9
	s_delay_alu instid0(VALU_DEP_1) | instskip(NEXT) | instid1(VALU_DEP_1)
	v_min_u32_e32 v84, 32, v6
	v_subrev_nc_u32_e32 v6, 28, v84
	v_sub_nc_u32_e32 v84, 29, v84
	s_delay_alu instid0(VALU_DEP_2) | instskip(NEXT) | instid1(VALU_DEP_1)
	v_lshlrev_b64 v[6:7], v6, v[9:10]
	v_and_b32_e32 v6, 7, v6
; %bb.1636:                             ;   in Loop: Header=BB446_1574 Depth=1
	s_or_b32 exec_lo, exec_lo, s15
	v_lshlrev_b32_e32 v7, 24, v83
	s_delay_alu instid0(VALU_DEP_2) | instskip(SKIP_1) | instid1(VALU_DEP_3)
	v_lshlrev_b32_e32 v6, 20, v6
	v_lshl_add_u32 v9, v84, 23, 0x3c000000
	v_and_b32_e32 v7, 0x80000000, v7
	s_delay_alu instid0(VALU_DEP_1)
	v_or3_b32 v6, v6, v7, v9
.LBB446_1637:                           ;   in Loop: Header=BB446_1574 Depth=1
	s_or_b32 exec_lo, exec_lo, s13
.LBB446_1638:                           ;   in Loop: Header=BB446_1574 Depth=1
	s_delay_alu instid0(SALU_CYCLE_1)
	s_or_b32 exec_lo, exec_lo, s12
.LBB446_1639:                           ;   in Loop: Header=BB446_1574 Depth=1
	s_delay_alu instid0(SALU_CYCLE_1) | instskip(NEXT) | instid1(VALU_DEP_1)
	s_or_b32 exec_lo, exec_lo, s0
	v_mul_f32_e32 v6, v8, v6
	s_mov_b32 s0, exec_lo
                                        ; implicit-def: $vgpr83
	s_delay_alu instid0(VALU_DEP_1) | instskip(NEXT) | instid1(VALU_DEP_1)
	v_and_b32_e32 v7, 0x7f800000, v6
	v_cmpx_ne_u32_e32 0x7f800000, v7
	s_xor_b32 s0, exec_lo, s0
; %bb.1640:                             ;   in Loop: Header=BB446_1574 Depth=1
	v_bfe_u32 v7, v6, 16, 1
	s_delay_alu instid0(VALU_DEP_1)
	v_add3_u32 v83, v6, v7, 0x7fff
                                        ; implicit-def: $vgpr6
; %bb.1641:                             ;   in Loop: Header=BB446_1574 Depth=1
	s_and_not1_saveexec_b32 s0, s0
; %bb.1642:                             ;   in Loop: Header=BB446_1574 Depth=1
	v_and_b32_e32 v7, 0xffff, v6
	v_or_b32_e32 v9, 0x10000, v6
	s_delay_alu instid0(VALU_DEP_2) | instskip(NEXT) | instid1(VALU_DEP_2)
	v_cmp_eq_u32_e32 vcc_lo, 0, v7
	v_cndmask_b32_e32 v83, v9, v6, vcc_lo
; %bb.1643:                             ;   in Loop: Header=BB446_1574 Depth=1
	s_or_b32 exec_lo, exec_lo, s0
	v_mov_b32_e32 v6, 0
	s_mov_b32 s0, exec_lo
	v_cmpx_lt_u32_e32 0xffffff, v2
	s_cbranch_execz .LBB446_1651
; %bb.1644:                             ;   in Loop: Header=BB446_1574 Depth=1
	v_lshrrev_b32_e32 v84, 24, v2
	v_bfrev_b32_e32 v6, 1
	s_mov_b32 s12, exec_lo
	s_delay_alu instid0(VALU_DEP_2)
	v_cmpx_ne_u32_e32 0x80, v84
	s_cbranch_execz .LBB446_1650
; %bb.1645:                             ;   in Loop: Header=BB446_1574 Depth=1
	v_bfe_u32 v7, v2, 24, 7
	v_mov_b32_e32 v6, 0x7f800001
	s_mov_b32 s13, exec_lo
	s_delay_alu instid0(VALU_DEP_2)
	v_cmpx_ne_u32_e32 0x7f, v7
	s_cbranch_execz .LBB446_1649
; %bb.1646:                             ;   in Loop: Header=BB446_1574 Depth=1
	v_and_b32_e32 v9, 7, v84
	v_lshrrev_b32_e32 v85, 3, v7
	v_cmp_gt_u32_e32 vcc_lo, 8, v7
	s_delay_alu instid0(VALU_DEP_3)
	v_dual_mov_b32 v6, v9 :: v_dual_mov_b32 v7, v10
	s_and_saveexec_b32 s15, vcc_lo
; %bb.1647:                             ;   in Loop: Header=BB446_1574 Depth=1
	v_clz_i32_u32_e32 v6, v9
	s_delay_alu instid0(VALU_DEP_1) | instskip(NEXT) | instid1(VALU_DEP_1)
	v_min_u32_e32 v85, 32, v6
	v_subrev_nc_u32_e32 v6, 28, v85
	v_sub_nc_u32_e32 v85, 29, v85
	s_delay_alu instid0(VALU_DEP_2) | instskip(NEXT) | instid1(VALU_DEP_1)
	v_lshlrev_b64 v[6:7], v6, v[9:10]
	v_and_b32_e32 v6, 7, v6
; %bb.1648:                             ;   in Loop: Header=BB446_1574 Depth=1
	s_or_b32 exec_lo, exec_lo, s15
	v_lshlrev_b32_e32 v7, 24, v84
	s_delay_alu instid0(VALU_DEP_2) | instskip(SKIP_1) | instid1(VALU_DEP_3)
	v_lshlrev_b32_e32 v6, 20, v6
	v_lshl_add_u32 v9, v85, 23, 0x3c000000
	v_and_b32_e32 v7, 0x80000000, v7
	s_delay_alu instid0(VALU_DEP_1)
	v_or3_b32 v6, v6, v7, v9
.LBB446_1649:                           ;   in Loop: Header=BB446_1574 Depth=1
	s_or_b32 exec_lo, exec_lo, s13
.LBB446_1650:                           ;   in Loop: Header=BB446_1574 Depth=1
	s_delay_alu instid0(SALU_CYCLE_1)
	s_or_b32 exec_lo, exec_lo, s12
.LBB446_1651:                           ;   in Loop: Header=BB446_1574 Depth=1
	s_delay_alu instid0(SALU_CYCLE_1) | instskip(NEXT) | instid1(VALU_DEP_1)
	s_or_b32 exec_lo, exec_lo, s0
	v_mul_f32_e32 v6, v8, v6
	s_mov_b32 s0, exec_lo
                                        ; implicit-def: $vgpr84
	s_delay_alu instid0(VALU_DEP_1) | instskip(NEXT) | instid1(VALU_DEP_1)
	v_and_b32_e32 v7, 0x7f800000, v6
	v_cmpx_ne_u32_e32 0x7f800000, v7
	s_xor_b32 s0, exec_lo, s0
; %bb.1652:                             ;   in Loop: Header=BB446_1574 Depth=1
	v_bfe_u32 v7, v6, 16, 1
	s_delay_alu instid0(VALU_DEP_1)
	v_add3_u32 v84, v6, v7, 0x7fff
                                        ; implicit-def: $vgpr6
; %bb.1653:                             ;   in Loop: Header=BB446_1574 Depth=1
	s_and_not1_saveexec_b32 s0, s0
; %bb.1654:                             ;   in Loop: Header=BB446_1574 Depth=1
	v_and_b32_e32 v7, 0xffff, v6
	v_or_b32_e32 v9, 0x10000, v6
	s_delay_alu instid0(VALU_DEP_2) | instskip(NEXT) | instid1(VALU_DEP_2)
	v_cmp_eq_u32_e32 vcc_lo, 0, v7
	v_cndmask_b32_e32 v84, v9, v6, vcc_lo
; %bb.1655:                             ;   in Loop: Header=BB446_1574 Depth=1
	s_or_b32 exec_lo, exec_lo, s0
	v_dual_mov_b32 v6, 0 :: v_dual_and_b32 v7, 0xff, v3
	v_mov_b32_e32 v9, v3
	s_mov_b32 s0, exec_lo
	s_delay_alu instid0(VALU_DEP_2)
	v_cmpx_ne_u16_e32 0, v7
	s_cbranch_execz .LBB446_1663
; %bb.1656:                             ;   in Loop: Header=BB446_1574 Depth=1
	v_bfrev_b32_e32 v6, 1
	s_mov_b32 s12, exec_lo
	v_cmpx_ne_u16_e32 0x80, v7
	s_cbranch_execz .LBB446_1662
; %bb.1657:                             ;   in Loop: Header=BB446_1574 Depth=1
	v_and_b32_e32 v7, 0x7f, v3
	v_mov_b32_e32 v6, 0x7f800001
	s_mov_b32 s13, exec_lo
	s_delay_alu instid0(VALU_DEP_2)
	v_cmpx_ne_u32_e32 0x7f, v7
	s_cbranch_execz .LBB446_1661
; %bb.1658:                             ;   in Loop: Header=BB446_1574 Depth=1
	v_lshrrev_b32_e32 v85, 3, v7
	v_cmp_gt_u32_e32 vcc_lo, 8, v7
	v_dual_mov_b32 v6, v9 :: v_dual_mov_b32 v7, v10
	s_and_saveexec_b32 s15, vcc_lo
; %bb.1659:                             ;   in Loop: Header=BB446_1574 Depth=1
	v_and_b32_e32 v6, 7, v3
	s_delay_alu instid0(VALU_DEP_1) | instskip(NEXT) | instid1(VALU_DEP_1)
	v_clz_i32_u32_e32 v6, v6
	v_min_u32_e32 v85, 32, v6
	s_delay_alu instid0(VALU_DEP_1) | instskip(SKIP_1) | instid1(VALU_DEP_2)
	v_subrev_nc_u32_e32 v6, 28, v85
	v_sub_nc_u32_e32 v85, 29, v85
	v_lshlrev_b64 v[6:7], v6, v[9:10]
; %bb.1660:                             ;   in Loop: Header=BB446_1574 Depth=1
	s_or_b32 exec_lo, exec_lo, s15
	s_delay_alu instid0(VALU_DEP_1) | instskip(SKIP_2) | instid1(VALU_DEP_3)
	v_lshlrev_b32_e32 v6, 20, v6
	v_lshlrev_b32_e32 v7, 24, v9
	v_lshl_add_u32 v85, v85, 23, 0x3c000000
	v_and_b32_e32 v6, 0x700000, v6
	s_delay_alu instid0(VALU_DEP_3) | instskip(NEXT) | instid1(VALU_DEP_1)
	v_and_b32_e32 v7, 0x80000000, v7
	v_or3_b32 v6, v6, v7, v85
.LBB446_1661:                           ;   in Loop: Header=BB446_1574 Depth=1
	s_or_b32 exec_lo, exec_lo, s13
.LBB446_1662:                           ;   in Loop: Header=BB446_1574 Depth=1
	s_delay_alu instid0(SALU_CYCLE_1)
	s_or_b32 exec_lo, exec_lo, s12
.LBB446_1663:                           ;   in Loop: Header=BB446_1574 Depth=1
	s_delay_alu instid0(SALU_CYCLE_1) | instskip(NEXT) | instid1(VALU_DEP_1)
	s_or_b32 exec_lo, exec_lo, s0
	v_mul_f32_e32 v6, v8, v6
	s_mov_b32 s0, exec_lo
                                        ; implicit-def: $vgpr85
	s_delay_alu instid0(VALU_DEP_1) | instskip(NEXT) | instid1(VALU_DEP_1)
	v_and_b32_e32 v7, 0x7f800000, v6
	v_cmpx_ne_u32_e32 0x7f800000, v7
	s_xor_b32 s0, exec_lo, s0
; %bb.1664:                             ;   in Loop: Header=BB446_1574 Depth=1
	v_bfe_u32 v7, v6, 16, 1
	s_delay_alu instid0(VALU_DEP_1)
	v_add3_u32 v85, v6, v7, 0x7fff
                                        ; implicit-def: $vgpr6
; %bb.1665:                             ;   in Loop: Header=BB446_1574 Depth=1
	s_and_not1_saveexec_b32 s0, s0
; %bb.1666:                             ;   in Loop: Header=BB446_1574 Depth=1
	v_and_b32_e32 v7, 0xffff, v6
	v_or_b32_e32 v85, 0x10000, v6
	s_delay_alu instid0(VALU_DEP_2) | instskip(NEXT) | instid1(VALU_DEP_2)
	v_cmp_eq_u32_e32 vcc_lo, 0, v7
	v_cndmask_b32_e32 v85, v85, v6, vcc_lo
; %bb.1667:                             ;   in Loop: Header=BB446_1574 Depth=1
	s_or_b32 exec_lo, exec_lo, s0
	v_lshrrev_b16 v7, 8, v9
	v_mov_b32_e32 v6, 0
	s_mov_b32 s0, exec_lo
	s_delay_alu instid0(VALU_DEP_2)
	v_cmpx_ne_u16_e32 0, v7
	s_cbranch_execz .LBB446_1675
; %bb.1668:                             ;   in Loop: Header=BB446_1574 Depth=1
	v_bfrev_b32_e32 v6, 1
	s_mov_b32 s12, exec_lo
	v_cmpx_ne_u16_e32 0x80, v7
	s_cbranch_execz .LBB446_1674
; %bb.1669:                             ;   in Loop: Header=BB446_1574 Depth=1
	v_and_b32_e32 v7, 0xffff, v7
	v_mov_b32_e32 v6, 0x7f800001
	s_mov_b32 s13, exec_lo
	s_delay_alu instid0(VALU_DEP_2) | instskip(NEXT) | instid1(VALU_DEP_1)
	v_and_b32_e32 v87, 0x7f, v7
	v_cmpx_ne_u32_e32 0x7f, v87
	s_cbranch_execz .LBB446_1673
; %bb.1670:                             ;   in Loop: Header=BB446_1574 Depth=1
	v_dual_mov_b32 v7, v10 :: v_dual_and_b32 v6, 7, v7
	v_lshrrev_b32_e32 v86, 3, v87
	s_mov_b32 s15, exec_lo
	v_cmpx_gt_u32_e32 8, v87
; %bb.1671:                             ;   in Loop: Header=BB446_1574 Depth=1
	s_delay_alu instid0(VALU_DEP_3) | instskip(NEXT) | instid1(VALU_DEP_1)
	v_clz_i32_u32_e32 v86, v6
	v_min_u32_e32 v86, 32, v86
	s_delay_alu instid0(VALU_DEP_1) | instskip(SKIP_1) | instid1(VALU_DEP_2)
	v_subrev_nc_u32_e32 v87, 28, v86
	v_sub_nc_u32_e32 v86, 29, v86
	v_lshlrev_b64 v[6:7], v87, v[6:7]
	s_delay_alu instid0(VALU_DEP_1)
	v_and_b32_e32 v6, 7, v6
; %bb.1672:                             ;   in Loop: Header=BB446_1574 Depth=1
	s_or_b32 exec_lo, exec_lo, s15
	v_lshlrev_b32_e32 v7, 16, v9
	s_delay_alu instid0(VALU_DEP_2) | instskip(SKIP_1) | instid1(VALU_DEP_3)
	v_lshlrev_b32_e32 v6, 20, v6
	v_lshl_add_u32 v9, v86, 23, 0x3c000000
	v_and_b32_e32 v7, 0x80000000, v7
	s_delay_alu instid0(VALU_DEP_1)
	v_or3_b32 v6, v6, v7, v9
.LBB446_1673:                           ;   in Loop: Header=BB446_1574 Depth=1
	s_or_b32 exec_lo, exec_lo, s13
.LBB446_1674:                           ;   in Loop: Header=BB446_1574 Depth=1
	s_delay_alu instid0(SALU_CYCLE_1)
	s_or_b32 exec_lo, exec_lo, s12
.LBB446_1675:                           ;   in Loop: Header=BB446_1574 Depth=1
	s_delay_alu instid0(SALU_CYCLE_1) | instskip(NEXT) | instid1(VALU_DEP_1)
	s_or_b32 exec_lo, exec_lo, s0
	v_mul_f32_e32 v6, v8, v6
	s_mov_b32 s0, exec_lo
                                        ; implicit-def: $vgpr87
	s_delay_alu instid0(VALU_DEP_1) | instskip(NEXT) | instid1(VALU_DEP_1)
	v_and_b32_e32 v7, 0x7f800000, v6
	v_cmpx_ne_u32_e32 0x7f800000, v7
	s_xor_b32 s0, exec_lo, s0
; %bb.1676:                             ;   in Loop: Header=BB446_1574 Depth=1
	v_bfe_u32 v7, v6, 16, 1
	s_delay_alu instid0(VALU_DEP_1)
	v_add3_u32 v87, v6, v7, 0x7fff
                                        ; implicit-def: $vgpr6
; %bb.1677:                             ;   in Loop: Header=BB446_1574 Depth=1
	s_and_not1_saveexec_b32 s0, s0
; %bb.1678:                             ;   in Loop: Header=BB446_1574 Depth=1
	v_and_b32_e32 v7, 0xffff, v6
	v_or_b32_e32 v9, 0x10000, v6
	s_delay_alu instid0(VALU_DEP_2) | instskip(NEXT) | instid1(VALU_DEP_2)
	v_cmp_eq_u32_e32 vcc_lo, 0, v7
	v_cndmask_b32_e32 v87, v9, v6, vcc_lo
; %bb.1679:                             ;   in Loop: Header=BB446_1574 Depth=1
	s_or_b32 exec_lo, exec_lo, s0
	v_lshrrev_b32_e32 v86, 16, v3
	s_mov_b32 s0, exec_lo
	s_delay_alu instid0(VALU_DEP_1) | instskip(NEXT) | instid1(VALU_DEP_1)
	v_dual_mov_b32 v6, 0 :: v_dual_and_b32 v7, 0xff, v86
	v_cmpx_ne_u16_e32 0, v7
	s_cbranch_execz .LBB446_1687
; %bb.1680:                             ;   in Loop: Header=BB446_1574 Depth=1
	v_bfrev_b32_e32 v6, 1
	s_mov_b32 s12, exec_lo
	v_cmpx_ne_u16_e32 0x80, v7
	s_cbranch_execz .LBB446_1686
; %bb.1681:                             ;   in Loop: Header=BB446_1574 Depth=1
	v_bfe_u32 v7, v3, 16, 7
	v_mov_b32_e32 v6, 0x7f800001
	s_mov_b32 s13, exec_lo
	s_delay_alu instid0(VALU_DEP_2)
	v_cmpx_ne_u32_e32 0x7f, v7
	s_cbranch_execz .LBB446_1685
; %bb.1682:                             ;   in Loop: Header=BB446_1574 Depth=1
	v_and_b32_e32 v9, 7, v86
	v_lshrrev_b32_e32 v96, 3, v7
	v_cmp_gt_u32_e32 vcc_lo, 8, v7
	s_delay_alu instid0(VALU_DEP_3)
	v_dual_mov_b32 v6, v9 :: v_dual_mov_b32 v7, v10
	s_and_saveexec_b32 s15, vcc_lo
; %bb.1683:                             ;   in Loop: Header=BB446_1574 Depth=1
	v_clz_i32_u32_e32 v6, v9
	s_delay_alu instid0(VALU_DEP_1) | instskip(NEXT) | instid1(VALU_DEP_1)
	v_min_u32_e32 v96, 32, v6
	v_subrev_nc_u32_e32 v6, 28, v96
	v_sub_nc_u32_e32 v96, 29, v96
	s_delay_alu instid0(VALU_DEP_2) | instskip(NEXT) | instid1(VALU_DEP_1)
	v_lshlrev_b64 v[6:7], v6, v[9:10]
	v_and_b32_e32 v6, 7, v6
; %bb.1684:                             ;   in Loop: Header=BB446_1574 Depth=1
	s_or_b32 exec_lo, exec_lo, s15
	v_lshlrev_b32_e32 v7, 24, v86
	s_delay_alu instid0(VALU_DEP_2) | instskip(SKIP_1) | instid1(VALU_DEP_3)
	v_lshlrev_b32_e32 v6, 20, v6
	v_lshl_add_u32 v9, v96, 23, 0x3c000000
	v_and_b32_e32 v7, 0x80000000, v7
	s_delay_alu instid0(VALU_DEP_1)
	v_or3_b32 v6, v6, v7, v9
.LBB446_1685:                           ;   in Loop: Header=BB446_1574 Depth=1
	s_or_b32 exec_lo, exec_lo, s13
.LBB446_1686:                           ;   in Loop: Header=BB446_1574 Depth=1
	s_delay_alu instid0(SALU_CYCLE_1)
	s_or_b32 exec_lo, exec_lo, s12
.LBB446_1687:                           ;   in Loop: Header=BB446_1574 Depth=1
	s_delay_alu instid0(SALU_CYCLE_1) | instskip(NEXT) | instid1(VALU_DEP_1)
	s_or_b32 exec_lo, exec_lo, s0
	v_mul_f32_e32 v6, v8, v6
	s_mov_b32 s0, exec_lo
                                        ; implicit-def: $vgpr96
	s_delay_alu instid0(VALU_DEP_1) | instskip(NEXT) | instid1(VALU_DEP_1)
	v_and_b32_e32 v7, 0x7f800000, v6
	v_cmpx_ne_u32_e32 0x7f800000, v7
	s_xor_b32 s0, exec_lo, s0
; %bb.1688:                             ;   in Loop: Header=BB446_1574 Depth=1
	v_bfe_u32 v7, v6, 16, 1
	s_delay_alu instid0(VALU_DEP_1)
	v_add3_u32 v96, v6, v7, 0x7fff
                                        ; implicit-def: $vgpr6
; %bb.1689:                             ;   in Loop: Header=BB446_1574 Depth=1
	s_and_not1_saveexec_b32 s0, s0
; %bb.1690:                             ;   in Loop: Header=BB446_1574 Depth=1
	v_and_b32_e32 v7, 0xffff, v6
	v_or_b32_e32 v9, 0x10000, v6
	s_delay_alu instid0(VALU_DEP_2) | instskip(NEXT) | instid1(VALU_DEP_2)
	v_cmp_eq_u32_e32 vcc_lo, 0, v7
	v_cndmask_b32_e32 v96, v9, v6, vcc_lo
; %bb.1691:                             ;   in Loop: Header=BB446_1574 Depth=1
	s_or_b32 exec_lo, exec_lo, s0
	v_cmp_lt_u64_e32 vcc_lo, s[8:9], v[2:3]
	v_mov_b32_e32 v2, 0
	s_and_saveexec_b32 s0, vcc_lo
	s_cbranch_execz .LBB446_1699
; %bb.1692:                             ;   in Loop: Header=BB446_1574 Depth=1
	v_lshrrev_b32_e32 v6, 24, v3
	v_bfrev_b32_e32 v2, 1
	s_mov_b32 s12, exec_lo
	s_delay_alu instid0(VALU_DEP_2)
	v_cmpx_ne_u32_e32 0x80, v6
	s_cbranch_execz .LBB446_1698
; %bb.1693:                             ;   in Loop: Header=BB446_1574 Depth=1
	v_bfe_u32 v3, v3, 24, 7
	v_mov_b32_e32 v2, 0x7f800001
	s_mov_b32 s13, exec_lo
	s_delay_alu instid0(VALU_DEP_2)
	v_cmpx_ne_u32_e32 0x7f, v3
	s_cbranch_execz .LBB446_1697
; %bb.1694:                             ;   in Loop: Header=BB446_1574 Depth=1
	v_and_b32_e32 v9, 7, v6
	v_lshrrev_b32_e32 v7, 3, v3
	v_cmp_gt_u32_e32 vcc_lo, 8, v3
	s_delay_alu instid0(VALU_DEP_3)
	v_dual_mov_b32 v2, v9 :: v_dual_mov_b32 v3, v10
	s_and_saveexec_b32 s15, vcc_lo
; %bb.1695:                             ;   in Loop: Header=BB446_1574 Depth=1
	v_clz_i32_u32_e32 v2, v9
	s_delay_alu instid0(VALU_DEP_1) | instskip(NEXT) | instid1(VALU_DEP_1)
	v_min_u32_e32 v7, 32, v2
	v_subrev_nc_u32_e32 v2, 28, v7
	v_sub_nc_u32_e32 v7, 29, v7
	s_delay_alu instid0(VALU_DEP_2) | instskip(NEXT) | instid1(VALU_DEP_1)
	v_lshlrev_b64 v[2:3], v2, v[9:10]
	v_and_b32_e32 v2, 7, v2
; %bb.1696:                             ;   in Loop: Header=BB446_1574 Depth=1
	s_or_b32 exec_lo, exec_lo, s15
	v_lshlrev_b32_e32 v3, 24, v6
	s_delay_alu instid0(VALU_DEP_2) | instskip(SKIP_1) | instid1(VALU_DEP_3)
	v_lshlrev_b32_e32 v2, 20, v2
	v_lshl_add_u32 v6, v7, 23, 0x3c000000
	v_and_b32_e32 v3, 0x80000000, v3
	s_delay_alu instid0(VALU_DEP_1)
	v_or3_b32 v2, v2, v3, v6
.LBB446_1697:                           ;   in Loop: Header=BB446_1574 Depth=1
	s_or_b32 exec_lo, exec_lo, s13
.LBB446_1698:                           ;   in Loop: Header=BB446_1574 Depth=1
	s_delay_alu instid0(SALU_CYCLE_1)
	s_or_b32 exec_lo, exec_lo, s12
.LBB446_1699:                           ;   in Loop: Header=BB446_1574 Depth=1
	s_delay_alu instid0(SALU_CYCLE_1) | instskip(NEXT) | instid1(VALU_DEP_1)
	s_or_b32 exec_lo, exec_lo, s0
	v_mul_f32_e32 v3, v8, v2
	s_delay_alu instid0(VALU_DEP_1) | instskip(NEXT) | instid1(VALU_DEP_1)
	v_and_b32_e32 v2, 0x7f800000, v3
	v_cmp_ne_u32_e32 vcc_lo, 0x7f800000, v2
                                        ; implicit-def: $vgpr2
	s_and_saveexec_b32 s0, vcc_lo
	s_delay_alu instid0(SALU_CYCLE_1)
	s_xor_b32 s0, exec_lo, s0
; %bb.1700:                             ;   in Loop: Header=BB446_1574 Depth=1
	v_bfe_u32 v2, v3, 16, 1
	s_delay_alu instid0(VALU_DEP_1)
	v_add3_u32 v2, v3, v2, 0x7fff
                                        ; implicit-def: $vgpr3
; %bb.1701:                             ;   in Loop: Header=BB446_1574 Depth=1
	s_and_not1_saveexec_b32 s0, s0
; %bb.1702:                             ;   in Loop: Header=BB446_1574 Depth=1
	v_and_b32_e32 v2, 0xffff, v3
	v_or_b32_e32 v6, 0x10000, v3
	s_delay_alu instid0(VALU_DEP_2) | instskip(NEXT) | instid1(VALU_DEP_2)
	v_cmp_eq_u32_e32 vcc_lo, 0, v2
	v_cndmask_b32_e32 v2, v6, v3, vcc_lo
; %bb.1703:                             ;   in Loop: Header=BB446_1574 Depth=1
	s_or_b32 exec_lo, exec_lo, s0
	v_add_nc_u32_e32 v86, v18, v23
	v_cmp_eq_u32_e32 vcc_lo, v68, v17
	v_lshrrev_b32_e32 v6, 16, v87
	v_lshrrev_b32_e32 v7, 16, v85
	;; [unrolled: 1-line block ×8, first 2 shown]
	v_add_nc_u32_e32 v101, 1, v86
	v_add_nc_u32_e32 v100, 2, v86
	;; [unrolled: 1-line block ×7, first 2 shown]
	s_and_saveexec_b32 s12, vcc_lo
	s_cbranch_execz .LBB446_1705
; %bb.1704:                             ;   in Loop: Header=BB446_1574 Depth=1
	v_cmp_lt_i32_e64 s0, v86, v38
	s_delay_alu instid0(VALU_DEP_1) | instskip(SKIP_1) | instid1(VALU_DEP_1)
	v_cndmask_b32_e64 v81, 0, v81, s0
	v_cmp_lt_i32_e64 s0, v101, v38
	v_cndmask_b32_e64 v82, 0, v82, s0
	v_cmp_lt_i32_e64 s0, v100, v38
	s_delay_alu instid0(VALU_DEP_1) | instskip(SKIP_1) | instid1(VALU_DEP_1)
	v_cndmask_b32_e64 v83, 0, v83, s0
	v_cmp_lt_i32_e64 s0, v99, v38
	v_cndmask_b32_e64 v9, 0, v9, s0
	;; [unrolled: 5-line block ×4, first 2 shown]
.LBB446_1705:                           ;   in Loop: Header=BB446_1574 Depth=1
	s_or_b32 exec_lo, exec_lo, s12
	v_and_b32_e32 v102, 0xffff0000, v70
	v_lshlrev_b32_e32 v70, 16, v81
	s_delay_alu instid0(VALU_DEP_1) | instskip(NEXT) | instid1(VALU_DEP_1)
	v_mul_f32_e32 v81, v102, v70
	v_and_b32_e32 v70, 0x7f800000, v81
	s_delay_alu instid0(VALU_DEP_1) | instskip(NEXT) | instid1(VALU_DEP_1)
	v_cmp_ne_u32_e64 s0, 0x7f800000, v70
                                        ; implicit-def: $vgpr70
	s_and_saveexec_b32 s12, s0
	s_delay_alu instid0(SALU_CYCLE_1)
	s_xor_b32 s0, exec_lo, s12
; %bb.1706:                             ;   in Loop: Header=BB446_1574 Depth=1
	v_bfe_u32 v70, v81, 16, 1
	s_delay_alu instid0(VALU_DEP_1)
	v_add3_u32 v70, v81, v70, 0x7fff
                                        ; implicit-def: $vgpr81
; %bb.1707:                             ;   in Loop: Header=BB446_1574 Depth=1
	s_and_not1_saveexec_b32 s12, s0
; %bb.1708:                             ;   in Loop: Header=BB446_1574 Depth=1
	v_and_b32_e32 v70, 0xffff, v81
	v_or_b32_e32 v84, 0x10000, v81
	s_delay_alu instid0(VALU_DEP_2) | instskip(NEXT) | instid1(VALU_DEP_1)
	v_cmp_eq_u32_e64 s0, 0, v70
	v_cndmask_b32_e64 v70, v84, v81, s0
; %bb.1709:                             ;   in Loop: Header=BB446_1574 Depth=1
	s_or_b32 exec_lo, exec_lo, s12
	v_and_b32_e32 v103, 0xffff0000, v71
	v_lshlrev_b32_e32 v71, 16, v82
	s_delay_alu instid0(VALU_DEP_1) | instskip(NEXT) | instid1(VALU_DEP_1)
	v_mul_f32_e32 v81, v103, v71
	v_and_b32_e32 v71, 0x7f800000, v81
	s_delay_alu instid0(VALU_DEP_1) | instskip(NEXT) | instid1(VALU_DEP_1)
	v_cmp_ne_u32_e64 s0, 0x7f800000, v71
                                        ; implicit-def: $vgpr71
	s_and_saveexec_b32 s12, s0
	s_delay_alu instid0(SALU_CYCLE_1)
	s_xor_b32 s0, exec_lo, s12
; %bb.1710:                             ;   in Loop: Header=BB446_1574 Depth=1
	v_bfe_u32 v71, v81, 16, 1
	s_delay_alu instid0(VALU_DEP_1)
	v_add3_u32 v71, v81, v71, 0x7fff
                                        ; implicit-def: $vgpr81
; %bb.1711:                             ;   in Loop: Header=BB446_1574 Depth=1
	s_and_not1_saveexec_b32 s12, s0
; %bb.1712:                             ;   in Loop: Header=BB446_1574 Depth=1
	v_and_b32_e32 v71, 0xffff, v81
	v_or_b32_e32 v82, 0x10000, v81
	s_delay_alu instid0(VALU_DEP_2) | instskip(NEXT) | instid1(VALU_DEP_1)
	v_cmp_eq_u32_e64 s0, 0, v71
	v_cndmask_b32_e64 v71, v82, v81, s0
; %bb.1713:                             ;   in Loop: Header=BB446_1574 Depth=1
	s_or_b32 exec_lo, exec_lo, s12
	v_and_b32_e32 v112, 0xffff0000, v80
	v_lshlrev_b32_e32 v80, 16, v83
	s_delay_alu instid0(VALU_DEP_1) | instskip(NEXT) | instid1(VALU_DEP_1)
	v_mul_f32_e32 v81, v112, v80
	v_and_b32_e32 v80, 0x7f800000, v81
	s_delay_alu instid0(VALU_DEP_1) | instskip(NEXT) | instid1(VALU_DEP_1)
	v_cmp_ne_u32_e64 s0, 0x7f800000, v80
                                        ; implicit-def: $vgpr80
	s_and_saveexec_b32 s12, s0
	s_delay_alu instid0(SALU_CYCLE_1)
	s_xor_b32 s0, exec_lo, s12
; %bb.1714:                             ;   in Loop: Header=BB446_1574 Depth=1
	v_bfe_u32 v80, v81, 16, 1
	s_delay_alu instid0(VALU_DEP_1)
	v_add3_u32 v80, v81, v80, 0x7fff
                                        ; implicit-def: $vgpr81
; %bb.1715:                             ;   in Loop: Header=BB446_1574 Depth=1
	s_and_not1_saveexec_b32 s12, s0
; %bb.1716:                             ;   in Loop: Header=BB446_1574 Depth=1
	v_and_b32_e32 v80, 0xffff, v81
	v_or_b32_e32 v82, 0x10000, v81
	s_delay_alu instid0(VALU_DEP_2) | instskip(NEXT) | instid1(VALU_DEP_1)
	v_cmp_eq_u32_e64 s0, 0, v80
	v_cndmask_b32_e64 v80, v82, v81, s0
; %bb.1717:                             ;   in Loop: Header=BB446_1574 Depth=1
	s_or_b32 exec_lo, exec_lo, s12
	v_and_b32_e32 v113, 0xffff0000, v39
	v_lshlrev_b32_e32 v9, 16, v9
                                        ; implicit-def: $vgpr81
	s_delay_alu instid0(VALU_DEP_1) | instskip(NEXT) | instid1(VALU_DEP_1)
	v_mul_f32_e32 v9, v113, v9
	v_and_b32_e32 v39, 0x7f800000, v9
	s_delay_alu instid0(VALU_DEP_1) | instskip(NEXT) | instid1(VALU_DEP_1)
	v_cmp_ne_u32_e64 s0, 0x7f800000, v39
	s_and_saveexec_b32 s12, s0
	s_delay_alu instid0(SALU_CYCLE_1)
	s_xor_b32 s0, exec_lo, s12
; %bb.1718:                             ;   in Loop: Header=BB446_1574 Depth=1
	v_bfe_u32 v39, v9, 16, 1
	s_delay_alu instid0(VALU_DEP_1)
	v_add3_u32 v81, v9, v39, 0x7fff
                                        ; implicit-def: $vgpr9
; %bb.1719:                             ;   in Loop: Header=BB446_1574 Depth=1
	s_and_not1_saveexec_b32 s12, s0
; %bb.1720:                             ;   in Loop: Header=BB446_1574 Depth=1
	v_and_b32_e32 v39, 0xffff, v9
	v_or_b32_e32 v81, 0x10000, v9
	s_delay_alu instid0(VALU_DEP_2) | instskip(NEXT) | instid1(VALU_DEP_1)
	v_cmp_eq_u32_e64 s0, 0, v39
	v_cndmask_b32_e64 v81, v81, v9, s0
; %bb.1721:                             ;   in Loop: Header=BB446_1574 Depth=1
	s_or_b32 exec_lo, exec_lo, s12
	v_and_b32_e32 v114, 0xffff0000, v37
	v_lshlrev_b32_e32 v7, 16, v7
                                        ; implicit-def: $vgpr82
	s_delay_alu instid0(VALU_DEP_1) | instskip(NEXT) | instid1(VALU_DEP_1)
	v_mul_f32_e32 v7, v114, v7
	v_and_b32_e32 v9, 0x7f800000, v7
	s_delay_alu instid0(VALU_DEP_1) | instskip(NEXT) | instid1(VALU_DEP_1)
	v_cmp_ne_u32_e64 s0, 0x7f800000, v9
	s_and_saveexec_b32 s12, s0
	s_delay_alu instid0(SALU_CYCLE_1)
	s_xor_b32 s0, exec_lo, s12
; %bb.1722:                             ;   in Loop: Header=BB446_1574 Depth=1
	v_bfe_u32 v9, v7, 16, 1
	s_delay_alu instid0(VALU_DEP_1)
	v_add3_u32 v82, v7, v9, 0x7fff
                                        ; implicit-def: $vgpr7
; %bb.1723:                             ;   in Loop: Header=BB446_1574 Depth=1
	s_and_not1_saveexec_b32 s12, s0
; %bb.1724:                             ;   in Loop: Header=BB446_1574 Depth=1
	v_and_b32_e32 v9, 0xffff, v7
	v_or_b32_e32 v37, 0x10000, v7
	s_delay_alu instid0(VALU_DEP_2) | instskip(NEXT) | instid1(VALU_DEP_1)
	v_cmp_eq_u32_e64 s0, 0, v9
	v_cndmask_b32_e64 v82, v37, v7, s0
; %bb.1725:                             ;   in Loop: Header=BB446_1574 Depth=1
	s_or_b32 exec_lo, exec_lo, s12
	v_and_b32_e32 v115, 0xffff0000, v21
	v_lshlrev_b32_e32 v6, 16, v6
                                        ; implicit-def: $vgpr83
	s_delay_alu instid0(VALU_DEP_1) | instskip(NEXT) | instid1(VALU_DEP_1)
	v_mul_f32_e32 v6, v115, v6
	v_and_b32_e32 v7, 0x7f800000, v6
	s_delay_alu instid0(VALU_DEP_1) | instskip(NEXT) | instid1(VALU_DEP_1)
	v_cmp_ne_u32_e64 s0, 0x7f800000, v7
	s_and_saveexec_b32 s12, s0
	s_delay_alu instid0(SALU_CYCLE_1)
	s_xor_b32 s0, exec_lo, s12
; %bb.1726:                             ;   in Loop: Header=BB446_1574 Depth=1
	v_bfe_u32 v7, v6, 16, 1
	s_delay_alu instid0(VALU_DEP_1)
	v_add3_u32 v83, v6, v7, 0x7fff
                                        ; implicit-def: $vgpr6
; %bb.1727:                             ;   in Loop: Header=BB446_1574 Depth=1
	s_and_not1_saveexec_b32 s12, s0
; %bb.1728:                             ;   in Loop: Header=BB446_1574 Depth=1
	v_and_b32_e32 v7, 0xffff, v6
	v_or_b32_e32 v9, 0x10000, v6
	s_delay_alu instid0(VALU_DEP_2) | instskip(NEXT) | instid1(VALU_DEP_1)
	v_cmp_eq_u32_e64 s0, 0, v7
	v_cndmask_b32_e64 v83, v9, v6, s0
; %bb.1729:                             ;   in Loop: Header=BB446_1574 Depth=1
	s_or_b32 exec_lo, exec_lo, s12
	v_and_b32_e32 v116, 0xffff0000, v5
	v_lshlrev_b32_e32 v3, 16, v3
                                        ; implicit-def: $vgpr84
	s_delay_alu instid0(VALU_DEP_1) | instskip(NEXT) | instid1(VALU_DEP_1)
	v_mul_f32_e32 v3, v116, v3
	v_and_b32_e32 v5, 0x7f800000, v3
	s_delay_alu instid0(VALU_DEP_1) | instskip(NEXT) | instid1(VALU_DEP_1)
	v_cmp_ne_u32_e64 s0, 0x7f800000, v5
	s_and_saveexec_b32 s12, s0
	s_delay_alu instid0(SALU_CYCLE_1)
	s_xor_b32 s0, exec_lo, s12
; %bb.1730:                             ;   in Loop: Header=BB446_1574 Depth=1
	v_bfe_u32 v5, v3, 16, 1
	s_delay_alu instid0(VALU_DEP_1)
	v_add3_u32 v84, v3, v5, 0x7fff
                                        ; implicit-def: $vgpr3
; %bb.1731:                             ;   in Loop: Header=BB446_1574 Depth=1
	s_and_not1_saveexec_b32 s12, s0
; %bb.1732:                             ;   in Loop: Header=BB446_1574 Depth=1
	v_and_b32_e32 v5, 0xffff, v3
	v_or_b32_e32 v6, 0x10000, v3
	s_delay_alu instid0(VALU_DEP_2) | instskip(NEXT) | instid1(VALU_DEP_1)
	v_cmp_eq_u32_e64 s0, 0, v5
	v_cndmask_b32_e64 v84, v6, v3, s0
; %bb.1733:                             ;   in Loop: Header=BB446_1574 Depth=1
	s_or_b32 exec_lo, exec_lo, s12
	v_and_b32_e32 v117, 0xffff0000, v4
	v_lshlrev_b32_e32 v2, 16, v2
                                        ; implicit-def: $vgpr85
	s_delay_alu instid0(VALU_DEP_1) | instskip(NEXT) | instid1(VALU_DEP_1)
	v_mul_f32_e32 v2, v117, v2
	v_and_b32_e32 v3, 0x7f800000, v2
	s_delay_alu instid0(VALU_DEP_1) | instskip(NEXT) | instid1(VALU_DEP_1)
	v_cmp_ne_u32_e64 s0, 0x7f800000, v3
	s_and_saveexec_b32 s12, s0
	s_delay_alu instid0(SALU_CYCLE_1)
	s_xor_b32 s0, exec_lo, s12
; %bb.1734:                             ;   in Loop: Header=BB446_1574 Depth=1
	v_bfe_u32 v3, v2, 16, 1
	s_delay_alu instid0(VALU_DEP_1)
	v_add3_u32 v85, v2, v3, 0x7fff
                                        ; implicit-def: $vgpr2
; %bb.1735:                             ;   in Loop: Header=BB446_1574 Depth=1
	s_and_not1_saveexec_b32 s12, s0
; %bb.1736:                             ;   in Loop: Header=BB446_1574 Depth=1
	v_and_b32_e32 v3, 0xffff, v2
	v_or_b32_e32 v4, 0x10000, v2
	s_delay_alu instid0(VALU_DEP_2) | instskip(NEXT) | instid1(VALU_DEP_1)
	v_cmp_eq_u32_e64 s0, 0, v3
	v_cndmask_b32_e64 v85, v4, v2, s0
; %bb.1737:                             ;   in Loop: Header=BB446_1574 Depth=1
	s_or_b32 exec_lo, exec_lo, s12
	flat_load_b64 v[2:3], v[0:1] offset:256
	s_mov_b32 s12, exec_lo
	s_waitcnt vmcnt(0) lgkmcnt(0)
	v_dual_mov_b32 v4, 0 :: v_dual_and_b32 v5, 0xff, v2
	s_delay_alu instid0(VALU_DEP_1)
	v_cmpx_ne_u16_e32 0, v5
	s_cbranch_execz .LBB446_1745
; %bb.1738:                             ;   in Loop: Header=BB446_1574 Depth=1
	v_bfrev_b32_e32 v4, 1
	s_mov_b32 s13, exec_lo
	v_cmpx_ne_u16_e32 0x80, v5
	s_cbranch_execz .LBB446_1744
; %bb.1739:                             ;   in Loop: Header=BB446_1574 Depth=1
	v_and_b32_e32 v5, 0x7f, v2
	v_mov_b32_e32 v4, 0x7f800001
	s_mov_b32 s15, exec_lo
	s_delay_alu instid0(VALU_DEP_2)
	v_cmpx_ne_u32_e32 0x7f, v5
	s_cbranch_execz .LBB446_1743
; %bb.1740:                             ;   in Loop: Header=BB446_1574 Depth=1
	v_lshrrev_b32_e32 v4, 3, v5
	v_dual_mov_b32 v7, v3 :: v_dual_mov_b32 v6, v2
	s_mov_b32 s16, exec_lo
	v_cmpx_gt_u32_e32 8, v5
; %bb.1741:                             ;   in Loop: Header=BB446_1574 Depth=1
	v_and_b32_e32 v4, 7, v2
	s_delay_alu instid0(VALU_DEP_1) | instskip(NEXT) | instid1(VALU_DEP_1)
	v_clz_i32_u32_e32 v4, v4
	v_min_u32_e32 v4, 32, v4
	s_delay_alu instid0(VALU_DEP_1) | instskip(SKIP_1) | instid1(VALU_DEP_2)
	v_subrev_nc_u32_e32 v5, 28, v4
	v_sub_nc_u32_e32 v4, 29, v4
	v_lshlrev_b64 v[6:7], v5, v[2:3]
; %bb.1742:                             ;   in Loop: Header=BB446_1574 Depth=1
	s_or_b32 exec_lo, exec_lo, s16
	s_delay_alu instid0(VALU_DEP_1) | instskip(SKIP_2) | instid1(VALU_DEP_3)
	v_lshlrev_b32_e32 v5, 20, v6
	v_lshlrev_b32_e32 v6, 24, v2
	v_lshl_add_u32 v4, v4, 23, 0x3c000000
	v_and_b32_e32 v5, 0x700000, v5
	s_delay_alu instid0(VALU_DEP_3) | instskip(NEXT) | instid1(VALU_DEP_1)
	v_and_b32_e32 v6, 0x80000000, v6
	v_or3_b32 v4, v5, v6, v4
.LBB446_1743:                           ;   in Loop: Header=BB446_1574 Depth=1
	s_or_b32 exec_lo, exec_lo, s15
.LBB446_1744:                           ;   in Loop: Header=BB446_1574 Depth=1
	s_delay_alu instid0(SALU_CYCLE_1)
	s_or_b32 exec_lo, exec_lo, s13
.LBB446_1745:                           ;   in Loop: Header=BB446_1574 Depth=1
	s_delay_alu instid0(SALU_CYCLE_1) | instskip(NEXT) | instid1(VALU_DEP_1)
	s_or_b32 exec_lo, exec_lo, s12
	v_mul_f32_e32 v5, v8, v4
	s_delay_alu instid0(VALU_DEP_1) | instskip(NEXT) | instid1(VALU_DEP_1)
	v_and_b32_e32 v4, 0x7f800000, v5
	v_cmp_ne_u32_e64 s0, 0x7f800000, v4
                                        ; implicit-def: $vgpr4
	s_delay_alu instid0(VALU_DEP_1) | instskip(NEXT) | instid1(SALU_CYCLE_1)
	s_and_saveexec_b32 s12, s0
	s_xor_b32 s0, exec_lo, s12
; %bb.1746:                             ;   in Loop: Header=BB446_1574 Depth=1
	v_bfe_u32 v4, v5, 16, 1
	s_delay_alu instid0(VALU_DEP_1)
	v_add3_u32 v4, v5, v4, 0x7fff
                                        ; implicit-def: $vgpr5
; %bb.1747:                             ;   in Loop: Header=BB446_1574 Depth=1
	s_and_not1_saveexec_b32 s12, s0
; %bb.1748:                             ;   in Loop: Header=BB446_1574 Depth=1
	v_and_b32_e32 v4, 0xffff, v5
	v_or_b32_e32 v6, 0x10000, v5
	s_delay_alu instid0(VALU_DEP_2) | instskip(NEXT) | instid1(VALU_DEP_1)
	v_cmp_eq_u32_e64 s0, 0, v4
	v_cndmask_b32_e64 v4, v6, v5, s0
; %bb.1749:                             ;   in Loop: Header=BB446_1574 Depth=1
	s_or_b32 exec_lo, exec_lo, s12
	v_lshrrev_b16 v6, 8, v2
	v_mov_b32_e32 v5, 0
	s_mov_b32 s12, exec_lo
	s_delay_alu instid0(VALU_DEP_2)
	v_cmpx_ne_u16_e32 0, v6
	s_cbranch_execz .LBB446_1757
; %bb.1750:                             ;   in Loop: Header=BB446_1574 Depth=1
	v_bfrev_b32_e32 v5, 1
	s_mov_b32 s13, exec_lo
	v_cmpx_ne_u16_e32 0x80, v6
	s_cbranch_execz .LBB446_1756
; %bb.1751:                             ;   in Loop: Header=BB446_1574 Depth=1
	v_and_b32_e32 v7, 0xffff, v6
	v_mov_b32_e32 v5, 0x7f800001
	s_mov_b32 s15, exec_lo
	s_delay_alu instid0(VALU_DEP_2) | instskip(NEXT) | instid1(VALU_DEP_1)
	v_and_b32_e32 v6, 0x7f, v7
	v_cmpx_ne_u32_e32 0x7f, v6
	s_cbranch_execz .LBB446_1755
; %bb.1752:                             ;   in Loop: Header=BB446_1574 Depth=1
	v_and_b32_e32 v9, 7, v7
	v_lshrrev_b32_e32 v5, 3, v6
	v_cmp_gt_u32_e64 s0, 8, v6
	s_delay_alu instid0(VALU_DEP_3) | instskip(NEXT) | instid1(VALU_DEP_2)
	v_dual_mov_b32 v6, v9 :: v_dual_mov_b32 v7, v10
	s_and_saveexec_b32 s16, s0
; %bb.1753:                             ;   in Loop: Header=BB446_1574 Depth=1
	v_clz_i32_u32_e32 v5, v9
	s_delay_alu instid0(VALU_DEP_1) | instskip(NEXT) | instid1(VALU_DEP_1)
	v_min_u32_e32 v5, 32, v5
	v_subrev_nc_u32_e32 v6, 28, v5
	v_sub_nc_u32_e32 v5, 29, v5
	s_delay_alu instid0(VALU_DEP_2) | instskip(NEXT) | instid1(VALU_DEP_1)
	v_lshlrev_b64 v[6:7], v6, v[9:10]
	v_and_b32_e32 v6, 7, v6
; %bb.1754:                             ;   in Loop: Header=BB446_1574 Depth=1
	s_or_b32 exec_lo, exec_lo, s16
	v_lshlrev_b32_e32 v7, 16, v2
	s_delay_alu instid0(VALU_DEP_2) | instskip(SKIP_1) | instid1(VALU_DEP_3)
	v_lshlrev_b32_e32 v6, 20, v6
	v_lshl_add_u32 v5, v5, 23, 0x3c000000
	v_and_b32_e32 v7, 0x80000000, v7
	s_delay_alu instid0(VALU_DEP_1)
	v_or3_b32 v5, v6, v7, v5
.LBB446_1755:                           ;   in Loop: Header=BB446_1574 Depth=1
	s_or_b32 exec_lo, exec_lo, s15
.LBB446_1756:                           ;   in Loop: Header=BB446_1574 Depth=1
	s_delay_alu instid0(SALU_CYCLE_1)
	s_or_b32 exec_lo, exec_lo, s13
.LBB446_1757:                           ;   in Loop: Header=BB446_1574 Depth=1
	s_delay_alu instid0(SALU_CYCLE_1) | instskip(NEXT) | instid1(VALU_DEP_1)
	s_or_b32 exec_lo, exec_lo, s12
	v_mul_f32_e32 v6, v8, v5
	s_delay_alu instid0(VALU_DEP_1) | instskip(NEXT) | instid1(VALU_DEP_1)
	v_and_b32_e32 v5, 0x7f800000, v6
	v_cmp_ne_u32_e64 s0, 0x7f800000, v5
                                        ; implicit-def: $vgpr5
	s_delay_alu instid0(VALU_DEP_1) | instskip(NEXT) | instid1(SALU_CYCLE_1)
	s_and_saveexec_b32 s12, s0
	s_xor_b32 s0, exec_lo, s12
; %bb.1758:                             ;   in Loop: Header=BB446_1574 Depth=1
	v_bfe_u32 v5, v6, 16, 1
	s_delay_alu instid0(VALU_DEP_1)
	v_add3_u32 v5, v6, v5, 0x7fff
                                        ; implicit-def: $vgpr6
; %bb.1759:                             ;   in Loop: Header=BB446_1574 Depth=1
	s_and_not1_saveexec_b32 s12, s0
; %bb.1760:                             ;   in Loop: Header=BB446_1574 Depth=1
	v_and_b32_e32 v5, 0xffff, v6
	v_or_b32_e32 v7, 0x10000, v6
	s_delay_alu instid0(VALU_DEP_2) | instskip(NEXT) | instid1(VALU_DEP_1)
	v_cmp_eq_u32_e64 s0, 0, v5
	v_cndmask_b32_e64 v5, v7, v6, s0
; %bb.1761:                             ;   in Loop: Header=BB446_1574 Depth=1
	s_or_b32 exec_lo, exec_lo, s12
	v_lshrrev_b32_e32 v21, 16, v2
	s_mov_b32 s12, exec_lo
	s_delay_alu instid0(VALU_DEP_1) | instskip(NEXT) | instid1(VALU_DEP_1)
	v_dual_mov_b32 v6, 0 :: v_dual_and_b32 v7, 0xff, v21
	v_cmpx_ne_u16_e32 0, v7
	s_cbranch_execz .LBB446_1769
; %bb.1762:                             ;   in Loop: Header=BB446_1574 Depth=1
	v_bfrev_b32_e32 v6, 1
	s_mov_b32 s13, exec_lo
	v_cmpx_ne_u16_e32 0x80, v7
	s_cbranch_execz .LBB446_1768
; %bb.1763:                             ;   in Loop: Header=BB446_1574 Depth=1
	v_bfe_u32 v7, v2, 16, 7
	v_mov_b32_e32 v6, 0x7f800001
	s_mov_b32 s15, exec_lo
	s_delay_alu instid0(VALU_DEP_2)
	v_cmpx_ne_u32_e32 0x7f, v7
	s_cbranch_execz .LBB446_1767
; %bb.1764:                             ;   in Loop: Header=BB446_1574 Depth=1
	v_and_b32_e32 v9, 7, v21
	v_lshrrev_b32_e32 v37, 3, v7
	v_cmp_gt_u32_e64 s0, 8, v7
	s_delay_alu instid0(VALU_DEP_3) | instskip(NEXT) | instid1(VALU_DEP_2)
	v_dual_mov_b32 v6, v9 :: v_dual_mov_b32 v7, v10
	s_and_saveexec_b32 s16, s0
; %bb.1765:                             ;   in Loop: Header=BB446_1574 Depth=1
	v_clz_i32_u32_e32 v6, v9
	s_delay_alu instid0(VALU_DEP_1) | instskip(NEXT) | instid1(VALU_DEP_1)
	v_min_u32_e32 v37, 32, v6
	v_subrev_nc_u32_e32 v6, 28, v37
	v_sub_nc_u32_e32 v37, 29, v37
	s_delay_alu instid0(VALU_DEP_2) | instskip(NEXT) | instid1(VALU_DEP_1)
	v_lshlrev_b64 v[6:7], v6, v[9:10]
	v_and_b32_e32 v6, 7, v6
; %bb.1766:                             ;   in Loop: Header=BB446_1574 Depth=1
	s_or_b32 exec_lo, exec_lo, s16
	v_lshlrev_b32_e32 v7, 24, v21
	s_delay_alu instid0(VALU_DEP_2) | instskip(SKIP_1) | instid1(VALU_DEP_3)
	v_lshlrev_b32_e32 v6, 20, v6
	v_lshl_add_u32 v9, v37, 23, 0x3c000000
	v_and_b32_e32 v7, 0x80000000, v7
	s_delay_alu instid0(VALU_DEP_1)
	v_or3_b32 v6, v6, v7, v9
.LBB446_1767:                           ;   in Loop: Header=BB446_1574 Depth=1
	s_or_b32 exec_lo, exec_lo, s15
.LBB446_1768:                           ;   in Loop: Header=BB446_1574 Depth=1
	s_delay_alu instid0(SALU_CYCLE_1)
	s_or_b32 exec_lo, exec_lo, s13
.LBB446_1769:                           ;   in Loop: Header=BB446_1574 Depth=1
	s_delay_alu instid0(SALU_CYCLE_1) | instskip(NEXT) | instid1(VALU_DEP_1)
	s_or_b32 exec_lo, exec_lo, s12
	v_mul_f32_e32 v6, v8, v6
                                        ; implicit-def: $vgpr21
	s_delay_alu instid0(VALU_DEP_1) | instskip(NEXT) | instid1(VALU_DEP_1)
	v_and_b32_e32 v7, 0x7f800000, v6
	v_cmp_ne_u32_e64 s0, 0x7f800000, v7
	s_delay_alu instid0(VALU_DEP_1) | instskip(NEXT) | instid1(SALU_CYCLE_1)
	s_and_saveexec_b32 s12, s0
	s_xor_b32 s0, exec_lo, s12
; %bb.1770:                             ;   in Loop: Header=BB446_1574 Depth=1
	v_bfe_u32 v7, v6, 16, 1
	s_delay_alu instid0(VALU_DEP_1)
	v_add3_u32 v21, v6, v7, 0x7fff
                                        ; implicit-def: $vgpr6
; %bb.1771:                             ;   in Loop: Header=BB446_1574 Depth=1
	s_and_not1_saveexec_b32 s12, s0
; %bb.1772:                             ;   in Loop: Header=BB446_1574 Depth=1
	v_and_b32_e32 v7, 0xffff, v6
	v_or_b32_e32 v9, 0x10000, v6
	s_delay_alu instid0(VALU_DEP_2) | instskip(NEXT) | instid1(VALU_DEP_1)
	v_cmp_eq_u32_e64 s0, 0, v7
	v_cndmask_b32_e64 v21, v9, v6, s0
; %bb.1773:                             ;   in Loop: Header=BB446_1574 Depth=1
	s_or_b32 exec_lo, exec_lo, s12
	v_mov_b32_e32 v6, 0
	s_mov_b32 s12, exec_lo
	v_cmpx_lt_u32_e32 0xffffff, v2
	s_cbranch_execz .LBB446_1781
; %bb.1774:                             ;   in Loop: Header=BB446_1574 Depth=1
	v_lshrrev_b32_e32 v37, 24, v2
	v_bfrev_b32_e32 v6, 1
	s_mov_b32 s13, exec_lo
	s_delay_alu instid0(VALU_DEP_2)
	v_cmpx_ne_u32_e32 0x80, v37
	s_cbranch_execz .LBB446_1780
; %bb.1775:                             ;   in Loop: Header=BB446_1574 Depth=1
	v_bfe_u32 v7, v2, 24, 7
	v_mov_b32_e32 v6, 0x7f800001
	s_mov_b32 s15, exec_lo
	s_delay_alu instid0(VALU_DEP_2)
	v_cmpx_ne_u32_e32 0x7f, v7
	s_cbranch_execz .LBB446_1779
; %bb.1776:                             ;   in Loop: Header=BB446_1574 Depth=1
	v_and_b32_e32 v9, 7, v37
	v_lshrrev_b32_e32 v39, 3, v7
	v_cmp_gt_u32_e64 s0, 8, v7
	s_delay_alu instid0(VALU_DEP_3) | instskip(NEXT) | instid1(VALU_DEP_2)
	v_dual_mov_b32 v6, v9 :: v_dual_mov_b32 v7, v10
	s_and_saveexec_b32 s16, s0
; %bb.1777:                             ;   in Loop: Header=BB446_1574 Depth=1
	v_clz_i32_u32_e32 v6, v9
	s_delay_alu instid0(VALU_DEP_1) | instskip(NEXT) | instid1(VALU_DEP_1)
	v_min_u32_e32 v39, 32, v6
	v_subrev_nc_u32_e32 v6, 28, v39
	v_sub_nc_u32_e32 v39, 29, v39
	s_delay_alu instid0(VALU_DEP_2) | instskip(NEXT) | instid1(VALU_DEP_1)
	v_lshlrev_b64 v[6:7], v6, v[9:10]
	v_and_b32_e32 v6, 7, v6
; %bb.1778:                             ;   in Loop: Header=BB446_1574 Depth=1
	s_or_b32 exec_lo, exec_lo, s16
	v_lshlrev_b32_e32 v7, 24, v37
	s_delay_alu instid0(VALU_DEP_2) | instskip(SKIP_1) | instid1(VALU_DEP_3)
	v_lshlrev_b32_e32 v6, 20, v6
	v_lshl_add_u32 v9, v39, 23, 0x3c000000
	v_and_b32_e32 v7, 0x80000000, v7
	s_delay_alu instid0(VALU_DEP_1)
	v_or3_b32 v6, v6, v7, v9
.LBB446_1779:                           ;   in Loop: Header=BB446_1574 Depth=1
	s_or_b32 exec_lo, exec_lo, s15
.LBB446_1780:                           ;   in Loop: Header=BB446_1574 Depth=1
	s_delay_alu instid0(SALU_CYCLE_1)
	s_or_b32 exec_lo, exec_lo, s13
.LBB446_1781:                           ;   in Loop: Header=BB446_1574 Depth=1
	s_delay_alu instid0(SALU_CYCLE_1) | instskip(NEXT) | instid1(VALU_DEP_1)
	s_or_b32 exec_lo, exec_lo, s12
	v_mul_f32_e32 v6, v8, v6
                                        ; implicit-def: $vgpr37
	s_delay_alu instid0(VALU_DEP_1) | instskip(NEXT) | instid1(VALU_DEP_1)
	v_and_b32_e32 v7, 0x7f800000, v6
	v_cmp_ne_u32_e64 s0, 0x7f800000, v7
	s_delay_alu instid0(VALU_DEP_1) | instskip(NEXT) | instid1(SALU_CYCLE_1)
	s_and_saveexec_b32 s12, s0
	s_xor_b32 s0, exec_lo, s12
; %bb.1782:                             ;   in Loop: Header=BB446_1574 Depth=1
	v_bfe_u32 v7, v6, 16, 1
	s_delay_alu instid0(VALU_DEP_1)
	v_add3_u32 v37, v6, v7, 0x7fff
                                        ; implicit-def: $vgpr6
; %bb.1783:                             ;   in Loop: Header=BB446_1574 Depth=1
	s_and_not1_saveexec_b32 s12, s0
; %bb.1784:                             ;   in Loop: Header=BB446_1574 Depth=1
	v_and_b32_e32 v7, 0xffff, v6
	v_or_b32_e32 v9, 0x10000, v6
	s_delay_alu instid0(VALU_DEP_2) | instskip(NEXT) | instid1(VALU_DEP_1)
	v_cmp_eq_u32_e64 s0, 0, v7
	v_cndmask_b32_e64 v37, v9, v6, s0
; %bb.1785:                             ;   in Loop: Header=BB446_1574 Depth=1
	s_or_b32 exec_lo, exec_lo, s12
	v_dual_mov_b32 v6, 0 :: v_dual_and_b32 v7, 0xff, v3
	v_mov_b32_e32 v9, v3
	s_mov_b32 s12, exec_lo
	s_delay_alu instid0(VALU_DEP_2)
	v_cmpx_ne_u16_e32 0, v7
	s_cbranch_execz .LBB446_1793
; %bb.1786:                             ;   in Loop: Header=BB446_1574 Depth=1
	v_bfrev_b32_e32 v6, 1
	s_mov_b32 s13, exec_lo
	v_cmpx_ne_u16_e32 0x80, v7
	s_cbranch_execz .LBB446_1792
; %bb.1787:                             ;   in Loop: Header=BB446_1574 Depth=1
	v_and_b32_e32 v7, 0x7f, v3
	v_mov_b32_e32 v6, 0x7f800001
	s_mov_b32 s15, exec_lo
	s_delay_alu instid0(VALU_DEP_2)
	v_cmpx_ne_u32_e32 0x7f, v7
	s_cbranch_execz .LBB446_1791
; %bb.1788:                             ;   in Loop: Header=BB446_1574 Depth=1
	v_lshrrev_b32_e32 v39, 3, v7
	v_cmp_gt_u32_e64 s0, 8, v7
	v_dual_mov_b32 v6, v9 :: v_dual_mov_b32 v7, v10
	s_delay_alu instid0(VALU_DEP_2)
	s_and_saveexec_b32 s16, s0
; %bb.1789:                             ;   in Loop: Header=BB446_1574 Depth=1
	v_and_b32_e32 v6, 7, v3
	s_delay_alu instid0(VALU_DEP_1) | instskip(NEXT) | instid1(VALU_DEP_1)
	v_clz_i32_u32_e32 v6, v6
	v_min_u32_e32 v39, 32, v6
	s_delay_alu instid0(VALU_DEP_1) | instskip(SKIP_1) | instid1(VALU_DEP_2)
	v_subrev_nc_u32_e32 v6, 28, v39
	v_sub_nc_u32_e32 v39, 29, v39
	v_lshlrev_b64 v[6:7], v6, v[9:10]
; %bb.1790:                             ;   in Loop: Header=BB446_1574 Depth=1
	s_or_b32 exec_lo, exec_lo, s16
	s_delay_alu instid0(VALU_DEP_1) | instskip(SKIP_2) | instid1(VALU_DEP_3)
	v_lshlrev_b32_e32 v6, 20, v6
	v_lshlrev_b32_e32 v7, 24, v9
	v_lshl_add_u32 v39, v39, 23, 0x3c000000
	v_and_b32_e32 v6, 0x700000, v6
	s_delay_alu instid0(VALU_DEP_3) | instskip(NEXT) | instid1(VALU_DEP_1)
	v_and_b32_e32 v7, 0x80000000, v7
	v_or3_b32 v6, v6, v7, v39
.LBB446_1791:                           ;   in Loop: Header=BB446_1574 Depth=1
	s_or_b32 exec_lo, exec_lo, s15
.LBB446_1792:                           ;   in Loop: Header=BB446_1574 Depth=1
	s_delay_alu instid0(SALU_CYCLE_1)
	s_or_b32 exec_lo, exec_lo, s13
.LBB446_1793:                           ;   in Loop: Header=BB446_1574 Depth=1
	s_delay_alu instid0(SALU_CYCLE_1) | instskip(NEXT) | instid1(VALU_DEP_1)
	s_or_b32 exec_lo, exec_lo, s12
	v_mul_f32_e32 v6, v8, v6
                                        ; implicit-def: $vgpr39
	s_delay_alu instid0(VALU_DEP_1) | instskip(NEXT) | instid1(VALU_DEP_1)
	v_and_b32_e32 v7, 0x7f800000, v6
	v_cmp_ne_u32_e64 s0, 0x7f800000, v7
	s_delay_alu instid0(VALU_DEP_1) | instskip(NEXT) | instid1(SALU_CYCLE_1)
	s_and_saveexec_b32 s12, s0
	s_xor_b32 s0, exec_lo, s12
; %bb.1794:                             ;   in Loop: Header=BB446_1574 Depth=1
	v_bfe_u32 v7, v6, 16, 1
	s_delay_alu instid0(VALU_DEP_1)
	v_add3_u32 v39, v6, v7, 0x7fff
                                        ; implicit-def: $vgpr6
; %bb.1795:                             ;   in Loop: Header=BB446_1574 Depth=1
	s_and_not1_saveexec_b32 s12, s0
; %bb.1796:                             ;   in Loop: Header=BB446_1574 Depth=1
	v_and_b32_e32 v7, 0xffff, v6
	v_or_b32_e32 v39, 0x10000, v6
	s_delay_alu instid0(VALU_DEP_2) | instskip(NEXT) | instid1(VALU_DEP_1)
	v_cmp_eq_u32_e64 s0, 0, v7
	v_cndmask_b32_e64 v39, v39, v6, s0
; %bb.1797:                             ;   in Loop: Header=BB446_1574 Depth=1
	s_or_b32 exec_lo, exec_lo, s12
	v_lshrrev_b16 v7, 8, v9
	v_mov_b32_e32 v6, 0
	s_mov_b32 s12, exec_lo
	s_delay_alu instid0(VALU_DEP_2)
	v_cmpx_ne_u16_e32 0, v7
	s_cbranch_execz .LBB446_1805
; %bb.1798:                             ;   in Loop: Header=BB446_1574 Depth=1
	v_bfrev_b32_e32 v6, 1
	s_mov_b32 s13, exec_lo
	v_cmpx_ne_u16_e32 0x80, v7
	s_cbranch_execz .LBB446_1804
; %bb.1799:                             ;   in Loop: Header=BB446_1574 Depth=1
	v_and_b32_e32 v7, 0xffff, v7
	v_mov_b32_e32 v6, 0x7f800001
	s_mov_b32 s15, exec_lo
	s_delay_alu instid0(VALU_DEP_2) | instskip(NEXT) | instid1(VALU_DEP_1)
	v_and_b32_e32 v119, 0x7f, v7
	v_cmpx_ne_u32_e32 0x7f, v119
	s_cbranch_execz .LBB446_1803
; %bb.1800:                             ;   in Loop: Header=BB446_1574 Depth=1
	v_dual_mov_b32 v7, v10 :: v_dual_and_b32 v6, 7, v7
	v_lshrrev_b32_e32 v118, 3, v119
	s_mov_b32 s16, exec_lo
	v_cmpx_gt_u32_e32 8, v119
; %bb.1801:                             ;   in Loop: Header=BB446_1574 Depth=1
	s_delay_alu instid0(VALU_DEP_3) | instskip(NEXT) | instid1(VALU_DEP_1)
	v_clz_i32_u32_e32 v118, v6
	v_min_u32_e32 v118, 32, v118
	s_delay_alu instid0(VALU_DEP_1) | instskip(SKIP_1) | instid1(VALU_DEP_2)
	v_subrev_nc_u32_e32 v119, 28, v118
	v_sub_nc_u32_e32 v118, 29, v118
	v_lshlrev_b64 v[6:7], v119, v[6:7]
	s_delay_alu instid0(VALU_DEP_1)
	v_and_b32_e32 v6, 7, v6
; %bb.1802:                             ;   in Loop: Header=BB446_1574 Depth=1
	s_or_b32 exec_lo, exec_lo, s16
	v_lshlrev_b32_e32 v7, 16, v9
	s_delay_alu instid0(VALU_DEP_2) | instskip(SKIP_1) | instid1(VALU_DEP_3)
	v_lshlrev_b32_e32 v6, 20, v6
	v_lshl_add_u32 v9, v118, 23, 0x3c000000
	v_and_b32_e32 v7, 0x80000000, v7
	s_delay_alu instid0(VALU_DEP_1)
	v_or3_b32 v6, v6, v7, v9
.LBB446_1803:                           ;   in Loop: Header=BB446_1574 Depth=1
	s_or_b32 exec_lo, exec_lo, s15
.LBB446_1804:                           ;   in Loop: Header=BB446_1574 Depth=1
	s_delay_alu instid0(SALU_CYCLE_1)
	s_or_b32 exec_lo, exec_lo, s13
.LBB446_1805:                           ;   in Loop: Header=BB446_1574 Depth=1
	s_delay_alu instid0(SALU_CYCLE_1) | instskip(NEXT) | instid1(VALU_DEP_1)
	s_or_b32 exec_lo, exec_lo, s12
	v_mul_f32_e32 v6, v8, v6
                                        ; implicit-def: $vgpr118
	s_delay_alu instid0(VALU_DEP_1) | instskip(NEXT) | instid1(VALU_DEP_1)
	v_and_b32_e32 v7, 0x7f800000, v6
	v_cmp_ne_u32_e64 s0, 0x7f800000, v7
	s_delay_alu instid0(VALU_DEP_1) | instskip(NEXT) | instid1(SALU_CYCLE_1)
	s_and_saveexec_b32 s12, s0
	s_xor_b32 s0, exec_lo, s12
; %bb.1806:                             ;   in Loop: Header=BB446_1574 Depth=1
	v_bfe_u32 v7, v6, 16, 1
	s_delay_alu instid0(VALU_DEP_1)
	v_add3_u32 v118, v6, v7, 0x7fff
                                        ; implicit-def: $vgpr6
; %bb.1807:                             ;   in Loop: Header=BB446_1574 Depth=1
	s_and_not1_saveexec_b32 s12, s0
; %bb.1808:                             ;   in Loop: Header=BB446_1574 Depth=1
	v_and_b32_e32 v7, 0xffff, v6
	v_or_b32_e32 v9, 0x10000, v6
	s_delay_alu instid0(VALU_DEP_2) | instskip(NEXT) | instid1(VALU_DEP_1)
	v_cmp_eq_u32_e64 s0, 0, v7
	v_cndmask_b32_e64 v118, v9, v6, s0
; %bb.1809:                             ;   in Loop: Header=BB446_1574 Depth=1
	s_or_b32 exec_lo, exec_lo, s12
	v_lshrrev_b32_e32 v119, 16, v3
	s_mov_b32 s12, exec_lo
	s_delay_alu instid0(VALU_DEP_1) | instskip(NEXT) | instid1(VALU_DEP_1)
	v_dual_mov_b32 v6, 0 :: v_dual_and_b32 v7, 0xff, v119
	v_cmpx_ne_u16_e32 0, v7
	s_cbranch_execz .LBB446_1817
; %bb.1810:                             ;   in Loop: Header=BB446_1574 Depth=1
	v_bfrev_b32_e32 v6, 1
	s_mov_b32 s13, exec_lo
	v_cmpx_ne_u16_e32 0x80, v7
	s_cbranch_execz .LBB446_1816
; %bb.1811:                             ;   in Loop: Header=BB446_1574 Depth=1
	v_bfe_u32 v7, v3, 16, 7
	v_mov_b32_e32 v6, 0x7f800001
	s_mov_b32 s15, exec_lo
	s_delay_alu instid0(VALU_DEP_2)
	v_cmpx_ne_u32_e32 0x7f, v7
	s_cbranch_execz .LBB446_1815
; %bb.1812:                             ;   in Loop: Header=BB446_1574 Depth=1
	v_and_b32_e32 v9, 7, v119
	v_lshrrev_b32_e32 v128, 3, v7
	v_cmp_gt_u32_e64 s0, 8, v7
	s_delay_alu instid0(VALU_DEP_3) | instskip(NEXT) | instid1(VALU_DEP_2)
	v_dual_mov_b32 v6, v9 :: v_dual_mov_b32 v7, v10
	s_and_saveexec_b32 s16, s0
; %bb.1813:                             ;   in Loop: Header=BB446_1574 Depth=1
	v_clz_i32_u32_e32 v6, v9
	s_delay_alu instid0(VALU_DEP_1) | instskip(NEXT) | instid1(VALU_DEP_1)
	v_min_u32_e32 v128, 32, v6
	v_subrev_nc_u32_e32 v6, 28, v128
	v_sub_nc_u32_e32 v128, 29, v128
	s_delay_alu instid0(VALU_DEP_2) | instskip(NEXT) | instid1(VALU_DEP_1)
	v_lshlrev_b64 v[6:7], v6, v[9:10]
	v_and_b32_e32 v6, 7, v6
; %bb.1814:                             ;   in Loop: Header=BB446_1574 Depth=1
	s_or_b32 exec_lo, exec_lo, s16
	v_lshlrev_b32_e32 v7, 24, v119
	s_delay_alu instid0(VALU_DEP_2) | instskip(SKIP_1) | instid1(VALU_DEP_3)
	v_lshlrev_b32_e32 v6, 20, v6
	v_lshl_add_u32 v9, v128, 23, 0x3c000000
	v_and_b32_e32 v7, 0x80000000, v7
	s_delay_alu instid0(VALU_DEP_1)
	v_or3_b32 v6, v6, v7, v9
.LBB446_1815:                           ;   in Loop: Header=BB446_1574 Depth=1
	s_or_b32 exec_lo, exec_lo, s15
.LBB446_1816:                           ;   in Loop: Header=BB446_1574 Depth=1
	s_delay_alu instid0(SALU_CYCLE_1)
	s_or_b32 exec_lo, exec_lo, s13
.LBB446_1817:                           ;   in Loop: Header=BB446_1574 Depth=1
	s_delay_alu instid0(SALU_CYCLE_1) | instskip(NEXT) | instid1(VALU_DEP_1)
	s_or_b32 exec_lo, exec_lo, s12
	v_mul_f32_e32 v6, v8, v6
                                        ; implicit-def: $vgpr119
	s_delay_alu instid0(VALU_DEP_1) | instskip(NEXT) | instid1(VALU_DEP_1)
	v_and_b32_e32 v7, 0x7f800000, v6
	v_cmp_ne_u32_e64 s0, 0x7f800000, v7
	s_delay_alu instid0(VALU_DEP_1) | instskip(NEXT) | instid1(SALU_CYCLE_1)
	s_and_saveexec_b32 s12, s0
	s_xor_b32 s0, exec_lo, s12
; %bb.1818:                             ;   in Loop: Header=BB446_1574 Depth=1
	v_bfe_u32 v7, v6, 16, 1
	s_delay_alu instid0(VALU_DEP_1)
	v_add3_u32 v119, v6, v7, 0x7fff
                                        ; implicit-def: $vgpr6
; %bb.1819:                             ;   in Loop: Header=BB446_1574 Depth=1
	s_and_not1_saveexec_b32 s12, s0
; %bb.1820:                             ;   in Loop: Header=BB446_1574 Depth=1
	v_and_b32_e32 v7, 0xffff, v6
	v_or_b32_e32 v9, 0x10000, v6
	s_delay_alu instid0(VALU_DEP_2) | instskip(NEXT) | instid1(VALU_DEP_1)
	v_cmp_eq_u32_e64 s0, 0, v7
	v_cndmask_b32_e64 v119, v9, v6, s0
; %bb.1821:                             ;   in Loop: Header=BB446_1574 Depth=1
	s_or_b32 exec_lo, exec_lo, s12
	v_cmp_lt_u64_e64 s0, s[8:9], v[2:3]
	v_mov_b32_e32 v2, 0
	s_delay_alu instid0(VALU_DEP_2)
	s_and_saveexec_b32 s12, s0
	s_cbranch_execz .LBB446_1829
; %bb.1822:                             ;   in Loop: Header=BB446_1574 Depth=1
	v_lshrrev_b32_e32 v6, 24, v3
	v_bfrev_b32_e32 v2, 1
	s_mov_b32 s13, exec_lo
	s_delay_alu instid0(VALU_DEP_2)
	v_cmpx_ne_u32_e32 0x80, v6
	s_cbranch_execz .LBB446_1828
; %bb.1823:                             ;   in Loop: Header=BB446_1574 Depth=1
	v_bfe_u32 v3, v3, 24, 7
	v_mov_b32_e32 v2, 0x7f800001
	s_mov_b32 s15, exec_lo
	s_delay_alu instid0(VALU_DEP_2)
	v_cmpx_ne_u32_e32 0x7f, v3
	s_cbranch_execz .LBB446_1827
; %bb.1824:                             ;   in Loop: Header=BB446_1574 Depth=1
	v_and_b32_e32 v9, 7, v6
	v_lshrrev_b32_e32 v7, 3, v3
	v_cmp_gt_u32_e64 s0, 8, v3
	s_delay_alu instid0(VALU_DEP_3) | instskip(NEXT) | instid1(VALU_DEP_2)
	v_dual_mov_b32 v2, v9 :: v_dual_mov_b32 v3, v10
	s_and_saveexec_b32 s16, s0
; %bb.1825:                             ;   in Loop: Header=BB446_1574 Depth=1
	v_clz_i32_u32_e32 v2, v9
	s_delay_alu instid0(VALU_DEP_1) | instskip(NEXT) | instid1(VALU_DEP_1)
	v_min_u32_e32 v7, 32, v2
	v_subrev_nc_u32_e32 v2, 28, v7
	v_sub_nc_u32_e32 v7, 29, v7
	s_delay_alu instid0(VALU_DEP_2) | instskip(NEXT) | instid1(VALU_DEP_1)
	v_lshlrev_b64 v[2:3], v2, v[9:10]
	v_and_b32_e32 v2, 7, v2
; %bb.1826:                             ;   in Loop: Header=BB446_1574 Depth=1
	s_or_b32 exec_lo, exec_lo, s16
	v_lshlrev_b32_e32 v3, 24, v6
	s_delay_alu instid0(VALU_DEP_2) | instskip(SKIP_1) | instid1(VALU_DEP_3)
	v_lshlrev_b32_e32 v2, 20, v2
	v_lshl_add_u32 v6, v7, 23, 0x3c000000
	v_and_b32_e32 v3, 0x80000000, v3
	s_delay_alu instid0(VALU_DEP_1)
	v_or3_b32 v2, v2, v3, v6
.LBB446_1827:                           ;   in Loop: Header=BB446_1574 Depth=1
	s_or_b32 exec_lo, exec_lo, s15
.LBB446_1828:                           ;   in Loop: Header=BB446_1574 Depth=1
	s_delay_alu instid0(SALU_CYCLE_1)
	s_or_b32 exec_lo, exec_lo, s13
.LBB446_1829:                           ;   in Loop: Header=BB446_1574 Depth=1
	s_delay_alu instid0(SALU_CYCLE_1) | instskip(NEXT) | instid1(VALU_DEP_1)
	s_or_b32 exec_lo, exec_lo, s12
	v_mul_f32_e32 v3, v8, v2
	s_delay_alu instid0(VALU_DEP_1) | instskip(NEXT) | instid1(VALU_DEP_1)
	v_and_b32_e32 v2, 0x7f800000, v3
	v_cmp_ne_u32_e64 s0, 0x7f800000, v2
                                        ; implicit-def: $vgpr2
	s_delay_alu instid0(VALU_DEP_1) | instskip(NEXT) | instid1(SALU_CYCLE_1)
	s_and_saveexec_b32 s12, s0
	s_xor_b32 s0, exec_lo, s12
; %bb.1830:                             ;   in Loop: Header=BB446_1574 Depth=1
	v_bfe_u32 v2, v3, 16, 1
	s_delay_alu instid0(VALU_DEP_1)
	v_add3_u32 v2, v3, v2, 0x7fff
                                        ; implicit-def: $vgpr3
; %bb.1831:                             ;   in Loop: Header=BB446_1574 Depth=1
	s_and_not1_saveexec_b32 s12, s0
; %bb.1832:                             ;   in Loop: Header=BB446_1574 Depth=1
	v_and_b32_e32 v2, 0xffff, v3
	v_or_b32_e32 v6, 0x10000, v3
	s_delay_alu instid0(VALU_DEP_2) | instskip(NEXT) | instid1(VALU_DEP_1)
	v_cmp_eq_u32_e64 s0, 0, v2
	v_cndmask_b32_e64 v2, v6, v3, s0
; %bb.1833:                             ;   in Loop: Header=BB446_1574 Depth=1
	s_or_b32 exec_lo, exec_lo, s12
	v_lshrrev_b32_e32 v6, 16, v118
	v_lshrrev_b32_e32 v7, 16, v39
	;; [unrolled: 1-line block ×8, first 2 shown]
	s_and_saveexec_b32 s12, vcc_lo
	s_cbranch_execz .LBB446_1835
; %bb.1834:                             ;   in Loop: Header=BB446_1574 Depth=1
	v_cmp_lt_i32_e64 s0, v86, v38
	s_delay_alu instid0(VALU_DEP_1) | instskip(SKIP_1) | instid1(VALU_DEP_1)
	v_cndmask_b32_e64 v4, 0, v4, s0
	v_cmp_lt_i32_e64 s0, v101, v38
	v_cndmask_b32_e64 v5, 0, v5, s0
	v_cmp_lt_i32_e64 s0, v100, v38
	s_delay_alu instid0(VALU_DEP_1) | instskip(SKIP_1) | instid1(VALU_DEP_1)
	v_cndmask_b32_e64 v21, 0, v21, s0
	v_cmp_lt_i32_e64 s0, v99, v38
	v_cndmask_b32_e64 v9, 0, v9, s0
	;; [unrolled: 5-line block ×4, first 2 shown]
.LBB446_1835:                           ;   in Loop: Header=BB446_1574 Depth=1
	s_or_b32 exec_lo, exec_lo, s12
	v_lshlrev_b32_e32 v4, 16, v4
                                        ; implicit-def: $vgpr118
	s_delay_alu instid0(VALU_DEP_1) | instskip(NEXT) | instid1(VALU_DEP_1)
	v_mul_f32_e32 v4, v102, v4
	v_and_b32_e32 v37, 0x7f800000, v4
	s_delay_alu instid0(VALU_DEP_1) | instskip(NEXT) | instid1(VALU_DEP_1)
	v_cmp_ne_u32_e64 s0, 0x7f800000, v37
	s_and_saveexec_b32 s12, s0
	s_delay_alu instid0(SALU_CYCLE_1)
	s_xor_b32 s0, exec_lo, s12
; %bb.1836:                             ;   in Loop: Header=BB446_1574 Depth=1
	v_bfe_u32 v37, v4, 16, 1
	s_delay_alu instid0(VALU_DEP_1)
	v_add3_u32 v118, v4, v37, 0x7fff
                                        ; implicit-def: $vgpr4
; %bb.1837:                             ;   in Loop: Header=BB446_1574 Depth=1
	s_and_not1_saveexec_b32 s12, s0
; %bb.1838:                             ;   in Loop: Header=BB446_1574 Depth=1
	v_and_b32_e32 v37, 0xffff, v4
	v_or_b32_e32 v39, 0x10000, v4
	s_delay_alu instid0(VALU_DEP_2) | instskip(NEXT) | instid1(VALU_DEP_1)
	v_cmp_eq_u32_e64 s0, 0, v37
	v_cndmask_b32_e64 v118, v39, v4, s0
; %bb.1839:                             ;   in Loop: Header=BB446_1574 Depth=1
	s_or_b32 exec_lo, exec_lo, s12
	v_lshlrev_b32_e32 v4, 16, v5
                                        ; implicit-def: $vgpr119
	s_delay_alu instid0(VALU_DEP_1) | instskip(NEXT) | instid1(VALU_DEP_1)
	v_mul_f32_e32 v4, v103, v4
	v_and_b32_e32 v5, 0x7f800000, v4
	s_delay_alu instid0(VALU_DEP_1) | instskip(NEXT) | instid1(VALU_DEP_1)
	v_cmp_ne_u32_e64 s0, 0x7f800000, v5
	s_and_saveexec_b32 s12, s0
	s_delay_alu instid0(SALU_CYCLE_1)
	s_xor_b32 s0, exec_lo, s12
; %bb.1840:                             ;   in Loop: Header=BB446_1574 Depth=1
	v_bfe_u32 v5, v4, 16, 1
	s_delay_alu instid0(VALU_DEP_1)
	v_add3_u32 v119, v4, v5, 0x7fff
                                        ; implicit-def: $vgpr4
; %bb.1841:                             ;   in Loop: Header=BB446_1574 Depth=1
	s_and_not1_saveexec_b32 s12, s0
; %bb.1842:                             ;   in Loop: Header=BB446_1574 Depth=1
	v_and_b32_e32 v5, 0xffff, v4
	v_or_b32_e32 v37, 0x10000, v4
	s_delay_alu instid0(VALU_DEP_2) | instskip(NEXT) | instid1(VALU_DEP_1)
	v_cmp_eq_u32_e64 s0, 0, v5
	v_cndmask_b32_e64 v119, v37, v4, s0
; %bb.1843:                             ;   in Loop: Header=BB446_1574 Depth=1
	s_or_b32 exec_lo, exec_lo, s12
	v_lshlrev_b32_e32 v4, 16, v21
                                        ; implicit-def: $vgpr128
	s_delay_alu instid0(VALU_DEP_1) | instskip(NEXT) | instid1(VALU_DEP_1)
	v_mul_f32_e32 v4, v112, v4
	v_and_b32_e32 v5, 0x7f800000, v4
	s_delay_alu instid0(VALU_DEP_1) | instskip(NEXT) | instid1(VALU_DEP_1)
	v_cmp_ne_u32_e64 s0, 0x7f800000, v5
	s_and_saveexec_b32 s12, s0
	s_delay_alu instid0(SALU_CYCLE_1)
	s_xor_b32 s0, exec_lo, s12
; %bb.1844:                             ;   in Loop: Header=BB446_1574 Depth=1
	v_bfe_u32 v5, v4, 16, 1
	s_delay_alu instid0(VALU_DEP_1)
	v_add3_u32 v128, v4, v5, 0x7fff
                                        ; implicit-def: $vgpr4
; %bb.1845:                             ;   in Loop: Header=BB446_1574 Depth=1
	s_and_not1_saveexec_b32 s12, s0
; %bb.1846:                             ;   in Loop: Header=BB446_1574 Depth=1
	v_and_b32_e32 v5, 0xffff, v4
	v_or_b32_e32 v21, 0x10000, v4
	s_delay_alu instid0(VALU_DEP_2) | instskip(NEXT) | instid1(VALU_DEP_1)
	v_cmp_eq_u32_e64 s0, 0, v5
	v_cndmask_b32_e64 v128, v21, v4, s0
; %bb.1847:                             ;   in Loop: Header=BB446_1574 Depth=1
	s_or_b32 exec_lo, exec_lo, s12
	v_lshlrev_b32_e32 v4, 16, v9
                                        ; implicit-def: $vgpr129
	s_delay_alu instid0(VALU_DEP_1) | instskip(NEXT) | instid1(VALU_DEP_1)
	v_mul_f32_e32 v4, v113, v4
	v_and_b32_e32 v5, 0x7f800000, v4
	s_delay_alu instid0(VALU_DEP_1) | instskip(NEXT) | instid1(VALU_DEP_1)
	v_cmp_ne_u32_e64 s0, 0x7f800000, v5
	s_and_saveexec_b32 s12, s0
	s_delay_alu instid0(SALU_CYCLE_1)
	s_xor_b32 s0, exec_lo, s12
; %bb.1848:                             ;   in Loop: Header=BB446_1574 Depth=1
	v_bfe_u32 v5, v4, 16, 1
	s_delay_alu instid0(VALU_DEP_1)
	v_add3_u32 v129, v4, v5, 0x7fff
                                        ; implicit-def: $vgpr4
; %bb.1849:                             ;   in Loop: Header=BB446_1574 Depth=1
	s_and_not1_saveexec_b32 s12, s0
; %bb.1850:                             ;   in Loop: Header=BB446_1574 Depth=1
	v_and_b32_e32 v5, 0xffff, v4
	v_or_b32_e32 v9, 0x10000, v4
	s_delay_alu instid0(VALU_DEP_2) | instskip(NEXT) | instid1(VALU_DEP_1)
	v_cmp_eq_u32_e64 s0, 0, v5
	v_cndmask_b32_e64 v129, v9, v4, s0
; %bb.1851:                             ;   in Loop: Header=BB446_1574 Depth=1
	s_or_b32 exec_lo, exec_lo, s12
	v_lshlrev_b32_e32 v4, 16, v7
                                        ; implicit-def: $vgpr130
	s_delay_alu instid0(VALU_DEP_1) | instskip(NEXT) | instid1(VALU_DEP_1)
	v_mul_f32_e32 v4, v114, v4
	v_and_b32_e32 v5, 0x7f800000, v4
	s_delay_alu instid0(VALU_DEP_1) | instskip(NEXT) | instid1(VALU_DEP_1)
	v_cmp_ne_u32_e64 s0, 0x7f800000, v5
	s_and_saveexec_b32 s12, s0
	s_delay_alu instid0(SALU_CYCLE_1)
	s_xor_b32 s0, exec_lo, s12
; %bb.1852:                             ;   in Loop: Header=BB446_1574 Depth=1
	v_bfe_u32 v5, v4, 16, 1
	s_delay_alu instid0(VALU_DEP_1)
	v_add3_u32 v130, v4, v5, 0x7fff
                                        ; implicit-def: $vgpr4
; %bb.1853:                             ;   in Loop: Header=BB446_1574 Depth=1
	s_and_not1_saveexec_b32 s12, s0
; %bb.1854:                             ;   in Loop: Header=BB446_1574 Depth=1
	v_and_b32_e32 v5, 0xffff, v4
	v_or_b32_e32 v7, 0x10000, v4
	s_delay_alu instid0(VALU_DEP_2) | instskip(NEXT) | instid1(VALU_DEP_1)
	v_cmp_eq_u32_e64 s0, 0, v5
	v_cndmask_b32_e64 v130, v7, v4, s0
; %bb.1855:                             ;   in Loop: Header=BB446_1574 Depth=1
	s_or_b32 exec_lo, exec_lo, s12
	v_lshlrev_b32_e32 v4, 16, v6
                                        ; implicit-def: $vgpr131
	s_delay_alu instid0(VALU_DEP_1) | instskip(NEXT) | instid1(VALU_DEP_1)
	v_mul_f32_e32 v4, v115, v4
	v_and_b32_e32 v5, 0x7f800000, v4
	s_delay_alu instid0(VALU_DEP_1) | instskip(NEXT) | instid1(VALU_DEP_1)
	v_cmp_ne_u32_e64 s0, 0x7f800000, v5
	s_and_saveexec_b32 s12, s0
	s_delay_alu instid0(SALU_CYCLE_1)
	s_xor_b32 s0, exec_lo, s12
; %bb.1856:                             ;   in Loop: Header=BB446_1574 Depth=1
	v_bfe_u32 v5, v4, 16, 1
	s_delay_alu instid0(VALU_DEP_1)
	v_add3_u32 v131, v4, v5, 0x7fff
                                        ; implicit-def: $vgpr4
; %bb.1857:                             ;   in Loop: Header=BB446_1574 Depth=1
	s_and_not1_saveexec_b32 s12, s0
; %bb.1858:                             ;   in Loop: Header=BB446_1574 Depth=1
	v_and_b32_e32 v5, 0xffff, v4
	v_or_b32_e32 v6, 0x10000, v4
	s_delay_alu instid0(VALU_DEP_2) | instskip(NEXT) | instid1(VALU_DEP_1)
	v_cmp_eq_u32_e64 s0, 0, v5
	v_cndmask_b32_e64 v131, v6, v4, s0
; %bb.1859:                             ;   in Loop: Header=BB446_1574 Depth=1
	s_or_b32 exec_lo, exec_lo, s12
	v_lshlrev_b32_e32 v3, 16, v3
                                        ; implicit-def: $vgpr132
	s_delay_alu instid0(VALU_DEP_1) | instskip(NEXT) | instid1(VALU_DEP_1)
	v_mul_f32_e32 v3, v116, v3
	v_and_b32_e32 v4, 0x7f800000, v3
	s_delay_alu instid0(VALU_DEP_1) | instskip(NEXT) | instid1(VALU_DEP_1)
	v_cmp_ne_u32_e64 s0, 0x7f800000, v4
	s_and_saveexec_b32 s12, s0
	s_delay_alu instid0(SALU_CYCLE_1)
	s_xor_b32 s0, exec_lo, s12
; %bb.1860:                             ;   in Loop: Header=BB446_1574 Depth=1
	v_bfe_u32 v4, v3, 16, 1
	s_delay_alu instid0(VALU_DEP_1)
	v_add3_u32 v132, v3, v4, 0x7fff
                                        ; implicit-def: $vgpr3
; %bb.1861:                             ;   in Loop: Header=BB446_1574 Depth=1
	s_and_not1_saveexec_b32 s12, s0
; %bb.1862:                             ;   in Loop: Header=BB446_1574 Depth=1
	v_and_b32_e32 v4, 0xffff, v3
	v_or_b32_e32 v5, 0x10000, v3
	s_delay_alu instid0(VALU_DEP_2) | instskip(NEXT) | instid1(VALU_DEP_1)
	v_cmp_eq_u32_e64 s0, 0, v4
	v_cndmask_b32_e64 v132, v5, v3, s0
; %bb.1863:                             ;   in Loop: Header=BB446_1574 Depth=1
	s_or_b32 exec_lo, exec_lo, s12
	v_lshlrev_b32_e32 v2, 16, v2
                                        ; implicit-def: $vgpr133
	s_delay_alu instid0(VALU_DEP_1) | instskip(NEXT) | instid1(VALU_DEP_1)
	v_mul_f32_e32 v2, v117, v2
	v_and_b32_e32 v3, 0x7f800000, v2
	s_delay_alu instid0(VALU_DEP_1) | instskip(NEXT) | instid1(VALU_DEP_1)
	v_cmp_ne_u32_e64 s0, 0x7f800000, v3
	s_and_saveexec_b32 s12, s0
	s_delay_alu instid0(SALU_CYCLE_1)
	s_xor_b32 s0, exec_lo, s12
; %bb.1864:                             ;   in Loop: Header=BB446_1574 Depth=1
	v_bfe_u32 v3, v2, 16, 1
	s_delay_alu instid0(VALU_DEP_1)
	v_add3_u32 v133, v2, v3, 0x7fff
                                        ; implicit-def: $vgpr2
; %bb.1865:                             ;   in Loop: Header=BB446_1574 Depth=1
	s_and_not1_saveexec_b32 s12, s0
; %bb.1866:                             ;   in Loop: Header=BB446_1574 Depth=1
	v_and_b32_e32 v3, 0xffff, v2
	v_or_b32_e32 v4, 0x10000, v2
	s_delay_alu instid0(VALU_DEP_2) | instskip(NEXT) | instid1(VALU_DEP_1)
	v_cmp_eq_u32_e64 s0, 0, v3
	v_cndmask_b32_e64 v133, v4, v2, s0
; %bb.1867:                             ;   in Loop: Header=BB446_1574 Depth=1
	s_or_b32 exec_lo, exec_lo, s12
	flat_load_b64 v[2:3], v[0:1] offset:512
	s_mov_b32 s12, exec_lo
	s_waitcnt vmcnt(0) lgkmcnt(0)
	v_dual_mov_b32 v4, 0 :: v_dual_and_b32 v5, 0xff, v2
	s_delay_alu instid0(VALU_DEP_1)
	v_cmpx_ne_u16_e32 0, v5
	s_cbranch_execz .LBB446_1875
; %bb.1868:                             ;   in Loop: Header=BB446_1574 Depth=1
	v_bfrev_b32_e32 v4, 1
	s_mov_b32 s13, exec_lo
	v_cmpx_ne_u16_e32 0x80, v5
	s_cbranch_execz .LBB446_1874
; %bb.1869:                             ;   in Loop: Header=BB446_1574 Depth=1
	v_and_b32_e32 v5, 0x7f, v2
	v_mov_b32_e32 v4, 0x7f800001
	s_mov_b32 s15, exec_lo
	s_delay_alu instid0(VALU_DEP_2)
	v_cmpx_ne_u32_e32 0x7f, v5
	s_cbranch_execz .LBB446_1873
; %bb.1870:                             ;   in Loop: Header=BB446_1574 Depth=1
	v_lshrrev_b32_e32 v4, 3, v5
	v_dual_mov_b32 v7, v3 :: v_dual_mov_b32 v6, v2
	s_mov_b32 s16, exec_lo
	v_cmpx_gt_u32_e32 8, v5
; %bb.1871:                             ;   in Loop: Header=BB446_1574 Depth=1
	v_and_b32_e32 v4, 7, v2
	s_delay_alu instid0(VALU_DEP_1) | instskip(NEXT) | instid1(VALU_DEP_1)
	v_clz_i32_u32_e32 v4, v4
	v_min_u32_e32 v4, 32, v4
	s_delay_alu instid0(VALU_DEP_1) | instskip(SKIP_1) | instid1(VALU_DEP_2)
	v_subrev_nc_u32_e32 v5, 28, v4
	v_sub_nc_u32_e32 v4, 29, v4
	v_lshlrev_b64 v[6:7], v5, v[2:3]
; %bb.1872:                             ;   in Loop: Header=BB446_1574 Depth=1
	s_or_b32 exec_lo, exec_lo, s16
	s_delay_alu instid0(VALU_DEP_1) | instskip(SKIP_2) | instid1(VALU_DEP_3)
	v_lshlrev_b32_e32 v5, 20, v6
	v_lshlrev_b32_e32 v6, 24, v2
	v_lshl_add_u32 v4, v4, 23, 0x3c000000
	v_and_b32_e32 v5, 0x700000, v5
	s_delay_alu instid0(VALU_DEP_3) | instskip(NEXT) | instid1(VALU_DEP_1)
	v_and_b32_e32 v6, 0x80000000, v6
	v_or3_b32 v4, v5, v6, v4
.LBB446_1873:                           ;   in Loop: Header=BB446_1574 Depth=1
	s_or_b32 exec_lo, exec_lo, s15
.LBB446_1874:                           ;   in Loop: Header=BB446_1574 Depth=1
	s_delay_alu instid0(SALU_CYCLE_1)
	s_or_b32 exec_lo, exec_lo, s13
.LBB446_1875:                           ;   in Loop: Header=BB446_1574 Depth=1
	s_delay_alu instid0(SALU_CYCLE_1) | instskip(NEXT) | instid1(VALU_DEP_1)
	s_or_b32 exec_lo, exec_lo, s12
	v_mul_f32_e32 v5, v8, v4
	s_delay_alu instid0(VALU_DEP_1) | instskip(NEXT) | instid1(VALU_DEP_1)
	v_and_b32_e32 v4, 0x7f800000, v5
	v_cmp_ne_u32_e64 s0, 0x7f800000, v4
                                        ; implicit-def: $vgpr4
	s_delay_alu instid0(VALU_DEP_1) | instskip(NEXT) | instid1(SALU_CYCLE_1)
	s_and_saveexec_b32 s12, s0
	s_xor_b32 s0, exec_lo, s12
; %bb.1876:                             ;   in Loop: Header=BB446_1574 Depth=1
	v_bfe_u32 v4, v5, 16, 1
	s_delay_alu instid0(VALU_DEP_1)
	v_add3_u32 v4, v5, v4, 0x7fff
                                        ; implicit-def: $vgpr5
; %bb.1877:                             ;   in Loop: Header=BB446_1574 Depth=1
	s_and_not1_saveexec_b32 s12, s0
; %bb.1878:                             ;   in Loop: Header=BB446_1574 Depth=1
	v_and_b32_e32 v4, 0xffff, v5
	v_or_b32_e32 v6, 0x10000, v5
	s_delay_alu instid0(VALU_DEP_2) | instskip(NEXT) | instid1(VALU_DEP_1)
	v_cmp_eq_u32_e64 s0, 0, v4
	v_cndmask_b32_e64 v4, v6, v5, s0
; %bb.1879:                             ;   in Loop: Header=BB446_1574 Depth=1
	s_or_b32 exec_lo, exec_lo, s12
	v_lshrrev_b16 v6, 8, v2
	v_mov_b32_e32 v5, 0
	s_mov_b32 s12, exec_lo
	s_delay_alu instid0(VALU_DEP_2)
	v_cmpx_ne_u16_e32 0, v6
	s_cbranch_execz .LBB446_1887
; %bb.1880:                             ;   in Loop: Header=BB446_1574 Depth=1
	v_bfrev_b32_e32 v5, 1
	s_mov_b32 s13, exec_lo
	v_cmpx_ne_u16_e32 0x80, v6
	s_cbranch_execz .LBB446_1886
; %bb.1881:                             ;   in Loop: Header=BB446_1574 Depth=1
	v_and_b32_e32 v7, 0xffff, v6
	v_mov_b32_e32 v5, 0x7f800001
	s_mov_b32 s15, exec_lo
	s_delay_alu instid0(VALU_DEP_2) | instskip(NEXT) | instid1(VALU_DEP_1)
	v_and_b32_e32 v6, 0x7f, v7
	v_cmpx_ne_u32_e32 0x7f, v6
	s_cbranch_execz .LBB446_1885
; %bb.1882:                             ;   in Loop: Header=BB446_1574 Depth=1
	v_and_b32_e32 v9, 7, v7
	v_lshrrev_b32_e32 v5, 3, v6
	v_cmp_gt_u32_e64 s0, 8, v6
	s_delay_alu instid0(VALU_DEP_3) | instskip(NEXT) | instid1(VALU_DEP_2)
	v_dual_mov_b32 v6, v9 :: v_dual_mov_b32 v7, v10
	s_and_saveexec_b32 s16, s0
; %bb.1883:                             ;   in Loop: Header=BB446_1574 Depth=1
	v_clz_i32_u32_e32 v5, v9
	s_delay_alu instid0(VALU_DEP_1) | instskip(NEXT) | instid1(VALU_DEP_1)
	v_min_u32_e32 v5, 32, v5
	v_subrev_nc_u32_e32 v6, 28, v5
	v_sub_nc_u32_e32 v5, 29, v5
	s_delay_alu instid0(VALU_DEP_2) | instskip(NEXT) | instid1(VALU_DEP_1)
	v_lshlrev_b64 v[6:7], v6, v[9:10]
	v_and_b32_e32 v6, 7, v6
; %bb.1884:                             ;   in Loop: Header=BB446_1574 Depth=1
	s_or_b32 exec_lo, exec_lo, s16
	v_lshlrev_b32_e32 v7, 16, v2
	s_delay_alu instid0(VALU_DEP_2) | instskip(SKIP_1) | instid1(VALU_DEP_3)
	v_lshlrev_b32_e32 v6, 20, v6
	v_lshl_add_u32 v5, v5, 23, 0x3c000000
	v_and_b32_e32 v7, 0x80000000, v7
	s_delay_alu instid0(VALU_DEP_1)
	v_or3_b32 v5, v6, v7, v5
.LBB446_1885:                           ;   in Loop: Header=BB446_1574 Depth=1
	s_or_b32 exec_lo, exec_lo, s15
.LBB446_1886:                           ;   in Loop: Header=BB446_1574 Depth=1
	s_delay_alu instid0(SALU_CYCLE_1)
	s_or_b32 exec_lo, exec_lo, s13
.LBB446_1887:                           ;   in Loop: Header=BB446_1574 Depth=1
	s_delay_alu instid0(SALU_CYCLE_1) | instskip(NEXT) | instid1(VALU_DEP_1)
	s_or_b32 exec_lo, exec_lo, s12
	v_mul_f32_e32 v6, v8, v5
	s_delay_alu instid0(VALU_DEP_1) | instskip(NEXT) | instid1(VALU_DEP_1)
	v_and_b32_e32 v5, 0x7f800000, v6
	v_cmp_ne_u32_e64 s0, 0x7f800000, v5
                                        ; implicit-def: $vgpr5
	s_delay_alu instid0(VALU_DEP_1) | instskip(NEXT) | instid1(SALU_CYCLE_1)
	s_and_saveexec_b32 s12, s0
	s_xor_b32 s0, exec_lo, s12
; %bb.1888:                             ;   in Loop: Header=BB446_1574 Depth=1
	v_bfe_u32 v5, v6, 16, 1
	s_delay_alu instid0(VALU_DEP_1)
	v_add3_u32 v5, v6, v5, 0x7fff
                                        ; implicit-def: $vgpr6
; %bb.1889:                             ;   in Loop: Header=BB446_1574 Depth=1
	s_and_not1_saveexec_b32 s12, s0
; %bb.1890:                             ;   in Loop: Header=BB446_1574 Depth=1
	v_and_b32_e32 v5, 0xffff, v6
	v_or_b32_e32 v7, 0x10000, v6
	s_delay_alu instid0(VALU_DEP_2) | instskip(NEXT) | instid1(VALU_DEP_1)
	v_cmp_eq_u32_e64 s0, 0, v5
	v_cndmask_b32_e64 v5, v7, v6, s0
; %bb.1891:                             ;   in Loop: Header=BB446_1574 Depth=1
	s_or_b32 exec_lo, exec_lo, s12
	v_lshrrev_b32_e32 v21, 16, v2
	s_mov_b32 s12, exec_lo
	s_delay_alu instid0(VALU_DEP_1) | instskip(NEXT) | instid1(VALU_DEP_1)
	v_dual_mov_b32 v6, 0 :: v_dual_and_b32 v7, 0xff, v21
	v_cmpx_ne_u16_e32 0, v7
	s_cbranch_execz .LBB446_1899
; %bb.1892:                             ;   in Loop: Header=BB446_1574 Depth=1
	v_bfrev_b32_e32 v6, 1
	s_mov_b32 s13, exec_lo
	v_cmpx_ne_u16_e32 0x80, v7
	s_cbranch_execz .LBB446_1898
; %bb.1893:                             ;   in Loop: Header=BB446_1574 Depth=1
	v_bfe_u32 v7, v2, 16, 7
	v_mov_b32_e32 v6, 0x7f800001
	s_mov_b32 s15, exec_lo
	s_delay_alu instid0(VALU_DEP_2)
	v_cmpx_ne_u32_e32 0x7f, v7
	s_cbranch_execz .LBB446_1897
; %bb.1894:                             ;   in Loop: Header=BB446_1574 Depth=1
	v_and_b32_e32 v9, 7, v21
	v_lshrrev_b32_e32 v37, 3, v7
	v_cmp_gt_u32_e64 s0, 8, v7
	s_delay_alu instid0(VALU_DEP_3) | instskip(NEXT) | instid1(VALU_DEP_2)
	v_dual_mov_b32 v6, v9 :: v_dual_mov_b32 v7, v10
	s_and_saveexec_b32 s16, s0
; %bb.1895:                             ;   in Loop: Header=BB446_1574 Depth=1
	v_clz_i32_u32_e32 v6, v9
	s_delay_alu instid0(VALU_DEP_1) | instskip(NEXT) | instid1(VALU_DEP_1)
	v_min_u32_e32 v37, 32, v6
	v_subrev_nc_u32_e32 v6, 28, v37
	v_sub_nc_u32_e32 v37, 29, v37
	s_delay_alu instid0(VALU_DEP_2) | instskip(NEXT) | instid1(VALU_DEP_1)
	v_lshlrev_b64 v[6:7], v6, v[9:10]
	v_and_b32_e32 v6, 7, v6
; %bb.1896:                             ;   in Loop: Header=BB446_1574 Depth=1
	s_or_b32 exec_lo, exec_lo, s16
	v_lshlrev_b32_e32 v7, 24, v21
	s_delay_alu instid0(VALU_DEP_2) | instskip(SKIP_1) | instid1(VALU_DEP_3)
	v_lshlrev_b32_e32 v6, 20, v6
	v_lshl_add_u32 v9, v37, 23, 0x3c000000
	v_and_b32_e32 v7, 0x80000000, v7
	s_delay_alu instid0(VALU_DEP_1)
	v_or3_b32 v6, v6, v7, v9
.LBB446_1897:                           ;   in Loop: Header=BB446_1574 Depth=1
	s_or_b32 exec_lo, exec_lo, s15
.LBB446_1898:                           ;   in Loop: Header=BB446_1574 Depth=1
	s_delay_alu instid0(SALU_CYCLE_1)
	s_or_b32 exec_lo, exec_lo, s13
.LBB446_1899:                           ;   in Loop: Header=BB446_1574 Depth=1
	s_delay_alu instid0(SALU_CYCLE_1) | instskip(NEXT) | instid1(VALU_DEP_1)
	s_or_b32 exec_lo, exec_lo, s12
	v_mul_f32_e32 v6, v8, v6
                                        ; implicit-def: $vgpr21
	s_delay_alu instid0(VALU_DEP_1) | instskip(NEXT) | instid1(VALU_DEP_1)
	v_and_b32_e32 v7, 0x7f800000, v6
	v_cmp_ne_u32_e64 s0, 0x7f800000, v7
	s_delay_alu instid0(VALU_DEP_1) | instskip(NEXT) | instid1(SALU_CYCLE_1)
	s_and_saveexec_b32 s12, s0
	s_xor_b32 s0, exec_lo, s12
; %bb.1900:                             ;   in Loop: Header=BB446_1574 Depth=1
	v_bfe_u32 v7, v6, 16, 1
	s_delay_alu instid0(VALU_DEP_1)
	v_add3_u32 v21, v6, v7, 0x7fff
                                        ; implicit-def: $vgpr6
; %bb.1901:                             ;   in Loop: Header=BB446_1574 Depth=1
	s_and_not1_saveexec_b32 s12, s0
; %bb.1902:                             ;   in Loop: Header=BB446_1574 Depth=1
	v_and_b32_e32 v7, 0xffff, v6
	v_or_b32_e32 v9, 0x10000, v6
	s_delay_alu instid0(VALU_DEP_2) | instskip(NEXT) | instid1(VALU_DEP_1)
	v_cmp_eq_u32_e64 s0, 0, v7
	v_cndmask_b32_e64 v21, v9, v6, s0
; %bb.1903:                             ;   in Loop: Header=BB446_1574 Depth=1
	s_or_b32 exec_lo, exec_lo, s12
	v_mov_b32_e32 v6, 0
	s_mov_b32 s12, exec_lo
	v_cmpx_lt_u32_e32 0xffffff, v2
	s_cbranch_execz .LBB446_1911
; %bb.1904:                             ;   in Loop: Header=BB446_1574 Depth=1
	v_lshrrev_b32_e32 v37, 24, v2
	v_bfrev_b32_e32 v6, 1
	s_mov_b32 s13, exec_lo
	s_delay_alu instid0(VALU_DEP_2)
	v_cmpx_ne_u32_e32 0x80, v37
	s_cbranch_execz .LBB446_1910
; %bb.1905:                             ;   in Loop: Header=BB446_1574 Depth=1
	v_bfe_u32 v7, v2, 24, 7
	v_mov_b32_e32 v6, 0x7f800001
	s_mov_b32 s15, exec_lo
	s_delay_alu instid0(VALU_DEP_2)
	v_cmpx_ne_u32_e32 0x7f, v7
	s_cbranch_execz .LBB446_1909
; %bb.1906:                             ;   in Loop: Header=BB446_1574 Depth=1
	v_and_b32_e32 v9, 7, v37
	v_lshrrev_b32_e32 v39, 3, v7
	v_cmp_gt_u32_e64 s0, 8, v7
	s_delay_alu instid0(VALU_DEP_3) | instskip(NEXT) | instid1(VALU_DEP_2)
	v_dual_mov_b32 v6, v9 :: v_dual_mov_b32 v7, v10
	s_and_saveexec_b32 s16, s0
; %bb.1907:                             ;   in Loop: Header=BB446_1574 Depth=1
	v_clz_i32_u32_e32 v6, v9
	s_delay_alu instid0(VALU_DEP_1) | instskip(NEXT) | instid1(VALU_DEP_1)
	v_min_u32_e32 v39, 32, v6
	v_subrev_nc_u32_e32 v6, 28, v39
	v_sub_nc_u32_e32 v39, 29, v39
	s_delay_alu instid0(VALU_DEP_2) | instskip(NEXT) | instid1(VALU_DEP_1)
	v_lshlrev_b64 v[6:7], v6, v[9:10]
	v_and_b32_e32 v6, 7, v6
; %bb.1908:                             ;   in Loop: Header=BB446_1574 Depth=1
	s_or_b32 exec_lo, exec_lo, s16
	v_lshlrev_b32_e32 v7, 24, v37
	s_delay_alu instid0(VALU_DEP_2) | instskip(SKIP_1) | instid1(VALU_DEP_3)
	v_lshlrev_b32_e32 v6, 20, v6
	v_lshl_add_u32 v9, v39, 23, 0x3c000000
	v_and_b32_e32 v7, 0x80000000, v7
	s_delay_alu instid0(VALU_DEP_1)
	v_or3_b32 v6, v6, v7, v9
.LBB446_1909:                           ;   in Loop: Header=BB446_1574 Depth=1
	s_or_b32 exec_lo, exec_lo, s15
.LBB446_1910:                           ;   in Loop: Header=BB446_1574 Depth=1
	s_delay_alu instid0(SALU_CYCLE_1)
	s_or_b32 exec_lo, exec_lo, s13
.LBB446_1911:                           ;   in Loop: Header=BB446_1574 Depth=1
	s_delay_alu instid0(SALU_CYCLE_1) | instskip(NEXT) | instid1(VALU_DEP_1)
	s_or_b32 exec_lo, exec_lo, s12
	v_mul_f32_e32 v6, v8, v6
                                        ; implicit-def: $vgpr37
	s_delay_alu instid0(VALU_DEP_1) | instskip(NEXT) | instid1(VALU_DEP_1)
	v_and_b32_e32 v7, 0x7f800000, v6
	v_cmp_ne_u32_e64 s0, 0x7f800000, v7
	s_delay_alu instid0(VALU_DEP_1) | instskip(NEXT) | instid1(SALU_CYCLE_1)
	s_and_saveexec_b32 s12, s0
	s_xor_b32 s0, exec_lo, s12
; %bb.1912:                             ;   in Loop: Header=BB446_1574 Depth=1
	v_bfe_u32 v7, v6, 16, 1
	s_delay_alu instid0(VALU_DEP_1)
	v_add3_u32 v37, v6, v7, 0x7fff
                                        ; implicit-def: $vgpr6
; %bb.1913:                             ;   in Loop: Header=BB446_1574 Depth=1
	s_and_not1_saveexec_b32 s12, s0
; %bb.1914:                             ;   in Loop: Header=BB446_1574 Depth=1
	v_and_b32_e32 v7, 0xffff, v6
	v_or_b32_e32 v9, 0x10000, v6
	s_delay_alu instid0(VALU_DEP_2) | instskip(NEXT) | instid1(VALU_DEP_1)
	v_cmp_eq_u32_e64 s0, 0, v7
	v_cndmask_b32_e64 v37, v9, v6, s0
; %bb.1915:                             ;   in Loop: Header=BB446_1574 Depth=1
	s_or_b32 exec_lo, exec_lo, s12
	v_dual_mov_b32 v6, 0 :: v_dual_and_b32 v7, 0xff, v3
	v_mov_b32_e32 v9, v3
	s_mov_b32 s12, exec_lo
	s_delay_alu instid0(VALU_DEP_2)
	v_cmpx_ne_u16_e32 0, v7
	s_cbranch_execz .LBB446_1923
; %bb.1916:                             ;   in Loop: Header=BB446_1574 Depth=1
	v_bfrev_b32_e32 v6, 1
	s_mov_b32 s13, exec_lo
	v_cmpx_ne_u16_e32 0x80, v7
	s_cbranch_execz .LBB446_1922
; %bb.1917:                             ;   in Loop: Header=BB446_1574 Depth=1
	v_and_b32_e32 v7, 0x7f, v3
	v_mov_b32_e32 v6, 0x7f800001
	s_mov_b32 s15, exec_lo
	s_delay_alu instid0(VALU_DEP_2)
	v_cmpx_ne_u32_e32 0x7f, v7
	s_cbranch_execz .LBB446_1921
; %bb.1918:                             ;   in Loop: Header=BB446_1574 Depth=1
	v_lshrrev_b32_e32 v39, 3, v7
	v_cmp_gt_u32_e64 s0, 8, v7
	v_dual_mov_b32 v6, v9 :: v_dual_mov_b32 v7, v10
	s_delay_alu instid0(VALU_DEP_2)
	s_and_saveexec_b32 s16, s0
; %bb.1919:                             ;   in Loop: Header=BB446_1574 Depth=1
	v_and_b32_e32 v6, 7, v3
	s_delay_alu instid0(VALU_DEP_1) | instskip(NEXT) | instid1(VALU_DEP_1)
	v_clz_i32_u32_e32 v6, v6
	v_min_u32_e32 v39, 32, v6
	s_delay_alu instid0(VALU_DEP_1) | instskip(SKIP_1) | instid1(VALU_DEP_2)
	v_subrev_nc_u32_e32 v6, 28, v39
	v_sub_nc_u32_e32 v39, 29, v39
	v_lshlrev_b64 v[6:7], v6, v[9:10]
; %bb.1920:                             ;   in Loop: Header=BB446_1574 Depth=1
	s_or_b32 exec_lo, exec_lo, s16
	s_delay_alu instid0(VALU_DEP_1) | instskip(SKIP_2) | instid1(VALU_DEP_3)
	v_lshlrev_b32_e32 v6, 20, v6
	v_lshlrev_b32_e32 v7, 24, v9
	v_lshl_add_u32 v39, v39, 23, 0x3c000000
	v_and_b32_e32 v6, 0x700000, v6
	s_delay_alu instid0(VALU_DEP_3) | instskip(NEXT) | instid1(VALU_DEP_1)
	v_and_b32_e32 v7, 0x80000000, v7
	v_or3_b32 v6, v6, v7, v39
.LBB446_1921:                           ;   in Loop: Header=BB446_1574 Depth=1
	s_or_b32 exec_lo, exec_lo, s15
.LBB446_1922:                           ;   in Loop: Header=BB446_1574 Depth=1
	s_delay_alu instid0(SALU_CYCLE_1)
	s_or_b32 exec_lo, exec_lo, s13
.LBB446_1923:                           ;   in Loop: Header=BB446_1574 Depth=1
	s_delay_alu instid0(SALU_CYCLE_1) | instskip(NEXT) | instid1(VALU_DEP_1)
	s_or_b32 exec_lo, exec_lo, s12
	v_mul_f32_e32 v6, v8, v6
                                        ; implicit-def: $vgpr39
	s_delay_alu instid0(VALU_DEP_1) | instskip(NEXT) | instid1(VALU_DEP_1)
	v_and_b32_e32 v7, 0x7f800000, v6
	v_cmp_ne_u32_e64 s0, 0x7f800000, v7
	s_delay_alu instid0(VALU_DEP_1) | instskip(NEXT) | instid1(SALU_CYCLE_1)
	s_and_saveexec_b32 s12, s0
	s_xor_b32 s0, exec_lo, s12
; %bb.1924:                             ;   in Loop: Header=BB446_1574 Depth=1
	v_bfe_u32 v7, v6, 16, 1
	s_delay_alu instid0(VALU_DEP_1)
	v_add3_u32 v39, v6, v7, 0x7fff
                                        ; implicit-def: $vgpr6
; %bb.1925:                             ;   in Loop: Header=BB446_1574 Depth=1
	s_and_not1_saveexec_b32 s12, s0
; %bb.1926:                             ;   in Loop: Header=BB446_1574 Depth=1
	v_and_b32_e32 v7, 0xffff, v6
	v_or_b32_e32 v39, 0x10000, v6
	s_delay_alu instid0(VALU_DEP_2) | instskip(NEXT) | instid1(VALU_DEP_1)
	v_cmp_eq_u32_e64 s0, 0, v7
	v_cndmask_b32_e64 v39, v39, v6, s0
; %bb.1927:                             ;   in Loop: Header=BB446_1574 Depth=1
	s_or_b32 exec_lo, exec_lo, s12
	v_lshrrev_b16 v7, 8, v9
	v_mov_b32_e32 v6, 0
	s_mov_b32 s12, exec_lo
	s_delay_alu instid0(VALU_DEP_2)
	v_cmpx_ne_u16_e32 0, v7
	s_cbranch_execz .LBB446_1935
; %bb.1928:                             ;   in Loop: Header=BB446_1574 Depth=1
	v_bfrev_b32_e32 v6, 1
	s_mov_b32 s13, exec_lo
	v_cmpx_ne_u16_e32 0x80, v7
	s_cbranch_execz .LBB446_1934
; %bb.1929:                             ;   in Loop: Header=BB446_1574 Depth=1
	v_and_b32_e32 v7, 0xffff, v7
	v_mov_b32_e32 v6, 0x7f800001
	s_mov_b32 s15, exec_lo
	s_delay_alu instid0(VALU_DEP_2) | instskip(NEXT) | instid1(VALU_DEP_1)
	v_and_b32_e32 v135, 0x7f, v7
	v_cmpx_ne_u32_e32 0x7f, v135
	s_cbranch_execz .LBB446_1933
; %bb.1930:                             ;   in Loop: Header=BB446_1574 Depth=1
	v_dual_mov_b32 v7, v10 :: v_dual_and_b32 v6, 7, v7
	v_lshrrev_b32_e32 v134, 3, v135
	s_mov_b32 s16, exec_lo
	v_cmpx_gt_u32_e32 8, v135
; %bb.1931:                             ;   in Loop: Header=BB446_1574 Depth=1
	s_delay_alu instid0(VALU_DEP_3) | instskip(NEXT) | instid1(VALU_DEP_1)
	v_clz_i32_u32_e32 v134, v6
	v_min_u32_e32 v134, 32, v134
	s_delay_alu instid0(VALU_DEP_1) | instskip(SKIP_1) | instid1(VALU_DEP_2)
	v_subrev_nc_u32_e32 v135, 28, v134
	v_sub_nc_u32_e32 v134, 29, v134
	v_lshlrev_b64 v[6:7], v135, v[6:7]
	s_delay_alu instid0(VALU_DEP_1)
	v_and_b32_e32 v6, 7, v6
; %bb.1932:                             ;   in Loop: Header=BB446_1574 Depth=1
	s_or_b32 exec_lo, exec_lo, s16
	v_lshlrev_b32_e32 v7, 16, v9
	s_delay_alu instid0(VALU_DEP_2) | instskip(SKIP_1) | instid1(VALU_DEP_3)
	v_lshlrev_b32_e32 v6, 20, v6
	v_lshl_add_u32 v9, v134, 23, 0x3c000000
	v_and_b32_e32 v7, 0x80000000, v7
	s_delay_alu instid0(VALU_DEP_1)
	v_or3_b32 v6, v6, v7, v9
.LBB446_1933:                           ;   in Loop: Header=BB446_1574 Depth=1
	s_or_b32 exec_lo, exec_lo, s15
.LBB446_1934:                           ;   in Loop: Header=BB446_1574 Depth=1
	s_delay_alu instid0(SALU_CYCLE_1)
	s_or_b32 exec_lo, exec_lo, s13
.LBB446_1935:                           ;   in Loop: Header=BB446_1574 Depth=1
	s_delay_alu instid0(SALU_CYCLE_1) | instskip(NEXT) | instid1(VALU_DEP_1)
	s_or_b32 exec_lo, exec_lo, s12
	v_mul_f32_e32 v6, v8, v6
                                        ; implicit-def: $vgpr134
	s_delay_alu instid0(VALU_DEP_1) | instskip(NEXT) | instid1(VALU_DEP_1)
	v_and_b32_e32 v7, 0x7f800000, v6
	v_cmp_ne_u32_e64 s0, 0x7f800000, v7
	s_delay_alu instid0(VALU_DEP_1) | instskip(NEXT) | instid1(SALU_CYCLE_1)
	s_and_saveexec_b32 s12, s0
	s_xor_b32 s0, exec_lo, s12
; %bb.1936:                             ;   in Loop: Header=BB446_1574 Depth=1
	v_bfe_u32 v7, v6, 16, 1
	s_delay_alu instid0(VALU_DEP_1)
	v_add3_u32 v134, v6, v7, 0x7fff
                                        ; implicit-def: $vgpr6
; %bb.1937:                             ;   in Loop: Header=BB446_1574 Depth=1
	s_and_not1_saveexec_b32 s12, s0
; %bb.1938:                             ;   in Loop: Header=BB446_1574 Depth=1
	v_and_b32_e32 v7, 0xffff, v6
	v_or_b32_e32 v9, 0x10000, v6
	s_delay_alu instid0(VALU_DEP_2) | instskip(NEXT) | instid1(VALU_DEP_1)
	v_cmp_eq_u32_e64 s0, 0, v7
	v_cndmask_b32_e64 v134, v9, v6, s0
; %bb.1939:                             ;   in Loop: Header=BB446_1574 Depth=1
	s_or_b32 exec_lo, exec_lo, s12
	v_lshrrev_b32_e32 v135, 16, v3
	s_mov_b32 s12, exec_lo
	s_delay_alu instid0(VALU_DEP_1) | instskip(NEXT) | instid1(VALU_DEP_1)
	v_dual_mov_b32 v6, 0 :: v_dual_and_b32 v7, 0xff, v135
	v_cmpx_ne_u16_e32 0, v7
	s_cbranch_execz .LBB446_1947
; %bb.1940:                             ;   in Loop: Header=BB446_1574 Depth=1
	v_bfrev_b32_e32 v6, 1
	s_mov_b32 s13, exec_lo
	v_cmpx_ne_u16_e32 0x80, v7
	s_cbranch_execz .LBB446_1946
; %bb.1941:                             ;   in Loop: Header=BB446_1574 Depth=1
	v_bfe_u32 v7, v3, 16, 7
	v_mov_b32_e32 v6, 0x7f800001
	s_mov_b32 s15, exec_lo
	s_delay_alu instid0(VALU_DEP_2)
	v_cmpx_ne_u32_e32 0x7f, v7
	s_cbranch_execz .LBB446_1945
; %bb.1942:                             ;   in Loop: Header=BB446_1574 Depth=1
	v_and_b32_e32 v9, 7, v135
	v_lshrrev_b32_e32 v144, 3, v7
	v_cmp_gt_u32_e64 s0, 8, v7
	s_delay_alu instid0(VALU_DEP_3) | instskip(NEXT) | instid1(VALU_DEP_2)
	v_dual_mov_b32 v6, v9 :: v_dual_mov_b32 v7, v10
	s_and_saveexec_b32 s16, s0
; %bb.1943:                             ;   in Loop: Header=BB446_1574 Depth=1
	v_clz_i32_u32_e32 v6, v9
	s_delay_alu instid0(VALU_DEP_1) | instskip(NEXT) | instid1(VALU_DEP_1)
	v_min_u32_e32 v144, 32, v6
	v_subrev_nc_u32_e32 v6, 28, v144
	v_sub_nc_u32_e32 v144, 29, v144
	s_delay_alu instid0(VALU_DEP_2) | instskip(NEXT) | instid1(VALU_DEP_1)
	v_lshlrev_b64 v[6:7], v6, v[9:10]
	v_and_b32_e32 v6, 7, v6
; %bb.1944:                             ;   in Loop: Header=BB446_1574 Depth=1
	s_or_b32 exec_lo, exec_lo, s16
	v_lshlrev_b32_e32 v7, 24, v135
	s_delay_alu instid0(VALU_DEP_2) | instskip(SKIP_1) | instid1(VALU_DEP_3)
	v_lshlrev_b32_e32 v6, 20, v6
	v_lshl_add_u32 v9, v144, 23, 0x3c000000
	v_and_b32_e32 v7, 0x80000000, v7
	s_delay_alu instid0(VALU_DEP_1)
	v_or3_b32 v6, v6, v7, v9
.LBB446_1945:                           ;   in Loop: Header=BB446_1574 Depth=1
	s_or_b32 exec_lo, exec_lo, s15
.LBB446_1946:                           ;   in Loop: Header=BB446_1574 Depth=1
	s_delay_alu instid0(SALU_CYCLE_1)
	s_or_b32 exec_lo, exec_lo, s13
.LBB446_1947:                           ;   in Loop: Header=BB446_1574 Depth=1
	s_delay_alu instid0(SALU_CYCLE_1) | instskip(NEXT) | instid1(VALU_DEP_1)
	s_or_b32 exec_lo, exec_lo, s12
	v_mul_f32_e32 v6, v8, v6
                                        ; implicit-def: $vgpr135
	s_delay_alu instid0(VALU_DEP_1) | instskip(NEXT) | instid1(VALU_DEP_1)
	v_and_b32_e32 v7, 0x7f800000, v6
	v_cmp_ne_u32_e64 s0, 0x7f800000, v7
	s_delay_alu instid0(VALU_DEP_1) | instskip(NEXT) | instid1(SALU_CYCLE_1)
	s_and_saveexec_b32 s12, s0
	s_xor_b32 s0, exec_lo, s12
; %bb.1948:                             ;   in Loop: Header=BB446_1574 Depth=1
	v_bfe_u32 v7, v6, 16, 1
	s_delay_alu instid0(VALU_DEP_1)
	v_add3_u32 v135, v6, v7, 0x7fff
                                        ; implicit-def: $vgpr6
; %bb.1949:                             ;   in Loop: Header=BB446_1574 Depth=1
	s_and_not1_saveexec_b32 s12, s0
; %bb.1950:                             ;   in Loop: Header=BB446_1574 Depth=1
	v_and_b32_e32 v7, 0xffff, v6
	v_or_b32_e32 v9, 0x10000, v6
	s_delay_alu instid0(VALU_DEP_2) | instskip(NEXT) | instid1(VALU_DEP_1)
	v_cmp_eq_u32_e64 s0, 0, v7
	v_cndmask_b32_e64 v135, v9, v6, s0
; %bb.1951:                             ;   in Loop: Header=BB446_1574 Depth=1
	s_or_b32 exec_lo, exec_lo, s12
	v_cmp_lt_u64_e64 s0, s[8:9], v[2:3]
	v_mov_b32_e32 v2, 0
	s_delay_alu instid0(VALU_DEP_2)
	s_and_saveexec_b32 s12, s0
	s_cbranch_execz .LBB446_1959
; %bb.1952:                             ;   in Loop: Header=BB446_1574 Depth=1
	v_lshrrev_b32_e32 v6, 24, v3
	v_bfrev_b32_e32 v2, 1
	s_mov_b32 s13, exec_lo
	s_delay_alu instid0(VALU_DEP_2)
	v_cmpx_ne_u32_e32 0x80, v6
	s_cbranch_execz .LBB446_1958
; %bb.1953:                             ;   in Loop: Header=BB446_1574 Depth=1
	v_bfe_u32 v3, v3, 24, 7
	v_mov_b32_e32 v2, 0x7f800001
	s_mov_b32 s15, exec_lo
	s_delay_alu instid0(VALU_DEP_2)
	v_cmpx_ne_u32_e32 0x7f, v3
	s_cbranch_execz .LBB446_1957
; %bb.1954:                             ;   in Loop: Header=BB446_1574 Depth=1
	v_and_b32_e32 v9, 7, v6
	v_lshrrev_b32_e32 v7, 3, v3
	v_cmp_gt_u32_e64 s0, 8, v3
	s_delay_alu instid0(VALU_DEP_3) | instskip(NEXT) | instid1(VALU_DEP_2)
	v_dual_mov_b32 v2, v9 :: v_dual_mov_b32 v3, v10
	s_and_saveexec_b32 s16, s0
; %bb.1955:                             ;   in Loop: Header=BB446_1574 Depth=1
	v_clz_i32_u32_e32 v2, v9
	s_delay_alu instid0(VALU_DEP_1) | instskip(NEXT) | instid1(VALU_DEP_1)
	v_min_u32_e32 v7, 32, v2
	v_subrev_nc_u32_e32 v2, 28, v7
	v_sub_nc_u32_e32 v7, 29, v7
	s_delay_alu instid0(VALU_DEP_2) | instskip(NEXT) | instid1(VALU_DEP_1)
	v_lshlrev_b64 v[2:3], v2, v[9:10]
	v_and_b32_e32 v2, 7, v2
; %bb.1956:                             ;   in Loop: Header=BB446_1574 Depth=1
	s_or_b32 exec_lo, exec_lo, s16
	v_lshlrev_b32_e32 v3, 24, v6
	s_delay_alu instid0(VALU_DEP_2) | instskip(SKIP_1) | instid1(VALU_DEP_3)
	v_lshlrev_b32_e32 v2, 20, v2
	v_lshl_add_u32 v6, v7, 23, 0x3c000000
	v_and_b32_e32 v3, 0x80000000, v3
	s_delay_alu instid0(VALU_DEP_1)
	v_or3_b32 v2, v2, v3, v6
.LBB446_1957:                           ;   in Loop: Header=BB446_1574 Depth=1
	s_or_b32 exec_lo, exec_lo, s15
.LBB446_1958:                           ;   in Loop: Header=BB446_1574 Depth=1
	s_delay_alu instid0(SALU_CYCLE_1)
	s_or_b32 exec_lo, exec_lo, s13
.LBB446_1959:                           ;   in Loop: Header=BB446_1574 Depth=1
	s_delay_alu instid0(SALU_CYCLE_1) | instskip(NEXT) | instid1(VALU_DEP_1)
	s_or_b32 exec_lo, exec_lo, s12
	v_mul_f32_e32 v3, v8, v2
	s_delay_alu instid0(VALU_DEP_1) | instskip(NEXT) | instid1(VALU_DEP_1)
	v_and_b32_e32 v2, 0x7f800000, v3
	v_cmp_ne_u32_e64 s0, 0x7f800000, v2
                                        ; implicit-def: $vgpr2
	s_delay_alu instid0(VALU_DEP_1) | instskip(NEXT) | instid1(SALU_CYCLE_1)
	s_and_saveexec_b32 s12, s0
	s_xor_b32 s0, exec_lo, s12
; %bb.1960:                             ;   in Loop: Header=BB446_1574 Depth=1
	v_bfe_u32 v2, v3, 16, 1
	s_delay_alu instid0(VALU_DEP_1)
	v_add3_u32 v2, v3, v2, 0x7fff
                                        ; implicit-def: $vgpr3
; %bb.1961:                             ;   in Loop: Header=BB446_1574 Depth=1
	s_and_not1_saveexec_b32 s12, s0
; %bb.1962:                             ;   in Loop: Header=BB446_1574 Depth=1
	v_and_b32_e32 v2, 0xffff, v3
	v_or_b32_e32 v6, 0x10000, v3
	s_delay_alu instid0(VALU_DEP_2) | instskip(NEXT) | instid1(VALU_DEP_1)
	v_cmp_eq_u32_e64 s0, 0, v2
	v_cndmask_b32_e64 v2, v6, v3, s0
; %bb.1963:                             ;   in Loop: Header=BB446_1574 Depth=1
	s_or_b32 exec_lo, exec_lo, s12
	v_lshrrev_b32_e32 v6, 16, v134
	v_lshrrev_b32_e32 v7, 16, v39
	;; [unrolled: 1-line block ×8, first 2 shown]
	s_and_saveexec_b32 s12, vcc_lo
	s_cbranch_execz .LBB446_1965
; %bb.1964:                             ;   in Loop: Header=BB446_1574 Depth=1
	v_cmp_lt_i32_e64 s0, v86, v38
	s_delay_alu instid0(VALU_DEP_1) | instskip(SKIP_1) | instid1(VALU_DEP_1)
	v_cndmask_b32_e64 v4, 0, v4, s0
	v_cmp_lt_i32_e64 s0, v101, v38
	v_cndmask_b32_e64 v5, 0, v5, s0
	v_cmp_lt_i32_e64 s0, v100, v38
	s_delay_alu instid0(VALU_DEP_1) | instskip(SKIP_1) | instid1(VALU_DEP_1)
	v_cndmask_b32_e64 v21, 0, v21, s0
	v_cmp_lt_i32_e64 s0, v99, v38
	v_cndmask_b32_e64 v9, 0, v9, s0
	v_cmp_lt_i32_e64 s0, v98, v38
	s_delay_alu instid0(VALU_DEP_1) | instskip(SKIP_1) | instid1(VALU_DEP_1)
	v_cndmask_b32_e64 v7, 0, v7, s0
	v_cmp_lt_i32_e64 s0, v97, v38
	v_cndmask_b32_e64 v6, 0, v6, s0
	v_cmp_lt_i32_e64 s0, v96, v38
	s_delay_alu instid0(VALU_DEP_1) | instskip(SKIP_1) | instid1(VALU_DEP_1)
	v_cndmask_b32_e64 v3, 0, v3, s0
	v_cmp_lt_i32_e64 s0, v87, v38
	v_cndmask_b32_e64 v2, 0, v2, s0
.LBB446_1965:                           ;   in Loop: Header=BB446_1574 Depth=1
	s_or_b32 exec_lo, exec_lo, s12
	v_lshlrev_b32_e32 v4, 16, v4
                                        ; implicit-def: $vgpr134
	s_delay_alu instid0(VALU_DEP_1) | instskip(NEXT) | instid1(VALU_DEP_1)
	v_mul_f32_e32 v4, v102, v4
	v_and_b32_e32 v37, 0x7f800000, v4
	s_delay_alu instid0(VALU_DEP_1) | instskip(NEXT) | instid1(VALU_DEP_1)
	v_cmp_ne_u32_e64 s0, 0x7f800000, v37
	s_and_saveexec_b32 s12, s0
	s_delay_alu instid0(SALU_CYCLE_1)
	s_xor_b32 s0, exec_lo, s12
; %bb.1966:                             ;   in Loop: Header=BB446_1574 Depth=1
	v_bfe_u32 v37, v4, 16, 1
	s_delay_alu instid0(VALU_DEP_1)
	v_add3_u32 v134, v4, v37, 0x7fff
                                        ; implicit-def: $vgpr4
; %bb.1967:                             ;   in Loop: Header=BB446_1574 Depth=1
	s_and_not1_saveexec_b32 s12, s0
; %bb.1968:                             ;   in Loop: Header=BB446_1574 Depth=1
	v_and_b32_e32 v37, 0xffff, v4
	v_or_b32_e32 v39, 0x10000, v4
	s_delay_alu instid0(VALU_DEP_2) | instskip(NEXT) | instid1(VALU_DEP_1)
	v_cmp_eq_u32_e64 s0, 0, v37
	v_cndmask_b32_e64 v134, v39, v4, s0
; %bb.1969:                             ;   in Loop: Header=BB446_1574 Depth=1
	s_or_b32 exec_lo, exec_lo, s12
	v_lshlrev_b32_e32 v4, 16, v5
                                        ; implicit-def: $vgpr135
	s_delay_alu instid0(VALU_DEP_1) | instskip(NEXT) | instid1(VALU_DEP_1)
	v_mul_f32_e32 v4, v103, v4
	v_and_b32_e32 v5, 0x7f800000, v4
	s_delay_alu instid0(VALU_DEP_1) | instskip(NEXT) | instid1(VALU_DEP_1)
	v_cmp_ne_u32_e64 s0, 0x7f800000, v5
	s_and_saveexec_b32 s12, s0
	s_delay_alu instid0(SALU_CYCLE_1)
	s_xor_b32 s0, exec_lo, s12
; %bb.1970:                             ;   in Loop: Header=BB446_1574 Depth=1
	v_bfe_u32 v5, v4, 16, 1
	s_delay_alu instid0(VALU_DEP_1)
	v_add3_u32 v135, v4, v5, 0x7fff
                                        ; implicit-def: $vgpr4
; %bb.1971:                             ;   in Loop: Header=BB446_1574 Depth=1
	s_and_not1_saveexec_b32 s12, s0
; %bb.1972:                             ;   in Loop: Header=BB446_1574 Depth=1
	v_and_b32_e32 v5, 0xffff, v4
	v_or_b32_e32 v37, 0x10000, v4
	s_delay_alu instid0(VALU_DEP_2) | instskip(NEXT) | instid1(VALU_DEP_1)
	v_cmp_eq_u32_e64 s0, 0, v5
	v_cndmask_b32_e64 v135, v37, v4, s0
; %bb.1973:                             ;   in Loop: Header=BB446_1574 Depth=1
	s_or_b32 exec_lo, exec_lo, s12
	v_lshlrev_b32_e32 v4, 16, v21
                                        ; implicit-def: $vgpr144
	s_delay_alu instid0(VALU_DEP_1) | instskip(NEXT) | instid1(VALU_DEP_1)
	v_mul_f32_e32 v4, v112, v4
	v_and_b32_e32 v5, 0x7f800000, v4
	s_delay_alu instid0(VALU_DEP_1) | instskip(NEXT) | instid1(VALU_DEP_1)
	v_cmp_ne_u32_e64 s0, 0x7f800000, v5
	s_and_saveexec_b32 s12, s0
	s_delay_alu instid0(SALU_CYCLE_1)
	s_xor_b32 s0, exec_lo, s12
; %bb.1974:                             ;   in Loop: Header=BB446_1574 Depth=1
	v_bfe_u32 v5, v4, 16, 1
	s_delay_alu instid0(VALU_DEP_1)
	v_add3_u32 v144, v4, v5, 0x7fff
                                        ; implicit-def: $vgpr4
; %bb.1975:                             ;   in Loop: Header=BB446_1574 Depth=1
	s_and_not1_saveexec_b32 s12, s0
; %bb.1976:                             ;   in Loop: Header=BB446_1574 Depth=1
	v_and_b32_e32 v5, 0xffff, v4
	v_or_b32_e32 v21, 0x10000, v4
	s_delay_alu instid0(VALU_DEP_2) | instskip(NEXT) | instid1(VALU_DEP_1)
	v_cmp_eq_u32_e64 s0, 0, v5
	v_cndmask_b32_e64 v144, v21, v4, s0
; %bb.1977:                             ;   in Loop: Header=BB446_1574 Depth=1
	s_or_b32 exec_lo, exec_lo, s12
	v_lshlrev_b32_e32 v4, 16, v9
                                        ; implicit-def: $vgpr145
	s_delay_alu instid0(VALU_DEP_1) | instskip(NEXT) | instid1(VALU_DEP_1)
	v_mul_f32_e32 v4, v113, v4
	v_and_b32_e32 v5, 0x7f800000, v4
	s_delay_alu instid0(VALU_DEP_1) | instskip(NEXT) | instid1(VALU_DEP_1)
	v_cmp_ne_u32_e64 s0, 0x7f800000, v5
	s_and_saveexec_b32 s12, s0
	s_delay_alu instid0(SALU_CYCLE_1)
	s_xor_b32 s0, exec_lo, s12
; %bb.1978:                             ;   in Loop: Header=BB446_1574 Depth=1
	v_bfe_u32 v5, v4, 16, 1
	s_delay_alu instid0(VALU_DEP_1)
	v_add3_u32 v145, v4, v5, 0x7fff
                                        ; implicit-def: $vgpr4
; %bb.1979:                             ;   in Loop: Header=BB446_1574 Depth=1
	s_and_not1_saveexec_b32 s12, s0
; %bb.1980:                             ;   in Loop: Header=BB446_1574 Depth=1
	v_and_b32_e32 v5, 0xffff, v4
	v_or_b32_e32 v9, 0x10000, v4
	s_delay_alu instid0(VALU_DEP_2) | instskip(NEXT) | instid1(VALU_DEP_1)
	v_cmp_eq_u32_e64 s0, 0, v5
	v_cndmask_b32_e64 v145, v9, v4, s0
; %bb.1981:                             ;   in Loop: Header=BB446_1574 Depth=1
	s_or_b32 exec_lo, exec_lo, s12
	v_lshlrev_b32_e32 v4, 16, v7
                                        ; implicit-def: $vgpr146
	s_delay_alu instid0(VALU_DEP_1) | instskip(NEXT) | instid1(VALU_DEP_1)
	v_mul_f32_e32 v4, v114, v4
	v_and_b32_e32 v5, 0x7f800000, v4
	s_delay_alu instid0(VALU_DEP_1) | instskip(NEXT) | instid1(VALU_DEP_1)
	v_cmp_ne_u32_e64 s0, 0x7f800000, v5
	s_and_saveexec_b32 s12, s0
	s_delay_alu instid0(SALU_CYCLE_1)
	s_xor_b32 s0, exec_lo, s12
; %bb.1982:                             ;   in Loop: Header=BB446_1574 Depth=1
	v_bfe_u32 v5, v4, 16, 1
	s_delay_alu instid0(VALU_DEP_1)
	v_add3_u32 v146, v4, v5, 0x7fff
                                        ; implicit-def: $vgpr4
; %bb.1983:                             ;   in Loop: Header=BB446_1574 Depth=1
	s_and_not1_saveexec_b32 s12, s0
; %bb.1984:                             ;   in Loop: Header=BB446_1574 Depth=1
	v_and_b32_e32 v5, 0xffff, v4
	v_or_b32_e32 v7, 0x10000, v4
	s_delay_alu instid0(VALU_DEP_2) | instskip(NEXT) | instid1(VALU_DEP_1)
	v_cmp_eq_u32_e64 s0, 0, v5
	v_cndmask_b32_e64 v146, v7, v4, s0
; %bb.1985:                             ;   in Loop: Header=BB446_1574 Depth=1
	s_or_b32 exec_lo, exec_lo, s12
	v_lshlrev_b32_e32 v4, 16, v6
                                        ; implicit-def: $vgpr147
	s_delay_alu instid0(VALU_DEP_1) | instskip(NEXT) | instid1(VALU_DEP_1)
	v_mul_f32_e32 v4, v115, v4
	v_and_b32_e32 v5, 0x7f800000, v4
	s_delay_alu instid0(VALU_DEP_1) | instskip(NEXT) | instid1(VALU_DEP_1)
	v_cmp_ne_u32_e64 s0, 0x7f800000, v5
	s_and_saveexec_b32 s12, s0
	s_delay_alu instid0(SALU_CYCLE_1)
	s_xor_b32 s0, exec_lo, s12
; %bb.1986:                             ;   in Loop: Header=BB446_1574 Depth=1
	v_bfe_u32 v5, v4, 16, 1
	s_delay_alu instid0(VALU_DEP_1)
	v_add3_u32 v147, v4, v5, 0x7fff
                                        ; implicit-def: $vgpr4
; %bb.1987:                             ;   in Loop: Header=BB446_1574 Depth=1
	s_and_not1_saveexec_b32 s12, s0
; %bb.1988:                             ;   in Loop: Header=BB446_1574 Depth=1
	v_and_b32_e32 v5, 0xffff, v4
	v_or_b32_e32 v6, 0x10000, v4
	s_delay_alu instid0(VALU_DEP_2) | instskip(NEXT) | instid1(VALU_DEP_1)
	v_cmp_eq_u32_e64 s0, 0, v5
	v_cndmask_b32_e64 v147, v6, v4, s0
; %bb.1989:                             ;   in Loop: Header=BB446_1574 Depth=1
	s_or_b32 exec_lo, exec_lo, s12
	v_lshlrev_b32_e32 v3, 16, v3
                                        ; implicit-def: $vgpr148
	s_delay_alu instid0(VALU_DEP_1) | instskip(NEXT) | instid1(VALU_DEP_1)
	v_mul_f32_e32 v3, v116, v3
	v_and_b32_e32 v4, 0x7f800000, v3
	s_delay_alu instid0(VALU_DEP_1) | instskip(NEXT) | instid1(VALU_DEP_1)
	v_cmp_ne_u32_e64 s0, 0x7f800000, v4
	s_and_saveexec_b32 s12, s0
	s_delay_alu instid0(SALU_CYCLE_1)
	s_xor_b32 s0, exec_lo, s12
; %bb.1990:                             ;   in Loop: Header=BB446_1574 Depth=1
	v_bfe_u32 v4, v3, 16, 1
	s_delay_alu instid0(VALU_DEP_1)
	v_add3_u32 v148, v3, v4, 0x7fff
                                        ; implicit-def: $vgpr3
; %bb.1991:                             ;   in Loop: Header=BB446_1574 Depth=1
	s_and_not1_saveexec_b32 s12, s0
; %bb.1992:                             ;   in Loop: Header=BB446_1574 Depth=1
	v_and_b32_e32 v4, 0xffff, v3
	v_or_b32_e32 v5, 0x10000, v3
	s_delay_alu instid0(VALU_DEP_2) | instskip(NEXT) | instid1(VALU_DEP_1)
	v_cmp_eq_u32_e64 s0, 0, v4
	v_cndmask_b32_e64 v148, v5, v3, s0
; %bb.1993:                             ;   in Loop: Header=BB446_1574 Depth=1
	s_or_b32 exec_lo, exec_lo, s12
	v_lshlrev_b32_e32 v2, 16, v2
                                        ; implicit-def: $vgpr149
	s_delay_alu instid0(VALU_DEP_1) | instskip(NEXT) | instid1(VALU_DEP_1)
	v_mul_f32_e32 v2, v117, v2
	v_and_b32_e32 v3, 0x7f800000, v2
	s_delay_alu instid0(VALU_DEP_1) | instskip(NEXT) | instid1(VALU_DEP_1)
	v_cmp_ne_u32_e64 s0, 0x7f800000, v3
	s_and_saveexec_b32 s12, s0
	s_delay_alu instid0(SALU_CYCLE_1)
	s_xor_b32 s0, exec_lo, s12
; %bb.1994:                             ;   in Loop: Header=BB446_1574 Depth=1
	v_bfe_u32 v3, v2, 16, 1
	s_delay_alu instid0(VALU_DEP_1)
	v_add3_u32 v149, v2, v3, 0x7fff
                                        ; implicit-def: $vgpr2
; %bb.1995:                             ;   in Loop: Header=BB446_1574 Depth=1
	s_and_not1_saveexec_b32 s12, s0
; %bb.1996:                             ;   in Loop: Header=BB446_1574 Depth=1
	v_and_b32_e32 v3, 0xffff, v2
	v_or_b32_e32 v4, 0x10000, v2
	s_delay_alu instid0(VALU_DEP_2) | instskip(NEXT) | instid1(VALU_DEP_1)
	v_cmp_eq_u32_e64 s0, 0, v3
	v_cndmask_b32_e64 v149, v4, v2, s0
; %bb.1997:                             ;   in Loop: Header=BB446_1574 Depth=1
	s_or_b32 exec_lo, exec_lo, s12
	flat_load_b64 v[2:3], v[0:1] offset:768
	s_mov_b32 s12, exec_lo
	s_waitcnt vmcnt(0) lgkmcnt(0)
	v_dual_mov_b32 v4, 0 :: v_dual_and_b32 v5, 0xff, v2
	s_delay_alu instid0(VALU_DEP_1)
	v_cmpx_ne_u16_e32 0, v5
	s_cbranch_execz .LBB446_2005
; %bb.1998:                             ;   in Loop: Header=BB446_1574 Depth=1
	v_bfrev_b32_e32 v4, 1
	s_mov_b32 s13, exec_lo
	v_cmpx_ne_u16_e32 0x80, v5
	s_cbranch_execz .LBB446_2004
; %bb.1999:                             ;   in Loop: Header=BB446_1574 Depth=1
	v_and_b32_e32 v5, 0x7f, v2
	v_mov_b32_e32 v4, 0x7f800001
	s_mov_b32 s15, exec_lo
	s_delay_alu instid0(VALU_DEP_2)
	v_cmpx_ne_u32_e32 0x7f, v5
	s_cbranch_execz .LBB446_2003
; %bb.2000:                             ;   in Loop: Header=BB446_1574 Depth=1
	v_lshrrev_b32_e32 v4, 3, v5
	v_dual_mov_b32 v7, v3 :: v_dual_mov_b32 v6, v2
	s_mov_b32 s16, exec_lo
	v_cmpx_gt_u32_e32 8, v5
; %bb.2001:                             ;   in Loop: Header=BB446_1574 Depth=1
	v_and_b32_e32 v4, 7, v2
	s_delay_alu instid0(VALU_DEP_1) | instskip(NEXT) | instid1(VALU_DEP_1)
	v_clz_i32_u32_e32 v4, v4
	v_min_u32_e32 v4, 32, v4
	s_delay_alu instid0(VALU_DEP_1) | instskip(SKIP_1) | instid1(VALU_DEP_2)
	v_subrev_nc_u32_e32 v5, 28, v4
	v_sub_nc_u32_e32 v4, 29, v4
	v_lshlrev_b64 v[6:7], v5, v[2:3]
; %bb.2002:                             ;   in Loop: Header=BB446_1574 Depth=1
	s_or_b32 exec_lo, exec_lo, s16
	s_delay_alu instid0(VALU_DEP_1) | instskip(SKIP_2) | instid1(VALU_DEP_3)
	v_lshlrev_b32_e32 v5, 20, v6
	v_lshlrev_b32_e32 v6, 24, v2
	v_lshl_add_u32 v4, v4, 23, 0x3c000000
	v_and_b32_e32 v5, 0x700000, v5
	s_delay_alu instid0(VALU_DEP_3) | instskip(NEXT) | instid1(VALU_DEP_1)
	v_and_b32_e32 v6, 0x80000000, v6
	v_or3_b32 v4, v5, v6, v4
.LBB446_2003:                           ;   in Loop: Header=BB446_1574 Depth=1
	s_or_b32 exec_lo, exec_lo, s15
.LBB446_2004:                           ;   in Loop: Header=BB446_1574 Depth=1
	s_delay_alu instid0(SALU_CYCLE_1)
	s_or_b32 exec_lo, exec_lo, s13
.LBB446_2005:                           ;   in Loop: Header=BB446_1574 Depth=1
	s_delay_alu instid0(SALU_CYCLE_1) | instskip(NEXT) | instid1(VALU_DEP_1)
	s_or_b32 exec_lo, exec_lo, s12
	v_mul_f32_e32 v5, v8, v4
	s_delay_alu instid0(VALU_DEP_1) | instskip(NEXT) | instid1(VALU_DEP_1)
	v_and_b32_e32 v4, 0x7f800000, v5
	v_cmp_ne_u32_e64 s0, 0x7f800000, v4
                                        ; implicit-def: $vgpr4
	s_delay_alu instid0(VALU_DEP_1) | instskip(NEXT) | instid1(SALU_CYCLE_1)
	s_and_saveexec_b32 s12, s0
	s_xor_b32 s0, exec_lo, s12
; %bb.2006:                             ;   in Loop: Header=BB446_1574 Depth=1
	v_bfe_u32 v4, v5, 16, 1
	s_delay_alu instid0(VALU_DEP_1)
	v_add3_u32 v4, v5, v4, 0x7fff
                                        ; implicit-def: $vgpr5
; %bb.2007:                             ;   in Loop: Header=BB446_1574 Depth=1
	s_and_not1_saveexec_b32 s12, s0
; %bb.2008:                             ;   in Loop: Header=BB446_1574 Depth=1
	v_and_b32_e32 v4, 0xffff, v5
	v_or_b32_e32 v6, 0x10000, v5
	s_delay_alu instid0(VALU_DEP_2) | instskip(NEXT) | instid1(VALU_DEP_1)
	v_cmp_eq_u32_e64 s0, 0, v4
	v_cndmask_b32_e64 v4, v6, v5, s0
; %bb.2009:                             ;   in Loop: Header=BB446_1574 Depth=1
	s_or_b32 exec_lo, exec_lo, s12
	v_lshrrev_b16 v6, 8, v2
	v_mov_b32_e32 v5, 0
	s_mov_b32 s12, exec_lo
	s_delay_alu instid0(VALU_DEP_2)
	v_cmpx_ne_u16_e32 0, v6
	s_cbranch_execz .LBB446_2017
; %bb.2010:                             ;   in Loop: Header=BB446_1574 Depth=1
	v_bfrev_b32_e32 v5, 1
	s_mov_b32 s13, exec_lo
	v_cmpx_ne_u16_e32 0x80, v6
	s_cbranch_execz .LBB446_2016
; %bb.2011:                             ;   in Loop: Header=BB446_1574 Depth=1
	v_and_b32_e32 v7, 0xffff, v6
	v_mov_b32_e32 v5, 0x7f800001
	s_mov_b32 s15, exec_lo
	s_delay_alu instid0(VALU_DEP_2) | instskip(NEXT) | instid1(VALU_DEP_1)
	v_and_b32_e32 v6, 0x7f, v7
	v_cmpx_ne_u32_e32 0x7f, v6
	s_cbranch_execz .LBB446_2015
; %bb.2012:                             ;   in Loop: Header=BB446_1574 Depth=1
	v_and_b32_e32 v9, 7, v7
	v_lshrrev_b32_e32 v5, 3, v6
	v_cmp_gt_u32_e64 s0, 8, v6
	s_delay_alu instid0(VALU_DEP_3) | instskip(NEXT) | instid1(VALU_DEP_2)
	v_dual_mov_b32 v6, v9 :: v_dual_mov_b32 v7, v10
	s_and_saveexec_b32 s16, s0
; %bb.2013:                             ;   in Loop: Header=BB446_1574 Depth=1
	v_clz_i32_u32_e32 v5, v9
	s_delay_alu instid0(VALU_DEP_1) | instskip(NEXT) | instid1(VALU_DEP_1)
	v_min_u32_e32 v5, 32, v5
	v_subrev_nc_u32_e32 v6, 28, v5
	v_sub_nc_u32_e32 v5, 29, v5
	s_delay_alu instid0(VALU_DEP_2) | instskip(NEXT) | instid1(VALU_DEP_1)
	v_lshlrev_b64 v[6:7], v6, v[9:10]
	v_and_b32_e32 v6, 7, v6
; %bb.2014:                             ;   in Loop: Header=BB446_1574 Depth=1
	s_or_b32 exec_lo, exec_lo, s16
	v_lshlrev_b32_e32 v7, 16, v2
	s_delay_alu instid0(VALU_DEP_2) | instskip(SKIP_1) | instid1(VALU_DEP_3)
	v_lshlrev_b32_e32 v6, 20, v6
	v_lshl_add_u32 v5, v5, 23, 0x3c000000
	v_and_b32_e32 v7, 0x80000000, v7
	s_delay_alu instid0(VALU_DEP_1)
	v_or3_b32 v5, v6, v7, v5
.LBB446_2015:                           ;   in Loop: Header=BB446_1574 Depth=1
	s_or_b32 exec_lo, exec_lo, s15
.LBB446_2016:                           ;   in Loop: Header=BB446_1574 Depth=1
	s_delay_alu instid0(SALU_CYCLE_1)
	s_or_b32 exec_lo, exec_lo, s13
.LBB446_2017:                           ;   in Loop: Header=BB446_1574 Depth=1
	s_delay_alu instid0(SALU_CYCLE_1) | instskip(NEXT) | instid1(VALU_DEP_1)
	s_or_b32 exec_lo, exec_lo, s12
	v_mul_f32_e32 v6, v8, v5
	s_delay_alu instid0(VALU_DEP_1) | instskip(NEXT) | instid1(VALU_DEP_1)
	v_and_b32_e32 v5, 0x7f800000, v6
	v_cmp_ne_u32_e64 s0, 0x7f800000, v5
                                        ; implicit-def: $vgpr5
	s_delay_alu instid0(VALU_DEP_1) | instskip(NEXT) | instid1(SALU_CYCLE_1)
	s_and_saveexec_b32 s12, s0
	s_xor_b32 s0, exec_lo, s12
; %bb.2018:                             ;   in Loop: Header=BB446_1574 Depth=1
	v_bfe_u32 v5, v6, 16, 1
	s_delay_alu instid0(VALU_DEP_1)
	v_add3_u32 v5, v6, v5, 0x7fff
                                        ; implicit-def: $vgpr6
; %bb.2019:                             ;   in Loop: Header=BB446_1574 Depth=1
	s_and_not1_saveexec_b32 s12, s0
; %bb.2020:                             ;   in Loop: Header=BB446_1574 Depth=1
	v_and_b32_e32 v5, 0xffff, v6
	v_or_b32_e32 v7, 0x10000, v6
	s_delay_alu instid0(VALU_DEP_2) | instskip(NEXT) | instid1(VALU_DEP_1)
	v_cmp_eq_u32_e64 s0, 0, v5
	v_cndmask_b32_e64 v5, v7, v6, s0
; %bb.2021:                             ;   in Loop: Header=BB446_1574 Depth=1
	s_or_b32 exec_lo, exec_lo, s12
	v_lshrrev_b32_e32 v21, 16, v2
	s_mov_b32 s12, exec_lo
	s_delay_alu instid0(VALU_DEP_1) | instskip(NEXT) | instid1(VALU_DEP_1)
	v_dual_mov_b32 v6, 0 :: v_dual_and_b32 v7, 0xff, v21
	v_cmpx_ne_u16_e32 0, v7
	s_cbranch_execz .LBB446_2029
; %bb.2022:                             ;   in Loop: Header=BB446_1574 Depth=1
	v_bfrev_b32_e32 v6, 1
	s_mov_b32 s13, exec_lo
	v_cmpx_ne_u16_e32 0x80, v7
	s_cbranch_execz .LBB446_2028
; %bb.2023:                             ;   in Loop: Header=BB446_1574 Depth=1
	v_bfe_u32 v7, v2, 16, 7
	v_mov_b32_e32 v6, 0x7f800001
	s_mov_b32 s15, exec_lo
	s_delay_alu instid0(VALU_DEP_2)
	v_cmpx_ne_u32_e32 0x7f, v7
	s_cbranch_execz .LBB446_2027
; %bb.2024:                             ;   in Loop: Header=BB446_1574 Depth=1
	v_and_b32_e32 v9, 7, v21
	v_lshrrev_b32_e32 v37, 3, v7
	v_cmp_gt_u32_e64 s0, 8, v7
	s_delay_alu instid0(VALU_DEP_3) | instskip(NEXT) | instid1(VALU_DEP_2)
	v_dual_mov_b32 v6, v9 :: v_dual_mov_b32 v7, v10
	s_and_saveexec_b32 s16, s0
; %bb.2025:                             ;   in Loop: Header=BB446_1574 Depth=1
	v_clz_i32_u32_e32 v6, v9
	s_delay_alu instid0(VALU_DEP_1) | instskip(NEXT) | instid1(VALU_DEP_1)
	v_min_u32_e32 v37, 32, v6
	v_subrev_nc_u32_e32 v6, 28, v37
	v_sub_nc_u32_e32 v37, 29, v37
	s_delay_alu instid0(VALU_DEP_2) | instskip(NEXT) | instid1(VALU_DEP_1)
	v_lshlrev_b64 v[6:7], v6, v[9:10]
	v_and_b32_e32 v6, 7, v6
; %bb.2026:                             ;   in Loop: Header=BB446_1574 Depth=1
	s_or_b32 exec_lo, exec_lo, s16
	v_lshlrev_b32_e32 v7, 24, v21
	s_delay_alu instid0(VALU_DEP_2) | instskip(SKIP_1) | instid1(VALU_DEP_3)
	v_lshlrev_b32_e32 v6, 20, v6
	v_lshl_add_u32 v9, v37, 23, 0x3c000000
	v_and_b32_e32 v7, 0x80000000, v7
	s_delay_alu instid0(VALU_DEP_1)
	v_or3_b32 v6, v6, v7, v9
.LBB446_2027:                           ;   in Loop: Header=BB446_1574 Depth=1
	s_or_b32 exec_lo, exec_lo, s15
.LBB446_2028:                           ;   in Loop: Header=BB446_1574 Depth=1
	s_delay_alu instid0(SALU_CYCLE_1)
	s_or_b32 exec_lo, exec_lo, s13
.LBB446_2029:                           ;   in Loop: Header=BB446_1574 Depth=1
	s_delay_alu instid0(SALU_CYCLE_1) | instskip(NEXT) | instid1(VALU_DEP_1)
	s_or_b32 exec_lo, exec_lo, s12
	v_mul_f32_e32 v6, v8, v6
                                        ; implicit-def: $vgpr21
	s_delay_alu instid0(VALU_DEP_1) | instskip(NEXT) | instid1(VALU_DEP_1)
	v_and_b32_e32 v7, 0x7f800000, v6
	v_cmp_ne_u32_e64 s0, 0x7f800000, v7
	s_delay_alu instid0(VALU_DEP_1) | instskip(NEXT) | instid1(SALU_CYCLE_1)
	s_and_saveexec_b32 s12, s0
	s_xor_b32 s0, exec_lo, s12
; %bb.2030:                             ;   in Loop: Header=BB446_1574 Depth=1
	v_bfe_u32 v7, v6, 16, 1
	s_delay_alu instid0(VALU_DEP_1)
	v_add3_u32 v21, v6, v7, 0x7fff
                                        ; implicit-def: $vgpr6
; %bb.2031:                             ;   in Loop: Header=BB446_1574 Depth=1
	s_and_not1_saveexec_b32 s12, s0
; %bb.2032:                             ;   in Loop: Header=BB446_1574 Depth=1
	v_and_b32_e32 v7, 0xffff, v6
	v_or_b32_e32 v9, 0x10000, v6
	s_delay_alu instid0(VALU_DEP_2) | instskip(NEXT) | instid1(VALU_DEP_1)
	v_cmp_eq_u32_e64 s0, 0, v7
	v_cndmask_b32_e64 v21, v9, v6, s0
; %bb.2033:                             ;   in Loop: Header=BB446_1574 Depth=1
	s_or_b32 exec_lo, exec_lo, s12
	v_mov_b32_e32 v6, 0
	s_mov_b32 s12, exec_lo
	v_cmpx_lt_u32_e32 0xffffff, v2
	s_cbranch_execz .LBB446_2041
; %bb.2034:                             ;   in Loop: Header=BB446_1574 Depth=1
	v_lshrrev_b32_e32 v37, 24, v2
	v_bfrev_b32_e32 v6, 1
	s_mov_b32 s13, exec_lo
	s_delay_alu instid0(VALU_DEP_2)
	v_cmpx_ne_u32_e32 0x80, v37
	s_cbranch_execz .LBB446_2040
; %bb.2035:                             ;   in Loop: Header=BB446_1574 Depth=1
	v_bfe_u32 v7, v2, 24, 7
	v_mov_b32_e32 v6, 0x7f800001
	s_mov_b32 s15, exec_lo
	s_delay_alu instid0(VALU_DEP_2)
	v_cmpx_ne_u32_e32 0x7f, v7
	s_cbranch_execz .LBB446_2039
; %bb.2036:                             ;   in Loop: Header=BB446_1574 Depth=1
	v_and_b32_e32 v9, 7, v37
	v_lshrrev_b32_e32 v39, 3, v7
	v_cmp_gt_u32_e64 s0, 8, v7
	s_delay_alu instid0(VALU_DEP_3) | instskip(NEXT) | instid1(VALU_DEP_2)
	v_dual_mov_b32 v6, v9 :: v_dual_mov_b32 v7, v10
	s_and_saveexec_b32 s16, s0
; %bb.2037:                             ;   in Loop: Header=BB446_1574 Depth=1
	v_clz_i32_u32_e32 v6, v9
	s_delay_alu instid0(VALU_DEP_1) | instskip(NEXT) | instid1(VALU_DEP_1)
	v_min_u32_e32 v39, 32, v6
	v_subrev_nc_u32_e32 v6, 28, v39
	v_sub_nc_u32_e32 v39, 29, v39
	s_delay_alu instid0(VALU_DEP_2) | instskip(NEXT) | instid1(VALU_DEP_1)
	v_lshlrev_b64 v[6:7], v6, v[9:10]
	v_and_b32_e32 v6, 7, v6
; %bb.2038:                             ;   in Loop: Header=BB446_1574 Depth=1
	s_or_b32 exec_lo, exec_lo, s16
	v_lshlrev_b32_e32 v7, 24, v37
	s_delay_alu instid0(VALU_DEP_2) | instskip(SKIP_1) | instid1(VALU_DEP_3)
	v_lshlrev_b32_e32 v6, 20, v6
	v_lshl_add_u32 v9, v39, 23, 0x3c000000
	v_and_b32_e32 v7, 0x80000000, v7
	s_delay_alu instid0(VALU_DEP_1)
	v_or3_b32 v6, v6, v7, v9
.LBB446_2039:                           ;   in Loop: Header=BB446_1574 Depth=1
	s_or_b32 exec_lo, exec_lo, s15
.LBB446_2040:                           ;   in Loop: Header=BB446_1574 Depth=1
	s_delay_alu instid0(SALU_CYCLE_1)
	s_or_b32 exec_lo, exec_lo, s13
.LBB446_2041:                           ;   in Loop: Header=BB446_1574 Depth=1
	s_delay_alu instid0(SALU_CYCLE_1) | instskip(NEXT) | instid1(VALU_DEP_1)
	s_or_b32 exec_lo, exec_lo, s12
	v_mul_f32_e32 v6, v8, v6
                                        ; implicit-def: $vgpr37
	s_delay_alu instid0(VALU_DEP_1) | instskip(NEXT) | instid1(VALU_DEP_1)
	v_and_b32_e32 v7, 0x7f800000, v6
	v_cmp_ne_u32_e64 s0, 0x7f800000, v7
	s_delay_alu instid0(VALU_DEP_1) | instskip(NEXT) | instid1(SALU_CYCLE_1)
	s_and_saveexec_b32 s12, s0
	s_xor_b32 s0, exec_lo, s12
; %bb.2042:                             ;   in Loop: Header=BB446_1574 Depth=1
	v_bfe_u32 v7, v6, 16, 1
	s_delay_alu instid0(VALU_DEP_1)
	v_add3_u32 v37, v6, v7, 0x7fff
                                        ; implicit-def: $vgpr6
; %bb.2043:                             ;   in Loop: Header=BB446_1574 Depth=1
	s_and_not1_saveexec_b32 s12, s0
; %bb.2044:                             ;   in Loop: Header=BB446_1574 Depth=1
	v_and_b32_e32 v7, 0xffff, v6
	v_or_b32_e32 v9, 0x10000, v6
	s_delay_alu instid0(VALU_DEP_2) | instskip(NEXT) | instid1(VALU_DEP_1)
	v_cmp_eq_u32_e64 s0, 0, v7
	v_cndmask_b32_e64 v37, v9, v6, s0
; %bb.2045:                             ;   in Loop: Header=BB446_1574 Depth=1
	s_or_b32 exec_lo, exec_lo, s12
	v_dual_mov_b32 v6, 0 :: v_dual_and_b32 v7, 0xff, v3
	v_mov_b32_e32 v9, v3
	s_mov_b32 s12, exec_lo
	s_delay_alu instid0(VALU_DEP_2)
	v_cmpx_ne_u16_e32 0, v7
	s_cbranch_execz .LBB446_2053
; %bb.2046:                             ;   in Loop: Header=BB446_1574 Depth=1
	v_bfrev_b32_e32 v6, 1
	s_mov_b32 s13, exec_lo
	v_cmpx_ne_u16_e32 0x80, v7
	s_cbranch_execz .LBB446_2052
; %bb.2047:                             ;   in Loop: Header=BB446_1574 Depth=1
	v_and_b32_e32 v7, 0x7f, v3
	v_mov_b32_e32 v6, 0x7f800001
	s_mov_b32 s15, exec_lo
	s_delay_alu instid0(VALU_DEP_2)
	v_cmpx_ne_u32_e32 0x7f, v7
	s_cbranch_execz .LBB446_2051
; %bb.2048:                             ;   in Loop: Header=BB446_1574 Depth=1
	v_lshrrev_b32_e32 v39, 3, v7
	v_cmp_gt_u32_e64 s0, 8, v7
	v_dual_mov_b32 v6, v9 :: v_dual_mov_b32 v7, v10
	s_delay_alu instid0(VALU_DEP_2)
	s_and_saveexec_b32 s16, s0
; %bb.2049:                             ;   in Loop: Header=BB446_1574 Depth=1
	v_and_b32_e32 v6, 7, v3
	s_delay_alu instid0(VALU_DEP_1) | instskip(NEXT) | instid1(VALU_DEP_1)
	v_clz_i32_u32_e32 v6, v6
	v_min_u32_e32 v39, 32, v6
	s_delay_alu instid0(VALU_DEP_1) | instskip(SKIP_1) | instid1(VALU_DEP_2)
	v_subrev_nc_u32_e32 v6, 28, v39
	v_sub_nc_u32_e32 v39, 29, v39
	v_lshlrev_b64 v[6:7], v6, v[9:10]
; %bb.2050:                             ;   in Loop: Header=BB446_1574 Depth=1
	s_or_b32 exec_lo, exec_lo, s16
	s_delay_alu instid0(VALU_DEP_1) | instskip(SKIP_2) | instid1(VALU_DEP_3)
	v_lshlrev_b32_e32 v6, 20, v6
	v_lshlrev_b32_e32 v7, 24, v9
	v_lshl_add_u32 v39, v39, 23, 0x3c000000
	v_and_b32_e32 v6, 0x700000, v6
	s_delay_alu instid0(VALU_DEP_3) | instskip(NEXT) | instid1(VALU_DEP_1)
	v_and_b32_e32 v7, 0x80000000, v7
	v_or3_b32 v6, v6, v7, v39
.LBB446_2051:                           ;   in Loop: Header=BB446_1574 Depth=1
	s_or_b32 exec_lo, exec_lo, s15
.LBB446_2052:                           ;   in Loop: Header=BB446_1574 Depth=1
	s_delay_alu instid0(SALU_CYCLE_1)
	s_or_b32 exec_lo, exec_lo, s13
.LBB446_2053:                           ;   in Loop: Header=BB446_1574 Depth=1
	s_delay_alu instid0(SALU_CYCLE_1) | instskip(NEXT) | instid1(VALU_DEP_1)
	s_or_b32 exec_lo, exec_lo, s12
	v_mul_f32_e32 v6, v8, v6
                                        ; implicit-def: $vgpr39
	s_delay_alu instid0(VALU_DEP_1) | instskip(NEXT) | instid1(VALU_DEP_1)
	v_and_b32_e32 v7, 0x7f800000, v6
	v_cmp_ne_u32_e64 s0, 0x7f800000, v7
	s_delay_alu instid0(VALU_DEP_1) | instskip(NEXT) | instid1(SALU_CYCLE_1)
	s_and_saveexec_b32 s12, s0
	s_xor_b32 s0, exec_lo, s12
; %bb.2054:                             ;   in Loop: Header=BB446_1574 Depth=1
	v_bfe_u32 v7, v6, 16, 1
	s_delay_alu instid0(VALU_DEP_1)
	v_add3_u32 v39, v6, v7, 0x7fff
                                        ; implicit-def: $vgpr6
; %bb.2055:                             ;   in Loop: Header=BB446_1574 Depth=1
	s_and_not1_saveexec_b32 s12, s0
; %bb.2056:                             ;   in Loop: Header=BB446_1574 Depth=1
	v_and_b32_e32 v7, 0xffff, v6
	v_or_b32_e32 v39, 0x10000, v6
	s_delay_alu instid0(VALU_DEP_2) | instskip(NEXT) | instid1(VALU_DEP_1)
	v_cmp_eq_u32_e64 s0, 0, v7
	v_cndmask_b32_e64 v39, v39, v6, s0
; %bb.2057:                             ;   in Loop: Header=BB446_1574 Depth=1
	s_or_b32 exec_lo, exec_lo, s12
	v_lshrrev_b16 v7, 8, v9
	v_mov_b32_e32 v6, 0
	s_mov_b32 s12, exec_lo
	s_delay_alu instid0(VALU_DEP_2)
	v_cmpx_ne_u16_e32 0, v7
	s_cbranch_execz .LBB446_2065
; %bb.2058:                             ;   in Loop: Header=BB446_1574 Depth=1
	v_bfrev_b32_e32 v6, 1
	s_mov_b32 s13, exec_lo
	v_cmpx_ne_u16_e32 0x80, v7
	s_cbranch_execz .LBB446_2064
; %bb.2059:                             ;   in Loop: Header=BB446_1574 Depth=1
	v_and_b32_e32 v7, 0xffff, v7
	v_mov_b32_e32 v6, 0x7f800001
	s_mov_b32 s15, exec_lo
	s_delay_alu instid0(VALU_DEP_2) | instskip(NEXT) | instid1(VALU_DEP_1)
	v_and_b32_e32 v151, 0x7f, v7
	v_cmpx_ne_u32_e32 0x7f, v151
	s_cbranch_execz .LBB446_2063
; %bb.2060:                             ;   in Loop: Header=BB446_1574 Depth=1
	v_dual_mov_b32 v7, v10 :: v_dual_and_b32 v6, 7, v7
	v_lshrrev_b32_e32 v150, 3, v151
	s_mov_b32 s16, exec_lo
	v_cmpx_gt_u32_e32 8, v151
; %bb.2061:                             ;   in Loop: Header=BB446_1574 Depth=1
	s_delay_alu instid0(VALU_DEP_3) | instskip(NEXT) | instid1(VALU_DEP_1)
	v_clz_i32_u32_e32 v150, v6
	v_min_u32_e32 v150, 32, v150
	s_delay_alu instid0(VALU_DEP_1) | instskip(SKIP_1) | instid1(VALU_DEP_2)
	v_subrev_nc_u32_e32 v151, 28, v150
	v_sub_nc_u32_e32 v150, 29, v150
	v_lshlrev_b64 v[6:7], v151, v[6:7]
	s_delay_alu instid0(VALU_DEP_1)
	v_and_b32_e32 v6, 7, v6
; %bb.2062:                             ;   in Loop: Header=BB446_1574 Depth=1
	s_or_b32 exec_lo, exec_lo, s16
	v_lshlrev_b32_e32 v7, 16, v9
	s_delay_alu instid0(VALU_DEP_2) | instskip(SKIP_1) | instid1(VALU_DEP_3)
	v_lshlrev_b32_e32 v6, 20, v6
	v_lshl_add_u32 v9, v150, 23, 0x3c000000
	v_and_b32_e32 v7, 0x80000000, v7
	s_delay_alu instid0(VALU_DEP_1)
	v_or3_b32 v6, v6, v7, v9
.LBB446_2063:                           ;   in Loop: Header=BB446_1574 Depth=1
	s_or_b32 exec_lo, exec_lo, s15
.LBB446_2064:                           ;   in Loop: Header=BB446_1574 Depth=1
	s_delay_alu instid0(SALU_CYCLE_1)
	s_or_b32 exec_lo, exec_lo, s13
.LBB446_2065:                           ;   in Loop: Header=BB446_1574 Depth=1
	s_delay_alu instid0(SALU_CYCLE_1) | instskip(NEXT) | instid1(VALU_DEP_1)
	s_or_b32 exec_lo, exec_lo, s12
	v_mul_f32_e32 v6, v8, v6
                                        ; implicit-def: $vgpr150
	s_delay_alu instid0(VALU_DEP_1) | instskip(NEXT) | instid1(VALU_DEP_1)
	v_and_b32_e32 v7, 0x7f800000, v6
	v_cmp_ne_u32_e64 s0, 0x7f800000, v7
	s_delay_alu instid0(VALU_DEP_1) | instskip(NEXT) | instid1(SALU_CYCLE_1)
	s_and_saveexec_b32 s12, s0
	s_xor_b32 s0, exec_lo, s12
; %bb.2066:                             ;   in Loop: Header=BB446_1574 Depth=1
	v_bfe_u32 v7, v6, 16, 1
	s_delay_alu instid0(VALU_DEP_1)
	v_add3_u32 v150, v6, v7, 0x7fff
                                        ; implicit-def: $vgpr6
; %bb.2067:                             ;   in Loop: Header=BB446_1574 Depth=1
	s_and_not1_saveexec_b32 s12, s0
; %bb.2068:                             ;   in Loop: Header=BB446_1574 Depth=1
	v_and_b32_e32 v7, 0xffff, v6
	v_or_b32_e32 v9, 0x10000, v6
	s_delay_alu instid0(VALU_DEP_2) | instskip(NEXT) | instid1(VALU_DEP_1)
	v_cmp_eq_u32_e64 s0, 0, v7
	v_cndmask_b32_e64 v150, v9, v6, s0
; %bb.2069:                             ;   in Loop: Header=BB446_1574 Depth=1
	s_or_b32 exec_lo, exec_lo, s12
	v_lshrrev_b32_e32 v151, 16, v3
	s_mov_b32 s12, exec_lo
	s_delay_alu instid0(VALU_DEP_1) | instskip(NEXT) | instid1(VALU_DEP_1)
	v_dual_mov_b32 v6, 0 :: v_dual_and_b32 v7, 0xff, v151
	v_cmpx_ne_u16_e32 0, v7
	s_cbranch_execz .LBB446_2077
; %bb.2070:                             ;   in Loop: Header=BB446_1574 Depth=1
	v_bfrev_b32_e32 v6, 1
	s_mov_b32 s13, exec_lo
	v_cmpx_ne_u16_e32 0x80, v7
	s_cbranch_execz .LBB446_2076
; %bb.2071:                             ;   in Loop: Header=BB446_1574 Depth=1
	v_bfe_u32 v7, v3, 16, 7
	v_mov_b32_e32 v6, 0x7f800001
	s_mov_b32 s15, exec_lo
	s_delay_alu instid0(VALU_DEP_2)
	v_cmpx_ne_u32_e32 0x7f, v7
	s_cbranch_execz .LBB446_2075
; %bb.2072:                             ;   in Loop: Header=BB446_1574 Depth=1
	v_and_b32_e32 v9, 7, v151
	v_lshrrev_b32_e32 v160, 3, v7
	v_cmp_gt_u32_e64 s0, 8, v7
	s_delay_alu instid0(VALU_DEP_3) | instskip(NEXT) | instid1(VALU_DEP_2)
	v_dual_mov_b32 v6, v9 :: v_dual_mov_b32 v7, v10
	s_and_saveexec_b32 s16, s0
; %bb.2073:                             ;   in Loop: Header=BB446_1574 Depth=1
	v_clz_i32_u32_e32 v6, v9
	s_delay_alu instid0(VALU_DEP_1) | instskip(NEXT) | instid1(VALU_DEP_1)
	v_min_u32_e32 v160, 32, v6
	v_subrev_nc_u32_e32 v6, 28, v160
	v_sub_nc_u32_e32 v160, 29, v160
	s_delay_alu instid0(VALU_DEP_2) | instskip(NEXT) | instid1(VALU_DEP_1)
	v_lshlrev_b64 v[6:7], v6, v[9:10]
	v_and_b32_e32 v6, 7, v6
; %bb.2074:                             ;   in Loop: Header=BB446_1574 Depth=1
	s_or_b32 exec_lo, exec_lo, s16
	v_lshlrev_b32_e32 v7, 24, v151
	s_delay_alu instid0(VALU_DEP_2) | instskip(SKIP_1) | instid1(VALU_DEP_3)
	v_lshlrev_b32_e32 v6, 20, v6
	v_lshl_add_u32 v9, v160, 23, 0x3c000000
	v_and_b32_e32 v7, 0x80000000, v7
	s_delay_alu instid0(VALU_DEP_1)
	v_or3_b32 v6, v6, v7, v9
.LBB446_2075:                           ;   in Loop: Header=BB446_1574 Depth=1
	s_or_b32 exec_lo, exec_lo, s15
.LBB446_2076:                           ;   in Loop: Header=BB446_1574 Depth=1
	s_delay_alu instid0(SALU_CYCLE_1)
	s_or_b32 exec_lo, exec_lo, s13
.LBB446_2077:                           ;   in Loop: Header=BB446_1574 Depth=1
	s_delay_alu instid0(SALU_CYCLE_1) | instskip(NEXT) | instid1(VALU_DEP_1)
	s_or_b32 exec_lo, exec_lo, s12
	v_mul_f32_e32 v6, v8, v6
                                        ; implicit-def: $vgpr151
	s_delay_alu instid0(VALU_DEP_1) | instskip(NEXT) | instid1(VALU_DEP_1)
	v_and_b32_e32 v7, 0x7f800000, v6
	v_cmp_ne_u32_e64 s0, 0x7f800000, v7
	s_delay_alu instid0(VALU_DEP_1) | instskip(NEXT) | instid1(SALU_CYCLE_1)
	s_and_saveexec_b32 s12, s0
	s_xor_b32 s0, exec_lo, s12
; %bb.2078:                             ;   in Loop: Header=BB446_1574 Depth=1
	v_bfe_u32 v7, v6, 16, 1
	s_delay_alu instid0(VALU_DEP_1)
	v_add3_u32 v151, v6, v7, 0x7fff
                                        ; implicit-def: $vgpr6
; %bb.2079:                             ;   in Loop: Header=BB446_1574 Depth=1
	s_and_not1_saveexec_b32 s12, s0
; %bb.2080:                             ;   in Loop: Header=BB446_1574 Depth=1
	v_and_b32_e32 v7, 0xffff, v6
	v_or_b32_e32 v9, 0x10000, v6
	s_delay_alu instid0(VALU_DEP_2) | instskip(NEXT) | instid1(VALU_DEP_1)
	v_cmp_eq_u32_e64 s0, 0, v7
	v_cndmask_b32_e64 v151, v9, v6, s0
; %bb.2081:                             ;   in Loop: Header=BB446_1574 Depth=1
	s_or_b32 exec_lo, exec_lo, s12
	v_cmp_lt_u64_e64 s0, s[8:9], v[2:3]
	v_mov_b32_e32 v2, 0
	s_delay_alu instid0(VALU_DEP_2)
	s_and_saveexec_b32 s12, s0
	s_cbranch_execz .LBB446_2089
; %bb.2082:                             ;   in Loop: Header=BB446_1574 Depth=1
	v_lshrrev_b32_e32 v6, 24, v3
	v_bfrev_b32_e32 v2, 1
	s_mov_b32 s13, exec_lo
	s_delay_alu instid0(VALU_DEP_2)
	v_cmpx_ne_u32_e32 0x80, v6
	s_cbranch_execz .LBB446_2088
; %bb.2083:                             ;   in Loop: Header=BB446_1574 Depth=1
	v_bfe_u32 v3, v3, 24, 7
	v_mov_b32_e32 v2, 0x7f800001
	s_mov_b32 s15, exec_lo
	s_delay_alu instid0(VALU_DEP_2)
	v_cmpx_ne_u32_e32 0x7f, v3
	s_cbranch_execz .LBB446_2087
; %bb.2084:                             ;   in Loop: Header=BB446_1574 Depth=1
	v_and_b32_e32 v9, 7, v6
	v_lshrrev_b32_e32 v7, 3, v3
	v_cmp_gt_u32_e64 s0, 8, v3
	s_delay_alu instid0(VALU_DEP_3) | instskip(NEXT) | instid1(VALU_DEP_2)
	v_dual_mov_b32 v2, v9 :: v_dual_mov_b32 v3, v10
	s_and_saveexec_b32 s16, s0
; %bb.2085:                             ;   in Loop: Header=BB446_1574 Depth=1
	v_clz_i32_u32_e32 v2, v9
	s_delay_alu instid0(VALU_DEP_1) | instskip(NEXT) | instid1(VALU_DEP_1)
	v_min_u32_e32 v7, 32, v2
	v_subrev_nc_u32_e32 v2, 28, v7
	v_sub_nc_u32_e32 v7, 29, v7
	s_delay_alu instid0(VALU_DEP_2) | instskip(NEXT) | instid1(VALU_DEP_1)
	v_lshlrev_b64 v[2:3], v2, v[9:10]
	v_and_b32_e32 v2, 7, v2
; %bb.2086:                             ;   in Loop: Header=BB446_1574 Depth=1
	s_or_b32 exec_lo, exec_lo, s16
	v_lshlrev_b32_e32 v3, 24, v6
	s_delay_alu instid0(VALU_DEP_2) | instskip(SKIP_1) | instid1(VALU_DEP_3)
	v_lshlrev_b32_e32 v2, 20, v2
	v_lshl_add_u32 v6, v7, 23, 0x3c000000
	v_and_b32_e32 v3, 0x80000000, v3
	s_delay_alu instid0(VALU_DEP_1)
	v_or3_b32 v2, v2, v3, v6
.LBB446_2087:                           ;   in Loop: Header=BB446_1574 Depth=1
	s_or_b32 exec_lo, exec_lo, s15
.LBB446_2088:                           ;   in Loop: Header=BB446_1574 Depth=1
	s_delay_alu instid0(SALU_CYCLE_1)
	s_or_b32 exec_lo, exec_lo, s13
.LBB446_2089:                           ;   in Loop: Header=BB446_1574 Depth=1
	s_delay_alu instid0(SALU_CYCLE_1) | instskip(NEXT) | instid1(VALU_DEP_1)
	s_or_b32 exec_lo, exec_lo, s12
	v_mul_f32_e32 v3, v8, v2
	s_delay_alu instid0(VALU_DEP_1) | instskip(NEXT) | instid1(VALU_DEP_1)
	v_and_b32_e32 v2, 0x7f800000, v3
	v_cmp_ne_u32_e64 s0, 0x7f800000, v2
                                        ; implicit-def: $vgpr2
	s_delay_alu instid0(VALU_DEP_1) | instskip(NEXT) | instid1(SALU_CYCLE_1)
	s_and_saveexec_b32 s12, s0
	s_xor_b32 s0, exec_lo, s12
; %bb.2090:                             ;   in Loop: Header=BB446_1574 Depth=1
	v_bfe_u32 v2, v3, 16, 1
	s_delay_alu instid0(VALU_DEP_1)
	v_add3_u32 v2, v3, v2, 0x7fff
                                        ; implicit-def: $vgpr3
; %bb.2091:                             ;   in Loop: Header=BB446_1574 Depth=1
	s_and_not1_saveexec_b32 s12, s0
; %bb.2092:                             ;   in Loop: Header=BB446_1574 Depth=1
	v_and_b32_e32 v2, 0xffff, v3
	v_or_b32_e32 v6, 0x10000, v3
	s_delay_alu instid0(VALU_DEP_2) | instskip(NEXT) | instid1(VALU_DEP_1)
	v_cmp_eq_u32_e64 s0, 0, v2
	v_cndmask_b32_e64 v2, v6, v3, s0
; %bb.2093:                             ;   in Loop: Header=BB446_1574 Depth=1
	s_or_b32 exec_lo, exec_lo, s12
	v_lshrrev_b32_e32 v6, 16, v150
	v_lshrrev_b32_e32 v7, 16, v39
	v_lshrrev_b32_e32 v9, 16, v37
	v_lshrrev_b32_e32 v21, 16, v21
	v_lshrrev_b32_e32 v5, 16, v5
	v_lshrrev_b32_e32 v4, 16, v4
	v_lshrrev_b32_e32 v3, 16, v151
	v_lshrrev_b32_e32 v2, 16, v2
	s_and_saveexec_b32 s12, vcc_lo
	s_cbranch_execz .LBB446_2095
; %bb.2094:                             ;   in Loop: Header=BB446_1574 Depth=1
	v_cmp_lt_i32_e64 s0, v86, v38
	s_delay_alu instid0(VALU_DEP_1) | instskip(SKIP_1) | instid1(VALU_DEP_1)
	v_cndmask_b32_e64 v4, 0, v4, s0
	v_cmp_lt_i32_e64 s0, v101, v38
	v_cndmask_b32_e64 v5, 0, v5, s0
	v_cmp_lt_i32_e64 s0, v100, v38
	s_delay_alu instid0(VALU_DEP_1) | instskip(SKIP_1) | instid1(VALU_DEP_1)
	v_cndmask_b32_e64 v21, 0, v21, s0
	v_cmp_lt_i32_e64 s0, v99, v38
	v_cndmask_b32_e64 v9, 0, v9, s0
	;; [unrolled: 5-line block ×4, first 2 shown]
.LBB446_2095:                           ;   in Loop: Header=BB446_1574 Depth=1
	s_or_b32 exec_lo, exec_lo, s12
	v_lshlrev_b32_e32 v4, 16, v4
                                        ; implicit-def: $vgpr150
	s_delay_alu instid0(VALU_DEP_1) | instskip(NEXT) | instid1(VALU_DEP_1)
	v_mul_f32_e32 v4, v102, v4
	v_and_b32_e32 v37, 0x7f800000, v4
	s_delay_alu instid0(VALU_DEP_1) | instskip(NEXT) | instid1(VALU_DEP_1)
	v_cmp_ne_u32_e64 s0, 0x7f800000, v37
	s_and_saveexec_b32 s12, s0
	s_delay_alu instid0(SALU_CYCLE_1)
	s_xor_b32 s0, exec_lo, s12
; %bb.2096:                             ;   in Loop: Header=BB446_1574 Depth=1
	v_bfe_u32 v37, v4, 16, 1
	s_delay_alu instid0(VALU_DEP_1)
	v_add3_u32 v150, v4, v37, 0x7fff
                                        ; implicit-def: $vgpr4
; %bb.2097:                             ;   in Loop: Header=BB446_1574 Depth=1
	s_and_not1_saveexec_b32 s12, s0
; %bb.2098:                             ;   in Loop: Header=BB446_1574 Depth=1
	v_and_b32_e32 v37, 0xffff, v4
	v_or_b32_e32 v39, 0x10000, v4
	s_delay_alu instid0(VALU_DEP_2) | instskip(NEXT) | instid1(VALU_DEP_1)
	v_cmp_eq_u32_e64 s0, 0, v37
	v_cndmask_b32_e64 v150, v39, v4, s0
; %bb.2099:                             ;   in Loop: Header=BB446_1574 Depth=1
	s_or_b32 exec_lo, exec_lo, s12
	v_lshlrev_b32_e32 v4, 16, v5
                                        ; implicit-def: $vgpr151
	s_delay_alu instid0(VALU_DEP_1) | instskip(NEXT) | instid1(VALU_DEP_1)
	v_mul_f32_e32 v4, v103, v4
	v_and_b32_e32 v5, 0x7f800000, v4
	s_delay_alu instid0(VALU_DEP_1) | instskip(NEXT) | instid1(VALU_DEP_1)
	v_cmp_ne_u32_e64 s0, 0x7f800000, v5
	s_and_saveexec_b32 s12, s0
	s_delay_alu instid0(SALU_CYCLE_1)
	s_xor_b32 s0, exec_lo, s12
; %bb.2100:                             ;   in Loop: Header=BB446_1574 Depth=1
	v_bfe_u32 v5, v4, 16, 1
	s_delay_alu instid0(VALU_DEP_1)
	v_add3_u32 v151, v4, v5, 0x7fff
                                        ; implicit-def: $vgpr4
; %bb.2101:                             ;   in Loop: Header=BB446_1574 Depth=1
	s_and_not1_saveexec_b32 s12, s0
; %bb.2102:                             ;   in Loop: Header=BB446_1574 Depth=1
	v_and_b32_e32 v5, 0xffff, v4
	v_or_b32_e32 v37, 0x10000, v4
	s_delay_alu instid0(VALU_DEP_2) | instskip(NEXT) | instid1(VALU_DEP_1)
	v_cmp_eq_u32_e64 s0, 0, v5
	v_cndmask_b32_e64 v151, v37, v4, s0
; %bb.2103:                             ;   in Loop: Header=BB446_1574 Depth=1
	s_or_b32 exec_lo, exec_lo, s12
	v_lshlrev_b32_e32 v4, 16, v21
                                        ; implicit-def: $vgpr160
	s_delay_alu instid0(VALU_DEP_1) | instskip(NEXT) | instid1(VALU_DEP_1)
	v_mul_f32_e32 v4, v112, v4
	v_and_b32_e32 v5, 0x7f800000, v4
	s_delay_alu instid0(VALU_DEP_1) | instskip(NEXT) | instid1(VALU_DEP_1)
	v_cmp_ne_u32_e64 s0, 0x7f800000, v5
	s_and_saveexec_b32 s12, s0
	s_delay_alu instid0(SALU_CYCLE_1)
	s_xor_b32 s0, exec_lo, s12
; %bb.2104:                             ;   in Loop: Header=BB446_1574 Depth=1
	v_bfe_u32 v5, v4, 16, 1
	s_delay_alu instid0(VALU_DEP_1)
	v_add3_u32 v160, v4, v5, 0x7fff
                                        ; implicit-def: $vgpr4
; %bb.2105:                             ;   in Loop: Header=BB446_1574 Depth=1
	s_and_not1_saveexec_b32 s12, s0
; %bb.2106:                             ;   in Loop: Header=BB446_1574 Depth=1
	v_and_b32_e32 v5, 0xffff, v4
	v_or_b32_e32 v21, 0x10000, v4
	s_delay_alu instid0(VALU_DEP_2) | instskip(NEXT) | instid1(VALU_DEP_1)
	v_cmp_eq_u32_e64 s0, 0, v5
	v_cndmask_b32_e64 v160, v21, v4, s0
; %bb.2107:                             ;   in Loop: Header=BB446_1574 Depth=1
	s_or_b32 exec_lo, exec_lo, s12
	v_lshlrev_b32_e32 v4, 16, v9
                                        ; implicit-def: $vgpr161
	s_delay_alu instid0(VALU_DEP_1) | instskip(NEXT) | instid1(VALU_DEP_1)
	v_mul_f32_e32 v4, v113, v4
	v_and_b32_e32 v5, 0x7f800000, v4
	s_delay_alu instid0(VALU_DEP_1) | instskip(NEXT) | instid1(VALU_DEP_1)
	v_cmp_ne_u32_e64 s0, 0x7f800000, v5
	s_and_saveexec_b32 s12, s0
	s_delay_alu instid0(SALU_CYCLE_1)
	s_xor_b32 s0, exec_lo, s12
; %bb.2108:                             ;   in Loop: Header=BB446_1574 Depth=1
	v_bfe_u32 v5, v4, 16, 1
	s_delay_alu instid0(VALU_DEP_1)
	v_add3_u32 v161, v4, v5, 0x7fff
                                        ; implicit-def: $vgpr4
; %bb.2109:                             ;   in Loop: Header=BB446_1574 Depth=1
	s_and_not1_saveexec_b32 s12, s0
; %bb.2110:                             ;   in Loop: Header=BB446_1574 Depth=1
	v_and_b32_e32 v5, 0xffff, v4
	v_or_b32_e32 v9, 0x10000, v4
	s_delay_alu instid0(VALU_DEP_2) | instskip(NEXT) | instid1(VALU_DEP_1)
	v_cmp_eq_u32_e64 s0, 0, v5
	v_cndmask_b32_e64 v161, v9, v4, s0
; %bb.2111:                             ;   in Loop: Header=BB446_1574 Depth=1
	s_or_b32 exec_lo, exec_lo, s12
	v_lshlrev_b32_e32 v4, 16, v7
                                        ; implicit-def: $vgpr162
	s_delay_alu instid0(VALU_DEP_1) | instskip(NEXT) | instid1(VALU_DEP_1)
	v_mul_f32_e32 v4, v114, v4
	v_and_b32_e32 v5, 0x7f800000, v4
	s_delay_alu instid0(VALU_DEP_1) | instskip(NEXT) | instid1(VALU_DEP_1)
	v_cmp_ne_u32_e64 s0, 0x7f800000, v5
	s_and_saveexec_b32 s12, s0
	s_delay_alu instid0(SALU_CYCLE_1)
	s_xor_b32 s0, exec_lo, s12
; %bb.2112:                             ;   in Loop: Header=BB446_1574 Depth=1
	v_bfe_u32 v5, v4, 16, 1
	s_delay_alu instid0(VALU_DEP_1)
	v_add3_u32 v162, v4, v5, 0x7fff
                                        ; implicit-def: $vgpr4
; %bb.2113:                             ;   in Loop: Header=BB446_1574 Depth=1
	s_and_not1_saveexec_b32 s12, s0
; %bb.2114:                             ;   in Loop: Header=BB446_1574 Depth=1
	v_and_b32_e32 v5, 0xffff, v4
	v_or_b32_e32 v7, 0x10000, v4
	s_delay_alu instid0(VALU_DEP_2) | instskip(NEXT) | instid1(VALU_DEP_1)
	v_cmp_eq_u32_e64 s0, 0, v5
	v_cndmask_b32_e64 v162, v7, v4, s0
; %bb.2115:                             ;   in Loop: Header=BB446_1574 Depth=1
	s_or_b32 exec_lo, exec_lo, s12
	v_lshlrev_b32_e32 v4, 16, v6
                                        ; implicit-def: $vgpr163
	s_delay_alu instid0(VALU_DEP_1) | instskip(NEXT) | instid1(VALU_DEP_1)
	v_mul_f32_e32 v4, v115, v4
	v_and_b32_e32 v5, 0x7f800000, v4
	s_delay_alu instid0(VALU_DEP_1) | instskip(NEXT) | instid1(VALU_DEP_1)
	v_cmp_ne_u32_e64 s0, 0x7f800000, v5
	s_and_saveexec_b32 s12, s0
	s_delay_alu instid0(SALU_CYCLE_1)
	s_xor_b32 s0, exec_lo, s12
; %bb.2116:                             ;   in Loop: Header=BB446_1574 Depth=1
	v_bfe_u32 v5, v4, 16, 1
	s_delay_alu instid0(VALU_DEP_1)
	v_add3_u32 v163, v4, v5, 0x7fff
                                        ; implicit-def: $vgpr4
; %bb.2117:                             ;   in Loop: Header=BB446_1574 Depth=1
	s_and_not1_saveexec_b32 s12, s0
; %bb.2118:                             ;   in Loop: Header=BB446_1574 Depth=1
	v_and_b32_e32 v5, 0xffff, v4
	v_or_b32_e32 v6, 0x10000, v4
	s_delay_alu instid0(VALU_DEP_2) | instskip(NEXT) | instid1(VALU_DEP_1)
	v_cmp_eq_u32_e64 s0, 0, v5
	v_cndmask_b32_e64 v163, v6, v4, s0
; %bb.2119:                             ;   in Loop: Header=BB446_1574 Depth=1
	s_or_b32 exec_lo, exec_lo, s12
	v_lshlrev_b32_e32 v3, 16, v3
                                        ; implicit-def: $vgpr164
	s_delay_alu instid0(VALU_DEP_1) | instskip(NEXT) | instid1(VALU_DEP_1)
	v_mul_f32_e32 v3, v116, v3
	v_and_b32_e32 v4, 0x7f800000, v3
	s_delay_alu instid0(VALU_DEP_1) | instskip(NEXT) | instid1(VALU_DEP_1)
	v_cmp_ne_u32_e64 s0, 0x7f800000, v4
	s_and_saveexec_b32 s12, s0
	s_delay_alu instid0(SALU_CYCLE_1)
	s_xor_b32 s0, exec_lo, s12
; %bb.2120:                             ;   in Loop: Header=BB446_1574 Depth=1
	v_bfe_u32 v4, v3, 16, 1
	s_delay_alu instid0(VALU_DEP_1)
	v_add3_u32 v164, v3, v4, 0x7fff
                                        ; implicit-def: $vgpr3
; %bb.2121:                             ;   in Loop: Header=BB446_1574 Depth=1
	s_and_not1_saveexec_b32 s12, s0
; %bb.2122:                             ;   in Loop: Header=BB446_1574 Depth=1
	v_and_b32_e32 v4, 0xffff, v3
	v_or_b32_e32 v5, 0x10000, v3
	s_delay_alu instid0(VALU_DEP_2) | instskip(NEXT) | instid1(VALU_DEP_1)
	v_cmp_eq_u32_e64 s0, 0, v4
	v_cndmask_b32_e64 v164, v5, v3, s0
; %bb.2123:                             ;   in Loop: Header=BB446_1574 Depth=1
	s_or_b32 exec_lo, exec_lo, s12
	v_lshlrev_b32_e32 v2, 16, v2
                                        ; implicit-def: $vgpr165
	s_delay_alu instid0(VALU_DEP_1) | instskip(NEXT) | instid1(VALU_DEP_1)
	v_mul_f32_e32 v2, v117, v2
	v_and_b32_e32 v3, 0x7f800000, v2
	s_delay_alu instid0(VALU_DEP_1) | instskip(NEXT) | instid1(VALU_DEP_1)
	v_cmp_ne_u32_e64 s0, 0x7f800000, v3
	s_and_saveexec_b32 s12, s0
	s_delay_alu instid0(SALU_CYCLE_1)
	s_xor_b32 s0, exec_lo, s12
; %bb.2124:                             ;   in Loop: Header=BB446_1574 Depth=1
	v_bfe_u32 v3, v2, 16, 1
	s_delay_alu instid0(VALU_DEP_1)
	v_add3_u32 v165, v2, v3, 0x7fff
                                        ; implicit-def: $vgpr2
; %bb.2125:                             ;   in Loop: Header=BB446_1574 Depth=1
	s_and_not1_saveexec_b32 s12, s0
; %bb.2126:                             ;   in Loop: Header=BB446_1574 Depth=1
	v_and_b32_e32 v3, 0xffff, v2
	v_or_b32_e32 v4, 0x10000, v2
	s_delay_alu instid0(VALU_DEP_2) | instskip(NEXT) | instid1(VALU_DEP_1)
	v_cmp_eq_u32_e64 s0, 0, v3
	v_cndmask_b32_e64 v165, v4, v2, s0
; %bb.2127:                             ;   in Loop: Header=BB446_1574 Depth=1
	s_or_b32 exec_lo, exec_lo, s12
	flat_load_b64 v[2:3], v[0:1] offset:1024
	s_mov_b32 s12, exec_lo
	s_waitcnt vmcnt(0) lgkmcnt(0)
	v_dual_mov_b32 v4, 0 :: v_dual_and_b32 v5, 0xff, v2
	s_delay_alu instid0(VALU_DEP_1)
	v_cmpx_ne_u16_e32 0, v5
	s_cbranch_execz .LBB446_2135
; %bb.2128:                             ;   in Loop: Header=BB446_1574 Depth=1
	v_bfrev_b32_e32 v4, 1
	s_mov_b32 s13, exec_lo
	v_cmpx_ne_u16_e32 0x80, v5
	s_cbranch_execz .LBB446_2134
; %bb.2129:                             ;   in Loop: Header=BB446_1574 Depth=1
	v_and_b32_e32 v5, 0x7f, v2
	v_mov_b32_e32 v4, 0x7f800001
	s_mov_b32 s15, exec_lo
	s_delay_alu instid0(VALU_DEP_2)
	v_cmpx_ne_u32_e32 0x7f, v5
	s_cbranch_execz .LBB446_2133
; %bb.2130:                             ;   in Loop: Header=BB446_1574 Depth=1
	v_lshrrev_b32_e32 v4, 3, v5
	v_dual_mov_b32 v7, v3 :: v_dual_mov_b32 v6, v2
	s_mov_b32 s16, exec_lo
	v_cmpx_gt_u32_e32 8, v5
; %bb.2131:                             ;   in Loop: Header=BB446_1574 Depth=1
	v_and_b32_e32 v4, 7, v2
	s_delay_alu instid0(VALU_DEP_1) | instskip(NEXT) | instid1(VALU_DEP_1)
	v_clz_i32_u32_e32 v4, v4
	v_min_u32_e32 v4, 32, v4
	s_delay_alu instid0(VALU_DEP_1) | instskip(SKIP_1) | instid1(VALU_DEP_2)
	v_subrev_nc_u32_e32 v5, 28, v4
	v_sub_nc_u32_e32 v4, 29, v4
	v_lshlrev_b64 v[6:7], v5, v[2:3]
; %bb.2132:                             ;   in Loop: Header=BB446_1574 Depth=1
	s_or_b32 exec_lo, exec_lo, s16
	s_delay_alu instid0(VALU_DEP_1) | instskip(SKIP_2) | instid1(VALU_DEP_3)
	v_lshlrev_b32_e32 v5, 20, v6
	v_lshlrev_b32_e32 v6, 24, v2
	v_lshl_add_u32 v4, v4, 23, 0x3c000000
	v_and_b32_e32 v5, 0x700000, v5
	s_delay_alu instid0(VALU_DEP_3) | instskip(NEXT) | instid1(VALU_DEP_1)
	v_and_b32_e32 v6, 0x80000000, v6
	v_or3_b32 v4, v5, v6, v4
.LBB446_2133:                           ;   in Loop: Header=BB446_1574 Depth=1
	s_or_b32 exec_lo, exec_lo, s15
.LBB446_2134:                           ;   in Loop: Header=BB446_1574 Depth=1
	s_delay_alu instid0(SALU_CYCLE_1)
	s_or_b32 exec_lo, exec_lo, s13
.LBB446_2135:                           ;   in Loop: Header=BB446_1574 Depth=1
	s_delay_alu instid0(SALU_CYCLE_1) | instskip(NEXT) | instid1(VALU_DEP_1)
	s_or_b32 exec_lo, exec_lo, s12
	v_mul_f32_e32 v5, v8, v4
	s_delay_alu instid0(VALU_DEP_1) | instskip(NEXT) | instid1(VALU_DEP_1)
	v_and_b32_e32 v4, 0x7f800000, v5
	v_cmp_ne_u32_e64 s0, 0x7f800000, v4
                                        ; implicit-def: $vgpr4
	s_delay_alu instid0(VALU_DEP_1) | instskip(NEXT) | instid1(SALU_CYCLE_1)
	s_and_saveexec_b32 s12, s0
	s_xor_b32 s0, exec_lo, s12
; %bb.2136:                             ;   in Loop: Header=BB446_1574 Depth=1
	v_bfe_u32 v4, v5, 16, 1
	s_delay_alu instid0(VALU_DEP_1)
	v_add3_u32 v4, v5, v4, 0x7fff
                                        ; implicit-def: $vgpr5
; %bb.2137:                             ;   in Loop: Header=BB446_1574 Depth=1
	s_and_not1_saveexec_b32 s12, s0
; %bb.2138:                             ;   in Loop: Header=BB446_1574 Depth=1
	v_and_b32_e32 v4, 0xffff, v5
	v_or_b32_e32 v6, 0x10000, v5
	s_delay_alu instid0(VALU_DEP_2) | instskip(NEXT) | instid1(VALU_DEP_1)
	v_cmp_eq_u32_e64 s0, 0, v4
	v_cndmask_b32_e64 v4, v6, v5, s0
; %bb.2139:                             ;   in Loop: Header=BB446_1574 Depth=1
	s_or_b32 exec_lo, exec_lo, s12
	v_lshrrev_b16 v6, 8, v2
	v_mov_b32_e32 v5, 0
	s_mov_b32 s12, exec_lo
	s_delay_alu instid0(VALU_DEP_2)
	v_cmpx_ne_u16_e32 0, v6
	s_cbranch_execz .LBB446_2147
; %bb.2140:                             ;   in Loop: Header=BB446_1574 Depth=1
	v_bfrev_b32_e32 v5, 1
	s_mov_b32 s13, exec_lo
	v_cmpx_ne_u16_e32 0x80, v6
	s_cbranch_execz .LBB446_2146
; %bb.2141:                             ;   in Loop: Header=BB446_1574 Depth=1
	v_and_b32_e32 v7, 0xffff, v6
	v_mov_b32_e32 v5, 0x7f800001
	s_mov_b32 s15, exec_lo
	s_delay_alu instid0(VALU_DEP_2) | instskip(NEXT) | instid1(VALU_DEP_1)
	v_and_b32_e32 v6, 0x7f, v7
	v_cmpx_ne_u32_e32 0x7f, v6
	s_cbranch_execz .LBB446_2145
; %bb.2142:                             ;   in Loop: Header=BB446_1574 Depth=1
	v_and_b32_e32 v9, 7, v7
	v_lshrrev_b32_e32 v5, 3, v6
	v_cmp_gt_u32_e64 s0, 8, v6
	s_delay_alu instid0(VALU_DEP_3) | instskip(NEXT) | instid1(VALU_DEP_2)
	v_dual_mov_b32 v6, v9 :: v_dual_mov_b32 v7, v10
	s_and_saveexec_b32 s16, s0
; %bb.2143:                             ;   in Loop: Header=BB446_1574 Depth=1
	v_clz_i32_u32_e32 v5, v9
	s_delay_alu instid0(VALU_DEP_1) | instskip(NEXT) | instid1(VALU_DEP_1)
	v_min_u32_e32 v5, 32, v5
	v_subrev_nc_u32_e32 v6, 28, v5
	v_sub_nc_u32_e32 v5, 29, v5
	s_delay_alu instid0(VALU_DEP_2) | instskip(NEXT) | instid1(VALU_DEP_1)
	v_lshlrev_b64 v[6:7], v6, v[9:10]
	v_and_b32_e32 v6, 7, v6
; %bb.2144:                             ;   in Loop: Header=BB446_1574 Depth=1
	s_or_b32 exec_lo, exec_lo, s16
	v_lshlrev_b32_e32 v7, 16, v2
	s_delay_alu instid0(VALU_DEP_2) | instskip(SKIP_1) | instid1(VALU_DEP_3)
	v_lshlrev_b32_e32 v6, 20, v6
	v_lshl_add_u32 v5, v5, 23, 0x3c000000
	v_and_b32_e32 v7, 0x80000000, v7
	s_delay_alu instid0(VALU_DEP_1)
	v_or3_b32 v5, v6, v7, v5
.LBB446_2145:                           ;   in Loop: Header=BB446_1574 Depth=1
	s_or_b32 exec_lo, exec_lo, s15
.LBB446_2146:                           ;   in Loop: Header=BB446_1574 Depth=1
	s_delay_alu instid0(SALU_CYCLE_1)
	s_or_b32 exec_lo, exec_lo, s13
.LBB446_2147:                           ;   in Loop: Header=BB446_1574 Depth=1
	s_delay_alu instid0(SALU_CYCLE_1) | instskip(NEXT) | instid1(VALU_DEP_1)
	s_or_b32 exec_lo, exec_lo, s12
	v_mul_f32_e32 v6, v8, v5
	s_delay_alu instid0(VALU_DEP_1) | instskip(NEXT) | instid1(VALU_DEP_1)
	v_and_b32_e32 v5, 0x7f800000, v6
	v_cmp_ne_u32_e64 s0, 0x7f800000, v5
                                        ; implicit-def: $vgpr5
	s_delay_alu instid0(VALU_DEP_1) | instskip(NEXT) | instid1(SALU_CYCLE_1)
	s_and_saveexec_b32 s12, s0
	s_xor_b32 s0, exec_lo, s12
; %bb.2148:                             ;   in Loop: Header=BB446_1574 Depth=1
	v_bfe_u32 v5, v6, 16, 1
	s_delay_alu instid0(VALU_DEP_1)
	v_add3_u32 v5, v6, v5, 0x7fff
                                        ; implicit-def: $vgpr6
; %bb.2149:                             ;   in Loop: Header=BB446_1574 Depth=1
	s_and_not1_saveexec_b32 s12, s0
; %bb.2150:                             ;   in Loop: Header=BB446_1574 Depth=1
	v_and_b32_e32 v5, 0xffff, v6
	v_or_b32_e32 v7, 0x10000, v6
	s_delay_alu instid0(VALU_DEP_2) | instskip(NEXT) | instid1(VALU_DEP_1)
	v_cmp_eq_u32_e64 s0, 0, v5
	v_cndmask_b32_e64 v5, v7, v6, s0
; %bb.2151:                             ;   in Loop: Header=BB446_1574 Depth=1
	s_or_b32 exec_lo, exec_lo, s12
	v_lshrrev_b32_e32 v21, 16, v2
	s_mov_b32 s12, exec_lo
	s_delay_alu instid0(VALU_DEP_1) | instskip(NEXT) | instid1(VALU_DEP_1)
	v_dual_mov_b32 v6, 0 :: v_dual_and_b32 v7, 0xff, v21
	v_cmpx_ne_u16_e32 0, v7
	s_cbranch_execz .LBB446_2159
; %bb.2152:                             ;   in Loop: Header=BB446_1574 Depth=1
	v_bfrev_b32_e32 v6, 1
	s_mov_b32 s13, exec_lo
	v_cmpx_ne_u16_e32 0x80, v7
	s_cbranch_execz .LBB446_2158
; %bb.2153:                             ;   in Loop: Header=BB446_1574 Depth=1
	v_bfe_u32 v7, v2, 16, 7
	v_mov_b32_e32 v6, 0x7f800001
	s_mov_b32 s15, exec_lo
	s_delay_alu instid0(VALU_DEP_2)
	v_cmpx_ne_u32_e32 0x7f, v7
	s_cbranch_execz .LBB446_2157
; %bb.2154:                             ;   in Loop: Header=BB446_1574 Depth=1
	v_and_b32_e32 v9, 7, v21
	v_lshrrev_b32_e32 v37, 3, v7
	v_cmp_gt_u32_e64 s0, 8, v7
	s_delay_alu instid0(VALU_DEP_3) | instskip(NEXT) | instid1(VALU_DEP_2)
	v_dual_mov_b32 v6, v9 :: v_dual_mov_b32 v7, v10
	s_and_saveexec_b32 s16, s0
; %bb.2155:                             ;   in Loop: Header=BB446_1574 Depth=1
	v_clz_i32_u32_e32 v6, v9
	s_delay_alu instid0(VALU_DEP_1) | instskip(NEXT) | instid1(VALU_DEP_1)
	v_min_u32_e32 v37, 32, v6
	v_subrev_nc_u32_e32 v6, 28, v37
	v_sub_nc_u32_e32 v37, 29, v37
	s_delay_alu instid0(VALU_DEP_2) | instskip(NEXT) | instid1(VALU_DEP_1)
	v_lshlrev_b64 v[6:7], v6, v[9:10]
	v_and_b32_e32 v6, 7, v6
; %bb.2156:                             ;   in Loop: Header=BB446_1574 Depth=1
	s_or_b32 exec_lo, exec_lo, s16
	v_lshlrev_b32_e32 v7, 24, v21
	s_delay_alu instid0(VALU_DEP_2) | instskip(SKIP_1) | instid1(VALU_DEP_3)
	v_lshlrev_b32_e32 v6, 20, v6
	v_lshl_add_u32 v9, v37, 23, 0x3c000000
	v_and_b32_e32 v7, 0x80000000, v7
	s_delay_alu instid0(VALU_DEP_1)
	v_or3_b32 v6, v6, v7, v9
.LBB446_2157:                           ;   in Loop: Header=BB446_1574 Depth=1
	s_or_b32 exec_lo, exec_lo, s15
.LBB446_2158:                           ;   in Loop: Header=BB446_1574 Depth=1
	s_delay_alu instid0(SALU_CYCLE_1)
	s_or_b32 exec_lo, exec_lo, s13
.LBB446_2159:                           ;   in Loop: Header=BB446_1574 Depth=1
	s_delay_alu instid0(SALU_CYCLE_1) | instskip(NEXT) | instid1(VALU_DEP_1)
	s_or_b32 exec_lo, exec_lo, s12
	v_mul_f32_e32 v6, v8, v6
                                        ; implicit-def: $vgpr21
	s_delay_alu instid0(VALU_DEP_1) | instskip(NEXT) | instid1(VALU_DEP_1)
	v_and_b32_e32 v7, 0x7f800000, v6
	v_cmp_ne_u32_e64 s0, 0x7f800000, v7
	s_delay_alu instid0(VALU_DEP_1) | instskip(NEXT) | instid1(SALU_CYCLE_1)
	s_and_saveexec_b32 s12, s0
	s_xor_b32 s0, exec_lo, s12
; %bb.2160:                             ;   in Loop: Header=BB446_1574 Depth=1
	v_bfe_u32 v7, v6, 16, 1
	s_delay_alu instid0(VALU_DEP_1)
	v_add3_u32 v21, v6, v7, 0x7fff
                                        ; implicit-def: $vgpr6
; %bb.2161:                             ;   in Loop: Header=BB446_1574 Depth=1
	s_and_not1_saveexec_b32 s12, s0
; %bb.2162:                             ;   in Loop: Header=BB446_1574 Depth=1
	v_and_b32_e32 v7, 0xffff, v6
	v_or_b32_e32 v9, 0x10000, v6
	s_delay_alu instid0(VALU_DEP_2) | instskip(NEXT) | instid1(VALU_DEP_1)
	v_cmp_eq_u32_e64 s0, 0, v7
	v_cndmask_b32_e64 v21, v9, v6, s0
; %bb.2163:                             ;   in Loop: Header=BB446_1574 Depth=1
	s_or_b32 exec_lo, exec_lo, s12
	v_mov_b32_e32 v6, 0
	s_mov_b32 s12, exec_lo
	v_cmpx_lt_u32_e32 0xffffff, v2
	s_cbranch_execz .LBB446_2171
; %bb.2164:                             ;   in Loop: Header=BB446_1574 Depth=1
	v_lshrrev_b32_e32 v37, 24, v2
	v_bfrev_b32_e32 v6, 1
	s_mov_b32 s13, exec_lo
	s_delay_alu instid0(VALU_DEP_2)
	v_cmpx_ne_u32_e32 0x80, v37
	s_cbranch_execz .LBB446_2170
; %bb.2165:                             ;   in Loop: Header=BB446_1574 Depth=1
	v_bfe_u32 v7, v2, 24, 7
	v_mov_b32_e32 v6, 0x7f800001
	s_mov_b32 s15, exec_lo
	s_delay_alu instid0(VALU_DEP_2)
	v_cmpx_ne_u32_e32 0x7f, v7
	s_cbranch_execz .LBB446_2169
; %bb.2166:                             ;   in Loop: Header=BB446_1574 Depth=1
	v_and_b32_e32 v9, 7, v37
	v_lshrrev_b32_e32 v39, 3, v7
	v_cmp_gt_u32_e64 s0, 8, v7
	s_delay_alu instid0(VALU_DEP_3) | instskip(NEXT) | instid1(VALU_DEP_2)
	v_dual_mov_b32 v6, v9 :: v_dual_mov_b32 v7, v10
	s_and_saveexec_b32 s16, s0
; %bb.2167:                             ;   in Loop: Header=BB446_1574 Depth=1
	v_clz_i32_u32_e32 v6, v9
	s_delay_alu instid0(VALU_DEP_1) | instskip(NEXT) | instid1(VALU_DEP_1)
	v_min_u32_e32 v39, 32, v6
	v_subrev_nc_u32_e32 v6, 28, v39
	v_sub_nc_u32_e32 v39, 29, v39
	s_delay_alu instid0(VALU_DEP_2) | instskip(NEXT) | instid1(VALU_DEP_1)
	v_lshlrev_b64 v[6:7], v6, v[9:10]
	v_and_b32_e32 v6, 7, v6
; %bb.2168:                             ;   in Loop: Header=BB446_1574 Depth=1
	s_or_b32 exec_lo, exec_lo, s16
	v_lshlrev_b32_e32 v7, 24, v37
	s_delay_alu instid0(VALU_DEP_2) | instskip(SKIP_1) | instid1(VALU_DEP_3)
	v_lshlrev_b32_e32 v6, 20, v6
	v_lshl_add_u32 v9, v39, 23, 0x3c000000
	v_and_b32_e32 v7, 0x80000000, v7
	s_delay_alu instid0(VALU_DEP_1)
	v_or3_b32 v6, v6, v7, v9
.LBB446_2169:                           ;   in Loop: Header=BB446_1574 Depth=1
	s_or_b32 exec_lo, exec_lo, s15
.LBB446_2170:                           ;   in Loop: Header=BB446_1574 Depth=1
	s_delay_alu instid0(SALU_CYCLE_1)
	s_or_b32 exec_lo, exec_lo, s13
.LBB446_2171:                           ;   in Loop: Header=BB446_1574 Depth=1
	s_delay_alu instid0(SALU_CYCLE_1) | instskip(NEXT) | instid1(VALU_DEP_1)
	s_or_b32 exec_lo, exec_lo, s12
	v_mul_f32_e32 v6, v8, v6
                                        ; implicit-def: $vgpr37
	s_delay_alu instid0(VALU_DEP_1) | instskip(NEXT) | instid1(VALU_DEP_1)
	v_and_b32_e32 v7, 0x7f800000, v6
	v_cmp_ne_u32_e64 s0, 0x7f800000, v7
	s_delay_alu instid0(VALU_DEP_1) | instskip(NEXT) | instid1(SALU_CYCLE_1)
	s_and_saveexec_b32 s12, s0
	s_xor_b32 s0, exec_lo, s12
; %bb.2172:                             ;   in Loop: Header=BB446_1574 Depth=1
	v_bfe_u32 v7, v6, 16, 1
	s_delay_alu instid0(VALU_DEP_1)
	v_add3_u32 v37, v6, v7, 0x7fff
                                        ; implicit-def: $vgpr6
; %bb.2173:                             ;   in Loop: Header=BB446_1574 Depth=1
	s_and_not1_saveexec_b32 s12, s0
; %bb.2174:                             ;   in Loop: Header=BB446_1574 Depth=1
	v_and_b32_e32 v7, 0xffff, v6
	v_or_b32_e32 v9, 0x10000, v6
	s_delay_alu instid0(VALU_DEP_2) | instskip(NEXT) | instid1(VALU_DEP_1)
	v_cmp_eq_u32_e64 s0, 0, v7
	v_cndmask_b32_e64 v37, v9, v6, s0
; %bb.2175:                             ;   in Loop: Header=BB446_1574 Depth=1
	s_or_b32 exec_lo, exec_lo, s12
	v_dual_mov_b32 v6, 0 :: v_dual_and_b32 v7, 0xff, v3
	v_mov_b32_e32 v9, v3
	s_mov_b32 s12, exec_lo
	s_delay_alu instid0(VALU_DEP_2)
	v_cmpx_ne_u16_e32 0, v7
	s_cbranch_execz .LBB446_2183
; %bb.2176:                             ;   in Loop: Header=BB446_1574 Depth=1
	v_bfrev_b32_e32 v6, 1
	s_mov_b32 s13, exec_lo
	v_cmpx_ne_u16_e32 0x80, v7
	s_cbranch_execz .LBB446_2182
; %bb.2177:                             ;   in Loop: Header=BB446_1574 Depth=1
	v_and_b32_e32 v7, 0x7f, v3
	v_mov_b32_e32 v6, 0x7f800001
	s_mov_b32 s15, exec_lo
	s_delay_alu instid0(VALU_DEP_2)
	v_cmpx_ne_u32_e32 0x7f, v7
	s_cbranch_execz .LBB446_2181
; %bb.2178:                             ;   in Loop: Header=BB446_1574 Depth=1
	v_lshrrev_b32_e32 v39, 3, v7
	v_cmp_gt_u32_e64 s0, 8, v7
	v_dual_mov_b32 v6, v9 :: v_dual_mov_b32 v7, v10
	s_delay_alu instid0(VALU_DEP_2)
	s_and_saveexec_b32 s16, s0
; %bb.2179:                             ;   in Loop: Header=BB446_1574 Depth=1
	v_and_b32_e32 v6, 7, v3
	s_delay_alu instid0(VALU_DEP_1) | instskip(NEXT) | instid1(VALU_DEP_1)
	v_clz_i32_u32_e32 v6, v6
	v_min_u32_e32 v39, 32, v6
	s_delay_alu instid0(VALU_DEP_1) | instskip(SKIP_1) | instid1(VALU_DEP_2)
	v_subrev_nc_u32_e32 v6, 28, v39
	v_sub_nc_u32_e32 v39, 29, v39
	v_lshlrev_b64 v[6:7], v6, v[9:10]
; %bb.2180:                             ;   in Loop: Header=BB446_1574 Depth=1
	s_or_b32 exec_lo, exec_lo, s16
	s_delay_alu instid0(VALU_DEP_1) | instskip(SKIP_2) | instid1(VALU_DEP_3)
	v_lshlrev_b32_e32 v6, 20, v6
	v_lshlrev_b32_e32 v7, 24, v9
	v_lshl_add_u32 v39, v39, 23, 0x3c000000
	v_and_b32_e32 v6, 0x700000, v6
	s_delay_alu instid0(VALU_DEP_3) | instskip(NEXT) | instid1(VALU_DEP_1)
	v_and_b32_e32 v7, 0x80000000, v7
	v_or3_b32 v6, v6, v7, v39
.LBB446_2181:                           ;   in Loop: Header=BB446_1574 Depth=1
	s_or_b32 exec_lo, exec_lo, s15
.LBB446_2182:                           ;   in Loop: Header=BB446_1574 Depth=1
	s_delay_alu instid0(SALU_CYCLE_1)
	s_or_b32 exec_lo, exec_lo, s13
.LBB446_2183:                           ;   in Loop: Header=BB446_1574 Depth=1
	s_delay_alu instid0(SALU_CYCLE_1) | instskip(NEXT) | instid1(VALU_DEP_1)
	s_or_b32 exec_lo, exec_lo, s12
	v_mul_f32_e32 v6, v8, v6
                                        ; implicit-def: $vgpr39
	s_delay_alu instid0(VALU_DEP_1) | instskip(NEXT) | instid1(VALU_DEP_1)
	v_and_b32_e32 v7, 0x7f800000, v6
	v_cmp_ne_u32_e64 s0, 0x7f800000, v7
	s_delay_alu instid0(VALU_DEP_1) | instskip(NEXT) | instid1(SALU_CYCLE_1)
	s_and_saveexec_b32 s12, s0
	s_xor_b32 s0, exec_lo, s12
; %bb.2184:                             ;   in Loop: Header=BB446_1574 Depth=1
	v_bfe_u32 v7, v6, 16, 1
	s_delay_alu instid0(VALU_DEP_1)
	v_add3_u32 v39, v6, v7, 0x7fff
                                        ; implicit-def: $vgpr6
; %bb.2185:                             ;   in Loop: Header=BB446_1574 Depth=1
	s_and_not1_saveexec_b32 s12, s0
; %bb.2186:                             ;   in Loop: Header=BB446_1574 Depth=1
	v_and_b32_e32 v7, 0xffff, v6
	v_or_b32_e32 v39, 0x10000, v6
	s_delay_alu instid0(VALU_DEP_2) | instskip(NEXT) | instid1(VALU_DEP_1)
	v_cmp_eq_u32_e64 s0, 0, v7
	v_cndmask_b32_e64 v39, v39, v6, s0
; %bb.2187:                             ;   in Loop: Header=BB446_1574 Depth=1
	s_or_b32 exec_lo, exec_lo, s12
	v_lshrrev_b16 v7, 8, v9
	v_mov_b32_e32 v6, 0
	s_mov_b32 s12, exec_lo
	s_delay_alu instid0(VALU_DEP_2)
	v_cmpx_ne_u16_e32 0, v7
	s_cbranch_execz .LBB446_2195
; %bb.2188:                             ;   in Loop: Header=BB446_1574 Depth=1
	v_bfrev_b32_e32 v6, 1
	s_mov_b32 s13, exec_lo
	v_cmpx_ne_u16_e32 0x80, v7
	s_cbranch_execz .LBB446_2194
; %bb.2189:                             ;   in Loop: Header=BB446_1574 Depth=1
	v_and_b32_e32 v7, 0xffff, v7
	v_mov_b32_e32 v6, 0x7f800001
	s_mov_b32 s15, exec_lo
	s_delay_alu instid0(VALU_DEP_2) | instskip(NEXT) | instid1(VALU_DEP_1)
	v_and_b32_e32 v167, 0x7f, v7
	v_cmpx_ne_u32_e32 0x7f, v167
	s_cbranch_execz .LBB446_2193
; %bb.2190:                             ;   in Loop: Header=BB446_1574 Depth=1
	v_dual_mov_b32 v7, v10 :: v_dual_and_b32 v6, 7, v7
	v_lshrrev_b32_e32 v166, 3, v167
	s_mov_b32 s16, exec_lo
	v_cmpx_gt_u32_e32 8, v167
; %bb.2191:                             ;   in Loop: Header=BB446_1574 Depth=1
	s_delay_alu instid0(VALU_DEP_3) | instskip(NEXT) | instid1(VALU_DEP_1)
	v_clz_i32_u32_e32 v166, v6
	v_min_u32_e32 v166, 32, v166
	s_delay_alu instid0(VALU_DEP_1) | instskip(SKIP_1) | instid1(VALU_DEP_2)
	v_subrev_nc_u32_e32 v167, 28, v166
	v_sub_nc_u32_e32 v166, 29, v166
	v_lshlrev_b64 v[6:7], v167, v[6:7]
	s_delay_alu instid0(VALU_DEP_1)
	v_and_b32_e32 v6, 7, v6
; %bb.2192:                             ;   in Loop: Header=BB446_1574 Depth=1
	s_or_b32 exec_lo, exec_lo, s16
	v_lshlrev_b32_e32 v7, 16, v9
	s_delay_alu instid0(VALU_DEP_2) | instskip(SKIP_1) | instid1(VALU_DEP_3)
	v_lshlrev_b32_e32 v6, 20, v6
	v_lshl_add_u32 v9, v166, 23, 0x3c000000
	v_and_b32_e32 v7, 0x80000000, v7
	s_delay_alu instid0(VALU_DEP_1)
	v_or3_b32 v6, v6, v7, v9
.LBB446_2193:                           ;   in Loop: Header=BB446_1574 Depth=1
	s_or_b32 exec_lo, exec_lo, s15
.LBB446_2194:                           ;   in Loop: Header=BB446_1574 Depth=1
	s_delay_alu instid0(SALU_CYCLE_1)
	s_or_b32 exec_lo, exec_lo, s13
.LBB446_2195:                           ;   in Loop: Header=BB446_1574 Depth=1
	s_delay_alu instid0(SALU_CYCLE_1) | instskip(NEXT) | instid1(VALU_DEP_1)
	s_or_b32 exec_lo, exec_lo, s12
	v_mul_f32_e32 v6, v8, v6
                                        ; implicit-def: $vgpr166
	s_delay_alu instid0(VALU_DEP_1) | instskip(NEXT) | instid1(VALU_DEP_1)
	v_and_b32_e32 v7, 0x7f800000, v6
	v_cmp_ne_u32_e64 s0, 0x7f800000, v7
	s_delay_alu instid0(VALU_DEP_1) | instskip(NEXT) | instid1(SALU_CYCLE_1)
	s_and_saveexec_b32 s12, s0
	s_xor_b32 s0, exec_lo, s12
; %bb.2196:                             ;   in Loop: Header=BB446_1574 Depth=1
	v_bfe_u32 v7, v6, 16, 1
	s_delay_alu instid0(VALU_DEP_1)
	v_add3_u32 v166, v6, v7, 0x7fff
                                        ; implicit-def: $vgpr6
; %bb.2197:                             ;   in Loop: Header=BB446_1574 Depth=1
	s_and_not1_saveexec_b32 s12, s0
; %bb.2198:                             ;   in Loop: Header=BB446_1574 Depth=1
	v_and_b32_e32 v7, 0xffff, v6
	v_or_b32_e32 v9, 0x10000, v6
	s_delay_alu instid0(VALU_DEP_2) | instskip(NEXT) | instid1(VALU_DEP_1)
	v_cmp_eq_u32_e64 s0, 0, v7
	v_cndmask_b32_e64 v166, v9, v6, s0
; %bb.2199:                             ;   in Loop: Header=BB446_1574 Depth=1
	s_or_b32 exec_lo, exec_lo, s12
	v_lshrrev_b32_e32 v167, 16, v3
	s_mov_b32 s12, exec_lo
	s_delay_alu instid0(VALU_DEP_1) | instskip(NEXT) | instid1(VALU_DEP_1)
	v_dual_mov_b32 v6, 0 :: v_dual_and_b32 v7, 0xff, v167
	v_cmpx_ne_u16_e32 0, v7
	s_cbranch_execz .LBB446_2207
; %bb.2200:                             ;   in Loop: Header=BB446_1574 Depth=1
	v_bfrev_b32_e32 v6, 1
	s_mov_b32 s13, exec_lo
	v_cmpx_ne_u16_e32 0x80, v7
	s_cbranch_execz .LBB446_2206
; %bb.2201:                             ;   in Loop: Header=BB446_1574 Depth=1
	v_bfe_u32 v7, v3, 16, 7
	v_mov_b32_e32 v6, 0x7f800001
	s_mov_b32 s15, exec_lo
	s_delay_alu instid0(VALU_DEP_2)
	v_cmpx_ne_u32_e32 0x7f, v7
	s_cbranch_execz .LBB446_2205
; %bb.2202:                             ;   in Loop: Header=BB446_1574 Depth=1
	v_and_b32_e32 v9, 7, v167
	v_lshrrev_b32_e32 v176, 3, v7
	v_cmp_gt_u32_e64 s0, 8, v7
	s_delay_alu instid0(VALU_DEP_3) | instskip(NEXT) | instid1(VALU_DEP_2)
	v_dual_mov_b32 v6, v9 :: v_dual_mov_b32 v7, v10
	s_and_saveexec_b32 s16, s0
; %bb.2203:                             ;   in Loop: Header=BB446_1574 Depth=1
	v_clz_i32_u32_e32 v6, v9
	s_delay_alu instid0(VALU_DEP_1) | instskip(NEXT) | instid1(VALU_DEP_1)
	v_min_u32_e32 v176, 32, v6
	v_subrev_nc_u32_e32 v6, 28, v176
	v_sub_nc_u32_e32 v176, 29, v176
	s_delay_alu instid0(VALU_DEP_2) | instskip(NEXT) | instid1(VALU_DEP_1)
	v_lshlrev_b64 v[6:7], v6, v[9:10]
	v_and_b32_e32 v6, 7, v6
; %bb.2204:                             ;   in Loop: Header=BB446_1574 Depth=1
	s_or_b32 exec_lo, exec_lo, s16
	v_lshlrev_b32_e32 v7, 24, v167
	s_delay_alu instid0(VALU_DEP_2) | instskip(SKIP_1) | instid1(VALU_DEP_3)
	v_lshlrev_b32_e32 v6, 20, v6
	v_lshl_add_u32 v9, v176, 23, 0x3c000000
	v_and_b32_e32 v7, 0x80000000, v7
	s_delay_alu instid0(VALU_DEP_1)
	v_or3_b32 v6, v6, v7, v9
.LBB446_2205:                           ;   in Loop: Header=BB446_1574 Depth=1
	s_or_b32 exec_lo, exec_lo, s15
.LBB446_2206:                           ;   in Loop: Header=BB446_1574 Depth=1
	s_delay_alu instid0(SALU_CYCLE_1)
	s_or_b32 exec_lo, exec_lo, s13
.LBB446_2207:                           ;   in Loop: Header=BB446_1574 Depth=1
	s_delay_alu instid0(SALU_CYCLE_1) | instskip(NEXT) | instid1(VALU_DEP_1)
	s_or_b32 exec_lo, exec_lo, s12
	v_mul_f32_e32 v6, v8, v6
                                        ; implicit-def: $vgpr167
	s_delay_alu instid0(VALU_DEP_1) | instskip(NEXT) | instid1(VALU_DEP_1)
	v_and_b32_e32 v7, 0x7f800000, v6
	v_cmp_ne_u32_e64 s0, 0x7f800000, v7
	s_delay_alu instid0(VALU_DEP_1) | instskip(NEXT) | instid1(SALU_CYCLE_1)
	s_and_saveexec_b32 s12, s0
	s_xor_b32 s0, exec_lo, s12
; %bb.2208:                             ;   in Loop: Header=BB446_1574 Depth=1
	v_bfe_u32 v7, v6, 16, 1
	s_delay_alu instid0(VALU_DEP_1)
	v_add3_u32 v167, v6, v7, 0x7fff
                                        ; implicit-def: $vgpr6
; %bb.2209:                             ;   in Loop: Header=BB446_1574 Depth=1
	s_and_not1_saveexec_b32 s12, s0
; %bb.2210:                             ;   in Loop: Header=BB446_1574 Depth=1
	v_and_b32_e32 v7, 0xffff, v6
	v_or_b32_e32 v9, 0x10000, v6
	s_delay_alu instid0(VALU_DEP_2) | instskip(NEXT) | instid1(VALU_DEP_1)
	v_cmp_eq_u32_e64 s0, 0, v7
	v_cndmask_b32_e64 v167, v9, v6, s0
; %bb.2211:                             ;   in Loop: Header=BB446_1574 Depth=1
	s_or_b32 exec_lo, exec_lo, s12
	v_cmp_lt_u64_e64 s0, s[8:9], v[2:3]
	v_mov_b32_e32 v2, 0
	s_delay_alu instid0(VALU_DEP_2)
	s_and_saveexec_b32 s12, s0
	s_cbranch_execz .LBB446_2219
; %bb.2212:                             ;   in Loop: Header=BB446_1574 Depth=1
	v_lshrrev_b32_e32 v6, 24, v3
	v_bfrev_b32_e32 v2, 1
	s_mov_b32 s13, exec_lo
	s_delay_alu instid0(VALU_DEP_2)
	v_cmpx_ne_u32_e32 0x80, v6
	s_cbranch_execz .LBB446_2218
; %bb.2213:                             ;   in Loop: Header=BB446_1574 Depth=1
	v_bfe_u32 v3, v3, 24, 7
	v_mov_b32_e32 v2, 0x7f800001
	s_mov_b32 s15, exec_lo
	s_delay_alu instid0(VALU_DEP_2)
	v_cmpx_ne_u32_e32 0x7f, v3
	s_cbranch_execz .LBB446_2217
; %bb.2214:                             ;   in Loop: Header=BB446_1574 Depth=1
	v_and_b32_e32 v9, 7, v6
	v_lshrrev_b32_e32 v7, 3, v3
	v_cmp_gt_u32_e64 s0, 8, v3
	s_delay_alu instid0(VALU_DEP_3) | instskip(NEXT) | instid1(VALU_DEP_2)
	v_dual_mov_b32 v2, v9 :: v_dual_mov_b32 v3, v10
	s_and_saveexec_b32 s16, s0
; %bb.2215:                             ;   in Loop: Header=BB446_1574 Depth=1
	v_clz_i32_u32_e32 v2, v9
	s_delay_alu instid0(VALU_DEP_1) | instskip(NEXT) | instid1(VALU_DEP_1)
	v_min_u32_e32 v7, 32, v2
	v_subrev_nc_u32_e32 v2, 28, v7
	v_sub_nc_u32_e32 v7, 29, v7
	s_delay_alu instid0(VALU_DEP_2) | instskip(NEXT) | instid1(VALU_DEP_1)
	v_lshlrev_b64 v[2:3], v2, v[9:10]
	v_and_b32_e32 v2, 7, v2
; %bb.2216:                             ;   in Loop: Header=BB446_1574 Depth=1
	s_or_b32 exec_lo, exec_lo, s16
	v_lshlrev_b32_e32 v3, 24, v6
	s_delay_alu instid0(VALU_DEP_2) | instskip(SKIP_1) | instid1(VALU_DEP_3)
	v_lshlrev_b32_e32 v2, 20, v2
	v_lshl_add_u32 v6, v7, 23, 0x3c000000
	v_and_b32_e32 v3, 0x80000000, v3
	s_delay_alu instid0(VALU_DEP_1)
	v_or3_b32 v2, v2, v3, v6
.LBB446_2217:                           ;   in Loop: Header=BB446_1574 Depth=1
	s_or_b32 exec_lo, exec_lo, s15
.LBB446_2218:                           ;   in Loop: Header=BB446_1574 Depth=1
	s_delay_alu instid0(SALU_CYCLE_1)
	s_or_b32 exec_lo, exec_lo, s13
.LBB446_2219:                           ;   in Loop: Header=BB446_1574 Depth=1
	s_delay_alu instid0(SALU_CYCLE_1) | instskip(NEXT) | instid1(VALU_DEP_1)
	s_or_b32 exec_lo, exec_lo, s12
	v_mul_f32_e32 v3, v8, v2
	s_delay_alu instid0(VALU_DEP_1) | instskip(NEXT) | instid1(VALU_DEP_1)
	v_and_b32_e32 v2, 0x7f800000, v3
	v_cmp_ne_u32_e64 s0, 0x7f800000, v2
                                        ; implicit-def: $vgpr2
	s_delay_alu instid0(VALU_DEP_1) | instskip(NEXT) | instid1(SALU_CYCLE_1)
	s_and_saveexec_b32 s12, s0
	s_xor_b32 s0, exec_lo, s12
; %bb.2220:                             ;   in Loop: Header=BB446_1574 Depth=1
	v_bfe_u32 v2, v3, 16, 1
	s_delay_alu instid0(VALU_DEP_1)
	v_add3_u32 v2, v3, v2, 0x7fff
                                        ; implicit-def: $vgpr3
; %bb.2221:                             ;   in Loop: Header=BB446_1574 Depth=1
	s_and_not1_saveexec_b32 s12, s0
; %bb.2222:                             ;   in Loop: Header=BB446_1574 Depth=1
	v_and_b32_e32 v2, 0xffff, v3
	v_or_b32_e32 v6, 0x10000, v3
	s_delay_alu instid0(VALU_DEP_2) | instskip(NEXT) | instid1(VALU_DEP_1)
	v_cmp_eq_u32_e64 s0, 0, v2
	v_cndmask_b32_e64 v2, v6, v3, s0
; %bb.2223:                             ;   in Loop: Header=BB446_1574 Depth=1
	s_or_b32 exec_lo, exec_lo, s12
	v_lshrrev_b32_e32 v6, 16, v166
	v_lshrrev_b32_e32 v7, 16, v39
	;; [unrolled: 1-line block ×8, first 2 shown]
	s_and_saveexec_b32 s12, vcc_lo
	s_cbranch_execz .LBB446_2225
; %bb.2224:                             ;   in Loop: Header=BB446_1574 Depth=1
	v_cmp_lt_i32_e64 s0, v86, v38
	s_delay_alu instid0(VALU_DEP_1) | instskip(SKIP_1) | instid1(VALU_DEP_1)
	v_cndmask_b32_e64 v4, 0, v4, s0
	v_cmp_lt_i32_e64 s0, v101, v38
	v_cndmask_b32_e64 v5, 0, v5, s0
	v_cmp_lt_i32_e64 s0, v100, v38
	s_delay_alu instid0(VALU_DEP_1) | instskip(SKIP_1) | instid1(VALU_DEP_1)
	v_cndmask_b32_e64 v21, 0, v21, s0
	v_cmp_lt_i32_e64 s0, v99, v38
	v_cndmask_b32_e64 v9, 0, v9, s0
	;; [unrolled: 5-line block ×4, first 2 shown]
.LBB446_2225:                           ;   in Loop: Header=BB446_1574 Depth=1
	s_or_b32 exec_lo, exec_lo, s12
	v_lshlrev_b32_e32 v4, 16, v4
                                        ; implicit-def: $vgpr166
	s_delay_alu instid0(VALU_DEP_1) | instskip(NEXT) | instid1(VALU_DEP_1)
	v_mul_f32_e32 v4, v102, v4
	v_and_b32_e32 v37, 0x7f800000, v4
	s_delay_alu instid0(VALU_DEP_1) | instskip(NEXT) | instid1(VALU_DEP_1)
	v_cmp_ne_u32_e64 s0, 0x7f800000, v37
	s_and_saveexec_b32 s12, s0
	s_delay_alu instid0(SALU_CYCLE_1)
	s_xor_b32 s0, exec_lo, s12
; %bb.2226:                             ;   in Loop: Header=BB446_1574 Depth=1
	v_bfe_u32 v37, v4, 16, 1
	s_delay_alu instid0(VALU_DEP_1)
	v_add3_u32 v166, v4, v37, 0x7fff
                                        ; implicit-def: $vgpr4
; %bb.2227:                             ;   in Loop: Header=BB446_1574 Depth=1
	s_and_not1_saveexec_b32 s12, s0
; %bb.2228:                             ;   in Loop: Header=BB446_1574 Depth=1
	v_and_b32_e32 v37, 0xffff, v4
	v_or_b32_e32 v39, 0x10000, v4
	s_delay_alu instid0(VALU_DEP_2) | instskip(NEXT) | instid1(VALU_DEP_1)
	v_cmp_eq_u32_e64 s0, 0, v37
	v_cndmask_b32_e64 v166, v39, v4, s0
; %bb.2229:                             ;   in Loop: Header=BB446_1574 Depth=1
	s_or_b32 exec_lo, exec_lo, s12
	v_lshlrev_b32_e32 v4, 16, v5
                                        ; implicit-def: $vgpr167
	s_delay_alu instid0(VALU_DEP_1) | instskip(NEXT) | instid1(VALU_DEP_1)
	v_mul_f32_e32 v4, v103, v4
	v_and_b32_e32 v5, 0x7f800000, v4
	s_delay_alu instid0(VALU_DEP_1) | instskip(NEXT) | instid1(VALU_DEP_1)
	v_cmp_ne_u32_e64 s0, 0x7f800000, v5
	s_and_saveexec_b32 s12, s0
	s_delay_alu instid0(SALU_CYCLE_1)
	s_xor_b32 s0, exec_lo, s12
; %bb.2230:                             ;   in Loop: Header=BB446_1574 Depth=1
	v_bfe_u32 v5, v4, 16, 1
	s_delay_alu instid0(VALU_DEP_1)
	v_add3_u32 v167, v4, v5, 0x7fff
                                        ; implicit-def: $vgpr4
; %bb.2231:                             ;   in Loop: Header=BB446_1574 Depth=1
	s_and_not1_saveexec_b32 s12, s0
; %bb.2232:                             ;   in Loop: Header=BB446_1574 Depth=1
	v_and_b32_e32 v5, 0xffff, v4
	v_or_b32_e32 v37, 0x10000, v4
	s_delay_alu instid0(VALU_DEP_2) | instskip(NEXT) | instid1(VALU_DEP_1)
	v_cmp_eq_u32_e64 s0, 0, v5
	v_cndmask_b32_e64 v167, v37, v4, s0
; %bb.2233:                             ;   in Loop: Header=BB446_1574 Depth=1
	s_or_b32 exec_lo, exec_lo, s12
	v_lshlrev_b32_e32 v4, 16, v21
                                        ; implicit-def: $vgpr176
	s_delay_alu instid0(VALU_DEP_1) | instskip(NEXT) | instid1(VALU_DEP_1)
	v_mul_f32_e32 v4, v112, v4
	v_and_b32_e32 v5, 0x7f800000, v4
	s_delay_alu instid0(VALU_DEP_1) | instskip(NEXT) | instid1(VALU_DEP_1)
	v_cmp_ne_u32_e64 s0, 0x7f800000, v5
	s_and_saveexec_b32 s12, s0
	s_delay_alu instid0(SALU_CYCLE_1)
	s_xor_b32 s0, exec_lo, s12
; %bb.2234:                             ;   in Loop: Header=BB446_1574 Depth=1
	v_bfe_u32 v5, v4, 16, 1
	s_delay_alu instid0(VALU_DEP_1)
	v_add3_u32 v176, v4, v5, 0x7fff
                                        ; implicit-def: $vgpr4
; %bb.2235:                             ;   in Loop: Header=BB446_1574 Depth=1
	s_and_not1_saveexec_b32 s12, s0
; %bb.2236:                             ;   in Loop: Header=BB446_1574 Depth=1
	v_and_b32_e32 v5, 0xffff, v4
	v_or_b32_e32 v21, 0x10000, v4
	s_delay_alu instid0(VALU_DEP_2) | instskip(NEXT) | instid1(VALU_DEP_1)
	v_cmp_eq_u32_e64 s0, 0, v5
	v_cndmask_b32_e64 v176, v21, v4, s0
; %bb.2237:                             ;   in Loop: Header=BB446_1574 Depth=1
	s_or_b32 exec_lo, exec_lo, s12
	v_lshlrev_b32_e32 v4, 16, v9
                                        ; implicit-def: $vgpr177
	s_delay_alu instid0(VALU_DEP_1) | instskip(NEXT) | instid1(VALU_DEP_1)
	v_mul_f32_e32 v4, v113, v4
	v_and_b32_e32 v5, 0x7f800000, v4
	s_delay_alu instid0(VALU_DEP_1) | instskip(NEXT) | instid1(VALU_DEP_1)
	v_cmp_ne_u32_e64 s0, 0x7f800000, v5
	s_and_saveexec_b32 s12, s0
	s_delay_alu instid0(SALU_CYCLE_1)
	s_xor_b32 s0, exec_lo, s12
; %bb.2238:                             ;   in Loop: Header=BB446_1574 Depth=1
	v_bfe_u32 v5, v4, 16, 1
	s_delay_alu instid0(VALU_DEP_1)
	v_add3_u32 v177, v4, v5, 0x7fff
                                        ; implicit-def: $vgpr4
; %bb.2239:                             ;   in Loop: Header=BB446_1574 Depth=1
	s_and_not1_saveexec_b32 s12, s0
; %bb.2240:                             ;   in Loop: Header=BB446_1574 Depth=1
	v_and_b32_e32 v5, 0xffff, v4
	v_or_b32_e32 v9, 0x10000, v4
	s_delay_alu instid0(VALU_DEP_2) | instskip(NEXT) | instid1(VALU_DEP_1)
	v_cmp_eq_u32_e64 s0, 0, v5
	v_cndmask_b32_e64 v177, v9, v4, s0
; %bb.2241:                             ;   in Loop: Header=BB446_1574 Depth=1
	s_or_b32 exec_lo, exec_lo, s12
	v_lshlrev_b32_e32 v4, 16, v7
                                        ; implicit-def: $vgpr178
	s_delay_alu instid0(VALU_DEP_1) | instskip(NEXT) | instid1(VALU_DEP_1)
	v_mul_f32_e32 v4, v114, v4
	v_and_b32_e32 v5, 0x7f800000, v4
	s_delay_alu instid0(VALU_DEP_1) | instskip(NEXT) | instid1(VALU_DEP_1)
	v_cmp_ne_u32_e64 s0, 0x7f800000, v5
	s_and_saveexec_b32 s12, s0
	s_delay_alu instid0(SALU_CYCLE_1)
	s_xor_b32 s0, exec_lo, s12
; %bb.2242:                             ;   in Loop: Header=BB446_1574 Depth=1
	v_bfe_u32 v5, v4, 16, 1
	s_delay_alu instid0(VALU_DEP_1)
	v_add3_u32 v178, v4, v5, 0x7fff
                                        ; implicit-def: $vgpr4
; %bb.2243:                             ;   in Loop: Header=BB446_1574 Depth=1
	s_and_not1_saveexec_b32 s12, s0
; %bb.2244:                             ;   in Loop: Header=BB446_1574 Depth=1
	v_and_b32_e32 v5, 0xffff, v4
	v_or_b32_e32 v7, 0x10000, v4
	s_delay_alu instid0(VALU_DEP_2) | instskip(NEXT) | instid1(VALU_DEP_1)
	v_cmp_eq_u32_e64 s0, 0, v5
	v_cndmask_b32_e64 v178, v7, v4, s0
; %bb.2245:                             ;   in Loop: Header=BB446_1574 Depth=1
	s_or_b32 exec_lo, exec_lo, s12
	v_lshlrev_b32_e32 v4, 16, v6
                                        ; implicit-def: $vgpr179
	s_delay_alu instid0(VALU_DEP_1) | instskip(NEXT) | instid1(VALU_DEP_1)
	v_mul_f32_e32 v4, v115, v4
	v_and_b32_e32 v5, 0x7f800000, v4
	s_delay_alu instid0(VALU_DEP_1) | instskip(NEXT) | instid1(VALU_DEP_1)
	v_cmp_ne_u32_e64 s0, 0x7f800000, v5
	s_and_saveexec_b32 s12, s0
	s_delay_alu instid0(SALU_CYCLE_1)
	s_xor_b32 s0, exec_lo, s12
; %bb.2246:                             ;   in Loop: Header=BB446_1574 Depth=1
	v_bfe_u32 v5, v4, 16, 1
	s_delay_alu instid0(VALU_DEP_1)
	v_add3_u32 v179, v4, v5, 0x7fff
                                        ; implicit-def: $vgpr4
; %bb.2247:                             ;   in Loop: Header=BB446_1574 Depth=1
	s_and_not1_saveexec_b32 s12, s0
; %bb.2248:                             ;   in Loop: Header=BB446_1574 Depth=1
	v_and_b32_e32 v5, 0xffff, v4
	v_or_b32_e32 v6, 0x10000, v4
	s_delay_alu instid0(VALU_DEP_2) | instskip(NEXT) | instid1(VALU_DEP_1)
	v_cmp_eq_u32_e64 s0, 0, v5
	v_cndmask_b32_e64 v179, v6, v4, s0
; %bb.2249:                             ;   in Loop: Header=BB446_1574 Depth=1
	s_or_b32 exec_lo, exec_lo, s12
	v_lshlrev_b32_e32 v3, 16, v3
                                        ; implicit-def: $vgpr180
	s_delay_alu instid0(VALU_DEP_1) | instskip(NEXT) | instid1(VALU_DEP_1)
	v_mul_f32_e32 v3, v116, v3
	v_and_b32_e32 v4, 0x7f800000, v3
	s_delay_alu instid0(VALU_DEP_1) | instskip(NEXT) | instid1(VALU_DEP_1)
	v_cmp_ne_u32_e64 s0, 0x7f800000, v4
	s_and_saveexec_b32 s12, s0
	s_delay_alu instid0(SALU_CYCLE_1)
	s_xor_b32 s0, exec_lo, s12
; %bb.2250:                             ;   in Loop: Header=BB446_1574 Depth=1
	v_bfe_u32 v4, v3, 16, 1
	s_delay_alu instid0(VALU_DEP_1)
	v_add3_u32 v180, v3, v4, 0x7fff
                                        ; implicit-def: $vgpr3
; %bb.2251:                             ;   in Loop: Header=BB446_1574 Depth=1
	s_and_not1_saveexec_b32 s12, s0
; %bb.2252:                             ;   in Loop: Header=BB446_1574 Depth=1
	v_and_b32_e32 v4, 0xffff, v3
	v_or_b32_e32 v5, 0x10000, v3
	s_delay_alu instid0(VALU_DEP_2) | instskip(NEXT) | instid1(VALU_DEP_1)
	v_cmp_eq_u32_e64 s0, 0, v4
	v_cndmask_b32_e64 v180, v5, v3, s0
; %bb.2253:                             ;   in Loop: Header=BB446_1574 Depth=1
	s_or_b32 exec_lo, exec_lo, s12
	v_lshlrev_b32_e32 v2, 16, v2
                                        ; implicit-def: $vgpr181
	s_delay_alu instid0(VALU_DEP_1) | instskip(NEXT) | instid1(VALU_DEP_1)
	v_mul_f32_e32 v2, v117, v2
	v_and_b32_e32 v3, 0x7f800000, v2
	s_delay_alu instid0(VALU_DEP_1) | instskip(NEXT) | instid1(VALU_DEP_1)
	v_cmp_ne_u32_e64 s0, 0x7f800000, v3
	s_and_saveexec_b32 s12, s0
	s_delay_alu instid0(SALU_CYCLE_1)
	s_xor_b32 s0, exec_lo, s12
; %bb.2254:                             ;   in Loop: Header=BB446_1574 Depth=1
	v_bfe_u32 v3, v2, 16, 1
	s_delay_alu instid0(VALU_DEP_1)
	v_add3_u32 v181, v2, v3, 0x7fff
                                        ; implicit-def: $vgpr2
; %bb.2255:                             ;   in Loop: Header=BB446_1574 Depth=1
	s_and_not1_saveexec_b32 s12, s0
; %bb.2256:                             ;   in Loop: Header=BB446_1574 Depth=1
	v_and_b32_e32 v3, 0xffff, v2
	v_or_b32_e32 v4, 0x10000, v2
	s_delay_alu instid0(VALU_DEP_2) | instskip(NEXT) | instid1(VALU_DEP_1)
	v_cmp_eq_u32_e64 s0, 0, v3
	v_cndmask_b32_e64 v181, v4, v2, s0
; %bb.2257:                             ;   in Loop: Header=BB446_1574 Depth=1
	s_or_b32 exec_lo, exec_lo, s12
	flat_load_b64 v[2:3], v[0:1] offset:1280
	s_mov_b32 s12, exec_lo
	s_waitcnt vmcnt(0) lgkmcnt(0)
	v_dual_mov_b32 v4, 0 :: v_dual_and_b32 v5, 0xff, v2
	s_delay_alu instid0(VALU_DEP_1)
	v_cmpx_ne_u16_e32 0, v5
	s_cbranch_execz .LBB446_2265
; %bb.2258:                             ;   in Loop: Header=BB446_1574 Depth=1
	v_bfrev_b32_e32 v4, 1
	s_mov_b32 s13, exec_lo
	v_cmpx_ne_u16_e32 0x80, v5
	s_cbranch_execz .LBB446_2264
; %bb.2259:                             ;   in Loop: Header=BB446_1574 Depth=1
	v_and_b32_e32 v5, 0x7f, v2
	v_mov_b32_e32 v4, 0x7f800001
	s_mov_b32 s15, exec_lo
	s_delay_alu instid0(VALU_DEP_2)
	v_cmpx_ne_u32_e32 0x7f, v5
	s_cbranch_execz .LBB446_2263
; %bb.2260:                             ;   in Loop: Header=BB446_1574 Depth=1
	v_lshrrev_b32_e32 v4, 3, v5
	v_dual_mov_b32 v7, v3 :: v_dual_mov_b32 v6, v2
	s_mov_b32 s16, exec_lo
	v_cmpx_gt_u32_e32 8, v5
; %bb.2261:                             ;   in Loop: Header=BB446_1574 Depth=1
	v_and_b32_e32 v4, 7, v2
	s_delay_alu instid0(VALU_DEP_1) | instskip(NEXT) | instid1(VALU_DEP_1)
	v_clz_i32_u32_e32 v4, v4
	v_min_u32_e32 v4, 32, v4
	s_delay_alu instid0(VALU_DEP_1) | instskip(SKIP_1) | instid1(VALU_DEP_2)
	v_subrev_nc_u32_e32 v5, 28, v4
	v_sub_nc_u32_e32 v4, 29, v4
	v_lshlrev_b64 v[6:7], v5, v[2:3]
; %bb.2262:                             ;   in Loop: Header=BB446_1574 Depth=1
	s_or_b32 exec_lo, exec_lo, s16
	s_delay_alu instid0(VALU_DEP_1) | instskip(SKIP_2) | instid1(VALU_DEP_3)
	v_lshlrev_b32_e32 v5, 20, v6
	v_lshlrev_b32_e32 v6, 24, v2
	v_lshl_add_u32 v4, v4, 23, 0x3c000000
	v_and_b32_e32 v5, 0x700000, v5
	s_delay_alu instid0(VALU_DEP_3) | instskip(NEXT) | instid1(VALU_DEP_1)
	v_and_b32_e32 v6, 0x80000000, v6
	v_or3_b32 v4, v5, v6, v4
.LBB446_2263:                           ;   in Loop: Header=BB446_1574 Depth=1
	s_or_b32 exec_lo, exec_lo, s15
.LBB446_2264:                           ;   in Loop: Header=BB446_1574 Depth=1
	s_delay_alu instid0(SALU_CYCLE_1)
	s_or_b32 exec_lo, exec_lo, s13
.LBB446_2265:                           ;   in Loop: Header=BB446_1574 Depth=1
	s_delay_alu instid0(SALU_CYCLE_1) | instskip(NEXT) | instid1(VALU_DEP_1)
	s_or_b32 exec_lo, exec_lo, s12
	v_mul_f32_e32 v5, v8, v4
	s_delay_alu instid0(VALU_DEP_1) | instskip(NEXT) | instid1(VALU_DEP_1)
	v_and_b32_e32 v4, 0x7f800000, v5
	v_cmp_ne_u32_e64 s0, 0x7f800000, v4
                                        ; implicit-def: $vgpr4
	s_delay_alu instid0(VALU_DEP_1) | instskip(NEXT) | instid1(SALU_CYCLE_1)
	s_and_saveexec_b32 s12, s0
	s_xor_b32 s0, exec_lo, s12
; %bb.2266:                             ;   in Loop: Header=BB446_1574 Depth=1
	v_bfe_u32 v4, v5, 16, 1
	s_delay_alu instid0(VALU_DEP_1)
	v_add3_u32 v4, v5, v4, 0x7fff
                                        ; implicit-def: $vgpr5
; %bb.2267:                             ;   in Loop: Header=BB446_1574 Depth=1
	s_and_not1_saveexec_b32 s12, s0
; %bb.2268:                             ;   in Loop: Header=BB446_1574 Depth=1
	v_and_b32_e32 v4, 0xffff, v5
	v_or_b32_e32 v6, 0x10000, v5
	s_delay_alu instid0(VALU_DEP_2) | instskip(NEXT) | instid1(VALU_DEP_1)
	v_cmp_eq_u32_e64 s0, 0, v4
	v_cndmask_b32_e64 v4, v6, v5, s0
; %bb.2269:                             ;   in Loop: Header=BB446_1574 Depth=1
	s_or_b32 exec_lo, exec_lo, s12
	v_lshrrev_b16 v6, 8, v2
	v_mov_b32_e32 v5, 0
	s_mov_b32 s12, exec_lo
	s_delay_alu instid0(VALU_DEP_2)
	v_cmpx_ne_u16_e32 0, v6
	s_cbranch_execz .LBB446_2277
; %bb.2270:                             ;   in Loop: Header=BB446_1574 Depth=1
	v_bfrev_b32_e32 v5, 1
	s_mov_b32 s13, exec_lo
	v_cmpx_ne_u16_e32 0x80, v6
	s_cbranch_execz .LBB446_2276
; %bb.2271:                             ;   in Loop: Header=BB446_1574 Depth=1
	v_and_b32_e32 v7, 0xffff, v6
	v_mov_b32_e32 v5, 0x7f800001
	s_mov_b32 s15, exec_lo
	s_delay_alu instid0(VALU_DEP_2) | instskip(NEXT) | instid1(VALU_DEP_1)
	v_and_b32_e32 v6, 0x7f, v7
	v_cmpx_ne_u32_e32 0x7f, v6
	s_cbranch_execz .LBB446_2275
; %bb.2272:                             ;   in Loop: Header=BB446_1574 Depth=1
	v_and_b32_e32 v9, 7, v7
	v_lshrrev_b32_e32 v5, 3, v6
	v_cmp_gt_u32_e64 s0, 8, v6
	s_delay_alu instid0(VALU_DEP_3) | instskip(NEXT) | instid1(VALU_DEP_2)
	v_dual_mov_b32 v6, v9 :: v_dual_mov_b32 v7, v10
	s_and_saveexec_b32 s16, s0
; %bb.2273:                             ;   in Loop: Header=BB446_1574 Depth=1
	v_clz_i32_u32_e32 v5, v9
	s_delay_alu instid0(VALU_DEP_1) | instskip(NEXT) | instid1(VALU_DEP_1)
	v_min_u32_e32 v5, 32, v5
	v_subrev_nc_u32_e32 v6, 28, v5
	v_sub_nc_u32_e32 v5, 29, v5
	s_delay_alu instid0(VALU_DEP_2) | instskip(NEXT) | instid1(VALU_DEP_1)
	v_lshlrev_b64 v[6:7], v6, v[9:10]
	v_and_b32_e32 v6, 7, v6
; %bb.2274:                             ;   in Loop: Header=BB446_1574 Depth=1
	s_or_b32 exec_lo, exec_lo, s16
	v_lshlrev_b32_e32 v7, 16, v2
	s_delay_alu instid0(VALU_DEP_2) | instskip(SKIP_1) | instid1(VALU_DEP_3)
	v_lshlrev_b32_e32 v6, 20, v6
	v_lshl_add_u32 v5, v5, 23, 0x3c000000
	v_and_b32_e32 v7, 0x80000000, v7
	s_delay_alu instid0(VALU_DEP_1)
	v_or3_b32 v5, v6, v7, v5
.LBB446_2275:                           ;   in Loop: Header=BB446_1574 Depth=1
	s_or_b32 exec_lo, exec_lo, s15
.LBB446_2276:                           ;   in Loop: Header=BB446_1574 Depth=1
	s_delay_alu instid0(SALU_CYCLE_1)
	s_or_b32 exec_lo, exec_lo, s13
.LBB446_2277:                           ;   in Loop: Header=BB446_1574 Depth=1
	s_delay_alu instid0(SALU_CYCLE_1) | instskip(NEXT) | instid1(VALU_DEP_1)
	s_or_b32 exec_lo, exec_lo, s12
	v_mul_f32_e32 v6, v8, v5
	s_delay_alu instid0(VALU_DEP_1) | instskip(NEXT) | instid1(VALU_DEP_1)
	v_and_b32_e32 v5, 0x7f800000, v6
	v_cmp_ne_u32_e64 s0, 0x7f800000, v5
                                        ; implicit-def: $vgpr5
	s_delay_alu instid0(VALU_DEP_1) | instskip(NEXT) | instid1(SALU_CYCLE_1)
	s_and_saveexec_b32 s12, s0
	s_xor_b32 s0, exec_lo, s12
; %bb.2278:                             ;   in Loop: Header=BB446_1574 Depth=1
	v_bfe_u32 v5, v6, 16, 1
	s_delay_alu instid0(VALU_DEP_1)
	v_add3_u32 v5, v6, v5, 0x7fff
                                        ; implicit-def: $vgpr6
; %bb.2279:                             ;   in Loop: Header=BB446_1574 Depth=1
	s_and_not1_saveexec_b32 s12, s0
; %bb.2280:                             ;   in Loop: Header=BB446_1574 Depth=1
	v_and_b32_e32 v5, 0xffff, v6
	v_or_b32_e32 v7, 0x10000, v6
	s_delay_alu instid0(VALU_DEP_2) | instskip(NEXT) | instid1(VALU_DEP_1)
	v_cmp_eq_u32_e64 s0, 0, v5
	v_cndmask_b32_e64 v5, v7, v6, s0
; %bb.2281:                             ;   in Loop: Header=BB446_1574 Depth=1
	s_or_b32 exec_lo, exec_lo, s12
	v_lshrrev_b32_e32 v21, 16, v2
	s_mov_b32 s12, exec_lo
	s_delay_alu instid0(VALU_DEP_1) | instskip(NEXT) | instid1(VALU_DEP_1)
	v_dual_mov_b32 v6, 0 :: v_dual_and_b32 v7, 0xff, v21
	v_cmpx_ne_u16_e32 0, v7
	s_cbranch_execz .LBB446_2289
; %bb.2282:                             ;   in Loop: Header=BB446_1574 Depth=1
	v_bfrev_b32_e32 v6, 1
	s_mov_b32 s13, exec_lo
	v_cmpx_ne_u16_e32 0x80, v7
	s_cbranch_execz .LBB446_2288
; %bb.2283:                             ;   in Loop: Header=BB446_1574 Depth=1
	v_bfe_u32 v7, v2, 16, 7
	v_mov_b32_e32 v6, 0x7f800001
	s_mov_b32 s15, exec_lo
	s_delay_alu instid0(VALU_DEP_2)
	v_cmpx_ne_u32_e32 0x7f, v7
	s_cbranch_execz .LBB446_2287
; %bb.2284:                             ;   in Loop: Header=BB446_1574 Depth=1
	v_and_b32_e32 v9, 7, v21
	v_lshrrev_b32_e32 v37, 3, v7
	v_cmp_gt_u32_e64 s0, 8, v7
	s_delay_alu instid0(VALU_DEP_3) | instskip(NEXT) | instid1(VALU_DEP_2)
	v_dual_mov_b32 v6, v9 :: v_dual_mov_b32 v7, v10
	s_and_saveexec_b32 s16, s0
; %bb.2285:                             ;   in Loop: Header=BB446_1574 Depth=1
	v_clz_i32_u32_e32 v6, v9
	s_delay_alu instid0(VALU_DEP_1) | instskip(NEXT) | instid1(VALU_DEP_1)
	v_min_u32_e32 v37, 32, v6
	v_subrev_nc_u32_e32 v6, 28, v37
	v_sub_nc_u32_e32 v37, 29, v37
	s_delay_alu instid0(VALU_DEP_2) | instskip(NEXT) | instid1(VALU_DEP_1)
	v_lshlrev_b64 v[6:7], v6, v[9:10]
	v_and_b32_e32 v6, 7, v6
; %bb.2286:                             ;   in Loop: Header=BB446_1574 Depth=1
	s_or_b32 exec_lo, exec_lo, s16
	v_lshlrev_b32_e32 v7, 24, v21
	s_delay_alu instid0(VALU_DEP_2) | instskip(SKIP_1) | instid1(VALU_DEP_3)
	v_lshlrev_b32_e32 v6, 20, v6
	v_lshl_add_u32 v9, v37, 23, 0x3c000000
	v_and_b32_e32 v7, 0x80000000, v7
	s_delay_alu instid0(VALU_DEP_1)
	v_or3_b32 v6, v6, v7, v9
.LBB446_2287:                           ;   in Loop: Header=BB446_1574 Depth=1
	s_or_b32 exec_lo, exec_lo, s15
.LBB446_2288:                           ;   in Loop: Header=BB446_1574 Depth=1
	s_delay_alu instid0(SALU_CYCLE_1)
	s_or_b32 exec_lo, exec_lo, s13
.LBB446_2289:                           ;   in Loop: Header=BB446_1574 Depth=1
	s_delay_alu instid0(SALU_CYCLE_1) | instskip(NEXT) | instid1(VALU_DEP_1)
	s_or_b32 exec_lo, exec_lo, s12
	v_mul_f32_e32 v6, v8, v6
                                        ; implicit-def: $vgpr21
	s_delay_alu instid0(VALU_DEP_1) | instskip(NEXT) | instid1(VALU_DEP_1)
	v_and_b32_e32 v7, 0x7f800000, v6
	v_cmp_ne_u32_e64 s0, 0x7f800000, v7
	s_delay_alu instid0(VALU_DEP_1) | instskip(NEXT) | instid1(SALU_CYCLE_1)
	s_and_saveexec_b32 s12, s0
	s_xor_b32 s0, exec_lo, s12
; %bb.2290:                             ;   in Loop: Header=BB446_1574 Depth=1
	v_bfe_u32 v7, v6, 16, 1
	s_delay_alu instid0(VALU_DEP_1)
	v_add3_u32 v21, v6, v7, 0x7fff
                                        ; implicit-def: $vgpr6
; %bb.2291:                             ;   in Loop: Header=BB446_1574 Depth=1
	s_and_not1_saveexec_b32 s12, s0
; %bb.2292:                             ;   in Loop: Header=BB446_1574 Depth=1
	v_and_b32_e32 v7, 0xffff, v6
	v_or_b32_e32 v9, 0x10000, v6
	s_delay_alu instid0(VALU_DEP_2) | instskip(NEXT) | instid1(VALU_DEP_1)
	v_cmp_eq_u32_e64 s0, 0, v7
	v_cndmask_b32_e64 v21, v9, v6, s0
; %bb.2293:                             ;   in Loop: Header=BB446_1574 Depth=1
	s_or_b32 exec_lo, exec_lo, s12
	v_mov_b32_e32 v6, 0
	s_mov_b32 s12, exec_lo
	v_cmpx_lt_u32_e32 0xffffff, v2
	s_cbranch_execz .LBB446_2301
; %bb.2294:                             ;   in Loop: Header=BB446_1574 Depth=1
	v_lshrrev_b32_e32 v37, 24, v2
	v_bfrev_b32_e32 v6, 1
	s_mov_b32 s13, exec_lo
	s_delay_alu instid0(VALU_DEP_2)
	v_cmpx_ne_u32_e32 0x80, v37
	s_cbranch_execz .LBB446_2300
; %bb.2295:                             ;   in Loop: Header=BB446_1574 Depth=1
	v_bfe_u32 v7, v2, 24, 7
	v_mov_b32_e32 v6, 0x7f800001
	s_mov_b32 s15, exec_lo
	s_delay_alu instid0(VALU_DEP_2)
	v_cmpx_ne_u32_e32 0x7f, v7
	s_cbranch_execz .LBB446_2299
; %bb.2296:                             ;   in Loop: Header=BB446_1574 Depth=1
	v_and_b32_e32 v9, 7, v37
	v_lshrrev_b32_e32 v39, 3, v7
	v_cmp_gt_u32_e64 s0, 8, v7
	s_delay_alu instid0(VALU_DEP_3) | instskip(NEXT) | instid1(VALU_DEP_2)
	v_dual_mov_b32 v6, v9 :: v_dual_mov_b32 v7, v10
	s_and_saveexec_b32 s16, s0
; %bb.2297:                             ;   in Loop: Header=BB446_1574 Depth=1
	v_clz_i32_u32_e32 v6, v9
	s_delay_alu instid0(VALU_DEP_1) | instskip(NEXT) | instid1(VALU_DEP_1)
	v_min_u32_e32 v39, 32, v6
	v_subrev_nc_u32_e32 v6, 28, v39
	v_sub_nc_u32_e32 v39, 29, v39
	s_delay_alu instid0(VALU_DEP_2) | instskip(NEXT) | instid1(VALU_DEP_1)
	v_lshlrev_b64 v[6:7], v6, v[9:10]
	v_and_b32_e32 v6, 7, v6
; %bb.2298:                             ;   in Loop: Header=BB446_1574 Depth=1
	s_or_b32 exec_lo, exec_lo, s16
	v_lshlrev_b32_e32 v7, 24, v37
	s_delay_alu instid0(VALU_DEP_2) | instskip(SKIP_1) | instid1(VALU_DEP_3)
	v_lshlrev_b32_e32 v6, 20, v6
	v_lshl_add_u32 v9, v39, 23, 0x3c000000
	v_and_b32_e32 v7, 0x80000000, v7
	s_delay_alu instid0(VALU_DEP_1)
	v_or3_b32 v6, v6, v7, v9
.LBB446_2299:                           ;   in Loop: Header=BB446_1574 Depth=1
	s_or_b32 exec_lo, exec_lo, s15
.LBB446_2300:                           ;   in Loop: Header=BB446_1574 Depth=1
	s_delay_alu instid0(SALU_CYCLE_1)
	s_or_b32 exec_lo, exec_lo, s13
.LBB446_2301:                           ;   in Loop: Header=BB446_1574 Depth=1
	s_delay_alu instid0(SALU_CYCLE_1) | instskip(NEXT) | instid1(VALU_DEP_1)
	s_or_b32 exec_lo, exec_lo, s12
	v_mul_f32_e32 v6, v8, v6
                                        ; implicit-def: $vgpr37
	s_delay_alu instid0(VALU_DEP_1) | instskip(NEXT) | instid1(VALU_DEP_1)
	v_and_b32_e32 v7, 0x7f800000, v6
	v_cmp_ne_u32_e64 s0, 0x7f800000, v7
	s_delay_alu instid0(VALU_DEP_1) | instskip(NEXT) | instid1(SALU_CYCLE_1)
	s_and_saveexec_b32 s12, s0
	s_xor_b32 s0, exec_lo, s12
; %bb.2302:                             ;   in Loop: Header=BB446_1574 Depth=1
	v_bfe_u32 v7, v6, 16, 1
	s_delay_alu instid0(VALU_DEP_1)
	v_add3_u32 v37, v6, v7, 0x7fff
                                        ; implicit-def: $vgpr6
; %bb.2303:                             ;   in Loop: Header=BB446_1574 Depth=1
	s_and_not1_saveexec_b32 s12, s0
; %bb.2304:                             ;   in Loop: Header=BB446_1574 Depth=1
	v_and_b32_e32 v7, 0xffff, v6
	v_or_b32_e32 v9, 0x10000, v6
	s_delay_alu instid0(VALU_DEP_2) | instskip(NEXT) | instid1(VALU_DEP_1)
	v_cmp_eq_u32_e64 s0, 0, v7
	v_cndmask_b32_e64 v37, v9, v6, s0
; %bb.2305:                             ;   in Loop: Header=BB446_1574 Depth=1
	s_or_b32 exec_lo, exec_lo, s12
	v_dual_mov_b32 v6, 0 :: v_dual_and_b32 v7, 0xff, v3
	v_mov_b32_e32 v9, v3
	s_mov_b32 s12, exec_lo
	s_delay_alu instid0(VALU_DEP_2)
	v_cmpx_ne_u16_e32 0, v7
	s_cbranch_execz .LBB446_2313
; %bb.2306:                             ;   in Loop: Header=BB446_1574 Depth=1
	v_bfrev_b32_e32 v6, 1
	s_mov_b32 s13, exec_lo
	v_cmpx_ne_u16_e32 0x80, v7
	s_cbranch_execz .LBB446_2312
; %bb.2307:                             ;   in Loop: Header=BB446_1574 Depth=1
	v_and_b32_e32 v7, 0x7f, v3
	v_mov_b32_e32 v6, 0x7f800001
	s_mov_b32 s15, exec_lo
	s_delay_alu instid0(VALU_DEP_2)
	v_cmpx_ne_u32_e32 0x7f, v7
	s_cbranch_execz .LBB446_2311
; %bb.2308:                             ;   in Loop: Header=BB446_1574 Depth=1
	v_lshrrev_b32_e32 v39, 3, v7
	v_cmp_gt_u32_e64 s0, 8, v7
	v_dual_mov_b32 v6, v9 :: v_dual_mov_b32 v7, v10
	s_delay_alu instid0(VALU_DEP_2)
	s_and_saveexec_b32 s16, s0
; %bb.2309:                             ;   in Loop: Header=BB446_1574 Depth=1
	v_and_b32_e32 v6, 7, v3
	s_delay_alu instid0(VALU_DEP_1) | instskip(NEXT) | instid1(VALU_DEP_1)
	v_clz_i32_u32_e32 v6, v6
	v_min_u32_e32 v39, 32, v6
	s_delay_alu instid0(VALU_DEP_1) | instskip(SKIP_1) | instid1(VALU_DEP_2)
	v_subrev_nc_u32_e32 v6, 28, v39
	v_sub_nc_u32_e32 v39, 29, v39
	v_lshlrev_b64 v[6:7], v6, v[9:10]
; %bb.2310:                             ;   in Loop: Header=BB446_1574 Depth=1
	s_or_b32 exec_lo, exec_lo, s16
	s_delay_alu instid0(VALU_DEP_1) | instskip(SKIP_2) | instid1(VALU_DEP_3)
	v_lshlrev_b32_e32 v6, 20, v6
	v_lshlrev_b32_e32 v7, 24, v9
	v_lshl_add_u32 v39, v39, 23, 0x3c000000
	v_and_b32_e32 v6, 0x700000, v6
	s_delay_alu instid0(VALU_DEP_3) | instskip(NEXT) | instid1(VALU_DEP_1)
	v_and_b32_e32 v7, 0x80000000, v7
	v_or3_b32 v6, v6, v7, v39
.LBB446_2311:                           ;   in Loop: Header=BB446_1574 Depth=1
	s_or_b32 exec_lo, exec_lo, s15
.LBB446_2312:                           ;   in Loop: Header=BB446_1574 Depth=1
	s_delay_alu instid0(SALU_CYCLE_1)
	s_or_b32 exec_lo, exec_lo, s13
.LBB446_2313:                           ;   in Loop: Header=BB446_1574 Depth=1
	s_delay_alu instid0(SALU_CYCLE_1) | instskip(NEXT) | instid1(VALU_DEP_1)
	s_or_b32 exec_lo, exec_lo, s12
	v_mul_f32_e32 v6, v8, v6
                                        ; implicit-def: $vgpr39
	s_delay_alu instid0(VALU_DEP_1) | instskip(NEXT) | instid1(VALU_DEP_1)
	v_and_b32_e32 v7, 0x7f800000, v6
	v_cmp_ne_u32_e64 s0, 0x7f800000, v7
	s_delay_alu instid0(VALU_DEP_1) | instskip(NEXT) | instid1(SALU_CYCLE_1)
	s_and_saveexec_b32 s12, s0
	s_xor_b32 s0, exec_lo, s12
; %bb.2314:                             ;   in Loop: Header=BB446_1574 Depth=1
	v_bfe_u32 v7, v6, 16, 1
	s_delay_alu instid0(VALU_DEP_1)
	v_add3_u32 v39, v6, v7, 0x7fff
                                        ; implicit-def: $vgpr6
; %bb.2315:                             ;   in Loop: Header=BB446_1574 Depth=1
	s_and_not1_saveexec_b32 s12, s0
; %bb.2316:                             ;   in Loop: Header=BB446_1574 Depth=1
	v_and_b32_e32 v7, 0xffff, v6
	v_or_b32_e32 v39, 0x10000, v6
	s_delay_alu instid0(VALU_DEP_2) | instskip(NEXT) | instid1(VALU_DEP_1)
	v_cmp_eq_u32_e64 s0, 0, v7
	v_cndmask_b32_e64 v39, v39, v6, s0
; %bb.2317:                             ;   in Loop: Header=BB446_1574 Depth=1
	s_or_b32 exec_lo, exec_lo, s12
	v_lshrrev_b16 v7, 8, v9
	v_mov_b32_e32 v6, 0
	s_mov_b32 s12, exec_lo
	s_delay_alu instid0(VALU_DEP_2)
	v_cmpx_ne_u16_e32 0, v7
	s_cbranch_execz .LBB446_2325
; %bb.2318:                             ;   in Loop: Header=BB446_1574 Depth=1
	v_bfrev_b32_e32 v6, 1
	s_mov_b32 s13, exec_lo
	v_cmpx_ne_u16_e32 0x80, v7
	s_cbranch_execz .LBB446_2324
; %bb.2319:                             ;   in Loop: Header=BB446_1574 Depth=1
	v_and_b32_e32 v7, 0xffff, v7
	v_mov_b32_e32 v6, 0x7f800001
	s_mov_b32 s15, exec_lo
	s_delay_alu instid0(VALU_DEP_2) | instskip(NEXT) | instid1(VALU_DEP_1)
	v_and_b32_e32 v183, 0x7f, v7
	v_cmpx_ne_u32_e32 0x7f, v183
	s_cbranch_execz .LBB446_2323
; %bb.2320:                             ;   in Loop: Header=BB446_1574 Depth=1
	v_dual_mov_b32 v7, v10 :: v_dual_and_b32 v6, 7, v7
	v_lshrrev_b32_e32 v182, 3, v183
	s_mov_b32 s16, exec_lo
	v_cmpx_gt_u32_e32 8, v183
; %bb.2321:                             ;   in Loop: Header=BB446_1574 Depth=1
	s_delay_alu instid0(VALU_DEP_3) | instskip(NEXT) | instid1(VALU_DEP_1)
	v_clz_i32_u32_e32 v182, v6
	v_min_u32_e32 v182, 32, v182
	s_delay_alu instid0(VALU_DEP_1) | instskip(SKIP_1) | instid1(VALU_DEP_2)
	v_subrev_nc_u32_e32 v183, 28, v182
	v_sub_nc_u32_e32 v182, 29, v182
	v_lshlrev_b64 v[6:7], v183, v[6:7]
	s_delay_alu instid0(VALU_DEP_1)
	v_and_b32_e32 v6, 7, v6
; %bb.2322:                             ;   in Loop: Header=BB446_1574 Depth=1
	s_or_b32 exec_lo, exec_lo, s16
	v_lshlrev_b32_e32 v7, 16, v9
	s_delay_alu instid0(VALU_DEP_2) | instskip(SKIP_1) | instid1(VALU_DEP_3)
	v_lshlrev_b32_e32 v6, 20, v6
	v_lshl_add_u32 v9, v182, 23, 0x3c000000
	v_and_b32_e32 v7, 0x80000000, v7
	s_delay_alu instid0(VALU_DEP_1)
	v_or3_b32 v6, v6, v7, v9
.LBB446_2323:                           ;   in Loop: Header=BB446_1574 Depth=1
	s_or_b32 exec_lo, exec_lo, s15
.LBB446_2324:                           ;   in Loop: Header=BB446_1574 Depth=1
	s_delay_alu instid0(SALU_CYCLE_1)
	s_or_b32 exec_lo, exec_lo, s13
.LBB446_2325:                           ;   in Loop: Header=BB446_1574 Depth=1
	s_delay_alu instid0(SALU_CYCLE_1) | instskip(NEXT) | instid1(VALU_DEP_1)
	s_or_b32 exec_lo, exec_lo, s12
	v_mul_f32_e32 v6, v8, v6
                                        ; implicit-def: $vgpr182
	s_delay_alu instid0(VALU_DEP_1) | instskip(NEXT) | instid1(VALU_DEP_1)
	v_and_b32_e32 v7, 0x7f800000, v6
	v_cmp_ne_u32_e64 s0, 0x7f800000, v7
	s_delay_alu instid0(VALU_DEP_1) | instskip(NEXT) | instid1(SALU_CYCLE_1)
	s_and_saveexec_b32 s12, s0
	s_xor_b32 s0, exec_lo, s12
; %bb.2326:                             ;   in Loop: Header=BB446_1574 Depth=1
	v_bfe_u32 v7, v6, 16, 1
	s_delay_alu instid0(VALU_DEP_1)
	v_add3_u32 v182, v6, v7, 0x7fff
                                        ; implicit-def: $vgpr6
; %bb.2327:                             ;   in Loop: Header=BB446_1574 Depth=1
	s_and_not1_saveexec_b32 s12, s0
; %bb.2328:                             ;   in Loop: Header=BB446_1574 Depth=1
	v_and_b32_e32 v7, 0xffff, v6
	v_or_b32_e32 v9, 0x10000, v6
	s_delay_alu instid0(VALU_DEP_2) | instskip(NEXT) | instid1(VALU_DEP_1)
	v_cmp_eq_u32_e64 s0, 0, v7
	v_cndmask_b32_e64 v182, v9, v6, s0
; %bb.2329:                             ;   in Loop: Header=BB446_1574 Depth=1
	s_or_b32 exec_lo, exec_lo, s12
	v_lshrrev_b32_e32 v183, 16, v3
	s_mov_b32 s12, exec_lo
	s_delay_alu instid0(VALU_DEP_1) | instskip(NEXT) | instid1(VALU_DEP_1)
	v_dual_mov_b32 v6, 0 :: v_dual_and_b32 v7, 0xff, v183
	v_cmpx_ne_u16_e32 0, v7
	s_cbranch_execz .LBB446_2337
; %bb.2330:                             ;   in Loop: Header=BB446_1574 Depth=1
	v_bfrev_b32_e32 v6, 1
	s_mov_b32 s13, exec_lo
	v_cmpx_ne_u16_e32 0x80, v7
	s_cbranch_execz .LBB446_2336
; %bb.2331:                             ;   in Loop: Header=BB446_1574 Depth=1
	v_bfe_u32 v7, v3, 16, 7
	v_mov_b32_e32 v6, 0x7f800001
	s_mov_b32 s15, exec_lo
	s_delay_alu instid0(VALU_DEP_2)
	v_cmpx_ne_u32_e32 0x7f, v7
	s_cbranch_execz .LBB446_2335
; %bb.2332:                             ;   in Loop: Header=BB446_1574 Depth=1
	v_and_b32_e32 v9, 7, v183
	v_lshrrev_b32_e32 v40, 3, v7
	v_cmp_gt_u32_e64 s0, 8, v7
	s_delay_alu instid0(VALU_DEP_3) | instskip(NEXT) | instid1(VALU_DEP_2)
	v_dual_mov_b32 v6, v9 :: v_dual_mov_b32 v7, v10
	s_and_saveexec_b32 s16, s0
; %bb.2333:                             ;   in Loop: Header=BB446_1574 Depth=1
	v_clz_i32_u32_e32 v6, v9
	s_delay_alu instid0(VALU_DEP_1) | instskip(NEXT) | instid1(VALU_DEP_1)
	v_min_u32_e32 v40, 32, v6
	v_subrev_nc_u32_e32 v6, 28, v40
	v_sub_nc_u32_e32 v40, 29, v40
	s_delay_alu instid0(VALU_DEP_2) | instskip(NEXT) | instid1(VALU_DEP_1)
	v_lshlrev_b64 v[6:7], v6, v[9:10]
	v_and_b32_e32 v6, 7, v6
; %bb.2334:                             ;   in Loop: Header=BB446_1574 Depth=1
	s_or_b32 exec_lo, exec_lo, s16
	v_lshlrev_b32_e32 v7, 24, v183
	s_delay_alu instid0(VALU_DEP_2) | instskip(SKIP_1) | instid1(VALU_DEP_3)
	v_lshlrev_b32_e32 v6, 20, v6
	v_lshl_add_u32 v9, v40, 23, 0x3c000000
	v_and_b32_e32 v7, 0x80000000, v7
	s_delay_alu instid0(VALU_DEP_1)
	v_or3_b32 v6, v6, v7, v9
.LBB446_2335:                           ;   in Loop: Header=BB446_1574 Depth=1
	s_or_b32 exec_lo, exec_lo, s15
.LBB446_2336:                           ;   in Loop: Header=BB446_1574 Depth=1
	s_delay_alu instid0(SALU_CYCLE_1)
	s_or_b32 exec_lo, exec_lo, s13
.LBB446_2337:                           ;   in Loop: Header=BB446_1574 Depth=1
	s_delay_alu instid0(SALU_CYCLE_1) | instskip(NEXT) | instid1(VALU_DEP_1)
	s_or_b32 exec_lo, exec_lo, s12
	v_mul_f32_e32 v6, v8, v6
                                        ; implicit-def: $vgpr183
	s_delay_alu instid0(VALU_DEP_1) | instskip(NEXT) | instid1(VALU_DEP_1)
	v_and_b32_e32 v7, 0x7f800000, v6
	v_cmp_ne_u32_e64 s0, 0x7f800000, v7
	s_delay_alu instid0(VALU_DEP_1) | instskip(NEXT) | instid1(SALU_CYCLE_1)
	s_and_saveexec_b32 s12, s0
	s_xor_b32 s0, exec_lo, s12
; %bb.2338:                             ;   in Loop: Header=BB446_1574 Depth=1
	v_bfe_u32 v7, v6, 16, 1
	s_delay_alu instid0(VALU_DEP_1)
	v_add3_u32 v183, v6, v7, 0x7fff
                                        ; implicit-def: $vgpr6
; %bb.2339:                             ;   in Loop: Header=BB446_1574 Depth=1
	s_and_not1_saveexec_b32 s12, s0
; %bb.2340:                             ;   in Loop: Header=BB446_1574 Depth=1
	v_and_b32_e32 v7, 0xffff, v6
	v_or_b32_e32 v9, 0x10000, v6
	s_delay_alu instid0(VALU_DEP_2) | instskip(NEXT) | instid1(VALU_DEP_1)
	v_cmp_eq_u32_e64 s0, 0, v7
	v_cndmask_b32_e64 v183, v9, v6, s0
; %bb.2341:                             ;   in Loop: Header=BB446_1574 Depth=1
	s_or_b32 exec_lo, exec_lo, s12
	v_cmp_lt_u64_e64 s0, s[8:9], v[2:3]
	v_mov_b32_e32 v2, 0
	s_delay_alu instid0(VALU_DEP_2)
	s_and_saveexec_b32 s12, s0
	s_cbranch_execz .LBB446_2349
; %bb.2342:                             ;   in Loop: Header=BB446_1574 Depth=1
	v_lshrrev_b32_e32 v6, 24, v3
	v_bfrev_b32_e32 v2, 1
	s_mov_b32 s13, exec_lo
	s_delay_alu instid0(VALU_DEP_2)
	v_cmpx_ne_u32_e32 0x80, v6
	s_cbranch_execz .LBB446_2348
; %bb.2343:                             ;   in Loop: Header=BB446_1574 Depth=1
	v_bfe_u32 v3, v3, 24, 7
	v_mov_b32_e32 v2, 0x7f800001
	s_mov_b32 s15, exec_lo
	s_delay_alu instid0(VALU_DEP_2)
	v_cmpx_ne_u32_e32 0x7f, v3
	s_cbranch_execz .LBB446_2347
; %bb.2344:                             ;   in Loop: Header=BB446_1574 Depth=1
	v_and_b32_e32 v9, 7, v6
	v_lshrrev_b32_e32 v7, 3, v3
	v_cmp_gt_u32_e64 s0, 8, v3
	s_delay_alu instid0(VALU_DEP_3) | instskip(NEXT) | instid1(VALU_DEP_2)
	v_dual_mov_b32 v2, v9 :: v_dual_mov_b32 v3, v10
	s_and_saveexec_b32 s16, s0
; %bb.2345:                             ;   in Loop: Header=BB446_1574 Depth=1
	v_clz_i32_u32_e32 v2, v9
	s_delay_alu instid0(VALU_DEP_1) | instskip(NEXT) | instid1(VALU_DEP_1)
	v_min_u32_e32 v7, 32, v2
	v_subrev_nc_u32_e32 v2, 28, v7
	v_sub_nc_u32_e32 v7, 29, v7
	s_delay_alu instid0(VALU_DEP_2) | instskip(NEXT) | instid1(VALU_DEP_1)
	v_lshlrev_b64 v[2:3], v2, v[9:10]
	v_and_b32_e32 v2, 7, v2
; %bb.2346:                             ;   in Loop: Header=BB446_1574 Depth=1
	s_or_b32 exec_lo, exec_lo, s16
	v_lshlrev_b32_e32 v3, 24, v6
	s_delay_alu instid0(VALU_DEP_2) | instskip(SKIP_1) | instid1(VALU_DEP_3)
	v_lshlrev_b32_e32 v2, 20, v2
	v_lshl_add_u32 v6, v7, 23, 0x3c000000
	v_and_b32_e32 v3, 0x80000000, v3
	s_delay_alu instid0(VALU_DEP_1)
	v_or3_b32 v2, v2, v3, v6
.LBB446_2347:                           ;   in Loop: Header=BB446_1574 Depth=1
	s_or_b32 exec_lo, exec_lo, s15
.LBB446_2348:                           ;   in Loop: Header=BB446_1574 Depth=1
	s_delay_alu instid0(SALU_CYCLE_1)
	s_or_b32 exec_lo, exec_lo, s13
.LBB446_2349:                           ;   in Loop: Header=BB446_1574 Depth=1
	s_delay_alu instid0(SALU_CYCLE_1) | instskip(NEXT) | instid1(VALU_DEP_1)
	s_or_b32 exec_lo, exec_lo, s12
	v_mul_f32_e32 v3, v8, v2
	s_delay_alu instid0(VALU_DEP_1) | instskip(NEXT) | instid1(VALU_DEP_1)
	v_and_b32_e32 v2, 0x7f800000, v3
	v_cmp_ne_u32_e64 s0, 0x7f800000, v2
                                        ; implicit-def: $vgpr2
	s_delay_alu instid0(VALU_DEP_1) | instskip(NEXT) | instid1(SALU_CYCLE_1)
	s_and_saveexec_b32 s12, s0
	s_xor_b32 s0, exec_lo, s12
; %bb.2350:                             ;   in Loop: Header=BB446_1574 Depth=1
	v_bfe_u32 v2, v3, 16, 1
	s_delay_alu instid0(VALU_DEP_1)
	v_add3_u32 v2, v3, v2, 0x7fff
                                        ; implicit-def: $vgpr3
; %bb.2351:                             ;   in Loop: Header=BB446_1574 Depth=1
	s_and_not1_saveexec_b32 s12, s0
; %bb.2352:                             ;   in Loop: Header=BB446_1574 Depth=1
	v_and_b32_e32 v2, 0xffff, v3
	v_or_b32_e32 v6, 0x10000, v3
	s_delay_alu instid0(VALU_DEP_2) | instskip(NEXT) | instid1(VALU_DEP_1)
	v_cmp_eq_u32_e64 s0, 0, v2
	v_cndmask_b32_e64 v2, v6, v3, s0
; %bb.2353:                             ;   in Loop: Header=BB446_1574 Depth=1
	s_or_b32 exec_lo, exec_lo, s12
	v_lshrrev_b32_e32 v6, 16, v182
	v_lshrrev_b32_e32 v7, 16, v39
	;; [unrolled: 1-line block ×8, first 2 shown]
	s_and_saveexec_b32 s12, vcc_lo
	s_cbranch_execz .LBB446_2355
; %bb.2354:                             ;   in Loop: Header=BB446_1574 Depth=1
	v_cmp_lt_i32_e64 s0, v86, v38
	s_delay_alu instid0(VALU_DEP_1) | instskip(SKIP_1) | instid1(VALU_DEP_1)
	v_cndmask_b32_e64 v4, 0, v4, s0
	v_cmp_lt_i32_e64 s0, v101, v38
	v_cndmask_b32_e64 v5, 0, v5, s0
	v_cmp_lt_i32_e64 s0, v100, v38
	s_delay_alu instid0(VALU_DEP_1) | instskip(SKIP_1) | instid1(VALU_DEP_1)
	v_cndmask_b32_e64 v21, 0, v21, s0
	v_cmp_lt_i32_e64 s0, v99, v38
	v_cndmask_b32_e64 v9, 0, v9, s0
	;; [unrolled: 5-line block ×4, first 2 shown]
.LBB446_2355:                           ;   in Loop: Header=BB446_1574 Depth=1
	s_or_b32 exec_lo, exec_lo, s12
	v_lshlrev_b32_e32 v4, 16, v4
	s_delay_alu instid0(VALU_DEP_1) | instskip(NEXT) | instid1(VALU_DEP_1)
	v_mul_f32_e32 v37, v102, v4
	v_and_b32_e32 v4, 0x7f800000, v37
	s_delay_alu instid0(VALU_DEP_1) | instskip(NEXT) | instid1(VALU_DEP_1)
	v_cmp_ne_u32_e64 s0, 0x7f800000, v4
                                        ; implicit-def: $vgpr4
	s_and_saveexec_b32 s12, s0
	s_delay_alu instid0(SALU_CYCLE_1)
	s_xor_b32 s0, exec_lo, s12
; %bb.2356:                             ;   in Loop: Header=BB446_1574 Depth=1
	v_bfe_u32 v4, v37, 16, 1
	s_delay_alu instid0(VALU_DEP_1)
	v_add3_u32 v4, v37, v4, 0x7fff
                                        ; implicit-def: $vgpr37
; %bb.2357:                             ;   in Loop: Header=BB446_1574 Depth=1
	s_and_not1_saveexec_b32 s12, s0
; %bb.2358:                             ;   in Loop: Header=BB446_1574 Depth=1
	v_and_b32_e32 v4, 0xffff, v37
	v_or_b32_e32 v39, 0x10000, v37
	s_delay_alu instid0(VALU_DEP_2) | instskip(NEXT) | instid1(VALU_DEP_1)
	v_cmp_eq_u32_e64 s0, 0, v4
	v_cndmask_b32_e64 v4, v39, v37, s0
; %bb.2359:                             ;   in Loop: Header=BB446_1574 Depth=1
	s_or_b32 exec_lo, exec_lo, s12
	v_lshlrev_b32_e32 v5, 16, v5
	s_delay_alu instid0(VALU_DEP_1) | instskip(NEXT) | instid1(VALU_DEP_1)
	v_mul_f32_e32 v37, v103, v5
	v_and_b32_e32 v5, 0x7f800000, v37
	s_delay_alu instid0(VALU_DEP_1) | instskip(NEXT) | instid1(VALU_DEP_1)
	v_cmp_ne_u32_e64 s0, 0x7f800000, v5
                                        ; implicit-def: $vgpr5
	s_and_saveexec_b32 s12, s0
	s_delay_alu instid0(SALU_CYCLE_1)
	s_xor_b32 s0, exec_lo, s12
; %bb.2360:                             ;   in Loop: Header=BB446_1574 Depth=1
	v_bfe_u32 v5, v37, 16, 1
	s_delay_alu instid0(VALU_DEP_1)
	v_add3_u32 v5, v37, v5, 0x7fff
                                        ; implicit-def: $vgpr37
; %bb.2361:                             ;   in Loop: Header=BB446_1574 Depth=1
	s_and_not1_saveexec_b32 s12, s0
; %bb.2362:                             ;   in Loop: Header=BB446_1574 Depth=1
	v_and_b32_e32 v5, 0xffff, v37
	v_or_b32_e32 v39, 0x10000, v37
	s_delay_alu instid0(VALU_DEP_2) | instskip(NEXT) | instid1(VALU_DEP_1)
	v_cmp_eq_u32_e64 s0, 0, v5
	v_cndmask_b32_e64 v5, v39, v37, s0
; %bb.2363:                             ;   in Loop: Header=BB446_1574 Depth=1
	s_or_b32 exec_lo, exec_lo, s12
	v_lshlrev_b32_e32 v21, 16, v21
	s_delay_alu instid0(VALU_DEP_1) | instskip(NEXT) | instid1(VALU_DEP_1)
	v_mul_f32_e32 v37, v112, v21
	v_and_b32_e32 v21, 0x7f800000, v37
	s_delay_alu instid0(VALU_DEP_1) | instskip(NEXT) | instid1(VALU_DEP_1)
	v_cmp_ne_u32_e64 s0, 0x7f800000, v21
                                        ; implicit-def: $vgpr21
	s_and_saveexec_b32 s12, s0
	s_delay_alu instid0(SALU_CYCLE_1)
	s_xor_b32 s0, exec_lo, s12
; %bb.2364:                             ;   in Loop: Header=BB446_1574 Depth=1
	v_bfe_u32 v21, v37, 16, 1
	s_delay_alu instid0(VALU_DEP_1)
	v_add3_u32 v21, v37, v21, 0x7fff
                                        ; implicit-def: $vgpr37
; %bb.2365:                             ;   in Loop: Header=BB446_1574 Depth=1
	s_and_not1_saveexec_b32 s12, s0
; %bb.2366:                             ;   in Loop: Header=BB446_1574 Depth=1
	v_and_b32_e32 v21, 0xffff, v37
	v_or_b32_e32 v39, 0x10000, v37
	s_delay_alu instid0(VALU_DEP_2) | instskip(NEXT) | instid1(VALU_DEP_1)
	v_cmp_eq_u32_e64 s0, 0, v21
	v_cndmask_b32_e64 v21, v39, v37, s0
; %bb.2367:                             ;   in Loop: Header=BB446_1574 Depth=1
	s_or_b32 exec_lo, exec_lo, s12
	v_lshlrev_b32_e32 v9, 16, v9
                                        ; implicit-def: $vgpr182
	s_delay_alu instid0(VALU_DEP_1) | instskip(NEXT) | instid1(VALU_DEP_1)
	v_mul_f32_e32 v9, v113, v9
	v_and_b32_e32 v37, 0x7f800000, v9
	s_delay_alu instid0(VALU_DEP_1) | instskip(NEXT) | instid1(VALU_DEP_1)
	v_cmp_ne_u32_e64 s0, 0x7f800000, v37
	s_and_saveexec_b32 s12, s0
	s_delay_alu instid0(SALU_CYCLE_1)
	s_xor_b32 s0, exec_lo, s12
; %bb.2368:                             ;   in Loop: Header=BB446_1574 Depth=1
	v_bfe_u32 v37, v9, 16, 1
	s_delay_alu instid0(VALU_DEP_1)
	v_add3_u32 v182, v9, v37, 0x7fff
                                        ; implicit-def: $vgpr9
; %bb.2369:                             ;   in Loop: Header=BB446_1574 Depth=1
	s_and_not1_saveexec_b32 s12, s0
; %bb.2370:                             ;   in Loop: Header=BB446_1574 Depth=1
	v_and_b32_e32 v37, 0xffff, v9
	v_or_b32_e32 v39, 0x10000, v9
	s_delay_alu instid0(VALU_DEP_2) | instskip(NEXT) | instid1(VALU_DEP_1)
	v_cmp_eq_u32_e64 s0, 0, v37
	v_cndmask_b32_e64 v182, v39, v9, s0
; %bb.2371:                             ;   in Loop: Header=BB446_1574 Depth=1
	s_or_b32 exec_lo, exec_lo, s12
	v_lshlrev_b32_e32 v7, 16, v7
                                        ; implicit-def: $vgpr39
	s_delay_alu instid0(VALU_DEP_1) | instskip(NEXT) | instid1(VALU_DEP_1)
	v_mul_f32_e32 v7, v114, v7
	v_and_b32_e32 v9, 0x7f800000, v7
	s_delay_alu instid0(VALU_DEP_1) | instskip(NEXT) | instid1(VALU_DEP_1)
	v_cmp_ne_u32_e64 s0, 0x7f800000, v9
	s_and_saveexec_b32 s12, s0
	s_delay_alu instid0(SALU_CYCLE_1)
	s_xor_b32 s0, exec_lo, s12
; %bb.2372:                             ;   in Loop: Header=BB446_1574 Depth=1
	v_bfe_u32 v9, v7, 16, 1
	s_delay_alu instid0(VALU_DEP_1)
	v_add3_u32 v39, v7, v9, 0x7fff
                                        ; implicit-def: $vgpr7
; %bb.2373:                             ;   in Loop: Header=BB446_1574 Depth=1
	s_and_not1_saveexec_b32 s12, s0
; %bb.2374:                             ;   in Loop: Header=BB446_1574 Depth=1
	v_and_b32_e32 v9, 0xffff, v7
	v_or_b32_e32 v37, 0x10000, v7
	s_delay_alu instid0(VALU_DEP_2) | instskip(NEXT) | instid1(VALU_DEP_1)
	v_cmp_eq_u32_e64 s0, 0, v9
	v_cndmask_b32_e64 v39, v37, v7, s0
; %bb.2375:                             ;   in Loop: Header=BB446_1574 Depth=1
	s_or_b32 exec_lo, exec_lo, s12
	v_lshlrev_b32_e32 v6, 16, v6
                                        ; implicit-def: $vgpr183
	s_delay_alu instid0(VALU_DEP_1) | instskip(NEXT) | instid1(VALU_DEP_1)
	v_mul_f32_e32 v6, v115, v6
	v_and_b32_e32 v7, 0x7f800000, v6
	s_delay_alu instid0(VALU_DEP_1) | instskip(NEXT) | instid1(VALU_DEP_1)
	v_cmp_ne_u32_e64 s0, 0x7f800000, v7
	s_and_saveexec_b32 s12, s0
	s_delay_alu instid0(SALU_CYCLE_1)
	s_xor_b32 s0, exec_lo, s12
; %bb.2376:                             ;   in Loop: Header=BB446_1574 Depth=1
	v_bfe_u32 v7, v6, 16, 1
	s_delay_alu instid0(VALU_DEP_1)
	v_add3_u32 v183, v6, v7, 0x7fff
                                        ; implicit-def: $vgpr6
; %bb.2377:                             ;   in Loop: Header=BB446_1574 Depth=1
	s_and_not1_saveexec_b32 s12, s0
; %bb.2378:                             ;   in Loop: Header=BB446_1574 Depth=1
	v_and_b32_e32 v7, 0xffff, v6
	v_or_b32_e32 v9, 0x10000, v6
	s_delay_alu instid0(VALU_DEP_2) | instskip(NEXT) | instid1(VALU_DEP_1)
	v_cmp_eq_u32_e64 s0, 0, v7
	v_cndmask_b32_e64 v183, v9, v6, s0
; %bb.2379:                             ;   in Loop: Header=BB446_1574 Depth=1
	s_or_b32 exec_lo, exec_lo, s12
	v_lshlrev_b32_e32 v3, 16, v3
                                        ; implicit-def: $vgpr40
	s_delay_alu instid0(VALU_DEP_1) | instskip(NEXT) | instid1(VALU_DEP_1)
	v_mul_f32_e32 v3, v116, v3
	v_and_b32_e32 v6, 0x7f800000, v3
	s_delay_alu instid0(VALU_DEP_1) | instskip(NEXT) | instid1(VALU_DEP_1)
	v_cmp_ne_u32_e64 s0, 0x7f800000, v6
	s_and_saveexec_b32 s12, s0
	s_delay_alu instid0(SALU_CYCLE_1)
	s_xor_b32 s0, exec_lo, s12
; %bb.2380:                             ;   in Loop: Header=BB446_1574 Depth=1
	v_bfe_u32 v6, v3, 16, 1
	s_delay_alu instid0(VALU_DEP_1)
	v_add3_u32 v40, v3, v6, 0x7fff
                                        ; implicit-def: $vgpr3
; %bb.2381:                             ;   in Loop: Header=BB446_1574 Depth=1
	s_and_not1_saveexec_b32 s12, s0
; %bb.2382:                             ;   in Loop: Header=BB446_1574 Depth=1
	v_and_b32_e32 v6, 0xffff, v3
	v_or_b32_e32 v7, 0x10000, v3
	s_delay_alu instid0(VALU_DEP_2) | instskip(NEXT) | instid1(VALU_DEP_1)
	v_cmp_eq_u32_e64 s0, 0, v6
	v_cndmask_b32_e64 v40, v7, v3, s0
; %bb.2383:                             ;   in Loop: Header=BB446_1574 Depth=1
	s_or_b32 exec_lo, exec_lo, s12
	v_lshlrev_b32_e32 v2, 16, v2
                                        ; implicit-def: $vgpr37
	s_delay_alu instid0(VALU_DEP_1) | instskip(NEXT) | instid1(VALU_DEP_1)
	v_mul_f32_e32 v2, v117, v2
	v_and_b32_e32 v3, 0x7f800000, v2
	s_delay_alu instid0(VALU_DEP_1) | instskip(NEXT) | instid1(VALU_DEP_1)
	v_cmp_ne_u32_e64 s0, 0x7f800000, v3
	s_and_saveexec_b32 s12, s0
	s_delay_alu instid0(SALU_CYCLE_1)
	s_xor_b32 s0, exec_lo, s12
; %bb.2384:                             ;   in Loop: Header=BB446_1574 Depth=1
	v_bfe_u32 v3, v2, 16, 1
	s_delay_alu instid0(VALU_DEP_1)
	v_add3_u32 v37, v2, v3, 0x7fff
                                        ; implicit-def: $vgpr2
; %bb.2385:                             ;   in Loop: Header=BB446_1574 Depth=1
	s_and_not1_saveexec_b32 s12, s0
; %bb.2386:                             ;   in Loop: Header=BB446_1574 Depth=1
	v_and_b32_e32 v3, 0xffff, v2
	v_or_b32_e32 v6, 0x10000, v2
	s_delay_alu instid0(VALU_DEP_2) | instskip(NEXT) | instid1(VALU_DEP_1)
	v_cmp_eq_u32_e64 s0, 0, v3
	v_cndmask_b32_e64 v37, v6, v2, s0
; %bb.2387:                             ;   in Loop: Header=BB446_1574 Depth=1
	s_or_b32 exec_lo, exec_lo, s12
	flat_load_b64 v[2:3], v[0:1] offset:1536
	s_mov_b32 s12, exec_lo
	s_waitcnt vmcnt(0) lgkmcnt(0)
	v_dual_mov_b32 v6, 0 :: v_dual_and_b32 v7, 0xff, v2
	s_delay_alu instid0(VALU_DEP_1)
	v_cmpx_ne_u16_e32 0, v7
	s_cbranch_execz .LBB446_2395
; %bb.2388:                             ;   in Loop: Header=BB446_1574 Depth=1
	v_bfrev_b32_e32 v6, 1
	s_mov_b32 s13, exec_lo
	v_cmpx_ne_u16_e32 0x80, v7
	s_cbranch_execz .LBB446_2394
; %bb.2389:                             ;   in Loop: Header=BB446_1574 Depth=1
	v_and_b32_e32 v7, 0x7f, v2
	v_mov_b32_e32 v6, 0x7f800001
	s_mov_b32 s15, exec_lo
	s_delay_alu instid0(VALU_DEP_2)
	v_cmpx_ne_u32_e32 0x7f, v7
	s_cbranch_execz .LBB446_2393
; %bb.2390:                             ;   in Loop: Header=BB446_1574 Depth=1
	v_lshrrev_b32_e32 v9, 3, v7
	v_cmp_gt_u32_e64 s0, 8, v7
	v_dual_mov_b32 v7, v3 :: v_dual_mov_b32 v6, v2
	s_delay_alu instid0(VALU_DEP_2)
	s_and_saveexec_b32 s16, s0
; %bb.2391:                             ;   in Loop: Header=BB446_1574 Depth=1
	v_and_b32_e32 v6, 7, v2
	s_delay_alu instid0(VALU_DEP_1) | instskip(NEXT) | instid1(VALU_DEP_1)
	v_clz_i32_u32_e32 v6, v6
	v_min_u32_e32 v9, 32, v6
	s_delay_alu instid0(VALU_DEP_1) | instskip(SKIP_1) | instid1(VALU_DEP_2)
	v_subrev_nc_u32_e32 v6, 28, v9
	v_sub_nc_u32_e32 v9, 29, v9
	v_lshlrev_b64 v[6:7], v6, v[2:3]
; %bb.2392:                             ;   in Loop: Header=BB446_1574 Depth=1
	s_or_b32 exec_lo, exec_lo, s16
	s_delay_alu instid0(VALU_DEP_1) | instskip(SKIP_2) | instid1(VALU_DEP_3)
	v_lshlrev_b32_e32 v6, 20, v6
	v_lshlrev_b32_e32 v7, 24, v2
	v_lshl_add_u32 v9, v9, 23, 0x3c000000
	v_and_b32_e32 v6, 0x700000, v6
	s_delay_alu instid0(VALU_DEP_3) | instskip(NEXT) | instid1(VALU_DEP_1)
	v_and_b32_e32 v7, 0x80000000, v7
	v_or3_b32 v6, v6, v7, v9
.LBB446_2393:                           ;   in Loop: Header=BB446_1574 Depth=1
	s_or_b32 exec_lo, exec_lo, s15
.LBB446_2394:                           ;   in Loop: Header=BB446_1574 Depth=1
	s_delay_alu instid0(SALU_CYCLE_1)
	s_or_b32 exec_lo, exec_lo, s13
.LBB446_2395:                           ;   in Loop: Header=BB446_1574 Depth=1
	s_delay_alu instid0(SALU_CYCLE_1) | instskip(NEXT) | instid1(VALU_DEP_1)
	s_or_b32 exec_lo, exec_lo, s12
	v_mul_f32_e32 v6, v8, v6
                                        ; implicit-def: $vgpr41
	s_delay_alu instid0(VALU_DEP_1) | instskip(NEXT) | instid1(VALU_DEP_1)
	v_and_b32_e32 v7, 0x7f800000, v6
	v_cmp_ne_u32_e64 s0, 0x7f800000, v7
	s_delay_alu instid0(VALU_DEP_1) | instskip(NEXT) | instid1(SALU_CYCLE_1)
	s_and_saveexec_b32 s12, s0
	s_xor_b32 s0, exec_lo, s12
; %bb.2396:                             ;   in Loop: Header=BB446_1574 Depth=1
	v_bfe_u32 v7, v6, 16, 1
	s_delay_alu instid0(VALU_DEP_1)
	v_add3_u32 v41, v6, v7, 0x7fff
                                        ; implicit-def: $vgpr6
; %bb.2397:                             ;   in Loop: Header=BB446_1574 Depth=1
	s_and_not1_saveexec_b32 s12, s0
; %bb.2398:                             ;   in Loop: Header=BB446_1574 Depth=1
	v_and_b32_e32 v7, 0xffff, v6
	v_or_b32_e32 v9, 0x10000, v6
	s_delay_alu instid0(VALU_DEP_2) | instskip(NEXT) | instid1(VALU_DEP_1)
	v_cmp_eq_u32_e64 s0, 0, v7
	v_cndmask_b32_e64 v41, v9, v6, s0
; %bb.2399:                             ;   in Loop: Header=BB446_1574 Depth=1
	s_or_b32 exec_lo, exec_lo, s12
	v_lshrrev_b16 v7, 8, v2
	v_mov_b32_e32 v6, 0
	s_mov_b32 s12, exec_lo
	s_delay_alu instid0(VALU_DEP_2)
	v_cmpx_ne_u16_e32 0, v7
	s_cbranch_execz .LBB446_2407
; %bb.2400:                             ;   in Loop: Header=BB446_1574 Depth=1
	v_bfrev_b32_e32 v6, 1
	s_mov_b32 s13, exec_lo
	v_cmpx_ne_u16_e32 0x80, v7
	s_cbranch_execz .LBB446_2406
; %bb.2401:                             ;   in Loop: Header=BB446_1574 Depth=1
	v_and_b32_e32 v9, 0xffff, v7
	v_mov_b32_e32 v6, 0x7f800001
	s_mov_b32 s15, exec_lo
	s_delay_alu instid0(VALU_DEP_2) | instskip(NEXT) | instid1(VALU_DEP_1)
	v_and_b32_e32 v7, 0x7f, v9
	v_cmpx_ne_u32_e32 0x7f, v7
	s_cbranch_execz .LBB446_2405
; %bb.2402:                             ;   in Loop: Header=BB446_1574 Depth=1
	v_and_b32_e32 v9, 7, v9
	v_lshrrev_b32_e32 v42, 3, v7
	v_cmp_gt_u32_e64 s0, 8, v7
	s_delay_alu instid0(VALU_DEP_3) | instskip(NEXT) | instid1(VALU_DEP_2)
	v_dual_mov_b32 v6, v9 :: v_dual_mov_b32 v7, v10
	s_and_saveexec_b32 s16, s0
; %bb.2403:                             ;   in Loop: Header=BB446_1574 Depth=1
	v_clz_i32_u32_e32 v6, v9
	s_delay_alu instid0(VALU_DEP_1) | instskip(NEXT) | instid1(VALU_DEP_1)
	v_min_u32_e32 v42, 32, v6
	v_subrev_nc_u32_e32 v6, 28, v42
	v_sub_nc_u32_e32 v42, 29, v42
	s_delay_alu instid0(VALU_DEP_2) | instskip(NEXT) | instid1(VALU_DEP_1)
	v_lshlrev_b64 v[6:7], v6, v[9:10]
	v_and_b32_e32 v6, 7, v6
; %bb.2404:                             ;   in Loop: Header=BB446_1574 Depth=1
	s_or_b32 exec_lo, exec_lo, s16
	v_lshlrev_b32_e32 v7, 16, v2
	s_delay_alu instid0(VALU_DEP_2) | instskip(SKIP_1) | instid1(VALU_DEP_3)
	v_lshlrev_b32_e32 v6, 20, v6
	v_lshl_add_u32 v9, v42, 23, 0x3c000000
	v_and_b32_e32 v7, 0x80000000, v7
	s_delay_alu instid0(VALU_DEP_1)
	v_or3_b32 v6, v6, v7, v9
.LBB446_2405:                           ;   in Loop: Header=BB446_1574 Depth=1
	s_or_b32 exec_lo, exec_lo, s15
.LBB446_2406:                           ;   in Loop: Header=BB446_1574 Depth=1
	s_delay_alu instid0(SALU_CYCLE_1)
	s_or_b32 exec_lo, exec_lo, s13
.LBB446_2407:                           ;   in Loop: Header=BB446_1574 Depth=1
	s_delay_alu instid0(SALU_CYCLE_1) | instskip(NEXT) | instid1(VALU_DEP_1)
	s_or_b32 exec_lo, exec_lo, s12
	v_mul_f32_e32 v6, v8, v6
                                        ; implicit-def: $vgpr42
	s_delay_alu instid0(VALU_DEP_1) | instskip(NEXT) | instid1(VALU_DEP_1)
	v_and_b32_e32 v7, 0x7f800000, v6
	v_cmp_ne_u32_e64 s0, 0x7f800000, v7
	s_delay_alu instid0(VALU_DEP_1) | instskip(NEXT) | instid1(SALU_CYCLE_1)
	s_and_saveexec_b32 s12, s0
	s_xor_b32 s0, exec_lo, s12
; %bb.2408:                             ;   in Loop: Header=BB446_1574 Depth=1
	v_bfe_u32 v7, v6, 16, 1
	s_delay_alu instid0(VALU_DEP_1)
	v_add3_u32 v42, v6, v7, 0x7fff
                                        ; implicit-def: $vgpr6
; %bb.2409:                             ;   in Loop: Header=BB446_1574 Depth=1
	s_and_not1_saveexec_b32 s12, s0
; %bb.2410:                             ;   in Loop: Header=BB446_1574 Depth=1
	v_and_b32_e32 v7, 0xffff, v6
	v_or_b32_e32 v9, 0x10000, v6
	s_delay_alu instid0(VALU_DEP_2) | instskip(NEXT) | instid1(VALU_DEP_1)
	v_cmp_eq_u32_e64 s0, 0, v7
	v_cndmask_b32_e64 v42, v9, v6, s0
; %bb.2411:                             ;   in Loop: Header=BB446_1574 Depth=1
	s_or_b32 exec_lo, exec_lo, s12
	v_lshrrev_b32_e32 v43, 16, v2
	s_mov_b32 s12, exec_lo
	s_delay_alu instid0(VALU_DEP_1) | instskip(NEXT) | instid1(VALU_DEP_1)
	v_dual_mov_b32 v6, 0 :: v_dual_and_b32 v7, 0xff, v43
	v_cmpx_ne_u16_e32 0, v7
	s_cbranch_execz .LBB446_2419
; %bb.2412:                             ;   in Loop: Header=BB446_1574 Depth=1
	v_bfrev_b32_e32 v6, 1
	s_mov_b32 s13, exec_lo
	v_cmpx_ne_u16_e32 0x80, v7
	s_cbranch_execz .LBB446_2418
; %bb.2413:                             ;   in Loop: Header=BB446_1574 Depth=1
	v_bfe_u32 v7, v2, 16, 7
	v_mov_b32_e32 v6, 0x7f800001
	s_mov_b32 s15, exec_lo
	s_delay_alu instid0(VALU_DEP_2)
	v_cmpx_ne_u32_e32 0x7f, v7
	s_cbranch_execz .LBB446_2417
; %bb.2414:                             ;   in Loop: Header=BB446_1574 Depth=1
	v_and_b32_e32 v9, 7, v43
	v_lshrrev_b32_e32 v44, 3, v7
	v_cmp_gt_u32_e64 s0, 8, v7
	s_delay_alu instid0(VALU_DEP_3) | instskip(NEXT) | instid1(VALU_DEP_2)
	v_dual_mov_b32 v6, v9 :: v_dual_mov_b32 v7, v10
	s_and_saveexec_b32 s16, s0
; %bb.2415:                             ;   in Loop: Header=BB446_1574 Depth=1
	v_clz_i32_u32_e32 v6, v9
	s_delay_alu instid0(VALU_DEP_1) | instskip(NEXT) | instid1(VALU_DEP_1)
	v_min_u32_e32 v44, 32, v6
	v_subrev_nc_u32_e32 v6, 28, v44
	v_sub_nc_u32_e32 v44, 29, v44
	s_delay_alu instid0(VALU_DEP_2) | instskip(NEXT) | instid1(VALU_DEP_1)
	v_lshlrev_b64 v[6:7], v6, v[9:10]
	v_and_b32_e32 v6, 7, v6
; %bb.2416:                             ;   in Loop: Header=BB446_1574 Depth=1
	s_or_b32 exec_lo, exec_lo, s16
	v_lshlrev_b32_e32 v7, 24, v43
	s_delay_alu instid0(VALU_DEP_2) | instskip(SKIP_1) | instid1(VALU_DEP_3)
	v_lshlrev_b32_e32 v6, 20, v6
	v_lshl_add_u32 v9, v44, 23, 0x3c000000
	v_and_b32_e32 v7, 0x80000000, v7
	s_delay_alu instid0(VALU_DEP_1)
	v_or3_b32 v6, v6, v7, v9
.LBB446_2417:                           ;   in Loop: Header=BB446_1574 Depth=1
	s_or_b32 exec_lo, exec_lo, s15
.LBB446_2418:                           ;   in Loop: Header=BB446_1574 Depth=1
	s_delay_alu instid0(SALU_CYCLE_1)
	s_or_b32 exec_lo, exec_lo, s13
.LBB446_2419:                           ;   in Loop: Header=BB446_1574 Depth=1
	s_delay_alu instid0(SALU_CYCLE_1) | instskip(NEXT) | instid1(VALU_DEP_1)
	s_or_b32 exec_lo, exec_lo, s12
	v_mul_f32_e32 v6, v8, v6
                                        ; implicit-def: $vgpr43
	s_delay_alu instid0(VALU_DEP_1) | instskip(NEXT) | instid1(VALU_DEP_1)
	v_and_b32_e32 v7, 0x7f800000, v6
	v_cmp_ne_u32_e64 s0, 0x7f800000, v7
	s_delay_alu instid0(VALU_DEP_1) | instskip(NEXT) | instid1(SALU_CYCLE_1)
	s_and_saveexec_b32 s12, s0
	s_xor_b32 s0, exec_lo, s12
; %bb.2420:                             ;   in Loop: Header=BB446_1574 Depth=1
	v_bfe_u32 v7, v6, 16, 1
	s_delay_alu instid0(VALU_DEP_1)
	v_add3_u32 v43, v6, v7, 0x7fff
                                        ; implicit-def: $vgpr6
; %bb.2421:                             ;   in Loop: Header=BB446_1574 Depth=1
	s_and_not1_saveexec_b32 s12, s0
; %bb.2422:                             ;   in Loop: Header=BB446_1574 Depth=1
	v_and_b32_e32 v7, 0xffff, v6
	v_or_b32_e32 v9, 0x10000, v6
	s_delay_alu instid0(VALU_DEP_2) | instskip(NEXT) | instid1(VALU_DEP_1)
	v_cmp_eq_u32_e64 s0, 0, v7
	v_cndmask_b32_e64 v43, v9, v6, s0
; %bb.2423:                             ;   in Loop: Header=BB446_1574 Depth=1
	s_or_b32 exec_lo, exec_lo, s12
	v_mov_b32_e32 v6, 0
	s_mov_b32 s12, exec_lo
	v_cmpx_lt_u32_e32 0xffffff, v2
	s_cbranch_execz .LBB446_2431
; %bb.2424:                             ;   in Loop: Header=BB446_1574 Depth=1
	v_lshrrev_b32_e32 v44, 24, v2
	v_bfrev_b32_e32 v6, 1
	s_mov_b32 s13, exec_lo
	s_delay_alu instid0(VALU_DEP_2)
	v_cmpx_ne_u32_e32 0x80, v44
	s_cbranch_execz .LBB446_2430
; %bb.2425:                             ;   in Loop: Header=BB446_1574 Depth=1
	v_bfe_u32 v7, v2, 24, 7
	v_mov_b32_e32 v6, 0x7f800001
	s_mov_b32 s15, exec_lo
	s_delay_alu instid0(VALU_DEP_2)
	v_cmpx_ne_u32_e32 0x7f, v7
	s_cbranch_execz .LBB446_2429
; %bb.2426:                             ;   in Loop: Header=BB446_1574 Depth=1
	v_and_b32_e32 v9, 7, v44
	v_lshrrev_b32_e32 v45, 3, v7
	v_cmp_gt_u32_e64 s0, 8, v7
	s_delay_alu instid0(VALU_DEP_3) | instskip(NEXT) | instid1(VALU_DEP_2)
	v_dual_mov_b32 v6, v9 :: v_dual_mov_b32 v7, v10
	s_and_saveexec_b32 s16, s0
; %bb.2427:                             ;   in Loop: Header=BB446_1574 Depth=1
	v_clz_i32_u32_e32 v6, v9
	s_delay_alu instid0(VALU_DEP_1) | instskip(NEXT) | instid1(VALU_DEP_1)
	v_min_u32_e32 v45, 32, v6
	v_subrev_nc_u32_e32 v6, 28, v45
	v_sub_nc_u32_e32 v45, 29, v45
	s_delay_alu instid0(VALU_DEP_2) | instskip(NEXT) | instid1(VALU_DEP_1)
	v_lshlrev_b64 v[6:7], v6, v[9:10]
	v_and_b32_e32 v6, 7, v6
; %bb.2428:                             ;   in Loop: Header=BB446_1574 Depth=1
	s_or_b32 exec_lo, exec_lo, s16
	v_lshlrev_b32_e32 v7, 24, v44
	s_delay_alu instid0(VALU_DEP_2) | instskip(SKIP_1) | instid1(VALU_DEP_3)
	v_lshlrev_b32_e32 v6, 20, v6
	v_lshl_add_u32 v9, v45, 23, 0x3c000000
	v_and_b32_e32 v7, 0x80000000, v7
	s_delay_alu instid0(VALU_DEP_1)
	v_or3_b32 v6, v6, v7, v9
.LBB446_2429:                           ;   in Loop: Header=BB446_1574 Depth=1
	s_or_b32 exec_lo, exec_lo, s15
.LBB446_2430:                           ;   in Loop: Header=BB446_1574 Depth=1
	s_delay_alu instid0(SALU_CYCLE_1)
	s_or_b32 exec_lo, exec_lo, s13
.LBB446_2431:                           ;   in Loop: Header=BB446_1574 Depth=1
	s_delay_alu instid0(SALU_CYCLE_1) | instskip(NEXT) | instid1(VALU_DEP_1)
	s_or_b32 exec_lo, exec_lo, s12
	v_mul_f32_e32 v6, v8, v6
                                        ; implicit-def: $vgpr44
	s_delay_alu instid0(VALU_DEP_1) | instskip(NEXT) | instid1(VALU_DEP_1)
	v_and_b32_e32 v7, 0x7f800000, v6
	v_cmp_ne_u32_e64 s0, 0x7f800000, v7
	s_delay_alu instid0(VALU_DEP_1) | instskip(NEXT) | instid1(SALU_CYCLE_1)
	s_and_saveexec_b32 s12, s0
	s_xor_b32 s0, exec_lo, s12
; %bb.2432:                             ;   in Loop: Header=BB446_1574 Depth=1
	v_bfe_u32 v7, v6, 16, 1
	s_delay_alu instid0(VALU_DEP_1)
	v_add3_u32 v44, v6, v7, 0x7fff
                                        ; implicit-def: $vgpr6
; %bb.2433:                             ;   in Loop: Header=BB446_1574 Depth=1
	s_and_not1_saveexec_b32 s12, s0
; %bb.2434:                             ;   in Loop: Header=BB446_1574 Depth=1
	v_and_b32_e32 v7, 0xffff, v6
	v_or_b32_e32 v9, 0x10000, v6
	s_delay_alu instid0(VALU_DEP_2) | instskip(NEXT) | instid1(VALU_DEP_1)
	v_cmp_eq_u32_e64 s0, 0, v7
	v_cndmask_b32_e64 v44, v9, v6, s0
; %bb.2435:                             ;   in Loop: Header=BB446_1574 Depth=1
	s_or_b32 exec_lo, exec_lo, s12
	v_dual_mov_b32 v6, 0 :: v_dual_and_b32 v7, 0xff, v3
	v_mov_b32_e32 v9, v3
	s_mov_b32 s12, exec_lo
	s_delay_alu instid0(VALU_DEP_2)
	v_cmpx_ne_u16_e32 0, v7
	s_cbranch_execz .LBB446_2443
; %bb.2436:                             ;   in Loop: Header=BB446_1574 Depth=1
	v_bfrev_b32_e32 v6, 1
	s_mov_b32 s13, exec_lo
	v_cmpx_ne_u16_e32 0x80, v7
	s_cbranch_execz .LBB446_2442
; %bb.2437:                             ;   in Loop: Header=BB446_1574 Depth=1
	v_and_b32_e32 v7, 0x7f, v3
	v_mov_b32_e32 v6, 0x7f800001
	s_mov_b32 s15, exec_lo
	s_delay_alu instid0(VALU_DEP_2)
	v_cmpx_ne_u32_e32 0x7f, v7
	s_cbranch_execz .LBB446_2441
; %bb.2438:                             ;   in Loop: Header=BB446_1574 Depth=1
	v_lshrrev_b32_e32 v45, 3, v7
	v_cmp_gt_u32_e64 s0, 8, v7
	v_dual_mov_b32 v6, v9 :: v_dual_mov_b32 v7, v10
	s_delay_alu instid0(VALU_DEP_2)
	s_and_saveexec_b32 s16, s0
; %bb.2439:                             ;   in Loop: Header=BB446_1574 Depth=1
	v_and_b32_e32 v6, 7, v3
	s_delay_alu instid0(VALU_DEP_1) | instskip(NEXT) | instid1(VALU_DEP_1)
	v_clz_i32_u32_e32 v6, v6
	v_min_u32_e32 v45, 32, v6
	s_delay_alu instid0(VALU_DEP_1) | instskip(SKIP_1) | instid1(VALU_DEP_2)
	v_subrev_nc_u32_e32 v6, 28, v45
	v_sub_nc_u32_e32 v45, 29, v45
	v_lshlrev_b64 v[6:7], v6, v[9:10]
; %bb.2440:                             ;   in Loop: Header=BB446_1574 Depth=1
	s_or_b32 exec_lo, exec_lo, s16
	s_delay_alu instid0(VALU_DEP_1) | instskip(SKIP_2) | instid1(VALU_DEP_3)
	v_lshlrev_b32_e32 v6, 20, v6
	v_lshlrev_b32_e32 v7, 24, v9
	v_lshl_add_u32 v45, v45, 23, 0x3c000000
	v_and_b32_e32 v6, 0x700000, v6
	s_delay_alu instid0(VALU_DEP_3) | instskip(NEXT) | instid1(VALU_DEP_1)
	v_and_b32_e32 v7, 0x80000000, v7
	v_or3_b32 v6, v6, v7, v45
.LBB446_2441:                           ;   in Loop: Header=BB446_1574 Depth=1
	s_or_b32 exec_lo, exec_lo, s15
.LBB446_2442:                           ;   in Loop: Header=BB446_1574 Depth=1
	s_delay_alu instid0(SALU_CYCLE_1)
	s_or_b32 exec_lo, exec_lo, s13
.LBB446_2443:                           ;   in Loop: Header=BB446_1574 Depth=1
	s_delay_alu instid0(SALU_CYCLE_1) | instskip(NEXT) | instid1(VALU_DEP_1)
	s_or_b32 exec_lo, exec_lo, s12
	v_mul_f32_e32 v6, v8, v6
                                        ; implicit-def: $vgpr45
	s_delay_alu instid0(VALU_DEP_1) | instskip(NEXT) | instid1(VALU_DEP_1)
	v_and_b32_e32 v7, 0x7f800000, v6
	v_cmp_ne_u32_e64 s0, 0x7f800000, v7
	s_delay_alu instid0(VALU_DEP_1) | instskip(NEXT) | instid1(SALU_CYCLE_1)
	s_and_saveexec_b32 s12, s0
	s_xor_b32 s0, exec_lo, s12
; %bb.2444:                             ;   in Loop: Header=BB446_1574 Depth=1
	v_bfe_u32 v7, v6, 16, 1
	s_delay_alu instid0(VALU_DEP_1)
	v_add3_u32 v45, v6, v7, 0x7fff
                                        ; implicit-def: $vgpr6
; %bb.2445:                             ;   in Loop: Header=BB446_1574 Depth=1
	s_and_not1_saveexec_b32 s12, s0
; %bb.2446:                             ;   in Loop: Header=BB446_1574 Depth=1
	v_and_b32_e32 v7, 0xffff, v6
	v_or_b32_e32 v45, 0x10000, v6
	s_delay_alu instid0(VALU_DEP_2) | instskip(NEXT) | instid1(VALU_DEP_1)
	v_cmp_eq_u32_e64 s0, 0, v7
	v_cndmask_b32_e64 v45, v45, v6, s0
; %bb.2447:                             ;   in Loop: Header=BB446_1574 Depth=1
	s_or_b32 exec_lo, exec_lo, s12
	v_lshrrev_b16 v7, 8, v9
	v_mov_b32_e32 v6, 0
	s_mov_b32 s12, exec_lo
	s_delay_alu instid0(VALU_DEP_2)
	v_cmpx_ne_u16_e32 0, v7
	s_cbranch_execz .LBB446_2455
; %bb.2448:                             ;   in Loop: Header=BB446_1574 Depth=1
	v_bfrev_b32_e32 v6, 1
	s_mov_b32 s13, exec_lo
	v_cmpx_ne_u16_e32 0x80, v7
	s_cbranch_execz .LBB446_2454
; %bb.2449:                             ;   in Loop: Header=BB446_1574 Depth=1
	v_and_b32_e32 v7, 0xffff, v7
	v_mov_b32_e32 v6, 0x7f800001
	s_mov_b32 s15, exec_lo
	s_delay_alu instid0(VALU_DEP_2) | instskip(NEXT) | instid1(VALU_DEP_1)
	v_and_b32_e32 v47, 0x7f, v7
	v_cmpx_ne_u32_e32 0x7f, v47
	s_cbranch_execz .LBB446_2453
; %bb.2450:                             ;   in Loop: Header=BB446_1574 Depth=1
	v_dual_mov_b32 v7, v10 :: v_dual_and_b32 v6, 7, v7
	v_lshrrev_b32_e32 v46, 3, v47
	s_mov_b32 s16, exec_lo
	v_cmpx_gt_u32_e32 8, v47
; %bb.2451:                             ;   in Loop: Header=BB446_1574 Depth=1
	s_delay_alu instid0(VALU_DEP_3) | instskip(NEXT) | instid1(VALU_DEP_1)
	v_clz_i32_u32_e32 v46, v6
	v_min_u32_e32 v46, 32, v46
	s_delay_alu instid0(VALU_DEP_1) | instskip(SKIP_1) | instid1(VALU_DEP_2)
	v_subrev_nc_u32_e32 v47, 28, v46
	v_sub_nc_u32_e32 v46, 29, v46
	v_lshlrev_b64 v[6:7], v47, v[6:7]
	s_delay_alu instid0(VALU_DEP_1)
	v_and_b32_e32 v6, 7, v6
; %bb.2452:                             ;   in Loop: Header=BB446_1574 Depth=1
	s_or_b32 exec_lo, exec_lo, s16
	v_lshlrev_b32_e32 v7, 16, v9
	s_delay_alu instid0(VALU_DEP_2) | instskip(SKIP_1) | instid1(VALU_DEP_3)
	v_lshlrev_b32_e32 v6, 20, v6
	v_lshl_add_u32 v9, v46, 23, 0x3c000000
	v_and_b32_e32 v7, 0x80000000, v7
	s_delay_alu instid0(VALU_DEP_1)
	v_or3_b32 v6, v6, v7, v9
.LBB446_2453:                           ;   in Loop: Header=BB446_1574 Depth=1
	s_or_b32 exec_lo, exec_lo, s15
.LBB446_2454:                           ;   in Loop: Header=BB446_1574 Depth=1
	s_delay_alu instid0(SALU_CYCLE_1)
	s_or_b32 exec_lo, exec_lo, s13
.LBB446_2455:                           ;   in Loop: Header=BB446_1574 Depth=1
	s_delay_alu instid0(SALU_CYCLE_1) | instskip(NEXT) | instid1(VALU_DEP_1)
	s_or_b32 exec_lo, exec_lo, s12
	v_mul_f32_e32 v6, v8, v6
                                        ; implicit-def: $vgpr46
	s_delay_alu instid0(VALU_DEP_1) | instskip(NEXT) | instid1(VALU_DEP_1)
	v_and_b32_e32 v7, 0x7f800000, v6
	v_cmp_ne_u32_e64 s0, 0x7f800000, v7
	s_delay_alu instid0(VALU_DEP_1) | instskip(NEXT) | instid1(SALU_CYCLE_1)
	s_and_saveexec_b32 s12, s0
	s_xor_b32 s0, exec_lo, s12
; %bb.2456:                             ;   in Loop: Header=BB446_1574 Depth=1
	v_bfe_u32 v7, v6, 16, 1
	s_delay_alu instid0(VALU_DEP_1)
	v_add3_u32 v46, v6, v7, 0x7fff
                                        ; implicit-def: $vgpr6
; %bb.2457:                             ;   in Loop: Header=BB446_1574 Depth=1
	s_and_not1_saveexec_b32 s12, s0
; %bb.2458:                             ;   in Loop: Header=BB446_1574 Depth=1
	v_and_b32_e32 v7, 0xffff, v6
	v_or_b32_e32 v9, 0x10000, v6
	s_delay_alu instid0(VALU_DEP_2) | instskip(NEXT) | instid1(VALU_DEP_1)
	v_cmp_eq_u32_e64 s0, 0, v7
	v_cndmask_b32_e64 v46, v9, v6, s0
; %bb.2459:                             ;   in Loop: Header=BB446_1574 Depth=1
	s_or_b32 exec_lo, exec_lo, s12
	v_lshrrev_b32_e32 v47, 16, v3
	s_mov_b32 s12, exec_lo
	s_delay_alu instid0(VALU_DEP_1) | instskip(NEXT) | instid1(VALU_DEP_1)
	v_dual_mov_b32 v6, 0 :: v_dual_and_b32 v7, 0xff, v47
	v_cmpx_ne_u16_e32 0, v7
	s_cbranch_execz .LBB446_2467
; %bb.2460:                             ;   in Loop: Header=BB446_1574 Depth=1
	v_bfrev_b32_e32 v6, 1
	s_mov_b32 s13, exec_lo
	v_cmpx_ne_u16_e32 0x80, v7
	s_cbranch_execz .LBB446_2466
; %bb.2461:                             ;   in Loop: Header=BB446_1574 Depth=1
	v_bfe_u32 v7, v3, 16, 7
	v_mov_b32_e32 v6, 0x7f800001
	s_mov_b32 s15, exec_lo
	s_delay_alu instid0(VALU_DEP_2)
	v_cmpx_ne_u32_e32 0x7f, v7
	s_cbranch_execz .LBB446_2465
; %bb.2462:                             ;   in Loop: Header=BB446_1574 Depth=1
	v_and_b32_e32 v9, 7, v47
	v_lshrrev_b32_e32 v56, 3, v7
	v_cmp_gt_u32_e64 s0, 8, v7
	s_delay_alu instid0(VALU_DEP_3) | instskip(NEXT) | instid1(VALU_DEP_2)
	v_dual_mov_b32 v6, v9 :: v_dual_mov_b32 v7, v10
	s_and_saveexec_b32 s16, s0
; %bb.2463:                             ;   in Loop: Header=BB446_1574 Depth=1
	v_clz_i32_u32_e32 v6, v9
	s_delay_alu instid0(VALU_DEP_1) | instskip(NEXT) | instid1(VALU_DEP_1)
	v_min_u32_e32 v56, 32, v6
	v_subrev_nc_u32_e32 v6, 28, v56
	v_sub_nc_u32_e32 v56, 29, v56
	s_delay_alu instid0(VALU_DEP_2) | instskip(NEXT) | instid1(VALU_DEP_1)
	v_lshlrev_b64 v[6:7], v6, v[9:10]
	v_and_b32_e32 v6, 7, v6
; %bb.2464:                             ;   in Loop: Header=BB446_1574 Depth=1
	s_or_b32 exec_lo, exec_lo, s16
	v_lshlrev_b32_e32 v7, 24, v47
	s_delay_alu instid0(VALU_DEP_2) | instskip(SKIP_1) | instid1(VALU_DEP_3)
	v_lshlrev_b32_e32 v6, 20, v6
	v_lshl_add_u32 v9, v56, 23, 0x3c000000
	v_and_b32_e32 v7, 0x80000000, v7
	s_delay_alu instid0(VALU_DEP_1)
	v_or3_b32 v6, v6, v7, v9
.LBB446_2465:                           ;   in Loop: Header=BB446_1574 Depth=1
	s_or_b32 exec_lo, exec_lo, s15
.LBB446_2466:                           ;   in Loop: Header=BB446_1574 Depth=1
	s_delay_alu instid0(SALU_CYCLE_1)
	s_or_b32 exec_lo, exec_lo, s13
.LBB446_2467:                           ;   in Loop: Header=BB446_1574 Depth=1
	s_delay_alu instid0(SALU_CYCLE_1) | instskip(NEXT) | instid1(VALU_DEP_1)
	s_or_b32 exec_lo, exec_lo, s12
	v_mul_f32_e32 v6, v8, v6
                                        ; implicit-def: $vgpr47
	s_delay_alu instid0(VALU_DEP_1) | instskip(NEXT) | instid1(VALU_DEP_1)
	v_and_b32_e32 v7, 0x7f800000, v6
	v_cmp_ne_u32_e64 s0, 0x7f800000, v7
	s_delay_alu instid0(VALU_DEP_1) | instskip(NEXT) | instid1(SALU_CYCLE_1)
	s_and_saveexec_b32 s12, s0
	s_xor_b32 s0, exec_lo, s12
; %bb.2468:                             ;   in Loop: Header=BB446_1574 Depth=1
	v_bfe_u32 v7, v6, 16, 1
	s_delay_alu instid0(VALU_DEP_1)
	v_add3_u32 v47, v6, v7, 0x7fff
                                        ; implicit-def: $vgpr6
; %bb.2469:                             ;   in Loop: Header=BB446_1574 Depth=1
	s_and_not1_saveexec_b32 s12, s0
; %bb.2470:                             ;   in Loop: Header=BB446_1574 Depth=1
	v_and_b32_e32 v7, 0xffff, v6
	v_or_b32_e32 v9, 0x10000, v6
	s_delay_alu instid0(VALU_DEP_2) | instskip(NEXT) | instid1(VALU_DEP_1)
	v_cmp_eq_u32_e64 s0, 0, v7
	v_cndmask_b32_e64 v47, v9, v6, s0
; %bb.2471:                             ;   in Loop: Header=BB446_1574 Depth=1
	s_or_b32 exec_lo, exec_lo, s12
	v_cmp_lt_u64_e64 s0, s[8:9], v[2:3]
	v_mov_b32_e32 v2, 0
	s_delay_alu instid0(VALU_DEP_2)
	s_and_saveexec_b32 s12, s0
	s_cbranch_execz .LBB446_2479
; %bb.2472:                             ;   in Loop: Header=BB446_1574 Depth=1
	v_lshrrev_b32_e32 v6, 24, v3
	v_bfrev_b32_e32 v2, 1
	s_mov_b32 s13, exec_lo
	s_delay_alu instid0(VALU_DEP_2)
	v_cmpx_ne_u32_e32 0x80, v6
	s_cbranch_execz .LBB446_2478
; %bb.2473:                             ;   in Loop: Header=BB446_1574 Depth=1
	v_bfe_u32 v3, v3, 24, 7
	v_mov_b32_e32 v2, 0x7f800001
	s_mov_b32 s15, exec_lo
	s_delay_alu instid0(VALU_DEP_2)
	v_cmpx_ne_u32_e32 0x7f, v3
	s_cbranch_execz .LBB446_2477
; %bb.2474:                             ;   in Loop: Header=BB446_1574 Depth=1
	v_and_b32_e32 v9, 7, v6
	v_lshrrev_b32_e32 v7, 3, v3
	v_cmp_gt_u32_e64 s0, 8, v3
	s_delay_alu instid0(VALU_DEP_3) | instskip(NEXT) | instid1(VALU_DEP_2)
	v_dual_mov_b32 v2, v9 :: v_dual_mov_b32 v3, v10
	s_and_saveexec_b32 s16, s0
; %bb.2475:                             ;   in Loop: Header=BB446_1574 Depth=1
	v_clz_i32_u32_e32 v2, v9
	s_delay_alu instid0(VALU_DEP_1) | instskip(NEXT) | instid1(VALU_DEP_1)
	v_min_u32_e32 v7, 32, v2
	v_subrev_nc_u32_e32 v2, 28, v7
	v_sub_nc_u32_e32 v7, 29, v7
	s_delay_alu instid0(VALU_DEP_2) | instskip(NEXT) | instid1(VALU_DEP_1)
	v_lshlrev_b64 v[2:3], v2, v[9:10]
	v_and_b32_e32 v2, 7, v2
; %bb.2476:                             ;   in Loop: Header=BB446_1574 Depth=1
	s_or_b32 exec_lo, exec_lo, s16
	v_lshlrev_b32_e32 v3, 24, v6
	s_delay_alu instid0(VALU_DEP_2) | instskip(SKIP_1) | instid1(VALU_DEP_3)
	v_lshlrev_b32_e32 v2, 20, v2
	v_lshl_add_u32 v6, v7, 23, 0x3c000000
	v_and_b32_e32 v3, 0x80000000, v3
	s_delay_alu instid0(VALU_DEP_1)
	v_or3_b32 v2, v2, v3, v6
.LBB446_2477:                           ;   in Loop: Header=BB446_1574 Depth=1
	s_or_b32 exec_lo, exec_lo, s15
.LBB446_2478:                           ;   in Loop: Header=BB446_1574 Depth=1
	s_delay_alu instid0(SALU_CYCLE_1)
	s_or_b32 exec_lo, exec_lo, s13
.LBB446_2479:                           ;   in Loop: Header=BB446_1574 Depth=1
	s_delay_alu instid0(SALU_CYCLE_1) | instskip(NEXT) | instid1(VALU_DEP_1)
	s_or_b32 exec_lo, exec_lo, s12
	v_mul_f32_e32 v3, v8, v2
	s_delay_alu instid0(VALU_DEP_1) | instskip(NEXT) | instid1(VALU_DEP_1)
	v_and_b32_e32 v2, 0x7f800000, v3
	v_cmp_ne_u32_e64 s0, 0x7f800000, v2
                                        ; implicit-def: $vgpr2
	s_delay_alu instid0(VALU_DEP_1) | instskip(NEXT) | instid1(SALU_CYCLE_1)
	s_and_saveexec_b32 s12, s0
	s_xor_b32 s0, exec_lo, s12
; %bb.2480:                             ;   in Loop: Header=BB446_1574 Depth=1
	v_bfe_u32 v2, v3, 16, 1
	s_delay_alu instid0(VALU_DEP_1)
	v_add3_u32 v2, v3, v2, 0x7fff
                                        ; implicit-def: $vgpr3
; %bb.2481:                             ;   in Loop: Header=BB446_1574 Depth=1
	s_and_not1_saveexec_b32 s12, s0
; %bb.2482:                             ;   in Loop: Header=BB446_1574 Depth=1
	v_and_b32_e32 v2, 0xffff, v3
	v_or_b32_e32 v6, 0x10000, v3
	s_delay_alu instid0(VALU_DEP_2) | instskip(NEXT) | instid1(VALU_DEP_1)
	v_cmp_eq_u32_e64 s0, 0, v2
	v_cndmask_b32_e64 v2, v6, v3, s0
; %bb.2483:                             ;   in Loop: Header=BB446_1574 Depth=1
	s_or_b32 exec_lo, exec_lo, s12
	v_lshrrev_b32_e32 v6, 16, v46
	v_lshrrev_b32_e32 v7, 16, v45
	;; [unrolled: 1-line block ×8, first 2 shown]
	s_and_saveexec_b32 s12, vcc_lo
	s_cbranch_execz .LBB446_2485
; %bb.2484:                             ;   in Loop: Header=BB446_1574 Depth=1
	v_cmp_lt_i32_e64 s0, v86, v38
	s_delay_alu instid0(VALU_DEP_1) | instskip(SKIP_1) | instid1(VALU_DEP_1)
	v_cndmask_b32_e64 v41, 0, v41, s0
	v_cmp_lt_i32_e64 s0, v101, v38
	v_cndmask_b32_e64 v42, 0, v42, s0
	v_cmp_lt_i32_e64 s0, v100, v38
	s_delay_alu instid0(VALU_DEP_1) | instskip(SKIP_1) | instid1(VALU_DEP_1)
	v_cndmask_b32_e64 v43, 0, v43, s0
	v_cmp_lt_i32_e64 s0, v99, v38
	v_cndmask_b32_e64 v9, 0, v9, s0
	;; [unrolled: 5-line block ×4, first 2 shown]
.LBB446_2485:                           ;   in Loop: Header=BB446_1574 Depth=1
	s_or_b32 exec_lo, exec_lo, s12
	v_lshlrev_b32_e32 v41, 16, v41
	s_delay_alu instid0(VALU_DEP_1) | instskip(NEXT) | instid1(VALU_DEP_1)
	v_mul_f32_e32 v44, v102, v41
	v_and_b32_e32 v41, 0x7f800000, v44
	s_delay_alu instid0(VALU_DEP_1) | instskip(NEXT) | instid1(VALU_DEP_1)
	v_cmp_ne_u32_e64 s0, 0x7f800000, v41
                                        ; implicit-def: $vgpr41
	s_and_saveexec_b32 s12, s0
	s_delay_alu instid0(SALU_CYCLE_1)
	s_xor_b32 s0, exec_lo, s12
; %bb.2486:                             ;   in Loop: Header=BB446_1574 Depth=1
	v_bfe_u32 v41, v44, 16, 1
	s_delay_alu instid0(VALU_DEP_1)
	v_add3_u32 v41, v44, v41, 0x7fff
                                        ; implicit-def: $vgpr44
; %bb.2487:                             ;   in Loop: Header=BB446_1574 Depth=1
	s_and_not1_saveexec_b32 s12, s0
; %bb.2488:                             ;   in Loop: Header=BB446_1574 Depth=1
	v_and_b32_e32 v41, 0xffff, v44
	v_or_b32_e32 v45, 0x10000, v44
	s_delay_alu instid0(VALU_DEP_2) | instskip(NEXT) | instid1(VALU_DEP_1)
	v_cmp_eq_u32_e64 s0, 0, v41
	v_cndmask_b32_e64 v41, v45, v44, s0
; %bb.2489:                             ;   in Loop: Header=BB446_1574 Depth=1
	s_or_b32 exec_lo, exec_lo, s12
	v_lshlrev_b32_e32 v42, 16, v42
	s_delay_alu instid0(VALU_DEP_1) | instskip(NEXT) | instid1(VALU_DEP_1)
	v_mul_f32_e32 v44, v103, v42
	v_and_b32_e32 v42, 0x7f800000, v44
	s_delay_alu instid0(VALU_DEP_1) | instskip(NEXT) | instid1(VALU_DEP_1)
	v_cmp_ne_u32_e64 s0, 0x7f800000, v42
                                        ; implicit-def: $vgpr42
	s_and_saveexec_b32 s12, s0
	s_delay_alu instid0(SALU_CYCLE_1)
	s_xor_b32 s0, exec_lo, s12
; %bb.2490:                             ;   in Loop: Header=BB446_1574 Depth=1
	v_bfe_u32 v42, v44, 16, 1
	s_delay_alu instid0(VALU_DEP_1)
	v_add3_u32 v42, v44, v42, 0x7fff
                                        ; implicit-def: $vgpr44
; %bb.2491:                             ;   in Loop: Header=BB446_1574 Depth=1
	s_and_not1_saveexec_b32 s12, s0
; %bb.2492:                             ;   in Loop: Header=BB446_1574 Depth=1
	v_and_b32_e32 v42, 0xffff, v44
	v_or_b32_e32 v45, 0x10000, v44
	s_delay_alu instid0(VALU_DEP_2) | instskip(NEXT) | instid1(VALU_DEP_1)
	v_cmp_eq_u32_e64 s0, 0, v42
	v_cndmask_b32_e64 v42, v45, v44, s0
; %bb.2493:                             ;   in Loop: Header=BB446_1574 Depth=1
	s_or_b32 exec_lo, exec_lo, s12
	v_lshlrev_b32_e32 v43, 16, v43
	s_delay_alu instid0(VALU_DEP_1) | instskip(NEXT) | instid1(VALU_DEP_1)
	v_mul_f32_e32 v44, v112, v43
	v_and_b32_e32 v43, 0x7f800000, v44
	s_delay_alu instid0(VALU_DEP_1) | instskip(NEXT) | instid1(VALU_DEP_1)
	v_cmp_ne_u32_e64 s0, 0x7f800000, v43
                                        ; implicit-def: $vgpr43
	s_and_saveexec_b32 s12, s0
	s_delay_alu instid0(SALU_CYCLE_1)
	s_xor_b32 s0, exec_lo, s12
; %bb.2494:                             ;   in Loop: Header=BB446_1574 Depth=1
	v_bfe_u32 v43, v44, 16, 1
	s_delay_alu instid0(VALU_DEP_1)
	v_add3_u32 v43, v44, v43, 0x7fff
                                        ; implicit-def: $vgpr44
; %bb.2495:                             ;   in Loop: Header=BB446_1574 Depth=1
	s_and_not1_saveexec_b32 s12, s0
; %bb.2496:                             ;   in Loop: Header=BB446_1574 Depth=1
	v_and_b32_e32 v43, 0xffff, v44
	v_or_b32_e32 v45, 0x10000, v44
	s_delay_alu instid0(VALU_DEP_2) | instskip(NEXT) | instid1(VALU_DEP_1)
	v_cmp_eq_u32_e64 s0, 0, v43
	v_cndmask_b32_e64 v43, v45, v44, s0
; %bb.2497:                             ;   in Loop: Header=BB446_1574 Depth=1
	s_or_b32 exec_lo, exec_lo, s12
	v_lshlrev_b32_e32 v9, 16, v9
	s_delay_alu instid0(VALU_DEP_1) | instskip(NEXT) | instid1(VALU_DEP_1)
	v_mul_f32_e32 v9, v113, v9
	v_and_b32_e32 v44, 0x7f800000, v9
	s_delay_alu instid0(VALU_DEP_1) | instskip(NEXT) | instid1(VALU_DEP_1)
	v_cmp_ne_u32_e64 s0, 0x7f800000, v44
                                        ; implicit-def: $vgpr44
	s_and_saveexec_b32 s12, s0
	s_delay_alu instid0(SALU_CYCLE_1)
	s_xor_b32 s0, exec_lo, s12
; %bb.2498:                             ;   in Loop: Header=BB446_1574 Depth=1
	v_bfe_u32 v44, v9, 16, 1
	s_delay_alu instid0(VALU_DEP_1)
	v_add3_u32 v44, v9, v44, 0x7fff
                                        ; implicit-def: $vgpr9
; %bb.2499:                             ;   in Loop: Header=BB446_1574 Depth=1
	s_and_not1_saveexec_b32 s12, s0
; %bb.2500:                             ;   in Loop: Header=BB446_1574 Depth=1
	v_and_b32_e32 v44, 0xffff, v9
	v_or_b32_e32 v45, 0x10000, v9
	s_delay_alu instid0(VALU_DEP_2) | instskip(NEXT) | instid1(VALU_DEP_1)
	v_cmp_eq_u32_e64 s0, 0, v44
	v_cndmask_b32_e64 v44, v45, v9, s0
; %bb.2501:                             ;   in Loop: Header=BB446_1574 Depth=1
	s_or_b32 exec_lo, exec_lo, s12
	v_lshlrev_b32_e32 v7, 16, v7
                                        ; implicit-def: $vgpr45
	s_delay_alu instid0(VALU_DEP_1) | instskip(NEXT) | instid1(VALU_DEP_1)
	v_mul_f32_e32 v7, v114, v7
	v_and_b32_e32 v9, 0x7f800000, v7
	s_delay_alu instid0(VALU_DEP_1) | instskip(NEXT) | instid1(VALU_DEP_1)
	v_cmp_ne_u32_e64 s0, 0x7f800000, v9
	s_and_saveexec_b32 s12, s0
	s_delay_alu instid0(SALU_CYCLE_1)
	s_xor_b32 s0, exec_lo, s12
; %bb.2502:                             ;   in Loop: Header=BB446_1574 Depth=1
	v_bfe_u32 v9, v7, 16, 1
	s_delay_alu instid0(VALU_DEP_1)
	v_add3_u32 v45, v7, v9, 0x7fff
                                        ; implicit-def: $vgpr7
; %bb.2503:                             ;   in Loop: Header=BB446_1574 Depth=1
	s_and_not1_saveexec_b32 s12, s0
; %bb.2504:                             ;   in Loop: Header=BB446_1574 Depth=1
	v_and_b32_e32 v9, 0xffff, v7
	v_or_b32_e32 v45, 0x10000, v7
	s_delay_alu instid0(VALU_DEP_2) | instskip(NEXT) | instid1(VALU_DEP_1)
	v_cmp_eq_u32_e64 s0, 0, v9
	v_cndmask_b32_e64 v45, v45, v7, s0
; %bb.2505:                             ;   in Loop: Header=BB446_1574 Depth=1
	s_or_b32 exec_lo, exec_lo, s12
	v_lshlrev_b32_e32 v6, 16, v6
                                        ; implicit-def: $vgpr46
	s_delay_alu instid0(VALU_DEP_1) | instskip(NEXT) | instid1(VALU_DEP_1)
	v_mul_f32_e32 v6, v115, v6
	v_and_b32_e32 v7, 0x7f800000, v6
	s_delay_alu instid0(VALU_DEP_1) | instskip(NEXT) | instid1(VALU_DEP_1)
	v_cmp_ne_u32_e64 s0, 0x7f800000, v7
	s_and_saveexec_b32 s12, s0
	s_delay_alu instid0(SALU_CYCLE_1)
	s_xor_b32 s0, exec_lo, s12
; %bb.2506:                             ;   in Loop: Header=BB446_1574 Depth=1
	v_bfe_u32 v7, v6, 16, 1
	s_delay_alu instid0(VALU_DEP_1)
	v_add3_u32 v46, v6, v7, 0x7fff
                                        ; implicit-def: $vgpr6
; %bb.2507:                             ;   in Loop: Header=BB446_1574 Depth=1
	s_and_not1_saveexec_b32 s12, s0
; %bb.2508:                             ;   in Loop: Header=BB446_1574 Depth=1
	v_and_b32_e32 v7, 0xffff, v6
	v_or_b32_e32 v9, 0x10000, v6
	s_delay_alu instid0(VALU_DEP_2) | instskip(NEXT) | instid1(VALU_DEP_1)
	v_cmp_eq_u32_e64 s0, 0, v7
	v_cndmask_b32_e64 v46, v9, v6, s0
; %bb.2509:                             ;   in Loop: Header=BB446_1574 Depth=1
	s_or_b32 exec_lo, exec_lo, s12
	v_lshlrev_b32_e32 v3, 16, v3
                                        ; implicit-def: $vgpr47
	s_delay_alu instid0(VALU_DEP_1) | instskip(NEXT) | instid1(VALU_DEP_1)
	v_mul_f32_e32 v3, v116, v3
	v_and_b32_e32 v6, 0x7f800000, v3
	s_delay_alu instid0(VALU_DEP_1) | instskip(NEXT) | instid1(VALU_DEP_1)
	v_cmp_ne_u32_e64 s0, 0x7f800000, v6
	s_and_saveexec_b32 s12, s0
	s_delay_alu instid0(SALU_CYCLE_1)
	s_xor_b32 s0, exec_lo, s12
; %bb.2510:                             ;   in Loop: Header=BB446_1574 Depth=1
	v_bfe_u32 v6, v3, 16, 1
	s_delay_alu instid0(VALU_DEP_1)
	v_add3_u32 v47, v3, v6, 0x7fff
                                        ; implicit-def: $vgpr3
; %bb.2511:                             ;   in Loop: Header=BB446_1574 Depth=1
	s_and_not1_saveexec_b32 s12, s0
; %bb.2512:                             ;   in Loop: Header=BB446_1574 Depth=1
	v_and_b32_e32 v6, 0xffff, v3
	v_or_b32_e32 v7, 0x10000, v3
	s_delay_alu instid0(VALU_DEP_2) | instskip(NEXT) | instid1(VALU_DEP_1)
	v_cmp_eq_u32_e64 s0, 0, v6
	v_cndmask_b32_e64 v47, v7, v3, s0
; %bb.2513:                             ;   in Loop: Header=BB446_1574 Depth=1
	s_or_b32 exec_lo, exec_lo, s12
	v_lshlrev_b32_e32 v2, 16, v2
                                        ; implicit-def: $vgpr56
	s_delay_alu instid0(VALU_DEP_1) | instskip(NEXT) | instid1(VALU_DEP_1)
	v_mul_f32_e32 v2, v117, v2
	v_and_b32_e32 v3, 0x7f800000, v2
	s_delay_alu instid0(VALU_DEP_1) | instskip(NEXT) | instid1(VALU_DEP_1)
	v_cmp_ne_u32_e64 s0, 0x7f800000, v3
	s_and_saveexec_b32 s12, s0
	s_delay_alu instid0(SALU_CYCLE_1)
	s_xor_b32 s0, exec_lo, s12
; %bb.2514:                             ;   in Loop: Header=BB446_1574 Depth=1
	v_bfe_u32 v3, v2, 16, 1
	s_delay_alu instid0(VALU_DEP_1)
	v_add3_u32 v56, v2, v3, 0x7fff
                                        ; implicit-def: $vgpr2
; %bb.2515:                             ;   in Loop: Header=BB446_1574 Depth=1
	s_and_not1_saveexec_b32 s12, s0
; %bb.2516:                             ;   in Loop: Header=BB446_1574 Depth=1
	v_and_b32_e32 v3, 0xffff, v2
	v_or_b32_e32 v6, 0x10000, v2
	s_delay_alu instid0(VALU_DEP_2) | instskip(NEXT) | instid1(VALU_DEP_1)
	v_cmp_eq_u32_e64 s0, 0, v3
	v_cndmask_b32_e64 v56, v6, v2, s0
; %bb.2517:                             ;   in Loop: Header=BB446_1574 Depth=1
	s_or_b32 exec_lo, exec_lo, s12
	flat_load_b64 v[2:3], v[0:1] offset:1792
	s_mov_b32 s12, exec_lo
	s_waitcnt vmcnt(0) lgkmcnt(0)
	v_dual_mov_b32 v6, 0 :: v_dual_and_b32 v7, 0xff, v2
	s_delay_alu instid0(VALU_DEP_1)
	v_cmpx_ne_u16_e32 0, v7
	s_cbranch_execz .LBB446_2525
; %bb.2518:                             ;   in Loop: Header=BB446_1574 Depth=1
	v_bfrev_b32_e32 v6, 1
	s_mov_b32 s13, exec_lo
	v_cmpx_ne_u16_e32 0x80, v7
	s_cbranch_execz .LBB446_2524
; %bb.2519:                             ;   in Loop: Header=BB446_1574 Depth=1
	v_and_b32_e32 v7, 0x7f, v2
	v_mov_b32_e32 v6, 0x7f800001
	s_mov_b32 s15, exec_lo
	s_delay_alu instid0(VALU_DEP_2)
	v_cmpx_ne_u32_e32 0x7f, v7
	s_cbranch_execz .LBB446_2523
; %bb.2520:                             ;   in Loop: Header=BB446_1574 Depth=1
	v_lshrrev_b32_e32 v9, 3, v7
	v_cmp_gt_u32_e64 s0, 8, v7
	v_dual_mov_b32 v7, v3 :: v_dual_mov_b32 v6, v2
	s_delay_alu instid0(VALU_DEP_2)
	s_and_saveexec_b32 s16, s0
; %bb.2521:                             ;   in Loop: Header=BB446_1574 Depth=1
	v_and_b32_e32 v6, 7, v2
	s_delay_alu instid0(VALU_DEP_1) | instskip(NEXT) | instid1(VALU_DEP_1)
	v_clz_i32_u32_e32 v6, v6
	v_min_u32_e32 v9, 32, v6
	s_delay_alu instid0(VALU_DEP_1) | instskip(SKIP_1) | instid1(VALU_DEP_2)
	v_subrev_nc_u32_e32 v6, 28, v9
	v_sub_nc_u32_e32 v9, 29, v9
	v_lshlrev_b64 v[6:7], v6, v[2:3]
; %bb.2522:                             ;   in Loop: Header=BB446_1574 Depth=1
	s_or_b32 exec_lo, exec_lo, s16
	s_delay_alu instid0(VALU_DEP_1) | instskip(SKIP_2) | instid1(VALU_DEP_3)
	v_lshlrev_b32_e32 v6, 20, v6
	v_lshlrev_b32_e32 v7, 24, v2
	v_lshl_add_u32 v9, v9, 23, 0x3c000000
	v_and_b32_e32 v6, 0x700000, v6
	s_delay_alu instid0(VALU_DEP_3) | instskip(NEXT) | instid1(VALU_DEP_1)
	v_and_b32_e32 v7, 0x80000000, v7
	v_or3_b32 v6, v6, v7, v9
.LBB446_2523:                           ;   in Loop: Header=BB446_1574 Depth=1
	s_or_b32 exec_lo, exec_lo, s15
.LBB446_2524:                           ;   in Loop: Header=BB446_1574 Depth=1
	s_delay_alu instid0(SALU_CYCLE_1)
	s_or_b32 exec_lo, exec_lo, s13
.LBB446_2525:                           ;   in Loop: Header=BB446_1574 Depth=1
	s_delay_alu instid0(SALU_CYCLE_1) | instskip(NEXT) | instid1(VALU_DEP_1)
	s_or_b32 exec_lo, exec_lo, s12
	v_mul_f32_e32 v6, v8, v6
                                        ; implicit-def: $vgpr57
	s_delay_alu instid0(VALU_DEP_1) | instskip(NEXT) | instid1(VALU_DEP_1)
	v_and_b32_e32 v7, 0x7f800000, v6
	v_cmp_ne_u32_e64 s0, 0x7f800000, v7
	s_delay_alu instid0(VALU_DEP_1) | instskip(NEXT) | instid1(SALU_CYCLE_1)
	s_and_saveexec_b32 s12, s0
	s_xor_b32 s0, exec_lo, s12
; %bb.2526:                             ;   in Loop: Header=BB446_1574 Depth=1
	v_bfe_u32 v7, v6, 16, 1
	s_delay_alu instid0(VALU_DEP_1)
	v_add3_u32 v57, v6, v7, 0x7fff
                                        ; implicit-def: $vgpr6
; %bb.2527:                             ;   in Loop: Header=BB446_1574 Depth=1
	s_and_not1_saveexec_b32 s12, s0
; %bb.2528:                             ;   in Loop: Header=BB446_1574 Depth=1
	v_and_b32_e32 v7, 0xffff, v6
	v_or_b32_e32 v9, 0x10000, v6
	s_delay_alu instid0(VALU_DEP_2) | instskip(NEXT) | instid1(VALU_DEP_1)
	v_cmp_eq_u32_e64 s0, 0, v7
	v_cndmask_b32_e64 v57, v9, v6, s0
; %bb.2529:                             ;   in Loop: Header=BB446_1574 Depth=1
	s_or_b32 exec_lo, exec_lo, s12
	v_lshrrev_b16 v7, 8, v2
	v_mov_b32_e32 v6, 0
	s_mov_b32 s12, exec_lo
	s_delay_alu instid0(VALU_DEP_2)
	v_cmpx_ne_u16_e32 0, v7
	s_cbranch_execz .LBB446_2537
; %bb.2530:                             ;   in Loop: Header=BB446_1574 Depth=1
	v_bfrev_b32_e32 v6, 1
	s_mov_b32 s13, exec_lo
	v_cmpx_ne_u16_e32 0x80, v7
	s_cbranch_execz .LBB446_2536
; %bb.2531:                             ;   in Loop: Header=BB446_1574 Depth=1
	v_and_b32_e32 v9, 0xffff, v7
	v_mov_b32_e32 v6, 0x7f800001
	s_mov_b32 s15, exec_lo
	s_delay_alu instid0(VALU_DEP_2) | instskip(NEXT) | instid1(VALU_DEP_1)
	v_and_b32_e32 v7, 0x7f, v9
	v_cmpx_ne_u32_e32 0x7f, v7
	s_cbranch_execz .LBB446_2535
; %bb.2532:                             ;   in Loop: Header=BB446_1574 Depth=1
	v_and_b32_e32 v9, 7, v9
	v_lshrrev_b32_e32 v58, 3, v7
	v_cmp_gt_u32_e64 s0, 8, v7
	s_delay_alu instid0(VALU_DEP_3) | instskip(NEXT) | instid1(VALU_DEP_2)
	v_dual_mov_b32 v6, v9 :: v_dual_mov_b32 v7, v10
	s_and_saveexec_b32 s16, s0
; %bb.2533:                             ;   in Loop: Header=BB446_1574 Depth=1
	v_clz_i32_u32_e32 v6, v9
	s_delay_alu instid0(VALU_DEP_1) | instskip(NEXT) | instid1(VALU_DEP_1)
	v_min_u32_e32 v58, 32, v6
	v_subrev_nc_u32_e32 v6, 28, v58
	v_sub_nc_u32_e32 v58, 29, v58
	s_delay_alu instid0(VALU_DEP_2) | instskip(NEXT) | instid1(VALU_DEP_1)
	v_lshlrev_b64 v[6:7], v6, v[9:10]
	v_and_b32_e32 v6, 7, v6
; %bb.2534:                             ;   in Loop: Header=BB446_1574 Depth=1
	s_or_b32 exec_lo, exec_lo, s16
	v_lshlrev_b32_e32 v7, 16, v2
	s_delay_alu instid0(VALU_DEP_2) | instskip(SKIP_1) | instid1(VALU_DEP_3)
	v_lshlrev_b32_e32 v6, 20, v6
	v_lshl_add_u32 v9, v58, 23, 0x3c000000
	v_and_b32_e32 v7, 0x80000000, v7
	s_delay_alu instid0(VALU_DEP_1)
	v_or3_b32 v6, v6, v7, v9
.LBB446_2535:                           ;   in Loop: Header=BB446_1574 Depth=1
	s_or_b32 exec_lo, exec_lo, s15
.LBB446_2536:                           ;   in Loop: Header=BB446_1574 Depth=1
	s_delay_alu instid0(SALU_CYCLE_1)
	s_or_b32 exec_lo, exec_lo, s13
.LBB446_2537:                           ;   in Loop: Header=BB446_1574 Depth=1
	s_delay_alu instid0(SALU_CYCLE_1) | instskip(NEXT) | instid1(VALU_DEP_1)
	s_or_b32 exec_lo, exec_lo, s12
	v_mul_f32_e32 v6, v8, v6
                                        ; implicit-def: $vgpr58
	s_delay_alu instid0(VALU_DEP_1) | instskip(NEXT) | instid1(VALU_DEP_1)
	v_and_b32_e32 v7, 0x7f800000, v6
	v_cmp_ne_u32_e64 s0, 0x7f800000, v7
	s_delay_alu instid0(VALU_DEP_1) | instskip(NEXT) | instid1(SALU_CYCLE_1)
	s_and_saveexec_b32 s12, s0
	s_xor_b32 s0, exec_lo, s12
; %bb.2538:                             ;   in Loop: Header=BB446_1574 Depth=1
	v_bfe_u32 v7, v6, 16, 1
	s_delay_alu instid0(VALU_DEP_1)
	v_add3_u32 v58, v6, v7, 0x7fff
                                        ; implicit-def: $vgpr6
; %bb.2539:                             ;   in Loop: Header=BB446_1574 Depth=1
	s_and_not1_saveexec_b32 s12, s0
; %bb.2540:                             ;   in Loop: Header=BB446_1574 Depth=1
	v_and_b32_e32 v7, 0xffff, v6
	v_or_b32_e32 v9, 0x10000, v6
	s_delay_alu instid0(VALU_DEP_2) | instskip(NEXT) | instid1(VALU_DEP_1)
	v_cmp_eq_u32_e64 s0, 0, v7
	v_cndmask_b32_e64 v58, v9, v6, s0
; %bb.2541:                             ;   in Loop: Header=BB446_1574 Depth=1
	s_or_b32 exec_lo, exec_lo, s12
	v_lshrrev_b32_e32 v59, 16, v2
	s_mov_b32 s12, exec_lo
	s_delay_alu instid0(VALU_DEP_1) | instskip(NEXT) | instid1(VALU_DEP_1)
	v_dual_mov_b32 v6, 0 :: v_dual_and_b32 v7, 0xff, v59
	v_cmpx_ne_u16_e32 0, v7
	s_cbranch_execz .LBB446_2549
; %bb.2542:                             ;   in Loop: Header=BB446_1574 Depth=1
	v_bfrev_b32_e32 v6, 1
	s_mov_b32 s13, exec_lo
	v_cmpx_ne_u16_e32 0x80, v7
	s_cbranch_execz .LBB446_2548
; %bb.2543:                             ;   in Loop: Header=BB446_1574 Depth=1
	v_bfe_u32 v7, v2, 16, 7
	v_mov_b32_e32 v6, 0x7f800001
	s_mov_b32 s15, exec_lo
	s_delay_alu instid0(VALU_DEP_2)
	v_cmpx_ne_u32_e32 0x7f, v7
	s_cbranch_execz .LBB446_2547
; %bb.2544:                             ;   in Loop: Header=BB446_1574 Depth=1
	v_and_b32_e32 v9, 7, v59
	v_lshrrev_b32_e32 v60, 3, v7
	v_cmp_gt_u32_e64 s0, 8, v7
	s_delay_alu instid0(VALU_DEP_3) | instskip(NEXT) | instid1(VALU_DEP_2)
	v_dual_mov_b32 v6, v9 :: v_dual_mov_b32 v7, v10
	s_and_saveexec_b32 s16, s0
; %bb.2545:                             ;   in Loop: Header=BB446_1574 Depth=1
	v_clz_i32_u32_e32 v6, v9
	s_delay_alu instid0(VALU_DEP_1) | instskip(NEXT) | instid1(VALU_DEP_1)
	v_min_u32_e32 v60, 32, v6
	v_subrev_nc_u32_e32 v6, 28, v60
	v_sub_nc_u32_e32 v60, 29, v60
	s_delay_alu instid0(VALU_DEP_2) | instskip(NEXT) | instid1(VALU_DEP_1)
	v_lshlrev_b64 v[6:7], v6, v[9:10]
	v_and_b32_e32 v6, 7, v6
; %bb.2546:                             ;   in Loop: Header=BB446_1574 Depth=1
	s_or_b32 exec_lo, exec_lo, s16
	v_lshlrev_b32_e32 v7, 24, v59
	s_delay_alu instid0(VALU_DEP_2) | instskip(SKIP_1) | instid1(VALU_DEP_3)
	v_lshlrev_b32_e32 v6, 20, v6
	v_lshl_add_u32 v9, v60, 23, 0x3c000000
	v_and_b32_e32 v7, 0x80000000, v7
	s_delay_alu instid0(VALU_DEP_1)
	v_or3_b32 v6, v6, v7, v9
.LBB446_2547:                           ;   in Loop: Header=BB446_1574 Depth=1
	s_or_b32 exec_lo, exec_lo, s15
.LBB446_2548:                           ;   in Loop: Header=BB446_1574 Depth=1
	s_delay_alu instid0(SALU_CYCLE_1)
	s_or_b32 exec_lo, exec_lo, s13
.LBB446_2549:                           ;   in Loop: Header=BB446_1574 Depth=1
	s_delay_alu instid0(SALU_CYCLE_1) | instskip(NEXT) | instid1(VALU_DEP_1)
	s_or_b32 exec_lo, exec_lo, s12
	v_mul_f32_e32 v6, v8, v6
                                        ; implicit-def: $vgpr59
	s_delay_alu instid0(VALU_DEP_1) | instskip(NEXT) | instid1(VALU_DEP_1)
	v_and_b32_e32 v7, 0x7f800000, v6
	v_cmp_ne_u32_e64 s0, 0x7f800000, v7
	s_delay_alu instid0(VALU_DEP_1) | instskip(NEXT) | instid1(SALU_CYCLE_1)
	s_and_saveexec_b32 s12, s0
	s_xor_b32 s0, exec_lo, s12
; %bb.2550:                             ;   in Loop: Header=BB446_1574 Depth=1
	v_bfe_u32 v7, v6, 16, 1
	s_delay_alu instid0(VALU_DEP_1)
	v_add3_u32 v59, v6, v7, 0x7fff
                                        ; implicit-def: $vgpr6
; %bb.2551:                             ;   in Loop: Header=BB446_1574 Depth=1
	s_and_not1_saveexec_b32 s12, s0
; %bb.2552:                             ;   in Loop: Header=BB446_1574 Depth=1
	v_and_b32_e32 v7, 0xffff, v6
	v_or_b32_e32 v9, 0x10000, v6
	s_delay_alu instid0(VALU_DEP_2) | instskip(NEXT) | instid1(VALU_DEP_1)
	v_cmp_eq_u32_e64 s0, 0, v7
	v_cndmask_b32_e64 v59, v9, v6, s0
; %bb.2553:                             ;   in Loop: Header=BB446_1574 Depth=1
	s_or_b32 exec_lo, exec_lo, s12
	v_mov_b32_e32 v6, 0
	s_mov_b32 s12, exec_lo
	v_cmpx_lt_u32_e32 0xffffff, v2
	s_cbranch_execz .LBB446_2561
; %bb.2554:                             ;   in Loop: Header=BB446_1574 Depth=1
	v_lshrrev_b32_e32 v60, 24, v2
	v_bfrev_b32_e32 v6, 1
	s_mov_b32 s13, exec_lo
	s_delay_alu instid0(VALU_DEP_2)
	v_cmpx_ne_u32_e32 0x80, v60
	s_cbranch_execz .LBB446_2560
; %bb.2555:                             ;   in Loop: Header=BB446_1574 Depth=1
	v_bfe_u32 v7, v2, 24, 7
	v_mov_b32_e32 v6, 0x7f800001
	s_mov_b32 s15, exec_lo
	s_delay_alu instid0(VALU_DEP_2)
	v_cmpx_ne_u32_e32 0x7f, v7
	s_cbranch_execz .LBB446_2559
; %bb.2556:                             ;   in Loop: Header=BB446_1574 Depth=1
	v_and_b32_e32 v9, 7, v60
	v_lshrrev_b32_e32 v61, 3, v7
	v_cmp_gt_u32_e64 s0, 8, v7
	s_delay_alu instid0(VALU_DEP_3) | instskip(NEXT) | instid1(VALU_DEP_2)
	v_dual_mov_b32 v6, v9 :: v_dual_mov_b32 v7, v10
	s_and_saveexec_b32 s16, s0
; %bb.2557:                             ;   in Loop: Header=BB446_1574 Depth=1
	v_clz_i32_u32_e32 v6, v9
	s_delay_alu instid0(VALU_DEP_1) | instskip(NEXT) | instid1(VALU_DEP_1)
	v_min_u32_e32 v61, 32, v6
	v_subrev_nc_u32_e32 v6, 28, v61
	v_sub_nc_u32_e32 v61, 29, v61
	s_delay_alu instid0(VALU_DEP_2) | instskip(NEXT) | instid1(VALU_DEP_1)
	v_lshlrev_b64 v[6:7], v6, v[9:10]
	v_and_b32_e32 v6, 7, v6
; %bb.2558:                             ;   in Loop: Header=BB446_1574 Depth=1
	s_or_b32 exec_lo, exec_lo, s16
	v_lshlrev_b32_e32 v7, 24, v60
	s_delay_alu instid0(VALU_DEP_2) | instskip(SKIP_1) | instid1(VALU_DEP_3)
	v_lshlrev_b32_e32 v6, 20, v6
	v_lshl_add_u32 v9, v61, 23, 0x3c000000
	v_and_b32_e32 v7, 0x80000000, v7
	s_delay_alu instid0(VALU_DEP_1)
	v_or3_b32 v6, v6, v7, v9
.LBB446_2559:                           ;   in Loop: Header=BB446_1574 Depth=1
	s_or_b32 exec_lo, exec_lo, s15
.LBB446_2560:                           ;   in Loop: Header=BB446_1574 Depth=1
	s_delay_alu instid0(SALU_CYCLE_1)
	s_or_b32 exec_lo, exec_lo, s13
.LBB446_2561:                           ;   in Loop: Header=BB446_1574 Depth=1
	s_delay_alu instid0(SALU_CYCLE_1) | instskip(NEXT) | instid1(VALU_DEP_1)
	s_or_b32 exec_lo, exec_lo, s12
	v_mul_f32_e32 v6, v8, v6
                                        ; implicit-def: $vgpr60
	s_delay_alu instid0(VALU_DEP_1) | instskip(NEXT) | instid1(VALU_DEP_1)
	v_and_b32_e32 v7, 0x7f800000, v6
	v_cmp_ne_u32_e64 s0, 0x7f800000, v7
	s_delay_alu instid0(VALU_DEP_1) | instskip(NEXT) | instid1(SALU_CYCLE_1)
	s_and_saveexec_b32 s12, s0
	s_xor_b32 s0, exec_lo, s12
; %bb.2562:                             ;   in Loop: Header=BB446_1574 Depth=1
	v_bfe_u32 v7, v6, 16, 1
	s_delay_alu instid0(VALU_DEP_1)
	v_add3_u32 v60, v6, v7, 0x7fff
                                        ; implicit-def: $vgpr6
; %bb.2563:                             ;   in Loop: Header=BB446_1574 Depth=1
	s_and_not1_saveexec_b32 s12, s0
; %bb.2564:                             ;   in Loop: Header=BB446_1574 Depth=1
	v_and_b32_e32 v7, 0xffff, v6
	v_or_b32_e32 v9, 0x10000, v6
	s_delay_alu instid0(VALU_DEP_2) | instskip(NEXT) | instid1(VALU_DEP_1)
	v_cmp_eq_u32_e64 s0, 0, v7
	v_cndmask_b32_e64 v60, v9, v6, s0
; %bb.2565:                             ;   in Loop: Header=BB446_1574 Depth=1
	s_or_b32 exec_lo, exec_lo, s12
	v_dual_mov_b32 v6, 0 :: v_dual_and_b32 v7, 0xff, v3
	v_mov_b32_e32 v9, v3
	s_mov_b32 s12, exec_lo
	s_delay_alu instid0(VALU_DEP_2)
	v_cmpx_ne_u16_e32 0, v7
	s_cbranch_execz .LBB446_2573
; %bb.2566:                             ;   in Loop: Header=BB446_1574 Depth=1
	v_bfrev_b32_e32 v6, 1
	s_mov_b32 s13, exec_lo
	v_cmpx_ne_u16_e32 0x80, v7
	s_cbranch_execz .LBB446_2572
; %bb.2567:                             ;   in Loop: Header=BB446_1574 Depth=1
	v_and_b32_e32 v7, 0x7f, v3
	v_mov_b32_e32 v6, 0x7f800001
	s_mov_b32 s15, exec_lo
	s_delay_alu instid0(VALU_DEP_2)
	v_cmpx_ne_u32_e32 0x7f, v7
	s_cbranch_execz .LBB446_2571
; %bb.2568:                             ;   in Loop: Header=BB446_1574 Depth=1
	v_lshrrev_b32_e32 v61, 3, v7
	v_cmp_gt_u32_e64 s0, 8, v7
	v_dual_mov_b32 v6, v9 :: v_dual_mov_b32 v7, v10
	s_delay_alu instid0(VALU_DEP_2)
	s_and_saveexec_b32 s16, s0
; %bb.2569:                             ;   in Loop: Header=BB446_1574 Depth=1
	v_and_b32_e32 v6, 7, v3
	s_delay_alu instid0(VALU_DEP_1) | instskip(NEXT) | instid1(VALU_DEP_1)
	v_clz_i32_u32_e32 v6, v6
	v_min_u32_e32 v61, 32, v6
	s_delay_alu instid0(VALU_DEP_1) | instskip(SKIP_1) | instid1(VALU_DEP_2)
	v_subrev_nc_u32_e32 v6, 28, v61
	v_sub_nc_u32_e32 v61, 29, v61
	v_lshlrev_b64 v[6:7], v6, v[9:10]
; %bb.2570:                             ;   in Loop: Header=BB446_1574 Depth=1
	s_or_b32 exec_lo, exec_lo, s16
	s_delay_alu instid0(VALU_DEP_1) | instskip(SKIP_2) | instid1(VALU_DEP_3)
	v_lshlrev_b32_e32 v6, 20, v6
	v_lshlrev_b32_e32 v7, 24, v9
	v_lshl_add_u32 v61, v61, 23, 0x3c000000
	v_and_b32_e32 v6, 0x700000, v6
	s_delay_alu instid0(VALU_DEP_3) | instskip(NEXT) | instid1(VALU_DEP_1)
	v_and_b32_e32 v7, 0x80000000, v7
	v_or3_b32 v6, v6, v7, v61
.LBB446_2571:                           ;   in Loop: Header=BB446_1574 Depth=1
	s_or_b32 exec_lo, exec_lo, s15
.LBB446_2572:                           ;   in Loop: Header=BB446_1574 Depth=1
	s_delay_alu instid0(SALU_CYCLE_1)
	s_or_b32 exec_lo, exec_lo, s13
.LBB446_2573:                           ;   in Loop: Header=BB446_1574 Depth=1
	s_delay_alu instid0(SALU_CYCLE_1) | instskip(NEXT) | instid1(VALU_DEP_1)
	s_or_b32 exec_lo, exec_lo, s12
	v_mul_f32_e32 v6, v8, v6
                                        ; implicit-def: $vgpr61
	s_delay_alu instid0(VALU_DEP_1) | instskip(NEXT) | instid1(VALU_DEP_1)
	v_and_b32_e32 v7, 0x7f800000, v6
	v_cmp_ne_u32_e64 s0, 0x7f800000, v7
	s_delay_alu instid0(VALU_DEP_1) | instskip(NEXT) | instid1(SALU_CYCLE_1)
	s_and_saveexec_b32 s12, s0
	s_xor_b32 s0, exec_lo, s12
; %bb.2574:                             ;   in Loop: Header=BB446_1574 Depth=1
	v_bfe_u32 v7, v6, 16, 1
	s_delay_alu instid0(VALU_DEP_1)
	v_add3_u32 v61, v6, v7, 0x7fff
                                        ; implicit-def: $vgpr6
; %bb.2575:                             ;   in Loop: Header=BB446_1574 Depth=1
	s_and_not1_saveexec_b32 s12, s0
; %bb.2576:                             ;   in Loop: Header=BB446_1574 Depth=1
	v_and_b32_e32 v7, 0xffff, v6
	v_or_b32_e32 v61, 0x10000, v6
	s_delay_alu instid0(VALU_DEP_2) | instskip(NEXT) | instid1(VALU_DEP_1)
	v_cmp_eq_u32_e64 s0, 0, v7
	v_cndmask_b32_e64 v61, v61, v6, s0
; %bb.2577:                             ;   in Loop: Header=BB446_1574 Depth=1
	s_or_b32 exec_lo, exec_lo, s12
	v_lshrrev_b16 v7, 8, v9
	v_mov_b32_e32 v6, 0
	s_mov_b32 s12, exec_lo
	s_delay_alu instid0(VALU_DEP_2)
	v_cmpx_ne_u16_e32 0, v7
	s_cbranch_execz .LBB446_2585
; %bb.2578:                             ;   in Loop: Header=BB446_1574 Depth=1
	v_bfrev_b32_e32 v6, 1
	s_mov_b32 s13, exec_lo
	v_cmpx_ne_u16_e32 0x80, v7
	s_cbranch_execz .LBB446_2584
; %bb.2579:                             ;   in Loop: Header=BB446_1574 Depth=1
	v_and_b32_e32 v7, 0xffff, v7
	v_mov_b32_e32 v6, 0x7f800001
	s_mov_b32 s15, exec_lo
	s_delay_alu instid0(VALU_DEP_2) | instskip(NEXT) | instid1(VALU_DEP_1)
	v_and_b32_e32 v63, 0x7f, v7
	v_cmpx_ne_u32_e32 0x7f, v63
	s_cbranch_execz .LBB446_2583
; %bb.2580:                             ;   in Loop: Header=BB446_1574 Depth=1
	v_dual_mov_b32 v7, v10 :: v_dual_and_b32 v6, 7, v7
	v_lshrrev_b32_e32 v62, 3, v63
	s_mov_b32 s16, exec_lo
	v_cmpx_gt_u32_e32 8, v63
; %bb.2581:                             ;   in Loop: Header=BB446_1574 Depth=1
	s_delay_alu instid0(VALU_DEP_3) | instskip(NEXT) | instid1(VALU_DEP_1)
	v_clz_i32_u32_e32 v62, v6
	v_min_u32_e32 v62, 32, v62
	s_delay_alu instid0(VALU_DEP_1) | instskip(SKIP_1) | instid1(VALU_DEP_2)
	v_subrev_nc_u32_e32 v63, 28, v62
	v_sub_nc_u32_e32 v62, 29, v62
	v_lshlrev_b64 v[6:7], v63, v[6:7]
	s_delay_alu instid0(VALU_DEP_1)
	v_and_b32_e32 v6, 7, v6
; %bb.2582:                             ;   in Loop: Header=BB446_1574 Depth=1
	s_or_b32 exec_lo, exec_lo, s16
	v_lshlrev_b32_e32 v7, 16, v9
	s_delay_alu instid0(VALU_DEP_2) | instskip(SKIP_1) | instid1(VALU_DEP_3)
	v_lshlrev_b32_e32 v6, 20, v6
	v_lshl_add_u32 v9, v62, 23, 0x3c000000
	v_and_b32_e32 v7, 0x80000000, v7
	s_delay_alu instid0(VALU_DEP_1)
	v_or3_b32 v6, v6, v7, v9
.LBB446_2583:                           ;   in Loop: Header=BB446_1574 Depth=1
	s_or_b32 exec_lo, exec_lo, s15
.LBB446_2584:                           ;   in Loop: Header=BB446_1574 Depth=1
	s_delay_alu instid0(SALU_CYCLE_1)
	s_or_b32 exec_lo, exec_lo, s13
.LBB446_2585:                           ;   in Loop: Header=BB446_1574 Depth=1
	s_delay_alu instid0(SALU_CYCLE_1) | instskip(NEXT) | instid1(VALU_DEP_1)
	s_or_b32 exec_lo, exec_lo, s12
	v_mul_f32_e32 v6, v8, v6
                                        ; implicit-def: $vgpr62
	s_delay_alu instid0(VALU_DEP_1) | instskip(NEXT) | instid1(VALU_DEP_1)
	v_and_b32_e32 v7, 0x7f800000, v6
	v_cmp_ne_u32_e64 s0, 0x7f800000, v7
	s_delay_alu instid0(VALU_DEP_1) | instskip(NEXT) | instid1(SALU_CYCLE_1)
	s_and_saveexec_b32 s12, s0
	s_xor_b32 s0, exec_lo, s12
; %bb.2586:                             ;   in Loop: Header=BB446_1574 Depth=1
	v_bfe_u32 v7, v6, 16, 1
	s_delay_alu instid0(VALU_DEP_1)
	v_add3_u32 v62, v6, v7, 0x7fff
                                        ; implicit-def: $vgpr6
; %bb.2587:                             ;   in Loop: Header=BB446_1574 Depth=1
	s_and_not1_saveexec_b32 s12, s0
; %bb.2588:                             ;   in Loop: Header=BB446_1574 Depth=1
	v_and_b32_e32 v7, 0xffff, v6
	v_or_b32_e32 v9, 0x10000, v6
	s_delay_alu instid0(VALU_DEP_2) | instskip(NEXT) | instid1(VALU_DEP_1)
	v_cmp_eq_u32_e64 s0, 0, v7
	v_cndmask_b32_e64 v62, v9, v6, s0
; %bb.2589:                             ;   in Loop: Header=BB446_1574 Depth=1
	s_or_b32 exec_lo, exec_lo, s12
	v_lshrrev_b32_e32 v63, 16, v3
	s_mov_b32 s12, exec_lo
	s_delay_alu instid0(VALU_DEP_1) | instskip(NEXT) | instid1(VALU_DEP_1)
	v_dual_mov_b32 v6, 0 :: v_dual_and_b32 v7, 0xff, v63
	v_cmpx_ne_u16_e32 0, v7
	s_cbranch_execz .LBB446_2597
; %bb.2590:                             ;   in Loop: Header=BB446_1574 Depth=1
	v_bfrev_b32_e32 v6, 1
	s_mov_b32 s13, exec_lo
	v_cmpx_ne_u16_e32 0x80, v7
	s_cbranch_execz .LBB446_2596
; %bb.2591:                             ;   in Loop: Header=BB446_1574 Depth=1
	v_bfe_u32 v7, v3, 16, 7
	v_mov_b32_e32 v6, 0x7f800001
	s_mov_b32 s15, exec_lo
	s_delay_alu instid0(VALU_DEP_2)
	v_cmpx_ne_u32_e32 0x7f, v7
	s_cbranch_execz .LBB446_2595
; %bb.2592:                             ;   in Loop: Header=BB446_1574 Depth=1
	v_and_b32_e32 v9, 7, v63
	v_lshrrev_b32_e32 v72, 3, v7
	v_cmp_gt_u32_e64 s0, 8, v7
	s_delay_alu instid0(VALU_DEP_3) | instskip(NEXT) | instid1(VALU_DEP_2)
	v_dual_mov_b32 v6, v9 :: v_dual_mov_b32 v7, v10
	s_and_saveexec_b32 s16, s0
; %bb.2593:                             ;   in Loop: Header=BB446_1574 Depth=1
	v_clz_i32_u32_e32 v6, v9
	s_delay_alu instid0(VALU_DEP_1) | instskip(NEXT) | instid1(VALU_DEP_1)
	v_min_u32_e32 v72, 32, v6
	v_subrev_nc_u32_e32 v6, 28, v72
	v_sub_nc_u32_e32 v72, 29, v72
	s_delay_alu instid0(VALU_DEP_2) | instskip(NEXT) | instid1(VALU_DEP_1)
	v_lshlrev_b64 v[6:7], v6, v[9:10]
	v_and_b32_e32 v6, 7, v6
; %bb.2594:                             ;   in Loop: Header=BB446_1574 Depth=1
	s_or_b32 exec_lo, exec_lo, s16
	v_lshlrev_b32_e32 v7, 24, v63
	s_delay_alu instid0(VALU_DEP_2) | instskip(SKIP_1) | instid1(VALU_DEP_3)
	v_lshlrev_b32_e32 v6, 20, v6
	v_lshl_add_u32 v9, v72, 23, 0x3c000000
	v_and_b32_e32 v7, 0x80000000, v7
	s_delay_alu instid0(VALU_DEP_1)
	v_or3_b32 v6, v6, v7, v9
.LBB446_2595:                           ;   in Loop: Header=BB446_1574 Depth=1
	s_or_b32 exec_lo, exec_lo, s15
.LBB446_2596:                           ;   in Loop: Header=BB446_1574 Depth=1
	s_delay_alu instid0(SALU_CYCLE_1)
	s_or_b32 exec_lo, exec_lo, s13
.LBB446_2597:                           ;   in Loop: Header=BB446_1574 Depth=1
	s_delay_alu instid0(SALU_CYCLE_1) | instskip(NEXT) | instid1(VALU_DEP_1)
	s_or_b32 exec_lo, exec_lo, s12
	v_mul_f32_e32 v6, v8, v6
                                        ; implicit-def: $vgpr63
	s_delay_alu instid0(VALU_DEP_1) | instskip(NEXT) | instid1(VALU_DEP_1)
	v_and_b32_e32 v7, 0x7f800000, v6
	v_cmp_ne_u32_e64 s0, 0x7f800000, v7
	s_delay_alu instid0(VALU_DEP_1) | instskip(NEXT) | instid1(SALU_CYCLE_1)
	s_and_saveexec_b32 s12, s0
	s_xor_b32 s0, exec_lo, s12
; %bb.2598:                             ;   in Loop: Header=BB446_1574 Depth=1
	v_bfe_u32 v7, v6, 16, 1
	s_delay_alu instid0(VALU_DEP_1)
	v_add3_u32 v63, v6, v7, 0x7fff
                                        ; implicit-def: $vgpr6
; %bb.2599:                             ;   in Loop: Header=BB446_1574 Depth=1
	s_and_not1_saveexec_b32 s12, s0
; %bb.2600:                             ;   in Loop: Header=BB446_1574 Depth=1
	v_and_b32_e32 v7, 0xffff, v6
	v_or_b32_e32 v9, 0x10000, v6
	s_delay_alu instid0(VALU_DEP_2) | instskip(NEXT) | instid1(VALU_DEP_1)
	v_cmp_eq_u32_e64 s0, 0, v7
	v_cndmask_b32_e64 v63, v9, v6, s0
; %bb.2601:                             ;   in Loop: Header=BB446_1574 Depth=1
	s_or_b32 exec_lo, exec_lo, s12
	v_cmp_lt_u64_e64 s0, s[8:9], v[2:3]
	v_mov_b32_e32 v2, 0
	s_delay_alu instid0(VALU_DEP_2)
	s_and_saveexec_b32 s12, s0
	s_cbranch_execz .LBB446_2609
; %bb.2602:                             ;   in Loop: Header=BB446_1574 Depth=1
	v_lshrrev_b32_e32 v6, 24, v3
	v_bfrev_b32_e32 v2, 1
	s_mov_b32 s13, exec_lo
	s_delay_alu instid0(VALU_DEP_2)
	v_cmpx_ne_u32_e32 0x80, v6
	s_cbranch_execz .LBB446_2608
; %bb.2603:                             ;   in Loop: Header=BB446_1574 Depth=1
	v_bfe_u32 v3, v3, 24, 7
	v_mov_b32_e32 v2, 0x7f800001
	s_mov_b32 s15, exec_lo
	s_delay_alu instid0(VALU_DEP_2)
	v_cmpx_ne_u32_e32 0x7f, v3
	s_cbranch_execz .LBB446_2607
; %bb.2604:                             ;   in Loop: Header=BB446_1574 Depth=1
	v_and_b32_e32 v9, 7, v6
	v_lshrrev_b32_e32 v7, 3, v3
	v_cmp_gt_u32_e64 s0, 8, v3
	s_delay_alu instid0(VALU_DEP_3) | instskip(NEXT) | instid1(VALU_DEP_2)
	v_dual_mov_b32 v2, v9 :: v_dual_mov_b32 v3, v10
	s_and_saveexec_b32 s16, s0
; %bb.2605:                             ;   in Loop: Header=BB446_1574 Depth=1
	v_clz_i32_u32_e32 v2, v9
	s_delay_alu instid0(VALU_DEP_1) | instskip(NEXT) | instid1(VALU_DEP_1)
	v_min_u32_e32 v7, 32, v2
	v_subrev_nc_u32_e32 v2, 28, v7
	v_sub_nc_u32_e32 v7, 29, v7
	s_delay_alu instid0(VALU_DEP_2) | instskip(NEXT) | instid1(VALU_DEP_1)
	v_lshlrev_b64 v[2:3], v2, v[9:10]
	v_and_b32_e32 v2, 7, v2
; %bb.2606:                             ;   in Loop: Header=BB446_1574 Depth=1
	s_or_b32 exec_lo, exec_lo, s16
	v_lshlrev_b32_e32 v3, 24, v6
	s_delay_alu instid0(VALU_DEP_2) | instskip(SKIP_1) | instid1(VALU_DEP_3)
	v_lshlrev_b32_e32 v2, 20, v2
	v_lshl_add_u32 v6, v7, 23, 0x3c000000
	v_and_b32_e32 v3, 0x80000000, v3
	s_delay_alu instid0(VALU_DEP_1)
	v_or3_b32 v2, v2, v3, v6
.LBB446_2607:                           ;   in Loop: Header=BB446_1574 Depth=1
	s_or_b32 exec_lo, exec_lo, s15
.LBB446_2608:                           ;   in Loop: Header=BB446_1574 Depth=1
	s_delay_alu instid0(SALU_CYCLE_1)
	s_or_b32 exec_lo, exec_lo, s13
.LBB446_2609:                           ;   in Loop: Header=BB446_1574 Depth=1
	s_delay_alu instid0(SALU_CYCLE_1) | instskip(NEXT) | instid1(VALU_DEP_1)
	s_or_b32 exec_lo, exec_lo, s12
	v_mul_f32_e32 v3, v8, v2
	s_delay_alu instid0(VALU_DEP_1) | instskip(NEXT) | instid1(VALU_DEP_1)
	v_and_b32_e32 v2, 0x7f800000, v3
	v_cmp_ne_u32_e64 s0, 0x7f800000, v2
                                        ; implicit-def: $vgpr2
	s_delay_alu instid0(VALU_DEP_1) | instskip(NEXT) | instid1(SALU_CYCLE_1)
	s_and_saveexec_b32 s12, s0
	s_xor_b32 s0, exec_lo, s12
; %bb.2610:                             ;   in Loop: Header=BB446_1574 Depth=1
	v_bfe_u32 v2, v3, 16, 1
	s_delay_alu instid0(VALU_DEP_1)
	v_add3_u32 v2, v3, v2, 0x7fff
                                        ; implicit-def: $vgpr3
; %bb.2611:                             ;   in Loop: Header=BB446_1574 Depth=1
	s_and_not1_saveexec_b32 s12, s0
; %bb.2612:                             ;   in Loop: Header=BB446_1574 Depth=1
	v_and_b32_e32 v2, 0xffff, v3
	v_or_b32_e32 v6, 0x10000, v3
	s_delay_alu instid0(VALU_DEP_2) | instskip(NEXT) | instid1(VALU_DEP_1)
	v_cmp_eq_u32_e64 s0, 0, v2
	v_cndmask_b32_e64 v2, v6, v3, s0
; %bb.2613:                             ;   in Loop: Header=BB446_1574 Depth=1
	s_or_b32 exec_lo, exec_lo, s12
	v_lshrrev_b32_e32 v6, 16, v62
	v_lshrrev_b32_e32 v7, 16, v61
	;; [unrolled: 1-line block ×8, first 2 shown]
	s_and_saveexec_b32 s12, vcc_lo
	s_cbranch_execz .LBB446_2615
; %bb.2614:                             ;   in Loop: Header=BB446_1574 Depth=1
	v_cmp_lt_i32_e64 s0, v86, v38
	s_delay_alu instid0(VALU_DEP_1) | instskip(SKIP_1) | instid1(VALU_DEP_1)
	v_cndmask_b32_e64 v57, 0, v57, s0
	v_cmp_lt_i32_e64 s0, v101, v38
	v_cndmask_b32_e64 v58, 0, v58, s0
	v_cmp_lt_i32_e64 s0, v100, v38
	s_delay_alu instid0(VALU_DEP_1) | instskip(SKIP_1) | instid1(VALU_DEP_1)
	v_cndmask_b32_e64 v59, 0, v59, s0
	v_cmp_lt_i32_e64 s0, v99, v38
	v_cndmask_b32_e64 v9, 0, v9, s0
	;; [unrolled: 5-line block ×4, first 2 shown]
.LBB446_2615:                           ;   in Loop: Header=BB446_1574 Depth=1
	s_or_b32 exec_lo, exec_lo, s12
	v_lshlrev_b32_e32 v57, 16, v57
	s_delay_alu instid0(VALU_DEP_1) | instskip(NEXT) | instid1(VALU_DEP_1)
	v_mul_f32_e32 v60, v102, v57
	v_and_b32_e32 v57, 0x7f800000, v60
	s_delay_alu instid0(VALU_DEP_1) | instskip(NEXT) | instid1(VALU_DEP_1)
	v_cmp_ne_u32_e64 s0, 0x7f800000, v57
                                        ; implicit-def: $vgpr57
	s_and_saveexec_b32 s12, s0
	s_delay_alu instid0(SALU_CYCLE_1)
	s_xor_b32 s0, exec_lo, s12
; %bb.2616:                             ;   in Loop: Header=BB446_1574 Depth=1
	v_bfe_u32 v57, v60, 16, 1
	s_delay_alu instid0(VALU_DEP_1)
	v_add3_u32 v57, v60, v57, 0x7fff
                                        ; implicit-def: $vgpr60
; %bb.2617:                             ;   in Loop: Header=BB446_1574 Depth=1
	s_and_not1_saveexec_b32 s12, s0
; %bb.2618:                             ;   in Loop: Header=BB446_1574 Depth=1
	v_and_b32_e32 v57, 0xffff, v60
	v_or_b32_e32 v61, 0x10000, v60
	s_delay_alu instid0(VALU_DEP_2) | instskip(NEXT) | instid1(VALU_DEP_1)
	v_cmp_eq_u32_e64 s0, 0, v57
	v_cndmask_b32_e64 v57, v61, v60, s0
; %bb.2619:                             ;   in Loop: Header=BB446_1574 Depth=1
	s_or_b32 exec_lo, exec_lo, s12
	v_lshlrev_b32_e32 v58, 16, v58
	s_delay_alu instid0(VALU_DEP_1) | instskip(NEXT) | instid1(VALU_DEP_1)
	v_mul_f32_e32 v60, v103, v58
	v_and_b32_e32 v58, 0x7f800000, v60
	s_delay_alu instid0(VALU_DEP_1) | instskip(NEXT) | instid1(VALU_DEP_1)
	v_cmp_ne_u32_e64 s0, 0x7f800000, v58
                                        ; implicit-def: $vgpr58
	s_and_saveexec_b32 s12, s0
	s_delay_alu instid0(SALU_CYCLE_1)
	s_xor_b32 s0, exec_lo, s12
; %bb.2620:                             ;   in Loop: Header=BB446_1574 Depth=1
	v_bfe_u32 v58, v60, 16, 1
	s_delay_alu instid0(VALU_DEP_1)
	v_add3_u32 v58, v60, v58, 0x7fff
                                        ; implicit-def: $vgpr60
; %bb.2621:                             ;   in Loop: Header=BB446_1574 Depth=1
	s_and_not1_saveexec_b32 s12, s0
; %bb.2622:                             ;   in Loop: Header=BB446_1574 Depth=1
	v_and_b32_e32 v58, 0xffff, v60
	v_or_b32_e32 v61, 0x10000, v60
	s_delay_alu instid0(VALU_DEP_2) | instskip(NEXT) | instid1(VALU_DEP_1)
	v_cmp_eq_u32_e64 s0, 0, v58
	v_cndmask_b32_e64 v58, v61, v60, s0
; %bb.2623:                             ;   in Loop: Header=BB446_1574 Depth=1
	s_or_b32 exec_lo, exec_lo, s12
	v_lshlrev_b32_e32 v59, 16, v59
	s_delay_alu instid0(VALU_DEP_1) | instskip(NEXT) | instid1(VALU_DEP_1)
	v_mul_f32_e32 v60, v112, v59
	v_and_b32_e32 v59, 0x7f800000, v60
	s_delay_alu instid0(VALU_DEP_1) | instskip(NEXT) | instid1(VALU_DEP_1)
	v_cmp_ne_u32_e64 s0, 0x7f800000, v59
                                        ; implicit-def: $vgpr59
	s_and_saveexec_b32 s12, s0
	s_delay_alu instid0(SALU_CYCLE_1)
	s_xor_b32 s0, exec_lo, s12
; %bb.2624:                             ;   in Loop: Header=BB446_1574 Depth=1
	v_bfe_u32 v59, v60, 16, 1
	s_delay_alu instid0(VALU_DEP_1)
	v_add3_u32 v59, v60, v59, 0x7fff
                                        ; implicit-def: $vgpr60
; %bb.2625:                             ;   in Loop: Header=BB446_1574 Depth=1
	s_and_not1_saveexec_b32 s12, s0
; %bb.2626:                             ;   in Loop: Header=BB446_1574 Depth=1
	v_and_b32_e32 v59, 0xffff, v60
	v_or_b32_e32 v61, 0x10000, v60
	s_delay_alu instid0(VALU_DEP_2) | instskip(NEXT) | instid1(VALU_DEP_1)
	v_cmp_eq_u32_e64 s0, 0, v59
	v_cndmask_b32_e64 v59, v61, v60, s0
; %bb.2627:                             ;   in Loop: Header=BB446_1574 Depth=1
	s_or_b32 exec_lo, exec_lo, s12
	v_lshlrev_b32_e32 v9, 16, v9
	s_delay_alu instid0(VALU_DEP_1) | instskip(NEXT) | instid1(VALU_DEP_1)
	v_mul_f32_e32 v9, v113, v9
	v_and_b32_e32 v60, 0x7f800000, v9
	s_delay_alu instid0(VALU_DEP_1) | instskip(NEXT) | instid1(VALU_DEP_1)
	v_cmp_ne_u32_e64 s0, 0x7f800000, v60
                                        ; implicit-def: $vgpr60
	s_and_saveexec_b32 s12, s0
	s_delay_alu instid0(SALU_CYCLE_1)
	s_xor_b32 s0, exec_lo, s12
; %bb.2628:                             ;   in Loop: Header=BB446_1574 Depth=1
	v_bfe_u32 v60, v9, 16, 1
	s_delay_alu instid0(VALU_DEP_1)
	v_add3_u32 v60, v9, v60, 0x7fff
                                        ; implicit-def: $vgpr9
; %bb.2629:                             ;   in Loop: Header=BB446_1574 Depth=1
	s_and_not1_saveexec_b32 s12, s0
; %bb.2630:                             ;   in Loop: Header=BB446_1574 Depth=1
	v_and_b32_e32 v60, 0xffff, v9
	v_or_b32_e32 v61, 0x10000, v9
	s_delay_alu instid0(VALU_DEP_2) | instskip(NEXT) | instid1(VALU_DEP_1)
	v_cmp_eq_u32_e64 s0, 0, v60
	v_cndmask_b32_e64 v60, v61, v9, s0
; %bb.2631:                             ;   in Loop: Header=BB446_1574 Depth=1
	s_or_b32 exec_lo, exec_lo, s12
	v_lshlrev_b32_e32 v7, 16, v7
                                        ; implicit-def: $vgpr61
	s_delay_alu instid0(VALU_DEP_1) | instskip(NEXT) | instid1(VALU_DEP_1)
	v_mul_f32_e32 v7, v114, v7
	v_and_b32_e32 v9, 0x7f800000, v7
	s_delay_alu instid0(VALU_DEP_1) | instskip(NEXT) | instid1(VALU_DEP_1)
	v_cmp_ne_u32_e64 s0, 0x7f800000, v9
	s_and_saveexec_b32 s12, s0
	s_delay_alu instid0(SALU_CYCLE_1)
	s_xor_b32 s0, exec_lo, s12
; %bb.2632:                             ;   in Loop: Header=BB446_1574 Depth=1
	v_bfe_u32 v9, v7, 16, 1
	s_delay_alu instid0(VALU_DEP_1)
	v_add3_u32 v61, v7, v9, 0x7fff
                                        ; implicit-def: $vgpr7
; %bb.2633:                             ;   in Loop: Header=BB446_1574 Depth=1
	s_and_not1_saveexec_b32 s12, s0
; %bb.2634:                             ;   in Loop: Header=BB446_1574 Depth=1
	v_and_b32_e32 v9, 0xffff, v7
	v_or_b32_e32 v61, 0x10000, v7
	s_delay_alu instid0(VALU_DEP_2) | instskip(NEXT) | instid1(VALU_DEP_1)
	v_cmp_eq_u32_e64 s0, 0, v9
	v_cndmask_b32_e64 v61, v61, v7, s0
; %bb.2635:                             ;   in Loop: Header=BB446_1574 Depth=1
	s_or_b32 exec_lo, exec_lo, s12
	v_lshlrev_b32_e32 v6, 16, v6
                                        ; implicit-def: $vgpr62
	s_delay_alu instid0(VALU_DEP_1) | instskip(NEXT) | instid1(VALU_DEP_1)
	v_mul_f32_e32 v6, v115, v6
	v_and_b32_e32 v7, 0x7f800000, v6
	s_delay_alu instid0(VALU_DEP_1) | instskip(NEXT) | instid1(VALU_DEP_1)
	v_cmp_ne_u32_e64 s0, 0x7f800000, v7
	s_and_saveexec_b32 s12, s0
	s_delay_alu instid0(SALU_CYCLE_1)
	s_xor_b32 s0, exec_lo, s12
; %bb.2636:                             ;   in Loop: Header=BB446_1574 Depth=1
	v_bfe_u32 v7, v6, 16, 1
	s_delay_alu instid0(VALU_DEP_1)
	v_add3_u32 v62, v6, v7, 0x7fff
                                        ; implicit-def: $vgpr6
; %bb.2637:                             ;   in Loop: Header=BB446_1574 Depth=1
	s_and_not1_saveexec_b32 s12, s0
; %bb.2638:                             ;   in Loop: Header=BB446_1574 Depth=1
	v_and_b32_e32 v7, 0xffff, v6
	v_or_b32_e32 v9, 0x10000, v6
	s_delay_alu instid0(VALU_DEP_2) | instskip(NEXT) | instid1(VALU_DEP_1)
	v_cmp_eq_u32_e64 s0, 0, v7
	v_cndmask_b32_e64 v62, v9, v6, s0
; %bb.2639:                             ;   in Loop: Header=BB446_1574 Depth=1
	s_or_b32 exec_lo, exec_lo, s12
	v_lshlrev_b32_e32 v3, 16, v3
                                        ; implicit-def: $vgpr63
	s_delay_alu instid0(VALU_DEP_1) | instskip(NEXT) | instid1(VALU_DEP_1)
	v_mul_f32_e32 v3, v116, v3
	v_and_b32_e32 v6, 0x7f800000, v3
	s_delay_alu instid0(VALU_DEP_1) | instskip(NEXT) | instid1(VALU_DEP_1)
	v_cmp_ne_u32_e64 s0, 0x7f800000, v6
	s_and_saveexec_b32 s12, s0
	s_delay_alu instid0(SALU_CYCLE_1)
	s_xor_b32 s0, exec_lo, s12
; %bb.2640:                             ;   in Loop: Header=BB446_1574 Depth=1
	v_bfe_u32 v6, v3, 16, 1
	s_delay_alu instid0(VALU_DEP_1)
	v_add3_u32 v63, v3, v6, 0x7fff
                                        ; implicit-def: $vgpr3
; %bb.2641:                             ;   in Loop: Header=BB446_1574 Depth=1
	s_and_not1_saveexec_b32 s12, s0
; %bb.2642:                             ;   in Loop: Header=BB446_1574 Depth=1
	v_and_b32_e32 v6, 0xffff, v3
	v_or_b32_e32 v7, 0x10000, v3
	s_delay_alu instid0(VALU_DEP_2) | instskip(NEXT) | instid1(VALU_DEP_1)
	v_cmp_eq_u32_e64 s0, 0, v6
	v_cndmask_b32_e64 v63, v7, v3, s0
; %bb.2643:                             ;   in Loop: Header=BB446_1574 Depth=1
	s_or_b32 exec_lo, exec_lo, s12
	v_lshlrev_b32_e32 v2, 16, v2
                                        ; implicit-def: $vgpr72
	s_delay_alu instid0(VALU_DEP_1) | instskip(NEXT) | instid1(VALU_DEP_1)
	v_mul_f32_e32 v2, v117, v2
	v_and_b32_e32 v3, 0x7f800000, v2
	s_delay_alu instid0(VALU_DEP_1) | instskip(NEXT) | instid1(VALU_DEP_1)
	v_cmp_ne_u32_e64 s0, 0x7f800000, v3
	s_and_saveexec_b32 s12, s0
	s_delay_alu instid0(SALU_CYCLE_1)
	s_xor_b32 s0, exec_lo, s12
; %bb.2644:                             ;   in Loop: Header=BB446_1574 Depth=1
	v_bfe_u32 v3, v2, 16, 1
	s_delay_alu instid0(VALU_DEP_1)
	v_add3_u32 v72, v2, v3, 0x7fff
                                        ; implicit-def: $vgpr2
; %bb.2645:                             ;   in Loop: Header=BB446_1574 Depth=1
	s_and_not1_saveexec_b32 s12, s0
; %bb.2646:                             ;   in Loop: Header=BB446_1574 Depth=1
	v_and_b32_e32 v3, 0xffff, v2
	v_or_b32_e32 v6, 0x10000, v2
	s_delay_alu instid0(VALU_DEP_2) | instskip(NEXT) | instid1(VALU_DEP_1)
	v_cmp_eq_u32_e64 s0, 0, v3
	v_cndmask_b32_e64 v72, v6, v2, s0
; %bb.2647:                             ;   in Loop: Header=BB446_1574 Depth=1
	s_or_b32 exec_lo, exec_lo, s12
	flat_load_b64 v[2:3], v[0:1] offset:2048
	s_mov_b32 s12, exec_lo
	s_waitcnt vmcnt(0) lgkmcnt(0)
	v_dual_mov_b32 v6, 0 :: v_dual_and_b32 v7, 0xff, v2
	s_delay_alu instid0(VALU_DEP_1)
	v_cmpx_ne_u16_e32 0, v7
	s_cbranch_execz .LBB446_2655
; %bb.2648:                             ;   in Loop: Header=BB446_1574 Depth=1
	v_bfrev_b32_e32 v6, 1
	s_mov_b32 s13, exec_lo
	v_cmpx_ne_u16_e32 0x80, v7
	s_cbranch_execz .LBB446_2654
; %bb.2649:                             ;   in Loop: Header=BB446_1574 Depth=1
	v_and_b32_e32 v7, 0x7f, v2
	v_mov_b32_e32 v6, 0x7f800001
	s_mov_b32 s15, exec_lo
	s_delay_alu instid0(VALU_DEP_2)
	v_cmpx_ne_u32_e32 0x7f, v7
	s_cbranch_execz .LBB446_2653
; %bb.2650:                             ;   in Loop: Header=BB446_1574 Depth=1
	v_lshrrev_b32_e32 v9, 3, v7
	v_cmp_gt_u32_e64 s0, 8, v7
	v_dual_mov_b32 v7, v3 :: v_dual_mov_b32 v6, v2
	s_delay_alu instid0(VALU_DEP_2)
	s_and_saveexec_b32 s16, s0
; %bb.2651:                             ;   in Loop: Header=BB446_1574 Depth=1
	v_and_b32_e32 v6, 7, v2
	s_delay_alu instid0(VALU_DEP_1) | instskip(NEXT) | instid1(VALU_DEP_1)
	v_clz_i32_u32_e32 v6, v6
	v_min_u32_e32 v9, 32, v6
	s_delay_alu instid0(VALU_DEP_1) | instskip(SKIP_1) | instid1(VALU_DEP_2)
	v_subrev_nc_u32_e32 v6, 28, v9
	v_sub_nc_u32_e32 v9, 29, v9
	v_lshlrev_b64 v[6:7], v6, v[2:3]
; %bb.2652:                             ;   in Loop: Header=BB446_1574 Depth=1
	s_or_b32 exec_lo, exec_lo, s16
	s_delay_alu instid0(VALU_DEP_1) | instskip(SKIP_2) | instid1(VALU_DEP_3)
	v_lshlrev_b32_e32 v6, 20, v6
	v_lshlrev_b32_e32 v7, 24, v2
	v_lshl_add_u32 v9, v9, 23, 0x3c000000
	v_and_b32_e32 v6, 0x700000, v6
	s_delay_alu instid0(VALU_DEP_3) | instskip(NEXT) | instid1(VALU_DEP_1)
	v_and_b32_e32 v7, 0x80000000, v7
	v_or3_b32 v6, v6, v7, v9
.LBB446_2653:                           ;   in Loop: Header=BB446_1574 Depth=1
	s_or_b32 exec_lo, exec_lo, s15
.LBB446_2654:                           ;   in Loop: Header=BB446_1574 Depth=1
	s_delay_alu instid0(SALU_CYCLE_1)
	s_or_b32 exec_lo, exec_lo, s13
.LBB446_2655:                           ;   in Loop: Header=BB446_1574 Depth=1
	s_delay_alu instid0(SALU_CYCLE_1) | instskip(NEXT) | instid1(VALU_DEP_1)
	s_or_b32 exec_lo, exec_lo, s12
	v_mul_f32_e32 v6, v8, v6
                                        ; implicit-def: $vgpr73
	s_delay_alu instid0(VALU_DEP_1) | instskip(NEXT) | instid1(VALU_DEP_1)
	v_and_b32_e32 v7, 0x7f800000, v6
	v_cmp_ne_u32_e64 s0, 0x7f800000, v7
	s_delay_alu instid0(VALU_DEP_1) | instskip(NEXT) | instid1(SALU_CYCLE_1)
	s_and_saveexec_b32 s12, s0
	s_xor_b32 s0, exec_lo, s12
; %bb.2656:                             ;   in Loop: Header=BB446_1574 Depth=1
	v_bfe_u32 v7, v6, 16, 1
	s_delay_alu instid0(VALU_DEP_1)
	v_add3_u32 v73, v6, v7, 0x7fff
                                        ; implicit-def: $vgpr6
; %bb.2657:                             ;   in Loop: Header=BB446_1574 Depth=1
	s_and_not1_saveexec_b32 s12, s0
; %bb.2658:                             ;   in Loop: Header=BB446_1574 Depth=1
	v_and_b32_e32 v7, 0xffff, v6
	v_or_b32_e32 v9, 0x10000, v6
	s_delay_alu instid0(VALU_DEP_2) | instskip(NEXT) | instid1(VALU_DEP_1)
	v_cmp_eq_u32_e64 s0, 0, v7
	v_cndmask_b32_e64 v73, v9, v6, s0
; %bb.2659:                             ;   in Loop: Header=BB446_1574 Depth=1
	s_or_b32 exec_lo, exec_lo, s12
	v_lshrrev_b16 v7, 8, v2
	v_mov_b32_e32 v6, 0
	s_mov_b32 s12, exec_lo
	s_delay_alu instid0(VALU_DEP_2)
	v_cmpx_ne_u16_e32 0, v7
	s_cbranch_execz .LBB446_2667
; %bb.2660:                             ;   in Loop: Header=BB446_1574 Depth=1
	v_bfrev_b32_e32 v6, 1
	s_mov_b32 s13, exec_lo
	v_cmpx_ne_u16_e32 0x80, v7
	s_cbranch_execz .LBB446_2666
; %bb.2661:                             ;   in Loop: Header=BB446_1574 Depth=1
	v_and_b32_e32 v9, 0xffff, v7
	v_mov_b32_e32 v6, 0x7f800001
	s_mov_b32 s15, exec_lo
	s_delay_alu instid0(VALU_DEP_2) | instskip(NEXT) | instid1(VALU_DEP_1)
	v_and_b32_e32 v7, 0x7f, v9
	v_cmpx_ne_u32_e32 0x7f, v7
	s_cbranch_execz .LBB446_2665
; %bb.2662:                             ;   in Loop: Header=BB446_1574 Depth=1
	v_and_b32_e32 v9, 7, v9
	v_lshrrev_b32_e32 v74, 3, v7
	v_cmp_gt_u32_e64 s0, 8, v7
	s_delay_alu instid0(VALU_DEP_3) | instskip(NEXT) | instid1(VALU_DEP_2)
	v_dual_mov_b32 v6, v9 :: v_dual_mov_b32 v7, v10
	s_and_saveexec_b32 s16, s0
; %bb.2663:                             ;   in Loop: Header=BB446_1574 Depth=1
	v_clz_i32_u32_e32 v6, v9
	s_delay_alu instid0(VALU_DEP_1) | instskip(NEXT) | instid1(VALU_DEP_1)
	v_min_u32_e32 v74, 32, v6
	v_subrev_nc_u32_e32 v6, 28, v74
	v_sub_nc_u32_e32 v74, 29, v74
	s_delay_alu instid0(VALU_DEP_2) | instskip(NEXT) | instid1(VALU_DEP_1)
	v_lshlrev_b64 v[6:7], v6, v[9:10]
	v_and_b32_e32 v6, 7, v6
; %bb.2664:                             ;   in Loop: Header=BB446_1574 Depth=1
	s_or_b32 exec_lo, exec_lo, s16
	v_lshlrev_b32_e32 v7, 16, v2
	s_delay_alu instid0(VALU_DEP_2) | instskip(SKIP_1) | instid1(VALU_DEP_3)
	v_lshlrev_b32_e32 v6, 20, v6
	v_lshl_add_u32 v9, v74, 23, 0x3c000000
	v_and_b32_e32 v7, 0x80000000, v7
	s_delay_alu instid0(VALU_DEP_1)
	v_or3_b32 v6, v6, v7, v9
.LBB446_2665:                           ;   in Loop: Header=BB446_1574 Depth=1
	s_or_b32 exec_lo, exec_lo, s15
.LBB446_2666:                           ;   in Loop: Header=BB446_1574 Depth=1
	s_delay_alu instid0(SALU_CYCLE_1)
	s_or_b32 exec_lo, exec_lo, s13
.LBB446_2667:                           ;   in Loop: Header=BB446_1574 Depth=1
	s_delay_alu instid0(SALU_CYCLE_1) | instskip(NEXT) | instid1(VALU_DEP_1)
	s_or_b32 exec_lo, exec_lo, s12
	v_mul_f32_e32 v6, v8, v6
                                        ; implicit-def: $vgpr74
	s_delay_alu instid0(VALU_DEP_1) | instskip(NEXT) | instid1(VALU_DEP_1)
	v_and_b32_e32 v7, 0x7f800000, v6
	v_cmp_ne_u32_e64 s0, 0x7f800000, v7
	s_delay_alu instid0(VALU_DEP_1) | instskip(NEXT) | instid1(SALU_CYCLE_1)
	s_and_saveexec_b32 s12, s0
	s_xor_b32 s0, exec_lo, s12
; %bb.2668:                             ;   in Loop: Header=BB446_1574 Depth=1
	v_bfe_u32 v7, v6, 16, 1
	s_delay_alu instid0(VALU_DEP_1)
	v_add3_u32 v74, v6, v7, 0x7fff
                                        ; implicit-def: $vgpr6
; %bb.2669:                             ;   in Loop: Header=BB446_1574 Depth=1
	s_and_not1_saveexec_b32 s12, s0
; %bb.2670:                             ;   in Loop: Header=BB446_1574 Depth=1
	v_and_b32_e32 v7, 0xffff, v6
	v_or_b32_e32 v9, 0x10000, v6
	s_delay_alu instid0(VALU_DEP_2) | instskip(NEXT) | instid1(VALU_DEP_1)
	v_cmp_eq_u32_e64 s0, 0, v7
	v_cndmask_b32_e64 v74, v9, v6, s0
; %bb.2671:                             ;   in Loop: Header=BB446_1574 Depth=1
	s_or_b32 exec_lo, exec_lo, s12
	v_lshrrev_b32_e32 v75, 16, v2
	s_mov_b32 s12, exec_lo
	s_delay_alu instid0(VALU_DEP_1) | instskip(NEXT) | instid1(VALU_DEP_1)
	v_dual_mov_b32 v6, 0 :: v_dual_and_b32 v7, 0xff, v75
	v_cmpx_ne_u16_e32 0, v7
	s_cbranch_execz .LBB446_2679
; %bb.2672:                             ;   in Loop: Header=BB446_1574 Depth=1
	v_bfrev_b32_e32 v6, 1
	s_mov_b32 s13, exec_lo
	v_cmpx_ne_u16_e32 0x80, v7
	s_cbranch_execz .LBB446_2678
; %bb.2673:                             ;   in Loop: Header=BB446_1574 Depth=1
	v_bfe_u32 v7, v2, 16, 7
	v_mov_b32_e32 v6, 0x7f800001
	s_mov_b32 s15, exec_lo
	s_delay_alu instid0(VALU_DEP_2)
	v_cmpx_ne_u32_e32 0x7f, v7
	s_cbranch_execz .LBB446_2677
; %bb.2674:                             ;   in Loop: Header=BB446_1574 Depth=1
	v_and_b32_e32 v9, 7, v75
	v_lshrrev_b32_e32 v76, 3, v7
	v_cmp_gt_u32_e64 s0, 8, v7
	s_delay_alu instid0(VALU_DEP_3) | instskip(NEXT) | instid1(VALU_DEP_2)
	v_dual_mov_b32 v6, v9 :: v_dual_mov_b32 v7, v10
	s_and_saveexec_b32 s16, s0
; %bb.2675:                             ;   in Loop: Header=BB446_1574 Depth=1
	v_clz_i32_u32_e32 v6, v9
	s_delay_alu instid0(VALU_DEP_1) | instskip(NEXT) | instid1(VALU_DEP_1)
	v_min_u32_e32 v76, 32, v6
	v_subrev_nc_u32_e32 v6, 28, v76
	v_sub_nc_u32_e32 v76, 29, v76
	s_delay_alu instid0(VALU_DEP_2) | instskip(NEXT) | instid1(VALU_DEP_1)
	v_lshlrev_b64 v[6:7], v6, v[9:10]
	v_and_b32_e32 v6, 7, v6
; %bb.2676:                             ;   in Loop: Header=BB446_1574 Depth=1
	s_or_b32 exec_lo, exec_lo, s16
	v_lshlrev_b32_e32 v7, 24, v75
	s_delay_alu instid0(VALU_DEP_2) | instskip(SKIP_1) | instid1(VALU_DEP_3)
	v_lshlrev_b32_e32 v6, 20, v6
	v_lshl_add_u32 v9, v76, 23, 0x3c000000
	v_and_b32_e32 v7, 0x80000000, v7
	s_delay_alu instid0(VALU_DEP_1)
	v_or3_b32 v6, v6, v7, v9
.LBB446_2677:                           ;   in Loop: Header=BB446_1574 Depth=1
	s_or_b32 exec_lo, exec_lo, s15
.LBB446_2678:                           ;   in Loop: Header=BB446_1574 Depth=1
	s_delay_alu instid0(SALU_CYCLE_1)
	s_or_b32 exec_lo, exec_lo, s13
.LBB446_2679:                           ;   in Loop: Header=BB446_1574 Depth=1
	s_delay_alu instid0(SALU_CYCLE_1) | instskip(NEXT) | instid1(VALU_DEP_1)
	s_or_b32 exec_lo, exec_lo, s12
	v_mul_f32_e32 v6, v8, v6
                                        ; implicit-def: $vgpr75
	s_delay_alu instid0(VALU_DEP_1) | instskip(NEXT) | instid1(VALU_DEP_1)
	v_and_b32_e32 v7, 0x7f800000, v6
	v_cmp_ne_u32_e64 s0, 0x7f800000, v7
	s_delay_alu instid0(VALU_DEP_1) | instskip(NEXT) | instid1(SALU_CYCLE_1)
	s_and_saveexec_b32 s12, s0
	s_xor_b32 s0, exec_lo, s12
; %bb.2680:                             ;   in Loop: Header=BB446_1574 Depth=1
	v_bfe_u32 v7, v6, 16, 1
	s_delay_alu instid0(VALU_DEP_1)
	v_add3_u32 v75, v6, v7, 0x7fff
                                        ; implicit-def: $vgpr6
; %bb.2681:                             ;   in Loop: Header=BB446_1574 Depth=1
	s_and_not1_saveexec_b32 s12, s0
; %bb.2682:                             ;   in Loop: Header=BB446_1574 Depth=1
	v_and_b32_e32 v7, 0xffff, v6
	v_or_b32_e32 v9, 0x10000, v6
	s_delay_alu instid0(VALU_DEP_2) | instskip(NEXT) | instid1(VALU_DEP_1)
	v_cmp_eq_u32_e64 s0, 0, v7
	v_cndmask_b32_e64 v75, v9, v6, s0
; %bb.2683:                             ;   in Loop: Header=BB446_1574 Depth=1
	s_or_b32 exec_lo, exec_lo, s12
	v_mov_b32_e32 v6, 0
	s_mov_b32 s12, exec_lo
	v_cmpx_lt_u32_e32 0xffffff, v2
	s_cbranch_execz .LBB446_2691
; %bb.2684:                             ;   in Loop: Header=BB446_1574 Depth=1
	v_lshrrev_b32_e32 v76, 24, v2
	v_bfrev_b32_e32 v6, 1
	s_mov_b32 s13, exec_lo
	s_delay_alu instid0(VALU_DEP_2)
	v_cmpx_ne_u32_e32 0x80, v76
	s_cbranch_execz .LBB446_2690
; %bb.2685:                             ;   in Loop: Header=BB446_1574 Depth=1
	v_bfe_u32 v7, v2, 24, 7
	v_mov_b32_e32 v6, 0x7f800001
	s_mov_b32 s15, exec_lo
	s_delay_alu instid0(VALU_DEP_2)
	v_cmpx_ne_u32_e32 0x7f, v7
	s_cbranch_execz .LBB446_2689
; %bb.2686:                             ;   in Loop: Header=BB446_1574 Depth=1
	v_and_b32_e32 v9, 7, v76
	v_lshrrev_b32_e32 v77, 3, v7
	v_cmp_gt_u32_e64 s0, 8, v7
	s_delay_alu instid0(VALU_DEP_3) | instskip(NEXT) | instid1(VALU_DEP_2)
	v_dual_mov_b32 v6, v9 :: v_dual_mov_b32 v7, v10
	s_and_saveexec_b32 s16, s0
; %bb.2687:                             ;   in Loop: Header=BB446_1574 Depth=1
	v_clz_i32_u32_e32 v6, v9
	s_delay_alu instid0(VALU_DEP_1) | instskip(NEXT) | instid1(VALU_DEP_1)
	v_min_u32_e32 v77, 32, v6
	v_subrev_nc_u32_e32 v6, 28, v77
	v_sub_nc_u32_e32 v77, 29, v77
	s_delay_alu instid0(VALU_DEP_2) | instskip(NEXT) | instid1(VALU_DEP_1)
	v_lshlrev_b64 v[6:7], v6, v[9:10]
	v_and_b32_e32 v6, 7, v6
; %bb.2688:                             ;   in Loop: Header=BB446_1574 Depth=1
	s_or_b32 exec_lo, exec_lo, s16
	v_lshlrev_b32_e32 v7, 24, v76
	s_delay_alu instid0(VALU_DEP_2) | instskip(SKIP_1) | instid1(VALU_DEP_3)
	v_lshlrev_b32_e32 v6, 20, v6
	v_lshl_add_u32 v9, v77, 23, 0x3c000000
	v_and_b32_e32 v7, 0x80000000, v7
	s_delay_alu instid0(VALU_DEP_1)
	v_or3_b32 v6, v6, v7, v9
.LBB446_2689:                           ;   in Loop: Header=BB446_1574 Depth=1
	s_or_b32 exec_lo, exec_lo, s15
.LBB446_2690:                           ;   in Loop: Header=BB446_1574 Depth=1
	s_delay_alu instid0(SALU_CYCLE_1)
	s_or_b32 exec_lo, exec_lo, s13
.LBB446_2691:                           ;   in Loop: Header=BB446_1574 Depth=1
	s_delay_alu instid0(SALU_CYCLE_1) | instskip(NEXT) | instid1(VALU_DEP_1)
	s_or_b32 exec_lo, exec_lo, s12
	v_mul_f32_e32 v6, v8, v6
                                        ; implicit-def: $vgpr76
	s_delay_alu instid0(VALU_DEP_1) | instskip(NEXT) | instid1(VALU_DEP_1)
	v_and_b32_e32 v7, 0x7f800000, v6
	v_cmp_ne_u32_e64 s0, 0x7f800000, v7
	s_delay_alu instid0(VALU_DEP_1) | instskip(NEXT) | instid1(SALU_CYCLE_1)
	s_and_saveexec_b32 s12, s0
	s_xor_b32 s0, exec_lo, s12
; %bb.2692:                             ;   in Loop: Header=BB446_1574 Depth=1
	v_bfe_u32 v7, v6, 16, 1
	s_delay_alu instid0(VALU_DEP_1)
	v_add3_u32 v76, v6, v7, 0x7fff
                                        ; implicit-def: $vgpr6
; %bb.2693:                             ;   in Loop: Header=BB446_1574 Depth=1
	s_and_not1_saveexec_b32 s12, s0
; %bb.2694:                             ;   in Loop: Header=BB446_1574 Depth=1
	v_and_b32_e32 v7, 0xffff, v6
	v_or_b32_e32 v9, 0x10000, v6
	s_delay_alu instid0(VALU_DEP_2) | instskip(NEXT) | instid1(VALU_DEP_1)
	v_cmp_eq_u32_e64 s0, 0, v7
	v_cndmask_b32_e64 v76, v9, v6, s0
; %bb.2695:                             ;   in Loop: Header=BB446_1574 Depth=1
	s_or_b32 exec_lo, exec_lo, s12
	v_dual_mov_b32 v6, 0 :: v_dual_and_b32 v7, 0xff, v3
	v_mov_b32_e32 v9, v3
	s_mov_b32 s12, exec_lo
	s_delay_alu instid0(VALU_DEP_2)
	v_cmpx_ne_u16_e32 0, v7
	s_cbranch_execz .LBB446_2703
; %bb.2696:                             ;   in Loop: Header=BB446_1574 Depth=1
	v_bfrev_b32_e32 v6, 1
	s_mov_b32 s13, exec_lo
	v_cmpx_ne_u16_e32 0x80, v7
	s_cbranch_execz .LBB446_2702
; %bb.2697:                             ;   in Loop: Header=BB446_1574 Depth=1
	v_and_b32_e32 v7, 0x7f, v3
	v_mov_b32_e32 v6, 0x7f800001
	s_mov_b32 s15, exec_lo
	s_delay_alu instid0(VALU_DEP_2)
	v_cmpx_ne_u32_e32 0x7f, v7
	s_cbranch_execz .LBB446_2701
; %bb.2698:                             ;   in Loop: Header=BB446_1574 Depth=1
	v_lshrrev_b32_e32 v77, 3, v7
	v_cmp_gt_u32_e64 s0, 8, v7
	v_dual_mov_b32 v6, v9 :: v_dual_mov_b32 v7, v10
	s_delay_alu instid0(VALU_DEP_2)
	s_and_saveexec_b32 s16, s0
; %bb.2699:                             ;   in Loop: Header=BB446_1574 Depth=1
	v_and_b32_e32 v6, 7, v3
	s_delay_alu instid0(VALU_DEP_1) | instskip(NEXT) | instid1(VALU_DEP_1)
	v_clz_i32_u32_e32 v6, v6
	v_min_u32_e32 v77, 32, v6
	s_delay_alu instid0(VALU_DEP_1) | instskip(SKIP_1) | instid1(VALU_DEP_2)
	v_subrev_nc_u32_e32 v6, 28, v77
	v_sub_nc_u32_e32 v77, 29, v77
	v_lshlrev_b64 v[6:7], v6, v[9:10]
; %bb.2700:                             ;   in Loop: Header=BB446_1574 Depth=1
	s_or_b32 exec_lo, exec_lo, s16
	s_delay_alu instid0(VALU_DEP_1) | instskip(SKIP_2) | instid1(VALU_DEP_3)
	v_lshlrev_b32_e32 v6, 20, v6
	v_lshlrev_b32_e32 v7, 24, v9
	v_lshl_add_u32 v77, v77, 23, 0x3c000000
	v_and_b32_e32 v6, 0x700000, v6
	s_delay_alu instid0(VALU_DEP_3) | instskip(NEXT) | instid1(VALU_DEP_1)
	v_and_b32_e32 v7, 0x80000000, v7
	v_or3_b32 v6, v6, v7, v77
.LBB446_2701:                           ;   in Loop: Header=BB446_1574 Depth=1
	s_or_b32 exec_lo, exec_lo, s15
.LBB446_2702:                           ;   in Loop: Header=BB446_1574 Depth=1
	s_delay_alu instid0(SALU_CYCLE_1)
	s_or_b32 exec_lo, exec_lo, s13
.LBB446_2703:                           ;   in Loop: Header=BB446_1574 Depth=1
	s_delay_alu instid0(SALU_CYCLE_1) | instskip(NEXT) | instid1(VALU_DEP_1)
	s_or_b32 exec_lo, exec_lo, s12
	v_mul_f32_e32 v6, v8, v6
                                        ; implicit-def: $vgpr77
	s_delay_alu instid0(VALU_DEP_1) | instskip(NEXT) | instid1(VALU_DEP_1)
	v_and_b32_e32 v7, 0x7f800000, v6
	v_cmp_ne_u32_e64 s0, 0x7f800000, v7
	s_delay_alu instid0(VALU_DEP_1) | instskip(NEXT) | instid1(SALU_CYCLE_1)
	s_and_saveexec_b32 s12, s0
	s_xor_b32 s0, exec_lo, s12
; %bb.2704:                             ;   in Loop: Header=BB446_1574 Depth=1
	v_bfe_u32 v7, v6, 16, 1
	s_delay_alu instid0(VALU_DEP_1)
	v_add3_u32 v77, v6, v7, 0x7fff
                                        ; implicit-def: $vgpr6
; %bb.2705:                             ;   in Loop: Header=BB446_1574 Depth=1
	s_and_not1_saveexec_b32 s12, s0
; %bb.2706:                             ;   in Loop: Header=BB446_1574 Depth=1
	v_and_b32_e32 v7, 0xffff, v6
	v_or_b32_e32 v77, 0x10000, v6
	s_delay_alu instid0(VALU_DEP_2) | instskip(NEXT) | instid1(VALU_DEP_1)
	v_cmp_eq_u32_e64 s0, 0, v7
	v_cndmask_b32_e64 v77, v77, v6, s0
; %bb.2707:                             ;   in Loop: Header=BB446_1574 Depth=1
	s_or_b32 exec_lo, exec_lo, s12
	v_lshrrev_b16 v7, 8, v9
	v_mov_b32_e32 v6, 0
	s_mov_b32 s12, exec_lo
	s_delay_alu instid0(VALU_DEP_2)
	v_cmpx_ne_u16_e32 0, v7
	s_cbranch_execz .LBB446_2715
; %bb.2708:                             ;   in Loop: Header=BB446_1574 Depth=1
	v_bfrev_b32_e32 v6, 1
	s_mov_b32 s13, exec_lo
	v_cmpx_ne_u16_e32 0x80, v7
	s_cbranch_execz .LBB446_2714
; %bb.2709:                             ;   in Loop: Header=BB446_1574 Depth=1
	v_and_b32_e32 v7, 0xffff, v7
	v_mov_b32_e32 v6, 0x7f800001
	s_mov_b32 s15, exec_lo
	s_delay_alu instid0(VALU_DEP_2) | instskip(NEXT) | instid1(VALU_DEP_1)
	v_and_b32_e32 v79, 0x7f, v7
	v_cmpx_ne_u32_e32 0x7f, v79
	s_cbranch_execz .LBB446_2713
; %bb.2710:                             ;   in Loop: Header=BB446_1574 Depth=1
	v_dual_mov_b32 v7, v10 :: v_dual_and_b32 v6, 7, v7
	v_lshrrev_b32_e32 v78, 3, v79
	s_mov_b32 s16, exec_lo
	v_cmpx_gt_u32_e32 8, v79
; %bb.2711:                             ;   in Loop: Header=BB446_1574 Depth=1
	s_delay_alu instid0(VALU_DEP_3) | instskip(NEXT) | instid1(VALU_DEP_1)
	v_clz_i32_u32_e32 v78, v6
	v_min_u32_e32 v78, 32, v78
	s_delay_alu instid0(VALU_DEP_1) | instskip(SKIP_1) | instid1(VALU_DEP_2)
	v_subrev_nc_u32_e32 v79, 28, v78
	v_sub_nc_u32_e32 v78, 29, v78
	v_lshlrev_b64 v[6:7], v79, v[6:7]
	s_delay_alu instid0(VALU_DEP_1)
	v_and_b32_e32 v6, 7, v6
; %bb.2712:                             ;   in Loop: Header=BB446_1574 Depth=1
	s_or_b32 exec_lo, exec_lo, s16
	v_lshlrev_b32_e32 v7, 16, v9
	s_delay_alu instid0(VALU_DEP_2) | instskip(SKIP_1) | instid1(VALU_DEP_3)
	v_lshlrev_b32_e32 v6, 20, v6
	v_lshl_add_u32 v9, v78, 23, 0x3c000000
	v_and_b32_e32 v7, 0x80000000, v7
	s_delay_alu instid0(VALU_DEP_1)
	v_or3_b32 v6, v6, v7, v9
.LBB446_2713:                           ;   in Loop: Header=BB446_1574 Depth=1
	s_or_b32 exec_lo, exec_lo, s15
.LBB446_2714:                           ;   in Loop: Header=BB446_1574 Depth=1
	s_delay_alu instid0(SALU_CYCLE_1)
	s_or_b32 exec_lo, exec_lo, s13
.LBB446_2715:                           ;   in Loop: Header=BB446_1574 Depth=1
	s_delay_alu instid0(SALU_CYCLE_1) | instskip(NEXT) | instid1(VALU_DEP_1)
	s_or_b32 exec_lo, exec_lo, s12
	v_mul_f32_e32 v6, v8, v6
                                        ; implicit-def: $vgpr78
	s_delay_alu instid0(VALU_DEP_1) | instskip(NEXT) | instid1(VALU_DEP_1)
	v_and_b32_e32 v7, 0x7f800000, v6
	v_cmp_ne_u32_e64 s0, 0x7f800000, v7
	s_delay_alu instid0(VALU_DEP_1) | instskip(NEXT) | instid1(SALU_CYCLE_1)
	s_and_saveexec_b32 s12, s0
	s_xor_b32 s0, exec_lo, s12
; %bb.2716:                             ;   in Loop: Header=BB446_1574 Depth=1
	v_bfe_u32 v7, v6, 16, 1
	s_delay_alu instid0(VALU_DEP_1)
	v_add3_u32 v78, v6, v7, 0x7fff
                                        ; implicit-def: $vgpr6
; %bb.2717:                             ;   in Loop: Header=BB446_1574 Depth=1
	s_and_not1_saveexec_b32 s12, s0
; %bb.2718:                             ;   in Loop: Header=BB446_1574 Depth=1
	v_and_b32_e32 v7, 0xffff, v6
	v_or_b32_e32 v9, 0x10000, v6
	s_delay_alu instid0(VALU_DEP_2) | instskip(NEXT) | instid1(VALU_DEP_1)
	v_cmp_eq_u32_e64 s0, 0, v7
	v_cndmask_b32_e64 v78, v9, v6, s0
; %bb.2719:                             ;   in Loop: Header=BB446_1574 Depth=1
	s_or_b32 exec_lo, exec_lo, s12
	v_lshrrev_b32_e32 v79, 16, v3
	s_mov_b32 s12, exec_lo
	s_delay_alu instid0(VALU_DEP_1) | instskip(NEXT) | instid1(VALU_DEP_1)
	v_dual_mov_b32 v6, 0 :: v_dual_and_b32 v7, 0xff, v79
	v_cmpx_ne_u16_e32 0, v7
	s_cbranch_execz .LBB446_2727
; %bb.2720:                             ;   in Loop: Header=BB446_1574 Depth=1
	v_bfrev_b32_e32 v6, 1
	s_mov_b32 s13, exec_lo
	v_cmpx_ne_u16_e32 0x80, v7
	s_cbranch_execz .LBB446_2726
; %bb.2721:                             ;   in Loop: Header=BB446_1574 Depth=1
	v_bfe_u32 v7, v3, 16, 7
	v_mov_b32_e32 v6, 0x7f800001
	s_mov_b32 s15, exec_lo
	s_delay_alu instid0(VALU_DEP_2)
	v_cmpx_ne_u32_e32 0x7f, v7
	s_cbranch_execz .LBB446_2725
; %bb.2722:                             ;   in Loop: Header=BB446_1574 Depth=1
	v_and_b32_e32 v9, 7, v79
	v_lshrrev_b32_e32 v88, 3, v7
	v_cmp_gt_u32_e64 s0, 8, v7
	s_delay_alu instid0(VALU_DEP_3) | instskip(NEXT) | instid1(VALU_DEP_2)
	v_dual_mov_b32 v6, v9 :: v_dual_mov_b32 v7, v10
	s_and_saveexec_b32 s16, s0
; %bb.2723:                             ;   in Loop: Header=BB446_1574 Depth=1
	v_clz_i32_u32_e32 v6, v9
	s_delay_alu instid0(VALU_DEP_1) | instskip(NEXT) | instid1(VALU_DEP_1)
	v_min_u32_e32 v88, 32, v6
	v_subrev_nc_u32_e32 v6, 28, v88
	v_sub_nc_u32_e32 v88, 29, v88
	s_delay_alu instid0(VALU_DEP_2) | instskip(NEXT) | instid1(VALU_DEP_1)
	v_lshlrev_b64 v[6:7], v6, v[9:10]
	v_and_b32_e32 v6, 7, v6
; %bb.2724:                             ;   in Loop: Header=BB446_1574 Depth=1
	s_or_b32 exec_lo, exec_lo, s16
	v_lshlrev_b32_e32 v7, 24, v79
	s_delay_alu instid0(VALU_DEP_2) | instskip(SKIP_1) | instid1(VALU_DEP_3)
	v_lshlrev_b32_e32 v6, 20, v6
	v_lshl_add_u32 v9, v88, 23, 0x3c000000
	v_and_b32_e32 v7, 0x80000000, v7
	s_delay_alu instid0(VALU_DEP_1)
	v_or3_b32 v6, v6, v7, v9
.LBB446_2725:                           ;   in Loop: Header=BB446_1574 Depth=1
	s_or_b32 exec_lo, exec_lo, s15
.LBB446_2726:                           ;   in Loop: Header=BB446_1574 Depth=1
	s_delay_alu instid0(SALU_CYCLE_1)
	s_or_b32 exec_lo, exec_lo, s13
.LBB446_2727:                           ;   in Loop: Header=BB446_1574 Depth=1
	s_delay_alu instid0(SALU_CYCLE_1) | instskip(NEXT) | instid1(VALU_DEP_1)
	s_or_b32 exec_lo, exec_lo, s12
	v_mul_f32_e32 v6, v8, v6
                                        ; implicit-def: $vgpr79
	s_delay_alu instid0(VALU_DEP_1) | instskip(NEXT) | instid1(VALU_DEP_1)
	v_and_b32_e32 v7, 0x7f800000, v6
	v_cmp_ne_u32_e64 s0, 0x7f800000, v7
	s_delay_alu instid0(VALU_DEP_1) | instskip(NEXT) | instid1(SALU_CYCLE_1)
	s_and_saveexec_b32 s12, s0
	s_xor_b32 s0, exec_lo, s12
; %bb.2728:                             ;   in Loop: Header=BB446_1574 Depth=1
	v_bfe_u32 v7, v6, 16, 1
	s_delay_alu instid0(VALU_DEP_1)
	v_add3_u32 v79, v6, v7, 0x7fff
                                        ; implicit-def: $vgpr6
; %bb.2729:                             ;   in Loop: Header=BB446_1574 Depth=1
	s_and_not1_saveexec_b32 s12, s0
; %bb.2730:                             ;   in Loop: Header=BB446_1574 Depth=1
	v_and_b32_e32 v7, 0xffff, v6
	v_or_b32_e32 v9, 0x10000, v6
	s_delay_alu instid0(VALU_DEP_2) | instskip(NEXT) | instid1(VALU_DEP_1)
	v_cmp_eq_u32_e64 s0, 0, v7
	v_cndmask_b32_e64 v79, v9, v6, s0
; %bb.2731:                             ;   in Loop: Header=BB446_1574 Depth=1
	s_or_b32 exec_lo, exec_lo, s12
	v_cmp_lt_u64_e64 s0, s[8:9], v[2:3]
	v_mov_b32_e32 v2, 0
	s_delay_alu instid0(VALU_DEP_2)
	s_and_saveexec_b32 s12, s0
	s_cbranch_execz .LBB446_2739
; %bb.2732:                             ;   in Loop: Header=BB446_1574 Depth=1
	v_lshrrev_b32_e32 v6, 24, v3
	v_bfrev_b32_e32 v2, 1
	s_mov_b32 s13, exec_lo
	s_delay_alu instid0(VALU_DEP_2)
	v_cmpx_ne_u32_e32 0x80, v6
	s_cbranch_execz .LBB446_2738
; %bb.2733:                             ;   in Loop: Header=BB446_1574 Depth=1
	v_bfe_u32 v3, v3, 24, 7
	v_mov_b32_e32 v2, 0x7f800001
	s_mov_b32 s15, exec_lo
	s_delay_alu instid0(VALU_DEP_2)
	v_cmpx_ne_u32_e32 0x7f, v3
	s_cbranch_execz .LBB446_2737
; %bb.2734:                             ;   in Loop: Header=BB446_1574 Depth=1
	v_and_b32_e32 v9, 7, v6
	v_lshrrev_b32_e32 v7, 3, v3
	v_cmp_gt_u32_e64 s0, 8, v3
	s_delay_alu instid0(VALU_DEP_3) | instskip(NEXT) | instid1(VALU_DEP_2)
	v_dual_mov_b32 v2, v9 :: v_dual_mov_b32 v3, v10
	s_and_saveexec_b32 s16, s0
; %bb.2735:                             ;   in Loop: Header=BB446_1574 Depth=1
	v_clz_i32_u32_e32 v2, v9
	s_delay_alu instid0(VALU_DEP_1) | instskip(NEXT) | instid1(VALU_DEP_1)
	v_min_u32_e32 v7, 32, v2
	v_subrev_nc_u32_e32 v2, 28, v7
	v_sub_nc_u32_e32 v7, 29, v7
	s_delay_alu instid0(VALU_DEP_2) | instskip(NEXT) | instid1(VALU_DEP_1)
	v_lshlrev_b64 v[2:3], v2, v[9:10]
	v_and_b32_e32 v2, 7, v2
; %bb.2736:                             ;   in Loop: Header=BB446_1574 Depth=1
	s_or_b32 exec_lo, exec_lo, s16
	v_lshlrev_b32_e32 v3, 24, v6
	s_delay_alu instid0(VALU_DEP_2) | instskip(SKIP_1) | instid1(VALU_DEP_3)
	v_lshlrev_b32_e32 v2, 20, v2
	v_lshl_add_u32 v6, v7, 23, 0x3c000000
	v_and_b32_e32 v3, 0x80000000, v3
	s_delay_alu instid0(VALU_DEP_1)
	v_or3_b32 v2, v2, v3, v6
.LBB446_2737:                           ;   in Loop: Header=BB446_1574 Depth=1
	s_or_b32 exec_lo, exec_lo, s15
.LBB446_2738:                           ;   in Loop: Header=BB446_1574 Depth=1
	s_delay_alu instid0(SALU_CYCLE_1)
	s_or_b32 exec_lo, exec_lo, s13
.LBB446_2739:                           ;   in Loop: Header=BB446_1574 Depth=1
	s_delay_alu instid0(SALU_CYCLE_1) | instskip(NEXT) | instid1(VALU_DEP_1)
	s_or_b32 exec_lo, exec_lo, s12
	v_mul_f32_e32 v3, v8, v2
	s_delay_alu instid0(VALU_DEP_1) | instskip(NEXT) | instid1(VALU_DEP_1)
	v_and_b32_e32 v2, 0x7f800000, v3
	v_cmp_ne_u32_e64 s0, 0x7f800000, v2
                                        ; implicit-def: $vgpr2
	s_delay_alu instid0(VALU_DEP_1) | instskip(NEXT) | instid1(SALU_CYCLE_1)
	s_and_saveexec_b32 s12, s0
	s_xor_b32 s0, exec_lo, s12
; %bb.2740:                             ;   in Loop: Header=BB446_1574 Depth=1
	v_bfe_u32 v2, v3, 16, 1
	s_delay_alu instid0(VALU_DEP_1)
	v_add3_u32 v2, v3, v2, 0x7fff
                                        ; implicit-def: $vgpr3
; %bb.2741:                             ;   in Loop: Header=BB446_1574 Depth=1
	s_and_not1_saveexec_b32 s12, s0
; %bb.2742:                             ;   in Loop: Header=BB446_1574 Depth=1
	v_and_b32_e32 v2, 0xffff, v3
	v_or_b32_e32 v6, 0x10000, v3
	s_delay_alu instid0(VALU_DEP_2) | instskip(NEXT) | instid1(VALU_DEP_1)
	v_cmp_eq_u32_e64 s0, 0, v2
	v_cndmask_b32_e64 v2, v6, v3, s0
; %bb.2743:                             ;   in Loop: Header=BB446_1574 Depth=1
	s_or_b32 exec_lo, exec_lo, s12
	v_lshrrev_b32_e32 v6, 16, v78
	v_lshrrev_b32_e32 v7, 16, v77
	;; [unrolled: 1-line block ×8, first 2 shown]
	s_and_saveexec_b32 s12, vcc_lo
	s_cbranch_execz .LBB446_2745
; %bb.2744:                             ;   in Loop: Header=BB446_1574 Depth=1
	v_cmp_lt_i32_e64 s0, v86, v38
	s_delay_alu instid0(VALU_DEP_1) | instskip(SKIP_1) | instid1(VALU_DEP_1)
	v_cndmask_b32_e64 v73, 0, v73, s0
	v_cmp_lt_i32_e64 s0, v101, v38
	v_cndmask_b32_e64 v74, 0, v74, s0
	v_cmp_lt_i32_e64 s0, v100, v38
	s_delay_alu instid0(VALU_DEP_1) | instskip(SKIP_1) | instid1(VALU_DEP_1)
	v_cndmask_b32_e64 v75, 0, v75, s0
	v_cmp_lt_i32_e64 s0, v99, v38
	v_cndmask_b32_e64 v9, 0, v9, s0
	;; [unrolled: 5-line block ×4, first 2 shown]
.LBB446_2745:                           ;   in Loop: Header=BB446_1574 Depth=1
	s_or_b32 exec_lo, exec_lo, s12
	v_lshlrev_b32_e32 v73, 16, v73
	s_delay_alu instid0(VALU_DEP_1) | instskip(NEXT) | instid1(VALU_DEP_1)
	v_mul_f32_e32 v76, v102, v73
	v_and_b32_e32 v73, 0x7f800000, v76
	s_delay_alu instid0(VALU_DEP_1) | instskip(NEXT) | instid1(VALU_DEP_1)
	v_cmp_ne_u32_e64 s0, 0x7f800000, v73
                                        ; implicit-def: $vgpr73
	s_and_saveexec_b32 s12, s0
	s_delay_alu instid0(SALU_CYCLE_1)
	s_xor_b32 s0, exec_lo, s12
; %bb.2746:                             ;   in Loop: Header=BB446_1574 Depth=1
	v_bfe_u32 v73, v76, 16, 1
	s_delay_alu instid0(VALU_DEP_1)
	v_add3_u32 v73, v76, v73, 0x7fff
                                        ; implicit-def: $vgpr76
; %bb.2747:                             ;   in Loop: Header=BB446_1574 Depth=1
	s_and_not1_saveexec_b32 s12, s0
; %bb.2748:                             ;   in Loop: Header=BB446_1574 Depth=1
	v_and_b32_e32 v73, 0xffff, v76
	v_or_b32_e32 v77, 0x10000, v76
	s_delay_alu instid0(VALU_DEP_2) | instskip(NEXT) | instid1(VALU_DEP_1)
	v_cmp_eq_u32_e64 s0, 0, v73
	v_cndmask_b32_e64 v73, v77, v76, s0
; %bb.2749:                             ;   in Loop: Header=BB446_1574 Depth=1
	s_or_b32 exec_lo, exec_lo, s12
	v_lshlrev_b32_e32 v74, 16, v74
	s_delay_alu instid0(VALU_DEP_1) | instskip(NEXT) | instid1(VALU_DEP_1)
	v_mul_f32_e32 v76, v103, v74
	v_and_b32_e32 v74, 0x7f800000, v76
	s_delay_alu instid0(VALU_DEP_1) | instskip(NEXT) | instid1(VALU_DEP_1)
	v_cmp_ne_u32_e64 s0, 0x7f800000, v74
                                        ; implicit-def: $vgpr74
	s_and_saveexec_b32 s12, s0
	s_delay_alu instid0(SALU_CYCLE_1)
	s_xor_b32 s0, exec_lo, s12
; %bb.2750:                             ;   in Loop: Header=BB446_1574 Depth=1
	v_bfe_u32 v74, v76, 16, 1
	s_delay_alu instid0(VALU_DEP_1)
	v_add3_u32 v74, v76, v74, 0x7fff
                                        ; implicit-def: $vgpr76
; %bb.2751:                             ;   in Loop: Header=BB446_1574 Depth=1
	s_and_not1_saveexec_b32 s12, s0
; %bb.2752:                             ;   in Loop: Header=BB446_1574 Depth=1
	v_and_b32_e32 v74, 0xffff, v76
	v_or_b32_e32 v77, 0x10000, v76
	s_delay_alu instid0(VALU_DEP_2) | instskip(NEXT) | instid1(VALU_DEP_1)
	v_cmp_eq_u32_e64 s0, 0, v74
	v_cndmask_b32_e64 v74, v77, v76, s0
; %bb.2753:                             ;   in Loop: Header=BB446_1574 Depth=1
	s_or_b32 exec_lo, exec_lo, s12
	v_lshlrev_b32_e32 v75, 16, v75
	s_delay_alu instid0(VALU_DEP_1) | instskip(NEXT) | instid1(VALU_DEP_1)
	v_mul_f32_e32 v76, v112, v75
	v_and_b32_e32 v75, 0x7f800000, v76
	s_delay_alu instid0(VALU_DEP_1) | instskip(NEXT) | instid1(VALU_DEP_1)
	v_cmp_ne_u32_e64 s0, 0x7f800000, v75
                                        ; implicit-def: $vgpr75
	s_and_saveexec_b32 s12, s0
	s_delay_alu instid0(SALU_CYCLE_1)
	s_xor_b32 s0, exec_lo, s12
; %bb.2754:                             ;   in Loop: Header=BB446_1574 Depth=1
	v_bfe_u32 v75, v76, 16, 1
	s_delay_alu instid0(VALU_DEP_1)
	v_add3_u32 v75, v76, v75, 0x7fff
                                        ; implicit-def: $vgpr76
; %bb.2755:                             ;   in Loop: Header=BB446_1574 Depth=1
	s_and_not1_saveexec_b32 s12, s0
; %bb.2756:                             ;   in Loop: Header=BB446_1574 Depth=1
	v_and_b32_e32 v75, 0xffff, v76
	v_or_b32_e32 v77, 0x10000, v76
	s_delay_alu instid0(VALU_DEP_2) | instskip(NEXT) | instid1(VALU_DEP_1)
	v_cmp_eq_u32_e64 s0, 0, v75
	v_cndmask_b32_e64 v75, v77, v76, s0
; %bb.2757:                             ;   in Loop: Header=BB446_1574 Depth=1
	s_or_b32 exec_lo, exec_lo, s12
	v_lshlrev_b32_e32 v9, 16, v9
	s_delay_alu instid0(VALU_DEP_1) | instskip(NEXT) | instid1(VALU_DEP_1)
	v_mul_f32_e32 v9, v113, v9
	v_and_b32_e32 v76, 0x7f800000, v9
	s_delay_alu instid0(VALU_DEP_1) | instskip(NEXT) | instid1(VALU_DEP_1)
	v_cmp_ne_u32_e64 s0, 0x7f800000, v76
                                        ; implicit-def: $vgpr76
	s_and_saveexec_b32 s12, s0
	s_delay_alu instid0(SALU_CYCLE_1)
	s_xor_b32 s0, exec_lo, s12
; %bb.2758:                             ;   in Loop: Header=BB446_1574 Depth=1
	v_bfe_u32 v76, v9, 16, 1
	s_delay_alu instid0(VALU_DEP_1)
	v_add3_u32 v76, v9, v76, 0x7fff
                                        ; implicit-def: $vgpr9
; %bb.2759:                             ;   in Loop: Header=BB446_1574 Depth=1
	s_and_not1_saveexec_b32 s12, s0
; %bb.2760:                             ;   in Loop: Header=BB446_1574 Depth=1
	v_and_b32_e32 v76, 0xffff, v9
	v_or_b32_e32 v77, 0x10000, v9
	s_delay_alu instid0(VALU_DEP_2) | instskip(NEXT) | instid1(VALU_DEP_1)
	v_cmp_eq_u32_e64 s0, 0, v76
	v_cndmask_b32_e64 v76, v77, v9, s0
; %bb.2761:                             ;   in Loop: Header=BB446_1574 Depth=1
	s_or_b32 exec_lo, exec_lo, s12
	v_lshlrev_b32_e32 v7, 16, v7
                                        ; implicit-def: $vgpr77
	s_delay_alu instid0(VALU_DEP_1) | instskip(NEXT) | instid1(VALU_DEP_1)
	v_mul_f32_e32 v7, v114, v7
	v_and_b32_e32 v9, 0x7f800000, v7
	s_delay_alu instid0(VALU_DEP_1) | instskip(NEXT) | instid1(VALU_DEP_1)
	v_cmp_ne_u32_e64 s0, 0x7f800000, v9
	s_and_saveexec_b32 s12, s0
	s_delay_alu instid0(SALU_CYCLE_1)
	s_xor_b32 s0, exec_lo, s12
; %bb.2762:                             ;   in Loop: Header=BB446_1574 Depth=1
	v_bfe_u32 v9, v7, 16, 1
	s_delay_alu instid0(VALU_DEP_1)
	v_add3_u32 v77, v7, v9, 0x7fff
                                        ; implicit-def: $vgpr7
; %bb.2763:                             ;   in Loop: Header=BB446_1574 Depth=1
	s_and_not1_saveexec_b32 s12, s0
; %bb.2764:                             ;   in Loop: Header=BB446_1574 Depth=1
	v_and_b32_e32 v9, 0xffff, v7
	v_or_b32_e32 v77, 0x10000, v7
	s_delay_alu instid0(VALU_DEP_2) | instskip(NEXT) | instid1(VALU_DEP_1)
	v_cmp_eq_u32_e64 s0, 0, v9
	v_cndmask_b32_e64 v77, v77, v7, s0
; %bb.2765:                             ;   in Loop: Header=BB446_1574 Depth=1
	s_or_b32 exec_lo, exec_lo, s12
	v_lshlrev_b32_e32 v6, 16, v6
                                        ; implicit-def: $vgpr78
	s_delay_alu instid0(VALU_DEP_1) | instskip(NEXT) | instid1(VALU_DEP_1)
	v_mul_f32_e32 v6, v115, v6
	v_and_b32_e32 v7, 0x7f800000, v6
	s_delay_alu instid0(VALU_DEP_1) | instskip(NEXT) | instid1(VALU_DEP_1)
	v_cmp_ne_u32_e64 s0, 0x7f800000, v7
	s_and_saveexec_b32 s12, s0
	s_delay_alu instid0(SALU_CYCLE_1)
	s_xor_b32 s0, exec_lo, s12
; %bb.2766:                             ;   in Loop: Header=BB446_1574 Depth=1
	v_bfe_u32 v7, v6, 16, 1
	s_delay_alu instid0(VALU_DEP_1)
	v_add3_u32 v78, v6, v7, 0x7fff
                                        ; implicit-def: $vgpr6
; %bb.2767:                             ;   in Loop: Header=BB446_1574 Depth=1
	s_and_not1_saveexec_b32 s12, s0
; %bb.2768:                             ;   in Loop: Header=BB446_1574 Depth=1
	v_and_b32_e32 v7, 0xffff, v6
	v_or_b32_e32 v9, 0x10000, v6
	s_delay_alu instid0(VALU_DEP_2) | instskip(NEXT) | instid1(VALU_DEP_1)
	v_cmp_eq_u32_e64 s0, 0, v7
	v_cndmask_b32_e64 v78, v9, v6, s0
; %bb.2769:                             ;   in Loop: Header=BB446_1574 Depth=1
	s_or_b32 exec_lo, exec_lo, s12
	v_lshlrev_b32_e32 v3, 16, v3
                                        ; implicit-def: $vgpr79
	s_delay_alu instid0(VALU_DEP_1) | instskip(NEXT) | instid1(VALU_DEP_1)
	v_mul_f32_e32 v3, v116, v3
	v_and_b32_e32 v6, 0x7f800000, v3
	s_delay_alu instid0(VALU_DEP_1) | instskip(NEXT) | instid1(VALU_DEP_1)
	v_cmp_ne_u32_e64 s0, 0x7f800000, v6
	s_and_saveexec_b32 s12, s0
	s_delay_alu instid0(SALU_CYCLE_1)
	s_xor_b32 s0, exec_lo, s12
; %bb.2770:                             ;   in Loop: Header=BB446_1574 Depth=1
	v_bfe_u32 v6, v3, 16, 1
	s_delay_alu instid0(VALU_DEP_1)
	v_add3_u32 v79, v3, v6, 0x7fff
                                        ; implicit-def: $vgpr3
; %bb.2771:                             ;   in Loop: Header=BB446_1574 Depth=1
	s_and_not1_saveexec_b32 s12, s0
; %bb.2772:                             ;   in Loop: Header=BB446_1574 Depth=1
	v_and_b32_e32 v6, 0xffff, v3
	v_or_b32_e32 v7, 0x10000, v3
	s_delay_alu instid0(VALU_DEP_2) | instskip(NEXT) | instid1(VALU_DEP_1)
	v_cmp_eq_u32_e64 s0, 0, v6
	v_cndmask_b32_e64 v79, v7, v3, s0
; %bb.2773:                             ;   in Loop: Header=BB446_1574 Depth=1
	s_or_b32 exec_lo, exec_lo, s12
	v_lshlrev_b32_e32 v2, 16, v2
                                        ; implicit-def: $vgpr88
	s_delay_alu instid0(VALU_DEP_1) | instskip(NEXT) | instid1(VALU_DEP_1)
	v_mul_f32_e32 v2, v117, v2
	v_and_b32_e32 v3, 0x7f800000, v2
	s_delay_alu instid0(VALU_DEP_1) | instskip(NEXT) | instid1(VALU_DEP_1)
	v_cmp_ne_u32_e64 s0, 0x7f800000, v3
	s_and_saveexec_b32 s12, s0
	s_delay_alu instid0(SALU_CYCLE_1)
	s_xor_b32 s0, exec_lo, s12
; %bb.2774:                             ;   in Loop: Header=BB446_1574 Depth=1
	v_bfe_u32 v3, v2, 16, 1
	s_delay_alu instid0(VALU_DEP_1)
	v_add3_u32 v88, v2, v3, 0x7fff
                                        ; implicit-def: $vgpr2
; %bb.2775:                             ;   in Loop: Header=BB446_1574 Depth=1
	s_and_not1_saveexec_b32 s12, s0
; %bb.2776:                             ;   in Loop: Header=BB446_1574 Depth=1
	v_and_b32_e32 v3, 0xffff, v2
	v_or_b32_e32 v6, 0x10000, v2
	s_delay_alu instid0(VALU_DEP_2) | instskip(NEXT) | instid1(VALU_DEP_1)
	v_cmp_eq_u32_e64 s0, 0, v3
	v_cndmask_b32_e64 v88, v6, v2, s0
; %bb.2777:                             ;   in Loop: Header=BB446_1574 Depth=1
	s_or_b32 exec_lo, exec_lo, s12
	flat_load_b64 v[2:3], v[0:1] offset:2304
	s_mov_b32 s12, exec_lo
	s_waitcnt vmcnt(0) lgkmcnt(0)
	v_dual_mov_b32 v6, 0 :: v_dual_and_b32 v7, 0xff, v2
	s_delay_alu instid0(VALU_DEP_1)
	v_cmpx_ne_u16_e32 0, v7
	s_cbranch_execz .LBB446_2785
; %bb.2778:                             ;   in Loop: Header=BB446_1574 Depth=1
	v_bfrev_b32_e32 v6, 1
	s_mov_b32 s13, exec_lo
	v_cmpx_ne_u16_e32 0x80, v7
	s_cbranch_execz .LBB446_2784
; %bb.2779:                             ;   in Loop: Header=BB446_1574 Depth=1
	v_and_b32_e32 v7, 0x7f, v2
	v_mov_b32_e32 v6, 0x7f800001
	s_mov_b32 s15, exec_lo
	s_delay_alu instid0(VALU_DEP_2)
	v_cmpx_ne_u32_e32 0x7f, v7
	s_cbranch_execz .LBB446_2783
; %bb.2780:                             ;   in Loop: Header=BB446_1574 Depth=1
	v_lshrrev_b32_e32 v9, 3, v7
	v_cmp_gt_u32_e64 s0, 8, v7
	v_dual_mov_b32 v7, v3 :: v_dual_mov_b32 v6, v2
	s_delay_alu instid0(VALU_DEP_2)
	s_and_saveexec_b32 s16, s0
; %bb.2781:                             ;   in Loop: Header=BB446_1574 Depth=1
	v_and_b32_e32 v6, 7, v2
	s_delay_alu instid0(VALU_DEP_1) | instskip(NEXT) | instid1(VALU_DEP_1)
	v_clz_i32_u32_e32 v6, v6
	v_min_u32_e32 v9, 32, v6
	s_delay_alu instid0(VALU_DEP_1) | instskip(SKIP_1) | instid1(VALU_DEP_2)
	v_subrev_nc_u32_e32 v6, 28, v9
	v_sub_nc_u32_e32 v9, 29, v9
	v_lshlrev_b64 v[6:7], v6, v[2:3]
; %bb.2782:                             ;   in Loop: Header=BB446_1574 Depth=1
	s_or_b32 exec_lo, exec_lo, s16
	s_delay_alu instid0(VALU_DEP_1) | instskip(SKIP_2) | instid1(VALU_DEP_3)
	v_lshlrev_b32_e32 v6, 20, v6
	v_lshlrev_b32_e32 v7, 24, v2
	v_lshl_add_u32 v9, v9, 23, 0x3c000000
	v_and_b32_e32 v6, 0x700000, v6
	s_delay_alu instid0(VALU_DEP_3) | instskip(NEXT) | instid1(VALU_DEP_1)
	v_and_b32_e32 v7, 0x80000000, v7
	v_or3_b32 v6, v6, v7, v9
.LBB446_2783:                           ;   in Loop: Header=BB446_1574 Depth=1
	s_or_b32 exec_lo, exec_lo, s15
.LBB446_2784:                           ;   in Loop: Header=BB446_1574 Depth=1
	s_delay_alu instid0(SALU_CYCLE_1)
	s_or_b32 exec_lo, exec_lo, s13
.LBB446_2785:                           ;   in Loop: Header=BB446_1574 Depth=1
	s_delay_alu instid0(SALU_CYCLE_1) | instskip(NEXT) | instid1(VALU_DEP_1)
	s_or_b32 exec_lo, exec_lo, s12
	v_mul_f32_e32 v6, v8, v6
                                        ; implicit-def: $vgpr89
	s_delay_alu instid0(VALU_DEP_1) | instskip(NEXT) | instid1(VALU_DEP_1)
	v_and_b32_e32 v7, 0x7f800000, v6
	v_cmp_ne_u32_e64 s0, 0x7f800000, v7
	s_delay_alu instid0(VALU_DEP_1) | instskip(NEXT) | instid1(SALU_CYCLE_1)
	s_and_saveexec_b32 s12, s0
	s_xor_b32 s0, exec_lo, s12
; %bb.2786:                             ;   in Loop: Header=BB446_1574 Depth=1
	v_bfe_u32 v7, v6, 16, 1
	s_delay_alu instid0(VALU_DEP_1)
	v_add3_u32 v89, v6, v7, 0x7fff
                                        ; implicit-def: $vgpr6
; %bb.2787:                             ;   in Loop: Header=BB446_1574 Depth=1
	s_and_not1_saveexec_b32 s12, s0
; %bb.2788:                             ;   in Loop: Header=BB446_1574 Depth=1
	v_and_b32_e32 v7, 0xffff, v6
	v_or_b32_e32 v9, 0x10000, v6
	s_delay_alu instid0(VALU_DEP_2) | instskip(NEXT) | instid1(VALU_DEP_1)
	v_cmp_eq_u32_e64 s0, 0, v7
	v_cndmask_b32_e64 v89, v9, v6, s0
; %bb.2789:                             ;   in Loop: Header=BB446_1574 Depth=1
	s_or_b32 exec_lo, exec_lo, s12
	v_lshrrev_b16 v7, 8, v2
	v_mov_b32_e32 v6, 0
	s_mov_b32 s12, exec_lo
	s_delay_alu instid0(VALU_DEP_2)
	v_cmpx_ne_u16_e32 0, v7
	s_cbranch_execz .LBB446_2797
; %bb.2790:                             ;   in Loop: Header=BB446_1574 Depth=1
	v_bfrev_b32_e32 v6, 1
	s_mov_b32 s13, exec_lo
	v_cmpx_ne_u16_e32 0x80, v7
	s_cbranch_execz .LBB446_2796
; %bb.2791:                             ;   in Loop: Header=BB446_1574 Depth=1
	v_and_b32_e32 v9, 0xffff, v7
	v_mov_b32_e32 v6, 0x7f800001
	s_mov_b32 s15, exec_lo
	s_delay_alu instid0(VALU_DEP_2) | instskip(NEXT) | instid1(VALU_DEP_1)
	v_and_b32_e32 v7, 0x7f, v9
	v_cmpx_ne_u32_e32 0x7f, v7
	s_cbranch_execz .LBB446_2795
; %bb.2792:                             ;   in Loop: Header=BB446_1574 Depth=1
	v_and_b32_e32 v9, 7, v9
	v_lshrrev_b32_e32 v90, 3, v7
	v_cmp_gt_u32_e64 s0, 8, v7
	s_delay_alu instid0(VALU_DEP_3) | instskip(NEXT) | instid1(VALU_DEP_2)
	v_dual_mov_b32 v6, v9 :: v_dual_mov_b32 v7, v10
	s_and_saveexec_b32 s16, s0
; %bb.2793:                             ;   in Loop: Header=BB446_1574 Depth=1
	v_clz_i32_u32_e32 v6, v9
	s_delay_alu instid0(VALU_DEP_1) | instskip(NEXT) | instid1(VALU_DEP_1)
	v_min_u32_e32 v90, 32, v6
	v_subrev_nc_u32_e32 v6, 28, v90
	v_sub_nc_u32_e32 v90, 29, v90
	s_delay_alu instid0(VALU_DEP_2) | instskip(NEXT) | instid1(VALU_DEP_1)
	v_lshlrev_b64 v[6:7], v6, v[9:10]
	v_and_b32_e32 v6, 7, v6
; %bb.2794:                             ;   in Loop: Header=BB446_1574 Depth=1
	s_or_b32 exec_lo, exec_lo, s16
	v_lshlrev_b32_e32 v7, 16, v2
	s_delay_alu instid0(VALU_DEP_2) | instskip(SKIP_1) | instid1(VALU_DEP_3)
	v_lshlrev_b32_e32 v6, 20, v6
	v_lshl_add_u32 v9, v90, 23, 0x3c000000
	v_and_b32_e32 v7, 0x80000000, v7
	s_delay_alu instid0(VALU_DEP_1)
	v_or3_b32 v6, v6, v7, v9
.LBB446_2795:                           ;   in Loop: Header=BB446_1574 Depth=1
	s_or_b32 exec_lo, exec_lo, s15
.LBB446_2796:                           ;   in Loop: Header=BB446_1574 Depth=1
	s_delay_alu instid0(SALU_CYCLE_1)
	s_or_b32 exec_lo, exec_lo, s13
.LBB446_2797:                           ;   in Loop: Header=BB446_1574 Depth=1
	s_delay_alu instid0(SALU_CYCLE_1) | instskip(NEXT) | instid1(VALU_DEP_1)
	s_or_b32 exec_lo, exec_lo, s12
	v_mul_f32_e32 v6, v8, v6
                                        ; implicit-def: $vgpr90
	s_delay_alu instid0(VALU_DEP_1) | instskip(NEXT) | instid1(VALU_DEP_1)
	v_and_b32_e32 v7, 0x7f800000, v6
	v_cmp_ne_u32_e64 s0, 0x7f800000, v7
	s_delay_alu instid0(VALU_DEP_1) | instskip(NEXT) | instid1(SALU_CYCLE_1)
	s_and_saveexec_b32 s12, s0
	s_xor_b32 s0, exec_lo, s12
; %bb.2798:                             ;   in Loop: Header=BB446_1574 Depth=1
	v_bfe_u32 v7, v6, 16, 1
	s_delay_alu instid0(VALU_DEP_1)
	v_add3_u32 v90, v6, v7, 0x7fff
                                        ; implicit-def: $vgpr6
; %bb.2799:                             ;   in Loop: Header=BB446_1574 Depth=1
	s_and_not1_saveexec_b32 s12, s0
; %bb.2800:                             ;   in Loop: Header=BB446_1574 Depth=1
	v_and_b32_e32 v7, 0xffff, v6
	v_or_b32_e32 v9, 0x10000, v6
	s_delay_alu instid0(VALU_DEP_2) | instskip(NEXT) | instid1(VALU_DEP_1)
	v_cmp_eq_u32_e64 s0, 0, v7
	v_cndmask_b32_e64 v90, v9, v6, s0
; %bb.2801:                             ;   in Loop: Header=BB446_1574 Depth=1
	s_or_b32 exec_lo, exec_lo, s12
	v_lshrrev_b32_e32 v91, 16, v2
	s_mov_b32 s12, exec_lo
	s_delay_alu instid0(VALU_DEP_1) | instskip(NEXT) | instid1(VALU_DEP_1)
	v_dual_mov_b32 v6, 0 :: v_dual_and_b32 v7, 0xff, v91
	v_cmpx_ne_u16_e32 0, v7
	s_cbranch_execz .LBB446_2809
; %bb.2802:                             ;   in Loop: Header=BB446_1574 Depth=1
	v_bfrev_b32_e32 v6, 1
	s_mov_b32 s13, exec_lo
	v_cmpx_ne_u16_e32 0x80, v7
	s_cbranch_execz .LBB446_2808
; %bb.2803:                             ;   in Loop: Header=BB446_1574 Depth=1
	v_bfe_u32 v7, v2, 16, 7
	v_mov_b32_e32 v6, 0x7f800001
	s_mov_b32 s15, exec_lo
	s_delay_alu instid0(VALU_DEP_2)
	v_cmpx_ne_u32_e32 0x7f, v7
	s_cbranch_execz .LBB446_2807
; %bb.2804:                             ;   in Loop: Header=BB446_1574 Depth=1
	v_and_b32_e32 v9, 7, v91
	v_lshrrev_b32_e32 v92, 3, v7
	v_cmp_gt_u32_e64 s0, 8, v7
	s_delay_alu instid0(VALU_DEP_3) | instskip(NEXT) | instid1(VALU_DEP_2)
	v_dual_mov_b32 v6, v9 :: v_dual_mov_b32 v7, v10
	s_and_saveexec_b32 s16, s0
; %bb.2805:                             ;   in Loop: Header=BB446_1574 Depth=1
	v_clz_i32_u32_e32 v6, v9
	s_delay_alu instid0(VALU_DEP_1) | instskip(NEXT) | instid1(VALU_DEP_1)
	v_min_u32_e32 v92, 32, v6
	v_subrev_nc_u32_e32 v6, 28, v92
	v_sub_nc_u32_e32 v92, 29, v92
	s_delay_alu instid0(VALU_DEP_2) | instskip(NEXT) | instid1(VALU_DEP_1)
	v_lshlrev_b64 v[6:7], v6, v[9:10]
	v_and_b32_e32 v6, 7, v6
; %bb.2806:                             ;   in Loop: Header=BB446_1574 Depth=1
	s_or_b32 exec_lo, exec_lo, s16
	v_lshlrev_b32_e32 v7, 24, v91
	s_delay_alu instid0(VALU_DEP_2) | instskip(SKIP_1) | instid1(VALU_DEP_3)
	v_lshlrev_b32_e32 v6, 20, v6
	v_lshl_add_u32 v9, v92, 23, 0x3c000000
	v_and_b32_e32 v7, 0x80000000, v7
	s_delay_alu instid0(VALU_DEP_1)
	v_or3_b32 v6, v6, v7, v9
.LBB446_2807:                           ;   in Loop: Header=BB446_1574 Depth=1
	s_or_b32 exec_lo, exec_lo, s15
.LBB446_2808:                           ;   in Loop: Header=BB446_1574 Depth=1
	s_delay_alu instid0(SALU_CYCLE_1)
	s_or_b32 exec_lo, exec_lo, s13
.LBB446_2809:                           ;   in Loop: Header=BB446_1574 Depth=1
	s_delay_alu instid0(SALU_CYCLE_1) | instskip(NEXT) | instid1(VALU_DEP_1)
	s_or_b32 exec_lo, exec_lo, s12
	v_mul_f32_e32 v6, v8, v6
                                        ; implicit-def: $vgpr91
	s_delay_alu instid0(VALU_DEP_1) | instskip(NEXT) | instid1(VALU_DEP_1)
	v_and_b32_e32 v7, 0x7f800000, v6
	v_cmp_ne_u32_e64 s0, 0x7f800000, v7
	s_delay_alu instid0(VALU_DEP_1) | instskip(NEXT) | instid1(SALU_CYCLE_1)
	s_and_saveexec_b32 s12, s0
	s_xor_b32 s0, exec_lo, s12
; %bb.2810:                             ;   in Loop: Header=BB446_1574 Depth=1
	v_bfe_u32 v7, v6, 16, 1
	s_delay_alu instid0(VALU_DEP_1)
	v_add3_u32 v91, v6, v7, 0x7fff
                                        ; implicit-def: $vgpr6
; %bb.2811:                             ;   in Loop: Header=BB446_1574 Depth=1
	s_and_not1_saveexec_b32 s12, s0
; %bb.2812:                             ;   in Loop: Header=BB446_1574 Depth=1
	v_and_b32_e32 v7, 0xffff, v6
	v_or_b32_e32 v9, 0x10000, v6
	s_delay_alu instid0(VALU_DEP_2) | instskip(NEXT) | instid1(VALU_DEP_1)
	v_cmp_eq_u32_e64 s0, 0, v7
	v_cndmask_b32_e64 v91, v9, v6, s0
; %bb.2813:                             ;   in Loop: Header=BB446_1574 Depth=1
	s_or_b32 exec_lo, exec_lo, s12
	v_mov_b32_e32 v6, 0
	s_mov_b32 s12, exec_lo
	v_cmpx_lt_u32_e32 0xffffff, v2
	s_cbranch_execz .LBB446_2821
; %bb.2814:                             ;   in Loop: Header=BB446_1574 Depth=1
	v_lshrrev_b32_e32 v92, 24, v2
	v_bfrev_b32_e32 v6, 1
	s_mov_b32 s13, exec_lo
	s_delay_alu instid0(VALU_DEP_2)
	v_cmpx_ne_u32_e32 0x80, v92
	s_cbranch_execz .LBB446_2820
; %bb.2815:                             ;   in Loop: Header=BB446_1574 Depth=1
	v_bfe_u32 v7, v2, 24, 7
	v_mov_b32_e32 v6, 0x7f800001
	s_mov_b32 s15, exec_lo
	s_delay_alu instid0(VALU_DEP_2)
	v_cmpx_ne_u32_e32 0x7f, v7
	s_cbranch_execz .LBB446_2819
; %bb.2816:                             ;   in Loop: Header=BB446_1574 Depth=1
	v_and_b32_e32 v9, 7, v92
	v_lshrrev_b32_e32 v93, 3, v7
	v_cmp_gt_u32_e64 s0, 8, v7
	s_delay_alu instid0(VALU_DEP_3) | instskip(NEXT) | instid1(VALU_DEP_2)
	v_dual_mov_b32 v6, v9 :: v_dual_mov_b32 v7, v10
	s_and_saveexec_b32 s16, s0
; %bb.2817:                             ;   in Loop: Header=BB446_1574 Depth=1
	v_clz_i32_u32_e32 v6, v9
	s_delay_alu instid0(VALU_DEP_1) | instskip(NEXT) | instid1(VALU_DEP_1)
	v_min_u32_e32 v93, 32, v6
	v_subrev_nc_u32_e32 v6, 28, v93
	v_sub_nc_u32_e32 v93, 29, v93
	s_delay_alu instid0(VALU_DEP_2) | instskip(NEXT) | instid1(VALU_DEP_1)
	v_lshlrev_b64 v[6:7], v6, v[9:10]
	v_and_b32_e32 v6, 7, v6
; %bb.2818:                             ;   in Loop: Header=BB446_1574 Depth=1
	s_or_b32 exec_lo, exec_lo, s16
	v_lshlrev_b32_e32 v7, 24, v92
	s_delay_alu instid0(VALU_DEP_2) | instskip(SKIP_1) | instid1(VALU_DEP_3)
	v_lshlrev_b32_e32 v6, 20, v6
	v_lshl_add_u32 v9, v93, 23, 0x3c000000
	v_and_b32_e32 v7, 0x80000000, v7
	s_delay_alu instid0(VALU_DEP_1)
	v_or3_b32 v6, v6, v7, v9
.LBB446_2819:                           ;   in Loop: Header=BB446_1574 Depth=1
	s_or_b32 exec_lo, exec_lo, s15
.LBB446_2820:                           ;   in Loop: Header=BB446_1574 Depth=1
	s_delay_alu instid0(SALU_CYCLE_1)
	s_or_b32 exec_lo, exec_lo, s13
.LBB446_2821:                           ;   in Loop: Header=BB446_1574 Depth=1
	s_delay_alu instid0(SALU_CYCLE_1) | instskip(NEXT) | instid1(VALU_DEP_1)
	s_or_b32 exec_lo, exec_lo, s12
	v_mul_f32_e32 v6, v8, v6
                                        ; implicit-def: $vgpr92
	s_delay_alu instid0(VALU_DEP_1) | instskip(NEXT) | instid1(VALU_DEP_1)
	v_and_b32_e32 v7, 0x7f800000, v6
	v_cmp_ne_u32_e64 s0, 0x7f800000, v7
	s_delay_alu instid0(VALU_DEP_1) | instskip(NEXT) | instid1(SALU_CYCLE_1)
	s_and_saveexec_b32 s12, s0
	s_xor_b32 s0, exec_lo, s12
; %bb.2822:                             ;   in Loop: Header=BB446_1574 Depth=1
	v_bfe_u32 v7, v6, 16, 1
	s_delay_alu instid0(VALU_DEP_1)
	v_add3_u32 v92, v6, v7, 0x7fff
                                        ; implicit-def: $vgpr6
; %bb.2823:                             ;   in Loop: Header=BB446_1574 Depth=1
	s_and_not1_saveexec_b32 s12, s0
; %bb.2824:                             ;   in Loop: Header=BB446_1574 Depth=1
	v_and_b32_e32 v7, 0xffff, v6
	v_or_b32_e32 v9, 0x10000, v6
	s_delay_alu instid0(VALU_DEP_2) | instskip(NEXT) | instid1(VALU_DEP_1)
	v_cmp_eq_u32_e64 s0, 0, v7
	v_cndmask_b32_e64 v92, v9, v6, s0
; %bb.2825:                             ;   in Loop: Header=BB446_1574 Depth=1
	s_or_b32 exec_lo, exec_lo, s12
	v_dual_mov_b32 v6, 0 :: v_dual_and_b32 v7, 0xff, v3
	v_mov_b32_e32 v9, v3
	s_mov_b32 s12, exec_lo
	s_delay_alu instid0(VALU_DEP_2)
	v_cmpx_ne_u16_e32 0, v7
	s_cbranch_execz .LBB446_2833
; %bb.2826:                             ;   in Loop: Header=BB446_1574 Depth=1
	v_bfrev_b32_e32 v6, 1
	s_mov_b32 s13, exec_lo
	v_cmpx_ne_u16_e32 0x80, v7
	s_cbranch_execz .LBB446_2832
; %bb.2827:                             ;   in Loop: Header=BB446_1574 Depth=1
	v_and_b32_e32 v7, 0x7f, v3
	v_mov_b32_e32 v6, 0x7f800001
	s_mov_b32 s15, exec_lo
	s_delay_alu instid0(VALU_DEP_2)
	v_cmpx_ne_u32_e32 0x7f, v7
	s_cbranch_execz .LBB446_2831
; %bb.2828:                             ;   in Loop: Header=BB446_1574 Depth=1
	v_lshrrev_b32_e32 v93, 3, v7
	v_cmp_gt_u32_e64 s0, 8, v7
	v_dual_mov_b32 v6, v9 :: v_dual_mov_b32 v7, v10
	s_delay_alu instid0(VALU_DEP_2)
	s_and_saveexec_b32 s16, s0
; %bb.2829:                             ;   in Loop: Header=BB446_1574 Depth=1
	v_and_b32_e32 v6, 7, v3
	s_delay_alu instid0(VALU_DEP_1) | instskip(NEXT) | instid1(VALU_DEP_1)
	v_clz_i32_u32_e32 v6, v6
	v_min_u32_e32 v93, 32, v6
	s_delay_alu instid0(VALU_DEP_1) | instskip(SKIP_1) | instid1(VALU_DEP_2)
	v_subrev_nc_u32_e32 v6, 28, v93
	v_sub_nc_u32_e32 v93, 29, v93
	v_lshlrev_b64 v[6:7], v6, v[9:10]
; %bb.2830:                             ;   in Loop: Header=BB446_1574 Depth=1
	s_or_b32 exec_lo, exec_lo, s16
	s_delay_alu instid0(VALU_DEP_1) | instskip(SKIP_2) | instid1(VALU_DEP_3)
	v_lshlrev_b32_e32 v6, 20, v6
	v_lshlrev_b32_e32 v7, 24, v9
	v_lshl_add_u32 v93, v93, 23, 0x3c000000
	v_and_b32_e32 v6, 0x700000, v6
	s_delay_alu instid0(VALU_DEP_3) | instskip(NEXT) | instid1(VALU_DEP_1)
	v_and_b32_e32 v7, 0x80000000, v7
	v_or3_b32 v6, v6, v7, v93
.LBB446_2831:                           ;   in Loop: Header=BB446_1574 Depth=1
	s_or_b32 exec_lo, exec_lo, s15
.LBB446_2832:                           ;   in Loop: Header=BB446_1574 Depth=1
	s_delay_alu instid0(SALU_CYCLE_1)
	s_or_b32 exec_lo, exec_lo, s13
.LBB446_2833:                           ;   in Loop: Header=BB446_1574 Depth=1
	s_delay_alu instid0(SALU_CYCLE_1) | instskip(NEXT) | instid1(VALU_DEP_1)
	s_or_b32 exec_lo, exec_lo, s12
	v_mul_f32_e32 v6, v8, v6
                                        ; implicit-def: $vgpr93
	s_delay_alu instid0(VALU_DEP_1) | instskip(NEXT) | instid1(VALU_DEP_1)
	v_and_b32_e32 v7, 0x7f800000, v6
	v_cmp_ne_u32_e64 s0, 0x7f800000, v7
	s_delay_alu instid0(VALU_DEP_1) | instskip(NEXT) | instid1(SALU_CYCLE_1)
	s_and_saveexec_b32 s12, s0
	s_xor_b32 s0, exec_lo, s12
; %bb.2834:                             ;   in Loop: Header=BB446_1574 Depth=1
	v_bfe_u32 v7, v6, 16, 1
	s_delay_alu instid0(VALU_DEP_1)
	v_add3_u32 v93, v6, v7, 0x7fff
                                        ; implicit-def: $vgpr6
; %bb.2835:                             ;   in Loop: Header=BB446_1574 Depth=1
	s_and_not1_saveexec_b32 s12, s0
; %bb.2836:                             ;   in Loop: Header=BB446_1574 Depth=1
	v_and_b32_e32 v7, 0xffff, v6
	v_or_b32_e32 v93, 0x10000, v6
	s_delay_alu instid0(VALU_DEP_2) | instskip(NEXT) | instid1(VALU_DEP_1)
	v_cmp_eq_u32_e64 s0, 0, v7
	v_cndmask_b32_e64 v93, v93, v6, s0
; %bb.2837:                             ;   in Loop: Header=BB446_1574 Depth=1
	s_or_b32 exec_lo, exec_lo, s12
	v_lshrrev_b16 v7, 8, v9
	v_mov_b32_e32 v6, 0
	s_mov_b32 s12, exec_lo
	s_delay_alu instid0(VALU_DEP_2)
	v_cmpx_ne_u16_e32 0, v7
	s_cbranch_execz .LBB446_2845
; %bb.2838:                             ;   in Loop: Header=BB446_1574 Depth=1
	v_bfrev_b32_e32 v6, 1
	s_mov_b32 s13, exec_lo
	v_cmpx_ne_u16_e32 0x80, v7
	s_cbranch_execz .LBB446_2844
; %bb.2839:                             ;   in Loop: Header=BB446_1574 Depth=1
	v_and_b32_e32 v7, 0xffff, v7
	v_mov_b32_e32 v6, 0x7f800001
	s_mov_b32 s15, exec_lo
	s_delay_alu instid0(VALU_DEP_2) | instskip(NEXT) | instid1(VALU_DEP_1)
	v_and_b32_e32 v95, 0x7f, v7
	v_cmpx_ne_u32_e32 0x7f, v95
	s_cbranch_execz .LBB446_2843
; %bb.2840:                             ;   in Loop: Header=BB446_1574 Depth=1
	v_dual_mov_b32 v7, v10 :: v_dual_and_b32 v6, 7, v7
	v_lshrrev_b32_e32 v94, 3, v95
	s_mov_b32 s16, exec_lo
	v_cmpx_gt_u32_e32 8, v95
; %bb.2841:                             ;   in Loop: Header=BB446_1574 Depth=1
	s_delay_alu instid0(VALU_DEP_3) | instskip(NEXT) | instid1(VALU_DEP_1)
	v_clz_i32_u32_e32 v94, v6
	v_min_u32_e32 v94, 32, v94
	s_delay_alu instid0(VALU_DEP_1) | instskip(SKIP_1) | instid1(VALU_DEP_2)
	v_subrev_nc_u32_e32 v95, 28, v94
	v_sub_nc_u32_e32 v94, 29, v94
	v_lshlrev_b64 v[6:7], v95, v[6:7]
	s_delay_alu instid0(VALU_DEP_1)
	v_and_b32_e32 v6, 7, v6
; %bb.2842:                             ;   in Loop: Header=BB446_1574 Depth=1
	s_or_b32 exec_lo, exec_lo, s16
	v_lshlrev_b32_e32 v7, 16, v9
	s_delay_alu instid0(VALU_DEP_2) | instskip(SKIP_1) | instid1(VALU_DEP_3)
	v_lshlrev_b32_e32 v6, 20, v6
	v_lshl_add_u32 v9, v94, 23, 0x3c000000
	v_and_b32_e32 v7, 0x80000000, v7
	s_delay_alu instid0(VALU_DEP_1)
	v_or3_b32 v6, v6, v7, v9
.LBB446_2843:                           ;   in Loop: Header=BB446_1574 Depth=1
	s_or_b32 exec_lo, exec_lo, s15
.LBB446_2844:                           ;   in Loop: Header=BB446_1574 Depth=1
	s_delay_alu instid0(SALU_CYCLE_1)
	s_or_b32 exec_lo, exec_lo, s13
.LBB446_2845:                           ;   in Loop: Header=BB446_1574 Depth=1
	s_delay_alu instid0(SALU_CYCLE_1) | instskip(NEXT) | instid1(VALU_DEP_1)
	s_or_b32 exec_lo, exec_lo, s12
	v_mul_f32_e32 v6, v8, v6
                                        ; implicit-def: $vgpr94
	s_delay_alu instid0(VALU_DEP_1) | instskip(NEXT) | instid1(VALU_DEP_1)
	v_and_b32_e32 v7, 0x7f800000, v6
	v_cmp_ne_u32_e64 s0, 0x7f800000, v7
	s_delay_alu instid0(VALU_DEP_1) | instskip(NEXT) | instid1(SALU_CYCLE_1)
	s_and_saveexec_b32 s12, s0
	s_xor_b32 s0, exec_lo, s12
; %bb.2846:                             ;   in Loop: Header=BB446_1574 Depth=1
	v_bfe_u32 v7, v6, 16, 1
	s_delay_alu instid0(VALU_DEP_1)
	v_add3_u32 v94, v6, v7, 0x7fff
                                        ; implicit-def: $vgpr6
; %bb.2847:                             ;   in Loop: Header=BB446_1574 Depth=1
	s_and_not1_saveexec_b32 s12, s0
; %bb.2848:                             ;   in Loop: Header=BB446_1574 Depth=1
	v_and_b32_e32 v7, 0xffff, v6
	v_or_b32_e32 v9, 0x10000, v6
	s_delay_alu instid0(VALU_DEP_2) | instskip(NEXT) | instid1(VALU_DEP_1)
	v_cmp_eq_u32_e64 s0, 0, v7
	v_cndmask_b32_e64 v94, v9, v6, s0
; %bb.2849:                             ;   in Loop: Header=BB446_1574 Depth=1
	s_or_b32 exec_lo, exec_lo, s12
	v_lshrrev_b32_e32 v95, 16, v3
	s_mov_b32 s12, exec_lo
	s_delay_alu instid0(VALU_DEP_1) | instskip(NEXT) | instid1(VALU_DEP_1)
	v_dual_mov_b32 v6, 0 :: v_dual_and_b32 v7, 0xff, v95
	v_cmpx_ne_u16_e32 0, v7
	s_cbranch_execz .LBB446_2857
; %bb.2850:                             ;   in Loop: Header=BB446_1574 Depth=1
	v_bfrev_b32_e32 v6, 1
	s_mov_b32 s13, exec_lo
	v_cmpx_ne_u16_e32 0x80, v7
	s_cbranch_execz .LBB446_2856
; %bb.2851:                             ;   in Loop: Header=BB446_1574 Depth=1
	v_bfe_u32 v7, v3, 16, 7
	v_mov_b32_e32 v6, 0x7f800001
	s_mov_b32 s15, exec_lo
	s_delay_alu instid0(VALU_DEP_2)
	v_cmpx_ne_u32_e32 0x7f, v7
	s_cbranch_execz .LBB446_2855
; %bb.2852:                             ;   in Loop: Header=BB446_1574 Depth=1
	v_and_b32_e32 v9, 7, v95
	v_lshrrev_b32_e32 v104, 3, v7
	v_cmp_gt_u32_e64 s0, 8, v7
	s_delay_alu instid0(VALU_DEP_3) | instskip(NEXT) | instid1(VALU_DEP_2)
	v_dual_mov_b32 v6, v9 :: v_dual_mov_b32 v7, v10
	s_and_saveexec_b32 s16, s0
; %bb.2853:                             ;   in Loop: Header=BB446_1574 Depth=1
	v_clz_i32_u32_e32 v6, v9
	s_delay_alu instid0(VALU_DEP_1) | instskip(NEXT) | instid1(VALU_DEP_1)
	v_min_u32_e32 v104, 32, v6
	v_subrev_nc_u32_e32 v6, 28, v104
	v_sub_nc_u32_e32 v104, 29, v104
	s_delay_alu instid0(VALU_DEP_2) | instskip(NEXT) | instid1(VALU_DEP_1)
	v_lshlrev_b64 v[6:7], v6, v[9:10]
	v_and_b32_e32 v6, 7, v6
; %bb.2854:                             ;   in Loop: Header=BB446_1574 Depth=1
	s_or_b32 exec_lo, exec_lo, s16
	v_lshlrev_b32_e32 v7, 24, v95
	s_delay_alu instid0(VALU_DEP_2) | instskip(SKIP_1) | instid1(VALU_DEP_3)
	v_lshlrev_b32_e32 v6, 20, v6
	v_lshl_add_u32 v9, v104, 23, 0x3c000000
	v_and_b32_e32 v7, 0x80000000, v7
	s_delay_alu instid0(VALU_DEP_1)
	v_or3_b32 v6, v6, v7, v9
.LBB446_2855:                           ;   in Loop: Header=BB446_1574 Depth=1
	s_or_b32 exec_lo, exec_lo, s15
.LBB446_2856:                           ;   in Loop: Header=BB446_1574 Depth=1
	s_delay_alu instid0(SALU_CYCLE_1)
	s_or_b32 exec_lo, exec_lo, s13
.LBB446_2857:                           ;   in Loop: Header=BB446_1574 Depth=1
	s_delay_alu instid0(SALU_CYCLE_1) | instskip(NEXT) | instid1(VALU_DEP_1)
	s_or_b32 exec_lo, exec_lo, s12
	v_mul_f32_e32 v6, v8, v6
                                        ; implicit-def: $vgpr95
	s_delay_alu instid0(VALU_DEP_1) | instskip(NEXT) | instid1(VALU_DEP_1)
	v_and_b32_e32 v7, 0x7f800000, v6
	v_cmp_ne_u32_e64 s0, 0x7f800000, v7
	s_delay_alu instid0(VALU_DEP_1) | instskip(NEXT) | instid1(SALU_CYCLE_1)
	s_and_saveexec_b32 s12, s0
	s_xor_b32 s0, exec_lo, s12
; %bb.2858:                             ;   in Loop: Header=BB446_1574 Depth=1
	v_bfe_u32 v7, v6, 16, 1
	s_delay_alu instid0(VALU_DEP_1)
	v_add3_u32 v95, v6, v7, 0x7fff
                                        ; implicit-def: $vgpr6
; %bb.2859:                             ;   in Loop: Header=BB446_1574 Depth=1
	s_and_not1_saveexec_b32 s12, s0
; %bb.2860:                             ;   in Loop: Header=BB446_1574 Depth=1
	v_and_b32_e32 v7, 0xffff, v6
	v_or_b32_e32 v9, 0x10000, v6
	s_delay_alu instid0(VALU_DEP_2) | instskip(NEXT) | instid1(VALU_DEP_1)
	v_cmp_eq_u32_e64 s0, 0, v7
	v_cndmask_b32_e64 v95, v9, v6, s0
; %bb.2861:                             ;   in Loop: Header=BB446_1574 Depth=1
	s_or_b32 exec_lo, exec_lo, s12
	v_cmp_lt_u64_e64 s0, s[8:9], v[2:3]
	v_mov_b32_e32 v2, 0
	s_delay_alu instid0(VALU_DEP_2)
	s_and_saveexec_b32 s12, s0
	s_cbranch_execz .LBB446_2869
; %bb.2862:                             ;   in Loop: Header=BB446_1574 Depth=1
	v_lshrrev_b32_e32 v6, 24, v3
	v_bfrev_b32_e32 v2, 1
	s_mov_b32 s13, exec_lo
	s_delay_alu instid0(VALU_DEP_2)
	v_cmpx_ne_u32_e32 0x80, v6
	s_cbranch_execz .LBB446_2868
; %bb.2863:                             ;   in Loop: Header=BB446_1574 Depth=1
	v_bfe_u32 v3, v3, 24, 7
	v_mov_b32_e32 v2, 0x7f800001
	s_mov_b32 s15, exec_lo
	s_delay_alu instid0(VALU_DEP_2)
	v_cmpx_ne_u32_e32 0x7f, v3
	s_cbranch_execz .LBB446_2867
; %bb.2864:                             ;   in Loop: Header=BB446_1574 Depth=1
	v_and_b32_e32 v9, 7, v6
	v_lshrrev_b32_e32 v7, 3, v3
	v_cmp_gt_u32_e64 s0, 8, v3
	s_delay_alu instid0(VALU_DEP_3) | instskip(NEXT) | instid1(VALU_DEP_2)
	v_dual_mov_b32 v2, v9 :: v_dual_mov_b32 v3, v10
	s_and_saveexec_b32 s16, s0
; %bb.2865:                             ;   in Loop: Header=BB446_1574 Depth=1
	v_clz_i32_u32_e32 v2, v9
	s_delay_alu instid0(VALU_DEP_1) | instskip(NEXT) | instid1(VALU_DEP_1)
	v_min_u32_e32 v7, 32, v2
	v_subrev_nc_u32_e32 v2, 28, v7
	v_sub_nc_u32_e32 v7, 29, v7
	s_delay_alu instid0(VALU_DEP_2) | instskip(NEXT) | instid1(VALU_DEP_1)
	v_lshlrev_b64 v[2:3], v2, v[9:10]
	v_and_b32_e32 v2, 7, v2
; %bb.2866:                             ;   in Loop: Header=BB446_1574 Depth=1
	s_or_b32 exec_lo, exec_lo, s16
	v_lshlrev_b32_e32 v3, 24, v6
	s_delay_alu instid0(VALU_DEP_2) | instskip(SKIP_1) | instid1(VALU_DEP_3)
	v_lshlrev_b32_e32 v2, 20, v2
	v_lshl_add_u32 v6, v7, 23, 0x3c000000
	v_and_b32_e32 v3, 0x80000000, v3
	s_delay_alu instid0(VALU_DEP_1)
	v_or3_b32 v2, v2, v3, v6
.LBB446_2867:                           ;   in Loop: Header=BB446_1574 Depth=1
	s_or_b32 exec_lo, exec_lo, s15
.LBB446_2868:                           ;   in Loop: Header=BB446_1574 Depth=1
	s_delay_alu instid0(SALU_CYCLE_1)
	s_or_b32 exec_lo, exec_lo, s13
.LBB446_2869:                           ;   in Loop: Header=BB446_1574 Depth=1
	s_delay_alu instid0(SALU_CYCLE_1) | instskip(NEXT) | instid1(VALU_DEP_1)
	s_or_b32 exec_lo, exec_lo, s12
	v_mul_f32_e32 v3, v8, v2
	s_delay_alu instid0(VALU_DEP_1) | instskip(NEXT) | instid1(VALU_DEP_1)
	v_and_b32_e32 v2, 0x7f800000, v3
	v_cmp_ne_u32_e64 s0, 0x7f800000, v2
                                        ; implicit-def: $vgpr2
	s_delay_alu instid0(VALU_DEP_1) | instskip(NEXT) | instid1(SALU_CYCLE_1)
	s_and_saveexec_b32 s12, s0
	s_xor_b32 s0, exec_lo, s12
; %bb.2870:                             ;   in Loop: Header=BB446_1574 Depth=1
	v_bfe_u32 v2, v3, 16, 1
	s_delay_alu instid0(VALU_DEP_1)
	v_add3_u32 v2, v3, v2, 0x7fff
                                        ; implicit-def: $vgpr3
; %bb.2871:                             ;   in Loop: Header=BB446_1574 Depth=1
	s_and_not1_saveexec_b32 s12, s0
; %bb.2872:                             ;   in Loop: Header=BB446_1574 Depth=1
	v_and_b32_e32 v2, 0xffff, v3
	v_or_b32_e32 v6, 0x10000, v3
	s_delay_alu instid0(VALU_DEP_2) | instskip(NEXT) | instid1(VALU_DEP_1)
	v_cmp_eq_u32_e64 s0, 0, v2
	v_cndmask_b32_e64 v2, v6, v3, s0
; %bb.2873:                             ;   in Loop: Header=BB446_1574 Depth=1
	s_or_b32 exec_lo, exec_lo, s12
	v_lshrrev_b32_e32 v6, 16, v94
	v_lshrrev_b32_e32 v7, 16, v93
	;; [unrolled: 1-line block ×8, first 2 shown]
	s_and_saveexec_b32 s12, vcc_lo
	s_cbranch_execz .LBB446_2875
; %bb.2874:                             ;   in Loop: Header=BB446_1574 Depth=1
	v_cmp_lt_i32_e64 s0, v86, v38
	s_delay_alu instid0(VALU_DEP_1) | instskip(SKIP_1) | instid1(VALU_DEP_1)
	v_cndmask_b32_e64 v89, 0, v89, s0
	v_cmp_lt_i32_e64 s0, v101, v38
	v_cndmask_b32_e64 v90, 0, v90, s0
	v_cmp_lt_i32_e64 s0, v100, v38
	s_delay_alu instid0(VALU_DEP_1) | instskip(SKIP_1) | instid1(VALU_DEP_1)
	v_cndmask_b32_e64 v91, 0, v91, s0
	v_cmp_lt_i32_e64 s0, v99, v38
	v_cndmask_b32_e64 v9, 0, v9, s0
	;; [unrolled: 5-line block ×4, first 2 shown]
.LBB446_2875:                           ;   in Loop: Header=BB446_1574 Depth=1
	s_or_b32 exec_lo, exec_lo, s12
	v_lshlrev_b32_e32 v89, 16, v89
	s_delay_alu instid0(VALU_DEP_1) | instskip(NEXT) | instid1(VALU_DEP_1)
	v_mul_f32_e32 v92, v102, v89
	v_and_b32_e32 v89, 0x7f800000, v92
	s_delay_alu instid0(VALU_DEP_1) | instskip(NEXT) | instid1(VALU_DEP_1)
	v_cmp_ne_u32_e64 s0, 0x7f800000, v89
                                        ; implicit-def: $vgpr89
	s_and_saveexec_b32 s12, s0
	s_delay_alu instid0(SALU_CYCLE_1)
	s_xor_b32 s0, exec_lo, s12
; %bb.2876:                             ;   in Loop: Header=BB446_1574 Depth=1
	v_bfe_u32 v89, v92, 16, 1
	s_delay_alu instid0(VALU_DEP_1)
	v_add3_u32 v89, v92, v89, 0x7fff
                                        ; implicit-def: $vgpr92
; %bb.2877:                             ;   in Loop: Header=BB446_1574 Depth=1
	s_and_not1_saveexec_b32 s12, s0
; %bb.2878:                             ;   in Loop: Header=BB446_1574 Depth=1
	v_and_b32_e32 v89, 0xffff, v92
	v_or_b32_e32 v93, 0x10000, v92
	s_delay_alu instid0(VALU_DEP_2) | instskip(NEXT) | instid1(VALU_DEP_1)
	v_cmp_eq_u32_e64 s0, 0, v89
	v_cndmask_b32_e64 v89, v93, v92, s0
; %bb.2879:                             ;   in Loop: Header=BB446_1574 Depth=1
	s_or_b32 exec_lo, exec_lo, s12
	v_lshlrev_b32_e32 v90, 16, v90
	s_delay_alu instid0(VALU_DEP_1) | instskip(NEXT) | instid1(VALU_DEP_1)
	v_mul_f32_e32 v92, v103, v90
	v_and_b32_e32 v90, 0x7f800000, v92
	s_delay_alu instid0(VALU_DEP_1) | instskip(NEXT) | instid1(VALU_DEP_1)
	v_cmp_ne_u32_e64 s0, 0x7f800000, v90
                                        ; implicit-def: $vgpr90
	s_and_saveexec_b32 s12, s0
	s_delay_alu instid0(SALU_CYCLE_1)
	s_xor_b32 s0, exec_lo, s12
; %bb.2880:                             ;   in Loop: Header=BB446_1574 Depth=1
	v_bfe_u32 v90, v92, 16, 1
	s_delay_alu instid0(VALU_DEP_1)
	v_add3_u32 v90, v92, v90, 0x7fff
                                        ; implicit-def: $vgpr92
; %bb.2881:                             ;   in Loop: Header=BB446_1574 Depth=1
	s_and_not1_saveexec_b32 s12, s0
; %bb.2882:                             ;   in Loop: Header=BB446_1574 Depth=1
	v_and_b32_e32 v90, 0xffff, v92
	v_or_b32_e32 v93, 0x10000, v92
	s_delay_alu instid0(VALU_DEP_2) | instskip(NEXT) | instid1(VALU_DEP_1)
	v_cmp_eq_u32_e64 s0, 0, v90
	v_cndmask_b32_e64 v90, v93, v92, s0
; %bb.2883:                             ;   in Loop: Header=BB446_1574 Depth=1
	s_or_b32 exec_lo, exec_lo, s12
	v_lshlrev_b32_e32 v91, 16, v91
	s_delay_alu instid0(VALU_DEP_1) | instskip(NEXT) | instid1(VALU_DEP_1)
	v_mul_f32_e32 v92, v112, v91
	v_and_b32_e32 v91, 0x7f800000, v92
	s_delay_alu instid0(VALU_DEP_1) | instskip(NEXT) | instid1(VALU_DEP_1)
	v_cmp_ne_u32_e64 s0, 0x7f800000, v91
                                        ; implicit-def: $vgpr91
	s_and_saveexec_b32 s12, s0
	s_delay_alu instid0(SALU_CYCLE_1)
	s_xor_b32 s0, exec_lo, s12
; %bb.2884:                             ;   in Loop: Header=BB446_1574 Depth=1
	v_bfe_u32 v91, v92, 16, 1
	s_delay_alu instid0(VALU_DEP_1)
	v_add3_u32 v91, v92, v91, 0x7fff
                                        ; implicit-def: $vgpr92
; %bb.2885:                             ;   in Loop: Header=BB446_1574 Depth=1
	s_and_not1_saveexec_b32 s12, s0
; %bb.2886:                             ;   in Loop: Header=BB446_1574 Depth=1
	v_and_b32_e32 v91, 0xffff, v92
	v_or_b32_e32 v93, 0x10000, v92
	s_delay_alu instid0(VALU_DEP_2) | instskip(NEXT) | instid1(VALU_DEP_1)
	v_cmp_eq_u32_e64 s0, 0, v91
	v_cndmask_b32_e64 v91, v93, v92, s0
; %bb.2887:                             ;   in Loop: Header=BB446_1574 Depth=1
	s_or_b32 exec_lo, exec_lo, s12
	v_lshlrev_b32_e32 v9, 16, v9
	s_delay_alu instid0(VALU_DEP_1) | instskip(NEXT) | instid1(VALU_DEP_1)
	v_mul_f32_e32 v9, v113, v9
	v_and_b32_e32 v92, 0x7f800000, v9
	s_delay_alu instid0(VALU_DEP_1) | instskip(NEXT) | instid1(VALU_DEP_1)
	v_cmp_ne_u32_e64 s0, 0x7f800000, v92
                                        ; implicit-def: $vgpr92
	s_and_saveexec_b32 s12, s0
	s_delay_alu instid0(SALU_CYCLE_1)
	s_xor_b32 s0, exec_lo, s12
; %bb.2888:                             ;   in Loop: Header=BB446_1574 Depth=1
	v_bfe_u32 v92, v9, 16, 1
	s_delay_alu instid0(VALU_DEP_1)
	v_add3_u32 v92, v9, v92, 0x7fff
                                        ; implicit-def: $vgpr9
; %bb.2889:                             ;   in Loop: Header=BB446_1574 Depth=1
	s_and_not1_saveexec_b32 s12, s0
; %bb.2890:                             ;   in Loop: Header=BB446_1574 Depth=1
	v_and_b32_e32 v92, 0xffff, v9
	v_or_b32_e32 v93, 0x10000, v9
	s_delay_alu instid0(VALU_DEP_2) | instskip(NEXT) | instid1(VALU_DEP_1)
	v_cmp_eq_u32_e64 s0, 0, v92
	v_cndmask_b32_e64 v92, v93, v9, s0
; %bb.2891:                             ;   in Loop: Header=BB446_1574 Depth=1
	s_or_b32 exec_lo, exec_lo, s12
	v_lshlrev_b32_e32 v7, 16, v7
                                        ; implicit-def: $vgpr93
	s_delay_alu instid0(VALU_DEP_1) | instskip(NEXT) | instid1(VALU_DEP_1)
	v_mul_f32_e32 v7, v114, v7
	v_and_b32_e32 v9, 0x7f800000, v7
	s_delay_alu instid0(VALU_DEP_1) | instskip(NEXT) | instid1(VALU_DEP_1)
	v_cmp_ne_u32_e64 s0, 0x7f800000, v9
	s_and_saveexec_b32 s12, s0
	s_delay_alu instid0(SALU_CYCLE_1)
	s_xor_b32 s0, exec_lo, s12
; %bb.2892:                             ;   in Loop: Header=BB446_1574 Depth=1
	v_bfe_u32 v9, v7, 16, 1
	s_delay_alu instid0(VALU_DEP_1)
	v_add3_u32 v93, v7, v9, 0x7fff
                                        ; implicit-def: $vgpr7
; %bb.2893:                             ;   in Loop: Header=BB446_1574 Depth=1
	s_and_not1_saveexec_b32 s12, s0
; %bb.2894:                             ;   in Loop: Header=BB446_1574 Depth=1
	v_and_b32_e32 v9, 0xffff, v7
	v_or_b32_e32 v93, 0x10000, v7
	s_delay_alu instid0(VALU_DEP_2) | instskip(NEXT) | instid1(VALU_DEP_1)
	v_cmp_eq_u32_e64 s0, 0, v9
	v_cndmask_b32_e64 v93, v93, v7, s0
; %bb.2895:                             ;   in Loop: Header=BB446_1574 Depth=1
	s_or_b32 exec_lo, exec_lo, s12
	v_lshlrev_b32_e32 v6, 16, v6
                                        ; implicit-def: $vgpr94
	s_delay_alu instid0(VALU_DEP_1) | instskip(NEXT) | instid1(VALU_DEP_1)
	v_mul_f32_e32 v6, v115, v6
	v_and_b32_e32 v7, 0x7f800000, v6
	s_delay_alu instid0(VALU_DEP_1) | instskip(NEXT) | instid1(VALU_DEP_1)
	v_cmp_ne_u32_e64 s0, 0x7f800000, v7
	s_and_saveexec_b32 s12, s0
	s_delay_alu instid0(SALU_CYCLE_1)
	s_xor_b32 s0, exec_lo, s12
; %bb.2896:                             ;   in Loop: Header=BB446_1574 Depth=1
	v_bfe_u32 v7, v6, 16, 1
	s_delay_alu instid0(VALU_DEP_1)
	v_add3_u32 v94, v6, v7, 0x7fff
                                        ; implicit-def: $vgpr6
; %bb.2897:                             ;   in Loop: Header=BB446_1574 Depth=1
	s_and_not1_saveexec_b32 s12, s0
; %bb.2898:                             ;   in Loop: Header=BB446_1574 Depth=1
	v_and_b32_e32 v7, 0xffff, v6
	v_or_b32_e32 v9, 0x10000, v6
	s_delay_alu instid0(VALU_DEP_2) | instskip(NEXT) | instid1(VALU_DEP_1)
	v_cmp_eq_u32_e64 s0, 0, v7
	v_cndmask_b32_e64 v94, v9, v6, s0
; %bb.2899:                             ;   in Loop: Header=BB446_1574 Depth=1
	s_or_b32 exec_lo, exec_lo, s12
	v_lshlrev_b32_e32 v3, 16, v3
                                        ; implicit-def: $vgpr95
	s_delay_alu instid0(VALU_DEP_1) | instskip(NEXT) | instid1(VALU_DEP_1)
	v_mul_f32_e32 v3, v116, v3
	v_and_b32_e32 v6, 0x7f800000, v3
	s_delay_alu instid0(VALU_DEP_1) | instskip(NEXT) | instid1(VALU_DEP_1)
	v_cmp_ne_u32_e64 s0, 0x7f800000, v6
	s_and_saveexec_b32 s12, s0
	s_delay_alu instid0(SALU_CYCLE_1)
	s_xor_b32 s0, exec_lo, s12
; %bb.2900:                             ;   in Loop: Header=BB446_1574 Depth=1
	v_bfe_u32 v6, v3, 16, 1
	s_delay_alu instid0(VALU_DEP_1)
	v_add3_u32 v95, v3, v6, 0x7fff
                                        ; implicit-def: $vgpr3
; %bb.2901:                             ;   in Loop: Header=BB446_1574 Depth=1
	s_and_not1_saveexec_b32 s12, s0
; %bb.2902:                             ;   in Loop: Header=BB446_1574 Depth=1
	v_and_b32_e32 v6, 0xffff, v3
	v_or_b32_e32 v7, 0x10000, v3
	s_delay_alu instid0(VALU_DEP_2) | instskip(NEXT) | instid1(VALU_DEP_1)
	v_cmp_eq_u32_e64 s0, 0, v6
	v_cndmask_b32_e64 v95, v7, v3, s0
; %bb.2903:                             ;   in Loop: Header=BB446_1574 Depth=1
	s_or_b32 exec_lo, exec_lo, s12
	v_lshlrev_b32_e32 v2, 16, v2
                                        ; implicit-def: $vgpr104
	s_delay_alu instid0(VALU_DEP_1) | instskip(NEXT) | instid1(VALU_DEP_1)
	v_mul_f32_e32 v2, v117, v2
	v_and_b32_e32 v3, 0x7f800000, v2
	s_delay_alu instid0(VALU_DEP_1) | instskip(NEXT) | instid1(VALU_DEP_1)
	v_cmp_ne_u32_e64 s0, 0x7f800000, v3
	s_and_saveexec_b32 s12, s0
	s_delay_alu instid0(SALU_CYCLE_1)
	s_xor_b32 s0, exec_lo, s12
; %bb.2904:                             ;   in Loop: Header=BB446_1574 Depth=1
	v_bfe_u32 v3, v2, 16, 1
	s_delay_alu instid0(VALU_DEP_1)
	v_add3_u32 v104, v2, v3, 0x7fff
                                        ; implicit-def: $vgpr2
; %bb.2905:                             ;   in Loop: Header=BB446_1574 Depth=1
	s_and_not1_saveexec_b32 s12, s0
; %bb.2906:                             ;   in Loop: Header=BB446_1574 Depth=1
	v_and_b32_e32 v3, 0xffff, v2
	v_or_b32_e32 v6, 0x10000, v2
	s_delay_alu instid0(VALU_DEP_2) | instskip(NEXT) | instid1(VALU_DEP_1)
	v_cmp_eq_u32_e64 s0, 0, v3
	v_cndmask_b32_e64 v104, v6, v2, s0
; %bb.2907:                             ;   in Loop: Header=BB446_1574 Depth=1
	s_or_b32 exec_lo, exec_lo, s12
	flat_load_b64 v[2:3], v[0:1] offset:2560
	s_mov_b32 s12, exec_lo
	s_waitcnt vmcnt(0) lgkmcnt(0)
	v_dual_mov_b32 v6, 0 :: v_dual_and_b32 v7, 0xff, v2
	s_delay_alu instid0(VALU_DEP_1)
	v_cmpx_ne_u16_e32 0, v7
	s_cbranch_execz .LBB446_2915
; %bb.2908:                             ;   in Loop: Header=BB446_1574 Depth=1
	v_bfrev_b32_e32 v6, 1
	s_mov_b32 s13, exec_lo
	v_cmpx_ne_u16_e32 0x80, v7
	s_cbranch_execz .LBB446_2914
; %bb.2909:                             ;   in Loop: Header=BB446_1574 Depth=1
	v_and_b32_e32 v7, 0x7f, v2
	v_mov_b32_e32 v6, 0x7f800001
	s_mov_b32 s15, exec_lo
	s_delay_alu instid0(VALU_DEP_2)
	v_cmpx_ne_u32_e32 0x7f, v7
	s_cbranch_execz .LBB446_2913
; %bb.2910:                             ;   in Loop: Header=BB446_1574 Depth=1
	v_lshrrev_b32_e32 v9, 3, v7
	v_cmp_gt_u32_e64 s0, 8, v7
	v_dual_mov_b32 v7, v3 :: v_dual_mov_b32 v6, v2
	s_delay_alu instid0(VALU_DEP_2)
	s_and_saveexec_b32 s16, s0
; %bb.2911:                             ;   in Loop: Header=BB446_1574 Depth=1
	v_and_b32_e32 v6, 7, v2
	s_delay_alu instid0(VALU_DEP_1) | instskip(NEXT) | instid1(VALU_DEP_1)
	v_clz_i32_u32_e32 v6, v6
	v_min_u32_e32 v9, 32, v6
	s_delay_alu instid0(VALU_DEP_1) | instskip(SKIP_1) | instid1(VALU_DEP_2)
	v_subrev_nc_u32_e32 v6, 28, v9
	v_sub_nc_u32_e32 v9, 29, v9
	v_lshlrev_b64 v[6:7], v6, v[2:3]
; %bb.2912:                             ;   in Loop: Header=BB446_1574 Depth=1
	s_or_b32 exec_lo, exec_lo, s16
	s_delay_alu instid0(VALU_DEP_1) | instskip(SKIP_2) | instid1(VALU_DEP_3)
	v_lshlrev_b32_e32 v6, 20, v6
	v_lshlrev_b32_e32 v7, 24, v2
	v_lshl_add_u32 v9, v9, 23, 0x3c000000
	v_and_b32_e32 v6, 0x700000, v6
	s_delay_alu instid0(VALU_DEP_3) | instskip(NEXT) | instid1(VALU_DEP_1)
	v_and_b32_e32 v7, 0x80000000, v7
	v_or3_b32 v6, v6, v7, v9
.LBB446_2913:                           ;   in Loop: Header=BB446_1574 Depth=1
	s_or_b32 exec_lo, exec_lo, s15
.LBB446_2914:                           ;   in Loop: Header=BB446_1574 Depth=1
	s_delay_alu instid0(SALU_CYCLE_1)
	s_or_b32 exec_lo, exec_lo, s13
.LBB446_2915:                           ;   in Loop: Header=BB446_1574 Depth=1
	s_delay_alu instid0(SALU_CYCLE_1) | instskip(NEXT) | instid1(VALU_DEP_1)
	s_or_b32 exec_lo, exec_lo, s12
	v_mul_f32_e32 v6, v8, v6
                                        ; implicit-def: $vgpr105
	s_delay_alu instid0(VALU_DEP_1) | instskip(NEXT) | instid1(VALU_DEP_1)
	v_and_b32_e32 v7, 0x7f800000, v6
	v_cmp_ne_u32_e64 s0, 0x7f800000, v7
	s_delay_alu instid0(VALU_DEP_1) | instskip(NEXT) | instid1(SALU_CYCLE_1)
	s_and_saveexec_b32 s12, s0
	s_xor_b32 s0, exec_lo, s12
; %bb.2916:                             ;   in Loop: Header=BB446_1574 Depth=1
	v_bfe_u32 v7, v6, 16, 1
	s_delay_alu instid0(VALU_DEP_1)
	v_add3_u32 v105, v6, v7, 0x7fff
                                        ; implicit-def: $vgpr6
; %bb.2917:                             ;   in Loop: Header=BB446_1574 Depth=1
	s_and_not1_saveexec_b32 s12, s0
; %bb.2918:                             ;   in Loop: Header=BB446_1574 Depth=1
	v_and_b32_e32 v7, 0xffff, v6
	v_or_b32_e32 v9, 0x10000, v6
	s_delay_alu instid0(VALU_DEP_2) | instskip(NEXT) | instid1(VALU_DEP_1)
	v_cmp_eq_u32_e64 s0, 0, v7
	v_cndmask_b32_e64 v105, v9, v6, s0
; %bb.2919:                             ;   in Loop: Header=BB446_1574 Depth=1
	s_or_b32 exec_lo, exec_lo, s12
	v_lshrrev_b16 v7, 8, v2
	v_mov_b32_e32 v6, 0
	s_mov_b32 s12, exec_lo
	s_delay_alu instid0(VALU_DEP_2)
	v_cmpx_ne_u16_e32 0, v7
	s_cbranch_execz .LBB446_2927
; %bb.2920:                             ;   in Loop: Header=BB446_1574 Depth=1
	v_bfrev_b32_e32 v6, 1
	s_mov_b32 s13, exec_lo
	v_cmpx_ne_u16_e32 0x80, v7
	s_cbranch_execz .LBB446_2926
; %bb.2921:                             ;   in Loop: Header=BB446_1574 Depth=1
	v_and_b32_e32 v9, 0xffff, v7
	v_mov_b32_e32 v6, 0x7f800001
	s_mov_b32 s15, exec_lo
	s_delay_alu instid0(VALU_DEP_2) | instskip(NEXT) | instid1(VALU_DEP_1)
	v_and_b32_e32 v7, 0x7f, v9
	v_cmpx_ne_u32_e32 0x7f, v7
	s_cbranch_execz .LBB446_2925
; %bb.2922:                             ;   in Loop: Header=BB446_1574 Depth=1
	v_and_b32_e32 v9, 7, v9
	v_lshrrev_b32_e32 v106, 3, v7
	v_cmp_gt_u32_e64 s0, 8, v7
	s_delay_alu instid0(VALU_DEP_3) | instskip(NEXT) | instid1(VALU_DEP_2)
	v_dual_mov_b32 v6, v9 :: v_dual_mov_b32 v7, v10
	s_and_saveexec_b32 s16, s0
; %bb.2923:                             ;   in Loop: Header=BB446_1574 Depth=1
	v_clz_i32_u32_e32 v6, v9
	s_delay_alu instid0(VALU_DEP_1) | instskip(NEXT) | instid1(VALU_DEP_1)
	v_min_u32_e32 v106, 32, v6
	v_subrev_nc_u32_e32 v6, 28, v106
	v_sub_nc_u32_e32 v106, 29, v106
	s_delay_alu instid0(VALU_DEP_2) | instskip(NEXT) | instid1(VALU_DEP_1)
	v_lshlrev_b64 v[6:7], v6, v[9:10]
	v_and_b32_e32 v6, 7, v6
; %bb.2924:                             ;   in Loop: Header=BB446_1574 Depth=1
	s_or_b32 exec_lo, exec_lo, s16
	v_lshlrev_b32_e32 v7, 16, v2
	s_delay_alu instid0(VALU_DEP_2) | instskip(SKIP_1) | instid1(VALU_DEP_3)
	v_lshlrev_b32_e32 v6, 20, v6
	v_lshl_add_u32 v9, v106, 23, 0x3c000000
	v_and_b32_e32 v7, 0x80000000, v7
	s_delay_alu instid0(VALU_DEP_1)
	v_or3_b32 v6, v6, v7, v9
.LBB446_2925:                           ;   in Loop: Header=BB446_1574 Depth=1
	s_or_b32 exec_lo, exec_lo, s15
.LBB446_2926:                           ;   in Loop: Header=BB446_1574 Depth=1
	s_delay_alu instid0(SALU_CYCLE_1)
	s_or_b32 exec_lo, exec_lo, s13
.LBB446_2927:                           ;   in Loop: Header=BB446_1574 Depth=1
	s_delay_alu instid0(SALU_CYCLE_1) | instskip(NEXT) | instid1(VALU_DEP_1)
	s_or_b32 exec_lo, exec_lo, s12
	v_mul_f32_e32 v6, v8, v6
                                        ; implicit-def: $vgpr106
	s_delay_alu instid0(VALU_DEP_1) | instskip(NEXT) | instid1(VALU_DEP_1)
	v_and_b32_e32 v7, 0x7f800000, v6
	v_cmp_ne_u32_e64 s0, 0x7f800000, v7
	s_delay_alu instid0(VALU_DEP_1) | instskip(NEXT) | instid1(SALU_CYCLE_1)
	s_and_saveexec_b32 s12, s0
	s_xor_b32 s0, exec_lo, s12
; %bb.2928:                             ;   in Loop: Header=BB446_1574 Depth=1
	v_bfe_u32 v7, v6, 16, 1
	s_delay_alu instid0(VALU_DEP_1)
	v_add3_u32 v106, v6, v7, 0x7fff
                                        ; implicit-def: $vgpr6
; %bb.2929:                             ;   in Loop: Header=BB446_1574 Depth=1
	s_and_not1_saveexec_b32 s12, s0
; %bb.2930:                             ;   in Loop: Header=BB446_1574 Depth=1
	v_and_b32_e32 v7, 0xffff, v6
	v_or_b32_e32 v9, 0x10000, v6
	s_delay_alu instid0(VALU_DEP_2) | instskip(NEXT) | instid1(VALU_DEP_1)
	v_cmp_eq_u32_e64 s0, 0, v7
	v_cndmask_b32_e64 v106, v9, v6, s0
; %bb.2931:                             ;   in Loop: Header=BB446_1574 Depth=1
	s_or_b32 exec_lo, exec_lo, s12
	v_lshrrev_b32_e32 v107, 16, v2
	s_mov_b32 s12, exec_lo
	s_delay_alu instid0(VALU_DEP_1) | instskip(NEXT) | instid1(VALU_DEP_1)
	v_dual_mov_b32 v6, 0 :: v_dual_and_b32 v7, 0xff, v107
	v_cmpx_ne_u16_e32 0, v7
	s_cbranch_execz .LBB446_2939
; %bb.2932:                             ;   in Loop: Header=BB446_1574 Depth=1
	v_bfrev_b32_e32 v6, 1
	s_mov_b32 s13, exec_lo
	v_cmpx_ne_u16_e32 0x80, v7
	s_cbranch_execz .LBB446_2938
; %bb.2933:                             ;   in Loop: Header=BB446_1574 Depth=1
	v_bfe_u32 v7, v2, 16, 7
	v_mov_b32_e32 v6, 0x7f800001
	s_mov_b32 s15, exec_lo
	s_delay_alu instid0(VALU_DEP_2)
	v_cmpx_ne_u32_e32 0x7f, v7
	s_cbranch_execz .LBB446_2937
; %bb.2934:                             ;   in Loop: Header=BB446_1574 Depth=1
	v_and_b32_e32 v9, 7, v107
	v_lshrrev_b32_e32 v108, 3, v7
	v_cmp_gt_u32_e64 s0, 8, v7
	s_delay_alu instid0(VALU_DEP_3) | instskip(NEXT) | instid1(VALU_DEP_2)
	v_dual_mov_b32 v6, v9 :: v_dual_mov_b32 v7, v10
	s_and_saveexec_b32 s16, s0
; %bb.2935:                             ;   in Loop: Header=BB446_1574 Depth=1
	v_clz_i32_u32_e32 v6, v9
	s_delay_alu instid0(VALU_DEP_1) | instskip(NEXT) | instid1(VALU_DEP_1)
	v_min_u32_e32 v108, 32, v6
	v_subrev_nc_u32_e32 v6, 28, v108
	v_sub_nc_u32_e32 v108, 29, v108
	s_delay_alu instid0(VALU_DEP_2) | instskip(NEXT) | instid1(VALU_DEP_1)
	v_lshlrev_b64 v[6:7], v6, v[9:10]
	v_and_b32_e32 v6, 7, v6
; %bb.2936:                             ;   in Loop: Header=BB446_1574 Depth=1
	s_or_b32 exec_lo, exec_lo, s16
	v_lshlrev_b32_e32 v7, 24, v107
	s_delay_alu instid0(VALU_DEP_2) | instskip(SKIP_1) | instid1(VALU_DEP_3)
	v_lshlrev_b32_e32 v6, 20, v6
	v_lshl_add_u32 v9, v108, 23, 0x3c000000
	v_and_b32_e32 v7, 0x80000000, v7
	s_delay_alu instid0(VALU_DEP_1)
	v_or3_b32 v6, v6, v7, v9
.LBB446_2937:                           ;   in Loop: Header=BB446_1574 Depth=1
	s_or_b32 exec_lo, exec_lo, s15
.LBB446_2938:                           ;   in Loop: Header=BB446_1574 Depth=1
	s_delay_alu instid0(SALU_CYCLE_1)
	s_or_b32 exec_lo, exec_lo, s13
.LBB446_2939:                           ;   in Loop: Header=BB446_1574 Depth=1
	s_delay_alu instid0(SALU_CYCLE_1) | instskip(NEXT) | instid1(VALU_DEP_1)
	s_or_b32 exec_lo, exec_lo, s12
	v_mul_f32_e32 v6, v8, v6
                                        ; implicit-def: $vgpr107
	s_delay_alu instid0(VALU_DEP_1) | instskip(NEXT) | instid1(VALU_DEP_1)
	v_and_b32_e32 v7, 0x7f800000, v6
	v_cmp_ne_u32_e64 s0, 0x7f800000, v7
	s_delay_alu instid0(VALU_DEP_1) | instskip(NEXT) | instid1(SALU_CYCLE_1)
	s_and_saveexec_b32 s12, s0
	s_xor_b32 s0, exec_lo, s12
; %bb.2940:                             ;   in Loop: Header=BB446_1574 Depth=1
	v_bfe_u32 v7, v6, 16, 1
	s_delay_alu instid0(VALU_DEP_1)
	v_add3_u32 v107, v6, v7, 0x7fff
                                        ; implicit-def: $vgpr6
; %bb.2941:                             ;   in Loop: Header=BB446_1574 Depth=1
	s_and_not1_saveexec_b32 s12, s0
; %bb.2942:                             ;   in Loop: Header=BB446_1574 Depth=1
	v_and_b32_e32 v7, 0xffff, v6
	v_or_b32_e32 v9, 0x10000, v6
	s_delay_alu instid0(VALU_DEP_2) | instskip(NEXT) | instid1(VALU_DEP_1)
	v_cmp_eq_u32_e64 s0, 0, v7
	v_cndmask_b32_e64 v107, v9, v6, s0
; %bb.2943:                             ;   in Loop: Header=BB446_1574 Depth=1
	s_or_b32 exec_lo, exec_lo, s12
	v_mov_b32_e32 v6, 0
	s_mov_b32 s12, exec_lo
	v_cmpx_lt_u32_e32 0xffffff, v2
	s_cbranch_execz .LBB446_2951
; %bb.2944:                             ;   in Loop: Header=BB446_1574 Depth=1
	v_lshrrev_b32_e32 v108, 24, v2
	v_bfrev_b32_e32 v6, 1
	s_mov_b32 s13, exec_lo
	s_delay_alu instid0(VALU_DEP_2)
	v_cmpx_ne_u32_e32 0x80, v108
	s_cbranch_execz .LBB446_2950
; %bb.2945:                             ;   in Loop: Header=BB446_1574 Depth=1
	v_bfe_u32 v7, v2, 24, 7
	v_mov_b32_e32 v6, 0x7f800001
	s_mov_b32 s15, exec_lo
	s_delay_alu instid0(VALU_DEP_2)
	v_cmpx_ne_u32_e32 0x7f, v7
	s_cbranch_execz .LBB446_2949
; %bb.2946:                             ;   in Loop: Header=BB446_1574 Depth=1
	v_and_b32_e32 v9, 7, v108
	v_lshrrev_b32_e32 v109, 3, v7
	v_cmp_gt_u32_e64 s0, 8, v7
	s_delay_alu instid0(VALU_DEP_3) | instskip(NEXT) | instid1(VALU_DEP_2)
	v_dual_mov_b32 v6, v9 :: v_dual_mov_b32 v7, v10
	s_and_saveexec_b32 s16, s0
; %bb.2947:                             ;   in Loop: Header=BB446_1574 Depth=1
	v_clz_i32_u32_e32 v6, v9
	s_delay_alu instid0(VALU_DEP_1) | instskip(NEXT) | instid1(VALU_DEP_1)
	v_min_u32_e32 v109, 32, v6
	v_subrev_nc_u32_e32 v6, 28, v109
	v_sub_nc_u32_e32 v109, 29, v109
	s_delay_alu instid0(VALU_DEP_2) | instskip(NEXT) | instid1(VALU_DEP_1)
	v_lshlrev_b64 v[6:7], v6, v[9:10]
	v_and_b32_e32 v6, 7, v6
; %bb.2948:                             ;   in Loop: Header=BB446_1574 Depth=1
	s_or_b32 exec_lo, exec_lo, s16
	v_lshlrev_b32_e32 v7, 24, v108
	s_delay_alu instid0(VALU_DEP_2) | instskip(SKIP_1) | instid1(VALU_DEP_3)
	v_lshlrev_b32_e32 v6, 20, v6
	v_lshl_add_u32 v9, v109, 23, 0x3c000000
	v_and_b32_e32 v7, 0x80000000, v7
	s_delay_alu instid0(VALU_DEP_1)
	v_or3_b32 v6, v6, v7, v9
.LBB446_2949:                           ;   in Loop: Header=BB446_1574 Depth=1
	s_or_b32 exec_lo, exec_lo, s15
.LBB446_2950:                           ;   in Loop: Header=BB446_1574 Depth=1
	s_delay_alu instid0(SALU_CYCLE_1)
	s_or_b32 exec_lo, exec_lo, s13
.LBB446_2951:                           ;   in Loop: Header=BB446_1574 Depth=1
	s_delay_alu instid0(SALU_CYCLE_1) | instskip(NEXT) | instid1(VALU_DEP_1)
	s_or_b32 exec_lo, exec_lo, s12
	v_mul_f32_e32 v6, v8, v6
                                        ; implicit-def: $vgpr108
	s_delay_alu instid0(VALU_DEP_1) | instskip(NEXT) | instid1(VALU_DEP_1)
	v_and_b32_e32 v7, 0x7f800000, v6
	v_cmp_ne_u32_e64 s0, 0x7f800000, v7
	s_delay_alu instid0(VALU_DEP_1) | instskip(NEXT) | instid1(SALU_CYCLE_1)
	s_and_saveexec_b32 s12, s0
	s_xor_b32 s0, exec_lo, s12
; %bb.2952:                             ;   in Loop: Header=BB446_1574 Depth=1
	v_bfe_u32 v7, v6, 16, 1
	s_delay_alu instid0(VALU_DEP_1)
	v_add3_u32 v108, v6, v7, 0x7fff
                                        ; implicit-def: $vgpr6
; %bb.2953:                             ;   in Loop: Header=BB446_1574 Depth=1
	s_and_not1_saveexec_b32 s12, s0
; %bb.2954:                             ;   in Loop: Header=BB446_1574 Depth=1
	v_and_b32_e32 v7, 0xffff, v6
	v_or_b32_e32 v9, 0x10000, v6
	s_delay_alu instid0(VALU_DEP_2) | instskip(NEXT) | instid1(VALU_DEP_1)
	v_cmp_eq_u32_e64 s0, 0, v7
	v_cndmask_b32_e64 v108, v9, v6, s0
; %bb.2955:                             ;   in Loop: Header=BB446_1574 Depth=1
	s_or_b32 exec_lo, exec_lo, s12
	v_dual_mov_b32 v6, 0 :: v_dual_and_b32 v7, 0xff, v3
	v_mov_b32_e32 v9, v3
	s_mov_b32 s12, exec_lo
	s_delay_alu instid0(VALU_DEP_2)
	v_cmpx_ne_u16_e32 0, v7
	s_cbranch_execz .LBB446_2963
; %bb.2956:                             ;   in Loop: Header=BB446_1574 Depth=1
	v_bfrev_b32_e32 v6, 1
	s_mov_b32 s13, exec_lo
	v_cmpx_ne_u16_e32 0x80, v7
	s_cbranch_execz .LBB446_2962
; %bb.2957:                             ;   in Loop: Header=BB446_1574 Depth=1
	v_and_b32_e32 v7, 0x7f, v3
	v_mov_b32_e32 v6, 0x7f800001
	s_mov_b32 s15, exec_lo
	s_delay_alu instid0(VALU_DEP_2)
	v_cmpx_ne_u32_e32 0x7f, v7
	s_cbranch_execz .LBB446_2961
; %bb.2958:                             ;   in Loop: Header=BB446_1574 Depth=1
	v_lshrrev_b32_e32 v109, 3, v7
	v_cmp_gt_u32_e64 s0, 8, v7
	v_dual_mov_b32 v6, v9 :: v_dual_mov_b32 v7, v10
	s_delay_alu instid0(VALU_DEP_2)
	s_and_saveexec_b32 s16, s0
; %bb.2959:                             ;   in Loop: Header=BB446_1574 Depth=1
	v_and_b32_e32 v6, 7, v3
	s_delay_alu instid0(VALU_DEP_1) | instskip(NEXT) | instid1(VALU_DEP_1)
	v_clz_i32_u32_e32 v6, v6
	v_min_u32_e32 v109, 32, v6
	s_delay_alu instid0(VALU_DEP_1) | instskip(SKIP_1) | instid1(VALU_DEP_2)
	v_subrev_nc_u32_e32 v6, 28, v109
	v_sub_nc_u32_e32 v109, 29, v109
	v_lshlrev_b64 v[6:7], v6, v[9:10]
; %bb.2960:                             ;   in Loop: Header=BB446_1574 Depth=1
	s_or_b32 exec_lo, exec_lo, s16
	s_delay_alu instid0(VALU_DEP_1) | instskip(SKIP_2) | instid1(VALU_DEP_3)
	v_lshlrev_b32_e32 v6, 20, v6
	v_lshlrev_b32_e32 v7, 24, v9
	v_lshl_add_u32 v109, v109, 23, 0x3c000000
	v_and_b32_e32 v6, 0x700000, v6
	s_delay_alu instid0(VALU_DEP_3) | instskip(NEXT) | instid1(VALU_DEP_1)
	v_and_b32_e32 v7, 0x80000000, v7
	v_or3_b32 v6, v6, v7, v109
.LBB446_2961:                           ;   in Loop: Header=BB446_1574 Depth=1
	s_or_b32 exec_lo, exec_lo, s15
.LBB446_2962:                           ;   in Loop: Header=BB446_1574 Depth=1
	s_delay_alu instid0(SALU_CYCLE_1)
	s_or_b32 exec_lo, exec_lo, s13
.LBB446_2963:                           ;   in Loop: Header=BB446_1574 Depth=1
	s_delay_alu instid0(SALU_CYCLE_1) | instskip(NEXT) | instid1(VALU_DEP_1)
	s_or_b32 exec_lo, exec_lo, s12
	v_mul_f32_e32 v6, v8, v6
                                        ; implicit-def: $vgpr109
	s_delay_alu instid0(VALU_DEP_1) | instskip(NEXT) | instid1(VALU_DEP_1)
	v_and_b32_e32 v7, 0x7f800000, v6
	v_cmp_ne_u32_e64 s0, 0x7f800000, v7
	s_delay_alu instid0(VALU_DEP_1) | instskip(NEXT) | instid1(SALU_CYCLE_1)
	s_and_saveexec_b32 s12, s0
	s_xor_b32 s0, exec_lo, s12
; %bb.2964:                             ;   in Loop: Header=BB446_1574 Depth=1
	v_bfe_u32 v7, v6, 16, 1
	s_delay_alu instid0(VALU_DEP_1)
	v_add3_u32 v109, v6, v7, 0x7fff
                                        ; implicit-def: $vgpr6
; %bb.2965:                             ;   in Loop: Header=BB446_1574 Depth=1
	s_and_not1_saveexec_b32 s12, s0
; %bb.2966:                             ;   in Loop: Header=BB446_1574 Depth=1
	v_and_b32_e32 v7, 0xffff, v6
	v_or_b32_e32 v109, 0x10000, v6
	s_delay_alu instid0(VALU_DEP_2) | instskip(NEXT) | instid1(VALU_DEP_1)
	v_cmp_eq_u32_e64 s0, 0, v7
	v_cndmask_b32_e64 v109, v109, v6, s0
; %bb.2967:                             ;   in Loop: Header=BB446_1574 Depth=1
	s_or_b32 exec_lo, exec_lo, s12
	v_lshrrev_b16 v7, 8, v9
	v_mov_b32_e32 v6, 0
	s_mov_b32 s12, exec_lo
	s_delay_alu instid0(VALU_DEP_2)
	v_cmpx_ne_u16_e32 0, v7
	s_cbranch_execz .LBB446_2975
; %bb.2968:                             ;   in Loop: Header=BB446_1574 Depth=1
	v_bfrev_b32_e32 v6, 1
	s_mov_b32 s13, exec_lo
	v_cmpx_ne_u16_e32 0x80, v7
	s_cbranch_execz .LBB446_2974
; %bb.2969:                             ;   in Loop: Header=BB446_1574 Depth=1
	v_and_b32_e32 v7, 0xffff, v7
	v_mov_b32_e32 v6, 0x7f800001
	s_mov_b32 s15, exec_lo
	s_delay_alu instid0(VALU_DEP_2) | instskip(NEXT) | instid1(VALU_DEP_1)
	v_and_b32_e32 v111, 0x7f, v7
	v_cmpx_ne_u32_e32 0x7f, v111
	s_cbranch_execz .LBB446_2973
; %bb.2970:                             ;   in Loop: Header=BB446_1574 Depth=1
	v_dual_mov_b32 v7, v10 :: v_dual_and_b32 v6, 7, v7
	v_lshrrev_b32_e32 v110, 3, v111
	s_mov_b32 s16, exec_lo
	v_cmpx_gt_u32_e32 8, v111
; %bb.2971:                             ;   in Loop: Header=BB446_1574 Depth=1
	s_delay_alu instid0(VALU_DEP_3) | instskip(NEXT) | instid1(VALU_DEP_1)
	v_clz_i32_u32_e32 v110, v6
	v_min_u32_e32 v110, 32, v110
	s_delay_alu instid0(VALU_DEP_1) | instskip(SKIP_1) | instid1(VALU_DEP_2)
	v_subrev_nc_u32_e32 v111, 28, v110
	v_sub_nc_u32_e32 v110, 29, v110
	v_lshlrev_b64 v[6:7], v111, v[6:7]
	s_delay_alu instid0(VALU_DEP_1)
	v_and_b32_e32 v6, 7, v6
; %bb.2972:                             ;   in Loop: Header=BB446_1574 Depth=1
	s_or_b32 exec_lo, exec_lo, s16
	v_lshlrev_b32_e32 v7, 16, v9
	s_delay_alu instid0(VALU_DEP_2) | instskip(SKIP_1) | instid1(VALU_DEP_3)
	v_lshlrev_b32_e32 v6, 20, v6
	v_lshl_add_u32 v9, v110, 23, 0x3c000000
	v_and_b32_e32 v7, 0x80000000, v7
	s_delay_alu instid0(VALU_DEP_1)
	v_or3_b32 v6, v6, v7, v9
.LBB446_2973:                           ;   in Loop: Header=BB446_1574 Depth=1
	s_or_b32 exec_lo, exec_lo, s15
.LBB446_2974:                           ;   in Loop: Header=BB446_1574 Depth=1
	s_delay_alu instid0(SALU_CYCLE_1)
	s_or_b32 exec_lo, exec_lo, s13
.LBB446_2975:                           ;   in Loop: Header=BB446_1574 Depth=1
	s_delay_alu instid0(SALU_CYCLE_1) | instskip(NEXT) | instid1(VALU_DEP_1)
	s_or_b32 exec_lo, exec_lo, s12
	v_mul_f32_e32 v6, v8, v6
                                        ; implicit-def: $vgpr110
	s_delay_alu instid0(VALU_DEP_1) | instskip(NEXT) | instid1(VALU_DEP_1)
	v_and_b32_e32 v7, 0x7f800000, v6
	v_cmp_ne_u32_e64 s0, 0x7f800000, v7
	s_delay_alu instid0(VALU_DEP_1) | instskip(NEXT) | instid1(SALU_CYCLE_1)
	s_and_saveexec_b32 s12, s0
	s_xor_b32 s0, exec_lo, s12
; %bb.2976:                             ;   in Loop: Header=BB446_1574 Depth=1
	v_bfe_u32 v7, v6, 16, 1
	s_delay_alu instid0(VALU_DEP_1)
	v_add3_u32 v110, v6, v7, 0x7fff
                                        ; implicit-def: $vgpr6
; %bb.2977:                             ;   in Loop: Header=BB446_1574 Depth=1
	s_and_not1_saveexec_b32 s12, s0
; %bb.2978:                             ;   in Loop: Header=BB446_1574 Depth=1
	v_and_b32_e32 v7, 0xffff, v6
	v_or_b32_e32 v9, 0x10000, v6
	s_delay_alu instid0(VALU_DEP_2) | instskip(NEXT) | instid1(VALU_DEP_1)
	v_cmp_eq_u32_e64 s0, 0, v7
	v_cndmask_b32_e64 v110, v9, v6, s0
; %bb.2979:                             ;   in Loop: Header=BB446_1574 Depth=1
	s_or_b32 exec_lo, exec_lo, s12
	v_lshrrev_b32_e32 v111, 16, v3
	s_mov_b32 s12, exec_lo
	s_delay_alu instid0(VALU_DEP_1) | instskip(NEXT) | instid1(VALU_DEP_1)
	v_dual_mov_b32 v6, 0 :: v_dual_and_b32 v7, 0xff, v111
	v_cmpx_ne_u16_e32 0, v7
	s_cbranch_execz .LBB446_2987
; %bb.2980:                             ;   in Loop: Header=BB446_1574 Depth=1
	v_bfrev_b32_e32 v6, 1
	s_mov_b32 s13, exec_lo
	v_cmpx_ne_u16_e32 0x80, v7
	s_cbranch_execz .LBB446_2986
; %bb.2981:                             ;   in Loop: Header=BB446_1574 Depth=1
	v_bfe_u32 v7, v3, 16, 7
	v_mov_b32_e32 v6, 0x7f800001
	s_mov_b32 s15, exec_lo
	s_delay_alu instid0(VALU_DEP_2)
	v_cmpx_ne_u32_e32 0x7f, v7
	s_cbranch_execz .LBB446_2985
; %bb.2982:                             ;   in Loop: Header=BB446_1574 Depth=1
	v_and_b32_e32 v9, 7, v111
	v_lshrrev_b32_e32 v120, 3, v7
	v_cmp_gt_u32_e64 s0, 8, v7
	s_delay_alu instid0(VALU_DEP_3) | instskip(NEXT) | instid1(VALU_DEP_2)
	v_dual_mov_b32 v6, v9 :: v_dual_mov_b32 v7, v10
	s_and_saveexec_b32 s16, s0
; %bb.2983:                             ;   in Loop: Header=BB446_1574 Depth=1
	v_clz_i32_u32_e32 v6, v9
	s_delay_alu instid0(VALU_DEP_1) | instskip(NEXT) | instid1(VALU_DEP_1)
	v_min_u32_e32 v120, 32, v6
	v_subrev_nc_u32_e32 v6, 28, v120
	v_sub_nc_u32_e32 v120, 29, v120
	s_delay_alu instid0(VALU_DEP_2) | instskip(NEXT) | instid1(VALU_DEP_1)
	v_lshlrev_b64 v[6:7], v6, v[9:10]
	v_and_b32_e32 v6, 7, v6
; %bb.2984:                             ;   in Loop: Header=BB446_1574 Depth=1
	s_or_b32 exec_lo, exec_lo, s16
	v_lshlrev_b32_e32 v7, 24, v111
	s_delay_alu instid0(VALU_DEP_2) | instskip(SKIP_1) | instid1(VALU_DEP_3)
	v_lshlrev_b32_e32 v6, 20, v6
	v_lshl_add_u32 v9, v120, 23, 0x3c000000
	v_and_b32_e32 v7, 0x80000000, v7
	s_delay_alu instid0(VALU_DEP_1)
	v_or3_b32 v6, v6, v7, v9
.LBB446_2985:                           ;   in Loop: Header=BB446_1574 Depth=1
	s_or_b32 exec_lo, exec_lo, s15
.LBB446_2986:                           ;   in Loop: Header=BB446_1574 Depth=1
	s_delay_alu instid0(SALU_CYCLE_1)
	s_or_b32 exec_lo, exec_lo, s13
.LBB446_2987:                           ;   in Loop: Header=BB446_1574 Depth=1
	s_delay_alu instid0(SALU_CYCLE_1) | instskip(NEXT) | instid1(VALU_DEP_1)
	s_or_b32 exec_lo, exec_lo, s12
	v_mul_f32_e32 v6, v8, v6
                                        ; implicit-def: $vgpr111
	s_delay_alu instid0(VALU_DEP_1) | instskip(NEXT) | instid1(VALU_DEP_1)
	v_and_b32_e32 v7, 0x7f800000, v6
	v_cmp_ne_u32_e64 s0, 0x7f800000, v7
	s_delay_alu instid0(VALU_DEP_1) | instskip(NEXT) | instid1(SALU_CYCLE_1)
	s_and_saveexec_b32 s12, s0
	s_xor_b32 s0, exec_lo, s12
; %bb.2988:                             ;   in Loop: Header=BB446_1574 Depth=1
	v_bfe_u32 v7, v6, 16, 1
	s_delay_alu instid0(VALU_DEP_1)
	v_add3_u32 v111, v6, v7, 0x7fff
                                        ; implicit-def: $vgpr6
; %bb.2989:                             ;   in Loop: Header=BB446_1574 Depth=1
	s_and_not1_saveexec_b32 s12, s0
; %bb.2990:                             ;   in Loop: Header=BB446_1574 Depth=1
	v_and_b32_e32 v7, 0xffff, v6
	v_or_b32_e32 v9, 0x10000, v6
	s_delay_alu instid0(VALU_DEP_2) | instskip(NEXT) | instid1(VALU_DEP_1)
	v_cmp_eq_u32_e64 s0, 0, v7
	v_cndmask_b32_e64 v111, v9, v6, s0
; %bb.2991:                             ;   in Loop: Header=BB446_1574 Depth=1
	s_or_b32 exec_lo, exec_lo, s12
	v_cmp_lt_u64_e64 s0, s[8:9], v[2:3]
	v_mov_b32_e32 v2, 0
	s_delay_alu instid0(VALU_DEP_2)
	s_and_saveexec_b32 s12, s0
	s_cbranch_execz .LBB446_2999
; %bb.2992:                             ;   in Loop: Header=BB446_1574 Depth=1
	v_lshrrev_b32_e32 v6, 24, v3
	v_bfrev_b32_e32 v2, 1
	s_mov_b32 s13, exec_lo
	s_delay_alu instid0(VALU_DEP_2)
	v_cmpx_ne_u32_e32 0x80, v6
	s_cbranch_execz .LBB446_2998
; %bb.2993:                             ;   in Loop: Header=BB446_1574 Depth=1
	v_bfe_u32 v3, v3, 24, 7
	v_mov_b32_e32 v2, 0x7f800001
	s_mov_b32 s15, exec_lo
	s_delay_alu instid0(VALU_DEP_2)
	v_cmpx_ne_u32_e32 0x7f, v3
	s_cbranch_execz .LBB446_2997
; %bb.2994:                             ;   in Loop: Header=BB446_1574 Depth=1
	v_and_b32_e32 v9, 7, v6
	v_lshrrev_b32_e32 v7, 3, v3
	v_cmp_gt_u32_e64 s0, 8, v3
	s_delay_alu instid0(VALU_DEP_3) | instskip(NEXT) | instid1(VALU_DEP_2)
	v_dual_mov_b32 v2, v9 :: v_dual_mov_b32 v3, v10
	s_and_saveexec_b32 s16, s0
; %bb.2995:                             ;   in Loop: Header=BB446_1574 Depth=1
	v_clz_i32_u32_e32 v2, v9
	s_delay_alu instid0(VALU_DEP_1) | instskip(NEXT) | instid1(VALU_DEP_1)
	v_min_u32_e32 v7, 32, v2
	v_subrev_nc_u32_e32 v2, 28, v7
	v_sub_nc_u32_e32 v7, 29, v7
	s_delay_alu instid0(VALU_DEP_2) | instskip(NEXT) | instid1(VALU_DEP_1)
	v_lshlrev_b64 v[2:3], v2, v[9:10]
	v_and_b32_e32 v2, 7, v2
; %bb.2996:                             ;   in Loop: Header=BB446_1574 Depth=1
	s_or_b32 exec_lo, exec_lo, s16
	v_lshlrev_b32_e32 v3, 24, v6
	s_delay_alu instid0(VALU_DEP_2) | instskip(SKIP_1) | instid1(VALU_DEP_3)
	v_lshlrev_b32_e32 v2, 20, v2
	v_lshl_add_u32 v6, v7, 23, 0x3c000000
	v_and_b32_e32 v3, 0x80000000, v3
	s_delay_alu instid0(VALU_DEP_1)
	v_or3_b32 v2, v2, v3, v6
.LBB446_2997:                           ;   in Loop: Header=BB446_1574 Depth=1
	s_or_b32 exec_lo, exec_lo, s15
.LBB446_2998:                           ;   in Loop: Header=BB446_1574 Depth=1
	s_delay_alu instid0(SALU_CYCLE_1)
	s_or_b32 exec_lo, exec_lo, s13
.LBB446_2999:                           ;   in Loop: Header=BB446_1574 Depth=1
	s_delay_alu instid0(SALU_CYCLE_1) | instskip(NEXT) | instid1(VALU_DEP_1)
	s_or_b32 exec_lo, exec_lo, s12
	v_mul_f32_e32 v3, v8, v2
	s_delay_alu instid0(VALU_DEP_1) | instskip(NEXT) | instid1(VALU_DEP_1)
	v_and_b32_e32 v2, 0x7f800000, v3
	v_cmp_ne_u32_e64 s0, 0x7f800000, v2
                                        ; implicit-def: $vgpr2
	s_delay_alu instid0(VALU_DEP_1) | instskip(NEXT) | instid1(SALU_CYCLE_1)
	s_and_saveexec_b32 s12, s0
	s_xor_b32 s0, exec_lo, s12
; %bb.3000:                             ;   in Loop: Header=BB446_1574 Depth=1
	v_bfe_u32 v2, v3, 16, 1
	s_delay_alu instid0(VALU_DEP_1)
	v_add3_u32 v2, v3, v2, 0x7fff
                                        ; implicit-def: $vgpr3
; %bb.3001:                             ;   in Loop: Header=BB446_1574 Depth=1
	s_and_not1_saveexec_b32 s12, s0
; %bb.3002:                             ;   in Loop: Header=BB446_1574 Depth=1
	v_and_b32_e32 v2, 0xffff, v3
	v_or_b32_e32 v6, 0x10000, v3
	s_delay_alu instid0(VALU_DEP_2) | instskip(NEXT) | instid1(VALU_DEP_1)
	v_cmp_eq_u32_e64 s0, 0, v2
	v_cndmask_b32_e64 v2, v6, v3, s0
; %bb.3003:                             ;   in Loop: Header=BB446_1574 Depth=1
	s_or_b32 exec_lo, exec_lo, s12
	v_lshrrev_b32_e32 v6, 16, v110
	v_lshrrev_b32_e32 v7, 16, v109
	;; [unrolled: 1-line block ×8, first 2 shown]
	s_and_saveexec_b32 s12, vcc_lo
	s_cbranch_execz .LBB446_3005
; %bb.3004:                             ;   in Loop: Header=BB446_1574 Depth=1
	v_cmp_lt_i32_e64 s0, v86, v38
	s_delay_alu instid0(VALU_DEP_1) | instskip(SKIP_1) | instid1(VALU_DEP_1)
	v_cndmask_b32_e64 v105, 0, v105, s0
	v_cmp_lt_i32_e64 s0, v101, v38
	v_cndmask_b32_e64 v106, 0, v106, s0
	v_cmp_lt_i32_e64 s0, v100, v38
	s_delay_alu instid0(VALU_DEP_1) | instskip(SKIP_1) | instid1(VALU_DEP_1)
	v_cndmask_b32_e64 v107, 0, v107, s0
	v_cmp_lt_i32_e64 s0, v99, v38
	v_cndmask_b32_e64 v9, 0, v9, s0
	;; [unrolled: 5-line block ×4, first 2 shown]
.LBB446_3005:                           ;   in Loop: Header=BB446_1574 Depth=1
	s_or_b32 exec_lo, exec_lo, s12
	v_lshlrev_b32_e32 v105, 16, v105
	s_delay_alu instid0(VALU_DEP_1) | instskip(NEXT) | instid1(VALU_DEP_1)
	v_mul_f32_e32 v108, v102, v105
	v_and_b32_e32 v105, 0x7f800000, v108
	s_delay_alu instid0(VALU_DEP_1) | instskip(NEXT) | instid1(VALU_DEP_1)
	v_cmp_ne_u32_e64 s0, 0x7f800000, v105
                                        ; implicit-def: $vgpr105
	s_and_saveexec_b32 s12, s0
	s_delay_alu instid0(SALU_CYCLE_1)
	s_xor_b32 s0, exec_lo, s12
; %bb.3006:                             ;   in Loop: Header=BB446_1574 Depth=1
	v_bfe_u32 v105, v108, 16, 1
	s_delay_alu instid0(VALU_DEP_1)
	v_add3_u32 v105, v108, v105, 0x7fff
                                        ; implicit-def: $vgpr108
; %bb.3007:                             ;   in Loop: Header=BB446_1574 Depth=1
	s_and_not1_saveexec_b32 s12, s0
; %bb.3008:                             ;   in Loop: Header=BB446_1574 Depth=1
	v_and_b32_e32 v105, 0xffff, v108
	v_or_b32_e32 v109, 0x10000, v108
	s_delay_alu instid0(VALU_DEP_2) | instskip(NEXT) | instid1(VALU_DEP_1)
	v_cmp_eq_u32_e64 s0, 0, v105
	v_cndmask_b32_e64 v105, v109, v108, s0
; %bb.3009:                             ;   in Loop: Header=BB446_1574 Depth=1
	s_or_b32 exec_lo, exec_lo, s12
	v_lshlrev_b32_e32 v106, 16, v106
	s_delay_alu instid0(VALU_DEP_1) | instskip(NEXT) | instid1(VALU_DEP_1)
	v_mul_f32_e32 v108, v103, v106
	v_and_b32_e32 v106, 0x7f800000, v108
	s_delay_alu instid0(VALU_DEP_1) | instskip(NEXT) | instid1(VALU_DEP_1)
	v_cmp_ne_u32_e64 s0, 0x7f800000, v106
                                        ; implicit-def: $vgpr106
	s_and_saveexec_b32 s12, s0
	s_delay_alu instid0(SALU_CYCLE_1)
	s_xor_b32 s0, exec_lo, s12
; %bb.3010:                             ;   in Loop: Header=BB446_1574 Depth=1
	v_bfe_u32 v106, v108, 16, 1
	s_delay_alu instid0(VALU_DEP_1)
	v_add3_u32 v106, v108, v106, 0x7fff
                                        ; implicit-def: $vgpr108
; %bb.3011:                             ;   in Loop: Header=BB446_1574 Depth=1
	s_and_not1_saveexec_b32 s12, s0
; %bb.3012:                             ;   in Loop: Header=BB446_1574 Depth=1
	v_and_b32_e32 v106, 0xffff, v108
	v_or_b32_e32 v109, 0x10000, v108
	s_delay_alu instid0(VALU_DEP_2) | instskip(NEXT) | instid1(VALU_DEP_1)
	v_cmp_eq_u32_e64 s0, 0, v106
	v_cndmask_b32_e64 v106, v109, v108, s0
; %bb.3013:                             ;   in Loop: Header=BB446_1574 Depth=1
	s_or_b32 exec_lo, exec_lo, s12
	v_lshlrev_b32_e32 v107, 16, v107
	s_delay_alu instid0(VALU_DEP_1) | instskip(NEXT) | instid1(VALU_DEP_1)
	v_mul_f32_e32 v108, v112, v107
	v_and_b32_e32 v107, 0x7f800000, v108
	s_delay_alu instid0(VALU_DEP_1) | instskip(NEXT) | instid1(VALU_DEP_1)
	v_cmp_ne_u32_e64 s0, 0x7f800000, v107
                                        ; implicit-def: $vgpr107
	s_and_saveexec_b32 s12, s0
	s_delay_alu instid0(SALU_CYCLE_1)
	s_xor_b32 s0, exec_lo, s12
; %bb.3014:                             ;   in Loop: Header=BB446_1574 Depth=1
	v_bfe_u32 v107, v108, 16, 1
	s_delay_alu instid0(VALU_DEP_1)
	v_add3_u32 v107, v108, v107, 0x7fff
                                        ; implicit-def: $vgpr108
; %bb.3015:                             ;   in Loop: Header=BB446_1574 Depth=1
	s_and_not1_saveexec_b32 s12, s0
; %bb.3016:                             ;   in Loop: Header=BB446_1574 Depth=1
	v_and_b32_e32 v107, 0xffff, v108
	v_or_b32_e32 v109, 0x10000, v108
	s_delay_alu instid0(VALU_DEP_2) | instskip(NEXT) | instid1(VALU_DEP_1)
	v_cmp_eq_u32_e64 s0, 0, v107
	v_cndmask_b32_e64 v107, v109, v108, s0
; %bb.3017:                             ;   in Loop: Header=BB446_1574 Depth=1
	s_or_b32 exec_lo, exec_lo, s12
	v_lshlrev_b32_e32 v9, 16, v9
	s_delay_alu instid0(VALU_DEP_1) | instskip(NEXT) | instid1(VALU_DEP_1)
	v_mul_f32_e32 v9, v113, v9
	v_and_b32_e32 v108, 0x7f800000, v9
	s_delay_alu instid0(VALU_DEP_1) | instskip(NEXT) | instid1(VALU_DEP_1)
	v_cmp_ne_u32_e64 s0, 0x7f800000, v108
                                        ; implicit-def: $vgpr108
	s_and_saveexec_b32 s12, s0
	s_delay_alu instid0(SALU_CYCLE_1)
	s_xor_b32 s0, exec_lo, s12
; %bb.3018:                             ;   in Loop: Header=BB446_1574 Depth=1
	v_bfe_u32 v108, v9, 16, 1
	s_delay_alu instid0(VALU_DEP_1)
	v_add3_u32 v108, v9, v108, 0x7fff
                                        ; implicit-def: $vgpr9
; %bb.3019:                             ;   in Loop: Header=BB446_1574 Depth=1
	s_and_not1_saveexec_b32 s12, s0
; %bb.3020:                             ;   in Loop: Header=BB446_1574 Depth=1
	v_and_b32_e32 v108, 0xffff, v9
	v_or_b32_e32 v109, 0x10000, v9
	s_delay_alu instid0(VALU_DEP_2) | instskip(NEXT) | instid1(VALU_DEP_1)
	v_cmp_eq_u32_e64 s0, 0, v108
	v_cndmask_b32_e64 v108, v109, v9, s0
; %bb.3021:                             ;   in Loop: Header=BB446_1574 Depth=1
	s_or_b32 exec_lo, exec_lo, s12
	v_lshlrev_b32_e32 v7, 16, v7
                                        ; implicit-def: $vgpr109
	s_delay_alu instid0(VALU_DEP_1) | instskip(NEXT) | instid1(VALU_DEP_1)
	v_mul_f32_e32 v7, v114, v7
	v_and_b32_e32 v9, 0x7f800000, v7
	s_delay_alu instid0(VALU_DEP_1) | instskip(NEXT) | instid1(VALU_DEP_1)
	v_cmp_ne_u32_e64 s0, 0x7f800000, v9
	s_and_saveexec_b32 s12, s0
	s_delay_alu instid0(SALU_CYCLE_1)
	s_xor_b32 s0, exec_lo, s12
; %bb.3022:                             ;   in Loop: Header=BB446_1574 Depth=1
	v_bfe_u32 v9, v7, 16, 1
	s_delay_alu instid0(VALU_DEP_1)
	v_add3_u32 v109, v7, v9, 0x7fff
                                        ; implicit-def: $vgpr7
; %bb.3023:                             ;   in Loop: Header=BB446_1574 Depth=1
	s_and_not1_saveexec_b32 s12, s0
; %bb.3024:                             ;   in Loop: Header=BB446_1574 Depth=1
	v_and_b32_e32 v9, 0xffff, v7
	v_or_b32_e32 v109, 0x10000, v7
	s_delay_alu instid0(VALU_DEP_2) | instskip(NEXT) | instid1(VALU_DEP_1)
	v_cmp_eq_u32_e64 s0, 0, v9
	v_cndmask_b32_e64 v109, v109, v7, s0
; %bb.3025:                             ;   in Loop: Header=BB446_1574 Depth=1
	s_or_b32 exec_lo, exec_lo, s12
	v_lshlrev_b32_e32 v6, 16, v6
                                        ; implicit-def: $vgpr110
	s_delay_alu instid0(VALU_DEP_1) | instskip(NEXT) | instid1(VALU_DEP_1)
	v_mul_f32_e32 v6, v115, v6
	v_and_b32_e32 v7, 0x7f800000, v6
	s_delay_alu instid0(VALU_DEP_1) | instskip(NEXT) | instid1(VALU_DEP_1)
	v_cmp_ne_u32_e64 s0, 0x7f800000, v7
	s_and_saveexec_b32 s12, s0
	s_delay_alu instid0(SALU_CYCLE_1)
	s_xor_b32 s0, exec_lo, s12
; %bb.3026:                             ;   in Loop: Header=BB446_1574 Depth=1
	v_bfe_u32 v7, v6, 16, 1
	s_delay_alu instid0(VALU_DEP_1)
	v_add3_u32 v110, v6, v7, 0x7fff
                                        ; implicit-def: $vgpr6
; %bb.3027:                             ;   in Loop: Header=BB446_1574 Depth=1
	s_and_not1_saveexec_b32 s12, s0
; %bb.3028:                             ;   in Loop: Header=BB446_1574 Depth=1
	v_and_b32_e32 v7, 0xffff, v6
	v_or_b32_e32 v9, 0x10000, v6
	s_delay_alu instid0(VALU_DEP_2) | instskip(NEXT) | instid1(VALU_DEP_1)
	v_cmp_eq_u32_e64 s0, 0, v7
	v_cndmask_b32_e64 v110, v9, v6, s0
; %bb.3029:                             ;   in Loop: Header=BB446_1574 Depth=1
	s_or_b32 exec_lo, exec_lo, s12
	v_lshlrev_b32_e32 v3, 16, v3
                                        ; implicit-def: $vgpr111
	s_delay_alu instid0(VALU_DEP_1) | instskip(NEXT) | instid1(VALU_DEP_1)
	v_mul_f32_e32 v3, v116, v3
	v_and_b32_e32 v6, 0x7f800000, v3
	s_delay_alu instid0(VALU_DEP_1) | instskip(NEXT) | instid1(VALU_DEP_1)
	v_cmp_ne_u32_e64 s0, 0x7f800000, v6
	s_and_saveexec_b32 s12, s0
	s_delay_alu instid0(SALU_CYCLE_1)
	s_xor_b32 s0, exec_lo, s12
; %bb.3030:                             ;   in Loop: Header=BB446_1574 Depth=1
	v_bfe_u32 v6, v3, 16, 1
	s_delay_alu instid0(VALU_DEP_1)
	v_add3_u32 v111, v3, v6, 0x7fff
                                        ; implicit-def: $vgpr3
; %bb.3031:                             ;   in Loop: Header=BB446_1574 Depth=1
	s_and_not1_saveexec_b32 s12, s0
; %bb.3032:                             ;   in Loop: Header=BB446_1574 Depth=1
	v_and_b32_e32 v6, 0xffff, v3
	v_or_b32_e32 v7, 0x10000, v3
	s_delay_alu instid0(VALU_DEP_2) | instskip(NEXT) | instid1(VALU_DEP_1)
	v_cmp_eq_u32_e64 s0, 0, v6
	v_cndmask_b32_e64 v111, v7, v3, s0
; %bb.3033:                             ;   in Loop: Header=BB446_1574 Depth=1
	s_or_b32 exec_lo, exec_lo, s12
	v_lshlrev_b32_e32 v2, 16, v2
                                        ; implicit-def: $vgpr120
	s_delay_alu instid0(VALU_DEP_1) | instskip(NEXT) | instid1(VALU_DEP_1)
	v_mul_f32_e32 v2, v117, v2
	v_and_b32_e32 v3, 0x7f800000, v2
	s_delay_alu instid0(VALU_DEP_1) | instskip(NEXT) | instid1(VALU_DEP_1)
	v_cmp_ne_u32_e64 s0, 0x7f800000, v3
	s_and_saveexec_b32 s12, s0
	s_delay_alu instid0(SALU_CYCLE_1)
	s_xor_b32 s0, exec_lo, s12
; %bb.3034:                             ;   in Loop: Header=BB446_1574 Depth=1
	v_bfe_u32 v3, v2, 16, 1
	s_delay_alu instid0(VALU_DEP_1)
	v_add3_u32 v120, v2, v3, 0x7fff
                                        ; implicit-def: $vgpr2
; %bb.3035:                             ;   in Loop: Header=BB446_1574 Depth=1
	s_and_not1_saveexec_b32 s12, s0
; %bb.3036:                             ;   in Loop: Header=BB446_1574 Depth=1
	v_and_b32_e32 v3, 0xffff, v2
	v_or_b32_e32 v6, 0x10000, v2
	s_delay_alu instid0(VALU_DEP_2) | instskip(NEXT) | instid1(VALU_DEP_1)
	v_cmp_eq_u32_e64 s0, 0, v3
	v_cndmask_b32_e64 v120, v6, v2, s0
; %bb.3037:                             ;   in Loop: Header=BB446_1574 Depth=1
	s_or_b32 exec_lo, exec_lo, s12
	flat_load_b64 v[2:3], v[0:1] offset:2816
	s_mov_b32 s12, exec_lo
	s_waitcnt vmcnt(0) lgkmcnt(0)
	v_dual_mov_b32 v6, 0 :: v_dual_and_b32 v7, 0xff, v2
	s_delay_alu instid0(VALU_DEP_1)
	v_cmpx_ne_u16_e32 0, v7
	s_cbranch_execz .LBB446_3045
; %bb.3038:                             ;   in Loop: Header=BB446_1574 Depth=1
	v_bfrev_b32_e32 v6, 1
	s_mov_b32 s13, exec_lo
	v_cmpx_ne_u16_e32 0x80, v7
	s_cbranch_execz .LBB446_3044
; %bb.3039:                             ;   in Loop: Header=BB446_1574 Depth=1
	v_and_b32_e32 v7, 0x7f, v2
	v_mov_b32_e32 v6, 0x7f800001
	s_mov_b32 s15, exec_lo
	s_delay_alu instid0(VALU_DEP_2)
	v_cmpx_ne_u32_e32 0x7f, v7
	s_cbranch_execz .LBB446_3043
; %bb.3040:                             ;   in Loop: Header=BB446_1574 Depth=1
	v_lshrrev_b32_e32 v9, 3, v7
	v_cmp_gt_u32_e64 s0, 8, v7
	v_dual_mov_b32 v7, v3 :: v_dual_mov_b32 v6, v2
	s_delay_alu instid0(VALU_DEP_2)
	s_and_saveexec_b32 s16, s0
; %bb.3041:                             ;   in Loop: Header=BB446_1574 Depth=1
	v_and_b32_e32 v6, 7, v2
	s_delay_alu instid0(VALU_DEP_1) | instskip(NEXT) | instid1(VALU_DEP_1)
	v_clz_i32_u32_e32 v6, v6
	v_min_u32_e32 v9, 32, v6
	s_delay_alu instid0(VALU_DEP_1) | instskip(SKIP_1) | instid1(VALU_DEP_2)
	v_subrev_nc_u32_e32 v6, 28, v9
	v_sub_nc_u32_e32 v9, 29, v9
	v_lshlrev_b64 v[6:7], v6, v[2:3]
; %bb.3042:                             ;   in Loop: Header=BB446_1574 Depth=1
	s_or_b32 exec_lo, exec_lo, s16
	s_delay_alu instid0(VALU_DEP_1) | instskip(SKIP_2) | instid1(VALU_DEP_3)
	v_lshlrev_b32_e32 v6, 20, v6
	v_lshlrev_b32_e32 v7, 24, v2
	v_lshl_add_u32 v9, v9, 23, 0x3c000000
	v_and_b32_e32 v6, 0x700000, v6
	s_delay_alu instid0(VALU_DEP_3) | instskip(NEXT) | instid1(VALU_DEP_1)
	v_and_b32_e32 v7, 0x80000000, v7
	v_or3_b32 v6, v6, v7, v9
.LBB446_3043:                           ;   in Loop: Header=BB446_1574 Depth=1
	s_or_b32 exec_lo, exec_lo, s15
.LBB446_3044:                           ;   in Loop: Header=BB446_1574 Depth=1
	s_delay_alu instid0(SALU_CYCLE_1)
	s_or_b32 exec_lo, exec_lo, s13
.LBB446_3045:                           ;   in Loop: Header=BB446_1574 Depth=1
	s_delay_alu instid0(SALU_CYCLE_1) | instskip(NEXT) | instid1(VALU_DEP_1)
	s_or_b32 exec_lo, exec_lo, s12
	v_mul_f32_e32 v6, v8, v6
                                        ; implicit-def: $vgpr121
	s_delay_alu instid0(VALU_DEP_1) | instskip(NEXT) | instid1(VALU_DEP_1)
	v_and_b32_e32 v7, 0x7f800000, v6
	v_cmp_ne_u32_e64 s0, 0x7f800000, v7
	s_delay_alu instid0(VALU_DEP_1) | instskip(NEXT) | instid1(SALU_CYCLE_1)
	s_and_saveexec_b32 s12, s0
	s_xor_b32 s0, exec_lo, s12
; %bb.3046:                             ;   in Loop: Header=BB446_1574 Depth=1
	v_bfe_u32 v7, v6, 16, 1
	s_delay_alu instid0(VALU_DEP_1)
	v_add3_u32 v121, v6, v7, 0x7fff
                                        ; implicit-def: $vgpr6
; %bb.3047:                             ;   in Loop: Header=BB446_1574 Depth=1
	s_and_not1_saveexec_b32 s12, s0
; %bb.3048:                             ;   in Loop: Header=BB446_1574 Depth=1
	v_and_b32_e32 v7, 0xffff, v6
	v_or_b32_e32 v9, 0x10000, v6
	s_delay_alu instid0(VALU_DEP_2) | instskip(NEXT) | instid1(VALU_DEP_1)
	v_cmp_eq_u32_e64 s0, 0, v7
	v_cndmask_b32_e64 v121, v9, v6, s0
; %bb.3049:                             ;   in Loop: Header=BB446_1574 Depth=1
	s_or_b32 exec_lo, exec_lo, s12
	v_lshrrev_b16 v7, 8, v2
	v_mov_b32_e32 v6, 0
	s_mov_b32 s12, exec_lo
	s_delay_alu instid0(VALU_DEP_2)
	v_cmpx_ne_u16_e32 0, v7
	s_cbranch_execz .LBB446_3057
; %bb.3050:                             ;   in Loop: Header=BB446_1574 Depth=1
	v_bfrev_b32_e32 v6, 1
	s_mov_b32 s13, exec_lo
	v_cmpx_ne_u16_e32 0x80, v7
	s_cbranch_execz .LBB446_3056
; %bb.3051:                             ;   in Loop: Header=BB446_1574 Depth=1
	v_and_b32_e32 v9, 0xffff, v7
	v_mov_b32_e32 v6, 0x7f800001
	s_mov_b32 s15, exec_lo
	s_delay_alu instid0(VALU_DEP_2) | instskip(NEXT) | instid1(VALU_DEP_1)
	v_and_b32_e32 v7, 0x7f, v9
	v_cmpx_ne_u32_e32 0x7f, v7
	s_cbranch_execz .LBB446_3055
; %bb.3052:                             ;   in Loop: Header=BB446_1574 Depth=1
	v_and_b32_e32 v9, 7, v9
	v_lshrrev_b32_e32 v122, 3, v7
	v_cmp_gt_u32_e64 s0, 8, v7
	s_delay_alu instid0(VALU_DEP_3) | instskip(NEXT) | instid1(VALU_DEP_2)
	v_dual_mov_b32 v6, v9 :: v_dual_mov_b32 v7, v10
	s_and_saveexec_b32 s16, s0
; %bb.3053:                             ;   in Loop: Header=BB446_1574 Depth=1
	v_clz_i32_u32_e32 v6, v9
	s_delay_alu instid0(VALU_DEP_1) | instskip(NEXT) | instid1(VALU_DEP_1)
	v_min_u32_e32 v122, 32, v6
	v_subrev_nc_u32_e32 v6, 28, v122
	v_sub_nc_u32_e32 v122, 29, v122
	s_delay_alu instid0(VALU_DEP_2) | instskip(NEXT) | instid1(VALU_DEP_1)
	v_lshlrev_b64 v[6:7], v6, v[9:10]
	v_and_b32_e32 v6, 7, v6
; %bb.3054:                             ;   in Loop: Header=BB446_1574 Depth=1
	s_or_b32 exec_lo, exec_lo, s16
	v_lshlrev_b32_e32 v7, 16, v2
	s_delay_alu instid0(VALU_DEP_2) | instskip(SKIP_1) | instid1(VALU_DEP_3)
	v_lshlrev_b32_e32 v6, 20, v6
	v_lshl_add_u32 v9, v122, 23, 0x3c000000
	v_and_b32_e32 v7, 0x80000000, v7
	s_delay_alu instid0(VALU_DEP_1)
	v_or3_b32 v6, v6, v7, v9
.LBB446_3055:                           ;   in Loop: Header=BB446_1574 Depth=1
	s_or_b32 exec_lo, exec_lo, s15
.LBB446_3056:                           ;   in Loop: Header=BB446_1574 Depth=1
	s_delay_alu instid0(SALU_CYCLE_1)
	s_or_b32 exec_lo, exec_lo, s13
.LBB446_3057:                           ;   in Loop: Header=BB446_1574 Depth=1
	s_delay_alu instid0(SALU_CYCLE_1) | instskip(NEXT) | instid1(VALU_DEP_1)
	s_or_b32 exec_lo, exec_lo, s12
	v_mul_f32_e32 v6, v8, v6
                                        ; implicit-def: $vgpr122
	s_delay_alu instid0(VALU_DEP_1) | instskip(NEXT) | instid1(VALU_DEP_1)
	v_and_b32_e32 v7, 0x7f800000, v6
	v_cmp_ne_u32_e64 s0, 0x7f800000, v7
	s_delay_alu instid0(VALU_DEP_1) | instskip(NEXT) | instid1(SALU_CYCLE_1)
	s_and_saveexec_b32 s12, s0
	s_xor_b32 s0, exec_lo, s12
; %bb.3058:                             ;   in Loop: Header=BB446_1574 Depth=1
	v_bfe_u32 v7, v6, 16, 1
	s_delay_alu instid0(VALU_DEP_1)
	v_add3_u32 v122, v6, v7, 0x7fff
                                        ; implicit-def: $vgpr6
; %bb.3059:                             ;   in Loop: Header=BB446_1574 Depth=1
	s_and_not1_saveexec_b32 s12, s0
; %bb.3060:                             ;   in Loop: Header=BB446_1574 Depth=1
	v_and_b32_e32 v7, 0xffff, v6
	v_or_b32_e32 v9, 0x10000, v6
	s_delay_alu instid0(VALU_DEP_2) | instskip(NEXT) | instid1(VALU_DEP_1)
	v_cmp_eq_u32_e64 s0, 0, v7
	v_cndmask_b32_e64 v122, v9, v6, s0
; %bb.3061:                             ;   in Loop: Header=BB446_1574 Depth=1
	s_or_b32 exec_lo, exec_lo, s12
	v_lshrrev_b32_e32 v123, 16, v2
	s_mov_b32 s12, exec_lo
	s_delay_alu instid0(VALU_DEP_1) | instskip(NEXT) | instid1(VALU_DEP_1)
	v_dual_mov_b32 v6, 0 :: v_dual_and_b32 v7, 0xff, v123
	v_cmpx_ne_u16_e32 0, v7
	s_cbranch_execz .LBB446_3069
; %bb.3062:                             ;   in Loop: Header=BB446_1574 Depth=1
	v_bfrev_b32_e32 v6, 1
	s_mov_b32 s13, exec_lo
	v_cmpx_ne_u16_e32 0x80, v7
	s_cbranch_execz .LBB446_3068
; %bb.3063:                             ;   in Loop: Header=BB446_1574 Depth=1
	v_bfe_u32 v7, v2, 16, 7
	v_mov_b32_e32 v6, 0x7f800001
	s_mov_b32 s15, exec_lo
	s_delay_alu instid0(VALU_DEP_2)
	v_cmpx_ne_u32_e32 0x7f, v7
	s_cbranch_execz .LBB446_3067
; %bb.3064:                             ;   in Loop: Header=BB446_1574 Depth=1
	v_and_b32_e32 v9, 7, v123
	v_lshrrev_b32_e32 v124, 3, v7
	v_cmp_gt_u32_e64 s0, 8, v7
	s_delay_alu instid0(VALU_DEP_3) | instskip(NEXT) | instid1(VALU_DEP_2)
	v_dual_mov_b32 v6, v9 :: v_dual_mov_b32 v7, v10
	s_and_saveexec_b32 s16, s0
; %bb.3065:                             ;   in Loop: Header=BB446_1574 Depth=1
	v_clz_i32_u32_e32 v6, v9
	s_delay_alu instid0(VALU_DEP_1) | instskip(NEXT) | instid1(VALU_DEP_1)
	v_min_u32_e32 v124, 32, v6
	v_subrev_nc_u32_e32 v6, 28, v124
	v_sub_nc_u32_e32 v124, 29, v124
	s_delay_alu instid0(VALU_DEP_2) | instskip(NEXT) | instid1(VALU_DEP_1)
	v_lshlrev_b64 v[6:7], v6, v[9:10]
	v_and_b32_e32 v6, 7, v6
; %bb.3066:                             ;   in Loop: Header=BB446_1574 Depth=1
	s_or_b32 exec_lo, exec_lo, s16
	v_lshlrev_b32_e32 v7, 24, v123
	s_delay_alu instid0(VALU_DEP_2) | instskip(SKIP_1) | instid1(VALU_DEP_3)
	v_lshlrev_b32_e32 v6, 20, v6
	v_lshl_add_u32 v9, v124, 23, 0x3c000000
	v_and_b32_e32 v7, 0x80000000, v7
	s_delay_alu instid0(VALU_DEP_1)
	v_or3_b32 v6, v6, v7, v9
.LBB446_3067:                           ;   in Loop: Header=BB446_1574 Depth=1
	s_or_b32 exec_lo, exec_lo, s15
.LBB446_3068:                           ;   in Loop: Header=BB446_1574 Depth=1
	s_delay_alu instid0(SALU_CYCLE_1)
	s_or_b32 exec_lo, exec_lo, s13
.LBB446_3069:                           ;   in Loop: Header=BB446_1574 Depth=1
	s_delay_alu instid0(SALU_CYCLE_1) | instskip(NEXT) | instid1(VALU_DEP_1)
	s_or_b32 exec_lo, exec_lo, s12
	v_mul_f32_e32 v6, v8, v6
                                        ; implicit-def: $vgpr123
	s_delay_alu instid0(VALU_DEP_1) | instskip(NEXT) | instid1(VALU_DEP_1)
	v_and_b32_e32 v7, 0x7f800000, v6
	v_cmp_ne_u32_e64 s0, 0x7f800000, v7
	s_delay_alu instid0(VALU_DEP_1) | instskip(NEXT) | instid1(SALU_CYCLE_1)
	s_and_saveexec_b32 s12, s0
	s_xor_b32 s0, exec_lo, s12
; %bb.3070:                             ;   in Loop: Header=BB446_1574 Depth=1
	v_bfe_u32 v7, v6, 16, 1
	s_delay_alu instid0(VALU_DEP_1)
	v_add3_u32 v123, v6, v7, 0x7fff
                                        ; implicit-def: $vgpr6
; %bb.3071:                             ;   in Loop: Header=BB446_1574 Depth=1
	s_and_not1_saveexec_b32 s12, s0
; %bb.3072:                             ;   in Loop: Header=BB446_1574 Depth=1
	v_and_b32_e32 v7, 0xffff, v6
	v_or_b32_e32 v9, 0x10000, v6
	s_delay_alu instid0(VALU_DEP_2) | instskip(NEXT) | instid1(VALU_DEP_1)
	v_cmp_eq_u32_e64 s0, 0, v7
	v_cndmask_b32_e64 v123, v9, v6, s0
; %bb.3073:                             ;   in Loop: Header=BB446_1574 Depth=1
	s_or_b32 exec_lo, exec_lo, s12
	v_mov_b32_e32 v6, 0
	s_mov_b32 s12, exec_lo
	v_cmpx_lt_u32_e32 0xffffff, v2
	s_cbranch_execz .LBB446_3081
; %bb.3074:                             ;   in Loop: Header=BB446_1574 Depth=1
	v_lshrrev_b32_e32 v124, 24, v2
	v_bfrev_b32_e32 v6, 1
	s_mov_b32 s13, exec_lo
	s_delay_alu instid0(VALU_DEP_2)
	v_cmpx_ne_u32_e32 0x80, v124
	s_cbranch_execz .LBB446_3080
; %bb.3075:                             ;   in Loop: Header=BB446_1574 Depth=1
	v_bfe_u32 v7, v2, 24, 7
	v_mov_b32_e32 v6, 0x7f800001
	s_mov_b32 s15, exec_lo
	s_delay_alu instid0(VALU_DEP_2)
	v_cmpx_ne_u32_e32 0x7f, v7
	s_cbranch_execz .LBB446_3079
; %bb.3076:                             ;   in Loop: Header=BB446_1574 Depth=1
	v_and_b32_e32 v9, 7, v124
	v_lshrrev_b32_e32 v125, 3, v7
	v_cmp_gt_u32_e64 s0, 8, v7
	s_delay_alu instid0(VALU_DEP_3) | instskip(NEXT) | instid1(VALU_DEP_2)
	v_dual_mov_b32 v6, v9 :: v_dual_mov_b32 v7, v10
	s_and_saveexec_b32 s16, s0
; %bb.3077:                             ;   in Loop: Header=BB446_1574 Depth=1
	v_clz_i32_u32_e32 v6, v9
	s_delay_alu instid0(VALU_DEP_1) | instskip(NEXT) | instid1(VALU_DEP_1)
	v_min_u32_e32 v125, 32, v6
	v_subrev_nc_u32_e32 v6, 28, v125
	v_sub_nc_u32_e32 v125, 29, v125
	s_delay_alu instid0(VALU_DEP_2) | instskip(NEXT) | instid1(VALU_DEP_1)
	v_lshlrev_b64 v[6:7], v6, v[9:10]
	v_and_b32_e32 v6, 7, v6
; %bb.3078:                             ;   in Loop: Header=BB446_1574 Depth=1
	s_or_b32 exec_lo, exec_lo, s16
	v_lshlrev_b32_e32 v7, 24, v124
	s_delay_alu instid0(VALU_DEP_2) | instskip(SKIP_1) | instid1(VALU_DEP_3)
	v_lshlrev_b32_e32 v6, 20, v6
	v_lshl_add_u32 v9, v125, 23, 0x3c000000
	v_and_b32_e32 v7, 0x80000000, v7
	s_delay_alu instid0(VALU_DEP_1)
	v_or3_b32 v6, v6, v7, v9
.LBB446_3079:                           ;   in Loop: Header=BB446_1574 Depth=1
	s_or_b32 exec_lo, exec_lo, s15
.LBB446_3080:                           ;   in Loop: Header=BB446_1574 Depth=1
	s_delay_alu instid0(SALU_CYCLE_1)
	s_or_b32 exec_lo, exec_lo, s13
.LBB446_3081:                           ;   in Loop: Header=BB446_1574 Depth=1
	s_delay_alu instid0(SALU_CYCLE_1) | instskip(NEXT) | instid1(VALU_DEP_1)
	s_or_b32 exec_lo, exec_lo, s12
	v_mul_f32_e32 v6, v8, v6
                                        ; implicit-def: $vgpr124
	s_delay_alu instid0(VALU_DEP_1) | instskip(NEXT) | instid1(VALU_DEP_1)
	v_and_b32_e32 v7, 0x7f800000, v6
	v_cmp_ne_u32_e64 s0, 0x7f800000, v7
	s_delay_alu instid0(VALU_DEP_1) | instskip(NEXT) | instid1(SALU_CYCLE_1)
	s_and_saveexec_b32 s12, s0
	s_xor_b32 s0, exec_lo, s12
; %bb.3082:                             ;   in Loop: Header=BB446_1574 Depth=1
	v_bfe_u32 v7, v6, 16, 1
	s_delay_alu instid0(VALU_DEP_1)
	v_add3_u32 v124, v6, v7, 0x7fff
                                        ; implicit-def: $vgpr6
; %bb.3083:                             ;   in Loop: Header=BB446_1574 Depth=1
	s_and_not1_saveexec_b32 s12, s0
; %bb.3084:                             ;   in Loop: Header=BB446_1574 Depth=1
	v_and_b32_e32 v7, 0xffff, v6
	v_or_b32_e32 v9, 0x10000, v6
	s_delay_alu instid0(VALU_DEP_2) | instskip(NEXT) | instid1(VALU_DEP_1)
	v_cmp_eq_u32_e64 s0, 0, v7
	v_cndmask_b32_e64 v124, v9, v6, s0
; %bb.3085:                             ;   in Loop: Header=BB446_1574 Depth=1
	s_or_b32 exec_lo, exec_lo, s12
	v_dual_mov_b32 v6, 0 :: v_dual_and_b32 v7, 0xff, v3
	v_mov_b32_e32 v9, v3
	s_mov_b32 s12, exec_lo
	s_delay_alu instid0(VALU_DEP_2)
	v_cmpx_ne_u16_e32 0, v7
	s_cbranch_execz .LBB446_3093
; %bb.3086:                             ;   in Loop: Header=BB446_1574 Depth=1
	v_bfrev_b32_e32 v6, 1
	s_mov_b32 s13, exec_lo
	v_cmpx_ne_u16_e32 0x80, v7
	s_cbranch_execz .LBB446_3092
; %bb.3087:                             ;   in Loop: Header=BB446_1574 Depth=1
	v_and_b32_e32 v7, 0x7f, v3
	v_mov_b32_e32 v6, 0x7f800001
	s_mov_b32 s15, exec_lo
	s_delay_alu instid0(VALU_DEP_2)
	v_cmpx_ne_u32_e32 0x7f, v7
	s_cbranch_execz .LBB446_3091
; %bb.3088:                             ;   in Loop: Header=BB446_1574 Depth=1
	v_lshrrev_b32_e32 v125, 3, v7
	v_cmp_gt_u32_e64 s0, 8, v7
	v_dual_mov_b32 v6, v9 :: v_dual_mov_b32 v7, v10
	s_delay_alu instid0(VALU_DEP_2)
	s_and_saveexec_b32 s16, s0
; %bb.3089:                             ;   in Loop: Header=BB446_1574 Depth=1
	v_and_b32_e32 v6, 7, v3
	s_delay_alu instid0(VALU_DEP_1) | instskip(NEXT) | instid1(VALU_DEP_1)
	v_clz_i32_u32_e32 v6, v6
	v_min_u32_e32 v125, 32, v6
	s_delay_alu instid0(VALU_DEP_1) | instskip(SKIP_1) | instid1(VALU_DEP_2)
	v_subrev_nc_u32_e32 v6, 28, v125
	v_sub_nc_u32_e32 v125, 29, v125
	v_lshlrev_b64 v[6:7], v6, v[9:10]
; %bb.3090:                             ;   in Loop: Header=BB446_1574 Depth=1
	s_or_b32 exec_lo, exec_lo, s16
	s_delay_alu instid0(VALU_DEP_1) | instskip(SKIP_2) | instid1(VALU_DEP_3)
	v_lshlrev_b32_e32 v6, 20, v6
	v_lshlrev_b32_e32 v7, 24, v9
	v_lshl_add_u32 v125, v125, 23, 0x3c000000
	v_and_b32_e32 v6, 0x700000, v6
	s_delay_alu instid0(VALU_DEP_3) | instskip(NEXT) | instid1(VALU_DEP_1)
	v_and_b32_e32 v7, 0x80000000, v7
	v_or3_b32 v6, v6, v7, v125
.LBB446_3091:                           ;   in Loop: Header=BB446_1574 Depth=1
	s_or_b32 exec_lo, exec_lo, s15
.LBB446_3092:                           ;   in Loop: Header=BB446_1574 Depth=1
	s_delay_alu instid0(SALU_CYCLE_1)
	s_or_b32 exec_lo, exec_lo, s13
.LBB446_3093:                           ;   in Loop: Header=BB446_1574 Depth=1
	s_delay_alu instid0(SALU_CYCLE_1) | instskip(NEXT) | instid1(VALU_DEP_1)
	s_or_b32 exec_lo, exec_lo, s12
	v_mul_f32_e32 v6, v8, v6
                                        ; implicit-def: $vgpr125
	s_delay_alu instid0(VALU_DEP_1) | instskip(NEXT) | instid1(VALU_DEP_1)
	v_and_b32_e32 v7, 0x7f800000, v6
	v_cmp_ne_u32_e64 s0, 0x7f800000, v7
	s_delay_alu instid0(VALU_DEP_1) | instskip(NEXT) | instid1(SALU_CYCLE_1)
	s_and_saveexec_b32 s12, s0
	s_xor_b32 s0, exec_lo, s12
; %bb.3094:                             ;   in Loop: Header=BB446_1574 Depth=1
	v_bfe_u32 v7, v6, 16, 1
	s_delay_alu instid0(VALU_DEP_1)
	v_add3_u32 v125, v6, v7, 0x7fff
                                        ; implicit-def: $vgpr6
; %bb.3095:                             ;   in Loop: Header=BB446_1574 Depth=1
	s_and_not1_saveexec_b32 s12, s0
; %bb.3096:                             ;   in Loop: Header=BB446_1574 Depth=1
	v_and_b32_e32 v7, 0xffff, v6
	v_or_b32_e32 v125, 0x10000, v6
	s_delay_alu instid0(VALU_DEP_2) | instskip(NEXT) | instid1(VALU_DEP_1)
	v_cmp_eq_u32_e64 s0, 0, v7
	v_cndmask_b32_e64 v125, v125, v6, s0
; %bb.3097:                             ;   in Loop: Header=BB446_1574 Depth=1
	s_or_b32 exec_lo, exec_lo, s12
	v_lshrrev_b16 v7, 8, v9
	v_mov_b32_e32 v6, 0
	s_mov_b32 s12, exec_lo
	s_delay_alu instid0(VALU_DEP_2)
	v_cmpx_ne_u16_e32 0, v7
	s_cbranch_execz .LBB446_3105
; %bb.3098:                             ;   in Loop: Header=BB446_1574 Depth=1
	v_bfrev_b32_e32 v6, 1
	s_mov_b32 s13, exec_lo
	v_cmpx_ne_u16_e32 0x80, v7
	s_cbranch_execz .LBB446_3104
; %bb.3099:                             ;   in Loop: Header=BB446_1574 Depth=1
	v_and_b32_e32 v7, 0xffff, v7
	v_mov_b32_e32 v6, 0x7f800001
	s_mov_b32 s15, exec_lo
	s_delay_alu instid0(VALU_DEP_2) | instskip(NEXT) | instid1(VALU_DEP_1)
	v_and_b32_e32 v127, 0x7f, v7
	v_cmpx_ne_u32_e32 0x7f, v127
	s_cbranch_execz .LBB446_3103
; %bb.3100:                             ;   in Loop: Header=BB446_1574 Depth=1
	v_dual_mov_b32 v7, v10 :: v_dual_and_b32 v6, 7, v7
	v_lshrrev_b32_e32 v126, 3, v127
	s_mov_b32 s16, exec_lo
	v_cmpx_gt_u32_e32 8, v127
; %bb.3101:                             ;   in Loop: Header=BB446_1574 Depth=1
	s_delay_alu instid0(VALU_DEP_3) | instskip(NEXT) | instid1(VALU_DEP_1)
	v_clz_i32_u32_e32 v126, v6
	v_min_u32_e32 v126, 32, v126
	s_delay_alu instid0(VALU_DEP_1) | instskip(SKIP_1) | instid1(VALU_DEP_2)
	v_subrev_nc_u32_e32 v127, 28, v126
	v_sub_nc_u32_e32 v126, 29, v126
	v_lshlrev_b64 v[6:7], v127, v[6:7]
	s_delay_alu instid0(VALU_DEP_1)
	v_and_b32_e32 v6, 7, v6
; %bb.3102:                             ;   in Loop: Header=BB446_1574 Depth=1
	s_or_b32 exec_lo, exec_lo, s16
	v_lshlrev_b32_e32 v7, 16, v9
	s_delay_alu instid0(VALU_DEP_2) | instskip(SKIP_1) | instid1(VALU_DEP_3)
	v_lshlrev_b32_e32 v6, 20, v6
	v_lshl_add_u32 v9, v126, 23, 0x3c000000
	v_and_b32_e32 v7, 0x80000000, v7
	s_delay_alu instid0(VALU_DEP_1)
	v_or3_b32 v6, v6, v7, v9
.LBB446_3103:                           ;   in Loop: Header=BB446_1574 Depth=1
	s_or_b32 exec_lo, exec_lo, s15
.LBB446_3104:                           ;   in Loop: Header=BB446_1574 Depth=1
	s_delay_alu instid0(SALU_CYCLE_1)
	s_or_b32 exec_lo, exec_lo, s13
.LBB446_3105:                           ;   in Loop: Header=BB446_1574 Depth=1
	s_delay_alu instid0(SALU_CYCLE_1) | instskip(NEXT) | instid1(VALU_DEP_1)
	s_or_b32 exec_lo, exec_lo, s12
	v_mul_f32_e32 v6, v8, v6
                                        ; implicit-def: $vgpr126
	s_delay_alu instid0(VALU_DEP_1) | instskip(NEXT) | instid1(VALU_DEP_1)
	v_and_b32_e32 v7, 0x7f800000, v6
	v_cmp_ne_u32_e64 s0, 0x7f800000, v7
	s_delay_alu instid0(VALU_DEP_1) | instskip(NEXT) | instid1(SALU_CYCLE_1)
	s_and_saveexec_b32 s12, s0
	s_xor_b32 s0, exec_lo, s12
; %bb.3106:                             ;   in Loop: Header=BB446_1574 Depth=1
	v_bfe_u32 v7, v6, 16, 1
	s_delay_alu instid0(VALU_DEP_1)
	v_add3_u32 v126, v6, v7, 0x7fff
                                        ; implicit-def: $vgpr6
; %bb.3107:                             ;   in Loop: Header=BB446_1574 Depth=1
	s_and_not1_saveexec_b32 s12, s0
; %bb.3108:                             ;   in Loop: Header=BB446_1574 Depth=1
	v_and_b32_e32 v7, 0xffff, v6
	v_or_b32_e32 v9, 0x10000, v6
	s_delay_alu instid0(VALU_DEP_2) | instskip(NEXT) | instid1(VALU_DEP_1)
	v_cmp_eq_u32_e64 s0, 0, v7
	v_cndmask_b32_e64 v126, v9, v6, s0
; %bb.3109:                             ;   in Loop: Header=BB446_1574 Depth=1
	s_or_b32 exec_lo, exec_lo, s12
	v_lshrrev_b32_e32 v127, 16, v3
	s_mov_b32 s12, exec_lo
	s_delay_alu instid0(VALU_DEP_1) | instskip(NEXT) | instid1(VALU_DEP_1)
	v_dual_mov_b32 v6, 0 :: v_dual_and_b32 v7, 0xff, v127
	v_cmpx_ne_u16_e32 0, v7
	s_cbranch_execz .LBB446_3117
; %bb.3110:                             ;   in Loop: Header=BB446_1574 Depth=1
	v_bfrev_b32_e32 v6, 1
	s_mov_b32 s13, exec_lo
	v_cmpx_ne_u16_e32 0x80, v7
	s_cbranch_execz .LBB446_3116
; %bb.3111:                             ;   in Loop: Header=BB446_1574 Depth=1
	v_bfe_u32 v7, v3, 16, 7
	v_mov_b32_e32 v6, 0x7f800001
	s_mov_b32 s15, exec_lo
	s_delay_alu instid0(VALU_DEP_2)
	v_cmpx_ne_u32_e32 0x7f, v7
	s_cbranch_execz .LBB446_3115
; %bb.3112:                             ;   in Loop: Header=BB446_1574 Depth=1
	v_and_b32_e32 v9, 7, v127
	v_lshrrev_b32_e32 v136, 3, v7
	v_cmp_gt_u32_e64 s0, 8, v7
	s_delay_alu instid0(VALU_DEP_3) | instskip(NEXT) | instid1(VALU_DEP_2)
	v_dual_mov_b32 v6, v9 :: v_dual_mov_b32 v7, v10
	s_and_saveexec_b32 s16, s0
; %bb.3113:                             ;   in Loop: Header=BB446_1574 Depth=1
	v_clz_i32_u32_e32 v6, v9
	s_delay_alu instid0(VALU_DEP_1) | instskip(NEXT) | instid1(VALU_DEP_1)
	v_min_u32_e32 v136, 32, v6
	v_subrev_nc_u32_e32 v6, 28, v136
	v_sub_nc_u32_e32 v136, 29, v136
	s_delay_alu instid0(VALU_DEP_2) | instskip(NEXT) | instid1(VALU_DEP_1)
	v_lshlrev_b64 v[6:7], v6, v[9:10]
	v_and_b32_e32 v6, 7, v6
; %bb.3114:                             ;   in Loop: Header=BB446_1574 Depth=1
	s_or_b32 exec_lo, exec_lo, s16
	v_lshlrev_b32_e32 v7, 24, v127
	s_delay_alu instid0(VALU_DEP_2) | instskip(SKIP_1) | instid1(VALU_DEP_3)
	v_lshlrev_b32_e32 v6, 20, v6
	v_lshl_add_u32 v9, v136, 23, 0x3c000000
	v_and_b32_e32 v7, 0x80000000, v7
	s_delay_alu instid0(VALU_DEP_1)
	v_or3_b32 v6, v6, v7, v9
.LBB446_3115:                           ;   in Loop: Header=BB446_1574 Depth=1
	s_or_b32 exec_lo, exec_lo, s15
.LBB446_3116:                           ;   in Loop: Header=BB446_1574 Depth=1
	s_delay_alu instid0(SALU_CYCLE_1)
	s_or_b32 exec_lo, exec_lo, s13
.LBB446_3117:                           ;   in Loop: Header=BB446_1574 Depth=1
	s_delay_alu instid0(SALU_CYCLE_1) | instskip(NEXT) | instid1(VALU_DEP_1)
	s_or_b32 exec_lo, exec_lo, s12
	v_mul_f32_e32 v6, v8, v6
                                        ; implicit-def: $vgpr127
	s_delay_alu instid0(VALU_DEP_1) | instskip(NEXT) | instid1(VALU_DEP_1)
	v_and_b32_e32 v7, 0x7f800000, v6
	v_cmp_ne_u32_e64 s0, 0x7f800000, v7
	s_delay_alu instid0(VALU_DEP_1) | instskip(NEXT) | instid1(SALU_CYCLE_1)
	s_and_saveexec_b32 s12, s0
	s_xor_b32 s0, exec_lo, s12
; %bb.3118:                             ;   in Loop: Header=BB446_1574 Depth=1
	v_bfe_u32 v7, v6, 16, 1
	s_delay_alu instid0(VALU_DEP_1)
	v_add3_u32 v127, v6, v7, 0x7fff
                                        ; implicit-def: $vgpr6
; %bb.3119:                             ;   in Loop: Header=BB446_1574 Depth=1
	s_and_not1_saveexec_b32 s12, s0
; %bb.3120:                             ;   in Loop: Header=BB446_1574 Depth=1
	v_and_b32_e32 v7, 0xffff, v6
	v_or_b32_e32 v9, 0x10000, v6
	s_delay_alu instid0(VALU_DEP_2) | instskip(NEXT) | instid1(VALU_DEP_1)
	v_cmp_eq_u32_e64 s0, 0, v7
	v_cndmask_b32_e64 v127, v9, v6, s0
; %bb.3121:                             ;   in Loop: Header=BB446_1574 Depth=1
	s_or_b32 exec_lo, exec_lo, s12
	v_cmp_lt_u64_e64 s0, s[8:9], v[2:3]
	v_mov_b32_e32 v2, 0
	s_delay_alu instid0(VALU_DEP_2)
	s_and_saveexec_b32 s12, s0
	s_cbranch_execz .LBB446_3129
; %bb.3122:                             ;   in Loop: Header=BB446_1574 Depth=1
	v_lshrrev_b32_e32 v6, 24, v3
	v_bfrev_b32_e32 v2, 1
	s_mov_b32 s13, exec_lo
	s_delay_alu instid0(VALU_DEP_2)
	v_cmpx_ne_u32_e32 0x80, v6
	s_cbranch_execz .LBB446_3128
; %bb.3123:                             ;   in Loop: Header=BB446_1574 Depth=1
	v_bfe_u32 v3, v3, 24, 7
	v_mov_b32_e32 v2, 0x7f800001
	s_mov_b32 s15, exec_lo
	s_delay_alu instid0(VALU_DEP_2)
	v_cmpx_ne_u32_e32 0x7f, v3
	s_cbranch_execz .LBB446_3127
; %bb.3124:                             ;   in Loop: Header=BB446_1574 Depth=1
	v_and_b32_e32 v9, 7, v6
	v_lshrrev_b32_e32 v7, 3, v3
	v_cmp_gt_u32_e64 s0, 8, v3
	s_delay_alu instid0(VALU_DEP_3) | instskip(NEXT) | instid1(VALU_DEP_2)
	v_dual_mov_b32 v2, v9 :: v_dual_mov_b32 v3, v10
	s_and_saveexec_b32 s16, s0
; %bb.3125:                             ;   in Loop: Header=BB446_1574 Depth=1
	v_clz_i32_u32_e32 v2, v9
	s_delay_alu instid0(VALU_DEP_1) | instskip(NEXT) | instid1(VALU_DEP_1)
	v_min_u32_e32 v7, 32, v2
	v_subrev_nc_u32_e32 v2, 28, v7
	v_sub_nc_u32_e32 v7, 29, v7
	s_delay_alu instid0(VALU_DEP_2) | instskip(NEXT) | instid1(VALU_DEP_1)
	v_lshlrev_b64 v[2:3], v2, v[9:10]
	v_and_b32_e32 v2, 7, v2
; %bb.3126:                             ;   in Loop: Header=BB446_1574 Depth=1
	s_or_b32 exec_lo, exec_lo, s16
	v_lshlrev_b32_e32 v3, 24, v6
	s_delay_alu instid0(VALU_DEP_2) | instskip(SKIP_1) | instid1(VALU_DEP_3)
	v_lshlrev_b32_e32 v2, 20, v2
	v_lshl_add_u32 v6, v7, 23, 0x3c000000
	v_and_b32_e32 v3, 0x80000000, v3
	s_delay_alu instid0(VALU_DEP_1)
	v_or3_b32 v2, v2, v3, v6
.LBB446_3127:                           ;   in Loop: Header=BB446_1574 Depth=1
	s_or_b32 exec_lo, exec_lo, s15
.LBB446_3128:                           ;   in Loop: Header=BB446_1574 Depth=1
	s_delay_alu instid0(SALU_CYCLE_1)
	s_or_b32 exec_lo, exec_lo, s13
.LBB446_3129:                           ;   in Loop: Header=BB446_1574 Depth=1
	s_delay_alu instid0(SALU_CYCLE_1) | instskip(NEXT) | instid1(VALU_DEP_1)
	s_or_b32 exec_lo, exec_lo, s12
	v_mul_f32_e32 v3, v8, v2
	s_delay_alu instid0(VALU_DEP_1) | instskip(NEXT) | instid1(VALU_DEP_1)
	v_and_b32_e32 v2, 0x7f800000, v3
	v_cmp_ne_u32_e64 s0, 0x7f800000, v2
                                        ; implicit-def: $vgpr2
	s_delay_alu instid0(VALU_DEP_1) | instskip(NEXT) | instid1(SALU_CYCLE_1)
	s_and_saveexec_b32 s12, s0
	s_xor_b32 s0, exec_lo, s12
; %bb.3130:                             ;   in Loop: Header=BB446_1574 Depth=1
	v_bfe_u32 v2, v3, 16, 1
	s_delay_alu instid0(VALU_DEP_1)
	v_add3_u32 v2, v3, v2, 0x7fff
                                        ; implicit-def: $vgpr3
; %bb.3131:                             ;   in Loop: Header=BB446_1574 Depth=1
	s_and_not1_saveexec_b32 s12, s0
; %bb.3132:                             ;   in Loop: Header=BB446_1574 Depth=1
	v_and_b32_e32 v2, 0xffff, v3
	v_or_b32_e32 v6, 0x10000, v3
	s_delay_alu instid0(VALU_DEP_2) | instskip(NEXT) | instid1(VALU_DEP_1)
	v_cmp_eq_u32_e64 s0, 0, v2
	v_cndmask_b32_e64 v2, v6, v3, s0
; %bb.3133:                             ;   in Loop: Header=BB446_1574 Depth=1
	s_or_b32 exec_lo, exec_lo, s12
	v_lshrrev_b32_e32 v6, 16, v126
	v_lshrrev_b32_e32 v7, 16, v125
	;; [unrolled: 1-line block ×8, first 2 shown]
	s_and_saveexec_b32 s12, vcc_lo
	s_cbranch_execz .LBB446_3135
; %bb.3134:                             ;   in Loop: Header=BB446_1574 Depth=1
	v_cmp_lt_i32_e64 s0, v86, v38
	s_delay_alu instid0(VALU_DEP_1) | instskip(SKIP_1) | instid1(VALU_DEP_1)
	v_cndmask_b32_e64 v121, 0, v121, s0
	v_cmp_lt_i32_e64 s0, v101, v38
	v_cndmask_b32_e64 v122, 0, v122, s0
	v_cmp_lt_i32_e64 s0, v100, v38
	s_delay_alu instid0(VALU_DEP_1) | instskip(SKIP_1) | instid1(VALU_DEP_1)
	v_cndmask_b32_e64 v123, 0, v123, s0
	v_cmp_lt_i32_e64 s0, v99, v38
	v_cndmask_b32_e64 v9, 0, v9, s0
	;; [unrolled: 5-line block ×4, first 2 shown]
.LBB446_3135:                           ;   in Loop: Header=BB446_1574 Depth=1
	s_or_b32 exec_lo, exec_lo, s12
	v_lshlrev_b32_e32 v121, 16, v121
	s_delay_alu instid0(VALU_DEP_1) | instskip(NEXT) | instid1(VALU_DEP_1)
	v_mul_f32_e32 v124, v102, v121
	v_and_b32_e32 v121, 0x7f800000, v124
	s_delay_alu instid0(VALU_DEP_1) | instskip(NEXT) | instid1(VALU_DEP_1)
	v_cmp_ne_u32_e64 s0, 0x7f800000, v121
                                        ; implicit-def: $vgpr121
	s_and_saveexec_b32 s12, s0
	s_delay_alu instid0(SALU_CYCLE_1)
	s_xor_b32 s0, exec_lo, s12
; %bb.3136:                             ;   in Loop: Header=BB446_1574 Depth=1
	v_bfe_u32 v121, v124, 16, 1
	s_delay_alu instid0(VALU_DEP_1)
	v_add3_u32 v121, v124, v121, 0x7fff
                                        ; implicit-def: $vgpr124
; %bb.3137:                             ;   in Loop: Header=BB446_1574 Depth=1
	s_and_not1_saveexec_b32 s12, s0
; %bb.3138:                             ;   in Loop: Header=BB446_1574 Depth=1
	v_and_b32_e32 v121, 0xffff, v124
	v_or_b32_e32 v125, 0x10000, v124
	s_delay_alu instid0(VALU_DEP_2) | instskip(NEXT) | instid1(VALU_DEP_1)
	v_cmp_eq_u32_e64 s0, 0, v121
	v_cndmask_b32_e64 v121, v125, v124, s0
; %bb.3139:                             ;   in Loop: Header=BB446_1574 Depth=1
	s_or_b32 exec_lo, exec_lo, s12
	v_lshlrev_b32_e32 v122, 16, v122
	s_delay_alu instid0(VALU_DEP_1) | instskip(NEXT) | instid1(VALU_DEP_1)
	v_mul_f32_e32 v124, v103, v122
	v_and_b32_e32 v122, 0x7f800000, v124
	s_delay_alu instid0(VALU_DEP_1) | instskip(NEXT) | instid1(VALU_DEP_1)
	v_cmp_ne_u32_e64 s0, 0x7f800000, v122
                                        ; implicit-def: $vgpr122
	s_and_saveexec_b32 s12, s0
	s_delay_alu instid0(SALU_CYCLE_1)
	s_xor_b32 s0, exec_lo, s12
; %bb.3140:                             ;   in Loop: Header=BB446_1574 Depth=1
	v_bfe_u32 v122, v124, 16, 1
	s_delay_alu instid0(VALU_DEP_1)
	v_add3_u32 v122, v124, v122, 0x7fff
                                        ; implicit-def: $vgpr124
; %bb.3141:                             ;   in Loop: Header=BB446_1574 Depth=1
	s_and_not1_saveexec_b32 s12, s0
; %bb.3142:                             ;   in Loop: Header=BB446_1574 Depth=1
	v_and_b32_e32 v122, 0xffff, v124
	v_or_b32_e32 v125, 0x10000, v124
	s_delay_alu instid0(VALU_DEP_2) | instskip(NEXT) | instid1(VALU_DEP_1)
	v_cmp_eq_u32_e64 s0, 0, v122
	v_cndmask_b32_e64 v122, v125, v124, s0
; %bb.3143:                             ;   in Loop: Header=BB446_1574 Depth=1
	s_or_b32 exec_lo, exec_lo, s12
	v_lshlrev_b32_e32 v123, 16, v123
	s_delay_alu instid0(VALU_DEP_1) | instskip(NEXT) | instid1(VALU_DEP_1)
	v_mul_f32_e32 v124, v112, v123
	v_and_b32_e32 v123, 0x7f800000, v124
	s_delay_alu instid0(VALU_DEP_1) | instskip(NEXT) | instid1(VALU_DEP_1)
	v_cmp_ne_u32_e64 s0, 0x7f800000, v123
                                        ; implicit-def: $vgpr123
	s_and_saveexec_b32 s12, s0
	s_delay_alu instid0(SALU_CYCLE_1)
	s_xor_b32 s0, exec_lo, s12
; %bb.3144:                             ;   in Loop: Header=BB446_1574 Depth=1
	v_bfe_u32 v123, v124, 16, 1
	s_delay_alu instid0(VALU_DEP_1)
	v_add3_u32 v123, v124, v123, 0x7fff
                                        ; implicit-def: $vgpr124
; %bb.3145:                             ;   in Loop: Header=BB446_1574 Depth=1
	s_and_not1_saveexec_b32 s12, s0
; %bb.3146:                             ;   in Loop: Header=BB446_1574 Depth=1
	v_and_b32_e32 v123, 0xffff, v124
	v_or_b32_e32 v125, 0x10000, v124
	s_delay_alu instid0(VALU_DEP_2) | instskip(NEXT) | instid1(VALU_DEP_1)
	v_cmp_eq_u32_e64 s0, 0, v123
	v_cndmask_b32_e64 v123, v125, v124, s0
; %bb.3147:                             ;   in Loop: Header=BB446_1574 Depth=1
	s_or_b32 exec_lo, exec_lo, s12
	v_lshlrev_b32_e32 v9, 16, v9
	s_delay_alu instid0(VALU_DEP_1) | instskip(NEXT) | instid1(VALU_DEP_1)
	v_mul_f32_e32 v9, v113, v9
	v_and_b32_e32 v124, 0x7f800000, v9
	s_delay_alu instid0(VALU_DEP_1) | instskip(NEXT) | instid1(VALU_DEP_1)
	v_cmp_ne_u32_e64 s0, 0x7f800000, v124
                                        ; implicit-def: $vgpr124
	s_and_saveexec_b32 s12, s0
	s_delay_alu instid0(SALU_CYCLE_1)
	s_xor_b32 s0, exec_lo, s12
; %bb.3148:                             ;   in Loop: Header=BB446_1574 Depth=1
	v_bfe_u32 v124, v9, 16, 1
	s_delay_alu instid0(VALU_DEP_1)
	v_add3_u32 v124, v9, v124, 0x7fff
                                        ; implicit-def: $vgpr9
; %bb.3149:                             ;   in Loop: Header=BB446_1574 Depth=1
	s_and_not1_saveexec_b32 s12, s0
; %bb.3150:                             ;   in Loop: Header=BB446_1574 Depth=1
	v_and_b32_e32 v124, 0xffff, v9
	v_or_b32_e32 v125, 0x10000, v9
	s_delay_alu instid0(VALU_DEP_2) | instskip(NEXT) | instid1(VALU_DEP_1)
	v_cmp_eq_u32_e64 s0, 0, v124
	v_cndmask_b32_e64 v124, v125, v9, s0
; %bb.3151:                             ;   in Loop: Header=BB446_1574 Depth=1
	s_or_b32 exec_lo, exec_lo, s12
	v_lshlrev_b32_e32 v7, 16, v7
                                        ; implicit-def: $vgpr125
	s_delay_alu instid0(VALU_DEP_1) | instskip(NEXT) | instid1(VALU_DEP_1)
	v_mul_f32_e32 v7, v114, v7
	v_and_b32_e32 v9, 0x7f800000, v7
	s_delay_alu instid0(VALU_DEP_1) | instskip(NEXT) | instid1(VALU_DEP_1)
	v_cmp_ne_u32_e64 s0, 0x7f800000, v9
	s_and_saveexec_b32 s12, s0
	s_delay_alu instid0(SALU_CYCLE_1)
	s_xor_b32 s0, exec_lo, s12
; %bb.3152:                             ;   in Loop: Header=BB446_1574 Depth=1
	v_bfe_u32 v9, v7, 16, 1
	s_delay_alu instid0(VALU_DEP_1)
	v_add3_u32 v125, v7, v9, 0x7fff
                                        ; implicit-def: $vgpr7
; %bb.3153:                             ;   in Loop: Header=BB446_1574 Depth=1
	s_and_not1_saveexec_b32 s12, s0
; %bb.3154:                             ;   in Loop: Header=BB446_1574 Depth=1
	v_and_b32_e32 v9, 0xffff, v7
	v_or_b32_e32 v125, 0x10000, v7
	s_delay_alu instid0(VALU_DEP_2) | instskip(NEXT) | instid1(VALU_DEP_1)
	v_cmp_eq_u32_e64 s0, 0, v9
	v_cndmask_b32_e64 v125, v125, v7, s0
; %bb.3155:                             ;   in Loop: Header=BB446_1574 Depth=1
	s_or_b32 exec_lo, exec_lo, s12
	v_lshlrev_b32_e32 v6, 16, v6
                                        ; implicit-def: $vgpr126
	s_delay_alu instid0(VALU_DEP_1) | instskip(NEXT) | instid1(VALU_DEP_1)
	v_mul_f32_e32 v6, v115, v6
	v_and_b32_e32 v7, 0x7f800000, v6
	s_delay_alu instid0(VALU_DEP_1) | instskip(NEXT) | instid1(VALU_DEP_1)
	v_cmp_ne_u32_e64 s0, 0x7f800000, v7
	s_and_saveexec_b32 s12, s0
	s_delay_alu instid0(SALU_CYCLE_1)
	s_xor_b32 s0, exec_lo, s12
; %bb.3156:                             ;   in Loop: Header=BB446_1574 Depth=1
	v_bfe_u32 v7, v6, 16, 1
	s_delay_alu instid0(VALU_DEP_1)
	v_add3_u32 v126, v6, v7, 0x7fff
                                        ; implicit-def: $vgpr6
; %bb.3157:                             ;   in Loop: Header=BB446_1574 Depth=1
	s_and_not1_saveexec_b32 s12, s0
; %bb.3158:                             ;   in Loop: Header=BB446_1574 Depth=1
	v_and_b32_e32 v7, 0xffff, v6
	v_or_b32_e32 v9, 0x10000, v6
	s_delay_alu instid0(VALU_DEP_2) | instskip(NEXT) | instid1(VALU_DEP_1)
	v_cmp_eq_u32_e64 s0, 0, v7
	v_cndmask_b32_e64 v126, v9, v6, s0
; %bb.3159:                             ;   in Loop: Header=BB446_1574 Depth=1
	s_or_b32 exec_lo, exec_lo, s12
	v_lshlrev_b32_e32 v3, 16, v3
                                        ; implicit-def: $vgpr127
	s_delay_alu instid0(VALU_DEP_1) | instskip(NEXT) | instid1(VALU_DEP_1)
	v_mul_f32_e32 v3, v116, v3
	v_and_b32_e32 v6, 0x7f800000, v3
	s_delay_alu instid0(VALU_DEP_1) | instskip(NEXT) | instid1(VALU_DEP_1)
	v_cmp_ne_u32_e64 s0, 0x7f800000, v6
	s_and_saveexec_b32 s12, s0
	s_delay_alu instid0(SALU_CYCLE_1)
	s_xor_b32 s0, exec_lo, s12
; %bb.3160:                             ;   in Loop: Header=BB446_1574 Depth=1
	v_bfe_u32 v6, v3, 16, 1
	s_delay_alu instid0(VALU_DEP_1)
	v_add3_u32 v127, v3, v6, 0x7fff
                                        ; implicit-def: $vgpr3
; %bb.3161:                             ;   in Loop: Header=BB446_1574 Depth=1
	s_and_not1_saveexec_b32 s12, s0
; %bb.3162:                             ;   in Loop: Header=BB446_1574 Depth=1
	v_and_b32_e32 v6, 0xffff, v3
	v_or_b32_e32 v7, 0x10000, v3
	s_delay_alu instid0(VALU_DEP_2) | instskip(NEXT) | instid1(VALU_DEP_1)
	v_cmp_eq_u32_e64 s0, 0, v6
	v_cndmask_b32_e64 v127, v7, v3, s0
; %bb.3163:                             ;   in Loop: Header=BB446_1574 Depth=1
	s_or_b32 exec_lo, exec_lo, s12
	v_lshlrev_b32_e32 v2, 16, v2
                                        ; implicit-def: $vgpr136
	s_delay_alu instid0(VALU_DEP_1) | instskip(NEXT) | instid1(VALU_DEP_1)
	v_mul_f32_e32 v2, v117, v2
	v_and_b32_e32 v3, 0x7f800000, v2
	s_delay_alu instid0(VALU_DEP_1) | instskip(NEXT) | instid1(VALU_DEP_1)
	v_cmp_ne_u32_e64 s0, 0x7f800000, v3
	s_and_saveexec_b32 s12, s0
	s_delay_alu instid0(SALU_CYCLE_1)
	s_xor_b32 s0, exec_lo, s12
; %bb.3164:                             ;   in Loop: Header=BB446_1574 Depth=1
	v_bfe_u32 v3, v2, 16, 1
	s_delay_alu instid0(VALU_DEP_1)
	v_add3_u32 v136, v2, v3, 0x7fff
                                        ; implicit-def: $vgpr2
; %bb.3165:                             ;   in Loop: Header=BB446_1574 Depth=1
	s_and_not1_saveexec_b32 s12, s0
; %bb.3166:                             ;   in Loop: Header=BB446_1574 Depth=1
	v_and_b32_e32 v3, 0xffff, v2
	v_or_b32_e32 v6, 0x10000, v2
	s_delay_alu instid0(VALU_DEP_2) | instskip(NEXT) | instid1(VALU_DEP_1)
	v_cmp_eq_u32_e64 s0, 0, v3
	v_cndmask_b32_e64 v136, v6, v2, s0
; %bb.3167:                             ;   in Loop: Header=BB446_1574 Depth=1
	s_or_b32 exec_lo, exec_lo, s12
	flat_load_b64 v[2:3], v[0:1] offset:3072
	s_mov_b32 s12, exec_lo
	s_waitcnt vmcnt(0) lgkmcnt(0)
	v_dual_mov_b32 v6, 0 :: v_dual_and_b32 v7, 0xff, v2
	s_delay_alu instid0(VALU_DEP_1)
	v_cmpx_ne_u16_e32 0, v7
	s_cbranch_execz .LBB446_3175
; %bb.3168:                             ;   in Loop: Header=BB446_1574 Depth=1
	v_bfrev_b32_e32 v6, 1
	s_mov_b32 s13, exec_lo
	v_cmpx_ne_u16_e32 0x80, v7
	s_cbranch_execz .LBB446_3174
; %bb.3169:                             ;   in Loop: Header=BB446_1574 Depth=1
	v_and_b32_e32 v7, 0x7f, v2
	v_mov_b32_e32 v6, 0x7f800001
	s_mov_b32 s15, exec_lo
	s_delay_alu instid0(VALU_DEP_2)
	v_cmpx_ne_u32_e32 0x7f, v7
	s_cbranch_execz .LBB446_3173
; %bb.3170:                             ;   in Loop: Header=BB446_1574 Depth=1
	v_lshrrev_b32_e32 v9, 3, v7
	v_cmp_gt_u32_e64 s0, 8, v7
	v_dual_mov_b32 v7, v3 :: v_dual_mov_b32 v6, v2
	s_delay_alu instid0(VALU_DEP_2)
	s_and_saveexec_b32 s16, s0
; %bb.3171:                             ;   in Loop: Header=BB446_1574 Depth=1
	v_and_b32_e32 v6, 7, v2
	s_delay_alu instid0(VALU_DEP_1) | instskip(NEXT) | instid1(VALU_DEP_1)
	v_clz_i32_u32_e32 v6, v6
	v_min_u32_e32 v9, 32, v6
	s_delay_alu instid0(VALU_DEP_1) | instskip(SKIP_1) | instid1(VALU_DEP_2)
	v_subrev_nc_u32_e32 v6, 28, v9
	v_sub_nc_u32_e32 v9, 29, v9
	v_lshlrev_b64 v[6:7], v6, v[2:3]
; %bb.3172:                             ;   in Loop: Header=BB446_1574 Depth=1
	s_or_b32 exec_lo, exec_lo, s16
	s_delay_alu instid0(VALU_DEP_1) | instskip(SKIP_2) | instid1(VALU_DEP_3)
	v_lshlrev_b32_e32 v6, 20, v6
	v_lshlrev_b32_e32 v7, 24, v2
	v_lshl_add_u32 v9, v9, 23, 0x3c000000
	v_and_b32_e32 v6, 0x700000, v6
	s_delay_alu instid0(VALU_DEP_3) | instskip(NEXT) | instid1(VALU_DEP_1)
	v_and_b32_e32 v7, 0x80000000, v7
	v_or3_b32 v6, v6, v7, v9
.LBB446_3173:                           ;   in Loop: Header=BB446_1574 Depth=1
	s_or_b32 exec_lo, exec_lo, s15
.LBB446_3174:                           ;   in Loop: Header=BB446_1574 Depth=1
	s_delay_alu instid0(SALU_CYCLE_1)
	s_or_b32 exec_lo, exec_lo, s13
.LBB446_3175:                           ;   in Loop: Header=BB446_1574 Depth=1
	s_delay_alu instid0(SALU_CYCLE_1) | instskip(NEXT) | instid1(VALU_DEP_1)
	s_or_b32 exec_lo, exec_lo, s12
	v_mul_f32_e32 v6, v8, v6
                                        ; implicit-def: $vgpr137
	s_delay_alu instid0(VALU_DEP_1) | instskip(NEXT) | instid1(VALU_DEP_1)
	v_and_b32_e32 v7, 0x7f800000, v6
	v_cmp_ne_u32_e64 s0, 0x7f800000, v7
	s_delay_alu instid0(VALU_DEP_1) | instskip(NEXT) | instid1(SALU_CYCLE_1)
	s_and_saveexec_b32 s12, s0
	s_xor_b32 s0, exec_lo, s12
; %bb.3176:                             ;   in Loop: Header=BB446_1574 Depth=1
	v_bfe_u32 v7, v6, 16, 1
	s_delay_alu instid0(VALU_DEP_1)
	v_add3_u32 v137, v6, v7, 0x7fff
                                        ; implicit-def: $vgpr6
; %bb.3177:                             ;   in Loop: Header=BB446_1574 Depth=1
	s_and_not1_saveexec_b32 s12, s0
; %bb.3178:                             ;   in Loop: Header=BB446_1574 Depth=1
	v_and_b32_e32 v7, 0xffff, v6
	v_or_b32_e32 v9, 0x10000, v6
	s_delay_alu instid0(VALU_DEP_2) | instskip(NEXT) | instid1(VALU_DEP_1)
	v_cmp_eq_u32_e64 s0, 0, v7
	v_cndmask_b32_e64 v137, v9, v6, s0
; %bb.3179:                             ;   in Loop: Header=BB446_1574 Depth=1
	s_or_b32 exec_lo, exec_lo, s12
	v_lshrrev_b16 v7, 8, v2
	v_mov_b32_e32 v6, 0
	s_mov_b32 s12, exec_lo
	s_delay_alu instid0(VALU_DEP_2)
	v_cmpx_ne_u16_e32 0, v7
	s_cbranch_execz .LBB446_3187
; %bb.3180:                             ;   in Loop: Header=BB446_1574 Depth=1
	v_bfrev_b32_e32 v6, 1
	s_mov_b32 s13, exec_lo
	v_cmpx_ne_u16_e32 0x80, v7
	s_cbranch_execz .LBB446_3186
; %bb.3181:                             ;   in Loop: Header=BB446_1574 Depth=1
	v_and_b32_e32 v9, 0xffff, v7
	v_mov_b32_e32 v6, 0x7f800001
	s_mov_b32 s15, exec_lo
	s_delay_alu instid0(VALU_DEP_2) | instskip(NEXT) | instid1(VALU_DEP_1)
	v_and_b32_e32 v7, 0x7f, v9
	v_cmpx_ne_u32_e32 0x7f, v7
	s_cbranch_execz .LBB446_3185
; %bb.3182:                             ;   in Loop: Header=BB446_1574 Depth=1
	v_and_b32_e32 v9, 7, v9
	v_lshrrev_b32_e32 v138, 3, v7
	v_cmp_gt_u32_e64 s0, 8, v7
	s_delay_alu instid0(VALU_DEP_3) | instskip(NEXT) | instid1(VALU_DEP_2)
	v_dual_mov_b32 v6, v9 :: v_dual_mov_b32 v7, v10
	s_and_saveexec_b32 s16, s0
; %bb.3183:                             ;   in Loop: Header=BB446_1574 Depth=1
	v_clz_i32_u32_e32 v6, v9
	s_delay_alu instid0(VALU_DEP_1) | instskip(NEXT) | instid1(VALU_DEP_1)
	v_min_u32_e32 v138, 32, v6
	v_subrev_nc_u32_e32 v6, 28, v138
	v_sub_nc_u32_e32 v138, 29, v138
	s_delay_alu instid0(VALU_DEP_2) | instskip(NEXT) | instid1(VALU_DEP_1)
	v_lshlrev_b64 v[6:7], v6, v[9:10]
	v_and_b32_e32 v6, 7, v6
; %bb.3184:                             ;   in Loop: Header=BB446_1574 Depth=1
	s_or_b32 exec_lo, exec_lo, s16
	v_lshlrev_b32_e32 v7, 16, v2
	s_delay_alu instid0(VALU_DEP_2) | instskip(SKIP_1) | instid1(VALU_DEP_3)
	v_lshlrev_b32_e32 v6, 20, v6
	v_lshl_add_u32 v9, v138, 23, 0x3c000000
	v_and_b32_e32 v7, 0x80000000, v7
	s_delay_alu instid0(VALU_DEP_1)
	v_or3_b32 v6, v6, v7, v9
.LBB446_3185:                           ;   in Loop: Header=BB446_1574 Depth=1
	s_or_b32 exec_lo, exec_lo, s15
.LBB446_3186:                           ;   in Loop: Header=BB446_1574 Depth=1
	s_delay_alu instid0(SALU_CYCLE_1)
	s_or_b32 exec_lo, exec_lo, s13
.LBB446_3187:                           ;   in Loop: Header=BB446_1574 Depth=1
	s_delay_alu instid0(SALU_CYCLE_1) | instskip(NEXT) | instid1(VALU_DEP_1)
	s_or_b32 exec_lo, exec_lo, s12
	v_mul_f32_e32 v6, v8, v6
                                        ; implicit-def: $vgpr138
	s_delay_alu instid0(VALU_DEP_1) | instskip(NEXT) | instid1(VALU_DEP_1)
	v_and_b32_e32 v7, 0x7f800000, v6
	v_cmp_ne_u32_e64 s0, 0x7f800000, v7
	s_delay_alu instid0(VALU_DEP_1) | instskip(NEXT) | instid1(SALU_CYCLE_1)
	s_and_saveexec_b32 s12, s0
	s_xor_b32 s0, exec_lo, s12
; %bb.3188:                             ;   in Loop: Header=BB446_1574 Depth=1
	v_bfe_u32 v7, v6, 16, 1
	s_delay_alu instid0(VALU_DEP_1)
	v_add3_u32 v138, v6, v7, 0x7fff
                                        ; implicit-def: $vgpr6
; %bb.3189:                             ;   in Loop: Header=BB446_1574 Depth=1
	s_and_not1_saveexec_b32 s12, s0
; %bb.3190:                             ;   in Loop: Header=BB446_1574 Depth=1
	v_and_b32_e32 v7, 0xffff, v6
	v_or_b32_e32 v9, 0x10000, v6
	s_delay_alu instid0(VALU_DEP_2) | instskip(NEXT) | instid1(VALU_DEP_1)
	v_cmp_eq_u32_e64 s0, 0, v7
	v_cndmask_b32_e64 v138, v9, v6, s0
; %bb.3191:                             ;   in Loop: Header=BB446_1574 Depth=1
	s_or_b32 exec_lo, exec_lo, s12
	v_lshrrev_b32_e32 v139, 16, v2
	s_mov_b32 s12, exec_lo
	s_delay_alu instid0(VALU_DEP_1) | instskip(NEXT) | instid1(VALU_DEP_1)
	v_dual_mov_b32 v6, 0 :: v_dual_and_b32 v7, 0xff, v139
	v_cmpx_ne_u16_e32 0, v7
	s_cbranch_execz .LBB446_3199
; %bb.3192:                             ;   in Loop: Header=BB446_1574 Depth=1
	v_bfrev_b32_e32 v6, 1
	s_mov_b32 s13, exec_lo
	v_cmpx_ne_u16_e32 0x80, v7
	s_cbranch_execz .LBB446_3198
; %bb.3193:                             ;   in Loop: Header=BB446_1574 Depth=1
	v_bfe_u32 v7, v2, 16, 7
	v_mov_b32_e32 v6, 0x7f800001
	s_mov_b32 s15, exec_lo
	s_delay_alu instid0(VALU_DEP_2)
	v_cmpx_ne_u32_e32 0x7f, v7
	s_cbranch_execz .LBB446_3197
; %bb.3194:                             ;   in Loop: Header=BB446_1574 Depth=1
	v_and_b32_e32 v9, 7, v139
	v_lshrrev_b32_e32 v140, 3, v7
	v_cmp_gt_u32_e64 s0, 8, v7
	s_delay_alu instid0(VALU_DEP_3) | instskip(NEXT) | instid1(VALU_DEP_2)
	v_dual_mov_b32 v6, v9 :: v_dual_mov_b32 v7, v10
	s_and_saveexec_b32 s16, s0
; %bb.3195:                             ;   in Loop: Header=BB446_1574 Depth=1
	v_clz_i32_u32_e32 v6, v9
	s_delay_alu instid0(VALU_DEP_1) | instskip(NEXT) | instid1(VALU_DEP_1)
	v_min_u32_e32 v140, 32, v6
	v_subrev_nc_u32_e32 v6, 28, v140
	v_sub_nc_u32_e32 v140, 29, v140
	s_delay_alu instid0(VALU_DEP_2) | instskip(NEXT) | instid1(VALU_DEP_1)
	v_lshlrev_b64 v[6:7], v6, v[9:10]
	v_and_b32_e32 v6, 7, v6
; %bb.3196:                             ;   in Loop: Header=BB446_1574 Depth=1
	s_or_b32 exec_lo, exec_lo, s16
	v_lshlrev_b32_e32 v7, 24, v139
	s_delay_alu instid0(VALU_DEP_2) | instskip(SKIP_1) | instid1(VALU_DEP_3)
	v_lshlrev_b32_e32 v6, 20, v6
	v_lshl_add_u32 v9, v140, 23, 0x3c000000
	v_and_b32_e32 v7, 0x80000000, v7
	s_delay_alu instid0(VALU_DEP_1)
	v_or3_b32 v6, v6, v7, v9
.LBB446_3197:                           ;   in Loop: Header=BB446_1574 Depth=1
	s_or_b32 exec_lo, exec_lo, s15
.LBB446_3198:                           ;   in Loop: Header=BB446_1574 Depth=1
	s_delay_alu instid0(SALU_CYCLE_1)
	s_or_b32 exec_lo, exec_lo, s13
.LBB446_3199:                           ;   in Loop: Header=BB446_1574 Depth=1
	s_delay_alu instid0(SALU_CYCLE_1) | instskip(NEXT) | instid1(VALU_DEP_1)
	s_or_b32 exec_lo, exec_lo, s12
	v_mul_f32_e32 v6, v8, v6
                                        ; implicit-def: $vgpr139
	s_delay_alu instid0(VALU_DEP_1) | instskip(NEXT) | instid1(VALU_DEP_1)
	v_and_b32_e32 v7, 0x7f800000, v6
	v_cmp_ne_u32_e64 s0, 0x7f800000, v7
	s_delay_alu instid0(VALU_DEP_1) | instskip(NEXT) | instid1(SALU_CYCLE_1)
	s_and_saveexec_b32 s12, s0
	s_xor_b32 s0, exec_lo, s12
; %bb.3200:                             ;   in Loop: Header=BB446_1574 Depth=1
	v_bfe_u32 v7, v6, 16, 1
	s_delay_alu instid0(VALU_DEP_1)
	v_add3_u32 v139, v6, v7, 0x7fff
                                        ; implicit-def: $vgpr6
; %bb.3201:                             ;   in Loop: Header=BB446_1574 Depth=1
	s_and_not1_saveexec_b32 s12, s0
; %bb.3202:                             ;   in Loop: Header=BB446_1574 Depth=1
	v_and_b32_e32 v7, 0xffff, v6
	v_or_b32_e32 v9, 0x10000, v6
	s_delay_alu instid0(VALU_DEP_2) | instskip(NEXT) | instid1(VALU_DEP_1)
	v_cmp_eq_u32_e64 s0, 0, v7
	v_cndmask_b32_e64 v139, v9, v6, s0
; %bb.3203:                             ;   in Loop: Header=BB446_1574 Depth=1
	s_or_b32 exec_lo, exec_lo, s12
	v_mov_b32_e32 v6, 0
	s_mov_b32 s12, exec_lo
	v_cmpx_lt_u32_e32 0xffffff, v2
	s_cbranch_execz .LBB446_3211
; %bb.3204:                             ;   in Loop: Header=BB446_1574 Depth=1
	v_lshrrev_b32_e32 v140, 24, v2
	v_bfrev_b32_e32 v6, 1
	s_mov_b32 s13, exec_lo
	s_delay_alu instid0(VALU_DEP_2)
	v_cmpx_ne_u32_e32 0x80, v140
	s_cbranch_execz .LBB446_3210
; %bb.3205:                             ;   in Loop: Header=BB446_1574 Depth=1
	v_bfe_u32 v7, v2, 24, 7
	v_mov_b32_e32 v6, 0x7f800001
	s_mov_b32 s15, exec_lo
	s_delay_alu instid0(VALU_DEP_2)
	v_cmpx_ne_u32_e32 0x7f, v7
	s_cbranch_execz .LBB446_3209
; %bb.3206:                             ;   in Loop: Header=BB446_1574 Depth=1
	v_and_b32_e32 v9, 7, v140
	v_lshrrev_b32_e32 v141, 3, v7
	v_cmp_gt_u32_e64 s0, 8, v7
	s_delay_alu instid0(VALU_DEP_3) | instskip(NEXT) | instid1(VALU_DEP_2)
	v_dual_mov_b32 v6, v9 :: v_dual_mov_b32 v7, v10
	s_and_saveexec_b32 s16, s0
; %bb.3207:                             ;   in Loop: Header=BB446_1574 Depth=1
	v_clz_i32_u32_e32 v6, v9
	s_delay_alu instid0(VALU_DEP_1) | instskip(NEXT) | instid1(VALU_DEP_1)
	v_min_u32_e32 v141, 32, v6
	v_subrev_nc_u32_e32 v6, 28, v141
	v_sub_nc_u32_e32 v141, 29, v141
	s_delay_alu instid0(VALU_DEP_2) | instskip(NEXT) | instid1(VALU_DEP_1)
	v_lshlrev_b64 v[6:7], v6, v[9:10]
	v_and_b32_e32 v6, 7, v6
; %bb.3208:                             ;   in Loop: Header=BB446_1574 Depth=1
	s_or_b32 exec_lo, exec_lo, s16
	v_lshlrev_b32_e32 v7, 24, v140
	s_delay_alu instid0(VALU_DEP_2) | instskip(SKIP_1) | instid1(VALU_DEP_3)
	v_lshlrev_b32_e32 v6, 20, v6
	v_lshl_add_u32 v9, v141, 23, 0x3c000000
	v_and_b32_e32 v7, 0x80000000, v7
	s_delay_alu instid0(VALU_DEP_1)
	v_or3_b32 v6, v6, v7, v9
.LBB446_3209:                           ;   in Loop: Header=BB446_1574 Depth=1
	s_or_b32 exec_lo, exec_lo, s15
.LBB446_3210:                           ;   in Loop: Header=BB446_1574 Depth=1
	s_delay_alu instid0(SALU_CYCLE_1)
	s_or_b32 exec_lo, exec_lo, s13
.LBB446_3211:                           ;   in Loop: Header=BB446_1574 Depth=1
	s_delay_alu instid0(SALU_CYCLE_1) | instskip(NEXT) | instid1(VALU_DEP_1)
	s_or_b32 exec_lo, exec_lo, s12
	v_mul_f32_e32 v6, v8, v6
                                        ; implicit-def: $vgpr140
	s_delay_alu instid0(VALU_DEP_1) | instskip(NEXT) | instid1(VALU_DEP_1)
	v_and_b32_e32 v7, 0x7f800000, v6
	v_cmp_ne_u32_e64 s0, 0x7f800000, v7
	s_delay_alu instid0(VALU_DEP_1) | instskip(NEXT) | instid1(SALU_CYCLE_1)
	s_and_saveexec_b32 s12, s0
	s_xor_b32 s0, exec_lo, s12
; %bb.3212:                             ;   in Loop: Header=BB446_1574 Depth=1
	v_bfe_u32 v7, v6, 16, 1
	s_delay_alu instid0(VALU_DEP_1)
	v_add3_u32 v140, v6, v7, 0x7fff
                                        ; implicit-def: $vgpr6
; %bb.3213:                             ;   in Loop: Header=BB446_1574 Depth=1
	s_and_not1_saveexec_b32 s12, s0
; %bb.3214:                             ;   in Loop: Header=BB446_1574 Depth=1
	v_and_b32_e32 v7, 0xffff, v6
	v_or_b32_e32 v9, 0x10000, v6
	s_delay_alu instid0(VALU_DEP_2) | instskip(NEXT) | instid1(VALU_DEP_1)
	v_cmp_eq_u32_e64 s0, 0, v7
	v_cndmask_b32_e64 v140, v9, v6, s0
; %bb.3215:                             ;   in Loop: Header=BB446_1574 Depth=1
	s_or_b32 exec_lo, exec_lo, s12
	v_dual_mov_b32 v6, 0 :: v_dual_and_b32 v7, 0xff, v3
	v_mov_b32_e32 v9, v3
	s_mov_b32 s12, exec_lo
	s_delay_alu instid0(VALU_DEP_2)
	v_cmpx_ne_u16_e32 0, v7
	s_cbranch_execz .LBB446_3223
; %bb.3216:                             ;   in Loop: Header=BB446_1574 Depth=1
	v_bfrev_b32_e32 v6, 1
	s_mov_b32 s13, exec_lo
	v_cmpx_ne_u16_e32 0x80, v7
	s_cbranch_execz .LBB446_3222
; %bb.3217:                             ;   in Loop: Header=BB446_1574 Depth=1
	v_and_b32_e32 v7, 0x7f, v3
	v_mov_b32_e32 v6, 0x7f800001
	s_mov_b32 s15, exec_lo
	s_delay_alu instid0(VALU_DEP_2)
	v_cmpx_ne_u32_e32 0x7f, v7
	s_cbranch_execz .LBB446_3221
; %bb.3218:                             ;   in Loop: Header=BB446_1574 Depth=1
	v_lshrrev_b32_e32 v141, 3, v7
	v_cmp_gt_u32_e64 s0, 8, v7
	v_dual_mov_b32 v6, v9 :: v_dual_mov_b32 v7, v10
	s_delay_alu instid0(VALU_DEP_2)
	s_and_saveexec_b32 s16, s0
; %bb.3219:                             ;   in Loop: Header=BB446_1574 Depth=1
	v_and_b32_e32 v6, 7, v3
	s_delay_alu instid0(VALU_DEP_1) | instskip(NEXT) | instid1(VALU_DEP_1)
	v_clz_i32_u32_e32 v6, v6
	v_min_u32_e32 v141, 32, v6
	s_delay_alu instid0(VALU_DEP_1) | instskip(SKIP_1) | instid1(VALU_DEP_2)
	v_subrev_nc_u32_e32 v6, 28, v141
	v_sub_nc_u32_e32 v141, 29, v141
	v_lshlrev_b64 v[6:7], v6, v[9:10]
; %bb.3220:                             ;   in Loop: Header=BB446_1574 Depth=1
	s_or_b32 exec_lo, exec_lo, s16
	s_delay_alu instid0(VALU_DEP_1) | instskip(SKIP_2) | instid1(VALU_DEP_3)
	v_lshlrev_b32_e32 v6, 20, v6
	v_lshlrev_b32_e32 v7, 24, v9
	v_lshl_add_u32 v141, v141, 23, 0x3c000000
	v_and_b32_e32 v6, 0x700000, v6
	s_delay_alu instid0(VALU_DEP_3) | instskip(NEXT) | instid1(VALU_DEP_1)
	v_and_b32_e32 v7, 0x80000000, v7
	v_or3_b32 v6, v6, v7, v141
.LBB446_3221:                           ;   in Loop: Header=BB446_1574 Depth=1
	s_or_b32 exec_lo, exec_lo, s15
.LBB446_3222:                           ;   in Loop: Header=BB446_1574 Depth=1
	s_delay_alu instid0(SALU_CYCLE_1)
	s_or_b32 exec_lo, exec_lo, s13
.LBB446_3223:                           ;   in Loop: Header=BB446_1574 Depth=1
	s_delay_alu instid0(SALU_CYCLE_1) | instskip(NEXT) | instid1(VALU_DEP_1)
	s_or_b32 exec_lo, exec_lo, s12
	v_mul_f32_e32 v6, v8, v6
                                        ; implicit-def: $vgpr141
	s_delay_alu instid0(VALU_DEP_1) | instskip(NEXT) | instid1(VALU_DEP_1)
	v_and_b32_e32 v7, 0x7f800000, v6
	v_cmp_ne_u32_e64 s0, 0x7f800000, v7
	s_delay_alu instid0(VALU_DEP_1) | instskip(NEXT) | instid1(SALU_CYCLE_1)
	s_and_saveexec_b32 s12, s0
	s_xor_b32 s0, exec_lo, s12
; %bb.3224:                             ;   in Loop: Header=BB446_1574 Depth=1
	v_bfe_u32 v7, v6, 16, 1
	s_delay_alu instid0(VALU_DEP_1)
	v_add3_u32 v141, v6, v7, 0x7fff
                                        ; implicit-def: $vgpr6
; %bb.3225:                             ;   in Loop: Header=BB446_1574 Depth=1
	s_and_not1_saveexec_b32 s12, s0
; %bb.3226:                             ;   in Loop: Header=BB446_1574 Depth=1
	v_and_b32_e32 v7, 0xffff, v6
	v_or_b32_e32 v141, 0x10000, v6
	s_delay_alu instid0(VALU_DEP_2) | instskip(NEXT) | instid1(VALU_DEP_1)
	v_cmp_eq_u32_e64 s0, 0, v7
	v_cndmask_b32_e64 v141, v141, v6, s0
; %bb.3227:                             ;   in Loop: Header=BB446_1574 Depth=1
	s_or_b32 exec_lo, exec_lo, s12
	v_lshrrev_b16 v7, 8, v9
	v_mov_b32_e32 v6, 0
	s_mov_b32 s12, exec_lo
	s_delay_alu instid0(VALU_DEP_2)
	v_cmpx_ne_u16_e32 0, v7
	s_cbranch_execz .LBB446_3235
; %bb.3228:                             ;   in Loop: Header=BB446_1574 Depth=1
	v_bfrev_b32_e32 v6, 1
	s_mov_b32 s13, exec_lo
	v_cmpx_ne_u16_e32 0x80, v7
	s_cbranch_execz .LBB446_3234
; %bb.3229:                             ;   in Loop: Header=BB446_1574 Depth=1
	v_and_b32_e32 v7, 0xffff, v7
	v_mov_b32_e32 v6, 0x7f800001
	s_mov_b32 s15, exec_lo
	s_delay_alu instid0(VALU_DEP_2) | instskip(NEXT) | instid1(VALU_DEP_1)
	v_and_b32_e32 v143, 0x7f, v7
	v_cmpx_ne_u32_e32 0x7f, v143
	s_cbranch_execz .LBB446_3233
; %bb.3230:                             ;   in Loop: Header=BB446_1574 Depth=1
	v_dual_mov_b32 v7, v10 :: v_dual_and_b32 v6, 7, v7
	v_lshrrev_b32_e32 v142, 3, v143
	s_mov_b32 s16, exec_lo
	v_cmpx_gt_u32_e32 8, v143
; %bb.3231:                             ;   in Loop: Header=BB446_1574 Depth=1
	s_delay_alu instid0(VALU_DEP_3) | instskip(NEXT) | instid1(VALU_DEP_1)
	v_clz_i32_u32_e32 v142, v6
	v_min_u32_e32 v142, 32, v142
	s_delay_alu instid0(VALU_DEP_1) | instskip(SKIP_1) | instid1(VALU_DEP_2)
	v_subrev_nc_u32_e32 v143, 28, v142
	v_sub_nc_u32_e32 v142, 29, v142
	v_lshlrev_b64 v[6:7], v143, v[6:7]
	s_delay_alu instid0(VALU_DEP_1)
	v_and_b32_e32 v6, 7, v6
; %bb.3232:                             ;   in Loop: Header=BB446_1574 Depth=1
	s_or_b32 exec_lo, exec_lo, s16
	v_lshlrev_b32_e32 v7, 16, v9
	s_delay_alu instid0(VALU_DEP_2) | instskip(SKIP_1) | instid1(VALU_DEP_3)
	v_lshlrev_b32_e32 v6, 20, v6
	v_lshl_add_u32 v9, v142, 23, 0x3c000000
	v_and_b32_e32 v7, 0x80000000, v7
	s_delay_alu instid0(VALU_DEP_1)
	v_or3_b32 v6, v6, v7, v9
.LBB446_3233:                           ;   in Loop: Header=BB446_1574 Depth=1
	s_or_b32 exec_lo, exec_lo, s15
.LBB446_3234:                           ;   in Loop: Header=BB446_1574 Depth=1
	s_delay_alu instid0(SALU_CYCLE_1)
	s_or_b32 exec_lo, exec_lo, s13
.LBB446_3235:                           ;   in Loop: Header=BB446_1574 Depth=1
	s_delay_alu instid0(SALU_CYCLE_1) | instskip(NEXT) | instid1(VALU_DEP_1)
	s_or_b32 exec_lo, exec_lo, s12
	v_mul_f32_e32 v6, v8, v6
                                        ; implicit-def: $vgpr142
	s_delay_alu instid0(VALU_DEP_1) | instskip(NEXT) | instid1(VALU_DEP_1)
	v_and_b32_e32 v7, 0x7f800000, v6
	v_cmp_ne_u32_e64 s0, 0x7f800000, v7
	s_delay_alu instid0(VALU_DEP_1) | instskip(NEXT) | instid1(SALU_CYCLE_1)
	s_and_saveexec_b32 s12, s0
	s_xor_b32 s0, exec_lo, s12
; %bb.3236:                             ;   in Loop: Header=BB446_1574 Depth=1
	v_bfe_u32 v7, v6, 16, 1
	s_delay_alu instid0(VALU_DEP_1)
	v_add3_u32 v142, v6, v7, 0x7fff
                                        ; implicit-def: $vgpr6
; %bb.3237:                             ;   in Loop: Header=BB446_1574 Depth=1
	s_and_not1_saveexec_b32 s12, s0
; %bb.3238:                             ;   in Loop: Header=BB446_1574 Depth=1
	v_and_b32_e32 v7, 0xffff, v6
	v_or_b32_e32 v9, 0x10000, v6
	s_delay_alu instid0(VALU_DEP_2) | instskip(NEXT) | instid1(VALU_DEP_1)
	v_cmp_eq_u32_e64 s0, 0, v7
	v_cndmask_b32_e64 v142, v9, v6, s0
; %bb.3239:                             ;   in Loop: Header=BB446_1574 Depth=1
	s_or_b32 exec_lo, exec_lo, s12
	v_lshrrev_b32_e32 v143, 16, v3
	s_mov_b32 s12, exec_lo
	s_delay_alu instid0(VALU_DEP_1) | instskip(NEXT) | instid1(VALU_DEP_1)
	v_dual_mov_b32 v6, 0 :: v_dual_and_b32 v7, 0xff, v143
	v_cmpx_ne_u16_e32 0, v7
	s_cbranch_execz .LBB446_3247
; %bb.3240:                             ;   in Loop: Header=BB446_1574 Depth=1
	v_bfrev_b32_e32 v6, 1
	s_mov_b32 s13, exec_lo
	v_cmpx_ne_u16_e32 0x80, v7
	s_cbranch_execz .LBB446_3246
; %bb.3241:                             ;   in Loop: Header=BB446_1574 Depth=1
	v_bfe_u32 v7, v3, 16, 7
	v_mov_b32_e32 v6, 0x7f800001
	s_mov_b32 s15, exec_lo
	s_delay_alu instid0(VALU_DEP_2)
	v_cmpx_ne_u32_e32 0x7f, v7
	s_cbranch_execz .LBB446_3245
; %bb.3242:                             ;   in Loop: Header=BB446_1574 Depth=1
	v_and_b32_e32 v9, 7, v143
	v_lshrrev_b32_e32 v152, 3, v7
	v_cmp_gt_u32_e64 s0, 8, v7
	s_delay_alu instid0(VALU_DEP_3) | instskip(NEXT) | instid1(VALU_DEP_2)
	v_dual_mov_b32 v6, v9 :: v_dual_mov_b32 v7, v10
	s_and_saveexec_b32 s16, s0
; %bb.3243:                             ;   in Loop: Header=BB446_1574 Depth=1
	v_clz_i32_u32_e32 v6, v9
	s_delay_alu instid0(VALU_DEP_1) | instskip(NEXT) | instid1(VALU_DEP_1)
	v_min_u32_e32 v152, 32, v6
	v_subrev_nc_u32_e32 v6, 28, v152
	v_sub_nc_u32_e32 v152, 29, v152
	s_delay_alu instid0(VALU_DEP_2) | instskip(NEXT) | instid1(VALU_DEP_1)
	v_lshlrev_b64 v[6:7], v6, v[9:10]
	v_and_b32_e32 v6, 7, v6
; %bb.3244:                             ;   in Loop: Header=BB446_1574 Depth=1
	s_or_b32 exec_lo, exec_lo, s16
	v_lshlrev_b32_e32 v7, 24, v143
	s_delay_alu instid0(VALU_DEP_2) | instskip(SKIP_1) | instid1(VALU_DEP_3)
	v_lshlrev_b32_e32 v6, 20, v6
	v_lshl_add_u32 v9, v152, 23, 0x3c000000
	v_and_b32_e32 v7, 0x80000000, v7
	s_delay_alu instid0(VALU_DEP_1)
	v_or3_b32 v6, v6, v7, v9
.LBB446_3245:                           ;   in Loop: Header=BB446_1574 Depth=1
	s_or_b32 exec_lo, exec_lo, s15
.LBB446_3246:                           ;   in Loop: Header=BB446_1574 Depth=1
	s_delay_alu instid0(SALU_CYCLE_1)
	s_or_b32 exec_lo, exec_lo, s13
.LBB446_3247:                           ;   in Loop: Header=BB446_1574 Depth=1
	s_delay_alu instid0(SALU_CYCLE_1) | instskip(NEXT) | instid1(VALU_DEP_1)
	s_or_b32 exec_lo, exec_lo, s12
	v_mul_f32_e32 v6, v8, v6
                                        ; implicit-def: $vgpr143
	s_delay_alu instid0(VALU_DEP_1) | instskip(NEXT) | instid1(VALU_DEP_1)
	v_and_b32_e32 v7, 0x7f800000, v6
	v_cmp_ne_u32_e64 s0, 0x7f800000, v7
	s_delay_alu instid0(VALU_DEP_1) | instskip(NEXT) | instid1(SALU_CYCLE_1)
	s_and_saveexec_b32 s12, s0
	s_xor_b32 s0, exec_lo, s12
; %bb.3248:                             ;   in Loop: Header=BB446_1574 Depth=1
	v_bfe_u32 v7, v6, 16, 1
	s_delay_alu instid0(VALU_DEP_1)
	v_add3_u32 v143, v6, v7, 0x7fff
                                        ; implicit-def: $vgpr6
; %bb.3249:                             ;   in Loop: Header=BB446_1574 Depth=1
	s_and_not1_saveexec_b32 s12, s0
; %bb.3250:                             ;   in Loop: Header=BB446_1574 Depth=1
	v_and_b32_e32 v7, 0xffff, v6
	v_or_b32_e32 v9, 0x10000, v6
	s_delay_alu instid0(VALU_DEP_2) | instskip(NEXT) | instid1(VALU_DEP_1)
	v_cmp_eq_u32_e64 s0, 0, v7
	v_cndmask_b32_e64 v143, v9, v6, s0
; %bb.3251:                             ;   in Loop: Header=BB446_1574 Depth=1
	s_or_b32 exec_lo, exec_lo, s12
	v_cmp_lt_u64_e64 s0, s[8:9], v[2:3]
	v_mov_b32_e32 v2, 0
	s_delay_alu instid0(VALU_DEP_2)
	s_and_saveexec_b32 s12, s0
	s_cbranch_execz .LBB446_3259
; %bb.3252:                             ;   in Loop: Header=BB446_1574 Depth=1
	v_lshrrev_b32_e32 v6, 24, v3
	v_bfrev_b32_e32 v2, 1
	s_mov_b32 s13, exec_lo
	s_delay_alu instid0(VALU_DEP_2)
	v_cmpx_ne_u32_e32 0x80, v6
	s_cbranch_execz .LBB446_3258
; %bb.3253:                             ;   in Loop: Header=BB446_1574 Depth=1
	v_bfe_u32 v3, v3, 24, 7
	v_mov_b32_e32 v2, 0x7f800001
	s_mov_b32 s15, exec_lo
	s_delay_alu instid0(VALU_DEP_2)
	v_cmpx_ne_u32_e32 0x7f, v3
	s_cbranch_execz .LBB446_3257
; %bb.3254:                             ;   in Loop: Header=BB446_1574 Depth=1
	v_and_b32_e32 v9, 7, v6
	v_lshrrev_b32_e32 v7, 3, v3
	v_cmp_gt_u32_e64 s0, 8, v3
	s_delay_alu instid0(VALU_DEP_3) | instskip(NEXT) | instid1(VALU_DEP_2)
	v_dual_mov_b32 v2, v9 :: v_dual_mov_b32 v3, v10
	s_and_saveexec_b32 s16, s0
; %bb.3255:                             ;   in Loop: Header=BB446_1574 Depth=1
	v_clz_i32_u32_e32 v2, v9
	s_delay_alu instid0(VALU_DEP_1) | instskip(NEXT) | instid1(VALU_DEP_1)
	v_min_u32_e32 v7, 32, v2
	v_subrev_nc_u32_e32 v2, 28, v7
	v_sub_nc_u32_e32 v7, 29, v7
	s_delay_alu instid0(VALU_DEP_2) | instskip(NEXT) | instid1(VALU_DEP_1)
	v_lshlrev_b64 v[2:3], v2, v[9:10]
	v_and_b32_e32 v2, 7, v2
; %bb.3256:                             ;   in Loop: Header=BB446_1574 Depth=1
	s_or_b32 exec_lo, exec_lo, s16
	v_lshlrev_b32_e32 v3, 24, v6
	s_delay_alu instid0(VALU_DEP_2) | instskip(SKIP_1) | instid1(VALU_DEP_3)
	v_lshlrev_b32_e32 v2, 20, v2
	v_lshl_add_u32 v6, v7, 23, 0x3c000000
	v_and_b32_e32 v3, 0x80000000, v3
	s_delay_alu instid0(VALU_DEP_1)
	v_or3_b32 v2, v2, v3, v6
.LBB446_3257:                           ;   in Loop: Header=BB446_1574 Depth=1
	s_or_b32 exec_lo, exec_lo, s15
.LBB446_3258:                           ;   in Loop: Header=BB446_1574 Depth=1
	s_delay_alu instid0(SALU_CYCLE_1)
	s_or_b32 exec_lo, exec_lo, s13
.LBB446_3259:                           ;   in Loop: Header=BB446_1574 Depth=1
	s_delay_alu instid0(SALU_CYCLE_1) | instskip(NEXT) | instid1(VALU_DEP_1)
	s_or_b32 exec_lo, exec_lo, s12
	v_mul_f32_e32 v3, v8, v2
	s_delay_alu instid0(VALU_DEP_1) | instskip(NEXT) | instid1(VALU_DEP_1)
	v_and_b32_e32 v2, 0x7f800000, v3
	v_cmp_ne_u32_e64 s0, 0x7f800000, v2
                                        ; implicit-def: $vgpr2
	s_delay_alu instid0(VALU_DEP_1) | instskip(NEXT) | instid1(SALU_CYCLE_1)
	s_and_saveexec_b32 s12, s0
	s_xor_b32 s0, exec_lo, s12
; %bb.3260:                             ;   in Loop: Header=BB446_1574 Depth=1
	v_bfe_u32 v2, v3, 16, 1
	s_delay_alu instid0(VALU_DEP_1)
	v_add3_u32 v2, v3, v2, 0x7fff
                                        ; implicit-def: $vgpr3
; %bb.3261:                             ;   in Loop: Header=BB446_1574 Depth=1
	s_and_not1_saveexec_b32 s12, s0
; %bb.3262:                             ;   in Loop: Header=BB446_1574 Depth=1
	v_and_b32_e32 v2, 0xffff, v3
	v_or_b32_e32 v6, 0x10000, v3
	s_delay_alu instid0(VALU_DEP_2) | instskip(NEXT) | instid1(VALU_DEP_1)
	v_cmp_eq_u32_e64 s0, 0, v2
	v_cndmask_b32_e64 v2, v6, v3, s0
; %bb.3263:                             ;   in Loop: Header=BB446_1574 Depth=1
	s_or_b32 exec_lo, exec_lo, s12
	v_lshrrev_b32_e32 v6, 16, v142
	v_lshrrev_b32_e32 v7, 16, v141
	;; [unrolled: 1-line block ×8, first 2 shown]
	s_and_saveexec_b32 s12, vcc_lo
	s_cbranch_execz .LBB446_3265
; %bb.3264:                             ;   in Loop: Header=BB446_1574 Depth=1
	v_cmp_lt_i32_e64 s0, v86, v38
	s_delay_alu instid0(VALU_DEP_1) | instskip(SKIP_1) | instid1(VALU_DEP_1)
	v_cndmask_b32_e64 v137, 0, v137, s0
	v_cmp_lt_i32_e64 s0, v101, v38
	v_cndmask_b32_e64 v138, 0, v138, s0
	v_cmp_lt_i32_e64 s0, v100, v38
	s_delay_alu instid0(VALU_DEP_1) | instskip(SKIP_1) | instid1(VALU_DEP_1)
	v_cndmask_b32_e64 v139, 0, v139, s0
	v_cmp_lt_i32_e64 s0, v99, v38
	v_cndmask_b32_e64 v9, 0, v9, s0
	;; [unrolled: 5-line block ×4, first 2 shown]
.LBB446_3265:                           ;   in Loop: Header=BB446_1574 Depth=1
	s_or_b32 exec_lo, exec_lo, s12
	v_lshlrev_b32_e32 v137, 16, v137
	s_delay_alu instid0(VALU_DEP_1) | instskip(NEXT) | instid1(VALU_DEP_1)
	v_mul_f32_e32 v140, v102, v137
	v_and_b32_e32 v137, 0x7f800000, v140
	s_delay_alu instid0(VALU_DEP_1) | instskip(NEXT) | instid1(VALU_DEP_1)
	v_cmp_ne_u32_e64 s0, 0x7f800000, v137
                                        ; implicit-def: $vgpr137
	s_and_saveexec_b32 s12, s0
	s_delay_alu instid0(SALU_CYCLE_1)
	s_xor_b32 s0, exec_lo, s12
; %bb.3266:                             ;   in Loop: Header=BB446_1574 Depth=1
	v_bfe_u32 v137, v140, 16, 1
	s_delay_alu instid0(VALU_DEP_1)
	v_add3_u32 v137, v140, v137, 0x7fff
                                        ; implicit-def: $vgpr140
; %bb.3267:                             ;   in Loop: Header=BB446_1574 Depth=1
	s_and_not1_saveexec_b32 s12, s0
; %bb.3268:                             ;   in Loop: Header=BB446_1574 Depth=1
	v_and_b32_e32 v137, 0xffff, v140
	v_or_b32_e32 v141, 0x10000, v140
	s_delay_alu instid0(VALU_DEP_2) | instskip(NEXT) | instid1(VALU_DEP_1)
	v_cmp_eq_u32_e64 s0, 0, v137
	v_cndmask_b32_e64 v137, v141, v140, s0
; %bb.3269:                             ;   in Loop: Header=BB446_1574 Depth=1
	s_or_b32 exec_lo, exec_lo, s12
	v_lshlrev_b32_e32 v138, 16, v138
	s_delay_alu instid0(VALU_DEP_1) | instskip(NEXT) | instid1(VALU_DEP_1)
	v_mul_f32_e32 v140, v103, v138
	v_and_b32_e32 v138, 0x7f800000, v140
	s_delay_alu instid0(VALU_DEP_1) | instskip(NEXT) | instid1(VALU_DEP_1)
	v_cmp_ne_u32_e64 s0, 0x7f800000, v138
                                        ; implicit-def: $vgpr138
	s_and_saveexec_b32 s12, s0
	s_delay_alu instid0(SALU_CYCLE_1)
	s_xor_b32 s0, exec_lo, s12
; %bb.3270:                             ;   in Loop: Header=BB446_1574 Depth=1
	v_bfe_u32 v138, v140, 16, 1
	s_delay_alu instid0(VALU_DEP_1)
	v_add3_u32 v138, v140, v138, 0x7fff
                                        ; implicit-def: $vgpr140
; %bb.3271:                             ;   in Loop: Header=BB446_1574 Depth=1
	s_and_not1_saveexec_b32 s12, s0
; %bb.3272:                             ;   in Loop: Header=BB446_1574 Depth=1
	v_and_b32_e32 v138, 0xffff, v140
	v_or_b32_e32 v141, 0x10000, v140
	s_delay_alu instid0(VALU_DEP_2) | instskip(NEXT) | instid1(VALU_DEP_1)
	v_cmp_eq_u32_e64 s0, 0, v138
	v_cndmask_b32_e64 v138, v141, v140, s0
; %bb.3273:                             ;   in Loop: Header=BB446_1574 Depth=1
	s_or_b32 exec_lo, exec_lo, s12
	v_lshlrev_b32_e32 v139, 16, v139
	s_delay_alu instid0(VALU_DEP_1) | instskip(NEXT) | instid1(VALU_DEP_1)
	v_mul_f32_e32 v140, v112, v139
	v_and_b32_e32 v139, 0x7f800000, v140
	s_delay_alu instid0(VALU_DEP_1) | instskip(NEXT) | instid1(VALU_DEP_1)
	v_cmp_ne_u32_e64 s0, 0x7f800000, v139
                                        ; implicit-def: $vgpr139
	s_and_saveexec_b32 s12, s0
	s_delay_alu instid0(SALU_CYCLE_1)
	s_xor_b32 s0, exec_lo, s12
; %bb.3274:                             ;   in Loop: Header=BB446_1574 Depth=1
	v_bfe_u32 v139, v140, 16, 1
	s_delay_alu instid0(VALU_DEP_1)
	v_add3_u32 v139, v140, v139, 0x7fff
                                        ; implicit-def: $vgpr140
; %bb.3275:                             ;   in Loop: Header=BB446_1574 Depth=1
	s_and_not1_saveexec_b32 s12, s0
; %bb.3276:                             ;   in Loop: Header=BB446_1574 Depth=1
	v_and_b32_e32 v139, 0xffff, v140
	v_or_b32_e32 v141, 0x10000, v140
	s_delay_alu instid0(VALU_DEP_2) | instskip(NEXT) | instid1(VALU_DEP_1)
	v_cmp_eq_u32_e64 s0, 0, v139
	v_cndmask_b32_e64 v139, v141, v140, s0
; %bb.3277:                             ;   in Loop: Header=BB446_1574 Depth=1
	s_or_b32 exec_lo, exec_lo, s12
	v_lshlrev_b32_e32 v9, 16, v9
	s_delay_alu instid0(VALU_DEP_1) | instskip(NEXT) | instid1(VALU_DEP_1)
	v_mul_f32_e32 v9, v113, v9
	v_and_b32_e32 v140, 0x7f800000, v9
	s_delay_alu instid0(VALU_DEP_1) | instskip(NEXT) | instid1(VALU_DEP_1)
	v_cmp_ne_u32_e64 s0, 0x7f800000, v140
                                        ; implicit-def: $vgpr140
	s_and_saveexec_b32 s12, s0
	s_delay_alu instid0(SALU_CYCLE_1)
	s_xor_b32 s0, exec_lo, s12
; %bb.3278:                             ;   in Loop: Header=BB446_1574 Depth=1
	v_bfe_u32 v140, v9, 16, 1
	s_delay_alu instid0(VALU_DEP_1)
	v_add3_u32 v140, v9, v140, 0x7fff
                                        ; implicit-def: $vgpr9
; %bb.3279:                             ;   in Loop: Header=BB446_1574 Depth=1
	s_and_not1_saveexec_b32 s12, s0
; %bb.3280:                             ;   in Loop: Header=BB446_1574 Depth=1
	v_and_b32_e32 v140, 0xffff, v9
	v_or_b32_e32 v141, 0x10000, v9
	s_delay_alu instid0(VALU_DEP_2) | instskip(NEXT) | instid1(VALU_DEP_1)
	v_cmp_eq_u32_e64 s0, 0, v140
	v_cndmask_b32_e64 v140, v141, v9, s0
; %bb.3281:                             ;   in Loop: Header=BB446_1574 Depth=1
	s_or_b32 exec_lo, exec_lo, s12
	v_lshlrev_b32_e32 v7, 16, v7
                                        ; implicit-def: $vgpr141
	s_delay_alu instid0(VALU_DEP_1) | instskip(NEXT) | instid1(VALU_DEP_1)
	v_mul_f32_e32 v7, v114, v7
	v_and_b32_e32 v9, 0x7f800000, v7
	s_delay_alu instid0(VALU_DEP_1) | instskip(NEXT) | instid1(VALU_DEP_1)
	v_cmp_ne_u32_e64 s0, 0x7f800000, v9
	s_and_saveexec_b32 s12, s0
	s_delay_alu instid0(SALU_CYCLE_1)
	s_xor_b32 s0, exec_lo, s12
; %bb.3282:                             ;   in Loop: Header=BB446_1574 Depth=1
	v_bfe_u32 v9, v7, 16, 1
	s_delay_alu instid0(VALU_DEP_1)
	v_add3_u32 v141, v7, v9, 0x7fff
                                        ; implicit-def: $vgpr7
; %bb.3283:                             ;   in Loop: Header=BB446_1574 Depth=1
	s_and_not1_saveexec_b32 s12, s0
; %bb.3284:                             ;   in Loop: Header=BB446_1574 Depth=1
	v_and_b32_e32 v9, 0xffff, v7
	v_or_b32_e32 v141, 0x10000, v7
	s_delay_alu instid0(VALU_DEP_2) | instskip(NEXT) | instid1(VALU_DEP_1)
	v_cmp_eq_u32_e64 s0, 0, v9
	v_cndmask_b32_e64 v141, v141, v7, s0
; %bb.3285:                             ;   in Loop: Header=BB446_1574 Depth=1
	s_or_b32 exec_lo, exec_lo, s12
	v_lshlrev_b32_e32 v6, 16, v6
                                        ; implicit-def: $vgpr142
	s_delay_alu instid0(VALU_DEP_1) | instskip(NEXT) | instid1(VALU_DEP_1)
	v_mul_f32_e32 v6, v115, v6
	v_and_b32_e32 v7, 0x7f800000, v6
	s_delay_alu instid0(VALU_DEP_1) | instskip(NEXT) | instid1(VALU_DEP_1)
	v_cmp_ne_u32_e64 s0, 0x7f800000, v7
	s_and_saveexec_b32 s12, s0
	s_delay_alu instid0(SALU_CYCLE_1)
	s_xor_b32 s0, exec_lo, s12
; %bb.3286:                             ;   in Loop: Header=BB446_1574 Depth=1
	v_bfe_u32 v7, v6, 16, 1
	s_delay_alu instid0(VALU_DEP_1)
	v_add3_u32 v142, v6, v7, 0x7fff
                                        ; implicit-def: $vgpr6
; %bb.3287:                             ;   in Loop: Header=BB446_1574 Depth=1
	s_and_not1_saveexec_b32 s12, s0
; %bb.3288:                             ;   in Loop: Header=BB446_1574 Depth=1
	v_and_b32_e32 v7, 0xffff, v6
	v_or_b32_e32 v9, 0x10000, v6
	s_delay_alu instid0(VALU_DEP_2) | instskip(NEXT) | instid1(VALU_DEP_1)
	v_cmp_eq_u32_e64 s0, 0, v7
	v_cndmask_b32_e64 v142, v9, v6, s0
; %bb.3289:                             ;   in Loop: Header=BB446_1574 Depth=1
	s_or_b32 exec_lo, exec_lo, s12
	v_lshlrev_b32_e32 v3, 16, v3
                                        ; implicit-def: $vgpr143
	s_delay_alu instid0(VALU_DEP_1) | instskip(NEXT) | instid1(VALU_DEP_1)
	v_mul_f32_e32 v3, v116, v3
	v_and_b32_e32 v6, 0x7f800000, v3
	s_delay_alu instid0(VALU_DEP_1) | instskip(NEXT) | instid1(VALU_DEP_1)
	v_cmp_ne_u32_e64 s0, 0x7f800000, v6
	s_and_saveexec_b32 s12, s0
	s_delay_alu instid0(SALU_CYCLE_1)
	s_xor_b32 s0, exec_lo, s12
; %bb.3290:                             ;   in Loop: Header=BB446_1574 Depth=1
	v_bfe_u32 v6, v3, 16, 1
	s_delay_alu instid0(VALU_DEP_1)
	v_add3_u32 v143, v3, v6, 0x7fff
                                        ; implicit-def: $vgpr3
; %bb.3291:                             ;   in Loop: Header=BB446_1574 Depth=1
	s_and_not1_saveexec_b32 s12, s0
; %bb.3292:                             ;   in Loop: Header=BB446_1574 Depth=1
	v_and_b32_e32 v6, 0xffff, v3
	v_or_b32_e32 v7, 0x10000, v3
	s_delay_alu instid0(VALU_DEP_2) | instskip(NEXT) | instid1(VALU_DEP_1)
	v_cmp_eq_u32_e64 s0, 0, v6
	v_cndmask_b32_e64 v143, v7, v3, s0
; %bb.3293:                             ;   in Loop: Header=BB446_1574 Depth=1
	s_or_b32 exec_lo, exec_lo, s12
	v_lshlrev_b32_e32 v2, 16, v2
                                        ; implicit-def: $vgpr152
	s_delay_alu instid0(VALU_DEP_1) | instskip(NEXT) | instid1(VALU_DEP_1)
	v_mul_f32_e32 v2, v117, v2
	v_and_b32_e32 v3, 0x7f800000, v2
	s_delay_alu instid0(VALU_DEP_1) | instskip(NEXT) | instid1(VALU_DEP_1)
	v_cmp_ne_u32_e64 s0, 0x7f800000, v3
	s_and_saveexec_b32 s12, s0
	s_delay_alu instid0(SALU_CYCLE_1)
	s_xor_b32 s0, exec_lo, s12
; %bb.3294:                             ;   in Loop: Header=BB446_1574 Depth=1
	v_bfe_u32 v3, v2, 16, 1
	s_delay_alu instid0(VALU_DEP_1)
	v_add3_u32 v152, v2, v3, 0x7fff
                                        ; implicit-def: $vgpr2
; %bb.3295:                             ;   in Loop: Header=BB446_1574 Depth=1
	s_and_not1_saveexec_b32 s12, s0
; %bb.3296:                             ;   in Loop: Header=BB446_1574 Depth=1
	v_and_b32_e32 v3, 0xffff, v2
	v_or_b32_e32 v6, 0x10000, v2
	s_delay_alu instid0(VALU_DEP_2) | instskip(NEXT) | instid1(VALU_DEP_1)
	v_cmp_eq_u32_e64 s0, 0, v3
	v_cndmask_b32_e64 v152, v6, v2, s0
; %bb.3297:                             ;   in Loop: Header=BB446_1574 Depth=1
	s_or_b32 exec_lo, exec_lo, s12
	flat_load_b64 v[2:3], v[0:1] offset:3328
	s_mov_b32 s12, exec_lo
	s_waitcnt vmcnt(0) lgkmcnt(0)
	v_dual_mov_b32 v6, 0 :: v_dual_and_b32 v7, 0xff, v2
	s_delay_alu instid0(VALU_DEP_1)
	v_cmpx_ne_u16_e32 0, v7
	s_cbranch_execz .LBB446_3305
; %bb.3298:                             ;   in Loop: Header=BB446_1574 Depth=1
	v_bfrev_b32_e32 v6, 1
	s_mov_b32 s13, exec_lo
	v_cmpx_ne_u16_e32 0x80, v7
	s_cbranch_execz .LBB446_3304
; %bb.3299:                             ;   in Loop: Header=BB446_1574 Depth=1
	v_and_b32_e32 v7, 0x7f, v2
	v_mov_b32_e32 v6, 0x7f800001
	s_mov_b32 s15, exec_lo
	s_delay_alu instid0(VALU_DEP_2)
	v_cmpx_ne_u32_e32 0x7f, v7
	s_cbranch_execz .LBB446_3303
; %bb.3300:                             ;   in Loop: Header=BB446_1574 Depth=1
	v_lshrrev_b32_e32 v9, 3, v7
	v_cmp_gt_u32_e64 s0, 8, v7
	v_dual_mov_b32 v7, v3 :: v_dual_mov_b32 v6, v2
	s_delay_alu instid0(VALU_DEP_2)
	s_and_saveexec_b32 s16, s0
; %bb.3301:                             ;   in Loop: Header=BB446_1574 Depth=1
	v_and_b32_e32 v6, 7, v2
	s_delay_alu instid0(VALU_DEP_1) | instskip(NEXT) | instid1(VALU_DEP_1)
	v_clz_i32_u32_e32 v6, v6
	v_min_u32_e32 v9, 32, v6
	s_delay_alu instid0(VALU_DEP_1) | instskip(SKIP_1) | instid1(VALU_DEP_2)
	v_subrev_nc_u32_e32 v6, 28, v9
	v_sub_nc_u32_e32 v9, 29, v9
	v_lshlrev_b64 v[6:7], v6, v[2:3]
; %bb.3302:                             ;   in Loop: Header=BB446_1574 Depth=1
	s_or_b32 exec_lo, exec_lo, s16
	s_delay_alu instid0(VALU_DEP_1) | instskip(SKIP_2) | instid1(VALU_DEP_3)
	v_lshlrev_b32_e32 v6, 20, v6
	v_lshlrev_b32_e32 v7, 24, v2
	v_lshl_add_u32 v9, v9, 23, 0x3c000000
	v_and_b32_e32 v6, 0x700000, v6
	s_delay_alu instid0(VALU_DEP_3) | instskip(NEXT) | instid1(VALU_DEP_1)
	v_and_b32_e32 v7, 0x80000000, v7
	v_or3_b32 v6, v6, v7, v9
.LBB446_3303:                           ;   in Loop: Header=BB446_1574 Depth=1
	s_or_b32 exec_lo, exec_lo, s15
.LBB446_3304:                           ;   in Loop: Header=BB446_1574 Depth=1
	s_delay_alu instid0(SALU_CYCLE_1)
	s_or_b32 exec_lo, exec_lo, s13
.LBB446_3305:                           ;   in Loop: Header=BB446_1574 Depth=1
	s_delay_alu instid0(SALU_CYCLE_1) | instskip(NEXT) | instid1(VALU_DEP_1)
	s_or_b32 exec_lo, exec_lo, s12
	v_mul_f32_e32 v6, v8, v6
                                        ; implicit-def: $vgpr153
	s_delay_alu instid0(VALU_DEP_1) | instskip(NEXT) | instid1(VALU_DEP_1)
	v_and_b32_e32 v7, 0x7f800000, v6
	v_cmp_ne_u32_e64 s0, 0x7f800000, v7
	s_delay_alu instid0(VALU_DEP_1) | instskip(NEXT) | instid1(SALU_CYCLE_1)
	s_and_saveexec_b32 s12, s0
	s_xor_b32 s0, exec_lo, s12
; %bb.3306:                             ;   in Loop: Header=BB446_1574 Depth=1
	v_bfe_u32 v7, v6, 16, 1
	s_delay_alu instid0(VALU_DEP_1)
	v_add3_u32 v153, v6, v7, 0x7fff
                                        ; implicit-def: $vgpr6
; %bb.3307:                             ;   in Loop: Header=BB446_1574 Depth=1
	s_and_not1_saveexec_b32 s12, s0
; %bb.3308:                             ;   in Loop: Header=BB446_1574 Depth=1
	v_and_b32_e32 v7, 0xffff, v6
	v_or_b32_e32 v9, 0x10000, v6
	s_delay_alu instid0(VALU_DEP_2) | instskip(NEXT) | instid1(VALU_DEP_1)
	v_cmp_eq_u32_e64 s0, 0, v7
	v_cndmask_b32_e64 v153, v9, v6, s0
; %bb.3309:                             ;   in Loop: Header=BB446_1574 Depth=1
	s_or_b32 exec_lo, exec_lo, s12
	v_lshrrev_b16 v7, 8, v2
	v_mov_b32_e32 v6, 0
	s_mov_b32 s12, exec_lo
	s_delay_alu instid0(VALU_DEP_2)
	v_cmpx_ne_u16_e32 0, v7
	s_cbranch_execz .LBB446_3317
; %bb.3310:                             ;   in Loop: Header=BB446_1574 Depth=1
	v_bfrev_b32_e32 v6, 1
	s_mov_b32 s13, exec_lo
	v_cmpx_ne_u16_e32 0x80, v7
	s_cbranch_execz .LBB446_3316
; %bb.3311:                             ;   in Loop: Header=BB446_1574 Depth=1
	v_and_b32_e32 v9, 0xffff, v7
	v_mov_b32_e32 v6, 0x7f800001
	s_mov_b32 s15, exec_lo
	s_delay_alu instid0(VALU_DEP_2) | instskip(NEXT) | instid1(VALU_DEP_1)
	v_and_b32_e32 v7, 0x7f, v9
	v_cmpx_ne_u32_e32 0x7f, v7
	s_cbranch_execz .LBB446_3315
; %bb.3312:                             ;   in Loop: Header=BB446_1574 Depth=1
	v_and_b32_e32 v9, 7, v9
	v_lshrrev_b32_e32 v154, 3, v7
	v_cmp_gt_u32_e64 s0, 8, v7
	s_delay_alu instid0(VALU_DEP_3) | instskip(NEXT) | instid1(VALU_DEP_2)
	v_dual_mov_b32 v6, v9 :: v_dual_mov_b32 v7, v10
	s_and_saveexec_b32 s16, s0
; %bb.3313:                             ;   in Loop: Header=BB446_1574 Depth=1
	v_clz_i32_u32_e32 v6, v9
	s_delay_alu instid0(VALU_DEP_1) | instskip(NEXT) | instid1(VALU_DEP_1)
	v_min_u32_e32 v154, 32, v6
	v_subrev_nc_u32_e32 v6, 28, v154
	v_sub_nc_u32_e32 v154, 29, v154
	s_delay_alu instid0(VALU_DEP_2) | instskip(NEXT) | instid1(VALU_DEP_1)
	v_lshlrev_b64 v[6:7], v6, v[9:10]
	v_and_b32_e32 v6, 7, v6
; %bb.3314:                             ;   in Loop: Header=BB446_1574 Depth=1
	s_or_b32 exec_lo, exec_lo, s16
	v_lshlrev_b32_e32 v7, 16, v2
	s_delay_alu instid0(VALU_DEP_2) | instskip(SKIP_1) | instid1(VALU_DEP_3)
	v_lshlrev_b32_e32 v6, 20, v6
	v_lshl_add_u32 v9, v154, 23, 0x3c000000
	v_and_b32_e32 v7, 0x80000000, v7
	s_delay_alu instid0(VALU_DEP_1)
	v_or3_b32 v6, v6, v7, v9
.LBB446_3315:                           ;   in Loop: Header=BB446_1574 Depth=1
	s_or_b32 exec_lo, exec_lo, s15
.LBB446_3316:                           ;   in Loop: Header=BB446_1574 Depth=1
	s_delay_alu instid0(SALU_CYCLE_1)
	s_or_b32 exec_lo, exec_lo, s13
.LBB446_3317:                           ;   in Loop: Header=BB446_1574 Depth=1
	s_delay_alu instid0(SALU_CYCLE_1) | instskip(NEXT) | instid1(VALU_DEP_1)
	s_or_b32 exec_lo, exec_lo, s12
	v_mul_f32_e32 v6, v8, v6
                                        ; implicit-def: $vgpr154
	s_delay_alu instid0(VALU_DEP_1) | instskip(NEXT) | instid1(VALU_DEP_1)
	v_and_b32_e32 v7, 0x7f800000, v6
	v_cmp_ne_u32_e64 s0, 0x7f800000, v7
	s_delay_alu instid0(VALU_DEP_1) | instskip(NEXT) | instid1(SALU_CYCLE_1)
	s_and_saveexec_b32 s12, s0
	s_xor_b32 s0, exec_lo, s12
; %bb.3318:                             ;   in Loop: Header=BB446_1574 Depth=1
	v_bfe_u32 v7, v6, 16, 1
	s_delay_alu instid0(VALU_DEP_1)
	v_add3_u32 v154, v6, v7, 0x7fff
                                        ; implicit-def: $vgpr6
; %bb.3319:                             ;   in Loop: Header=BB446_1574 Depth=1
	s_and_not1_saveexec_b32 s12, s0
; %bb.3320:                             ;   in Loop: Header=BB446_1574 Depth=1
	v_and_b32_e32 v7, 0xffff, v6
	v_or_b32_e32 v9, 0x10000, v6
	s_delay_alu instid0(VALU_DEP_2) | instskip(NEXT) | instid1(VALU_DEP_1)
	v_cmp_eq_u32_e64 s0, 0, v7
	v_cndmask_b32_e64 v154, v9, v6, s0
; %bb.3321:                             ;   in Loop: Header=BB446_1574 Depth=1
	s_or_b32 exec_lo, exec_lo, s12
	v_lshrrev_b32_e32 v155, 16, v2
	s_mov_b32 s12, exec_lo
	s_delay_alu instid0(VALU_DEP_1) | instskip(NEXT) | instid1(VALU_DEP_1)
	v_dual_mov_b32 v6, 0 :: v_dual_and_b32 v7, 0xff, v155
	v_cmpx_ne_u16_e32 0, v7
	s_cbranch_execz .LBB446_3329
; %bb.3322:                             ;   in Loop: Header=BB446_1574 Depth=1
	v_bfrev_b32_e32 v6, 1
	s_mov_b32 s13, exec_lo
	v_cmpx_ne_u16_e32 0x80, v7
	s_cbranch_execz .LBB446_3328
; %bb.3323:                             ;   in Loop: Header=BB446_1574 Depth=1
	v_bfe_u32 v7, v2, 16, 7
	v_mov_b32_e32 v6, 0x7f800001
	s_mov_b32 s15, exec_lo
	s_delay_alu instid0(VALU_DEP_2)
	v_cmpx_ne_u32_e32 0x7f, v7
	s_cbranch_execz .LBB446_3327
; %bb.3324:                             ;   in Loop: Header=BB446_1574 Depth=1
	v_and_b32_e32 v9, 7, v155
	v_lshrrev_b32_e32 v156, 3, v7
	v_cmp_gt_u32_e64 s0, 8, v7
	s_delay_alu instid0(VALU_DEP_3) | instskip(NEXT) | instid1(VALU_DEP_2)
	v_dual_mov_b32 v6, v9 :: v_dual_mov_b32 v7, v10
	s_and_saveexec_b32 s16, s0
; %bb.3325:                             ;   in Loop: Header=BB446_1574 Depth=1
	v_clz_i32_u32_e32 v6, v9
	s_delay_alu instid0(VALU_DEP_1) | instskip(NEXT) | instid1(VALU_DEP_1)
	v_min_u32_e32 v156, 32, v6
	v_subrev_nc_u32_e32 v6, 28, v156
	v_sub_nc_u32_e32 v156, 29, v156
	s_delay_alu instid0(VALU_DEP_2) | instskip(NEXT) | instid1(VALU_DEP_1)
	v_lshlrev_b64 v[6:7], v6, v[9:10]
	v_and_b32_e32 v6, 7, v6
; %bb.3326:                             ;   in Loop: Header=BB446_1574 Depth=1
	s_or_b32 exec_lo, exec_lo, s16
	v_lshlrev_b32_e32 v7, 24, v155
	s_delay_alu instid0(VALU_DEP_2) | instskip(SKIP_1) | instid1(VALU_DEP_3)
	v_lshlrev_b32_e32 v6, 20, v6
	v_lshl_add_u32 v9, v156, 23, 0x3c000000
	v_and_b32_e32 v7, 0x80000000, v7
	s_delay_alu instid0(VALU_DEP_1)
	v_or3_b32 v6, v6, v7, v9
.LBB446_3327:                           ;   in Loop: Header=BB446_1574 Depth=1
	s_or_b32 exec_lo, exec_lo, s15
.LBB446_3328:                           ;   in Loop: Header=BB446_1574 Depth=1
	s_delay_alu instid0(SALU_CYCLE_1)
	s_or_b32 exec_lo, exec_lo, s13
.LBB446_3329:                           ;   in Loop: Header=BB446_1574 Depth=1
	s_delay_alu instid0(SALU_CYCLE_1) | instskip(NEXT) | instid1(VALU_DEP_1)
	s_or_b32 exec_lo, exec_lo, s12
	v_mul_f32_e32 v6, v8, v6
                                        ; implicit-def: $vgpr155
	s_delay_alu instid0(VALU_DEP_1) | instskip(NEXT) | instid1(VALU_DEP_1)
	v_and_b32_e32 v7, 0x7f800000, v6
	v_cmp_ne_u32_e64 s0, 0x7f800000, v7
	s_delay_alu instid0(VALU_DEP_1) | instskip(NEXT) | instid1(SALU_CYCLE_1)
	s_and_saveexec_b32 s12, s0
	s_xor_b32 s0, exec_lo, s12
; %bb.3330:                             ;   in Loop: Header=BB446_1574 Depth=1
	v_bfe_u32 v7, v6, 16, 1
	s_delay_alu instid0(VALU_DEP_1)
	v_add3_u32 v155, v6, v7, 0x7fff
                                        ; implicit-def: $vgpr6
; %bb.3331:                             ;   in Loop: Header=BB446_1574 Depth=1
	s_and_not1_saveexec_b32 s12, s0
; %bb.3332:                             ;   in Loop: Header=BB446_1574 Depth=1
	v_and_b32_e32 v7, 0xffff, v6
	v_or_b32_e32 v9, 0x10000, v6
	s_delay_alu instid0(VALU_DEP_2) | instskip(NEXT) | instid1(VALU_DEP_1)
	v_cmp_eq_u32_e64 s0, 0, v7
	v_cndmask_b32_e64 v155, v9, v6, s0
; %bb.3333:                             ;   in Loop: Header=BB446_1574 Depth=1
	s_or_b32 exec_lo, exec_lo, s12
	v_mov_b32_e32 v6, 0
	s_mov_b32 s12, exec_lo
	v_cmpx_lt_u32_e32 0xffffff, v2
	s_cbranch_execz .LBB446_3341
; %bb.3334:                             ;   in Loop: Header=BB446_1574 Depth=1
	v_lshrrev_b32_e32 v156, 24, v2
	v_bfrev_b32_e32 v6, 1
	s_mov_b32 s13, exec_lo
	s_delay_alu instid0(VALU_DEP_2)
	v_cmpx_ne_u32_e32 0x80, v156
	s_cbranch_execz .LBB446_3340
; %bb.3335:                             ;   in Loop: Header=BB446_1574 Depth=1
	v_bfe_u32 v7, v2, 24, 7
	v_mov_b32_e32 v6, 0x7f800001
	s_mov_b32 s15, exec_lo
	s_delay_alu instid0(VALU_DEP_2)
	v_cmpx_ne_u32_e32 0x7f, v7
	s_cbranch_execz .LBB446_3339
; %bb.3336:                             ;   in Loop: Header=BB446_1574 Depth=1
	v_and_b32_e32 v9, 7, v156
	v_lshrrev_b32_e32 v157, 3, v7
	v_cmp_gt_u32_e64 s0, 8, v7
	s_delay_alu instid0(VALU_DEP_3) | instskip(NEXT) | instid1(VALU_DEP_2)
	v_dual_mov_b32 v6, v9 :: v_dual_mov_b32 v7, v10
	s_and_saveexec_b32 s16, s0
; %bb.3337:                             ;   in Loop: Header=BB446_1574 Depth=1
	v_clz_i32_u32_e32 v6, v9
	s_delay_alu instid0(VALU_DEP_1) | instskip(NEXT) | instid1(VALU_DEP_1)
	v_min_u32_e32 v157, 32, v6
	v_subrev_nc_u32_e32 v6, 28, v157
	v_sub_nc_u32_e32 v157, 29, v157
	s_delay_alu instid0(VALU_DEP_2) | instskip(NEXT) | instid1(VALU_DEP_1)
	v_lshlrev_b64 v[6:7], v6, v[9:10]
	v_and_b32_e32 v6, 7, v6
; %bb.3338:                             ;   in Loop: Header=BB446_1574 Depth=1
	s_or_b32 exec_lo, exec_lo, s16
	v_lshlrev_b32_e32 v7, 24, v156
	s_delay_alu instid0(VALU_DEP_2) | instskip(SKIP_1) | instid1(VALU_DEP_3)
	v_lshlrev_b32_e32 v6, 20, v6
	v_lshl_add_u32 v9, v157, 23, 0x3c000000
	v_and_b32_e32 v7, 0x80000000, v7
	s_delay_alu instid0(VALU_DEP_1)
	v_or3_b32 v6, v6, v7, v9
.LBB446_3339:                           ;   in Loop: Header=BB446_1574 Depth=1
	s_or_b32 exec_lo, exec_lo, s15
.LBB446_3340:                           ;   in Loop: Header=BB446_1574 Depth=1
	s_delay_alu instid0(SALU_CYCLE_1)
	s_or_b32 exec_lo, exec_lo, s13
.LBB446_3341:                           ;   in Loop: Header=BB446_1574 Depth=1
	s_delay_alu instid0(SALU_CYCLE_1) | instskip(NEXT) | instid1(VALU_DEP_1)
	s_or_b32 exec_lo, exec_lo, s12
	v_mul_f32_e32 v6, v8, v6
                                        ; implicit-def: $vgpr156
	s_delay_alu instid0(VALU_DEP_1) | instskip(NEXT) | instid1(VALU_DEP_1)
	v_and_b32_e32 v7, 0x7f800000, v6
	v_cmp_ne_u32_e64 s0, 0x7f800000, v7
	s_delay_alu instid0(VALU_DEP_1) | instskip(NEXT) | instid1(SALU_CYCLE_1)
	s_and_saveexec_b32 s12, s0
	s_xor_b32 s0, exec_lo, s12
; %bb.3342:                             ;   in Loop: Header=BB446_1574 Depth=1
	v_bfe_u32 v7, v6, 16, 1
	s_delay_alu instid0(VALU_DEP_1)
	v_add3_u32 v156, v6, v7, 0x7fff
                                        ; implicit-def: $vgpr6
; %bb.3343:                             ;   in Loop: Header=BB446_1574 Depth=1
	s_and_not1_saveexec_b32 s12, s0
; %bb.3344:                             ;   in Loop: Header=BB446_1574 Depth=1
	v_and_b32_e32 v7, 0xffff, v6
	v_or_b32_e32 v9, 0x10000, v6
	s_delay_alu instid0(VALU_DEP_2) | instskip(NEXT) | instid1(VALU_DEP_1)
	v_cmp_eq_u32_e64 s0, 0, v7
	v_cndmask_b32_e64 v156, v9, v6, s0
; %bb.3345:                             ;   in Loop: Header=BB446_1574 Depth=1
	s_or_b32 exec_lo, exec_lo, s12
	v_dual_mov_b32 v6, 0 :: v_dual_and_b32 v7, 0xff, v3
	v_mov_b32_e32 v9, v3
	s_mov_b32 s12, exec_lo
	s_delay_alu instid0(VALU_DEP_2)
	v_cmpx_ne_u16_e32 0, v7
	s_cbranch_execz .LBB446_3353
; %bb.3346:                             ;   in Loop: Header=BB446_1574 Depth=1
	v_bfrev_b32_e32 v6, 1
	s_mov_b32 s13, exec_lo
	v_cmpx_ne_u16_e32 0x80, v7
	s_cbranch_execz .LBB446_3352
; %bb.3347:                             ;   in Loop: Header=BB446_1574 Depth=1
	v_and_b32_e32 v7, 0x7f, v3
	v_mov_b32_e32 v6, 0x7f800001
	s_mov_b32 s15, exec_lo
	s_delay_alu instid0(VALU_DEP_2)
	v_cmpx_ne_u32_e32 0x7f, v7
	s_cbranch_execz .LBB446_3351
; %bb.3348:                             ;   in Loop: Header=BB446_1574 Depth=1
	v_lshrrev_b32_e32 v157, 3, v7
	v_cmp_gt_u32_e64 s0, 8, v7
	v_dual_mov_b32 v6, v9 :: v_dual_mov_b32 v7, v10
	s_delay_alu instid0(VALU_DEP_2)
	s_and_saveexec_b32 s16, s0
; %bb.3349:                             ;   in Loop: Header=BB446_1574 Depth=1
	v_and_b32_e32 v6, 7, v3
	s_delay_alu instid0(VALU_DEP_1) | instskip(NEXT) | instid1(VALU_DEP_1)
	v_clz_i32_u32_e32 v6, v6
	v_min_u32_e32 v157, 32, v6
	s_delay_alu instid0(VALU_DEP_1) | instskip(SKIP_1) | instid1(VALU_DEP_2)
	v_subrev_nc_u32_e32 v6, 28, v157
	v_sub_nc_u32_e32 v157, 29, v157
	v_lshlrev_b64 v[6:7], v6, v[9:10]
; %bb.3350:                             ;   in Loop: Header=BB446_1574 Depth=1
	s_or_b32 exec_lo, exec_lo, s16
	s_delay_alu instid0(VALU_DEP_1) | instskip(SKIP_2) | instid1(VALU_DEP_3)
	v_lshlrev_b32_e32 v6, 20, v6
	v_lshlrev_b32_e32 v7, 24, v9
	v_lshl_add_u32 v157, v157, 23, 0x3c000000
	v_and_b32_e32 v6, 0x700000, v6
	s_delay_alu instid0(VALU_DEP_3) | instskip(NEXT) | instid1(VALU_DEP_1)
	v_and_b32_e32 v7, 0x80000000, v7
	v_or3_b32 v6, v6, v7, v157
.LBB446_3351:                           ;   in Loop: Header=BB446_1574 Depth=1
	s_or_b32 exec_lo, exec_lo, s15
.LBB446_3352:                           ;   in Loop: Header=BB446_1574 Depth=1
	s_delay_alu instid0(SALU_CYCLE_1)
	s_or_b32 exec_lo, exec_lo, s13
.LBB446_3353:                           ;   in Loop: Header=BB446_1574 Depth=1
	s_delay_alu instid0(SALU_CYCLE_1) | instskip(NEXT) | instid1(VALU_DEP_1)
	s_or_b32 exec_lo, exec_lo, s12
	v_mul_f32_e32 v6, v8, v6
                                        ; implicit-def: $vgpr157
	s_delay_alu instid0(VALU_DEP_1) | instskip(NEXT) | instid1(VALU_DEP_1)
	v_and_b32_e32 v7, 0x7f800000, v6
	v_cmp_ne_u32_e64 s0, 0x7f800000, v7
	s_delay_alu instid0(VALU_DEP_1) | instskip(NEXT) | instid1(SALU_CYCLE_1)
	s_and_saveexec_b32 s12, s0
	s_xor_b32 s0, exec_lo, s12
; %bb.3354:                             ;   in Loop: Header=BB446_1574 Depth=1
	v_bfe_u32 v7, v6, 16, 1
	s_delay_alu instid0(VALU_DEP_1)
	v_add3_u32 v157, v6, v7, 0x7fff
                                        ; implicit-def: $vgpr6
; %bb.3355:                             ;   in Loop: Header=BB446_1574 Depth=1
	s_and_not1_saveexec_b32 s12, s0
; %bb.3356:                             ;   in Loop: Header=BB446_1574 Depth=1
	v_and_b32_e32 v7, 0xffff, v6
	v_or_b32_e32 v157, 0x10000, v6
	s_delay_alu instid0(VALU_DEP_2) | instskip(NEXT) | instid1(VALU_DEP_1)
	v_cmp_eq_u32_e64 s0, 0, v7
	v_cndmask_b32_e64 v157, v157, v6, s0
; %bb.3357:                             ;   in Loop: Header=BB446_1574 Depth=1
	s_or_b32 exec_lo, exec_lo, s12
	v_lshrrev_b16 v7, 8, v9
	v_mov_b32_e32 v6, 0
	s_mov_b32 s12, exec_lo
	s_delay_alu instid0(VALU_DEP_2)
	v_cmpx_ne_u16_e32 0, v7
	s_cbranch_execz .LBB446_3365
; %bb.3358:                             ;   in Loop: Header=BB446_1574 Depth=1
	v_bfrev_b32_e32 v6, 1
	s_mov_b32 s13, exec_lo
	v_cmpx_ne_u16_e32 0x80, v7
	s_cbranch_execz .LBB446_3364
; %bb.3359:                             ;   in Loop: Header=BB446_1574 Depth=1
	v_and_b32_e32 v7, 0xffff, v7
	v_mov_b32_e32 v6, 0x7f800001
	s_mov_b32 s15, exec_lo
	s_delay_alu instid0(VALU_DEP_2) | instskip(NEXT) | instid1(VALU_DEP_1)
	v_and_b32_e32 v159, 0x7f, v7
	v_cmpx_ne_u32_e32 0x7f, v159
	s_cbranch_execz .LBB446_3363
; %bb.3360:                             ;   in Loop: Header=BB446_1574 Depth=1
	v_dual_mov_b32 v7, v10 :: v_dual_and_b32 v6, 7, v7
	v_lshrrev_b32_e32 v158, 3, v159
	s_mov_b32 s16, exec_lo
	v_cmpx_gt_u32_e32 8, v159
; %bb.3361:                             ;   in Loop: Header=BB446_1574 Depth=1
	s_delay_alu instid0(VALU_DEP_3) | instskip(NEXT) | instid1(VALU_DEP_1)
	v_clz_i32_u32_e32 v158, v6
	v_min_u32_e32 v158, 32, v158
	s_delay_alu instid0(VALU_DEP_1) | instskip(SKIP_1) | instid1(VALU_DEP_2)
	v_subrev_nc_u32_e32 v159, 28, v158
	v_sub_nc_u32_e32 v158, 29, v158
	v_lshlrev_b64 v[6:7], v159, v[6:7]
	s_delay_alu instid0(VALU_DEP_1)
	v_and_b32_e32 v6, 7, v6
; %bb.3362:                             ;   in Loop: Header=BB446_1574 Depth=1
	s_or_b32 exec_lo, exec_lo, s16
	v_lshlrev_b32_e32 v7, 16, v9
	s_delay_alu instid0(VALU_DEP_2) | instskip(SKIP_1) | instid1(VALU_DEP_3)
	v_lshlrev_b32_e32 v6, 20, v6
	v_lshl_add_u32 v9, v158, 23, 0x3c000000
	v_and_b32_e32 v7, 0x80000000, v7
	s_delay_alu instid0(VALU_DEP_1)
	v_or3_b32 v6, v6, v7, v9
.LBB446_3363:                           ;   in Loop: Header=BB446_1574 Depth=1
	s_or_b32 exec_lo, exec_lo, s15
.LBB446_3364:                           ;   in Loop: Header=BB446_1574 Depth=1
	s_delay_alu instid0(SALU_CYCLE_1)
	s_or_b32 exec_lo, exec_lo, s13
.LBB446_3365:                           ;   in Loop: Header=BB446_1574 Depth=1
	s_delay_alu instid0(SALU_CYCLE_1) | instskip(NEXT) | instid1(VALU_DEP_1)
	s_or_b32 exec_lo, exec_lo, s12
	v_mul_f32_e32 v6, v8, v6
                                        ; implicit-def: $vgpr158
	s_delay_alu instid0(VALU_DEP_1) | instskip(NEXT) | instid1(VALU_DEP_1)
	v_and_b32_e32 v7, 0x7f800000, v6
	v_cmp_ne_u32_e64 s0, 0x7f800000, v7
	s_delay_alu instid0(VALU_DEP_1) | instskip(NEXT) | instid1(SALU_CYCLE_1)
	s_and_saveexec_b32 s12, s0
	s_xor_b32 s0, exec_lo, s12
; %bb.3366:                             ;   in Loop: Header=BB446_1574 Depth=1
	v_bfe_u32 v7, v6, 16, 1
	s_delay_alu instid0(VALU_DEP_1)
	v_add3_u32 v158, v6, v7, 0x7fff
                                        ; implicit-def: $vgpr6
; %bb.3367:                             ;   in Loop: Header=BB446_1574 Depth=1
	s_and_not1_saveexec_b32 s12, s0
; %bb.3368:                             ;   in Loop: Header=BB446_1574 Depth=1
	v_and_b32_e32 v7, 0xffff, v6
	v_or_b32_e32 v9, 0x10000, v6
	s_delay_alu instid0(VALU_DEP_2) | instskip(NEXT) | instid1(VALU_DEP_1)
	v_cmp_eq_u32_e64 s0, 0, v7
	v_cndmask_b32_e64 v158, v9, v6, s0
; %bb.3369:                             ;   in Loop: Header=BB446_1574 Depth=1
	s_or_b32 exec_lo, exec_lo, s12
	v_lshrrev_b32_e32 v159, 16, v3
	s_mov_b32 s12, exec_lo
	s_delay_alu instid0(VALU_DEP_1) | instskip(NEXT) | instid1(VALU_DEP_1)
	v_dual_mov_b32 v6, 0 :: v_dual_and_b32 v7, 0xff, v159
	v_cmpx_ne_u16_e32 0, v7
	s_cbranch_execz .LBB446_3377
; %bb.3370:                             ;   in Loop: Header=BB446_1574 Depth=1
	v_bfrev_b32_e32 v6, 1
	s_mov_b32 s13, exec_lo
	v_cmpx_ne_u16_e32 0x80, v7
	s_cbranch_execz .LBB446_3376
; %bb.3371:                             ;   in Loop: Header=BB446_1574 Depth=1
	v_bfe_u32 v7, v3, 16, 7
	v_mov_b32_e32 v6, 0x7f800001
	s_mov_b32 s15, exec_lo
	s_delay_alu instid0(VALU_DEP_2)
	v_cmpx_ne_u32_e32 0x7f, v7
	s_cbranch_execz .LBB446_3375
; %bb.3372:                             ;   in Loop: Header=BB446_1574 Depth=1
	v_and_b32_e32 v9, 7, v159
	v_lshrrev_b32_e32 v168, 3, v7
	v_cmp_gt_u32_e64 s0, 8, v7
	s_delay_alu instid0(VALU_DEP_3) | instskip(NEXT) | instid1(VALU_DEP_2)
	v_dual_mov_b32 v6, v9 :: v_dual_mov_b32 v7, v10
	s_and_saveexec_b32 s16, s0
; %bb.3373:                             ;   in Loop: Header=BB446_1574 Depth=1
	v_clz_i32_u32_e32 v6, v9
	s_delay_alu instid0(VALU_DEP_1) | instskip(NEXT) | instid1(VALU_DEP_1)
	v_min_u32_e32 v168, 32, v6
	v_subrev_nc_u32_e32 v6, 28, v168
	v_sub_nc_u32_e32 v168, 29, v168
	s_delay_alu instid0(VALU_DEP_2) | instskip(NEXT) | instid1(VALU_DEP_1)
	v_lshlrev_b64 v[6:7], v6, v[9:10]
	v_and_b32_e32 v6, 7, v6
; %bb.3374:                             ;   in Loop: Header=BB446_1574 Depth=1
	s_or_b32 exec_lo, exec_lo, s16
	v_lshlrev_b32_e32 v7, 24, v159
	s_delay_alu instid0(VALU_DEP_2) | instskip(SKIP_1) | instid1(VALU_DEP_3)
	v_lshlrev_b32_e32 v6, 20, v6
	v_lshl_add_u32 v9, v168, 23, 0x3c000000
	v_and_b32_e32 v7, 0x80000000, v7
	s_delay_alu instid0(VALU_DEP_1)
	v_or3_b32 v6, v6, v7, v9
.LBB446_3375:                           ;   in Loop: Header=BB446_1574 Depth=1
	s_or_b32 exec_lo, exec_lo, s15
.LBB446_3376:                           ;   in Loop: Header=BB446_1574 Depth=1
	s_delay_alu instid0(SALU_CYCLE_1)
	s_or_b32 exec_lo, exec_lo, s13
.LBB446_3377:                           ;   in Loop: Header=BB446_1574 Depth=1
	s_delay_alu instid0(SALU_CYCLE_1) | instskip(NEXT) | instid1(VALU_DEP_1)
	s_or_b32 exec_lo, exec_lo, s12
	v_mul_f32_e32 v6, v8, v6
                                        ; implicit-def: $vgpr159
	s_delay_alu instid0(VALU_DEP_1) | instskip(NEXT) | instid1(VALU_DEP_1)
	v_and_b32_e32 v7, 0x7f800000, v6
	v_cmp_ne_u32_e64 s0, 0x7f800000, v7
	s_delay_alu instid0(VALU_DEP_1) | instskip(NEXT) | instid1(SALU_CYCLE_1)
	s_and_saveexec_b32 s12, s0
	s_xor_b32 s0, exec_lo, s12
; %bb.3378:                             ;   in Loop: Header=BB446_1574 Depth=1
	v_bfe_u32 v7, v6, 16, 1
	s_delay_alu instid0(VALU_DEP_1)
	v_add3_u32 v159, v6, v7, 0x7fff
                                        ; implicit-def: $vgpr6
; %bb.3379:                             ;   in Loop: Header=BB446_1574 Depth=1
	s_and_not1_saveexec_b32 s12, s0
; %bb.3380:                             ;   in Loop: Header=BB446_1574 Depth=1
	v_and_b32_e32 v7, 0xffff, v6
	v_or_b32_e32 v9, 0x10000, v6
	s_delay_alu instid0(VALU_DEP_2) | instskip(NEXT) | instid1(VALU_DEP_1)
	v_cmp_eq_u32_e64 s0, 0, v7
	v_cndmask_b32_e64 v159, v9, v6, s0
; %bb.3381:                             ;   in Loop: Header=BB446_1574 Depth=1
	s_or_b32 exec_lo, exec_lo, s12
	v_cmp_lt_u64_e64 s0, s[8:9], v[2:3]
	v_mov_b32_e32 v2, 0
	s_delay_alu instid0(VALU_DEP_2)
	s_and_saveexec_b32 s12, s0
	s_cbranch_execz .LBB446_3389
; %bb.3382:                             ;   in Loop: Header=BB446_1574 Depth=1
	v_lshrrev_b32_e32 v6, 24, v3
	v_bfrev_b32_e32 v2, 1
	s_mov_b32 s13, exec_lo
	s_delay_alu instid0(VALU_DEP_2)
	v_cmpx_ne_u32_e32 0x80, v6
	s_cbranch_execz .LBB446_3388
; %bb.3383:                             ;   in Loop: Header=BB446_1574 Depth=1
	v_bfe_u32 v3, v3, 24, 7
	v_mov_b32_e32 v2, 0x7f800001
	s_mov_b32 s15, exec_lo
	s_delay_alu instid0(VALU_DEP_2)
	v_cmpx_ne_u32_e32 0x7f, v3
	s_cbranch_execz .LBB446_3387
; %bb.3384:                             ;   in Loop: Header=BB446_1574 Depth=1
	v_and_b32_e32 v9, 7, v6
	v_lshrrev_b32_e32 v7, 3, v3
	v_cmp_gt_u32_e64 s0, 8, v3
	s_delay_alu instid0(VALU_DEP_3) | instskip(NEXT) | instid1(VALU_DEP_2)
	v_dual_mov_b32 v2, v9 :: v_dual_mov_b32 v3, v10
	s_and_saveexec_b32 s16, s0
; %bb.3385:                             ;   in Loop: Header=BB446_1574 Depth=1
	v_clz_i32_u32_e32 v2, v9
	s_delay_alu instid0(VALU_DEP_1) | instskip(NEXT) | instid1(VALU_DEP_1)
	v_min_u32_e32 v7, 32, v2
	v_subrev_nc_u32_e32 v2, 28, v7
	v_sub_nc_u32_e32 v7, 29, v7
	s_delay_alu instid0(VALU_DEP_2) | instskip(NEXT) | instid1(VALU_DEP_1)
	v_lshlrev_b64 v[2:3], v2, v[9:10]
	v_and_b32_e32 v2, 7, v2
; %bb.3386:                             ;   in Loop: Header=BB446_1574 Depth=1
	s_or_b32 exec_lo, exec_lo, s16
	v_lshlrev_b32_e32 v3, 24, v6
	s_delay_alu instid0(VALU_DEP_2) | instskip(SKIP_1) | instid1(VALU_DEP_3)
	v_lshlrev_b32_e32 v2, 20, v2
	v_lshl_add_u32 v6, v7, 23, 0x3c000000
	v_and_b32_e32 v3, 0x80000000, v3
	s_delay_alu instid0(VALU_DEP_1)
	v_or3_b32 v2, v2, v3, v6
.LBB446_3387:                           ;   in Loop: Header=BB446_1574 Depth=1
	s_or_b32 exec_lo, exec_lo, s15
.LBB446_3388:                           ;   in Loop: Header=BB446_1574 Depth=1
	s_delay_alu instid0(SALU_CYCLE_1)
	s_or_b32 exec_lo, exec_lo, s13
.LBB446_3389:                           ;   in Loop: Header=BB446_1574 Depth=1
	s_delay_alu instid0(SALU_CYCLE_1) | instskip(NEXT) | instid1(VALU_DEP_1)
	s_or_b32 exec_lo, exec_lo, s12
	v_mul_f32_e32 v3, v8, v2
	s_delay_alu instid0(VALU_DEP_1) | instskip(NEXT) | instid1(VALU_DEP_1)
	v_and_b32_e32 v2, 0x7f800000, v3
	v_cmp_ne_u32_e64 s0, 0x7f800000, v2
                                        ; implicit-def: $vgpr2
	s_delay_alu instid0(VALU_DEP_1) | instskip(NEXT) | instid1(SALU_CYCLE_1)
	s_and_saveexec_b32 s12, s0
	s_xor_b32 s0, exec_lo, s12
; %bb.3390:                             ;   in Loop: Header=BB446_1574 Depth=1
	v_bfe_u32 v2, v3, 16, 1
	s_delay_alu instid0(VALU_DEP_1)
	v_add3_u32 v2, v3, v2, 0x7fff
                                        ; implicit-def: $vgpr3
; %bb.3391:                             ;   in Loop: Header=BB446_1574 Depth=1
	s_and_not1_saveexec_b32 s12, s0
; %bb.3392:                             ;   in Loop: Header=BB446_1574 Depth=1
	v_and_b32_e32 v2, 0xffff, v3
	v_or_b32_e32 v6, 0x10000, v3
	s_delay_alu instid0(VALU_DEP_2) | instskip(NEXT) | instid1(VALU_DEP_1)
	v_cmp_eq_u32_e64 s0, 0, v2
	v_cndmask_b32_e64 v2, v6, v3, s0
; %bb.3393:                             ;   in Loop: Header=BB446_1574 Depth=1
	s_or_b32 exec_lo, exec_lo, s12
	v_lshrrev_b32_e32 v6, 16, v158
	v_lshrrev_b32_e32 v7, 16, v157
	;; [unrolled: 1-line block ×8, first 2 shown]
	s_and_saveexec_b32 s12, vcc_lo
	s_cbranch_execz .LBB446_3395
; %bb.3394:                             ;   in Loop: Header=BB446_1574 Depth=1
	v_cmp_lt_i32_e64 s0, v86, v38
	s_delay_alu instid0(VALU_DEP_1) | instskip(SKIP_1) | instid1(VALU_DEP_1)
	v_cndmask_b32_e64 v153, 0, v153, s0
	v_cmp_lt_i32_e64 s0, v101, v38
	v_cndmask_b32_e64 v154, 0, v154, s0
	v_cmp_lt_i32_e64 s0, v100, v38
	s_delay_alu instid0(VALU_DEP_1) | instskip(SKIP_1) | instid1(VALU_DEP_1)
	v_cndmask_b32_e64 v155, 0, v155, s0
	v_cmp_lt_i32_e64 s0, v99, v38
	v_cndmask_b32_e64 v9, 0, v9, s0
	;; [unrolled: 5-line block ×4, first 2 shown]
.LBB446_3395:                           ;   in Loop: Header=BB446_1574 Depth=1
	s_or_b32 exec_lo, exec_lo, s12
	v_lshlrev_b32_e32 v153, 16, v153
	s_delay_alu instid0(VALU_DEP_1) | instskip(NEXT) | instid1(VALU_DEP_1)
	v_mul_f32_e32 v156, v102, v153
	v_and_b32_e32 v153, 0x7f800000, v156
	s_delay_alu instid0(VALU_DEP_1) | instskip(NEXT) | instid1(VALU_DEP_1)
	v_cmp_ne_u32_e64 s0, 0x7f800000, v153
                                        ; implicit-def: $vgpr153
	s_and_saveexec_b32 s12, s0
	s_delay_alu instid0(SALU_CYCLE_1)
	s_xor_b32 s0, exec_lo, s12
; %bb.3396:                             ;   in Loop: Header=BB446_1574 Depth=1
	v_bfe_u32 v153, v156, 16, 1
	s_delay_alu instid0(VALU_DEP_1)
	v_add3_u32 v153, v156, v153, 0x7fff
                                        ; implicit-def: $vgpr156
; %bb.3397:                             ;   in Loop: Header=BB446_1574 Depth=1
	s_and_not1_saveexec_b32 s12, s0
; %bb.3398:                             ;   in Loop: Header=BB446_1574 Depth=1
	v_and_b32_e32 v153, 0xffff, v156
	v_or_b32_e32 v157, 0x10000, v156
	s_delay_alu instid0(VALU_DEP_2) | instskip(NEXT) | instid1(VALU_DEP_1)
	v_cmp_eq_u32_e64 s0, 0, v153
	v_cndmask_b32_e64 v153, v157, v156, s0
; %bb.3399:                             ;   in Loop: Header=BB446_1574 Depth=1
	s_or_b32 exec_lo, exec_lo, s12
	v_lshlrev_b32_e32 v154, 16, v154
	s_delay_alu instid0(VALU_DEP_1) | instskip(NEXT) | instid1(VALU_DEP_1)
	v_mul_f32_e32 v156, v103, v154
	v_and_b32_e32 v154, 0x7f800000, v156
	s_delay_alu instid0(VALU_DEP_1) | instskip(NEXT) | instid1(VALU_DEP_1)
	v_cmp_ne_u32_e64 s0, 0x7f800000, v154
                                        ; implicit-def: $vgpr154
	s_and_saveexec_b32 s12, s0
	s_delay_alu instid0(SALU_CYCLE_1)
	s_xor_b32 s0, exec_lo, s12
; %bb.3400:                             ;   in Loop: Header=BB446_1574 Depth=1
	v_bfe_u32 v154, v156, 16, 1
	s_delay_alu instid0(VALU_DEP_1)
	v_add3_u32 v154, v156, v154, 0x7fff
                                        ; implicit-def: $vgpr156
; %bb.3401:                             ;   in Loop: Header=BB446_1574 Depth=1
	s_and_not1_saveexec_b32 s12, s0
; %bb.3402:                             ;   in Loop: Header=BB446_1574 Depth=1
	v_and_b32_e32 v154, 0xffff, v156
	v_or_b32_e32 v157, 0x10000, v156
	s_delay_alu instid0(VALU_DEP_2) | instskip(NEXT) | instid1(VALU_DEP_1)
	v_cmp_eq_u32_e64 s0, 0, v154
	v_cndmask_b32_e64 v154, v157, v156, s0
; %bb.3403:                             ;   in Loop: Header=BB446_1574 Depth=1
	s_or_b32 exec_lo, exec_lo, s12
	v_lshlrev_b32_e32 v155, 16, v155
	s_delay_alu instid0(VALU_DEP_1) | instskip(NEXT) | instid1(VALU_DEP_1)
	v_mul_f32_e32 v156, v112, v155
	v_and_b32_e32 v155, 0x7f800000, v156
	s_delay_alu instid0(VALU_DEP_1) | instskip(NEXT) | instid1(VALU_DEP_1)
	v_cmp_ne_u32_e64 s0, 0x7f800000, v155
                                        ; implicit-def: $vgpr155
	s_and_saveexec_b32 s12, s0
	s_delay_alu instid0(SALU_CYCLE_1)
	s_xor_b32 s0, exec_lo, s12
; %bb.3404:                             ;   in Loop: Header=BB446_1574 Depth=1
	v_bfe_u32 v155, v156, 16, 1
	s_delay_alu instid0(VALU_DEP_1)
	v_add3_u32 v155, v156, v155, 0x7fff
                                        ; implicit-def: $vgpr156
; %bb.3405:                             ;   in Loop: Header=BB446_1574 Depth=1
	s_and_not1_saveexec_b32 s12, s0
; %bb.3406:                             ;   in Loop: Header=BB446_1574 Depth=1
	v_and_b32_e32 v155, 0xffff, v156
	v_or_b32_e32 v157, 0x10000, v156
	s_delay_alu instid0(VALU_DEP_2) | instskip(NEXT) | instid1(VALU_DEP_1)
	v_cmp_eq_u32_e64 s0, 0, v155
	v_cndmask_b32_e64 v155, v157, v156, s0
; %bb.3407:                             ;   in Loop: Header=BB446_1574 Depth=1
	s_or_b32 exec_lo, exec_lo, s12
	v_lshlrev_b32_e32 v9, 16, v9
	s_delay_alu instid0(VALU_DEP_1) | instskip(NEXT) | instid1(VALU_DEP_1)
	v_mul_f32_e32 v9, v113, v9
	v_and_b32_e32 v156, 0x7f800000, v9
	s_delay_alu instid0(VALU_DEP_1) | instskip(NEXT) | instid1(VALU_DEP_1)
	v_cmp_ne_u32_e64 s0, 0x7f800000, v156
                                        ; implicit-def: $vgpr156
	s_and_saveexec_b32 s12, s0
	s_delay_alu instid0(SALU_CYCLE_1)
	s_xor_b32 s0, exec_lo, s12
; %bb.3408:                             ;   in Loop: Header=BB446_1574 Depth=1
	v_bfe_u32 v156, v9, 16, 1
	s_delay_alu instid0(VALU_DEP_1)
	v_add3_u32 v156, v9, v156, 0x7fff
                                        ; implicit-def: $vgpr9
; %bb.3409:                             ;   in Loop: Header=BB446_1574 Depth=1
	s_and_not1_saveexec_b32 s12, s0
; %bb.3410:                             ;   in Loop: Header=BB446_1574 Depth=1
	v_and_b32_e32 v156, 0xffff, v9
	v_or_b32_e32 v157, 0x10000, v9
	s_delay_alu instid0(VALU_DEP_2) | instskip(NEXT) | instid1(VALU_DEP_1)
	v_cmp_eq_u32_e64 s0, 0, v156
	v_cndmask_b32_e64 v156, v157, v9, s0
; %bb.3411:                             ;   in Loop: Header=BB446_1574 Depth=1
	s_or_b32 exec_lo, exec_lo, s12
	v_lshlrev_b32_e32 v7, 16, v7
                                        ; implicit-def: $vgpr157
	s_delay_alu instid0(VALU_DEP_1) | instskip(NEXT) | instid1(VALU_DEP_1)
	v_mul_f32_e32 v7, v114, v7
	v_and_b32_e32 v9, 0x7f800000, v7
	s_delay_alu instid0(VALU_DEP_1) | instskip(NEXT) | instid1(VALU_DEP_1)
	v_cmp_ne_u32_e64 s0, 0x7f800000, v9
	s_and_saveexec_b32 s12, s0
	s_delay_alu instid0(SALU_CYCLE_1)
	s_xor_b32 s0, exec_lo, s12
; %bb.3412:                             ;   in Loop: Header=BB446_1574 Depth=1
	v_bfe_u32 v9, v7, 16, 1
	s_delay_alu instid0(VALU_DEP_1)
	v_add3_u32 v157, v7, v9, 0x7fff
                                        ; implicit-def: $vgpr7
; %bb.3413:                             ;   in Loop: Header=BB446_1574 Depth=1
	s_and_not1_saveexec_b32 s12, s0
; %bb.3414:                             ;   in Loop: Header=BB446_1574 Depth=1
	v_and_b32_e32 v9, 0xffff, v7
	v_or_b32_e32 v157, 0x10000, v7
	s_delay_alu instid0(VALU_DEP_2) | instskip(NEXT) | instid1(VALU_DEP_1)
	v_cmp_eq_u32_e64 s0, 0, v9
	v_cndmask_b32_e64 v157, v157, v7, s0
; %bb.3415:                             ;   in Loop: Header=BB446_1574 Depth=1
	s_or_b32 exec_lo, exec_lo, s12
	v_lshlrev_b32_e32 v6, 16, v6
                                        ; implicit-def: $vgpr158
	s_delay_alu instid0(VALU_DEP_1) | instskip(NEXT) | instid1(VALU_DEP_1)
	v_mul_f32_e32 v6, v115, v6
	v_and_b32_e32 v7, 0x7f800000, v6
	s_delay_alu instid0(VALU_DEP_1) | instskip(NEXT) | instid1(VALU_DEP_1)
	v_cmp_ne_u32_e64 s0, 0x7f800000, v7
	s_and_saveexec_b32 s12, s0
	s_delay_alu instid0(SALU_CYCLE_1)
	s_xor_b32 s0, exec_lo, s12
; %bb.3416:                             ;   in Loop: Header=BB446_1574 Depth=1
	v_bfe_u32 v7, v6, 16, 1
	s_delay_alu instid0(VALU_DEP_1)
	v_add3_u32 v158, v6, v7, 0x7fff
                                        ; implicit-def: $vgpr6
; %bb.3417:                             ;   in Loop: Header=BB446_1574 Depth=1
	s_and_not1_saveexec_b32 s12, s0
; %bb.3418:                             ;   in Loop: Header=BB446_1574 Depth=1
	v_and_b32_e32 v7, 0xffff, v6
	v_or_b32_e32 v9, 0x10000, v6
	s_delay_alu instid0(VALU_DEP_2) | instskip(NEXT) | instid1(VALU_DEP_1)
	v_cmp_eq_u32_e64 s0, 0, v7
	v_cndmask_b32_e64 v158, v9, v6, s0
; %bb.3419:                             ;   in Loop: Header=BB446_1574 Depth=1
	s_or_b32 exec_lo, exec_lo, s12
	v_lshlrev_b32_e32 v3, 16, v3
                                        ; implicit-def: $vgpr159
	s_delay_alu instid0(VALU_DEP_1) | instskip(NEXT) | instid1(VALU_DEP_1)
	v_mul_f32_e32 v3, v116, v3
	v_and_b32_e32 v6, 0x7f800000, v3
	s_delay_alu instid0(VALU_DEP_1) | instskip(NEXT) | instid1(VALU_DEP_1)
	v_cmp_ne_u32_e64 s0, 0x7f800000, v6
	s_and_saveexec_b32 s12, s0
	s_delay_alu instid0(SALU_CYCLE_1)
	s_xor_b32 s0, exec_lo, s12
; %bb.3420:                             ;   in Loop: Header=BB446_1574 Depth=1
	v_bfe_u32 v6, v3, 16, 1
	s_delay_alu instid0(VALU_DEP_1)
	v_add3_u32 v159, v3, v6, 0x7fff
                                        ; implicit-def: $vgpr3
; %bb.3421:                             ;   in Loop: Header=BB446_1574 Depth=1
	s_and_not1_saveexec_b32 s12, s0
; %bb.3422:                             ;   in Loop: Header=BB446_1574 Depth=1
	v_and_b32_e32 v6, 0xffff, v3
	v_or_b32_e32 v7, 0x10000, v3
	s_delay_alu instid0(VALU_DEP_2) | instskip(NEXT) | instid1(VALU_DEP_1)
	v_cmp_eq_u32_e64 s0, 0, v6
	v_cndmask_b32_e64 v159, v7, v3, s0
; %bb.3423:                             ;   in Loop: Header=BB446_1574 Depth=1
	s_or_b32 exec_lo, exec_lo, s12
	v_lshlrev_b32_e32 v2, 16, v2
                                        ; implicit-def: $vgpr168
	s_delay_alu instid0(VALU_DEP_1) | instskip(NEXT) | instid1(VALU_DEP_1)
	v_mul_f32_e32 v2, v117, v2
	v_and_b32_e32 v3, 0x7f800000, v2
	s_delay_alu instid0(VALU_DEP_1) | instskip(NEXT) | instid1(VALU_DEP_1)
	v_cmp_ne_u32_e64 s0, 0x7f800000, v3
	s_and_saveexec_b32 s12, s0
	s_delay_alu instid0(SALU_CYCLE_1)
	s_xor_b32 s0, exec_lo, s12
; %bb.3424:                             ;   in Loop: Header=BB446_1574 Depth=1
	v_bfe_u32 v3, v2, 16, 1
	s_delay_alu instid0(VALU_DEP_1)
	v_add3_u32 v168, v2, v3, 0x7fff
                                        ; implicit-def: $vgpr2
; %bb.3425:                             ;   in Loop: Header=BB446_1574 Depth=1
	s_and_not1_saveexec_b32 s12, s0
; %bb.3426:                             ;   in Loop: Header=BB446_1574 Depth=1
	v_and_b32_e32 v3, 0xffff, v2
	v_or_b32_e32 v6, 0x10000, v2
	s_delay_alu instid0(VALU_DEP_2) | instskip(NEXT) | instid1(VALU_DEP_1)
	v_cmp_eq_u32_e64 s0, 0, v3
	v_cndmask_b32_e64 v168, v6, v2, s0
; %bb.3427:                             ;   in Loop: Header=BB446_1574 Depth=1
	s_or_b32 exec_lo, exec_lo, s12
	flat_load_b64 v[2:3], v[0:1] offset:3584
	s_mov_b32 s12, exec_lo
	s_waitcnt vmcnt(0) lgkmcnt(0)
	v_dual_mov_b32 v6, 0 :: v_dual_and_b32 v7, 0xff, v2
	s_delay_alu instid0(VALU_DEP_1)
	v_cmpx_ne_u16_e32 0, v7
	s_cbranch_execz .LBB446_3435
; %bb.3428:                             ;   in Loop: Header=BB446_1574 Depth=1
	v_bfrev_b32_e32 v6, 1
	s_mov_b32 s13, exec_lo
	v_cmpx_ne_u16_e32 0x80, v7
	s_cbranch_execz .LBB446_3434
; %bb.3429:                             ;   in Loop: Header=BB446_1574 Depth=1
	v_and_b32_e32 v7, 0x7f, v2
	v_mov_b32_e32 v6, 0x7f800001
	s_mov_b32 s15, exec_lo
	s_delay_alu instid0(VALU_DEP_2)
	v_cmpx_ne_u32_e32 0x7f, v7
	s_cbranch_execz .LBB446_3433
; %bb.3430:                             ;   in Loop: Header=BB446_1574 Depth=1
	v_lshrrev_b32_e32 v9, 3, v7
	v_cmp_gt_u32_e64 s0, 8, v7
	v_dual_mov_b32 v7, v3 :: v_dual_mov_b32 v6, v2
	s_delay_alu instid0(VALU_DEP_2)
	s_and_saveexec_b32 s16, s0
; %bb.3431:                             ;   in Loop: Header=BB446_1574 Depth=1
	v_and_b32_e32 v6, 7, v2
	s_delay_alu instid0(VALU_DEP_1) | instskip(NEXT) | instid1(VALU_DEP_1)
	v_clz_i32_u32_e32 v6, v6
	v_min_u32_e32 v9, 32, v6
	s_delay_alu instid0(VALU_DEP_1) | instskip(SKIP_1) | instid1(VALU_DEP_2)
	v_subrev_nc_u32_e32 v6, 28, v9
	v_sub_nc_u32_e32 v9, 29, v9
	v_lshlrev_b64 v[6:7], v6, v[2:3]
; %bb.3432:                             ;   in Loop: Header=BB446_1574 Depth=1
	s_or_b32 exec_lo, exec_lo, s16
	s_delay_alu instid0(VALU_DEP_1) | instskip(SKIP_2) | instid1(VALU_DEP_3)
	v_lshlrev_b32_e32 v6, 20, v6
	v_lshlrev_b32_e32 v7, 24, v2
	v_lshl_add_u32 v9, v9, 23, 0x3c000000
	v_and_b32_e32 v6, 0x700000, v6
	s_delay_alu instid0(VALU_DEP_3) | instskip(NEXT) | instid1(VALU_DEP_1)
	v_and_b32_e32 v7, 0x80000000, v7
	v_or3_b32 v6, v6, v7, v9
.LBB446_3433:                           ;   in Loop: Header=BB446_1574 Depth=1
	s_or_b32 exec_lo, exec_lo, s15
.LBB446_3434:                           ;   in Loop: Header=BB446_1574 Depth=1
	s_delay_alu instid0(SALU_CYCLE_1)
	s_or_b32 exec_lo, exec_lo, s13
.LBB446_3435:                           ;   in Loop: Header=BB446_1574 Depth=1
	s_delay_alu instid0(SALU_CYCLE_1) | instskip(NEXT) | instid1(VALU_DEP_1)
	s_or_b32 exec_lo, exec_lo, s12
	v_mul_f32_e32 v6, v8, v6
                                        ; implicit-def: $vgpr169
	s_delay_alu instid0(VALU_DEP_1) | instskip(NEXT) | instid1(VALU_DEP_1)
	v_and_b32_e32 v7, 0x7f800000, v6
	v_cmp_ne_u32_e64 s0, 0x7f800000, v7
	s_delay_alu instid0(VALU_DEP_1) | instskip(NEXT) | instid1(SALU_CYCLE_1)
	s_and_saveexec_b32 s12, s0
	s_xor_b32 s0, exec_lo, s12
; %bb.3436:                             ;   in Loop: Header=BB446_1574 Depth=1
	v_bfe_u32 v7, v6, 16, 1
	s_delay_alu instid0(VALU_DEP_1)
	v_add3_u32 v169, v6, v7, 0x7fff
                                        ; implicit-def: $vgpr6
; %bb.3437:                             ;   in Loop: Header=BB446_1574 Depth=1
	s_and_not1_saveexec_b32 s12, s0
; %bb.3438:                             ;   in Loop: Header=BB446_1574 Depth=1
	v_and_b32_e32 v7, 0xffff, v6
	v_or_b32_e32 v9, 0x10000, v6
	s_delay_alu instid0(VALU_DEP_2) | instskip(NEXT) | instid1(VALU_DEP_1)
	v_cmp_eq_u32_e64 s0, 0, v7
	v_cndmask_b32_e64 v169, v9, v6, s0
; %bb.3439:                             ;   in Loop: Header=BB446_1574 Depth=1
	s_or_b32 exec_lo, exec_lo, s12
	v_lshrrev_b16 v7, 8, v2
	v_mov_b32_e32 v6, 0
	s_mov_b32 s12, exec_lo
	s_delay_alu instid0(VALU_DEP_2)
	v_cmpx_ne_u16_e32 0, v7
	s_cbranch_execz .LBB446_3447
; %bb.3440:                             ;   in Loop: Header=BB446_1574 Depth=1
	v_bfrev_b32_e32 v6, 1
	s_mov_b32 s13, exec_lo
	v_cmpx_ne_u16_e32 0x80, v7
	s_cbranch_execz .LBB446_3446
; %bb.3441:                             ;   in Loop: Header=BB446_1574 Depth=1
	v_and_b32_e32 v9, 0xffff, v7
	v_mov_b32_e32 v6, 0x7f800001
	s_mov_b32 s15, exec_lo
	s_delay_alu instid0(VALU_DEP_2) | instskip(NEXT) | instid1(VALU_DEP_1)
	v_and_b32_e32 v7, 0x7f, v9
	v_cmpx_ne_u32_e32 0x7f, v7
	s_cbranch_execz .LBB446_3445
; %bb.3442:                             ;   in Loop: Header=BB446_1574 Depth=1
	v_and_b32_e32 v9, 7, v9
	v_lshrrev_b32_e32 v170, 3, v7
	v_cmp_gt_u32_e64 s0, 8, v7
	s_delay_alu instid0(VALU_DEP_3) | instskip(NEXT) | instid1(VALU_DEP_2)
	v_dual_mov_b32 v6, v9 :: v_dual_mov_b32 v7, v10
	s_and_saveexec_b32 s16, s0
; %bb.3443:                             ;   in Loop: Header=BB446_1574 Depth=1
	v_clz_i32_u32_e32 v6, v9
	s_delay_alu instid0(VALU_DEP_1) | instskip(NEXT) | instid1(VALU_DEP_1)
	v_min_u32_e32 v170, 32, v6
	v_subrev_nc_u32_e32 v6, 28, v170
	v_sub_nc_u32_e32 v170, 29, v170
	s_delay_alu instid0(VALU_DEP_2) | instskip(NEXT) | instid1(VALU_DEP_1)
	v_lshlrev_b64 v[6:7], v6, v[9:10]
	v_and_b32_e32 v6, 7, v6
; %bb.3444:                             ;   in Loop: Header=BB446_1574 Depth=1
	s_or_b32 exec_lo, exec_lo, s16
	v_lshlrev_b32_e32 v7, 16, v2
	s_delay_alu instid0(VALU_DEP_2) | instskip(SKIP_1) | instid1(VALU_DEP_3)
	v_lshlrev_b32_e32 v6, 20, v6
	v_lshl_add_u32 v9, v170, 23, 0x3c000000
	v_and_b32_e32 v7, 0x80000000, v7
	s_delay_alu instid0(VALU_DEP_1)
	v_or3_b32 v6, v6, v7, v9
.LBB446_3445:                           ;   in Loop: Header=BB446_1574 Depth=1
	s_or_b32 exec_lo, exec_lo, s15
.LBB446_3446:                           ;   in Loop: Header=BB446_1574 Depth=1
	s_delay_alu instid0(SALU_CYCLE_1)
	s_or_b32 exec_lo, exec_lo, s13
.LBB446_3447:                           ;   in Loop: Header=BB446_1574 Depth=1
	s_delay_alu instid0(SALU_CYCLE_1) | instskip(NEXT) | instid1(VALU_DEP_1)
	s_or_b32 exec_lo, exec_lo, s12
	v_mul_f32_e32 v6, v8, v6
                                        ; implicit-def: $vgpr170
	s_delay_alu instid0(VALU_DEP_1) | instskip(NEXT) | instid1(VALU_DEP_1)
	v_and_b32_e32 v7, 0x7f800000, v6
	v_cmp_ne_u32_e64 s0, 0x7f800000, v7
	s_delay_alu instid0(VALU_DEP_1) | instskip(NEXT) | instid1(SALU_CYCLE_1)
	s_and_saveexec_b32 s12, s0
	s_xor_b32 s0, exec_lo, s12
; %bb.3448:                             ;   in Loop: Header=BB446_1574 Depth=1
	v_bfe_u32 v7, v6, 16, 1
	s_delay_alu instid0(VALU_DEP_1)
	v_add3_u32 v170, v6, v7, 0x7fff
                                        ; implicit-def: $vgpr6
; %bb.3449:                             ;   in Loop: Header=BB446_1574 Depth=1
	s_and_not1_saveexec_b32 s12, s0
; %bb.3450:                             ;   in Loop: Header=BB446_1574 Depth=1
	v_and_b32_e32 v7, 0xffff, v6
	v_or_b32_e32 v9, 0x10000, v6
	s_delay_alu instid0(VALU_DEP_2) | instskip(NEXT) | instid1(VALU_DEP_1)
	v_cmp_eq_u32_e64 s0, 0, v7
	v_cndmask_b32_e64 v170, v9, v6, s0
; %bb.3451:                             ;   in Loop: Header=BB446_1574 Depth=1
	s_or_b32 exec_lo, exec_lo, s12
	v_lshrrev_b32_e32 v171, 16, v2
	s_mov_b32 s12, exec_lo
	s_delay_alu instid0(VALU_DEP_1) | instskip(NEXT) | instid1(VALU_DEP_1)
	v_dual_mov_b32 v6, 0 :: v_dual_and_b32 v7, 0xff, v171
	v_cmpx_ne_u16_e32 0, v7
	s_cbranch_execz .LBB446_3459
; %bb.3452:                             ;   in Loop: Header=BB446_1574 Depth=1
	v_bfrev_b32_e32 v6, 1
	s_mov_b32 s13, exec_lo
	v_cmpx_ne_u16_e32 0x80, v7
	s_cbranch_execz .LBB446_3458
; %bb.3453:                             ;   in Loop: Header=BB446_1574 Depth=1
	v_bfe_u32 v7, v2, 16, 7
	v_mov_b32_e32 v6, 0x7f800001
	s_mov_b32 s15, exec_lo
	s_delay_alu instid0(VALU_DEP_2)
	v_cmpx_ne_u32_e32 0x7f, v7
	s_cbranch_execz .LBB446_3457
; %bb.3454:                             ;   in Loop: Header=BB446_1574 Depth=1
	v_and_b32_e32 v9, 7, v171
	v_lshrrev_b32_e32 v172, 3, v7
	v_cmp_gt_u32_e64 s0, 8, v7
	s_delay_alu instid0(VALU_DEP_3) | instskip(NEXT) | instid1(VALU_DEP_2)
	v_dual_mov_b32 v6, v9 :: v_dual_mov_b32 v7, v10
	s_and_saveexec_b32 s16, s0
; %bb.3455:                             ;   in Loop: Header=BB446_1574 Depth=1
	v_clz_i32_u32_e32 v6, v9
	s_delay_alu instid0(VALU_DEP_1) | instskip(NEXT) | instid1(VALU_DEP_1)
	v_min_u32_e32 v172, 32, v6
	v_subrev_nc_u32_e32 v6, 28, v172
	v_sub_nc_u32_e32 v172, 29, v172
	s_delay_alu instid0(VALU_DEP_2) | instskip(NEXT) | instid1(VALU_DEP_1)
	v_lshlrev_b64 v[6:7], v6, v[9:10]
	v_and_b32_e32 v6, 7, v6
; %bb.3456:                             ;   in Loop: Header=BB446_1574 Depth=1
	s_or_b32 exec_lo, exec_lo, s16
	v_lshlrev_b32_e32 v7, 24, v171
	s_delay_alu instid0(VALU_DEP_2) | instskip(SKIP_1) | instid1(VALU_DEP_3)
	v_lshlrev_b32_e32 v6, 20, v6
	v_lshl_add_u32 v9, v172, 23, 0x3c000000
	v_and_b32_e32 v7, 0x80000000, v7
	s_delay_alu instid0(VALU_DEP_1)
	v_or3_b32 v6, v6, v7, v9
.LBB446_3457:                           ;   in Loop: Header=BB446_1574 Depth=1
	s_or_b32 exec_lo, exec_lo, s15
.LBB446_3458:                           ;   in Loop: Header=BB446_1574 Depth=1
	s_delay_alu instid0(SALU_CYCLE_1)
	s_or_b32 exec_lo, exec_lo, s13
.LBB446_3459:                           ;   in Loop: Header=BB446_1574 Depth=1
	s_delay_alu instid0(SALU_CYCLE_1) | instskip(NEXT) | instid1(VALU_DEP_1)
	s_or_b32 exec_lo, exec_lo, s12
	v_mul_f32_e32 v6, v8, v6
                                        ; implicit-def: $vgpr171
	s_delay_alu instid0(VALU_DEP_1) | instskip(NEXT) | instid1(VALU_DEP_1)
	v_and_b32_e32 v7, 0x7f800000, v6
	v_cmp_ne_u32_e64 s0, 0x7f800000, v7
	s_delay_alu instid0(VALU_DEP_1) | instskip(NEXT) | instid1(SALU_CYCLE_1)
	s_and_saveexec_b32 s12, s0
	s_xor_b32 s0, exec_lo, s12
; %bb.3460:                             ;   in Loop: Header=BB446_1574 Depth=1
	v_bfe_u32 v7, v6, 16, 1
	s_delay_alu instid0(VALU_DEP_1)
	v_add3_u32 v171, v6, v7, 0x7fff
                                        ; implicit-def: $vgpr6
; %bb.3461:                             ;   in Loop: Header=BB446_1574 Depth=1
	s_and_not1_saveexec_b32 s12, s0
; %bb.3462:                             ;   in Loop: Header=BB446_1574 Depth=1
	v_and_b32_e32 v7, 0xffff, v6
	v_or_b32_e32 v9, 0x10000, v6
	s_delay_alu instid0(VALU_DEP_2) | instskip(NEXT) | instid1(VALU_DEP_1)
	v_cmp_eq_u32_e64 s0, 0, v7
	v_cndmask_b32_e64 v171, v9, v6, s0
; %bb.3463:                             ;   in Loop: Header=BB446_1574 Depth=1
	s_or_b32 exec_lo, exec_lo, s12
	v_mov_b32_e32 v6, 0
	s_mov_b32 s12, exec_lo
	v_cmpx_lt_u32_e32 0xffffff, v2
	s_cbranch_execz .LBB446_3471
; %bb.3464:                             ;   in Loop: Header=BB446_1574 Depth=1
	v_lshrrev_b32_e32 v172, 24, v2
	v_bfrev_b32_e32 v6, 1
	s_mov_b32 s13, exec_lo
	s_delay_alu instid0(VALU_DEP_2)
	v_cmpx_ne_u32_e32 0x80, v172
	s_cbranch_execz .LBB446_3470
; %bb.3465:                             ;   in Loop: Header=BB446_1574 Depth=1
	v_bfe_u32 v7, v2, 24, 7
	v_mov_b32_e32 v6, 0x7f800001
	s_mov_b32 s15, exec_lo
	s_delay_alu instid0(VALU_DEP_2)
	v_cmpx_ne_u32_e32 0x7f, v7
	s_cbranch_execz .LBB446_3469
; %bb.3466:                             ;   in Loop: Header=BB446_1574 Depth=1
	v_and_b32_e32 v9, 7, v172
	v_lshrrev_b32_e32 v173, 3, v7
	v_cmp_gt_u32_e64 s0, 8, v7
	s_delay_alu instid0(VALU_DEP_3) | instskip(NEXT) | instid1(VALU_DEP_2)
	v_dual_mov_b32 v6, v9 :: v_dual_mov_b32 v7, v10
	s_and_saveexec_b32 s16, s0
; %bb.3467:                             ;   in Loop: Header=BB446_1574 Depth=1
	v_clz_i32_u32_e32 v6, v9
	s_delay_alu instid0(VALU_DEP_1) | instskip(NEXT) | instid1(VALU_DEP_1)
	v_min_u32_e32 v173, 32, v6
	v_subrev_nc_u32_e32 v6, 28, v173
	v_sub_nc_u32_e32 v173, 29, v173
	s_delay_alu instid0(VALU_DEP_2) | instskip(NEXT) | instid1(VALU_DEP_1)
	v_lshlrev_b64 v[6:7], v6, v[9:10]
	v_and_b32_e32 v6, 7, v6
; %bb.3468:                             ;   in Loop: Header=BB446_1574 Depth=1
	s_or_b32 exec_lo, exec_lo, s16
	v_lshlrev_b32_e32 v7, 24, v172
	s_delay_alu instid0(VALU_DEP_2) | instskip(SKIP_1) | instid1(VALU_DEP_3)
	v_lshlrev_b32_e32 v6, 20, v6
	v_lshl_add_u32 v9, v173, 23, 0x3c000000
	v_and_b32_e32 v7, 0x80000000, v7
	s_delay_alu instid0(VALU_DEP_1)
	v_or3_b32 v6, v6, v7, v9
.LBB446_3469:                           ;   in Loop: Header=BB446_1574 Depth=1
	s_or_b32 exec_lo, exec_lo, s15
.LBB446_3470:                           ;   in Loop: Header=BB446_1574 Depth=1
	s_delay_alu instid0(SALU_CYCLE_1)
	s_or_b32 exec_lo, exec_lo, s13
.LBB446_3471:                           ;   in Loop: Header=BB446_1574 Depth=1
	s_delay_alu instid0(SALU_CYCLE_1) | instskip(NEXT) | instid1(VALU_DEP_1)
	s_or_b32 exec_lo, exec_lo, s12
	v_mul_f32_e32 v6, v8, v6
                                        ; implicit-def: $vgpr172
	s_delay_alu instid0(VALU_DEP_1) | instskip(NEXT) | instid1(VALU_DEP_1)
	v_and_b32_e32 v7, 0x7f800000, v6
	v_cmp_ne_u32_e64 s0, 0x7f800000, v7
	s_delay_alu instid0(VALU_DEP_1) | instskip(NEXT) | instid1(SALU_CYCLE_1)
	s_and_saveexec_b32 s12, s0
	s_xor_b32 s0, exec_lo, s12
; %bb.3472:                             ;   in Loop: Header=BB446_1574 Depth=1
	v_bfe_u32 v7, v6, 16, 1
	s_delay_alu instid0(VALU_DEP_1)
	v_add3_u32 v172, v6, v7, 0x7fff
                                        ; implicit-def: $vgpr6
; %bb.3473:                             ;   in Loop: Header=BB446_1574 Depth=1
	s_and_not1_saveexec_b32 s12, s0
; %bb.3474:                             ;   in Loop: Header=BB446_1574 Depth=1
	v_and_b32_e32 v7, 0xffff, v6
	v_or_b32_e32 v9, 0x10000, v6
	s_delay_alu instid0(VALU_DEP_2) | instskip(NEXT) | instid1(VALU_DEP_1)
	v_cmp_eq_u32_e64 s0, 0, v7
	v_cndmask_b32_e64 v172, v9, v6, s0
; %bb.3475:                             ;   in Loop: Header=BB446_1574 Depth=1
	s_or_b32 exec_lo, exec_lo, s12
	v_dual_mov_b32 v6, 0 :: v_dual_and_b32 v7, 0xff, v3
	v_mov_b32_e32 v9, v3
	s_mov_b32 s12, exec_lo
	s_delay_alu instid0(VALU_DEP_2)
	v_cmpx_ne_u16_e32 0, v7
	s_cbranch_execz .LBB446_3483
; %bb.3476:                             ;   in Loop: Header=BB446_1574 Depth=1
	v_bfrev_b32_e32 v6, 1
	s_mov_b32 s13, exec_lo
	v_cmpx_ne_u16_e32 0x80, v7
	s_cbranch_execz .LBB446_3482
; %bb.3477:                             ;   in Loop: Header=BB446_1574 Depth=1
	v_and_b32_e32 v7, 0x7f, v3
	v_mov_b32_e32 v6, 0x7f800001
	s_mov_b32 s15, exec_lo
	s_delay_alu instid0(VALU_DEP_2)
	v_cmpx_ne_u32_e32 0x7f, v7
	s_cbranch_execz .LBB446_3481
; %bb.3478:                             ;   in Loop: Header=BB446_1574 Depth=1
	v_lshrrev_b32_e32 v173, 3, v7
	v_cmp_gt_u32_e64 s0, 8, v7
	v_dual_mov_b32 v6, v9 :: v_dual_mov_b32 v7, v10
	s_delay_alu instid0(VALU_DEP_2)
	s_and_saveexec_b32 s16, s0
; %bb.3479:                             ;   in Loop: Header=BB446_1574 Depth=1
	v_and_b32_e32 v6, 7, v3
	s_delay_alu instid0(VALU_DEP_1) | instskip(NEXT) | instid1(VALU_DEP_1)
	v_clz_i32_u32_e32 v6, v6
	v_min_u32_e32 v173, 32, v6
	s_delay_alu instid0(VALU_DEP_1) | instskip(SKIP_1) | instid1(VALU_DEP_2)
	v_subrev_nc_u32_e32 v6, 28, v173
	v_sub_nc_u32_e32 v173, 29, v173
	v_lshlrev_b64 v[6:7], v6, v[9:10]
; %bb.3480:                             ;   in Loop: Header=BB446_1574 Depth=1
	s_or_b32 exec_lo, exec_lo, s16
	s_delay_alu instid0(VALU_DEP_1) | instskip(SKIP_2) | instid1(VALU_DEP_3)
	v_lshlrev_b32_e32 v6, 20, v6
	v_lshlrev_b32_e32 v7, 24, v9
	v_lshl_add_u32 v173, v173, 23, 0x3c000000
	v_and_b32_e32 v6, 0x700000, v6
	s_delay_alu instid0(VALU_DEP_3) | instskip(NEXT) | instid1(VALU_DEP_1)
	v_and_b32_e32 v7, 0x80000000, v7
	v_or3_b32 v6, v6, v7, v173
.LBB446_3481:                           ;   in Loop: Header=BB446_1574 Depth=1
	s_or_b32 exec_lo, exec_lo, s15
.LBB446_3482:                           ;   in Loop: Header=BB446_1574 Depth=1
	s_delay_alu instid0(SALU_CYCLE_1)
	s_or_b32 exec_lo, exec_lo, s13
.LBB446_3483:                           ;   in Loop: Header=BB446_1574 Depth=1
	s_delay_alu instid0(SALU_CYCLE_1) | instskip(NEXT) | instid1(VALU_DEP_1)
	s_or_b32 exec_lo, exec_lo, s12
	v_mul_f32_e32 v6, v8, v6
                                        ; implicit-def: $vgpr173
	s_delay_alu instid0(VALU_DEP_1) | instskip(NEXT) | instid1(VALU_DEP_1)
	v_and_b32_e32 v7, 0x7f800000, v6
	v_cmp_ne_u32_e64 s0, 0x7f800000, v7
	s_delay_alu instid0(VALU_DEP_1) | instskip(NEXT) | instid1(SALU_CYCLE_1)
	s_and_saveexec_b32 s12, s0
	s_xor_b32 s0, exec_lo, s12
; %bb.3484:                             ;   in Loop: Header=BB446_1574 Depth=1
	v_bfe_u32 v7, v6, 16, 1
	s_delay_alu instid0(VALU_DEP_1)
	v_add3_u32 v173, v6, v7, 0x7fff
                                        ; implicit-def: $vgpr6
; %bb.3485:                             ;   in Loop: Header=BB446_1574 Depth=1
	s_and_not1_saveexec_b32 s12, s0
; %bb.3486:                             ;   in Loop: Header=BB446_1574 Depth=1
	v_and_b32_e32 v7, 0xffff, v6
	v_or_b32_e32 v173, 0x10000, v6
	s_delay_alu instid0(VALU_DEP_2) | instskip(NEXT) | instid1(VALU_DEP_1)
	v_cmp_eq_u32_e64 s0, 0, v7
	v_cndmask_b32_e64 v173, v173, v6, s0
; %bb.3487:                             ;   in Loop: Header=BB446_1574 Depth=1
	s_or_b32 exec_lo, exec_lo, s12
	v_lshrrev_b16 v7, 8, v9
	v_mov_b32_e32 v6, 0
	s_mov_b32 s12, exec_lo
	s_delay_alu instid0(VALU_DEP_2)
	v_cmpx_ne_u16_e32 0, v7
	s_cbranch_execz .LBB446_3495
; %bb.3488:                             ;   in Loop: Header=BB446_1574 Depth=1
	v_bfrev_b32_e32 v6, 1
	s_mov_b32 s13, exec_lo
	v_cmpx_ne_u16_e32 0x80, v7
	s_cbranch_execz .LBB446_3494
; %bb.3489:                             ;   in Loop: Header=BB446_1574 Depth=1
	v_and_b32_e32 v7, 0xffff, v7
	v_mov_b32_e32 v6, 0x7f800001
	s_mov_b32 s15, exec_lo
	s_delay_alu instid0(VALU_DEP_2) | instskip(NEXT) | instid1(VALU_DEP_1)
	v_and_b32_e32 v175, 0x7f, v7
	v_cmpx_ne_u32_e32 0x7f, v175
	s_cbranch_execz .LBB446_3493
; %bb.3490:                             ;   in Loop: Header=BB446_1574 Depth=1
	v_dual_mov_b32 v7, v10 :: v_dual_and_b32 v6, 7, v7
	v_lshrrev_b32_e32 v174, 3, v175
	s_mov_b32 s16, exec_lo
	v_cmpx_gt_u32_e32 8, v175
; %bb.3491:                             ;   in Loop: Header=BB446_1574 Depth=1
	s_delay_alu instid0(VALU_DEP_3) | instskip(NEXT) | instid1(VALU_DEP_1)
	v_clz_i32_u32_e32 v174, v6
	v_min_u32_e32 v174, 32, v174
	s_delay_alu instid0(VALU_DEP_1) | instskip(SKIP_1) | instid1(VALU_DEP_2)
	v_subrev_nc_u32_e32 v175, 28, v174
	v_sub_nc_u32_e32 v174, 29, v174
	v_lshlrev_b64 v[6:7], v175, v[6:7]
	s_delay_alu instid0(VALU_DEP_1)
	v_and_b32_e32 v6, 7, v6
; %bb.3492:                             ;   in Loop: Header=BB446_1574 Depth=1
	s_or_b32 exec_lo, exec_lo, s16
	v_lshlrev_b32_e32 v7, 16, v9
	s_delay_alu instid0(VALU_DEP_2) | instskip(SKIP_1) | instid1(VALU_DEP_3)
	v_lshlrev_b32_e32 v6, 20, v6
	v_lshl_add_u32 v9, v174, 23, 0x3c000000
	v_and_b32_e32 v7, 0x80000000, v7
	s_delay_alu instid0(VALU_DEP_1)
	v_or3_b32 v6, v6, v7, v9
.LBB446_3493:                           ;   in Loop: Header=BB446_1574 Depth=1
	s_or_b32 exec_lo, exec_lo, s15
.LBB446_3494:                           ;   in Loop: Header=BB446_1574 Depth=1
	s_delay_alu instid0(SALU_CYCLE_1)
	s_or_b32 exec_lo, exec_lo, s13
.LBB446_3495:                           ;   in Loop: Header=BB446_1574 Depth=1
	s_delay_alu instid0(SALU_CYCLE_1) | instskip(NEXT) | instid1(VALU_DEP_1)
	s_or_b32 exec_lo, exec_lo, s12
	v_mul_f32_e32 v6, v8, v6
                                        ; implicit-def: $vgpr174
	s_delay_alu instid0(VALU_DEP_1) | instskip(NEXT) | instid1(VALU_DEP_1)
	v_and_b32_e32 v7, 0x7f800000, v6
	v_cmp_ne_u32_e64 s0, 0x7f800000, v7
	s_delay_alu instid0(VALU_DEP_1) | instskip(NEXT) | instid1(SALU_CYCLE_1)
	s_and_saveexec_b32 s12, s0
	s_xor_b32 s0, exec_lo, s12
; %bb.3496:                             ;   in Loop: Header=BB446_1574 Depth=1
	v_bfe_u32 v7, v6, 16, 1
	s_delay_alu instid0(VALU_DEP_1)
	v_add3_u32 v174, v6, v7, 0x7fff
                                        ; implicit-def: $vgpr6
; %bb.3497:                             ;   in Loop: Header=BB446_1574 Depth=1
	s_and_not1_saveexec_b32 s12, s0
; %bb.3498:                             ;   in Loop: Header=BB446_1574 Depth=1
	v_and_b32_e32 v7, 0xffff, v6
	v_or_b32_e32 v9, 0x10000, v6
	s_delay_alu instid0(VALU_DEP_2) | instskip(NEXT) | instid1(VALU_DEP_1)
	v_cmp_eq_u32_e64 s0, 0, v7
	v_cndmask_b32_e64 v174, v9, v6, s0
; %bb.3499:                             ;   in Loop: Header=BB446_1574 Depth=1
	s_or_b32 exec_lo, exec_lo, s12
	v_lshrrev_b32_e32 v175, 16, v3
	s_mov_b32 s12, exec_lo
	s_delay_alu instid0(VALU_DEP_1) | instskip(NEXT) | instid1(VALU_DEP_1)
	v_dual_mov_b32 v6, 0 :: v_dual_and_b32 v7, 0xff, v175
	v_cmpx_ne_u16_e32 0, v7
	s_cbranch_execz .LBB446_3507
; %bb.3500:                             ;   in Loop: Header=BB446_1574 Depth=1
	v_bfrev_b32_e32 v6, 1
	s_mov_b32 s13, exec_lo
	v_cmpx_ne_u16_e32 0x80, v7
	s_cbranch_execz .LBB446_3506
; %bb.3501:                             ;   in Loop: Header=BB446_1574 Depth=1
	v_bfe_u32 v7, v3, 16, 7
	v_mov_b32_e32 v6, 0x7f800001
	s_mov_b32 s15, exec_lo
	s_delay_alu instid0(VALU_DEP_2)
	v_cmpx_ne_u32_e32 0x7f, v7
	s_cbranch_execz .LBB446_3505
; %bb.3502:                             ;   in Loop: Header=BB446_1574 Depth=1
	v_and_b32_e32 v9, 7, v175
	v_lshrrev_b32_e32 v184, 3, v7
	v_cmp_gt_u32_e64 s0, 8, v7
	s_delay_alu instid0(VALU_DEP_3) | instskip(NEXT) | instid1(VALU_DEP_2)
	v_dual_mov_b32 v6, v9 :: v_dual_mov_b32 v7, v10
	s_and_saveexec_b32 s16, s0
; %bb.3503:                             ;   in Loop: Header=BB446_1574 Depth=1
	v_clz_i32_u32_e32 v6, v9
	s_delay_alu instid0(VALU_DEP_1) | instskip(NEXT) | instid1(VALU_DEP_1)
	v_min_u32_e32 v184, 32, v6
	v_subrev_nc_u32_e32 v6, 28, v184
	v_sub_nc_u32_e32 v184, 29, v184
	s_delay_alu instid0(VALU_DEP_2) | instskip(NEXT) | instid1(VALU_DEP_1)
	v_lshlrev_b64 v[6:7], v6, v[9:10]
	v_and_b32_e32 v6, 7, v6
; %bb.3504:                             ;   in Loop: Header=BB446_1574 Depth=1
	s_or_b32 exec_lo, exec_lo, s16
	v_lshlrev_b32_e32 v7, 24, v175
	s_delay_alu instid0(VALU_DEP_2) | instskip(SKIP_1) | instid1(VALU_DEP_3)
	v_lshlrev_b32_e32 v6, 20, v6
	v_lshl_add_u32 v9, v184, 23, 0x3c000000
	v_and_b32_e32 v7, 0x80000000, v7
	s_delay_alu instid0(VALU_DEP_1)
	v_or3_b32 v6, v6, v7, v9
.LBB446_3505:                           ;   in Loop: Header=BB446_1574 Depth=1
	s_or_b32 exec_lo, exec_lo, s15
.LBB446_3506:                           ;   in Loop: Header=BB446_1574 Depth=1
	s_delay_alu instid0(SALU_CYCLE_1)
	s_or_b32 exec_lo, exec_lo, s13
.LBB446_3507:                           ;   in Loop: Header=BB446_1574 Depth=1
	s_delay_alu instid0(SALU_CYCLE_1) | instskip(NEXT) | instid1(VALU_DEP_1)
	s_or_b32 exec_lo, exec_lo, s12
	v_mul_f32_e32 v7, v8, v6
	s_delay_alu instid0(VALU_DEP_1) | instskip(NEXT) | instid1(VALU_DEP_1)
	v_and_b32_e32 v6, 0x7f800000, v7
	v_cmp_ne_u32_e64 s0, 0x7f800000, v6
                                        ; implicit-def: $vgpr6
	s_delay_alu instid0(VALU_DEP_1) | instskip(NEXT) | instid1(SALU_CYCLE_1)
	s_and_saveexec_b32 s12, s0
	s_xor_b32 s0, exec_lo, s12
; %bb.3508:                             ;   in Loop: Header=BB446_1574 Depth=1
	v_bfe_u32 v6, v7, 16, 1
	s_delay_alu instid0(VALU_DEP_1)
	v_add3_u32 v6, v7, v6, 0x7fff
                                        ; implicit-def: $vgpr7
; %bb.3509:                             ;   in Loop: Header=BB446_1574 Depth=1
	s_and_not1_saveexec_b32 s12, s0
; %bb.3510:                             ;   in Loop: Header=BB446_1574 Depth=1
	v_and_b32_e32 v6, 0xffff, v7
	v_or_b32_e32 v9, 0x10000, v7
	s_delay_alu instid0(VALU_DEP_2) | instskip(NEXT) | instid1(VALU_DEP_1)
	v_cmp_eq_u32_e64 s0, 0, v6
	v_cndmask_b32_e64 v6, v9, v7, s0
; %bb.3511:                             ;   in Loop: Header=BB446_1574 Depth=1
	s_or_b32 exec_lo, exec_lo, s12
	v_cmp_lt_u64_e64 s0, s[8:9], v[2:3]
	v_mov_b32_e32 v2, 0
	s_delay_alu instid0(VALU_DEP_2)
	s_and_saveexec_b32 s12, s0
	s_cbranch_execz .LBB446_3519
; %bb.3512:                             ;   in Loop: Header=BB446_1574 Depth=1
	v_lshrrev_b32_e32 v7, 24, v3
	v_bfrev_b32_e32 v2, 1
	s_mov_b32 s13, exec_lo
	s_delay_alu instid0(VALU_DEP_2)
	v_cmpx_ne_u32_e32 0x80, v7
	s_cbranch_execz .LBB446_3518
; %bb.3513:                             ;   in Loop: Header=BB446_1574 Depth=1
	v_bfe_u32 v3, v3, 24, 7
	v_mov_b32_e32 v2, 0x7f800001
	s_mov_b32 s15, exec_lo
	s_delay_alu instid0(VALU_DEP_2)
	v_cmpx_ne_u32_e32 0x7f, v3
	s_cbranch_execz .LBB446_3517
; %bb.3514:                             ;   in Loop: Header=BB446_1574 Depth=1
	v_and_b32_e32 v9, 7, v7
	v_lshrrev_b32_e32 v175, 3, v3
	v_cmp_gt_u32_e64 s0, 8, v3
	s_delay_alu instid0(VALU_DEP_3) | instskip(NEXT) | instid1(VALU_DEP_2)
	v_dual_mov_b32 v2, v9 :: v_dual_mov_b32 v3, v10
	s_and_saveexec_b32 s16, s0
; %bb.3515:                             ;   in Loop: Header=BB446_1574 Depth=1
	v_clz_i32_u32_e32 v2, v9
	s_delay_alu instid0(VALU_DEP_1) | instskip(NEXT) | instid1(VALU_DEP_1)
	v_min_u32_e32 v175, 32, v2
	v_subrev_nc_u32_e32 v2, 28, v175
	v_sub_nc_u32_e32 v175, 29, v175
	s_delay_alu instid0(VALU_DEP_2) | instskip(NEXT) | instid1(VALU_DEP_1)
	v_lshlrev_b64 v[2:3], v2, v[9:10]
	v_and_b32_e32 v2, 7, v2
; %bb.3516:                             ;   in Loop: Header=BB446_1574 Depth=1
	s_or_b32 exec_lo, exec_lo, s16
	v_lshlrev_b32_e32 v3, 24, v7
	s_delay_alu instid0(VALU_DEP_2) | instskip(SKIP_1) | instid1(VALU_DEP_3)
	v_lshlrev_b32_e32 v2, 20, v2
	v_lshl_add_u32 v7, v175, 23, 0x3c000000
	v_and_b32_e32 v3, 0x80000000, v3
	s_delay_alu instid0(VALU_DEP_1)
	v_or3_b32 v2, v2, v3, v7
.LBB446_3517:                           ;   in Loop: Header=BB446_1574 Depth=1
	s_or_b32 exec_lo, exec_lo, s15
.LBB446_3518:                           ;   in Loop: Header=BB446_1574 Depth=1
	s_delay_alu instid0(SALU_CYCLE_1)
	s_or_b32 exec_lo, exec_lo, s13
.LBB446_3519:                           ;   in Loop: Header=BB446_1574 Depth=1
	s_delay_alu instid0(SALU_CYCLE_1) | instskip(NEXT) | instid1(VALU_DEP_1)
	s_or_b32 exec_lo, exec_lo, s12
	v_mul_f32_e32 v3, v8, v2
	s_delay_alu instid0(VALU_DEP_1) | instskip(NEXT) | instid1(VALU_DEP_1)
	v_and_b32_e32 v2, 0x7f800000, v3
	v_cmp_ne_u32_e64 s0, 0x7f800000, v2
                                        ; implicit-def: $vgpr2
	s_delay_alu instid0(VALU_DEP_1) | instskip(NEXT) | instid1(SALU_CYCLE_1)
	s_and_saveexec_b32 s12, s0
	s_xor_b32 s0, exec_lo, s12
; %bb.3520:                             ;   in Loop: Header=BB446_1574 Depth=1
	v_bfe_u32 v2, v3, 16, 1
	s_delay_alu instid0(VALU_DEP_1)
	v_add3_u32 v2, v3, v2, 0x7fff
                                        ; implicit-def: $vgpr3
; %bb.3521:                             ;   in Loop: Header=BB446_1574 Depth=1
	s_and_not1_saveexec_b32 s12, s0
; %bb.3522:                             ;   in Loop: Header=BB446_1574 Depth=1
	v_and_b32_e32 v2, 0xffff, v3
	v_or_b32_e32 v7, 0x10000, v3
	s_delay_alu instid0(VALU_DEP_2) | instskip(NEXT) | instid1(VALU_DEP_1)
	v_cmp_eq_u32_e64 s0, 0, v2
	v_cndmask_b32_e64 v2, v7, v3, s0
; %bb.3523:                             ;   in Loop: Header=BB446_1574 Depth=1
	s_or_b32 exec_lo, exec_lo, s12
	v_lshrrev_b32_e32 v9, 16, v174
	v_lshrrev_b32_e32 v173, 16, v173
	;; [unrolled: 1-line block ×8, first 2 shown]
	s_and_saveexec_b32 s12, vcc_lo
	s_cbranch_execz .LBB446_3525
; %bb.3524:                             ;   in Loop: Header=BB446_1574 Depth=1
	v_cmp_lt_i32_e64 s0, v86, v38
	s_delay_alu instid0(VALU_DEP_1) | instskip(SKIP_1) | instid1(VALU_DEP_1)
	v_cndmask_b32_e64 v169, 0, v169, s0
	v_cmp_lt_i32_e64 s0, v101, v38
	v_cndmask_b32_e64 v7, 0, v7, s0
	v_cmp_lt_i32_e64 s0, v100, v38
	s_delay_alu instid0(VALU_DEP_1) | instskip(SKIP_1) | instid1(VALU_DEP_1)
	v_cndmask_b32_e64 v171, 0, v171, s0
	v_cmp_lt_i32_e64 s0, v99, v38
	v_cndmask_b32_e64 v172, 0, v172, s0
	;; [unrolled: 5-line block ×4, first 2 shown]
.LBB446_3525:                           ;   in Loop: Header=BB446_1574 Depth=1
	s_or_b32 exec_lo, exec_lo, s12
	v_lshlrev_b32_e32 v6, 16, v169
	s_delay_alu instid0(VALU_DEP_1) | instskip(NEXT) | instid1(VALU_DEP_1)
	v_mul_f32_e32 v169, v102, v6
	v_and_b32_e32 v6, 0x7f800000, v169
	s_delay_alu instid0(VALU_DEP_1) | instskip(NEXT) | instid1(VALU_DEP_1)
	v_cmp_ne_u32_e64 s0, 0x7f800000, v6
                                        ; implicit-def: $vgpr6
	s_and_saveexec_b32 s12, s0
	s_delay_alu instid0(SALU_CYCLE_1)
	s_xor_b32 s0, exec_lo, s12
; %bb.3526:                             ;   in Loop: Header=BB446_1574 Depth=1
	v_bfe_u32 v6, v169, 16, 1
	s_delay_alu instid0(VALU_DEP_1)
	v_add3_u32 v6, v169, v6, 0x7fff
                                        ; implicit-def: $vgpr169
; %bb.3527:                             ;   in Loop: Header=BB446_1574 Depth=1
	s_and_not1_saveexec_b32 s12, s0
; %bb.3528:                             ;   in Loop: Header=BB446_1574 Depth=1
	v_and_b32_e32 v6, 0xffff, v169
	v_or_b32_e32 v170, 0x10000, v169
	s_delay_alu instid0(VALU_DEP_2) | instskip(NEXT) | instid1(VALU_DEP_1)
	v_cmp_eq_u32_e64 s0, 0, v6
	v_cndmask_b32_e64 v6, v170, v169, s0
; %bb.3529:                             ;   in Loop: Header=BB446_1574 Depth=1
	s_or_b32 exec_lo, exec_lo, s12
	v_lshlrev_b32_e32 v7, 16, v7
	s_delay_alu instid0(VALU_DEP_1) | instskip(NEXT) | instid1(VALU_DEP_1)
	v_mul_f32_e32 v169, v103, v7
	v_and_b32_e32 v7, 0x7f800000, v169
	s_delay_alu instid0(VALU_DEP_1) | instskip(NEXT) | instid1(VALU_DEP_1)
	v_cmp_ne_u32_e64 s0, 0x7f800000, v7
                                        ; implicit-def: $vgpr7
	s_and_saveexec_b32 s12, s0
	s_delay_alu instid0(SALU_CYCLE_1)
	s_xor_b32 s0, exec_lo, s12
; %bb.3530:                             ;   in Loop: Header=BB446_1574 Depth=1
	v_bfe_u32 v7, v169, 16, 1
	s_delay_alu instid0(VALU_DEP_1)
	v_add3_u32 v7, v169, v7, 0x7fff
                                        ; implicit-def: $vgpr169
; %bb.3531:                             ;   in Loop: Header=BB446_1574 Depth=1
	s_and_not1_saveexec_b32 s12, s0
; %bb.3532:                             ;   in Loop: Header=BB446_1574 Depth=1
	v_and_b32_e32 v7, 0xffff, v169
	v_or_b32_e32 v170, 0x10000, v169
	s_delay_alu instid0(VALU_DEP_2) | instskip(NEXT) | instid1(VALU_DEP_1)
	v_cmp_eq_u32_e64 s0, 0, v7
	v_cndmask_b32_e64 v7, v170, v169, s0
; %bb.3533:                             ;   in Loop: Header=BB446_1574 Depth=1
	s_or_b32 exec_lo, exec_lo, s12
	v_lshlrev_b32_e32 v169, 16, v171
	s_delay_alu instid0(VALU_DEP_1) | instskip(NEXT) | instid1(VALU_DEP_1)
	v_mul_f32_e32 v170, v112, v169
	v_and_b32_e32 v169, 0x7f800000, v170
	s_delay_alu instid0(VALU_DEP_1) | instskip(NEXT) | instid1(VALU_DEP_1)
	v_cmp_ne_u32_e64 s0, 0x7f800000, v169
                                        ; implicit-def: $vgpr169
	s_and_saveexec_b32 s12, s0
	s_delay_alu instid0(SALU_CYCLE_1)
	s_xor_b32 s0, exec_lo, s12
; %bb.3534:                             ;   in Loop: Header=BB446_1574 Depth=1
	v_bfe_u32 v169, v170, 16, 1
	s_delay_alu instid0(VALU_DEP_1)
	v_add3_u32 v169, v170, v169, 0x7fff
                                        ; implicit-def: $vgpr170
; %bb.3535:                             ;   in Loop: Header=BB446_1574 Depth=1
	s_and_not1_saveexec_b32 s12, s0
; %bb.3536:                             ;   in Loop: Header=BB446_1574 Depth=1
	v_and_b32_e32 v169, 0xffff, v170
	v_or_b32_e32 v171, 0x10000, v170
	s_delay_alu instid0(VALU_DEP_2) | instskip(NEXT) | instid1(VALU_DEP_1)
	v_cmp_eq_u32_e64 s0, 0, v169
	v_cndmask_b32_e64 v169, v171, v170, s0
; %bb.3537:                             ;   in Loop: Header=BB446_1574 Depth=1
	s_or_b32 exec_lo, exec_lo, s12
	v_lshlrev_b32_e32 v170, 16, v172
	s_delay_alu instid0(VALU_DEP_1) | instskip(NEXT) | instid1(VALU_DEP_1)
	v_mul_f32_e32 v171, v113, v170
	v_and_b32_e32 v170, 0x7f800000, v171
	s_delay_alu instid0(VALU_DEP_1) | instskip(NEXT) | instid1(VALU_DEP_1)
	v_cmp_ne_u32_e64 s0, 0x7f800000, v170
                                        ; implicit-def: $vgpr170
	s_and_saveexec_b32 s12, s0
	s_delay_alu instid0(SALU_CYCLE_1)
	s_xor_b32 s0, exec_lo, s12
; %bb.3538:                             ;   in Loop: Header=BB446_1574 Depth=1
	v_bfe_u32 v170, v171, 16, 1
	s_delay_alu instid0(VALU_DEP_1)
	v_add3_u32 v170, v171, v170, 0x7fff
                                        ; implicit-def: $vgpr171
; %bb.3539:                             ;   in Loop: Header=BB446_1574 Depth=1
	s_and_not1_saveexec_b32 s12, s0
; %bb.3540:                             ;   in Loop: Header=BB446_1574 Depth=1
	v_and_b32_e32 v170, 0xffff, v171
	v_or_b32_e32 v172, 0x10000, v171
	s_delay_alu instid0(VALU_DEP_2) | instskip(NEXT) | instid1(VALU_DEP_1)
	v_cmp_eq_u32_e64 s0, 0, v170
	v_cndmask_b32_e64 v170, v172, v171, s0
; %bb.3541:                             ;   in Loop: Header=BB446_1574 Depth=1
	s_or_b32 exec_lo, exec_lo, s12
	v_lshlrev_b32_e32 v171, 16, v173
	s_delay_alu instid0(VALU_DEP_1) | instskip(NEXT) | instid1(VALU_DEP_1)
	v_mul_f32_e32 v172, v114, v171
	v_and_b32_e32 v171, 0x7f800000, v172
	s_delay_alu instid0(VALU_DEP_1) | instskip(NEXT) | instid1(VALU_DEP_1)
	v_cmp_ne_u32_e64 s0, 0x7f800000, v171
                                        ; implicit-def: $vgpr171
	s_and_saveexec_b32 s12, s0
	s_delay_alu instid0(SALU_CYCLE_1)
	s_xor_b32 s0, exec_lo, s12
; %bb.3542:                             ;   in Loop: Header=BB446_1574 Depth=1
	v_bfe_u32 v171, v172, 16, 1
	s_delay_alu instid0(VALU_DEP_1)
	v_add3_u32 v171, v172, v171, 0x7fff
                                        ; implicit-def: $vgpr172
; %bb.3543:                             ;   in Loop: Header=BB446_1574 Depth=1
	s_and_not1_saveexec_b32 s12, s0
; %bb.3544:                             ;   in Loop: Header=BB446_1574 Depth=1
	v_and_b32_e32 v171, 0xffff, v172
	v_or_b32_e32 v173, 0x10000, v172
	s_delay_alu instid0(VALU_DEP_2) | instskip(NEXT) | instid1(VALU_DEP_1)
	v_cmp_eq_u32_e64 s0, 0, v171
	v_cndmask_b32_e64 v171, v173, v172, s0
; %bb.3545:                             ;   in Loop: Header=BB446_1574 Depth=1
	s_or_b32 exec_lo, exec_lo, s12
	v_lshlrev_b32_e32 v9, 16, v9
	s_delay_alu instid0(VALU_DEP_1) | instskip(NEXT) | instid1(VALU_DEP_1)
	v_mul_f32_e32 v9, v115, v9
	v_and_b32_e32 v172, 0x7f800000, v9
	s_delay_alu instid0(VALU_DEP_1) | instskip(NEXT) | instid1(VALU_DEP_1)
	v_cmp_ne_u32_e64 s0, 0x7f800000, v172
                                        ; implicit-def: $vgpr172
	s_and_saveexec_b32 s12, s0
	s_delay_alu instid0(SALU_CYCLE_1)
	s_xor_b32 s0, exec_lo, s12
; %bb.3546:                             ;   in Loop: Header=BB446_1574 Depth=1
	v_bfe_u32 v172, v9, 16, 1
	s_delay_alu instid0(VALU_DEP_1)
	v_add3_u32 v172, v9, v172, 0x7fff
                                        ; implicit-def: $vgpr9
; %bb.3547:                             ;   in Loop: Header=BB446_1574 Depth=1
	s_and_not1_saveexec_b32 s12, s0
; %bb.3548:                             ;   in Loop: Header=BB446_1574 Depth=1
	v_and_b32_e32 v172, 0xffff, v9
	v_or_b32_e32 v173, 0x10000, v9
	s_delay_alu instid0(VALU_DEP_2) | instskip(NEXT) | instid1(VALU_DEP_1)
	v_cmp_eq_u32_e64 s0, 0, v172
	v_cndmask_b32_e64 v172, v173, v9, s0
; %bb.3549:                             ;   in Loop: Header=BB446_1574 Depth=1
	s_or_b32 exec_lo, exec_lo, s12
	v_lshlrev_b32_e32 v3, 16, v3
                                        ; implicit-def: $vgpr173
	s_delay_alu instid0(VALU_DEP_1) | instskip(NEXT) | instid1(VALU_DEP_1)
	v_mul_f32_e32 v3, v116, v3
	v_and_b32_e32 v9, 0x7f800000, v3
	s_delay_alu instid0(VALU_DEP_1) | instskip(NEXT) | instid1(VALU_DEP_1)
	v_cmp_ne_u32_e64 s0, 0x7f800000, v9
	s_and_saveexec_b32 s12, s0
	s_delay_alu instid0(SALU_CYCLE_1)
	s_xor_b32 s0, exec_lo, s12
; %bb.3550:                             ;   in Loop: Header=BB446_1574 Depth=1
	v_bfe_u32 v9, v3, 16, 1
	s_delay_alu instid0(VALU_DEP_1)
	v_add3_u32 v173, v3, v9, 0x7fff
                                        ; implicit-def: $vgpr3
; %bb.3551:                             ;   in Loop: Header=BB446_1574 Depth=1
	s_and_not1_saveexec_b32 s12, s0
; %bb.3552:                             ;   in Loop: Header=BB446_1574 Depth=1
	v_and_b32_e32 v9, 0xffff, v3
	v_or_b32_e32 v173, 0x10000, v3
	s_delay_alu instid0(VALU_DEP_2) | instskip(NEXT) | instid1(VALU_DEP_1)
	v_cmp_eq_u32_e64 s0, 0, v9
	v_cndmask_b32_e64 v173, v173, v3, s0
; %bb.3553:                             ;   in Loop: Header=BB446_1574 Depth=1
	s_or_b32 exec_lo, exec_lo, s12
	v_lshlrev_b32_e32 v2, 16, v2
                                        ; implicit-def: $vgpr174
	s_delay_alu instid0(VALU_DEP_1) | instskip(NEXT) | instid1(VALU_DEP_1)
	v_mul_f32_e32 v2, v117, v2
	v_and_b32_e32 v3, 0x7f800000, v2
	s_delay_alu instid0(VALU_DEP_1) | instskip(NEXT) | instid1(VALU_DEP_1)
	v_cmp_ne_u32_e64 s0, 0x7f800000, v3
	s_and_saveexec_b32 s12, s0
	s_delay_alu instid0(SALU_CYCLE_1)
	s_xor_b32 s0, exec_lo, s12
; %bb.3554:                             ;   in Loop: Header=BB446_1574 Depth=1
	v_bfe_u32 v3, v2, 16, 1
	s_delay_alu instid0(VALU_DEP_1)
	v_add3_u32 v174, v2, v3, 0x7fff
                                        ; implicit-def: $vgpr2
; %bb.3555:                             ;   in Loop: Header=BB446_1574 Depth=1
	s_and_not1_saveexec_b32 s12, s0
; %bb.3556:                             ;   in Loop: Header=BB446_1574 Depth=1
	v_and_b32_e32 v3, 0xffff, v2
	v_or_b32_e32 v9, 0x10000, v2
	s_delay_alu instid0(VALU_DEP_2) | instskip(NEXT) | instid1(VALU_DEP_1)
	v_cmp_eq_u32_e64 s0, 0, v3
	v_cndmask_b32_e64 v174, v9, v2, s0
; %bb.3557:                             ;   in Loop: Header=BB446_1574 Depth=1
	s_or_b32 exec_lo, exec_lo, s12
	flat_load_b64 v[0:1], v[0:1] offset:3840
	s_mov_b32 s12, exec_lo
	s_waitcnt vmcnt(0) lgkmcnt(0)
	v_dual_mov_b32 v2, 0 :: v_dual_and_b32 v3, 0xff, v0
	s_delay_alu instid0(VALU_DEP_1)
	v_cmpx_ne_u16_e32 0, v3
	s_cbranch_execz .LBB446_3565
; %bb.3558:                             ;   in Loop: Header=BB446_1574 Depth=1
	v_bfrev_b32_e32 v2, 1
	s_mov_b32 s13, exec_lo
	v_cmpx_ne_u16_e32 0x80, v3
	s_cbranch_execz .LBB446_3564
; %bb.3559:                             ;   in Loop: Header=BB446_1574 Depth=1
	v_and_b32_e32 v3, 0x7f, v0
	v_mov_b32_e32 v2, 0x7f800001
	s_mov_b32 s15, exec_lo
	s_delay_alu instid0(VALU_DEP_2)
	v_cmpx_ne_u32_e32 0x7f, v3
	s_cbranch_execz .LBB446_3563
; %bb.3560:                             ;   in Loop: Header=BB446_1574 Depth=1
	v_lshrrev_b32_e32 v9, 3, v3
	v_cmp_gt_u32_e64 s0, 8, v3
	v_dual_mov_b32 v3, v1 :: v_dual_mov_b32 v2, v0
	s_delay_alu instid0(VALU_DEP_2)
	s_and_saveexec_b32 s16, s0
; %bb.3561:                             ;   in Loop: Header=BB446_1574 Depth=1
	v_and_b32_e32 v2, 7, v0
	s_delay_alu instid0(VALU_DEP_1) | instskip(NEXT) | instid1(VALU_DEP_1)
	v_clz_i32_u32_e32 v2, v2
	v_min_u32_e32 v9, 32, v2
	s_delay_alu instid0(VALU_DEP_1) | instskip(SKIP_1) | instid1(VALU_DEP_2)
	v_subrev_nc_u32_e32 v2, 28, v9
	v_sub_nc_u32_e32 v9, 29, v9
	v_lshlrev_b64 v[2:3], v2, v[0:1]
; %bb.3562:                             ;   in Loop: Header=BB446_1574 Depth=1
	s_or_b32 exec_lo, exec_lo, s16
	s_delay_alu instid0(VALU_DEP_1) | instskip(SKIP_2) | instid1(VALU_DEP_3)
	v_lshlrev_b32_e32 v2, 20, v2
	v_lshlrev_b32_e32 v3, 24, v0
	v_lshl_add_u32 v9, v9, 23, 0x3c000000
	v_and_b32_e32 v2, 0x700000, v2
	s_delay_alu instid0(VALU_DEP_3) | instskip(NEXT) | instid1(VALU_DEP_1)
	v_and_b32_e32 v3, 0x80000000, v3
	v_or3_b32 v2, v2, v3, v9
.LBB446_3563:                           ;   in Loop: Header=BB446_1574 Depth=1
	s_or_b32 exec_lo, exec_lo, s15
.LBB446_3564:                           ;   in Loop: Header=BB446_1574 Depth=1
	s_delay_alu instid0(SALU_CYCLE_1)
	s_or_b32 exec_lo, exec_lo, s13
.LBB446_3565:                           ;   in Loop: Header=BB446_1574 Depth=1
	s_delay_alu instid0(SALU_CYCLE_1) | instskip(NEXT) | instid1(VALU_DEP_1)
	s_or_b32 exec_lo, exec_lo, s12
	v_mul_f32_e32 v2, v8, v2
                                        ; implicit-def: $vgpr175
	s_delay_alu instid0(VALU_DEP_1) | instskip(NEXT) | instid1(VALU_DEP_1)
	v_and_b32_e32 v3, 0x7f800000, v2
	v_cmp_ne_u32_e64 s0, 0x7f800000, v3
	s_delay_alu instid0(VALU_DEP_1) | instskip(NEXT) | instid1(SALU_CYCLE_1)
	s_and_saveexec_b32 s12, s0
	s_xor_b32 s0, exec_lo, s12
; %bb.3566:                             ;   in Loop: Header=BB446_1574 Depth=1
	v_bfe_u32 v3, v2, 16, 1
	s_delay_alu instid0(VALU_DEP_1)
	v_add3_u32 v175, v2, v3, 0x7fff
                                        ; implicit-def: $vgpr2
; %bb.3567:                             ;   in Loop: Header=BB446_1574 Depth=1
	s_and_not1_saveexec_b32 s12, s0
; %bb.3568:                             ;   in Loop: Header=BB446_1574 Depth=1
	v_and_b32_e32 v3, 0xffff, v2
	v_or_b32_e32 v9, 0x10000, v2
	s_delay_alu instid0(VALU_DEP_2) | instskip(NEXT) | instid1(VALU_DEP_1)
	v_cmp_eq_u32_e64 s0, 0, v3
	v_cndmask_b32_e64 v175, v9, v2, s0
; %bb.3569:                             ;   in Loop: Header=BB446_1574 Depth=1
	s_or_b32 exec_lo, exec_lo, s12
	v_lshrrev_b16 v3, 8, v0
	v_mov_b32_e32 v2, 0
	s_mov_b32 s12, exec_lo
	s_delay_alu instid0(VALU_DEP_2)
	v_cmpx_ne_u16_e32 0, v3
	s_cbranch_execz .LBB446_3577
; %bb.3570:                             ;   in Loop: Header=BB446_1574 Depth=1
	v_bfrev_b32_e32 v2, 1
	s_mov_b32 s13, exec_lo
	v_cmpx_ne_u16_e32 0x80, v3
	s_cbranch_execz .LBB446_3576
; %bb.3571:                             ;   in Loop: Header=BB446_1574 Depth=1
	v_and_b32_e32 v3, 0xffff, v3
	v_mov_b32_e32 v2, 0x7f800001
	s_mov_b32 s15, exec_lo
	s_delay_alu instid0(VALU_DEP_2) | instskip(NEXT) | instid1(VALU_DEP_1)
	v_and_b32_e32 v185, 0x7f, v3
	v_cmpx_ne_u32_e32 0x7f, v185
	s_cbranch_execz .LBB446_3575
; %bb.3572:                             ;   in Loop: Header=BB446_1574 Depth=1
	v_and_b32_e32 v9, 7, v3
	v_lshrrev_b32_e32 v184, 3, v185
	s_mov_b32 s16, exec_lo
	s_delay_alu instid0(VALU_DEP_2)
	v_dual_mov_b32 v2, v9 :: v_dual_mov_b32 v3, v10
	v_cmpx_gt_u32_e32 8, v185
; %bb.3573:                             ;   in Loop: Header=BB446_1574 Depth=1
	v_clz_i32_u32_e32 v2, v9
	s_delay_alu instid0(VALU_DEP_1) | instskip(NEXT) | instid1(VALU_DEP_1)
	v_min_u32_e32 v184, 32, v2
	v_subrev_nc_u32_e32 v2, 28, v184
	v_sub_nc_u32_e32 v184, 29, v184
	s_delay_alu instid0(VALU_DEP_2) | instskip(NEXT) | instid1(VALU_DEP_1)
	v_lshlrev_b64 v[2:3], v2, v[9:10]
	v_and_b32_e32 v2, 7, v2
; %bb.3574:                             ;   in Loop: Header=BB446_1574 Depth=1
	s_or_b32 exec_lo, exec_lo, s16
	v_lshlrev_b32_e32 v3, 16, v0
	s_delay_alu instid0(VALU_DEP_2) | instskip(SKIP_1) | instid1(VALU_DEP_3)
	v_lshlrev_b32_e32 v2, 20, v2
	v_lshl_add_u32 v9, v184, 23, 0x3c000000
	v_and_b32_e32 v3, 0x80000000, v3
	s_delay_alu instid0(VALU_DEP_1)
	v_or3_b32 v2, v2, v3, v9
.LBB446_3575:                           ;   in Loop: Header=BB446_1574 Depth=1
	s_or_b32 exec_lo, exec_lo, s15
.LBB446_3576:                           ;   in Loop: Header=BB446_1574 Depth=1
	s_delay_alu instid0(SALU_CYCLE_1)
	s_or_b32 exec_lo, exec_lo, s13
.LBB446_3577:                           ;   in Loop: Header=BB446_1574 Depth=1
	s_delay_alu instid0(SALU_CYCLE_1) | instskip(NEXT) | instid1(VALU_DEP_1)
	s_or_b32 exec_lo, exec_lo, s12
	v_mul_f32_e32 v2, v8, v2
                                        ; implicit-def: $vgpr184
	s_delay_alu instid0(VALU_DEP_1) | instskip(NEXT) | instid1(VALU_DEP_1)
	v_and_b32_e32 v3, 0x7f800000, v2
	v_cmp_ne_u32_e64 s0, 0x7f800000, v3
	s_delay_alu instid0(VALU_DEP_1) | instskip(NEXT) | instid1(SALU_CYCLE_1)
	s_and_saveexec_b32 s12, s0
	s_xor_b32 s0, exec_lo, s12
; %bb.3578:                             ;   in Loop: Header=BB446_1574 Depth=1
	v_bfe_u32 v3, v2, 16, 1
	s_delay_alu instid0(VALU_DEP_1)
	v_add3_u32 v184, v2, v3, 0x7fff
                                        ; implicit-def: $vgpr2
; %bb.3579:                             ;   in Loop: Header=BB446_1574 Depth=1
	s_and_not1_saveexec_b32 s12, s0
; %bb.3580:                             ;   in Loop: Header=BB446_1574 Depth=1
	v_and_b32_e32 v3, 0xffff, v2
	v_or_b32_e32 v9, 0x10000, v2
	s_delay_alu instid0(VALU_DEP_2) | instskip(NEXT) | instid1(VALU_DEP_1)
	v_cmp_eq_u32_e64 s0, 0, v3
	v_cndmask_b32_e64 v184, v9, v2, s0
; %bb.3581:                             ;   in Loop: Header=BB446_1574 Depth=1
	s_or_b32 exec_lo, exec_lo, s12
	v_lshrrev_b32_e32 v185, 16, v0
	s_mov_b32 s12, exec_lo
	s_delay_alu instid0(VALU_DEP_1) | instskip(NEXT) | instid1(VALU_DEP_1)
	v_dual_mov_b32 v2, 0 :: v_dual_and_b32 v3, 0xff, v185
	v_cmpx_ne_u16_e32 0, v3
	s_cbranch_execz .LBB446_3589
; %bb.3582:                             ;   in Loop: Header=BB446_1574 Depth=1
	v_bfrev_b32_e32 v2, 1
	s_mov_b32 s13, exec_lo
	v_cmpx_ne_u16_e32 0x80, v3
	s_cbranch_execz .LBB446_3588
; %bb.3583:                             ;   in Loop: Header=BB446_1574 Depth=1
	v_bfe_u32 v186, v0, 16, 7
	v_mov_b32_e32 v2, 0x7f800001
	s_mov_b32 s15, exec_lo
	s_delay_alu instid0(VALU_DEP_2)
	v_cmpx_ne_u32_e32 0x7f, v186
	s_cbranch_execz .LBB446_3587
; %bb.3584:                             ;   in Loop: Header=BB446_1574 Depth=1
	v_and_b32_e32 v9, 7, v185
	s_mov_b32 s16, exec_lo
	s_delay_alu instid0(VALU_DEP_1)
	v_dual_mov_b32 v2, v9 :: v_dual_mov_b32 v3, v10
	v_lshrrev_b32_e32 v3, 3, v186
	v_cmpx_gt_u32_e32 8, v186
; %bb.3585:                             ;   in Loop: Header=BB446_1574 Depth=1
	v_clz_i32_u32_e32 v2, v9
	s_delay_alu instid0(VALU_DEP_1) | instskip(NEXT) | instid1(VALU_DEP_1)
	v_min_u32_e32 v186, 32, v2
	v_subrev_nc_u32_e32 v2, 28, v186
	s_delay_alu instid0(VALU_DEP_1) | instskip(SKIP_1) | instid1(VALU_DEP_2)
	v_lshlrev_b64 v[2:3], v2, v[9:10]
	v_sub_nc_u32_e32 v3, 29, v186
	v_and_b32_e32 v2, 7, v2
; %bb.3586:                             ;   in Loop: Header=BB446_1574 Depth=1
	s_or_b32 exec_lo, exec_lo, s16
	v_lshlrev_b32_e32 v9, 24, v185
	s_delay_alu instid0(VALU_DEP_2) | instskip(SKIP_1) | instid1(VALU_DEP_3)
	v_lshlrev_b32_e32 v2, 20, v2
	v_lshl_add_u32 v3, v3, 23, 0x3c000000
	v_and_b32_e32 v9, 0x80000000, v9
	s_delay_alu instid0(VALU_DEP_1)
	v_or3_b32 v2, v2, v9, v3
.LBB446_3587:                           ;   in Loop: Header=BB446_1574 Depth=1
	s_or_b32 exec_lo, exec_lo, s15
.LBB446_3588:                           ;   in Loop: Header=BB446_1574 Depth=1
	s_delay_alu instid0(SALU_CYCLE_1)
	s_or_b32 exec_lo, exec_lo, s13
.LBB446_3589:                           ;   in Loop: Header=BB446_1574 Depth=1
	s_delay_alu instid0(SALU_CYCLE_1) | instskip(NEXT) | instid1(VALU_DEP_1)
	s_or_b32 exec_lo, exec_lo, s12
	v_mul_f32_e32 v2, v8, v2
                                        ; implicit-def: $vgpr185
	s_delay_alu instid0(VALU_DEP_1) | instskip(NEXT) | instid1(VALU_DEP_1)
	v_and_b32_e32 v3, 0x7f800000, v2
	v_cmp_ne_u32_e64 s0, 0x7f800000, v3
	s_delay_alu instid0(VALU_DEP_1) | instskip(NEXT) | instid1(SALU_CYCLE_1)
	s_and_saveexec_b32 s12, s0
	s_xor_b32 s0, exec_lo, s12
; %bb.3590:                             ;   in Loop: Header=BB446_1574 Depth=1
	v_bfe_u32 v3, v2, 16, 1
	s_delay_alu instid0(VALU_DEP_1)
	v_add3_u32 v185, v2, v3, 0x7fff
                                        ; implicit-def: $vgpr2
; %bb.3591:                             ;   in Loop: Header=BB446_1574 Depth=1
	s_and_not1_saveexec_b32 s12, s0
; %bb.3592:                             ;   in Loop: Header=BB446_1574 Depth=1
	v_and_b32_e32 v3, 0xffff, v2
	v_or_b32_e32 v9, 0x10000, v2
	s_delay_alu instid0(VALU_DEP_2) | instskip(NEXT) | instid1(VALU_DEP_1)
	v_cmp_eq_u32_e64 s0, 0, v3
	v_cndmask_b32_e64 v185, v9, v2, s0
; %bb.3593:                             ;   in Loop: Header=BB446_1574 Depth=1
	s_or_b32 exec_lo, exec_lo, s12
	v_mov_b32_e32 v2, 0
	s_mov_b32 s12, exec_lo
	v_cmpx_lt_u32_e32 0xffffff, v0
	s_cbranch_execz .LBB446_3601
; %bb.3594:                             ;   in Loop: Header=BB446_1574 Depth=1
	v_lshrrev_b32_e32 v186, 24, v0
	v_bfrev_b32_e32 v2, 1
	s_mov_b32 s13, exec_lo
	s_delay_alu instid0(VALU_DEP_2)
	v_cmpx_ne_u32_e32 0x80, v186
	s_cbranch_execz .LBB446_3600
; %bb.3595:                             ;   in Loop: Header=BB446_1574 Depth=1
	v_bfe_u32 v187, v0, 24, 7
	v_mov_b32_e32 v2, 0x7f800001
	s_mov_b32 s15, exec_lo
	s_delay_alu instid0(VALU_DEP_2)
	v_cmpx_ne_u32_e32 0x7f, v187
	s_cbranch_execz .LBB446_3599
; %bb.3596:                             ;   in Loop: Header=BB446_1574 Depth=1
	v_and_b32_e32 v9, 7, v186
	s_mov_b32 s16, exec_lo
	s_delay_alu instid0(VALU_DEP_1)
	v_dual_mov_b32 v2, v9 :: v_dual_mov_b32 v3, v10
	v_lshrrev_b32_e32 v3, 3, v187
	v_cmpx_gt_u32_e32 8, v187
; %bb.3597:                             ;   in Loop: Header=BB446_1574 Depth=1
	v_clz_i32_u32_e32 v2, v9
	s_delay_alu instid0(VALU_DEP_1) | instskip(NEXT) | instid1(VALU_DEP_1)
	v_min_u32_e32 v187, 32, v2
	v_subrev_nc_u32_e32 v2, 28, v187
	s_delay_alu instid0(VALU_DEP_1) | instskip(SKIP_1) | instid1(VALU_DEP_2)
	v_lshlrev_b64 v[2:3], v2, v[9:10]
	v_sub_nc_u32_e32 v3, 29, v187
	v_and_b32_e32 v2, 7, v2
; %bb.3598:                             ;   in Loop: Header=BB446_1574 Depth=1
	s_or_b32 exec_lo, exec_lo, s16
	v_lshlrev_b32_e32 v9, 24, v186
	s_delay_alu instid0(VALU_DEP_2) | instskip(SKIP_1) | instid1(VALU_DEP_3)
	v_lshlrev_b32_e32 v2, 20, v2
	v_lshl_add_u32 v3, v3, 23, 0x3c000000
	v_and_b32_e32 v9, 0x80000000, v9
	s_delay_alu instid0(VALU_DEP_1)
	v_or3_b32 v2, v2, v9, v3
.LBB446_3599:                           ;   in Loop: Header=BB446_1574 Depth=1
	s_or_b32 exec_lo, exec_lo, s15
.LBB446_3600:                           ;   in Loop: Header=BB446_1574 Depth=1
	s_delay_alu instid0(SALU_CYCLE_1)
	s_or_b32 exec_lo, exec_lo, s13
.LBB446_3601:                           ;   in Loop: Header=BB446_1574 Depth=1
	s_delay_alu instid0(SALU_CYCLE_1) | instskip(NEXT) | instid1(VALU_DEP_1)
	s_or_b32 exec_lo, exec_lo, s12
	v_mul_f32_e32 v2, v8, v2
                                        ; implicit-def: $vgpr186
	s_delay_alu instid0(VALU_DEP_1) | instskip(NEXT) | instid1(VALU_DEP_1)
	v_and_b32_e32 v3, 0x7f800000, v2
	v_cmp_ne_u32_e64 s0, 0x7f800000, v3
	s_delay_alu instid0(VALU_DEP_1) | instskip(NEXT) | instid1(SALU_CYCLE_1)
	s_and_saveexec_b32 s12, s0
	s_xor_b32 s0, exec_lo, s12
; %bb.3602:                             ;   in Loop: Header=BB446_1574 Depth=1
	v_bfe_u32 v3, v2, 16, 1
	s_delay_alu instid0(VALU_DEP_1)
	v_add3_u32 v186, v2, v3, 0x7fff
                                        ; implicit-def: $vgpr2
; %bb.3603:                             ;   in Loop: Header=BB446_1574 Depth=1
	s_and_not1_saveexec_b32 s12, s0
; %bb.3604:                             ;   in Loop: Header=BB446_1574 Depth=1
	v_and_b32_e32 v3, 0xffff, v2
	v_or_b32_e32 v9, 0x10000, v2
	s_delay_alu instid0(VALU_DEP_2) | instskip(NEXT) | instid1(VALU_DEP_1)
	v_cmp_eq_u32_e64 s0, 0, v3
	v_cndmask_b32_e64 v186, v9, v2, s0
; %bb.3605:                             ;   in Loop: Header=BB446_1574 Depth=1
	s_or_b32 exec_lo, exec_lo, s12
	v_dual_mov_b32 v2, 0 :: v_dual_and_b32 v3, 0xff, v1
	v_mov_b32_e32 v9, v1
	s_mov_b32 s12, exec_lo
	s_delay_alu instid0(VALU_DEP_2)
	v_cmpx_ne_u16_e32 0, v3
	s_cbranch_execz .LBB446_3613
; %bb.3606:                             ;   in Loop: Header=BB446_1574 Depth=1
	v_bfrev_b32_e32 v2, 1
	s_mov_b32 s13, exec_lo
	v_cmpx_ne_u16_e32 0x80, v3
	s_cbranch_execz .LBB446_3612
; %bb.3607:                             ;   in Loop: Header=BB446_1574 Depth=1
	v_and_b32_e32 v187, 0x7f, v1
	v_mov_b32_e32 v2, 0x7f800001
	s_mov_b32 s15, exec_lo
	s_delay_alu instid0(VALU_DEP_2)
	v_cmpx_ne_u32_e32 0x7f, v187
	s_cbranch_execz .LBB446_3611
; %bb.3608:                             ;   in Loop: Header=BB446_1574 Depth=1
	v_dual_mov_b32 v2, v9 :: v_dual_mov_b32 v3, v10
	v_lshrrev_b32_e32 v3, 3, v187
	s_mov_b32 s16, exec_lo
	v_cmpx_gt_u32_e32 8, v187
; %bb.3609:                             ;   in Loop: Header=BB446_1574 Depth=1
	v_and_b32_e32 v2, 7, v1
	s_delay_alu instid0(VALU_DEP_1) | instskip(NEXT) | instid1(VALU_DEP_1)
	v_clz_i32_u32_e32 v2, v2
	v_min_u32_e32 v187, 32, v2
	s_delay_alu instid0(VALU_DEP_1) | instskip(NEXT) | instid1(VALU_DEP_1)
	v_subrev_nc_u32_e32 v2, 28, v187
	v_lshlrev_b64 v[2:3], v2, v[9:10]
	v_sub_nc_u32_e32 v3, 29, v187
; %bb.3610:                             ;   in Loop: Header=BB446_1574 Depth=1
	s_or_b32 exec_lo, exec_lo, s16
	s_delay_alu instid0(VALU_DEP_2) | instskip(SKIP_1) | instid1(VALU_DEP_3)
	v_lshlrev_b32_e32 v2, 20, v2
	v_lshlrev_b32_e32 v187, 24, v9
	v_lshl_add_u32 v3, v3, 23, 0x3c000000
	s_delay_alu instid0(VALU_DEP_3) | instskip(NEXT) | instid1(VALU_DEP_3)
	v_and_b32_e32 v2, 0x700000, v2
	v_and_b32_e32 v187, 0x80000000, v187
	s_delay_alu instid0(VALU_DEP_1)
	v_or3_b32 v2, v2, v187, v3
.LBB446_3611:                           ;   in Loop: Header=BB446_1574 Depth=1
	s_or_b32 exec_lo, exec_lo, s15
.LBB446_3612:                           ;   in Loop: Header=BB446_1574 Depth=1
	s_delay_alu instid0(SALU_CYCLE_1)
	s_or_b32 exec_lo, exec_lo, s13
.LBB446_3613:                           ;   in Loop: Header=BB446_1574 Depth=1
	s_delay_alu instid0(SALU_CYCLE_1) | instskip(NEXT) | instid1(VALU_DEP_1)
	s_or_b32 exec_lo, exec_lo, s12
	v_mul_f32_e32 v2, v8, v2
                                        ; implicit-def: $vgpr187
	s_delay_alu instid0(VALU_DEP_1) | instskip(NEXT) | instid1(VALU_DEP_1)
	v_and_b32_e32 v3, 0x7f800000, v2
	v_cmp_ne_u32_e64 s0, 0x7f800000, v3
	s_delay_alu instid0(VALU_DEP_1) | instskip(NEXT) | instid1(SALU_CYCLE_1)
	s_and_saveexec_b32 s12, s0
	s_xor_b32 s0, exec_lo, s12
; %bb.3614:                             ;   in Loop: Header=BB446_1574 Depth=1
	v_bfe_u32 v3, v2, 16, 1
	s_delay_alu instid0(VALU_DEP_1)
	v_add3_u32 v187, v2, v3, 0x7fff
                                        ; implicit-def: $vgpr2
; %bb.3615:                             ;   in Loop: Header=BB446_1574 Depth=1
	s_and_not1_saveexec_b32 s12, s0
; %bb.3616:                             ;   in Loop: Header=BB446_1574 Depth=1
	v_and_b32_e32 v3, 0xffff, v2
	v_or_b32_e32 v187, 0x10000, v2
	s_delay_alu instid0(VALU_DEP_2) | instskip(NEXT) | instid1(VALU_DEP_1)
	v_cmp_eq_u32_e64 s0, 0, v3
	v_cndmask_b32_e64 v187, v187, v2, s0
; %bb.3617:                             ;   in Loop: Header=BB446_1574 Depth=1
	s_or_b32 exec_lo, exec_lo, s12
	v_lshrrev_b16 v3, 8, v9
	v_mov_b32_e32 v2, 0
	s_mov_b32 s12, exec_lo
	s_delay_alu instid0(VALU_DEP_2)
	v_cmpx_ne_u16_e32 0, v3
	s_cbranch_execz .LBB446_3625
; %bb.3618:                             ;   in Loop: Header=BB446_1574 Depth=1
	v_bfrev_b32_e32 v2, 1
	s_mov_b32 s13, exec_lo
	v_cmpx_ne_u16_e32 0x80, v3
	s_cbranch_execz .LBB446_3624
; %bb.3619:                             ;   in Loop: Header=BB446_1574 Depth=1
	v_and_b32_e32 v3, 0xffff, v3
	v_mov_b32_e32 v2, 0x7f800001
	s_mov_b32 s15, exec_lo
	s_delay_alu instid0(VALU_DEP_2) | instskip(NEXT) | instid1(VALU_DEP_1)
	v_and_b32_e32 v189, 0x7f, v3
	v_cmpx_ne_u32_e32 0x7f, v189
	s_cbranch_execz .LBB446_3623
; %bb.3620:                             ;   in Loop: Header=BB446_1574 Depth=1
	v_dual_mov_b32 v3, v10 :: v_dual_and_b32 v2, 7, v3
	v_lshrrev_b32_e32 v188, 3, v189
	s_mov_b32 s16, exec_lo
	v_cmpx_gt_u32_e32 8, v189
; %bb.3621:                             ;   in Loop: Header=BB446_1574 Depth=1
	s_delay_alu instid0(VALU_DEP_3) | instskip(NEXT) | instid1(VALU_DEP_1)
	v_clz_i32_u32_e32 v188, v2
	v_min_u32_e32 v188, 32, v188
	s_delay_alu instid0(VALU_DEP_1) | instskip(SKIP_1) | instid1(VALU_DEP_2)
	v_subrev_nc_u32_e32 v189, 28, v188
	v_sub_nc_u32_e32 v188, 29, v188
	v_lshlrev_b64 v[2:3], v189, v[2:3]
	s_delay_alu instid0(VALU_DEP_1)
	v_and_b32_e32 v2, 7, v2
; %bb.3622:                             ;   in Loop: Header=BB446_1574 Depth=1
	s_or_b32 exec_lo, exec_lo, s16
	v_lshlrev_b32_e32 v3, 16, v9
	s_delay_alu instid0(VALU_DEP_2) | instskip(SKIP_1) | instid1(VALU_DEP_3)
	v_lshlrev_b32_e32 v2, 20, v2
	v_lshl_add_u32 v9, v188, 23, 0x3c000000
	v_and_b32_e32 v3, 0x80000000, v3
	s_delay_alu instid0(VALU_DEP_1)
	v_or3_b32 v2, v2, v3, v9
.LBB446_3623:                           ;   in Loop: Header=BB446_1574 Depth=1
	s_or_b32 exec_lo, exec_lo, s15
.LBB446_3624:                           ;   in Loop: Header=BB446_1574 Depth=1
	s_delay_alu instid0(SALU_CYCLE_1)
	s_or_b32 exec_lo, exec_lo, s13
.LBB446_3625:                           ;   in Loop: Header=BB446_1574 Depth=1
	s_delay_alu instid0(SALU_CYCLE_1) | instskip(NEXT) | instid1(VALU_DEP_1)
	s_or_b32 exec_lo, exec_lo, s12
	v_mul_f32_e32 v2, v8, v2
                                        ; implicit-def: $vgpr188
	s_delay_alu instid0(VALU_DEP_1) | instskip(NEXT) | instid1(VALU_DEP_1)
	v_and_b32_e32 v3, 0x7f800000, v2
	v_cmp_ne_u32_e64 s0, 0x7f800000, v3
	s_delay_alu instid0(VALU_DEP_1) | instskip(NEXT) | instid1(SALU_CYCLE_1)
	s_and_saveexec_b32 s12, s0
	s_xor_b32 s0, exec_lo, s12
; %bb.3626:                             ;   in Loop: Header=BB446_1574 Depth=1
	v_bfe_u32 v3, v2, 16, 1
	s_delay_alu instid0(VALU_DEP_1)
	v_add3_u32 v188, v2, v3, 0x7fff
                                        ; implicit-def: $vgpr2
; %bb.3627:                             ;   in Loop: Header=BB446_1574 Depth=1
	s_and_not1_saveexec_b32 s12, s0
; %bb.3628:                             ;   in Loop: Header=BB446_1574 Depth=1
	v_and_b32_e32 v3, 0xffff, v2
	v_or_b32_e32 v9, 0x10000, v2
	s_delay_alu instid0(VALU_DEP_2) | instskip(NEXT) | instid1(VALU_DEP_1)
	v_cmp_eq_u32_e64 s0, 0, v3
	v_cndmask_b32_e64 v188, v9, v2, s0
; %bb.3629:                             ;   in Loop: Header=BB446_1574 Depth=1
	s_or_b32 exec_lo, exec_lo, s12
	v_lshrrev_b32_e32 v189, 16, v1
	s_mov_b32 s12, exec_lo
	s_delay_alu instid0(VALU_DEP_1) | instskip(NEXT) | instid1(VALU_DEP_1)
	v_dual_mov_b32 v2, 0 :: v_dual_and_b32 v3, 0xff, v189
	v_cmpx_ne_u16_e32 0, v3
	s_cbranch_execz .LBB446_3637
; %bb.3630:                             ;   in Loop: Header=BB446_1574 Depth=1
	v_bfrev_b32_e32 v2, 1
	s_mov_b32 s13, exec_lo
	v_cmpx_ne_u16_e32 0x80, v3
	s_cbranch_execz .LBB446_3636
; %bb.3631:                             ;   in Loop: Header=BB446_1574 Depth=1
	v_bfe_u32 v190, v1, 16, 7
	v_mov_b32_e32 v2, 0x7f800001
	s_mov_b32 s15, exec_lo
	s_delay_alu instid0(VALU_DEP_2)
	v_cmpx_ne_u32_e32 0x7f, v190
	s_cbranch_execz .LBB446_3635
; %bb.3632:                             ;   in Loop: Header=BB446_1574 Depth=1
	v_and_b32_e32 v9, 7, v189
	s_mov_b32 s16, exec_lo
	s_delay_alu instid0(VALU_DEP_1)
	v_dual_mov_b32 v2, v9 :: v_dual_mov_b32 v3, v10
	v_lshrrev_b32_e32 v3, 3, v190
	v_cmpx_gt_u32_e32 8, v190
; %bb.3633:                             ;   in Loop: Header=BB446_1574 Depth=1
	v_clz_i32_u32_e32 v2, v9
	s_delay_alu instid0(VALU_DEP_1) | instskip(NEXT) | instid1(VALU_DEP_1)
	v_min_u32_e32 v190, 32, v2
	v_subrev_nc_u32_e32 v2, 28, v190
	s_delay_alu instid0(VALU_DEP_1) | instskip(SKIP_1) | instid1(VALU_DEP_2)
	v_lshlrev_b64 v[2:3], v2, v[9:10]
	v_sub_nc_u32_e32 v3, 29, v190
	v_and_b32_e32 v2, 7, v2
; %bb.3634:                             ;   in Loop: Header=BB446_1574 Depth=1
	s_or_b32 exec_lo, exec_lo, s16
	v_lshlrev_b32_e32 v9, 24, v189
	s_delay_alu instid0(VALU_DEP_2) | instskip(SKIP_1) | instid1(VALU_DEP_3)
	v_lshlrev_b32_e32 v2, 20, v2
	v_lshl_add_u32 v3, v3, 23, 0x3c000000
	v_and_b32_e32 v9, 0x80000000, v9
	s_delay_alu instid0(VALU_DEP_1)
	v_or3_b32 v2, v2, v9, v3
.LBB446_3635:                           ;   in Loop: Header=BB446_1574 Depth=1
	s_or_b32 exec_lo, exec_lo, s15
.LBB446_3636:                           ;   in Loop: Header=BB446_1574 Depth=1
	s_delay_alu instid0(SALU_CYCLE_1)
	s_or_b32 exec_lo, exec_lo, s13
.LBB446_3637:                           ;   in Loop: Header=BB446_1574 Depth=1
	s_delay_alu instid0(SALU_CYCLE_1) | instskip(NEXT) | instid1(VALU_DEP_1)
	s_or_b32 exec_lo, exec_lo, s12
	v_mul_f32_e32 v3, v8, v2
	s_delay_alu instid0(VALU_DEP_1) | instskip(NEXT) | instid1(VALU_DEP_1)
	v_and_b32_e32 v2, 0x7f800000, v3
	v_cmp_ne_u32_e64 s0, 0x7f800000, v2
                                        ; implicit-def: $vgpr2
	s_delay_alu instid0(VALU_DEP_1) | instskip(NEXT) | instid1(SALU_CYCLE_1)
	s_and_saveexec_b32 s12, s0
	s_xor_b32 s0, exec_lo, s12
; %bb.3638:                             ;   in Loop: Header=BB446_1574 Depth=1
	v_bfe_u32 v2, v3, 16, 1
	s_delay_alu instid0(VALU_DEP_1)
	v_add3_u32 v2, v3, v2, 0x7fff
                                        ; implicit-def: $vgpr3
; %bb.3639:                             ;   in Loop: Header=BB446_1574 Depth=1
	s_and_not1_saveexec_b32 s12, s0
; %bb.3640:                             ;   in Loop: Header=BB446_1574 Depth=1
	v_and_b32_e32 v2, 0xffff, v3
	v_or_b32_e32 v9, 0x10000, v3
	s_delay_alu instid0(VALU_DEP_2) | instskip(NEXT) | instid1(VALU_DEP_1)
	v_cmp_eq_u32_e64 s0, 0, v2
	v_cndmask_b32_e64 v2, v9, v3, s0
; %bb.3641:                             ;   in Loop: Header=BB446_1574 Depth=1
	s_or_b32 exec_lo, exec_lo, s12
	v_cmp_lt_u64_e64 s0, s[8:9], v[0:1]
	v_mov_b32_e32 v0, 0
	s_delay_alu instid0(VALU_DEP_2)
	s_and_saveexec_b32 s12, s0
	s_cbranch_execz .LBB446_3649
; %bb.3642:                             ;   in Loop: Header=BB446_1574 Depth=1
	v_lshrrev_b32_e32 v3, 24, v1
	v_bfrev_b32_e32 v0, 1
	s_mov_b32 s13, exec_lo
	s_delay_alu instid0(VALU_DEP_2)
	v_cmpx_ne_u32_e32 0x80, v3
	s_cbranch_execz .LBB446_3648
; %bb.3643:                             ;   in Loop: Header=BB446_1574 Depth=1
	v_bfe_u32 v189, v1, 24, 7
	v_mov_b32_e32 v0, 0x7f800001
	s_mov_b32 s15, exec_lo
	s_delay_alu instid0(VALU_DEP_2)
	v_cmpx_ne_u32_e32 0x7f, v189
	s_cbranch_execz .LBB446_3647
; %bb.3644:                             ;   in Loop: Header=BB446_1574 Depth=1
	v_and_b32_e32 v9, 7, v3
	s_mov_b32 s16, exec_lo
	s_delay_alu instid0(VALU_DEP_1)
	v_dual_mov_b32 v0, v9 :: v_dual_mov_b32 v1, v10
	v_lshrrev_b32_e32 v1, 3, v189
	v_cmpx_gt_u32_e32 8, v189
; %bb.3645:                             ;   in Loop: Header=BB446_1574 Depth=1
	v_clz_i32_u32_e32 v0, v9
	s_delay_alu instid0(VALU_DEP_1) | instskip(NEXT) | instid1(VALU_DEP_1)
	v_min_u32_e32 v189, 32, v0
	v_subrev_nc_u32_e32 v0, 28, v189
	s_delay_alu instid0(VALU_DEP_1) | instskip(SKIP_1) | instid1(VALU_DEP_2)
	v_lshlrev_b64 v[0:1], v0, v[9:10]
	v_sub_nc_u32_e32 v1, 29, v189
	v_and_b32_e32 v0, 7, v0
; %bb.3646:                             ;   in Loop: Header=BB446_1574 Depth=1
	s_or_b32 exec_lo, exec_lo, s16
	v_lshlrev_b32_e32 v3, 24, v3
	s_delay_alu instid0(VALU_DEP_2) | instskip(SKIP_1) | instid1(VALU_DEP_3)
	v_lshlrev_b32_e32 v0, 20, v0
	v_lshl_add_u32 v1, v1, 23, 0x3c000000
	v_and_b32_e32 v3, 0x80000000, v3
	s_delay_alu instid0(VALU_DEP_1)
	v_or3_b32 v0, v0, v3, v1
.LBB446_3647:                           ;   in Loop: Header=BB446_1574 Depth=1
	s_or_b32 exec_lo, exec_lo, s15
.LBB446_3648:                           ;   in Loop: Header=BB446_1574 Depth=1
	s_delay_alu instid0(SALU_CYCLE_1)
	s_or_b32 exec_lo, exec_lo, s13
.LBB446_3649:                           ;   in Loop: Header=BB446_1574 Depth=1
	s_delay_alu instid0(SALU_CYCLE_1) | instskip(NEXT) | instid1(VALU_DEP_1)
	s_or_b32 exec_lo, exec_lo, s12
	v_mul_f32_e32 v0, v8, v0
                                        ; implicit-def: $vgpr189
	s_delay_alu instid0(VALU_DEP_1) | instskip(NEXT) | instid1(VALU_DEP_1)
	v_and_b32_e32 v1, 0x7f800000, v0
	v_cmp_ne_u32_e64 s0, 0x7f800000, v1
	s_delay_alu instid0(VALU_DEP_1) | instskip(NEXT) | instid1(SALU_CYCLE_1)
	s_and_saveexec_b32 s12, s0
	s_xor_b32 s0, exec_lo, s12
; %bb.3650:                             ;   in Loop: Header=BB446_1574 Depth=1
	v_bfe_u32 v1, v0, 16, 1
	s_delay_alu instid0(VALU_DEP_1)
	v_add3_u32 v189, v0, v1, 0x7fff
                                        ; implicit-def: $vgpr0
; %bb.3651:                             ;   in Loop: Header=BB446_1574 Depth=1
	s_and_not1_saveexec_b32 s12, s0
; %bb.3652:                             ;   in Loop: Header=BB446_1574 Depth=1
	v_and_b32_e32 v1, 0xffff, v0
	v_or_b32_e32 v3, 0x10000, v0
	s_delay_alu instid0(VALU_DEP_2) | instskip(NEXT) | instid1(VALU_DEP_1)
	v_cmp_eq_u32_e64 s0, 0, v1
	v_cndmask_b32_e64 v189, v3, v0, s0
; %bb.3653:                             ;   in Loop: Header=BB446_1574 Depth=1
	s_or_b32 exec_lo, exec_lo, s12
	v_lshrrev_b32_e32 v9, 16, v188
	v_lshrrev_b32_e32 v8, 16, v187
	v_lshrrev_b32_e32 v3, 16, v186
	v_lshrrev_b32_e32 v185, 16, v185
	v_lshrrev_b32_e32 v1, 16, v184
	v_lshrrev_b32_e32 v0, 16, v175
	v_lshrrev_b32_e32 v184, 16, v2
	v_lshrrev_b32_e32 v175, 16, v189
	s_and_saveexec_b32 s0, vcc_lo
	s_cbranch_execz .LBB446_3655
; %bb.3654:                             ;   in Loop: Header=BB446_1574 Depth=1
	v_cmp_lt_i32_e32 vcc_lo, v86, v38
	v_cndmask_b32_e32 v0, 0, v0, vcc_lo
	v_cmp_lt_i32_e32 vcc_lo, v101, v38
	v_cndmask_b32_e32 v1, 0, v1, vcc_lo
	;; [unrolled: 2-line block ×8, first 2 shown]
.LBB446_3655:                           ;   in Loop: Header=BB446_1574 Depth=1
	s_or_b32 exec_lo, exec_lo, s0
	v_lshlrev_b32_e32 v0, 16, v0
	s_delay_alu instid0(VALU_DEP_1) | instskip(NEXT) | instid1(VALU_DEP_1)
	v_mul_f32_e32 v2, v102, v0
	v_and_b32_e32 v0, 0x7f800000, v2
	s_delay_alu instid0(VALU_DEP_1) | instskip(SKIP_1) | instid1(SALU_CYCLE_1)
	v_cmp_ne_u32_e32 vcc_lo, 0x7f800000, v0
                                        ; implicit-def: $vgpr0
	s_and_saveexec_b32 s0, vcc_lo
	s_xor_b32 s0, exec_lo, s0
; %bb.3656:                             ;   in Loop: Header=BB446_1574 Depth=1
	v_bfe_u32 v0, v2, 16, 1
	s_delay_alu instid0(VALU_DEP_1)
	v_add3_u32 v0, v2, v0, 0x7fff
                                        ; implicit-def: $vgpr2
; %bb.3657:                             ;   in Loop: Header=BB446_1574 Depth=1
	s_and_not1_saveexec_b32 s0, s0
; %bb.3658:                             ;   in Loop: Header=BB446_1574 Depth=1
	v_and_b32_e32 v0, 0xffff, v2
	v_or_b32_e32 v86, 0x10000, v2
	s_delay_alu instid0(VALU_DEP_2) | instskip(NEXT) | instid1(VALU_DEP_2)
	v_cmp_eq_u32_e32 vcc_lo, 0, v0
	v_cndmask_b32_e32 v0, v86, v2, vcc_lo
; %bb.3659:                             ;   in Loop: Header=BB446_1574 Depth=1
	s_or_b32 exec_lo, exec_lo, s0
	v_lshlrev_b32_e32 v1, 16, v1
	s_delay_alu instid0(VALU_DEP_1) | instskip(NEXT) | instid1(VALU_DEP_1)
	v_mul_f32_e32 v2, v103, v1
	v_and_b32_e32 v1, 0x7f800000, v2
	s_delay_alu instid0(VALU_DEP_1) | instskip(SKIP_1) | instid1(SALU_CYCLE_1)
	v_cmp_ne_u32_e32 vcc_lo, 0x7f800000, v1
                                        ; implicit-def: $vgpr1
	s_and_saveexec_b32 s0, vcc_lo
	s_xor_b32 s0, exec_lo, s0
; %bb.3660:                             ;   in Loop: Header=BB446_1574 Depth=1
	v_bfe_u32 v1, v2, 16, 1
	s_delay_alu instid0(VALU_DEP_1)
	v_add3_u32 v1, v2, v1, 0x7fff
                                        ; implicit-def: $vgpr2
; %bb.3661:                             ;   in Loop: Header=BB446_1574 Depth=1
	s_and_not1_saveexec_b32 s0, s0
; %bb.3662:                             ;   in Loop: Header=BB446_1574 Depth=1
	v_and_b32_e32 v1, 0xffff, v2
	v_or_b32_e32 v86, 0x10000, v2
	s_delay_alu instid0(VALU_DEP_2) | instskip(NEXT) | instid1(VALU_DEP_2)
	v_cmp_eq_u32_e32 vcc_lo, 0, v1
	v_cndmask_b32_e32 v1, v86, v2, vcc_lo
; %bb.3663:                             ;   in Loop: Header=BB446_1574 Depth=1
	s_or_b32 exec_lo, exec_lo, s0
	v_lshlrev_b32_e32 v2, 16, v185
	s_delay_alu instid0(VALU_DEP_1) | instskip(NEXT) | instid1(VALU_DEP_1)
	v_mul_f32_e32 v86, v112, v2
	v_and_b32_e32 v2, 0x7f800000, v86
	s_delay_alu instid0(VALU_DEP_1) | instskip(SKIP_1) | instid1(SALU_CYCLE_1)
	v_cmp_ne_u32_e32 vcc_lo, 0x7f800000, v2
                                        ; implicit-def: $vgpr2
	s_and_saveexec_b32 s0, vcc_lo
	s_xor_b32 s0, exec_lo, s0
; %bb.3664:                             ;   in Loop: Header=BB446_1574 Depth=1
	v_bfe_u32 v2, v86, 16, 1
	s_delay_alu instid0(VALU_DEP_1)
	v_add3_u32 v2, v86, v2, 0x7fff
                                        ; implicit-def: $vgpr86
; %bb.3665:                             ;   in Loop: Header=BB446_1574 Depth=1
	s_and_not1_saveexec_b32 s0, s0
; %bb.3666:                             ;   in Loop: Header=BB446_1574 Depth=1
	v_and_b32_e32 v2, 0xffff, v86
	v_or_b32_e32 v87, 0x10000, v86
	s_delay_alu instid0(VALU_DEP_2) | instskip(NEXT) | instid1(VALU_DEP_2)
	v_cmp_eq_u32_e32 vcc_lo, 0, v2
	v_cndmask_b32_e32 v2, v87, v86, vcc_lo
; %bb.3667:                             ;   in Loop: Header=BB446_1574 Depth=1
	s_or_b32 exec_lo, exec_lo, s0
	v_lshlrev_b32_e32 v3, 16, v3
	s_delay_alu instid0(VALU_DEP_1) | instskip(NEXT) | instid1(VALU_DEP_1)
	v_mul_f32_e32 v86, v113, v3
	v_and_b32_e32 v3, 0x7f800000, v86
	s_delay_alu instid0(VALU_DEP_1) | instskip(SKIP_1) | instid1(SALU_CYCLE_1)
	v_cmp_ne_u32_e32 vcc_lo, 0x7f800000, v3
                                        ; implicit-def: $vgpr3
	s_and_saveexec_b32 s0, vcc_lo
	s_xor_b32 s0, exec_lo, s0
; %bb.3668:                             ;   in Loop: Header=BB446_1574 Depth=1
	v_bfe_u32 v3, v86, 16, 1
	s_delay_alu instid0(VALU_DEP_1)
	v_add3_u32 v3, v86, v3, 0x7fff
                                        ; implicit-def: $vgpr86
; %bb.3669:                             ;   in Loop: Header=BB446_1574 Depth=1
	s_and_not1_saveexec_b32 s0, s0
; %bb.3670:                             ;   in Loop: Header=BB446_1574 Depth=1
	v_and_b32_e32 v3, 0xffff, v86
	v_or_b32_e32 v87, 0x10000, v86
	s_delay_alu instid0(VALU_DEP_2) | instskip(NEXT) | instid1(VALU_DEP_2)
	v_cmp_eq_u32_e32 vcc_lo, 0, v3
	v_cndmask_b32_e32 v3, v87, v86, vcc_lo
; %bb.3671:                             ;   in Loop: Header=BB446_1574 Depth=1
	s_or_b32 exec_lo, exec_lo, s0
	v_lshlrev_b32_e32 v8, 16, v8
	s_delay_alu instid0(VALU_DEP_1) | instskip(NEXT) | instid1(VALU_DEP_1)
	v_mul_f32_e32 v86, v114, v8
	v_and_b32_e32 v8, 0x7f800000, v86
	s_delay_alu instid0(VALU_DEP_1) | instskip(SKIP_1) | instid1(SALU_CYCLE_1)
	v_cmp_ne_u32_e32 vcc_lo, 0x7f800000, v8
                                        ; implicit-def: $vgpr8
	s_and_saveexec_b32 s0, vcc_lo
	s_xor_b32 s0, exec_lo, s0
; %bb.3672:                             ;   in Loop: Header=BB446_1574 Depth=1
	v_bfe_u32 v8, v86, 16, 1
	s_delay_alu instid0(VALU_DEP_1)
	v_add3_u32 v8, v86, v8, 0x7fff
                                        ; implicit-def: $vgpr86
; %bb.3673:                             ;   in Loop: Header=BB446_1574 Depth=1
	s_and_not1_saveexec_b32 s0, s0
; %bb.3674:                             ;   in Loop: Header=BB446_1574 Depth=1
	v_and_b32_e32 v8, 0xffff, v86
	v_or_b32_e32 v87, 0x10000, v86
	s_delay_alu instid0(VALU_DEP_2) | instskip(NEXT) | instid1(VALU_DEP_2)
	v_cmp_eq_u32_e32 vcc_lo, 0, v8
	v_cndmask_b32_e32 v8, v87, v86, vcc_lo
; %bb.3675:                             ;   in Loop: Header=BB446_1574 Depth=1
	s_or_b32 exec_lo, exec_lo, s0
	v_lshlrev_b32_e32 v9, 16, v9
	s_delay_alu instid0(VALU_DEP_1) | instskip(NEXT) | instid1(VALU_DEP_1)
	v_mul_f32_e32 v86, v115, v9
	v_and_b32_e32 v9, 0x7f800000, v86
	s_delay_alu instid0(VALU_DEP_1) | instskip(SKIP_1) | instid1(SALU_CYCLE_1)
	v_cmp_ne_u32_e32 vcc_lo, 0x7f800000, v9
                                        ; implicit-def: $vgpr9
	s_and_saveexec_b32 s0, vcc_lo
	s_xor_b32 s0, exec_lo, s0
; %bb.3676:                             ;   in Loop: Header=BB446_1574 Depth=1
	v_bfe_u32 v9, v86, 16, 1
	s_delay_alu instid0(VALU_DEP_1)
	v_add3_u32 v9, v86, v9, 0x7fff
                                        ; implicit-def: $vgpr86
; %bb.3677:                             ;   in Loop: Header=BB446_1574 Depth=1
	s_and_not1_saveexec_b32 s0, s0
; %bb.3678:                             ;   in Loop: Header=BB446_1574 Depth=1
	v_and_b32_e32 v9, 0xffff, v86
	v_or_b32_e32 v87, 0x10000, v86
	s_delay_alu instid0(VALU_DEP_2) | instskip(NEXT) | instid1(VALU_DEP_2)
	v_cmp_eq_u32_e32 vcc_lo, 0, v9
	v_cndmask_b32_e32 v9, v87, v86, vcc_lo
; %bb.3679:                             ;   in Loop: Header=BB446_1574 Depth=1
	s_or_b32 exec_lo, exec_lo, s0
	v_lshlrev_b32_e32 v86, 16, v184
	s_delay_alu instid0(VALU_DEP_1) | instskip(NEXT) | instid1(VALU_DEP_1)
	v_mul_f32_e32 v87, v116, v86
	v_and_b32_e32 v86, 0x7f800000, v87
	s_delay_alu instid0(VALU_DEP_1) | instskip(SKIP_1) | instid1(SALU_CYCLE_1)
	v_cmp_ne_u32_e32 vcc_lo, 0x7f800000, v86
                                        ; implicit-def: $vgpr86
	s_and_saveexec_b32 s0, vcc_lo
	s_xor_b32 s0, exec_lo, s0
; %bb.3680:                             ;   in Loop: Header=BB446_1574 Depth=1
	v_bfe_u32 v86, v87, 16, 1
	s_delay_alu instid0(VALU_DEP_1)
	v_add3_u32 v86, v87, v86, 0x7fff
                                        ; implicit-def: $vgpr87
; %bb.3681:                             ;   in Loop: Header=BB446_1574 Depth=1
	s_and_not1_saveexec_b32 s0, s0
; %bb.3682:                             ;   in Loop: Header=BB446_1574 Depth=1
	v_and_b32_e32 v86, 0xffff, v87
	v_or_b32_e32 v96, 0x10000, v87
	s_delay_alu instid0(VALU_DEP_2) | instskip(NEXT) | instid1(VALU_DEP_2)
	v_cmp_eq_u32_e32 vcc_lo, 0, v86
	v_cndmask_b32_e32 v86, v96, v87, vcc_lo
; %bb.3683:                             ;   in Loop: Header=BB446_1574 Depth=1
	s_or_b32 exec_lo, exec_lo, s0
	v_lshlrev_b32_e32 v87, 16, v175
	s_delay_alu instid0(VALU_DEP_1) | instskip(NEXT) | instid1(VALU_DEP_1)
	v_mul_f32_e32 v96, v117, v87
	v_and_b32_e32 v87, 0x7f800000, v96
	s_delay_alu instid0(VALU_DEP_1) | instskip(SKIP_1) | instid1(SALU_CYCLE_1)
	v_cmp_ne_u32_e32 vcc_lo, 0x7f800000, v87
                                        ; implicit-def: $vgpr87
	s_and_saveexec_b32 s0, vcc_lo
	s_xor_b32 s0, exec_lo, s0
; %bb.3684:                             ;   in Loop: Header=BB446_1574 Depth=1
	v_bfe_u32 v87, v96, 16, 1
	s_delay_alu instid0(VALU_DEP_1)
	v_add3_u32 v87, v96, v87, 0x7fff
                                        ; implicit-def: $vgpr96
; %bb.3685:                             ;   in Loop: Header=BB446_1574 Depth=1
	s_and_not1_saveexec_b32 s0, s0
	s_cbranch_execz .LBB446_1572
; %bb.3686:                             ;   in Loop: Header=BB446_1574 Depth=1
	v_and_b32_e32 v87, 0xffff, v96
	v_or_b32_e32 v97, 0x10000, v96
	s_delay_alu instid0(VALU_DEP_2) | instskip(NEXT) | instid1(VALU_DEP_2)
	v_cmp_eq_u32_e32 vcc_lo, 0, v87
	v_cndmask_b32_e32 v87, v97, v96, vcc_lo
	s_branch .LBB446_1572
.LBB446_3687:
	s_or_b32 exec_lo, exec_lo, s10
.LBB446_3688:
	s_delay_alu instid0(SALU_CYCLE_1)
	s_or_b32 exec_lo, exec_lo, s7
	ds_bpermute_b32 v0, v20, v66
	ds_bpermute_b32 v1, v20, v67
	;; [unrolled: 1-line block ×6, first 2 shown]
	s_waitcnt lgkmcnt(0)
	s_waitcnt_vscnt null, 0x0
	s_barrier
	buffer_gl0_inv
	ds_bpermute_b32 v4, v20, v55
	ds_bpermute_b32 v5, v20, v54
	;; [unrolled: 1-line block ×10, first 2 shown]
	s_load_b32 s2, s[2:3], 0x0
	v_dual_add_f32 v0, v66, v0 :: v_dual_add_f32 v1, v67, v1
	v_add_f32_e32 v2, v65, v2
	v_dual_add_f32 v8, v35, v8 :: v_dual_add_f32 v3, v64, v3
	v_add_f32_e32 v23, v34, v9
	ds_bpermute_b32 v16, v19, v0
	ds_bpermute_b32 v17, v19, v1
	;; [unrolled: 1-line block ×4, first 2 shown]
	s_waitcnt lgkmcnt(0)
	v_dual_add_f32 v4, v55, v4 :: v_dual_add_f32 v5, v54, v5
	v_dual_add_f32 v6, v53, v6 :: v_dual_add_f32 v7, v36, v7
	;; [unrolled: 1-line block ×5, first 2 shown]
	ds_bpermute_b32 v20, v19, v3
	ds_bpermute_b32 v21, v19, v4
	;; [unrolled: 1-line block ×6, first 2 shown]
	v_add_f32_e32 v0, v0, v16
	v_add_f32_e32 v16, v1, v17
	s_clause 0x1
	scratch_load_b32 v1, off, s32 offset:328
	scratch_load_b32 v17, off, s32 offset:732
	ds_bpermute_b32 v33, v19, v26
	ds_bpermute_b32 v34, v19, v32
	ds_bpermute_b32 v35, v19, v31
	ds_bpermute_b32 v36, v19, v29
	ds_bpermute_b32 v37, v19, v28
	ds_bpermute_b32 v19, v19, v25
	v_dual_add_f32 v15, v2, v18 :: v_dual_and_b32 v18, 0x3c3, v191
	s_mov_b32 s0, exec_lo
	s_waitcnt lgkmcnt(10)
	v_dual_add_f32 v14, v3, v20 :: v_dual_add_f32 v13, v4, v21
	s_waitcnt lgkmcnt(8)
	v_dual_add_f32 v12, v5, v22 :: v_dual_add_f32 v11, v6, v9
	;; [unrolled: 2-line block ×6, first 2 shown]
	s_waitcnt lgkmcnt(0)
	v_add_f32_e32 v2, v25, v19
	s_waitcnt vmcnt(1)
	v_lshrrev_b32_e32 v1, 2, v1
	s_waitcnt vmcnt(0)
	v_lshl_add_u32 v17, v17, 9, s2
	v_cmpx_eq_u32_e32 64, v18
	s_cbranch_execz .LBB446_3690
; %bb.3689:
	v_lshlrev_b32_e32 v18, 2, v1
	s_delay_alu instid0(VALU_DEP_1)
	v_add3_u32 v18, v17, v18, 0xfffffc00
	ds_store_2addr_b32 v18, v0, v16 offset1:8
	ds_store_2addr_b32 v18, v15, v14 offset0:16 offset1:24
	ds_store_2addr_b32 v18, v13, v12 offset0:32 offset1:40
	;; [unrolled: 1-line block ×7, first 2 shown]
.LBB446_3690:
	s_or_b32 exec_lo, exec_lo, s0
	v_cmp_eq_u32_e32 vcc_lo, 0, v24
	v_cmp_gt_u32_e64 s0, 64, v191
	s_waitcnt lgkmcnt(0)
	s_barrier
	buffer_gl0_inv
	s_mov_b32 s3, exec_lo
	s_clause 0x1
	scratch_load_b32 v19, off, s32 offset:736
	scratch_load_b32 v20, off, s32 offset:740
	s_and_b32 s0, s3, s0
	s_delay_alu instid0(SALU_CYCLE_1)
	s_mov_b32 exec_lo, s0
	s_cbranch_execz .LBB446_3709
; %bb.3691:
	s_and_saveexec_b32 s0, vcc_lo
	s_cbranch_execnz .LBB446_3798
; %bb.3692:
	s_or_b32 exec_lo, exec_lo, s0
	s_and_saveexec_b32 s0, vcc_lo
	s_cbranch_execnz .LBB446_3799
.LBB446_3693:
	s_or_b32 exec_lo, exec_lo, s0
	s_and_saveexec_b32 s0, vcc_lo
	s_cbranch_execnz .LBB446_3800
.LBB446_3694:
	s_or_b32 exec_lo, exec_lo, s0
	s_and_saveexec_b32 s0, vcc_lo
	s_cbranch_execnz .LBB446_3801
.LBB446_3695:
	s_or_b32 exec_lo, exec_lo, s0
	s_and_saveexec_b32 s0, vcc_lo
	s_cbranch_execnz .LBB446_3802
.LBB446_3696:
	s_or_b32 exec_lo, exec_lo, s0
	s_and_saveexec_b32 s0, vcc_lo
	s_cbranch_execnz .LBB446_3803
.LBB446_3697:
	s_or_b32 exec_lo, exec_lo, s0
	s_and_saveexec_b32 s0, vcc_lo
	s_cbranch_execnz .LBB446_3804
.LBB446_3698:
	s_or_b32 exec_lo, exec_lo, s0
	s_and_saveexec_b32 s0, vcc_lo
	s_cbranch_execnz .LBB446_3805
.LBB446_3699:
	s_or_b32 exec_lo, exec_lo, s0
	s_and_saveexec_b32 s0, vcc_lo
	s_cbranch_execnz .LBB446_3806
.LBB446_3700:
	s_or_b32 exec_lo, exec_lo, s0
	s_and_saveexec_b32 s0, vcc_lo
	s_cbranch_execnz .LBB446_3807
.LBB446_3701:
	s_or_b32 exec_lo, exec_lo, s0
	s_and_saveexec_b32 s0, vcc_lo
	s_cbranch_execnz .LBB446_3808
.LBB446_3702:
	s_or_b32 exec_lo, exec_lo, s0
	s_and_saveexec_b32 s0, vcc_lo
	s_cbranch_execnz .LBB446_3809
.LBB446_3703:
	s_or_b32 exec_lo, exec_lo, s0
	s_and_saveexec_b32 s0, vcc_lo
	s_cbranch_execnz .LBB446_3810
.LBB446_3704:
	s_or_b32 exec_lo, exec_lo, s0
	s_and_saveexec_b32 s0, vcc_lo
	s_cbranch_execnz .LBB446_3811
.LBB446_3705:
	s_or_b32 exec_lo, exec_lo, s0
	s_and_saveexec_b32 s0, vcc_lo
	s_cbranch_execnz .LBB446_3812
.LBB446_3706:
	s_or_b32 exec_lo, exec_lo, s0
	s_and_saveexec_b32 s0, vcc_lo
	s_cbranch_execz .LBB446_3708
.LBB446_3707:
	v_lshl_add_u32 v18, v1, 2, v17
	ds_load_b32 v18, v18 offset:480
	s_waitcnt lgkmcnt(0)
	v_add_f32_e32 v2, v18, v2
.LBB446_3708:
	s_or_b32 exec_lo, exec_lo, s0
.LBB446_3709:
	s_delay_alu instid0(SALU_CYCLE_1)
	s_or_b32 exec_lo, exec_lo, s3
	v_and_b32_e32 v18, 0x3e3, v191
	s_mov_b32 s3, exec_lo
	s_waitcnt vmcnt(0)
	s_barrier
	buffer_gl0_inv
	v_cmpx_eq_u32_e32 32, v18
	s_cbranch_execz .LBB446_3711
; %bb.3710:
	v_lshl_add_u32 v18, v1, 2, s2
	ds_store_2addr_b32 v18, v0, v16 offset1:8
	ds_store_2addr_b32 v18, v15, v14 offset0:16 offset1:24
	ds_store_2addr_b32 v18, v13, v12 offset0:32 offset1:40
	;; [unrolled: 1-line block ×7, first 2 shown]
.LBB446_3711:
	s_or_b32 exec_lo, exec_lo, s3
	v_cmp_gt_u32_e64 s0, 32, v191
	s_waitcnt lgkmcnt(0)
	s_barrier
	buffer_gl0_inv
	s_and_saveexec_b32 s2, s0
	s_cbranch_execz .LBB446_3730
; %bb.3712:
	v_lshl_add_u32 v1, v1, 2, v17
	s_and_saveexec_b32 s3, vcc_lo
	s_cbranch_execnz .LBB446_3813
; %bb.3713:
	s_or_b32 exec_lo, exec_lo, s3
	s_and_saveexec_b32 s3, vcc_lo
	s_cbranch_execnz .LBB446_3814
.LBB446_3714:
	s_or_b32 exec_lo, exec_lo, s3
	s_and_saveexec_b32 s3, vcc_lo
	s_cbranch_execnz .LBB446_3815
.LBB446_3715:
	s_or_b32 exec_lo, exec_lo, s3
	s_and_saveexec_b32 s3, vcc_lo
	s_cbranch_execnz .LBB446_3816
.LBB446_3716:
	s_or_b32 exec_lo, exec_lo, s3
	s_and_saveexec_b32 s3, vcc_lo
	s_cbranch_execnz .LBB446_3817
.LBB446_3717:
	s_or_b32 exec_lo, exec_lo, s3
	s_and_saveexec_b32 s3, vcc_lo
	s_cbranch_execnz .LBB446_3818
.LBB446_3718:
	s_or_b32 exec_lo, exec_lo, s3
	s_and_saveexec_b32 s3, vcc_lo
	s_cbranch_execnz .LBB446_3819
.LBB446_3719:
	s_or_b32 exec_lo, exec_lo, s3
	s_and_saveexec_b32 s3, vcc_lo
	s_cbranch_execnz .LBB446_3820
.LBB446_3720:
	s_or_b32 exec_lo, exec_lo, s3
	s_and_saveexec_b32 s3, vcc_lo
	s_cbranch_execnz .LBB446_3821
.LBB446_3721:
	s_or_b32 exec_lo, exec_lo, s3
	s_and_saveexec_b32 s3, vcc_lo
	s_cbranch_execnz .LBB446_3822
.LBB446_3722:
	s_or_b32 exec_lo, exec_lo, s3
	s_and_saveexec_b32 s3, vcc_lo
	s_cbranch_execnz .LBB446_3823
.LBB446_3723:
	s_or_b32 exec_lo, exec_lo, s3
	s_and_saveexec_b32 s3, vcc_lo
	s_cbranch_execnz .LBB446_3824
.LBB446_3724:
	s_or_b32 exec_lo, exec_lo, s3
	s_and_saveexec_b32 s3, vcc_lo
	s_cbranch_execnz .LBB446_3825
.LBB446_3725:
	s_or_b32 exec_lo, exec_lo, s3
	s_and_saveexec_b32 s3, vcc_lo
	s_cbranch_execnz .LBB446_3826
.LBB446_3726:
	s_or_b32 exec_lo, exec_lo, s3
	s_and_saveexec_b32 s3, vcc_lo
	s_cbranch_execnz .LBB446_3827
.LBB446_3727:
	s_or_b32 exec_lo, exec_lo, s3
	s_and_saveexec_b32 s3, vcc_lo
	s_cbranch_execz .LBB446_3729
.LBB446_3728:
	ds_load_b32 v1, v1 offset:480
	s_waitcnt lgkmcnt(0)
	v_add_f32_e32 v2, v1, v2
.LBB446_3729:
	s_or_b32 exec_lo, exec_lo, s3
.LBB446_3730:
	s_delay_alu instid0(SALU_CYCLE_1)
	s_or_b32 exec_lo, exec_lo, s2
	s_barrier
	buffer_gl0_inv
	s_and_b32 exec_lo, exec_lo, s0
	s_cbranch_execz .LBB446_3797
; %bb.3731:
	s_and_b32 exec_lo, exec_lo, vcc_lo
	s_cbranch_execz .LBB446_3797
; %bb.3732:
	v_and_b32_e32 v1, 0x7f800000, v0
	s_mov_b32 s0, exec_lo
                                        ; implicit-def: $vgpr17
	s_delay_alu instid0(VALU_DEP_1)
	v_cmpx_ne_u32_e32 0x7f800000, v1
	s_xor_b32 s0, exec_lo, s0
; %bb.3733:
	v_bfe_u32 v1, v0, 16, 1
	s_delay_alu instid0(VALU_DEP_1)
	v_add3_u32 v17, v0, v1, 0x7fff
                                        ; implicit-def: $vgpr0
; %bb.3734:
	s_and_not1_saveexec_b32 s0, s0
; %bb.3735:
	v_and_b32_e32 v1, 0xffff, v0
	v_or_b32_e32 v17, 0x10000, v0
	s_delay_alu instid0(VALU_DEP_2) | instskip(NEXT) | instid1(VALU_DEP_2)
	v_cmp_eq_u32_e32 vcc_lo, 0, v1
	v_cndmask_b32_e32 v17, v17, v0, vcc_lo
; %bb.3736:
	s_or_b32 exec_lo, exec_lo, s0
	s_mul_i32 s2, s1, s4
	s_mul_i32 s0, s6, s1
	;; [unrolled: 1-line block ×3, first 2 shown]
	s_lshl_b32 s2, s14, 7
	s_lshl_b32 s6, s1, 7
	s_ashr_i32 s1, s0, 31
	s_ashr_i32 s3, s2, 31
	;; [unrolled: 1-line block ×3, first 2 shown]
	s_lshl_b64 s[0:1], s[0:1], 1
	s_lshl_b64 s[2:3], s[2:3], 1
	s_lshl_b64 s[6:7], s[6:7], 1
	v_lshrrev_b32_e32 v0, 1, v191
	s_add_u32 s0, s2, s0
	s_addc_u32 s1, s3, s1
	s_add_u32 s0, s0, s6
	s_addc_u32 s1, s1, s7
	v_and_b32_e32 v0, 0x1fe, v0
	v_add_co_u32 v1, vcc_lo, s0, v20
	v_add_co_ci_u32_e32 v18, vcc_lo, s1, v19, vcc_lo
	v_and_b32_e32 v19, 0x7f800000, v16
	s_delay_alu instid0(VALU_DEP_3) | instskip(NEXT) | instid1(VALU_DEP_3)
	v_add_co_u32 v0, vcc_lo, v1, v0
	v_add_co_ci_u32_e32 v1, vcc_lo, 0, v18, vcc_lo
	s_mov_b32 s0, exec_lo
	flat_store_d16_hi_b16 v[0:1], v17
                                        ; implicit-def: $vgpr17
	v_cmpx_ne_u32_e32 0x7f800000, v19
	s_xor_b32 s0, exec_lo, s0
; %bb.3737:
	v_bfe_u32 v17, v16, 16, 1
	s_delay_alu instid0(VALU_DEP_1)
	v_add3_u32 v17, v16, v17, 0x7fff
                                        ; implicit-def: $vgpr16
; %bb.3738:
	s_and_not1_saveexec_b32 s0, s0
; %bb.3739:
	v_and_b32_e32 v17, 0xffff, v16
	v_or_b32_e32 v18, 0x10000, v16
	s_delay_alu instid0(VALU_DEP_2) | instskip(NEXT) | instid1(VALU_DEP_2)
	v_cmp_eq_u32_e32 vcc_lo, 0, v17
	v_cndmask_b32_e32 v17, v18, v16, vcc_lo
; %bb.3740:
	s_or_b32 exec_lo, exec_lo, s0
	v_and_b32_e32 v16, 0x7f800000, v15
	flat_store_d16_hi_b16 v[0:1], v17 offset:16
	v_cmp_ne_u32_e32 vcc_lo, 0x7f800000, v16
                                        ; implicit-def: $vgpr16
	s_and_saveexec_b32 s0, vcc_lo
	s_delay_alu instid0(SALU_CYCLE_1)
	s_xor_b32 s0, exec_lo, s0
; %bb.3741:
	v_bfe_u32 v16, v15, 16, 1
	s_delay_alu instid0(VALU_DEP_1)
	v_add3_u32 v16, v15, v16, 0x7fff
                                        ; implicit-def: $vgpr15
; %bb.3742:
	s_and_not1_saveexec_b32 s0, s0
; %bb.3743:
	v_and_b32_e32 v16, 0xffff, v15
	v_or_b32_e32 v17, 0x10000, v15
	s_delay_alu instid0(VALU_DEP_2) | instskip(NEXT) | instid1(VALU_DEP_2)
	v_cmp_eq_u32_e32 vcc_lo, 0, v16
	v_cndmask_b32_e32 v16, v17, v15, vcc_lo
; %bb.3744:
	s_or_b32 exec_lo, exec_lo, s0
	v_and_b32_e32 v15, 0x7f800000, v14
	flat_store_d16_hi_b16 v[0:1], v16 offset:32
	v_cmp_ne_u32_e32 vcc_lo, 0x7f800000, v15
                                        ; implicit-def: $vgpr15
	s_and_saveexec_b32 s0, vcc_lo
	s_delay_alu instid0(SALU_CYCLE_1)
	s_xor_b32 s0, exec_lo, s0
; %bb.3745:
	v_bfe_u32 v15, v14, 16, 1
	s_delay_alu instid0(VALU_DEP_1)
	v_add3_u32 v15, v14, v15, 0x7fff
                                        ; implicit-def: $vgpr14
; %bb.3746:
	s_and_not1_saveexec_b32 s0, s0
; %bb.3747:
	v_and_b32_e32 v15, 0xffff, v14
	v_or_b32_e32 v16, 0x10000, v14
	s_delay_alu instid0(VALU_DEP_2) | instskip(NEXT) | instid1(VALU_DEP_2)
	v_cmp_eq_u32_e32 vcc_lo, 0, v15
	v_cndmask_b32_e32 v15, v16, v14, vcc_lo
; %bb.3748:
	s_or_b32 exec_lo, exec_lo, s0
	v_and_b32_e32 v14, 0x7f800000, v13
	flat_store_d16_hi_b16 v[0:1], v15 offset:48
	v_cmp_ne_u32_e32 vcc_lo, 0x7f800000, v14
                                        ; implicit-def: $vgpr14
	s_and_saveexec_b32 s0, vcc_lo
	s_delay_alu instid0(SALU_CYCLE_1)
	s_xor_b32 s0, exec_lo, s0
; %bb.3749:
	v_bfe_u32 v14, v13, 16, 1
	s_delay_alu instid0(VALU_DEP_1)
	v_add3_u32 v14, v13, v14, 0x7fff
                                        ; implicit-def: $vgpr13
; %bb.3750:
	s_and_not1_saveexec_b32 s0, s0
; %bb.3751:
	v_and_b32_e32 v14, 0xffff, v13
	v_or_b32_e32 v15, 0x10000, v13
	s_delay_alu instid0(VALU_DEP_2) | instskip(NEXT) | instid1(VALU_DEP_2)
	v_cmp_eq_u32_e32 vcc_lo, 0, v14
	v_cndmask_b32_e32 v14, v15, v13, vcc_lo
; %bb.3752:
	s_or_b32 exec_lo, exec_lo, s0
	v_and_b32_e32 v13, 0x7f800000, v12
	flat_store_d16_hi_b16 v[0:1], v14 offset:64
	v_cmp_ne_u32_e32 vcc_lo, 0x7f800000, v13
                                        ; implicit-def: $vgpr13
	s_and_saveexec_b32 s0, vcc_lo
	s_delay_alu instid0(SALU_CYCLE_1)
	s_xor_b32 s0, exec_lo, s0
; %bb.3753:
	v_bfe_u32 v13, v12, 16, 1
	s_delay_alu instid0(VALU_DEP_1)
	v_add3_u32 v13, v12, v13, 0x7fff
                                        ; implicit-def: $vgpr12
; %bb.3754:
	s_and_not1_saveexec_b32 s0, s0
; %bb.3755:
	v_and_b32_e32 v13, 0xffff, v12
	v_or_b32_e32 v14, 0x10000, v12
	s_delay_alu instid0(VALU_DEP_2) | instskip(NEXT) | instid1(VALU_DEP_2)
	v_cmp_eq_u32_e32 vcc_lo, 0, v13
	v_cndmask_b32_e32 v13, v14, v12, vcc_lo
; %bb.3756:
	s_or_b32 exec_lo, exec_lo, s0
	v_and_b32_e32 v12, 0x7f800000, v11
	flat_store_d16_hi_b16 v[0:1], v13 offset:80
	v_cmp_ne_u32_e32 vcc_lo, 0x7f800000, v12
                                        ; implicit-def: $vgpr12
	s_and_saveexec_b32 s0, vcc_lo
	s_delay_alu instid0(SALU_CYCLE_1)
	s_xor_b32 s0, exec_lo, s0
; %bb.3757:
	v_bfe_u32 v12, v11, 16, 1
	s_delay_alu instid0(VALU_DEP_1)
	v_add3_u32 v12, v11, v12, 0x7fff
                                        ; implicit-def: $vgpr11
; %bb.3758:
	s_and_not1_saveexec_b32 s0, s0
; %bb.3759:
	v_and_b32_e32 v12, 0xffff, v11
	v_or_b32_e32 v13, 0x10000, v11
	s_delay_alu instid0(VALU_DEP_2) | instskip(NEXT) | instid1(VALU_DEP_2)
	v_cmp_eq_u32_e32 vcc_lo, 0, v12
	v_cndmask_b32_e32 v12, v13, v11, vcc_lo
; %bb.3760:
	s_or_b32 exec_lo, exec_lo, s0
	v_and_b32_e32 v11, 0x7f800000, v10
	flat_store_d16_hi_b16 v[0:1], v12 offset:96
	v_cmp_ne_u32_e32 vcc_lo, 0x7f800000, v11
                                        ; implicit-def: $vgpr11
	s_and_saveexec_b32 s0, vcc_lo
	s_delay_alu instid0(SALU_CYCLE_1)
	s_xor_b32 s0, exec_lo, s0
; %bb.3761:
	v_bfe_u32 v11, v10, 16, 1
	s_delay_alu instid0(VALU_DEP_1)
	v_add3_u32 v11, v10, v11, 0x7fff
                                        ; implicit-def: $vgpr10
; %bb.3762:
	s_and_not1_saveexec_b32 s0, s0
; %bb.3763:
	v_and_b32_e32 v11, 0xffff, v10
	v_or_b32_e32 v12, 0x10000, v10
	s_delay_alu instid0(VALU_DEP_2) | instskip(NEXT) | instid1(VALU_DEP_2)
	v_cmp_eq_u32_e32 vcc_lo, 0, v11
	v_cndmask_b32_e32 v11, v12, v10, vcc_lo
; %bb.3764:
	s_or_b32 exec_lo, exec_lo, s0
	v_and_b32_e32 v10, 0x7f800000, v9
	flat_store_d16_hi_b16 v[0:1], v11 offset:112
	v_cmp_ne_u32_e32 vcc_lo, 0x7f800000, v10
                                        ; implicit-def: $vgpr10
	s_and_saveexec_b32 s0, vcc_lo
	s_delay_alu instid0(SALU_CYCLE_1)
	s_xor_b32 s0, exec_lo, s0
; %bb.3765:
	v_bfe_u32 v10, v9, 16, 1
	s_delay_alu instid0(VALU_DEP_1)
	v_add3_u32 v10, v9, v10, 0x7fff
                                        ; implicit-def: $vgpr9
; %bb.3766:
	s_and_not1_saveexec_b32 s0, s0
; %bb.3767:
	v_and_b32_e32 v10, 0xffff, v9
	v_or_b32_e32 v11, 0x10000, v9
	s_delay_alu instid0(VALU_DEP_2) | instskip(NEXT) | instid1(VALU_DEP_2)
	v_cmp_eq_u32_e32 vcc_lo, 0, v10
	v_cndmask_b32_e32 v10, v11, v9, vcc_lo
; %bb.3768:
	s_or_b32 exec_lo, exec_lo, s0
	v_and_b32_e32 v9, 0x7f800000, v8
	flat_store_d16_hi_b16 v[0:1], v10 offset:128
	v_cmp_ne_u32_e32 vcc_lo, 0x7f800000, v9
                                        ; implicit-def: $vgpr9
	s_and_saveexec_b32 s0, vcc_lo
	s_delay_alu instid0(SALU_CYCLE_1)
	s_xor_b32 s0, exec_lo, s0
; %bb.3769:
	v_bfe_u32 v9, v8, 16, 1
	s_delay_alu instid0(VALU_DEP_1)
	v_add3_u32 v9, v8, v9, 0x7fff
                                        ; implicit-def: $vgpr8
; %bb.3770:
	s_and_not1_saveexec_b32 s0, s0
; %bb.3771:
	v_and_b32_e32 v9, 0xffff, v8
	v_or_b32_e32 v10, 0x10000, v8
	s_delay_alu instid0(VALU_DEP_2) | instskip(NEXT) | instid1(VALU_DEP_2)
	v_cmp_eq_u32_e32 vcc_lo, 0, v9
	v_cndmask_b32_e32 v9, v10, v8, vcc_lo
; %bb.3772:
	s_or_b32 exec_lo, exec_lo, s0
	v_and_b32_e32 v8, 0x7f800000, v7
	flat_store_d16_hi_b16 v[0:1], v9 offset:144
	v_cmp_ne_u32_e32 vcc_lo, 0x7f800000, v8
                                        ; implicit-def: $vgpr8
	s_and_saveexec_b32 s0, vcc_lo
	s_delay_alu instid0(SALU_CYCLE_1)
	s_xor_b32 s0, exec_lo, s0
; %bb.3773:
	v_bfe_u32 v8, v7, 16, 1
	s_delay_alu instid0(VALU_DEP_1)
	v_add3_u32 v8, v7, v8, 0x7fff
                                        ; implicit-def: $vgpr7
; %bb.3774:
	s_and_not1_saveexec_b32 s0, s0
; %bb.3775:
	v_and_b32_e32 v8, 0xffff, v7
	v_or_b32_e32 v9, 0x10000, v7
	s_delay_alu instid0(VALU_DEP_2) | instskip(NEXT) | instid1(VALU_DEP_2)
	v_cmp_eq_u32_e32 vcc_lo, 0, v8
	v_cndmask_b32_e32 v8, v9, v7, vcc_lo
; %bb.3776:
	s_or_b32 exec_lo, exec_lo, s0
	v_and_b32_e32 v7, 0x7f800000, v6
	flat_store_d16_hi_b16 v[0:1], v8 offset:160
	v_cmp_ne_u32_e32 vcc_lo, 0x7f800000, v7
                                        ; implicit-def: $vgpr7
	s_and_saveexec_b32 s0, vcc_lo
	s_delay_alu instid0(SALU_CYCLE_1)
	s_xor_b32 s0, exec_lo, s0
; %bb.3777:
	v_bfe_u32 v7, v6, 16, 1
	s_delay_alu instid0(VALU_DEP_1)
	v_add3_u32 v7, v6, v7, 0x7fff
                                        ; implicit-def: $vgpr6
; %bb.3778:
	s_and_not1_saveexec_b32 s0, s0
; %bb.3779:
	v_and_b32_e32 v7, 0xffff, v6
	v_or_b32_e32 v8, 0x10000, v6
	s_delay_alu instid0(VALU_DEP_2) | instskip(NEXT) | instid1(VALU_DEP_2)
	v_cmp_eq_u32_e32 vcc_lo, 0, v7
	v_cndmask_b32_e32 v7, v8, v6, vcc_lo
; %bb.3780:
	s_or_b32 exec_lo, exec_lo, s0
	v_and_b32_e32 v6, 0x7f800000, v5
	flat_store_d16_hi_b16 v[0:1], v7 offset:176
	v_cmp_ne_u32_e32 vcc_lo, 0x7f800000, v6
                                        ; implicit-def: $vgpr6
	s_and_saveexec_b32 s0, vcc_lo
	s_delay_alu instid0(SALU_CYCLE_1)
	s_xor_b32 s0, exec_lo, s0
; %bb.3781:
	v_bfe_u32 v6, v5, 16, 1
	s_delay_alu instid0(VALU_DEP_1)
	v_add3_u32 v6, v5, v6, 0x7fff
                                        ; implicit-def: $vgpr5
; %bb.3782:
	s_and_not1_saveexec_b32 s0, s0
; %bb.3783:
	v_and_b32_e32 v6, 0xffff, v5
	v_or_b32_e32 v7, 0x10000, v5
	s_delay_alu instid0(VALU_DEP_2) | instskip(NEXT) | instid1(VALU_DEP_2)
	v_cmp_eq_u32_e32 vcc_lo, 0, v6
	v_cndmask_b32_e32 v6, v7, v5, vcc_lo
; %bb.3784:
	s_or_b32 exec_lo, exec_lo, s0
	v_and_b32_e32 v5, 0x7f800000, v4
	flat_store_d16_hi_b16 v[0:1], v6 offset:192
	v_cmp_ne_u32_e32 vcc_lo, 0x7f800000, v5
                                        ; implicit-def: $vgpr5
	s_and_saveexec_b32 s0, vcc_lo
	s_delay_alu instid0(SALU_CYCLE_1)
	s_xor_b32 s0, exec_lo, s0
; %bb.3785:
	v_bfe_u32 v5, v4, 16, 1
	s_delay_alu instid0(VALU_DEP_1)
	v_add3_u32 v5, v4, v5, 0x7fff
                                        ; implicit-def: $vgpr4
; %bb.3786:
	s_and_not1_saveexec_b32 s0, s0
; %bb.3787:
	v_and_b32_e32 v5, 0xffff, v4
	v_or_b32_e32 v6, 0x10000, v4
	s_delay_alu instid0(VALU_DEP_2) | instskip(NEXT) | instid1(VALU_DEP_2)
	v_cmp_eq_u32_e32 vcc_lo, 0, v5
	v_cndmask_b32_e32 v5, v6, v4, vcc_lo
; %bb.3788:
	s_or_b32 exec_lo, exec_lo, s0
	v_and_b32_e32 v4, 0x7f800000, v3
	flat_store_d16_hi_b16 v[0:1], v5 offset:208
	v_cmp_ne_u32_e32 vcc_lo, 0x7f800000, v4
                                        ; implicit-def: $vgpr4
	s_and_saveexec_b32 s0, vcc_lo
	s_delay_alu instid0(SALU_CYCLE_1)
	s_xor_b32 s0, exec_lo, s0
; %bb.3789:
	v_bfe_u32 v4, v3, 16, 1
	s_delay_alu instid0(VALU_DEP_1)
	v_add3_u32 v4, v3, v4, 0x7fff
                                        ; implicit-def: $vgpr3
; %bb.3790:
	s_and_not1_saveexec_b32 s0, s0
; %bb.3791:
	v_and_b32_e32 v4, 0xffff, v3
	v_or_b32_e32 v5, 0x10000, v3
	s_delay_alu instid0(VALU_DEP_2) | instskip(NEXT) | instid1(VALU_DEP_2)
	v_cmp_eq_u32_e32 vcc_lo, 0, v4
	v_cndmask_b32_e32 v4, v5, v3, vcc_lo
; %bb.3792:
	s_or_b32 exec_lo, exec_lo, s0
	v_and_b32_e32 v3, 0x7f800000, v2
	flat_store_d16_hi_b16 v[0:1], v4 offset:224
	v_cmp_ne_u32_e32 vcc_lo, 0x7f800000, v3
                                        ; implicit-def: $vgpr3
	s_and_saveexec_b32 s0, vcc_lo
	s_delay_alu instid0(SALU_CYCLE_1)
	s_xor_b32 s0, exec_lo, s0
; %bb.3793:
	v_bfe_u32 v3, v2, 16, 1
	s_delay_alu instid0(VALU_DEP_1)
	v_add3_u32 v3, v2, v3, 0x7fff
                                        ; implicit-def: $vgpr2
; %bb.3794:
	s_and_not1_saveexec_b32 s0, s0
; %bb.3795:
	v_and_b32_e32 v3, 0xffff, v2
	v_or_b32_e32 v4, 0x10000, v2
	s_delay_alu instid0(VALU_DEP_2) | instskip(NEXT) | instid1(VALU_DEP_2)
	v_cmp_eq_u32_e32 vcc_lo, 0, v3
	v_cndmask_b32_e32 v3, v4, v2, vcc_lo
; %bb.3796:
	s_or_b32 exec_lo, exec_lo, s0
	flat_store_d16_hi_b16 v[0:1], v3 offset:240
.LBB446_3797:
	s_or_b32 exec_lo, exec_lo, s5
	s_clause 0x1f
	scratch_load_b32 v191, off, s32 offset:8
	scratch_load_b32 v190, off, s32 offset:12
	;; [unrolled: 1-line block ×32, first 2 shown]
	s_clause 0x1f
	scratch_load_b32 v127, off, s32 offset:136
	scratch_load_b32 v126, off, s32 offset:140
	;; [unrolled: 1-line block ×32, first 2 shown]
	s_clause 0xf
	scratch_load_b32 v63, off, s32 offset:264
	scratch_load_b32 v62, off, s32 offset:268
	;; [unrolled: 1-line block ×16, first 2 shown]
	s_waitcnt vmcnt(0) lgkmcnt(0)
	s_setpc_b64 s[30:31]
.LBB446_3798:
	v_lshl_add_u32 v18, v1, 2, v17
	ds_load_b32 v18, v18
	s_waitcnt lgkmcnt(0)
	v_add_f32_e32 v0, v18, v0
	s_or_b32 exec_lo, exec_lo, s0
	s_and_saveexec_b32 s0, vcc_lo
	s_cbranch_execz .LBB446_3693
.LBB446_3799:
	v_lshl_add_u32 v18, v1, 2, v17
	ds_load_b32 v18, v18 offset:32
	s_waitcnt lgkmcnt(0)
	v_add_f32_e32 v16, v18, v16
	s_or_b32 exec_lo, exec_lo, s0
	s_and_saveexec_b32 s0, vcc_lo
	s_cbranch_execz .LBB446_3694
.LBB446_3800:
	v_lshl_add_u32 v18, v1, 2, v17
	ds_load_b32 v18, v18 offset:64
	s_waitcnt lgkmcnt(0)
	v_add_f32_e32 v15, v18, v15
	s_or_b32 exec_lo, exec_lo, s0
	s_and_saveexec_b32 s0, vcc_lo
	s_cbranch_execz .LBB446_3695
.LBB446_3801:
	v_lshl_add_u32 v18, v1, 2, v17
	ds_load_b32 v18, v18 offset:96
	s_waitcnt lgkmcnt(0)
	v_add_f32_e32 v14, v18, v14
	s_or_b32 exec_lo, exec_lo, s0
	s_and_saveexec_b32 s0, vcc_lo
	s_cbranch_execz .LBB446_3696
.LBB446_3802:
	v_lshl_add_u32 v18, v1, 2, v17
	ds_load_b32 v18, v18 offset:128
	s_waitcnt lgkmcnt(0)
	v_add_f32_e32 v13, v18, v13
	s_or_b32 exec_lo, exec_lo, s0
	s_and_saveexec_b32 s0, vcc_lo
	s_cbranch_execz .LBB446_3697
.LBB446_3803:
	v_lshl_add_u32 v18, v1, 2, v17
	ds_load_b32 v18, v18 offset:160
	s_waitcnt lgkmcnt(0)
	v_add_f32_e32 v12, v18, v12
	s_or_b32 exec_lo, exec_lo, s0
	s_and_saveexec_b32 s0, vcc_lo
	s_cbranch_execz .LBB446_3698
.LBB446_3804:
	v_lshl_add_u32 v18, v1, 2, v17
	ds_load_b32 v18, v18 offset:192
	s_waitcnt lgkmcnt(0)
	v_add_f32_e32 v11, v18, v11
	s_or_b32 exec_lo, exec_lo, s0
	s_and_saveexec_b32 s0, vcc_lo
	s_cbranch_execz .LBB446_3699
.LBB446_3805:
	v_lshl_add_u32 v18, v1, 2, v17
	ds_load_b32 v18, v18 offset:224
	s_waitcnt lgkmcnt(0)
	v_add_f32_e32 v10, v18, v10
	s_or_b32 exec_lo, exec_lo, s0
	s_and_saveexec_b32 s0, vcc_lo
	s_cbranch_execz .LBB446_3700
.LBB446_3806:
	v_lshl_add_u32 v18, v1, 2, v17
	ds_load_b32 v18, v18 offset:256
	s_waitcnt lgkmcnt(0)
	v_add_f32_e32 v9, v18, v9
	s_or_b32 exec_lo, exec_lo, s0
	s_and_saveexec_b32 s0, vcc_lo
	s_cbranch_execz .LBB446_3701
.LBB446_3807:
	v_lshl_add_u32 v18, v1, 2, v17
	ds_load_b32 v18, v18 offset:288
	s_waitcnt lgkmcnt(0)
	v_add_f32_e32 v8, v18, v8
	s_or_b32 exec_lo, exec_lo, s0
	s_and_saveexec_b32 s0, vcc_lo
	s_cbranch_execz .LBB446_3702
.LBB446_3808:
	v_lshl_add_u32 v18, v1, 2, v17
	ds_load_b32 v18, v18 offset:320
	s_waitcnt lgkmcnt(0)
	v_add_f32_e32 v7, v18, v7
	s_or_b32 exec_lo, exec_lo, s0
	s_and_saveexec_b32 s0, vcc_lo
	s_cbranch_execz .LBB446_3703
.LBB446_3809:
	v_lshl_add_u32 v18, v1, 2, v17
	ds_load_b32 v18, v18 offset:352
	s_waitcnt lgkmcnt(0)
	v_add_f32_e32 v6, v18, v6
	s_or_b32 exec_lo, exec_lo, s0
	s_and_saveexec_b32 s0, vcc_lo
	s_cbranch_execz .LBB446_3704
.LBB446_3810:
	v_lshl_add_u32 v18, v1, 2, v17
	ds_load_b32 v18, v18 offset:384
	s_waitcnt lgkmcnt(0)
	v_add_f32_e32 v5, v18, v5
	s_or_b32 exec_lo, exec_lo, s0
	s_and_saveexec_b32 s0, vcc_lo
	s_cbranch_execz .LBB446_3705
.LBB446_3811:
	v_lshl_add_u32 v18, v1, 2, v17
	ds_load_b32 v18, v18 offset:416
	s_waitcnt lgkmcnt(0)
	v_add_f32_e32 v4, v18, v4
	s_or_b32 exec_lo, exec_lo, s0
	s_and_saveexec_b32 s0, vcc_lo
	s_cbranch_execz .LBB446_3706
.LBB446_3812:
	v_lshl_add_u32 v18, v1, 2, v17
	ds_load_b32 v18, v18 offset:448
	s_waitcnt lgkmcnt(0)
	v_add_f32_e32 v3, v18, v3
	s_or_b32 exec_lo, exec_lo, s0
	s_and_saveexec_b32 s0, vcc_lo
	s_cbranch_execnz .LBB446_3707
	s_branch .LBB446_3708
.LBB446_3813:
	ds_load_b32 v17, v1
	s_waitcnt lgkmcnt(0)
	v_add_f32_e32 v0, v17, v0
	s_or_b32 exec_lo, exec_lo, s3
	s_and_saveexec_b32 s3, vcc_lo
	s_cbranch_execz .LBB446_3714
.LBB446_3814:
	ds_load_b32 v17, v1 offset:32
	s_waitcnt lgkmcnt(0)
	v_add_f32_e32 v16, v17, v16
	s_or_b32 exec_lo, exec_lo, s3
	s_and_saveexec_b32 s3, vcc_lo
	s_cbranch_execz .LBB446_3715
.LBB446_3815:
	ds_load_b32 v17, v1 offset:64
	s_waitcnt lgkmcnt(0)
	v_add_f32_e32 v15, v17, v15
	s_or_b32 exec_lo, exec_lo, s3
	s_and_saveexec_b32 s3, vcc_lo
	s_cbranch_execz .LBB446_3716
.LBB446_3816:
	ds_load_b32 v17, v1 offset:96
	s_waitcnt lgkmcnt(0)
	v_add_f32_e32 v14, v17, v14
	s_or_b32 exec_lo, exec_lo, s3
	s_and_saveexec_b32 s3, vcc_lo
	s_cbranch_execz .LBB446_3717
.LBB446_3817:
	ds_load_b32 v17, v1 offset:128
	s_waitcnt lgkmcnt(0)
	v_add_f32_e32 v13, v17, v13
	s_or_b32 exec_lo, exec_lo, s3
	s_and_saveexec_b32 s3, vcc_lo
	s_cbranch_execz .LBB446_3718
.LBB446_3818:
	ds_load_b32 v17, v1 offset:160
	s_waitcnt lgkmcnt(0)
	v_add_f32_e32 v12, v17, v12
	s_or_b32 exec_lo, exec_lo, s3
	s_and_saveexec_b32 s3, vcc_lo
	s_cbranch_execz .LBB446_3719
.LBB446_3819:
	ds_load_b32 v17, v1 offset:192
	s_waitcnt lgkmcnt(0)
	v_add_f32_e32 v11, v17, v11
	s_or_b32 exec_lo, exec_lo, s3
	s_and_saveexec_b32 s3, vcc_lo
	s_cbranch_execz .LBB446_3720
.LBB446_3820:
	ds_load_b32 v17, v1 offset:224
	s_waitcnt lgkmcnt(0)
	v_add_f32_e32 v10, v17, v10
	s_or_b32 exec_lo, exec_lo, s3
	s_and_saveexec_b32 s3, vcc_lo
	s_cbranch_execz .LBB446_3721
.LBB446_3821:
	ds_load_b32 v17, v1 offset:256
	s_waitcnt lgkmcnt(0)
	v_add_f32_e32 v9, v17, v9
	s_or_b32 exec_lo, exec_lo, s3
	s_and_saveexec_b32 s3, vcc_lo
	s_cbranch_execz .LBB446_3722
.LBB446_3822:
	ds_load_b32 v17, v1 offset:288
	s_waitcnt lgkmcnt(0)
	v_add_f32_e32 v8, v17, v8
	s_or_b32 exec_lo, exec_lo, s3
	s_and_saveexec_b32 s3, vcc_lo
	s_cbranch_execz .LBB446_3723
.LBB446_3823:
	ds_load_b32 v17, v1 offset:320
	s_waitcnt lgkmcnt(0)
	v_add_f32_e32 v7, v17, v7
	s_or_b32 exec_lo, exec_lo, s3
	s_and_saveexec_b32 s3, vcc_lo
	s_cbranch_execz .LBB446_3724
.LBB446_3824:
	ds_load_b32 v17, v1 offset:352
	s_waitcnt lgkmcnt(0)
	v_add_f32_e32 v6, v17, v6
	s_or_b32 exec_lo, exec_lo, s3
	s_and_saveexec_b32 s3, vcc_lo
	s_cbranch_execz .LBB446_3725
.LBB446_3825:
	ds_load_b32 v17, v1 offset:384
	s_waitcnt lgkmcnt(0)
	v_add_f32_e32 v5, v17, v5
	s_or_b32 exec_lo, exec_lo, s3
	s_and_saveexec_b32 s3, vcc_lo
	s_cbranch_execz .LBB446_3726
.LBB446_3826:
	ds_load_b32 v17, v1 offset:416
	s_waitcnt lgkmcnt(0)
	v_add_f32_e32 v4, v17, v4
	s_or_b32 exec_lo, exec_lo, s3
	s_and_saveexec_b32 s3, vcc_lo
	s_cbranch_execz .LBB446_3727
.LBB446_3827:
	ds_load_b32 v17, v1 offset:448
	s_waitcnt lgkmcnt(0)
	v_add_f32_e32 v3, v17, v3
	s_or_b32 exec_lo, exec_lo, s3
	s_and_saveexec_b32 s3, vcc_lo
	s_cbranch_execnz .LBB446_3728
	s_branch .LBB446_3729
.Lfunc_end446:
	.size	_ZN4vllm22paged_attention_kernelI14__hip_bfloat16hLi128ELi32ELi128ELNS_18Fp8KVCacheDataTypeE1ELb1ELi512EEEvPfS3_PT_PKS4_PKT0_SA_ifPKiSC_iPKfiiiSE_SE_iiiii, .Lfunc_end446-_ZN4vllm22paged_attention_kernelI14__hip_bfloat16hLi128ELi32ELi128ELNS_18Fp8KVCacheDataTypeE1ELb1ELi512EEEvPfS3_PT_PKS4_PKT0_SA_ifPKiSC_iPKfiiiSE_SE_iiiii
                                        ; -- End function
	.section	.AMDGPU.csdata,"",@progbits
; Function info:
; codeLenInByte = 119216
; NumSgprs: 35
; NumVgprs: 192
; ScratchSize: 816
; MemoryBound: 0
	.section	.text._ZN4vllm25paged_attention_v2_kernelI14__hip_bfloat16hLi128ELi32ELi128ELNS_18Fp8KVCacheDataTypeE1ELb1ELi512EEEvPfS3_PT_PKS4_PKT0_SA_ifPKiSC_iPKfiiiSE_SE_iiiii,"axG",@progbits,_ZN4vllm25paged_attention_v2_kernelI14__hip_bfloat16hLi128ELi32ELi128ELNS_18Fp8KVCacheDataTypeE1ELb1ELi512EEEvPfS3_PT_PKS4_PKT0_SA_ifPKiSC_iPKfiiiSE_SE_iiiii,comdat
	.protected	_ZN4vllm25paged_attention_v2_kernelI14__hip_bfloat16hLi128ELi32ELi128ELNS_18Fp8KVCacheDataTypeE1ELb1ELi512EEEvPfS3_PT_PKS4_PKT0_SA_ifPKiSC_iPKfiiiSE_SE_iiiii ; -- Begin function _ZN4vllm25paged_attention_v2_kernelI14__hip_bfloat16hLi128ELi32ELi128ELNS_18Fp8KVCacheDataTypeE1ELb1ELi512EEEvPfS3_PT_PKS4_PKT0_SA_ifPKiSC_iPKfiiiSE_SE_iiiii
	.globl	_ZN4vllm25paged_attention_v2_kernelI14__hip_bfloat16hLi128ELi32ELi128ELNS_18Fp8KVCacheDataTypeE1ELb1ELi512EEEvPfS3_PT_PKS4_PKT0_SA_ifPKiSC_iPKfiiiSE_SE_iiiii
	.p2align	8
	.type	_ZN4vllm25paged_attention_v2_kernelI14__hip_bfloat16hLi128ELi32ELi128ELNS_18Fp8KVCacheDataTypeE1ELb1ELi512EEEvPfS3_PT_PKS4_PKT0_SA_ifPKiSC_iPKfiiiSE_SE_iiiii,@function
_ZN4vllm25paged_attention_v2_kernelI14__hip_bfloat16hLi128ELi32ELi128ELNS_18Fp8KVCacheDataTypeE1ELb1ELi512EEEvPfS3_PT_PKS4_PKT0_SA_ifPKiSC_iPKfiiiSE_SE_iiiii: ; @_ZN4vllm25paged_attention_v2_kernelI14__hip_bfloat16hLi128ELi32ELi128ELNS_18Fp8KVCacheDataTypeE1ELb1ELi512EEEvPfS3_PT_PKS4_PKT0_SA_ifPKiSC_iPKfiiiSE_SE_iiiii
; %bb.0:
	s_mov_b32 s12, s13
	s_clause 0x7
	s_load_b128 s[4:7], s[0:1], 0x78
	s_load_b32 s8, s[0:1], 0x88
	s_load_b256 s[24:31], s[0:1], 0x0
	s_load_b256 s[36:43], s[0:1], 0x20
	s_load_b64 s[2:3], s[0:1], 0x40
	s_load_b64 s[10:11], s[0:1], 0x50
	s_load_b32 s13, s[0:1], 0x48
	s_load_b256 s[16:23], s[0:1], 0x58
	s_mov_b32 s32, 0
	v_mov_b32_e32 v31, v0
	s_waitcnt lgkmcnt(0)
	v_dual_mov_b32 v1, s7 :: v_dual_mov_b32 v2, s8
	v_dual_mov_b32 v0, s24 :: v_dual_mov_b32 v3, s27
	;; [unrolled: 1-line block ×3, first 2 shown]
	v_mov_b32_e32 v6, s30
	scratch_store_b64 off, v[1:2], s32
	v_dual_mov_b32 v1, s25 :: v_dual_mov_b32 v2, s26
	v_dual_mov_b32 v7, s31 :: v_dual_mov_b32 v8, s36
	;; [unrolled: 1-line block ×13, first 2 shown]
	s_add_u32 s8, s0, 0x90
	s_addc_u32 s9, s1, 0
	s_mov_b32 s13, s14
	s_mov_b32 s14, s15
	;; [unrolled: 1-line block ×3, first 2 shown]
	s_getpc_b64 s[0:1]
	s_add_u32 s0, s0, _ZN4vllm22paged_attention_kernelI14__hip_bfloat16hLi128ELi32ELi128ELNS_18Fp8KVCacheDataTypeE1ELb1ELi512EEEvPfS3_PT_PKS4_PKT0_SA_ifPKiSC_iPKfiiiSE_SE_iiiii@rel32@lo+4
	s_addc_u32 s1, s1, _ZN4vllm22paged_attention_kernelI14__hip_bfloat16hLi128ELi32ELi128ELNS_18Fp8KVCacheDataTypeE1ELb1ELi512EEEvPfS3_PT_PKS4_PKT0_SA_ifPKiSC_iPKfiiiSE_SE_iiiii@rel32@hi+12
	s_delay_alu instid0(SALU_CYCLE_1)
	s_swappc_b64 s[30:31], s[0:1]
	s_endpgm
	.section	.rodata,"a",@progbits
	.p2align	6, 0x0
	.amdhsa_kernel _ZN4vllm25paged_attention_v2_kernelI14__hip_bfloat16hLi128ELi32ELi128ELNS_18Fp8KVCacheDataTypeE1ELb1ELi512EEEvPfS3_PT_PKS4_PKT0_SA_ifPKiSC_iPKfiiiSE_SE_iiiii
		.amdhsa_group_segment_fixed_size 288
		.amdhsa_private_segment_fixed_size 816
		.amdhsa_kernarg_size 400
		.amdhsa_user_sgpr_count 13
		.amdhsa_user_sgpr_dispatch_ptr 0
		.amdhsa_user_sgpr_queue_ptr 0
		.amdhsa_user_sgpr_kernarg_segment_ptr 1
		.amdhsa_user_sgpr_dispatch_id 0
		.amdhsa_user_sgpr_private_segment_size 0
		.amdhsa_wavefront_size32 1
		.amdhsa_uses_dynamic_stack 0
		.amdhsa_enable_private_segment 1
		.amdhsa_system_sgpr_workgroup_id_x 1
		.amdhsa_system_sgpr_workgroup_id_y 1
		.amdhsa_system_sgpr_workgroup_id_z 1
		.amdhsa_system_sgpr_workgroup_info 0
		.amdhsa_system_vgpr_workitem_id 0
		.amdhsa_next_free_vgpr 192
		.amdhsa_next_free_sgpr 44
		.amdhsa_reserve_vcc 1
		.amdhsa_float_round_mode_32 0
		.amdhsa_float_round_mode_16_64 0
		.amdhsa_float_denorm_mode_32 3
		.amdhsa_float_denorm_mode_16_64 3
		.amdhsa_dx10_clamp 1
		.amdhsa_ieee_mode 1
		.amdhsa_fp16_overflow 0
		.amdhsa_workgroup_processor_mode 1
		.amdhsa_memory_ordered 1
		.amdhsa_forward_progress 0
		.amdhsa_shared_vgpr_count 0
		.amdhsa_exception_fp_ieee_invalid_op 0
		.amdhsa_exception_fp_denorm_src 0
		.amdhsa_exception_fp_ieee_div_zero 0
		.amdhsa_exception_fp_ieee_overflow 0
		.amdhsa_exception_fp_ieee_underflow 0
		.amdhsa_exception_fp_ieee_inexact 0
		.amdhsa_exception_int_div_zero 0
	.end_amdhsa_kernel
	.section	.text._ZN4vllm25paged_attention_v2_kernelI14__hip_bfloat16hLi128ELi32ELi128ELNS_18Fp8KVCacheDataTypeE1ELb1ELi512EEEvPfS3_PT_PKS4_PKT0_SA_ifPKiSC_iPKfiiiSE_SE_iiiii,"axG",@progbits,_ZN4vllm25paged_attention_v2_kernelI14__hip_bfloat16hLi128ELi32ELi128ELNS_18Fp8KVCacheDataTypeE1ELb1ELi512EEEvPfS3_PT_PKS4_PKT0_SA_ifPKiSC_iPKfiiiSE_SE_iiiii,comdat
.Lfunc_end447:
	.size	_ZN4vllm25paged_attention_v2_kernelI14__hip_bfloat16hLi128ELi32ELi128ELNS_18Fp8KVCacheDataTypeE1ELb1ELi512EEEvPfS3_PT_PKS4_PKT0_SA_ifPKiSC_iPKfiiiSE_SE_iiiii, .Lfunc_end447-_ZN4vllm25paged_attention_v2_kernelI14__hip_bfloat16hLi128ELi32ELi128ELNS_18Fp8KVCacheDataTypeE1ELb1ELi512EEEvPfS3_PT_PKS4_PKT0_SA_ifPKiSC_iPKfiiiSE_SE_iiiii
                                        ; -- End function
	.section	.AMDGPU.csdata,"",@progbits
; Kernel info:
; codeLenInByte = 280
; NumSgprs: 46
; NumVgprs: 192
; ScratchSize: 816
; MemoryBound: 0
; FloatMode: 240
; IeeeMode: 1
; LDSByteSize: 288 bytes/workgroup (compile time only)
; SGPRBlocks: 5
; VGPRBlocks: 23
; NumSGPRsForWavesPerEU: 46
; NumVGPRsForWavesPerEU: 192
; Occupancy: 8
; WaveLimiterHint : 1
; COMPUTE_PGM_RSRC2:SCRATCH_EN: 1
; COMPUTE_PGM_RSRC2:USER_SGPR: 13
; COMPUTE_PGM_RSRC2:TRAP_HANDLER: 0
; COMPUTE_PGM_RSRC2:TGID_X_EN: 1
; COMPUTE_PGM_RSRC2:TGID_Y_EN: 1
; COMPUTE_PGM_RSRC2:TGID_Z_EN: 1
; COMPUTE_PGM_RSRC2:TIDIG_COMP_CNT: 0
	.text
	.p2align	2                               ; -- Begin function _ZN4vllm22paged_attention_kernelI14__hip_bfloat16hLi192ELi32ELi128ELNS_18Fp8KVCacheDataTypeE1ELb1ELi512EEEvPfS3_PT_PKS4_PKT0_SA_ifPKiSC_iPKfiiiSE_SE_iiiii
	.type	_ZN4vllm22paged_attention_kernelI14__hip_bfloat16hLi192ELi32ELi128ELNS_18Fp8KVCacheDataTypeE1ELb1ELi512EEEvPfS3_PT_PKS4_PKT0_SA_ifPKiSC_iPKfiiiSE_SE_iiiii,@function
_ZN4vllm22paged_attention_kernelI14__hip_bfloat16hLi192ELi32ELi128ELNS_18Fp8KVCacheDataTypeE1ELb1ELi512EEEvPfS3_PT_PKS4_PKT0_SA_ifPKiSC_iPKfiiiSE_SE_iiiii: ; @_ZN4vllm22paged_attention_kernelI14__hip_bfloat16hLi192ELi32ELi128ELNS_18Fp8KVCacheDataTypeE1ELb1ELi512EEEvPfS3_PT_PKS4_PKT0_SA_ifPKiSC_iPKfiiiSE_SE_iiiii
; %bb.0:
	s_waitcnt vmcnt(0) expcnt(0) lgkmcnt(0)
	s_clause 0x1f
	scratch_store_b32 off, v40, s32 offset:324
	; meta instruction
	scratch_store_b32 off, v41, s32 offset:320
	; meta instruction
	;; [unrolled: 2-line block ×31, first 2 shown]
	scratch_store_b32 off, v95, s32 offset:200
	s_clause 0x1f
	scratch_store_b32 off, v104, s32 offset:196
	; meta instruction
	scratch_store_b32 off, v105, s32 offset:192
	; meta instruction
	;; [unrolled: 2-line block ×31, first 2 shown]
	scratch_store_b32 off, v159, s32 offset:72
	s_clause 0xf
	scratch_store_b32 off, v168, s32 offset:68
	; meta instruction
	scratch_store_b32 off, v169, s32 offset:64
	; meta instruction
	;; [unrolled: 2-line block ×15, first 2 shown]
	scratch_store_b32 off, v191, s32 offset:8
	s_mov_b32 s4, s13
	s_ashr_i32 s5, s13, 31
	s_clause 0x3
	scratch_store_b64 off, v[26:27], s32 offset:576
	scratch_store_b64 off, v[24:25], s32 offset:428
	scratch_store_b32 off, v22, s32 offset:400
	scratch_store_b32 off, v13, s32 offset:436
	s_lshl_b64 s[0:1], s[4:5], 2
	v_mov_b32_e32 v24, v0
	v_add_co_u32 v0, vcc_lo, v16, s0
	v_mov_b32_e32 v22, v1
	v_add_co_ci_u32_e32 v1, vcc_lo, s1, v17, vcc_lo
	s_clause 0x1
	scratch_store_b32 off, v5, s32 offset:1248
	scratch_store_b32 off, v4, s32 offset:1252
	flat_load_b32 v36, v[0:1]
	s_clause 0x1
	scratch_load_b32 v0, off, s32 offset:4
	scratch_load_b32 v1, off, s32
	v_dual_mov_b32 v26, v11 :: v_dual_mov_b32 v25, v10
	v_dual_mov_b32 v27, v3 :: v_dual_mov_b32 v32, v2
	s_lshl_b32 s19, s14, 9
	s_mov_b32 s5, exec_lo
	s_waitcnt vmcnt(2) lgkmcnt(0)
	v_cmpx_lt_i32_e64 s19, v36
	s_cbranch_execnz .LBB448_1
; %bb.5700:
	s_getpc_b64 s[26:27]
.Lpost_getpc4:
	s_add_u32 s26, s26, (.LBB448_5653-.Lpost_getpc4)&4294967295
	s_addc_u32 s27, s27, (.LBB448_5653-.Lpost_getpc4)>>32
	s_setpc_b64 s[26:27]
.LBB448_1:
	v_sub_nc_u32_e32 v2, 0, v12
	s_clause 0x1
	s_load_b32 s0, s[8:9], 0x10
	s_load_b32 s1, s[8:9], 0x0
	s_mov_b32 s10, s15
	v_max_i32_e32 v2, v12, v2
	s_delay_alu instid0(VALU_DEP_1) | instskip(SKIP_1) | instid1(VALU_DEP_2)
	v_cvt_f32_u32_e32 v3, v2
	v_sub_nc_u32_e32 v4, 0, v2
	v_rcp_iflag_f32_e32 v3, v3
	s_waitcnt lgkmcnt(0)
	s_lshr_b32 s0, s0, 16
	s_delay_alu instid0(SALU_CYCLE_1)
	s_cmp_lg_u32 s0, 0
	s_cselect_b32 s0, -1, 0
	s_waitcnt_depctr 0xfff
	v_mul_f32_e32 v3, 0x4f7ffffe, v3
	s_cmp_lg_u32 s0, 0
	s_addc_u32 s18, s1, 0
	s_mov_b32 s1, exec_lo
	s_delay_alu instid0(VALU_DEP_1) | instskip(SKIP_1) | instid1(VALU_DEP_1)
	v_cvt_u32_f32_e32 v3, v3
	s_abs_i32 s0, s18
	v_mul_lo_u32 v4, v4, v3
	s_delay_alu instid0(VALU_DEP_1) | instskip(NEXT) | instid1(VALU_DEP_1)
	v_mul_hi_u32 v4, v3, v4
	v_add_nc_u32_e32 v3, v3, v4
	s_delay_alu instid0(VALU_DEP_1) | instskip(NEXT) | instid1(VALU_DEP_1)
	v_mul_hi_u32 v3, s0, v3
	v_mul_lo_u32 v4, v3, v2
	v_add_nc_u32_e32 v5, 1, v3
	s_delay_alu instid0(VALU_DEP_2) | instskip(SKIP_1) | instid1(VALU_DEP_1)
	v_sub_nc_u32_e32 v4, s0, v4
	s_abs_i32 s0, s12
	v_sub_nc_u32_e32 v10, v4, v2
	v_cmp_ge_u32_e32 vcc_lo, v4, v2
	s_delay_alu instid0(VALU_DEP_2) | instskip(SKIP_1) | instid1(VALU_DEP_2)
	v_dual_cndmask_b32 v3, v3, v5 :: v_dual_cndmask_b32 v4, v4, v10
	v_xor_b32_e32 v5, s18, v12
	v_add_nc_u32_e32 v10, 1, v3
	s_delay_alu instid0(VALU_DEP_3) | instskip(NEXT) | instid1(VALU_DEP_3)
	v_cmp_ge_u32_e32 vcc_lo, v4, v2
	v_ashrrev_i32_e32 v5, 31, v5
	s_delay_alu instid0(VALU_DEP_3) | instskip(NEXT) | instid1(VALU_DEP_1)
	v_cndmask_b32_e32 v2, v3, v10, vcc_lo
	v_xor_b32_e32 v2, v2, v5
	s_delay_alu instid0(VALU_DEP_1) | instskip(NEXT) | instid1(VALU_DEP_1)
	v_sub_nc_u32_e32 v3, v2, v5
	v_sub_nc_u32_e32 v2, 0, v3
	s_delay_alu instid0(VALU_DEP_1) | instskip(NEXT) | instid1(VALU_DEP_1)
	v_max_i32_e32 v2, v3, v2
	v_cvt_f32_u32_e32 v4, v2
	v_sub_nc_u32_e32 v5, 0, v2
	s_delay_alu instid0(VALU_DEP_2) | instskip(SKIP_2) | instid1(VALU_DEP_1)
	v_rcp_iflag_f32_e32 v4, v4
	s_waitcnt_depctr 0xfff
	v_mul_f32_e32 v4, 0x4f7ffffe, v4
	v_cvt_u32_f32_e32 v4, v4
	s_delay_alu instid0(VALU_DEP_1) | instskip(NEXT) | instid1(VALU_DEP_1)
	v_mul_lo_u32 v5, v5, v4
	v_mul_hi_u32 v5, v4, v5
	s_delay_alu instid0(VALU_DEP_1) | instskip(NEXT) | instid1(VALU_DEP_1)
	v_add_nc_u32_e32 v4, v4, v5
	v_mad_u64_u32 v[16:17], null, s0, v4, 0
	v_mov_b32_e32 v4, 0
	scratch_store_b32 off, v4, s32 offset:440 ; 4-byte Folded Spill
	v_cmpx_ne_u64_e32 0, v[19:20]
	s_cbranch_execz .LBB448_3
; %bb.2:
	s_ashr_i32 s13, s12, 31
	s_delay_alu instid0(SALU_CYCLE_1) | instskip(NEXT) | instid1(SALU_CYCLE_1)
	s_lshl_b64 s[2:3], s[12:13], 2
	v_add_co_u32 v4, vcc_lo, v19, s2
	v_add_co_ci_u32_e32 v5, vcc_lo, s3, v20, vcc_lo
	flat_load_b32 v4, v[4:5]
	s_waitcnt vmcnt(0) lgkmcnt(0)
	scratch_store_b32 off, v4, s32 offset:440 ; 4-byte Folded Spill
.LBB448_3:
	s_or_b32 exec_lo, exec_lo, s1
	v_and_b32_e32 v4, 0x3ff, v31
	v_ashrrev_i32_e32 v3, 31, v3
	s_ashr_i32 s1, s12, 31
	s_mul_i32 s6, s12, 0xc0
	s_mov_b32 s2, exec_lo
	scratch_store_b32 off, v4, s32 offset:572 ; 4-byte Folded Spill
	v_cmpx_gt_u32_e32 24, v4
	s_cbranch_execz .LBB448_5
; %bb.4:
	scratch_load_b32 v10, off, s32 offset:572 ; 4-byte Folded Reload
	v_mul_lo_u32 v4, s4, v21
	s_ashr_i32 s7, s6, 31
	s_delay_alu instid0(SALU_CYCLE_1) | instskip(NEXT) | instid1(VALU_DEP_1)
	s_lshl_b64 s[16:17], s[6:7], 1
	v_ashrrev_i32_e32 v5, 31, v4
	s_delay_alu instid0(VALU_DEP_1) | instskip(NEXT) | instid1(VALU_DEP_1)
	v_lshlrev_b64 v[4:5], 1, v[4:5]
	v_add_co_u32 v4, vcc_lo, v6, v4
	s_delay_alu instid0(VALU_DEP_2) | instskip(NEXT) | instid1(VALU_DEP_2)
	v_add_co_ci_u32_e32 v5, vcc_lo, v7, v5, vcc_lo
	v_add_co_u32 v4, vcc_lo, v4, s16
	s_delay_alu instid0(VALU_DEP_2) | instskip(SKIP_2) | instid1(VALU_DEP_1)
	v_add_co_ci_u32_e32 v5, vcc_lo, s17, v5, vcc_lo
	s_waitcnt vmcnt(0)
	v_lshlrev_b32_e32 v10, 4, v10
	v_add_co_u32 v4, vcc_lo, v4, v10
	s_delay_alu instid0(VALU_DEP_3)
	v_add_co_ci_u32_e32 v5, vcc_lo, 0, v5, vcc_lo
	flat_load_b128 v[4:7], v[4:5]
	s_waitcnt vmcnt(0) lgkmcnt(0)
	ds_store_b128 v10, v[4:7]
.LBB448_5:
	s_or_b32 exec_lo, exec_lo, s2
	s_waitcnt vmcnt(0)
	v_sub_nc_u32_e32 v4, 0, v1
	v_mul_lo_u32 v5, v17, v2
	v_xor_b32_e32 v3, s1, v3
	v_add_nc_u32_e32 v7, 1, v17
	s_delay_alu instid0(VALU_DEP_4) | instskip(NEXT) | instid1(VALU_DEP_4)
	v_max_i32_e32 v39, v1, v4
	v_sub_nc_u32_e32 v5, s0, v5
	s_delay_alu instid0(VALU_DEP_2) | instskip(SKIP_1) | instid1(VALU_DEP_2)
	v_cvt_f32_u32_e32 v4, v39
	s_mov_b32 s0, exec_lo
	v_sub_nc_u32_e32 v10, v5, v2
	s_delay_alu instid0(VALU_DEP_2) | instskip(SKIP_3) | instid1(VALU_DEP_1)
	v_rcp_iflag_f32_e32 v4, v4
	v_cmp_ge_u32_e32 vcc_lo, v5, v2
	s_waitcnt_depctr 0xfff
	v_dual_cndmask_b32 v7, v17, v7 :: v_dual_mul_f32 v4, 0x4f7ffffe, v4
	v_cvt_u32_f32_e32 v6, v4
	v_sub_nc_u32_e32 v4, 0, v39
	s_delay_alu instid0(VALU_DEP_1) | instskip(SKIP_2) | instid1(VALU_DEP_2)
	v_mul_lo_u32 v11, v4, v6
	v_dual_cndmask_b32 v5, v5, v10 :: v_dual_add_nc_u32 v4, -1, v36
	v_add_nc_u32_e32 v10, 1, v7
	v_sub_nc_u32_e32 v13, 0, v4
	s_delay_alu instid0(VALU_DEP_3) | instskip(SKIP_1) | instid1(VALU_DEP_3)
	v_cmp_ge_u32_e32 vcc_lo, v5, v2
	v_mul_hi_u32 v11, v6, v11
	v_max_i32_e32 v2, v4, v13
	s_delay_alu instid0(VALU_DEP_2) | instskip(NEXT) | instid1(VALU_DEP_1)
	v_dual_cndmask_b32 v5, v7, v10 :: v_dual_add_nc_u32 v10, v6, v11
	v_xor_b32_e32 v5, v5, v3
	s_delay_alu instid0(VALU_DEP_2) | instskip(NEXT) | instid1(VALU_DEP_2)
	v_mad_u64_u32 v[6:7], null, v2, v10, 0
	v_sub_nc_u32_e32 v6, v5, v3
	scratch_store_b32 off, v10, s32 offset:344 ; 4-byte Folded Spill
	s_waitcnt lgkmcnt(0)
	s_waitcnt_vscnt null, 0x0
	s_barrier
	buffer_gl0_inv
                                        ; implicit-def: $vgpr3
	scratch_store_b64 off, v[3:4], s32 offset:328 ; 8-byte Folded Spill
	v_cmpx_gt_i32_e32 0, v0
	s_xor_b32 s0, exec_lo, s0
	s_cbranch_execz .LBB448_7
; %bb.6:
	v_mad_u64_u32 v[10:11], null, v28, v12, v[6:7]
                                        ; implicit-def: $vgpr28
	s_delay_alu instid0(VALU_DEP_1) | instskip(NEXT) | instid1(VALU_DEP_1)
	v_mul_lo_u32 v0, v10, v0
	v_sub_nc_u32_e32 v0, 1, v0
	scratch_store_b64 off, v[0:1], s32 offset:328 ; 8-byte Folded Spill
                                        ; implicit-def: $vgpr0
.LBB448_7:
	s_or_saveexec_b32 s0, s0
	v_ashrrev_i32_e32 v3, 31, v4
	v_ashrrev_i32_e32 v1, 31, v1
	scratch_store_b32 off, v1, s32 offset:336 ; 4-byte Folded Spill
	s_xor_b32 exec_lo, exec_lo, s0
	s_cbranch_execz .LBB448_9
; %bb.8:
	v_mad_u64_u32 v[4:5], null, s18, v28, s[12:13]
	s_delay_alu instid0(VALU_DEP_1)
	v_mad_u64_u32 v[10:11], null, v4, v0, 1
	scratch_store_b64 off, v[10:11], s32 offset:328 ; 8-byte Folded Spill
.LBB448_9:
	s_or_b32 exec_lo, exec_lo, s0
	s_clause 0x1
	s_load_b32 s13, s[8:9], 0x14
	s_load_b32 s7, s[8:9], 0x8
	scratch_load_b32 v10, off, s32 offset:336 ; 4-byte Folded Reload
	v_mul_lo_u32 v0, v7, v39
	s_lshl_b32 s3, s14, 4
	v_mul_lo_u32 v12, v6, v23
	s_add_i32 s0, s3, 16
	v_sub_nc_u32_e32 v16, 0, v30
	v_mov_b32_e32 v115, 0xff7fffff
	s_delay_alu instid0(VALU_DEP_4) | instskip(SKIP_1) | instid1(VALU_DEP_2)
	v_sub_nc_u32_e32 v2, v2, v0
	v_add_nc_u32_e32 v0, 1, v7
	v_sub_nc_u32_e32 v5, v2, v39
	v_cmp_ge_u32_e32 vcc_lo, v2, v39
	s_delay_alu instid0(VALU_DEP_2) | instskip(NEXT) | instid1(VALU_DEP_1)
	v_dual_cndmask_b32 v2, v2, v5 :: v_dual_add_nc_u32 v1, 31, v36
	v_ashrrev_i32_e32 v4, 31, v1
	s_delay_alu instid0(VALU_DEP_1)
	v_lshrrev_b32_e32 v4, 27, v4
	s_waitcnt vmcnt(0)
	v_xor_b32_e32 v3, v3, v10
	scratch_load_b32 v10, off, s32 offset:572 ; 4-byte Folded Reload
	v_cndmask_b32_e32 v7, v7, v0, vcc_lo
	v_cmp_ge_u32_e32 vcc_lo, v2, v39
	v_add_nc_u32_e32 v1, v1, v4
	v_mul_lo_u32 v0, s4, v18
	s_waitcnt vmcnt(0)
	v_and_b32_e32 v4, 31, v10
	v_add_nc_u32_e32 v5, 1, v7
	v_lshrrev_b32_e32 v11, 5, v10
	s_delay_alu instid0(VALU_DEP_2) | instskip(SKIP_2) | instid1(VALU_DEP_4)
	v_dual_cndmask_b32 v2, v7, v5 :: v_dual_lshlrev_b32 v23, 2, v4
	v_ashrrev_i32_e32 v10, 5, v1
	v_ashrrev_i32_e32 v1, 31, v0
	v_add_nc_u32_e32 v17, s3, v11
	s_delay_alu instid0(VALU_DEP_4) | instskip(NEXT) | instid1(VALU_DEP_4)
	v_xor_b32_e32 v2, v2, v3
	v_min_i32_e32 v5, s0, v10
	s_delay_alu instid0(VALU_DEP_4)
	v_lshlrev_b64 v[33:34], 2, v[0:1]
	scratch_store_b32 off, v11, s32 offset:1244 ; 4-byte Folded Spill
	v_ashrrev_i32_e32 v11, 31, v12
	v_sub_nc_u32_e32 v2, v2, v3
	scratch_store_b32 off, v5, s32 offset:340 ; 4-byte Folded Spill
	v_cmp_lt_i32_e64 s0, v17, v5
	v_sub_nc_u32_e32 v0, v2, v29
	s_clause 0x1
	scratch_store_b32 off, v0, s32 offset:348
	scratch_store_b32 off, v4, s32 offset:568
	s_and_saveexec_b32 s15, s0
	s_cbranch_execz .LBB448_2321
; %bb.10:
	v_mov_b32_e32 v19, 0
	s_clause 0x6
	scratch_store_b32 off, v10, s32 offset:1292
	scratch_store_b32 off, v32, s32 offset:1288
	;; [unrolled: 1-line block ×7, first 2 shown]
	v_max_i32_e32 v116, v30, v16
	v_ashrrev_i32_e32 v18, 31, v17
	s_getpc_b64 s[8:9]
	s_add_u32 s8, s8, llvm.amdgcn.dynlds.offset.table@rel32@lo+4
	s_addc_u32 s9, s9, llvm.amdgcn.dynlds.offset.table@rel32@hi+12
	ds_load_b128 v[0:3], v19
	ds_load_b128 v[4:7], v19 offset:16
	s_ashr_i32 s11, s10, 31
	v_mov_b32_e32 v130, v17
	s_lshl_b64 s[16:17], s[10:11], 2
	s_mov_b32 s11, 0
	s_add_u32 s8, s16, s8
	s_addc_u32 s9, s17, s9
	s_mov_b32 s16, -1
	s_mov_b32 s17, 0xffffff
	s_waitcnt lgkmcnt(0)
	v_dual_mov_b32 v115, 0xff7fffff :: v_dual_lshlrev_b32 v10, 16, v0
	v_and_b32_e32 v0, 0xffff0000, v0
	s_clause 0x1
	scratch_store_b32 off, v10, s32 offset:444
	scratch_store_b32 off, v0, s32 offset:448
	v_lshlrev_b32_e32 v0, 16, v1
	scratch_store_b32 off, v0, s32 offset:452 ; 4-byte Folded Spill
	v_and_b32_e32 v0, 0xffff0000, v1
	scratch_store_b32 off, v0, s32 offset:456 ; 4-byte Folded Spill
	v_lshlrev_b32_e32 v0, 16, v2
	scratch_store_b32 off, v0, s32 offset:460 ; 4-byte Folded Spill
	v_and_b32_e32 v0, 0xffff0000, v2
	scratch_store_b32 off, v0, s32 offset:464 ; 4-byte Folded Spill
	;; [unrolled: 4-line block ×7, first 2 shown]
	ds_load_b128 v[0:3], v19 offset:32
	s_waitcnt lgkmcnt(0)
	v_lshlrev_b32_e32 v4, 16, v0
	v_and_b32_e32 v0, 0xffff0000, v0
	s_clause 0x1
	scratch_store_b32 off, v4, s32 offset:508
	scratch_store_b32 off, v0, s32 offset:512
	v_lshlrev_b32_e32 v0, 16, v1
	scratch_store_b32 off, v0, s32 offset:516 ; 4-byte Folded Spill
	v_and_b32_e32 v0, 0xffff0000, v1
	scratch_store_b32 off, v0, s32 offset:520 ; 4-byte Folded Spill
	v_lshlrev_b32_e32 v0, 16, v2
	scratch_store_b32 off, v0, s32 offset:524 ; 4-byte Folded Spill
	v_and_b32_e32 v0, 0xffff0000, v2
	scratch_store_b32 off, v0, s32 offset:528 ; 4-byte Folded Spill
	v_lshlrev_b32_e32 v0, 16, v3
	scratch_store_b32 off, v0, s32 offset:532 ; 4-byte Folded Spill
	v_and_b32_e32 v0, 0xffff0000, v3
	scratch_store_b32 off, v0, s32 offset:536 ; 4-byte Folded Spill
	ds_load_b128 v[0:3], v19 offset:48
	s_waitcnt lgkmcnt(0)
	v_lshlrev_b32_e32 v4, 16, v0
	v_and_b32_e32 v0, 0xffff0000, v0
	s_clause 0x1
	scratch_store_b32 off, v4, s32 offset:540
	scratch_store_b32 off, v0, s32 offset:544
	v_lshlrev_b32_e32 v0, 16, v1
	scratch_store_b32 off, v0, s32 offset:548 ; 4-byte Folded Spill
	v_and_b32_e32 v0, 0xffff0000, v1
	scratch_store_b32 off, v0, s32 offset:552 ; 4-byte Folded Spill
	v_lshlrev_b32_e32 v0, 16, v2
	scratch_store_b32 off, v0, s32 offset:556 ; 4-byte Folded Spill
	v_and_b32_e32 v0, 0xffff0000, v2
	scratch_store_b32 off, v0, s32 offset:560 ; 4-byte Folded Spill
	v_lshlrev_b32_e32 v0, 16, v3
	scratch_store_b32 off, v0, s32 offset:564 ; 4-byte Folded Spill
	v_and_b32_e32 v0, 0xffff0000, v3
	scratch_store_b32 off, v0, s32 offset:584 ; 4-byte Folded Spill
	;; [unrolled: 19-line block ×21, first 2 shown]
	ds_load_b128 v[0:3], v19 offset:368
	s_waitcnt lgkmcnt(0)
	v_lshlrev_b32_e32 v4, 16, v0
	v_and_b32_e32 v0, 0xffff0000, v0
	s_clause 0x1
	scratch_store_b32 off, v4, s32 offset:1200
	scratch_store_b32 off, v0, s32 offset:1204
	v_lshlrev_b32_e32 v0, 16, v1
	scratch_store_b32 off, v0, s32 offset:1208 ; 4-byte Folded Spill
	v_and_b32_e32 v0, 0xffff0000, v1
	scratch_store_b32 off, v0, s32 offset:1212 ; 4-byte Folded Spill
	v_lshlrev_b32_e32 v0, 16, v2
	scratch_store_b32 off, v0, s32 offset:1216 ; 4-byte Folded Spill
	v_and_b32_e32 v0, 0xffff0000, v2
	scratch_store_b32 off, v0, s32 offset:1220 ; 4-byte Folded Spill
	v_lshlrev_b32_e32 v0, 16, v3
	scratch_store_b32 off, v0, s32 offset:1224 ; 4-byte Folded Spill
	v_and_b32_e32 v0, 0xffff0000, v3
	s_clause 0x1
	scratch_store_b32 off, v0, s32 offset:1228
	scratch_store_b32 off, v12, s32 offset:1296
	scratch_load_b32 v4, off, s32 offset:568 ; 4-byte Folded Reload
	v_add_co_u32 v0, vcc_lo, v8, v12
	v_add_co_ci_u32_e32 v1, vcc_lo, v9, v11, vcc_lo
	v_sub_nc_u32_e32 v3, 0, v116
	scratch_store_b64 off, v[33:34], s32 offset:1304 ; 8-byte Folded Spill
	s_waitcnt vmcnt(0)
	v_lshlrev_b32_e32 v2, 4, v4
	s_delay_alu instid0(VALU_DEP_1)
	v_add_co_u32 v0, vcc_lo, v0, v2
	v_cvt_f32_u32_e32 v2, v116
	v_add_co_ci_u32_e32 v1, vcc_lo, 0, v1, vcc_lo
	scratch_store_b32 off, v11, s32 offset:1300 ; 4-byte Folded Spill
	v_rcp_iflag_f32_e32 v2, v2
	scratch_store_b64 off, v[0:1], s32 offset:1232 ; 8-byte Folded Spill
	v_lshlrev_b64 v[0:1], 2, v[17:18]
	s_clause 0x1
	scratch_store_b32 off, v30, s32 offset:1256
	scratch_store_b32 off, v16, s32 offset:1312
	v_add_co_u32 v0, vcc_lo, v33, v0
	v_mul_f32_e32 v2, 0x4f7ffffe, v2
	v_add_co_ci_u32_e32 v1, vcc_lo, v34, v1, vcc_lo
	s_delay_alu instid0(VALU_DEP_3) | instskip(NEXT) | instid1(VALU_DEP_3)
	v_add_co_u32 v20, vcc_lo, v14, v0
	v_cvt_u32_f32_e32 v2, v2
	s_delay_alu instid0(VALU_DEP_3) | instskip(NEXT) | instid1(VALU_DEP_2)
	v_add_co_ci_u32_e32 v21, vcc_lo, v15, v1, vcc_lo
	v_mul_lo_u32 v3, v3, v2
	s_delay_alu instid0(VALU_DEP_1) | instskip(NEXT) | instid1(VALU_DEP_1)
	v_mul_hi_u32 v3, v2, v3
	v_add_nc_u32_e32 v2, v2, v3
	s_clause 0x1
	scratch_store_b32 off, v2, s32 offset:352
	scratch_store_b32 off, v14, s32 offset:1272
	scratch_load_b32 v0, off, s32 offset:440 ; 4-byte Folded Reload
	s_load_b32 s20, s[8:9], 0x0
	scratch_store_b32 off, v23, s32 offset:1316 ; 4-byte Folded Spill
	s_waitcnt vmcnt(0)
	v_cmp_neq_f32_e32 vcc_lo, 0, v0
	v_sub_nc_u32_e32 v0, v4, v36
	s_delay_alu instid0(VALU_DEP_1)
	v_add_nc_u32_e32 v0, 1, v0
	s_clause 0x1
	scratch_store_b32 off, v15, s32 offset:1264
	scratch_store_b32 off, v0, s32 offset:1240
	scratch_load_b32 v0, off, s32 offset:1244 ; 4-byte Folded Reload
	s_waitcnt vmcnt(0)
	v_lshl_add_u32 v119, v0, 5, s19
	v_lshl_or_b32 v128, v0, 7, v23
	s_branch .LBB448_13
.LBB448_11:                             ;   in Loop: Header=BB448_13 Depth=1
	s_or_b32 exec_lo, exec_lo, s21
	scratch_load_b32 v32, off, s32 offset:476 ; 4-byte Folded Reload
	v_and_b32_e32 v28, 0xffff0000, v165
	scratch_load_b32 v29, off, s32 offset:372 ; 4-byte Folded Reload
	v_and_b32_e32 v5, 0xffff0000, v5
	v_and_b32_e32 v4, 0xffff0000, v4
	;; [unrolled: 1-line block ×3, first 2 shown]
	s_load_b32 s21, s[8:9], 0x0
	s_clause 0x3
	scratch_load_b32 v133, off, s32 offset:480
	scratch_load_b32 v163, off, s32 offset:484
	;; [unrolled: 1-line block ×4, first 2 shown]
	v_and_b32_e32 v26, 0xffff0000, v26
	v_and_b32_e32 v0, 0xffff0000, v0
	s_waitcnt vmcnt(5)
	v_mul_f32_e32 v28, v32, v28
	scratch_load_b32 v32, off, s32 offset:444 ; 4-byte Folded Reload
	s_waitcnt vmcnt(5)
	v_and_b32_e32 v29, 0xffff0000, v29
	s_waitcnt vmcnt(0)
	s_delay_alu instid0(VALU_DEP_1)
	v_fmac_f32_e32 v28, v32, v29
	scratch_load_b32 v29, off, s32 offset:376 ; 4-byte Folded Reload
	s_waitcnt vmcnt(0)
	v_and_b32_e32 v29, 0xffff0000, v29
	v_and_b32_e32 v32, 0xffff0000, v166
	scratch_load_b32 v166, off, s32 offset:496 ; 4-byte Folded Reload
	v_mul_f32_e32 v29, v133, v29
	scratch_load_b32 v133, off, s32 offset:448 ; 4-byte Folded Reload
	s_waitcnt vmcnt(0)
	v_fmac_f32_e32 v29, v133, v32
	scratch_load_b32 v32, off, s32 offset:380 ; 4-byte Folded Reload
	v_and_b32_e32 v133, 0xffff0000, v167
	scratch_load_b32 v167, off, s32 offset:500 ; 4-byte Folded Reload
	s_waitcnt vmcnt(1)
	v_and_b32_e32 v32, 0xffff0000, v32
	s_delay_alu instid0(VALU_DEP_1)
	v_mul_f32_e32 v32, v163, v32
	scratch_load_b32 v163, off, s32 offset:452 ; 4-byte Folded Reload
	s_waitcnt vmcnt(0)
	v_dual_fmac_f32 v32, v163, v133 :: v_dual_and_b32 v163, 0xffff0000, v176
	s_clause 0x1
	scratch_load_b32 v133, off, s32 offset:384
	scratch_load_b32 v176, off, s32 offset:504
	s_waitcnt vmcnt(1)
	v_and_b32_e32 v133, 0xffff0000, v133
	s_delay_alu instid0(VALU_DEP_1)
	v_mul_f32_e32 v133, v164, v133
	scratch_load_b32 v164, off, s32 offset:456 ; 4-byte Folded Reload
	s_waitcnt vmcnt(0)
	v_fmac_f32_e32 v133, v164, v163
	s_clause 0x1
	scratch_load_b32 v163, off, s32 offset:388
	scratch_load_b32 v164, off, s32 offset:356
	s_waitcnt vmcnt(1)
	v_and_b32_e32 v163, 0xffff0000, v163
	s_waitcnt vmcnt(0)
	s_delay_alu instid0(VALU_DEP_1)
	v_dual_mul_f32 v163, v165, v163 :: v_dual_and_b32 v164, 0xffff0000, v164
	scratch_load_b32 v165, off, s32 offset:460 ; 4-byte Folded Reload
	s_waitcnt vmcnt(0)
	v_fmac_f32_e32 v163, v165, v164
	s_clause 0x1
	scratch_load_b32 v164, off, s32 offset:392
	scratch_load_b32 v165, off, s32 offset:360
	s_waitcnt vmcnt(1)
	v_and_b32_e32 v164, 0xffff0000, v164
	s_waitcnt vmcnt(0)
	s_delay_alu instid0(VALU_DEP_1)
	v_dual_mul_f32 v164, v166, v164 :: v_dual_and_b32 v165, 0xffff0000, v165
	;; [unrolled: 11-line block ×4, first 2 shown]
	scratch_load_b32 v176, off, s32 offset:472 ; 4-byte Folded Reload
	s_waitcnt vmcnt(0)
	v_fmac_f32_e32 v166, v176, v167
	s_clause 0x1
	scratch_load_b32 v167, off, s32 offset:408
	scratch_load_b32 v176, off, s32 offset:508
	s_waitcnt vmcnt(1)
	v_and_b32_e32 v167, 0xffff0000, v167
	s_waitcnt vmcnt(0)
	s_delay_alu instid0(VALU_DEP_1)
	v_fmac_f32_e32 v28, v176, v167
	s_clause 0x1
	scratch_load_b32 v167, off, s32 offset:412
	scratch_load_b32 v176, off, s32 offset:512
	s_waitcnt vmcnt(1)
	v_and_b32_e32 v167, 0xffff0000, v167
	s_waitcnt vmcnt(0)
	s_delay_alu instid0(VALU_DEP_1)
	;; [unrolled: 8-line block ×4, first 2 shown]
	v_fmac_f32_e32 v133, v176, v167
	s_clause 0x1
	scratch_load_b32 v167, off, s32 offset:424
	scratch_load_b32 v176, off, s32 offset:524
	s_waitcnt vmcnt(1)
	v_and_b32_e32 v167, 0xffff0000, v167
	s_waitcnt vmcnt(0)
	s_delay_alu instid0(VALU_DEP_1) | instskip(SKIP_3) | instid1(VALU_DEP_1)
	v_fmac_f32_e32 v163, v176, v167
	scratch_load_b32 v176, off, s32 offset:528 ; 4-byte Folded Reload
	v_and_b32_e32 v167, 0xffff0000, v177
	s_waitcnt vmcnt(0)
	v_dual_fmac_f32 v164, v176, v167 :: v_dual_and_b32 v167, 0xffff0000, v178
	scratch_load_b32 v176, off, s32 offset:532 ; 4-byte Folded Reload
	s_waitcnt vmcnt(0)
	v_fmac_f32_e32 v165, v176, v167
	scratch_load_b32 v176, off, s32 offset:536 ; 4-byte Folded Reload
	v_and_b32_e32 v167, 0xffff0000, v179
	s_waitcnt vmcnt(0)
	s_delay_alu instid0(VALU_DEP_1)
	v_dual_fmac_f32 v166, v176, v167 :: v_dual_and_b32 v167, 0xffff0000, v180
	scratch_load_b32 v176, off, s32 offset:540 ; 4-byte Folded Reload
	s_waitcnt vmcnt(0)
	v_dual_fmac_f32 v28, v176, v167 :: v_dual_and_b32 v167, 0xffff0000, v181
	scratch_load_b32 v176, off, s32 offset:544 ; 4-byte Folded Reload
	s_waitcnt vmcnt(0)
	v_fmac_f32_e32 v29, v176, v167
	scratch_load_b32 v176, off, s32 offset:548 ; 4-byte Folded Reload
	v_and_b32_e32 v167, 0xffff0000, v182
	s_waitcnt vmcnt(0)
	s_delay_alu instid0(VALU_DEP_1) | instskip(SKIP_3) | instid1(VALU_DEP_1)
	v_fmac_f32_e32 v32, v176, v167
	scratch_load_b32 v176, off, s32 offset:552 ; 4-byte Folded Reload
	v_and_b32_e32 v167, 0xffff0000, v183
	s_waitcnt vmcnt(0)
	v_fmac_f32_e32 v133, v176, v167
	scratch_load_b32 v176, off, s32 offset:556 ; 4-byte Folded Reload
	v_and_b32_e32 v167, 0xffff0000, v40
	s_waitcnt vmcnt(0)
	s_delay_alu instid0(VALU_DEP_1) | instskip(SKIP_3) | instid1(VALU_DEP_1)
	v_fmac_f32_e32 v163, v176, v167
	scratch_load_b32 v176, off, s32 offset:560 ; 4-byte Folded Reload
	v_and_b32_e32 v167, 0xffff0000, v41
	s_waitcnt vmcnt(0)
	v_dual_fmac_f32 v164, v176, v167 :: v_dual_and_b32 v167, 0xffff0000, v42
	scratch_load_b32 v176, off, s32 offset:564 ; 4-byte Folded Reload
	s_waitcnt vmcnt(0)
	v_fmac_f32_e32 v165, v176, v167
	scratch_load_b32 v176, off, s32 offset:584 ; 4-byte Folded Reload
	v_and_b32_e32 v167, 0xffff0000, v43
	s_waitcnt vmcnt(0)
	s_delay_alu instid0(VALU_DEP_1)
	v_dual_fmac_f32 v166, v176, v167 :: v_dual_and_b32 v167, 0xffff0000, v44
	scratch_load_b32 v176, off, s32 offset:588 ; 4-byte Folded Reload
	s_waitcnt vmcnt(0)
	v_dual_fmac_f32 v28, v176, v167 :: v_dual_and_b32 v167, 0xffff0000, v45
	scratch_load_b32 v176, off, s32 offset:592 ; 4-byte Folded Reload
	s_waitcnt vmcnt(0)
	v_fmac_f32_e32 v29, v176, v167
	scratch_load_b32 v176, off, s32 offset:600 ; 4-byte Folded Reload
	v_and_b32_e32 v167, 0xffff0000, v46
	s_waitcnt vmcnt(0)
	s_delay_alu instid0(VALU_DEP_1) | instskip(SKIP_3) | instid1(VALU_DEP_1)
	v_fmac_f32_e32 v32, v176, v167
	scratch_load_b32 v176, off, s32 offset:604 ; 4-byte Folded Reload
	v_and_b32_e32 v167, 0xffff0000, v47
	s_waitcnt vmcnt(0)
	v_fmac_f32_e32 v133, v176, v167
	scratch_load_b32 v176, off, s32 offset:608 ; 4-byte Folded Reload
	;; [unrolled: 32-line block ×10, first 2 shown]
	v_and_b32_e32 v167, 0xffff0000, v184
	s_waitcnt vmcnt(0)
	s_delay_alu instid0(VALU_DEP_1) | instskip(SKIP_3) | instid1(VALU_DEP_1)
	v_fmac_f32_e32 v163, v176, v167
	scratch_load_b32 v176, off, s32 offset:868 ; 4-byte Folded Reload
	v_and_b32_e32 v167, 0xffff0000, v185
	s_waitcnt vmcnt(0)
	v_dual_fmac_f32 v164, v176, v167 :: v_dual_and_b32 v167, 0xffff0000, v186
	scratch_load_b32 v176, off, s32 offset:872 ; 4-byte Folded Reload
	s_waitcnt vmcnt(0)
	v_fmac_f32_e32 v165, v176, v167
	scratch_load_b32 v167, off, s32 offset:876 ; 4-byte Folded Reload
	s_waitcnt vmcnt(0)
	v_fmac_f32_e32 v166, v167, v26
	v_and_b32_e32 v26, 0xffff0000, v27
	scratch_load_b32 v27, off, s32 offset:880 ; 4-byte Folded Reload
	s_waitcnt vmcnt(0)
	v_fmac_f32_e32 v28, v27, v26
	scratch_load_b32 v27, off, s32 offset:884 ; 4-byte Folded Reload
	v_and_b32_e32 v26, 0xffff0000, v187
	s_waitcnt vmcnt(0)
	s_delay_alu instid0(VALU_DEP_1) | instskip(SKIP_3) | instid1(VALU_DEP_1)
	v_fmac_f32_e32 v29, v27, v26
	scratch_load_b32 v27, off, s32 offset:888 ; 4-byte Folded Reload
	v_and_b32_e32 v26, 0xffff0000, v188
	s_waitcnt vmcnt(0)
	v_fmac_f32_e32 v32, v27, v26
	scratch_load_b32 v27, off, s32 offset:892 ; 4-byte Folded Reload
	v_and_b32_e32 v26, 0xffff0000, v189
	s_waitcnt vmcnt(0)
	s_delay_alu instid0(VALU_DEP_1) | instskip(SKIP_3) | instid1(VALU_DEP_1)
	v_fmac_f32_e32 v133, v27, v26
	scratch_load_b32 v27, off, s32 offset:896 ; 4-byte Folded Reload
	v_and_b32_e32 v26, 0xffff0000, v190
	;; [unrolled: 9-line block ×3, first 2 shown]
	s_waitcnt vmcnt(0)
	v_fmac_f32_e32 v165, v27, v26
	scratch_load_b32 v26, off, s32 offset:908 ; 4-byte Folded Reload
	s_waitcnt vmcnt(0)
	v_fmac_f32_e32 v166, v26, v5
	scratch_load_b32 v5, off, s32 offset:912 ; 4-byte Folded Reload
	;; [unrolled: 3-line block ×3, first 2 shown]
	v_and_b32_e32 v4, 0xffff0000, v84
	s_waitcnt vmcnt(0)
	s_delay_alu instid0(VALU_DEP_1) | instskip(SKIP_3) | instid1(VALU_DEP_1)
	v_fmac_f32_e32 v29, v5, v4
	scratch_load_b32 v5, off, s32 offset:920 ; 4-byte Folded Reload
	v_and_b32_e32 v4, 0xffff0000, v37
	s_waitcnt vmcnt(0)
	v_fmac_f32_e32 v32, v5, v4
	scratch_load_b32 v5, off, s32 offset:924 ; 4-byte Folded Reload
	v_and_b32_e32 v4, 0xffff0000, v50
	s_waitcnt vmcnt(0)
	s_delay_alu instid0(VALU_DEP_1) | instskip(SKIP_3) | instid1(VALU_DEP_1)
	v_fmac_f32_e32 v133, v5, v4
	scratch_load_b32 v5, off, s32 offset:928 ; 4-byte Folded Reload
	v_and_b32_e32 v4, 0xffff0000, v22
	s_waitcnt vmcnt(0)
	v_fmac_f32_e32 v163, v5, v4
	scratch_load_b32 v5, off, s32 offset:932 ; 4-byte Folded Reload
	;; [unrolled: 9-line block ×8, first 2 shown]
	v_and_b32_e32 v4, 0xffff0000, v10
	s_waitcnt vmcnt(0)
	s_delay_alu instid0(VALU_DEP_1)
	v_fmac_f32_e32 v29, v5, v4
	scratch_load_b32 v4, off, s32 offset:984 ; 4-byte Folded Reload
	s_waitcnt vmcnt(0)
	v_fmac_f32_e32 v32, v4, v1
	scratch_load_b32 v1, off, s32 offset:988 ; 4-byte Folded Reload
	s_waitcnt vmcnt(0)
	v_fmac_f32_e32 v133, v1, v0
	scratch_load_b32 v1, off, s32 offset:992 ; 4-byte Folded Reload
	v_and_b32_e32 v0, 0xffff0000, v3
	s_waitcnt vmcnt(0)
	s_delay_alu instid0(VALU_DEP_1)
	v_fmac_f32_e32 v163, v1, v0
	scratch_load_b32 v1, off, s32 offset:996 ; 4-byte Folded Reload
	v_and_b32_e32 v0, 0xffff0000, v2
	scratch_load_b32 v2, off, s32 offset:1212 ; 4-byte Folded Reload
	s_waitcnt vmcnt(1)
	v_fmac_f32_e32 v164, v1, v0
	scratch_load_b32 v1, off, s32 offset:1000 ; 4-byte Folded Reload
	v_and_b32_e32 v0, 0xffff0000, v15
	s_waitcnt vmcnt(0)
	s_delay_alu instid0(VALU_DEP_1) | instskip(SKIP_3) | instid1(VALU_DEP_1)
	v_fmac_f32_e32 v165, v1, v0
	scratch_load_b32 v1, off, s32 offset:1004 ; 4-byte Folded Reload
	v_and_b32_e32 v0, 0xffff0000, v14
	s_waitcnt vmcnt(0)
	v_fmac_f32_e32 v166, v1, v0
	scratch_load_b32 v1, off, s32 offset:1008 ; 4-byte Folded Reload
	v_and_b32_e32 v0, 0xffff0000, v30
	s_waitcnt vmcnt(0)
	s_delay_alu instid0(VALU_DEP_1) | instskip(SKIP_3) | instid1(VALU_DEP_1)
	v_fmac_f32_e32 v28, v1, v0
	scratch_load_b32 v1, off, s32 offset:1012 ; 4-byte Folded Reload
	v_and_b32_e32 v0, 0xffff0000, v54
	;; [unrolled: 9-line block ×26, first 2 shown]
	s_waitcnt vmcnt(0)
	v_fmac_f32_e32 v29, v1, v0
	scratch_load_b32 v1, off, s32 offset:1208 ; 4-byte Folded Reload
	v_and_b32_e32 v0, 0xffff0000, v151
	s_waitcnt vmcnt(0)
	s_delay_alu instid0(VALU_DEP_1) | instskip(SKIP_1) | instid1(VALU_DEP_1)
	v_fmac_f32_e32 v32, v1, v0
	v_dual_add_f32 v0, v28, v29 :: v_dual_and_b32 v1, 0xffff0000, v160
	v_fmac_f32_e32 v133, v2, v1
	scratch_load_b32 v2, off, s32 offset:1216 ; 4-byte Folded Reload
	v_dual_add_f32 v0, v0, v32 :: v_dual_and_b32 v1, 0xffff0000, v161
	s_waitcnt vmcnt(0)
	s_delay_alu instid0(VALU_DEP_1) | instskip(SKIP_3) | instid1(VALU_DEP_1)
	v_dual_add_f32 v0, v133, v0 :: v_dual_fmac_f32 v163, v2, v1
	scratch_load_b32 v2, off, s32 offset:1220 ; 4-byte Folded Reload
	v_dual_add_f32 v0, v163, v0 :: v_dual_and_b32 v1, 0xffff0000, v162
	s_waitcnt vmcnt(0)
	v_fmac_f32_e32 v164, v2, v1
	scratch_load_b32 v2, off, s32 offset:1224 ; 4-byte Folded Reload
	v_dual_add_f32 v0, v164, v0 :: v_dual_and_b32 v1, 0xffff0000, v31
	s_waitcnt vmcnt(0)
	s_delay_alu instid0(VALU_DEP_1) | instskip(SKIP_3) | instid1(VALU_DEP_1)
	v_fmac_f32_e32 v165, v2, v1
	scratch_load_b32 v2, off, s32 offset:1228 ; 4-byte Folded Reload
	v_dual_add_f32 v0, v165, v0 :: v_dual_and_b32 v1, 0xffff0000, v18
	s_waitcnt vmcnt(0)
	v_fmac_f32_e32 v166, v2, v1
	s_clause 0x1
	scratch_load_b32 v1, off, s32 offset:1240
	scratch_load_b32 v2, off, s32 offset:440
	s_waitcnt vmcnt(1)
	v_dual_add_f32 v0, v166, v0 :: v_dual_add_nc_u32 v1, v1, v119
	s_delay_alu instid0(VALU_DEP_1) | instskip(SKIP_1) | instid1(VALU_DEP_1)
	v_cvt_f32_i32_e32 v1, v1
	s_waitcnt vmcnt(0)
	v_mul_f32_e32 v1, v2, v1
	scratch_load_b32 v2, off, s32 offset:436 ; 4-byte Folded Reload
	v_cndmask_b32_e32 v1, 0, v1, vcc_lo
	s_waitcnt vmcnt(0)
	s_delay_alu instid0(VALU_DEP_1) | instskip(SKIP_3) | instid1(VALU_DEP_1)
	v_fmac_f32_e32 v1, v0, v2
	scratch_load_b32 v0, off, s32 offset:568 ; 4-byte Folded Reload
	s_waitcnt vmcnt(0)
	v_add_nc_u32_e32 v0, v0, v119
	v_cmp_lt_i32_e64 s1, v0, v36
	s_waitcnt lgkmcnt(0)
	v_add_nc_u32_e32 v0, s21, v128
	s_delay_alu instid0(VALU_DEP_2) | instskip(SKIP_2) | instid1(VALU_DEP_1)
	v_cndmask_b32_e64 v2, 0, v1, s1
	ds_store_b32 v0, v2
	v_max_f32_e32 v0, v115, v115
	v_max_f32_e32 v0, v0, v1
	s_delay_alu instid0(VALU_DEP_1)
	v_cndmask_b32_e64 v115, v115, v0, s1
.LBB448_12:                             ;   in Loop: Header=BB448_13 Depth=1
	s_or_b32 exec_lo, exec_lo, s2
	scratch_load_b32 v0, off, s32 offset:340 ; 4-byte Folded Reload
	v_add_nc_u32_e32 v130, 4, v130
	v_add_co_u32 v20, s1, v20, 16
	s_delay_alu instid0(VALU_DEP_1) | instskip(SKIP_4) | instid1(VALU_DEP_1)
	v_add_co_ci_u32_e64 v21, s1, 0, v21, s1
	v_add_nc_u32_e32 v119, 0x80, v119
	v_add_nc_u32_e32 v128, 0x200, v128
	s_waitcnt vmcnt(0)
	v_cmp_ge_i32_e64 s1, v130, v0
	s_or_b32 s11, s1, s11
	s_delay_alu instid0(SALU_CYCLE_1)
	s_and_not1_b32 exec_lo, exec_lo, s11
	s_cbranch_execz .LBB448_2320
.LBB448_13:                             ; =>This Inner Loop Header: Depth=1
	s_clause 0x1
	scratch_load_b32 v1, off, s32 offset:344
	scratch_load_b32 v4, off, s32 offset:336
	v_sub_nc_u32_e32 v0, 0, v119
	s_delay_alu instid0(VALU_DEP_1) | instskip(SKIP_1) | instid1(VALU_DEP_1)
	v_max_i32_e32 v0, v119, v0
	s_waitcnt vmcnt(1)
	v_mul_hi_u32 v1, v0, v1
	s_delay_alu instid0(VALU_DEP_1) | instskip(NEXT) | instid1(VALU_DEP_1)
	v_mul_lo_u32 v2, v1, v39
	v_sub_nc_u32_e32 v0, v0, v2
	v_add_nc_u32_e32 v2, 1, v1
	s_delay_alu instid0(VALU_DEP_2) | instskip(SKIP_1) | instid1(VALU_DEP_1)
	v_sub_nc_u32_e32 v3, v0, v39
	v_cmp_ge_u32_e64 s1, v0, v39
	v_cndmask_b32_e64 v1, v1, v2, s1
	s_delay_alu instid0(VALU_DEP_3) | instskip(SKIP_1) | instid1(VALU_DEP_3)
	v_cndmask_b32_e64 v0, v0, v3, s1
	v_ashrrev_i32_e32 v2, 31, v119
	v_add_nc_u32_e32 v3, 1, v1
	s_delay_alu instid0(VALU_DEP_3) | instskip(SKIP_1) | instid1(VALU_DEP_3)
	v_cmp_ge_u32_e64 s1, v0, v39
	s_waitcnt vmcnt(0)
	v_xor_b32_e32 v2, v2, v4
	s_delay_alu instid0(VALU_DEP_2) | instskip(SKIP_2) | instid1(VALU_DEP_1)
	v_cndmask_b32_e64 v0, v1, v3, s1
	scratch_load_b32 v3, off, s32 offset:352 ; 4-byte Folded Reload
	v_xor_b32_e32 v0, v0, v2
	v_sub_nc_u32_e32 v0, v0, v2
	scratch_load_b64 v[1:2], off, s32 offset:328 ; 8-byte Folded Reload
	s_waitcnt vmcnt(0)
	v_add_nc_u32_e32 v1, v0, v1
	s_delay_alu instid0(VALU_DEP_1) | instskip(NEXT) | instid1(VALU_DEP_1)
	v_sub_nc_u32_e32 v2, 0, v1
	v_max_i32_e32 v2, v1, v2
	v_ashrrev_i32_e32 v1, 31, v1
	s_delay_alu instid0(VALU_DEP_2) | instskip(NEXT) | instid1(VALU_DEP_1)
	v_mul_hi_u32 v3, v2, v3
	v_mul_lo_u32 v3, v3, v116
	s_delay_alu instid0(VALU_DEP_1) | instskip(NEXT) | instid1(VALU_DEP_1)
	v_sub_nc_u32_e32 v2, v2, v3
	v_sub_nc_u32_e32 v3, v2, v116
	v_cmp_ge_u32_e64 s1, v2, v116
	s_delay_alu instid0(VALU_DEP_1) | instskip(NEXT) | instid1(VALU_DEP_1)
	v_cndmask_b32_e64 v2, v2, v3, s1
	v_sub_nc_u32_e32 v3, v2, v116
	v_cmp_ge_u32_e64 s1, v2, v116
	s_delay_alu instid0(VALU_DEP_1) | instskip(NEXT) | instid1(VALU_DEP_1)
	v_cndmask_b32_e64 v2, v2, v3, s1
	v_xor_b32_e32 v2, v2, v1
	s_delay_alu instid0(VALU_DEP_1) | instskip(NEXT) | instid1(VALU_DEP_1)
	v_sub_nc_u32_e32 v1, v2, v1
	v_cmp_ne_u32_e64 s1, 0, v1
	scratch_load_b32 v1, off, s32 offset:348 ; 4-byte Folded Reload
	s_waitcnt vmcnt(0)
	v_cmp_le_i32_e64 s2, v0, v1
	s_delay_alu instid0(VALU_DEP_1) | instskip(NEXT) | instid1(SALU_CYCLE_1)
	s_and_b32 s1, s1, s2
	s_and_saveexec_b32 s2, s1
	s_delay_alu instid0(SALU_CYCLE_1)
	s_xor_b32 s1, exec_lo, s2
	s_cbranch_execz .LBB448_15
; %bb.14:                               ;   in Loop: Header=BB448_13 Depth=1
	s_waitcnt lgkmcnt(0)
	v_dual_mov_b32 v1, 0xff7fffff :: v_dual_add_nc_u32 v0, s20, v128
	ds_store_b32 v0, v1
.LBB448_15:                             ;   in Loop: Header=BB448_13 Depth=1
	s_and_not1_saveexec_b32 s2, s1
	s_cbranch_execz .LBB448_12
; %bb.16:                               ;   in Loop: Header=BB448_13 Depth=1
	flat_load_b32 v0, v[20:21]
	s_clause 0x1
	scratch_load_b32 v1, off, s32 offset:400
	scratch_load_b64 v[2:3], off, s32 offset:1232
	s_mov_b32 s21, exec_lo
	s_waitcnt vmcnt(0) lgkmcnt(0)
	v_mad_i64_i32 v[28:29], null, v0, v1, v[2:3]
	flat_load_b64 v[31:32], v[28:29]
	scratch_load_b64 v[0:1], off, s32 offset:428 ; 8-byte Folded Reload
	s_waitcnt vmcnt(0)
	flat_load_b32 v133, v[0:1]
	s_waitcnt lgkmcnt(1)
	v_dual_mov_b32 v0, 0 :: v_dual_and_b32 v1, 0xff, v31
	s_delay_alu instid0(VALU_DEP_1)
	v_cmpx_ne_u16_e32 0, v1
	s_cbranch_execz .LBB448_24
; %bb.17:                               ;   in Loop: Header=BB448_13 Depth=1
	v_bfrev_b32_e32 v0, 1
	s_mov_b32 s22, exec_lo
	v_cmpx_ne_u16_e32 0x80, v1
	s_cbranch_execz .LBB448_23
; %bb.18:                               ;   in Loop: Header=BB448_13 Depth=1
	v_and_b32_e32 v1, 0x7f, v31
	v_mov_b32_e32 v0, 0x7f800001
	s_mov_b32 s23, exec_lo
	s_delay_alu instid0(VALU_DEP_2)
	v_cmpx_ne_u32_e32 0x7f, v1
	s_cbranch_execz .LBB448_22
; %bb.19:                               ;   in Loop: Header=BB448_13 Depth=1
	v_lshrrev_b32_e32 v0, 3, v1
	v_dual_mov_b32 v34, v32 :: v_dual_mov_b32 v33, v31
	s_mov_b32 s24, exec_lo
	v_cmpx_gt_u32_e32 8, v1
; %bb.20:                               ;   in Loop: Header=BB448_13 Depth=1
	v_and_b32_e32 v0, 7, v31
	s_delay_alu instid0(VALU_DEP_1) | instskip(NEXT) | instid1(VALU_DEP_1)
	v_clz_i32_u32_e32 v0, v0
	v_min_u32_e32 v0, 32, v0
	s_delay_alu instid0(VALU_DEP_1) | instskip(SKIP_1) | instid1(VALU_DEP_2)
	v_subrev_nc_u32_e32 v1, 28, v0
	v_sub_nc_u32_e32 v0, 29, v0
	v_lshlrev_b64 v[33:34], v1, v[31:32]
; %bb.21:                               ;   in Loop: Header=BB448_13 Depth=1
	s_or_b32 exec_lo, exec_lo, s24
	s_delay_alu instid0(VALU_DEP_1) | instskip(SKIP_2) | instid1(VALU_DEP_3)
	v_lshlrev_b32_e32 v1, 20, v33
	v_lshlrev_b32_e32 v2, 24, v31
	v_lshl_add_u32 v0, v0, 23, 0x3c000000
	v_and_b32_e32 v1, 0x700000, v1
	s_delay_alu instid0(VALU_DEP_3) | instskip(NEXT) | instid1(VALU_DEP_1)
	v_and_b32_e32 v2, 0x80000000, v2
	v_or3_b32 v0, v1, v2, v0
.LBB448_22:                             ;   in Loop: Header=BB448_13 Depth=1
	s_or_b32 exec_lo, exec_lo, s23
.LBB448_23:                             ;   in Loop: Header=BB448_13 Depth=1
	s_delay_alu instid0(SALU_CYCLE_1)
	s_or_b32 exec_lo, exec_lo, s22
.LBB448_24:                             ;   in Loop: Header=BB448_13 Depth=1
	s_delay_alu instid0(SALU_CYCLE_1) | instskip(SKIP_2) | instid1(VALU_DEP_1)
	s_or_b32 exec_lo, exec_lo, s21
	s_waitcnt vmcnt(0) lgkmcnt(0)
	v_mul_f32_e32 v0, v133, v0
	v_and_b32_e32 v1, 0x7f800000, v0
	s_delay_alu instid0(VALU_DEP_1) | instskip(NEXT) | instid1(VALU_DEP_1)
	v_cmp_ne_u32_e64 s1, 0x7f800000, v1
                                        ; implicit-def: $vgpr1
                                        ; kill: killed $vgpr1
	s_and_saveexec_b32 s21, s1
	s_delay_alu instid0(SALU_CYCLE_1)
	s_xor_b32 s1, exec_lo, s21
	s_cbranch_execz .LBB448_26
; %bb.25:                               ;   in Loop: Header=BB448_13 Depth=1
	v_bfe_u32 v1, v0, 16, 1
	s_delay_alu instid0(VALU_DEP_1)
	v_add3_u32 v0, v0, v1, 0x7fff
	scratch_store_b32 off, v0, s32 offset:372 ; 4-byte Folded Spill
                                        ; implicit-def: $vgpr0
.LBB448_26:                             ;   in Loop: Header=BB448_13 Depth=1
	s_and_not1_saveexec_b32 s21, s1
	s_cbranch_execz .LBB448_28
; %bb.27:                               ;   in Loop: Header=BB448_13 Depth=1
	v_and_b32_e32 v1, 0xffff, v0
	v_or_b32_e32 v2, 0x10000, v0
	s_delay_alu instid0(VALU_DEP_2) | instskip(NEXT) | instid1(VALU_DEP_1)
	v_cmp_eq_u32_e64 s1, 0, v1
	v_cndmask_b32_e64 v0, v2, v0, s1
	scratch_store_b32 off, v0, s32 offset:372 ; 4-byte Folded Spill
.LBB448_28:                             ;   in Loop: Header=BB448_13 Depth=1
	s_or_b32 exec_lo, exec_lo, s21
	v_lshrrev_b16 v1, 8, v31
	v_mov_b32_e32 v0, 0
	s_mov_b32 s21, exec_lo
	s_delay_alu instid0(VALU_DEP_2)
	v_cmpx_ne_u16_e32 0, v1
	s_cbranch_execz .LBB448_36
; %bb.29:                               ;   in Loop: Header=BB448_13 Depth=1
	v_bfrev_b32_e32 v0, 1
	s_mov_b32 s22, exec_lo
	v_cmpx_ne_u16_e32 0x80, v1
	s_cbranch_execz .LBB448_35
; %bb.30:                               ;   in Loop: Header=BB448_13 Depth=1
	v_and_b32_e32 v2, 0xffff, v1
	v_mov_b32_e32 v0, 0x7f800001
	s_mov_b32 s23, exec_lo
	s_delay_alu instid0(VALU_DEP_2) | instskip(NEXT) | instid1(VALU_DEP_1)
	v_and_b32_e32 v1, 0x7f, v2
	v_cmpx_ne_u32_e32 0x7f, v1
	s_cbranch_execz .LBB448_34
; %bb.31:                               ;   in Loop: Header=BB448_13 Depth=1
	v_and_b32_e32 v18, 7, v2
	v_lshrrev_b32_e32 v0, 3, v1
	v_mov_b32_e32 v34, v19
	s_mov_b32 s24, exec_lo
	s_delay_alu instid0(VALU_DEP_3)
	v_mov_b32_e32 v33, v18
	v_cmpx_gt_u32_e32 8, v1
; %bb.32:                               ;   in Loop: Header=BB448_13 Depth=1
	v_clz_i32_u32_e32 v0, v18
	s_delay_alu instid0(VALU_DEP_1) | instskip(NEXT) | instid1(VALU_DEP_1)
	v_min_u32_e32 v0, 32, v0
	v_subrev_nc_u32_e32 v1, 28, v0
	v_sub_nc_u32_e32 v0, 29, v0
	s_delay_alu instid0(VALU_DEP_2) | instskip(NEXT) | instid1(VALU_DEP_1)
	v_lshlrev_b64 v[1:2], v1, v[18:19]
	v_and_b32_e32 v33, 7, v1
; %bb.33:                               ;   in Loop: Header=BB448_13 Depth=1
	s_or_b32 exec_lo, exec_lo, s24
	v_lshlrev_b32_e32 v1, 16, v31
	s_delay_alu instid0(VALU_DEP_2) | instskip(SKIP_1) | instid1(VALU_DEP_3)
	v_lshlrev_b32_e32 v2, 20, v33
	v_lshl_add_u32 v0, v0, 23, 0x3c000000
	v_and_b32_e32 v1, 0x80000000, v1
	s_delay_alu instid0(VALU_DEP_1)
	v_or3_b32 v0, v2, v1, v0
.LBB448_34:                             ;   in Loop: Header=BB448_13 Depth=1
	s_or_b32 exec_lo, exec_lo, s23
.LBB448_35:                             ;   in Loop: Header=BB448_13 Depth=1
	s_delay_alu instid0(SALU_CYCLE_1)
	s_or_b32 exec_lo, exec_lo, s22
.LBB448_36:                             ;   in Loop: Header=BB448_13 Depth=1
	s_delay_alu instid0(SALU_CYCLE_1) | instskip(NEXT) | instid1(VALU_DEP_1)
	s_or_b32 exec_lo, exec_lo, s21
	v_mul_f32_e32 v0, v133, v0
                                        ; implicit-def: $vgpr166
	s_delay_alu instid0(VALU_DEP_1) | instskip(NEXT) | instid1(VALU_DEP_1)
	v_and_b32_e32 v1, 0x7f800000, v0
	v_cmp_ne_u32_e64 s1, 0x7f800000, v1
	s_delay_alu instid0(VALU_DEP_1) | instskip(NEXT) | instid1(SALU_CYCLE_1)
	s_and_saveexec_b32 s21, s1
	s_xor_b32 s1, exec_lo, s21
; %bb.37:                               ;   in Loop: Header=BB448_13 Depth=1
	v_bfe_u32 v1, v0, 16, 1
	s_delay_alu instid0(VALU_DEP_1)
	v_add3_u32 v166, v0, v1, 0x7fff
                                        ; implicit-def: $vgpr0
; %bb.38:                               ;   in Loop: Header=BB448_13 Depth=1
	s_and_not1_saveexec_b32 s21, s1
; %bb.39:                               ;   in Loop: Header=BB448_13 Depth=1
	v_and_b32_e32 v1, 0xffff, v0
	v_or_b32_e32 v2, 0x10000, v0
	s_delay_alu instid0(VALU_DEP_2) | instskip(NEXT) | instid1(VALU_DEP_1)
	v_cmp_eq_u32_e64 s1, 0, v1
	v_cndmask_b32_e64 v166, v2, v0, s1
; %bb.40:                               ;   in Loop: Header=BB448_13 Depth=1
	s_or_b32 exec_lo, exec_lo, s21
	v_lshrrev_b32_e32 v0, 16, v31
	s_mov_b32 s21, exec_lo
	s_delay_alu instid0(VALU_DEP_1) | instskip(NEXT) | instid1(VALU_DEP_1)
	v_dual_mov_b32 v1, 0 :: v_dual_and_b32 v2, 0xff, v0
	v_cmpx_ne_u16_e32 0, v2
	s_cbranch_execz .LBB448_48
; %bb.41:                               ;   in Loop: Header=BB448_13 Depth=1
	v_bfrev_b32_e32 v1, 1
	s_mov_b32 s22, exec_lo
	v_cmpx_ne_u16_e32 0x80, v2
	s_cbranch_execz .LBB448_47
; %bb.42:                               ;   in Loop: Header=BB448_13 Depth=1
	v_bfe_u32 v2, v31, 16, 7
	v_mov_b32_e32 v1, 0x7f800001
	s_mov_b32 s23, exec_lo
	s_delay_alu instid0(VALU_DEP_2)
	v_cmpx_ne_u32_e32 0x7f, v2
	s_cbranch_execz .LBB448_46
; %bb.43:                               ;   in Loop: Header=BB448_13 Depth=1
	v_and_b32_e32 v18, 7, v0
	v_lshrrev_b32_e32 v1, 3, v2
	v_mov_b32_e32 v34, v19
	s_mov_b32 s24, exec_lo
	s_delay_alu instid0(VALU_DEP_3)
	v_mov_b32_e32 v33, v18
	v_cmpx_gt_u32_e32 8, v2
; %bb.44:                               ;   in Loop: Header=BB448_13 Depth=1
	v_clz_i32_u32_e32 v1, v18
	s_delay_alu instid0(VALU_DEP_1) | instskip(NEXT) | instid1(VALU_DEP_1)
	v_min_u32_e32 v1, 32, v1
	v_subrev_nc_u32_e32 v2, 28, v1
	v_sub_nc_u32_e32 v1, 29, v1
	s_delay_alu instid0(VALU_DEP_2) | instskip(NEXT) | instid1(VALU_DEP_1)
	v_lshlrev_b64 v[2:3], v2, v[18:19]
	v_and_b32_e32 v33, 7, v2
; %bb.45:                               ;   in Loop: Header=BB448_13 Depth=1
	s_or_b32 exec_lo, exec_lo, s24
	v_lshlrev_b32_e32 v0, 24, v0
	s_delay_alu instid0(VALU_DEP_2) | instskip(SKIP_1) | instid1(VALU_DEP_3)
	v_lshlrev_b32_e32 v2, 20, v33
	v_lshl_add_u32 v1, v1, 23, 0x3c000000
	v_and_b32_e32 v0, 0x80000000, v0
	s_delay_alu instid0(VALU_DEP_1)
	v_or3_b32 v1, v2, v0, v1
.LBB448_46:                             ;   in Loop: Header=BB448_13 Depth=1
	s_or_b32 exec_lo, exec_lo, s23
.LBB448_47:                             ;   in Loop: Header=BB448_13 Depth=1
	s_delay_alu instid0(SALU_CYCLE_1)
	s_or_b32 exec_lo, exec_lo, s22
.LBB448_48:                             ;   in Loop: Header=BB448_13 Depth=1
	s_delay_alu instid0(SALU_CYCLE_1) | instskip(NEXT) | instid1(VALU_DEP_1)
	s_or_b32 exec_lo, exec_lo, s21
	v_mul_f32_e32 v0, v133, v1
                                        ; implicit-def: $vgpr167
	s_delay_alu instid0(VALU_DEP_1) | instskip(NEXT) | instid1(VALU_DEP_1)
	v_and_b32_e32 v1, 0x7f800000, v0
	v_cmp_ne_u32_e64 s1, 0x7f800000, v1
	s_delay_alu instid0(VALU_DEP_1) | instskip(NEXT) | instid1(SALU_CYCLE_1)
	s_and_saveexec_b32 s21, s1
	s_xor_b32 s1, exec_lo, s21
; %bb.49:                               ;   in Loop: Header=BB448_13 Depth=1
	v_bfe_u32 v1, v0, 16, 1
	s_delay_alu instid0(VALU_DEP_1)
	v_add3_u32 v167, v0, v1, 0x7fff
                                        ; implicit-def: $vgpr0
; %bb.50:                               ;   in Loop: Header=BB448_13 Depth=1
	s_and_not1_saveexec_b32 s21, s1
; %bb.51:                               ;   in Loop: Header=BB448_13 Depth=1
	v_and_b32_e32 v1, 0xffff, v0
	v_or_b32_e32 v2, 0x10000, v0
	s_delay_alu instid0(VALU_DEP_2) | instskip(NEXT) | instid1(VALU_DEP_1)
	v_cmp_eq_u32_e64 s1, 0, v1
	v_cndmask_b32_e64 v167, v2, v0, s1
; %bb.52:                               ;   in Loop: Header=BB448_13 Depth=1
	s_or_b32 exec_lo, exec_lo, s21
	v_mov_b32_e32 v1, 0
	s_mov_b32 s21, exec_lo
	v_cmpx_lt_u32_e32 0xffffff, v31
	s_cbranch_execz .LBB448_60
; %bb.53:                               ;   in Loop: Header=BB448_13 Depth=1
	v_lshrrev_b32_e32 v0, 24, v31
	v_bfrev_b32_e32 v1, 1
	s_mov_b32 s22, exec_lo
	s_delay_alu instid0(VALU_DEP_2)
	v_cmpx_ne_u32_e32 0x80, v0
	s_cbranch_execz .LBB448_59
; %bb.54:                               ;   in Loop: Header=BB448_13 Depth=1
	v_bfe_u32 v2, v31, 24, 7
	v_mov_b32_e32 v1, 0x7f800001
	s_mov_b32 s23, exec_lo
	s_delay_alu instid0(VALU_DEP_2)
	v_cmpx_ne_u32_e32 0x7f, v2
	s_cbranch_execz .LBB448_58
; %bb.55:                               ;   in Loop: Header=BB448_13 Depth=1
	v_and_b32_e32 v18, 7, v0
	v_lshrrev_b32_e32 v1, 3, v2
	v_mov_b32_e32 v34, v19
	s_mov_b32 s24, exec_lo
	s_delay_alu instid0(VALU_DEP_3)
	v_mov_b32_e32 v33, v18
	v_cmpx_gt_u32_e32 8, v2
; %bb.56:                               ;   in Loop: Header=BB448_13 Depth=1
	v_clz_i32_u32_e32 v1, v18
	s_delay_alu instid0(VALU_DEP_1) | instskip(NEXT) | instid1(VALU_DEP_1)
	v_min_u32_e32 v1, 32, v1
	v_subrev_nc_u32_e32 v2, 28, v1
	v_sub_nc_u32_e32 v1, 29, v1
	s_delay_alu instid0(VALU_DEP_2) | instskip(NEXT) | instid1(VALU_DEP_1)
	v_lshlrev_b64 v[2:3], v2, v[18:19]
	v_and_b32_e32 v33, 7, v2
; %bb.57:                               ;   in Loop: Header=BB448_13 Depth=1
	s_or_b32 exec_lo, exec_lo, s24
	v_lshlrev_b32_e32 v0, 24, v0
	s_delay_alu instid0(VALU_DEP_2) | instskip(SKIP_1) | instid1(VALU_DEP_3)
	v_lshlrev_b32_e32 v2, 20, v33
	v_lshl_add_u32 v1, v1, 23, 0x3c000000
	v_and_b32_e32 v0, 0x80000000, v0
	s_delay_alu instid0(VALU_DEP_1)
	v_or3_b32 v1, v2, v0, v1
.LBB448_58:                             ;   in Loop: Header=BB448_13 Depth=1
	s_or_b32 exec_lo, exec_lo, s23
.LBB448_59:                             ;   in Loop: Header=BB448_13 Depth=1
	s_delay_alu instid0(SALU_CYCLE_1)
	s_or_b32 exec_lo, exec_lo, s22
.LBB448_60:                             ;   in Loop: Header=BB448_13 Depth=1
	s_delay_alu instid0(SALU_CYCLE_1) | instskip(NEXT) | instid1(VALU_DEP_1)
	s_or_b32 exec_lo, exec_lo, s21
	v_mul_f32_e32 v0, v133, v1
                                        ; implicit-def: $vgpr176
	s_delay_alu instid0(VALU_DEP_1) | instskip(NEXT) | instid1(VALU_DEP_1)
	v_and_b32_e32 v1, 0x7f800000, v0
	v_cmp_ne_u32_e64 s1, 0x7f800000, v1
	s_delay_alu instid0(VALU_DEP_1) | instskip(NEXT) | instid1(SALU_CYCLE_1)
	s_and_saveexec_b32 s21, s1
	s_xor_b32 s1, exec_lo, s21
; %bb.61:                               ;   in Loop: Header=BB448_13 Depth=1
	v_bfe_u32 v1, v0, 16, 1
	s_delay_alu instid0(VALU_DEP_1)
	v_add3_u32 v176, v0, v1, 0x7fff
                                        ; implicit-def: $vgpr0
; %bb.62:                               ;   in Loop: Header=BB448_13 Depth=1
	s_and_not1_saveexec_b32 s21, s1
; %bb.63:                               ;   in Loop: Header=BB448_13 Depth=1
	v_and_b32_e32 v1, 0xffff, v0
	v_or_b32_e32 v2, 0x10000, v0
	s_delay_alu instid0(VALU_DEP_2) | instskip(NEXT) | instid1(VALU_DEP_1)
	v_cmp_eq_u32_e64 s1, 0, v1
	v_cndmask_b32_e64 v176, v2, v0, s1
; %bb.64:                               ;   in Loop: Header=BB448_13 Depth=1
	s_or_b32 exec_lo, exec_lo, s21
	v_dual_mov_b32 v18, v32 :: v_dual_and_b32 v1, 0xff, v32
	v_mov_b32_e32 v0, 0
	s_mov_b32 s21, exec_lo
	s_delay_alu instid0(VALU_DEP_2)
	v_cmpx_ne_u16_e32 0, v1
	s_cbranch_execz .LBB448_72
; %bb.65:                               ;   in Loop: Header=BB448_13 Depth=1
	v_bfrev_b32_e32 v0, 1
	s_mov_b32 s22, exec_lo
	v_cmpx_ne_u16_e32 0x80, v1
	s_cbranch_execz .LBB448_71
; %bb.66:                               ;   in Loop: Header=BB448_13 Depth=1
	v_and_b32_e32 v1, 0x7f, v32
	v_mov_b32_e32 v0, 0x7f800001
	s_mov_b32 s23, exec_lo
	s_delay_alu instid0(VALU_DEP_2)
	v_cmpx_ne_u32_e32 0x7f, v1
	s_cbranch_execz .LBB448_70
; %bb.67:                               ;   in Loop: Header=BB448_13 Depth=1
	v_lshrrev_b32_e32 v0, 3, v1
	v_dual_mov_b32 v34, v19 :: v_dual_mov_b32 v33, v18
	s_mov_b32 s24, exec_lo
	v_cmpx_gt_u32_e32 8, v1
; %bb.68:                               ;   in Loop: Header=BB448_13 Depth=1
	v_and_b32_e32 v0, 7, v32
	s_delay_alu instid0(VALU_DEP_1) | instskip(NEXT) | instid1(VALU_DEP_1)
	v_clz_i32_u32_e32 v0, v0
	v_min_u32_e32 v0, 32, v0
	s_delay_alu instid0(VALU_DEP_1) | instskip(SKIP_1) | instid1(VALU_DEP_2)
	v_subrev_nc_u32_e32 v1, 28, v0
	v_sub_nc_u32_e32 v0, 29, v0
	v_lshlrev_b64 v[33:34], v1, v[18:19]
; %bb.69:                               ;   in Loop: Header=BB448_13 Depth=1
	s_or_b32 exec_lo, exec_lo, s24
	s_delay_alu instid0(VALU_DEP_1) | instskip(SKIP_2) | instid1(VALU_DEP_3)
	v_lshlrev_b32_e32 v1, 20, v33
	v_lshlrev_b32_e32 v2, 24, v18
	v_lshl_add_u32 v0, v0, 23, 0x3c000000
	v_and_b32_e32 v1, 0x700000, v1
	s_delay_alu instid0(VALU_DEP_3) | instskip(NEXT) | instid1(VALU_DEP_1)
	v_and_b32_e32 v2, 0x80000000, v2
	v_or3_b32 v0, v1, v2, v0
.LBB448_70:                             ;   in Loop: Header=BB448_13 Depth=1
	s_or_b32 exec_lo, exec_lo, s23
.LBB448_71:                             ;   in Loop: Header=BB448_13 Depth=1
	s_delay_alu instid0(SALU_CYCLE_1)
	s_or_b32 exec_lo, exec_lo, s22
.LBB448_72:                             ;   in Loop: Header=BB448_13 Depth=1
	s_delay_alu instid0(SALU_CYCLE_1) | instskip(NEXT) | instid1(VALU_DEP_1)
	s_or_b32 exec_lo, exec_lo, s21
	v_mul_f32_e32 v0, v133, v0
	s_delay_alu instid0(VALU_DEP_1) | instskip(NEXT) | instid1(VALU_DEP_1)
	v_and_b32_e32 v1, 0x7f800000, v0
	v_cmp_ne_u32_e64 s1, 0x7f800000, v1
                                        ; implicit-def: $vgpr1
                                        ; kill: killed $vgpr1
	s_delay_alu instid0(VALU_DEP_1) | instskip(NEXT) | instid1(SALU_CYCLE_1)
	s_and_saveexec_b32 s21, s1
	s_xor_b32 s1, exec_lo, s21
	s_cbranch_execz .LBB448_74
; %bb.73:                               ;   in Loop: Header=BB448_13 Depth=1
	v_bfe_u32 v1, v0, 16, 1
	s_delay_alu instid0(VALU_DEP_1)
	v_add3_u32 v0, v0, v1, 0x7fff
	scratch_store_b32 off, v0, s32 offset:356 ; 4-byte Folded Spill
                                        ; implicit-def: $vgpr0
.LBB448_74:                             ;   in Loop: Header=BB448_13 Depth=1
	s_and_not1_saveexec_b32 s21, s1
	s_cbranch_execz .LBB448_76
; %bb.75:                               ;   in Loop: Header=BB448_13 Depth=1
	v_and_b32_e32 v1, 0xffff, v0
	v_or_b32_e32 v2, 0x10000, v0
	s_delay_alu instid0(VALU_DEP_2) | instskip(NEXT) | instid1(VALU_DEP_1)
	v_cmp_eq_u32_e64 s1, 0, v1
	v_cndmask_b32_e64 v0, v2, v0, s1
	scratch_store_b32 off, v0, s32 offset:356 ; 4-byte Folded Spill
.LBB448_76:                             ;   in Loop: Header=BB448_13 Depth=1
	s_or_b32 exec_lo, exec_lo, s21
	v_lshrrev_b16 v1, 8, v18
	v_mov_b32_e32 v0, 0
	s_mov_b32 s21, exec_lo
	s_delay_alu instid0(VALU_DEP_2)
	v_cmpx_ne_u16_e32 0, v1
	s_cbranch_execz .LBB448_84
; %bb.77:                               ;   in Loop: Header=BB448_13 Depth=1
	v_bfrev_b32_e32 v0, 1
	s_mov_b32 s22, exec_lo
	v_cmpx_ne_u16_e32 0x80, v1
	s_cbranch_execz .LBB448_83
; %bb.78:                               ;   in Loop: Header=BB448_13 Depth=1
	v_and_b32_e32 v2, 0xffff, v1
	v_mov_b32_e32 v0, 0x7f800001
	s_mov_b32 s23, exec_lo
	s_delay_alu instid0(VALU_DEP_2) | instskip(NEXT) | instid1(VALU_DEP_1)
	v_and_b32_e32 v1, 0x7f, v2
	v_cmpx_ne_u32_e32 0x7f, v1
	s_cbranch_execz .LBB448_82
; %bb.79:                               ;   in Loop: Header=BB448_13 Depth=1
	v_dual_mov_b32 v34, v19 :: v_dual_and_b32 v33, 7, v2
	v_lshrrev_b32_e32 v0, 3, v1
	s_mov_b32 s24, exec_lo
	v_cmpx_gt_u32_e32 8, v1
; %bb.80:                               ;   in Loop: Header=BB448_13 Depth=1
	s_delay_alu instid0(VALU_DEP_3) | instskip(NEXT) | instid1(VALU_DEP_1)
	v_clz_i32_u32_e32 v0, v33
	v_min_u32_e32 v0, 32, v0
	s_delay_alu instid0(VALU_DEP_1) | instskip(SKIP_1) | instid1(VALU_DEP_2)
	v_subrev_nc_u32_e32 v1, 28, v0
	v_sub_nc_u32_e32 v0, 29, v0
	v_lshlrev_b64 v[1:2], v1, v[33:34]
	s_delay_alu instid0(VALU_DEP_1)
	v_and_b32_e32 v33, 7, v1
; %bb.81:                               ;   in Loop: Header=BB448_13 Depth=1
	s_or_b32 exec_lo, exec_lo, s24
	v_lshlrev_b32_e32 v1, 16, v18
	s_delay_alu instid0(VALU_DEP_2) | instskip(SKIP_1) | instid1(VALU_DEP_3)
	v_lshlrev_b32_e32 v2, 20, v33
	v_lshl_add_u32 v0, v0, 23, 0x3c000000
	v_and_b32_e32 v1, 0x80000000, v1
	s_delay_alu instid0(VALU_DEP_1)
	v_or3_b32 v0, v2, v1, v0
.LBB448_82:                             ;   in Loop: Header=BB448_13 Depth=1
	s_or_b32 exec_lo, exec_lo, s23
.LBB448_83:                             ;   in Loop: Header=BB448_13 Depth=1
	s_delay_alu instid0(SALU_CYCLE_1)
	s_or_b32 exec_lo, exec_lo, s22
.LBB448_84:                             ;   in Loop: Header=BB448_13 Depth=1
	s_delay_alu instid0(SALU_CYCLE_1) | instskip(NEXT) | instid1(VALU_DEP_1)
	s_or_b32 exec_lo, exec_lo, s21
	v_mul_f32_e32 v0, v133, v0
	s_delay_alu instid0(VALU_DEP_1) | instskip(NEXT) | instid1(VALU_DEP_1)
	v_and_b32_e32 v1, 0x7f800000, v0
	v_cmp_ne_u32_e64 s1, 0x7f800000, v1
                                        ; implicit-def: $vgpr1
                                        ; kill: killed $vgpr1
	s_delay_alu instid0(VALU_DEP_1) | instskip(NEXT) | instid1(SALU_CYCLE_1)
	s_and_saveexec_b32 s21, s1
	s_xor_b32 s1, exec_lo, s21
	s_cbranch_execz .LBB448_86
; %bb.85:                               ;   in Loop: Header=BB448_13 Depth=1
	v_bfe_u32 v1, v0, 16, 1
	s_delay_alu instid0(VALU_DEP_1)
	v_add3_u32 v0, v0, v1, 0x7fff
	scratch_store_b32 off, v0, s32 offset:360 ; 4-byte Folded Spill
                                        ; implicit-def: $vgpr0
.LBB448_86:                             ;   in Loop: Header=BB448_13 Depth=1
	s_and_not1_saveexec_b32 s21, s1
	s_cbranch_execz .LBB448_88
; %bb.87:                               ;   in Loop: Header=BB448_13 Depth=1
	v_and_b32_e32 v1, 0xffff, v0
	v_or_b32_e32 v2, 0x10000, v0
	s_delay_alu instid0(VALU_DEP_2) | instskip(NEXT) | instid1(VALU_DEP_1)
	v_cmp_eq_u32_e64 s1, 0, v1
	v_cndmask_b32_e64 v0, v2, v0, s1
	scratch_store_b32 off, v0, s32 offset:360 ; 4-byte Folded Spill
.LBB448_88:                             ;   in Loop: Header=BB448_13 Depth=1
	s_or_b32 exec_lo, exec_lo, s21
	v_lshrrev_b32_e32 v0, 16, v32
	s_mov_b32 s21, exec_lo
	s_delay_alu instid0(VALU_DEP_1) | instskip(NEXT) | instid1(VALU_DEP_1)
	v_dual_mov_b32 v1, 0 :: v_dual_and_b32 v2, 0xff, v0
	v_cmpx_ne_u16_e32 0, v2
	s_cbranch_execz .LBB448_96
; %bb.89:                               ;   in Loop: Header=BB448_13 Depth=1
	v_bfrev_b32_e32 v1, 1
	s_mov_b32 s22, exec_lo
	v_cmpx_ne_u16_e32 0x80, v2
	s_cbranch_execz .LBB448_95
; %bb.90:                               ;   in Loop: Header=BB448_13 Depth=1
	v_bfe_u32 v2, v32, 16, 7
	v_mov_b32_e32 v1, 0x7f800001
	s_mov_b32 s23, exec_lo
	s_delay_alu instid0(VALU_DEP_2)
	v_cmpx_ne_u32_e32 0x7f, v2
	s_cbranch_execz .LBB448_94
; %bb.91:                               ;   in Loop: Header=BB448_13 Depth=1
	v_and_b32_e32 v18, 7, v0
	v_lshrrev_b32_e32 v1, 3, v2
	v_mov_b32_e32 v34, v19
	s_mov_b32 s24, exec_lo
	s_delay_alu instid0(VALU_DEP_3)
	v_mov_b32_e32 v33, v18
	v_cmpx_gt_u32_e32 8, v2
; %bb.92:                               ;   in Loop: Header=BB448_13 Depth=1
	v_clz_i32_u32_e32 v1, v18
	s_delay_alu instid0(VALU_DEP_1) | instskip(NEXT) | instid1(VALU_DEP_1)
	v_min_u32_e32 v1, 32, v1
	v_subrev_nc_u32_e32 v2, 28, v1
	v_sub_nc_u32_e32 v1, 29, v1
	s_delay_alu instid0(VALU_DEP_2) | instskip(NEXT) | instid1(VALU_DEP_1)
	v_lshlrev_b64 v[2:3], v2, v[18:19]
	v_and_b32_e32 v33, 7, v2
; %bb.93:                               ;   in Loop: Header=BB448_13 Depth=1
	s_or_b32 exec_lo, exec_lo, s24
	v_lshlrev_b32_e32 v0, 24, v0
	s_delay_alu instid0(VALU_DEP_2) | instskip(SKIP_1) | instid1(VALU_DEP_3)
	v_lshlrev_b32_e32 v2, 20, v33
	v_lshl_add_u32 v1, v1, 23, 0x3c000000
	v_and_b32_e32 v0, 0x80000000, v0
	s_delay_alu instid0(VALU_DEP_1)
	v_or3_b32 v1, v2, v0, v1
.LBB448_94:                             ;   in Loop: Header=BB448_13 Depth=1
	s_or_b32 exec_lo, exec_lo, s23
.LBB448_95:                             ;   in Loop: Header=BB448_13 Depth=1
	s_delay_alu instid0(SALU_CYCLE_1)
	s_or_b32 exec_lo, exec_lo, s22
.LBB448_96:                             ;   in Loop: Header=BB448_13 Depth=1
	s_delay_alu instid0(SALU_CYCLE_1) | instskip(NEXT) | instid1(VALU_DEP_1)
	s_or_b32 exec_lo, exec_lo, s21
	v_mul_f32_e32 v0, v133, v1
	s_delay_alu instid0(VALU_DEP_1) | instskip(NEXT) | instid1(VALU_DEP_1)
	v_and_b32_e32 v1, 0x7f800000, v0
	v_cmp_ne_u32_e64 s1, 0x7f800000, v1
                                        ; implicit-def: $vgpr1
                                        ; kill: killed $vgpr1
	s_delay_alu instid0(VALU_DEP_1) | instskip(NEXT) | instid1(SALU_CYCLE_1)
	s_and_saveexec_b32 s21, s1
	s_xor_b32 s1, exec_lo, s21
	s_cbranch_execz .LBB448_98
; %bb.97:                               ;   in Loop: Header=BB448_13 Depth=1
	v_bfe_u32 v1, v0, 16, 1
	s_delay_alu instid0(VALU_DEP_1)
	v_add3_u32 v0, v0, v1, 0x7fff
	scratch_store_b32 off, v0, s32 offset:364 ; 4-byte Folded Spill
                                        ; implicit-def: $vgpr0
.LBB448_98:                             ;   in Loop: Header=BB448_13 Depth=1
	s_and_not1_saveexec_b32 s21, s1
	s_cbranch_execz .LBB448_100
; %bb.99:                               ;   in Loop: Header=BB448_13 Depth=1
	v_and_b32_e32 v1, 0xffff, v0
	v_or_b32_e32 v2, 0x10000, v0
	s_delay_alu instid0(VALU_DEP_2) | instskip(NEXT) | instid1(VALU_DEP_1)
	v_cmp_eq_u32_e64 s1, 0, v1
	v_cndmask_b32_e64 v0, v2, v0, s1
	scratch_store_b32 off, v0, s32 offset:364 ; 4-byte Folded Spill
.LBB448_100:                            ;   in Loop: Header=BB448_13 Depth=1
	s_or_b32 exec_lo, exec_lo, s21
	v_mov_b32_e32 v1, 0
	s_mov_b32 s21, exec_lo
	v_cmpx_lt_u64_e64 s[16:17], v[31:32]
	s_cbranch_execz .LBB448_108
; %bb.101:                              ;   in Loop: Header=BB448_13 Depth=1
	v_lshrrev_b32_e32 v0, 24, v32
	v_bfrev_b32_e32 v1, 1
	s_mov_b32 s22, exec_lo
	s_delay_alu instid0(VALU_DEP_2)
	v_cmpx_ne_u32_e32 0x80, v0
	s_cbranch_execz .LBB448_107
; %bb.102:                              ;   in Loop: Header=BB448_13 Depth=1
	v_bfe_u32 v2, v32, 24, 7
	v_mov_b32_e32 v1, 0x7f800001
	s_mov_b32 s23, exec_lo
	s_delay_alu instid0(VALU_DEP_2)
	v_cmpx_ne_u32_e32 0x7f, v2
	s_cbranch_execz .LBB448_106
; %bb.103:                              ;   in Loop: Header=BB448_13 Depth=1
	v_and_b32_e32 v18, 7, v0
	v_lshrrev_b32_e32 v1, 3, v2
	v_mov_b32_e32 v32, v19
	s_mov_b32 s24, exec_lo
	s_delay_alu instid0(VALU_DEP_3)
	v_mov_b32_e32 v31, v18
	v_cmpx_gt_u32_e32 8, v2
; %bb.104:                              ;   in Loop: Header=BB448_13 Depth=1
	v_clz_i32_u32_e32 v1, v18
	s_delay_alu instid0(VALU_DEP_1) | instskip(NEXT) | instid1(VALU_DEP_1)
	v_min_u32_e32 v1, 32, v1
	v_subrev_nc_u32_e32 v2, 28, v1
	v_sub_nc_u32_e32 v1, 29, v1
	s_delay_alu instid0(VALU_DEP_2) | instskip(NEXT) | instid1(VALU_DEP_1)
	v_lshlrev_b64 v[2:3], v2, v[18:19]
	v_and_b32_e32 v31, 7, v2
; %bb.105:                              ;   in Loop: Header=BB448_13 Depth=1
	s_or_b32 exec_lo, exec_lo, s24
	v_lshlrev_b32_e32 v0, 24, v0
	s_delay_alu instid0(VALU_DEP_2) | instskip(SKIP_1) | instid1(VALU_DEP_3)
	v_lshlrev_b32_e32 v2, 20, v31
	v_lshl_add_u32 v1, v1, 23, 0x3c000000
	v_and_b32_e32 v0, 0x80000000, v0
	s_delay_alu instid0(VALU_DEP_1)
	v_or3_b32 v1, v2, v0, v1
.LBB448_106:                            ;   in Loop: Header=BB448_13 Depth=1
	s_or_b32 exec_lo, exec_lo, s23
.LBB448_107:                            ;   in Loop: Header=BB448_13 Depth=1
	s_delay_alu instid0(SALU_CYCLE_1)
	s_or_b32 exec_lo, exec_lo, s22
.LBB448_108:                            ;   in Loop: Header=BB448_13 Depth=1
	s_delay_alu instid0(SALU_CYCLE_1) | instskip(NEXT) | instid1(VALU_DEP_1)
	s_or_b32 exec_lo, exec_lo, s21
	v_mul_f32_e32 v0, v133, v1
	s_delay_alu instid0(VALU_DEP_1) | instskip(NEXT) | instid1(VALU_DEP_1)
	v_and_b32_e32 v1, 0x7f800000, v0
	v_cmp_ne_u32_e64 s1, 0x7f800000, v1
                                        ; implicit-def: $vgpr1
                                        ; kill: killed $vgpr1
	s_delay_alu instid0(VALU_DEP_1) | instskip(NEXT) | instid1(SALU_CYCLE_1)
	s_and_saveexec_b32 s21, s1
	s_xor_b32 s1, exec_lo, s21
	s_cbranch_execz .LBB448_110
; %bb.109:                              ;   in Loop: Header=BB448_13 Depth=1
	v_bfe_u32 v1, v0, 16, 1
	s_delay_alu instid0(VALU_DEP_1)
	v_add3_u32 v0, v0, v1, 0x7fff
	scratch_store_b32 off, v0, s32 offset:368 ; 4-byte Folded Spill
                                        ; implicit-def: $vgpr0
.LBB448_110:                            ;   in Loop: Header=BB448_13 Depth=1
	s_and_not1_saveexec_b32 s21, s1
	s_cbranch_execz .LBB448_112
; %bb.111:                              ;   in Loop: Header=BB448_13 Depth=1
	v_and_b32_e32 v1, 0xffff, v0
	v_or_b32_e32 v2, 0x10000, v0
	s_delay_alu instid0(VALU_DEP_2) | instskip(NEXT) | instid1(VALU_DEP_1)
	v_cmp_eq_u32_e64 s1, 0, v1
	v_cndmask_b32_e64 v0, v2, v0, s1
	scratch_store_b32 off, v0, s32 offset:368 ; 4-byte Folded Spill
.LBB448_112:                            ;   in Loop: Header=BB448_13 Depth=1
	s_or_b32 exec_lo, exec_lo, s21
	flat_load_b64 v[31:32], v[28:29] offset:8
	s_mov_b32 s21, exec_lo
	s_waitcnt vmcnt(0) lgkmcnt(0)
	v_dual_mov_b32 v0, 0 :: v_dual_and_b32 v1, 0xff, v31
	s_delay_alu instid0(VALU_DEP_1)
	v_cmpx_ne_u16_e32 0, v1
	s_cbranch_execz .LBB448_120
; %bb.113:                              ;   in Loop: Header=BB448_13 Depth=1
	v_bfrev_b32_e32 v0, 1
	s_mov_b32 s22, exec_lo
	v_cmpx_ne_u16_e32 0x80, v1
	s_cbranch_execz .LBB448_119
; %bb.114:                              ;   in Loop: Header=BB448_13 Depth=1
	v_and_b32_e32 v1, 0x7f, v31
	v_mov_b32_e32 v0, 0x7f800001
	s_mov_b32 s23, exec_lo
	s_delay_alu instid0(VALU_DEP_2)
	v_cmpx_ne_u32_e32 0x7f, v1
	s_cbranch_execz .LBB448_118
; %bb.115:                              ;   in Loop: Header=BB448_13 Depth=1
	v_lshrrev_b32_e32 v0, 3, v1
	v_dual_mov_b32 v34, v32 :: v_dual_mov_b32 v33, v31
	s_mov_b32 s24, exec_lo
	v_cmpx_gt_u32_e32 8, v1
; %bb.116:                              ;   in Loop: Header=BB448_13 Depth=1
	v_and_b32_e32 v0, 7, v31
	s_delay_alu instid0(VALU_DEP_1) | instskip(NEXT) | instid1(VALU_DEP_1)
	v_clz_i32_u32_e32 v0, v0
	v_min_u32_e32 v0, 32, v0
	s_delay_alu instid0(VALU_DEP_1) | instskip(SKIP_1) | instid1(VALU_DEP_2)
	v_subrev_nc_u32_e32 v1, 28, v0
	v_sub_nc_u32_e32 v0, 29, v0
	v_lshlrev_b64 v[33:34], v1, v[31:32]
; %bb.117:                              ;   in Loop: Header=BB448_13 Depth=1
	s_or_b32 exec_lo, exec_lo, s24
	s_delay_alu instid0(VALU_DEP_1) | instskip(SKIP_2) | instid1(VALU_DEP_3)
	v_lshlrev_b32_e32 v1, 20, v33
	v_lshlrev_b32_e32 v2, 24, v31
	v_lshl_add_u32 v0, v0, 23, 0x3c000000
	v_and_b32_e32 v1, 0x700000, v1
	s_delay_alu instid0(VALU_DEP_3) | instskip(NEXT) | instid1(VALU_DEP_1)
	v_and_b32_e32 v2, 0x80000000, v2
	v_or3_b32 v0, v1, v2, v0
.LBB448_118:                            ;   in Loop: Header=BB448_13 Depth=1
	s_or_b32 exec_lo, exec_lo, s23
.LBB448_119:                            ;   in Loop: Header=BB448_13 Depth=1
	s_delay_alu instid0(SALU_CYCLE_1)
	s_or_b32 exec_lo, exec_lo, s22
.LBB448_120:                            ;   in Loop: Header=BB448_13 Depth=1
	s_delay_alu instid0(SALU_CYCLE_1) | instskip(NEXT) | instid1(VALU_DEP_1)
	s_or_b32 exec_lo, exec_lo, s21
	v_mul_f32_e32 v0, v133, v0
                                        ; implicit-def: $vgpr165
	s_delay_alu instid0(VALU_DEP_1) | instskip(NEXT) | instid1(VALU_DEP_1)
	v_and_b32_e32 v1, 0x7f800000, v0
	v_cmp_ne_u32_e64 s1, 0x7f800000, v1
	s_delay_alu instid0(VALU_DEP_1) | instskip(NEXT) | instid1(SALU_CYCLE_1)
	s_and_saveexec_b32 s21, s1
	s_xor_b32 s1, exec_lo, s21
; %bb.121:                              ;   in Loop: Header=BB448_13 Depth=1
	v_bfe_u32 v1, v0, 16, 1
	s_delay_alu instid0(VALU_DEP_1)
	v_add3_u32 v165, v0, v1, 0x7fff
                                        ; implicit-def: $vgpr0
; %bb.122:                              ;   in Loop: Header=BB448_13 Depth=1
	s_and_not1_saveexec_b32 s21, s1
; %bb.123:                              ;   in Loop: Header=BB448_13 Depth=1
	v_and_b32_e32 v1, 0xffff, v0
	v_or_b32_e32 v2, 0x10000, v0
	s_delay_alu instid0(VALU_DEP_2) | instskip(NEXT) | instid1(VALU_DEP_1)
	v_cmp_eq_u32_e64 s1, 0, v1
	v_cndmask_b32_e64 v165, v2, v0, s1
; %bb.124:                              ;   in Loop: Header=BB448_13 Depth=1
	s_or_b32 exec_lo, exec_lo, s21
	v_lshrrev_b16 v1, 8, v31
	v_mov_b32_e32 v0, 0
	s_mov_b32 s21, exec_lo
	s_delay_alu instid0(VALU_DEP_2)
	v_cmpx_ne_u16_e32 0, v1
	s_cbranch_execz .LBB448_132
; %bb.125:                              ;   in Loop: Header=BB448_13 Depth=1
	v_bfrev_b32_e32 v0, 1
	s_mov_b32 s22, exec_lo
	v_cmpx_ne_u16_e32 0x80, v1
	s_cbranch_execz .LBB448_131
; %bb.126:                              ;   in Loop: Header=BB448_13 Depth=1
	v_and_b32_e32 v2, 0xffff, v1
	v_mov_b32_e32 v0, 0x7f800001
	s_mov_b32 s23, exec_lo
	s_delay_alu instid0(VALU_DEP_2) | instskip(NEXT) | instid1(VALU_DEP_1)
	v_and_b32_e32 v1, 0x7f, v2
	v_cmpx_ne_u32_e32 0x7f, v1
	s_cbranch_execz .LBB448_130
; %bb.127:                              ;   in Loop: Header=BB448_13 Depth=1
	v_and_b32_e32 v18, 7, v2
	v_lshrrev_b32_e32 v0, 3, v1
	v_mov_b32_e32 v34, v19
	s_mov_b32 s24, exec_lo
	s_delay_alu instid0(VALU_DEP_3)
	v_mov_b32_e32 v33, v18
	v_cmpx_gt_u32_e32 8, v1
; %bb.128:                              ;   in Loop: Header=BB448_13 Depth=1
	v_clz_i32_u32_e32 v0, v18
	s_delay_alu instid0(VALU_DEP_1) | instskip(NEXT) | instid1(VALU_DEP_1)
	v_min_u32_e32 v0, 32, v0
	v_subrev_nc_u32_e32 v1, 28, v0
	v_sub_nc_u32_e32 v0, 29, v0
	s_delay_alu instid0(VALU_DEP_2) | instskip(NEXT) | instid1(VALU_DEP_1)
	v_lshlrev_b64 v[1:2], v1, v[18:19]
	v_and_b32_e32 v33, 7, v1
; %bb.129:                              ;   in Loop: Header=BB448_13 Depth=1
	s_or_b32 exec_lo, exec_lo, s24
	v_lshlrev_b32_e32 v1, 16, v31
	s_delay_alu instid0(VALU_DEP_2) | instskip(SKIP_1) | instid1(VALU_DEP_3)
	v_lshlrev_b32_e32 v2, 20, v33
	v_lshl_add_u32 v0, v0, 23, 0x3c000000
	v_and_b32_e32 v1, 0x80000000, v1
	s_delay_alu instid0(VALU_DEP_1)
	v_or3_b32 v0, v2, v1, v0
.LBB448_130:                            ;   in Loop: Header=BB448_13 Depth=1
	s_or_b32 exec_lo, exec_lo, s23
.LBB448_131:                            ;   in Loop: Header=BB448_13 Depth=1
	s_delay_alu instid0(SALU_CYCLE_1)
	s_or_b32 exec_lo, exec_lo, s22
.LBB448_132:                            ;   in Loop: Header=BB448_13 Depth=1
	s_delay_alu instid0(SALU_CYCLE_1) | instskip(NEXT) | instid1(VALU_DEP_1)
	s_or_b32 exec_lo, exec_lo, s21
	v_mul_f32_e32 v0, v133, v0
	s_delay_alu instid0(VALU_DEP_1) | instskip(NEXT) | instid1(VALU_DEP_1)
	v_and_b32_e32 v1, 0x7f800000, v0
	v_cmp_ne_u32_e64 s1, 0x7f800000, v1
                                        ; implicit-def: $vgpr1
                                        ; kill: killed $vgpr1
	s_delay_alu instid0(VALU_DEP_1) | instskip(NEXT) | instid1(SALU_CYCLE_1)
	s_and_saveexec_b32 s21, s1
	s_xor_b32 s1, exec_lo, s21
	s_cbranch_execz .LBB448_134
; %bb.133:                              ;   in Loop: Header=BB448_13 Depth=1
	v_bfe_u32 v1, v0, 16, 1
	s_delay_alu instid0(VALU_DEP_1)
	v_add3_u32 v0, v0, v1, 0x7fff
	scratch_store_b32 off, v0, s32 offset:376 ; 4-byte Folded Spill
                                        ; implicit-def: $vgpr0
.LBB448_134:                            ;   in Loop: Header=BB448_13 Depth=1
	s_and_not1_saveexec_b32 s21, s1
	s_cbranch_execz .LBB448_136
; %bb.135:                              ;   in Loop: Header=BB448_13 Depth=1
	v_and_b32_e32 v1, 0xffff, v0
	v_or_b32_e32 v2, 0x10000, v0
	s_delay_alu instid0(VALU_DEP_2) | instskip(NEXT) | instid1(VALU_DEP_1)
	v_cmp_eq_u32_e64 s1, 0, v1
	v_cndmask_b32_e64 v0, v2, v0, s1
	scratch_store_b32 off, v0, s32 offset:376 ; 4-byte Folded Spill
.LBB448_136:                            ;   in Loop: Header=BB448_13 Depth=1
	s_or_b32 exec_lo, exec_lo, s21
	v_lshrrev_b32_e32 v0, 16, v31
	s_mov_b32 s21, exec_lo
	s_delay_alu instid0(VALU_DEP_1) | instskip(NEXT) | instid1(VALU_DEP_1)
	v_dual_mov_b32 v1, 0 :: v_dual_and_b32 v2, 0xff, v0
	v_cmpx_ne_u16_e32 0, v2
	s_cbranch_execz .LBB448_144
; %bb.137:                              ;   in Loop: Header=BB448_13 Depth=1
	v_bfrev_b32_e32 v1, 1
	s_mov_b32 s22, exec_lo
	v_cmpx_ne_u16_e32 0x80, v2
	s_cbranch_execz .LBB448_143
; %bb.138:                              ;   in Loop: Header=BB448_13 Depth=1
	v_bfe_u32 v2, v31, 16, 7
	v_mov_b32_e32 v1, 0x7f800001
	s_mov_b32 s23, exec_lo
	s_delay_alu instid0(VALU_DEP_2)
	v_cmpx_ne_u32_e32 0x7f, v2
	s_cbranch_execz .LBB448_142
; %bb.139:                              ;   in Loop: Header=BB448_13 Depth=1
	v_and_b32_e32 v18, 7, v0
	v_lshrrev_b32_e32 v1, 3, v2
	v_mov_b32_e32 v34, v19
	s_mov_b32 s24, exec_lo
	s_delay_alu instid0(VALU_DEP_3)
	v_mov_b32_e32 v33, v18
	v_cmpx_gt_u32_e32 8, v2
; %bb.140:                              ;   in Loop: Header=BB448_13 Depth=1
	v_clz_i32_u32_e32 v1, v18
	s_delay_alu instid0(VALU_DEP_1) | instskip(NEXT) | instid1(VALU_DEP_1)
	v_min_u32_e32 v1, 32, v1
	v_subrev_nc_u32_e32 v2, 28, v1
	v_sub_nc_u32_e32 v1, 29, v1
	s_delay_alu instid0(VALU_DEP_2) | instskip(NEXT) | instid1(VALU_DEP_1)
	v_lshlrev_b64 v[2:3], v2, v[18:19]
	v_and_b32_e32 v33, 7, v2
; %bb.141:                              ;   in Loop: Header=BB448_13 Depth=1
	s_or_b32 exec_lo, exec_lo, s24
	v_lshlrev_b32_e32 v0, 24, v0
	s_delay_alu instid0(VALU_DEP_2) | instskip(SKIP_1) | instid1(VALU_DEP_3)
	v_lshlrev_b32_e32 v2, 20, v33
	v_lshl_add_u32 v1, v1, 23, 0x3c000000
	v_and_b32_e32 v0, 0x80000000, v0
	s_delay_alu instid0(VALU_DEP_1)
	v_or3_b32 v1, v2, v0, v1
.LBB448_142:                            ;   in Loop: Header=BB448_13 Depth=1
	s_or_b32 exec_lo, exec_lo, s23
.LBB448_143:                            ;   in Loop: Header=BB448_13 Depth=1
	s_delay_alu instid0(SALU_CYCLE_1)
	s_or_b32 exec_lo, exec_lo, s22
.LBB448_144:                            ;   in Loop: Header=BB448_13 Depth=1
	s_delay_alu instid0(SALU_CYCLE_1) | instskip(NEXT) | instid1(VALU_DEP_1)
	s_or_b32 exec_lo, exec_lo, s21
	v_mul_f32_e32 v0, v133, v1
	s_delay_alu instid0(VALU_DEP_1) | instskip(NEXT) | instid1(VALU_DEP_1)
	v_and_b32_e32 v1, 0x7f800000, v0
	v_cmp_ne_u32_e64 s1, 0x7f800000, v1
                                        ; implicit-def: $vgpr1
                                        ; kill: killed $vgpr1
	s_delay_alu instid0(VALU_DEP_1) | instskip(NEXT) | instid1(SALU_CYCLE_1)
	s_and_saveexec_b32 s21, s1
	s_xor_b32 s1, exec_lo, s21
	s_cbranch_execz .LBB448_146
; %bb.145:                              ;   in Loop: Header=BB448_13 Depth=1
	v_bfe_u32 v1, v0, 16, 1
	s_delay_alu instid0(VALU_DEP_1)
	v_add3_u32 v0, v0, v1, 0x7fff
	scratch_store_b32 off, v0, s32 offset:380 ; 4-byte Folded Spill
                                        ; implicit-def: $vgpr0
.LBB448_146:                            ;   in Loop: Header=BB448_13 Depth=1
	s_and_not1_saveexec_b32 s21, s1
	s_cbranch_execz .LBB448_148
; %bb.147:                              ;   in Loop: Header=BB448_13 Depth=1
	v_and_b32_e32 v1, 0xffff, v0
	v_or_b32_e32 v2, 0x10000, v0
	s_delay_alu instid0(VALU_DEP_2) | instskip(NEXT) | instid1(VALU_DEP_1)
	v_cmp_eq_u32_e64 s1, 0, v1
	v_cndmask_b32_e64 v0, v2, v0, s1
	scratch_store_b32 off, v0, s32 offset:380 ; 4-byte Folded Spill
.LBB448_148:                            ;   in Loop: Header=BB448_13 Depth=1
	s_or_b32 exec_lo, exec_lo, s21
	v_mov_b32_e32 v1, 0
	s_mov_b32 s21, exec_lo
	v_cmpx_lt_u32_e32 0xffffff, v31
	s_cbranch_execz .LBB448_156
; %bb.149:                              ;   in Loop: Header=BB448_13 Depth=1
	v_lshrrev_b32_e32 v0, 24, v31
	v_bfrev_b32_e32 v1, 1
	s_mov_b32 s22, exec_lo
	s_delay_alu instid0(VALU_DEP_2)
	v_cmpx_ne_u32_e32 0x80, v0
	s_cbranch_execz .LBB448_155
; %bb.150:                              ;   in Loop: Header=BB448_13 Depth=1
	v_bfe_u32 v2, v31, 24, 7
	v_mov_b32_e32 v1, 0x7f800001
	s_mov_b32 s23, exec_lo
	s_delay_alu instid0(VALU_DEP_2)
	v_cmpx_ne_u32_e32 0x7f, v2
	s_cbranch_execz .LBB448_154
; %bb.151:                              ;   in Loop: Header=BB448_13 Depth=1
	v_and_b32_e32 v18, 7, v0
	v_lshrrev_b32_e32 v1, 3, v2
	v_mov_b32_e32 v34, v19
	s_mov_b32 s24, exec_lo
	s_delay_alu instid0(VALU_DEP_3)
	v_mov_b32_e32 v33, v18
	v_cmpx_gt_u32_e32 8, v2
; %bb.152:                              ;   in Loop: Header=BB448_13 Depth=1
	v_clz_i32_u32_e32 v1, v18
	s_delay_alu instid0(VALU_DEP_1) | instskip(NEXT) | instid1(VALU_DEP_1)
	v_min_u32_e32 v1, 32, v1
	v_subrev_nc_u32_e32 v2, 28, v1
	v_sub_nc_u32_e32 v1, 29, v1
	s_delay_alu instid0(VALU_DEP_2) | instskip(NEXT) | instid1(VALU_DEP_1)
	v_lshlrev_b64 v[2:3], v2, v[18:19]
	v_and_b32_e32 v33, 7, v2
; %bb.153:                              ;   in Loop: Header=BB448_13 Depth=1
	s_or_b32 exec_lo, exec_lo, s24
	v_lshlrev_b32_e32 v0, 24, v0
	s_delay_alu instid0(VALU_DEP_2) | instskip(SKIP_1) | instid1(VALU_DEP_3)
	v_lshlrev_b32_e32 v2, 20, v33
	v_lshl_add_u32 v1, v1, 23, 0x3c000000
	v_and_b32_e32 v0, 0x80000000, v0
	s_delay_alu instid0(VALU_DEP_1)
	v_or3_b32 v1, v2, v0, v1
.LBB448_154:                            ;   in Loop: Header=BB448_13 Depth=1
	s_or_b32 exec_lo, exec_lo, s23
.LBB448_155:                            ;   in Loop: Header=BB448_13 Depth=1
	s_delay_alu instid0(SALU_CYCLE_1)
	s_or_b32 exec_lo, exec_lo, s22
.LBB448_156:                            ;   in Loop: Header=BB448_13 Depth=1
	s_delay_alu instid0(SALU_CYCLE_1) | instskip(NEXT) | instid1(VALU_DEP_1)
	s_or_b32 exec_lo, exec_lo, s21
	v_mul_f32_e32 v0, v133, v1
	s_delay_alu instid0(VALU_DEP_1) | instskip(NEXT) | instid1(VALU_DEP_1)
	v_and_b32_e32 v1, 0x7f800000, v0
	v_cmp_ne_u32_e64 s1, 0x7f800000, v1
                                        ; implicit-def: $vgpr1
                                        ; kill: killed $vgpr1
	s_delay_alu instid0(VALU_DEP_1) | instskip(NEXT) | instid1(SALU_CYCLE_1)
	s_and_saveexec_b32 s21, s1
	s_xor_b32 s1, exec_lo, s21
	s_cbranch_execz .LBB448_158
; %bb.157:                              ;   in Loop: Header=BB448_13 Depth=1
	v_bfe_u32 v1, v0, 16, 1
	s_delay_alu instid0(VALU_DEP_1)
	v_add3_u32 v0, v0, v1, 0x7fff
	scratch_store_b32 off, v0, s32 offset:384 ; 4-byte Folded Spill
                                        ; implicit-def: $vgpr0
.LBB448_158:                            ;   in Loop: Header=BB448_13 Depth=1
	s_and_not1_saveexec_b32 s21, s1
	s_cbranch_execz .LBB448_160
; %bb.159:                              ;   in Loop: Header=BB448_13 Depth=1
	v_and_b32_e32 v1, 0xffff, v0
	v_or_b32_e32 v2, 0x10000, v0
	s_delay_alu instid0(VALU_DEP_2) | instskip(NEXT) | instid1(VALU_DEP_1)
	v_cmp_eq_u32_e64 s1, 0, v1
	v_cndmask_b32_e64 v0, v2, v0, s1
	scratch_store_b32 off, v0, s32 offset:384 ; 4-byte Folded Spill
.LBB448_160:                            ;   in Loop: Header=BB448_13 Depth=1
	s_or_b32 exec_lo, exec_lo, s21
	v_dual_mov_b32 v18, v32 :: v_dual_and_b32 v1, 0xff, v32
	v_mov_b32_e32 v0, 0
	s_mov_b32 s21, exec_lo
	s_delay_alu instid0(VALU_DEP_2)
	v_cmpx_ne_u16_e32 0, v1
	s_cbranch_execz .LBB448_168
; %bb.161:                              ;   in Loop: Header=BB448_13 Depth=1
	v_bfrev_b32_e32 v0, 1
	s_mov_b32 s22, exec_lo
	v_cmpx_ne_u16_e32 0x80, v1
	s_cbranch_execz .LBB448_167
; %bb.162:                              ;   in Loop: Header=BB448_13 Depth=1
	v_and_b32_e32 v1, 0x7f, v32
	v_mov_b32_e32 v0, 0x7f800001
	s_mov_b32 s23, exec_lo
	s_delay_alu instid0(VALU_DEP_2)
	v_cmpx_ne_u32_e32 0x7f, v1
	s_cbranch_execz .LBB448_166
; %bb.163:                              ;   in Loop: Header=BB448_13 Depth=1
	v_lshrrev_b32_e32 v0, 3, v1
	v_dual_mov_b32 v34, v19 :: v_dual_mov_b32 v33, v18
	s_mov_b32 s24, exec_lo
	v_cmpx_gt_u32_e32 8, v1
; %bb.164:                              ;   in Loop: Header=BB448_13 Depth=1
	v_and_b32_e32 v0, 7, v32
	s_delay_alu instid0(VALU_DEP_1) | instskip(NEXT) | instid1(VALU_DEP_1)
	v_clz_i32_u32_e32 v0, v0
	v_min_u32_e32 v0, 32, v0
	s_delay_alu instid0(VALU_DEP_1) | instskip(SKIP_1) | instid1(VALU_DEP_2)
	v_subrev_nc_u32_e32 v1, 28, v0
	v_sub_nc_u32_e32 v0, 29, v0
	v_lshlrev_b64 v[33:34], v1, v[18:19]
; %bb.165:                              ;   in Loop: Header=BB448_13 Depth=1
	s_or_b32 exec_lo, exec_lo, s24
	s_delay_alu instid0(VALU_DEP_1) | instskip(SKIP_2) | instid1(VALU_DEP_3)
	v_lshlrev_b32_e32 v1, 20, v33
	v_lshlrev_b32_e32 v2, 24, v18
	v_lshl_add_u32 v0, v0, 23, 0x3c000000
	v_and_b32_e32 v1, 0x700000, v1
	s_delay_alu instid0(VALU_DEP_3) | instskip(NEXT) | instid1(VALU_DEP_1)
	v_and_b32_e32 v2, 0x80000000, v2
	v_or3_b32 v0, v1, v2, v0
.LBB448_166:                            ;   in Loop: Header=BB448_13 Depth=1
	s_or_b32 exec_lo, exec_lo, s23
.LBB448_167:                            ;   in Loop: Header=BB448_13 Depth=1
	s_delay_alu instid0(SALU_CYCLE_1)
	s_or_b32 exec_lo, exec_lo, s22
.LBB448_168:                            ;   in Loop: Header=BB448_13 Depth=1
	s_delay_alu instid0(SALU_CYCLE_1) | instskip(NEXT) | instid1(VALU_DEP_1)
	s_or_b32 exec_lo, exec_lo, s21
	v_mul_f32_e32 v0, v133, v0
	s_delay_alu instid0(VALU_DEP_1) | instskip(NEXT) | instid1(VALU_DEP_1)
	v_and_b32_e32 v1, 0x7f800000, v0
	v_cmp_ne_u32_e64 s1, 0x7f800000, v1
                                        ; implicit-def: $vgpr1
                                        ; kill: killed $vgpr1
	s_delay_alu instid0(VALU_DEP_1) | instskip(NEXT) | instid1(SALU_CYCLE_1)
	s_and_saveexec_b32 s21, s1
	s_xor_b32 s1, exec_lo, s21
	s_cbranch_execz .LBB448_170
; %bb.169:                              ;   in Loop: Header=BB448_13 Depth=1
	v_bfe_u32 v1, v0, 16, 1
	s_delay_alu instid0(VALU_DEP_1)
	v_add3_u32 v0, v0, v1, 0x7fff
	scratch_store_b32 off, v0, s32 offset:388 ; 4-byte Folded Spill
                                        ; implicit-def: $vgpr0
.LBB448_170:                            ;   in Loop: Header=BB448_13 Depth=1
	s_and_not1_saveexec_b32 s21, s1
	s_cbranch_execz .LBB448_172
; %bb.171:                              ;   in Loop: Header=BB448_13 Depth=1
	v_and_b32_e32 v1, 0xffff, v0
	v_or_b32_e32 v2, 0x10000, v0
	s_delay_alu instid0(VALU_DEP_2) | instskip(NEXT) | instid1(VALU_DEP_1)
	v_cmp_eq_u32_e64 s1, 0, v1
	v_cndmask_b32_e64 v0, v2, v0, s1
	scratch_store_b32 off, v0, s32 offset:388 ; 4-byte Folded Spill
.LBB448_172:                            ;   in Loop: Header=BB448_13 Depth=1
	s_or_b32 exec_lo, exec_lo, s21
	v_lshrrev_b16 v1, 8, v18
	v_mov_b32_e32 v0, 0
	s_mov_b32 s21, exec_lo
	s_delay_alu instid0(VALU_DEP_2)
	v_cmpx_ne_u16_e32 0, v1
	s_cbranch_execz .LBB448_180
; %bb.173:                              ;   in Loop: Header=BB448_13 Depth=1
	v_bfrev_b32_e32 v0, 1
	s_mov_b32 s22, exec_lo
	v_cmpx_ne_u16_e32 0x80, v1
	s_cbranch_execz .LBB448_179
; %bb.174:                              ;   in Loop: Header=BB448_13 Depth=1
	v_and_b32_e32 v2, 0xffff, v1
	v_mov_b32_e32 v0, 0x7f800001
	s_mov_b32 s23, exec_lo
	s_delay_alu instid0(VALU_DEP_2) | instskip(NEXT) | instid1(VALU_DEP_1)
	v_and_b32_e32 v1, 0x7f, v2
	v_cmpx_ne_u32_e32 0x7f, v1
	s_cbranch_execz .LBB448_178
; %bb.175:                              ;   in Loop: Header=BB448_13 Depth=1
	v_dual_mov_b32 v34, v19 :: v_dual_and_b32 v33, 7, v2
	v_lshrrev_b32_e32 v0, 3, v1
	s_mov_b32 s24, exec_lo
	v_cmpx_gt_u32_e32 8, v1
; %bb.176:                              ;   in Loop: Header=BB448_13 Depth=1
	s_delay_alu instid0(VALU_DEP_3) | instskip(NEXT) | instid1(VALU_DEP_1)
	v_clz_i32_u32_e32 v0, v33
	v_min_u32_e32 v0, 32, v0
	s_delay_alu instid0(VALU_DEP_1) | instskip(SKIP_1) | instid1(VALU_DEP_2)
	v_subrev_nc_u32_e32 v1, 28, v0
	v_sub_nc_u32_e32 v0, 29, v0
	v_lshlrev_b64 v[1:2], v1, v[33:34]
	s_delay_alu instid0(VALU_DEP_1)
	v_and_b32_e32 v33, 7, v1
; %bb.177:                              ;   in Loop: Header=BB448_13 Depth=1
	s_or_b32 exec_lo, exec_lo, s24
	v_lshlrev_b32_e32 v1, 16, v18
	s_delay_alu instid0(VALU_DEP_2) | instskip(SKIP_1) | instid1(VALU_DEP_3)
	v_lshlrev_b32_e32 v2, 20, v33
	v_lshl_add_u32 v0, v0, 23, 0x3c000000
	v_and_b32_e32 v1, 0x80000000, v1
	s_delay_alu instid0(VALU_DEP_1)
	v_or3_b32 v0, v2, v1, v0
.LBB448_178:                            ;   in Loop: Header=BB448_13 Depth=1
	s_or_b32 exec_lo, exec_lo, s23
.LBB448_179:                            ;   in Loop: Header=BB448_13 Depth=1
	s_delay_alu instid0(SALU_CYCLE_1)
	s_or_b32 exec_lo, exec_lo, s22
.LBB448_180:                            ;   in Loop: Header=BB448_13 Depth=1
	s_delay_alu instid0(SALU_CYCLE_1) | instskip(NEXT) | instid1(VALU_DEP_1)
	s_or_b32 exec_lo, exec_lo, s21
	v_mul_f32_e32 v0, v133, v0
	s_delay_alu instid0(VALU_DEP_1) | instskip(NEXT) | instid1(VALU_DEP_1)
	v_and_b32_e32 v1, 0x7f800000, v0
	v_cmp_ne_u32_e64 s1, 0x7f800000, v1
                                        ; implicit-def: $vgpr1
                                        ; kill: killed $vgpr1
	s_delay_alu instid0(VALU_DEP_1) | instskip(NEXT) | instid1(SALU_CYCLE_1)
	s_and_saveexec_b32 s21, s1
	s_xor_b32 s1, exec_lo, s21
	s_cbranch_execz .LBB448_182
; %bb.181:                              ;   in Loop: Header=BB448_13 Depth=1
	v_bfe_u32 v1, v0, 16, 1
	s_delay_alu instid0(VALU_DEP_1)
	v_add3_u32 v0, v0, v1, 0x7fff
	scratch_store_b32 off, v0, s32 offset:392 ; 4-byte Folded Spill
                                        ; implicit-def: $vgpr0
.LBB448_182:                            ;   in Loop: Header=BB448_13 Depth=1
	s_and_not1_saveexec_b32 s21, s1
	s_cbranch_execz .LBB448_184
; %bb.183:                              ;   in Loop: Header=BB448_13 Depth=1
	v_and_b32_e32 v1, 0xffff, v0
	v_or_b32_e32 v2, 0x10000, v0
	s_delay_alu instid0(VALU_DEP_2) | instskip(NEXT) | instid1(VALU_DEP_1)
	v_cmp_eq_u32_e64 s1, 0, v1
	v_cndmask_b32_e64 v0, v2, v0, s1
	scratch_store_b32 off, v0, s32 offset:392 ; 4-byte Folded Spill
.LBB448_184:                            ;   in Loop: Header=BB448_13 Depth=1
	s_or_b32 exec_lo, exec_lo, s21
	v_lshrrev_b32_e32 v0, 16, v32
	s_mov_b32 s21, exec_lo
	s_delay_alu instid0(VALU_DEP_1) | instskip(NEXT) | instid1(VALU_DEP_1)
	v_dual_mov_b32 v1, 0 :: v_dual_and_b32 v2, 0xff, v0
	v_cmpx_ne_u16_e32 0, v2
	s_cbranch_execz .LBB448_192
; %bb.185:                              ;   in Loop: Header=BB448_13 Depth=1
	v_bfrev_b32_e32 v1, 1
	s_mov_b32 s22, exec_lo
	v_cmpx_ne_u16_e32 0x80, v2
	s_cbranch_execz .LBB448_191
; %bb.186:                              ;   in Loop: Header=BB448_13 Depth=1
	v_bfe_u32 v2, v32, 16, 7
	v_mov_b32_e32 v1, 0x7f800001
	s_mov_b32 s23, exec_lo
	s_delay_alu instid0(VALU_DEP_2)
	v_cmpx_ne_u32_e32 0x7f, v2
	s_cbranch_execz .LBB448_190
; %bb.187:                              ;   in Loop: Header=BB448_13 Depth=1
	v_and_b32_e32 v18, 7, v0
	v_lshrrev_b32_e32 v1, 3, v2
	v_mov_b32_e32 v34, v19
	s_mov_b32 s24, exec_lo
	s_delay_alu instid0(VALU_DEP_3)
	v_mov_b32_e32 v33, v18
	v_cmpx_gt_u32_e32 8, v2
; %bb.188:                              ;   in Loop: Header=BB448_13 Depth=1
	v_clz_i32_u32_e32 v1, v18
	s_delay_alu instid0(VALU_DEP_1) | instskip(NEXT) | instid1(VALU_DEP_1)
	v_min_u32_e32 v1, 32, v1
	v_subrev_nc_u32_e32 v2, 28, v1
	v_sub_nc_u32_e32 v1, 29, v1
	s_delay_alu instid0(VALU_DEP_2) | instskip(NEXT) | instid1(VALU_DEP_1)
	v_lshlrev_b64 v[2:3], v2, v[18:19]
	v_and_b32_e32 v33, 7, v2
; %bb.189:                              ;   in Loop: Header=BB448_13 Depth=1
	s_or_b32 exec_lo, exec_lo, s24
	v_lshlrev_b32_e32 v0, 24, v0
	s_delay_alu instid0(VALU_DEP_2) | instskip(SKIP_1) | instid1(VALU_DEP_3)
	v_lshlrev_b32_e32 v2, 20, v33
	v_lshl_add_u32 v1, v1, 23, 0x3c000000
	v_and_b32_e32 v0, 0x80000000, v0
	s_delay_alu instid0(VALU_DEP_1)
	v_or3_b32 v1, v2, v0, v1
.LBB448_190:                            ;   in Loop: Header=BB448_13 Depth=1
	s_or_b32 exec_lo, exec_lo, s23
.LBB448_191:                            ;   in Loop: Header=BB448_13 Depth=1
	s_delay_alu instid0(SALU_CYCLE_1)
	s_or_b32 exec_lo, exec_lo, s22
.LBB448_192:                            ;   in Loop: Header=BB448_13 Depth=1
	s_delay_alu instid0(SALU_CYCLE_1) | instskip(NEXT) | instid1(VALU_DEP_1)
	s_or_b32 exec_lo, exec_lo, s21
	v_mul_f32_e32 v0, v133, v1
	s_delay_alu instid0(VALU_DEP_1) | instskip(NEXT) | instid1(VALU_DEP_1)
	v_and_b32_e32 v1, 0x7f800000, v0
	v_cmp_ne_u32_e64 s1, 0x7f800000, v1
                                        ; implicit-def: $vgpr1
                                        ; kill: killed $vgpr1
	s_delay_alu instid0(VALU_DEP_1) | instskip(NEXT) | instid1(SALU_CYCLE_1)
	s_and_saveexec_b32 s21, s1
	s_xor_b32 s1, exec_lo, s21
	s_cbranch_execz .LBB448_194
; %bb.193:                              ;   in Loop: Header=BB448_13 Depth=1
	v_bfe_u32 v1, v0, 16, 1
	s_delay_alu instid0(VALU_DEP_1)
	v_add3_u32 v0, v0, v1, 0x7fff
	scratch_store_b32 off, v0, s32 offset:396 ; 4-byte Folded Spill
                                        ; implicit-def: $vgpr0
.LBB448_194:                            ;   in Loop: Header=BB448_13 Depth=1
	s_and_not1_saveexec_b32 s21, s1
	s_cbranch_execz .LBB448_196
; %bb.195:                              ;   in Loop: Header=BB448_13 Depth=1
	v_and_b32_e32 v1, 0xffff, v0
	v_or_b32_e32 v2, 0x10000, v0
	s_delay_alu instid0(VALU_DEP_2) | instskip(NEXT) | instid1(VALU_DEP_1)
	v_cmp_eq_u32_e64 s1, 0, v1
	v_cndmask_b32_e64 v0, v2, v0, s1
	scratch_store_b32 off, v0, s32 offset:396 ; 4-byte Folded Spill
.LBB448_196:                            ;   in Loop: Header=BB448_13 Depth=1
	s_or_b32 exec_lo, exec_lo, s21
	v_mov_b32_e32 v1, 0
	s_mov_b32 s21, exec_lo
	v_cmpx_lt_u64_e64 s[16:17], v[31:32]
	s_cbranch_execz .LBB448_204
; %bb.197:                              ;   in Loop: Header=BB448_13 Depth=1
	v_lshrrev_b32_e32 v0, 24, v32
	v_bfrev_b32_e32 v1, 1
	s_mov_b32 s22, exec_lo
	s_delay_alu instid0(VALU_DEP_2)
	v_cmpx_ne_u32_e32 0x80, v0
	s_cbranch_execz .LBB448_203
; %bb.198:                              ;   in Loop: Header=BB448_13 Depth=1
	v_bfe_u32 v2, v32, 24, 7
	v_mov_b32_e32 v1, 0x7f800001
	s_mov_b32 s23, exec_lo
	s_delay_alu instid0(VALU_DEP_2)
	v_cmpx_ne_u32_e32 0x7f, v2
	s_cbranch_execz .LBB448_202
; %bb.199:                              ;   in Loop: Header=BB448_13 Depth=1
	v_and_b32_e32 v18, 7, v0
	v_lshrrev_b32_e32 v1, 3, v2
	v_mov_b32_e32 v32, v19
	s_mov_b32 s24, exec_lo
	s_delay_alu instid0(VALU_DEP_3)
	v_mov_b32_e32 v31, v18
	v_cmpx_gt_u32_e32 8, v2
; %bb.200:                              ;   in Loop: Header=BB448_13 Depth=1
	v_clz_i32_u32_e32 v1, v18
	s_delay_alu instid0(VALU_DEP_1) | instskip(NEXT) | instid1(VALU_DEP_1)
	v_min_u32_e32 v1, 32, v1
	v_subrev_nc_u32_e32 v2, 28, v1
	v_sub_nc_u32_e32 v1, 29, v1
	s_delay_alu instid0(VALU_DEP_2) | instskip(NEXT) | instid1(VALU_DEP_1)
	v_lshlrev_b64 v[2:3], v2, v[18:19]
	v_and_b32_e32 v31, 7, v2
; %bb.201:                              ;   in Loop: Header=BB448_13 Depth=1
	s_or_b32 exec_lo, exec_lo, s24
	v_lshlrev_b32_e32 v0, 24, v0
	s_delay_alu instid0(VALU_DEP_2) | instskip(SKIP_1) | instid1(VALU_DEP_3)
	v_lshlrev_b32_e32 v2, 20, v31
	v_lshl_add_u32 v1, v1, 23, 0x3c000000
	v_and_b32_e32 v0, 0x80000000, v0
	s_delay_alu instid0(VALU_DEP_1)
	v_or3_b32 v1, v2, v0, v1
.LBB448_202:                            ;   in Loop: Header=BB448_13 Depth=1
	s_or_b32 exec_lo, exec_lo, s23
.LBB448_203:                            ;   in Loop: Header=BB448_13 Depth=1
	s_delay_alu instid0(SALU_CYCLE_1)
	s_or_b32 exec_lo, exec_lo, s22
.LBB448_204:                            ;   in Loop: Header=BB448_13 Depth=1
	s_delay_alu instid0(SALU_CYCLE_1) | instskip(NEXT) | instid1(VALU_DEP_1)
	s_or_b32 exec_lo, exec_lo, s21
	v_mul_f32_e32 v0, v133, v1
	s_delay_alu instid0(VALU_DEP_1) | instskip(NEXT) | instid1(VALU_DEP_1)
	v_and_b32_e32 v1, 0x7f800000, v0
	v_cmp_ne_u32_e64 s1, 0x7f800000, v1
                                        ; implicit-def: $vgpr1
                                        ; kill: killed $vgpr1
	s_delay_alu instid0(VALU_DEP_1) | instskip(NEXT) | instid1(SALU_CYCLE_1)
	s_and_saveexec_b32 s21, s1
	s_xor_b32 s1, exec_lo, s21
	s_cbranch_execz .LBB448_206
; %bb.205:                              ;   in Loop: Header=BB448_13 Depth=1
	v_bfe_u32 v1, v0, 16, 1
	s_delay_alu instid0(VALU_DEP_1)
	v_add3_u32 v0, v0, v1, 0x7fff
	scratch_store_b32 off, v0, s32 offset:404 ; 4-byte Folded Spill
                                        ; implicit-def: $vgpr0
.LBB448_206:                            ;   in Loop: Header=BB448_13 Depth=1
	s_and_not1_saveexec_b32 s21, s1
	s_cbranch_execz .LBB448_208
; %bb.207:                              ;   in Loop: Header=BB448_13 Depth=1
	v_and_b32_e32 v1, 0xffff, v0
	v_or_b32_e32 v2, 0x10000, v0
	s_delay_alu instid0(VALU_DEP_2) | instskip(NEXT) | instid1(VALU_DEP_1)
	v_cmp_eq_u32_e64 s1, 0, v1
	v_cndmask_b32_e64 v0, v2, v0, s1
	scratch_store_b32 off, v0, s32 offset:404 ; 4-byte Folded Spill
.LBB448_208:                            ;   in Loop: Header=BB448_13 Depth=1
	s_or_b32 exec_lo, exec_lo, s21
	flat_load_b64 v[31:32], v[28:29] offset:512
	s_mov_b32 s21, exec_lo
	s_waitcnt vmcnt(0) lgkmcnt(0)
	v_dual_mov_b32 v0, 0 :: v_dual_and_b32 v1, 0xff, v31
	s_delay_alu instid0(VALU_DEP_1)
	v_cmpx_ne_u16_e32 0, v1
	s_cbranch_execz .LBB448_216
; %bb.209:                              ;   in Loop: Header=BB448_13 Depth=1
	v_bfrev_b32_e32 v0, 1
	s_mov_b32 s22, exec_lo
	v_cmpx_ne_u16_e32 0x80, v1
	s_cbranch_execz .LBB448_215
; %bb.210:                              ;   in Loop: Header=BB448_13 Depth=1
	v_and_b32_e32 v1, 0x7f, v31
	v_mov_b32_e32 v0, 0x7f800001
	s_mov_b32 s23, exec_lo
	s_delay_alu instid0(VALU_DEP_2)
	v_cmpx_ne_u32_e32 0x7f, v1
	s_cbranch_execz .LBB448_214
; %bb.211:                              ;   in Loop: Header=BB448_13 Depth=1
	v_lshrrev_b32_e32 v0, 3, v1
	v_dual_mov_b32 v34, v32 :: v_dual_mov_b32 v33, v31
	s_mov_b32 s24, exec_lo
	v_cmpx_gt_u32_e32 8, v1
; %bb.212:                              ;   in Loop: Header=BB448_13 Depth=1
	v_and_b32_e32 v0, 7, v31
	s_delay_alu instid0(VALU_DEP_1) | instskip(NEXT) | instid1(VALU_DEP_1)
	v_clz_i32_u32_e32 v0, v0
	v_min_u32_e32 v0, 32, v0
	s_delay_alu instid0(VALU_DEP_1) | instskip(SKIP_1) | instid1(VALU_DEP_2)
	v_subrev_nc_u32_e32 v1, 28, v0
	v_sub_nc_u32_e32 v0, 29, v0
	v_lshlrev_b64 v[33:34], v1, v[31:32]
; %bb.213:                              ;   in Loop: Header=BB448_13 Depth=1
	s_or_b32 exec_lo, exec_lo, s24
	s_delay_alu instid0(VALU_DEP_1) | instskip(SKIP_2) | instid1(VALU_DEP_3)
	v_lshlrev_b32_e32 v1, 20, v33
	v_lshlrev_b32_e32 v2, 24, v31
	v_lshl_add_u32 v0, v0, 23, 0x3c000000
	v_and_b32_e32 v1, 0x700000, v1
	s_delay_alu instid0(VALU_DEP_3) | instskip(NEXT) | instid1(VALU_DEP_1)
	v_and_b32_e32 v2, 0x80000000, v2
	v_or3_b32 v0, v1, v2, v0
.LBB448_214:                            ;   in Loop: Header=BB448_13 Depth=1
	s_or_b32 exec_lo, exec_lo, s23
.LBB448_215:                            ;   in Loop: Header=BB448_13 Depth=1
	s_delay_alu instid0(SALU_CYCLE_1)
	s_or_b32 exec_lo, exec_lo, s22
.LBB448_216:                            ;   in Loop: Header=BB448_13 Depth=1
	s_delay_alu instid0(SALU_CYCLE_1) | instskip(NEXT) | instid1(VALU_DEP_1)
	s_or_b32 exec_lo, exec_lo, s21
	v_mul_f32_e32 v0, v133, v0
	s_delay_alu instid0(VALU_DEP_1) | instskip(NEXT) | instid1(VALU_DEP_1)
	v_and_b32_e32 v1, 0x7f800000, v0
	v_cmp_ne_u32_e64 s1, 0x7f800000, v1
                                        ; implicit-def: $vgpr1
                                        ; kill: killed $vgpr1
	s_delay_alu instid0(VALU_DEP_1) | instskip(NEXT) | instid1(SALU_CYCLE_1)
	s_and_saveexec_b32 s21, s1
	s_xor_b32 s1, exec_lo, s21
	s_cbranch_execz .LBB448_218
; %bb.217:                              ;   in Loop: Header=BB448_13 Depth=1
	v_bfe_u32 v1, v0, 16, 1
	s_delay_alu instid0(VALU_DEP_1)
	v_add3_u32 v0, v0, v1, 0x7fff
	scratch_store_b32 off, v0, s32 offset:408 ; 4-byte Folded Spill
                                        ; implicit-def: $vgpr0
.LBB448_218:                            ;   in Loop: Header=BB448_13 Depth=1
	s_and_not1_saveexec_b32 s21, s1
	s_cbranch_execz .LBB448_220
; %bb.219:                              ;   in Loop: Header=BB448_13 Depth=1
	v_and_b32_e32 v1, 0xffff, v0
	v_or_b32_e32 v2, 0x10000, v0
	s_delay_alu instid0(VALU_DEP_2) | instskip(NEXT) | instid1(VALU_DEP_1)
	v_cmp_eq_u32_e64 s1, 0, v1
	v_cndmask_b32_e64 v0, v2, v0, s1
	scratch_store_b32 off, v0, s32 offset:408 ; 4-byte Folded Spill
.LBB448_220:                            ;   in Loop: Header=BB448_13 Depth=1
	s_or_b32 exec_lo, exec_lo, s21
	v_lshrrev_b16 v1, 8, v31
	v_mov_b32_e32 v0, 0
	s_mov_b32 s21, exec_lo
	s_delay_alu instid0(VALU_DEP_2)
	v_cmpx_ne_u16_e32 0, v1
	s_cbranch_execz .LBB448_228
; %bb.221:                              ;   in Loop: Header=BB448_13 Depth=1
	v_bfrev_b32_e32 v0, 1
	s_mov_b32 s22, exec_lo
	v_cmpx_ne_u16_e32 0x80, v1
	s_cbranch_execz .LBB448_227
; %bb.222:                              ;   in Loop: Header=BB448_13 Depth=1
	v_and_b32_e32 v2, 0xffff, v1
	v_mov_b32_e32 v0, 0x7f800001
	s_mov_b32 s23, exec_lo
	s_delay_alu instid0(VALU_DEP_2) | instskip(NEXT) | instid1(VALU_DEP_1)
	v_and_b32_e32 v1, 0x7f, v2
	v_cmpx_ne_u32_e32 0x7f, v1
	s_cbranch_execz .LBB448_226
; %bb.223:                              ;   in Loop: Header=BB448_13 Depth=1
	v_and_b32_e32 v18, 7, v2
	v_lshrrev_b32_e32 v0, 3, v1
	v_mov_b32_e32 v34, v19
	s_mov_b32 s24, exec_lo
	s_delay_alu instid0(VALU_DEP_3)
	v_mov_b32_e32 v33, v18
	v_cmpx_gt_u32_e32 8, v1
; %bb.224:                              ;   in Loop: Header=BB448_13 Depth=1
	v_clz_i32_u32_e32 v0, v18
	s_delay_alu instid0(VALU_DEP_1) | instskip(NEXT) | instid1(VALU_DEP_1)
	v_min_u32_e32 v0, 32, v0
	v_subrev_nc_u32_e32 v1, 28, v0
	v_sub_nc_u32_e32 v0, 29, v0
	s_delay_alu instid0(VALU_DEP_2) | instskip(NEXT) | instid1(VALU_DEP_1)
	v_lshlrev_b64 v[1:2], v1, v[18:19]
	v_and_b32_e32 v33, 7, v1
; %bb.225:                              ;   in Loop: Header=BB448_13 Depth=1
	s_or_b32 exec_lo, exec_lo, s24
	v_lshlrev_b32_e32 v1, 16, v31
	s_delay_alu instid0(VALU_DEP_2) | instskip(SKIP_1) | instid1(VALU_DEP_3)
	v_lshlrev_b32_e32 v2, 20, v33
	v_lshl_add_u32 v0, v0, 23, 0x3c000000
	v_and_b32_e32 v1, 0x80000000, v1
	s_delay_alu instid0(VALU_DEP_1)
	v_or3_b32 v0, v2, v1, v0
.LBB448_226:                            ;   in Loop: Header=BB448_13 Depth=1
	s_or_b32 exec_lo, exec_lo, s23
.LBB448_227:                            ;   in Loop: Header=BB448_13 Depth=1
	s_delay_alu instid0(SALU_CYCLE_1)
	s_or_b32 exec_lo, exec_lo, s22
.LBB448_228:                            ;   in Loop: Header=BB448_13 Depth=1
	s_delay_alu instid0(SALU_CYCLE_1) | instskip(NEXT) | instid1(VALU_DEP_1)
	s_or_b32 exec_lo, exec_lo, s21
	v_mul_f32_e32 v0, v133, v0
	s_delay_alu instid0(VALU_DEP_1) | instskip(NEXT) | instid1(VALU_DEP_1)
	v_and_b32_e32 v1, 0x7f800000, v0
	v_cmp_ne_u32_e64 s1, 0x7f800000, v1
                                        ; implicit-def: $vgpr1
                                        ; kill: killed $vgpr1
	s_delay_alu instid0(VALU_DEP_1) | instskip(NEXT) | instid1(SALU_CYCLE_1)
	s_and_saveexec_b32 s21, s1
	s_xor_b32 s1, exec_lo, s21
	s_cbranch_execz .LBB448_230
; %bb.229:                              ;   in Loop: Header=BB448_13 Depth=1
	v_bfe_u32 v1, v0, 16, 1
	s_delay_alu instid0(VALU_DEP_1)
	v_add3_u32 v0, v0, v1, 0x7fff
	scratch_store_b32 off, v0, s32 offset:412 ; 4-byte Folded Spill
                                        ; implicit-def: $vgpr0
.LBB448_230:                            ;   in Loop: Header=BB448_13 Depth=1
	s_and_not1_saveexec_b32 s21, s1
	s_cbranch_execz .LBB448_232
; %bb.231:                              ;   in Loop: Header=BB448_13 Depth=1
	v_and_b32_e32 v1, 0xffff, v0
	v_or_b32_e32 v2, 0x10000, v0
	s_delay_alu instid0(VALU_DEP_2) | instskip(NEXT) | instid1(VALU_DEP_1)
	v_cmp_eq_u32_e64 s1, 0, v1
	v_cndmask_b32_e64 v0, v2, v0, s1
	scratch_store_b32 off, v0, s32 offset:412 ; 4-byte Folded Spill
.LBB448_232:                            ;   in Loop: Header=BB448_13 Depth=1
	s_or_b32 exec_lo, exec_lo, s21
	v_lshrrev_b32_e32 v0, 16, v31
	s_mov_b32 s21, exec_lo
	s_delay_alu instid0(VALU_DEP_1) | instskip(NEXT) | instid1(VALU_DEP_1)
	v_dual_mov_b32 v1, 0 :: v_dual_and_b32 v2, 0xff, v0
	v_cmpx_ne_u16_e32 0, v2
	s_cbranch_execz .LBB448_240
; %bb.233:                              ;   in Loop: Header=BB448_13 Depth=1
	v_bfrev_b32_e32 v1, 1
	s_mov_b32 s22, exec_lo
	v_cmpx_ne_u16_e32 0x80, v2
	s_cbranch_execz .LBB448_239
; %bb.234:                              ;   in Loop: Header=BB448_13 Depth=1
	v_bfe_u32 v2, v31, 16, 7
	v_mov_b32_e32 v1, 0x7f800001
	s_mov_b32 s23, exec_lo
	s_delay_alu instid0(VALU_DEP_2)
	v_cmpx_ne_u32_e32 0x7f, v2
	s_cbranch_execz .LBB448_238
; %bb.235:                              ;   in Loop: Header=BB448_13 Depth=1
	v_and_b32_e32 v18, 7, v0
	v_lshrrev_b32_e32 v1, 3, v2
	v_mov_b32_e32 v34, v19
	s_mov_b32 s24, exec_lo
	s_delay_alu instid0(VALU_DEP_3)
	v_mov_b32_e32 v33, v18
	v_cmpx_gt_u32_e32 8, v2
; %bb.236:                              ;   in Loop: Header=BB448_13 Depth=1
	v_clz_i32_u32_e32 v1, v18
	s_delay_alu instid0(VALU_DEP_1) | instskip(NEXT) | instid1(VALU_DEP_1)
	v_min_u32_e32 v1, 32, v1
	v_subrev_nc_u32_e32 v2, 28, v1
	v_sub_nc_u32_e32 v1, 29, v1
	s_delay_alu instid0(VALU_DEP_2) | instskip(NEXT) | instid1(VALU_DEP_1)
	v_lshlrev_b64 v[2:3], v2, v[18:19]
	v_and_b32_e32 v33, 7, v2
; %bb.237:                              ;   in Loop: Header=BB448_13 Depth=1
	s_or_b32 exec_lo, exec_lo, s24
	v_lshlrev_b32_e32 v0, 24, v0
	s_delay_alu instid0(VALU_DEP_2) | instskip(SKIP_1) | instid1(VALU_DEP_3)
	v_lshlrev_b32_e32 v2, 20, v33
	v_lshl_add_u32 v1, v1, 23, 0x3c000000
	v_and_b32_e32 v0, 0x80000000, v0
	s_delay_alu instid0(VALU_DEP_1)
	v_or3_b32 v1, v2, v0, v1
.LBB448_238:                            ;   in Loop: Header=BB448_13 Depth=1
	s_or_b32 exec_lo, exec_lo, s23
.LBB448_239:                            ;   in Loop: Header=BB448_13 Depth=1
	s_delay_alu instid0(SALU_CYCLE_1)
	s_or_b32 exec_lo, exec_lo, s22
.LBB448_240:                            ;   in Loop: Header=BB448_13 Depth=1
	s_delay_alu instid0(SALU_CYCLE_1) | instskip(NEXT) | instid1(VALU_DEP_1)
	s_or_b32 exec_lo, exec_lo, s21
	v_mul_f32_e32 v0, v133, v1
	s_delay_alu instid0(VALU_DEP_1) | instskip(NEXT) | instid1(VALU_DEP_1)
	v_and_b32_e32 v1, 0x7f800000, v0
	v_cmp_ne_u32_e64 s1, 0x7f800000, v1
                                        ; implicit-def: $vgpr1
                                        ; kill: killed $vgpr1
	s_delay_alu instid0(VALU_DEP_1) | instskip(NEXT) | instid1(SALU_CYCLE_1)
	s_and_saveexec_b32 s21, s1
	s_xor_b32 s1, exec_lo, s21
	s_cbranch_execz .LBB448_242
; %bb.241:                              ;   in Loop: Header=BB448_13 Depth=1
	v_bfe_u32 v1, v0, 16, 1
	s_delay_alu instid0(VALU_DEP_1)
	v_add3_u32 v0, v0, v1, 0x7fff
	scratch_store_b32 off, v0, s32 offset:416 ; 4-byte Folded Spill
                                        ; implicit-def: $vgpr0
.LBB448_242:                            ;   in Loop: Header=BB448_13 Depth=1
	s_and_not1_saveexec_b32 s21, s1
	s_cbranch_execz .LBB448_244
; %bb.243:                              ;   in Loop: Header=BB448_13 Depth=1
	v_and_b32_e32 v1, 0xffff, v0
	v_or_b32_e32 v2, 0x10000, v0
	s_delay_alu instid0(VALU_DEP_2) | instskip(NEXT) | instid1(VALU_DEP_1)
	v_cmp_eq_u32_e64 s1, 0, v1
	v_cndmask_b32_e64 v0, v2, v0, s1
	scratch_store_b32 off, v0, s32 offset:416 ; 4-byte Folded Spill
.LBB448_244:                            ;   in Loop: Header=BB448_13 Depth=1
	s_or_b32 exec_lo, exec_lo, s21
	v_mov_b32_e32 v1, 0
	s_mov_b32 s21, exec_lo
	v_cmpx_lt_u32_e32 0xffffff, v31
	s_cbranch_execz .LBB448_252
; %bb.245:                              ;   in Loop: Header=BB448_13 Depth=1
	v_lshrrev_b32_e32 v0, 24, v31
	v_bfrev_b32_e32 v1, 1
	s_mov_b32 s22, exec_lo
	s_delay_alu instid0(VALU_DEP_2)
	v_cmpx_ne_u32_e32 0x80, v0
	s_cbranch_execz .LBB448_251
; %bb.246:                              ;   in Loop: Header=BB448_13 Depth=1
	v_bfe_u32 v2, v31, 24, 7
	v_mov_b32_e32 v1, 0x7f800001
	s_mov_b32 s23, exec_lo
	s_delay_alu instid0(VALU_DEP_2)
	v_cmpx_ne_u32_e32 0x7f, v2
	s_cbranch_execz .LBB448_250
; %bb.247:                              ;   in Loop: Header=BB448_13 Depth=1
	v_and_b32_e32 v18, 7, v0
	v_lshrrev_b32_e32 v1, 3, v2
	v_mov_b32_e32 v34, v19
	s_mov_b32 s24, exec_lo
	s_delay_alu instid0(VALU_DEP_3)
	v_mov_b32_e32 v33, v18
	v_cmpx_gt_u32_e32 8, v2
; %bb.248:                              ;   in Loop: Header=BB448_13 Depth=1
	v_clz_i32_u32_e32 v1, v18
	s_delay_alu instid0(VALU_DEP_1) | instskip(NEXT) | instid1(VALU_DEP_1)
	v_min_u32_e32 v1, 32, v1
	v_subrev_nc_u32_e32 v2, 28, v1
	v_sub_nc_u32_e32 v1, 29, v1
	s_delay_alu instid0(VALU_DEP_2) | instskip(NEXT) | instid1(VALU_DEP_1)
	v_lshlrev_b64 v[2:3], v2, v[18:19]
	v_and_b32_e32 v33, 7, v2
; %bb.249:                              ;   in Loop: Header=BB448_13 Depth=1
	s_or_b32 exec_lo, exec_lo, s24
	v_lshlrev_b32_e32 v0, 24, v0
	s_delay_alu instid0(VALU_DEP_2) | instskip(SKIP_1) | instid1(VALU_DEP_3)
	v_lshlrev_b32_e32 v2, 20, v33
	v_lshl_add_u32 v1, v1, 23, 0x3c000000
	v_and_b32_e32 v0, 0x80000000, v0
	s_delay_alu instid0(VALU_DEP_1)
	v_or3_b32 v1, v2, v0, v1
.LBB448_250:                            ;   in Loop: Header=BB448_13 Depth=1
	s_or_b32 exec_lo, exec_lo, s23
.LBB448_251:                            ;   in Loop: Header=BB448_13 Depth=1
	s_delay_alu instid0(SALU_CYCLE_1)
	s_or_b32 exec_lo, exec_lo, s22
.LBB448_252:                            ;   in Loop: Header=BB448_13 Depth=1
	s_delay_alu instid0(SALU_CYCLE_1) | instskip(NEXT) | instid1(VALU_DEP_1)
	s_or_b32 exec_lo, exec_lo, s21
	v_mul_f32_e32 v0, v133, v1
	s_delay_alu instid0(VALU_DEP_1) | instskip(NEXT) | instid1(VALU_DEP_1)
	v_and_b32_e32 v1, 0x7f800000, v0
	v_cmp_ne_u32_e64 s1, 0x7f800000, v1
                                        ; implicit-def: $vgpr1
                                        ; kill: killed $vgpr1
	s_delay_alu instid0(VALU_DEP_1) | instskip(NEXT) | instid1(SALU_CYCLE_1)
	s_and_saveexec_b32 s21, s1
	s_xor_b32 s1, exec_lo, s21
	s_cbranch_execz .LBB448_254
; %bb.253:                              ;   in Loop: Header=BB448_13 Depth=1
	v_bfe_u32 v1, v0, 16, 1
	s_delay_alu instid0(VALU_DEP_1)
	v_add3_u32 v0, v0, v1, 0x7fff
	scratch_store_b32 off, v0, s32 offset:420 ; 4-byte Folded Spill
                                        ; implicit-def: $vgpr0
.LBB448_254:                            ;   in Loop: Header=BB448_13 Depth=1
	s_and_not1_saveexec_b32 s21, s1
	s_cbranch_execz .LBB448_256
; %bb.255:                              ;   in Loop: Header=BB448_13 Depth=1
	v_and_b32_e32 v1, 0xffff, v0
	v_or_b32_e32 v2, 0x10000, v0
	s_delay_alu instid0(VALU_DEP_2) | instskip(NEXT) | instid1(VALU_DEP_1)
	v_cmp_eq_u32_e64 s1, 0, v1
	v_cndmask_b32_e64 v0, v2, v0, s1
	scratch_store_b32 off, v0, s32 offset:420 ; 4-byte Folded Spill
.LBB448_256:                            ;   in Loop: Header=BB448_13 Depth=1
	s_or_b32 exec_lo, exec_lo, s21
	v_dual_mov_b32 v18, v32 :: v_dual_and_b32 v1, 0xff, v32
	v_mov_b32_e32 v0, 0
	s_mov_b32 s21, exec_lo
	s_delay_alu instid0(VALU_DEP_2)
	v_cmpx_ne_u16_e32 0, v1
	s_cbranch_execz .LBB448_264
; %bb.257:                              ;   in Loop: Header=BB448_13 Depth=1
	v_bfrev_b32_e32 v0, 1
	s_mov_b32 s22, exec_lo
	v_cmpx_ne_u16_e32 0x80, v1
	s_cbranch_execz .LBB448_263
; %bb.258:                              ;   in Loop: Header=BB448_13 Depth=1
	v_and_b32_e32 v1, 0x7f, v32
	v_mov_b32_e32 v0, 0x7f800001
	s_mov_b32 s23, exec_lo
	s_delay_alu instid0(VALU_DEP_2)
	v_cmpx_ne_u32_e32 0x7f, v1
	s_cbranch_execz .LBB448_262
; %bb.259:                              ;   in Loop: Header=BB448_13 Depth=1
	v_lshrrev_b32_e32 v0, 3, v1
	v_dual_mov_b32 v34, v19 :: v_dual_mov_b32 v33, v18
	s_mov_b32 s24, exec_lo
	v_cmpx_gt_u32_e32 8, v1
; %bb.260:                              ;   in Loop: Header=BB448_13 Depth=1
	v_and_b32_e32 v0, 7, v32
	s_delay_alu instid0(VALU_DEP_1) | instskip(NEXT) | instid1(VALU_DEP_1)
	v_clz_i32_u32_e32 v0, v0
	v_min_u32_e32 v0, 32, v0
	s_delay_alu instid0(VALU_DEP_1) | instskip(SKIP_1) | instid1(VALU_DEP_2)
	v_subrev_nc_u32_e32 v1, 28, v0
	v_sub_nc_u32_e32 v0, 29, v0
	v_lshlrev_b64 v[33:34], v1, v[18:19]
; %bb.261:                              ;   in Loop: Header=BB448_13 Depth=1
	s_or_b32 exec_lo, exec_lo, s24
	s_delay_alu instid0(VALU_DEP_1) | instskip(SKIP_2) | instid1(VALU_DEP_3)
	v_lshlrev_b32_e32 v1, 20, v33
	v_lshlrev_b32_e32 v2, 24, v18
	v_lshl_add_u32 v0, v0, 23, 0x3c000000
	v_and_b32_e32 v1, 0x700000, v1
	s_delay_alu instid0(VALU_DEP_3) | instskip(NEXT) | instid1(VALU_DEP_1)
	v_and_b32_e32 v2, 0x80000000, v2
	v_or3_b32 v0, v1, v2, v0
.LBB448_262:                            ;   in Loop: Header=BB448_13 Depth=1
	s_or_b32 exec_lo, exec_lo, s23
.LBB448_263:                            ;   in Loop: Header=BB448_13 Depth=1
	s_delay_alu instid0(SALU_CYCLE_1)
	s_or_b32 exec_lo, exec_lo, s22
.LBB448_264:                            ;   in Loop: Header=BB448_13 Depth=1
	s_delay_alu instid0(SALU_CYCLE_1) | instskip(NEXT) | instid1(VALU_DEP_1)
	s_or_b32 exec_lo, exec_lo, s21
	v_mul_f32_e32 v0, v133, v0
	s_delay_alu instid0(VALU_DEP_1) | instskip(NEXT) | instid1(VALU_DEP_1)
	v_and_b32_e32 v1, 0x7f800000, v0
	v_cmp_ne_u32_e64 s1, 0x7f800000, v1
                                        ; implicit-def: $vgpr1
                                        ; kill: killed $vgpr1
	s_delay_alu instid0(VALU_DEP_1) | instskip(NEXT) | instid1(SALU_CYCLE_1)
	s_and_saveexec_b32 s21, s1
	s_xor_b32 s1, exec_lo, s21
	s_cbranch_execz .LBB448_266
; %bb.265:                              ;   in Loop: Header=BB448_13 Depth=1
	v_bfe_u32 v1, v0, 16, 1
	s_delay_alu instid0(VALU_DEP_1)
	v_add3_u32 v0, v0, v1, 0x7fff
	scratch_store_b32 off, v0, s32 offset:424 ; 4-byte Folded Spill
                                        ; implicit-def: $vgpr0
.LBB448_266:                            ;   in Loop: Header=BB448_13 Depth=1
	s_and_not1_saveexec_b32 s21, s1
	s_cbranch_execz .LBB448_268
; %bb.267:                              ;   in Loop: Header=BB448_13 Depth=1
	v_and_b32_e32 v1, 0xffff, v0
	v_or_b32_e32 v2, 0x10000, v0
	s_delay_alu instid0(VALU_DEP_2) | instskip(NEXT) | instid1(VALU_DEP_1)
	v_cmp_eq_u32_e64 s1, 0, v1
	v_cndmask_b32_e64 v0, v2, v0, s1
	scratch_store_b32 off, v0, s32 offset:424 ; 4-byte Folded Spill
.LBB448_268:                            ;   in Loop: Header=BB448_13 Depth=1
	s_or_b32 exec_lo, exec_lo, s21
	v_lshrrev_b16 v1, 8, v18
	v_mov_b32_e32 v0, 0
	s_mov_b32 s21, exec_lo
	s_delay_alu instid0(VALU_DEP_2)
	v_cmpx_ne_u16_e32 0, v1
	s_cbranch_execz .LBB448_276
; %bb.269:                              ;   in Loop: Header=BB448_13 Depth=1
	v_bfrev_b32_e32 v0, 1
	s_mov_b32 s22, exec_lo
	v_cmpx_ne_u16_e32 0x80, v1
	s_cbranch_execz .LBB448_275
; %bb.270:                              ;   in Loop: Header=BB448_13 Depth=1
	v_and_b32_e32 v2, 0xffff, v1
	v_mov_b32_e32 v0, 0x7f800001
	s_mov_b32 s23, exec_lo
	s_delay_alu instid0(VALU_DEP_2) | instskip(NEXT) | instid1(VALU_DEP_1)
	v_and_b32_e32 v1, 0x7f, v2
	v_cmpx_ne_u32_e32 0x7f, v1
	s_cbranch_execz .LBB448_274
; %bb.271:                              ;   in Loop: Header=BB448_13 Depth=1
	v_dual_mov_b32 v34, v19 :: v_dual_and_b32 v33, 7, v2
	v_lshrrev_b32_e32 v0, 3, v1
	s_mov_b32 s24, exec_lo
	v_cmpx_gt_u32_e32 8, v1
; %bb.272:                              ;   in Loop: Header=BB448_13 Depth=1
	s_delay_alu instid0(VALU_DEP_3) | instskip(NEXT) | instid1(VALU_DEP_1)
	v_clz_i32_u32_e32 v0, v33
	v_min_u32_e32 v0, 32, v0
	s_delay_alu instid0(VALU_DEP_1) | instskip(SKIP_1) | instid1(VALU_DEP_2)
	v_subrev_nc_u32_e32 v1, 28, v0
	v_sub_nc_u32_e32 v0, 29, v0
	v_lshlrev_b64 v[1:2], v1, v[33:34]
	s_delay_alu instid0(VALU_DEP_1)
	v_and_b32_e32 v33, 7, v1
; %bb.273:                              ;   in Loop: Header=BB448_13 Depth=1
	s_or_b32 exec_lo, exec_lo, s24
	v_lshlrev_b32_e32 v1, 16, v18
	s_delay_alu instid0(VALU_DEP_2) | instskip(SKIP_1) | instid1(VALU_DEP_3)
	v_lshlrev_b32_e32 v2, 20, v33
	v_lshl_add_u32 v0, v0, 23, 0x3c000000
	v_and_b32_e32 v1, 0x80000000, v1
	s_delay_alu instid0(VALU_DEP_1)
	v_or3_b32 v0, v2, v1, v0
.LBB448_274:                            ;   in Loop: Header=BB448_13 Depth=1
	s_or_b32 exec_lo, exec_lo, s23
.LBB448_275:                            ;   in Loop: Header=BB448_13 Depth=1
	s_delay_alu instid0(SALU_CYCLE_1)
	s_or_b32 exec_lo, exec_lo, s22
.LBB448_276:                            ;   in Loop: Header=BB448_13 Depth=1
	s_delay_alu instid0(SALU_CYCLE_1) | instskip(NEXT) | instid1(VALU_DEP_1)
	s_or_b32 exec_lo, exec_lo, s21
	v_mul_f32_e32 v0, v133, v0
                                        ; implicit-def: $vgpr177
	s_delay_alu instid0(VALU_DEP_1) | instskip(NEXT) | instid1(VALU_DEP_1)
	v_and_b32_e32 v1, 0x7f800000, v0
	v_cmp_ne_u32_e64 s1, 0x7f800000, v1
	s_delay_alu instid0(VALU_DEP_1) | instskip(NEXT) | instid1(SALU_CYCLE_1)
	s_and_saveexec_b32 s21, s1
	s_xor_b32 s1, exec_lo, s21
; %bb.277:                              ;   in Loop: Header=BB448_13 Depth=1
	v_bfe_u32 v1, v0, 16, 1
	s_delay_alu instid0(VALU_DEP_1)
	v_add3_u32 v177, v0, v1, 0x7fff
                                        ; implicit-def: $vgpr0
; %bb.278:                              ;   in Loop: Header=BB448_13 Depth=1
	s_and_not1_saveexec_b32 s21, s1
; %bb.279:                              ;   in Loop: Header=BB448_13 Depth=1
	v_and_b32_e32 v1, 0xffff, v0
	v_or_b32_e32 v2, 0x10000, v0
	s_delay_alu instid0(VALU_DEP_2) | instskip(NEXT) | instid1(VALU_DEP_1)
	v_cmp_eq_u32_e64 s1, 0, v1
	v_cndmask_b32_e64 v177, v2, v0, s1
; %bb.280:                              ;   in Loop: Header=BB448_13 Depth=1
	s_or_b32 exec_lo, exec_lo, s21
	v_lshrrev_b32_e32 v0, 16, v32
	s_mov_b32 s21, exec_lo
	s_delay_alu instid0(VALU_DEP_1) | instskip(NEXT) | instid1(VALU_DEP_1)
	v_dual_mov_b32 v1, 0 :: v_dual_and_b32 v2, 0xff, v0
	v_cmpx_ne_u16_e32 0, v2
	s_cbranch_execz .LBB448_288
; %bb.281:                              ;   in Loop: Header=BB448_13 Depth=1
	v_bfrev_b32_e32 v1, 1
	s_mov_b32 s22, exec_lo
	v_cmpx_ne_u16_e32 0x80, v2
	s_cbranch_execz .LBB448_287
; %bb.282:                              ;   in Loop: Header=BB448_13 Depth=1
	v_bfe_u32 v2, v32, 16, 7
	v_mov_b32_e32 v1, 0x7f800001
	s_mov_b32 s23, exec_lo
	s_delay_alu instid0(VALU_DEP_2)
	v_cmpx_ne_u32_e32 0x7f, v2
	s_cbranch_execz .LBB448_286
; %bb.283:                              ;   in Loop: Header=BB448_13 Depth=1
	v_and_b32_e32 v18, 7, v0
	v_lshrrev_b32_e32 v1, 3, v2
	v_mov_b32_e32 v34, v19
	s_mov_b32 s24, exec_lo
	s_delay_alu instid0(VALU_DEP_3)
	v_mov_b32_e32 v33, v18
	v_cmpx_gt_u32_e32 8, v2
; %bb.284:                              ;   in Loop: Header=BB448_13 Depth=1
	v_clz_i32_u32_e32 v1, v18
	s_delay_alu instid0(VALU_DEP_1) | instskip(NEXT) | instid1(VALU_DEP_1)
	v_min_u32_e32 v1, 32, v1
	v_subrev_nc_u32_e32 v2, 28, v1
	v_sub_nc_u32_e32 v1, 29, v1
	s_delay_alu instid0(VALU_DEP_2) | instskip(NEXT) | instid1(VALU_DEP_1)
	v_lshlrev_b64 v[2:3], v2, v[18:19]
	v_and_b32_e32 v33, 7, v2
; %bb.285:                              ;   in Loop: Header=BB448_13 Depth=1
	s_or_b32 exec_lo, exec_lo, s24
	v_lshlrev_b32_e32 v0, 24, v0
	s_delay_alu instid0(VALU_DEP_2) | instskip(SKIP_1) | instid1(VALU_DEP_3)
	v_lshlrev_b32_e32 v2, 20, v33
	v_lshl_add_u32 v1, v1, 23, 0x3c000000
	v_and_b32_e32 v0, 0x80000000, v0
	s_delay_alu instid0(VALU_DEP_1)
	v_or3_b32 v1, v2, v0, v1
.LBB448_286:                            ;   in Loop: Header=BB448_13 Depth=1
	s_or_b32 exec_lo, exec_lo, s23
.LBB448_287:                            ;   in Loop: Header=BB448_13 Depth=1
	s_delay_alu instid0(SALU_CYCLE_1)
	s_or_b32 exec_lo, exec_lo, s22
.LBB448_288:                            ;   in Loop: Header=BB448_13 Depth=1
	s_delay_alu instid0(SALU_CYCLE_1) | instskip(NEXT) | instid1(VALU_DEP_1)
	s_or_b32 exec_lo, exec_lo, s21
	v_mul_f32_e32 v0, v133, v1
                                        ; implicit-def: $vgpr178
	s_delay_alu instid0(VALU_DEP_1) | instskip(NEXT) | instid1(VALU_DEP_1)
	v_and_b32_e32 v1, 0x7f800000, v0
	v_cmp_ne_u32_e64 s1, 0x7f800000, v1
	s_delay_alu instid0(VALU_DEP_1) | instskip(NEXT) | instid1(SALU_CYCLE_1)
	s_and_saveexec_b32 s21, s1
	s_xor_b32 s1, exec_lo, s21
; %bb.289:                              ;   in Loop: Header=BB448_13 Depth=1
	v_bfe_u32 v1, v0, 16, 1
	s_delay_alu instid0(VALU_DEP_1)
	v_add3_u32 v178, v0, v1, 0x7fff
                                        ; implicit-def: $vgpr0
; %bb.290:                              ;   in Loop: Header=BB448_13 Depth=1
	s_and_not1_saveexec_b32 s21, s1
; %bb.291:                              ;   in Loop: Header=BB448_13 Depth=1
	v_and_b32_e32 v1, 0xffff, v0
	v_or_b32_e32 v2, 0x10000, v0
	s_delay_alu instid0(VALU_DEP_2) | instskip(NEXT) | instid1(VALU_DEP_1)
	v_cmp_eq_u32_e64 s1, 0, v1
	v_cndmask_b32_e64 v178, v2, v0, s1
; %bb.292:                              ;   in Loop: Header=BB448_13 Depth=1
	s_or_b32 exec_lo, exec_lo, s21
	v_mov_b32_e32 v1, 0
	s_mov_b32 s21, exec_lo
	v_cmpx_lt_u64_e64 s[16:17], v[31:32]
	s_cbranch_execz .LBB448_300
; %bb.293:                              ;   in Loop: Header=BB448_13 Depth=1
	v_lshrrev_b32_e32 v0, 24, v32
	v_bfrev_b32_e32 v1, 1
	s_mov_b32 s22, exec_lo
	s_delay_alu instid0(VALU_DEP_2)
	v_cmpx_ne_u32_e32 0x80, v0
	s_cbranch_execz .LBB448_299
; %bb.294:                              ;   in Loop: Header=BB448_13 Depth=1
	v_bfe_u32 v2, v32, 24, 7
	v_mov_b32_e32 v1, 0x7f800001
	s_mov_b32 s23, exec_lo
	s_delay_alu instid0(VALU_DEP_2)
	v_cmpx_ne_u32_e32 0x7f, v2
	s_cbranch_execz .LBB448_298
; %bb.295:                              ;   in Loop: Header=BB448_13 Depth=1
	v_and_b32_e32 v18, 7, v0
	v_lshrrev_b32_e32 v1, 3, v2
	v_mov_b32_e32 v32, v19
	s_mov_b32 s24, exec_lo
	s_delay_alu instid0(VALU_DEP_3)
	v_mov_b32_e32 v31, v18
	v_cmpx_gt_u32_e32 8, v2
; %bb.296:                              ;   in Loop: Header=BB448_13 Depth=1
	v_clz_i32_u32_e32 v1, v18
	s_delay_alu instid0(VALU_DEP_1) | instskip(NEXT) | instid1(VALU_DEP_1)
	v_min_u32_e32 v1, 32, v1
	v_subrev_nc_u32_e32 v2, 28, v1
	v_sub_nc_u32_e32 v1, 29, v1
	s_delay_alu instid0(VALU_DEP_2) | instskip(NEXT) | instid1(VALU_DEP_1)
	v_lshlrev_b64 v[2:3], v2, v[18:19]
	v_and_b32_e32 v31, 7, v2
; %bb.297:                              ;   in Loop: Header=BB448_13 Depth=1
	s_or_b32 exec_lo, exec_lo, s24
	v_lshlrev_b32_e32 v0, 24, v0
	s_delay_alu instid0(VALU_DEP_2) | instskip(SKIP_1) | instid1(VALU_DEP_3)
	v_lshlrev_b32_e32 v2, 20, v31
	v_lshl_add_u32 v1, v1, 23, 0x3c000000
	v_and_b32_e32 v0, 0x80000000, v0
	s_delay_alu instid0(VALU_DEP_1)
	v_or3_b32 v1, v2, v0, v1
.LBB448_298:                            ;   in Loop: Header=BB448_13 Depth=1
	s_or_b32 exec_lo, exec_lo, s23
.LBB448_299:                            ;   in Loop: Header=BB448_13 Depth=1
	s_delay_alu instid0(SALU_CYCLE_1)
	s_or_b32 exec_lo, exec_lo, s22
.LBB448_300:                            ;   in Loop: Header=BB448_13 Depth=1
	s_delay_alu instid0(SALU_CYCLE_1) | instskip(NEXT) | instid1(VALU_DEP_1)
	s_or_b32 exec_lo, exec_lo, s21
	v_mul_f32_e32 v0, v133, v1
                                        ; implicit-def: $vgpr179
	s_delay_alu instid0(VALU_DEP_1) | instskip(NEXT) | instid1(VALU_DEP_1)
	v_and_b32_e32 v1, 0x7f800000, v0
	v_cmp_ne_u32_e64 s1, 0x7f800000, v1
	s_delay_alu instid0(VALU_DEP_1) | instskip(NEXT) | instid1(SALU_CYCLE_1)
	s_and_saveexec_b32 s21, s1
	s_xor_b32 s1, exec_lo, s21
; %bb.301:                              ;   in Loop: Header=BB448_13 Depth=1
	v_bfe_u32 v1, v0, 16, 1
	s_delay_alu instid0(VALU_DEP_1)
	v_add3_u32 v179, v0, v1, 0x7fff
                                        ; implicit-def: $vgpr0
; %bb.302:                              ;   in Loop: Header=BB448_13 Depth=1
	s_and_not1_saveexec_b32 s21, s1
; %bb.303:                              ;   in Loop: Header=BB448_13 Depth=1
	v_and_b32_e32 v1, 0xffff, v0
	v_or_b32_e32 v2, 0x10000, v0
	s_delay_alu instid0(VALU_DEP_2) | instskip(NEXT) | instid1(VALU_DEP_1)
	v_cmp_eq_u32_e64 s1, 0, v1
	v_cndmask_b32_e64 v179, v2, v0, s1
; %bb.304:                              ;   in Loop: Header=BB448_13 Depth=1
	s_or_b32 exec_lo, exec_lo, s21
	flat_load_b64 v[31:32], v[28:29] offset:520
	s_mov_b32 s21, exec_lo
	s_waitcnt vmcnt(0) lgkmcnt(0)
	v_dual_mov_b32 v0, 0 :: v_dual_and_b32 v1, 0xff, v31
	s_delay_alu instid0(VALU_DEP_1)
	v_cmpx_ne_u16_e32 0, v1
	s_cbranch_execz .LBB448_312
; %bb.305:                              ;   in Loop: Header=BB448_13 Depth=1
	v_bfrev_b32_e32 v0, 1
	s_mov_b32 s22, exec_lo
	v_cmpx_ne_u16_e32 0x80, v1
	s_cbranch_execz .LBB448_311
; %bb.306:                              ;   in Loop: Header=BB448_13 Depth=1
	v_and_b32_e32 v1, 0x7f, v31
	v_mov_b32_e32 v0, 0x7f800001
	s_mov_b32 s23, exec_lo
	s_delay_alu instid0(VALU_DEP_2)
	v_cmpx_ne_u32_e32 0x7f, v1
	s_cbranch_execz .LBB448_310
; %bb.307:                              ;   in Loop: Header=BB448_13 Depth=1
	v_lshrrev_b32_e32 v0, 3, v1
	v_dual_mov_b32 v34, v32 :: v_dual_mov_b32 v33, v31
	s_mov_b32 s24, exec_lo
	v_cmpx_gt_u32_e32 8, v1
; %bb.308:                              ;   in Loop: Header=BB448_13 Depth=1
	v_and_b32_e32 v0, 7, v31
	s_delay_alu instid0(VALU_DEP_1) | instskip(NEXT) | instid1(VALU_DEP_1)
	v_clz_i32_u32_e32 v0, v0
	v_min_u32_e32 v0, 32, v0
	s_delay_alu instid0(VALU_DEP_1) | instskip(SKIP_1) | instid1(VALU_DEP_2)
	v_subrev_nc_u32_e32 v1, 28, v0
	v_sub_nc_u32_e32 v0, 29, v0
	v_lshlrev_b64 v[33:34], v1, v[31:32]
; %bb.309:                              ;   in Loop: Header=BB448_13 Depth=1
	s_or_b32 exec_lo, exec_lo, s24
	s_delay_alu instid0(VALU_DEP_1) | instskip(SKIP_2) | instid1(VALU_DEP_3)
	v_lshlrev_b32_e32 v1, 20, v33
	v_lshlrev_b32_e32 v2, 24, v31
	v_lshl_add_u32 v0, v0, 23, 0x3c000000
	v_and_b32_e32 v1, 0x700000, v1
	s_delay_alu instid0(VALU_DEP_3) | instskip(NEXT) | instid1(VALU_DEP_1)
	v_and_b32_e32 v2, 0x80000000, v2
	v_or3_b32 v0, v1, v2, v0
.LBB448_310:                            ;   in Loop: Header=BB448_13 Depth=1
	s_or_b32 exec_lo, exec_lo, s23
.LBB448_311:                            ;   in Loop: Header=BB448_13 Depth=1
	s_delay_alu instid0(SALU_CYCLE_1)
	s_or_b32 exec_lo, exec_lo, s22
.LBB448_312:                            ;   in Loop: Header=BB448_13 Depth=1
	s_delay_alu instid0(SALU_CYCLE_1) | instskip(NEXT) | instid1(VALU_DEP_1)
	s_or_b32 exec_lo, exec_lo, s21
	v_mul_f32_e32 v0, v133, v0
                                        ; implicit-def: $vgpr180
	s_delay_alu instid0(VALU_DEP_1) | instskip(NEXT) | instid1(VALU_DEP_1)
	v_and_b32_e32 v1, 0x7f800000, v0
	v_cmp_ne_u32_e64 s1, 0x7f800000, v1
	s_delay_alu instid0(VALU_DEP_1) | instskip(NEXT) | instid1(SALU_CYCLE_1)
	s_and_saveexec_b32 s21, s1
	s_xor_b32 s1, exec_lo, s21
; %bb.313:                              ;   in Loop: Header=BB448_13 Depth=1
	v_bfe_u32 v1, v0, 16, 1
	s_delay_alu instid0(VALU_DEP_1)
	v_add3_u32 v180, v0, v1, 0x7fff
                                        ; implicit-def: $vgpr0
; %bb.314:                              ;   in Loop: Header=BB448_13 Depth=1
	s_and_not1_saveexec_b32 s21, s1
; %bb.315:                              ;   in Loop: Header=BB448_13 Depth=1
	v_and_b32_e32 v1, 0xffff, v0
	v_or_b32_e32 v2, 0x10000, v0
	s_delay_alu instid0(VALU_DEP_2) | instskip(NEXT) | instid1(VALU_DEP_1)
	v_cmp_eq_u32_e64 s1, 0, v1
	v_cndmask_b32_e64 v180, v2, v0, s1
; %bb.316:                              ;   in Loop: Header=BB448_13 Depth=1
	s_or_b32 exec_lo, exec_lo, s21
	v_lshrrev_b16 v1, 8, v31
	v_mov_b32_e32 v0, 0
	s_mov_b32 s21, exec_lo
	s_delay_alu instid0(VALU_DEP_2)
	v_cmpx_ne_u16_e32 0, v1
	s_cbranch_execz .LBB448_324
; %bb.317:                              ;   in Loop: Header=BB448_13 Depth=1
	v_bfrev_b32_e32 v0, 1
	s_mov_b32 s22, exec_lo
	v_cmpx_ne_u16_e32 0x80, v1
	s_cbranch_execz .LBB448_323
; %bb.318:                              ;   in Loop: Header=BB448_13 Depth=1
	v_and_b32_e32 v2, 0xffff, v1
	v_mov_b32_e32 v0, 0x7f800001
	s_mov_b32 s23, exec_lo
	s_delay_alu instid0(VALU_DEP_2) | instskip(NEXT) | instid1(VALU_DEP_1)
	v_and_b32_e32 v1, 0x7f, v2
	v_cmpx_ne_u32_e32 0x7f, v1
	s_cbranch_execz .LBB448_322
; %bb.319:                              ;   in Loop: Header=BB448_13 Depth=1
	v_and_b32_e32 v18, 7, v2
	v_lshrrev_b32_e32 v0, 3, v1
	v_mov_b32_e32 v34, v19
	s_mov_b32 s24, exec_lo
	s_delay_alu instid0(VALU_DEP_3)
	v_mov_b32_e32 v33, v18
	v_cmpx_gt_u32_e32 8, v1
; %bb.320:                              ;   in Loop: Header=BB448_13 Depth=1
	v_clz_i32_u32_e32 v0, v18
	s_delay_alu instid0(VALU_DEP_1) | instskip(NEXT) | instid1(VALU_DEP_1)
	v_min_u32_e32 v0, 32, v0
	v_subrev_nc_u32_e32 v1, 28, v0
	v_sub_nc_u32_e32 v0, 29, v0
	s_delay_alu instid0(VALU_DEP_2) | instskip(NEXT) | instid1(VALU_DEP_1)
	v_lshlrev_b64 v[1:2], v1, v[18:19]
	v_and_b32_e32 v33, 7, v1
; %bb.321:                              ;   in Loop: Header=BB448_13 Depth=1
	s_or_b32 exec_lo, exec_lo, s24
	v_lshlrev_b32_e32 v1, 16, v31
	s_delay_alu instid0(VALU_DEP_2) | instskip(SKIP_1) | instid1(VALU_DEP_3)
	v_lshlrev_b32_e32 v2, 20, v33
	v_lshl_add_u32 v0, v0, 23, 0x3c000000
	v_and_b32_e32 v1, 0x80000000, v1
	s_delay_alu instid0(VALU_DEP_1)
	v_or3_b32 v0, v2, v1, v0
.LBB448_322:                            ;   in Loop: Header=BB448_13 Depth=1
	s_or_b32 exec_lo, exec_lo, s23
.LBB448_323:                            ;   in Loop: Header=BB448_13 Depth=1
	s_delay_alu instid0(SALU_CYCLE_1)
	s_or_b32 exec_lo, exec_lo, s22
.LBB448_324:                            ;   in Loop: Header=BB448_13 Depth=1
	s_delay_alu instid0(SALU_CYCLE_1) | instskip(NEXT) | instid1(VALU_DEP_1)
	s_or_b32 exec_lo, exec_lo, s21
	v_mul_f32_e32 v0, v133, v0
                                        ; implicit-def: $vgpr181
	s_delay_alu instid0(VALU_DEP_1) | instskip(NEXT) | instid1(VALU_DEP_1)
	v_and_b32_e32 v1, 0x7f800000, v0
	v_cmp_ne_u32_e64 s1, 0x7f800000, v1
	s_delay_alu instid0(VALU_DEP_1) | instskip(NEXT) | instid1(SALU_CYCLE_1)
	s_and_saveexec_b32 s21, s1
	s_xor_b32 s1, exec_lo, s21
; %bb.325:                              ;   in Loop: Header=BB448_13 Depth=1
	v_bfe_u32 v1, v0, 16, 1
	s_delay_alu instid0(VALU_DEP_1)
	v_add3_u32 v181, v0, v1, 0x7fff
                                        ; implicit-def: $vgpr0
; %bb.326:                              ;   in Loop: Header=BB448_13 Depth=1
	s_and_not1_saveexec_b32 s21, s1
; %bb.327:                              ;   in Loop: Header=BB448_13 Depth=1
	v_and_b32_e32 v1, 0xffff, v0
	v_or_b32_e32 v2, 0x10000, v0
	s_delay_alu instid0(VALU_DEP_2) | instskip(NEXT) | instid1(VALU_DEP_1)
	v_cmp_eq_u32_e64 s1, 0, v1
	v_cndmask_b32_e64 v181, v2, v0, s1
; %bb.328:                              ;   in Loop: Header=BB448_13 Depth=1
	s_or_b32 exec_lo, exec_lo, s21
	v_lshrrev_b32_e32 v0, 16, v31
	s_mov_b32 s21, exec_lo
	s_delay_alu instid0(VALU_DEP_1) | instskip(NEXT) | instid1(VALU_DEP_1)
	v_dual_mov_b32 v1, 0 :: v_dual_and_b32 v2, 0xff, v0
	v_cmpx_ne_u16_e32 0, v2
	s_cbranch_execz .LBB448_336
; %bb.329:                              ;   in Loop: Header=BB448_13 Depth=1
	v_bfrev_b32_e32 v1, 1
	s_mov_b32 s22, exec_lo
	v_cmpx_ne_u16_e32 0x80, v2
	s_cbranch_execz .LBB448_335
; %bb.330:                              ;   in Loop: Header=BB448_13 Depth=1
	v_bfe_u32 v2, v31, 16, 7
	v_mov_b32_e32 v1, 0x7f800001
	s_mov_b32 s23, exec_lo
	s_delay_alu instid0(VALU_DEP_2)
	v_cmpx_ne_u32_e32 0x7f, v2
	s_cbranch_execz .LBB448_334
; %bb.331:                              ;   in Loop: Header=BB448_13 Depth=1
	v_and_b32_e32 v18, 7, v0
	v_lshrrev_b32_e32 v1, 3, v2
	v_mov_b32_e32 v34, v19
	s_mov_b32 s24, exec_lo
	s_delay_alu instid0(VALU_DEP_3)
	v_mov_b32_e32 v33, v18
	v_cmpx_gt_u32_e32 8, v2
; %bb.332:                              ;   in Loop: Header=BB448_13 Depth=1
	v_clz_i32_u32_e32 v1, v18
	s_delay_alu instid0(VALU_DEP_1) | instskip(NEXT) | instid1(VALU_DEP_1)
	v_min_u32_e32 v1, 32, v1
	v_subrev_nc_u32_e32 v2, 28, v1
	v_sub_nc_u32_e32 v1, 29, v1
	s_delay_alu instid0(VALU_DEP_2) | instskip(NEXT) | instid1(VALU_DEP_1)
	v_lshlrev_b64 v[2:3], v2, v[18:19]
	v_and_b32_e32 v33, 7, v2
; %bb.333:                              ;   in Loop: Header=BB448_13 Depth=1
	s_or_b32 exec_lo, exec_lo, s24
	v_lshlrev_b32_e32 v0, 24, v0
	s_delay_alu instid0(VALU_DEP_2) | instskip(SKIP_1) | instid1(VALU_DEP_3)
	v_lshlrev_b32_e32 v2, 20, v33
	v_lshl_add_u32 v1, v1, 23, 0x3c000000
	v_and_b32_e32 v0, 0x80000000, v0
	s_delay_alu instid0(VALU_DEP_1)
	v_or3_b32 v1, v2, v0, v1
.LBB448_334:                            ;   in Loop: Header=BB448_13 Depth=1
	s_or_b32 exec_lo, exec_lo, s23
.LBB448_335:                            ;   in Loop: Header=BB448_13 Depth=1
	s_delay_alu instid0(SALU_CYCLE_1)
	s_or_b32 exec_lo, exec_lo, s22
.LBB448_336:                            ;   in Loop: Header=BB448_13 Depth=1
	s_delay_alu instid0(SALU_CYCLE_1) | instskip(NEXT) | instid1(VALU_DEP_1)
	s_or_b32 exec_lo, exec_lo, s21
	v_mul_f32_e32 v0, v133, v1
                                        ; implicit-def: $vgpr182
	s_delay_alu instid0(VALU_DEP_1) | instskip(NEXT) | instid1(VALU_DEP_1)
	v_and_b32_e32 v1, 0x7f800000, v0
	v_cmp_ne_u32_e64 s1, 0x7f800000, v1
	s_delay_alu instid0(VALU_DEP_1) | instskip(NEXT) | instid1(SALU_CYCLE_1)
	s_and_saveexec_b32 s21, s1
	s_xor_b32 s1, exec_lo, s21
; %bb.337:                              ;   in Loop: Header=BB448_13 Depth=1
	v_bfe_u32 v1, v0, 16, 1
	s_delay_alu instid0(VALU_DEP_1)
	v_add3_u32 v182, v0, v1, 0x7fff
                                        ; implicit-def: $vgpr0
; %bb.338:                              ;   in Loop: Header=BB448_13 Depth=1
	s_and_not1_saveexec_b32 s21, s1
; %bb.339:                              ;   in Loop: Header=BB448_13 Depth=1
	v_and_b32_e32 v1, 0xffff, v0
	v_or_b32_e32 v2, 0x10000, v0
	s_delay_alu instid0(VALU_DEP_2) | instskip(NEXT) | instid1(VALU_DEP_1)
	v_cmp_eq_u32_e64 s1, 0, v1
	v_cndmask_b32_e64 v182, v2, v0, s1
; %bb.340:                              ;   in Loop: Header=BB448_13 Depth=1
	s_or_b32 exec_lo, exec_lo, s21
	v_mov_b32_e32 v1, 0
	s_mov_b32 s21, exec_lo
	v_cmpx_lt_u32_e32 0xffffff, v31
	s_cbranch_execz .LBB448_348
; %bb.341:                              ;   in Loop: Header=BB448_13 Depth=1
	v_lshrrev_b32_e32 v0, 24, v31
	v_bfrev_b32_e32 v1, 1
	s_mov_b32 s22, exec_lo
	s_delay_alu instid0(VALU_DEP_2)
	v_cmpx_ne_u32_e32 0x80, v0
	s_cbranch_execz .LBB448_347
; %bb.342:                              ;   in Loop: Header=BB448_13 Depth=1
	v_bfe_u32 v2, v31, 24, 7
	v_mov_b32_e32 v1, 0x7f800001
	s_mov_b32 s23, exec_lo
	s_delay_alu instid0(VALU_DEP_2)
	v_cmpx_ne_u32_e32 0x7f, v2
	s_cbranch_execz .LBB448_346
; %bb.343:                              ;   in Loop: Header=BB448_13 Depth=1
	v_and_b32_e32 v18, 7, v0
	v_lshrrev_b32_e32 v1, 3, v2
	v_mov_b32_e32 v34, v19
	s_mov_b32 s24, exec_lo
	s_delay_alu instid0(VALU_DEP_3)
	v_mov_b32_e32 v33, v18
	v_cmpx_gt_u32_e32 8, v2
; %bb.344:                              ;   in Loop: Header=BB448_13 Depth=1
	v_clz_i32_u32_e32 v1, v18
	s_delay_alu instid0(VALU_DEP_1) | instskip(NEXT) | instid1(VALU_DEP_1)
	v_min_u32_e32 v1, 32, v1
	v_subrev_nc_u32_e32 v2, 28, v1
	v_sub_nc_u32_e32 v1, 29, v1
	s_delay_alu instid0(VALU_DEP_2) | instskip(NEXT) | instid1(VALU_DEP_1)
	v_lshlrev_b64 v[2:3], v2, v[18:19]
	v_and_b32_e32 v33, 7, v2
; %bb.345:                              ;   in Loop: Header=BB448_13 Depth=1
	s_or_b32 exec_lo, exec_lo, s24
	v_lshlrev_b32_e32 v0, 24, v0
	s_delay_alu instid0(VALU_DEP_2) | instskip(SKIP_1) | instid1(VALU_DEP_3)
	v_lshlrev_b32_e32 v2, 20, v33
	v_lshl_add_u32 v1, v1, 23, 0x3c000000
	v_and_b32_e32 v0, 0x80000000, v0
	s_delay_alu instid0(VALU_DEP_1)
	v_or3_b32 v1, v2, v0, v1
.LBB448_346:                            ;   in Loop: Header=BB448_13 Depth=1
	s_or_b32 exec_lo, exec_lo, s23
.LBB448_347:                            ;   in Loop: Header=BB448_13 Depth=1
	s_delay_alu instid0(SALU_CYCLE_1)
	s_or_b32 exec_lo, exec_lo, s22
.LBB448_348:                            ;   in Loop: Header=BB448_13 Depth=1
	s_delay_alu instid0(SALU_CYCLE_1) | instskip(NEXT) | instid1(VALU_DEP_1)
	s_or_b32 exec_lo, exec_lo, s21
	v_mul_f32_e32 v0, v133, v1
                                        ; implicit-def: $vgpr183
	s_delay_alu instid0(VALU_DEP_1) | instskip(NEXT) | instid1(VALU_DEP_1)
	v_and_b32_e32 v1, 0x7f800000, v0
	v_cmp_ne_u32_e64 s1, 0x7f800000, v1
	s_delay_alu instid0(VALU_DEP_1) | instskip(NEXT) | instid1(SALU_CYCLE_1)
	s_and_saveexec_b32 s21, s1
	s_xor_b32 s1, exec_lo, s21
; %bb.349:                              ;   in Loop: Header=BB448_13 Depth=1
	v_bfe_u32 v1, v0, 16, 1
	s_delay_alu instid0(VALU_DEP_1)
	v_add3_u32 v183, v0, v1, 0x7fff
                                        ; implicit-def: $vgpr0
; %bb.350:                              ;   in Loop: Header=BB448_13 Depth=1
	s_and_not1_saveexec_b32 s21, s1
; %bb.351:                              ;   in Loop: Header=BB448_13 Depth=1
	v_and_b32_e32 v1, 0xffff, v0
	v_or_b32_e32 v2, 0x10000, v0
	s_delay_alu instid0(VALU_DEP_2) | instskip(NEXT) | instid1(VALU_DEP_1)
	v_cmp_eq_u32_e64 s1, 0, v1
	v_cndmask_b32_e64 v183, v2, v0, s1
; %bb.352:                              ;   in Loop: Header=BB448_13 Depth=1
	s_or_b32 exec_lo, exec_lo, s21
	v_dual_mov_b32 v18, v32 :: v_dual_and_b32 v1, 0xff, v32
	v_mov_b32_e32 v0, 0
	s_mov_b32 s21, exec_lo
	s_delay_alu instid0(VALU_DEP_2)
	v_cmpx_ne_u16_e32 0, v1
	s_cbranch_execz .LBB448_360
; %bb.353:                              ;   in Loop: Header=BB448_13 Depth=1
	v_bfrev_b32_e32 v0, 1
	s_mov_b32 s22, exec_lo
	v_cmpx_ne_u16_e32 0x80, v1
	s_cbranch_execz .LBB448_359
; %bb.354:                              ;   in Loop: Header=BB448_13 Depth=1
	v_and_b32_e32 v1, 0x7f, v32
	v_mov_b32_e32 v0, 0x7f800001
	s_mov_b32 s23, exec_lo
	s_delay_alu instid0(VALU_DEP_2)
	v_cmpx_ne_u32_e32 0x7f, v1
	s_cbranch_execz .LBB448_358
; %bb.355:                              ;   in Loop: Header=BB448_13 Depth=1
	v_lshrrev_b32_e32 v0, 3, v1
	v_dual_mov_b32 v34, v19 :: v_dual_mov_b32 v33, v18
	s_mov_b32 s24, exec_lo
	v_cmpx_gt_u32_e32 8, v1
; %bb.356:                              ;   in Loop: Header=BB448_13 Depth=1
	v_and_b32_e32 v0, 7, v32
	s_delay_alu instid0(VALU_DEP_1) | instskip(NEXT) | instid1(VALU_DEP_1)
	v_clz_i32_u32_e32 v0, v0
	v_min_u32_e32 v0, 32, v0
	s_delay_alu instid0(VALU_DEP_1) | instskip(SKIP_1) | instid1(VALU_DEP_2)
	v_subrev_nc_u32_e32 v1, 28, v0
	v_sub_nc_u32_e32 v0, 29, v0
	v_lshlrev_b64 v[33:34], v1, v[18:19]
; %bb.357:                              ;   in Loop: Header=BB448_13 Depth=1
	s_or_b32 exec_lo, exec_lo, s24
	s_delay_alu instid0(VALU_DEP_1) | instskip(SKIP_2) | instid1(VALU_DEP_3)
	v_lshlrev_b32_e32 v1, 20, v33
	v_lshlrev_b32_e32 v2, 24, v18
	v_lshl_add_u32 v0, v0, 23, 0x3c000000
	v_and_b32_e32 v1, 0x700000, v1
	s_delay_alu instid0(VALU_DEP_3) | instskip(NEXT) | instid1(VALU_DEP_1)
	v_and_b32_e32 v2, 0x80000000, v2
	v_or3_b32 v0, v1, v2, v0
.LBB448_358:                            ;   in Loop: Header=BB448_13 Depth=1
	s_or_b32 exec_lo, exec_lo, s23
.LBB448_359:                            ;   in Loop: Header=BB448_13 Depth=1
	s_delay_alu instid0(SALU_CYCLE_1)
	s_or_b32 exec_lo, exec_lo, s22
.LBB448_360:                            ;   in Loop: Header=BB448_13 Depth=1
	s_delay_alu instid0(SALU_CYCLE_1) | instskip(NEXT) | instid1(VALU_DEP_1)
	s_or_b32 exec_lo, exec_lo, s21
	v_mul_f32_e32 v0, v133, v0
                                        ; implicit-def: $vgpr40
	s_delay_alu instid0(VALU_DEP_1) | instskip(NEXT) | instid1(VALU_DEP_1)
	v_and_b32_e32 v1, 0x7f800000, v0
	v_cmp_ne_u32_e64 s1, 0x7f800000, v1
	s_delay_alu instid0(VALU_DEP_1) | instskip(NEXT) | instid1(SALU_CYCLE_1)
	s_and_saveexec_b32 s21, s1
	s_xor_b32 s1, exec_lo, s21
; %bb.361:                              ;   in Loop: Header=BB448_13 Depth=1
	v_bfe_u32 v1, v0, 16, 1
	s_delay_alu instid0(VALU_DEP_1)
	v_add3_u32 v40, v0, v1, 0x7fff
                                        ; implicit-def: $vgpr0
; %bb.362:                              ;   in Loop: Header=BB448_13 Depth=1
	s_and_not1_saveexec_b32 s21, s1
; %bb.363:                              ;   in Loop: Header=BB448_13 Depth=1
	v_and_b32_e32 v1, 0xffff, v0
	v_or_b32_e32 v2, 0x10000, v0
	s_delay_alu instid0(VALU_DEP_2) | instskip(NEXT) | instid1(VALU_DEP_1)
	v_cmp_eq_u32_e64 s1, 0, v1
	v_cndmask_b32_e64 v40, v2, v0, s1
; %bb.364:                              ;   in Loop: Header=BB448_13 Depth=1
	s_or_b32 exec_lo, exec_lo, s21
	v_lshrrev_b16 v1, 8, v18
	v_mov_b32_e32 v0, 0
	s_mov_b32 s21, exec_lo
	s_delay_alu instid0(VALU_DEP_2)
	v_cmpx_ne_u16_e32 0, v1
	s_cbranch_execz .LBB448_372
; %bb.365:                              ;   in Loop: Header=BB448_13 Depth=1
	v_bfrev_b32_e32 v0, 1
	s_mov_b32 s22, exec_lo
	v_cmpx_ne_u16_e32 0x80, v1
	s_cbranch_execz .LBB448_371
; %bb.366:                              ;   in Loop: Header=BB448_13 Depth=1
	v_and_b32_e32 v2, 0xffff, v1
	v_mov_b32_e32 v0, 0x7f800001
	s_mov_b32 s23, exec_lo
	s_delay_alu instid0(VALU_DEP_2) | instskip(NEXT) | instid1(VALU_DEP_1)
	v_and_b32_e32 v1, 0x7f, v2
	v_cmpx_ne_u32_e32 0x7f, v1
	s_cbranch_execz .LBB448_370
; %bb.367:                              ;   in Loop: Header=BB448_13 Depth=1
	v_dual_mov_b32 v34, v19 :: v_dual_and_b32 v33, 7, v2
	v_lshrrev_b32_e32 v0, 3, v1
	s_mov_b32 s24, exec_lo
	v_cmpx_gt_u32_e32 8, v1
; %bb.368:                              ;   in Loop: Header=BB448_13 Depth=1
	s_delay_alu instid0(VALU_DEP_3) | instskip(NEXT) | instid1(VALU_DEP_1)
	v_clz_i32_u32_e32 v0, v33
	v_min_u32_e32 v0, 32, v0
	s_delay_alu instid0(VALU_DEP_1) | instskip(SKIP_1) | instid1(VALU_DEP_2)
	v_subrev_nc_u32_e32 v1, 28, v0
	v_sub_nc_u32_e32 v0, 29, v0
	v_lshlrev_b64 v[1:2], v1, v[33:34]
	s_delay_alu instid0(VALU_DEP_1)
	v_and_b32_e32 v33, 7, v1
; %bb.369:                              ;   in Loop: Header=BB448_13 Depth=1
	s_or_b32 exec_lo, exec_lo, s24
	v_lshlrev_b32_e32 v1, 16, v18
	s_delay_alu instid0(VALU_DEP_2) | instskip(SKIP_1) | instid1(VALU_DEP_3)
	v_lshlrev_b32_e32 v2, 20, v33
	v_lshl_add_u32 v0, v0, 23, 0x3c000000
	v_and_b32_e32 v1, 0x80000000, v1
	s_delay_alu instid0(VALU_DEP_1)
	v_or3_b32 v0, v2, v1, v0
.LBB448_370:                            ;   in Loop: Header=BB448_13 Depth=1
	s_or_b32 exec_lo, exec_lo, s23
.LBB448_371:                            ;   in Loop: Header=BB448_13 Depth=1
	s_delay_alu instid0(SALU_CYCLE_1)
	s_or_b32 exec_lo, exec_lo, s22
.LBB448_372:                            ;   in Loop: Header=BB448_13 Depth=1
	s_delay_alu instid0(SALU_CYCLE_1) | instskip(NEXT) | instid1(VALU_DEP_1)
	s_or_b32 exec_lo, exec_lo, s21
	v_mul_f32_e32 v0, v133, v0
                                        ; implicit-def: $vgpr41
	s_delay_alu instid0(VALU_DEP_1) | instskip(NEXT) | instid1(VALU_DEP_1)
	v_and_b32_e32 v1, 0x7f800000, v0
	v_cmp_ne_u32_e64 s1, 0x7f800000, v1
	s_delay_alu instid0(VALU_DEP_1) | instskip(NEXT) | instid1(SALU_CYCLE_1)
	s_and_saveexec_b32 s21, s1
	s_xor_b32 s1, exec_lo, s21
; %bb.373:                              ;   in Loop: Header=BB448_13 Depth=1
	v_bfe_u32 v1, v0, 16, 1
	s_delay_alu instid0(VALU_DEP_1)
	v_add3_u32 v41, v0, v1, 0x7fff
                                        ; implicit-def: $vgpr0
; %bb.374:                              ;   in Loop: Header=BB448_13 Depth=1
	s_and_not1_saveexec_b32 s21, s1
; %bb.375:                              ;   in Loop: Header=BB448_13 Depth=1
	v_and_b32_e32 v1, 0xffff, v0
	v_or_b32_e32 v2, 0x10000, v0
	s_delay_alu instid0(VALU_DEP_2) | instskip(NEXT) | instid1(VALU_DEP_1)
	v_cmp_eq_u32_e64 s1, 0, v1
	v_cndmask_b32_e64 v41, v2, v0, s1
; %bb.376:                              ;   in Loop: Header=BB448_13 Depth=1
	s_or_b32 exec_lo, exec_lo, s21
	v_lshrrev_b32_e32 v0, 16, v32
	s_mov_b32 s21, exec_lo
	s_delay_alu instid0(VALU_DEP_1) | instskip(NEXT) | instid1(VALU_DEP_1)
	v_dual_mov_b32 v1, 0 :: v_dual_and_b32 v2, 0xff, v0
	v_cmpx_ne_u16_e32 0, v2
	s_cbranch_execz .LBB448_384
; %bb.377:                              ;   in Loop: Header=BB448_13 Depth=1
	v_bfrev_b32_e32 v1, 1
	s_mov_b32 s22, exec_lo
	v_cmpx_ne_u16_e32 0x80, v2
	s_cbranch_execz .LBB448_383
; %bb.378:                              ;   in Loop: Header=BB448_13 Depth=1
	v_bfe_u32 v2, v32, 16, 7
	v_mov_b32_e32 v1, 0x7f800001
	s_mov_b32 s23, exec_lo
	s_delay_alu instid0(VALU_DEP_2)
	v_cmpx_ne_u32_e32 0x7f, v2
	s_cbranch_execz .LBB448_382
; %bb.379:                              ;   in Loop: Header=BB448_13 Depth=1
	v_and_b32_e32 v18, 7, v0
	v_lshrrev_b32_e32 v1, 3, v2
	v_mov_b32_e32 v34, v19
	s_mov_b32 s24, exec_lo
	s_delay_alu instid0(VALU_DEP_3)
	v_mov_b32_e32 v33, v18
	v_cmpx_gt_u32_e32 8, v2
; %bb.380:                              ;   in Loop: Header=BB448_13 Depth=1
	v_clz_i32_u32_e32 v1, v18
	s_delay_alu instid0(VALU_DEP_1) | instskip(NEXT) | instid1(VALU_DEP_1)
	v_min_u32_e32 v1, 32, v1
	v_subrev_nc_u32_e32 v2, 28, v1
	v_sub_nc_u32_e32 v1, 29, v1
	s_delay_alu instid0(VALU_DEP_2) | instskip(NEXT) | instid1(VALU_DEP_1)
	v_lshlrev_b64 v[2:3], v2, v[18:19]
	v_and_b32_e32 v33, 7, v2
; %bb.381:                              ;   in Loop: Header=BB448_13 Depth=1
	s_or_b32 exec_lo, exec_lo, s24
	v_lshlrev_b32_e32 v0, 24, v0
	s_delay_alu instid0(VALU_DEP_2) | instskip(SKIP_1) | instid1(VALU_DEP_3)
	v_lshlrev_b32_e32 v2, 20, v33
	v_lshl_add_u32 v1, v1, 23, 0x3c000000
	v_and_b32_e32 v0, 0x80000000, v0
	s_delay_alu instid0(VALU_DEP_1)
	v_or3_b32 v1, v2, v0, v1
.LBB448_382:                            ;   in Loop: Header=BB448_13 Depth=1
	s_or_b32 exec_lo, exec_lo, s23
.LBB448_383:                            ;   in Loop: Header=BB448_13 Depth=1
	s_delay_alu instid0(SALU_CYCLE_1)
	s_or_b32 exec_lo, exec_lo, s22
.LBB448_384:                            ;   in Loop: Header=BB448_13 Depth=1
	s_delay_alu instid0(SALU_CYCLE_1) | instskip(NEXT) | instid1(VALU_DEP_1)
	s_or_b32 exec_lo, exec_lo, s21
	v_mul_f32_e32 v0, v133, v1
                                        ; implicit-def: $vgpr42
	s_delay_alu instid0(VALU_DEP_1) | instskip(NEXT) | instid1(VALU_DEP_1)
	v_and_b32_e32 v1, 0x7f800000, v0
	v_cmp_ne_u32_e64 s1, 0x7f800000, v1
	s_delay_alu instid0(VALU_DEP_1) | instskip(NEXT) | instid1(SALU_CYCLE_1)
	s_and_saveexec_b32 s21, s1
	s_xor_b32 s1, exec_lo, s21
; %bb.385:                              ;   in Loop: Header=BB448_13 Depth=1
	v_bfe_u32 v1, v0, 16, 1
	s_delay_alu instid0(VALU_DEP_1)
	v_add3_u32 v42, v0, v1, 0x7fff
                                        ; implicit-def: $vgpr0
; %bb.386:                              ;   in Loop: Header=BB448_13 Depth=1
	s_and_not1_saveexec_b32 s21, s1
; %bb.387:                              ;   in Loop: Header=BB448_13 Depth=1
	v_and_b32_e32 v1, 0xffff, v0
	v_or_b32_e32 v2, 0x10000, v0
	s_delay_alu instid0(VALU_DEP_2) | instskip(NEXT) | instid1(VALU_DEP_1)
	v_cmp_eq_u32_e64 s1, 0, v1
	v_cndmask_b32_e64 v42, v2, v0, s1
; %bb.388:                              ;   in Loop: Header=BB448_13 Depth=1
	s_or_b32 exec_lo, exec_lo, s21
	v_mov_b32_e32 v1, 0
	s_mov_b32 s21, exec_lo
	v_cmpx_lt_u64_e64 s[16:17], v[31:32]
	s_cbranch_execz .LBB448_396
; %bb.389:                              ;   in Loop: Header=BB448_13 Depth=1
	v_lshrrev_b32_e32 v0, 24, v32
	v_bfrev_b32_e32 v1, 1
	s_mov_b32 s22, exec_lo
	s_delay_alu instid0(VALU_DEP_2)
	v_cmpx_ne_u32_e32 0x80, v0
	s_cbranch_execz .LBB448_395
; %bb.390:                              ;   in Loop: Header=BB448_13 Depth=1
	v_bfe_u32 v2, v32, 24, 7
	v_mov_b32_e32 v1, 0x7f800001
	s_mov_b32 s23, exec_lo
	s_delay_alu instid0(VALU_DEP_2)
	v_cmpx_ne_u32_e32 0x7f, v2
	s_cbranch_execz .LBB448_394
; %bb.391:                              ;   in Loop: Header=BB448_13 Depth=1
	v_and_b32_e32 v18, 7, v0
	v_lshrrev_b32_e32 v1, 3, v2
	v_mov_b32_e32 v32, v19
	s_mov_b32 s24, exec_lo
	s_delay_alu instid0(VALU_DEP_3)
	v_mov_b32_e32 v31, v18
	v_cmpx_gt_u32_e32 8, v2
; %bb.392:                              ;   in Loop: Header=BB448_13 Depth=1
	v_clz_i32_u32_e32 v1, v18
	s_delay_alu instid0(VALU_DEP_1) | instskip(NEXT) | instid1(VALU_DEP_1)
	v_min_u32_e32 v1, 32, v1
	v_subrev_nc_u32_e32 v2, 28, v1
	v_sub_nc_u32_e32 v1, 29, v1
	s_delay_alu instid0(VALU_DEP_2) | instskip(NEXT) | instid1(VALU_DEP_1)
	v_lshlrev_b64 v[2:3], v2, v[18:19]
	v_and_b32_e32 v31, 7, v2
; %bb.393:                              ;   in Loop: Header=BB448_13 Depth=1
	s_or_b32 exec_lo, exec_lo, s24
	v_lshlrev_b32_e32 v0, 24, v0
	s_delay_alu instid0(VALU_DEP_2) | instskip(SKIP_1) | instid1(VALU_DEP_3)
	v_lshlrev_b32_e32 v2, 20, v31
	v_lshl_add_u32 v1, v1, 23, 0x3c000000
	v_and_b32_e32 v0, 0x80000000, v0
	s_delay_alu instid0(VALU_DEP_1)
	v_or3_b32 v1, v2, v0, v1
.LBB448_394:                            ;   in Loop: Header=BB448_13 Depth=1
	s_or_b32 exec_lo, exec_lo, s23
.LBB448_395:                            ;   in Loop: Header=BB448_13 Depth=1
	s_delay_alu instid0(SALU_CYCLE_1)
	s_or_b32 exec_lo, exec_lo, s22
.LBB448_396:                            ;   in Loop: Header=BB448_13 Depth=1
	s_delay_alu instid0(SALU_CYCLE_1) | instskip(NEXT) | instid1(VALU_DEP_1)
	s_or_b32 exec_lo, exec_lo, s21
	v_mul_f32_e32 v0, v133, v1
                                        ; implicit-def: $vgpr43
	s_delay_alu instid0(VALU_DEP_1) | instskip(NEXT) | instid1(VALU_DEP_1)
	v_and_b32_e32 v1, 0x7f800000, v0
	v_cmp_ne_u32_e64 s1, 0x7f800000, v1
	s_delay_alu instid0(VALU_DEP_1) | instskip(NEXT) | instid1(SALU_CYCLE_1)
	s_and_saveexec_b32 s21, s1
	s_xor_b32 s1, exec_lo, s21
; %bb.397:                              ;   in Loop: Header=BB448_13 Depth=1
	v_bfe_u32 v1, v0, 16, 1
	s_delay_alu instid0(VALU_DEP_1)
	v_add3_u32 v43, v0, v1, 0x7fff
                                        ; implicit-def: $vgpr0
; %bb.398:                              ;   in Loop: Header=BB448_13 Depth=1
	s_and_not1_saveexec_b32 s21, s1
; %bb.399:                              ;   in Loop: Header=BB448_13 Depth=1
	v_and_b32_e32 v1, 0xffff, v0
	v_or_b32_e32 v2, 0x10000, v0
	s_delay_alu instid0(VALU_DEP_2) | instskip(NEXT) | instid1(VALU_DEP_1)
	v_cmp_eq_u32_e64 s1, 0, v1
	v_cndmask_b32_e64 v43, v2, v0, s1
; %bb.400:                              ;   in Loop: Header=BB448_13 Depth=1
	s_or_b32 exec_lo, exec_lo, s21
	flat_load_b64 v[31:32], v[28:29] offset:1024
	s_mov_b32 s21, exec_lo
	s_waitcnt vmcnt(0) lgkmcnt(0)
	v_dual_mov_b32 v0, 0 :: v_dual_and_b32 v1, 0xff, v31
	s_delay_alu instid0(VALU_DEP_1)
	v_cmpx_ne_u16_e32 0, v1
	s_cbranch_execz .LBB448_408
; %bb.401:                              ;   in Loop: Header=BB448_13 Depth=1
	v_bfrev_b32_e32 v0, 1
	s_mov_b32 s22, exec_lo
	v_cmpx_ne_u16_e32 0x80, v1
	s_cbranch_execz .LBB448_407
; %bb.402:                              ;   in Loop: Header=BB448_13 Depth=1
	v_and_b32_e32 v1, 0x7f, v31
	v_mov_b32_e32 v0, 0x7f800001
	s_mov_b32 s23, exec_lo
	s_delay_alu instid0(VALU_DEP_2)
	v_cmpx_ne_u32_e32 0x7f, v1
	s_cbranch_execz .LBB448_406
; %bb.403:                              ;   in Loop: Header=BB448_13 Depth=1
	v_lshrrev_b32_e32 v0, 3, v1
	v_dual_mov_b32 v34, v32 :: v_dual_mov_b32 v33, v31
	s_mov_b32 s24, exec_lo
	v_cmpx_gt_u32_e32 8, v1
; %bb.404:                              ;   in Loop: Header=BB448_13 Depth=1
	v_and_b32_e32 v0, 7, v31
	s_delay_alu instid0(VALU_DEP_1) | instskip(NEXT) | instid1(VALU_DEP_1)
	v_clz_i32_u32_e32 v0, v0
	v_min_u32_e32 v0, 32, v0
	s_delay_alu instid0(VALU_DEP_1) | instskip(SKIP_1) | instid1(VALU_DEP_2)
	v_subrev_nc_u32_e32 v1, 28, v0
	v_sub_nc_u32_e32 v0, 29, v0
	v_lshlrev_b64 v[33:34], v1, v[31:32]
; %bb.405:                              ;   in Loop: Header=BB448_13 Depth=1
	s_or_b32 exec_lo, exec_lo, s24
	s_delay_alu instid0(VALU_DEP_1) | instskip(SKIP_2) | instid1(VALU_DEP_3)
	v_lshlrev_b32_e32 v1, 20, v33
	v_lshlrev_b32_e32 v2, 24, v31
	v_lshl_add_u32 v0, v0, 23, 0x3c000000
	v_and_b32_e32 v1, 0x700000, v1
	s_delay_alu instid0(VALU_DEP_3) | instskip(NEXT) | instid1(VALU_DEP_1)
	v_and_b32_e32 v2, 0x80000000, v2
	v_or3_b32 v0, v1, v2, v0
.LBB448_406:                            ;   in Loop: Header=BB448_13 Depth=1
	s_or_b32 exec_lo, exec_lo, s23
.LBB448_407:                            ;   in Loop: Header=BB448_13 Depth=1
	s_delay_alu instid0(SALU_CYCLE_1)
	s_or_b32 exec_lo, exec_lo, s22
.LBB448_408:                            ;   in Loop: Header=BB448_13 Depth=1
	s_delay_alu instid0(SALU_CYCLE_1) | instskip(NEXT) | instid1(VALU_DEP_1)
	s_or_b32 exec_lo, exec_lo, s21
	v_mul_f32_e32 v0, v133, v0
                                        ; implicit-def: $vgpr44
	s_delay_alu instid0(VALU_DEP_1) | instskip(NEXT) | instid1(VALU_DEP_1)
	v_and_b32_e32 v1, 0x7f800000, v0
	v_cmp_ne_u32_e64 s1, 0x7f800000, v1
	s_delay_alu instid0(VALU_DEP_1) | instskip(NEXT) | instid1(SALU_CYCLE_1)
	s_and_saveexec_b32 s21, s1
	s_xor_b32 s1, exec_lo, s21
; %bb.409:                              ;   in Loop: Header=BB448_13 Depth=1
	v_bfe_u32 v1, v0, 16, 1
	s_delay_alu instid0(VALU_DEP_1)
	v_add3_u32 v44, v0, v1, 0x7fff
                                        ; implicit-def: $vgpr0
; %bb.410:                              ;   in Loop: Header=BB448_13 Depth=1
	s_and_not1_saveexec_b32 s21, s1
; %bb.411:                              ;   in Loop: Header=BB448_13 Depth=1
	v_and_b32_e32 v1, 0xffff, v0
	v_or_b32_e32 v2, 0x10000, v0
	s_delay_alu instid0(VALU_DEP_2) | instskip(NEXT) | instid1(VALU_DEP_1)
	v_cmp_eq_u32_e64 s1, 0, v1
	v_cndmask_b32_e64 v44, v2, v0, s1
; %bb.412:                              ;   in Loop: Header=BB448_13 Depth=1
	s_or_b32 exec_lo, exec_lo, s21
	v_lshrrev_b16 v1, 8, v31
	v_mov_b32_e32 v0, 0
	s_mov_b32 s21, exec_lo
	s_delay_alu instid0(VALU_DEP_2)
	v_cmpx_ne_u16_e32 0, v1
	s_cbranch_execz .LBB448_420
; %bb.413:                              ;   in Loop: Header=BB448_13 Depth=1
	v_bfrev_b32_e32 v0, 1
	s_mov_b32 s22, exec_lo
	v_cmpx_ne_u16_e32 0x80, v1
	s_cbranch_execz .LBB448_419
; %bb.414:                              ;   in Loop: Header=BB448_13 Depth=1
	v_and_b32_e32 v2, 0xffff, v1
	v_mov_b32_e32 v0, 0x7f800001
	s_mov_b32 s23, exec_lo
	s_delay_alu instid0(VALU_DEP_2) | instskip(NEXT) | instid1(VALU_DEP_1)
	v_and_b32_e32 v1, 0x7f, v2
	v_cmpx_ne_u32_e32 0x7f, v1
	s_cbranch_execz .LBB448_418
; %bb.415:                              ;   in Loop: Header=BB448_13 Depth=1
	v_and_b32_e32 v18, 7, v2
	v_lshrrev_b32_e32 v0, 3, v1
	v_mov_b32_e32 v34, v19
	s_mov_b32 s24, exec_lo
	s_delay_alu instid0(VALU_DEP_3)
	v_mov_b32_e32 v33, v18
	v_cmpx_gt_u32_e32 8, v1
; %bb.416:                              ;   in Loop: Header=BB448_13 Depth=1
	v_clz_i32_u32_e32 v0, v18
	s_delay_alu instid0(VALU_DEP_1) | instskip(NEXT) | instid1(VALU_DEP_1)
	v_min_u32_e32 v0, 32, v0
	v_subrev_nc_u32_e32 v1, 28, v0
	v_sub_nc_u32_e32 v0, 29, v0
	s_delay_alu instid0(VALU_DEP_2) | instskip(NEXT) | instid1(VALU_DEP_1)
	v_lshlrev_b64 v[1:2], v1, v[18:19]
	v_and_b32_e32 v33, 7, v1
; %bb.417:                              ;   in Loop: Header=BB448_13 Depth=1
	s_or_b32 exec_lo, exec_lo, s24
	v_lshlrev_b32_e32 v1, 16, v31
	s_delay_alu instid0(VALU_DEP_2) | instskip(SKIP_1) | instid1(VALU_DEP_3)
	v_lshlrev_b32_e32 v2, 20, v33
	v_lshl_add_u32 v0, v0, 23, 0x3c000000
	v_and_b32_e32 v1, 0x80000000, v1
	s_delay_alu instid0(VALU_DEP_1)
	v_or3_b32 v0, v2, v1, v0
.LBB448_418:                            ;   in Loop: Header=BB448_13 Depth=1
	s_or_b32 exec_lo, exec_lo, s23
.LBB448_419:                            ;   in Loop: Header=BB448_13 Depth=1
	s_delay_alu instid0(SALU_CYCLE_1)
	s_or_b32 exec_lo, exec_lo, s22
.LBB448_420:                            ;   in Loop: Header=BB448_13 Depth=1
	s_delay_alu instid0(SALU_CYCLE_1) | instskip(NEXT) | instid1(VALU_DEP_1)
	s_or_b32 exec_lo, exec_lo, s21
	v_mul_f32_e32 v0, v133, v0
                                        ; implicit-def: $vgpr45
	s_delay_alu instid0(VALU_DEP_1) | instskip(NEXT) | instid1(VALU_DEP_1)
	v_and_b32_e32 v1, 0x7f800000, v0
	v_cmp_ne_u32_e64 s1, 0x7f800000, v1
	s_delay_alu instid0(VALU_DEP_1) | instskip(NEXT) | instid1(SALU_CYCLE_1)
	s_and_saveexec_b32 s21, s1
	s_xor_b32 s1, exec_lo, s21
; %bb.421:                              ;   in Loop: Header=BB448_13 Depth=1
	v_bfe_u32 v1, v0, 16, 1
	s_delay_alu instid0(VALU_DEP_1)
	v_add3_u32 v45, v0, v1, 0x7fff
                                        ; implicit-def: $vgpr0
; %bb.422:                              ;   in Loop: Header=BB448_13 Depth=1
	s_and_not1_saveexec_b32 s21, s1
; %bb.423:                              ;   in Loop: Header=BB448_13 Depth=1
	v_and_b32_e32 v1, 0xffff, v0
	v_or_b32_e32 v2, 0x10000, v0
	s_delay_alu instid0(VALU_DEP_2) | instskip(NEXT) | instid1(VALU_DEP_1)
	v_cmp_eq_u32_e64 s1, 0, v1
	v_cndmask_b32_e64 v45, v2, v0, s1
; %bb.424:                              ;   in Loop: Header=BB448_13 Depth=1
	s_or_b32 exec_lo, exec_lo, s21
	v_lshrrev_b32_e32 v0, 16, v31
	s_mov_b32 s21, exec_lo
	s_delay_alu instid0(VALU_DEP_1) | instskip(NEXT) | instid1(VALU_DEP_1)
	v_dual_mov_b32 v1, 0 :: v_dual_and_b32 v2, 0xff, v0
	v_cmpx_ne_u16_e32 0, v2
	s_cbranch_execz .LBB448_432
; %bb.425:                              ;   in Loop: Header=BB448_13 Depth=1
	v_bfrev_b32_e32 v1, 1
	s_mov_b32 s22, exec_lo
	v_cmpx_ne_u16_e32 0x80, v2
	s_cbranch_execz .LBB448_431
; %bb.426:                              ;   in Loop: Header=BB448_13 Depth=1
	v_bfe_u32 v2, v31, 16, 7
	v_mov_b32_e32 v1, 0x7f800001
	s_mov_b32 s23, exec_lo
	s_delay_alu instid0(VALU_DEP_2)
	v_cmpx_ne_u32_e32 0x7f, v2
	s_cbranch_execz .LBB448_430
; %bb.427:                              ;   in Loop: Header=BB448_13 Depth=1
	v_and_b32_e32 v18, 7, v0
	v_lshrrev_b32_e32 v1, 3, v2
	v_mov_b32_e32 v34, v19
	s_mov_b32 s24, exec_lo
	s_delay_alu instid0(VALU_DEP_3)
	v_mov_b32_e32 v33, v18
	v_cmpx_gt_u32_e32 8, v2
; %bb.428:                              ;   in Loop: Header=BB448_13 Depth=1
	v_clz_i32_u32_e32 v1, v18
	s_delay_alu instid0(VALU_DEP_1) | instskip(NEXT) | instid1(VALU_DEP_1)
	v_min_u32_e32 v1, 32, v1
	v_subrev_nc_u32_e32 v2, 28, v1
	v_sub_nc_u32_e32 v1, 29, v1
	s_delay_alu instid0(VALU_DEP_2) | instskip(NEXT) | instid1(VALU_DEP_1)
	v_lshlrev_b64 v[2:3], v2, v[18:19]
	v_and_b32_e32 v33, 7, v2
; %bb.429:                              ;   in Loop: Header=BB448_13 Depth=1
	s_or_b32 exec_lo, exec_lo, s24
	v_lshlrev_b32_e32 v0, 24, v0
	s_delay_alu instid0(VALU_DEP_2) | instskip(SKIP_1) | instid1(VALU_DEP_3)
	v_lshlrev_b32_e32 v2, 20, v33
	v_lshl_add_u32 v1, v1, 23, 0x3c000000
	v_and_b32_e32 v0, 0x80000000, v0
	s_delay_alu instid0(VALU_DEP_1)
	v_or3_b32 v1, v2, v0, v1
.LBB448_430:                            ;   in Loop: Header=BB448_13 Depth=1
	s_or_b32 exec_lo, exec_lo, s23
.LBB448_431:                            ;   in Loop: Header=BB448_13 Depth=1
	s_delay_alu instid0(SALU_CYCLE_1)
	s_or_b32 exec_lo, exec_lo, s22
.LBB448_432:                            ;   in Loop: Header=BB448_13 Depth=1
	s_delay_alu instid0(SALU_CYCLE_1) | instskip(NEXT) | instid1(VALU_DEP_1)
	s_or_b32 exec_lo, exec_lo, s21
	v_mul_f32_e32 v0, v133, v1
                                        ; implicit-def: $vgpr46
	s_delay_alu instid0(VALU_DEP_1) | instskip(NEXT) | instid1(VALU_DEP_1)
	v_and_b32_e32 v1, 0x7f800000, v0
	v_cmp_ne_u32_e64 s1, 0x7f800000, v1
	s_delay_alu instid0(VALU_DEP_1) | instskip(NEXT) | instid1(SALU_CYCLE_1)
	s_and_saveexec_b32 s21, s1
	s_xor_b32 s1, exec_lo, s21
; %bb.433:                              ;   in Loop: Header=BB448_13 Depth=1
	v_bfe_u32 v1, v0, 16, 1
	s_delay_alu instid0(VALU_DEP_1)
	v_add3_u32 v46, v0, v1, 0x7fff
                                        ; implicit-def: $vgpr0
; %bb.434:                              ;   in Loop: Header=BB448_13 Depth=1
	s_and_not1_saveexec_b32 s21, s1
; %bb.435:                              ;   in Loop: Header=BB448_13 Depth=1
	v_and_b32_e32 v1, 0xffff, v0
	v_or_b32_e32 v2, 0x10000, v0
	s_delay_alu instid0(VALU_DEP_2) | instskip(NEXT) | instid1(VALU_DEP_1)
	v_cmp_eq_u32_e64 s1, 0, v1
	v_cndmask_b32_e64 v46, v2, v0, s1
; %bb.436:                              ;   in Loop: Header=BB448_13 Depth=1
	s_or_b32 exec_lo, exec_lo, s21
	v_mov_b32_e32 v1, 0
	s_mov_b32 s21, exec_lo
	v_cmpx_lt_u32_e32 0xffffff, v31
	s_cbranch_execz .LBB448_444
; %bb.437:                              ;   in Loop: Header=BB448_13 Depth=1
	v_lshrrev_b32_e32 v0, 24, v31
	v_bfrev_b32_e32 v1, 1
	s_mov_b32 s22, exec_lo
	s_delay_alu instid0(VALU_DEP_2)
	v_cmpx_ne_u32_e32 0x80, v0
	s_cbranch_execz .LBB448_443
; %bb.438:                              ;   in Loop: Header=BB448_13 Depth=1
	v_bfe_u32 v2, v31, 24, 7
	v_mov_b32_e32 v1, 0x7f800001
	s_mov_b32 s23, exec_lo
	s_delay_alu instid0(VALU_DEP_2)
	v_cmpx_ne_u32_e32 0x7f, v2
	s_cbranch_execz .LBB448_442
; %bb.439:                              ;   in Loop: Header=BB448_13 Depth=1
	v_and_b32_e32 v18, 7, v0
	v_lshrrev_b32_e32 v1, 3, v2
	v_mov_b32_e32 v34, v19
	s_mov_b32 s24, exec_lo
	s_delay_alu instid0(VALU_DEP_3)
	v_mov_b32_e32 v33, v18
	v_cmpx_gt_u32_e32 8, v2
; %bb.440:                              ;   in Loop: Header=BB448_13 Depth=1
	v_clz_i32_u32_e32 v1, v18
	s_delay_alu instid0(VALU_DEP_1) | instskip(NEXT) | instid1(VALU_DEP_1)
	v_min_u32_e32 v1, 32, v1
	v_subrev_nc_u32_e32 v2, 28, v1
	v_sub_nc_u32_e32 v1, 29, v1
	s_delay_alu instid0(VALU_DEP_2) | instskip(NEXT) | instid1(VALU_DEP_1)
	v_lshlrev_b64 v[2:3], v2, v[18:19]
	v_and_b32_e32 v33, 7, v2
; %bb.441:                              ;   in Loop: Header=BB448_13 Depth=1
	s_or_b32 exec_lo, exec_lo, s24
	v_lshlrev_b32_e32 v0, 24, v0
	s_delay_alu instid0(VALU_DEP_2) | instskip(SKIP_1) | instid1(VALU_DEP_3)
	v_lshlrev_b32_e32 v2, 20, v33
	v_lshl_add_u32 v1, v1, 23, 0x3c000000
	v_and_b32_e32 v0, 0x80000000, v0
	s_delay_alu instid0(VALU_DEP_1)
	v_or3_b32 v1, v2, v0, v1
.LBB448_442:                            ;   in Loop: Header=BB448_13 Depth=1
	s_or_b32 exec_lo, exec_lo, s23
.LBB448_443:                            ;   in Loop: Header=BB448_13 Depth=1
	s_delay_alu instid0(SALU_CYCLE_1)
	s_or_b32 exec_lo, exec_lo, s22
.LBB448_444:                            ;   in Loop: Header=BB448_13 Depth=1
	s_delay_alu instid0(SALU_CYCLE_1) | instskip(NEXT) | instid1(VALU_DEP_1)
	s_or_b32 exec_lo, exec_lo, s21
	v_mul_f32_e32 v0, v133, v1
                                        ; implicit-def: $vgpr47
	s_delay_alu instid0(VALU_DEP_1) | instskip(NEXT) | instid1(VALU_DEP_1)
	v_and_b32_e32 v1, 0x7f800000, v0
	v_cmp_ne_u32_e64 s1, 0x7f800000, v1
	s_delay_alu instid0(VALU_DEP_1) | instskip(NEXT) | instid1(SALU_CYCLE_1)
	s_and_saveexec_b32 s21, s1
	s_xor_b32 s1, exec_lo, s21
; %bb.445:                              ;   in Loop: Header=BB448_13 Depth=1
	v_bfe_u32 v1, v0, 16, 1
	s_delay_alu instid0(VALU_DEP_1)
	v_add3_u32 v47, v0, v1, 0x7fff
                                        ; implicit-def: $vgpr0
; %bb.446:                              ;   in Loop: Header=BB448_13 Depth=1
	s_and_not1_saveexec_b32 s21, s1
; %bb.447:                              ;   in Loop: Header=BB448_13 Depth=1
	v_and_b32_e32 v1, 0xffff, v0
	v_or_b32_e32 v2, 0x10000, v0
	s_delay_alu instid0(VALU_DEP_2) | instskip(NEXT) | instid1(VALU_DEP_1)
	v_cmp_eq_u32_e64 s1, 0, v1
	v_cndmask_b32_e64 v47, v2, v0, s1
; %bb.448:                              ;   in Loop: Header=BB448_13 Depth=1
	s_or_b32 exec_lo, exec_lo, s21
	v_dual_mov_b32 v18, v32 :: v_dual_and_b32 v1, 0xff, v32
	v_mov_b32_e32 v0, 0
	s_mov_b32 s21, exec_lo
	s_delay_alu instid0(VALU_DEP_2)
	v_cmpx_ne_u16_e32 0, v1
	s_cbranch_execz .LBB448_456
; %bb.449:                              ;   in Loop: Header=BB448_13 Depth=1
	v_bfrev_b32_e32 v0, 1
	s_mov_b32 s22, exec_lo
	v_cmpx_ne_u16_e32 0x80, v1
	s_cbranch_execz .LBB448_455
; %bb.450:                              ;   in Loop: Header=BB448_13 Depth=1
	v_and_b32_e32 v1, 0x7f, v32
	v_mov_b32_e32 v0, 0x7f800001
	s_mov_b32 s23, exec_lo
	s_delay_alu instid0(VALU_DEP_2)
	v_cmpx_ne_u32_e32 0x7f, v1
	s_cbranch_execz .LBB448_454
; %bb.451:                              ;   in Loop: Header=BB448_13 Depth=1
	v_lshrrev_b32_e32 v0, 3, v1
	v_dual_mov_b32 v34, v19 :: v_dual_mov_b32 v33, v18
	s_mov_b32 s24, exec_lo
	v_cmpx_gt_u32_e32 8, v1
; %bb.452:                              ;   in Loop: Header=BB448_13 Depth=1
	v_and_b32_e32 v0, 7, v32
	s_delay_alu instid0(VALU_DEP_1) | instskip(NEXT) | instid1(VALU_DEP_1)
	v_clz_i32_u32_e32 v0, v0
	v_min_u32_e32 v0, 32, v0
	s_delay_alu instid0(VALU_DEP_1) | instskip(SKIP_1) | instid1(VALU_DEP_2)
	v_subrev_nc_u32_e32 v1, 28, v0
	v_sub_nc_u32_e32 v0, 29, v0
	v_lshlrev_b64 v[33:34], v1, v[18:19]
; %bb.453:                              ;   in Loop: Header=BB448_13 Depth=1
	s_or_b32 exec_lo, exec_lo, s24
	s_delay_alu instid0(VALU_DEP_1) | instskip(SKIP_2) | instid1(VALU_DEP_3)
	v_lshlrev_b32_e32 v1, 20, v33
	v_lshlrev_b32_e32 v2, 24, v18
	v_lshl_add_u32 v0, v0, 23, 0x3c000000
	v_and_b32_e32 v1, 0x700000, v1
	s_delay_alu instid0(VALU_DEP_3) | instskip(NEXT) | instid1(VALU_DEP_1)
	v_and_b32_e32 v2, 0x80000000, v2
	v_or3_b32 v0, v1, v2, v0
.LBB448_454:                            ;   in Loop: Header=BB448_13 Depth=1
	s_or_b32 exec_lo, exec_lo, s23
.LBB448_455:                            ;   in Loop: Header=BB448_13 Depth=1
	s_delay_alu instid0(SALU_CYCLE_1)
	s_or_b32 exec_lo, exec_lo, s22
.LBB448_456:                            ;   in Loop: Header=BB448_13 Depth=1
	s_delay_alu instid0(SALU_CYCLE_1) | instskip(NEXT) | instid1(VALU_DEP_1)
	s_or_b32 exec_lo, exec_lo, s21
	v_mul_f32_e32 v0, v133, v0
                                        ; implicit-def: $vgpr56
	s_delay_alu instid0(VALU_DEP_1) | instskip(NEXT) | instid1(VALU_DEP_1)
	v_and_b32_e32 v1, 0x7f800000, v0
	v_cmp_ne_u32_e64 s1, 0x7f800000, v1
	s_delay_alu instid0(VALU_DEP_1) | instskip(NEXT) | instid1(SALU_CYCLE_1)
	s_and_saveexec_b32 s21, s1
	s_xor_b32 s1, exec_lo, s21
; %bb.457:                              ;   in Loop: Header=BB448_13 Depth=1
	v_bfe_u32 v1, v0, 16, 1
	s_delay_alu instid0(VALU_DEP_1)
	v_add3_u32 v56, v0, v1, 0x7fff
                                        ; implicit-def: $vgpr0
; %bb.458:                              ;   in Loop: Header=BB448_13 Depth=1
	s_and_not1_saveexec_b32 s21, s1
; %bb.459:                              ;   in Loop: Header=BB448_13 Depth=1
	v_and_b32_e32 v1, 0xffff, v0
	v_or_b32_e32 v2, 0x10000, v0
	s_delay_alu instid0(VALU_DEP_2) | instskip(NEXT) | instid1(VALU_DEP_1)
	v_cmp_eq_u32_e64 s1, 0, v1
	v_cndmask_b32_e64 v56, v2, v0, s1
; %bb.460:                              ;   in Loop: Header=BB448_13 Depth=1
	s_or_b32 exec_lo, exec_lo, s21
	v_lshrrev_b16 v1, 8, v18
	v_mov_b32_e32 v0, 0
	s_mov_b32 s21, exec_lo
	s_delay_alu instid0(VALU_DEP_2)
	v_cmpx_ne_u16_e32 0, v1
	s_cbranch_execz .LBB448_468
; %bb.461:                              ;   in Loop: Header=BB448_13 Depth=1
	v_bfrev_b32_e32 v0, 1
	s_mov_b32 s22, exec_lo
	v_cmpx_ne_u16_e32 0x80, v1
	s_cbranch_execz .LBB448_467
; %bb.462:                              ;   in Loop: Header=BB448_13 Depth=1
	v_and_b32_e32 v2, 0xffff, v1
	v_mov_b32_e32 v0, 0x7f800001
	s_mov_b32 s23, exec_lo
	s_delay_alu instid0(VALU_DEP_2) | instskip(NEXT) | instid1(VALU_DEP_1)
	v_and_b32_e32 v1, 0x7f, v2
	v_cmpx_ne_u32_e32 0x7f, v1
	s_cbranch_execz .LBB448_466
; %bb.463:                              ;   in Loop: Header=BB448_13 Depth=1
	v_dual_mov_b32 v34, v19 :: v_dual_and_b32 v33, 7, v2
	v_lshrrev_b32_e32 v0, 3, v1
	s_mov_b32 s24, exec_lo
	v_cmpx_gt_u32_e32 8, v1
; %bb.464:                              ;   in Loop: Header=BB448_13 Depth=1
	s_delay_alu instid0(VALU_DEP_3) | instskip(NEXT) | instid1(VALU_DEP_1)
	v_clz_i32_u32_e32 v0, v33
	v_min_u32_e32 v0, 32, v0
	s_delay_alu instid0(VALU_DEP_1) | instskip(SKIP_1) | instid1(VALU_DEP_2)
	v_subrev_nc_u32_e32 v1, 28, v0
	v_sub_nc_u32_e32 v0, 29, v0
	v_lshlrev_b64 v[1:2], v1, v[33:34]
	s_delay_alu instid0(VALU_DEP_1)
	v_and_b32_e32 v33, 7, v1
; %bb.465:                              ;   in Loop: Header=BB448_13 Depth=1
	s_or_b32 exec_lo, exec_lo, s24
	v_lshlrev_b32_e32 v1, 16, v18
	s_delay_alu instid0(VALU_DEP_2) | instskip(SKIP_1) | instid1(VALU_DEP_3)
	v_lshlrev_b32_e32 v2, 20, v33
	v_lshl_add_u32 v0, v0, 23, 0x3c000000
	v_and_b32_e32 v1, 0x80000000, v1
	s_delay_alu instid0(VALU_DEP_1)
	v_or3_b32 v0, v2, v1, v0
.LBB448_466:                            ;   in Loop: Header=BB448_13 Depth=1
	s_or_b32 exec_lo, exec_lo, s23
.LBB448_467:                            ;   in Loop: Header=BB448_13 Depth=1
	s_delay_alu instid0(SALU_CYCLE_1)
	s_or_b32 exec_lo, exec_lo, s22
.LBB448_468:                            ;   in Loop: Header=BB448_13 Depth=1
	s_delay_alu instid0(SALU_CYCLE_1) | instskip(NEXT) | instid1(VALU_DEP_1)
	s_or_b32 exec_lo, exec_lo, s21
	v_mul_f32_e32 v0, v133, v0
                                        ; implicit-def: $vgpr57
	s_delay_alu instid0(VALU_DEP_1) | instskip(NEXT) | instid1(VALU_DEP_1)
	v_and_b32_e32 v1, 0x7f800000, v0
	v_cmp_ne_u32_e64 s1, 0x7f800000, v1
	s_delay_alu instid0(VALU_DEP_1) | instskip(NEXT) | instid1(SALU_CYCLE_1)
	s_and_saveexec_b32 s21, s1
	s_xor_b32 s1, exec_lo, s21
; %bb.469:                              ;   in Loop: Header=BB448_13 Depth=1
	v_bfe_u32 v1, v0, 16, 1
	s_delay_alu instid0(VALU_DEP_1)
	v_add3_u32 v57, v0, v1, 0x7fff
                                        ; implicit-def: $vgpr0
; %bb.470:                              ;   in Loop: Header=BB448_13 Depth=1
	s_and_not1_saveexec_b32 s21, s1
; %bb.471:                              ;   in Loop: Header=BB448_13 Depth=1
	v_and_b32_e32 v1, 0xffff, v0
	v_or_b32_e32 v2, 0x10000, v0
	s_delay_alu instid0(VALU_DEP_2) | instskip(NEXT) | instid1(VALU_DEP_1)
	v_cmp_eq_u32_e64 s1, 0, v1
	v_cndmask_b32_e64 v57, v2, v0, s1
; %bb.472:                              ;   in Loop: Header=BB448_13 Depth=1
	s_or_b32 exec_lo, exec_lo, s21
	v_lshrrev_b32_e32 v0, 16, v32
	s_mov_b32 s21, exec_lo
	s_delay_alu instid0(VALU_DEP_1) | instskip(NEXT) | instid1(VALU_DEP_1)
	v_dual_mov_b32 v1, 0 :: v_dual_and_b32 v2, 0xff, v0
	v_cmpx_ne_u16_e32 0, v2
	s_cbranch_execz .LBB448_480
; %bb.473:                              ;   in Loop: Header=BB448_13 Depth=1
	v_bfrev_b32_e32 v1, 1
	s_mov_b32 s22, exec_lo
	v_cmpx_ne_u16_e32 0x80, v2
	s_cbranch_execz .LBB448_479
; %bb.474:                              ;   in Loop: Header=BB448_13 Depth=1
	v_bfe_u32 v2, v32, 16, 7
	v_mov_b32_e32 v1, 0x7f800001
	s_mov_b32 s23, exec_lo
	s_delay_alu instid0(VALU_DEP_2)
	v_cmpx_ne_u32_e32 0x7f, v2
	s_cbranch_execz .LBB448_478
; %bb.475:                              ;   in Loop: Header=BB448_13 Depth=1
	v_and_b32_e32 v18, 7, v0
	v_lshrrev_b32_e32 v1, 3, v2
	v_mov_b32_e32 v34, v19
	s_mov_b32 s24, exec_lo
	s_delay_alu instid0(VALU_DEP_3)
	v_mov_b32_e32 v33, v18
	v_cmpx_gt_u32_e32 8, v2
; %bb.476:                              ;   in Loop: Header=BB448_13 Depth=1
	v_clz_i32_u32_e32 v1, v18
	s_delay_alu instid0(VALU_DEP_1) | instskip(NEXT) | instid1(VALU_DEP_1)
	v_min_u32_e32 v1, 32, v1
	v_subrev_nc_u32_e32 v2, 28, v1
	v_sub_nc_u32_e32 v1, 29, v1
	s_delay_alu instid0(VALU_DEP_2) | instskip(NEXT) | instid1(VALU_DEP_1)
	v_lshlrev_b64 v[2:3], v2, v[18:19]
	v_and_b32_e32 v33, 7, v2
; %bb.477:                              ;   in Loop: Header=BB448_13 Depth=1
	s_or_b32 exec_lo, exec_lo, s24
	v_lshlrev_b32_e32 v0, 24, v0
	s_delay_alu instid0(VALU_DEP_2) | instskip(SKIP_1) | instid1(VALU_DEP_3)
	v_lshlrev_b32_e32 v2, 20, v33
	v_lshl_add_u32 v1, v1, 23, 0x3c000000
	v_and_b32_e32 v0, 0x80000000, v0
	s_delay_alu instid0(VALU_DEP_1)
	v_or3_b32 v1, v2, v0, v1
.LBB448_478:                            ;   in Loop: Header=BB448_13 Depth=1
	s_or_b32 exec_lo, exec_lo, s23
.LBB448_479:                            ;   in Loop: Header=BB448_13 Depth=1
	s_delay_alu instid0(SALU_CYCLE_1)
	s_or_b32 exec_lo, exec_lo, s22
.LBB448_480:                            ;   in Loop: Header=BB448_13 Depth=1
	s_delay_alu instid0(SALU_CYCLE_1) | instskip(NEXT) | instid1(VALU_DEP_1)
	s_or_b32 exec_lo, exec_lo, s21
	v_mul_f32_e32 v0, v133, v1
                                        ; implicit-def: $vgpr58
	s_delay_alu instid0(VALU_DEP_1) | instskip(NEXT) | instid1(VALU_DEP_1)
	v_and_b32_e32 v1, 0x7f800000, v0
	v_cmp_ne_u32_e64 s1, 0x7f800000, v1
	s_delay_alu instid0(VALU_DEP_1) | instskip(NEXT) | instid1(SALU_CYCLE_1)
	s_and_saveexec_b32 s21, s1
	s_xor_b32 s1, exec_lo, s21
; %bb.481:                              ;   in Loop: Header=BB448_13 Depth=1
	v_bfe_u32 v1, v0, 16, 1
	s_delay_alu instid0(VALU_DEP_1)
	v_add3_u32 v58, v0, v1, 0x7fff
                                        ; implicit-def: $vgpr0
; %bb.482:                              ;   in Loop: Header=BB448_13 Depth=1
	s_and_not1_saveexec_b32 s21, s1
; %bb.483:                              ;   in Loop: Header=BB448_13 Depth=1
	v_and_b32_e32 v1, 0xffff, v0
	v_or_b32_e32 v2, 0x10000, v0
	s_delay_alu instid0(VALU_DEP_2) | instskip(NEXT) | instid1(VALU_DEP_1)
	v_cmp_eq_u32_e64 s1, 0, v1
	v_cndmask_b32_e64 v58, v2, v0, s1
; %bb.484:                              ;   in Loop: Header=BB448_13 Depth=1
	s_or_b32 exec_lo, exec_lo, s21
	v_mov_b32_e32 v1, 0
	s_mov_b32 s21, exec_lo
	v_cmpx_lt_u64_e64 s[16:17], v[31:32]
	s_cbranch_execz .LBB448_492
; %bb.485:                              ;   in Loop: Header=BB448_13 Depth=1
	v_lshrrev_b32_e32 v0, 24, v32
	v_bfrev_b32_e32 v1, 1
	s_mov_b32 s22, exec_lo
	s_delay_alu instid0(VALU_DEP_2)
	v_cmpx_ne_u32_e32 0x80, v0
	s_cbranch_execz .LBB448_491
; %bb.486:                              ;   in Loop: Header=BB448_13 Depth=1
	v_bfe_u32 v2, v32, 24, 7
	v_mov_b32_e32 v1, 0x7f800001
	s_mov_b32 s23, exec_lo
	s_delay_alu instid0(VALU_DEP_2)
	v_cmpx_ne_u32_e32 0x7f, v2
	s_cbranch_execz .LBB448_490
; %bb.487:                              ;   in Loop: Header=BB448_13 Depth=1
	v_and_b32_e32 v18, 7, v0
	v_lshrrev_b32_e32 v1, 3, v2
	v_mov_b32_e32 v32, v19
	s_mov_b32 s24, exec_lo
	s_delay_alu instid0(VALU_DEP_3)
	v_mov_b32_e32 v31, v18
	v_cmpx_gt_u32_e32 8, v2
; %bb.488:                              ;   in Loop: Header=BB448_13 Depth=1
	v_clz_i32_u32_e32 v1, v18
	s_delay_alu instid0(VALU_DEP_1) | instskip(NEXT) | instid1(VALU_DEP_1)
	v_min_u32_e32 v1, 32, v1
	v_subrev_nc_u32_e32 v2, 28, v1
	v_sub_nc_u32_e32 v1, 29, v1
	s_delay_alu instid0(VALU_DEP_2) | instskip(NEXT) | instid1(VALU_DEP_1)
	v_lshlrev_b64 v[2:3], v2, v[18:19]
	v_and_b32_e32 v31, 7, v2
; %bb.489:                              ;   in Loop: Header=BB448_13 Depth=1
	s_or_b32 exec_lo, exec_lo, s24
	v_lshlrev_b32_e32 v0, 24, v0
	s_delay_alu instid0(VALU_DEP_2) | instskip(SKIP_1) | instid1(VALU_DEP_3)
	v_lshlrev_b32_e32 v2, 20, v31
	v_lshl_add_u32 v1, v1, 23, 0x3c000000
	v_and_b32_e32 v0, 0x80000000, v0
	s_delay_alu instid0(VALU_DEP_1)
	v_or3_b32 v1, v2, v0, v1
.LBB448_490:                            ;   in Loop: Header=BB448_13 Depth=1
	s_or_b32 exec_lo, exec_lo, s23
.LBB448_491:                            ;   in Loop: Header=BB448_13 Depth=1
	s_delay_alu instid0(SALU_CYCLE_1)
	s_or_b32 exec_lo, exec_lo, s22
.LBB448_492:                            ;   in Loop: Header=BB448_13 Depth=1
	s_delay_alu instid0(SALU_CYCLE_1) | instskip(NEXT) | instid1(VALU_DEP_1)
	s_or_b32 exec_lo, exec_lo, s21
	v_mul_f32_e32 v0, v133, v1
                                        ; implicit-def: $vgpr59
	s_delay_alu instid0(VALU_DEP_1) | instskip(NEXT) | instid1(VALU_DEP_1)
	v_and_b32_e32 v1, 0x7f800000, v0
	v_cmp_ne_u32_e64 s1, 0x7f800000, v1
	s_delay_alu instid0(VALU_DEP_1) | instskip(NEXT) | instid1(SALU_CYCLE_1)
	s_and_saveexec_b32 s21, s1
	s_xor_b32 s1, exec_lo, s21
; %bb.493:                              ;   in Loop: Header=BB448_13 Depth=1
	v_bfe_u32 v1, v0, 16, 1
	s_delay_alu instid0(VALU_DEP_1)
	v_add3_u32 v59, v0, v1, 0x7fff
                                        ; implicit-def: $vgpr0
; %bb.494:                              ;   in Loop: Header=BB448_13 Depth=1
	s_and_not1_saveexec_b32 s21, s1
; %bb.495:                              ;   in Loop: Header=BB448_13 Depth=1
	v_and_b32_e32 v1, 0xffff, v0
	v_or_b32_e32 v2, 0x10000, v0
	s_delay_alu instid0(VALU_DEP_2) | instskip(NEXT) | instid1(VALU_DEP_1)
	v_cmp_eq_u32_e64 s1, 0, v1
	v_cndmask_b32_e64 v59, v2, v0, s1
; %bb.496:                              ;   in Loop: Header=BB448_13 Depth=1
	s_or_b32 exec_lo, exec_lo, s21
	flat_load_b64 v[31:32], v[28:29] offset:1032
	s_mov_b32 s21, exec_lo
	s_waitcnt vmcnt(0) lgkmcnt(0)
	v_dual_mov_b32 v0, 0 :: v_dual_and_b32 v1, 0xff, v31
	s_delay_alu instid0(VALU_DEP_1)
	v_cmpx_ne_u16_e32 0, v1
	s_cbranch_execz .LBB448_504
; %bb.497:                              ;   in Loop: Header=BB448_13 Depth=1
	v_bfrev_b32_e32 v0, 1
	s_mov_b32 s22, exec_lo
	v_cmpx_ne_u16_e32 0x80, v1
	s_cbranch_execz .LBB448_503
; %bb.498:                              ;   in Loop: Header=BB448_13 Depth=1
	v_and_b32_e32 v1, 0x7f, v31
	v_mov_b32_e32 v0, 0x7f800001
	s_mov_b32 s23, exec_lo
	s_delay_alu instid0(VALU_DEP_2)
	v_cmpx_ne_u32_e32 0x7f, v1
	s_cbranch_execz .LBB448_502
; %bb.499:                              ;   in Loop: Header=BB448_13 Depth=1
	v_lshrrev_b32_e32 v0, 3, v1
	v_dual_mov_b32 v34, v32 :: v_dual_mov_b32 v33, v31
	s_mov_b32 s24, exec_lo
	v_cmpx_gt_u32_e32 8, v1
; %bb.500:                              ;   in Loop: Header=BB448_13 Depth=1
	v_and_b32_e32 v0, 7, v31
	s_delay_alu instid0(VALU_DEP_1) | instskip(NEXT) | instid1(VALU_DEP_1)
	v_clz_i32_u32_e32 v0, v0
	v_min_u32_e32 v0, 32, v0
	s_delay_alu instid0(VALU_DEP_1) | instskip(SKIP_1) | instid1(VALU_DEP_2)
	v_subrev_nc_u32_e32 v1, 28, v0
	v_sub_nc_u32_e32 v0, 29, v0
	v_lshlrev_b64 v[33:34], v1, v[31:32]
; %bb.501:                              ;   in Loop: Header=BB448_13 Depth=1
	s_or_b32 exec_lo, exec_lo, s24
	s_delay_alu instid0(VALU_DEP_1) | instskip(SKIP_2) | instid1(VALU_DEP_3)
	v_lshlrev_b32_e32 v1, 20, v33
	v_lshlrev_b32_e32 v2, 24, v31
	v_lshl_add_u32 v0, v0, 23, 0x3c000000
	v_and_b32_e32 v1, 0x700000, v1
	s_delay_alu instid0(VALU_DEP_3) | instskip(NEXT) | instid1(VALU_DEP_1)
	v_and_b32_e32 v2, 0x80000000, v2
	v_or3_b32 v0, v1, v2, v0
.LBB448_502:                            ;   in Loop: Header=BB448_13 Depth=1
	s_or_b32 exec_lo, exec_lo, s23
.LBB448_503:                            ;   in Loop: Header=BB448_13 Depth=1
	s_delay_alu instid0(SALU_CYCLE_1)
	s_or_b32 exec_lo, exec_lo, s22
.LBB448_504:                            ;   in Loop: Header=BB448_13 Depth=1
	s_delay_alu instid0(SALU_CYCLE_1) | instskip(NEXT) | instid1(VALU_DEP_1)
	s_or_b32 exec_lo, exec_lo, s21
	v_mul_f32_e32 v0, v133, v0
                                        ; implicit-def: $vgpr60
	s_delay_alu instid0(VALU_DEP_1) | instskip(NEXT) | instid1(VALU_DEP_1)
	v_and_b32_e32 v1, 0x7f800000, v0
	v_cmp_ne_u32_e64 s1, 0x7f800000, v1
	s_delay_alu instid0(VALU_DEP_1) | instskip(NEXT) | instid1(SALU_CYCLE_1)
	s_and_saveexec_b32 s21, s1
	s_xor_b32 s1, exec_lo, s21
; %bb.505:                              ;   in Loop: Header=BB448_13 Depth=1
	v_bfe_u32 v1, v0, 16, 1
	s_delay_alu instid0(VALU_DEP_1)
	v_add3_u32 v60, v0, v1, 0x7fff
                                        ; implicit-def: $vgpr0
; %bb.506:                              ;   in Loop: Header=BB448_13 Depth=1
	s_and_not1_saveexec_b32 s21, s1
; %bb.507:                              ;   in Loop: Header=BB448_13 Depth=1
	v_and_b32_e32 v1, 0xffff, v0
	v_or_b32_e32 v2, 0x10000, v0
	s_delay_alu instid0(VALU_DEP_2) | instskip(NEXT) | instid1(VALU_DEP_1)
	v_cmp_eq_u32_e64 s1, 0, v1
	v_cndmask_b32_e64 v60, v2, v0, s1
; %bb.508:                              ;   in Loop: Header=BB448_13 Depth=1
	s_or_b32 exec_lo, exec_lo, s21
	v_lshrrev_b16 v1, 8, v31
	v_mov_b32_e32 v0, 0
	s_mov_b32 s21, exec_lo
	s_delay_alu instid0(VALU_DEP_2)
	v_cmpx_ne_u16_e32 0, v1
	s_cbranch_execz .LBB448_516
; %bb.509:                              ;   in Loop: Header=BB448_13 Depth=1
	v_bfrev_b32_e32 v0, 1
	s_mov_b32 s22, exec_lo
	v_cmpx_ne_u16_e32 0x80, v1
	s_cbranch_execz .LBB448_515
; %bb.510:                              ;   in Loop: Header=BB448_13 Depth=1
	v_and_b32_e32 v2, 0xffff, v1
	v_mov_b32_e32 v0, 0x7f800001
	s_mov_b32 s23, exec_lo
	s_delay_alu instid0(VALU_DEP_2) | instskip(NEXT) | instid1(VALU_DEP_1)
	v_and_b32_e32 v1, 0x7f, v2
	v_cmpx_ne_u32_e32 0x7f, v1
	s_cbranch_execz .LBB448_514
; %bb.511:                              ;   in Loop: Header=BB448_13 Depth=1
	v_and_b32_e32 v18, 7, v2
	v_lshrrev_b32_e32 v0, 3, v1
	v_mov_b32_e32 v34, v19
	s_mov_b32 s24, exec_lo
	s_delay_alu instid0(VALU_DEP_3)
	v_mov_b32_e32 v33, v18
	v_cmpx_gt_u32_e32 8, v1
; %bb.512:                              ;   in Loop: Header=BB448_13 Depth=1
	v_clz_i32_u32_e32 v0, v18
	s_delay_alu instid0(VALU_DEP_1) | instskip(NEXT) | instid1(VALU_DEP_1)
	v_min_u32_e32 v0, 32, v0
	v_subrev_nc_u32_e32 v1, 28, v0
	v_sub_nc_u32_e32 v0, 29, v0
	s_delay_alu instid0(VALU_DEP_2) | instskip(NEXT) | instid1(VALU_DEP_1)
	v_lshlrev_b64 v[1:2], v1, v[18:19]
	v_and_b32_e32 v33, 7, v1
; %bb.513:                              ;   in Loop: Header=BB448_13 Depth=1
	s_or_b32 exec_lo, exec_lo, s24
	v_lshlrev_b32_e32 v1, 16, v31
	s_delay_alu instid0(VALU_DEP_2) | instskip(SKIP_1) | instid1(VALU_DEP_3)
	v_lshlrev_b32_e32 v2, 20, v33
	v_lshl_add_u32 v0, v0, 23, 0x3c000000
	v_and_b32_e32 v1, 0x80000000, v1
	s_delay_alu instid0(VALU_DEP_1)
	v_or3_b32 v0, v2, v1, v0
.LBB448_514:                            ;   in Loop: Header=BB448_13 Depth=1
	s_or_b32 exec_lo, exec_lo, s23
.LBB448_515:                            ;   in Loop: Header=BB448_13 Depth=1
	s_delay_alu instid0(SALU_CYCLE_1)
	s_or_b32 exec_lo, exec_lo, s22
.LBB448_516:                            ;   in Loop: Header=BB448_13 Depth=1
	s_delay_alu instid0(SALU_CYCLE_1) | instskip(NEXT) | instid1(VALU_DEP_1)
	s_or_b32 exec_lo, exec_lo, s21
	v_mul_f32_e32 v0, v133, v0
                                        ; implicit-def: $vgpr61
	s_delay_alu instid0(VALU_DEP_1) | instskip(NEXT) | instid1(VALU_DEP_1)
	v_and_b32_e32 v1, 0x7f800000, v0
	v_cmp_ne_u32_e64 s1, 0x7f800000, v1
	s_delay_alu instid0(VALU_DEP_1) | instskip(NEXT) | instid1(SALU_CYCLE_1)
	s_and_saveexec_b32 s21, s1
	s_xor_b32 s1, exec_lo, s21
; %bb.517:                              ;   in Loop: Header=BB448_13 Depth=1
	v_bfe_u32 v1, v0, 16, 1
	s_delay_alu instid0(VALU_DEP_1)
	v_add3_u32 v61, v0, v1, 0x7fff
                                        ; implicit-def: $vgpr0
; %bb.518:                              ;   in Loop: Header=BB448_13 Depth=1
	s_and_not1_saveexec_b32 s21, s1
; %bb.519:                              ;   in Loop: Header=BB448_13 Depth=1
	v_and_b32_e32 v1, 0xffff, v0
	v_or_b32_e32 v2, 0x10000, v0
	s_delay_alu instid0(VALU_DEP_2) | instskip(NEXT) | instid1(VALU_DEP_1)
	v_cmp_eq_u32_e64 s1, 0, v1
	v_cndmask_b32_e64 v61, v2, v0, s1
; %bb.520:                              ;   in Loop: Header=BB448_13 Depth=1
	s_or_b32 exec_lo, exec_lo, s21
	v_lshrrev_b32_e32 v0, 16, v31
	s_mov_b32 s21, exec_lo
	s_delay_alu instid0(VALU_DEP_1) | instskip(NEXT) | instid1(VALU_DEP_1)
	v_dual_mov_b32 v1, 0 :: v_dual_and_b32 v2, 0xff, v0
	v_cmpx_ne_u16_e32 0, v2
	s_cbranch_execz .LBB448_528
; %bb.521:                              ;   in Loop: Header=BB448_13 Depth=1
	v_bfrev_b32_e32 v1, 1
	s_mov_b32 s22, exec_lo
	v_cmpx_ne_u16_e32 0x80, v2
	s_cbranch_execz .LBB448_527
; %bb.522:                              ;   in Loop: Header=BB448_13 Depth=1
	v_bfe_u32 v2, v31, 16, 7
	v_mov_b32_e32 v1, 0x7f800001
	s_mov_b32 s23, exec_lo
	s_delay_alu instid0(VALU_DEP_2)
	v_cmpx_ne_u32_e32 0x7f, v2
	s_cbranch_execz .LBB448_526
; %bb.523:                              ;   in Loop: Header=BB448_13 Depth=1
	v_and_b32_e32 v18, 7, v0
	v_lshrrev_b32_e32 v1, 3, v2
	v_mov_b32_e32 v34, v19
	s_mov_b32 s24, exec_lo
	s_delay_alu instid0(VALU_DEP_3)
	v_mov_b32_e32 v33, v18
	v_cmpx_gt_u32_e32 8, v2
; %bb.524:                              ;   in Loop: Header=BB448_13 Depth=1
	v_clz_i32_u32_e32 v1, v18
	s_delay_alu instid0(VALU_DEP_1) | instskip(NEXT) | instid1(VALU_DEP_1)
	v_min_u32_e32 v1, 32, v1
	v_subrev_nc_u32_e32 v2, 28, v1
	v_sub_nc_u32_e32 v1, 29, v1
	s_delay_alu instid0(VALU_DEP_2) | instskip(NEXT) | instid1(VALU_DEP_1)
	v_lshlrev_b64 v[2:3], v2, v[18:19]
	v_and_b32_e32 v33, 7, v2
; %bb.525:                              ;   in Loop: Header=BB448_13 Depth=1
	s_or_b32 exec_lo, exec_lo, s24
	v_lshlrev_b32_e32 v0, 24, v0
	s_delay_alu instid0(VALU_DEP_2) | instskip(SKIP_1) | instid1(VALU_DEP_3)
	v_lshlrev_b32_e32 v2, 20, v33
	v_lshl_add_u32 v1, v1, 23, 0x3c000000
	v_and_b32_e32 v0, 0x80000000, v0
	s_delay_alu instid0(VALU_DEP_1)
	v_or3_b32 v1, v2, v0, v1
.LBB448_526:                            ;   in Loop: Header=BB448_13 Depth=1
	s_or_b32 exec_lo, exec_lo, s23
.LBB448_527:                            ;   in Loop: Header=BB448_13 Depth=1
	s_delay_alu instid0(SALU_CYCLE_1)
	s_or_b32 exec_lo, exec_lo, s22
.LBB448_528:                            ;   in Loop: Header=BB448_13 Depth=1
	s_delay_alu instid0(SALU_CYCLE_1) | instskip(NEXT) | instid1(VALU_DEP_1)
	s_or_b32 exec_lo, exec_lo, s21
	v_mul_f32_e32 v0, v133, v1
                                        ; implicit-def: $vgpr62
	s_delay_alu instid0(VALU_DEP_1) | instskip(NEXT) | instid1(VALU_DEP_1)
	v_and_b32_e32 v1, 0x7f800000, v0
	v_cmp_ne_u32_e64 s1, 0x7f800000, v1
	s_delay_alu instid0(VALU_DEP_1) | instskip(NEXT) | instid1(SALU_CYCLE_1)
	s_and_saveexec_b32 s21, s1
	s_xor_b32 s1, exec_lo, s21
; %bb.529:                              ;   in Loop: Header=BB448_13 Depth=1
	v_bfe_u32 v1, v0, 16, 1
	s_delay_alu instid0(VALU_DEP_1)
	v_add3_u32 v62, v0, v1, 0x7fff
                                        ; implicit-def: $vgpr0
; %bb.530:                              ;   in Loop: Header=BB448_13 Depth=1
	s_and_not1_saveexec_b32 s21, s1
; %bb.531:                              ;   in Loop: Header=BB448_13 Depth=1
	v_and_b32_e32 v1, 0xffff, v0
	v_or_b32_e32 v2, 0x10000, v0
	s_delay_alu instid0(VALU_DEP_2) | instskip(NEXT) | instid1(VALU_DEP_1)
	v_cmp_eq_u32_e64 s1, 0, v1
	v_cndmask_b32_e64 v62, v2, v0, s1
; %bb.532:                              ;   in Loop: Header=BB448_13 Depth=1
	s_or_b32 exec_lo, exec_lo, s21
	v_mov_b32_e32 v1, 0
	s_mov_b32 s21, exec_lo
	v_cmpx_lt_u32_e32 0xffffff, v31
	s_cbranch_execz .LBB448_540
; %bb.533:                              ;   in Loop: Header=BB448_13 Depth=1
	v_lshrrev_b32_e32 v0, 24, v31
	v_bfrev_b32_e32 v1, 1
	s_mov_b32 s22, exec_lo
	s_delay_alu instid0(VALU_DEP_2)
	v_cmpx_ne_u32_e32 0x80, v0
	s_cbranch_execz .LBB448_539
; %bb.534:                              ;   in Loop: Header=BB448_13 Depth=1
	v_bfe_u32 v2, v31, 24, 7
	v_mov_b32_e32 v1, 0x7f800001
	s_mov_b32 s23, exec_lo
	s_delay_alu instid0(VALU_DEP_2)
	v_cmpx_ne_u32_e32 0x7f, v2
	s_cbranch_execz .LBB448_538
; %bb.535:                              ;   in Loop: Header=BB448_13 Depth=1
	v_and_b32_e32 v18, 7, v0
	v_lshrrev_b32_e32 v1, 3, v2
	v_mov_b32_e32 v34, v19
	s_mov_b32 s24, exec_lo
	s_delay_alu instid0(VALU_DEP_3)
	v_mov_b32_e32 v33, v18
	v_cmpx_gt_u32_e32 8, v2
; %bb.536:                              ;   in Loop: Header=BB448_13 Depth=1
	v_clz_i32_u32_e32 v1, v18
	s_delay_alu instid0(VALU_DEP_1) | instskip(NEXT) | instid1(VALU_DEP_1)
	v_min_u32_e32 v1, 32, v1
	v_subrev_nc_u32_e32 v2, 28, v1
	v_sub_nc_u32_e32 v1, 29, v1
	s_delay_alu instid0(VALU_DEP_2) | instskip(NEXT) | instid1(VALU_DEP_1)
	v_lshlrev_b64 v[2:3], v2, v[18:19]
	v_and_b32_e32 v33, 7, v2
; %bb.537:                              ;   in Loop: Header=BB448_13 Depth=1
	s_or_b32 exec_lo, exec_lo, s24
	v_lshlrev_b32_e32 v0, 24, v0
	s_delay_alu instid0(VALU_DEP_2) | instskip(SKIP_1) | instid1(VALU_DEP_3)
	v_lshlrev_b32_e32 v2, 20, v33
	v_lshl_add_u32 v1, v1, 23, 0x3c000000
	v_and_b32_e32 v0, 0x80000000, v0
	s_delay_alu instid0(VALU_DEP_1)
	v_or3_b32 v1, v2, v0, v1
.LBB448_538:                            ;   in Loop: Header=BB448_13 Depth=1
	s_or_b32 exec_lo, exec_lo, s23
.LBB448_539:                            ;   in Loop: Header=BB448_13 Depth=1
	s_delay_alu instid0(SALU_CYCLE_1)
	s_or_b32 exec_lo, exec_lo, s22
.LBB448_540:                            ;   in Loop: Header=BB448_13 Depth=1
	s_delay_alu instid0(SALU_CYCLE_1) | instskip(NEXT) | instid1(VALU_DEP_1)
	s_or_b32 exec_lo, exec_lo, s21
	v_mul_f32_e32 v0, v133, v1
                                        ; implicit-def: $vgpr63
	s_delay_alu instid0(VALU_DEP_1) | instskip(NEXT) | instid1(VALU_DEP_1)
	v_and_b32_e32 v1, 0x7f800000, v0
	v_cmp_ne_u32_e64 s1, 0x7f800000, v1
	s_delay_alu instid0(VALU_DEP_1) | instskip(NEXT) | instid1(SALU_CYCLE_1)
	s_and_saveexec_b32 s21, s1
	s_xor_b32 s1, exec_lo, s21
; %bb.541:                              ;   in Loop: Header=BB448_13 Depth=1
	v_bfe_u32 v1, v0, 16, 1
	s_delay_alu instid0(VALU_DEP_1)
	v_add3_u32 v63, v0, v1, 0x7fff
                                        ; implicit-def: $vgpr0
; %bb.542:                              ;   in Loop: Header=BB448_13 Depth=1
	s_and_not1_saveexec_b32 s21, s1
; %bb.543:                              ;   in Loop: Header=BB448_13 Depth=1
	v_and_b32_e32 v1, 0xffff, v0
	v_or_b32_e32 v2, 0x10000, v0
	s_delay_alu instid0(VALU_DEP_2) | instskip(NEXT) | instid1(VALU_DEP_1)
	v_cmp_eq_u32_e64 s1, 0, v1
	v_cndmask_b32_e64 v63, v2, v0, s1
; %bb.544:                              ;   in Loop: Header=BB448_13 Depth=1
	s_or_b32 exec_lo, exec_lo, s21
	v_dual_mov_b32 v18, v32 :: v_dual_and_b32 v1, 0xff, v32
	v_mov_b32_e32 v0, 0
	s_mov_b32 s21, exec_lo
	s_delay_alu instid0(VALU_DEP_2)
	v_cmpx_ne_u16_e32 0, v1
	s_cbranch_execz .LBB448_552
; %bb.545:                              ;   in Loop: Header=BB448_13 Depth=1
	v_bfrev_b32_e32 v0, 1
	s_mov_b32 s22, exec_lo
	v_cmpx_ne_u16_e32 0x80, v1
	s_cbranch_execz .LBB448_551
; %bb.546:                              ;   in Loop: Header=BB448_13 Depth=1
	v_and_b32_e32 v1, 0x7f, v32
	v_mov_b32_e32 v0, 0x7f800001
	s_mov_b32 s23, exec_lo
	s_delay_alu instid0(VALU_DEP_2)
	v_cmpx_ne_u32_e32 0x7f, v1
	s_cbranch_execz .LBB448_550
; %bb.547:                              ;   in Loop: Header=BB448_13 Depth=1
	v_lshrrev_b32_e32 v0, 3, v1
	v_dual_mov_b32 v34, v19 :: v_dual_mov_b32 v33, v18
	s_mov_b32 s24, exec_lo
	v_cmpx_gt_u32_e32 8, v1
; %bb.548:                              ;   in Loop: Header=BB448_13 Depth=1
	v_and_b32_e32 v0, 7, v32
	s_delay_alu instid0(VALU_DEP_1) | instskip(NEXT) | instid1(VALU_DEP_1)
	v_clz_i32_u32_e32 v0, v0
	v_min_u32_e32 v0, 32, v0
	s_delay_alu instid0(VALU_DEP_1) | instskip(SKIP_1) | instid1(VALU_DEP_2)
	v_subrev_nc_u32_e32 v1, 28, v0
	v_sub_nc_u32_e32 v0, 29, v0
	v_lshlrev_b64 v[33:34], v1, v[18:19]
; %bb.549:                              ;   in Loop: Header=BB448_13 Depth=1
	s_or_b32 exec_lo, exec_lo, s24
	s_delay_alu instid0(VALU_DEP_1) | instskip(SKIP_2) | instid1(VALU_DEP_3)
	v_lshlrev_b32_e32 v1, 20, v33
	v_lshlrev_b32_e32 v2, 24, v18
	v_lshl_add_u32 v0, v0, 23, 0x3c000000
	v_and_b32_e32 v1, 0x700000, v1
	s_delay_alu instid0(VALU_DEP_3) | instskip(NEXT) | instid1(VALU_DEP_1)
	v_and_b32_e32 v2, 0x80000000, v2
	v_or3_b32 v0, v1, v2, v0
.LBB448_550:                            ;   in Loop: Header=BB448_13 Depth=1
	s_or_b32 exec_lo, exec_lo, s23
.LBB448_551:                            ;   in Loop: Header=BB448_13 Depth=1
	s_delay_alu instid0(SALU_CYCLE_1)
	s_or_b32 exec_lo, exec_lo, s22
.LBB448_552:                            ;   in Loop: Header=BB448_13 Depth=1
	s_delay_alu instid0(SALU_CYCLE_1) | instskip(NEXT) | instid1(VALU_DEP_1)
	s_or_b32 exec_lo, exec_lo, s21
	v_mul_f32_e32 v0, v133, v0
                                        ; implicit-def: $vgpr72
	s_delay_alu instid0(VALU_DEP_1) | instskip(NEXT) | instid1(VALU_DEP_1)
	v_and_b32_e32 v1, 0x7f800000, v0
	v_cmp_ne_u32_e64 s1, 0x7f800000, v1
	s_delay_alu instid0(VALU_DEP_1) | instskip(NEXT) | instid1(SALU_CYCLE_1)
	s_and_saveexec_b32 s21, s1
	s_xor_b32 s1, exec_lo, s21
; %bb.553:                              ;   in Loop: Header=BB448_13 Depth=1
	v_bfe_u32 v1, v0, 16, 1
	s_delay_alu instid0(VALU_DEP_1)
	v_add3_u32 v72, v0, v1, 0x7fff
                                        ; implicit-def: $vgpr0
; %bb.554:                              ;   in Loop: Header=BB448_13 Depth=1
	s_and_not1_saveexec_b32 s21, s1
; %bb.555:                              ;   in Loop: Header=BB448_13 Depth=1
	v_and_b32_e32 v1, 0xffff, v0
	v_or_b32_e32 v2, 0x10000, v0
	s_delay_alu instid0(VALU_DEP_2) | instskip(NEXT) | instid1(VALU_DEP_1)
	v_cmp_eq_u32_e64 s1, 0, v1
	v_cndmask_b32_e64 v72, v2, v0, s1
; %bb.556:                              ;   in Loop: Header=BB448_13 Depth=1
	s_or_b32 exec_lo, exec_lo, s21
	v_lshrrev_b16 v1, 8, v18
	v_mov_b32_e32 v0, 0
	s_mov_b32 s21, exec_lo
	s_delay_alu instid0(VALU_DEP_2)
	v_cmpx_ne_u16_e32 0, v1
	s_cbranch_execz .LBB448_564
; %bb.557:                              ;   in Loop: Header=BB448_13 Depth=1
	v_bfrev_b32_e32 v0, 1
	s_mov_b32 s22, exec_lo
	v_cmpx_ne_u16_e32 0x80, v1
	s_cbranch_execz .LBB448_563
; %bb.558:                              ;   in Loop: Header=BB448_13 Depth=1
	v_and_b32_e32 v2, 0xffff, v1
	v_mov_b32_e32 v0, 0x7f800001
	s_mov_b32 s23, exec_lo
	s_delay_alu instid0(VALU_DEP_2) | instskip(NEXT) | instid1(VALU_DEP_1)
	v_and_b32_e32 v1, 0x7f, v2
	v_cmpx_ne_u32_e32 0x7f, v1
	s_cbranch_execz .LBB448_562
; %bb.559:                              ;   in Loop: Header=BB448_13 Depth=1
	v_dual_mov_b32 v34, v19 :: v_dual_and_b32 v33, 7, v2
	v_lshrrev_b32_e32 v0, 3, v1
	s_mov_b32 s24, exec_lo
	v_cmpx_gt_u32_e32 8, v1
; %bb.560:                              ;   in Loop: Header=BB448_13 Depth=1
	s_delay_alu instid0(VALU_DEP_3) | instskip(NEXT) | instid1(VALU_DEP_1)
	v_clz_i32_u32_e32 v0, v33
	v_min_u32_e32 v0, 32, v0
	s_delay_alu instid0(VALU_DEP_1) | instskip(SKIP_1) | instid1(VALU_DEP_2)
	v_subrev_nc_u32_e32 v1, 28, v0
	v_sub_nc_u32_e32 v0, 29, v0
	v_lshlrev_b64 v[1:2], v1, v[33:34]
	s_delay_alu instid0(VALU_DEP_1)
	v_and_b32_e32 v33, 7, v1
; %bb.561:                              ;   in Loop: Header=BB448_13 Depth=1
	s_or_b32 exec_lo, exec_lo, s24
	v_lshlrev_b32_e32 v1, 16, v18
	s_delay_alu instid0(VALU_DEP_2) | instskip(SKIP_1) | instid1(VALU_DEP_3)
	v_lshlrev_b32_e32 v2, 20, v33
	v_lshl_add_u32 v0, v0, 23, 0x3c000000
	v_and_b32_e32 v1, 0x80000000, v1
	s_delay_alu instid0(VALU_DEP_1)
	v_or3_b32 v0, v2, v1, v0
.LBB448_562:                            ;   in Loop: Header=BB448_13 Depth=1
	s_or_b32 exec_lo, exec_lo, s23
.LBB448_563:                            ;   in Loop: Header=BB448_13 Depth=1
	s_delay_alu instid0(SALU_CYCLE_1)
	s_or_b32 exec_lo, exec_lo, s22
.LBB448_564:                            ;   in Loop: Header=BB448_13 Depth=1
	s_delay_alu instid0(SALU_CYCLE_1) | instskip(NEXT) | instid1(VALU_DEP_1)
	s_or_b32 exec_lo, exec_lo, s21
	v_mul_f32_e32 v0, v133, v0
                                        ; implicit-def: $vgpr73
	s_delay_alu instid0(VALU_DEP_1) | instskip(NEXT) | instid1(VALU_DEP_1)
	v_and_b32_e32 v1, 0x7f800000, v0
	v_cmp_ne_u32_e64 s1, 0x7f800000, v1
	s_delay_alu instid0(VALU_DEP_1) | instskip(NEXT) | instid1(SALU_CYCLE_1)
	s_and_saveexec_b32 s21, s1
	s_xor_b32 s1, exec_lo, s21
; %bb.565:                              ;   in Loop: Header=BB448_13 Depth=1
	v_bfe_u32 v1, v0, 16, 1
	s_delay_alu instid0(VALU_DEP_1)
	v_add3_u32 v73, v0, v1, 0x7fff
                                        ; implicit-def: $vgpr0
; %bb.566:                              ;   in Loop: Header=BB448_13 Depth=1
	s_and_not1_saveexec_b32 s21, s1
; %bb.567:                              ;   in Loop: Header=BB448_13 Depth=1
	v_and_b32_e32 v1, 0xffff, v0
	v_or_b32_e32 v2, 0x10000, v0
	s_delay_alu instid0(VALU_DEP_2) | instskip(NEXT) | instid1(VALU_DEP_1)
	v_cmp_eq_u32_e64 s1, 0, v1
	v_cndmask_b32_e64 v73, v2, v0, s1
; %bb.568:                              ;   in Loop: Header=BB448_13 Depth=1
	s_or_b32 exec_lo, exec_lo, s21
	v_lshrrev_b32_e32 v0, 16, v32
	s_mov_b32 s21, exec_lo
	s_delay_alu instid0(VALU_DEP_1) | instskip(NEXT) | instid1(VALU_DEP_1)
	v_dual_mov_b32 v1, 0 :: v_dual_and_b32 v2, 0xff, v0
	v_cmpx_ne_u16_e32 0, v2
	s_cbranch_execz .LBB448_576
; %bb.569:                              ;   in Loop: Header=BB448_13 Depth=1
	v_bfrev_b32_e32 v1, 1
	s_mov_b32 s22, exec_lo
	v_cmpx_ne_u16_e32 0x80, v2
	s_cbranch_execz .LBB448_575
; %bb.570:                              ;   in Loop: Header=BB448_13 Depth=1
	v_bfe_u32 v2, v32, 16, 7
	v_mov_b32_e32 v1, 0x7f800001
	s_mov_b32 s23, exec_lo
	s_delay_alu instid0(VALU_DEP_2)
	v_cmpx_ne_u32_e32 0x7f, v2
	s_cbranch_execz .LBB448_574
; %bb.571:                              ;   in Loop: Header=BB448_13 Depth=1
	v_and_b32_e32 v18, 7, v0
	v_lshrrev_b32_e32 v1, 3, v2
	v_mov_b32_e32 v34, v19
	s_mov_b32 s24, exec_lo
	s_delay_alu instid0(VALU_DEP_3)
	v_mov_b32_e32 v33, v18
	v_cmpx_gt_u32_e32 8, v2
; %bb.572:                              ;   in Loop: Header=BB448_13 Depth=1
	v_clz_i32_u32_e32 v1, v18
	s_delay_alu instid0(VALU_DEP_1) | instskip(NEXT) | instid1(VALU_DEP_1)
	v_min_u32_e32 v1, 32, v1
	v_subrev_nc_u32_e32 v2, 28, v1
	v_sub_nc_u32_e32 v1, 29, v1
	s_delay_alu instid0(VALU_DEP_2) | instskip(NEXT) | instid1(VALU_DEP_1)
	v_lshlrev_b64 v[2:3], v2, v[18:19]
	v_and_b32_e32 v33, 7, v2
; %bb.573:                              ;   in Loop: Header=BB448_13 Depth=1
	s_or_b32 exec_lo, exec_lo, s24
	v_lshlrev_b32_e32 v0, 24, v0
	s_delay_alu instid0(VALU_DEP_2) | instskip(SKIP_1) | instid1(VALU_DEP_3)
	v_lshlrev_b32_e32 v2, 20, v33
	v_lshl_add_u32 v1, v1, 23, 0x3c000000
	v_and_b32_e32 v0, 0x80000000, v0
	s_delay_alu instid0(VALU_DEP_1)
	v_or3_b32 v1, v2, v0, v1
.LBB448_574:                            ;   in Loop: Header=BB448_13 Depth=1
	s_or_b32 exec_lo, exec_lo, s23
.LBB448_575:                            ;   in Loop: Header=BB448_13 Depth=1
	s_delay_alu instid0(SALU_CYCLE_1)
	s_or_b32 exec_lo, exec_lo, s22
.LBB448_576:                            ;   in Loop: Header=BB448_13 Depth=1
	s_delay_alu instid0(SALU_CYCLE_1) | instskip(NEXT) | instid1(VALU_DEP_1)
	s_or_b32 exec_lo, exec_lo, s21
	v_mul_f32_e32 v0, v133, v1
                                        ; implicit-def: $vgpr74
	s_delay_alu instid0(VALU_DEP_1) | instskip(NEXT) | instid1(VALU_DEP_1)
	v_and_b32_e32 v1, 0x7f800000, v0
	v_cmp_ne_u32_e64 s1, 0x7f800000, v1
	s_delay_alu instid0(VALU_DEP_1) | instskip(NEXT) | instid1(SALU_CYCLE_1)
	s_and_saveexec_b32 s21, s1
	s_xor_b32 s1, exec_lo, s21
; %bb.577:                              ;   in Loop: Header=BB448_13 Depth=1
	v_bfe_u32 v1, v0, 16, 1
	s_delay_alu instid0(VALU_DEP_1)
	v_add3_u32 v74, v0, v1, 0x7fff
                                        ; implicit-def: $vgpr0
; %bb.578:                              ;   in Loop: Header=BB448_13 Depth=1
	s_and_not1_saveexec_b32 s21, s1
; %bb.579:                              ;   in Loop: Header=BB448_13 Depth=1
	v_and_b32_e32 v1, 0xffff, v0
	v_or_b32_e32 v2, 0x10000, v0
	s_delay_alu instid0(VALU_DEP_2) | instskip(NEXT) | instid1(VALU_DEP_1)
	v_cmp_eq_u32_e64 s1, 0, v1
	v_cndmask_b32_e64 v74, v2, v0, s1
; %bb.580:                              ;   in Loop: Header=BB448_13 Depth=1
	s_or_b32 exec_lo, exec_lo, s21
	v_mov_b32_e32 v1, 0
	s_mov_b32 s21, exec_lo
	v_cmpx_lt_u64_e64 s[16:17], v[31:32]
	s_cbranch_execz .LBB448_588
; %bb.581:                              ;   in Loop: Header=BB448_13 Depth=1
	v_lshrrev_b32_e32 v0, 24, v32
	v_bfrev_b32_e32 v1, 1
	s_mov_b32 s22, exec_lo
	s_delay_alu instid0(VALU_DEP_2)
	v_cmpx_ne_u32_e32 0x80, v0
	s_cbranch_execz .LBB448_587
; %bb.582:                              ;   in Loop: Header=BB448_13 Depth=1
	v_bfe_u32 v2, v32, 24, 7
	v_mov_b32_e32 v1, 0x7f800001
	s_mov_b32 s23, exec_lo
	s_delay_alu instid0(VALU_DEP_2)
	v_cmpx_ne_u32_e32 0x7f, v2
	s_cbranch_execz .LBB448_586
; %bb.583:                              ;   in Loop: Header=BB448_13 Depth=1
	v_and_b32_e32 v18, 7, v0
	v_lshrrev_b32_e32 v1, 3, v2
	v_mov_b32_e32 v32, v19
	s_mov_b32 s24, exec_lo
	s_delay_alu instid0(VALU_DEP_3)
	v_mov_b32_e32 v31, v18
	v_cmpx_gt_u32_e32 8, v2
; %bb.584:                              ;   in Loop: Header=BB448_13 Depth=1
	v_clz_i32_u32_e32 v1, v18
	s_delay_alu instid0(VALU_DEP_1) | instskip(NEXT) | instid1(VALU_DEP_1)
	v_min_u32_e32 v1, 32, v1
	v_subrev_nc_u32_e32 v2, 28, v1
	v_sub_nc_u32_e32 v1, 29, v1
	s_delay_alu instid0(VALU_DEP_2) | instskip(NEXT) | instid1(VALU_DEP_1)
	v_lshlrev_b64 v[2:3], v2, v[18:19]
	v_and_b32_e32 v31, 7, v2
; %bb.585:                              ;   in Loop: Header=BB448_13 Depth=1
	s_or_b32 exec_lo, exec_lo, s24
	v_lshlrev_b32_e32 v0, 24, v0
	s_delay_alu instid0(VALU_DEP_2) | instskip(SKIP_1) | instid1(VALU_DEP_3)
	v_lshlrev_b32_e32 v2, 20, v31
	v_lshl_add_u32 v1, v1, 23, 0x3c000000
	v_and_b32_e32 v0, 0x80000000, v0
	s_delay_alu instid0(VALU_DEP_1)
	v_or3_b32 v1, v2, v0, v1
.LBB448_586:                            ;   in Loop: Header=BB448_13 Depth=1
	s_or_b32 exec_lo, exec_lo, s23
.LBB448_587:                            ;   in Loop: Header=BB448_13 Depth=1
	s_delay_alu instid0(SALU_CYCLE_1)
	s_or_b32 exec_lo, exec_lo, s22
.LBB448_588:                            ;   in Loop: Header=BB448_13 Depth=1
	s_delay_alu instid0(SALU_CYCLE_1) | instskip(NEXT) | instid1(VALU_DEP_1)
	s_or_b32 exec_lo, exec_lo, s21
	v_mul_f32_e32 v0, v133, v1
                                        ; implicit-def: $vgpr75
	s_delay_alu instid0(VALU_DEP_1) | instskip(NEXT) | instid1(VALU_DEP_1)
	v_and_b32_e32 v1, 0x7f800000, v0
	v_cmp_ne_u32_e64 s1, 0x7f800000, v1
	s_delay_alu instid0(VALU_DEP_1) | instskip(NEXT) | instid1(SALU_CYCLE_1)
	s_and_saveexec_b32 s21, s1
	s_xor_b32 s1, exec_lo, s21
; %bb.589:                              ;   in Loop: Header=BB448_13 Depth=1
	v_bfe_u32 v1, v0, 16, 1
	s_delay_alu instid0(VALU_DEP_1)
	v_add3_u32 v75, v0, v1, 0x7fff
                                        ; implicit-def: $vgpr0
; %bb.590:                              ;   in Loop: Header=BB448_13 Depth=1
	s_and_not1_saveexec_b32 s21, s1
; %bb.591:                              ;   in Loop: Header=BB448_13 Depth=1
	v_and_b32_e32 v1, 0xffff, v0
	v_or_b32_e32 v2, 0x10000, v0
	s_delay_alu instid0(VALU_DEP_2) | instskip(NEXT) | instid1(VALU_DEP_1)
	v_cmp_eq_u32_e64 s1, 0, v1
	v_cndmask_b32_e64 v75, v2, v0, s1
; %bb.592:                              ;   in Loop: Header=BB448_13 Depth=1
	s_or_b32 exec_lo, exec_lo, s21
	flat_load_b64 v[31:32], v[28:29] offset:1536
	s_mov_b32 s21, exec_lo
	s_waitcnt vmcnt(0) lgkmcnt(0)
	v_dual_mov_b32 v0, 0 :: v_dual_and_b32 v1, 0xff, v31
	s_delay_alu instid0(VALU_DEP_1)
	v_cmpx_ne_u16_e32 0, v1
	s_cbranch_execz .LBB448_600
; %bb.593:                              ;   in Loop: Header=BB448_13 Depth=1
	v_bfrev_b32_e32 v0, 1
	s_mov_b32 s22, exec_lo
	v_cmpx_ne_u16_e32 0x80, v1
	s_cbranch_execz .LBB448_599
; %bb.594:                              ;   in Loop: Header=BB448_13 Depth=1
	v_and_b32_e32 v1, 0x7f, v31
	v_mov_b32_e32 v0, 0x7f800001
	s_mov_b32 s23, exec_lo
	s_delay_alu instid0(VALU_DEP_2)
	v_cmpx_ne_u32_e32 0x7f, v1
	s_cbranch_execz .LBB448_598
; %bb.595:                              ;   in Loop: Header=BB448_13 Depth=1
	v_lshrrev_b32_e32 v0, 3, v1
	v_dual_mov_b32 v34, v32 :: v_dual_mov_b32 v33, v31
	s_mov_b32 s24, exec_lo
	v_cmpx_gt_u32_e32 8, v1
; %bb.596:                              ;   in Loop: Header=BB448_13 Depth=1
	v_and_b32_e32 v0, 7, v31
	s_delay_alu instid0(VALU_DEP_1) | instskip(NEXT) | instid1(VALU_DEP_1)
	v_clz_i32_u32_e32 v0, v0
	v_min_u32_e32 v0, 32, v0
	s_delay_alu instid0(VALU_DEP_1) | instskip(SKIP_1) | instid1(VALU_DEP_2)
	v_subrev_nc_u32_e32 v1, 28, v0
	v_sub_nc_u32_e32 v0, 29, v0
	v_lshlrev_b64 v[33:34], v1, v[31:32]
; %bb.597:                              ;   in Loop: Header=BB448_13 Depth=1
	s_or_b32 exec_lo, exec_lo, s24
	s_delay_alu instid0(VALU_DEP_1) | instskip(SKIP_2) | instid1(VALU_DEP_3)
	v_lshlrev_b32_e32 v1, 20, v33
	v_lshlrev_b32_e32 v2, 24, v31
	v_lshl_add_u32 v0, v0, 23, 0x3c000000
	v_and_b32_e32 v1, 0x700000, v1
	s_delay_alu instid0(VALU_DEP_3) | instskip(NEXT) | instid1(VALU_DEP_1)
	v_and_b32_e32 v2, 0x80000000, v2
	v_or3_b32 v0, v1, v2, v0
.LBB448_598:                            ;   in Loop: Header=BB448_13 Depth=1
	s_or_b32 exec_lo, exec_lo, s23
.LBB448_599:                            ;   in Loop: Header=BB448_13 Depth=1
	s_delay_alu instid0(SALU_CYCLE_1)
	s_or_b32 exec_lo, exec_lo, s22
.LBB448_600:                            ;   in Loop: Header=BB448_13 Depth=1
	s_delay_alu instid0(SALU_CYCLE_1) | instskip(NEXT) | instid1(VALU_DEP_1)
	s_or_b32 exec_lo, exec_lo, s21
	v_mul_f32_e32 v0, v133, v0
                                        ; implicit-def: $vgpr76
	s_delay_alu instid0(VALU_DEP_1) | instskip(NEXT) | instid1(VALU_DEP_1)
	v_and_b32_e32 v1, 0x7f800000, v0
	v_cmp_ne_u32_e64 s1, 0x7f800000, v1
	s_delay_alu instid0(VALU_DEP_1) | instskip(NEXT) | instid1(SALU_CYCLE_1)
	s_and_saveexec_b32 s21, s1
	s_xor_b32 s1, exec_lo, s21
; %bb.601:                              ;   in Loop: Header=BB448_13 Depth=1
	v_bfe_u32 v1, v0, 16, 1
	s_delay_alu instid0(VALU_DEP_1)
	v_add3_u32 v76, v0, v1, 0x7fff
                                        ; implicit-def: $vgpr0
; %bb.602:                              ;   in Loop: Header=BB448_13 Depth=1
	s_and_not1_saveexec_b32 s21, s1
; %bb.603:                              ;   in Loop: Header=BB448_13 Depth=1
	v_and_b32_e32 v1, 0xffff, v0
	v_or_b32_e32 v2, 0x10000, v0
	s_delay_alu instid0(VALU_DEP_2) | instskip(NEXT) | instid1(VALU_DEP_1)
	v_cmp_eq_u32_e64 s1, 0, v1
	v_cndmask_b32_e64 v76, v2, v0, s1
; %bb.604:                              ;   in Loop: Header=BB448_13 Depth=1
	s_or_b32 exec_lo, exec_lo, s21
	v_lshrrev_b16 v1, 8, v31
	v_mov_b32_e32 v0, 0
	s_mov_b32 s21, exec_lo
	s_delay_alu instid0(VALU_DEP_2)
	v_cmpx_ne_u16_e32 0, v1
	s_cbranch_execz .LBB448_612
; %bb.605:                              ;   in Loop: Header=BB448_13 Depth=1
	v_bfrev_b32_e32 v0, 1
	s_mov_b32 s22, exec_lo
	v_cmpx_ne_u16_e32 0x80, v1
	s_cbranch_execz .LBB448_611
; %bb.606:                              ;   in Loop: Header=BB448_13 Depth=1
	v_and_b32_e32 v2, 0xffff, v1
	v_mov_b32_e32 v0, 0x7f800001
	s_mov_b32 s23, exec_lo
	s_delay_alu instid0(VALU_DEP_2) | instskip(NEXT) | instid1(VALU_DEP_1)
	v_and_b32_e32 v1, 0x7f, v2
	v_cmpx_ne_u32_e32 0x7f, v1
	s_cbranch_execz .LBB448_610
; %bb.607:                              ;   in Loop: Header=BB448_13 Depth=1
	v_and_b32_e32 v18, 7, v2
	v_lshrrev_b32_e32 v0, 3, v1
	v_mov_b32_e32 v34, v19
	s_mov_b32 s24, exec_lo
	s_delay_alu instid0(VALU_DEP_3)
	v_mov_b32_e32 v33, v18
	v_cmpx_gt_u32_e32 8, v1
; %bb.608:                              ;   in Loop: Header=BB448_13 Depth=1
	v_clz_i32_u32_e32 v0, v18
	s_delay_alu instid0(VALU_DEP_1) | instskip(NEXT) | instid1(VALU_DEP_1)
	v_min_u32_e32 v0, 32, v0
	v_subrev_nc_u32_e32 v1, 28, v0
	v_sub_nc_u32_e32 v0, 29, v0
	s_delay_alu instid0(VALU_DEP_2) | instskip(NEXT) | instid1(VALU_DEP_1)
	v_lshlrev_b64 v[1:2], v1, v[18:19]
	v_and_b32_e32 v33, 7, v1
; %bb.609:                              ;   in Loop: Header=BB448_13 Depth=1
	s_or_b32 exec_lo, exec_lo, s24
	v_lshlrev_b32_e32 v1, 16, v31
	s_delay_alu instid0(VALU_DEP_2) | instskip(SKIP_1) | instid1(VALU_DEP_3)
	v_lshlrev_b32_e32 v2, 20, v33
	v_lshl_add_u32 v0, v0, 23, 0x3c000000
	v_and_b32_e32 v1, 0x80000000, v1
	s_delay_alu instid0(VALU_DEP_1)
	v_or3_b32 v0, v2, v1, v0
.LBB448_610:                            ;   in Loop: Header=BB448_13 Depth=1
	s_or_b32 exec_lo, exec_lo, s23
.LBB448_611:                            ;   in Loop: Header=BB448_13 Depth=1
	s_delay_alu instid0(SALU_CYCLE_1)
	s_or_b32 exec_lo, exec_lo, s22
.LBB448_612:                            ;   in Loop: Header=BB448_13 Depth=1
	s_delay_alu instid0(SALU_CYCLE_1) | instskip(NEXT) | instid1(VALU_DEP_1)
	s_or_b32 exec_lo, exec_lo, s21
	v_mul_f32_e32 v0, v133, v0
                                        ; implicit-def: $vgpr77
	s_delay_alu instid0(VALU_DEP_1) | instskip(NEXT) | instid1(VALU_DEP_1)
	v_and_b32_e32 v1, 0x7f800000, v0
	v_cmp_ne_u32_e64 s1, 0x7f800000, v1
	s_delay_alu instid0(VALU_DEP_1) | instskip(NEXT) | instid1(SALU_CYCLE_1)
	s_and_saveexec_b32 s21, s1
	s_xor_b32 s1, exec_lo, s21
; %bb.613:                              ;   in Loop: Header=BB448_13 Depth=1
	v_bfe_u32 v1, v0, 16, 1
	s_delay_alu instid0(VALU_DEP_1)
	v_add3_u32 v77, v0, v1, 0x7fff
                                        ; implicit-def: $vgpr0
; %bb.614:                              ;   in Loop: Header=BB448_13 Depth=1
	s_and_not1_saveexec_b32 s21, s1
; %bb.615:                              ;   in Loop: Header=BB448_13 Depth=1
	v_and_b32_e32 v1, 0xffff, v0
	v_or_b32_e32 v2, 0x10000, v0
	s_delay_alu instid0(VALU_DEP_2) | instskip(NEXT) | instid1(VALU_DEP_1)
	v_cmp_eq_u32_e64 s1, 0, v1
	v_cndmask_b32_e64 v77, v2, v0, s1
; %bb.616:                              ;   in Loop: Header=BB448_13 Depth=1
	s_or_b32 exec_lo, exec_lo, s21
	v_lshrrev_b32_e32 v0, 16, v31
	s_mov_b32 s21, exec_lo
	s_delay_alu instid0(VALU_DEP_1) | instskip(NEXT) | instid1(VALU_DEP_1)
	v_dual_mov_b32 v1, 0 :: v_dual_and_b32 v2, 0xff, v0
	v_cmpx_ne_u16_e32 0, v2
	s_cbranch_execz .LBB448_624
; %bb.617:                              ;   in Loop: Header=BB448_13 Depth=1
	v_bfrev_b32_e32 v1, 1
	s_mov_b32 s22, exec_lo
	v_cmpx_ne_u16_e32 0x80, v2
	s_cbranch_execz .LBB448_623
; %bb.618:                              ;   in Loop: Header=BB448_13 Depth=1
	v_bfe_u32 v2, v31, 16, 7
	v_mov_b32_e32 v1, 0x7f800001
	s_mov_b32 s23, exec_lo
	s_delay_alu instid0(VALU_DEP_2)
	v_cmpx_ne_u32_e32 0x7f, v2
	s_cbranch_execz .LBB448_622
; %bb.619:                              ;   in Loop: Header=BB448_13 Depth=1
	v_and_b32_e32 v18, 7, v0
	v_lshrrev_b32_e32 v1, 3, v2
	v_mov_b32_e32 v34, v19
	s_mov_b32 s24, exec_lo
	s_delay_alu instid0(VALU_DEP_3)
	v_mov_b32_e32 v33, v18
	v_cmpx_gt_u32_e32 8, v2
; %bb.620:                              ;   in Loop: Header=BB448_13 Depth=1
	v_clz_i32_u32_e32 v1, v18
	s_delay_alu instid0(VALU_DEP_1) | instskip(NEXT) | instid1(VALU_DEP_1)
	v_min_u32_e32 v1, 32, v1
	v_subrev_nc_u32_e32 v2, 28, v1
	v_sub_nc_u32_e32 v1, 29, v1
	s_delay_alu instid0(VALU_DEP_2) | instskip(NEXT) | instid1(VALU_DEP_1)
	v_lshlrev_b64 v[2:3], v2, v[18:19]
	v_and_b32_e32 v33, 7, v2
; %bb.621:                              ;   in Loop: Header=BB448_13 Depth=1
	s_or_b32 exec_lo, exec_lo, s24
	v_lshlrev_b32_e32 v0, 24, v0
	s_delay_alu instid0(VALU_DEP_2) | instskip(SKIP_1) | instid1(VALU_DEP_3)
	v_lshlrev_b32_e32 v2, 20, v33
	v_lshl_add_u32 v1, v1, 23, 0x3c000000
	v_and_b32_e32 v0, 0x80000000, v0
	s_delay_alu instid0(VALU_DEP_1)
	v_or3_b32 v1, v2, v0, v1
.LBB448_622:                            ;   in Loop: Header=BB448_13 Depth=1
	s_or_b32 exec_lo, exec_lo, s23
.LBB448_623:                            ;   in Loop: Header=BB448_13 Depth=1
	s_delay_alu instid0(SALU_CYCLE_1)
	s_or_b32 exec_lo, exec_lo, s22
.LBB448_624:                            ;   in Loop: Header=BB448_13 Depth=1
	s_delay_alu instid0(SALU_CYCLE_1) | instskip(NEXT) | instid1(VALU_DEP_1)
	s_or_b32 exec_lo, exec_lo, s21
	v_mul_f32_e32 v0, v133, v1
                                        ; implicit-def: $vgpr78
	s_delay_alu instid0(VALU_DEP_1) | instskip(NEXT) | instid1(VALU_DEP_1)
	v_and_b32_e32 v1, 0x7f800000, v0
	v_cmp_ne_u32_e64 s1, 0x7f800000, v1
	s_delay_alu instid0(VALU_DEP_1) | instskip(NEXT) | instid1(SALU_CYCLE_1)
	s_and_saveexec_b32 s21, s1
	s_xor_b32 s1, exec_lo, s21
; %bb.625:                              ;   in Loop: Header=BB448_13 Depth=1
	v_bfe_u32 v1, v0, 16, 1
	s_delay_alu instid0(VALU_DEP_1)
	v_add3_u32 v78, v0, v1, 0x7fff
                                        ; implicit-def: $vgpr0
; %bb.626:                              ;   in Loop: Header=BB448_13 Depth=1
	s_and_not1_saveexec_b32 s21, s1
; %bb.627:                              ;   in Loop: Header=BB448_13 Depth=1
	v_and_b32_e32 v1, 0xffff, v0
	v_or_b32_e32 v2, 0x10000, v0
	s_delay_alu instid0(VALU_DEP_2) | instskip(NEXT) | instid1(VALU_DEP_1)
	v_cmp_eq_u32_e64 s1, 0, v1
	v_cndmask_b32_e64 v78, v2, v0, s1
; %bb.628:                              ;   in Loop: Header=BB448_13 Depth=1
	s_or_b32 exec_lo, exec_lo, s21
	v_mov_b32_e32 v1, 0
	s_mov_b32 s21, exec_lo
	v_cmpx_lt_u32_e32 0xffffff, v31
	s_cbranch_execz .LBB448_636
; %bb.629:                              ;   in Loop: Header=BB448_13 Depth=1
	v_lshrrev_b32_e32 v0, 24, v31
	v_bfrev_b32_e32 v1, 1
	s_mov_b32 s22, exec_lo
	s_delay_alu instid0(VALU_DEP_2)
	v_cmpx_ne_u32_e32 0x80, v0
	s_cbranch_execz .LBB448_635
; %bb.630:                              ;   in Loop: Header=BB448_13 Depth=1
	v_bfe_u32 v2, v31, 24, 7
	v_mov_b32_e32 v1, 0x7f800001
	s_mov_b32 s23, exec_lo
	s_delay_alu instid0(VALU_DEP_2)
	v_cmpx_ne_u32_e32 0x7f, v2
	s_cbranch_execz .LBB448_634
; %bb.631:                              ;   in Loop: Header=BB448_13 Depth=1
	v_and_b32_e32 v18, 7, v0
	v_lshrrev_b32_e32 v1, 3, v2
	v_mov_b32_e32 v34, v19
	s_mov_b32 s24, exec_lo
	s_delay_alu instid0(VALU_DEP_3)
	v_mov_b32_e32 v33, v18
	v_cmpx_gt_u32_e32 8, v2
; %bb.632:                              ;   in Loop: Header=BB448_13 Depth=1
	v_clz_i32_u32_e32 v1, v18
	s_delay_alu instid0(VALU_DEP_1) | instskip(NEXT) | instid1(VALU_DEP_1)
	v_min_u32_e32 v1, 32, v1
	v_subrev_nc_u32_e32 v2, 28, v1
	v_sub_nc_u32_e32 v1, 29, v1
	s_delay_alu instid0(VALU_DEP_2) | instskip(NEXT) | instid1(VALU_DEP_1)
	v_lshlrev_b64 v[2:3], v2, v[18:19]
	v_and_b32_e32 v33, 7, v2
; %bb.633:                              ;   in Loop: Header=BB448_13 Depth=1
	s_or_b32 exec_lo, exec_lo, s24
	v_lshlrev_b32_e32 v0, 24, v0
	s_delay_alu instid0(VALU_DEP_2) | instskip(SKIP_1) | instid1(VALU_DEP_3)
	v_lshlrev_b32_e32 v2, 20, v33
	v_lshl_add_u32 v1, v1, 23, 0x3c000000
	v_and_b32_e32 v0, 0x80000000, v0
	s_delay_alu instid0(VALU_DEP_1)
	v_or3_b32 v1, v2, v0, v1
.LBB448_634:                            ;   in Loop: Header=BB448_13 Depth=1
	s_or_b32 exec_lo, exec_lo, s23
.LBB448_635:                            ;   in Loop: Header=BB448_13 Depth=1
	s_delay_alu instid0(SALU_CYCLE_1)
	s_or_b32 exec_lo, exec_lo, s22
.LBB448_636:                            ;   in Loop: Header=BB448_13 Depth=1
	s_delay_alu instid0(SALU_CYCLE_1) | instskip(NEXT) | instid1(VALU_DEP_1)
	s_or_b32 exec_lo, exec_lo, s21
	v_mul_f32_e32 v0, v133, v1
                                        ; implicit-def: $vgpr79
	s_delay_alu instid0(VALU_DEP_1) | instskip(NEXT) | instid1(VALU_DEP_1)
	v_and_b32_e32 v1, 0x7f800000, v0
	v_cmp_ne_u32_e64 s1, 0x7f800000, v1
	s_delay_alu instid0(VALU_DEP_1) | instskip(NEXT) | instid1(SALU_CYCLE_1)
	s_and_saveexec_b32 s21, s1
	s_xor_b32 s1, exec_lo, s21
; %bb.637:                              ;   in Loop: Header=BB448_13 Depth=1
	v_bfe_u32 v1, v0, 16, 1
	s_delay_alu instid0(VALU_DEP_1)
	v_add3_u32 v79, v0, v1, 0x7fff
                                        ; implicit-def: $vgpr0
; %bb.638:                              ;   in Loop: Header=BB448_13 Depth=1
	s_and_not1_saveexec_b32 s21, s1
; %bb.639:                              ;   in Loop: Header=BB448_13 Depth=1
	v_and_b32_e32 v1, 0xffff, v0
	v_or_b32_e32 v2, 0x10000, v0
	s_delay_alu instid0(VALU_DEP_2) | instskip(NEXT) | instid1(VALU_DEP_1)
	v_cmp_eq_u32_e64 s1, 0, v1
	v_cndmask_b32_e64 v79, v2, v0, s1
; %bb.640:                              ;   in Loop: Header=BB448_13 Depth=1
	s_or_b32 exec_lo, exec_lo, s21
	v_dual_mov_b32 v18, v32 :: v_dual_and_b32 v1, 0xff, v32
	v_mov_b32_e32 v0, 0
	s_mov_b32 s21, exec_lo
	s_delay_alu instid0(VALU_DEP_2)
	v_cmpx_ne_u16_e32 0, v1
	s_cbranch_execz .LBB448_648
; %bb.641:                              ;   in Loop: Header=BB448_13 Depth=1
	v_bfrev_b32_e32 v0, 1
	s_mov_b32 s22, exec_lo
	v_cmpx_ne_u16_e32 0x80, v1
	s_cbranch_execz .LBB448_647
; %bb.642:                              ;   in Loop: Header=BB448_13 Depth=1
	v_and_b32_e32 v1, 0x7f, v32
	v_mov_b32_e32 v0, 0x7f800001
	s_mov_b32 s23, exec_lo
	s_delay_alu instid0(VALU_DEP_2)
	v_cmpx_ne_u32_e32 0x7f, v1
	s_cbranch_execz .LBB448_646
; %bb.643:                              ;   in Loop: Header=BB448_13 Depth=1
	v_lshrrev_b32_e32 v0, 3, v1
	v_dual_mov_b32 v34, v19 :: v_dual_mov_b32 v33, v18
	s_mov_b32 s24, exec_lo
	v_cmpx_gt_u32_e32 8, v1
; %bb.644:                              ;   in Loop: Header=BB448_13 Depth=1
	v_and_b32_e32 v0, 7, v32
	s_delay_alu instid0(VALU_DEP_1) | instskip(NEXT) | instid1(VALU_DEP_1)
	v_clz_i32_u32_e32 v0, v0
	v_min_u32_e32 v0, 32, v0
	s_delay_alu instid0(VALU_DEP_1) | instskip(SKIP_1) | instid1(VALU_DEP_2)
	v_subrev_nc_u32_e32 v1, 28, v0
	v_sub_nc_u32_e32 v0, 29, v0
	v_lshlrev_b64 v[33:34], v1, v[18:19]
; %bb.645:                              ;   in Loop: Header=BB448_13 Depth=1
	s_or_b32 exec_lo, exec_lo, s24
	s_delay_alu instid0(VALU_DEP_1) | instskip(SKIP_2) | instid1(VALU_DEP_3)
	v_lshlrev_b32_e32 v1, 20, v33
	v_lshlrev_b32_e32 v2, 24, v18
	v_lshl_add_u32 v0, v0, 23, 0x3c000000
	v_and_b32_e32 v1, 0x700000, v1
	s_delay_alu instid0(VALU_DEP_3) | instskip(NEXT) | instid1(VALU_DEP_1)
	v_and_b32_e32 v2, 0x80000000, v2
	v_or3_b32 v0, v1, v2, v0
.LBB448_646:                            ;   in Loop: Header=BB448_13 Depth=1
	s_or_b32 exec_lo, exec_lo, s23
.LBB448_647:                            ;   in Loop: Header=BB448_13 Depth=1
	s_delay_alu instid0(SALU_CYCLE_1)
	s_or_b32 exec_lo, exec_lo, s22
.LBB448_648:                            ;   in Loop: Header=BB448_13 Depth=1
	s_delay_alu instid0(SALU_CYCLE_1) | instskip(NEXT) | instid1(VALU_DEP_1)
	s_or_b32 exec_lo, exec_lo, s21
	v_mul_f32_e32 v0, v133, v0
                                        ; implicit-def: $vgpr88
	s_delay_alu instid0(VALU_DEP_1) | instskip(NEXT) | instid1(VALU_DEP_1)
	v_and_b32_e32 v1, 0x7f800000, v0
	v_cmp_ne_u32_e64 s1, 0x7f800000, v1
	s_delay_alu instid0(VALU_DEP_1) | instskip(NEXT) | instid1(SALU_CYCLE_1)
	s_and_saveexec_b32 s21, s1
	s_xor_b32 s1, exec_lo, s21
; %bb.649:                              ;   in Loop: Header=BB448_13 Depth=1
	v_bfe_u32 v1, v0, 16, 1
	s_delay_alu instid0(VALU_DEP_1)
	v_add3_u32 v88, v0, v1, 0x7fff
                                        ; implicit-def: $vgpr0
; %bb.650:                              ;   in Loop: Header=BB448_13 Depth=1
	s_and_not1_saveexec_b32 s21, s1
; %bb.651:                              ;   in Loop: Header=BB448_13 Depth=1
	v_and_b32_e32 v1, 0xffff, v0
	v_or_b32_e32 v2, 0x10000, v0
	s_delay_alu instid0(VALU_DEP_2) | instskip(NEXT) | instid1(VALU_DEP_1)
	v_cmp_eq_u32_e64 s1, 0, v1
	v_cndmask_b32_e64 v88, v2, v0, s1
; %bb.652:                              ;   in Loop: Header=BB448_13 Depth=1
	s_or_b32 exec_lo, exec_lo, s21
	v_lshrrev_b16 v1, 8, v18
	v_mov_b32_e32 v0, 0
	s_mov_b32 s21, exec_lo
	s_delay_alu instid0(VALU_DEP_2)
	v_cmpx_ne_u16_e32 0, v1
	s_cbranch_execz .LBB448_660
; %bb.653:                              ;   in Loop: Header=BB448_13 Depth=1
	v_bfrev_b32_e32 v0, 1
	s_mov_b32 s22, exec_lo
	v_cmpx_ne_u16_e32 0x80, v1
	s_cbranch_execz .LBB448_659
; %bb.654:                              ;   in Loop: Header=BB448_13 Depth=1
	v_and_b32_e32 v2, 0xffff, v1
	v_mov_b32_e32 v0, 0x7f800001
	s_mov_b32 s23, exec_lo
	s_delay_alu instid0(VALU_DEP_2) | instskip(NEXT) | instid1(VALU_DEP_1)
	v_and_b32_e32 v1, 0x7f, v2
	v_cmpx_ne_u32_e32 0x7f, v1
	s_cbranch_execz .LBB448_658
; %bb.655:                              ;   in Loop: Header=BB448_13 Depth=1
	v_dual_mov_b32 v34, v19 :: v_dual_and_b32 v33, 7, v2
	v_lshrrev_b32_e32 v0, 3, v1
	s_mov_b32 s24, exec_lo
	v_cmpx_gt_u32_e32 8, v1
; %bb.656:                              ;   in Loop: Header=BB448_13 Depth=1
	s_delay_alu instid0(VALU_DEP_3) | instskip(NEXT) | instid1(VALU_DEP_1)
	v_clz_i32_u32_e32 v0, v33
	v_min_u32_e32 v0, 32, v0
	s_delay_alu instid0(VALU_DEP_1) | instskip(SKIP_1) | instid1(VALU_DEP_2)
	v_subrev_nc_u32_e32 v1, 28, v0
	v_sub_nc_u32_e32 v0, 29, v0
	v_lshlrev_b64 v[1:2], v1, v[33:34]
	s_delay_alu instid0(VALU_DEP_1)
	v_and_b32_e32 v33, 7, v1
; %bb.657:                              ;   in Loop: Header=BB448_13 Depth=1
	s_or_b32 exec_lo, exec_lo, s24
	v_lshlrev_b32_e32 v1, 16, v18
	s_delay_alu instid0(VALU_DEP_2) | instskip(SKIP_1) | instid1(VALU_DEP_3)
	v_lshlrev_b32_e32 v2, 20, v33
	v_lshl_add_u32 v0, v0, 23, 0x3c000000
	v_and_b32_e32 v1, 0x80000000, v1
	s_delay_alu instid0(VALU_DEP_1)
	v_or3_b32 v0, v2, v1, v0
.LBB448_658:                            ;   in Loop: Header=BB448_13 Depth=1
	s_or_b32 exec_lo, exec_lo, s23
.LBB448_659:                            ;   in Loop: Header=BB448_13 Depth=1
	s_delay_alu instid0(SALU_CYCLE_1)
	s_or_b32 exec_lo, exec_lo, s22
.LBB448_660:                            ;   in Loop: Header=BB448_13 Depth=1
	s_delay_alu instid0(SALU_CYCLE_1) | instskip(NEXT) | instid1(VALU_DEP_1)
	s_or_b32 exec_lo, exec_lo, s21
	v_mul_f32_e32 v0, v133, v0
                                        ; implicit-def: $vgpr89
	s_delay_alu instid0(VALU_DEP_1) | instskip(NEXT) | instid1(VALU_DEP_1)
	v_and_b32_e32 v1, 0x7f800000, v0
	v_cmp_ne_u32_e64 s1, 0x7f800000, v1
	s_delay_alu instid0(VALU_DEP_1) | instskip(NEXT) | instid1(SALU_CYCLE_1)
	s_and_saveexec_b32 s21, s1
	s_xor_b32 s1, exec_lo, s21
; %bb.661:                              ;   in Loop: Header=BB448_13 Depth=1
	v_bfe_u32 v1, v0, 16, 1
	s_delay_alu instid0(VALU_DEP_1)
	v_add3_u32 v89, v0, v1, 0x7fff
                                        ; implicit-def: $vgpr0
; %bb.662:                              ;   in Loop: Header=BB448_13 Depth=1
	s_and_not1_saveexec_b32 s21, s1
; %bb.663:                              ;   in Loop: Header=BB448_13 Depth=1
	v_and_b32_e32 v1, 0xffff, v0
	v_or_b32_e32 v2, 0x10000, v0
	s_delay_alu instid0(VALU_DEP_2) | instskip(NEXT) | instid1(VALU_DEP_1)
	v_cmp_eq_u32_e64 s1, 0, v1
	v_cndmask_b32_e64 v89, v2, v0, s1
; %bb.664:                              ;   in Loop: Header=BB448_13 Depth=1
	s_or_b32 exec_lo, exec_lo, s21
	v_lshrrev_b32_e32 v0, 16, v32
	s_mov_b32 s21, exec_lo
	s_delay_alu instid0(VALU_DEP_1) | instskip(NEXT) | instid1(VALU_DEP_1)
	v_dual_mov_b32 v1, 0 :: v_dual_and_b32 v2, 0xff, v0
	v_cmpx_ne_u16_e32 0, v2
	s_cbranch_execz .LBB448_672
; %bb.665:                              ;   in Loop: Header=BB448_13 Depth=1
	v_bfrev_b32_e32 v1, 1
	s_mov_b32 s22, exec_lo
	v_cmpx_ne_u16_e32 0x80, v2
	s_cbranch_execz .LBB448_671
; %bb.666:                              ;   in Loop: Header=BB448_13 Depth=1
	v_bfe_u32 v2, v32, 16, 7
	v_mov_b32_e32 v1, 0x7f800001
	s_mov_b32 s23, exec_lo
	s_delay_alu instid0(VALU_DEP_2)
	v_cmpx_ne_u32_e32 0x7f, v2
	s_cbranch_execz .LBB448_670
; %bb.667:                              ;   in Loop: Header=BB448_13 Depth=1
	v_and_b32_e32 v18, 7, v0
	v_lshrrev_b32_e32 v1, 3, v2
	v_mov_b32_e32 v34, v19
	s_mov_b32 s24, exec_lo
	s_delay_alu instid0(VALU_DEP_3)
	v_mov_b32_e32 v33, v18
	v_cmpx_gt_u32_e32 8, v2
; %bb.668:                              ;   in Loop: Header=BB448_13 Depth=1
	v_clz_i32_u32_e32 v1, v18
	s_delay_alu instid0(VALU_DEP_1) | instskip(NEXT) | instid1(VALU_DEP_1)
	v_min_u32_e32 v1, 32, v1
	v_subrev_nc_u32_e32 v2, 28, v1
	v_sub_nc_u32_e32 v1, 29, v1
	s_delay_alu instid0(VALU_DEP_2) | instskip(NEXT) | instid1(VALU_DEP_1)
	v_lshlrev_b64 v[2:3], v2, v[18:19]
	v_and_b32_e32 v33, 7, v2
; %bb.669:                              ;   in Loop: Header=BB448_13 Depth=1
	s_or_b32 exec_lo, exec_lo, s24
	v_lshlrev_b32_e32 v0, 24, v0
	s_delay_alu instid0(VALU_DEP_2) | instskip(SKIP_1) | instid1(VALU_DEP_3)
	v_lshlrev_b32_e32 v2, 20, v33
	v_lshl_add_u32 v1, v1, 23, 0x3c000000
	v_and_b32_e32 v0, 0x80000000, v0
	s_delay_alu instid0(VALU_DEP_1)
	v_or3_b32 v1, v2, v0, v1
.LBB448_670:                            ;   in Loop: Header=BB448_13 Depth=1
	s_or_b32 exec_lo, exec_lo, s23
.LBB448_671:                            ;   in Loop: Header=BB448_13 Depth=1
	s_delay_alu instid0(SALU_CYCLE_1)
	s_or_b32 exec_lo, exec_lo, s22
.LBB448_672:                            ;   in Loop: Header=BB448_13 Depth=1
	s_delay_alu instid0(SALU_CYCLE_1) | instskip(NEXT) | instid1(VALU_DEP_1)
	s_or_b32 exec_lo, exec_lo, s21
	v_mul_f32_e32 v0, v133, v1
                                        ; implicit-def: $vgpr90
	s_delay_alu instid0(VALU_DEP_1) | instskip(NEXT) | instid1(VALU_DEP_1)
	v_and_b32_e32 v1, 0x7f800000, v0
	v_cmp_ne_u32_e64 s1, 0x7f800000, v1
	s_delay_alu instid0(VALU_DEP_1) | instskip(NEXT) | instid1(SALU_CYCLE_1)
	s_and_saveexec_b32 s21, s1
	s_xor_b32 s1, exec_lo, s21
; %bb.673:                              ;   in Loop: Header=BB448_13 Depth=1
	v_bfe_u32 v1, v0, 16, 1
	s_delay_alu instid0(VALU_DEP_1)
	v_add3_u32 v90, v0, v1, 0x7fff
                                        ; implicit-def: $vgpr0
; %bb.674:                              ;   in Loop: Header=BB448_13 Depth=1
	s_and_not1_saveexec_b32 s21, s1
; %bb.675:                              ;   in Loop: Header=BB448_13 Depth=1
	v_and_b32_e32 v1, 0xffff, v0
	v_or_b32_e32 v2, 0x10000, v0
	s_delay_alu instid0(VALU_DEP_2) | instskip(NEXT) | instid1(VALU_DEP_1)
	v_cmp_eq_u32_e64 s1, 0, v1
	v_cndmask_b32_e64 v90, v2, v0, s1
; %bb.676:                              ;   in Loop: Header=BB448_13 Depth=1
	s_or_b32 exec_lo, exec_lo, s21
	v_mov_b32_e32 v1, 0
	s_mov_b32 s21, exec_lo
	v_cmpx_lt_u64_e64 s[16:17], v[31:32]
	s_cbranch_execz .LBB448_684
; %bb.677:                              ;   in Loop: Header=BB448_13 Depth=1
	v_lshrrev_b32_e32 v0, 24, v32
	v_bfrev_b32_e32 v1, 1
	s_mov_b32 s22, exec_lo
	s_delay_alu instid0(VALU_DEP_2)
	v_cmpx_ne_u32_e32 0x80, v0
	s_cbranch_execz .LBB448_683
; %bb.678:                              ;   in Loop: Header=BB448_13 Depth=1
	v_bfe_u32 v2, v32, 24, 7
	v_mov_b32_e32 v1, 0x7f800001
	s_mov_b32 s23, exec_lo
	s_delay_alu instid0(VALU_DEP_2)
	v_cmpx_ne_u32_e32 0x7f, v2
	s_cbranch_execz .LBB448_682
; %bb.679:                              ;   in Loop: Header=BB448_13 Depth=1
	v_and_b32_e32 v18, 7, v0
	v_lshrrev_b32_e32 v1, 3, v2
	v_mov_b32_e32 v32, v19
	s_mov_b32 s24, exec_lo
	s_delay_alu instid0(VALU_DEP_3)
	v_mov_b32_e32 v31, v18
	v_cmpx_gt_u32_e32 8, v2
; %bb.680:                              ;   in Loop: Header=BB448_13 Depth=1
	v_clz_i32_u32_e32 v1, v18
	s_delay_alu instid0(VALU_DEP_1) | instskip(NEXT) | instid1(VALU_DEP_1)
	v_min_u32_e32 v1, 32, v1
	v_subrev_nc_u32_e32 v2, 28, v1
	v_sub_nc_u32_e32 v1, 29, v1
	s_delay_alu instid0(VALU_DEP_2) | instskip(NEXT) | instid1(VALU_DEP_1)
	v_lshlrev_b64 v[2:3], v2, v[18:19]
	v_and_b32_e32 v31, 7, v2
; %bb.681:                              ;   in Loop: Header=BB448_13 Depth=1
	s_or_b32 exec_lo, exec_lo, s24
	v_lshlrev_b32_e32 v0, 24, v0
	s_delay_alu instid0(VALU_DEP_2) | instskip(SKIP_1) | instid1(VALU_DEP_3)
	v_lshlrev_b32_e32 v2, 20, v31
	v_lshl_add_u32 v1, v1, 23, 0x3c000000
	v_and_b32_e32 v0, 0x80000000, v0
	s_delay_alu instid0(VALU_DEP_1)
	v_or3_b32 v1, v2, v0, v1
.LBB448_682:                            ;   in Loop: Header=BB448_13 Depth=1
	s_or_b32 exec_lo, exec_lo, s23
.LBB448_683:                            ;   in Loop: Header=BB448_13 Depth=1
	s_delay_alu instid0(SALU_CYCLE_1)
	s_or_b32 exec_lo, exec_lo, s22
.LBB448_684:                            ;   in Loop: Header=BB448_13 Depth=1
	s_delay_alu instid0(SALU_CYCLE_1) | instskip(NEXT) | instid1(VALU_DEP_1)
	s_or_b32 exec_lo, exec_lo, s21
	v_mul_f32_e32 v0, v133, v1
                                        ; implicit-def: $vgpr91
	s_delay_alu instid0(VALU_DEP_1) | instskip(NEXT) | instid1(VALU_DEP_1)
	v_and_b32_e32 v1, 0x7f800000, v0
	v_cmp_ne_u32_e64 s1, 0x7f800000, v1
	s_delay_alu instid0(VALU_DEP_1) | instskip(NEXT) | instid1(SALU_CYCLE_1)
	s_and_saveexec_b32 s21, s1
	s_xor_b32 s1, exec_lo, s21
; %bb.685:                              ;   in Loop: Header=BB448_13 Depth=1
	v_bfe_u32 v1, v0, 16, 1
	s_delay_alu instid0(VALU_DEP_1)
	v_add3_u32 v91, v0, v1, 0x7fff
                                        ; implicit-def: $vgpr0
; %bb.686:                              ;   in Loop: Header=BB448_13 Depth=1
	s_and_not1_saveexec_b32 s21, s1
; %bb.687:                              ;   in Loop: Header=BB448_13 Depth=1
	v_and_b32_e32 v1, 0xffff, v0
	v_or_b32_e32 v2, 0x10000, v0
	s_delay_alu instid0(VALU_DEP_2) | instskip(NEXT) | instid1(VALU_DEP_1)
	v_cmp_eq_u32_e64 s1, 0, v1
	v_cndmask_b32_e64 v91, v2, v0, s1
; %bb.688:                              ;   in Loop: Header=BB448_13 Depth=1
	s_or_b32 exec_lo, exec_lo, s21
	flat_load_b64 v[31:32], v[28:29] offset:1544
	s_mov_b32 s21, exec_lo
	s_waitcnt vmcnt(0) lgkmcnt(0)
	v_dual_mov_b32 v0, 0 :: v_dual_and_b32 v1, 0xff, v31
	s_delay_alu instid0(VALU_DEP_1)
	v_cmpx_ne_u16_e32 0, v1
	s_cbranch_execz .LBB448_696
; %bb.689:                              ;   in Loop: Header=BB448_13 Depth=1
	v_bfrev_b32_e32 v0, 1
	s_mov_b32 s22, exec_lo
	v_cmpx_ne_u16_e32 0x80, v1
	s_cbranch_execz .LBB448_695
; %bb.690:                              ;   in Loop: Header=BB448_13 Depth=1
	v_and_b32_e32 v1, 0x7f, v31
	v_mov_b32_e32 v0, 0x7f800001
	s_mov_b32 s23, exec_lo
	s_delay_alu instid0(VALU_DEP_2)
	v_cmpx_ne_u32_e32 0x7f, v1
	s_cbranch_execz .LBB448_694
; %bb.691:                              ;   in Loop: Header=BB448_13 Depth=1
	v_lshrrev_b32_e32 v0, 3, v1
	v_dual_mov_b32 v34, v32 :: v_dual_mov_b32 v33, v31
	s_mov_b32 s24, exec_lo
	v_cmpx_gt_u32_e32 8, v1
; %bb.692:                              ;   in Loop: Header=BB448_13 Depth=1
	v_and_b32_e32 v0, 7, v31
	s_delay_alu instid0(VALU_DEP_1) | instskip(NEXT) | instid1(VALU_DEP_1)
	v_clz_i32_u32_e32 v0, v0
	v_min_u32_e32 v0, 32, v0
	s_delay_alu instid0(VALU_DEP_1) | instskip(SKIP_1) | instid1(VALU_DEP_2)
	v_subrev_nc_u32_e32 v1, 28, v0
	v_sub_nc_u32_e32 v0, 29, v0
	v_lshlrev_b64 v[33:34], v1, v[31:32]
; %bb.693:                              ;   in Loop: Header=BB448_13 Depth=1
	s_or_b32 exec_lo, exec_lo, s24
	s_delay_alu instid0(VALU_DEP_1) | instskip(SKIP_2) | instid1(VALU_DEP_3)
	v_lshlrev_b32_e32 v1, 20, v33
	v_lshlrev_b32_e32 v2, 24, v31
	v_lshl_add_u32 v0, v0, 23, 0x3c000000
	v_and_b32_e32 v1, 0x700000, v1
	s_delay_alu instid0(VALU_DEP_3) | instskip(NEXT) | instid1(VALU_DEP_1)
	v_and_b32_e32 v2, 0x80000000, v2
	v_or3_b32 v0, v1, v2, v0
.LBB448_694:                            ;   in Loop: Header=BB448_13 Depth=1
	s_or_b32 exec_lo, exec_lo, s23
.LBB448_695:                            ;   in Loop: Header=BB448_13 Depth=1
	s_delay_alu instid0(SALU_CYCLE_1)
	s_or_b32 exec_lo, exec_lo, s22
.LBB448_696:                            ;   in Loop: Header=BB448_13 Depth=1
	s_delay_alu instid0(SALU_CYCLE_1) | instskip(NEXT) | instid1(VALU_DEP_1)
	s_or_b32 exec_lo, exec_lo, s21
	v_mul_f32_e32 v0, v133, v0
                                        ; implicit-def: $vgpr92
	s_delay_alu instid0(VALU_DEP_1) | instskip(NEXT) | instid1(VALU_DEP_1)
	v_and_b32_e32 v1, 0x7f800000, v0
	v_cmp_ne_u32_e64 s1, 0x7f800000, v1
	s_delay_alu instid0(VALU_DEP_1) | instskip(NEXT) | instid1(SALU_CYCLE_1)
	s_and_saveexec_b32 s21, s1
	s_xor_b32 s1, exec_lo, s21
; %bb.697:                              ;   in Loop: Header=BB448_13 Depth=1
	v_bfe_u32 v1, v0, 16, 1
	s_delay_alu instid0(VALU_DEP_1)
	v_add3_u32 v92, v0, v1, 0x7fff
                                        ; implicit-def: $vgpr0
; %bb.698:                              ;   in Loop: Header=BB448_13 Depth=1
	s_and_not1_saveexec_b32 s21, s1
; %bb.699:                              ;   in Loop: Header=BB448_13 Depth=1
	v_and_b32_e32 v1, 0xffff, v0
	v_or_b32_e32 v2, 0x10000, v0
	s_delay_alu instid0(VALU_DEP_2) | instskip(NEXT) | instid1(VALU_DEP_1)
	v_cmp_eq_u32_e64 s1, 0, v1
	v_cndmask_b32_e64 v92, v2, v0, s1
; %bb.700:                              ;   in Loop: Header=BB448_13 Depth=1
	s_or_b32 exec_lo, exec_lo, s21
	v_lshrrev_b16 v1, 8, v31
	v_mov_b32_e32 v0, 0
	s_mov_b32 s21, exec_lo
	s_delay_alu instid0(VALU_DEP_2)
	v_cmpx_ne_u16_e32 0, v1
	s_cbranch_execz .LBB448_708
; %bb.701:                              ;   in Loop: Header=BB448_13 Depth=1
	v_bfrev_b32_e32 v0, 1
	s_mov_b32 s22, exec_lo
	v_cmpx_ne_u16_e32 0x80, v1
	s_cbranch_execz .LBB448_707
; %bb.702:                              ;   in Loop: Header=BB448_13 Depth=1
	v_and_b32_e32 v2, 0xffff, v1
	v_mov_b32_e32 v0, 0x7f800001
	s_mov_b32 s23, exec_lo
	s_delay_alu instid0(VALU_DEP_2) | instskip(NEXT) | instid1(VALU_DEP_1)
	v_and_b32_e32 v1, 0x7f, v2
	v_cmpx_ne_u32_e32 0x7f, v1
	s_cbranch_execz .LBB448_706
; %bb.703:                              ;   in Loop: Header=BB448_13 Depth=1
	v_and_b32_e32 v18, 7, v2
	v_lshrrev_b32_e32 v0, 3, v1
	v_mov_b32_e32 v34, v19
	s_mov_b32 s24, exec_lo
	s_delay_alu instid0(VALU_DEP_3)
	v_mov_b32_e32 v33, v18
	v_cmpx_gt_u32_e32 8, v1
; %bb.704:                              ;   in Loop: Header=BB448_13 Depth=1
	v_clz_i32_u32_e32 v0, v18
	s_delay_alu instid0(VALU_DEP_1) | instskip(NEXT) | instid1(VALU_DEP_1)
	v_min_u32_e32 v0, 32, v0
	v_subrev_nc_u32_e32 v1, 28, v0
	v_sub_nc_u32_e32 v0, 29, v0
	s_delay_alu instid0(VALU_DEP_2) | instskip(NEXT) | instid1(VALU_DEP_1)
	v_lshlrev_b64 v[1:2], v1, v[18:19]
	v_and_b32_e32 v33, 7, v1
; %bb.705:                              ;   in Loop: Header=BB448_13 Depth=1
	s_or_b32 exec_lo, exec_lo, s24
	v_lshlrev_b32_e32 v1, 16, v31
	s_delay_alu instid0(VALU_DEP_2) | instskip(SKIP_1) | instid1(VALU_DEP_3)
	v_lshlrev_b32_e32 v2, 20, v33
	v_lshl_add_u32 v0, v0, 23, 0x3c000000
	v_and_b32_e32 v1, 0x80000000, v1
	s_delay_alu instid0(VALU_DEP_1)
	v_or3_b32 v0, v2, v1, v0
.LBB448_706:                            ;   in Loop: Header=BB448_13 Depth=1
	s_or_b32 exec_lo, exec_lo, s23
.LBB448_707:                            ;   in Loop: Header=BB448_13 Depth=1
	s_delay_alu instid0(SALU_CYCLE_1)
	s_or_b32 exec_lo, exec_lo, s22
.LBB448_708:                            ;   in Loop: Header=BB448_13 Depth=1
	s_delay_alu instid0(SALU_CYCLE_1) | instskip(NEXT) | instid1(VALU_DEP_1)
	s_or_b32 exec_lo, exec_lo, s21
	v_mul_f32_e32 v0, v133, v0
                                        ; implicit-def: $vgpr93
	s_delay_alu instid0(VALU_DEP_1) | instskip(NEXT) | instid1(VALU_DEP_1)
	v_and_b32_e32 v1, 0x7f800000, v0
	v_cmp_ne_u32_e64 s1, 0x7f800000, v1
	s_delay_alu instid0(VALU_DEP_1) | instskip(NEXT) | instid1(SALU_CYCLE_1)
	s_and_saveexec_b32 s21, s1
	s_xor_b32 s1, exec_lo, s21
; %bb.709:                              ;   in Loop: Header=BB448_13 Depth=1
	v_bfe_u32 v1, v0, 16, 1
	s_delay_alu instid0(VALU_DEP_1)
	v_add3_u32 v93, v0, v1, 0x7fff
                                        ; implicit-def: $vgpr0
; %bb.710:                              ;   in Loop: Header=BB448_13 Depth=1
	s_and_not1_saveexec_b32 s21, s1
; %bb.711:                              ;   in Loop: Header=BB448_13 Depth=1
	v_and_b32_e32 v1, 0xffff, v0
	v_or_b32_e32 v2, 0x10000, v0
	s_delay_alu instid0(VALU_DEP_2) | instskip(NEXT) | instid1(VALU_DEP_1)
	v_cmp_eq_u32_e64 s1, 0, v1
	v_cndmask_b32_e64 v93, v2, v0, s1
; %bb.712:                              ;   in Loop: Header=BB448_13 Depth=1
	s_or_b32 exec_lo, exec_lo, s21
	v_lshrrev_b32_e32 v0, 16, v31
	s_mov_b32 s21, exec_lo
	s_delay_alu instid0(VALU_DEP_1) | instskip(NEXT) | instid1(VALU_DEP_1)
	v_dual_mov_b32 v1, 0 :: v_dual_and_b32 v2, 0xff, v0
	v_cmpx_ne_u16_e32 0, v2
	s_cbranch_execz .LBB448_720
; %bb.713:                              ;   in Loop: Header=BB448_13 Depth=1
	v_bfrev_b32_e32 v1, 1
	s_mov_b32 s22, exec_lo
	v_cmpx_ne_u16_e32 0x80, v2
	s_cbranch_execz .LBB448_719
; %bb.714:                              ;   in Loop: Header=BB448_13 Depth=1
	v_bfe_u32 v2, v31, 16, 7
	v_mov_b32_e32 v1, 0x7f800001
	s_mov_b32 s23, exec_lo
	s_delay_alu instid0(VALU_DEP_2)
	v_cmpx_ne_u32_e32 0x7f, v2
	s_cbranch_execz .LBB448_718
; %bb.715:                              ;   in Loop: Header=BB448_13 Depth=1
	v_and_b32_e32 v18, 7, v0
	v_lshrrev_b32_e32 v1, 3, v2
	v_mov_b32_e32 v34, v19
	s_mov_b32 s24, exec_lo
	s_delay_alu instid0(VALU_DEP_3)
	v_mov_b32_e32 v33, v18
	v_cmpx_gt_u32_e32 8, v2
; %bb.716:                              ;   in Loop: Header=BB448_13 Depth=1
	v_clz_i32_u32_e32 v1, v18
	s_delay_alu instid0(VALU_DEP_1) | instskip(NEXT) | instid1(VALU_DEP_1)
	v_min_u32_e32 v1, 32, v1
	v_subrev_nc_u32_e32 v2, 28, v1
	v_sub_nc_u32_e32 v1, 29, v1
	s_delay_alu instid0(VALU_DEP_2) | instskip(NEXT) | instid1(VALU_DEP_1)
	v_lshlrev_b64 v[2:3], v2, v[18:19]
	v_and_b32_e32 v33, 7, v2
; %bb.717:                              ;   in Loop: Header=BB448_13 Depth=1
	s_or_b32 exec_lo, exec_lo, s24
	v_lshlrev_b32_e32 v0, 24, v0
	s_delay_alu instid0(VALU_DEP_2) | instskip(SKIP_1) | instid1(VALU_DEP_3)
	v_lshlrev_b32_e32 v2, 20, v33
	v_lshl_add_u32 v1, v1, 23, 0x3c000000
	v_and_b32_e32 v0, 0x80000000, v0
	s_delay_alu instid0(VALU_DEP_1)
	v_or3_b32 v1, v2, v0, v1
.LBB448_718:                            ;   in Loop: Header=BB448_13 Depth=1
	s_or_b32 exec_lo, exec_lo, s23
.LBB448_719:                            ;   in Loop: Header=BB448_13 Depth=1
	s_delay_alu instid0(SALU_CYCLE_1)
	s_or_b32 exec_lo, exec_lo, s22
.LBB448_720:                            ;   in Loop: Header=BB448_13 Depth=1
	s_delay_alu instid0(SALU_CYCLE_1) | instskip(NEXT) | instid1(VALU_DEP_1)
	s_or_b32 exec_lo, exec_lo, s21
	v_mul_f32_e32 v0, v133, v1
                                        ; implicit-def: $vgpr94
	s_delay_alu instid0(VALU_DEP_1) | instskip(NEXT) | instid1(VALU_DEP_1)
	v_and_b32_e32 v1, 0x7f800000, v0
	v_cmp_ne_u32_e64 s1, 0x7f800000, v1
	s_delay_alu instid0(VALU_DEP_1) | instskip(NEXT) | instid1(SALU_CYCLE_1)
	s_and_saveexec_b32 s21, s1
	s_xor_b32 s1, exec_lo, s21
; %bb.721:                              ;   in Loop: Header=BB448_13 Depth=1
	v_bfe_u32 v1, v0, 16, 1
	s_delay_alu instid0(VALU_DEP_1)
	v_add3_u32 v94, v0, v1, 0x7fff
                                        ; implicit-def: $vgpr0
; %bb.722:                              ;   in Loop: Header=BB448_13 Depth=1
	s_and_not1_saveexec_b32 s21, s1
; %bb.723:                              ;   in Loop: Header=BB448_13 Depth=1
	v_and_b32_e32 v1, 0xffff, v0
	v_or_b32_e32 v2, 0x10000, v0
	s_delay_alu instid0(VALU_DEP_2) | instskip(NEXT) | instid1(VALU_DEP_1)
	v_cmp_eq_u32_e64 s1, 0, v1
	v_cndmask_b32_e64 v94, v2, v0, s1
; %bb.724:                              ;   in Loop: Header=BB448_13 Depth=1
	s_or_b32 exec_lo, exec_lo, s21
	v_mov_b32_e32 v1, 0
	s_mov_b32 s21, exec_lo
	v_cmpx_lt_u32_e32 0xffffff, v31
	s_cbranch_execz .LBB448_732
; %bb.725:                              ;   in Loop: Header=BB448_13 Depth=1
	v_lshrrev_b32_e32 v0, 24, v31
	v_bfrev_b32_e32 v1, 1
	s_mov_b32 s22, exec_lo
	s_delay_alu instid0(VALU_DEP_2)
	v_cmpx_ne_u32_e32 0x80, v0
	s_cbranch_execz .LBB448_731
; %bb.726:                              ;   in Loop: Header=BB448_13 Depth=1
	v_bfe_u32 v2, v31, 24, 7
	v_mov_b32_e32 v1, 0x7f800001
	s_mov_b32 s23, exec_lo
	s_delay_alu instid0(VALU_DEP_2)
	v_cmpx_ne_u32_e32 0x7f, v2
	s_cbranch_execz .LBB448_730
; %bb.727:                              ;   in Loop: Header=BB448_13 Depth=1
	v_and_b32_e32 v18, 7, v0
	v_lshrrev_b32_e32 v1, 3, v2
	v_mov_b32_e32 v34, v19
	s_mov_b32 s24, exec_lo
	s_delay_alu instid0(VALU_DEP_3)
	v_mov_b32_e32 v33, v18
	v_cmpx_gt_u32_e32 8, v2
; %bb.728:                              ;   in Loop: Header=BB448_13 Depth=1
	v_clz_i32_u32_e32 v1, v18
	s_delay_alu instid0(VALU_DEP_1) | instskip(NEXT) | instid1(VALU_DEP_1)
	v_min_u32_e32 v1, 32, v1
	v_subrev_nc_u32_e32 v2, 28, v1
	v_sub_nc_u32_e32 v1, 29, v1
	s_delay_alu instid0(VALU_DEP_2) | instskip(NEXT) | instid1(VALU_DEP_1)
	v_lshlrev_b64 v[2:3], v2, v[18:19]
	v_and_b32_e32 v33, 7, v2
; %bb.729:                              ;   in Loop: Header=BB448_13 Depth=1
	s_or_b32 exec_lo, exec_lo, s24
	v_lshlrev_b32_e32 v0, 24, v0
	s_delay_alu instid0(VALU_DEP_2) | instskip(SKIP_1) | instid1(VALU_DEP_3)
	v_lshlrev_b32_e32 v2, 20, v33
	v_lshl_add_u32 v1, v1, 23, 0x3c000000
	v_and_b32_e32 v0, 0x80000000, v0
	s_delay_alu instid0(VALU_DEP_1)
	v_or3_b32 v1, v2, v0, v1
.LBB448_730:                            ;   in Loop: Header=BB448_13 Depth=1
	s_or_b32 exec_lo, exec_lo, s23
.LBB448_731:                            ;   in Loop: Header=BB448_13 Depth=1
	s_delay_alu instid0(SALU_CYCLE_1)
	s_or_b32 exec_lo, exec_lo, s22
.LBB448_732:                            ;   in Loop: Header=BB448_13 Depth=1
	s_delay_alu instid0(SALU_CYCLE_1) | instskip(NEXT) | instid1(VALU_DEP_1)
	s_or_b32 exec_lo, exec_lo, s21
	v_mul_f32_e32 v0, v133, v1
                                        ; implicit-def: $vgpr95
	s_delay_alu instid0(VALU_DEP_1) | instskip(NEXT) | instid1(VALU_DEP_1)
	v_and_b32_e32 v1, 0x7f800000, v0
	v_cmp_ne_u32_e64 s1, 0x7f800000, v1
	s_delay_alu instid0(VALU_DEP_1) | instskip(NEXT) | instid1(SALU_CYCLE_1)
	s_and_saveexec_b32 s21, s1
	s_xor_b32 s1, exec_lo, s21
; %bb.733:                              ;   in Loop: Header=BB448_13 Depth=1
	v_bfe_u32 v1, v0, 16, 1
	s_delay_alu instid0(VALU_DEP_1)
	v_add3_u32 v95, v0, v1, 0x7fff
                                        ; implicit-def: $vgpr0
; %bb.734:                              ;   in Loop: Header=BB448_13 Depth=1
	s_and_not1_saveexec_b32 s21, s1
; %bb.735:                              ;   in Loop: Header=BB448_13 Depth=1
	v_and_b32_e32 v1, 0xffff, v0
	v_or_b32_e32 v2, 0x10000, v0
	s_delay_alu instid0(VALU_DEP_2) | instskip(NEXT) | instid1(VALU_DEP_1)
	v_cmp_eq_u32_e64 s1, 0, v1
	v_cndmask_b32_e64 v95, v2, v0, s1
; %bb.736:                              ;   in Loop: Header=BB448_13 Depth=1
	s_or_b32 exec_lo, exec_lo, s21
	v_dual_mov_b32 v18, v32 :: v_dual_and_b32 v1, 0xff, v32
	v_mov_b32_e32 v0, 0
	s_mov_b32 s21, exec_lo
	s_delay_alu instid0(VALU_DEP_2)
	v_cmpx_ne_u16_e32 0, v1
	s_cbranch_execz .LBB448_744
; %bb.737:                              ;   in Loop: Header=BB448_13 Depth=1
	v_bfrev_b32_e32 v0, 1
	s_mov_b32 s22, exec_lo
	v_cmpx_ne_u16_e32 0x80, v1
	s_cbranch_execz .LBB448_743
; %bb.738:                              ;   in Loop: Header=BB448_13 Depth=1
	v_and_b32_e32 v1, 0x7f, v32
	v_mov_b32_e32 v0, 0x7f800001
	s_mov_b32 s23, exec_lo
	s_delay_alu instid0(VALU_DEP_2)
	v_cmpx_ne_u32_e32 0x7f, v1
	s_cbranch_execz .LBB448_742
; %bb.739:                              ;   in Loop: Header=BB448_13 Depth=1
	v_lshrrev_b32_e32 v0, 3, v1
	v_dual_mov_b32 v34, v19 :: v_dual_mov_b32 v33, v18
	s_mov_b32 s24, exec_lo
	v_cmpx_gt_u32_e32 8, v1
; %bb.740:                              ;   in Loop: Header=BB448_13 Depth=1
	v_and_b32_e32 v0, 7, v32
	s_delay_alu instid0(VALU_DEP_1) | instskip(NEXT) | instid1(VALU_DEP_1)
	v_clz_i32_u32_e32 v0, v0
	v_min_u32_e32 v0, 32, v0
	s_delay_alu instid0(VALU_DEP_1) | instskip(SKIP_1) | instid1(VALU_DEP_2)
	v_subrev_nc_u32_e32 v1, 28, v0
	v_sub_nc_u32_e32 v0, 29, v0
	v_lshlrev_b64 v[33:34], v1, v[18:19]
; %bb.741:                              ;   in Loop: Header=BB448_13 Depth=1
	s_or_b32 exec_lo, exec_lo, s24
	s_delay_alu instid0(VALU_DEP_1) | instskip(SKIP_2) | instid1(VALU_DEP_3)
	v_lshlrev_b32_e32 v1, 20, v33
	v_lshlrev_b32_e32 v2, 24, v18
	v_lshl_add_u32 v0, v0, 23, 0x3c000000
	v_and_b32_e32 v1, 0x700000, v1
	s_delay_alu instid0(VALU_DEP_3) | instskip(NEXT) | instid1(VALU_DEP_1)
	v_and_b32_e32 v2, 0x80000000, v2
	v_or3_b32 v0, v1, v2, v0
.LBB448_742:                            ;   in Loop: Header=BB448_13 Depth=1
	s_or_b32 exec_lo, exec_lo, s23
.LBB448_743:                            ;   in Loop: Header=BB448_13 Depth=1
	s_delay_alu instid0(SALU_CYCLE_1)
	s_or_b32 exec_lo, exec_lo, s22
.LBB448_744:                            ;   in Loop: Header=BB448_13 Depth=1
	s_delay_alu instid0(SALU_CYCLE_1) | instskip(NEXT) | instid1(VALU_DEP_1)
	s_or_b32 exec_lo, exec_lo, s21
	v_mul_f32_e32 v0, v133, v0
                                        ; implicit-def: $vgpr104
	s_delay_alu instid0(VALU_DEP_1) | instskip(NEXT) | instid1(VALU_DEP_1)
	v_and_b32_e32 v1, 0x7f800000, v0
	v_cmp_ne_u32_e64 s1, 0x7f800000, v1
	s_delay_alu instid0(VALU_DEP_1) | instskip(NEXT) | instid1(SALU_CYCLE_1)
	s_and_saveexec_b32 s21, s1
	s_xor_b32 s1, exec_lo, s21
; %bb.745:                              ;   in Loop: Header=BB448_13 Depth=1
	v_bfe_u32 v1, v0, 16, 1
	s_delay_alu instid0(VALU_DEP_1)
	v_add3_u32 v104, v0, v1, 0x7fff
                                        ; implicit-def: $vgpr0
; %bb.746:                              ;   in Loop: Header=BB448_13 Depth=1
	s_and_not1_saveexec_b32 s21, s1
; %bb.747:                              ;   in Loop: Header=BB448_13 Depth=1
	v_and_b32_e32 v1, 0xffff, v0
	v_or_b32_e32 v2, 0x10000, v0
	s_delay_alu instid0(VALU_DEP_2) | instskip(NEXT) | instid1(VALU_DEP_1)
	v_cmp_eq_u32_e64 s1, 0, v1
	v_cndmask_b32_e64 v104, v2, v0, s1
; %bb.748:                              ;   in Loop: Header=BB448_13 Depth=1
	s_or_b32 exec_lo, exec_lo, s21
	v_lshrrev_b16 v1, 8, v18
	v_mov_b32_e32 v0, 0
	s_mov_b32 s21, exec_lo
	s_delay_alu instid0(VALU_DEP_2)
	v_cmpx_ne_u16_e32 0, v1
	s_cbranch_execz .LBB448_756
; %bb.749:                              ;   in Loop: Header=BB448_13 Depth=1
	v_bfrev_b32_e32 v0, 1
	s_mov_b32 s22, exec_lo
	v_cmpx_ne_u16_e32 0x80, v1
	s_cbranch_execz .LBB448_755
; %bb.750:                              ;   in Loop: Header=BB448_13 Depth=1
	v_and_b32_e32 v2, 0xffff, v1
	v_mov_b32_e32 v0, 0x7f800001
	s_mov_b32 s23, exec_lo
	s_delay_alu instid0(VALU_DEP_2) | instskip(NEXT) | instid1(VALU_DEP_1)
	v_and_b32_e32 v1, 0x7f, v2
	v_cmpx_ne_u32_e32 0x7f, v1
	s_cbranch_execz .LBB448_754
; %bb.751:                              ;   in Loop: Header=BB448_13 Depth=1
	v_dual_mov_b32 v34, v19 :: v_dual_and_b32 v33, 7, v2
	v_lshrrev_b32_e32 v0, 3, v1
	s_mov_b32 s24, exec_lo
	v_cmpx_gt_u32_e32 8, v1
; %bb.752:                              ;   in Loop: Header=BB448_13 Depth=1
	s_delay_alu instid0(VALU_DEP_3) | instskip(NEXT) | instid1(VALU_DEP_1)
	v_clz_i32_u32_e32 v0, v33
	v_min_u32_e32 v0, 32, v0
	s_delay_alu instid0(VALU_DEP_1) | instskip(SKIP_1) | instid1(VALU_DEP_2)
	v_subrev_nc_u32_e32 v1, 28, v0
	v_sub_nc_u32_e32 v0, 29, v0
	v_lshlrev_b64 v[1:2], v1, v[33:34]
	s_delay_alu instid0(VALU_DEP_1)
	v_and_b32_e32 v33, 7, v1
; %bb.753:                              ;   in Loop: Header=BB448_13 Depth=1
	s_or_b32 exec_lo, exec_lo, s24
	v_lshlrev_b32_e32 v1, 16, v18
	s_delay_alu instid0(VALU_DEP_2) | instskip(SKIP_1) | instid1(VALU_DEP_3)
	v_lshlrev_b32_e32 v2, 20, v33
	v_lshl_add_u32 v0, v0, 23, 0x3c000000
	v_and_b32_e32 v1, 0x80000000, v1
	s_delay_alu instid0(VALU_DEP_1)
	v_or3_b32 v0, v2, v1, v0
.LBB448_754:                            ;   in Loop: Header=BB448_13 Depth=1
	s_or_b32 exec_lo, exec_lo, s23
.LBB448_755:                            ;   in Loop: Header=BB448_13 Depth=1
	s_delay_alu instid0(SALU_CYCLE_1)
	s_or_b32 exec_lo, exec_lo, s22
.LBB448_756:                            ;   in Loop: Header=BB448_13 Depth=1
	s_delay_alu instid0(SALU_CYCLE_1) | instskip(NEXT) | instid1(VALU_DEP_1)
	s_or_b32 exec_lo, exec_lo, s21
	v_mul_f32_e32 v0, v133, v0
                                        ; implicit-def: $vgpr105
	s_delay_alu instid0(VALU_DEP_1) | instskip(NEXT) | instid1(VALU_DEP_1)
	v_and_b32_e32 v1, 0x7f800000, v0
	v_cmp_ne_u32_e64 s1, 0x7f800000, v1
	s_delay_alu instid0(VALU_DEP_1) | instskip(NEXT) | instid1(SALU_CYCLE_1)
	s_and_saveexec_b32 s21, s1
	s_xor_b32 s1, exec_lo, s21
; %bb.757:                              ;   in Loop: Header=BB448_13 Depth=1
	v_bfe_u32 v1, v0, 16, 1
	s_delay_alu instid0(VALU_DEP_1)
	v_add3_u32 v105, v0, v1, 0x7fff
                                        ; implicit-def: $vgpr0
; %bb.758:                              ;   in Loop: Header=BB448_13 Depth=1
	s_and_not1_saveexec_b32 s21, s1
; %bb.759:                              ;   in Loop: Header=BB448_13 Depth=1
	v_and_b32_e32 v1, 0xffff, v0
	v_or_b32_e32 v2, 0x10000, v0
	s_delay_alu instid0(VALU_DEP_2) | instskip(NEXT) | instid1(VALU_DEP_1)
	v_cmp_eq_u32_e64 s1, 0, v1
	v_cndmask_b32_e64 v105, v2, v0, s1
; %bb.760:                              ;   in Loop: Header=BB448_13 Depth=1
	s_or_b32 exec_lo, exec_lo, s21
	v_lshrrev_b32_e32 v0, 16, v32
	s_mov_b32 s21, exec_lo
	s_delay_alu instid0(VALU_DEP_1) | instskip(NEXT) | instid1(VALU_DEP_1)
	v_dual_mov_b32 v1, 0 :: v_dual_and_b32 v2, 0xff, v0
	v_cmpx_ne_u16_e32 0, v2
	s_cbranch_execz .LBB448_768
; %bb.761:                              ;   in Loop: Header=BB448_13 Depth=1
	v_bfrev_b32_e32 v1, 1
	s_mov_b32 s22, exec_lo
	v_cmpx_ne_u16_e32 0x80, v2
	s_cbranch_execz .LBB448_767
; %bb.762:                              ;   in Loop: Header=BB448_13 Depth=1
	v_bfe_u32 v2, v32, 16, 7
	v_mov_b32_e32 v1, 0x7f800001
	s_mov_b32 s23, exec_lo
	s_delay_alu instid0(VALU_DEP_2)
	v_cmpx_ne_u32_e32 0x7f, v2
	s_cbranch_execz .LBB448_766
; %bb.763:                              ;   in Loop: Header=BB448_13 Depth=1
	v_and_b32_e32 v18, 7, v0
	v_lshrrev_b32_e32 v1, 3, v2
	v_mov_b32_e32 v34, v19
	s_mov_b32 s24, exec_lo
	s_delay_alu instid0(VALU_DEP_3)
	v_mov_b32_e32 v33, v18
	v_cmpx_gt_u32_e32 8, v2
; %bb.764:                              ;   in Loop: Header=BB448_13 Depth=1
	v_clz_i32_u32_e32 v1, v18
	s_delay_alu instid0(VALU_DEP_1) | instskip(NEXT) | instid1(VALU_DEP_1)
	v_min_u32_e32 v1, 32, v1
	v_subrev_nc_u32_e32 v2, 28, v1
	v_sub_nc_u32_e32 v1, 29, v1
	s_delay_alu instid0(VALU_DEP_2) | instskip(NEXT) | instid1(VALU_DEP_1)
	v_lshlrev_b64 v[2:3], v2, v[18:19]
	v_and_b32_e32 v33, 7, v2
; %bb.765:                              ;   in Loop: Header=BB448_13 Depth=1
	s_or_b32 exec_lo, exec_lo, s24
	v_lshlrev_b32_e32 v0, 24, v0
	s_delay_alu instid0(VALU_DEP_2) | instskip(SKIP_1) | instid1(VALU_DEP_3)
	v_lshlrev_b32_e32 v2, 20, v33
	v_lshl_add_u32 v1, v1, 23, 0x3c000000
	v_and_b32_e32 v0, 0x80000000, v0
	s_delay_alu instid0(VALU_DEP_1)
	v_or3_b32 v1, v2, v0, v1
.LBB448_766:                            ;   in Loop: Header=BB448_13 Depth=1
	s_or_b32 exec_lo, exec_lo, s23
.LBB448_767:                            ;   in Loop: Header=BB448_13 Depth=1
	s_delay_alu instid0(SALU_CYCLE_1)
	s_or_b32 exec_lo, exec_lo, s22
.LBB448_768:                            ;   in Loop: Header=BB448_13 Depth=1
	s_delay_alu instid0(SALU_CYCLE_1) | instskip(NEXT) | instid1(VALU_DEP_1)
	s_or_b32 exec_lo, exec_lo, s21
	v_mul_f32_e32 v0, v133, v1
                                        ; implicit-def: $vgpr106
	s_delay_alu instid0(VALU_DEP_1) | instskip(NEXT) | instid1(VALU_DEP_1)
	v_and_b32_e32 v1, 0x7f800000, v0
	v_cmp_ne_u32_e64 s1, 0x7f800000, v1
	s_delay_alu instid0(VALU_DEP_1) | instskip(NEXT) | instid1(SALU_CYCLE_1)
	s_and_saveexec_b32 s21, s1
	s_xor_b32 s1, exec_lo, s21
; %bb.769:                              ;   in Loop: Header=BB448_13 Depth=1
	v_bfe_u32 v1, v0, 16, 1
	s_delay_alu instid0(VALU_DEP_1)
	v_add3_u32 v106, v0, v1, 0x7fff
                                        ; implicit-def: $vgpr0
; %bb.770:                              ;   in Loop: Header=BB448_13 Depth=1
	s_and_not1_saveexec_b32 s21, s1
; %bb.771:                              ;   in Loop: Header=BB448_13 Depth=1
	v_and_b32_e32 v1, 0xffff, v0
	v_or_b32_e32 v2, 0x10000, v0
	s_delay_alu instid0(VALU_DEP_2) | instskip(NEXT) | instid1(VALU_DEP_1)
	v_cmp_eq_u32_e64 s1, 0, v1
	v_cndmask_b32_e64 v106, v2, v0, s1
; %bb.772:                              ;   in Loop: Header=BB448_13 Depth=1
	s_or_b32 exec_lo, exec_lo, s21
	v_mov_b32_e32 v1, 0
	s_mov_b32 s21, exec_lo
	v_cmpx_lt_u64_e64 s[16:17], v[31:32]
	s_cbranch_execz .LBB448_780
; %bb.773:                              ;   in Loop: Header=BB448_13 Depth=1
	v_lshrrev_b32_e32 v0, 24, v32
	v_bfrev_b32_e32 v1, 1
	s_mov_b32 s22, exec_lo
	s_delay_alu instid0(VALU_DEP_2)
	v_cmpx_ne_u32_e32 0x80, v0
	s_cbranch_execz .LBB448_779
; %bb.774:                              ;   in Loop: Header=BB448_13 Depth=1
	v_bfe_u32 v2, v32, 24, 7
	v_mov_b32_e32 v1, 0x7f800001
	s_mov_b32 s23, exec_lo
	s_delay_alu instid0(VALU_DEP_2)
	v_cmpx_ne_u32_e32 0x7f, v2
	s_cbranch_execz .LBB448_778
; %bb.775:                              ;   in Loop: Header=BB448_13 Depth=1
	v_and_b32_e32 v18, 7, v0
	v_lshrrev_b32_e32 v1, 3, v2
	v_mov_b32_e32 v32, v19
	s_mov_b32 s24, exec_lo
	s_delay_alu instid0(VALU_DEP_3)
	v_mov_b32_e32 v31, v18
	v_cmpx_gt_u32_e32 8, v2
; %bb.776:                              ;   in Loop: Header=BB448_13 Depth=1
	v_clz_i32_u32_e32 v1, v18
	s_delay_alu instid0(VALU_DEP_1) | instskip(NEXT) | instid1(VALU_DEP_1)
	v_min_u32_e32 v1, 32, v1
	v_subrev_nc_u32_e32 v2, 28, v1
	v_sub_nc_u32_e32 v1, 29, v1
	s_delay_alu instid0(VALU_DEP_2) | instskip(NEXT) | instid1(VALU_DEP_1)
	v_lshlrev_b64 v[2:3], v2, v[18:19]
	v_and_b32_e32 v31, 7, v2
; %bb.777:                              ;   in Loop: Header=BB448_13 Depth=1
	s_or_b32 exec_lo, exec_lo, s24
	v_lshlrev_b32_e32 v0, 24, v0
	s_delay_alu instid0(VALU_DEP_2) | instskip(SKIP_1) | instid1(VALU_DEP_3)
	v_lshlrev_b32_e32 v2, 20, v31
	v_lshl_add_u32 v1, v1, 23, 0x3c000000
	v_and_b32_e32 v0, 0x80000000, v0
	s_delay_alu instid0(VALU_DEP_1)
	v_or3_b32 v1, v2, v0, v1
.LBB448_778:                            ;   in Loop: Header=BB448_13 Depth=1
	s_or_b32 exec_lo, exec_lo, s23
.LBB448_779:                            ;   in Loop: Header=BB448_13 Depth=1
	s_delay_alu instid0(SALU_CYCLE_1)
	s_or_b32 exec_lo, exec_lo, s22
.LBB448_780:                            ;   in Loop: Header=BB448_13 Depth=1
	s_delay_alu instid0(SALU_CYCLE_1) | instskip(NEXT) | instid1(VALU_DEP_1)
	s_or_b32 exec_lo, exec_lo, s21
	v_mul_f32_e32 v0, v133, v1
                                        ; implicit-def: $vgpr107
	s_delay_alu instid0(VALU_DEP_1) | instskip(NEXT) | instid1(VALU_DEP_1)
	v_and_b32_e32 v1, 0x7f800000, v0
	v_cmp_ne_u32_e64 s1, 0x7f800000, v1
	s_delay_alu instid0(VALU_DEP_1) | instskip(NEXT) | instid1(SALU_CYCLE_1)
	s_and_saveexec_b32 s21, s1
	s_xor_b32 s1, exec_lo, s21
; %bb.781:                              ;   in Loop: Header=BB448_13 Depth=1
	v_bfe_u32 v1, v0, 16, 1
	s_delay_alu instid0(VALU_DEP_1)
	v_add3_u32 v107, v0, v1, 0x7fff
                                        ; implicit-def: $vgpr0
; %bb.782:                              ;   in Loop: Header=BB448_13 Depth=1
	s_and_not1_saveexec_b32 s21, s1
; %bb.783:                              ;   in Loop: Header=BB448_13 Depth=1
	v_and_b32_e32 v1, 0xffff, v0
	v_or_b32_e32 v2, 0x10000, v0
	s_delay_alu instid0(VALU_DEP_2) | instskip(NEXT) | instid1(VALU_DEP_1)
	v_cmp_eq_u32_e64 s1, 0, v1
	v_cndmask_b32_e64 v107, v2, v0, s1
; %bb.784:                              ;   in Loop: Header=BB448_13 Depth=1
	s_or_b32 exec_lo, exec_lo, s21
	flat_load_b64 v[31:32], v[28:29] offset:2048
	s_mov_b32 s21, exec_lo
	s_waitcnt vmcnt(0) lgkmcnt(0)
	v_dual_mov_b32 v0, 0 :: v_dual_and_b32 v1, 0xff, v31
	s_delay_alu instid0(VALU_DEP_1)
	v_cmpx_ne_u16_e32 0, v1
	s_cbranch_execz .LBB448_792
; %bb.785:                              ;   in Loop: Header=BB448_13 Depth=1
	v_bfrev_b32_e32 v0, 1
	s_mov_b32 s22, exec_lo
	v_cmpx_ne_u16_e32 0x80, v1
	s_cbranch_execz .LBB448_791
; %bb.786:                              ;   in Loop: Header=BB448_13 Depth=1
	v_and_b32_e32 v1, 0x7f, v31
	v_mov_b32_e32 v0, 0x7f800001
	s_mov_b32 s23, exec_lo
	s_delay_alu instid0(VALU_DEP_2)
	v_cmpx_ne_u32_e32 0x7f, v1
	s_cbranch_execz .LBB448_790
; %bb.787:                              ;   in Loop: Header=BB448_13 Depth=1
	v_lshrrev_b32_e32 v0, 3, v1
	v_dual_mov_b32 v34, v32 :: v_dual_mov_b32 v33, v31
	s_mov_b32 s24, exec_lo
	v_cmpx_gt_u32_e32 8, v1
; %bb.788:                              ;   in Loop: Header=BB448_13 Depth=1
	v_and_b32_e32 v0, 7, v31
	s_delay_alu instid0(VALU_DEP_1) | instskip(NEXT) | instid1(VALU_DEP_1)
	v_clz_i32_u32_e32 v0, v0
	v_min_u32_e32 v0, 32, v0
	s_delay_alu instid0(VALU_DEP_1) | instskip(SKIP_1) | instid1(VALU_DEP_2)
	v_subrev_nc_u32_e32 v1, 28, v0
	v_sub_nc_u32_e32 v0, 29, v0
	v_lshlrev_b64 v[33:34], v1, v[31:32]
; %bb.789:                              ;   in Loop: Header=BB448_13 Depth=1
	s_or_b32 exec_lo, exec_lo, s24
	s_delay_alu instid0(VALU_DEP_1) | instskip(SKIP_2) | instid1(VALU_DEP_3)
	v_lshlrev_b32_e32 v1, 20, v33
	v_lshlrev_b32_e32 v2, 24, v31
	v_lshl_add_u32 v0, v0, 23, 0x3c000000
	v_and_b32_e32 v1, 0x700000, v1
	s_delay_alu instid0(VALU_DEP_3) | instskip(NEXT) | instid1(VALU_DEP_1)
	v_and_b32_e32 v2, 0x80000000, v2
	v_or3_b32 v0, v1, v2, v0
.LBB448_790:                            ;   in Loop: Header=BB448_13 Depth=1
	s_or_b32 exec_lo, exec_lo, s23
.LBB448_791:                            ;   in Loop: Header=BB448_13 Depth=1
	s_delay_alu instid0(SALU_CYCLE_1)
	s_or_b32 exec_lo, exec_lo, s22
.LBB448_792:                            ;   in Loop: Header=BB448_13 Depth=1
	s_delay_alu instid0(SALU_CYCLE_1) | instskip(NEXT) | instid1(VALU_DEP_1)
	s_or_b32 exec_lo, exec_lo, s21
	v_mul_f32_e32 v0, v133, v0
                                        ; implicit-def: $vgpr108
	s_delay_alu instid0(VALU_DEP_1) | instskip(NEXT) | instid1(VALU_DEP_1)
	v_and_b32_e32 v1, 0x7f800000, v0
	v_cmp_ne_u32_e64 s1, 0x7f800000, v1
	s_delay_alu instid0(VALU_DEP_1) | instskip(NEXT) | instid1(SALU_CYCLE_1)
	s_and_saveexec_b32 s21, s1
	s_xor_b32 s1, exec_lo, s21
; %bb.793:                              ;   in Loop: Header=BB448_13 Depth=1
	v_bfe_u32 v1, v0, 16, 1
	s_delay_alu instid0(VALU_DEP_1)
	v_add3_u32 v108, v0, v1, 0x7fff
                                        ; implicit-def: $vgpr0
; %bb.794:                              ;   in Loop: Header=BB448_13 Depth=1
	s_and_not1_saveexec_b32 s21, s1
; %bb.795:                              ;   in Loop: Header=BB448_13 Depth=1
	v_and_b32_e32 v1, 0xffff, v0
	v_or_b32_e32 v2, 0x10000, v0
	s_delay_alu instid0(VALU_DEP_2) | instskip(NEXT) | instid1(VALU_DEP_1)
	v_cmp_eq_u32_e64 s1, 0, v1
	v_cndmask_b32_e64 v108, v2, v0, s1
; %bb.796:                              ;   in Loop: Header=BB448_13 Depth=1
	s_or_b32 exec_lo, exec_lo, s21
	v_lshrrev_b16 v1, 8, v31
	v_mov_b32_e32 v0, 0
	s_mov_b32 s21, exec_lo
	s_delay_alu instid0(VALU_DEP_2)
	v_cmpx_ne_u16_e32 0, v1
	s_cbranch_execz .LBB448_804
; %bb.797:                              ;   in Loop: Header=BB448_13 Depth=1
	v_bfrev_b32_e32 v0, 1
	s_mov_b32 s22, exec_lo
	v_cmpx_ne_u16_e32 0x80, v1
	s_cbranch_execz .LBB448_803
; %bb.798:                              ;   in Loop: Header=BB448_13 Depth=1
	v_and_b32_e32 v2, 0xffff, v1
	v_mov_b32_e32 v0, 0x7f800001
	s_mov_b32 s23, exec_lo
	s_delay_alu instid0(VALU_DEP_2) | instskip(NEXT) | instid1(VALU_DEP_1)
	v_and_b32_e32 v1, 0x7f, v2
	v_cmpx_ne_u32_e32 0x7f, v1
	s_cbranch_execz .LBB448_802
; %bb.799:                              ;   in Loop: Header=BB448_13 Depth=1
	v_and_b32_e32 v18, 7, v2
	v_lshrrev_b32_e32 v0, 3, v1
	v_mov_b32_e32 v34, v19
	s_mov_b32 s24, exec_lo
	s_delay_alu instid0(VALU_DEP_3)
	v_mov_b32_e32 v33, v18
	v_cmpx_gt_u32_e32 8, v1
; %bb.800:                              ;   in Loop: Header=BB448_13 Depth=1
	v_clz_i32_u32_e32 v0, v18
	s_delay_alu instid0(VALU_DEP_1) | instskip(NEXT) | instid1(VALU_DEP_1)
	v_min_u32_e32 v0, 32, v0
	v_subrev_nc_u32_e32 v1, 28, v0
	v_sub_nc_u32_e32 v0, 29, v0
	s_delay_alu instid0(VALU_DEP_2) | instskip(NEXT) | instid1(VALU_DEP_1)
	v_lshlrev_b64 v[1:2], v1, v[18:19]
	v_and_b32_e32 v33, 7, v1
; %bb.801:                              ;   in Loop: Header=BB448_13 Depth=1
	s_or_b32 exec_lo, exec_lo, s24
	v_lshlrev_b32_e32 v1, 16, v31
	s_delay_alu instid0(VALU_DEP_2) | instskip(SKIP_1) | instid1(VALU_DEP_3)
	v_lshlrev_b32_e32 v2, 20, v33
	v_lshl_add_u32 v0, v0, 23, 0x3c000000
	v_and_b32_e32 v1, 0x80000000, v1
	s_delay_alu instid0(VALU_DEP_1)
	v_or3_b32 v0, v2, v1, v0
.LBB448_802:                            ;   in Loop: Header=BB448_13 Depth=1
	s_or_b32 exec_lo, exec_lo, s23
.LBB448_803:                            ;   in Loop: Header=BB448_13 Depth=1
	s_delay_alu instid0(SALU_CYCLE_1)
	s_or_b32 exec_lo, exec_lo, s22
.LBB448_804:                            ;   in Loop: Header=BB448_13 Depth=1
	s_delay_alu instid0(SALU_CYCLE_1) | instskip(NEXT) | instid1(VALU_DEP_1)
	s_or_b32 exec_lo, exec_lo, s21
	v_mul_f32_e32 v0, v133, v0
                                        ; implicit-def: $vgpr109
	s_delay_alu instid0(VALU_DEP_1) | instskip(NEXT) | instid1(VALU_DEP_1)
	v_and_b32_e32 v1, 0x7f800000, v0
	v_cmp_ne_u32_e64 s1, 0x7f800000, v1
	s_delay_alu instid0(VALU_DEP_1) | instskip(NEXT) | instid1(SALU_CYCLE_1)
	s_and_saveexec_b32 s21, s1
	s_xor_b32 s1, exec_lo, s21
; %bb.805:                              ;   in Loop: Header=BB448_13 Depth=1
	v_bfe_u32 v1, v0, 16, 1
	s_delay_alu instid0(VALU_DEP_1)
	v_add3_u32 v109, v0, v1, 0x7fff
                                        ; implicit-def: $vgpr0
; %bb.806:                              ;   in Loop: Header=BB448_13 Depth=1
	s_and_not1_saveexec_b32 s21, s1
; %bb.807:                              ;   in Loop: Header=BB448_13 Depth=1
	v_and_b32_e32 v1, 0xffff, v0
	v_or_b32_e32 v2, 0x10000, v0
	s_delay_alu instid0(VALU_DEP_2) | instskip(NEXT) | instid1(VALU_DEP_1)
	v_cmp_eq_u32_e64 s1, 0, v1
	v_cndmask_b32_e64 v109, v2, v0, s1
; %bb.808:                              ;   in Loop: Header=BB448_13 Depth=1
	s_or_b32 exec_lo, exec_lo, s21
	v_lshrrev_b32_e32 v0, 16, v31
	s_mov_b32 s21, exec_lo
	s_delay_alu instid0(VALU_DEP_1) | instskip(NEXT) | instid1(VALU_DEP_1)
	v_dual_mov_b32 v1, 0 :: v_dual_and_b32 v2, 0xff, v0
	v_cmpx_ne_u16_e32 0, v2
	s_cbranch_execz .LBB448_816
; %bb.809:                              ;   in Loop: Header=BB448_13 Depth=1
	v_bfrev_b32_e32 v1, 1
	s_mov_b32 s22, exec_lo
	v_cmpx_ne_u16_e32 0x80, v2
	s_cbranch_execz .LBB448_815
; %bb.810:                              ;   in Loop: Header=BB448_13 Depth=1
	v_bfe_u32 v2, v31, 16, 7
	v_mov_b32_e32 v1, 0x7f800001
	s_mov_b32 s23, exec_lo
	s_delay_alu instid0(VALU_DEP_2)
	v_cmpx_ne_u32_e32 0x7f, v2
	s_cbranch_execz .LBB448_814
; %bb.811:                              ;   in Loop: Header=BB448_13 Depth=1
	v_and_b32_e32 v18, 7, v0
	v_lshrrev_b32_e32 v1, 3, v2
	v_mov_b32_e32 v34, v19
	s_mov_b32 s24, exec_lo
	s_delay_alu instid0(VALU_DEP_3)
	v_mov_b32_e32 v33, v18
	v_cmpx_gt_u32_e32 8, v2
; %bb.812:                              ;   in Loop: Header=BB448_13 Depth=1
	v_clz_i32_u32_e32 v1, v18
	s_delay_alu instid0(VALU_DEP_1) | instskip(NEXT) | instid1(VALU_DEP_1)
	v_min_u32_e32 v1, 32, v1
	v_subrev_nc_u32_e32 v2, 28, v1
	v_sub_nc_u32_e32 v1, 29, v1
	s_delay_alu instid0(VALU_DEP_2) | instskip(NEXT) | instid1(VALU_DEP_1)
	v_lshlrev_b64 v[2:3], v2, v[18:19]
	v_and_b32_e32 v33, 7, v2
; %bb.813:                              ;   in Loop: Header=BB448_13 Depth=1
	s_or_b32 exec_lo, exec_lo, s24
	v_lshlrev_b32_e32 v0, 24, v0
	s_delay_alu instid0(VALU_DEP_2) | instskip(SKIP_1) | instid1(VALU_DEP_3)
	v_lshlrev_b32_e32 v2, 20, v33
	v_lshl_add_u32 v1, v1, 23, 0x3c000000
	v_and_b32_e32 v0, 0x80000000, v0
	s_delay_alu instid0(VALU_DEP_1)
	v_or3_b32 v1, v2, v0, v1
.LBB448_814:                            ;   in Loop: Header=BB448_13 Depth=1
	s_or_b32 exec_lo, exec_lo, s23
.LBB448_815:                            ;   in Loop: Header=BB448_13 Depth=1
	s_delay_alu instid0(SALU_CYCLE_1)
	s_or_b32 exec_lo, exec_lo, s22
.LBB448_816:                            ;   in Loop: Header=BB448_13 Depth=1
	s_delay_alu instid0(SALU_CYCLE_1) | instskip(NEXT) | instid1(VALU_DEP_1)
	s_or_b32 exec_lo, exec_lo, s21
	v_mul_f32_e32 v0, v133, v1
                                        ; implicit-def: $vgpr110
	s_delay_alu instid0(VALU_DEP_1) | instskip(NEXT) | instid1(VALU_DEP_1)
	v_and_b32_e32 v1, 0x7f800000, v0
	v_cmp_ne_u32_e64 s1, 0x7f800000, v1
	s_delay_alu instid0(VALU_DEP_1) | instskip(NEXT) | instid1(SALU_CYCLE_1)
	s_and_saveexec_b32 s21, s1
	s_xor_b32 s1, exec_lo, s21
; %bb.817:                              ;   in Loop: Header=BB448_13 Depth=1
	v_bfe_u32 v1, v0, 16, 1
	s_delay_alu instid0(VALU_DEP_1)
	v_add3_u32 v110, v0, v1, 0x7fff
                                        ; implicit-def: $vgpr0
; %bb.818:                              ;   in Loop: Header=BB448_13 Depth=1
	s_and_not1_saveexec_b32 s21, s1
; %bb.819:                              ;   in Loop: Header=BB448_13 Depth=1
	v_and_b32_e32 v1, 0xffff, v0
	v_or_b32_e32 v2, 0x10000, v0
	s_delay_alu instid0(VALU_DEP_2) | instskip(NEXT) | instid1(VALU_DEP_1)
	v_cmp_eq_u32_e64 s1, 0, v1
	v_cndmask_b32_e64 v110, v2, v0, s1
; %bb.820:                              ;   in Loop: Header=BB448_13 Depth=1
	s_or_b32 exec_lo, exec_lo, s21
	v_mov_b32_e32 v1, 0
	s_mov_b32 s21, exec_lo
	v_cmpx_lt_u32_e32 0xffffff, v31
	s_cbranch_execz .LBB448_828
; %bb.821:                              ;   in Loop: Header=BB448_13 Depth=1
	v_lshrrev_b32_e32 v0, 24, v31
	v_bfrev_b32_e32 v1, 1
	s_mov_b32 s22, exec_lo
	s_delay_alu instid0(VALU_DEP_2)
	v_cmpx_ne_u32_e32 0x80, v0
	s_cbranch_execz .LBB448_827
; %bb.822:                              ;   in Loop: Header=BB448_13 Depth=1
	v_bfe_u32 v2, v31, 24, 7
	v_mov_b32_e32 v1, 0x7f800001
	s_mov_b32 s23, exec_lo
	s_delay_alu instid0(VALU_DEP_2)
	v_cmpx_ne_u32_e32 0x7f, v2
	s_cbranch_execz .LBB448_826
; %bb.823:                              ;   in Loop: Header=BB448_13 Depth=1
	v_and_b32_e32 v18, 7, v0
	v_lshrrev_b32_e32 v1, 3, v2
	v_mov_b32_e32 v34, v19
	s_mov_b32 s24, exec_lo
	s_delay_alu instid0(VALU_DEP_3)
	v_mov_b32_e32 v33, v18
	v_cmpx_gt_u32_e32 8, v2
; %bb.824:                              ;   in Loop: Header=BB448_13 Depth=1
	v_clz_i32_u32_e32 v1, v18
	s_delay_alu instid0(VALU_DEP_1) | instskip(NEXT) | instid1(VALU_DEP_1)
	v_min_u32_e32 v1, 32, v1
	v_subrev_nc_u32_e32 v2, 28, v1
	v_sub_nc_u32_e32 v1, 29, v1
	s_delay_alu instid0(VALU_DEP_2) | instskip(NEXT) | instid1(VALU_DEP_1)
	v_lshlrev_b64 v[2:3], v2, v[18:19]
	v_and_b32_e32 v33, 7, v2
; %bb.825:                              ;   in Loop: Header=BB448_13 Depth=1
	s_or_b32 exec_lo, exec_lo, s24
	v_lshlrev_b32_e32 v0, 24, v0
	s_delay_alu instid0(VALU_DEP_2) | instskip(SKIP_1) | instid1(VALU_DEP_3)
	v_lshlrev_b32_e32 v2, 20, v33
	v_lshl_add_u32 v1, v1, 23, 0x3c000000
	v_and_b32_e32 v0, 0x80000000, v0
	s_delay_alu instid0(VALU_DEP_1)
	v_or3_b32 v1, v2, v0, v1
.LBB448_826:                            ;   in Loop: Header=BB448_13 Depth=1
	s_or_b32 exec_lo, exec_lo, s23
.LBB448_827:                            ;   in Loop: Header=BB448_13 Depth=1
	s_delay_alu instid0(SALU_CYCLE_1)
	s_or_b32 exec_lo, exec_lo, s22
.LBB448_828:                            ;   in Loop: Header=BB448_13 Depth=1
	s_delay_alu instid0(SALU_CYCLE_1) | instskip(NEXT) | instid1(VALU_DEP_1)
	s_or_b32 exec_lo, exec_lo, s21
	v_mul_f32_e32 v0, v133, v1
                                        ; implicit-def: $vgpr111
	s_delay_alu instid0(VALU_DEP_1) | instskip(NEXT) | instid1(VALU_DEP_1)
	v_and_b32_e32 v1, 0x7f800000, v0
	v_cmp_ne_u32_e64 s1, 0x7f800000, v1
	s_delay_alu instid0(VALU_DEP_1) | instskip(NEXT) | instid1(SALU_CYCLE_1)
	s_and_saveexec_b32 s21, s1
	s_xor_b32 s1, exec_lo, s21
; %bb.829:                              ;   in Loop: Header=BB448_13 Depth=1
	v_bfe_u32 v1, v0, 16, 1
	s_delay_alu instid0(VALU_DEP_1)
	v_add3_u32 v111, v0, v1, 0x7fff
                                        ; implicit-def: $vgpr0
; %bb.830:                              ;   in Loop: Header=BB448_13 Depth=1
	s_and_not1_saveexec_b32 s21, s1
; %bb.831:                              ;   in Loop: Header=BB448_13 Depth=1
	v_and_b32_e32 v1, 0xffff, v0
	v_or_b32_e32 v2, 0x10000, v0
	s_delay_alu instid0(VALU_DEP_2) | instskip(NEXT) | instid1(VALU_DEP_1)
	v_cmp_eq_u32_e64 s1, 0, v1
	v_cndmask_b32_e64 v111, v2, v0, s1
; %bb.832:                              ;   in Loop: Header=BB448_13 Depth=1
	s_or_b32 exec_lo, exec_lo, s21
	v_dual_mov_b32 v18, v32 :: v_dual_and_b32 v1, 0xff, v32
	v_mov_b32_e32 v0, 0
	s_mov_b32 s21, exec_lo
	s_delay_alu instid0(VALU_DEP_2)
	v_cmpx_ne_u16_e32 0, v1
	s_cbranch_execz .LBB448_840
; %bb.833:                              ;   in Loop: Header=BB448_13 Depth=1
	v_bfrev_b32_e32 v0, 1
	s_mov_b32 s22, exec_lo
	v_cmpx_ne_u16_e32 0x80, v1
	s_cbranch_execz .LBB448_839
; %bb.834:                              ;   in Loop: Header=BB448_13 Depth=1
	v_and_b32_e32 v1, 0x7f, v32
	v_mov_b32_e32 v0, 0x7f800001
	s_mov_b32 s23, exec_lo
	s_delay_alu instid0(VALU_DEP_2)
	v_cmpx_ne_u32_e32 0x7f, v1
	s_cbranch_execz .LBB448_838
; %bb.835:                              ;   in Loop: Header=BB448_13 Depth=1
	v_lshrrev_b32_e32 v0, 3, v1
	v_dual_mov_b32 v34, v19 :: v_dual_mov_b32 v33, v18
	s_mov_b32 s24, exec_lo
	v_cmpx_gt_u32_e32 8, v1
; %bb.836:                              ;   in Loop: Header=BB448_13 Depth=1
	v_and_b32_e32 v0, 7, v32
	s_delay_alu instid0(VALU_DEP_1) | instskip(NEXT) | instid1(VALU_DEP_1)
	v_clz_i32_u32_e32 v0, v0
	v_min_u32_e32 v0, 32, v0
	s_delay_alu instid0(VALU_DEP_1) | instskip(SKIP_1) | instid1(VALU_DEP_2)
	v_subrev_nc_u32_e32 v1, 28, v0
	v_sub_nc_u32_e32 v0, 29, v0
	v_lshlrev_b64 v[33:34], v1, v[18:19]
; %bb.837:                              ;   in Loop: Header=BB448_13 Depth=1
	s_or_b32 exec_lo, exec_lo, s24
	s_delay_alu instid0(VALU_DEP_1) | instskip(SKIP_2) | instid1(VALU_DEP_3)
	v_lshlrev_b32_e32 v1, 20, v33
	v_lshlrev_b32_e32 v2, 24, v18
	v_lshl_add_u32 v0, v0, 23, 0x3c000000
	v_and_b32_e32 v1, 0x700000, v1
	s_delay_alu instid0(VALU_DEP_3) | instskip(NEXT) | instid1(VALU_DEP_1)
	v_and_b32_e32 v2, 0x80000000, v2
	v_or3_b32 v0, v1, v2, v0
.LBB448_838:                            ;   in Loop: Header=BB448_13 Depth=1
	s_or_b32 exec_lo, exec_lo, s23
.LBB448_839:                            ;   in Loop: Header=BB448_13 Depth=1
	s_delay_alu instid0(SALU_CYCLE_1)
	s_or_b32 exec_lo, exec_lo, s22
.LBB448_840:                            ;   in Loop: Header=BB448_13 Depth=1
	s_delay_alu instid0(SALU_CYCLE_1) | instskip(NEXT) | instid1(VALU_DEP_1)
	s_or_b32 exec_lo, exec_lo, s21
	v_mul_f32_e32 v0, v133, v0
                                        ; implicit-def: $vgpr120
	s_delay_alu instid0(VALU_DEP_1) | instskip(NEXT) | instid1(VALU_DEP_1)
	v_and_b32_e32 v1, 0x7f800000, v0
	v_cmp_ne_u32_e64 s1, 0x7f800000, v1
	s_delay_alu instid0(VALU_DEP_1) | instskip(NEXT) | instid1(SALU_CYCLE_1)
	s_and_saveexec_b32 s21, s1
	s_xor_b32 s1, exec_lo, s21
; %bb.841:                              ;   in Loop: Header=BB448_13 Depth=1
	v_bfe_u32 v1, v0, 16, 1
	s_delay_alu instid0(VALU_DEP_1)
	v_add3_u32 v120, v0, v1, 0x7fff
                                        ; implicit-def: $vgpr0
; %bb.842:                              ;   in Loop: Header=BB448_13 Depth=1
	s_and_not1_saveexec_b32 s21, s1
; %bb.843:                              ;   in Loop: Header=BB448_13 Depth=1
	v_and_b32_e32 v1, 0xffff, v0
	v_or_b32_e32 v2, 0x10000, v0
	s_delay_alu instid0(VALU_DEP_2) | instskip(NEXT) | instid1(VALU_DEP_1)
	v_cmp_eq_u32_e64 s1, 0, v1
	v_cndmask_b32_e64 v120, v2, v0, s1
; %bb.844:                              ;   in Loop: Header=BB448_13 Depth=1
	s_or_b32 exec_lo, exec_lo, s21
	v_lshrrev_b16 v1, 8, v18
	v_mov_b32_e32 v0, 0
	s_mov_b32 s21, exec_lo
	s_delay_alu instid0(VALU_DEP_2)
	v_cmpx_ne_u16_e32 0, v1
	s_cbranch_execz .LBB448_852
; %bb.845:                              ;   in Loop: Header=BB448_13 Depth=1
	v_bfrev_b32_e32 v0, 1
	s_mov_b32 s22, exec_lo
	v_cmpx_ne_u16_e32 0x80, v1
	s_cbranch_execz .LBB448_851
; %bb.846:                              ;   in Loop: Header=BB448_13 Depth=1
	v_and_b32_e32 v2, 0xffff, v1
	v_mov_b32_e32 v0, 0x7f800001
	s_mov_b32 s23, exec_lo
	s_delay_alu instid0(VALU_DEP_2) | instskip(NEXT) | instid1(VALU_DEP_1)
	v_and_b32_e32 v1, 0x7f, v2
	v_cmpx_ne_u32_e32 0x7f, v1
	s_cbranch_execz .LBB448_850
; %bb.847:                              ;   in Loop: Header=BB448_13 Depth=1
	v_dual_mov_b32 v34, v19 :: v_dual_and_b32 v33, 7, v2
	v_lshrrev_b32_e32 v0, 3, v1
	s_mov_b32 s24, exec_lo
	v_cmpx_gt_u32_e32 8, v1
; %bb.848:                              ;   in Loop: Header=BB448_13 Depth=1
	s_delay_alu instid0(VALU_DEP_3) | instskip(NEXT) | instid1(VALU_DEP_1)
	v_clz_i32_u32_e32 v0, v33
	v_min_u32_e32 v0, 32, v0
	s_delay_alu instid0(VALU_DEP_1) | instskip(SKIP_1) | instid1(VALU_DEP_2)
	v_subrev_nc_u32_e32 v1, 28, v0
	v_sub_nc_u32_e32 v0, 29, v0
	v_lshlrev_b64 v[1:2], v1, v[33:34]
	s_delay_alu instid0(VALU_DEP_1)
	v_and_b32_e32 v33, 7, v1
; %bb.849:                              ;   in Loop: Header=BB448_13 Depth=1
	s_or_b32 exec_lo, exec_lo, s24
	v_lshlrev_b32_e32 v1, 16, v18
	s_delay_alu instid0(VALU_DEP_2) | instskip(SKIP_1) | instid1(VALU_DEP_3)
	v_lshlrev_b32_e32 v2, 20, v33
	v_lshl_add_u32 v0, v0, 23, 0x3c000000
	v_and_b32_e32 v1, 0x80000000, v1
	s_delay_alu instid0(VALU_DEP_1)
	v_or3_b32 v0, v2, v1, v0
.LBB448_850:                            ;   in Loop: Header=BB448_13 Depth=1
	s_or_b32 exec_lo, exec_lo, s23
.LBB448_851:                            ;   in Loop: Header=BB448_13 Depth=1
	s_delay_alu instid0(SALU_CYCLE_1)
	s_or_b32 exec_lo, exec_lo, s22
.LBB448_852:                            ;   in Loop: Header=BB448_13 Depth=1
	s_delay_alu instid0(SALU_CYCLE_1) | instskip(NEXT) | instid1(VALU_DEP_1)
	s_or_b32 exec_lo, exec_lo, s21
	v_mul_f32_e32 v0, v133, v0
                                        ; implicit-def: $vgpr121
	s_delay_alu instid0(VALU_DEP_1) | instskip(NEXT) | instid1(VALU_DEP_1)
	v_and_b32_e32 v1, 0x7f800000, v0
	v_cmp_ne_u32_e64 s1, 0x7f800000, v1
	s_delay_alu instid0(VALU_DEP_1) | instskip(NEXT) | instid1(SALU_CYCLE_1)
	s_and_saveexec_b32 s21, s1
	s_xor_b32 s1, exec_lo, s21
; %bb.853:                              ;   in Loop: Header=BB448_13 Depth=1
	v_bfe_u32 v1, v0, 16, 1
	s_delay_alu instid0(VALU_DEP_1)
	v_add3_u32 v121, v0, v1, 0x7fff
                                        ; implicit-def: $vgpr0
; %bb.854:                              ;   in Loop: Header=BB448_13 Depth=1
	s_and_not1_saveexec_b32 s21, s1
; %bb.855:                              ;   in Loop: Header=BB448_13 Depth=1
	v_and_b32_e32 v1, 0xffff, v0
	v_or_b32_e32 v2, 0x10000, v0
	s_delay_alu instid0(VALU_DEP_2) | instskip(NEXT) | instid1(VALU_DEP_1)
	v_cmp_eq_u32_e64 s1, 0, v1
	v_cndmask_b32_e64 v121, v2, v0, s1
; %bb.856:                              ;   in Loop: Header=BB448_13 Depth=1
	s_or_b32 exec_lo, exec_lo, s21
	v_lshrrev_b32_e32 v0, 16, v32
	s_mov_b32 s21, exec_lo
	s_delay_alu instid0(VALU_DEP_1) | instskip(NEXT) | instid1(VALU_DEP_1)
	v_dual_mov_b32 v1, 0 :: v_dual_and_b32 v2, 0xff, v0
	v_cmpx_ne_u16_e32 0, v2
	s_cbranch_execz .LBB448_864
; %bb.857:                              ;   in Loop: Header=BB448_13 Depth=1
	v_bfrev_b32_e32 v1, 1
	s_mov_b32 s22, exec_lo
	v_cmpx_ne_u16_e32 0x80, v2
	s_cbranch_execz .LBB448_863
; %bb.858:                              ;   in Loop: Header=BB448_13 Depth=1
	v_bfe_u32 v2, v32, 16, 7
	v_mov_b32_e32 v1, 0x7f800001
	s_mov_b32 s23, exec_lo
	s_delay_alu instid0(VALU_DEP_2)
	v_cmpx_ne_u32_e32 0x7f, v2
	s_cbranch_execz .LBB448_862
; %bb.859:                              ;   in Loop: Header=BB448_13 Depth=1
	v_and_b32_e32 v18, 7, v0
	v_lshrrev_b32_e32 v1, 3, v2
	v_mov_b32_e32 v34, v19
	s_mov_b32 s24, exec_lo
	s_delay_alu instid0(VALU_DEP_3)
	v_mov_b32_e32 v33, v18
	v_cmpx_gt_u32_e32 8, v2
; %bb.860:                              ;   in Loop: Header=BB448_13 Depth=1
	v_clz_i32_u32_e32 v1, v18
	s_delay_alu instid0(VALU_DEP_1) | instskip(NEXT) | instid1(VALU_DEP_1)
	v_min_u32_e32 v1, 32, v1
	v_subrev_nc_u32_e32 v2, 28, v1
	v_sub_nc_u32_e32 v1, 29, v1
	s_delay_alu instid0(VALU_DEP_2) | instskip(NEXT) | instid1(VALU_DEP_1)
	v_lshlrev_b64 v[2:3], v2, v[18:19]
	v_and_b32_e32 v33, 7, v2
; %bb.861:                              ;   in Loop: Header=BB448_13 Depth=1
	s_or_b32 exec_lo, exec_lo, s24
	v_lshlrev_b32_e32 v0, 24, v0
	s_delay_alu instid0(VALU_DEP_2) | instskip(SKIP_1) | instid1(VALU_DEP_3)
	v_lshlrev_b32_e32 v2, 20, v33
	v_lshl_add_u32 v1, v1, 23, 0x3c000000
	v_and_b32_e32 v0, 0x80000000, v0
	s_delay_alu instid0(VALU_DEP_1)
	v_or3_b32 v1, v2, v0, v1
.LBB448_862:                            ;   in Loop: Header=BB448_13 Depth=1
	s_or_b32 exec_lo, exec_lo, s23
.LBB448_863:                            ;   in Loop: Header=BB448_13 Depth=1
	s_delay_alu instid0(SALU_CYCLE_1)
	s_or_b32 exec_lo, exec_lo, s22
.LBB448_864:                            ;   in Loop: Header=BB448_13 Depth=1
	s_delay_alu instid0(SALU_CYCLE_1) | instskip(NEXT) | instid1(VALU_DEP_1)
	s_or_b32 exec_lo, exec_lo, s21
	v_mul_f32_e32 v0, v133, v1
                                        ; implicit-def: $vgpr122
	s_delay_alu instid0(VALU_DEP_1) | instskip(NEXT) | instid1(VALU_DEP_1)
	v_and_b32_e32 v1, 0x7f800000, v0
	v_cmp_ne_u32_e64 s1, 0x7f800000, v1
	s_delay_alu instid0(VALU_DEP_1) | instskip(NEXT) | instid1(SALU_CYCLE_1)
	s_and_saveexec_b32 s21, s1
	s_xor_b32 s1, exec_lo, s21
; %bb.865:                              ;   in Loop: Header=BB448_13 Depth=1
	v_bfe_u32 v1, v0, 16, 1
	s_delay_alu instid0(VALU_DEP_1)
	v_add3_u32 v122, v0, v1, 0x7fff
                                        ; implicit-def: $vgpr0
; %bb.866:                              ;   in Loop: Header=BB448_13 Depth=1
	s_and_not1_saveexec_b32 s21, s1
; %bb.867:                              ;   in Loop: Header=BB448_13 Depth=1
	v_and_b32_e32 v1, 0xffff, v0
	v_or_b32_e32 v2, 0x10000, v0
	s_delay_alu instid0(VALU_DEP_2) | instskip(NEXT) | instid1(VALU_DEP_1)
	v_cmp_eq_u32_e64 s1, 0, v1
	v_cndmask_b32_e64 v122, v2, v0, s1
; %bb.868:                              ;   in Loop: Header=BB448_13 Depth=1
	s_or_b32 exec_lo, exec_lo, s21
	v_mov_b32_e32 v1, 0
	s_mov_b32 s21, exec_lo
	v_cmpx_lt_u64_e64 s[16:17], v[31:32]
	s_cbranch_execz .LBB448_876
; %bb.869:                              ;   in Loop: Header=BB448_13 Depth=1
	v_lshrrev_b32_e32 v0, 24, v32
	v_bfrev_b32_e32 v1, 1
	s_mov_b32 s22, exec_lo
	s_delay_alu instid0(VALU_DEP_2)
	v_cmpx_ne_u32_e32 0x80, v0
	s_cbranch_execz .LBB448_875
; %bb.870:                              ;   in Loop: Header=BB448_13 Depth=1
	v_bfe_u32 v2, v32, 24, 7
	v_mov_b32_e32 v1, 0x7f800001
	s_mov_b32 s23, exec_lo
	s_delay_alu instid0(VALU_DEP_2)
	v_cmpx_ne_u32_e32 0x7f, v2
	s_cbranch_execz .LBB448_874
; %bb.871:                              ;   in Loop: Header=BB448_13 Depth=1
	v_and_b32_e32 v18, 7, v0
	v_lshrrev_b32_e32 v1, 3, v2
	v_mov_b32_e32 v32, v19
	s_mov_b32 s24, exec_lo
	s_delay_alu instid0(VALU_DEP_3)
	v_mov_b32_e32 v31, v18
	v_cmpx_gt_u32_e32 8, v2
; %bb.872:                              ;   in Loop: Header=BB448_13 Depth=1
	v_clz_i32_u32_e32 v1, v18
	s_delay_alu instid0(VALU_DEP_1) | instskip(NEXT) | instid1(VALU_DEP_1)
	v_min_u32_e32 v1, 32, v1
	v_subrev_nc_u32_e32 v2, 28, v1
	v_sub_nc_u32_e32 v1, 29, v1
	s_delay_alu instid0(VALU_DEP_2) | instskip(NEXT) | instid1(VALU_DEP_1)
	v_lshlrev_b64 v[2:3], v2, v[18:19]
	v_and_b32_e32 v31, 7, v2
; %bb.873:                              ;   in Loop: Header=BB448_13 Depth=1
	s_or_b32 exec_lo, exec_lo, s24
	v_lshlrev_b32_e32 v0, 24, v0
	s_delay_alu instid0(VALU_DEP_2) | instskip(SKIP_1) | instid1(VALU_DEP_3)
	v_lshlrev_b32_e32 v2, 20, v31
	v_lshl_add_u32 v1, v1, 23, 0x3c000000
	v_and_b32_e32 v0, 0x80000000, v0
	s_delay_alu instid0(VALU_DEP_1)
	v_or3_b32 v1, v2, v0, v1
.LBB448_874:                            ;   in Loop: Header=BB448_13 Depth=1
	s_or_b32 exec_lo, exec_lo, s23
.LBB448_875:                            ;   in Loop: Header=BB448_13 Depth=1
	s_delay_alu instid0(SALU_CYCLE_1)
	s_or_b32 exec_lo, exec_lo, s22
.LBB448_876:                            ;   in Loop: Header=BB448_13 Depth=1
	s_delay_alu instid0(SALU_CYCLE_1) | instskip(NEXT) | instid1(VALU_DEP_1)
	s_or_b32 exec_lo, exec_lo, s21
	v_mul_f32_e32 v0, v133, v1
                                        ; implicit-def: $vgpr123
	s_delay_alu instid0(VALU_DEP_1) | instskip(NEXT) | instid1(VALU_DEP_1)
	v_and_b32_e32 v1, 0x7f800000, v0
	v_cmp_ne_u32_e64 s1, 0x7f800000, v1
	s_delay_alu instid0(VALU_DEP_1) | instskip(NEXT) | instid1(SALU_CYCLE_1)
	s_and_saveexec_b32 s21, s1
	s_xor_b32 s1, exec_lo, s21
; %bb.877:                              ;   in Loop: Header=BB448_13 Depth=1
	v_bfe_u32 v1, v0, 16, 1
	s_delay_alu instid0(VALU_DEP_1)
	v_add3_u32 v123, v0, v1, 0x7fff
                                        ; implicit-def: $vgpr0
; %bb.878:                              ;   in Loop: Header=BB448_13 Depth=1
	s_and_not1_saveexec_b32 s21, s1
; %bb.879:                              ;   in Loop: Header=BB448_13 Depth=1
	v_and_b32_e32 v1, 0xffff, v0
	v_or_b32_e32 v2, 0x10000, v0
	s_delay_alu instid0(VALU_DEP_2) | instskip(NEXT) | instid1(VALU_DEP_1)
	v_cmp_eq_u32_e64 s1, 0, v1
	v_cndmask_b32_e64 v123, v2, v0, s1
; %bb.880:                              ;   in Loop: Header=BB448_13 Depth=1
	s_or_b32 exec_lo, exec_lo, s21
	flat_load_b64 v[31:32], v[28:29] offset:2056
	s_mov_b32 s21, exec_lo
	s_waitcnt vmcnt(0) lgkmcnt(0)
	v_dual_mov_b32 v0, 0 :: v_dual_and_b32 v1, 0xff, v31
	s_delay_alu instid0(VALU_DEP_1)
	v_cmpx_ne_u16_e32 0, v1
	s_cbranch_execz .LBB448_888
; %bb.881:                              ;   in Loop: Header=BB448_13 Depth=1
	v_bfrev_b32_e32 v0, 1
	s_mov_b32 s22, exec_lo
	v_cmpx_ne_u16_e32 0x80, v1
	s_cbranch_execz .LBB448_887
; %bb.882:                              ;   in Loop: Header=BB448_13 Depth=1
	v_and_b32_e32 v1, 0x7f, v31
	v_mov_b32_e32 v0, 0x7f800001
	s_mov_b32 s23, exec_lo
	s_delay_alu instid0(VALU_DEP_2)
	v_cmpx_ne_u32_e32 0x7f, v1
	s_cbranch_execz .LBB448_886
; %bb.883:                              ;   in Loop: Header=BB448_13 Depth=1
	v_lshrrev_b32_e32 v0, 3, v1
	v_dual_mov_b32 v34, v32 :: v_dual_mov_b32 v33, v31
	s_mov_b32 s24, exec_lo
	v_cmpx_gt_u32_e32 8, v1
; %bb.884:                              ;   in Loop: Header=BB448_13 Depth=1
	v_and_b32_e32 v0, 7, v31
	s_delay_alu instid0(VALU_DEP_1) | instskip(NEXT) | instid1(VALU_DEP_1)
	v_clz_i32_u32_e32 v0, v0
	v_min_u32_e32 v0, 32, v0
	s_delay_alu instid0(VALU_DEP_1) | instskip(SKIP_1) | instid1(VALU_DEP_2)
	v_subrev_nc_u32_e32 v1, 28, v0
	v_sub_nc_u32_e32 v0, 29, v0
	v_lshlrev_b64 v[33:34], v1, v[31:32]
; %bb.885:                              ;   in Loop: Header=BB448_13 Depth=1
	s_or_b32 exec_lo, exec_lo, s24
	s_delay_alu instid0(VALU_DEP_1) | instskip(SKIP_2) | instid1(VALU_DEP_3)
	v_lshlrev_b32_e32 v1, 20, v33
	v_lshlrev_b32_e32 v2, 24, v31
	v_lshl_add_u32 v0, v0, 23, 0x3c000000
	v_and_b32_e32 v1, 0x700000, v1
	s_delay_alu instid0(VALU_DEP_3) | instskip(NEXT) | instid1(VALU_DEP_1)
	v_and_b32_e32 v2, 0x80000000, v2
	v_or3_b32 v0, v1, v2, v0
.LBB448_886:                            ;   in Loop: Header=BB448_13 Depth=1
	s_or_b32 exec_lo, exec_lo, s23
.LBB448_887:                            ;   in Loop: Header=BB448_13 Depth=1
	s_delay_alu instid0(SALU_CYCLE_1)
	s_or_b32 exec_lo, exec_lo, s22
.LBB448_888:                            ;   in Loop: Header=BB448_13 Depth=1
	s_delay_alu instid0(SALU_CYCLE_1) | instskip(NEXT) | instid1(VALU_DEP_1)
	s_or_b32 exec_lo, exec_lo, s21
	v_mul_f32_e32 v0, v133, v0
                                        ; implicit-def: $vgpr124
	s_delay_alu instid0(VALU_DEP_1) | instskip(NEXT) | instid1(VALU_DEP_1)
	v_and_b32_e32 v1, 0x7f800000, v0
	v_cmp_ne_u32_e64 s1, 0x7f800000, v1
	s_delay_alu instid0(VALU_DEP_1) | instskip(NEXT) | instid1(SALU_CYCLE_1)
	s_and_saveexec_b32 s21, s1
	s_xor_b32 s1, exec_lo, s21
; %bb.889:                              ;   in Loop: Header=BB448_13 Depth=1
	v_bfe_u32 v1, v0, 16, 1
	s_delay_alu instid0(VALU_DEP_1)
	v_add3_u32 v124, v0, v1, 0x7fff
                                        ; implicit-def: $vgpr0
; %bb.890:                              ;   in Loop: Header=BB448_13 Depth=1
	s_and_not1_saveexec_b32 s21, s1
; %bb.891:                              ;   in Loop: Header=BB448_13 Depth=1
	v_and_b32_e32 v1, 0xffff, v0
	v_or_b32_e32 v2, 0x10000, v0
	s_delay_alu instid0(VALU_DEP_2) | instskip(NEXT) | instid1(VALU_DEP_1)
	v_cmp_eq_u32_e64 s1, 0, v1
	v_cndmask_b32_e64 v124, v2, v0, s1
; %bb.892:                              ;   in Loop: Header=BB448_13 Depth=1
	s_or_b32 exec_lo, exec_lo, s21
	v_lshrrev_b16 v1, 8, v31
	v_mov_b32_e32 v0, 0
	s_mov_b32 s21, exec_lo
	s_delay_alu instid0(VALU_DEP_2)
	v_cmpx_ne_u16_e32 0, v1
	s_cbranch_execz .LBB448_900
; %bb.893:                              ;   in Loop: Header=BB448_13 Depth=1
	v_bfrev_b32_e32 v0, 1
	s_mov_b32 s22, exec_lo
	v_cmpx_ne_u16_e32 0x80, v1
	s_cbranch_execz .LBB448_899
; %bb.894:                              ;   in Loop: Header=BB448_13 Depth=1
	v_and_b32_e32 v2, 0xffff, v1
	v_mov_b32_e32 v0, 0x7f800001
	s_mov_b32 s23, exec_lo
	s_delay_alu instid0(VALU_DEP_2) | instskip(NEXT) | instid1(VALU_DEP_1)
	v_and_b32_e32 v1, 0x7f, v2
	v_cmpx_ne_u32_e32 0x7f, v1
	s_cbranch_execz .LBB448_898
; %bb.895:                              ;   in Loop: Header=BB448_13 Depth=1
	v_and_b32_e32 v18, 7, v2
	v_lshrrev_b32_e32 v0, 3, v1
	v_mov_b32_e32 v34, v19
	s_mov_b32 s24, exec_lo
	s_delay_alu instid0(VALU_DEP_3)
	v_mov_b32_e32 v33, v18
	v_cmpx_gt_u32_e32 8, v1
; %bb.896:                              ;   in Loop: Header=BB448_13 Depth=1
	v_clz_i32_u32_e32 v0, v18
	s_delay_alu instid0(VALU_DEP_1) | instskip(NEXT) | instid1(VALU_DEP_1)
	v_min_u32_e32 v0, 32, v0
	v_subrev_nc_u32_e32 v1, 28, v0
	v_sub_nc_u32_e32 v0, 29, v0
	s_delay_alu instid0(VALU_DEP_2) | instskip(NEXT) | instid1(VALU_DEP_1)
	v_lshlrev_b64 v[1:2], v1, v[18:19]
	v_and_b32_e32 v33, 7, v1
; %bb.897:                              ;   in Loop: Header=BB448_13 Depth=1
	s_or_b32 exec_lo, exec_lo, s24
	v_lshlrev_b32_e32 v1, 16, v31
	s_delay_alu instid0(VALU_DEP_2) | instskip(SKIP_1) | instid1(VALU_DEP_3)
	v_lshlrev_b32_e32 v2, 20, v33
	v_lshl_add_u32 v0, v0, 23, 0x3c000000
	v_and_b32_e32 v1, 0x80000000, v1
	s_delay_alu instid0(VALU_DEP_1)
	v_or3_b32 v0, v2, v1, v0
.LBB448_898:                            ;   in Loop: Header=BB448_13 Depth=1
	s_or_b32 exec_lo, exec_lo, s23
.LBB448_899:                            ;   in Loop: Header=BB448_13 Depth=1
	s_delay_alu instid0(SALU_CYCLE_1)
	s_or_b32 exec_lo, exec_lo, s22
.LBB448_900:                            ;   in Loop: Header=BB448_13 Depth=1
	s_delay_alu instid0(SALU_CYCLE_1) | instskip(NEXT) | instid1(VALU_DEP_1)
	s_or_b32 exec_lo, exec_lo, s21
	v_mul_f32_e32 v0, v133, v0
                                        ; implicit-def: $vgpr125
	s_delay_alu instid0(VALU_DEP_1) | instskip(NEXT) | instid1(VALU_DEP_1)
	v_and_b32_e32 v1, 0x7f800000, v0
	v_cmp_ne_u32_e64 s1, 0x7f800000, v1
	s_delay_alu instid0(VALU_DEP_1) | instskip(NEXT) | instid1(SALU_CYCLE_1)
	s_and_saveexec_b32 s21, s1
	s_xor_b32 s1, exec_lo, s21
; %bb.901:                              ;   in Loop: Header=BB448_13 Depth=1
	v_bfe_u32 v1, v0, 16, 1
	s_delay_alu instid0(VALU_DEP_1)
	v_add3_u32 v125, v0, v1, 0x7fff
                                        ; implicit-def: $vgpr0
; %bb.902:                              ;   in Loop: Header=BB448_13 Depth=1
	s_and_not1_saveexec_b32 s21, s1
; %bb.903:                              ;   in Loop: Header=BB448_13 Depth=1
	v_and_b32_e32 v1, 0xffff, v0
	v_or_b32_e32 v2, 0x10000, v0
	s_delay_alu instid0(VALU_DEP_2) | instskip(NEXT) | instid1(VALU_DEP_1)
	v_cmp_eq_u32_e64 s1, 0, v1
	v_cndmask_b32_e64 v125, v2, v0, s1
; %bb.904:                              ;   in Loop: Header=BB448_13 Depth=1
	s_or_b32 exec_lo, exec_lo, s21
	v_lshrrev_b32_e32 v0, 16, v31
	s_mov_b32 s21, exec_lo
	s_delay_alu instid0(VALU_DEP_1) | instskip(NEXT) | instid1(VALU_DEP_1)
	v_dual_mov_b32 v1, 0 :: v_dual_and_b32 v2, 0xff, v0
	v_cmpx_ne_u16_e32 0, v2
	s_cbranch_execz .LBB448_912
; %bb.905:                              ;   in Loop: Header=BB448_13 Depth=1
	v_bfrev_b32_e32 v1, 1
	s_mov_b32 s22, exec_lo
	v_cmpx_ne_u16_e32 0x80, v2
	s_cbranch_execz .LBB448_911
; %bb.906:                              ;   in Loop: Header=BB448_13 Depth=1
	v_bfe_u32 v2, v31, 16, 7
	v_mov_b32_e32 v1, 0x7f800001
	s_mov_b32 s23, exec_lo
	s_delay_alu instid0(VALU_DEP_2)
	v_cmpx_ne_u32_e32 0x7f, v2
	s_cbranch_execz .LBB448_910
; %bb.907:                              ;   in Loop: Header=BB448_13 Depth=1
	v_and_b32_e32 v18, 7, v0
	v_lshrrev_b32_e32 v1, 3, v2
	v_mov_b32_e32 v34, v19
	s_mov_b32 s24, exec_lo
	s_delay_alu instid0(VALU_DEP_3)
	v_mov_b32_e32 v33, v18
	v_cmpx_gt_u32_e32 8, v2
; %bb.908:                              ;   in Loop: Header=BB448_13 Depth=1
	v_clz_i32_u32_e32 v1, v18
	s_delay_alu instid0(VALU_DEP_1) | instskip(NEXT) | instid1(VALU_DEP_1)
	v_min_u32_e32 v1, 32, v1
	v_subrev_nc_u32_e32 v2, 28, v1
	v_sub_nc_u32_e32 v1, 29, v1
	s_delay_alu instid0(VALU_DEP_2) | instskip(NEXT) | instid1(VALU_DEP_1)
	v_lshlrev_b64 v[2:3], v2, v[18:19]
	v_and_b32_e32 v33, 7, v2
; %bb.909:                              ;   in Loop: Header=BB448_13 Depth=1
	s_or_b32 exec_lo, exec_lo, s24
	v_lshlrev_b32_e32 v0, 24, v0
	s_delay_alu instid0(VALU_DEP_2) | instskip(SKIP_1) | instid1(VALU_DEP_3)
	v_lshlrev_b32_e32 v2, 20, v33
	v_lshl_add_u32 v1, v1, 23, 0x3c000000
	v_and_b32_e32 v0, 0x80000000, v0
	s_delay_alu instid0(VALU_DEP_1)
	v_or3_b32 v1, v2, v0, v1
.LBB448_910:                            ;   in Loop: Header=BB448_13 Depth=1
	s_or_b32 exec_lo, exec_lo, s23
.LBB448_911:                            ;   in Loop: Header=BB448_13 Depth=1
	s_delay_alu instid0(SALU_CYCLE_1)
	s_or_b32 exec_lo, exec_lo, s22
.LBB448_912:                            ;   in Loop: Header=BB448_13 Depth=1
	s_delay_alu instid0(SALU_CYCLE_1) | instskip(NEXT) | instid1(VALU_DEP_1)
	s_or_b32 exec_lo, exec_lo, s21
	v_mul_f32_e32 v0, v133, v1
                                        ; implicit-def: $vgpr126
	s_delay_alu instid0(VALU_DEP_1) | instskip(NEXT) | instid1(VALU_DEP_1)
	v_and_b32_e32 v1, 0x7f800000, v0
	v_cmp_ne_u32_e64 s1, 0x7f800000, v1
	s_delay_alu instid0(VALU_DEP_1) | instskip(NEXT) | instid1(SALU_CYCLE_1)
	s_and_saveexec_b32 s21, s1
	s_xor_b32 s1, exec_lo, s21
; %bb.913:                              ;   in Loop: Header=BB448_13 Depth=1
	v_bfe_u32 v1, v0, 16, 1
	s_delay_alu instid0(VALU_DEP_1)
	v_add3_u32 v126, v0, v1, 0x7fff
                                        ; implicit-def: $vgpr0
; %bb.914:                              ;   in Loop: Header=BB448_13 Depth=1
	s_and_not1_saveexec_b32 s21, s1
; %bb.915:                              ;   in Loop: Header=BB448_13 Depth=1
	v_and_b32_e32 v1, 0xffff, v0
	v_or_b32_e32 v2, 0x10000, v0
	s_delay_alu instid0(VALU_DEP_2) | instskip(NEXT) | instid1(VALU_DEP_1)
	v_cmp_eq_u32_e64 s1, 0, v1
	v_cndmask_b32_e64 v126, v2, v0, s1
; %bb.916:                              ;   in Loop: Header=BB448_13 Depth=1
	s_or_b32 exec_lo, exec_lo, s21
	v_mov_b32_e32 v1, 0
	s_mov_b32 s21, exec_lo
	v_cmpx_lt_u32_e32 0xffffff, v31
	s_cbranch_execz .LBB448_924
; %bb.917:                              ;   in Loop: Header=BB448_13 Depth=1
	v_lshrrev_b32_e32 v0, 24, v31
	v_bfrev_b32_e32 v1, 1
	s_mov_b32 s22, exec_lo
	s_delay_alu instid0(VALU_DEP_2)
	v_cmpx_ne_u32_e32 0x80, v0
	s_cbranch_execz .LBB448_923
; %bb.918:                              ;   in Loop: Header=BB448_13 Depth=1
	v_bfe_u32 v2, v31, 24, 7
	v_mov_b32_e32 v1, 0x7f800001
	s_mov_b32 s23, exec_lo
	s_delay_alu instid0(VALU_DEP_2)
	v_cmpx_ne_u32_e32 0x7f, v2
	s_cbranch_execz .LBB448_922
; %bb.919:                              ;   in Loop: Header=BB448_13 Depth=1
	v_and_b32_e32 v18, 7, v0
	v_lshrrev_b32_e32 v1, 3, v2
	v_mov_b32_e32 v34, v19
	s_mov_b32 s24, exec_lo
	s_delay_alu instid0(VALU_DEP_3)
	v_mov_b32_e32 v33, v18
	v_cmpx_gt_u32_e32 8, v2
; %bb.920:                              ;   in Loop: Header=BB448_13 Depth=1
	v_clz_i32_u32_e32 v1, v18
	s_delay_alu instid0(VALU_DEP_1) | instskip(NEXT) | instid1(VALU_DEP_1)
	v_min_u32_e32 v1, 32, v1
	v_subrev_nc_u32_e32 v2, 28, v1
	v_sub_nc_u32_e32 v1, 29, v1
	s_delay_alu instid0(VALU_DEP_2) | instskip(NEXT) | instid1(VALU_DEP_1)
	v_lshlrev_b64 v[2:3], v2, v[18:19]
	v_and_b32_e32 v33, 7, v2
; %bb.921:                              ;   in Loop: Header=BB448_13 Depth=1
	s_or_b32 exec_lo, exec_lo, s24
	v_lshlrev_b32_e32 v0, 24, v0
	s_delay_alu instid0(VALU_DEP_2) | instskip(SKIP_1) | instid1(VALU_DEP_3)
	v_lshlrev_b32_e32 v2, 20, v33
	v_lshl_add_u32 v1, v1, 23, 0x3c000000
	v_and_b32_e32 v0, 0x80000000, v0
	s_delay_alu instid0(VALU_DEP_1)
	v_or3_b32 v1, v2, v0, v1
.LBB448_922:                            ;   in Loop: Header=BB448_13 Depth=1
	s_or_b32 exec_lo, exec_lo, s23
.LBB448_923:                            ;   in Loop: Header=BB448_13 Depth=1
	s_delay_alu instid0(SALU_CYCLE_1)
	s_or_b32 exec_lo, exec_lo, s22
.LBB448_924:                            ;   in Loop: Header=BB448_13 Depth=1
	s_delay_alu instid0(SALU_CYCLE_1) | instskip(NEXT) | instid1(VALU_DEP_1)
	s_or_b32 exec_lo, exec_lo, s21
	v_mul_f32_e32 v0, v133, v1
                                        ; implicit-def: $vgpr127
	s_delay_alu instid0(VALU_DEP_1) | instskip(NEXT) | instid1(VALU_DEP_1)
	v_and_b32_e32 v1, 0x7f800000, v0
	v_cmp_ne_u32_e64 s1, 0x7f800000, v1
	s_delay_alu instid0(VALU_DEP_1) | instskip(NEXT) | instid1(SALU_CYCLE_1)
	s_and_saveexec_b32 s21, s1
	s_xor_b32 s1, exec_lo, s21
; %bb.925:                              ;   in Loop: Header=BB448_13 Depth=1
	v_bfe_u32 v1, v0, 16, 1
	s_delay_alu instid0(VALU_DEP_1)
	v_add3_u32 v127, v0, v1, 0x7fff
                                        ; implicit-def: $vgpr0
; %bb.926:                              ;   in Loop: Header=BB448_13 Depth=1
	s_and_not1_saveexec_b32 s21, s1
; %bb.927:                              ;   in Loop: Header=BB448_13 Depth=1
	v_and_b32_e32 v1, 0xffff, v0
	v_or_b32_e32 v2, 0x10000, v0
	s_delay_alu instid0(VALU_DEP_2) | instskip(NEXT) | instid1(VALU_DEP_1)
	v_cmp_eq_u32_e64 s1, 0, v1
	v_cndmask_b32_e64 v127, v2, v0, s1
; %bb.928:                              ;   in Loop: Header=BB448_13 Depth=1
	s_or_b32 exec_lo, exec_lo, s21
	v_dual_mov_b32 v18, v32 :: v_dual_and_b32 v1, 0xff, v32
	v_mov_b32_e32 v0, 0
	s_mov_b32 s21, exec_lo
	s_delay_alu instid0(VALU_DEP_2)
	v_cmpx_ne_u16_e32 0, v1
	s_cbranch_execz .LBB448_936
; %bb.929:                              ;   in Loop: Header=BB448_13 Depth=1
	v_bfrev_b32_e32 v0, 1
	s_mov_b32 s22, exec_lo
	v_cmpx_ne_u16_e32 0x80, v1
	s_cbranch_execz .LBB448_935
; %bb.930:                              ;   in Loop: Header=BB448_13 Depth=1
	v_and_b32_e32 v1, 0x7f, v32
	v_mov_b32_e32 v0, 0x7f800001
	s_mov_b32 s23, exec_lo
	s_delay_alu instid0(VALU_DEP_2)
	v_cmpx_ne_u32_e32 0x7f, v1
	s_cbranch_execz .LBB448_934
; %bb.931:                              ;   in Loop: Header=BB448_13 Depth=1
	v_lshrrev_b32_e32 v0, 3, v1
	v_dual_mov_b32 v34, v19 :: v_dual_mov_b32 v33, v18
	s_mov_b32 s24, exec_lo
	v_cmpx_gt_u32_e32 8, v1
; %bb.932:                              ;   in Loop: Header=BB448_13 Depth=1
	v_and_b32_e32 v0, 7, v32
	s_delay_alu instid0(VALU_DEP_1) | instskip(NEXT) | instid1(VALU_DEP_1)
	v_clz_i32_u32_e32 v0, v0
	v_min_u32_e32 v0, 32, v0
	s_delay_alu instid0(VALU_DEP_1) | instskip(SKIP_1) | instid1(VALU_DEP_2)
	v_subrev_nc_u32_e32 v1, 28, v0
	v_sub_nc_u32_e32 v0, 29, v0
	v_lshlrev_b64 v[33:34], v1, v[18:19]
; %bb.933:                              ;   in Loop: Header=BB448_13 Depth=1
	s_or_b32 exec_lo, exec_lo, s24
	s_delay_alu instid0(VALU_DEP_1) | instskip(SKIP_2) | instid1(VALU_DEP_3)
	v_lshlrev_b32_e32 v1, 20, v33
	v_lshlrev_b32_e32 v2, 24, v18
	v_lshl_add_u32 v0, v0, 23, 0x3c000000
	v_and_b32_e32 v1, 0x700000, v1
	s_delay_alu instid0(VALU_DEP_3) | instskip(NEXT) | instid1(VALU_DEP_1)
	v_and_b32_e32 v2, 0x80000000, v2
	v_or3_b32 v0, v1, v2, v0
.LBB448_934:                            ;   in Loop: Header=BB448_13 Depth=1
	s_or_b32 exec_lo, exec_lo, s23
.LBB448_935:                            ;   in Loop: Header=BB448_13 Depth=1
	s_delay_alu instid0(SALU_CYCLE_1)
	s_or_b32 exec_lo, exec_lo, s22
.LBB448_936:                            ;   in Loop: Header=BB448_13 Depth=1
	s_delay_alu instid0(SALU_CYCLE_1) | instskip(NEXT) | instid1(VALU_DEP_1)
	s_or_b32 exec_lo, exec_lo, s21
	v_mul_f32_e32 v0, v133, v0
                                        ; implicit-def: $vgpr136
	s_delay_alu instid0(VALU_DEP_1) | instskip(NEXT) | instid1(VALU_DEP_1)
	v_and_b32_e32 v1, 0x7f800000, v0
	v_cmp_ne_u32_e64 s1, 0x7f800000, v1
	s_delay_alu instid0(VALU_DEP_1) | instskip(NEXT) | instid1(SALU_CYCLE_1)
	s_and_saveexec_b32 s21, s1
	s_xor_b32 s1, exec_lo, s21
; %bb.937:                              ;   in Loop: Header=BB448_13 Depth=1
	v_bfe_u32 v1, v0, 16, 1
	s_delay_alu instid0(VALU_DEP_1)
	v_add3_u32 v136, v0, v1, 0x7fff
                                        ; implicit-def: $vgpr0
; %bb.938:                              ;   in Loop: Header=BB448_13 Depth=1
	s_and_not1_saveexec_b32 s21, s1
; %bb.939:                              ;   in Loop: Header=BB448_13 Depth=1
	v_and_b32_e32 v1, 0xffff, v0
	v_or_b32_e32 v2, 0x10000, v0
	s_delay_alu instid0(VALU_DEP_2) | instskip(NEXT) | instid1(VALU_DEP_1)
	v_cmp_eq_u32_e64 s1, 0, v1
	v_cndmask_b32_e64 v136, v2, v0, s1
; %bb.940:                              ;   in Loop: Header=BB448_13 Depth=1
	s_or_b32 exec_lo, exec_lo, s21
	v_lshrrev_b16 v1, 8, v18
	v_mov_b32_e32 v0, 0
	s_mov_b32 s21, exec_lo
	s_delay_alu instid0(VALU_DEP_2)
	v_cmpx_ne_u16_e32 0, v1
	s_cbranch_execz .LBB448_948
; %bb.941:                              ;   in Loop: Header=BB448_13 Depth=1
	v_bfrev_b32_e32 v0, 1
	s_mov_b32 s22, exec_lo
	v_cmpx_ne_u16_e32 0x80, v1
	s_cbranch_execz .LBB448_947
; %bb.942:                              ;   in Loop: Header=BB448_13 Depth=1
	v_and_b32_e32 v2, 0xffff, v1
	v_mov_b32_e32 v0, 0x7f800001
	s_mov_b32 s23, exec_lo
	s_delay_alu instid0(VALU_DEP_2) | instskip(NEXT) | instid1(VALU_DEP_1)
	v_and_b32_e32 v1, 0x7f, v2
	v_cmpx_ne_u32_e32 0x7f, v1
	s_cbranch_execz .LBB448_946
; %bb.943:                              ;   in Loop: Header=BB448_13 Depth=1
	v_dual_mov_b32 v34, v19 :: v_dual_and_b32 v33, 7, v2
	v_lshrrev_b32_e32 v0, 3, v1
	s_mov_b32 s24, exec_lo
	v_cmpx_gt_u32_e32 8, v1
; %bb.944:                              ;   in Loop: Header=BB448_13 Depth=1
	s_delay_alu instid0(VALU_DEP_3) | instskip(NEXT) | instid1(VALU_DEP_1)
	v_clz_i32_u32_e32 v0, v33
	v_min_u32_e32 v0, 32, v0
	s_delay_alu instid0(VALU_DEP_1) | instskip(SKIP_1) | instid1(VALU_DEP_2)
	v_subrev_nc_u32_e32 v1, 28, v0
	v_sub_nc_u32_e32 v0, 29, v0
	v_lshlrev_b64 v[1:2], v1, v[33:34]
	s_delay_alu instid0(VALU_DEP_1)
	v_and_b32_e32 v33, 7, v1
; %bb.945:                              ;   in Loop: Header=BB448_13 Depth=1
	s_or_b32 exec_lo, exec_lo, s24
	v_lshlrev_b32_e32 v1, 16, v18
	s_delay_alu instid0(VALU_DEP_2) | instskip(SKIP_1) | instid1(VALU_DEP_3)
	v_lshlrev_b32_e32 v2, 20, v33
	v_lshl_add_u32 v0, v0, 23, 0x3c000000
	v_and_b32_e32 v1, 0x80000000, v1
	s_delay_alu instid0(VALU_DEP_1)
	v_or3_b32 v0, v2, v1, v0
.LBB448_946:                            ;   in Loop: Header=BB448_13 Depth=1
	s_or_b32 exec_lo, exec_lo, s23
.LBB448_947:                            ;   in Loop: Header=BB448_13 Depth=1
	s_delay_alu instid0(SALU_CYCLE_1)
	s_or_b32 exec_lo, exec_lo, s22
.LBB448_948:                            ;   in Loop: Header=BB448_13 Depth=1
	s_delay_alu instid0(SALU_CYCLE_1) | instskip(NEXT) | instid1(VALU_DEP_1)
	s_or_b32 exec_lo, exec_lo, s21
	v_mul_f32_e32 v0, v133, v0
                                        ; implicit-def: $vgpr137
	s_delay_alu instid0(VALU_DEP_1) | instskip(NEXT) | instid1(VALU_DEP_1)
	v_and_b32_e32 v1, 0x7f800000, v0
	v_cmp_ne_u32_e64 s1, 0x7f800000, v1
	s_delay_alu instid0(VALU_DEP_1) | instskip(NEXT) | instid1(SALU_CYCLE_1)
	s_and_saveexec_b32 s21, s1
	s_xor_b32 s1, exec_lo, s21
; %bb.949:                              ;   in Loop: Header=BB448_13 Depth=1
	v_bfe_u32 v1, v0, 16, 1
	s_delay_alu instid0(VALU_DEP_1)
	v_add3_u32 v137, v0, v1, 0x7fff
                                        ; implicit-def: $vgpr0
; %bb.950:                              ;   in Loop: Header=BB448_13 Depth=1
	s_and_not1_saveexec_b32 s21, s1
; %bb.951:                              ;   in Loop: Header=BB448_13 Depth=1
	v_and_b32_e32 v1, 0xffff, v0
	v_or_b32_e32 v2, 0x10000, v0
	s_delay_alu instid0(VALU_DEP_2) | instskip(NEXT) | instid1(VALU_DEP_1)
	v_cmp_eq_u32_e64 s1, 0, v1
	v_cndmask_b32_e64 v137, v2, v0, s1
; %bb.952:                              ;   in Loop: Header=BB448_13 Depth=1
	s_or_b32 exec_lo, exec_lo, s21
	v_lshrrev_b32_e32 v0, 16, v32
	s_mov_b32 s21, exec_lo
	s_delay_alu instid0(VALU_DEP_1) | instskip(NEXT) | instid1(VALU_DEP_1)
	v_dual_mov_b32 v1, 0 :: v_dual_and_b32 v2, 0xff, v0
	v_cmpx_ne_u16_e32 0, v2
	s_cbranch_execz .LBB448_960
; %bb.953:                              ;   in Loop: Header=BB448_13 Depth=1
	v_bfrev_b32_e32 v1, 1
	s_mov_b32 s22, exec_lo
	v_cmpx_ne_u16_e32 0x80, v2
	s_cbranch_execz .LBB448_959
; %bb.954:                              ;   in Loop: Header=BB448_13 Depth=1
	v_bfe_u32 v2, v32, 16, 7
	v_mov_b32_e32 v1, 0x7f800001
	s_mov_b32 s23, exec_lo
	s_delay_alu instid0(VALU_DEP_2)
	v_cmpx_ne_u32_e32 0x7f, v2
	s_cbranch_execz .LBB448_958
; %bb.955:                              ;   in Loop: Header=BB448_13 Depth=1
	v_and_b32_e32 v18, 7, v0
	v_lshrrev_b32_e32 v1, 3, v2
	v_mov_b32_e32 v34, v19
	s_mov_b32 s24, exec_lo
	s_delay_alu instid0(VALU_DEP_3)
	v_mov_b32_e32 v33, v18
	v_cmpx_gt_u32_e32 8, v2
; %bb.956:                              ;   in Loop: Header=BB448_13 Depth=1
	v_clz_i32_u32_e32 v1, v18
	s_delay_alu instid0(VALU_DEP_1) | instskip(NEXT) | instid1(VALU_DEP_1)
	v_min_u32_e32 v1, 32, v1
	v_subrev_nc_u32_e32 v2, 28, v1
	v_sub_nc_u32_e32 v1, 29, v1
	s_delay_alu instid0(VALU_DEP_2) | instskip(NEXT) | instid1(VALU_DEP_1)
	v_lshlrev_b64 v[2:3], v2, v[18:19]
	v_and_b32_e32 v33, 7, v2
; %bb.957:                              ;   in Loop: Header=BB448_13 Depth=1
	s_or_b32 exec_lo, exec_lo, s24
	v_lshlrev_b32_e32 v0, 24, v0
	s_delay_alu instid0(VALU_DEP_2) | instskip(SKIP_1) | instid1(VALU_DEP_3)
	v_lshlrev_b32_e32 v2, 20, v33
	v_lshl_add_u32 v1, v1, 23, 0x3c000000
	v_and_b32_e32 v0, 0x80000000, v0
	s_delay_alu instid0(VALU_DEP_1)
	v_or3_b32 v1, v2, v0, v1
.LBB448_958:                            ;   in Loop: Header=BB448_13 Depth=1
	s_or_b32 exec_lo, exec_lo, s23
.LBB448_959:                            ;   in Loop: Header=BB448_13 Depth=1
	s_delay_alu instid0(SALU_CYCLE_1)
	s_or_b32 exec_lo, exec_lo, s22
.LBB448_960:                            ;   in Loop: Header=BB448_13 Depth=1
	s_delay_alu instid0(SALU_CYCLE_1) | instskip(NEXT) | instid1(VALU_DEP_1)
	s_or_b32 exec_lo, exec_lo, s21
	v_mul_f32_e32 v0, v133, v1
                                        ; implicit-def: $vgpr138
	s_delay_alu instid0(VALU_DEP_1) | instskip(NEXT) | instid1(VALU_DEP_1)
	v_and_b32_e32 v1, 0x7f800000, v0
	v_cmp_ne_u32_e64 s1, 0x7f800000, v1
	s_delay_alu instid0(VALU_DEP_1) | instskip(NEXT) | instid1(SALU_CYCLE_1)
	s_and_saveexec_b32 s21, s1
	s_xor_b32 s1, exec_lo, s21
; %bb.961:                              ;   in Loop: Header=BB448_13 Depth=1
	v_bfe_u32 v1, v0, 16, 1
	s_delay_alu instid0(VALU_DEP_1)
	v_add3_u32 v138, v0, v1, 0x7fff
                                        ; implicit-def: $vgpr0
; %bb.962:                              ;   in Loop: Header=BB448_13 Depth=1
	s_and_not1_saveexec_b32 s21, s1
; %bb.963:                              ;   in Loop: Header=BB448_13 Depth=1
	v_and_b32_e32 v1, 0xffff, v0
	v_or_b32_e32 v2, 0x10000, v0
	s_delay_alu instid0(VALU_DEP_2) | instskip(NEXT) | instid1(VALU_DEP_1)
	v_cmp_eq_u32_e64 s1, 0, v1
	v_cndmask_b32_e64 v138, v2, v0, s1
; %bb.964:                              ;   in Loop: Header=BB448_13 Depth=1
	s_or_b32 exec_lo, exec_lo, s21
	v_mov_b32_e32 v1, 0
	s_mov_b32 s21, exec_lo
	v_cmpx_lt_u64_e64 s[16:17], v[31:32]
	s_cbranch_execz .LBB448_972
; %bb.965:                              ;   in Loop: Header=BB448_13 Depth=1
	v_lshrrev_b32_e32 v0, 24, v32
	v_bfrev_b32_e32 v1, 1
	s_mov_b32 s22, exec_lo
	s_delay_alu instid0(VALU_DEP_2)
	v_cmpx_ne_u32_e32 0x80, v0
	s_cbranch_execz .LBB448_971
; %bb.966:                              ;   in Loop: Header=BB448_13 Depth=1
	v_bfe_u32 v2, v32, 24, 7
	v_mov_b32_e32 v1, 0x7f800001
	s_mov_b32 s23, exec_lo
	s_delay_alu instid0(VALU_DEP_2)
	v_cmpx_ne_u32_e32 0x7f, v2
	s_cbranch_execz .LBB448_970
; %bb.967:                              ;   in Loop: Header=BB448_13 Depth=1
	v_and_b32_e32 v18, 7, v0
	v_lshrrev_b32_e32 v1, 3, v2
	v_mov_b32_e32 v32, v19
	s_mov_b32 s24, exec_lo
	s_delay_alu instid0(VALU_DEP_3)
	v_mov_b32_e32 v31, v18
	v_cmpx_gt_u32_e32 8, v2
; %bb.968:                              ;   in Loop: Header=BB448_13 Depth=1
	v_clz_i32_u32_e32 v1, v18
	s_delay_alu instid0(VALU_DEP_1) | instskip(NEXT) | instid1(VALU_DEP_1)
	v_min_u32_e32 v1, 32, v1
	v_subrev_nc_u32_e32 v2, 28, v1
	v_sub_nc_u32_e32 v1, 29, v1
	s_delay_alu instid0(VALU_DEP_2) | instskip(NEXT) | instid1(VALU_DEP_1)
	v_lshlrev_b64 v[2:3], v2, v[18:19]
	v_and_b32_e32 v31, 7, v2
; %bb.969:                              ;   in Loop: Header=BB448_13 Depth=1
	s_or_b32 exec_lo, exec_lo, s24
	v_lshlrev_b32_e32 v0, 24, v0
	s_delay_alu instid0(VALU_DEP_2) | instskip(SKIP_1) | instid1(VALU_DEP_3)
	v_lshlrev_b32_e32 v2, 20, v31
	v_lshl_add_u32 v1, v1, 23, 0x3c000000
	v_and_b32_e32 v0, 0x80000000, v0
	s_delay_alu instid0(VALU_DEP_1)
	v_or3_b32 v1, v2, v0, v1
.LBB448_970:                            ;   in Loop: Header=BB448_13 Depth=1
	s_or_b32 exec_lo, exec_lo, s23
.LBB448_971:                            ;   in Loop: Header=BB448_13 Depth=1
	s_delay_alu instid0(SALU_CYCLE_1)
	s_or_b32 exec_lo, exec_lo, s22
.LBB448_972:                            ;   in Loop: Header=BB448_13 Depth=1
	s_delay_alu instid0(SALU_CYCLE_1) | instskip(NEXT) | instid1(VALU_DEP_1)
	s_or_b32 exec_lo, exec_lo, s21
	v_mul_f32_e32 v0, v133, v1
                                        ; implicit-def: $vgpr139
	s_delay_alu instid0(VALU_DEP_1) | instskip(NEXT) | instid1(VALU_DEP_1)
	v_and_b32_e32 v1, 0x7f800000, v0
	v_cmp_ne_u32_e64 s1, 0x7f800000, v1
	s_delay_alu instid0(VALU_DEP_1) | instskip(NEXT) | instid1(SALU_CYCLE_1)
	s_and_saveexec_b32 s21, s1
	s_xor_b32 s1, exec_lo, s21
; %bb.973:                              ;   in Loop: Header=BB448_13 Depth=1
	v_bfe_u32 v1, v0, 16, 1
	s_delay_alu instid0(VALU_DEP_1)
	v_add3_u32 v139, v0, v1, 0x7fff
                                        ; implicit-def: $vgpr0
; %bb.974:                              ;   in Loop: Header=BB448_13 Depth=1
	s_and_not1_saveexec_b32 s21, s1
; %bb.975:                              ;   in Loop: Header=BB448_13 Depth=1
	v_and_b32_e32 v1, 0xffff, v0
	v_or_b32_e32 v2, 0x10000, v0
	s_delay_alu instid0(VALU_DEP_2) | instskip(NEXT) | instid1(VALU_DEP_1)
	v_cmp_eq_u32_e64 s1, 0, v1
	v_cndmask_b32_e64 v139, v2, v0, s1
; %bb.976:                              ;   in Loop: Header=BB448_13 Depth=1
	s_or_b32 exec_lo, exec_lo, s21
	flat_load_b64 v[31:32], v[28:29] offset:2560
	s_mov_b32 s21, exec_lo
	s_waitcnt vmcnt(0) lgkmcnt(0)
	v_dual_mov_b32 v0, 0 :: v_dual_and_b32 v1, 0xff, v31
	s_delay_alu instid0(VALU_DEP_1)
	v_cmpx_ne_u16_e32 0, v1
	s_cbranch_execz .LBB448_984
; %bb.977:                              ;   in Loop: Header=BB448_13 Depth=1
	v_bfrev_b32_e32 v0, 1
	s_mov_b32 s22, exec_lo
	v_cmpx_ne_u16_e32 0x80, v1
	s_cbranch_execz .LBB448_983
; %bb.978:                              ;   in Loop: Header=BB448_13 Depth=1
	v_and_b32_e32 v1, 0x7f, v31
	v_mov_b32_e32 v0, 0x7f800001
	s_mov_b32 s23, exec_lo
	s_delay_alu instid0(VALU_DEP_2)
	v_cmpx_ne_u32_e32 0x7f, v1
	s_cbranch_execz .LBB448_982
; %bb.979:                              ;   in Loop: Header=BB448_13 Depth=1
	v_lshrrev_b32_e32 v0, 3, v1
	v_dual_mov_b32 v34, v32 :: v_dual_mov_b32 v33, v31
	s_mov_b32 s24, exec_lo
	v_cmpx_gt_u32_e32 8, v1
; %bb.980:                              ;   in Loop: Header=BB448_13 Depth=1
	v_and_b32_e32 v0, 7, v31
	s_delay_alu instid0(VALU_DEP_1) | instskip(NEXT) | instid1(VALU_DEP_1)
	v_clz_i32_u32_e32 v0, v0
	v_min_u32_e32 v0, 32, v0
	s_delay_alu instid0(VALU_DEP_1) | instskip(SKIP_1) | instid1(VALU_DEP_2)
	v_subrev_nc_u32_e32 v1, 28, v0
	v_sub_nc_u32_e32 v0, 29, v0
	v_lshlrev_b64 v[33:34], v1, v[31:32]
; %bb.981:                              ;   in Loop: Header=BB448_13 Depth=1
	s_or_b32 exec_lo, exec_lo, s24
	s_delay_alu instid0(VALU_DEP_1) | instskip(SKIP_2) | instid1(VALU_DEP_3)
	v_lshlrev_b32_e32 v1, 20, v33
	v_lshlrev_b32_e32 v2, 24, v31
	v_lshl_add_u32 v0, v0, 23, 0x3c000000
	v_and_b32_e32 v1, 0x700000, v1
	s_delay_alu instid0(VALU_DEP_3) | instskip(NEXT) | instid1(VALU_DEP_1)
	v_and_b32_e32 v2, 0x80000000, v2
	v_or3_b32 v0, v1, v2, v0
.LBB448_982:                            ;   in Loop: Header=BB448_13 Depth=1
	s_or_b32 exec_lo, exec_lo, s23
.LBB448_983:                            ;   in Loop: Header=BB448_13 Depth=1
	s_delay_alu instid0(SALU_CYCLE_1)
	s_or_b32 exec_lo, exec_lo, s22
.LBB448_984:                            ;   in Loop: Header=BB448_13 Depth=1
	s_delay_alu instid0(SALU_CYCLE_1) | instskip(NEXT) | instid1(VALU_DEP_1)
	s_or_b32 exec_lo, exec_lo, s21
	v_mul_f32_e32 v0, v133, v0
                                        ; implicit-def: $vgpr140
	s_delay_alu instid0(VALU_DEP_1) | instskip(NEXT) | instid1(VALU_DEP_1)
	v_and_b32_e32 v1, 0x7f800000, v0
	v_cmp_ne_u32_e64 s1, 0x7f800000, v1
	s_delay_alu instid0(VALU_DEP_1) | instskip(NEXT) | instid1(SALU_CYCLE_1)
	s_and_saveexec_b32 s21, s1
	s_xor_b32 s1, exec_lo, s21
; %bb.985:                              ;   in Loop: Header=BB448_13 Depth=1
	v_bfe_u32 v1, v0, 16, 1
	s_delay_alu instid0(VALU_DEP_1)
	v_add3_u32 v140, v0, v1, 0x7fff
                                        ; implicit-def: $vgpr0
; %bb.986:                              ;   in Loop: Header=BB448_13 Depth=1
	s_and_not1_saveexec_b32 s21, s1
; %bb.987:                              ;   in Loop: Header=BB448_13 Depth=1
	v_and_b32_e32 v1, 0xffff, v0
	v_or_b32_e32 v2, 0x10000, v0
	s_delay_alu instid0(VALU_DEP_2) | instskip(NEXT) | instid1(VALU_DEP_1)
	v_cmp_eq_u32_e64 s1, 0, v1
	v_cndmask_b32_e64 v140, v2, v0, s1
; %bb.988:                              ;   in Loop: Header=BB448_13 Depth=1
	s_or_b32 exec_lo, exec_lo, s21
	v_lshrrev_b16 v1, 8, v31
	v_mov_b32_e32 v0, 0
	s_mov_b32 s21, exec_lo
	s_delay_alu instid0(VALU_DEP_2)
	v_cmpx_ne_u16_e32 0, v1
	s_cbranch_execz .LBB448_996
; %bb.989:                              ;   in Loop: Header=BB448_13 Depth=1
	v_bfrev_b32_e32 v0, 1
	s_mov_b32 s22, exec_lo
	v_cmpx_ne_u16_e32 0x80, v1
	s_cbranch_execz .LBB448_995
; %bb.990:                              ;   in Loop: Header=BB448_13 Depth=1
	v_and_b32_e32 v2, 0xffff, v1
	v_mov_b32_e32 v0, 0x7f800001
	s_mov_b32 s23, exec_lo
	s_delay_alu instid0(VALU_DEP_2) | instskip(NEXT) | instid1(VALU_DEP_1)
	v_and_b32_e32 v1, 0x7f, v2
	v_cmpx_ne_u32_e32 0x7f, v1
	s_cbranch_execz .LBB448_994
; %bb.991:                              ;   in Loop: Header=BB448_13 Depth=1
	v_and_b32_e32 v18, 7, v2
	v_lshrrev_b32_e32 v0, 3, v1
	v_mov_b32_e32 v34, v19
	s_mov_b32 s24, exec_lo
	s_delay_alu instid0(VALU_DEP_3)
	v_mov_b32_e32 v33, v18
	v_cmpx_gt_u32_e32 8, v1
; %bb.992:                              ;   in Loop: Header=BB448_13 Depth=1
	v_clz_i32_u32_e32 v0, v18
	s_delay_alu instid0(VALU_DEP_1) | instskip(NEXT) | instid1(VALU_DEP_1)
	v_min_u32_e32 v0, 32, v0
	v_subrev_nc_u32_e32 v1, 28, v0
	v_sub_nc_u32_e32 v0, 29, v0
	s_delay_alu instid0(VALU_DEP_2) | instskip(NEXT) | instid1(VALU_DEP_1)
	v_lshlrev_b64 v[1:2], v1, v[18:19]
	v_and_b32_e32 v33, 7, v1
; %bb.993:                              ;   in Loop: Header=BB448_13 Depth=1
	s_or_b32 exec_lo, exec_lo, s24
	v_lshlrev_b32_e32 v1, 16, v31
	s_delay_alu instid0(VALU_DEP_2) | instskip(SKIP_1) | instid1(VALU_DEP_3)
	v_lshlrev_b32_e32 v2, 20, v33
	v_lshl_add_u32 v0, v0, 23, 0x3c000000
	v_and_b32_e32 v1, 0x80000000, v1
	s_delay_alu instid0(VALU_DEP_1)
	v_or3_b32 v0, v2, v1, v0
.LBB448_994:                            ;   in Loop: Header=BB448_13 Depth=1
	s_or_b32 exec_lo, exec_lo, s23
.LBB448_995:                            ;   in Loop: Header=BB448_13 Depth=1
	s_delay_alu instid0(SALU_CYCLE_1)
	s_or_b32 exec_lo, exec_lo, s22
.LBB448_996:                            ;   in Loop: Header=BB448_13 Depth=1
	s_delay_alu instid0(SALU_CYCLE_1) | instskip(NEXT) | instid1(VALU_DEP_1)
	s_or_b32 exec_lo, exec_lo, s21
	v_mul_f32_e32 v0, v133, v0
                                        ; implicit-def: $vgpr141
	s_delay_alu instid0(VALU_DEP_1) | instskip(NEXT) | instid1(VALU_DEP_1)
	v_and_b32_e32 v1, 0x7f800000, v0
	v_cmp_ne_u32_e64 s1, 0x7f800000, v1
	s_delay_alu instid0(VALU_DEP_1) | instskip(NEXT) | instid1(SALU_CYCLE_1)
	s_and_saveexec_b32 s21, s1
	s_xor_b32 s1, exec_lo, s21
; %bb.997:                              ;   in Loop: Header=BB448_13 Depth=1
	v_bfe_u32 v1, v0, 16, 1
	s_delay_alu instid0(VALU_DEP_1)
	v_add3_u32 v141, v0, v1, 0x7fff
                                        ; implicit-def: $vgpr0
; %bb.998:                              ;   in Loop: Header=BB448_13 Depth=1
	s_and_not1_saveexec_b32 s21, s1
; %bb.999:                              ;   in Loop: Header=BB448_13 Depth=1
	v_and_b32_e32 v1, 0xffff, v0
	v_or_b32_e32 v2, 0x10000, v0
	s_delay_alu instid0(VALU_DEP_2) | instskip(NEXT) | instid1(VALU_DEP_1)
	v_cmp_eq_u32_e64 s1, 0, v1
	v_cndmask_b32_e64 v141, v2, v0, s1
; %bb.1000:                             ;   in Loop: Header=BB448_13 Depth=1
	s_or_b32 exec_lo, exec_lo, s21
	v_lshrrev_b32_e32 v0, 16, v31
	s_mov_b32 s21, exec_lo
	s_delay_alu instid0(VALU_DEP_1) | instskip(NEXT) | instid1(VALU_DEP_1)
	v_dual_mov_b32 v1, 0 :: v_dual_and_b32 v2, 0xff, v0
	v_cmpx_ne_u16_e32 0, v2
	s_cbranch_execz .LBB448_1008
; %bb.1001:                             ;   in Loop: Header=BB448_13 Depth=1
	v_bfrev_b32_e32 v1, 1
	s_mov_b32 s22, exec_lo
	v_cmpx_ne_u16_e32 0x80, v2
	s_cbranch_execz .LBB448_1007
; %bb.1002:                             ;   in Loop: Header=BB448_13 Depth=1
	v_bfe_u32 v2, v31, 16, 7
	v_mov_b32_e32 v1, 0x7f800001
	s_mov_b32 s23, exec_lo
	s_delay_alu instid0(VALU_DEP_2)
	v_cmpx_ne_u32_e32 0x7f, v2
	s_cbranch_execz .LBB448_1006
; %bb.1003:                             ;   in Loop: Header=BB448_13 Depth=1
	v_and_b32_e32 v18, 7, v0
	v_lshrrev_b32_e32 v1, 3, v2
	v_mov_b32_e32 v34, v19
	s_mov_b32 s24, exec_lo
	s_delay_alu instid0(VALU_DEP_3)
	v_mov_b32_e32 v33, v18
	v_cmpx_gt_u32_e32 8, v2
; %bb.1004:                             ;   in Loop: Header=BB448_13 Depth=1
	v_clz_i32_u32_e32 v1, v18
	s_delay_alu instid0(VALU_DEP_1) | instskip(NEXT) | instid1(VALU_DEP_1)
	v_min_u32_e32 v1, 32, v1
	v_subrev_nc_u32_e32 v2, 28, v1
	v_sub_nc_u32_e32 v1, 29, v1
	s_delay_alu instid0(VALU_DEP_2) | instskip(NEXT) | instid1(VALU_DEP_1)
	v_lshlrev_b64 v[2:3], v2, v[18:19]
	v_and_b32_e32 v33, 7, v2
; %bb.1005:                             ;   in Loop: Header=BB448_13 Depth=1
	s_or_b32 exec_lo, exec_lo, s24
	v_lshlrev_b32_e32 v0, 24, v0
	s_delay_alu instid0(VALU_DEP_2) | instskip(SKIP_1) | instid1(VALU_DEP_3)
	v_lshlrev_b32_e32 v2, 20, v33
	v_lshl_add_u32 v1, v1, 23, 0x3c000000
	v_and_b32_e32 v0, 0x80000000, v0
	s_delay_alu instid0(VALU_DEP_1)
	v_or3_b32 v1, v2, v0, v1
.LBB448_1006:                           ;   in Loop: Header=BB448_13 Depth=1
	s_or_b32 exec_lo, exec_lo, s23
.LBB448_1007:                           ;   in Loop: Header=BB448_13 Depth=1
	s_delay_alu instid0(SALU_CYCLE_1)
	s_or_b32 exec_lo, exec_lo, s22
.LBB448_1008:                           ;   in Loop: Header=BB448_13 Depth=1
	s_delay_alu instid0(SALU_CYCLE_1) | instskip(NEXT) | instid1(VALU_DEP_1)
	s_or_b32 exec_lo, exec_lo, s21
	v_mul_f32_e32 v0, v133, v1
                                        ; implicit-def: $vgpr142
	s_delay_alu instid0(VALU_DEP_1) | instskip(NEXT) | instid1(VALU_DEP_1)
	v_and_b32_e32 v1, 0x7f800000, v0
	v_cmp_ne_u32_e64 s1, 0x7f800000, v1
	s_delay_alu instid0(VALU_DEP_1) | instskip(NEXT) | instid1(SALU_CYCLE_1)
	s_and_saveexec_b32 s21, s1
	s_xor_b32 s1, exec_lo, s21
; %bb.1009:                             ;   in Loop: Header=BB448_13 Depth=1
	v_bfe_u32 v1, v0, 16, 1
	s_delay_alu instid0(VALU_DEP_1)
	v_add3_u32 v142, v0, v1, 0x7fff
                                        ; implicit-def: $vgpr0
; %bb.1010:                             ;   in Loop: Header=BB448_13 Depth=1
	s_and_not1_saveexec_b32 s21, s1
; %bb.1011:                             ;   in Loop: Header=BB448_13 Depth=1
	v_and_b32_e32 v1, 0xffff, v0
	v_or_b32_e32 v2, 0x10000, v0
	s_delay_alu instid0(VALU_DEP_2) | instskip(NEXT) | instid1(VALU_DEP_1)
	v_cmp_eq_u32_e64 s1, 0, v1
	v_cndmask_b32_e64 v142, v2, v0, s1
; %bb.1012:                             ;   in Loop: Header=BB448_13 Depth=1
	s_or_b32 exec_lo, exec_lo, s21
	v_mov_b32_e32 v1, 0
	s_mov_b32 s21, exec_lo
	v_cmpx_lt_u32_e32 0xffffff, v31
	s_cbranch_execz .LBB448_1020
; %bb.1013:                             ;   in Loop: Header=BB448_13 Depth=1
	v_lshrrev_b32_e32 v0, 24, v31
	v_bfrev_b32_e32 v1, 1
	s_mov_b32 s22, exec_lo
	s_delay_alu instid0(VALU_DEP_2)
	v_cmpx_ne_u32_e32 0x80, v0
	s_cbranch_execz .LBB448_1019
; %bb.1014:                             ;   in Loop: Header=BB448_13 Depth=1
	v_bfe_u32 v2, v31, 24, 7
	v_mov_b32_e32 v1, 0x7f800001
	s_mov_b32 s23, exec_lo
	s_delay_alu instid0(VALU_DEP_2)
	v_cmpx_ne_u32_e32 0x7f, v2
	s_cbranch_execz .LBB448_1018
; %bb.1015:                             ;   in Loop: Header=BB448_13 Depth=1
	v_and_b32_e32 v18, 7, v0
	v_lshrrev_b32_e32 v1, 3, v2
	v_mov_b32_e32 v34, v19
	s_mov_b32 s24, exec_lo
	s_delay_alu instid0(VALU_DEP_3)
	v_mov_b32_e32 v33, v18
	v_cmpx_gt_u32_e32 8, v2
; %bb.1016:                             ;   in Loop: Header=BB448_13 Depth=1
	v_clz_i32_u32_e32 v1, v18
	s_delay_alu instid0(VALU_DEP_1) | instskip(NEXT) | instid1(VALU_DEP_1)
	v_min_u32_e32 v1, 32, v1
	v_subrev_nc_u32_e32 v2, 28, v1
	v_sub_nc_u32_e32 v1, 29, v1
	s_delay_alu instid0(VALU_DEP_2) | instskip(NEXT) | instid1(VALU_DEP_1)
	v_lshlrev_b64 v[2:3], v2, v[18:19]
	v_and_b32_e32 v33, 7, v2
; %bb.1017:                             ;   in Loop: Header=BB448_13 Depth=1
	s_or_b32 exec_lo, exec_lo, s24
	v_lshlrev_b32_e32 v0, 24, v0
	s_delay_alu instid0(VALU_DEP_2) | instskip(SKIP_1) | instid1(VALU_DEP_3)
	v_lshlrev_b32_e32 v2, 20, v33
	v_lshl_add_u32 v1, v1, 23, 0x3c000000
	v_and_b32_e32 v0, 0x80000000, v0
	s_delay_alu instid0(VALU_DEP_1)
	v_or3_b32 v1, v2, v0, v1
.LBB448_1018:                           ;   in Loop: Header=BB448_13 Depth=1
	s_or_b32 exec_lo, exec_lo, s23
.LBB448_1019:                           ;   in Loop: Header=BB448_13 Depth=1
	s_delay_alu instid0(SALU_CYCLE_1)
	s_or_b32 exec_lo, exec_lo, s22
.LBB448_1020:                           ;   in Loop: Header=BB448_13 Depth=1
	s_delay_alu instid0(SALU_CYCLE_1) | instskip(NEXT) | instid1(VALU_DEP_1)
	s_or_b32 exec_lo, exec_lo, s21
	v_mul_f32_e32 v0, v133, v1
                                        ; implicit-def: $vgpr143
	s_delay_alu instid0(VALU_DEP_1) | instskip(NEXT) | instid1(VALU_DEP_1)
	v_and_b32_e32 v1, 0x7f800000, v0
	v_cmp_ne_u32_e64 s1, 0x7f800000, v1
	s_delay_alu instid0(VALU_DEP_1) | instskip(NEXT) | instid1(SALU_CYCLE_1)
	s_and_saveexec_b32 s21, s1
	s_xor_b32 s1, exec_lo, s21
; %bb.1021:                             ;   in Loop: Header=BB448_13 Depth=1
	v_bfe_u32 v1, v0, 16, 1
	s_delay_alu instid0(VALU_DEP_1)
	v_add3_u32 v143, v0, v1, 0x7fff
                                        ; implicit-def: $vgpr0
; %bb.1022:                             ;   in Loop: Header=BB448_13 Depth=1
	s_and_not1_saveexec_b32 s21, s1
; %bb.1023:                             ;   in Loop: Header=BB448_13 Depth=1
	v_and_b32_e32 v1, 0xffff, v0
	v_or_b32_e32 v2, 0x10000, v0
	s_delay_alu instid0(VALU_DEP_2) | instskip(NEXT) | instid1(VALU_DEP_1)
	v_cmp_eq_u32_e64 s1, 0, v1
	v_cndmask_b32_e64 v143, v2, v0, s1
; %bb.1024:                             ;   in Loop: Header=BB448_13 Depth=1
	s_or_b32 exec_lo, exec_lo, s21
	v_dual_mov_b32 v18, v32 :: v_dual_and_b32 v1, 0xff, v32
	v_mov_b32_e32 v0, 0
	s_mov_b32 s21, exec_lo
	s_delay_alu instid0(VALU_DEP_2)
	v_cmpx_ne_u16_e32 0, v1
	s_cbranch_execz .LBB448_1032
; %bb.1025:                             ;   in Loop: Header=BB448_13 Depth=1
	v_bfrev_b32_e32 v0, 1
	s_mov_b32 s22, exec_lo
	v_cmpx_ne_u16_e32 0x80, v1
	s_cbranch_execz .LBB448_1031
; %bb.1026:                             ;   in Loop: Header=BB448_13 Depth=1
	v_and_b32_e32 v1, 0x7f, v32
	v_mov_b32_e32 v0, 0x7f800001
	s_mov_b32 s23, exec_lo
	s_delay_alu instid0(VALU_DEP_2)
	v_cmpx_ne_u32_e32 0x7f, v1
	s_cbranch_execz .LBB448_1030
; %bb.1027:                             ;   in Loop: Header=BB448_13 Depth=1
	v_lshrrev_b32_e32 v0, 3, v1
	v_dual_mov_b32 v34, v19 :: v_dual_mov_b32 v33, v18
	s_mov_b32 s24, exec_lo
	v_cmpx_gt_u32_e32 8, v1
; %bb.1028:                             ;   in Loop: Header=BB448_13 Depth=1
	v_and_b32_e32 v0, 7, v32
	s_delay_alu instid0(VALU_DEP_1) | instskip(NEXT) | instid1(VALU_DEP_1)
	v_clz_i32_u32_e32 v0, v0
	v_min_u32_e32 v0, 32, v0
	s_delay_alu instid0(VALU_DEP_1) | instskip(SKIP_1) | instid1(VALU_DEP_2)
	v_subrev_nc_u32_e32 v1, 28, v0
	v_sub_nc_u32_e32 v0, 29, v0
	v_lshlrev_b64 v[33:34], v1, v[18:19]
; %bb.1029:                             ;   in Loop: Header=BB448_13 Depth=1
	s_or_b32 exec_lo, exec_lo, s24
	s_delay_alu instid0(VALU_DEP_1) | instskip(SKIP_2) | instid1(VALU_DEP_3)
	v_lshlrev_b32_e32 v1, 20, v33
	v_lshlrev_b32_e32 v2, 24, v18
	v_lshl_add_u32 v0, v0, 23, 0x3c000000
	v_and_b32_e32 v1, 0x700000, v1
	s_delay_alu instid0(VALU_DEP_3) | instskip(NEXT) | instid1(VALU_DEP_1)
	v_and_b32_e32 v2, 0x80000000, v2
	v_or3_b32 v0, v1, v2, v0
.LBB448_1030:                           ;   in Loop: Header=BB448_13 Depth=1
	s_or_b32 exec_lo, exec_lo, s23
.LBB448_1031:                           ;   in Loop: Header=BB448_13 Depth=1
	s_delay_alu instid0(SALU_CYCLE_1)
	s_or_b32 exec_lo, exec_lo, s22
.LBB448_1032:                           ;   in Loop: Header=BB448_13 Depth=1
	s_delay_alu instid0(SALU_CYCLE_1) | instskip(NEXT) | instid1(VALU_DEP_1)
	s_or_b32 exec_lo, exec_lo, s21
	v_mul_f32_e32 v0, v133, v0
                                        ; implicit-def: $vgpr152
	s_delay_alu instid0(VALU_DEP_1) | instskip(NEXT) | instid1(VALU_DEP_1)
	v_and_b32_e32 v1, 0x7f800000, v0
	v_cmp_ne_u32_e64 s1, 0x7f800000, v1
	s_delay_alu instid0(VALU_DEP_1) | instskip(NEXT) | instid1(SALU_CYCLE_1)
	s_and_saveexec_b32 s21, s1
	s_xor_b32 s1, exec_lo, s21
; %bb.1033:                             ;   in Loop: Header=BB448_13 Depth=1
	v_bfe_u32 v1, v0, 16, 1
	s_delay_alu instid0(VALU_DEP_1)
	v_add3_u32 v152, v0, v1, 0x7fff
                                        ; implicit-def: $vgpr0
; %bb.1034:                             ;   in Loop: Header=BB448_13 Depth=1
	s_and_not1_saveexec_b32 s21, s1
; %bb.1035:                             ;   in Loop: Header=BB448_13 Depth=1
	v_and_b32_e32 v1, 0xffff, v0
	v_or_b32_e32 v2, 0x10000, v0
	s_delay_alu instid0(VALU_DEP_2) | instskip(NEXT) | instid1(VALU_DEP_1)
	v_cmp_eq_u32_e64 s1, 0, v1
	v_cndmask_b32_e64 v152, v2, v0, s1
; %bb.1036:                             ;   in Loop: Header=BB448_13 Depth=1
	s_or_b32 exec_lo, exec_lo, s21
	v_lshrrev_b16 v1, 8, v18
	v_mov_b32_e32 v0, 0
	s_mov_b32 s21, exec_lo
	s_delay_alu instid0(VALU_DEP_2)
	v_cmpx_ne_u16_e32 0, v1
	s_cbranch_execz .LBB448_1044
; %bb.1037:                             ;   in Loop: Header=BB448_13 Depth=1
	v_bfrev_b32_e32 v0, 1
	s_mov_b32 s22, exec_lo
	v_cmpx_ne_u16_e32 0x80, v1
	s_cbranch_execz .LBB448_1043
; %bb.1038:                             ;   in Loop: Header=BB448_13 Depth=1
	v_and_b32_e32 v2, 0xffff, v1
	v_mov_b32_e32 v0, 0x7f800001
	s_mov_b32 s23, exec_lo
	s_delay_alu instid0(VALU_DEP_2) | instskip(NEXT) | instid1(VALU_DEP_1)
	v_and_b32_e32 v1, 0x7f, v2
	v_cmpx_ne_u32_e32 0x7f, v1
	s_cbranch_execz .LBB448_1042
; %bb.1039:                             ;   in Loop: Header=BB448_13 Depth=1
	v_dual_mov_b32 v34, v19 :: v_dual_and_b32 v33, 7, v2
	v_lshrrev_b32_e32 v0, 3, v1
	s_mov_b32 s24, exec_lo
	v_cmpx_gt_u32_e32 8, v1
; %bb.1040:                             ;   in Loop: Header=BB448_13 Depth=1
	s_delay_alu instid0(VALU_DEP_3) | instskip(NEXT) | instid1(VALU_DEP_1)
	v_clz_i32_u32_e32 v0, v33
	v_min_u32_e32 v0, 32, v0
	s_delay_alu instid0(VALU_DEP_1) | instskip(SKIP_1) | instid1(VALU_DEP_2)
	v_subrev_nc_u32_e32 v1, 28, v0
	v_sub_nc_u32_e32 v0, 29, v0
	v_lshlrev_b64 v[1:2], v1, v[33:34]
	s_delay_alu instid0(VALU_DEP_1)
	v_and_b32_e32 v33, 7, v1
; %bb.1041:                             ;   in Loop: Header=BB448_13 Depth=1
	s_or_b32 exec_lo, exec_lo, s24
	v_lshlrev_b32_e32 v1, 16, v18
	s_delay_alu instid0(VALU_DEP_2) | instskip(SKIP_1) | instid1(VALU_DEP_3)
	v_lshlrev_b32_e32 v2, 20, v33
	v_lshl_add_u32 v0, v0, 23, 0x3c000000
	v_and_b32_e32 v1, 0x80000000, v1
	s_delay_alu instid0(VALU_DEP_1)
	v_or3_b32 v0, v2, v1, v0
.LBB448_1042:                           ;   in Loop: Header=BB448_13 Depth=1
	s_or_b32 exec_lo, exec_lo, s23
.LBB448_1043:                           ;   in Loop: Header=BB448_13 Depth=1
	s_delay_alu instid0(SALU_CYCLE_1)
	s_or_b32 exec_lo, exec_lo, s22
.LBB448_1044:                           ;   in Loop: Header=BB448_13 Depth=1
	s_delay_alu instid0(SALU_CYCLE_1) | instskip(NEXT) | instid1(VALU_DEP_1)
	s_or_b32 exec_lo, exec_lo, s21
	v_mul_f32_e32 v0, v133, v0
                                        ; implicit-def: $vgpr153
	s_delay_alu instid0(VALU_DEP_1) | instskip(NEXT) | instid1(VALU_DEP_1)
	v_and_b32_e32 v1, 0x7f800000, v0
	v_cmp_ne_u32_e64 s1, 0x7f800000, v1
	s_delay_alu instid0(VALU_DEP_1) | instskip(NEXT) | instid1(SALU_CYCLE_1)
	s_and_saveexec_b32 s21, s1
	s_xor_b32 s1, exec_lo, s21
; %bb.1045:                             ;   in Loop: Header=BB448_13 Depth=1
	v_bfe_u32 v1, v0, 16, 1
	s_delay_alu instid0(VALU_DEP_1)
	v_add3_u32 v153, v0, v1, 0x7fff
                                        ; implicit-def: $vgpr0
; %bb.1046:                             ;   in Loop: Header=BB448_13 Depth=1
	s_and_not1_saveexec_b32 s21, s1
; %bb.1047:                             ;   in Loop: Header=BB448_13 Depth=1
	v_and_b32_e32 v1, 0xffff, v0
	v_or_b32_e32 v2, 0x10000, v0
	s_delay_alu instid0(VALU_DEP_2) | instskip(NEXT) | instid1(VALU_DEP_1)
	v_cmp_eq_u32_e64 s1, 0, v1
	v_cndmask_b32_e64 v153, v2, v0, s1
; %bb.1048:                             ;   in Loop: Header=BB448_13 Depth=1
	s_or_b32 exec_lo, exec_lo, s21
	v_lshrrev_b32_e32 v0, 16, v32
	s_mov_b32 s21, exec_lo
	s_delay_alu instid0(VALU_DEP_1) | instskip(NEXT) | instid1(VALU_DEP_1)
	v_dual_mov_b32 v1, 0 :: v_dual_and_b32 v2, 0xff, v0
	v_cmpx_ne_u16_e32 0, v2
	s_cbranch_execz .LBB448_1056
; %bb.1049:                             ;   in Loop: Header=BB448_13 Depth=1
	v_bfrev_b32_e32 v1, 1
	s_mov_b32 s22, exec_lo
	v_cmpx_ne_u16_e32 0x80, v2
	s_cbranch_execz .LBB448_1055
; %bb.1050:                             ;   in Loop: Header=BB448_13 Depth=1
	v_bfe_u32 v2, v32, 16, 7
	v_mov_b32_e32 v1, 0x7f800001
	s_mov_b32 s23, exec_lo
	s_delay_alu instid0(VALU_DEP_2)
	v_cmpx_ne_u32_e32 0x7f, v2
	s_cbranch_execz .LBB448_1054
; %bb.1051:                             ;   in Loop: Header=BB448_13 Depth=1
	v_and_b32_e32 v18, 7, v0
	v_lshrrev_b32_e32 v1, 3, v2
	v_mov_b32_e32 v34, v19
	s_mov_b32 s24, exec_lo
	s_delay_alu instid0(VALU_DEP_3)
	v_mov_b32_e32 v33, v18
	v_cmpx_gt_u32_e32 8, v2
; %bb.1052:                             ;   in Loop: Header=BB448_13 Depth=1
	v_clz_i32_u32_e32 v1, v18
	s_delay_alu instid0(VALU_DEP_1) | instskip(NEXT) | instid1(VALU_DEP_1)
	v_min_u32_e32 v1, 32, v1
	v_subrev_nc_u32_e32 v2, 28, v1
	v_sub_nc_u32_e32 v1, 29, v1
	s_delay_alu instid0(VALU_DEP_2) | instskip(NEXT) | instid1(VALU_DEP_1)
	v_lshlrev_b64 v[2:3], v2, v[18:19]
	v_and_b32_e32 v33, 7, v2
; %bb.1053:                             ;   in Loop: Header=BB448_13 Depth=1
	s_or_b32 exec_lo, exec_lo, s24
	v_lshlrev_b32_e32 v0, 24, v0
	s_delay_alu instid0(VALU_DEP_2) | instskip(SKIP_1) | instid1(VALU_DEP_3)
	v_lshlrev_b32_e32 v2, 20, v33
	v_lshl_add_u32 v1, v1, 23, 0x3c000000
	v_and_b32_e32 v0, 0x80000000, v0
	s_delay_alu instid0(VALU_DEP_1)
	v_or3_b32 v1, v2, v0, v1
.LBB448_1054:                           ;   in Loop: Header=BB448_13 Depth=1
	s_or_b32 exec_lo, exec_lo, s23
.LBB448_1055:                           ;   in Loop: Header=BB448_13 Depth=1
	s_delay_alu instid0(SALU_CYCLE_1)
	s_or_b32 exec_lo, exec_lo, s22
.LBB448_1056:                           ;   in Loop: Header=BB448_13 Depth=1
	s_delay_alu instid0(SALU_CYCLE_1) | instskip(NEXT) | instid1(VALU_DEP_1)
	s_or_b32 exec_lo, exec_lo, s21
	v_mul_f32_e32 v0, v133, v1
                                        ; implicit-def: $vgpr154
	s_delay_alu instid0(VALU_DEP_1) | instskip(NEXT) | instid1(VALU_DEP_1)
	v_and_b32_e32 v1, 0x7f800000, v0
	v_cmp_ne_u32_e64 s1, 0x7f800000, v1
	s_delay_alu instid0(VALU_DEP_1) | instskip(NEXT) | instid1(SALU_CYCLE_1)
	s_and_saveexec_b32 s21, s1
	s_xor_b32 s1, exec_lo, s21
; %bb.1057:                             ;   in Loop: Header=BB448_13 Depth=1
	v_bfe_u32 v1, v0, 16, 1
	s_delay_alu instid0(VALU_DEP_1)
	v_add3_u32 v154, v0, v1, 0x7fff
                                        ; implicit-def: $vgpr0
; %bb.1058:                             ;   in Loop: Header=BB448_13 Depth=1
	s_and_not1_saveexec_b32 s21, s1
; %bb.1059:                             ;   in Loop: Header=BB448_13 Depth=1
	v_and_b32_e32 v1, 0xffff, v0
	v_or_b32_e32 v2, 0x10000, v0
	s_delay_alu instid0(VALU_DEP_2) | instskip(NEXT) | instid1(VALU_DEP_1)
	v_cmp_eq_u32_e64 s1, 0, v1
	v_cndmask_b32_e64 v154, v2, v0, s1
; %bb.1060:                             ;   in Loop: Header=BB448_13 Depth=1
	s_or_b32 exec_lo, exec_lo, s21
	v_mov_b32_e32 v1, 0
	s_mov_b32 s21, exec_lo
	v_cmpx_lt_u64_e64 s[16:17], v[31:32]
	s_cbranch_execz .LBB448_1068
; %bb.1061:                             ;   in Loop: Header=BB448_13 Depth=1
	v_lshrrev_b32_e32 v0, 24, v32
	v_bfrev_b32_e32 v1, 1
	s_mov_b32 s22, exec_lo
	s_delay_alu instid0(VALU_DEP_2)
	v_cmpx_ne_u32_e32 0x80, v0
	s_cbranch_execz .LBB448_1067
; %bb.1062:                             ;   in Loop: Header=BB448_13 Depth=1
	v_bfe_u32 v2, v32, 24, 7
	v_mov_b32_e32 v1, 0x7f800001
	s_mov_b32 s23, exec_lo
	s_delay_alu instid0(VALU_DEP_2)
	v_cmpx_ne_u32_e32 0x7f, v2
	s_cbranch_execz .LBB448_1066
; %bb.1063:                             ;   in Loop: Header=BB448_13 Depth=1
	v_and_b32_e32 v18, 7, v0
	v_lshrrev_b32_e32 v1, 3, v2
	v_mov_b32_e32 v32, v19
	s_mov_b32 s24, exec_lo
	s_delay_alu instid0(VALU_DEP_3)
	v_mov_b32_e32 v31, v18
	v_cmpx_gt_u32_e32 8, v2
; %bb.1064:                             ;   in Loop: Header=BB448_13 Depth=1
	v_clz_i32_u32_e32 v1, v18
	s_delay_alu instid0(VALU_DEP_1) | instskip(NEXT) | instid1(VALU_DEP_1)
	v_min_u32_e32 v1, 32, v1
	v_subrev_nc_u32_e32 v2, 28, v1
	v_sub_nc_u32_e32 v1, 29, v1
	s_delay_alu instid0(VALU_DEP_2) | instskip(NEXT) | instid1(VALU_DEP_1)
	v_lshlrev_b64 v[2:3], v2, v[18:19]
	v_and_b32_e32 v31, 7, v2
; %bb.1065:                             ;   in Loop: Header=BB448_13 Depth=1
	s_or_b32 exec_lo, exec_lo, s24
	v_lshlrev_b32_e32 v0, 24, v0
	s_delay_alu instid0(VALU_DEP_2) | instskip(SKIP_1) | instid1(VALU_DEP_3)
	v_lshlrev_b32_e32 v2, 20, v31
	v_lshl_add_u32 v1, v1, 23, 0x3c000000
	v_and_b32_e32 v0, 0x80000000, v0
	s_delay_alu instid0(VALU_DEP_1)
	v_or3_b32 v1, v2, v0, v1
.LBB448_1066:                           ;   in Loop: Header=BB448_13 Depth=1
	s_or_b32 exec_lo, exec_lo, s23
.LBB448_1067:                           ;   in Loop: Header=BB448_13 Depth=1
	s_delay_alu instid0(SALU_CYCLE_1)
	s_or_b32 exec_lo, exec_lo, s22
.LBB448_1068:                           ;   in Loop: Header=BB448_13 Depth=1
	s_delay_alu instid0(SALU_CYCLE_1) | instskip(NEXT) | instid1(VALU_DEP_1)
	s_or_b32 exec_lo, exec_lo, s21
	v_mul_f32_e32 v0, v133, v1
                                        ; implicit-def: $vgpr155
	s_delay_alu instid0(VALU_DEP_1) | instskip(NEXT) | instid1(VALU_DEP_1)
	v_and_b32_e32 v1, 0x7f800000, v0
	v_cmp_ne_u32_e64 s1, 0x7f800000, v1
	s_delay_alu instid0(VALU_DEP_1) | instskip(NEXT) | instid1(SALU_CYCLE_1)
	s_and_saveexec_b32 s21, s1
	s_xor_b32 s1, exec_lo, s21
; %bb.1069:                             ;   in Loop: Header=BB448_13 Depth=1
	v_bfe_u32 v1, v0, 16, 1
	s_delay_alu instid0(VALU_DEP_1)
	v_add3_u32 v155, v0, v1, 0x7fff
                                        ; implicit-def: $vgpr0
; %bb.1070:                             ;   in Loop: Header=BB448_13 Depth=1
	s_and_not1_saveexec_b32 s21, s1
; %bb.1071:                             ;   in Loop: Header=BB448_13 Depth=1
	v_and_b32_e32 v1, 0xffff, v0
	v_or_b32_e32 v2, 0x10000, v0
	s_delay_alu instid0(VALU_DEP_2) | instskip(NEXT) | instid1(VALU_DEP_1)
	v_cmp_eq_u32_e64 s1, 0, v1
	v_cndmask_b32_e64 v155, v2, v0, s1
; %bb.1072:                             ;   in Loop: Header=BB448_13 Depth=1
	s_or_b32 exec_lo, exec_lo, s21
	flat_load_b64 v[31:32], v[28:29] offset:2568
	s_mov_b32 s21, exec_lo
	s_waitcnt vmcnt(0) lgkmcnt(0)
	v_dual_mov_b32 v0, 0 :: v_dual_and_b32 v1, 0xff, v31
	s_delay_alu instid0(VALU_DEP_1)
	v_cmpx_ne_u16_e32 0, v1
	s_cbranch_execz .LBB448_1080
; %bb.1073:                             ;   in Loop: Header=BB448_13 Depth=1
	v_bfrev_b32_e32 v0, 1
	s_mov_b32 s22, exec_lo
	v_cmpx_ne_u16_e32 0x80, v1
	s_cbranch_execz .LBB448_1079
; %bb.1074:                             ;   in Loop: Header=BB448_13 Depth=1
	v_and_b32_e32 v1, 0x7f, v31
	v_mov_b32_e32 v0, 0x7f800001
	s_mov_b32 s23, exec_lo
	s_delay_alu instid0(VALU_DEP_2)
	v_cmpx_ne_u32_e32 0x7f, v1
	s_cbranch_execz .LBB448_1078
; %bb.1075:                             ;   in Loop: Header=BB448_13 Depth=1
	v_lshrrev_b32_e32 v0, 3, v1
	v_dual_mov_b32 v34, v32 :: v_dual_mov_b32 v33, v31
	s_mov_b32 s24, exec_lo
	v_cmpx_gt_u32_e32 8, v1
; %bb.1076:                             ;   in Loop: Header=BB448_13 Depth=1
	v_and_b32_e32 v0, 7, v31
	s_delay_alu instid0(VALU_DEP_1) | instskip(NEXT) | instid1(VALU_DEP_1)
	v_clz_i32_u32_e32 v0, v0
	v_min_u32_e32 v0, 32, v0
	s_delay_alu instid0(VALU_DEP_1) | instskip(SKIP_1) | instid1(VALU_DEP_2)
	v_subrev_nc_u32_e32 v1, 28, v0
	v_sub_nc_u32_e32 v0, 29, v0
	v_lshlrev_b64 v[33:34], v1, v[31:32]
; %bb.1077:                             ;   in Loop: Header=BB448_13 Depth=1
	s_or_b32 exec_lo, exec_lo, s24
	s_delay_alu instid0(VALU_DEP_1) | instskip(SKIP_2) | instid1(VALU_DEP_3)
	v_lshlrev_b32_e32 v1, 20, v33
	v_lshlrev_b32_e32 v2, 24, v31
	v_lshl_add_u32 v0, v0, 23, 0x3c000000
	v_and_b32_e32 v1, 0x700000, v1
	s_delay_alu instid0(VALU_DEP_3) | instskip(NEXT) | instid1(VALU_DEP_1)
	v_and_b32_e32 v2, 0x80000000, v2
	v_or3_b32 v0, v1, v2, v0
.LBB448_1078:                           ;   in Loop: Header=BB448_13 Depth=1
	s_or_b32 exec_lo, exec_lo, s23
.LBB448_1079:                           ;   in Loop: Header=BB448_13 Depth=1
	s_delay_alu instid0(SALU_CYCLE_1)
	s_or_b32 exec_lo, exec_lo, s22
.LBB448_1080:                           ;   in Loop: Header=BB448_13 Depth=1
	s_delay_alu instid0(SALU_CYCLE_1) | instskip(NEXT) | instid1(VALU_DEP_1)
	s_or_b32 exec_lo, exec_lo, s21
	v_mul_f32_e32 v0, v133, v0
                                        ; implicit-def: $vgpr156
	s_delay_alu instid0(VALU_DEP_1) | instskip(NEXT) | instid1(VALU_DEP_1)
	v_and_b32_e32 v1, 0x7f800000, v0
	v_cmp_ne_u32_e64 s1, 0x7f800000, v1
	s_delay_alu instid0(VALU_DEP_1) | instskip(NEXT) | instid1(SALU_CYCLE_1)
	s_and_saveexec_b32 s21, s1
	s_xor_b32 s1, exec_lo, s21
; %bb.1081:                             ;   in Loop: Header=BB448_13 Depth=1
	v_bfe_u32 v1, v0, 16, 1
	s_delay_alu instid0(VALU_DEP_1)
	v_add3_u32 v156, v0, v1, 0x7fff
                                        ; implicit-def: $vgpr0
; %bb.1082:                             ;   in Loop: Header=BB448_13 Depth=1
	s_and_not1_saveexec_b32 s21, s1
; %bb.1083:                             ;   in Loop: Header=BB448_13 Depth=1
	v_and_b32_e32 v1, 0xffff, v0
	v_or_b32_e32 v2, 0x10000, v0
	s_delay_alu instid0(VALU_DEP_2) | instskip(NEXT) | instid1(VALU_DEP_1)
	v_cmp_eq_u32_e64 s1, 0, v1
	v_cndmask_b32_e64 v156, v2, v0, s1
; %bb.1084:                             ;   in Loop: Header=BB448_13 Depth=1
	s_or_b32 exec_lo, exec_lo, s21
	v_lshrrev_b16 v1, 8, v31
	v_mov_b32_e32 v0, 0
	s_mov_b32 s21, exec_lo
	s_delay_alu instid0(VALU_DEP_2)
	v_cmpx_ne_u16_e32 0, v1
	s_cbranch_execz .LBB448_1092
; %bb.1085:                             ;   in Loop: Header=BB448_13 Depth=1
	v_bfrev_b32_e32 v0, 1
	s_mov_b32 s22, exec_lo
	v_cmpx_ne_u16_e32 0x80, v1
	s_cbranch_execz .LBB448_1091
; %bb.1086:                             ;   in Loop: Header=BB448_13 Depth=1
	v_and_b32_e32 v2, 0xffff, v1
	v_mov_b32_e32 v0, 0x7f800001
	s_mov_b32 s23, exec_lo
	s_delay_alu instid0(VALU_DEP_2) | instskip(NEXT) | instid1(VALU_DEP_1)
	v_and_b32_e32 v1, 0x7f, v2
	v_cmpx_ne_u32_e32 0x7f, v1
	s_cbranch_execz .LBB448_1090
; %bb.1087:                             ;   in Loop: Header=BB448_13 Depth=1
	v_and_b32_e32 v18, 7, v2
	v_lshrrev_b32_e32 v0, 3, v1
	v_mov_b32_e32 v34, v19
	s_mov_b32 s24, exec_lo
	s_delay_alu instid0(VALU_DEP_3)
	v_mov_b32_e32 v33, v18
	v_cmpx_gt_u32_e32 8, v1
; %bb.1088:                             ;   in Loop: Header=BB448_13 Depth=1
	v_clz_i32_u32_e32 v0, v18
	s_delay_alu instid0(VALU_DEP_1) | instskip(NEXT) | instid1(VALU_DEP_1)
	v_min_u32_e32 v0, 32, v0
	v_subrev_nc_u32_e32 v1, 28, v0
	v_sub_nc_u32_e32 v0, 29, v0
	s_delay_alu instid0(VALU_DEP_2) | instskip(NEXT) | instid1(VALU_DEP_1)
	v_lshlrev_b64 v[1:2], v1, v[18:19]
	v_and_b32_e32 v33, 7, v1
; %bb.1089:                             ;   in Loop: Header=BB448_13 Depth=1
	s_or_b32 exec_lo, exec_lo, s24
	v_lshlrev_b32_e32 v1, 16, v31
	s_delay_alu instid0(VALU_DEP_2) | instskip(SKIP_1) | instid1(VALU_DEP_3)
	v_lshlrev_b32_e32 v2, 20, v33
	v_lshl_add_u32 v0, v0, 23, 0x3c000000
	v_and_b32_e32 v1, 0x80000000, v1
	s_delay_alu instid0(VALU_DEP_1)
	v_or3_b32 v0, v2, v1, v0
.LBB448_1090:                           ;   in Loop: Header=BB448_13 Depth=1
	s_or_b32 exec_lo, exec_lo, s23
.LBB448_1091:                           ;   in Loop: Header=BB448_13 Depth=1
	s_delay_alu instid0(SALU_CYCLE_1)
	s_or_b32 exec_lo, exec_lo, s22
.LBB448_1092:                           ;   in Loop: Header=BB448_13 Depth=1
	s_delay_alu instid0(SALU_CYCLE_1) | instskip(NEXT) | instid1(VALU_DEP_1)
	s_or_b32 exec_lo, exec_lo, s21
	v_mul_f32_e32 v0, v133, v0
                                        ; implicit-def: $vgpr157
	s_delay_alu instid0(VALU_DEP_1) | instskip(NEXT) | instid1(VALU_DEP_1)
	v_and_b32_e32 v1, 0x7f800000, v0
	v_cmp_ne_u32_e64 s1, 0x7f800000, v1
	s_delay_alu instid0(VALU_DEP_1) | instskip(NEXT) | instid1(SALU_CYCLE_1)
	s_and_saveexec_b32 s21, s1
	s_xor_b32 s1, exec_lo, s21
; %bb.1093:                             ;   in Loop: Header=BB448_13 Depth=1
	v_bfe_u32 v1, v0, 16, 1
	s_delay_alu instid0(VALU_DEP_1)
	v_add3_u32 v157, v0, v1, 0x7fff
                                        ; implicit-def: $vgpr0
; %bb.1094:                             ;   in Loop: Header=BB448_13 Depth=1
	s_and_not1_saveexec_b32 s21, s1
; %bb.1095:                             ;   in Loop: Header=BB448_13 Depth=1
	v_and_b32_e32 v1, 0xffff, v0
	v_or_b32_e32 v2, 0x10000, v0
	s_delay_alu instid0(VALU_DEP_2) | instskip(NEXT) | instid1(VALU_DEP_1)
	v_cmp_eq_u32_e64 s1, 0, v1
	v_cndmask_b32_e64 v157, v2, v0, s1
; %bb.1096:                             ;   in Loop: Header=BB448_13 Depth=1
	s_or_b32 exec_lo, exec_lo, s21
	v_lshrrev_b32_e32 v0, 16, v31
	s_mov_b32 s21, exec_lo
	s_delay_alu instid0(VALU_DEP_1) | instskip(NEXT) | instid1(VALU_DEP_1)
	v_dual_mov_b32 v1, 0 :: v_dual_and_b32 v2, 0xff, v0
	v_cmpx_ne_u16_e32 0, v2
	s_cbranch_execz .LBB448_1104
; %bb.1097:                             ;   in Loop: Header=BB448_13 Depth=1
	v_bfrev_b32_e32 v1, 1
	s_mov_b32 s22, exec_lo
	v_cmpx_ne_u16_e32 0x80, v2
	s_cbranch_execz .LBB448_1103
; %bb.1098:                             ;   in Loop: Header=BB448_13 Depth=1
	v_bfe_u32 v2, v31, 16, 7
	v_mov_b32_e32 v1, 0x7f800001
	s_mov_b32 s23, exec_lo
	s_delay_alu instid0(VALU_DEP_2)
	v_cmpx_ne_u32_e32 0x7f, v2
	s_cbranch_execz .LBB448_1102
; %bb.1099:                             ;   in Loop: Header=BB448_13 Depth=1
	v_and_b32_e32 v18, 7, v0
	v_lshrrev_b32_e32 v1, 3, v2
	v_mov_b32_e32 v34, v19
	s_mov_b32 s24, exec_lo
	s_delay_alu instid0(VALU_DEP_3)
	v_mov_b32_e32 v33, v18
	v_cmpx_gt_u32_e32 8, v2
; %bb.1100:                             ;   in Loop: Header=BB448_13 Depth=1
	v_clz_i32_u32_e32 v1, v18
	s_delay_alu instid0(VALU_DEP_1) | instskip(NEXT) | instid1(VALU_DEP_1)
	v_min_u32_e32 v1, 32, v1
	v_subrev_nc_u32_e32 v2, 28, v1
	v_sub_nc_u32_e32 v1, 29, v1
	s_delay_alu instid0(VALU_DEP_2) | instskip(NEXT) | instid1(VALU_DEP_1)
	v_lshlrev_b64 v[2:3], v2, v[18:19]
	v_and_b32_e32 v33, 7, v2
; %bb.1101:                             ;   in Loop: Header=BB448_13 Depth=1
	s_or_b32 exec_lo, exec_lo, s24
	v_lshlrev_b32_e32 v0, 24, v0
	s_delay_alu instid0(VALU_DEP_2) | instskip(SKIP_1) | instid1(VALU_DEP_3)
	v_lshlrev_b32_e32 v2, 20, v33
	v_lshl_add_u32 v1, v1, 23, 0x3c000000
	v_and_b32_e32 v0, 0x80000000, v0
	s_delay_alu instid0(VALU_DEP_1)
	v_or3_b32 v1, v2, v0, v1
.LBB448_1102:                           ;   in Loop: Header=BB448_13 Depth=1
	s_or_b32 exec_lo, exec_lo, s23
.LBB448_1103:                           ;   in Loop: Header=BB448_13 Depth=1
	s_delay_alu instid0(SALU_CYCLE_1)
	s_or_b32 exec_lo, exec_lo, s22
.LBB448_1104:                           ;   in Loop: Header=BB448_13 Depth=1
	s_delay_alu instid0(SALU_CYCLE_1) | instskip(NEXT) | instid1(VALU_DEP_1)
	s_or_b32 exec_lo, exec_lo, s21
	v_mul_f32_e32 v0, v133, v1
                                        ; implicit-def: $vgpr158
	s_delay_alu instid0(VALU_DEP_1) | instskip(NEXT) | instid1(VALU_DEP_1)
	v_and_b32_e32 v1, 0x7f800000, v0
	v_cmp_ne_u32_e64 s1, 0x7f800000, v1
	s_delay_alu instid0(VALU_DEP_1) | instskip(NEXT) | instid1(SALU_CYCLE_1)
	s_and_saveexec_b32 s21, s1
	s_xor_b32 s1, exec_lo, s21
; %bb.1105:                             ;   in Loop: Header=BB448_13 Depth=1
	v_bfe_u32 v1, v0, 16, 1
	s_delay_alu instid0(VALU_DEP_1)
	v_add3_u32 v158, v0, v1, 0x7fff
                                        ; implicit-def: $vgpr0
; %bb.1106:                             ;   in Loop: Header=BB448_13 Depth=1
	s_and_not1_saveexec_b32 s21, s1
; %bb.1107:                             ;   in Loop: Header=BB448_13 Depth=1
	v_and_b32_e32 v1, 0xffff, v0
	v_or_b32_e32 v2, 0x10000, v0
	s_delay_alu instid0(VALU_DEP_2) | instskip(NEXT) | instid1(VALU_DEP_1)
	v_cmp_eq_u32_e64 s1, 0, v1
	v_cndmask_b32_e64 v158, v2, v0, s1
; %bb.1108:                             ;   in Loop: Header=BB448_13 Depth=1
	s_or_b32 exec_lo, exec_lo, s21
	v_mov_b32_e32 v1, 0
	s_mov_b32 s21, exec_lo
	v_cmpx_lt_u32_e32 0xffffff, v31
	s_cbranch_execz .LBB448_1116
; %bb.1109:                             ;   in Loop: Header=BB448_13 Depth=1
	v_lshrrev_b32_e32 v0, 24, v31
	v_bfrev_b32_e32 v1, 1
	s_mov_b32 s22, exec_lo
	s_delay_alu instid0(VALU_DEP_2)
	v_cmpx_ne_u32_e32 0x80, v0
	s_cbranch_execz .LBB448_1115
; %bb.1110:                             ;   in Loop: Header=BB448_13 Depth=1
	v_bfe_u32 v2, v31, 24, 7
	v_mov_b32_e32 v1, 0x7f800001
	s_mov_b32 s23, exec_lo
	s_delay_alu instid0(VALU_DEP_2)
	v_cmpx_ne_u32_e32 0x7f, v2
	s_cbranch_execz .LBB448_1114
; %bb.1111:                             ;   in Loop: Header=BB448_13 Depth=1
	v_and_b32_e32 v18, 7, v0
	v_lshrrev_b32_e32 v1, 3, v2
	v_mov_b32_e32 v34, v19
	s_mov_b32 s24, exec_lo
	s_delay_alu instid0(VALU_DEP_3)
	v_mov_b32_e32 v33, v18
	v_cmpx_gt_u32_e32 8, v2
; %bb.1112:                             ;   in Loop: Header=BB448_13 Depth=1
	v_clz_i32_u32_e32 v1, v18
	s_delay_alu instid0(VALU_DEP_1) | instskip(NEXT) | instid1(VALU_DEP_1)
	v_min_u32_e32 v1, 32, v1
	v_subrev_nc_u32_e32 v2, 28, v1
	v_sub_nc_u32_e32 v1, 29, v1
	s_delay_alu instid0(VALU_DEP_2) | instskip(NEXT) | instid1(VALU_DEP_1)
	v_lshlrev_b64 v[2:3], v2, v[18:19]
	v_and_b32_e32 v33, 7, v2
; %bb.1113:                             ;   in Loop: Header=BB448_13 Depth=1
	s_or_b32 exec_lo, exec_lo, s24
	v_lshlrev_b32_e32 v0, 24, v0
	s_delay_alu instid0(VALU_DEP_2) | instskip(SKIP_1) | instid1(VALU_DEP_3)
	v_lshlrev_b32_e32 v2, 20, v33
	v_lshl_add_u32 v1, v1, 23, 0x3c000000
	v_and_b32_e32 v0, 0x80000000, v0
	s_delay_alu instid0(VALU_DEP_1)
	v_or3_b32 v1, v2, v0, v1
.LBB448_1114:                           ;   in Loop: Header=BB448_13 Depth=1
	s_or_b32 exec_lo, exec_lo, s23
.LBB448_1115:                           ;   in Loop: Header=BB448_13 Depth=1
	s_delay_alu instid0(SALU_CYCLE_1)
	s_or_b32 exec_lo, exec_lo, s22
.LBB448_1116:                           ;   in Loop: Header=BB448_13 Depth=1
	s_delay_alu instid0(SALU_CYCLE_1) | instskip(NEXT) | instid1(VALU_DEP_1)
	s_or_b32 exec_lo, exec_lo, s21
	v_mul_f32_e32 v0, v133, v1
                                        ; implicit-def: $vgpr159
	s_delay_alu instid0(VALU_DEP_1) | instskip(NEXT) | instid1(VALU_DEP_1)
	v_and_b32_e32 v1, 0x7f800000, v0
	v_cmp_ne_u32_e64 s1, 0x7f800000, v1
	s_delay_alu instid0(VALU_DEP_1) | instskip(NEXT) | instid1(SALU_CYCLE_1)
	s_and_saveexec_b32 s21, s1
	s_xor_b32 s1, exec_lo, s21
; %bb.1117:                             ;   in Loop: Header=BB448_13 Depth=1
	v_bfe_u32 v1, v0, 16, 1
	s_delay_alu instid0(VALU_DEP_1)
	v_add3_u32 v159, v0, v1, 0x7fff
                                        ; implicit-def: $vgpr0
; %bb.1118:                             ;   in Loop: Header=BB448_13 Depth=1
	s_and_not1_saveexec_b32 s21, s1
; %bb.1119:                             ;   in Loop: Header=BB448_13 Depth=1
	v_and_b32_e32 v1, 0xffff, v0
	v_or_b32_e32 v2, 0x10000, v0
	s_delay_alu instid0(VALU_DEP_2) | instskip(NEXT) | instid1(VALU_DEP_1)
	v_cmp_eq_u32_e64 s1, 0, v1
	v_cndmask_b32_e64 v159, v2, v0, s1
; %bb.1120:                             ;   in Loop: Header=BB448_13 Depth=1
	s_or_b32 exec_lo, exec_lo, s21
	v_dual_mov_b32 v18, v32 :: v_dual_and_b32 v1, 0xff, v32
	v_mov_b32_e32 v0, 0
	s_mov_b32 s21, exec_lo
	s_delay_alu instid0(VALU_DEP_2)
	v_cmpx_ne_u16_e32 0, v1
	s_cbranch_execz .LBB448_1128
; %bb.1121:                             ;   in Loop: Header=BB448_13 Depth=1
	v_bfrev_b32_e32 v0, 1
	s_mov_b32 s22, exec_lo
	v_cmpx_ne_u16_e32 0x80, v1
	s_cbranch_execz .LBB448_1127
; %bb.1122:                             ;   in Loop: Header=BB448_13 Depth=1
	v_and_b32_e32 v1, 0x7f, v32
	v_mov_b32_e32 v0, 0x7f800001
	s_mov_b32 s23, exec_lo
	s_delay_alu instid0(VALU_DEP_2)
	v_cmpx_ne_u32_e32 0x7f, v1
	s_cbranch_execz .LBB448_1126
; %bb.1123:                             ;   in Loop: Header=BB448_13 Depth=1
	v_lshrrev_b32_e32 v0, 3, v1
	v_dual_mov_b32 v34, v19 :: v_dual_mov_b32 v33, v18
	s_mov_b32 s24, exec_lo
	v_cmpx_gt_u32_e32 8, v1
; %bb.1124:                             ;   in Loop: Header=BB448_13 Depth=1
	v_and_b32_e32 v0, 7, v32
	s_delay_alu instid0(VALU_DEP_1) | instskip(NEXT) | instid1(VALU_DEP_1)
	v_clz_i32_u32_e32 v0, v0
	v_min_u32_e32 v0, 32, v0
	s_delay_alu instid0(VALU_DEP_1) | instskip(SKIP_1) | instid1(VALU_DEP_2)
	v_subrev_nc_u32_e32 v1, 28, v0
	v_sub_nc_u32_e32 v0, 29, v0
	v_lshlrev_b64 v[33:34], v1, v[18:19]
; %bb.1125:                             ;   in Loop: Header=BB448_13 Depth=1
	s_or_b32 exec_lo, exec_lo, s24
	s_delay_alu instid0(VALU_DEP_1) | instskip(SKIP_2) | instid1(VALU_DEP_3)
	v_lshlrev_b32_e32 v1, 20, v33
	v_lshlrev_b32_e32 v2, 24, v18
	v_lshl_add_u32 v0, v0, 23, 0x3c000000
	v_and_b32_e32 v1, 0x700000, v1
	s_delay_alu instid0(VALU_DEP_3) | instskip(NEXT) | instid1(VALU_DEP_1)
	v_and_b32_e32 v2, 0x80000000, v2
	v_or3_b32 v0, v1, v2, v0
.LBB448_1126:                           ;   in Loop: Header=BB448_13 Depth=1
	s_or_b32 exec_lo, exec_lo, s23
.LBB448_1127:                           ;   in Loop: Header=BB448_13 Depth=1
	s_delay_alu instid0(SALU_CYCLE_1)
	s_or_b32 exec_lo, exec_lo, s22
.LBB448_1128:                           ;   in Loop: Header=BB448_13 Depth=1
	s_delay_alu instid0(SALU_CYCLE_1) | instskip(NEXT) | instid1(VALU_DEP_1)
	s_or_b32 exec_lo, exec_lo, s21
	v_mul_f32_e32 v0, v133, v0
                                        ; implicit-def: $vgpr168
	s_delay_alu instid0(VALU_DEP_1) | instskip(NEXT) | instid1(VALU_DEP_1)
	v_and_b32_e32 v1, 0x7f800000, v0
	v_cmp_ne_u32_e64 s1, 0x7f800000, v1
	s_delay_alu instid0(VALU_DEP_1) | instskip(NEXT) | instid1(SALU_CYCLE_1)
	s_and_saveexec_b32 s21, s1
	s_xor_b32 s1, exec_lo, s21
; %bb.1129:                             ;   in Loop: Header=BB448_13 Depth=1
	v_bfe_u32 v1, v0, 16, 1
	s_delay_alu instid0(VALU_DEP_1)
	v_add3_u32 v168, v0, v1, 0x7fff
                                        ; implicit-def: $vgpr0
; %bb.1130:                             ;   in Loop: Header=BB448_13 Depth=1
	s_and_not1_saveexec_b32 s21, s1
; %bb.1131:                             ;   in Loop: Header=BB448_13 Depth=1
	v_and_b32_e32 v1, 0xffff, v0
	v_or_b32_e32 v2, 0x10000, v0
	s_delay_alu instid0(VALU_DEP_2) | instskip(NEXT) | instid1(VALU_DEP_1)
	v_cmp_eq_u32_e64 s1, 0, v1
	v_cndmask_b32_e64 v168, v2, v0, s1
; %bb.1132:                             ;   in Loop: Header=BB448_13 Depth=1
	s_or_b32 exec_lo, exec_lo, s21
	v_lshrrev_b16 v1, 8, v18
	v_mov_b32_e32 v0, 0
	s_mov_b32 s21, exec_lo
	s_delay_alu instid0(VALU_DEP_2)
	v_cmpx_ne_u16_e32 0, v1
	s_cbranch_execz .LBB448_1140
; %bb.1133:                             ;   in Loop: Header=BB448_13 Depth=1
	v_bfrev_b32_e32 v0, 1
	s_mov_b32 s22, exec_lo
	v_cmpx_ne_u16_e32 0x80, v1
	s_cbranch_execz .LBB448_1139
; %bb.1134:                             ;   in Loop: Header=BB448_13 Depth=1
	v_and_b32_e32 v2, 0xffff, v1
	v_mov_b32_e32 v0, 0x7f800001
	s_mov_b32 s23, exec_lo
	s_delay_alu instid0(VALU_DEP_2) | instskip(NEXT) | instid1(VALU_DEP_1)
	v_and_b32_e32 v1, 0x7f, v2
	v_cmpx_ne_u32_e32 0x7f, v1
	s_cbranch_execz .LBB448_1138
; %bb.1135:                             ;   in Loop: Header=BB448_13 Depth=1
	v_dual_mov_b32 v34, v19 :: v_dual_and_b32 v33, 7, v2
	v_lshrrev_b32_e32 v0, 3, v1
	s_mov_b32 s24, exec_lo
	v_cmpx_gt_u32_e32 8, v1
; %bb.1136:                             ;   in Loop: Header=BB448_13 Depth=1
	s_delay_alu instid0(VALU_DEP_3) | instskip(NEXT) | instid1(VALU_DEP_1)
	v_clz_i32_u32_e32 v0, v33
	v_min_u32_e32 v0, 32, v0
	s_delay_alu instid0(VALU_DEP_1) | instskip(SKIP_1) | instid1(VALU_DEP_2)
	v_subrev_nc_u32_e32 v1, 28, v0
	v_sub_nc_u32_e32 v0, 29, v0
	v_lshlrev_b64 v[1:2], v1, v[33:34]
	s_delay_alu instid0(VALU_DEP_1)
	v_and_b32_e32 v33, 7, v1
; %bb.1137:                             ;   in Loop: Header=BB448_13 Depth=1
	s_or_b32 exec_lo, exec_lo, s24
	v_lshlrev_b32_e32 v1, 16, v18
	s_delay_alu instid0(VALU_DEP_2) | instskip(SKIP_1) | instid1(VALU_DEP_3)
	v_lshlrev_b32_e32 v2, 20, v33
	v_lshl_add_u32 v0, v0, 23, 0x3c000000
	v_and_b32_e32 v1, 0x80000000, v1
	s_delay_alu instid0(VALU_DEP_1)
	v_or3_b32 v0, v2, v1, v0
.LBB448_1138:                           ;   in Loop: Header=BB448_13 Depth=1
	s_or_b32 exec_lo, exec_lo, s23
.LBB448_1139:                           ;   in Loop: Header=BB448_13 Depth=1
	s_delay_alu instid0(SALU_CYCLE_1)
	s_or_b32 exec_lo, exec_lo, s22
.LBB448_1140:                           ;   in Loop: Header=BB448_13 Depth=1
	s_delay_alu instid0(SALU_CYCLE_1) | instskip(NEXT) | instid1(VALU_DEP_1)
	s_or_b32 exec_lo, exec_lo, s21
	v_mul_f32_e32 v0, v133, v0
                                        ; implicit-def: $vgpr169
	s_delay_alu instid0(VALU_DEP_1) | instskip(NEXT) | instid1(VALU_DEP_1)
	v_and_b32_e32 v1, 0x7f800000, v0
	v_cmp_ne_u32_e64 s1, 0x7f800000, v1
	s_delay_alu instid0(VALU_DEP_1) | instskip(NEXT) | instid1(SALU_CYCLE_1)
	s_and_saveexec_b32 s21, s1
	s_xor_b32 s1, exec_lo, s21
; %bb.1141:                             ;   in Loop: Header=BB448_13 Depth=1
	v_bfe_u32 v1, v0, 16, 1
	s_delay_alu instid0(VALU_DEP_1)
	v_add3_u32 v169, v0, v1, 0x7fff
                                        ; implicit-def: $vgpr0
; %bb.1142:                             ;   in Loop: Header=BB448_13 Depth=1
	s_and_not1_saveexec_b32 s21, s1
; %bb.1143:                             ;   in Loop: Header=BB448_13 Depth=1
	v_and_b32_e32 v1, 0xffff, v0
	v_or_b32_e32 v2, 0x10000, v0
	s_delay_alu instid0(VALU_DEP_2) | instskip(NEXT) | instid1(VALU_DEP_1)
	v_cmp_eq_u32_e64 s1, 0, v1
	v_cndmask_b32_e64 v169, v2, v0, s1
; %bb.1144:                             ;   in Loop: Header=BB448_13 Depth=1
	s_or_b32 exec_lo, exec_lo, s21
	v_lshrrev_b32_e32 v0, 16, v32
	s_mov_b32 s21, exec_lo
	s_delay_alu instid0(VALU_DEP_1) | instskip(NEXT) | instid1(VALU_DEP_1)
	v_dual_mov_b32 v1, 0 :: v_dual_and_b32 v2, 0xff, v0
	v_cmpx_ne_u16_e32 0, v2
	s_cbranch_execz .LBB448_1152
; %bb.1145:                             ;   in Loop: Header=BB448_13 Depth=1
	v_bfrev_b32_e32 v1, 1
	s_mov_b32 s22, exec_lo
	v_cmpx_ne_u16_e32 0x80, v2
	s_cbranch_execz .LBB448_1151
; %bb.1146:                             ;   in Loop: Header=BB448_13 Depth=1
	v_bfe_u32 v2, v32, 16, 7
	v_mov_b32_e32 v1, 0x7f800001
	s_mov_b32 s23, exec_lo
	s_delay_alu instid0(VALU_DEP_2)
	v_cmpx_ne_u32_e32 0x7f, v2
	s_cbranch_execz .LBB448_1150
; %bb.1147:                             ;   in Loop: Header=BB448_13 Depth=1
	v_and_b32_e32 v18, 7, v0
	v_lshrrev_b32_e32 v1, 3, v2
	v_mov_b32_e32 v34, v19
	s_mov_b32 s24, exec_lo
	s_delay_alu instid0(VALU_DEP_3)
	v_mov_b32_e32 v33, v18
	v_cmpx_gt_u32_e32 8, v2
; %bb.1148:                             ;   in Loop: Header=BB448_13 Depth=1
	v_clz_i32_u32_e32 v1, v18
	s_delay_alu instid0(VALU_DEP_1) | instskip(NEXT) | instid1(VALU_DEP_1)
	v_min_u32_e32 v1, 32, v1
	v_subrev_nc_u32_e32 v2, 28, v1
	v_sub_nc_u32_e32 v1, 29, v1
	s_delay_alu instid0(VALU_DEP_2) | instskip(NEXT) | instid1(VALU_DEP_1)
	v_lshlrev_b64 v[2:3], v2, v[18:19]
	v_and_b32_e32 v33, 7, v2
; %bb.1149:                             ;   in Loop: Header=BB448_13 Depth=1
	s_or_b32 exec_lo, exec_lo, s24
	v_lshlrev_b32_e32 v0, 24, v0
	s_delay_alu instid0(VALU_DEP_2) | instskip(SKIP_1) | instid1(VALU_DEP_3)
	v_lshlrev_b32_e32 v2, 20, v33
	v_lshl_add_u32 v1, v1, 23, 0x3c000000
	v_and_b32_e32 v0, 0x80000000, v0
	s_delay_alu instid0(VALU_DEP_1)
	v_or3_b32 v1, v2, v0, v1
.LBB448_1150:                           ;   in Loop: Header=BB448_13 Depth=1
	s_or_b32 exec_lo, exec_lo, s23
.LBB448_1151:                           ;   in Loop: Header=BB448_13 Depth=1
	s_delay_alu instid0(SALU_CYCLE_1)
	s_or_b32 exec_lo, exec_lo, s22
.LBB448_1152:                           ;   in Loop: Header=BB448_13 Depth=1
	s_delay_alu instid0(SALU_CYCLE_1) | instskip(NEXT) | instid1(VALU_DEP_1)
	s_or_b32 exec_lo, exec_lo, s21
	v_mul_f32_e32 v0, v133, v1
                                        ; implicit-def: $vgpr170
	s_delay_alu instid0(VALU_DEP_1) | instskip(NEXT) | instid1(VALU_DEP_1)
	v_and_b32_e32 v1, 0x7f800000, v0
	v_cmp_ne_u32_e64 s1, 0x7f800000, v1
	s_delay_alu instid0(VALU_DEP_1) | instskip(NEXT) | instid1(SALU_CYCLE_1)
	s_and_saveexec_b32 s21, s1
	s_xor_b32 s1, exec_lo, s21
; %bb.1153:                             ;   in Loop: Header=BB448_13 Depth=1
	v_bfe_u32 v1, v0, 16, 1
	s_delay_alu instid0(VALU_DEP_1)
	v_add3_u32 v170, v0, v1, 0x7fff
                                        ; implicit-def: $vgpr0
; %bb.1154:                             ;   in Loop: Header=BB448_13 Depth=1
	s_and_not1_saveexec_b32 s21, s1
; %bb.1155:                             ;   in Loop: Header=BB448_13 Depth=1
	v_and_b32_e32 v1, 0xffff, v0
	v_or_b32_e32 v2, 0x10000, v0
	s_delay_alu instid0(VALU_DEP_2) | instskip(NEXT) | instid1(VALU_DEP_1)
	v_cmp_eq_u32_e64 s1, 0, v1
	v_cndmask_b32_e64 v170, v2, v0, s1
; %bb.1156:                             ;   in Loop: Header=BB448_13 Depth=1
	s_or_b32 exec_lo, exec_lo, s21
	v_mov_b32_e32 v1, 0
	s_mov_b32 s21, exec_lo
	v_cmpx_lt_u64_e64 s[16:17], v[31:32]
	s_cbranch_execz .LBB448_1164
; %bb.1157:                             ;   in Loop: Header=BB448_13 Depth=1
	v_lshrrev_b32_e32 v0, 24, v32
	v_bfrev_b32_e32 v1, 1
	s_mov_b32 s22, exec_lo
	s_delay_alu instid0(VALU_DEP_2)
	v_cmpx_ne_u32_e32 0x80, v0
	s_cbranch_execz .LBB448_1163
; %bb.1158:                             ;   in Loop: Header=BB448_13 Depth=1
	v_bfe_u32 v2, v32, 24, 7
	v_mov_b32_e32 v1, 0x7f800001
	s_mov_b32 s23, exec_lo
	s_delay_alu instid0(VALU_DEP_2)
	v_cmpx_ne_u32_e32 0x7f, v2
	s_cbranch_execz .LBB448_1162
; %bb.1159:                             ;   in Loop: Header=BB448_13 Depth=1
	v_and_b32_e32 v18, 7, v0
	v_lshrrev_b32_e32 v1, 3, v2
	v_mov_b32_e32 v32, v19
	s_mov_b32 s24, exec_lo
	s_delay_alu instid0(VALU_DEP_3)
	v_mov_b32_e32 v31, v18
	v_cmpx_gt_u32_e32 8, v2
; %bb.1160:                             ;   in Loop: Header=BB448_13 Depth=1
	v_clz_i32_u32_e32 v1, v18
	s_delay_alu instid0(VALU_DEP_1) | instskip(NEXT) | instid1(VALU_DEP_1)
	v_min_u32_e32 v1, 32, v1
	v_subrev_nc_u32_e32 v2, 28, v1
	v_sub_nc_u32_e32 v1, 29, v1
	s_delay_alu instid0(VALU_DEP_2) | instskip(NEXT) | instid1(VALU_DEP_1)
	v_lshlrev_b64 v[2:3], v2, v[18:19]
	v_and_b32_e32 v31, 7, v2
; %bb.1161:                             ;   in Loop: Header=BB448_13 Depth=1
	s_or_b32 exec_lo, exec_lo, s24
	v_lshlrev_b32_e32 v0, 24, v0
	s_delay_alu instid0(VALU_DEP_2) | instskip(SKIP_1) | instid1(VALU_DEP_3)
	v_lshlrev_b32_e32 v2, 20, v31
	v_lshl_add_u32 v1, v1, 23, 0x3c000000
	v_and_b32_e32 v0, 0x80000000, v0
	s_delay_alu instid0(VALU_DEP_1)
	v_or3_b32 v1, v2, v0, v1
.LBB448_1162:                           ;   in Loop: Header=BB448_13 Depth=1
	s_or_b32 exec_lo, exec_lo, s23
.LBB448_1163:                           ;   in Loop: Header=BB448_13 Depth=1
	s_delay_alu instid0(SALU_CYCLE_1)
	s_or_b32 exec_lo, exec_lo, s22
.LBB448_1164:                           ;   in Loop: Header=BB448_13 Depth=1
	s_delay_alu instid0(SALU_CYCLE_1) | instskip(NEXT) | instid1(VALU_DEP_1)
	s_or_b32 exec_lo, exec_lo, s21
	v_mul_f32_e32 v0, v133, v1
                                        ; implicit-def: $vgpr171
	s_delay_alu instid0(VALU_DEP_1) | instskip(NEXT) | instid1(VALU_DEP_1)
	v_and_b32_e32 v1, 0x7f800000, v0
	v_cmp_ne_u32_e64 s1, 0x7f800000, v1
	s_delay_alu instid0(VALU_DEP_1) | instskip(NEXT) | instid1(SALU_CYCLE_1)
	s_and_saveexec_b32 s21, s1
	s_xor_b32 s1, exec_lo, s21
; %bb.1165:                             ;   in Loop: Header=BB448_13 Depth=1
	v_bfe_u32 v1, v0, 16, 1
	s_delay_alu instid0(VALU_DEP_1)
	v_add3_u32 v171, v0, v1, 0x7fff
                                        ; implicit-def: $vgpr0
; %bb.1166:                             ;   in Loop: Header=BB448_13 Depth=1
	s_and_not1_saveexec_b32 s21, s1
; %bb.1167:                             ;   in Loop: Header=BB448_13 Depth=1
	v_and_b32_e32 v1, 0xffff, v0
	v_or_b32_e32 v2, 0x10000, v0
	s_delay_alu instid0(VALU_DEP_2) | instskip(NEXT) | instid1(VALU_DEP_1)
	v_cmp_eq_u32_e64 s1, 0, v1
	v_cndmask_b32_e64 v171, v2, v0, s1
; %bb.1168:                             ;   in Loop: Header=BB448_13 Depth=1
	s_or_b32 exec_lo, exec_lo, s21
	flat_load_b64 v[31:32], v[28:29] offset:3072
	s_mov_b32 s21, exec_lo
	s_waitcnt vmcnt(0) lgkmcnt(0)
	v_dual_mov_b32 v0, 0 :: v_dual_and_b32 v1, 0xff, v31
	s_delay_alu instid0(VALU_DEP_1)
	v_cmpx_ne_u16_e32 0, v1
	s_cbranch_execz .LBB448_1176
; %bb.1169:                             ;   in Loop: Header=BB448_13 Depth=1
	v_bfrev_b32_e32 v0, 1
	s_mov_b32 s22, exec_lo
	v_cmpx_ne_u16_e32 0x80, v1
	s_cbranch_execz .LBB448_1175
; %bb.1170:                             ;   in Loop: Header=BB448_13 Depth=1
	v_and_b32_e32 v1, 0x7f, v31
	v_mov_b32_e32 v0, 0x7f800001
	s_mov_b32 s23, exec_lo
	s_delay_alu instid0(VALU_DEP_2)
	v_cmpx_ne_u32_e32 0x7f, v1
	s_cbranch_execz .LBB448_1174
; %bb.1171:                             ;   in Loop: Header=BB448_13 Depth=1
	v_lshrrev_b32_e32 v0, 3, v1
	v_dual_mov_b32 v34, v32 :: v_dual_mov_b32 v33, v31
	s_mov_b32 s24, exec_lo
	v_cmpx_gt_u32_e32 8, v1
; %bb.1172:                             ;   in Loop: Header=BB448_13 Depth=1
	v_and_b32_e32 v0, 7, v31
	s_delay_alu instid0(VALU_DEP_1) | instskip(NEXT) | instid1(VALU_DEP_1)
	v_clz_i32_u32_e32 v0, v0
	v_min_u32_e32 v0, 32, v0
	s_delay_alu instid0(VALU_DEP_1) | instskip(SKIP_1) | instid1(VALU_DEP_2)
	v_subrev_nc_u32_e32 v1, 28, v0
	v_sub_nc_u32_e32 v0, 29, v0
	v_lshlrev_b64 v[33:34], v1, v[31:32]
; %bb.1173:                             ;   in Loop: Header=BB448_13 Depth=1
	s_or_b32 exec_lo, exec_lo, s24
	s_delay_alu instid0(VALU_DEP_1) | instskip(SKIP_2) | instid1(VALU_DEP_3)
	v_lshlrev_b32_e32 v1, 20, v33
	v_lshlrev_b32_e32 v2, 24, v31
	v_lshl_add_u32 v0, v0, 23, 0x3c000000
	v_and_b32_e32 v1, 0x700000, v1
	s_delay_alu instid0(VALU_DEP_3) | instskip(NEXT) | instid1(VALU_DEP_1)
	v_and_b32_e32 v2, 0x80000000, v2
	v_or3_b32 v0, v1, v2, v0
.LBB448_1174:                           ;   in Loop: Header=BB448_13 Depth=1
	s_or_b32 exec_lo, exec_lo, s23
.LBB448_1175:                           ;   in Loop: Header=BB448_13 Depth=1
	s_delay_alu instid0(SALU_CYCLE_1)
	s_or_b32 exec_lo, exec_lo, s22
.LBB448_1176:                           ;   in Loop: Header=BB448_13 Depth=1
	s_delay_alu instid0(SALU_CYCLE_1) | instskip(NEXT) | instid1(VALU_DEP_1)
	s_or_b32 exec_lo, exec_lo, s21
	v_mul_f32_e32 v0, v133, v0
                                        ; implicit-def: $vgpr172
	s_delay_alu instid0(VALU_DEP_1) | instskip(NEXT) | instid1(VALU_DEP_1)
	v_and_b32_e32 v1, 0x7f800000, v0
	v_cmp_ne_u32_e64 s1, 0x7f800000, v1
	s_delay_alu instid0(VALU_DEP_1) | instskip(NEXT) | instid1(SALU_CYCLE_1)
	s_and_saveexec_b32 s21, s1
	s_xor_b32 s1, exec_lo, s21
; %bb.1177:                             ;   in Loop: Header=BB448_13 Depth=1
	v_bfe_u32 v1, v0, 16, 1
	s_delay_alu instid0(VALU_DEP_1)
	v_add3_u32 v172, v0, v1, 0x7fff
                                        ; implicit-def: $vgpr0
; %bb.1178:                             ;   in Loop: Header=BB448_13 Depth=1
	s_and_not1_saveexec_b32 s21, s1
; %bb.1179:                             ;   in Loop: Header=BB448_13 Depth=1
	v_and_b32_e32 v1, 0xffff, v0
	v_or_b32_e32 v2, 0x10000, v0
	s_delay_alu instid0(VALU_DEP_2) | instskip(NEXT) | instid1(VALU_DEP_1)
	v_cmp_eq_u32_e64 s1, 0, v1
	v_cndmask_b32_e64 v172, v2, v0, s1
; %bb.1180:                             ;   in Loop: Header=BB448_13 Depth=1
	s_or_b32 exec_lo, exec_lo, s21
	v_lshrrev_b16 v1, 8, v31
	v_mov_b32_e32 v0, 0
	s_mov_b32 s21, exec_lo
	s_delay_alu instid0(VALU_DEP_2)
	v_cmpx_ne_u16_e32 0, v1
	s_cbranch_execz .LBB448_1188
; %bb.1181:                             ;   in Loop: Header=BB448_13 Depth=1
	v_bfrev_b32_e32 v0, 1
	s_mov_b32 s22, exec_lo
	v_cmpx_ne_u16_e32 0x80, v1
	s_cbranch_execz .LBB448_1187
; %bb.1182:                             ;   in Loop: Header=BB448_13 Depth=1
	v_and_b32_e32 v2, 0xffff, v1
	v_mov_b32_e32 v0, 0x7f800001
	s_mov_b32 s23, exec_lo
	s_delay_alu instid0(VALU_DEP_2) | instskip(NEXT) | instid1(VALU_DEP_1)
	v_and_b32_e32 v1, 0x7f, v2
	v_cmpx_ne_u32_e32 0x7f, v1
	s_cbranch_execz .LBB448_1186
; %bb.1183:                             ;   in Loop: Header=BB448_13 Depth=1
	v_and_b32_e32 v18, 7, v2
	v_lshrrev_b32_e32 v0, 3, v1
	v_mov_b32_e32 v34, v19
	s_mov_b32 s24, exec_lo
	s_delay_alu instid0(VALU_DEP_3)
	v_mov_b32_e32 v33, v18
	v_cmpx_gt_u32_e32 8, v1
; %bb.1184:                             ;   in Loop: Header=BB448_13 Depth=1
	v_clz_i32_u32_e32 v0, v18
	s_delay_alu instid0(VALU_DEP_1) | instskip(NEXT) | instid1(VALU_DEP_1)
	v_min_u32_e32 v0, 32, v0
	v_subrev_nc_u32_e32 v1, 28, v0
	v_sub_nc_u32_e32 v0, 29, v0
	s_delay_alu instid0(VALU_DEP_2) | instskip(NEXT) | instid1(VALU_DEP_1)
	v_lshlrev_b64 v[1:2], v1, v[18:19]
	v_and_b32_e32 v33, 7, v1
; %bb.1185:                             ;   in Loop: Header=BB448_13 Depth=1
	s_or_b32 exec_lo, exec_lo, s24
	v_lshlrev_b32_e32 v1, 16, v31
	s_delay_alu instid0(VALU_DEP_2) | instskip(SKIP_1) | instid1(VALU_DEP_3)
	v_lshlrev_b32_e32 v2, 20, v33
	v_lshl_add_u32 v0, v0, 23, 0x3c000000
	v_and_b32_e32 v1, 0x80000000, v1
	s_delay_alu instid0(VALU_DEP_1)
	v_or3_b32 v0, v2, v1, v0
.LBB448_1186:                           ;   in Loop: Header=BB448_13 Depth=1
	s_or_b32 exec_lo, exec_lo, s23
.LBB448_1187:                           ;   in Loop: Header=BB448_13 Depth=1
	s_delay_alu instid0(SALU_CYCLE_1)
	s_or_b32 exec_lo, exec_lo, s22
.LBB448_1188:                           ;   in Loop: Header=BB448_13 Depth=1
	s_delay_alu instid0(SALU_CYCLE_1) | instskip(NEXT) | instid1(VALU_DEP_1)
	s_or_b32 exec_lo, exec_lo, s21
	v_mul_f32_e32 v0, v133, v0
                                        ; implicit-def: $vgpr173
	s_delay_alu instid0(VALU_DEP_1) | instskip(NEXT) | instid1(VALU_DEP_1)
	v_and_b32_e32 v1, 0x7f800000, v0
	v_cmp_ne_u32_e64 s1, 0x7f800000, v1
	s_delay_alu instid0(VALU_DEP_1) | instskip(NEXT) | instid1(SALU_CYCLE_1)
	s_and_saveexec_b32 s21, s1
	s_xor_b32 s1, exec_lo, s21
; %bb.1189:                             ;   in Loop: Header=BB448_13 Depth=1
	v_bfe_u32 v1, v0, 16, 1
	s_delay_alu instid0(VALU_DEP_1)
	v_add3_u32 v173, v0, v1, 0x7fff
                                        ; implicit-def: $vgpr0
; %bb.1190:                             ;   in Loop: Header=BB448_13 Depth=1
	s_and_not1_saveexec_b32 s21, s1
; %bb.1191:                             ;   in Loop: Header=BB448_13 Depth=1
	v_and_b32_e32 v1, 0xffff, v0
	v_or_b32_e32 v2, 0x10000, v0
	s_delay_alu instid0(VALU_DEP_2) | instskip(NEXT) | instid1(VALU_DEP_1)
	v_cmp_eq_u32_e64 s1, 0, v1
	v_cndmask_b32_e64 v173, v2, v0, s1
; %bb.1192:                             ;   in Loop: Header=BB448_13 Depth=1
	s_or_b32 exec_lo, exec_lo, s21
	v_lshrrev_b32_e32 v0, 16, v31
	s_mov_b32 s21, exec_lo
	s_delay_alu instid0(VALU_DEP_1) | instskip(NEXT) | instid1(VALU_DEP_1)
	v_dual_mov_b32 v1, 0 :: v_dual_and_b32 v2, 0xff, v0
	v_cmpx_ne_u16_e32 0, v2
	s_cbranch_execz .LBB448_1200
; %bb.1193:                             ;   in Loop: Header=BB448_13 Depth=1
	v_bfrev_b32_e32 v1, 1
	s_mov_b32 s22, exec_lo
	v_cmpx_ne_u16_e32 0x80, v2
	s_cbranch_execz .LBB448_1199
; %bb.1194:                             ;   in Loop: Header=BB448_13 Depth=1
	v_bfe_u32 v2, v31, 16, 7
	v_mov_b32_e32 v1, 0x7f800001
	s_mov_b32 s23, exec_lo
	s_delay_alu instid0(VALU_DEP_2)
	v_cmpx_ne_u32_e32 0x7f, v2
	s_cbranch_execz .LBB448_1198
; %bb.1195:                             ;   in Loop: Header=BB448_13 Depth=1
	v_and_b32_e32 v18, 7, v0
	v_lshrrev_b32_e32 v1, 3, v2
	v_mov_b32_e32 v34, v19
	s_mov_b32 s24, exec_lo
	s_delay_alu instid0(VALU_DEP_3)
	v_mov_b32_e32 v33, v18
	v_cmpx_gt_u32_e32 8, v2
; %bb.1196:                             ;   in Loop: Header=BB448_13 Depth=1
	v_clz_i32_u32_e32 v1, v18
	s_delay_alu instid0(VALU_DEP_1) | instskip(NEXT) | instid1(VALU_DEP_1)
	v_min_u32_e32 v1, 32, v1
	v_subrev_nc_u32_e32 v2, 28, v1
	v_sub_nc_u32_e32 v1, 29, v1
	s_delay_alu instid0(VALU_DEP_2) | instskip(NEXT) | instid1(VALU_DEP_1)
	v_lshlrev_b64 v[2:3], v2, v[18:19]
	v_and_b32_e32 v33, 7, v2
; %bb.1197:                             ;   in Loop: Header=BB448_13 Depth=1
	s_or_b32 exec_lo, exec_lo, s24
	v_lshlrev_b32_e32 v0, 24, v0
	s_delay_alu instid0(VALU_DEP_2) | instskip(SKIP_1) | instid1(VALU_DEP_3)
	v_lshlrev_b32_e32 v2, 20, v33
	v_lshl_add_u32 v1, v1, 23, 0x3c000000
	v_and_b32_e32 v0, 0x80000000, v0
	s_delay_alu instid0(VALU_DEP_1)
	v_or3_b32 v1, v2, v0, v1
.LBB448_1198:                           ;   in Loop: Header=BB448_13 Depth=1
	s_or_b32 exec_lo, exec_lo, s23
.LBB448_1199:                           ;   in Loop: Header=BB448_13 Depth=1
	s_delay_alu instid0(SALU_CYCLE_1)
	s_or_b32 exec_lo, exec_lo, s22
.LBB448_1200:                           ;   in Loop: Header=BB448_13 Depth=1
	s_delay_alu instid0(SALU_CYCLE_1) | instskip(NEXT) | instid1(VALU_DEP_1)
	s_or_b32 exec_lo, exec_lo, s21
	v_mul_f32_e32 v0, v133, v1
                                        ; implicit-def: $vgpr174
	s_delay_alu instid0(VALU_DEP_1) | instskip(NEXT) | instid1(VALU_DEP_1)
	v_and_b32_e32 v1, 0x7f800000, v0
	v_cmp_ne_u32_e64 s1, 0x7f800000, v1
	s_delay_alu instid0(VALU_DEP_1) | instskip(NEXT) | instid1(SALU_CYCLE_1)
	s_and_saveexec_b32 s21, s1
	s_xor_b32 s1, exec_lo, s21
; %bb.1201:                             ;   in Loop: Header=BB448_13 Depth=1
	v_bfe_u32 v1, v0, 16, 1
	s_delay_alu instid0(VALU_DEP_1)
	v_add3_u32 v174, v0, v1, 0x7fff
                                        ; implicit-def: $vgpr0
; %bb.1202:                             ;   in Loop: Header=BB448_13 Depth=1
	s_and_not1_saveexec_b32 s21, s1
; %bb.1203:                             ;   in Loop: Header=BB448_13 Depth=1
	v_and_b32_e32 v1, 0xffff, v0
	v_or_b32_e32 v2, 0x10000, v0
	s_delay_alu instid0(VALU_DEP_2) | instskip(NEXT) | instid1(VALU_DEP_1)
	v_cmp_eq_u32_e64 s1, 0, v1
	v_cndmask_b32_e64 v174, v2, v0, s1
; %bb.1204:                             ;   in Loop: Header=BB448_13 Depth=1
	s_or_b32 exec_lo, exec_lo, s21
	v_mov_b32_e32 v1, 0
	s_mov_b32 s21, exec_lo
	v_cmpx_lt_u32_e32 0xffffff, v31
	s_cbranch_execz .LBB448_1212
; %bb.1205:                             ;   in Loop: Header=BB448_13 Depth=1
	v_lshrrev_b32_e32 v0, 24, v31
	v_bfrev_b32_e32 v1, 1
	s_mov_b32 s22, exec_lo
	s_delay_alu instid0(VALU_DEP_2)
	v_cmpx_ne_u32_e32 0x80, v0
	s_cbranch_execz .LBB448_1211
; %bb.1206:                             ;   in Loop: Header=BB448_13 Depth=1
	v_bfe_u32 v2, v31, 24, 7
	v_mov_b32_e32 v1, 0x7f800001
	s_mov_b32 s23, exec_lo
	s_delay_alu instid0(VALU_DEP_2)
	v_cmpx_ne_u32_e32 0x7f, v2
	s_cbranch_execz .LBB448_1210
; %bb.1207:                             ;   in Loop: Header=BB448_13 Depth=1
	v_and_b32_e32 v18, 7, v0
	v_lshrrev_b32_e32 v1, 3, v2
	v_mov_b32_e32 v34, v19
	s_mov_b32 s24, exec_lo
	s_delay_alu instid0(VALU_DEP_3)
	v_mov_b32_e32 v33, v18
	v_cmpx_gt_u32_e32 8, v2
; %bb.1208:                             ;   in Loop: Header=BB448_13 Depth=1
	v_clz_i32_u32_e32 v1, v18
	s_delay_alu instid0(VALU_DEP_1) | instskip(NEXT) | instid1(VALU_DEP_1)
	v_min_u32_e32 v1, 32, v1
	v_subrev_nc_u32_e32 v2, 28, v1
	v_sub_nc_u32_e32 v1, 29, v1
	s_delay_alu instid0(VALU_DEP_2) | instskip(NEXT) | instid1(VALU_DEP_1)
	v_lshlrev_b64 v[2:3], v2, v[18:19]
	v_and_b32_e32 v33, 7, v2
; %bb.1209:                             ;   in Loop: Header=BB448_13 Depth=1
	s_or_b32 exec_lo, exec_lo, s24
	v_lshlrev_b32_e32 v0, 24, v0
	s_delay_alu instid0(VALU_DEP_2) | instskip(SKIP_1) | instid1(VALU_DEP_3)
	v_lshlrev_b32_e32 v2, 20, v33
	v_lshl_add_u32 v1, v1, 23, 0x3c000000
	v_and_b32_e32 v0, 0x80000000, v0
	s_delay_alu instid0(VALU_DEP_1)
	v_or3_b32 v1, v2, v0, v1
.LBB448_1210:                           ;   in Loop: Header=BB448_13 Depth=1
	s_or_b32 exec_lo, exec_lo, s23
.LBB448_1211:                           ;   in Loop: Header=BB448_13 Depth=1
	s_delay_alu instid0(SALU_CYCLE_1)
	s_or_b32 exec_lo, exec_lo, s22
.LBB448_1212:                           ;   in Loop: Header=BB448_13 Depth=1
	s_delay_alu instid0(SALU_CYCLE_1) | instskip(NEXT) | instid1(VALU_DEP_1)
	s_or_b32 exec_lo, exec_lo, s21
	v_mul_f32_e32 v0, v133, v1
                                        ; implicit-def: $vgpr175
	s_delay_alu instid0(VALU_DEP_1) | instskip(NEXT) | instid1(VALU_DEP_1)
	v_and_b32_e32 v1, 0x7f800000, v0
	v_cmp_ne_u32_e64 s1, 0x7f800000, v1
	s_delay_alu instid0(VALU_DEP_1) | instskip(NEXT) | instid1(SALU_CYCLE_1)
	s_and_saveexec_b32 s21, s1
	s_xor_b32 s1, exec_lo, s21
; %bb.1213:                             ;   in Loop: Header=BB448_13 Depth=1
	v_bfe_u32 v1, v0, 16, 1
	s_delay_alu instid0(VALU_DEP_1)
	v_add3_u32 v175, v0, v1, 0x7fff
                                        ; implicit-def: $vgpr0
; %bb.1214:                             ;   in Loop: Header=BB448_13 Depth=1
	s_and_not1_saveexec_b32 s21, s1
; %bb.1215:                             ;   in Loop: Header=BB448_13 Depth=1
	v_and_b32_e32 v1, 0xffff, v0
	v_or_b32_e32 v2, 0x10000, v0
	s_delay_alu instid0(VALU_DEP_2) | instskip(NEXT) | instid1(VALU_DEP_1)
	v_cmp_eq_u32_e64 s1, 0, v1
	v_cndmask_b32_e64 v175, v2, v0, s1
; %bb.1216:                             ;   in Loop: Header=BB448_13 Depth=1
	s_or_b32 exec_lo, exec_lo, s21
	v_dual_mov_b32 v18, v32 :: v_dual_and_b32 v1, 0xff, v32
	v_mov_b32_e32 v0, 0
	s_mov_b32 s21, exec_lo
	s_delay_alu instid0(VALU_DEP_2)
	v_cmpx_ne_u16_e32 0, v1
	s_cbranch_execz .LBB448_1224
; %bb.1217:                             ;   in Loop: Header=BB448_13 Depth=1
	v_bfrev_b32_e32 v0, 1
	s_mov_b32 s22, exec_lo
	v_cmpx_ne_u16_e32 0x80, v1
	s_cbranch_execz .LBB448_1223
; %bb.1218:                             ;   in Loop: Header=BB448_13 Depth=1
	v_and_b32_e32 v1, 0x7f, v32
	v_mov_b32_e32 v0, 0x7f800001
	s_mov_b32 s23, exec_lo
	s_delay_alu instid0(VALU_DEP_2)
	v_cmpx_ne_u32_e32 0x7f, v1
	s_cbranch_execz .LBB448_1222
; %bb.1219:                             ;   in Loop: Header=BB448_13 Depth=1
	v_lshrrev_b32_e32 v0, 3, v1
	v_dual_mov_b32 v34, v19 :: v_dual_mov_b32 v33, v18
	s_mov_b32 s24, exec_lo
	v_cmpx_gt_u32_e32 8, v1
; %bb.1220:                             ;   in Loop: Header=BB448_13 Depth=1
	v_and_b32_e32 v0, 7, v32
	s_delay_alu instid0(VALU_DEP_1) | instskip(NEXT) | instid1(VALU_DEP_1)
	v_clz_i32_u32_e32 v0, v0
	v_min_u32_e32 v0, 32, v0
	s_delay_alu instid0(VALU_DEP_1) | instskip(SKIP_1) | instid1(VALU_DEP_2)
	v_subrev_nc_u32_e32 v1, 28, v0
	v_sub_nc_u32_e32 v0, 29, v0
	v_lshlrev_b64 v[33:34], v1, v[18:19]
; %bb.1221:                             ;   in Loop: Header=BB448_13 Depth=1
	s_or_b32 exec_lo, exec_lo, s24
	s_delay_alu instid0(VALU_DEP_1) | instskip(SKIP_2) | instid1(VALU_DEP_3)
	v_lshlrev_b32_e32 v1, 20, v33
	v_lshlrev_b32_e32 v2, 24, v18
	v_lshl_add_u32 v0, v0, 23, 0x3c000000
	v_and_b32_e32 v1, 0x700000, v1
	s_delay_alu instid0(VALU_DEP_3) | instskip(NEXT) | instid1(VALU_DEP_1)
	v_and_b32_e32 v2, 0x80000000, v2
	v_or3_b32 v0, v1, v2, v0
.LBB448_1222:                           ;   in Loop: Header=BB448_13 Depth=1
	s_or_b32 exec_lo, exec_lo, s23
.LBB448_1223:                           ;   in Loop: Header=BB448_13 Depth=1
	s_delay_alu instid0(SALU_CYCLE_1)
	s_or_b32 exec_lo, exec_lo, s22
.LBB448_1224:                           ;   in Loop: Header=BB448_13 Depth=1
	s_delay_alu instid0(SALU_CYCLE_1) | instskip(NEXT) | instid1(VALU_DEP_1)
	s_or_b32 exec_lo, exec_lo, s21
	v_mul_f32_e32 v0, v133, v0
                                        ; implicit-def: $vgpr184
	s_delay_alu instid0(VALU_DEP_1) | instskip(NEXT) | instid1(VALU_DEP_1)
	v_and_b32_e32 v1, 0x7f800000, v0
	v_cmp_ne_u32_e64 s1, 0x7f800000, v1
	s_delay_alu instid0(VALU_DEP_1) | instskip(NEXT) | instid1(SALU_CYCLE_1)
	s_and_saveexec_b32 s21, s1
	s_xor_b32 s1, exec_lo, s21
; %bb.1225:                             ;   in Loop: Header=BB448_13 Depth=1
	v_bfe_u32 v1, v0, 16, 1
	s_delay_alu instid0(VALU_DEP_1)
	v_add3_u32 v184, v0, v1, 0x7fff
                                        ; implicit-def: $vgpr0
; %bb.1226:                             ;   in Loop: Header=BB448_13 Depth=1
	s_and_not1_saveexec_b32 s21, s1
; %bb.1227:                             ;   in Loop: Header=BB448_13 Depth=1
	v_and_b32_e32 v1, 0xffff, v0
	v_or_b32_e32 v2, 0x10000, v0
	s_delay_alu instid0(VALU_DEP_2) | instskip(NEXT) | instid1(VALU_DEP_1)
	v_cmp_eq_u32_e64 s1, 0, v1
	v_cndmask_b32_e64 v184, v2, v0, s1
; %bb.1228:                             ;   in Loop: Header=BB448_13 Depth=1
	s_or_b32 exec_lo, exec_lo, s21
	v_lshrrev_b16 v1, 8, v18
	v_mov_b32_e32 v0, 0
	s_mov_b32 s21, exec_lo
	s_delay_alu instid0(VALU_DEP_2)
	v_cmpx_ne_u16_e32 0, v1
	s_cbranch_execz .LBB448_1236
; %bb.1229:                             ;   in Loop: Header=BB448_13 Depth=1
	v_bfrev_b32_e32 v0, 1
	s_mov_b32 s22, exec_lo
	v_cmpx_ne_u16_e32 0x80, v1
	s_cbranch_execz .LBB448_1235
; %bb.1230:                             ;   in Loop: Header=BB448_13 Depth=1
	v_and_b32_e32 v2, 0xffff, v1
	v_mov_b32_e32 v0, 0x7f800001
	s_mov_b32 s23, exec_lo
	s_delay_alu instid0(VALU_DEP_2) | instskip(NEXT) | instid1(VALU_DEP_1)
	v_and_b32_e32 v1, 0x7f, v2
	v_cmpx_ne_u32_e32 0x7f, v1
	s_cbranch_execz .LBB448_1234
; %bb.1231:                             ;   in Loop: Header=BB448_13 Depth=1
	v_dual_mov_b32 v34, v19 :: v_dual_and_b32 v33, 7, v2
	v_lshrrev_b32_e32 v0, 3, v1
	s_mov_b32 s24, exec_lo
	v_cmpx_gt_u32_e32 8, v1
; %bb.1232:                             ;   in Loop: Header=BB448_13 Depth=1
	s_delay_alu instid0(VALU_DEP_3) | instskip(NEXT) | instid1(VALU_DEP_1)
	v_clz_i32_u32_e32 v0, v33
	v_min_u32_e32 v0, 32, v0
	s_delay_alu instid0(VALU_DEP_1) | instskip(SKIP_1) | instid1(VALU_DEP_2)
	v_subrev_nc_u32_e32 v1, 28, v0
	v_sub_nc_u32_e32 v0, 29, v0
	v_lshlrev_b64 v[1:2], v1, v[33:34]
	s_delay_alu instid0(VALU_DEP_1)
	v_and_b32_e32 v33, 7, v1
; %bb.1233:                             ;   in Loop: Header=BB448_13 Depth=1
	s_or_b32 exec_lo, exec_lo, s24
	v_lshlrev_b32_e32 v1, 16, v18
	s_delay_alu instid0(VALU_DEP_2) | instskip(SKIP_1) | instid1(VALU_DEP_3)
	v_lshlrev_b32_e32 v2, 20, v33
	v_lshl_add_u32 v0, v0, 23, 0x3c000000
	v_and_b32_e32 v1, 0x80000000, v1
	s_delay_alu instid0(VALU_DEP_1)
	v_or3_b32 v0, v2, v1, v0
.LBB448_1234:                           ;   in Loop: Header=BB448_13 Depth=1
	s_or_b32 exec_lo, exec_lo, s23
.LBB448_1235:                           ;   in Loop: Header=BB448_13 Depth=1
	s_delay_alu instid0(SALU_CYCLE_1)
	s_or_b32 exec_lo, exec_lo, s22
.LBB448_1236:                           ;   in Loop: Header=BB448_13 Depth=1
	s_delay_alu instid0(SALU_CYCLE_1) | instskip(NEXT) | instid1(VALU_DEP_1)
	s_or_b32 exec_lo, exec_lo, s21
	v_mul_f32_e32 v0, v133, v0
                                        ; implicit-def: $vgpr185
	s_delay_alu instid0(VALU_DEP_1) | instskip(NEXT) | instid1(VALU_DEP_1)
	v_and_b32_e32 v1, 0x7f800000, v0
	v_cmp_ne_u32_e64 s1, 0x7f800000, v1
	s_delay_alu instid0(VALU_DEP_1) | instskip(NEXT) | instid1(SALU_CYCLE_1)
	s_and_saveexec_b32 s21, s1
	s_xor_b32 s1, exec_lo, s21
; %bb.1237:                             ;   in Loop: Header=BB448_13 Depth=1
	v_bfe_u32 v1, v0, 16, 1
	s_delay_alu instid0(VALU_DEP_1)
	v_add3_u32 v185, v0, v1, 0x7fff
                                        ; implicit-def: $vgpr0
; %bb.1238:                             ;   in Loop: Header=BB448_13 Depth=1
	s_and_not1_saveexec_b32 s21, s1
; %bb.1239:                             ;   in Loop: Header=BB448_13 Depth=1
	v_and_b32_e32 v1, 0xffff, v0
	v_or_b32_e32 v2, 0x10000, v0
	s_delay_alu instid0(VALU_DEP_2) | instskip(NEXT) | instid1(VALU_DEP_1)
	v_cmp_eq_u32_e64 s1, 0, v1
	v_cndmask_b32_e64 v185, v2, v0, s1
; %bb.1240:                             ;   in Loop: Header=BB448_13 Depth=1
	s_or_b32 exec_lo, exec_lo, s21
	v_lshrrev_b32_e32 v0, 16, v32
	s_mov_b32 s21, exec_lo
	s_delay_alu instid0(VALU_DEP_1) | instskip(NEXT) | instid1(VALU_DEP_1)
	v_dual_mov_b32 v1, 0 :: v_dual_and_b32 v2, 0xff, v0
	v_cmpx_ne_u16_e32 0, v2
	s_cbranch_execz .LBB448_1248
; %bb.1241:                             ;   in Loop: Header=BB448_13 Depth=1
	v_bfrev_b32_e32 v1, 1
	s_mov_b32 s22, exec_lo
	v_cmpx_ne_u16_e32 0x80, v2
	s_cbranch_execz .LBB448_1247
; %bb.1242:                             ;   in Loop: Header=BB448_13 Depth=1
	v_bfe_u32 v2, v32, 16, 7
	v_mov_b32_e32 v1, 0x7f800001
	s_mov_b32 s23, exec_lo
	s_delay_alu instid0(VALU_DEP_2)
	v_cmpx_ne_u32_e32 0x7f, v2
	s_cbranch_execz .LBB448_1246
; %bb.1243:                             ;   in Loop: Header=BB448_13 Depth=1
	v_and_b32_e32 v18, 7, v0
	v_lshrrev_b32_e32 v1, 3, v2
	v_mov_b32_e32 v34, v19
	s_mov_b32 s24, exec_lo
	s_delay_alu instid0(VALU_DEP_3)
	v_mov_b32_e32 v33, v18
	v_cmpx_gt_u32_e32 8, v2
; %bb.1244:                             ;   in Loop: Header=BB448_13 Depth=1
	v_clz_i32_u32_e32 v1, v18
	s_delay_alu instid0(VALU_DEP_1) | instskip(NEXT) | instid1(VALU_DEP_1)
	v_min_u32_e32 v1, 32, v1
	v_subrev_nc_u32_e32 v2, 28, v1
	v_sub_nc_u32_e32 v1, 29, v1
	s_delay_alu instid0(VALU_DEP_2) | instskip(NEXT) | instid1(VALU_DEP_1)
	v_lshlrev_b64 v[2:3], v2, v[18:19]
	v_and_b32_e32 v33, 7, v2
; %bb.1245:                             ;   in Loop: Header=BB448_13 Depth=1
	s_or_b32 exec_lo, exec_lo, s24
	v_lshlrev_b32_e32 v0, 24, v0
	s_delay_alu instid0(VALU_DEP_2) | instskip(SKIP_1) | instid1(VALU_DEP_3)
	v_lshlrev_b32_e32 v2, 20, v33
	v_lshl_add_u32 v1, v1, 23, 0x3c000000
	v_and_b32_e32 v0, 0x80000000, v0
	s_delay_alu instid0(VALU_DEP_1)
	v_or3_b32 v1, v2, v0, v1
.LBB448_1246:                           ;   in Loop: Header=BB448_13 Depth=1
	s_or_b32 exec_lo, exec_lo, s23
.LBB448_1247:                           ;   in Loop: Header=BB448_13 Depth=1
	s_delay_alu instid0(SALU_CYCLE_1)
	s_or_b32 exec_lo, exec_lo, s22
.LBB448_1248:                           ;   in Loop: Header=BB448_13 Depth=1
	s_delay_alu instid0(SALU_CYCLE_1) | instskip(NEXT) | instid1(VALU_DEP_1)
	s_or_b32 exec_lo, exec_lo, s21
	v_mul_f32_e32 v0, v133, v1
                                        ; implicit-def: $vgpr186
	s_delay_alu instid0(VALU_DEP_1) | instskip(NEXT) | instid1(VALU_DEP_1)
	v_and_b32_e32 v1, 0x7f800000, v0
	v_cmp_ne_u32_e64 s1, 0x7f800000, v1
	s_delay_alu instid0(VALU_DEP_1) | instskip(NEXT) | instid1(SALU_CYCLE_1)
	s_and_saveexec_b32 s21, s1
	s_xor_b32 s1, exec_lo, s21
; %bb.1249:                             ;   in Loop: Header=BB448_13 Depth=1
	v_bfe_u32 v1, v0, 16, 1
	s_delay_alu instid0(VALU_DEP_1)
	v_add3_u32 v186, v0, v1, 0x7fff
                                        ; implicit-def: $vgpr0
; %bb.1250:                             ;   in Loop: Header=BB448_13 Depth=1
	s_and_not1_saveexec_b32 s21, s1
; %bb.1251:                             ;   in Loop: Header=BB448_13 Depth=1
	v_and_b32_e32 v1, 0xffff, v0
	v_or_b32_e32 v2, 0x10000, v0
	s_delay_alu instid0(VALU_DEP_2) | instskip(NEXT) | instid1(VALU_DEP_1)
	v_cmp_eq_u32_e64 s1, 0, v1
	v_cndmask_b32_e64 v186, v2, v0, s1
; %bb.1252:                             ;   in Loop: Header=BB448_13 Depth=1
	s_or_b32 exec_lo, exec_lo, s21
	v_mov_b32_e32 v1, 0
	s_mov_b32 s21, exec_lo
	v_cmpx_lt_u64_e64 s[16:17], v[31:32]
	s_cbranch_execz .LBB448_1260
; %bb.1253:                             ;   in Loop: Header=BB448_13 Depth=1
	v_lshrrev_b32_e32 v0, 24, v32
	v_bfrev_b32_e32 v1, 1
	s_mov_b32 s22, exec_lo
	s_delay_alu instid0(VALU_DEP_2)
	v_cmpx_ne_u32_e32 0x80, v0
	s_cbranch_execz .LBB448_1259
; %bb.1254:                             ;   in Loop: Header=BB448_13 Depth=1
	v_bfe_u32 v2, v32, 24, 7
	v_mov_b32_e32 v1, 0x7f800001
	s_mov_b32 s23, exec_lo
	s_delay_alu instid0(VALU_DEP_2)
	v_cmpx_ne_u32_e32 0x7f, v2
	s_cbranch_execz .LBB448_1258
; %bb.1255:                             ;   in Loop: Header=BB448_13 Depth=1
	v_and_b32_e32 v18, 7, v0
	v_lshrrev_b32_e32 v1, 3, v2
	v_mov_b32_e32 v32, v19
	s_mov_b32 s24, exec_lo
	s_delay_alu instid0(VALU_DEP_3)
	v_mov_b32_e32 v31, v18
	v_cmpx_gt_u32_e32 8, v2
; %bb.1256:                             ;   in Loop: Header=BB448_13 Depth=1
	v_clz_i32_u32_e32 v1, v18
	s_delay_alu instid0(VALU_DEP_1) | instskip(NEXT) | instid1(VALU_DEP_1)
	v_min_u32_e32 v1, 32, v1
	v_subrev_nc_u32_e32 v2, 28, v1
	v_sub_nc_u32_e32 v1, 29, v1
	s_delay_alu instid0(VALU_DEP_2) | instskip(NEXT) | instid1(VALU_DEP_1)
	v_lshlrev_b64 v[2:3], v2, v[18:19]
	v_and_b32_e32 v31, 7, v2
; %bb.1257:                             ;   in Loop: Header=BB448_13 Depth=1
	s_or_b32 exec_lo, exec_lo, s24
	v_lshlrev_b32_e32 v0, 24, v0
	s_delay_alu instid0(VALU_DEP_2) | instskip(SKIP_1) | instid1(VALU_DEP_3)
	v_lshlrev_b32_e32 v2, 20, v31
	v_lshl_add_u32 v1, v1, 23, 0x3c000000
	v_and_b32_e32 v0, 0x80000000, v0
	s_delay_alu instid0(VALU_DEP_1)
	v_or3_b32 v1, v2, v0, v1
.LBB448_1258:                           ;   in Loop: Header=BB448_13 Depth=1
	s_or_b32 exec_lo, exec_lo, s23
.LBB448_1259:                           ;   in Loop: Header=BB448_13 Depth=1
	s_delay_alu instid0(SALU_CYCLE_1)
	s_or_b32 exec_lo, exec_lo, s22
.LBB448_1260:                           ;   in Loop: Header=BB448_13 Depth=1
	s_delay_alu instid0(SALU_CYCLE_1) | instskip(NEXT) | instid1(VALU_DEP_1)
	s_or_b32 exec_lo, exec_lo, s21
	v_mul_f32_e32 v0, v133, v1
                                        ; implicit-def: $vgpr26
	s_delay_alu instid0(VALU_DEP_1) | instskip(NEXT) | instid1(VALU_DEP_1)
	v_and_b32_e32 v1, 0x7f800000, v0
	v_cmp_ne_u32_e64 s1, 0x7f800000, v1
	s_delay_alu instid0(VALU_DEP_1) | instskip(NEXT) | instid1(SALU_CYCLE_1)
	s_and_saveexec_b32 s21, s1
	s_xor_b32 s1, exec_lo, s21
; %bb.1261:                             ;   in Loop: Header=BB448_13 Depth=1
	v_bfe_u32 v1, v0, 16, 1
	s_delay_alu instid0(VALU_DEP_1)
	v_add3_u32 v26, v0, v1, 0x7fff
                                        ; implicit-def: $vgpr0
; %bb.1262:                             ;   in Loop: Header=BB448_13 Depth=1
	s_and_not1_saveexec_b32 s21, s1
; %bb.1263:                             ;   in Loop: Header=BB448_13 Depth=1
	v_and_b32_e32 v1, 0xffff, v0
	v_or_b32_e32 v2, 0x10000, v0
	s_delay_alu instid0(VALU_DEP_2) | instskip(NEXT) | instid1(VALU_DEP_1)
	v_cmp_eq_u32_e64 s1, 0, v1
	v_cndmask_b32_e64 v26, v2, v0, s1
; %bb.1264:                             ;   in Loop: Header=BB448_13 Depth=1
	s_or_b32 exec_lo, exec_lo, s21
	flat_load_b64 v[31:32], v[28:29] offset:3080
	s_mov_b32 s21, exec_lo
	s_waitcnt vmcnt(0) lgkmcnt(0)
	v_dual_mov_b32 v0, 0 :: v_dual_and_b32 v1, 0xff, v31
	s_delay_alu instid0(VALU_DEP_1)
	v_cmpx_ne_u16_e32 0, v1
	s_cbranch_execz .LBB448_1272
; %bb.1265:                             ;   in Loop: Header=BB448_13 Depth=1
	v_bfrev_b32_e32 v0, 1
	s_mov_b32 s22, exec_lo
	v_cmpx_ne_u16_e32 0x80, v1
	s_cbranch_execz .LBB448_1271
; %bb.1266:                             ;   in Loop: Header=BB448_13 Depth=1
	v_and_b32_e32 v1, 0x7f, v31
	v_mov_b32_e32 v0, 0x7f800001
	s_mov_b32 s23, exec_lo
	s_delay_alu instid0(VALU_DEP_2)
	v_cmpx_ne_u32_e32 0x7f, v1
	s_cbranch_execz .LBB448_1270
; %bb.1267:                             ;   in Loop: Header=BB448_13 Depth=1
	v_lshrrev_b32_e32 v0, 3, v1
	v_dual_mov_b32 v34, v32 :: v_dual_mov_b32 v33, v31
	s_mov_b32 s24, exec_lo
	v_cmpx_gt_u32_e32 8, v1
; %bb.1268:                             ;   in Loop: Header=BB448_13 Depth=1
	v_and_b32_e32 v0, 7, v31
	s_delay_alu instid0(VALU_DEP_1) | instskip(NEXT) | instid1(VALU_DEP_1)
	v_clz_i32_u32_e32 v0, v0
	v_min_u32_e32 v0, 32, v0
	s_delay_alu instid0(VALU_DEP_1) | instskip(SKIP_1) | instid1(VALU_DEP_2)
	v_subrev_nc_u32_e32 v1, 28, v0
	v_sub_nc_u32_e32 v0, 29, v0
	v_lshlrev_b64 v[33:34], v1, v[31:32]
; %bb.1269:                             ;   in Loop: Header=BB448_13 Depth=1
	s_or_b32 exec_lo, exec_lo, s24
	s_delay_alu instid0(VALU_DEP_1) | instskip(SKIP_2) | instid1(VALU_DEP_3)
	v_lshlrev_b32_e32 v1, 20, v33
	v_lshlrev_b32_e32 v2, 24, v31
	v_lshl_add_u32 v0, v0, 23, 0x3c000000
	v_and_b32_e32 v1, 0x700000, v1
	s_delay_alu instid0(VALU_DEP_3) | instskip(NEXT) | instid1(VALU_DEP_1)
	v_and_b32_e32 v2, 0x80000000, v2
	v_or3_b32 v0, v1, v2, v0
.LBB448_1270:                           ;   in Loop: Header=BB448_13 Depth=1
	s_or_b32 exec_lo, exec_lo, s23
.LBB448_1271:                           ;   in Loop: Header=BB448_13 Depth=1
	s_delay_alu instid0(SALU_CYCLE_1)
	s_or_b32 exec_lo, exec_lo, s22
.LBB448_1272:                           ;   in Loop: Header=BB448_13 Depth=1
	s_delay_alu instid0(SALU_CYCLE_1) | instskip(NEXT) | instid1(VALU_DEP_1)
	s_or_b32 exec_lo, exec_lo, s21
	v_mul_f32_e32 v0, v133, v0
                                        ; implicit-def: $vgpr27
	s_delay_alu instid0(VALU_DEP_1) | instskip(NEXT) | instid1(VALU_DEP_1)
	v_and_b32_e32 v1, 0x7f800000, v0
	v_cmp_ne_u32_e64 s1, 0x7f800000, v1
	s_delay_alu instid0(VALU_DEP_1) | instskip(NEXT) | instid1(SALU_CYCLE_1)
	s_and_saveexec_b32 s21, s1
	s_xor_b32 s1, exec_lo, s21
; %bb.1273:                             ;   in Loop: Header=BB448_13 Depth=1
	v_bfe_u32 v1, v0, 16, 1
	s_delay_alu instid0(VALU_DEP_1)
	v_add3_u32 v27, v0, v1, 0x7fff
                                        ; implicit-def: $vgpr0
; %bb.1274:                             ;   in Loop: Header=BB448_13 Depth=1
	s_and_not1_saveexec_b32 s21, s1
; %bb.1275:                             ;   in Loop: Header=BB448_13 Depth=1
	v_and_b32_e32 v1, 0xffff, v0
	v_or_b32_e32 v2, 0x10000, v0
	s_delay_alu instid0(VALU_DEP_2) | instskip(NEXT) | instid1(VALU_DEP_1)
	v_cmp_eq_u32_e64 s1, 0, v1
	v_cndmask_b32_e64 v27, v2, v0, s1
; %bb.1276:                             ;   in Loop: Header=BB448_13 Depth=1
	s_or_b32 exec_lo, exec_lo, s21
	v_lshrrev_b16 v1, 8, v31
	v_mov_b32_e32 v0, 0
	s_mov_b32 s21, exec_lo
	s_delay_alu instid0(VALU_DEP_2)
	v_cmpx_ne_u16_e32 0, v1
	s_cbranch_execz .LBB448_1284
; %bb.1277:                             ;   in Loop: Header=BB448_13 Depth=1
	v_bfrev_b32_e32 v0, 1
	s_mov_b32 s22, exec_lo
	v_cmpx_ne_u16_e32 0x80, v1
	s_cbranch_execz .LBB448_1283
; %bb.1278:                             ;   in Loop: Header=BB448_13 Depth=1
	v_and_b32_e32 v2, 0xffff, v1
	v_mov_b32_e32 v0, 0x7f800001
	s_mov_b32 s23, exec_lo
	s_delay_alu instid0(VALU_DEP_2) | instskip(NEXT) | instid1(VALU_DEP_1)
	v_and_b32_e32 v1, 0x7f, v2
	v_cmpx_ne_u32_e32 0x7f, v1
	s_cbranch_execz .LBB448_1282
; %bb.1279:                             ;   in Loop: Header=BB448_13 Depth=1
	v_and_b32_e32 v18, 7, v2
	v_lshrrev_b32_e32 v0, 3, v1
	v_mov_b32_e32 v34, v19
	s_mov_b32 s24, exec_lo
	s_delay_alu instid0(VALU_DEP_3)
	v_mov_b32_e32 v33, v18
	v_cmpx_gt_u32_e32 8, v1
; %bb.1280:                             ;   in Loop: Header=BB448_13 Depth=1
	v_clz_i32_u32_e32 v0, v18
	s_delay_alu instid0(VALU_DEP_1) | instskip(NEXT) | instid1(VALU_DEP_1)
	v_min_u32_e32 v0, 32, v0
	v_subrev_nc_u32_e32 v1, 28, v0
	v_sub_nc_u32_e32 v0, 29, v0
	s_delay_alu instid0(VALU_DEP_2) | instskip(NEXT) | instid1(VALU_DEP_1)
	v_lshlrev_b64 v[1:2], v1, v[18:19]
	v_and_b32_e32 v33, 7, v1
; %bb.1281:                             ;   in Loop: Header=BB448_13 Depth=1
	s_or_b32 exec_lo, exec_lo, s24
	v_lshlrev_b32_e32 v1, 16, v31
	s_delay_alu instid0(VALU_DEP_2) | instskip(SKIP_1) | instid1(VALU_DEP_3)
	v_lshlrev_b32_e32 v2, 20, v33
	v_lshl_add_u32 v0, v0, 23, 0x3c000000
	v_and_b32_e32 v1, 0x80000000, v1
	s_delay_alu instid0(VALU_DEP_1)
	v_or3_b32 v0, v2, v1, v0
.LBB448_1282:                           ;   in Loop: Header=BB448_13 Depth=1
	s_or_b32 exec_lo, exec_lo, s23
.LBB448_1283:                           ;   in Loop: Header=BB448_13 Depth=1
	s_delay_alu instid0(SALU_CYCLE_1)
	s_or_b32 exec_lo, exec_lo, s22
.LBB448_1284:                           ;   in Loop: Header=BB448_13 Depth=1
	s_delay_alu instid0(SALU_CYCLE_1) | instskip(NEXT) | instid1(VALU_DEP_1)
	s_or_b32 exec_lo, exec_lo, s21
	v_mul_f32_e32 v0, v133, v0
                                        ; implicit-def: $vgpr187
	s_delay_alu instid0(VALU_DEP_1) | instskip(NEXT) | instid1(VALU_DEP_1)
	v_and_b32_e32 v1, 0x7f800000, v0
	v_cmp_ne_u32_e64 s1, 0x7f800000, v1
	s_delay_alu instid0(VALU_DEP_1) | instskip(NEXT) | instid1(SALU_CYCLE_1)
	s_and_saveexec_b32 s21, s1
	s_xor_b32 s1, exec_lo, s21
; %bb.1285:                             ;   in Loop: Header=BB448_13 Depth=1
	v_bfe_u32 v1, v0, 16, 1
	s_delay_alu instid0(VALU_DEP_1)
	v_add3_u32 v187, v0, v1, 0x7fff
                                        ; implicit-def: $vgpr0
; %bb.1286:                             ;   in Loop: Header=BB448_13 Depth=1
	s_and_not1_saveexec_b32 s21, s1
; %bb.1287:                             ;   in Loop: Header=BB448_13 Depth=1
	v_and_b32_e32 v1, 0xffff, v0
	v_or_b32_e32 v2, 0x10000, v0
	s_delay_alu instid0(VALU_DEP_2) | instskip(NEXT) | instid1(VALU_DEP_1)
	v_cmp_eq_u32_e64 s1, 0, v1
	v_cndmask_b32_e64 v187, v2, v0, s1
; %bb.1288:                             ;   in Loop: Header=BB448_13 Depth=1
	s_or_b32 exec_lo, exec_lo, s21
	v_lshrrev_b32_e32 v0, 16, v31
	s_mov_b32 s21, exec_lo
	s_delay_alu instid0(VALU_DEP_1) | instskip(NEXT) | instid1(VALU_DEP_1)
	v_dual_mov_b32 v1, 0 :: v_dual_and_b32 v2, 0xff, v0
	v_cmpx_ne_u16_e32 0, v2
	s_cbranch_execz .LBB448_1296
; %bb.1289:                             ;   in Loop: Header=BB448_13 Depth=1
	v_bfrev_b32_e32 v1, 1
	s_mov_b32 s22, exec_lo
	v_cmpx_ne_u16_e32 0x80, v2
	s_cbranch_execz .LBB448_1295
; %bb.1290:                             ;   in Loop: Header=BB448_13 Depth=1
	v_bfe_u32 v2, v31, 16, 7
	v_mov_b32_e32 v1, 0x7f800001
	s_mov_b32 s23, exec_lo
	s_delay_alu instid0(VALU_DEP_2)
	v_cmpx_ne_u32_e32 0x7f, v2
	s_cbranch_execz .LBB448_1294
; %bb.1291:                             ;   in Loop: Header=BB448_13 Depth=1
	v_and_b32_e32 v18, 7, v0
	v_lshrrev_b32_e32 v1, 3, v2
	v_mov_b32_e32 v34, v19
	s_mov_b32 s24, exec_lo
	s_delay_alu instid0(VALU_DEP_3)
	v_mov_b32_e32 v33, v18
	v_cmpx_gt_u32_e32 8, v2
; %bb.1292:                             ;   in Loop: Header=BB448_13 Depth=1
	v_clz_i32_u32_e32 v1, v18
	s_delay_alu instid0(VALU_DEP_1) | instskip(NEXT) | instid1(VALU_DEP_1)
	v_min_u32_e32 v1, 32, v1
	v_subrev_nc_u32_e32 v2, 28, v1
	v_sub_nc_u32_e32 v1, 29, v1
	s_delay_alu instid0(VALU_DEP_2) | instskip(NEXT) | instid1(VALU_DEP_1)
	v_lshlrev_b64 v[2:3], v2, v[18:19]
	v_and_b32_e32 v33, 7, v2
; %bb.1293:                             ;   in Loop: Header=BB448_13 Depth=1
	s_or_b32 exec_lo, exec_lo, s24
	v_lshlrev_b32_e32 v0, 24, v0
	s_delay_alu instid0(VALU_DEP_2) | instskip(SKIP_1) | instid1(VALU_DEP_3)
	v_lshlrev_b32_e32 v2, 20, v33
	v_lshl_add_u32 v1, v1, 23, 0x3c000000
	v_and_b32_e32 v0, 0x80000000, v0
	s_delay_alu instid0(VALU_DEP_1)
	v_or3_b32 v1, v2, v0, v1
.LBB448_1294:                           ;   in Loop: Header=BB448_13 Depth=1
	s_or_b32 exec_lo, exec_lo, s23
.LBB448_1295:                           ;   in Loop: Header=BB448_13 Depth=1
	s_delay_alu instid0(SALU_CYCLE_1)
	s_or_b32 exec_lo, exec_lo, s22
.LBB448_1296:                           ;   in Loop: Header=BB448_13 Depth=1
	s_delay_alu instid0(SALU_CYCLE_1) | instskip(NEXT) | instid1(VALU_DEP_1)
	s_or_b32 exec_lo, exec_lo, s21
	v_mul_f32_e32 v0, v133, v1
                                        ; implicit-def: $vgpr188
	s_delay_alu instid0(VALU_DEP_1) | instskip(NEXT) | instid1(VALU_DEP_1)
	v_and_b32_e32 v1, 0x7f800000, v0
	v_cmp_ne_u32_e64 s1, 0x7f800000, v1
	s_delay_alu instid0(VALU_DEP_1) | instskip(NEXT) | instid1(SALU_CYCLE_1)
	s_and_saveexec_b32 s21, s1
	s_xor_b32 s1, exec_lo, s21
; %bb.1297:                             ;   in Loop: Header=BB448_13 Depth=1
	v_bfe_u32 v1, v0, 16, 1
	s_delay_alu instid0(VALU_DEP_1)
	v_add3_u32 v188, v0, v1, 0x7fff
                                        ; implicit-def: $vgpr0
; %bb.1298:                             ;   in Loop: Header=BB448_13 Depth=1
	s_and_not1_saveexec_b32 s21, s1
; %bb.1299:                             ;   in Loop: Header=BB448_13 Depth=1
	v_and_b32_e32 v1, 0xffff, v0
	v_or_b32_e32 v2, 0x10000, v0
	s_delay_alu instid0(VALU_DEP_2) | instskip(NEXT) | instid1(VALU_DEP_1)
	v_cmp_eq_u32_e64 s1, 0, v1
	v_cndmask_b32_e64 v188, v2, v0, s1
; %bb.1300:                             ;   in Loop: Header=BB448_13 Depth=1
	s_or_b32 exec_lo, exec_lo, s21
	v_mov_b32_e32 v1, 0
	s_mov_b32 s21, exec_lo
	v_cmpx_lt_u32_e32 0xffffff, v31
	s_cbranch_execz .LBB448_1308
; %bb.1301:                             ;   in Loop: Header=BB448_13 Depth=1
	v_lshrrev_b32_e32 v0, 24, v31
	v_bfrev_b32_e32 v1, 1
	s_mov_b32 s22, exec_lo
	s_delay_alu instid0(VALU_DEP_2)
	v_cmpx_ne_u32_e32 0x80, v0
	s_cbranch_execz .LBB448_1307
; %bb.1302:                             ;   in Loop: Header=BB448_13 Depth=1
	v_bfe_u32 v2, v31, 24, 7
	v_mov_b32_e32 v1, 0x7f800001
	s_mov_b32 s23, exec_lo
	s_delay_alu instid0(VALU_DEP_2)
	v_cmpx_ne_u32_e32 0x7f, v2
	s_cbranch_execz .LBB448_1306
; %bb.1303:                             ;   in Loop: Header=BB448_13 Depth=1
	v_and_b32_e32 v18, 7, v0
	v_lshrrev_b32_e32 v1, 3, v2
	v_mov_b32_e32 v34, v19
	s_mov_b32 s24, exec_lo
	s_delay_alu instid0(VALU_DEP_3)
	v_mov_b32_e32 v33, v18
	v_cmpx_gt_u32_e32 8, v2
; %bb.1304:                             ;   in Loop: Header=BB448_13 Depth=1
	v_clz_i32_u32_e32 v1, v18
	s_delay_alu instid0(VALU_DEP_1) | instskip(NEXT) | instid1(VALU_DEP_1)
	v_min_u32_e32 v1, 32, v1
	v_subrev_nc_u32_e32 v2, 28, v1
	v_sub_nc_u32_e32 v1, 29, v1
	s_delay_alu instid0(VALU_DEP_2) | instskip(NEXT) | instid1(VALU_DEP_1)
	v_lshlrev_b64 v[2:3], v2, v[18:19]
	v_and_b32_e32 v33, 7, v2
; %bb.1305:                             ;   in Loop: Header=BB448_13 Depth=1
	s_or_b32 exec_lo, exec_lo, s24
	v_lshlrev_b32_e32 v0, 24, v0
	s_delay_alu instid0(VALU_DEP_2) | instskip(SKIP_1) | instid1(VALU_DEP_3)
	v_lshlrev_b32_e32 v2, 20, v33
	v_lshl_add_u32 v1, v1, 23, 0x3c000000
	v_and_b32_e32 v0, 0x80000000, v0
	s_delay_alu instid0(VALU_DEP_1)
	v_or3_b32 v1, v2, v0, v1
.LBB448_1306:                           ;   in Loop: Header=BB448_13 Depth=1
	s_or_b32 exec_lo, exec_lo, s23
.LBB448_1307:                           ;   in Loop: Header=BB448_13 Depth=1
	s_delay_alu instid0(SALU_CYCLE_1)
	s_or_b32 exec_lo, exec_lo, s22
.LBB448_1308:                           ;   in Loop: Header=BB448_13 Depth=1
	s_delay_alu instid0(SALU_CYCLE_1) | instskip(NEXT) | instid1(VALU_DEP_1)
	s_or_b32 exec_lo, exec_lo, s21
	v_mul_f32_e32 v0, v133, v1
                                        ; implicit-def: $vgpr189
	s_delay_alu instid0(VALU_DEP_1) | instskip(NEXT) | instid1(VALU_DEP_1)
	v_and_b32_e32 v1, 0x7f800000, v0
	v_cmp_ne_u32_e64 s1, 0x7f800000, v1
	s_delay_alu instid0(VALU_DEP_1) | instskip(NEXT) | instid1(SALU_CYCLE_1)
	s_and_saveexec_b32 s21, s1
	s_xor_b32 s1, exec_lo, s21
; %bb.1309:                             ;   in Loop: Header=BB448_13 Depth=1
	v_bfe_u32 v1, v0, 16, 1
	s_delay_alu instid0(VALU_DEP_1)
	v_add3_u32 v189, v0, v1, 0x7fff
                                        ; implicit-def: $vgpr0
; %bb.1310:                             ;   in Loop: Header=BB448_13 Depth=1
	s_and_not1_saveexec_b32 s21, s1
; %bb.1311:                             ;   in Loop: Header=BB448_13 Depth=1
	v_and_b32_e32 v1, 0xffff, v0
	v_or_b32_e32 v2, 0x10000, v0
	s_delay_alu instid0(VALU_DEP_2) | instskip(NEXT) | instid1(VALU_DEP_1)
	v_cmp_eq_u32_e64 s1, 0, v1
	v_cndmask_b32_e64 v189, v2, v0, s1
; %bb.1312:                             ;   in Loop: Header=BB448_13 Depth=1
	s_or_b32 exec_lo, exec_lo, s21
	v_dual_mov_b32 v18, v32 :: v_dual_and_b32 v1, 0xff, v32
	v_mov_b32_e32 v0, 0
	s_mov_b32 s21, exec_lo
	s_delay_alu instid0(VALU_DEP_2)
	v_cmpx_ne_u16_e32 0, v1
	s_cbranch_execz .LBB448_1320
; %bb.1313:                             ;   in Loop: Header=BB448_13 Depth=1
	v_bfrev_b32_e32 v0, 1
	s_mov_b32 s22, exec_lo
	v_cmpx_ne_u16_e32 0x80, v1
	s_cbranch_execz .LBB448_1319
; %bb.1314:                             ;   in Loop: Header=BB448_13 Depth=1
	v_and_b32_e32 v1, 0x7f, v32
	v_mov_b32_e32 v0, 0x7f800001
	s_mov_b32 s23, exec_lo
	s_delay_alu instid0(VALU_DEP_2)
	v_cmpx_ne_u32_e32 0x7f, v1
	s_cbranch_execz .LBB448_1318
; %bb.1315:                             ;   in Loop: Header=BB448_13 Depth=1
	v_lshrrev_b32_e32 v0, 3, v1
	v_dual_mov_b32 v34, v19 :: v_dual_mov_b32 v33, v18
	s_mov_b32 s24, exec_lo
	v_cmpx_gt_u32_e32 8, v1
; %bb.1316:                             ;   in Loop: Header=BB448_13 Depth=1
	v_and_b32_e32 v0, 7, v32
	s_delay_alu instid0(VALU_DEP_1) | instskip(NEXT) | instid1(VALU_DEP_1)
	v_clz_i32_u32_e32 v0, v0
	v_min_u32_e32 v0, 32, v0
	s_delay_alu instid0(VALU_DEP_1) | instskip(SKIP_1) | instid1(VALU_DEP_2)
	v_subrev_nc_u32_e32 v1, 28, v0
	v_sub_nc_u32_e32 v0, 29, v0
	v_lshlrev_b64 v[33:34], v1, v[18:19]
; %bb.1317:                             ;   in Loop: Header=BB448_13 Depth=1
	s_or_b32 exec_lo, exec_lo, s24
	s_delay_alu instid0(VALU_DEP_1) | instskip(SKIP_2) | instid1(VALU_DEP_3)
	v_lshlrev_b32_e32 v1, 20, v33
	v_lshlrev_b32_e32 v2, 24, v18
	v_lshl_add_u32 v0, v0, 23, 0x3c000000
	v_and_b32_e32 v1, 0x700000, v1
	s_delay_alu instid0(VALU_DEP_3) | instskip(NEXT) | instid1(VALU_DEP_1)
	v_and_b32_e32 v2, 0x80000000, v2
	v_or3_b32 v0, v1, v2, v0
.LBB448_1318:                           ;   in Loop: Header=BB448_13 Depth=1
	s_or_b32 exec_lo, exec_lo, s23
.LBB448_1319:                           ;   in Loop: Header=BB448_13 Depth=1
	s_delay_alu instid0(SALU_CYCLE_1)
	s_or_b32 exec_lo, exec_lo, s22
.LBB448_1320:                           ;   in Loop: Header=BB448_13 Depth=1
	s_delay_alu instid0(SALU_CYCLE_1) | instskip(NEXT) | instid1(VALU_DEP_1)
	s_or_b32 exec_lo, exec_lo, s21
	v_mul_f32_e32 v0, v133, v0
                                        ; implicit-def: $vgpr190
	s_delay_alu instid0(VALU_DEP_1) | instskip(NEXT) | instid1(VALU_DEP_1)
	v_and_b32_e32 v1, 0x7f800000, v0
	v_cmp_ne_u32_e64 s1, 0x7f800000, v1
	s_delay_alu instid0(VALU_DEP_1) | instskip(NEXT) | instid1(SALU_CYCLE_1)
	s_and_saveexec_b32 s21, s1
	s_xor_b32 s1, exec_lo, s21
; %bb.1321:                             ;   in Loop: Header=BB448_13 Depth=1
	v_bfe_u32 v1, v0, 16, 1
	s_delay_alu instid0(VALU_DEP_1)
	v_add3_u32 v190, v0, v1, 0x7fff
                                        ; implicit-def: $vgpr0
; %bb.1322:                             ;   in Loop: Header=BB448_13 Depth=1
	s_and_not1_saveexec_b32 s21, s1
; %bb.1323:                             ;   in Loop: Header=BB448_13 Depth=1
	v_and_b32_e32 v1, 0xffff, v0
	v_or_b32_e32 v2, 0x10000, v0
	s_delay_alu instid0(VALU_DEP_2) | instskip(NEXT) | instid1(VALU_DEP_1)
	v_cmp_eq_u32_e64 s1, 0, v1
	v_cndmask_b32_e64 v190, v2, v0, s1
; %bb.1324:                             ;   in Loop: Header=BB448_13 Depth=1
	s_or_b32 exec_lo, exec_lo, s21
	v_lshrrev_b16 v1, 8, v18
	v_mov_b32_e32 v0, 0
	s_mov_b32 s21, exec_lo
	s_delay_alu instid0(VALU_DEP_2)
	v_cmpx_ne_u16_e32 0, v1
	s_cbranch_execz .LBB448_1332
; %bb.1325:                             ;   in Loop: Header=BB448_13 Depth=1
	v_bfrev_b32_e32 v0, 1
	s_mov_b32 s22, exec_lo
	v_cmpx_ne_u16_e32 0x80, v1
	s_cbranch_execz .LBB448_1331
; %bb.1326:                             ;   in Loop: Header=BB448_13 Depth=1
	v_and_b32_e32 v2, 0xffff, v1
	v_mov_b32_e32 v0, 0x7f800001
	s_mov_b32 s23, exec_lo
	s_delay_alu instid0(VALU_DEP_2) | instskip(NEXT) | instid1(VALU_DEP_1)
	v_and_b32_e32 v1, 0x7f, v2
	v_cmpx_ne_u32_e32 0x7f, v1
	s_cbranch_execz .LBB448_1330
; %bb.1327:                             ;   in Loop: Header=BB448_13 Depth=1
	v_dual_mov_b32 v34, v19 :: v_dual_and_b32 v33, 7, v2
	v_lshrrev_b32_e32 v0, 3, v1
	s_mov_b32 s24, exec_lo
	v_cmpx_gt_u32_e32 8, v1
; %bb.1328:                             ;   in Loop: Header=BB448_13 Depth=1
	s_delay_alu instid0(VALU_DEP_3) | instskip(NEXT) | instid1(VALU_DEP_1)
	v_clz_i32_u32_e32 v0, v33
	v_min_u32_e32 v0, 32, v0
	s_delay_alu instid0(VALU_DEP_1) | instskip(SKIP_1) | instid1(VALU_DEP_2)
	v_subrev_nc_u32_e32 v1, 28, v0
	v_sub_nc_u32_e32 v0, 29, v0
	v_lshlrev_b64 v[1:2], v1, v[33:34]
	s_delay_alu instid0(VALU_DEP_1)
	v_and_b32_e32 v33, 7, v1
; %bb.1329:                             ;   in Loop: Header=BB448_13 Depth=1
	s_or_b32 exec_lo, exec_lo, s24
	v_lshlrev_b32_e32 v1, 16, v18
	s_delay_alu instid0(VALU_DEP_2) | instskip(SKIP_1) | instid1(VALU_DEP_3)
	v_lshlrev_b32_e32 v2, 20, v33
	v_lshl_add_u32 v0, v0, 23, 0x3c000000
	v_and_b32_e32 v1, 0x80000000, v1
	s_delay_alu instid0(VALU_DEP_1)
	v_or3_b32 v0, v2, v1, v0
.LBB448_1330:                           ;   in Loop: Header=BB448_13 Depth=1
	s_or_b32 exec_lo, exec_lo, s23
.LBB448_1331:                           ;   in Loop: Header=BB448_13 Depth=1
	s_delay_alu instid0(SALU_CYCLE_1)
	s_or_b32 exec_lo, exec_lo, s22
.LBB448_1332:                           ;   in Loop: Header=BB448_13 Depth=1
	s_delay_alu instid0(SALU_CYCLE_1) | instskip(NEXT) | instid1(VALU_DEP_1)
	s_or_b32 exec_lo, exec_lo, s21
	v_mul_f32_e32 v0, v133, v0
                                        ; implicit-def: $vgpr191
	s_delay_alu instid0(VALU_DEP_1) | instskip(NEXT) | instid1(VALU_DEP_1)
	v_and_b32_e32 v1, 0x7f800000, v0
	v_cmp_ne_u32_e64 s1, 0x7f800000, v1
	s_delay_alu instid0(VALU_DEP_1) | instskip(NEXT) | instid1(SALU_CYCLE_1)
	s_and_saveexec_b32 s21, s1
	s_xor_b32 s1, exec_lo, s21
; %bb.1333:                             ;   in Loop: Header=BB448_13 Depth=1
	v_bfe_u32 v1, v0, 16, 1
	s_delay_alu instid0(VALU_DEP_1)
	v_add3_u32 v191, v0, v1, 0x7fff
                                        ; implicit-def: $vgpr0
; %bb.1334:                             ;   in Loop: Header=BB448_13 Depth=1
	s_and_not1_saveexec_b32 s21, s1
; %bb.1335:                             ;   in Loop: Header=BB448_13 Depth=1
	v_and_b32_e32 v1, 0xffff, v0
	v_or_b32_e32 v2, 0x10000, v0
	s_delay_alu instid0(VALU_DEP_2) | instskip(NEXT) | instid1(VALU_DEP_1)
	v_cmp_eq_u32_e64 s1, 0, v1
	v_cndmask_b32_e64 v191, v2, v0, s1
; %bb.1336:                             ;   in Loop: Header=BB448_13 Depth=1
	s_or_b32 exec_lo, exec_lo, s21
	v_lshrrev_b32_e32 v0, 16, v32
	s_mov_b32 s21, exec_lo
	s_delay_alu instid0(VALU_DEP_1) | instskip(NEXT) | instid1(VALU_DEP_1)
	v_dual_mov_b32 v1, 0 :: v_dual_and_b32 v2, 0xff, v0
	v_cmpx_ne_u16_e32 0, v2
	s_cbranch_execz .LBB448_1344
; %bb.1337:                             ;   in Loop: Header=BB448_13 Depth=1
	v_bfrev_b32_e32 v1, 1
	s_mov_b32 s22, exec_lo
	v_cmpx_ne_u16_e32 0x80, v2
	s_cbranch_execz .LBB448_1343
; %bb.1338:                             ;   in Loop: Header=BB448_13 Depth=1
	v_bfe_u32 v2, v32, 16, 7
	v_mov_b32_e32 v1, 0x7f800001
	s_mov_b32 s23, exec_lo
	s_delay_alu instid0(VALU_DEP_2)
	v_cmpx_ne_u32_e32 0x7f, v2
	s_cbranch_execz .LBB448_1342
; %bb.1339:                             ;   in Loop: Header=BB448_13 Depth=1
	v_and_b32_e32 v18, 7, v0
	v_lshrrev_b32_e32 v1, 3, v2
	v_mov_b32_e32 v34, v19
	s_mov_b32 s24, exec_lo
	s_delay_alu instid0(VALU_DEP_3)
	v_mov_b32_e32 v33, v18
	v_cmpx_gt_u32_e32 8, v2
; %bb.1340:                             ;   in Loop: Header=BB448_13 Depth=1
	v_clz_i32_u32_e32 v1, v18
	s_delay_alu instid0(VALU_DEP_1) | instskip(NEXT) | instid1(VALU_DEP_1)
	v_min_u32_e32 v1, 32, v1
	v_subrev_nc_u32_e32 v2, 28, v1
	v_sub_nc_u32_e32 v1, 29, v1
	s_delay_alu instid0(VALU_DEP_2) | instskip(NEXT) | instid1(VALU_DEP_1)
	v_lshlrev_b64 v[2:3], v2, v[18:19]
	v_and_b32_e32 v33, 7, v2
; %bb.1341:                             ;   in Loop: Header=BB448_13 Depth=1
	s_or_b32 exec_lo, exec_lo, s24
	v_lshlrev_b32_e32 v0, 24, v0
	s_delay_alu instid0(VALU_DEP_2) | instskip(SKIP_1) | instid1(VALU_DEP_3)
	v_lshlrev_b32_e32 v2, 20, v33
	v_lshl_add_u32 v1, v1, 23, 0x3c000000
	v_and_b32_e32 v0, 0x80000000, v0
	s_delay_alu instid0(VALU_DEP_1)
	v_or3_b32 v1, v2, v0, v1
.LBB448_1342:                           ;   in Loop: Header=BB448_13 Depth=1
	s_or_b32 exec_lo, exec_lo, s23
.LBB448_1343:                           ;   in Loop: Header=BB448_13 Depth=1
	s_delay_alu instid0(SALU_CYCLE_1)
	s_or_b32 exec_lo, exec_lo, s22
.LBB448_1344:                           ;   in Loop: Header=BB448_13 Depth=1
	s_delay_alu instid0(SALU_CYCLE_1) | instskip(NEXT) | instid1(VALU_DEP_1)
	s_or_b32 exec_lo, exec_lo, s21
	v_mul_f32_e32 v0, v133, v1
                                        ; implicit-def: $vgpr83
	s_delay_alu instid0(VALU_DEP_1) | instskip(NEXT) | instid1(VALU_DEP_1)
	v_and_b32_e32 v1, 0x7f800000, v0
	v_cmp_ne_u32_e64 s1, 0x7f800000, v1
	s_delay_alu instid0(VALU_DEP_1) | instskip(NEXT) | instid1(SALU_CYCLE_1)
	s_and_saveexec_b32 s21, s1
	s_xor_b32 s1, exec_lo, s21
; %bb.1345:                             ;   in Loop: Header=BB448_13 Depth=1
	v_bfe_u32 v1, v0, 16, 1
	s_delay_alu instid0(VALU_DEP_1)
	v_add3_u32 v83, v0, v1, 0x7fff
                                        ; implicit-def: $vgpr0
; %bb.1346:                             ;   in Loop: Header=BB448_13 Depth=1
	s_and_not1_saveexec_b32 s21, s1
; %bb.1347:                             ;   in Loop: Header=BB448_13 Depth=1
	v_and_b32_e32 v1, 0xffff, v0
	v_or_b32_e32 v2, 0x10000, v0
	s_delay_alu instid0(VALU_DEP_2) | instskip(NEXT) | instid1(VALU_DEP_1)
	v_cmp_eq_u32_e64 s1, 0, v1
	v_cndmask_b32_e64 v83, v2, v0, s1
; %bb.1348:                             ;   in Loop: Header=BB448_13 Depth=1
	s_or_b32 exec_lo, exec_lo, s21
	v_mov_b32_e32 v1, 0
	s_mov_b32 s21, exec_lo
	v_cmpx_lt_u64_e64 s[16:17], v[31:32]
	s_cbranch_execz .LBB448_1356
; %bb.1349:                             ;   in Loop: Header=BB448_13 Depth=1
	v_lshrrev_b32_e32 v0, 24, v32
	v_bfrev_b32_e32 v1, 1
	s_mov_b32 s22, exec_lo
	s_delay_alu instid0(VALU_DEP_2)
	v_cmpx_ne_u32_e32 0x80, v0
	s_cbranch_execz .LBB448_1355
; %bb.1350:                             ;   in Loop: Header=BB448_13 Depth=1
	v_bfe_u32 v2, v32, 24, 7
	v_mov_b32_e32 v1, 0x7f800001
	s_mov_b32 s23, exec_lo
	s_delay_alu instid0(VALU_DEP_2)
	v_cmpx_ne_u32_e32 0x7f, v2
	s_cbranch_execz .LBB448_1354
; %bb.1351:                             ;   in Loop: Header=BB448_13 Depth=1
	v_and_b32_e32 v18, 7, v0
	v_lshrrev_b32_e32 v1, 3, v2
	v_mov_b32_e32 v32, v19
	s_mov_b32 s24, exec_lo
	s_delay_alu instid0(VALU_DEP_3)
	v_mov_b32_e32 v31, v18
	v_cmpx_gt_u32_e32 8, v2
; %bb.1352:                             ;   in Loop: Header=BB448_13 Depth=1
	v_clz_i32_u32_e32 v1, v18
	s_delay_alu instid0(VALU_DEP_1) | instskip(NEXT) | instid1(VALU_DEP_1)
	v_min_u32_e32 v1, 32, v1
	v_subrev_nc_u32_e32 v2, 28, v1
	v_sub_nc_u32_e32 v1, 29, v1
	s_delay_alu instid0(VALU_DEP_2) | instskip(NEXT) | instid1(VALU_DEP_1)
	v_lshlrev_b64 v[2:3], v2, v[18:19]
	v_and_b32_e32 v31, 7, v2
; %bb.1353:                             ;   in Loop: Header=BB448_13 Depth=1
	s_or_b32 exec_lo, exec_lo, s24
	v_lshlrev_b32_e32 v0, 24, v0
	s_delay_alu instid0(VALU_DEP_2) | instskip(SKIP_1) | instid1(VALU_DEP_3)
	v_lshlrev_b32_e32 v2, 20, v31
	v_lshl_add_u32 v1, v1, 23, 0x3c000000
	v_and_b32_e32 v0, 0x80000000, v0
	s_delay_alu instid0(VALU_DEP_1)
	v_or3_b32 v1, v2, v0, v1
.LBB448_1354:                           ;   in Loop: Header=BB448_13 Depth=1
	s_or_b32 exec_lo, exec_lo, s23
.LBB448_1355:                           ;   in Loop: Header=BB448_13 Depth=1
	s_delay_alu instid0(SALU_CYCLE_1)
	s_or_b32 exec_lo, exec_lo, s22
.LBB448_1356:                           ;   in Loop: Header=BB448_13 Depth=1
	s_delay_alu instid0(SALU_CYCLE_1) | instskip(NEXT) | instid1(VALU_DEP_1)
	s_or_b32 exec_lo, exec_lo, s21
	v_mul_f32_e32 v0, v133, v1
                                        ; implicit-def: $vgpr5
	s_delay_alu instid0(VALU_DEP_1) | instskip(NEXT) | instid1(VALU_DEP_1)
	v_and_b32_e32 v1, 0x7f800000, v0
	v_cmp_ne_u32_e64 s1, 0x7f800000, v1
	s_delay_alu instid0(VALU_DEP_1) | instskip(NEXT) | instid1(SALU_CYCLE_1)
	s_and_saveexec_b32 s21, s1
	s_xor_b32 s1, exec_lo, s21
; %bb.1357:                             ;   in Loop: Header=BB448_13 Depth=1
	v_bfe_u32 v1, v0, 16, 1
	s_delay_alu instid0(VALU_DEP_1)
	v_add3_u32 v5, v0, v1, 0x7fff
                                        ; implicit-def: $vgpr0
; %bb.1358:                             ;   in Loop: Header=BB448_13 Depth=1
	s_and_not1_saveexec_b32 s21, s1
; %bb.1359:                             ;   in Loop: Header=BB448_13 Depth=1
	v_and_b32_e32 v1, 0xffff, v0
	v_or_b32_e32 v2, 0x10000, v0
	s_delay_alu instid0(VALU_DEP_2) | instskip(NEXT) | instid1(VALU_DEP_1)
	v_cmp_eq_u32_e64 s1, 0, v1
	v_cndmask_b32_e64 v5, v2, v0, s1
; %bb.1360:                             ;   in Loop: Header=BB448_13 Depth=1
	s_or_b32 exec_lo, exec_lo, s21
	flat_load_b64 v[31:32], v[28:29] offset:3584
	s_mov_b32 s21, exec_lo
	s_waitcnt vmcnt(0) lgkmcnt(0)
	v_dual_mov_b32 v0, 0 :: v_dual_and_b32 v1, 0xff, v31
	s_delay_alu instid0(VALU_DEP_1)
	v_cmpx_ne_u16_e32 0, v1
	s_cbranch_execz .LBB448_1368
; %bb.1361:                             ;   in Loop: Header=BB448_13 Depth=1
	v_bfrev_b32_e32 v0, 1
	s_mov_b32 s22, exec_lo
	v_cmpx_ne_u16_e32 0x80, v1
	s_cbranch_execz .LBB448_1367
; %bb.1362:                             ;   in Loop: Header=BB448_13 Depth=1
	v_and_b32_e32 v1, 0x7f, v31
	v_mov_b32_e32 v0, 0x7f800001
	s_mov_b32 s23, exec_lo
	s_delay_alu instid0(VALU_DEP_2)
	v_cmpx_ne_u32_e32 0x7f, v1
	s_cbranch_execz .LBB448_1366
; %bb.1363:                             ;   in Loop: Header=BB448_13 Depth=1
	v_lshrrev_b32_e32 v0, 3, v1
	v_dual_mov_b32 v34, v32 :: v_dual_mov_b32 v33, v31
	s_mov_b32 s24, exec_lo
	v_cmpx_gt_u32_e32 8, v1
; %bb.1364:                             ;   in Loop: Header=BB448_13 Depth=1
	v_and_b32_e32 v0, 7, v31
	s_delay_alu instid0(VALU_DEP_1) | instskip(NEXT) | instid1(VALU_DEP_1)
	v_clz_i32_u32_e32 v0, v0
	v_min_u32_e32 v0, 32, v0
	s_delay_alu instid0(VALU_DEP_1) | instskip(SKIP_1) | instid1(VALU_DEP_2)
	v_subrev_nc_u32_e32 v1, 28, v0
	v_sub_nc_u32_e32 v0, 29, v0
	v_lshlrev_b64 v[33:34], v1, v[31:32]
; %bb.1365:                             ;   in Loop: Header=BB448_13 Depth=1
	s_or_b32 exec_lo, exec_lo, s24
	s_delay_alu instid0(VALU_DEP_1) | instskip(SKIP_2) | instid1(VALU_DEP_3)
	v_lshlrev_b32_e32 v1, 20, v33
	v_lshlrev_b32_e32 v2, 24, v31
	v_lshl_add_u32 v0, v0, 23, 0x3c000000
	v_and_b32_e32 v1, 0x700000, v1
	s_delay_alu instid0(VALU_DEP_3) | instskip(NEXT) | instid1(VALU_DEP_1)
	v_and_b32_e32 v2, 0x80000000, v2
	v_or3_b32 v0, v1, v2, v0
.LBB448_1366:                           ;   in Loop: Header=BB448_13 Depth=1
	s_or_b32 exec_lo, exec_lo, s23
.LBB448_1367:                           ;   in Loop: Header=BB448_13 Depth=1
	s_delay_alu instid0(SALU_CYCLE_1)
	s_or_b32 exec_lo, exec_lo, s22
.LBB448_1368:                           ;   in Loop: Header=BB448_13 Depth=1
	s_delay_alu instid0(SALU_CYCLE_1) | instskip(NEXT) | instid1(VALU_DEP_1)
	s_or_b32 exec_lo, exec_lo, s21
	v_mul_f32_e32 v0, v133, v0
                                        ; implicit-def: $vgpr4
	s_delay_alu instid0(VALU_DEP_1) | instskip(NEXT) | instid1(VALU_DEP_1)
	v_and_b32_e32 v1, 0x7f800000, v0
	v_cmp_ne_u32_e64 s1, 0x7f800000, v1
	s_delay_alu instid0(VALU_DEP_1) | instskip(NEXT) | instid1(SALU_CYCLE_1)
	s_and_saveexec_b32 s21, s1
	s_xor_b32 s1, exec_lo, s21
; %bb.1369:                             ;   in Loop: Header=BB448_13 Depth=1
	v_bfe_u32 v1, v0, 16, 1
	s_delay_alu instid0(VALU_DEP_1)
	v_add3_u32 v4, v0, v1, 0x7fff
                                        ; implicit-def: $vgpr0
; %bb.1370:                             ;   in Loop: Header=BB448_13 Depth=1
	s_and_not1_saveexec_b32 s21, s1
; %bb.1371:                             ;   in Loop: Header=BB448_13 Depth=1
	v_and_b32_e32 v1, 0xffff, v0
	v_or_b32_e32 v2, 0x10000, v0
	s_delay_alu instid0(VALU_DEP_2) | instskip(NEXT) | instid1(VALU_DEP_1)
	v_cmp_eq_u32_e64 s1, 0, v1
	v_cndmask_b32_e64 v4, v2, v0, s1
; %bb.1372:                             ;   in Loop: Header=BB448_13 Depth=1
	s_or_b32 exec_lo, exec_lo, s21
	v_lshrrev_b16 v1, 8, v31
	v_mov_b32_e32 v0, 0
	s_mov_b32 s21, exec_lo
	s_delay_alu instid0(VALU_DEP_2)
	v_cmpx_ne_u16_e32 0, v1
	s_cbranch_execz .LBB448_1380
; %bb.1373:                             ;   in Loop: Header=BB448_13 Depth=1
	v_bfrev_b32_e32 v0, 1
	s_mov_b32 s22, exec_lo
	v_cmpx_ne_u16_e32 0x80, v1
	s_cbranch_execz .LBB448_1379
; %bb.1374:                             ;   in Loop: Header=BB448_13 Depth=1
	v_and_b32_e32 v2, 0xffff, v1
	v_mov_b32_e32 v0, 0x7f800001
	s_mov_b32 s23, exec_lo
	s_delay_alu instid0(VALU_DEP_2) | instskip(NEXT) | instid1(VALU_DEP_1)
	v_and_b32_e32 v1, 0x7f, v2
	v_cmpx_ne_u32_e32 0x7f, v1
	s_cbranch_execz .LBB448_1378
; %bb.1375:                             ;   in Loop: Header=BB448_13 Depth=1
	v_and_b32_e32 v18, 7, v2
	v_lshrrev_b32_e32 v0, 3, v1
	v_mov_b32_e32 v34, v19
	s_mov_b32 s24, exec_lo
	s_delay_alu instid0(VALU_DEP_3)
	v_mov_b32_e32 v33, v18
	v_cmpx_gt_u32_e32 8, v1
; %bb.1376:                             ;   in Loop: Header=BB448_13 Depth=1
	v_clz_i32_u32_e32 v0, v18
	s_delay_alu instid0(VALU_DEP_1) | instskip(NEXT) | instid1(VALU_DEP_1)
	v_min_u32_e32 v0, 32, v0
	v_subrev_nc_u32_e32 v1, 28, v0
	v_sub_nc_u32_e32 v0, 29, v0
	s_delay_alu instid0(VALU_DEP_2) | instskip(NEXT) | instid1(VALU_DEP_1)
	v_lshlrev_b64 v[1:2], v1, v[18:19]
	v_and_b32_e32 v33, 7, v1
; %bb.1377:                             ;   in Loop: Header=BB448_13 Depth=1
	s_or_b32 exec_lo, exec_lo, s24
	v_lshlrev_b32_e32 v1, 16, v31
	s_delay_alu instid0(VALU_DEP_2) | instskip(SKIP_1) | instid1(VALU_DEP_3)
	v_lshlrev_b32_e32 v2, 20, v33
	v_lshl_add_u32 v0, v0, 23, 0x3c000000
	v_and_b32_e32 v1, 0x80000000, v1
	s_delay_alu instid0(VALU_DEP_1)
	v_or3_b32 v0, v2, v1, v0
.LBB448_1378:                           ;   in Loop: Header=BB448_13 Depth=1
	s_or_b32 exec_lo, exec_lo, s23
.LBB448_1379:                           ;   in Loop: Header=BB448_13 Depth=1
	s_delay_alu instid0(SALU_CYCLE_1)
	s_or_b32 exec_lo, exec_lo, s22
.LBB448_1380:                           ;   in Loop: Header=BB448_13 Depth=1
	s_delay_alu instid0(SALU_CYCLE_1) | instskip(NEXT) | instid1(VALU_DEP_1)
	s_or_b32 exec_lo, exec_lo, s21
	v_mul_f32_e32 v0, v133, v0
                                        ; implicit-def: $vgpr84
	s_delay_alu instid0(VALU_DEP_1) | instskip(NEXT) | instid1(VALU_DEP_1)
	v_and_b32_e32 v1, 0x7f800000, v0
	v_cmp_ne_u32_e64 s1, 0x7f800000, v1
	s_delay_alu instid0(VALU_DEP_1) | instskip(NEXT) | instid1(SALU_CYCLE_1)
	s_and_saveexec_b32 s21, s1
	s_xor_b32 s1, exec_lo, s21
; %bb.1381:                             ;   in Loop: Header=BB448_13 Depth=1
	v_bfe_u32 v1, v0, 16, 1
	s_delay_alu instid0(VALU_DEP_1)
	v_add3_u32 v84, v0, v1, 0x7fff
                                        ; implicit-def: $vgpr0
; %bb.1382:                             ;   in Loop: Header=BB448_13 Depth=1
	s_and_not1_saveexec_b32 s21, s1
; %bb.1383:                             ;   in Loop: Header=BB448_13 Depth=1
	v_and_b32_e32 v1, 0xffff, v0
	v_or_b32_e32 v2, 0x10000, v0
	s_delay_alu instid0(VALU_DEP_2) | instskip(NEXT) | instid1(VALU_DEP_1)
	v_cmp_eq_u32_e64 s1, 0, v1
	v_cndmask_b32_e64 v84, v2, v0, s1
; %bb.1384:                             ;   in Loop: Header=BB448_13 Depth=1
	s_or_b32 exec_lo, exec_lo, s21
	v_lshrrev_b32_e32 v0, 16, v31
	s_mov_b32 s21, exec_lo
	s_delay_alu instid0(VALU_DEP_1) | instskip(NEXT) | instid1(VALU_DEP_1)
	v_dual_mov_b32 v1, 0 :: v_dual_and_b32 v2, 0xff, v0
	v_cmpx_ne_u16_e32 0, v2
	s_cbranch_execz .LBB448_1392
; %bb.1385:                             ;   in Loop: Header=BB448_13 Depth=1
	v_bfrev_b32_e32 v1, 1
	s_mov_b32 s22, exec_lo
	v_cmpx_ne_u16_e32 0x80, v2
	s_cbranch_execz .LBB448_1391
; %bb.1386:                             ;   in Loop: Header=BB448_13 Depth=1
	v_bfe_u32 v2, v31, 16, 7
	v_mov_b32_e32 v1, 0x7f800001
	s_mov_b32 s23, exec_lo
	s_delay_alu instid0(VALU_DEP_2)
	v_cmpx_ne_u32_e32 0x7f, v2
	s_cbranch_execz .LBB448_1390
; %bb.1387:                             ;   in Loop: Header=BB448_13 Depth=1
	v_and_b32_e32 v18, 7, v0
	v_lshrrev_b32_e32 v1, 3, v2
	v_mov_b32_e32 v34, v19
	s_mov_b32 s24, exec_lo
	s_delay_alu instid0(VALU_DEP_3)
	v_mov_b32_e32 v33, v18
	v_cmpx_gt_u32_e32 8, v2
; %bb.1388:                             ;   in Loop: Header=BB448_13 Depth=1
	v_clz_i32_u32_e32 v1, v18
	s_delay_alu instid0(VALU_DEP_1) | instskip(NEXT) | instid1(VALU_DEP_1)
	v_min_u32_e32 v1, 32, v1
	v_subrev_nc_u32_e32 v2, 28, v1
	v_sub_nc_u32_e32 v1, 29, v1
	s_delay_alu instid0(VALU_DEP_2) | instskip(NEXT) | instid1(VALU_DEP_1)
	v_lshlrev_b64 v[2:3], v2, v[18:19]
	v_and_b32_e32 v33, 7, v2
; %bb.1389:                             ;   in Loop: Header=BB448_13 Depth=1
	s_or_b32 exec_lo, exec_lo, s24
	v_lshlrev_b32_e32 v0, 24, v0
	s_delay_alu instid0(VALU_DEP_2) | instskip(SKIP_1) | instid1(VALU_DEP_3)
	v_lshlrev_b32_e32 v2, 20, v33
	v_lshl_add_u32 v1, v1, 23, 0x3c000000
	v_and_b32_e32 v0, 0x80000000, v0
	s_delay_alu instid0(VALU_DEP_1)
	v_or3_b32 v1, v2, v0, v1
.LBB448_1390:                           ;   in Loop: Header=BB448_13 Depth=1
	s_or_b32 exec_lo, exec_lo, s23
.LBB448_1391:                           ;   in Loop: Header=BB448_13 Depth=1
	s_delay_alu instid0(SALU_CYCLE_1)
	s_or_b32 exec_lo, exec_lo, s22
.LBB448_1392:                           ;   in Loop: Header=BB448_13 Depth=1
	s_delay_alu instid0(SALU_CYCLE_1) | instskip(NEXT) | instid1(VALU_DEP_1)
	s_or_b32 exec_lo, exec_lo, s21
	v_mul_f32_e32 v0, v133, v1
                                        ; implicit-def: $vgpr37
	s_delay_alu instid0(VALU_DEP_1) | instskip(NEXT) | instid1(VALU_DEP_1)
	v_and_b32_e32 v1, 0x7f800000, v0
	v_cmp_ne_u32_e64 s1, 0x7f800000, v1
	s_delay_alu instid0(VALU_DEP_1) | instskip(NEXT) | instid1(SALU_CYCLE_1)
	s_and_saveexec_b32 s21, s1
	s_xor_b32 s1, exec_lo, s21
; %bb.1393:                             ;   in Loop: Header=BB448_13 Depth=1
	v_bfe_u32 v1, v0, 16, 1
	s_delay_alu instid0(VALU_DEP_1)
	v_add3_u32 v37, v0, v1, 0x7fff
                                        ; implicit-def: $vgpr0
; %bb.1394:                             ;   in Loop: Header=BB448_13 Depth=1
	s_and_not1_saveexec_b32 s21, s1
; %bb.1395:                             ;   in Loop: Header=BB448_13 Depth=1
	v_and_b32_e32 v1, 0xffff, v0
	v_or_b32_e32 v2, 0x10000, v0
	s_delay_alu instid0(VALU_DEP_2) | instskip(NEXT) | instid1(VALU_DEP_1)
	v_cmp_eq_u32_e64 s1, 0, v1
	v_cndmask_b32_e64 v37, v2, v0, s1
; %bb.1396:                             ;   in Loop: Header=BB448_13 Depth=1
	s_or_b32 exec_lo, exec_lo, s21
	v_mov_b32_e32 v1, 0
	s_mov_b32 s21, exec_lo
	v_cmpx_lt_u32_e32 0xffffff, v31
	s_cbranch_execz .LBB448_1404
; %bb.1397:                             ;   in Loop: Header=BB448_13 Depth=1
	v_lshrrev_b32_e32 v0, 24, v31
	v_bfrev_b32_e32 v1, 1
	s_mov_b32 s22, exec_lo
	s_delay_alu instid0(VALU_DEP_2)
	v_cmpx_ne_u32_e32 0x80, v0
	s_cbranch_execz .LBB448_1403
; %bb.1398:                             ;   in Loop: Header=BB448_13 Depth=1
	v_bfe_u32 v2, v31, 24, 7
	v_mov_b32_e32 v1, 0x7f800001
	s_mov_b32 s23, exec_lo
	s_delay_alu instid0(VALU_DEP_2)
	v_cmpx_ne_u32_e32 0x7f, v2
	s_cbranch_execz .LBB448_1402
; %bb.1399:                             ;   in Loop: Header=BB448_13 Depth=1
	v_and_b32_e32 v18, 7, v0
	v_lshrrev_b32_e32 v1, 3, v2
	v_mov_b32_e32 v34, v19
	s_mov_b32 s24, exec_lo
	s_delay_alu instid0(VALU_DEP_3)
	v_mov_b32_e32 v33, v18
	v_cmpx_gt_u32_e32 8, v2
; %bb.1400:                             ;   in Loop: Header=BB448_13 Depth=1
	v_clz_i32_u32_e32 v1, v18
	s_delay_alu instid0(VALU_DEP_1) | instskip(NEXT) | instid1(VALU_DEP_1)
	v_min_u32_e32 v1, 32, v1
	v_subrev_nc_u32_e32 v2, 28, v1
	v_sub_nc_u32_e32 v1, 29, v1
	s_delay_alu instid0(VALU_DEP_2) | instskip(NEXT) | instid1(VALU_DEP_1)
	v_lshlrev_b64 v[2:3], v2, v[18:19]
	v_and_b32_e32 v33, 7, v2
; %bb.1401:                             ;   in Loop: Header=BB448_13 Depth=1
	s_or_b32 exec_lo, exec_lo, s24
	v_lshlrev_b32_e32 v0, 24, v0
	s_delay_alu instid0(VALU_DEP_2) | instskip(SKIP_1) | instid1(VALU_DEP_3)
	v_lshlrev_b32_e32 v2, 20, v33
	v_lshl_add_u32 v1, v1, 23, 0x3c000000
	v_and_b32_e32 v0, 0x80000000, v0
	s_delay_alu instid0(VALU_DEP_1)
	v_or3_b32 v1, v2, v0, v1
.LBB448_1402:                           ;   in Loop: Header=BB448_13 Depth=1
	s_or_b32 exec_lo, exec_lo, s23
.LBB448_1403:                           ;   in Loop: Header=BB448_13 Depth=1
	s_delay_alu instid0(SALU_CYCLE_1)
	s_or_b32 exec_lo, exec_lo, s22
.LBB448_1404:                           ;   in Loop: Header=BB448_13 Depth=1
	s_delay_alu instid0(SALU_CYCLE_1) | instskip(NEXT) | instid1(VALU_DEP_1)
	s_or_b32 exec_lo, exec_lo, s21
	v_mul_f32_e32 v0, v133, v1
                                        ; implicit-def: $vgpr50
	s_delay_alu instid0(VALU_DEP_1) | instskip(NEXT) | instid1(VALU_DEP_1)
	v_and_b32_e32 v1, 0x7f800000, v0
	v_cmp_ne_u32_e64 s1, 0x7f800000, v1
	s_delay_alu instid0(VALU_DEP_1) | instskip(NEXT) | instid1(SALU_CYCLE_1)
	s_and_saveexec_b32 s21, s1
	s_xor_b32 s1, exec_lo, s21
; %bb.1405:                             ;   in Loop: Header=BB448_13 Depth=1
	v_bfe_u32 v1, v0, 16, 1
	s_delay_alu instid0(VALU_DEP_1)
	v_add3_u32 v50, v0, v1, 0x7fff
                                        ; implicit-def: $vgpr0
; %bb.1406:                             ;   in Loop: Header=BB448_13 Depth=1
	s_and_not1_saveexec_b32 s21, s1
; %bb.1407:                             ;   in Loop: Header=BB448_13 Depth=1
	v_and_b32_e32 v1, 0xffff, v0
	v_or_b32_e32 v2, 0x10000, v0
	s_delay_alu instid0(VALU_DEP_2) | instskip(NEXT) | instid1(VALU_DEP_1)
	v_cmp_eq_u32_e64 s1, 0, v1
	v_cndmask_b32_e64 v50, v2, v0, s1
; %bb.1408:                             ;   in Loop: Header=BB448_13 Depth=1
	s_or_b32 exec_lo, exec_lo, s21
	v_dual_mov_b32 v18, v32 :: v_dual_and_b32 v1, 0xff, v32
	v_mov_b32_e32 v0, 0
	s_mov_b32 s21, exec_lo
	s_delay_alu instid0(VALU_DEP_2)
	v_cmpx_ne_u16_e32 0, v1
	s_cbranch_execz .LBB448_1416
; %bb.1409:                             ;   in Loop: Header=BB448_13 Depth=1
	v_bfrev_b32_e32 v0, 1
	s_mov_b32 s22, exec_lo
	v_cmpx_ne_u16_e32 0x80, v1
	s_cbranch_execz .LBB448_1415
; %bb.1410:                             ;   in Loop: Header=BB448_13 Depth=1
	v_and_b32_e32 v1, 0x7f, v32
	v_mov_b32_e32 v0, 0x7f800001
	s_mov_b32 s23, exec_lo
	s_delay_alu instid0(VALU_DEP_2)
	v_cmpx_ne_u32_e32 0x7f, v1
	s_cbranch_execz .LBB448_1414
; %bb.1411:                             ;   in Loop: Header=BB448_13 Depth=1
	v_lshrrev_b32_e32 v0, 3, v1
	v_dual_mov_b32 v34, v19 :: v_dual_mov_b32 v33, v18
	s_mov_b32 s24, exec_lo
	v_cmpx_gt_u32_e32 8, v1
; %bb.1412:                             ;   in Loop: Header=BB448_13 Depth=1
	v_and_b32_e32 v0, 7, v32
	s_delay_alu instid0(VALU_DEP_1) | instskip(NEXT) | instid1(VALU_DEP_1)
	v_clz_i32_u32_e32 v0, v0
	v_min_u32_e32 v0, 32, v0
	s_delay_alu instid0(VALU_DEP_1) | instskip(SKIP_1) | instid1(VALU_DEP_2)
	v_subrev_nc_u32_e32 v1, 28, v0
	v_sub_nc_u32_e32 v0, 29, v0
	v_lshlrev_b64 v[33:34], v1, v[18:19]
; %bb.1413:                             ;   in Loop: Header=BB448_13 Depth=1
	s_or_b32 exec_lo, exec_lo, s24
	s_delay_alu instid0(VALU_DEP_1) | instskip(SKIP_2) | instid1(VALU_DEP_3)
	v_lshlrev_b32_e32 v1, 20, v33
	v_lshlrev_b32_e32 v2, 24, v18
	v_lshl_add_u32 v0, v0, 23, 0x3c000000
	v_and_b32_e32 v1, 0x700000, v1
	s_delay_alu instid0(VALU_DEP_3) | instskip(NEXT) | instid1(VALU_DEP_1)
	v_and_b32_e32 v2, 0x80000000, v2
	v_or3_b32 v0, v1, v2, v0
.LBB448_1414:                           ;   in Loop: Header=BB448_13 Depth=1
	s_or_b32 exec_lo, exec_lo, s23
.LBB448_1415:                           ;   in Loop: Header=BB448_13 Depth=1
	s_delay_alu instid0(SALU_CYCLE_1)
	s_or_b32 exec_lo, exec_lo, s22
.LBB448_1416:                           ;   in Loop: Header=BB448_13 Depth=1
	s_delay_alu instid0(SALU_CYCLE_1) | instskip(NEXT) | instid1(VALU_DEP_1)
	s_or_b32 exec_lo, exec_lo, s21
	v_mul_f32_e32 v0, v133, v0
                                        ; implicit-def: $vgpr22
	s_delay_alu instid0(VALU_DEP_1) | instskip(NEXT) | instid1(VALU_DEP_1)
	v_and_b32_e32 v1, 0x7f800000, v0
	v_cmp_ne_u32_e64 s1, 0x7f800000, v1
	s_delay_alu instid0(VALU_DEP_1) | instskip(NEXT) | instid1(SALU_CYCLE_1)
	s_and_saveexec_b32 s21, s1
	s_xor_b32 s1, exec_lo, s21
; %bb.1417:                             ;   in Loop: Header=BB448_13 Depth=1
	v_bfe_u32 v1, v0, 16, 1
	s_delay_alu instid0(VALU_DEP_1)
	v_add3_u32 v22, v0, v1, 0x7fff
                                        ; implicit-def: $vgpr0
; %bb.1418:                             ;   in Loop: Header=BB448_13 Depth=1
	s_and_not1_saveexec_b32 s21, s1
; %bb.1419:                             ;   in Loop: Header=BB448_13 Depth=1
	v_and_b32_e32 v1, 0xffff, v0
	v_or_b32_e32 v2, 0x10000, v0
	s_delay_alu instid0(VALU_DEP_2) | instskip(NEXT) | instid1(VALU_DEP_1)
	v_cmp_eq_u32_e64 s1, 0, v1
	v_cndmask_b32_e64 v22, v2, v0, s1
; %bb.1420:                             ;   in Loop: Header=BB448_13 Depth=1
	s_or_b32 exec_lo, exec_lo, s21
	v_lshrrev_b16 v1, 8, v18
	v_mov_b32_e32 v0, 0
	s_mov_b32 s21, exec_lo
	s_delay_alu instid0(VALU_DEP_2)
	v_cmpx_ne_u16_e32 0, v1
	s_cbranch_execz .LBB448_1428
; %bb.1421:                             ;   in Loop: Header=BB448_13 Depth=1
	v_bfrev_b32_e32 v0, 1
	s_mov_b32 s22, exec_lo
	v_cmpx_ne_u16_e32 0x80, v1
	s_cbranch_execz .LBB448_1427
; %bb.1422:                             ;   in Loop: Header=BB448_13 Depth=1
	v_and_b32_e32 v2, 0xffff, v1
	v_mov_b32_e32 v0, 0x7f800001
	s_mov_b32 s23, exec_lo
	s_delay_alu instid0(VALU_DEP_2) | instskip(NEXT) | instid1(VALU_DEP_1)
	v_and_b32_e32 v1, 0x7f, v2
	v_cmpx_ne_u32_e32 0x7f, v1
	s_cbranch_execz .LBB448_1426
; %bb.1423:                             ;   in Loop: Header=BB448_13 Depth=1
	v_dual_mov_b32 v34, v19 :: v_dual_and_b32 v33, 7, v2
	v_lshrrev_b32_e32 v0, 3, v1
	s_mov_b32 s24, exec_lo
	v_cmpx_gt_u32_e32 8, v1
; %bb.1424:                             ;   in Loop: Header=BB448_13 Depth=1
	s_delay_alu instid0(VALU_DEP_3) | instskip(NEXT) | instid1(VALU_DEP_1)
	v_clz_i32_u32_e32 v0, v33
	v_min_u32_e32 v0, 32, v0
	s_delay_alu instid0(VALU_DEP_1) | instskip(SKIP_1) | instid1(VALU_DEP_2)
	v_subrev_nc_u32_e32 v1, 28, v0
	v_sub_nc_u32_e32 v0, 29, v0
	v_lshlrev_b64 v[1:2], v1, v[33:34]
	s_delay_alu instid0(VALU_DEP_1)
	v_and_b32_e32 v33, 7, v1
; %bb.1425:                             ;   in Loop: Header=BB448_13 Depth=1
	s_or_b32 exec_lo, exec_lo, s24
	v_lshlrev_b32_e32 v1, 16, v18
	s_delay_alu instid0(VALU_DEP_2) | instskip(SKIP_1) | instid1(VALU_DEP_3)
	v_lshlrev_b32_e32 v2, 20, v33
	v_lshl_add_u32 v0, v0, 23, 0x3c000000
	v_and_b32_e32 v1, 0x80000000, v1
	s_delay_alu instid0(VALU_DEP_1)
	v_or3_b32 v0, v2, v1, v0
.LBB448_1426:                           ;   in Loop: Header=BB448_13 Depth=1
	s_or_b32 exec_lo, exec_lo, s23
.LBB448_1427:                           ;   in Loop: Header=BB448_13 Depth=1
	s_delay_alu instid0(SALU_CYCLE_1)
	s_or_b32 exec_lo, exec_lo, s22
.LBB448_1428:                           ;   in Loop: Header=BB448_13 Depth=1
	s_delay_alu instid0(SALU_CYCLE_1) | instskip(NEXT) | instid1(VALU_DEP_1)
	s_or_b32 exec_lo, exec_lo, s21
	v_mul_f32_e32 v0, v133, v0
                                        ; implicit-def: $vgpr23
	s_delay_alu instid0(VALU_DEP_1) | instskip(NEXT) | instid1(VALU_DEP_1)
	v_and_b32_e32 v1, 0x7f800000, v0
	v_cmp_ne_u32_e64 s1, 0x7f800000, v1
	s_delay_alu instid0(VALU_DEP_1) | instskip(NEXT) | instid1(SALU_CYCLE_1)
	s_and_saveexec_b32 s21, s1
	s_xor_b32 s1, exec_lo, s21
; %bb.1429:                             ;   in Loop: Header=BB448_13 Depth=1
	v_bfe_u32 v1, v0, 16, 1
	s_delay_alu instid0(VALU_DEP_1)
	v_add3_u32 v23, v0, v1, 0x7fff
                                        ; implicit-def: $vgpr0
; %bb.1430:                             ;   in Loop: Header=BB448_13 Depth=1
	s_and_not1_saveexec_b32 s21, s1
; %bb.1431:                             ;   in Loop: Header=BB448_13 Depth=1
	v_and_b32_e32 v1, 0xffff, v0
	v_or_b32_e32 v2, 0x10000, v0
	s_delay_alu instid0(VALU_DEP_2) | instskip(NEXT) | instid1(VALU_DEP_1)
	v_cmp_eq_u32_e64 s1, 0, v1
	v_cndmask_b32_e64 v23, v2, v0, s1
; %bb.1432:                             ;   in Loop: Header=BB448_13 Depth=1
	s_or_b32 exec_lo, exec_lo, s21
	v_lshrrev_b32_e32 v0, 16, v32
	s_mov_b32 s21, exec_lo
	s_delay_alu instid0(VALU_DEP_1) | instskip(NEXT) | instid1(VALU_DEP_1)
	v_dual_mov_b32 v1, 0 :: v_dual_and_b32 v2, 0xff, v0
	v_cmpx_ne_u16_e32 0, v2
	s_cbranch_execz .LBB448_1440
; %bb.1433:                             ;   in Loop: Header=BB448_13 Depth=1
	v_bfrev_b32_e32 v1, 1
	s_mov_b32 s22, exec_lo
	v_cmpx_ne_u16_e32 0x80, v2
	s_cbranch_execz .LBB448_1439
; %bb.1434:                             ;   in Loop: Header=BB448_13 Depth=1
	v_bfe_u32 v2, v32, 16, 7
	v_mov_b32_e32 v1, 0x7f800001
	s_mov_b32 s23, exec_lo
	s_delay_alu instid0(VALU_DEP_2)
	v_cmpx_ne_u32_e32 0x7f, v2
	s_cbranch_execz .LBB448_1438
; %bb.1435:                             ;   in Loop: Header=BB448_13 Depth=1
	v_and_b32_e32 v18, 7, v0
	v_lshrrev_b32_e32 v1, 3, v2
	v_mov_b32_e32 v34, v19
	s_mov_b32 s24, exec_lo
	s_delay_alu instid0(VALU_DEP_3)
	v_mov_b32_e32 v33, v18
	v_cmpx_gt_u32_e32 8, v2
; %bb.1436:                             ;   in Loop: Header=BB448_13 Depth=1
	v_clz_i32_u32_e32 v1, v18
	s_delay_alu instid0(VALU_DEP_1) | instskip(NEXT) | instid1(VALU_DEP_1)
	v_min_u32_e32 v1, 32, v1
	v_subrev_nc_u32_e32 v2, 28, v1
	v_sub_nc_u32_e32 v1, 29, v1
	s_delay_alu instid0(VALU_DEP_2) | instskip(NEXT) | instid1(VALU_DEP_1)
	v_lshlrev_b64 v[2:3], v2, v[18:19]
	v_and_b32_e32 v33, 7, v2
; %bb.1437:                             ;   in Loop: Header=BB448_13 Depth=1
	s_or_b32 exec_lo, exec_lo, s24
	v_lshlrev_b32_e32 v0, 24, v0
	s_delay_alu instid0(VALU_DEP_2) | instskip(SKIP_1) | instid1(VALU_DEP_3)
	v_lshlrev_b32_e32 v2, 20, v33
	v_lshl_add_u32 v1, v1, 23, 0x3c000000
	v_and_b32_e32 v0, 0x80000000, v0
	s_delay_alu instid0(VALU_DEP_1)
	v_or3_b32 v1, v2, v0, v1
.LBB448_1438:                           ;   in Loop: Header=BB448_13 Depth=1
	s_or_b32 exec_lo, exec_lo, s23
.LBB448_1439:                           ;   in Loop: Header=BB448_13 Depth=1
	s_delay_alu instid0(SALU_CYCLE_1)
	s_or_b32 exec_lo, exec_lo, s22
.LBB448_1440:                           ;   in Loop: Header=BB448_13 Depth=1
	s_delay_alu instid0(SALU_CYCLE_1) | instskip(NEXT) | instid1(VALU_DEP_1)
	s_or_b32 exec_lo, exec_lo, s21
	v_mul_f32_e32 v0, v133, v1
                                        ; implicit-def: $vgpr48
	s_delay_alu instid0(VALU_DEP_1) | instskip(NEXT) | instid1(VALU_DEP_1)
	v_and_b32_e32 v1, 0x7f800000, v0
	v_cmp_ne_u32_e64 s1, 0x7f800000, v1
	s_delay_alu instid0(VALU_DEP_1) | instskip(NEXT) | instid1(SALU_CYCLE_1)
	s_and_saveexec_b32 s21, s1
	s_xor_b32 s1, exec_lo, s21
; %bb.1441:                             ;   in Loop: Header=BB448_13 Depth=1
	v_bfe_u32 v1, v0, 16, 1
	s_delay_alu instid0(VALU_DEP_1)
	v_add3_u32 v48, v0, v1, 0x7fff
                                        ; implicit-def: $vgpr0
; %bb.1442:                             ;   in Loop: Header=BB448_13 Depth=1
	s_and_not1_saveexec_b32 s21, s1
; %bb.1443:                             ;   in Loop: Header=BB448_13 Depth=1
	v_and_b32_e32 v1, 0xffff, v0
	v_or_b32_e32 v2, 0x10000, v0
	s_delay_alu instid0(VALU_DEP_2) | instskip(NEXT) | instid1(VALU_DEP_1)
	v_cmp_eq_u32_e64 s1, 0, v1
	v_cndmask_b32_e64 v48, v2, v0, s1
; %bb.1444:                             ;   in Loop: Header=BB448_13 Depth=1
	s_or_b32 exec_lo, exec_lo, s21
	v_mov_b32_e32 v1, 0
	s_mov_b32 s21, exec_lo
	v_cmpx_lt_u64_e64 s[16:17], v[31:32]
	s_cbranch_execz .LBB448_1452
; %bb.1445:                             ;   in Loop: Header=BB448_13 Depth=1
	v_lshrrev_b32_e32 v0, 24, v32
	v_bfrev_b32_e32 v1, 1
	s_mov_b32 s22, exec_lo
	s_delay_alu instid0(VALU_DEP_2)
	v_cmpx_ne_u32_e32 0x80, v0
	s_cbranch_execz .LBB448_1451
; %bb.1446:                             ;   in Loop: Header=BB448_13 Depth=1
	v_bfe_u32 v2, v32, 24, 7
	v_mov_b32_e32 v1, 0x7f800001
	s_mov_b32 s23, exec_lo
	s_delay_alu instid0(VALU_DEP_2)
	v_cmpx_ne_u32_e32 0x7f, v2
	s_cbranch_execz .LBB448_1450
; %bb.1447:                             ;   in Loop: Header=BB448_13 Depth=1
	v_and_b32_e32 v18, 7, v0
	v_lshrrev_b32_e32 v1, 3, v2
	v_mov_b32_e32 v32, v19
	s_mov_b32 s24, exec_lo
	s_delay_alu instid0(VALU_DEP_3)
	v_mov_b32_e32 v31, v18
	v_cmpx_gt_u32_e32 8, v2
; %bb.1448:                             ;   in Loop: Header=BB448_13 Depth=1
	v_clz_i32_u32_e32 v1, v18
	s_delay_alu instid0(VALU_DEP_1) | instskip(NEXT) | instid1(VALU_DEP_1)
	v_min_u32_e32 v1, 32, v1
	v_subrev_nc_u32_e32 v2, 28, v1
	v_sub_nc_u32_e32 v1, 29, v1
	s_delay_alu instid0(VALU_DEP_2) | instskip(NEXT) | instid1(VALU_DEP_1)
	v_lshlrev_b64 v[2:3], v2, v[18:19]
	v_and_b32_e32 v31, 7, v2
; %bb.1449:                             ;   in Loop: Header=BB448_13 Depth=1
	s_or_b32 exec_lo, exec_lo, s24
	v_lshlrev_b32_e32 v0, 24, v0
	s_delay_alu instid0(VALU_DEP_2) | instskip(SKIP_1) | instid1(VALU_DEP_3)
	v_lshlrev_b32_e32 v2, 20, v31
	v_lshl_add_u32 v1, v1, 23, 0x3c000000
	v_and_b32_e32 v0, 0x80000000, v0
	s_delay_alu instid0(VALU_DEP_1)
	v_or3_b32 v1, v2, v0, v1
.LBB448_1450:                           ;   in Loop: Header=BB448_13 Depth=1
	s_or_b32 exec_lo, exec_lo, s23
.LBB448_1451:                           ;   in Loop: Header=BB448_13 Depth=1
	s_delay_alu instid0(SALU_CYCLE_1)
	s_or_b32 exec_lo, exec_lo, s22
.LBB448_1452:                           ;   in Loop: Header=BB448_13 Depth=1
	s_delay_alu instid0(SALU_CYCLE_1) | instskip(NEXT) | instid1(VALU_DEP_1)
	s_or_b32 exec_lo, exec_lo, s21
	v_mul_f32_e32 v0, v133, v1
                                        ; implicit-def: $vgpr49
	s_delay_alu instid0(VALU_DEP_1) | instskip(NEXT) | instid1(VALU_DEP_1)
	v_and_b32_e32 v1, 0x7f800000, v0
	v_cmp_ne_u32_e64 s1, 0x7f800000, v1
	s_delay_alu instid0(VALU_DEP_1) | instskip(NEXT) | instid1(SALU_CYCLE_1)
	s_and_saveexec_b32 s21, s1
	s_xor_b32 s1, exec_lo, s21
; %bb.1453:                             ;   in Loop: Header=BB448_13 Depth=1
	v_bfe_u32 v1, v0, 16, 1
	s_delay_alu instid0(VALU_DEP_1)
	v_add3_u32 v49, v0, v1, 0x7fff
                                        ; implicit-def: $vgpr0
; %bb.1454:                             ;   in Loop: Header=BB448_13 Depth=1
	s_and_not1_saveexec_b32 s21, s1
; %bb.1455:                             ;   in Loop: Header=BB448_13 Depth=1
	v_and_b32_e32 v1, 0xffff, v0
	v_or_b32_e32 v2, 0x10000, v0
	s_delay_alu instid0(VALU_DEP_2) | instskip(NEXT) | instid1(VALU_DEP_1)
	v_cmp_eq_u32_e64 s1, 0, v1
	v_cndmask_b32_e64 v49, v2, v0, s1
; %bb.1456:                             ;   in Loop: Header=BB448_13 Depth=1
	s_or_b32 exec_lo, exec_lo, s21
	flat_load_b64 v[31:32], v[28:29] offset:3592
	s_mov_b32 s21, exec_lo
	s_waitcnt vmcnt(0) lgkmcnt(0)
	v_dual_mov_b32 v0, 0 :: v_dual_and_b32 v1, 0xff, v31
	s_delay_alu instid0(VALU_DEP_1)
	v_cmpx_ne_u16_e32 0, v1
	s_cbranch_execz .LBB448_1464
; %bb.1457:                             ;   in Loop: Header=BB448_13 Depth=1
	v_bfrev_b32_e32 v0, 1
	s_mov_b32 s22, exec_lo
	v_cmpx_ne_u16_e32 0x80, v1
	s_cbranch_execz .LBB448_1463
; %bb.1458:                             ;   in Loop: Header=BB448_13 Depth=1
	v_and_b32_e32 v1, 0x7f, v31
	v_mov_b32_e32 v0, 0x7f800001
	s_mov_b32 s23, exec_lo
	s_delay_alu instid0(VALU_DEP_2)
	v_cmpx_ne_u32_e32 0x7f, v1
	s_cbranch_execz .LBB448_1462
; %bb.1459:                             ;   in Loop: Header=BB448_13 Depth=1
	v_lshrrev_b32_e32 v0, 3, v1
	v_dual_mov_b32 v34, v32 :: v_dual_mov_b32 v33, v31
	s_mov_b32 s24, exec_lo
	v_cmpx_gt_u32_e32 8, v1
; %bb.1460:                             ;   in Loop: Header=BB448_13 Depth=1
	v_and_b32_e32 v0, 7, v31
	s_delay_alu instid0(VALU_DEP_1) | instskip(NEXT) | instid1(VALU_DEP_1)
	v_clz_i32_u32_e32 v0, v0
	v_min_u32_e32 v0, 32, v0
	s_delay_alu instid0(VALU_DEP_1) | instskip(SKIP_1) | instid1(VALU_DEP_2)
	v_subrev_nc_u32_e32 v1, 28, v0
	v_sub_nc_u32_e32 v0, 29, v0
	v_lshlrev_b64 v[33:34], v1, v[31:32]
; %bb.1461:                             ;   in Loop: Header=BB448_13 Depth=1
	s_or_b32 exec_lo, exec_lo, s24
	s_delay_alu instid0(VALU_DEP_1) | instskip(SKIP_2) | instid1(VALU_DEP_3)
	v_lshlrev_b32_e32 v1, 20, v33
	v_lshlrev_b32_e32 v2, 24, v31
	v_lshl_add_u32 v0, v0, 23, 0x3c000000
	v_and_b32_e32 v1, 0x700000, v1
	s_delay_alu instid0(VALU_DEP_3) | instskip(NEXT) | instid1(VALU_DEP_1)
	v_and_b32_e32 v2, 0x80000000, v2
	v_or3_b32 v0, v1, v2, v0
.LBB448_1462:                           ;   in Loop: Header=BB448_13 Depth=1
	s_or_b32 exec_lo, exec_lo, s23
.LBB448_1463:                           ;   in Loop: Header=BB448_13 Depth=1
	s_delay_alu instid0(SALU_CYCLE_1)
	s_or_b32 exec_lo, exec_lo, s22
.LBB448_1464:                           ;   in Loop: Header=BB448_13 Depth=1
	s_delay_alu instid0(SALU_CYCLE_1) | instskip(NEXT) | instid1(VALU_DEP_1)
	s_or_b32 exec_lo, exec_lo, s21
	v_mul_f32_e32 v0, v133, v0
                                        ; implicit-def: $vgpr12
	s_delay_alu instid0(VALU_DEP_1) | instskip(NEXT) | instid1(VALU_DEP_1)
	v_and_b32_e32 v1, 0x7f800000, v0
	v_cmp_ne_u32_e64 s1, 0x7f800000, v1
	s_delay_alu instid0(VALU_DEP_1) | instskip(NEXT) | instid1(SALU_CYCLE_1)
	s_and_saveexec_b32 s21, s1
	s_xor_b32 s1, exec_lo, s21
; %bb.1465:                             ;   in Loop: Header=BB448_13 Depth=1
	v_bfe_u32 v1, v0, 16, 1
	s_delay_alu instid0(VALU_DEP_1)
	v_add3_u32 v12, v0, v1, 0x7fff
                                        ; implicit-def: $vgpr0
; %bb.1466:                             ;   in Loop: Header=BB448_13 Depth=1
	s_and_not1_saveexec_b32 s21, s1
; %bb.1467:                             ;   in Loop: Header=BB448_13 Depth=1
	v_and_b32_e32 v1, 0xffff, v0
	v_or_b32_e32 v2, 0x10000, v0
	s_delay_alu instid0(VALU_DEP_2) | instskip(NEXT) | instid1(VALU_DEP_1)
	v_cmp_eq_u32_e64 s1, 0, v1
	v_cndmask_b32_e64 v12, v2, v0, s1
; %bb.1468:                             ;   in Loop: Header=BB448_13 Depth=1
	s_or_b32 exec_lo, exec_lo, s21
	v_lshrrev_b16 v1, 8, v31
	v_mov_b32_e32 v0, 0
	s_mov_b32 s21, exec_lo
	s_delay_alu instid0(VALU_DEP_2)
	v_cmpx_ne_u16_e32 0, v1
	s_cbranch_execz .LBB448_1476
; %bb.1469:                             ;   in Loop: Header=BB448_13 Depth=1
	v_bfrev_b32_e32 v0, 1
	s_mov_b32 s22, exec_lo
	v_cmpx_ne_u16_e32 0x80, v1
	s_cbranch_execz .LBB448_1475
; %bb.1470:                             ;   in Loop: Header=BB448_13 Depth=1
	v_and_b32_e32 v2, 0xffff, v1
	v_mov_b32_e32 v0, 0x7f800001
	s_mov_b32 s23, exec_lo
	s_delay_alu instid0(VALU_DEP_2) | instskip(NEXT) | instid1(VALU_DEP_1)
	v_and_b32_e32 v1, 0x7f, v2
	v_cmpx_ne_u32_e32 0x7f, v1
	s_cbranch_execz .LBB448_1474
; %bb.1471:                             ;   in Loop: Header=BB448_13 Depth=1
	v_and_b32_e32 v18, 7, v2
	v_mov_b32_e32 v34, v19
	v_lshrrev_b32_e32 v0, 3, v1
	s_mov_b32 s24, exec_lo
	s_delay_alu instid0(VALU_DEP_3)
	v_mov_b32_e32 v33, v18
	v_cmpx_gt_u32_e32 8, v1
; %bb.1472:                             ;   in Loop: Header=BB448_13 Depth=1
	v_clz_i32_u32_e32 v0, v18
	s_delay_alu instid0(VALU_DEP_1) | instskip(NEXT) | instid1(VALU_DEP_1)
	v_min_u32_e32 v0, 32, v0
	v_subrev_nc_u32_e32 v1, 28, v0
	v_sub_nc_u32_e32 v0, 29, v0
	s_delay_alu instid0(VALU_DEP_2) | instskip(NEXT) | instid1(VALU_DEP_1)
	v_lshlrev_b64 v[1:2], v1, v[18:19]
	v_and_b32_e32 v33, 7, v1
; %bb.1473:                             ;   in Loop: Header=BB448_13 Depth=1
	s_or_b32 exec_lo, exec_lo, s24
	v_lshlrev_b32_e32 v1, 16, v31
	s_delay_alu instid0(VALU_DEP_2) | instskip(SKIP_1) | instid1(VALU_DEP_3)
	v_lshlrev_b32_e32 v2, 20, v33
	v_lshl_add_u32 v0, v0, 23, 0x3c000000
	v_and_b32_e32 v1, 0x80000000, v1
	s_delay_alu instid0(VALU_DEP_1)
	v_or3_b32 v0, v2, v1, v0
.LBB448_1474:                           ;   in Loop: Header=BB448_13 Depth=1
	s_or_b32 exec_lo, exec_lo, s23
.LBB448_1475:                           ;   in Loop: Header=BB448_13 Depth=1
	s_delay_alu instid0(SALU_CYCLE_1)
	s_or_b32 exec_lo, exec_lo, s22
.LBB448_1476:                           ;   in Loop: Header=BB448_13 Depth=1
	s_delay_alu instid0(SALU_CYCLE_1) | instskip(NEXT) | instid1(VALU_DEP_1)
	s_or_b32 exec_lo, exec_lo, s21
	v_mul_f32_e32 v0, v133, v0
                                        ; implicit-def: $vgpr52
	s_delay_alu instid0(VALU_DEP_1) | instskip(NEXT) | instid1(VALU_DEP_1)
	v_and_b32_e32 v1, 0x7f800000, v0
	v_cmp_ne_u32_e64 s1, 0x7f800000, v1
	s_delay_alu instid0(VALU_DEP_1) | instskip(NEXT) | instid1(SALU_CYCLE_1)
	s_and_saveexec_b32 s21, s1
	s_xor_b32 s1, exec_lo, s21
; %bb.1477:                             ;   in Loop: Header=BB448_13 Depth=1
	v_bfe_u32 v1, v0, 16, 1
	s_delay_alu instid0(VALU_DEP_1)
	v_add3_u32 v52, v0, v1, 0x7fff
                                        ; implicit-def: $vgpr0
; %bb.1478:                             ;   in Loop: Header=BB448_13 Depth=1
	s_and_not1_saveexec_b32 s21, s1
; %bb.1479:                             ;   in Loop: Header=BB448_13 Depth=1
	v_and_b32_e32 v1, 0xffff, v0
	v_or_b32_e32 v2, 0x10000, v0
	s_delay_alu instid0(VALU_DEP_2) | instskip(NEXT) | instid1(VALU_DEP_1)
	v_cmp_eq_u32_e64 s1, 0, v1
	v_cndmask_b32_e64 v52, v2, v0, s1
; %bb.1480:                             ;   in Loop: Header=BB448_13 Depth=1
	s_or_b32 exec_lo, exec_lo, s21
	v_lshrrev_b32_e32 v0, 16, v31
	s_mov_b32 s21, exec_lo
	s_delay_alu instid0(VALU_DEP_1) | instskip(NEXT) | instid1(VALU_DEP_1)
	v_dual_mov_b32 v1, 0 :: v_dual_and_b32 v2, 0xff, v0
	v_cmpx_ne_u16_e32 0, v2
	s_cbranch_execz .LBB448_1488
; %bb.1481:                             ;   in Loop: Header=BB448_13 Depth=1
	v_bfrev_b32_e32 v1, 1
	s_mov_b32 s22, exec_lo
	v_cmpx_ne_u16_e32 0x80, v2
	s_cbranch_execz .LBB448_1487
; %bb.1482:                             ;   in Loop: Header=BB448_13 Depth=1
	v_bfe_u32 v2, v31, 16, 7
	v_mov_b32_e32 v1, 0x7f800001
	s_mov_b32 s23, exec_lo
	s_delay_alu instid0(VALU_DEP_2)
	v_cmpx_ne_u32_e32 0x7f, v2
	s_cbranch_execz .LBB448_1486
; %bb.1483:                             ;   in Loop: Header=BB448_13 Depth=1
	v_and_b32_e32 v18, 7, v0
	v_mov_b32_e32 v34, v19
	v_lshrrev_b32_e32 v1, 3, v2
	s_mov_b32 s24, exec_lo
	s_delay_alu instid0(VALU_DEP_3)
	v_mov_b32_e32 v33, v18
	v_cmpx_gt_u32_e32 8, v2
; %bb.1484:                             ;   in Loop: Header=BB448_13 Depth=1
	v_clz_i32_u32_e32 v1, v18
	s_delay_alu instid0(VALU_DEP_1) | instskip(NEXT) | instid1(VALU_DEP_1)
	v_min_u32_e32 v1, 32, v1
	v_subrev_nc_u32_e32 v2, 28, v1
	v_sub_nc_u32_e32 v1, 29, v1
	s_delay_alu instid0(VALU_DEP_2) | instskip(NEXT) | instid1(VALU_DEP_1)
	v_lshlrev_b64 v[2:3], v2, v[18:19]
	v_and_b32_e32 v33, 7, v2
; %bb.1485:                             ;   in Loop: Header=BB448_13 Depth=1
	s_or_b32 exec_lo, exec_lo, s24
	v_lshlrev_b32_e32 v0, 24, v0
	s_delay_alu instid0(VALU_DEP_2) | instskip(SKIP_1) | instid1(VALU_DEP_3)
	v_lshlrev_b32_e32 v2, 20, v33
	v_lshl_add_u32 v1, v1, 23, 0x3c000000
	v_and_b32_e32 v0, 0x80000000, v0
	s_delay_alu instid0(VALU_DEP_1)
	v_or3_b32 v1, v2, v0, v1
.LBB448_1486:                           ;   in Loop: Header=BB448_13 Depth=1
	s_or_b32 exec_lo, exec_lo, s23
.LBB448_1487:                           ;   in Loop: Header=BB448_13 Depth=1
	s_delay_alu instid0(SALU_CYCLE_1)
	s_or_b32 exec_lo, exec_lo, s22
.LBB448_1488:                           ;   in Loop: Header=BB448_13 Depth=1
	s_delay_alu instid0(SALU_CYCLE_1) | instskip(NEXT) | instid1(VALU_DEP_1)
	s_or_b32 exec_lo, exec_lo, s21
	v_mul_f32_e32 v0, v133, v1
                                        ; implicit-def: $vgpr82
	s_delay_alu instid0(VALU_DEP_1) | instskip(NEXT) | instid1(VALU_DEP_1)
	v_and_b32_e32 v1, 0x7f800000, v0
	v_cmp_ne_u32_e64 s1, 0x7f800000, v1
	s_delay_alu instid0(VALU_DEP_1) | instskip(NEXT) | instid1(SALU_CYCLE_1)
	s_and_saveexec_b32 s21, s1
	s_xor_b32 s1, exec_lo, s21
; %bb.1489:                             ;   in Loop: Header=BB448_13 Depth=1
	v_bfe_u32 v1, v0, 16, 1
	s_delay_alu instid0(VALU_DEP_1)
	v_add3_u32 v82, v0, v1, 0x7fff
                                        ; implicit-def: $vgpr0
; %bb.1490:                             ;   in Loop: Header=BB448_13 Depth=1
	s_and_not1_saveexec_b32 s21, s1
; %bb.1491:                             ;   in Loop: Header=BB448_13 Depth=1
	v_and_b32_e32 v1, 0xffff, v0
	v_or_b32_e32 v2, 0x10000, v0
	s_delay_alu instid0(VALU_DEP_2) | instskip(NEXT) | instid1(VALU_DEP_1)
	v_cmp_eq_u32_e64 s1, 0, v1
	v_cndmask_b32_e64 v82, v2, v0, s1
; %bb.1492:                             ;   in Loop: Header=BB448_13 Depth=1
	s_or_b32 exec_lo, exec_lo, s21
	v_mov_b32_e32 v1, 0
	s_mov_b32 s21, exec_lo
	v_cmpx_lt_u32_e32 0xffffff, v31
	s_cbranch_execz .LBB448_1500
; %bb.1493:                             ;   in Loop: Header=BB448_13 Depth=1
	v_lshrrev_b32_e32 v0, 24, v31
	v_bfrev_b32_e32 v1, 1
	s_mov_b32 s22, exec_lo
	s_delay_alu instid0(VALU_DEP_2)
	v_cmpx_ne_u32_e32 0x80, v0
	s_cbranch_execz .LBB448_1499
; %bb.1494:                             ;   in Loop: Header=BB448_13 Depth=1
	v_bfe_u32 v2, v31, 24, 7
	v_mov_b32_e32 v1, 0x7f800001
	s_mov_b32 s23, exec_lo
	s_delay_alu instid0(VALU_DEP_2)
	v_cmpx_ne_u32_e32 0x7f, v2
	s_cbranch_execz .LBB448_1498
; %bb.1495:                             ;   in Loop: Header=BB448_13 Depth=1
	v_and_b32_e32 v18, 7, v0
	v_mov_b32_e32 v34, v19
	v_lshrrev_b32_e32 v1, 3, v2
	s_mov_b32 s24, exec_lo
	s_delay_alu instid0(VALU_DEP_3)
	v_mov_b32_e32 v33, v18
	v_cmpx_gt_u32_e32 8, v2
; %bb.1496:                             ;   in Loop: Header=BB448_13 Depth=1
	v_clz_i32_u32_e32 v1, v18
	s_delay_alu instid0(VALU_DEP_1) | instskip(NEXT) | instid1(VALU_DEP_1)
	v_min_u32_e32 v1, 32, v1
	v_subrev_nc_u32_e32 v2, 28, v1
	v_sub_nc_u32_e32 v1, 29, v1
	s_delay_alu instid0(VALU_DEP_2) | instskip(NEXT) | instid1(VALU_DEP_1)
	v_lshlrev_b64 v[2:3], v2, v[18:19]
	v_and_b32_e32 v33, 7, v2
; %bb.1497:                             ;   in Loop: Header=BB448_13 Depth=1
	s_or_b32 exec_lo, exec_lo, s24
	v_lshlrev_b32_e32 v0, 24, v0
	s_delay_alu instid0(VALU_DEP_2) | instskip(SKIP_1) | instid1(VALU_DEP_3)
	v_lshlrev_b32_e32 v2, 20, v33
	v_lshl_add_u32 v1, v1, 23, 0x3c000000
	v_and_b32_e32 v0, 0x80000000, v0
	s_delay_alu instid0(VALU_DEP_1)
	v_or3_b32 v1, v2, v0, v1
.LBB448_1498:                           ;   in Loop: Header=BB448_13 Depth=1
	s_or_b32 exec_lo, exec_lo, s23
.LBB448_1499:                           ;   in Loop: Header=BB448_13 Depth=1
	s_delay_alu instid0(SALU_CYCLE_1)
	s_or_b32 exec_lo, exec_lo, s22
.LBB448_1500:                           ;   in Loop: Header=BB448_13 Depth=1
	s_delay_alu instid0(SALU_CYCLE_1) | instskip(NEXT) | instid1(VALU_DEP_1)
	s_or_b32 exec_lo, exec_lo, s21
	v_mul_f32_e32 v0, v133, v1
                                        ; implicit-def: $vgpr6
	s_delay_alu instid0(VALU_DEP_1) | instskip(NEXT) | instid1(VALU_DEP_1)
	v_and_b32_e32 v1, 0x7f800000, v0
	v_cmp_ne_u32_e64 s1, 0x7f800000, v1
	s_delay_alu instid0(VALU_DEP_1) | instskip(NEXT) | instid1(SALU_CYCLE_1)
	s_and_saveexec_b32 s21, s1
	s_xor_b32 s1, exec_lo, s21
; %bb.1501:                             ;   in Loop: Header=BB448_13 Depth=1
	v_bfe_u32 v1, v0, 16, 1
	s_delay_alu instid0(VALU_DEP_1)
	v_add3_u32 v6, v0, v1, 0x7fff
                                        ; implicit-def: $vgpr0
; %bb.1502:                             ;   in Loop: Header=BB448_13 Depth=1
	s_and_not1_saveexec_b32 s21, s1
; %bb.1503:                             ;   in Loop: Header=BB448_13 Depth=1
	v_and_b32_e32 v1, 0xffff, v0
	v_or_b32_e32 v2, 0x10000, v0
	s_delay_alu instid0(VALU_DEP_2) | instskip(NEXT) | instid1(VALU_DEP_1)
	v_cmp_eq_u32_e64 s1, 0, v1
	v_cndmask_b32_e64 v6, v2, v0, s1
; %bb.1504:                             ;   in Loop: Header=BB448_13 Depth=1
	s_or_b32 exec_lo, exec_lo, s21
	v_dual_mov_b32 v18, v32 :: v_dual_and_b32 v1, 0xff, v32
	v_mov_b32_e32 v0, 0
	s_mov_b32 s21, exec_lo
	s_delay_alu instid0(VALU_DEP_2)
	v_cmpx_ne_u16_e32 0, v1
	s_cbranch_execz .LBB448_1512
; %bb.1505:                             ;   in Loop: Header=BB448_13 Depth=1
	v_bfrev_b32_e32 v0, 1
	s_mov_b32 s22, exec_lo
	v_cmpx_ne_u16_e32 0x80, v1
	s_cbranch_execz .LBB448_1511
; %bb.1506:                             ;   in Loop: Header=BB448_13 Depth=1
	v_and_b32_e32 v1, 0x7f, v32
	v_mov_b32_e32 v0, 0x7f800001
	s_mov_b32 s23, exec_lo
	s_delay_alu instid0(VALU_DEP_2)
	v_cmpx_ne_u32_e32 0x7f, v1
	s_cbranch_execz .LBB448_1510
; %bb.1507:                             ;   in Loop: Header=BB448_13 Depth=1
	v_dual_mov_b32 v34, v19 :: v_dual_mov_b32 v33, v18
	v_lshrrev_b32_e32 v0, 3, v1
	s_mov_b32 s24, exec_lo
	v_cmpx_gt_u32_e32 8, v1
; %bb.1508:                             ;   in Loop: Header=BB448_13 Depth=1
	v_and_b32_e32 v0, 7, v32
	s_delay_alu instid0(VALU_DEP_1) | instskip(NEXT) | instid1(VALU_DEP_1)
	v_clz_i32_u32_e32 v0, v0
	v_min_u32_e32 v0, 32, v0
	s_delay_alu instid0(VALU_DEP_1) | instskip(SKIP_1) | instid1(VALU_DEP_2)
	v_subrev_nc_u32_e32 v1, 28, v0
	v_sub_nc_u32_e32 v0, 29, v0
	v_lshlrev_b64 v[33:34], v1, v[18:19]
; %bb.1509:                             ;   in Loop: Header=BB448_13 Depth=1
	s_or_b32 exec_lo, exec_lo, s24
	s_delay_alu instid0(VALU_DEP_1) | instskip(SKIP_2) | instid1(VALU_DEP_3)
	v_lshlrev_b32_e32 v1, 20, v33
	v_lshlrev_b32_e32 v2, 24, v18
	v_lshl_add_u32 v0, v0, 23, 0x3c000000
	v_and_b32_e32 v1, 0x700000, v1
	s_delay_alu instid0(VALU_DEP_3) | instskip(NEXT) | instid1(VALU_DEP_1)
	v_and_b32_e32 v2, 0x80000000, v2
	v_or3_b32 v0, v1, v2, v0
.LBB448_1510:                           ;   in Loop: Header=BB448_13 Depth=1
	s_or_b32 exec_lo, exec_lo, s23
.LBB448_1511:                           ;   in Loop: Header=BB448_13 Depth=1
	s_delay_alu instid0(SALU_CYCLE_1)
	s_or_b32 exec_lo, exec_lo, s22
.LBB448_1512:                           ;   in Loop: Header=BB448_13 Depth=1
	s_delay_alu instid0(SALU_CYCLE_1) | instskip(NEXT) | instid1(VALU_DEP_1)
	s_or_b32 exec_lo, exec_lo, s21
	v_mul_f32_e32 v0, v133, v0
                                        ; implicit-def: $vgpr7
	s_delay_alu instid0(VALU_DEP_1) | instskip(NEXT) | instid1(VALU_DEP_1)
	v_and_b32_e32 v1, 0x7f800000, v0
	v_cmp_ne_u32_e64 s1, 0x7f800000, v1
	s_delay_alu instid0(VALU_DEP_1) | instskip(NEXT) | instid1(SALU_CYCLE_1)
	s_and_saveexec_b32 s21, s1
	s_xor_b32 s1, exec_lo, s21
; %bb.1513:                             ;   in Loop: Header=BB448_13 Depth=1
	v_bfe_u32 v1, v0, 16, 1
	s_delay_alu instid0(VALU_DEP_1)
	v_add3_u32 v7, v0, v1, 0x7fff
                                        ; implicit-def: $vgpr0
; %bb.1514:                             ;   in Loop: Header=BB448_13 Depth=1
	s_and_not1_saveexec_b32 s21, s1
; %bb.1515:                             ;   in Loop: Header=BB448_13 Depth=1
	v_and_b32_e32 v1, 0xffff, v0
	v_or_b32_e32 v2, 0x10000, v0
	s_delay_alu instid0(VALU_DEP_2) | instskip(NEXT) | instid1(VALU_DEP_1)
	v_cmp_eq_u32_e64 s1, 0, v1
	v_cndmask_b32_e64 v7, v2, v0, s1
; %bb.1516:                             ;   in Loop: Header=BB448_13 Depth=1
	s_or_b32 exec_lo, exec_lo, s21
	v_lshrrev_b16 v1, 8, v18
	v_mov_b32_e32 v0, 0
	s_mov_b32 s21, exec_lo
	s_delay_alu instid0(VALU_DEP_2)
	v_cmpx_ne_u16_e32 0, v1
	s_cbranch_execz .LBB448_1524
; %bb.1517:                             ;   in Loop: Header=BB448_13 Depth=1
	v_bfrev_b32_e32 v0, 1
	s_mov_b32 s22, exec_lo
	v_cmpx_ne_u16_e32 0x80, v1
	s_cbranch_execz .LBB448_1523
; %bb.1518:                             ;   in Loop: Header=BB448_13 Depth=1
	v_and_b32_e32 v2, 0xffff, v1
	v_mov_b32_e32 v0, 0x7f800001
	s_mov_b32 s23, exec_lo
	s_delay_alu instid0(VALU_DEP_2) | instskip(NEXT) | instid1(VALU_DEP_1)
	v_and_b32_e32 v1, 0x7f, v2
	v_cmpx_ne_u32_e32 0x7f, v1
	s_cbranch_execz .LBB448_1522
; %bb.1519:                             ;   in Loop: Header=BB448_13 Depth=1
	v_dual_mov_b32 v34, v19 :: v_dual_and_b32 v33, 7, v2
	v_lshrrev_b32_e32 v0, 3, v1
	s_mov_b32 s24, exec_lo
	v_cmpx_gt_u32_e32 8, v1
; %bb.1520:                             ;   in Loop: Header=BB448_13 Depth=1
	s_delay_alu instid0(VALU_DEP_3) | instskip(NEXT) | instid1(VALU_DEP_1)
	v_clz_i32_u32_e32 v0, v33
	v_min_u32_e32 v0, 32, v0
	s_delay_alu instid0(VALU_DEP_1) | instskip(SKIP_1) | instid1(VALU_DEP_2)
	v_subrev_nc_u32_e32 v1, 28, v0
	v_sub_nc_u32_e32 v0, 29, v0
	v_lshlrev_b64 v[1:2], v1, v[33:34]
	s_delay_alu instid0(VALU_DEP_1)
	v_and_b32_e32 v33, 7, v1
; %bb.1521:                             ;   in Loop: Header=BB448_13 Depth=1
	s_or_b32 exec_lo, exec_lo, s24
	v_lshlrev_b32_e32 v1, 16, v18
	s_delay_alu instid0(VALU_DEP_2) | instskip(SKIP_1) | instid1(VALU_DEP_3)
	v_lshlrev_b32_e32 v2, 20, v33
	v_lshl_add_u32 v0, v0, 23, 0x3c000000
	v_and_b32_e32 v1, 0x80000000, v1
	s_delay_alu instid0(VALU_DEP_1)
	v_or3_b32 v0, v2, v1, v0
.LBB448_1522:                           ;   in Loop: Header=BB448_13 Depth=1
	s_or_b32 exec_lo, exec_lo, s23
.LBB448_1523:                           ;   in Loop: Header=BB448_13 Depth=1
	s_delay_alu instid0(SALU_CYCLE_1)
	s_or_b32 exec_lo, exec_lo, s22
.LBB448_1524:                           ;   in Loop: Header=BB448_13 Depth=1
	s_delay_alu instid0(SALU_CYCLE_1) | instskip(NEXT) | instid1(VALU_DEP_1)
	s_or_b32 exec_lo, exec_lo, s21
	v_mul_f32_e32 v0, v133, v0
                                        ; implicit-def: $vgpr38
	s_delay_alu instid0(VALU_DEP_1) | instskip(NEXT) | instid1(VALU_DEP_1)
	v_and_b32_e32 v1, 0x7f800000, v0
	v_cmp_ne_u32_e64 s1, 0x7f800000, v1
	s_delay_alu instid0(VALU_DEP_1) | instskip(NEXT) | instid1(SALU_CYCLE_1)
	s_and_saveexec_b32 s21, s1
	s_xor_b32 s1, exec_lo, s21
; %bb.1525:                             ;   in Loop: Header=BB448_13 Depth=1
	v_bfe_u32 v1, v0, 16, 1
	s_delay_alu instid0(VALU_DEP_1)
	v_add3_u32 v38, v0, v1, 0x7fff
                                        ; implicit-def: $vgpr0
; %bb.1526:                             ;   in Loop: Header=BB448_13 Depth=1
	s_and_not1_saveexec_b32 s21, s1
; %bb.1527:                             ;   in Loop: Header=BB448_13 Depth=1
	v_and_b32_e32 v1, 0xffff, v0
	v_or_b32_e32 v2, 0x10000, v0
	s_delay_alu instid0(VALU_DEP_2) | instskip(NEXT) | instid1(VALU_DEP_1)
	v_cmp_eq_u32_e64 s1, 0, v1
	v_cndmask_b32_e64 v38, v2, v0, s1
; %bb.1528:                             ;   in Loop: Header=BB448_13 Depth=1
	s_or_b32 exec_lo, exec_lo, s21
	v_lshrrev_b32_e32 v0, 16, v32
	s_mov_b32 s21, exec_lo
	s_delay_alu instid0(VALU_DEP_1) | instskip(NEXT) | instid1(VALU_DEP_1)
	v_dual_mov_b32 v1, 0 :: v_dual_and_b32 v2, 0xff, v0
	v_cmpx_ne_u16_e32 0, v2
	s_cbranch_execz .LBB448_1536
; %bb.1529:                             ;   in Loop: Header=BB448_13 Depth=1
	v_bfrev_b32_e32 v1, 1
	s_mov_b32 s22, exec_lo
	v_cmpx_ne_u16_e32 0x80, v2
	s_cbranch_execz .LBB448_1535
; %bb.1530:                             ;   in Loop: Header=BB448_13 Depth=1
	v_bfe_u32 v2, v32, 16, 7
	v_mov_b32_e32 v1, 0x7f800001
	s_mov_b32 s23, exec_lo
	s_delay_alu instid0(VALU_DEP_2)
	v_cmpx_ne_u32_e32 0x7f, v2
	s_cbranch_execz .LBB448_1534
; %bb.1531:                             ;   in Loop: Header=BB448_13 Depth=1
	v_and_b32_e32 v18, 7, v0
	v_mov_b32_e32 v34, v19
	v_lshrrev_b32_e32 v1, 3, v2
	s_mov_b32 s24, exec_lo
	s_delay_alu instid0(VALU_DEP_3)
	v_mov_b32_e32 v33, v18
	v_cmpx_gt_u32_e32 8, v2
; %bb.1532:                             ;   in Loop: Header=BB448_13 Depth=1
	v_clz_i32_u32_e32 v1, v18
	s_delay_alu instid0(VALU_DEP_1) | instskip(NEXT) | instid1(VALU_DEP_1)
	v_min_u32_e32 v1, 32, v1
	v_subrev_nc_u32_e32 v2, 28, v1
	v_sub_nc_u32_e32 v1, 29, v1
	s_delay_alu instid0(VALU_DEP_2) | instskip(NEXT) | instid1(VALU_DEP_1)
	v_lshlrev_b64 v[2:3], v2, v[18:19]
	v_and_b32_e32 v33, 7, v2
; %bb.1533:                             ;   in Loop: Header=BB448_13 Depth=1
	s_or_b32 exec_lo, exec_lo, s24
	v_lshlrev_b32_e32 v0, 24, v0
	s_delay_alu instid0(VALU_DEP_2) | instskip(SKIP_1) | instid1(VALU_DEP_3)
	v_lshlrev_b32_e32 v2, 20, v33
	v_lshl_add_u32 v1, v1, 23, 0x3c000000
	v_and_b32_e32 v0, 0x80000000, v0
	s_delay_alu instid0(VALU_DEP_1)
	v_or3_b32 v1, v2, v0, v1
.LBB448_1534:                           ;   in Loop: Header=BB448_13 Depth=1
	s_or_b32 exec_lo, exec_lo, s23
.LBB448_1535:                           ;   in Loop: Header=BB448_13 Depth=1
	s_delay_alu instid0(SALU_CYCLE_1)
	s_or_b32 exec_lo, exec_lo, s22
.LBB448_1536:                           ;   in Loop: Header=BB448_13 Depth=1
	s_delay_alu instid0(SALU_CYCLE_1) | instskip(NEXT) | instid1(VALU_DEP_1)
	s_or_b32 exec_lo, exec_lo, s21
	v_mul_f32_e32 v0, v133, v1
                                        ; implicit-def: $vgpr35
	s_delay_alu instid0(VALU_DEP_1) | instskip(NEXT) | instid1(VALU_DEP_1)
	v_and_b32_e32 v1, 0x7f800000, v0
	v_cmp_ne_u32_e64 s1, 0x7f800000, v1
	s_delay_alu instid0(VALU_DEP_1) | instskip(NEXT) | instid1(SALU_CYCLE_1)
	s_and_saveexec_b32 s21, s1
	s_xor_b32 s1, exec_lo, s21
; %bb.1537:                             ;   in Loop: Header=BB448_13 Depth=1
	v_bfe_u32 v1, v0, 16, 1
	s_delay_alu instid0(VALU_DEP_1)
	v_add3_u32 v35, v0, v1, 0x7fff
                                        ; implicit-def: $vgpr0
; %bb.1538:                             ;   in Loop: Header=BB448_13 Depth=1
	s_and_not1_saveexec_b32 s21, s1
; %bb.1539:                             ;   in Loop: Header=BB448_13 Depth=1
	v_and_b32_e32 v1, 0xffff, v0
	v_or_b32_e32 v2, 0x10000, v0
	s_delay_alu instid0(VALU_DEP_2) | instskip(NEXT) | instid1(VALU_DEP_1)
	v_cmp_eq_u32_e64 s1, 0, v1
	v_cndmask_b32_e64 v35, v2, v0, s1
; %bb.1540:                             ;   in Loop: Header=BB448_13 Depth=1
	s_or_b32 exec_lo, exec_lo, s21
	v_mov_b32_e32 v1, 0
	s_mov_b32 s21, exec_lo
	v_cmpx_lt_u64_e64 s[16:17], v[31:32]
	s_cbranch_execz .LBB448_1548
; %bb.1541:                             ;   in Loop: Header=BB448_13 Depth=1
	v_lshrrev_b32_e32 v0, 24, v32
	v_bfrev_b32_e32 v1, 1
	s_mov_b32 s22, exec_lo
	s_delay_alu instid0(VALU_DEP_2)
	v_cmpx_ne_u32_e32 0x80, v0
	s_cbranch_execz .LBB448_1547
; %bb.1542:                             ;   in Loop: Header=BB448_13 Depth=1
	v_bfe_u32 v2, v32, 24, 7
	v_mov_b32_e32 v1, 0x7f800001
	s_mov_b32 s23, exec_lo
	s_delay_alu instid0(VALU_DEP_2)
	v_cmpx_ne_u32_e32 0x7f, v2
	s_cbranch_execz .LBB448_1546
; %bb.1543:                             ;   in Loop: Header=BB448_13 Depth=1
	v_and_b32_e32 v18, 7, v0
	v_mov_b32_e32 v32, v19
	v_lshrrev_b32_e32 v1, 3, v2
	s_mov_b32 s24, exec_lo
	s_delay_alu instid0(VALU_DEP_3)
	v_mov_b32_e32 v31, v18
	v_cmpx_gt_u32_e32 8, v2
; %bb.1544:                             ;   in Loop: Header=BB448_13 Depth=1
	v_clz_i32_u32_e32 v1, v18
	s_delay_alu instid0(VALU_DEP_1) | instskip(NEXT) | instid1(VALU_DEP_1)
	v_min_u32_e32 v1, 32, v1
	v_subrev_nc_u32_e32 v2, 28, v1
	v_sub_nc_u32_e32 v1, 29, v1
	s_delay_alu instid0(VALU_DEP_2) | instskip(NEXT) | instid1(VALU_DEP_1)
	v_lshlrev_b64 v[2:3], v2, v[18:19]
	v_and_b32_e32 v31, 7, v2
; %bb.1545:                             ;   in Loop: Header=BB448_13 Depth=1
	s_or_b32 exec_lo, exec_lo, s24
	v_lshlrev_b32_e32 v0, 24, v0
	s_delay_alu instid0(VALU_DEP_2) | instskip(SKIP_1) | instid1(VALU_DEP_3)
	v_lshlrev_b32_e32 v2, 20, v31
	v_lshl_add_u32 v1, v1, 23, 0x3c000000
	v_and_b32_e32 v0, 0x80000000, v0
	s_delay_alu instid0(VALU_DEP_1)
	v_or3_b32 v1, v2, v0, v1
.LBB448_1546:                           ;   in Loop: Header=BB448_13 Depth=1
	s_or_b32 exec_lo, exec_lo, s23
.LBB448_1547:                           ;   in Loop: Header=BB448_13 Depth=1
	s_delay_alu instid0(SALU_CYCLE_1)
	s_or_b32 exec_lo, exec_lo, s22
.LBB448_1548:                           ;   in Loop: Header=BB448_13 Depth=1
	s_delay_alu instid0(SALU_CYCLE_1) | instskip(NEXT) | instid1(VALU_DEP_1)
	s_or_b32 exec_lo, exec_lo, s21
	v_mul_f32_e32 v0, v133, v1
                                        ; implicit-def: $vgpr53
	s_delay_alu instid0(VALU_DEP_1) | instskip(NEXT) | instid1(VALU_DEP_1)
	v_and_b32_e32 v1, 0x7f800000, v0
	v_cmp_ne_u32_e64 s1, 0x7f800000, v1
	s_delay_alu instid0(VALU_DEP_1) | instskip(NEXT) | instid1(SALU_CYCLE_1)
	s_and_saveexec_b32 s21, s1
	s_xor_b32 s1, exec_lo, s21
; %bb.1549:                             ;   in Loop: Header=BB448_13 Depth=1
	v_bfe_u32 v1, v0, 16, 1
	s_delay_alu instid0(VALU_DEP_1)
	v_add3_u32 v53, v0, v1, 0x7fff
                                        ; implicit-def: $vgpr0
; %bb.1550:                             ;   in Loop: Header=BB448_13 Depth=1
	s_and_not1_saveexec_b32 s21, s1
; %bb.1551:                             ;   in Loop: Header=BB448_13 Depth=1
	v_and_b32_e32 v1, 0xffff, v0
	v_or_b32_e32 v2, 0x10000, v0
	s_delay_alu instid0(VALU_DEP_2) | instskip(NEXT) | instid1(VALU_DEP_1)
	v_cmp_eq_u32_e64 s1, 0, v1
	v_cndmask_b32_e64 v53, v2, v0, s1
; %bb.1552:                             ;   in Loop: Header=BB448_13 Depth=1
	s_or_b32 exec_lo, exec_lo, s21
	v_add_co_u32 v28, s1, 0x1000, v28
	s_delay_alu instid0(VALU_DEP_1)
	v_add_co_ci_u32_e64 v29, s1, 0, v29, s1
	s_mov_b32 s21, exec_lo
	v_mov_b32_e32 v0, 0
	flat_load_b64 v[31:32], v[28:29]
	s_waitcnt vmcnt(0) lgkmcnt(0)
	v_and_b32_e32 v1, 0xff, v31
	s_delay_alu instid0(VALU_DEP_1)
	v_cmpx_ne_u16_e32 0, v1
	s_cbranch_execz .LBB448_1560
; %bb.1553:                             ;   in Loop: Header=BB448_13 Depth=1
	v_bfrev_b32_e32 v0, 1
	s_mov_b32 s22, exec_lo
	v_cmpx_ne_u16_e32 0x80, v1
	s_cbranch_execz .LBB448_1559
; %bb.1554:                             ;   in Loop: Header=BB448_13 Depth=1
	v_and_b32_e32 v1, 0x7f, v31
	v_mov_b32_e32 v0, 0x7f800001
	s_mov_b32 s23, exec_lo
	s_delay_alu instid0(VALU_DEP_2)
	v_cmpx_ne_u32_e32 0x7f, v1
	s_cbranch_execz .LBB448_1558
; %bb.1555:                             ;   in Loop: Header=BB448_13 Depth=1
	v_lshrrev_b32_e32 v0, 3, v1
	v_dual_mov_b32 v34, v32 :: v_dual_mov_b32 v33, v31
	s_mov_b32 s24, exec_lo
	v_cmpx_gt_u32_e32 8, v1
; %bb.1556:                             ;   in Loop: Header=BB448_13 Depth=1
	v_and_b32_e32 v0, 7, v31
	s_delay_alu instid0(VALU_DEP_1) | instskip(NEXT) | instid1(VALU_DEP_1)
	v_clz_i32_u32_e32 v0, v0
	v_min_u32_e32 v0, 32, v0
	s_delay_alu instid0(VALU_DEP_1) | instskip(SKIP_1) | instid1(VALU_DEP_2)
	v_subrev_nc_u32_e32 v1, 28, v0
	v_sub_nc_u32_e32 v0, 29, v0
	v_lshlrev_b64 v[33:34], v1, v[31:32]
; %bb.1557:                             ;   in Loop: Header=BB448_13 Depth=1
	s_or_b32 exec_lo, exec_lo, s24
	s_delay_alu instid0(VALU_DEP_1) | instskip(SKIP_2) | instid1(VALU_DEP_3)
	v_lshlrev_b32_e32 v1, 20, v33
	v_lshlrev_b32_e32 v2, 24, v31
	v_lshl_add_u32 v0, v0, 23, 0x3c000000
	v_and_b32_e32 v1, 0x700000, v1
	s_delay_alu instid0(VALU_DEP_3) | instskip(NEXT) | instid1(VALU_DEP_1)
	v_and_b32_e32 v2, 0x80000000, v2
	v_or3_b32 v0, v1, v2, v0
.LBB448_1558:                           ;   in Loop: Header=BB448_13 Depth=1
	s_or_b32 exec_lo, exec_lo, s23
.LBB448_1559:                           ;   in Loop: Header=BB448_13 Depth=1
	s_delay_alu instid0(SALU_CYCLE_1)
	s_or_b32 exec_lo, exec_lo, s22
.LBB448_1560:                           ;   in Loop: Header=BB448_13 Depth=1
	s_delay_alu instid0(SALU_CYCLE_1) | instskip(NEXT) | instid1(VALU_DEP_1)
	s_or_b32 exec_lo, exec_lo, s21
	v_mul_f32_e32 v0, v133, v0
                                        ; implicit-def: $vgpr11
	s_delay_alu instid0(VALU_DEP_1) | instskip(NEXT) | instid1(VALU_DEP_1)
	v_and_b32_e32 v1, 0x7f800000, v0
	v_cmp_ne_u32_e64 s1, 0x7f800000, v1
	s_delay_alu instid0(VALU_DEP_1) | instskip(NEXT) | instid1(SALU_CYCLE_1)
	s_and_saveexec_b32 s21, s1
	s_xor_b32 s1, exec_lo, s21
; %bb.1561:                             ;   in Loop: Header=BB448_13 Depth=1
	v_bfe_u32 v1, v0, 16, 1
	s_delay_alu instid0(VALU_DEP_1)
	v_add3_u32 v11, v0, v1, 0x7fff
                                        ; implicit-def: $vgpr0
; %bb.1562:                             ;   in Loop: Header=BB448_13 Depth=1
	s_and_not1_saveexec_b32 s21, s1
; %bb.1563:                             ;   in Loop: Header=BB448_13 Depth=1
	v_and_b32_e32 v1, 0xffff, v0
	v_or_b32_e32 v2, 0x10000, v0
	s_delay_alu instid0(VALU_DEP_2) | instskip(NEXT) | instid1(VALU_DEP_1)
	v_cmp_eq_u32_e64 s1, 0, v1
	v_cndmask_b32_e64 v11, v2, v0, s1
; %bb.1564:                             ;   in Loop: Header=BB448_13 Depth=1
	s_or_b32 exec_lo, exec_lo, s21
	v_lshrrev_b16 v1, 8, v31
	v_mov_b32_e32 v0, 0
	s_mov_b32 s21, exec_lo
	s_delay_alu instid0(VALU_DEP_2)
	v_cmpx_ne_u16_e32 0, v1
	s_cbranch_execz .LBB448_1572
; %bb.1565:                             ;   in Loop: Header=BB448_13 Depth=1
	v_bfrev_b32_e32 v0, 1
	s_mov_b32 s22, exec_lo
	v_cmpx_ne_u16_e32 0x80, v1
	s_cbranch_execz .LBB448_1571
; %bb.1566:                             ;   in Loop: Header=BB448_13 Depth=1
	v_and_b32_e32 v2, 0xffff, v1
	v_mov_b32_e32 v0, 0x7f800001
	s_mov_b32 s23, exec_lo
	s_delay_alu instid0(VALU_DEP_2) | instskip(NEXT) | instid1(VALU_DEP_1)
	v_and_b32_e32 v1, 0x7f, v2
	v_cmpx_ne_u32_e32 0x7f, v1
	s_cbranch_execz .LBB448_1570
; %bb.1567:                             ;   in Loop: Header=BB448_13 Depth=1
	v_and_b32_e32 v18, 7, v2
	v_mov_b32_e32 v34, v19
	v_lshrrev_b32_e32 v0, 3, v1
	s_mov_b32 s24, exec_lo
	s_delay_alu instid0(VALU_DEP_3)
	v_mov_b32_e32 v33, v18
	v_cmpx_gt_u32_e32 8, v1
; %bb.1568:                             ;   in Loop: Header=BB448_13 Depth=1
	v_clz_i32_u32_e32 v0, v18
	s_delay_alu instid0(VALU_DEP_1) | instskip(NEXT) | instid1(VALU_DEP_1)
	v_min_u32_e32 v0, 32, v0
	v_subrev_nc_u32_e32 v1, 28, v0
	v_sub_nc_u32_e32 v0, 29, v0
	s_delay_alu instid0(VALU_DEP_2) | instskip(NEXT) | instid1(VALU_DEP_1)
	v_lshlrev_b64 v[1:2], v1, v[18:19]
	v_and_b32_e32 v33, 7, v1
; %bb.1569:                             ;   in Loop: Header=BB448_13 Depth=1
	s_or_b32 exec_lo, exec_lo, s24
	v_lshlrev_b32_e32 v1, 16, v31
	s_delay_alu instid0(VALU_DEP_2) | instskip(SKIP_1) | instid1(VALU_DEP_3)
	v_lshlrev_b32_e32 v2, 20, v33
	v_lshl_add_u32 v0, v0, 23, 0x3c000000
	v_and_b32_e32 v1, 0x80000000, v1
	s_delay_alu instid0(VALU_DEP_1)
	v_or3_b32 v0, v2, v1, v0
.LBB448_1570:                           ;   in Loop: Header=BB448_13 Depth=1
	s_or_b32 exec_lo, exec_lo, s23
.LBB448_1571:                           ;   in Loop: Header=BB448_13 Depth=1
	s_delay_alu instid0(SALU_CYCLE_1)
	s_or_b32 exec_lo, exec_lo, s22
.LBB448_1572:                           ;   in Loop: Header=BB448_13 Depth=1
	s_delay_alu instid0(SALU_CYCLE_1) | instskip(NEXT) | instid1(VALU_DEP_1)
	s_or_b32 exec_lo, exec_lo, s21
	v_mul_f32_e32 v0, v133, v0
                                        ; implicit-def: $vgpr10
	s_delay_alu instid0(VALU_DEP_1) | instskip(NEXT) | instid1(VALU_DEP_1)
	v_and_b32_e32 v1, 0x7f800000, v0
	v_cmp_ne_u32_e64 s1, 0x7f800000, v1
	s_delay_alu instid0(VALU_DEP_1) | instskip(NEXT) | instid1(SALU_CYCLE_1)
	s_and_saveexec_b32 s21, s1
	s_xor_b32 s1, exec_lo, s21
; %bb.1573:                             ;   in Loop: Header=BB448_13 Depth=1
	v_bfe_u32 v1, v0, 16, 1
	s_delay_alu instid0(VALU_DEP_1)
	v_add3_u32 v10, v0, v1, 0x7fff
                                        ; implicit-def: $vgpr0
; %bb.1574:                             ;   in Loop: Header=BB448_13 Depth=1
	s_and_not1_saveexec_b32 s21, s1
; %bb.1575:                             ;   in Loop: Header=BB448_13 Depth=1
	v_and_b32_e32 v1, 0xffff, v0
	v_or_b32_e32 v2, 0x10000, v0
	s_delay_alu instid0(VALU_DEP_2) | instskip(NEXT) | instid1(VALU_DEP_1)
	v_cmp_eq_u32_e64 s1, 0, v1
	v_cndmask_b32_e64 v10, v2, v0, s1
; %bb.1576:                             ;   in Loop: Header=BB448_13 Depth=1
	s_or_b32 exec_lo, exec_lo, s21
	v_lshrrev_b32_e32 v0, 16, v31
	s_mov_b32 s21, exec_lo
	s_delay_alu instid0(VALU_DEP_1) | instskip(NEXT) | instid1(VALU_DEP_1)
	v_dual_mov_b32 v1, 0 :: v_dual_and_b32 v2, 0xff, v0
	v_cmpx_ne_u16_e32 0, v2
	s_cbranch_execz .LBB448_1584
; %bb.1577:                             ;   in Loop: Header=BB448_13 Depth=1
	v_bfrev_b32_e32 v1, 1
	s_mov_b32 s22, exec_lo
	v_cmpx_ne_u16_e32 0x80, v2
	s_cbranch_execz .LBB448_1583
; %bb.1578:                             ;   in Loop: Header=BB448_13 Depth=1
	v_bfe_u32 v2, v31, 16, 7
	v_mov_b32_e32 v1, 0x7f800001
	s_mov_b32 s23, exec_lo
	s_delay_alu instid0(VALU_DEP_2)
	v_cmpx_ne_u32_e32 0x7f, v2
	s_cbranch_execz .LBB448_1582
; %bb.1579:                             ;   in Loop: Header=BB448_13 Depth=1
	v_and_b32_e32 v18, 7, v0
	v_mov_b32_e32 v34, v19
	v_lshrrev_b32_e32 v1, 3, v2
	s_mov_b32 s24, exec_lo
	s_delay_alu instid0(VALU_DEP_3)
	v_mov_b32_e32 v33, v18
	v_cmpx_gt_u32_e32 8, v2
; %bb.1580:                             ;   in Loop: Header=BB448_13 Depth=1
	v_clz_i32_u32_e32 v1, v18
	s_delay_alu instid0(VALU_DEP_1) | instskip(NEXT) | instid1(VALU_DEP_1)
	v_min_u32_e32 v1, 32, v1
	v_subrev_nc_u32_e32 v2, 28, v1
	v_sub_nc_u32_e32 v1, 29, v1
	s_delay_alu instid0(VALU_DEP_2) | instskip(NEXT) | instid1(VALU_DEP_1)
	v_lshlrev_b64 v[2:3], v2, v[18:19]
	v_and_b32_e32 v33, 7, v2
; %bb.1581:                             ;   in Loop: Header=BB448_13 Depth=1
	s_or_b32 exec_lo, exec_lo, s24
	v_lshlrev_b32_e32 v0, 24, v0
	s_delay_alu instid0(VALU_DEP_2) | instskip(SKIP_1) | instid1(VALU_DEP_3)
	v_lshlrev_b32_e32 v2, 20, v33
	v_lshl_add_u32 v1, v1, 23, 0x3c000000
	v_and_b32_e32 v0, 0x80000000, v0
	s_delay_alu instid0(VALU_DEP_1)
	v_or3_b32 v1, v2, v0, v1
.LBB448_1582:                           ;   in Loop: Header=BB448_13 Depth=1
	s_or_b32 exec_lo, exec_lo, s23
.LBB448_1583:                           ;   in Loop: Header=BB448_13 Depth=1
	s_delay_alu instid0(SALU_CYCLE_1)
	s_or_b32 exec_lo, exec_lo, s22
.LBB448_1584:                           ;   in Loop: Header=BB448_13 Depth=1
	s_delay_alu instid0(SALU_CYCLE_1) | instskip(NEXT) | instid1(VALU_DEP_1)
	s_or_b32 exec_lo, exec_lo, s21
	v_mul_f32_e32 v0, v133, v1
	s_delay_alu instid0(VALU_DEP_1) | instskip(NEXT) | instid1(VALU_DEP_1)
	v_and_b32_e32 v1, 0x7f800000, v0
	v_cmp_ne_u32_e64 s1, 0x7f800000, v1
                                        ; implicit-def: $vgpr1
	s_delay_alu instid0(VALU_DEP_1) | instskip(NEXT) | instid1(SALU_CYCLE_1)
	s_and_saveexec_b32 s21, s1
	s_xor_b32 s1, exec_lo, s21
; %bb.1585:                             ;   in Loop: Header=BB448_13 Depth=1
	v_bfe_u32 v1, v0, 16, 1
	s_delay_alu instid0(VALU_DEP_1)
	v_add3_u32 v1, v0, v1, 0x7fff
                                        ; implicit-def: $vgpr0
; %bb.1586:                             ;   in Loop: Header=BB448_13 Depth=1
	s_and_not1_saveexec_b32 s21, s1
; %bb.1587:                             ;   in Loop: Header=BB448_13 Depth=1
	v_and_b32_e32 v1, 0xffff, v0
	v_or_b32_e32 v2, 0x10000, v0
	s_delay_alu instid0(VALU_DEP_2) | instskip(NEXT) | instid1(VALU_DEP_1)
	v_cmp_eq_u32_e64 s1, 0, v1
	v_cndmask_b32_e64 v1, v2, v0, s1
; %bb.1588:                             ;   in Loop: Header=BB448_13 Depth=1
	s_or_b32 exec_lo, exec_lo, s21
	v_mov_b32_e32 v2, 0
	s_mov_b32 s21, exec_lo
	v_cmpx_lt_u32_e32 0xffffff, v31
	s_cbranch_execz .LBB448_1596
; %bb.1589:                             ;   in Loop: Header=BB448_13 Depth=1
	v_lshrrev_b32_e32 v0, 24, v31
	v_bfrev_b32_e32 v2, 1
	s_mov_b32 s22, exec_lo
	s_delay_alu instid0(VALU_DEP_2)
	v_cmpx_ne_u32_e32 0x80, v0
	s_cbranch_execz .LBB448_1595
; %bb.1590:                             ;   in Loop: Header=BB448_13 Depth=1
	v_bfe_u32 v3, v31, 24, 7
	v_mov_b32_e32 v2, 0x7f800001
	s_mov_b32 s23, exec_lo
	s_delay_alu instid0(VALU_DEP_2)
	v_cmpx_ne_u32_e32 0x7f, v3
	s_cbranch_execz .LBB448_1594
; %bb.1591:                             ;   in Loop: Header=BB448_13 Depth=1
	v_and_b32_e32 v18, 7, v0
	v_mov_b32_e32 v34, v19
	v_lshrrev_b32_e32 v2, 3, v3
	s_mov_b32 s24, exec_lo
	s_delay_alu instid0(VALU_DEP_3)
	v_mov_b32_e32 v33, v18
	v_cmpx_gt_u32_e32 8, v3
; %bb.1592:                             ;   in Loop: Header=BB448_13 Depth=1
	v_clz_i32_u32_e32 v2, v18
	s_delay_alu instid0(VALU_DEP_1) | instskip(NEXT) | instid1(VALU_DEP_1)
	v_min_u32_e32 v2, 32, v2
	v_subrev_nc_u32_e32 v3, 28, v2
	v_sub_nc_u32_e32 v2, 29, v2
	s_delay_alu instid0(VALU_DEP_2) | instskip(NEXT) | instid1(VALU_DEP_1)
	v_lshlrev_b64 v[8:9], v3, v[18:19]
	v_and_b32_e32 v33, 7, v8
; %bb.1593:                             ;   in Loop: Header=BB448_13 Depth=1
	s_or_b32 exec_lo, exec_lo, s24
	v_lshlrev_b32_e32 v0, 24, v0
	s_delay_alu instid0(VALU_DEP_2) | instskip(SKIP_1) | instid1(VALU_DEP_3)
	v_lshlrev_b32_e32 v3, 20, v33
	v_lshl_add_u32 v2, v2, 23, 0x3c000000
	v_and_b32_e32 v0, 0x80000000, v0
	s_delay_alu instid0(VALU_DEP_1)
	v_or3_b32 v2, v3, v0, v2
.LBB448_1594:                           ;   in Loop: Header=BB448_13 Depth=1
	s_or_b32 exec_lo, exec_lo, s23
.LBB448_1595:                           ;   in Loop: Header=BB448_13 Depth=1
	s_delay_alu instid0(SALU_CYCLE_1)
	s_or_b32 exec_lo, exec_lo, s22
.LBB448_1596:                           ;   in Loop: Header=BB448_13 Depth=1
	s_delay_alu instid0(SALU_CYCLE_1) | instskip(NEXT) | instid1(VALU_DEP_1)
	s_or_b32 exec_lo, exec_lo, s21
	v_mul_f32_e32 v2, v133, v2
	s_delay_alu instid0(VALU_DEP_1) | instskip(NEXT) | instid1(VALU_DEP_1)
	v_and_b32_e32 v0, 0x7f800000, v2
	v_cmp_ne_u32_e64 s1, 0x7f800000, v0
                                        ; implicit-def: $vgpr0
	s_delay_alu instid0(VALU_DEP_1) | instskip(NEXT) | instid1(SALU_CYCLE_1)
	s_and_saveexec_b32 s21, s1
	s_xor_b32 s1, exec_lo, s21
; %bb.1597:                             ;   in Loop: Header=BB448_13 Depth=1
	v_bfe_u32 v0, v2, 16, 1
	s_delay_alu instid0(VALU_DEP_1)
	v_add3_u32 v0, v2, v0, 0x7fff
                                        ; implicit-def: $vgpr2
; %bb.1598:                             ;   in Loop: Header=BB448_13 Depth=1
	s_and_not1_saveexec_b32 s21, s1
; %bb.1599:                             ;   in Loop: Header=BB448_13 Depth=1
	v_and_b32_e32 v0, 0xffff, v2
	v_or_b32_e32 v3, 0x10000, v2
	s_delay_alu instid0(VALU_DEP_2) | instskip(NEXT) | instid1(VALU_DEP_1)
	v_cmp_eq_u32_e64 s1, 0, v0
	v_cndmask_b32_e64 v0, v3, v2, s1
; %bb.1600:                             ;   in Loop: Header=BB448_13 Depth=1
	s_or_b32 exec_lo, exec_lo, s21
	v_dual_mov_b32 v18, v32 :: v_dual_and_b32 v3, 0xff, v32
	v_mov_b32_e32 v2, 0
	s_mov_b32 s21, exec_lo
	s_delay_alu instid0(VALU_DEP_2)
	v_cmpx_ne_u16_e32 0, v3
	s_cbranch_execz .LBB448_1608
; %bb.1601:                             ;   in Loop: Header=BB448_13 Depth=1
	v_bfrev_b32_e32 v2, 1
	s_mov_b32 s22, exec_lo
	v_cmpx_ne_u16_e32 0x80, v3
	s_cbranch_execz .LBB448_1607
; %bb.1602:                             ;   in Loop: Header=BB448_13 Depth=1
	v_and_b32_e32 v3, 0x7f, v32
	v_mov_b32_e32 v2, 0x7f800001
	s_mov_b32 s23, exec_lo
	s_delay_alu instid0(VALU_DEP_2)
	v_cmpx_ne_u32_e32 0x7f, v3
	s_cbranch_execz .LBB448_1606
; %bb.1603:                             ;   in Loop: Header=BB448_13 Depth=1
	v_dual_mov_b32 v34, v19 :: v_dual_mov_b32 v33, v18
	v_lshrrev_b32_e32 v2, 3, v3
	s_mov_b32 s24, exec_lo
	v_cmpx_gt_u32_e32 8, v3
; %bb.1604:                             ;   in Loop: Header=BB448_13 Depth=1
	v_and_b32_e32 v2, 7, v32
	s_delay_alu instid0(VALU_DEP_1) | instskip(NEXT) | instid1(VALU_DEP_1)
	v_clz_i32_u32_e32 v2, v2
	v_min_u32_e32 v2, 32, v2
	s_delay_alu instid0(VALU_DEP_1) | instskip(SKIP_1) | instid1(VALU_DEP_2)
	v_subrev_nc_u32_e32 v3, 28, v2
	v_sub_nc_u32_e32 v2, 29, v2
	v_lshlrev_b64 v[33:34], v3, v[18:19]
; %bb.1605:                             ;   in Loop: Header=BB448_13 Depth=1
	s_or_b32 exec_lo, exec_lo, s24
	s_delay_alu instid0(VALU_DEP_1) | instskip(SKIP_2) | instid1(VALU_DEP_3)
	v_lshlrev_b32_e32 v3, 20, v33
	v_lshlrev_b32_e32 v8, 24, v18
	v_lshl_add_u32 v2, v2, 23, 0x3c000000
	v_and_b32_e32 v3, 0x700000, v3
	s_delay_alu instid0(VALU_DEP_3) | instskip(NEXT) | instid1(VALU_DEP_1)
	v_and_b32_e32 v8, 0x80000000, v8
	v_or3_b32 v2, v3, v8, v2
.LBB448_1606:                           ;   in Loop: Header=BB448_13 Depth=1
	s_or_b32 exec_lo, exec_lo, s23
.LBB448_1607:                           ;   in Loop: Header=BB448_13 Depth=1
	s_delay_alu instid0(SALU_CYCLE_1)
	s_or_b32 exec_lo, exec_lo, s22
.LBB448_1608:                           ;   in Loop: Header=BB448_13 Depth=1
	s_delay_alu instid0(SALU_CYCLE_1) | instskip(NEXT) | instid1(VALU_DEP_1)
	s_or_b32 exec_lo, exec_lo, s21
	v_mul_f32_e32 v2, v133, v2
	s_delay_alu instid0(VALU_DEP_1) | instskip(NEXT) | instid1(VALU_DEP_1)
	v_and_b32_e32 v3, 0x7f800000, v2
	v_cmp_ne_u32_e64 s1, 0x7f800000, v3
                                        ; implicit-def: $vgpr3
	s_delay_alu instid0(VALU_DEP_1) | instskip(NEXT) | instid1(SALU_CYCLE_1)
	s_and_saveexec_b32 s21, s1
	s_xor_b32 s1, exec_lo, s21
; %bb.1609:                             ;   in Loop: Header=BB448_13 Depth=1
	v_bfe_u32 v3, v2, 16, 1
	s_delay_alu instid0(VALU_DEP_1)
	v_add3_u32 v3, v2, v3, 0x7fff
                                        ; implicit-def: $vgpr2
; %bb.1610:                             ;   in Loop: Header=BB448_13 Depth=1
	s_and_not1_saveexec_b32 s21, s1
; %bb.1611:                             ;   in Loop: Header=BB448_13 Depth=1
	v_and_b32_e32 v3, 0xffff, v2
	v_or_b32_e32 v8, 0x10000, v2
	s_delay_alu instid0(VALU_DEP_2) | instskip(NEXT) | instid1(VALU_DEP_1)
	v_cmp_eq_u32_e64 s1, 0, v3
	v_cndmask_b32_e64 v3, v8, v2, s1
; %bb.1612:                             ;   in Loop: Header=BB448_13 Depth=1
	s_or_b32 exec_lo, exec_lo, s21
	v_lshrrev_b16 v8, 8, v18
	v_mov_b32_e32 v2, 0
	s_mov_b32 s21, exec_lo
	s_delay_alu instid0(VALU_DEP_2)
	v_cmpx_ne_u16_e32 0, v8
	s_cbranch_execz .LBB448_1620
; %bb.1613:                             ;   in Loop: Header=BB448_13 Depth=1
	v_bfrev_b32_e32 v2, 1
	s_mov_b32 s22, exec_lo
	v_cmpx_ne_u16_e32 0x80, v8
	s_cbranch_execz .LBB448_1619
; %bb.1614:                             ;   in Loop: Header=BB448_13 Depth=1
	v_and_b32_e32 v9, 0xffff, v8
	v_mov_b32_e32 v2, 0x7f800001
	s_mov_b32 s23, exec_lo
	s_delay_alu instid0(VALU_DEP_2) | instskip(NEXT) | instid1(VALU_DEP_1)
	v_and_b32_e32 v8, 0x7f, v9
	v_cmpx_ne_u32_e32 0x7f, v8
	s_cbranch_execz .LBB448_1618
; %bb.1615:                             ;   in Loop: Header=BB448_13 Depth=1
	v_dual_mov_b32 v34, v19 :: v_dual_and_b32 v33, 7, v9
	v_lshrrev_b32_e32 v2, 3, v8
	s_mov_b32 s24, exec_lo
	v_cmpx_gt_u32_e32 8, v8
; %bb.1616:                             ;   in Loop: Header=BB448_13 Depth=1
	s_delay_alu instid0(VALU_DEP_3) | instskip(NEXT) | instid1(VALU_DEP_1)
	v_clz_i32_u32_e32 v2, v33
	v_min_u32_e32 v2, 32, v2
	s_delay_alu instid0(VALU_DEP_1) | instskip(SKIP_1) | instid1(VALU_DEP_2)
	v_subrev_nc_u32_e32 v8, 28, v2
	v_sub_nc_u32_e32 v2, 29, v2
	v_lshlrev_b64 v[8:9], v8, v[33:34]
	s_delay_alu instid0(VALU_DEP_1)
	v_and_b32_e32 v33, 7, v8
; %bb.1617:                             ;   in Loop: Header=BB448_13 Depth=1
	s_or_b32 exec_lo, exec_lo, s24
	v_lshlrev_b32_e32 v8, 16, v18
	s_delay_alu instid0(VALU_DEP_2) | instskip(SKIP_1) | instid1(VALU_DEP_3)
	v_lshlrev_b32_e32 v9, 20, v33
	v_lshl_add_u32 v2, v2, 23, 0x3c000000
	v_and_b32_e32 v8, 0x80000000, v8
	s_delay_alu instid0(VALU_DEP_1)
	v_or3_b32 v2, v9, v8, v2
.LBB448_1618:                           ;   in Loop: Header=BB448_13 Depth=1
	s_or_b32 exec_lo, exec_lo, s23
.LBB448_1619:                           ;   in Loop: Header=BB448_13 Depth=1
	s_delay_alu instid0(SALU_CYCLE_1)
	s_or_b32 exec_lo, exec_lo, s22
.LBB448_1620:                           ;   in Loop: Header=BB448_13 Depth=1
	s_delay_alu instid0(SALU_CYCLE_1) | instskip(NEXT) | instid1(VALU_DEP_1)
	s_or_b32 exec_lo, exec_lo, s21
	v_mul_f32_e32 v8, v133, v2
	s_delay_alu instid0(VALU_DEP_1) | instskip(NEXT) | instid1(VALU_DEP_1)
	v_and_b32_e32 v2, 0x7f800000, v8
	v_cmp_ne_u32_e64 s1, 0x7f800000, v2
                                        ; implicit-def: $vgpr2
	s_delay_alu instid0(VALU_DEP_1) | instskip(NEXT) | instid1(SALU_CYCLE_1)
	s_and_saveexec_b32 s21, s1
	s_xor_b32 s1, exec_lo, s21
; %bb.1621:                             ;   in Loop: Header=BB448_13 Depth=1
	v_bfe_u32 v2, v8, 16, 1
	s_delay_alu instid0(VALU_DEP_1)
	v_add3_u32 v2, v8, v2, 0x7fff
                                        ; implicit-def: $vgpr8
; %bb.1622:                             ;   in Loop: Header=BB448_13 Depth=1
	s_and_not1_saveexec_b32 s21, s1
; %bb.1623:                             ;   in Loop: Header=BB448_13 Depth=1
	v_and_b32_e32 v2, 0xffff, v8
	v_or_b32_e32 v9, 0x10000, v8
	s_delay_alu instid0(VALU_DEP_2) | instskip(NEXT) | instid1(VALU_DEP_1)
	v_cmp_eq_u32_e64 s1, 0, v2
	v_cndmask_b32_e64 v2, v9, v8, s1
; %bb.1624:                             ;   in Loop: Header=BB448_13 Depth=1
	s_or_b32 exec_lo, exec_lo, s21
	v_lshrrev_b32_e32 v8, 16, v32
	v_mov_b32_e32 v9, 0
	s_mov_b32 s21, exec_lo
	s_delay_alu instid0(VALU_DEP_2) | instskip(NEXT) | instid1(VALU_DEP_1)
	v_and_b32_e32 v13, 0xff, v8
	v_cmpx_ne_u16_e32 0, v13
	s_cbranch_execz .LBB448_1632
; %bb.1625:                             ;   in Loop: Header=BB448_13 Depth=1
	v_bfrev_b32_e32 v9, 1
	s_mov_b32 s22, exec_lo
	v_cmpx_ne_u16_e32 0x80, v13
	s_cbranch_execz .LBB448_1631
; %bb.1626:                             ;   in Loop: Header=BB448_13 Depth=1
	v_bfe_u32 v13, v32, 16, 7
	v_mov_b32_e32 v9, 0x7f800001
	s_mov_b32 s23, exec_lo
	s_delay_alu instid0(VALU_DEP_2)
	v_cmpx_ne_u32_e32 0x7f, v13
	s_cbranch_execz .LBB448_1630
; %bb.1627:                             ;   in Loop: Header=BB448_13 Depth=1
	v_and_b32_e32 v18, 7, v8
	v_mov_b32_e32 v34, v19
	v_lshrrev_b32_e32 v9, 3, v13
	s_mov_b32 s24, exec_lo
	s_delay_alu instid0(VALU_DEP_3)
	v_mov_b32_e32 v33, v18
	v_cmpx_gt_u32_e32 8, v13
; %bb.1628:                             ;   in Loop: Header=BB448_13 Depth=1
	v_clz_i32_u32_e32 v9, v18
	s_delay_alu instid0(VALU_DEP_1) | instskip(NEXT) | instid1(VALU_DEP_1)
	v_min_u32_e32 v9, 32, v9
	v_subrev_nc_u32_e32 v13, 28, v9
	v_sub_nc_u32_e32 v9, 29, v9
	s_delay_alu instid0(VALU_DEP_2) | instskip(NEXT) | instid1(VALU_DEP_1)
	v_lshlrev_b64 v[13:14], v13, v[18:19]
	v_and_b32_e32 v33, 7, v13
; %bb.1629:                             ;   in Loop: Header=BB448_13 Depth=1
	s_or_b32 exec_lo, exec_lo, s24
	v_lshlrev_b32_e32 v8, 24, v8
	s_delay_alu instid0(VALU_DEP_2) | instskip(SKIP_1) | instid1(VALU_DEP_3)
	v_lshlrev_b32_e32 v13, 20, v33
	v_lshl_add_u32 v9, v9, 23, 0x3c000000
	v_and_b32_e32 v8, 0x80000000, v8
	s_delay_alu instid0(VALU_DEP_1)
	v_or3_b32 v9, v13, v8, v9
.LBB448_1630:                           ;   in Loop: Header=BB448_13 Depth=1
	s_or_b32 exec_lo, exec_lo, s23
.LBB448_1631:                           ;   in Loop: Header=BB448_13 Depth=1
	s_delay_alu instid0(SALU_CYCLE_1)
	s_or_b32 exec_lo, exec_lo, s22
.LBB448_1632:                           ;   in Loop: Header=BB448_13 Depth=1
	s_delay_alu instid0(SALU_CYCLE_1) | instskip(NEXT) | instid1(VALU_DEP_1)
	s_or_b32 exec_lo, exec_lo, s21
	v_mul_f32_e32 v8, v133, v9
                                        ; implicit-def: $vgpr15
	s_delay_alu instid0(VALU_DEP_1) | instskip(NEXT) | instid1(VALU_DEP_1)
	v_and_b32_e32 v9, 0x7f800000, v8
	v_cmp_ne_u32_e64 s1, 0x7f800000, v9
	s_delay_alu instid0(VALU_DEP_1) | instskip(NEXT) | instid1(SALU_CYCLE_1)
	s_and_saveexec_b32 s21, s1
	s_xor_b32 s1, exec_lo, s21
; %bb.1633:                             ;   in Loop: Header=BB448_13 Depth=1
	v_bfe_u32 v9, v8, 16, 1
	s_delay_alu instid0(VALU_DEP_1)
	v_add3_u32 v15, v8, v9, 0x7fff
                                        ; implicit-def: $vgpr8
; %bb.1634:                             ;   in Loop: Header=BB448_13 Depth=1
	s_and_not1_saveexec_b32 s21, s1
; %bb.1635:                             ;   in Loop: Header=BB448_13 Depth=1
	v_and_b32_e32 v9, 0xffff, v8
	v_or_b32_e32 v13, 0x10000, v8
	s_delay_alu instid0(VALU_DEP_2) | instskip(NEXT) | instid1(VALU_DEP_1)
	v_cmp_eq_u32_e64 s1, 0, v9
	v_cndmask_b32_e64 v15, v13, v8, s1
; %bb.1636:                             ;   in Loop: Header=BB448_13 Depth=1
	s_or_b32 exec_lo, exec_lo, s21
	v_mov_b32_e32 v9, 0
	s_mov_b32 s21, exec_lo
	v_cmpx_lt_u64_e64 s[16:17], v[31:32]
	s_cbranch_execz .LBB448_1644
; %bb.1637:                             ;   in Loop: Header=BB448_13 Depth=1
	v_lshrrev_b32_e32 v8, 24, v32
	v_bfrev_b32_e32 v9, 1
	s_mov_b32 s22, exec_lo
	s_delay_alu instid0(VALU_DEP_2)
	v_cmpx_ne_u32_e32 0x80, v8
	s_cbranch_execz .LBB448_1643
; %bb.1638:                             ;   in Loop: Header=BB448_13 Depth=1
	v_bfe_u32 v13, v32, 24, 7
	v_mov_b32_e32 v9, 0x7f800001
	s_mov_b32 s23, exec_lo
	s_delay_alu instid0(VALU_DEP_2)
	v_cmpx_ne_u32_e32 0x7f, v13
	s_cbranch_execz .LBB448_1642
; %bb.1639:                             ;   in Loop: Header=BB448_13 Depth=1
	v_and_b32_e32 v18, 7, v8
	v_mov_b32_e32 v32, v19
	v_lshrrev_b32_e32 v9, 3, v13
	s_mov_b32 s24, exec_lo
	s_delay_alu instid0(VALU_DEP_3)
	v_mov_b32_e32 v31, v18
	v_cmpx_gt_u32_e32 8, v13
; %bb.1640:                             ;   in Loop: Header=BB448_13 Depth=1
	v_clz_i32_u32_e32 v9, v18
	s_delay_alu instid0(VALU_DEP_1) | instskip(NEXT) | instid1(VALU_DEP_1)
	v_min_u32_e32 v9, 32, v9
	v_subrev_nc_u32_e32 v13, 28, v9
	v_sub_nc_u32_e32 v9, 29, v9
	s_delay_alu instid0(VALU_DEP_2) | instskip(NEXT) | instid1(VALU_DEP_1)
	v_lshlrev_b64 v[13:14], v13, v[18:19]
	v_and_b32_e32 v31, 7, v13
; %bb.1641:                             ;   in Loop: Header=BB448_13 Depth=1
	s_or_b32 exec_lo, exec_lo, s24
	v_lshlrev_b32_e32 v8, 24, v8
	s_delay_alu instid0(VALU_DEP_2) | instskip(SKIP_1) | instid1(VALU_DEP_3)
	v_lshlrev_b32_e32 v13, 20, v31
	v_lshl_add_u32 v9, v9, 23, 0x3c000000
	v_and_b32_e32 v8, 0x80000000, v8
	s_delay_alu instid0(VALU_DEP_1)
	v_or3_b32 v9, v13, v8, v9
.LBB448_1642:                           ;   in Loop: Header=BB448_13 Depth=1
	s_or_b32 exec_lo, exec_lo, s23
.LBB448_1643:                           ;   in Loop: Header=BB448_13 Depth=1
	s_delay_alu instid0(SALU_CYCLE_1)
	s_or_b32 exec_lo, exec_lo, s22
.LBB448_1644:                           ;   in Loop: Header=BB448_13 Depth=1
	s_delay_alu instid0(SALU_CYCLE_1) | instskip(NEXT) | instid1(VALU_DEP_1)
	s_or_b32 exec_lo, exec_lo, s21
	v_mul_f32_e32 v8, v133, v9
                                        ; implicit-def: $vgpr14
	s_delay_alu instid0(VALU_DEP_1) | instskip(NEXT) | instid1(VALU_DEP_1)
	v_and_b32_e32 v9, 0x7f800000, v8
	v_cmp_ne_u32_e64 s1, 0x7f800000, v9
	s_delay_alu instid0(VALU_DEP_1) | instskip(NEXT) | instid1(SALU_CYCLE_1)
	s_and_saveexec_b32 s21, s1
	s_xor_b32 s1, exec_lo, s21
; %bb.1645:                             ;   in Loop: Header=BB448_13 Depth=1
	v_bfe_u32 v9, v8, 16, 1
	s_delay_alu instid0(VALU_DEP_1)
	v_add3_u32 v14, v8, v9, 0x7fff
                                        ; implicit-def: $vgpr8
; %bb.1646:                             ;   in Loop: Header=BB448_13 Depth=1
	s_and_not1_saveexec_b32 s21, s1
; %bb.1647:                             ;   in Loop: Header=BB448_13 Depth=1
	v_and_b32_e32 v9, 0xffff, v8
	v_or_b32_e32 v13, 0x10000, v8
	s_delay_alu instid0(VALU_DEP_2) | instskip(NEXT) | instid1(VALU_DEP_1)
	v_cmp_eq_u32_e64 s1, 0, v9
	v_cndmask_b32_e64 v14, v13, v8, s1
; %bb.1648:                             ;   in Loop: Header=BB448_13 Depth=1
	s_or_b32 exec_lo, exec_lo, s21
	flat_load_b64 v[31:32], v[28:29] offset:8
	s_mov_b32 s21, exec_lo
	s_waitcnt vmcnt(0) lgkmcnt(0)
	v_dual_mov_b32 v8, 0 :: v_dual_and_b32 v9, 0xff, v31
	s_delay_alu instid0(VALU_DEP_1)
	v_cmpx_ne_u16_e32 0, v9
	s_cbranch_execz .LBB448_1656
; %bb.1649:                             ;   in Loop: Header=BB448_13 Depth=1
	v_bfrev_b32_e32 v8, 1
	s_mov_b32 s22, exec_lo
	v_cmpx_ne_u16_e32 0x80, v9
	s_cbranch_execz .LBB448_1655
; %bb.1650:                             ;   in Loop: Header=BB448_13 Depth=1
	v_and_b32_e32 v9, 0x7f, v31
	v_mov_b32_e32 v8, 0x7f800001
	s_mov_b32 s23, exec_lo
	s_delay_alu instid0(VALU_DEP_2)
	v_cmpx_ne_u32_e32 0x7f, v9
	s_cbranch_execz .LBB448_1654
; %bb.1651:                             ;   in Loop: Header=BB448_13 Depth=1
	v_lshrrev_b32_e32 v8, 3, v9
	v_dual_mov_b32 v34, v32 :: v_dual_mov_b32 v33, v31
	s_mov_b32 s24, exec_lo
	v_cmpx_gt_u32_e32 8, v9
; %bb.1652:                             ;   in Loop: Header=BB448_13 Depth=1
	v_and_b32_e32 v8, 7, v31
	s_delay_alu instid0(VALU_DEP_1) | instskip(NEXT) | instid1(VALU_DEP_1)
	v_clz_i32_u32_e32 v8, v8
	v_min_u32_e32 v8, 32, v8
	s_delay_alu instid0(VALU_DEP_1) | instskip(SKIP_1) | instid1(VALU_DEP_2)
	v_subrev_nc_u32_e32 v9, 28, v8
	v_sub_nc_u32_e32 v8, 29, v8
	v_lshlrev_b64 v[33:34], v9, v[31:32]
; %bb.1653:                             ;   in Loop: Header=BB448_13 Depth=1
	s_or_b32 exec_lo, exec_lo, s24
	s_delay_alu instid0(VALU_DEP_1) | instskip(SKIP_2) | instid1(VALU_DEP_3)
	v_lshlrev_b32_e32 v9, 20, v33
	v_lshlrev_b32_e32 v13, 24, v31
	v_lshl_add_u32 v8, v8, 23, 0x3c000000
	v_and_b32_e32 v9, 0x700000, v9
	s_delay_alu instid0(VALU_DEP_3) | instskip(NEXT) | instid1(VALU_DEP_1)
	v_and_b32_e32 v13, 0x80000000, v13
	v_or3_b32 v8, v9, v13, v8
.LBB448_1654:                           ;   in Loop: Header=BB448_13 Depth=1
	s_or_b32 exec_lo, exec_lo, s23
.LBB448_1655:                           ;   in Loop: Header=BB448_13 Depth=1
	s_delay_alu instid0(SALU_CYCLE_1)
	s_or_b32 exec_lo, exec_lo, s22
.LBB448_1656:                           ;   in Loop: Header=BB448_13 Depth=1
	s_delay_alu instid0(SALU_CYCLE_1) | instskip(NEXT) | instid1(VALU_DEP_1)
	s_or_b32 exec_lo, exec_lo, s21
	v_mul_f32_e32 v8, v133, v8
                                        ; implicit-def: $vgpr30
	s_delay_alu instid0(VALU_DEP_1) | instskip(NEXT) | instid1(VALU_DEP_1)
	v_and_b32_e32 v9, 0x7f800000, v8
	v_cmp_ne_u32_e64 s1, 0x7f800000, v9
	s_delay_alu instid0(VALU_DEP_1) | instskip(NEXT) | instid1(SALU_CYCLE_1)
	s_and_saveexec_b32 s21, s1
	s_xor_b32 s1, exec_lo, s21
; %bb.1657:                             ;   in Loop: Header=BB448_13 Depth=1
	v_bfe_u32 v9, v8, 16, 1
	s_delay_alu instid0(VALU_DEP_1)
	v_add3_u32 v30, v8, v9, 0x7fff
                                        ; implicit-def: $vgpr8
; %bb.1658:                             ;   in Loop: Header=BB448_13 Depth=1
	s_and_not1_saveexec_b32 s21, s1
; %bb.1659:                             ;   in Loop: Header=BB448_13 Depth=1
	v_and_b32_e32 v9, 0xffff, v8
	v_or_b32_e32 v13, 0x10000, v8
	s_delay_alu instid0(VALU_DEP_2) | instskip(NEXT) | instid1(VALU_DEP_1)
	v_cmp_eq_u32_e64 s1, 0, v9
	v_cndmask_b32_e64 v30, v13, v8, s1
; %bb.1660:                             ;   in Loop: Header=BB448_13 Depth=1
	s_or_b32 exec_lo, exec_lo, s21
	v_lshrrev_b16 v9, 8, v31
	v_mov_b32_e32 v8, 0
	s_mov_b32 s21, exec_lo
	s_delay_alu instid0(VALU_DEP_2)
	v_cmpx_ne_u16_e32 0, v9
	s_cbranch_execz .LBB448_1668
; %bb.1661:                             ;   in Loop: Header=BB448_13 Depth=1
	v_bfrev_b32_e32 v8, 1
	s_mov_b32 s22, exec_lo
	v_cmpx_ne_u16_e32 0x80, v9
	s_cbranch_execz .LBB448_1667
; %bb.1662:                             ;   in Loop: Header=BB448_13 Depth=1
	v_and_b32_e32 v13, 0xffff, v9
	v_mov_b32_e32 v8, 0x7f800001
	s_mov_b32 s23, exec_lo
	s_delay_alu instid0(VALU_DEP_2) | instskip(NEXT) | instid1(VALU_DEP_1)
	v_and_b32_e32 v9, 0x7f, v13
	v_cmpx_ne_u32_e32 0x7f, v9
	s_cbranch_execz .LBB448_1666
; %bb.1663:                             ;   in Loop: Header=BB448_13 Depth=1
	v_and_b32_e32 v18, 7, v13
	v_mov_b32_e32 v34, v19
	v_lshrrev_b32_e32 v8, 3, v9
	s_mov_b32 s24, exec_lo
	s_delay_alu instid0(VALU_DEP_3)
	v_mov_b32_e32 v33, v18
	v_cmpx_gt_u32_e32 8, v9
; %bb.1664:                             ;   in Loop: Header=BB448_13 Depth=1
	v_clz_i32_u32_e32 v8, v18
	s_delay_alu instid0(VALU_DEP_1) | instskip(NEXT) | instid1(VALU_DEP_1)
	v_min_u32_e32 v8, 32, v8
	v_subrev_nc_u32_e32 v9, 28, v8
	v_sub_nc_u32_e32 v8, 29, v8
	s_delay_alu instid0(VALU_DEP_2) | instskip(NEXT) | instid1(VALU_DEP_1)
	v_lshlrev_b64 v[24:25], v9, v[18:19]
	v_and_b32_e32 v33, 7, v24
; %bb.1665:                             ;   in Loop: Header=BB448_13 Depth=1
	s_or_b32 exec_lo, exec_lo, s24
	v_lshlrev_b32_e32 v9, 16, v31
	s_delay_alu instid0(VALU_DEP_2) | instskip(SKIP_1) | instid1(VALU_DEP_3)
	v_lshlrev_b32_e32 v13, 20, v33
	v_lshl_add_u32 v8, v8, 23, 0x3c000000
	v_and_b32_e32 v9, 0x80000000, v9
	s_delay_alu instid0(VALU_DEP_1)
	v_or3_b32 v8, v13, v9, v8
.LBB448_1666:                           ;   in Loop: Header=BB448_13 Depth=1
	s_or_b32 exec_lo, exec_lo, s23
.LBB448_1667:                           ;   in Loop: Header=BB448_13 Depth=1
	s_delay_alu instid0(SALU_CYCLE_1)
	s_or_b32 exec_lo, exec_lo, s22
.LBB448_1668:                           ;   in Loop: Header=BB448_13 Depth=1
	s_delay_alu instid0(SALU_CYCLE_1) | instskip(NEXT) | instid1(VALU_DEP_1)
	s_or_b32 exec_lo, exec_lo, s21
	v_mul_f32_e32 v8, v133, v8
                                        ; implicit-def: $vgpr54
	s_delay_alu instid0(VALU_DEP_1) | instskip(NEXT) | instid1(VALU_DEP_1)
	v_and_b32_e32 v9, 0x7f800000, v8
	v_cmp_ne_u32_e64 s1, 0x7f800000, v9
	s_delay_alu instid0(VALU_DEP_1) | instskip(NEXT) | instid1(SALU_CYCLE_1)
	s_and_saveexec_b32 s21, s1
	s_xor_b32 s1, exec_lo, s21
; %bb.1669:                             ;   in Loop: Header=BB448_13 Depth=1
	v_bfe_u32 v9, v8, 16, 1
	s_delay_alu instid0(VALU_DEP_1)
	v_add3_u32 v54, v8, v9, 0x7fff
                                        ; implicit-def: $vgpr8
; %bb.1670:                             ;   in Loop: Header=BB448_13 Depth=1
	s_and_not1_saveexec_b32 s21, s1
; %bb.1671:                             ;   in Loop: Header=BB448_13 Depth=1
	v_and_b32_e32 v9, 0xffff, v8
	v_or_b32_e32 v13, 0x10000, v8
	s_delay_alu instid0(VALU_DEP_2) | instskip(NEXT) | instid1(VALU_DEP_1)
	v_cmp_eq_u32_e64 s1, 0, v9
	v_cndmask_b32_e64 v54, v13, v8, s1
; %bb.1672:                             ;   in Loop: Header=BB448_13 Depth=1
	s_or_b32 exec_lo, exec_lo, s21
	v_lshrrev_b32_e32 v8, 16, v31
	v_mov_b32_e32 v9, 0
	s_mov_b32 s21, exec_lo
	s_delay_alu instid0(VALU_DEP_2) | instskip(NEXT) | instid1(VALU_DEP_1)
	v_and_b32_e32 v13, 0xff, v8
	v_cmpx_ne_u16_e32 0, v13
	s_cbranch_execz .LBB448_1680
; %bb.1673:                             ;   in Loop: Header=BB448_13 Depth=1
	v_bfrev_b32_e32 v9, 1
	s_mov_b32 s22, exec_lo
	v_cmpx_ne_u16_e32 0x80, v13
	s_cbranch_execz .LBB448_1679
; %bb.1674:                             ;   in Loop: Header=BB448_13 Depth=1
	v_bfe_u32 v13, v31, 16, 7
	v_mov_b32_e32 v9, 0x7f800001
	s_mov_b32 s23, exec_lo
	s_delay_alu instid0(VALU_DEP_2)
	v_cmpx_ne_u32_e32 0x7f, v13
	s_cbranch_execz .LBB448_1678
; %bb.1675:                             ;   in Loop: Header=BB448_13 Depth=1
	v_and_b32_e32 v18, 7, v8
	v_mov_b32_e32 v34, v19
	v_lshrrev_b32_e32 v9, 3, v13
	s_mov_b32 s24, exec_lo
	s_delay_alu instid0(VALU_DEP_3)
	v_mov_b32_e32 v33, v18
	v_cmpx_gt_u32_e32 8, v13
; %bb.1676:                             ;   in Loop: Header=BB448_13 Depth=1
	v_clz_i32_u32_e32 v9, v18
	s_delay_alu instid0(VALU_DEP_1) | instskip(NEXT) | instid1(VALU_DEP_1)
	v_min_u32_e32 v9, 32, v9
	v_subrev_nc_u32_e32 v13, 28, v9
	v_sub_nc_u32_e32 v9, 29, v9
	s_delay_alu instid0(VALU_DEP_2) | instskip(NEXT) | instid1(VALU_DEP_1)
	v_lshlrev_b64 v[24:25], v13, v[18:19]
	v_and_b32_e32 v33, 7, v24
; %bb.1677:                             ;   in Loop: Header=BB448_13 Depth=1
	s_or_b32 exec_lo, exec_lo, s24
	v_lshlrev_b32_e32 v8, 24, v8
	s_delay_alu instid0(VALU_DEP_2) | instskip(SKIP_1) | instid1(VALU_DEP_3)
	v_lshlrev_b32_e32 v13, 20, v33
	v_lshl_add_u32 v9, v9, 23, 0x3c000000
	v_and_b32_e32 v8, 0x80000000, v8
	s_delay_alu instid0(VALU_DEP_1)
	v_or3_b32 v9, v13, v8, v9
.LBB448_1678:                           ;   in Loop: Header=BB448_13 Depth=1
	s_or_b32 exec_lo, exec_lo, s23
.LBB448_1679:                           ;   in Loop: Header=BB448_13 Depth=1
	s_delay_alu instid0(SALU_CYCLE_1)
	s_or_b32 exec_lo, exec_lo, s22
.LBB448_1680:                           ;   in Loop: Header=BB448_13 Depth=1
	s_delay_alu instid0(SALU_CYCLE_1) | instskip(NEXT) | instid1(VALU_DEP_1)
	s_or_b32 exec_lo, exec_lo, s21
	v_mul_f32_e32 v8, v133, v9
                                        ; implicit-def: $vgpr55
	s_delay_alu instid0(VALU_DEP_1) | instskip(NEXT) | instid1(VALU_DEP_1)
	v_and_b32_e32 v9, 0x7f800000, v8
	v_cmp_ne_u32_e64 s1, 0x7f800000, v9
	s_delay_alu instid0(VALU_DEP_1) | instskip(NEXT) | instid1(SALU_CYCLE_1)
	s_and_saveexec_b32 s21, s1
	s_xor_b32 s1, exec_lo, s21
; %bb.1681:                             ;   in Loop: Header=BB448_13 Depth=1
	v_bfe_u32 v9, v8, 16, 1
	s_delay_alu instid0(VALU_DEP_1)
	v_add3_u32 v55, v8, v9, 0x7fff
                                        ; implicit-def: $vgpr8
; %bb.1682:                             ;   in Loop: Header=BB448_13 Depth=1
	s_and_not1_saveexec_b32 s21, s1
; %bb.1683:                             ;   in Loop: Header=BB448_13 Depth=1
	v_and_b32_e32 v9, 0xffff, v8
	v_or_b32_e32 v13, 0x10000, v8
	s_delay_alu instid0(VALU_DEP_2) | instskip(NEXT) | instid1(VALU_DEP_1)
	v_cmp_eq_u32_e64 s1, 0, v9
	v_cndmask_b32_e64 v55, v13, v8, s1
; %bb.1684:                             ;   in Loop: Header=BB448_13 Depth=1
	s_or_b32 exec_lo, exec_lo, s21
	v_mov_b32_e32 v9, 0
	s_mov_b32 s21, exec_lo
	v_cmpx_lt_u32_e32 0xffffff, v31
	s_cbranch_execz .LBB448_1692
; %bb.1685:                             ;   in Loop: Header=BB448_13 Depth=1
	v_lshrrev_b32_e32 v8, 24, v31
	v_bfrev_b32_e32 v9, 1
	s_mov_b32 s22, exec_lo
	s_delay_alu instid0(VALU_DEP_2)
	v_cmpx_ne_u32_e32 0x80, v8
	s_cbranch_execz .LBB448_1691
; %bb.1686:                             ;   in Loop: Header=BB448_13 Depth=1
	v_bfe_u32 v13, v31, 24, 7
	v_mov_b32_e32 v9, 0x7f800001
	s_mov_b32 s23, exec_lo
	s_delay_alu instid0(VALU_DEP_2)
	v_cmpx_ne_u32_e32 0x7f, v13
	s_cbranch_execz .LBB448_1690
; %bb.1687:                             ;   in Loop: Header=BB448_13 Depth=1
	v_and_b32_e32 v18, 7, v8
	v_mov_b32_e32 v34, v19
	v_lshrrev_b32_e32 v9, 3, v13
	s_mov_b32 s24, exec_lo
	s_delay_alu instid0(VALU_DEP_3)
	v_mov_b32_e32 v33, v18
	v_cmpx_gt_u32_e32 8, v13
; %bb.1688:                             ;   in Loop: Header=BB448_13 Depth=1
	v_clz_i32_u32_e32 v9, v18
	s_delay_alu instid0(VALU_DEP_1) | instskip(NEXT) | instid1(VALU_DEP_1)
	v_min_u32_e32 v9, 32, v9
	v_subrev_nc_u32_e32 v13, 28, v9
	v_sub_nc_u32_e32 v9, 29, v9
	s_delay_alu instid0(VALU_DEP_2) | instskip(NEXT) | instid1(VALU_DEP_1)
	v_lshlrev_b64 v[24:25], v13, v[18:19]
	v_and_b32_e32 v33, 7, v24
; %bb.1689:                             ;   in Loop: Header=BB448_13 Depth=1
	s_or_b32 exec_lo, exec_lo, s24
	v_lshlrev_b32_e32 v8, 24, v8
	s_delay_alu instid0(VALU_DEP_2) | instskip(SKIP_1) | instid1(VALU_DEP_3)
	v_lshlrev_b32_e32 v13, 20, v33
	v_lshl_add_u32 v9, v9, 23, 0x3c000000
	v_and_b32_e32 v8, 0x80000000, v8
	s_delay_alu instid0(VALU_DEP_1)
	v_or3_b32 v9, v13, v8, v9
.LBB448_1690:                           ;   in Loop: Header=BB448_13 Depth=1
	s_or_b32 exec_lo, exec_lo, s23
.LBB448_1691:                           ;   in Loop: Header=BB448_13 Depth=1
	s_delay_alu instid0(SALU_CYCLE_1)
	s_or_b32 exec_lo, exec_lo, s22
.LBB448_1692:                           ;   in Loop: Header=BB448_13 Depth=1
	s_delay_alu instid0(SALU_CYCLE_1) | instskip(NEXT) | instid1(VALU_DEP_1)
	s_or_b32 exec_lo, exec_lo, s21
	v_mul_f32_e32 v8, v133, v9
                                        ; implicit-def: $vgpr64
	s_delay_alu instid0(VALU_DEP_1) | instskip(NEXT) | instid1(VALU_DEP_1)
	v_and_b32_e32 v9, 0x7f800000, v8
	v_cmp_ne_u32_e64 s1, 0x7f800000, v9
	s_delay_alu instid0(VALU_DEP_1) | instskip(NEXT) | instid1(SALU_CYCLE_1)
	s_and_saveexec_b32 s21, s1
	s_xor_b32 s1, exec_lo, s21
; %bb.1693:                             ;   in Loop: Header=BB448_13 Depth=1
	v_bfe_u32 v9, v8, 16, 1
	s_delay_alu instid0(VALU_DEP_1)
	v_add3_u32 v64, v8, v9, 0x7fff
                                        ; implicit-def: $vgpr8
; %bb.1694:                             ;   in Loop: Header=BB448_13 Depth=1
	s_and_not1_saveexec_b32 s21, s1
; %bb.1695:                             ;   in Loop: Header=BB448_13 Depth=1
	v_and_b32_e32 v9, 0xffff, v8
	v_or_b32_e32 v13, 0x10000, v8
	s_delay_alu instid0(VALU_DEP_2) | instskip(NEXT) | instid1(VALU_DEP_1)
	v_cmp_eq_u32_e64 s1, 0, v9
	v_cndmask_b32_e64 v64, v13, v8, s1
; %bb.1696:                             ;   in Loop: Header=BB448_13 Depth=1
	s_or_b32 exec_lo, exec_lo, s21
	v_dual_mov_b32 v18, v32 :: v_dual_and_b32 v9, 0xff, v32
	v_mov_b32_e32 v8, 0
	s_mov_b32 s21, exec_lo
	s_delay_alu instid0(VALU_DEP_2)
	v_cmpx_ne_u16_e32 0, v9
	s_cbranch_execz .LBB448_1704
; %bb.1697:                             ;   in Loop: Header=BB448_13 Depth=1
	v_bfrev_b32_e32 v8, 1
	s_mov_b32 s22, exec_lo
	v_cmpx_ne_u16_e32 0x80, v9
	s_cbranch_execz .LBB448_1703
; %bb.1698:                             ;   in Loop: Header=BB448_13 Depth=1
	v_and_b32_e32 v9, 0x7f, v32
	v_mov_b32_e32 v8, 0x7f800001
	s_mov_b32 s23, exec_lo
	s_delay_alu instid0(VALU_DEP_2)
	v_cmpx_ne_u32_e32 0x7f, v9
	s_cbranch_execz .LBB448_1702
; %bb.1699:                             ;   in Loop: Header=BB448_13 Depth=1
	v_dual_mov_b32 v34, v19 :: v_dual_mov_b32 v33, v18
	v_lshrrev_b32_e32 v8, 3, v9
	s_mov_b32 s24, exec_lo
	v_cmpx_gt_u32_e32 8, v9
; %bb.1700:                             ;   in Loop: Header=BB448_13 Depth=1
	v_and_b32_e32 v8, 7, v32
	s_delay_alu instid0(VALU_DEP_1) | instskip(NEXT) | instid1(VALU_DEP_1)
	v_clz_i32_u32_e32 v8, v8
	v_min_u32_e32 v8, 32, v8
	s_delay_alu instid0(VALU_DEP_1) | instskip(SKIP_1) | instid1(VALU_DEP_2)
	v_subrev_nc_u32_e32 v9, 28, v8
	v_sub_nc_u32_e32 v8, 29, v8
	v_lshlrev_b64 v[33:34], v9, v[18:19]
; %bb.1701:                             ;   in Loop: Header=BB448_13 Depth=1
	s_or_b32 exec_lo, exec_lo, s24
	s_delay_alu instid0(VALU_DEP_1) | instskip(SKIP_2) | instid1(VALU_DEP_3)
	v_lshlrev_b32_e32 v9, 20, v33
	v_lshlrev_b32_e32 v13, 24, v18
	v_lshl_add_u32 v8, v8, 23, 0x3c000000
	v_and_b32_e32 v9, 0x700000, v9
	s_delay_alu instid0(VALU_DEP_3) | instskip(NEXT) | instid1(VALU_DEP_1)
	v_and_b32_e32 v13, 0x80000000, v13
	v_or3_b32 v8, v9, v13, v8
.LBB448_1702:                           ;   in Loop: Header=BB448_13 Depth=1
	s_or_b32 exec_lo, exec_lo, s23
.LBB448_1703:                           ;   in Loop: Header=BB448_13 Depth=1
	s_delay_alu instid0(SALU_CYCLE_1)
	s_or_b32 exec_lo, exec_lo, s22
.LBB448_1704:                           ;   in Loop: Header=BB448_13 Depth=1
	s_delay_alu instid0(SALU_CYCLE_1) | instskip(NEXT) | instid1(VALU_DEP_1)
	s_or_b32 exec_lo, exec_lo, s21
	v_mul_f32_e32 v8, v133, v8
                                        ; implicit-def: $vgpr65
	s_delay_alu instid0(VALU_DEP_1) | instskip(NEXT) | instid1(VALU_DEP_1)
	v_and_b32_e32 v9, 0x7f800000, v8
	v_cmp_ne_u32_e64 s1, 0x7f800000, v9
	s_delay_alu instid0(VALU_DEP_1) | instskip(NEXT) | instid1(SALU_CYCLE_1)
	s_and_saveexec_b32 s21, s1
	s_xor_b32 s1, exec_lo, s21
; %bb.1705:                             ;   in Loop: Header=BB448_13 Depth=1
	v_bfe_u32 v9, v8, 16, 1
	s_delay_alu instid0(VALU_DEP_1)
	v_add3_u32 v65, v8, v9, 0x7fff
                                        ; implicit-def: $vgpr8
; %bb.1706:                             ;   in Loop: Header=BB448_13 Depth=1
	s_and_not1_saveexec_b32 s21, s1
; %bb.1707:                             ;   in Loop: Header=BB448_13 Depth=1
	v_and_b32_e32 v9, 0xffff, v8
	v_or_b32_e32 v13, 0x10000, v8
	s_delay_alu instid0(VALU_DEP_2) | instskip(NEXT) | instid1(VALU_DEP_1)
	v_cmp_eq_u32_e64 s1, 0, v9
	v_cndmask_b32_e64 v65, v13, v8, s1
; %bb.1708:                             ;   in Loop: Header=BB448_13 Depth=1
	s_or_b32 exec_lo, exec_lo, s21
	v_lshrrev_b16 v9, 8, v18
	v_mov_b32_e32 v8, 0
	s_mov_b32 s21, exec_lo
	s_delay_alu instid0(VALU_DEP_2)
	v_cmpx_ne_u16_e32 0, v9
	s_cbranch_execz .LBB448_1716
; %bb.1709:                             ;   in Loop: Header=BB448_13 Depth=1
	v_bfrev_b32_e32 v8, 1
	s_mov_b32 s22, exec_lo
	v_cmpx_ne_u16_e32 0x80, v9
	s_cbranch_execz .LBB448_1715
; %bb.1710:                             ;   in Loop: Header=BB448_13 Depth=1
	v_and_b32_e32 v13, 0xffff, v9
	v_mov_b32_e32 v8, 0x7f800001
	s_mov_b32 s23, exec_lo
	s_delay_alu instid0(VALU_DEP_2) | instskip(NEXT) | instid1(VALU_DEP_1)
	v_and_b32_e32 v9, 0x7f, v13
	v_cmpx_ne_u32_e32 0x7f, v9
	s_cbranch_execz .LBB448_1714
; %bb.1711:                             ;   in Loop: Header=BB448_13 Depth=1
	v_dual_mov_b32 v34, v19 :: v_dual_and_b32 v33, 7, v13
	v_lshrrev_b32_e32 v8, 3, v9
	s_mov_b32 s24, exec_lo
	v_cmpx_gt_u32_e32 8, v9
; %bb.1712:                             ;   in Loop: Header=BB448_13 Depth=1
	s_delay_alu instid0(VALU_DEP_3) | instskip(NEXT) | instid1(VALU_DEP_1)
	v_clz_i32_u32_e32 v8, v33
	v_min_u32_e32 v8, 32, v8
	s_delay_alu instid0(VALU_DEP_1) | instskip(SKIP_1) | instid1(VALU_DEP_2)
	v_subrev_nc_u32_e32 v9, 28, v8
	v_sub_nc_u32_e32 v8, 29, v8
	v_lshlrev_b64 v[24:25], v9, v[33:34]
	s_delay_alu instid0(VALU_DEP_1)
	v_and_b32_e32 v33, 7, v24
; %bb.1713:                             ;   in Loop: Header=BB448_13 Depth=1
	s_or_b32 exec_lo, exec_lo, s24
	v_lshlrev_b32_e32 v9, 16, v18
	s_delay_alu instid0(VALU_DEP_2) | instskip(SKIP_1) | instid1(VALU_DEP_3)
	v_lshlrev_b32_e32 v13, 20, v33
	v_lshl_add_u32 v8, v8, 23, 0x3c000000
	v_and_b32_e32 v9, 0x80000000, v9
	s_delay_alu instid0(VALU_DEP_1)
	v_or3_b32 v8, v13, v9, v8
.LBB448_1714:                           ;   in Loop: Header=BB448_13 Depth=1
	s_or_b32 exec_lo, exec_lo, s23
.LBB448_1715:                           ;   in Loop: Header=BB448_13 Depth=1
	s_delay_alu instid0(SALU_CYCLE_1)
	s_or_b32 exec_lo, exec_lo, s22
.LBB448_1716:                           ;   in Loop: Header=BB448_13 Depth=1
	s_delay_alu instid0(SALU_CYCLE_1) | instskip(NEXT) | instid1(VALU_DEP_1)
	s_or_b32 exec_lo, exec_lo, s21
	v_mul_f32_e32 v8, v133, v8
                                        ; implicit-def: $vgpr66
	s_delay_alu instid0(VALU_DEP_1) | instskip(NEXT) | instid1(VALU_DEP_1)
	v_and_b32_e32 v9, 0x7f800000, v8
	v_cmp_ne_u32_e64 s1, 0x7f800000, v9
	s_delay_alu instid0(VALU_DEP_1) | instskip(NEXT) | instid1(SALU_CYCLE_1)
	s_and_saveexec_b32 s21, s1
	s_xor_b32 s1, exec_lo, s21
; %bb.1717:                             ;   in Loop: Header=BB448_13 Depth=1
	v_bfe_u32 v9, v8, 16, 1
	s_delay_alu instid0(VALU_DEP_1)
	v_add3_u32 v66, v8, v9, 0x7fff
                                        ; implicit-def: $vgpr8
; %bb.1718:                             ;   in Loop: Header=BB448_13 Depth=1
	s_and_not1_saveexec_b32 s21, s1
; %bb.1719:                             ;   in Loop: Header=BB448_13 Depth=1
	v_and_b32_e32 v9, 0xffff, v8
	v_or_b32_e32 v13, 0x10000, v8
	s_delay_alu instid0(VALU_DEP_2) | instskip(NEXT) | instid1(VALU_DEP_1)
	v_cmp_eq_u32_e64 s1, 0, v9
	v_cndmask_b32_e64 v66, v13, v8, s1
; %bb.1720:                             ;   in Loop: Header=BB448_13 Depth=1
	s_or_b32 exec_lo, exec_lo, s21
	v_lshrrev_b32_e32 v8, 16, v32
	v_mov_b32_e32 v9, 0
	s_mov_b32 s21, exec_lo
	s_delay_alu instid0(VALU_DEP_2) | instskip(NEXT) | instid1(VALU_DEP_1)
	v_and_b32_e32 v13, 0xff, v8
	v_cmpx_ne_u16_e32 0, v13
	s_cbranch_execz .LBB448_1728
; %bb.1721:                             ;   in Loop: Header=BB448_13 Depth=1
	v_bfrev_b32_e32 v9, 1
	s_mov_b32 s22, exec_lo
	v_cmpx_ne_u16_e32 0x80, v13
	s_cbranch_execz .LBB448_1727
; %bb.1722:                             ;   in Loop: Header=BB448_13 Depth=1
	v_bfe_u32 v13, v32, 16, 7
	v_mov_b32_e32 v9, 0x7f800001
	s_mov_b32 s23, exec_lo
	s_delay_alu instid0(VALU_DEP_2)
	v_cmpx_ne_u32_e32 0x7f, v13
	s_cbranch_execz .LBB448_1726
; %bb.1723:                             ;   in Loop: Header=BB448_13 Depth=1
	v_and_b32_e32 v18, 7, v8
	v_mov_b32_e32 v34, v19
	v_lshrrev_b32_e32 v9, 3, v13
	s_mov_b32 s24, exec_lo
	s_delay_alu instid0(VALU_DEP_3)
	v_mov_b32_e32 v33, v18
	v_cmpx_gt_u32_e32 8, v13
; %bb.1724:                             ;   in Loop: Header=BB448_13 Depth=1
	v_clz_i32_u32_e32 v9, v18
	s_delay_alu instid0(VALU_DEP_1) | instskip(NEXT) | instid1(VALU_DEP_1)
	v_min_u32_e32 v9, 32, v9
	v_subrev_nc_u32_e32 v13, 28, v9
	v_sub_nc_u32_e32 v9, 29, v9
	s_delay_alu instid0(VALU_DEP_2) | instskip(NEXT) | instid1(VALU_DEP_1)
	v_lshlrev_b64 v[24:25], v13, v[18:19]
	v_and_b32_e32 v33, 7, v24
; %bb.1725:                             ;   in Loop: Header=BB448_13 Depth=1
	s_or_b32 exec_lo, exec_lo, s24
	v_lshlrev_b32_e32 v8, 24, v8
	s_delay_alu instid0(VALU_DEP_2) | instskip(SKIP_1) | instid1(VALU_DEP_3)
	v_lshlrev_b32_e32 v13, 20, v33
	v_lshl_add_u32 v9, v9, 23, 0x3c000000
	v_and_b32_e32 v8, 0x80000000, v8
	s_delay_alu instid0(VALU_DEP_1)
	v_or3_b32 v9, v13, v8, v9
.LBB448_1726:                           ;   in Loop: Header=BB448_13 Depth=1
	s_or_b32 exec_lo, exec_lo, s23
.LBB448_1727:                           ;   in Loop: Header=BB448_13 Depth=1
	s_delay_alu instid0(SALU_CYCLE_1)
	s_or_b32 exec_lo, exec_lo, s22
.LBB448_1728:                           ;   in Loop: Header=BB448_13 Depth=1
	s_delay_alu instid0(SALU_CYCLE_1) | instskip(NEXT) | instid1(VALU_DEP_1)
	s_or_b32 exec_lo, exec_lo, s21
	v_mul_f32_e32 v8, v133, v9
                                        ; implicit-def: $vgpr67
	s_delay_alu instid0(VALU_DEP_1) | instskip(NEXT) | instid1(VALU_DEP_1)
	v_and_b32_e32 v9, 0x7f800000, v8
	v_cmp_ne_u32_e64 s1, 0x7f800000, v9
	s_delay_alu instid0(VALU_DEP_1) | instskip(NEXT) | instid1(SALU_CYCLE_1)
	s_and_saveexec_b32 s21, s1
	s_xor_b32 s1, exec_lo, s21
; %bb.1729:                             ;   in Loop: Header=BB448_13 Depth=1
	v_bfe_u32 v9, v8, 16, 1
	s_delay_alu instid0(VALU_DEP_1)
	v_add3_u32 v67, v8, v9, 0x7fff
                                        ; implicit-def: $vgpr8
; %bb.1730:                             ;   in Loop: Header=BB448_13 Depth=1
	s_and_not1_saveexec_b32 s21, s1
; %bb.1731:                             ;   in Loop: Header=BB448_13 Depth=1
	v_and_b32_e32 v9, 0xffff, v8
	v_or_b32_e32 v13, 0x10000, v8
	s_delay_alu instid0(VALU_DEP_2) | instskip(NEXT) | instid1(VALU_DEP_1)
	v_cmp_eq_u32_e64 s1, 0, v9
	v_cndmask_b32_e64 v67, v13, v8, s1
; %bb.1732:                             ;   in Loop: Header=BB448_13 Depth=1
	s_or_b32 exec_lo, exec_lo, s21
	v_mov_b32_e32 v9, 0
	s_mov_b32 s21, exec_lo
	v_cmpx_lt_u64_e64 s[16:17], v[31:32]
	s_cbranch_execz .LBB448_1740
; %bb.1733:                             ;   in Loop: Header=BB448_13 Depth=1
	v_lshrrev_b32_e32 v8, 24, v32
	v_bfrev_b32_e32 v9, 1
	s_mov_b32 s22, exec_lo
	s_delay_alu instid0(VALU_DEP_2)
	v_cmpx_ne_u32_e32 0x80, v8
	s_cbranch_execz .LBB448_1739
; %bb.1734:                             ;   in Loop: Header=BB448_13 Depth=1
	v_bfe_u32 v13, v32, 24, 7
	v_mov_b32_e32 v9, 0x7f800001
	s_mov_b32 s23, exec_lo
	s_delay_alu instid0(VALU_DEP_2)
	v_cmpx_ne_u32_e32 0x7f, v13
	s_cbranch_execz .LBB448_1738
; %bb.1735:                             ;   in Loop: Header=BB448_13 Depth=1
	v_and_b32_e32 v18, 7, v8
	v_mov_b32_e32 v32, v19
	v_lshrrev_b32_e32 v9, 3, v13
	s_mov_b32 s24, exec_lo
	s_delay_alu instid0(VALU_DEP_3)
	v_mov_b32_e32 v31, v18
	v_cmpx_gt_u32_e32 8, v13
; %bb.1736:                             ;   in Loop: Header=BB448_13 Depth=1
	v_clz_i32_u32_e32 v9, v18
	s_delay_alu instid0(VALU_DEP_1) | instskip(NEXT) | instid1(VALU_DEP_1)
	v_min_u32_e32 v9, 32, v9
	v_subrev_nc_u32_e32 v13, 28, v9
	v_sub_nc_u32_e32 v9, 29, v9
	s_delay_alu instid0(VALU_DEP_2) | instskip(NEXT) | instid1(VALU_DEP_1)
	v_lshlrev_b64 v[24:25], v13, v[18:19]
	v_and_b32_e32 v31, 7, v24
; %bb.1737:                             ;   in Loop: Header=BB448_13 Depth=1
	s_or_b32 exec_lo, exec_lo, s24
	v_lshlrev_b32_e32 v8, 24, v8
	s_delay_alu instid0(VALU_DEP_2) | instskip(SKIP_1) | instid1(VALU_DEP_3)
	v_lshlrev_b32_e32 v13, 20, v31
	v_lshl_add_u32 v9, v9, 23, 0x3c000000
	v_and_b32_e32 v8, 0x80000000, v8
	s_delay_alu instid0(VALU_DEP_1)
	v_or3_b32 v9, v13, v8, v9
.LBB448_1738:                           ;   in Loop: Header=BB448_13 Depth=1
	s_or_b32 exec_lo, exec_lo, s23
.LBB448_1739:                           ;   in Loop: Header=BB448_13 Depth=1
	s_delay_alu instid0(SALU_CYCLE_1)
	s_or_b32 exec_lo, exec_lo, s22
.LBB448_1740:                           ;   in Loop: Header=BB448_13 Depth=1
	s_delay_alu instid0(SALU_CYCLE_1) | instskip(NEXT) | instid1(VALU_DEP_1)
	s_or_b32 exec_lo, exec_lo, s21
	v_mul_f32_e32 v8, v133, v9
                                        ; implicit-def: $vgpr68
	s_delay_alu instid0(VALU_DEP_1) | instskip(NEXT) | instid1(VALU_DEP_1)
	v_and_b32_e32 v9, 0x7f800000, v8
	v_cmp_ne_u32_e64 s1, 0x7f800000, v9
	s_delay_alu instid0(VALU_DEP_1) | instskip(NEXT) | instid1(SALU_CYCLE_1)
	s_and_saveexec_b32 s21, s1
	s_xor_b32 s1, exec_lo, s21
; %bb.1741:                             ;   in Loop: Header=BB448_13 Depth=1
	v_bfe_u32 v9, v8, 16, 1
	s_delay_alu instid0(VALU_DEP_1)
	v_add3_u32 v68, v8, v9, 0x7fff
                                        ; implicit-def: $vgpr8
; %bb.1742:                             ;   in Loop: Header=BB448_13 Depth=1
	s_and_not1_saveexec_b32 s21, s1
; %bb.1743:                             ;   in Loop: Header=BB448_13 Depth=1
	v_and_b32_e32 v9, 0xffff, v8
	v_or_b32_e32 v13, 0x10000, v8
	s_delay_alu instid0(VALU_DEP_2) | instskip(NEXT) | instid1(VALU_DEP_1)
	v_cmp_eq_u32_e64 s1, 0, v9
	v_cndmask_b32_e64 v68, v13, v8, s1
; %bb.1744:                             ;   in Loop: Header=BB448_13 Depth=1
	s_or_b32 exec_lo, exec_lo, s21
	flat_load_b64 v[31:32], v[28:29] offset:512
	s_mov_b32 s21, exec_lo
	s_waitcnt vmcnt(0) lgkmcnt(0)
	v_dual_mov_b32 v8, 0 :: v_dual_and_b32 v9, 0xff, v31
	s_delay_alu instid0(VALU_DEP_1)
	v_cmpx_ne_u16_e32 0, v9
	s_cbranch_execz .LBB448_1752
; %bb.1745:                             ;   in Loop: Header=BB448_13 Depth=1
	v_bfrev_b32_e32 v8, 1
	s_mov_b32 s22, exec_lo
	v_cmpx_ne_u16_e32 0x80, v9
	s_cbranch_execz .LBB448_1751
; %bb.1746:                             ;   in Loop: Header=BB448_13 Depth=1
	v_and_b32_e32 v9, 0x7f, v31
	v_mov_b32_e32 v8, 0x7f800001
	s_mov_b32 s23, exec_lo
	s_delay_alu instid0(VALU_DEP_2)
	v_cmpx_ne_u32_e32 0x7f, v9
	s_cbranch_execz .LBB448_1750
; %bb.1747:                             ;   in Loop: Header=BB448_13 Depth=1
	v_lshrrev_b32_e32 v8, 3, v9
	v_dual_mov_b32 v34, v32 :: v_dual_mov_b32 v33, v31
	s_mov_b32 s24, exec_lo
	v_cmpx_gt_u32_e32 8, v9
; %bb.1748:                             ;   in Loop: Header=BB448_13 Depth=1
	v_and_b32_e32 v8, 7, v31
	s_delay_alu instid0(VALU_DEP_1) | instskip(NEXT) | instid1(VALU_DEP_1)
	v_clz_i32_u32_e32 v8, v8
	v_min_u32_e32 v8, 32, v8
	s_delay_alu instid0(VALU_DEP_1) | instskip(SKIP_1) | instid1(VALU_DEP_2)
	v_subrev_nc_u32_e32 v9, 28, v8
	v_sub_nc_u32_e32 v8, 29, v8
	v_lshlrev_b64 v[33:34], v9, v[31:32]
; %bb.1749:                             ;   in Loop: Header=BB448_13 Depth=1
	s_or_b32 exec_lo, exec_lo, s24
	s_delay_alu instid0(VALU_DEP_1) | instskip(SKIP_2) | instid1(VALU_DEP_3)
	v_lshlrev_b32_e32 v9, 20, v33
	v_lshlrev_b32_e32 v13, 24, v31
	v_lshl_add_u32 v8, v8, 23, 0x3c000000
	v_and_b32_e32 v9, 0x700000, v9
	s_delay_alu instid0(VALU_DEP_3) | instskip(NEXT) | instid1(VALU_DEP_1)
	v_and_b32_e32 v13, 0x80000000, v13
	v_or3_b32 v8, v9, v13, v8
.LBB448_1750:                           ;   in Loop: Header=BB448_13 Depth=1
	s_or_b32 exec_lo, exec_lo, s23
.LBB448_1751:                           ;   in Loop: Header=BB448_13 Depth=1
	s_delay_alu instid0(SALU_CYCLE_1)
	s_or_b32 exec_lo, exec_lo, s22
.LBB448_1752:                           ;   in Loop: Header=BB448_13 Depth=1
	s_delay_alu instid0(SALU_CYCLE_1) | instskip(NEXT) | instid1(VALU_DEP_1)
	s_or_b32 exec_lo, exec_lo, s21
	v_mul_f32_e32 v8, v133, v8
                                        ; implicit-def: $vgpr69
	s_delay_alu instid0(VALU_DEP_1) | instskip(NEXT) | instid1(VALU_DEP_1)
	v_and_b32_e32 v9, 0x7f800000, v8
	v_cmp_ne_u32_e64 s1, 0x7f800000, v9
	s_delay_alu instid0(VALU_DEP_1) | instskip(NEXT) | instid1(SALU_CYCLE_1)
	s_and_saveexec_b32 s21, s1
	s_xor_b32 s1, exec_lo, s21
; %bb.1753:                             ;   in Loop: Header=BB448_13 Depth=1
	v_bfe_u32 v9, v8, 16, 1
	s_delay_alu instid0(VALU_DEP_1)
	v_add3_u32 v69, v8, v9, 0x7fff
                                        ; implicit-def: $vgpr8
; %bb.1754:                             ;   in Loop: Header=BB448_13 Depth=1
	s_and_not1_saveexec_b32 s21, s1
; %bb.1755:                             ;   in Loop: Header=BB448_13 Depth=1
	v_and_b32_e32 v9, 0xffff, v8
	v_or_b32_e32 v13, 0x10000, v8
	s_delay_alu instid0(VALU_DEP_2) | instskip(NEXT) | instid1(VALU_DEP_1)
	v_cmp_eq_u32_e64 s1, 0, v9
	v_cndmask_b32_e64 v69, v13, v8, s1
; %bb.1756:                             ;   in Loop: Header=BB448_13 Depth=1
	s_or_b32 exec_lo, exec_lo, s21
	v_lshrrev_b16 v9, 8, v31
	v_mov_b32_e32 v8, 0
	s_mov_b32 s21, exec_lo
	s_delay_alu instid0(VALU_DEP_2)
	v_cmpx_ne_u16_e32 0, v9
	s_cbranch_execz .LBB448_1764
; %bb.1757:                             ;   in Loop: Header=BB448_13 Depth=1
	v_bfrev_b32_e32 v8, 1
	s_mov_b32 s22, exec_lo
	v_cmpx_ne_u16_e32 0x80, v9
	s_cbranch_execz .LBB448_1763
; %bb.1758:                             ;   in Loop: Header=BB448_13 Depth=1
	v_and_b32_e32 v13, 0xffff, v9
	v_mov_b32_e32 v8, 0x7f800001
	s_mov_b32 s23, exec_lo
	s_delay_alu instid0(VALU_DEP_2) | instskip(NEXT) | instid1(VALU_DEP_1)
	v_and_b32_e32 v9, 0x7f, v13
	v_cmpx_ne_u32_e32 0x7f, v9
	s_cbranch_execz .LBB448_1762
; %bb.1759:                             ;   in Loop: Header=BB448_13 Depth=1
	v_and_b32_e32 v18, 7, v13
	v_mov_b32_e32 v34, v19
	v_lshrrev_b32_e32 v8, 3, v9
	s_mov_b32 s24, exec_lo
	s_delay_alu instid0(VALU_DEP_3)
	v_mov_b32_e32 v33, v18
	v_cmpx_gt_u32_e32 8, v9
; %bb.1760:                             ;   in Loop: Header=BB448_13 Depth=1
	v_clz_i32_u32_e32 v8, v18
	s_delay_alu instid0(VALU_DEP_1) | instskip(NEXT) | instid1(VALU_DEP_1)
	v_min_u32_e32 v8, 32, v8
	v_subrev_nc_u32_e32 v9, 28, v8
	v_sub_nc_u32_e32 v8, 29, v8
	s_delay_alu instid0(VALU_DEP_2) | instskip(NEXT) | instid1(VALU_DEP_1)
	v_lshlrev_b64 v[24:25], v9, v[18:19]
	v_and_b32_e32 v33, 7, v24
; %bb.1761:                             ;   in Loop: Header=BB448_13 Depth=1
	s_or_b32 exec_lo, exec_lo, s24
	v_lshlrev_b32_e32 v9, 16, v31
	s_delay_alu instid0(VALU_DEP_2) | instskip(SKIP_1) | instid1(VALU_DEP_3)
	v_lshlrev_b32_e32 v13, 20, v33
	v_lshl_add_u32 v8, v8, 23, 0x3c000000
	v_and_b32_e32 v9, 0x80000000, v9
	s_delay_alu instid0(VALU_DEP_1)
	v_or3_b32 v8, v13, v9, v8
.LBB448_1762:                           ;   in Loop: Header=BB448_13 Depth=1
	s_or_b32 exec_lo, exec_lo, s23
.LBB448_1763:                           ;   in Loop: Header=BB448_13 Depth=1
	s_delay_alu instid0(SALU_CYCLE_1)
	s_or_b32 exec_lo, exec_lo, s22
.LBB448_1764:                           ;   in Loop: Header=BB448_13 Depth=1
	s_delay_alu instid0(SALU_CYCLE_1) | instskip(NEXT) | instid1(VALU_DEP_1)
	s_or_b32 exec_lo, exec_lo, s21
	v_mul_f32_e32 v8, v133, v8
                                        ; implicit-def: $vgpr70
	s_delay_alu instid0(VALU_DEP_1) | instskip(NEXT) | instid1(VALU_DEP_1)
	v_and_b32_e32 v9, 0x7f800000, v8
	v_cmp_ne_u32_e64 s1, 0x7f800000, v9
	s_delay_alu instid0(VALU_DEP_1) | instskip(NEXT) | instid1(SALU_CYCLE_1)
	s_and_saveexec_b32 s21, s1
	s_xor_b32 s1, exec_lo, s21
; %bb.1765:                             ;   in Loop: Header=BB448_13 Depth=1
	v_bfe_u32 v9, v8, 16, 1
	s_delay_alu instid0(VALU_DEP_1)
	v_add3_u32 v70, v8, v9, 0x7fff
                                        ; implicit-def: $vgpr8
; %bb.1766:                             ;   in Loop: Header=BB448_13 Depth=1
	s_and_not1_saveexec_b32 s21, s1
; %bb.1767:                             ;   in Loop: Header=BB448_13 Depth=1
	v_and_b32_e32 v9, 0xffff, v8
	v_or_b32_e32 v13, 0x10000, v8
	s_delay_alu instid0(VALU_DEP_2) | instskip(NEXT) | instid1(VALU_DEP_1)
	v_cmp_eq_u32_e64 s1, 0, v9
	v_cndmask_b32_e64 v70, v13, v8, s1
; %bb.1768:                             ;   in Loop: Header=BB448_13 Depth=1
	s_or_b32 exec_lo, exec_lo, s21
	v_lshrrev_b32_e32 v8, 16, v31
	v_mov_b32_e32 v9, 0
	s_mov_b32 s21, exec_lo
	s_delay_alu instid0(VALU_DEP_2) | instskip(NEXT) | instid1(VALU_DEP_1)
	v_and_b32_e32 v13, 0xff, v8
	v_cmpx_ne_u16_e32 0, v13
	s_cbranch_execz .LBB448_1776
; %bb.1769:                             ;   in Loop: Header=BB448_13 Depth=1
	v_bfrev_b32_e32 v9, 1
	s_mov_b32 s22, exec_lo
	v_cmpx_ne_u16_e32 0x80, v13
	s_cbranch_execz .LBB448_1775
; %bb.1770:                             ;   in Loop: Header=BB448_13 Depth=1
	v_bfe_u32 v13, v31, 16, 7
	v_mov_b32_e32 v9, 0x7f800001
	s_mov_b32 s23, exec_lo
	s_delay_alu instid0(VALU_DEP_2)
	v_cmpx_ne_u32_e32 0x7f, v13
	s_cbranch_execz .LBB448_1774
; %bb.1771:                             ;   in Loop: Header=BB448_13 Depth=1
	v_and_b32_e32 v18, 7, v8
	v_mov_b32_e32 v34, v19
	v_lshrrev_b32_e32 v9, 3, v13
	s_mov_b32 s24, exec_lo
	s_delay_alu instid0(VALU_DEP_3)
	v_mov_b32_e32 v33, v18
	v_cmpx_gt_u32_e32 8, v13
; %bb.1772:                             ;   in Loop: Header=BB448_13 Depth=1
	v_clz_i32_u32_e32 v9, v18
	s_delay_alu instid0(VALU_DEP_1) | instskip(NEXT) | instid1(VALU_DEP_1)
	v_min_u32_e32 v9, 32, v9
	v_subrev_nc_u32_e32 v13, 28, v9
	v_sub_nc_u32_e32 v9, 29, v9
	s_delay_alu instid0(VALU_DEP_2) | instskip(NEXT) | instid1(VALU_DEP_1)
	v_lshlrev_b64 v[24:25], v13, v[18:19]
	v_and_b32_e32 v33, 7, v24
; %bb.1773:                             ;   in Loop: Header=BB448_13 Depth=1
	s_or_b32 exec_lo, exec_lo, s24
	v_lshlrev_b32_e32 v8, 24, v8
	s_delay_alu instid0(VALU_DEP_2) | instskip(SKIP_1) | instid1(VALU_DEP_3)
	v_lshlrev_b32_e32 v13, 20, v33
	v_lshl_add_u32 v9, v9, 23, 0x3c000000
	v_and_b32_e32 v8, 0x80000000, v8
	s_delay_alu instid0(VALU_DEP_1)
	v_or3_b32 v9, v13, v8, v9
.LBB448_1774:                           ;   in Loop: Header=BB448_13 Depth=1
	s_or_b32 exec_lo, exec_lo, s23
.LBB448_1775:                           ;   in Loop: Header=BB448_13 Depth=1
	s_delay_alu instid0(SALU_CYCLE_1)
	s_or_b32 exec_lo, exec_lo, s22
.LBB448_1776:                           ;   in Loop: Header=BB448_13 Depth=1
	s_delay_alu instid0(SALU_CYCLE_1) | instskip(NEXT) | instid1(VALU_DEP_1)
	s_or_b32 exec_lo, exec_lo, s21
	v_mul_f32_e32 v8, v133, v9
                                        ; implicit-def: $vgpr71
	s_delay_alu instid0(VALU_DEP_1) | instskip(NEXT) | instid1(VALU_DEP_1)
	v_and_b32_e32 v9, 0x7f800000, v8
	v_cmp_ne_u32_e64 s1, 0x7f800000, v9
	s_delay_alu instid0(VALU_DEP_1) | instskip(NEXT) | instid1(SALU_CYCLE_1)
	s_and_saveexec_b32 s21, s1
	s_xor_b32 s1, exec_lo, s21
; %bb.1777:                             ;   in Loop: Header=BB448_13 Depth=1
	v_bfe_u32 v9, v8, 16, 1
	s_delay_alu instid0(VALU_DEP_1)
	v_add3_u32 v71, v8, v9, 0x7fff
                                        ; implicit-def: $vgpr8
; %bb.1778:                             ;   in Loop: Header=BB448_13 Depth=1
	s_and_not1_saveexec_b32 s21, s1
; %bb.1779:                             ;   in Loop: Header=BB448_13 Depth=1
	v_and_b32_e32 v9, 0xffff, v8
	v_or_b32_e32 v13, 0x10000, v8
	s_delay_alu instid0(VALU_DEP_2) | instskip(NEXT) | instid1(VALU_DEP_1)
	v_cmp_eq_u32_e64 s1, 0, v9
	v_cndmask_b32_e64 v71, v13, v8, s1
; %bb.1780:                             ;   in Loop: Header=BB448_13 Depth=1
	s_or_b32 exec_lo, exec_lo, s21
	v_mov_b32_e32 v9, 0
	s_mov_b32 s21, exec_lo
	v_cmpx_lt_u32_e32 0xffffff, v31
	s_cbranch_execz .LBB448_1788
; %bb.1781:                             ;   in Loop: Header=BB448_13 Depth=1
	v_lshrrev_b32_e32 v8, 24, v31
	v_bfrev_b32_e32 v9, 1
	s_mov_b32 s22, exec_lo
	s_delay_alu instid0(VALU_DEP_2)
	v_cmpx_ne_u32_e32 0x80, v8
	s_cbranch_execz .LBB448_1787
; %bb.1782:                             ;   in Loop: Header=BB448_13 Depth=1
	v_bfe_u32 v13, v31, 24, 7
	v_mov_b32_e32 v9, 0x7f800001
	s_mov_b32 s23, exec_lo
	s_delay_alu instid0(VALU_DEP_2)
	v_cmpx_ne_u32_e32 0x7f, v13
	s_cbranch_execz .LBB448_1786
; %bb.1783:                             ;   in Loop: Header=BB448_13 Depth=1
	v_and_b32_e32 v18, 7, v8
	v_mov_b32_e32 v34, v19
	v_lshrrev_b32_e32 v9, 3, v13
	s_mov_b32 s24, exec_lo
	s_delay_alu instid0(VALU_DEP_3)
	v_mov_b32_e32 v33, v18
	v_cmpx_gt_u32_e32 8, v13
; %bb.1784:                             ;   in Loop: Header=BB448_13 Depth=1
	v_clz_i32_u32_e32 v9, v18
	s_delay_alu instid0(VALU_DEP_1) | instskip(NEXT) | instid1(VALU_DEP_1)
	v_min_u32_e32 v9, 32, v9
	v_subrev_nc_u32_e32 v13, 28, v9
	v_sub_nc_u32_e32 v9, 29, v9
	s_delay_alu instid0(VALU_DEP_2) | instskip(NEXT) | instid1(VALU_DEP_1)
	v_lshlrev_b64 v[24:25], v13, v[18:19]
	v_and_b32_e32 v33, 7, v24
; %bb.1785:                             ;   in Loop: Header=BB448_13 Depth=1
	s_or_b32 exec_lo, exec_lo, s24
	v_lshlrev_b32_e32 v8, 24, v8
	s_delay_alu instid0(VALU_DEP_2) | instskip(SKIP_1) | instid1(VALU_DEP_3)
	v_lshlrev_b32_e32 v13, 20, v33
	v_lshl_add_u32 v9, v9, 23, 0x3c000000
	v_and_b32_e32 v8, 0x80000000, v8
	s_delay_alu instid0(VALU_DEP_1)
	v_or3_b32 v9, v13, v8, v9
.LBB448_1786:                           ;   in Loop: Header=BB448_13 Depth=1
	s_or_b32 exec_lo, exec_lo, s23
.LBB448_1787:                           ;   in Loop: Header=BB448_13 Depth=1
	s_delay_alu instid0(SALU_CYCLE_1)
	s_or_b32 exec_lo, exec_lo, s22
.LBB448_1788:                           ;   in Loop: Header=BB448_13 Depth=1
	s_delay_alu instid0(SALU_CYCLE_1) | instskip(NEXT) | instid1(VALU_DEP_1)
	s_or_b32 exec_lo, exec_lo, s21
	v_mul_f32_e32 v8, v133, v9
                                        ; implicit-def: $vgpr80
	s_delay_alu instid0(VALU_DEP_1) | instskip(NEXT) | instid1(VALU_DEP_1)
	v_and_b32_e32 v9, 0x7f800000, v8
	v_cmp_ne_u32_e64 s1, 0x7f800000, v9
	s_delay_alu instid0(VALU_DEP_1) | instskip(NEXT) | instid1(SALU_CYCLE_1)
	s_and_saveexec_b32 s21, s1
	s_xor_b32 s1, exec_lo, s21
; %bb.1789:                             ;   in Loop: Header=BB448_13 Depth=1
	v_bfe_u32 v9, v8, 16, 1
	s_delay_alu instid0(VALU_DEP_1)
	v_add3_u32 v80, v8, v9, 0x7fff
                                        ; implicit-def: $vgpr8
; %bb.1790:                             ;   in Loop: Header=BB448_13 Depth=1
	s_and_not1_saveexec_b32 s21, s1
; %bb.1791:                             ;   in Loop: Header=BB448_13 Depth=1
	v_and_b32_e32 v9, 0xffff, v8
	v_or_b32_e32 v13, 0x10000, v8
	s_delay_alu instid0(VALU_DEP_2) | instskip(NEXT) | instid1(VALU_DEP_1)
	v_cmp_eq_u32_e64 s1, 0, v9
	v_cndmask_b32_e64 v80, v13, v8, s1
; %bb.1792:                             ;   in Loop: Header=BB448_13 Depth=1
	s_or_b32 exec_lo, exec_lo, s21
	v_dual_mov_b32 v18, v32 :: v_dual_and_b32 v9, 0xff, v32
	v_mov_b32_e32 v8, 0
	s_mov_b32 s21, exec_lo
	s_delay_alu instid0(VALU_DEP_2)
	v_cmpx_ne_u16_e32 0, v9
	s_cbranch_execz .LBB448_1800
; %bb.1793:                             ;   in Loop: Header=BB448_13 Depth=1
	v_bfrev_b32_e32 v8, 1
	s_mov_b32 s22, exec_lo
	v_cmpx_ne_u16_e32 0x80, v9
	s_cbranch_execz .LBB448_1799
; %bb.1794:                             ;   in Loop: Header=BB448_13 Depth=1
	v_and_b32_e32 v9, 0x7f, v32
	v_mov_b32_e32 v8, 0x7f800001
	s_mov_b32 s23, exec_lo
	s_delay_alu instid0(VALU_DEP_2)
	v_cmpx_ne_u32_e32 0x7f, v9
	s_cbranch_execz .LBB448_1798
; %bb.1795:                             ;   in Loop: Header=BB448_13 Depth=1
	v_dual_mov_b32 v34, v19 :: v_dual_mov_b32 v33, v18
	v_lshrrev_b32_e32 v8, 3, v9
	s_mov_b32 s24, exec_lo
	v_cmpx_gt_u32_e32 8, v9
; %bb.1796:                             ;   in Loop: Header=BB448_13 Depth=1
	v_and_b32_e32 v8, 7, v32
	s_delay_alu instid0(VALU_DEP_1) | instskip(NEXT) | instid1(VALU_DEP_1)
	v_clz_i32_u32_e32 v8, v8
	v_min_u32_e32 v8, 32, v8
	s_delay_alu instid0(VALU_DEP_1) | instskip(SKIP_1) | instid1(VALU_DEP_2)
	v_subrev_nc_u32_e32 v9, 28, v8
	v_sub_nc_u32_e32 v8, 29, v8
	v_lshlrev_b64 v[33:34], v9, v[18:19]
; %bb.1797:                             ;   in Loop: Header=BB448_13 Depth=1
	s_or_b32 exec_lo, exec_lo, s24
	s_delay_alu instid0(VALU_DEP_1) | instskip(SKIP_2) | instid1(VALU_DEP_3)
	v_lshlrev_b32_e32 v9, 20, v33
	v_lshlrev_b32_e32 v13, 24, v18
	v_lshl_add_u32 v8, v8, 23, 0x3c000000
	v_and_b32_e32 v9, 0x700000, v9
	s_delay_alu instid0(VALU_DEP_3) | instskip(NEXT) | instid1(VALU_DEP_1)
	v_and_b32_e32 v13, 0x80000000, v13
	v_or3_b32 v8, v9, v13, v8
.LBB448_1798:                           ;   in Loop: Header=BB448_13 Depth=1
	s_or_b32 exec_lo, exec_lo, s23
.LBB448_1799:                           ;   in Loop: Header=BB448_13 Depth=1
	s_delay_alu instid0(SALU_CYCLE_1)
	s_or_b32 exec_lo, exec_lo, s22
.LBB448_1800:                           ;   in Loop: Header=BB448_13 Depth=1
	s_delay_alu instid0(SALU_CYCLE_1) | instskip(NEXT) | instid1(VALU_DEP_1)
	s_or_b32 exec_lo, exec_lo, s21
	v_mul_f32_e32 v8, v133, v8
                                        ; implicit-def: $vgpr81
	s_delay_alu instid0(VALU_DEP_1) | instskip(NEXT) | instid1(VALU_DEP_1)
	v_and_b32_e32 v9, 0x7f800000, v8
	v_cmp_ne_u32_e64 s1, 0x7f800000, v9
	s_delay_alu instid0(VALU_DEP_1) | instskip(NEXT) | instid1(SALU_CYCLE_1)
	s_and_saveexec_b32 s21, s1
	s_xor_b32 s1, exec_lo, s21
; %bb.1801:                             ;   in Loop: Header=BB448_13 Depth=1
	v_bfe_u32 v9, v8, 16, 1
	s_delay_alu instid0(VALU_DEP_1)
	v_add3_u32 v81, v8, v9, 0x7fff
                                        ; implicit-def: $vgpr8
; %bb.1802:                             ;   in Loop: Header=BB448_13 Depth=1
	s_and_not1_saveexec_b32 s21, s1
; %bb.1803:                             ;   in Loop: Header=BB448_13 Depth=1
	v_and_b32_e32 v9, 0xffff, v8
	v_or_b32_e32 v13, 0x10000, v8
	s_delay_alu instid0(VALU_DEP_2) | instskip(NEXT) | instid1(VALU_DEP_1)
	v_cmp_eq_u32_e64 s1, 0, v9
	v_cndmask_b32_e64 v81, v13, v8, s1
; %bb.1804:                             ;   in Loop: Header=BB448_13 Depth=1
	s_or_b32 exec_lo, exec_lo, s21
	v_lshrrev_b16 v9, 8, v18
	v_mov_b32_e32 v8, 0
	s_mov_b32 s21, exec_lo
	s_delay_alu instid0(VALU_DEP_2)
	v_cmpx_ne_u16_e32 0, v9
	s_cbranch_execz .LBB448_1812
; %bb.1805:                             ;   in Loop: Header=BB448_13 Depth=1
	v_bfrev_b32_e32 v8, 1
	s_mov_b32 s22, exec_lo
	v_cmpx_ne_u16_e32 0x80, v9
	s_cbranch_execz .LBB448_1811
; %bb.1806:                             ;   in Loop: Header=BB448_13 Depth=1
	v_and_b32_e32 v13, 0xffff, v9
	v_mov_b32_e32 v8, 0x7f800001
	s_mov_b32 s23, exec_lo
	s_delay_alu instid0(VALU_DEP_2) | instskip(NEXT) | instid1(VALU_DEP_1)
	v_and_b32_e32 v9, 0x7f, v13
	v_cmpx_ne_u32_e32 0x7f, v9
	s_cbranch_execz .LBB448_1810
; %bb.1807:                             ;   in Loop: Header=BB448_13 Depth=1
	v_dual_mov_b32 v34, v19 :: v_dual_and_b32 v33, 7, v13
	v_lshrrev_b32_e32 v8, 3, v9
	s_mov_b32 s24, exec_lo
	v_cmpx_gt_u32_e32 8, v9
; %bb.1808:                             ;   in Loop: Header=BB448_13 Depth=1
	s_delay_alu instid0(VALU_DEP_3) | instskip(NEXT) | instid1(VALU_DEP_1)
	v_clz_i32_u32_e32 v8, v33
	v_min_u32_e32 v8, 32, v8
	s_delay_alu instid0(VALU_DEP_1) | instskip(SKIP_1) | instid1(VALU_DEP_2)
	v_subrev_nc_u32_e32 v9, 28, v8
	v_sub_nc_u32_e32 v8, 29, v8
	v_lshlrev_b64 v[24:25], v9, v[33:34]
	s_delay_alu instid0(VALU_DEP_1)
	v_and_b32_e32 v33, 7, v24
; %bb.1809:                             ;   in Loop: Header=BB448_13 Depth=1
	s_or_b32 exec_lo, exec_lo, s24
	v_lshlrev_b32_e32 v9, 16, v18
	s_delay_alu instid0(VALU_DEP_2) | instskip(SKIP_1) | instid1(VALU_DEP_3)
	v_lshlrev_b32_e32 v13, 20, v33
	v_lshl_add_u32 v8, v8, 23, 0x3c000000
	v_and_b32_e32 v9, 0x80000000, v9
	s_delay_alu instid0(VALU_DEP_1)
	v_or3_b32 v8, v13, v9, v8
.LBB448_1810:                           ;   in Loop: Header=BB448_13 Depth=1
	s_or_b32 exec_lo, exec_lo, s23
.LBB448_1811:                           ;   in Loop: Header=BB448_13 Depth=1
	s_delay_alu instid0(SALU_CYCLE_1)
	s_or_b32 exec_lo, exec_lo, s22
.LBB448_1812:                           ;   in Loop: Header=BB448_13 Depth=1
	s_delay_alu instid0(SALU_CYCLE_1) | instskip(NEXT) | instid1(VALU_DEP_1)
	s_or_b32 exec_lo, exec_lo, s21
	v_mul_f32_e32 v8, v133, v8
                                        ; implicit-def: $vgpr85
	s_delay_alu instid0(VALU_DEP_1) | instskip(NEXT) | instid1(VALU_DEP_1)
	v_and_b32_e32 v9, 0x7f800000, v8
	v_cmp_ne_u32_e64 s1, 0x7f800000, v9
	s_delay_alu instid0(VALU_DEP_1) | instskip(NEXT) | instid1(SALU_CYCLE_1)
	s_and_saveexec_b32 s21, s1
	s_xor_b32 s1, exec_lo, s21
; %bb.1813:                             ;   in Loop: Header=BB448_13 Depth=1
	v_bfe_u32 v9, v8, 16, 1
	s_delay_alu instid0(VALU_DEP_1)
	v_add3_u32 v85, v8, v9, 0x7fff
                                        ; implicit-def: $vgpr8
; %bb.1814:                             ;   in Loop: Header=BB448_13 Depth=1
	s_and_not1_saveexec_b32 s21, s1
; %bb.1815:                             ;   in Loop: Header=BB448_13 Depth=1
	v_and_b32_e32 v9, 0xffff, v8
	v_or_b32_e32 v13, 0x10000, v8
	s_delay_alu instid0(VALU_DEP_2) | instskip(NEXT) | instid1(VALU_DEP_1)
	v_cmp_eq_u32_e64 s1, 0, v9
	v_cndmask_b32_e64 v85, v13, v8, s1
; %bb.1816:                             ;   in Loop: Header=BB448_13 Depth=1
	s_or_b32 exec_lo, exec_lo, s21
	v_lshrrev_b32_e32 v8, 16, v32
	v_mov_b32_e32 v9, 0
	s_mov_b32 s21, exec_lo
	s_delay_alu instid0(VALU_DEP_2) | instskip(NEXT) | instid1(VALU_DEP_1)
	v_and_b32_e32 v13, 0xff, v8
	v_cmpx_ne_u16_e32 0, v13
	s_cbranch_execz .LBB448_1824
; %bb.1817:                             ;   in Loop: Header=BB448_13 Depth=1
	v_bfrev_b32_e32 v9, 1
	s_mov_b32 s22, exec_lo
	v_cmpx_ne_u16_e32 0x80, v13
	s_cbranch_execz .LBB448_1823
; %bb.1818:                             ;   in Loop: Header=BB448_13 Depth=1
	v_bfe_u32 v13, v32, 16, 7
	v_mov_b32_e32 v9, 0x7f800001
	s_mov_b32 s23, exec_lo
	s_delay_alu instid0(VALU_DEP_2)
	v_cmpx_ne_u32_e32 0x7f, v13
	s_cbranch_execz .LBB448_1822
; %bb.1819:                             ;   in Loop: Header=BB448_13 Depth=1
	v_and_b32_e32 v18, 7, v8
	v_mov_b32_e32 v34, v19
	v_lshrrev_b32_e32 v9, 3, v13
	s_mov_b32 s24, exec_lo
	s_delay_alu instid0(VALU_DEP_3)
	v_mov_b32_e32 v33, v18
	v_cmpx_gt_u32_e32 8, v13
; %bb.1820:                             ;   in Loop: Header=BB448_13 Depth=1
	v_clz_i32_u32_e32 v9, v18
	s_delay_alu instid0(VALU_DEP_1) | instskip(NEXT) | instid1(VALU_DEP_1)
	v_min_u32_e32 v9, 32, v9
	v_subrev_nc_u32_e32 v13, 28, v9
	v_sub_nc_u32_e32 v9, 29, v9
	s_delay_alu instid0(VALU_DEP_2) | instskip(NEXT) | instid1(VALU_DEP_1)
	v_lshlrev_b64 v[24:25], v13, v[18:19]
	v_and_b32_e32 v33, 7, v24
; %bb.1821:                             ;   in Loop: Header=BB448_13 Depth=1
	s_or_b32 exec_lo, exec_lo, s24
	v_lshlrev_b32_e32 v8, 24, v8
	s_delay_alu instid0(VALU_DEP_2) | instskip(SKIP_1) | instid1(VALU_DEP_3)
	v_lshlrev_b32_e32 v13, 20, v33
	v_lshl_add_u32 v9, v9, 23, 0x3c000000
	v_and_b32_e32 v8, 0x80000000, v8
	s_delay_alu instid0(VALU_DEP_1)
	v_or3_b32 v9, v13, v8, v9
.LBB448_1822:                           ;   in Loop: Header=BB448_13 Depth=1
	s_or_b32 exec_lo, exec_lo, s23
.LBB448_1823:                           ;   in Loop: Header=BB448_13 Depth=1
	s_delay_alu instid0(SALU_CYCLE_1)
	s_or_b32 exec_lo, exec_lo, s22
.LBB448_1824:                           ;   in Loop: Header=BB448_13 Depth=1
	s_delay_alu instid0(SALU_CYCLE_1) | instskip(NEXT) | instid1(VALU_DEP_1)
	s_or_b32 exec_lo, exec_lo, s21
	v_mul_f32_e32 v8, v133, v9
                                        ; implicit-def: $vgpr86
	s_delay_alu instid0(VALU_DEP_1) | instskip(NEXT) | instid1(VALU_DEP_1)
	v_and_b32_e32 v9, 0x7f800000, v8
	v_cmp_ne_u32_e64 s1, 0x7f800000, v9
	s_delay_alu instid0(VALU_DEP_1) | instskip(NEXT) | instid1(SALU_CYCLE_1)
	s_and_saveexec_b32 s21, s1
	s_xor_b32 s1, exec_lo, s21
; %bb.1825:                             ;   in Loop: Header=BB448_13 Depth=1
	v_bfe_u32 v9, v8, 16, 1
	s_delay_alu instid0(VALU_DEP_1)
	v_add3_u32 v86, v8, v9, 0x7fff
                                        ; implicit-def: $vgpr8
; %bb.1826:                             ;   in Loop: Header=BB448_13 Depth=1
	s_and_not1_saveexec_b32 s21, s1
; %bb.1827:                             ;   in Loop: Header=BB448_13 Depth=1
	v_and_b32_e32 v9, 0xffff, v8
	v_or_b32_e32 v13, 0x10000, v8
	s_delay_alu instid0(VALU_DEP_2) | instskip(NEXT) | instid1(VALU_DEP_1)
	v_cmp_eq_u32_e64 s1, 0, v9
	v_cndmask_b32_e64 v86, v13, v8, s1
; %bb.1828:                             ;   in Loop: Header=BB448_13 Depth=1
	s_or_b32 exec_lo, exec_lo, s21
	v_mov_b32_e32 v9, 0
	s_mov_b32 s21, exec_lo
	v_cmpx_lt_u64_e64 s[16:17], v[31:32]
	s_cbranch_execz .LBB448_1836
; %bb.1829:                             ;   in Loop: Header=BB448_13 Depth=1
	v_lshrrev_b32_e32 v8, 24, v32
	v_bfrev_b32_e32 v9, 1
	s_mov_b32 s22, exec_lo
	s_delay_alu instid0(VALU_DEP_2)
	v_cmpx_ne_u32_e32 0x80, v8
	s_cbranch_execz .LBB448_1835
; %bb.1830:                             ;   in Loop: Header=BB448_13 Depth=1
	v_bfe_u32 v13, v32, 24, 7
	v_mov_b32_e32 v9, 0x7f800001
	s_mov_b32 s23, exec_lo
	s_delay_alu instid0(VALU_DEP_2)
	v_cmpx_ne_u32_e32 0x7f, v13
	s_cbranch_execz .LBB448_1834
; %bb.1831:                             ;   in Loop: Header=BB448_13 Depth=1
	v_and_b32_e32 v18, 7, v8
	v_mov_b32_e32 v32, v19
	v_lshrrev_b32_e32 v9, 3, v13
	s_mov_b32 s24, exec_lo
	s_delay_alu instid0(VALU_DEP_3)
	v_mov_b32_e32 v31, v18
	v_cmpx_gt_u32_e32 8, v13
; %bb.1832:                             ;   in Loop: Header=BB448_13 Depth=1
	v_clz_i32_u32_e32 v9, v18
	s_delay_alu instid0(VALU_DEP_1) | instskip(NEXT) | instid1(VALU_DEP_1)
	v_min_u32_e32 v9, 32, v9
	v_subrev_nc_u32_e32 v13, 28, v9
	v_sub_nc_u32_e32 v9, 29, v9
	s_delay_alu instid0(VALU_DEP_2) | instskip(NEXT) | instid1(VALU_DEP_1)
	v_lshlrev_b64 v[24:25], v13, v[18:19]
	v_and_b32_e32 v31, 7, v24
; %bb.1833:                             ;   in Loop: Header=BB448_13 Depth=1
	s_or_b32 exec_lo, exec_lo, s24
	v_lshlrev_b32_e32 v8, 24, v8
	s_delay_alu instid0(VALU_DEP_2) | instskip(SKIP_1) | instid1(VALU_DEP_3)
	v_lshlrev_b32_e32 v13, 20, v31
	v_lshl_add_u32 v9, v9, 23, 0x3c000000
	v_and_b32_e32 v8, 0x80000000, v8
	s_delay_alu instid0(VALU_DEP_1)
	v_or3_b32 v9, v13, v8, v9
.LBB448_1834:                           ;   in Loop: Header=BB448_13 Depth=1
	s_or_b32 exec_lo, exec_lo, s23
.LBB448_1835:                           ;   in Loop: Header=BB448_13 Depth=1
	s_delay_alu instid0(SALU_CYCLE_1)
	s_or_b32 exec_lo, exec_lo, s22
.LBB448_1836:                           ;   in Loop: Header=BB448_13 Depth=1
	s_delay_alu instid0(SALU_CYCLE_1) | instskip(NEXT) | instid1(VALU_DEP_1)
	s_or_b32 exec_lo, exec_lo, s21
	v_mul_f32_e32 v8, v133, v9
                                        ; implicit-def: $vgpr87
	s_delay_alu instid0(VALU_DEP_1) | instskip(NEXT) | instid1(VALU_DEP_1)
	v_and_b32_e32 v9, 0x7f800000, v8
	v_cmp_ne_u32_e64 s1, 0x7f800000, v9
	s_delay_alu instid0(VALU_DEP_1) | instskip(NEXT) | instid1(SALU_CYCLE_1)
	s_and_saveexec_b32 s21, s1
	s_xor_b32 s1, exec_lo, s21
; %bb.1837:                             ;   in Loop: Header=BB448_13 Depth=1
	v_bfe_u32 v9, v8, 16, 1
	s_delay_alu instid0(VALU_DEP_1)
	v_add3_u32 v87, v8, v9, 0x7fff
                                        ; implicit-def: $vgpr8
; %bb.1838:                             ;   in Loop: Header=BB448_13 Depth=1
	s_and_not1_saveexec_b32 s21, s1
; %bb.1839:                             ;   in Loop: Header=BB448_13 Depth=1
	v_and_b32_e32 v9, 0xffff, v8
	v_or_b32_e32 v13, 0x10000, v8
	s_delay_alu instid0(VALU_DEP_2) | instskip(NEXT) | instid1(VALU_DEP_1)
	v_cmp_eq_u32_e64 s1, 0, v9
	v_cndmask_b32_e64 v87, v13, v8, s1
; %bb.1840:                             ;   in Loop: Header=BB448_13 Depth=1
	s_or_b32 exec_lo, exec_lo, s21
	flat_load_b64 v[31:32], v[28:29] offset:520
	s_mov_b32 s21, exec_lo
	s_waitcnt vmcnt(0) lgkmcnt(0)
	v_dual_mov_b32 v8, 0 :: v_dual_and_b32 v9, 0xff, v31
	s_delay_alu instid0(VALU_DEP_1)
	v_cmpx_ne_u16_e32 0, v9
	s_cbranch_execz .LBB448_1848
; %bb.1841:                             ;   in Loop: Header=BB448_13 Depth=1
	v_bfrev_b32_e32 v8, 1
	s_mov_b32 s22, exec_lo
	v_cmpx_ne_u16_e32 0x80, v9
	s_cbranch_execz .LBB448_1847
; %bb.1842:                             ;   in Loop: Header=BB448_13 Depth=1
	v_and_b32_e32 v9, 0x7f, v31
	v_mov_b32_e32 v8, 0x7f800001
	s_mov_b32 s23, exec_lo
	s_delay_alu instid0(VALU_DEP_2)
	v_cmpx_ne_u32_e32 0x7f, v9
	s_cbranch_execz .LBB448_1846
; %bb.1843:                             ;   in Loop: Header=BB448_13 Depth=1
	v_lshrrev_b32_e32 v8, 3, v9
	v_dual_mov_b32 v34, v32 :: v_dual_mov_b32 v33, v31
	s_mov_b32 s24, exec_lo
	v_cmpx_gt_u32_e32 8, v9
; %bb.1844:                             ;   in Loop: Header=BB448_13 Depth=1
	v_and_b32_e32 v8, 7, v31
	s_delay_alu instid0(VALU_DEP_1) | instskip(NEXT) | instid1(VALU_DEP_1)
	v_clz_i32_u32_e32 v8, v8
	v_min_u32_e32 v8, 32, v8
	s_delay_alu instid0(VALU_DEP_1) | instskip(SKIP_1) | instid1(VALU_DEP_2)
	v_subrev_nc_u32_e32 v9, 28, v8
	v_sub_nc_u32_e32 v8, 29, v8
	v_lshlrev_b64 v[33:34], v9, v[31:32]
; %bb.1845:                             ;   in Loop: Header=BB448_13 Depth=1
	s_or_b32 exec_lo, exec_lo, s24
	s_delay_alu instid0(VALU_DEP_1) | instskip(SKIP_2) | instid1(VALU_DEP_3)
	v_lshlrev_b32_e32 v9, 20, v33
	v_lshlrev_b32_e32 v13, 24, v31
	v_lshl_add_u32 v8, v8, 23, 0x3c000000
	v_and_b32_e32 v9, 0x700000, v9
	s_delay_alu instid0(VALU_DEP_3) | instskip(NEXT) | instid1(VALU_DEP_1)
	v_and_b32_e32 v13, 0x80000000, v13
	v_or3_b32 v8, v9, v13, v8
.LBB448_1846:                           ;   in Loop: Header=BB448_13 Depth=1
	s_or_b32 exec_lo, exec_lo, s23
.LBB448_1847:                           ;   in Loop: Header=BB448_13 Depth=1
	s_delay_alu instid0(SALU_CYCLE_1)
	s_or_b32 exec_lo, exec_lo, s22
.LBB448_1848:                           ;   in Loop: Header=BB448_13 Depth=1
	s_delay_alu instid0(SALU_CYCLE_1) | instskip(NEXT) | instid1(VALU_DEP_1)
	s_or_b32 exec_lo, exec_lo, s21
	v_mul_f32_e32 v8, v133, v8
                                        ; implicit-def: $vgpr96
	s_delay_alu instid0(VALU_DEP_1) | instskip(NEXT) | instid1(VALU_DEP_1)
	v_and_b32_e32 v9, 0x7f800000, v8
	v_cmp_ne_u32_e64 s1, 0x7f800000, v9
	s_delay_alu instid0(VALU_DEP_1) | instskip(NEXT) | instid1(SALU_CYCLE_1)
	s_and_saveexec_b32 s21, s1
	s_xor_b32 s1, exec_lo, s21
; %bb.1849:                             ;   in Loop: Header=BB448_13 Depth=1
	v_bfe_u32 v9, v8, 16, 1
	s_delay_alu instid0(VALU_DEP_1)
	v_add3_u32 v96, v8, v9, 0x7fff
                                        ; implicit-def: $vgpr8
; %bb.1850:                             ;   in Loop: Header=BB448_13 Depth=1
	s_and_not1_saveexec_b32 s21, s1
; %bb.1851:                             ;   in Loop: Header=BB448_13 Depth=1
	v_and_b32_e32 v9, 0xffff, v8
	v_or_b32_e32 v13, 0x10000, v8
	s_delay_alu instid0(VALU_DEP_2) | instskip(NEXT) | instid1(VALU_DEP_1)
	v_cmp_eq_u32_e64 s1, 0, v9
	v_cndmask_b32_e64 v96, v13, v8, s1
; %bb.1852:                             ;   in Loop: Header=BB448_13 Depth=1
	s_or_b32 exec_lo, exec_lo, s21
	v_lshrrev_b16 v9, 8, v31
	v_mov_b32_e32 v8, 0
	s_mov_b32 s21, exec_lo
	s_delay_alu instid0(VALU_DEP_2)
	v_cmpx_ne_u16_e32 0, v9
	s_cbranch_execz .LBB448_1860
; %bb.1853:                             ;   in Loop: Header=BB448_13 Depth=1
	v_bfrev_b32_e32 v8, 1
	s_mov_b32 s22, exec_lo
	v_cmpx_ne_u16_e32 0x80, v9
	s_cbranch_execz .LBB448_1859
; %bb.1854:                             ;   in Loop: Header=BB448_13 Depth=1
	v_and_b32_e32 v13, 0xffff, v9
	v_mov_b32_e32 v8, 0x7f800001
	s_mov_b32 s23, exec_lo
	s_delay_alu instid0(VALU_DEP_2) | instskip(NEXT) | instid1(VALU_DEP_1)
	v_and_b32_e32 v9, 0x7f, v13
	v_cmpx_ne_u32_e32 0x7f, v9
	s_cbranch_execz .LBB448_1858
; %bb.1855:                             ;   in Loop: Header=BB448_13 Depth=1
	v_and_b32_e32 v18, 7, v13
	v_mov_b32_e32 v34, v19
	v_lshrrev_b32_e32 v8, 3, v9
	s_mov_b32 s24, exec_lo
	s_delay_alu instid0(VALU_DEP_3)
	v_mov_b32_e32 v33, v18
	v_cmpx_gt_u32_e32 8, v9
; %bb.1856:                             ;   in Loop: Header=BB448_13 Depth=1
	v_clz_i32_u32_e32 v8, v18
	s_delay_alu instid0(VALU_DEP_1) | instskip(NEXT) | instid1(VALU_DEP_1)
	v_min_u32_e32 v8, 32, v8
	v_subrev_nc_u32_e32 v9, 28, v8
	v_sub_nc_u32_e32 v8, 29, v8
	s_delay_alu instid0(VALU_DEP_2) | instskip(NEXT) | instid1(VALU_DEP_1)
	v_lshlrev_b64 v[24:25], v9, v[18:19]
	v_and_b32_e32 v33, 7, v24
; %bb.1857:                             ;   in Loop: Header=BB448_13 Depth=1
	s_or_b32 exec_lo, exec_lo, s24
	v_lshlrev_b32_e32 v9, 16, v31
	s_delay_alu instid0(VALU_DEP_2) | instskip(SKIP_1) | instid1(VALU_DEP_3)
	v_lshlrev_b32_e32 v13, 20, v33
	v_lshl_add_u32 v8, v8, 23, 0x3c000000
	v_and_b32_e32 v9, 0x80000000, v9
	s_delay_alu instid0(VALU_DEP_1)
	v_or3_b32 v8, v13, v9, v8
.LBB448_1858:                           ;   in Loop: Header=BB448_13 Depth=1
	s_or_b32 exec_lo, exec_lo, s23
.LBB448_1859:                           ;   in Loop: Header=BB448_13 Depth=1
	s_delay_alu instid0(SALU_CYCLE_1)
	s_or_b32 exec_lo, exec_lo, s22
.LBB448_1860:                           ;   in Loop: Header=BB448_13 Depth=1
	s_delay_alu instid0(SALU_CYCLE_1) | instskip(NEXT) | instid1(VALU_DEP_1)
	s_or_b32 exec_lo, exec_lo, s21
	v_mul_f32_e32 v8, v133, v8
                                        ; implicit-def: $vgpr97
	s_delay_alu instid0(VALU_DEP_1) | instskip(NEXT) | instid1(VALU_DEP_1)
	v_and_b32_e32 v9, 0x7f800000, v8
	v_cmp_ne_u32_e64 s1, 0x7f800000, v9
	s_delay_alu instid0(VALU_DEP_1) | instskip(NEXT) | instid1(SALU_CYCLE_1)
	s_and_saveexec_b32 s21, s1
	s_xor_b32 s1, exec_lo, s21
; %bb.1861:                             ;   in Loop: Header=BB448_13 Depth=1
	v_bfe_u32 v9, v8, 16, 1
	s_delay_alu instid0(VALU_DEP_1)
	v_add3_u32 v97, v8, v9, 0x7fff
                                        ; implicit-def: $vgpr8
; %bb.1862:                             ;   in Loop: Header=BB448_13 Depth=1
	s_and_not1_saveexec_b32 s21, s1
; %bb.1863:                             ;   in Loop: Header=BB448_13 Depth=1
	v_and_b32_e32 v9, 0xffff, v8
	v_or_b32_e32 v13, 0x10000, v8
	s_delay_alu instid0(VALU_DEP_2) | instskip(NEXT) | instid1(VALU_DEP_1)
	v_cmp_eq_u32_e64 s1, 0, v9
	v_cndmask_b32_e64 v97, v13, v8, s1
; %bb.1864:                             ;   in Loop: Header=BB448_13 Depth=1
	s_or_b32 exec_lo, exec_lo, s21
	v_lshrrev_b32_e32 v8, 16, v31
	v_mov_b32_e32 v9, 0
	s_mov_b32 s21, exec_lo
	s_delay_alu instid0(VALU_DEP_2) | instskip(NEXT) | instid1(VALU_DEP_1)
	v_and_b32_e32 v13, 0xff, v8
	v_cmpx_ne_u16_e32 0, v13
	s_cbranch_execz .LBB448_1872
; %bb.1865:                             ;   in Loop: Header=BB448_13 Depth=1
	v_bfrev_b32_e32 v9, 1
	s_mov_b32 s22, exec_lo
	v_cmpx_ne_u16_e32 0x80, v13
	s_cbranch_execz .LBB448_1871
; %bb.1866:                             ;   in Loop: Header=BB448_13 Depth=1
	v_bfe_u32 v13, v31, 16, 7
	v_mov_b32_e32 v9, 0x7f800001
	s_mov_b32 s23, exec_lo
	s_delay_alu instid0(VALU_DEP_2)
	v_cmpx_ne_u32_e32 0x7f, v13
	s_cbranch_execz .LBB448_1870
; %bb.1867:                             ;   in Loop: Header=BB448_13 Depth=1
	v_and_b32_e32 v18, 7, v8
	v_mov_b32_e32 v34, v19
	v_lshrrev_b32_e32 v9, 3, v13
	s_mov_b32 s24, exec_lo
	s_delay_alu instid0(VALU_DEP_3)
	v_mov_b32_e32 v33, v18
	v_cmpx_gt_u32_e32 8, v13
; %bb.1868:                             ;   in Loop: Header=BB448_13 Depth=1
	v_clz_i32_u32_e32 v9, v18
	s_delay_alu instid0(VALU_DEP_1) | instskip(NEXT) | instid1(VALU_DEP_1)
	v_min_u32_e32 v9, 32, v9
	v_subrev_nc_u32_e32 v13, 28, v9
	v_sub_nc_u32_e32 v9, 29, v9
	s_delay_alu instid0(VALU_DEP_2) | instskip(NEXT) | instid1(VALU_DEP_1)
	v_lshlrev_b64 v[24:25], v13, v[18:19]
	v_and_b32_e32 v33, 7, v24
; %bb.1869:                             ;   in Loop: Header=BB448_13 Depth=1
	s_or_b32 exec_lo, exec_lo, s24
	v_lshlrev_b32_e32 v8, 24, v8
	s_delay_alu instid0(VALU_DEP_2) | instskip(SKIP_1) | instid1(VALU_DEP_3)
	v_lshlrev_b32_e32 v13, 20, v33
	v_lshl_add_u32 v9, v9, 23, 0x3c000000
	v_and_b32_e32 v8, 0x80000000, v8
	s_delay_alu instid0(VALU_DEP_1)
	v_or3_b32 v9, v13, v8, v9
.LBB448_1870:                           ;   in Loop: Header=BB448_13 Depth=1
	s_or_b32 exec_lo, exec_lo, s23
.LBB448_1871:                           ;   in Loop: Header=BB448_13 Depth=1
	s_delay_alu instid0(SALU_CYCLE_1)
	s_or_b32 exec_lo, exec_lo, s22
.LBB448_1872:                           ;   in Loop: Header=BB448_13 Depth=1
	s_delay_alu instid0(SALU_CYCLE_1) | instskip(NEXT) | instid1(VALU_DEP_1)
	s_or_b32 exec_lo, exec_lo, s21
	v_mul_f32_e32 v8, v133, v9
                                        ; implicit-def: $vgpr98
	s_delay_alu instid0(VALU_DEP_1) | instskip(NEXT) | instid1(VALU_DEP_1)
	v_and_b32_e32 v9, 0x7f800000, v8
	v_cmp_ne_u32_e64 s1, 0x7f800000, v9
	s_delay_alu instid0(VALU_DEP_1) | instskip(NEXT) | instid1(SALU_CYCLE_1)
	s_and_saveexec_b32 s21, s1
	s_xor_b32 s1, exec_lo, s21
; %bb.1873:                             ;   in Loop: Header=BB448_13 Depth=1
	v_bfe_u32 v9, v8, 16, 1
	s_delay_alu instid0(VALU_DEP_1)
	v_add3_u32 v98, v8, v9, 0x7fff
                                        ; implicit-def: $vgpr8
; %bb.1874:                             ;   in Loop: Header=BB448_13 Depth=1
	s_and_not1_saveexec_b32 s21, s1
; %bb.1875:                             ;   in Loop: Header=BB448_13 Depth=1
	v_and_b32_e32 v9, 0xffff, v8
	v_or_b32_e32 v13, 0x10000, v8
	s_delay_alu instid0(VALU_DEP_2) | instskip(NEXT) | instid1(VALU_DEP_1)
	v_cmp_eq_u32_e64 s1, 0, v9
	v_cndmask_b32_e64 v98, v13, v8, s1
; %bb.1876:                             ;   in Loop: Header=BB448_13 Depth=1
	s_or_b32 exec_lo, exec_lo, s21
	v_mov_b32_e32 v9, 0
	s_mov_b32 s21, exec_lo
	v_cmpx_lt_u32_e32 0xffffff, v31
	s_cbranch_execz .LBB448_1884
; %bb.1877:                             ;   in Loop: Header=BB448_13 Depth=1
	v_lshrrev_b32_e32 v8, 24, v31
	v_bfrev_b32_e32 v9, 1
	s_mov_b32 s22, exec_lo
	s_delay_alu instid0(VALU_DEP_2)
	v_cmpx_ne_u32_e32 0x80, v8
	s_cbranch_execz .LBB448_1883
; %bb.1878:                             ;   in Loop: Header=BB448_13 Depth=1
	v_bfe_u32 v13, v31, 24, 7
	v_mov_b32_e32 v9, 0x7f800001
	s_mov_b32 s23, exec_lo
	s_delay_alu instid0(VALU_DEP_2)
	v_cmpx_ne_u32_e32 0x7f, v13
	s_cbranch_execz .LBB448_1882
; %bb.1879:                             ;   in Loop: Header=BB448_13 Depth=1
	v_and_b32_e32 v18, 7, v8
	v_mov_b32_e32 v34, v19
	v_lshrrev_b32_e32 v9, 3, v13
	s_mov_b32 s24, exec_lo
	s_delay_alu instid0(VALU_DEP_3)
	v_mov_b32_e32 v33, v18
	v_cmpx_gt_u32_e32 8, v13
; %bb.1880:                             ;   in Loop: Header=BB448_13 Depth=1
	v_clz_i32_u32_e32 v9, v18
	s_delay_alu instid0(VALU_DEP_1) | instskip(NEXT) | instid1(VALU_DEP_1)
	v_min_u32_e32 v9, 32, v9
	v_subrev_nc_u32_e32 v13, 28, v9
	v_sub_nc_u32_e32 v9, 29, v9
	s_delay_alu instid0(VALU_DEP_2) | instskip(NEXT) | instid1(VALU_DEP_1)
	v_lshlrev_b64 v[24:25], v13, v[18:19]
	v_and_b32_e32 v33, 7, v24
; %bb.1881:                             ;   in Loop: Header=BB448_13 Depth=1
	s_or_b32 exec_lo, exec_lo, s24
	v_lshlrev_b32_e32 v8, 24, v8
	s_delay_alu instid0(VALU_DEP_2) | instskip(SKIP_1) | instid1(VALU_DEP_3)
	v_lshlrev_b32_e32 v13, 20, v33
	v_lshl_add_u32 v9, v9, 23, 0x3c000000
	v_and_b32_e32 v8, 0x80000000, v8
	s_delay_alu instid0(VALU_DEP_1)
	v_or3_b32 v9, v13, v8, v9
.LBB448_1882:                           ;   in Loop: Header=BB448_13 Depth=1
	s_or_b32 exec_lo, exec_lo, s23
.LBB448_1883:                           ;   in Loop: Header=BB448_13 Depth=1
	s_delay_alu instid0(SALU_CYCLE_1)
	s_or_b32 exec_lo, exec_lo, s22
.LBB448_1884:                           ;   in Loop: Header=BB448_13 Depth=1
	s_delay_alu instid0(SALU_CYCLE_1) | instskip(NEXT) | instid1(VALU_DEP_1)
	s_or_b32 exec_lo, exec_lo, s21
	v_mul_f32_e32 v8, v133, v9
                                        ; implicit-def: $vgpr99
	s_delay_alu instid0(VALU_DEP_1) | instskip(NEXT) | instid1(VALU_DEP_1)
	v_and_b32_e32 v9, 0x7f800000, v8
	v_cmp_ne_u32_e64 s1, 0x7f800000, v9
	s_delay_alu instid0(VALU_DEP_1) | instskip(NEXT) | instid1(SALU_CYCLE_1)
	s_and_saveexec_b32 s21, s1
	s_xor_b32 s1, exec_lo, s21
; %bb.1885:                             ;   in Loop: Header=BB448_13 Depth=1
	v_bfe_u32 v9, v8, 16, 1
	s_delay_alu instid0(VALU_DEP_1)
	v_add3_u32 v99, v8, v9, 0x7fff
                                        ; implicit-def: $vgpr8
; %bb.1886:                             ;   in Loop: Header=BB448_13 Depth=1
	s_and_not1_saveexec_b32 s21, s1
; %bb.1887:                             ;   in Loop: Header=BB448_13 Depth=1
	v_and_b32_e32 v9, 0xffff, v8
	v_or_b32_e32 v13, 0x10000, v8
	s_delay_alu instid0(VALU_DEP_2) | instskip(NEXT) | instid1(VALU_DEP_1)
	v_cmp_eq_u32_e64 s1, 0, v9
	v_cndmask_b32_e64 v99, v13, v8, s1
; %bb.1888:                             ;   in Loop: Header=BB448_13 Depth=1
	s_or_b32 exec_lo, exec_lo, s21
	v_dual_mov_b32 v18, v32 :: v_dual_and_b32 v9, 0xff, v32
	v_mov_b32_e32 v8, 0
	s_mov_b32 s21, exec_lo
	s_delay_alu instid0(VALU_DEP_2)
	v_cmpx_ne_u16_e32 0, v9
	s_cbranch_execz .LBB448_1896
; %bb.1889:                             ;   in Loop: Header=BB448_13 Depth=1
	v_bfrev_b32_e32 v8, 1
	s_mov_b32 s22, exec_lo
	v_cmpx_ne_u16_e32 0x80, v9
	s_cbranch_execz .LBB448_1895
; %bb.1890:                             ;   in Loop: Header=BB448_13 Depth=1
	v_and_b32_e32 v9, 0x7f, v32
	v_mov_b32_e32 v8, 0x7f800001
	s_mov_b32 s23, exec_lo
	s_delay_alu instid0(VALU_DEP_2)
	v_cmpx_ne_u32_e32 0x7f, v9
	s_cbranch_execz .LBB448_1894
; %bb.1891:                             ;   in Loop: Header=BB448_13 Depth=1
	v_dual_mov_b32 v34, v19 :: v_dual_mov_b32 v33, v18
	v_lshrrev_b32_e32 v8, 3, v9
	s_mov_b32 s24, exec_lo
	v_cmpx_gt_u32_e32 8, v9
; %bb.1892:                             ;   in Loop: Header=BB448_13 Depth=1
	v_and_b32_e32 v8, 7, v32
	s_delay_alu instid0(VALU_DEP_1) | instskip(NEXT) | instid1(VALU_DEP_1)
	v_clz_i32_u32_e32 v8, v8
	v_min_u32_e32 v8, 32, v8
	s_delay_alu instid0(VALU_DEP_1) | instskip(SKIP_1) | instid1(VALU_DEP_2)
	v_subrev_nc_u32_e32 v9, 28, v8
	v_sub_nc_u32_e32 v8, 29, v8
	v_lshlrev_b64 v[33:34], v9, v[18:19]
; %bb.1893:                             ;   in Loop: Header=BB448_13 Depth=1
	s_or_b32 exec_lo, exec_lo, s24
	s_delay_alu instid0(VALU_DEP_1) | instskip(SKIP_2) | instid1(VALU_DEP_3)
	v_lshlrev_b32_e32 v9, 20, v33
	v_lshlrev_b32_e32 v13, 24, v18
	v_lshl_add_u32 v8, v8, 23, 0x3c000000
	v_and_b32_e32 v9, 0x700000, v9
	s_delay_alu instid0(VALU_DEP_3) | instskip(NEXT) | instid1(VALU_DEP_1)
	v_and_b32_e32 v13, 0x80000000, v13
	v_or3_b32 v8, v9, v13, v8
.LBB448_1894:                           ;   in Loop: Header=BB448_13 Depth=1
	s_or_b32 exec_lo, exec_lo, s23
.LBB448_1895:                           ;   in Loop: Header=BB448_13 Depth=1
	s_delay_alu instid0(SALU_CYCLE_1)
	s_or_b32 exec_lo, exec_lo, s22
.LBB448_1896:                           ;   in Loop: Header=BB448_13 Depth=1
	s_delay_alu instid0(SALU_CYCLE_1) | instskip(NEXT) | instid1(VALU_DEP_1)
	s_or_b32 exec_lo, exec_lo, s21
	v_mul_f32_e32 v8, v133, v8
                                        ; implicit-def: $vgpr100
	s_delay_alu instid0(VALU_DEP_1) | instskip(NEXT) | instid1(VALU_DEP_1)
	v_and_b32_e32 v9, 0x7f800000, v8
	v_cmp_ne_u32_e64 s1, 0x7f800000, v9
	s_delay_alu instid0(VALU_DEP_1) | instskip(NEXT) | instid1(SALU_CYCLE_1)
	s_and_saveexec_b32 s21, s1
	s_xor_b32 s1, exec_lo, s21
; %bb.1897:                             ;   in Loop: Header=BB448_13 Depth=1
	v_bfe_u32 v9, v8, 16, 1
	s_delay_alu instid0(VALU_DEP_1)
	v_add3_u32 v100, v8, v9, 0x7fff
                                        ; implicit-def: $vgpr8
; %bb.1898:                             ;   in Loop: Header=BB448_13 Depth=1
	s_and_not1_saveexec_b32 s21, s1
; %bb.1899:                             ;   in Loop: Header=BB448_13 Depth=1
	v_and_b32_e32 v9, 0xffff, v8
	v_or_b32_e32 v13, 0x10000, v8
	s_delay_alu instid0(VALU_DEP_2) | instskip(NEXT) | instid1(VALU_DEP_1)
	v_cmp_eq_u32_e64 s1, 0, v9
	v_cndmask_b32_e64 v100, v13, v8, s1
; %bb.1900:                             ;   in Loop: Header=BB448_13 Depth=1
	s_or_b32 exec_lo, exec_lo, s21
	v_lshrrev_b16 v9, 8, v18
	v_mov_b32_e32 v8, 0
	s_mov_b32 s21, exec_lo
	s_delay_alu instid0(VALU_DEP_2)
	v_cmpx_ne_u16_e32 0, v9
	s_cbranch_execz .LBB448_1908
; %bb.1901:                             ;   in Loop: Header=BB448_13 Depth=1
	v_bfrev_b32_e32 v8, 1
	s_mov_b32 s22, exec_lo
	v_cmpx_ne_u16_e32 0x80, v9
	s_cbranch_execz .LBB448_1907
; %bb.1902:                             ;   in Loop: Header=BB448_13 Depth=1
	v_and_b32_e32 v13, 0xffff, v9
	v_mov_b32_e32 v8, 0x7f800001
	s_mov_b32 s23, exec_lo
	s_delay_alu instid0(VALU_DEP_2) | instskip(NEXT) | instid1(VALU_DEP_1)
	v_and_b32_e32 v9, 0x7f, v13
	v_cmpx_ne_u32_e32 0x7f, v9
	s_cbranch_execz .LBB448_1906
; %bb.1903:                             ;   in Loop: Header=BB448_13 Depth=1
	v_dual_mov_b32 v34, v19 :: v_dual_and_b32 v33, 7, v13
	v_lshrrev_b32_e32 v8, 3, v9
	s_mov_b32 s24, exec_lo
	v_cmpx_gt_u32_e32 8, v9
; %bb.1904:                             ;   in Loop: Header=BB448_13 Depth=1
	s_delay_alu instid0(VALU_DEP_3) | instskip(NEXT) | instid1(VALU_DEP_1)
	v_clz_i32_u32_e32 v8, v33
	v_min_u32_e32 v8, 32, v8
	s_delay_alu instid0(VALU_DEP_1) | instskip(SKIP_1) | instid1(VALU_DEP_2)
	v_subrev_nc_u32_e32 v9, 28, v8
	v_sub_nc_u32_e32 v8, 29, v8
	v_lshlrev_b64 v[24:25], v9, v[33:34]
	s_delay_alu instid0(VALU_DEP_1)
	v_and_b32_e32 v33, 7, v24
; %bb.1905:                             ;   in Loop: Header=BB448_13 Depth=1
	s_or_b32 exec_lo, exec_lo, s24
	v_lshlrev_b32_e32 v9, 16, v18
	s_delay_alu instid0(VALU_DEP_2) | instskip(SKIP_1) | instid1(VALU_DEP_3)
	v_lshlrev_b32_e32 v13, 20, v33
	v_lshl_add_u32 v8, v8, 23, 0x3c000000
	v_and_b32_e32 v9, 0x80000000, v9
	s_delay_alu instid0(VALU_DEP_1)
	v_or3_b32 v8, v13, v9, v8
.LBB448_1906:                           ;   in Loop: Header=BB448_13 Depth=1
	s_or_b32 exec_lo, exec_lo, s23
.LBB448_1907:                           ;   in Loop: Header=BB448_13 Depth=1
	s_delay_alu instid0(SALU_CYCLE_1)
	s_or_b32 exec_lo, exec_lo, s22
.LBB448_1908:                           ;   in Loop: Header=BB448_13 Depth=1
	s_delay_alu instid0(SALU_CYCLE_1) | instskip(NEXT) | instid1(VALU_DEP_1)
	s_or_b32 exec_lo, exec_lo, s21
	v_mul_f32_e32 v8, v133, v8
                                        ; implicit-def: $vgpr101
	s_delay_alu instid0(VALU_DEP_1) | instskip(NEXT) | instid1(VALU_DEP_1)
	v_and_b32_e32 v9, 0x7f800000, v8
	v_cmp_ne_u32_e64 s1, 0x7f800000, v9
	s_delay_alu instid0(VALU_DEP_1) | instskip(NEXT) | instid1(SALU_CYCLE_1)
	s_and_saveexec_b32 s21, s1
	s_xor_b32 s1, exec_lo, s21
; %bb.1909:                             ;   in Loop: Header=BB448_13 Depth=1
	v_bfe_u32 v9, v8, 16, 1
	s_delay_alu instid0(VALU_DEP_1)
	v_add3_u32 v101, v8, v9, 0x7fff
                                        ; implicit-def: $vgpr8
; %bb.1910:                             ;   in Loop: Header=BB448_13 Depth=1
	s_and_not1_saveexec_b32 s21, s1
; %bb.1911:                             ;   in Loop: Header=BB448_13 Depth=1
	v_and_b32_e32 v9, 0xffff, v8
	v_or_b32_e32 v13, 0x10000, v8
	s_delay_alu instid0(VALU_DEP_2) | instskip(NEXT) | instid1(VALU_DEP_1)
	v_cmp_eq_u32_e64 s1, 0, v9
	v_cndmask_b32_e64 v101, v13, v8, s1
; %bb.1912:                             ;   in Loop: Header=BB448_13 Depth=1
	s_or_b32 exec_lo, exec_lo, s21
	v_lshrrev_b32_e32 v8, 16, v32
	v_mov_b32_e32 v9, 0
	s_mov_b32 s21, exec_lo
	s_delay_alu instid0(VALU_DEP_2) | instskip(NEXT) | instid1(VALU_DEP_1)
	v_and_b32_e32 v13, 0xff, v8
	v_cmpx_ne_u16_e32 0, v13
	s_cbranch_execz .LBB448_1920
; %bb.1913:                             ;   in Loop: Header=BB448_13 Depth=1
	v_bfrev_b32_e32 v9, 1
	s_mov_b32 s22, exec_lo
	v_cmpx_ne_u16_e32 0x80, v13
	s_cbranch_execz .LBB448_1919
; %bb.1914:                             ;   in Loop: Header=BB448_13 Depth=1
	v_bfe_u32 v13, v32, 16, 7
	v_mov_b32_e32 v9, 0x7f800001
	s_mov_b32 s23, exec_lo
	s_delay_alu instid0(VALU_DEP_2)
	v_cmpx_ne_u32_e32 0x7f, v13
	s_cbranch_execz .LBB448_1918
; %bb.1915:                             ;   in Loop: Header=BB448_13 Depth=1
	v_and_b32_e32 v18, 7, v8
	v_mov_b32_e32 v34, v19
	v_lshrrev_b32_e32 v9, 3, v13
	s_mov_b32 s24, exec_lo
	s_delay_alu instid0(VALU_DEP_3)
	v_mov_b32_e32 v33, v18
	v_cmpx_gt_u32_e32 8, v13
; %bb.1916:                             ;   in Loop: Header=BB448_13 Depth=1
	v_clz_i32_u32_e32 v9, v18
	s_delay_alu instid0(VALU_DEP_1) | instskip(NEXT) | instid1(VALU_DEP_1)
	v_min_u32_e32 v9, 32, v9
	v_subrev_nc_u32_e32 v13, 28, v9
	v_sub_nc_u32_e32 v9, 29, v9
	s_delay_alu instid0(VALU_DEP_2) | instskip(NEXT) | instid1(VALU_DEP_1)
	v_lshlrev_b64 v[24:25], v13, v[18:19]
	v_and_b32_e32 v33, 7, v24
; %bb.1917:                             ;   in Loop: Header=BB448_13 Depth=1
	s_or_b32 exec_lo, exec_lo, s24
	v_lshlrev_b32_e32 v8, 24, v8
	s_delay_alu instid0(VALU_DEP_2) | instskip(SKIP_1) | instid1(VALU_DEP_3)
	v_lshlrev_b32_e32 v13, 20, v33
	v_lshl_add_u32 v9, v9, 23, 0x3c000000
	v_and_b32_e32 v8, 0x80000000, v8
	s_delay_alu instid0(VALU_DEP_1)
	v_or3_b32 v9, v13, v8, v9
.LBB448_1918:                           ;   in Loop: Header=BB448_13 Depth=1
	s_or_b32 exec_lo, exec_lo, s23
.LBB448_1919:                           ;   in Loop: Header=BB448_13 Depth=1
	s_delay_alu instid0(SALU_CYCLE_1)
	s_or_b32 exec_lo, exec_lo, s22
.LBB448_1920:                           ;   in Loop: Header=BB448_13 Depth=1
	s_delay_alu instid0(SALU_CYCLE_1) | instskip(NEXT) | instid1(VALU_DEP_1)
	s_or_b32 exec_lo, exec_lo, s21
	v_mul_f32_e32 v8, v133, v9
                                        ; implicit-def: $vgpr102
	s_delay_alu instid0(VALU_DEP_1) | instskip(NEXT) | instid1(VALU_DEP_1)
	v_and_b32_e32 v9, 0x7f800000, v8
	v_cmp_ne_u32_e64 s1, 0x7f800000, v9
	s_delay_alu instid0(VALU_DEP_1) | instskip(NEXT) | instid1(SALU_CYCLE_1)
	s_and_saveexec_b32 s21, s1
	s_xor_b32 s1, exec_lo, s21
; %bb.1921:                             ;   in Loop: Header=BB448_13 Depth=1
	v_bfe_u32 v9, v8, 16, 1
	s_delay_alu instid0(VALU_DEP_1)
	v_add3_u32 v102, v8, v9, 0x7fff
                                        ; implicit-def: $vgpr8
; %bb.1922:                             ;   in Loop: Header=BB448_13 Depth=1
	s_and_not1_saveexec_b32 s21, s1
; %bb.1923:                             ;   in Loop: Header=BB448_13 Depth=1
	v_and_b32_e32 v9, 0xffff, v8
	v_or_b32_e32 v13, 0x10000, v8
	s_delay_alu instid0(VALU_DEP_2) | instskip(NEXT) | instid1(VALU_DEP_1)
	v_cmp_eq_u32_e64 s1, 0, v9
	v_cndmask_b32_e64 v102, v13, v8, s1
; %bb.1924:                             ;   in Loop: Header=BB448_13 Depth=1
	s_or_b32 exec_lo, exec_lo, s21
	v_mov_b32_e32 v9, 0
	s_mov_b32 s21, exec_lo
	v_cmpx_lt_u64_e64 s[16:17], v[31:32]
	s_cbranch_execz .LBB448_1932
; %bb.1925:                             ;   in Loop: Header=BB448_13 Depth=1
	v_lshrrev_b32_e32 v8, 24, v32
	v_bfrev_b32_e32 v9, 1
	s_mov_b32 s22, exec_lo
	s_delay_alu instid0(VALU_DEP_2)
	v_cmpx_ne_u32_e32 0x80, v8
	s_cbranch_execz .LBB448_1931
; %bb.1926:                             ;   in Loop: Header=BB448_13 Depth=1
	v_bfe_u32 v13, v32, 24, 7
	v_mov_b32_e32 v9, 0x7f800001
	s_mov_b32 s23, exec_lo
	s_delay_alu instid0(VALU_DEP_2)
	v_cmpx_ne_u32_e32 0x7f, v13
	s_cbranch_execz .LBB448_1930
; %bb.1927:                             ;   in Loop: Header=BB448_13 Depth=1
	v_and_b32_e32 v18, 7, v8
	v_mov_b32_e32 v32, v19
	v_lshrrev_b32_e32 v9, 3, v13
	s_mov_b32 s24, exec_lo
	s_delay_alu instid0(VALU_DEP_3)
	v_mov_b32_e32 v31, v18
	v_cmpx_gt_u32_e32 8, v13
; %bb.1928:                             ;   in Loop: Header=BB448_13 Depth=1
	v_clz_i32_u32_e32 v9, v18
	s_delay_alu instid0(VALU_DEP_1) | instskip(NEXT) | instid1(VALU_DEP_1)
	v_min_u32_e32 v9, 32, v9
	v_subrev_nc_u32_e32 v13, 28, v9
	v_sub_nc_u32_e32 v9, 29, v9
	s_delay_alu instid0(VALU_DEP_2) | instskip(NEXT) | instid1(VALU_DEP_1)
	v_lshlrev_b64 v[24:25], v13, v[18:19]
	v_and_b32_e32 v31, 7, v24
; %bb.1929:                             ;   in Loop: Header=BB448_13 Depth=1
	s_or_b32 exec_lo, exec_lo, s24
	v_lshlrev_b32_e32 v8, 24, v8
	s_delay_alu instid0(VALU_DEP_2) | instskip(SKIP_1) | instid1(VALU_DEP_3)
	v_lshlrev_b32_e32 v13, 20, v31
	v_lshl_add_u32 v9, v9, 23, 0x3c000000
	v_and_b32_e32 v8, 0x80000000, v8
	s_delay_alu instid0(VALU_DEP_1)
	v_or3_b32 v9, v13, v8, v9
.LBB448_1930:                           ;   in Loop: Header=BB448_13 Depth=1
	s_or_b32 exec_lo, exec_lo, s23
.LBB448_1931:                           ;   in Loop: Header=BB448_13 Depth=1
	s_delay_alu instid0(SALU_CYCLE_1)
	s_or_b32 exec_lo, exec_lo, s22
.LBB448_1932:                           ;   in Loop: Header=BB448_13 Depth=1
	s_delay_alu instid0(SALU_CYCLE_1) | instskip(NEXT) | instid1(VALU_DEP_1)
	s_or_b32 exec_lo, exec_lo, s21
	v_mul_f32_e32 v8, v133, v9
                                        ; implicit-def: $vgpr103
	s_delay_alu instid0(VALU_DEP_1) | instskip(NEXT) | instid1(VALU_DEP_1)
	v_and_b32_e32 v9, 0x7f800000, v8
	v_cmp_ne_u32_e64 s1, 0x7f800000, v9
	s_delay_alu instid0(VALU_DEP_1) | instskip(NEXT) | instid1(SALU_CYCLE_1)
	s_and_saveexec_b32 s21, s1
	s_xor_b32 s1, exec_lo, s21
; %bb.1933:                             ;   in Loop: Header=BB448_13 Depth=1
	v_bfe_u32 v9, v8, 16, 1
	s_delay_alu instid0(VALU_DEP_1)
	v_add3_u32 v103, v8, v9, 0x7fff
                                        ; implicit-def: $vgpr8
; %bb.1934:                             ;   in Loop: Header=BB448_13 Depth=1
	s_and_not1_saveexec_b32 s21, s1
; %bb.1935:                             ;   in Loop: Header=BB448_13 Depth=1
	v_and_b32_e32 v9, 0xffff, v8
	v_or_b32_e32 v13, 0x10000, v8
	s_delay_alu instid0(VALU_DEP_2) | instskip(NEXT) | instid1(VALU_DEP_1)
	v_cmp_eq_u32_e64 s1, 0, v9
	v_cndmask_b32_e64 v103, v13, v8, s1
; %bb.1936:                             ;   in Loop: Header=BB448_13 Depth=1
	s_or_b32 exec_lo, exec_lo, s21
	flat_load_b64 v[31:32], v[28:29] offset:1024
	s_mov_b32 s21, exec_lo
	s_waitcnt vmcnt(0) lgkmcnt(0)
	v_dual_mov_b32 v8, 0 :: v_dual_and_b32 v9, 0xff, v31
	s_delay_alu instid0(VALU_DEP_1)
	v_cmpx_ne_u16_e32 0, v9
	s_cbranch_execz .LBB448_1944
; %bb.1937:                             ;   in Loop: Header=BB448_13 Depth=1
	v_bfrev_b32_e32 v8, 1
	s_mov_b32 s22, exec_lo
	v_cmpx_ne_u16_e32 0x80, v9
	s_cbranch_execz .LBB448_1943
; %bb.1938:                             ;   in Loop: Header=BB448_13 Depth=1
	v_and_b32_e32 v9, 0x7f, v31
	v_mov_b32_e32 v8, 0x7f800001
	s_mov_b32 s23, exec_lo
	s_delay_alu instid0(VALU_DEP_2)
	v_cmpx_ne_u32_e32 0x7f, v9
	s_cbranch_execz .LBB448_1942
; %bb.1939:                             ;   in Loop: Header=BB448_13 Depth=1
	v_lshrrev_b32_e32 v8, 3, v9
	v_dual_mov_b32 v34, v32 :: v_dual_mov_b32 v33, v31
	s_mov_b32 s24, exec_lo
	v_cmpx_gt_u32_e32 8, v9
; %bb.1940:                             ;   in Loop: Header=BB448_13 Depth=1
	v_and_b32_e32 v8, 7, v31
	s_delay_alu instid0(VALU_DEP_1) | instskip(NEXT) | instid1(VALU_DEP_1)
	v_clz_i32_u32_e32 v8, v8
	v_min_u32_e32 v8, 32, v8
	s_delay_alu instid0(VALU_DEP_1) | instskip(SKIP_1) | instid1(VALU_DEP_2)
	v_subrev_nc_u32_e32 v9, 28, v8
	v_sub_nc_u32_e32 v8, 29, v8
	v_lshlrev_b64 v[33:34], v9, v[31:32]
; %bb.1941:                             ;   in Loop: Header=BB448_13 Depth=1
	s_or_b32 exec_lo, exec_lo, s24
	s_delay_alu instid0(VALU_DEP_1) | instskip(SKIP_2) | instid1(VALU_DEP_3)
	v_lshlrev_b32_e32 v9, 20, v33
	v_lshlrev_b32_e32 v13, 24, v31
	v_lshl_add_u32 v8, v8, 23, 0x3c000000
	v_and_b32_e32 v9, 0x700000, v9
	s_delay_alu instid0(VALU_DEP_3) | instskip(NEXT) | instid1(VALU_DEP_1)
	v_and_b32_e32 v13, 0x80000000, v13
	v_or3_b32 v8, v9, v13, v8
.LBB448_1942:                           ;   in Loop: Header=BB448_13 Depth=1
	s_or_b32 exec_lo, exec_lo, s23
.LBB448_1943:                           ;   in Loop: Header=BB448_13 Depth=1
	s_delay_alu instid0(SALU_CYCLE_1)
	s_or_b32 exec_lo, exec_lo, s22
.LBB448_1944:                           ;   in Loop: Header=BB448_13 Depth=1
	s_delay_alu instid0(SALU_CYCLE_1) | instskip(NEXT) | instid1(VALU_DEP_1)
	s_or_b32 exec_lo, exec_lo, s21
	v_mul_f32_e32 v8, v133, v8
                                        ; implicit-def: $vgpr112
	s_delay_alu instid0(VALU_DEP_1) | instskip(NEXT) | instid1(VALU_DEP_1)
	v_and_b32_e32 v9, 0x7f800000, v8
	v_cmp_ne_u32_e64 s1, 0x7f800000, v9
	s_delay_alu instid0(VALU_DEP_1) | instskip(NEXT) | instid1(SALU_CYCLE_1)
	s_and_saveexec_b32 s21, s1
	s_xor_b32 s1, exec_lo, s21
; %bb.1945:                             ;   in Loop: Header=BB448_13 Depth=1
	v_bfe_u32 v9, v8, 16, 1
	s_delay_alu instid0(VALU_DEP_1)
	v_add3_u32 v112, v8, v9, 0x7fff
                                        ; implicit-def: $vgpr8
; %bb.1946:                             ;   in Loop: Header=BB448_13 Depth=1
	s_and_not1_saveexec_b32 s21, s1
; %bb.1947:                             ;   in Loop: Header=BB448_13 Depth=1
	v_and_b32_e32 v9, 0xffff, v8
	v_or_b32_e32 v13, 0x10000, v8
	s_delay_alu instid0(VALU_DEP_2) | instskip(NEXT) | instid1(VALU_DEP_1)
	v_cmp_eq_u32_e64 s1, 0, v9
	v_cndmask_b32_e64 v112, v13, v8, s1
; %bb.1948:                             ;   in Loop: Header=BB448_13 Depth=1
	s_or_b32 exec_lo, exec_lo, s21
	v_lshrrev_b16 v9, 8, v31
	v_mov_b32_e32 v8, 0
	s_mov_b32 s21, exec_lo
	s_delay_alu instid0(VALU_DEP_2)
	v_cmpx_ne_u16_e32 0, v9
	s_cbranch_execz .LBB448_1956
; %bb.1949:                             ;   in Loop: Header=BB448_13 Depth=1
	v_bfrev_b32_e32 v8, 1
	s_mov_b32 s22, exec_lo
	v_cmpx_ne_u16_e32 0x80, v9
	s_cbranch_execz .LBB448_1955
; %bb.1950:                             ;   in Loop: Header=BB448_13 Depth=1
	v_and_b32_e32 v13, 0xffff, v9
	v_mov_b32_e32 v8, 0x7f800001
	s_mov_b32 s23, exec_lo
	s_delay_alu instid0(VALU_DEP_2) | instskip(NEXT) | instid1(VALU_DEP_1)
	v_and_b32_e32 v9, 0x7f, v13
	v_cmpx_ne_u32_e32 0x7f, v9
	s_cbranch_execz .LBB448_1954
; %bb.1951:                             ;   in Loop: Header=BB448_13 Depth=1
	v_and_b32_e32 v18, 7, v13
	v_mov_b32_e32 v34, v19
	v_lshrrev_b32_e32 v8, 3, v9
	s_mov_b32 s24, exec_lo
	s_delay_alu instid0(VALU_DEP_3)
	v_mov_b32_e32 v33, v18
	v_cmpx_gt_u32_e32 8, v9
; %bb.1952:                             ;   in Loop: Header=BB448_13 Depth=1
	v_clz_i32_u32_e32 v8, v18
	s_delay_alu instid0(VALU_DEP_1) | instskip(NEXT) | instid1(VALU_DEP_1)
	v_min_u32_e32 v8, 32, v8
	v_subrev_nc_u32_e32 v9, 28, v8
	v_sub_nc_u32_e32 v8, 29, v8
	s_delay_alu instid0(VALU_DEP_2) | instskip(NEXT) | instid1(VALU_DEP_1)
	v_lshlrev_b64 v[24:25], v9, v[18:19]
	v_and_b32_e32 v33, 7, v24
; %bb.1953:                             ;   in Loop: Header=BB448_13 Depth=1
	s_or_b32 exec_lo, exec_lo, s24
	v_lshlrev_b32_e32 v9, 16, v31
	s_delay_alu instid0(VALU_DEP_2) | instskip(SKIP_1) | instid1(VALU_DEP_3)
	v_lshlrev_b32_e32 v13, 20, v33
	v_lshl_add_u32 v8, v8, 23, 0x3c000000
	v_and_b32_e32 v9, 0x80000000, v9
	s_delay_alu instid0(VALU_DEP_1)
	v_or3_b32 v8, v13, v9, v8
.LBB448_1954:                           ;   in Loop: Header=BB448_13 Depth=1
	s_or_b32 exec_lo, exec_lo, s23
.LBB448_1955:                           ;   in Loop: Header=BB448_13 Depth=1
	s_delay_alu instid0(SALU_CYCLE_1)
	s_or_b32 exec_lo, exec_lo, s22
.LBB448_1956:                           ;   in Loop: Header=BB448_13 Depth=1
	s_delay_alu instid0(SALU_CYCLE_1) | instskip(NEXT) | instid1(VALU_DEP_1)
	s_or_b32 exec_lo, exec_lo, s21
	v_mul_f32_e32 v8, v133, v8
                                        ; implicit-def: $vgpr113
	s_delay_alu instid0(VALU_DEP_1) | instskip(NEXT) | instid1(VALU_DEP_1)
	v_and_b32_e32 v9, 0x7f800000, v8
	v_cmp_ne_u32_e64 s1, 0x7f800000, v9
	s_delay_alu instid0(VALU_DEP_1) | instskip(NEXT) | instid1(SALU_CYCLE_1)
	s_and_saveexec_b32 s21, s1
	s_xor_b32 s1, exec_lo, s21
; %bb.1957:                             ;   in Loop: Header=BB448_13 Depth=1
	v_bfe_u32 v9, v8, 16, 1
	s_delay_alu instid0(VALU_DEP_1)
	v_add3_u32 v113, v8, v9, 0x7fff
                                        ; implicit-def: $vgpr8
; %bb.1958:                             ;   in Loop: Header=BB448_13 Depth=1
	s_and_not1_saveexec_b32 s21, s1
; %bb.1959:                             ;   in Loop: Header=BB448_13 Depth=1
	v_and_b32_e32 v9, 0xffff, v8
	v_or_b32_e32 v13, 0x10000, v8
	s_delay_alu instid0(VALU_DEP_2) | instskip(NEXT) | instid1(VALU_DEP_1)
	v_cmp_eq_u32_e64 s1, 0, v9
	v_cndmask_b32_e64 v113, v13, v8, s1
; %bb.1960:                             ;   in Loop: Header=BB448_13 Depth=1
	s_or_b32 exec_lo, exec_lo, s21
	v_lshrrev_b32_e32 v8, 16, v31
	v_mov_b32_e32 v9, 0
	s_mov_b32 s21, exec_lo
	s_delay_alu instid0(VALU_DEP_2) | instskip(NEXT) | instid1(VALU_DEP_1)
	v_and_b32_e32 v13, 0xff, v8
	v_cmpx_ne_u16_e32 0, v13
	s_cbranch_execz .LBB448_1968
; %bb.1961:                             ;   in Loop: Header=BB448_13 Depth=1
	v_bfrev_b32_e32 v9, 1
	s_mov_b32 s22, exec_lo
	v_cmpx_ne_u16_e32 0x80, v13
	s_cbranch_execz .LBB448_1967
; %bb.1962:                             ;   in Loop: Header=BB448_13 Depth=1
	v_bfe_u32 v13, v31, 16, 7
	v_mov_b32_e32 v9, 0x7f800001
	s_mov_b32 s23, exec_lo
	s_delay_alu instid0(VALU_DEP_2)
	v_cmpx_ne_u32_e32 0x7f, v13
	s_cbranch_execz .LBB448_1966
; %bb.1963:                             ;   in Loop: Header=BB448_13 Depth=1
	v_and_b32_e32 v18, 7, v8
	v_mov_b32_e32 v34, v19
	v_lshrrev_b32_e32 v9, 3, v13
	s_mov_b32 s24, exec_lo
	s_delay_alu instid0(VALU_DEP_3)
	v_mov_b32_e32 v33, v18
	v_cmpx_gt_u32_e32 8, v13
; %bb.1964:                             ;   in Loop: Header=BB448_13 Depth=1
	v_clz_i32_u32_e32 v9, v18
	s_delay_alu instid0(VALU_DEP_1) | instskip(NEXT) | instid1(VALU_DEP_1)
	v_min_u32_e32 v9, 32, v9
	v_subrev_nc_u32_e32 v13, 28, v9
	v_sub_nc_u32_e32 v9, 29, v9
	s_delay_alu instid0(VALU_DEP_2) | instskip(NEXT) | instid1(VALU_DEP_1)
	v_lshlrev_b64 v[24:25], v13, v[18:19]
	v_and_b32_e32 v33, 7, v24
; %bb.1965:                             ;   in Loop: Header=BB448_13 Depth=1
	s_or_b32 exec_lo, exec_lo, s24
	v_lshlrev_b32_e32 v8, 24, v8
	s_delay_alu instid0(VALU_DEP_2) | instskip(SKIP_1) | instid1(VALU_DEP_3)
	v_lshlrev_b32_e32 v13, 20, v33
	v_lshl_add_u32 v9, v9, 23, 0x3c000000
	v_and_b32_e32 v8, 0x80000000, v8
	s_delay_alu instid0(VALU_DEP_1)
	v_or3_b32 v9, v13, v8, v9
.LBB448_1966:                           ;   in Loop: Header=BB448_13 Depth=1
	s_or_b32 exec_lo, exec_lo, s23
.LBB448_1967:                           ;   in Loop: Header=BB448_13 Depth=1
	s_delay_alu instid0(SALU_CYCLE_1)
	s_or_b32 exec_lo, exec_lo, s22
.LBB448_1968:                           ;   in Loop: Header=BB448_13 Depth=1
	s_delay_alu instid0(SALU_CYCLE_1) | instskip(NEXT) | instid1(VALU_DEP_1)
	s_or_b32 exec_lo, exec_lo, s21
	v_mul_f32_e32 v8, v133, v9
                                        ; implicit-def: $vgpr16
	s_delay_alu instid0(VALU_DEP_1) | instskip(NEXT) | instid1(VALU_DEP_1)
	v_and_b32_e32 v9, 0x7f800000, v8
	v_cmp_ne_u32_e64 s1, 0x7f800000, v9
	s_delay_alu instid0(VALU_DEP_1) | instskip(NEXT) | instid1(SALU_CYCLE_1)
	s_and_saveexec_b32 s21, s1
	s_xor_b32 s1, exec_lo, s21
; %bb.1969:                             ;   in Loop: Header=BB448_13 Depth=1
	v_bfe_u32 v9, v8, 16, 1
	s_delay_alu instid0(VALU_DEP_1)
	v_add3_u32 v16, v8, v9, 0x7fff
                                        ; implicit-def: $vgpr8
; %bb.1970:                             ;   in Loop: Header=BB448_13 Depth=1
	s_and_not1_saveexec_b32 s21, s1
; %bb.1971:                             ;   in Loop: Header=BB448_13 Depth=1
	v_and_b32_e32 v9, 0xffff, v8
	v_or_b32_e32 v13, 0x10000, v8
	s_delay_alu instid0(VALU_DEP_2) | instskip(NEXT) | instid1(VALU_DEP_1)
	v_cmp_eq_u32_e64 s1, 0, v9
	v_cndmask_b32_e64 v16, v13, v8, s1
; %bb.1972:                             ;   in Loop: Header=BB448_13 Depth=1
	s_or_b32 exec_lo, exec_lo, s21
	v_mov_b32_e32 v9, 0
	s_mov_b32 s21, exec_lo
	v_cmpx_lt_u32_e32 0xffffff, v31
	s_cbranch_execz .LBB448_1980
; %bb.1973:                             ;   in Loop: Header=BB448_13 Depth=1
	v_lshrrev_b32_e32 v8, 24, v31
	v_bfrev_b32_e32 v9, 1
	s_mov_b32 s22, exec_lo
	s_delay_alu instid0(VALU_DEP_2)
	v_cmpx_ne_u32_e32 0x80, v8
	s_cbranch_execz .LBB448_1979
; %bb.1974:                             ;   in Loop: Header=BB448_13 Depth=1
	v_bfe_u32 v13, v31, 24, 7
	v_mov_b32_e32 v9, 0x7f800001
	s_mov_b32 s23, exec_lo
	s_delay_alu instid0(VALU_DEP_2)
	v_cmpx_ne_u32_e32 0x7f, v13
	s_cbranch_execz .LBB448_1978
; %bb.1975:                             ;   in Loop: Header=BB448_13 Depth=1
	v_and_b32_e32 v18, 7, v8
	v_mov_b32_e32 v34, v19
	v_lshrrev_b32_e32 v9, 3, v13
	s_mov_b32 s24, exec_lo
	s_delay_alu instid0(VALU_DEP_3)
	v_mov_b32_e32 v33, v18
	v_cmpx_gt_u32_e32 8, v13
; %bb.1976:                             ;   in Loop: Header=BB448_13 Depth=1
	v_clz_i32_u32_e32 v9, v18
	s_delay_alu instid0(VALU_DEP_1) | instskip(NEXT) | instid1(VALU_DEP_1)
	v_min_u32_e32 v9, 32, v9
	v_subrev_nc_u32_e32 v13, 28, v9
	v_sub_nc_u32_e32 v9, 29, v9
	s_delay_alu instid0(VALU_DEP_2) | instskip(NEXT) | instid1(VALU_DEP_1)
	v_lshlrev_b64 v[24:25], v13, v[18:19]
	v_and_b32_e32 v33, 7, v24
; %bb.1977:                             ;   in Loop: Header=BB448_13 Depth=1
	s_or_b32 exec_lo, exec_lo, s24
	v_lshlrev_b32_e32 v8, 24, v8
	s_delay_alu instid0(VALU_DEP_2) | instskip(SKIP_1) | instid1(VALU_DEP_3)
	v_lshlrev_b32_e32 v13, 20, v33
	v_lshl_add_u32 v9, v9, 23, 0x3c000000
	v_and_b32_e32 v8, 0x80000000, v8
	s_delay_alu instid0(VALU_DEP_1)
	v_or3_b32 v9, v13, v8, v9
.LBB448_1978:                           ;   in Loop: Header=BB448_13 Depth=1
	s_or_b32 exec_lo, exec_lo, s23
.LBB448_1979:                           ;   in Loop: Header=BB448_13 Depth=1
	s_delay_alu instid0(SALU_CYCLE_1)
	s_or_b32 exec_lo, exec_lo, s22
.LBB448_1980:                           ;   in Loop: Header=BB448_13 Depth=1
	s_delay_alu instid0(SALU_CYCLE_1) | instskip(NEXT) | instid1(VALU_DEP_1)
	s_or_b32 exec_lo, exec_lo, s21
	v_mul_f32_e32 v8, v133, v9
                                        ; implicit-def: $vgpr114
	s_delay_alu instid0(VALU_DEP_1) | instskip(NEXT) | instid1(VALU_DEP_1)
	v_and_b32_e32 v9, 0x7f800000, v8
	v_cmp_ne_u32_e64 s1, 0x7f800000, v9
	s_delay_alu instid0(VALU_DEP_1) | instskip(NEXT) | instid1(SALU_CYCLE_1)
	s_and_saveexec_b32 s21, s1
	s_xor_b32 s1, exec_lo, s21
; %bb.1981:                             ;   in Loop: Header=BB448_13 Depth=1
	v_bfe_u32 v9, v8, 16, 1
	s_delay_alu instid0(VALU_DEP_1)
	v_add3_u32 v114, v8, v9, 0x7fff
                                        ; implicit-def: $vgpr8
; %bb.1982:                             ;   in Loop: Header=BB448_13 Depth=1
	s_and_not1_saveexec_b32 s21, s1
; %bb.1983:                             ;   in Loop: Header=BB448_13 Depth=1
	v_and_b32_e32 v9, 0xffff, v8
	v_or_b32_e32 v13, 0x10000, v8
	s_delay_alu instid0(VALU_DEP_2) | instskip(NEXT) | instid1(VALU_DEP_1)
	v_cmp_eq_u32_e64 s1, 0, v9
	v_cndmask_b32_e64 v114, v13, v8, s1
; %bb.1984:                             ;   in Loop: Header=BB448_13 Depth=1
	s_or_b32 exec_lo, exec_lo, s21
	v_dual_mov_b32 v18, v32 :: v_dual_and_b32 v9, 0xff, v32
	v_mov_b32_e32 v8, 0
	s_mov_b32 s21, exec_lo
	s_delay_alu instid0(VALU_DEP_2)
	v_cmpx_ne_u16_e32 0, v9
	s_cbranch_execz .LBB448_1992
; %bb.1985:                             ;   in Loop: Header=BB448_13 Depth=1
	v_bfrev_b32_e32 v8, 1
	s_mov_b32 s22, exec_lo
	v_cmpx_ne_u16_e32 0x80, v9
	s_cbranch_execz .LBB448_1991
; %bb.1986:                             ;   in Loop: Header=BB448_13 Depth=1
	v_and_b32_e32 v9, 0x7f, v32
	v_mov_b32_e32 v8, 0x7f800001
	s_mov_b32 s23, exec_lo
	s_delay_alu instid0(VALU_DEP_2)
	v_cmpx_ne_u32_e32 0x7f, v9
	s_cbranch_execz .LBB448_1990
; %bb.1987:                             ;   in Loop: Header=BB448_13 Depth=1
	v_dual_mov_b32 v34, v19 :: v_dual_mov_b32 v33, v18
	v_lshrrev_b32_e32 v8, 3, v9
	s_mov_b32 s24, exec_lo
	v_cmpx_gt_u32_e32 8, v9
; %bb.1988:                             ;   in Loop: Header=BB448_13 Depth=1
	v_and_b32_e32 v8, 7, v32
	s_delay_alu instid0(VALU_DEP_1) | instskip(NEXT) | instid1(VALU_DEP_1)
	v_clz_i32_u32_e32 v8, v8
	v_min_u32_e32 v8, 32, v8
	s_delay_alu instid0(VALU_DEP_1) | instskip(SKIP_1) | instid1(VALU_DEP_2)
	v_subrev_nc_u32_e32 v9, 28, v8
	v_sub_nc_u32_e32 v8, 29, v8
	v_lshlrev_b64 v[33:34], v9, v[18:19]
; %bb.1989:                             ;   in Loop: Header=BB448_13 Depth=1
	s_or_b32 exec_lo, exec_lo, s24
	s_delay_alu instid0(VALU_DEP_1) | instskip(SKIP_2) | instid1(VALU_DEP_3)
	v_lshlrev_b32_e32 v9, 20, v33
	v_lshlrev_b32_e32 v13, 24, v18
	v_lshl_add_u32 v8, v8, 23, 0x3c000000
	v_and_b32_e32 v9, 0x700000, v9
	s_delay_alu instid0(VALU_DEP_3) | instskip(NEXT) | instid1(VALU_DEP_1)
	v_and_b32_e32 v13, 0x80000000, v13
	v_or3_b32 v8, v9, v13, v8
.LBB448_1990:                           ;   in Loop: Header=BB448_13 Depth=1
	s_or_b32 exec_lo, exec_lo, s23
.LBB448_1991:                           ;   in Loop: Header=BB448_13 Depth=1
	s_delay_alu instid0(SALU_CYCLE_1)
	s_or_b32 exec_lo, exec_lo, s22
.LBB448_1992:                           ;   in Loop: Header=BB448_13 Depth=1
	s_delay_alu instid0(SALU_CYCLE_1) | instskip(NEXT) | instid1(VALU_DEP_1)
	s_or_b32 exec_lo, exec_lo, s21
	v_mul_f32_e32 v8, v133, v8
                                        ; implicit-def: $vgpr118
	s_delay_alu instid0(VALU_DEP_1) | instskip(NEXT) | instid1(VALU_DEP_1)
	v_and_b32_e32 v9, 0x7f800000, v8
	v_cmp_ne_u32_e64 s1, 0x7f800000, v9
	s_delay_alu instid0(VALU_DEP_1) | instskip(NEXT) | instid1(SALU_CYCLE_1)
	s_and_saveexec_b32 s21, s1
	s_xor_b32 s1, exec_lo, s21
; %bb.1993:                             ;   in Loop: Header=BB448_13 Depth=1
	v_bfe_u32 v9, v8, 16, 1
	s_delay_alu instid0(VALU_DEP_1)
	v_add3_u32 v118, v8, v9, 0x7fff
                                        ; implicit-def: $vgpr8
; %bb.1994:                             ;   in Loop: Header=BB448_13 Depth=1
	s_and_not1_saveexec_b32 s21, s1
; %bb.1995:                             ;   in Loop: Header=BB448_13 Depth=1
	v_and_b32_e32 v9, 0xffff, v8
	v_or_b32_e32 v13, 0x10000, v8
	s_delay_alu instid0(VALU_DEP_2) | instskip(NEXT) | instid1(VALU_DEP_1)
	v_cmp_eq_u32_e64 s1, 0, v9
	v_cndmask_b32_e64 v118, v13, v8, s1
; %bb.1996:                             ;   in Loop: Header=BB448_13 Depth=1
	s_or_b32 exec_lo, exec_lo, s21
	v_lshrrev_b16 v9, 8, v18
	v_mov_b32_e32 v8, 0
	s_mov_b32 s21, exec_lo
	s_delay_alu instid0(VALU_DEP_2)
	v_cmpx_ne_u16_e32 0, v9
	s_cbranch_execz .LBB448_2004
; %bb.1997:                             ;   in Loop: Header=BB448_13 Depth=1
	v_bfrev_b32_e32 v8, 1
	s_mov_b32 s22, exec_lo
	v_cmpx_ne_u16_e32 0x80, v9
	s_cbranch_execz .LBB448_2003
; %bb.1998:                             ;   in Loop: Header=BB448_13 Depth=1
	v_and_b32_e32 v13, 0xffff, v9
	v_mov_b32_e32 v8, 0x7f800001
	s_mov_b32 s23, exec_lo
	s_delay_alu instid0(VALU_DEP_2) | instskip(NEXT) | instid1(VALU_DEP_1)
	v_and_b32_e32 v9, 0x7f, v13
	v_cmpx_ne_u32_e32 0x7f, v9
	s_cbranch_execz .LBB448_2002
; %bb.1999:                             ;   in Loop: Header=BB448_13 Depth=1
	v_dual_mov_b32 v34, v19 :: v_dual_and_b32 v33, 7, v13
	v_lshrrev_b32_e32 v8, 3, v9
	s_mov_b32 s24, exec_lo
	v_cmpx_gt_u32_e32 8, v9
; %bb.2000:                             ;   in Loop: Header=BB448_13 Depth=1
	s_delay_alu instid0(VALU_DEP_3) | instskip(NEXT) | instid1(VALU_DEP_1)
	v_clz_i32_u32_e32 v8, v33
	v_min_u32_e32 v8, 32, v8
	s_delay_alu instid0(VALU_DEP_1) | instskip(SKIP_1) | instid1(VALU_DEP_2)
	v_subrev_nc_u32_e32 v9, 28, v8
	v_sub_nc_u32_e32 v8, 29, v8
	v_lshlrev_b64 v[24:25], v9, v[33:34]
	s_delay_alu instid0(VALU_DEP_1)
	v_and_b32_e32 v33, 7, v24
; %bb.2001:                             ;   in Loop: Header=BB448_13 Depth=1
	s_or_b32 exec_lo, exec_lo, s24
	v_lshlrev_b32_e32 v9, 16, v18
	s_delay_alu instid0(VALU_DEP_2) | instskip(SKIP_1) | instid1(VALU_DEP_3)
	v_lshlrev_b32_e32 v13, 20, v33
	v_lshl_add_u32 v8, v8, 23, 0x3c000000
	v_and_b32_e32 v9, 0x80000000, v9
	s_delay_alu instid0(VALU_DEP_1)
	v_or3_b32 v8, v13, v9, v8
.LBB448_2002:                           ;   in Loop: Header=BB448_13 Depth=1
	s_or_b32 exec_lo, exec_lo, s23
.LBB448_2003:                           ;   in Loop: Header=BB448_13 Depth=1
	s_delay_alu instid0(SALU_CYCLE_1)
	s_or_b32 exec_lo, exec_lo, s22
.LBB448_2004:                           ;   in Loop: Header=BB448_13 Depth=1
	s_delay_alu instid0(SALU_CYCLE_1) | instskip(NEXT) | instid1(VALU_DEP_1)
	s_or_b32 exec_lo, exec_lo, s21
	v_mul_f32_e32 v8, v133, v8
                                        ; implicit-def: $vgpr129
	s_delay_alu instid0(VALU_DEP_1) | instskip(NEXT) | instid1(VALU_DEP_1)
	v_and_b32_e32 v9, 0x7f800000, v8
	v_cmp_ne_u32_e64 s1, 0x7f800000, v9
	s_delay_alu instid0(VALU_DEP_1) | instskip(NEXT) | instid1(SALU_CYCLE_1)
	s_and_saveexec_b32 s21, s1
	s_xor_b32 s1, exec_lo, s21
; %bb.2005:                             ;   in Loop: Header=BB448_13 Depth=1
	v_bfe_u32 v9, v8, 16, 1
	s_delay_alu instid0(VALU_DEP_1)
	v_add3_u32 v129, v8, v9, 0x7fff
                                        ; implicit-def: $vgpr8
; %bb.2006:                             ;   in Loop: Header=BB448_13 Depth=1
	s_and_not1_saveexec_b32 s21, s1
; %bb.2007:                             ;   in Loop: Header=BB448_13 Depth=1
	v_and_b32_e32 v9, 0xffff, v8
	v_or_b32_e32 v13, 0x10000, v8
	s_delay_alu instid0(VALU_DEP_2) | instskip(NEXT) | instid1(VALU_DEP_1)
	v_cmp_eq_u32_e64 s1, 0, v9
	v_cndmask_b32_e64 v129, v13, v8, s1
; %bb.2008:                             ;   in Loop: Header=BB448_13 Depth=1
	s_or_b32 exec_lo, exec_lo, s21
	v_lshrrev_b32_e32 v8, 16, v32
	v_mov_b32_e32 v9, 0
	s_mov_b32 s21, exec_lo
	s_delay_alu instid0(VALU_DEP_2) | instskip(NEXT) | instid1(VALU_DEP_1)
	v_and_b32_e32 v13, 0xff, v8
	v_cmpx_ne_u16_e32 0, v13
	s_cbranch_execz .LBB448_2016
; %bb.2009:                             ;   in Loop: Header=BB448_13 Depth=1
	v_bfrev_b32_e32 v9, 1
	s_mov_b32 s22, exec_lo
	v_cmpx_ne_u16_e32 0x80, v13
	s_cbranch_execz .LBB448_2015
; %bb.2010:                             ;   in Loop: Header=BB448_13 Depth=1
	v_bfe_u32 v13, v32, 16, 7
	v_mov_b32_e32 v9, 0x7f800001
	s_mov_b32 s23, exec_lo
	s_delay_alu instid0(VALU_DEP_2)
	v_cmpx_ne_u32_e32 0x7f, v13
	s_cbranch_execz .LBB448_2014
; %bb.2011:                             ;   in Loop: Header=BB448_13 Depth=1
	v_and_b32_e32 v18, 7, v8
	v_mov_b32_e32 v34, v19
	v_lshrrev_b32_e32 v9, 3, v13
	s_mov_b32 s24, exec_lo
	s_delay_alu instid0(VALU_DEP_3)
	v_mov_b32_e32 v33, v18
	v_cmpx_gt_u32_e32 8, v13
; %bb.2012:                             ;   in Loop: Header=BB448_13 Depth=1
	v_clz_i32_u32_e32 v9, v18
	s_delay_alu instid0(VALU_DEP_1) | instskip(NEXT) | instid1(VALU_DEP_1)
	v_min_u32_e32 v9, 32, v9
	v_subrev_nc_u32_e32 v13, 28, v9
	v_sub_nc_u32_e32 v9, 29, v9
	s_delay_alu instid0(VALU_DEP_2) | instskip(NEXT) | instid1(VALU_DEP_1)
	v_lshlrev_b64 v[24:25], v13, v[18:19]
	v_and_b32_e32 v33, 7, v24
; %bb.2013:                             ;   in Loop: Header=BB448_13 Depth=1
	s_or_b32 exec_lo, exec_lo, s24
	v_lshlrev_b32_e32 v8, 24, v8
	s_delay_alu instid0(VALU_DEP_2) | instskip(SKIP_1) | instid1(VALU_DEP_3)
	v_lshlrev_b32_e32 v13, 20, v33
	v_lshl_add_u32 v9, v9, 23, 0x3c000000
	v_and_b32_e32 v8, 0x80000000, v8
	s_delay_alu instid0(VALU_DEP_1)
	v_or3_b32 v9, v13, v8, v9
.LBB448_2014:                           ;   in Loop: Header=BB448_13 Depth=1
	s_or_b32 exec_lo, exec_lo, s23
.LBB448_2015:                           ;   in Loop: Header=BB448_13 Depth=1
	s_delay_alu instid0(SALU_CYCLE_1)
	s_or_b32 exec_lo, exec_lo, s22
.LBB448_2016:                           ;   in Loop: Header=BB448_13 Depth=1
	s_delay_alu instid0(SALU_CYCLE_1) | instskip(NEXT) | instid1(VALU_DEP_1)
	s_or_b32 exec_lo, exec_lo, s21
	v_mul_f32_e32 v8, v133, v9
                                        ; implicit-def: $vgpr117
	s_delay_alu instid0(VALU_DEP_1) | instskip(NEXT) | instid1(VALU_DEP_1)
	v_and_b32_e32 v9, 0x7f800000, v8
	v_cmp_ne_u32_e64 s1, 0x7f800000, v9
	s_delay_alu instid0(VALU_DEP_1) | instskip(NEXT) | instid1(SALU_CYCLE_1)
	s_and_saveexec_b32 s21, s1
	s_xor_b32 s1, exec_lo, s21
; %bb.2017:                             ;   in Loop: Header=BB448_13 Depth=1
	v_bfe_u32 v9, v8, 16, 1
	s_delay_alu instid0(VALU_DEP_1)
	v_add3_u32 v117, v8, v9, 0x7fff
                                        ; implicit-def: $vgpr8
; %bb.2018:                             ;   in Loop: Header=BB448_13 Depth=1
	s_and_not1_saveexec_b32 s21, s1
; %bb.2019:                             ;   in Loop: Header=BB448_13 Depth=1
	v_and_b32_e32 v9, 0xffff, v8
	v_or_b32_e32 v13, 0x10000, v8
	s_delay_alu instid0(VALU_DEP_2) | instskip(NEXT) | instid1(VALU_DEP_1)
	v_cmp_eq_u32_e64 s1, 0, v9
	v_cndmask_b32_e64 v117, v13, v8, s1
; %bb.2020:                             ;   in Loop: Header=BB448_13 Depth=1
	s_or_b32 exec_lo, exec_lo, s21
	v_mov_b32_e32 v9, 0
	s_mov_b32 s21, exec_lo
	v_cmpx_lt_u64_e64 s[16:17], v[31:32]
	s_cbranch_execz .LBB448_2028
; %bb.2021:                             ;   in Loop: Header=BB448_13 Depth=1
	v_lshrrev_b32_e32 v8, 24, v32
	v_bfrev_b32_e32 v9, 1
	s_mov_b32 s22, exec_lo
	s_delay_alu instid0(VALU_DEP_2)
	v_cmpx_ne_u32_e32 0x80, v8
	s_cbranch_execz .LBB448_2027
; %bb.2022:                             ;   in Loop: Header=BB448_13 Depth=1
	v_bfe_u32 v13, v32, 24, 7
	v_mov_b32_e32 v9, 0x7f800001
	s_mov_b32 s23, exec_lo
	s_delay_alu instid0(VALU_DEP_2)
	v_cmpx_ne_u32_e32 0x7f, v13
	s_cbranch_execz .LBB448_2026
; %bb.2023:                             ;   in Loop: Header=BB448_13 Depth=1
	v_and_b32_e32 v18, 7, v8
	v_mov_b32_e32 v32, v19
	v_lshrrev_b32_e32 v9, 3, v13
	s_mov_b32 s24, exec_lo
	s_delay_alu instid0(VALU_DEP_3)
	v_mov_b32_e32 v31, v18
	v_cmpx_gt_u32_e32 8, v13
; %bb.2024:                             ;   in Loop: Header=BB448_13 Depth=1
	v_clz_i32_u32_e32 v9, v18
	s_delay_alu instid0(VALU_DEP_1) | instskip(NEXT) | instid1(VALU_DEP_1)
	v_min_u32_e32 v9, 32, v9
	v_subrev_nc_u32_e32 v13, 28, v9
	v_sub_nc_u32_e32 v9, 29, v9
	s_delay_alu instid0(VALU_DEP_2) | instskip(NEXT) | instid1(VALU_DEP_1)
	v_lshlrev_b64 v[24:25], v13, v[18:19]
	v_and_b32_e32 v31, 7, v24
; %bb.2025:                             ;   in Loop: Header=BB448_13 Depth=1
	s_or_b32 exec_lo, exec_lo, s24
	v_lshlrev_b32_e32 v8, 24, v8
	s_delay_alu instid0(VALU_DEP_2) | instskip(SKIP_1) | instid1(VALU_DEP_3)
	v_lshlrev_b32_e32 v13, 20, v31
	v_lshl_add_u32 v9, v9, 23, 0x3c000000
	v_and_b32_e32 v8, 0x80000000, v8
	s_delay_alu instid0(VALU_DEP_1)
	v_or3_b32 v9, v13, v8, v9
.LBB448_2026:                           ;   in Loop: Header=BB448_13 Depth=1
	s_or_b32 exec_lo, exec_lo, s23
.LBB448_2027:                           ;   in Loop: Header=BB448_13 Depth=1
	s_delay_alu instid0(SALU_CYCLE_1)
	s_or_b32 exec_lo, exec_lo, s22
.LBB448_2028:                           ;   in Loop: Header=BB448_13 Depth=1
	s_delay_alu instid0(SALU_CYCLE_1) | instskip(NEXT) | instid1(VALU_DEP_1)
	s_or_b32 exec_lo, exec_lo, s21
	v_mul_f32_e32 v9, v133, v9
	s_delay_alu instid0(VALU_DEP_1) | instskip(NEXT) | instid1(VALU_DEP_1)
	v_and_b32_e32 v8, 0x7f800000, v9
	v_cmp_ne_u32_e64 s1, 0x7f800000, v8
                                        ; implicit-def: $vgpr8
	s_delay_alu instid0(VALU_DEP_1) | instskip(NEXT) | instid1(SALU_CYCLE_1)
	s_and_saveexec_b32 s21, s1
	s_xor_b32 s1, exec_lo, s21
; %bb.2029:                             ;   in Loop: Header=BB448_13 Depth=1
	v_bfe_u32 v8, v9, 16, 1
	s_delay_alu instid0(VALU_DEP_1)
	v_add3_u32 v8, v9, v8, 0x7fff
                                        ; implicit-def: $vgpr9
; %bb.2030:                             ;   in Loop: Header=BB448_13 Depth=1
	s_and_not1_saveexec_b32 s21, s1
; %bb.2031:                             ;   in Loop: Header=BB448_13 Depth=1
	v_and_b32_e32 v8, 0xffff, v9
	v_or_b32_e32 v13, 0x10000, v9
	s_delay_alu instid0(VALU_DEP_2) | instskip(NEXT) | instid1(VALU_DEP_1)
	v_cmp_eq_u32_e64 s1, 0, v8
	v_cndmask_b32_e64 v8, v13, v9, s1
; %bb.2032:                             ;   in Loop: Header=BB448_13 Depth=1
	s_or_b32 exec_lo, exec_lo, s21
	flat_load_b64 v[31:32], v[28:29] offset:1032
	v_mov_b32_e32 v9, 0
	s_mov_b32 s21, exec_lo
	s_waitcnt vmcnt(0) lgkmcnt(0)
	v_and_b32_e32 v13, 0xff, v31
	s_delay_alu instid0(VALU_DEP_1)
	v_cmpx_ne_u16_e32 0, v13
	s_cbranch_execz .LBB448_2040
; %bb.2033:                             ;   in Loop: Header=BB448_13 Depth=1
	v_bfrev_b32_e32 v9, 1
	s_mov_b32 s22, exec_lo
	v_cmpx_ne_u16_e32 0x80, v13
	s_cbranch_execz .LBB448_2039
; %bb.2034:                             ;   in Loop: Header=BB448_13 Depth=1
	v_and_b32_e32 v13, 0x7f, v31
	v_mov_b32_e32 v9, 0x7f800001
	s_mov_b32 s23, exec_lo
	s_delay_alu instid0(VALU_DEP_2)
	v_cmpx_ne_u32_e32 0x7f, v13
	s_cbranch_execz .LBB448_2038
; %bb.2035:                             ;   in Loop: Header=BB448_13 Depth=1
	v_lshrrev_b32_e32 v9, 3, v13
	v_dual_mov_b32 v34, v32 :: v_dual_mov_b32 v33, v31
	s_mov_b32 s24, exec_lo
	v_cmpx_gt_u32_e32 8, v13
; %bb.2036:                             ;   in Loop: Header=BB448_13 Depth=1
	v_and_b32_e32 v9, 7, v31
	s_delay_alu instid0(VALU_DEP_1) | instskip(NEXT) | instid1(VALU_DEP_1)
	v_clz_i32_u32_e32 v9, v9
	v_min_u32_e32 v9, 32, v9
	s_delay_alu instid0(VALU_DEP_1) | instskip(SKIP_1) | instid1(VALU_DEP_2)
	v_subrev_nc_u32_e32 v13, 28, v9
	v_sub_nc_u32_e32 v9, 29, v9
	v_lshlrev_b64 v[33:34], v13, v[31:32]
; %bb.2037:                             ;   in Loop: Header=BB448_13 Depth=1
	s_or_b32 exec_lo, exec_lo, s24
	s_delay_alu instid0(VALU_DEP_1) | instskip(SKIP_2) | instid1(VALU_DEP_3)
	v_lshlrev_b32_e32 v13, 20, v33
	v_lshlrev_b32_e32 v18, 24, v31
	v_lshl_add_u32 v9, v9, 23, 0x3c000000
	v_and_b32_e32 v13, 0x700000, v13
	s_delay_alu instid0(VALU_DEP_3) | instskip(NEXT) | instid1(VALU_DEP_1)
	v_and_b32_e32 v18, 0x80000000, v18
	v_or3_b32 v9, v13, v18, v9
.LBB448_2038:                           ;   in Loop: Header=BB448_13 Depth=1
	s_or_b32 exec_lo, exec_lo, s23
.LBB448_2039:                           ;   in Loop: Header=BB448_13 Depth=1
	s_delay_alu instid0(SALU_CYCLE_1)
	s_or_b32 exec_lo, exec_lo, s22
.LBB448_2040:                           ;   in Loop: Header=BB448_13 Depth=1
	s_delay_alu instid0(SALU_CYCLE_1) | instskip(NEXT) | instid1(VALU_DEP_1)
	s_or_b32 exec_lo, exec_lo, s21
	v_mul_f32_e32 v13, v133, v9
	s_delay_alu instid0(VALU_DEP_1) | instskip(NEXT) | instid1(VALU_DEP_1)
	v_and_b32_e32 v9, 0x7f800000, v13
	v_cmp_ne_u32_e64 s1, 0x7f800000, v9
                                        ; implicit-def: $vgpr9
	s_delay_alu instid0(VALU_DEP_1) | instskip(NEXT) | instid1(SALU_CYCLE_1)
	s_and_saveexec_b32 s21, s1
	s_xor_b32 s1, exec_lo, s21
; %bb.2041:                             ;   in Loop: Header=BB448_13 Depth=1
	v_bfe_u32 v9, v13, 16, 1
	s_delay_alu instid0(VALU_DEP_1)
	v_add3_u32 v9, v13, v9, 0x7fff
                                        ; implicit-def: $vgpr13
; %bb.2042:                             ;   in Loop: Header=BB448_13 Depth=1
	s_and_not1_saveexec_b32 s21, s1
; %bb.2043:                             ;   in Loop: Header=BB448_13 Depth=1
	v_and_b32_e32 v9, 0xffff, v13
	v_or_b32_e32 v18, 0x10000, v13
	s_delay_alu instid0(VALU_DEP_2) | instskip(NEXT) | instid1(VALU_DEP_1)
	v_cmp_eq_u32_e64 s1, 0, v9
	v_cndmask_b32_e64 v9, v18, v13, s1
; %bb.2044:                             ;   in Loop: Header=BB448_13 Depth=1
	s_or_b32 exec_lo, exec_lo, s21
	v_lshrrev_b16 v18, 8, v31
	v_mov_b32_e32 v13, 0
	s_mov_b32 s21, exec_lo
	s_delay_alu instid0(VALU_DEP_2)
	v_cmpx_ne_u16_e32 0, v18
	s_cbranch_execz .LBB448_2052
; %bb.2045:                             ;   in Loop: Header=BB448_13 Depth=1
	v_bfrev_b32_e32 v13, 1
	s_mov_b32 s22, exec_lo
	v_cmpx_ne_u16_e32 0x80, v18
	s_cbranch_execz .LBB448_2051
; %bb.2046:                             ;   in Loop: Header=BB448_13 Depth=1
	v_and_b32_e32 v18, 0xffff, v18
	v_mov_b32_e32 v13, 0x7f800001
	s_mov_b32 s23, exec_lo
	s_delay_alu instid0(VALU_DEP_2) | instskip(NEXT) | instid1(VALU_DEP_1)
	v_and_b32_e32 v24, 0x7f, v18
	v_cmpx_ne_u32_e32 0x7f, v24
	s_cbranch_execz .LBB448_2050
; %bb.2047:                             ;   in Loop: Header=BB448_13 Depth=1
	v_and_b32_e32 v18, 7, v18
	v_mov_b32_e32 v34, v19
	v_lshrrev_b32_e32 v13, 3, v24
	s_mov_b32 s24, exec_lo
	s_delay_alu instid0(VALU_DEP_3)
	v_mov_b32_e32 v33, v18
	v_cmpx_gt_u32_e32 8, v24
; %bb.2048:                             ;   in Loop: Header=BB448_13 Depth=1
	v_clz_i32_u32_e32 v13, v18
	s_delay_alu instid0(VALU_DEP_1) | instskip(NEXT) | instid1(VALU_DEP_1)
	v_min_u32_e32 v13, 32, v13
	v_subrev_nc_u32_e32 v24, 28, v13
	v_sub_nc_u32_e32 v13, 29, v13
	s_delay_alu instid0(VALU_DEP_2) | instskip(NEXT) | instid1(VALU_DEP_1)
	v_lshlrev_b64 v[24:25], v24, v[18:19]
	v_and_b32_e32 v33, 7, v24
; %bb.2049:                             ;   in Loop: Header=BB448_13 Depth=1
	s_or_b32 exec_lo, exec_lo, s24
	v_lshlrev_b32_e32 v18, 16, v31
	s_delay_alu instid0(VALU_DEP_2) | instskip(SKIP_1) | instid1(VALU_DEP_3)
	v_lshlrev_b32_e32 v24, 20, v33
	v_lshl_add_u32 v13, v13, 23, 0x3c000000
	v_and_b32_e32 v18, 0x80000000, v18
	s_delay_alu instid0(VALU_DEP_1)
	v_or3_b32 v13, v24, v18, v13
.LBB448_2050:                           ;   in Loop: Header=BB448_13 Depth=1
	s_or_b32 exec_lo, exec_lo, s23
.LBB448_2051:                           ;   in Loop: Header=BB448_13 Depth=1
	s_delay_alu instid0(SALU_CYCLE_1)
	s_or_b32 exec_lo, exec_lo, s22
.LBB448_2052:                           ;   in Loop: Header=BB448_13 Depth=1
	s_delay_alu instid0(SALU_CYCLE_1) | instskip(NEXT) | instid1(VALU_DEP_1)
	s_or_b32 exec_lo, exec_lo, s21
	v_mul_f32_e32 v13, v133, v13
                                        ; implicit-def: $vgpr51
	s_delay_alu instid0(VALU_DEP_1) | instskip(NEXT) | instid1(VALU_DEP_1)
	v_and_b32_e32 v18, 0x7f800000, v13
	v_cmp_ne_u32_e64 s1, 0x7f800000, v18
	s_delay_alu instid0(VALU_DEP_1) | instskip(NEXT) | instid1(SALU_CYCLE_1)
	s_and_saveexec_b32 s21, s1
	s_xor_b32 s1, exec_lo, s21
; %bb.2053:                             ;   in Loop: Header=BB448_13 Depth=1
	v_bfe_u32 v18, v13, 16, 1
	s_delay_alu instid0(VALU_DEP_1)
	v_add3_u32 v51, v13, v18, 0x7fff
                                        ; implicit-def: $vgpr13
; %bb.2054:                             ;   in Loop: Header=BB448_13 Depth=1
	s_and_not1_saveexec_b32 s21, s1
; %bb.2055:                             ;   in Loop: Header=BB448_13 Depth=1
	v_and_b32_e32 v18, 0xffff, v13
	v_or_b32_e32 v24, 0x10000, v13
	s_delay_alu instid0(VALU_DEP_2) | instskip(NEXT) | instid1(VALU_DEP_1)
	v_cmp_eq_u32_e64 s1, 0, v18
	v_cndmask_b32_e64 v51, v24, v13, s1
; %bb.2056:                             ;   in Loop: Header=BB448_13 Depth=1
	s_or_b32 exec_lo, exec_lo, s21
	v_lshrrev_b32_e32 v13, 16, v31
	v_mov_b32_e32 v18, 0
	s_mov_b32 s21, exec_lo
	s_delay_alu instid0(VALU_DEP_2) | instskip(NEXT) | instid1(VALU_DEP_1)
	v_and_b32_e32 v24, 0xff, v13
	v_cmpx_ne_u16_e32 0, v24
	s_cbranch_execz .LBB448_2064
; %bb.2057:                             ;   in Loop: Header=BB448_13 Depth=1
	v_bfrev_b32_e32 v18, 1
	s_mov_b32 s22, exec_lo
	v_cmpx_ne_u16_e32 0x80, v24
	s_cbranch_execz .LBB448_2063
; %bb.2058:                             ;   in Loop: Header=BB448_13 Depth=1
	v_bfe_u32 v25, v31, 16, 7
	v_mov_b32_e32 v18, 0x7f800001
	s_mov_b32 s23, exec_lo
	s_delay_alu instid0(VALU_DEP_2)
	v_cmpx_ne_u32_e32 0x7f, v25
	s_cbranch_execz .LBB448_2062
; %bb.2059:                             ;   in Loop: Header=BB448_13 Depth=1
	v_and_b32_e32 v18, 7, v13
	v_mov_b32_e32 v34, v19
	v_lshrrev_b32_e32 v24, 3, v25
	s_mov_b32 s24, exec_lo
	s_delay_alu instid0(VALU_DEP_3)
	v_mov_b32_e32 v33, v18
	v_cmpx_gt_u32_e32 8, v25
; %bb.2060:                             ;   in Loop: Header=BB448_13 Depth=1
	v_clz_i32_u32_e32 v24, v18
	s_delay_alu instid0(VALU_DEP_1) | instskip(NEXT) | instid1(VALU_DEP_1)
	v_min_u32_e32 v24, 32, v24
	v_subrev_nc_u32_e32 v25, 28, v24
	v_sub_nc_u32_e32 v24, 29, v24
	s_delay_alu instid0(VALU_DEP_2) | instskip(NEXT) | instid1(VALU_DEP_1)
	v_lshlrev_b64 v[33:34], v25, v[18:19]
	v_and_b32_e32 v33, 7, v33
; %bb.2061:                             ;   in Loop: Header=BB448_13 Depth=1
	s_or_b32 exec_lo, exec_lo, s24
	v_lshlrev_b32_e32 v13, 24, v13
	s_delay_alu instid0(VALU_DEP_2) | instskip(SKIP_1) | instid1(VALU_DEP_3)
	v_lshlrev_b32_e32 v18, 20, v33
	v_lshl_add_u32 v24, v24, 23, 0x3c000000
	v_and_b32_e32 v13, 0x80000000, v13
	s_delay_alu instid0(VALU_DEP_1)
	v_or3_b32 v18, v18, v13, v24
.LBB448_2062:                           ;   in Loop: Header=BB448_13 Depth=1
	s_or_b32 exec_lo, exec_lo, s23
.LBB448_2063:                           ;   in Loop: Header=BB448_13 Depth=1
	s_delay_alu instid0(SALU_CYCLE_1)
	s_or_b32 exec_lo, exec_lo, s22
.LBB448_2064:                           ;   in Loop: Header=BB448_13 Depth=1
	s_delay_alu instid0(SALU_CYCLE_1) | instskip(NEXT) | instid1(VALU_DEP_1)
	s_or_b32 exec_lo, exec_lo, s21
	v_mul_f32_e32 v13, v133, v18
                                        ; implicit-def: $vgpr131
	s_delay_alu instid0(VALU_DEP_1) | instskip(NEXT) | instid1(VALU_DEP_1)
	v_and_b32_e32 v18, 0x7f800000, v13
	v_cmp_ne_u32_e64 s1, 0x7f800000, v18
	s_delay_alu instid0(VALU_DEP_1) | instskip(NEXT) | instid1(SALU_CYCLE_1)
	s_and_saveexec_b32 s21, s1
	s_xor_b32 s1, exec_lo, s21
; %bb.2065:                             ;   in Loop: Header=BB448_13 Depth=1
	v_bfe_u32 v18, v13, 16, 1
	s_delay_alu instid0(VALU_DEP_1)
	v_add3_u32 v131, v13, v18, 0x7fff
                                        ; implicit-def: $vgpr13
; %bb.2066:                             ;   in Loop: Header=BB448_13 Depth=1
	s_and_not1_saveexec_b32 s21, s1
; %bb.2067:                             ;   in Loop: Header=BB448_13 Depth=1
	v_and_b32_e32 v18, 0xffff, v13
	v_or_b32_e32 v24, 0x10000, v13
	s_delay_alu instid0(VALU_DEP_2) | instskip(NEXT) | instid1(VALU_DEP_1)
	v_cmp_eq_u32_e64 s1, 0, v18
	v_cndmask_b32_e64 v131, v24, v13, s1
; %bb.2068:                             ;   in Loop: Header=BB448_13 Depth=1
	s_or_b32 exec_lo, exec_lo, s21
	v_mov_b32_e32 v18, 0
	s_mov_b32 s21, exec_lo
	v_cmpx_lt_u32_e32 0xffffff, v31
	s_cbranch_execz .LBB448_2076
; %bb.2069:                             ;   in Loop: Header=BB448_13 Depth=1
	v_lshrrev_b32_e32 v13, 24, v31
	v_bfrev_b32_e32 v18, 1
	s_mov_b32 s22, exec_lo
	s_delay_alu instid0(VALU_DEP_2)
	v_cmpx_ne_u32_e32 0x80, v13
	s_cbranch_execz .LBB448_2075
; %bb.2070:                             ;   in Loop: Header=BB448_13 Depth=1
	v_bfe_u32 v25, v31, 24, 7
	v_mov_b32_e32 v18, 0x7f800001
	s_mov_b32 s23, exec_lo
	s_delay_alu instid0(VALU_DEP_2)
	v_cmpx_ne_u32_e32 0x7f, v25
	s_cbranch_execz .LBB448_2074
; %bb.2071:                             ;   in Loop: Header=BB448_13 Depth=1
	v_and_b32_e32 v18, 7, v13
	v_mov_b32_e32 v34, v19
	v_lshrrev_b32_e32 v24, 3, v25
	s_mov_b32 s24, exec_lo
	s_delay_alu instid0(VALU_DEP_3)
	v_mov_b32_e32 v33, v18
	v_cmpx_gt_u32_e32 8, v25
; %bb.2072:                             ;   in Loop: Header=BB448_13 Depth=1
	v_clz_i32_u32_e32 v24, v18
	s_delay_alu instid0(VALU_DEP_1) | instskip(NEXT) | instid1(VALU_DEP_1)
	v_min_u32_e32 v24, 32, v24
	v_subrev_nc_u32_e32 v25, 28, v24
	v_sub_nc_u32_e32 v24, 29, v24
	s_delay_alu instid0(VALU_DEP_2) | instskip(NEXT) | instid1(VALU_DEP_1)
	v_lshlrev_b64 v[33:34], v25, v[18:19]
	v_and_b32_e32 v33, 7, v33
; %bb.2073:                             ;   in Loop: Header=BB448_13 Depth=1
	s_or_b32 exec_lo, exec_lo, s24
	v_lshlrev_b32_e32 v13, 24, v13
	s_delay_alu instid0(VALU_DEP_2) | instskip(SKIP_1) | instid1(VALU_DEP_3)
	v_lshlrev_b32_e32 v18, 20, v33
	v_lshl_add_u32 v24, v24, 23, 0x3c000000
	v_and_b32_e32 v13, 0x80000000, v13
	s_delay_alu instid0(VALU_DEP_1)
	v_or3_b32 v18, v18, v13, v24
.LBB448_2074:                           ;   in Loop: Header=BB448_13 Depth=1
	s_or_b32 exec_lo, exec_lo, s23
.LBB448_2075:                           ;   in Loop: Header=BB448_13 Depth=1
	s_delay_alu instid0(SALU_CYCLE_1)
	s_or_b32 exec_lo, exec_lo, s22
.LBB448_2076:                           ;   in Loop: Header=BB448_13 Depth=1
	s_delay_alu instid0(SALU_CYCLE_1) | instskip(NEXT) | instid1(VALU_DEP_1)
	s_or_b32 exec_lo, exec_lo, s21
	v_mul_f32_e32 v18, v133, v18
	s_delay_alu instid0(VALU_DEP_1) | instskip(NEXT) | instid1(VALU_DEP_1)
	v_and_b32_e32 v13, 0x7f800000, v18
	v_cmp_ne_u32_e64 s1, 0x7f800000, v13
                                        ; implicit-def: $vgpr13
	s_delay_alu instid0(VALU_DEP_1) | instskip(NEXT) | instid1(SALU_CYCLE_1)
	s_and_saveexec_b32 s21, s1
	s_xor_b32 s1, exec_lo, s21
; %bb.2077:                             ;   in Loop: Header=BB448_13 Depth=1
	v_bfe_u32 v13, v18, 16, 1
	s_delay_alu instid0(VALU_DEP_1)
	v_add3_u32 v13, v18, v13, 0x7fff
                                        ; implicit-def: $vgpr18
; %bb.2078:                             ;   in Loop: Header=BB448_13 Depth=1
	s_and_not1_saveexec_b32 s21, s1
; %bb.2079:                             ;   in Loop: Header=BB448_13 Depth=1
	v_and_b32_e32 v13, 0xffff, v18
	v_or_b32_e32 v24, 0x10000, v18
	s_delay_alu instid0(VALU_DEP_2) | instskip(NEXT) | instid1(VALU_DEP_1)
	v_cmp_eq_u32_e64 s1, 0, v13
	v_cndmask_b32_e64 v13, v24, v18, s1
; %bb.2080:                             ;   in Loop: Header=BB448_13 Depth=1
	s_or_b32 exec_lo, exec_lo, s21
	v_dual_mov_b32 v18, v32 :: v_dual_and_b32 v25, 0xff, v32
	v_mov_b32_e32 v24, 0
	s_mov_b32 s21, exec_lo
	s_delay_alu instid0(VALU_DEP_2)
	v_cmpx_ne_u16_e32 0, v25
	s_cbranch_execz .LBB448_2088
; %bb.2081:                             ;   in Loop: Header=BB448_13 Depth=1
	v_bfrev_b32_e32 v24, 1
	s_mov_b32 s22, exec_lo
	v_cmpx_ne_u16_e32 0x80, v25
	s_cbranch_execz .LBB448_2087
; %bb.2082:                             ;   in Loop: Header=BB448_13 Depth=1
	v_and_b32_e32 v25, 0x7f, v32
	v_mov_b32_e32 v24, 0x7f800001
	s_mov_b32 s23, exec_lo
	s_delay_alu instid0(VALU_DEP_2)
	v_cmpx_ne_u32_e32 0x7f, v25
	s_cbranch_execz .LBB448_2086
; %bb.2083:                             ;   in Loop: Header=BB448_13 Depth=1
	v_dual_mov_b32 v34, v19 :: v_dual_mov_b32 v33, v18
	v_lshrrev_b32_e32 v24, 3, v25
	s_mov_b32 s24, exec_lo
	v_cmpx_gt_u32_e32 8, v25
; %bb.2084:                             ;   in Loop: Header=BB448_13 Depth=1
	v_and_b32_e32 v24, 7, v32
	s_delay_alu instid0(VALU_DEP_1) | instskip(NEXT) | instid1(VALU_DEP_1)
	v_clz_i32_u32_e32 v24, v24
	v_min_u32_e32 v24, 32, v24
	s_delay_alu instid0(VALU_DEP_1) | instskip(SKIP_1) | instid1(VALU_DEP_2)
	v_subrev_nc_u32_e32 v25, 28, v24
	v_sub_nc_u32_e32 v24, 29, v24
	v_lshlrev_b64 v[33:34], v25, v[18:19]
; %bb.2085:                             ;   in Loop: Header=BB448_13 Depth=1
	s_or_b32 exec_lo, exec_lo, s24
	s_delay_alu instid0(VALU_DEP_1) | instskip(SKIP_2) | instid1(VALU_DEP_3)
	v_lshlrev_b32_e32 v25, 20, v33
	v_lshlrev_b32_e32 v33, 24, v18
	v_lshl_add_u32 v24, v24, 23, 0x3c000000
	v_and_b32_e32 v25, 0x700000, v25
	s_delay_alu instid0(VALU_DEP_3) | instskip(NEXT) | instid1(VALU_DEP_1)
	v_and_b32_e32 v33, 0x80000000, v33
	v_or3_b32 v24, v25, v33, v24
.LBB448_2086:                           ;   in Loop: Header=BB448_13 Depth=1
	s_or_b32 exec_lo, exec_lo, s23
.LBB448_2087:                           ;   in Loop: Header=BB448_13 Depth=1
	s_delay_alu instid0(SALU_CYCLE_1)
	s_or_b32 exec_lo, exec_lo, s22
.LBB448_2088:                           ;   in Loop: Header=BB448_13 Depth=1
	s_delay_alu instid0(SALU_CYCLE_1) | instskip(NEXT) | instid1(VALU_DEP_1)
	s_or_b32 exec_lo, exec_lo, s21
	v_mul_f32_e32 v24, v133, v24
	s_delay_alu instid0(VALU_DEP_1) | instskip(NEXT) | instid1(VALU_DEP_1)
	v_and_b32_e32 v25, 0x7f800000, v24
	v_cmp_ne_u32_e64 s1, 0x7f800000, v25
                                        ; implicit-def: $vgpr25
	s_delay_alu instid0(VALU_DEP_1) | instskip(NEXT) | instid1(SALU_CYCLE_1)
	s_and_saveexec_b32 s21, s1
	s_xor_b32 s1, exec_lo, s21
; %bb.2089:                             ;   in Loop: Header=BB448_13 Depth=1
	v_bfe_u32 v25, v24, 16, 1
	s_delay_alu instid0(VALU_DEP_1)
	v_add3_u32 v25, v24, v25, 0x7fff
                                        ; implicit-def: $vgpr24
; %bb.2090:                             ;   in Loop: Header=BB448_13 Depth=1
	s_and_not1_saveexec_b32 s21, s1
; %bb.2091:                             ;   in Loop: Header=BB448_13 Depth=1
	v_and_b32_e32 v25, 0xffff, v24
	v_or_b32_e32 v33, 0x10000, v24
	s_delay_alu instid0(VALU_DEP_2) | instskip(NEXT) | instid1(VALU_DEP_1)
	v_cmp_eq_u32_e64 s1, 0, v25
	v_cndmask_b32_e64 v25, v33, v24, s1
; %bb.2092:                             ;   in Loop: Header=BB448_13 Depth=1
	s_or_b32 exec_lo, exec_lo, s21
	v_lshrrev_b16 v33, 8, v18
	v_mov_b32_e32 v24, 0
	s_mov_b32 s21, exec_lo
	s_delay_alu instid0(VALU_DEP_2)
	v_cmpx_ne_u16_e32 0, v33
	s_cbranch_execz .LBB448_2100
; %bb.2093:                             ;   in Loop: Header=BB448_13 Depth=1
	v_bfrev_b32_e32 v24, 1
	s_mov_b32 s22, exec_lo
	v_cmpx_ne_u16_e32 0x80, v33
	s_cbranch_execz .LBB448_2099
; %bb.2094:                             ;   in Loop: Header=BB448_13 Depth=1
	v_and_b32_e32 v33, 0xffff, v33
	v_mov_b32_e32 v24, 0x7f800001
	s_mov_b32 s23, exec_lo
	s_delay_alu instid0(VALU_DEP_2) | instskip(NEXT) | instid1(VALU_DEP_1)
	v_and_b32_e32 v132, 0x7f, v33
	v_cmpx_ne_u32_e32 0x7f, v132
	s_cbranch_execz .LBB448_2098
; %bb.2095:                             ;   in Loop: Header=BB448_13 Depth=1
	v_dual_mov_b32 v34, v19 :: v_dual_and_b32 v33, 7, v33
	v_lshrrev_b32_e32 v24, 3, v132
	s_mov_b32 s24, exec_lo
	v_cmpx_gt_u32_e32 8, v132
; %bb.2096:                             ;   in Loop: Header=BB448_13 Depth=1
	s_delay_alu instid0(VALU_DEP_3) | instskip(NEXT) | instid1(VALU_DEP_1)
	v_clz_i32_u32_e32 v24, v33
	v_min_u32_e32 v24, 32, v24
	s_delay_alu instid0(VALU_DEP_1) | instskip(SKIP_1) | instid1(VALU_DEP_2)
	v_subrev_nc_u32_e32 v132, 28, v24
	v_sub_nc_u32_e32 v24, 29, v24
	v_lshlrev_b64 v[33:34], v132, v[33:34]
	s_delay_alu instid0(VALU_DEP_1)
	v_and_b32_e32 v33, 7, v33
; %bb.2097:                             ;   in Loop: Header=BB448_13 Depth=1
	s_or_b32 exec_lo, exec_lo, s24
	v_lshlrev_b32_e32 v18, 16, v18
	s_delay_alu instid0(VALU_DEP_2) | instskip(SKIP_1) | instid1(VALU_DEP_3)
	v_lshlrev_b32_e32 v33, 20, v33
	v_lshl_add_u32 v24, v24, 23, 0x3c000000
	v_and_b32_e32 v18, 0x80000000, v18
	s_delay_alu instid0(VALU_DEP_1)
	v_or3_b32 v24, v33, v18, v24
.LBB448_2098:                           ;   in Loop: Header=BB448_13 Depth=1
	s_or_b32 exec_lo, exec_lo, s23
.LBB448_2099:                           ;   in Loop: Header=BB448_13 Depth=1
	s_delay_alu instid0(SALU_CYCLE_1)
	s_or_b32 exec_lo, exec_lo, s22
.LBB448_2100:                           ;   in Loop: Header=BB448_13 Depth=1
	s_delay_alu instid0(SALU_CYCLE_1) | instskip(NEXT) | instid1(VALU_DEP_1)
	s_or_b32 exec_lo, exec_lo, s21
	v_mul_f32_e32 v18, v133, v24
	s_delay_alu instid0(VALU_DEP_1) | instskip(NEXT) | instid1(VALU_DEP_1)
	v_and_b32_e32 v24, 0x7f800000, v18
	v_cmp_ne_u32_e64 s1, 0x7f800000, v24
                                        ; implicit-def: $vgpr24
	s_delay_alu instid0(VALU_DEP_1) | instskip(NEXT) | instid1(SALU_CYCLE_1)
	s_and_saveexec_b32 s21, s1
	s_xor_b32 s1, exec_lo, s21
; %bb.2101:                             ;   in Loop: Header=BB448_13 Depth=1
	v_bfe_u32 v24, v18, 16, 1
	s_delay_alu instid0(VALU_DEP_1)
	v_add3_u32 v24, v18, v24, 0x7fff
                                        ; implicit-def: $vgpr18
; %bb.2102:                             ;   in Loop: Header=BB448_13 Depth=1
	s_and_not1_saveexec_b32 s21, s1
; %bb.2103:                             ;   in Loop: Header=BB448_13 Depth=1
	v_and_b32_e32 v24, 0xffff, v18
	v_or_b32_e32 v33, 0x10000, v18
	s_delay_alu instid0(VALU_DEP_2) | instskip(NEXT) | instid1(VALU_DEP_1)
	v_cmp_eq_u32_e64 s1, 0, v24
	v_cndmask_b32_e64 v24, v33, v18, s1
; %bb.2104:                             ;   in Loop: Header=BB448_13 Depth=1
	s_or_b32 exec_lo, exec_lo, s21
	v_lshrrev_b32_e32 v132, 16, v32
	s_mov_b32 s21, exec_lo
	s_delay_alu instid0(VALU_DEP_1) | instskip(NEXT) | instid1(VALU_DEP_1)
	v_dual_mov_b32 v18, 0 :: v_dual_and_b32 v33, 0xff, v132
	v_cmpx_ne_u16_e32 0, v33
	s_cbranch_execz .LBB448_2112
; %bb.2105:                             ;   in Loop: Header=BB448_13 Depth=1
	v_bfrev_b32_e32 v18, 1
	s_mov_b32 s22, exec_lo
	v_cmpx_ne_u16_e32 0x80, v33
	s_cbranch_execz .LBB448_2111
; %bb.2106:                             ;   in Loop: Header=BB448_13 Depth=1
	v_bfe_u32 v134, v32, 16, 7
	v_mov_b32_e32 v18, 0x7f800001
	s_mov_b32 s23, exec_lo
	s_delay_alu instid0(VALU_DEP_2)
	v_cmpx_ne_u32_e32 0x7f, v134
	s_cbranch_execz .LBB448_2110
; %bb.2107:                             ;   in Loop: Header=BB448_13 Depth=1
	v_and_b32_e32 v18, 7, v132
	v_mov_b32_e32 v34, v19
	v_lshrrev_b32_e32 v34, 3, v134
	s_mov_b32 s24, exec_lo
	s_delay_alu instid0(VALU_DEP_3)
	v_mov_b32_e32 v33, v18
	v_cmpx_gt_u32_e32 8, v134
; %bb.2108:                             ;   in Loop: Header=BB448_13 Depth=1
	v_clz_i32_u32_e32 v33, v18
	s_delay_alu instid0(VALU_DEP_1) | instskip(NEXT) | instid1(VALU_DEP_1)
	v_min_u32_e32 v134, 32, v33
	v_subrev_nc_u32_e32 v33, 28, v134
	s_delay_alu instid0(VALU_DEP_1) | instskip(SKIP_1) | instid1(VALU_DEP_2)
	v_lshlrev_b64 v[33:34], v33, v[18:19]
	v_sub_nc_u32_e32 v34, 29, v134
	v_and_b32_e32 v33, 7, v33
; %bb.2109:                             ;   in Loop: Header=BB448_13 Depth=1
	s_or_b32 exec_lo, exec_lo, s24
	v_lshlrev_b32_e32 v18, 24, v132
	s_delay_alu instid0(VALU_DEP_2) | instskip(SKIP_1) | instid1(VALU_DEP_3)
	v_lshlrev_b32_e32 v33, 20, v33
	v_lshl_add_u32 v34, v34, 23, 0x3c000000
	v_and_b32_e32 v18, 0x80000000, v18
	s_delay_alu instid0(VALU_DEP_1)
	v_or3_b32 v18, v33, v18, v34
.LBB448_2110:                           ;   in Loop: Header=BB448_13 Depth=1
	s_or_b32 exec_lo, exec_lo, s23
.LBB448_2111:                           ;   in Loop: Header=BB448_13 Depth=1
	s_delay_alu instid0(SALU_CYCLE_1)
	s_or_b32 exec_lo, exec_lo, s22
.LBB448_2112:                           ;   in Loop: Header=BB448_13 Depth=1
	s_delay_alu instid0(SALU_CYCLE_1) | instskip(NEXT) | instid1(VALU_DEP_1)
	s_or_b32 exec_lo, exec_lo, s21
	v_mul_f32_e32 v18, v133, v18
                                        ; implicit-def: $vgpr132
	s_delay_alu instid0(VALU_DEP_1) | instskip(NEXT) | instid1(VALU_DEP_1)
	v_and_b32_e32 v33, 0x7f800000, v18
	v_cmp_ne_u32_e64 s1, 0x7f800000, v33
	s_delay_alu instid0(VALU_DEP_1) | instskip(NEXT) | instid1(SALU_CYCLE_1)
	s_and_saveexec_b32 s21, s1
	s_xor_b32 s1, exec_lo, s21
; %bb.2113:                             ;   in Loop: Header=BB448_13 Depth=1
	v_bfe_u32 v33, v18, 16, 1
	s_delay_alu instid0(VALU_DEP_1)
	v_add3_u32 v132, v18, v33, 0x7fff
                                        ; implicit-def: $vgpr18
; %bb.2114:                             ;   in Loop: Header=BB448_13 Depth=1
	s_and_not1_saveexec_b32 s21, s1
; %bb.2115:                             ;   in Loop: Header=BB448_13 Depth=1
	v_and_b32_e32 v33, 0xffff, v18
	v_or_b32_e32 v34, 0x10000, v18
	s_delay_alu instid0(VALU_DEP_2) | instskip(NEXT) | instid1(VALU_DEP_1)
	v_cmp_eq_u32_e64 s1, 0, v33
	v_cndmask_b32_e64 v132, v34, v18, s1
; %bb.2116:                             ;   in Loop: Header=BB448_13 Depth=1
	s_or_b32 exec_lo, exec_lo, s21
	v_mov_b32_e32 v18, 0
	s_mov_b32 s21, exec_lo
	v_cmpx_lt_u64_e64 s[16:17], v[31:32]
	s_cbranch_execz .LBB448_2124
; %bb.2117:                             ;   in Loop: Header=BB448_13 Depth=1
	v_lshrrev_b32_e32 v33, 24, v32
	v_bfrev_b32_e32 v18, 1
	s_mov_b32 s22, exec_lo
	s_delay_alu instid0(VALU_DEP_2)
	v_cmpx_ne_u32_e32 0x80, v33
	s_cbranch_execz .LBB448_2123
; %bb.2118:                             ;   in Loop: Header=BB448_13 Depth=1
	v_bfe_u32 v34, v32, 24, 7
	v_mov_b32_e32 v18, 0x7f800001
	s_mov_b32 s23, exec_lo
	s_delay_alu instid0(VALU_DEP_2)
	v_cmpx_ne_u32_e32 0x7f, v34
	s_cbranch_execz .LBB448_2122
; %bb.2119:                             ;   in Loop: Header=BB448_13 Depth=1
	v_and_b32_e32 v18, 7, v33
	v_mov_b32_e32 v32, v19
	v_lshrrev_b32_e32 v32, 3, v34
	s_mov_b32 s24, exec_lo
	s_delay_alu instid0(VALU_DEP_3)
	v_mov_b32_e32 v31, v18
	v_cmpx_gt_u32_e32 8, v34
; %bb.2120:                             ;   in Loop: Header=BB448_13 Depth=1
	v_clz_i32_u32_e32 v31, v18
	s_delay_alu instid0(VALU_DEP_1) | instskip(NEXT) | instid1(VALU_DEP_1)
	v_min_u32_e32 v34, 32, v31
	v_subrev_nc_u32_e32 v31, 28, v34
	s_delay_alu instid0(VALU_DEP_1) | instskip(SKIP_1) | instid1(VALU_DEP_2)
	v_lshlrev_b64 v[31:32], v31, v[18:19]
	v_sub_nc_u32_e32 v32, 29, v34
	v_and_b32_e32 v31, 7, v31
; %bb.2121:                             ;   in Loop: Header=BB448_13 Depth=1
	s_or_b32 exec_lo, exec_lo, s24
	v_lshlrev_b32_e32 v18, 24, v33
	s_delay_alu instid0(VALU_DEP_2) | instskip(SKIP_1) | instid1(VALU_DEP_3)
	v_lshlrev_b32_e32 v31, 20, v31
	v_lshl_add_u32 v32, v32, 23, 0x3c000000
	v_and_b32_e32 v18, 0x80000000, v18
	s_delay_alu instid0(VALU_DEP_1)
	v_or3_b32 v18, v31, v18, v32
.LBB448_2122:                           ;   in Loop: Header=BB448_13 Depth=1
	s_or_b32 exec_lo, exec_lo, s23
.LBB448_2123:                           ;   in Loop: Header=BB448_13 Depth=1
	s_delay_alu instid0(SALU_CYCLE_1)
	s_or_b32 exec_lo, exec_lo, s22
.LBB448_2124:                           ;   in Loop: Header=BB448_13 Depth=1
	s_delay_alu instid0(SALU_CYCLE_1) | instskip(NEXT) | instid1(VALU_DEP_1)
	s_or_b32 exec_lo, exec_lo, s21
	v_mul_f32_e32 v18, v133, v18
                                        ; implicit-def: $vgpr134
	s_delay_alu instid0(VALU_DEP_1) | instskip(NEXT) | instid1(VALU_DEP_1)
	v_and_b32_e32 v31, 0x7f800000, v18
	v_cmp_ne_u32_e64 s1, 0x7f800000, v31
	s_delay_alu instid0(VALU_DEP_1) | instskip(NEXT) | instid1(SALU_CYCLE_1)
	s_and_saveexec_b32 s21, s1
	s_xor_b32 s1, exec_lo, s21
; %bb.2125:                             ;   in Loop: Header=BB448_13 Depth=1
	v_bfe_u32 v31, v18, 16, 1
	s_delay_alu instid0(VALU_DEP_1)
	v_add3_u32 v134, v18, v31, 0x7fff
                                        ; implicit-def: $vgpr18
; %bb.2126:                             ;   in Loop: Header=BB448_13 Depth=1
	s_and_not1_saveexec_b32 s21, s1
; %bb.2127:                             ;   in Loop: Header=BB448_13 Depth=1
	v_and_b32_e32 v31, 0xffff, v18
	v_or_b32_e32 v32, 0x10000, v18
	s_delay_alu instid0(VALU_DEP_2) | instskip(NEXT) | instid1(VALU_DEP_1)
	v_cmp_eq_u32_e64 s1, 0, v31
	v_cndmask_b32_e64 v134, v32, v18, s1
; %bb.2128:                             ;   in Loop: Header=BB448_13 Depth=1
	s_or_b32 exec_lo, exec_lo, s21
	flat_load_b64 v[31:32], v[28:29] offset:1536
	s_mov_b32 s21, exec_lo
	s_waitcnt vmcnt(0) lgkmcnt(0)
	v_dual_mov_b32 v18, 0 :: v_dual_and_b32 v33, 0xff, v31
	s_delay_alu instid0(VALU_DEP_1)
	v_cmpx_ne_u16_e32 0, v33
	s_cbranch_execz .LBB448_2136
; %bb.2129:                             ;   in Loop: Header=BB448_13 Depth=1
	v_bfrev_b32_e32 v18, 1
	s_mov_b32 s22, exec_lo
	v_cmpx_ne_u16_e32 0x80, v33
	s_cbranch_execz .LBB448_2135
; %bb.2130:                             ;   in Loop: Header=BB448_13 Depth=1
	v_and_b32_e32 v33, 0x7f, v31
	v_mov_b32_e32 v18, 0x7f800001
	s_mov_b32 s23, exec_lo
	s_delay_alu instid0(VALU_DEP_2)
	v_cmpx_ne_u32_e32 0x7f, v33
	s_cbranch_execz .LBB448_2134
; %bb.2131:                             ;   in Loop: Header=BB448_13 Depth=1
	v_lshrrev_b32_e32 v18, 3, v33
	v_cmp_gt_u32_e64 s1, 8, v33
	v_dual_mov_b32 v34, v32 :: v_dual_mov_b32 v33, v31
	s_delay_alu instid0(VALU_DEP_2)
	s_and_saveexec_b32 s24, s1
; %bb.2132:                             ;   in Loop: Header=BB448_13 Depth=1
	v_and_b32_e32 v18, 7, v31
	s_delay_alu instid0(VALU_DEP_1) | instskip(NEXT) | instid1(VALU_DEP_1)
	v_clz_i32_u32_e32 v18, v18
	v_min_u32_e32 v18, 32, v18
	s_delay_alu instid0(VALU_DEP_1) | instskip(SKIP_1) | instid1(VALU_DEP_2)
	v_subrev_nc_u32_e32 v33, 28, v18
	v_sub_nc_u32_e32 v18, 29, v18
	v_lshlrev_b64 v[33:34], v33, v[31:32]
; %bb.2133:                             ;   in Loop: Header=BB448_13 Depth=1
	s_or_b32 exec_lo, exec_lo, s24
	s_delay_alu instid0(VALU_DEP_1) | instskip(SKIP_2) | instid1(VALU_DEP_3)
	v_lshlrev_b32_e32 v33, 20, v33
	v_lshlrev_b32_e32 v34, 24, v31
	v_lshl_add_u32 v18, v18, 23, 0x3c000000
	v_and_b32_e32 v33, 0x700000, v33
	s_delay_alu instid0(VALU_DEP_3) | instskip(NEXT) | instid1(VALU_DEP_1)
	v_and_b32_e32 v34, 0x80000000, v34
	v_or3_b32 v18, v33, v34, v18
.LBB448_2134:                           ;   in Loop: Header=BB448_13 Depth=1
	s_or_b32 exec_lo, exec_lo, s23
.LBB448_2135:                           ;   in Loop: Header=BB448_13 Depth=1
	s_delay_alu instid0(SALU_CYCLE_1)
	s_or_b32 exec_lo, exec_lo, s22
.LBB448_2136:                           ;   in Loop: Header=BB448_13 Depth=1
	s_delay_alu instid0(SALU_CYCLE_1) | instskip(NEXT) | instid1(VALU_DEP_1)
	s_or_b32 exec_lo, exec_lo, s21
	v_mul_f32_e32 v18, v133, v18
                                        ; implicit-def: $vgpr135
	s_delay_alu instid0(VALU_DEP_1) | instskip(NEXT) | instid1(VALU_DEP_1)
	v_and_b32_e32 v33, 0x7f800000, v18
	v_cmp_ne_u32_e64 s1, 0x7f800000, v33
	s_delay_alu instid0(VALU_DEP_1) | instskip(NEXT) | instid1(SALU_CYCLE_1)
	s_and_saveexec_b32 s21, s1
	s_xor_b32 s1, exec_lo, s21
; %bb.2137:                             ;   in Loop: Header=BB448_13 Depth=1
	v_bfe_u32 v33, v18, 16, 1
	s_delay_alu instid0(VALU_DEP_1)
	v_add3_u32 v135, v18, v33, 0x7fff
                                        ; implicit-def: $vgpr18
; %bb.2138:                             ;   in Loop: Header=BB448_13 Depth=1
	s_and_not1_saveexec_b32 s21, s1
; %bb.2139:                             ;   in Loop: Header=BB448_13 Depth=1
	v_and_b32_e32 v33, 0xffff, v18
	v_or_b32_e32 v34, 0x10000, v18
	s_delay_alu instid0(VALU_DEP_2) | instskip(NEXT) | instid1(VALU_DEP_1)
	v_cmp_eq_u32_e64 s1, 0, v33
	v_cndmask_b32_e64 v135, v34, v18, s1
; %bb.2140:                             ;   in Loop: Header=BB448_13 Depth=1
	s_or_b32 exec_lo, exec_lo, s21
	v_lshrrev_b16 v33, 8, v31
	v_mov_b32_e32 v18, 0
	s_mov_b32 s21, exec_lo
	s_delay_alu instid0(VALU_DEP_2)
	v_cmpx_ne_u16_e32 0, v33
	s_cbranch_execz .LBB448_2148
; %bb.2141:                             ;   in Loop: Header=BB448_13 Depth=1
	v_bfrev_b32_e32 v18, 1
	s_mov_b32 s22, exec_lo
	v_cmpx_ne_u16_e32 0x80, v33
	s_cbranch_execz .LBB448_2147
; %bb.2142:                             ;   in Loop: Header=BB448_13 Depth=1
	v_and_b32_e32 v33, 0xffff, v33
	v_mov_b32_e32 v18, 0x7f800001
	s_mov_b32 s23, exec_lo
	s_delay_alu instid0(VALU_DEP_2) | instskip(NEXT) | instid1(VALU_DEP_1)
	v_and_b32_e32 v144, 0x7f, v33
	v_cmpx_ne_u32_e32 0x7f, v144
	s_cbranch_execz .LBB448_2146
; %bb.2143:                             ;   in Loop: Header=BB448_13 Depth=1
	v_and_b32_e32 v18, 7, v33
	v_mov_b32_e32 v34, v19
	v_lshrrev_b32_e32 v34, 3, v144
	s_mov_b32 s24, exec_lo
	s_delay_alu instid0(VALU_DEP_3)
	v_mov_b32_e32 v33, v18
	v_cmpx_gt_u32_e32 8, v144
; %bb.2144:                             ;   in Loop: Header=BB448_13 Depth=1
	v_clz_i32_u32_e32 v33, v18
	s_delay_alu instid0(VALU_DEP_1) | instskip(NEXT) | instid1(VALU_DEP_1)
	v_min_u32_e32 v144, 32, v33
	v_subrev_nc_u32_e32 v33, 28, v144
	s_delay_alu instid0(VALU_DEP_1) | instskip(SKIP_1) | instid1(VALU_DEP_2)
	v_lshlrev_b64 v[33:34], v33, v[18:19]
	v_sub_nc_u32_e32 v34, 29, v144
	v_and_b32_e32 v33, 7, v33
; %bb.2145:                             ;   in Loop: Header=BB448_13 Depth=1
	s_or_b32 exec_lo, exec_lo, s24
	v_lshlrev_b32_e32 v18, 16, v31
	s_delay_alu instid0(VALU_DEP_2) | instskip(SKIP_1) | instid1(VALU_DEP_3)
	v_lshlrev_b32_e32 v33, 20, v33
	v_lshl_add_u32 v34, v34, 23, 0x3c000000
	v_and_b32_e32 v18, 0x80000000, v18
	s_delay_alu instid0(VALU_DEP_1)
	v_or3_b32 v18, v33, v18, v34
.LBB448_2146:                           ;   in Loop: Header=BB448_13 Depth=1
	s_or_b32 exec_lo, exec_lo, s23
.LBB448_2147:                           ;   in Loop: Header=BB448_13 Depth=1
	s_delay_alu instid0(SALU_CYCLE_1)
	s_or_b32 exec_lo, exec_lo, s22
.LBB448_2148:                           ;   in Loop: Header=BB448_13 Depth=1
	s_delay_alu instid0(SALU_CYCLE_1) | instskip(NEXT) | instid1(VALU_DEP_1)
	s_or_b32 exec_lo, exec_lo, s21
	v_mul_f32_e32 v18, v133, v18
                                        ; implicit-def: $vgpr144
	s_delay_alu instid0(VALU_DEP_1) | instskip(NEXT) | instid1(VALU_DEP_1)
	v_and_b32_e32 v33, 0x7f800000, v18
	v_cmp_ne_u32_e64 s1, 0x7f800000, v33
	s_delay_alu instid0(VALU_DEP_1) | instskip(NEXT) | instid1(SALU_CYCLE_1)
	s_and_saveexec_b32 s21, s1
	s_xor_b32 s1, exec_lo, s21
; %bb.2149:                             ;   in Loop: Header=BB448_13 Depth=1
	v_bfe_u32 v33, v18, 16, 1
	s_delay_alu instid0(VALU_DEP_1)
	v_add3_u32 v144, v18, v33, 0x7fff
                                        ; implicit-def: $vgpr18
; %bb.2150:                             ;   in Loop: Header=BB448_13 Depth=1
	s_and_not1_saveexec_b32 s21, s1
; %bb.2151:                             ;   in Loop: Header=BB448_13 Depth=1
	v_and_b32_e32 v33, 0xffff, v18
	v_or_b32_e32 v34, 0x10000, v18
	s_delay_alu instid0(VALU_DEP_2) | instskip(NEXT) | instid1(VALU_DEP_1)
	v_cmp_eq_u32_e64 s1, 0, v33
	v_cndmask_b32_e64 v144, v34, v18, s1
; %bb.2152:                             ;   in Loop: Header=BB448_13 Depth=1
	s_or_b32 exec_lo, exec_lo, s21
	v_lshrrev_b32_e32 v145, 16, v31
	s_mov_b32 s21, exec_lo
	s_delay_alu instid0(VALU_DEP_1) | instskip(NEXT) | instid1(VALU_DEP_1)
	v_dual_mov_b32 v18, 0 :: v_dual_and_b32 v33, 0xff, v145
	v_cmpx_ne_u16_e32 0, v33
	s_cbranch_execz .LBB448_2160
; %bb.2153:                             ;   in Loop: Header=BB448_13 Depth=1
	v_bfrev_b32_e32 v18, 1
	s_mov_b32 s22, exec_lo
	v_cmpx_ne_u16_e32 0x80, v33
	s_cbranch_execz .LBB448_2159
; %bb.2154:                             ;   in Loop: Header=BB448_13 Depth=1
	v_bfe_u32 v146, v31, 16, 7
	v_mov_b32_e32 v18, 0x7f800001
	s_mov_b32 s23, exec_lo
	s_delay_alu instid0(VALU_DEP_2)
	v_cmpx_ne_u32_e32 0x7f, v146
	s_cbranch_execz .LBB448_2158
; %bb.2155:                             ;   in Loop: Header=BB448_13 Depth=1
	v_and_b32_e32 v18, 7, v145
	v_mov_b32_e32 v34, v19
	v_lshrrev_b32_e32 v34, 3, v146
	s_mov_b32 s24, exec_lo
	s_delay_alu instid0(VALU_DEP_3)
	v_mov_b32_e32 v33, v18
	v_cmpx_gt_u32_e32 8, v146
; %bb.2156:                             ;   in Loop: Header=BB448_13 Depth=1
	v_clz_i32_u32_e32 v33, v18
	s_delay_alu instid0(VALU_DEP_1) | instskip(NEXT) | instid1(VALU_DEP_1)
	v_min_u32_e32 v146, 32, v33
	v_subrev_nc_u32_e32 v33, 28, v146
	s_delay_alu instid0(VALU_DEP_1) | instskip(SKIP_1) | instid1(VALU_DEP_2)
	v_lshlrev_b64 v[33:34], v33, v[18:19]
	v_sub_nc_u32_e32 v34, 29, v146
	v_and_b32_e32 v33, 7, v33
; %bb.2157:                             ;   in Loop: Header=BB448_13 Depth=1
	s_or_b32 exec_lo, exec_lo, s24
	v_lshlrev_b32_e32 v18, 24, v145
	s_delay_alu instid0(VALU_DEP_2) | instskip(SKIP_1) | instid1(VALU_DEP_3)
	v_lshlrev_b32_e32 v33, 20, v33
	v_lshl_add_u32 v34, v34, 23, 0x3c000000
	v_and_b32_e32 v18, 0x80000000, v18
	s_delay_alu instid0(VALU_DEP_1)
	v_or3_b32 v18, v33, v18, v34
.LBB448_2158:                           ;   in Loop: Header=BB448_13 Depth=1
	s_or_b32 exec_lo, exec_lo, s23
.LBB448_2159:                           ;   in Loop: Header=BB448_13 Depth=1
	s_delay_alu instid0(SALU_CYCLE_1)
	s_or_b32 exec_lo, exec_lo, s22
.LBB448_2160:                           ;   in Loop: Header=BB448_13 Depth=1
	s_delay_alu instid0(SALU_CYCLE_1) | instskip(NEXT) | instid1(VALU_DEP_1)
	s_or_b32 exec_lo, exec_lo, s21
	v_mul_f32_e32 v18, v133, v18
                                        ; implicit-def: $vgpr145
	s_delay_alu instid0(VALU_DEP_1) | instskip(NEXT) | instid1(VALU_DEP_1)
	v_and_b32_e32 v33, 0x7f800000, v18
	v_cmp_ne_u32_e64 s1, 0x7f800000, v33
	s_delay_alu instid0(VALU_DEP_1) | instskip(NEXT) | instid1(SALU_CYCLE_1)
	s_and_saveexec_b32 s21, s1
	s_xor_b32 s1, exec_lo, s21
; %bb.2161:                             ;   in Loop: Header=BB448_13 Depth=1
	v_bfe_u32 v33, v18, 16, 1
	s_delay_alu instid0(VALU_DEP_1)
	v_add3_u32 v145, v18, v33, 0x7fff
                                        ; implicit-def: $vgpr18
; %bb.2162:                             ;   in Loop: Header=BB448_13 Depth=1
	s_and_not1_saveexec_b32 s21, s1
; %bb.2163:                             ;   in Loop: Header=BB448_13 Depth=1
	v_and_b32_e32 v33, 0xffff, v18
	v_or_b32_e32 v34, 0x10000, v18
	s_delay_alu instid0(VALU_DEP_2) | instskip(NEXT) | instid1(VALU_DEP_1)
	v_cmp_eq_u32_e64 s1, 0, v33
	v_cndmask_b32_e64 v145, v34, v18, s1
; %bb.2164:                             ;   in Loop: Header=BB448_13 Depth=1
	s_or_b32 exec_lo, exec_lo, s21
	v_mov_b32_e32 v18, 0
	s_mov_b32 s21, exec_lo
	v_cmpx_lt_u32_e32 0xffffff, v31
	s_cbranch_execz .LBB448_2172
; %bb.2165:                             ;   in Loop: Header=BB448_13 Depth=1
	v_lshrrev_b32_e32 v146, 24, v31
	v_bfrev_b32_e32 v18, 1
	s_mov_b32 s22, exec_lo
	s_delay_alu instid0(VALU_DEP_2)
	v_cmpx_ne_u32_e32 0x80, v146
	s_cbranch_execz .LBB448_2171
; %bb.2166:                             ;   in Loop: Header=BB448_13 Depth=1
	v_bfe_u32 v147, v31, 24, 7
	v_mov_b32_e32 v18, 0x7f800001
	s_mov_b32 s23, exec_lo
	s_delay_alu instid0(VALU_DEP_2)
	v_cmpx_ne_u32_e32 0x7f, v147
	s_cbranch_execz .LBB448_2170
; %bb.2167:                             ;   in Loop: Header=BB448_13 Depth=1
	v_and_b32_e32 v18, 7, v146
	v_mov_b32_e32 v34, v19
	v_lshrrev_b32_e32 v34, 3, v147
	s_mov_b32 s24, exec_lo
	s_delay_alu instid0(VALU_DEP_3)
	v_mov_b32_e32 v33, v18
	v_cmpx_gt_u32_e32 8, v147
; %bb.2168:                             ;   in Loop: Header=BB448_13 Depth=1
	v_clz_i32_u32_e32 v33, v18
	s_delay_alu instid0(VALU_DEP_1) | instskip(NEXT) | instid1(VALU_DEP_1)
	v_min_u32_e32 v147, 32, v33
	v_subrev_nc_u32_e32 v33, 28, v147
	s_delay_alu instid0(VALU_DEP_1) | instskip(SKIP_1) | instid1(VALU_DEP_2)
	v_lshlrev_b64 v[33:34], v33, v[18:19]
	v_sub_nc_u32_e32 v34, 29, v147
	v_and_b32_e32 v33, 7, v33
; %bb.2169:                             ;   in Loop: Header=BB448_13 Depth=1
	s_or_b32 exec_lo, exec_lo, s24
	v_lshlrev_b32_e32 v18, 24, v146
	s_delay_alu instid0(VALU_DEP_2) | instskip(SKIP_1) | instid1(VALU_DEP_3)
	v_lshlrev_b32_e32 v33, 20, v33
	v_lshl_add_u32 v34, v34, 23, 0x3c000000
	v_and_b32_e32 v18, 0x80000000, v18
	s_delay_alu instid0(VALU_DEP_1)
	v_or3_b32 v18, v33, v18, v34
.LBB448_2170:                           ;   in Loop: Header=BB448_13 Depth=1
	s_or_b32 exec_lo, exec_lo, s23
.LBB448_2171:                           ;   in Loop: Header=BB448_13 Depth=1
	s_delay_alu instid0(SALU_CYCLE_1)
	s_or_b32 exec_lo, exec_lo, s22
.LBB448_2172:                           ;   in Loop: Header=BB448_13 Depth=1
	s_delay_alu instid0(SALU_CYCLE_1) | instskip(NEXT) | instid1(VALU_DEP_1)
	s_or_b32 exec_lo, exec_lo, s21
	v_mul_f32_e32 v18, v133, v18
                                        ; implicit-def: $vgpr146
	s_delay_alu instid0(VALU_DEP_1) | instskip(NEXT) | instid1(VALU_DEP_1)
	v_and_b32_e32 v33, 0x7f800000, v18
	v_cmp_ne_u32_e64 s1, 0x7f800000, v33
	s_delay_alu instid0(VALU_DEP_1) | instskip(NEXT) | instid1(SALU_CYCLE_1)
	s_and_saveexec_b32 s21, s1
	s_xor_b32 s1, exec_lo, s21
; %bb.2173:                             ;   in Loop: Header=BB448_13 Depth=1
	v_bfe_u32 v33, v18, 16, 1
	s_delay_alu instid0(VALU_DEP_1)
	v_add3_u32 v146, v18, v33, 0x7fff
                                        ; implicit-def: $vgpr18
; %bb.2174:                             ;   in Loop: Header=BB448_13 Depth=1
	s_and_not1_saveexec_b32 s21, s1
; %bb.2175:                             ;   in Loop: Header=BB448_13 Depth=1
	v_and_b32_e32 v33, 0xffff, v18
	v_or_b32_e32 v34, 0x10000, v18
	s_delay_alu instid0(VALU_DEP_2) | instskip(NEXT) | instid1(VALU_DEP_1)
	v_cmp_eq_u32_e64 s1, 0, v33
	v_cndmask_b32_e64 v146, v34, v18, s1
; %bb.2176:                             ;   in Loop: Header=BB448_13 Depth=1
	s_or_b32 exec_lo, exec_lo, s21
	v_dual_mov_b32 v33, 0 :: v_dual_and_b32 v34, 0xff, v32
	v_mov_b32_e32 v18, v32
	s_mov_b32 s21, exec_lo
	s_delay_alu instid0(VALU_DEP_2)
	v_cmpx_ne_u16_e32 0, v34
	s_cbranch_execz .LBB448_2184
; %bb.2177:                             ;   in Loop: Header=BB448_13 Depth=1
	v_bfrev_b32_e32 v33, 1
	s_mov_b32 s22, exec_lo
	v_cmpx_ne_u16_e32 0x80, v34
	s_cbranch_execz .LBB448_2183
; %bb.2178:                             ;   in Loop: Header=BB448_13 Depth=1
	v_and_b32_e32 v147, 0x7f, v32
	v_mov_b32_e32 v33, 0x7f800001
	s_mov_b32 s23, exec_lo
	s_delay_alu instid0(VALU_DEP_2)
	v_cmpx_ne_u32_e32 0x7f, v147
	s_cbranch_execz .LBB448_2182
; %bb.2179:                             ;   in Loop: Header=BB448_13 Depth=1
	v_dual_mov_b32 v34, v19 :: v_dual_mov_b32 v33, v18
	v_lshrrev_b32_e32 v34, 3, v147
	s_mov_b32 s24, exec_lo
	v_cmpx_gt_u32_e32 8, v147
; %bb.2180:                             ;   in Loop: Header=BB448_13 Depth=1
	v_and_b32_e32 v33, 7, v32
	s_delay_alu instid0(VALU_DEP_1) | instskip(NEXT) | instid1(VALU_DEP_1)
	v_clz_i32_u32_e32 v33, v33
	v_min_u32_e32 v147, 32, v33
	s_delay_alu instid0(VALU_DEP_1) | instskip(NEXT) | instid1(VALU_DEP_1)
	v_subrev_nc_u32_e32 v33, 28, v147
	v_lshlrev_b64 v[33:34], v33, v[18:19]
	v_sub_nc_u32_e32 v34, 29, v147
; %bb.2181:                             ;   in Loop: Header=BB448_13 Depth=1
	s_or_b32 exec_lo, exec_lo, s24
	s_delay_alu instid0(VALU_DEP_2) | instskip(SKIP_1) | instid1(VALU_DEP_3)
	v_lshlrev_b32_e32 v33, 20, v33
	v_lshlrev_b32_e32 v147, 24, v18
	v_lshl_add_u32 v34, v34, 23, 0x3c000000
	s_delay_alu instid0(VALU_DEP_3) | instskip(NEXT) | instid1(VALU_DEP_3)
	v_and_b32_e32 v33, 0x700000, v33
	v_and_b32_e32 v147, 0x80000000, v147
	s_delay_alu instid0(VALU_DEP_1)
	v_or3_b32 v33, v33, v147, v34
.LBB448_2182:                           ;   in Loop: Header=BB448_13 Depth=1
	s_or_b32 exec_lo, exec_lo, s23
.LBB448_2183:                           ;   in Loop: Header=BB448_13 Depth=1
	s_delay_alu instid0(SALU_CYCLE_1)
	s_or_b32 exec_lo, exec_lo, s22
.LBB448_2184:                           ;   in Loop: Header=BB448_13 Depth=1
	s_delay_alu instid0(SALU_CYCLE_1) | instskip(NEXT) | instid1(VALU_DEP_1)
	s_or_b32 exec_lo, exec_lo, s21
	v_mul_f32_e32 v33, v133, v33
                                        ; implicit-def: $vgpr147
	s_delay_alu instid0(VALU_DEP_1) | instskip(NEXT) | instid1(VALU_DEP_1)
	v_and_b32_e32 v34, 0x7f800000, v33
	v_cmp_ne_u32_e64 s1, 0x7f800000, v34
	s_delay_alu instid0(VALU_DEP_1) | instskip(NEXT) | instid1(SALU_CYCLE_1)
	s_and_saveexec_b32 s21, s1
	s_xor_b32 s1, exec_lo, s21
; %bb.2185:                             ;   in Loop: Header=BB448_13 Depth=1
	v_bfe_u32 v34, v33, 16, 1
	s_delay_alu instid0(VALU_DEP_1)
	v_add3_u32 v147, v33, v34, 0x7fff
                                        ; implicit-def: $vgpr33
; %bb.2186:                             ;   in Loop: Header=BB448_13 Depth=1
	s_and_not1_saveexec_b32 s21, s1
; %bb.2187:                             ;   in Loop: Header=BB448_13 Depth=1
	v_and_b32_e32 v34, 0xffff, v33
	v_or_b32_e32 v147, 0x10000, v33
	s_delay_alu instid0(VALU_DEP_2) | instskip(NEXT) | instid1(VALU_DEP_1)
	v_cmp_eq_u32_e64 s1, 0, v34
	v_cndmask_b32_e64 v147, v147, v33, s1
; %bb.2188:                             ;   in Loop: Header=BB448_13 Depth=1
	s_or_b32 exec_lo, exec_lo, s21
	v_lshrrev_b16 v34, 8, v18
	v_mov_b32_e32 v33, 0
	s_mov_b32 s21, exec_lo
	s_delay_alu instid0(VALU_DEP_2)
	v_cmpx_ne_u16_e32 0, v34
	s_cbranch_execz .LBB448_2196
; %bb.2189:                             ;   in Loop: Header=BB448_13 Depth=1
	v_bfrev_b32_e32 v33, 1
	s_mov_b32 s22, exec_lo
	v_cmpx_ne_u16_e32 0x80, v34
	s_cbranch_execz .LBB448_2195
; %bb.2190:                             ;   in Loop: Header=BB448_13 Depth=1
	v_and_b32_e32 v34, 0xffff, v34
	v_mov_b32_e32 v33, 0x7f800001
	s_mov_b32 s23, exec_lo
	s_delay_alu instid0(VALU_DEP_2) | instskip(NEXT) | instid1(VALU_DEP_1)
	v_and_b32_e32 v149, 0x7f, v34
	v_cmpx_ne_u32_e32 0x7f, v149
	s_cbranch_execz .LBB448_2194
; %bb.2191:                             ;   in Loop: Header=BB448_13 Depth=1
	v_dual_mov_b32 v34, v19 :: v_dual_and_b32 v33, 7, v34
	v_lshrrev_b32_e32 v148, 3, v149
	s_mov_b32 s24, exec_lo
	v_cmpx_gt_u32_e32 8, v149
; %bb.2192:                             ;   in Loop: Header=BB448_13 Depth=1
	s_delay_alu instid0(VALU_DEP_3) | instskip(NEXT) | instid1(VALU_DEP_1)
	v_clz_i32_u32_e32 v148, v33
	v_min_u32_e32 v148, 32, v148
	s_delay_alu instid0(VALU_DEP_1) | instskip(SKIP_1) | instid1(VALU_DEP_2)
	v_subrev_nc_u32_e32 v149, 28, v148
	v_sub_nc_u32_e32 v148, 29, v148
	v_lshlrev_b64 v[33:34], v149, v[33:34]
	s_delay_alu instid0(VALU_DEP_1)
	v_and_b32_e32 v33, 7, v33
; %bb.2193:                             ;   in Loop: Header=BB448_13 Depth=1
	s_or_b32 exec_lo, exec_lo, s24
	v_lshlrev_b32_e32 v18, 16, v18
	s_delay_alu instid0(VALU_DEP_2) | instskip(SKIP_1) | instid1(VALU_DEP_3)
	v_lshlrev_b32_e32 v33, 20, v33
	v_lshl_add_u32 v34, v148, 23, 0x3c000000
	v_and_b32_e32 v18, 0x80000000, v18
	s_delay_alu instid0(VALU_DEP_1)
	v_or3_b32 v33, v33, v18, v34
.LBB448_2194:                           ;   in Loop: Header=BB448_13 Depth=1
	s_or_b32 exec_lo, exec_lo, s23
.LBB448_2195:                           ;   in Loop: Header=BB448_13 Depth=1
	s_delay_alu instid0(SALU_CYCLE_1)
	s_or_b32 exec_lo, exec_lo, s22
.LBB448_2196:                           ;   in Loop: Header=BB448_13 Depth=1
	s_delay_alu instid0(SALU_CYCLE_1) | instskip(NEXT) | instid1(VALU_DEP_1)
	s_or_b32 exec_lo, exec_lo, s21
	v_mul_f32_e32 v18, v133, v33
                                        ; implicit-def: $vgpr148
	s_delay_alu instid0(VALU_DEP_1) | instskip(NEXT) | instid1(VALU_DEP_1)
	v_and_b32_e32 v33, 0x7f800000, v18
	v_cmp_ne_u32_e64 s1, 0x7f800000, v33
	s_delay_alu instid0(VALU_DEP_1) | instskip(NEXT) | instid1(SALU_CYCLE_1)
	s_and_saveexec_b32 s21, s1
	s_xor_b32 s1, exec_lo, s21
; %bb.2197:                             ;   in Loop: Header=BB448_13 Depth=1
	v_bfe_u32 v33, v18, 16, 1
	s_delay_alu instid0(VALU_DEP_1)
	v_add3_u32 v148, v18, v33, 0x7fff
                                        ; implicit-def: $vgpr18
; %bb.2198:                             ;   in Loop: Header=BB448_13 Depth=1
	s_and_not1_saveexec_b32 s21, s1
; %bb.2199:                             ;   in Loop: Header=BB448_13 Depth=1
	v_and_b32_e32 v33, 0xffff, v18
	v_or_b32_e32 v34, 0x10000, v18
	s_delay_alu instid0(VALU_DEP_2) | instskip(NEXT) | instid1(VALU_DEP_1)
	v_cmp_eq_u32_e64 s1, 0, v33
	v_cndmask_b32_e64 v148, v34, v18, s1
; %bb.2200:                             ;   in Loop: Header=BB448_13 Depth=1
	s_or_b32 exec_lo, exec_lo, s21
	v_lshrrev_b32_e32 v149, 16, v32
	s_mov_b32 s21, exec_lo
	s_delay_alu instid0(VALU_DEP_1) | instskip(NEXT) | instid1(VALU_DEP_1)
	v_dual_mov_b32 v18, 0 :: v_dual_and_b32 v33, 0xff, v149
	v_cmpx_ne_u16_e32 0, v33
	s_cbranch_execz .LBB448_2208
; %bb.2201:                             ;   in Loop: Header=BB448_13 Depth=1
	v_bfrev_b32_e32 v18, 1
	s_mov_b32 s22, exec_lo
	v_cmpx_ne_u16_e32 0x80, v33
	s_cbranch_execz .LBB448_2207
; %bb.2202:                             ;   in Loop: Header=BB448_13 Depth=1
	v_bfe_u32 v150, v32, 16, 7
	v_mov_b32_e32 v18, 0x7f800001
	s_mov_b32 s23, exec_lo
	s_delay_alu instid0(VALU_DEP_2)
	v_cmpx_ne_u32_e32 0x7f, v150
	s_cbranch_execz .LBB448_2206
; %bb.2203:                             ;   in Loop: Header=BB448_13 Depth=1
	v_and_b32_e32 v18, 7, v149
	v_mov_b32_e32 v34, v19
	v_lshrrev_b32_e32 v34, 3, v150
	s_mov_b32 s24, exec_lo
	s_delay_alu instid0(VALU_DEP_3)
	v_mov_b32_e32 v33, v18
	v_cmpx_gt_u32_e32 8, v150
; %bb.2204:                             ;   in Loop: Header=BB448_13 Depth=1
	v_clz_i32_u32_e32 v33, v18
	s_delay_alu instid0(VALU_DEP_1) | instskip(NEXT) | instid1(VALU_DEP_1)
	v_min_u32_e32 v150, 32, v33
	v_subrev_nc_u32_e32 v33, 28, v150
	s_delay_alu instid0(VALU_DEP_1) | instskip(SKIP_1) | instid1(VALU_DEP_2)
	v_lshlrev_b64 v[33:34], v33, v[18:19]
	v_sub_nc_u32_e32 v34, 29, v150
	v_and_b32_e32 v33, 7, v33
; %bb.2205:                             ;   in Loop: Header=BB448_13 Depth=1
	s_or_b32 exec_lo, exec_lo, s24
	v_lshlrev_b32_e32 v18, 24, v149
	s_delay_alu instid0(VALU_DEP_2) | instskip(SKIP_1) | instid1(VALU_DEP_3)
	v_lshlrev_b32_e32 v33, 20, v33
	v_lshl_add_u32 v34, v34, 23, 0x3c000000
	v_and_b32_e32 v18, 0x80000000, v18
	s_delay_alu instid0(VALU_DEP_1)
	v_or3_b32 v18, v33, v18, v34
.LBB448_2206:                           ;   in Loop: Header=BB448_13 Depth=1
	s_or_b32 exec_lo, exec_lo, s23
.LBB448_2207:                           ;   in Loop: Header=BB448_13 Depth=1
	s_delay_alu instid0(SALU_CYCLE_1)
	s_or_b32 exec_lo, exec_lo, s22
.LBB448_2208:                           ;   in Loop: Header=BB448_13 Depth=1
	s_delay_alu instid0(SALU_CYCLE_1) | instskip(NEXT) | instid1(VALU_DEP_1)
	s_or_b32 exec_lo, exec_lo, s21
	v_mul_f32_e32 v18, v133, v18
	s_delay_alu instid0(VALU_DEP_1) | instskip(NEXT) | instid1(VALU_DEP_1)
	v_and_b32_e32 v33, 0x7f800000, v18
	v_cmp_ne_u32_e64 s1, 0x7f800000, v33
                                        ; implicit-def: $vgpr33
	s_delay_alu instid0(VALU_DEP_1) | instskip(NEXT) | instid1(SALU_CYCLE_1)
	s_and_saveexec_b32 s21, s1
	s_xor_b32 s1, exec_lo, s21
; %bb.2209:                             ;   in Loop: Header=BB448_13 Depth=1
	v_bfe_u32 v33, v18, 16, 1
	s_delay_alu instid0(VALU_DEP_1)
	v_add3_u32 v33, v18, v33, 0x7fff
                                        ; implicit-def: $vgpr18
; %bb.2210:                             ;   in Loop: Header=BB448_13 Depth=1
	s_and_not1_saveexec_b32 s21, s1
; %bb.2211:                             ;   in Loop: Header=BB448_13 Depth=1
	v_and_b32_e32 v33, 0xffff, v18
	v_or_b32_e32 v34, 0x10000, v18
	s_delay_alu instid0(VALU_DEP_2) | instskip(NEXT) | instid1(VALU_DEP_1)
	v_cmp_eq_u32_e64 s1, 0, v33
	v_cndmask_b32_e64 v33, v34, v18, s1
; %bb.2212:                             ;   in Loop: Header=BB448_13 Depth=1
	s_or_b32 exec_lo, exec_lo, s21
	v_mov_b32_e32 v18, 0
	s_mov_b32 s21, exec_lo
	v_cmpx_lt_u64_e64 s[16:17], v[31:32]
	s_cbranch_execz .LBB448_2220
; %bb.2213:                             ;   in Loop: Header=BB448_13 Depth=1
	v_lshrrev_b32_e32 v34, 24, v32
	v_bfrev_b32_e32 v18, 1
	s_mov_b32 s22, exec_lo
	s_delay_alu instid0(VALU_DEP_2)
	v_cmpx_ne_u32_e32 0x80, v34
	s_cbranch_execz .LBB448_2219
; %bb.2214:                             ;   in Loop: Header=BB448_13 Depth=1
	v_bfe_u32 v149, v32, 24, 7
	v_mov_b32_e32 v18, 0x7f800001
	s_mov_b32 s23, exec_lo
	s_delay_alu instid0(VALU_DEP_2)
	v_cmpx_ne_u32_e32 0x7f, v149
	s_cbranch_execz .LBB448_2218
; %bb.2215:                             ;   in Loop: Header=BB448_13 Depth=1
	v_and_b32_e32 v18, 7, v34
	v_mov_b32_e32 v32, v19
	v_lshrrev_b32_e32 v32, 3, v149
	s_mov_b32 s24, exec_lo
	s_delay_alu instid0(VALU_DEP_3)
	v_mov_b32_e32 v31, v18
	v_cmpx_gt_u32_e32 8, v149
; %bb.2216:                             ;   in Loop: Header=BB448_13 Depth=1
	v_clz_i32_u32_e32 v31, v18
	s_delay_alu instid0(VALU_DEP_1) | instskip(NEXT) | instid1(VALU_DEP_1)
	v_min_u32_e32 v149, 32, v31
	v_subrev_nc_u32_e32 v31, 28, v149
	s_delay_alu instid0(VALU_DEP_1) | instskip(SKIP_1) | instid1(VALU_DEP_2)
	v_lshlrev_b64 v[31:32], v31, v[18:19]
	v_sub_nc_u32_e32 v32, 29, v149
	v_and_b32_e32 v31, 7, v31
; %bb.2217:                             ;   in Loop: Header=BB448_13 Depth=1
	s_or_b32 exec_lo, exec_lo, s24
	v_lshlrev_b32_e32 v18, 24, v34
	s_delay_alu instid0(VALU_DEP_2) | instskip(SKIP_1) | instid1(VALU_DEP_3)
	v_lshlrev_b32_e32 v31, 20, v31
	v_lshl_add_u32 v32, v32, 23, 0x3c000000
	v_and_b32_e32 v18, 0x80000000, v18
	s_delay_alu instid0(VALU_DEP_1)
	v_or3_b32 v18, v31, v18, v32
.LBB448_2218:                           ;   in Loop: Header=BB448_13 Depth=1
	s_or_b32 exec_lo, exec_lo, s23
.LBB448_2219:                           ;   in Loop: Header=BB448_13 Depth=1
	s_delay_alu instid0(SALU_CYCLE_1)
	s_or_b32 exec_lo, exec_lo, s22
.LBB448_2220:                           ;   in Loop: Header=BB448_13 Depth=1
	s_delay_alu instid0(SALU_CYCLE_1) | instskip(NEXT) | instid1(VALU_DEP_1)
	s_or_b32 exec_lo, exec_lo, s21
	v_mul_f32_e32 v18, v133, v18
                                        ; implicit-def: $vgpr34
	s_delay_alu instid0(VALU_DEP_1) | instskip(NEXT) | instid1(VALU_DEP_1)
	v_and_b32_e32 v31, 0x7f800000, v18
	v_cmp_ne_u32_e64 s1, 0x7f800000, v31
	s_delay_alu instid0(VALU_DEP_1) | instskip(NEXT) | instid1(SALU_CYCLE_1)
	s_and_saveexec_b32 s21, s1
	s_xor_b32 s1, exec_lo, s21
; %bb.2221:                             ;   in Loop: Header=BB448_13 Depth=1
	v_bfe_u32 v31, v18, 16, 1
	s_delay_alu instid0(VALU_DEP_1)
	v_add3_u32 v34, v18, v31, 0x7fff
                                        ; implicit-def: $vgpr18
; %bb.2222:                             ;   in Loop: Header=BB448_13 Depth=1
	s_and_not1_saveexec_b32 s21, s1
; %bb.2223:                             ;   in Loop: Header=BB448_13 Depth=1
	v_and_b32_e32 v31, 0xffff, v18
	v_or_b32_e32 v32, 0x10000, v18
	s_delay_alu instid0(VALU_DEP_2) | instskip(NEXT) | instid1(VALU_DEP_1)
	v_cmp_eq_u32_e64 s1, 0, v31
	v_cndmask_b32_e64 v34, v32, v18, s1
; %bb.2224:                             ;   in Loop: Header=BB448_13 Depth=1
	s_or_b32 exec_lo, exec_lo, s21
	flat_load_b64 v[28:29], v[28:29] offset:1544
	s_mov_b32 s21, exec_lo
	s_waitcnt vmcnt(0) lgkmcnt(0)
	v_dual_mov_b32 v18, 0 :: v_dual_and_b32 v31, 0xff, v28
	s_delay_alu instid0(VALU_DEP_1)
	v_cmpx_ne_u16_e32 0, v31
	s_cbranch_execz .LBB448_2232
; %bb.2225:                             ;   in Loop: Header=BB448_13 Depth=1
	v_bfrev_b32_e32 v18, 1
	s_mov_b32 s22, exec_lo
	v_cmpx_ne_u16_e32 0x80, v31
	s_cbranch_execz .LBB448_2231
; %bb.2226:                             ;   in Loop: Header=BB448_13 Depth=1
	v_and_b32_e32 v31, 0x7f, v28
	v_mov_b32_e32 v18, 0x7f800001
	s_mov_b32 s23, exec_lo
	s_delay_alu instid0(VALU_DEP_2)
	v_cmpx_ne_u32_e32 0x7f, v31
	s_cbranch_execz .LBB448_2230
; %bb.2227:                             ;   in Loop: Header=BB448_13 Depth=1
	v_lshrrev_b32_e32 v18, 3, v31
	v_cmp_gt_u32_e64 s1, 8, v31
	v_dual_mov_b32 v32, v29 :: v_dual_mov_b32 v31, v28
	s_delay_alu instid0(VALU_DEP_2)
	s_and_saveexec_b32 s24, s1
; %bb.2228:                             ;   in Loop: Header=BB448_13 Depth=1
	v_and_b32_e32 v18, 7, v28
	s_delay_alu instid0(VALU_DEP_1) | instskip(NEXT) | instid1(VALU_DEP_1)
	v_clz_i32_u32_e32 v18, v18
	v_min_u32_e32 v18, 32, v18
	s_delay_alu instid0(VALU_DEP_1) | instskip(SKIP_1) | instid1(VALU_DEP_2)
	v_subrev_nc_u32_e32 v31, 28, v18
	v_sub_nc_u32_e32 v18, 29, v18
	v_lshlrev_b64 v[31:32], v31, v[28:29]
; %bb.2229:                             ;   in Loop: Header=BB448_13 Depth=1
	s_or_b32 exec_lo, exec_lo, s24
	s_delay_alu instid0(VALU_DEP_1) | instskip(SKIP_2) | instid1(VALU_DEP_3)
	v_lshlrev_b32_e32 v31, 20, v31
	v_lshlrev_b32_e32 v32, 24, v28
	v_lshl_add_u32 v18, v18, 23, 0x3c000000
	v_and_b32_e32 v31, 0x700000, v31
	s_delay_alu instid0(VALU_DEP_3) | instskip(NEXT) | instid1(VALU_DEP_1)
	v_and_b32_e32 v32, 0x80000000, v32
	v_or3_b32 v18, v31, v32, v18
.LBB448_2230:                           ;   in Loop: Header=BB448_13 Depth=1
	s_or_b32 exec_lo, exec_lo, s23
.LBB448_2231:                           ;   in Loop: Header=BB448_13 Depth=1
	s_delay_alu instid0(SALU_CYCLE_1)
	s_or_b32 exec_lo, exec_lo, s22
.LBB448_2232:                           ;   in Loop: Header=BB448_13 Depth=1
	s_delay_alu instid0(SALU_CYCLE_1) | instskip(NEXT) | instid1(VALU_DEP_1)
	s_or_b32 exec_lo, exec_lo, s21
	v_mul_f32_e32 v18, v133, v18
                                        ; implicit-def: $vgpr149
	s_delay_alu instid0(VALU_DEP_1) | instskip(NEXT) | instid1(VALU_DEP_1)
	v_and_b32_e32 v31, 0x7f800000, v18
	v_cmp_ne_u32_e64 s1, 0x7f800000, v31
	s_delay_alu instid0(VALU_DEP_1) | instskip(NEXT) | instid1(SALU_CYCLE_1)
	s_and_saveexec_b32 s21, s1
	s_xor_b32 s1, exec_lo, s21
; %bb.2233:                             ;   in Loop: Header=BB448_13 Depth=1
	v_bfe_u32 v31, v18, 16, 1
	s_delay_alu instid0(VALU_DEP_1)
	v_add3_u32 v149, v18, v31, 0x7fff
                                        ; implicit-def: $vgpr18
; %bb.2234:                             ;   in Loop: Header=BB448_13 Depth=1
	s_and_not1_saveexec_b32 s21, s1
; %bb.2235:                             ;   in Loop: Header=BB448_13 Depth=1
	v_and_b32_e32 v31, 0xffff, v18
	v_or_b32_e32 v32, 0x10000, v18
	s_delay_alu instid0(VALU_DEP_2) | instskip(NEXT) | instid1(VALU_DEP_1)
	v_cmp_eq_u32_e64 s1, 0, v31
	v_cndmask_b32_e64 v149, v32, v18, s1
; %bb.2236:                             ;   in Loop: Header=BB448_13 Depth=1
	s_or_b32 exec_lo, exec_lo, s21
	v_lshrrev_b16 v31, 8, v28
	v_mov_b32_e32 v18, 0
	s_mov_b32 s21, exec_lo
	s_delay_alu instid0(VALU_DEP_2)
	v_cmpx_ne_u16_e32 0, v31
	s_cbranch_execz .LBB448_2244
; %bb.2237:                             ;   in Loop: Header=BB448_13 Depth=1
	v_bfrev_b32_e32 v18, 1
	s_mov_b32 s22, exec_lo
	v_cmpx_ne_u16_e32 0x80, v31
	s_cbranch_execz .LBB448_2243
; %bb.2238:                             ;   in Loop: Header=BB448_13 Depth=1
	v_and_b32_e32 v31, 0xffff, v31
	v_mov_b32_e32 v18, 0x7f800001
	s_mov_b32 s23, exec_lo
	s_delay_alu instid0(VALU_DEP_2) | instskip(NEXT) | instid1(VALU_DEP_1)
	v_and_b32_e32 v150, 0x7f, v31
	v_cmpx_ne_u32_e32 0x7f, v150
	s_cbranch_execz .LBB448_2242
; %bb.2239:                             ;   in Loop: Header=BB448_13 Depth=1
	v_and_b32_e32 v18, 7, v31
	v_mov_b32_e32 v32, v19
	v_lshrrev_b32_e32 v32, 3, v150
	s_mov_b32 s24, exec_lo
	s_delay_alu instid0(VALU_DEP_3)
	v_mov_b32_e32 v31, v18
	v_cmpx_gt_u32_e32 8, v150
; %bb.2240:                             ;   in Loop: Header=BB448_13 Depth=1
	v_clz_i32_u32_e32 v31, v18
	s_delay_alu instid0(VALU_DEP_1) | instskip(NEXT) | instid1(VALU_DEP_1)
	v_min_u32_e32 v150, 32, v31
	v_subrev_nc_u32_e32 v31, 28, v150
	s_delay_alu instid0(VALU_DEP_1) | instskip(SKIP_1) | instid1(VALU_DEP_2)
	v_lshlrev_b64 v[31:32], v31, v[18:19]
	v_sub_nc_u32_e32 v32, 29, v150
	v_and_b32_e32 v31, 7, v31
; %bb.2241:                             ;   in Loop: Header=BB448_13 Depth=1
	s_or_b32 exec_lo, exec_lo, s24
	v_lshlrev_b32_e32 v18, 16, v28
	s_delay_alu instid0(VALU_DEP_2) | instskip(SKIP_1) | instid1(VALU_DEP_3)
	v_lshlrev_b32_e32 v31, 20, v31
	v_lshl_add_u32 v32, v32, 23, 0x3c000000
	v_and_b32_e32 v18, 0x80000000, v18
	s_delay_alu instid0(VALU_DEP_1)
	v_or3_b32 v18, v31, v18, v32
.LBB448_2242:                           ;   in Loop: Header=BB448_13 Depth=1
	s_or_b32 exec_lo, exec_lo, s23
.LBB448_2243:                           ;   in Loop: Header=BB448_13 Depth=1
	s_delay_alu instid0(SALU_CYCLE_1)
	s_or_b32 exec_lo, exec_lo, s22
.LBB448_2244:                           ;   in Loop: Header=BB448_13 Depth=1
	s_delay_alu instid0(SALU_CYCLE_1) | instskip(NEXT) | instid1(VALU_DEP_1)
	s_or_b32 exec_lo, exec_lo, s21
	v_mul_f32_e32 v18, v133, v18
                                        ; implicit-def: $vgpr150
	s_delay_alu instid0(VALU_DEP_1) | instskip(NEXT) | instid1(VALU_DEP_1)
	v_and_b32_e32 v31, 0x7f800000, v18
	v_cmp_ne_u32_e64 s1, 0x7f800000, v31
	s_delay_alu instid0(VALU_DEP_1) | instskip(NEXT) | instid1(SALU_CYCLE_1)
	s_and_saveexec_b32 s21, s1
	s_xor_b32 s1, exec_lo, s21
; %bb.2245:                             ;   in Loop: Header=BB448_13 Depth=1
	v_bfe_u32 v31, v18, 16, 1
	s_delay_alu instid0(VALU_DEP_1)
	v_add3_u32 v150, v18, v31, 0x7fff
                                        ; implicit-def: $vgpr18
; %bb.2246:                             ;   in Loop: Header=BB448_13 Depth=1
	s_and_not1_saveexec_b32 s21, s1
; %bb.2247:                             ;   in Loop: Header=BB448_13 Depth=1
	v_and_b32_e32 v31, 0xffff, v18
	v_or_b32_e32 v32, 0x10000, v18
	s_delay_alu instid0(VALU_DEP_2) | instskip(NEXT) | instid1(VALU_DEP_1)
	v_cmp_eq_u32_e64 s1, 0, v31
	v_cndmask_b32_e64 v150, v32, v18, s1
; %bb.2248:                             ;   in Loop: Header=BB448_13 Depth=1
	s_or_b32 exec_lo, exec_lo, s21
	v_lshrrev_b32_e32 v151, 16, v28
	s_mov_b32 s21, exec_lo
	s_delay_alu instid0(VALU_DEP_1) | instskip(NEXT) | instid1(VALU_DEP_1)
	v_dual_mov_b32 v18, 0 :: v_dual_and_b32 v31, 0xff, v151
	v_cmpx_ne_u16_e32 0, v31
	s_cbranch_execz .LBB448_2256
; %bb.2249:                             ;   in Loop: Header=BB448_13 Depth=1
	v_bfrev_b32_e32 v18, 1
	s_mov_b32 s22, exec_lo
	v_cmpx_ne_u16_e32 0x80, v31
	s_cbranch_execz .LBB448_2255
; %bb.2250:                             ;   in Loop: Header=BB448_13 Depth=1
	v_bfe_u32 v160, v28, 16, 7
	v_mov_b32_e32 v18, 0x7f800001
	s_mov_b32 s23, exec_lo
	s_delay_alu instid0(VALU_DEP_2)
	v_cmpx_ne_u32_e32 0x7f, v160
	s_cbranch_execz .LBB448_2254
; %bb.2251:                             ;   in Loop: Header=BB448_13 Depth=1
	v_and_b32_e32 v18, 7, v151
	v_mov_b32_e32 v32, v19
	v_lshrrev_b32_e32 v32, 3, v160
	s_mov_b32 s24, exec_lo
	s_delay_alu instid0(VALU_DEP_3)
	v_mov_b32_e32 v31, v18
	v_cmpx_gt_u32_e32 8, v160
; %bb.2252:                             ;   in Loop: Header=BB448_13 Depth=1
	v_clz_i32_u32_e32 v31, v18
	s_delay_alu instid0(VALU_DEP_1) | instskip(NEXT) | instid1(VALU_DEP_1)
	v_min_u32_e32 v160, 32, v31
	v_subrev_nc_u32_e32 v31, 28, v160
	s_delay_alu instid0(VALU_DEP_1) | instskip(SKIP_1) | instid1(VALU_DEP_2)
	v_lshlrev_b64 v[31:32], v31, v[18:19]
	v_sub_nc_u32_e32 v32, 29, v160
	v_and_b32_e32 v31, 7, v31
; %bb.2253:                             ;   in Loop: Header=BB448_13 Depth=1
	s_or_b32 exec_lo, exec_lo, s24
	v_lshlrev_b32_e32 v18, 24, v151
	s_delay_alu instid0(VALU_DEP_2) | instskip(SKIP_1) | instid1(VALU_DEP_3)
	v_lshlrev_b32_e32 v31, 20, v31
	v_lshl_add_u32 v32, v32, 23, 0x3c000000
	v_and_b32_e32 v18, 0x80000000, v18
	s_delay_alu instid0(VALU_DEP_1)
	v_or3_b32 v18, v31, v18, v32
.LBB448_2254:                           ;   in Loop: Header=BB448_13 Depth=1
	s_or_b32 exec_lo, exec_lo, s23
.LBB448_2255:                           ;   in Loop: Header=BB448_13 Depth=1
	s_delay_alu instid0(SALU_CYCLE_1)
	s_or_b32 exec_lo, exec_lo, s22
.LBB448_2256:                           ;   in Loop: Header=BB448_13 Depth=1
	s_delay_alu instid0(SALU_CYCLE_1) | instskip(NEXT) | instid1(VALU_DEP_1)
	s_or_b32 exec_lo, exec_lo, s21
	v_mul_f32_e32 v18, v133, v18
                                        ; implicit-def: $vgpr151
	s_delay_alu instid0(VALU_DEP_1) | instskip(NEXT) | instid1(VALU_DEP_1)
	v_and_b32_e32 v31, 0x7f800000, v18
	v_cmp_ne_u32_e64 s1, 0x7f800000, v31
	s_delay_alu instid0(VALU_DEP_1) | instskip(NEXT) | instid1(SALU_CYCLE_1)
	s_and_saveexec_b32 s21, s1
	s_xor_b32 s1, exec_lo, s21
; %bb.2257:                             ;   in Loop: Header=BB448_13 Depth=1
	v_bfe_u32 v31, v18, 16, 1
	s_delay_alu instid0(VALU_DEP_1)
	v_add3_u32 v151, v18, v31, 0x7fff
                                        ; implicit-def: $vgpr18
; %bb.2258:                             ;   in Loop: Header=BB448_13 Depth=1
	s_and_not1_saveexec_b32 s21, s1
; %bb.2259:                             ;   in Loop: Header=BB448_13 Depth=1
	v_and_b32_e32 v31, 0xffff, v18
	v_or_b32_e32 v32, 0x10000, v18
	s_delay_alu instid0(VALU_DEP_2) | instskip(NEXT) | instid1(VALU_DEP_1)
	v_cmp_eq_u32_e64 s1, 0, v31
	v_cndmask_b32_e64 v151, v32, v18, s1
; %bb.2260:                             ;   in Loop: Header=BB448_13 Depth=1
	s_or_b32 exec_lo, exec_lo, s21
	v_mov_b32_e32 v18, 0
	s_mov_b32 s21, exec_lo
	v_cmpx_lt_u32_e32 0xffffff, v28
	s_cbranch_execz .LBB448_2268
; %bb.2261:                             ;   in Loop: Header=BB448_13 Depth=1
	v_lshrrev_b32_e32 v160, 24, v28
	v_bfrev_b32_e32 v18, 1
	s_mov_b32 s22, exec_lo
	s_delay_alu instid0(VALU_DEP_2)
	v_cmpx_ne_u32_e32 0x80, v160
	s_cbranch_execz .LBB448_2267
; %bb.2262:                             ;   in Loop: Header=BB448_13 Depth=1
	v_bfe_u32 v161, v28, 24, 7
	v_mov_b32_e32 v18, 0x7f800001
	s_mov_b32 s23, exec_lo
	s_delay_alu instid0(VALU_DEP_2)
	v_cmpx_ne_u32_e32 0x7f, v161
	s_cbranch_execz .LBB448_2266
; %bb.2263:                             ;   in Loop: Header=BB448_13 Depth=1
	v_and_b32_e32 v18, 7, v160
	v_mov_b32_e32 v32, v19
	v_lshrrev_b32_e32 v32, 3, v161
	s_mov_b32 s24, exec_lo
	s_delay_alu instid0(VALU_DEP_3)
	v_mov_b32_e32 v31, v18
	v_cmpx_gt_u32_e32 8, v161
; %bb.2264:                             ;   in Loop: Header=BB448_13 Depth=1
	v_clz_i32_u32_e32 v31, v18
	s_delay_alu instid0(VALU_DEP_1) | instskip(NEXT) | instid1(VALU_DEP_1)
	v_min_u32_e32 v161, 32, v31
	v_subrev_nc_u32_e32 v31, 28, v161
	s_delay_alu instid0(VALU_DEP_1) | instskip(SKIP_1) | instid1(VALU_DEP_2)
	v_lshlrev_b64 v[31:32], v31, v[18:19]
	v_sub_nc_u32_e32 v32, 29, v161
	v_and_b32_e32 v31, 7, v31
; %bb.2265:                             ;   in Loop: Header=BB448_13 Depth=1
	s_or_b32 exec_lo, exec_lo, s24
	v_lshlrev_b32_e32 v18, 24, v160
	s_delay_alu instid0(VALU_DEP_2) | instskip(SKIP_1) | instid1(VALU_DEP_3)
	v_lshlrev_b32_e32 v31, 20, v31
	v_lshl_add_u32 v32, v32, 23, 0x3c000000
	v_and_b32_e32 v18, 0x80000000, v18
	s_delay_alu instid0(VALU_DEP_1)
	v_or3_b32 v18, v31, v18, v32
.LBB448_2266:                           ;   in Loop: Header=BB448_13 Depth=1
	s_or_b32 exec_lo, exec_lo, s23
.LBB448_2267:                           ;   in Loop: Header=BB448_13 Depth=1
	s_delay_alu instid0(SALU_CYCLE_1)
	s_or_b32 exec_lo, exec_lo, s22
.LBB448_2268:                           ;   in Loop: Header=BB448_13 Depth=1
	s_delay_alu instid0(SALU_CYCLE_1) | instskip(NEXT) | instid1(VALU_DEP_1)
	s_or_b32 exec_lo, exec_lo, s21
	v_mul_f32_e32 v18, v133, v18
                                        ; implicit-def: $vgpr160
	s_delay_alu instid0(VALU_DEP_1) | instskip(NEXT) | instid1(VALU_DEP_1)
	v_and_b32_e32 v31, 0x7f800000, v18
	v_cmp_ne_u32_e64 s1, 0x7f800000, v31
	s_delay_alu instid0(VALU_DEP_1) | instskip(NEXT) | instid1(SALU_CYCLE_1)
	s_and_saveexec_b32 s21, s1
	s_xor_b32 s1, exec_lo, s21
; %bb.2269:                             ;   in Loop: Header=BB448_13 Depth=1
	v_bfe_u32 v31, v18, 16, 1
	s_delay_alu instid0(VALU_DEP_1)
	v_add3_u32 v160, v18, v31, 0x7fff
                                        ; implicit-def: $vgpr18
; %bb.2270:                             ;   in Loop: Header=BB448_13 Depth=1
	s_and_not1_saveexec_b32 s21, s1
; %bb.2271:                             ;   in Loop: Header=BB448_13 Depth=1
	v_and_b32_e32 v31, 0xffff, v18
	v_or_b32_e32 v32, 0x10000, v18
	s_delay_alu instid0(VALU_DEP_2) | instskip(NEXT) | instid1(VALU_DEP_1)
	v_cmp_eq_u32_e64 s1, 0, v31
	v_cndmask_b32_e64 v160, v32, v18, s1
; %bb.2272:                             ;   in Loop: Header=BB448_13 Depth=1
	s_or_b32 exec_lo, exec_lo, s21
	v_dual_mov_b32 v31, 0 :: v_dual_and_b32 v32, 0xff, v29
	v_mov_b32_e32 v18, v29
	s_mov_b32 s21, exec_lo
	s_delay_alu instid0(VALU_DEP_2)
	v_cmpx_ne_u16_e32 0, v32
	s_cbranch_execz .LBB448_2280
; %bb.2273:                             ;   in Loop: Header=BB448_13 Depth=1
	v_bfrev_b32_e32 v31, 1
	s_mov_b32 s22, exec_lo
	v_cmpx_ne_u16_e32 0x80, v32
	s_cbranch_execz .LBB448_2279
; %bb.2274:                             ;   in Loop: Header=BB448_13 Depth=1
	v_and_b32_e32 v161, 0x7f, v29
	v_mov_b32_e32 v31, 0x7f800001
	s_mov_b32 s23, exec_lo
	s_delay_alu instid0(VALU_DEP_2)
	v_cmpx_ne_u32_e32 0x7f, v161
	s_cbranch_execz .LBB448_2278
; %bb.2275:                             ;   in Loop: Header=BB448_13 Depth=1
	v_dual_mov_b32 v32, v19 :: v_dual_mov_b32 v31, v18
	v_lshrrev_b32_e32 v32, 3, v161
	s_mov_b32 s24, exec_lo
	v_cmpx_gt_u32_e32 8, v161
; %bb.2276:                             ;   in Loop: Header=BB448_13 Depth=1
	v_and_b32_e32 v31, 7, v29
	s_delay_alu instid0(VALU_DEP_1) | instskip(NEXT) | instid1(VALU_DEP_1)
	v_clz_i32_u32_e32 v31, v31
	v_min_u32_e32 v161, 32, v31
	s_delay_alu instid0(VALU_DEP_1) | instskip(NEXT) | instid1(VALU_DEP_1)
	v_subrev_nc_u32_e32 v31, 28, v161
	v_lshlrev_b64 v[31:32], v31, v[18:19]
	v_sub_nc_u32_e32 v32, 29, v161
; %bb.2277:                             ;   in Loop: Header=BB448_13 Depth=1
	s_or_b32 exec_lo, exec_lo, s24
	s_delay_alu instid0(VALU_DEP_2) | instskip(SKIP_1) | instid1(VALU_DEP_3)
	v_lshlrev_b32_e32 v31, 20, v31
	v_lshlrev_b32_e32 v161, 24, v18
	v_lshl_add_u32 v32, v32, 23, 0x3c000000
	s_delay_alu instid0(VALU_DEP_3) | instskip(NEXT) | instid1(VALU_DEP_3)
	v_and_b32_e32 v31, 0x700000, v31
	v_and_b32_e32 v161, 0x80000000, v161
	s_delay_alu instid0(VALU_DEP_1)
	v_or3_b32 v31, v31, v161, v32
.LBB448_2278:                           ;   in Loop: Header=BB448_13 Depth=1
	s_or_b32 exec_lo, exec_lo, s23
.LBB448_2279:                           ;   in Loop: Header=BB448_13 Depth=1
	s_delay_alu instid0(SALU_CYCLE_1)
	s_or_b32 exec_lo, exec_lo, s22
.LBB448_2280:                           ;   in Loop: Header=BB448_13 Depth=1
	s_delay_alu instid0(SALU_CYCLE_1) | instskip(NEXT) | instid1(VALU_DEP_1)
	s_or_b32 exec_lo, exec_lo, s21
	v_mul_f32_e32 v31, v133, v31
                                        ; implicit-def: $vgpr161
	s_delay_alu instid0(VALU_DEP_1) | instskip(NEXT) | instid1(VALU_DEP_1)
	v_and_b32_e32 v32, 0x7f800000, v31
	v_cmp_ne_u32_e64 s1, 0x7f800000, v32
	s_delay_alu instid0(VALU_DEP_1) | instskip(NEXT) | instid1(SALU_CYCLE_1)
	s_and_saveexec_b32 s21, s1
	s_xor_b32 s1, exec_lo, s21
; %bb.2281:                             ;   in Loop: Header=BB448_13 Depth=1
	v_bfe_u32 v32, v31, 16, 1
	s_delay_alu instid0(VALU_DEP_1)
	v_add3_u32 v161, v31, v32, 0x7fff
                                        ; implicit-def: $vgpr31
; %bb.2282:                             ;   in Loop: Header=BB448_13 Depth=1
	s_and_not1_saveexec_b32 s21, s1
; %bb.2283:                             ;   in Loop: Header=BB448_13 Depth=1
	v_and_b32_e32 v32, 0xffff, v31
	v_or_b32_e32 v161, 0x10000, v31
	s_delay_alu instid0(VALU_DEP_2) | instskip(NEXT) | instid1(VALU_DEP_1)
	v_cmp_eq_u32_e64 s1, 0, v32
	v_cndmask_b32_e64 v161, v161, v31, s1
; %bb.2284:                             ;   in Loop: Header=BB448_13 Depth=1
	s_or_b32 exec_lo, exec_lo, s21
	v_lshrrev_b16 v32, 8, v18
	v_mov_b32_e32 v31, 0
	s_mov_b32 s21, exec_lo
	s_delay_alu instid0(VALU_DEP_2)
	v_cmpx_ne_u16_e32 0, v32
	s_cbranch_execz .LBB448_2292
; %bb.2285:                             ;   in Loop: Header=BB448_13 Depth=1
	v_bfrev_b32_e32 v31, 1
	s_mov_b32 s22, exec_lo
	v_cmpx_ne_u16_e32 0x80, v32
	s_cbranch_execz .LBB448_2291
; %bb.2286:                             ;   in Loop: Header=BB448_13 Depth=1
	v_and_b32_e32 v32, 0xffff, v32
	v_mov_b32_e32 v31, 0x7f800001
	s_mov_b32 s23, exec_lo
	s_delay_alu instid0(VALU_DEP_2) | instskip(NEXT) | instid1(VALU_DEP_1)
	v_and_b32_e32 v163, 0x7f, v32
	v_cmpx_ne_u32_e32 0x7f, v163
	s_cbranch_execz .LBB448_2290
; %bb.2287:                             ;   in Loop: Header=BB448_13 Depth=1
	v_dual_mov_b32 v32, v19 :: v_dual_and_b32 v31, 7, v32
	v_lshrrev_b32_e32 v162, 3, v163
	s_mov_b32 s24, exec_lo
	v_cmpx_gt_u32_e32 8, v163
; %bb.2288:                             ;   in Loop: Header=BB448_13 Depth=1
	s_delay_alu instid0(VALU_DEP_3) | instskip(NEXT) | instid1(VALU_DEP_1)
	v_clz_i32_u32_e32 v162, v31
	v_min_u32_e32 v162, 32, v162
	s_delay_alu instid0(VALU_DEP_1) | instskip(SKIP_1) | instid1(VALU_DEP_2)
	v_subrev_nc_u32_e32 v163, 28, v162
	v_sub_nc_u32_e32 v162, 29, v162
	v_lshlrev_b64 v[31:32], v163, v[31:32]
	s_delay_alu instid0(VALU_DEP_1)
	v_and_b32_e32 v31, 7, v31
; %bb.2289:                             ;   in Loop: Header=BB448_13 Depth=1
	s_or_b32 exec_lo, exec_lo, s24
	v_lshlrev_b32_e32 v18, 16, v18
	s_delay_alu instid0(VALU_DEP_2) | instskip(SKIP_1) | instid1(VALU_DEP_3)
	v_lshlrev_b32_e32 v31, 20, v31
	v_lshl_add_u32 v32, v162, 23, 0x3c000000
	v_and_b32_e32 v18, 0x80000000, v18
	s_delay_alu instid0(VALU_DEP_1)
	v_or3_b32 v31, v31, v18, v32
.LBB448_2290:                           ;   in Loop: Header=BB448_13 Depth=1
	s_or_b32 exec_lo, exec_lo, s23
.LBB448_2291:                           ;   in Loop: Header=BB448_13 Depth=1
	s_delay_alu instid0(SALU_CYCLE_1)
	s_or_b32 exec_lo, exec_lo, s22
.LBB448_2292:                           ;   in Loop: Header=BB448_13 Depth=1
	s_delay_alu instid0(SALU_CYCLE_1) | instskip(NEXT) | instid1(VALU_DEP_1)
	s_or_b32 exec_lo, exec_lo, s21
	v_mul_f32_e32 v18, v133, v31
                                        ; implicit-def: $vgpr162
	s_delay_alu instid0(VALU_DEP_1) | instskip(NEXT) | instid1(VALU_DEP_1)
	v_and_b32_e32 v31, 0x7f800000, v18
	v_cmp_ne_u32_e64 s1, 0x7f800000, v31
	s_delay_alu instid0(VALU_DEP_1) | instskip(NEXT) | instid1(SALU_CYCLE_1)
	s_and_saveexec_b32 s21, s1
	s_xor_b32 s1, exec_lo, s21
; %bb.2293:                             ;   in Loop: Header=BB448_13 Depth=1
	v_bfe_u32 v31, v18, 16, 1
	s_delay_alu instid0(VALU_DEP_1)
	v_add3_u32 v162, v18, v31, 0x7fff
                                        ; implicit-def: $vgpr18
; %bb.2294:                             ;   in Loop: Header=BB448_13 Depth=1
	s_and_not1_saveexec_b32 s21, s1
; %bb.2295:                             ;   in Loop: Header=BB448_13 Depth=1
	v_and_b32_e32 v31, 0xffff, v18
	v_or_b32_e32 v32, 0x10000, v18
	s_delay_alu instid0(VALU_DEP_2) | instskip(NEXT) | instid1(VALU_DEP_1)
	v_cmp_eq_u32_e64 s1, 0, v31
	v_cndmask_b32_e64 v162, v32, v18, s1
; %bb.2296:                             ;   in Loop: Header=BB448_13 Depth=1
	s_or_b32 exec_lo, exec_lo, s21
	v_lshrrev_b32_e32 v163, 16, v29
	s_mov_b32 s21, exec_lo
	s_delay_alu instid0(VALU_DEP_1) | instskip(NEXT) | instid1(VALU_DEP_1)
	v_dual_mov_b32 v18, 0 :: v_dual_and_b32 v31, 0xff, v163
	v_cmpx_ne_u16_e32 0, v31
	s_cbranch_execz .LBB448_2304
; %bb.2297:                             ;   in Loop: Header=BB448_13 Depth=1
	v_bfrev_b32_e32 v18, 1
	s_mov_b32 s22, exec_lo
	v_cmpx_ne_u16_e32 0x80, v31
	s_cbranch_execz .LBB448_2303
; %bb.2298:                             ;   in Loop: Header=BB448_13 Depth=1
	v_bfe_u32 v164, v29, 16, 7
	v_mov_b32_e32 v18, 0x7f800001
	s_mov_b32 s23, exec_lo
	s_delay_alu instid0(VALU_DEP_2)
	v_cmpx_ne_u32_e32 0x7f, v164
	s_cbranch_execz .LBB448_2302
; %bb.2299:                             ;   in Loop: Header=BB448_13 Depth=1
	v_and_b32_e32 v18, 7, v163
	v_mov_b32_e32 v32, v19
	v_lshrrev_b32_e32 v32, 3, v164
	s_mov_b32 s24, exec_lo
	s_delay_alu instid0(VALU_DEP_3)
	v_mov_b32_e32 v31, v18
	v_cmpx_gt_u32_e32 8, v164
; %bb.2300:                             ;   in Loop: Header=BB448_13 Depth=1
	v_clz_i32_u32_e32 v31, v18
	s_delay_alu instid0(VALU_DEP_1) | instskip(NEXT) | instid1(VALU_DEP_1)
	v_min_u32_e32 v164, 32, v31
	v_subrev_nc_u32_e32 v31, 28, v164
	s_delay_alu instid0(VALU_DEP_1) | instskip(SKIP_1) | instid1(VALU_DEP_2)
	v_lshlrev_b64 v[31:32], v31, v[18:19]
	v_sub_nc_u32_e32 v32, 29, v164
	v_and_b32_e32 v31, 7, v31
; %bb.2301:                             ;   in Loop: Header=BB448_13 Depth=1
	s_or_b32 exec_lo, exec_lo, s24
	v_lshlrev_b32_e32 v18, 24, v163
	s_delay_alu instid0(VALU_DEP_2) | instskip(SKIP_1) | instid1(VALU_DEP_3)
	v_lshlrev_b32_e32 v31, 20, v31
	v_lshl_add_u32 v32, v32, 23, 0x3c000000
	v_and_b32_e32 v18, 0x80000000, v18
	s_delay_alu instid0(VALU_DEP_1)
	v_or3_b32 v18, v31, v18, v32
.LBB448_2302:                           ;   in Loop: Header=BB448_13 Depth=1
	s_or_b32 exec_lo, exec_lo, s23
.LBB448_2303:                           ;   in Loop: Header=BB448_13 Depth=1
	s_delay_alu instid0(SALU_CYCLE_1)
	s_or_b32 exec_lo, exec_lo, s22
.LBB448_2304:                           ;   in Loop: Header=BB448_13 Depth=1
	s_delay_alu instid0(SALU_CYCLE_1) | instskip(NEXT) | instid1(VALU_DEP_1)
	s_or_b32 exec_lo, exec_lo, s21
	v_mul_f32_e32 v18, v133, v18
	s_delay_alu instid0(VALU_DEP_1) | instskip(NEXT) | instid1(VALU_DEP_1)
	v_and_b32_e32 v31, 0x7f800000, v18
	v_cmp_ne_u32_e64 s1, 0x7f800000, v31
                                        ; implicit-def: $vgpr31
	s_delay_alu instid0(VALU_DEP_1) | instskip(NEXT) | instid1(SALU_CYCLE_1)
	s_and_saveexec_b32 s21, s1
	s_xor_b32 s1, exec_lo, s21
; %bb.2305:                             ;   in Loop: Header=BB448_13 Depth=1
	v_bfe_u32 v31, v18, 16, 1
	s_delay_alu instid0(VALU_DEP_1)
	v_add3_u32 v31, v18, v31, 0x7fff
                                        ; implicit-def: $vgpr18
; %bb.2306:                             ;   in Loop: Header=BB448_13 Depth=1
	s_and_not1_saveexec_b32 s21, s1
; %bb.2307:                             ;   in Loop: Header=BB448_13 Depth=1
	v_and_b32_e32 v31, 0xffff, v18
	v_or_b32_e32 v32, 0x10000, v18
	s_delay_alu instid0(VALU_DEP_2) | instskip(NEXT) | instid1(VALU_DEP_1)
	v_cmp_eq_u32_e64 s1, 0, v31
	v_cndmask_b32_e64 v31, v32, v18, s1
; %bb.2308:                             ;   in Loop: Header=BB448_13 Depth=1
	s_or_b32 exec_lo, exec_lo, s21
	v_mov_b32_e32 v18, 0
	s_mov_b32 s21, exec_lo
	v_cmpx_lt_u64_e64 s[16:17], v[28:29]
	s_cbranch_execz .LBB448_2316
; %bb.2309:                             ;   in Loop: Header=BB448_13 Depth=1
	v_lshrrev_b32_e32 v32, 24, v29
	v_bfrev_b32_e32 v18, 1
	s_mov_b32 s22, exec_lo
	s_delay_alu instid0(VALU_DEP_2)
	v_cmpx_ne_u32_e32 0x80, v32
	s_cbranch_execz .LBB448_2315
; %bb.2310:                             ;   in Loop: Header=BB448_13 Depth=1
	v_bfe_u32 v163, v29, 24, 7
	v_mov_b32_e32 v18, 0x7f800001
	s_mov_b32 s23, exec_lo
	s_delay_alu instid0(VALU_DEP_2)
	v_cmpx_ne_u32_e32 0x7f, v163
	s_cbranch_execz .LBB448_2314
; %bb.2311:                             ;   in Loop: Header=BB448_13 Depth=1
	v_and_b32_e32 v18, 7, v32
	v_mov_b32_e32 v29, v19
	v_lshrrev_b32_e32 v29, 3, v163
	s_mov_b32 s24, exec_lo
	s_delay_alu instid0(VALU_DEP_3)
	v_mov_b32_e32 v28, v18
	v_cmpx_gt_u32_e32 8, v163
; %bb.2312:                             ;   in Loop: Header=BB448_13 Depth=1
	v_clz_i32_u32_e32 v28, v18
	s_delay_alu instid0(VALU_DEP_1) | instskip(NEXT) | instid1(VALU_DEP_1)
	v_min_u32_e32 v163, 32, v28
	v_subrev_nc_u32_e32 v28, 28, v163
	s_delay_alu instid0(VALU_DEP_1) | instskip(SKIP_1) | instid1(VALU_DEP_2)
	v_lshlrev_b64 v[28:29], v28, v[18:19]
	v_sub_nc_u32_e32 v29, 29, v163
	v_and_b32_e32 v28, 7, v28
; %bb.2313:                             ;   in Loop: Header=BB448_13 Depth=1
	s_or_b32 exec_lo, exec_lo, s24
	v_lshlrev_b32_e32 v18, 24, v32
	s_delay_alu instid0(VALU_DEP_2) | instskip(SKIP_1) | instid1(VALU_DEP_3)
	v_lshlrev_b32_e32 v28, 20, v28
	v_lshl_add_u32 v29, v29, 23, 0x3c000000
	v_and_b32_e32 v18, 0x80000000, v18
	s_delay_alu instid0(VALU_DEP_1)
	v_or3_b32 v18, v28, v18, v29
.LBB448_2314:                           ;   in Loop: Header=BB448_13 Depth=1
	s_or_b32 exec_lo, exec_lo, s23
.LBB448_2315:                           ;   in Loop: Header=BB448_13 Depth=1
	s_delay_alu instid0(SALU_CYCLE_1)
	s_or_b32 exec_lo, exec_lo, s22
.LBB448_2316:                           ;   in Loop: Header=BB448_13 Depth=1
	s_delay_alu instid0(SALU_CYCLE_1) | instskip(NEXT) | instid1(VALU_DEP_1)
	s_or_b32 exec_lo, exec_lo, s21
	v_mul_f32_e32 v28, v133, v18
	s_delay_alu instid0(VALU_DEP_1) | instskip(NEXT) | instid1(VALU_DEP_1)
	v_and_b32_e32 v18, 0x7f800000, v28
	v_cmp_ne_u32_e64 s1, 0x7f800000, v18
                                        ; implicit-def: $vgpr18
	s_delay_alu instid0(VALU_DEP_1) | instskip(NEXT) | instid1(SALU_CYCLE_1)
	s_and_saveexec_b32 s21, s1
	s_xor_b32 s1, exec_lo, s21
; %bb.2317:                             ;   in Loop: Header=BB448_13 Depth=1
	v_bfe_u32 v18, v28, 16, 1
	s_delay_alu instid0(VALU_DEP_1)
	v_add3_u32 v18, v28, v18, 0x7fff
                                        ; implicit-def: $vgpr28
; %bb.2318:                             ;   in Loop: Header=BB448_13 Depth=1
	s_and_not1_saveexec_b32 s21, s1
	s_cbranch_execz .LBB448_11
; %bb.2319:                             ;   in Loop: Header=BB448_13 Depth=1
	v_and_b32_e32 v18, 0xffff, v28
	v_or_b32_e32 v29, 0x10000, v28
	s_delay_alu instid0(VALU_DEP_2) | instskip(NEXT) | instid1(VALU_DEP_1)
	v_cmp_eq_u32_e64 s1, 0, v18
	v_cndmask_b32_e64 v18, v29, v28, s1
	s_branch .LBB448_11
.LBB448_2320:
	s_or_b32 exec_lo, exec_lo, s11
	s_clause 0xe
	scratch_load_b32 v30, off, s32 offset:1256
	scratch_load_b32 v26, off, s32 offset:1260
	;; [unrolled: 1-line block ×12, first 2 shown]
	scratch_load_b64 v[33:34], off, s32 offset:1304
	scratch_load_b32 v16, off, s32 offset:1312
	scratch_load_b32 v23, off, s32 offset:1316
.LBB448_2321:
	s_or_b32 exec_lo, exec_lo, s15
	v_mbcnt_lo_u32_b32 v0, -1, 0
	s_waitcnt lgkmcnt(0)
	s_lshr_b32 s8, s13, 16
	v_max_f32_e32 v4, v115, v115
	s_delay_alu instid0(VALU_DEP_2) | instskip(SKIP_2) | instid1(VALU_DEP_3)
	v_xor_b32_e32 v1, 16, v0
	v_xor_b32_e32 v3, 8, v0
	;; [unrolled: 1-line block ×3, first 2 shown]
	v_cmp_gt_i32_e32 vcc_lo, 32, v1
	v_cndmask_b32_e32 v1, v0, v1, vcc_lo
	s_delay_alu instid0(VALU_DEP_4) | instskip(NEXT) | instid1(VALU_DEP_2)
	v_cmp_gt_i32_e32 vcc_lo, 32, v3
	v_dual_cndmask_b32 v3, v0, v3 :: v_dual_lshlrev_b32 v2, 2, v1
	v_cmp_gt_i32_e32 vcc_lo, 32, v5
	ds_bpermute_b32 v1, v2, v115
	v_lshlrev_b32_e32 v3, 2, v3
	v_cndmask_b32_e32 v5, v0, v5, vcc_lo
	s_waitcnt lgkmcnt(0)
	v_max_f32_e32 v1, v1, v1
	s_delay_alu instid0(VALU_DEP_1) | instskip(SKIP_3) | instid1(VALU_DEP_1)
	v_max_f32_e32 v1, v4, v1
	ds_bpermute_b32 v4, v3, v1
	s_waitcnt lgkmcnt(0)
	v_max_f32_e32 v6, v4, v4
	v_dual_max_f32 v1, v1, v6 :: v_dual_lshlrev_b32 v4, 2, v5
	v_xor_b32_e32 v6, 2, v0
	ds_bpermute_b32 v5, v4, v1
	v_cmp_gt_i32_e32 vcc_lo, 32, v6
	v_cndmask_b32_e32 v6, v0, v6, vcc_lo
	s_delay_alu instid0(VALU_DEP_1) | instskip(SKIP_1) | instid1(VALU_DEP_1)
	v_lshlrev_b32_e32 v20, 2, v6
	v_xor_b32_e32 v6, 1, v0
	v_cmp_gt_i32_e32 vcc_lo, 32, v6
	s_waitcnt lgkmcnt(0)
	v_dual_max_f32 v5, v5, v5 :: v_dual_cndmask_b32 v6, v0, v6
	s_delay_alu instid0(VALU_DEP_1) | instskip(NEXT) | instid1(VALU_DEP_2)
	v_max_f32_e32 v1, v1, v5
	v_lshlrev_b32_e32 v13, 2, v6
	ds_bpermute_b32 v5, v20, v1
	s_waitcnt lgkmcnt(0)
	v_max_f32_e32 v5, v5, v5
	s_delay_alu instid0(VALU_DEP_1)
	v_max_f32_e32 v0, v1, v5
	scratch_load_b32 v5, off, s32 offset:568 ; 4-byte Folded Reload
	ds_bpermute_b32 v1, v13, v0
	s_waitcnt vmcnt(0)
	v_cmp_eq_u32_e32 vcc_lo, 0, v5
	scratch_load_b32 v5, off, s32 offset:1244 ; 4-byte Folded Reload
	s_waitcnt vmcnt(0)
	v_lshlrev_b32_e32 v5, 2, v5
	s_and_saveexec_b32 s1, vcc_lo
	s_cbranch_execz .LBB448_2323
; %bb.2322:
	s_waitcnt lgkmcnt(0)
	v_dual_max_f32 v1, v1, v1 :: v_dual_max_f32 v0, v0, v0
	s_delay_alu instid0(VALU_DEP_1)
	v_max_f32_e32 v0, v0, v1
	ds_store_b32 v5, v0 offset:384
.LBB448_2323:
	s_or_b32 exec_lo, exec_lo, s1
	scratch_load_b32 v0, off, s32 offset:568 ; 4-byte Folded Reload
	s_waitcnt vmcnt(0) lgkmcnt(0)
	s_waitcnt_vscnt null, 0x0
	s_barrier
	buffer_gl0_inv
	v_cmp_gt_u32_e64 s1, 4, v0
	v_mov_b32_e32 v0, 0xff7fffff
	s_delay_alu instid0(VALU_DEP_2)
	s_and_saveexec_b32 s2, s1
	s_cbranch_execz .LBB448_2325
; %bb.2324:
	ds_load_b32 v0, v23 offset:384
.LBB448_2325:
	s_or_b32 exec_lo, exec_lo, s2
	scratch_load_b32 v6, off, s32 offset:340 ; 4-byte Folded Reload
	s_waitcnt lgkmcnt(0)
	ds_bpermute_b32 v1, v20, v0
	s_waitcnt lgkmcnt(0)
	v_dual_max_f32 v0, v0, v0 :: v_dual_max_f32 v1, v1, v1
	s_delay_alu instid0(VALU_DEP_1)
	v_max_f32_e32 v0, v0, v1
	ds_bpermute_b32 v1, v13, v0
	s_waitcnt lgkmcnt(0)
	v_max_f32_e32 v1, v1, v1
	s_waitcnt vmcnt(0)
	v_subrev_nc_u32_e32 v7, s3, v6
	v_mov_b32_e32 v6, 0
	s_delay_alu instid0(VALU_DEP_3) | instskip(NEXT) | instid1(VALU_DEP_3)
	v_max_f32_e32 v0, v0, v1
	v_lshl_add_u32 v1, v7, 5, s19
	scratch_load_b32 v7, off, s32 offset:572 ; 4-byte Folded Reload
	ds_bpermute_b32 v0, v6, v0
	v_min_i32_e32 v1, v1, v36
	s_delay_alu instid0(VALU_DEP_1) | instskip(SKIP_1) | instid1(VALU_DEP_1)
	v_subrev_nc_u32_e32 v1, s19, v1
	s_waitcnt vmcnt(0)
	v_cmp_lt_i32_e64 s2, v7, v1
	s_delay_alu instid0(VALU_DEP_1)
	s_and_saveexec_b32 s9, s2
	s_cbranch_execz .LBB448_2329
; %bb.2326:
	scratch_load_b32 v8, off, s32 offset:572 ; 4-byte Folded Reload
	s_getpc_b64 s[16:17]
	s_add_u32 s16, s16, llvm.amdgcn.dynlds.offset.table@rel32@lo+4
	s_addc_u32 s17, s17, llvm.amdgcn.dynlds.offset.table@rel32@hi+12
	s_ashr_i32 s11, s10, 31
	v_mov_b32_e32 v6, 0
	s_lshl_b64 s[20:21], s[10:11], 2
	s_mov_b32 s11, 0
	s_add_u32 s16, s20, s16
	s_addc_u32 s17, s21, s17
	s_load_b32 s3, s[16:17], 0x0
	s_waitcnt vmcnt(0) lgkmcnt(0)
	v_lshl_add_u32 v7, v8, 2, s3
	.p2align	6
.LBB448_2327:                           ; =>This Inner Loop Header: Depth=1
	ds_load_b32 v9, v7
	v_add_nc_u32_e32 v8, 0x80, v8
	s_delay_alu instid0(VALU_DEP_1) | instskip(NEXT) | instid1(VALU_DEP_1)
	v_cmp_ge_i32_e64 s3, v8, v1
	s_or_b32 s11, s3, s11
	s_waitcnt lgkmcnt(0)
	v_sub_f32_e32 v9, v9, v0
	s_delay_alu instid0(VALU_DEP_1) | instskip(NEXT) | instid1(VALU_DEP_1)
	v_mul_f32_e32 v9, 0x3fb8aa3b, v9
	v_exp_f32_e32 v9, v9
	ds_store_b32 v7, v9
	v_dual_add_f32 v6, v6, v9 :: v_dual_add_nc_u32 v7, 0x200, v7
	s_and_not1_b32 exec_lo, exec_lo, s11
	s_cbranch_execnz .LBB448_2327
; %bb.2328:
	s_or_b32 exec_lo, exec_lo, s11
.LBB448_2329:
	s_delay_alu instid0(SALU_CYCLE_1)
	s_or_b32 exec_lo, exec_lo, s9
	ds_bpermute_b32 v2, v2, v6
	s_waitcnt lgkmcnt(0)
	v_add_f32_e32 v2, v6, v2
	ds_bpermute_b32 v3, v3, v2
	s_waitcnt lgkmcnt(0)
	v_add_f32_e32 v2, v2, v3
	;; [unrolled: 3-line block ×5, first 2 shown]
	s_and_saveexec_b32 s3, vcc_lo
	s_cbranch_execz .LBB448_2331
; %bb.2330:
	ds_store_b32 v5, v2 offset:400
.LBB448_2331:
	s_or_b32 exec_lo, exec_lo, s3
	s_waitcnt lgkmcnt(0)
	s_barrier
	buffer_gl0_inv
	s_and_saveexec_b32 s3, s1
	s_cbranch_execz .LBB448_2333
; %bb.2332:
	ds_load_b32 v2, v23 offset:400
.LBB448_2333:
	s_or_b32 exec_lo, exec_lo, s3
	s_waitcnt lgkmcnt(0)
	ds_bpermute_b32 v3, v20, v2
	s_waitcnt lgkmcnt(0)
	v_add_f32_e32 v2, v2, v3
	ds_bpermute_b32 v3, v13, v2
	s_waitcnt lgkmcnt(0)
	v_dual_add_f32 v2, v2, v3 :: v_dual_mov_b32 v3, 0
	ds_bpermute_b32 v2, v3, v2
	s_and_saveexec_b32 s1, s2
	s_cbranch_execz .LBB448_2336
; %bb.2334:
	s_waitcnt lgkmcnt(0)
	v_add_f32_e32 v4, 0x358637bd, v2
	s_getpc_b64 s[2:3]
	s_add_u32 s2, s2, llvm.amdgcn.dynlds.offset.table@rel32@lo+4
	s_addc_u32 s3, s3, llvm.amdgcn.dynlds.offset.table@rel32@hi+12
	s_ashr_i32 s11, s10, 31
	s_delay_alu instid0(SALU_CYCLE_1) | instskip(SKIP_4) | instid1(VALU_DEP_1)
	s_lshl_b64 s[16:17], s[10:11], 2
	v_div_scale_f32 v3, null, v4, v4, 1.0
	s_add_u32 s2, s16, s2
	s_addc_u32 s3, s17, s3
	s_load_b32 s2, s[2:3], 0x0
	v_rcp_f32_e32 v5, v3
	s_waitcnt_depctr 0xfff
	v_fma_f32 v6, -v3, v5, 1.0
	s_delay_alu instid0(VALU_DEP_1) | instskip(SKIP_1) | instid1(VALU_DEP_1)
	v_fmac_f32_e32 v5, v6, v5
	v_div_scale_f32 v7, vcc_lo, 1.0, v4, 1.0
	v_mul_f32_e32 v6, v7, v5
	s_delay_alu instid0(VALU_DEP_1) | instskip(NEXT) | instid1(VALU_DEP_1)
	v_fma_f32 v8, -v3, v6, v7
	v_fmac_f32_e32 v6, v8, v5
	s_delay_alu instid0(VALU_DEP_1) | instskip(NEXT) | instid1(VALU_DEP_1)
	v_fma_f32 v3, -v3, v6, v7
	v_div_fmas_f32 v5, v3, v5, v6
	scratch_load_b32 v6, off, s32 offset:572 ; 4-byte Folded Reload
	v_div_fixup_f32 v4, v5, v4, 1.0
	s_waitcnt vmcnt(0) lgkmcnt(0)
	v_lshl_add_u32 v3, v6, 2, s2
	v_mov_b32_e32 v5, v6
	s_mov_b32 s2, 0
.LBB448_2335:                           ; =>This Inner Loop Header: Depth=1
	ds_load_b32 v6, v3
	s_waitcnt lgkmcnt(0)
	v_dual_mul_f32 v6, v4, v6 :: v_dual_add_nc_u32 v5, 0x80, v5
	s_delay_alu instid0(VALU_DEP_1) | instskip(SKIP_3) | instid1(SALU_CYCLE_1)
	v_cmp_ge_i32_e32 vcc_lo, v5, v1
	ds_store_b32 v3, v6
	v_add_nc_u32_e32 v3, 0x200, v3
	s_or_b32 s2, vcc_lo, s2
	s_and_not1_b32 exec_lo, exec_lo, s2
	s_cbranch_execnz .LBB448_2335
.LBB448_2336:
	s_or_b32 exec_lo, exec_lo, s1
	scratch_load_b32 v1, off, s32 offset:572 ; 4-byte Folded Reload
	v_cmp_ne_u16_e64 s1, s8, 0
	s_mov_b32 s2, exec_lo
	s_waitcnt vmcnt(0) lgkmcnt(0)
	s_barrier
	buffer_gl0_inv
	s_cmp_lg_u32 s1, 0
	s_addc_u32 s1, s7, 0
	v_cmpx_eq_u32_e32 0, v1
	s_cbranch_execz .LBB448_2338
; %bb.2337:
	s_mul_i32 s3, s1, s4
	s_mul_i32 s8, s1, s12
	;; [unrolled: 1-line block ×3, first 2 shown]
	s_ashr_i32 s9, s8, 31
	s_ashr_i32 s15, s14, 31
	;; [unrolled: 1-line block ×3, first 2 shown]
	s_lshl_b64 s[8:9], s[8:9], 2
	s_lshl_b64 s[16:17], s[14:15], 2
	;; [unrolled: 1-line block ×3, first 2 shown]
	s_add_u32 s3, s16, s8
	s_addc_u32 s7, s17, s9
	s_add_u32 s3, s3, s12
	s_addc_u32 s7, s7, s13
	v_add_co_u32 v3, vcc_lo, s3, v32
	v_add_co_ci_u32_e32 v4, vcc_lo, s7, v27, vcc_lo
	v_add_co_u32 v5, vcc_lo, s3, v24
	v_add_co_ci_u32_e32 v6, vcc_lo, s7, v22, vcc_lo
	flat_store_b32 v[3:4], v0
	flat_store_b32 v[5:6], v2
.LBB448_2338:
	s_or_b32 exec_lo, exec_lo, s2
	v_dual_mov_b32 v0, 0 :: v_dual_mov_b32 v23, 0
	s_ashr_i32 s11, s10, 31
	s_getpc_b64 s[2:3]
	s_add_u32 s2, s2, llvm.amdgcn.dynlds.offset.table@rel32@lo+4
	s_addc_u32 s3, s3, llvm.amdgcn.dynlds.offset.table@rel32@hi+12
	s_lshl_b64 s[8:9], s[10:11], 2
	scratch_store_b32 off, v0, s32 offset:396 ; 4-byte Folded Spill
	v_dual_mov_b32 v0, 0 :: v_dual_mov_b32 v21, 0
	v_dual_mov_b32 v81, 0 :: v_dual_mov_b32 v80, 0
	v_mov_b32_e32 v69, 0
	scratch_store_b32 off, v0, s32 offset:392 ; 4-byte Folded Spill
	v_dual_mov_b32 v0, 0 :: v_dual_mov_b32 v71, 0
	v_mov_b32_e32 v70, 0
	v_dual_mov_b32 v4, 0 :: v_dual_mov_b32 v5, 0
	scratch_store_b32 off, v0, s32 offset:388 ; 4-byte Folded Spill
	v_mov_b32_e32 v0, 0
	v_mov_b32_e32 v50, 0
	;; [unrolled: 1-line block ×4, first 2 shown]
	s_add_u32 s2, s8, s2
	scratch_store_b32 off, v0, s32 offset:384 ; 4-byte Folded Spill
	v_mov_b32_e32 v0, 0
	s_addc_u32 s3, s9, s3
	s_mov_b32 s10, 0
	scratch_store_b32 off, v0, s32 offset:380 ; 4-byte Folded Spill
	v_mov_b32_e32 v0, 0
	scratch_store_b32 off, v0, s32 offset:376 ; 4-byte Folded Spill
	v_mov_b32_e32 v0, 0
	;; [unrolled: 2-line block ×7, first 2 shown]
	scratch_store_b32 off, v0, s32 offset:352 ; 4-byte Folded Spill
	s_and_saveexec_b32 s7, s0
	s_cbranch_execz .LBB448_5496
; %bb.2339:
	v_max_i32_e32 v30, v30, v16
	v_add_co_u32 v1, vcc_lo, v14, v33
	s_clause 0x1
	scratch_store_b32 off, v20, s32 offset:648
	scratch_store_b32 off, v13, s32 offset:644
	v_mov_b32_e32 v69, 0
	v_cvt_f32_u32_e32 v0, v30
	scratch_store_b32 off, v1, s32 offset:584 ; 4-byte Folded Spill
	v_add_co_ci_u32_e32 v1, vcc_lo, v15, v34, vcc_lo
	v_add_co_u32 v2, vcc_lo, v25, v12
	v_rcp_iflag_f32_e32 v0, v0
	v_add_co_ci_u32_e32 v3, vcc_lo, v26, v11, vcc_lo
	v_mov_b32_e32 v13, 0
	s_load_b32 s0, s[2:3], 0x0
	v_mov_b32_e32 v70, 0
	scratch_store_b64 off, v[2:3], s32 offset:592 ; 8-byte Folded Spill
	v_add_nc_u32_e32 v2, -1, v10
	v_dual_mov_b32 v80, 0 :: v_dual_mov_b32 v3, 0
	v_mul_f32_e32 v0, 0x4f7ffffe, v0
	s_lshl_b32 s11, s19, 2
	scratch_store_b32 off, v2, s32 offset:600 ; 4-byte Folded Spill
	v_mov_b32_e32 v2, 0
	scratch_store_b32 off, v3, s32 offset:408 ; 4-byte Folded Spill
	v_mov_b32_e32 v3, 0
	v_cvt_u32_f32_e32 v0, v0
	s_mov_b32 s8, -1
	s_mov_b32 s9, 0xffffff
	v_mov_b32_e32 v71, 0
	scratch_store_b32 off, v3, s32 offset:412 ; 4-byte Folded Spill
	v_mov_b32_e32 v3, 0
	v_mov_b32_e32 v81, 0
	s_waitcnt lgkmcnt(0)
	s_sub_i32 s11, s0, s11
	scratch_store_b32 off, v3, s32 offset:416 ; 4-byte Folded Spill
	v_mov_b32_e32 v3, 0
	scratch_store_b32 off, v3, s32 offset:420 ; 4-byte Folded Spill
	v_mov_b32_e32 v3, 0
	s_clause 0x1
	scratch_store_b32 off, v2, s32 offset:352
	scratch_store_b32 off, v1, s32 offset:588
	scratch_load_b32 v1, off, s32 offset:572 ; 4-byte Folded Reload
	v_mov_b32_e32 v2, 0
	scratch_store_b32 off, v3, s32 offset:368 ; 4-byte Folded Spill
	v_mov_b32_e32 v3, 0
	scratch_store_b32 off, v2, s32 offset:356 ; 4-byte Folded Spill
	s_waitcnt vmcnt(0)
	v_dual_mov_b32 v2, 0 :: v_dual_lshlrev_b32 v1, 3, v1
	s_delay_alu instid0(VALU_DEP_1)
	v_and_b32_e32 v4, 0xf8, v1
	v_and_b32_e32 v1, 24, v1
	scratch_store_b32 off, v3, s32 offset:372 ; 4-byte Folded Spill
	v_mov_b32_e32 v3, 0
	scratch_store_b32 off, v2, s32 offset:360 ; 4-byte Folded Spill
	v_mov_b32_e32 v2, 0
	scratch_store_b32 off, v1, s32 offset:608 ; 4-byte Folded Spill
	v_or_b32_e32 v1, 0x1000, v4
	scratch_store_b32 off, v3, s32 offset:376 ; 4-byte Folded Spill
	v_mov_b32_e32 v3, 0
	scratch_store_b32 off, v2, s32 offset:364 ; 4-byte Folded Spill
	v_mov_b32_e32 v2, 0
	s_clause 0x2
	scratch_store_b32 off, v1, s32 offset:612
	scratch_store_b32 off, v3, s32 offset:380
	;; [unrolled: 1-line block ×3, first 2 shown]
	v_sub_nc_u32_e32 v2, 0, v30
	s_delay_alu instid0(VALU_DEP_1) | instskip(NEXT) | instid1(VALU_DEP_1)
	v_mul_lo_u32 v2, v2, v0
	v_mul_hi_u32 v1, v0, v2
	v_or_b32_e32 v2, 0x1100, v4
	scratch_store_b32 off, v2, s32 offset:616 ; 4-byte Folded Spill
	v_or_b32_e32 v2, 0x1200, v4
	v_add_nc_u32_e32 v0, v0, v1
	scratch_store_b32 off, v2, s32 offset:620 ; 4-byte Folded Spill
	v_or_b32_e32 v2, 0x1300, v4
	scratch_store_b32 off, v2, s32 offset:624 ; 4-byte Folded Spill
	v_or_b32_e32 v2, 0x1400, v4
	;; [unrolled: 2-line block ×4, first 2 shown]
	s_clause 0x1
	scratch_store_b32 off, v2, s32 offset:636
	scratch_store_b32 off, v4, s32 offset:604
	v_or_b32_e32 v2, 0x1700, v4
	scratch_store_b32 off, v0, s32 offset:436 ; 4-byte Folded Spill
	v_mov_b32_e32 v0, 0
	s_clause 0x1
	scratch_store_b32 off, v2, s32 offset:640
	scratch_store_b32 off, v0, s32 offset:384
	v_mov_b32_e32 v0, 0
	scratch_store_b32 off, v0, s32 offset:388 ; 4-byte Folded Spill
	v_mov_b32_e32 v0, 0
	scratch_store_b32 off, v0, s32 offset:392 ; 4-byte Folded Spill
	v_mov_b32_e32 v0, 0
	scratch_store_b32 off, v0, s32 offset:396 ; 4-byte Folded Spill
	v_mov_b32_e32 v0, 0
	scratch_store_b32 off, v0, s32 offset:424 ; 4-byte Folded Spill
	v_mov_b32_e32 v0, 0
	scratch_store_b32 off, v0, s32 offset:428 ; 4-byte Folded Spill
	s_branch .LBB448_2342
.LBB448_2340:                           ;   in Loop: Header=BB448_2342 Depth=1
	s_or_b32 exec_lo, exec_lo, s0
	v_and_b32_e32 v7, 0xffff0000, v7
	v_and_b32_e32 v32, 0xffff0000, v32
	;; [unrolled: 1-line block ×7, first 2 shown]
	v_dual_add_f32 v6, v6, v7 :: v_dual_and_b32 v7, 0xffff0000, v33
	v_and_b32_e32 v9, 0xffff0000, v9
	v_and_b32_e32 v8, 0xffff0000, v8
	;; [unrolled: 1-line block ×3, first 2 shown]
	s_delay_alu instid0(VALU_DEP_4) | instskip(NEXT) | instid1(VALU_DEP_3)
	v_dual_add_f32 v7, v32, v7 :: v_dual_and_b32 v14, 0xffff0000, v14
	v_dual_add_f32 v8, v8, v9 :: v_dual_and_b32 v33, 0xffff0000, v34
	v_and_b32_e32 v9, 0xffff0000, v85
	v_and_b32_e32 v10, 0xffff0000, v10
	s_delay_alu instid0(VALU_DEP_4) | instskip(SKIP_1) | instid1(VALU_DEP_3)
	v_dual_add_f32 v6, v6, v7 :: v_dual_and_b32 v7, 0xffff0000, v21
	v_and_b32_e32 v21, 0xffff0000, v43
	v_dual_add_f32 v10, v10, v11 :: v_dual_and_b32 v5, 0xffff0000, v5
	v_and_b32_e32 v11, 0xffff0000, v114
	s_delay_alu instid0(VALU_DEP_3) | instskip(SKIP_4) | instid1(VALU_DEP_3)
	v_dual_add_f32 v7, v21, v7 :: v_dual_and_b32 v4, 0xffff0000, v4
	v_and_b32_e32 v21, 0xffff0000, v25
	v_and_b32_e32 v24, 0xffff0000, v24
	;; [unrolled: 1-line block ×3, first 2 shown]
	v_dual_add_f32 v20, v22, v20 :: v_dual_and_b32 v25, 0xffff0000, v53
	v_dual_add_f32 v21, v24, v21 :: v_dual_and_b32 v22, 0xffff0000, v103
	s_delay_alu instid0(VALU_DEP_3)
	v_add_f32_e32 v32, v33, v32
	v_add_f32_e32 v4, v4, v5
	v_and_b32_e32 v5, 0xffff0000, v37
	v_and_b32_e32 v1, 0xffff0000, v1
	v_add_f32_e32 v7, v7, v21
	v_and_b32_e32 v21, 0xffff0000, v29
	v_and_b32_e32 v24, 0xffff0000, v28
	v_dual_add_f32 v6, v6, v32 :: v_dual_and_b32 v29, 0xffff0000, v150
	v_and_b32_e32 v0, 0xffff0000, v0
	v_and_b32_e32 v3, 0xffff0000, v3
	s_delay_alu instid0(VALU_DEP_4) | instskip(SKIP_3) | instid1(VALU_DEP_4)
	v_dual_add_f32 v21, v24, v21 :: v_dual_and_b32 v24, 0xffff0000, v52
	v_and_b32_e32 v16, 0xffff0000, v16
	v_and_b32_e32 v2, 0xffff0000, v2
	v_add_f32_e32 v0, v0, v1
	v_add_f32_e32 v7, v7, v21
	;; [unrolled: 1-line block ×3, first 2 shown]
	v_and_b32_e32 v21, 0xffff0000, v181
	v_and_b32_e32 v25, 0xffff0000, v180
	;; [unrolled: 1-line block ×3, first 2 shown]
	v_add_f32_e32 v18, v18, v22
	v_add_f32_e32 v6, v6, v24
	s_delay_alu instid0(VALU_DEP_4) | instskip(SKIP_4) | instid1(VALU_DEP_4)
	v_dual_add_f32 v21, v25, v21 :: v_dual_and_b32 v24, 0xffff0000, v164
	v_and_b32_e32 v25, 0xffff0000, v182
	v_and_b32_e32 v31, 0xffff0000, v176
	v_dual_add_f32 v1, v2, v3 :: v_dual_and_b32 v22, 0xffff0000, v161
	v_and_b32_e32 v2, 0xffff0000, v12
	v_dual_add_f32 v16, v16, v25 :: v_dual_and_b32 v25, 0xffff0000, v44
	v_and_b32_e32 v12, 0xffff0000, v118
	s_delay_alu instid0(VALU_DEP_4) | instskip(NEXT) | instid1(VALU_DEP_3)
	v_add_f32_e32 v0, v0, v1
	v_add_f32_e32 v16, v21, v16
	s_delay_alu instid0(VALU_DEP_4) | instskip(SKIP_1) | instid1(VALU_DEP_2)
	v_dual_add_f32 v25, v25, v28 :: v_dual_and_b32 v28, 0xffff0000, v183
	v_and_b32_e32 v21, 0xffff0000, v40
	v_add_f32_e32 v7, v7, v25
	v_and_b32_e32 v25, 0xffff0000, v166
	s_delay_alu instid0(VALU_DEP_3) | instskip(NEXT) | instid1(VALU_DEP_1)
	v_add_f32_e32 v21, v28, v21
	v_add_f32_e32 v16, v16, v21
	v_and_b32_e32 v21, 0xffff0000, v165
	s_delay_alu instid0(VALU_DEP_1) | instskip(NEXT) | instid1(VALU_DEP_1)
	v_dual_add_f32 v21, v24, v21 :: v_dual_and_b32 v24, 0xffff0000, v167
	v_dual_add_f32 v24, v25, v24 :: v_dual_and_b32 v25, 0xffff0000, v41
	s_delay_alu instid0(VALU_DEP_1) | instskip(NEXT) | instid1(VALU_DEP_1)
	v_dual_add_f32 v21, v21, v24 :: v_dual_and_b32 v28, 0xffff0000, v42
	v_dual_add_f32 v25, v25, v28 :: v_dual_and_b32 v24, 0xffff0000, v117
	v_and_b32_e32 v28, 0xffff0000, v116
	s_delay_alu instid0(VALU_DEP_2) | instskip(NEXT) | instid1(VALU_DEP_2)
	v_add_f32_e32 v16, v16, v25
	v_add_f32_e32 v24, v28, v24
	v_and_b32_e32 v28, 0xffff0000, v151
	s_delay_alu instid0(VALU_DEP_1) | instskip(NEXT) | instid1(VALU_DEP_1)
	v_dual_add_f32 v28, v29, v28 :: v_dual_and_b32 v25, 0xffff0000, v178
	v_dual_add_f32 v24, v24, v28 :: v_dual_and_b32 v29, 0xffff0000, v177
	s_delay_alu instid0(VALU_DEP_1) | instskip(SKIP_1) | instid1(VALU_DEP_2)
	v_add_f32_e32 v29, v31, v29
	v_and_b32_e32 v31, 0xffff0000, v160
	v_add_f32_e32 v21, v21, v29
	v_and_b32_e32 v29, 0xffff0000, v179
	s_delay_alu instid0(VALU_DEP_1) | instskip(NEXT) | instid1(VALU_DEP_1)
	v_dual_add_f32 v25, v25, v29 :: v_dual_and_b32 v28, 0xffff0000, v162
	v_add_f32_e32 v28, v31, v28
	s_delay_alu instid0(VALU_DEP_1) | instskip(SKIP_1) | instid1(VALU_DEP_1)
	v_add_f32_e32 v24, v24, v28
	v_and_b32_e32 v28, 0xffff0000, v163
	v_add_f32_e32 v22, v22, v28
	scratch_load_b32 v28, off, s32 offset:352 ; 4-byte Folded Reload
	s_waitcnt vmcnt(0)
	v_add_f32_e32 v28, v28, v6
	scratch_load_b32 v6, off, s32 offset:356 ; 4-byte Folded Reload
	s_waitcnt vmcnt(0)
	v_dual_add_f32 v6, v6, v7 :: v_dual_add_f32 v7, v20, v18
	v_and_b32_e32 v18, 0xffff0000, v113
	v_and_b32_e32 v20, 0xffff0000, v112
	scratch_store_b32 off, v28, s32 offset:352 ; 4-byte Folded Spill
	v_add_f32_e32 v18, v20, v18
	v_and_b32_e32 v20, 0xffff0000, v50
	s_delay_alu instid0(VALU_DEP_1) | instskip(SKIP_3) | instid1(VALU_DEP_1)
	v_add_f32_e32 v15, v15, v20
	scratch_load_b32 v20, off, s32 offset:464 ; 4-byte Folded Reload
	v_dual_add_f32 v10, v15, v10 :: v_dual_and_b32 v15, 0xffff0000, v23
	v_dual_add_f32 v7, v7, v18 :: v_dual_and_b32 v18, 0xffff0000, v115
	;; [unrolled: 1-line block ×3, first 2 shown]
	s_delay_alu instid0(VALU_DEP_1)
	v_add_f32_e32 v15, v18, v15
	scratch_load_b32 v18, off, s32 offset:360 ; 4-byte Folded Reload
	s_waitcnt vmcnt(1)
	v_and_b32_e32 v20, 0xffff0000, v20
	s_waitcnt vmcnt(0)
	v_add_f32_e32 v18, v18, v16
	scratch_store_b32 off, v6, s32 offset:356 ; 4-byte Folded Spill
	v_add_f32_e32 v6, v21, v25
	scratch_load_b32 v21, off, s32 offset:468 ; 4-byte Folded Reload
	v_add_f32_e32 v16, v24, v22
	scratch_store_b32 off, v18, s32 offset:360 ; 4-byte Folded Spill
	scratch_load_b32 v18, off, s32 offset:364 ; 4-byte Folded Reload
	s_waitcnt vmcnt(0)
	v_dual_add_f32 v18, v18, v6 :: v_dual_and_b32 v21, 0xffff0000, v21
	v_dual_add_f32 v6, v7, v11 :: v_dual_and_b32 v11, 0xffff0000, v98
	v_add_f32_e32 v7, v10, v15
	v_and_b32_e32 v10, 0xffff0000, v99
	v_and_b32_e32 v15, 0xffff0000, v100
	scratch_store_b32 off, v18, s32 offset:364 ; 4-byte Folded Spill
	v_and_b32_e32 v18, 0xffff0000, v19
	scratch_load_b32 v19, off, s32 offset:440 ; 4-byte Folded Reload
	v_dual_add_f32 v10, v11, v10 :: v_dual_and_b32 v11, 0xffff0000, v83
	s_delay_alu instid0(VALU_DEP_1) | instskip(NEXT) | instid1(VALU_DEP_1)
	v_add_f32_e32 v11, v15, v11
	v_dual_add_f32 v10, v10, v11 :: v_dual_and_b32 v15, 0xffff0000, v49
	s_delay_alu instid0(VALU_DEP_1) | instskip(SKIP_2) | instid1(VALU_DEP_1)
	v_add_f32_e32 v15, v15, v18
	v_and_b32_e32 v11, 0xffff0000, v27
	v_and_b32_e32 v18, 0xffff0000, v101
	v_dual_add_f32 v11, v18, v11 :: v_dual_and_b32 v18, 0xffff0000, v84
	s_delay_alu instid0(VALU_DEP_1) | instskip(NEXT) | instid1(VALU_DEP_2)
	v_add_f32_e32 v10, v10, v11
	v_add_f32_e32 v9, v18, v9
	v_and_b32_e32 v11, 0xffff0000, v26
	v_and_b32_e32 v18, 0xffff0000, v184
	s_delay_alu instid0(VALU_DEP_2) | instskip(SKIP_2) | instid1(VALU_DEP_1)
	v_dual_add_f32 v8, v8, v9 :: v_dual_add_f32 v11, v11, v14
	v_and_b32_e32 v9, 0xffff0000, v87
	v_and_b32_e32 v14, 0xffff0000, v86
	v_add_f32_e32 v9, v14, v9
	scratch_load_b32 v14, off, s32 offset:404 ; 4-byte Folded Reload
	v_dual_add_f32 v8, v8, v9 :: v_dual_and_b32 v9, 0xffff0000, v96
	s_waitcnt vmcnt(0)
	v_dual_add_f32 v14, v14, v16 :: v_dual_and_b32 v19, 0xffff0000, v19
	scratch_store_b32 off, v14, s32 offset:404 ; 4-byte Folded Spill
	scratch_load_b32 v14, off, s32 offset:408 ; 4-byte Folded Reload
	s_waitcnt vmcnt(0)
	v_add_f32_e32 v14, v14, v6
	v_add_f32_e32 v6, v7, v15
	;; [unrolled: 1-line block ×3, first 2 shown]
	v_and_b32_e32 v11, 0xffff0000, v185
	v_and_b32_e32 v10, 0xffff0000, v97
	scratch_store_b32 off, v14, s32 offset:408 ; 4-byte Folded Spill
	v_and_b32_e32 v14, 0xffff0000, v187
	v_and_b32_e32 v15, 0xffff0000, v169
	v_add_f32_e32 v9, v9, v10
	v_and_b32_e32 v10, 0xffff0000, v186
	s_delay_alu instid0(VALU_DEP_1) | instskip(NEXT) | instid1(VALU_DEP_3)
	v_dual_add_f32 v10, v11, v10 :: v_dual_and_b32 v11, 0xffff0000, v188
	v_add_f32_e32 v8, v8, v9
	v_and_b32_e32 v16, 0xffff0000, v171
	s_delay_alu instid0(VALU_DEP_3) | instskip(NEXT) | instid1(VALU_DEP_1)
	v_add_f32_e32 v11, v14, v11
	v_dual_add_f32 v10, v10, v11 :: v_dual_and_b32 v11, 0xffff0000, v190
	v_and_b32_e32 v14, 0xffff0000, v170
	s_delay_alu instid0(VALU_DEP_1) | instskip(NEXT) | instid1(VALU_DEP_1)
	v_dual_add_f32 v14, v15, v14 :: v_dual_and_b32 v15, 0xffff0000, v172
	v_dual_add_f32 v15, v16, v15 :: v_dual_and_b32 v16, 0xffff0000, v189
	s_delay_alu instid0(VALU_DEP_1) | instskip(NEXT) | instid1(VALU_DEP_2)
	v_add_f32_e32 v14, v14, v15
	v_add_f32_e32 v11, v16, v11
	v_and_b32_e32 v15, 0xffff0000, v175
	s_delay_alu instid0(VALU_DEP_2) | instskip(SKIP_1) | instid1(VALU_DEP_2)
	v_dual_add_f32 v9, v10, v11 :: v_dual_and_b32 v16, 0xffff0000, v173
	v_and_b32_e32 v10, 0xffff0000, v191
	v_add_f32_e32 v15, v16, v15
	v_and_b32_e32 v11, 0xffff0000, v82
	v_and_b32_e32 v16, 0xffff0000, v155
	s_delay_alu instid0(VALU_DEP_2) | instskip(NEXT) | instid1(VALU_DEP_4)
	v_add_f32_e32 v10, v10, v11
	v_add_f32_e32 v11, v14, v15
	v_and_b32_e32 v15, 0xffff0000, v153
	v_and_b32_e32 v14, 0xffff0000, v154
	s_delay_alu instid0(VALU_DEP_1) | instskip(NEXT) | instid1(VALU_DEP_1)
	v_dual_add_f32 v14, v15, v14 :: v_dual_and_b32 v15, 0xffff0000, v156
	v_dual_add_f32 v15, v16, v15 :: v_dual_and_b32 v16, 0xffff0000, v174
	s_delay_alu instid0(VALU_DEP_1)
	v_add_f32_e32 v16, v16, v18
	scratch_load_b32 v18, off, s32 offset:412 ; 4-byte Folded Reload
	s_waitcnt vmcnt(0)
	v_add_f32_e32 v18, v18, v6
	scratch_load_b32 v6, off, s32 offset:416 ; 4-byte Folded Reload
	s_waitcnt vmcnt(0)
	v_add_f32_e32 v6, v6, v7
	v_dual_add_f32 v7, v14, v15 :: v_dual_and_b32 v14, 0xffff0000, v137
	v_and_b32_e32 v15, 0xffff0000, v139
	scratch_store_b32 off, v6, s32 offset:416 ; 4-byte Folded Spill
	v_add_f32_e32 v6, v9, v10
	v_and_b32_e32 v9, 0xffff0000, v158
	v_and_b32_e32 v10, 0xffff0000, v157
	s_delay_alu instid0(VALU_DEP_1) | instskip(NEXT) | instid1(VALU_DEP_1)
	v_dual_add_f32 v9, v10, v9 :: v_dual_and_b32 v10, 0xffff0000, v138
	v_dual_add_f32 v7, v7, v9 :: v_dual_add_f32 v10, v14, v10
	v_and_b32_e32 v14, 0xffff0000, v140
	s_delay_alu instid0(VALU_DEP_1) | instskip(SKIP_1) | instid1(VALU_DEP_1)
	v_dual_add_f32 v14, v15, v14 :: v_dual_and_b32 v9, 0xffff0000, v159
	v_and_b32_e32 v15, 0xffff0000, v168
	v_add_f32_e32 v9, v9, v15
	s_delay_alu instid0(VALU_DEP_3) | instskip(SKIP_1) | instid1(VALU_DEP_1)
	v_dual_add_f32 v10, v10, v14 :: v_dual_and_b32 v15, 0xffff0000, v141
	v_and_b32_e32 v14, 0xffff0000, v143
	v_add_f32_e32 v14, v15, v14
	scratch_load_b32 v15, off, s32 offset:420 ; 4-byte Folded Reload
	s_waitcnt vmcnt(0)
	v_add_f32_e32 v15, v15, v8
	v_add_f32_e32 v8, v11, v16
	scratch_load_b32 v11, off, s32 offset:368 ; 4-byte Folded Reload
	v_and_b32_e32 v16, 0xffff0000, v107
	scratch_store_b32 off, v15, s32 offset:420 ; 4-byte Folded Spill
	v_and_b32_e32 v15, 0xffff0000, v105
	s_waitcnt vmcnt(0)
	v_add_f32_e32 v11, v11, v6
	scratch_store_b32 off, v18, s32 offset:412 ; 4-byte Folded Spill
	v_dual_add_f32 v6, v7, v9 :: v_dual_add_f32 v7, v10, v14
	v_and_b32_e32 v9, 0xffff0000, v122
	v_and_b32_e32 v10, 0xffff0000, v121
	scratch_store_b32 off, v11, s32 offset:368 ; 4-byte Folded Spill
	v_and_b32_e32 v11, 0xffff0000, v123
	v_and_b32_e32 v14, 0xffff0000, v152
	scratch_load_b32 v18, off, s32 offset:528 ; 4-byte Folded Reload
	v_dual_add_f32 v9, v10, v9 :: v_dual_and_b32 v10, 0xffff0000, v124
	s_delay_alu instid0(VALU_DEP_1) | instskip(SKIP_1) | instid1(VALU_DEP_2)
	v_add_f32_e32 v10, v11, v10
	v_and_b32_e32 v11, 0xffff0000, v142
	v_add_f32_e32 v9, v9, v10
	s_delay_alu instid0(VALU_DEP_2) | instskip(SKIP_2) | instid1(VALU_DEP_1)
	v_add_f32_e32 v11, v11, v14
	v_and_b32_e32 v10, 0xffff0000, v126
	v_and_b32_e32 v14, 0xffff0000, v125
	v_add_f32_e32 v10, v14, v10
	v_and_b32_e32 v14, 0xffff0000, v106
	s_delay_alu instid0(VALU_DEP_2) | instskip(NEXT) | instid1(VALU_DEP_2)
	v_add_f32_e32 v9, v9, v10
	v_dual_add_f32 v14, v15, v14 :: v_dual_and_b32 v15, 0xffff0000, v108
	v_and_b32_e32 v10, 0xffff0000, v127
	s_delay_alu instid0(VALU_DEP_2) | instskip(NEXT) | instid1(VALU_DEP_1)
	v_dual_add_f32 v15, v16, v15 :: v_dual_and_b32 v16, 0xffff0000, v136
	v_add_f32_e32 v14, v14, v15
	s_delay_alu instid0(VALU_DEP_2) | instskip(SKIP_1) | instid1(VALU_DEP_1)
	v_dual_add_f32 v10, v10, v16 :: v_dual_and_b32 v15, 0xffff0000, v110
	v_and_b32_e32 v16, 0xffff0000, v109
	v_add_f32_e32 v15, v16, v15
	scratch_load_b32 v16, off, s32 offset:372 ; 4-byte Folded Reload
	s_waitcnt vmcnt(1)
	v_and_b32_e32 v18, 0xffff0000, v18
	s_waitcnt vmcnt(0)
	v_add_f32_e32 v16, v16, v8
	scratch_load_b32 v8, off, s32 offset:376 ; 4-byte Folded Reload
	scratch_store_b32 off, v16, s32 offset:372 ; 4-byte Folded Spill
	scratch_load_b32 v16, off, s32 offset:480 ; 4-byte Folded Reload
	s_waitcnt vmcnt(1)
	v_add_f32_e32 v8, v8, v6
	v_dual_add_f32 v6, v7, v11 :: v_dual_add_f32 v7, v9, v10
	v_and_b32_e32 v9, 0xffff0000, v111
	v_and_b32_e32 v10, 0xffff0000, v120
	;; [unrolled: 1-line block ×3, first 2 shown]
	scratch_store_b32 off, v8, s32 offset:376 ; 4-byte Folded Spill
	v_dual_add_f32 v8, v14, v15 :: v_dual_and_b32 v15, 0xffff0000, v72
	v_add_f32_e32 v9, v9, v10
	v_and_b32_e32 v10, 0xffff0000, v90
	v_and_b32_e32 v14, 0xffff0000, v91
	s_waitcnt vmcnt(0)
	v_and_b32_e32 v16, 0xffff0000, v16
	v_add_f32_e32 v8, v8, v9
	v_dual_add_f32 v10, v11, v10 :: v_dual_and_b32 v11, 0xffff0000, v92
	s_delay_alu instid0(VALU_DEP_1) | instskip(SKIP_1) | instid1(VALU_DEP_2)
	v_add_f32_e32 v11, v14, v11
	v_and_b32_e32 v14, 0xffff0000, v35
	v_add_f32_e32 v10, v10, v11
	s_delay_alu instid0(VALU_DEP_2) | instskip(SKIP_2) | instid1(VALU_DEP_3)
	v_add_f32_e32 v5, v14, v5
	v_and_b32_e32 v11, 0xffff0000, v94
	v_and_b32_e32 v14, 0xffff0000, v93
	v_dual_add_f32 v4, v4, v5 :: v_dual_and_b32 v5, 0xffff0000, v78
	s_delay_alu instid0(VALU_DEP_2) | instskip(NEXT) | instid1(VALU_DEP_1)
	v_dual_add_f32 v11, v14, v11 :: v_dual_and_b32 v14, 0xffff0000, v38
	v_add_f32_e32 v9, v10, v11
	s_delay_alu instid0(VALU_DEP_2) | instskip(SKIP_2) | instid1(VALU_DEP_3)
	v_dual_add_f32 v5, v14, v5 :: v_dual_and_b32 v10, 0xffff0000, v95
	v_and_b32_e32 v11, 0xffff0000, v104
	v_and_b32_e32 v14, 0xffff0000, v62
	v_dual_add_f32 v4, v4, v5 :: v_dual_and_b32 v5, 0xffff0000, v79
	s_delay_alu instid0(VALU_DEP_3) | instskip(NEXT) | instid1(VALU_DEP_1)
	v_dual_add_f32 v10, v10, v11 :: v_dual_and_b32 v11, 0xffff0000, v88
	v_add_f32_e32 v5, v5, v11
	s_delay_alu instid0(VALU_DEP_1) | instskip(NEXT) | instid1(VALU_DEP_1)
	v_dual_add_f32 v4, v4, v5 :: v_dual_and_b32 v11, 0xffff0000, v63
	v_dual_add_f32 v11, v14, v11 :: v_dual_and_b32 v14, 0xffff0000, v73
	s_delay_alu instid0(VALU_DEP_1)
	v_add_f32_e32 v14, v15, v14
	scratch_load_b32 v15, off, s32 offset:380 ; 4-byte Folded Reload
	v_add_f32_e32 v5, v11, v14
	scratch_load_b32 v14, off, s32 offset:520 ; 4-byte Folded Reload
	v_and_b32_e32 v11, 0xffff0000, v56
	s_waitcnt vmcnt(1)
	v_add_f32_e32 v15, v15, v6
	scratch_load_b32 v6, off, s32 offset:384 ; 4-byte Folded Reload
	scratch_store_b32 off, v15, s32 offset:380 ; 4-byte Folded Spill
	scratch_load_b32 v15, off, s32 offset:472 ; 4-byte Folded Reload
	s_waitcnt vmcnt(2)
	v_and_b32_e32 v14, 0xffff0000, v14
	s_waitcnt vmcnt(1)
	v_add_f32_e32 v6, v6, v7
	v_and_b32_e32 v7, 0xffff0000, v75
	scratch_store_b32 off, v6, s32 offset:384 ; 4-byte Folded Spill
	v_add_f32_e32 v6, v9, v10
	v_and_b32_e32 v9, 0xffff0000, v74
	v_and_b32_e32 v10, 0xffff0000, v46
	s_waitcnt vmcnt(0)
	v_and_b32_e32 v15, 0xffff0000, v15
	s_delay_alu instid0(VALU_DEP_3) | instskip(SKIP_1) | instid1(VALU_DEP_2)
	v_add_f32_e32 v7, v9, v7
	v_and_b32_e32 v9, 0xffff0000, v47
	v_add_f32_e32 v5, v5, v7
	s_delay_alu instid0(VALU_DEP_2) | instskip(SKIP_1) | instid1(VALU_DEP_1)
	v_add_f32_e32 v9, v10, v9
	v_and_b32_e32 v10, 0xffff0000, v57
	v_dual_add_f32 v10, v11, v10 :: v_dual_and_b32 v7, 0xffff0000, v76
	v_and_b32_e32 v11, 0xffff0000, v77
	s_delay_alu instid0(VALU_DEP_2) | instskip(NEXT) | instid1(VALU_DEP_2)
	v_add_f32_e32 v9, v9, v10
	v_add_f32_e32 v7, v7, v11
	v_and_b32_e32 v10, 0xffff0000, v59
	v_and_b32_e32 v11, 0xffff0000, v58
	s_delay_alu instid0(VALU_DEP_1)
	v_add_f32_e32 v10, v11, v10
	scratch_load_b32 v11, off, s32 offset:388 ; 4-byte Folded Reload
	s_waitcnt vmcnt(0)
	v_add_f32_e32 v11, v11, v8
	scratch_load_b32 v8, off, s32 offset:392 ; 4-byte Folded Reload
	scratch_store_b32 off, v11, s32 offset:388 ; 4-byte Folded Spill
	scratch_load_b32 v11, off, s32 offset:424 ; 4-byte Folded Reload
	s_waitcnt vmcnt(1)
	v_add_f32_e32 v8, v8, v6
	scratch_load_b32 v6, off, s32 offset:396 ; 4-byte Folded Reload
	scratch_store_b32 off, v8, s32 offset:392 ; 4-byte Folded Spill
	scratch_load_b32 v8, off, s32 offset:540 ; 4-byte Folded Reload
	s_waitcnt vmcnt(1)
	v_add_f32_e32 v6, v6, v4
	v_add_f32_e32 v4, v5, v7
	v_add_f32_e32 v5, v9, v10
	scratch_load_b32 v9, off, s32 offset:536 ; 4-byte Folded Reload
	v_and_b32_e32 v7, 0xffff0000, v61
	s_waitcnt vmcnt(1)
	v_and_b32_e32 v8, 0xffff0000, v8
	v_add_f32_e32 v11, v11, v4
	scratch_store_b32 off, v6, s32 offset:396 ; 4-byte Folded Spill
	v_and_b32_e32 v6, 0xffff0000, v60
	scratch_store_b32 off, v11, s32 offset:424 ; 4-byte Folded Spill
	v_add_f32_e32 v6, v6, v7
	scratch_load_b32 v7, off, s32 offset:548 ; 4-byte Folded Reload
	v_add_f32_e32 v4, v5, v6
	s_clause 0x1
	scratch_load_b32 v5, off, s32 offset:556
	scratch_load_b32 v10, off, s32 offset:544
	s_waitcnt vmcnt(3)
	v_and_b32_e32 v9, 0xffff0000, v9
	s_delay_alu instid0(VALU_DEP_1)
	v_add_f32_e32 v6, v9, v8
	s_clause 0x1
	scratch_load_b32 v8, off, s32 offset:552
	scratch_load_b32 v9, off, s32 offset:428
	s_waitcnt vmcnt(4)
	v_and_b32_e32 v7, 0xffff0000, v7
	s_waitcnt vmcnt(3)
	v_and_b32_e32 v5, 0xffff0000, v5
	;; [unrolled: 2-line block ×3, first 2 shown]
	s_delay_alu instid0(VALU_DEP_1) | instskip(NEXT) | instid1(VALU_DEP_1)
	v_add_f32_e32 v7, v10, v7
	v_add_f32_e32 v6, v6, v7
	scratch_load_b32 v7, off, s32 offset:516 ; 4-byte Folded Reload
	s_waitcnt vmcnt(2)
	v_and_b32_e32 v8, 0xffff0000, v8
	s_delay_alu instid0(VALU_DEP_1)
	v_add_f32_e32 v5, v8, v5
	scratch_load_b32 v8, off, s32 offset:508 ; 4-byte Folded Reload
	v_add_f32_e32 v5, v6, v5
	s_clause 0x2
	scratch_load_b32 v6, off, s32 offset:524
	scratch_load_b32 v11, off, s32 offset:512
	;; [unrolled: 1-line block ×3, first 2 shown]
	s_waitcnt vmcnt(4)
	v_and_b32_e32 v7, 0xffff0000, v7
	s_waitcnt vmcnt(3)
	v_and_b32_e32 v8, 0xffff0000, v8
	;; [unrolled: 2-line block ×5, first 2 shown]
	s_delay_alu instid0(VALU_DEP_2) | instskip(NEXT) | instid1(VALU_DEP_2)
	v_dual_add_f32 v6, v14, v6 :: v_dual_add_f32 v7, v11, v7
	v_add_f32_e32 v8, v10, v8
	s_clause 0x1
	scratch_load_b32 v14, off, s32 offset:532
	scratch_load_b32 v10, off, s32 offset:484
	v_add_f32_e32 v7, v8, v7
	s_clause 0x1
	scratch_load_b32 v8, off, s32 offset:492
	scratch_load_b32 v11, off, s32 offset:476
	v_add_f32_e32 v6, v7, v6
	s_waitcnt vmcnt(3)
	v_and_b32_e32 v14, 0xffff0000, v14
	s_waitcnt vmcnt(2)
	v_and_b32_e32 v10, 0xffff0000, v10
	s_delay_alu instid0(VALU_DEP_2)
	v_add_f32_e32 v7, v18, v14
	scratch_load_b32 v14, off, s32 offset:456 ; 4-byte Folded Reload
	s_waitcnt vmcnt(1)
	v_dual_add_f32 v10, v16, v10 :: v_dual_and_b32 v11, 0xffff0000, v11
	v_and_b32_e32 v8, 0xffff0000, v8
	s_clause 0x1
	scratch_load_b32 v16, off, s32 offset:448
	scratch_load_b32 v18, off, s32 offset:444
	v_add_f32_e32 v11, v15, v11
	scratch_load_b32 v15, off, s32 offset:488 ; 4-byte Folded Reload
	v_add_f32_e32 v9, v9, v4
	scratch_load_b32 v4, off, s32 offset:560 ; 4-byte Folded Reload
	scratch_store_b32 off, v9, s32 offset:428 ; 4-byte Folded Spill
	scratch_load_b32 v9, off, s32 offset:564 ; 4-byte Folded Reload
	s_waitcnt vmcnt(4)
	v_and_b32_e32 v16, 0xffff0000, v16
	s_waitcnt vmcnt(3)
	v_and_b32_e32 v18, 0xffff0000, v18
	s_waitcnt vmcnt(2)
	s_delay_alu instid0(VALU_DEP_1) | instskip(NEXT) | instid1(VALU_DEP_1)
	v_dual_add_f32 v18, v19, v18 :: v_dual_and_b32 v15, 0xffff0000, v15
	v_add_f32_e32 v8, v15, v8
	scratch_load_b32 v15, off, s32 offset:452 ; 4-byte Folded Reload
	s_waitcnt vmcnt(1)
	v_and_b32_e32 v9, 0xffff0000, v9
	v_and_b32_e32 v14, 0xffff0000, v14
	s_waitcnt vmcnt(0)
	v_and_b32_e32 v15, 0xffff0000, v15
	s_delay_alu instid0(VALU_DEP_1) | instskip(NEXT) | instid1(VALU_DEP_1)
	v_dual_add_f32 v15, v16, v15 :: v_dual_and_b32 v4, 0xffff0000, v4
	v_dual_add_f32 v3, v18, v15 :: v_dual_and_b32 v16, 0xffff0000, v102
	s_delay_alu instid0(VALU_DEP_2)
	v_dual_add_f32 v4, v4, v9 :: v_dual_add_f32 v9, v11, v10
	s_clause 0x1
	scratch_load_b32 v10, off, s32 offset:496
	scratch_load_b32 v11, off, s32 offset:500
	v_dual_add_f32 v1, v2, v16 :: v_dual_and_b32 v2, 0xffff0000, v119
	v_add_f32_e32 v8, v9, v8
	scratch_load_b32 v9, off, s32 offset:460 ; 4-byte Folded Reload
	v_add_f32_e32 v0, v0, v1
	v_dual_add_f32 v1, v12, v2 :: v_dual_add_f32 v2, v5, v4
	v_add_f32_e32 v4, v6, v7
	s_delay_alu instid0(VALU_DEP_2) | instskip(NEXT) | instid1(VALU_DEP_2)
	v_add_f32_e32 v0, v0, v1
	v_dual_add_f32 v70, v70, v2 :: v_dual_add_f32 v71, v71, v4
	s_waitcnt vmcnt(2)
	s_delay_alu instid0(VALU_DEP_2) | instskip(SKIP_3) | instid1(VALU_DEP_1)
	v_dual_add_f32 v69, v69, v0 :: v_dual_and_b32 v10, 0xffff0000, v10
	s_waitcnt vmcnt(1)
	v_and_b32_e32 v11, 0xffff0000, v11
	s_waitcnt vmcnt(0)
	v_dual_add_f32 v10, v10, v11 :: v_dual_and_b32 v9, 0xffff0000, v9
	s_delay_alu instid0(VALU_DEP_1) | instskip(NEXT) | instid1(VALU_DEP_2)
	v_add_f32_e32 v9, v14, v9
	v_add_f32_e32 v5, v8, v10
	s_delay_alu instid0(VALU_DEP_2) | instskip(SKIP_1) | instid1(VALU_DEP_3)
	v_add_f32_e32 v3, v3, v9
	v_add_f32_e32 v9, v20, v21
	;; [unrolled: 1-line block ×3, first 2 shown]
	s_delay_alu instid0(VALU_DEP_2) | instskip(NEXT) | instid1(VALU_DEP_1)
	v_add_f32_e32 v3, v3, v9
	v_add_f32_e32 v81, v81, v3
.LBB448_2341:                           ;   in Loop: Header=BB448_2342 Depth=1
	s_or_b32 exec_lo, exec_lo, s12
	scratch_load_b32 v0, off, s32 offset:340 ; 4-byte Folded Reload
	v_add_nc_u32_e32 v17, 4, v17
	s_waitcnt vmcnt(0)
	s_delay_alu instid0(VALU_DEP_1) | instskip(SKIP_1) | instid1(SALU_CYCLE_1)
	v_cmp_ge_i32_e32 vcc_lo, v17, v0
	s_or_b32 s10, vcc_lo, s10
	s_and_not1_b32 exec_lo, exec_lo, s10
	s_cbranch_execz .LBB448_5495
.LBB448_2342:                           ; =>This Inner Loop Header: Depth=1
	s_clause 0x1
	scratch_load_b32 v2, off, s32 offset:344
	scratch_load_b32 v5, off, s32 offset:336
	v_lshlrev_b32_e32 v0, 5, v17
	s_delay_alu instid0(VALU_DEP_1) | instskip(NEXT) | instid1(VALU_DEP_1)
	v_sub_nc_u32_e32 v1, 0, v0
	v_max_i32_e32 v1, v0, v1
	s_waitcnt vmcnt(1)
	s_delay_alu instid0(VALU_DEP_1) | instskip(NEXT) | instid1(VALU_DEP_1)
	v_mul_hi_u32 v2, v1, v2
	v_mul_lo_u32 v3, v2, v39
	s_delay_alu instid0(VALU_DEP_1) | instskip(SKIP_1) | instid1(VALU_DEP_2)
	v_sub_nc_u32_e32 v1, v1, v3
	v_add_nc_u32_e32 v3, 1, v2
	v_sub_nc_u32_e32 v4, v1, v39
	v_cmp_ge_u32_e32 vcc_lo, v1, v39
	s_delay_alu instid0(VALU_DEP_2) | instskip(SKIP_1) | instid1(VALU_DEP_2)
	v_dual_cndmask_b32 v1, v1, v4 :: v_dual_cndmask_b32 v2, v2, v3
	v_bfe_i32 v3, v17, 26, 1
	v_cmp_ge_u32_e32 vcc_lo, v1, v39
	s_delay_alu instid0(VALU_DEP_3) | instskip(SKIP_1) | instid1(VALU_DEP_3)
	v_add_nc_u32_e32 v4, 1, v2
	s_waitcnt vmcnt(0)
	v_xor_b32_e32 v3, v3, v5
	s_delay_alu instid0(VALU_DEP_2) | instskip(SKIP_2) | instid1(VALU_DEP_1)
	v_cndmask_b32_e32 v1, v2, v4, vcc_lo
	scratch_load_b32 v4, off, s32 offset:436 ; 4-byte Folded Reload
	v_xor_b32_e32 v1, v1, v3
	v_sub_nc_u32_e32 v1, v1, v3
	scratch_load_b64 v[2:3], off, s32 offset:328 ; 8-byte Folded Reload
	s_waitcnt vmcnt(0)
	v_add_nc_u32_e32 v2, v1, v2
	s_delay_alu instid0(VALU_DEP_1) | instskip(NEXT) | instid1(VALU_DEP_1)
	v_sub_nc_u32_e32 v3, 0, v2
	v_max_i32_e32 v3, v2, v3
	s_delay_alu instid0(VALU_DEP_1) | instskip(NEXT) | instid1(VALU_DEP_1)
	v_mul_hi_u32 v4, v3, v4
	v_mul_lo_u32 v4, v4, v30
	s_delay_alu instid0(VALU_DEP_1) | instskip(NEXT) | instid1(VALU_DEP_1)
	v_sub_nc_u32_e32 v3, v3, v4
	v_sub_nc_u32_e32 v4, v3, v30
	v_cmp_ge_u32_e32 vcc_lo, v3, v30
	s_delay_alu instid0(VALU_DEP_2) | instskip(NEXT) | instid1(VALU_DEP_1)
	v_cndmask_b32_e32 v3, v3, v4, vcc_lo
	v_sub_nc_u32_e32 v4, v3, v30
	v_cmp_ge_u32_e32 vcc_lo, v3, v30
	s_delay_alu instid0(VALU_DEP_2) | instskip(SKIP_1) | instid1(VALU_DEP_1)
	v_cndmask_b32_e32 v3, v3, v4, vcc_lo
	v_ashrrev_i32_e32 v2, 31, v2
	v_xor_b32_e32 v3, v3, v2
	s_delay_alu instid0(VALU_DEP_1) | instskip(NEXT) | instid1(VALU_DEP_1)
	v_sub_nc_u32_e32 v2, v3, v2
	v_cmp_eq_u32_e32 vcc_lo, 0, v2
	scratch_load_b32 v2, off, s32 offset:348 ; 4-byte Folded Reload
	s_waitcnt vmcnt(0)
	v_cmp_gt_i32_e64 s0, v1, v2
	s_delay_alu instid0(VALU_DEP_1) | instskip(NEXT) | instid1(SALU_CYCLE_1)
	s_or_b32 s0, vcc_lo, s0
	s_and_saveexec_b32 s12, s0
	s_cbranch_execz .LBB448_2341
; %bb.2343:                             ;   in Loop: Header=BB448_2342 Depth=1
	scratch_load_b32 v3, off, s32 offset:584 ; 4-byte Folded Reload
	v_ashrrev_i32_e32 v18, 31, v17
	s_mov_b32 s0, exec_lo
	s_delay_alu instid0(VALU_DEP_1) | instskip(SKIP_1) | instid1(VALU_DEP_1)
	v_lshlrev_b64 v[1:2], 2, v[17:18]
                                        ; implicit-def: $vgpr18
	s_waitcnt vmcnt(0)
	v_add_co_u32 v1, vcc_lo, v3, v1
	scratch_load_b32 v3, off, s32 offset:588 ; 4-byte Folded Reload
	s_waitcnt vmcnt(0)
	v_add_co_ci_u32_e32 v2, vcc_lo, v3, v2, vcc_lo
	flat_load_b32 v12, v[1:2]
	scratch_load_b32 v1, off, s32 offset:608 ; 4-byte Folded Reload
	s_waitcnt vmcnt(0)
	v_or_b32_e32 v102, v0, v1
	s_delay_alu instid0(VALU_DEP_1) | instskip(SKIP_4) | instid1(VALU_DEP_1)
	v_lshl_add_u32 v0, v102, 2, s11
	ds_load_2addr_b64 v[6:9], v0 offset1:1
	ds_load_2addr_b64 v[0:3], v0 offset0:2 offset1:3
	s_waitcnt lgkmcnt(1)
	v_and_b32_e32 v4, 0x7f800000, v6
	v_cmpx_ne_u32_e32 0x7f800000, v4
	s_xor_b32 s0, exec_lo, s0
; %bb.2344:                             ;   in Loop: Header=BB448_2342 Depth=1
	v_bfe_u32 v4, v6, 16, 1
	s_delay_alu instid0(VALU_DEP_1)
	v_add3_u32 v18, v6, v4, 0x7fff
; %bb.2345:                             ;   in Loop: Header=BB448_2342 Depth=1
	s_and_not1_saveexec_b32 s0, s0
; %bb.2346:                             ;   in Loop: Header=BB448_2342 Depth=1
	v_and_b32_e32 v4, 0xffff, v6
	v_or_b32_e32 v5, 0x10000, v6
	s_delay_alu instid0(VALU_DEP_2) | instskip(NEXT) | instid1(VALU_DEP_2)
	v_cmp_eq_u32_e32 vcc_lo, 0, v4
	v_cndmask_b32_e32 v18, v5, v6, vcc_lo
; %bb.2347:                             ;   in Loop: Header=BB448_2342 Depth=1
	s_or_b32 exec_lo, exec_lo, s0
	v_and_b32_e32 v4, 0x7f800000, v7
	s_mov_b32 s0, exec_lo
                                        ; implicit-def: $vgpr16
	s_delay_alu instid0(VALU_DEP_1)
	v_cmpx_ne_u32_e32 0x7f800000, v4
	s_xor_b32 s0, exec_lo, s0
; %bb.2348:                             ;   in Loop: Header=BB448_2342 Depth=1
	v_bfe_u32 v4, v7, 16, 1
	s_delay_alu instid0(VALU_DEP_1)
	v_add3_u32 v16, v7, v4, 0x7fff
; %bb.2349:                             ;   in Loop: Header=BB448_2342 Depth=1
	s_and_not1_saveexec_b32 s0, s0
; %bb.2350:                             ;   in Loop: Header=BB448_2342 Depth=1
	v_and_b32_e32 v4, 0xffff, v7
	v_or_b32_e32 v5, 0x10000, v7
	s_delay_alu instid0(VALU_DEP_2) | instskip(NEXT) | instid1(VALU_DEP_2)
	v_cmp_eq_u32_e32 vcc_lo, 0, v4
	v_cndmask_b32_e32 v16, v5, v7, vcc_lo
; %bb.2351:                             ;   in Loop: Header=BB448_2342 Depth=1
	s_or_b32 exec_lo, exec_lo, s0
	v_and_b32_e32 v4, 0x7f800000, v8
	s_mov_b32 s0, exec_lo
                                        ; implicit-def: $vgpr15
	s_delay_alu instid0(VALU_DEP_1)
	v_cmpx_ne_u32_e32 0x7f800000, v4
	s_xor_b32 s0, exec_lo, s0
; %bb.2352:                             ;   in Loop: Header=BB448_2342 Depth=1
	v_bfe_u32 v4, v8, 16, 1
	s_delay_alu instid0(VALU_DEP_1)
	v_add3_u32 v15, v8, v4, 0x7fff
; %bb.2353:                             ;   in Loop: Header=BB448_2342 Depth=1
	s_and_not1_saveexec_b32 s0, s0
; %bb.2354:                             ;   in Loop: Header=BB448_2342 Depth=1
	v_and_b32_e32 v4, 0xffff, v8
	v_or_b32_e32 v5, 0x10000, v8
	s_delay_alu instid0(VALU_DEP_2) | instskip(NEXT) | instid1(VALU_DEP_2)
	v_cmp_eq_u32_e32 vcc_lo, 0, v4
	v_cndmask_b32_e32 v15, v5, v8, vcc_lo
; %bb.2355:                             ;   in Loop: Header=BB448_2342 Depth=1
	s_or_b32 exec_lo, exec_lo, s0
	v_and_b32_e32 v4, 0x7f800000, v9
	s_mov_b32 s0, exec_lo
                                        ; implicit-def: $vgpr14
	s_delay_alu instid0(VALU_DEP_1)
	v_cmpx_ne_u32_e32 0x7f800000, v4
	s_xor_b32 s0, exec_lo, s0
; %bb.2356:                             ;   in Loop: Header=BB448_2342 Depth=1
	v_bfe_u32 v4, v9, 16, 1
	s_delay_alu instid0(VALU_DEP_1)
	v_add3_u32 v14, v9, v4, 0x7fff
                                        ; implicit-def: $vgpr6_vgpr7_vgpr8_vgpr9
; %bb.2357:                             ;   in Loop: Header=BB448_2342 Depth=1
	s_and_not1_saveexec_b32 s0, s0
; %bb.2358:                             ;   in Loop: Header=BB448_2342 Depth=1
	v_and_b32_e32 v4, 0xffff, v9
	v_or_b32_e32 v5, 0x10000, v9
	s_delay_alu instid0(VALU_DEP_2) | instskip(NEXT) | instid1(VALU_DEP_2)
	v_cmp_eq_u32_e32 vcc_lo, 0, v4
	v_cndmask_b32_e32 v14, v5, v9, vcc_lo
; %bb.2359:                             ;   in Loop: Header=BB448_2342 Depth=1
	s_or_b32 exec_lo, exec_lo, s0
	s_waitcnt lgkmcnt(0)
	v_and_b32_e32 v4, 0x7f800000, v0
	s_mov_b32 s0, exec_lo
                                        ; implicit-def: $vgpr11
	s_delay_alu instid0(VALU_DEP_1)
	v_cmpx_ne_u32_e32 0x7f800000, v4
	s_xor_b32 s0, exec_lo, s0
; %bb.2360:                             ;   in Loop: Header=BB448_2342 Depth=1
	v_bfe_u32 v4, v0, 16, 1
	s_delay_alu instid0(VALU_DEP_1)
	v_add3_u32 v11, v0, v4, 0x7fff
; %bb.2361:                             ;   in Loop: Header=BB448_2342 Depth=1
	s_and_not1_saveexec_b32 s0, s0
; %bb.2362:                             ;   in Loop: Header=BB448_2342 Depth=1
	v_and_b32_e32 v4, 0xffff, v0
	v_or_b32_e32 v5, 0x10000, v0
	s_delay_alu instid0(VALU_DEP_2) | instskip(NEXT) | instid1(VALU_DEP_2)
	v_cmp_eq_u32_e32 vcc_lo, 0, v4
	v_cndmask_b32_e32 v11, v5, v0, vcc_lo
; %bb.2363:                             ;   in Loop: Header=BB448_2342 Depth=1
	s_or_b32 exec_lo, exec_lo, s0
	v_and_b32_e32 v0, 0x7f800000, v1
	s_mov_b32 s0, exec_lo
                                        ; implicit-def: $vgpr10
	s_delay_alu instid0(VALU_DEP_1)
	v_cmpx_ne_u32_e32 0x7f800000, v0
	s_xor_b32 s0, exec_lo, s0
; %bb.2364:                             ;   in Loop: Header=BB448_2342 Depth=1
	v_bfe_u32 v0, v1, 16, 1
	s_delay_alu instid0(VALU_DEP_1)
	v_add3_u32 v10, v1, v0, 0x7fff
; %bb.2365:                             ;   in Loop: Header=BB448_2342 Depth=1
	s_and_not1_saveexec_b32 s0, s0
; %bb.2366:                             ;   in Loop: Header=BB448_2342 Depth=1
	v_and_b32_e32 v0, 0xffff, v1
	v_or_b32_e32 v4, 0x10000, v1
	s_delay_alu instid0(VALU_DEP_2) | instskip(NEXT) | instid1(VALU_DEP_2)
	v_cmp_eq_u32_e32 vcc_lo, 0, v0
	v_cndmask_b32_e32 v10, v4, v1, vcc_lo
; %bb.2367:                             ;   in Loop: Header=BB448_2342 Depth=1
	s_or_b32 exec_lo, exec_lo, s0
	v_and_b32_e32 v0, 0x7f800000, v2
	s_mov_b32 s0, exec_lo
                                        ; implicit-def: $vgpr5
	s_delay_alu instid0(VALU_DEP_1)
	v_cmpx_ne_u32_e32 0x7f800000, v0
	s_xor_b32 s0, exec_lo, s0
; %bb.2368:                             ;   in Loop: Header=BB448_2342 Depth=1
	v_bfe_u32 v0, v2, 16, 1
	s_delay_alu instid0(VALU_DEP_1)
	v_add3_u32 v5, v2, v0, 0x7fff
; %bb.2369:                             ;   in Loop: Header=BB448_2342 Depth=1
	s_and_not1_saveexec_b32 s0, s0
; %bb.2370:                             ;   in Loop: Header=BB448_2342 Depth=1
	v_and_b32_e32 v0, 0xffff, v2
	v_or_b32_e32 v1, 0x10000, v2
	s_delay_alu instid0(VALU_DEP_2) | instskip(NEXT) | instid1(VALU_DEP_2)
	v_cmp_eq_u32_e32 vcc_lo, 0, v0
	v_cndmask_b32_e32 v5, v1, v2, vcc_lo
; %bb.2371:                             ;   in Loop: Header=BB448_2342 Depth=1
	s_or_b32 exec_lo, exec_lo, s0
	v_and_b32_e32 v0, 0x7f800000, v3
	s_mov_b32 s0, exec_lo
                                        ; implicit-def: $vgpr4
	s_delay_alu instid0(VALU_DEP_1)
	v_cmpx_ne_u32_e32 0x7f800000, v0
	s_xor_b32 s0, exec_lo, s0
; %bb.2372:                             ;   in Loop: Header=BB448_2342 Depth=1
	v_bfe_u32 v0, v3, 16, 1
	s_delay_alu instid0(VALU_DEP_1)
	v_add3_u32 v4, v3, v0, 0x7fff
                                        ; implicit-def: $vgpr0_vgpr1_vgpr2_vgpr3
; %bb.2373:                             ;   in Loop: Header=BB448_2342 Depth=1
	s_and_not1_saveexec_b32 s0, s0
; %bb.2374:                             ;   in Loop: Header=BB448_2342 Depth=1
	v_and_b32_e32 v0, 0xffff, v3
	v_or_b32_e32 v1, 0x10000, v3
	s_delay_alu instid0(VALU_DEP_2) | instskip(NEXT) | instid1(VALU_DEP_2)
	v_cmp_eq_u32_e32 vcc_lo, 0, v0
	v_cndmask_b32_e32 v4, v1, v3, vcc_lo
; %bb.2375:                             ;   in Loop: Header=BB448_2342 Depth=1
	s_or_b32 exec_lo, exec_lo, s0
	s_clause 0x1
	scratch_load_b32 v2, off, s32 offset:400
	scratch_load_b64 v[6:7], off, s32 offset:592
	s_mov_b32 s0, exec_lo
	s_waitcnt vmcnt(0)
	v_mad_i64_i32 v[0:1], null, v12, v2, v[6:7]
	scratch_load_b32 v2, off, s32 offset:604 ; 4-byte Folded Reload
	s_waitcnt vmcnt(0)
	v_add_co_u32 v2, vcc_lo, v0, v2
	v_add_co_ci_u32_e32 v3, vcc_lo, 0, v1, vcc_lo
	flat_load_b64 v[6:7], v[2:3]
	scratch_load_b64 v[8:9], off, s32 offset:576 ; 8-byte Folded Reload
	s_waitcnt vmcnt(0)
	flat_load_b32 v118, v[8:9]
	s_waitcnt lgkmcnt(1)
	v_dual_mov_b32 v8, 0 :: v_dual_and_b32 v9, 0xff, v6
	s_delay_alu instid0(VALU_DEP_1)
	v_cmpx_ne_u16_e32 0, v9
	s_cbranch_execz .LBB448_2383
; %bb.2376:                             ;   in Loop: Header=BB448_2342 Depth=1
	v_bfrev_b32_e32 v8, 1
	s_mov_b32 s13, exec_lo
	v_cmpx_ne_u16_e32 0x80, v9
	s_cbranch_execz .LBB448_2382
; %bb.2377:                             ;   in Loop: Header=BB448_2342 Depth=1
	v_and_b32_e32 v9, 0x7f, v6
	v_mov_b32_e32 v8, 0x7f800001
	s_mov_b32 s15, exec_lo
	s_delay_alu instid0(VALU_DEP_2)
	v_cmpx_ne_u32_e32 0x7f, v9
	s_cbranch_execz .LBB448_2381
; %bb.2378:                             ;   in Loop: Header=BB448_2342 Depth=1
	v_lshrrev_b32_e32 v12, 3, v9
	v_cmp_gt_u32_e32 vcc_lo, 8, v9
	v_dual_mov_b32 v9, v7 :: v_dual_mov_b32 v8, v6
	s_and_saveexec_b32 s16, vcc_lo
; %bb.2379:                             ;   in Loop: Header=BB448_2342 Depth=1
	v_and_b32_e32 v8, 7, v6
	s_delay_alu instid0(VALU_DEP_1) | instskip(NEXT) | instid1(VALU_DEP_1)
	v_clz_i32_u32_e32 v8, v8
	v_min_u32_e32 v12, 32, v8
	s_delay_alu instid0(VALU_DEP_1) | instskip(SKIP_1) | instid1(VALU_DEP_2)
	v_subrev_nc_u32_e32 v8, 28, v12
	v_sub_nc_u32_e32 v12, 29, v12
	v_lshlrev_b64 v[8:9], v8, v[6:7]
; %bb.2380:                             ;   in Loop: Header=BB448_2342 Depth=1
	s_or_b32 exec_lo, exec_lo, s16
	s_delay_alu instid0(VALU_DEP_1) | instskip(SKIP_2) | instid1(VALU_DEP_3)
	v_lshlrev_b32_e32 v8, 20, v8
	v_lshlrev_b32_e32 v9, 24, v6
	v_lshl_add_u32 v12, v12, 23, 0x3c000000
	v_and_b32_e32 v8, 0x700000, v8
	s_delay_alu instid0(VALU_DEP_3) | instskip(NEXT) | instid1(VALU_DEP_1)
	v_and_b32_e32 v9, 0x80000000, v9
	v_or3_b32 v8, v8, v9, v12
.LBB448_2381:                           ;   in Loop: Header=BB448_2342 Depth=1
	s_or_b32 exec_lo, exec_lo, s15
.LBB448_2382:                           ;   in Loop: Header=BB448_2342 Depth=1
	s_delay_alu instid0(SALU_CYCLE_1)
	s_or_b32 exec_lo, exec_lo, s13
.LBB448_2383:                           ;   in Loop: Header=BB448_2342 Depth=1
	s_delay_alu instid0(SALU_CYCLE_1) | instskip(SKIP_3) | instid1(VALU_DEP_1)
	s_or_b32 exec_lo, exec_lo, s0
	s_waitcnt vmcnt(0) lgkmcnt(0)
	v_mul_f32_e32 v8, v118, v8
	s_mov_b32 s0, exec_lo
                                        ; implicit-def: $vgpr19
	v_and_b32_e32 v9, 0x7f800000, v8
	s_delay_alu instid0(VALU_DEP_1)
	v_cmpx_ne_u32_e32 0x7f800000, v9
	s_xor_b32 s0, exec_lo, s0
; %bb.2384:                             ;   in Loop: Header=BB448_2342 Depth=1
	v_bfe_u32 v9, v8, 16, 1
	s_delay_alu instid0(VALU_DEP_1)
	v_add3_u32 v19, v8, v9, 0x7fff
                                        ; implicit-def: $vgpr8
; %bb.2385:                             ;   in Loop: Header=BB448_2342 Depth=1
	s_and_not1_saveexec_b32 s0, s0
; %bb.2386:                             ;   in Loop: Header=BB448_2342 Depth=1
	v_and_b32_e32 v9, 0xffff, v8
	v_or_b32_e32 v12, 0x10000, v8
	s_delay_alu instid0(VALU_DEP_2) | instskip(NEXT) | instid1(VALU_DEP_2)
	v_cmp_eq_u32_e32 vcc_lo, 0, v9
	v_cndmask_b32_e32 v19, v12, v8, vcc_lo
; %bb.2387:                             ;   in Loop: Header=BB448_2342 Depth=1
	s_or_b32 exec_lo, exec_lo, s0
	v_lshrrev_b16 v9, 8, v6
	v_mov_b32_e32 v8, 0
	s_mov_b32 s0, exec_lo
	s_delay_alu instid0(VALU_DEP_2)
	v_cmpx_ne_u16_e32 0, v9
	s_cbranch_execz .LBB448_2395
; %bb.2388:                             ;   in Loop: Header=BB448_2342 Depth=1
	v_bfrev_b32_e32 v8, 1
	s_mov_b32 s13, exec_lo
	v_cmpx_ne_u16_e32 0x80, v9
	s_cbranch_execz .LBB448_2394
; %bb.2389:                             ;   in Loop: Header=BB448_2342 Depth=1
	v_and_b32_e32 v12, 0xffff, v9
	v_mov_b32_e32 v8, 0x7f800001
	s_mov_b32 s15, exec_lo
	s_delay_alu instid0(VALU_DEP_2) | instskip(NEXT) | instid1(VALU_DEP_1)
	v_and_b32_e32 v9, 0x7f, v12
	v_cmpx_ne_u32_e32 0x7f, v9
	s_cbranch_execz .LBB448_2393
; %bb.2390:                             ;   in Loop: Header=BB448_2342 Depth=1
	v_and_b32_e32 v12, 7, v12
	v_lshrrev_b32_e32 v20, 3, v9
	v_cmp_gt_u32_e32 vcc_lo, 8, v9
	s_delay_alu instid0(VALU_DEP_3)
	v_dual_mov_b32 v8, v12 :: v_dual_mov_b32 v9, v13
	s_and_saveexec_b32 s16, vcc_lo
; %bb.2391:                             ;   in Loop: Header=BB448_2342 Depth=1
	v_clz_i32_u32_e32 v8, v12
	s_delay_alu instid0(VALU_DEP_1) | instskip(NEXT) | instid1(VALU_DEP_1)
	v_min_u32_e32 v20, 32, v8
	v_subrev_nc_u32_e32 v8, 28, v20
	v_sub_nc_u32_e32 v20, 29, v20
	s_delay_alu instid0(VALU_DEP_2) | instskip(NEXT) | instid1(VALU_DEP_1)
	v_lshlrev_b64 v[8:9], v8, v[12:13]
	v_and_b32_e32 v8, 7, v8
; %bb.2392:                             ;   in Loop: Header=BB448_2342 Depth=1
	s_or_b32 exec_lo, exec_lo, s16
	v_lshlrev_b32_e32 v9, 16, v6
	s_delay_alu instid0(VALU_DEP_2) | instskip(SKIP_1) | instid1(VALU_DEP_3)
	v_lshlrev_b32_e32 v8, 20, v8
	v_lshl_add_u32 v12, v20, 23, 0x3c000000
	v_and_b32_e32 v9, 0x80000000, v9
	s_delay_alu instid0(VALU_DEP_1)
	v_or3_b32 v8, v8, v9, v12
.LBB448_2393:                           ;   in Loop: Header=BB448_2342 Depth=1
	s_or_b32 exec_lo, exec_lo, s15
.LBB448_2394:                           ;   in Loop: Header=BB448_2342 Depth=1
	s_delay_alu instid0(SALU_CYCLE_1)
	s_or_b32 exec_lo, exec_lo, s13
.LBB448_2395:                           ;   in Loop: Header=BB448_2342 Depth=1
	s_delay_alu instid0(SALU_CYCLE_1) | instskip(NEXT) | instid1(VALU_DEP_1)
	s_or_b32 exec_lo, exec_lo, s0
	v_mul_f32_e32 v8, v118, v8
	s_mov_b32 s0, exec_lo
                                        ; implicit-def: $vgpr20
	s_delay_alu instid0(VALU_DEP_1) | instskip(NEXT) | instid1(VALU_DEP_1)
	v_and_b32_e32 v9, 0x7f800000, v8
	v_cmpx_ne_u32_e32 0x7f800000, v9
	s_xor_b32 s0, exec_lo, s0
; %bb.2396:                             ;   in Loop: Header=BB448_2342 Depth=1
	v_bfe_u32 v9, v8, 16, 1
	s_delay_alu instid0(VALU_DEP_1)
	v_add3_u32 v20, v8, v9, 0x7fff
                                        ; implicit-def: $vgpr8
; %bb.2397:                             ;   in Loop: Header=BB448_2342 Depth=1
	s_and_not1_saveexec_b32 s0, s0
; %bb.2398:                             ;   in Loop: Header=BB448_2342 Depth=1
	v_and_b32_e32 v9, 0xffff, v8
	v_or_b32_e32 v12, 0x10000, v8
	s_delay_alu instid0(VALU_DEP_2) | instskip(NEXT) | instid1(VALU_DEP_2)
	v_cmp_eq_u32_e32 vcc_lo, 0, v9
	v_cndmask_b32_e32 v20, v12, v8, vcc_lo
; %bb.2399:                             ;   in Loop: Header=BB448_2342 Depth=1
	s_or_b32 exec_lo, exec_lo, s0
	v_lshrrev_b32_e32 v21, 16, v6
	s_mov_b32 s0, exec_lo
	s_delay_alu instid0(VALU_DEP_1) | instskip(NEXT) | instid1(VALU_DEP_1)
	v_dual_mov_b32 v8, 0 :: v_dual_and_b32 v9, 0xff, v21
	v_cmpx_ne_u16_e32 0, v9
	s_cbranch_execz .LBB448_2407
; %bb.2400:                             ;   in Loop: Header=BB448_2342 Depth=1
	v_bfrev_b32_e32 v8, 1
	s_mov_b32 s13, exec_lo
	v_cmpx_ne_u16_e32 0x80, v9
	s_cbranch_execz .LBB448_2406
; %bb.2401:                             ;   in Loop: Header=BB448_2342 Depth=1
	v_bfe_u32 v9, v6, 16, 7
	v_mov_b32_e32 v8, 0x7f800001
	s_mov_b32 s15, exec_lo
	s_delay_alu instid0(VALU_DEP_2)
	v_cmpx_ne_u32_e32 0x7f, v9
	s_cbranch_execz .LBB448_2405
; %bb.2402:                             ;   in Loop: Header=BB448_2342 Depth=1
	v_and_b32_e32 v12, 7, v21
	v_lshrrev_b32_e32 v22, 3, v9
	v_cmp_gt_u32_e32 vcc_lo, 8, v9
	s_delay_alu instid0(VALU_DEP_3)
	v_dual_mov_b32 v8, v12 :: v_dual_mov_b32 v9, v13
	s_and_saveexec_b32 s16, vcc_lo
; %bb.2403:                             ;   in Loop: Header=BB448_2342 Depth=1
	v_clz_i32_u32_e32 v8, v12
	s_delay_alu instid0(VALU_DEP_1) | instskip(NEXT) | instid1(VALU_DEP_1)
	v_min_u32_e32 v22, 32, v8
	v_subrev_nc_u32_e32 v8, 28, v22
	v_sub_nc_u32_e32 v22, 29, v22
	s_delay_alu instid0(VALU_DEP_2) | instskip(NEXT) | instid1(VALU_DEP_1)
	v_lshlrev_b64 v[8:9], v8, v[12:13]
	v_and_b32_e32 v8, 7, v8
; %bb.2404:                             ;   in Loop: Header=BB448_2342 Depth=1
	s_or_b32 exec_lo, exec_lo, s16
	v_lshlrev_b32_e32 v9, 24, v21
	s_delay_alu instid0(VALU_DEP_2) | instskip(SKIP_1) | instid1(VALU_DEP_3)
	v_lshlrev_b32_e32 v8, 20, v8
	v_lshl_add_u32 v12, v22, 23, 0x3c000000
	v_and_b32_e32 v9, 0x80000000, v9
	s_delay_alu instid0(VALU_DEP_1)
	v_or3_b32 v8, v8, v9, v12
.LBB448_2405:                           ;   in Loop: Header=BB448_2342 Depth=1
	s_or_b32 exec_lo, exec_lo, s15
.LBB448_2406:                           ;   in Loop: Header=BB448_2342 Depth=1
	s_delay_alu instid0(SALU_CYCLE_1)
	s_or_b32 exec_lo, exec_lo, s13
.LBB448_2407:                           ;   in Loop: Header=BB448_2342 Depth=1
	s_delay_alu instid0(SALU_CYCLE_1) | instskip(NEXT) | instid1(VALU_DEP_1)
	s_or_b32 exec_lo, exec_lo, s0
	v_mul_f32_e32 v8, v118, v8
	s_mov_b32 s0, exec_lo
                                        ; implicit-def: $vgpr21
	s_delay_alu instid0(VALU_DEP_1) | instskip(NEXT) | instid1(VALU_DEP_1)
	v_and_b32_e32 v9, 0x7f800000, v8
	v_cmpx_ne_u32_e32 0x7f800000, v9
	s_xor_b32 s0, exec_lo, s0
; %bb.2408:                             ;   in Loop: Header=BB448_2342 Depth=1
	v_bfe_u32 v9, v8, 16, 1
	s_delay_alu instid0(VALU_DEP_1)
	v_add3_u32 v21, v8, v9, 0x7fff
                                        ; implicit-def: $vgpr8
; %bb.2409:                             ;   in Loop: Header=BB448_2342 Depth=1
	s_and_not1_saveexec_b32 s0, s0
; %bb.2410:                             ;   in Loop: Header=BB448_2342 Depth=1
	v_and_b32_e32 v9, 0xffff, v8
	v_or_b32_e32 v12, 0x10000, v8
	s_delay_alu instid0(VALU_DEP_2) | instskip(NEXT) | instid1(VALU_DEP_2)
	v_cmp_eq_u32_e32 vcc_lo, 0, v9
	v_cndmask_b32_e32 v21, v12, v8, vcc_lo
; %bb.2411:                             ;   in Loop: Header=BB448_2342 Depth=1
	s_or_b32 exec_lo, exec_lo, s0
	v_mov_b32_e32 v8, 0
	s_mov_b32 s0, exec_lo
	v_cmpx_lt_u32_e32 0xffffff, v6
	s_cbranch_execz .LBB448_2419
; %bb.2412:                             ;   in Loop: Header=BB448_2342 Depth=1
	v_lshrrev_b32_e32 v22, 24, v6
	v_bfrev_b32_e32 v8, 1
	s_mov_b32 s13, exec_lo
	s_delay_alu instid0(VALU_DEP_2)
	v_cmpx_ne_u32_e32 0x80, v22
	s_cbranch_execz .LBB448_2418
; %bb.2413:                             ;   in Loop: Header=BB448_2342 Depth=1
	v_bfe_u32 v9, v6, 24, 7
	v_mov_b32_e32 v8, 0x7f800001
	s_mov_b32 s15, exec_lo
	s_delay_alu instid0(VALU_DEP_2)
	v_cmpx_ne_u32_e32 0x7f, v9
	s_cbranch_execz .LBB448_2417
; %bb.2414:                             ;   in Loop: Header=BB448_2342 Depth=1
	v_and_b32_e32 v12, 7, v22
	v_lshrrev_b32_e32 v23, 3, v9
	v_cmp_gt_u32_e32 vcc_lo, 8, v9
	s_delay_alu instid0(VALU_DEP_3)
	v_dual_mov_b32 v8, v12 :: v_dual_mov_b32 v9, v13
	s_and_saveexec_b32 s16, vcc_lo
; %bb.2415:                             ;   in Loop: Header=BB448_2342 Depth=1
	v_clz_i32_u32_e32 v8, v12
	s_delay_alu instid0(VALU_DEP_1) | instskip(NEXT) | instid1(VALU_DEP_1)
	v_min_u32_e32 v23, 32, v8
	v_subrev_nc_u32_e32 v8, 28, v23
	v_sub_nc_u32_e32 v23, 29, v23
	s_delay_alu instid0(VALU_DEP_2) | instskip(NEXT) | instid1(VALU_DEP_1)
	v_lshlrev_b64 v[8:9], v8, v[12:13]
	v_and_b32_e32 v8, 7, v8
; %bb.2416:                             ;   in Loop: Header=BB448_2342 Depth=1
	s_or_b32 exec_lo, exec_lo, s16
	v_lshlrev_b32_e32 v9, 24, v22
	s_delay_alu instid0(VALU_DEP_2) | instskip(SKIP_1) | instid1(VALU_DEP_3)
	v_lshlrev_b32_e32 v8, 20, v8
	v_lshl_add_u32 v12, v23, 23, 0x3c000000
	v_and_b32_e32 v9, 0x80000000, v9
	s_delay_alu instid0(VALU_DEP_1)
	v_or3_b32 v8, v8, v9, v12
.LBB448_2417:                           ;   in Loop: Header=BB448_2342 Depth=1
	s_or_b32 exec_lo, exec_lo, s15
.LBB448_2418:                           ;   in Loop: Header=BB448_2342 Depth=1
	s_delay_alu instid0(SALU_CYCLE_1)
	s_or_b32 exec_lo, exec_lo, s13
.LBB448_2419:                           ;   in Loop: Header=BB448_2342 Depth=1
	s_delay_alu instid0(SALU_CYCLE_1) | instskip(NEXT) | instid1(VALU_DEP_1)
	s_or_b32 exec_lo, exec_lo, s0
	v_mul_f32_e32 v8, v118, v8
	s_mov_b32 s0, exec_lo
                                        ; implicit-def: $vgpr22
	s_delay_alu instid0(VALU_DEP_1) | instskip(NEXT) | instid1(VALU_DEP_1)
	v_and_b32_e32 v9, 0x7f800000, v8
	v_cmpx_ne_u32_e32 0x7f800000, v9
	s_xor_b32 s0, exec_lo, s0
; %bb.2420:                             ;   in Loop: Header=BB448_2342 Depth=1
	v_bfe_u32 v9, v8, 16, 1
	s_delay_alu instid0(VALU_DEP_1)
	v_add3_u32 v22, v8, v9, 0x7fff
                                        ; implicit-def: $vgpr8
; %bb.2421:                             ;   in Loop: Header=BB448_2342 Depth=1
	s_and_not1_saveexec_b32 s0, s0
; %bb.2422:                             ;   in Loop: Header=BB448_2342 Depth=1
	v_and_b32_e32 v9, 0xffff, v8
	v_or_b32_e32 v12, 0x10000, v8
	s_delay_alu instid0(VALU_DEP_2) | instskip(NEXT) | instid1(VALU_DEP_2)
	v_cmp_eq_u32_e32 vcc_lo, 0, v9
	v_cndmask_b32_e32 v22, v12, v8, vcc_lo
; %bb.2423:                             ;   in Loop: Header=BB448_2342 Depth=1
	s_or_b32 exec_lo, exec_lo, s0
	v_dual_mov_b32 v12, v7 :: v_dual_and_b32 v9, 0xff, v7
	v_mov_b32_e32 v8, 0
	s_mov_b32 s0, exec_lo
	s_delay_alu instid0(VALU_DEP_2)
	v_cmpx_ne_u16_e32 0, v9
	s_cbranch_execz .LBB448_2431
; %bb.2424:                             ;   in Loop: Header=BB448_2342 Depth=1
	v_bfrev_b32_e32 v8, 1
	s_mov_b32 s13, exec_lo
	v_cmpx_ne_u16_e32 0x80, v9
	s_cbranch_execz .LBB448_2430
; %bb.2425:                             ;   in Loop: Header=BB448_2342 Depth=1
	v_and_b32_e32 v9, 0x7f, v7
	v_mov_b32_e32 v8, 0x7f800001
	s_mov_b32 s15, exec_lo
	s_delay_alu instid0(VALU_DEP_2)
	v_cmpx_ne_u32_e32 0x7f, v9
	s_cbranch_execz .LBB448_2429
; %bb.2426:                             ;   in Loop: Header=BB448_2342 Depth=1
	v_lshrrev_b32_e32 v23, 3, v9
	v_cmp_gt_u32_e32 vcc_lo, 8, v9
	v_dual_mov_b32 v8, v12 :: v_dual_mov_b32 v9, v13
	s_and_saveexec_b32 s16, vcc_lo
; %bb.2427:                             ;   in Loop: Header=BB448_2342 Depth=1
	v_and_b32_e32 v8, 7, v7
	s_delay_alu instid0(VALU_DEP_1) | instskip(NEXT) | instid1(VALU_DEP_1)
	v_clz_i32_u32_e32 v8, v8
	v_min_u32_e32 v23, 32, v8
	s_delay_alu instid0(VALU_DEP_1) | instskip(SKIP_1) | instid1(VALU_DEP_2)
	v_subrev_nc_u32_e32 v8, 28, v23
	v_sub_nc_u32_e32 v23, 29, v23
	v_lshlrev_b64 v[8:9], v8, v[12:13]
; %bb.2428:                             ;   in Loop: Header=BB448_2342 Depth=1
	s_or_b32 exec_lo, exec_lo, s16
	s_delay_alu instid0(VALU_DEP_1) | instskip(SKIP_2) | instid1(VALU_DEP_3)
	v_lshlrev_b32_e32 v8, 20, v8
	v_lshlrev_b32_e32 v9, 24, v12
	v_lshl_add_u32 v23, v23, 23, 0x3c000000
	v_and_b32_e32 v8, 0x700000, v8
	s_delay_alu instid0(VALU_DEP_3) | instskip(NEXT) | instid1(VALU_DEP_1)
	v_and_b32_e32 v9, 0x80000000, v9
	v_or3_b32 v8, v8, v9, v23
.LBB448_2429:                           ;   in Loop: Header=BB448_2342 Depth=1
	s_or_b32 exec_lo, exec_lo, s15
.LBB448_2430:                           ;   in Loop: Header=BB448_2342 Depth=1
	s_delay_alu instid0(SALU_CYCLE_1)
	s_or_b32 exec_lo, exec_lo, s13
.LBB448_2431:                           ;   in Loop: Header=BB448_2342 Depth=1
	s_delay_alu instid0(SALU_CYCLE_1) | instskip(NEXT) | instid1(VALU_DEP_1)
	s_or_b32 exec_lo, exec_lo, s0
	v_mul_f32_e32 v8, v118, v8
	s_mov_b32 s0, exec_lo
                                        ; implicit-def: $vgpr23
	s_delay_alu instid0(VALU_DEP_1) | instskip(NEXT) | instid1(VALU_DEP_1)
	v_and_b32_e32 v9, 0x7f800000, v8
	v_cmpx_ne_u32_e32 0x7f800000, v9
	s_xor_b32 s0, exec_lo, s0
; %bb.2432:                             ;   in Loop: Header=BB448_2342 Depth=1
	v_bfe_u32 v9, v8, 16, 1
	s_delay_alu instid0(VALU_DEP_1)
	v_add3_u32 v23, v8, v9, 0x7fff
                                        ; implicit-def: $vgpr8
; %bb.2433:                             ;   in Loop: Header=BB448_2342 Depth=1
	s_and_not1_saveexec_b32 s0, s0
; %bb.2434:                             ;   in Loop: Header=BB448_2342 Depth=1
	v_and_b32_e32 v9, 0xffff, v8
	v_or_b32_e32 v23, 0x10000, v8
	s_delay_alu instid0(VALU_DEP_2) | instskip(NEXT) | instid1(VALU_DEP_2)
	v_cmp_eq_u32_e32 vcc_lo, 0, v9
	v_cndmask_b32_e32 v23, v23, v8, vcc_lo
; %bb.2435:                             ;   in Loop: Header=BB448_2342 Depth=1
	s_or_b32 exec_lo, exec_lo, s0
	v_lshrrev_b16 v9, 8, v12
	v_mov_b32_e32 v8, 0
	s_mov_b32 s0, exec_lo
	s_delay_alu instid0(VALU_DEP_2)
	v_cmpx_ne_u16_e32 0, v9
	s_cbranch_execz .LBB448_2443
; %bb.2436:                             ;   in Loop: Header=BB448_2342 Depth=1
	v_bfrev_b32_e32 v8, 1
	s_mov_b32 s13, exec_lo
	v_cmpx_ne_u16_e32 0x80, v9
	s_cbranch_execz .LBB448_2442
; %bb.2437:                             ;   in Loop: Header=BB448_2342 Depth=1
	v_and_b32_e32 v9, 0xffff, v9
	v_mov_b32_e32 v8, 0x7f800001
	s_mov_b32 s15, exec_lo
	s_delay_alu instid0(VALU_DEP_2) | instskip(NEXT) | instid1(VALU_DEP_1)
	v_and_b32_e32 v25, 0x7f, v9
	v_cmpx_ne_u32_e32 0x7f, v25
	s_cbranch_execz .LBB448_2441
; %bb.2438:                             ;   in Loop: Header=BB448_2342 Depth=1
	v_dual_mov_b32 v9, v13 :: v_dual_and_b32 v8, 7, v9
	v_lshrrev_b32_e32 v24, 3, v25
	s_mov_b32 s16, exec_lo
	v_cmpx_gt_u32_e32 8, v25
; %bb.2439:                             ;   in Loop: Header=BB448_2342 Depth=1
	s_delay_alu instid0(VALU_DEP_3) | instskip(NEXT) | instid1(VALU_DEP_1)
	v_clz_i32_u32_e32 v24, v8
	v_min_u32_e32 v24, 32, v24
	s_delay_alu instid0(VALU_DEP_1) | instskip(SKIP_1) | instid1(VALU_DEP_2)
	v_subrev_nc_u32_e32 v25, 28, v24
	v_sub_nc_u32_e32 v24, 29, v24
	v_lshlrev_b64 v[8:9], v25, v[8:9]
	s_delay_alu instid0(VALU_DEP_1)
	v_and_b32_e32 v8, 7, v8
; %bb.2440:                             ;   in Loop: Header=BB448_2342 Depth=1
	s_or_b32 exec_lo, exec_lo, s16
	v_lshlrev_b32_e32 v9, 16, v12
	s_delay_alu instid0(VALU_DEP_2) | instskip(SKIP_1) | instid1(VALU_DEP_3)
	v_lshlrev_b32_e32 v8, 20, v8
	v_lshl_add_u32 v12, v24, 23, 0x3c000000
	v_and_b32_e32 v9, 0x80000000, v9
	s_delay_alu instid0(VALU_DEP_1)
	v_or3_b32 v8, v8, v9, v12
.LBB448_2441:                           ;   in Loop: Header=BB448_2342 Depth=1
	s_or_b32 exec_lo, exec_lo, s15
.LBB448_2442:                           ;   in Loop: Header=BB448_2342 Depth=1
	s_delay_alu instid0(SALU_CYCLE_1)
	s_or_b32 exec_lo, exec_lo, s13
.LBB448_2443:                           ;   in Loop: Header=BB448_2342 Depth=1
	s_delay_alu instid0(SALU_CYCLE_1) | instskip(NEXT) | instid1(VALU_DEP_1)
	s_or_b32 exec_lo, exec_lo, s0
	v_mul_f32_e32 v8, v118, v8
	s_mov_b32 s0, exec_lo
                                        ; implicit-def: $vgpr24
	s_delay_alu instid0(VALU_DEP_1) | instskip(NEXT) | instid1(VALU_DEP_1)
	v_and_b32_e32 v9, 0x7f800000, v8
	v_cmpx_ne_u32_e32 0x7f800000, v9
	s_xor_b32 s0, exec_lo, s0
; %bb.2444:                             ;   in Loop: Header=BB448_2342 Depth=1
	v_bfe_u32 v9, v8, 16, 1
	s_delay_alu instid0(VALU_DEP_1)
	v_add3_u32 v24, v8, v9, 0x7fff
                                        ; implicit-def: $vgpr8
; %bb.2445:                             ;   in Loop: Header=BB448_2342 Depth=1
	s_and_not1_saveexec_b32 s0, s0
; %bb.2446:                             ;   in Loop: Header=BB448_2342 Depth=1
	v_and_b32_e32 v9, 0xffff, v8
	v_or_b32_e32 v12, 0x10000, v8
	s_delay_alu instid0(VALU_DEP_2) | instskip(NEXT) | instid1(VALU_DEP_2)
	v_cmp_eq_u32_e32 vcc_lo, 0, v9
	v_cndmask_b32_e32 v24, v12, v8, vcc_lo
; %bb.2447:                             ;   in Loop: Header=BB448_2342 Depth=1
	s_or_b32 exec_lo, exec_lo, s0
	v_lshrrev_b32_e32 v25, 16, v7
	s_mov_b32 s0, exec_lo
	s_delay_alu instid0(VALU_DEP_1) | instskip(NEXT) | instid1(VALU_DEP_1)
	v_dual_mov_b32 v8, 0 :: v_dual_and_b32 v9, 0xff, v25
	v_cmpx_ne_u16_e32 0, v9
	s_cbranch_execz .LBB448_2455
; %bb.2448:                             ;   in Loop: Header=BB448_2342 Depth=1
	v_bfrev_b32_e32 v8, 1
	s_mov_b32 s13, exec_lo
	v_cmpx_ne_u16_e32 0x80, v9
	s_cbranch_execz .LBB448_2454
; %bb.2449:                             ;   in Loop: Header=BB448_2342 Depth=1
	v_bfe_u32 v9, v7, 16, 7
	v_mov_b32_e32 v8, 0x7f800001
	s_mov_b32 s15, exec_lo
	s_delay_alu instid0(VALU_DEP_2)
	v_cmpx_ne_u32_e32 0x7f, v9
	s_cbranch_execz .LBB448_2453
; %bb.2450:                             ;   in Loop: Header=BB448_2342 Depth=1
	v_and_b32_e32 v12, 7, v25
	v_lshrrev_b32_e32 v26, 3, v9
	v_cmp_gt_u32_e32 vcc_lo, 8, v9
	s_delay_alu instid0(VALU_DEP_3)
	v_dual_mov_b32 v8, v12 :: v_dual_mov_b32 v9, v13
	s_and_saveexec_b32 s16, vcc_lo
; %bb.2451:                             ;   in Loop: Header=BB448_2342 Depth=1
	v_clz_i32_u32_e32 v8, v12
	s_delay_alu instid0(VALU_DEP_1) | instskip(NEXT) | instid1(VALU_DEP_1)
	v_min_u32_e32 v26, 32, v8
	v_subrev_nc_u32_e32 v8, 28, v26
	v_sub_nc_u32_e32 v26, 29, v26
	s_delay_alu instid0(VALU_DEP_2) | instskip(NEXT) | instid1(VALU_DEP_1)
	v_lshlrev_b64 v[8:9], v8, v[12:13]
	v_and_b32_e32 v8, 7, v8
; %bb.2452:                             ;   in Loop: Header=BB448_2342 Depth=1
	s_or_b32 exec_lo, exec_lo, s16
	v_lshlrev_b32_e32 v9, 24, v25
	s_delay_alu instid0(VALU_DEP_2) | instskip(SKIP_1) | instid1(VALU_DEP_3)
	v_lshlrev_b32_e32 v8, 20, v8
	v_lshl_add_u32 v12, v26, 23, 0x3c000000
	v_and_b32_e32 v9, 0x80000000, v9
	s_delay_alu instid0(VALU_DEP_1)
	v_or3_b32 v8, v8, v9, v12
.LBB448_2453:                           ;   in Loop: Header=BB448_2342 Depth=1
	s_or_b32 exec_lo, exec_lo, s15
.LBB448_2454:                           ;   in Loop: Header=BB448_2342 Depth=1
	s_delay_alu instid0(SALU_CYCLE_1)
	s_or_b32 exec_lo, exec_lo, s13
.LBB448_2455:                           ;   in Loop: Header=BB448_2342 Depth=1
	s_delay_alu instid0(SALU_CYCLE_1) | instskip(NEXT) | instid1(VALU_DEP_1)
	s_or_b32 exec_lo, exec_lo, s0
	v_mul_f32_e32 v8, v118, v8
	s_mov_b32 s0, exec_lo
                                        ; implicit-def: $vgpr25
	s_delay_alu instid0(VALU_DEP_1) | instskip(NEXT) | instid1(VALU_DEP_1)
	v_and_b32_e32 v9, 0x7f800000, v8
	v_cmpx_ne_u32_e32 0x7f800000, v9
	s_xor_b32 s0, exec_lo, s0
; %bb.2456:                             ;   in Loop: Header=BB448_2342 Depth=1
	v_bfe_u32 v9, v8, 16, 1
	s_delay_alu instid0(VALU_DEP_1)
	v_add3_u32 v25, v8, v9, 0x7fff
                                        ; implicit-def: $vgpr8
; %bb.2457:                             ;   in Loop: Header=BB448_2342 Depth=1
	s_and_not1_saveexec_b32 s0, s0
; %bb.2458:                             ;   in Loop: Header=BB448_2342 Depth=1
	v_and_b32_e32 v9, 0xffff, v8
	v_or_b32_e32 v12, 0x10000, v8
	s_delay_alu instid0(VALU_DEP_2) | instskip(NEXT) | instid1(VALU_DEP_2)
	v_cmp_eq_u32_e32 vcc_lo, 0, v9
	v_cndmask_b32_e32 v25, v12, v8, vcc_lo
; %bb.2459:                             ;   in Loop: Header=BB448_2342 Depth=1
	s_or_b32 exec_lo, exec_lo, s0
	v_cmp_lt_u64_e32 vcc_lo, s[8:9], v[6:7]
	v_mov_b32_e32 v6, 0
	s_and_saveexec_b32 s0, vcc_lo
	s_cbranch_execz .LBB448_2467
; %bb.2460:                             ;   in Loop: Header=BB448_2342 Depth=1
	v_lshrrev_b32_e32 v8, 24, v7
	v_bfrev_b32_e32 v6, 1
	s_mov_b32 s13, exec_lo
	s_delay_alu instid0(VALU_DEP_2)
	v_cmpx_ne_u32_e32 0x80, v8
	s_cbranch_execz .LBB448_2466
; %bb.2461:                             ;   in Loop: Header=BB448_2342 Depth=1
	v_bfe_u32 v7, v7, 24, 7
	v_mov_b32_e32 v6, 0x7f800001
	s_mov_b32 s15, exec_lo
	s_delay_alu instid0(VALU_DEP_2)
	v_cmpx_ne_u32_e32 0x7f, v7
	s_cbranch_execz .LBB448_2465
; %bb.2462:                             ;   in Loop: Header=BB448_2342 Depth=1
	v_and_b32_e32 v12, 7, v8
	v_lshrrev_b32_e32 v9, 3, v7
	v_cmp_gt_u32_e32 vcc_lo, 8, v7
	s_delay_alu instid0(VALU_DEP_3)
	v_dual_mov_b32 v6, v12 :: v_dual_mov_b32 v7, v13
	s_and_saveexec_b32 s16, vcc_lo
; %bb.2463:                             ;   in Loop: Header=BB448_2342 Depth=1
	v_clz_i32_u32_e32 v6, v12
	s_delay_alu instid0(VALU_DEP_1) | instskip(NEXT) | instid1(VALU_DEP_1)
	v_min_u32_e32 v9, 32, v6
	v_subrev_nc_u32_e32 v6, 28, v9
	v_sub_nc_u32_e32 v9, 29, v9
	s_delay_alu instid0(VALU_DEP_2) | instskip(NEXT) | instid1(VALU_DEP_1)
	v_lshlrev_b64 v[6:7], v6, v[12:13]
	v_and_b32_e32 v6, 7, v6
; %bb.2464:                             ;   in Loop: Header=BB448_2342 Depth=1
	s_or_b32 exec_lo, exec_lo, s16
	v_lshlrev_b32_e32 v7, 24, v8
	s_delay_alu instid0(VALU_DEP_2) | instskip(SKIP_1) | instid1(VALU_DEP_3)
	v_lshlrev_b32_e32 v6, 20, v6
	v_lshl_add_u32 v8, v9, 23, 0x3c000000
	v_and_b32_e32 v7, 0x80000000, v7
	s_delay_alu instid0(VALU_DEP_1)
	v_or3_b32 v6, v6, v7, v8
.LBB448_2465:                           ;   in Loop: Header=BB448_2342 Depth=1
	s_or_b32 exec_lo, exec_lo, s15
.LBB448_2466:                           ;   in Loop: Header=BB448_2342 Depth=1
	s_delay_alu instid0(SALU_CYCLE_1)
	s_or_b32 exec_lo, exec_lo, s13
.LBB448_2467:                           ;   in Loop: Header=BB448_2342 Depth=1
	s_delay_alu instid0(SALU_CYCLE_1) | instskip(NEXT) | instid1(VALU_DEP_1)
	s_or_b32 exec_lo, exec_lo, s0
	v_mul_f32_e32 v7, v118, v6
	s_delay_alu instid0(VALU_DEP_1) | instskip(NEXT) | instid1(VALU_DEP_1)
	v_and_b32_e32 v6, 0x7f800000, v7
	v_cmp_ne_u32_e32 vcc_lo, 0x7f800000, v6
                                        ; implicit-def: $vgpr6
	s_and_saveexec_b32 s0, vcc_lo
	s_delay_alu instid0(SALU_CYCLE_1)
	s_xor_b32 s0, exec_lo, s0
; %bb.2468:                             ;   in Loop: Header=BB448_2342 Depth=1
	v_bfe_u32 v6, v7, 16, 1
	s_delay_alu instid0(VALU_DEP_1)
	v_add3_u32 v6, v7, v6, 0x7fff
                                        ; implicit-def: $vgpr7
; %bb.2469:                             ;   in Loop: Header=BB448_2342 Depth=1
	s_and_not1_saveexec_b32 s0, s0
; %bb.2470:                             ;   in Loop: Header=BB448_2342 Depth=1
	v_and_b32_e32 v6, 0xffff, v7
	v_or_b32_e32 v8, 0x10000, v7
	s_delay_alu instid0(VALU_DEP_2) | instskip(NEXT) | instid1(VALU_DEP_2)
	v_cmp_eq_u32_e32 vcc_lo, 0, v6
	v_cndmask_b32_e32 v6, v8, v7, vcc_lo
; %bb.2471:                             ;   in Loop: Header=BB448_2342 Depth=1
	s_or_b32 exec_lo, exec_lo, s0
	scratch_load_b32 v7, off, s32 offset:600 ; 4-byte Folded Reload
	v_lshrrev_b32_e32 v8, 16, v24
	v_lshrrev_b32_e32 v9, 16, v23
	;; [unrolled: 1-line block ×7, first 2 shown]
	v_or_b32_e32 v133, 1, v102
	v_or_b32_e32 v132, 2, v102
	;; [unrolled: 1-line block ×7, first 2 shown]
	s_waitcnt vmcnt(0)
	v_cmp_eq_u32_e32 vcc_lo, v17, v7
	v_lshrrev_b32_e32 v7, 16, v25
	s_and_saveexec_b32 s13, vcc_lo
	s_cbranch_execz .LBB448_2473
; %bb.2472:                             ;   in Loop: Header=BB448_2342 Depth=1
	v_cmp_lt_i32_e64 s0, v102, v36
	s_delay_alu instid0(VALU_DEP_1) | instskip(SKIP_1) | instid1(VALU_DEP_1)
	v_cndmask_b32_e64 v19, 0, v19, s0
	v_cmp_lt_i32_e64 s0, v133, v36
	v_cndmask_b32_e64 v20, 0, v20, s0
	v_cmp_lt_i32_e64 s0, v132, v36
	s_delay_alu instid0(VALU_DEP_1) | instskip(SKIP_1) | instid1(VALU_DEP_1)
	v_cndmask_b32_e64 v21, 0, v21, s0
	v_cmp_lt_i32_e64 s0, v131, v36
	v_cndmask_b32_e64 v12, 0, v12, s0
	;; [unrolled: 5-line block ×4, first 2 shown]
.LBB448_2473:                           ;   in Loop: Header=BB448_2342 Depth=1
	s_or_b32 exec_lo, exec_lo, s13
	v_and_b32_e32 v134, 0xffff0000, v18
	v_lshlrev_b32_e32 v18, 16, v19
	s_delay_alu instid0(VALU_DEP_1) | instskip(NEXT) | instid1(VALU_DEP_1)
	v_mul_f32_e32 v18, v134, v18
	v_and_b32_e32 v19, 0x7f800000, v18
	s_delay_alu instid0(VALU_DEP_1) | instskip(NEXT) | instid1(VALU_DEP_1)
	v_cmp_ne_u32_e64 s0, 0x7f800000, v19
                                        ; implicit-def: $vgpr19
                                        ; kill: killed $vgpr19
	s_and_saveexec_b32 s13, s0
	s_delay_alu instid0(SALU_CYCLE_1)
	s_xor_b32 s0, exec_lo, s13
	s_cbranch_execz .LBB448_2475
; %bb.2474:                             ;   in Loop: Header=BB448_2342 Depth=1
	v_bfe_u32 v19, v18, 16, 1
	s_delay_alu instid0(VALU_DEP_1)
	v_add3_u32 v18, v18, v19, 0x7fff
	scratch_store_b32 off, v18, s32 offset:440 ; 4-byte Folded Spill
                                        ; implicit-def: $vgpr18
.LBB448_2475:                           ;   in Loop: Header=BB448_2342 Depth=1
	s_and_not1_saveexec_b32 s13, s0
	s_cbranch_execz .LBB448_2477
; %bb.2476:                             ;   in Loop: Header=BB448_2342 Depth=1
	v_and_b32_e32 v19, 0xffff, v18
	v_or_b32_e32 v22, 0x10000, v18
	s_delay_alu instid0(VALU_DEP_2) | instskip(NEXT) | instid1(VALU_DEP_1)
	v_cmp_eq_u32_e64 s0, 0, v19
	v_cndmask_b32_e64 v18, v22, v18, s0
	scratch_store_b32 off, v18, s32 offset:440 ; 4-byte Folded Spill
.LBB448_2477:                           ;   in Loop: Header=BB448_2342 Depth=1
	s_or_b32 exec_lo, exec_lo, s13
	v_and_b32_e32 v135, 0xffff0000, v16
	v_lshlrev_b32_e32 v16, 16, v20
	s_delay_alu instid0(VALU_DEP_1) | instskip(NEXT) | instid1(VALU_DEP_1)
	v_mul_f32_e32 v16, v135, v16
	v_and_b32_e32 v18, 0x7f800000, v16
	s_delay_alu instid0(VALU_DEP_1) | instskip(NEXT) | instid1(VALU_DEP_1)
	v_cmp_ne_u32_e64 s0, 0x7f800000, v18
                                        ; implicit-def: $vgpr18
                                        ; kill: killed $vgpr18
	s_and_saveexec_b32 s13, s0
	s_delay_alu instid0(SALU_CYCLE_1)
	s_xor_b32 s0, exec_lo, s13
	s_cbranch_execz .LBB448_2479
; %bb.2478:                             ;   in Loop: Header=BB448_2342 Depth=1
	v_bfe_u32 v18, v16, 16, 1
	s_delay_alu instid0(VALU_DEP_1)
	v_add3_u32 v16, v16, v18, 0x7fff
	scratch_store_b32 off, v16, s32 offset:444 ; 4-byte Folded Spill
                                        ; implicit-def: $vgpr16
.LBB448_2479:                           ;   in Loop: Header=BB448_2342 Depth=1
	s_and_not1_saveexec_b32 s13, s0
	s_cbranch_execz .LBB448_2481
; %bb.2480:                             ;   in Loop: Header=BB448_2342 Depth=1
	v_and_b32_e32 v18, 0xffff, v16
	v_or_b32_e32 v19, 0x10000, v16
	s_delay_alu instid0(VALU_DEP_2) | instskip(NEXT) | instid1(VALU_DEP_1)
	v_cmp_eq_u32_e64 s0, 0, v18
	v_cndmask_b32_e64 v16, v19, v16, s0
	scratch_store_b32 off, v16, s32 offset:444 ; 4-byte Folded Spill
.LBB448_2481:                           ;   in Loop: Header=BB448_2342 Depth=1
	s_or_b32 exec_lo, exec_lo, s13
	v_and_b32_e32 v144, 0xffff0000, v15
	v_lshlrev_b32_e32 v15, 16, v21
	s_delay_alu instid0(VALU_DEP_1) | instskip(NEXT) | instid1(VALU_DEP_1)
	v_mul_f32_e32 v15, v144, v15
	v_and_b32_e32 v16, 0x7f800000, v15
	s_delay_alu instid0(VALU_DEP_1) | instskip(NEXT) | instid1(VALU_DEP_1)
	v_cmp_ne_u32_e64 s0, 0x7f800000, v16
                                        ; implicit-def: $vgpr16
                                        ; kill: killed $vgpr16
	s_and_saveexec_b32 s13, s0
	s_delay_alu instid0(SALU_CYCLE_1)
	s_xor_b32 s0, exec_lo, s13
	s_cbranch_execz .LBB448_2483
; %bb.2482:                             ;   in Loop: Header=BB448_2342 Depth=1
	v_bfe_u32 v16, v15, 16, 1
	s_delay_alu instid0(VALU_DEP_1)
	v_add3_u32 v15, v15, v16, 0x7fff
	scratch_store_b32 off, v15, s32 offset:448 ; 4-byte Folded Spill
                                        ; implicit-def: $vgpr15
.LBB448_2483:                           ;   in Loop: Header=BB448_2342 Depth=1
	s_and_not1_saveexec_b32 s13, s0
	s_cbranch_execz .LBB448_2485
; %bb.2484:                             ;   in Loop: Header=BB448_2342 Depth=1
	v_and_b32_e32 v16, 0xffff, v15
	v_or_b32_e32 v18, 0x10000, v15
	s_delay_alu instid0(VALU_DEP_2) | instskip(NEXT) | instid1(VALU_DEP_1)
	v_cmp_eq_u32_e64 s0, 0, v16
	v_cndmask_b32_e64 v15, v18, v15, s0
	scratch_store_b32 off, v15, s32 offset:448 ; 4-byte Folded Spill
.LBB448_2485:                           ;   in Loop: Header=BB448_2342 Depth=1
	s_or_b32 exec_lo, exec_lo, s13
	v_and_b32_e32 v145, 0xffff0000, v14
	v_lshlrev_b32_e32 v12, 16, v12
	s_delay_alu instid0(VALU_DEP_1) | instskip(NEXT) | instid1(VALU_DEP_1)
	v_mul_f32_e32 v12, v145, v12
	v_and_b32_e32 v14, 0x7f800000, v12
	s_delay_alu instid0(VALU_DEP_1) | instskip(NEXT) | instid1(VALU_DEP_1)
	v_cmp_ne_u32_e64 s0, 0x7f800000, v14
                                        ; implicit-def: $vgpr14
                                        ; kill: killed $vgpr14
	s_and_saveexec_b32 s13, s0
	s_delay_alu instid0(SALU_CYCLE_1)
	s_xor_b32 s0, exec_lo, s13
	s_cbranch_execz .LBB448_2487
; %bb.2486:                             ;   in Loop: Header=BB448_2342 Depth=1
	v_bfe_u32 v14, v12, 16, 1
	s_delay_alu instid0(VALU_DEP_1)
	v_add3_u32 v12, v12, v14, 0x7fff
	scratch_store_b32 off, v12, s32 offset:452 ; 4-byte Folded Spill
                                        ; implicit-def: $vgpr12
.LBB448_2487:                           ;   in Loop: Header=BB448_2342 Depth=1
	s_and_not1_saveexec_b32 s13, s0
	s_cbranch_execz .LBB448_2489
; %bb.2488:                             ;   in Loop: Header=BB448_2342 Depth=1
	v_and_b32_e32 v14, 0xffff, v12
	v_or_b32_e32 v15, 0x10000, v12
	s_delay_alu instid0(VALU_DEP_2) | instskip(NEXT) | instid1(VALU_DEP_1)
	v_cmp_eq_u32_e64 s0, 0, v14
	v_cndmask_b32_e64 v12, v15, v12, s0
	scratch_store_b32 off, v12, s32 offset:452 ; 4-byte Folded Spill
.LBB448_2489:                           ;   in Loop: Header=BB448_2342 Depth=1
	s_or_b32 exec_lo, exec_lo, s13
	v_and_b32_e32 v146, 0xffff0000, v11
	v_lshlrev_b32_e32 v9, 16, v9
	s_delay_alu instid0(VALU_DEP_1) | instskip(NEXT) | instid1(VALU_DEP_1)
	v_mul_f32_e32 v9, v146, v9
	v_and_b32_e32 v11, 0x7f800000, v9
	s_delay_alu instid0(VALU_DEP_1) | instskip(NEXT) | instid1(VALU_DEP_1)
	v_cmp_ne_u32_e64 s0, 0x7f800000, v11
                                        ; implicit-def: $vgpr11
                                        ; kill: killed $vgpr11
	s_and_saveexec_b32 s13, s0
	s_delay_alu instid0(SALU_CYCLE_1)
	s_xor_b32 s0, exec_lo, s13
	s_cbranch_execz .LBB448_2491
; %bb.2490:                             ;   in Loop: Header=BB448_2342 Depth=1
	v_bfe_u32 v11, v9, 16, 1
	s_delay_alu instid0(VALU_DEP_1)
	v_add3_u32 v9, v9, v11, 0x7fff
	scratch_store_b32 off, v9, s32 offset:456 ; 4-byte Folded Spill
                                        ; implicit-def: $vgpr9
.LBB448_2491:                           ;   in Loop: Header=BB448_2342 Depth=1
	s_and_not1_saveexec_b32 s13, s0
	s_cbranch_execz .LBB448_2493
; %bb.2492:                             ;   in Loop: Header=BB448_2342 Depth=1
	v_and_b32_e32 v11, 0xffff, v9
	v_or_b32_e32 v12, 0x10000, v9
	s_delay_alu instid0(VALU_DEP_2) | instskip(NEXT) | instid1(VALU_DEP_1)
	v_cmp_eq_u32_e64 s0, 0, v11
	v_cndmask_b32_e64 v9, v12, v9, s0
	scratch_store_b32 off, v9, s32 offset:456 ; 4-byte Folded Spill
.LBB448_2493:                           ;   in Loop: Header=BB448_2342 Depth=1
	s_or_b32 exec_lo, exec_lo, s13
	v_and_b32_e32 v147, 0xffff0000, v10
	v_lshlrev_b32_e32 v8, 16, v8
	s_delay_alu instid0(VALU_DEP_1) | instskip(NEXT) | instid1(VALU_DEP_1)
	v_mul_f32_e32 v8, v147, v8
	v_and_b32_e32 v9, 0x7f800000, v8
	s_delay_alu instid0(VALU_DEP_1) | instskip(NEXT) | instid1(VALU_DEP_1)
	v_cmp_ne_u32_e64 s0, 0x7f800000, v9
                                        ; implicit-def: $vgpr9
                                        ; kill: killed $vgpr9
	s_and_saveexec_b32 s13, s0
	s_delay_alu instid0(SALU_CYCLE_1)
	s_xor_b32 s0, exec_lo, s13
	s_cbranch_execz .LBB448_2495
; %bb.2494:                             ;   in Loop: Header=BB448_2342 Depth=1
	v_bfe_u32 v9, v8, 16, 1
	s_delay_alu instid0(VALU_DEP_1)
	v_add3_u32 v8, v8, v9, 0x7fff
	scratch_store_b32 off, v8, s32 offset:460 ; 4-byte Folded Spill
                                        ; implicit-def: $vgpr8
.LBB448_2495:                           ;   in Loop: Header=BB448_2342 Depth=1
	s_and_not1_saveexec_b32 s13, s0
	s_cbranch_execz .LBB448_2497
; %bb.2496:                             ;   in Loop: Header=BB448_2342 Depth=1
	v_and_b32_e32 v9, 0xffff, v8
	v_or_b32_e32 v10, 0x10000, v8
	s_delay_alu instid0(VALU_DEP_2) | instskip(NEXT) | instid1(VALU_DEP_1)
	v_cmp_eq_u32_e64 s0, 0, v9
	v_cndmask_b32_e64 v8, v10, v8, s0
	scratch_store_b32 off, v8, s32 offset:460 ; 4-byte Folded Spill
.LBB448_2497:                           ;   in Loop: Header=BB448_2342 Depth=1
	s_or_b32 exec_lo, exec_lo, s13
	v_and_b32_e32 v148, 0xffff0000, v5
	v_lshlrev_b32_e32 v5, 16, v7
	s_delay_alu instid0(VALU_DEP_1) | instskip(NEXT) | instid1(VALU_DEP_1)
	v_mul_f32_e32 v5, v148, v5
	v_and_b32_e32 v7, 0x7f800000, v5
	s_delay_alu instid0(VALU_DEP_1) | instskip(NEXT) | instid1(VALU_DEP_1)
	v_cmp_ne_u32_e64 s0, 0x7f800000, v7
                                        ; implicit-def: $vgpr7
                                        ; kill: killed $vgpr7
	s_and_saveexec_b32 s13, s0
	s_delay_alu instid0(SALU_CYCLE_1)
	s_xor_b32 s0, exec_lo, s13
	s_cbranch_execz .LBB448_2499
; %bb.2498:                             ;   in Loop: Header=BB448_2342 Depth=1
	v_bfe_u32 v7, v5, 16, 1
	s_delay_alu instid0(VALU_DEP_1)
	v_add3_u32 v5, v5, v7, 0x7fff
	scratch_store_b32 off, v5, s32 offset:464 ; 4-byte Folded Spill
                                        ; implicit-def: $vgpr5
.LBB448_2499:                           ;   in Loop: Header=BB448_2342 Depth=1
	s_and_not1_saveexec_b32 s13, s0
	s_cbranch_execz .LBB448_2501
; %bb.2500:                             ;   in Loop: Header=BB448_2342 Depth=1
	v_and_b32_e32 v7, 0xffff, v5
	v_or_b32_e32 v8, 0x10000, v5
	s_delay_alu instid0(VALU_DEP_2) | instskip(NEXT) | instid1(VALU_DEP_1)
	v_cmp_eq_u32_e64 s0, 0, v7
	v_cndmask_b32_e64 v5, v8, v5, s0
	scratch_store_b32 off, v5, s32 offset:464 ; 4-byte Folded Spill
.LBB448_2501:                           ;   in Loop: Header=BB448_2342 Depth=1
	s_or_b32 exec_lo, exec_lo, s13
	v_and_b32_e32 v149, 0xffff0000, v4
	v_lshlrev_b32_e32 v4, 16, v6
	s_delay_alu instid0(VALU_DEP_1) | instskip(NEXT) | instid1(VALU_DEP_1)
	v_mul_f32_e32 v4, v149, v4
	v_and_b32_e32 v5, 0x7f800000, v4
	s_delay_alu instid0(VALU_DEP_1) | instskip(NEXT) | instid1(VALU_DEP_1)
	v_cmp_ne_u32_e64 s0, 0x7f800000, v5
                                        ; implicit-def: $vgpr5
                                        ; kill: killed $vgpr5
	s_and_saveexec_b32 s13, s0
	s_delay_alu instid0(SALU_CYCLE_1)
	s_xor_b32 s0, exec_lo, s13
	s_cbranch_execz .LBB448_2503
; %bb.2502:                             ;   in Loop: Header=BB448_2342 Depth=1
	v_bfe_u32 v5, v4, 16, 1
	s_delay_alu instid0(VALU_DEP_1)
	v_add3_u32 v4, v4, v5, 0x7fff
	scratch_store_b32 off, v4, s32 offset:468 ; 4-byte Folded Spill
                                        ; implicit-def: $vgpr4
.LBB448_2503:                           ;   in Loop: Header=BB448_2342 Depth=1
	s_and_not1_saveexec_b32 s13, s0
	s_cbranch_execz .LBB448_2505
; %bb.2504:                             ;   in Loop: Header=BB448_2342 Depth=1
	v_and_b32_e32 v5, 0xffff, v4
	v_or_b32_e32 v6, 0x10000, v4
	s_delay_alu instid0(VALU_DEP_2) | instskip(NEXT) | instid1(VALU_DEP_1)
	v_cmp_eq_u32_e64 s0, 0, v5
	v_cndmask_b32_e64 v4, v6, v4, s0
	scratch_store_b32 off, v4, s32 offset:468 ; 4-byte Folded Spill
.LBB448_2505:                           ;   in Loop: Header=BB448_2342 Depth=1
	s_or_b32 exec_lo, exec_lo, s13
	flat_load_b64 v[6:7], v[2:3] offset:256
	s_mov_b32 s13, exec_lo
	s_waitcnt vmcnt(0) lgkmcnt(0)
	v_dual_mov_b32 v4, 0 :: v_dual_and_b32 v5, 0xff, v6
	s_delay_alu instid0(VALU_DEP_1)
	v_cmpx_ne_u16_e32 0, v5
	s_cbranch_execz .LBB448_2513
; %bb.2506:                             ;   in Loop: Header=BB448_2342 Depth=1
	v_bfrev_b32_e32 v4, 1
	s_mov_b32 s15, exec_lo
	v_cmpx_ne_u16_e32 0x80, v5
	s_cbranch_execz .LBB448_2512
; %bb.2507:                             ;   in Loop: Header=BB448_2342 Depth=1
	v_and_b32_e32 v5, 0x7f, v6
	v_mov_b32_e32 v4, 0x7f800001
	s_mov_b32 s16, exec_lo
	s_delay_alu instid0(VALU_DEP_2)
	v_cmpx_ne_u32_e32 0x7f, v5
	s_cbranch_execz .LBB448_2511
; %bb.2508:                             ;   in Loop: Header=BB448_2342 Depth=1
	v_lshrrev_b32_e32 v4, 3, v5
	v_dual_mov_b32 v9, v7 :: v_dual_mov_b32 v8, v6
	s_mov_b32 s17, exec_lo
	v_cmpx_gt_u32_e32 8, v5
; %bb.2509:                             ;   in Loop: Header=BB448_2342 Depth=1
	v_and_b32_e32 v4, 7, v6
	s_delay_alu instid0(VALU_DEP_1) | instskip(NEXT) | instid1(VALU_DEP_1)
	v_clz_i32_u32_e32 v4, v4
	v_min_u32_e32 v4, 32, v4
	s_delay_alu instid0(VALU_DEP_1) | instskip(SKIP_1) | instid1(VALU_DEP_2)
	v_subrev_nc_u32_e32 v5, 28, v4
	v_sub_nc_u32_e32 v4, 29, v4
	v_lshlrev_b64 v[8:9], v5, v[6:7]
; %bb.2510:                             ;   in Loop: Header=BB448_2342 Depth=1
	s_or_b32 exec_lo, exec_lo, s17
	s_delay_alu instid0(VALU_DEP_1) | instskip(SKIP_2) | instid1(VALU_DEP_3)
	v_lshlrev_b32_e32 v5, 20, v8
	v_lshlrev_b32_e32 v8, 24, v6
	v_lshl_add_u32 v4, v4, 23, 0x3c000000
	v_and_b32_e32 v5, 0x700000, v5
	s_delay_alu instid0(VALU_DEP_3) | instskip(NEXT) | instid1(VALU_DEP_1)
	v_and_b32_e32 v8, 0x80000000, v8
	v_or3_b32 v4, v5, v8, v4
.LBB448_2511:                           ;   in Loop: Header=BB448_2342 Depth=1
	s_or_b32 exec_lo, exec_lo, s16
.LBB448_2512:                           ;   in Loop: Header=BB448_2342 Depth=1
	s_delay_alu instid0(SALU_CYCLE_1)
	s_or_b32 exec_lo, exec_lo, s15
.LBB448_2513:                           ;   in Loop: Header=BB448_2342 Depth=1
	s_delay_alu instid0(SALU_CYCLE_1) | instskip(NEXT) | instid1(VALU_DEP_1)
	s_or_b32 exec_lo, exec_lo, s13
	v_mul_f32_e32 v5, v118, v4
	s_delay_alu instid0(VALU_DEP_1) | instskip(NEXT) | instid1(VALU_DEP_1)
	v_and_b32_e32 v4, 0x7f800000, v5
	v_cmp_ne_u32_e64 s0, 0x7f800000, v4
                                        ; implicit-def: $vgpr4
	s_delay_alu instid0(VALU_DEP_1) | instskip(NEXT) | instid1(SALU_CYCLE_1)
	s_and_saveexec_b32 s13, s0
	s_xor_b32 s0, exec_lo, s13
; %bb.2514:                             ;   in Loop: Header=BB448_2342 Depth=1
	v_bfe_u32 v4, v5, 16, 1
	s_delay_alu instid0(VALU_DEP_1)
	v_add3_u32 v4, v5, v4, 0x7fff
                                        ; implicit-def: $vgpr5
; %bb.2515:                             ;   in Loop: Header=BB448_2342 Depth=1
	s_and_not1_saveexec_b32 s13, s0
; %bb.2516:                             ;   in Loop: Header=BB448_2342 Depth=1
	v_and_b32_e32 v4, 0xffff, v5
	v_or_b32_e32 v8, 0x10000, v5
	s_delay_alu instid0(VALU_DEP_2) | instskip(NEXT) | instid1(VALU_DEP_1)
	v_cmp_eq_u32_e64 s0, 0, v4
	v_cndmask_b32_e64 v4, v8, v5, s0
; %bb.2517:                             ;   in Loop: Header=BB448_2342 Depth=1
	s_or_b32 exec_lo, exec_lo, s13
	v_lshrrev_b16 v8, 8, v6
	v_mov_b32_e32 v5, 0
	s_mov_b32 s13, exec_lo
	s_delay_alu instid0(VALU_DEP_2)
	v_cmpx_ne_u16_e32 0, v8
	s_cbranch_execz .LBB448_2525
; %bb.2518:                             ;   in Loop: Header=BB448_2342 Depth=1
	v_bfrev_b32_e32 v5, 1
	s_mov_b32 s15, exec_lo
	v_cmpx_ne_u16_e32 0x80, v8
	s_cbranch_execz .LBB448_2524
; %bb.2519:                             ;   in Loop: Header=BB448_2342 Depth=1
	v_and_b32_e32 v9, 0xffff, v8
	v_mov_b32_e32 v5, 0x7f800001
	s_mov_b32 s16, exec_lo
	s_delay_alu instid0(VALU_DEP_2) | instskip(NEXT) | instid1(VALU_DEP_1)
	v_and_b32_e32 v8, 0x7f, v9
	v_cmpx_ne_u32_e32 0x7f, v8
	s_cbranch_execz .LBB448_2523
; %bb.2520:                             ;   in Loop: Header=BB448_2342 Depth=1
	v_and_b32_e32 v12, 7, v9
	v_lshrrev_b32_e32 v5, 3, v8
	v_cmp_gt_u32_e64 s0, 8, v8
	s_delay_alu instid0(VALU_DEP_3) | instskip(NEXT) | instid1(VALU_DEP_2)
	v_dual_mov_b32 v8, v12 :: v_dual_mov_b32 v9, v13
	s_and_saveexec_b32 s17, s0
; %bb.2521:                             ;   in Loop: Header=BB448_2342 Depth=1
	v_clz_i32_u32_e32 v5, v12
	s_delay_alu instid0(VALU_DEP_1) | instskip(NEXT) | instid1(VALU_DEP_1)
	v_min_u32_e32 v5, 32, v5
	v_subrev_nc_u32_e32 v8, 28, v5
	v_sub_nc_u32_e32 v5, 29, v5
	s_delay_alu instid0(VALU_DEP_2) | instskip(NEXT) | instid1(VALU_DEP_1)
	v_lshlrev_b64 v[8:9], v8, v[12:13]
	v_and_b32_e32 v8, 7, v8
; %bb.2522:                             ;   in Loop: Header=BB448_2342 Depth=1
	s_or_b32 exec_lo, exec_lo, s17
	v_lshlrev_b32_e32 v9, 16, v6
	s_delay_alu instid0(VALU_DEP_2) | instskip(SKIP_1) | instid1(VALU_DEP_3)
	v_lshlrev_b32_e32 v8, 20, v8
	v_lshl_add_u32 v5, v5, 23, 0x3c000000
	v_and_b32_e32 v9, 0x80000000, v9
	s_delay_alu instid0(VALU_DEP_1)
	v_or3_b32 v5, v8, v9, v5
.LBB448_2523:                           ;   in Loop: Header=BB448_2342 Depth=1
	s_or_b32 exec_lo, exec_lo, s16
.LBB448_2524:                           ;   in Loop: Header=BB448_2342 Depth=1
	s_delay_alu instid0(SALU_CYCLE_1)
	s_or_b32 exec_lo, exec_lo, s15
.LBB448_2525:                           ;   in Loop: Header=BB448_2342 Depth=1
	s_delay_alu instid0(SALU_CYCLE_1) | instskip(NEXT) | instid1(VALU_DEP_1)
	s_or_b32 exec_lo, exec_lo, s13
	v_mul_f32_e32 v8, v118, v5
	s_delay_alu instid0(VALU_DEP_1) | instskip(NEXT) | instid1(VALU_DEP_1)
	v_and_b32_e32 v5, 0x7f800000, v8
	v_cmp_ne_u32_e64 s0, 0x7f800000, v5
                                        ; implicit-def: $vgpr5
	s_delay_alu instid0(VALU_DEP_1) | instskip(NEXT) | instid1(SALU_CYCLE_1)
	s_and_saveexec_b32 s13, s0
	s_xor_b32 s0, exec_lo, s13
; %bb.2526:                             ;   in Loop: Header=BB448_2342 Depth=1
	v_bfe_u32 v5, v8, 16, 1
	s_delay_alu instid0(VALU_DEP_1)
	v_add3_u32 v5, v8, v5, 0x7fff
                                        ; implicit-def: $vgpr8
; %bb.2527:                             ;   in Loop: Header=BB448_2342 Depth=1
	s_and_not1_saveexec_b32 s13, s0
; %bb.2528:                             ;   in Loop: Header=BB448_2342 Depth=1
	v_and_b32_e32 v5, 0xffff, v8
	v_or_b32_e32 v9, 0x10000, v8
	s_delay_alu instid0(VALU_DEP_2) | instskip(NEXT) | instid1(VALU_DEP_1)
	v_cmp_eq_u32_e64 s0, 0, v5
	v_cndmask_b32_e64 v5, v9, v8, s0
; %bb.2529:                             ;   in Loop: Header=BB448_2342 Depth=1
	s_or_b32 exec_lo, exec_lo, s13
	v_lshrrev_b32_e32 v10, 16, v6
	s_mov_b32 s13, exec_lo
	s_delay_alu instid0(VALU_DEP_1) | instskip(NEXT) | instid1(VALU_DEP_1)
	v_dual_mov_b32 v8, 0 :: v_dual_and_b32 v9, 0xff, v10
	v_cmpx_ne_u16_e32 0, v9
	s_cbranch_execz .LBB448_2537
; %bb.2530:                             ;   in Loop: Header=BB448_2342 Depth=1
	v_bfrev_b32_e32 v8, 1
	s_mov_b32 s15, exec_lo
	v_cmpx_ne_u16_e32 0x80, v9
	s_cbranch_execz .LBB448_2536
; %bb.2531:                             ;   in Loop: Header=BB448_2342 Depth=1
	v_bfe_u32 v9, v6, 16, 7
	v_mov_b32_e32 v8, 0x7f800001
	s_mov_b32 s16, exec_lo
	s_delay_alu instid0(VALU_DEP_2)
	v_cmpx_ne_u32_e32 0x7f, v9
	s_cbranch_execz .LBB448_2535
; %bb.2532:                             ;   in Loop: Header=BB448_2342 Depth=1
	v_and_b32_e32 v12, 7, v10
	v_lshrrev_b32_e32 v11, 3, v9
	v_cmp_gt_u32_e64 s0, 8, v9
	s_delay_alu instid0(VALU_DEP_3) | instskip(NEXT) | instid1(VALU_DEP_2)
	v_dual_mov_b32 v8, v12 :: v_dual_mov_b32 v9, v13
	s_and_saveexec_b32 s17, s0
; %bb.2533:                             ;   in Loop: Header=BB448_2342 Depth=1
	v_clz_i32_u32_e32 v8, v12
	s_delay_alu instid0(VALU_DEP_1) | instskip(NEXT) | instid1(VALU_DEP_1)
	v_min_u32_e32 v11, 32, v8
	v_subrev_nc_u32_e32 v8, 28, v11
	v_sub_nc_u32_e32 v11, 29, v11
	s_delay_alu instid0(VALU_DEP_2) | instskip(NEXT) | instid1(VALU_DEP_1)
	v_lshlrev_b64 v[8:9], v8, v[12:13]
	v_and_b32_e32 v8, 7, v8
; %bb.2534:                             ;   in Loop: Header=BB448_2342 Depth=1
	s_or_b32 exec_lo, exec_lo, s17
	v_lshlrev_b32_e32 v9, 24, v10
	s_delay_alu instid0(VALU_DEP_2) | instskip(SKIP_1) | instid1(VALU_DEP_3)
	v_lshlrev_b32_e32 v8, 20, v8
	v_lshl_add_u32 v10, v11, 23, 0x3c000000
	v_and_b32_e32 v9, 0x80000000, v9
	s_delay_alu instid0(VALU_DEP_1)
	v_or3_b32 v8, v8, v9, v10
.LBB448_2535:                           ;   in Loop: Header=BB448_2342 Depth=1
	s_or_b32 exec_lo, exec_lo, s16
.LBB448_2536:                           ;   in Loop: Header=BB448_2342 Depth=1
	s_delay_alu instid0(SALU_CYCLE_1)
	s_or_b32 exec_lo, exec_lo, s15
.LBB448_2537:                           ;   in Loop: Header=BB448_2342 Depth=1
	s_delay_alu instid0(SALU_CYCLE_1) | instskip(NEXT) | instid1(VALU_DEP_1)
	s_or_b32 exec_lo, exec_lo, s13
	v_mul_f32_e32 v8, v118, v8
                                        ; implicit-def: $vgpr10
	s_delay_alu instid0(VALU_DEP_1) | instskip(NEXT) | instid1(VALU_DEP_1)
	v_and_b32_e32 v9, 0x7f800000, v8
	v_cmp_ne_u32_e64 s0, 0x7f800000, v9
	s_delay_alu instid0(VALU_DEP_1) | instskip(NEXT) | instid1(SALU_CYCLE_1)
	s_and_saveexec_b32 s13, s0
	s_xor_b32 s0, exec_lo, s13
; %bb.2538:                             ;   in Loop: Header=BB448_2342 Depth=1
	v_bfe_u32 v9, v8, 16, 1
	s_delay_alu instid0(VALU_DEP_1)
	v_add3_u32 v10, v8, v9, 0x7fff
                                        ; implicit-def: $vgpr8
; %bb.2539:                             ;   in Loop: Header=BB448_2342 Depth=1
	s_and_not1_saveexec_b32 s13, s0
; %bb.2540:                             ;   in Loop: Header=BB448_2342 Depth=1
	v_and_b32_e32 v9, 0xffff, v8
	v_or_b32_e32 v10, 0x10000, v8
	s_delay_alu instid0(VALU_DEP_2) | instskip(NEXT) | instid1(VALU_DEP_1)
	v_cmp_eq_u32_e64 s0, 0, v9
	v_cndmask_b32_e64 v10, v10, v8, s0
; %bb.2541:                             ;   in Loop: Header=BB448_2342 Depth=1
	s_or_b32 exec_lo, exec_lo, s13
	v_mov_b32_e32 v8, 0
	s_mov_b32 s13, exec_lo
	v_cmpx_lt_u32_e32 0xffffff, v6
	s_cbranch_execz .LBB448_2549
; %bb.2542:                             ;   in Loop: Header=BB448_2342 Depth=1
	v_lshrrev_b32_e32 v11, 24, v6
	v_bfrev_b32_e32 v8, 1
	s_mov_b32 s15, exec_lo
	s_delay_alu instid0(VALU_DEP_2)
	v_cmpx_ne_u32_e32 0x80, v11
	s_cbranch_execz .LBB448_2548
; %bb.2543:                             ;   in Loop: Header=BB448_2342 Depth=1
	v_bfe_u32 v9, v6, 24, 7
	v_mov_b32_e32 v8, 0x7f800001
	s_mov_b32 s16, exec_lo
	s_delay_alu instid0(VALU_DEP_2)
	v_cmpx_ne_u32_e32 0x7f, v9
	s_cbranch_execz .LBB448_2547
; %bb.2544:                             ;   in Loop: Header=BB448_2342 Depth=1
	v_and_b32_e32 v12, 7, v11
	v_lshrrev_b32_e32 v14, 3, v9
	v_cmp_gt_u32_e64 s0, 8, v9
	s_delay_alu instid0(VALU_DEP_3) | instskip(NEXT) | instid1(VALU_DEP_2)
	v_dual_mov_b32 v8, v12 :: v_dual_mov_b32 v9, v13
	s_and_saveexec_b32 s17, s0
; %bb.2545:                             ;   in Loop: Header=BB448_2342 Depth=1
	v_clz_i32_u32_e32 v8, v12
	s_delay_alu instid0(VALU_DEP_1) | instskip(NEXT) | instid1(VALU_DEP_1)
	v_min_u32_e32 v14, 32, v8
	v_subrev_nc_u32_e32 v8, 28, v14
	v_sub_nc_u32_e32 v14, 29, v14
	s_delay_alu instid0(VALU_DEP_2) | instskip(NEXT) | instid1(VALU_DEP_1)
	v_lshlrev_b64 v[8:9], v8, v[12:13]
	v_and_b32_e32 v8, 7, v8
; %bb.2546:                             ;   in Loop: Header=BB448_2342 Depth=1
	s_or_b32 exec_lo, exec_lo, s17
	v_lshlrev_b32_e32 v9, 24, v11
	s_delay_alu instid0(VALU_DEP_2) | instskip(SKIP_1) | instid1(VALU_DEP_3)
	v_lshlrev_b32_e32 v8, 20, v8
	v_lshl_add_u32 v11, v14, 23, 0x3c000000
	v_and_b32_e32 v9, 0x80000000, v9
	s_delay_alu instid0(VALU_DEP_1)
	v_or3_b32 v8, v8, v9, v11
.LBB448_2547:                           ;   in Loop: Header=BB448_2342 Depth=1
	s_or_b32 exec_lo, exec_lo, s16
.LBB448_2548:                           ;   in Loop: Header=BB448_2342 Depth=1
	s_delay_alu instid0(SALU_CYCLE_1)
	s_or_b32 exec_lo, exec_lo, s15
.LBB448_2549:                           ;   in Loop: Header=BB448_2342 Depth=1
	s_delay_alu instid0(SALU_CYCLE_1) | instskip(NEXT) | instid1(VALU_DEP_1)
	s_or_b32 exec_lo, exec_lo, s13
	v_mul_f32_e32 v8, v118, v8
                                        ; implicit-def: $vgpr11
	s_delay_alu instid0(VALU_DEP_1) | instskip(NEXT) | instid1(VALU_DEP_1)
	v_and_b32_e32 v9, 0x7f800000, v8
	v_cmp_ne_u32_e64 s0, 0x7f800000, v9
	s_delay_alu instid0(VALU_DEP_1) | instskip(NEXT) | instid1(SALU_CYCLE_1)
	s_and_saveexec_b32 s13, s0
	s_xor_b32 s0, exec_lo, s13
; %bb.2550:                             ;   in Loop: Header=BB448_2342 Depth=1
	v_bfe_u32 v9, v8, 16, 1
	s_delay_alu instid0(VALU_DEP_1)
	v_add3_u32 v11, v8, v9, 0x7fff
                                        ; implicit-def: $vgpr8
; %bb.2551:                             ;   in Loop: Header=BB448_2342 Depth=1
	s_and_not1_saveexec_b32 s13, s0
; %bb.2552:                             ;   in Loop: Header=BB448_2342 Depth=1
	v_and_b32_e32 v9, 0xffff, v8
	v_or_b32_e32 v11, 0x10000, v8
	s_delay_alu instid0(VALU_DEP_2) | instskip(NEXT) | instid1(VALU_DEP_1)
	v_cmp_eq_u32_e64 s0, 0, v9
	v_cndmask_b32_e64 v11, v11, v8, s0
; %bb.2553:                             ;   in Loop: Header=BB448_2342 Depth=1
	s_or_b32 exec_lo, exec_lo, s13
	v_dual_mov_b32 v12, v7 :: v_dual_and_b32 v9, 0xff, v7
	v_mov_b32_e32 v8, 0
	s_mov_b32 s13, exec_lo
	s_delay_alu instid0(VALU_DEP_2)
	v_cmpx_ne_u16_e32 0, v9
	s_cbranch_execz .LBB448_2561
; %bb.2554:                             ;   in Loop: Header=BB448_2342 Depth=1
	v_bfrev_b32_e32 v8, 1
	s_mov_b32 s15, exec_lo
	v_cmpx_ne_u16_e32 0x80, v9
	s_cbranch_execz .LBB448_2560
; %bb.2555:                             ;   in Loop: Header=BB448_2342 Depth=1
	v_and_b32_e32 v9, 0x7f, v7
	v_mov_b32_e32 v8, 0x7f800001
	s_mov_b32 s16, exec_lo
	s_delay_alu instid0(VALU_DEP_2)
	v_cmpx_ne_u32_e32 0x7f, v9
	s_cbranch_execz .LBB448_2559
; %bb.2556:                             ;   in Loop: Header=BB448_2342 Depth=1
	v_lshrrev_b32_e32 v14, 3, v9
	v_cmp_gt_u32_e64 s0, 8, v9
	v_dual_mov_b32 v8, v12 :: v_dual_mov_b32 v9, v13
	s_delay_alu instid0(VALU_DEP_2)
	s_and_saveexec_b32 s17, s0
; %bb.2557:                             ;   in Loop: Header=BB448_2342 Depth=1
	v_and_b32_e32 v8, 7, v7
	s_delay_alu instid0(VALU_DEP_1) | instskip(NEXT) | instid1(VALU_DEP_1)
	v_clz_i32_u32_e32 v8, v8
	v_min_u32_e32 v14, 32, v8
	s_delay_alu instid0(VALU_DEP_1) | instskip(SKIP_1) | instid1(VALU_DEP_2)
	v_subrev_nc_u32_e32 v8, 28, v14
	v_sub_nc_u32_e32 v14, 29, v14
	v_lshlrev_b64 v[8:9], v8, v[12:13]
; %bb.2558:                             ;   in Loop: Header=BB448_2342 Depth=1
	s_or_b32 exec_lo, exec_lo, s17
	s_delay_alu instid0(VALU_DEP_1) | instskip(SKIP_2) | instid1(VALU_DEP_3)
	v_lshlrev_b32_e32 v8, 20, v8
	v_lshlrev_b32_e32 v9, 24, v12
	v_lshl_add_u32 v14, v14, 23, 0x3c000000
	v_and_b32_e32 v8, 0x700000, v8
	s_delay_alu instid0(VALU_DEP_3) | instskip(NEXT) | instid1(VALU_DEP_1)
	v_and_b32_e32 v9, 0x80000000, v9
	v_or3_b32 v8, v8, v9, v14
.LBB448_2559:                           ;   in Loop: Header=BB448_2342 Depth=1
	s_or_b32 exec_lo, exec_lo, s16
.LBB448_2560:                           ;   in Loop: Header=BB448_2342 Depth=1
	s_delay_alu instid0(SALU_CYCLE_1)
	s_or_b32 exec_lo, exec_lo, s15
.LBB448_2561:                           ;   in Loop: Header=BB448_2342 Depth=1
	s_delay_alu instid0(SALU_CYCLE_1) | instskip(NEXT) | instid1(VALU_DEP_1)
	s_or_b32 exec_lo, exec_lo, s13
	v_mul_f32_e32 v8, v118, v8
                                        ; implicit-def: $vgpr14
	s_delay_alu instid0(VALU_DEP_1) | instskip(NEXT) | instid1(VALU_DEP_1)
	v_and_b32_e32 v9, 0x7f800000, v8
	v_cmp_ne_u32_e64 s0, 0x7f800000, v9
	s_delay_alu instid0(VALU_DEP_1) | instskip(NEXT) | instid1(SALU_CYCLE_1)
	s_and_saveexec_b32 s13, s0
	s_xor_b32 s0, exec_lo, s13
; %bb.2562:                             ;   in Loop: Header=BB448_2342 Depth=1
	v_bfe_u32 v9, v8, 16, 1
	s_delay_alu instid0(VALU_DEP_1)
	v_add3_u32 v14, v8, v9, 0x7fff
                                        ; implicit-def: $vgpr8
; %bb.2563:                             ;   in Loop: Header=BB448_2342 Depth=1
	s_and_not1_saveexec_b32 s13, s0
; %bb.2564:                             ;   in Loop: Header=BB448_2342 Depth=1
	v_and_b32_e32 v9, 0xffff, v8
	v_or_b32_e32 v14, 0x10000, v8
	s_delay_alu instid0(VALU_DEP_2) | instskip(NEXT) | instid1(VALU_DEP_1)
	v_cmp_eq_u32_e64 s0, 0, v9
	v_cndmask_b32_e64 v14, v14, v8, s0
; %bb.2565:                             ;   in Loop: Header=BB448_2342 Depth=1
	s_or_b32 exec_lo, exec_lo, s13
	v_lshrrev_b16 v9, 8, v12
	v_mov_b32_e32 v8, 0
	s_mov_b32 s13, exec_lo
	s_delay_alu instid0(VALU_DEP_2)
	v_cmpx_ne_u16_e32 0, v9
	s_cbranch_execz .LBB448_2573
; %bb.2566:                             ;   in Loop: Header=BB448_2342 Depth=1
	v_bfrev_b32_e32 v8, 1
	s_mov_b32 s15, exec_lo
	v_cmpx_ne_u16_e32 0x80, v9
	s_cbranch_execz .LBB448_2572
; %bb.2567:                             ;   in Loop: Header=BB448_2342 Depth=1
	v_and_b32_e32 v9, 0xffff, v9
	v_mov_b32_e32 v8, 0x7f800001
	s_mov_b32 s16, exec_lo
	s_delay_alu instid0(VALU_DEP_2) | instskip(NEXT) | instid1(VALU_DEP_1)
	v_and_b32_e32 v16, 0x7f, v9
	v_cmpx_ne_u32_e32 0x7f, v16
	s_cbranch_execz .LBB448_2571
; %bb.2568:                             ;   in Loop: Header=BB448_2342 Depth=1
	v_dual_mov_b32 v9, v13 :: v_dual_and_b32 v8, 7, v9
	v_lshrrev_b32_e32 v15, 3, v16
	s_mov_b32 s17, exec_lo
	v_cmpx_gt_u32_e32 8, v16
; %bb.2569:                             ;   in Loop: Header=BB448_2342 Depth=1
	s_delay_alu instid0(VALU_DEP_3) | instskip(NEXT) | instid1(VALU_DEP_1)
	v_clz_i32_u32_e32 v15, v8
	v_min_u32_e32 v15, 32, v15
	s_delay_alu instid0(VALU_DEP_1) | instskip(SKIP_1) | instid1(VALU_DEP_2)
	v_subrev_nc_u32_e32 v16, 28, v15
	v_sub_nc_u32_e32 v15, 29, v15
	v_lshlrev_b64 v[8:9], v16, v[8:9]
	s_delay_alu instid0(VALU_DEP_1)
	v_and_b32_e32 v8, 7, v8
; %bb.2570:                             ;   in Loop: Header=BB448_2342 Depth=1
	s_or_b32 exec_lo, exec_lo, s17
	v_lshlrev_b32_e32 v9, 16, v12
	s_delay_alu instid0(VALU_DEP_2) | instskip(SKIP_1) | instid1(VALU_DEP_3)
	v_lshlrev_b32_e32 v8, 20, v8
	v_lshl_add_u32 v12, v15, 23, 0x3c000000
	v_and_b32_e32 v9, 0x80000000, v9
	s_delay_alu instid0(VALU_DEP_1)
	v_or3_b32 v8, v8, v9, v12
.LBB448_2571:                           ;   in Loop: Header=BB448_2342 Depth=1
	s_or_b32 exec_lo, exec_lo, s16
.LBB448_2572:                           ;   in Loop: Header=BB448_2342 Depth=1
	s_delay_alu instid0(SALU_CYCLE_1)
	s_or_b32 exec_lo, exec_lo, s15
.LBB448_2573:                           ;   in Loop: Header=BB448_2342 Depth=1
	s_delay_alu instid0(SALU_CYCLE_1) | instskip(NEXT) | instid1(VALU_DEP_1)
	s_or_b32 exec_lo, exec_lo, s13
	v_mul_f32_e32 v8, v118, v8
                                        ; implicit-def: $vgpr15
	s_delay_alu instid0(VALU_DEP_1) | instskip(NEXT) | instid1(VALU_DEP_1)
	v_and_b32_e32 v9, 0x7f800000, v8
	v_cmp_ne_u32_e64 s0, 0x7f800000, v9
	s_delay_alu instid0(VALU_DEP_1) | instskip(NEXT) | instid1(SALU_CYCLE_1)
	s_and_saveexec_b32 s13, s0
	s_xor_b32 s0, exec_lo, s13
; %bb.2574:                             ;   in Loop: Header=BB448_2342 Depth=1
	v_bfe_u32 v9, v8, 16, 1
	s_delay_alu instid0(VALU_DEP_1)
	v_add3_u32 v15, v8, v9, 0x7fff
                                        ; implicit-def: $vgpr8
; %bb.2575:                             ;   in Loop: Header=BB448_2342 Depth=1
	s_and_not1_saveexec_b32 s13, s0
; %bb.2576:                             ;   in Loop: Header=BB448_2342 Depth=1
	v_and_b32_e32 v9, 0xffff, v8
	v_or_b32_e32 v12, 0x10000, v8
	s_delay_alu instid0(VALU_DEP_2) | instskip(NEXT) | instid1(VALU_DEP_1)
	v_cmp_eq_u32_e64 s0, 0, v9
	v_cndmask_b32_e64 v15, v12, v8, s0
; %bb.2577:                             ;   in Loop: Header=BB448_2342 Depth=1
	s_or_b32 exec_lo, exec_lo, s13
	v_lshrrev_b32_e32 v16, 16, v7
	s_mov_b32 s13, exec_lo
	s_delay_alu instid0(VALU_DEP_1) | instskip(NEXT) | instid1(VALU_DEP_1)
	v_dual_mov_b32 v8, 0 :: v_dual_and_b32 v9, 0xff, v16
	v_cmpx_ne_u16_e32 0, v9
	s_cbranch_execz .LBB448_2585
; %bb.2578:                             ;   in Loop: Header=BB448_2342 Depth=1
	v_bfrev_b32_e32 v8, 1
	s_mov_b32 s15, exec_lo
	v_cmpx_ne_u16_e32 0x80, v9
	s_cbranch_execz .LBB448_2584
; %bb.2579:                             ;   in Loop: Header=BB448_2342 Depth=1
	v_bfe_u32 v9, v7, 16, 7
	v_mov_b32_e32 v8, 0x7f800001
	s_mov_b32 s16, exec_lo
	s_delay_alu instid0(VALU_DEP_2)
	v_cmpx_ne_u32_e32 0x7f, v9
	s_cbranch_execz .LBB448_2583
; %bb.2580:                             ;   in Loop: Header=BB448_2342 Depth=1
	v_and_b32_e32 v12, 7, v16
	v_lshrrev_b32_e32 v18, 3, v9
	v_cmp_gt_u32_e64 s0, 8, v9
	s_delay_alu instid0(VALU_DEP_3) | instskip(NEXT) | instid1(VALU_DEP_2)
	v_dual_mov_b32 v8, v12 :: v_dual_mov_b32 v9, v13
	s_and_saveexec_b32 s17, s0
; %bb.2581:                             ;   in Loop: Header=BB448_2342 Depth=1
	v_clz_i32_u32_e32 v8, v12
	s_delay_alu instid0(VALU_DEP_1) | instskip(NEXT) | instid1(VALU_DEP_1)
	v_min_u32_e32 v18, 32, v8
	v_subrev_nc_u32_e32 v8, 28, v18
	v_sub_nc_u32_e32 v18, 29, v18
	s_delay_alu instid0(VALU_DEP_2) | instskip(NEXT) | instid1(VALU_DEP_1)
	v_lshlrev_b64 v[8:9], v8, v[12:13]
	v_and_b32_e32 v8, 7, v8
; %bb.2582:                             ;   in Loop: Header=BB448_2342 Depth=1
	s_or_b32 exec_lo, exec_lo, s17
	v_lshlrev_b32_e32 v9, 24, v16
	s_delay_alu instid0(VALU_DEP_2) | instskip(SKIP_1) | instid1(VALU_DEP_3)
	v_lshlrev_b32_e32 v8, 20, v8
	v_lshl_add_u32 v12, v18, 23, 0x3c000000
	v_and_b32_e32 v9, 0x80000000, v9
	s_delay_alu instid0(VALU_DEP_1)
	v_or3_b32 v8, v8, v9, v12
.LBB448_2583:                           ;   in Loop: Header=BB448_2342 Depth=1
	s_or_b32 exec_lo, exec_lo, s16
.LBB448_2584:                           ;   in Loop: Header=BB448_2342 Depth=1
	s_delay_alu instid0(SALU_CYCLE_1)
	s_or_b32 exec_lo, exec_lo, s15
.LBB448_2585:                           ;   in Loop: Header=BB448_2342 Depth=1
	s_delay_alu instid0(SALU_CYCLE_1) | instskip(NEXT) | instid1(VALU_DEP_1)
	s_or_b32 exec_lo, exec_lo, s13
	v_mul_f32_e32 v8, v118, v8
	s_delay_alu instid0(VALU_DEP_1) | instskip(NEXT) | instid1(VALU_DEP_1)
	v_and_b32_e32 v9, 0x7f800000, v8
	v_cmp_ne_u32_e64 s0, 0x7f800000, v9
                                        ; implicit-def: $vgpr9
	s_delay_alu instid0(VALU_DEP_1) | instskip(NEXT) | instid1(SALU_CYCLE_1)
	s_and_saveexec_b32 s13, s0
	s_xor_b32 s0, exec_lo, s13
; %bb.2586:                             ;   in Loop: Header=BB448_2342 Depth=1
	v_bfe_u32 v9, v8, 16, 1
	s_delay_alu instid0(VALU_DEP_1)
	v_add3_u32 v9, v8, v9, 0x7fff
                                        ; implicit-def: $vgpr8
; %bb.2587:                             ;   in Loop: Header=BB448_2342 Depth=1
	s_and_not1_saveexec_b32 s13, s0
; %bb.2588:                             ;   in Loop: Header=BB448_2342 Depth=1
	v_and_b32_e32 v9, 0xffff, v8
	v_or_b32_e32 v12, 0x10000, v8
	s_delay_alu instid0(VALU_DEP_2) | instskip(NEXT) | instid1(VALU_DEP_1)
	v_cmp_eq_u32_e64 s0, 0, v9
	v_cndmask_b32_e64 v9, v12, v8, s0
; %bb.2589:                             ;   in Loop: Header=BB448_2342 Depth=1
	s_or_b32 exec_lo, exec_lo, s13
	v_cmp_lt_u64_e64 s0, s[8:9], v[6:7]
	v_mov_b32_e32 v6, 0
	s_delay_alu instid0(VALU_DEP_2)
	s_and_saveexec_b32 s13, s0
	s_cbranch_execz .LBB448_2597
; %bb.2590:                             ;   in Loop: Header=BB448_2342 Depth=1
	v_lshrrev_b32_e32 v8, 24, v7
	v_bfrev_b32_e32 v6, 1
	s_mov_b32 s15, exec_lo
	s_delay_alu instid0(VALU_DEP_2)
	v_cmpx_ne_u32_e32 0x80, v8
	s_cbranch_execz .LBB448_2596
; %bb.2591:                             ;   in Loop: Header=BB448_2342 Depth=1
	v_bfe_u32 v7, v7, 24, 7
	v_mov_b32_e32 v6, 0x7f800001
	s_mov_b32 s16, exec_lo
	s_delay_alu instid0(VALU_DEP_2)
	v_cmpx_ne_u32_e32 0x7f, v7
	s_cbranch_execz .LBB448_2595
; %bb.2592:                             ;   in Loop: Header=BB448_2342 Depth=1
	v_and_b32_e32 v12, 7, v8
	v_lshrrev_b32_e32 v16, 3, v7
	v_cmp_gt_u32_e64 s0, 8, v7
	s_delay_alu instid0(VALU_DEP_3) | instskip(NEXT) | instid1(VALU_DEP_2)
	v_dual_mov_b32 v6, v12 :: v_dual_mov_b32 v7, v13
	s_and_saveexec_b32 s17, s0
; %bb.2593:                             ;   in Loop: Header=BB448_2342 Depth=1
	v_clz_i32_u32_e32 v6, v12
	s_delay_alu instid0(VALU_DEP_1) | instskip(NEXT) | instid1(VALU_DEP_1)
	v_min_u32_e32 v16, 32, v6
	v_subrev_nc_u32_e32 v6, 28, v16
	v_sub_nc_u32_e32 v16, 29, v16
	s_delay_alu instid0(VALU_DEP_2) | instskip(NEXT) | instid1(VALU_DEP_1)
	v_lshlrev_b64 v[6:7], v6, v[12:13]
	v_and_b32_e32 v6, 7, v6
; %bb.2594:                             ;   in Loop: Header=BB448_2342 Depth=1
	s_or_b32 exec_lo, exec_lo, s17
	v_lshlrev_b32_e32 v7, 24, v8
	s_delay_alu instid0(VALU_DEP_2) | instskip(SKIP_1) | instid1(VALU_DEP_3)
	v_lshlrev_b32_e32 v6, 20, v6
	v_lshl_add_u32 v8, v16, 23, 0x3c000000
	v_and_b32_e32 v7, 0x80000000, v7
	s_delay_alu instid0(VALU_DEP_1)
	v_or3_b32 v6, v6, v7, v8
.LBB448_2595:                           ;   in Loop: Header=BB448_2342 Depth=1
	s_or_b32 exec_lo, exec_lo, s16
.LBB448_2596:                           ;   in Loop: Header=BB448_2342 Depth=1
	s_delay_alu instid0(SALU_CYCLE_1)
	s_or_b32 exec_lo, exec_lo, s15
.LBB448_2597:                           ;   in Loop: Header=BB448_2342 Depth=1
	s_delay_alu instid0(SALU_CYCLE_1) | instskip(NEXT) | instid1(VALU_DEP_1)
	s_or_b32 exec_lo, exec_lo, s13
	v_mul_f32_e32 v6, v118, v6
                                        ; implicit-def: $vgpr16
	s_delay_alu instid0(VALU_DEP_1) | instskip(NEXT) | instid1(VALU_DEP_1)
	v_and_b32_e32 v7, 0x7f800000, v6
	v_cmp_ne_u32_e64 s0, 0x7f800000, v7
	s_delay_alu instid0(VALU_DEP_1) | instskip(NEXT) | instid1(SALU_CYCLE_1)
	s_and_saveexec_b32 s13, s0
	s_xor_b32 s0, exec_lo, s13
; %bb.2598:                             ;   in Loop: Header=BB448_2342 Depth=1
	v_bfe_u32 v7, v6, 16, 1
	s_delay_alu instid0(VALU_DEP_1)
	v_add3_u32 v16, v6, v7, 0x7fff
                                        ; implicit-def: $vgpr6
; %bb.2599:                             ;   in Loop: Header=BB448_2342 Depth=1
	s_and_not1_saveexec_b32 s13, s0
; %bb.2600:                             ;   in Loop: Header=BB448_2342 Depth=1
	v_and_b32_e32 v7, 0xffff, v6
	v_or_b32_e32 v8, 0x10000, v6
	s_delay_alu instid0(VALU_DEP_2) | instskip(NEXT) | instid1(VALU_DEP_1)
	v_cmp_eq_u32_e64 s0, 0, v7
	v_cndmask_b32_e64 v16, v8, v6, s0
; %bb.2601:                             ;   in Loop: Header=BB448_2342 Depth=1
	s_or_b32 exec_lo, exec_lo, s13
	v_lshrrev_b32_e32 v6, 16, v15
	v_lshrrev_b32_e32 v7, 16, v14
	;; [unrolled: 1-line block ×8, first 2 shown]
	s_and_saveexec_b32 s13, vcc_lo
	s_cbranch_execz .LBB448_2603
; %bb.2602:                             ;   in Loop: Header=BB448_2342 Depth=1
	v_cmp_lt_i32_e64 s0, v102, v36
	s_delay_alu instid0(VALU_DEP_1) | instskip(SKIP_1) | instid1(VALU_DEP_1)
	v_cndmask_b32_e64 v12, 0, v12, s0
	v_cmp_lt_i32_e64 s0, v133, v36
	v_cndmask_b32_e64 v11, 0, v11, s0
	v_cmp_lt_i32_e64 s0, v132, v36
	s_delay_alu instid0(VALU_DEP_1) | instskip(SKIP_1) | instid1(VALU_DEP_1)
	v_cndmask_b32_e64 v10, 0, v10, s0
	v_cmp_lt_i32_e64 s0, v131, v36
	v_cndmask_b32_e64 v8, 0, v8, s0
	;; [unrolled: 5-line block ×4, first 2 shown]
.LBB448_2603:                           ;   in Loop: Header=BB448_2342 Depth=1
	s_or_b32 exec_lo, exec_lo, s13
	v_lshlrev_b32_e32 v9, 16, v12
	s_delay_alu instid0(VALU_DEP_1) | instskip(NEXT) | instid1(VALU_DEP_1)
	v_mul_f32_e32 v9, v134, v9
	v_and_b32_e32 v12, 0x7f800000, v9
	s_delay_alu instid0(VALU_DEP_1) | instskip(NEXT) | instid1(VALU_DEP_1)
	v_cmp_ne_u32_e64 s0, 0x7f800000, v12
                                        ; implicit-def: $vgpr12
                                        ; kill: killed $vgpr12
	s_and_saveexec_b32 s13, s0
	s_delay_alu instid0(SALU_CYCLE_1)
	s_xor_b32 s0, exec_lo, s13
	s_cbranch_execz .LBB448_2605
; %bb.2604:                             ;   in Loop: Header=BB448_2342 Depth=1
	v_bfe_u32 v12, v9, 16, 1
	s_delay_alu instid0(VALU_DEP_1)
	v_add3_u32 v9, v9, v12, 0x7fff
	scratch_store_b32 off, v9, s32 offset:472 ; 4-byte Folded Spill
                                        ; implicit-def: $vgpr9
.LBB448_2605:                           ;   in Loop: Header=BB448_2342 Depth=1
	s_and_not1_saveexec_b32 s13, s0
	s_cbranch_execz .LBB448_2607
; %bb.2606:                             ;   in Loop: Header=BB448_2342 Depth=1
	v_and_b32_e32 v12, 0xffff, v9
	v_or_b32_e32 v14, 0x10000, v9
	s_delay_alu instid0(VALU_DEP_2) | instskip(NEXT) | instid1(VALU_DEP_1)
	v_cmp_eq_u32_e64 s0, 0, v12
	v_cndmask_b32_e64 v9, v14, v9, s0
	scratch_store_b32 off, v9, s32 offset:472 ; 4-byte Folded Spill
.LBB448_2607:                           ;   in Loop: Header=BB448_2342 Depth=1
	s_or_b32 exec_lo, exec_lo, s13
	v_lshlrev_b32_e32 v9, 16, v11
	s_delay_alu instid0(VALU_DEP_1) | instskip(NEXT) | instid1(VALU_DEP_1)
	v_mul_f32_e32 v9, v135, v9
	v_and_b32_e32 v11, 0x7f800000, v9
	s_delay_alu instid0(VALU_DEP_1) | instskip(NEXT) | instid1(VALU_DEP_1)
	v_cmp_ne_u32_e64 s0, 0x7f800000, v11
                                        ; implicit-def: $vgpr11
                                        ; kill: killed $vgpr11
	s_and_saveexec_b32 s13, s0
	s_delay_alu instid0(SALU_CYCLE_1)
	s_xor_b32 s0, exec_lo, s13
	s_cbranch_execz .LBB448_2609
; %bb.2608:                             ;   in Loop: Header=BB448_2342 Depth=1
	v_bfe_u32 v11, v9, 16, 1
	s_delay_alu instid0(VALU_DEP_1)
	v_add3_u32 v9, v9, v11, 0x7fff
	scratch_store_b32 off, v9, s32 offset:476 ; 4-byte Folded Spill
                                        ; implicit-def: $vgpr9
.LBB448_2609:                           ;   in Loop: Header=BB448_2342 Depth=1
	s_and_not1_saveexec_b32 s13, s0
	s_cbranch_execz .LBB448_2611
; %bb.2610:                             ;   in Loop: Header=BB448_2342 Depth=1
	v_and_b32_e32 v11, 0xffff, v9
	v_or_b32_e32 v12, 0x10000, v9
	s_delay_alu instid0(VALU_DEP_2) | instskip(NEXT) | instid1(VALU_DEP_1)
	v_cmp_eq_u32_e64 s0, 0, v11
	v_cndmask_b32_e64 v9, v12, v9, s0
	scratch_store_b32 off, v9, s32 offset:476 ; 4-byte Folded Spill
.LBB448_2611:                           ;   in Loop: Header=BB448_2342 Depth=1
	s_or_b32 exec_lo, exec_lo, s13
	v_lshlrev_b32_e32 v9, 16, v10
	s_delay_alu instid0(VALU_DEP_1) | instskip(NEXT) | instid1(VALU_DEP_1)
	v_mul_f32_e32 v9, v144, v9
	v_and_b32_e32 v10, 0x7f800000, v9
	s_delay_alu instid0(VALU_DEP_1) | instskip(NEXT) | instid1(VALU_DEP_1)
	v_cmp_ne_u32_e64 s0, 0x7f800000, v10
                                        ; implicit-def: $vgpr10
                                        ; kill: killed $vgpr10
	s_and_saveexec_b32 s13, s0
	s_delay_alu instid0(SALU_CYCLE_1)
	s_xor_b32 s0, exec_lo, s13
	s_cbranch_execz .LBB448_2613
; %bb.2612:                             ;   in Loop: Header=BB448_2342 Depth=1
	v_bfe_u32 v10, v9, 16, 1
	s_delay_alu instid0(VALU_DEP_1)
	v_add3_u32 v9, v9, v10, 0x7fff
	scratch_store_b32 off, v9, s32 offset:480 ; 4-byte Folded Spill
                                        ; implicit-def: $vgpr9
.LBB448_2613:                           ;   in Loop: Header=BB448_2342 Depth=1
	s_and_not1_saveexec_b32 s13, s0
	s_cbranch_execz .LBB448_2615
; %bb.2614:                             ;   in Loop: Header=BB448_2342 Depth=1
	v_and_b32_e32 v10, 0xffff, v9
	v_or_b32_e32 v11, 0x10000, v9
	s_delay_alu instid0(VALU_DEP_2) | instskip(NEXT) | instid1(VALU_DEP_1)
	v_cmp_eq_u32_e64 s0, 0, v10
	v_cndmask_b32_e64 v9, v11, v9, s0
	scratch_store_b32 off, v9, s32 offset:480 ; 4-byte Folded Spill
.LBB448_2615:                           ;   in Loop: Header=BB448_2342 Depth=1
	s_or_b32 exec_lo, exec_lo, s13
	v_lshlrev_b32_e32 v8, 16, v8
	s_delay_alu instid0(VALU_DEP_1) | instskip(NEXT) | instid1(VALU_DEP_1)
	v_mul_f32_e32 v8, v145, v8
	v_and_b32_e32 v9, 0x7f800000, v8
	s_delay_alu instid0(VALU_DEP_1) | instskip(NEXT) | instid1(VALU_DEP_1)
	v_cmp_ne_u32_e64 s0, 0x7f800000, v9
                                        ; implicit-def: $vgpr9
                                        ; kill: killed $vgpr9
	s_and_saveexec_b32 s13, s0
	s_delay_alu instid0(SALU_CYCLE_1)
	s_xor_b32 s0, exec_lo, s13
	s_cbranch_execz .LBB448_2617
; %bb.2616:                             ;   in Loop: Header=BB448_2342 Depth=1
	v_bfe_u32 v9, v8, 16, 1
	s_delay_alu instid0(VALU_DEP_1)
	v_add3_u32 v8, v8, v9, 0x7fff
	scratch_store_b32 off, v8, s32 offset:484 ; 4-byte Folded Spill
                                        ; implicit-def: $vgpr8
.LBB448_2617:                           ;   in Loop: Header=BB448_2342 Depth=1
	s_and_not1_saveexec_b32 s13, s0
	s_cbranch_execz .LBB448_2619
; %bb.2618:                             ;   in Loop: Header=BB448_2342 Depth=1
	v_and_b32_e32 v9, 0xffff, v8
	v_or_b32_e32 v10, 0x10000, v8
	s_delay_alu instid0(VALU_DEP_2) | instskip(NEXT) | instid1(VALU_DEP_1)
	v_cmp_eq_u32_e64 s0, 0, v9
	v_cndmask_b32_e64 v8, v10, v8, s0
	scratch_store_b32 off, v8, s32 offset:484 ; 4-byte Folded Spill
.LBB448_2619:                           ;   in Loop: Header=BB448_2342 Depth=1
	s_or_b32 exec_lo, exec_lo, s13
	v_lshlrev_b32_e32 v7, 16, v7
	s_delay_alu instid0(VALU_DEP_1) | instskip(NEXT) | instid1(VALU_DEP_1)
	v_mul_f32_e32 v7, v146, v7
	v_and_b32_e32 v8, 0x7f800000, v7
	s_delay_alu instid0(VALU_DEP_1) | instskip(NEXT) | instid1(VALU_DEP_1)
	v_cmp_ne_u32_e64 s0, 0x7f800000, v8
                                        ; implicit-def: $vgpr8
                                        ; kill: killed $vgpr8
	s_and_saveexec_b32 s13, s0
	s_delay_alu instid0(SALU_CYCLE_1)
	s_xor_b32 s0, exec_lo, s13
	s_cbranch_execz .LBB448_2621
; %bb.2620:                             ;   in Loop: Header=BB448_2342 Depth=1
	v_bfe_u32 v8, v7, 16, 1
	s_delay_alu instid0(VALU_DEP_1)
	v_add3_u32 v7, v7, v8, 0x7fff
	scratch_store_b32 off, v7, s32 offset:488 ; 4-byte Folded Spill
                                        ; implicit-def: $vgpr7
.LBB448_2621:                           ;   in Loop: Header=BB448_2342 Depth=1
	s_and_not1_saveexec_b32 s13, s0
	s_cbranch_execz .LBB448_2623
; %bb.2622:                             ;   in Loop: Header=BB448_2342 Depth=1
	v_and_b32_e32 v8, 0xffff, v7
	v_or_b32_e32 v9, 0x10000, v7
	s_delay_alu instid0(VALU_DEP_2) | instskip(NEXT) | instid1(VALU_DEP_1)
	v_cmp_eq_u32_e64 s0, 0, v8
	v_cndmask_b32_e64 v7, v9, v7, s0
	scratch_store_b32 off, v7, s32 offset:488 ; 4-byte Folded Spill
.LBB448_2623:                           ;   in Loop: Header=BB448_2342 Depth=1
	s_or_b32 exec_lo, exec_lo, s13
	v_lshlrev_b32_e32 v6, 16, v6
	s_delay_alu instid0(VALU_DEP_1) | instskip(NEXT) | instid1(VALU_DEP_1)
	v_mul_f32_e32 v6, v147, v6
	v_and_b32_e32 v7, 0x7f800000, v6
	s_delay_alu instid0(VALU_DEP_1) | instskip(NEXT) | instid1(VALU_DEP_1)
	v_cmp_ne_u32_e64 s0, 0x7f800000, v7
                                        ; implicit-def: $vgpr7
                                        ; kill: killed $vgpr7
	s_and_saveexec_b32 s13, s0
	s_delay_alu instid0(SALU_CYCLE_1)
	s_xor_b32 s0, exec_lo, s13
	s_cbranch_execz .LBB448_2625
; %bb.2624:                             ;   in Loop: Header=BB448_2342 Depth=1
	v_bfe_u32 v7, v6, 16, 1
	s_delay_alu instid0(VALU_DEP_1)
	v_add3_u32 v6, v6, v7, 0x7fff
	scratch_store_b32 off, v6, s32 offset:492 ; 4-byte Folded Spill
                                        ; implicit-def: $vgpr6
.LBB448_2625:                           ;   in Loop: Header=BB448_2342 Depth=1
	s_and_not1_saveexec_b32 s13, s0
	s_cbranch_execz .LBB448_2627
; %bb.2626:                             ;   in Loop: Header=BB448_2342 Depth=1
	v_and_b32_e32 v7, 0xffff, v6
	v_or_b32_e32 v8, 0x10000, v6
	s_delay_alu instid0(VALU_DEP_2) | instskip(NEXT) | instid1(VALU_DEP_1)
	v_cmp_eq_u32_e64 s0, 0, v7
	v_cndmask_b32_e64 v6, v8, v6, s0
	scratch_store_b32 off, v6, s32 offset:492 ; 4-byte Folded Spill
.LBB448_2627:                           ;   in Loop: Header=BB448_2342 Depth=1
	s_or_b32 exec_lo, exec_lo, s13
	v_lshlrev_b32_e32 v5, 16, v5
	s_delay_alu instid0(VALU_DEP_1) | instskip(NEXT) | instid1(VALU_DEP_1)
	v_mul_f32_e32 v5, v148, v5
	v_and_b32_e32 v6, 0x7f800000, v5
	s_delay_alu instid0(VALU_DEP_1) | instskip(NEXT) | instid1(VALU_DEP_1)
	v_cmp_ne_u32_e64 s0, 0x7f800000, v6
                                        ; implicit-def: $vgpr6
                                        ; kill: killed $vgpr6
	s_and_saveexec_b32 s13, s0
	s_delay_alu instid0(SALU_CYCLE_1)
	s_xor_b32 s0, exec_lo, s13
	s_cbranch_execz .LBB448_2629
; %bb.2628:                             ;   in Loop: Header=BB448_2342 Depth=1
	v_bfe_u32 v6, v5, 16, 1
	s_delay_alu instid0(VALU_DEP_1)
	v_add3_u32 v5, v5, v6, 0x7fff
	scratch_store_b32 off, v5, s32 offset:496 ; 4-byte Folded Spill
                                        ; implicit-def: $vgpr5
.LBB448_2629:                           ;   in Loop: Header=BB448_2342 Depth=1
	s_and_not1_saveexec_b32 s13, s0
	s_cbranch_execz .LBB448_2631
; %bb.2630:                             ;   in Loop: Header=BB448_2342 Depth=1
	v_and_b32_e32 v6, 0xffff, v5
	v_or_b32_e32 v7, 0x10000, v5
	s_delay_alu instid0(VALU_DEP_2) | instskip(NEXT) | instid1(VALU_DEP_1)
	v_cmp_eq_u32_e64 s0, 0, v6
	v_cndmask_b32_e64 v5, v7, v5, s0
	scratch_store_b32 off, v5, s32 offset:496 ; 4-byte Folded Spill
.LBB448_2631:                           ;   in Loop: Header=BB448_2342 Depth=1
	s_or_b32 exec_lo, exec_lo, s13
	v_lshlrev_b32_e32 v4, 16, v4
	s_delay_alu instid0(VALU_DEP_1) | instskip(NEXT) | instid1(VALU_DEP_1)
	v_mul_f32_e32 v4, v149, v4
	v_and_b32_e32 v5, 0x7f800000, v4
	s_delay_alu instid0(VALU_DEP_1) | instskip(NEXT) | instid1(VALU_DEP_1)
	v_cmp_ne_u32_e64 s0, 0x7f800000, v5
                                        ; implicit-def: $vgpr5
                                        ; kill: killed $vgpr5
	s_and_saveexec_b32 s13, s0
	s_delay_alu instid0(SALU_CYCLE_1)
	s_xor_b32 s0, exec_lo, s13
	s_cbranch_execz .LBB448_2633
; %bb.2632:                             ;   in Loop: Header=BB448_2342 Depth=1
	v_bfe_u32 v5, v4, 16, 1
	s_delay_alu instid0(VALU_DEP_1)
	v_add3_u32 v4, v4, v5, 0x7fff
	scratch_store_b32 off, v4, s32 offset:500 ; 4-byte Folded Spill
                                        ; implicit-def: $vgpr4
.LBB448_2633:                           ;   in Loop: Header=BB448_2342 Depth=1
	s_and_not1_saveexec_b32 s13, s0
	s_cbranch_execz .LBB448_2635
; %bb.2634:                             ;   in Loop: Header=BB448_2342 Depth=1
	v_and_b32_e32 v5, 0xffff, v4
	v_or_b32_e32 v6, 0x10000, v4
	s_delay_alu instid0(VALU_DEP_2) | instskip(NEXT) | instid1(VALU_DEP_1)
	v_cmp_eq_u32_e64 s0, 0, v5
	v_cndmask_b32_e64 v4, v6, v4, s0
	scratch_store_b32 off, v4, s32 offset:500 ; 4-byte Folded Spill
.LBB448_2635:                           ;   in Loop: Header=BB448_2342 Depth=1
	s_or_b32 exec_lo, exec_lo, s13
	flat_load_b64 v[6:7], v[2:3] offset:512
	s_mov_b32 s13, exec_lo
	s_waitcnt vmcnt(0) lgkmcnt(0)
	v_dual_mov_b32 v4, 0 :: v_dual_and_b32 v5, 0xff, v6
	s_delay_alu instid0(VALU_DEP_1)
	v_cmpx_ne_u16_e32 0, v5
	s_cbranch_execz .LBB448_2643
; %bb.2636:                             ;   in Loop: Header=BB448_2342 Depth=1
	v_bfrev_b32_e32 v4, 1
	s_mov_b32 s15, exec_lo
	v_cmpx_ne_u16_e32 0x80, v5
	s_cbranch_execz .LBB448_2642
; %bb.2637:                             ;   in Loop: Header=BB448_2342 Depth=1
	v_and_b32_e32 v5, 0x7f, v6
	v_mov_b32_e32 v4, 0x7f800001
	s_mov_b32 s16, exec_lo
	s_delay_alu instid0(VALU_DEP_2)
	v_cmpx_ne_u32_e32 0x7f, v5
	s_cbranch_execz .LBB448_2641
; %bb.2638:                             ;   in Loop: Header=BB448_2342 Depth=1
	v_lshrrev_b32_e32 v4, 3, v5
	v_dual_mov_b32 v9, v7 :: v_dual_mov_b32 v8, v6
	s_mov_b32 s17, exec_lo
	v_cmpx_gt_u32_e32 8, v5
; %bb.2639:                             ;   in Loop: Header=BB448_2342 Depth=1
	v_and_b32_e32 v4, 7, v6
	s_delay_alu instid0(VALU_DEP_1) | instskip(NEXT) | instid1(VALU_DEP_1)
	v_clz_i32_u32_e32 v4, v4
	v_min_u32_e32 v4, 32, v4
	s_delay_alu instid0(VALU_DEP_1) | instskip(SKIP_1) | instid1(VALU_DEP_2)
	v_subrev_nc_u32_e32 v5, 28, v4
	v_sub_nc_u32_e32 v4, 29, v4
	v_lshlrev_b64 v[8:9], v5, v[6:7]
; %bb.2640:                             ;   in Loop: Header=BB448_2342 Depth=1
	s_or_b32 exec_lo, exec_lo, s17
	s_delay_alu instid0(VALU_DEP_1) | instskip(SKIP_2) | instid1(VALU_DEP_3)
	v_lshlrev_b32_e32 v5, 20, v8
	v_lshlrev_b32_e32 v8, 24, v6
	v_lshl_add_u32 v4, v4, 23, 0x3c000000
	v_and_b32_e32 v5, 0x700000, v5
	s_delay_alu instid0(VALU_DEP_3) | instskip(NEXT) | instid1(VALU_DEP_1)
	v_and_b32_e32 v8, 0x80000000, v8
	v_or3_b32 v4, v5, v8, v4
.LBB448_2641:                           ;   in Loop: Header=BB448_2342 Depth=1
	s_or_b32 exec_lo, exec_lo, s16
.LBB448_2642:                           ;   in Loop: Header=BB448_2342 Depth=1
	s_delay_alu instid0(SALU_CYCLE_1)
	s_or_b32 exec_lo, exec_lo, s15
.LBB448_2643:                           ;   in Loop: Header=BB448_2342 Depth=1
	s_delay_alu instid0(SALU_CYCLE_1) | instskip(NEXT) | instid1(VALU_DEP_1)
	s_or_b32 exec_lo, exec_lo, s13
	v_mul_f32_e32 v5, v118, v4
	s_delay_alu instid0(VALU_DEP_1) | instskip(NEXT) | instid1(VALU_DEP_1)
	v_and_b32_e32 v4, 0x7f800000, v5
	v_cmp_ne_u32_e64 s0, 0x7f800000, v4
                                        ; implicit-def: $vgpr4
	s_delay_alu instid0(VALU_DEP_1) | instskip(NEXT) | instid1(SALU_CYCLE_1)
	s_and_saveexec_b32 s13, s0
	s_xor_b32 s0, exec_lo, s13
; %bb.2644:                             ;   in Loop: Header=BB448_2342 Depth=1
	v_bfe_u32 v4, v5, 16, 1
	s_delay_alu instid0(VALU_DEP_1)
	v_add3_u32 v4, v5, v4, 0x7fff
                                        ; implicit-def: $vgpr5
; %bb.2645:                             ;   in Loop: Header=BB448_2342 Depth=1
	s_and_not1_saveexec_b32 s13, s0
; %bb.2646:                             ;   in Loop: Header=BB448_2342 Depth=1
	v_and_b32_e32 v4, 0xffff, v5
	v_or_b32_e32 v8, 0x10000, v5
	s_delay_alu instid0(VALU_DEP_2) | instskip(NEXT) | instid1(VALU_DEP_1)
	v_cmp_eq_u32_e64 s0, 0, v4
	v_cndmask_b32_e64 v4, v8, v5, s0
; %bb.2647:                             ;   in Loop: Header=BB448_2342 Depth=1
	s_or_b32 exec_lo, exec_lo, s13
	v_lshrrev_b16 v8, 8, v6
	v_mov_b32_e32 v5, 0
	s_mov_b32 s13, exec_lo
	s_delay_alu instid0(VALU_DEP_2)
	v_cmpx_ne_u16_e32 0, v8
	s_cbranch_execz .LBB448_2655
; %bb.2648:                             ;   in Loop: Header=BB448_2342 Depth=1
	v_bfrev_b32_e32 v5, 1
	s_mov_b32 s15, exec_lo
	v_cmpx_ne_u16_e32 0x80, v8
	s_cbranch_execz .LBB448_2654
; %bb.2649:                             ;   in Loop: Header=BB448_2342 Depth=1
	v_and_b32_e32 v9, 0xffff, v8
	v_mov_b32_e32 v5, 0x7f800001
	s_mov_b32 s16, exec_lo
	s_delay_alu instid0(VALU_DEP_2) | instskip(NEXT) | instid1(VALU_DEP_1)
	v_and_b32_e32 v8, 0x7f, v9
	v_cmpx_ne_u32_e32 0x7f, v8
	s_cbranch_execz .LBB448_2653
; %bb.2650:                             ;   in Loop: Header=BB448_2342 Depth=1
	v_and_b32_e32 v12, 7, v9
	v_lshrrev_b32_e32 v5, 3, v8
	v_cmp_gt_u32_e64 s0, 8, v8
	s_delay_alu instid0(VALU_DEP_3) | instskip(NEXT) | instid1(VALU_DEP_2)
	v_dual_mov_b32 v8, v12 :: v_dual_mov_b32 v9, v13
	s_and_saveexec_b32 s17, s0
; %bb.2651:                             ;   in Loop: Header=BB448_2342 Depth=1
	v_clz_i32_u32_e32 v5, v12
	s_delay_alu instid0(VALU_DEP_1) | instskip(NEXT) | instid1(VALU_DEP_1)
	v_min_u32_e32 v5, 32, v5
	v_subrev_nc_u32_e32 v8, 28, v5
	v_sub_nc_u32_e32 v5, 29, v5
	s_delay_alu instid0(VALU_DEP_2) | instskip(NEXT) | instid1(VALU_DEP_1)
	v_lshlrev_b64 v[8:9], v8, v[12:13]
	v_and_b32_e32 v8, 7, v8
; %bb.2652:                             ;   in Loop: Header=BB448_2342 Depth=1
	s_or_b32 exec_lo, exec_lo, s17
	v_lshlrev_b32_e32 v9, 16, v6
	s_delay_alu instid0(VALU_DEP_2) | instskip(SKIP_1) | instid1(VALU_DEP_3)
	v_lshlrev_b32_e32 v8, 20, v8
	v_lshl_add_u32 v5, v5, 23, 0x3c000000
	v_and_b32_e32 v9, 0x80000000, v9
	s_delay_alu instid0(VALU_DEP_1)
	v_or3_b32 v5, v8, v9, v5
.LBB448_2653:                           ;   in Loop: Header=BB448_2342 Depth=1
	s_or_b32 exec_lo, exec_lo, s16
.LBB448_2654:                           ;   in Loop: Header=BB448_2342 Depth=1
	s_delay_alu instid0(SALU_CYCLE_1)
	s_or_b32 exec_lo, exec_lo, s15
.LBB448_2655:                           ;   in Loop: Header=BB448_2342 Depth=1
	s_delay_alu instid0(SALU_CYCLE_1) | instskip(NEXT) | instid1(VALU_DEP_1)
	s_or_b32 exec_lo, exec_lo, s13
	v_mul_f32_e32 v8, v118, v5
	s_delay_alu instid0(VALU_DEP_1) | instskip(NEXT) | instid1(VALU_DEP_1)
	v_and_b32_e32 v5, 0x7f800000, v8
	v_cmp_ne_u32_e64 s0, 0x7f800000, v5
                                        ; implicit-def: $vgpr5
	s_delay_alu instid0(VALU_DEP_1) | instskip(NEXT) | instid1(SALU_CYCLE_1)
	s_and_saveexec_b32 s13, s0
	s_xor_b32 s0, exec_lo, s13
; %bb.2656:                             ;   in Loop: Header=BB448_2342 Depth=1
	v_bfe_u32 v5, v8, 16, 1
	s_delay_alu instid0(VALU_DEP_1)
	v_add3_u32 v5, v8, v5, 0x7fff
                                        ; implicit-def: $vgpr8
; %bb.2657:                             ;   in Loop: Header=BB448_2342 Depth=1
	s_and_not1_saveexec_b32 s13, s0
; %bb.2658:                             ;   in Loop: Header=BB448_2342 Depth=1
	v_and_b32_e32 v5, 0xffff, v8
	v_or_b32_e32 v9, 0x10000, v8
	s_delay_alu instid0(VALU_DEP_2) | instskip(NEXT) | instid1(VALU_DEP_1)
	v_cmp_eq_u32_e64 s0, 0, v5
	v_cndmask_b32_e64 v5, v9, v8, s0
; %bb.2659:                             ;   in Loop: Header=BB448_2342 Depth=1
	s_or_b32 exec_lo, exec_lo, s13
	v_lshrrev_b32_e32 v10, 16, v6
	s_mov_b32 s13, exec_lo
	s_delay_alu instid0(VALU_DEP_1) | instskip(NEXT) | instid1(VALU_DEP_1)
	v_dual_mov_b32 v8, 0 :: v_dual_and_b32 v9, 0xff, v10
	v_cmpx_ne_u16_e32 0, v9
	s_cbranch_execz .LBB448_2667
; %bb.2660:                             ;   in Loop: Header=BB448_2342 Depth=1
	v_bfrev_b32_e32 v8, 1
	s_mov_b32 s15, exec_lo
	v_cmpx_ne_u16_e32 0x80, v9
	s_cbranch_execz .LBB448_2666
; %bb.2661:                             ;   in Loop: Header=BB448_2342 Depth=1
	v_bfe_u32 v9, v6, 16, 7
	v_mov_b32_e32 v8, 0x7f800001
	s_mov_b32 s16, exec_lo
	s_delay_alu instid0(VALU_DEP_2)
	v_cmpx_ne_u32_e32 0x7f, v9
	s_cbranch_execz .LBB448_2665
; %bb.2662:                             ;   in Loop: Header=BB448_2342 Depth=1
	v_and_b32_e32 v12, 7, v10
	v_lshrrev_b32_e32 v11, 3, v9
	v_cmp_gt_u32_e64 s0, 8, v9
	s_delay_alu instid0(VALU_DEP_3) | instskip(NEXT) | instid1(VALU_DEP_2)
	v_dual_mov_b32 v8, v12 :: v_dual_mov_b32 v9, v13
	s_and_saveexec_b32 s17, s0
; %bb.2663:                             ;   in Loop: Header=BB448_2342 Depth=1
	v_clz_i32_u32_e32 v8, v12
	s_delay_alu instid0(VALU_DEP_1) | instskip(NEXT) | instid1(VALU_DEP_1)
	v_min_u32_e32 v11, 32, v8
	v_subrev_nc_u32_e32 v8, 28, v11
	v_sub_nc_u32_e32 v11, 29, v11
	s_delay_alu instid0(VALU_DEP_2) | instskip(NEXT) | instid1(VALU_DEP_1)
	v_lshlrev_b64 v[8:9], v8, v[12:13]
	v_and_b32_e32 v8, 7, v8
; %bb.2664:                             ;   in Loop: Header=BB448_2342 Depth=1
	s_or_b32 exec_lo, exec_lo, s17
	v_lshlrev_b32_e32 v9, 24, v10
	s_delay_alu instid0(VALU_DEP_2) | instskip(SKIP_1) | instid1(VALU_DEP_3)
	v_lshlrev_b32_e32 v8, 20, v8
	v_lshl_add_u32 v10, v11, 23, 0x3c000000
	v_and_b32_e32 v9, 0x80000000, v9
	s_delay_alu instid0(VALU_DEP_1)
	v_or3_b32 v8, v8, v9, v10
.LBB448_2665:                           ;   in Loop: Header=BB448_2342 Depth=1
	s_or_b32 exec_lo, exec_lo, s16
.LBB448_2666:                           ;   in Loop: Header=BB448_2342 Depth=1
	s_delay_alu instid0(SALU_CYCLE_1)
	s_or_b32 exec_lo, exec_lo, s15
.LBB448_2667:                           ;   in Loop: Header=BB448_2342 Depth=1
	s_delay_alu instid0(SALU_CYCLE_1) | instskip(NEXT) | instid1(VALU_DEP_1)
	s_or_b32 exec_lo, exec_lo, s13
	v_mul_f32_e32 v8, v118, v8
                                        ; implicit-def: $vgpr10
	s_delay_alu instid0(VALU_DEP_1) | instskip(NEXT) | instid1(VALU_DEP_1)
	v_and_b32_e32 v9, 0x7f800000, v8
	v_cmp_ne_u32_e64 s0, 0x7f800000, v9
	s_delay_alu instid0(VALU_DEP_1) | instskip(NEXT) | instid1(SALU_CYCLE_1)
	s_and_saveexec_b32 s13, s0
	s_xor_b32 s0, exec_lo, s13
; %bb.2668:                             ;   in Loop: Header=BB448_2342 Depth=1
	v_bfe_u32 v9, v8, 16, 1
	s_delay_alu instid0(VALU_DEP_1)
	v_add3_u32 v10, v8, v9, 0x7fff
                                        ; implicit-def: $vgpr8
; %bb.2669:                             ;   in Loop: Header=BB448_2342 Depth=1
	s_and_not1_saveexec_b32 s13, s0
; %bb.2670:                             ;   in Loop: Header=BB448_2342 Depth=1
	v_and_b32_e32 v9, 0xffff, v8
	v_or_b32_e32 v10, 0x10000, v8
	s_delay_alu instid0(VALU_DEP_2) | instskip(NEXT) | instid1(VALU_DEP_1)
	v_cmp_eq_u32_e64 s0, 0, v9
	v_cndmask_b32_e64 v10, v10, v8, s0
; %bb.2671:                             ;   in Loop: Header=BB448_2342 Depth=1
	s_or_b32 exec_lo, exec_lo, s13
	v_mov_b32_e32 v8, 0
	s_mov_b32 s13, exec_lo
	v_cmpx_lt_u32_e32 0xffffff, v6
	s_cbranch_execz .LBB448_2679
; %bb.2672:                             ;   in Loop: Header=BB448_2342 Depth=1
	v_lshrrev_b32_e32 v11, 24, v6
	v_bfrev_b32_e32 v8, 1
	s_mov_b32 s15, exec_lo
	s_delay_alu instid0(VALU_DEP_2)
	v_cmpx_ne_u32_e32 0x80, v11
	s_cbranch_execz .LBB448_2678
; %bb.2673:                             ;   in Loop: Header=BB448_2342 Depth=1
	v_bfe_u32 v9, v6, 24, 7
	v_mov_b32_e32 v8, 0x7f800001
	s_mov_b32 s16, exec_lo
	s_delay_alu instid0(VALU_DEP_2)
	v_cmpx_ne_u32_e32 0x7f, v9
	s_cbranch_execz .LBB448_2677
; %bb.2674:                             ;   in Loop: Header=BB448_2342 Depth=1
	v_and_b32_e32 v12, 7, v11
	v_lshrrev_b32_e32 v14, 3, v9
	v_cmp_gt_u32_e64 s0, 8, v9
	s_delay_alu instid0(VALU_DEP_3) | instskip(NEXT) | instid1(VALU_DEP_2)
	v_dual_mov_b32 v8, v12 :: v_dual_mov_b32 v9, v13
	s_and_saveexec_b32 s17, s0
; %bb.2675:                             ;   in Loop: Header=BB448_2342 Depth=1
	v_clz_i32_u32_e32 v8, v12
	s_delay_alu instid0(VALU_DEP_1) | instskip(NEXT) | instid1(VALU_DEP_1)
	v_min_u32_e32 v14, 32, v8
	v_subrev_nc_u32_e32 v8, 28, v14
	v_sub_nc_u32_e32 v14, 29, v14
	s_delay_alu instid0(VALU_DEP_2) | instskip(NEXT) | instid1(VALU_DEP_1)
	v_lshlrev_b64 v[8:9], v8, v[12:13]
	v_and_b32_e32 v8, 7, v8
; %bb.2676:                             ;   in Loop: Header=BB448_2342 Depth=1
	s_or_b32 exec_lo, exec_lo, s17
	v_lshlrev_b32_e32 v9, 24, v11
	s_delay_alu instid0(VALU_DEP_2) | instskip(SKIP_1) | instid1(VALU_DEP_3)
	v_lshlrev_b32_e32 v8, 20, v8
	v_lshl_add_u32 v11, v14, 23, 0x3c000000
	v_and_b32_e32 v9, 0x80000000, v9
	s_delay_alu instid0(VALU_DEP_1)
	v_or3_b32 v8, v8, v9, v11
.LBB448_2677:                           ;   in Loop: Header=BB448_2342 Depth=1
	s_or_b32 exec_lo, exec_lo, s16
.LBB448_2678:                           ;   in Loop: Header=BB448_2342 Depth=1
	s_delay_alu instid0(SALU_CYCLE_1)
	s_or_b32 exec_lo, exec_lo, s15
.LBB448_2679:                           ;   in Loop: Header=BB448_2342 Depth=1
	s_delay_alu instid0(SALU_CYCLE_1) | instskip(NEXT) | instid1(VALU_DEP_1)
	s_or_b32 exec_lo, exec_lo, s13
	v_mul_f32_e32 v8, v118, v8
                                        ; implicit-def: $vgpr11
	s_delay_alu instid0(VALU_DEP_1) | instskip(NEXT) | instid1(VALU_DEP_1)
	v_and_b32_e32 v9, 0x7f800000, v8
	v_cmp_ne_u32_e64 s0, 0x7f800000, v9
	s_delay_alu instid0(VALU_DEP_1) | instskip(NEXT) | instid1(SALU_CYCLE_1)
	s_and_saveexec_b32 s13, s0
	s_xor_b32 s0, exec_lo, s13
; %bb.2680:                             ;   in Loop: Header=BB448_2342 Depth=1
	v_bfe_u32 v9, v8, 16, 1
	s_delay_alu instid0(VALU_DEP_1)
	v_add3_u32 v11, v8, v9, 0x7fff
                                        ; implicit-def: $vgpr8
; %bb.2681:                             ;   in Loop: Header=BB448_2342 Depth=1
	s_and_not1_saveexec_b32 s13, s0
; %bb.2682:                             ;   in Loop: Header=BB448_2342 Depth=1
	v_and_b32_e32 v9, 0xffff, v8
	v_or_b32_e32 v11, 0x10000, v8
	s_delay_alu instid0(VALU_DEP_2) | instskip(NEXT) | instid1(VALU_DEP_1)
	v_cmp_eq_u32_e64 s0, 0, v9
	v_cndmask_b32_e64 v11, v11, v8, s0
; %bb.2683:                             ;   in Loop: Header=BB448_2342 Depth=1
	s_or_b32 exec_lo, exec_lo, s13
	v_dual_mov_b32 v12, v7 :: v_dual_and_b32 v9, 0xff, v7
	v_mov_b32_e32 v8, 0
	s_mov_b32 s13, exec_lo
	s_delay_alu instid0(VALU_DEP_2)
	v_cmpx_ne_u16_e32 0, v9
	s_cbranch_execz .LBB448_2691
; %bb.2684:                             ;   in Loop: Header=BB448_2342 Depth=1
	v_bfrev_b32_e32 v8, 1
	s_mov_b32 s15, exec_lo
	v_cmpx_ne_u16_e32 0x80, v9
	s_cbranch_execz .LBB448_2690
; %bb.2685:                             ;   in Loop: Header=BB448_2342 Depth=1
	v_and_b32_e32 v9, 0x7f, v7
	v_mov_b32_e32 v8, 0x7f800001
	s_mov_b32 s16, exec_lo
	s_delay_alu instid0(VALU_DEP_2)
	v_cmpx_ne_u32_e32 0x7f, v9
	s_cbranch_execz .LBB448_2689
; %bb.2686:                             ;   in Loop: Header=BB448_2342 Depth=1
	v_lshrrev_b32_e32 v14, 3, v9
	v_cmp_gt_u32_e64 s0, 8, v9
	v_dual_mov_b32 v8, v12 :: v_dual_mov_b32 v9, v13
	s_delay_alu instid0(VALU_DEP_2)
	s_and_saveexec_b32 s17, s0
; %bb.2687:                             ;   in Loop: Header=BB448_2342 Depth=1
	v_and_b32_e32 v8, 7, v7
	s_delay_alu instid0(VALU_DEP_1) | instskip(NEXT) | instid1(VALU_DEP_1)
	v_clz_i32_u32_e32 v8, v8
	v_min_u32_e32 v14, 32, v8
	s_delay_alu instid0(VALU_DEP_1) | instskip(SKIP_1) | instid1(VALU_DEP_2)
	v_subrev_nc_u32_e32 v8, 28, v14
	v_sub_nc_u32_e32 v14, 29, v14
	v_lshlrev_b64 v[8:9], v8, v[12:13]
; %bb.2688:                             ;   in Loop: Header=BB448_2342 Depth=1
	s_or_b32 exec_lo, exec_lo, s17
	s_delay_alu instid0(VALU_DEP_1) | instskip(SKIP_2) | instid1(VALU_DEP_3)
	v_lshlrev_b32_e32 v8, 20, v8
	v_lshlrev_b32_e32 v9, 24, v12
	v_lshl_add_u32 v14, v14, 23, 0x3c000000
	v_and_b32_e32 v8, 0x700000, v8
	s_delay_alu instid0(VALU_DEP_3) | instskip(NEXT) | instid1(VALU_DEP_1)
	v_and_b32_e32 v9, 0x80000000, v9
	v_or3_b32 v8, v8, v9, v14
.LBB448_2689:                           ;   in Loop: Header=BB448_2342 Depth=1
	s_or_b32 exec_lo, exec_lo, s16
.LBB448_2690:                           ;   in Loop: Header=BB448_2342 Depth=1
	s_delay_alu instid0(SALU_CYCLE_1)
	s_or_b32 exec_lo, exec_lo, s15
.LBB448_2691:                           ;   in Loop: Header=BB448_2342 Depth=1
	s_delay_alu instid0(SALU_CYCLE_1) | instskip(NEXT) | instid1(VALU_DEP_1)
	s_or_b32 exec_lo, exec_lo, s13
	v_mul_f32_e32 v8, v118, v8
                                        ; implicit-def: $vgpr14
	s_delay_alu instid0(VALU_DEP_1) | instskip(NEXT) | instid1(VALU_DEP_1)
	v_and_b32_e32 v9, 0x7f800000, v8
	v_cmp_ne_u32_e64 s0, 0x7f800000, v9
	s_delay_alu instid0(VALU_DEP_1) | instskip(NEXT) | instid1(SALU_CYCLE_1)
	s_and_saveexec_b32 s13, s0
	s_xor_b32 s0, exec_lo, s13
; %bb.2692:                             ;   in Loop: Header=BB448_2342 Depth=1
	v_bfe_u32 v9, v8, 16, 1
	s_delay_alu instid0(VALU_DEP_1)
	v_add3_u32 v14, v8, v9, 0x7fff
                                        ; implicit-def: $vgpr8
; %bb.2693:                             ;   in Loop: Header=BB448_2342 Depth=1
	s_and_not1_saveexec_b32 s13, s0
; %bb.2694:                             ;   in Loop: Header=BB448_2342 Depth=1
	v_and_b32_e32 v9, 0xffff, v8
	v_or_b32_e32 v14, 0x10000, v8
	s_delay_alu instid0(VALU_DEP_2) | instskip(NEXT) | instid1(VALU_DEP_1)
	v_cmp_eq_u32_e64 s0, 0, v9
	v_cndmask_b32_e64 v14, v14, v8, s0
; %bb.2695:                             ;   in Loop: Header=BB448_2342 Depth=1
	s_or_b32 exec_lo, exec_lo, s13
	v_lshrrev_b16 v9, 8, v12
	v_mov_b32_e32 v8, 0
	s_mov_b32 s13, exec_lo
	s_delay_alu instid0(VALU_DEP_2)
	v_cmpx_ne_u16_e32 0, v9
	s_cbranch_execz .LBB448_2703
; %bb.2696:                             ;   in Loop: Header=BB448_2342 Depth=1
	v_bfrev_b32_e32 v8, 1
	s_mov_b32 s15, exec_lo
	v_cmpx_ne_u16_e32 0x80, v9
	s_cbranch_execz .LBB448_2702
; %bb.2697:                             ;   in Loop: Header=BB448_2342 Depth=1
	v_and_b32_e32 v9, 0xffff, v9
	v_mov_b32_e32 v8, 0x7f800001
	s_mov_b32 s16, exec_lo
	s_delay_alu instid0(VALU_DEP_2) | instskip(NEXT) | instid1(VALU_DEP_1)
	v_and_b32_e32 v16, 0x7f, v9
	v_cmpx_ne_u32_e32 0x7f, v16
	s_cbranch_execz .LBB448_2701
; %bb.2698:                             ;   in Loop: Header=BB448_2342 Depth=1
	v_dual_mov_b32 v9, v13 :: v_dual_and_b32 v8, 7, v9
	v_lshrrev_b32_e32 v15, 3, v16
	s_mov_b32 s17, exec_lo
	v_cmpx_gt_u32_e32 8, v16
; %bb.2699:                             ;   in Loop: Header=BB448_2342 Depth=1
	s_delay_alu instid0(VALU_DEP_3) | instskip(NEXT) | instid1(VALU_DEP_1)
	v_clz_i32_u32_e32 v15, v8
	v_min_u32_e32 v15, 32, v15
	s_delay_alu instid0(VALU_DEP_1) | instskip(SKIP_1) | instid1(VALU_DEP_2)
	v_subrev_nc_u32_e32 v16, 28, v15
	v_sub_nc_u32_e32 v15, 29, v15
	v_lshlrev_b64 v[8:9], v16, v[8:9]
	s_delay_alu instid0(VALU_DEP_1)
	v_and_b32_e32 v8, 7, v8
; %bb.2700:                             ;   in Loop: Header=BB448_2342 Depth=1
	s_or_b32 exec_lo, exec_lo, s17
	v_lshlrev_b32_e32 v9, 16, v12
	s_delay_alu instid0(VALU_DEP_2) | instskip(SKIP_1) | instid1(VALU_DEP_3)
	v_lshlrev_b32_e32 v8, 20, v8
	v_lshl_add_u32 v12, v15, 23, 0x3c000000
	v_and_b32_e32 v9, 0x80000000, v9
	s_delay_alu instid0(VALU_DEP_1)
	v_or3_b32 v8, v8, v9, v12
.LBB448_2701:                           ;   in Loop: Header=BB448_2342 Depth=1
	s_or_b32 exec_lo, exec_lo, s16
.LBB448_2702:                           ;   in Loop: Header=BB448_2342 Depth=1
	s_delay_alu instid0(SALU_CYCLE_1)
	s_or_b32 exec_lo, exec_lo, s15
.LBB448_2703:                           ;   in Loop: Header=BB448_2342 Depth=1
	s_delay_alu instid0(SALU_CYCLE_1) | instskip(NEXT) | instid1(VALU_DEP_1)
	s_or_b32 exec_lo, exec_lo, s13
	v_mul_f32_e32 v8, v118, v8
                                        ; implicit-def: $vgpr15
	s_delay_alu instid0(VALU_DEP_1) | instskip(NEXT) | instid1(VALU_DEP_1)
	v_and_b32_e32 v9, 0x7f800000, v8
	v_cmp_ne_u32_e64 s0, 0x7f800000, v9
	s_delay_alu instid0(VALU_DEP_1) | instskip(NEXT) | instid1(SALU_CYCLE_1)
	s_and_saveexec_b32 s13, s0
	s_xor_b32 s0, exec_lo, s13
; %bb.2704:                             ;   in Loop: Header=BB448_2342 Depth=1
	v_bfe_u32 v9, v8, 16, 1
	s_delay_alu instid0(VALU_DEP_1)
	v_add3_u32 v15, v8, v9, 0x7fff
                                        ; implicit-def: $vgpr8
; %bb.2705:                             ;   in Loop: Header=BB448_2342 Depth=1
	s_and_not1_saveexec_b32 s13, s0
; %bb.2706:                             ;   in Loop: Header=BB448_2342 Depth=1
	v_and_b32_e32 v9, 0xffff, v8
	v_or_b32_e32 v12, 0x10000, v8
	s_delay_alu instid0(VALU_DEP_2) | instskip(NEXT) | instid1(VALU_DEP_1)
	v_cmp_eq_u32_e64 s0, 0, v9
	v_cndmask_b32_e64 v15, v12, v8, s0
; %bb.2707:                             ;   in Loop: Header=BB448_2342 Depth=1
	s_or_b32 exec_lo, exec_lo, s13
	v_lshrrev_b32_e32 v16, 16, v7
	s_mov_b32 s13, exec_lo
	s_delay_alu instid0(VALU_DEP_1) | instskip(NEXT) | instid1(VALU_DEP_1)
	v_dual_mov_b32 v8, 0 :: v_dual_and_b32 v9, 0xff, v16
	v_cmpx_ne_u16_e32 0, v9
	s_cbranch_execz .LBB448_2715
; %bb.2708:                             ;   in Loop: Header=BB448_2342 Depth=1
	v_bfrev_b32_e32 v8, 1
	s_mov_b32 s15, exec_lo
	v_cmpx_ne_u16_e32 0x80, v9
	s_cbranch_execz .LBB448_2714
; %bb.2709:                             ;   in Loop: Header=BB448_2342 Depth=1
	v_bfe_u32 v9, v7, 16, 7
	v_mov_b32_e32 v8, 0x7f800001
	s_mov_b32 s16, exec_lo
	s_delay_alu instid0(VALU_DEP_2)
	v_cmpx_ne_u32_e32 0x7f, v9
	s_cbranch_execz .LBB448_2713
; %bb.2710:                             ;   in Loop: Header=BB448_2342 Depth=1
	v_and_b32_e32 v12, 7, v16
	v_lshrrev_b32_e32 v18, 3, v9
	v_cmp_gt_u32_e64 s0, 8, v9
	s_delay_alu instid0(VALU_DEP_3) | instskip(NEXT) | instid1(VALU_DEP_2)
	v_dual_mov_b32 v8, v12 :: v_dual_mov_b32 v9, v13
	s_and_saveexec_b32 s17, s0
; %bb.2711:                             ;   in Loop: Header=BB448_2342 Depth=1
	v_clz_i32_u32_e32 v8, v12
	s_delay_alu instid0(VALU_DEP_1) | instskip(NEXT) | instid1(VALU_DEP_1)
	v_min_u32_e32 v18, 32, v8
	v_subrev_nc_u32_e32 v8, 28, v18
	v_sub_nc_u32_e32 v18, 29, v18
	s_delay_alu instid0(VALU_DEP_2) | instskip(NEXT) | instid1(VALU_DEP_1)
	v_lshlrev_b64 v[8:9], v8, v[12:13]
	v_and_b32_e32 v8, 7, v8
; %bb.2712:                             ;   in Loop: Header=BB448_2342 Depth=1
	s_or_b32 exec_lo, exec_lo, s17
	v_lshlrev_b32_e32 v9, 24, v16
	s_delay_alu instid0(VALU_DEP_2) | instskip(SKIP_1) | instid1(VALU_DEP_3)
	v_lshlrev_b32_e32 v8, 20, v8
	v_lshl_add_u32 v12, v18, 23, 0x3c000000
	v_and_b32_e32 v9, 0x80000000, v9
	s_delay_alu instid0(VALU_DEP_1)
	v_or3_b32 v8, v8, v9, v12
.LBB448_2713:                           ;   in Loop: Header=BB448_2342 Depth=1
	s_or_b32 exec_lo, exec_lo, s16
.LBB448_2714:                           ;   in Loop: Header=BB448_2342 Depth=1
	s_delay_alu instid0(SALU_CYCLE_1)
	s_or_b32 exec_lo, exec_lo, s15
.LBB448_2715:                           ;   in Loop: Header=BB448_2342 Depth=1
	s_delay_alu instid0(SALU_CYCLE_1) | instskip(NEXT) | instid1(VALU_DEP_1)
	s_or_b32 exec_lo, exec_lo, s13
	v_mul_f32_e32 v8, v118, v8
	s_delay_alu instid0(VALU_DEP_1) | instskip(NEXT) | instid1(VALU_DEP_1)
	v_and_b32_e32 v9, 0x7f800000, v8
	v_cmp_ne_u32_e64 s0, 0x7f800000, v9
                                        ; implicit-def: $vgpr9
	s_delay_alu instid0(VALU_DEP_1) | instskip(NEXT) | instid1(SALU_CYCLE_1)
	s_and_saveexec_b32 s13, s0
	s_xor_b32 s0, exec_lo, s13
; %bb.2716:                             ;   in Loop: Header=BB448_2342 Depth=1
	v_bfe_u32 v9, v8, 16, 1
	s_delay_alu instid0(VALU_DEP_1)
	v_add3_u32 v9, v8, v9, 0x7fff
                                        ; implicit-def: $vgpr8
; %bb.2717:                             ;   in Loop: Header=BB448_2342 Depth=1
	s_and_not1_saveexec_b32 s13, s0
; %bb.2718:                             ;   in Loop: Header=BB448_2342 Depth=1
	v_and_b32_e32 v9, 0xffff, v8
	v_or_b32_e32 v12, 0x10000, v8
	s_delay_alu instid0(VALU_DEP_2) | instskip(NEXT) | instid1(VALU_DEP_1)
	v_cmp_eq_u32_e64 s0, 0, v9
	v_cndmask_b32_e64 v9, v12, v8, s0
; %bb.2719:                             ;   in Loop: Header=BB448_2342 Depth=1
	s_or_b32 exec_lo, exec_lo, s13
	v_cmp_lt_u64_e64 s0, s[8:9], v[6:7]
	v_mov_b32_e32 v6, 0
	s_delay_alu instid0(VALU_DEP_2)
	s_and_saveexec_b32 s13, s0
	s_cbranch_execz .LBB448_2727
; %bb.2720:                             ;   in Loop: Header=BB448_2342 Depth=1
	v_lshrrev_b32_e32 v8, 24, v7
	v_bfrev_b32_e32 v6, 1
	s_mov_b32 s15, exec_lo
	s_delay_alu instid0(VALU_DEP_2)
	v_cmpx_ne_u32_e32 0x80, v8
	s_cbranch_execz .LBB448_2726
; %bb.2721:                             ;   in Loop: Header=BB448_2342 Depth=1
	v_bfe_u32 v7, v7, 24, 7
	v_mov_b32_e32 v6, 0x7f800001
	s_mov_b32 s16, exec_lo
	s_delay_alu instid0(VALU_DEP_2)
	v_cmpx_ne_u32_e32 0x7f, v7
	s_cbranch_execz .LBB448_2725
; %bb.2722:                             ;   in Loop: Header=BB448_2342 Depth=1
	v_and_b32_e32 v12, 7, v8
	v_lshrrev_b32_e32 v16, 3, v7
	v_cmp_gt_u32_e64 s0, 8, v7
	s_delay_alu instid0(VALU_DEP_3) | instskip(NEXT) | instid1(VALU_DEP_2)
	v_dual_mov_b32 v6, v12 :: v_dual_mov_b32 v7, v13
	s_and_saveexec_b32 s17, s0
; %bb.2723:                             ;   in Loop: Header=BB448_2342 Depth=1
	v_clz_i32_u32_e32 v6, v12
	s_delay_alu instid0(VALU_DEP_1) | instskip(NEXT) | instid1(VALU_DEP_1)
	v_min_u32_e32 v16, 32, v6
	v_subrev_nc_u32_e32 v6, 28, v16
	v_sub_nc_u32_e32 v16, 29, v16
	s_delay_alu instid0(VALU_DEP_2) | instskip(NEXT) | instid1(VALU_DEP_1)
	v_lshlrev_b64 v[6:7], v6, v[12:13]
	v_and_b32_e32 v6, 7, v6
; %bb.2724:                             ;   in Loop: Header=BB448_2342 Depth=1
	s_or_b32 exec_lo, exec_lo, s17
	v_lshlrev_b32_e32 v7, 24, v8
	s_delay_alu instid0(VALU_DEP_2) | instskip(SKIP_1) | instid1(VALU_DEP_3)
	v_lshlrev_b32_e32 v6, 20, v6
	v_lshl_add_u32 v8, v16, 23, 0x3c000000
	v_and_b32_e32 v7, 0x80000000, v7
	s_delay_alu instid0(VALU_DEP_1)
	v_or3_b32 v6, v6, v7, v8
.LBB448_2725:                           ;   in Loop: Header=BB448_2342 Depth=1
	s_or_b32 exec_lo, exec_lo, s16
.LBB448_2726:                           ;   in Loop: Header=BB448_2342 Depth=1
	s_delay_alu instid0(SALU_CYCLE_1)
	s_or_b32 exec_lo, exec_lo, s15
.LBB448_2727:                           ;   in Loop: Header=BB448_2342 Depth=1
	s_delay_alu instid0(SALU_CYCLE_1) | instskip(NEXT) | instid1(VALU_DEP_1)
	s_or_b32 exec_lo, exec_lo, s13
	v_mul_f32_e32 v6, v118, v6
                                        ; implicit-def: $vgpr16
	s_delay_alu instid0(VALU_DEP_1) | instskip(NEXT) | instid1(VALU_DEP_1)
	v_and_b32_e32 v7, 0x7f800000, v6
	v_cmp_ne_u32_e64 s0, 0x7f800000, v7
	s_delay_alu instid0(VALU_DEP_1) | instskip(NEXT) | instid1(SALU_CYCLE_1)
	s_and_saveexec_b32 s13, s0
	s_xor_b32 s0, exec_lo, s13
; %bb.2728:                             ;   in Loop: Header=BB448_2342 Depth=1
	v_bfe_u32 v7, v6, 16, 1
	s_delay_alu instid0(VALU_DEP_1)
	v_add3_u32 v16, v6, v7, 0x7fff
                                        ; implicit-def: $vgpr6
; %bb.2729:                             ;   in Loop: Header=BB448_2342 Depth=1
	s_and_not1_saveexec_b32 s13, s0
; %bb.2730:                             ;   in Loop: Header=BB448_2342 Depth=1
	v_and_b32_e32 v7, 0xffff, v6
	v_or_b32_e32 v8, 0x10000, v6
	s_delay_alu instid0(VALU_DEP_2) | instskip(NEXT) | instid1(VALU_DEP_1)
	v_cmp_eq_u32_e64 s0, 0, v7
	v_cndmask_b32_e64 v16, v8, v6, s0
; %bb.2731:                             ;   in Loop: Header=BB448_2342 Depth=1
	s_or_b32 exec_lo, exec_lo, s13
	v_lshrrev_b32_e32 v6, 16, v15
	v_lshrrev_b32_e32 v7, 16, v14
	;; [unrolled: 1-line block ×8, first 2 shown]
	s_and_saveexec_b32 s13, vcc_lo
	s_cbranch_execz .LBB448_2733
; %bb.2732:                             ;   in Loop: Header=BB448_2342 Depth=1
	v_cmp_lt_i32_e64 s0, v102, v36
	s_delay_alu instid0(VALU_DEP_1) | instskip(SKIP_1) | instid1(VALU_DEP_1)
	v_cndmask_b32_e64 v12, 0, v12, s0
	v_cmp_lt_i32_e64 s0, v133, v36
	v_cndmask_b32_e64 v11, 0, v11, s0
	v_cmp_lt_i32_e64 s0, v132, v36
	s_delay_alu instid0(VALU_DEP_1) | instskip(SKIP_1) | instid1(VALU_DEP_1)
	v_cndmask_b32_e64 v10, 0, v10, s0
	v_cmp_lt_i32_e64 s0, v131, v36
	v_cndmask_b32_e64 v8, 0, v8, s0
	;; [unrolled: 5-line block ×4, first 2 shown]
.LBB448_2733:                           ;   in Loop: Header=BB448_2342 Depth=1
	s_or_b32 exec_lo, exec_lo, s13
	v_lshlrev_b32_e32 v9, 16, v12
	s_delay_alu instid0(VALU_DEP_1) | instskip(NEXT) | instid1(VALU_DEP_1)
	v_mul_f32_e32 v9, v134, v9
	v_and_b32_e32 v12, 0x7f800000, v9
	s_delay_alu instid0(VALU_DEP_1) | instskip(NEXT) | instid1(VALU_DEP_1)
	v_cmp_ne_u32_e64 s0, 0x7f800000, v12
                                        ; implicit-def: $vgpr12
                                        ; kill: killed $vgpr12
	s_and_saveexec_b32 s13, s0
	s_delay_alu instid0(SALU_CYCLE_1)
	s_xor_b32 s0, exec_lo, s13
	s_cbranch_execz .LBB448_2735
; %bb.2734:                             ;   in Loop: Header=BB448_2342 Depth=1
	v_bfe_u32 v12, v9, 16, 1
	s_delay_alu instid0(VALU_DEP_1)
	v_add3_u32 v9, v9, v12, 0x7fff
	scratch_store_b32 off, v9, s32 offset:504 ; 4-byte Folded Spill
                                        ; implicit-def: $vgpr9
.LBB448_2735:                           ;   in Loop: Header=BB448_2342 Depth=1
	s_and_not1_saveexec_b32 s13, s0
	s_cbranch_execz .LBB448_2737
; %bb.2736:                             ;   in Loop: Header=BB448_2342 Depth=1
	v_and_b32_e32 v12, 0xffff, v9
	v_or_b32_e32 v14, 0x10000, v9
	s_delay_alu instid0(VALU_DEP_2) | instskip(NEXT) | instid1(VALU_DEP_1)
	v_cmp_eq_u32_e64 s0, 0, v12
	v_cndmask_b32_e64 v9, v14, v9, s0
	scratch_store_b32 off, v9, s32 offset:504 ; 4-byte Folded Spill
.LBB448_2737:                           ;   in Loop: Header=BB448_2342 Depth=1
	s_or_b32 exec_lo, exec_lo, s13
	v_lshlrev_b32_e32 v9, 16, v11
	s_delay_alu instid0(VALU_DEP_1) | instskip(NEXT) | instid1(VALU_DEP_1)
	v_mul_f32_e32 v9, v135, v9
	v_and_b32_e32 v11, 0x7f800000, v9
	s_delay_alu instid0(VALU_DEP_1) | instskip(NEXT) | instid1(VALU_DEP_1)
	v_cmp_ne_u32_e64 s0, 0x7f800000, v11
                                        ; implicit-def: $vgpr11
                                        ; kill: killed $vgpr11
	s_and_saveexec_b32 s13, s0
	s_delay_alu instid0(SALU_CYCLE_1)
	s_xor_b32 s0, exec_lo, s13
	s_cbranch_execz .LBB448_2739
; %bb.2738:                             ;   in Loop: Header=BB448_2342 Depth=1
	v_bfe_u32 v11, v9, 16, 1
	s_delay_alu instid0(VALU_DEP_1)
	v_add3_u32 v9, v9, v11, 0x7fff
	scratch_store_b32 off, v9, s32 offset:508 ; 4-byte Folded Spill
                                        ; implicit-def: $vgpr9
.LBB448_2739:                           ;   in Loop: Header=BB448_2342 Depth=1
	s_and_not1_saveexec_b32 s13, s0
	s_cbranch_execz .LBB448_2741
; %bb.2740:                             ;   in Loop: Header=BB448_2342 Depth=1
	v_and_b32_e32 v11, 0xffff, v9
	v_or_b32_e32 v12, 0x10000, v9
	s_delay_alu instid0(VALU_DEP_2) | instskip(NEXT) | instid1(VALU_DEP_1)
	v_cmp_eq_u32_e64 s0, 0, v11
	v_cndmask_b32_e64 v9, v12, v9, s0
	scratch_store_b32 off, v9, s32 offset:508 ; 4-byte Folded Spill
.LBB448_2741:                           ;   in Loop: Header=BB448_2342 Depth=1
	s_or_b32 exec_lo, exec_lo, s13
	v_lshlrev_b32_e32 v9, 16, v10
	s_delay_alu instid0(VALU_DEP_1) | instskip(NEXT) | instid1(VALU_DEP_1)
	v_mul_f32_e32 v9, v144, v9
	v_and_b32_e32 v10, 0x7f800000, v9
	s_delay_alu instid0(VALU_DEP_1) | instskip(NEXT) | instid1(VALU_DEP_1)
	v_cmp_ne_u32_e64 s0, 0x7f800000, v10
                                        ; implicit-def: $vgpr10
                                        ; kill: killed $vgpr10
	s_and_saveexec_b32 s13, s0
	s_delay_alu instid0(SALU_CYCLE_1)
	s_xor_b32 s0, exec_lo, s13
	s_cbranch_execz .LBB448_2743
; %bb.2742:                             ;   in Loop: Header=BB448_2342 Depth=1
	v_bfe_u32 v10, v9, 16, 1
	s_delay_alu instid0(VALU_DEP_1)
	v_add3_u32 v9, v9, v10, 0x7fff
	scratch_store_b32 off, v9, s32 offset:512 ; 4-byte Folded Spill
                                        ; implicit-def: $vgpr9
.LBB448_2743:                           ;   in Loop: Header=BB448_2342 Depth=1
	s_and_not1_saveexec_b32 s13, s0
	s_cbranch_execz .LBB448_2745
; %bb.2744:                             ;   in Loop: Header=BB448_2342 Depth=1
	v_and_b32_e32 v10, 0xffff, v9
	v_or_b32_e32 v11, 0x10000, v9
	s_delay_alu instid0(VALU_DEP_2) | instskip(NEXT) | instid1(VALU_DEP_1)
	v_cmp_eq_u32_e64 s0, 0, v10
	v_cndmask_b32_e64 v9, v11, v9, s0
	scratch_store_b32 off, v9, s32 offset:512 ; 4-byte Folded Spill
.LBB448_2745:                           ;   in Loop: Header=BB448_2342 Depth=1
	s_or_b32 exec_lo, exec_lo, s13
	v_lshlrev_b32_e32 v8, 16, v8
	s_delay_alu instid0(VALU_DEP_1) | instskip(NEXT) | instid1(VALU_DEP_1)
	v_mul_f32_e32 v8, v145, v8
	v_and_b32_e32 v9, 0x7f800000, v8
	s_delay_alu instid0(VALU_DEP_1) | instskip(NEXT) | instid1(VALU_DEP_1)
	v_cmp_ne_u32_e64 s0, 0x7f800000, v9
                                        ; implicit-def: $vgpr9
                                        ; kill: killed $vgpr9
	s_and_saveexec_b32 s13, s0
	s_delay_alu instid0(SALU_CYCLE_1)
	s_xor_b32 s0, exec_lo, s13
	s_cbranch_execz .LBB448_2747
; %bb.2746:                             ;   in Loop: Header=BB448_2342 Depth=1
	v_bfe_u32 v9, v8, 16, 1
	s_delay_alu instid0(VALU_DEP_1)
	v_add3_u32 v8, v8, v9, 0x7fff
	scratch_store_b32 off, v8, s32 offset:516 ; 4-byte Folded Spill
                                        ; implicit-def: $vgpr8
.LBB448_2747:                           ;   in Loop: Header=BB448_2342 Depth=1
	s_and_not1_saveexec_b32 s13, s0
	s_cbranch_execz .LBB448_2749
; %bb.2748:                             ;   in Loop: Header=BB448_2342 Depth=1
	v_and_b32_e32 v9, 0xffff, v8
	v_or_b32_e32 v10, 0x10000, v8
	s_delay_alu instid0(VALU_DEP_2) | instskip(NEXT) | instid1(VALU_DEP_1)
	v_cmp_eq_u32_e64 s0, 0, v9
	v_cndmask_b32_e64 v8, v10, v8, s0
	scratch_store_b32 off, v8, s32 offset:516 ; 4-byte Folded Spill
.LBB448_2749:                           ;   in Loop: Header=BB448_2342 Depth=1
	s_or_b32 exec_lo, exec_lo, s13
	v_lshlrev_b32_e32 v7, 16, v7
	s_delay_alu instid0(VALU_DEP_1) | instskip(NEXT) | instid1(VALU_DEP_1)
	v_mul_f32_e32 v7, v146, v7
	v_and_b32_e32 v8, 0x7f800000, v7
	s_delay_alu instid0(VALU_DEP_1) | instskip(NEXT) | instid1(VALU_DEP_1)
	v_cmp_ne_u32_e64 s0, 0x7f800000, v8
                                        ; implicit-def: $vgpr8
                                        ; kill: killed $vgpr8
	s_and_saveexec_b32 s13, s0
	s_delay_alu instid0(SALU_CYCLE_1)
	s_xor_b32 s0, exec_lo, s13
	s_cbranch_execz .LBB448_2751
; %bb.2750:                             ;   in Loop: Header=BB448_2342 Depth=1
	v_bfe_u32 v8, v7, 16, 1
	s_delay_alu instid0(VALU_DEP_1)
	v_add3_u32 v7, v7, v8, 0x7fff
	scratch_store_b32 off, v7, s32 offset:520 ; 4-byte Folded Spill
                                        ; implicit-def: $vgpr7
.LBB448_2751:                           ;   in Loop: Header=BB448_2342 Depth=1
	s_and_not1_saveexec_b32 s13, s0
	s_cbranch_execz .LBB448_2753
; %bb.2752:                             ;   in Loop: Header=BB448_2342 Depth=1
	v_and_b32_e32 v8, 0xffff, v7
	v_or_b32_e32 v9, 0x10000, v7
	s_delay_alu instid0(VALU_DEP_2) | instskip(NEXT) | instid1(VALU_DEP_1)
	v_cmp_eq_u32_e64 s0, 0, v8
	v_cndmask_b32_e64 v7, v9, v7, s0
	scratch_store_b32 off, v7, s32 offset:520 ; 4-byte Folded Spill
.LBB448_2753:                           ;   in Loop: Header=BB448_2342 Depth=1
	s_or_b32 exec_lo, exec_lo, s13
	v_lshlrev_b32_e32 v6, 16, v6
	s_delay_alu instid0(VALU_DEP_1) | instskip(NEXT) | instid1(VALU_DEP_1)
	v_mul_f32_e32 v6, v147, v6
	v_and_b32_e32 v7, 0x7f800000, v6
	s_delay_alu instid0(VALU_DEP_1) | instskip(NEXT) | instid1(VALU_DEP_1)
	v_cmp_ne_u32_e64 s0, 0x7f800000, v7
                                        ; implicit-def: $vgpr7
                                        ; kill: killed $vgpr7
	s_and_saveexec_b32 s13, s0
	s_delay_alu instid0(SALU_CYCLE_1)
	s_xor_b32 s0, exec_lo, s13
	s_cbranch_execz .LBB448_2755
; %bb.2754:                             ;   in Loop: Header=BB448_2342 Depth=1
	v_bfe_u32 v7, v6, 16, 1
	s_delay_alu instid0(VALU_DEP_1)
	v_add3_u32 v6, v6, v7, 0x7fff
	scratch_store_b32 off, v6, s32 offset:524 ; 4-byte Folded Spill
                                        ; implicit-def: $vgpr6
.LBB448_2755:                           ;   in Loop: Header=BB448_2342 Depth=1
	s_and_not1_saveexec_b32 s13, s0
	s_cbranch_execz .LBB448_2757
; %bb.2756:                             ;   in Loop: Header=BB448_2342 Depth=1
	v_and_b32_e32 v7, 0xffff, v6
	v_or_b32_e32 v8, 0x10000, v6
	s_delay_alu instid0(VALU_DEP_2) | instskip(NEXT) | instid1(VALU_DEP_1)
	v_cmp_eq_u32_e64 s0, 0, v7
	v_cndmask_b32_e64 v6, v8, v6, s0
	scratch_store_b32 off, v6, s32 offset:524 ; 4-byte Folded Spill
.LBB448_2757:                           ;   in Loop: Header=BB448_2342 Depth=1
	s_or_b32 exec_lo, exec_lo, s13
	v_lshlrev_b32_e32 v5, 16, v5
	s_delay_alu instid0(VALU_DEP_1) | instskip(NEXT) | instid1(VALU_DEP_1)
	v_mul_f32_e32 v5, v148, v5
	v_and_b32_e32 v6, 0x7f800000, v5
	s_delay_alu instid0(VALU_DEP_1) | instskip(NEXT) | instid1(VALU_DEP_1)
	v_cmp_ne_u32_e64 s0, 0x7f800000, v6
                                        ; implicit-def: $vgpr6
                                        ; kill: killed $vgpr6
	s_and_saveexec_b32 s13, s0
	s_delay_alu instid0(SALU_CYCLE_1)
	s_xor_b32 s0, exec_lo, s13
	s_cbranch_execz .LBB448_2759
; %bb.2758:                             ;   in Loop: Header=BB448_2342 Depth=1
	v_bfe_u32 v6, v5, 16, 1
	s_delay_alu instid0(VALU_DEP_1)
	v_add3_u32 v5, v5, v6, 0x7fff
	scratch_store_b32 off, v5, s32 offset:528 ; 4-byte Folded Spill
                                        ; implicit-def: $vgpr5
.LBB448_2759:                           ;   in Loop: Header=BB448_2342 Depth=1
	s_and_not1_saveexec_b32 s13, s0
	s_cbranch_execz .LBB448_2761
; %bb.2760:                             ;   in Loop: Header=BB448_2342 Depth=1
	v_and_b32_e32 v6, 0xffff, v5
	v_or_b32_e32 v7, 0x10000, v5
	s_delay_alu instid0(VALU_DEP_2) | instskip(NEXT) | instid1(VALU_DEP_1)
	v_cmp_eq_u32_e64 s0, 0, v6
	v_cndmask_b32_e64 v5, v7, v5, s0
	scratch_store_b32 off, v5, s32 offset:528 ; 4-byte Folded Spill
.LBB448_2761:                           ;   in Loop: Header=BB448_2342 Depth=1
	s_or_b32 exec_lo, exec_lo, s13
	v_lshlrev_b32_e32 v4, 16, v4
	s_delay_alu instid0(VALU_DEP_1) | instskip(NEXT) | instid1(VALU_DEP_1)
	v_mul_f32_e32 v4, v149, v4
	v_and_b32_e32 v5, 0x7f800000, v4
	s_delay_alu instid0(VALU_DEP_1) | instskip(NEXT) | instid1(VALU_DEP_1)
	v_cmp_ne_u32_e64 s0, 0x7f800000, v5
                                        ; implicit-def: $vgpr5
                                        ; kill: killed $vgpr5
	s_and_saveexec_b32 s13, s0
	s_delay_alu instid0(SALU_CYCLE_1)
	s_xor_b32 s0, exec_lo, s13
	s_cbranch_execz .LBB448_2763
; %bb.2762:                             ;   in Loop: Header=BB448_2342 Depth=1
	v_bfe_u32 v5, v4, 16, 1
	s_delay_alu instid0(VALU_DEP_1)
	v_add3_u32 v4, v4, v5, 0x7fff
	scratch_store_b32 off, v4, s32 offset:532 ; 4-byte Folded Spill
                                        ; implicit-def: $vgpr4
.LBB448_2763:                           ;   in Loop: Header=BB448_2342 Depth=1
	s_and_not1_saveexec_b32 s13, s0
	s_cbranch_execz .LBB448_2765
; %bb.2764:                             ;   in Loop: Header=BB448_2342 Depth=1
	v_and_b32_e32 v5, 0xffff, v4
	v_or_b32_e32 v6, 0x10000, v4
	s_delay_alu instid0(VALU_DEP_2) | instskip(NEXT) | instid1(VALU_DEP_1)
	v_cmp_eq_u32_e64 s0, 0, v5
	v_cndmask_b32_e64 v4, v6, v4, s0
	scratch_store_b32 off, v4, s32 offset:532 ; 4-byte Folded Spill
.LBB448_2765:                           ;   in Loop: Header=BB448_2342 Depth=1
	s_or_b32 exec_lo, exec_lo, s13
	flat_load_b64 v[6:7], v[2:3] offset:768
	s_mov_b32 s13, exec_lo
	s_waitcnt vmcnt(0) lgkmcnt(0)
	v_dual_mov_b32 v4, 0 :: v_dual_and_b32 v5, 0xff, v6
	s_delay_alu instid0(VALU_DEP_1)
	v_cmpx_ne_u16_e32 0, v5
	s_cbranch_execz .LBB448_2773
; %bb.2766:                             ;   in Loop: Header=BB448_2342 Depth=1
	v_bfrev_b32_e32 v4, 1
	s_mov_b32 s15, exec_lo
	v_cmpx_ne_u16_e32 0x80, v5
	s_cbranch_execz .LBB448_2772
; %bb.2767:                             ;   in Loop: Header=BB448_2342 Depth=1
	v_and_b32_e32 v5, 0x7f, v6
	v_mov_b32_e32 v4, 0x7f800001
	s_mov_b32 s16, exec_lo
	s_delay_alu instid0(VALU_DEP_2)
	v_cmpx_ne_u32_e32 0x7f, v5
	s_cbranch_execz .LBB448_2771
; %bb.2768:                             ;   in Loop: Header=BB448_2342 Depth=1
	v_lshrrev_b32_e32 v4, 3, v5
	v_dual_mov_b32 v9, v7 :: v_dual_mov_b32 v8, v6
	s_mov_b32 s17, exec_lo
	v_cmpx_gt_u32_e32 8, v5
; %bb.2769:                             ;   in Loop: Header=BB448_2342 Depth=1
	v_and_b32_e32 v4, 7, v6
	s_delay_alu instid0(VALU_DEP_1) | instskip(NEXT) | instid1(VALU_DEP_1)
	v_clz_i32_u32_e32 v4, v4
	v_min_u32_e32 v4, 32, v4
	s_delay_alu instid0(VALU_DEP_1) | instskip(SKIP_1) | instid1(VALU_DEP_2)
	v_subrev_nc_u32_e32 v5, 28, v4
	v_sub_nc_u32_e32 v4, 29, v4
	v_lshlrev_b64 v[8:9], v5, v[6:7]
; %bb.2770:                             ;   in Loop: Header=BB448_2342 Depth=1
	s_or_b32 exec_lo, exec_lo, s17
	s_delay_alu instid0(VALU_DEP_1) | instskip(SKIP_2) | instid1(VALU_DEP_3)
	v_lshlrev_b32_e32 v5, 20, v8
	v_lshlrev_b32_e32 v8, 24, v6
	v_lshl_add_u32 v4, v4, 23, 0x3c000000
	v_and_b32_e32 v5, 0x700000, v5
	s_delay_alu instid0(VALU_DEP_3) | instskip(NEXT) | instid1(VALU_DEP_1)
	v_and_b32_e32 v8, 0x80000000, v8
	v_or3_b32 v4, v5, v8, v4
.LBB448_2771:                           ;   in Loop: Header=BB448_2342 Depth=1
	s_or_b32 exec_lo, exec_lo, s16
.LBB448_2772:                           ;   in Loop: Header=BB448_2342 Depth=1
	s_delay_alu instid0(SALU_CYCLE_1)
	s_or_b32 exec_lo, exec_lo, s15
.LBB448_2773:                           ;   in Loop: Header=BB448_2342 Depth=1
	s_delay_alu instid0(SALU_CYCLE_1) | instskip(NEXT) | instid1(VALU_DEP_1)
	s_or_b32 exec_lo, exec_lo, s13
	v_mul_f32_e32 v5, v118, v4
	s_delay_alu instid0(VALU_DEP_1) | instskip(NEXT) | instid1(VALU_DEP_1)
	v_and_b32_e32 v4, 0x7f800000, v5
	v_cmp_ne_u32_e64 s0, 0x7f800000, v4
                                        ; implicit-def: $vgpr4
	s_delay_alu instid0(VALU_DEP_1) | instskip(NEXT) | instid1(SALU_CYCLE_1)
	s_and_saveexec_b32 s13, s0
	s_xor_b32 s0, exec_lo, s13
; %bb.2774:                             ;   in Loop: Header=BB448_2342 Depth=1
	v_bfe_u32 v4, v5, 16, 1
	s_delay_alu instid0(VALU_DEP_1)
	v_add3_u32 v4, v5, v4, 0x7fff
                                        ; implicit-def: $vgpr5
; %bb.2775:                             ;   in Loop: Header=BB448_2342 Depth=1
	s_and_not1_saveexec_b32 s13, s0
; %bb.2776:                             ;   in Loop: Header=BB448_2342 Depth=1
	v_and_b32_e32 v4, 0xffff, v5
	v_or_b32_e32 v8, 0x10000, v5
	s_delay_alu instid0(VALU_DEP_2) | instskip(NEXT) | instid1(VALU_DEP_1)
	v_cmp_eq_u32_e64 s0, 0, v4
	v_cndmask_b32_e64 v4, v8, v5, s0
; %bb.2777:                             ;   in Loop: Header=BB448_2342 Depth=1
	s_or_b32 exec_lo, exec_lo, s13
	v_lshrrev_b16 v8, 8, v6
	v_mov_b32_e32 v5, 0
	s_mov_b32 s13, exec_lo
	s_delay_alu instid0(VALU_DEP_2)
	v_cmpx_ne_u16_e32 0, v8
	s_cbranch_execz .LBB448_2785
; %bb.2778:                             ;   in Loop: Header=BB448_2342 Depth=1
	v_bfrev_b32_e32 v5, 1
	s_mov_b32 s15, exec_lo
	v_cmpx_ne_u16_e32 0x80, v8
	s_cbranch_execz .LBB448_2784
; %bb.2779:                             ;   in Loop: Header=BB448_2342 Depth=1
	v_and_b32_e32 v9, 0xffff, v8
	v_mov_b32_e32 v5, 0x7f800001
	s_mov_b32 s16, exec_lo
	s_delay_alu instid0(VALU_DEP_2) | instskip(NEXT) | instid1(VALU_DEP_1)
	v_and_b32_e32 v8, 0x7f, v9
	v_cmpx_ne_u32_e32 0x7f, v8
	s_cbranch_execz .LBB448_2783
; %bb.2780:                             ;   in Loop: Header=BB448_2342 Depth=1
	v_and_b32_e32 v12, 7, v9
	v_lshrrev_b32_e32 v5, 3, v8
	v_cmp_gt_u32_e64 s0, 8, v8
	s_delay_alu instid0(VALU_DEP_3) | instskip(NEXT) | instid1(VALU_DEP_2)
	v_dual_mov_b32 v8, v12 :: v_dual_mov_b32 v9, v13
	s_and_saveexec_b32 s17, s0
; %bb.2781:                             ;   in Loop: Header=BB448_2342 Depth=1
	v_clz_i32_u32_e32 v5, v12
	s_delay_alu instid0(VALU_DEP_1) | instskip(NEXT) | instid1(VALU_DEP_1)
	v_min_u32_e32 v5, 32, v5
	v_subrev_nc_u32_e32 v8, 28, v5
	v_sub_nc_u32_e32 v5, 29, v5
	s_delay_alu instid0(VALU_DEP_2) | instskip(NEXT) | instid1(VALU_DEP_1)
	v_lshlrev_b64 v[8:9], v8, v[12:13]
	v_and_b32_e32 v8, 7, v8
; %bb.2782:                             ;   in Loop: Header=BB448_2342 Depth=1
	s_or_b32 exec_lo, exec_lo, s17
	v_lshlrev_b32_e32 v9, 16, v6
	s_delay_alu instid0(VALU_DEP_2) | instskip(SKIP_1) | instid1(VALU_DEP_3)
	v_lshlrev_b32_e32 v8, 20, v8
	v_lshl_add_u32 v5, v5, 23, 0x3c000000
	v_and_b32_e32 v9, 0x80000000, v9
	s_delay_alu instid0(VALU_DEP_1)
	v_or3_b32 v5, v8, v9, v5
.LBB448_2783:                           ;   in Loop: Header=BB448_2342 Depth=1
	s_or_b32 exec_lo, exec_lo, s16
.LBB448_2784:                           ;   in Loop: Header=BB448_2342 Depth=1
	s_delay_alu instid0(SALU_CYCLE_1)
	s_or_b32 exec_lo, exec_lo, s15
.LBB448_2785:                           ;   in Loop: Header=BB448_2342 Depth=1
	s_delay_alu instid0(SALU_CYCLE_1) | instskip(NEXT) | instid1(VALU_DEP_1)
	s_or_b32 exec_lo, exec_lo, s13
	v_mul_f32_e32 v8, v118, v5
	s_delay_alu instid0(VALU_DEP_1) | instskip(NEXT) | instid1(VALU_DEP_1)
	v_and_b32_e32 v5, 0x7f800000, v8
	v_cmp_ne_u32_e64 s0, 0x7f800000, v5
                                        ; implicit-def: $vgpr5
	s_delay_alu instid0(VALU_DEP_1) | instskip(NEXT) | instid1(SALU_CYCLE_1)
	s_and_saveexec_b32 s13, s0
	s_xor_b32 s0, exec_lo, s13
; %bb.2786:                             ;   in Loop: Header=BB448_2342 Depth=1
	v_bfe_u32 v5, v8, 16, 1
	s_delay_alu instid0(VALU_DEP_1)
	v_add3_u32 v5, v8, v5, 0x7fff
                                        ; implicit-def: $vgpr8
; %bb.2787:                             ;   in Loop: Header=BB448_2342 Depth=1
	s_and_not1_saveexec_b32 s13, s0
; %bb.2788:                             ;   in Loop: Header=BB448_2342 Depth=1
	v_and_b32_e32 v5, 0xffff, v8
	v_or_b32_e32 v9, 0x10000, v8
	s_delay_alu instid0(VALU_DEP_2) | instskip(NEXT) | instid1(VALU_DEP_1)
	v_cmp_eq_u32_e64 s0, 0, v5
	v_cndmask_b32_e64 v5, v9, v8, s0
; %bb.2789:                             ;   in Loop: Header=BB448_2342 Depth=1
	s_or_b32 exec_lo, exec_lo, s13
	v_lshrrev_b32_e32 v10, 16, v6
	s_mov_b32 s13, exec_lo
	s_delay_alu instid0(VALU_DEP_1) | instskip(NEXT) | instid1(VALU_DEP_1)
	v_dual_mov_b32 v8, 0 :: v_dual_and_b32 v9, 0xff, v10
	v_cmpx_ne_u16_e32 0, v9
	s_cbranch_execz .LBB448_2797
; %bb.2790:                             ;   in Loop: Header=BB448_2342 Depth=1
	v_bfrev_b32_e32 v8, 1
	s_mov_b32 s15, exec_lo
	v_cmpx_ne_u16_e32 0x80, v9
	s_cbranch_execz .LBB448_2796
; %bb.2791:                             ;   in Loop: Header=BB448_2342 Depth=1
	v_bfe_u32 v9, v6, 16, 7
	v_mov_b32_e32 v8, 0x7f800001
	s_mov_b32 s16, exec_lo
	s_delay_alu instid0(VALU_DEP_2)
	v_cmpx_ne_u32_e32 0x7f, v9
	s_cbranch_execz .LBB448_2795
; %bb.2792:                             ;   in Loop: Header=BB448_2342 Depth=1
	v_and_b32_e32 v12, 7, v10
	v_lshrrev_b32_e32 v11, 3, v9
	v_cmp_gt_u32_e64 s0, 8, v9
	s_delay_alu instid0(VALU_DEP_3) | instskip(NEXT) | instid1(VALU_DEP_2)
	v_dual_mov_b32 v8, v12 :: v_dual_mov_b32 v9, v13
	s_and_saveexec_b32 s17, s0
; %bb.2793:                             ;   in Loop: Header=BB448_2342 Depth=1
	v_clz_i32_u32_e32 v8, v12
	s_delay_alu instid0(VALU_DEP_1) | instskip(NEXT) | instid1(VALU_DEP_1)
	v_min_u32_e32 v11, 32, v8
	v_subrev_nc_u32_e32 v8, 28, v11
	v_sub_nc_u32_e32 v11, 29, v11
	s_delay_alu instid0(VALU_DEP_2) | instskip(NEXT) | instid1(VALU_DEP_1)
	v_lshlrev_b64 v[8:9], v8, v[12:13]
	v_and_b32_e32 v8, 7, v8
; %bb.2794:                             ;   in Loop: Header=BB448_2342 Depth=1
	s_or_b32 exec_lo, exec_lo, s17
	v_lshlrev_b32_e32 v9, 24, v10
	s_delay_alu instid0(VALU_DEP_2) | instskip(SKIP_1) | instid1(VALU_DEP_3)
	v_lshlrev_b32_e32 v8, 20, v8
	v_lshl_add_u32 v10, v11, 23, 0x3c000000
	v_and_b32_e32 v9, 0x80000000, v9
	s_delay_alu instid0(VALU_DEP_1)
	v_or3_b32 v8, v8, v9, v10
.LBB448_2795:                           ;   in Loop: Header=BB448_2342 Depth=1
	s_or_b32 exec_lo, exec_lo, s16
.LBB448_2796:                           ;   in Loop: Header=BB448_2342 Depth=1
	s_delay_alu instid0(SALU_CYCLE_1)
	s_or_b32 exec_lo, exec_lo, s15
.LBB448_2797:                           ;   in Loop: Header=BB448_2342 Depth=1
	s_delay_alu instid0(SALU_CYCLE_1) | instskip(NEXT) | instid1(VALU_DEP_1)
	s_or_b32 exec_lo, exec_lo, s13
	v_mul_f32_e32 v8, v118, v8
                                        ; implicit-def: $vgpr10
	s_delay_alu instid0(VALU_DEP_1) | instskip(NEXT) | instid1(VALU_DEP_1)
	v_and_b32_e32 v9, 0x7f800000, v8
	v_cmp_ne_u32_e64 s0, 0x7f800000, v9
	s_delay_alu instid0(VALU_DEP_1) | instskip(NEXT) | instid1(SALU_CYCLE_1)
	s_and_saveexec_b32 s13, s0
	s_xor_b32 s0, exec_lo, s13
; %bb.2798:                             ;   in Loop: Header=BB448_2342 Depth=1
	v_bfe_u32 v9, v8, 16, 1
	s_delay_alu instid0(VALU_DEP_1)
	v_add3_u32 v10, v8, v9, 0x7fff
                                        ; implicit-def: $vgpr8
; %bb.2799:                             ;   in Loop: Header=BB448_2342 Depth=1
	s_and_not1_saveexec_b32 s13, s0
; %bb.2800:                             ;   in Loop: Header=BB448_2342 Depth=1
	v_and_b32_e32 v9, 0xffff, v8
	v_or_b32_e32 v10, 0x10000, v8
	s_delay_alu instid0(VALU_DEP_2) | instskip(NEXT) | instid1(VALU_DEP_1)
	v_cmp_eq_u32_e64 s0, 0, v9
	v_cndmask_b32_e64 v10, v10, v8, s0
; %bb.2801:                             ;   in Loop: Header=BB448_2342 Depth=1
	s_or_b32 exec_lo, exec_lo, s13
	v_mov_b32_e32 v8, 0
	s_mov_b32 s13, exec_lo
	v_cmpx_lt_u32_e32 0xffffff, v6
	s_cbranch_execz .LBB448_2809
; %bb.2802:                             ;   in Loop: Header=BB448_2342 Depth=1
	v_lshrrev_b32_e32 v11, 24, v6
	v_bfrev_b32_e32 v8, 1
	s_mov_b32 s15, exec_lo
	s_delay_alu instid0(VALU_DEP_2)
	v_cmpx_ne_u32_e32 0x80, v11
	s_cbranch_execz .LBB448_2808
; %bb.2803:                             ;   in Loop: Header=BB448_2342 Depth=1
	v_bfe_u32 v9, v6, 24, 7
	v_mov_b32_e32 v8, 0x7f800001
	s_mov_b32 s16, exec_lo
	s_delay_alu instid0(VALU_DEP_2)
	v_cmpx_ne_u32_e32 0x7f, v9
	s_cbranch_execz .LBB448_2807
; %bb.2804:                             ;   in Loop: Header=BB448_2342 Depth=1
	v_and_b32_e32 v12, 7, v11
	v_lshrrev_b32_e32 v14, 3, v9
	v_cmp_gt_u32_e64 s0, 8, v9
	s_delay_alu instid0(VALU_DEP_3) | instskip(NEXT) | instid1(VALU_DEP_2)
	v_dual_mov_b32 v8, v12 :: v_dual_mov_b32 v9, v13
	s_and_saveexec_b32 s17, s0
; %bb.2805:                             ;   in Loop: Header=BB448_2342 Depth=1
	v_clz_i32_u32_e32 v8, v12
	s_delay_alu instid0(VALU_DEP_1) | instskip(NEXT) | instid1(VALU_DEP_1)
	v_min_u32_e32 v14, 32, v8
	v_subrev_nc_u32_e32 v8, 28, v14
	v_sub_nc_u32_e32 v14, 29, v14
	s_delay_alu instid0(VALU_DEP_2) | instskip(NEXT) | instid1(VALU_DEP_1)
	v_lshlrev_b64 v[8:9], v8, v[12:13]
	v_and_b32_e32 v8, 7, v8
; %bb.2806:                             ;   in Loop: Header=BB448_2342 Depth=1
	s_or_b32 exec_lo, exec_lo, s17
	v_lshlrev_b32_e32 v9, 24, v11
	s_delay_alu instid0(VALU_DEP_2) | instskip(SKIP_1) | instid1(VALU_DEP_3)
	v_lshlrev_b32_e32 v8, 20, v8
	v_lshl_add_u32 v11, v14, 23, 0x3c000000
	v_and_b32_e32 v9, 0x80000000, v9
	s_delay_alu instid0(VALU_DEP_1)
	v_or3_b32 v8, v8, v9, v11
.LBB448_2807:                           ;   in Loop: Header=BB448_2342 Depth=1
	s_or_b32 exec_lo, exec_lo, s16
.LBB448_2808:                           ;   in Loop: Header=BB448_2342 Depth=1
	s_delay_alu instid0(SALU_CYCLE_1)
	s_or_b32 exec_lo, exec_lo, s15
.LBB448_2809:                           ;   in Loop: Header=BB448_2342 Depth=1
	s_delay_alu instid0(SALU_CYCLE_1) | instskip(NEXT) | instid1(VALU_DEP_1)
	s_or_b32 exec_lo, exec_lo, s13
	v_mul_f32_e32 v8, v118, v8
                                        ; implicit-def: $vgpr11
	s_delay_alu instid0(VALU_DEP_1) | instskip(NEXT) | instid1(VALU_DEP_1)
	v_and_b32_e32 v9, 0x7f800000, v8
	v_cmp_ne_u32_e64 s0, 0x7f800000, v9
	s_delay_alu instid0(VALU_DEP_1) | instskip(NEXT) | instid1(SALU_CYCLE_1)
	s_and_saveexec_b32 s13, s0
	s_xor_b32 s0, exec_lo, s13
; %bb.2810:                             ;   in Loop: Header=BB448_2342 Depth=1
	v_bfe_u32 v9, v8, 16, 1
	s_delay_alu instid0(VALU_DEP_1)
	v_add3_u32 v11, v8, v9, 0x7fff
                                        ; implicit-def: $vgpr8
; %bb.2811:                             ;   in Loop: Header=BB448_2342 Depth=1
	s_and_not1_saveexec_b32 s13, s0
; %bb.2812:                             ;   in Loop: Header=BB448_2342 Depth=1
	v_and_b32_e32 v9, 0xffff, v8
	v_or_b32_e32 v11, 0x10000, v8
	s_delay_alu instid0(VALU_DEP_2) | instskip(NEXT) | instid1(VALU_DEP_1)
	v_cmp_eq_u32_e64 s0, 0, v9
	v_cndmask_b32_e64 v11, v11, v8, s0
; %bb.2813:                             ;   in Loop: Header=BB448_2342 Depth=1
	s_or_b32 exec_lo, exec_lo, s13
	v_dual_mov_b32 v12, v7 :: v_dual_and_b32 v9, 0xff, v7
	v_mov_b32_e32 v8, 0
	s_mov_b32 s13, exec_lo
	s_delay_alu instid0(VALU_DEP_2)
	v_cmpx_ne_u16_e32 0, v9
	s_cbranch_execz .LBB448_2821
; %bb.2814:                             ;   in Loop: Header=BB448_2342 Depth=1
	v_bfrev_b32_e32 v8, 1
	s_mov_b32 s15, exec_lo
	v_cmpx_ne_u16_e32 0x80, v9
	s_cbranch_execz .LBB448_2820
; %bb.2815:                             ;   in Loop: Header=BB448_2342 Depth=1
	v_and_b32_e32 v9, 0x7f, v7
	v_mov_b32_e32 v8, 0x7f800001
	s_mov_b32 s16, exec_lo
	s_delay_alu instid0(VALU_DEP_2)
	v_cmpx_ne_u32_e32 0x7f, v9
	s_cbranch_execz .LBB448_2819
; %bb.2816:                             ;   in Loop: Header=BB448_2342 Depth=1
	v_lshrrev_b32_e32 v14, 3, v9
	v_cmp_gt_u32_e64 s0, 8, v9
	v_dual_mov_b32 v8, v12 :: v_dual_mov_b32 v9, v13
	s_delay_alu instid0(VALU_DEP_2)
	s_and_saveexec_b32 s17, s0
; %bb.2817:                             ;   in Loop: Header=BB448_2342 Depth=1
	v_and_b32_e32 v8, 7, v7
	s_delay_alu instid0(VALU_DEP_1) | instskip(NEXT) | instid1(VALU_DEP_1)
	v_clz_i32_u32_e32 v8, v8
	v_min_u32_e32 v14, 32, v8
	s_delay_alu instid0(VALU_DEP_1) | instskip(SKIP_1) | instid1(VALU_DEP_2)
	v_subrev_nc_u32_e32 v8, 28, v14
	v_sub_nc_u32_e32 v14, 29, v14
	v_lshlrev_b64 v[8:9], v8, v[12:13]
; %bb.2818:                             ;   in Loop: Header=BB448_2342 Depth=1
	s_or_b32 exec_lo, exec_lo, s17
	s_delay_alu instid0(VALU_DEP_1) | instskip(SKIP_2) | instid1(VALU_DEP_3)
	v_lshlrev_b32_e32 v8, 20, v8
	v_lshlrev_b32_e32 v9, 24, v12
	v_lshl_add_u32 v14, v14, 23, 0x3c000000
	v_and_b32_e32 v8, 0x700000, v8
	s_delay_alu instid0(VALU_DEP_3) | instskip(NEXT) | instid1(VALU_DEP_1)
	v_and_b32_e32 v9, 0x80000000, v9
	v_or3_b32 v8, v8, v9, v14
.LBB448_2819:                           ;   in Loop: Header=BB448_2342 Depth=1
	s_or_b32 exec_lo, exec_lo, s16
.LBB448_2820:                           ;   in Loop: Header=BB448_2342 Depth=1
	s_delay_alu instid0(SALU_CYCLE_1)
	s_or_b32 exec_lo, exec_lo, s15
.LBB448_2821:                           ;   in Loop: Header=BB448_2342 Depth=1
	s_delay_alu instid0(SALU_CYCLE_1) | instskip(NEXT) | instid1(VALU_DEP_1)
	s_or_b32 exec_lo, exec_lo, s13
	v_mul_f32_e32 v8, v118, v8
                                        ; implicit-def: $vgpr14
	s_delay_alu instid0(VALU_DEP_1) | instskip(NEXT) | instid1(VALU_DEP_1)
	v_and_b32_e32 v9, 0x7f800000, v8
	v_cmp_ne_u32_e64 s0, 0x7f800000, v9
	s_delay_alu instid0(VALU_DEP_1) | instskip(NEXT) | instid1(SALU_CYCLE_1)
	s_and_saveexec_b32 s13, s0
	s_xor_b32 s0, exec_lo, s13
; %bb.2822:                             ;   in Loop: Header=BB448_2342 Depth=1
	v_bfe_u32 v9, v8, 16, 1
	s_delay_alu instid0(VALU_DEP_1)
	v_add3_u32 v14, v8, v9, 0x7fff
                                        ; implicit-def: $vgpr8
; %bb.2823:                             ;   in Loop: Header=BB448_2342 Depth=1
	s_and_not1_saveexec_b32 s13, s0
; %bb.2824:                             ;   in Loop: Header=BB448_2342 Depth=1
	v_and_b32_e32 v9, 0xffff, v8
	v_or_b32_e32 v14, 0x10000, v8
	s_delay_alu instid0(VALU_DEP_2) | instskip(NEXT) | instid1(VALU_DEP_1)
	v_cmp_eq_u32_e64 s0, 0, v9
	v_cndmask_b32_e64 v14, v14, v8, s0
; %bb.2825:                             ;   in Loop: Header=BB448_2342 Depth=1
	s_or_b32 exec_lo, exec_lo, s13
	v_lshrrev_b16 v9, 8, v12
	v_mov_b32_e32 v8, 0
	s_mov_b32 s13, exec_lo
	s_delay_alu instid0(VALU_DEP_2)
	v_cmpx_ne_u16_e32 0, v9
	s_cbranch_execz .LBB448_2833
; %bb.2826:                             ;   in Loop: Header=BB448_2342 Depth=1
	v_bfrev_b32_e32 v8, 1
	s_mov_b32 s15, exec_lo
	v_cmpx_ne_u16_e32 0x80, v9
	s_cbranch_execz .LBB448_2832
; %bb.2827:                             ;   in Loop: Header=BB448_2342 Depth=1
	v_and_b32_e32 v9, 0xffff, v9
	v_mov_b32_e32 v8, 0x7f800001
	s_mov_b32 s16, exec_lo
	s_delay_alu instid0(VALU_DEP_2) | instskip(NEXT) | instid1(VALU_DEP_1)
	v_and_b32_e32 v16, 0x7f, v9
	v_cmpx_ne_u32_e32 0x7f, v16
	s_cbranch_execz .LBB448_2831
; %bb.2828:                             ;   in Loop: Header=BB448_2342 Depth=1
	v_dual_mov_b32 v9, v13 :: v_dual_and_b32 v8, 7, v9
	v_lshrrev_b32_e32 v15, 3, v16
	s_mov_b32 s17, exec_lo
	v_cmpx_gt_u32_e32 8, v16
; %bb.2829:                             ;   in Loop: Header=BB448_2342 Depth=1
	s_delay_alu instid0(VALU_DEP_3) | instskip(NEXT) | instid1(VALU_DEP_1)
	v_clz_i32_u32_e32 v15, v8
	v_min_u32_e32 v15, 32, v15
	s_delay_alu instid0(VALU_DEP_1) | instskip(SKIP_1) | instid1(VALU_DEP_2)
	v_subrev_nc_u32_e32 v16, 28, v15
	v_sub_nc_u32_e32 v15, 29, v15
	v_lshlrev_b64 v[8:9], v16, v[8:9]
	s_delay_alu instid0(VALU_DEP_1)
	v_and_b32_e32 v8, 7, v8
; %bb.2830:                             ;   in Loop: Header=BB448_2342 Depth=1
	s_or_b32 exec_lo, exec_lo, s17
	v_lshlrev_b32_e32 v9, 16, v12
	s_delay_alu instid0(VALU_DEP_2) | instskip(SKIP_1) | instid1(VALU_DEP_3)
	v_lshlrev_b32_e32 v8, 20, v8
	v_lshl_add_u32 v12, v15, 23, 0x3c000000
	v_and_b32_e32 v9, 0x80000000, v9
	s_delay_alu instid0(VALU_DEP_1)
	v_or3_b32 v8, v8, v9, v12
.LBB448_2831:                           ;   in Loop: Header=BB448_2342 Depth=1
	s_or_b32 exec_lo, exec_lo, s16
.LBB448_2832:                           ;   in Loop: Header=BB448_2342 Depth=1
	s_delay_alu instid0(SALU_CYCLE_1)
	s_or_b32 exec_lo, exec_lo, s15
.LBB448_2833:                           ;   in Loop: Header=BB448_2342 Depth=1
	s_delay_alu instid0(SALU_CYCLE_1) | instskip(NEXT) | instid1(VALU_DEP_1)
	s_or_b32 exec_lo, exec_lo, s13
	v_mul_f32_e32 v8, v118, v8
                                        ; implicit-def: $vgpr15
	s_delay_alu instid0(VALU_DEP_1) | instskip(NEXT) | instid1(VALU_DEP_1)
	v_and_b32_e32 v9, 0x7f800000, v8
	v_cmp_ne_u32_e64 s0, 0x7f800000, v9
	s_delay_alu instid0(VALU_DEP_1) | instskip(NEXT) | instid1(SALU_CYCLE_1)
	s_and_saveexec_b32 s13, s0
	s_xor_b32 s0, exec_lo, s13
; %bb.2834:                             ;   in Loop: Header=BB448_2342 Depth=1
	v_bfe_u32 v9, v8, 16, 1
	s_delay_alu instid0(VALU_DEP_1)
	v_add3_u32 v15, v8, v9, 0x7fff
                                        ; implicit-def: $vgpr8
; %bb.2835:                             ;   in Loop: Header=BB448_2342 Depth=1
	s_and_not1_saveexec_b32 s13, s0
; %bb.2836:                             ;   in Loop: Header=BB448_2342 Depth=1
	v_and_b32_e32 v9, 0xffff, v8
	v_or_b32_e32 v12, 0x10000, v8
	s_delay_alu instid0(VALU_DEP_2) | instskip(NEXT) | instid1(VALU_DEP_1)
	v_cmp_eq_u32_e64 s0, 0, v9
	v_cndmask_b32_e64 v15, v12, v8, s0
; %bb.2837:                             ;   in Loop: Header=BB448_2342 Depth=1
	s_or_b32 exec_lo, exec_lo, s13
	v_lshrrev_b32_e32 v16, 16, v7
	s_mov_b32 s13, exec_lo
	s_delay_alu instid0(VALU_DEP_1) | instskip(NEXT) | instid1(VALU_DEP_1)
	v_dual_mov_b32 v8, 0 :: v_dual_and_b32 v9, 0xff, v16
	v_cmpx_ne_u16_e32 0, v9
	s_cbranch_execz .LBB448_2845
; %bb.2838:                             ;   in Loop: Header=BB448_2342 Depth=1
	v_bfrev_b32_e32 v8, 1
	s_mov_b32 s15, exec_lo
	v_cmpx_ne_u16_e32 0x80, v9
	s_cbranch_execz .LBB448_2844
; %bb.2839:                             ;   in Loop: Header=BB448_2342 Depth=1
	v_bfe_u32 v9, v7, 16, 7
	v_mov_b32_e32 v8, 0x7f800001
	s_mov_b32 s16, exec_lo
	s_delay_alu instid0(VALU_DEP_2)
	v_cmpx_ne_u32_e32 0x7f, v9
	s_cbranch_execz .LBB448_2843
; %bb.2840:                             ;   in Loop: Header=BB448_2342 Depth=1
	v_and_b32_e32 v12, 7, v16
	v_lshrrev_b32_e32 v18, 3, v9
	v_cmp_gt_u32_e64 s0, 8, v9
	s_delay_alu instid0(VALU_DEP_3) | instskip(NEXT) | instid1(VALU_DEP_2)
	v_dual_mov_b32 v8, v12 :: v_dual_mov_b32 v9, v13
	s_and_saveexec_b32 s17, s0
; %bb.2841:                             ;   in Loop: Header=BB448_2342 Depth=1
	v_clz_i32_u32_e32 v8, v12
	s_delay_alu instid0(VALU_DEP_1) | instskip(NEXT) | instid1(VALU_DEP_1)
	v_min_u32_e32 v18, 32, v8
	v_subrev_nc_u32_e32 v8, 28, v18
	v_sub_nc_u32_e32 v18, 29, v18
	s_delay_alu instid0(VALU_DEP_2) | instskip(NEXT) | instid1(VALU_DEP_1)
	v_lshlrev_b64 v[8:9], v8, v[12:13]
	v_and_b32_e32 v8, 7, v8
; %bb.2842:                             ;   in Loop: Header=BB448_2342 Depth=1
	s_or_b32 exec_lo, exec_lo, s17
	v_lshlrev_b32_e32 v9, 24, v16
	s_delay_alu instid0(VALU_DEP_2) | instskip(SKIP_1) | instid1(VALU_DEP_3)
	v_lshlrev_b32_e32 v8, 20, v8
	v_lshl_add_u32 v12, v18, 23, 0x3c000000
	v_and_b32_e32 v9, 0x80000000, v9
	s_delay_alu instid0(VALU_DEP_1)
	v_or3_b32 v8, v8, v9, v12
.LBB448_2843:                           ;   in Loop: Header=BB448_2342 Depth=1
	s_or_b32 exec_lo, exec_lo, s16
.LBB448_2844:                           ;   in Loop: Header=BB448_2342 Depth=1
	s_delay_alu instid0(SALU_CYCLE_1)
	s_or_b32 exec_lo, exec_lo, s15
.LBB448_2845:                           ;   in Loop: Header=BB448_2342 Depth=1
	s_delay_alu instid0(SALU_CYCLE_1) | instskip(NEXT) | instid1(VALU_DEP_1)
	s_or_b32 exec_lo, exec_lo, s13
	v_mul_f32_e32 v8, v118, v8
	s_delay_alu instid0(VALU_DEP_1) | instskip(NEXT) | instid1(VALU_DEP_1)
	v_and_b32_e32 v9, 0x7f800000, v8
	v_cmp_ne_u32_e64 s0, 0x7f800000, v9
                                        ; implicit-def: $vgpr9
	s_delay_alu instid0(VALU_DEP_1) | instskip(NEXT) | instid1(SALU_CYCLE_1)
	s_and_saveexec_b32 s13, s0
	s_xor_b32 s0, exec_lo, s13
; %bb.2846:                             ;   in Loop: Header=BB448_2342 Depth=1
	v_bfe_u32 v9, v8, 16, 1
	s_delay_alu instid0(VALU_DEP_1)
	v_add3_u32 v9, v8, v9, 0x7fff
                                        ; implicit-def: $vgpr8
; %bb.2847:                             ;   in Loop: Header=BB448_2342 Depth=1
	s_and_not1_saveexec_b32 s13, s0
; %bb.2848:                             ;   in Loop: Header=BB448_2342 Depth=1
	v_and_b32_e32 v9, 0xffff, v8
	v_or_b32_e32 v12, 0x10000, v8
	s_delay_alu instid0(VALU_DEP_2) | instskip(NEXT) | instid1(VALU_DEP_1)
	v_cmp_eq_u32_e64 s0, 0, v9
	v_cndmask_b32_e64 v9, v12, v8, s0
; %bb.2849:                             ;   in Loop: Header=BB448_2342 Depth=1
	s_or_b32 exec_lo, exec_lo, s13
	v_cmp_lt_u64_e64 s0, s[8:9], v[6:7]
	v_mov_b32_e32 v6, 0
	s_delay_alu instid0(VALU_DEP_2)
	s_and_saveexec_b32 s13, s0
	s_cbranch_execz .LBB448_2857
; %bb.2850:                             ;   in Loop: Header=BB448_2342 Depth=1
	v_lshrrev_b32_e32 v8, 24, v7
	v_bfrev_b32_e32 v6, 1
	s_mov_b32 s15, exec_lo
	s_delay_alu instid0(VALU_DEP_2)
	v_cmpx_ne_u32_e32 0x80, v8
	s_cbranch_execz .LBB448_2856
; %bb.2851:                             ;   in Loop: Header=BB448_2342 Depth=1
	v_bfe_u32 v7, v7, 24, 7
	v_mov_b32_e32 v6, 0x7f800001
	s_mov_b32 s16, exec_lo
	s_delay_alu instid0(VALU_DEP_2)
	v_cmpx_ne_u32_e32 0x7f, v7
	s_cbranch_execz .LBB448_2855
; %bb.2852:                             ;   in Loop: Header=BB448_2342 Depth=1
	v_and_b32_e32 v12, 7, v8
	v_lshrrev_b32_e32 v16, 3, v7
	v_cmp_gt_u32_e64 s0, 8, v7
	s_delay_alu instid0(VALU_DEP_3) | instskip(NEXT) | instid1(VALU_DEP_2)
	v_dual_mov_b32 v6, v12 :: v_dual_mov_b32 v7, v13
	s_and_saveexec_b32 s17, s0
; %bb.2853:                             ;   in Loop: Header=BB448_2342 Depth=1
	v_clz_i32_u32_e32 v6, v12
	s_delay_alu instid0(VALU_DEP_1) | instskip(NEXT) | instid1(VALU_DEP_1)
	v_min_u32_e32 v16, 32, v6
	v_subrev_nc_u32_e32 v6, 28, v16
	v_sub_nc_u32_e32 v16, 29, v16
	s_delay_alu instid0(VALU_DEP_2) | instskip(NEXT) | instid1(VALU_DEP_1)
	v_lshlrev_b64 v[6:7], v6, v[12:13]
	v_and_b32_e32 v6, 7, v6
; %bb.2854:                             ;   in Loop: Header=BB448_2342 Depth=1
	s_or_b32 exec_lo, exec_lo, s17
	v_lshlrev_b32_e32 v7, 24, v8
	s_delay_alu instid0(VALU_DEP_2) | instskip(SKIP_1) | instid1(VALU_DEP_3)
	v_lshlrev_b32_e32 v6, 20, v6
	v_lshl_add_u32 v8, v16, 23, 0x3c000000
	v_and_b32_e32 v7, 0x80000000, v7
	s_delay_alu instid0(VALU_DEP_1)
	v_or3_b32 v6, v6, v7, v8
.LBB448_2855:                           ;   in Loop: Header=BB448_2342 Depth=1
	s_or_b32 exec_lo, exec_lo, s16
.LBB448_2856:                           ;   in Loop: Header=BB448_2342 Depth=1
	s_delay_alu instid0(SALU_CYCLE_1)
	s_or_b32 exec_lo, exec_lo, s15
.LBB448_2857:                           ;   in Loop: Header=BB448_2342 Depth=1
	s_delay_alu instid0(SALU_CYCLE_1) | instskip(NEXT) | instid1(VALU_DEP_1)
	s_or_b32 exec_lo, exec_lo, s13
	v_mul_f32_e32 v6, v118, v6
                                        ; implicit-def: $vgpr16
	s_delay_alu instid0(VALU_DEP_1) | instskip(NEXT) | instid1(VALU_DEP_1)
	v_and_b32_e32 v7, 0x7f800000, v6
	v_cmp_ne_u32_e64 s0, 0x7f800000, v7
	s_delay_alu instid0(VALU_DEP_1) | instskip(NEXT) | instid1(SALU_CYCLE_1)
	s_and_saveexec_b32 s13, s0
	s_xor_b32 s0, exec_lo, s13
; %bb.2858:                             ;   in Loop: Header=BB448_2342 Depth=1
	v_bfe_u32 v7, v6, 16, 1
	s_delay_alu instid0(VALU_DEP_1)
	v_add3_u32 v16, v6, v7, 0x7fff
                                        ; implicit-def: $vgpr6
; %bb.2859:                             ;   in Loop: Header=BB448_2342 Depth=1
	s_and_not1_saveexec_b32 s13, s0
; %bb.2860:                             ;   in Loop: Header=BB448_2342 Depth=1
	v_and_b32_e32 v7, 0xffff, v6
	v_or_b32_e32 v8, 0x10000, v6
	s_delay_alu instid0(VALU_DEP_2) | instskip(NEXT) | instid1(VALU_DEP_1)
	v_cmp_eq_u32_e64 s0, 0, v7
	v_cndmask_b32_e64 v16, v8, v6, s0
; %bb.2861:                             ;   in Loop: Header=BB448_2342 Depth=1
	s_or_b32 exec_lo, exec_lo, s13
	v_lshrrev_b32_e32 v6, 16, v15
	v_lshrrev_b32_e32 v7, 16, v14
	;; [unrolled: 1-line block ×8, first 2 shown]
	s_and_saveexec_b32 s13, vcc_lo
	s_cbranch_execz .LBB448_2863
; %bb.2862:                             ;   in Loop: Header=BB448_2342 Depth=1
	v_cmp_lt_i32_e64 s0, v102, v36
	s_delay_alu instid0(VALU_DEP_1) | instskip(SKIP_1) | instid1(VALU_DEP_1)
	v_cndmask_b32_e64 v12, 0, v12, s0
	v_cmp_lt_i32_e64 s0, v133, v36
	v_cndmask_b32_e64 v11, 0, v11, s0
	v_cmp_lt_i32_e64 s0, v132, v36
	s_delay_alu instid0(VALU_DEP_1) | instskip(SKIP_1) | instid1(VALU_DEP_1)
	v_cndmask_b32_e64 v10, 0, v10, s0
	v_cmp_lt_i32_e64 s0, v131, v36
	v_cndmask_b32_e64 v8, 0, v8, s0
	;; [unrolled: 5-line block ×4, first 2 shown]
.LBB448_2863:                           ;   in Loop: Header=BB448_2342 Depth=1
	s_or_b32 exec_lo, exec_lo, s13
	v_lshlrev_b32_e32 v9, 16, v12
	s_delay_alu instid0(VALU_DEP_1) | instskip(NEXT) | instid1(VALU_DEP_1)
	v_mul_f32_e32 v9, v134, v9
	v_and_b32_e32 v12, 0x7f800000, v9
	s_delay_alu instid0(VALU_DEP_1) | instskip(NEXT) | instid1(VALU_DEP_1)
	v_cmp_ne_u32_e64 s0, 0x7f800000, v12
                                        ; implicit-def: $vgpr12
                                        ; kill: killed $vgpr12
	s_and_saveexec_b32 s13, s0
	s_delay_alu instid0(SALU_CYCLE_1)
	s_xor_b32 s0, exec_lo, s13
	s_cbranch_execz .LBB448_2865
; %bb.2864:                             ;   in Loop: Header=BB448_2342 Depth=1
	v_bfe_u32 v12, v9, 16, 1
	s_delay_alu instid0(VALU_DEP_1)
	v_add3_u32 v9, v9, v12, 0x7fff
	scratch_store_b32 off, v9, s32 offset:536 ; 4-byte Folded Spill
                                        ; implicit-def: $vgpr9
.LBB448_2865:                           ;   in Loop: Header=BB448_2342 Depth=1
	s_and_not1_saveexec_b32 s13, s0
	s_cbranch_execz .LBB448_2867
; %bb.2866:                             ;   in Loop: Header=BB448_2342 Depth=1
	v_and_b32_e32 v12, 0xffff, v9
	v_or_b32_e32 v14, 0x10000, v9
	s_delay_alu instid0(VALU_DEP_2) | instskip(NEXT) | instid1(VALU_DEP_1)
	v_cmp_eq_u32_e64 s0, 0, v12
	v_cndmask_b32_e64 v9, v14, v9, s0
	scratch_store_b32 off, v9, s32 offset:536 ; 4-byte Folded Spill
.LBB448_2867:                           ;   in Loop: Header=BB448_2342 Depth=1
	s_or_b32 exec_lo, exec_lo, s13
	v_lshlrev_b32_e32 v9, 16, v11
	s_delay_alu instid0(VALU_DEP_1) | instskip(NEXT) | instid1(VALU_DEP_1)
	v_mul_f32_e32 v9, v135, v9
	v_and_b32_e32 v11, 0x7f800000, v9
	s_delay_alu instid0(VALU_DEP_1) | instskip(NEXT) | instid1(VALU_DEP_1)
	v_cmp_ne_u32_e64 s0, 0x7f800000, v11
                                        ; implicit-def: $vgpr11
                                        ; kill: killed $vgpr11
	s_and_saveexec_b32 s13, s0
	s_delay_alu instid0(SALU_CYCLE_1)
	s_xor_b32 s0, exec_lo, s13
	s_cbranch_execz .LBB448_2869
; %bb.2868:                             ;   in Loop: Header=BB448_2342 Depth=1
	v_bfe_u32 v11, v9, 16, 1
	s_delay_alu instid0(VALU_DEP_1)
	v_add3_u32 v9, v9, v11, 0x7fff
	scratch_store_b32 off, v9, s32 offset:540 ; 4-byte Folded Spill
                                        ; implicit-def: $vgpr9
.LBB448_2869:                           ;   in Loop: Header=BB448_2342 Depth=1
	s_and_not1_saveexec_b32 s13, s0
	s_cbranch_execz .LBB448_2871
; %bb.2870:                             ;   in Loop: Header=BB448_2342 Depth=1
	v_and_b32_e32 v11, 0xffff, v9
	v_or_b32_e32 v12, 0x10000, v9
	s_delay_alu instid0(VALU_DEP_2) | instskip(NEXT) | instid1(VALU_DEP_1)
	v_cmp_eq_u32_e64 s0, 0, v11
	v_cndmask_b32_e64 v9, v12, v9, s0
	scratch_store_b32 off, v9, s32 offset:540 ; 4-byte Folded Spill
.LBB448_2871:                           ;   in Loop: Header=BB448_2342 Depth=1
	s_or_b32 exec_lo, exec_lo, s13
	v_lshlrev_b32_e32 v9, 16, v10
	s_delay_alu instid0(VALU_DEP_1) | instskip(NEXT) | instid1(VALU_DEP_1)
	v_mul_f32_e32 v9, v144, v9
	v_and_b32_e32 v10, 0x7f800000, v9
	s_delay_alu instid0(VALU_DEP_1) | instskip(NEXT) | instid1(VALU_DEP_1)
	v_cmp_ne_u32_e64 s0, 0x7f800000, v10
                                        ; implicit-def: $vgpr10
                                        ; kill: killed $vgpr10
	s_and_saveexec_b32 s13, s0
	s_delay_alu instid0(SALU_CYCLE_1)
	s_xor_b32 s0, exec_lo, s13
	s_cbranch_execz .LBB448_2873
; %bb.2872:                             ;   in Loop: Header=BB448_2342 Depth=1
	v_bfe_u32 v10, v9, 16, 1
	s_delay_alu instid0(VALU_DEP_1)
	v_add3_u32 v9, v9, v10, 0x7fff
	scratch_store_b32 off, v9, s32 offset:544 ; 4-byte Folded Spill
                                        ; implicit-def: $vgpr9
.LBB448_2873:                           ;   in Loop: Header=BB448_2342 Depth=1
	s_and_not1_saveexec_b32 s13, s0
	s_cbranch_execz .LBB448_2875
; %bb.2874:                             ;   in Loop: Header=BB448_2342 Depth=1
	v_and_b32_e32 v10, 0xffff, v9
	v_or_b32_e32 v11, 0x10000, v9
	s_delay_alu instid0(VALU_DEP_2) | instskip(NEXT) | instid1(VALU_DEP_1)
	v_cmp_eq_u32_e64 s0, 0, v10
	v_cndmask_b32_e64 v9, v11, v9, s0
	scratch_store_b32 off, v9, s32 offset:544 ; 4-byte Folded Spill
.LBB448_2875:                           ;   in Loop: Header=BB448_2342 Depth=1
	s_or_b32 exec_lo, exec_lo, s13
	v_lshlrev_b32_e32 v8, 16, v8
	s_delay_alu instid0(VALU_DEP_1) | instskip(NEXT) | instid1(VALU_DEP_1)
	v_mul_f32_e32 v8, v145, v8
	v_and_b32_e32 v9, 0x7f800000, v8
	s_delay_alu instid0(VALU_DEP_1) | instskip(NEXT) | instid1(VALU_DEP_1)
	v_cmp_ne_u32_e64 s0, 0x7f800000, v9
                                        ; implicit-def: $vgpr9
                                        ; kill: killed $vgpr9
	s_and_saveexec_b32 s13, s0
	s_delay_alu instid0(SALU_CYCLE_1)
	s_xor_b32 s0, exec_lo, s13
	s_cbranch_execz .LBB448_2877
; %bb.2876:                             ;   in Loop: Header=BB448_2342 Depth=1
	v_bfe_u32 v9, v8, 16, 1
	s_delay_alu instid0(VALU_DEP_1)
	v_add3_u32 v8, v8, v9, 0x7fff
	scratch_store_b32 off, v8, s32 offset:548 ; 4-byte Folded Spill
                                        ; implicit-def: $vgpr8
.LBB448_2877:                           ;   in Loop: Header=BB448_2342 Depth=1
	s_and_not1_saveexec_b32 s13, s0
	s_cbranch_execz .LBB448_2879
; %bb.2878:                             ;   in Loop: Header=BB448_2342 Depth=1
	v_and_b32_e32 v9, 0xffff, v8
	v_or_b32_e32 v10, 0x10000, v8
	s_delay_alu instid0(VALU_DEP_2) | instskip(NEXT) | instid1(VALU_DEP_1)
	v_cmp_eq_u32_e64 s0, 0, v9
	v_cndmask_b32_e64 v8, v10, v8, s0
	scratch_store_b32 off, v8, s32 offset:548 ; 4-byte Folded Spill
.LBB448_2879:                           ;   in Loop: Header=BB448_2342 Depth=1
	s_or_b32 exec_lo, exec_lo, s13
	v_lshlrev_b32_e32 v7, 16, v7
	s_delay_alu instid0(VALU_DEP_1) | instskip(NEXT) | instid1(VALU_DEP_1)
	v_mul_f32_e32 v7, v146, v7
	v_and_b32_e32 v8, 0x7f800000, v7
	s_delay_alu instid0(VALU_DEP_1) | instskip(NEXT) | instid1(VALU_DEP_1)
	v_cmp_ne_u32_e64 s0, 0x7f800000, v8
                                        ; implicit-def: $vgpr8
                                        ; kill: killed $vgpr8
	s_and_saveexec_b32 s13, s0
	s_delay_alu instid0(SALU_CYCLE_1)
	s_xor_b32 s0, exec_lo, s13
	s_cbranch_execz .LBB448_2881
; %bb.2880:                             ;   in Loop: Header=BB448_2342 Depth=1
	v_bfe_u32 v8, v7, 16, 1
	s_delay_alu instid0(VALU_DEP_1)
	v_add3_u32 v7, v7, v8, 0x7fff
	scratch_store_b32 off, v7, s32 offset:552 ; 4-byte Folded Spill
                                        ; implicit-def: $vgpr7
.LBB448_2881:                           ;   in Loop: Header=BB448_2342 Depth=1
	s_and_not1_saveexec_b32 s13, s0
	s_cbranch_execz .LBB448_2883
; %bb.2882:                             ;   in Loop: Header=BB448_2342 Depth=1
	v_and_b32_e32 v8, 0xffff, v7
	v_or_b32_e32 v9, 0x10000, v7
	s_delay_alu instid0(VALU_DEP_2) | instskip(NEXT) | instid1(VALU_DEP_1)
	v_cmp_eq_u32_e64 s0, 0, v8
	v_cndmask_b32_e64 v7, v9, v7, s0
	scratch_store_b32 off, v7, s32 offset:552 ; 4-byte Folded Spill
.LBB448_2883:                           ;   in Loop: Header=BB448_2342 Depth=1
	s_or_b32 exec_lo, exec_lo, s13
	v_lshlrev_b32_e32 v6, 16, v6
	s_delay_alu instid0(VALU_DEP_1) | instskip(NEXT) | instid1(VALU_DEP_1)
	v_mul_f32_e32 v6, v147, v6
	v_and_b32_e32 v7, 0x7f800000, v6
	s_delay_alu instid0(VALU_DEP_1) | instskip(NEXT) | instid1(VALU_DEP_1)
	v_cmp_ne_u32_e64 s0, 0x7f800000, v7
                                        ; implicit-def: $vgpr7
                                        ; kill: killed $vgpr7
	s_and_saveexec_b32 s13, s0
	s_delay_alu instid0(SALU_CYCLE_1)
	s_xor_b32 s0, exec_lo, s13
	s_cbranch_execz .LBB448_2885
; %bb.2884:                             ;   in Loop: Header=BB448_2342 Depth=1
	v_bfe_u32 v7, v6, 16, 1
	s_delay_alu instid0(VALU_DEP_1)
	v_add3_u32 v6, v6, v7, 0x7fff
	scratch_store_b32 off, v6, s32 offset:556 ; 4-byte Folded Spill
                                        ; implicit-def: $vgpr6
.LBB448_2885:                           ;   in Loop: Header=BB448_2342 Depth=1
	s_and_not1_saveexec_b32 s13, s0
	s_cbranch_execz .LBB448_2887
; %bb.2886:                             ;   in Loop: Header=BB448_2342 Depth=1
	v_and_b32_e32 v7, 0xffff, v6
	v_or_b32_e32 v8, 0x10000, v6
	s_delay_alu instid0(VALU_DEP_2) | instskip(NEXT) | instid1(VALU_DEP_1)
	v_cmp_eq_u32_e64 s0, 0, v7
	v_cndmask_b32_e64 v6, v8, v6, s0
	scratch_store_b32 off, v6, s32 offset:556 ; 4-byte Folded Spill
.LBB448_2887:                           ;   in Loop: Header=BB448_2342 Depth=1
	s_or_b32 exec_lo, exec_lo, s13
	v_lshlrev_b32_e32 v5, 16, v5
	s_delay_alu instid0(VALU_DEP_1) | instskip(NEXT) | instid1(VALU_DEP_1)
	v_mul_f32_e32 v5, v148, v5
	v_and_b32_e32 v6, 0x7f800000, v5
	s_delay_alu instid0(VALU_DEP_1) | instskip(NEXT) | instid1(VALU_DEP_1)
	v_cmp_ne_u32_e64 s0, 0x7f800000, v6
                                        ; implicit-def: $vgpr6
                                        ; kill: killed $vgpr6
	s_and_saveexec_b32 s13, s0
	s_delay_alu instid0(SALU_CYCLE_1)
	s_xor_b32 s0, exec_lo, s13
	s_cbranch_execz .LBB448_2889
; %bb.2888:                             ;   in Loop: Header=BB448_2342 Depth=1
	v_bfe_u32 v6, v5, 16, 1
	s_delay_alu instid0(VALU_DEP_1)
	v_add3_u32 v5, v5, v6, 0x7fff
	scratch_store_b32 off, v5, s32 offset:560 ; 4-byte Folded Spill
                                        ; implicit-def: $vgpr5
.LBB448_2889:                           ;   in Loop: Header=BB448_2342 Depth=1
	s_and_not1_saveexec_b32 s13, s0
	s_cbranch_execz .LBB448_2891
; %bb.2890:                             ;   in Loop: Header=BB448_2342 Depth=1
	v_and_b32_e32 v6, 0xffff, v5
	v_or_b32_e32 v7, 0x10000, v5
	s_delay_alu instid0(VALU_DEP_2) | instskip(NEXT) | instid1(VALU_DEP_1)
	v_cmp_eq_u32_e64 s0, 0, v6
	v_cndmask_b32_e64 v5, v7, v5, s0
	scratch_store_b32 off, v5, s32 offset:560 ; 4-byte Folded Spill
.LBB448_2891:                           ;   in Loop: Header=BB448_2342 Depth=1
	s_or_b32 exec_lo, exec_lo, s13
	v_lshlrev_b32_e32 v4, 16, v4
	s_delay_alu instid0(VALU_DEP_1) | instskip(NEXT) | instid1(VALU_DEP_1)
	v_mul_f32_e32 v4, v149, v4
	v_and_b32_e32 v5, 0x7f800000, v4
	s_delay_alu instid0(VALU_DEP_1) | instskip(NEXT) | instid1(VALU_DEP_1)
	v_cmp_ne_u32_e64 s0, 0x7f800000, v5
                                        ; implicit-def: $vgpr5
                                        ; kill: killed $vgpr5
	s_and_saveexec_b32 s13, s0
	s_delay_alu instid0(SALU_CYCLE_1)
	s_xor_b32 s0, exec_lo, s13
	s_cbranch_execz .LBB448_2893
; %bb.2892:                             ;   in Loop: Header=BB448_2342 Depth=1
	v_bfe_u32 v5, v4, 16, 1
	s_delay_alu instid0(VALU_DEP_1)
	v_add3_u32 v4, v4, v5, 0x7fff
	scratch_store_b32 off, v4, s32 offset:564 ; 4-byte Folded Spill
                                        ; implicit-def: $vgpr4
.LBB448_2893:                           ;   in Loop: Header=BB448_2342 Depth=1
	s_and_not1_saveexec_b32 s13, s0
	s_cbranch_execz .LBB448_2895
; %bb.2894:                             ;   in Loop: Header=BB448_2342 Depth=1
	v_and_b32_e32 v5, 0xffff, v4
	v_or_b32_e32 v6, 0x10000, v4
	s_delay_alu instid0(VALU_DEP_2) | instskip(NEXT) | instid1(VALU_DEP_1)
	v_cmp_eq_u32_e64 s0, 0, v5
	v_cndmask_b32_e64 v4, v6, v4, s0
	scratch_store_b32 off, v4, s32 offset:564 ; 4-byte Folded Spill
.LBB448_2895:                           ;   in Loop: Header=BB448_2342 Depth=1
	s_or_b32 exec_lo, exec_lo, s13
	flat_load_b64 v[6:7], v[2:3] offset:1024
	s_mov_b32 s13, exec_lo
	s_waitcnt vmcnt(0) lgkmcnt(0)
	v_dual_mov_b32 v4, 0 :: v_dual_and_b32 v5, 0xff, v6
	s_delay_alu instid0(VALU_DEP_1)
	v_cmpx_ne_u16_e32 0, v5
	s_cbranch_execz .LBB448_2903
; %bb.2896:                             ;   in Loop: Header=BB448_2342 Depth=1
	v_bfrev_b32_e32 v4, 1
	s_mov_b32 s15, exec_lo
	v_cmpx_ne_u16_e32 0x80, v5
	s_cbranch_execz .LBB448_2902
; %bb.2897:                             ;   in Loop: Header=BB448_2342 Depth=1
	v_and_b32_e32 v5, 0x7f, v6
	v_mov_b32_e32 v4, 0x7f800001
	s_mov_b32 s16, exec_lo
	s_delay_alu instid0(VALU_DEP_2)
	v_cmpx_ne_u32_e32 0x7f, v5
	s_cbranch_execz .LBB448_2901
; %bb.2898:                             ;   in Loop: Header=BB448_2342 Depth=1
	v_lshrrev_b32_e32 v4, 3, v5
	v_dual_mov_b32 v9, v7 :: v_dual_mov_b32 v8, v6
	s_mov_b32 s17, exec_lo
	v_cmpx_gt_u32_e32 8, v5
; %bb.2899:                             ;   in Loop: Header=BB448_2342 Depth=1
	v_and_b32_e32 v4, 7, v6
	s_delay_alu instid0(VALU_DEP_1) | instskip(NEXT) | instid1(VALU_DEP_1)
	v_clz_i32_u32_e32 v4, v4
	v_min_u32_e32 v4, 32, v4
	s_delay_alu instid0(VALU_DEP_1) | instskip(SKIP_1) | instid1(VALU_DEP_2)
	v_subrev_nc_u32_e32 v5, 28, v4
	v_sub_nc_u32_e32 v4, 29, v4
	v_lshlrev_b64 v[8:9], v5, v[6:7]
; %bb.2900:                             ;   in Loop: Header=BB448_2342 Depth=1
	s_or_b32 exec_lo, exec_lo, s17
	s_delay_alu instid0(VALU_DEP_1) | instskip(SKIP_2) | instid1(VALU_DEP_3)
	v_lshlrev_b32_e32 v5, 20, v8
	v_lshlrev_b32_e32 v8, 24, v6
	v_lshl_add_u32 v4, v4, 23, 0x3c000000
	v_and_b32_e32 v5, 0x700000, v5
	s_delay_alu instid0(VALU_DEP_3) | instskip(NEXT) | instid1(VALU_DEP_1)
	v_and_b32_e32 v8, 0x80000000, v8
	v_or3_b32 v4, v5, v8, v4
.LBB448_2901:                           ;   in Loop: Header=BB448_2342 Depth=1
	s_or_b32 exec_lo, exec_lo, s16
.LBB448_2902:                           ;   in Loop: Header=BB448_2342 Depth=1
	s_delay_alu instid0(SALU_CYCLE_1)
	s_or_b32 exec_lo, exec_lo, s15
.LBB448_2903:                           ;   in Loop: Header=BB448_2342 Depth=1
	s_delay_alu instid0(SALU_CYCLE_1) | instskip(NEXT) | instid1(VALU_DEP_1)
	s_or_b32 exec_lo, exec_lo, s13
	v_mul_f32_e32 v5, v118, v4
	s_delay_alu instid0(VALU_DEP_1) | instskip(NEXT) | instid1(VALU_DEP_1)
	v_and_b32_e32 v4, 0x7f800000, v5
	v_cmp_ne_u32_e64 s0, 0x7f800000, v4
                                        ; implicit-def: $vgpr4
	s_delay_alu instid0(VALU_DEP_1) | instskip(NEXT) | instid1(SALU_CYCLE_1)
	s_and_saveexec_b32 s13, s0
	s_xor_b32 s0, exec_lo, s13
; %bb.2904:                             ;   in Loop: Header=BB448_2342 Depth=1
	v_bfe_u32 v4, v5, 16, 1
	s_delay_alu instid0(VALU_DEP_1)
	v_add3_u32 v4, v5, v4, 0x7fff
                                        ; implicit-def: $vgpr5
; %bb.2905:                             ;   in Loop: Header=BB448_2342 Depth=1
	s_and_not1_saveexec_b32 s13, s0
; %bb.2906:                             ;   in Loop: Header=BB448_2342 Depth=1
	v_and_b32_e32 v4, 0xffff, v5
	v_or_b32_e32 v8, 0x10000, v5
	s_delay_alu instid0(VALU_DEP_2) | instskip(NEXT) | instid1(VALU_DEP_1)
	v_cmp_eq_u32_e64 s0, 0, v4
	v_cndmask_b32_e64 v4, v8, v5, s0
; %bb.2907:                             ;   in Loop: Header=BB448_2342 Depth=1
	s_or_b32 exec_lo, exec_lo, s13
	v_lshrrev_b16 v8, 8, v6
	v_mov_b32_e32 v5, 0
	s_mov_b32 s13, exec_lo
	s_delay_alu instid0(VALU_DEP_2)
	v_cmpx_ne_u16_e32 0, v8
	s_cbranch_execz .LBB448_2915
; %bb.2908:                             ;   in Loop: Header=BB448_2342 Depth=1
	v_bfrev_b32_e32 v5, 1
	s_mov_b32 s15, exec_lo
	v_cmpx_ne_u16_e32 0x80, v8
	s_cbranch_execz .LBB448_2914
; %bb.2909:                             ;   in Loop: Header=BB448_2342 Depth=1
	v_and_b32_e32 v9, 0xffff, v8
	v_mov_b32_e32 v5, 0x7f800001
	s_mov_b32 s16, exec_lo
	s_delay_alu instid0(VALU_DEP_2) | instskip(NEXT) | instid1(VALU_DEP_1)
	v_and_b32_e32 v8, 0x7f, v9
	v_cmpx_ne_u32_e32 0x7f, v8
	s_cbranch_execz .LBB448_2913
; %bb.2910:                             ;   in Loop: Header=BB448_2342 Depth=1
	v_and_b32_e32 v12, 7, v9
	v_lshrrev_b32_e32 v5, 3, v8
	v_cmp_gt_u32_e64 s0, 8, v8
	s_delay_alu instid0(VALU_DEP_3) | instskip(NEXT) | instid1(VALU_DEP_2)
	v_dual_mov_b32 v8, v12 :: v_dual_mov_b32 v9, v13
	s_and_saveexec_b32 s17, s0
; %bb.2911:                             ;   in Loop: Header=BB448_2342 Depth=1
	v_clz_i32_u32_e32 v5, v12
	s_delay_alu instid0(VALU_DEP_1) | instskip(NEXT) | instid1(VALU_DEP_1)
	v_min_u32_e32 v5, 32, v5
	v_subrev_nc_u32_e32 v8, 28, v5
	v_sub_nc_u32_e32 v5, 29, v5
	s_delay_alu instid0(VALU_DEP_2) | instskip(NEXT) | instid1(VALU_DEP_1)
	v_lshlrev_b64 v[8:9], v8, v[12:13]
	v_and_b32_e32 v8, 7, v8
; %bb.2912:                             ;   in Loop: Header=BB448_2342 Depth=1
	s_or_b32 exec_lo, exec_lo, s17
	v_lshlrev_b32_e32 v9, 16, v6
	s_delay_alu instid0(VALU_DEP_2) | instskip(SKIP_1) | instid1(VALU_DEP_3)
	v_lshlrev_b32_e32 v8, 20, v8
	v_lshl_add_u32 v5, v5, 23, 0x3c000000
	v_and_b32_e32 v9, 0x80000000, v9
	s_delay_alu instid0(VALU_DEP_1)
	v_or3_b32 v5, v8, v9, v5
.LBB448_2913:                           ;   in Loop: Header=BB448_2342 Depth=1
	s_or_b32 exec_lo, exec_lo, s16
.LBB448_2914:                           ;   in Loop: Header=BB448_2342 Depth=1
	s_delay_alu instid0(SALU_CYCLE_1)
	s_or_b32 exec_lo, exec_lo, s15
.LBB448_2915:                           ;   in Loop: Header=BB448_2342 Depth=1
	s_delay_alu instid0(SALU_CYCLE_1) | instskip(NEXT) | instid1(VALU_DEP_1)
	s_or_b32 exec_lo, exec_lo, s13
	v_mul_f32_e32 v8, v118, v5
	s_delay_alu instid0(VALU_DEP_1) | instskip(NEXT) | instid1(VALU_DEP_1)
	v_and_b32_e32 v5, 0x7f800000, v8
	v_cmp_ne_u32_e64 s0, 0x7f800000, v5
                                        ; implicit-def: $vgpr5
	s_delay_alu instid0(VALU_DEP_1) | instskip(NEXT) | instid1(SALU_CYCLE_1)
	s_and_saveexec_b32 s13, s0
	s_xor_b32 s0, exec_lo, s13
; %bb.2916:                             ;   in Loop: Header=BB448_2342 Depth=1
	v_bfe_u32 v5, v8, 16, 1
	s_delay_alu instid0(VALU_DEP_1)
	v_add3_u32 v5, v8, v5, 0x7fff
                                        ; implicit-def: $vgpr8
; %bb.2917:                             ;   in Loop: Header=BB448_2342 Depth=1
	s_and_not1_saveexec_b32 s13, s0
; %bb.2918:                             ;   in Loop: Header=BB448_2342 Depth=1
	v_and_b32_e32 v5, 0xffff, v8
	v_or_b32_e32 v9, 0x10000, v8
	s_delay_alu instid0(VALU_DEP_2) | instskip(NEXT) | instid1(VALU_DEP_1)
	v_cmp_eq_u32_e64 s0, 0, v5
	v_cndmask_b32_e64 v5, v9, v8, s0
; %bb.2919:                             ;   in Loop: Header=BB448_2342 Depth=1
	s_or_b32 exec_lo, exec_lo, s13
	v_lshrrev_b32_e32 v10, 16, v6
	s_mov_b32 s13, exec_lo
	s_delay_alu instid0(VALU_DEP_1) | instskip(NEXT) | instid1(VALU_DEP_1)
	v_dual_mov_b32 v8, 0 :: v_dual_and_b32 v9, 0xff, v10
	v_cmpx_ne_u16_e32 0, v9
	s_cbranch_execz .LBB448_2927
; %bb.2920:                             ;   in Loop: Header=BB448_2342 Depth=1
	v_bfrev_b32_e32 v8, 1
	s_mov_b32 s15, exec_lo
	v_cmpx_ne_u16_e32 0x80, v9
	s_cbranch_execz .LBB448_2926
; %bb.2921:                             ;   in Loop: Header=BB448_2342 Depth=1
	v_bfe_u32 v9, v6, 16, 7
	v_mov_b32_e32 v8, 0x7f800001
	s_mov_b32 s16, exec_lo
	s_delay_alu instid0(VALU_DEP_2)
	v_cmpx_ne_u32_e32 0x7f, v9
	s_cbranch_execz .LBB448_2925
; %bb.2922:                             ;   in Loop: Header=BB448_2342 Depth=1
	v_and_b32_e32 v12, 7, v10
	v_lshrrev_b32_e32 v11, 3, v9
	v_cmp_gt_u32_e64 s0, 8, v9
	s_delay_alu instid0(VALU_DEP_3) | instskip(NEXT) | instid1(VALU_DEP_2)
	v_dual_mov_b32 v8, v12 :: v_dual_mov_b32 v9, v13
	s_and_saveexec_b32 s17, s0
; %bb.2923:                             ;   in Loop: Header=BB448_2342 Depth=1
	v_clz_i32_u32_e32 v8, v12
	s_delay_alu instid0(VALU_DEP_1) | instskip(NEXT) | instid1(VALU_DEP_1)
	v_min_u32_e32 v11, 32, v8
	v_subrev_nc_u32_e32 v8, 28, v11
	v_sub_nc_u32_e32 v11, 29, v11
	s_delay_alu instid0(VALU_DEP_2) | instskip(NEXT) | instid1(VALU_DEP_1)
	v_lshlrev_b64 v[8:9], v8, v[12:13]
	v_and_b32_e32 v8, 7, v8
; %bb.2924:                             ;   in Loop: Header=BB448_2342 Depth=1
	s_or_b32 exec_lo, exec_lo, s17
	v_lshlrev_b32_e32 v9, 24, v10
	s_delay_alu instid0(VALU_DEP_2) | instskip(SKIP_1) | instid1(VALU_DEP_3)
	v_lshlrev_b32_e32 v8, 20, v8
	v_lshl_add_u32 v10, v11, 23, 0x3c000000
	v_and_b32_e32 v9, 0x80000000, v9
	s_delay_alu instid0(VALU_DEP_1)
	v_or3_b32 v8, v8, v9, v10
.LBB448_2925:                           ;   in Loop: Header=BB448_2342 Depth=1
	s_or_b32 exec_lo, exec_lo, s16
.LBB448_2926:                           ;   in Loop: Header=BB448_2342 Depth=1
	s_delay_alu instid0(SALU_CYCLE_1)
	s_or_b32 exec_lo, exec_lo, s15
.LBB448_2927:                           ;   in Loop: Header=BB448_2342 Depth=1
	s_delay_alu instid0(SALU_CYCLE_1) | instskip(NEXT) | instid1(VALU_DEP_1)
	s_or_b32 exec_lo, exec_lo, s13
	v_mul_f32_e32 v8, v118, v8
                                        ; implicit-def: $vgpr10
	s_delay_alu instid0(VALU_DEP_1) | instskip(NEXT) | instid1(VALU_DEP_1)
	v_and_b32_e32 v9, 0x7f800000, v8
	v_cmp_ne_u32_e64 s0, 0x7f800000, v9
	s_delay_alu instid0(VALU_DEP_1) | instskip(NEXT) | instid1(SALU_CYCLE_1)
	s_and_saveexec_b32 s13, s0
	s_xor_b32 s0, exec_lo, s13
; %bb.2928:                             ;   in Loop: Header=BB448_2342 Depth=1
	v_bfe_u32 v9, v8, 16, 1
	s_delay_alu instid0(VALU_DEP_1)
	v_add3_u32 v10, v8, v9, 0x7fff
                                        ; implicit-def: $vgpr8
; %bb.2929:                             ;   in Loop: Header=BB448_2342 Depth=1
	s_and_not1_saveexec_b32 s13, s0
; %bb.2930:                             ;   in Loop: Header=BB448_2342 Depth=1
	v_and_b32_e32 v9, 0xffff, v8
	v_or_b32_e32 v10, 0x10000, v8
	s_delay_alu instid0(VALU_DEP_2) | instskip(NEXT) | instid1(VALU_DEP_1)
	v_cmp_eq_u32_e64 s0, 0, v9
	v_cndmask_b32_e64 v10, v10, v8, s0
; %bb.2931:                             ;   in Loop: Header=BB448_2342 Depth=1
	s_or_b32 exec_lo, exec_lo, s13
	v_mov_b32_e32 v8, 0
	s_mov_b32 s13, exec_lo
	v_cmpx_lt_u32_e32 0xffffff, v6
	s_cbranch_execz .LBB448_2939
; %bb.2932:                             ;   in Loop: Header=BB448_2342 Depth=1
	v_lshrrev_b32_e32 v11, 24, v6
	v_bfrev_b32_e32 v8, 1
	s_mov_b32 s15, exec_lo
	s_delay_alu instid0(VALU_DEP_2)
	v_cmpx_ne_u32_e32 0x80, v11
	s_cbranch_execz .LBB448_2938
; %bb.2933:                             ;   in Loop: Header=BB448_2342 Depth=1
	v_bfe_u32 v9, v6, 24, 7
	v_mov_b32_e32 v8, 0x7f800001
	s_mov_b32 s16, exec_lo
	s_delay_alu instid0(VALU_DEP_2)
	v_cmpx_ne_u32_e32 0x7f, v9
	s_cbranch_execz .LBB448_2937
; %bb.2934:                             ;   in Loop: Header=BB448_2342 Depth=1
	v_and_b32_e32 v12, 7, v11
	v_lshrrev_b32_e32 v14, 3, v9
	v_cmp_gt_u32_e64 s0, 8, v9
	s_delay_alu instid0(VALU_DEP_3) | instskip(NEXT) | instid1(VALU_DEP_2)
	v_dual_mov_b32 v8, v12 :: v_dual_mov_b32 v9, v13
	s_and_saveexec_b32 s17, s0
; %bb.2935:                             ;   in Loop: Header=BB448_2342 Depth=1
	v_clz_i32_u32_e32 v8, v12
	s_delay_alu instid0(VALU_DEP_1) | instskip(NEXT) | instid1(VALU_DEP_1)
	v_min_u32_e32 v14, 32, v8
	v_subrev_nc_u32_e32 v8, 28, v14
	v_sub_nc_u32_e32 v14, 29, v14
	s_delay_alu instid0(VALU_DEP_2) | instskip(NEXT) | instid1(VALU_DEP_1)
	v_lshlrev_b64 v[8:9], v8, v[12:13]
	v_and_b32_e32 v8, 7, v8
; %bb.2936:                             ;   in Loop: Header=BB448_2342 Depth=1
	s_or_b32 exec_lo, exec_lo, s17
	v_lshlrev_b32_e32 v9, 24, v11
	s_delay_alu instid0(VALU_DEP_2) | instskip(SKIP_1) | instid1(VALU_DEP_3)
	v_lshlrev_b32_e32 v8, 20, v8
	v_lshl_add_u32 v11, v14, 23, 0x3c000000
	v_and_b32_e32 v9, 0x80000000, v9
	s_delay_alu instid0(VALU_DEP_1)
	v_or3_b32 v8, v8, v9, v11
.LBB448_2937:                           ;   in Loop: Header=BB448_2342 Depth=1
	s_or_b32 exec_lo, exec_lo, s16
.LBB448_2938:                           ;   in Loop: Header=BB448_2342 Depth=1
	s_delay_alu instid0(SALU_CYCLE_1)
	s_or_b32 exec_lo, exec_lo, s15
.LBB448_2939:                           ;   in Loop: Header=BB448_2342 Depth=1
	s_delay_alu instid0(SALU_CYCLE_1) | instskip(NEXT) | instid1(VALU_DEP_1)
	s_or_b32 exec_lo, exec_lo, s13
	v_mul_f32_e32 v8, v118, v8
                                        ; implicit-def: $vgpr11
	s_delay_alu instid0(VALU_DEP_1) | instskip(NEXT) | instid1(VALU_DEP_1)
	v_and_b32_e32 v9, 0x7f800000, v8
	v_cmp_ne_u32_e64 s0, 0x7f800000, v9
	s_delay_alu instid0(VALU_DEP_1) | instskip(NEXT) | instid1(SALU_CYCLE_1)
	s_and_saveexec_b32 s13, s0
	s_xor_b32 s0, exec_lo, s13
; %bb.2940:                             ;   in Loop: Header=BB448_2342 Depth=1
	v_bfe_u32 v9, v8, 16, 1
	s_delay_alu instid0(VALU_DEP_1)
	v_add3_u32 v11, v8, v9, 0x7fff
                                        ; implicit-def: $vgpr8
; %bb.2941:                             ;   in Loop: Header=BB448_2342 Depth=1
	s_and_not1_saveexec_b32 s13, s0
; %bb.2942:                             ;   in Loop: Header=BB448_2342 Depth=1
	v_and_b32_e32 v9, 0xffff, v8
	v_or_b32_e32 v11, 0x10000, v8
	s_delay_alu instid0(VALU_DEP_2) | instskip(NEXT) | instid1(VALU_DEP_1)
	v_cmp_eq_u32_e64 s0, 0, v9
	v_cndmask_b32_e64 v11, v11, v8, s0
; %bb.2943:                             ;   in Loop: Header=BB448_2342 Depth=1
	s_or_b32 exec_lo, exec_lo, s13
	v_dual_mov_b32 v12, v7 :: v_dual_and_b32 v9, 0xff, v7
	v_mov_b32_e32 v8, 0
	s_mov_b32 s13, exec_lo
	s_delay_alu instid0(VALU_DEP_2)
	v_cmpx_ne_u16_e32 0, v9
	s_cbranch_execz .LBB448_2951
; %bb.2944:                             ;   in Loop: Header=BB448_2342 Depth=1
	v_bfrev_b32_e32 v8, 1
	s_mov_b32 s15, exec_lo
	v_cmpx_ne_u16_e32 0x80, v9
	s_cbranch_execz .LBB448_2950
; %bb.2945:                             ;   in Loop: Header=BB448_2342 Depth=1
	v_and_b32_e32 v9, 0x7f, v7
	v_mov_b32_e32 v8, 0x7f800001
	s_mov_b32 s16, exec_lo
	s_delay_alu instid0(VALU_DEP_2)
	v_cmpx_ne_u32_e32 0x7f, v9
	s_cbranch_execz .LBB448_2949
; %bb.2946:                             ;   in Loop: Header=BB448_2342 Depth=1
	v_lshrrev_b32_e32 v14, 3, v9
	v_cmp_gt_u32_e64 s0, 8, v9
	v_dual_mov_b32 v8, v12 :: v_dual_mov_b32 v9, v13
	s_delay_alu instid0(VALU_DEP_2)
	s_and_saveexec_b32 s17, s0
; %bb.2947:                             ;   in Loop: Header=BB448_2342 Depth=1
	v_and_b32_e32 v8, 7, v7
	s_delay_alu instid0(VALU_DEP_1) | instskip(NEXT) | instid1(VALU_DEP_1)
	v_clz_i32_u32_e32 v8, v8
	v_min_u32_e32 v14, 32, v8
	s_delay_alu instid0(VALU_DEP_1) | instskip(SKIP_1) | instid1(VALU_DEP_2)
	v_subrev_nc_u32_e32 v8, 28, v14
	v_sub_nc_u32_e32 v14, 29, v14
	v_lshlrev_b64 v[8:9], v8, v[12:13]
; %bb.2948:                             ;   in Loop: Header=BB448_2342 Depth=1
	s_or_b32 exec_lo, exec_lo, s17
	s_delay_alu instid0(VALU_DEP_1) | instskip(SKIP_2) | instid1(VALU_DEP_3)
	v_lshlrev_b32_e32 v8, 20, v8
	v_lshlrev_b32_e32 v9, 24, v12
	v_lshl_add_u32 v14, v14, 23, 0x3c000000
	v_and_b32_e32 v8, 0x700000, v8
	s_delay_alu instid0(VALU_DEP_3) | instskip(NEXT) | instid1(VALU_DEP_1)
	v_and_b32_e32 v9, 0x80000000, v9
	v_or3_b32 v8, v8, v9, v14
.LBB448_2949:                           ;   in Loop: Header=BB448_2342 Depth=1
	s_or_b32 exec_lo, exec_lo, s16
.LBB448_2950:                           ;   in Loop: Header=BB448_2342 Depth=1
	s_delay_alu instid0(SALU_CYCLE_1)
	s_or_b32 exec_lo, exec_lo, s15
.LBB448_2951:                           ;   in Loop: Header=BB448_2342 Depth=1
	s_delay_alu instid0(SALU_CYCLE_1) | instskip(NEXT) | instid1(VALU_DEP_1)
	s_or_b32 exec_lo, exec_lo, s13
	v_mul_f32_e32 v8, v118, v8
                                        ; implicit-def: $vgpr14
	s_delay_alu instid0(VALU_DEP_1) | instskip(NEXT) | instid1(VALU_DEP_1)
	v_and_b32_e32 v9, 0x7f800000, v8
	v_cmp_ne_u32_e64 s0, 0x7f800000, v9
	s_delay_alu instid0(VALU_DEP_1) | instskip(NEXT) | instid1(SALU_CYCLE_1)
	s_and_saveexec_b32 s13, s0
	s_xor_b32 s0, exec_lo, s13
; %bb.2952:                             ;   in Loop: Header=BB448_2342 Depth=1
	v_bfe_u32 v9, v8, 16, 1
	s_delay_alu instid0(VALU_DEP_1)
	v_add3_u32 v14, v8, v9, 0x7fff
                                        ; implicit-def: $vgpr8
; %bb.2953:                             ;   in Loop: Header=BB448_2342 Depth=1
	s_and_not1_saveexec_b32 s13, s0
; %bb.2954:                             ;   in Loop: Header=BB448_2342 Depth=1
	v_and_b32_e32 v9, 0xffff, v8
	v_or_b32_e32 v14, 0x10000, v8
	s_delay_alu instid0(VALU_DEP_2) | instskip(NEXT) | instid1(VALU_DEP_1)
	v_cmp_eq_u32_e64 s0, 0, v9
	v_cndmask_b32_e64 v14, v14, v8, s0
; %bb.2955:                             ;   in Loop: Header=BB448_2342 Depth=1
	s_or_b32 exec_lo, exec_lo, s13
	v_lshrrev_b16 v9, 8, v12
	v_mov_b32_e32 v8, 0
	s_mov_b32 s13, exec_lo
	s_delay_alu instid0(VALU_DEP_2)
	v_cmpx_ne_u16_e32 0, v9
	s_cbranch_execz .LBB448_2963
; %bb.2956:                             ;   in Loop: Header=BB448_2342 Depth=1
	v_bfrev_b32_e32 v8, 1
	s_mov_b32 s15, exec_lo
	v_cmpx_ne_u16_e32 0x80, v9
	s_cbranch_execz .LBB448_2962
; %bb.2957:                             ;   in Loop: Header=BB448_2342 Depth=1
	v_and_b32_e32 v9, 0xffff, v9
	v_mov_b32_e32 v8, 0x7f800001
	s_mov_b32 s16, exec_lo
	s_delay_alu instid0(VALU_DEP_2) | instskip(NEXT) | instid1(VALU_DEP_1)
	v_and_b32_e32 v16, 0x7f, v9
	v_cmpx_ne_u32_e32 0x7f, v16
	s_cbranch_execz .LBB448_2961
; %bb.2958:                             ;   in Loop: Header=BB448_2342 Depth=1
	v_dual_mov_b32 v9, v13 :: v_dual_and_b32 v8, 7, v9
	v_lshrrev_b32_e32 v15, 3, v16
	s_mov_b32 s17, exec_lo
	v_cmpx_gt_u32_e32 8, v16
; %bb.2959:                             ;   in Loop: Header=BB448_2342 Depth=1
	s_delay_alu instid0(VALU_DEP_3) | instskip(NEXT) | instid1(VALU_DEP_1)
	v_clz_i32_u32_e32 v15, v8
	v_min_u32_e32 v15, 32, v15
	s_delay_alu instid0(VALU_DEP_1) | instskip(SKIP_1) | instid1(VALU_DEP_2)
	v_subrev_nc_u32_e32 v16, 28, v15
	v_sub_nc_u32_e32 v15, 29, v15
	v_lshlrev_b64 v[8:9], v16, v[8:9]
	s_delay_alu instid0(VALU_DEP_1)
	v_and_b32_e32 v8, 7, v8
; %bb.2960:                             ;   in Loop: Header=BB448_2342 Depth=1
	s_or_b32 exec_lo, exec_lo, s17
	v_lshlrev_b32_e32 v9, 16, v12
	s_delay_alu instid0(VALU_DEP_2) | instskip(SKIP_1) | instid1(VALU_DEP_3)
	v_lshlrev_b32_e32 v8, 20, v8
	v_lshl_add_u32 v12, v15, 23, 0x3c000000
	v_and_b32_e32 v9, 0x80000000, v9
	s_delay_alu instid0(VALU_DEP_1)
	v_or3_b32 v8, v8, v9, v12
.LBB448_2961:                           ;   in Loop: Header=BB448_2342 Depth=1
	s_or_b32 exec_lo, exec_lo, s16
.LBB448_2962:                           ;   in Loop: Header=BB448_2342 Depth=1
	s_delay_alu instid0(SALU_CYCLE_1)
	s_or_b32 exec_lo, exec_lo, s15
.LBB448_2963:                           ;   in Loop: Header=BB448_2342 Depth=1
	s_delay_alu instid0(SALU_CYCLE_1) | instskip(NEXT) | instid1(VALU_DEP_1)
	s_or_b32 exec_lo, exec_lo, s13
	v_mul_f32_e32 v8, v118, v8
                                        ; implicit-def: $vgpr15
	s_delay_alu instid0(VALU_DEP_1) | instskip(NEXT) | instid1(VALU_DEP_1)
	v_and_b32_e32 v9, 0x7f800000, v8
	v_cmp_ne_u32_e64 s0, 0x7f800000, v9
	s_delay_alu instid0(VALU_DEP_1) | instskip(NEXT) | instid1(SALU_CYCLE_1)
	s_and_saveexec_b32 s13, s0
	s_xor_b32 s0, exec_lo, s13
; %bb.2964:                             ;   in Loop: Header=BB448_2342 Depth=1
	v_bfe_u32 v9, v8, 16, 1
	s_delay_alu instid0(VALU_DEP_1)
	v_add3_u32 v15, v8, v9, 0x7fff
                                        ; implicit-def: $vgpr8
; %bb.2965:                             ;   in Loop: Header=BB448_2342 Depth=1
	s_and_not1_saveexec_b32 s13, s0
; %bb.2966:                             ;   in Loop: Header=BB448_2342 Depth=1
	v_and_b32_e32 v9, 0xffff, v8
	v_or_b32_e32 v12, 0x10000, v8
	s_delay_alu instid0(VALU_DEP_2) | instskip(NEXT) | instid1(VALU_DEP_1)
	v_cmp_eq_u32_e64 s0, 0, v9
	v_cndmask_b32_e64 v15, v12, v8, s0
; %bb.2967:                             ;   in Loop: Header=BB448_2342 Depth=1
	s_or_b32 exec_lo, exec_lo, s13
	v_lshrrev_b32_e32 v16, 16, v7
	s_mov_b32 s13, exec_lo
	s_delay_alu instid0(VALU_DEP_1) | instskip(NEXT) | instid1(VALU_DEP_1)
	v_dual_mov_b32 v8, 0 :: v_dual_and_b32 v9, 0xff, v16
	v_cmpx_ne_u16_e32 0, v9
	s_cbranch_execz .LBB448_2975
; %bb.2968:                             ;   in Loop: Header=BB448_2342 Depth=1
	v_bfrev_b32_e32 v8, 1
	s_mov_b32 s15, exec_lo
	v_cmpx_ne_u16_e32 0x80, v9
	s_cbranch_execz .LBB448_2974
; %bb.2969:                             ;   in Loop: Header=BB448_2342 Depth=1
	v_bfe_u32 v9, v7, 16, 7
	v_mov_b32_e32 v8, 0x7f800001
	s_mov_b32 s16, exec_lo
	s_delay_alu instid0(VALU_DEP_2)
	v_cmpx_ne_u32_e32 0x7f, v9
	s_cbranch_execz .LBB448_2973
; %bb.2970:                             ;   in Loop: Header=BB448_2342 Depth=1
	v_and_b32_e32 v12, 7, v16
	v_lshrrev_b32_e32 v18, 3, v9
	v_cmp_gt_u32_e64 s0, 8, v9
	s_delay_alu instid0(VALU_DEP_3) | instskip(NEXT) | instid1(VALU_DEP_2)
	v_dual_mov_b32 v8, v12 :: v_dual_mov_b32 v9, v13
	s_and_saveexec_b32 s17, s0
; %bb.2971:                             ;   in Loop: Header=BB448_2342 Depth=1
	v_clz_i32_u32_e32 v8, v12
	s_delay_alu instid0(VALU_DEP_1) | instskip(NEXT) | instid1(VALU_DEP_1)
	v_min_u32_e32 v18, 32, v8
	v_subrev_nc_u32_e32 v8, 28, v18
	v_sub_nc_u32_e32 v18, 29, v18
	s_delay_alu instid0(VALU_DEP_2) | instskip(NEXT) | instid1(VALU_DEP_1)
	v_lshlrev_b64 v[8:9], v8, v[12:13]
	v_and_b32_e32 v8, 7, v8
; %bb.2972:                             ;   in Loop: Header=BB448_2342 Depth=1
	s_or_b32 exec_lo, exec_lo, s17
	v_lshlrev_b32_e32 v9, 24, v16
	s_delay_alu instid0(VALU_DEP_2) | instskip(SKIP_1) | instid1(VALU_DEP_3)
	v_lshlrev_b32_e32 v8, 20, v8
	v_lshl_add_u32 v12, v18, 23, 0x3c000000
	v_and_b32_e32 v9, 0x80000000, v9
	s_delay_alu instid0(VALU_DEP_1)
	v_or3_b32 v8, v8, v9, v12
.LBB448_2973:                           ;   in Loop: Header=BB448_2342 Depth=1
	s_or_b32 exec_lo, exec_lo, s16
.LBB448_2974:                           ;   in Loop: Header=BB448_2342 Depth=1
	s_delay_alu instid0(SALU_CYCLE_1)
	s_or_b32 exec_lo, exec_lo, s15
.LBB448_2975:                           ;   in Loop: Header=BB448_2342 Depth=1
	s_delay_alu instid0(SALU_CYCLE_1) | instskip(NEXT) | instid1(VALU_DEP_1)
	s_or_b32 exec_lo, exec_lo, s13
	v_mul_f32_e32 v8, v118, v8
	s_delay_alu instid0(VALU_DEP_1) | instskip(NEXT) | instid1(VALU_DEP_1)
	v_and_b32_e32 v9, 0x7f800000, v8
	v_cmp_ne_u32_e64 s0, 0x7f800000, v9
                                        ; implicit-def: $vgpr9
	s_delay_alu instid0(VALU_DEP_1) | instskip(NEXT) | instid1(SALU_CYCLE_1)
	s_and_saveexec_b32 s13, s0
	s_xor_b32 s0, exec_lo, s13
; %bb.2976:                             ;   in Loop: Header=BB448_2342 Depth=1
	v_bfe_u32 v9, v8, 16, 1
	s_delay_alu instid0(VALU_DEP_1)
	v_add3_u32 v9, v8, v9, 0x7fff
                                        ; implicit-def: $vgpr8
; %bb.2977:                             ;   in Loop: Header=BB448_2342 Depth=1
	s_and_not1_saveexec_b32 s13, s0
; %bb.2978:                             ;   in Loop: Header=BB448_2342 Depth=1
	v_and_b32_e32 v9, 0xffff, v8
	v_or_b32_e32 v12, 0x10000, v8
	s_delay_alu instid0(VALU_DEP_2) | instskip(NEXT) | instid1(VALU_DEP_1)
	v_cmp_eq_u32_e64 s0, 0, v9
	v_cndmask_b32_e64 v9, v12, v8, s0
; %bb.2979:                             ;   in Loop: Header=BB448_2342 Depth=1
	s_or_b32 exec_lo, exec_lo, s13
	v_cmp_lt_u64_e64 s0, s[8:9], v[6:7]
	v_mov_b32_e32 v6, 0
	s_delay_alu instid0(VALU_DEP_2)
	s_and_saveexec_b32 s13, s0
	s_cbranch_execz .LBB448_2987
; %bb.2980:                             ;   in Loop: Header=BB448_2342 Depth=1
	v_lshrrev_b32_e32 v8, 24, v7
	v_bfrev_b32_e32 v6, 1
	s_mov_b32 s15, exec_lo
	s_delay_alu instid0(VALU_DEP_2)
	v_cmpx_ne_u32_e32 0x80, v8
	s_cbranch_execz .LBB448_2986
; %bb.2981:                             ;   in Loop: Header=BB448_2342 Depth=1
	v_bfe_u32 v7, v7, 24, 7
	v_mov_b32_e32 v6, 0x7f800001
	s_mov_b32 s16, exec_lo
	s_delay_alu instid0(VALU_DEP_2)
	v_cmpx_ne_u32_e32 0x7f, v7
	s_cbranch_execz .LBB448_2985
; %bb.2982:                             ;   in Loop: Header=BB448_2342 Depth=1
	v_and_b32_e32 v12, 7, v8
	v_lshrrev_b32_e32 v16, 3, v7
	v_cmp_gt_u32_e64 s0, 8, v7
	s_delay_alu instid0(VALU_DEP_3) | instskip(NEXT) | instid1(VALU_DEP_2)
	v_dual_mov_b32 v6, v12 :: v_dual_mov_b32 v7, v13
	s_and_saveexec_b32 s17, s0
; %bb.2983:                             ;   in Loop: Header=BB448_2342 Depth=1
	v_clz_i32_u32_e32 v6, v12
	s_delay_alu instid0(VALU_DEP_1) | instskip(NEXT) | instid1(VALU_DEP_1)
	v_min_u32_e32 v16, 32, v6
	v_subrev_nc_u32_e32 v6, 28, v16
	v_sub_nc_u32_e32 v16, 29, v16
	s_delay_alu instid0(VALU_DEP_2) | instskip(NEXT) | instid1(VALU_DEP_1)
	v_lshlrev_b64 v[6:7], v6, v[12:13]
	v_and_b32_e32 v6, 7, v6
; %bb.2984:                             ;   in Loop: Header=BB448_2342 Depth=1
	s_or_b32 exec_lo, exec_lo, s17
	v_lshlrev_b32_e32 v7, 24, v8
	s_delay_alu instid0(VALU_DEP_2) | instskip(SKIP_1) | instid1(VALU_DEP_3)
	v_lshlrev_b32_e32 v6, 20, v6
	v_lshl_add_u32 v8, v16, 23, 0x3c000000
	v_and_b32_e32 v7, 0x80000000, v7
	s_delay_alu instid0(VALU_DEP_1)
	v_or3_b32 v6, v6, v7, v8
.LBB448_2985:                           ;   in Loop: Header=BB448_2342 Depth=1
	s_or_b32 exec_lo, exec_lo, s16
.LBB448_2986:                           ;   in Loop: Header=BB448_2342 Depth=1
	s_delay_alu instid0(SALU_CYCLE_1)
	s_or_b32 exec_lo, exec_lo, s15
.LBB448_2987:                           ;   in Loop: Header=BB448_2342 Depth=1
	s_delay_alu instid0(SALU_CYCLE_1) | instskip(NEXT) | instid1(VALU_DEP_1)
	s_or_b32 exec_lo, exec_lo, s13
	v_mul_f32_e32 v6, v118, v6
                                        ; implicit-def: $vgpr16
	s_delay_alu instid0(VALU_DEP_1) | instskip(NEXT) | instid1(VALU_DEP_1)
	v_and_b32_e32 v7, 0x7f800000, v6
	v_cmp_ne_u32_e64 s0, 0x7f800000, v7
	s_delay_alu instid0(VALU_DEP_1) | instskip(NEXT) | instid1(SALU_CYCLE_1)
	s_and_saveexec_b32 s13, s0
	s_xor_b32 s0, exec_lo, s13
; %bb.2988:                             ;   in Loop: Header=BB448_2342 Depth=1
	v_bfe_u32 v7, v6, 16, 1
	s_delay_alu instid0(VALU_DEP_1)
	v_add3_u32 v16, v6, v7, 0x7fff
                                        ; implicit-def: $vgpr6
; %bb.2989:                             ;   in Loop: Header=BB448_2342 Depth=1
	s_and_not1_saveexec_b32 s13, s0
; %bb.2990:                             ;   in Loop: Header=BB448_2342 Depth=1
	v_and_b32_e32 v7, 0xffff, v6
	v_or_b32_e32 v8, 0x10000, v6
	s_delay_alu instid0(VALU_DEP_2) | instskip(NEXT) | instid1(VALU_DEP_1)
	v_cmp_eq_u32_e64 s0, 0, v7
	v_cndmask_b32_e64 v16, v8, v6, s0
; %bb.2991:                             ;   in Loop: Header=BB448_2342 Depth=1
	s_or_b32 exec_lo, exec_lo, s13
	v_lshrrev_b32_e32 v6, 16, v15
	v_lshrrev_b32_e32 v7, 16, v14
	;; [unrolled: 1-line block ×8, first 2 shown]
	s_and_saveexec_b32 s13, vcc_lo
	s_cbranch_execz .LBB448_2993
; %bb.2992:                             ;   in Loop: Header=BB448_2342 Depth=1
	v_cmp_lt_i32_e64 s0, v102, v36
	s_delay_alu instid0(VALU_DEP_1) | instskip(SKIP_1) | instid1(VALU_DEP_1)
	v_cndmask_b32_e64 v12, 0, v12, s0
	v_cmp_lt_i32_e64 s0, v133, v36
	v_cndmask_b32_e64 v11, 0, v11, s0
	v_cmp_lt_i32_e64 s0, v132, v36
	s_delay_alu instid0(VALU_DEP_1) | instskip(SKIP_1) | instid1(VALU_DEP_1)
	v_cndmask_b32_e64 v10, 0, v10, s0
	v_cmp_lt_i32_e64 s0, v131, v36
	v_cndmask_b32_e64 v8, 0, v8, s0
	;; [unrolled: 5-line block ×4, first 2 shown]
.LBB448_2993:                           ;   in Loop: Header=BB448_2342 Depth=1
	s_or_b32 exec_lo, exec_lo, s13
	v_lshlrev_b32_e32 v9, 16, v12
                                        ; implicit-def: $vgpr46
	s_delay_alu instid0(VALU_DEP_1) | instskip(NEXT) | instid1(VALU_DEP_1)
	v_mul_f32_e32 v9, v134, v9
	v_and_b32_e32 v12, 0x7f800000, v9
	s_delay_alu instid0(VALU_DEP_1) | instskip(NEXT) | instid1(VALU_DEP_1)
	v_cmp_ne_u32_e64 s0, 0x7f800000, v12
	s_and_saveexec_b32 s13, s0
	s_delay_alu instid0(SALU_CYCLE_1)
	s_xor_b32 s0, exec_lo, s13
; %bb.2994:                             ;   in Loop: Header=BB448_2342 Depth=1
	v_bfe_u32 v12, v9, 16, 1
	s_delay_alu instid0(VALU_DEP_1)
	v_add3_u32 v46, v9, v12, 0x7fff
                                        ; implicit-def: $vgpr9
; %bb.2995:                             ;   in Loop: Header=BB448_2342 Depth=1
	s_and_not1_saveexec_b32 s13, s0
; %bb.2996:                             ;   in Loop: Header=BB448_2342 Depth=1
	v_and_b32_e32 v12, 0xffff, v9
	v_or_b32_e32 v14, 0x10000, v9
	s_delay_alu instid0(VALU_DEP_2) | instskip(NEXT) | instid1(VALU_DEP_1)
	v_cmp_eq_u32_e64 s0, 0, v12
	v_cndmask_b32_e64 v46, v14, v9, s0
; %bb.2997:                             ;   in Loop: Header=BB448_2342 Depth=1
	s_or_b32 exec_lo, exec_lo, s13
	v_lshlrev_b32_e32 v9, 16, v11
                                        ; implicit-def: $vgpr47
	s_delay_alu instid0(VALU_DEP_1) | instskip(NEXT) | instid1(VALU_DEP_1)
	v_mul_f32_e32 v9, v135, v9
	v_and_b32_e32 v11, 0x7f800000, v9
	s_delay_alu instid0(VALU_DEP_1) | instskip(NEXT) | instid1(VALU_DEP_1)
	v_cmp_ne_u32_e64 s0, 0x7f800000, v11
	s_and_saveexec_b32 s13, s0
	s_delay_alu instid0(SALU_CYCLE_1)
	s_xor_b32 s0, exec_lo, s13
; %bb.2998:                             ;   in Loop: Header=BB448_2342 Depth=1
	v_bfe_u32 v11, v9, 16, 1
	s_delay_alu instid0(VALU_DEP_1)
	v_add3_u32 v47, v9, v11, 0x7fff
                                        ; implicit-def: $vgpr9
; %bb.2999:                             ;   in Loop: Header=BB448_2342 Depth=1
	s_and_not1_saveexec_b32 s13, s0
; %bb.3000:                             ;   in Loop: Header=BB448_2342 Depth=1
	v_and_b32_e32 v11, 0xffff, v9
	v_or_b32_e32 v12, 0x10000, v9
	s_delay_alu instid0(VALU_DEP_2) | instskip(NEXT) | instid1(VALU_DEP_1)
	v_cmp_eq_u32_e64 s0, 0, v11
	v_cndmask_b32_e64 v47, v12, v9, s0
; %bb.3001:                             ;   in Loop: Header=BB448_2342 Depth=1
	s_or_b32 exec_lo, exec_lo, s13
	v_lshlrev_b32_e32 v9, 16, v10
                                        ; implicit-def: $vgpr56
	s_delay_alu instid0(VALU_DEP_1) | instskip(NEXT) | instid1(VALU_DEP_1)
	v_mul_f32_e32 v9, v144, v9
	v_and_b32_e32 v10, 0x7f800000, v9
	s_delay_alu instid0(VALU_DEP_1) | instskip(NEXT) | instid1(VALU_DEP_1)
	v_cmp_ne_u32_e64 s0, 0x7f800000, v10
	s_and_saveexec_b32 s13, s0
	s_delay_alu instid0(SALU_CYCLE_1)
	s_xor_b32 s0, exec_lo, s13
; %bb.3002:                             ;   in Loop: Header=BB448_2342 Depth=1
	v_bfe_u32 v10, v9, 16, 1
	s_delay_alu instid0(VALU_DEP_1)
	v_add3_u32 v56, v9, v10, 0x7fff
                                        ; implicit-def: $vgpr9
; %bb.3003:                             ;   in Loop: Header=BB448_2342 Depth=1
	s_and_not1_saveexec_b32 s13, s0
; %bb.3004:                             ;   in Loop: Header=BB448_2342 Depth=1
	v_and_b32_e32 v10, 0xffff, v9
	v_or_b32_e32 v11, 0x10000, v9
	s_delay_alu instid0(VALU_DEP_2) | instskip(NEXT) | instid1(VALU_DEP_1)
	v_cmp_eq_u32_e64 s0, 0, v10
	v_cndmask_b32_e64 v56, v11, v9, s0
; %bb.3005:                             ;   in Loop: Header=BB448_2342 Depth=1
	s_or_b32 exec_lo, exec_lo, s13
	v_lshlrev_b32_e32 v8, 16, v8
                                        ; implicit-def: $vgpr57
	s_delay_alu instid0(VALU_DEP_1) | instskip(NEXT) | instid1(VALU_DEP_1)
	v_mul_f32_e32 v8, v145, v8
	v_and_b32_e32 v9, 0x7f800000, v8
	s_delay_alu instid0(VALU_DEP_1) | instskip(NEXT) | instid1(VALU_DEP_1)
	v_cmp_ne_u32_e64 s0, 0x7f800000, v9
	s_and_saveexec_b32 s13, s0
	s_delay_alu instid0(SALU_CYCLE_1)
	s_xor_b32 s0, exec_lo, s13
; %bb.3006:                             ;   in Loop: Header=BB448_2342 Depth=1
	v_bfe_u32 v9, v8, 16, 1
	s_delay_alu instid0(VALU_DEP_1)
	v_add3_u32 v57, v8, v9, 0x7fff
                                        ; implicit-def: $vgpr8
; %bb.3007:                             ;   in Loop: Header=BB448_2342 Depth=1
	s_and_not1_saveexec_b32 s13, s0
; %bb.3008:                             ;   in Loop: Header=BB448_2342 Depth=1
	v_and_b32_e32 v9, 0xffff, v8
	v_or_b32_e32 v10, 0x10000, v8
	s_delay_alu instid0(VALU_DEP_2) | instskip(NEXT) | instid1(VALU_DEP_1)
	v_cmp_eq_u32_e64 s0, 0, v9
	v_cndmask_b32_e64 v57, v10, v8, s0
; %bb.3009:                             ;   in Loop: Header=BB448_2342 Depth=1
	s_or_b32 exec_lo, exec_lo, s13
	v_lshlrev_b32_e32 v7, 16, v7
                                        ; implicit-def: $vgpr58
	s_delay_alu instid0(VALU_DEP_1) | instskip(NEXT) | instid1(VALU_DEP_1)
	v_mul_f32_e32 v7, v146, v7
	v_and_b32_e32 v8, 0x7f800000, v7
	s_delay_alu instid0(VALU_DEP_1) | instskip(NEXT) | instid1(VALU_DEP_1)
	v_cmp_ne_u32_e64 s0, 0x7f800000, v8
	s_and_saveexec_b32 s13, s0
	s_delay_alu instid0(SALU_CYCLE_1)
	s_xor_b32 s0, exec_lo, s13
; %bb.3010:                             ;   in Loop: Header=BB448_2342 Depth=1
	v_bfe_u32 v8, v7, 16, 1
	s_delay_alu instid0(VALU_DEP_1)
	v_add3_u32 v58, v7, v8, 0x7fff
                                        ; implicit-def: $vgpr7
; %bb.3011:                             ;   in Loop: Header=BB448_2342 Depth=1
	s_and_not1_saveexec_b32 s13, s0
; %bb.3012:                             ;   in Loop: Header=BB448_2342 Depth=1
	v_and_b32_e32 v8, 0xffff, v7
	v_or_b32_e32 v9, 0x10000, v7
	s_delay_alu instid0(VALU_DEP_2) | instskip(NEXT) | instid1(VALU_DEP_1)
	v_cmp_eq_u32_e64 s0, 0, v8
	v_cndmask_b32_e64 v58, v9, v7, s0
; %bb.3013:                             ;   in Loop: Header=BB448_2342 Depth=1
	s_or_b32 exec_lo, exec_lo, s13
	v_lshlrev_b32_e32 v6, 16, v6
                                        ; implicit-def: $vgpr59
	s_delay_alu instid0(VALU_DEP_1) | instskip(NEXT) | instid1(VALU_DEP_1)
	v_mul_f32_e32 v6, v147, v6
	v_and_b32_e32 v7, 0x7f800000, v6
	s_delay_alu instid0(VALU_DEP_1) | instskip(NEXT) | instid1(VALU_DEP_1)
	v_cmp_ne_u32_e64 s0, 0x7f800000, v7
	s_and_saveexec_b32 s13, s0
	s_delay_alu instid0(SALU_CYCLE_1)
	s_xor_b32 s0, exec_lo, s13
; %bb.3014:                             ;   in Loop: Header=BB448_2342 Depth=1
	v_bfe_u32 v7, v6, 16, 1
	s_delay_alu instid0(VALU_DEP_1)
	v_add3_u32 v59, v6, v7, 0x7fff
                                        ; implicit-def: $vgpr6
; %bb.3015:                             ;   in Loop: Header=BB448_2342 Depth=1
	s_and_not1_saveexec_b32 s13, s0
; %bb.3016:                             ;   in Loop: Header=BB448_2342 Depth=1
	v_and_b32_e32 v7, 0xffff, v6
	v_or_b32_e32 v8, 0x10000, v6
	s_delay_alu instid0(VALU_DEP_2) | instskip(NEXT) | instid1(VALU_DEP_1)
	v_cmp_eq_u32_e64 s0, 0, v7
	v_cndmask_b32_e64 v59, v8, v6, s0
; %bb.3017:                             ;   in Loop: Header=BB448_2342 Depth=1
	s_or_b32 exec_lo, exec_lo, s13
	v_lshlrev_b32_e32 v5, 16, v5
                                        ; implicit-def: $vgpr60
	s_delay_alu instid0(VALU_DEP_1) | instskip(NEXT) | instid1(VALU_DEP_1)
	v_mul_f32_e32 v5, v148, v5
	v_and_b32_e32 v6, 0x7f800000, v5
	s_delay_alu instid0(VALU_DEP_1) | instskip(NEXT) | instid1(VALU_DEP_1)
	v_cmp_ne_u32_e64 s0, 0x7f800000, v6
	s_and_saveexec_b32 s13, s0
	s_delay_alu instid0(SALU_CYCLE_1)
	s_xor_b32 s0, exec_lo, s13
; %bb.3018:                             ;   in Loop: Header=BB448_2342 Depth=1
	v_bfe_u32 v6, v5, 16, 1
	s_delay_alu instid0(VALU_DEP_1)
	v_add3_u32 v60, v5, v6, 0x7fff
                                        ; implicit-def: $vgpr5
; %bb.3019:                             ;   in Loop: Header=BB448_2342 Depth=1
	s_and_not1_saveexec_b32 s13, s0
; %bb.3020:                             ;   in Loop: Header=BB448_2342 Depth=1
	v_and_b32_e32 v6, 0xffff, v5
	v_or_b32_e32 v7, 0x10000, v5
	s_delay_alu instid0(VALU_DEP_2) | instskip(NEXT) | instid1(VALU_DEP_1)
	v_cmp_eq_u32_e64 s0, 0, v6
	v_cndmask_b32_e64 v60, v7, v5, s0
; %bb.3021:                             ;   in Loop: Header=BB448_2342 Depth=1
	s_or_b32 exec_lo, exec_lo, s13
	v_lshlrev_b32_e32 v4, 16, v4
                                        ; implicit-def: $vgpr61
	s_delay_alu instid0(VALU_DEP_1) | instskip(NEXT) | instid1(VALU_DEP_1)
	v_mul_f32_e32 v4, v149, v4
	v_and_b32_e32 v5, 0x7f800000, v4
	s_delay_alu instid0(VALU_DEP_1) | instskip(NEXT) | instid1(VALU_DEP_1)
	v_cmp_ne_u32_e64 s0, 0x7f800000, v5
	s_and_saveexec_b32 s13, s0
	s_delay_alu instid0(SALU_CYCLE_1)
	s_xor_b32 s0, exec_lo, s13
; %bb.3022:                             ;   in Loop: Header=BB448_2342 Depth=1
	v_bfe_u32 v5, v4, 16, 1
	s_delay_alu instid0(VALU_DEP_1)
	v_add3_u32 v61, v4, v5, 0x7fff
                                        ; implicit-def: $vgpr4
; %bb.3023:                             ;   in Loop: Header=BB448_2342 Depth=1
	s_and_not1_saveexec_b32 s13, s0
; %bb.3024:                             ;   in Loop: Header=BB448_2342 Depth=1
	v_and_b32_e32 v5, 0xffff, v4
	v_or_b32_e32 v6, 0x10000, v4
	s_delay_alu instid0(VALU_DEP_2) | instskip(NEXT) | instid1(VALU_DEP_1)
	v_cmp_eq_u32_e64 s0, 0, v5
	v_cndmask_b32_e64 v61, v6, v4, s0
; %bb.3025:                             ;   in Loop: Header=BB448_2342 Depth=1
	s_or_b32 exec_lo, exec_lo, s13
	flat_load_b64 v[6:7], v[2:3] offset:1280
	s_mov_b32 s13, exec_lo
	s_waitcnt vmcnt(0) lgkmcnt(0)
	v_dual_mov_b32 v4, 0 :: v_dual_and_b32 v5, 0xff, v6
	s_delay_alu instid0(VALU_DEP_1)
	v_cmpx_ne_u16_e32 0, v5
	s_cbranch_execz .LBB448_3033
; %bb.3026:                             ;   in Loop: Header=BB448_2342 Depth=1
	v_bfrev_b32_e32 v4, 1
	s_mov_b32 s15, exec_lo
	v_cmpx_ne_u16_e32 0x80, v5
	s_cbranch_execz .LBB448_3032
; %bb.3027:                             ;   in Loop: Header=BB448_2342 Depth=1
	v_and_b32_e32 v5, 0x7f, v6
	v_mov_b32_e32 v4, 0x7f800001
	s_mov_b32 s16, exec_lo
	s_delay_alu instid0(VALU_DEP_2)
	v_cmpx_ne_u32_e32 0x7f, v5
	s_cbranch_execz .LBB448_3031
; %bb.3028:                             ;   in Loop: Header=BB448_2342 Depth=1
	v_lshrrev_b32_e32 v4, 3, v5
	v_dual_mov_b32 v9, v7 :: v_dual_mov_b32 v8, v6
	s_mov_b32 s17, exec_lo
	v_cmpx_gt_u32_e32 8, v5
; %bb.3029:                             ;   in Loop: Header=BB448_2342 Depth=1
	v_and_b32_e32 v4, 7, v6
	s_delay_alu instid0(VALU_DEP_1) | instskip(NEXT) | instid1(VALU_DEP_1)
	v_clz_i32_u32_e32 v4, v4
	v_min_u32_e32 v4, 32, v4
	s_delay_alu instid0(VALU_DEP_1) | instskip(SKIP_1) | instid1(VALU_DEP_2)
	v_subrev_nc_u32_e32 v5, 28, v4
	v_sub_nc_u32_e32 v4, 29, v4
	v_lshlrev_b64 v[8:9], v5, v[6:7]
; %bb.3030:                             ;   in Loop: Header=BB448_2342 Depth=1
	s_or_b32 exec_lo, exec_lo, s17
	s_delay_alu instid0(VALU_DEP_1) | instskip(SKIP_2) | instid1(VALU_DEP_3)
	v_lshlrev_b32_e32 v5, 20, v8
	v_lshlrev_b32_e32 v8, 24, v6
	v_lshl_add_u32 v4, v4, 23, 0x3c000000
	v_and_b32_e32 v5, 0x700000, v5
	s_delay_alu instid0(VALU_DEP_3) | instskip(NEXT) | instid1(VALU_DEP_1)
	v_and_b32_e32 v8, 0x80000000, v8
	v_or3_b32 v4, v5, v8, v4
.LBB448_3031:                           ;   in Loop: Header=BB448_2342 Depth=1
	s_or_b32 exec_lo, exec_lo, s16
.LBB448_3032:                           ;   in Loop: Header=BB448_2342 Depth=1
	s_delay_alu instid0(SALU_CYCLE_1)
	s_or_b32 exec_lo, exec_lo, s15
.LBB448_3033:                           ;   in Loop: Header=BB448_2342 Depth=1
	s_delay_alu instid0(SALU_CYCLE_1) | instskip(NEXT) | instid1(VALU_DEP_1)
	s_or_b32 exec_lo, exec_lo, s13
	v_mul_f32_e32 v5, v118, v4
	s_delay_alu instid0(VALU_DEP_1) | instskip(NEXT) | instid1(VALU_DEP_1)
	v_and_b32_e32 v4, 0x7f800000, v5
	v_cmp_ne_u32_e64 s0, 0x7f800000, v4
                                        ; implicit-def: $vgpr4
	s_delay_alu instid0(VALU_DEP_1) | instskip(NEXT) | instid1(SALU_CYCLE_1)
	s_and_saveexec_b32 s13, s0
	s_xor_b32 s0, exec_lo, s13
; %bb.3034:                             ;   in Loop: Header=BB448_2342 Depth=1
	v_bfe_u32 v4, v5, 16, 1
	s_delay_alu instid0(VALU_DEP_1)
	v_add3_u32 v4, v5, v4, 0x7fff
                                        ; implicit-def: $vgpr5
; %bb.3035:                             ;   in Loop: Header=BB448_2342 Depth=1
	s_and_not1_saveexec_b32 s13, s0
; %bb.3036:                             ;   in Loop: Header=BB448_2342 Depth=1
	v_and_b32_e32 v4, 0xffff, v5
	v_or_b32_e32 v8, 0x10000, v5
	s_delay_alu instid0(VALU_DEP_2) | instskip(NEXT) | instid1(VALU_DEP_1)
	v_cmp_eq_u32_e64 s0, 0, v4
	v_cndmask_b32_e64 v4, v8, v5, s0
; %bb.3037:                             ;   in Loop: Header=BB448_2342 Depth=1
	s_or_b32 exec_lo, exec_lo, s13
	v_lshrrev_b16 v8, 8, v6
	v_mov_b32_e32 v5, 0
	s_mov_b32 s13, exec_lo
	s_delay_alu instid0(VALU_DEP_2)
	v_cmpx_ne_u16_e32 0, v8
	s_cbranch_execz .LBB448_3045
; %bb.3038:                             ;   in Loop: Header=BB448_2342 Depth=1
	v_bfrev_b32_e32 v5, 1
	s_mov_b32 s15, exec_lo
	v_cmpx_ne_u16_e32 0x80, v8
	s_cbranch_execz .LBB448_3044
; %bb.3039:                             ;   in Loop: Header=BB448_2342 Depth=1
	v_and_b32_e32 v9, 0xffff, v8
	v_mov_b32_e32 v5, 0x7f800001
	s_mov_b32 s16, exec_lo
	s_delay_alu instid0(VALU_DEP_2) | instskip(NEXT) | instid1(VALU_DEP_1)
	v_and_b32_e32 v8, 0x7f, v9
	v_cmpx_ne_u32_e32 0x7f, v8
	s_cbranch_execz .LBB448_3043
; %bb.3040:                             ;   in Loop: Header=BB448_2342 Depth=1
	v_and_b32_e32 v12, 7, v9
	v_lshrrev_b32_e32 v5, 3, v8
	v_cmp_gt_u32_e64 s0, 8, v8
	s_delay_alu instid0(VALU_DEP_3) | instskip(NEXT) | instid1(VALU_DEP_2)
	v_dual_mov_b32 v8, v12 :: v_dual_mov_b32 v9, v13
	s_and_saveexec_b32 s17, s0
; %bb.3041:                             ;   in Loop: Header=BB448_2342 Depth=1
	v_clz_i32_u32_e32 v5, v12
	s_delay_alu instid0(VALU_DEP_1) | instskip(NEXT) | instid1(VALU_DEP_1)
	v_min_u32_e32 v5, 32, v5
	v_subrev_nc_u32_e32 v8, 28, v5
	v_sub_nc_u32_e32 v5, 29, v5
	s_delay_alu instid0(VALU_DEP_2) | instskip(NEXT) | instid1(VALU_DEP_1)
	v_lshlrev_b64 v[8:9], v8, v[12:13]
	v_and_b32_e32 v8, 7, v8
; %bb.3042:                             ;   in Loop: Header=BB448_2342 Depth=1
	s_or_b32 exec_lo, exec_lo, s17
	v_lshlrev_b32_e32 v9, 16, v6
	s_delay_alu instid0(VALU_DEP_2) | instskip(SKIP_1) | instid1(VALU_DEP_3)
	v_lshlrev_b32_e32 v8, 20, v8
	v_lshl_add_u32 v5, v5, 23, 0x3c000000
	v_and_b32_e32 v9, 0x80000000, v9
	s_delay_alu instid0(VALU_DEP_1)
	v_or3_b32 v5, v8, v9, v5
.LBB448_3043:                           ;   in Loop: Header=BB448_2342 Depth=1
	s_or_b32 exec_lo, exec_lo, s16
.LBB448_3044:                           ;   in Loop: Header=BB448_2342 Depth=1
	s_delay_alu instid0(SALU_CYCLE_1)
	s_or_b32 exec_lo, exec_lo, s15
.LBB448_3045:                           ;   in Loop: Header=BB448_2342 Depth=1
	s_delay_alu instid0(SALU_CYCLE_1) | instskip(NEXT) | instid1(VALU_DEP_1)
	s_or_b32 exec_lo, exec_lo, s13
	v_mul_f32_e32 v8, v118, v5
	s_delay_alu instid0(VALU_DEP_1) | instskip(NEXT) | instid1(VALU_DEP_1)
	v_and_b32_e32 v5, 0x7f800000, v8
	v_cmp_ne_u32_e64 s0, 0x7f800000, v5
                                        ; implicit-def: $vgpr5
	s_delay_alu instid0(VALU_DEP_1) | instskip(NEXT) | instid1(SALU_CYCLE_1)
	s_and_saveexec_b32 s13, s0
	s_xor_b32 s0, exec_lo, s13
; %bb.3046:                             ;   in Loop: Header=BB448_2342 Depth=1
	v_bfe_u32 v5, v8, 16, 1
	s_delay_alu instid0(VALU_DEP_1)
	v_add3_u32 v5, v8, v5, 0x7fff
                                        ; implicit-def: $vgpr8
; %bb.3047:                             ;   in Loop: Header=BB448_2342 Depth=1
	s_and_not1_saveexec_b32 s13, s0
; %bb.3048:                             ;   in Loop: Header=BB448_2342 Depth=1
	v_and_b32_e32 v5, 0xffff, v8
	v_or_b32_e32 v9, 0x10000, v8
	s_delay_alu instid0(VALU_DEP_2) | instskip(NEXT) | instid1(VALU_DEP_1)
	v_cmp_eq_u32_e64 s0, 0, v5
	v_cndmask_b32_e64 v5, v9, v8, s0
; %bb.3049:                             ;   in Loop: Header=BB448_2342 Depth=1
	s_or_b32 exec_lo, exec_lo, s13
	v_lshrrev_b32_e32 v10, 16, v6
	s_mov_b32 s13, exec_lo
	s_delay_alu instid0(VALU_DEP_1) | instskip(NEXT) | instid1(VALU_DEP_1)
	v_dual_mov_b32 v8, 0 :: v_dual_and_b32 v9, 0xff, v10
	v_cmpx_ne_u16_e32 0, v9
	s_cbranch_execz .LBB448_3057
; %bb.3050:                             ;   in Loop: Header=BB448_2342 Depth=1
	v_bfrev_b32_e32 v8, 1
	s_mov_b32 s15, exec_lo
	v_cmpx_ne_u16_e32 0x80, v9
	s_cbranch_execz .LBB448_3056
; %bb.3051:                             ;   in Loop: Header=BB448_2342 Depth=1
	v_bfe_u32 v9, v6, 16, 7
	v_mov_b32_e32 v8, 0x7f800001
	s_mov_b32 s16, exec_lo
	s_delay_alu instid0(VALU_DEP_2)
	v_cmpx_ne_u32_e32 0x7f, v9
	s_cbranch_execz .LBB448_3055
; %bb.3052:                             ;   in Loop: Header=BB448_2342 Depth=1
	v_and_b32_e32 v12, 7, v10
	v_lshrrev_b32_e32 v11, 3, v9
	v_cmp_gt_u32_e64 s0, 8, v9
	s_delay_alu instid0(VALU_DEP_3) | instskip(NEXT) | instid1(VALU_DEP_2)
	v_dual_mov_b32 v8, v12 :: v_dual_mov_b32 v9, v13
	s_and_saveexec_b32 s17, s0
; %bb.3053:                             ;   in Loop: Header=BB448_2342 Depth=1
	v_clz_i32_u32_e32 v8, v12
	s_delay_alu instid0(VALU_DEP_1) | instskip(NEXT) | instid1(VALU_DEP_1)
	v_min_u32_e32 v11, 32, v8
	v_subrev_nc_u32_e32 v8, 28, v11
	v_sub_nc_u32_e32 v11, 29, v11
	s_delay_alu instid0(VALU_DEP_2) | instskip(NEXT) | instid1(VALU_DEP_1)
	v_lshlrev_b64 v[8:9], v8, v[12:13]
	v_and_b32_e32 v8, 7, v8
; %bb.3054:                             ;   in Loop: Header=BB448_2342 Depth=1
	s_or_b32 exec_lo, exec_lo, s17
	v_lshlrev_b32_e32 v9, 24, v10
	s_delay_alu instid0(VALU_DEP_2) | instskip(SKIP_1) | instid1(VALU_DEP_3)
	v_lshlrev_b32_e32 v8, 20, v8
	v_lshl_add_u32 v10, v11, 23, 0x3c000000
	v_and_b32_e32 v9, 0x80000000, v9
	s_delay_alu instid0(VALU_DEP_1)
	v_or3_b32 v8, v8, v9, v10
.LBB448_3055:                           ;   in Loop: Header=BB448_2342 Depth=1
	s_or_b32 exec_lo, exec_lo, s16
.LBB448_3056:                           ;   in Loop: Header=BB448_2342 Depth=1
	s_delay_alu instid0(SALU_CYCLE_1)
	s_or_b32 exec_lo, exec_lo, s15
.LBB448_3057:                           ;   in Loop: Header=BB448_2342 Depth=1
	s_delay_alu instid0(SALU_CYCLE_1) | instskip(NEXT) | instid1(VALU_DEP_1)
	s_or_b32 exec_lo, exec_lo, s13
	v_mul_f32_e32 v8, v118, v8
                                        ; implicit-def: $vgpr10
	s_delay_alu instid0(VALU_DEP_1) | instskip(NEXT) | instid1(VALU_DEP_1)
	v_and_b32_e32 v9, 0x7f800000, v8
	v_cmp_ne_u32_e64 s0, 0x7f800000, v9
	s_delay_alu instid0(VALU_DEP_1) | instskip(NEXT) | instid1(SALU_CYCLE_1)
	s_and_saveexec_b32 s13, s0
	s_xor_b32 s0, exec_lo, s13
; %bb.3058:                             ;   in Loop: Header=BB448_2342 Depth=1
	v_bfe_u32 v9, v8, 16, 1
	s_delay_alu instid0(VALU_DEP_1)
	v_add3_u32 v10, v8, v9, 0x7fff
                                        ; implicit-def: $vgpr8
; %bb.3059:                             ;   in Loop: Header=BB448_2342 Depth=1
	s_and_not1_saveexec_b32 s13, s0
; %bb.3060:                             ;   in Loop: Header=BB448_2342 Depth=1
	v_and_b32_e32 v9, 0xffff, v8
	v_or_b32_e32 v10, 0x10000, v8
	s_delay_alu instid0(VALU_DEP_2) | instskip(NEXT) | instid1(VALU_DEP_1)
	v_cmp_eq_u32_e64 s0, 0, v9
	v_cndmask_b32_e64 v10, v10, v8, s0
; %bb.3061:                             ;   in Loop: Header=BB448_2342 Depth=1
	s_or_b32 exec_lo, exec_lo, s13
	v_mov_b32_e32 v8, 0
	s_mov_b32 s13, exec_lo
	v_cmpx_lt_u32_e32 0xffffff, v6
	s_cbranch_execz .LBB448_3069
; %bb.3062:                             ;   in Loop: Header=BB448_2342 Depth=1
	v_lshrrev_b32_e32 v11, 24, v6
	v_bfrev_b32_e32 v8, 1
	s_mov_b32 s15, exec_lo
	s_delay_alu instid0(VALU_DEP_2)
	v_cmpx_ne_u32_e32 0x80, v11
	s_cbranch_execz .LBB448_3068
; %bb.3063:                             ;   in Loop: Header=BB448_2342 Depth=1
	v_bfe_u32 v9, v6, 24, 7
	v_mov_b32_e32 v8, 0x7f800001
	s_mov_b32 s16, exec_lo
	s_delay_alu instid0(VALU_DEP_2)
	v_cmpx_ne_u32_e32 0x7f, v9
	s_cbranch_execz .LBB448_3067
; %bb.3064:                             ;   in Loop: Header=BB448_2342 Depth=1
	v_and_b32_e32 v12, 7, v11
	v_lshrrev_b32_e32 v14, 3, v9
	v_cmp_gt_u32_e64 s0, 8, v9
	s_delay_alu instid0(VALU_DEP_3) | instskip(NEXT) | instid1(VALU_DEP_2)
	v_dual_mov_b32 v8, v12 :: v_dual_mov_b32 v9, v13
	s_and_saveexec_b32 s17, s0
; %bb.3065:                             ;   in Loop: Header=BB448_2342 Depth=1
	v_clz_i32_u32_e32 v8, v12
	s_delay_alu instid0(VALU_DEP_1) | instskip(NEXT) | instid1(VALU_DEP_1)
	v_min_u32_e32 v14, 32, v8
	v_subrev_nc_u32_e32 v8, 28, v14
	v_sub_nc_u32_e32 v14, 29, v14
	s_delay_alu instid0(VALU_DEP_2) | instskip(NEXT) | instid1(VALU_DEP_1)
	v_lshlrev_b64 v[8:9], v8, v[12:13]
	v_and_b32_e32 v8, 7, v8
; %bb.3066:                             ;   in Loop: Header=BB448_2342 Depth=1
	s_or_b32 exec_lo, exec_lo, s17
	v_lshlrev_b32_e32 v9, 24, v11
	s_delay_alu instid0(VALU_DEP_2) | instskip(SKIP_1) | instid1(VALU_DEP_3)
	v_lshlrev_b32_e32 v8, 20, v8
	v_lshl_add_u32 v11, v14, 23, 0x3c000000
	v_and_b32_e32 v9, 0x80000000, v9
	s_delay_alu instid0(VALU_DEP_1)
	v_or3_b32 v8, v8, v9, v11
.LBB448_3067:                           ;   in Loop: Header=BB448_2342 Depth=1
	s_or_b32 exec_lo, exec_lo, s16
.LBB448_3068:                           ;   in Loop: Header=BB448_2342 Depth=1
	s_delay_alu instid0(SALU_CYCLE_1)
	s_or_b32 exec_lo, exec_lo, s15
.LBB448_3069:                           ;   in Loop: Header=BB448_2342 Depth=1
	s_delay_alu instid0(SALU_CYCLE_1) | instskip(NEXT) | instid1(VALU_DEP_1)
	s_or_b32 exec_lo, exec_lo, s13
	v_mul_f32_e32 v8, v118, v8
                                        ; implicit-def: $vgpr11
	s_delay_alu instid0(VALU_DEP_1) | instskip(NEXT) | instid1(VALU_DEP_1)
	v_and_b32_e32 v9, 0x7f800000, v8
	v_cmp_ne_u32_e64 s0, 0x7f800000, v9
	s_delay_alu instid0(VALU_DEP_1) | instskip(NEXT) | instid1(SALU_CYCLE_1)
	s_and_saveexec_b32 s13, s0
	s_xor_b32 s0, exec_lo, s13
; %bb.3070:                             ;   in Loop: Header=BB448_2342 Depth=1
	v_bfe_u32 v9, v8, 16, 1
	s_delay_alu instid0(VALU_DEP_1)
	v_add3_u32 v11, v8, v9, 0x7fff
                                        ; implicit-def: $vgpr8
; %bb.3071:                             ;   in Loop: Header=BB448_2342 Depth=1
	s_and_not1_saveexec_b32 s13, s0
; %bb.3072:                             ;   in Loop: Header=BB448_2342 Depth=1
	v_and_b32_e32 v9, 0xffff, v8
	v_or_b32_e32 v11, 0x10000, v8
	s_delay_alu instid0(VALU_DEP_2) | instskip(NEXT) | instid1(VALU_DEP_1)
	v_cmp_eq_u32_e64 s0, 0, v9
	v_cndmask_b32_e64 v11, v11, v8, s0
; %bb.3073:                             ;   in Loop: Header=BB448_2342 Depth=1
	s_or_b32 exec_lo, exec_lo, s13
	v_dual_mov_b32 v12, v7 :: v_dual_and_b32 v9, 0xff, v7
	v_mov_b32_e32 v8, 0
	s_mov_b32 s13, exec_lo
	s_delay_alu instid0(VALU_DEP_2)
	v_cmpx_ne_u16_e32 0, v9
	s_cbranch_execz .LBB448_3081
; %bb.3074:                             ;   in Loop: Header=BB448_2342 Depth=1
	v_bfrev_b32_e32 v8, 1
	s_mov_b32 s15, exec_lo
	v_cmpx_ne_u16_e32 0x80, v9
	s_cbranch_execz .LBB448_3080
; %bb.3075:                             ;   in Loop: Header=BB448_2342 Depth=1
	v_and_b32_e32 v9, 0x7f, v7
	v_mov_b32_e32 v8, 0x7f800001
	s_mov_b32 s16, exec_lo
	s_delay_alu instid0(VALU_DEP_2)
	v_cmpx_ne_u32_e32 0x7f, v9
	s_cbranch_execz .LBB448_3079
; %bb.3076:                             ;   in Loop: Header=BB448_2342 Depth=1
	v_lshrrev_b32_e32 v14, 3, v9
	v_cmp_gt_u32_e64 s0, 8, v9
	v_dual_mov_b32 v8, v12 :: v_dual_mov_b32 v9, v13
	s_delay_alu instid0(VALU_DEP_2)
	s_and_saveexec_b32 s17, s0
; %bb.3077:                             ;   in Loop: Header=BB448_2342 Depth=1
	v_and_b32_e32 v8, 7, v7
	s_delay_alu instid0(VALU_DEP_1) | instskip(NEXT) | instid1(VALU_DEP_1)
	v_clz_i32_u32_e32 v8, v8
	v_min_u32_e32 v14, 32, v8
	s_delay_alu instid0(VALU_DEP_1) | instskip(SKIP_1) | instid1(VALU_DEP_2)
	v_subrev_nc_u32_e32 v8, 28, v14
	v_sub_nc_u32_e32 v14, 29, v14
	v_lshlrev_b64 v[8:9], v8, v[12:13]
; %bb.3078:                             ;   in Loop: Header=BB448_2342 Depth=1
	s_or_b32 exec_lo, exec_lo, s17
	s_delay_alu instid0(VALU_DEP_1) | instskip(SKIP_2) | instid1(VALU_DEP_3)
	v_lshlrev_b32_e32 v8, 20, v8
	v_lshlrev_b32_e32 v9, 24, v12
	v_lshl_add_u32 v14, v14, 23, 0x3c000000
	v_and_b32_e32 v8, 0x700000, v8
	s_delay_alu instid0(VALU_DEP_3) | instskip(NEXT) | instid1(VALU_DEP_1)
	v_and_b32_e32 v9, 0x80000000, v9
	v_or3_b32 v8, v8, v9, v14
.LBB448_3079:                           ;   in Loop: Header=BB448_2342 Depth=1
	s_or_b32 exec_lo, exec_lo, s16
.LBB448_3080:                           ;   in Loop: Header=BB448_2342 Depth=1
	s_delay_alu instid0(SALU_CYCLE_1)
	s_or_b32 exec_lo, exec_lo, s15
.LBB448_3081:                           ;   in Loop: Header=BB448_2342 Depth=1
	s_delay_alu instid0(SALU_CYCLE_1) | instskip(NEXT) | instid1(VALU_DEP_1)
	s_or_b32 exec_lo, exec_lo, s13
	v_mul_f32_e32 v8, v118, v8
                                        ; implicit-def: $vgpr14
	s_delay_alu instid0(VALU_DEP_1) | instskip(NEXT) | instid1(VALU_DEP_1)
	v_and_b32_e32 v9, 0x7f800000, v8
	v_cmp_ne_u32_e64 s0, 0x7f800000, v9
	s_delay_alu instid0(VALU_DEP_1) | instskip(NEXT) | instid1(SALU_CYCLE_1)
	s_and_saveexec_b32 s13, s0
	s_xor_b32 s0, exec_lo, s13
; %bb.3082:                             ;   in Loop: Header=BB448_2342 Depth=1
	v_bfe_u32 v9, v8, 16, 1
	s_delay_alu instid0(VALU_DEP_1)
	v_add3_u32 v14, v8, v9, 0x7fff
                                        ; implicit-def: $vgpr8
; %bb.3083:                             ;   in Loop: Header=BB448_2342 Depth=1
	s_and_not1_saveexec_b32 s13, s0
; %bb.3084:                             ;   in Loop: Header=BB448_2342 Depth=1
	v_and_b32_e32 v9, 0xffff, v8
	v_or_b32_e32 v14, 0x10000, v8
	s_delay_alu instid0(VALU_DEP_2) | instskip(NEXT) | instid1(VALU_DEP_1)
	v_cmp_eq_u32_e64 s0, 0, v9
	v_cndmask_b32_e64 v14, v14, v8, s0
; %bb.3085:                             ;   in Loop: Header=BB448_2342 Depth=1
	s_or_b32 exec_lo, exec_lo, s13
	v_lshrrev_b16 v9, 8, v12
	v_mov_b32_e32 v8, 0
	s_mov_b32 s13, exec_lo
	s_delay_alu instid0(VALU_DEP_2)
	v_cmpx_ne_u16_e32 0, v9
	s_cbranch_execz .LBB448_3093
; %bb.3086:                             ;   in Loop: Header=BB448_2342 Depth=1
	v_bfrev_b32_e32 v8, 1
	s_mov_b32 s15, exec_lo
	v_cmpx_ne_u16_e32 0x80, v9
	s_cbranch_execz .LBB448_3092
; %bb.3087:                             ;   in Loop: Header=BB448_2342 Depth=1
	v_and_b32_e32 v9, 0xffff, v9
	v_mov_b32_e32 v8, 0x7f800001
	s_mov_b32 s16, exec_lo
	s_delay_alu instid0(VALU_DEP_2) | instskip(NEXT) | instid1(VALU_DEP_1)
	v_and_b32_e32 v16, 0x7f, v9
	v_cmpx_ne_u32_e32 0x7f, v16
	s_cbranch_execz .LBB448_3091
; %bb.3088:                             ;   in Loop: Header=BB448_2342 Depth=1
	v_dual_mov_b32 v9, v13 :: v_dual_and_b32 v8, 7, v9
	v_lshrrev_b32_e32 v15, 3, v16
	s_mov_b32 s17, exec_lo
	v_cmpx_gt_u32_e32 8, v16
; %bb.3089:                             ;   in Loop: Header=BB448_2342 Depth=1
	s_delay_alu instid0(VALU_DEP_3) | instskip(NEXT) | instid1(VALU_DEP_1)
	v_clz_i32_u32_e32 v15, v8
	v_min_u32_e32 v15, 32, v15
	s_delay_alu instid0(VALU_DEP_1) | instskip(SKIP_1) | instid1(VALU_DEP_2)
	v_subrev_nc_u32_e32 v16, 28, v15
	v_sub_nc_u32_e32 v15, 29, v15
	v_lshlrev_b64 v[8:9], v16, v[8:9]
	s_delay_alu instid0(VALU_DEP_1)
	v_and_b32_e32 v8, 7, v8
; %bb.3090:                             ;   in Loop: Header=BB448_2342 Depth=1
	s_or_b32 exec_lo, exec_lo, s17
	v_lshlrev_b32_e32 v9, 16, v12
	s_delay_alu instid0(VALU_DEP_2) | instskip(SKIP_1) | instid1(VALU_DEP_3)
	v_lshlrev_b32_e32 v8, 20, v8
	v_lshl_add_u32 v12, v15, 23, 0x3c000000
	v_and_b32_e32 v9, 0x80000000, v9
	s_delay_alu instid0(VALU_DEP_1)
	v_or3_b32 v8, v8, v9, v12
.LBB448_3091:                           ;   in Loop: Header=BB448_2342 Depth=1
	s_or_b32 exec_lo, exec_lo, s16
.LBB448_3092:                           ;   in Loop: Header=BB448_2342 Depth=1
	s_delay_alu instid0(SALU_CYCLE_1)
	s_or_b32 exec_lo, exec_lo, s15
.LBB448_3093:                           ;   in Loop: Header=BB448_2342 Depth=1
	s_delay_alu instid0(SALU_CYCLE_1) | instskip(NEXT) | instid1(VALU_DEP_1)
	s_or_b32 exec_lo, exec_lo, s13
	v_mul_f32_e32 v8, v118, v8
                                        ; implicit-def: $vgpr15
	s_delay_alu instid0(VALU_DEP_1) | instskip(NEXT) | instid1(VALU_DEP_1)
	v_and_b32_e32 v9, 0x7f800000, v8
	v_cmp_ne_u32_e64 s0, 0x7f800000, v9
	s_delay_alu instid0(VALU_DEP_1) | instskip(NEXT) | instid1(SALU_CYCLE_1)
	s_and_saveexec_b32 s13, s0
	s_xor_b32 s0, exec_lo, s13
; %bb.3094:                             ;   in Loop: Header=BB448_2342 Depth=1
	v_bfe_u32 v9, v8, 16, 1
	s_delay_alu instid0(VALU_DEP_1)
	v_add3_u32 v15, v8, v9, 0x7fff
                                        ; implicit-def: $vgpr8
; %bb.3095:                             ;   in Loop: Header=BB448_2342 Depth=1
	s_and_not1_saveexec_b32 s13, s0
; %bb.3096:                             ;   in Loop: Header=BB448_2342 Depth=1
	v_and_b32_e32 v9, 0xffff, v8
	v_or_b32_e32 v12, 0x10000, v8
	s_delay_alu instid0(VALU_DEP_2) | instskip(NEXT) | instid1(VALU_DEP_1)
	v_cmp_eq_u32_e64 s0, 0, v9
	v_cndmask_b32_e64 v15, v12, v8, s0
; %bb.3097:                             ;   in Loop: Header=BB448_2342 Depth=1
	s_or_b32 exec_lo, exec_lo, s13
	v_lshrrev_b32_e32 v16, 16, v7
	s_mov_b32 s13, exec_lo
	s_delay_alu instid0(VALU_DEP_1) | instskip(NEXT) | instid1(VALU_DEP_1)
	v_dual_mov_b32 v8, 0 :: v_dual_and_b32 v9, 0xff, v16
	v_cmpx_ne_u16_e32 0, v9
	s_cbranch_execz .LBB448_3105
; %bb.3098:                             ;   in Loop: Header=BB448_2342 Depth=1
	v_bfrev_b32_e32 v8, 1
	s_mov_b32 s15, exec_lo
	v_cmpx_ne_u16_e32 0x80, v9
	s_cbranch_execz .LBB448_3104
; %bb.3099:                             ;   in Loop: Header=BB448_2342 Depth=1
	v_bfe_u32 v9, v7, 16, 7
	v_mov_b32_e32 v8, 0x7f800001
	s_mov_b32 s16, exec_lo
	s_delay_alu instid0(VALU_DEP_2)
	v_cmpx_ne_u32_e32 0x7f, v9
	s_cbranch_execz .LBB448_3103
; %bb.3100:                             ;   in Loop: Header=BB448_2342 Depth=1
	v_and_b32_e32 v12, 7, v16
	v_lshrrev_b32_e32 v18, 3, v9
	v_cmp_gt_u32_e64 s0, 8, v9
	s_delay_alu instid0(VALU_DEP_3) | instskip(NEXT) | instid1(VALU_DEP_2)
	v_dual_mov_b32 v8, v12 :: v_dual_mov_b32 v9, v13
	s_and_saveexec_b32 s17, s0
; %bb.3101:                             ;   in Loop: Header=BB448_2342 Depth=1
	v_clz_i32_u32_e32 v8, v12
	s_delay_alu instid0(VALU_DEP_1) | instskip(NEXT) | instid1(VALU_DEP_1)
	v_min_u32_e32 v18, 32, v8
	v_subrev_nc_u32_e32 v8, 28, v18
	v_sub_nc_u32_e32 v18, 29, v18
	s_delay_alu instid0(VALU_DEP_2) | instskip(NEXT) | instid1(VALU_DEP_1)
	v_lshlrev_b64 v[8:9], v8, v[12:13]
	v_and_b32_e32 v8, 7, v8
; %bb.3102:                             ;   in Loop: Header=BB448_2342 Depth=1
	s_or_b32 exec_lo, exec_lo, s17
	v_lshlrev_b32_e32 v9, 24, v16
	s_delay_alu instid0(VALU_DEP_2) | instskip(SKIP_1) | instid1(VALU_DEP_3)
	v_lshlrev_b32_e32 v8, 20, v8
	v_lshl_add_u32 v12, v18, 23, 0x3c000000
	v_and_b32_e32 v9, 0x80000000, v9
	s_delay_alu instid0(VALU_DEP_1)
	v_or3_b32 v8, v8, v9, v12
.LBB448_3103:                           ;   in Loop: Header=BB448_2342 Depth=1
	s_or_b32 exec_lo, exec_lo, s16
.LBB448_3104:                           ;   in Loop: Header=BB448_2342 Depth=1
	s_delay_alu instid0(SALU_CYCLE_1)
	s_or_b32 exec_lo, exec_lo, s15
.LBB448_3105:                           ;   in Loop: Header=BB448_2342 Depth=1
	s_delay_alu instid0(SALU_CYCLE_1) | instskip(NEXT) | instid1(VALU_DEP_1)
	s_or_b32 exec_lo, exec_lo, s13
	v_mul_f32_e32 v8, v118, v8
	s_delay_alu instid0(VALU_DEP_1) | instskip(NEXT) | instid1(VALU_DEP_1)
	v_and_b32_e32 v9, 0x7f800000, v8
	v_cmp_ne_u32_e64 s0, 0x7f800000, v9
                                        ; implicit-def: $vgpr9
	s_delay_alu instid0(VALU_DEP_1) | instskip(NEXT) | instid1(SALU_CYCLE_1)
	s_and_saveexec_b32 s13, s0
	s_xor_b32 s0, exec_lo, s13
; %bb.3106:                             ;   in Loop: Header=BB448_2342 Depth=1
	v_bfe_u32 v9, v8, 16, 1
	s_delay_alu instid0(VALU_DEP_1)
	v_add3_u32 v9, v8, v9, 0x7fff
                                        ; implicit-def: $vgpr8
; %bb.3107:                             ;   in Loop: Header=BB448_2342 Depth=1
	s_and_not1_saveexec_b32 s13, s0
; %bb.3108:                             ;   in Loop: Header=BB448_2342 Depth=1
	v_and_b32_e32 v9, 0xffff, v8
	v_or_b32_e32 v12, 0x10000, v8
	s_delay_alu instid0(VALU_DEP_2) | instskip(NEXT) | instid1(VALU_DEP_1)
	v_cmp_eq_u32_e64 s0, 0, v9
	v_cndmask_b32_e64 v9, v12, v8, s0
; %bb.3109:                             ;   in Loop: Header=BB448_2342 Depth=1
	s_or_b32 exec_lo, exec_lo, s13
	v_cmp_lt_u64_e64 s0, s[8:9], v[6:7]
	v_mov_b32_e32 v6, 0
	s_delay_alu instid0(VALU_DEP_2)
	s_and_saveexec_b32 s13, s0
	s_cbranch_execz .LBB448_3117
; %bb.3110:                             ;   in Loop: Header=BB448_2342 Depth=1
	v_lshrrev_b32_e32 v8, 24, v7
	v_bfrev_b32_e32 v6, 1
	s_mov_b32 s15, exec_lo
	s_delay_alu instid0(VALU_DEP_2)
	v_cmpx_ne_u32_e32 0x80, v8
	s_cbranch_execz .LBB448_3116
; %bb.3111:                             ;   in Loop: Header=BB448_2342 Depth=1
	v_bfe_u32 v7, v7, 24, 7
	v_mov_b32_e32 v6, 0x7f800001
	s_mov_b32 s16, exec_lo
	s_delay_alu instid0(VALU_DEP_2)
	v_cmpx_ne_u32_e32 0x7f, v7
	s_cbranch_execz .LBB448_3115
; %bb.3112:                             ;   in Loop: Header=BB448_2342 Depth=1
	v_and_b32_e32 v12, 7, v8
	v_lshrrev_b32_e32 v16, 3, v7
	v_cmp_gt_u32_e64 s0, 8, v7
	s_delay_alu instid0(VALU_DEP_3) | instskip(NEXT) | instid1(VALU_DEP_2)
	v_dual_mov_b32 v6, v12 :: v_dual_mov_b32 v7, v13
	s_and_saveexec_b32 s17, s0
; %bb.3113:                             ;   in Loop: Header=BB448_2342 Depth=1
	v_clz_i32_u32_e32 v6, v12
	s_delay_alu instid0(VALU_DEP_1) | instskip(NEXT) | instid1(VALU_DEP_1)
	v_min_u32_e32 v16, 32, v6
	v_subrev_nc_u32_e32 v6, 28, v16
	v_sub_nc_u32_e32 v16, 29, v16
	s_delay_alu instid0(VALU_DEP_2) | instskip(NEXT) | instid1(VALU_DEP_1)
	v_lshlrev_b64 v[6:7], v6, v[12:13]
	v_and_b32_e32 v6, 7, v6
; %bb.3114:                             ;   in Loop: Header=BB448_2342 Depth=1
	s_or_b32 exec_lo, exec_lo, s17
	v_lshlrev_b32_e32 v7, 24, v8
	s_delay_alu instid0(VALU_DEP_2) | instskip(SKIP_1) | instid1(VALU_DEP_3)
	v_lshlrev_b32_e32 v6, 20, v6
	v_lshl_add_u32 v8, v16, 23, 0x3c000000
	v_and_b32_e32 v7, 0x80000000, v7
	s_delay_alu instid0(VALU_DEP_1)
	v_or3_b32 v6, v6, v7, v8
.LBB448_3115:                           ;   in Loop: Header=BB448_2342 Depth=1
	s_or_b32 exec_lo, exec_lo, s16
.LBB448_3116:                           ;   in Loop: Header=BB448_2342 Depth=1
	s_delay_alu instid0(SALU_CYCLE_1)
	s_or_b32 exec_lo, exec_lo, s15
.LBB448_3117:                           ;   in Loop: Header=BB448_2342 Depth=1
	s_delay_alu instid0(SALU_CYCLE_1) | instskip(NEXT) | instid1(VALU_DEP_1)
	s_or_b32 exec_lo, exec_lo, s13
	v_mul_f32_e32 v6, v118, v6
                                        ; implicit-def: $vgpr16
	s_delay_alu instid0(VALU_DEP_1) | instskip(NEXT) | instid1(VALU_DEP_1)
	v_and_b32_e32 v7, 0x7f800000, v6
	v_cmp_ne_u32_e64 s0, 0x7f800000, v7
	s_delay_alu instid0(VALU_DEP_1) | instskip(NEXT) | instid1(SALU_CYCLE_1)
	s_and_saveexec_b32 s13, s0
	s_xor_b32 s0, exec_lo, s13
; %bb.3118:                             ;   in Loop: Header=BB448_2342 Depth=1
	v_bfe_u32 v7, v6, 16, 1
	s_delay_alu instid0(VALU_DEP_1)
	v_add3_u32 v16, v6, v7, 0x7fff
                                        ; implicit-def: $vgpr6
; %bb.3119:                             ;   in Loop: Header=BB448_2342 Depth=1
	s_and_not1_saveexec_b32 s13, s0
; %bb.3120:                             ;   in Loop: Header=BB448_2342 Depth=1
	v_and_b32_e32 v7, 0xffff, v6
	v_or_b32_e32 v8, 0x10000, v6
	s_delay_alu instid0(VALU_DEP_2) | instskip(NEXT) | instid1(VALU_DEP_1)
	v_cmp_eq_u32_e64 s0, 0, v7
	v_cndmask_b32_e64 v16, v8, v6, s0
; %bb.3121:                             ;   in Loop: Header=BB448_2342 Depth=1
	s_or_b32 exec_lo, exec_lo, s13
	v_lshrrev_b32_e32 v6, 16, v15
	v_lshrrev_b32_e32 v7, 16, v14
	;; [unrolled: 1-line block ×8, first 2 shown]
	s_and_saveexec_b32 s13, vcc_lo
	s_cbranch_execz .LBB448_3123
; %bb.3122:                             ;   in Loop: Header=BB448_2342 Depth=1
	v_cmp_lt_i32_e64 s0, v102, v36
	s_delay_alu instid0(VALU_DEP_1) | instskip(SKIP_1) | instid1(VALU_DEP_1)
	v_cndmask_b32_e64 v12, 0, v12, s0
	v_cmp_lt_i32_e64 s0, v133, v36
	v_cndmask_b32_e64 v11, 0, v11, s0
	v_cmp_lt_i32_e64 s0, v132, v36
	s_delay_alu instid0(VALU_DEP_1) | instskip(SKIP_1) | instid1(VALU_DEP_1)
	v_cndmask_b32_e64 v10, 0, v10, s0
	v_cmp_lt_i32_e64 s0, v131, v36
	v_cndmask_b32_e64 v8, 0, v8, s0
	;; [unrolled: 5-line block ×4, first 2 shown]
.LBB448_3123:                           ;   in Loop: Header=BB448_2342 Depth=1
	s_or_b32 exec_lo, exec_lo, s13
	v_lshlrev_b32_e32 v9, 16, v12
                                        ; implicit-def: $vgpr62
	s_delay_alu instid0(VALU_DEP_1) | instskip(NEXT) | instid1(VALU_DEP_1)
	v_mul_f32_e32 v9, v134, v9
	v_and_b32_e32 v12, 0x7f800000, v9
	s_delay_alu instid0(VALU_DEP_1) | instskip(NEXT) | instid1(VALU_DEP_1)
	v_cmp_ne_u32_e64 s0, 0x7f800000, v12
	s_and_saveexec_b32 s13, s0
	s_delay_alu instid0(SALU_CYCLE_1)
	s_xor_b32 s0, exec_lo, s13
; %bb.3124:                             ;   in Loop: Header=BB448_2342 Depth=1
	v_bfe_u32 v12, v9, 16, 1
	s_delay_alu instid0(VALU_DEP_1)
	v_add3_u32 v62, v9, v12, 0x7fff
                                        ; implicit-def: $vgpr9
; %bb.3125:                             ;   in Loop: Header=BB448_2342 Depth=1
	s_and_not1_saveexec_b32 s13, s0
; %bb.3126:                             ;   in Loop: Header=BB448_2342 Depth=1
	v_and_b32_e32 v12, 0xffff, v9
	v_or_b32_e32 v14, 0x10000, v9
	s_delay_alu instid0(VALU_DEP_2) | instskip(NEXT) | instid1(VALU_DEP_1)
	v_cmp_eq_u32_e64 s0, 0, v12
	v_cndmask_b32_e64 v62, v14, v9, s0
; %bb.3127:                             ;   in Loop: Header=BB448_2342 Depth=1
	s_or_b32 exec_lo, exec_lo, s13
	v_lshlrev_b32_e32 v9, 16, v11
                                        ; implicit-def: $vgpr63
	s_delay_alu instid0(VALU_DEP_1) | instskip(NEXT) | instid1(VALU_DEP_1)
	v_mul_f32_e32 v9, v135, v9
	v_and_b32_e32 v11, 0x7f800000, v9
	s_delay_alu instid0(VALU_DEP_1) | instskip(NEXT) | instid1(VALU_DEP_1)
	v_cmp_ne_u32_e64 s0, 0x7f800000, v11
	s_and_saveexec_b32 s13, s0
	s_delay_alu instid0(SALU_CYCLE_1)
	s_xor_b32 s0, exec_lo, s13
; %bb.3128:                             ;   in Loop: Header=BB448_2342 Depth=1
	v_bfe_u32 v11, v9, 16, 1
	s_delay_alu instid0(VALU_DEP_1)
	v_add3_u32 v63, v9, v11, 0x7fff
                                        ; implicit-def: $vgpr9
; %bb.3129:                             ;   in Loop: Header=BB448_2342 Depth=1
	s_and_not1_saveexec_b32 s13, s0
; %bb.3130:                             ;   in Loop: Header=BB448_2342 Depth=1
	v_and_b32_e32 v11, 0xffff, v9
	v_or_b32_e32 v12, 0x10000, v9
	s_delay_alu instid0(VALU_DEP_2) | instskip(NEXT) | instid1(VALU_DEP_1)
	v_cmp_eq_u32_e64 s0, 0, v11
	v_cndmask_b32_e64 v63, v12, v9, s0
; %bb.3131:                             ;   in Loop: Header=BB448_2342 Depth=1
	s_or_b32 exec_lo, exec_lo, s13
	v_lshlrev_b32_e32 v9, 16, v10
                                        ; implicit-def: $vgpr72
	s_delay_alu instid0(VALU_DEP_1) | instskip(NEXT) | instid1(VALU_DEP_1)
	v_mul_f32_e32 v9, v144, v9
	v_and_b32_e32 v10, 0x7f800000, v9
	s_delay_alu instid0(VALU_DEP_1) | instskip(NEXT) | instid1(VALU_DEP_1)
	v_cmp_ne_u32_e64 s0, 0x7f800000, v10
	s_and_saveexec_b32 s13, s0
	s_delay_alu instid0(SALU_CYCLE_1)
	s_xor_b32 s0, exec_lo, s13
; %bb.3132:                             ;   in Loop: Header=BB448_2342 Depth=1
	v_bfe_u32 v10, v9, 16, 1
	s_delay_alu instid0(VALU_DEP_1)
	v_add3_u32 v72, v9, v10, 0x7fff
                                        ; implicit-def: $vgpr9
; %bb.3133:                             ;   in Loop: Header=BB448_2342 Depth=1
	s_and_not1_saveexec_b32 s13, s0
; %bb.3134:                             ;   in Loop: Header=BB448_2342 Depth=1
	v_and_b32_e32 v10, 0xffff, v9
	v_or_b32_e32 v11, 0x10000, v9
	s_delay_alu instid0(VALU_DEP_2) | instskip(NEXT) | instid1(VALU_DEP_1)
	v_cmp_eq_u32_e64 s0, 0, v10
	v_cndmask_b32_e64 v72, v11, v9, s0
; %bb.3135:                             ;   in Loop: Header=BB448_2342 Depth=1
	s_or_b32 exec_lo, exec_lo, s13
	v_lshlrev_b32_e32 v8, 16, v8
                                        ; implicit-def: $vgpr73
	s_delay_alu instid0(VALU_DEP_1) | instskip(NEXT) | instid1(VALU_DEP_1)
	v_mul_f32_e32 v8, v145, v8
	v_and_b32_e32 v9, 0x7f800000, v8
	s_delay_alu instid0(VALU_DEP_1) | instskip(NEXT) | instid1(VALU_DEP_1)
	v_cmp_ne_u32_e64 s0, 0x7f800000, v9
	s_and_saveexec_b32 s13, s0
	s_delay_alu instid0(SALU_CYCLE_1)
	s_xor_b32 s0, exec_lo, s13
; %bb.3136:                             ;   in Loop: Header=BB448_2342 Depth=1
	v_bfe_u32 v9, v8, 16, 1
	s_delay_alu instid0(VALU_DEP_1)
	v_add3_u32 v73, v8, v9, 0x7fff
                                        ; implicit-def: $vgpr8
; %bb.3137:                             ;   in Loop: Header=BB448_2342 Depth=1
	s_and_not1_saveexec_b32 s13, s0
; %bb.3138:                             ;   in Loop: Header=BB448_2342 Depth=1
	v_and_b32_e32 v9, 0xffff, v8
	v_or_b32_e32 v10, 0x10000, v8
	s_delay_alu instid0(VALU_DEP_2) | instskip(NEXT) | instid1(VALU_DEP_1)
	v_cmp_eq_u32_e64 s0, 0, v9
	v_cndmask_b32_e64 v73, v10, v8, s0
; %bb.3139:                             ;   in Loop: Header=BB448_2342 Depth=1
	s_or_b32 exec_lo, exec_lo, s13
	v_lshlrev_b32_e32 v7, 16, v7
                                        ; implicit-def: $vgpr74
	s_delay_alu instid0(VALU_DEP_1) | instskip(NEXT) | instid1(VALU_DEP_1)
	v_mul_f32_e32 v7, v146, v7
	v_and_b32_e32 v8, 0x7f800000, v7
	s_delay_alu instid0(VALU_DEP_1) | instskip(NEXT) | instid1(VALU_DEP_1)
	v_cmp_ne_u32_e64 s0, 0x7f800000, v8
	s_and_saveexec_b32 s13, s0
	s_delay_alu instid0(SALU_CYCLE_1)
	s_xor_b32 s0, exec_lo, s13
; %bb.3140:                             ;   in Loop: Header=BB448_2342 Depth=1
	v_bfe_u32 v8, v7, 16, 1
	s_delay_alu instid0(VALU_DEP_1)
	v_add3_u32 v74, v7, v8, 0x7fff
                                        ; implicit-def: $vgpr7
; %bb.3141:                             ;   in Loop: Header=BB448_2342 Depth=1
	s_and_not1_saveexec_b32 s13, s0
; %bb.3142:                             ;   in Loop: Header=BB448_2342 Depth=1
	v_and_b32_e32 v8, 0xffff, v7
	v_or_b32_e32 v9, 0x10000, v7
	s_delay_alu instid0(VALU_DEP_2) | instskip(NEXT) | instid1(VALU_DEP_1)
	v_cmp_eq_u32_e64 s0, 0, v8
	v_cndmask_b32_e64 v74, v9, v7, s0
; %bb.3143:                             ;   in Loop: Header=BB448_2342 Depth=1
	s_or_b32 exec_lo, exec_lo, s13
	v_lshlrev_b32_e32 v6, 16, v6
                                        ; implicit-def: $vgpr75
	s_delay_alu instid0(VALU_DEP_1) | instskip(NEXT) | instid1(VALU_DEP_1)
	v_mul_f32_e32 v6, v147, v6
	v_and_b32_e32 v7, 0x7f800000, v6
	s_delay_alu instid0(VALU_DEP_1) | instskip(NEXT) | instid1(VALU_DEP_1)
	v_cmp_ne_u32_e64 s0, 0x7f800000, v7
	s_and_saveexec_b32 s13, s0
	s_delay_alu instid0(SALU_CYCLE_1)
	s_xor_b32 s0, exec_lo, s13
; %bb.3144:                             ;   in Loop: Header=BB448_2342 Depth=1
	v_bfe_u32 v7, v6, 16, 1
	s_delay_alu instid0(VALU_DEP_1)
	v_add3_u32 v75, v6, v7, 0x7fff
                                        ; implicit-def: $vgpr6
; %bb.3145:                             ;   in Loop: Header=BB448_2342 Depth=1
	s_and_not1_saveexec_b32 s13, s0
; %bb.3146:                             ;   in Loop: Header=BB448_2342 Depth=1
	v_and_b32_e32 v7, 0xffff, v6
	v_or_b32_e32 v8, 0x10000, v6
	s_delay_alu instid0(VALU_DEP_2) | instskip(NEXT) | instid1(VALU_DEP_1)
	v_cmp_eq_u32_e64 s0, 0, v7
	v_cndmask_b32_e64 v75, v8, v6, s0
; %bb.3147:                             ;   in Loop: Header=BB448_2342 Depth=1
	s_or_b32 exec_lo, exec_lo, s13
	v_lshlrev_b32_e32 v5, 16, v5
                                        ; implicit-def: $vgpr76
	s_delay_alu instid0(VALU_DEP_1) | instskip(NEXT) | instid1(VALU_DEP_1)
	v_mul_f32_e32 v5, v148, v5
	v_and_b32_e32 v6, 0x7f800000, v5
	s_delay_alu instid0(VALU_DEP_1) | instskip(NEXT) | instid1(VALU_DEP_1)
	v_cmp_ne_u32_e64 s0, 0x7f800000, v6
	s_and_saveexec_b32 s13, s0
	s_delay_alu instid0(SALU_CYCLE_1)
	s_xor_b32 s0, exec_lo, s13
; %bb.3148:                             ;   in Loop: Header=BB448_2342 Depth=1
	v_bfe_u32 v6, v5, 16, 1
	s_delay_alu instid0(VALU_DEP_1)
	v_add3_u32 v76, v5, v6, 0x7fff
                                        ; implicit-def: $vgpr5
; %bb.3149:                             ;   in Loop: Header=BB448_2342 Depth=1
	s_and_not1_saveexec_b32 s13, s0
; %bb.3150:                             ;   in Loop: Header=BB448_2342 Depth=1
	v_and_b32_e32 v6, 0xffff, v5
	v_or_b32_e32 v7, 0x10000, v5
	s_delay_alu instid0(VALU_DEP_2) | instskip(NEXT) | instid1(VALU_DEP_1)
	v_cmp_eq_u32_e64 s0, 0, v6
	v_cndmask_b32_e64 v76, v7, v5, s0
; %bb.3151:                             ;   in Loop: Header=BB448_2342 Depth=1
	s_or_b32 exec_lo, exec_lo, s13
	v_lshlrev_b32_e32 v4, 16, v4
                                        ; implicit-def: $vgpr77
	s_delay_alu instid0(VALU_DEP_1) | instskip(NEXT) | instid1(VALU_DEP_1)
	v_mul_f32_e32 v4, v149, v4
	v_and_b32_e32 v5, 0x7f800000, v4
	s_delay_alu instid0(VALU_DEP_1) | instskip(NEXT) | instid1(VALU_DEP_1)
	v_cmp_ne_u32_e64 s0, 0x7f800000, v5
	s_and_saveexec_b32 s13, s0
	s_delay_alu instid0(SALU_CYCLE_1)
	s_xor_b32 s0, exec_lo, s13
; %bb.3152:                             ;   in Loop: Header=BB448_2342 Depth=1
	v_bfe_u32 v5, v4, 16, 1
	s_delay_alu instid0(VALU_DEP_1)
	v_add3_u32 v77, v4, v5, 0x7fff
                                        ; implicit-def: $vgpr4
; %bb.3153:                             ;   in Loop: Header=BB448_2342 Depth=1
	s_and_not1_saveexec_b32 s13, s0
; %bb.3154:                             ;   in Loop: Header=BB448_2342 Depth=1
	v_and_b32_e32 v5, 0xffff, v4
	v_or_b32_e32 v6, 0x10000, v4
	s_delay_alu instid0(VALU_DEP_2) | instskip(NEXT) | instid1(VALU_DEP_1)
	v_cmp_eq_u32_e64 s0, 0, v5
	v_cndmask_b32_e64 v77, v6, v4, s0
; %bb.3155:                             ;   in Loop: Header=BB448_2342 Depth=1
	s_or_b32 exec_lo, exec_lo, s13
	flat_load_b64 v[6:7], v[2:3] offset:1536
	s_mov_b32 s13, exec_lo
	s_waitcnt vmcnt(0) lgkmcnt(0)
	v_dual_mov_b32 v4, 0 :: v_dual_and_b32 v5, 0xff, v6
	s_delay_alu instid0(VALU_DEP_1)
	v_cmpx_ne_u16_e32 0, v5
	s_cbranch_execz .LBB448_3163
; %bb.3156:                             ;   in Loop: Header=BB448_2342 Depth=1
	v_bfrev_b32_e32 v4, 1
	s_mov_b32 s15, exec_lo
	v_cmpx_ne_u16_e32 0x80, v5
	s_cbranch_execz .LBB448_3162
; %bb.3157:                             ;   in Loop: Header=BB448_2342 Depth=1
	v_and_b32_e32 v5, 0x7f, v6
	v_mov_b32_e32 v4, 0x7f800001
	s_mov_b32 s16, exec_lo
	s_delay_alu instid0(VALU_DEP_2)
	v_cmpx_ne_u32_e32 0x7f, v5
	s_cbranch_execz .LBB448_3161
; %bb.3158:                             ;   in Loop: Header=BB448_2342 Depth=1
	v_lshrrev_b32_e32 v4, 3, v5
	v_dual_mov_b32 v9, v7 :: v_dual_mov_b32 v8, v6
	s_mov_b32 s17, exec_lo
	v_cmpx_gt_u32_e32 8, v5
; %bb.3159:                             ;   in Loop: Header=BB448_2342 Depth=1
	v_and_b32_e32 v4, 7, v6
	s_delay_alu instid0(VALU_DEP_1) | instskip(NEXT) | instid1(VALU_DEP_1)
	v_clz_i32_u32_e32 v4, v4
	v_min_u32_e32 v4, 32, v4
	s_delay_alu instid0(VALU_DEP_1) | instskip(SKIP_1) | instid1(VALU_DEP_2)
	v_subrev_nc_u32_e32 v5, 28, v4
	v_sub_nc_u32_e32 v4, 29, v4
	v_lshlrev_b64 v[8:9], v5, v[6:7]
; %bb.3160:                             ;   in Loop: Header=BB448_2342 Depth=1
	s_or_b32 exec_lo, exec_lo, s17
	s_delay_alu instid0(VALU_DEP_1) | instskip(SKIP_2) | instid1(VALU_DEP_3)
	v_lshlrev_b32_e32 v5, 20, v8
	v_lshlrev_b32_e32 v8, 24, v6
	v_lshl_add_u32 v4, v4, 23, 0x3c000000
	v_and_b32_e32 v5, 0x700000, v5
	s_delay_alu instid0(VALU_DEP_3) | instskip(NEXT) | instid1(VALU_DEP_1)
	v_and_b32_e32 v8, 0x80000000, v8
	v_or3_b32 v4, v5, v8, v4
.LBB448_3161:                           ;   in Loop: Header=BB448_2342 Depth=1
	s_or_b32 exec_lo, exec_lo, s16
.LBB448_3162:                           ;   in Loop: Header=BB448_2342 Depth=1
	s_delay_alu instid0(SALU_CYCLE_1)
	s_or_b32 exec_lo, exec_lo, s15
.LBB448_3163:                           ;   in Loop: Header=BB448_2342 Depth=1
	s_delay_alu instid0(SALU_CYCLE_1) | instskip(NEXT) | instid1(VALU_DEP_1)
	s_or_b32 exec_lo, exec_lo, s13
	v_mul_f32_e32 v5, v118, v4
	s_delay_alu instid0(VALU_DEP_1) | instskip(NEXT) | instid1(VALU_DEP_1)
	v_and_b32_e32 v4, 0x7f800000, v5
	v_cmp_ne_u32_e64 s0, 0x7f800000, v4
                                        ; implicit-def: $vgpr4
	s_delay_alu instid0(VALU_DEP_1) | instskip(NEXT) | instid1(SALU_CYCLE_1)
	s_and_saveexec_b32 s13, s0
	s_xor_b32 s0, exec_lo, s13
; %bb.3164:                             ;   in Loop: Header=BB448_2342 Depth=1
	v_bfe_u32 v4, v5, 16, 1
	s_delay_alu instid0(VALU_DEP_1)
	v_add3_u32 v4, v5, v4, 0x7fff
                                        ; implicit-def: $vgpr5
; %bb.3165:                             ;   in Loop: Header=BB448_2342 Depth=1
	s_and_not1_saveexec_b32 s13, s0
; %bb.3166:                             ;   in Loop: Header=BB448_2342 Depth=1
	v_and_b32_e32 v4, 0xffff, v5
	v_or_b32_e32 v8, 0x10000, v5
	s_delay_alu instid0(VALU_DEP_2) | instskip(NEXT) | instid1(VALU_DEP_1)
	v_cmp_eq_u32_e64 s0, 0, v4
	v_cndmask_b32_e64 v4, v8, v5, s0
; %bb.3167:                             ;   in Loop: Header=BB448_2342 Depth=1
	s_or_b32 exec_lo, exec_lo, s13
	v_lshrrev_b16 v8, 8, v6
	v_mov_b32_e32 v5, 0
	s_mov_b32 s13, exec_lo
	s_delay_alu instid0(VALU_DEP_2)
	v_cmpx_ne_u16_e32 0, v8
	s_cbranch_execz .LBB448_3175
; %bb.3168:                             ;   in Loop: Header=BB448_2342 Depth=1
	v_bfrev_b32_e32 v5, 1
	s_mov_b32 s15, exec_lo
	v_cmpx_ne_u16_e32 0x80, v8
	s_cbranch_execz .LBB448_3174
; %bb.3169:                             ;   in Loop: Header=BB448_2342 Depth=1
	v_and_b32_e32 v9, 0xffff, v8
	v_mov_b32_e32 v5, 0x7f800001
	s_mov_b32 s16, exec_lo
	s_delay_alu instid0(VALU_DEP_2) | instskip(NEXT) | instid1(VALU_DEP_1)
	v_and_b32_e32 v8, 0x7f, v9
	v_cmpx_ne_u32_e32 0x7f, v8
	s_cbranch_execz .LBB448_3173
; %bb.3170:                             ;   in Loop: Header=BB448_2342 Depth=1
	v_and_b32_e32 v12, 7, v9
	v_lshrrev_b32_e32 v5, 3, v8
	v_cmp_gt_u32_e64 s0, 8, v8
	s_delay_alu instid0(VALU_DEP_3) | instskip(NEXT) | instid1(VALU_DEP_2)
	v_dual_mov_b32 v8, v12 :: v_dual_mov_b32 v9, v13
	s_and_saveexec_b32 s17, s0
; %bb.3171:                             ;   in Loop: Header=BB448_2342 Depth=1
	v_clz_i32_u32_e32 v5, v12
	s_delay_alu instid0(VALU_DEP_1) | instskip(NEXT) | instid1(VALU_DEP_1)
	v_min_u32_e32 v5, 32, v5
	v_subrev_nc_u32_e32 v8, 28, v5
	v_sub_nc_u32_e32 v5, 29, v5
	s_delay_alu instid0(VALU_DEP_2) | instskip(NEXT) | instid1(VALU_DEP_1)
	v_lshlrev_b64 v[8:9], v8, v[12:13]
	v_and_b32_e32 v8, 7, v8
; %bb.3172:                             ;   in Loop: Header=BB448_2342 Depth=1
	s_or_b32 exec_lo, exec_lo, s17
	v_lshlrev_b32_e32 v9, 16, v6
	s_delay_alu instid0(VALU_DEP_2) | instskip(SKIP_1) | instid1(VALU_DEP_3)
	v_lshlrev_b32_e32 v8, 20, v8
	v_lshl_add_u32 v5, v5, 23, 0x3c000000
	v_and_b32_e32 v9, 0x80000000, v9
	s_delay_alu instid0(VALU_DEP_1)
	v_or3_b32 v5, v8, v9, v5
.LBB448_3173:                           ;   in Loop: Header=BB448_2342 Depth=1
	s_or_b32 exec_lo, exec_lo, s16
.LBB448_3174:                           ;   in Loop: Header=BB448_2342 Depth=1
	s_delay_alu instid0(SALU_CYCLE_1)
	s_or_b32 exec_lo, exec_lo, s15
.LBB448_3175:                           ;   in Loop: Header=BB448_2342 Depth=1
	s_delay_alu instid0(SALU_CYCLE_1) | instskip(NEXT) | instid1(VALU_DEP_1)
	s_or_b32 exec_lo, exec_lo, s13
	v_mul_f32_e32 v8, v118, v5
	s_delay_alu instid0(VALU_DEP_1) | instskip(NEXT) | instid1(VALU_DEP_1)
	v_and_b32_e32 v5, 0x7f800000, v8
	v_cmp_ne_u32_e64 s0, 0x7f800000, v5
                                        ; implicit-def: $vgpr5
	s_delay_alu instid0(VALU_DEP_1) | instskip(NEXT) | instid1(SALU_CYCLE_1)
	s_and_saveexec_b32 s13, s0
	s_xor_b32 s0, exec_lo, s13
; %bb.3176:                             ;   in Loop: Header=BB448_2342 Depth=1
	v_bfe_u32 v5, v8, 16, 1
	s_delay_alu instid0(VALU_DEP_1)
	v_add3_u32 v5, v8, v5, 0x7fff
                                        ; implicit-def: $vgpr8
; %bb.3177:                             ;   in Loop: Header=BB448_2342 Depth=1
	s_and_not1_saveexec_b32 s13, s0
; %bb.3178:                             ;   in Loop: Header=BB448_2342 Depth=1
	v_and_b32_e32 v5, 0xffff, v8
	v_or_b32_e32 v9, 0x10000, v8
	s_delay_alu instid0(VALU_DEP_2) | instskip(NEXT) | instid1(VALU_DEP_1)
	v_cmp_eq_u32_e64 s0, 0, v5
	v_cndmask_b32_e64 v5, v9, v8, s0
; %bb.3179:                             ;   in Loop: Header=BB448_2342 Depth=1
	s_or_b32 exec_lo, exec_lo, s13
	v_lshrrev_b32_e32 v10, 16, v6
	s_mov_b32 s13, exec_lo
	s_delay_alu instid0(VALU_DEP_1) | instskip(NEXT) | instid1(VALU_DEP_1)
	v_dual_mov_b32 v8, 0 :: v_dual_and_b32 v9, 0xff, v10
	v_cmpx_ne_u16_e32 0, v9
	s_cbranch_execz .LBB448_3187
; %bb.3180:                             ;   in Loop: Header=BB448_2342 Depth=1
	v_bfrev_b32_e32 v8, 1
	s_mov_b32 s15, exec_lo
	v_cmpx_ne_u16_e32 0x80, v9
	s_cbranch_execz .LBB448_3186
; %bb.3181:                             ;   in Loop: Header=BB448_2342 Depth=1
	v_bfe_u32 v9, v6, 16, 7
	v_mov_b32_e32 v8, 0x7f800001
	s_mov_b32 s16, exec_lo
	s_delay_alu instid0(VALU_DEP_2)
	v_cmpx_ne_u32_e32 0x7f, v9
	s_cbranch_execz .LBB448_3185
; %bb.3182:                             ;   in Loop: Header=BB448_2342 Depth=1
	v_and_b32_e32 v12, 7, v10
	v_lshrrev_b32_e32 v11, 3, v9
	v_cmp_gt_u32_e64 s0, 8, v9
	s_delay_alu instid0(VALU_DEP_3) | instskip(NEXT) | instid1(VALU_DEP_2)
	v_dual_mov_b32 v8, v12 :: v_dual_mov_b32 v9, v13
	s_and_saveexec_b32 s17, s0
; %bb.3183:                             ;   in Loop: Header=BB448_2342 Depth=1
	v_clz_i32_u32_e32 v8, v12
	s_delay_alu instid0(VALU_DEP_1) | instskip(NEXT) | instid1(VALU_DEP_1)
	v_min_u32_e32 v11, 32, v8
	v_subrev_nc_u32_e32 v8, 28, v11
	v_sub_nc_u32_e32 v11, 29, v11
	s_delay_alu instid0(VALU_DEP_2) | instskip(NEXT) | instid1(VALU_DEP_1)
	v_lshlrev_b64 v[8:9], v8, v[12:13]
	v_and_b32_e32 v8, 7, v8
; %bb.3184:                             ;   in Loop: Header=BB448_2342 Depth=1
	s_or_b32 exec_lo, exec_lo, s17
	v_lshlrev_b32_e32 v9, 24, v10
	s_delay_alu instid0(VALU_DEP_2) | instskip(SKIP_1) | instid1(VALU_DEP_3)
	v_lshlrev_b32_e32 v8, 20, v8
	v_lshl_add_u32 v10, v11, 23, 0x3c000000
	v_and_b32_e32 v9, 0x80000000, v9
	s_delay_alu instid0(VALU_DEP_1)
	v_or3_b32 v8, v8, v9, v10
.LBB448_3185:                           ;   in Loop: Header=BB448_2342 Depth=1
	s_or_b32 exec_lo, exec_lo, s16
.LBB448_3186:                           ;   in Loop: Header=BB448_2342 Depth=1
	s_delay_alu instid0(SALU_CYCLE_1)
	s_or_b32 exec_lo, exec_lo, s15
.LBB448_3187:                           ;   in Loop: Header=BB448_2342 Depth=1
	s_delay_alu instid0(SALU_CYCLE_1) | instskip(NEXT) | instid1(VALU_DEP_1)
	s_or_b32 exec_lo, exec_lo, s13
	v_mul_f32_e32 v8, v118, v8
                                        ; implicit-def: $vgpr10
	s_delay_alu instid0(VALU_DEP_1) | instskip(NEXT) | instid1(VALU_DEP_1)
	v_and_b32_e32 v9, 0x7f800000, v8
	v_cmp_ne_u32_e64 s0, 0x7f800000, v9
	s_delay_alu instid0(VALU_DEP_1) | instskip(NEXT) | instid1(SALU_CYCLE_1)
	s_and_saveexec_b32 s13, s0
	s_xor_b32 s0, exec_lo, s13
; %bb.3188:                             ;   in Loop: Header=BB448_2342 Depth=1
	v_bfe_u32 v9, v8, 16, 1
	s_delay_alu instid0(VALU_DEP_1)
	v_add3_u32 v10, v8, v9, 0x7fff
                                        ; implicit-def: $vgpr8
; %bb.3189:                             ;   in Loop: Header=BB448_2342 Depth=1
	s_and_not1_saveexec_b32 s13, s0
; %bb.3190:                             ;   in Loop: Header=BB448_2342 Depth=1
	v_and_b32_e32 v9, 0xffff, v8
	v_or_b32_e32 v10, 0x10000, v8
	s_delay_alu instid0(VALU_DEP_2) | instskip(NEXT) | instid1(VALU_DEP_1)
	v_cmp_eq_u32_e64 s0, 0, v9
	v_cndmask_b32_e64 v10, v10, v8, s0
; %bb.3191:                             ;   in Loop: Header=BB448_2342 Depth=1
	s_or_b32 exec_lo, exec_lo, s13
	v_mov_b32_e32 v8, 0
	s_mov_b32 s13, exec_lo
	v_cmpx_lt_u32_e32 0xffffff, v6
	s_cbranch_execz .LBB448_3199
; %bb.3192:                             ;   in Loop: Header=BB448_2342 Depth=1
	v_lshrrev_b32_e32 v11, 24, v6
	v_bfrev_b32_e32 v8, 1
	s_mov_b32 s15, exec_lo
	s_delay_alu instid0(VALU_DEP_2)
	v_cmpx_ne_u32_e32 0x80, v11
	s_cbranch_execz .LBB448_3198
; %bb.3193:                             ;   in Loop: Header=BB448_2342 Depth=1
	v_bfe_u32 v9, v6, 24, 7
	v_mov_b32_e32 v8, 0x7f800001
	s_mov_b32 s16, exec_lo
	s_delay_alu instid0(VALU_DEP_2)
	v_cmpx_ne_u32_e32 0x7f, v9
	s_cbranch_execz .LBB448_3197
; %bb.3194:                             ;   in Loop: Header=BB448_2342 Depth=1
	v_and_b32_e32 v12, 7, v11
	v_lshrrev_b32_e32 v14, 3, v9
	v_cmp_gt_u32_e64 s0, 8, v9
	s_delay_alu instid0(VALU_DEP_3) | instskip(NEXT) | instid1(VALU_DEP_2)
	v_dual_mov_b32 v8, v12 :: v_dual_mov_b32 v9, v13
	s_and_saveexec_b32 s17, s0
; %bb.3195:                             ;   in Loop: Header=BB448_2342 Depth=1
	v_clz_i32_u32_e32 v8, v12
	s_delay_alu instid0(VALU_DEP_1) | instskip(NEXT) | instid1(VALU_DEP_1)
	v_min_u32_e32 v14, 32, v8
	v_subrev_nc_u32_e32 v8, 28, v14
	v_sub_nc_u32_e32 v14, 29, v14
	s_delay_alu instid0(VALU_DEP_2) | instskip(NEXT) | instid1(VALU_DEP_1)
	v_lshlrev_b64 v[8:9], v8, v[12:13]
	v_and_b32_e32 v8, 7, v8
; %bb.3196:                             ;   in Loop: Header=BB448_2342 Depth=1
	s_or_b32 exec_lo, exec_lo, s17
	v_lshlrev_b32_e32 v9, 24, v11
	s_delay_alu instid0(VALU_DEP_2) | instskip(SKIP_1) | instid1(VALU_DEP_3)
	v_lshlrev_b32_e32 v8, 20, v8
	v_lshl_add_u32 v11, v14, 23, 0x3c000000
	v_and_b32_e32 v9, 0x80000000, v9
	s_delay_alu instid0(VALU_DEP_1)
	v_or3_b32 v8, v8, v9, v11
.LBB448_3197:                           ;   in Loop: Header=BB448_2342 Depth=1
	s_or_b32 exec_lo, exec_lo, s16
.LBB448_3198:                           ;   in Loop: Header=BB448_2342 Depth=1
	s_delay_alu instid0(SALU_CYCLE_1)
	s_or_b32 exec_lo, exec_lo, s15
.LBB448_3199:                           ;   in Loop: Header=BB448_2342 Depth=1
	s_delay_alu instid0(SALU_CYCLE_1) | instskip(NEXT) | instid1(VALU_DEP_1)
	s_or_b32 exec_lo, exec_lo, s13
	v_mul_f32_e32 v8, v118, v8
                                        ; implicit-def: $vgpr11
	s_delay_alu instid0(VALU_DEP_1) | instskip(NEXT) | instid1(VALU_DEP_1)
	v_and_b32_e32 v9, 0x7f800000, v8
	v_cmp_ne_u32_e64 s0, 0x7f800000, v9
	s_delay_alu instid0(VALU_DEP_1) | instskip(NEXT) | instid1(SALU_CYCLE_1)
	s_and_saveexec_b32 s13, s0
	s_xor_b32 s0, exec_lo, s13
; %bb.3200:                             ;   in Loop: Header=BB448_2342 Depth=1
	v_bfe_u32 v9, v8, 16, 1
	s_delay_alu instid0(VALU_DEP_1)
	v_add3_u32 v11, v8, v9, 0x7fff
                                        ; implicit-def: $vgpr8
; %bb.3201:                             ;   in Loop: Header=BB448_2342 Depth=1
	s_and_not1_saveexec_b32 s13, s0
; %bb.3202:                             ;   in Loop: Header=BB448_2342 Depth=1
	v_and_b32_e32 v9, 0xffff, v8
	v_or_b32_e32 v11, 0x10000, v8
	s_delay_alu instid0(VALU_DEP_2) | instskip(NEXT) | instid1(VALU_DEP_1)
	v_cmp_eq_u32_e64 s0, 0, v9
	v_cndmask_b32_e64 v11, v11, v8, s0
; %bb.3203:                             ;   in Loop: Header=BB448_2342 Depth=1
	s_or_b32 exec_lo, exec_lo, s13
	v_dual_mov_b32 v12, v7 :: v_dual_and_b32 v9, 0xff, v7
	v_mov_b32_e32 v8, 0
	s_mov_b32 s13, exec_lo
	s_delay_alu instid0(VALU_DEP_2)
	v_cmpx_ne_u16_e32 0, v9
	s_cbranch_execz .LBB448_3211
; %bb.3204:                             ;   in Loop: Header=BB448_2342 Depth=1
	v_bfrev_b32_e32 v8, 1
	s_mov_b32 s15, exec_lo
	v_cmpx_ne_u16_e32 0x80, v9
	s_cbranch_execz .LBB448_3210
; %bb.3205:                             ;   in Loop: Header=BB448_2342 Depth=1
	v_and_b32_e32 v9, 0x7f, v7
	v_mov_b32_e32 v8, 0x7f800001
	s_mov_b32 s16, exec_lo
	s_delay_alu instid0(VALU_DEP_2)
	v_cmpx_ne_u32_e32 0x7f, v9
	s_cbranch_execz .LBB448_3209
; %bb.3206:                             ;   in Loop: Header=BB448_2342 Depth=1
	v_lshrrev_b32_e32 v14, 3, v9
	v_cmp_gt_u32_e64 s0, 8, v9
	v_dual_mov_b32 v8, v12 :: v_dual_mov_b32 v9, v13
	s_delay_alu instid0(VALU_DEP_2)
	s_and_saveexec_b32 s17, s0
; %bb.3207:                             ;   in Loop: Header=BB448_2342 Depth=1
	v_and_b32_e32 v8, 7, v7
	s_delay_alu instid0(VALU_DEP_1) | instskip(NEXT) | instid1(VALU_DEP_1)
	v_clz_i32_u32_e32 v8, v8
	v_min_u32_e32 v14, 32, v8
	s_delay_alu instid0(VALU_DEP_1) | instskip(SKIP_1) | instid1(VALU_DEP_2)
	v_subrev_nc_u32_e32 v8, 28, v14
	v_sub_nc_u32_e32 v14, 29, v14
	v_lshlrev_b64 v[8:9], v8, v[12:13]
; %bb.3208:                             ;   in Loop: Header=BB448_2342 Depth=1
	s_or_b32 exec_lo, exec_lo, s17
	s_delay_alu instid0(VALU_DEP_1) | instskip(SKIP_2) | instid1(VALU_DEP_3)
	v_lshlrev_b32_e32 v8, 20, v8
	v_lshlrev_b32_e32 v9, 24, v12
	v_lshl_add_u32 v14, v14, 23, 0x3c000000
	v_and_b32_e32 v8, 0x700000, v8
	s_delay_alu instid0(VALU_DEP_3) | instskip(NEXT) | instid1(VALU_DEP_1)
	v_and_b32_e32 v9, 0x80000000, v9
	v_or3_b32 v8, v8, v9, v14
.LBB448_3209:                           ;   in Loop: Header=BB448_2342 Depth=1
	s_or_b32 exec_lo, exec_lo, s16
.LBB448_3210:                           ;   in Loop: Header=BB448_2342 Depth=1
	s_delay_alu instid0(SALU_CYCLE_1)
	s_or_b32 exec_lo, exec_lo, s15
.LBB448_3211:                           ;   in Loop: Header=BB448_2342 Depth=1
	s_delay_alu instid0(SALU_CYCLE_1) | instskip(NEXT) | instid1(VALU_DEP_1)
	s_or_b32 exec_lo, exec_lo, s13
	v_mul_f32_e32 v8, v118, v8
                                        ; implicit-def: $vgpr14
	s_delay_alu instid0(VALU_DEP_1) | instskip(NEXT) | instid1(VALU_DEP_1)
	v_and_b32_e32 v9, 0x7f800000, v8
	v_cmp_ne_u32_e64 s0, 0x7f800000, v9
	s_delay_alu instid0(VALU_DEP_1) | instskip(NEXT) | instid1(SALU_CYCLE_1)
	s_and_saveexec_b32 s13, s0
	s_xor_b32 s0, exec_lo, s13
; %bb.3212:                             ;   in Loop: Header=BB448_2342 Depth=1
	v_bfe_u32 v9, v8, 16, 1
	s_delay_alu instid0(VALU_DEP_1)
	v_add3_u32 v14, v8, v9, 0x7fff
                                        ; implicit-def: $vgpr8
; %bb.3213:                             ;   in Loop: Header=BB448_2342 Depth=1
	s_and_not1_saveexec_b32 s13, s0
; %bb.3214:                             ;   in Loop: Header=BB448_2342 Depth=1
	v_and_b32_e32 v9, 0xffff, v8
	v_or_b32_e32 v14, 0x10000, v8
	s_delay_alu instid0(VALU_DEP_2) | instskip(NEXT) | instid1(VALU_DEP_1)
	v_cmp_eq_u32_e64 s0, 0, v9
	v_cndmask_b32_e64 v14, v14, v8, s0
; %bb.3215:                             ;   in Loop: Header=BB448_2342 Depth=1
	s_or_b32 exec_lo, exec_lo, s13
	v_lshrrev_b16 v9, 8, v12
	v_mov_b32_e32 v8, 0
	s_mov_b32 s13, exec_lo
	s_delay_alu instid0(VALU_DEP_2)
	v_cmpx_ne_u16_e32 0, v9
	s_cbranch_execz .LBB448_3223
; %bb.3216:                             ;   in Loop: Header=BB448_2342 Depth=1
	v_bfrev_b32_e32 v8, 1
	s_mov_b32 s15, exec_lo
	v_cmpx_ne_u16_e32 0x80, v9
	s_cbranch_execz .LBB448_3222
; %bb.3217:                             ;   in Loop: Header=BB448_2342 Depth=1
	v_and_b32_e32 v9, 0xffff, v9
	v_mov_b32_e32 v8, 0x7f800001
	s_mov_b32 s16, exec_lo
	s_delay_alu instid0(VALU_DEP_2) | instskip(NEXT) | instid1(VALU_DEP_1)
	v_and_b32_e32 v16, 0x7f, v9
	v_cmpx_ne_u32_e32 0x7f, v16
	s_cbranch_execz .LBB448_3221
; %bb.3218:                             ;   in Loop: Header=BB448_2342 Depth=1
	v_dual_mov_b32 v9, v13 :: v_dual_and_b32 v8, 7, v9
	v_lshrrev_b32_e32 v15, 3, v16
	s_mov_b32 s17, exec_lo
	v_cmpx_gt_u32_e32 8, v16
; %bb.3219:                             ;   in Loop: Header=BB448_2342 Depth=1
	s_delay_alu instid0(VALU_DEP_3) | instskip(NEXT) | instid1(VALU_DEP_1)
	v_clz_i32_u32_e32 v15, v8
	v_min_u32_e32 v15, 32, v15
	s_delay_alu instid0(VALU_DEP_1) | instskip(SKIP_1) | instid1(VALU_DEP_2)
	v_subrev_nc_u32_e32 v16, 28, v15
	v_sub_nc_u32_e32 v15, 29, v15
	v_lshlrev_b64 v[8:9], v16, v[8:9]
	s_delay_alu instid0(VALU_DEP_1)
	v_and_b32_e32 v8, 7, v8
; %bb.3220:                             ;   in Loop: Header=BB448_2342 Depth=1
	s_or_b32 exec_lo, exec_lo, s17
	v_lshlrev_b32_e32 v9, 16, v12
	s_delay_alu instid0(VALU_DEP_2) | instskip(SKIP_1) | instid1(VALU_DEP_3)
	v_lshlrev_b32_e32 v8, 20, v8
	v_lshl_add_u32 v12, v15, 23, 0x3c000000
	v_and_b32_e32 v9, 0x80000000, v9
	s_delay_alu instid0(VALU_DEP_1)
	v_or3_b32 v8, v8, v9, v12
.LBB448_3221:                           ;   in Loop: Header=BB448_2342 Depth=1
	s_or_b32 exec_lo, exec_lo, s16
.LBB448_3222:                           ;   in Loop: Header=BB448_2342 Depth=1
	s_delay_alu instid0(SALU_CYCLE_1)
	s_or_b32 exec_lo, exec_lo, s15
.LBB448_3223:                           ;   in Loop: Header=BB448_2342 Depth=1
	s_delay_alu instid0(SALU_CYCLE_1) | instskip(NEXT) | instid1(VALU_DEP_1)
	s_or_b32 exec_lo, exec_lo, s13
	v_mul_f32_e32 v8, v118, v8
                                        ; implicit-def: $vgpr15
	s_delay_alu instid0(VALU_DEP_1) | instskip(NEXT) | instid1(VALU_DEP_1)
	v_and_b32_e32 v9, 0x7f800000, v8
	v_cmp_ne_u32_e64 s0, 0x7f800000, v9
	s_delay_alu instid0(VALU_DEP_1) | instskip(NEXT) | instid1(SALU_CYCLE_1)
	s_and_saveexec_b32 s13, s0
	s_xor_b32 s0, exec_lo, s13
; %bb.3224:                             ;   in Loop: Header=BB448_2342 Depth=1
	v_bfe_u32 v9, v8, 16, 1
	s_delay_alu instid0(VALU_DEP_1)
	v_add3_u32 v15, v8, v9, 0x7fff
                                        ; implicit-def: $vgpr8
; %bb.3225:                             ;   in Loop: Header=BB448_2342 Depth=1
	s_and_not1_saveexec_b32 s13, s0
; %bb.3226:                             ;   in Loop: Header=BB448_2342 Depth=1
	v_and_b32_e32 v9, 0xffff, v8
	v_or_b32_e32 v12, 0x10000, v8
	s_delay_alu instid0(VALU_DEP_2) | instskip(NEXT) | instid1(VALU_DEP_1)
	v_cmp_eq_u32_e64 s0, 0, v9
	v_cndmask_b32_e64 v15, v12, v8, s0
; %bb.3227:                             ;   in Loop: Header=BB448_2342 Depth=1
	s_or_b32 exec_lo, exec_lo, s13
	v_lshrrev_b32_e32 v16, 16, v7
	s_mov_b32 s13, exec_lo
	s_delay_alu instid0(VALU_DEP_1) | instskip(NEXT) | instid1(VALU_DEP_1)
	v_dual_mov_b32 v8, 0 :: v_dual_and_b32 v9, 0xff, v16
	v_cmpx_ne_u16_e32 0, v9
	s_cbranch_execz .LBB448_3235
; %bb.3228:                             ;   in Loop: Header=BB448_2342 Depth=1
	v_bfrev_b32_e32 v8, 1
	s_mov_b32 s15, exec_lo
	v_cmpx_ne_u16_e32 0x80, v9
	s_cbranch_execz .LBB448_3234
; %bb.3229:                             ;   in Loop: Header=BB448_2342 Depth=1
	v_bfe_u32 v9, v7, 16, 7
	v_mov_b32_e32 v8, 0x7f800001
	s_mov_b32 s16, exec_lo
	s_delay_alu instid0(VALU_DEP_2)
	v_cmpx_ne_u32_e32 0x7f, v9
	s_cbranch_execz .LBB448_3233
; %bb.3230:                             ;   in Loop: Header=BB448_2342 Depth=1
	v_and_b32_e32 v12, 7, v16
	v_lshrrev_b32_e32 v18, 3, v9
	v_cmp_gt_u32_e64 s0, 8, v9
	s_delay_alu instid0(VALU_DEP_3) | instskip(NEXT) | instid1(VALU_DEP_2)
	v_dual_mov_b32 v8, v12 :: v_dual_mov_b32 v9, v13
	s_and_saveexec_b32 s17, s0
; %bb.3231:                             ;   in Loop: Header=BB448_2342 Depth=1
	v_clz_i32_u32_e32 v8, v12
	s_delay_alu instid0(VALU_DEP_1) | instskip(NEXT) | instid1(VALU_DEP_1)
	v_min_u32_e32 v18, 32, v8
	v_subrev_nc_u32_e32 v8, 28, v18
	v_sub_nc_u32_e32 v18, 29, v18
	s_delay_alu instid0(VALU_DEP_2) | instskip(NEXT) | instid1(VALU_DEP_1)
	v_lshlrev_b64 v[8:9], v8, v[12:13]
	v_and_b32_e32 v8, 7, v8
; %bb.3232:                             ;   in Loop: Header=BB448_2342 Depth=1
	s_or_b32 exec_lo, exec_lo, s17
	v_lshlrev_b32_e32 v9, 24, v16
	s_delay_alu instid0(VALU_DEP_2) | instskip(SKIP_1) | instid1(VALU_DEP_3)
	v_lshlrev_b32_e32 v8, 20, v8
	v_lshl_add_u32 v12, v18, 23, 0x3c000000
	v_and_b32_e32 v9, 0x80000000, v9
	s_delay_alu instid0(VALU_DEP_1)
	v_or3_b32 v8, v8, v9, v12
.LBB448_3233:                           ;   in Loop: Header=BB448_2342 Depth=1
	s_or_b32 exec_lo, exec_lo, s16
.LBB448_3234:                           ;   in Loop: Header=BB448_2342 Depth=1
	s_delay_alu instid0(SALU_CYCLE_1)
	s_or_b32 exec_lo, exec_lo, s15
.LBB448_3235:                           ;   in Loop: Header=BB448_2342 Depth=1
	s_delay_alu instid0(SALU_CYCLE_1) | instskip(NEXT) | instid1(VALU_DEP_1)
	s_or_b32 exec_lo, exec_lo, s13
	v_mul_f32_e32 v8, v118, v8
                                        ; implicit-def: $vgpr16
	s_delay_alu instid0(VALU_DEP_1) | instskip(NEXT) | instid1(VALU_DEP_1)
	v_and_b32_e32 v9, 0x7f800000, v8
	v_cmp_ne_u32_e64 s0, 0x7f800000, v9
	s_delay_alu instid0(VALU_DEP_1) | instskip(NEXT) | instid1(SALU_CYCLE_1)
	s_and_saveexec_b32 s13, s0
	s_xor_b32 s0, exec_lo, s13
; %bb.3236:                             ;   in Loop: Header=BB448_2342 Depth=1
	v_bfe_u32 v9, v8, 16, 1
	s_delay_alu instid0(VALU_DEP_1)
	v_add3_u32 v16, v8, v9, 0x7fff
                                        ; implicit-def: $vgpr8
; %bb.3237:                             ;   in Loop: Header=BB448_2342 Depth=1
	s_and_not1_saveexec_b32 s13, s0
; %bb.3238:                             ;   in Loop: Header=BB448_2342 Depth=1
	v_and_b32_e32 v9, 0xffff, v8
	v_or_b32_e32 v12, 0x10000, v8
	s_delay_alu instid0(VALU_DEP_2) | instskip(NEXT) | instid1(VALU_DEP_1)
	v_cmp_eq_u32_e64 s0, 0, v9
	v_cndmask_b32_e64 v16, v12, v8, s0
; %bb.3239:                             ;   in Loop: Header=BB448_2342 Depth=1
	s_or_b32 exec_lo, exec_lo, s13
	v_cmp_lt_u64_e64 s0, s[8:9], v[6:7]
	v_mov_b32_e32 v6, 0
	s_delay_alu instid0(VALU_DEP_2)
	s_and_saveexec_b32 s13, s0
	s_cbranch_execz .LBB448_3247
; %bb.3240:                             ;   in Loop: Header=BB448_2342 Depth=1
	v_lshrrev_b32_e32 v8, 24, v7
	v_bfrev_b32_e32 v6, 1
	s_mov_b32 s15, exec_lo
	s_delay_alu instid0(VALU_DEP_2)
	v_cmpx_ne_u32_e32 0x80, v8
	s_cbranch_execz .LBB448_3246
; %bb.3241:                             ;   in Loop: Header=BB448_2342 Depth=1
	v_bfe_u32 v7, v7, 24, 7
	v_mov_b32_e32 v6, 0x7f800001
	s_mov_b32 s16, exec_lo
	s_delay_alu instid0(VALU_DEP_2)
	v_cmpx_ne_u32_e32 0x7f, v7
	s_cbranch_execz .LBB448_3245
; %bb.3242:                             ;   in Loop: Header=BB448_2342 Depth=1
	v_and_b32_e32 v12, 7, v8
	v_lshrrev_b32_e32 v9, 3, v7
	v_cmp_gt_u32_e64 s0, 8, v7
	s_delay_alu instid0(VALU_DEP_3) | instskip(NEXT) | instid1(VALU_DEP_2)
	v_dual_mov_b32 v6, v12 :: v_dual_mov_b32 v7, v13
	s_and_saveexec_b32 s17, s0
; %bb.3243:                             ;   in Loop: Header=BB448_2342 Depth=1
	v_clz_i32_u32_e32 v6, v12
	s_delay_alu instid0(VALU_DEP_1) | instskip(NEXT) | instid1(VALU_DEP_1)
	v_min_u32_e32 v9, 32, v6
	v_subrev_nc_u32_e32 v6, 28, v9
	v_sub_nc_u32_e32 v9, 29, v9
	s_delay_alu instid0(VALU_DEP_2) | instskip(NEXT) | instid1(VALU_DEP_1)
	v_lshlrev_b64 v[6:7], v6, v[12:13]
	v_and_b32_e32 v6, 7, v6
; %bb.3244:                             ;   in Loop: Header=BB448_2342 Depth=1
	s_or_b32 exec_lo, exec_lo, s17
	v_lshlrev_b32_e32 v7, 24, v8
	s_delay_alu instid0(VALU_DEP_2) | instskip(SKIP_1) | instid1(VALU_DEP_3)
	v_lshlrev_b32_e32 v6, 20, v6
	v_lshl_add_u32 v8, v9, 23, 0x3c000000
	v_and_b32_e32 v7, 0x80000000, v7
	s_delay_alu instid0(VALU_DEP_1)
	v_or3_b32 v6, v6, v7, v8
.LBB448_3245:                           ;   in Loop: Header=BB448_2342 Depth=1
	s_or_b32 exec_lo, exec_lo, s16
.LBB448_3246:                           ;   in Loop: Header=BB448_2342 Depth=1
	s_delay_alu instid0(SALU_CYCLE_1)
	s_or_b32 exec_lo, exec_lo, s15
.LBB448_3247:                           ;   in Loop: Header=BB448_2342 Depth=1
	s_delay_alu instid0(SALU_CYCLE_1) | instskip(NEXT) | instid1(VALU_DEP_1)
	s_or_b32 exec_lo, exec_lo, s13
	v_mul_f32_e32 v7, v118, v6
	s_delay_alu instid0(VALU_DEP_1) | instskip(NEXT) | instid1(VALU_DEP_1)
	v_and_b32_e32 v6, 0x7f800000, v7
	v_cmp_ne_u32_e64 s0, 0x7f800000, v6
                                        ; implicit-def: $vgpr6
	s_delay_alu instid0(VALU_DEP_1) | instskip(NEXT) | instid1(SALU_CYCLE_1)
	s_and_saveexec_b32 s13, s0
	s_xor_b32 s0, exec_lo, s13
; %bb.3248:                             ;   in Loop: Header=BB448_2342 Depth=1
	v_bfe_u32 v6, v7, 16, 1
	s_delay_alu instid0(VALU_DEP_1)
	v_add3_u32 v6, v7, v6, 0x7fff
                                        ; implicit-def: $vgpr7
; %bb.3249:                             ;   in Loop: Header=BB448_2342 Depth=1
	s_and_not1_saveexec_b32 s13, s0
; %bb.3250:                             ;   in Loop: Header=BB448_2342 Depth=1
	v_and_b32_e32 v6, 0xffff, v7
	v_or_b32_e32 v8, 0x10000, v7
	s_delay_alu instid0(VALU_DEP_2) | instskip(NEXT) | instid1(VALU_DEP_1)
	v_cmp_eq_u32_e64 s0, 0, v6
	v_cndmask_b32_e64 v6, v8, v7, s0
; %bb.3251:                             ;   in Loop: Header=BB448_2342 Depth=1
	s_or_b32 exec_lo, exec_lo, s13
	v_lshrrev_b32_e32 v8, 16, v15
	v_lshrrev_b32_e32 v9, 16, v14
	;; [unrolled: 1-line block ×8, first 2 shown]
	s_and_saveexec_b32 s13, vcc_lo
	s_cbranch_execz .LBB448_3253
; %bb.3252:                             ;   in Loop: Header=BB448_2342 Depth=1
	v_cmp_lt_i32_e64 s0, v102, v36
	s_delay_alu instid0(VALU_DEP_1) | instskip(SKIP_1) | instid1(VALU_DEP_1)
	v_cndmask_b32_e64 v4, 0, v4, s0
	v_cmp_lt_i32_e64 s0, v133, v36
	v_cndmask_b32_e64 v5, 0, v5, s0
	v_cmp_lt_i32_e64 s0, v132, v36
	s_delay_alu instid0(VALU_DEP_1) | instskip(SKIP_1) | instid1(VALU_DEP_1)
	v_cndmask_b32_e64 v10, 0, v10, s0
	v_cmp_lt_i32_e64 s0, v131, v36
	v_cndmask_b32_e64 v11, 0, v11, s0
	;; [unrolled: 5-line block ×4, first 2 shown]
.LBB448_3253:                           ;   in Loop: Header=BB448_2342 Depth=1
	s_or_b32 exec_lo, exec_lo, s13
	v_lshlrev_b32_e32 v4, 16, v4
	s_delay_alu instid0(VALU_DEP_1) | instskip(NEXT) | instid1(VALU_DEP_1)
	v_mul_f32_e32 v12, v134, v4
	v_and_b32_e32 v4, 0x7f800000, v12
	s_delay_alu instid0(VALU_DEP_1) | instskip(NEXT) | instid1(VALU_DEP_1)
	v_cmp_ne_u32_e64 s0, 0x7f800000, v4
                                        ; implicit-def: $vgpr4
	s_and_saveexec_b32 s13, s0
	s_delay_alu instid0(SALU_CYCLE_1)
	s_xor_b32 s0, exec_lo, s13
; %bb.3254:                             ;   in Loop: Header=BB448_2342 Depth=1
	v_bfe_u32 v4, v12, 16, 1
	s_delay_alu instid0(VALU_DEP_1)
	v_add3_u32 v4, v12, v4, 0x7fff
                                        ; implicit-def: $vgpr12
; %bb.3255:                             ;   in Loop: Header=BB448_2342 Depth=1
	s_and_not1_saveexec_b32 s13, s0
; %bb.3256:                             ;   in Loop: Header=BB448_2342 Depth=1
	v_and_b32_e32 v4, 0xffff, v12
	v_or_b32_e32 v14, 0x10000, v12
	s_delay_alu instid0(VALU_DEP_2) | instskip(NEXT) | instid1(VALU_DEP_1)
	v_cmp_eq_u32_e64 s0, 0, v4
	v_cndmask_b32_e64 v4, v14, v12, s0
; %bb.3257:                             ;   in Loop: Header=BB448_2342 Depth=1
	s_or_b32 exec_lo, exec_lo, s13
	v_lshlrev_b32_e32 v5, 16, v5
	s_delay_alu instid0(VALU_DEP_1) | instskip(NEXT) | instid1(VALU_DEP_1)
	v_mul_f32_e32 v12, v135, v5
	v_and_b32_e32 v5, 0x7f800000, v12
	s_delay_alu instid0(VALU_DEP_1) | instskip(NEXT) | instid1(VALU_DEP_1)
	v_cmp_ne_u32_e64 s0, 0x7f800000, v5
                                        ; implicit-def: $vgpr5
	s_and_saveexec_b32 s13, s0
	s_delay_alu instid0(SALU_CYCLE_1)
	s_xor_b32 s0, exec_lo, s13
; %bb.3258:                             ;   in Loop: Header=BB448_2342 Depth=1
	v_bfe_u32 v5, v12, 16, 1
	s_delay_alu instid0(VALU_DEP_1)
	v_add3_u32 v5, v12, v5, 0x7fff
                                        ; implicit-def: $vgpr12
; %bb.3259:                             ;   in Loop: Header=BB448_2342 Depth=1
	s_and_not1_saveexec_b32 s13, s0
; %bb.3260:                             ;   in Loop: Header=BB448_2342 Depth=1
	v_and_b32_e32 v5, 0xffff, v12
	v_or_b32_e32 v14, 0x10000, v12
	s_delay_alu instid0(VALU_DEP_2) | instskip(NEXT) | instid1(VALU_DEP_1)
	v_cmp_eq_u32_e64 s0, 0, v5
	v_cndmask_b32_e64 v5, v14, v12, s0
; %bb.3261:                             ;   in Loop: Header=BB448_2342 Depth=1
	s_or_b32 exec_lo, exec_lo, s13
	v_lshlrev_b32_e32 v10, 16, v10
                                        ; implicit-def: $vgpr35
	s_delay_alu instid0(VALU_DEP_1) | instskip(NEXT) | instid1(VALU_DEP_1)
	v_mul_f32_e32 v10, v144, v10
	v_and_b32_e32 v12, 0x7f800000, v10
	s_delay_alu instid0(VALU_DEP_1) | instskip(NEXT) | instid1(VALU_DEP_1)
	v_cmp_ne_u32_e64 s0, 0x7f800000, v12
	s_and_saveexec_b32 s13, s0
	s_delay_alu instid0(SALU_CYCLE_1)
	s_xor_b32 s0, exec_lo, s13
; %bb.3262:                             ;   in Loop: Header=BB448_2342 Depth=1
	v_bfe_u32 v12, v10, 16, 1
	s_delay_alu instid0(VALU_DEP_1)
	v_add3_u32 v35, v10, v12, 0x7fff
                                        ; implicit-def: $vgpr10
; %bb.3263:                             ;   in Loop: Header=BB448_2342 Depth=1
	s_and_not1_saveexec_b32 s13, s0
; %bb.3264:                             ;   in Loop: Header=BB448_2342 Depth=1
	v_and_b32_e32 v12, 0xffff, v10
	v_or_b32_e32 v14, 0x10000, v10
	s_delay_alu instid0(VALU_DEP_2) | instskip(NEXT) | instid1(VALU_DEP_1)
	v_cmp_eq_u32_e64 s0, 0, v12
	v_cndmask_b32_e64 v35, v14, v10, s0
; %bb.3265:                             ;   in Loop: Header=BB448_2342 Depth=1
	s_or_b32 exec_lo, exec_lo, s13
	v_lshlrev_b32_e32 v10, 16, v11
                                        ; implicit-def: $vgpr37
	s_delay_alu instid0(VALU_DEP_1) | instskip(NEXT) | instid1(VALU_DEP_1)
	v_mul_f32_e32 v10, v145, v10
	v_and_b32_e32 v11, 0x7f800000, v10
	s_delay_alu instid0(VALU_DEP_1) | instskip(NEXT) | instid1(VALU_DEP_1)
	v_cmp_ne_u32_e64 s0, 0x7f800000, v11
	s_and_saveexec_b32 s13, s0
	s_delay_alu instid0(SALU_CYCLE_1)
	s_xor_b32 s0, exec_lo, s13
; %bb.3266:                             ;   in Loop: Header=BB448_2342 Depth=1
	v_bfe_u32 v11, v10, 16, 1
	s_delay_alu instid0(VALU_DEP_1)
	v_add3_u32 v37, v10, v11, 0x7fff
                                        ; implicit-def: $vgpr10
; %bb.3267:                             ;   in Loop: Header=BB448_2342 Depth=1
	s_and_not1_saveexec_b32 s13, s0
; %bb.3268:                             ;   in Loop: Header=BB448_2342 Depth=1
	v_and_b32_e32 v11, 0xffff, v10
	v_or_b32_e32 v12, 0x10000, v10
	s_delay_alu instid0(VALU_DEP_2) | instskip(NEXT) | instid1(VALU_DEP_1)
	v_cmp_eq_u32_e64 s0, 0, v11
	v_cndmask_b32_e64 v37, v12, v10, s0
; %bb.3269:                             ;   in Loop: Header=BB448_2342 Depth=1
	s_or_b32 exec_lo, exec_lo, s13
	v_lshlrev_b32_e32 v9, 16, v9
                                        ; implicit-def: $vgpr38
	s_delay_alu instid0(VALU_DEP_1) | instskip(NEXT) | instid1(VALU_DEP_1)
	v_mul_f32_e32 v9, v146, v9
	v_and_b32_e32 v10, 0x7f800000, v9
	s_delay_alu instid0(VALU_DEP_1) | instskip(NEXT) | instid1(VALU_DEP_1)
	v_cmp_ne_u32_e64 s0, 0x7f800000, v10
	s_and_saveexec_b32 s13, s0
	s_delay_alu instid0(SALU_CYCLE_1)
	s_xor_b32 s0, exec_lo, s13
; %bb.3270:                             ;   in Loop: Header=BB448_2342 Depth=1
	v_bfe_u32 v10, v9, 16, 1
	s_delay_alu instid0(VALU_DEP_1)
	v_add3_u32 v38, v9, v10, 0x7fff
                                        ; implicit-def: $vgpr9
; %bb.3271:                             ;   in Loop: Header=BB448_2342 Depth=1
	s_and_not1_saveexec_b32 s13, s0
; %bb.3272:                             ;   in Loop: Header=BB448_2342 Depth=1
	v_and_b32_e32 v10, 0xffff, v9
	v_or_b32_e32 v11, 0x10000, v9
	s_delay_alu instid0(VALU_DEP_2) | instskip(NEXT) | instid1(VALU_DEP_1)
	v_cmp_eq_u32_e64 s0, 0, v10
	v_cndmask_b32_e64 v38, v11, v9, s0
; %bb.3273:                             ;   in Loop: Header=BB448_2342 Depth=1
	s_or_b32 exec_lo, exec_lo, s13
	v_lshlrev_b32_e32 v8, 16, v8
                                        ; implicit-def: $vgpr78
	s_delay_alu instid0(VALU_DEP_1) | instskip(NEXT) | instid1(VALU_DEP_1)
	v_mul_f32_e32 v8, v147, v8
	v_and_b32_e32 v9, 0x7f800000, v8
	s_delay_alu instid0(VALU_DEP_1) | instskip(NEXT) | instid1(VALU_DEP_1)
	v_cmp_ne_u32_e64 s0, 0x7f800000, v9
	s_and_saveexec_b32 s13, s0
	s_delay_alu instid0(SALU_CYCLE_1)
	s_xor_b32 s0, exec_lo, s13
; %bb.3274:                             ;   in Loop: Header=BB448_2342 Depth=1
	v_bfe_u32 v9, v8, 16, 1
	s_delay_alu instid0(VALU_DEP_1)
	v_add3_u32 v78, v8, v9, 0x7fff
                                        ; implicit-def: $vgpr8
; %bb.3275:                             ;   in Loop: Header=BB448_2342 Depth=1
	s_and_not1_saveexec_b32 s13, s0
; %bb.3276:                             ;   in Loop: Header=BB448_2342 Depth=1
	v_and_b32_e32 v9, 0xffff, v8
	v_or_b32_e32 v10, 0x10000, v8
	s_delay_alu instid0(VALU_DEP_2) | instskip(NEXT) | instid1(VALU_DEP_1)
	v_cmp_eq_u32_e64 s0, 0, v9
	v_cndmask_b32_e64 v78, v10, v8, s0
; %bb.3277:                             ;   in Loop: Header=BB448_2342 Depth=1
	s_or_b32 exec_lo, exec_lo, s13
	v_lshlrev_b32_e32 v7, 16, v7
                                        ; implicit-def: $vgpr79
	s_delay_alu instid0(VALU_DEP_1) | instskip(NEXT) | instid1(VALU_DEP_1)
	v_mul_f32_e32 v7, v148, v7
	v_and_b32_e32 v8, 0x7f800000, v7
	s_delay_alu instid0(VALU_DEP_1) | instskip(NEXT) | instid1(VALU_DEP_1)
	v_cmp_ne_u32_e64 s0, 0x7f800000, v8
	s_and_saveexec_b32 s13, s0
	s_delay_alu instid0(SALU_CYCLE_1)
	s_xor_b32 s0, exec_lo, s13
; %bb.3278:                             ;   in Loop: Header=BB448_2342 Depth=1
	v_bfe_u32 v8, v7, 16, 1
	s_delay_alu instid0(VALU_DEP_1)
	v_add3_u32 v79, v7, v8, 0x7fff
                                        ; implicit-def: $vgpr7
; %bb.3279:                             ;   in Loop: Header=BB448_2342 Depth=1
	s_and_not1_saveexec_b32 s13, s0
; %bb.3280:                             ;   in Loop: Header=BB448_2342 Depth=1
	v_and_b32_e32 v8, 0xffff, v7
	v_or_b32_e32 v9, 0x10000, v7
	s_delay_alu instid0(VALU_DEP_2) | instskip(NEXT) | instid1(VALU_DEP_1)
	v_cmp_eq_u32_e64 s0, 0, v8
	v_cndmask_b32_e64 v79, v9, v7, s0
; %bb.3281:                             ;   in Loop: Header=BB448_2342 Depth=1
	s_or_b32 exec_lo, exec_lo, s13
	v_lshlrev_b32_e32 v6, 16, v6
                                        ; implicit-def: $vgpr88
	s_delay_alu instid0(VALU_DEP_1) | instskip(NEXT) | instid1(VALU_DEP_1)
	v_mul_f32_e32 v6, v149, v6
	v_and_b32_e32 v7, 0x7f800000, v6
	s_delay_alu instid0(VALU_DEP_1) | instskip(NEXT) | instid1(VALU_DEP_1)
	v_cmp_ne_u32_e64 s0, 0x7f800000, v7
	s_and_saveexec_b32 s13, s0
	s_delay_alu instid0(SALU_CYCLE_1)
	s_xor_b32 s0, exec_lo, s13
; %bb.3282:                             ;   in Loop: Header=BB448_2342 Depth=1
	v_bfe_u32 v7, v6, 16, 1
	s_delay_alu instid0(VALU_DEP_1)
	v_add3_u32 v88, v6, v7, 0x7fff
                                        ; implicit-def: $vgpr6
; %bb.3283:                             ;   in Loop: Header=BB448_2342 Depth=1
	s_and_not1_saveexec_b32 s13, s0
; %bb.3284:                             ;   in Loop: Header=BB448_2342 Depth=1
	v_and_b32_e32 v7, 0xffff, v6
	v_or_b32_e32 v8, 0x10000, v6
	s_delay_alu instid0(VALU_DEP_2) | instskip(NEXT) | instid1(VALU_DEP_1)
	v_cmp_eq_u32_e64 s0, 0, v7
	v_cndmask_b32_e64 v88, v8, v6, s0
; %bb.3285:                             ;   in Loop: Header=BB448_2342 Depth=1
	s_or_b32 exec_lo, exec_lo, s13
	flat_load_b64 v[6:7], v[2:3] offset:1792
	s_mov_b32 s13, exec_lo
	s_waitcnt vmcnt(0) lgkmcnt(0)
	v_dual_mov_b32 v8, 0 :: v_dual_and_b32 v9, 0xff, v6
	s_delay_alu instid0(VALU_DEP_1)
	v_cmpx_ne_u16_e32 0, v9
	s_cbranch_execz .LBB448_3293
; %bb.3286:                             ;   in Loop: Header=BB448_2342 Depth=1
	v_bfrev_b32_e32 v8, 1
	s_mov_b32 s15, exec_lo
	v_cmpx_ne_u16_e32 0x80, v9
	s_cbranch_execz .LBB448_3292
; %bb.3287:                             ;   in Loop: Header=BB448_2342 Depth=1
	v_and_b32_e32 v9, 0x7f, v6
	v_mov_b32_e32 v8, 0x7f800001
	s_mov_b32 s16, exec_lo
	s_delay_alu instid0(VALU_DEP_2)
	v_cmpx_ne_u32_e32 0x7f, v9
	s_cbranch_execz .LBB448_3291
; %bb.3288:                             ;   in Loop: Header=BB448_2342 Depth=1
	v_lshrrev_b32_e32 v10, 3, v9
	v_cmp_gt_u32_e64 s0, 8, v9
	v_dual_mov_b32 v9, v7 :: v_dual_mov_b32 v8, v6
	s_delay_alu instid0(VALU_DEP_2)
	s_and_saveexec_b32 s17, s0
; %bb.3289:                             ;   in Loop: Header=BB448_2342 Depth=1
	v_and_b32_e32 v8, 7, v6
	s_delay_alu instid0(VALU_DEP_1) | instskip(NEXT) | instid1(VALU_DEP_1)
	v_clz_i32_u32_e32 v8, v8
	v_min_u32_e32 v10, 32, v8
	s_delay_alu instid0(VALU_DEP_1) | instskip(SKIP_1) | instid1(VALU_DEP_2)
	v_subrev_nc_u32_e32 v8, 28, v10
	v_sub_nc_u32_e32 v10, 29, v10
	v_lshlrev_b64 v[8:9], v8, v[6:7]
; %bb.3290:                             ;   in Loop: Header=BB448_2342 Depth=1
	s_or_b32 exec_lo, exec_lo, s17
	s_delay_alu instid0(VALU_DEP_1) | instskip(SKIP_2) | instid1(VALU_DEP_3)
	v_lshlrev_b32_e32 v8, 20, v8
	v_lshlrev_b32_e32 v9, 24, v6
	v_lshl_add_u32 v10, v10, 23, 0x3c000000
	v_and_b32_e32 v8, 0x700000, v8
	s_delay_alu instid0(VALU_DEP_3) | instskip(NEXT) | instid1(VALU_DEP_1)
	v_and_b32_e32 v9, 0x80000000, v9
	v_or3_b32 v8, v8, v9, v10
.LBB448_3291:                           ;   in Loop: Header=BB448_2342 Depth=1
	s_or_b32 exec_lo, exec_lo, s16
.LBB448_3292:                           ;   in Loop: Header=BB448_2342 Depth=1
	s_delay_alu instid0(SALU_CYCLE_1)
	s_or_b32 exec_lo, exec_lo, s15
.LBB448_3293:                           ;   in Loop: Header=BB448_2342 Depth=1
	s_delay_alu instid0(SALU_CYCLE_1) | instskip(NEXT) | instid1(VALU_DEP_1)
	s_or_b32 exec_lo, exec_lo, s13
	v_mul_f32_e32 v8, v118, v8
                                        ; implicit-def: $vgpr10
	s_delay_alu instid0(VALU_DEP_1) | instskip(NEXT) | instid1(VALU_DEP_1)
	v_and_b32_e32 v9, 0x7f800000, v8
	v_cmp_ne_u32_e64 s0, 0x7f800000, v9
	s_delay_alu instid0(VALU_DEP_1) | instskip(NEXT) | instid1(SALU_CYCLE_1)
	s_and_saveexec_b32 s13, s0
	s_xor_b32 s0, exec_lo, s13
; %bb.3294:                             ;   in Loop: Header=BB448_2342 Depth=1
	v_bfe_u32 v9, v8, 16, 1
	s_delay_alu instid0(VALU_DEP_1)
	v_add3_u32 v10, v8, v9, 0x7fff
                                        ; implicit-def: $vgpr8
; %bb.3295:                             ;   in Loop: Header=BB448_2342 Depth=1
	s_and_not1_saveexec_b32 s13, s0
; %bb.3296:                             ;   in Loop: Header=BB448_2342 Depth=1
	v_and_b32_e32 v9, 0xffff, v8
	v_or_b32_e32 v10, 0x10000, v8
	s_delay_alu instid0(VALU_DEP_2) | instskip(NEXT) | instid1(VALU_DEP_1)
	v_cmp_eq_u32_e64 s0, 0, v9
	v_cndmask_b32_e64 v10, v10, v8, s0
; %bb.3297:                             ;   in Loop: Header=BB448_2342 Depth=1
	s_or_b32 exec_lo, exec_lo, s13
	v_lshrrev_b16 v9, 8, v6
	v_mov_b32_e32 v8, 0
	s_mov_b32 s13, exec_lo
	s_delay_alu instid0(VALU_DEP_2)
	v_cmpx_ne_u16_e32 0, v9
	s_cbranch_execz .LBB448_3305
; %bb.3298:                             ;   in Loop: Header=BB448_2342 Depth=1
	v_bfrev_b32_e32 v8, 1
	s_mov_b32 s15, exec_lo
	v_cmpx_ne_u16_e32 0x80, v9
	s_cbranch_execz .LBB448_3304
; %bb.3299:                             ;   in Loop: Header=BB448_2342 Depth=1
	v_and_b32_e32 v11, 0xffff, v9
	v_mov_b32_e32 v8, 0x7f800001
	s_mov_b32 s16, exec_lo
	s_delay_alu instid0(VALU_DEP_2) | instskip(NEXT) | instid1(VALU_DEP_1)
	v_and_b32_e32 v9, 0x7f, v11
	v_cmpx_ne_u32_e32 0x7f, v9
	s_cbranch_execz .LBB448_3303
; %bb.3300:                             ;   in Loop: Header=BB448_2342 Depth=1
	v_and_b32_e32 v12, 7, v11
	v_lshrrev_b32_e32 v11, 3, v9
	v_cmp_gt_u32_e64 s0, 8, v9
	s_delay_alu instid0(VALU_DEP_3) | instskip(NEXT) | instid1(VALU_DEP_2)
	v_dual_mov_b32 v8, v12 :: v_dual_mov_b32 v9, v13
	s_and_saveexec_b32 s17, s0
; %bb.3301:                             ;   in Loop: Header=BB448_2342 Depth=1
	v_clz_i32_u32_e32 v8, v12
	s_delay_alu instid0(VALU_DEP_1) | instskip(NEXT) | instid1(VALU_DEP_1)
	v_min_u32_e32 v11, 32, v8
	v_subrev_nc_u32_e32 v8, 28, v11
	v_sub_nc_u32_e32 v11, 29, v11
	s_delay_alu instid0(VALU_DEP_2) | instskip(NEXT) | instid1(VALU_DEP_1)
	v_lshlrev_b64 v[8:9], v8, v[12:13]
	v_and_b32_e32 v8, 7, v8
; %bb.3302:                             ;   in Loop: Header=BB448_2342 Depth=1
	s_or_b32 exec_lo, exec_lo, s17
	v_lshlrev_b32_e32 v9, 16, v6
	s_delay_alu instid0(VALU_DEP_2) | instskip(SKIP_1) | instid1(VALU_DEP_3)
	v_lshlrev_b32_e32 v8, 20, v8
	v_lshl_add_u32 v11, v11, 23, 0x3c000000
	v_and_b32_e32 v9, 0x80000000, v9
	s_delay_alu instid0(VALU_DEP_1)
	v_or3_b32 v8, v8, v9, v11
.LBB448_3303:                           ;   in Loop: Header=BB448_2342 Depth=1
	s_or_b32 exec_lo, exec_lo, s16
.LBB448_3304:                           ;   in Loop: Header=BB448_2342 Depth=1
	s_delay_alu instid0(SALU_CYCLE_1)
	s_or_b32 exec_lo, exec_lo, s15
.LBB448_3305:                           ;   in Loop: Header=BB448_2342 Depth=1
	s_delay_alu instid0(SALU_CYCLE_1) | instskip(NEXT) | instid1(VALU_DEP_1)
	s_or_b32 exec_lo, exec_lo, s13
	v_mul_f32_e32 v8, v118, v8
                                        ; implicit-def: $vgpr11
	s_delay_alu instid0(VALU_DEP_1) | instskip(NEXT) | instid1(VALU_DEP_1)
	v_and_b32_e32 v9, 0x7f800000, v8
	v_cmp_ne_u32_e64 s0, 0x7f800000, v9
	s_delay_alu instid0(VALU_DEP_1) | instskip(NEXT) | instid1(SALU_CYCLE_1)
	s_and_saveexec_b32 s13, s0
	s_xor_b32 s0, exec_lo, s13
; %bb.3306:                             ;   in Loop: Header=BB448_2342 Depth=1
	v_bfe_u32 v9, v8, 16, 1
	s_delay_alu instid0(VALU_DEP_1)
	v_add3_u32 v11, v8, v9, 0x7fff
                                        ; implicit-def: $vgpr8
; %bb.3307:                             ;   in Loop: Header=BB448_2342 Depth=1
	s_and_not1_saveexec_b32 s13, s0
; %bb.3308:                             ;   in Loop: Header=BB448_2342 Depth=1
	v_and_b32_e32 v9, 0xffff, v8
	v_or_b32_e32 v11, 0x10000, v8
	s_delay_alu instid0(VALU_DEP_2) | instskip(NEXT) | instid1(VALU_DEP_1)
	v_cmp_eq_u32_e64 s0, 0, v9
	v_cndmask_b32_e64 v11, v11, v8, s0
; %bb.3309:                             ;   in Loop: Header=BB448_2342 Depth=1
	s_or_b32 exec_lo, exec_lo, s13
	v_lshrrev_b32_e32 v14, 16, v6
	s_mov_b32 s13, exec_lo
	s_delay_alu instid0(VALU_DEP_1) | instskip(NEXT) | instid1(VALU_DEP_1)
	v_dual_mov_b32 v8, 0 :: v_dual_and_b32 v9, 0xff, v14
	v_cmpx_ne_u16_e32 0, v9
	s_cbranch_execz .LBB448_3317
; %bb.3310:                             ;   in Loop: Header=BB448_2342 Depth=1
	v_bfrev_b32_e32 v8, 1
	s_mov_b32 s15, exec_lo
	v_cmpx_ne_u16_e32 0x80, v9
	s_cbranch_execz .LBB448_3316
; %bb.3311:                             ;   in Loop: Header=BB448_2342 Depth=1
	v_bfe_u32 v9, v6, 16, 7
	v_mov_b32_e32 v8, 0x7f800001
	s_mov_b32 s16, exec_lo
	s_delay_alu instid0(VALU_DEP_2)
	v_cmpx_ne_u32_e32 0x7f, v9
	s_cbranch_execz .LBB448_3315
; %bb.3312:                             ;   in Loop: Header=BB448_2342 Depth=1
	v_and_b32_e32 v12, 7, v14
	v_lshrrev_b32_e32 v15, 3, v9
	v_cmp_gt_u32_e64 s0, 8, v9
	s_delay_alu instid0(VALU_DEP_3) | instskip(NEXT) | instid1(VALU_DEP_2)
	v_dual_mov_b32 v8, v12 :: v_dual_mov_b32 v9, v13
	s_and_saveexec_b32 s17, s0
; %bb.3313:                             ;   in Loop: Header=BB448_2342 Depth=1
	v_clz_i32_u32_e32 v8, v12
	s_delay_alu instid0(VALU_DEP_1) | instskip(NEXT) | instid1(VALU_DEP_1)
	v_min_u32_e32 v15, 32, v8
	v_subrev_nc_u32_e32 v8, 28, v15
	v_sub_nc_u32_e32 v15, 29, v15
	s_delay_alu instid0(VALU_DEP_2) | instskip(NEXT) | instid1(VALU_DEP_1)
	v_lshlrev_b64 v[8:9], v8, v[12:13]
	v_and_b32_e32 v8, 7, v8
; %bb.3314:                             ;   in Loop: Header=BB448_2342 Depth=1
	s_or_b32 exec_lo, exec_lo, s17
	v_lshlrev_b32_e32 v9, 24, v14
	s_delay_alu instid0(VALU_DEP_2) | instskip(SKIP_1) | instid1(VALU_DEP_3)
	v_lshlrev_b32_e32 v8, 20, v8
	v_lshl_add_u32 v12, v15, 23, 0x3c000000
	v_and_b32_e32 v9, 0x80000000, v9
	s_delay_alu instid0(VALU_DEP_1)
	v_or3_b32 v8, v8, v9, v12
.LBB448_3315:                           ;   in Loop: Header=BB448_2342 Depth=1
	s_or_b32 exec_lo, exec_lo, s16
.LBB448_3316:                           ;   in Loop: Header=BB448_2342 Depth=1
	s_delay_alu instid0(SALU_CYCLE_1)
	s_or_b32 exec_lo, exec_lo, s15
.LBB448_3317:                           ;   in Loop: Header=BB448_2342 Depth=1
	s_delay_alu instid0(SALU_CYCLE_1) | instskip(NEXT) | instid1(VALU_DEP_1)
	s_or_b32 exec_lo, exec_lo, s13
	v_mul_f32_e32 v8, v118, v8
                                        ; implicit-def: $vgpr14
	s_delay_alu instid0(VALU_DEP_1) | instskip(NEXT) | instid1(VALU_DEP_1)
	v_and_b32_e32 v9, 0x7f800000, v8
	v_cmp_ne_u32_e64 s0, 0x7f800000, v9
	s_delay_alu instid0(VALU_DEP_1) | instskip(NEXT) | instid1(SALU_CYCLE_1)
	s_and_saveexec_b32 s13, s0
	s_xor_b32 s0, exec_lo, s13
; %bb.3318:                             ;   in Loop: Header=BB448_2342 Depth=1
	v_bfe_u32 v9, v8, 16, 1
	s_delay_alu instid0(VALU_DEP_1)
	v_add3_u32 v14, v8, v9, 0x7fff
                                        ; implicit-def: $vgpr8
; %bb.3319:                             ;   in Loop: Header=BB448_2342 Depth=1
	s_and_not1_saveexec_b32 s13, s0
; %bb.3320:                             ;   in Loop: Header=BB448_2342 Depth=1
	v_and_b32_e32 v9, 0xffff, v8
	v_or_b32_e32 v12, 0x10000, v8
	s_delay_alu instid0(VALU_DEP_2) | instskip(NEXT) | instid1(VALU_DEP_1)
	v_cmp_eq_u32_e64 s0, 0, v9
	v_cndmask_b32_e64 v14, v12, v8, s0
; %bb.3321:                             ;   in Loop: Header=BB448_2342 Depth=1
	s_or_b32 exec_lo, exec_lo, s13
	v_mov_b32_e32 v8, 0
	s_mov_b32 s13, exec_lo
	v_cmpx_lt_u32_e32 0xffffff, v6
	s_cbranch_execz .LBB448_3329
; %bb.3322:                             ;   in Loop: Header=BB448_2342 Depth=1
	v_lshrrev_b32_e32 v15, 24, v6
	v_bfrev_b32_e32 v8, 1
	s_mov_b32 s15, exec_lo
	s_delay_alu instid0(VALU_DEP_2)
	v_cmpx_ne_u32_e32 0x80, v15
	s_cbranch_execz .LBB448_3328
; %bb.3323:                             ;   in Loop: Header=BB448_2342 Depth=1
	v_bfe_u32 v9, v6, 24, 7
	v_mov_b32_e32 v8, 0x7f800001
	s_mov_b32 s16, exec_lo
	s_delay_alu instid0(VALU_DEP_2)
	v_cmpx_ne_u32_e32 0x7f, v9
	s_cbranch_execz .LBB448_3327
; %bb.3324:                             ;   in Loop: Header=BB448_2342 Depth=1
	v_and_b32_e32 v12, 7, v15
	v_lshrrev_b32_e32 v16, 3, v9
	v_cmp_gt_u32_e64 s0, 8, v9
	s_delay_alu instid0(VALU_DEP_3) | instskip(NEXT) | instid1(VALU_DEP_2)
	v_dual_mov_b32 v8, v12 :: v_dual_mov_b32 v9, v13
	s_and_saveexec_b32 s17, s0
; %bb.3325:                             ;   in Loop: Header=BB448_2342 Depth=1
	v_clz_i32_u32_e32 v8, v12
	s_delay_alu instid0(VALU_DEP_1) | instskip(NEXT) | instid1(VALU_DEP_1)
	v_min_u32_e32 v16, 32, v8
	v_subrev_nc_u32_e32 v8, 28, v16
	v_sub_nc_u32_e32 v16, 29, v16
	s_delay_alu instid0(VALU_DEP_2) | instskip(NEXT) | instid1(VALU_DEP_1)
	v_lshlrev_b64 v[8:9], v8, v[12:13]
	v_and_b32_e32 v8, 7, v8
; %bb.3326:                             ;   in Loop: Header=BB448_2342 Depth=1
	s_or_b32 exec_lo, exec_lo, s17
	v_lshlrev_b32_e32 v9, 24, v15
	s_delay_alu instid0(VALU_DEP_2) | instskip(SKIP_1) | instid1(VALU_DEP_3)
	v_lshlrev_b32_e32 v8, 20, v8
	v_lshl_add_u32 v12, v16, 23, 0x3c000000
	v_and_b32_e32 v9, 0x80000000, v9
	s_delay_alu instid0(VALU_DEP_1)
	v_or3_b32 v8, v8, v9, v12
.LBB448_3327:                           ;   in Loop: Header=BB448_2342 Depth=1
	s_or_b32 exec_lo, exec_lo, s16
.LBB448_3328:                           ;   in Loop: Header=BB448_2342 Depth=1
	s_delay_alu instid0(SALU_CYCLE_1)
	s_or_b32 exec_lo, exec_lo, s15
.LBB448_3329:                           ;   in Loop: Header=BB448_2342 Depth=1
	s_delay_alu instid0(SALU_CYCLE_1) | instskip(NEXT) | instid1(VALU_DEP_1)
	s_or_b32 exec_lo, exec_lo, s13
	v_mul_f32_e32 v8, v118, v8
                                        ; implicit-def: $vgpr15
	s_delay_alu instid0(VALU_DEP_1) | instskip(NEXT) | instid1(VALU_DEP_1)
	v_and_b32_e32 v9, 0x7f800000, v8
	v_cmp_ne_u32_e64 s0, 0x7f800000, v9
	s_delay_alu instid0(VALU_DEP_1) | instskip(NEXT) | instid1(SALU_CYCLE_1)
	s_and_saveexec_b32 s13, s0
	s_xor_b32 s0, exec_lo, s13
; %bb.3330:                             ;   in Loop: Header=BB448_2342 Depth=1
	v_bfe_u32 v9, v8, 16, 1
	s_delay_alu instid0(VALU_DEP_1)
	v_add3_u32 v15, v8, v9, 0x7fff
                                        ; implicit-def: $vgpr8
; %bb.3331:                             ;   in Loop: Header=BB448_2342 Depth=1
	s_and_not1_saveexec_b32 s13, s0
; %bb.3332:                             ;   in Loop: Header=BB448_2342 Depth=1
	v_and_b32_e32 v9, 0xffff, v8
	v_or_b32_e32 v12, 0x10000, v8
	s_delay_alu instid0(VALU_DEP_2) | instskip(NEXT) | instid1(VALU_DEP_1)
	v_cmp_eq_u32_e64 s0, 0, v9
	v_cndmask_b32_e64 v15, v12, v8, s0
; %bb.3333:                             ;   in Loop: Header=BB448_2342 Depth=1
	s_or_b32 exec_lo, exec_lo, s13
	v_dual_mov_b32 v12, v7 :: v_dual_and_b32 v9, 0xff, v7
	v_mov_b32_e32 v8, 0
	s_mov_b32 s13, exec_lo
	s_delay_alu instid0(VALU_DEP_2)
	v_cmpx_ne_u16_e32 0, v9
	s_cbranch_execz .LBB448_3341
; %bb.3334:                             ;   in Loop: Header=BB448_2342 Depth=1
	v_bfrev_b32_e32 v8, 1
	s_mov_b32 s15, exec_lo
	v_cmpx_ne_u16_e32 0x80, v9
	s_cbranch_execz .LBB448_3340
; %bb.3335:                             ;   in Loop: Header=BB448_2342 Depth=1
	v_and_b32_e32 v9, 0x7f, v7
	v_mov_b32_e32 v8, 0x7f800001
	s_mov_b32 s16, exec_lo
	s_delay_alu instid0(VALU_DEP_2)
	v_cmpx_ne_u32_e32 0x7f, v9
	s_cbranch_execz .LBB448_3339
; %bb.3336:                             ;   in Loop: Header=BB448_2342 Depth=1
	v_lshrrev_b32_e32 v16, 3, v9
	v_cmp_gt_u32_e64 s0, 8, v9
	v_dual_mov_b32 v8, v12 :: v_dual_mov_b32 v9, v13
	s_delay_alu instid0(VALU_DEP_2)
	s_and_saveexec_b32 s17, s0
; %bb.3337:                             ;   in Loop: Header=BB448_2342 Depth=1
	v_and_b32_e32 v8, 7, v7
	s_delay_alu instid0(VALU_DEP_1) | instskip(NEXT) | instid1(VALU_DEP_1)
	v_clz_i32_u32_e32 v8, v8
	v_min_u32_e32 v16, 32, v8
	s_delay_alu instid0(VALU_DEP_1) | instskip(SKIP_1) | instid1(VALU_DEP_2)
	v_subrev_nc_u32_e32 v8, 28, v16
	v_sub_nc_u32_e32 v16, 29, v16
	v_lshlrev_b64 v[8:9], v8, v[12:13]
; %bb.3338:                             ;   in Loop: Header=BB448_2342 Depth=1
	s_or_b32 exec_lo, exec_lo, s17
	s_delay_alu instid0(VALU_DEP_1) | instskip(SKIP_2) | instid1(VALU_DEP_3)
	v_lshlrev_b32_e32 v8, 20, v8
	v_lshlrev_b32_e32 v9, 24, v12
	v_lshl_add_u32 v16, v16, 23, 0x3c000000
	v_and_b32_e32 v8, 0x700000, v8
	s_delay_alu instid0(VALU_DEP_3) | instskip(NEXT) | instid1(VALU_DEP_1)
	v_and_b32_e32 v9, 0x80000000, v9
	v_or3_b32 v8, v8, v9, v16
.LBB448_3339:                           ;   in Loop: Header=BB448_2342 Depth=1
	s_or_b32 exec_lo, exec_lo, s16
.LBB448_3340:                           ;   in Loop: Header=BB448_2342 Depth=1
	s_delay_alu instid0(SALU_CYCLE_1)
	s_or_b32 exec_lo, exec_lo, s15
.LBB448_3341:                           ;   in Loop: Header=BB448_2342 Depth=1
	s_delay_alu instid0(SALU_CYCLE_1) | instskip(NEXT) | instid1(VALU_DEP_1)
	s_or_b32 exec_lo, exec_lo, s13
	v_mul_f32_e32 v8, v118, v8
                                        ; implicit-def: $vgpr16
	s_delay_alu instid0(VALU_DEP_1) | instskip(NEXT) | instid1(VALU_DEP_1)
	v_and_b32_e32 v9, 0x7f800000, v8
	v_cmp_ne_u32_e64 s0, 0x7f800000, v9
	s_delay_alu instid0(VALU_DEP_1) | instskip(NEXT) | instid1(SALU_CYCLE_1)
	s_and_saveexec_b32 s13, s0
	s_xor_b32 s0, exec_lo, s13
; %bb.3342:                             ;   in Loop: Header=BB448_2342 Depth=1
	v_bfe_u32 v9, v8, 16, 1
	s_delay_alu instid0(VALU_DEP_1)
	v_add3_u32 v16, v8, v9, 0x7fff
                                        ; implicit-def: $vgpr8
; %bb.3343:                             ;   in Loop: Header=BB448_2342 Depth=1
	s_and_not1_saveexec_b32 s13, s0
; %bb.3344:                             ;   in Loop: Header=BB448_2342 Depth=1
	v_and_b32_e32 v9, 0xffff, v8
	v_or_b32_e32 v16, 0x10000, v8
	s_delay_alu instid0(VALU_DEP_2) | instskip(NEXT) | instid1(VALU_DEP_1)
	v_cmp_eq_u32_e64 s0, 0, v9
	v_cndmask_b32_e64 v16, v16, v8, s0
; %bb.3345:                             ;   in Loop: Header=BB448_2342 Depth=1
	s_or_b32 exec_lo, exec_lo, s13
	v_lshrrev_b16 v9, 8, v12
	v_mov_b32_e32 v8, 0
	s_mov_b32 s13, exec_lo
	s_delay_alu instid0(VALU_DEP_2)
	v_cmpx_ne_u16_e32 0, v9
	s_cbranch_execz .LBB448_3353
; %bb.3346:                             ;   in Loop: Header=BB448_2342 Depth=1
	v_bfrev_b32_e32 v8, 1
	s_mov_b32 s15, exec_lo
	v_cmpx_ne_u16_e32 0x80, v9
	s_cbranch_execz .LBB448_3352
; %bb.3347:                             ;   in Loop: Header=BB448_2342 Depth=1
	v_and_b32_e32 v9, 0xffff, v9
	v_mov_b32_e32 v8, 0x7f800001
	s_mov_b32 s16, exec_lo
	s_delay_alu instid0(VALU_DEP_2) | instskip(NEXT) | instid1(VALU_DEP_1)
	v_and_b32_e32 v19, 0x7f, v9
	v_cmpx_ne_u32_e32 0x7f, v19
	s_cbranch_execz .LBB448_3351
; %bb.3348:                             ;   in Loop: Header=BB448_2342 Depth=1
	v_dual_mov_b32 v9, v13 :: v_dual_and_b32 v8, 7, v9
	v_lshrrev_b32_e32 v18, 3, v19
	s_mov_b32 s17, exec_lo
	v_cmpx_gt_u32_e32 8, v19
; %bb.3349:                             ;   in Loop: Header=BB448_2342 Depth=1
	s_delay_alu instid0(VALU_DEP_3) | instskip(NEXT) | instid1(VALU_DEP_1)
	v_clz_i32_u32_e32 v18, v8
	v_min_u32_e32 v18, 32, v18
	s_delay_alu instid0(VALU_DEP_1) | instskip(SKIP_1) | instid1(VALU_DEP_2)
	v_subrev_nc_u32_e32 v19, 28, v18
	v_sub_nc_u32_e32 v18, 29, v18
	v_lshlrev_b64 v[8:9], v19, v[8:9]
	s_delay_alu instid0(VALU_DEP_1)
	v_and_b32_e32 v8, 7, v8
; %bb.3350:                             ;   in Loop: Header=BB448_2342 Depth=1
	s_or_b32 exec_lo, exec_lo, s17
	v_lshlrev_b32_e32 v9, 16, v12
	s_delay_alu instid0(VALU_DEP_2) | instskip(SKIP_1) | instid1(VALU_DEP_3)
	v_lshlrev_b32_e32 v8, 20, v8
	v_lshl_add_u32 v12, v18, 23, 0x3c000000
	v_and_b32_e32 v9, 0x80000000, v9
	s_delay_alu instid0(VALU_DEP_1)
	v_or3_b32 v8, v8, v9, v12
.LBB448_3351:                           ;   in Loop: Header=BB448_2342 Depth=1
	s_or_b32 exec_lo, exec_lo, s16
.LBB448_3352:                           ;   in Loop: Header=BB448_2342 Depth=1
	s_delay_alu instid0(SALU_CYCLE_1)
	s_or_b32 exec_lo, exec_lo, s15
.LBB448_3353:                           ;   in Loop: Header=BB448_2342 Depth=1
	s_delay_alu instid0(SALU_CYCLE_1) | instskip(NEXT) | instid1(VALU_DEP_1)
	s_or_b32 exec_lo, exec_lo, s13
	v_mul_f32_e32 v8, v118, v8
                                        ; implicit-def: $vgpr18
	s_delay_alu instid0(VALU_DEP_1) | instskip(NEXT) | instid1(VALU_DEP_1)
	v_and_b32_e32 v9, 0x7f800000, v8
	v_cmp_ne_u32_e64 s0, 0x7f800000, v9
	s_delay_alu instid0(VALU_DEP_1) | instskip(NEXT) | instid1(SALU_CYCLE_1)
	s_and_saveexec_b32 s13, s0
	s_xor_b32 s0, exec_lo, s13
; %bb.3354:                             ;   in Loop: Header=BB448_2342 Depth=1
	v_bfe_u32 v9, v8, 16, 1
	s_delay_alu instid0(VALU_DEP_1)
	v_add3_u32 v18, v8, v9, 0x7fff
                                        ; implicit-def: $vgpr8
; %bb.3355:                             ;   in Loop: Header=BB448_2342 Depth=1
	s_and_not1_saveexec_b32 s13, s0
; %bb.3356:                             ;   in Loop: Header=BB448_2342 Depth=1
	v_and_b32_e32 v9, 0xffff, v8
	v_or_b32_e32 v12, 0x10000, v8
	s_delay_alu instid0(VALU_DEP_2) | instskip(NEXT) | instid1(VALU_DEP_1)
	v_cmp_eq_u32_e64 s0, 0, v9
	v_cndmask_b32_e64 v18, v12, v8, s0
; %bb.3357:                             ;   in Loop: Header=BB448_2342 Depth=1
	s_or_b32 exec_lo, exec_lo, s13
	v_lshrrev_b32_e32 v19, 16, v7
	s_mov_b32 s13, exec_lo
	s_delay_alu instid0(VALU_DEP_1) | instskip(NEXT) | instid1(VALU_DEP_1)
	v_dual_mov_b32 v8, 0 :: v_dual_and_b32 v9, 0xff, v19
	v_cmpx_ne_u16_e32 0, v9
	s_cbranch_execz .LBB448_3365
; %bb.3358:                             ;   in Loop: Header=BB448_2342 Depth=1
	v_bfrev_b32_e32 v8, 1
	s_mov_b32 s15, exec_lo
	v_cmpx_ne_u16_e32 0x80, v9
	s_cbranch_execz .LBB448_3364
; %bb.3359:                             ;   in Loop: Header=BB448_2342 Depth=1
	v_bfe_u32 v9, v7, 16, 7
	v_mov_b32_e32 v8, 0x7f800001
	s_mov_b32 s16, exec_lo
	s_delay_alu instid0(VALU_DEP_2)
	v_cmpx_ne_u32_e32 0x7f, v9
	s_cbranch_execz .LBB448_3363
; %bb.3360:                             ;   in Loop: Header=BB448_2342 Depth=1
	v_and_b32_e32 v12, 7, v19
	v_lshrrev_b32_e32 v20, 3, v9
	v_cmp_gt_u32_e64 s0, 8, v9
	s_delay_alu instid0(VALU_DEP_3) | instskip(NEXT) | instid1(VALU_DEP_2)
	v_dual_mov_b32 v8, v12 :: v_dual_mov_b32 v9, v13
	s_and_saveexec_b32 s17, s0
; %bb.3361:                             ;   in Loop: Header=BB448_2342 Depth=1
	v_clz_i32_u32_e32 v8, v12
	s_delay_alu instid0(VALU_DEP_1) | instskip(NEXT) | instid1(VALU_DEP_1)
	v_min_u32_e32 v20, 32, v8
	v_subrev_nc_u32_e32 v8, 28, v20
	v_sub_nc_u32_e32 v20, 29, v20
	s_delay_alu instid0(VALU_DEP_2) | instskip(NEXT) | instid1(VALU_DEP_1)
	v_lshlrev_b64 v[8:9], v8, v[12:13]
	v_and_b32_e32 v8, 7, v8
; %bb.3362:                             ;   in Loop: Header=BB448_2342 Depth=1
	s_or_b32 exec_lo, exec_lo, s17
	v_lshlrev_b32_e32 v9, 24, v19
	s_delay_alu instid0(VALU_DEP_2) | instskip(SKIP_1) | instid1(VALU_DEP_3)
	v_lshlrev_b32_e32 v8, 20, v8
	v_lshl_add_u32 v12, v20, 23, 0x3c000000
	v_and_b32_e32 v9, 0x80000000, v9
	s_delay_alu instid0(VALU_DEP_1)
	v_or3_b32 v8, v8, v9, v12
.LBB448_3363:                           ;   in Loop: Header=BB448_2342 Depth=1
	s_or_b32 exec_lo, exec_lo, s16
.LBB448_3364:                           ;   in Loop: Header=BB448_2342 Depth=1
	s_delay_alu instid0(SALU_CYCLE_1)
	s_or_b32 exec_lo, exec_lo, s15
.LBB448_3365:                           ;   in Loop: Header=BB448_2342 Depth=1
	s_delay_alu instid0(SALU_CYCLE_1) | instskip(NEXT) | instid1(VALU_DEP_1)
	s_or_b32 exec_lo, exec_lo, s13
	v_mul_f32_e32 v8, v118, v8
                                        ; implicit-def: $vgpr19
	s_delay_alu instid0(VALU_DEP_1) | instskip(NEXT) | instid1(VALU_DEP_1)
	v_and_b32_e32 v9, 0x7f800000, v8
	v_cmp_ne_u32_e64 s0, 0x7f800000, v9
	s_delay_alu instid0(VALU_DEP_1) | instskip(NEXT) | instid1(SALU_CYCLE_1)
	s_and_saveexec_b32 s13, s0
	s_xor_b32 s0, exec_lo, s13
; %bb.3366:                             ;   in Loop: Header=BB448_2342 Depth=1
	v_bfe_u32 v9, v8, 16, 1
	s_delay_alu instid0(VALU_DEP_1)
	v_add3_u32 v19, v8, v9, 0x7fff
                                        ; implicit-def: $vgpr8
; %bb.3367:                             ;   in Loop: Header=BB448_2342 Depth=1
	s_and_not1_saveexec_b32 s13, s0
; %bb.3368:                             ;   in Loop: Header=BB448_2342 Depth=1
	v_and_b32_e32 v9, 0xffff, v8
	v_or_b32_e32 v12, 0x10000, v8
	s_delay_alu instid0(VALU_DEP_2) | instskip(NEXT) | instid1(VALU_DEP_1)
	v_cmp_eq_u32_e64 s0, 0, v9
	v_cndmask_b32_e64 v19, v12, v8, s0
; %bb.3369:                             ;   in Loop: Header=BB448_2342 Depth=1
	s_or_b32 exec_lo, exec_lo, s13
	v_cmp_lt_u64_e64 s0, s[8:9], v[6:7]
	v_mov_b32_e32 v6, 0
	s_delay_alu instid0(VALU_DEP_2)
	s_and_saveexec_b32 s13, s0
	s_cbranch_execz .LBB448_3377
; %bb.3370:                             ;   in Loop: Header=BB448_2342 Depth=1
	v_lshrrev_b32_e32 v8, 24, v7
	v_bfrev_b32_e32 v6, 1
	s_mov_b32 s15, exec_lo
	s_delay_alu instid0(VALU_DEP_2)
	v_cmpx_ne_u32_e32 0x80, v8
	s_cbranch_execz .LBB448_3376
; %bb.3371:                             ;   in Loop: Header=BB448_2342 Depth=1
	v_bfe_u32 v7, v7, 24, 7
	v_mov_b32_e32 v6, 0x7f800001
	s_mov_b32 s16, exec_lo
	s_delay_alu instid0(VALU_DEP_2)
	v_cmpx_ne_u32_e32 0x7f, v7
	s_cbranch_execz .LBB448_3375
; %bb.3372:                             ;   in Loop: Header=BB448_2342 Depth=1
	v_and_b32_e32 v12, 7, v8
	v_lshrrev_b32_e32 v9, 3, v7
	v_cmp_gt_u32_e64 s0, 8, v7
	s_delay_alu instid0(VALU_DEP_3) | instskip(NEXT) | instid1(VALU_DEP_2)
	v_dual_mov_b32 v6, v12 :: v_dual_mov_b32 v7, v13
	s_and_saveexec_b32 s17, s0
; %bb.3373:                             ;   in Loop: Header=BB448_2342 Depth=1
	v_clz_i32_u32_e32 v6, v12
	s_delay_alu instid0(VALU_DEP_1) | instskip(NEXT) | instid1(VALU_DEP_1)
	v_min_u32_e32 v9, 32, v6
	v_subrev_nc_u32_e32 v6, 28, v9
	v_sub_nc_u32_e32 v9, 29, v9
	s_delay_alu instid0(VALU_DEP_2) | instskip(NEXT) | instid1(VALU_DEP_1)
	v_lshlrev_b64 v[6:7], v6, v[12:13]
	v_and_b32_e32 v6, 7, v6
; %bb.3374:                             ;   in Loop: Header=BB448_2342 Depth=1
	s_or_b32 exec_lo, exec_lo, s17
	v_lshlrev_b32_e32 v7, 24, v8
	s_delay_alu instid0(VALU_DEP_2) | instskip(SKIP_1) | instid1(VALU_DEP_3)
	v_lshlrev_b32_e32 v6, 20, v6
	v_lshl_add_u32 v8, v9, 23, 0x3c000000
	v_and_b32_e32 v7, 0x80000000, v7
	s_delay_alu instid0(VALU_DEP_1)
	v_or3_b32 v6, v6, v7, v8
.LBB448_3375:                           ;   in Loop: Header=BB448_2342 Depth=1
	s_or_b32 exec_lo, exec_lo, s16
.LBB448_3376:                           ;   in Loop: Header=BB448_2342 Depth=1
	s_delay_alu instid0(SALU_CYCLE_1)
	s_or_b32 exec_lo, exec_lo, s15
.LBB448_3377:                           ;   in Loop: Header=BB448_2342 Depth=1
	s_delay_alu instid0(SALU_CYCLE_1) | instskip(NEXT) | instid1(VALU_DEP_1)
	s_or_b32 exec_lo, exec_lo, s13
	v_mul_f32_e32 v7, v118, v6
	s_delay_alu instid0(VALU_DEP_1) | instskip(NEXT) | instid1(VALU_DEP_1)
	v_and_b32_e32 v6, 0x7f800000, v7
	v_cmp_ne_u32_e64 s0, 0x7f800000, v6
                                        ; implicit-def: $vgpr6
	s_delay_alu instid0(VALU_DEP_1) | instskip(NEXT) | instid1(SALU_CYCLE_1)
	s_and_saveexec_b32 s13, s0
	s_xor_b32 s0, exec_lo, s13
; %bb.3378:                             ;   in Loop: Header=BB448_2342 Depth=1
	v_bfe_u32 v6, v7, 16, 1
	s_delay_alu instid0(VALU_DEP_1)
	v_add3_u32 v6, v7, v6, 0x7fff
                                        ; implicit-def: $vgpr7
; %bb.3379:                             ;   in Loop: Header=BB448_2342 Depth=1
	s_and_not1_saveexec_b32 s13, s0
; %bb.3380:                             ;   in Loop: Header=BB448_2342 Depth=1
	v_and_b32_e32 v6, 0xffff, v7
	v_or_b32_e32 v8, 0x10000, v7
	s_delay_alu instid0(VALU_DEP_2) | instskip(NEXT) | instid1(VALU_DEP_1)
	v_cmp_eq_u32_e64 s0, 0, v6
	v_cndmask_b32_e64 v6, v8, v7, s0
; %bb.3381:                             ;   in Loop: Header=BB448_2342 Depth=1
	s_or_b32 exec_lo, exec_lo, s13
	v_lshrrev_b32_e32 v8, 16, v18
	v_lshrrev_b32_e32 v9, 16, v16
	;; [unrolled: 1-line block ×8, first 2 shown]
	s_and_saveexec_b32 s13, vcc_lo
	s_cbranch_execz .LBB448_3383
; %bb.3382:                             ;   in Loop: Header=BB448_2342 Depth=1
	v_cmp_lt_i32_e64 s0, v102, v36
	s_delay_alu instid0(VALU_DEP_1) | instskip(SKIP_1) | instid1(VALU_DEP_1)
	v_cndmask_b32_e64 v10, 0, v10, s0
	v_cmp_lt_i32_e64 s0, v133, v36
	v_cndmask_b32_e64 v11, 0, v11, s0
	v_cmp_lt_i32_e64 s0, v132, v36
	s_delay_alu instid0(VALU_DEP_1) | instskip(SKIP_1) | instid1(VALU_DEP_1)
	v_cndmask_b32_e64 v14, 0, v14, s0
	v_cmp_lt_i32_e64 s0, v131, v36
	v_cndmask_b32_e64 v12, 0, v12, s0
	v_cmp_lt_i32_e64 s0, v130, v36
	s_delay_alu instid0(VALU_DEP_1) | instskip(SKIP_1) | instid1(VALU_DEP_1)
	v_cndmask_b32_e64 v9, 0, v9, s0
	v_cmp_lt_i32_e64 s0, v129, v36
	v_cndmask_b32_e64 v8, 0, v8, s0
	v_cmp_lt_i32_e64 s0, v128, v36
	s_delay_alu instid0(VALU_DEP_1) | instskip(SKIP_1) | instid1(VALU_DEP_1)
	v_cndmask_b32_e64 v7, 0, v7, s0
	v_cmp_lt_i32_e64 s0, v119, v36
	v_cndmask_b32_e64 v6, 0, v6, s0
.LBB448_3383:                           ;   in Loop: Header=BB448_2342 Depth=1
	s_or_b32 exec_lo, exec_lo, s13
	v_lshlrev_b32_e32 v10, 16, v10
                                        ; implicit-def: $vgpr89
	s_delay_alu instid0(VALU_DEP_1) | instskip(NEXT) | instid1(VALU_DEP_1)
	v_mul_f32_e32 v10, v134, v10
	v_and_b32_e32 v15, 0x7f800000, v10
	s_delay_alu instid0(VALU_DEP_1) | instskip(NEXT) | instid1(VALU_DEP_1)
	v_cmp_ne_u32_e64 s0, 0x7f800000, v15
	s_and_saveexec_b32 s13, s0
	s_delay_alu instid0(SALU_CYCLE_1)
	s_xor_b32 s0, exec_lo, s13
; %bb.3384:                             ;   in Loop: Header=BB448_2342 Depth=1
	v_bfe_u32 v15, v10, 16, 1
	s_delay_alu instid0(VALU_DEP_1)
	v_add3_u32 v89, v10, v15, 0x7fff
                                        ; implicit-def: $vgpr10
; %bb.3385:                             ;   in Loop: Header=BB448_2342 Depth=1
	s_and_not1_saveexec_b32 s13, s0
; %bb.3386:                             ;   in Loop: Header=BB448_2342 Depth=1
	v_and_b32_e32 v15, 0xffff, v10
	v_or_b32_e32 v16, 0x10000, v10
	s_delay_alu instid0(VALU_DEP_2) | instskip(NEXT) | instid1(VALU_DEP_1)
	v_cmp_eq_u32_e64 s0, 0, v15
	v_cndmask_b32_e64 v89, v16, v10, s0
; %bb.3387:                             ;   in Loop: Header=BB448_2342 Depth=1
	s_or_b32 exec_lo, exec_lo, s13
	v_lshlrev_b32_e32 v10, 16, v11
                                        ; implicit-def: $vgpr90
	s_delay_alu instid0(VALU_DEP_1) | instskip(NEXT) | instid1(VALU_DEP_1)
	v_mul_f32_e32 v10, v135, v10
	v_and_b32_e32 v11, 0x7f800000, v10
	s_delay_alu instid0(VALU_DEP_1) | instskip(NEXT) | instid1(VALU_DEP_1)
	v_cmp_ne_u32_e64 s0, 0x7f800000, v11
	s_and_saveexec_b32 s13, s0
	s_delay_alu instid0(SALU_CYCLE_1)
	s_xor_b32 s0, exec_lo, s13
; %bb.3388:                             ;   in Loop: Header=BB448_2342 Depth=1
	v_bfe_u32 v11, v10, 16, 1
	s_delay_alu instid0(VALU_DEP_1)
	v_add3_u32 v90, v10, v11, 0x7fff
                                        ; implicit-def: $vgpr10
; %bb.3389:                             ;   in Loop: Header=BB448_2342 Depth=1
	s_and_not1_saveexec_b32 s13, s0
; %bb.3390:                             ;   in Loop: Header=BB448_2342 Depth=1
	v_and_b32_e32 v11, 0xffff, v10
	v_or_b32_e32 v15, 0x10000, v10
	s_delay_alu instid0(VALU_DEP_2) | instskip(NEXT) | instid1(VALU_DEP_1)
	v_cmp_eq_u32_e64 s0, 0, v11
	v_cndmask_b32_e64 v90, v15, v10, s0
; %bb.3391:                             ;   in Loop: Header=BB448_2342 Depth=1
	s_or_b32 exec_lo, exec_lo, s13
	v_lshlrev_b32_e32 v10, 16, v14
                                        ; implicit-def: $vgpr91
	s_delay_alu instid0(VALU_DEP_1) | instskip(NEXT) | instid1(VALU_DEP_1)
	v_mul_f32_e32 v10, v144, v10
	v_and_b32_e32 v11, 0x7f800000, v10
	s_delay_alu instid0(VALU_DEP_1) | instskip(NEXT) | instid1(VALU_DEP_1)
	v_cmp_ne_u32_e64 s0, 0x7f800000, v11
	s_and_saveexec_b32 s13, s0
	s_delay_alu instid0(SALU_CYCLE_1)
	s_xor_b32 s0, exec_lo, s13
; %bb.3392:                             ;   in Loop: Header=BB448_2342 Depth=1
	v_bfe_u32 v11, v10, 16, 1
	s_delay_alu instid0(VALU_DEP_1)
	v_add3_u32 v91, v10, v11, 0x7fff
                                        ; implicit-def: $vgpr10
; %bb.3393:                             ;   in Loop: Header=BB448_2342 Depth=1
	s_and_not1_saveexec_b32 s13, s0
; %bb.3394:                             ;   in Loop: Header=BB448_2342 Depth=1
	v_and_b32_e32 v11, 0xffff, v10
	v_or_b32_e32 v14, 0x10000, v10
	s_delay_alu instid0(VALU_DEP_2) | instskip(NEXT) | instid1(VALU_DEP_1)
	v_cmp_eq_u32_e64 s0, 0, v11
	v_cndmask_b32_e64 v91, v14, v10, s0
; %bb.3395:                             ;   in Loop: Header=BB448_2342 Depth=1
	s_or_b32 exec_lo, exec_lo, s13
	v_lshlrev_b32_e32 v10, 16, v12
                                        ; implicit-def: $vgpr92
	s_delay_alu instid0(VALU_DEP_1) | instskip(NEXT) | instid1(VALU_DEP_1)
	v_mul_f32_e32 v10, v145, v10
	v_and_b32_e32 v11, 0x7f800000, v10
	s_delay_alu instid0(VALU_DEP_1) | instskip(NEXT) | instid1(VALU_DEP_1)
	v_cmp_ne_u32_e64 s0, 0x7f800000, v11
	s_and_saveexec_b32 s13, s0
	s_delay_alu instid0(SALU_CYCLE_1)
	s_xor_b32 s0, exec_lo, s13
; %bb.3396:                             ;   in Loop: Header=BB448_2342 Depth=1
	v_bfe_u32 v11, v10, 16, 1
	s_delay_alu instid0(VALU_DEP_1)
	v_add3_u32 v92, v10, v11, 0x7fff
                                        ; implicit-def: $vgpr10
; %bb.3397:                             ;   in Loop: Header=BB448_2342 Depth=1
	s_and_not1_saveexec_b32 s13, s0
; %bb.3398:                             ;   in Loop: Header=BB448_2342 Depth=1
	v_and_b32_e32 v11, 0xffff, v10
	v_or_b32_e32 v12, 0x10000, v10
	s_delay_alu instid0(VALU_DEP_2) | instskip(NEXT) | instid1(VALU_DEP_1)
	v_cmp_eq_u32_e64 s0, 0, v11
	v_cndmask_b32_e64 v92, v12, v10, s0
; %bb.3399:                             ;   in Loop: Header=BB448_2342 Depth=1
	s_or_b32 exec_lo, exec_lo, s13
	v_lshlrev_b32_e32 v9, 16, v9
                                        ; implicit-def: $vgpr93
	s_delay_alu instid0(VALU_DEP_1) | instskip(NEXT) | instid1(VALU_DEP_1)
	v_mul_f32_e32 v9, v146, v9
	v_and_b32_e32 v10, 0x7f800000, v9
	s_delay_alu instid0(VALU_DEP_1) | instskip(NEXT) | instid1(VALU_DEP_1)
	v_cmp_ne_u32_e64 s0, 0x7f800000, v10
	s_and_saveexec_b32 s13, s0
	s_delay_alu instid0(SALU_CYCLE_1)
	s_xor_b32 s0, exec_lo, s13
; %bb.3400:                             ;   in Loop: Header=BB448_2342 Depth=1
	v_bfe_u32 v10, v9, 16, 1
	s_delay_alu instid0(VALU_DEP_1)
	v_add3_u32 v93, v9, v10, 0x7fff
                                        ; implicit-def: $vgpr9
; %bb.3401:                             ;   in Loop: Header=BB448_2342 Depth=1
	s_and_not1_saveexec_b32 s13, s0
; %bb.3402:                             ;   in Loop: Header=BB448_2342 Depth=1
	v_and_b32_e32 v10, 0xffff, v9
	v_or_b32_e32 v11, 0x10000, v9
	s_delay_alu instid0(VALU_DEP_2) | instskip(NEXT) | instid1(VALU_DEP_1)
	v_cmp_eq_u32_e64 s0, 0, v10
	v_cndmask_b32_e64 v93, v11, v9, s0
; %bb.3403:                             ;   in Loop: Header=BB448_2342 Depth=1
	s_or_b32 exec_lo, exec_lo, s13
	v_lshlrev_b32_e32 v8, 16, v8
                                        ; implicit-def: $vgpr94
	s_delay_alu instid0(VALU_DEP_1) | instskip(NEXT) | instid1(VALU_DEP_1)
	v_mul_f32_e32 v8, v147, v8
	v_and_b32_e32 v9, 0x7f800000, v8
	s_delay_alu instid0(VALU_DEP_1) | instskip(NEXT) | instid1(VALU_DEP_1)
	v_cmp_ne_u32_e64 s0, 0x7f800000, v9
	s_and_saveexec_b32 s13, s0
	s_delay_alu instid0(SALU_CYCLE_1)
	s_xor_b32 s0, exec_lo, s13
; %bb.3404:                             ;   in Loop: Header=BB448_2342 Depth=1
	v_bfe_u32 v9, v8, 16, 1
	s_delay_alu instid0(VALU_DEP_1)
	v_add3_u32 v94, v8, v9, 0x7fff
                                        ; implicit-def: $vgpr8
; %bb.3405:                             ;   in Loop: Header=BB448_2342 Depth=1
	s_and_not1_saveexec_b32 s13, s0
; %bb.3406:                             ;   in Loop: Header=BB448_2342 Depth=1
	v_and_b32_e32 v9, 0xffff, v8
	v_or_b32_e32 v10, 0x10000, v8
	s_delay_alu instid0(VALU_DEP_2) | instskip(NEXT) | instid1(VALU_DEP_1)
	v_cmp_eq_u32_e64 s0, 0, v9
	v_cndmask_b32_e64 v94, v10, v8, s0
; %bb.3407:                             ;   in Loop: Header=BB448_2342 Depth=1
	s_or_b32 exec_lo, exec_lo, s13
	v_lshlrev_b32_e32 v7, 16, v7
                                        ; implicit-def: $vgpr95
	s_delay_alu instid0(VALU_DEP_1) | instskip(NEXT) | instid1(VALU_DEP_1)
	v_mul_f32_e32 v7, v148, v7
	v_and_b32_e32 v8, 0x7f800000, v7
	s_delay_alu instid0(VALU_DEP_1) | instskip(NEXT) | instid1(VALU_DEP_1)
	v_cmp_ne_u32_e64 s0, 0x7f800000, v8
	s_and_saveexec_b32 s13, s0
	s_delay_alu instid0(SALU_CYCLE_1)
	s_xor_b32 s0, exec_lo, s13
; %bb.3408:                             ;   in Loop: Header=BB448_2342 Depth=1
	v_bfe_u32 v8, v7, 16, 1
	s_delay_alu instid0(VALU_DEP_1)
	v_add3_u32 v95, v7, v8, 0x7fff
                                        ; implicit-def: $vgpr7
; %bb.3409:                             ;   in Loop: Header=BB448_2342 Depth=1
	s_and_not1_saveexec_b32 s13, s0
; %bb.3410:                             ;   in Loop: Header=BB448_2342 Depth=1
	v_and_b32_e32 v8, 0xffff, v7
	v_or_b32_e32 v9, 0x10000, v7
	s_delay_alu instid0(VALU_DEP_2) | instskip(NEXT) | instid1(VALU_DEP_1)
	v_cmp_eq_u32_e64 s0, 0, v8
	v_cndmask_b32_e64 v95, v9, v7, s0
; %bb.3411:                             ;   in Loop: Header=BB448_2342 Depth=1
	s_or_b32 exec_lo, exec_lo, s13
	v_lshlrev_b32_e32 v6, 16, v6
                                        ; implicit-def: $vgpr104
	s_delay_alu instid0(VALU_DEP_1) | instskip(NEXT) | instid1(VALU_DEP_1)
	v_mul_f32_e32 v6, v149, v6
	v_and_b32_e32 v7, 0x7f800000, v6
	s_delay_alu instid0(VALU_DEP_1) | instskip(NEXT) | instid1(VALU_DEP_1)
	v_cmp_ne_u32_e64 s0, 0x7f800000, v7
	s_and_saveexec_b32 s13, s0
	s_delay_alu instid0(SALU_CYCLE_1)
	s_xor_b32 s0, exec_lo, s13
; %bb.3412:                             ;   in Loop: Header=BB448_2342 Depth=1
	v_bfe_u32 v7, v6, 16, 1
	s_delay_alu instid0(VALU_DEP_1)
	v_add3_u32 v104, v6, v7, 0x7fff
                                        ; implicit-def: $vgpr6
; %bb.3413:                             ;   in Loop: Header=BB448_2342 Depth=1
	s_and_not1_saveexec_b32 s13, s0
; %bb.3414:                             ;   in Loop: Header=BB448_2342 Depth=1
	v_and_b32_e32 v7, 0xffff, v6
	v_or_b32_e32 v8, 0x10000, v6
	s_delay_alu instid0(VALU_DEP_2) | instskip(NEXT) | instid1(VALU_DEP_1)
	v_cmp_eq_u32_e64 s0, 0, v7
	v_cndmask_b32_e64 v104, v8, v6, s0
; %bb.3415:                             ;   in Loop: Header=BB448_2342 Depth=1
	s_or_b32 exec_lo, exec_lo, s13
	flat_load_b64 v[6:7], v[2:3] offset:2048
	s_mov_b32 s13, exec_lo
	s_waitcnt vmcnt(0) lgkmcnt(0)
	v_dual_mov_b32 v8, 0 :: v_dual_and_b32 v9, 0xff, v6
	s_delay_alu instid0(VALU_DEP_1)
	v_cmpx_ne_u16_e32 0, v9
	s_cbranch_execz .LBB448_3423
; %bb.3416:                             ;   in Loop: Header=BB448_2342 Depth=1
	v_bfrev_b32_e32 v8, 1
	s_mov_b32 s15, exec_lo
	v_cmpx_ne_u16_e32 0x80, v9
	s_cbranch_execz .LBB448_3422
; %bb.3417:                             ;   in Loop: Header=BB448_2342 Depth=1
	v_and_b32_e32 v9, 0x7f, v6
	v_mov_b32_e32 v8, 0x7f800001
	s_mov_b32 s16, exec_lo
	s_delay_alu instid0(VALU_DEP_2)
	v_cmpx_ne_u32_e32 0x7f, v9
	s_cbranch_execz .LBB448_3421
; %bb.3418:                             ;   in Loop: Header=BB448_2342 Depth=1
	v_lshrrev_b32_e32 v10, 3, v9
	v_cmp_gt_u32_e64 s0, 8, v9
	v_dual_mov_b32 v9, v7 :: v_dual_mov_b32 v8, v6
	s_delay_alu instid0(VALU_DEP_2)
	s_and_saveexec_b32 s17, s0
; %bb.3419:                             ;   in Loop: Header=BB448_2342 Depth=1
	v_and_b32_e32 v8, 7, v6
	s_delay_alu instid0(VALU_DEP_1) | instskip(NEXT) | instid1(VALU_DEP_1)
	v_clz_i32_u32_e32 v8, v8
	v_min_u32_e32 v10, 32, v8
	s_delay_alu instid0(VALU_DEP_1) | instskip(SKIP_1) | instid1(VALU_DEP_2)
	v_subrev_nc_u32_e32 v8, 28, v10
	v_sub_nc_u32_e32 v10, 29, v10
	v_lshlrev_b64 v[8:9], v8, v[6:7]
; %bb.3420:                             ;   in Loop: Header=BB448_2342 Depth=1
	s_or_b32 exec_lo, exec_lo, s17
	s_delay_alu instid0(VALU_DEP_1) | instskip(SKIP_2) | instid1(VALU_DEP_3)
	v_lshlrev_b32_e32 v8, 20, v8
	v_lshlrev_b32_e32 v9, 24, v6
	v_lshl_add_u32 v10, v10, 23, 0x3c000000
	v_and_b32_e32 v8, 0x700000, v8
	s_delay_alu instid0(VALU_DEP_3) | instskip(NEXT) | instid1(VALU_DEP_1)
	v_and_b32_e32 v9, 0x80000000, v9
	v_or3_b32 v8, v8, v9, v10
.LBB448_3421:                           ;   in Loop: Header=BB448_2342 Depth=1
	s_or_b32 exec_lo, exec_lo, s16
.LBB448_3422:                           ;   in Loop: Header=BB448_2342 Depth=1
	s_delay_alu instid0(SALU_CYCLE_1)
	s_or_b32 exec_lo, exec_lo, s15
.LBB448_3423:                           ;   in Loop: Header=BB448_2342 Depth=1
	s_delay_alu instid0(SALU_CYCLE_1) | instskip(NEXT) | instid1(VALU_DEP_1)
	s_or_b32 exec_lo, exec_lo, s13
	v_mul_f32_e32 v8, v118, v8
                                        ; implicit-def: $vgpr10
	s_delay_alu instid0(VALU_DEP_1) | instskip(NEXT) | instid1(VALU_DEP_1)
	v_and_b32_e32 v9, 0x7f800000, v8
	v_cmp_ne_u32_e64 s0, 0x7f800000, v9
	s_delay_alu instid0(VALU_DEP_1) | instskip(NEXT) | instid1(SALU_CYCLE_1)
	s_and_saveexec_b32 s13, s0
	s_xor_b32 s0, exec_lo, s13
; %bb.3424:                             ;   in Loop: Header=BB448_2342 Depth=1
	v_bfe_u32 v9, v8, 16, 1
	s_delay_alu instid0(VALU_DEP_1)
	v_add3_u32 v10, v8, v9, 0x7fff
                                        ; implicit-def: $vgpr8
; %bb.3425:                             ;   in Loop: Header=BB448_2342 Depth=1
	s_and_not1_saveexec_b32 s13, s0
; %bb.3426:                             ;   in Loop: Header=BB448_2342 Depth=1
	v_and_b32_e32 v9, 0xffff, v8
	v_or_b32_e32 v10, 0x10000, v8
	s_delay_alu instid0(VALU_DEP_2) | instskip(NEXT) | instid1(VALU_DEP_1)
	v_cmp_eq_u32_e64 s0, 0, v9
	v_cndmask_b32_e64 v10, v10, v8, s0
; %bb.3427:                             ;   in Loop: Header=BB448_2342 Depth=1
	s_or_b32 exec_lo, exec_lo, s13
	v_lshrrev_b16 v9, 8, v6
	v_mov_b32_e32 v8, 0
	s_mov_b32 s13, exec_lo
	s_delay_alu instid0(VALU_DEP_2)
	v_cmpx_ne_u16_e32 0, v9
	s_cbranch_execz .LBB448_3435
; %bb.3428:                             ;   in Loop: Header=BB448_2342 Depth=1
	v_bfrev_b32_e32 v8, 1
	s_mov_b32 s15, exec_lo
	v_cmpx_ne_u16_e32 0x80, v9
	s_cbranch_execz .LBB448_3434
; %bb.3429:                             ;   in Loop: Header=BB448_2342 Depth=1
	v_and_b32_e32 v11, 0xffff, v9
	v_mov_b32_e32 v8, 0x7f800001
	s_mov_b32 s16, exec_lo
	s_delay_alu instid0(VALU_DEP_2) | instskip(NEXT) | instid1(VALU_DEP_1)
	v_and_b32_e32 v9, 0x7f, v11
	v_cmpx_ne_u32_e32 0x7f, v9
	s_cbranch_execz .LBB448_3433
; %bb.3430:                             ;   in Loop: Header=BB448_2342 Depth=1
	v_and_b32_e32 v12, 7, v11
	v_lshrrev_b32_e32 v11, 3, v9
	v_cmp_gt_u32_e64 s0, 8, v9
	s_delay_alu instid0(VALU_DEP_3) | instskip(NEXT) | instid1(VALU_DEP_2)
	v_dual_mov_b32 v8, v12 :: v_dual_mov_b32 v9, v13
	s_and_saveexec_b32 s17, s0
; %bb.3431:                             ;   in Loop: Header=BB448_2342 Depth=1
	v_clz_i32_u32_e32 v8, v12
	s_delay_alu instid0(VALU_DEP_1) | instskip(NEXT) | instid1(VALU_DEP_1)
	v_min_u32_e32 v11, 32, v8
	v_subrev_nc_u32_e32 v8, 28, v11
	v_sub_nc_u32_e32 v11, 29, v11
	s_delay_alu instid0(VALU_DEP_2) | instskip(NEXT) | instid1(VALU_DEP_1)
	v_lshlrev_b64 v[8:9], v8, v[12:13]
	v_and_b32_e32 v8, 7, v8
; %bb.3432:                             ;   in Loop: Header=BB448_2342 Depth=1
	s_or_b32 exec_lo, exec_lo, s17
	v_lshlrev_b32_e32 v9, 16, v6
	s_delay_alu instid0(VALU_DEP_2) | instskip(SKIP_1) | instid1(VALU_DEP_3)
	v_lshlrev_b32_e32 v8, 20, v8
	v_lshl_add_u32 v11, v11, 23, 0x3c000000
	v_and_b32_e32 v9, 0x80000000, v9
	s_delay_alu instid0(VALU_DEP_1)
	v_or3_b32 v8, v8, v9, v11
.LBB448_3433:                           ;   in Loop: Header=BB448_2342 Depth=1
	s_or_b32 exec_lo, exec_lo, s16
.LBB448_3434:                           ;   in Loop: Header=BB448_2342 Depth=1
	s_delay_alu instid0(SALU_CYCLE_1)
	s_or_b32 exec_lo, exec_lo, s15
.LBB448_3435:                           ;   in Loop: Header=BB448_2342 Depth=1
	s_delay_alu instid0(SALU_CYCLE_1) | instskip(NEXT) | instid1(VALU_DEP_1)
	s_or_b32 exec_lo, exec_lo, s13
	v_mul_f32_e32 v8, v118, v8
                                        ; implicit-def: $vgpr11
	s_delay_alu instid0(VALU_DEP_1) | instskip(NEXT) | instid1(VALU_DEP_1)
	v_and_b32_e32 v9, 0x7f800000, v8
	v_cmp_ne_u32_e64 s0, 0x7f800000, v9
	s_delay_alu instid0(VALU_DEP_1) | instskip(NEXT) | instid1(SALU_CYCLE_1)
	s_and_saveexec_b32 s13, s0
	s_xor_b32 s0, exec_lo, s13
; %bb.3436:                             ;   in Loop: Header=BB448_2342 Depth=1
	v_bfe_u32 v9, v8, 16, 1
	s_delay_alu instid0(VALU_DEP_1)
	v_add3_u32 v11, v8, v9, 0x7fff
                                        ; implicit-def: $vgpr8
; %bb.3437:                             ;   in Loop: Header=BB448_2342 Depth=1
	s_and_not1_saveexec_b32 s13, s0
; %bb.3438:                             ;   in Loop: Header=BB448_2342 Depth=1
	v_and_b32_e32 v9, 0xffff, v8
	v_or_b32_e32 v11, 0x10000, v8
	s_delay_alu instid0(VALU_DEP_2) | instskip(NEXT) | instid1(VALU_DEP_1)
	v_cmp_eq_u32_e64 s0, 0, v9
	v_cndmask_b32_e64 v11, v11, v8, s0
; %bb.3439:                             ;   in Loop: Header=BB448_2342 Depth=1
	s_or_b32 exec_lo, exec_lo, s13
	v_lshrrev_b32_e32 v14, 16, v6
	s_mov_b32 s13, exec_lo
	s_delay_alu instid0(VALU_DEP_1) | instskip(NEXT) | instid1(VALU_DEP_1)
	v_dual_mov_b32 v8, 0 :: v_dual_and_b32 v9, 0xff, v14
	v_cmpx_ne_u16_e32 0, v9
	s_cbranch_execz .LBB448_3447
; %bb.3440:                             ;   in Loop: Header=BB448_2342 Depth=1
	v_bfrev_b32_e32 v8, 1
	s_mov_b32 s15, exec_lo
	v_cmpx_ne_u16_e32 0x80, v9
	s_cbranch_execz .LBB448_3446
; %bb.3441:                             ;   in Loop: Header=BB448_2342 Depth=1
	v_bfe_u32 v9, v6, 16, 7
	v_mov_b32_e32 v8, 0x7f800001
	s_mov_b32 s16, exec_lo
	s_delay_alu instid0(VALU_DEP_2)
	v_cmpx_ne_u32_e32 0x7f, v9
	s_cbranch_execz .LBB448_3445
; %bb.3442:                             ;   in Loop: Header=BB448_2342 Depth=1
	v_and_b32_e32 v12, 7, v14
	v_lshrrev_b32_e32 v15, 3, v9
	v_cmp_gt_u32_e64 s0, 8, v9
	s_delay_alu instid0(VALU_DEP_3) | instskip(NEXT) | instid1(VALU_DEP_2)
	v_dual_mov_b32 v8, v12 :: v_dual_mov_b32 v9, v13
	s_and_saveexec_b32 s17, s0
; %bb.3443:                             ;   in Loop: Header=BB448_2342 Depth=1
	v_clz_i32_u32_e32 v8, v12
	s_delay_alu instid0(VALU_DEP_1) | instskip(NEXT) | instid1(VALU_DEP_1)
	v_min_u32_e32 v15, 32, v8
	v_subrev_nc_u32_e32 v8, 28, v15
	v_sub_nc_u32_e32 v15, 29, v15
	s_delay_alu instid0(VALU_DEP_2) | instskip(NEXT) | instid1(VALU_DEP_1)
	v_lshlrev_b64 v[8:9], v8, v[12:13]
	v_and_b32_e32 v8, 7, v8
; %bb.3444:                             ;   in Loop: Header=BB448_2342 Depth=1
	s_or_b32 exec_lo, exec_lo, s17
	v_lshlrev_b32_e32 v9, 24, v14
	s_delay_alu instid0(VALU_DEP_2) | instskip(SKIP_1) | instid1(VALU_DEP_3)
	v_lshlrev_b32_e32 v8, 20, v8
	v_lshl_add_u32 v12, v15, 23, 0x3c000000
	v_and_b32_e32 v9, 0x80000000, v9
	s_delay_alu instid0(VALU_DEP_1)
	v_or3_b32 v8, v8, v9, v12
.LBB448_3445:                           ;   in Loop: Header=BB448_2342 Depth=1
	s_or_b32 exec_lo, exec_lo, s16
.LBB448_3446:                           ;   in Loop: Header=BB448_2342 Depth=1
	s_delay_alu instid0(SALU_CYCLE_1)
	s_or_b32 exec_lo, exec_lo, s15
.LBB448_3447:                           ;   in Loop: Header=BB448_2342 Depth=1
	s_delay_alu instid0(SALU_CYCLE_1) | instskip(NEXT) | instid1(VALU_DEP_1)
	s_or_b32 exec_lo, exec_lo, s13
	v_mul_f32_e32 v8, v118, v8
                                        ; implicit-def: $vgpr14
	s_delay_alu instid0(VALU_DEP_1) | instskip(NEXT) | instid1(VALU_DEP_1)
	v_and_b32_e32 v9, 0x7f800000, v8
	v_cmp_ne_u32_e64 s0, 0x7f800000, v9
	s_delay_alu instid0(VALU_DEP_1) | instskip(NEXT) | instid1(SALU_CYCLE_1)
	s_and_saveexec_b32 s13, s0
	s_xor_b32 s0, exec_lo, s13
; %bb.3448:                             ;   in Loop: Header=BB448_2342 Depth=1
	v_bfe_u32 v9, v8, 16, 1
	s_delay_alu instid0(VALU_DEP_1)
	v_add3_u32 v14, v8, v9, 0x7fff
                                        ; implicit-def: $vgpr8
; %bb.3449:                             ;   in Loop: Header=BB448_2342 Depth=1
	s_and_not1_saveexec_b32 s13, s0
; %bb.3450:                             ;   in Loop: Header=BB448_2342 Depth=1
	v_and_b32_e32 v9, 0xffff, v8
	v_or_b32_e32 v12, 0x10000, v8
	s_delay_alu instid0(VALU_DEP_2) | instskip(NEXT) | instid1(VALU_DEP_1)
	v_cmp_eq_u32_e64 s0, 0, v9
	v_cndmask_b32_e64 v14, v12, v8, s0
; %bb.3451:                             ;   in Loop: Header=BB448_2342 Depth=1
	s_or_b32 exec_lo, exec_lo, s13
	v_mov_b32_e32 v8, 0
	s_mov_b32 s13, exec_lo
	v_cmpx_lt_u32_e32 0xffffff, v6
	s_cbranch_execz .LBB448_3459
; %bb.3452:                             ;   in Loop: Header=BB448_2342 Depth=1
	v_lshrrev_b32_e32 v15, 24, v6
	v_bfrev_b32_e32 v8, 1
	s_mov_b32 s15, exec_lo
	s_delay_alu instid0(VALU_DEP_2)
	v_cmpx_ne_u32_e32 0x80, v15
	s_cbranch_execz .LBB448_3458
; %bb.3453:                             ;   in Loop: Header=BB448_2342 Depth=1
	v_bfe_u32 v9, v6, 24, 7
	v_mov_b32_e32 v8, 0x7f800001
	s_mov_b32 s16, exec_lo
	s_delay_alu instid0(VALU_DEP_2)
	v_cmpx_ne_u32_e32 0x7f, v9
	s_cbranch_execz .LBB448_3457
; %bb.3454:                             ;   in Loop: Header=BB448_2342 Depth=1
	v_and_b32_e32 v12, 7, v15
	v_lshrrev_b32_e32 v16, 3, v9
	v_cmp_gt_u32_e64 s0, 8, v9
	s_delay_alu instid0(VALU_DEP_3) | instskip(NEXT) | instid1(VALU_DEP_2)
	v_dual_mov_b32 v8, v12 :: v_dual_mov_b32 v9, v13
	s_and_saveexec_b32 s17, s0
; %bb.3455:                             ;   in Loop: Header=BB448_2342 Depth=1
	v_clz_i32_u32_e32 v8, v12
	s_delay_alu instid0(VALU_DEP_1) | instskip(NEXT) | instid1(VALU_DEP_1)
	v_min_u32_e32 v16, 32, v8
	v_subrev_nc_u32_e32 v8, 28, v16
	v_sub_nc_u32_e32 v16, 29, v16
	s_delay_alu instid0(VALU_DEP_2) | instskip(NEXT) | instid1(VALU_DEP_1)
	v_lshlrev_b64 v[8:9], v8, v[12:13]
	v_and_b32_e32 v8, 7, v8
; %bb.3456:                             ;   in Loop: Header=BB448_2342 Depth=1
	s_or_b32 exec_lo, exec_lo, s17
	v_lshlrev_b32_e32 v9, 24, v15
	s_delay_alu instid0(VALU_DEP_2) | instskip(SKIP_1) | instid1(VALU_DEP_3)
	v_lshlrev_b32_e32 v8, 20, v8
	v_lshl_add_u32 v12, v16, 23, 0x3c000000
	v_and_b32_e32 v9, 0x80000000, v9
	s_delay_alu instid0(VALU_DEP_1)
	v_or3_b32 v8, v8, v9, v12
.LBB448_3457:                           ;   in Loop: Header=BB448_2342 Depth=1
	s_or_b32 exec_lo, exec_lo, s16
.LBB448_3458:                           ;   in Loop: Header=BB448_2342 Depth=1
	s_delay_alu instid0(SALU_CYCLE_1)
	s_or_b32 exec_lo, exec_lo, s15
.LBB448_3459:                           ;   in Loop: Header=BB448_2342 Depth=1
	s_delay_alu instid0(SALU_CYCLE_1) | instskip(NEXT) | instid1(VALU_DEP_1)
	s_or_b32 exec_lo, exec_lo, s13
	v_mul_f32_e32 v8, v118, v8
                                        ; implicit-def: $vgpr15
	s_delay_alu instid0(VALU_DEP_1) | instskip(NEXT) | instid1(VALU_DEP_1)
	v_and_b32_e32 v9, 0x7f800000, v8
	v_cmp_ne_u32_e64 s0, 0x7f800000, v9
	s_delay_alu instid0(VALU_DEP_1) | instskip(NEXT) | instid1(SALU_CYCLE_1)
	s_and_saveexec_b32 s13, s0
	s_xor_b32 s0, exec_lo, s13
; %bb.3460:                             ;   in Loop: Header=BB448_2342 Depth=1
	v_bfe_u32 v9, v8, 16, 1
	s_delay_alu instid0(VALU_DEP_1)
	v_add3_u32 v15, v8, v9, 0x7fff
                                        ; implicit-def: $vgpr8
; %bb.3461:                             ;   in Loop: Header=BB448_2342 Depth=1
	s_and_not1_saveexec_b32 s13, s0
; %bb.3462:                             ;   in Loop: Header=BB448_2342 Depth=1
	v_and_b32_e32 v9, 0xffff, v8
	v_or_b32_e32 v12, 0x10000, v8
	s_delay_alu instid0(VALU_DEP_2) | instskip(NEXT) | instid1(VALU_DEP_1)
	v_cmp_eq_u32_e64 s0, 0, v9
	v_cndmask_b32_e64 v15, v12, v8, s0
; %bb.3463:                             ;   in Loop: Header=BB448_2342 Depth=1
	s_or_b32 exec_lo, exec_lo, s13
	v_dual_mov_b32 v12, v7 :: v_dual_and_b32 v9, 0xff, v7
	v_mov_b32_e32 v8, 0
	s_mov_b32 s13, exec_lo
	s_delay_alu instid0(VALU_DEP_2)
	v_cmpx_ne_u16_e32 0, v9
	s_cbranch_execz .LBB448_3471
; %bb.3464:                             ;   in Loop: Header=BB448_2342 Depth=1
	v_bfrev_b32_e32 v8, 1
	s_mov_b32 s15, exec_lo
	v_cmpx_ne_u16_e32 0x80, v9
	s_cbranch_execz .LBB448_3470
; %bb.3465:                             ;   in Loop: Header=BB448_2342 Depth=1
	v_and_b32_e32 v9, 0x7f, v7
	v_mov_b32_e32 v8, 0x7f800001
	s_mov_b32 s16, exec_lo
	s_delay_alu instid0(VALU_DEP_2)
	v_cmpx_ne_u32_e32 0x7f, v9
	s_cbranch_execz .LBB448_3469
; %bb.3466:                             ;   in Loop: Header=BB448_2342 Depth=1
	v_lshrrev_b32_e32 v16, 3, v9
	v_cmp_gt_u32_e64 s0, 8, v9
	v_dual_mov_b32 v8, v12 :: v_dual_mov_b32 v9, v13
	s_delay_alu instid0(VALU_DEP_2)
	s_and_saveexec_b32 s17, s0
; %bb.3467:                             ;   in Loop: Header=BB448_2342 Depth=1
	v_and_b32_e32 v8, 7, v7
	s_delay_alu instid0(VALU_DEP_1) | instskip(NEXT) | instid1(VALU_DEP_1)
	v_clz_i32_u32_e32 v8, v8
	v_min_u32_e32 v16, 32, v8
	s_delay_alu instid0(VALU_DEP_1) | instskip(SKIP_1) | instid1(VALU_DEP_2)
	v_subrev_nc_u32_e32 v8, 28, v16
	v_sub_nc_u32_e32 v16, 29, v16
	v_lshlrev_b64 v[8:9], v8, v[12:13]
; %bb.3468:                             ;   in Loop: Header=BB448_2342 Depth=1
	s_or_b32 exec_lo, exec_lo, s17
	s_delay_alu instid0(VALU_DEP_1) | instskip(SKIP_2) | instid1(VALU_DEP_3)
	v_lshlrev_b32_e32 v8, 20, v8
	v_lshlrev_b32_e32 v9, 24, v12
	v_lshl_add_u32 v16, v16, 23, 0x3c000000
	v_and_b32_e32 v8, 0x700000, v8
	s_delay_alu instid0(VALU_DEP_3) | instskip(NEXT) | instid1(VALU_DEP_1)
	v_and_b32_e32 v9, 0x80000000, v9
	v_or3_b32 v8, v8, v9, v16
.LBB448_3469:                           ;   in Loop: Header=BB448_2342 Depth=1
	s_or_b32 exec_lo, exec_lo, s16
.LBB448_3470:                           ;   in Loop: Header=BB448_2342 Depth=1
	s_delay_alu instid0(SALU_CYCLE_1)
	s_or_b32 exec_lo, exec_lo, s15
.LBB448_3471:                           ;   in Loop: Header=BB448_2342 Depth=1
	s_delay_alu instid0(SALU_CYCLE_1) | instskip(NEXT) | instid1(VALU_DEP_1)
	s_or_b32 exec_lo, exec_lo, s13
	v_mul_f32_e32 v8, v118, v8
                                        ; implicit-def: $vgpr16
	s_delay_alu instid0(VALU_DEP_1) | instskip(NEXT) | instid1(VALU_DEP_1)
	v_and_b32_e32 v9, 0x7f800000, v8
	v_cmp_ne_u32_e64 s0, 0x7f800000, v9
	s_delay_alu instid0(VALU_DEP_1) | instskip(NEXT) | instid1(SALU_CYCLE_1)
	s_and_saveexec_b32 s13, s0
	s_xor_b32 s0, exec_lo, s13
; %bb.3472:                             ;   in Loop: Header=BB448_2342 Depth=1
	v_bfe_u32 v9, v8, 16, 1
	s_delay_alu instid0(VALU_DEP_1)
	v_add3_u32 v16, v8, v9, 0x7fff
                                        ; implicit-def: $vgpr8
; %bb.3473:                             ;   in Loop: Header=BB448_2342 Depth=1
	s_and_not1_saveexec_b32 s13, s0
; %bb.3474:                             ;   in Loop: Header=BB448_2342 Depth=1
	v_and_b32_e32 v9, 0xffff, v8
	v_or_b32_e32 v16, 0x10000, v8
	s_delay_alu instid0(VALU_DEP_2) | instskip(NEXT) | instid1(VALU_DEP_1)
	v_cmp_eq_u32_e64 s0, 0, v9
	v_cndmask_b32_e64 v16, v16, v8, s0
; %bb.3475:                             ;   in Loop: Header=BB448_2342 Depth=1
	s_or_b32 exec_lo, exec_lo, s13
	v_lshrrev_b16 v9, 8, v12
	v_mov_b32_e32 v8, 0
	s_mov_b32 s13, exec_lo
	s_delay_alu instid0(VALU_DEP_2)
	v_cmpx_ne_u16_e32 0, v9
	s_cbranch_execz .LBB448_3483
; %bb.3476:                             ;   in Loop: Header=BB448_2342 Depth=1
	v_bfrev_b32_e32 v8, 1
	s_mov_b32 s15, exec_lo
	v_cmpx_ne_u16_e32 0x80, v9
	s_cbranch_execz .LBB448_3482
; %bb.3477:                             ;   in Loop: Header=BB448_2342 Depth=1
	v_and_b32_e32 v9, 0xffff, v9
	v_mov_b32_e32 v8, 0x7f800001
	s_mov_b32 s16, exec_lo
	s_delay_alu instid0(VALU_DEP_2) | instskip(NEXT) | instid1(VALU_DEP_1)
	v_and_b32_e32 v19, 0x7f, v9
	v_cmpx_ne_u32_e32 0x7f, v19
	s_cbranch_execz .LBB448_3481
; %bb.3478:                             ;   in Loop: Header=BB448_2342 Depth=1
	v_dual_mov_b32 v9, v13 :: v_dual_and_b32 v8, 7, v9
	v_lshrrev_b32_e32 v18, 3, v19
	s_mov_b32 s17, exec_lo
	v_cmpx_gt_u32_e32 8, v19
; %bb.3479:                             ;   in Loop: Header=BB448_2342 Depth=1
	s_delay_alu instid0(VALU_DEP_3) | instskip(NEXT) | instid1(VALU_DEP_1)
	v_clz_i32_u32_e32 v18, v8
	v_min_u32_e32 v18, 32, v18
	s_delay_alu instid0(VALU_DEP_1) | instskip(SKIP_1) | instid1(VALU_DEP_2)
	v_subrev_nc_u32_e32 v19, 28, v18
	v_sub_nc_u32_e32 v18, 29, v18
	v_lshlrev_b64 v[8:9], v19, v[8:9]
	s_delay_alu instid0(VALU_DEP_1)
	v_and_b32_e32 v8, 7, v8
; %bb.3480:                             ;   in Loop: Header=BB448_2342 Depth=1
	s_or_b32 exec_lo, exec_lo, s17
	v_lshlrev_b32_e32 v9, 16, v12
	s_delay_alu instid0(VALU_DEP_2) | instskip(SKIP_1) | instid1(VALU_DEP_3)
	v_lshlrev_b32_e32 v8, 20, v8
	v_lshl_add_u32 v12, v18, 23, 0x3c000000
	v_and_b32_e32 v9, 0x80000000, v9
	s_delay_alu instid0(VALU_DEP_1)
	v_or3_b32 v8, v8, v9, v12
.LBB448_3481:                           ;   in Loop: Header=BB448_2342 Depth=1
	s_or_b32 exec_lo, exec_lo, s16
.LBB448_3482:                           ;   in Loop: Header=BB448_2342 Depth=1
	s_delay_alu instid0(SALU_CYCLE_1)
	s_or_b32 exec_lo, exec_lo, s15
.LBB448_3483:                           ;   in Loop: Header=BB448_2342 Depth=1
	s_delay_alu instid0(SALU_CYCLE_1) | instskip(NEXT) | instid1(VALU_DEP_1)
	s_or_b32 exec_lo, exec_lo, s13
	v_mul_f32_e32 v8, v118, v8
                                        ; implicit-def: $vgpr18
	s_delay_alu instid0(VALU_DEP_1) | instskip(NEXT) | instid1(VALU_DEP_1)
	v_and_b32_e32 v9, 0x7f800000, v8
	v_cmp_ne_u32_e64 s0, 0x7f800000, v9
	s_delay_alu instid0(VALU_DEP_1) | instskip(NEXT) | instid1(SALU_CYCLE_1)
	s_and_saveexec_b32 s13, s0
	s_xor_b32 s0, exec_lo, s13
; %bb.3484:                             ;   in Loop: Header=BB448_2342 Depth=1
	v_bfe_u32 v9, v8, 16, 1
	s_delay_alu instid0(VALU_DEP_1)
	v_add3_u32 v18, v8, v9, 0x7fff
                                        ; implicit-def: $vgpr8
; %bb.3485:                             ;   in Loop: Header=BB448_2342 Depth=1
	s_and_not1_saveexec_b32 s13, s0
; %bb.3486:                             ;   in Loop: Header=BB448_2342 Depth=1
	v_and_b32_e32 v9, 0xffff, v8
	v_or_b32_e32 v12, 0x10000, v8
	s_delay_alu instid0(VALU_DEP_2) | instskip(NEXT) | instid1(VALU_DEP_1)
	v_cmp_eq_u32_e64 s0, 0, v9
	v_cndmask_b32_e64 v18, v12, v8, s0
; %bb.3487:                             ;   in Loop: Header=BB448_2342 Depth=1
	s_or_b32 exec_lo, exec_lo, s13
	v_lshrrev_b32_e32 v19, 16, v7
	s_mov_b32 s13, exec_lo
	s_delay_alu instid0(VALU_DEP_1) | instskip(NEXT) | instid1(VALU_DEP_1)
	v_dual_mov_b32 v8, 0 :: v_dual_and_b32 v9, 0xff, v19
	v_cmpx_ne_u16_e32 0, v9
	s_cbranch_execz .LBB448_3495
; %bb.3488:                             ;   in Loop: Header=BB448_2342 Depth=1
	v_bfrev_b32_e32 v8, 1
	s_mov_b32 s15, exec_lo
	v_cmpx_ne_u16_e32 0x80, v9
	s_cbranch_execz .LBB448_3494
; %bb.3489:                             ;   in Loop: Header=BB448_2342 Depth=1
	v_bfe_u32 v9, v7, 16, 7
	v_mov_b32_e32 v8, 0x7f800001
	s_mov_b32 s16, exec_lo
	s_delay_alu instid0(VALU_DEP_2)
	v_cmpx_ne_u32_e32 0x7f, v9
	s_cbranch_execz .LBB448_3493
; %bb.3490:                             ;   in Loop: Header=BB448_2342 Depth=1
	v_and_b32_e32 v12, 7, v19
	v_lshrrev_b32_e32 v20, 3, v9
	v_cmp_gt_u32_e64 s0, 8, v9
	s_delay_alu instid0(VALU_DEP_3) | instskip(NEXT) | instid1(VALU_DEP_2)
	v_dual_mov_b32 v8, v12 :: v_dual_mov_b32 v9, v13
	s_and_saveexec_b32 s17, s0
; %bb.3491:                             ;   in Loop: Header=BB448_2342 Depth=1
	v_clz_i32_u32_e32 v8, v12
	s_delay_alu instid0(VALU_DEP_1) | instskip(NEXT) | instid1(VALU_DEP_1)
	v_min_u32_e32 v20, 32, v8
	v_subrev_nc_u32_e32 v8, 28, v20
	v_sub_nc_u32_e32 v20, 29, v20
	s_delay_alu instid0(VALU_DEP_2) | instskip(NEXT) | instid1(VALU_DEP_1)
	v_lshlrev_b64 v[8:9], v8, v[12:13]
	v_and_b32_e32 v8, 7, v8
; %bb.3492:                             ;   in Loop: Header=BB448_2342 Depth=1
	s_or_b32 exec_lo, exec_lo, s17
	v_lshlrev_b32_e32 v9, 24, v19
	s_delay_alu instid0(VALU_DEP_2) | instskip(SKIP_1) | instid1(VALU_DEP_3)
	v_lshlrev_b32_e32 v8, 20, v8
	v_lshl_add_u32 v12, v20, 23, 0x3c000000
	v_and_b32_e32 v9, 0x80000000, v9
	s_delay_alu instid0(VALU_DEP_1)
	v_or3_b32 v8, v8, v9, v12
.LBB448_3493:                           ;   in Loop: Header=BB448_2342 Depth=1
	s_or_b32 exec_lo, exec_lo, s16
.LBB448_3494:                           ;   in Loop: Header=BB448_2342 Depth=1
	s_delay_alu instid0(SALU_CYCLE_1)
	s_or_b32 exec_lo, exec_lo, s15
.LBB448_3495:                           ;   in Loop: Header=BB448_2342 Depth=1
	s_delay_alu instid0(SALU_CYCLE_1) | instskip(NEXT) | instid1(VALU_DEP_1)
	s_or_b32 exec_lo, exec_lo, s13
	v_mul_f32_e32 v8, v118, v8
                                        ; implicit-def: $vgpr19
	s_delay_alu instid0(VALU_DEP_1) | instskip(NEXT) | instid1(VALU_DEP_1)
	v_and_b32_e32 v9, 0x7f800000, v8
	v_cmp_ne_u32_e64 s0, 0x7f800000, v9
	s_delay_alu instid0(VALU_DEP_1) | instskip(NEXT) | instid1(SALU_CYCLE_1)
	s_and_saveexec_b32 s13, s0
	s_xor_b32 s0, exec_lo, s13
; %bb.3496:                             ;   in Loop: Header=BB448_2342 Depth=1
	v_bfe_u32 v9, v8, 16, 1
	s_delay_alu instid0(VALU_DEP_1)
	v_add3_u32 v19, v8, v9, 0x7fff
                                        ; implicit-def: $vgpr8
; %bb.3497:                             ;   in Loop: Header=BB448_2342 Depth=1
	s_and_not1_saveexec_b32 s13, s0
; %bb.3498:                             ;   in Loop: Header=BB448_2342 Depth=1
	v_and_b32_e32 v9, 0xffff, v8
	v_or_b32_e32 v12, 0x10000, v8
	s_delay_alu instid0(VALU_DEP_2) | instskip(NEXT) | instid1(VALU_DEP_1)
	v_cmp_eq_u32_e64 s0, 0, v9
	v_cndmask_b32_e64 v19, v12, v8, s0
; %bb.3499:                             ;   in Loop: Header=BB448_2342 Depth=1
	s_or_b32 exec_lo, exec_lo, s13
	v_cmp_lt_u64_e64 s0, s[8:9], v[6:7]
	v_mov_b32_e32 v6, 0
	s_delay_alu instid0(VALU_DEP_2)
	s_and_saveexec_b32 s13, s0
	s_cbranch_execz .LBB448_3507
; %bb.3500:                             ;   in Loop: Header=BB448_2342 Depth=1
	v_lshrrev_b32_e32 v8, 24, v7
	v_bfrev_b32_e32 v6, 1
	s_mov_b32 s15, exec_lo
	s_delay_alu instid0(VALU_DEP_2)
	v_cmpx_ne_u32_e32 0x80, v8
	s_cbranch_execz .LBB448_3506
; %bb.3501:                             ;   in Loop: Header=BB448_2342 Depth=1
	v_bfe_u32 v7, v7, 24, 7
	v_mov_b32_e32 v6, 0x7f800001
	s_mov_b32 s16, exec_lo
	s_delay_alu instid0(VALU_DEP_2)
	v_cmpx_ne_u32_e32 0x7f, v7
	s_cbranch_execz .LBB448_3505
; %bb.3502:                             ;   in Loop: Header=BB448_2342 Depth=1
	v_and_b32_e32 v12, 7, v8
	v_lshrrev_b32_e32 v9, 3, v7
	v_cmp_gt_u32_e64 s0, 8, v7
	s_delay_alu instid0(VALU_DEP_3) | instskip(NEXT) | instid1(VALU_DEP_2)
	v_dual_mov_b32 v6, v12 :: v_dual_mov_b32 v7, v13
	s_and_saveexec_b32 s17, s0
; %bb.3503:                             ;   in Loop: Header=BB448_2342 Depth=1
	v_clz_i32_u32_e32 v6, v12
	s_delay_alu instid0(VALU_DEP_1) | instskip(NEXT) | instid1(VALU_DEP_1)
	v_min_u32_e32 v9, 32, v6
	v_subrev_nc_u32_e32 v6, 28, v9
	v_sub_nc_u32_e32 v9, 29, v9
	s_delay_alu instid0(VALU_DEP_2) | instskip(NEXT) | instid1(VALU_DEP_1)
	v_lshlrev_b64 v[6:7], v6, v[12:13]
	v_and_b32_e32 v6, 7, v6
; %bb.3504:                             ;   in Loop: Header=BB448_2342 Depth=1
	s_or_b32 exec_lo, exec_lo, s17
	v_lshlrev_b32_e32 v7, 24, v8
	s_delay_alu instid0(VALU_DEP_2) | instskip(SKIP_1) | instid1(VALU_DEP_3)
	v_lshlrev_b32_e32 v6, 20, v6
	v_lshl_add_u32 v8, v9, 23, 0x3c000000
	v_and_b32_e32 v7, 0x80000000, v7
	s_delay_alu instid0(VALU_DEP_1)
	v_or3_b32 v6, v6, v7, v8
.LBB448_3505:                           ;   in Loop: Header=BB448_2342 Depth=1
	s_or_b32 exec_lo, exec_lo, s16
.LBB448_3506:                           ;   in Loop: Header=BB448_2342 Depth=1
	s_delay_alu instid0(SALU_CYCLE_1)
	s_or_b32 exec_lo, exec_lo, s15
.LBB448_3507:                           ;   in Loop: Header=BB448_2342 Depth=1
	s_delay_alu instid0(SALU_CYCLE_1) | instskip(NEXT) | instid1(VALU_DEP_1)
	s_or_b32 exec_lo, exec_lo, s13
	v_mul_f32_e32 v7, v118, v6
	s_delay_alu instid0(VALU_DEP_1) | instskip(NEXT) | instid1(VALU_DEP_1)
	v_and_b32_e32 v6, 0x7f800000, v7
	v_cmp_ne_u32_e64 s0, 0x7f800000, v6
                                        ; implicit-def: $vgpr6
	s_delay_alu instid0(VALU_DEP_1) | instskip(NEXT) | instid1(SALU_CYCLE_1)
	s_and_saveexec_b32 s13, s0
	s_xor_b32 s0, exec_lo, s13
; %bb.3508:                             ;   in Loop: Header=BB448_2342 Depth=1
	v_bfe_u32 v6, v7, 16, 1
	s_delay_alu instid0(VALU_DEP_1)
	v_add3_u32 v6, v7, v6, 0x7fff
                                        ; implicit-def: $vgpr7
; %bb.3509:                             ;   in Loop: Header=BB448_2342 Depth=1
	s_and_not1_saveexec_b32 s13, s0
; %bb.3510:                             ;   in Loop: Header=BB448_2342 Depth=1
	v_and_b32_e32 v6, 0xffff, v7
	v_or_b32_e32 v8, 0x10000, v7
	s_delay_alu instid0(VALU_DEP_2) | instskip(NEXT) | instid1(VALU_DEP_1)
	v_cmp_eq_u32_e64 s0, 0, v6
	v_cndmask_b32_e64 v6, v8, v7, s0
; %bb.3511:                             ;   in Loop: Header=BB448_2342 Depth=1
	s_or_b32 exec_lo, exec_lo, s13
	v_lshrrev_b32_e32 v8, 16, v18
	v_lshrrev_b32_e32 v9, 16, v16
	v_lshrrev_b32_e32 v12, 16, v15
	v_lshrrev_b32_e32 v14, 16, v14
	v_lshrrev_b32_e32 v11, 16, v11
	v_lshrrev_b32_e32 v10, 16, v10
	v_lshrrev_b32_e32 v7, 16, v19
	v_lshrrev_b32_e32 v6, 16, v6
	s_and_saveexec_b32 s13, vcc_lo
	s_cbranch_execz .LBB448_3513
; %bb.3512:                             ;   in Loop: Header=BB448_2342 Depth=1
	v_cmp_lt_i32_e64 s0, v102, v36
	s_delay_alu instid0(VALU_DEP_1) | instskip(SKIP_1) | instid1(VALU_DEP_1)
	v_cndmask_b32_e64 v10, 0, v10, s0
	v_cmp_lt_i32_e64 s0, v133, v36
	v_cndmask_b32_e64 v11, 0, v11, s0
	v_cmp_lt_i32_e64 s0, v132, v36
	s_delay_alu instid0(VALU_DEP_1) | instskip(SKIP_1) | instid1(VALU_DEP_1)
	v_cndmask_b32_e64 v14, 0, v14, s0
	v_cmp_lt_i32_e64 s0, v131, v36
	v_cndmask_b32_e64 v12, 0, v12, s0
	;; [unrolled: 5-line block ×4, first 2 shown]
.LBB448_3513:                           ;   in Loop: Header=BB448_2342 Depth=1
	s_or_b32 exec_lo, exec_lo, s13
	v_lshlrev_b32_e32 v10, 16, v10
                                        ; implicit-def: $vgpr105
	s_delay_alu instid0(VALU_DEP_1) | instskip(NEXT) | instid1(VALU_DEP_1)
	v_mul_f32_e32 v10, v134, v10
	v_and_b32_e32 v15, 0x7f800000, v10
	s_delay_alu instid0(VALU_DEP_1) | instskip(NEXT) | instid1(VALU_DEP_1)
	v_cmp_ne_u32_e64 s0, 0x7f800000, v15
	s_and_saveexec_b32 s13, s0
	s_delay_alu instid0(SALU_CYCLE_1)
	s_xor_b32 s0, exec_lo, s13
; %bb.3514:                             ;   in Loop: Header=BB448_2342 Depth=1
	v_bfe_u32 v15, v10, 16, 1
	s_delay_alu instid0(VALU_DEP_1)
	v_add3_u32 v105, v10, v15, 0x7fff
                                        ; implicit-def: $vgpr10
; %bb.3515:                             ;   in Loop: Header=BB448_2342 Depth=1
	s_and_not1_saveexec_b32 s13, s0
; %bb.3516:                             ;   in Loop: Header=BB448_2342 Depth=1
	v_and_b32_e32 v15, 0xffff, v10
	v_or_b32_e32 v16, 0x10000, v10
	s_delay_alu instid0(VALU_DEP_2) | instskip(NEXT) | instid1(VALU_DEP_1)
	v_cmp_eq_u32_e64 s0, 0, v15
	v_cndmask_b32_e64 v105, v16, v10, s0
; %bb.3517:                             ;   in Loop: Header=BB448_2342 Depth=1
	s_or_b32 exec_lo, exec_lo, s13
	v_lshlrev_b32_e32 v10, 16, v11
                                        ; implicit-def: $vgpr106
	s_delay_alu instid0(VALU_DEP_1) | instskip(NEXT) | instid1(VALU_DEP_1)
	v_mul_f32_e32 v10, v135, v10
	v_and_b32_e32 v11, 0x7f800000, v10
	s_delay_alu instid0(VALU_DEP_1) | instskip(NEXT) | instid1(VALU_DEP_1)
	v_cmp_ne_u32_e64 s0, 0x7f800000, v11
	s_and_saveexec_b32 s13, s0
	s_delay_alu instid0(SALU_CYCLE_1)
	s_xor_b32 s0, exec_lo, s13
; %bb.3518:                             ;   in Loop: Header=BB448_2342 Depth=1
	v_bfe_u32 v11, v10, 16, 1
	s_delay_alu instid0(VALU_DEP_1)
	v_add3_u32 v106, v10, v11, 0x7fff
                                        ; implicit-def: $vgpr10
; %bb.3519:                             ;   in Loop: Header=BB448_2342 Depth=1
	s_and_not1_saveexec_b32 s13, s0
; %bb.3520:                             ;   in Loop: Header=BB448_2342 Depth=1
	v_and_b32_e32 v11, 0xffff, v10
	v_or_b32_e32 v15, 0x10000, v10
	s_delay_alu instid0(VALU_DEP_2) | instskip(NEXT) | instid1(VALU_DEP_1)
	v_cmp_eq_u32_e64 s0, 0, v11
	v_cndmask_b32_e64 v106, v15, v10, s0
; %bb.3521:                             ;   in Loop: Header=BB448_2342 Depth=1
	s_or_b32 exec_lo, exec_lo, s13
	v_lshlrev_b32_e32 v10, 16, v14
                                        ; implicit-def: $vgpr107
	s_delay_alu instid0(VALU_DEP_1) | instskip(NEXT) | instid1(VALU_DEP_1)
	v_mul_f32_e32 v10, v144, v10
	v_and_b32_e32 v11, 0x7f800000, v10
	s_delay_alu instid0(VALU_DEP_1) | instskip(NEXT) | instid1(VALU_DEP_1)
	v_cmp_ne_u32_e64 s0, 0x7f800000, v11
	s_and_saveexec_b32 s13, s0
	s_delay_alu instid0(SALU_CYCLE_1)
	s_xor_b32 s0, exec_lo, s13
; %bb.3522:                             ;   in Loop: Header=BB448_2342 Depth=1
	v_bfe_u32 v11, v10, 16, 1
	s_delay_alu instid0(VALU_DEP_1)
	v_add3_u32 v107, v10, v11, 0x7fff
                                        ; implicit-def: $vgpr10
; %bb.3523:                             ;   in Loop: Header=BB448_2342 Depth=1
	s_and_not1_saveexec_b32 s13, s0
; %bb.3524:                             ;   in Loop: Header=BB448_2342 Depth=1
	v_and_b32_e32 v11, 0xffff, v10
	v_or_b32_e32 v14, 0x10000, v10
	s_delay_alu instid0(VALU_DEP_2) | instskip(NEXT) | instid1(VALU_DEP_1)
	v_cmp_eq_u32_e64 s0, 0, v11
	v_cndmask_b32_e64 v107, v14, v10, s0
; %bb.3525:                             ;   in Loop: Header=BB448_2342 Depth=1
	s_or_b32 exec_lo, exec_lo, s13
	v_lshlrev_b32_e32 v10, 16, v12
                                        ; implicit-def: $vgpr108
	s_delay_alu instid0(VALU_DEP_1) | instskip(NEXT) | instid1(VALU_DEP_1)
	v_mul_f32_e32 v10, v145, v10
	v_and_b32_e32 v11, 0x7f800000, v10
	s_delay_alu instid0(VALU_DEP_1) | instskip(NEXT) | instid1(VALU_DEP_1)
	v_cmp_ne_u32_e64 s0, 0x7f800000, v11
	s_and_saveexec_b32 s13, s0
	s_delay_alu instid0(SALU_CYCLE_1)
	s_xor_b32 s0, exec_lo, s13
; %bb.3526:                             ;   in Loop: Header=BB448_2342 Depth=1
	v_bfe_u32 v11, v10, 16, 1
	s_delay_alu instid0(VALU_DEP_1)
	v_add3_u32 v108, v10, v11, 0x7fff
                                        ; implicit-def: $vgpr10
; %bb.3527:                             ;   in Loop: Header=BB448_2342 Depth=1
	s_and_not1_saveexec_b32 s13, s0
; %bb.3528:                             ;   in Loop: Header=BB448_2342 Depth=1
	v_and_b32_e32 v11, 0xffff, v10
	v_or_b32_e32 v12, 0x10000, v10
	s_delay_alu instid0(VALU_DEP_2) | instskip(NEXT) | instid1(VALU_DEP_1)
	v_cmp_eq_u32_e64 s0, 0, v11
	v_cndmask_b32_e64 v108, v12, v10, s0
; %bb.3529:                             ;   in Loop: Header=BB448_2342 Depth=1
	s_or_b32 exec_lo, exec_lo, s13
	v_lshlrev_b32_e32 v9, 16, v9
                                        ; implicit-def: $vgpr109
	s_delay_alu instid0(VALU_DEP_1) | instskip(NEXT) | instid1(VALU_DEP_1)
	v_mul_f32_e32 v9, v146, v9
	v_and_b32_e32 v10, 0x7f800000, v9
	s_delay_alu instid0(VALU_DEP_1) | instskip(NEXT) | instid1(VALU_DEP_1)
	v_cmp_ne_u32_e64 s0, 0x7f800000, v10
	s_and_saveexec_b32 s13, s0
	s_delay_alu instid0(SALU_CYCLE_1)
	s_xor_b32 s0, exec_lo, s13
; %bb.3530:                             ;   in Loop: Header=BB448_2342 Depth=1
	v_bfe_u32 v10, v9, 16, 1
	s_delay_alu instid0(VALU_DEP_1)
	v_add3_u32 v109, v9, v10, 0x7fff
                                        ; implicit-def: $vgpr9
; %bb.3531:                             ;   in Loop: Header=BB448_2342 Depth=1
	s_and_not1_saveexec_b32 s13, s0
; %bb.3532:                             ;   in Loop: Header=BB448_2342 Depth=1
	v_and_b32_e32 v10, 0xffff, v9
	v_or_b32_e32 v11, 0x10000, v9
	s_delay_alu instid0(VALU_DEP_2) | instskip(NEXT) | instid1(VALU_DEP_1)
	v_cmp_eq_u32_e64 s0, 0, v10
	v_cndmask_b32_e64 v109, v11, v9, s0
; %bb.3533:                             ;   in Loop: Header=BB448_2342 Depth=1
	s_or_b32 exec_lo, exec_lo, s13
	v_lshlrev_b32_e32 v8, 16, v8
                                        ; implicit-def: $vgpr110
	s_delay_alu instid0(VALU_DEP_1) | instskip(NEXT) | instid1(VALU_DEP_1)
	v_mul_f32_e32 v8, v147, v8
	v_and_b32_e32 v9, 0x7f800000, v8
	s_delay_alu instid0(VALU_DEP_1) | instskip(NEXT) | instid1(VALU_DEP_1)
	v_cmp_ne_u32_e64 s0, 0x7f800000, v9
	s_and_saveexec_b32 s13, s0
	s_delay_alu instid0(SALU_CYCLE_1)
	s_xor_b32 s0, exec_lo, s13
; %bb.3534:                             ;   in Loop: Header=BB448_2342 Depth=1
	v_bfe_u32 v9, v8, 16, 1
	s_delay_alu instid0(VALU_DEP_1)
	v_add3_u32 v110, v8, v9, 0x7fff
                                        ; implicit-def: $vgpr8
; %bb.3535:                             ;   in Loop: Header=BB448_2342 Depth=1
	s_and_not1_saveexec_b32 s13, s0
; %bb.3536:                             ;   in Loop: Header=BB448_2342 Depth=1
	v_and_b32_e32 v9, 0xffff, v8
	v_or_b32_e32 v10, 0x10000, v8
	s_delay_alu instid0(VALU_DEP_2) | instskip(NEXT) | instid1(VALU_DEP_1)
	v_cmp_eq_u32_e64 s0, 0, v9
	v_cndmask_b32_e64 v110, v10, v8, s0
; %bb.3537:                             ;   in Loop: Header=BB448_2342 Depth=1
	s_or_b32 exec_lo, exec_lo, s13
	v_lshlrev_b32_e32 v7, 16, v7
                                        ; implicit-def: $vgpr111
	s_delay_alu instid0(VALU_DEP_1) | instskip(NEXT) | instid1(VALU_DEP_1)
	v_mul_f32_e32 v7, v148, v7
	v_and_b32_e32 v8, 0x7f800000, v7
	s_delay_alu instid0(VALU_DEP_1) | instskip(NEXT) | instid1(VALU_DEP_1)
	v_cmp_ne_u32_e64 s0, 0x7f800000, v8
	s_and_saveexec_b32 s13, s0
	s_delay_alu instid0(SALU_CYCLE_1)
	s_xor_b32 s0, exec_lo, s13
; %bb.3538:                             ;   in Loop: Header=BB448_2342 Depth=1
	v_bfe_u32 v8, v7, 16, 1
	s_delay_alu instid0(VALU_DEP_1)
	v_add3_u32 v111, v7, v8, 0x7fff
                                        ; implicit-def: $vgpr7
; %bb.3539:                             ;   in Loop: Header=BB448_2342 Depth=1
	s_and_not1_saveexec_b32 s13, s0
; %bb.3540:                             ;   in Loop: Header=BB448_2342 Depth=1
	v_and_b32_e32 v8, 0xffff, v7
	v_or_b32_e32 v9, 0x10000, v7
	s_delay_alu instid0(VALU_DEP_2) | instskip(NEXT) | instid1(VALU_DEP_1)
	v_cmp_eq_u32_e64 s0, 0, v8
	v_cndmask_b32_e64 v111, v9, v7, s0
; %bb.3541:                             ;   in Loop: Header=BB448_2342 Depth=1
	s_or_b32 exec_lo, exec_lo, s13
	v_lshlrev_b32_e32 v6, 16, v6
                                        ; implicit-def: $vgpr120
	s_delay_alu instid0(VALU_DEP_1) | instskip(NEXT) | instid1(VALU_DEP_1)
	v_mul_f32_e32 v6, v149, v6
	v_and_b32_e32 v7, 0x7f800000, v6
	s_delay_alu instid0(VALU_DEP_1) | instskip(NEXT) | instid1(VALU_DEP_1)
	v_cmp_ne_u32_e64 s0, 0x7f800000, v7
	s_and_saveexec_b32 s13, s0
	s_delay_alu instid0(SALU_CYCLE_1)
	s_xor_b32 s0, exec_lo, s13
; %bb.3542:                             ;   in Loop: Header=BB448_2342 Depth=1
	v_bfe_u32 v7, v6, 16, 1
	s_delay_alu instid0(VALU_DEP_1)
	v_add3_u32 v120, v6, v7, 0x7fff
                                        ; implicit-def: $vgpr6
; %bb.3543:                             ;   in Loop: Header=BB448_2342 Depth=1
	s_and_not1_saveexec_b32 s13, s0
; %bb.3544:                             ;   in Loop: Header=BB448_2342 Depth=1
	v_and_b32_e32 v7, 0xffff, v6
	v_or_b32_e32 v8, 0x10000, v6
	s_delay_alu instid0(VALU_DEP_2) | instskip(NEXT) | instid1(VALU_DEP_1)
	v_cmp_eq_u32_e64 s0, 0, v7
	v_cndmask_b32_e64 v120, v8, v6, s0
; %bb.3545:                             ;   in Loop: Header=BB448_2342 Depth=1
	s_or_b32 exec_lo, exec_lo, s13
	flat_load_b64 v[6:7], v[2:3] offset:2304
	s_mov_b32 s13, exec_lo
	s_waitcnt vmcnt(0) lgkmcnt(0)
	v_dual_mov_b32 v8, 0 :: v_dual_and_b32 v9, 0xff, v6
	s_delay_alu instid0(VALU_DEP_1)
	v_cmpx_ne_u16_e32 0, v9
	s_cbranch_execz .LBB448_3553
; %bb.3546:                             ;   in Loop: Header=BB448_2342 Depth=1
	v_bfrev_b32_e32 v8, 1
	s_mov_b32 s15, exec_lo
	v_cmpx_ne_u16_e32 0x80, v9
	s_cbranch_execz .LBB448_3552
; %bb.3547:                             ;   in Loop: Header=BB448_2342 Depth=1
	v_and_b32_e32 v9, 0x7f, v6
	v_mov_b32_e32 v8, 0x7f800001
	s_mov_b32 s16, exec_lo
	s_delay_alu instid0(VALU_DEP_2)
	v_cmpx_ne_u32_e32 0x7f, v9
	s_cbranch_execz .LBB448_3551
; %bb.3548:                             ;   in Loop: Header=BB448_2342 Depth=1
	v_lshrrev_b32_e32 v10, 3, v9
	v_cmp_gt_u32_e64 s0, 8, v9
	v_dual_mov_b32 v9, v7 :: v_dual_mov_b32 v8, v6
	s_delay_alu instid0(VALU_DEP_2)
	s_and_saveexec_b32 s17, s0
; %bb.3549:                             ;   in Loop: Header=BB448_2342 Depth=1
	v_and_b32_e32 v8, 7, v6
	s_delay_alu instid0(VALU_DEP_1) | instskip(NEXT) | instid1(VALU_DEP_1)
	v_clz_i32_u32_e32 v8, v8
	v_min_u32_e32 v10, 32, v8
	s_delay_alu instid0(VALU_DEP_1) | instskip(SKIP_1) | instid1(VALU_DEP_2)
	v_subrev_nc_u32_e32 v8, 28, v10
	v_sub_nc_u32_e32 v10, 29, v10
	v_lshlrev_b64 v[8:9], v8, v[6:7]
; %bb.3550:                             ;   in Loop: Header=BB448_2342 Depth=1
	s_or_b32 exec_lo, exec_lo, s17
	s_delay_alu instid0(VALU_DEP_1) | instskip(SKIP_2) | instid1(VALU_DEP_3)
	v_lshlrev_b32_e32 v8, 20, v8
	v_lshlrev_b32_e32 v9, 24, v6
	v_lshl_add_u32 v10, v10, 23, 0x3c000000
	v_and_b32_e32 v8, 0x700000, v8
	s_delay_alu instid0(VALU_DEP_3) | instskip(NEXT) | instid1(VALU_DEP_1)
	v_and_b32_e32 v9, 0x80000000, v9
	v_or3_b32 v8, v8, v9, v10
.LBB448_3551:                           ;   in Loop: Header=BB448_2342 Depth=1
	s_or_b32 exec_lo, exec_lo, s16
.LBB448_3552:                           ;   in Loop: Header=BB448_2342 Depth=1
	s_delay_alu instid0(SALU_CYCLE_1)
	s_or_b32 exec_lo, exec_lo, s15
.LBB448_3553:                           ;   in Loop: Header=BB448_2342 Depth=1
	s_delay_alu instid0(SALU_CYCLE_1) | instskip(NEXT) | instid1(VALU_DEP_1)
	s_or_b32 exec_lo, exec_lo, s13
	v_mul_f32_e32 v8, v118, v8
                                        ; implicit-def: $vgpr10
	s_delay_alu instid0(VALU_DEP_1) | instskip(NEXT) | instid1(VALU_DEP_1)
	v_and_b32_e32 v9, 0x7f800000, v8
	v_cmp_ne_u32_e64 s0, 0x7f800000, v9
	s_delay_alu instid0(VALU_DEP_1) | instskip(NEXT) | instid1(SALU_CYCLE_1)
	s_and_saveexec_b32 s13, s0
	s_xor_b32 s0, exec_lo, s13
; %bb.3554:                             ;   in Loop: Header=BB448_2342 Depth=1
	v_bfe_u32 v9, v8, 16, 1
	s_delay_alu instid0(VALU_DEP_1)
	v_add3_u32 v10, v8, v9, 0x7fff
                                        ; implicit-def: $vgpr8
; %bb.3555:                             ;   in Loop: Header=BB448_2342 Depth=1
	s_and_not1_saveexec_b32 s13, s0
; %bb.3556:                             ;   in Loop: Header=BB448_2342 Depth=1
	v_and_b32_e32 v9, 0xffff, v8
	v_or_b32_e32 v10, 0x10000, v8
	s_delay_alu instid0(VALU_DEP_2) | instskip(NEXT) | instid1(VALU_DEP_1)
	v_cmp_eq_u32_e64 s0, 0, v9
	v_cndmask_b32_e64 v10, v10, v8, s0
; %bb.3557:                             ;   in Loop: Header=BB448_2342 Depth=1
	s_or_b32 exec_lo, exec_lo, s13
	v_lshrrev_b16 v9, 8, v6
	v_mov_b32_e32 v8, 0
	s_mov_b32 s13, exec_lo
	s_delay_alu instid0(VALU_DEP_2)
	v_cmpx_ne_u16_e32 0, v9
	s_cbranch_execz .LBB448_3565
; %bb.3558:                             ;   in Loop: Header=BB448_2342 Depth=1
	v_bfrev_b32_e32 v8, 1
	s_mov_b32 s15, exec_lo
	v_cmpx_ne_u16_e32 0x80, v9
	s_cbranch_execz .LBB448_3564
; %bb.3559:                             ;   in Loop: Header=BB448_2342 Depth=1
	v_and_b32_e32 v11, 0xffff, v9
	v_mov_b32_e32 v8, 0x7f800001
	s_mov_b32 s16, exec_lo
	s_delay_alu instid0(VALU_DEP_2) | instskip(NEXT) | instid1(VALU_DEP_1)
	v_and_b32_e32 v9, 0x7f, v11
	v_cmpx_ne_u32_e32 0x7f, v9
	s_cbranch_execz .LBB448_3563
; %bb.3560:                             ;   in Loop: Header=BB448_2342 Depth=1
	v_and_b32_e32 v12, 7, v11
	v_lshrrev_b32_e32 v11, 3, v9
	v_cmp_gt_u32_e64 s0, 8, v9
	s_delay_alu instid0(VALU_DEP_3) | instskip(NEXT) | instid1(VALU_DEP_2)
	v_dual_mov_b32 v8, v12 :: v_dual_mov_b32 v9, v13
	s_and_saveexec_b32 s17, s0
; %bb.3561:                             ;   in Loop: Header=BB448_2342 Depth=1
	v_clz_i32_u32_e32 v8, v12
	s_delay_alu instid0(VALU_DEP_1) | instskip(NEXT) | instid1(VALU_DEP_1)
	v_min_u32_e32 v11, 32, v8
	v_subrev_nc_u32_e32 v8, 28, v11
	v_sub_nc_u32_e32 v11, 29, v11
	s_delay_alu instid0(VALU_DEP_2) | instskip(NEXT) | instid1(VALU_DEP_1)
	v_lshlrev_b64 v[8:9], v8, v[12:13]
	v_and_b32_e32 v8, 7, v8
; %bb.3562:                             ;   in Loop: Header=BB448_2342 Depth=1
	s_or_b32 exec_lo, exec_lo, s17
	v_lshlrev_b32_e32 v9, 16, v6
	s_delay_alu instid0(VALU_DEP_2) | instskip(SKIP_1) | instid1(VALU_DEP_3)
	v_lshlrev_b32_e32 v8, 20, v8
	v_lshl_add_u32 v11, v11, 23, 0x3c000000
	v_and_b32_e32 v9, 0x80000000, v9
	s_delay_alu instid0(VALU_DEP_1)
	v_or3_b32 v8, v8, v9, v11
.LBB448_3563:                           ;   in Loop: Header=BB448_2342 Depth=1
	s_or_b32 exec_lo, exec_lo, s16
.LBB448_3564:                           ;   in Loop: Header=BB448_2342 Depth=1
	s_delay_alu instid0(SALU_CYCLE_1)
	s_or_b32 exec_lo, exec_lo, s15
.LBB448_3565:                           ;   in Loop: Header=BB448_2342 Depth=1
	s_delay_alu instid0(SALU_CYCLE_1) | instskip(NEXT) | instid1(VALU_DEP_1)
	s_or_b32 exec_lo, exec_lo, s13
	v_mul_f32_e32 v8, v118, v8
                                        ; implicit-def: $vgpr11
	s_delay_alu instid0(VALU_DEP_1) | instskip(NEXT) | instid1(VALU_DEP_1)
	v_and_b32_e32 v9, 0x7f800000, v8
	v_cmp_ne_u32_e64 s0, 0x7f800000, v9
	s_delay_alu instid0(VALU_DEP_1) | instskip(NEXT) | instid1(SALU_CYCLE_1)
	s_and_saveexec_b32 s13, s0
	s_xor_b32 s0, exec_lo, s13
; %bb.3566:                             ;   in Loop: Header=BB448_2342 Depth=1
	v_bfe_u32 v9, v8, 16, 1
	s_delay_alu instid0(VALU_DEP_1)
	v_add3_u32 v11, v8, v9, 0x7fff
                                        ; implicit-def: $vgpr8
; %bb.3567:                             ;   in Loop: Header=BB448_2342 Depth=1
	s_and_not1_saveexec_b32 s13, s0
; %bb.3568:                             ;   in Loop: Header=BB448_2342 Depth=1
	v_and_b32_e32 v9, 0xffff, v8
	v_or_b32_e32 v11, 0x10000, v8
	s_delay_alu instid0(VALU_DEP_2) | instskip(NEXT) | instid1(VALU_DEP_1)
	v_cmp_eq_u32_e64 s0, 0, v9
	v_cndmask_b32_e64 v11, v11, v8, s0
; %bb.3569:                             ;   in Loop: Header=BB448_2342 Depth=1
	s_or_b32 exec_lo, exec_lo, s13
	v_lshrrev_b32_e32 v14, 16, v6
	s_mov_b32 s13, exec_lo
	s_delay_alu instid0(VALU_DEP_1) | instskip(NEXT) | instid1(VALU_DEP_1)
	v_dual_mov_b32 v8, 0 :: v_dual_and_b32 v9, 0xff, v14
	v_cmpx_ne_u16_e32 0, v9
	s_cbranch_execz .LBB448_3577
; %bb.3570:                             ;   in Loop: Header=BB448_2342 Depth=1
	v_bfrev_b32_e32 v8, 1
	s_mov_b32 s15, exec_lo
	v_cmpx_ne_u16_e32 0x80, v9
	s_cbranch_execz .LBB448_3576
; %bb.3571:                             ;   in Loop: Header=BB448_2342 Depth=1
	v_bfe_u32 v9, v6, 16, 7
	v_mov_b32_e32 v8, 0x7f800001
	s_mov_b32 s16, exec_lo
	s_delay_alu instid0(VALU_DEP_2)
	v_cmpx_ne_u32_e32 0x7f, v9
	s_cbranch_execz .LBB448_3575
; %bb.3572:                             ;   in Loop: Header=BB448_2342 Depth=1
	v_and_b32_e32 v12, 7, v14
	v_lshrrev_b32_e32 v15, 3, v9
	v_cmp_gt_u32_e64 s0, 8, v9
	s_delay_alu instid0(VALU_DEP_3) | instskip(NEXT) | instid1(VALU_DEP_2)
	v_dual_mov_b32 v8, v12 :: v_dual_mov_b32 v9, v13
	s_and_saveexec_b32 s17, s0
; %bb.3573:                             ;   in Loop: Header=BB448_2342 Depth=1
	v_clz_i32_u32_e32 v8, v12
	s_delay_alu instid0(VALU_DEP_1) | instskip(NEXT) | instid1(VALU_DEP_1)
	v_min_u32_e32 v15, 32, v8
	v_subrev_nc_u32_e32 v8, 28, v15
	v_sub_nc_u32_e32 v15, 29, v15
	s_delay_alu instid0(VALU_DEP_2) | instskip(NEXT) | instid1(VALU_DEP_1)
	v_lshlrev_b64 v[8:9], v8, v[12:13]
	v_and_b32_e32 v8, 7, v8
; %bb.3574:                             ;   in Loop: Header=BB448_2342 Depth=1
	s_or_b32 exec_lo, exec_lo, s17
	v_lshlrev_b32_e32 v9, 24, v14
	s_delay_alu instid0(VALU_DEP_2) | instskip(SKIP_1) | instid1(VALU_DEP_3)
	v_lshlrev_b32_e32 v8, 20, v8
	v_lshl_add_u32 v12, v15, 23, 0x3c000000
	v_and_b32_e32 v9, 0x80000000, v9
	s_delay_alu instid0(VALU_DEP_1)
	v_or3_b32 v8, v8, v9, v12
.LBB448_3575:                           ;   in Loop: Header=BB448_2342 Depth=1
	s_or_b32 exec_lo, exec_lo, s16
.LBB448_3576:                           ;   in Loop: Header=BB448_2342 Depth=1
	s_delay_alu instid0(SALU_CYCLE_1)
	s_or_b32 exec_lo, exec_lo, s15
.LBB448_3577:                           ;   in Loop: Header=BB448_2342 Depth=1
	s_delay_alu instid0(SALU_CYCLE_1) | instskip(NEXT) | instid1(VALU_DEP_1)
	s_or_b32 exec_lo, exec_lo, s13
	v_mul_f32_e32 v8, v118, v8
                                        ; implicit-def: $vgpr14
	s_delay_alu instid0(VALU_DEP_1) | instskip(NEXT) | instid1(VALU_DEP_1)
	v_and_b32_e32 v9, 0x7f800000, v8
	v_cmp_ne_u32_e64 s0, 0x7f800000, v9
	s_delay_alu instid0(VALU_DEP_1) | instskip(NEXT) | instid1(SALU_CYCLE_1)
	s_and_saveexec_b32 s13, s0
	s_xor_b32 s0, exec_lo, s13
; %bb.3578:                             ;   in Loop: Header=BB448_2342 Depth=1
	v_bfe_u32 v9, v8, 16, 1
	s_delay_alu instid0(VALU_DEP_1)
	v_add3_u32 v14, v8, v9, 0x7fff
                                        ; implicit-def: $vgpr8
; %bb.3579:                             ;   in Loop: Header=BB448_2342 Depth=1
	s_and_not1_saveexec_b32 s13, s0
; %bb.3580:                             ;   in Loop: Header=BB448_2342 Depth=1
	v_and_b32_e32 v9, 0xffff, v8
	v_or_b32_e32 v12, 0x10000, v8
	s_delay_alu instid0(VALU_DEP_2) | instskip(NEXT) | instid1(VALU_DEP_1)
	v_cmp_eq_u32_e64 s0, 0, v9
	v_cndmask_b32_e64 v14, v12, v8, s0
; %bb.3581:                             ;   in Loop: Header=BB448_2342 Depth=1
	s_or_b32 exec_lo, exec_lo, s13
	v_mov_b32_e32 v8, 0
	s_mov_b32 s13, exec_lo
	v_cmpx_lt_u32_e32 0xffffff, v6
	s_cbranch_execz .LBB448_3589
; %bb.3582:                             ;   in Loop: Header=BB448_2342 Depth=1
	v_lshrrev_b32_e32 v15, 24, v6
	v_bfrev_b32_e32 v8, 1
	s_mov_b32 s15, exec_lo
	s_delay_alu instid0(VALU_DEP_2)
	v_cmpx_ne_u32_e32 0x80, v15
	s_cbranch_execz .LBB448_3588
; %bb.3583:                             ;   in Loop: Header=BB448_2342 Depth=1
	v_bfe_u32 v9, v6, 24, 7
	v_mov_b32_e32 v8, 0x7f800001
	s_mov_b32 s16, exec_lo
	s_delay_alu instid0(VALU_DEP_2)
	v_cmpx_ne_u32_e32 0x7f, v9
	s_cbranch_execz .LBB448_3587
; %bb.3584:                             ;   in Loop: Header=BB448_2342 Depth=1
	v_and_b32_e32 v12, 7, v15
	v_lshrrev_b32_e32 v16, 3, v9
	v_cmp_gt_u32_e64 s0, 8, v9
	s_delay_alu instid0(VALU_DEP_3) | instskip(NEXT) | instid1(VALU_DEP_2)
	v_dual_mov_b32 v8, v12 :: v_dual_mov_b32 v9, v13
	s_and_saveexec_b32 s17, s0
; %bb.3585:                             ;   in Loop: Header=BB448_2342 Depth=1
	v_clz_i32_u32_e32 v8, v12
	s_delay_alu instid0(VALU_DEP_1) | instskip(NEXT) | instid1(VALU_DEP_1)
	v_min_u32_e32 v16, 32, v8
	v_subrev_nc_u32_e32 v8, 28, v16
	v_sub_nc_u32_e32 v16, 29, v16
	s_delay_alu instid0(VALU_DEP_2) | instskip(NEXT) | instid1(VALU_DEP_1)
	v_lshlrev_b64 v[8:9], v8, v[12:13]
	v_and_b32_e32 v8, 7, v8
; %bb.3586:                             ;   in Loop: Header=BB448_2342 Depth=1
	s_or_b32 exec_lo, exec_lo, s17
	v_lshlrev_b32_e32 v9, 24, v15
	s_delay_alu instid0(VALU_DEP_2) | instskip(SKIP_1) | instid1(VALU_DEP_3)
	v_lshlrev_b32_e32 v8, 20, v8
	v_lshl_add_u32 v12, v16, 23, 0x3c000000
	v_and_b32_e32 v9, 0x80000000, v9
	s_delay_alu instid0(VALU_DEP_1)
	v_or3_b32 v8, v8, v9, v12
.LBB448_3587:                           ;   in Loop: Header=BB448_2342 Depth=1
	s_or_b32 exec_lo, exec_lo, s16
.LBB448_3588:                           ;   in Loop: Header=BB448_2342 Depth=1
	s_delay_alu instid0(SALU_CYCLE_1)
	s_or_b32 exec_lo, exec_lo, s15
.LBB448_3589:                           ;   in Loop: Header=BB448_2342 Depth=1
	s_delay_alu instid0(SALU_CYCLE_1) | instskip(NEXT) | instid1(VALU_DEP_1)
	s_or_b32 exec_lo, exec_lo, s13
	v_mul_f32_e32 v8, v118, v8
                                        ; implicit-def: $vgpr15
	s_delay_alu instid0(VALU_DEP_1) | instskip(NEXT) | instid1(VALU_DEP_1)
	v_and_b32_e32 v9, 0x7f800000, v8
	v_cmp_ne_u32_e64 s0, 0x7f800000, v9
	s_delay_alu instid0(VALU_DEP_1) | instskip(NEXT) | instid1(SALU_CYCLE_1)
	s_and_saveexec_b32 s13, s0
	s_xor_b32 s0, exec_lo, s13
; %bb.3590:                             ;   in Loop: Header=BB448_2342 Depth=1
	v_bfe_u32 v9, v8, 16, 1
	s_delay_alu instid0(VALU_DEP_1)
	v_add3_u32 v15, v8, v9, 0x7fff
                                        ; implicit-def: $vgpr8
; %bb.3591:                             ;   in Loop: Header=BB448_2342 Depth=1
	s_and_not1_saveexec_b32 s13, s0
; %bb.3592:                             ;   in Loop: Header=BB448_2342 Depth=1
	v_and_b32_e32 v9, 0xffff, v8
	v_or_b32_e32 v12, 0x10000, v8
	s_delay_alu instid0(VALU_DEP_2) | instskip(NEXT) | instid1(VALU_DEP_1)
	v_cmp_eq_u32_e64 s0, 0, v9
	v_cndmask_b32_e64 v15, v12, v8, s0
; %bb.3593:                             ;   in Loop: Header=BB448_2342 Depth=1
	s_or_b32 exec_lo, exec_lo, s13
	v_dual_mov_b32 v12, v7 :: v_dual_and_b32 v9, 0xff, v7
	v_mov_b32_e32 v8, 0
	s_mov_b32 s13, exec_lo
	s_delay_alu instid0(VALU_DEP_2)
	v_cmpx_ne_u16_e32 0, v9
	s_cbranch_execz .LBB448_3601
; %bb.3594:                             ;   in Loop: Header=BB448_2342 Depth=1
	v_bfrev_b32_e32 v8, 1
	s_mov_b32 s15, exec_lo
	v_cmpx_ne_u16_e32 0x80, v9
	s_cbranch_execz .LBB448_3600
; %bb.3595:                             ;   in Loop: Header=BB448_2342 Depth=1
	v_and_b32_e32 v9, 0x7f, v7
	v_mov_b32_e32 v8, 0x7f800001
	s_mov_b32 s16, exec_lo
	s_delay_alu instid0(VALU_DEP_2)
	v_cmpx_ne_u32_e32 0x7f, v9
	s_cbranch_execz .LBB448_3599
; %bb.3596:                             ;   in Loop: Header=BB448_2342 Depth=1
	v_lshrrev_b32_e32 v16, 3, v9
	v_cmp_gt_u32_e64 s0, 8, v9
	v_dual_mov_b32 v8, v12 :: v_dual_mov_b32 v9, v13
	s_delay_alu instid0(VALU_DEP_2)
	s_and_saveexec_b32 s17, s0
; %bb.3597:                             ;   in Loop: Header=BB448_2342 Depth=1
	v_and_b32_e32 v8, 7, v7
	s_delay_alu instid0(VALU_DEP_1) | instskip(NEXT) | instid1(VALU_DEP_1)
	v_clz_i32_u32_e32 v8, v8
	v_min_u32_e32 v16, 32, v8
	s_delay_alu instid0(VALU_DEP_1) | instskip(SKIP_1) | instid1(VALU_DEP_2)
	v_subrev_nc_u32_e32 v8, 28, v16
	v_sub_nc_u32_e32 v16, 29, v16
	v_lshlrev_b64 v[8:9], v8, v[12:13]
; %bb.3598:                             ;   in Loop: Header=BB448_2342 Depth=1
	s_or_b32 exec_lo, exec_lo, s17
	s_delay_alu instid0(VALU_DEP_1) | instskip(SKIP_2) | instid1(VALU_DEP_3)
	v_lshlrev_b32_e32 v8, 20, v8
	v_lshlrev_b32_e32 v9, 24, v12
	v_lshl_add_u32 v16, v16, 23, 0x3c000000
	v_and_b32_e32 v8, 0x700000, v8
	s_delay_alu instid0(VALU_DEP_3) | instskip(NEXT) | instid1(VALU_DEP_1)
	v_and_b32_e32 v9, 0x80000000, v9
	v_or3_b32 v8, v8, v9, v16
.LBB448_3599:                           ;   in Loop: Header=BB448_2342 Depth=1
	s_or_b32 exec_lo, exec_lo, s16
.LBB448_3600:                           ;   in Loop: Header=BB448_2342 Depth=1
	s_delay_alu instid0(SALU_CYCLE_1)
	s_or_b32 exec_lo, exec_lo, s15
.LBB448_3601:                           ;   in Loop: Header=BB448_2342 Depth=1
	s_delay_alu instid0(SALU_CYCLE_1) | instskip(NEXT) | instid1(VALU_DEP_1)
	s_or_b32 exec_lo, exec_lo, s13
	v_mul_f32_e32 v8, v118, v8
                                        ; implicit-def: $vgpr16
	s_delay_alu instid0(VALU_DEP_1) | instskip(NEXT) | instid1(VALU_DEP_1)
	v_and_b32_e32 v9, 0x7f800000, v8
	v_cmp_ne_u32_e64 s0, 0x7f800000, v9
	s_delay_alu instid0(VALU_DEP_1) | instskip(NEXT) | instid1(SALU_CYCLE_1)
	s_and_saveexec_b32 s13, s0
	s_xor_b32 s0, exec_lo, s13
; %bb.3602:                             ;   in Loop: Header=BB448_2342 Depth=1
	v_bfe_u32 v9, v8, 16, 1
	s_delay_alu instid0(VALU_DEP_1)
	v_add3_u32 v16, v8, v9, 0x7fff
                                        ; implicit-def: $vgpr8
; %bb.3603:                             ;   in Loop: Header=BB448_2342 Depth=1
	s_and_not1_saveexec_b32 s13, s0
; %bb.3604:                             ;   in Loop: Header=BB448_2342 Depth=1
	v_and_b32_e32 v9, 0xffff, v8
	v_or_b32_e32 v16, 0x10000, v8
	s_delay_alu instid0(VALU_DEP_2) | instskip(NEXT) | instid1(VALU_DEP_1)
	v_cmp_eq_u32_e64 s0, 0, v9
	v_cndmask_b32_e64 v16, v16, v8, s0
; %bb.3605:                             ;   in Loop: Header=BB448_2342 Depth=1
	s_or_b32 exec_lo, exec_lo, s13
	v_lshrrev_b16 v9, 8, v12
	v_mov_b32_e32 v8, 0
	s_mov_b32 s13, exec_lo
	s_delay_alu instid0(VALU_DEP_2)
	v_cmpx_ne_u16_e32 0, v9
	s_cbranch_execz .LBB448_3613
; %bb.3606:                             ;   in Loop: Header=BB448_2342 Depth=1
	v_bfrev_b32_e32 v8, 1
	s_mov_b32 s15, exec_lo
	v_cmpx_ne_u16_e32 0x80, v9
	s_cbranch_execz .LBB448_3612
; %bb.3607:                             ;   in Loop: Header=BB448_2342 Depth=1
	v_and_b32_e32 v9, 0xffff, v9
	v_mov_b32_e32 v8, 0x7f800001
	s_mov_b32 s16, exec_lo
	s_delay_alu instid0(VALU_DEP_2) | instskip(NEXT) | instid1(VALU_DEP_1)
	v_and_b32_e32 v19, 0x7f, v9
	v_cmpx_ne_u32_e32 0x7f, v19
	s_cbranch_execz .LBB448_3611
; %bb.3608:                             ;   in Loop: Header=BB448_2342 Depth=1
	v_dual_mov_b32 v9, v13 :: v_dual_and_b32 v8, 7, v9
	v_lshrrev_b32_e32 v18, 3, v19
	s_mov_b32 s17, exec_lo
	v_cmpx_gt_u32_e32 8, v19
; %bb.3609:                             ;   in Loop: Header=BB448_2342 Depth=1
	s_delay_alu instid0(VALU_DEP_3) | instskip(NEXT) | instid1(VALU_DEP_1)
	v_clz_i32_u32_e32 v18, v8
	v_min_u32_e32 v18, 32, v18
	s_delay_alu instid0(VALU_DEP_1) | instskip(SKIP_1) | instid1(VALU_DEP_2)
	v_subrev_nc_u32_e32 v19, 28, v18
	v_sub_nc_u32_e32 v18, 29, v18
	v_lshlrev_b64 v[8:9], v19, v[8:9]
	s_delay_alu instid0(VALU_DEP_1)
	v_and_b32_e32 v8, 7, v8
; %bb.3610:                             ;   in Loop: Header=BB448_2342 Depth=1
	s_or_b32 exec_lo, exec_lo, s17
	v_lshlrev_b32_e32 v9, 16, v12
	s_delay_alu instid0(VALU_DEP_2) | instskip(SKIP_1) | instid1(VALU_DEP_3)
	v_lshlrev_b32_e32 v8, 20, v8
	v_lshl_add_u32 v12, v18, 23, 0x3c000000
	v_and_b32_e32 v9, 0x80000000, v9
	s_delay_alu instid0(VALU_DEP_1)
	v_or3_b32 v8, v8, v9, v12
.LBB448_3611:                           ;   in Loop: Header=BB448_2342 Depth=1
	s_or_b32 exec_lo, exec_lo, s16
.LBB448_3612:                           ;   in Loop: Header=BB448_2342 Depth=1
	s_delay_alu instid0(SALU_CYCLE_1)
	s_or_b32 exec_lo, exec_lo, s15
.LBB448_3613:                           ;   in Loop: Header=BB448_2342 Depth=1
	s_delay_alu instid0(SALU_CYCLE_1) | instskip(NEXT) | instid1(VALU_DEP_1)
	s_or_b32 exec_lo, exec_lo, s13
	v_mul_f32_e32 v8, v118, v8
                                        ; implicit-def: $vgpr18
	s_delay_alu instid0(VALU_DEP_1) | instskip(NEXT) | instid1(VALU_DEP_1)
	v_and_b32_e32 v9, 0x7f800000, v8
	v_cmp_ne_u32_e64 s0, 0x7f800000, v9
	s_delay_alu instid0(VALU_DEP_1) | instskip(NEXT) | instid1(SALU_CYCLE_1)
	s_and_saveexec_b32 s13, s0
	s_xor_b32 s0, exec_lo, s13
; %bb.3614:                             ;   in Loop: Header=BB448_2342 Depth=1
	v_bfe_u32 v9, v8, 16, 1
	s_delay_alu instid0(VALU_DEP_1)
	v_add3_u32 v18, v8, v9, 0x7fff
                                        ; implicit-def: $vgpr8
; %bb.3615:                             ;   in Loop: Header=BB448_2342 Depth=1
	s_and_not1_saveexec_b32 s13, s0
; %bb.3616:                             ;   in Loop: Header=BB448_2342 Depth=1
	v_and_b32_e32 v9, 0xffff, v8
	v_or_b32_e32 v12, 0x10000, v8
	s_delay_alu instid0(VALU_DEP_2) | instskip(NEXT) | instid1(VALU_DEP_1)
	v_cmp_eq_u32_e64 s0, 0, v9
	v_cndmask_b32_e64 v18, v12, v8, s0
; %bb.3617:                             ;   in Loop: Header=BB448_2342 Depth=1
	s_or_b32 exec_lo, exec_lo, s13
	v_lshrrev_b32_e32 v19, 16, v7
	s_mov_b32 s13, exec_lo
	s_delay_alu instid0(VALU_DEP_1) | instskip(NEXT) | instid1(VALU_DEP_1)
	v_dual_mov_b32 v8, 0 :: v_dual_and_b32 v9, 0xff, v19
	v_cmpx_ne_u16_e32 0, v9
	s_cbranch_execz .LBB448_3625
; %bb.3618:                             ;   in Loop: Header=BB448_2342 Depth=1
	v_bfrev_b32_e32 v8, 1
	s_mov_b32 s15, exec_lo
	v_cmpx_ne_u16_e32 0x80, v9
	s_cbranch_execz .LBB448_3624
; %bb.3619:                             ;   in Loop: Header=BB448_2342 Depth=1
	v_bfe_u32 v9, v7, 16, 7
	v_mov_b32_e32 v8, 0x7f800001
	s_mov_b32 s16, exec_lo
	s_delay_alu instid0(VALU_DEP_2)
	v_cmpx_ne_u32_e32 0x7f, v9
	s_cbranch_execz .LBB448_3623
; %bb.3620:                             ;   in Loop: Header=BB448_2342 Depth=1
	v_and_b32_e32 v12, 7, v19
	v_lshrrev_b32_e32 v20, 3, v9
	v_cmp_gt_u32_e64 s0, 8, v9
	s_delay_alu instid0(VALU_DEP_3) | instskip(NEXT) | instid1(VALU_DEP_2)
	v_dual_mov_b32 v8, v12 :: v_dual_mov_b32 v9, v13
	s_and_saveexec_b32 s17, s0
; %bb.3621:                             ;   in Loop: Header=BB448_2342 Depth=1
	v_clz_i32_u32_e32 v8, v12
	s_delay_alu instid0(VALU_DEP_1) | instskip(NEXT) | instid1(VALU_DEP_1)
	v_min_u32_e32 v20, 32, v8
	v_subrev_nc_u32_e32 v8, 28, v20
	v_sub_nc_u32_e32 v20, 29, v20
	s_delay_alu instid0(VALU_DEP_2) | instskip(NEXT) | instid1(VALU_DEP_1)
	v_lshlrev_b64 v[8:9], v8, v[12:13]
	v_and_b32_e32 v8, 7, v8
; %bb.3622:                             ;   in Loop: Header=BB448_2342 Depth=1
	s_or_b32 exec_lo, exec_lo, s17
	v_lshlrev_b32_e32 v9, 24, v19
	s_delay_alu instid0(VALU_DEP_2) | instskip(SKIP_1) | instid1(VALU_DEP_3)
	v_lshlrev_b32_e32 v8, 20, v8
	v_lshl_add_u32 v12, v20, 23, 0x3c000000
	v_and_b32_e32 v9, 0x80000000, v9
	s_delay_alu instid0(VALU_DEP_1)
	v_or3_b32 v8, v8, v9, v12
.LBB448_3623:                           ;   in Loop: Header=BB448_2342 Depth=1
	s_or_b32 exec_lo, exec_lo, s16
.LBB448_3624:                           ;   in Loop: Header=BB448_2342 Depth=1
	s_delay_alu instid0(SALU_CYCLE_1)
	s_or_b32 exec_lo, exec_lo, s15
.LBB448_3625:                           ;   in Loop: Header=BB448_2342 Depth=1
	s_delay_alu instid0(SALU_CYCLE_1) | instskip(NEXT) | instid1(VALU_DEP_1)
	s_or_b32 exec_lo, exec_lo, s13
	v_mul_f32_e32 v8, v118, v8
                                        ; implicit-def: $vgpr19
	s_delay_alu instid0(VALU_DEP_1) | instskip(NEXT) | instid1(VALU_DEP_1)
	v_and_b32_e32 v9, 0x7f800000, v8
	v_cmp_ne_u32_e64 s0, 0x7f800000, v9
	s_delay_alu instid0(VALU_DEP_1) | instskip(NEXT) | instid1(SALU_CYCLE_1)
	s_and_saveexec_b32 s13, s0
	s_xor_b32 s0, exec_lo, s13
; %bb.3626:                             ;   in Loop: Header=BB448_2342 Depth=1
	v_bfe_u32 v9, v8, 16, 1
	s_delay_alu instid0(VALU_DEP_1)
	v_add3_u32 v19, v8, v9, 0x7fff
                                        ; implicit-def: $vgpr8
; %bb.3627:                             ;   in Loop: Header=BB448_2342 Depth=1
	s_and_not1_saveexec_b32 s13, s0
; %bb.3628:                             ;   in Loop: Header=BB448_2342 Depth=1
	v_and_b32_e32 v9, 0xffff, v8
	v_or_b32_e32 v12, 0x10000, v8
	s_delay_alu instid0(VALU_DEP_2) | instskip(NEXT) | instid1(VALU_DEP_1)
	v_cmp_eq_u32_e64 s0, 0, v9
	v_cndmask_b32_e64 v19, v12, v8, s0
; %bb.3629:                             ;   in Loop: Header=BB448_2342 Depth=1
	s_or_b32 exec_lo, exec_lo, s13
	v_cmp_lt_u64_e64 s0, s[8:9], v[6:7]
	v_mov_b32_e32 v6, 0
	s_delay_alu instid0(VALU_DEP_2)
	s_and_saveexec_b32 s13, s0
	s_cbranch_execz .LBB448_3637
; %bb.3630:                             ;   in Loop: Header=BB448_2342 Depth=1
	v_lshrrev_b32_e32 v8, 24, v7
	v_bfrev_b32_e32 v6, 1
	s_mov_b32 s15, exec_lo
	s_delay_alu instid0(VALU_DEP_2)
	v_cmpx_ne_u32_e32 0x80, v8
	s_cbranch_execz .LBB448_3636
; %bb.3631:                             ;   in Loop: Header=BB448_2342 Depth=1
	v_bfe_u32 v7, v7, 24, 7
	v_mov_b32_e32 v6, 0x7f800001
	s_mov_b32 s16, exec_lo
	s_delay_alu instid0(VALU_DEP_2)
	v_cmpx_ne_u32_e32 0x7f, v7
	s_cbranch_execz .LBB448_3635
; %bb.3632:                             ;   in Loop: Header=BB448_2342 Depth=1
	v_and_b32_e32 v12, 7, v8
	v_lshrrev_b32_e32 v9, 3, v7
	v_cmp_gt_u32_e64 s0, 8, v7
	s_delay_alu instid0(VALU_DEP_3) | instskip(NEXT) | instid1(VALU_DEP_2)
	v_dual_mov_b32 v6, v12 :: v_dual_mov_b32 v7, v13
	s_and_saveexec_b32 s17, s0
; %bb.3633:                             ;   in Loop: Header=BB448_2342 Depth=1
	v_clz_i32_u32_e32 v6, v12
	s_delay_alu instid0(VALU_DEP_1) | instskip(NEXT) | instid1(VALU_DEP_1)
	v_min_u32_e32 v9, 32, v6
	v_subrev_nc_u32_e32 v6, 28, v9
	v_sub_nc_u32_e32 v9, 29, v9
	s_delay_alu instid0(VALU_DEP_2) | instskip(NEXT) | instid1(VALU_DEP_1)
	v_lshlrev_b64 v[6:7], v6, v[12:13]
	v_and_b32_e32 v6, 7, v6
; %bb.3634:                             ;   in Loop: Header=BB448_2342 Depth=1
	s_or_b32 exec_lo, exec_lo, s17
	v_lshlrev_b32_e32 v7, 24, v8
	s_delay_alu instid0(VALU_DEP_2) | instskip(SKIP_1) | instid1(VALU_DEP_3)
	v_lshlrev_b32_e32 v6, 20, v6
	v_lshl_add_u32 v8, v9, 23, 0x3c000000
	v_and_b32_e32 v7, 0x80000000, v7
	s_delay_alu instid0(VALU_DEP_1)
	v_or3_b32 v6, v6, v7, v8
.LBB448_3635:                           ;   in Loop: Header=BB448_2342 Depth=1
	s_or_b32 exec_lo, exec_lo, s16
.LBB448_3636:                           ;   in Loop: Header=BB448_2342 Depth=1
	s_delay_alu instid0(SALU_CYCLE_1)
	s_or_b32 exec_lo, exec_lo, s15
.LBB448_3637:                           ;   in Loop: Header=BB448_2342 Depth=1
	s_delay_alu instid0(SALU_CYCLE_1) | instskip(NEXT) | instid1(VALU_DEP_1)
	s_or_b32 exec_lo, exec_lo, s13
	v_mul_f32_e32 v7, v118, v6
	s_delay_alu instid0(VALU_DEP_1) | instskip(NEXT) | instid1(VALU_DEP_1)
	v_and_b32_e32 v6, 0x7f800000, v7
	v_cmp_ne_u32_e64 s0, 0x7f800000, v6
                                        ; implicit-def: $vgpr6
	s_delay_alu instid0(VALU_DEP_1) | instskip(NEXT) | instid1(SALU_CYCLE_1)
	s_and_saveexec_b32 s13, s0
	s_xor_b32 s0, exec_lo, s13
; %bb.3638:                             ;   in Loop: Header=BB448_2342 Depth=1
	v_bfe_u32 v6, v7, 16, 1
	s_delay_alu instid0(VALU_DEP_1)
	v_add3_u32 v6, v7, v6, 0x7fff
                                        ; implicit-def: $vgpr7
; %bb.3639:                             ;   in Loop: Header=BB448_2342 Depth=1
	s_and_not1_saveexec_b32 s13, s0
; %bb.3640:                             ;   in Loop: Header=BB448_2342 Depth=1
	v_and_b32_e32 v6, 0xffff, v7
	v_or_b32_e32 v8, 0x10000, v7
	s_delay_alu instid0(VALU_DEP_2) | instskip(NEXT) | instid1(VALU_DEP_1)
	v_cmp_eq_u32_e64 s0, 0, v6
	v_cndmask_b32_e64 v6, v8, v7, s0
; %bb.3641:                             ;   in Loop: Header=BB448_2342 Depth=1
	s_or_b32 exec_lo, exec_lo, s13
	v_lshrrev_b32_e32 v8, 16, v18
	v_lshrrev_b32_e32 v9, 16, v16
	;; [unrolled: 1-line block ×8, first 2 shown]
	s_and_saveexec_b32 s13, vcc_lo
	s_cbranch_execz .LBB448_3643
; %bb.3642:                             ;   in Loop: Header=BB448_2342 Depth=1
	v_cmp_lt_i32_e64 s0, v102, v36
	s_delay_alu instid0(VALU_DEP_1) | instskip(SKIP_1) | instid1(VALU_DEP_1)
	v_cndmask_b32_e64 v10, 0, v10, s0
	v_cmp_lt_i32_e64 s0, v133, v36
	v_cndmask_b32_e64 v11, 0, v11, s0
	v_cmp_lt_i32_e64 s0, v132, v36
	s_delay_alu instid0(VALU_DEP_1) | instskip(SKIP_1) | instid1(VALU_DEP_1)
	v_cndmask_b32_e64 v14, 0, v14, s0
	v_cmp_lt_i32_e64 s0, v131, v36
	v_cndmask_b32_e64 v12, 0, v12, s0
	;; [unrolled: 5-line block ×4, first 2 shown]
.LBB448_3643:                           ;   in Loop: Header=BB448_2342 Depth=1
	s_or_b32 exec_lo, exec_lo, s13
	v_lshlrev_b32_e32 v10, 16, v10
                                        ; implicit-def: $vgpr121
	s_delay_alu instid0(VALU_DEP_1) | instskip(NEXT) | instid1(VALU_DEP_1)
	v_mul_f32_e32 v10, v134, v10
	v_and_b32_e32 v15, 0x7f800000, v10
	s_delay_alu instid0(VALU_DEP_1) | instskip(NEXT) | instid1(VALU_DEP_1)
	v_cmp_ne_u32_e64 s0, 0x7f800000, v15
	s_and_saveexec_b32 s13, s0
	s_delay_alu instid0(SALU_CYCLE_1)
	s_xor_b32 s0, exec_lo, s13
; %bb.3644:                             ;   in Loop: Header=BB448_2342 Depth=1
	v_bfe_u32 v15, v10, 16, 1
	s_delay_alu instid0(VALU_DEP_1)
	v_add3_u32 v121, v10, v15, 0x7fff
                                        ; implicit-def: $vgpr10
; %bb.3645:                             ;   in Loop: Header=BB448_2342 Depth=1
	s_and_not1_saveexec_b32 s13, s0
; %bb.3646:                             ;   in Loop: Header=BB448_2342 Depth=1
	v_and_b32_e32 v15, 0xffff, v10
	v_or_b32_e32 v16, 0x10000, v10
	s_delay_alu instid0(VALU_DEP_2) | instskip(NEXT) | instid1(VALU_DEP_1)
	v_cmp_eq_u32_e64 s0, 0, v15
	v_cndmask_b32_e64 v121, v16, v10, s0
; %bb.3647:                             ;   in Loop: Header=BB448_2342 Depth=1
	s_or_b32 exec_lo, exec_lo, s13
	v_lshlrev_b32_e32 v10, 16, v11
                                        ; implicit-def: $vgpr122
	s_delay_alu instid0(VALU_DEP_1) | instskip(NEXT) | instid1(VALU_DEP_1)
	v_mul_f32_e32 v10, v135, v10
	v_and_b32_e32 v11, 0x7f800000, v10
	s_delay_alu instid0(VALU_DEP_1) | instskip(NEXT) | instid1(VALU_DEP_1)
	v_cmp_ne_u32_e64 s0, 0x7f800000, v11
	s_and_saveexec_b32 s13, s0
	s_delay_alu instid0(SALU_CYCLE_1)
	s_xor_b32 s0, exec_lo, s13
; %bb.3648:                             ;   in Loop: Header=BB448_2342 Depth=1
	v_bfe_u32 v11, v10, 16, 1
	s_delay_alu instid0(VALU_DEP_1)
	v_add3_u32 v122, v10, v11, 0x7fff
                                        ; implicit-def: $vgpr10
; %bb.3649:                             ;   in Loop: Header=BB448_2342 Depth=1
	s_and_not1_saveexec_b32 s13, s0
; %bb.3650:                             ;   in Loop: Header=BB448_2342 Depth=1
	v_and_b32_e32 v11, 0xffff, v10
	v_or_b32_e32 v15, 0x10000, v10
	s_delay_alu instid0(VALU_DEP_2) | instskip(NEXT) | instid1(VALU_DEP_1)
	v_cmp_eq_u32_e64 s0, 0, v11
	v_cndmask_b32_e64 v122, v15, v10, s0
; %bb.3651:                             ;   in Loop: Header=BB448_2342 Depth=1
	s_or_b32 exec_lo, exec_lo, s13
	v_lshlrev_b32_e32 v10, 16, v14
                                        ; implicit-def: $vgpr123
	s_delay_alu instid0(VALU_DEP_1) | instskip(NEXT) | instid1(VALU_DEP_1)
	v_mul_f32_e32 v10, v144, v10
	v_and_b32_e32 v11, 0x7f800000, v10
	s_delay_alu instid0(VALU_DEP_1) | instskip(NEXT) | instid1(VALU_DEP_1)
	v_cmp_ne_u32_e64 s0, 0x7f800000, v11
	s_and_saveexec_b32 s13, s0
	s_delay_alu instid0(SALU_CYCLE_1)
	s_xor_b32 s0, exec_lo, s13
; %bb.3652:                             ;   in Loop: Header=BB448_2342 Depth=1
	v_bfe_u32 v11, v10, 16, 1
	s_delay_alu instid0(VALU_DEP_1)
	v_add3_u32 v123, v10, v11, 0x7fff
                                        ; implicit-def: $vgpr10
; %bb.3653:                             ;   in Loop: Header=BB448_2342 Depth=1
	s_and_not1_saveexec_b32 s13, s0
; %bb.3654:                             ;   in Loop: Header=BB448_2342 Depth=1
	v_and_b32_e32 v11, 0xffff, v10
	v_or_b32_e32 v14, 0x10000, v10
	s_delay_alu instid0(VALU_DEP_2) | instskip(NEXT) | instid1(VALU_DEP_1)
	v_cmp_eq_u32_e64 s0, 0, v11
	v_cndmask_b32_e64 v123, v14, v10, s0
; %bb.3655:                             ;   in Loop: Header=BB448_2342 Depth=1
	s_or_b32 exec_lo, exec_lo, s13
	v_lshlrev_b32_e32 v10, 16, v12
                                        ; implicit-def: $vgpr124
	s_delay_alu instid0(VALU_DEP_1) | instskip(NEXT) | instid1(VALU_DEP_1)
	v_mul_f32_e32 v10, v145, v10
	v_and_b32_e32 v11, 0x7f800000, v10
	s_delay_alu instid0(VALU_DEP_1) | instskip(NEXT) | instid1(VALU_DEP_1)
	v_cmp_ne_u32_e64 s0, 0x7f800000, v11
	s_and_saveexec_b32 s13, s0
	s_delay_alu instid0(SALU_CYCLE_1)
	s_xor_b32 s0, exec_lo, s13
; %bb.3656:                             ;   in Loop: Header=BB448_2342 Depth=1
	v_bfe_u32 v11, v10, 16, 1
	s_delay_alu instid0(VALU_DEP_1)
	v_add3_u32 v124, v10, v11, 0x7fff
                                        ; implicit-def: $vgpr10
; %bb.3657:                             ;   in Loop: Header=BB448_2342 Depth=1
	s_and_not1_saveexec_b32 s13, s0
; %bb.3658:                             ;   in Loop: Header=BB448_2342 Depth=1
	v_and_b32_e32 v11, 0xffff, v10
	v_or_b32_e32 v12, 0x10000, v10
	s_delay_alu instid0(VALU_DEP_2) | instskip(NEXT) | instid1(VALU_DEP_1)
	v_cmp_eq_u32_e64 s0, 0, v11
	v_cndmask_b32_e64 v124, v12, v10, s0
; %bb.3659:                             ;   in Loop: Header=BB448_2342 Depth=1
	s_or_b32 exec_lo, exec_lo, s13
	v_lshlrev_b32_e32 v9, 16, v9
                                        ; implicit-def: $vgpr125
	s_delay_alu instid0(VALU_DEP_1) | instskip(NEXT) | instid1(VALU_DEP_1)
	v_mul_f32_e32 v9, v146, v9
	v_and_b32_e32 v10, 0x7f800000, v9
	s_delay_alu instid0(VALU_DEP_1) | instskip(NEXT) | instid1(VALU_DEP_1)
	v_cmp_ne_u32_e64 s0, 0x7f800000, v10
	s_and_saveexec_b32 s13, s0
	s_delay_alu instid0(SALU_CYCLE_1)
	s_xor_b32 s0, exec_lo, s13
; %bb.3660:                             ;   in Loop: Header=BB448_2342 Depth=1
	v_bfe_u32 v10, v9, 16, 1
	s_delay_alu instid0(VALU_DEP_1)
	v_add3_u32 v125, v9, v10, 0x7fff
                                        ; implicit-def: $vgpr9
; %bb.3661:                             ;   in Loop: Header=BB448_2342 Depth=1
	s_and_not1_saveexec_b32 s13, s0
; %bb.3662:                             ;   in Loop: Header=BB448_2342 Depth=1
	v_and_b32_e32 v10, 0xffff, v9
	v_or_b32_e32 v11, 0x10000, v9
	s_delay_alu instid0(VALU_DEP_2) | instskip(NEXT) | instid1(VALU_DEP_1)
	v_cmp_eq_u32_e64 s0, 0, v10
	v_cndmask_b32_e64 v125, v11, v9, s0
; %bb.3663:                             ;   in Loop: Header=BB448_2342 Depth=1
	s_or_b32 exec_lo, exec_lo, s13
	v_lshlrev_b32_e32 v8, 16, v8
                                        ; implicit-def: $vgpr126
	s_delay_alu instid0(VALU_DEP_1) | instskip(NEXT) | instid1(VALU_DEP_1)
	v_mul_f32_e32 v8, v147, v8
	v_and_b32_e32 v9, 0x7f800000, v8
	s_delay_alu instid0(VALU_DEP_1) | instskip(NEXT) | instid1(VALU_DEP_1)
	v_cmp_ne_u32_e64 s0, 0x7f800000, v9
	s_and_saveexec_b32 s13, s0
	s_delay_alu instid0(SALU_CYCLE_1)
	s_xor_b32 s0, exec_lo, s13
; %bb.3664:                             ;   in Loop: Header=BB448_2342 Depth=1
	v_bfe_u32 v9, v8, 16, 1
	s_delay_alu instid0(VALU_DEP_1)
	v_add3_u32 v126, v8, v9, 0x7fff
                                        ; implicit-def: $vgpr8
; %bb.3665:                             ;   in Loop: Header=BB448_2342 Depth=1
	s_and_not1_saveexec_b32 s13, s0
; %bb.3666:                             ;   in Loop: Header=BB448_2342 Depth=1
	v_and_b32_e32 v9, 0xffff, v8
	v_or_b32_e32 v10, 0x10000, v8
	s_delay_alu instid0(VALU_DEP_2) | instskip(NEXT) | instid1(VALU_DEP_1)
	v_cmp_eq_u32_e64 s0, 0, v9
	v_cndmask_b32_e64 v126, v10, v8, s0
; %bb.3667:                             ;   in Loop: Header=BB448_2342 Depth=1
	s_or_b32 exec_lo, exec_lo, s13
	v_lshlrev_b32_e32 v7, 16, v7
                                        ; implicit-def: $vgpr127
	s_delay_alu instid0(VALU_DEP_1) | instskip(NEXT) | instid1(VALU_DEP_1)
	v_mul_f32_e32 v7, v148, v7
	v_and_b32_e32 v8, 0x7f800000, v7
	s_delay_alu instid0(VALU_DEP_1) | instskip(NEXT) | instid1(VALU_DEP_1)
	v_cmp_ne_u32_e64 s0, 0x7f800000, v8
	s_and_saveexec_b32 s13, s0
	s_delay_alu instid0(SALU_CYCLE_1)
	s_xor_b32 s0, exec_lo, s13
; %bb.3668:                             ;   in Loop: Header=BB448_2342 Depth=1
	v_bfe_u32 v8, v7, 16, 1
	s_delay_alu instid0(VALU_DEP_1)
	v_add3_u32 v127, v7, v8, 0x7fff
                                        ; implicit-def: $vgpr7
; %bb.3669:                             ;   in Loop: Header=BB448_2342 Depth=1
	s_and_not1_saveexec_b32 s13, s0
; %bb.3670:                             ;   in Loop: Header=BB448_2342 Depth=1
	v_and_b32_e32 v8, 0xffff, v7
	v_or_b32_e32 v9, 0x10000, v7
	s_delay_alu instid0(VALU_DEP_2) | instskip(NEXT) | instid1(VALU_DEP_1)
	v_cmp_eq_u32_e64 s0, 0, v8
	v_cndmask_b32_e64 v127, v9, v7, s0
; %bb.3671:                             ;   in Loop: Header=BB448_2342 Depth=1
	s_or_b32 exec_lo, exec_lo, s13
	v_lshlrev_b32_e32 v6, 16, v6
                                        ; implicit-def: $vgpr136
	s_delay_alu instid0(VALU_DEP_1) | instskip(NEXT) | instid1(VALU_DEP_1)
	v_mul_f32_e32 v6, v149, v6
	v_and_b32_e32 v7, 0x7f800000, v6
	s_delay_alu instid0(VALU_DEP_1) | instskip(NEXT) | instid1(VALU_DEP_1)
	v_cmp_ne_u32_e64 s0, 0x7f800000, v7
	s_and_saveexec_b32 s13, s0
	s_delay_alu instid0(SALU_CYCLE_1)
	s_xor_b32 s0, exec_lo, s13
; %bb.3672:                             ;   in Loop: Header=BB448_2342 Depth=1
	v_bfe_u32 v7, v6, 16, 1
	s_delay_alu instid0(VALU_DEP_1)
	v_add3_u32 v136, v6, v7, 0x7fff
                                        ; implicit-def: $vgpr6
; %bb.3673:                             ;   in Loop: Header=BB448_2342 Depth=1
	s_and_not1_saveexec_b32 s13, s0
; %bb.3674:                             ;   in Loop: Header=BB448_2342 Depth=1
	v_and_b32_e32 v7, 0xffff, v6
	v_or_b32_e32 v8, 0x10000, v6
	s_delay_alu instid0(VALU_DEP_2) | instskip(NEXT) | instid1(VALU_DEP_1)
	v_cmp_eq_u32_e64 s0, 0, v7
	v_cndmask_b32_e64 v136, v8, v6, s0
; %bb.3675:                             ;   in Loop: Header=BB448_2342 Depth=1
	s_or_b32 exec_lo, exec_lo, s13
	flat_load_b64 v[6:7], v[2:3] offset:2560
	s_mov_b32 s13, exec_lo
	s_waitcnt vmcnt(0) lgkmcnt(0)
	v_dual_mov_b32 v8, 0 :: v_dual_and_b32 v9, 0xff, v6
	s_delay_alu instid0(VALU_DEP_1)
	v_cmpx_ne_u16_e32 0, v9
	s_cbranch_execz .LBB448_3683
; %bb.3676:                             ;   in Loop: Header=BB448_2342 Depth=1
	v_bfrev_b32_e32 v8, 1
	s_mov_b32 s15, exec_lo
	v_cmpx_ne_u16_e32 0x80, v9
	s_cbranch_execz .LBB448_3682
; %bb.3677:                             ;   in Loop: Header=BB448_2342 Depth=1
	v_and_b32_e32 v9, 0x7f, v6
	v_mov_b32_e32 v8, 0x7f800001
	s_mov_b32 s16, exec_lo
	s_delay_alu instid0(VALU_DEP_2)
	v_cmpx_ne_u32_e32 0x7f, v9
	s_cbranch_execz .LBB448_3681
; %bb.3678:                             ;   in Loop: Header=BB448_2342 Depth=1
	v_lshrrev_b32_e32 v10, 3, v9
	v_cmp_gt_u32_e64 s0, 8, v9
	v_dual_mov_b32 v9, v7 :: v_dual_mov_b32 v8, v6
	s_delay_alu instid0(VALU_DEP_2)
	s_and_saveexec_b32 s17, s0
; %bb.3679:                             ;   in Loop: Header=BB448_2342 Depth=1
	v_and_b32_e32 v8, 7, v6
	s_delay_alu instid0(VALU_DEP_1) | instskip(NEXT) | instid1(VALU_DEP_1)
	v_clz_i32_u32_e32 v8, v8
	v_min_u32_e32 v10, 32, v8
	s_delay_alu instid0(VALU_DEP_1) | instskip(SKIP_1) | instid1(VALU_DEP_2)
	v_subrev_nc_u32_e32 v8, 28, v10
	v_sub_nc_u32_e32 v10, 29, v10
	v_lshlrev_b64 v[8:9], v8, v[6:7]
; %bb.3680:                             ;   in Loop: Header=BB448_2342 Depth=1
	s_or_b32 exec_lo, exec_lo, s17
	s_delay_alu instid0(VALU_DEP_1) | instskip(SKIP_2) | instid1(VALU_DEP_3)
	v_lshlrev_b32_e32 v8, 20, v8
	v_lshlrev_b32_e32 v9, 24, v6
	v_lshl_add_u32 v10, v10, 23, 0x3c000000
	v_and_b32_e32 v8, 0x700000, v8
	s_delay_alu instid0(VALU_DEP_3) | instskip(NEXT) | instid1(VALU_DEP_1)
	v_and_b32_e32 v9, 0x80000000, v9
	v_or3_b32 v8, v8, v9, v10
.LBB448_3681:                           ;   in Loop: Header=BB448_2342 Depth=1
	s_or_b32 exec_lo, exec_lo, s16
.LBB448_3682:                           ;   in Loop: Header=BB448_2342 Depth=1
	s_delay_alu instid0(SALU_CYCLE_1)
	s_or_b32 exec_lo, exec_lo, s15
.LBB448_3683:                           ;   in Loop: Header=BB448_2342 Depth=1
	s_delay_alu instid0(SALU_CYCLE_1) | instskip(NEXT) | instid1(VALU_DEP_1)
	s_or_b32 exec_lo, exec_lo, s13
	v_mul_f32_e32 v8, v118, v8
                                        ; implicit-def: $vgpr10
	s_delay_alu instid0(VALU_DEP_1) | instskip(NEXT) | instid1(VALU_DEP_1)
	v_and_b32_e32 v9, 0x7f800000, v8
	v_cmp_ne_u32_e64 s0, 0x7f800000, v9
	s_delay_alu instid0(VALU_DEP_1) | instskip(NEXT) | instid1(SALU_CYCLE_1)
	s_and_saveexec_b32 s13, s0
	s_xor_b32 s0, exec_lo, s13
; %bb.3684:                             ;   in Loop: Header=BB448_2342 Depth=1
	v_bfe_u32 v9, v8, 16, 1
	s_delay_alu instid0(VALU_DEP_1)
	v_add3_u32 v10, v8, v9, 0x7fff
                                        ; implicit-def: $vgpr8
; %bb.3685:                             ;   in Loop: Header=BB448_2342 Depth=1
	s_and_not1_saveexec_b32 s13, s0
; %bb.3686:                             ;   in Loop: Header=BB448_2342 Depth=1
	v_and_b32_e32 v9, 0xffff, v8
	v_or_b32_e32 v10, 0x10000, v8
	s_delay_alu instid0(VALU_DEP_2) | instskip(NEXT) | instid1(VALU_DEP_1)
	v_cmp_eq_u32_e64 s0, 0, v9
	v_cndmask_b32_e64 v10, v10, v8, s0
; %bb.3687:                             ;   in Loop: Header=BB448_2342 Depth=1
	s_or_b32 exec_lo, exec_lo, s13
	v_lshrrev_b16 v9, 8, v6
	v_mov_b32_e32 v8, 0
	s_mov_b32 s13, exec_lo
	s_delay_alu instid0(VALU_DEP_2)
	v_cmpx_ne_u16_e32 0, v9
	s_cbranch_execz .LBB448_3695
; %bb.3688:                             ;   in Loop: Header=BB448_2342 Depth=1
	v_bfrev_b32_e32 v8, 1
	s_mov_b32 s15, exec_lo
	v_cmpx_ne_u16_e32 0x80, v9
	s_cbranch_execz .LBB448_3694
; %bb.3689:                             ;   in Loop: Header=BB448_2342 Depth=1
	v_and_b32_e32 v11, 0xffff, v9
	v_mov_b32_e32 v8, 0x7f800001
	s_mov_b32 s16, exec_lo
	s_delay_alu instid0(VALU_DEP_2) | instskip(NEXT) | instid1(VALU_DEP_1)
	v_and_b32_e32 v9, 0x7f, v11
	v_cmpx_ne_u32_e32 0x7f, v9
	s_cbranch_execz .LBB448_3693
; %bb.3690:                             ;   in Loop: Header=BB448_2342 Depth=1
	v_and_b32_e32 v12, 7, v11
	v_lshrrev_b32_e32 v11, 3, v9
	v_cmp_gt_u32_e64 s0, 8, v9
	s_delay_alu instid0(VALU_DEP_3) | instskip(NEXT) | instid1(VALU_DEP_2)
	v_dual_mov_b32 v8, v12 :: v_dual_mov_b32 v9, v13
	s_and_saveexec_b32 s17, s0
; %bb.3691:                             ;   in Loop: Header=BB448_2342 Depth=1
	v_clz_i32_u32_e32 v8, v12
	s_delay_alu instid0(VALU_DEP_1) | instskip(NEXT) | instid1(VALU_DEP_1)
	v_min_u32_e32 v11, 32, v8
	v_subrev_nc_u32_e32 v8, 28, v11
	v_sub_nc_u32_e32 v11, 29, v11
	s_delay_alu instid0(VALU_DEP_2) | instskip(NEXT) | instid1(VALU_DEP_1)
	v_lshlrev_b64 v[8:9], v8, v[12:13]
	v_and_b32_e32 v8, 7, v8
; %bb.3692:                             ;   in Loop: Header=BB448_2342 Depth=1
	s_or_b32 exec_lo, exec_lo, s17
	v_lshlrev_b32_e32 v9, 16, v6
	s_delay_alu instid0(VALU_DEP_2) | instskip(SKIP_1) | instid1(VALU_DEP_3)
	v_lshlrev_b32_e32 v8, 20, v8
	v_lshl_add_u32 v11, v11, 23, 0x3c000000
	v_and_b32_e32 v9, 0x80000000, v9
	s_delay_alu instid0(VALU_DEP_1)
	v_or3_b32 v8, v8, v9, v11
.LBB448_3693:                           ;   in Loop: Header=BB448_2342 Depth=1
	s_or_b32 exec_lo, exec_lo, s16
.LBB448_3694:                           ;   in Loop: Header=BB448_2342 Depth=1
	s_delay_alu instid0(SALU_CYCLE_1)
	s_or_b32 exec_lo, exec_lo, s15
.LBB448_3695:                           ;   in Loop: Header=BB448_2342 Depth=1
	s_delay_alu instid0(SALU_CYCLE_1) | instskip(NEXT) | instid1(VALU_DEP_1)
	s_or_b32 exec_lo, exec_lo, s13
	v_mul_f32_e32 v8, v118, v8
                                        ; implicit-def: $vgpr11
	s_delay_alu instid0(VALU_DEP_1) | instskip(NEXT) | instid1(VALU_DEP_1)
	v_and_b32_e32 v9, 0x7f800000, v8
	v_cmp_ne_u32_e64 s0, 0x7f800000, v9
	s_delay_alu instid0(VALU_DEP_1) | instskip(NEXT) | instid1(SALU_CYCLE_1)
	s_and_saveexec_b32 s13, s0
	s_xor_b32 s0, exec_lo, s13
; %bb.3696:                             ;   in Loop: Header=BB448_2342 Depth=1
	v_bfe_u32 v9, v8, 16, 1
	s_delay_alu instid0(VALU_DEP_1)
	v_add3_u32 v11, v8, v9, 0x7fff
                                        ; implicit-def: $vgpr8
; %bb.3697:                             ;   in Loop: Header=BB448_2342 Depth=1
	s_and_not1_saveexec_b32 s13, s0
; %bb.3698:                             ;   in Loop: Header=BB448_2342 Depth=1
	v_and_b32_e32 v9, 0xffff, v8
	v_or_b32_e32 v11, 0x10000, v8
	s_delay_alu instid0(VALU_DEP_2) | instskip(NEXT) | instid1(VALU_DEP_1)
	v_cmp_eq_u32_e64 s0, 0, v9
	v_cndmask_b32_e64 v11, v11, v8, s0
; %bb.3699:                             ;   in Loop: Header=BB448_2342 Depth=1
	s_or_b32 exec_lo, exec_lo, s13
	v_lshrrev_b32_e32 v14, 16, v6
	s_mov_b32 s13, exec_lo
	s_delay_alu instid0(VALU_DEP_1) | instskip(NEXT) | instid1(VALU_DEP_1)
	v_dual_mov_b32 v8, 0 :: v_dual_and_b32 v9, 0xff, v14
	v_cmpx_ne_u16_e32 0, v9
	s_cbranch_execz .LBB448_3707
; %bb.3700:                             ;   in Loop: Header=BB448_2342 Depth=1
	v_bfrev_b32_e32 v8, 1
	s_mov_b32 s15, exec_lo
	v_cmpx_ne_u16_e32 0x80, v9
	s_cbranch_execz .LBB448_3706
; %bb.3701:                             ;   in Loop: Header=BB448_2342 Depth=1
	v_bfe_u32 v9, v6, 16, 7
	v_mov_b32_e32 v8, 0x7f800001
	s_mov_b32 s16, exec_lo
	s_delay_alu instid0(VALU_DEP_2)
	v_cmpx_ne_u32_e32 0x7f, v9
	s_cbranch_execz .LBB448_3705
; %bb.3702:                             ;   in Loop: Header=BB448_2342 Depth=1
	v_and_b32_e32 v12, 7, v14
	v_lshrrev_b32_e32 v15, 3, v9
	v_cmp_gt_u32_e64 s0, 8, v9
	s_delay_alu instid0(VALU_DEP_3) | instskip(NEXT) | instid1(VALU_DEP_2)
	v_dual_mov_b32 v8, v12 :: v_dual_mov_b32 v9, v13
	s_and_saveexec_b32 s17, s0
; %bb.3703:                             ;   in Loop: Header=BB448_2342 Depth=1
	v_clz_i32_u32_e32 v8, v12
	s_delay_alu instid0(VALU_DEP_1) | instskip(NEXT) | instid1(VALU_DEP_1)
	v_min_u32_e32 v15, 32, v8
	v_subrev_nc_u32_e32 v8, 28, v15
	v_sub_nc_u32_e32 v15, 29, v15
	s_delay_alu instid0(VALU_DEP_2) | instskip(NEXT) | instid1(VALU_DEP_1)
	v_lshlrev_b64 v[8:9], v8, v[12:13]
	v_and_b32_e32 v8, 7, v8
; %bb.3704:                             ;   in Loop: Header=BB448_2342 Depth=1
	s_or_b32 exec_lo, exec_lo, s17
	v_lshlrev_b32_e32 v9, 24, v14
	s_delay_alu instid0(VALU_DEP_2) | instskip(SKIP_1) | instid1(VALU_DEP_3)
	v_lshlrev_b32_e32 v8, 20, v8
	v_lshl_add_u32 v12, v15, 23, 0x3c000000
	v_and_b32_e32 v9, 0x80000000, v9
	s_delay_alu instid0(VALU_DEP_1)
	v_or3_b32 v8, v8, v9, v12
.LBB448_3705:                           ;   in Loop: Header=BB448_2342 Depth=1
	s_or_b32 exec_lo, exec_lo, s16
.LBB448_3706:                           ;   in Loop: Header=BB448_2342 Depth=1
	s_delay_alu instid0(SALU_CYCLE_1)
	s_or_b32 exec_lo, exec_lo, s15
.LBB448_3707:                           ;   in Loop: Header=BB448_2342 Depth=1
	s_delay_alu instid0(SALU_CYCLE_1) | instskip(NEXT) | instid1(VALU_DEP_1)
	s_or_b32 exec_lo, exec_lo, s13
	v_mul_f32_e32 v8, v118, v8
                                        ; implicit-def: $vgpr14
	s_delay_alu instid0(VALU_DEP_1) | instskip(NEXT) | instid1(VALU_DEP_1)
	v_and_b32_e32 v9, 0x7f800000, v8
	v_cmp_ne_u32_e64 s0, 0x7f800000, v9
	s_delay_alu instid0(VALU_DEP_1) | instskip(NEXT) | instid1(SALU_CYCLE_1)
	s_and_saveexec_b32 s13, s0
	s_xor_b32 s0, exec_lo, s13
; %bb.3708:                             ;   in Loop: Header=BB448_2342 Depth=1
	v_bfe_u32 v9, v8, 16, 1
	s_delay_alu instid0(VALU_DEP_1)
	v_add3_u32 v14, v8, v9, 0x7fff
                                        ; implicit-def: $vgpr8
; %bb.3709:                             ;   in Loop: Header=BB448_2342 Depth=1
	s_and_not1_saveexec_b32 s13, s0
; %bb.3710:                             ;   in Loop: Header=BB448_2342 Depth=1
	v_and_b32_e32 v9, 0xffff, v8
	v_or_b32_e32 v12, 0x10000, v8
	s_delay_alu instid0(VALU_DEP_2) | instskip(NEXT) | instid1(VALU_DEP_1)
	v_cmp_eq_u32_e64 s0, 0, v9
	v_cndmask_b32_e64 v14, v12, v8, s0
; %bb.3711:                             ;   in Loop: Header=BB448_2342 Depth=1
	s_or_b32 exec_lo, exec_lo, s13
	v_mov_b32_e32 v8, 0
	s_mov_b32 s13, exec_lo
	v_cmpx_lt_u32_e32 0xffffff, v6
	s_cbranch_execz .LBB448_3719
; %bb.3712:                             ;   in Loop: Header=BB448_2342 Depth=1
	v_lshrrev_b32_e32 v15, 24, v6
	v_bfrev_b32_e32 v8, 1
	s_mov_b32 s15, exec_lo
	s_delay_alu instid0(VALU_DEP_2)
	v_cmpx_ne_u32_e32 0x80, v15
	s_cbranch_execz .LBB448_3718
; %bb.3713:                             ;   in Loop: Header=BB448_2342 Depth=1
	v_bfe_u32 v9, v6, 24, 7
	v_mov_b32_e32 v8, 0x7f800001
	s_mov_b32 s16, exec_lo
	s_delay_alu instid0(VALU_DEP_2)
	v_cmpx_ne_u32_e32 0x7f, v9
	s_cbranch_execz .LBB448_3717
; %bb.3714:                             ;   in Loop: Header=BB448_2342 Depth=1
	v_and_b32_e32 v12, 7, v15
	v_lshrrev_b32_e32 v16, 3, v9
	v_cmp_gt_u32_e64 s0, 8, v9
	s_delay_alu instid0(VALU_DEP_3) | instskip(NEXT) | instid1(VALU_DEP_2)
	v_dual_mov_b32 v8, v12 :: v_dual_mov_b32 v9, v13
	s_and_saveexec_b32 s17, s0
; %bb.3715:                             ;   in Loop: Header=BB448_2342 Depth=1
	v_clz_i32_u32_e32 v8, v12
	s_delay_alu instid0(VALU_DEP_1) | instskip(NEXT) | instid1(VALU_DEP_1)
	v_min_u32_e32 v16, 32, v8
	v_subrev_nc_u32_e32 v8, 28, v16
	v_sub_nc_u32_e32 v16, 29, v16
	s_delay_alu instid0(VALU_DEP_2) | instskip(NEXT) | instid1(VALU_DEP_1)
	v_lshlrev_b64 v[8:9], v8, v[12:13]
	v_and_b32_e32 v8, 7, v8
; %bb.3716:                             ;   in Loop: Header=BB448_2342 Depth=1
	s_or_b32 exec_lo, exec_lo, s17
	v_lshlrev_b32_e32 v9, 24, v15
	s_delay_alu instid0(VALU_DEP_2) | instskip(SKIP_1) | instid1(VALU_DEP_3)
	v_lshlrev_b32_e32 v8, 20, v8
	v_lshl_add_u32 v12, v16, 23, 0x3c000000
	v_and_b32_e32 v9, 0x80000000, v9
	s_delay_alu instid0(VALU_DEP_1)
	v_or3_b32 v8, v8, v9, v12
.LBB448_3717:                           ;   in Loop: Header=BB448_2342 Depth=1
	s_or_b32 exec_lo, exec_lo, s16
.LBB448_3718:                           ;   in Loop: Header=BB448_2342 Depth=1
	s_delay_alu instid0(SALU_CYCLE_1)
	s_or_b32 exec_lo, exec_lo, s15
.LBB448_3719:                           ;   in Loop: Header=BB448_2342 Depth=1
	s_delay_alu instid0(SALU_CYCLE_1) | instskip(NEXT) | instid1(VALU_DEP_1)
	s_or_b32 exec_lo, exec_lo, s13
	v_mul_f32_e32 v8, v118, v8
                                        ; implicit-def: $vgpr15
	s_delay_alu instid0(VALU_DEP_1) | instskip(NEXT) | instid1(VALU_DEP_1)
	v_and_b32_e32 v9, 0x7f800000, v8
	v_cmp_ne_u32_e64 s0, 0x7f800000, v9
	s_delay_alu instid0(VALU_DEP_1) | instskip(NEXT) | instid1(SALU_CYCLE_1)
	s_and_saveexec_b32 s13, s0
	s_xor_b32 s0, exec_lo, s13
; %bb.3720:                             ;   in Loop: Header=BB448_2342 Depth=1
	v_bfe_u32 v9, v8, 16, 1
	s_delay_alu instid0(VALU_DEP_1)
	v_add3_u32 v15, v8, v9, 0x7fff
                                        ; implicit-def: $vgpr8
; %bb.3721:                             ;   in Loop: Header=BB448_2342 Depth=1
	s_and_not1_saveexec_b32 s13, s0
; %bb.3722:                             ;   in Loop: Header=BB448_2342 Depth=1
	v_and_b32_e32 v9, 0xffff, v8
	v_or_b32_e32 v12, 0x10000, v8
	s_delay_alu instid0(VALU_DEP_2) | instskip(NEXT) | instid1(VALU_DEP_1)
	v_cmp_eq_u32_e64 s0, 0, v9
	v_cndmask_b32_e64 v15, v12, v8, s0
; %bb.3723:                             ;   in Loop: Header=BB448_2342 Depth=1
	s_or_b32 exec_lo, exec_lo, s13
	v_dual_mov_b32 v12, v7 :: v_dual_and_b32 v9, 0xff, v7
	v_mov_b32_e32 v8, 0
	s_mov_b32 s13, exec_lo
	s_delay_alu instid0(VALU_DEP_2)
	v_cmpx_ne_u16_e32 0, v9
	s_cbranch_execz .LBB448_3731
; %bb.3724:                             ;   in Loop: Header=BB448_2342 Depth=1
	v_bfrev_b32_e32 v8, 1
	s_mov_b32 s15, exec_lo
	v_cmpx_ne_u16_e32 0x80, v9
	s_cbranch_execz .LBB448_3730
; %bb.3725:                             ;   in Loop: Header=BB448_2342 Depth=1
	v_and_b32_e32 v9, 0x7f, v7
	v_mov_b32_e32 v8, 0x7f800001
	s_mov_b32 s16, exec_lo
	s_delay_alu instid0(VALU_DEP_2)
	v_cmpx_ne_u32_e32 0x7f, v9
	s_cbranch_execz .LBB448_3729
; %bb.3726:                             ;   in Loop: Header=BB448_2342 Depth=1
	v_lshrrev_b32_e32 v16, 3, v9
	v_cmp_gt_u32_e64 s0, 8, v9
	v_dual_mov_b32 v8, v12 :: v_dual_mov_b32 v9, v13
	s_delay_alu instid0(VALU_DEP_2)
	s_and_saveexec_b32 s17, s0
; %bb.3727:                             ;   in Loop: Header=BB448_2342 Depth=1
	v_and_b32_e32 v8, 7, v7
	s_delay_alu instid0(VALU_DEP_1) | instskip(NEXT) | instid1(VALU_DEP_1)
	v_clz_i32_u32_e32 v8, v8
	v_min_u32_e32 v16, 32, v8
	s_delay_alu instid0(VALU_DEP_1) | instskip(SKIP_1) | instid1(VALU_DEP_2)
	v_subrev_nc_u32_e32 v8, 28, v16
	v_sub_nc_u32_e32 v16, 29, v16
	v_lshlrev_b64 v[8:9], v8, v[12:13]
; %bb.3728:                             ;   in Loop: Header=BB448_2342 Depth=1
	s_or_b32 exec_lo, exec_lo, s17
	s_delay_alu instid0(VALU_DEP_1) | instskip(SKIP_2) | instid1(VALU_DEP_3)
	v_lshlrev_b32_e32 v8, 20, v8
	v_lshlrev_b32_e32 v9, 24, v12
	v_lshl_add_u32 v16, v16, 23, 0x3c000000
	v_and_b32_e32 v8, 0x700000, v8
	s_delay_alu instid0(VALU_DEP_3) | instskip(NEXT) | instid1(VALU_DEP_1)
	v_and_b32_e32 v9, 0x80000000, v9
	v_or3_b32 v8, v8, v9, v16
.LBB448_3729:                           ;   in Loop: Header=BB448_2342 Depth=1
	s_or_b32 exec_lo, exec_lo, s16
.LBB448_3730:                           ;   in Loop: Header=BB448_2342 Depth=1
	s_delay_alu instid0(SALU_CYCLE_1)
	s_or_b32 exec_lo, exec_lo, s15
.LBB448_3731:                           ;   in Loop: Header=BB448_2342 Depth=1
	s_delay_alu instid0(SALU_CYCLE_1) | instskip(NEXT) | instid1(VALU_DEP_1)
	s_or_b32 exec_lo, exec_lo, s13
	v_mul_f32_e32 v8, v118, v8
                                        ; implicit-def: $vgpr16
	s_delay_alu instid0(VALU_DEP_1) | instskip(NEXT) | instid1(VALU_DEP_1)
	v_and_b32_e32 v9, 0x7f800000, v8
	v_cmp_ne_u32_e64 s0, 0x7f800000, v9
	s_delay_alu instid0(VALU_DEP_1) | instskip(NEXT) | instid1(SALU_CYCLE_1)
	s_and_saveexec_b32 s13, s0
	s_xor_b32 s0, exec_lo, s13
; %bb.3732:                             ;   in Loop: Header=BB448_2342 Depth=1
	v_bfe_u32 v9, v8, 16, 1
	s_delay_alu instid0(VALU_DEP_1)
	v_add3_u32 v16, v8, v9, 0x7fff
                                        ; implicit-def: $vgpr8
; %bb.3733:                             ;   in Loop: Header=BB448_2342 Depth=1
	s_and_not1_saveexec_b32 s13, s0
; %bb.3734:                             ;   in Loop: Header=BB448_2342 Depth=1
	v_and_b32_e32 v9, 0xffff, v8
	v_or_b32_e32 v16, 0x10000, v8
	s_delay_alu instid0(VALU_DEP_2) | instskip(NEXT) | instid1(VALU_DEP_1)
	v_cmp_eq_u32_e64 s0, 0, v9
	v_cndmask_b32_e64 v16, v16, v8, s0
; %bb.3735:                             ;   in Loop: Header=BB448_2342 Depth=1
	s_or_b32 exec_lo, exec_lo, s13
	v_lshrrev_b16 v9, 8, v12
	v_mov_b32_e32 v8, 0
	s_mov_b32 s13, exec_lo
	s_delay_alu instid0(VALU_DEP_2)
	v_cmpx_ne_u16_e32 0, v9
	s_cbranch_execz .LBB448_3743
; %bb.3736:                             ;   in Loop: Header=BB448_2342 Depth=1
	v_bfrev_b32_e32 v8, 1
	s_mov_b32 s15, exec_lo
	v_cmpx_ne_u16_e32 0x80, v9
	s_cbranch_execz .LBB448_3742
; %bb.3737:                             ;   in Loop: Header=BB448_2342 Depth=1
	v_and_b32_e32 v9, 0xffff, v9
	v_mov_b32_e32 v8, 0x7f800001
	s_mov_b32 s16, exec_lo
	s_delay_alu instid0(VALU_DEP_2) | instskip(NEXT) | instid1(VALU_DEP_1)
	v_and_b32_e32 v19, 0x7f, v9
	v_cmpx_ne_u32_e32 0x7f, v19
	s_cbranch_execz .LBB448_3741
; %bb.3738:                             ;   in Loop: Header=BB448_2342 Depth=1
	v_dual_mov_b32 v9, v13 :: v_dual_and_b32 v8, 7, v9
	v_lshrrev_b32_e32 v18, 3, v19
	s_mov_b32 s17, exec_lo
	v_cmpx_gt_u32_e32 8, v19
; %bb.3739:                             ;   in Loop: Header=BB448_2342 Depth=1
	s_delay_alu instid0(VALU_DEP_3) | instskip(NEXT) | instid1(VALU_DEP_1)
	v_clz_i32_u32_e32 v18, v8
	v_min_u32_e32 v18, 32, v18
	s_delay_alu instid0(VALU_DEP_1) | instskip(SKIP_1) | instid1(VALU_DEP_2)
	v_subrev_nc_u32_e32 v19, 28, v18
	v_sub_nc_u32_e32 v18, 29, v18
	v_lshlrev_b64 v[8:9], v19, v[8:9]
	s_delay_alu instid0(VALU_DEP_1)
	v_and_b32_e32 v8, 7, v8
; %bb.3740:                             ;   in Loop: Header=BB448_2342 Depth=1
	s_or_b32 exec_lo, exec_lo, s17
	v_lshlrev_b32_e32 v9, 16, v12
	s_delay_alu instid0(VALU_DEP_2) | instskip(SKIP_1) | instid1(VALU_DEP_3)
	v_lshlrev_b32_e32 v8, 20, v8
	v_lshl_add_u32 v12, v18, 23, 0x3c000000
	v_and_b32_e32 v9, 0x80000000, v9
	s_delay_alu instid0(VALU_DEP_1)
	v_or3_b32 v8, v8, v9, v12
.LBB448_3741:                           ;   in Loop: Header=BB448_2342 Depth=1
	s_or_b32 exec_lo, exec_lo, s16
.LBB448_3742:                           ;   in Loop: Header=BB448_2342 Depth=1
	s_delay_alu instid0(SALU_CYCLE_1)
	s_or_b32 exec_lo, exec_lo, s15
.LBB448_3743:                           ;   in Loop: Header=BB448_2342 Depth=1
	s_delay_alu instid0(SALU_CYCLE_1) | instskip(NEXT) | instid1(VALU_DEP_1)
	s_or_b32 exec_lo, exec_lo, s13
	v_mul_f32_e32 v8, v118, v8
                                        ; implicit-def: $vgpr18
	s_delay_alu instid0(VALU_DEP_1) | instskip(NEXT) | instid1(VALU_DEP_1)
	v_and_b32_e32 v9, 0x7f800000, v8
	v_cmp_ne_u32_e64 s0, 0x7f800000, v9
	s_delay_alu instid0(VALU_DEP_1) | instskip(NEXT) | instid1(SALU_CYCLE_1)
	s_and_saveexec_b32 s13, s0
	s_xor_b32 s0, exec_lo, s13
; %bb.3744:                             ;   in Loop: Header=BB448_2342 Depth=1
	v_bfe_u32 v9, v8, 16, 1
	s_delay_alu instid0(VALU_DEP_1)
	v_add3_u32 v18, v8, v9, 0x7fff
                                        ; implicit-def: $vgpr8
; %bb.3745:                             ;   in Loop: Header=BB448_2342 Depth=1
	s_and_not1_saveexec_b32 s13, s0
; %bb.3746:                             ;   in Loop: Header=BB448_2342 Depth=1
	v_and_b32_e32 v9, 0xffff, v8
	v_or_b32_e32 v12, 0x10000, v8
	s_delay_alu instid0(VALU_DEP_2) | instskip(NEXT) | instid1(VALU_DEP_1)
	v_cmp_eq_u32_e64 s0, 0, v9
	v_cndmask_b32_e64 v18, v12, v8, s0
; %bb.3747:                             ;   in Loop: Header=BB448_2342 Depth=1
	s_or_b32 exec_lo, exec_lo, s13
	v_lshrrev_b32_e32 v19, 16, v7
	s_mov_b32 s13, exec_lo
	s_delay_alu instid0(VALU_DEP_1) | instskip(NEXT) | instid1(VALU_DEP_1)
	v_dual_mov_b32 v8, 0 :: v_dual_and_b32 v9, 0xff, v19
	v_cmpx_ne_u16_e32 0, v9
	s_cbranch_execz .LBB448_3755
; %bb.3748:                             ;   in Loop: Header=BB448_2342 Depth=1
	v_bfrev_b32_e32 v8, 1
	s_mov_b32 s15, exec_lo
	v_cmpx_ne_u16_e32 0x80, v9
	s_cbranch_execz .LBB448_3754
; %bb.3749:                             ;   in Loop: Header=BB448_2342 Depth=1
	v_bfe_u32 v9, v7, 16, 7
	v_mov_b32_e32 v8, 0x7f800001
	s_mov_b32 s16, exec_lo
	s_delay_alu instid0(VALU_DEP_2)
	v_cmpx_ne_u32_e32 0x7f, v9
	s_cbranch_execz .LBB448_3753
; %bb.3750:                             ;   in Loop: Header=BB448_2342 Depth=1
	v_and_b32_e32 v12, 7, v19
	v_lshrrev_b32_e32 v20, 3, v9
	v_cmp_gt_u32_e64 s0, 8, v9
	s_delay_alu instid0(VALU_DEP_3) | instskip(NEXT) | instid1(VALU_DEP_2)
	v_dual_mov_b32 v8, v12 :: v_dual_mov_b32 v9, v13
	s_and_saveexec_b32 s17, s0
; %bb.3751:                             ;   in Loop: Header=BB448_2342 Depth=1
	v_clz_i32_u32_e32 v8, v12
	s_delay_alu instid0(VALU_DEP_1) | instskip(NEXT) | instid1(VALU_DEP_1)
	v_min_u32_e32 v20, 32, v8
	v_subrev_nc_u32_e32 v8, 28, v20
	v_sub_nc_u32_e32 v20, 29, v20
	s_delay_alu instid0(VALU_DEP_2) | instskip(NEXT) | instid1(VALU_DEP_1)
	v_lshlrev_b64 v[8:9], v8, v[12:13]
	v_and_b32_e32 v8, 7, v8
; %bb.3752:                             ;   in Loop: Header=BB448_2342 Depth=1
	s_or_b32 exec_lo, exec_lo, s17
	v_lshlrev_b32_e32 v9, 24, v19
	s_delay_alu instid0(VALU_DEP_2) | instskip(SKIP_1) | instid1(VALU_DEP_3)
	v_lshlrev_b32_e32 v8, 20, v8
	v_lshl_add_u32 v12, v20, 23, 0x3c000000
	v_and_b32_e32 v9, 0x80000000, v9
	s_delay_alu instid0(VALU_DEP_1)
	v_or3_b32 v8, v8, v9, v12
.LBB448_3753:                           ;   in Loop: Header=BB448_2342 Depth=1
	s_or_b32 exec_lo, exec_lo, s16
.LBB448_3754:                           ;   in Loop: Header=BB448_2342 Depth=1
	s_delay_alu instid0(SALU_CYCLE_1)
	s_or_b32 exec_lo, exec_lo, s15
.LBB448_3755:                           ;   in Loop: Header=BB448_2342 Depth=1
	s_delay_alu instid0(SALU_CYCLE_1) | instskip(NEXT) | instid1(VALU_DEP_1)
	s_or_b32 exec_lo, exec_lo, s13
	v_mul_f32_e32 v8, v118, v8
                                        ; implicit-def: $vgpr19
	s_delay_alu instid0(VALU_DEP_1) | instskip(NEXT) | instid1(VALU_DEP_1)
	v_and_b32_e32 v9, 0x7f800000, v8
	v_cmp_ne_u32_e64 s0, 0x7f800000, v9
	s_delay_alu instid0(VALU_DEP_1) | instskip(NEXT) | instid1(SALU_CYCLE_1)
	s_and_saveexec_b32 s13, s0
	s_xor_b32 s0, exec_lo, s13
; %bb.3756:                             ;   in Loop: Header=BB448_2342 Depth=1
	v_bfe_u32 v9, v8, 16, 1
	s_delay_alu instid0(VALU_DEP_1)
	v_add3_u32 v19, v8, v9, 0x7fff
                                        ; implicit-def: $vgpr8
; %bb.3757:                             ;   in Loop: Header=BB448_2342 Depth=1
	s_and_not1_saveexec_b32 s13, s0
; %bb.3758:                             ;   in Loop: Header=BB448_2342 Depth=1
	v_and_b32_e32 v9, 0xffff, v8
	v_or_b32_e32 v12, 0x10000, v8
	s_delay_alu instid0(VALU_DEP_2) | instskip(NEXT) | instid1(VALU_DEP_1)
	v_cmp_eq_u32_e64 s0, 0, v9
	v_cndmask_b32_e64 v19, v12, v8, s0
; %bb.3759:                             ;   in Loop: Header=BB448_2342 Depth=1
	s_or_b32 exec_lo, exec_lo, s13
	v_cmp_lt_u64_e64 s0, s[8:9], v[6:7]
	v_mov_b32_e32 v6, 0
	s_delay_alu instid0(VALU_DEP_2)
	s_and_saveexec_b32 s13, s0
	s_cbranch_execz .LBB448_3767
; %bb.3760:                             ;   in Loop: Header=BB448_2342 Depth=1
	v_lshrrev_b32_e32 v8, 24, v7
	v_bfrev_b32_e32 v6, 1
	s_mov_b32 s15, exec_lo
	s_delay_alu instid0(VALU_DEP_2)
	v_cmpx_ne_u32_e32 0x80, v8
	s_cbranch_execz .LBB448_3766
; %bb.3761:                             ;   in Loop: Header=BB448_2342 Depth=1
	v_bfe_u32 v7, v7, 24, 7
	v_mov_b32_e32 v6, 0x7f800001
	s_mov_b32 s16, exec_lo
	s_delay_alu instid0(VALU_DEP_2)
	v_cmpx_ne_u32_e32 0x7f, v7
	s_cbranch_execz .LBB448_3765
; %bb.3762:                             ;   in Loop: Header=BB448_2342 Depth=1
	v_and_b32_e32 v12, 7, v8
	v_lshrrev_b32_e32 v9, 3, v7
	v_cmp_gt_u32_e64 s0, 8, v7
	s_delay_alu instid0(VALU_DEP_3) | instskip(NEXT) | instid1(VALU_DEP_2)
	v_dual_mov_b32 v6, v12 :: v_dual_mov_b32 v7, v13
	s_and_saveexec_b32 s17, s0
; %bb.3763:                             ;   in Loop: Header=BB448_2342 Depth=1
	v_clz_i32_u32_e32 v6, v12
	s_delay_alu instid0(VALU_DEP_1) | instskip(NEXT) | instid1(VALU_DEP_1)
	v_min_u32_e32 v9, 32, v6
	v_subrev_nc_u32_e32 v6, 28, v9
	v_sub_nc_u32_e32 v9, 29, v9
	s_delay_alu instid0(VALU_DEP_2) | instskip(NEXT) | instid1(VALU_DEP_1)
	v_lshlrev_b64 v[6:7], v6, v[12:13]
	v_and_b32_e32 v6, 7, v6
; %bb.3764:                             ;   in Loop: Header=BB448_2342 Depth=1
	s_or_b32 exec_lo, exec_lo, s17
	v_lshlrev_b32_e32 v7, 24, v8
	s_delay_alu instid0(VALU_DEP_2) | instskip(SKIP_1) | instid1(VALU_DEP_3)
	v_lshlrev_b32_e32 v6, 20, v6
	v_lshl_add_u32 v8, v9, 23, 0x3c000000
	v_and_b32_e32 v7, 0x80000000, v7
	s_delay_alu instid0(VALU_DEP_1)
	v_or3_b32 v6, v6, v7, v8
.LBB448_3765:                           ;   in Loop: Header=BB448_2342 Depth=1
	s_or_b32 exec_lo, exec_lo, s16
.LBB448_3766:                           ;   in Loop: Header=BB448_2342 Depth=1
	s_delay_alu instid0(SALU_CYCLE_1)
	s_or_b32 exec_lo, exec_lo, s15
.LBB448_3767:                           ;   in Loop: Header=BB448_2342 Depth=1
	s_delay_alu instid0(SALU_CYCLE_1) | instskip(NEXT) | instid1(VALU_DEP_1)
	s_or_b32 exec_lo, exec_lo, s13
	v_mul_f32_e32 v7, v118, v6
	s_delay_alu instid0(VALU_DEP_1) | instskip(NEXT) | instid1(VALU_DEP_1)
	v_and_b32_e32 v6, 0x7f800000, v7
	v_cmp_ne_u32_e64 s0, 0x7f800000, v6
                                        ; implicit-def: $vgpr6
	s_delay_alu instid0(VALU_DEP_1) | instskip(NEXT) | instid1(SALU_CYCLE_1)
	s_and_saveexec_b32 s13, s0
	s_xor_b32 s0, exec_lo, s13
; %bb.3768:                             ;   in Loop: Header=BB448_2342 Depth=1
	v_bfe_u32 v6, v7, 16, 1
	s_delay_alu instid0(VALU_DEP_1)
	v_add3_u32 v6, v7, v6, 0x7fff
                                        ; implicit-def: $vgpr7
; %bb.3769:                             ;   in Loop: Header=BB448_2342 Depth=1
	s_and_not1_saveexec_b32 s13, s0
; %bb.3770:                             ;   in Loop: Header=BB448_2342 Depth=1
	v_and_b32_e32 v6, 0xffff, v7
	v_or_b32_e32 v8, 0x10000, v7
	s_delay_alu instid0(VALU_DEP_2) | instskip(NEXT) | instid1(VALU_DEP_1)
	v_cmp_eq_u32_e64 s0, 0, v6
	v_cndmask_b32_e64 v6, v8, v7, s0
; %bb.3771:                             ;   in Loop: Header=BB448_2342 Depth=1
	s_or_b32 exec_lo, exec_lo, s13
	v_lshrrev_b32_e32 v8, 16, v18
	v_lshrrev_b32_e32 v9, 16, v16
	;; [unrolled: 1-line block ×8, first 2 shown]
	s_and_saveexec_b32 s13, vcc_lo
	s_cbranch_execz .LBB448_3773
; %bb.3772:                             ;   in Loop: Header=BB448_2342 Depth=1
	v_cmp_lt_i32_e64 s0, v102, v36
	s_delay_alu instid0(VALU_DEP_1) | instskip(SKIP_1) | instid1(VALU_DEP_1)
	v_cndmask_b32_e64 v10, 0, v10, s0
	v_cmp_lt_i32_e64 s0, v133, v36
	v_cndmask_b32_e64 v11, 0, v11, s0
	v_cmp_lt_i32_e64 s0, v132, v36
	s_delay_alu instid0(VALU_DEP_1) | instskip(SKIP_1) | instid1(VALU_DEP_1)
	v_cndmask_b32_e64 v14, 0, v14, s0
	v_cmp_lt_i32_e64 s0, v131, v36
	v_cndmask_b32_e64 v12, 0, v12, s0
	;; [unrolled: 5-line block ×4, first 2 shown]
.LBB448_3773:                           ;   in Loop: Header=BB448_2342 Depth=1
	s_or_b32 exec_lo, exec_lo, s13
	v_lshlrev_b32_e32 v10, 16, v10
                                        ; implicit-def: $vgpr137
	s_delay_alu instid0(VALU_DEP_1) | instskip(NEXT) | instid1(VALU_DEP_1)
	v_mul_f32_e32 v10, v134, v10
	v_and_b32_e32 v15, 0x7f800000, v10
	s_delay_alu instid0(VALU_DEP_1) | instskip(NEXT) | instid1(VALU_DEP_1)
	v_cmp_ne_u32_e64 s0, 0x7f800000, v15
	s_and_saveexec_b32 s13, s0
	s_delay_alu instid0(SALU_CYCLE_1)
	s_xor_b32 s0, exec_lo, s13
; %bb.3774:                             ;   in Loop: Header=BB448_2342 Depth=1
	v_bfe_u32 v15, v10, 16, 1
	s_delay_alu instid0(VALU_DEP_1)
	v_add3_u32 v137, v10, v15, 0x7fff
                                        ; implicit-def: $vgpr10
; %bb.3775:                             ;   in Loop: Header=BB448_2342 Depth=1
	s_and_not1_saveexec_b32 s13, s0
; %bb.3776:                             ;   in Loop: Header=BB448_2342 Depth=1
	v_and_b32_e32 v15, 0xffff, v10
	v_or_b32_e32 v16, 0x10000, v10
	s_delay_alu instid0(VALU_DEP_2) | instskip(NEXT) | instid1(VALU_DEP_1)
	v_cmp_eq_u32_e64 s0, 0, v15
	v_cndmask_b32_e64 v137, v16, v10, s0
; %bb.3777:                             ;   in Loop: Header=BB448_2342 Depth=1
	s_or_b32 exec_lo, exec_lo, s13
	v_lshlrev_b32_e32 v10, 16, v11
                                        ; implicit-def: $vgpr138
	s_delay_alu instid0(VALU_DEP_1) | instskip(NEXT) | instid1(VALU_DEP_1)
	v_mul_f32_e32 v10, v135, v10
	v_and_b32_e32 v11, 0x7f800000, v10
	s_delay_alu instid0(VALU_DEP_1) | instskip(NEXT) | instid1(VALU_DEP_1)
	v_cmp_ne_u32_e64 s0, 0x7f800000, v11
	s_and_saveexec_b32 s13, s0
	s_delay_alu instid0(SALU_CYCLE_1)
	s_xor_b32 s0, exec_lo, s13
; %bb.3778:                             ;   in Loop: Header=BB448_2342 Depth=1
	v_bfe_u32 v11, v10, 16, 1
	s_delay_alu instid0(VALU_DEP_1)
	v_add3_u32 v138, v10, v11, 0x7fff
                                        ; implicit-def: $vgpr10
; %bb.3779:                             ;   in Loop: Header=BB448_2342 Depth=1
	s_and_not1_saveexec_b32 s13, s0
; %bb.3780:                             ;   in Loop: Header=BB448_2342 Depth=1
	v_and_b32_e32 v11, 0xffff, v10
	v_or_b32_e32 v15, 0x10000, v10
	s_delay_alu instid0(VALU_DEP_2) | instskip(NEXT) | instid1(VALU_DEP_1)
	v_cmp_eq_u32_e64 s0, 0, v11
	v_cndmask_b32_e64 v138, v15, v10, s0
; %bb.3781:                             ;   in Loop: Header=BB448_2342 Depth=1
	s_or_b32 exec_lo, exec_lo, s13
	v_lshlrev_b32_e32 v10, 16, v14
                                        ; implicit-def: $vgpr139
	s_delay_alu instid0(VALU_DEP_1) | instskip(NEXT) | instid1(VALU_DEP_1)
	v_mul_f32_e32 v10, v144, v10
	v_and_b32_e32 v11, 0x7f800000, v10
	s_delay_alu instid0(VALU_DEP_1) | instskip(NEXT) | instid1(VALU_DEP_1)
	v_cmp_ne_u32_e64 s0, 0x7f800000, v11
	s_and_saveexec_b32 s13, s0
	s_delay_alu instid0(SALU_CYCLE_1)
	s_xor_b32 s0, exec_lo, s13
; %bb.3782:                             ;   in Loop: Header=BB448_2342 Depth=1
	v_bfe_u32 v11, v10, 16, 1
	s_delay_alu instid0(VALU_DEP_1)
	v_add3_u32 v139, v10, v11, 0x7fff
                                        ; implicit-def: $vgpr10
; %bb.3783:                             ;   in Loop: Header=BB448_2342 Depth=1
	s_and_not1_saveexec_b32 s13, s0
; %bb.3784:                             ;   in Loop: Header=BB448_2342 Depth=1
	v_and_b32_e32 v11, 0xffff, v10
	v_or_b32_e32 v14, 0x10000, v10
	s_delay_alu instid0(VALU_DEP_2) | instskip(NEXT) | instid1(VALU_DEP_1)
	v_cmp_eq_u32_e64 s0, 0, v11
	v_cndmask_b32_e64 v139, v14, v10, s0
; %bb.3785:                             ;   in Loop: Header=BB448_2342 Depth=1
	s_or_b32 exec_lo, exec_lo, s13
	v_lshlrev_b32_e32 v10, 16, v12
                                        ; implicit-def: $vgpr140
	s_delay_alu instid0(VALU_DEP_1) | instskip(NEXT) | instid1(VALU_DEP_1)
	v_mul_f32_e32 v10, v145, v10
	v_and_b32_e32 v11, 0x7f800000, v10
	s_delay_alu instid0(VALU_DEP_1) | instskip(NEXT) | instid1(VALU_DEP_1)
	v_cmp_ne_u32_e64 s0, 0x7f800000, v11
	s_and_saveexec_b32 s13, s0
	s_delay_alu instid0(SALU_CYCLE_1)
	s_xor_b32 s0, exec_lo, s13
; %bb.3786:                             ;   in Loop: Header=BB448_2342 Depth=1
	v_bfe_u32 v11, v10, 16, 1
	s_delay_alu instid0(VALU_DEP_1)
	v_add3_u32 v140, v10, v11, 0x7fff
                                        ; implicit-def: $vgpr10
; %bb.3787:                             ;   in Loop: Header=BB448_2342 Depth=1
	s_and_not1_saveexec_b32 s13, s0
; %bb.3788:                             ;   in Loop: Header=BB448_2342 Depth=1
	v_and_b32_e32 v11, 0xffff, v10
	v_or_b32_e32 v12, 0x10000, v10
	s_delay_alu instid0(VALU_DEP_2) | instskip(NEXT) | instid1(VALU_DEP_1)
	v_cmp_eq_u32_e64 s0, 0, v11
	v_cndmask_b32_e64 v140, v12, v10, s0
; %bb.3789:                             ;   in Loop: Header=BB448_2342 Depth=1
	s_or_b32 exec_lo, exec_lo, s13
	v_lshlrev_b32_e32 v9, 16, v9
                                        ; implicit-def: $vgpr141
	s_delay_alu instid0(VALU_DEP_1) | instskip(NEXT) | instid1(VALU_DEP_1)
	v_mul_f32_e32 v9, v146, v9
	v_and_b32_e32 v10, 0x7f800000, v9
	s_delay_alu instid0(VALU_DEP_1) | instskip(NEXT) | instid1(VALU_DEP_1)
	v_cmp_ne_u32_e64 s0, 0x7f800000, v10
	s_and_saveexec_b32 s13, s0
	s_delay_alu instid0(SALU_CYCLE_1)
	s_xor_b32 s0, exec_lo, s13
; %bb.3790:                             ;   in Loop: Header=BB448_2342 Depth=1
	v_bfe_u32 v10, v9, 16, 1
	s_delay_alu instid0(VALU_DEP_1)
	v_add3_u32 v141, v9, v10, 0x7fff
                                        ; implicit-def: $vgpr9
; %bb.3791:                             ;   in Loop: Header=BB448_2342 Depth=1
	s_and_not1_saveexec_b32 s13, s0
; %bb.3792:                             ;   in Loop: Header=BB448_2342 Depth=1
	v_and_b32_e32 v10, 0xffff, v9
	v_or_b32_e32 v11, 0x10000, v9
	s_delay_alu instid0(VALU_DEP_2) | instskip(NEXT) | instid1(VALU_DEP_1)
	v_cmp_eq_u32_e64 s0, 0, v10
	v_cndmask_b32_e64 v141, v11, v9, s0
; %bb.3793:                             ;   in Loop: Header=BB448_2342 Depth=1
	s_or_b32 exec_lo, exec_lo, s13
	v_lshlrev_b32_e32 v8, 16, v8
                                        ; implicit-def: $vgpr143
	s_delay_alu instid0(VALU_DEP_1) | instskip(NEXT) | instid1(VALU_DEP_1)
	v_mul_f32_e32 v8, v147, v8
	v_and_b32_e32 v9, 0x7f800000, v8
	s_delay_alu instid0(VALU_DEP_1) | instskip(NEXT) | instid1(VALU_DEP_1)
	v_cmp_ne_u32_e64 s0, 0x7f800000, v9
	s_and_saveexec_b32 s13, s0
	s_delay_alu instid0(SALU_CYCLE_1)
	s_xor_b32 s0, exec_lo, s13
; %bb.3794:                             ;   in Loop: Header=BB448_2342 Depth=1
	v_bfe_u32 v9, v8, 16, 1
	s_delay_alu instid0(VALU_DEP_1)
	v_add3_u32 v143, v8, v9, 0x7fff
                                        ; implicit-def: $vgpr8
; %bb.3795:                             ;   in Loop: Header=BB448_2342 Depth=1
	s_and_not1_saveexec_b32 s13, s0
; %bb.3796:                             ;   in Loop: Header=BB448_2342 Depth=1
	v_and_b32_e32 v9, 0xffff, v8
	v_or_b32_e32 v10, 0x10000, v8
	s_delay_alu instid0(VALU_DEP_2) | instskip(NEXT) | instid1(VALU_DEP_1)
	v_cmp_eq_u32_e64 s0, 0, v9
	v_cndmask_b32_e64 v143, v10, v8, s0
; %bb.3797:                             ;   in Loop: Header=BB448_2342 Depth=1
	s_or_b32 exec_lo, exec_lo, s13
	v_lshlrev_b32_e32 v7, 16, v7
                                        ; implicit-def: $vgpr142
	s_delay_alu instid0(VALU_DEP_1) | instskip(NEXT) | instid1(VALU_DEP_1)
	v_mul_f32_e32 v7, v148, v7
	v_and_b32_e32 v8, 0x7f800000, v7
	s_delay_alu instid0(VALU_DEP_1) | instskip(NEXT) | instid1(VALU_DEP_1)
	v_cmp_ne_u32_e64 s0, 0x7f800000, v8
	s_and_saveexec_b32 s13, s0
	s_delay_alu instid0(SALU_CYCLE_1)
	s_xor_b32 s0, exec_lo, s13
; %bb.3798:                             ;   in Loop: Header=BB448_2342 Depth=1
	v_bfe_u32 v8, v7, 16, 1
	s_delay_alu instid0(VALU_DEP_1)
	v_add3_u32 v142, v7, v8, 0x7fff
                                        ; implicit-def: $vgpr7
; %bb.3799:                             ;   in Loop: Header=BB448_2342 Depth=1
	s_and_not1_saveexec_b32 s13, s0
; %bb.3800:                             ;   in Loop: Header=BB448_2342 Depth=1
	v_and_b32_e32 v8, 0xffff, v7
	v_or_b32_e32 v9, 0x10000, v7
	s_delay_alu instid0(VALU_DEP_2) | instskip(NEXT) | instid1(VALU_DEP_1)
	v_cmp_eq_u32_e64 s0, 0, v8
	v_cndmask_b32_e64 v142, v9, v7, s0
; %bb.3801:                             ;   in Loop: Header=BB448_2342 Depth=1
	s_or_b32 exec_lo, exec_lo, s13
	v_lshlrev_b32_e32 v6, 16, v6
                                        ; implicit-def: $vgpr152
	s_delay_alu instid0(VALU_DEP_1) | instskip(NEXT) | instid1(VALU_DEP_1)
	v_mul_f32_e32 v6, v149, v6
	v_and_b32_e32 v7, 0x7f800000, v6
	s_delay_alu instid0(VALU_DEP_1) | instskip(NEXT) | instid1(VALU_DEP_1)
	v_cmp_ne_u32_e64 s0, 0x7f800000, v7
	s_and_saveexec_b32 s13, s0
	s_delay_alu instid0(SALU_CYCLE_1)
	s_xor_b32 s0, exec_lo, s13
; %bb.3802:                             ;   in Loop: Header=BB448_2342 Depth=1
	v_bfe_u32 v7, v6, 16, 1
	s_delay_alu instid0(VALU_DEP_1)
	v_add3_u32 v152, v6, v7, 0x7fff
                                        ; implicit-def: $vgpr6
; %bb.3803:                             ;   in Loop: Header=BB448_2342 Depth=1
	s_and_not1_saveexec_b32 s13, s0
; %bb.3804:                             ;   in Loop: Header=BB448_2342 Depth=1
	v_and_b32_e32 v7, 0xffff, v6
	v_or_b32_e32 v8, 0x10000, v6
	s_delay_alu instid0(VALU_DEP_2) | instskip(NEXT) | instid1(VALU_DEP_1)
	v_cmp_eq_u32_e64 s0, 0, v7
	v_cndmask_b32_e64 v152, v8, v6, s0
; %bb.3805:                             ;   in Loop: Header=BB448_2342 Depth=1
	s_or_b32 exec_lo, exec_lo, s13
	flat_load_b64 v[6:7], v[2:3] offset:2816
	s_mov_b32 s13, exec_lo
	s_waitcnt vmcnt(0) lgkmcnt(0)
	v_dual_mov_b32 v8, 0 :: v_dual_and_b32 v9, 0xff, v6
	s_delay_alu instid0(VALU_DEP_1)
	v_cmpx_ne_u16_e32 0, v9
	s_cbranch_execz .LBB448_3813
; %bb.3806:                             ;   in Loop: Header=BB448_2342 Depth=1
	v_bfrev_b32_e32 v8, 1
	s_mov_b32 s15, exec_lo
	v_cmpx_ne_u16_e32 0x80, v9
	s_cbranch_execz .LBB448_3812
; %bb.3807:                             ;   in Loop: Header=BB448_2342 Depth=1
	v_and_b32_e32 v9, 0x7f, v6
	v_mov_b32_e32 v8, 0x7f800001
	s_mov_b32 s16, exec_lo
	s_delay_alu instid0(VALU_DEP_2)
	v_cmpx_ne_u32_e32 0x7f, v9
	s_cbranch_execz .LBB448_3811
; %bb.3808:                             ;   in Loop: Header=BB448_2342 Depth=1
	v_lshrrev_b32_e32 v10, 3, v9
	v_cmp_gt_u32_e64 s0, 8, v9
	v_dual_mov_b32 v9, v7 :: v_dual_mov_b32 v8, v6
	s_delay_alu instid0(VALU_DEP_2)
	s_and_saveexec_b32 s17, s0
; %bb.3809:                             ;   in Loop: Header=BB448_2342 Depth=1
	v_and_b32_e32 v8, 7, v6
	s_delay_alu instid0(VALU_DEP_1) | instskip(NEXT) | instid1(VALU_DEP_1)
	v_clz_i32_u32_e32 v8, v8
	v_min_u32_e32 v10, 32, v8
	s_delay_alu instid0(VALU_DEP_1) | instskip(SKIP_1) | instid1(VALU_DEP_2)
	v_subrev_nc_u32_e32 v8, 28, v10
	v_sub_nc_u32_e32 v10, 29, v10
	v_lshlrev_b64 v[8:9], v8, v[6:7]
; %bb.3810:                             ;   in Loop: Header=BB448_2342 Depth=1
	s_or_b32 exec_lo, exec_lo, s17
	s_delay_alu instid0(VALU_DEP_1) | instskip(SKIP_2) | instid1(VALU_DEP_3)
	v_lshlrev_b32_e32 v8, 20, v8
	v_lshlrev_b32_e32 v9, 24, v6
	v_lshl_add_u32 v10, v10, 23, 0x3c000000
	v_and_b32_e32 v8, 0x700000, v8
	s_delay_alu instid0(VALU_DEP_3) | instskip(NEXT) | instid1(VALU_DEP_1)
	v_and_b32_e32 v9, 0x80000000, v9
	v_or3_b32 v8, v8, v9, v10
.LBB448_3811:                           ;   in Loop: Header=BB448_2342 Depth=1
	s_or_b32 exec_lo, exec_lo, s16
.LBB448_3812:                           ;   in Loop: Header=BB448_2342 Depth=1
	s_delay_alu instid0(SALU_CYCLE_1)
	s_or_b32 exec_lo, exec_lo, s15
.LBB448_3813:                           ;   in Loop: Header=BB448_2342 Depth=1
	s_delay_alu instid0(SALU_CYCLE_1) | instskip(NEXT) | instid1(VALU_DEP_1)
	s_or_b32 exec_lo, exec_lo, s13
	v_mul_f32_e32 v8, v118, v8
                                        ; implicit-def: $vgpr10
	s_delay_alu instid0(VALU_DEP_1) | instskip(NEXT) | instid1(VALU_DEP_1)
	v_and_b32_e32 v9, 0x7f800000, v8
	v_cmp_ne_u32_e64 s0, 0x7f800000, v9
	s_delay_alu instid0(VALU_DEP_1) | instskip(NEXT) | instid1(SALU_CYCLE_1)
	s_and_saveexec_b32 s13, s0
	s_xor_b32 s0, exec_lo, s13
; %bb.3814:                             ;   in Loop: Header=BB448_2342 Depth=1
	v_bfe_u32 v9, v8, 16, 1
	s_delay_alu instid0(VALU_DEP_1)
	v_add3_u32 v10, v8, v9, 0x7fff
                                        ; implicit-def: $vgpr8
; %bb.3815:                             ;   in Loop: Header=BB448_2342 Depth=1
	s_and_not1_saveexec_b32 s13, s0
; %bb.3816:                             ;   in Loop: Header=BB448_2342 Depth=1
	v_and_b32_e32 v9, 0xffff, v8
	v_or_b32_e32 v10, 0x10000, v8
	s_delay_alu instid0(VALU_DEP_2) | instskip(NEXT) | instid1(VALU_DEP_1)
	v_cmp_eq_u32_e64 s0, 0, v9
	v_cndmask_b32_e64 v10, v10, v8, s0
; %bb.3817:                             ;   in Loop: Header=BB448_2342 Depth=1
	s_or_b32 exec_lo, exec_lo, s13
	v_lshrrev_b16 v9, 8, v6
	v_mov_b32_e32 v8, 0
	s_mov_b32 s13, exec_lo
	s_delay_alu instid0(VALU_DEP_2)
	v_cmpx_ne_u16_e32 0, v9
	s_cbranch_execz .LBB448_3825
; %bb.3818:                             ;   in Loop: Header=BB448_2342 Depth=1
	v_bfrev_b32_e32 v8, 1
	s_mov_b32 s15, exec_lo
	v_cmpx_ne_u16_e32 0x80, v9
	s_cbranch_execz .LBB448_3824
; %bb.3819:                             ;   in Loop: Header=BB448_2342 Depth=1
	v_and_b32_e32 v11, 0xffff, v9
	v_mov_b32_e32 v8, 0x7f800001
	s_mov_b32 s16, exec_lo
	s_delay_alu instid0(VALU_DEP_2) | instskip(NEXT) | instid1(VALU_DEP_1)
	v_and_b32_e32 v9, 0x7f, v11
	v_cmpx_ne_u32_e32 0x7f, v9
	s_cbranch_execz .LBB448_3823
; %bb.3820:                             ;   in Loop: Header=BB448_2342 Depth=1
	v_and_b32_e32 v12, 7, v11
	v_lshrrev_b32_e32 v11, 3, v9
	v_cmp_gt_u32_e64 s0, 8, v9
	s_delay_alu instid0(VALU_DEP_3) | instskip(NEXT) | instid1(VALU_DEP_2)
	v_dual_mov_b32 v8, v12 :: v_dual_mov_b32 v9, v13
	s_and_saveexec_b32 s17, s0
; %bb.3821:                             ;   in Loop: Header=BB448_2342 Depth=1
	v_clz_i32_u32_e32 v8, v12
	s_delay_alu instid0(VALU_DEP_1) | instskip(NEXT) | instid1(VALU_DEP_1)
	v_min_u32_e32 v11, 32, v8
	v_subrev_nc_u32_e32 v8, 28, v11
	v_sub_nc_u32_e32 v11, 29, v11
	s_delay_alu instid0(VALU_DEP_2) | instskip(NEXT) | instid1(VALU_DEP_1)
	v_lshlrev_b64 v[8:9], v8, v[12:13]
	v_and_b32_e32 v8, 7, v8
; %bb.3822:                             ;   in Loop: Header=BB448_2342 Depth=1
	s_or_b32 exec_lo, exec_lo, s17
	v_lshlrev_b32_e32 v9, 16, v6
	s_delay_alu instid0(VALU_DEP_2) | instskip(SKIP_1) | instid1(VALU_DEP_3)
	v_lshlrev_b32_e32 v8, 20, v8
	v_lshl_add_u32 v11, v11, 23, 0x3c000000
	v_and_b32_e32 v9, 0x80000000, v9
	s_delay_alu instid0(VALU_DEP_1)
	v_or3_b32 v8, v8, v9, v11
.LBB448_3823:                           ;   in Loop: Header=BB448_2342 Depth=1
	s_or_b32 exec_lo, exec_lo, s16
.LBB448_3824:                           ;   in Loop: Header=BB448_2342 Depth=1
	s_delay_alu instid0(SALU_CYCLE_1)
	s_or_b32 exec_lo, exec_lo, s15
.LBB448_3825:                           ;   in Loop: Header=BB448_2342 Depth=1
	s_delay_alu instid0(SALU_CYCLE_1) | instskip(NEXT) | instid1(VALU_DEP_1)
	s_or_b32 exec_lo, exec_lo, s13
	v_mul_f32_e32 v8, v118, v8
                                        ; implicit-def: $vgpr11
	s_delay_alu instid0(VALU_DEP_1) | instskip(NEXT) | instid1(VALU_DEP_1)
	v_and_b32_e32 v9, 0x7f800000, v8
	v_cmp_ne_u32_e64 s0, 0x7f800000, v9
	s_delay_alu instid0(VALU_DEP_1) | instskip(NEXT) | instid1(SALU_CYCLE_1)
	s_and_saveexec_b32 s13, s0
	s_xor_b32 s0, exec_lo, s13
; %bb.3826:                             ;   in Loop: Header=BB448_2342 Depth=1
	v_bfe_u32 v9, v8, 16, 1
	s_delay_alu instid0(VALU_DEP_1)
	v_add3_u32 v11, v8, v9, 0x7fff
                                        ; implicit-def: $vgpr8
; %bb.3827:                             ;   in Loop: Header=BB448_2342 Depth=1
	s_and_not1_saveexec_b32 s13, s0
; %bb.3828:                             ;   in Loop: Header=BB448_2342 Depth=1
	v_and_b32_e32 v9, 0xffff, v8
	v_or_b32_e32 v11, 0x10000, v8
	s_delay_alu instid0(VALU_DEP_2) | instskip(NEXT) | instid1(VALU_DEP_1)
	v_cmp_eq_u32_e64 s0, 0, v9
	v_cndmask_b32_e64 v11, v11, v8, s0
; %bb.3829:                             ;   in Loop: Header=BB448_2342 Depth=1
	s_or_b32 exec_lo, exec_lo, s13
	v_lshrrev_b32_e32 v14, 16, v6
	s_mov_b32 s13, exec_lo
	s_delay_alu instid0(VALU_DEP_1) | instskip(NEXT) | instid1(VALU_DEP_1)
	v_dual_mov_b32 v8, 0 :: v_dual_and_b32 v9, 0xff, v14
	v_cmpx_ne_u16_e32 0, v9
	s_cbranch_execz .LBB448_3837
; %bb.3830:                             ;   in Loop: Header=BB448_2342 Depth=1
	v_bfrev_b32_e32 v8, 1
	s_mov_b32 s15, exec_lo
	v_cmpx_ne_u16_e32 0x80, v9
	s_cbranch_execz .LBB448_3836
; %bb.3831:                             ;   in Loop: Header=BB448_2342 Depth=1
	v_bfe_u32 v9, v6, 16, 7
	v_mov_b32_e32 v8, 0x7f800001
	s_mov_b32 s16, exec_lo
	s_delay_alu instid0(VALU_DEP_2)
	v_cmpx_ne_u32_e32 0x7f, v9
	s_cbranch_execz .LBB448_3835
; %bb.3832:                             ;   in Loop: Header=BB448_2342 Depth=1
	v_and_b32_e32 v12, 7, v14
	v_lshrrev_b32_e32 v15, 3, v9
	v_cmp_gt_u32_e64 s0, 8, v9
	s_delay_alu instid0(VALU_DEP_3) | instskip(NEXT) | instid1(VALU_DEP_2)
	v_dual_mov_b32 v8, v12 :: v_dual_mov_b32 v9, v13
	s_and_saveexec_b32 s17, s0
; %bb.3833:                             ;   in Loop: Header=BB448_2342 Depth=1
	v_clz_i32_u32_e32 v8, v12
	s_delay_alu instid0(VALU_DEP_1) | instskip(NEXT) | instid1(VALU_DEP_1)
	v_min_u32_e32 v15, 32, v8
	v_subrev_nc_u32_e32 v8, 28, v15
	v_sub_nc_u32_e32 v15, 29, v15
	s_delay_alu instid0(VALU_DEP_2) | instskip(NEXT) | instid1(VALU_DEP_1)
	v_lshlrev_b64 v[8:9], v8, v[12:13]
	v_and_b32_e32 v8, 7, v8
; %bb.3834:                             ;   in Loop: Header=BB448_2342 Depth=1
	s_or_b32 exec_lo, exec_lo, s17
	v_lshlrev_b32_e32 v9, 24, v14
	s_delay_alu instid0(VALU_DEP_2) | instskip(SKIP_1) | instid1(VALU_DEP_3)
	v_lshlrev_b32_e32 v8, 20, v8
	v_lshl_add_u32 v12, v15, 23, 0x3c000000
	v_and_b32_e32 v9, 0x80000000, v9
	s_delay_alu instid0(VALU_DEP_1)
	v_or3_b32 v8, v8, v9, v12
.LBB448_3835:                           ;   in Loop: Header=BB448_2342 Depth=1
	s_or_b32 exec_lo, exec_lo, s16
.LBB448_3836:                           ;   in Loop: Header=BB448_2342 Depth=1
	s_delay_alu instid0(SALU_CYCLE_1)
	s_or_b32 exec_lo, exec_lo, s15
.LBB448_3837:                           ;   in Loop: Header=BB448_2342 Depth=1
	s_delay_alu instid0(SALU_CYCLE_1) | instskip(NEXT) | instid1(VALU_DEP_1)
	s_or_b32 exec_lo, exec_lo, s13
	v_mul_f32_e32 v8, v118, v8
                                        ; implicit-def: $vgpr14
	s_delay_alu instid0(VALU_DEP_1) | instskip(NEXT) | instid1(VALU_DEP_1)
	v_and_b32_e32 v9, 0x7f800000, v8
	v_cmp_ne_u32_e64 s0, 0x7f800000, v9
	s_delay_alu instid0(VALU_DEP_1) | instskip(NEXT) | instid1(SALU_CYCLE_1)
	s_and_saveexec_b32 s13, s0
	s_xor_b32 s0, exec_lo, s13
; %bb.3838:                             ;   in Loop: Header=BB448_2342 Depth=1
	v_bfe_u32 v9, v8, 16, 1
	s_delay_alu instid0(VALU_DEP_1)
	v_add3_u32 v14, v8, v9, 0x7fff
                                        ; implicit-def: $vgpr8
; %bb.3839:                             ;   in Loop: Header=BB448_2342 Depth=1
	s_and_not1_saveexec_b32 s13, s0
; %bb.3840:                             ;   in Loop: Header=BB448_2342 Depth=1
	v_and_b32_e32 v9, 0xffff, v8
	v_or_b32_e32 v12, 0x10000, v8
	s_delay_alu instid0(VALU_DEP_2) | instskip(NEXT) | instid1(VALU_DEP_1)
	v_cmp_eq_u32_e64 s0, 0, v9
	v_cndmask_b32_e64 v14, v12, v8, s0
; %bb.3841:                             ;   in Loop: Header=BB448_2342 Depth=1
	s_or_b32 exec_lo, exec_lo, s13
	v_mov_b32_e32 v8, 0
	s_mov_b32 s13, exec_lo
	v_cmpx_lt_u32_e32 0xffffff, v6
	s_cbranch_execz .LBB448_3849
; %bb.3842:                             ;   in Loop: Header=BB448_2342 Depth=1
	v_lshrrev_b32_e32 v15, 24, v6
	v_bfrev_b32_e32 v8, 1
	s_mov_b32 s15, exec_lo
	s_delay_alu instid0(VALU_DEP_2)
	v_cmpx_ne_u32_e32 0x80, v15
	s_cbranch_execz .LBB448_3848
; %bb.3843:                             ;   in Loop: Header=BB448_2342 Depth=1
	v_bfe_u32 v9, v6, 24, 7
	v_mov_b32_e32 v8, 0x7f800001
	s_mov_b32 s16, exec_lo
	s_delay_alu instid0(VALU_DEP_2)
	v_cmpx_ne_u32_e32 0x7f, v9
	s_cbranch_execz .LBB448_3847
; %bb.3844:                             ;   in Loop: Header=BB448_2342 Depth=1
	v_and_b32_e32 v12, 7, v15
	v_lshrrev_b32_e32 v16, 3, v9
	v_cmp_gt_u32_e64 s0, 8, v9
	s_delay_alu instid0(VALU_DEP_3) | instskip(NEXT) | instid1(VALU_DEP_2)
	v_dual_mov_b32 v8, v12 :: v_dual_mov_b32 v9, v13
	s_and_saveexec_b32 s17, s0
; %bb.3845:                             ;   in Loop: Header=BB448_2342 Depth=1
	v_clz_i32_u32_e32 v8, v12
	s_delay_alu instid0(VALU_DEP_1) | instskip(NEXT) | instid1(VALU_DEP_1)
	v_min_u32_e32 v16, 32, v8
	v_subrev_nc_u32_e32 v8, 28, v16
	v_sub_nc_u32_e32 v16, 29, v16
	s_delay_alu instid0(VALU_DEP_2) | instskip(NEXT) | instid1(VALU_DEP_1)
	v_lshlrev_b64 v[8:9], v8, v[12:13]
	v_and_b32_e32 v8, 7, v8
; %bb.3846:                             ;   in Loop: Header=BB448_2342 Depth=1
	s_or_b32 exec_lo, exec_lo, s17
	v_lshlrev_b32_e32 v9, 24, v15
	s_delay_alu instid0(VALU_DEP_2) | instskip(SKIP_1) | instid1(VALU_DEP_3)
	v_lshlrev_b32_e32 v8, 20, v8
	v_lshl_add_u32 v12, v16, 23, 0x3c000000
	v_and_b32_e32 v9, 0x80000000, v9
	s_delay_alu instid0(VALU_DEP_1)
	v_or3_b32 v8, v8, v9, v12
.LBB448_3847:                           ;   in Loop: Header=BB448_2342 Depth=1
	s_or_b32 exec_lo, exec_lo, s16
.LBB448_3848:                           ;   in Loop: Header=BB448_2342 Depth=1
	s_delay_alu instid0(SALU_CYCLE_1)
	s_or_b32 exec_lo, exec_lo, s15
.LBB448_3849:                           ;   in Loop: Header=BB448_2342 Depth=1
	s_delay_alu instid0(SALU_CYCLE_1) | instskip(NEXT) | instid1(VALU_DEP_1)
	s_or_b32 exec_lo, exec_lo, s13
	v_mul_f32_e32 v8, v118, v8
                                        ; implicit-def: $vgpr15
	s_delay_alu instid0(VALU_DEP_1) | instskip(NEXT) | instid1(VALU_DEP_1)
	v_and_b32_e32 v9, 0x7f800000, v8
	v_cmp_ne_u32_e64 s0, 0x7f800000, v9
	s_delay_alu instid0(VALU_DEP_1) | instskip(NEXT) | instid1(SALU_CYCLE_1)
	s_and_saveexec_b32 s13, s0
	s_xor_b32 s0, exec_lo, s13
; %bb.3850:                             ;   in Loop: Header=BB448_2342 Depth=1
	v_bfe_u32 v9, v8, 16, 1
	s_delay_alu instid0(VALU_DEP_1)
	v_add3_u32 v15, v8, v9, 0x7fff
                                        ; implicit-def: $vgpr8
; %bb.3851:                             ;   in Loop: Header=BB448_2342 Depth=1
	s_and_not1_saveexec_b32 s13, s0
; %bb.3852:                             ;   in Loop: Header=BB448_2342 Depth=1
	v_and_b32_e32 v9, 0xffff, v8
	v_or_b32_e32 v12, 0x10000, v8
	s_delay_alu instid0(VALU_DEP_2) | instskip(NEXT) | instid1(VALU_DEP_1)
	v_cmp_eq_u32_e64 s0, 0, v9
	v_cndmask_b32_e64 v15, v12, v8, s0
; %bb.3853:                             ;   in Loop: Header=BB448_2342 Depth=1
	s_or_b32 exec_lo, exec_lo, s13
	v_dual_mov_b32 v12, v7 :: v_dual_and_b32 v9, 0xff, v7
	v_mov_b32_e32 v8, 0
	s_mov_b32 s13, exec_lo
	s_delay_alu instid0(VALU_DEP_2)
	v_cmpx_ne_u16_e32 0, v9
	s_cbranch_execz .LBB448_3861
; %bb.3854:                             ;   in Loop: Header=BB448_2342 Depth=1
	v_bfrev_b32_e32 v8, 1
	s_mov_b32 s15, exec_lo
	v_cmpx_ne_u16_e32 0x80, v9
	s_cbranch_execz .LBB448_3860
; %bb.3855:                             ;   in Loop: Header=BB448_2342 Depth=1
	v_and_b32_e32 v9, 0x7f, v7
	v_mov_b32_e32 v8, 0x7f800001
	s_mov_b32 s16, exec_lo
	s_delay_alu instid0(VALU_DEP_2)
	v_cmpx_ne_u32_e32 0x7f, v9
	s_cbranch_execz .LBB448_3859
; %bb.3856:                             ;   in Loop: Header=BB448_2342 Depth=1
	v_lshrrev_b32_e32 v16, 3, v9
	v_cmp_gt_u32_e64 s0, 8, v9
	v_dual_mov_b32 v8, v12 :: v_dual_mov_b32 v9, v13
	s_delay_alu instid0(VALU_DEP_2)
	s_and_saveexec_b32 s17, s0
; %bb.3857:                             ;   in Loop: Header=BB448_2342 Depth=1
	v_and_b32_e32 v8, 7, v7
	s_delay_alu instid0(VALU_DEP_1) | instskip(NEXT) | instid1(VALU_DEP_1)
	v_clz_i32_u32_e32 v8, v8
	v_min_u32_e32 v16, 32, v8
	s_delay_alu instid0(VALU_DEP_1) | instskip(SKIP_1) | instid1(VALU_DEP_2)
	v_subrev_nc_u32_e32 v8, 28, v16
	v_sub_nc_u32_e32 v16, 29, v16
	v_lshlrev_b64 v[8:9], v8, v[12:13]
; %bb.3858:                             ;   in Loop: Header=BB448_2342 Depth=1
	s_or_b32 exec_lo, exec_lo, s17
	s_delay_alu instid0(VALU_DEP_1) | instskip(SKIP_2) | instid1(VALU_DEP_3)
	v_lshlrev_b32_e32 v8, 20, v8
	v_lshlrev_b32_e32 v9, 24, v12
	v_lshl_add_u32 v16, v16, 23, 0x3c000000
	v_and_b32_e32 v8, 0x700000, v8
	s_delay_alu instid0(VALU_DEP_3) | instskip(NEXT) | instid1(VALU_DEP_1)
	v_and_b32_e32 v9, 0x80000000, v9
	v_or3_b32 v8, v8, v9, v16
.LBB448_3859:                           ;   in Loop: Header=BB448_2342 Depth=1
	s_or_b32 exec_lo, exec_lo, s16
.LBB448_3860:                           ;   in Loop: Header=BB448_2342 Depth=1
	s_delay_alu instid0(SALU_CYCLE_1)
	s_or_b32 exec_lo, exec_lo, s15
.LBB448_3861:                           ;   in Loop: Header=BB448_2342 Depth=1
	s_delay_alu instid0(SALU_CYCLE_1) | instskip(NEXT) | instid1(VALU_DEP_1)
	s_or_b32 exec_lo, exec_lo, s13
	v_mul_f32_e32 v8, v118, v8
                                        ; implicit-def: $vgpr16
	s_delay_alu instid0(VALU_DEP_1) | instskip(NEXT) | instid1(VALU_DEP_1)
	v_and_b32_e32 v9, 0x7f800000, v8
	v_cmp_ne_u32_e64 s0, 0x7f800000, v9
	s_delay_alu instid0(VALU_DEP_1) | instskip(NEXT) | instid1(SALU_CYCLE_1)
	s_and_saveexec_b32 s13, s0
	s_xor_b32 s0, exec_lo, s13
; %bb.3862:                             ;   in Loop: Header=BB448_2342 Depth=1
	v_bfe_u32 v9, v8, 16, 1
	s_delay_alu instid0(VALU_DEP_1)
	v_add3_u32 v16, v8, v9, 0x7fff
                                        ; implicit-def: $vgpr8
; %bb.3863:                             ;   in Loop: Header=BB448_2342 Depth=1
	s_and_not1_saveexec_b32 s13, s0
; %bb.3864:                             ;   in Loop: Header=BB448_2342 Depth=1
	v_and_b32_e32 v9, 0xffff, v8
	v_or_b32_e32 v16, 0x10000, v8
	s_delay_alu instid0(VALU_DEP_2) | instskip(NEXT) | instid1(VALU_DEP_1)
	v_cmp_eq_u32_e64 s0, 0, v9
	v_cndmask_b32_e64 v16, v16, v8, s0
; %bb.3865:                             ;   in Loop: Header=BB448_2342 Depth=1
	s_or_b32 exec_lo, exec_lo, s13
	v_lshrrev_b16 v9, 8, v12
	v_mov_b32_e32 v8, 0
	s_mov_b32 s13, exec_lo
	s_delay_alu instid0(VALU_DEP_2)
	v_cmpx_ne_u16_e32 0, v9
	s_cbranch_execz .LBB448_3873
; %bb.3866:                             ;   in Loop: Header=BB448_2342 Depth=1
	v_bfrev_b32_e32 v8, 1
	s_mov_b32 s15, exec_lo
	v_cmpx_ne_u16_e32 0x80, v9
	s_cbranch_execz .LBB448_3872
; %bb.3867:                             ;   in Loop: Header=BB448_2342 Depth=1
	v_and_b32_e32 v9, 0xffff, v9
	v_mov_b32_e32 v8, 0x7f800001
	s_mov_b32 s16, exec_lo
	s_delay_alu instid0(VALU_DEP_2) | instskip(NEXT) | instid1(VALU_DEP_1)
	v_and_b32_e32 v19, 0x7f, v9
	v_cmpx_ne_u32_e32 0x7f, v19
	s_cbranch_execz .LBB448_3871
; %bb.3868:                             ;   in Loop: Header=BB448_2342 Depth=1
	v_dual_mov_b32 v9, v13 :: v_dual_and_b32 v8, 7, v9
	v_lshrrev_b32_e32 v18, 3, v19
	s_mov_b32 s17, exec_lo
	v_cmpx_gt_u32_e32 8, v19
; %bb.3869:                             ;   in Loop: Header=BB448_2342 Depth=1
	s_delay_alu instid0(VALU_DEP_3) | instskip(NEXT) | instid1(VALU_DEP_1)
	v_clz_i32_u32_e32 v18, v8
	v_min_u32_e32 v18, 32, v18
	s_delay_alu instid0(VALU_DEP_1) | instskip(SKIP_1) | instid1(VALU_DEP_2)
	v_subrev_nc_u32_e32 v19, 28, v18
	v_sub_nc_u32_e32 v18, 29, v18
	v_lshlrev_b64 v[8:9], v19, v[8:9]
	s_delay_alu instid0(VALU_DEP_1)
	v_and_b32_e32 v8, 7, v8
; %bb.3870:                             ;   in Loop: Header=BB448_2342 Depth=1
	s_or_b32 exec_lo, exec_lo, s17
	v_lshlrev_b32_e32 v9, 16, v12
	s_delay_alu instid0(VALU_DEP_2) | instskip(SKIP_1) | instid1(VALU_DEP_3)
	v_lshlrev_b32_e32 v8, 20, v8
	v_lshl_add_u32 v12, v18, 23, 0x3c000000
	v_and_b32_e32 v9, 0x80000000, v9
	s_delay_alu instid0(VALU_DEP_1)
	v_or3_b32 v8, v8, v9, v12
.LBB448_3871:                           ;   in Loop: Header=BB448_2342 Depth=1
	s_or_b32 exec_lo, exec_lo, s16
.LBB448_3872:                           ;   in Loop: Header=BB448_2342 Depth=1
	s_delay_alu instid0(SALU_CYCLE_1)
	s_or_b32 exec_lo, exec_lo, s15
.LBB448_3873:                           ;   in Loop: Header=BB448_2342 Depth=1
	s_delay_alu instid0(SALU_CYCLE_1) | instskip(NEXT) | instid1(VALU_DEP_1)
	s_or_b32 exec_lo, exec_lo, s13
	v_mul_f32_e32 v8, v118, v8
                                        ; implicit-def: $vgpr18
	s_delay_alu instid0(VALU_DEP_1) | instskip(NEXT) | instid1(VALU_DEP_1)
	v_and_b32_e32 v9, 0x7f800000, v8
	v_cmp_ne_u32_e64 s0, 0x7f800000, v9
	s_delay_alu instid0(VALU_DEP_1) | instskip(NEXT) | instid1(SALU_CYCLE_1)
	s_and_saveexec_b32 s13, s0
	s_xor_b32 s0, exec_lo, s13
; %bb.3874:                             ;   in Loop: Header=BB448_2342 Depth=1
	v_bfe_u32 v9, v8, 16, 1
	s_delay_alu instid0(VALU_DEP_1)
	v_add3_u32 v18, v8, v9, 0x7fff
                                        ; implicit-def: $vgpr8
; %bb.3875:                             ;   in Loop: Header=BB448_2342 Depth=1
	s_and_not1_saveexec_b32 s13, s0
; %bb.3876:                             ;   in Loop: Header=BB448_2342 Depth=1
	v_and_b32_e32 v9, 0xffff, v8
	v_or_b32_e32 v12, 0x10000, v8
	s_delay_alu instid0(VALU_DEP_2) | instskip(NEXT) | instid1(VALU_DEP_1)
	v_cmp_eq_u32_e64 s0, 0, v9
	v_cndmask_b32_e64 v18, v12, v8, s0
; %bb.3877:                             ;   in Loop: Header=BB448_2342 Depth=1
	s_or_b32 exec_lo, exec_lo, s13
	v_lshrrev_b32_e32 v19, 16, v7
	s_mov_b32 s13, exec_lo
	s_delay_alu instid0(VALU_DEP_1) | instskip(NEXT) | instid1(VALU_DEP_1)
	v_dual_mov_b32 v8, 0 :: v_dual_and_b32 v9, 0xff, v19
	v_cmpx_ne_u16_e32 0, v9
	s_cbranch_execz .LBB448_3885
; %bb.3878:                             ;   in Loop: Header=BB448_2342 Depth=1
	v_bfrev_b32_e32 v8, 1
	s_mov_b32 s15, exec_lo
	v_cmpx_ne_u16_e32 0x80, v9
	s_cbranch_execz .LBB448_3884
; %bb.3879:                             ;   in Loop: Header=BB448_2342 Depth=1
	v_bfe_u32 v9, v7, 16, 7
	v_mov_b32_e32 v8, 0x7f800001
	s_mov_b32 s16, exec_lo
	s_delay_alu instid0(VALU_DEP_2)
	v_cmpx_ne_u32_e32 0x7f, v9
	s_cbranch_execz .LBB448_3883
; %bb.3880:                             ;   in Loop: Header=BB448_2342 Depth=1
	v_and_b32_e32 v12, 7, v19
	v_lshrrev_b32_e32 v20, 3, v9
	v_cmp_gt_u32_e64 s0, 8, v9
	s_delay_alu instid0(VALU_DEP_3) | instskip(NEXT) | instid1(VALU_DEP_2)
	v_dual_mov_b32 v8, v12 :: v_dual_mov_b32 v9, v13
	s_and_saveexec_b32 s17, s0
; %bb.3881:                             ;   in Loop: Header=BB448_2342 Depth=1
	v_clz_i32_u32_e32 v8, v12
	s_delay_alu instid0(VALU_DEP_1) | instskip(NEXT) | instid1(VALU_DEP_1)
	v_min_u32_e32 v20, 32, v8
	v_subrev_nc_u32_e32 v8, 28, v20
	v_sub_nc_u32_e32 v20, 29, v20
	s_delay_alu instid0(VALU_DEP_2) | instskip(NEXT) | instid1(VALU_DEP_1)
	v_lshlrev_b64 v[8:9], v8, v[12:13]
	v_and_b32_e32 v8, 7, v8
; %bb.3882:                             ;   in Loop: Header=BB448_2342 Depth=1
	s_or_b32 exec_lo, exec_lo, s17
	v_lshlrev_b32_e32 v9, 24, v19
	s_delay_alu instid0(VALU_DEP_2) | instskip(SKIP_1) | instid1(VALU_DEP_3)
	v_lshlrev_b32_e32 v8, 20, v8
	v_lshl_add_u32 v12, v20, 23, 0x3c000000
	v_and_b32_e32 v9, 0x80000000, v9
	s_delay_alu instid0(VALU_DEP_1)
	v_or3_b32 v8, v8, v9, v12
.LBB448_3883:                           ;   in Loop: Header=BB448_2342 Depth=1
	s_or_b32 exec_lo, exec_lo, s16
.LBB448_3884:                           ;   in Loop: Header=BB448_2342 Depth=1
	s_delay_alu instid0(SALU_CYCLE_1)
	s_or_b32 exec_lo, exec_lo, s15
.LBB448_3885:                           ;   in Loop: Header=BB448_2342 Depth=1
	s_delay_alu instid0(SALU_CYCLE_1) | instskip(NEXT) | instid1(VALU_DEP_1)
	s_or_b32 exec_lo, exec_lo, s13
	v_mul_f32_e32 v8, v118, v8
                                        ; implicit-def: $vgpr19
	s_delay_alu instid0(VALU_DEP_1) | instskip(NEXT) | instid1(VALU_DEP_1)
	v_and_b32_e32 v9, 0x7f800000, v8
	v_cmp_ne_u32_e64 s0, 0x7f800000, v9
	s_delay_alu instid0(VALU_DEP_1) | instskip(NEXT) | instid1(SALU_CYCLE_1)
	s_and_saveexec_b32 s13, s0
	s_xor_b32 s0, exec_lo, s13
; %bb.3886:                             ;   in Loop: Header=BB448_2342 Depth=1
	v_bfe_u32 v9, v8, 16, 1
	s_delay_alu instid0(VALU_DEP_1)
	v_add3_u32 v19, v8, v9, 0x7fff
                                        ; implicit-def: $vgpr8
; %bb.3887:                             ;   in Loop: Header=BB448_2342 Depth=1
	s_and_not1_saveexec_b32 s13, s0
; %bb.3888:                             ;   in Loop: Header=BB448_2342 Depth=1
	v_and_b32_e32 v9, 0xffff, v8
	v_or_b32_e32 v12, 0x10000, v8
	s_delay_alu instid0(VALU_DEP_2) | instskip(NEXT) | instid1(VALU_DEP_1)
	v_cmp_eq_u32_e64 s0, 0, v9
	v_cndmask_b32_e64 v19, v12, v8, s0
; %bb.3889:                             ;   in Loop: Header=BB448_2342 Depth=1
	s_or_b32 exec_lo, exec_lo, s13
	v_cmp_lt_u64_e64 s0, s[8:9], v[6:7]
	v_mov_b32_e32 v6, 0
	s_delay_alu instid0(VALU_DEP_2)
	s_and_saveexec_b32 s13, s0
	s_cbranch_execz .LBB448_3897
; %bb.3890:                             ;   in Loop: Header=BB448_2342 Depth=1
	v_lshrrev_b32_e32 v8, 24, v7
	v_bfrev_b32_e32 v6, 1
	s_mov_b32 s15, exec_lo
	s_delay_alu instid0(VALU_DEP_2)
	v_cmpx_ne_u32_e32 0x80, v8
	s_cbranch_execz .LBB448_3896
; %bb.3891:                             ;   in Loop: Header=BB448_2342 Depth=1
	v_bfe_u32 v7, v7, 24, 7
	v_mov_b32_e32 v6, 0x7f800001
	s_mov_b32 s16, exec_lo
	s_delay_alu instid0(VALU_DEP_2)
	v_cmpx_ne_u32_e32 0x7f, v7
	s_cbranch_execz .LBB448_3895
; %bb.3892:                             ;   in Loop: Header=BB448_2342 Depth=1
	v_and_b32_e32 v12, 7, v8
	v_lshrrev_b32_e32 v9, 3, v7
	v_cmp_gt_u32_e64 s0, 8, v7
	s_delay_alu instid0(VALU_DEP_3) | instskip(NEXT) | instid1(VALU_DEP_2)
	v_dual_mov_b32 v6, v12 :: v_dual_mov_b32 v7, v13
	s_and_saveexec_b32 s17, s0
; %bb.3893:                             ;   in Loop: Header=BB448_2342 Depth=1
	v_clz_i32_u32_e32 v6, v12
	s_delay_alu instid0(VALU_DEP_1) | instskip(NEXT) | instid1(VALU_DEP_1)
	v_min_u32_e32 v9, 32, v6
	v_subrev_nc_u32_e32 v6, 28, v9
	v_sub_nc_u32_e32 v9, 29, v9
	s_delay_alu instid0(VALU_DEP_2) | instskip(NEXT) | instid1(VALU_DEP_1)
	v_lshlrev_b64 v[6:7], v6, v[12:13]
	v_and_b32_e32 v6, 7, v6
; %bb.3894:                             ;   in Loop: Header=BB448_2342 Depth=1
	s_or_b32 exec_lo, exec_lo, s17
	v_lshlrev_b32_e32 v7, 24, v8
	s_delay_alu instid0(VALU_DEP_2) | instskip(SKIP_1) | instid1(VALU_DEP_3)
	v_lshlrev_b32_e32 v6, 20, v6
	v_lshl_add_u32 v8, v9, 23, 0x3c000000
	v_and_b32_e32 v7, 0x80000000, v7
	s_delay_alu instid0(VALU_DEP_1)
	v_or3_b32 v6, v6, v7, v8
.LBB448_3895:                           ;   in Loop: Header=BB448_2342 Depth=1
	s_or_b32 exec_lo, exec_lo, s16
.LBB448_3896:                           ;   in Loop: Header=BB448_2342 Depth=1
	s_delay_alu instid0(SALU_CYCLE_1)
	s_or_b32 exec_lo, exec_lo, s15
.LBB448_3897:                           ;   in Loop: Header=BB448_2342 Depth=1
	s_delay_alu instid0(SALU_CYCLE_1) | instskip(NEXT) | instid1(VALU_DEP_1)
	s_or_b32 exec_lo, exec_lo, s13
	v_mul_f32_e32 v7, v118, v6
	s_delay_alu instid0(VALU_DEP_1) | instskip(NEXT) | instid1(VALU_DEP_1)
	v_and_b32_e32 v6, 0x7f800000, v7
	v_cmp_ne_u32_e64 s0, 0x7f800000, v6
                                        ; implicit-def: $vgpr6
	s_delay_alu instid0(VALU_DEP_1) | instskip(NEXT) | instid1(SALU_CYCLE_1)
	s_and_saveexec_b32 s13, s0
	s_xor_b32 s0, exec_lo, s13
; %bb.3898:                             ;   in Loop: Header=BB448_2342 Depth=1
	v_bfe_u32 v6, v7, 16, 1
	s_delay_alu instid0(VALU_DEP_1)
	v_add3_u32 v6, v7, v6, 0x7fff
                                        ; implicit-def: $vgpr7
; %bb.3899:                             ;   in Loop: Header=BB448_2342 Depth=1
	s_and_not1_saveexec_b32 s13, s0
; %bb.3900:                             ;   in Loop: Header=BB448_2342 Depth=1
	v_and_b32_e32 v6, 0xffff, v7
	v_or_b32_e32 v8, 0x10000, v7
	s_delay_alu instid0(VALU_DEP_2) | instskip(NEXT) | instid1(VALU_DEP_1)
	v_cmp_eq_u32_e64 s0, 0, v6
	v_cndmask_b32_e64 v6, v8, v7, s0
; %bb.3901:                             ;   in Loop: Header=BB448_2342 Depth=1
	s_or_b32 exec_lo, exec_lo, s13
	v_lshrrev_b32_e32 v8, 16, v18
	v_lshrrev_b32_e32 v9, 16, v16
	;; [unrolled: 1-line block ×8, first 2 shown]
	s_and_saveexec_b32 s13, vcc_lo
	s_cbranch_execz .LBB448_3903
; %bb.3902:                             ;   in Loop: Header=BB448_2342 Depth=1
	v_cmp_lt_i32_e64 s0, v102, v36
	s_delay_alu instid0(VALU_DEP_1) | instskip(SKIP_1) | instid1(VALU_DEP_1)
	v_cndmask_b32_e64 v10, 0, v10, s0
	v_cmp_lt_i32_e64 s0, v133, v36
	v_cndmask_b32_e64 v11, 0, v11, s0
	v_cmp_lt_i32_e64 s0, v132, v36
	s_delay_alu instid0(VALU_DEP_1) | instskip(SKIP_1) | instid1(VALU_DEP_1)
	v_cndmask_b32_e64 v14, 0, v14, s0
	v_cmp_lt_i32_e64 s0, v131, v36
	v_cndmask_b32_e64 v12, 0, v12, s0
	;; [unrolled: 5-line block ×4, first 2 shown]
.LBB448_3903:                           ;   in Loop: Header=BB448_2342 Depth=1
	s_or_b32 exec_lo, exec_lo, s13
	v_lshlrev_b32_e32 v10, 16, v10
                                        ; implicit-def: $vgpr153
	s_delay_alu instid0(VALU_DEP_1) | instskip(NEXT) | instid1(VALU_DEP_1)
	v_mul_f32_e32 v10, v134, v10
	v_and_b32_e32 v15, 0x7f800000, v10
	s_delay_alu instid0(VALU_DEP_1) | instskip(NEXT) | instid1(VALU_DEP_1)
	v_cmp_ne_u32_e64 s0, 0x7f800000, v15
	s_and_saveexec_b32 s13, s0
	s_delay_alu instid0(SALU_CYCLE_1)
	s_xor_b32 s0, exec_lo, s13
; %bb.3904:                             ;   in Loop: Header=BB448_2342 Depth=1
	v_bfe_u32 v15, v10, 16, 1
	s_delay_alu instid0(VALU_DEP_1)
	v_add3_u32 v153, v10, v15, 0x7fff
                                        ; implicit-def: $vgpr10
; %bb.3905:                             ;   in Loop: Header=BB448_2342 Depth=1
	s_and_not1_saveexec_b32 s13, s0
; %bb.3906:                             ;   in Loop: Header=BB448_2342 Depth=1
	v_and_b32_e32 v15, 0xffff, v10
	v_or_b32_e32 v16, 0x10000, v10
	s_delay_alu instid0(VALU_DEP_2) | instskip(NEXT) | instid1(VALU_DEP_1)
	v_cmp_eq_u32_e64 s0, 0, v15
	v_cndmask_b32_e64 v153, v16, v10, s0
; %bb.3907:                             ;   in Loop: Header=BB448_2342 Depth=1
	s_or_b32 exec_lo, exec_lo, s13
	v_lshlrev_b32_e32 v10, 16, v11
                                        ; implicit-def: $vgpr154
	s_delay_alu instid0(VALU_DEP_1) | instskip(NEXT) | instid1(VALU_DEP_1)
	v_mul_f32_e32 v10, v135, v10
	v_and_b32_e32 v11, 0x7f800000, v10
	s_delay_alu instid0(VALU_DEP_1) | instskip(NEXT) | instid1(VALU_DEP_1)
	v_cmp_ne_u32_e64 s0, 0x7f800000, v11
	s_and_saveexec_b32 s13, s0
	s_delay_alu instid0(SALU_CYCLE_1)
	s_xor_b32 s0, exec_lo, s13
; %bb.3908:                             ;   in Loop: Header=BB448_2342 Depth=1
	v_bfe_u32 v11, v10, 16, 1
	s_delay_alu instid0(VALU_DEP_1)
	v_add3_u32 v154, v10, v11, 0x7fff
                                        ; implicit-def: $vgpr10
; %bb.3909:                             ;   in Loop: Header=BB448_2342 Depth=1
	s_and_not1_saveexec_b32 s13, s0
; %bb.3910:                             ;   in Loop: Header=BB448_2342 Depth=1
	v_and_b32_e32 v11, 0xffff, v10
	v_or_b32_e32 v15, 0x10000, v10
	s_delay_alu instid0(VALU_DEP_2) | instskip(NEXT) | instid1(VALU_DEP_1)
	v_cmp_eq_u32_e64 s0, 0, v11
	v_cndmask_b32_e64 v154, v15, v10, s0
; %bb.3911:                             ;   in Loop: Header=BB448_2342 Depth=1
	s_or_b32 exec_lo, exec_lo, s13
	v_lshlrev_b32_e32 v10, 16, v14
                                        ; implicit-def: $vgpr155
	s_delay_alu instid0(VALU_DEP_1) | instskip(NEXT) | instid1(VALU_DEP_1)
	v_mul_f32_e32 v10, v144, v10
	v_and_b32_e32 v11, 0x7f800000, v10
	s_delay_alu instid0(VALU_DEP_1) | instskip(NEXT) | instid1(VALU_DEP_1)
	v_cmp_ne_u32_e64 s0, 0x7f800000, v11
	s_and_saveexec_b32 s13, s0
	s_delay_alu instid0(SALU_CYCLE_1)
	s_xor_b32 s0, exec_lo, s13
; %bb.3912:                             ;   in Loop: Header=BB448_2342 Depth=1
	v_bfe_u32 v11, v10, 16, 1
	s_delay_alu instid0(VALU_DEP_1)
	v_add3_u32 v155, v10, v11, 0x7fff
                                        ; implicit-def: $vgpr10
; %bb.3913:                             ;   in Loop: Header=BB448_2342 Depth=1
	s_and_not1_saveexec_b32 s13, s0
; %bb.3914:                             ;   in Loop: Header=BB448_2342 Depth=1
	v_and_b32_e32 v11, 0xffff, v10
	v_or_b32_e32 v14, 0x10000, v10
	s_delay_alu instid0(VALU_DEP_2) | instskip(NEXT) | instid1(VALU_DEP_1)
	v_cmp_eq_u32_e64 s0, 0, v11
	v_cndmask_b32_e64 v155, v14, v10, s0
; %bb.3915:                             ;   in Loop: Header=BB448_2342 Depth=1
	s_or_b32 exec_lo, exec_lo, s13
	v_lshlrev_b32_e32 v10, 16, v12
                                        ; implicit-def: $vgpr156
	s_delay_alu instid0(VALU_DEP_1) | instskip(NEXT) | instid1(VALU_DEP_1)
	v_mul_f32_e32 v10, v145, v10
	v_and_b32_e32 v11, 0x7f800000, v10
	s_delay_alu instid0(VALU_DEP_1) | instskip(NEXT) | instid1(VALU_DEP_1)
	v_cmp_ne_u32_e64 s0, 0x7f800000, v11
	s_and_saveexec_b32 s13, s0
	s_delay_alu instid0(SALU_CYCLE_1)
	s_xor_b32 s0, exec_lo, s13
; %bb.3916:                             ;   in Loop: Header=BB448_2342 Depth=1
	v_bfe_u32 v11, v10, 16, 1
	s_delay_alu instid0(VALU_DEP_1)
	v_add3_u32 v156, v10, v11, 0x7fff
                                        ; implicit-def: $vgpr10
; %bb.3917:                             ;   in Loop: Header=BB448_2342 Depth=1
	s_and_not1_saveexec_b32 s13, s0
; %bb.3918:                             ;   in Loop: Header=BB448_2342 Depth=1
	v_and_b32_e32 v11, 0xffff, v10
	v_or_b32_e32 v12, 0x10000, v10
	s_delay_alu instid0(VALU_DEP_2) | instskip(NEXT) | instid1(VALU_DEP_1)
	v_cmp_eq_u32_e64 s0, 0, v11
	v_cndmask_b32_e64 v156, v12, v10, s0
; %bb.3919:                             ;   in Loop: Header=BB448_2342 Depth=1
	s_or_b32 exec_lo, exec_lo, s13
	v_lshlrev_b32_e32 v9, 16, v9
                                        ; implicit-def: $vgpr157
	s_delay_alu instid0(VALU_DEP_1) | instskip(NEXT) | instid1(VALU_DEP_1)
	v_mul_f32_e32 v9, v146, v9
	v_and_b32_e32 v10, 0x7f800000, v9
	s_delay_alu instid0(VALU_DEP_1) | instskip(NEXT) | instid1(VALU_DEP_1)
	v_cmp_ne_u32_e64 s0, 0x7f800000, v10
	s_and_saveexec_b32 s13, s0
	s_delay_alu instid0(SALU_CYCLE_1)
	s_xor_b32 s0, exec_lo, s13
; %bb.3920:                             ;   in Loop: Header=BB448_2342 Depth=1
	v_bfe_u32 v10, v9, 16, 1
	s_delay_alu instid0(VALU_DEP_1)
	v_add3_u32 v157, v9, v10, 0x7fff
                                        ; implicit-def: $vgpr9
; %bb.3921:                             ;   in Loop: Header=BB448_2342 Depth=1
	s_and_not1_saveexec_b32 s13, s0
; %bb.3922:                             ;   in Loop: Header=BB448_2342 Depth=1
	v_and_b32_e32 v10, 0xffff, v9
	v_or_b32_e32 v11, 0x10000, v9
	s_delay_alu instid0(VALU_DEP_2) | instskip(NEXT) | instid1(VALU_DEP_1)
	v_cmp_eq_u32_e64 s0, 0, v10
	v_cndmask_b32_e64 v157, v11, v9, s0
; %bb.3923:                             ;   in Loop: Header=BB448_2342 Depth=1
	s_or_b32 exec_lo, exec_lo, s13
	v_lshlrev_b32_e32 v8, 16, v8
                                        ; implicit-def: $vgpr158
	s_delay_alu instid0(VALU_DEP_1) | instskip(NEXT) | instid1(VALU_DEP_1)
	v_mul_f32_e32 v8, v147, v8
	v_and_b32_e32 v9, 0x7f800000, v8
	s_delay_alu instid0(VALU_DEP_1) | instskip(NEXT) | instid1(VALU_DEP_1)
	v_cmp_ne_u32_e64 s0, 0x7f800000, v9
	s_and_saveexec_b32 s13, s0
	s_delay_alu instid0(SALU_CYCLE_1)
	s_xor_b32 s0, exec_lo, s13
; %bb.3924:                             ;   in Loop: Header=BB448_2342 Depth=1
	v_bfe_u32 v9, v8, 16, 1
	s_delay_alu instid0(VALU_DEP_1)
	v_add3_u32 v158, v8, v9, 0x7fff
                                        ; implicit-def: $vgpr8
; %bb.3925:                             ;   in Loop: Header=BB448_2342 Depth=1
	s_and_not1_saveexec_b32 s13, s0
; %bb.3926:                             ;   in Loop: Header=BB448_2342 Depth=1
	v_and_b32_e32 v9, 0xffff, v8
	v_or_b32_e32 v10, 0x10000, v8
	s_delay_alu instid0(VALU_DEP_2) | instskip(NEXT) | instid1(VALU_DEP_1)
	v_cmp_eq_u32_e64 s0, 0, v9
	v_cndmask_b32_e64 v158, v10, v8, s0
; %bb.3927:                             ;   in Loop: Header=BB448_2342 Depth=1
	s_or_b32 exec_lo, exec_lo, s13
	v_lshlrev_b32_e32 v7, 16, v7
                                        ; implicit-def: $vgpr159
	s_delay_alu instid0(VALU_DEP_1) | instskip(NEXT) | instid1(VALU_DEP_1)
	v_mul_f32_e32 v7, v148, v7
	v_and_b32_e32 v8, 0x7f800000, v7
	s_delay_alu instid0(VALU_DEP_1) | instskip(NEXT) | instid1(VALU_DEP_1)
	v_cmp_ne_u32_e64 s0, 0x7f800000, v8
	s_and_saveexec_b32 s13, s0
	s_delay_alu instid0(SALU_CYCLE_1)
	s_xor_b32 s0, exec_lo, s13
; %bb.3928:                             ;   in Loop: Header=BB448_2342 Depth=1
	v_bfe_u32 v8, v7, 16, 1
	s_delay_alu instid0(VALU_DEP_1)
	v_add3_u32 v159, v7, v8, 0x7fff
                                        ; implicit-def: $vgpr7
; %bb.3929:                             ;   in Loop: Header=BB448_2342 Depth=1
	s_and_not1_saveexec_b32 s13, s0
; %bb.3930:                             ;   in Loop: Header=BB448_2342 Depth=1
	v_and_b32_e32 v8, 0xffff, v7
	v_or_b32_e32 v9, 0x10000, v7
	s_delay_alu instid0(VALU_DEP_2) | instskip(NEXT) | instid1(VALU_DEP_1)
	v_cmp_eq_u32_e64 s0, 0, v8
	v_cndmask_b32_e64 v159, v9, v7, s0
; %bb.3931:                             ;   in Loop: Header=BB448_2342 Depth=1
	s_or_b32 exec_lo, exec_lo, s13
	v_lshlrev_b32_e32 v6, 16, v6
                                        ; implicit-def: $vgpr168
	s_delay_alu instid0(VALU_DEP_1) | instskip(NEXT) | instid1(VALU_DEP_1)
	v_mul_f32_e32 v6, v149, v6
	v_and_b32_e32 v7, 0x7f800000, v6
	s_delay_alu instid0(VALU_DEP_1) | instskip(NEXT) | instid1(VALU_DEP_1)
	v_cmp_ne_u32_e64 s0, 0x7f800000, v7
	s_and_saveexec_b32 s13, s0
	s_delay_alu instid0(SALU_CYCLE_1)
	s_xor_b32 s0, exec_lo, s13
; %bb.3932:                             ;   in Loop: Header=BB448_2342 Depth=1
	v_bfe_u32 v7, v6, 16, 1
	s_delay_alu instid0(VALU_DEP_1)
	v_add3_u32 v168, v6, v7, 0x7fff
                                        ; implicit-def: $vgpr6
; %bb.3933:                             ;   in Loop: Header=BB448_2342 Depth=1
	s_and_not1_saveexec_b32 s13, s0
; %bb.3934:                             ;   in Loop: Header=BB448_2342 Depth=1
	v_and_b32_e32 v7, 0xffff, v6
	v_or_b32_e32 v8, 0x10000, v6
	s_delay_alu instid0(VALU_DEP_2) | instskip(NEXT) | instid1(VALU_DEP_1)
	v_cmp_eq_u32_e64 s0, 0, v7
	v_cndmask_b32_e64 v168, v8, v6, s0
; %bb.3935:                             ;   in Loop: Header=BB448_2342 Depth=1
	s_or_b32 exec_lo, exec_lo, s13
	flat_load_b64 v[6:7], v[2:3] offset:3072
	s_mov_b32 s13, exec_lo
	s_waitcnt vmcnt(0) lgkmcnt(0)
	v_dual_mov_b32 v8, 0 :: v_dual_and_b32 v9, 0xff, v6
	s_delay_alu instid0(VALU_DEP_1)
	v_cmpx_ne_u16_e32 0, v9
	s_cbranch_execz .LBB448_3943
; %bb.3936:                             ;   in Loop: Header=BB448_2342 Depth=1
	v_bfrev_b32_e32 v8, 1
	s_mov_b32 s15, exec_lo
	v_cmpx_ne_u16_e32 0x80, v9
	s_cbranch_execz .LBB448_3942
; %bb.3937:                             ;   in Loop: Header=BB448_2342 Depth=1
	v_and_b32_e32 v9, 0x7f, v6
	v_mov_b32_e32 v8, 0x7f800001
	s_mov_b32 s16, exec_lo
	s_delay_alu instid0(VALU_DEP_2)
	v_cmpx_ne_u32_e32 0x7f, v9
	s_cbranch_execz .LBB448_3941
; %bb.3938:                             ;   in Loop: Header=BB448_2342 Depth=1
	v_lshrrev_b32_e32 v10, 3, v9
	v_cmp_gt_u32_e64 s0, 8, v9
	v_dual_mov_b32 v9, v7 :: v_dual_mov_b32 v8, v6
	s_delay_alu instid0(VALU_DEP_2)
	s_and_saveexec_b32 s17, s0
; %bb.3939:                             ;   in Loop: Header=BB448_2342 Depth=1
	v_and_b32_e32 v8, 7, v6
	s_delay_alu instid0(VALU_DEP_1) | instskip(NEXT) | instid1(VALU_DEP_1)
	v_clz_i32_u32_e32 v8, v8
	v_min_u32_e32 v10, 32, v8
	s_delay_alu instid0(VALU_DEP_1) | instskip(SKIP_1) | instid1(VALU_DEP_2)
	v_subrev_nc_u32_e32 v8, 28, v10
	v_sub_nc_u32_e32 v10, 29, v10
	v_lshlrev_b64 v[8:9], v8, v[6:7]
; %bb.3940:                             ;   in Loop: Header=BB448_2342 Depth=1
	s_or_b32 exec_lo, exec_lo, s17
	s_delay_alu instid0(VALU_DEP_1) | instskip(SKIP_2) | instid1(VALU_DEP_3)
	v_lshlrev_b32_e32 v8, 20, v8
	v_lshlrev_b32_e32 v9, 24, v6
	v_lshl_add_u32 v10, v10, 23, 0x3c000000
	v_and_b32_e32 v8, 0x700000, v8
	s_delay_alu instid0(VALU_DEP_3) | instskip(NEXT) | instid1(VALU_DEP_1)
	v_and_b32_e32 v9, 0x80000000, v9
	v_or3_b32 v8, v8, v9, v10
.LBB448_3941:                           ;   in Loop: Header=BB448_2342 Depth=1
	s_or_b32 exec_lo, exec_lo, s16
.LBB448_3942:                           ;   in Loop: Header=BB448_2342 Depth=1
	s_delay_alu instid0(SALU_CYCLE_1)
	s_or_b32 exec_lo, exec_lo, s15
.LBB448_3943:                           ;   in Loop: Header=BB448_2342 Depth=1
	s_delay_alu instid0(SALU_CYCLE_1) | instskip(NEXT) | instid1(VALU_DEP_1)
	s_or_b32 exec_lo, exec_lo, s13
	v_mul_f32_e32 v8, v118, v8
                                        ; implicit-def: $vgpr10
	s_delay_alu instid0(VALU_DEP_1) | instskip(NEXT) | instid1(VALU_DEP_1)
	v_and_b32_e32 v9, 0x7f800000, v8
	v_cmp_ne_u32_e64 s0, 0x7f800000, v9
	s_delay_alu instid0(VALU_DEP_1) | instskip(NEXT) | instid1(SALU_CYCLE_1)
	s_and_saveexec_b32 s13, s0
	s_xor_b32 s0, exec_lo, s13
; %bb.3944:                             ;   in Loop: Header=BB448_2342 Depth=1
	v_bfe_u32 v9, v8, 16, 1
	s_delay_alu instid0(VALU_DEP_1)
	v_add3_u32 v10, v8, v9, 0x7fff
                                        ; implicit-def: $vgpr8
; %bb.3945:                             ;   in Loop: Header=BB448_2342 Depth=1
	s_and_not1_saveexec_b32 s13, s0
; %bb.3946:                             ;   in Loop: Header=BB448_2342 Depth=1
	v_and_b32_e32 v9, 0xffff, v8
	v_or_b32_e32 v10, 0x10000, v8
	s_delay_alu instid0(VALU_DEP_2) | instskip(NEXT) | instid1(VALU_DEP_1)
	v_cmp_eq_u32_e64 s0, 0, v9
	v_cndmask_b32_e64 v10, v10, v8, s0
; %bb.3947:                             ;   in Loop: Header=BB448_2342 Depth=1
	s_or_b32 exec_lo, exec_lo, s13
	v_lshrrev_b16 v9, 8, v6
	v_mov_b32_e32 v8, 0
	s_mov_b32 s13, exec_lo
	s_delay_alu instid0(VALU_DEP_2)
	v_cmpx_ne_u16_e32 0, v9
	s_cbranch_execz .LBB448_3955
; %bb.3948:                             ;   in Loop: Header=BB448_2342 Depth=1
	v_bfrev_b32_e32 v8, 1
	s_mov_b32 s15, exec_lo
	v_cmpx_ne_u16_e32 0x80, v9
	s_cbranch_execz .LBB448_3954
; %bb.3949:                             ;   in Loop: Header=BB448_2342 Depth=1
	v_and_b32_e32 v11, 0xffff, v9
	v_mov_b32_e32 v8, 0x7f800001
	s_mov_b32 s16, exec_lo
	s_delay_alu instid0(VALU_DEP_2) | instskip(NEXT) | instid1(VALU_DEP_1)
	v_and_b32_e32 v9, 0x7f, v11
	v_cmpx_ne_u32_e32 0x7f, v9
	s_cbranch_execz .LBB448_3953
; %bb.3950:                             ;   in Loop: Header=BB448_2342 Depth=1
	v_and_b32_e32 v12, 7, v11
	v_lshrrev_b32_e32 v11, 3, v9
	v_cmp_gt_u32_e64 s0, 8, v9
	s_delay_alu instid0(VALU_DEP_3) | instskip(NEXT) | instid1(VALU_DEP_2)
	v_dual_mov_b32 v8, v12 :: v_dual_mov_b32 v9, v13
	s_and_saveexec_b32 s17, s0
; %bb.3951:                             ;   in Loop: Header=BB448_2342 Depth=1
	v_clz_i32_u32_e32 v8, v12
	s_delay_alu instid0(VALU_DEP_1) | instskip(NEXT) | instid1(VALU_DEP_1)
	v_min_u32_e32 v11, 32, v8
	v_subrev_nc_u32_e32 v8, 28, v11
	v_sub_nc_u32_e32 v11, 29, v11
	s_delay_alu instid0(VALU_DEP_2) | instskip(NEXT) | instid1(VALU_DEP_1)
	v_lshlrev_b64 v[8:9], v8, v[12:13]
	v_and_b32_e32 v8, 7, v8
; %bb.3952:                             ;   in Loop: Header=BB448_2342 Depth=1
	s_or_b32 exec_lo, exec_lo, s17
	v_lshlrev_b32_e32 v9, 16, v6
	s_delay_alu instid0(VALU_DEP_2) | instskip(SKIP_1) | instid1(VALU_DEP_3)
	v_lshlrev_b32_e32 v8, 20, v8
	v_lshl_add_u32 v11, v11, 23, 0x3c000000
	v_and_b32_e32 v9, 0x80000000, v9
	s_delay_alu instid0(VALU_DEP_1)
	v_or3_b32 v8, v8, v9, v11
.LBB448_3953:                           ;   in Loop: Header=BB448_2342 Depth=1
	s_or_b32 exec_lo, exec_lo, s16
.LBB448_3954:                           ;   in Loop: Header=BB448_2342 Depth=1
	s_delay_alu instid0(SALU_CYCLE_1)
	s_or_b32 exec_lo, exec_lo, s15
.LBB448_3955:                           ;   in Loop: Header=BB448_2342 Depth=1
	s_delay_alu instid0(SALU_CYCLE_1) | instskip(NEXT) | instid1(VALU_DEP_1)
	s_or_b32 exec_lo, exec_lo, s13
	v_mul_f32_e32 v8, v118, v8
                                        ; implicit-def: $vgpr11
	s_delay_alu instid0(VALU_DEP_1) | instskip(NEXT) | instid1(VALU_DEP_1)
	v_and_b32_e32 v9, 0x7f800000, v8
	v_cmp_ne_u32_e64 s0, 0x7f800000, v9
	s_delay_alu instid0(VALU_DEP_1) | instskip(NEXT) | instid1(SALU_CYCLE_1)
	s_and_saveexec_b32 s13, s0
	s_xor_b32 s0, exec_lo, s13
; %bb.3956:                             ;   in Loop: Header=BB448_2342 Depth=1
	v_bfe_u32 v9, v8, 16, 1
	s_delay_alu instid0(VALU_DEP_1)
	v_add3_u32 v11, v8, v9, 0x7fff
                                        ; implicit-def: $vgpr8
; %bb.3957:                             ;   in Loop: Header=BB448_2342 Depth=1
	s_and_not1_saveexec_b32 s13, s0
; %bb.3958:                             ;   in Loop: Header=BB448_2342 Depth=1
	v_and_b32_e32 v9, 0xffff, v8
	v_or_b32_e32 v11, 0x10000, v8
	s_delay_alu instid0(VALU_DEP_2) | instskip(NEXT) | instid1(VALU_DEP_1)
	v_cmp_eq_u32_e64 s0, 0, v9
	v_cndmask_b32_e64 v11, v11, v8, s0
; %bb.3959:                             ;   in Loop: Header=BB448_2342 Depth=1
	s_or_b32 exec_lo, exec_lo, s13
	v_lshrrev_b32_e32 v14, 16, v6
	s_mov_b32 s13, exec_lo
	s_delay_alu instid0(VALU_DEP_1) | instskip(NEXT) | instid1(VALU_DEP_1)
	v_dual_mov_b32 v8, 0 :: v_dual_and_b32 v9, 0xff, v14
	v_cmpx_ne_u16_e32 0, v9
	s_cbranch_execz .LBB448_3967
; %bb.3960:                             ;   in Loop: Header=BB448_2342 Depth=1
	v_bfrev_b32_e32 v8, 1
	s_mov_b32 s15, exec_lo
	v_cmpx_ne_u16_e32 0x80, v9
	s_cbranch_execz .LBB448_3966
; %bb.3961:                             ;   in Loop: Header=BB448_2342 Depth=1
	v_bfe_u32 v9, v6, 16, 7
	v_mov_b32_e32 v8, 0x7f800001
	s_mov_b32 s16, exec_lo
	s_delay_alu instid0(VALU_DEP_2)
	v_cmpx_ne_u32_e32 0x7f, v9
	s_cbranch_execz .LBB448_3965
; %bb.3962:                             ;   in Loop: Header=BB448_2342 Depth=1
	v_and_b32_e32 v12, 7, v14
	v_lshrrev_b32_e32 v15, 3, v9
	v_cmp_gt_u32_e64 s0, 8, v9
	s_delay_alu instid0(VALU_DEP_3) | instskip(NEXT) | instid1(VALU_DEP_2)
	v_dual_mov_b32 v8, v12 :: v_dual_mov_b32 v9, v13
	s_and_saveexec_b32 s17, s0
; %bb.3963:                             ;   in Loop: Header=BB448_2342 Depth=1
	v_clz_i32_u32_e32 v8, v12
	s_delay_alu instid0(VALU_DEP_1) | instskip(NEXT) | instid1(VALU_DEP_1)
	v_min_u32_e32 v15, 32, v8
	v_subrev_nc_u32_e32 v8, 28, v15
	v_sub_nc_u32_e32 v15, 29, v15
	s_delay_alu instid0(VALU_DEP_2) | instskip(NEXT) | instid1(VALU_DEP_1)
	v_lshlrev_b64 v[8:9], v8, v[12:13]
	v_and_b32_e32 v8, 7, v8
; %bb.3964:                             ;   in Loop: Header=BB448_2342 Depth=1
	s_or_b32 exec_lo, exec_lo, s17
	v_lshlrev_b32_e32 v9, 24, v14
	s_delay_alu instid0(VALU_DEP_2) | instskip(SKIP_1) | instid1(VALU_DEP_3)
	v_lshlrev_b32_e32 v8, 20, v8
	v_lshl_add_u32 v12, v15, 23, 0x3c000000
	v_and_b32_e32 v9, 0x80000000, v9
	s_delay_alu instid0(VALU_DEP_1)
	v_or3_b32 v8, v8, v9, v12
.LBB448_3965:                           ;   in Loop: Header=BB448_2342 Depth=1
	s_or_b32 exec_lo, exec_lo, s16
.LBB448_3966:                           ;   in Loop: Header=BB448_2342 Depth=1
	s_delay_alu instid0(SALU_CYCLE_1)
	s_or_b32 exec_lo, exec_lo, s15
.LBB448_3967:                           ;   in Loop: Header=BB448_2342 Depth=1
	s_delay_alu instid0(SALU_CYCLE_1) | instskip(NEXT) | instid1(VALU_DEP_1)
	s_or_b32 exec_lo, exec_lo, s13
	v_mul_f32_e32 v8, v118, v8
                                        ; implicit-def: $vgpr14
	s_delay_alu instid0(VALU_DEP_1) | instskip(NEXT) | instid1(VALU_DEP_1)
	v_and_b32_e32 v9, 0x7f800000, v8
	v_cmp_ne_u32_e64 s0, 0x7f800000, v9
	s_delay_alu instid0(VALU_DEP_1) | instskip(NEXT) | instid1(SALU_CYCLE_1)
	s_and_saveexec_b32 s13, s0
	s_xor_b32 s0, exec_lo, s13
; %bb.3968:                             ;   in Loop: Header=BB448_2342 Depth=1
	v_bfe_u32 v9, v8, 16, 1
	s_delay_alu instid0(VALU_DEP_1)
	v_add3_u32 v14, v8, v9, 0x7fff
                                        ; implicit-def: $vgpr8
; %bb.3969:                             ;   in Loop: Header=BB448_2342 Depth=1
	s_and_not1_saveexec_b32 s13, s0
; %bb.3970:                             ;   in Loop: Header=BB448_2342 Depth=1
	v_and_b32_e32 v9, 0xffff, v8
	v_or_b32_e32 v12, 0x10000, v8
	s_delay_alu instid0(VALU_DEP_2) | instskip(NEXT) | instid1(VALU_DEP_1)
	v_cmp_eq_u32_e64 s0, 0, v9
	v_cndmask_b32_e64 v14, v12, v8, s0
; %bb.3971:                             ;   in Loop: Header=BB448_2342 Depth=1
	s_or_b32 exec_lo, exec_lo, s13
	v_mov_b32_e32 v8, 0
	s_mov_b32 s13, exec_lo
	v_cmpx_lt_u32_e32 0xffffff, v6
	s_cbranch_execz .LBB448_3979
; %bb.3972:                             ;   in Loop: Header=BB448_2342 Depth=1
	v_lshrrev_b32_e32 v15, 24, v6
	v_bfrev_b32_e32 v8, 1
	s_mov_b32 s15, exec_lo
	s_delay_alu instid0(VALU_DEP_2)
	v_cmpx_ne_u32_e32 0x80, v15
	s_cbranch_execz .LBB448_3978
; %bb.3973:                             ;   in Loop: Header=BB448_2342 Depth=1
	v_bfe_u32 v9, v6, 24, 7
	v_mov_b32_e32 v8, 0x7f800001
	s_mov_b32 s16, exec_lo
	s_delay_alu instid0(VALU_DEP_2)
	v_cmpx_ne_u32_e32 0x7f, v9
	s_cbranch_execz .LBB448_3977
; %bb.3974:                             ;   in Loop: Header=BB448_2342 Depth=1
	v_and_b32_e32 v12, 7, v15
	v_lshrrev_b32_e32 v16, 3, v9
	v_cmp_gt_u32_e64 s0, 8, v9
	s_delay_alu instid0(VALU_DEP_3) | instskip(NEXT) | instid1(VALU_DEP_2)
	v_dual_mov_b32 v8, v12 :: v_dual_mov_b32 v9, v13
	s_and_saveexec_b32 s17, s0
; %bb.3975:                             ;   in Loop: Header=BB448_2342 Depth=1
	v_clz_i32_u32_e32 v8, v12
	s_delay_alu instid0(VALU_DEP_1) | instskip(NEXT) | instid1(VALU_DEP_1)
	v_min_u32_e32 v16, 32, v8
	v_subrev_nc_u32_e32 v8, 28, v16
	v_sub_nc_u32_e32 v16, 29, v16
	s_delay_alu instid0(VALU_DEP_2) | instskip(NEXT) | instid1(VALU_DEP_1)
	v_lshlrev_b64 v[8:9], v8, v[12:13]
	v_and_b32_e32 v8, 7, v8
; %bb.3976:                             ;   in Loop: Header=BB448_2342 Depth=1
	s_or_b32 exec_lo, exec_lo, s17
	v_lshlrev_b32_e32 v9, 24, v15
	s_delay_alu instid0(VALU_DEP_2) | instskip(SKIP_1) | instid1(VALU_DEP_3)
	v_lshlrev_b32_e32 v8, 20, v8
	v_lshl_add_u32 v12, v16, 23, 0x3c000000
	v_and_b32_e32 v9, 0x80000000, v9
	s_delay_alu instid0(VALU_DEP_1)
	v_or3_b32 v8, v8, v9, v12
.LBB448_3977:                           ;   in Loop: Header=BB448_2342 Depth=1
	s_or_b32 exec_lo, exec_lo, s16
.LBB448_3978:                           ;   in Loop: Header=BB448_2342 Depth=1
	s_delay_alu instid0(SALU_CYCLE_1)
	s_or_b32 exec_lo, exec_lo, s15
.LBB448_3979:                           ;   in Loop: Header=BB448_2342 Depth=1
	s_delay_alu instid0(SALU_CYCLE_1) | instskip(NEXT) | instid1(VALU_DEP_1)
	s_or_b32 exec_lo, exec_lo, s13
	v_mul_f32_e32 v8, v118, v8
                                        ; implicit-def: $vgpr15
	s_delay_alu instid0(VALU_DEP_1) | instskip(NEXT) | instid1(VALU_DEP_1)
	v_and_b32_e32 v9, 0x7f800000, v8
	v_cmp_ne_u32_e64 s0, 0x7f800000, v9
	s_delay_alu instid0(VALU_DEP_1) | instskip(NEXT) | instid1(SALU_CYCLE_1)
	s_and_saveexec_b32 s13, s0
	s_xor_b32 s0, exec_lo, s13
; %bb.3980:                             ;   in Loop: Header=BB448_2342 Depth=1
	v_bfe_u32 v9, v8, 16, 1
	s_delay_alu instid0(VALU_DEP_1)
	v_add3_u32 v15, v8, v9, 0x7fff
                                        ; implicit-def: $vgpr8
; %bb.3981:                             ;   in Loop: Header=BB448_2342 Depth=1
	s_and_not1_saveexec_b32 s13, s0
; %bb.3982:                             ;   in Loop: Header=BB448_2342 Depth=1
	v_and_b32_e32 v9, 0xffff, v8
	v_or_b32_e32 v12, 0x10000, v8
	s_delay_alu instid0(VALU_DEP_2) | instskip(NEXT) | instid1(VALU_DEP_1)
	v_cmp_eq_u32_e64 s0, 0, v9
	v_cndmask_b32_e64 v15, v12, v8, s0
; %bb.3983:                             ;   in Loop: Header=BB448_2342 Depth=1
	s_or_b32 exec_lo, exec_lo, s13
	v_dual_mov_b32 v12, v7 :: v_dual_and_b32 v9, 0xff, v7
	v_mov_b32_e32 v8, 0
	s_mov_b32 s13, exec_lo
	s_delay_alu instid0(VALU_DEP_2)
	v_cmpx_ne_u16_e32 0, v9
	s_cbranch_execz .LBB448_3991
; %bb.3984:                             ;   in Loop: Header=BB448_2342 Depth=1
	v_bfrev_b32_e32 v8, 1
	s_mov_b32 s15, exec_lo
	v_cmpx_ne_u16_e32 0x80, v9
	s_cbranch_execz .LBB448_3990
; %bb.3985:                             ;   in Loop: Header=BB448_2342 Depth=1
	v_and_b32_e32 v9, 0x7f, v7
	v_mov_b32_e32 v8, 0x7f800001
	s_mov_b32 s16, exec_lo
	s_delay_alu instid0(VALU_DEP_2)
	v_cmpx_ne_u32_e32 0x7f, v9
	s_cbranch_execz .LBB448_3989
; %bb.3986:                             ;   in Loop: Header=BB448_2342 Depth=1
	v_lshrrev_b32_e32 v16, 3, v9
	v_cmp_gt_u32_e64 s0, 8, v9
	v_dual_mov_b32 v8, v12 :: v_dual_mov_b32 v9, v13
	s_delay_alu instid0(VALU_DEP_2)
	s_and_saveexec_b32 s17, s0
; %bb.3987:                             ;   in Loop: Header=BB448_2342 Depth=1
	v_and_b32_e32 v8, 7, v7
	s_delay_alu instid0(VALU_DEP_1) | instskip(NEXT) | instid1(VALU_DEP_1)
	v_clz_i32_u32_e32 v8, v8
	v_min_u32_e32 v16, 32, v8
	s_delay_alu instid0(VALU_DEP_1) | instskip(SKIP_1) | instid1(VALU_DEP_2)
	v_subrev_nc_u32_e32 v8, 28, v16
	v_sub_nc_u32_e32 v16, 29, v16
	v_lshlrev_b64 v[8:9], v8, v[12:13]
; %bb.3988:                             ;   in Loop: Header=BB448_2342 Depth=1
	s_or_b32 exec_lo, exec_lo, s17
	s_delay_alu instid0(VALU_DEP_1) | instskip(SKIP_2) | instid1(VALU_DEP_3)
	v_lshlrev_b32_e32 v8, 20, v8
	v_lshlrev_b32_e32 v9, 24, v12
	v_lshl_add_u32 v16, v16, 23, 0x3c000000
	v_and_b32_e32 v8, 0x700000, v8
	s_delay_alu instid0(VALU_DEP_3) | instskip(NEXT) | instid1(VALU_DEP_1)
	v_and_b32_e32 v9, 0x80000000, v9
	v_or3_b32 v8, v8, v9, v16
.LBB448_3989:                           ;   in Loop: Header=BB448_2342 Depth=1
	s_or_b32 exec_lo, exec_lo, s16
.LBB448_3990:                           ;   in Loop: Header=BB448_2342 Depth=1
	s_delay_alu instid0(SALU_CYCLE_1)
	s_or_b32 exec_lo, exec_lo, s15
.LBB448_3991:                           ;   in Loop: Header=BB448_2342 Depth=1
	s_delay_alu instid0(SALU_CYCLE_1) | instskip(NEXT) | instid1(VALU_DEP_1)
	s_or_b32 exec_lo, exec_lo, s13
	v_mul_f32_e32 v8, v118, v8
                                        ; implicit-def: $vgpr16
	s_delay_alu instid0(VALU_DEP_1) | instskip(NEXT) | instid1(VALU_DEP_1)
	v_and_b32_e32 v9, 0x7f800000, v8
	v_cmp_ne_u32_e64 s0, 0x7f800000, v9
	s_delay_alu instid0(VALU_DEP_1) | instskip(NEXT) | instid1(SALU_CYCLE_1)
	s_and_saveexec_b32 s13, s0
	s_xor_b32 s0, exec_lo, s13
; %bb.3992:                             ;   in Loop: Header=BB448_2342 Depth=1
	v_bfe_u32 v9, v8, 16, 1
	s_delay_alu instid0(VALU_DEP_1)
	v_add3_u32 v16, v8, v9, 0x7fff
                                        ; implicit-def: $vgpr8
; %bb.3993:                             ;   in Loop: Header=BB448_2342 Depth=1
	s_and_not1_saveexec_b32 s13, s0
; %bb.3994:                             ;   in Loop: Header=BB448_2342 Depth=1
	v_and_b32_e32 v9, 0xffff, v8
	v_or_b32_e32 v16, 0x10000, v8
	s_delay_alu instid0(VALU_DEP_2) | instskip(NEXT) | instid1(VALU_DEP_1)
	v_cmp_eq_u32_e64 s0, 0, v9
	v_cndmask_b32_e64 v16, v16, v8, s0
; %bb.3995:                             ;   in Loop: Header=BB448_2342 Depth=1
	s_or_b32 exec_lo, exec_lo, s13
	v_lshrrev_b16 v9, 8, v12
	v_mov_b32_e32 v8, 0
	s_mov_b32 s13, exec_lo
	s_delay_alu instid0(VALU_DEP_2)
	v_cmpx_ne_u16_e32 0, v9
	s_cbranch_execz .LBB448_4003
; %bb.3996:                             ;   in Loop: Header=BB448_2342 Depth=1
	v_bfrev_b32_e32 v8, 1
	s_mov_b32 s15, exec_lo
	v_cmpx_ne_u16_e32 0x80, v9
	s_cbranch_execz .LBB448_4002
; %bb.3997:                             ;   in Loop: Header=BB448_2342 Depth=1
	v_and_b32_e32 v9, 0xffff, v9
	v_mov_b32_e32 v8, 0x7f800001
	s_mov_b32 s16, exec_lo
	s_delay_alu instid0(VALU_DEP_2) | instskip(NEXT) | instid1(VALU_DEP_1)
	v_and_b32_e32 v19, 0x7f, v9
	v_cmpx_ne_u32_e32 0x7f, v19
	s_cbranch_execz .LBB448_4001
; %bb.3998:                             ;   in Loop: Header=BB448_2342 Depth=1
	v_dual_mov_b32 v9, v13 :: v_dual_and_b32 v8, 7, v9
	v_lshrrev_b32_e32 v18, 3, v19
	s_mov_b32 s17, exec_lo
	v_cmpx_gt_u32_e32 8, v19
; %bb.3999:                             ;   in Loop: Header=BB448_2342 Depth=1
	s_delay_alu instid0(VALU_DEP_3) | instskip(NEXT) | instid1(VALU_DEP_1)
	v_clz_i32_u32_e32 v18, v8
	v_min_u32_e32 v18, 32, v18
	s_delay_alu instid0(VALU_DEP_1) | instskip(SKIP_1) | instid1(VALU_DEP_2)
	v_subrev_nc_u32_e32 v19, 28, v18
	v_sub_nc_u32_e32 v18, 29, v18
	v_lshlrev_b64 v[8:9], v19, v[8:9]
	s_delay_alu instid0(VALU_DEP_1)
	v_and_b32_e32 v8, 7, v8
; %bb.4000:                             ;   in Loop: Header=BB448_2342 Depth=1
	s_or_b32 exec_lo, exec_lo, s17
	v_lshlrev_b32_e32 v9, 16, v12
	s_delay_alu instid0(VALU_DEP_2) | instskip(SKIP_1) | instid1(VALU_DEP_3)
	v_lshlrev_b32_e32 v8, 20, v8
	v_lshl_add_u32 v12, v18, 23, 0x3c000000
	v_and_b32_e32 v9, 0x80000000, v9
	s_delay_alu instid0(VALU_DEP_1)
	v_or3_b32 v8, v8, v9, v12
.LBB448_4001:                           ;   in Loop: Header=BB448_2342 Depth=1
	s_or_b32 exec_lo, exec_lo, s16
.LBB448_4002:                           ;   in Loop: Header=BB448_2342 Depth=1
	s_delay_alu instid0(SALU_CYCLE_1)
	s_or_b32 exec_lo, exec_lo, s15
.LBB448_4003:                           ;   in Loop: Header=BB448_2342 Depth=1
	s_delay_alu instid0(SALU_CYCLE_1) | instskip(NEXT) | instid1(VALU_DEP_1)
	s_or_b32 exec_lo, exec_lo, s13
	v_mul_f32_e32 v8, v118, v8
                                        ; implicit-def: $vgpr18
	s_delay_alu instid0(VALU_DEP_1) | instskip(NEXT) | instid1(VALU_DEP_1)
	v_and_b32_e32 v9, 0x7f800000, v8
	v_cmp_ne_u32_e64 s0, 0x7f800000, v9
	s_delay_alu instid0(VALU_DEP_1) | instskip(NEXT) | instid1(SALU_CYCLE_1)
	s_and_saveexec_b32 s13, s0
	s_xor_b32 s0, exec_lo, s13
; %bb.4004:                             ;   in Loop: Header=BB448_2342 Depth=1
	v_bfe_u32 v9, v8, 16, 1
	s_delay_alu instid0(VALU_DEP_1)
	v_add3_u32 v18, v8, v9, 0x7fff
                                        ; implicit-def: $vgpr8
; %bb.4005:                             ;   in Loop: Header=BB448_2342 Depth=1
	s_and_not1_saveexec_b32 s13, s0
; %bb.4006:                             ;   in Loop: Header=BB448_2342 Depth=1
	v_and_b32_e32 v9, 0xffff, v8
	v_or_b32_e32 v12, 0x10000, v8
	s_delay_alu instid0(VALU_DEP_2) | instskip(NEXT) | instid1(VALU_DEP_1)
	v_cmp_eq_u32_e64 s0, 0, v9
	v_cndmask_b32_e64 v18, v12, v8, s0
; %bb.4007:                             ;   in Loop: Header=BB448_2342 Depth=1
	s_or_b32 exec_lo, exec_lo, s13
	v_lshrrev_b32_e32 v19, 16, v7
	s_mov_b32 s13, exec_lo
	s_delay_alu instid0(VALU_DEP_1) | instskip(NEXT) | instid1(VALU_DEP_1)
	v_dual_mov_b32 v8, 0 :: v_dual_and_b32 v9, 0xff, v19
	v_cmpx_ne_u16_e32 0, v9
	s_cbranch_execz .LBB448_4015
; %bb.4008:                             ;   in Loop: Header=BB448_2342 Depth=1
	v_bfrev_b32_e32 v8, 1
	s_mov_b32 s15, exec_lo
	v_cmpx_ne_u16_e32 0x80, v9
	s_cbranch_execz .LBB448_4014
; %bb.4009:                             ;   in Loop: Header=BB448_2342 Depth=1
	v_bfe_u32 v9, v7, 16, 7
	v_mov_b32_e32 v8, 0x7f800001
	s_mov_b32 s16, exec_lo
	s_delay_alu instid0(VALU_DEP_2)
	v_cmpx_ne_u32_e32 0x7f, v9
	s_cbranch_execz .LBB448_4013
; %bb.4010:                             ;   in Loop: Header=BB448_2342 Depth=1
	v_and_b32_e32 v12, 7, v19
	v_lshrrev_b32_e32 v20, 3, v9
	v_cmp_gt_u32_e64 s0, 8, v9
	s_delay_alu instid0(VALU_DEP_3) | instskip(NEXT) | instid1(VALU_DEP_2)
	v_dual_mov_b32 v8, v12 :: v_dual_mov_b32 v9, v13
	s_and_saveexec_b32 s17, s0
; %bb.4011:                             ;   in Loop: Header=BB448_2342 Depth=1
	v_clz_i32_u32_e32 v8, v12
	s_delay_alu instid0(VALU_DEP_1) | instskip(NEXT) | instid1(VALU_DEP_1)
	v_min_u32_e32 v20, 32, v8
	v_subrev_nc_u32_e32 v8, 28, v20
	v_sub_nc_u32_e32 v20, 29, v20
	s_delay_alu instid0(VALU_DEP_2) | instskip(NEXT) | instid1(VALU_DEP_1)
	v_lshlrev_b64 v[8:9], v8, v[12:13]
	v_and_b32_e32 v8, 7, v8
; %bb.4012:                             ;   in Loop: Header=BB448_2342 Depth=1
	s_or_b32 exec_lo, exec_lo, s17
	v_lshlrev_b32_e32 v9, 24, v19
	s_delay_alu instid0(VALU_DEP_2) | instskip(SKIP_1) | instid1(VALU_DEP_3)
	v_lshlrev_b32_e32 v8, 20, v8
	v_lshl_add_u32 v12, v20, 23, 0x3c000000
	v_and_b32_e32 v9, 0x80000000, v9
	s_delay_alu instid0(VALU_DEP_1)
	v_or3_b32 v8, v8, v9, v12
.LBB448_4013:                           ;   in Loop: Header=BB448_2342 Depth=1
	s_or_b32 exec_lo, exec_lo, s16
.LBB448_4014:                           ;   in Loop: Header=BB448_2342 Depth=1
	s_delay_alu instid0(SALU_CYCLE_1)
	s_or_b32 exec_lo, exec_lo, s15
.LBB448_4015:                           ;   in Loop: Header=BB448_2342 Depth=1
	s_delay_alu instid0(SALU_CYCLE_1) | instskip(NEXT) | instid1(VALU_DEP_1)
	s_or_b32 exec_lo, exec_lo, s13
	v_mul_f32_e32 v8, v118, v8
                                        ; implicit-def: $vgpr19
	s_delay_alu instid0(VALU_DEP_1) | instskip(NEXT) | instid1(VALU_DEP_1)
	v_and_b32_e32 v9, 0x7f800000, v8
	v_cmp_ne_u32_e64 s0, 0x7f800000, v9
	s_delay_alu instid0(VALU_DEP_1) | instskip(NEXT) | instid1(SALU_CYCLE_1)
	s_and_saveexec_b32 s13, s0
	s_xor_b32 s0, exec_lo, s13
; %bb.4016:                             ;   in Loop: Header=BB448_2342 Depth=1
	v_bfe_u32 v9, v8, 16, 1
	s_delay_alu instid0(VALU_DEP_1)
	v_add3_u32 v19, v8, v9, 0x7fff
                                        ; implicit-def: $vgpr8
; %bb.4017:                             ;   in Loop: Header=BB448_2342 Depth=1
	s_and_not1_saveexec_b32 s13, s0
; %bb.4018:                             ;   in Loop: Header=BB448_2342 Depth=1
	v_and_b32_e32 v9, 0xffff, v8
	v_or_b32_e32 v12, 0x10000, v8
	s_delay_alu instid0(VALU_DEP_2) | instskip(NEXT) | instid1(VALU_DEP_1)
	v_cmp_eq_u32_e64 s0, 0, v9
	v_cndmask_b32_e64 v19, v12, v8, s0
; %bb.4019:                             ;   in Loop: Header=BB448_2342 Depth=1
	s_or_b32 exec_lo, exec_lo, s13
	v_cmp_lt_u64_e64 s0, s[8:9], v[6:7]
	v_mov_b32_e32 v6, 0
	s_delay_alu instid0(VALU_DEP_2)
	s_and_saveexec_b32 s13, s0
	s_cbranch_execz .LBB448_4027
; %bb.4020:                             ;   in Loop: Header=BB448_2342 Depth=1
	v_lshrrev_b32_e32 v8, 24, v7
	v_bfrev_b32_e32 v6, 1
	s_mov_b32 s15, exec_lo
	s_delay_alu instid0(VALU_DEP_2)
	v_cmpx_ne_u32_e32 0x80, v8
	s_cbranch_execz .LBB448_4026
; %bb.4021:                             ;   in Loop: Header=BB448_2342 Depth=1
	v_bfe_u32 v7, v7, 24, 7
	v_mov_b32_e32 v6, 0x7f800001
	s_mov_b32 s16, exec_lo
	s_delay_alu instid0(VALU_DEP_2)
	v_cmpx_ne_u32_e32 0x7f, v7
	s_cbranch_execz .LBB448_4025
; %bb.4022:                             ;   in Loop: Header=BB448_2342 Depth=1
	v_and_b32_e32 v12, 7, v8
	v_lshrrev_b32_e32 v9, 3, v7
	v_cmp_gt_u32_e64 s0, 8, v7
	s_delay_alu instid0(VALU_DEP_3) | instskip(NEXT) | instid1(VALU_DEP_2)
	v_dual_mov_b32 v6, v12 :: v_dual_mov_b32 v7, v13
	s_and_saveexec_b32 s17, s0
; %bb.4023:                             ;   in Loop: Header=BB448_2342 Depth=1
	v_clz_i32_u32_e32 v6, v12
	s_delay_alu instid0(VALU_DEP_1) | instskip(NEXT) | instid1(VALU_DEP_1)
	v_min_u32_e32 v9, 32, v6
	v_subrev_nc_u32_e32 v6, 28, v9
	v_sub_nc_u32_e32 v9, 29, v9
	s_delay_alu instid0(VALU_DEP_2) | instskip(NEXT) | instid1(VALU_DEP_1)
	v_lshlrev_b64 v[6:7], v6, v[12:13]
	v_and_b32_e32 v6, 7, v6
; %bb.4024:                             ;   in Loop: Header=BB448_2342 Depth=1
	s_or_b32 exec_lo, exec_lo, s17
	v_lshlrev_b32_e32 v7, 24, v8
	s_delay_alu instid0(VALU_DEP_2) | instskip(SKIP_1) | instid1(VALU_DEP_3)
	v_lshlrev_b32_e32 v6, 20, v6
	v_lshl_add_u32 v8, v9, 23, 0x3c000000
	v_and_b32_e32 v7, 0x80000000, v7
	s_delay_alu instid0(VALU_DEP_1)
	v_or3_b32 v6, v6, v7, v8
.LBB448_4025:                           ;   in Loop: Header=BB448_2342 Depth=1
	s_or_b32 exec_lo, exec_lo, s16
.LBB448_4026:                           ;   in Loop: Header=BB448_2342 Depth=1
	s_delay_alu instid0(SALU_CYCLE_1)
	s_or_b32 exec_lo, exec_lo, s15
.LBB448_4027:                           ;   in Loop: Header=BB448_2342 Depth=1
	s_delay_alu instid0(SALU_CYCLE_1) | instskip(NEXT) | instid1(VALU_DEP_1)
	s_or_b32 exec_lo, exec_lo, s13
	v_mul_f32_e32 v7, v118, v6
	s_delay_alu instid0(VALU_DEP_1) | instskip(NEXT) | instid1(VALU_DEP_1)
	v_and_b32_e32 v6, 0x7f800000, v7
	v_cmp_ne_u32_e64 s0, 0x7f800000, v6
                                        ; implicit-def: $vgpr6
	s_delay_alu instid0(VALU_DEP_1) | instskip(NEXT) | instid1(SALU_CYCLE_1)
	s_and_saveexec_b32 s13, s0
	s_xor_b32 s0, exec_lo, s13
; %bb.4028:                             ;   in Loop: Header=BB448_2342 Depth=1
	v_bfe_u32 v6, v7, 16, 1
	s_delay_alu instid0(VALU_DEP_1)
	v_add3_u32 v6, v7, v6, 0x7fff
                                        ; implicit-def: $vgpr7
; %bb.4029:                             ;   in Loop: Header=BB448_2342 Depth=1
	s_and_not1_saveexec_b32 s13, s0
; %bb.4030:                             ;   in Loop: Header=BB448_2342 Depth=1
	v_and_b32_e32 v6, 0xffff, v7
	v_or_b32_e32 v8, 0x10000, v7
	s_delay_alu instid0(VALU_DEP_2) | instskip(NEXT) | instid1(VALU_DEP_1)
	v_cmp_eq_u32_e64 s0, 0, v6
	v_cndmask_b32_e64 v6, v8, v7, s0
; %bb.4031:                             ;   in Loop: Header=BB448_2342 Depth=1
	s_or_b32 exec_lo, exec_lo, s13
	v_lshrrev_b32_e32 v8, 16, v18
	v_lshrrev_b32_e32 v9, 16, v16
	v_lshrrev_b32_e32 v12, 16, v15
	v_lshrrev_b32_e32 v14, 16, v14
	v_lshrrev_b32_e32 v11, 16, v11
	v_lshrrev_b32_e32 v10, 16, v10
	v_lshrrev_b32_e32 v7, 16, v19
	v_lshrrev_b32_e32 v6, 16, v6
	s_and_saveexec_b32 s13, vcc_lo
	s_cbranch_execz .LBB448_4033
; %bb.4032:                             ;   in Loop: Header=BB448_2342 Depth=1
	v_cmp_lt_i32_e64 s0, v102, v36
	s_delay_alu instid0(VALU_DEP_1) | instskip(SKIP_1) | instid1(VALU_DEP_1)
	v_cndmask_b32_e64 v10, 0, v10, s0
	v_cmp_lt_i32_e64 s0, v133, v36
	v_cndmask_b32_e64 v11, 0, v11, s0
	v_cmp_lt_i32_e64 s0, v132, v36
	s_delay_alu instid0(VALU_DEP_1) | instskip(SKIP_1) | instid1(VALU_DEP_1)
	v_cndmask_b32_e64 v14, 0, v14, s0
	v_cmp_lt_i32_e64 s0, v131, v36
	v_cndmask_b32_e64 v12, 0, v12, s0
	;; [unrolled: 5-line block ×4, first 2 shown]
.LBB448_4033:                           ;   in Loop: Header=BB448_2342 Depth=1
	s_or_b32 exec_lo, exec_lo, s13
	v_lshlrev_b32_e32 v10, 16, v10
                                        ; implicit-def: $vgpr169
	s_delay_alu instid0(VALU_DEP_1) | instskip(NEXT) | instid1(VALU_DEP_1)
	v_mul_f32_e32 v10, v134, v10
	v_and_b32_e32 v15, 0x7f800000, v10
	s_delay_alu instid0(VALU_DEP_1) | instskip(NEXT) | instid1(VALU_DEP_1)
	v_cmp_ne_u32_e64 s0, 0x7f800000, v15
	s_and_saveexec_b32 s13, s0
	s_delay_alu instid0(SALU_CYCLE_1)
	s_xor_b32 s0, exec_lo, s13
; %bb.4034:                             ;   in Loop: Header=BB448_2342 Depth=1
	v_bfe_u32 v15, v10, 16, 1
	s_delay_alu instid0(VALU_DEP_1)
	v_add3_u32 v169, v10, v15, 0x7fff
                                        ; implicit-def: $vgpr10
; %bb.4035:                             ;   in Loop: Header=BB448_2342 Depth=1
	s_and_not1_saveexec_b32 s13, s0
; %bb.4036:                             ;   in Loop: Header=BB448_2342 Depth=1
	v_and_b32_e32 v15, 0xffff, v10
	v_or_b32_e32 v16, 0x10000, v10
	s_delay_alu instid0(VALU_DEP_2) | instskip(NEXT) | instid1(VALU_DEP_1)
	v_cmp_eq_u32_e64 s0, 0, v15
	v_cndmask_b32_e64 v169, v16, v10, s0
; %bb.4037:                             ;   in Loop: Header=BB448_2342 Depth=1
	s_or_b32 exec_lo, exec_lo, s13
	v_lshlrev_b32_e32 v10, 16, v11
                                        ; implicit-def: $vgpr170
	s_delay_alu instid0(VALU_DEP_1) | instskip(NEXT) | instid1(VALU_DEP_1)
	v_mul_f32_e32 v10, v135, v10
	v_and_b32_e32 v11, 0x7f800000, v10
	s_delay_alu instid0(VALU_DEP_1) | instskip(NEXT) | instid1(VALU_DEP_1)
	v_cmp_ne_u32_e64 s0, 0x7f800000, v11
	s_and_saveexec_b32 s13, s0
	s_delay_alu instid0(SALU_CYCLE_1)
	s_xor_b32 s0, exec_lo, s13
; %bb.4038:                             ;   in Loop: Header=BB448_2342 Depth=1
	v_bfe_u32 v11, v10, 16, 1
	s_delay_alu instid0(VALU_DEP_1)
	v_add3_u32 v170, v10, v11, 0x7fff
                                        ; implicit-def: $vgpr10
; %bb.4039:                             ;   in Loop: Header=BB448_2342 Depth=1
	s_and_not1_saveexec_b32 s13, s0
; %bb.4040:                             ;   in Loop: Header=BB448_2342 Depth=1
	v_and_b32_e32 v11, 0xffff, v10
	v_or_b32_e32 v15, 0x10000, v10
	s_delay_alu instid0(VALU_DEP_2) | instskip(NEXT) | instid1(VALU_DEP_1)
	v_cmp_eq_u32_e64 s0, 0, v11
	v_cndmask_b32_e64 v170, v15, v10, s0
; %bb.4041:                             ;   in Loop: Header=BB448_2342 Depth=1
	s_or_b32 exec_lo, exec_lo, s13
	v_lshlrev_b32_e32 v10, 16, v14
                                        ; implicit-def: $vgpr171
	s_delay_alu instid0(VALU_DEP_1) | instskip(NEXT) | instid1(VALU_DEP_1)
	v_mul_f32_e32 v10, v144, v10
	v_and_b32_e32 v11, 0x7f800000, v10
	s_delay_alu instid0(VALU_DEP_1) | instskip(NEXT) | instid1(VALU_DEP_1)
	v_cmp_ne_u32_e64 s0, 0x7f800000, v11
	s_and_saveexec_b32 s13, s0
	s_delay_alu instid0(SALU_CYCLE_1)
	s_xor_b32 s0, exec_lo, s13
; %bb.4042:                             ;   in Loop: Header=BB448_2342 Depth=1
	v_bfe_u32 v11, v10, 16, 1
	s_delay_alu instid0(VALU_DEP_1)
	v_add3_u32 v171, v10, v11, 0x7fff
                                        ; implicit-def: $vgpr10
; %bb.4043:                             ;   in Loop: Header=BB448_2342 Depth=1
	s_and_not1_saveexec_b32 s13, s0
; %bb.4044:                             ;   in Loop: Header=BB448_2342 Depth=1
	v_and_b32_e32 v11, 0xffff, v10
	v_or_b32_e32 v14, 0x10000, v10
	s_delay_alu instid0(VALU_DEP_2) | instskip(NEXT) | instid1(VALU_DEP_1)
	v_cmp_eq_u32_e64 s0, 0, v11
	v_cndmask_b32_e64 v171, v14, v10, s0
; %bb.4045:                             ;   in Loop: Header=BB448_2342 Depth=1
	s_or_b32 exec_lo, exec_lo, s13
	v_lshlrev_b32_e32 v10, 16, v12
                                        ; implicit-def: $vgpr172
	s_delay_alu instid0(VALU_DEP_1) | instskip(NEXT) | instid1(VALU_DEP_1)
	v_mul_f32_e32 v10, v145, v10
	v_and_b32_e32 v11, 0x7f800000, v10
	s_delay_alu instid0(VALU_DEP_1) | instskip(NEXT) | instid1(VALU_DEP_1)
	v_cmp_ne_u32_e64 s0, 0x7f800000, v11
	s_and_saveexec_b32 s13, s0
	s_delay_alu instid0(SALU_CYCLE_1)
	s_xor_b32 s0, exec_lo, s13
; %bb.4046:                             ;   in Loop: Header=BB448_2342 Depth=1
	v_bfe_u32 v11, v10, 16, 1
	s_delay_alu instid0(VALU_DEP_1)
	v_add3_u32 v172, v10, v11, 0x7fff
                                        ; implicit-def: $vgpr10
; %bb.4047:                             ;   in Loop: Header=BB448_2342 Depth=1
	s_and_not1_saveexec_b32 s13, s0
; %bb.4048:                             ;   in Loop: Header=BB448_2342 Depth=1
	v_and_b32_e32 v11, 0xffff, v10
	v_or_b32_e32 v12, 0x10000, v10
	s_delay_alu instid0(VALU_DEP_2) | instskip(NEXT) | instid1(VALU_DEP_1)
	v_cmp_eq_u32_e64 s0, 0, v11
	v_cndmask_b32_e64 v172, v12, v10, s0
; %bb.4049:                             ;   in Loop: Header=BB448_2342 Depth=1
	s_or_b32 exec_lo, exec_lo, s13
	v_lshlrev_b32_e32 v9, 16, v9
                                        ; implicit-def: $vgpr173
	s_delay_alu instid0(VALU_DEP_1) | instskip(NEXT) | instid1(VALU_DEP_1)
	v_mul_f32_e32 v9, v146, v9
	v_and_b32_e32 v10, 0x7f800000, v9
	s_delay_alu instid0(VALU_DEP_1) | instskip(NEXT) | instid1(VALU_DEP_1)
	v_cmp_ne_u32_e64 s0, 0x7f800000, v10
	s_and_saveexec_b32 s13, s0
	s_delay_alu instid0(SALU_CYCLE_1)
	s_xor_b32 s0, exec_lo, s13
; %bb.4050:                             ;   in Loop: Header=BB448_2342 Depth=1
	v_bfe_u32 v10, v9, 16, 1
	s_delay_alu instid0(VALU_DEP_1)
	v_add3_u32 v173, v9, v10, 0x7fff
                                        ; implicit-def: $vgpr9
; %bb.4051:                             ;   in Loop: Header=BB448_2342 Depth=1
	s_and_not1_saveexec_b32 s13, s0
; %bb.4052:                             ;   in Loop: Header=BB448_2342 Depth=1
	v_and_b32_e32 v10, 0xffff, v9
	v_or_b32_e32 v11, 0x10000, v9
	s_delay_alu instid0(VALU_DEP_2) | instskip(NEXT) | instid1(VALU_DEP_1)
	v_cmp_eq_u32_e64 s0, 0, v10
	v_cndmask_b32_e64 v173, v11, v9, s0
; %bb.4053:                             ;   in Loop: Header=BB448_2342 Depth=1
	s_or_b32 exec_lo, exec_lo, s13
	v_lshlrev_b32_e32 v8, 16, v8
                                        ; implicit-def: $vgpr175
	s_delay_alu instid0(VALU_DEP_1) | instskip(NEXT) | instid1(VALU_DEP_1)
	v_mul_f32_e32 v8, v147, v8
	v_and_b32_e32 v9, 0x7f800000, v8
	s_delay_alu instid0(VALU_DEP_1) | instskip(NEXT) | instid1(VALU_DEP_1)
	v_cmp_ne_u32_e64 s0, 0x7f800000, v9
	s_and_saveexec_b32 s13, s0
	s_delay_alu instid0(SALU_CYCLE_1)
	s_xor_b32 s0, exec_lo, s13
; %bb.4054:                             ;   in Loop: Header=BB448_2342 Depth=1
	v_bfe_u32 v9, v8, 16, 1
	s_delay_alu instid0(VALU_DEP_1)
	v_add3_u32 v175, v8, v9, 0x7fff
                                        ; implicit-def: $vgpr8
; %bb.4055:                             ;   in Loop: Header=BB448_2342 Depth=1
	s_and_not1_saveexec_b32 s13, s0
; %bb.4056:                             ;   in Loop: Header=BB448_2342 Depth=1
	v_and_b32_e32 v9, 0xffff, v8
	v_or_b32_e32 v10, 0x10000, v8
	s_delay_alu instid0(VALU_DEP_2) | instskip(NEXT) | instid1(VALU_DEP_1)
	v_cmp_eq_u32_e64 s0, 0, v9
	v_cndmask_b32_e64 v175, v10, v8, s0
; %bb.4057:                             ;   in Loop: Header=BB448_2342 Depth=1
	s_or_b32 exec_lo, exec_lo, s13
	v_lshlrev_b32_e32 v7, 16, v7
                                        ; implicit-def: $vgpr174
	s_delay_alu instid0(VALU_DEP_1) | instskip(NEXT) | instid1(VALU_DEP_1)
	v_mul_f32_e32 v7, v148, v7
	v_and_b32_e32 v8, 0x7f800000, v7
	s_delay_alu instid0(VALU_DEP_1) | instskip(NEXT) | instid1(VALU_DEP_1)
	v_cmp_ne_u32_e64 s0, 0x7f800000, v8
	s_and_saveexec_b32 s13, s0
	s_delay_alu instid0(SALU_CYCLE_1)
	s_xor_b32 s0, exec_lo, s13
; %bb.4058:                             ;   in Loop: Header=BB448_2342 Depth=1
	v_bfe_u32 v8, v7, 16, 1
	s_delay_alu instid0(VALU_DEP_1)
	v_add3_u32 v174, v7, v8, 0x7fff
                                        ; implicit-def: $vgpr7
; %bb.4059:                             ;   in Loop: Header=BB448_2342 Depth=1
	s_and_not1_saveexec_b32 s13, s0
; %bb.4060:                             ;   in Loop: Header=BB448_2342 Depth=1
	v_and_b32_e32 v8, 0xffff, v7
	v_or_b32_e32 v9, 0x10000, v7
	s_delay_alu instid0(VALU_DEP_2) | instskip(NEXT) | instid1(VALU_DEP_1)
	v_cmp_eq_u32_e64 s0, 0, v8
	v_cndmask_b32_e64 v174, v9, v7, s0
; %bb.4061:                             ;   in Loop: Header=BB448_2342 Depth=1
	s_or_b32 exec_lo, exec_lo, s13
	v_lshlrev_b32_e32 v6, 16, v6
                                        ; implicit-def: $vgpr184
	s_delay_alu instid0(VALU_DEP_1) | instskip(NEXT) | instid1(VALU_DEP_1)
	v_mul_f32_e32 v6, v149, v6
	v_and_b32_e32 v7, 0x7f800000, v6
	s_delay_alu instid0(VALU_DEP_1) | instskip(NEXT) | instid1(VALU_DEP_1)
	v_cmp_ne_u32_e64 s0, 0x7f800000, v7
	s_and_saveexec_b32 s13, s0
	s_delay_alu instid0(SALU_CYCLE_1)
	s_xor_b32 s0, exec_lo, s13
; %bb.4062:                             ;   in Loop: Header=BB448_2342 Depth=1
	v_bfe_u32 v7, v6, 16, 1
	s_delay_alu instid0(VALU_DEP_1)
	v_add3_u32 v184, v6, v7, 0x7fff
                                        ; implicit-def: $vgpr6
; %bb.4063:                             ;   in Loop: Header=BB448_2342 Depth=1
	s_and_not1_saveexec_b32 s13, s0
; %bb.4064:                             ;   in Loop: Header=BB448_2342 Depth=1
	v_and_b32_e32 v7, 0xffff, v6
	v_or_b32_e32 v8, 0x10000, v6
	s_delay_alu instid0(VALU_DEP_2) | instskip(NEXT) | instid1(VALU_DEP_1)
	v_cmp_eq_u32_e64 s0, 0, v7
	v_cndmask_b32_e64 v184, v8, v6, s0
; %bb.4065:                             ;   in Loop: Header=BB448_2342 Depth=1
	s_or_b32 exec_lo, exec_lo, s13
	flat_load_b64 v[6:7], v[2:3] offset:3328
	s_mov_b32 s13, exec_lo
	s_waitcnt vmcnt(0) lgkmcnt(0)
	v_dual_mov_b32 v8, 0 :: v_dual_and_b32 v9, 0xff, v6
	s_delay_alu instid0(VALU_DEP_1)
	v_cmpx_ne_u16_e32 0, v9
	s_cbranch_execz .LBB448_4073
; %bb.4066:                             ;   in Loop: Header=BB448_2342 Depth=1
	v_bfrev_b32_e32 v8, 1
	s_mov_b32 s15, exec_lo
	v_cmpx_ne_u16_e32 0x80, v9
	s_cbranch_execz .LBB448_4072
; %bb.4067:                             ;   in Loop: Header=BB448_2342 Depth=1
	v_and_b32_e32 v9, 0x7f, v6
	v_mov_b32_e32 v8, 0x7f800001
	s_mov_b32 s16, exec_lo
	s_delay_alu instid0(VALU_DEP_2)
	v_cmpx_ne_u32_e32 0x7f, v9
	s_cbranch_execz .LBB448_4071
; %bb.4068:                             ;   in Loop: Header=BB448_2342 Depth=1
	v_lshrrev_b32_e32 v10, 3, v9
	v_cmp_gt_u32_e64 s0, 8, v9
	v_dual_mov_b32 v9, v7 :: v_dual_mov_b32 v8, v6
	s_delay_alu instid0(VALU_DEP_2)
	s_and_saveexec_b32 s17, s0
; %bb.4069:                             ;   in Loop: Header=BB448_2342 Depth=1
	v_and_b32_e32 v8, 7, v6
	s_delay_alu instid0(VALU_DEP_1) | instskip(NEXT) | instid1(VALU_DEP_1)
	v_clz_i32_u32_e32 v8, v8
	v_min_u32_e32 v10, 32, v8
	s_delay_alu instid0(VALU_DEP_1) | instskip(SKIP_1) | instid1(VALU_DEP_2)
	v_subrev_nc_u32_e32 v8, 28, v10
	v_sub_nc_u32_e32 v10, 29, v10
	v_lshlrev_b64 v[8:9], v8, v[6:7]
; %bb.4070:                             ;   in Loop: Header=BB448_2342 Depth=1
	s_or_b32 exec_lo, exec_lo, s17
	s_delay_alu instid0(VALU_DEP_1) | instskip(SKIP_2) | instid1(VALU_DEP_3)
	v_lshlrev_b32_e32 v8, 20, v8
	v_lshlrev_b32_e32 v9, 24, v6
	v_lshl_add_u32 v10, v10, 23, 0x3c000000
	v_and_b32_e32 v8, 0x700000, v8
	s_delay_alu instid0(VALU_DEP_3) | instskip(NEXT) | instid1(VALU_DEP_1)
	v_and_b32_e32 v9, 0x80000000, v9
	v_or3_b32 v8, v8, v9, v10
.LBB448_4071:                           ;   in Loop: Header=BB448_2342 Depth=1
	s_or_b32 exec_lo, exec_lo, s16
.LBB448_4072:                           ;   in Loop: Header=BB448_2342 Depth=1
	s_delay_alu instid0(SALU_CYCLE_1)
	s_or_b32 exec_lo, exec_lo, s15
.LBB448_4073:                           ;   in Loop: Header=BB448_2342 Depth=1
	s_delay_alu instid0(SALU_CYCLE_1) | instskip(NEXT) | instid1(VALU_DEP_1)
	s_or_b32 exec_lo, exec_lo, s13
	v_mul_f32_e32 v8, v118, v8
                                        ; implicit-def: $vgpr10
	s_delay_alu instid0(VALU_DEP_1) | instskip(NEXT) | instid1(VALU_DEP_1)
	v_and_b32_e32 v9, 0x7f800000, v8
	v_cmp_ne_u32_e64 s0, 0x7f800000, v9
	s_delay_alu instid0(VALU_DEP_1) | instskip(NEXT) | instid1(SALU_CYCLE_1)
	s_and_saveexec_b32 s13, s0
	s_xor_b32 s0, exec_lo, s13
; %bb.4074:                             ;   in Loop: Header=BB448_2342 Depth=1
	v_bfe_u32 v9, v8, 16, 1
	s_delay_alu instid0(VALU_DEP_1)
	v_add3_u32 v10, v8, v9, 0x7fff
                                        ; implicit-def: $vgpr8
; %bb.4075:                             ;   in Loop: Header=BB448_2342 Depth=1
	s_and_not1_saveexec_b32 s13, s0
; %bb.4076:                             ;   in Loop: Header=BB448_2342 Depth=1
	v_and_b32_e32 v9, 0xffff, v8
	v_or_b32_e32 v10, 0x10000, v8
	s_delay_alu instid0(VALU_DEP_2) | instskip(NEXT) | instid1(VALU_DEP_1)
	v_cmp_eq_u32_e64 s0, 0, v9
	v_cndmask_b32_e64 v10, v10, v8, s0
; %bb.4077:                             ;   in Loop: Header=BB448_2342 Depth=1
	s_or_b32 exec_lo, exec_lo, s13
	v_lshrrev_b16 v9, 8, v6
	v_mov_b32_e32 v8, 0
	s_mov_b32 s13, exec_lo
	s_delay_alu instid0(VALU_DEP_2)
	v_cmpx_ne_u16_e32 0, v9
	s_cbranch_execz .LBB448_4085
; %bb.4078:                             ;   in Loop: Header=BB448_2342 Depth=1
	v_bfrev_b32_e32 v8, 1
	s_mov_b32 s15, exec_lo
	v_cmpx_ne_u16_e32 0x80, v9
	s_cbranch_execz .LBB448_4084
; %bb.4079:                             ;   in Loop: Header=BB448_2342 Depth=1
	v_and_b32_e32 v11, 0xffff, v9
	v_mov_b32_e32 v8, 0x7f800001
	s_mov_b32 s16, exec_lo
	s_delay_alu instid0(VALU_DEP_2) | instskip(NEXT) | instid1(VALU_DEP_1)
	v_and_b32_e32 v9, 0x7f, v11
	v_cmpx_ne_u32_e32 0x7f, v9
	s_cbranch_execz .LBB448_4083
; %bb.4080:                             ;   in Loop: Header=BB448_2342 Depth=1
	v_and_b32_e32 v12, 7, v11
	v_lshrrev_b32_e32 v11, 3, v9
	v_cmp_gt_u32_e64 s0, 8, v9
	s_delay_alu instid0(VALU_DEP_3) | instskip(NEXT) | instid1(VALU_DEP_2)
	v_dual_mov_b32 v8, v12 :: v_dual_mov_b32 v9, v13
	s_and_saveexec_b32 s17, s0
; %bb.4081:                             ;   in Loop: Header=BB448_2342 Depth=1
	v_clz_i32_u32_e32 v8, v12
	s_delay_alu instid0(VALU_DEP_1) | instskip(NEXT) | instid1(VALU_DEP_1)
	v_min_u32_e32 v11, 32, v8
	v_subrev_nc_u32_e32 v8, 28, v11
	v_sub_nc_u32_e32 v11, 29, v11
	s_delay_alu instid0(VALU_DEP_2) | instskip(NEXT) | instid1(VALU_DEP_1)
	v_lshlrev_b64 v[8:9], v8, v[12:13]
	v_and_b32_e32 v8, 7, v8
; %bb.4082:                             ;   in Loop: Header=BB448_2342 Depth=1
	s_or_b32 exec_lo, exec_lo, s17
	v_lshlrev_b32_e32 v9, 16, v6
	s_delay_alu instid0(VALU_DEP_2) | instskip(SKIP_1) | instid1(VALU_DEP_3)
	v_lshlrev_b32_e32 v8, 20, v8
	v_lshl_add_u32 v11, v11, 23, 0x3c000000
	v_and_b32_e32 v9, 0x80000000, v9
	s_delay_alu instid0(VALU_DEP_1)
	v_or3_b32 v8, v8, v9, v11
.LBB448_4083:                           ;   in Loop: Header=BB448_2342 Depth=1
	s_or_b32 exec_lo, exec_lo, s16
.LBB448_4084:                           ;   in Loop: Header=BB448_2342 Depth=1
	s_delay_alu instid0(SALU_CYCLE_1)
	s_or_b32 exec_lo, exec_lo, s15
.LBB448_4085:                           ;   in Loop: Header=BB448_2342 Depth=1
	s_delay_alu instid0(SALU_CYCLE_1) | instskip(NEXT) | instid1(VALU_DEP_1)
	s_or_b32 exec_lo, exec_lo, s13
	v_mul_f32_e32 v8, v118, v8
                                        ; implicit-def: $vgpr11
	s_delay_alu instid0(VALU_DEP_1) | instskip(NEXT) | instid1(VALU_DEP_1)
	v_and_b32_e32 v9, 0x7f800000, v8
	v_cmp_ne_u32_e64 s0, 0x7f800000, v9
	s_delay_alu instid0(VALU_DEP_1) | instskip(NEXT) | instid1(SALU_CYCLE_1)
	s_and_saveexec_b32 s13, s0
	s_xor_b32 s0, exec_lo, s13
; %bb.4086:                             ;   in Loop: Header=BB448_2342 Depth=1
	v_bfe_u32 v9, v8, 16, 1
	s_delay_alu instid0(VALU_DEP_1)
	v_add3_u32 v11, v8, v9, 0x7fff
                                        ; implicit-def: $vgpr8
; %bb.4087:                             ;   in Loop: Header=BB448_2342 Depth=1
	s_and_not1_saveexec_b32 s13, s0
; %bb.4088:                             ;   in Loop: Header=BB448_2342 Depth=1
	v_and_b32_e32 v9, 0xffff, v8
	v_or_b32_e32 v11, 0x10000, v8
	s_delay_alu instid0(VALU_DEP_2) | instskip(NEXT) | instid1(VALU_DEP_1)
	v_cmp_eq_u32_e64 s0, 0, v9
	v_cndmask_b32_e64 v11, v11, v8, s0
; %bb.4089:                             ;   in Loop: Header=BB448_2342 Depth=1
	s_or_b32 exec_lo, exec_lo, s13
	v_lshrrev_b32_e32 v14, 16, v6
	s_mov_b32 s13, exec_lo
	s_delay_alu instid0(VALU_DEP_1) | instskip(NEXT) | instid1(VALU_DEP_1)
	v_dual_mov_b32 v8, 0 :: v_dual_and_b32 v9, 0xff, v14
	v_cmpx_ne_u16_e32 0, v9
	s_cbranch_execz .LBB448_4097
; %bb.4090:                             ;   in Loop: Header=BB448_2342 Depth=1
	v_bfrev_b32_e32 v8, 1
	s_mov_b32 s15, exec_lo
	v_cmpx_ne_u16_e32 0x80, v9
	s_cbranch_execz .LBB448_4096
; %bb.4091:                             ;   in Loop: Header=BB448_2342 Depth=1
	v_bfe_u32 v9, v6, 16, 7
	v_mov_b32_e32 v8, 0x7f800001
	s_mov_b32 s16, exec_lo
	s_delay_alu instid0(VALU_DEP_2)
	v_cmpx_ne_u32_e32 0x7f, v9
	s_cbranch_execz .LBB448_4095
; %bb.4092:                             ;   in Loop: Header=BB448_2342 Depth=1
	v_and_b32_e32 v12, 7, v14
	v_lshrrev_b32_e32 v15, 3, v9
	v_cmp_gt_u32_e64 s0, 8, v9
	s_delay_alu instid0(VALU_DEP_3) | instskip(NEXT) | instid1(VALU_DEP_2)
	v_dual_mov_b32 v8, v12 :: v_dual_mov_b32 v9, v13
	s_and_saveexec_b32 s17, s0
; %bb.4093:                             ;   in Loop: Header=BB448_2342 Depth=1
	v_clz_i32_u32_e32 v8, v12
	s_delay_alu instid0(VALU_DEP_1) | instskip(NEXT) | instid1(VALU_DEP_1)
	v_min_u32_e32 v15, 32, v8
	v_subrev_nc_u32_e32 v8, 28, v15
	v_sub_nc_u32_e32 v15, 29, v15
	s_delay_alu instid0(VALU_DEP_2) | instskip(NEXT) | instid1(VALU_DEP_1)
	v_lshlrev_b64 v[8:9], v8, v[12:13]
	v_and_b32_e32 v8, 7, v8
; %bb.4094:                             ;   in Loop: Header=BB448_2342 Depth=1
	s_or_b32 exec_lo, exec_lo, s17
	v_lshlrev_b32_e32 v9, 24, v14
	s_delay_alu instid0(VALU_DEP_2) | instskip(SKIP_1) | instid1(VALU_DEP_3)
	v_lshlrev_b32_e32 v8, 20, v8
	v_lshl_add_u32 v12, v15, 23, 0x3c000000
	v_and_b32_e32 v9, 0x80000000, v9
	s_delay_alu instid0(VALU_DEP_1)
	v_or3_b32 v8, v8, v9, v12
.LBB448_4095:                           ;   in Loop: Header=BB448_2342 Depth=1
	s_or_b32 exec_lo, exec_lo, s16
.LBB448_4096:                           ;   in Loop: Header=BB448_2342 Depth=1
	s_delay_alu instid0(SALU_CYCLE_1)
	s_or_b32 exec_lo, exec_lo, s15
.LBB448_4097:                           ;   in Loop: Header=BB448_2342 Depth=1
	s_delay_alu instid0(SALU_CYCLE_1) | instskip(NEXT) | instid1(VALU_DEP_1)
	s_or_b32 exec_lo, exec_lo, s13
	v_mul_f32_e32 v8, v118, v8
                                        ; implicit-def: $vgpr14
	s_delay_alu instid0(VALU_DEP_1) | instskip(NEXT) | instid1(VALU_DEP_1)
	v_and_b32_e32 v9, 0x7f800000, v8
	v_cmp_ne_u32_e64 s0, 0x7f800000, v9
	s_delay_alu instid0(VALU_DEP_1) | instskip(NEXT) | instid1(SALU_CYCLE_1)
	s_and_saveexec_b32 s13, s0
	s_xor_b32 s0, exec_lo, s13
; %bb.4098:                             ;   in Loop: Header=BB448_2342 Depth=1
	v_bfe_u32 v9, v8, 16, 1
	s_delay_alu instid0(VALU_DEP_1)
	v_add3_u32 v14, v8, v9, 0x7fff
                                        ; implicit-def: $vgpr8
; %bb.4099:                             ;   in Loop: Header=BB448_2342 Depth=1
	s_and_not1_saveexec_b32 s13, s0
; %bb.4100:                             ;   in Loop: Header=BB448_2342 Depth=1
	v_and_b32_e32 v9, 0xffff, v8
	v_or_b32_e32 v12, 0x10000, v8
	s_delay_alu instid0(VALU_DEP_2) | instskip(NEXT) | instid1(VALU_DEP_1)
	v_cmp_eq_u32_e64 s0, 0, v9
	v_cndmask_b32_e64 v14, v12, v8, s0
; %bb.4101:                             ;   in Loop: Header=BB448_2342 Depth=1
	s_or_b32 exec_lo, exec_lo, s13
	v_mov_b32_e32 v8, 0
	s_mov_b32 s13, exec_lo
	v_cmpx_lt_u32_e32 0xffffff, v6
	s_cbranch_execz .LBB448_4109
; %bb.4102:                             ;   in Loop: Header=BB448_2342 Depth=1
	v_lshrrev_b32_e32 v15, 24, v6
	v_bfrev_b32_e32 v8, 1
	s_mov_b32 s15, exec_lo
	s_delay_alu instid0(VALU_DEP_2)
	v_cmpx_ne_u32_e32 0x80, v15
	s_cbranch_execz .LBB448_4108
; %bb.4103:                             ;   in Loop: Header=BB448_2342 Depth=1
	v_bfe_u32 v9, v6, 24, 7
	v_mov_b32_e32 v8, 0x7f800001
	s_mov_b32 s16, exec_lo
	s_delay_alu instid0(VALU_DEP_2)
	v_cmpx_ne_u32_e32 0x7f, v9
	s_cbranch_execz .LBB448_4107
; %bb.4104:                             ;   in Loop: Header=BB448_2342 Depth=1
	v_and_b32_e32 v12, 7, v15
	v_lshrrev_b32_e32 v16, 3, v9
	v_cmp_gt_u32_e64 s0, 8, v9
	s_delay_alu instid0(VALU_DEP_3) | instskip(NEXT) | instid1(VALU_DEP_2)
	v_dual_mov_b32 v8, v12 :: v_dual_mov_b32 v9, v13
	s_and_saveexec_b32 s17, s0
; %bb.4105:                             ;   in Loop: Header=BB448_2342 Depth=1
	v_clz_i32_u32_e32 v8, v12
	s_delay_alu instid0(VALU_DEP_1) | instskip(NEXT) | instid1(VALU_DEP_1)
	v_min_u32_e32 v16, 32, v8
	v_subrev_nc_u32_e32 v8, 28, v16
	v_sub_nc_u32_e32 v16, 29, v16
	s_delay_alu instid0(VALU_DEP_2) | instskip(NEXT) | instid1(VALU_DEP_1)
	v_lshlrev_b64 v[8:9], v8, v[12:13]
	v_and_b32_e32 v8, 7, v8
; %bb.4106:                             ;   in Loop: Header=BB448_2342 Depth=1
	s_or_b32 exec_lo, exec_lo, s17
	v_lshlrev_b32_e32 v9, 24, v15
	s_delay_alu instid0(VALU_DEP_2) | instskip(SKIP_1) | instid1(VALU_DEP_3)
	v_lshlrev_b32_e32 v8, 20, v8
	v_lshl_add_u32 v12, v16, 23, 0x3c000000
	v_and_b32_e32 v9, 0x80000000, v9
	s_delay_alu instid0(VALU_DEP_1)
	v_or3_b32 v8, v8, v9, v12
.LBB448_4107:                           ;   in Loop: Header=BB448_2342 Depth=1
	s_or_b32 exec_lo, exec_lo, s16
.LBB448_4108:                           ;   in Loop: Header=BB448_2342 Depth=1
	s_delay_alu instid0(SALU_CYCLE_1)
	s_or_b32 exec_lo, exec_lo, s15
.LBB448_4109:                           ;   in Loop: Header=BB448_2342 Depth=1
	s_delay_alu instid0(SALU_CYCLE_1) | instskip(NEXT) | instid1(VALU_DEP_1)
	s_or_b32 exec_lo, exec_lo, s13
	v_mul_f32_e32 v8, v118, v8
                                        ; implicit-def: $vgpr15
	s_delay_alu instid0(VALU_DEP_1) | instskip(NEXT) | instid1(VALU_DEP_1)
	v_and_b32_e32 v9, 0x7f800000, v8
	v_cmp_ne_u32_e64 s0, 0x7f800000, v9
	s_delay_alu instid0(VALU_DEP_1) | instskip(NEXT) | instid1(SALU_CYCLE_1)
	s_and_saveexec_b32 s13, s0
	s_xor_b32 s0, exec_lo, s13
; %bb.4110:                             ;   in Loop: Header=BB448_2342 Depth=1
	v_bfe_u32 v9, v8, 16, 1
	s_delay_alu instid0(VALU_DEP_1)
	v_add3_u32 v15, v8, v9, 0x7fff
                                        ; implicit-def: $vgpr8
; %bb.4111:                             ;   in Loop: Header=BB448_2342 Depth=1
	s_and_not1_saveexec_b32 s13, s0
; %bb.4112:                             ;   in Loop: Header=BB448_2342 Depth=1
	v_and_b32_e32 v9, 0xffff, v8
	v_or_b32_e32 v12, 0x10000, v8
	s_delay_alu instid0(VALU_DEP_2) | instskip(NEXT) | instid1(VALU_DEP_1)
	v_cmp_eq_u32_e64 s0, 0, v9
	v_cndmask_b32_e64 v15, v12, v8, s0
; %bb.4113:                             ;   in Loop: Header=BB448_2342 Depth=1
	s_or_b32 exec_lo, exec_lo, s13
	v_dual_mov_b32 v12, v7 :: v_dual_and_b32 v9, 0xff, v7
	v_mov_b32_e32 v8, 0
	s_mov_b32 s13, exec_lo
	s_delay_alu instid0(VALU_DEP_2)
	v_cmpx_ne_u16_e32 0, v9
	s_cbranch_execz .LBB448_4121
; %bb.4114:                             ;   in Loop: Header=BB448_2342 Depth=1
	v_bfrev_b32_e32 v8, 1
	s_mov_b32 s15, exec_lo
	v_cmpx_ne_u16_e32 0x80, v9
	s_cbranch_execz .LBB448_4120
; %bb.4115:                             ;   in Loop: Header=BB448_2342 Depth=1
	v_and_b32_e32 v9, 0x7f, v7
	v_mov_b32_e32 v8, 0x7f800001
	s_mov_b32 s16, exec_lo
	s_delay_alu instid0(VALU_DEP_2)
	v_cmpx_ne_u32_e32 0x7f, v9
	s_cbranch_execz .LBB448_4119
; %bb.4116:                             ;   in Loop: Header=BB448_2342 Depth=1
	v_lshrrev_b32_e32 v16, 3, v9
	v_cmp_gt_u32_e64 s0, 8, v9
	v_dual_mov_b32 v8, v12 :: v_dual_mov_b32 v9, v13
	s_delay_alu instid0(VALU_DEP_2)
	s_and_saveexec_b32 s17, s0
; %bb.4117:                             ;   in Loop: Header=BB448_2342 Depth=1
	v_and_b32_e32 v8, 7, v7
	s_delay_alu instid0(VALU_DEP_1) | instskip(NEXT) | instid1(VALU_DEP_1)
	v_clz_i32_u32_e32 v8, v8
	v_min_u32_e32 v16, 32, v8
	s_delay_alu instid0(VALU_DEP_1) | instskip(SKIP_1) | instid1(VALU_DEP_2)
	v_subrev_nc_u32_e32 v8, 28, v16
	v_sub_nc_u32_e32 v16, 29, v16
	v_lshlrev_b64 v[8:9], v8, v[12:13]
; %bb.4118:                             ;   in Loop: Header=BB448_2342 Depth=1
	s_or_b32 exec_lo, exec_lo, s17
	s_delay_alu instid0(VALU_DEP_1) | instskip(SKIP_2) | instid1(VALU_DEP_3)
	v_lshlrev_b32_e32 v8, 20, v8
	v_lshlrev_b32_e32 v9, 24, v12
	v_lshl_add_u32 v16, v16, 23, 0x3c000000
	v_and_b32_e32 v8, 0x700000, v8
	s_delay_alu instid0(VALU_DEP_3) | instskip(NEXT) | instid1(VALU_DEP_1)
	v_and_b32_e32 v9, 0x80000000, v9
	v_or3_b32 v8, v8, v9, v16
.LBB448_4119:                           ;   in Loop: Header=BB448_2342 Depth=1
	s_or_b32 exec_lo, exec_lo, s16
.LBB448_4120:                           ;   in Loop: Header=BB448_2342 Depth=1
	s_delay_alu instid0(SALU_CYCLE_1)
	s_or_b32 exec_lo, exec_lo, s15
.LBB448_4121:                           ;   in Loop: Header=BB448_2342 Depth=1
	s_delay_alu instid0(SALU_CYCLE_1) | instskip(NEXT) | instid1(VALU_DEP_1)
	s_or_b32 exec_lo, exec_lo, s13
	v_mul_f32_e32 v8, v118, v8
                                        ; implicit-def: $vgpr16
	s_delay_alu instid0(VALU_DEP_1) | instskip(NEXT) | instid1(VALU_DEP_1)
	v_and_b32_e32 v9, 0x7f800000, v8
	v_cmp_ne_u32_e64 s0, 0x7f800000, v9
	s_delay_alu instid0(VALU_DEP_1) | instskip(NEXT) | instid1(SALU_CYCLE_1)
	s_and_saveexec_b32 s13, s0
	s_xor_b32 s0, exec_lo, s13
; %bb.4122:                             ;   in Loop: Header=BB448_2342 Depth=1
	v_bfe_u32 v9, v8, 16, 1
	s_delay_alu instid0(VALU_DEP_1)
	v_add3_u32 v16, v8, v9, 0x7fff
                                        ; implicit-def: $vgpr8
; %bb.4123:                             ;   in Loop: Header=BB448_2342 Depth=1
	s_and_not1_saveexec_b32 s13, s0
; %bb.4124:                             ;   in Loop: Header=BB448_2342 Depth=1
	v_and_b32_e32 v9, 0xffff, v8
	v_or_b32_e32 v16, 0x10000, v8
	s_delay_alu instid0(VALU_DEP_2) | instskip(NEXT) | instid1(VALU_DEP_1)
	v_cmp_eq_u32_e64 s0, 0, v9
	v_cndmask_b32_e64 v16, v16, v8, s0
; %bb.4125:                             ;   in Loop: Header=BB448_2342 Depth=1
	s_or_b32 exec_lo, exec_lo, s13
	v_lshrrev_b16 v9, 8, v12
	v_mov_b32_e32 v8, 0
	s_mov_b32 s13, exec_lo
	s_delay_alu instid0(VALU_DEP_2)
	v_cmpx_ne_u16_e32 0, v9
	s_cbranch_execz .LBB448_4133
; %bb.4126:                             ;   in Loop: Header=BB448_2342 Depth=1
	v_bfrev_b32_e32 v8, 1
	s_mov_b32 s15, exec_lo
	v_cmpx_ne_u16_e32 0x80, v9
	s_cbranch_execz .LBB448_4132
; %bb.4127:                             ;   in Loop: Header=BB448_2342 Depth=1
	v_and_b32_e32 v9, 0xffff, v9
	v_mov_b32_e32 v8, 0x7f800001
	s_mov_b32 s16, exec_lo
	s_delay_alu instid0(VALU_DEP_2) | instskip(NEXT) | instid1(VALU_DEP_1)
	v_and_b32_e32 v19, 0x7f, v9
	v_cmpx_ne_u32_e32 0x7f, v19
	s_cbranch_execz .LBB448_4131
; %bb.4128:                             ;   in Loop: Header=BB448_2342 Depth=1
	v_dual_mov_b32 v9, v13 :: v_dual_and_b32 v8, 7, v9
	v_lshrrev_b32_e32 v18, 3, v19
	s_mov_b32 s17, exec_lo
	v_cmpx_gt_u32_e32 8, v19
; %bb.4129:                             ;   in Loop: Header=BB448_2342 Depth=1
	s_delay_alu instid0(VALU_DEP_3) | instskip(NEXT) | instid1(VALU_DEP_1)
	v_clz_i32_u32_e32 v18, v8
	v_min_u32_e32 v18, 32, v18
	s_delay_alu instid0(VALU_DEP_1) | instskip(SKIP_1) | instid1(VALU_DEP_2)
	v_subrev_nc_u32_e32 v19, 28, v18
	v_sub_nc_u32_e32 v18, 29, v18
	v_lshlrev_b64 v[8:9], v19, v[8:9]
	s_delay_alu instid0(VALU_DEP_1)
	v_and_b32_e32 v8, 7, v8
; %bb.4130:                             ;   in Loop: Header=BB448_2342 Depth=1
	s_or_b32 exec_lo, exec_lo, s17
	v_lshlrev_b32_e32 v9, 16, v12
	s_delay_alu instid0(VALU_DEP_2) | instskip(SKIP_1) | instid1(VALU_DEP_3)
	v_lshlrev_b32_e32 v8, 20, v8
	v_lshl_add_u32 v12, v18, 23, 0x3c000000
	v_and_b32_e32 v9, 0x80000000, v9
	s_delay_alu instid0(VALU_DEP_1)
	v_or3_b32 v8, v8, v9, v12
.LBB448_4131:                           ;   in Loop: Header=BB448_2342 Depth=1
	s_or_b32 exec_lo, exec_lo, s16
.LBB448_4132:                           ;   in Loop: Header=BB448_2342 Depth=1
	s_delay_alu instid0(SALU_CYCLE_1)
	s_or_b32 exec_lo, exec_lo, s15
.LBB448_4133:                           ;   in Loop: Header=BB448_2342 Depth=1
	s_delay_alu instid0(SALU_CYCLE_1) | instskip(NEXT) | instid1(VALU_DEP_1)
	s_or_b32 exec_lo, exec_lo, s13
	v_mul_f32_e32 v8, v118, v8
                                        ; implicit-def: $vgpr18
	s_delay_alu instid0(VALU_DEP_1) | instskip(NEXT) | instid1(VALU_DEP_1)
	v_and_b32_e32 v9, 0x7f800000, v8
	v_cmp_ne_u32_e64 s0, 0x7f800000, v9
	s_delay_alu instid0(VALU_DEP_1) | instskip(NEXT) | instid1(SALU_CYCLE_1)
	s_and_saveexec_b32 s13, s0
	s_xor_b32 s0, exec_lo, s13
; %bb.4134:                             ;   in Loop: Header=BB448_2342 Depth=1
	v_bfe_u32 v9, v8, 16, 1
	s_delay_alu instid0(VALU_DEP_1)
	v_add3_u32 v18, v8, v9, 0x7fff
                                        ; implicit-def: $vgpr8
; %bb.4135:                             ;   in Loop: Header=BB448_2342 Depth=1
	s_and_not1_saveexec_b32 s13, s0
; %bb.4136:                             ;   in Loop: Header=BB448_2342 Depth=1
	v_and_b32_e32 v9, 0xffff, v8
	v_or_b32_e32 v12, 0x10000, v8
	s_delay_alu instid0(VALU_DEP_2) | instskip(NEXT) | instid1(VALU_DEP_1)
	v_cmp_eq_u32_e64 s0, 0, v9
	v_cndmask_b32_e64 v18, v12, v8, s0
; %bb.4137:                             ;   in Loop: Header=BB448_2342 Depth=1
	s_or_b32 exec_lo, exec_lo, s13
	v_lshrrev_b32_e32 v19, 16, v7
	s_mov_b32 s13, exec_lo
	s_delay_alu instid0(VALU_DEP_1) | instskip(NEXT) | instid1(VALU_DEP_1)
	v_dual_mov_b32 v8, 0 :: v_dual_and_b32 v9, 0xff, v19
	v_cmpx_ne_u16_e32 0, v9
	s_cbranch_execz .LBB448_4145
; %bb.4138:                             ;   in Loop: Header=BB448_2342 Depth=1
	v_bfrev_b32_e32 v8, 1
	s_mov_b32 s15, exec_lo
	v_cmpx_ne_u16_e32 0x80, v9
	s_cbranch_execz .LBB448_4144
; %bb.4139:                             ;   in Loop: Header=BB448_2342 Depth=1
	v_bfe_u32 v9, v7, 16, 7
	v_mov_b32_e32 v8, 0x7f800001
	s_mov_b32 s16, exec_lo
	s_delay_alu instid0(VALU_DEP_2)
	v_cmpx_ne_u32_e32 0x7f, v9
	s_cbranch_execz .LBB448_4143
; %bb.4140:                             ;   in Loop: Header=BB448_2342 Depth=1
	v_and_b32_e32 v12, 7, v19
	v_lshrrev_b32_e32 v20, 3, v9
	v_cmp_gt_u32_e64 s0, 8, v9
	s_delay_alu instid0(VALU_DEP_3) | instskip(NEXT) | instid1(VALU_DEP_2)
	v_dual_mov_b32 v8, v12 :: v_dual_mov_b32 v9, v13
	s_and_saveexec_b32 s17, s0
; %bb.4141:                             ;   in Loop: Header=BB448_2342 Depth=1
	v_clz_i32_u32_e32 v8, v12
	s_delay_alu instid0(VALU_DEP_1) | instskip(NEXT) | instid1(VALU_DEP_1)
	v_min_u32_e32 v20, 32, v8
	v_subrev_nc_u32_e32 v8, 28, v20
	v_sub_nc_u32_e32 v20, 29, v20
	s_delay_alu instid0(VALU_DEP_2) | instskip(NEXT) | instid1(VALU_DEP_1)
	v_lshlrev_b64 v[8:9], v8, v[12:13]
	v_and_b32_e32 v8, 7, v8
; %bb.4142:                             ;   in Loop: Header=BB448_2342 Depth=1
	s_or_b32 exec_lo, exec_lo, s17
	v_lshlrev_b32_e32 v9, 24, v19
	s_delay_alu instid0(VALU_DEP_2) | instskip(SKIP_1) | instid1(VALU_DEP_3)
	v_lshlrev_b32_e32 v8, 20, v8
	v_lshl_add_u32 v12, v20, 23, 0x3c000000
	v_and_b32_e32 v9, 0x80000000, v9
	s_delay_alu instid0(VALU_DEP_1)
	v_or3_b32 v8, v8, v9, v12
.LBB448_4143:                           ;   in Loop: Header=BB448_2342 Depth=1
	s_or_b32 exec_lo, exec_lo, s16
.LBB448_4144:                           ;   in Loop: Header=BB448_2342 Depth=1
	s_delay_alu instid0(SALU_CYCLE_1)
	s_or_b32 exec_lo, exec_lo, s15
.LBB448_4145:                           ;   in Loop: Header=BB448_2342 Depth=1
	s_delay_alu instid0(SALU_CYCLE_1) | instskip(NEXT) | instid1(VALU_DEP_1)
	s_or_b32 exec_lo, exec_lo, s13
	v_mul_f32_e32 v8, v118, v8
                                        ; implicit-def: $vgpr19
	s_delay_alu instid0(VALU_DEP_1) | instskip(NEXT) | instid1(VALU_DEP_1)
	v_and_b32_e32 v9, 0x7f800000, v8
	v_cmp_ne_u32_e64 s0, 0x7f800000, v9
	s_delay_alu instid0(VALU_DEP_1) | instskip(NEXT) | instid1(SALU_CYCLE_1)
	s_and_saveexec_b32 s13, s0
	s_xor_b32 s0, exec_lo, s13
; %bb.4146:                             ;   in Loop: Header=BB448_2342 Depth=1
	v_bfe_u32 v9, v8, 16, 1
	s_delay_alu instid0(VALU_DEP_1)
	v_add3_u32 v19, v8, v9, 0x7fff
                                        ; implicit-def: $vgpr8
; %bb.4147:                             ;   in Loop: Header=BB448_2342 Depth=1
	s_and_not1_saveexec_b32 s13, s0
; %bb.4148:                             ;   in Loop: Header=BB448_2342 Depth=1
	v_and_b32_e32 v9, 0xffff, v8
	v_or_b32_e32 v12, 0x10000, v8
	s_delay_alu instid0(VALU_DEP_2) | instskip(NEXT) | instid1(VALU_DEP_1)
	v_cmp_eq_u32_e64 s0, 0, v9
	v_cndmask_b32_e64 v19, v12, v8, s0
; %bb.4149:                             ;   in Loop: Header=BB448_2342 Depth=1
	s_or_b32 exec_lo, exec_lo, s13
	v_cmp_lt_u64_e64 s0, s[8:9], v[6:7]
	v_mov_b32_e32 v6, 0
	s_delay_alu instid0(VALU_DEP_2)
	s_and_saveexec_b32 s13, s0
	s_cbranch_execz .LBB448_4157
; %bb.4150:                             ;   in Loop: Header=BB448_2342 Depth=1
	v_lshrrev_b32_e32 v8, 24, v7
	v_bfrev_b32_e32 v6, 1
	s_mov_b32 s15, exec_lo
	s_delay_alu instid0(VALU_DEP_2)
	v_cmpx_ne_u32_e32 0x80, v8
	s_cbranch_execz .LBB448_4156
; %bb.4151:                             ;   in Loop: Header=BB448_2342 Depth=1
	v_bfe_u32 v7, v7, 24, 7
	v_mov_b32_e32 v6, 0x7f800001
	s_mov_b32 s16, exec_lo
	s_delay_alu instid0(VALU_DEP_2)
	v_cmpx_ne_u32_e32 0x7f, v7
	s_cbranch_execz .LBB448_4155
; %bb.4152:                             ;   in Loop: Header=BB448_2342 Depth=1
	v_and_b32_e32 v12, 7, v8
	v_lshrrev_b32_e32 v9, 3, v7
	v_cmp_gt_u32_e64 s0, 8, v7
	s_delay_alu instid0(VALU_DEP_3) | instskip(NEXT) | instid1(VALU_DEP_2)
	v_dual_mov_b32 v6, v12 :: v_dual_mov_b32 v7, v13
	s_and_saveexec_b32 s17, s0
; %bb.4153:                             ;   in Loop: Header=BB448_2342 Depth=1
	v_clz_i32_u32_e32 v6, v12
	s_delay_alu instid0(VALU_DEP_1) | instskip(NEXT) | instid1(VALU_DEP_1)
	v_min_u32_e32 v9, 32, v6
	v_subrev_nc_u32_e32 v6, 28, v9
	v_sub_nc_u32_e32 v9, 29, v9
	s_delay_alu instid0(VALU_DEP_2) | instskip(NEXT) | instid1(VALU_DEP_1)
	v_lshlrev_b64 v[6:7], v6, v[12:13]
	v_and_b32_e32 v6, 7, v6
; %bb.4154:                             ;   in Loop: Header=BB448_2342 Depth=1
	s_or_b32 exec_lo, exec_lo, s17
	v_lshlrev_b32_e32 v7, 24, v8
	s_delay_alu instid0(VALU_DEP_2) | instskip(SKIP_1) | instid1(VALU_DEP_3)
	v_lshlrev_b32_e32 v6, 20, v6
	v_lshl_add_u32 v8, v9, 23, 0x3c000000
	v_and_b32_e32 v7, 0x80000000, v7
	s_delay_alu instid0(VALU_DEP_1)
	v_or3_b32 v6, v6, v7, v8
.LBB448_4155:                           ;   in Loop: Header=BB448_2342 Depth=1
	s_or_b32 exec_lo, exec_lo, s16
.LBB448_4156:                           ;   in Loop: Header=BB448_2342 Depth=1
	s_delay_alu instid0(SALU_CYCLE_1)
	s_or_b32 exec_lo, exec_lo, s15
.LBB448_4157:                           ;   in Loop: Header=BB448_2342 Depth=1
	s_delay_alu instid0(SALU_CYCLE_1) | instskip(NEXT) | instid1(VALU_DEP_1)
	s_or_b32 exec_lo, exec_lo, s13
	v_mul_f32_e32 v7, v118, v6
	s_delay_alu instid0(VALU_DEP_1) | instskip(NEXT) | instid1(VALU_DEP_1)
	v_and_b32_e32 v6, 0x7f800000, v7
	v_cmp_ne_u32_e64 s0, 0x7f800000, v6
                                        ; implicit-def: $vgpr6
	s_delay_alu instid0(VALU_DEP_1) | instskip(NEXT) | instid1(SALU_CYCLE_1)
	s_and_saveexec_b32 s13, s0
	s_xor_b32 s0, exec_lo, s13
; %bb.4158:                             ;   in Loop: Header=BB448_2342 Depth=1
	v_bfe_u32 v6, v7, 16, 1
	s_delay_alu instid0(VALU_DEP_1)
	v_add3_u32 v6, v7, v6, 0x7fff
                                        ; implicit-def: $vgpr7
; %bb.4159:                             ;   in Loop: Header=BB448_2342 Depth=1
	s_and_not1_saveexec_b32 s13, s0
; %bb.4160:                             ;   in Loop: Header=BB448_2342 Depth=1
	v_and_b32_e32 v6, 0xffff, v7
	v_or_b32_e32 v8, 0x10000, v7
	s_delay_alu instid0(VALU_DEP_2) | instskip(NEXT) | instid1(VALU_DEP_1)
	v_cmp_eq_u32_e64 s0, 0, v6
	v_cndmask_b32_e64 v6, v8, v7, s0
; %bb.4161:                             ;   in Loop: Header=BB448_2342 Depth=1
	s_or_b32 exec_lo, exec_lo, s13
	v_lshrrev_b32_e32 v8, 16, v18
	v_lshrrev_b32_e32 v9, 16, v16
	v_lshrrev_b32_e32 v12, 16, v15
	v_lshrrev_b32_e32 v14, 16, v14
	v_lshrrev_b32_e32 v11, 16, v11
	v_lshrrev_b32_e32 v10, 16, v10
	v_lshrrev_b32_e32 v7, 16, v19
	v_lshrrev_b32_e32 v6, 16, v6
	s_and_saveexec_b32 s13, vcc_lo
	s_cbranch_execz .LBB448_4163
; %bb.4162:                             ;   in Loop: Header=BB448_2342 Depth=1
	v_cmp_lt_i32_e64 s0, v102, v36
	s_delay_alu instid0(VALU_DEP_1) | instskip(SKIP_1) | instid1(VALU_DEP_1)
	v_cndmask_b32_e64 v10, 0, v10, s0
	v_cmp_lt_i32_e64 s0, v133, v36
	v_cndmask_b32_e64 v11, 0, v11, s0
	v_cmp_lt_i32_e64 s0, v132, v36
	s_delay_alu instid0(VALU_DEP_1) | instskip(SKIP_1) | instid1(VALU_DEP_1)
	v_cndmask_b32_e64 v14, 0, v14, s0
	v_cmp_lt_i32_e64 s0, v131, v36
	v_cndmask_b32_e64 v12, 0, v12, s0
	;; [unrolled: 5-line block ×4, first 2 shown]
.LBB448_4163:                           ;   in Loop: Header=BB448_2342 Depth=1
	s_or_b32 exec_lo, exec_lo, s13
	v_lshlrev_b32_e32 v10, 16, v10
                                        ; implicit-def: $vgpr185
	s_delay_alu instid0(VALU_DEP_1) | instskip(NEXT) | instid1(VALU_DEP_1)
	v_mul_f32_e32 v10, v134, v10
	v_and_b32_e32 v15, 0x7f800000, v10
	s_delay_alu instid0(VALU_DEP_1) | instskip(NEXT) | instid1(VALU_DEP_1)
	v_cmp_ne_u32_e64 s0, 0x7f800000, v15
	s_and_saveexec_b32 s13, s0
	s_delay_alu instid0(SALU_CYCLE_1)
	s_xor_b32 s0, exec_lo, s13
; %bb.4164:                             ;   in Loop: Header=BB448_2342 Depth=1
	v_bfe_u32 v15, v10, 16, 1
	s_delay_alu instid0(VALU_DEP_1)
	v_add3_u32 v185, v10, v15, 0x7fff
                                        ; implicit-def: $vgpr10
; %bb.4165:                             ;   in Loop: Header=BB448_2342 Depth=1
	s_and_not1_saveexec_b32 s13, s0
; %bb.4166:                             ;   in Loop: Header=BB448_2342 Depth=1
	v_and_b32_e32 v15, 0xffff, v10
	v_or_b32_e32 v16, 0x10000, v10
	s_delay_alu instid0(VALU_DEP_2) | instskip(NEXT) | instid1(VALU_DEP_1)
	v_cmp_eq_u32_e64 s0, 0, v15
	v_cndmask_b32_e64 v185, v16, v10, s0
; %bb.4167:                             ;   in Loop: Header=BB448_2342 Depth=1
	s_or_b32 exec_lo, exec_lo, s13
	v_lshlrev_b32_e32 v10, 16, v11
                                        ; implicit-def: $vgpr186
	s_delay_alu instid0(VALU_DEP_1) | instskip(NEXT) | instid1(VALU_DEP_1)
	v_mul_f32_e32 v10, v135, v10
	v_and_b32_e32 v11, 0x7f800000, v10
	s_delay_alu instid0(VALU_DEP_1) | instskip(NEXT) | instid1(VALU_DEP_1)
	v_cmp_ne_u32_e64 s0, 0x7f800000, v11
	s_and_saveexec_b32 s13, s0
	s_delay_alu instid0(SALU_CYCLE_1)
	s_xor_b32 s0, exec_lo, s13
; %bb.4168:                             ;   in Loop: Header=BB448_2342 Depth=1
	v_bfe_u32 v11, v10, 16, 1
	s_delay_alu instid0(VALU_DEP_1)
	v_add3_u32 v186, v10, v11, 0x7fff
                                        ; implicit-def: $vgpr10
; %bb.4169:                             ;   in Loop: Header=BB448_2342 Depth=1
	s_and_not1_saveexec_b32 s13, s0
; %bb.4170:                             ;   in Loop: Header=BB448_2342 Depth=1
	v_and_b32_e32 v11, 0xffff, v10
	v_or_b32_e32 v15, 0x10000, v10
	s_delay_alu instid0(VALU_DEP_2) | instskip(NEXT) | instid1(VALU_DEP_1)
	v_cmp_eq_u32_e64 s0, 0, v11
	v_cndmask_b32_e64 v186, v15, v10, s0
; %bb.4171:                             ;   in Loop: Header=BB448_2342 Depth=1
	s_or_b32 exec_lo, exec_lo, s13
	v_lshlrev_b32_e32 v10, 16, v14
                                        ; implicit-def: $vgpr187
	s_delay_alu instid0(VALU_DEP_1) | instskip(NEXT) | instid1(VALU_DEP_1)
	v_mul_f32_e32 v10, v144, v10
	v_and_b32_e32 v11, 0x7f800000, v10
	s_delay_alu instid0(VALU_DEP_1) | instskip(NEXT) | instid1(VALU_DEP_1)
	v_cmp_ne_u32_e64 s0, 0x7f800000, v11
	s_and_saveexec_b32 s13, s0
	s_delay_alu instid0(SALU_CYCLE_1)
	s_xor_b32 s0, exec_lo, s13
; %bb.4172:                             ;   in Loop: Header=BB448_2342 Depth=1
	v_bfe_u32 v11, v10, 16, 1
	s_delay_alu instid0(VALU_DEP_1)
	v_add3_u32 v187, v10, v11, 0x7fff
                                        ; implicit-def: $vgpr10
; %bb.4173:                             ;   in Loop: Header=BB448_2342 Depth=1
	s_and_not1_saveexec_b32 s13, s0
; %bb.4174:                             ;   in Loop: Header=BB448_2342 Depth=1
	v_and_b32_e32 v11, 0xffff, v10
	v_or_b32_e32 v14, 0x10000, v10
	s_delay_alu instid0(VALU_DEP_2) | instskip(NEXT) | instid1(VALU_DEP_1)
	v_cmp_eq_u32_e64 s0, 0, v11
	v_cndmask_b32_e64 v187, v14, v10, s0
; %bb.4175:                             ;   in Loop: Header=BB448_2342 Depth=1
	s_or_b32 exec_lo, exec_lo, s13
	v_lshlrev_b32_e32 v10, 16, v12
                                        ; implicit-def: $vgpr188
	s_delay_alu instid0(VALU_DEP_1) | instskip(NEXT) | instid1(VALU_DEP_1)
	v_mul_f32_e32 v10, v145, v10
	v_and_b32_e32 v11, 0x7f800000, v10
	s_delay_alu instid0(VALU_DEP_1) | instskip(NEXT) | instid1(VALU_DEP_1)
	v_cmp_ne_u32_e64 s0, 0x7f800000, v11
	s_and_saveexec_b32 s13, s0
	s_delay_alu instid0(SALU_CYCLE_1)
	s_xor_b32 s0, exec_lo, s13
; %bb.4176:                             ;   in Loop: Header=BB448_2342 Depth=1
	v_bfe_u32 v11, v10, 16, 1
	s_delay_alu instid0(VALU_DEP_1)
	v_add3_u32 v188, v10, v11, 0x7fff
                                        ; implicit-def: $vgpr10
; %bb.4177:                             ;   in Loop: Header=BB448_2342 Depth=1
	s_and_not1_saveexec_b32 s13, s0
; %bb.4178:                             ;   in Loop: Header=BB448_2342 Depth=1
	v_and_b32_e32 v11, 0xffff, v10
	v_or_b32_e32 v12, 0x10000, v10
	s_delay_alu instid0(VALU_DEP_2) | instskip(NEXT) | instid1(VALU_DEP_1)
	v_cmp_eq_u32_e64 s0, 0, v11
	v_cndmask_b32_e64 v188, v12, v10, s0
; %bb.4179:                             ;   in Loop: Header=BB448_2342 Depth=1
	s_or_b32 exec_lo, exec_lo, s13
	v_lshlrev_b32_e32 v9, 16, v9
                                        ; implicit-def: $vgpr189
	s_delay_alu instid0(VALU_DEP_1) | instskip(NEXT) | instid1(VALU_DEP_1)
	v_mul_f32_e32 v9, v146, v9
	v_and_b32_e32 v10, 0x7f800000, v9
	s_delay_alu instid0(VALU_DEP_1) | instskip(NEXT) | instid1(VALU_DEP_1)
	v_cmp_ne_u32_e64 s0, 0x7f800000, v10
	s_and_saveexec_b32 s13, s0
	s_delay_alu instid0(SALU_CYCLE_1)
	s_xor_b32 s0, exec_lo, s13
; %bb.4180:                             ;   in Loop: Header=BB448_2342 Depth=1
	v_bfe_u32 v10, v9, 16, 1
	s_delay_alu instid0(VALU_DEP_1)
	v_add3_u32 v189, v9, v10, 0x7fff
                                        ; implicit-def: $vgpr9
; %bb.4181:                             ;   in Loop: Header=BB448_2342 Depth=1
	s_and_not1_saveexec_b32 s13, s0
; %bb.4182:                             ;   in Loop: Header=BB448_2342 Depth=1
	v_and_b32_e32 v10, 0xffff, v9
	v_or_b32_e32 v11, 0x10000, v9
	s_delay_alu instid0(VALU_DEP_2) | instskip(NEXT) | instid1(VALU_DEP_1)
	v_cmp_eq_u32_e64 s0, 0, v10
	v_cndmask_b32_e64 v189, v11, v9, s0
; %bb.4183:                             ;   in Loop: Header=BB448_2342 Depth=1
	s_or_b32 exec_lo, exec_lo, s13
	v_lshlrev_b32_e32 v8, 16, v8
                                        ; implicit-def: $vgpr190
	s_delay_alu instid0(VALU_DEP_1) | instskip(NEXT) | instid1(VALU_DEP_1)
	v_mul_f32_e32 v8, v147, v8
	v_and_b32_e32 v9, 0x7f800000, v8
	s_delay_alu instid0(VALU_DEP_1) | instskip(NEXT) | instid1(VALU_DEP_1)
	v_cmp_ne_u32_e64 s0, 0x7f800000, v9
	s_and_saveexec_b32 s13, s0
	s_delay_alu instid0(SALU_CYCLE_1)
	s_xor_b32 s0, exec_lo, s13
; %bb.4184:                             ;   in Loop: Header=BB448_2342 Depth=1
	v_bfe_u32 v9, v8, 16, 1
	s_delay_alu instid0(VALU_DEP_1)
	v_add3_u32 v190, v8, v9, 0x7fff
                                        ; implicit-def: $vgpr8
; %bb.4185:                             ;   in Loop: Header=BB448_2342 Depth=1
	s_and_not1_saveexec_b32 s13, s0
; %bb.4186:                             ;   in Loop: Header=BB448_2342 Depth=1
	v_and_b32_e32 v9, 0xffff, v8
	v_or_b32_e32 v10, 0x10000, v8
	s_delay_alu instid0(VALU_DEP_2) | instskip(NEXT) | instid1(VALU_DEP_1)
	v_cmp_eq_u32_e64 s0, 0, v9
	v_cndmask_b32_e64 v190, v10, v8, s0
; %bb.4187:                             ;   in Loop: Header=BB448_2342 Depth=1
	s_or_b32 exec_lo, exec_lo, s13
	v_lshlrev_b32_e32 v7, 16, v7
                                        ; implicit-def: $vgpr191
	s_delay_alu instid0(VALU_DEP_1) | instskip(NEXT) | instid1(VALU_DEP_1)
	v_mul_f32_e32 v7, v148, v7
	v_and_b32_e32 v8, 0x7f800000, v7
	s_delay_alu instid0(VALU_DEP_1) | instskip(NEXT) | instid1(VALU_DEP_1)
	v_cmp_ne_u32_e64 s0, 0x7f800000, v8
	s_and_saveexec_b32 s13, s0
	s_delay_alu instid0(SALU_CYCLE_1)
	s_xor_b32 s0, exec_lo, s13
; %bb.4188:                             ;   in Loop: Header=BB448_2342 Depth=1
	v_bfe_u32 v8, v7, 16, 1
	s_delay_alu instid0(VALU_DEP_1)
	v_add3_u32 v191, v7, v8, 0x7fff
                                        ; implicit-def: $vgpr7
; %bb.4189:                             ;   in Loop: Header=BB448_2342 Depth=1
	s_and_not1_saveexec_b32 s13, s0
; %bb.4190:                             ;   in Loop: Header=BB448_2342 Depth=1
	v_and_b32_e32 v8, 0xffff, v7
	v_or_b32_e32 v9, 0x10000, v7
	s_delay_alu instid0(VALU_DEP_2) | instskip(NEXT) | instid1(VALU_DEP_1)
	v_cmp_eq_u32_e64 s0, 0, v8
	v_cndmask_b32_e64 v191, v9, v7, s0
; %bb.4191:                             ;   in Loop: Header=BB448_2342 Depth=1
	s_or_b32 exec_lo, exec_lo, s13
	v_lshlrev_b32_e32 v6, 16, v6
                                        ; implicit-def: $vgpr82
	s_delay_alu instid0(VALU_DEP_1) | instskip(NEXT) | instid1(VALU_DEP_1)
	v_mul_f32_e32 v6, v149, v6
	v_and_b32_e32 v7, 0x7f800000, v6
	s_delay_alu instid0(VALU_DEP_1) | instskip(NEXT) | instid1(VALU_DEP_1)
	v_cmp_ne_u32_e64 s0, 0x7f800000, v7
	s_and_saveexec_b32 s13, s0
	s_delay_alu instid0(SALU_CYCLE_1)
	s_xor_b32 s0, exec_lo, s13
; %bb.4192:                             ;   in Loop: Header=BB448_2342 Depth=1
	v_bfe_u32 v7, v6, 16, 1
	s_delay_alu instid0(VALU_DEP_1)
	v_add3_u32 v82, v6, v7, 0x7fff
                                        ; implicit-def: $vgpr6
; %bb.4193:                             ;   in Loop: Header=BB448_2342 Depth=1
	s_and_not1_saveexec_b32 s13, s0
; %bb.4194:                             ;   in Loop: Header=BB448_2342 Depth=1
	v_and_b32_e32 v7, 0xffff, v6
	v_or_b32_e32 v8, 0x10000, v6
	s_delay_alu instid0(VALU_DEP_2) | instskip(NEXT) | instid1(VALU_DEP_1)
	v_cmp_eq_u32_e64 s0, 0, v7
	v_cndmask_b32_e64 v82, v8, v6, s0
; %bb.4195:                             ;   in Loop: Header=BB448_2342 Depth=1
	s_or_b32 exec_lo, exec_lo, s13
	flat_load_b64 v[6:7], v[2:3] offset:3584
	s_mov_b32 s13, exec_lo
	s_waitcnt vmcnt(0) lgkmcnt(0)
	v_dual_mov_b32 v8, 0 :: v_dual_and_b32 v9, 0xff, v6
	s_delay_alu instid0(VALU_DEP_1)
	v_cmpx_ne_u16_e32 0, v9
	s_cbranch_execz .LBB448_4203
; %bb.4196:                             ;   in Loop: Header=BB448_2342 Depth=1
	v_bfrev_b32_e32 v8, 1
	s_mov_b32 s15, exec_lo
	v_cmpx_ne_u16_e32 0x80, v9
	s_cbranch_execz .LBB448_4202
; %bb.4197:                             ;   in Loop: Header=BB448_2342 Depth=1
	v_and_b32_e32 v9, 0x7f, v6
	v_mov_b32_e32 v8, 0x7f800001
	s_mov_b32 s16, exec_lo
	s_delay_alu instid0(VALU_DEP_2)
	v_cmpx_ne_u32_e32 0x7f, v9
	s_cbranch_execz .LBB448_4201
; %bb.4198:                             ;   in Loop: Header=BB448_2342 Depth=1
	v_lshrrev_b32_e32 v10, 3, v9
	v_cmp_gt_u32_e64 s0, 8, v9
	v_dual_mov_b32 v9, v7 :: v_dual_mov_b32 v8, v6
	s_delay_alu instid0(VALU_DEP_2)
	s_and_saveexec_b32 s17, s0
; %bb.4199:                             ;   in Loop: Header=BB448_2342 Depth=1
	v_and_b32_e32 v8, 7, v6
	s_delay_alu instid0(VALU_DEP_1) | instskip(NEXT) | instid1(VALU_DEP_1)
	v_clz_i32_u32_e32 v8, v8
	v_min_u32_e32 v10, 32, v8
	s_delay_alu instid0(VALU_DEP_1) | instskip(SKIP_1) | instid1(VALU_DEP_2)
	v_subrev_nc_u32_e32 v8, 28, v10
	v_sub_nc_u32_e32 v10, 29, v10
	v_lshlrev_b64 v[8:9], v8, v[6:7]
; %bb.4200:                             ;   in Loop: Header=BB448_2342 Depth=1
	s_or_b32 exec_lo, exec_lo, s17
	s_delay_alu instid0(VALU_DEP_1) | instskip(SKIP_2) | instid1(VALU_DEP_3)
	v_lshlrev_b32_e32 v8, 20, v8
	v_lshlrev_b32_e32 v9, 24, v6
	v_lshl_add_u32 v10, v10, 23, 0x3c000000
	v_and_b32_e32 v8, 0x700000, v8
	s_delay_alu instid0(VALU_DEP_3) | instskip(NEXT) | instid1(VALU_DEP_1)
	v_and_b32_e32 v9, 0x80000000, v9
	v_or3_b32 v8, v8, v9, v10
.LBB448_4201:                           ;   in Loop: Header=BB448_2342 Depth=1
	s_or_b32 exec_lo, exec_lo, s16
.LBB448_4202:                           ;   in Loop: Header=BB448_2342 Depth=1
	s_delay_alu instid0(SALU_CYCLE_1)
	s_or_b32 exec_lo, exec_lo, s15
.LBB448_4203:                           ;   in Loop: Header=BB448_2342 Depth=1
	s_delay_alu instid0(SALU_CYCLE_1) | instskip(NEXT) | instid1(VALU_DEP_1)
	s_or_b32 exec_lo, exec_lo, s13
	v_mul_f32_e32 v8, v118, v8
                                        ; implicit-def: $vgpr10
	s_delay_alu instid0(VALU_DEP_1) | instskip(NEXT) | instid1(VALU_DEP_1)
	v_and_b32_e32 v9, 0x7f800000, v8
	v_cmp_ne_u32_e64 s0, 0x7f800000, v9
	s_delay_alu instid0(VALU_DEP_1) | instskip(NEXT) | instid1(SALU_CYCLE_1)
	s_and_saveexec_b32 s13, s0
	s_xor_b32 s0, exec_lo, s13
; %bb.4204:                             ;   in Loop: Header=BB448_2342 Depth=1
	v_bfe_u32 v9, v8, 16, 1
	s_delay_alu instid0(VALU_DEP_1)
	v_add3_u32 v10, v8, v9, 0x7fff
                                        ; implicit-def: $vgpr8
; %bb.4205:                             ;   in Loop: Header=BB448_2342 Depth=1
	s_and_not1_saveexec_b32 s13, s0
; %bb.4206:                             ;   in Loop: Header=BB448_2342 Depth=1
	v_and_b32_e32 v9, 0xffff, v8
	v_or_b32_e32 v10, 0x10000, v8
	s_delay_alu instid0(VALU_DEP_2) | instskip(NEXT) | instid1(VALU_DEP_1)
	v_cmp_eq_u32_e64 s0, 0, v9
	v_cndmask_b32_e64 v10, v10, v8, s0
; %bb.4207:                             ;   in Loop: Header=BB448_2342 Depth=1
	s_or_b32 exec_lo, exec_lo, s13
	v_lshrrev_b16 v9, 8, v6
	v_mov_b32_e32 v8, 0
	s_mov_b32 s13, exec_lo
	s_delay_alu instid0(VALU_DEP_2)
	v_cmpx_ne_u16_e32 0, v9
	s_cbranch_execz .LBB448_4215
; %bb.4208:                             ;   in Loop: Header=BB448_2342 Depth=1
	v_bfrev_b32_e32 v8, 1
	s_mov_b32 s15, exec_lo
	v_cmpx_ne_u16_e32 0x80, v9
	s_cbranch_execz .LBB448_4214
; %bb.4209:                             ;   in Loop: Header=BB448_2342 Depth=1
	v_and_b32_e32 v11, 0xffff, v9
	v_mov_b32_e32 v8, 0x7f800001
	s_mov_b32 s16, exec_lo
	s_delay_alu instid0(VALU_DEP_2) | instskip(NEXT) | instid1(VALU_DEP_1)
	v_and_b32_e32 v9, 0x7f, v11
	v_cmpx_ne_u32_e32 0x7f, v9
	s_cbranch_execz .LBB448_4213
; %bb.4210:                             ;   in Loop: Header=BB448_2342 Depth=1
	v_and_b32_e32 v12, 7, v11
	v_lshrrev_b32_e32 v11, 3, v9
	v_cmp_gt_u32_e64 s0, 8, v9
	s_delay_alu instid0(VALU_DEP_3) | instskip(NEXT) | instid1(VALU_DEP_2)
	v_dual_mov_b32 v8, v12 :: v_dual_mov_b32 v9, v13
	s_and_saveexec_b32 s17, s0
; %bb.4211:                             ;   in Loop: Header=BB448_2342 Depth=1
	v_clz_i32_u32_e32 v8, v12
	s_delay_alu instid0(VALU_DEP_1) | instskip(NEXT) | instid1(VALU_DEP_1)
	v_min_u32_e32 v11, 32, v8
	v_subrev_nc_u32_e32 v8, 28, v11
	v_sub_nc_u32_e32 v11, 29, v11
	s_delay_alu instid0(VALU_DEP_2) | instskip(NEXT) | instid1(VALU_DEP_1)
	v_lshlrev_b64 v[8:9], v8, v[12:13]
	v_and_b32_e32 v8, 7, v8
; %bb.4212:                             ;   in Loop: Header=BB448_2342 Depth=1
	s_or_b32 exec_lo, exec_lo, s17
	v_lshlrev_b32_e32 v9, 16, v6
	s_delay_alu instid0(VALU_DEP_2) | instskip(SKIP_1) | instid1(VALU_DEP_3)
	v_lshlrev_b32_e32 v8, 20, v8
	v_lshl_add_u32 v11, v11, 23, 0x3c000000
	v_and_b32_e32 v9, 0x80000000, v9
	s_delay_alu instid0(VALU_DEP_1)
	v_or3_b32 v8, v8, v9, v11
.LBB448_4213:                           ;   in Loop: Header=BB448_2342 Depth=1
	s_or_b32 exec_lo, exec_lo, s16
.LBB448_4214:                           ;   in Loop: Header=BB448_2342 Depth=1
	s_delay_alu instid0(SALU_CYCLE_1)
	s_or_b32 exec_lo, exec_lo, s15
.LBB448_4215:                           ;   in Loop: Header=BB448_2342 Depth=1
	s_delay_alu instid0(SALU_CYCLE_1) | instskip(NEXT) | instid1(VALU_DEP_1)
	s_or_b32 exec_lo, exec_lo, s13
	v_mul_f32_e32 v8, v118, v8
                                        ; implicit-def: $vgpr11
	s_delay_alu instid0(VALU_DEP_1) | instskip(NEXT) | instid1(VALU_DEP_1)
	v_and_b32_e32 v9, 0x7f800000, v8
	v_cmp_ne_u32_e64 s0, 0x7f800000, v9
	s_delay_alu instid0(VALU_DEP_1) | instskip(NEXT) | instid1(SALU_CYCLE_1)
	s_and_saveexec_b32 s13, s0
	s_xor_b32 s0, exec_lo, s13
; %bb.4216:                             ;   in Loop: Header=BB448_2342 Depth=1
	v_bfe_u32 v9, v8, 16, 1
	s_delay_alu instid0(VALU_DEP_1)
	v_add3_u32 v11, v8, v9, 0x7fff
                                        ; implicit-def: $vgpr8
; %bb.4217:                             ;   in Loop: Header=BB448_2342 Depth=1
	s_and_not1_saveexec_b32 s13, s0
; %bb.4218:                             ;   in Loop: Header=BB448_2342 Depth=1
	v_and_b32_e32 v9, 0xffff, v8
	v_or_b32_e32 v11, 0x10000, v8
	s_delay_alu instid0(VALU_DEP_2) | instskip(NEXT) | instid1(VALU_DEP_1)
	v_cmp_eq_u32_e64 s0, 0, v9
	v_cndmask_b32_e64 v11, v11, v8, s0
; %bb.4219:                             ;   in Loop: Header=BB448_2342 Depth=1
	s_or_b32 exec_lo, exec_lo, s13
	v_lshrrev_b32_e32 v14, 16, v6
	s_mov_b32 s13, exec_lo
	s_delay_alu instid0(VALU_DEP_1) | instskip(NEXT) | instid1(VALU_DEP_1)
	v_dual_mov_b32 v8, 0 :: v_dual_and_b32 v9, 0xff, v14
	v_cmpx_ne_u16_e32 0, v9
	s_cbranch_execz .LBB448_4227
; %bb.4220:                             ;   in Loop: Header=BB448_2342 Depth=1
	v_bfrev_b32_e32 v8, 1
	s_mov_b32 s15, exec_lo
	v_cmpx_ne_u16_e32 0x80, v9
	s_cbranch_execz .LBB448_4226
; %bb.4221:                             ;   in Loop: Header=BB448_2342 Depth=1
	v_bfe_u32 v9, v6, 16, 7
	v_mov_b32_e32 v8, 0x7f800001
	s_mov_b32 s16, exec_lo
	s_delay_alu instid0(VALU_DEP_2)
	v_cmpx_ne_u32_e32 0x7f, v9
	s_cbranch_execz .LBB448_4225
; %bb.4222:                             ;   in Loop: Header=BB448_2342 Depth=1
	v_and_b32_e32 v12, 7, v14
	v_lshrrev_b32_e32 v15, 3, v9
	v_cmp_gt_u32_e64 s0, 8, v9
	s_delay_alu instid0(VALU_DEP_3) | instskip(NEXT) | instid1(VALU_DEP_2)
	v_dual_mov_b32 v8, v12 :: v_dual_mov_b32 v9, v13
	s_and_saveexec_b32 s17, s0
; %bb.4223:                             ;   in Loop: Header=BB448_2342 Depth=1
	v_clz_i32_u32_e32 v8, v12
	s_delay_alu instid0(VALU_DEP_1) | instskip(NEXT) | instid1(VALU_DEP_1)
	v_min_u32_e32 v15, 32, v8
	v_subrev_nc_u32_e32 v8, 28, v15
	v_sub_nc_u32_e32 v15, 29, v15
	s_delay_alu instid0(VALU_DEP_2) | instskip(NEXT) | instid1(VALU_DEP_1)
	v_lshlrev_b64 v[8:9], v8, v[12:13]
	v_and_b32_e32 v8, 7, v8
; %bb.4224:                             ;   in Loop: Header=BB448_2342 Depth=1
	s_or_b32 exec_lo, exec_lo, s17
	v_lshlrev_b32_e32 v9, 24, v14
	s_delay_alu instid0(VALU_DEP_2) | instskip(SKIP_1) | instid1(VALU_DEP_3)
	v_lshlrev_b32_e32 v8, 20, v8
	v_lshl_add_u32 v12, v15, 23, 0x3c000000
	v_and_b32_e32 v9, 0x80000000, v9
	s_delay_alu instid0(VALU_DEP_1)
	v_or3_b32 v8, v8, v9, v12
.LBB448_4225:                           ;   in Loop: Header=BB448_2342 Depth=1
	s_or_b32 exec_lo, exec_lo, s16
.LBB448_4226:                           ;   in Loop: Header=BB448_2342 Depth=1
	s_delay_alu instid0(SALU_CYCLE_1)
	s_or_b32 exec_lo, exec_lo, s15
.LBB448_4227:                           ;   in Loop: Header=BB448_2342 Depth=1
	s_delay_alu instid0(SALU_CYCLE_1) | instskip(NEXT) | instid1(VALU_DEP_1)
	s_or_b32 exec_lo, exec_lo, s13
	v_mul_f32_e32 v8, v118, v8
                                        ; implicit-def: $vgpr14
	s_delay_alu instid0(VALU_DEP_1) | instskip(NEXT) | instid1(VALU_DEP_1)
	v_and_b32_e32 v9, 0x7f800000, v8
	v_cmp_ne_u32_e64 s0, 0x7f800000, v9
	s_delay_alu instid0(VALU_DEP_1) | instskip(NEXT) | instid1(SALU_CYCLE_1)
	s_and_saveexec_b32 s13, s0
	s_xor_b32 s0, exec_lo, s13
; %bb.4228:                             ;   in Loop: Header=BB448_2342 Depth=1
	v_bfe_u32 v9, v8, 16, 1
	s_delay_alu instid0(VALU_DEP_1)
	v_add3_u32 v14, v8, v9, 0x7fff
                                        ; implicit-def: $vgpr8
; %bb.4229:                             ;   in Loop: Header=BB448_2342 Depth=1
	s_and_not1_saveexec_b32 s13, s0
; %bb.4230:                             ;   in Loop: Header=BB448_2342 Depth=1
	v_and_b32_e32 v9, 0xffff, v8
	v_or_b32_e32 v12, 0x10000, v8
	s_delay_alu instid0(VALU_DEP_2) | instskip(NEXT) | instid1(VALU_DEP_1)
	v_cmp_eq_u32_e64 s0, 0, v9
	v_cndmask_b32_e64 v14, v12, v8, s0
; %bb.4231:                             ;   in Loop: Header=BB448_2342 Depth=1
	s_or_b32 exec_lo, exec_lo, s13
	v_mov_b32_e32 v8, 0
	s_mov_b32 s13, exec_lo
	v_cmpx_lt_u32_e32 0xffffff, v6
	s_cbranch_execz .LBB448_4239
; %bb.4232:                             ;   in Loop: Header=BB448_2342 Depth=1
	v_lshrrev_b32_e32 v15, 24, v6
	v_bfrev_b32_e32 v8, 1
	s_mov_b32 s15, exec_lo
	s_delay_alu instid0(VALU_DEP_2)
	v_cmpx_ne_u32_e32 0x80, v15
	s_cbranch_execz .LBB448_4238
; %bb.4233:                             ;   in Loop: Header=BB448_2342 Depth=1
	v_bfe_u32 v9, v6, 24, 7
	v_mov_b32_e32 v8, 0x7f800001
	s_mov_b32 s16, exec_lo
	s_delay_alu instid0(VALU_DEP_2)
	v_cmpx_ne_u32_e32 0x7f, v9
	s_cbranch_execz .LBB448_4237
; %bb.4234:                             ;   in Loop: Header=BB448_2342 Depth=1
	v_and_b32_e32 v12, 7, v15
	v_lshrrev_b32_e32 v16, 3, v9
	v_cmp_gt_u32_e64 s0, 8, v9
	s_delay_alu instid0(VALU_DEP_3) | instskip(NEXT) | instid1(VALU_DEP_2)
	v_dual_mov_b32 v8, v12 :: v_dual_mov_b32 v9, v13
	s_and_saveexec_b32 s17, s0
; %bb.4235:                             ;   in Loop: Header=BB448_2342 Depth=1
	v_clz_i32_u32_e32 v8, v12
	s_delay_alu instid0(VALU_DEP_1) | instskip(NEXT) | instid1(VALU_DEP_1)
	v_min_u32_e32 v16, 32, v8
	v_subrev_nc_u32_e32 v8, 28, v16
	v_sub_nc_u32_e32 v16, 29, v16
	s_delay_alu instid0(VALU_DEP_2) | instskip(NEXT) | instid1(VALU_DEP_1)
	v_lshlrev_b64 v[8:9], v8, v[12:13]
	v_and_b32_e32 v8, 7, v8
; %bb.4236:                             ;   in Loop: Header=BB448_2342 Depth=1
	s_or_b32 exec_lo, exec_lo, s17
	v_lshlrev_b32_e32 v9, 24, v15
	s_delay_alu instid0(VALU_DEP_2) | instskip(SKIP_1) | instid1(VALU_DEP_3)
	v_lshlrev_b32_e32 v8, 20, v8
	v_lshl_add_u32 v12, v16, 23, 0x3c000000
	v_and_b32_e32 v9, 0x80000000, v9
	s_delay_alu instid0(VALU_DEP_1)
	v_or3_b32 v8, v8, v9, v12
.LBB448_4237:                           ;   in Loop: Header=BB448_2342 Depth=1
	s_or_b32 exec_lo, exec_lo, s16
.LBB448_4238:                           ;   in Loop: Header=BB448_2342 Depth=1
	s_delay_alu instid0(SALU_CYCLE_1)
	s_or_b32 exec_lo, exec_lo, s15
.LBB448_4239:                           ;   in Loop: Header=BB448_2342 Depth=1
	s_delay_alu instid0(SALU_CYCLE_1) | instskip(NEXT) | instid1(VALU_DEP_1)
	s_or_b32 exec_lo, exec_lo, s13
	v_mul_f32_e32 v8, v118, v8
                                        ; implicit-def: $vgpr15
	s_delay_alu instid0(VALU_DEP_1) | instskip(NEXT) | instid1(VALU_DEP_1)
	v_and_b32_e32 v9, 0x7f800000, v8
	v_cmp_ne_u32_e64 s0, 0x7f800000, v9
	s_delay_alu instid0(VALU_DEP_1) | instskip(NEXT) | instid1(SALU_CYCLE_1)
	s_and_saveexec_b32 s13, s0
	s_xor_b32 s0, exec_lo, s13
; %bb.4240:                             ;   in Loop: Header=BB448_2342 Depth=1
	v_bfe_u32 v9, v8, 16, 1
	s_delay_alu instid0(VALU_DEP_1)
	v_add3_u32 v15, v8, v9, 0x7fff
                                        ; implicit-def: $vgpr8
; %bb.4241:                             ;   in Loop: Header=BB448_2342 Depth=1
	s_and_not1_saveexec_b32 s13, s0
; %bb.4242:                             ;   in Loop: Header=BB448_2342 Depth=1
	v_and_b32_e32 v9, 0xffff, v8
	v_or_b32_e32 v12, 0x10000, v8
	s_delay_alu instid0(VALU_DEP_2) | instskip(NEXT) | instid1(VALU_DEP_1)
	v_cmp_eq_u32_e64 s0, 0, v9
	v_cndmask_b32_e64 v15, v12, v8, s0
; %bb.4243:                             ;   in Loop: Header=BB448_2342 Depth=1
	s_or_b32 exec_lo, exec_lo, s13
	v_dual_mov_b32 v12, v7 :: v_dual_and_b32 v9, 0xff, v7
	v_mov_b32_e32 v8, 0
	s_mov_b32 s13, exec_lo
	s_delay_alu instid0(VALU_DEP_2)
	v_cmpx_ne_u16_e32 0, v9
	s_cbranch_execz .LBB448_4251
; %bb.4244:                             ;   in Loop: Header=BB448_2342 Depth=1
	v_bfrev_b32_e32 v8, 1
	s_mov_b32 s15, exec_lo
	v_cmpx_ne_u16_e32 0x80, v9
	s_cbranch_execz .LBB448_4250
; %bb.4245:                             ;   in Loop: Header=BB448_2342 Depth=1
	v_and_b32_e32 v9, 0x7f, v7
	v_mov_b32_e32 v8, 0x7f800001
	s_mov_b32 s16, exec_lo
	s_delay_alu instid0(VALU_DEP_2)
	v_cmpx_ne_u32_e32 0x7f, v9
	s_cbranch_execz .LBB448_4249
; %bb.4246:                             ;   in Loop: Header=BB448_2342 Depth=1
	v_lshrrev_b32_e32 v16, 3, v9
	v_cmp_gt_u32_e64 s0, 8, v9
	v_dual_mov_b32 v8, v12 :: v_dual_mov_b32 v9, v13
	s_delay_alu instid0(VALU_DEP_2)
	s_and_saveexec_b32 s17, s0
; %bb.4247:                             ;   in Loop: Header=BB448_2342 Depth=1
	v_and_b32_e32 v8, 7, v7
	s_delay_alu instid0(VALU_DEP_1) | instskip(NEXT) | instid1(VALU_DEP_1)
	v_clz_i32_u32_e32 v8, v8
	v_min_u32_e32 v16, 32, v8
	s_delay_alu instid0(VALU_DEP_1) | instskip(SKIP_1) | instid1(VALU_DEP_2)
	v_subrev_nc_u32_e32 v8, 28, v16
	v_sub_nc_u32_e32 v16, 29, v16
	v_lshlrev_b64 v[8:9], v8, v[12:13]
; %bb.4248:                             ;   in Loop: Header=BB448_2342 Depth=1
	s_or_b32 exec_lo, exec_lo, s17
	s_delay_alu instid0(VALU_DEP_1) | instskip(SKIP_2) | instid1(VALU_DEP_3)
	v_lshlrev_b32_e32 v8, 20, v8
	v_lshlrev_b32_e32 v9, 24, v12
	v_lshl_add_u32 v16, v16, 23, 0x3c000000
	v_and_b32_e32 v8, 0x700000, v8
	s_delay_alu instid0(VALU_DEP_3) | instskip(NEXT) | instid1(VALU_DEP_1)
	v_and_b32_e32 v9, 0x80000000, v9
	v_or3_b32 v8, v8, v9, v16
.LBB448_4249:                           ;   in Loop: Header=BB448_2342 Depth=1
	s_or_b32 exec_lo, exec_lo, s16
.LBB448_4250:                           ;   in Loop: Header=BB448_2342 Depth=1
	s_delay_alu instid0(SALU_CYCLE_1)
	s_or_b32 exec_lo, exec_lo, s15
.LBB448_4251:                           ;   in Loop: Header=BB448_2342 Depth=1
	s_delay_alu instid0(SALU_CYCLE_1) | instskip(NEXT) | instid1(VALU_DEP_1)
	s_or_b32 exec_lo, exec_lo, s13
	v_mul_f32_e32 v8, v118, v8
                                        ; implicit-def: $vgpr16
	s_delay_alu instid0(VALU_DEP_1) | instskip(NEXT) | instid1(VALU_DEP_1)
	v_and_b32_e32 v9, 0x7f800000, v8
	v_cmp_ne_u32_e64 s0, 0x7f800000, v9
	s_delay_alu instid0(VALU_DEP_1) | instskip(NEXT) | instid1(SALU_CYCLE_1)
	s_and_saveexec_b32 s13, s0
	s_xor_b32 s0, exec_lo, s13
; %bb.4252:                             ;   in Loop: Header=BB448_2342 Depth=1
	v_bfe_u32 v9, v8, 16, 1
	s_delay_alu instid0(VALU_DEP_1)
	v_add3_u32 v16, v8, v9, 0x7fff
                                        ; implicit-def: $vgpr8
; %bb.4253:                             ;   in Loop: Header=BB448_2342 Depth=1
	s_and_not1_saveexec_b32 s13, s0
; %bb.4254:                             ;   in Loop: Header=BB448_2342 Depth=1
	v_and_b32_e32 v9, 0xffff, v8
	v_or_b32_e32 v16, 0x10000, v8
	s_delay_alu instid0(VALU_DEP_2) | instskip(NEXT) | instid1(VALU_DEP_1)
	v_cmp_eq_u32_e64 s0, 0, v9
	v_cndmask_b32_e64 v16, v16, v8, s0
; %bb.4255:                             ;   in Loop: Header=BB448_2342 Depth=1
	s_or_b32 exec_lo, exec_lo, s13
	v_lshrrev_b16 v9, 8, v12
	v_mov_b32_e32 v8, 0
	s_mov_b32 s13, exec_lo
	s_delay_alu instid0(VALU_DEP_2)
	v_cmpx_ne_u16_e32 0, v9
	s_cbranch_execz .LBB448_4263
; %bb.4256:                             ;   in Loop: Header=BB448_2342 Depth=1
	v_bfrev_b32_e32 v8, 1
	s_mov_b32 s15, exec_lo
	v_cmpx_ne_u16_e32 0x80, v9
	s_cbranch_execz .LBB448_4262
; %bb.4257:                             ;   in Loop: Header=BB448_2342 Depth=1
	v_and_b32_e32 v9, 0xffff, v9
	v_mov_b32_e32 v8, 0x7f800001
	s_mov_b32 s16, exec_lo
	s_delay_alu instid0(VALU_DEP_2) | instskip(NEXT) | instid1(VALU_DEP_1)
	v_and_b32_e32 v19, 0x7f, v9
	v_cmpx_ne_u32_e32 0x7f, v19
	s_cbranch_execz .LBB448_4261
; %bb.4258:                             ;   in Loop: Header=BB448_2342 Depth=1
	v_dual_mov_b32 v9, v13 :: v_dual_and_b32 v8, 7, v9
	v_lshrrev_b32_e32 v18, 3, v19
	s_mov_b32 s17, exec_lo
	v_cmpx_gt_u32_e32 8, v19
; %bb.4259:                             ;   in Loop: Header=BB448_2342 Depth=1
	s_delay_alu instid0(VALU_DEP_3) | instskip(NEXT) | instid1(VALU_DEP_1)
	v_clz_i32_u32_e32 v18, v8
	v_min_u32_e32 v18, 32, v18
	s_delay_alu instid0(VALU_DEP_1) | instskip(SKIP_1) | instid1(VALU_DEP_2)
	v_subrev_nc_u32_e32 v19, 28, v18
	v_sub_nc_u32_e32 v18, 29, v18
	v_lshlrev_b64 v[8:9], v19, v[8:9]
	s_delay_alu instid0(VALU_DEP_1)
	v_and_b32_e32 v8, 7, v8
; %bb.4260:                             ;   in Loop: Header=BB448_2342 Depth=1
	s_or_b32 exec_lo, exec_lo, s17
	v_lshlrev_b32_e32 v9, 16, v12
	s_delay_alu instid0(VALU_DEP_2) | instskip(SKIP_1) | instid1(VALU_DEP_3)
	v_lshlrev_b32_e32 v8, 20, v8
	v_lshl_add_u32 v12, v18, 23, 0x3c000000
	v_and_b32_e32 v9, 0x80000000, v9
	s_delay_alu instid0(VALU_DEP_1)
	v_or3_b32 v8, v8, v9, v12
.LBB448_4261:                           ;   in Loop: Header=BB448_2342 Depth=1
	s_or_b32 exec_lo, exec_lo, s16
.LBB448_4262:                           ;   in Loop: Header=BB448_2342 Depth=1
	s_delay_alu instid0(SALU_CYCLE_1)
	s_or_b32 exec_lo, exec_lo, s15
.LBB448_4263:                           ;   in Loop: Header=BB448_2342 Depth=1
	s_delay_alu instid0(SALU_CYCLE_1) | instskip(NEXT) | instid1(VALU_DEP_1)
	s_or_b32 exec_lo, exec_lo, s13
	v_mul_f32_e32 v8, v118, v8
                                        ; implicit-def: $vgpr18
	s_delay_alu instid0(VALU_DEP_1) | instskip(NEXT) | instid1(VALU_DEP_1)
	v_and_b32_e32 v9, 0x7f800000, v8
	v_cmp_ne_u32_e64 s0, 0x7f800000, v9
	s_delay_alu instid0(VALU_DEP_1) | instskip(NEXT) | instid1(SALU_CYCLE_1)
	s_and_saveexec_b32 s13, s0
	s_xor_b32 s0, exec_lo, s13
; %bb.4264:                             ;   in Loop: Header=BB448_2342 Depth=1
	v_bfe_u32 v9, v8, 16, 1
	s_delay_alu instid0(VALU_DEP_1)
	v_add3_u32 v18, v8, v9, 0x7fff
                                        ; implicit-def: $vgpr8
; %bb.4265:                             ;   in Loop: Header=BB448_2342 Depth=1
	s_and_not1_saveexec_b32 s13, s0
; %bb.4266:                             ;   in Loop: Header=BB448_2342 Depth=1
	v_and_b32_e32 v9, 0xffff, v8
	v_or_b32_e32 v12, 0x10000, v8
	s_delay_alu instid0(VALU_DEP_2) | instskip(NEXT) | instid1(VALU_DEP_1)
	v_cmp_eq_u32_e64 s0, 0, v9
	v_cndmask_b32_e64 v18, v12, v8, s0
; %bb.4267:                             ;   in Loop: Header=BB448_2342 Depth=1
	s_or_b32 exec_lo, exec_lo, s13
	v_lshrrev_b32_e32 v19, 16, v7
	s_mov_b32 s13, exec_lo
	s_delay_alu instid0(VALU_DEP_1) | instskip(NEXT) | instid1(VALU_DEP_1)
	v_dual_mov_b32 v8, 0 :: v_dual_and_b32 v9, 0xff, v19
	v_cmpx_ne_u16_e32 0, v9
	s_cbranch_execz .LBB448_4275
; %bb.4268:                             ;   in Loop: Header=BB448_2342 Depth=1
	v_bfrev_b32_e32 v8, 1
	s_mov_b32 s15, exec_lo
	v_cmpx_ne_u16_e32 0x80, v9
	s_cbranch_execz .LBB448_4274
; %bb.4269:                             ;   in Loop: Header=BB448_2342 Depth=1
	v_bfe_u32 v9, v7, 16, 7
	v_mov_b32_e32 v8, 0x7f800001
	s_mov_b32 s16, exec_lo
	s_delay_alu instid0(VALU_DEP_2)
	v_cmpx_ne_u32_e32 0x7f, v9
	s_cbranch_execz .LBB448_4273
; %bb.4270:                             ;   in Loop: Header=BB448_2342 Depth=1
	v_and_b32_e32 v12, 7, v19
	v_lshrrev_b32_e32 v20, 3, v9
	v_cmp_gt_u32_e64 s0, 8, v9
	s_delay_alu instid0(VALU_DEP_3) | instskip(NEXT) | instid1(VALU_DEP_2)
	v_dual_mov_b32 v8, v12 :: v_dual_mov_b32 v9, v13
	s_and_saveexec_b32 s17, s0
; %bb.4271:                             ;   in Loop: Header=BB448_2342 Depth=1
	v_clz_i32_u32_e32 v8, v12
	s_delay_alu instid0(VALU_DEP_1) | instskip(NEXT) | instid1(VALU_DEP_1)
	v_min_u32_e32 v20, 32, v8
	v_subrev_nc_u32_e32 v8, 28, v20
	v_sub_nc_u32_e32 v20, 29, v20
	s_delay_alu instid0(VALU_DEP_2) | instskip(NEXT) | instid1(VALU_DEP_1)
	v_lshlrev_b64 v[8:9], v8, v[12:13]
	v_and_b32_e32 v8, 7, v8
; %bb.4272:                             ;   in Loop: Header=BB448_2342 Depth=1
	s_or_b32 exec_lo, exec_lo, s17
	v_lshlrev_b32_e32 v9, 24, v19
	s_delay_alu instid0(VALU_DEP_2) | instskip(SKIP_1) | instid1(VALU_DEP_3)
	v_lshlrev_b32_e32 v8, 20, v8
	v_lshl_add_u32 v12, v20, 23, 0x3c000000
	v_and_b32_e32 v9, 0x80000000, v9
	s_delay_alu instid0(VALU_DEP_1)
	v_or3_b32 v8, v8, v9, v12
.LBB448_4273:                           ;   in Loop: Header=BB448_2342 Depth=1
	s_or_b32 exec_lo, exec_lo, s16
.LBB448_4274:                           ;   in Loop: Header=BB448_2342 Depth=1
	s_delay_alu instid0(SALU_CYCLE_1)
	s_or_b32 exec_lo, exec_lo, s15
.LBB448_4275:                           ;   in Loop: Header=BB448_2342 Depth=1
	s_delay_alu instid0(SALU_CYCLE_1) | instskip(NEXT) | instid1(VALU_DEP_1)
	s_or_b32 exec_lo, exec_lo, s13
	v_mul_f32_e32 v9, v118, v8
	s_delay_alu instid0(VALU_DEP_1) | instskip(NEXT) | instid1(VALU_DEP_1)
	v_and_b32_e32 v8, 0x7f800000, v9
	v_cmp_ne_u32_e64 s0, 0x7f800000, v8
                                        ; implicit-def: $vgpr8
	s_delay_alu instid0(VALU_DEP_1) | instskip(NEXT) | instid1(SALU_CYCLE_1)
	s_and_saveexec_b32 s13, s0
	s_xor_b32 s0, exec_lo, s13
; %bb.4276:                             ;   in Loop: Header=BB448_2342 Depth=1
	v_bfe_u32 v8, v9, 16, 1
	s_delay_alu instid0(VALU_DEP_1)
	v_add3_u32 v8, v9, v8, 0x7fff
                                        ; implicit-def: $vgpr9
; %bb.4277:                             ;   in Loop: Header=BB448_2342 Depth=1
	s_and_not1_saveexec_b32 s13, s0
; %bb.4278:                             ;   in Loop: Header=BB448_2342 Depth=1
	v_and_b32_e32 v8, 0xffff, v9
	v_or_b32_e32 v12, 0x10000, v9
	s_delay_alu instid0(VALU_DEP_2) | instskip(NEXT) | instid1(VALU_DEP_1)
	v_cmp_eq_u32_e64 s0, 0, v8
	v_cndmask_b32_e64 v8, v12, v9, s0
; %bb.4279:                             ;   in Loop: Header=BB448_2342 Depth=1
	s_or_b32 exec_lo, exec_lo, s13
	v_cmp_lt_u64_e64 s0, s[8:9], v[6:7]
	v_mov_b32_e32 v6, 0
	s_delay_alu instid0(VALU_DEP_2)
	s_and_saveexec_b32 s13, s0
	s_cbranch_execz .LBB448_4287
; %bb.4280:                             ;   in Loop: Header=BB448_2342 Depth=1
	v_lshrrev_b32_e32 v9, 24, v7
	v_bfrev_b32_e32 v6, 1
	s_mov_b32 s15, exec_lo
	s_delay_alu instid0(VALU_DEP_2)
	v_cmpx_ne_u32_e32 0x80, v9
	s_cbranch_execz .LBB448_4286
; %bb.4281:                             ;   in Loop: Header=BB448_2342 Depth=1
	v_bfe_u32 v7, v7, 24, 7
	v_mov_b32_e32 v6, 0x7f800001
	s_mov_b32 s16, exec_lo
	s_delay_alu instid0(VALU_DEP_2)
	v_cmpx_ne_u32_e32 0x7f, v7
	s_cbranch_execz .LBB448_4285
; %bb.4282:                             ;   in Loop: Header=BB448_2342 Depth=1
	v_and_b32_e32 v12, 7, v9
	v_lshrrev_b32_e32 v19, 3, v7
	v_cmp_gt_u32_e64 s0, 8, v7
	s_delay_alu instid0(VALU_DEP_3) | instskip(NEXT) | instid1(VALU_DEP_2)
	v_dual_mov_b32 v6, v12 :: v_dual_mov_b32 v7, v13
	s_and_saveexec_b32 s17, s0
; %bb.4283:                             ;   in Loop: Header=BB448_2342 Depth=1
	v_clz_i32_u32_e32 v6, v12
	s_delay_alu instid0(VALU_DEP_1) | instskip(NEXT) | instid1(VALU_DEP_1)
	v_min_u32_e32 v19, 32, v6
	v_subrev_nc_u32_e32 v6, 28, v19
	v_sub_nc_u32_e32 v19, 29, v19
	s_delay_alu instid0(VALU_DEP_2) | instskip(NEXT) | instid1(VALU_DEP_1)
	v_lshlrev_b64 v[6:7], v6, v[12:13]
	v_and_b32_e32 v6, 7, v6
; %bb.4284:                             ;   in Loop: Header=BB448_2342 Depth=1
	s_or_b32 exec_lo, exec_lo, s17
	v_lshlrev_b32_e32 v7, 24, v9
	s_delay_alu instid0(VALU_DEP_2) | instskip(SKIP_1) | instid1(VALU_DEP_3)
	v_lshlrev_b32_e32 v6, 20, v6
	v_lshl_add_u32 v9, v19, 23, 0x3c000000
	v_and_b32_e32 v7, 0x80000000, v7
	s_delay_alu instid0(VALU_DEP_1)
	v_or3_b32 v6, v6, v7, v9
.LBB448_4285:                           ;   in Loop: Header=BB448_2342 Depth=1
	s_or_b32 exec_lo, exec_lo, s16
.LBB448_4286:                           ;   in Loop: Header=BB448_2342 Depth=1
	s_delay_alu instid0(SALU_CYCLE_1)
	s_or_b32 exec_lo, exec_lo, s15
.LBB448_4287:                           ;   in Loop: Header=BB448_2342 Depth=1
	s_delay_alu instid0(SALU_CYCLE_1) | instskip(NEXT) | instid1(VALU_DEP_1)
	s_or_b32 exec_lo, exec_lo, s13
	v_mul_f32_e32 v7, v118, v6
	s_delay_alu instid0(VALU_DEP_1) | instskip(NEXT) | instid1(VALU_DEP_1)
	v_and_b32_e32 v6, 0x7f800000, v7
	v_cmp_ne_u32_e64 s0, 0x7f800000, v6
                                        ; implicit-def: $vgpr6
	s_delay_alu instid0(VALU_DEP_1) | instskip(NEXT) | instid1(SALU_CYCLE_1)
	s_and_saveexec_b32 s13, s0
	s_xor_b32 s0, exec_lo, s13
; %bb.4288:                             ;   in Loop: Header=BB448_2342 Depth=1
	v_bfe_u32 v6, v7, 16, 1
	s_delay_alu instid0(VALU_DEP_1)
	v_add3_u32 v6, v7, v6, 0x7fff
                                        ; implicit-def: $vgpr7
; %bb.4289:                             ;   in Loop: Header=BB448_2342 Depth=1
	s_and_not1_saveexec_b32 s13, s0
; %bb.4290:                             ;   in Loop: Header=BB448_2342 Depth=1
	v_and_b32_e32 v6, 0xffff, v7
	v_or_b32_e32 v9, 0x10000, v7
	s_delay_alu instid0(VALU_DEP_2) | instskip(NEXT) | instid1(VALU_DEP_1)
	v_cmp_eq_u32_e64 s0, 0, v6
	v_cndmask_b32_e64 v6, v9, v7, s0
; %bb.4291:                             ;   in Loop: Header=BB448_2342 Depth=1
	s_or_b32 exec_lo, exec_lo, s13
	v_lshrrev_b32_e32 v12, 16, v18
	v_lshrrev_b32_e32 v16, 16, v16
	;; [unrolled: 1-line block ×8, first 2 shown]
	s_and_saveexec_b32 s13, vcc_lo
	s_cbranch_execz .LBB448_4293
; %bb.4292:                             ;   in Loop: Header=BB448_2342 Depth=1
	v_cmp_lt_i32_e64 s0, v102, v36
	s_delay_alu instid0(VALU_DEP_1) | instskip(SKIP_1) | instid1(VALU_DEP_1)
	v_cndmask_b32_e64 v10, 0, v10, s0
	v_cmp_lt_i32_e64 s0, v133, v36
	v_cndmask_b32_e64 v9, 0, v9, s0
	v_cmp_lt_i32_e64 s0, v132, v36
	s_delay_alu instid0(VALU_DEP_1) | instskip(SKIP_1) | instid1(VALU_DEP_1)
	v_cndmask_b32_e64 v14, 0, v14, s0
	v_cmp_lt_i32_e64 s0, v131, v36
	v_cndmask_b32_e64 v15, 0, v15, s0
	;; [unrolled: 5-line block ×4, first 2 shown]
.LBB448_4293:                           ;   in Loop: Header=BB448_2342 Depth=1
	s_or_b32 exec_lo, exec_lo, s13
	v_lshlrev_b32_e32 v8, 16, v10
	s_delay_alu instid0(VALU_DEP_1) | instskip(NEXT) | instid1(VALU_DEP_1)
	v_mul_f32_e32 v10, v134, v8
	v_and_b32_e32 v8, 0x7f800000, v10
	s_delay_alu instid0(VALU_DEP_1) | instskip(NEXT) | instid1(VALU_DEP_1)
	v_cmp_ne_u32_e64 s0, 0x7f800000, v8
                                        ; implicit-def: $vgpr8
	s_and_saveexec_b32 s13, s0
	s_delay_alu instid0(SALU_CYCLE_1)
	s_xor_b32 s0, exec_lo, s13
; %bb.4294:                             ;   in Loop: Header=BB448_2342 Depth=1
	v_bfe_u32 v8, v10, 16, 1
	s_delay_alu instid0(VALU_DEP_1)
	v_add3_u32 v8, v10, v8, 0x7fff
                                        ; implicit-def: $vgpr10
; %bb.4295:                             ;   in Loop: Header=BB448_2342 Depth=1
	s_and_not1_saveexec_b32 s13, s0
; %bb.4296:                             ;   in Loop: Header=BB448_2342 Depth=1
	v_and_b32_e32 v8, 0xffff, v10
	v_or_b32_e32 v11, 0x10000, v10
	s_delay_alu instid0(VALU_DEP_2) | instskip(NEXT) | instid1(VALU_DEP_1)
	v_cmp_eq_u32_e64 s0, 0, v8
	v_cndmask_b32_e64 v8, v11, v10, s0
; %bb.4297:                             ;   in Loop: Header=BB448_2342 Depth=1
	s_or_b32 exec_lo, exec_lo, s13
	v_lshlrev_b32_e32 v9, 16, v9
	s_delay_alu instid0(VALU_DEP_1) | instskip(NEXT) | instid1(VALU_DEP_1)
	v_mul_f32_e32 v10, v135, v9
	v_and_b32_e32 v9, 0x7f800000, v10
	s_delay_alu instid0(VALU_DEP_1) | instskip(NEXT) | instid1(VALU_DEP_1)
	v_cmp_ne_u32_e64 s0, 0x7f800000, v9
                                        ; implicit-def: $vgpr9
	s_and_saveexec_b32 s13, s0
	s_delay_alu instid0(SALU_CYCLE_1)
	s_xor_b32 s0, exec_lo, s13
; %bb.4298:                             ;   in Loop: Header=BB448_2342 Depth=1
	v_bfe_u32 v9, v10, 16, 1
	s_delay_alu instid0(VALU_DEP_1)
	v_add3_u32 v9, v10, v9, 0x7fff
                                        ; implicit-def: $vgpr10
; %bb.4299:                             ;   in Loop: Header=BB448_2342 Depth=1
	s_and_not1_saveexec_b32 s13, s0
; %bb.4300:                             ;   in Loop: Header=BB448_2342 Depth=1
	v_and_b32_e32 v9, 0xffff, v10
	v_or_b32_e32 v11, 0x10000, v10
	s_delay_alu instid0(VALU_DEP_2) | instskip(NEXT) | instid1(VALU_DEP_1)
	v_cmp_eq_u32_e64 s0, 0, v9
	v_cndmask_b32_e64 v9, v11, v10, s0
; %bb.4301:                             ;   in Loop: Header=BB448_2342 Depth=1
	s_or_b32 exec_lo, exec_lo, s13
	v_lshlrev_b32_e32 v10, 16, v14
                                        ; implicit-def: $vgpr84
	s_delay_alu instid0(VALU_DEP_1) | instskip(NEXT) | instid1(VALU_DEP_1)
	v_mul_f32_e32 v10, v144, v10
	v_and_b32_e32 v11, 0x7f800000, v10
	s_delay_alu instid0(VALU_DEP_1) | instskip(NEXT) | instid1(VALU_DEP_1)
	v_cmp_ne_u32_e64 s0, 0x7f800000, v11
	s_and_saveexec_b32 s13, s0
	s_delay_alu instid0(SALU_CYCLE_1)
	s_xor_b32 s0, exec_lo, s13
; %bb.4302:                             ;   in Loop: Header=BB448_2342 Depth=1
	v_bfe_u32 v11, v10, 16, 1
	s_delay_alu instid0(VALU_DEP_1)
	v_add3_u32 v84, v10, v11, 0x7fff
                                        ; implicit-def: $vgpr10
; %bb.4303:                             ;   in Loop: Header=BB448_2342 Depth=1
	s_and_not1_saveexec_b32 s13, s0
; %bb.4304:                             ;   in Loop: Header=BB448_2342 Depth=1
	v_and_b32_e32 v11, 0xffff, v10
	v_or_b32_e32 v14, 0x10000, v10
	s_delay_alu instid0(VALU_DEP_2) | instskip(NEXT) | instid1(VALU_DEP_1)
	v_cmp_eq_u32_e64 s0, 0, v11
	v_cndmask_b32_e64 v84, v14, v10, s0
; %bb.4305:                             ;   in Loop: Header=BB448_2342 Depth=1
	s_or_b32 exec_lo, exec_lo, s13
	v_lshlrev_b32_e32 v10, 16, v15
                                        ; implicit-def: $vgpr85
	s_delay_alu instid0(VALU_DEP_1) | instskip(NEXT) | instid1(VALU_DEP_1)
	v_mul_f32_e32 v10, v145, v10
	v_and_b32_e32 v11, 0x7f800000, v10
	s_delay_alu instid0(VALU_DEP_1) | instskip(NEXT) | instid1(VALU_DEP_1)
	v_cmp_ne_u32_e64 s0, 0x7f800000, v11
	s_and_saveexec_b32 s13, s0
	s_delay_alu instid0(SALU_CYCLE_1)
	s_xor_b32 s0, exec_lo, s13
; %bb.4306:                             ;   in Loop: Header=BB448_2342 Depth=1
	v_bfe_u32 v11, v10, 16, 1
	s_delay_alu instid0(VALU_DEP_1)
	v_add3_u32 v85, v10, v11, 0x7fff
                                        ; implicit-def: $vgpr10
; %bb.4307:                             ;   in Loop: Header=BB448_2342 Depth=1
	s_and_not1_saveexec_b32 s13, s0
; %bb.4308:                             ;   in Loop: Header=BB448_2342 Depth=1
	v_and_b32_e32 v11, 0xffff, v10
	v_or_b32_e32 v14, 0x10000, v10
	s_delay_alu instid0(VALU_DEP_2) | instskip(NEXT) | instid1(VALU_DEP_1)
	v_cmp_eq_u32_e64 s0, 0, v11
	v_cndmask_b32_e64 v85, v14, v10, s0
; %bb.4309:                             ;   in Loop: Header=BB448_2342 Depth=1
	s_or_b32 exec_lo, exec_lo, s13
	v_lshlrev_b32_e32 v10, 16, v16
                                        ; implicit-def: $vgpr86
	s_delay_alu instid0(VALU_DEP_1) | instskip(NEXT) | instid1(VALU_DEP_1)
	v_mul_f32_e32 v10, v146, v10
	v_and_b32_e32 v11, 0x7f800000, v10
	s_delay_alu instid0(VALU_DEP_1) | instskip(NEXT) | instid1(VALU_DEP_1)
	v_cmp_ne_u32_e64 s0, 0x7f800000, v11
	s_and_saveexec_b32 s13, s0
	s_delay_alu instid0(SALU_CYCLE_1)
	s_xor_b32 s0, exec_lo, s13
; %bb.4310:                             ;   in Loop: Header=BB448_2342 Depth=1
	v_bfe_u32 v11, v10, 16, 1
	s_delay_alu instid0(VALU_DEP_1)
	v_add3_u32 v86, v10, v11, 0x7fff
                                        ; implicit-def: $vgpr10
; %bb.4311:                             ;   in Loop: Header=BB448_2342 Depth=1
	s_and_not1_saveexec_b32 s13, s0
; %bb.4312:                             ;   in Loop: Header=BB448_2342 Depth=1
	v_and_b32_e32 v11, 0xffff, v10
	v_or_b32_e32 v14, 0x10000, v10
	s_delay_alu instid0(VALU_DEP_2) | instskip(NEXT) | instid1(VALU_DEP_1)
	v_cmp_eq_u32_e64 s0, 0, v11
	v_cndmask_b32_e64 v86, v14, v10, s0
; %bb.4313:                             ;   in Loop: Header=BB448_2342 Depth=1
	s_or_b32 exec_lo, exec_lo, s13
	v_lshlrev_b32_e32 v10, 16, v12
                                        ; implicit-def: $vgpr87
	s_delay_alu instid0(VALU_DEP_1) | instskip(NEXT) | instid1(VALU_DEP_1)
	v_mul_f32_e32 v10, v147, v10
	v_and_b32_e32 v11, 0x7f800000, v10
	s_delay_alu instid0(VALU_DEP_1) | instskip(NEXT) | instid1(VALU_DEP_1)
	v_cmp_ne_u32_e64 s0, 0x7f800000, v11
	s_and_saveexec_b32 s13, s0
	s_delay_alu instid0(SALU_CYCLE_1)
	s_xor_b32 s0, exec_lo, s13
; %bb.4314:                             ;   in Loop: Header=BB448_2342 Depth=1
	v_bfe_u32 v11, v10, 16, 1
	s_delay_alu instid0(VALU_DEP_1)
	v_add3_u32 v87, v10, v11, 0x7fff
                                        ; implicit-def: $vgpr10
; %bb.4315:                             ;   in Loop: Header=BB448_2342 Depth=1
	s_and_not1_saveexec_b32 s13, s0
; %bb.4316:                             ;   in Loop: Header=BB448_2342 Depth=1
	v_and_b32_e32 v11, 0xffff, v10
	v_or_b32_e32 v12, 0x10000, v10
	s_delay_alu instid0(VALU_DEP_2) | instskip(NEXT) | instid1(VALU_DEP_1)
	v_cmp_eq_u32_e64 s0, 0, v11
	v_cndmask_b32_e64 v87, v12, v10, s0
; %bb.4317:                             ;   in Loop: Header=BB448_2342 Depth=1
	s_or_b32 exec_lo, exec_lo, s13
	v_lshlrev_b32_e32 v7, 16, v7
                                        ; implicit-def: $vgpr96
	s_delay_alu instid0(VALU_DEP_1) | instskip(NEXT) | instid1(VALU_DEP_1)
	v_mul_f32_e32 v7, v148, v7
	v_and_b32_e32 v10, 0x7f800000, v7
	s_delay_alu instid0(VALU_DEP_1) | instskip(NEXT) | instid1(VALU_DEP_1)
	v_cmp_ne_u32_e64 s0, 0x7f800000, v10
	s_and_saveexec_b32 s13, s0
	s_delay_alu instid0(SALU_CYCLE_1)
	s_xor_b32 s0, exec_lo, s13
; %bb.4318:                             ;   in Loop: Header=BB448_2342 Depth=1
	v_bfe_u32 v10, v7, 16, 1
	s_delay_alu instid0(VALU_DEP_1)
	v_add3_u32 v96, v7, v10, 0x7fff
                                        ; implicit-def: $vgpr7
; %bb.4319:                             ;   in Loop: Header=BB448_2342 Depth=1
	s_and_not1_saveexec_b32 s13, s0
; %bb.4320:                             ;   in Loop: Header=BB448_2342 Depth=1
	v_and_b32_e32 v10, 0xffff, v7
	v_or_b32_e32 v11, 0x10000, v7
	s_delay_alu instid0(VALU_DEP_2) | instskip(NEXT) | instid1(VALU_DEP_1)
	v_cmp_eq_u32_e64 s0, 0, v10
	v_cndmask_b32_e64 v96, v11, v7, s0
; %bb.4321:                             ;   in Loop: Header=BB448_2342 Depth=1
	s_or_b32 exec_lo, exec_lo, s13
	v_lshlrev_b32_e32 v6, 16, v6
                                        ; implicit-def: $vgpr97
	s_delay_alu instid0(VALU_DEP_1) | instskip(NEXT) | instid1(VALU_DEP_1)
	v_mul_f32_e32 v6, v149, v6
	v_and_b32_e32 v7, 0x7f800000, v6
	s_delay_alu instid0(VALU_DEP_1) | instskip(NEXT) | instid1(VALU_DEP_1)
	v_cmp_ne_u32_e64 s0, 0x7f800000, v7
	s_and_saveexec_b32 s13, s0
	s_delay_alu instid0(SALU_CYCLE_1)
	s_xor_b32 s0, exec_lo, s13
; %bb.4322:                             ;   in Loop: Header=BB448_2342 Depth=1
	v_bfe_u32 v7, v6, 16, 1
	s_delay_alu instid0(VALU_DEP_1)
	v_add3_u32 v97, v6, v7, 0x7fff
                                        ; implicit-def: $vgpr6
; %bb.4323:                             ;   in Loop: Header=BB448_2342 Depth=1
	s_and_not1_saveexec_b32 s13, s0
; %bb.4324:                             ;   in Loop: Header=BB448_2342 Depth=1
	v_and_b32_e32 v7, 0xffff, v6
	v_or_b32_e32 v10, 0x10000, v6
	s_delay_alu instid0(VALU_DEP_2) | instskip(NEXT) | instid1(VALU_DEP_1)
	v_cmp_eq_u32_e64 s0, 0, v7
	v_cndmask_b32_e64 v97, v10, v6, s0
; %bb.4325:                             ;   in Loop: Header=BB448_2342 Depth=1
	s_or_b32 exec_lo, exec_lo, s13
	flat_load_b64 v[2:3], v[2:3] offset:3840
	s_mov_b32 s13, exec_lo
	s_waitcnt vmcnt(0) lgkmcnt(0)
	v_dual_mov_b32 v6, 0 :: v_dual_and_b32 v7, 0xff, v2
	s_delay_alu instid0(VALU_DEP_1)
	v_cmpx_ne_u16_e32 0, v7
	s_cbranch_execz .LBB448_4333
; %bb.4326:                             ;   in Loop: Header=BB448_2342 Depth=1
	v_bfrev_b32_e32 v6, 1
	s_mov_b32 s15, exec_lo
	v_cmpx_ne_u16_e32 0x80, v7
	s_cbranch_execz .LBB448_4332
; %bb.4327:                             ;   in Loop: Header=BB448_2342 Depth=1
	v_and_b32_e32 v7, 0x7f, v2
	v_mov_b32_e32 v6, 0x7f800001
	s_mov_b32 s16, exec_lo
	s_delay_alu instid0(VALU_DEP_2)
	v_cmpx_ne_u32_e32 0x7f, v7
	s_cbranch_execz .LBB448_4331
; %bb.4328:                             ;   in Loop: Header=BB448_2342 Depth=1
	v_lshrrev_b32_e32 v10, 3, v7
	v_cmp_gt_u32_e64 s0, 8, v7
	v_dual_mov_b32 v7, v3 :: v_dual_mov_b32 v6, v2
	s_delay_alu instid0(VALU_DEP_2)
	s_and_saveexec_b32 s17, s0
; %bb.4329:                             ;   in Loop: Header=BB448_2342 Depth=1
	v_and_b32_e32 v6, 7, v2
	s_delay_alu instid0(VALU_DEP_1) | instskip(NEXT) | instid1(VALU_DEP_1)
	v_clz_i32_u32_e32 v6, v6
	v_min_u32_e32 v10, 32, v6
	s_delay_alu instid0(VALU_DEP_1) | instskip(SKIP_1) | instid1(VALU_DEP_2)
	v_subrev_nc_u32_e32 v6, 28, v10
	v_sub_nc_u32_e32 v10, 29, v10
	v_lshlrev_b64 v[6:7], v6, v[2:3]
; %bb.4330:                             ;   in Loop: Header=BB448_2342 Depth=1
	s_or_b32 exec_lo, exec_lo, s17
	s_delay_alu instid0(VALU_DEP_1) | instskip(SKIP_2) | instid1(VALU_DEP_3)
	v_lshlrev_b32_e32 v6, 20, v6
	v_lshlrev_b32_e32 v7, 24, v2
	v_lshl_add_u32 v10, v10, 23, 0x3c000000
	v_and_b32_e32 v6, 0x700000, v6
	s_delay_alu instid0(VALU_DEP_3) | instskip(NEXT) | instid1(VALU_DEP_1)
	v_and_b32_e32 v7, 0x80000000, v7
	v_or3_b32 v6, v6, v7, v10
.LBB448_4331:                           ;   in Loop: Header=BB448_2342 Depth=1
	s_or_b32 exec_lo, exec_lo, s16
.LBB448_4332:                           ;   in Loop: Header=BB448_2342 Depth=1
	s_delay_alu instid0(SALU_CYCLE_1)
	s_or_b32 exec_lo, exec_lo, s15
.LBB448_4333:                           ;   in Loop: Header=BB448_2342 Depth=1
	s_delay_alu instid0(SALU_CYCLE_1) | instskip(NEXT) | instid1(VALU_DEP_1)
	s_or_b32 exec_lo, exec_lo, s13
	v_mul_f32_e32 v6, v118, v6
                                        ; implicit-def: $vgpr10
	s_delay_alu instid0(VALU_DEP_1) | instskip(NEXT) | instid1(VALU_DEP_1)
	v_and_b32_e32 v7, 0x7f800000, v6
	v_cmp_ne_u32_e64 s0, 0x7f800000, v7
	s_delay_alu instid0(VALU_DEP_1) | instskip(NEXT) | instid1(SALU_CYCLE_1)
	s_and_saveexec_b32 s13, s0
	s_xor_b32 s0, exec_lo, s13
; %bb.4334:                             ;   in Loop: Header=BB448_2342 Depth=1
	v_bfe_u32 v7, v6, 16, 1
	s_delay_alu instid0(VALU_DEP_1)
	v_add3_u32 v10, v6, v7, 0x7fff
                                        ; implicit-def: $vgpr6
; %bb.4335:                             ;   in Loop: Header=BB448_2342 Depth=1
	s_and_not1_saveexec_b32 s13, s0
; %bb.4336:                             ;   in Loop: Header=BB448_2342 Depth=1
	v_and_b32_e32 v7, 0xffff, v6
	v_or_b32_e32 v10, 0x10000, v6
	s_delay_alu instid0(VALU_DEP_2) | instskip(NEXT) | instid1(VALU_DEP_1)
	v_cmp_eq_u32_e64 s0, 0, v7
	v_cndmask_b32_e64 v10, v10, v6, s0
; %bb.4337:                             ;   in Loop: Header=BB448_2342 Depth=1
	s_or_b32 exec_lo, exec_lo, s13
	v_lshrrev_b16 v7, 8, v2
	v_mov_b32_e32 v6, 0
	s_mov_b32 s13, exec_lo
	s_delay_alu instid0(VALU_DEP_2)
	v_cmpx_ne_u16_e32 0, v7
	s_cbranch_execz .LBB448_4345
; %bb.4338:                             ;   in Loop: Header=BB448_2342 Depth=1
	v_bfrev_b32_e32 v6, 1
	s_mov_b32 s15, exec_lo
	v_cmpx_ne_u16_e32 0x80, v7
	s_cbranch_execz .LBB448_4344
; %bb.4339:                             ;   in Loop: Header=BB448_2342 Depth=1
	v_and_b32_e32 v7, 0xffff, v7
	v_mov_b32_e32 v6, 0x7f800001
	s_mov_b32 s16, exec_lo
	s_delay_alu instid0(VALU_DEP_2) | instskip(NEXT) | instid1(VALU_DEP_1)
	v_and_b32_e32 v11, 0x7f, v7
	v_cmpx_ne_u32_e32 0x7f, v11
	s_cbranch_execz .LBB448_4343
; %bb.4340:                             ;   in Loop: Header=BB448_2342 Depth=1
	v_and_b32_e32 v12, 7, v7
	s_mov_b32 s17, exec_lo
	s_delay_alu instid0(VALU_DEP_1)
	v_dual_mov_b32 v6, v12 :: v_dual_mov_b32 v7, v13
	v_lshrrev_b32_e32 v7, 3, v11
	v_cmpx_gt_u32_e32 8, v11
; %bb.4341:                             ;   in Loop: Header=BB448_2342 Depth=1
	v_clz_i32_u32_e32 v6, v12
	s_delay_alu instid0(VALU_DEP_1) | instskip(NEXT) | instid1(VALU_DEP_1)
	v_min_u32_e32 v11, 32, v6
	v_subrev_nc_u32_e32 v6, 28, v11
	s_delay_alu instid0(VALU_DEP_1) | instskip(SKIP_1) | instid1(VALU_DEP_2)
	v_lshlrev_b64 v[6:7], v6, v[12:13]
	v_sub_nc_u32_e32 v7, 29, v11
	v_and_b32_e32 v6, 7, v6
; %bb.4342:                             ;   in Loop: Header=BB448_2342 Depth=1
	s_or_b32 exec_lo, exec_lo, s17
	v_lshlrev_b32_e32 v11, 16, v2
	s_delay_alu instid0(VALU_DEP_2) | instskip(SKIP_1) | instid1(VALU_DEP_3)
	v_lshlrev_b32_e32 v6, 20, v6
	v_lshl_add_u32 v7, v7, 23, 0x3c000000
	v_and_b32_e32 v11, 0x80000000, v11
	s_delay_alu instid0(VALU_DEP_1)
	v_or3_b32 v6, v6, v11, v7
.LBB448_4343:                           ;   in Loop: Header=BB448_2342 Depth=1
	s_or_b32 exec_lo, exec_lo, s16
.LBB448_4344:                           ;   in Loop: Header=BB448_2342 Depth=1
	s_delay_alu instid0(SALU_CYCLE_1)
	s_or_b32 exec_lo, exec_lo, s15
.LBB448_4345:                           ;   in Loop: Header=BB448_2342 Depth=1
	s_delay_alu instid0(SALU_CYCLE_1) | instskip(NEXT) | instid1(VALU_DEP_1)
	s_or_b32 exec_lo, exec_lo, s13
	v_mul_f32_e32 v6, v118, v6
                                        ; implicit-def: $vgpr11
	s_delay_alu instid0(VALU_DEP_1) | instskip(NEXT) | instid1(VALU_DEP_1)
	v_and_b32_e32 v7, 0x7f800000, v6
	v_cmp_ne_u32_e64 s0, 0x7f800000, v7
	s_delay_alu instid0(VALU_DEP_1) | instskip(NEXT) | instid1(SALU_CYCLE_1)
	s_and_saveexec_b32 s13, s0
	s_xor_b32 s0, exec_lo, s13
; %bb.4346:                             ;   in Loop: Header=BB448_2342 Depth=1
	v_bfe_u32 v7, v6, 16, 1
	s_delay_alu instid0(VALU_DEP_1)
	v_add3_u32 v11, v6, v7, 0x7fff
                                        ; implicit-def: $vgpr6
; %bb.4347:                             ;   in Loop: Header=BB448_2342 Depth=1
	s_and_not1_saveexec_b32 s13, s0
; %bb.4348:                             ;   in Loop: Header=BB448_2342 Depth=1
	v_and_b32_e32 v7, 0xffff, v6
	v_or_b32_e32 v11, 0x10000, v6
	s_delay_alu instid0(VALU_DEP_2) | instskip(NEXT) | instid1(VALU_DEP_1)
	v_cmp_eq_u32_e64 s0, 0, v7
	v_cndmask_b32_e64 v11, v11, v6, s0
; %bb.4349:                             ;   in Loop: Header=BB448_2342 Depth=1
	s_or_b32 exec_lo, exec_lo, s13
	v_lshrrev_b32_e32 v14, 16, v2
	s_mov_b32 s13, exec_lo
	s_delay_alu instid0(VALU_DEP_1) | instskip(NEXT) | instid1(VALU_DEP_1)
	v_dual_mov_b32 v6, 0 :: v_dual_and_b32 v7, 0xff, v14
	v_cmpx_ne_u16_e32 0, v7
	s_cbranch_execz .LBB448_4357
; %bb.4350:                             ;   in Loop: Header=BB448_2342 Depth=1
	v_bfrev_b32_e32 v6, 1
	s_mov_b32 s15, exec_lo
	v_cmpx_ne_u16_e32 0x80, v7
	s_cbranch_execz .LBB448_4356
; %bb.4351:                             ;   in Loop: Header=BB448_2342 Depth=1
	v_bfe_u32 v15, v2, 16, 7
	v_mov_b32_e32 v6, 0x7f800001
	s_mov_b32 s16, exec_lo
	s_delay_alu instid0(VALU_DEP_2)
	v_cmpx_ne_u32_e32 0x7f, v15
	s_cbranch_execz .LBB448_4355
; %bb.4352:                             ;   in Loop: Header=BB448_2342 Depth=1
	v_and_b32_e32 v12, 7, v14
	s_mov_b32 s17, exec_lo
	s_delay_alu instid0(VALU_DEP_1)
	v_dual_mov_b32 v6, v12 :: v_dual_mov_b32 v7, v13
	v_lshrrev_b32_e32 v7, 3, v15
	v_cmpx_gt_u32_e32 8, v15
; %bb.4353:                             ;   in Loop: Header=BB448_2342 Depth=1
	v_clz_i32_u32_e32 v6, v12
	s_delay_alu instid0(VALU_DEP_1) | instskip(NEXT) | instid1(VALU_DEP_1)
	v_min_u32_e32 v15, 32, v6
	v_subrev_nc_u32_e32 v6, 28, v15
	s_delay_alu instid0(VALU_DEP_1) | instskip(SKIP_1) | instid1(VALU_DEP_2)
	v_lshlrev_b64 v[6:7], v6, v[12:13]
	v_sub_nc_u32_e32 v7, 29, v15
	v_and_b32_e32 v6, 7, v6
; %bb.4354:                             ;   in Loop: Header=BB448_2342 Depth=1
	s_or_b32 exec_lo, exec_lo, s17
	v_lshlrev_b32_e32 v12, 24, v14
	s_delay_alu instid0(VALU_DEP_2) | instskip(SKIP_1) | instid1(VALU_DEP_3)
	v_lshlrev_b32_e32 v6, 20, v6
	v_lshl_add_u32 v7, v7, 23, 0x3c000000
	v_and_b32_e32 v12, 0x80000000, v12
	s_delay_alu instid0(VALU_DEP_1)
	v_or3_b32 v6, v6, v12, v7
.LBB448_4355:                           ;   in Loop: Header=BB448_2342 Depth=1
	s_or_b32 exec_lo, exec_lo, s16
.LBB448_4356:                           ;   in Loop: Header=BB448_2342 Depth=1
	s_delay_alu instid0(SALU_CYCLE_1)
	s_or_b32 exec_lo, exec_lo, s15
.LBB448_4357:                           ;   in Loop: Header=BB448_2342 Depth=1
	s_delay_alu instid0(SALU_CYCLE_1) | instskip(NEXT) | instid1(VALU_DEP_1)
	s_or_b32 exec_lo, exec_lo, s13
	v_mul_f32_e32 v6, v118, v6
                                        ; implicit-def: $vgpr14
	s_delay_alu instid0(VALU_DEP_1) | instskip(NEXT) | instid1(VALU_DEP_1)
	v_and_b32_e32 v7, 0x7f800000, v6
	v_cmp_ne_u32_e64 s0, 0x7f800000, v7
	s_delay_alu instid0(VALU_DEP_1) | instskip(NEXT) | instid1(SALU_CYCLE_1)
	s_and_saveexec_b32 s13, s0
	s_xor_b32 s0, exec_lo, s13
; %bb.4358:                             ;   in Loop: Header=BB448_2342 Depth=1
	v_bfe_u32 v7, v6, 16, 1
	s_delay_alu instid0(VALU_DEP_1)
	v_add3_u32 v14, v6, v7, 0x7fff
                                        ; implicit-def: $vgpr6
; %bb.4359:                             ;   in Loop: Header=BB448_2342 Depth=1
	s_and_not1_saveexec_b32 s13, s0
; %bb.4360:                             ;   in Loop: Header=BB448_2342 Depth=1
	v_and_b32_e32 v7, 0xffff, v6
	v_or_b32_e32 v12, 0x10000, v6
	s_delay_alu instid0(VALU_DEP_2) | instskip(NEXT) | instid1(VALU_DEP_1)
	v_cmp_eq_u32_e64 s0, 0, v7
	v_cndmask_b32_e64 v14, v12, v6, s0
; %bb.4361:                             ;   in Loop: Header=BB448_2342 Depth=1
	s_or_b32 exec_lo, exec_lo, s13
	v_mov_b32_e32 v6, 0
	s_mov_b32 s13, exec_lo
	v_cmpx_lt_u32_e32 0xffffff, v2
	s_cbranch_execz .LBB448_4369
; %bb.4362:                             ;   in Loop: Header=BB448_2342 Depth=1
	v_lshrrev_b32_e32 v15, 24, v2
	v_bfrev_b32_e32 v6, 1
	s_mov_b32 s15, exec_lo
	s_delay_alu instid0(VALU_DEP_2)
	v_cmpx_ne_u32_e32 0x80, v15
	s_cbranch_execz .LBB448_4368
; %bb.4363:                             ;   in Loop: Header=BB448_2342 Depth=1
	v_bfe_u32 v16, v2, 24, 7
	v_mov_b32_e32 v6, 0x7f800001
	s_mov_b32 s16, exec_lo
	s_delay_alu instid0(VALU_DEP_2)
	v_cmpx_ne_u32_e32 0x7f, v16
	s_cbranch_execz .LBB448_4367
; %bb.4364:                             ;   in Loop: Header=BB448_2342 Depth=1
	v_and_b32_e32 v12, 7, v15
	s_mov_b32 s17, exec_lo
	s_delay_alu instid0(VALU_DEP_1)
	v_dual_mov_b32 v6, v12 :: v_dual_mov_b32 v7, v13
	v_lshrrev_b32_e32 v7, 3, v16
	v_cmpx_gt_u32_e32 8, v16
; %bb.4365:                             ;   in Loop: Header=BB448_2342 Depth=1
	v_clz_i32_u32_e32 v6, v12
	s_delay_alu instid0(VALU_DEP_1) | instskip(NEXT) | instid1(VALU_DEP_1)
	v_min_u32_e32 v16, 32, v6
	v_subrev_nc_u32_e32 v6, 28, v16
	s_delay_alu instid0(VALU_DEP_1) | instskip(SKIP_1) | instid1(VALU_DEP_2)
	v_lshlrev_b64 v[6:7], v6, v[12:13]
	v_sub_nc_u32_e32 v7, 29, v16
	v_and_b32_e32 v6, 7, v6
; %bb.4366:                             ;   in Loop: Header=BB448_2342 Depth=1
	s_or_b32 exec_lo, exec_lo, s17
	v_lshlrev_b32_e32 v12, 24, v15
	s_delay_alu instid0(VALU_DEP_2) | instskip(SKIP_1) | instid1(VALU_DEP_3)
	v_lshlrev_b32_e32 v6, 20, v6
	v_lshl_add_u32 v7, v7, 23, 0x3c000000
	v_and_b32_e32 v12, 0x80000000, v12
	s_delay_alu instid0(VALU_DEP_1)
	v_or3_b32 v6, v6, v12, v7
.LBB448_4367:                           ;   in Loop: Header=BB448_2342 Depth=1
	s_or_b32 exec_lo, exec_lo, s16
.LBB448_4368:                           ;   in Loop: Header=BB448_2342 Depth=1
	s_delay_alu instid0(SALU_CYCLE_1)
	s_or_b32 exec_lo, exec_lo, s15
.LBB448_4369:                           ;   in Loop: Header=BB448_2342 Depth=1
	s_delay_alu instid0(SALU_CYCLE_1) | instskip(NEXT) | instid1(VALU_DEP_1)
	s_or_b32 exec_lo, exec_lo, s13
	v_mul_f32_e32 v6, v118, v6
                                        ; implicit-def: $vgpr15
	s_delay_alu instid0(VALU_DEP_1) | instskip(NEXT) | instid1(VALU_DEP_1)
	v_and_b32_e32 v7, 0x7f800000, v6
	v_cmp_ne_u32_e64 s0, 0x7f800000, v7
	s_delay_alu instid0(VALU_DEP_1) | instskip(NEXT) | instid1(SALU_CYCLE_1)
	s_and_saveexec_b32 s13, s0
	s_xor_b32 s0, exec_lo, s13
; %bb.4370:                             ;   in Loop: Header=BB448_2342 Depth=1
	v_bfe_u32 v7, v6, 16, 1
	s_delay_alu instid0(VALU_DEP_1)
	v_add3_u32 v15, v6, v7, 0x7fff
                                        ; implicit-def: $vgpr6
; %bb.4371:                             ;   in Loop: Header=BB448_2342 Depth=1
	s_and_not1_saveexec_b32 s13, s0
; %bb.4372:                             ;   in Loop: Header=BB448_2342 Depth=1
	v_and_b32_e32 v7, 0xffff, v6
	v_or_b32_e32 v12, 0x10000, v6
	s_delay_alu instid0(VALU_DEP_2) | instskip(NEXT) | instid1(VALU_DEP_1)
	v_cmp_eq_u32_e64 s0, 0, v7
	v_cndmask_b32_e64 v15, v12, v6, s0
; %bb.4373:                             ;   in Loop: Header=BB448_2342 Depth=1
	s_or_b32 exec_lo, exec_lo, s13
	v_dual_mov_b32 v12, v3 :: v_dual_and_b32 v7, 0xff, v3
	v_mov_b32_e32 v6, 0
	s_mov_b32 s13, exec_lo
	s_delay_alu instid0(VALU_DEP_2)
	v_cmpx_ne_u16_e32 0, v7
	s_cbranch_execz .LBB448_4381
; %bb.4374:                             ;   in Loop: Header=BB448_2342 Depth=1
	v_bfrev_b32_e32 v6, 1
	s_mov_b32 s15, exec_lo
	v_cmpx_ne_u16_e32 0x80, v7
	s_cbranch_execz .LBB448_4380
; %bb.4375:                             ;   in Loop: Header=BB448_2342 Depth=1
	v_and_b32_e32 v16, 0x7f, v3
	v_mov_b32_e32 v6, 0x7f800001
	s_mov_b32 s16, exec_lo
	s_delay_alu instid0(VALU_DEP_2)
	v_cmpx_ne_u32_e32 0x7f, v16
	s_cbranch_execz .LBB448_4379
; %bb.4376:                             ;   in Loop: Header=BB448_2342 Depth=1
	v_dual_mov_b32 v6, v12 :: v_dual_mov_b32 v7, v13
	v_lshrrev_b32_e32 v7, 3, v16
	s_mov_b32 s17, exec_lo
	v_cmpx_gt_u32_e32 8, v16
; %bb.4377:                             ;   in Loop: Header=BB448_2342 Depth=1
	v_and_b32_e32 v6, 7, v3
	s_delay_alu instid0(VALU_DEP_1) | instskip(NEXT) | instid1(VALU_DEP_1)
	v_clz_i32_u32_e32 v6, v6
	v_min_u32_e32 v16, 32, v6
	s_delay_alu instid0(VALU_DEP_1) | instskip(NEXT) | instid1(VALU_DEP_1)
	v_subrev_nc_u32_e32 v6, 28, v16
	v_lshlrev_b64 v[6:7], v6, v[12:13]
	v_sub_nc_u32_e32 v7, 29, v16
; %bb.4378:                             ;   in Loop: Header=BB448_2342 Depth=1
	s_or_b32 exec_lo, exec_lo, s17
	s_delay_alu instid0(VALU_DEP_2) | instskip(SKIP_1) | instid1(VALU_DEP_3)
	v_lshlrev_b32_e32 v6, 20, v6
	v_lshlrev_b32_e32 v16, 24, v12
	v_lshl_add_u32 v7, v7, 23, 0x3c000000
	s_delay_alu instid0(VALU_DEP_3) | instskip(NEXT) | instid1(VALU_DEP_3)
	v_and_b32_e32 v6, 0x700000, v6
	v_and_b32_e32 v16, 0x80000000, v16
	s_delay_alu instid0(VALU_DEP_1)
	v_or3_b32 v6, v6, v16, v7
.LBB448_4379:                           ;   in Loop: Header=BB448_2342 Depth=1
	s_or_b32 exec_lo, exec_lo, s16
.LBB448_4380:                           ;   in Loop: Header=BB448_2342 Depth=1
	s_delay_alu instid0(SALU_CYCLE_1)
	s_or_b32 exec_lo, exec_lo, s15
.LBB448_4381:                           ;   in Loop: Header=BB448_2342 Depth=1
	s_delay_alu instid0(SALU_CYCLE_1) | instskip(NEXT) | instid1(VALU_DEP_1)
	s_or_b32 exec_lo, exec_lo, s13
	v_mul_f32_e32 v6, v118, v6
                                        ; implicit-def: $vgpr16
	s_delay_alu instid0(VALU_DEP_1) | instskip(NEXT) | instid1(VALU_DEP_1)
	v_and_b32_e32 v7, 0x7f800000, v6
	v_cmp_ne_u32_e64 s0, 0x7f800000, v7
	s_delay_alu instid0(VALU_DEP_1) | instskip(NEXT) | instid1(SALU_CYCLE_1)
	s_and_saveexec_b32 s13, s0
	s_xor_b32 s0, exec_lo, s13
; %bb.4382:                             ;   in Loop: Header=BB448_2342 Depth=1
	v_bfe_u32 v7, v6, 16, 1
	s_delay_alu instid0(VALU_DEP_1)
	v_add3_u32 v16, v6, v7, 0x7fff
                                        ; implicit-def: $vgpr6
; %bb.4383:                             ;   in Loop: Header=BB448_2342 Depth=1
	s_and_not1_saveexec_b32 s13, s0
; %bb.4384:                             ;   in Loop: Header=BB448_2342 Depth=1
	v_and_b32_e32 v7, 0xffff, v6
	v_or_b32_e32 v16, 0x10000, v6
	s_delay_alu instid0(VALU_DEP_2) | instskip(NEXT) | instid1(VALU_DEP_1)
	v_cmp_eq_u32_e64 s0, 0, v7
	v_cndmask_b32_e64 v16, v16, v6, s0
; %bb.4385:                             ;   in Loop: Header=BB448_2342 Depth=1
	s_or_b32 exec_lo, exec_lo, s13
	v_lshrrev_b16 v7, 8, v12
	v_mov_b32_e32 v6, 0
	s_mov_b32 s13, exec_lo
	s_delay_alu instid0(VALU_DEP_2)
	v_cmpx_ne_u16_e32 0, v7
	s_cbranch_execz .LBB448_4393
; %bb.4386:                             ;   in Loop: Header=BB448_2342 Depth=1
	v_bfrev_b32_e32 v6, 1
	s_mov_b32 s15, exec_lo
	v_cmpx_ne_u16_e32 0x80, v7
	s_cbranch_execz .LBB448_4392
; %bb.4387:                             ;   in Loop: Header=BB448_2342 Depth=1
	v_and_b32_e32 v7, 0xffff, v7
	v_mov_b32_e32 v6, 0x7f800001
	s_mov_b32 s16, exec_lo
	s_delay_alu instid0(VALU_DEP_2) | instskip(NEXT) | instid1(VALU_DEP_1)
	v_and_b32_e32 v19, 0x7f, v7
	v_cmpx_ne_u32_e32 0x7f, v19
	s_cbranch_execz .LBB448_4391
; %bb.4388:                             ;   in Loop: Header=BB448_2342 Depth=1
	v_dual_mov_b32 v7, v13 :: v_dual_and_b32 v6, 7, v7
	v_lshrrev_b32_e32 v18, 3, v19
	s_mov_b32 s17, exec_lo
	v_cmpx_gt_u32_e32 8, v19
; %bb.4389:                             ;   in Loop: Header=BB448_2342 Depth=1
	s_delay_alu instid0(VALU_DEP_3) | instskip(NEXT) | instid1(VALU_DEP_1)
	v_clz_i32_u32_e32 v18, v6
	v_min_u32_e32 v18, 32, v18
	s_delay_alu instid0(VALU_DEP_1) | instskip(SKIP_1) | instid1(VALU_DEP_2)
	v_subrev_nc_u32_e32 v19, 28, v18
	v_sub_nc_u32_e32 v18, 29, v18
	v_lshlrev_b64 v[6:7], v19, v[6:7]
	s_delay_alu instid0(VALU_DEP_1)
	v_and_b32_e32 v6, 7, v6
; %bb.4390:                             ;   in Loop: Header=BB448_2342 Depth=1
	s_or_b32 exec_lo, exec_lo, s17
	v_lshlrev_b32_e32 v7, 16, v12
	s_delay_alu instid0(VALU_DEP_2) | instskip(SKIP_1) | instid1(VALU_DEP_3)
	v_lshlrev_b32_e32 v6, 20, v6
	v_lshl_add_u32 v12, v18, 23, 0x3c000000
	v_and_b32_e32 v7, 0x80000000, v7
	s_delay_alu instid0(VALU_DEP_1)
	v_or3_b32 v6, v6, v7, v12
.LBB448_4391:                           ;   in Loop: Header=BB448_2342 Depth=1
	s_or_b32 exec_lo, exec_lo, s16
.LBB448_4392:                           ;   in Loop: Header=BB448_2342 Depth=1
	s_delay_alu instid0(SALU_CYCLE_1)
	s_or_b32 exec_lo, exec_lo, s15
.LBB448_4393:                           ;   in Loop: Header=BB448_2342 Depth=1
	s_delay_alu instid0(SALU_CYCLE_1) | instskip(NEXT) | instid1(VALU_DEP_1)
	s_or_b32 exec_lo, exec_lo, s13
	v_mul_f32_e32 v6, v118, v6
                                        ; implicit-def: $vgpr18
	s_delay_alu instid0(VALU_DEP_1) | instskip(NEXT) | instid1(VALU_DEP_1)
	v_and_b32_e32 v7, 0x7f800000, v6
	v_cmp_ne_u32_e64 s0, 0x7f800000, v7
	s_delay_alu instid0(VALU_DEP_1) | instskip(NEXT) | instid1(SALU_CYCLE_1)
	s_and_saveexec_b32 s13, s0
	s_xor_b32 s0, exec_lo, s13
; %bb.4394:                             ;   in Loop: Header=BB448_2342 Depth=1
	v_bfe_u32 v7, v6, 16, 1
	s_delay_alu instid0(VALU_DEP_1)
	v_add3_u32 v18, v6, v7, 0x7fff
                                        ; implicit-def: $vgpr6
; %bb.4395:                             ;   in Loop: Header=BB448_2342 Depth=1
	s_and_not1_saveexec_b32 s13, s0
; %bb.4396:                             ;   in Loop: Header=BB448_2342 Depth=1
	v_and_b32_e32 v7, 0xffff, v6
	v_or_b32_e32 v12, 0x10000, v6
	s_delay_alu instid0(VALU_DEP_2) | instskip(NEXT) | instid1(VALU_DEP_1)
	v_cmp_eq_u32_e64 s0, 0, v7
	v_cndmask_b32_e64 v18, v12, v6, s0
; %bb.4397:                             ;   in Loop: Header=BB448_2342 Depth=1
	s_or_b32 exec_lo, exec_lo, s13
	v_lshrrev_b32_e32 v19, 16, v3
	s_mov_b32 s13, exec_lo
	s_delay_alu instid0(VALU_DEP_1) | instskip(NEXT) | instid1(VALU_DEP_1)
	v_dual_mov_b32 v6, 0 :: v_dual_and_b32 v7, 0xff, v19
	v_cmpx_ne_u16_e32 0, v7
	s_cbranch_execz .LBB448_4405
; %bb.4398:                             ;   in Loop: Header=BB448_2342 Depth=1
	v_bfrev_b32_e32 v6, 1
	s_mov_b32 s15, exec_lo
	v_cmpx_ne_u16_e32 0x80, v7
	s_cbranch_execz .LBB448_4404
; %bb.4399:                             ;   in Loop: Header=BB448_2342 Depth=1
	v_bfe_u32 v20, v3, 16, 7
	v_mov_b32_e32 v6, 0x7f800001
	s_mov_b32 s16, exec_lo
	s_delay_alu instid0(VALU_DEP_2)
	v_cmpx_ne_u32_e32 0x7f, v20
	s_cbranch_execz .LBB448_4403
; %bb.4400:                             ;   in Loop: Header=BB448_2342 Depth=1
	v_and_b32_e32 v12, 7, v19
	s_mov_b32 s17, exec_lo
	s_delay_alu instid0(VALU_DEP_1)
	v_dual_mov_b32 v6, v12 :: v_dual_mov_b32 v7, v13
	v_lshrrev_b32_e32 v7, 3, v20
	v_cmpx_gt_u32_e32 8, v20
; %bb.4401:                             ;   in Loop: Header=BB448_2342 Depth=1
	v_clz_i32_u32_e32 v6, v12
	s_delay_alu instid0(VALU_DEP_1) | instskip(NEXT) | instid1(VALU_DEP_1)
	v_min_u32_e32 v20, 32, v6
	v_subrev_nc_u32_e32 v6, 28, v20
	s_delay_alu instid0(VALU_DEP_1) | instskip(SKIP_1) | instid1(VALU_DEP_2)
	v_lshlrev_b64 v[6:7], v6, v[12:13]
	v_sub_nc_u32_e32 v7, 29, v20
	v_and_b32_e32 v6, 7, v6
; %bb.4402:                             ;   in Loop: Header=BB448_2342 Depth=1
	s_or_b32 exec_lo, exec_lo, s17
	v_lshlrev_b32_e32 v12, 24, v19
	s_delay_alu instid0(VALU_DEP_2) | instskip(SKIP_1) | instid1(VALU_DEP_3)
	v_lshlrev_b32_e32 v6, 20, v6
	v_lshl_add_u32 v7, v7, 23, 0x3c000000
	v_and_b32_e32 v12, 0x80000000, v12
	s_delay_alu instid0(VALU_DEP_1)
	v_or3_b32 v6, v6, v12, v7
.LBB448_4403:                           ;   in Loop: Header=BB448_2342 Depth=1
	s_or_b32 exec_lo, exec_lo, s16
.LBB448_4404:                           ;   in Loop: Header=BB448_2342 Depth=1
	s_delay_alu instid0(SALU_CYCLE_1)
	s_or_b32 exec_lo, exec_lo, s15
.LBB448_4405:                           ;   in Loop: Header=BB448_2342 Depth=1
	s_delay_alu instid0(SALU_CYCLE_1) | instskip(NEXT) | instid1(VALU_DEP_1)
	s_or_b32 exec_lo, exec_lo, s13
	v_mul_f32_e32 v6, v118, v6
                                        ; implicit-def: $vgpr19
	s_delay_alu instid0(VALU_DEP_1) | instskip(NEXT) | instid1(VALU_DEP_1)
	v_and_b32_e32 v7, 0x7f800000, v6
	v_cmp_ne_u32_e64 s0, 0x7f800000, v7
	s_delay_alu instid0(VALU_DEP_1) | instskip(NEXT) | instid1(SALU_CYCLE_1)
	s_and_saveexec_b32 s13, s0
	s_xor_b32 s0, exec_lo, s13
; %bb.4406:                             ;   in Loop: Header=BB448_2342 Depth=1
	v_bfe_u32 v7, v6, 16, 1
	s_delay_alu instid0(VALU_DEP_1)
	v_add3_u32 v19, v6, v7, 0x7fff
                                        ; implicit-def: $vgpr6
; %bb.4407:                             ;   in Loop: Header=BB448_2342 Depth=1
	s_and_not1_saveexec_b32 s13, s0
; %bb.4408:                             ;   in Loop: Header=BB448_2342 Depth=1
	v_and_b32_e32 v7, 0xffff, v6
	v_or_b32_e32 v12, 0x10000, v6
	s_delay_alu instid0(VALU_DEP_2) | instskip(NEXT) | instid1(VALU_DEP_1)
	v_cmp_eq_u32_e64 s0, 0, v7
	v_cndmask_b32_e64 v19, v12, v6, s0
; %bb.4409:                             ;   in Loop: Header=BB448_2342 Depth=1
	s_or_b32 exec_lo, exec_lo, s13
	v_cmp_lt_u64_e64 s0, s[8:9], v[2:3]
	v_mov_b32_e32 v2, 0
	s_delay_alu instid0(VALU_DEP_2)
	s_and_saveexec_b32 s13, s0
	s_cbranch_execz .LBB448_4417
; %bb.4410:                             ;   in Loop: Header=BB448_2342 Depth=1
	v_lshrrev_b32_e32 v6, 24, v3
	v_bfrev_b32_e32 v2, 1
	s_mov_b32 s15, exec_lo
	s_delay_alu instid0(VALU_DEP_2)
	v_cmpx_ne_u32_e32 0x80, v6
	s_cbranch_execz .LBB448_4416
; %bb.4411:                             ;   in Loop: Header=BB448_2342 Depth=1
	v_bfe_u32 v7, v3, 24, 7
	v_mov_b32_e32 v2, 0x7f800001
	s_mov_b32 s16, exec_lo
	s_delay_alu instid0(VALU_DEP_2)
	v_cmpx_ne_u32_e32 0x7f, v7
	s_cbranch_execz .LBB448_4415
; %bb.4412:                             ;   in Loop: Header=BB448_2342 Depth=1
	v_and_b32_e32 v12, 7, v6
	s_mov_b32 s17, exec_lo
	s_delay_alu instid0(VALU_DEP_1)
	v_dual_mov_b32 v2, v12 :: v_dual_mov_b32 v3, v13
	v_lshrrev_b32_e32 v3, 3, v7
	v_cmpx_gt_u32_e32 8, v7
; %bb.4413:                             ;   in Loop: Header=BB448_2342 Depth=1
	v_clz_i32_u32_e32 v2, v12
	s_delay_alu instid0(VALU_DEP_1) | instskip(NEXT) | instid1(VALU_DEP_1)
	v_min_u32_e32 v7, 32, v2
	v_subrev_nc_u32_e32 v2, 28, v7
	s_delay_alu instid0(VALU_DEP_1) | instskip(SKIP_1) | instid1(VALU_DEP_2)
	v_lshlrev_b64 v[2:3], v2, v[12:13]
	v_sub_nc_u32_e32 v3, 29, v7
	v_and_b32_e32 v2, 7, v2
; %bb.4414:                             ;   in Loop: Header=BB448_2342 Depth=1
	s_or_b32 exec_lo, exec_lo, s17
	v_lshlrev_b32_e32 v6, 24, v6
	s_delay_alu instid0(VALU_DEP_2) | instskip(SKIP_1) | instid1(VALU_DEP_3)
	v_lshlrev_b32_e32 v2, 20, v2
	v_lshl_add_u32 v3, v3, 23, 0x3c000000
	v_and_b32_e32 v6, 0x80000000, v6
	s_delay_alu instid0(VALU_DEP_1)
	v_or3_b32 v2, v2, v6, v3
.LBB448_4415:                           ;   in Loop: Header=BB448_2342 Depth=1
	s_or_b32 exec_lo, exec_lo, s16
.LBB448_4416:                           ;   in Loop: Header=BB448_2342 Depth=1
	s_delay_alu instid0(SALU_CYCLE_1)
	s_or_b32 exec_lo, exec_lo, s15
.LBB448_4417:                           ;   in Loop: Header=BB448_2342 Depth=1
	s_delay_alu instid0(SALU_CYCLE_1) | instskip(NEXT) | instid1(VALU_DEP_1)
	s_or_b32 exec_lo, exec_lo, s13
	v_mul_f32_e32 v3, v118, v2
	s_delay_alu instid0(VALU_DEP_1) | instskip(NEXT) | instid1(VALU_DEP_1)
	v_and_b32_e32 v2, 0x7f800000, v3
	v_cmp_ne_u32_e64 s0, 0x7f800000, v2
                                        ; implicit-def: $vgpr2
	s_delay_alu instid0(VALU_DEP_1) | instskip(NEXT) | instid1(SALU_CYCLE_1)
	s_and_saveexec_b32 s13, s0
	s_xor_b32 s0, exec_lo, s13
; %bb.4418:                             ;   in Loop: Header=BB448_2342 Depth=1
	v_bfe_u32 v2, v3, 16, 1
	s_delay_alu instid0(VALU_DEP_1)
	v_add3_u32 v2, v3, v2, 0x7fff
                                        ; implicit-def: $vgpr3
; %bb.4419:                             ;   in Loop: Header=BB448_2342 Depth=1
	s_and_not1_saveexec_b32 s13, s0
; %bb.4420:                             ;   in Loop: Header=BB448_2342 Depth=1
	v_and_b32_e32 v2, 0xffff, v3
	v_or_b32_e32 v6, 0x10000, v3
	s_delay_alu instid0(VALU_DEP_2) | instskip(NEXT) | instid1(VALU_DEP_1)
	v_cmp_eq_u32_e64 s0, 0, v2
	v_cndmask_b32_e64 v2, v6, v3, s0
; %bb.4421:                             ;   in Loop: Header=BB448_2342 Depth=1
	s_or_b32 exec_lo, exec_lo, s13
	v_lshrrev_b32_e32 v6, 16, v18
	v_lshrrev_b32_e32 v7, 16, v16
	;; [unrolled: 1-line block ×8, first 2 shown]
	s_and_saveexec_b32 s13, vcc_lo
	s_cbranch_execz .LBB448_4423
; %bb.4422:                             ;   in Loop: Header=BB448_2342 Depth=1
	v_cmp_lt_i32_e64 s0, v102, v36
	s_delay_alu instid0(VALU_DEP_1) | instskip(SKIP_1) | instid1(VALU_DEP_1)
	v_cndmask_b32_e64 v10, 0, v10, s0
	v_cmp_lt_i32_e64 s0, v133, v36
	v_cndmask_b32_e64 v11, 0, v11, s0
	v_cmp_lt_i32_e64 s0, v132, v36
	s_delay_alu instid0(VALU_DEP_1) | instskip(SKIP_1) | instid1(VALU_DEP_1)
	v_cndmask_b32_e64 v14, 0, v14, s0
	v_cmp_lt_i32_e64 s0, v131, v36
	v_cndmask_b32_e64 v12, 0, v12, s0
	;; [unrolled: 5-line block ×4, first 2 shown]
.LBB448_4423:                           ;   in Loop: Header=BB448_2342 Depth=1
	s_or_b32 exec_lo, exec_lo, s13
	v_lshlrev_b32_e32 v10, 16, v10
                                        ; implicit-def: $vgpr98
	s_delay_alu instid0(VALU_DEP_1) | instskip(NEXT) | instid1(VALU_DEP_1)
	v_mul_f32_e32 v10, v134, v10
	v_and_b32_e32 v15, 0x7f800000, v10
	s_delay_alu instid0(VALU_DEP_1) | instskip(NEXT) | instid1(VALU_DEP_1)
	v_cmp_ne_u32_e64 s0, 0x7f800000, v15
	s_and_saveexec_b32 s13, s0
	s_delay_alu instid0(SALU_CYCLE_1)
	s_xor_b32 s0, exec_lo, s13
; %bb.4424:                             ;   in Loop: Header=BB448_2342 Depth=1
	v_bfe_u32 v15, v10, 16, 1
	s_delay_alu instid0(VALU_DEP_1)
	v_add3_u32 v98, v10, v15, 0x7fff
                                        ; implicit-def: $vgpr10
; %bb.4425:                             ;   in Loop: Header=BB448_2342 Depth=1
	s_and_not1_saveexec_b32 s13, s0
; %bb.4426:                             ;   in Loop: Header=BB448_2342 Depth=1
	v_and_b32_e32 v15, 0xffff, v10
	v_or_b32_e32 v16, 0x10000, v10
	s_delay_alu instid0(VALU_DEP_2) | instskip(NEXT) | instid1(VALU_DEP_1)
	v_cmp_eq_u32_e64 s0, 0, v15
	v_cndmask_b32_e64 v98, v16, v10, s0
; %bb.4427:                             ;   in Loop: Header=BB448_2342 Depth=1
	s_or_b32 exec_lo, exec_lo, s13
	v_lshlrev_b32_e32 v10, 16, v11
                                        ; implicit-def: $vgpr99
	s_delay_alu instid0(VALU_DEP_1) | instskip(NEXT) | instid1(VALU_DEP_1)
	v_mul_f32_e32 v10, v135, v10
	v_and_b32_e32 v11, 0x7f800000, v10
	s_delay_alu instid0(VALU_DEP_1) | instskip(NEXT) | instid1(VALU_DEP_1)
	v_cmp_ne_u32_e64 s0, 0x7f800000, v11
	s_and_saveexec_b32 s13, s0
	s_delay_alu instid0(SALU_CYCLE_1)
	s_xor_b32 s0, exec_lo, s13
; %bb.4428:                             ;   in Loop: Header=BB448_2342 Depth=1
	v_bfe_u32 v11, v10, 16, 1
	s_delay_alu instid0(VALU_DEP_1)
	v_add3_u32 v99, v10, v11, 0x7fff
                                        ; implicit-def: $vgpr10
; %bb.4429:                             ;   in Loop: Header=BB448_2342 Depth=1
	s_and_not1_saveexec_b32 s13, s0
; %bb.4430:                             ;   in Loop: Header=BB448_2342 Depth=1
	v_and_b32_e32 v11, 0xffff, v10
	v_or_b32_e32 v15, 0x10000, v10
	s_delay_alu instid0(VALU_DEP_2) | instskip(NEXT) | instid1(VALU_DEP_1)
	v_cmp_eq_u32_e64 s0, 0, v11
	v_cndmask_b32_e64 v99, v15, v10, s0
; %bb.4431:                             ;   in Loop: Header=BB448_2342 Depth=1
	s_or_b32 exec_lo, exec_lo, s13
	v_lshlrev_b32_e32 v10, 16, v14
                                        ; implicit-def: $vgpr100
	s_delay_alu instid0(VALU_DEP_1) | instskip(NEXT) | instid1(VALU_DEP_1)
	v_mul_f32_e32 v10, v144, v10
	v_and_b32_e32 v11, 0x7f800000, v10
	s_delay_alu instid0(VALU_DEP_1) | instskip(NEXT) | instid1(VALU_DEP_1)
	v_cmp_ne_u32_e64 s0, 0x7f800000, v11
	s_and_saveexec_b32 s13, s0
	s_delay_alu instid0(SALU_CYCLE_1)
	s_xor_b32 s0, exec_lo, s13
; %bb.4432:                             ;   in Loop: Header=BB448_2342 Depth=1
	v_bfe_u32 v11, v10, 16, 1
	s_delay_alu instid0(VALU_DEP_1)
	v_add3_u32 v100, v10, v11, 0x7fff
                                        ; implicit-def: $vgpr10
; %bb.4433:                             ;   in Loop: Header=BB448_2342 Depth=1
	s_and_not1_saveexec_b32 s13, s0
; %bb.4434:                             ;   in Loop: Header=BB448_2342 Depth=1
	v_and_b32_e32 v11, 0xffff, v10
	v_or_b32_e32 v14, 0x10000, v10
	s_delay_alu instid0(VALU_DEP_2) | instskip(NEXT) | instid1(VALU_DEP_1)
	v_cmp_eq_u32_e64 s0, 0, v11
	v_cndmask_b32_e64 v100, v14, v10, s0
; %bb.4435:                             ;   in Loop: Header=BB448_2342 Depth=1
	s_or_b32 exec_lo, exec_lo, s13
	v_lshlrev_b32_e32 v10, 16, v12
                                        ; implicit-def: $vgpr83
	s_delay_alu instid0(VALU_DEP_1) | instskip(NEXT) | instid1(VALU_DEP_1)
	v_mul_f32_e32 v10, v145, v10
	v_and_b32_e32 v11, 0x7f800000, v10
	s_delay_alu instid0(VALU_DEP_1) | instskip(NEXT) | instid1(VALU_DEP_1)
	v_cmp_ne_u32_e64 s0, 0x7f800000, v11
	s_and_saveexec_b32 s13, s0
	s_delay_alu instid0(SALU_CYCLE_1)
	s_xor_b32 s0, exec_lo, s13
; %bb.4436:                             ;   in Loop: Header=BB448_2342 Depth=1
	v_bfe_u32 v11, v10, 16, 1
	s_delay_alu instid0(VALU_DEP_1)
	v_add3_u32 v83, v10, v11, 0x7fff
                                        ; implicit-def: $vgpr10
; %bb.4437:                             ;   in Loop: Header=BB448_2342 Depth=1
	s_and_not1_saveexec_b32 s13, s0
; %bb.4438:                             ;   in Loop: Header=BB448_2342 Depth=1
	v_and_b32_e32 v11, 0xffff, v10
	v_or_b32_e32 v12, 0x10000, v10
	s_delay_alu instid0(VALU_DEP_2) | instskip(NEXT) | instid1(VALU_DEP_1)
	v_cmp_eq_u32_e64 s0, 0, v11
	v_cndmask_b32_e64 v83, v12, v10, s0
; %bb.4439:                             ;   in Loop: Header=BB448_2342 Depth=1
	s_or_b32 exec_lo, exec_lo, s13
	v_lshlrev_b32_e32 v7, 16, v7
                                        ; implicit-def: $vgpr101
	s_delay_alu instid0(VALU_DEP_1) | instskip(NEXT) | instid1(VALU_DEP_1)
	v_mul_f32_e32 v7, v146, v7
	v_and_b32_e32 v10, 0x7f800000, v7
	s_delay_alu instid0(VALU_DEP_1) | instskip(NEXT) | instid1(VALU_DEP_1)
	v_cmp_ne_u32_e64 s0, 0x7f800000, v10
	s_and_saveexec_b32 s13, s0
	s_delay_alu instid0(SALU_CYCLE_1)
	s_xor_b32 s0, exec_lo, s13
; %bb.4440:                             ;   in Loop: Header=BB448_2342 Depth=1
	v_bfe_u32 v10, v7, 16, 1
	s_delay_alu instid0(VALU_DEP_1)
	v_add3_u32 v101, v7, v10, 0x7fff
                                        ; implicit-def: $vgpr7
; %bb.4441:                             ;   in Loop: Header=BB448_2342 Depth=1
	s_and_not1_saveexec_b32 s13, s0
; %bb.4442:                             ;   in Loop: Header=BB448_2342 Depth=1
	v_and_b32_e32 v10, 0xffff, v7
	v_or_b32_e32 v11, 0x10000, v7
	s_delay_alu instid0(VALU_DEP_2) | instskip(NEXT) | instid1(VALU_DEP_1)
	v_cmp_eq_u32_e64 s0, 0, v10
	v_cndmask_b32_e64 v101, v11, v7, s0
; %bb.4443:                             ;   in Loop: Header=BB448_2342 Depth=1
	s_or_b32 exec_lo, exec_lo, s13
	v_lshlrev_b32_e32 v6, 16, v6
                                        ; implicit-def: $vgpr27
	s_delay_alu instid0(VALU_DEP_1) | instskip(NEXT) | instid1(VALU_DEP_1)
	v_mul_f32_e32 v6, v147, v6
	v_and_b32_e32 v7, 0x7f800000, v6
	s_delay_alu instid0(VALU_DEP_1) | instskip(NEXT) | instid1(VALU_DEP_1)
	v_cmp_ne_u32_e64 s0, 0x7f800000, v7
	s_and_saveexec_b32 s13, s0
	s_delay_alu instid0(SALU_CYCLE_1)
	s_xor_b32 s0, exec_lo, s13
; %bb.4444:                             ;   in Loop: Header=BB448_2342 Depth=1
	v_bfe_u32 v7, v6, 16, 1
	s_delay_alu instid0(VALU_DEP_1)
	v_add3_u32 v27, v6, v7, 0x7fff
                                        ; implicit-def: $vgpr6
; %bb.4445:                             ;   in Loop: Header=BB448_2342 Depth=1
	s_and_not1_saveexec_b32 s13, s0
; %bb.4446:                             ;   in Loop: Header=BB448_2342 Depth=1
	v_and_b32_e32 v7, 0xffff, v6
	v_or_b32_e32 v10, 0x10000, v6
	s_delay_alu instid0(VALU_DEP_2) | instskip(NEXT) | instid1(VALU_DEP_1)
	v_cmp_eq_u32_e64 s0, 0, v7
	v_cndmask_b32_e64 v27, v10, v6, s0
; %bb.4447:                             ;   in Loop: Header=BB448_2342 Depth=1
	s_or_b32 exec_lo, exec_lo, s13
	v_lshlrev_b32_e32 v3, 16, v3
                                        ; implicit-def: $vgpr26
	s_delay_alu instid0(VALU_DEP_1) | instskip(NEXT) | instid1(VALU_DEP_1)
	v_mul_f32_e32 v3, v148, v3
	v_and_b32_e32 v6, 0x7f800000, v3
	s_delay_alu instid0(VALU_DEP_1) | instskip(NEXT) | instid1(VALU_DEP_1)
	v_cmp_ne_u32_e64 s0, 0x7f800000, v6
	s_and_saveexec_b32 s13, s0
	s_delay_alu instid0(SALU_CYCLE_1)
	s_xor_b32 s0, exec_lo, s13
; %bb.4448:                             ;   in Loop: Header=BB448_2342 Depth=1
	v_bfe_u32 v6, v3, 16, 1
	s_delay_alu instid0(VALU_DEP_1)
	v_add3_u32 v26, v3, v6, 0x7fff
                                        ; implicit-def: $vgpr3
; %bb.4449:                             ;   in Loop: Header=BB448_2342 Depth=1
	s_and_not1_saveexec_b32 s13, s0
; %bb.4450:                             ;   in Loop: Header=BB448_2342 Depth=1
	v_and_b32_e32 v6, 0xffff, v3
	v_or_b32_e32 v7, 0x10000, v3
	s_delay_alu instid0(VALU_DEP_2) | instskip(NEXT) | instid1(VALU_DEP_1)
	v_cmp_eq_u32_e64 s0, 0, v6
	v_cndmask_b32_e64 v26, v7, v3, s0
; %bb.4451:                             ;   in Loop: Header=BB448_2342 Depth=1
	s_or_b32 exec_lo, exec_lo, s13
	v_lshlrev_b32_e32 v2, 16, v2
                                        ; implicit-def: $vgpr14
	s_delay_alu instid0(VALU_DEP_1) | instskip(NEXT) | instid1(VALU_DEP_1)
	v_mul_f32_e32 v2, v149, v2
	v_and_b32_e32 v3, 0x7f800000, v2
	s_delay_alu instid0(VALU_DEP_1) | instskip(NEXT) | instid1(VALU_DEP_1)
	v_cmp_ne_u32_e64 s0, 0x7f800000, v3
	s_and_saveexec_b32 s13, s0
	s_delay_alu instid0(SALU_CYCLE_1)
	s_xor_b32 s0, exec_lo, s13
; %bb.4452:                             ;   in Loop: Header=BB448_2342 Depth=1
	v_bfe_u32 v3, v2, 16, 1
	s_delay_alu instid0(VALU_DEP_1)
	v_add3_u32 v14, v2, v3, 0x7fff
                                        ; implicit-def: $vgpr2
; %bb.4453:                             ;   in Loop: Header=BB448_2342 Depth=1
	s_and_not1_saveexec_b32 s13, s0
; %bb.4454:                             ;   in Loop: Header=BB448_2342 Depth=1
	v_and_b32_e32 v3, 0xffff, v2
	v_or_b32_e32 v6, 0x10000, v2
	s_delay_alu instid0(VALU_DEP_2) | instskip(NEXT) | instid1(VALU_DEP_1)
	v_cmp_eq_u32_e64 s0, 0, v3
	v_cndmask_b32_e64 v14, v6, v2, s0
; %bb.4455:                             ;   in Loop: Header=BB448_2342 Depth=1
	s_or_b32 exec_lo, exec_lo, s13
	scratch_load_b32 v2, off, s32 offset:612 ; 4-byte Folded Reload
	s_mov_b32 s13, exec_lo
	v_mov_b32_e32 v6, 0
	s_waitcnt vmcnt(0)
	v_add_co_u32 v2, s0, v0, v2
	s_delay_alu instid0(VALU_DEP_1) | instskip(SKIP_3) | instid1(VALU_DEP_1)
	v_add_co_ci_u32_e64 v3, s0, 0, v1, s0
	flat_load_b64 v[2:3], v[2:3]
	s_waitcnt vmcnt(0) lgkmcnt(0)
	v_and_b32_e32 v7, 0xff, v2
	v_cmpx_ne_u16_e32 0, v7
	s_cbranch_execz .LBB448_4463
; %bb.4456:                             ;   in Loop: Header=BB448_2342 Depth=1
	v_bfrev_b32_e32 v6, 1
	s_mov_b32 s15, exec_lo
	v_cmpx_ne_u16_e32 0x80, v7
	s_cbranch_execz .LBB448_4462
; %bb.4457:                             ;   in Loop: Header=BB448_2342 Depth=1
	v_and_b32_e32 v7, 0x7f, v2
	v_mov_b32_e32 v6, 0x7f800001
	s_mov_b32 s16, exec_lo
	s_delay_alu instid0(VALU_DEP_2)
	v_cmpx_ne_u32_e32 0x7f, v7
	s_cbranch_execz .LBB448_4461
; %bb.4458:                             ;   in Loop: Header=BB448_2342 Depth=1
	v_lshrrev_b32_e32 v10, 3, v7
	v_cmp_gt_u32_e64 s0, 8, v7
	v_dual_mov_b32 v7, v3 :: v_dual_mov_b32 v6, v2
	s_delay_alu instid0(VALU_DEP_2)
	s_and_saveexec_b32 s17, s0
; %bb.4459:                             ;   in Loop: Header=BB448_2342 Depth=1
	v_and_b32_e32 v6, 7, v2
	s_delay_alu instid0(VALU_DEP_1) | instskip(NEXT) | instid1(VALU_DEP_1)
	v_clz_i32_u32_e32 v6, v6
	v_min_u32_e32 v10, 32, v6
	s_delay_alu instid0(VALU_DEP_1) | instskip(SKIP_1) | instid1(VALU_DEP_2)
	v_subrev_nc_u32_e32 v6, 28, v10
	v_sub_nc_u32_e32 v10, 29, v10
	v_lshlrev_b64 v[6:7], v6, v[2:3]
; %bb.4460:                             ;   in Loop: Header=BB448_2342 Depth=1
	s_or_b32 exec_lo, exec_lo, s17
	s_delay_alu instid0(VALU_DEP_1) | instskip(SKIP_2) | instid1(VALU_DEP_3)
	v_lshlrev_b32_e32 v6, 20, v6
	v_lshlrev_b32_e32 v7, 24, v2
	v_lshl_add_u32 v10, v10, 23, 0x3c000000
	v_and_b32_e32 v6, 0x700000, v6
	s_delay_alu instid0(VALU_DEP_3) | instskip(NEXT) | instid1(VALU_DEP_1)
	v_and_b32_e32 v7, 0x80000000, v7
	v_or3_b32 v6, v6, v7, v10
.LBB448_4461:                           ;   in Loop: Header=BB448_2342 Depth=1
	s_or_b32 exec_lo, exec_lo, s16
.LBB448_4462:                           ;   in Loop: Header=BB448_2342 Depth=1
	s_delay_alu instid0(SALU_CYCLE_1)
	s_or_b32 exec_lo, exec_lo, s15
.LBB448_4463:                           ;   in Loop: Header=BB448_2342 Depth=1
	s_delay_alu instid0(SALU_CYCLE_1) | instskip(NEXT) | instid1(VALU_DEP_1)
	s_or_b32 exec_lo, exec_lo, s13
	v_mul_f32_e32 v6, v118, v6
                                        ; implicit-def: $vgpr10
	s_delay_alu instid0(VALU_DEP_1) | instskip(NEXT) | instid1(VALU_DEP_1)
	v_and_b32_e32 v7, 0x7f800000, v6
	v_cmp_ne_u32_e64 s0, 0x7f800000, v7
	s_delay_alu instid0(VALU_DEP_1) | instskip(NEXT) | instid1(SALU_CYCLE_1)
	s_and_saveexec_b32 s13, s0
	s_xor_b32 s0, exec_lo, s13
; %bb.4464:                             ;   in Loop: Header=BB448_2342 Depth=1
	v_bfe_u32 v7, v6, 16, 1
	s_delay_alu instid0(VALU_DEP_1)
	v_add3_u32 v10, v6, v7, 0x7fff
                                        ; implicit-def: $vgpr6
; %bb.4465:                             ;   in Loop: Header=BB448_2342 Depth=1
	s_and_not1_saveexec_b32 s13, s0
; %bb.4466:                             ;   in Loop: Header=BB448_2342 Depth=1
	v_and_b32_e32 v7, 0xffff, v6
	v_or_b32_e32 v10, 0x10000, v6
	s_delay_alu instid0(VALU_DEP_2) | instskip(NEXT) | instid1(VALU_DEP_1)
	v_cmp_eq_u32_e64 s0, 0, v7
	v_cndmask_b32_e64 v10, v10, v6, s0
; %bb.4467:                             ;   in Loop: Header=BB448_2342 Depth=1
	s_or_b32 exec_lo, exec_lo, s13
	v_lshrrev_b16 v7, 8, v2
	v_mov_b32_e32 v6, 0
	s_mov_b32 s13, exec_lo
	s_delay_alu instid0(VALU_DEP_2)
	v_cmpx_ne_u16_e32 0, v7
	s_cbranch_execz .LBB448_4475
; %bb.4468:                             ;   in Loop: Header=BB448_2342 Depth=1
	v_bfrev_b32_e32 v6, 1
	s_mov_b32 s15, exec_lo
	v_cmpx_ne_u16_e32 0x80, v7
	s_cbranch_execz .LBB448_4474
; %bb.4469:                             ;   in Loop: Header=BB448_2342 Depth=1
	v_and_b32_e32 v7, 0xffff, v7
	v_mov_b32_e32 v6, 0x7f800001
	s_mov_b32 s16, exec_lo
	s_delay_alu instid0(VALU_DEP_2) | instskip(NEXT) | instid1(VALU_DEP_1)
	v_and_b32_e32 v11, 0x7f, v7
	v_cmpx_ne_u32_e32 0x7f, v11
	s_cbranch_execz .LBB448_4473
; %bb.4470:                             ;   in Loop: Header=BB448_2342 Depth=1
	v_and_b32_e32 v12, 7, v7
	s_mov_b32 s17, exec_lo
	s_delay_alu instid0(VALU_DEP_1)
	v_dual_mov_b32 v6, v12 :: v_dual_mov_b32 v7, v13
	v_lshrrev_b32_e32 v7, 3, v11
	v_cmpx_gt_u32_e32 8, v11
; %bb.4471:                             ;   in Loop: Header=BB448_2342 Depth=1
	v_clz_i32_u32_e32 v6, v12
	s_delay_alu instid0(VALU_DEP_1) | instskip(NEXT) | instid1(VALU_DEP_1)
	v_min_u32_e32 v11, 32, v6
	v_subrev_nc_u32_e32 v6, 28, v11
	s_delay_alu instid0(VALU_DEP_1) | instskip(SKIP_1) | instid1(VALU_DEP_2)
	v_lshlrev_b64 v[6:7], v6, v[12:13]
	v_sub_nc_u32_e32 v7, 29, v11
	v_and_b32_e32 v6, 7, v6
; %bb.4472:                             ;   in Loop: Header=BB448_2342 Depth=1
	s_or_b32 exec_lo, exec_lo, s17
	v_lshlrev_b32_e32 v11, 16, v2
	s_delay_alu instid0(VALU_DEP_2) | instskip(SKIP_1) | instid1(VALU_DEP_3)
	v_lshlrev_b32_e32 v6, 20, v6
	v_lshl_add_u32 v7, v7, 23, 0x3c000000
	v_and_b32_e32 v11, 0x80000000, v11
	s_delay_alu instid0(VALU_DEP_1)
	v_or3_b32 v6, v6, v11, v7
.LBB448_4473:                           ;   in Loop: Header=BB448_2342 Depth=1
	s_or_b32 exec_lo, exec_lo, s16
.LBB448_4474:                           ;   in Loop: Header=BB448_2342 Depth=1
	s_delay_alu instid0(SALU_CYCLE_1)
	s_or_b32 exec_lo, exec_lo, s15
.LBB448_4475:                           ;   in Loop: Header=BB448_2342 Depth=1
	s_delay_alu instid0(SALU_CYCLE_1) | instskip(NEXT) | instid1(VALU_DEP_1)
	s_or_b32 exec_lo, exec_lo, s13
	v_mul_f32_e32 v6, v118, v6
                                        ; implicit-def: $vgpr11
	s_delay_alu instid0(VALU_DEP_1) | instskip(NEXT) | instid1(VALU_DEP_1)
	v_and_b32_e32 v7, 0x7f800000, v6
	v_cmp_ne_u32_e64 s0, 0x7f800000, v7
	s_delay_alu instid0(VALU_DEP_1) | instskip(NEXT) | instid1(SALU_CYCLE_1)
	s_and_saveexec_b32 s13, s0
	s_xor_b32 s0, exec_lo, s13
; %bb.4476:                             ;   in Loop: Header=BB448_2342 Depth=1
	v_bfe_u32 v7, v6, 16, 1
	s_delay_alu instid0(VALU_DEP_1)
	v_add3_u32 v11, v6, v7, 0x7fff
                                        ; implicit-def: $vgpr6
; %bb.4477:                             ;   in Loop: Header=BB448_2342 Depth=1
	s_and_not1_saveexec_b32 s13, s0
; %bb.4478:                             ;   in Loop: Header=BB448_2342 Depth=1
	v_and_b32_e32 v7, 0xffff, v6
	v_or_b32_e32 v11, 0x10000, v6
	s_delay_alu instid0(VALU_DEP_2) | instskip(NEXT) | instid1(VALU_DEP_1)
	v_cmp_eq_u32_e64 s0, 0, v7
	v_cndmask_b32_e64 v11, v11, v6, s0
; %bb.4479:                             ;   in Loop: Header=BB448_2342 Depth=1
	s_or_b32 exec_lo, exec_lo, s13
	v_lshrrev_b32_e32 v15, 16, v2
	s_mov_b32 s13, exec_lo
	s_delay_alu instid0(VALU_DEP_1) | instskip(NEXT) | instid1(VALU_DEP_1)
	v_dual_mov_b32 v6, 0 :: v_dual_and_b32 v7, 0xff, v15
	v_cmpx_ne_u16_e32 0, v7
	s_cbranch_execz .LBB448_4487
; %bb.4480:                             ;   in Loop: Header=BB448_2342 Depth=1
	v_bfrev_b32_e32 v6, 1
	s_mov_b32 s15, exec_lo
	v_cmpx_ne_u16_e32 0x80, v7
	s_cbranch_execz .LBB448_4486
; %bb.4481:                             ;   in Loop: Header=BB448_2342 Depth=1
	v_bfe_u32 v16, v2, 16, 7
	v_mov_b32_e32 v6, 0x7f800001
	s_mov_b32 s16, exec_lo
	s_delay_alu instid0(VALU_DEP_2)
	v_cmpx_ne_u32_e32 0x7f, v16
	s_cbranch_execz .LBB448_4485
; %bb.4482:                             ;   in Loop: Header=BB448_2342 Depth=1
	v_and_b32_e32 v12, 7, v15
	s_mov_b32 s17, exec_lo
	s_delay_alu instid0(VALU_DEP_1)
	v_dual_mov_b32 v6, v12 :: v_dual_mov_b32 v7, v13
	v_lshrrev_b32_e32 v7, 3, v16
	v_cmpx_gt_u32_e32 8, v16
; %bb.4483:                             ;   in Loop: Header=BB448_2342 Depth=1
	v_clz_i32_u32_e32 v6, v12
	s_delay_alu instid0(VALU_DEP_1) | instskip(NEXT) | instid1(VALU_DEP_1)
	v_min_u32_e32 v16, 32, v6
	v_subrev_nc_u32_e32 v6, 28, v16
	s_delay_alu instid0(VALU_DEP_1) | instskip(SKIP_1) | instid1(VALU_DEP_2)
	v_lshlrev_b64 v[6:7], v6, v[12:13]
	v_sub_nc_u32_e32 v7, 29, v16
	v_and_b32_e32 v6, 7, v6
; %bb.4484:                             ;   in Loop: Header=BB448_2342 Depth=1
	s_or_b32 exec_lo, exec_lo, s17
	v_lshlrev_b32_e32 v12, 24, v15
	s_delay_alu instid0(VALU_DEP_2) | instskip(SKIP_1) | instid1(VALU_DEP_3)
	v_lshlrev_b32_e32 v6, 20, v6
	v_lshl_add_u32 v7, v7, 23, 0x3c000000
	v_and_b32_e32 v12, 0x80000000, v12
	s_delay_alu instid0(VALU_DEP_1)
	v_or3_b32 v6, v6, v12, v7
.LBB448_4485:                           ;   in Loop: Header=BB448_2342 Depth=1
	s_or_b32 exec_lo, exec_lo, s16
.LBB448_4486:                           ;   in Loop: Header=BB448_2342 Depth=1
	s_delay_alu instid0(SALU_CYCLE_1)
	s_or_b32 exec_lo, exec_lo, s15
.LBB448_4487:                           ;   in Loop: Header=BB448_2342 Depth=1
	s_delay_alu instid0(SALU_CYCLE_1) | instskip(NEXT) | instid1(VALU_DEP_1)
	s_or_b32 exec_lo, exec_lo, s13
	v_mul_f32_e32 v6, v118, v6
                                        ; implicit-def: $vgpr15
	s_delay_alu instid0(VALU_DEP_1) | instskip(NEXT) | instid1(VALU_DEP_1)
	v_and_b32_e32 v7, 0x7f800000, v6
	v_cmp_ne_u32_e64 s0, 0x7f800000, v7
	s_delay_alu instid0(VALU_DEP_1) | instskip(NEXT) | instid1(SALU_CYCLE_1)
	s_and_saveexec_b32 s13, s0
	s_xor_b32 s0, exec_lo, s13
; %bb.4488:                             ;   in Loop: Header=BB448_2342 Depth=1
	v_bfe_u32 v7, v6, 16, 1
	s_delay_alu instid0(VALU_DEP_1)
	v_add3_u32 v15, v6, v7, 0x7fff
                                        ; implicit-def: $vgpr6
; %bb.4489:                             ;   in Loop: Header=BB448_2342 Depth=1
	s_and_not1_saveexec_b32 s13, s0
; %bb.4490:                             ;   in Loop: Header=BB448_2342 Depth=1
	v_and_b32_e32 v7, 0xffff, v6
	v_or_b32_e32 v12, 0x10000, v6
	s_delay_alu instid0(VALU_DEP_2) | instskip(NEXT) | instid1(VALU_DEP_1)
	v_cmp_eq_u32_e64 s0, 0, v7
	v_cndmask_b32_e64 v15, v12, v6, s0
; %bb.4491:                             ;   in Loop: Header=BB448_2342 Depth=1
	s_or_b32 exec_lo, exec_lo, s13
	v_mov_b32_e32 v6, 0
	s_mov_b32 s13, exec_lo
	v_cmpx_lt_u32_e32 0xffffff, v2
	s_cbranch_execz .LBB448_4499
; %bb.4492:                             ;   in Loop: Header=BB448_2342 Depth=1
	v_lshrrev_b32_e32 v16, 24, v2
	v_bfrev_b32_e32 v6, 1
	s_mov_b32 s15, exec_lo
	s_delay_alu instid0(VALU_DEP_2)
	v_cmpx_ne_u32_e32 0x80, v16
	s_cbranch_execz .LBB448_4498
; %bb.4493:                             ;   in Loop: Header=BB448_2342 Depth=1
	v_bfe_u32 v18, v2, 24, 7
	v_mov_b32_e32 v6, 0x7f800001
	s_mov_b32 s16, exec_lo
	s_delay_alu instid0(VALU_DEP_2)
	v_cmpx_ne_u32_e32 0x7f, v18
	s_cbranch_execz .LBB448_4497
; %bb.4494:                             ;   in Loop: Header=BB448_2342 Depth=1
	v_and_b32_e32 v12, 7, v16
	s_mov_b32 s17, exec_lo
	s_delay_alu instid0(VALU_DEP_1)
	v_dual_mov_b32 v6, v12 :: v_dual_mov_b32 v7, v13
	v_lshrrev_b32_e32 v7, 3, v18
	v_cmpx_gt_u32_e32 8, v18
; %bb.4495:                             ;   in Loop: Header=BB448_2342 Depth=1
	v_clz_i32_u32_e32 v6, v12
	s_delay_alu instid0(VALU_DEP_1) | instskip(NEXT) | instid1(VALU_DEP_1)
	v_min_u32_e32 v18, 32, v6
	v_subrev_nc_u32_e32 v6, 28, v18
	s_delay_alu instid0(VALU_DEP_1) | instskip(SKIP_1) | instid1(VALU_DEP_2)
	v_lshlrev_b64 v[6:7], v6, v[12:13]
	v_sub_nc_u32_e32 v7, 29, v18
	v_and_b32_e32 v6, 7, v6
; %bb.4496:                             ;   in Loop: Header=BB448_2342 Depth=1
	s_or_b32 exec_lo, exec_lo, s17
	v_lshlrev_b32_e32 v12, 24, v16
	s_delay_alu instid0(VALU_DEP_2) | instskip(SKIP_1) | instid1(VALU_DEP_3)
	v_lshlrev_b32_e32 v6, 20, v6
	v_lshl_add_u32 v7, v7, 23, 0x3c000000
	v_and_b32_e32 v12, 0x80000000, v12
	s_delay_alu instid0(VALU_DEP_1)
	v_or3_b32 v6, v6, v12, v7
.LBB448_4497:                           ;   in Loop: Header=BB448_2342 Depth=1
	s_or_b32 exec_lo, exec_lo, s16
.LBB448_4498:                           ;   in Loop: Header=BB448_2342 Depth=1
	s_delay_alu instid0(SALU_CYCLE_1)
	s_or_b32 exec_lo, exec_lo, s15
.LBB448_4499:                           ;   in Loop: Header=BB448_2342 Depth=1
	s_delay_alu instid0(SALU_CYCLE_1) | instskip(NEXT) | instid1(VALU_DEP_1)
	s_or_b32 exec_lo, exec_lo, s13
	v_mul_f32_e32 v6, v118, v6
                                        ; implicit-def: $vgpr16
	s_delay_alu instid0(VALU_DEP_1) | instskip(NEXT) | instid1(VALU_DEP_1)
	v_and_b32_e32 v7, 0x7f800000, v6
	v_cmp_ne_u32_e64 s0, 0x7f800000, v7
	s_delay_alu instid0(VALU_DEP_1) | instskip(NEXT) | instid1(SALU_CYCLE_1)
	s_and_saveexec_b32 s13, s0
	s_xor_b32 s0, exec_lo, s13
; %bb.4500:                             ;   in Loop: Header=BB448_2342 Depth=1
	v_bfe_u32 v7, v6, 16, 1
	s_delay_alu instid0(VALU_DEP_1)
	v_add3_u32 v16, v6, v7, 0x7fff
                                        ; implicit-def: $vgpr6
; %bb.4501:                             ;   in Loop: Header=BB448_2342 Depth=1
	s_and_not1_saveexec_b32 s13, s0
; %bb.4502:                             ;   in Loop: Header=BB448_2342 Depth=1
	v_and_b32_e32 v7, 0xffff, v6
	v_or_b32_e32 v12, 0x10000, v6
	s_delay_alu instid0(VALU_DEP_2) | instskip(NEXT) | instid1(VALU_DEP_1)
	v_cmp_eq_u32_e64 s0, 0, v7
	v_cndmask_b32_e64 v16, v12, v6, s0
; %bb.4503:                             ;   in Loop: Header=BB448_2342 Depth=1
	s_or_b32 exec_lo, exec_lo, s13
	v_dual_mov_b32 v12, v3 :: v_dual_and_b32 v7, 0xff, v3
	v_mov_b32_e32 v6, 0
	s_mov_b32 s13, exec_lo
	s_delay_alu instid0(VALU_DEP_2)
	v_cmpx_ne_u16_e32 0, v7
	s_cbranch_execz .LBB448_4511
; %bb.4504:                             ;   in Loop: Header=BB448_2342 Depth=1
	v_bfrev_b32_e32 v6, 1
	s_mov_b32 s15, exec_lo
	v_cmpx_ne_u16_e32 0x80, v7
	s_cbranch_execz .LBB448_4510
; %bb.4505:                             ;   in Loop: Header=BB448_2342 Depth=1
	v_and_b32_e32 v18, 0x7f, v3
	v_mov_b32_e32 v6, 0x7f800001
	s_mov_b32 s16, exec_lo
	s_delay_alu instid0(VALU_DEP_2)
	v_cmpx_ne_u32_e32 0x7f, v18
	s_cbranch_execz .LBB448_4509
; %bb.4506:                             ;   in Loop: Header=BB448_2342 Depth=1
	v_dual_mov_b32 v6, v12 :: v_dual_mov_b32 v7, v13
	v_lshrrev_b32_e32 v7, 3, v18
	s_mov_b32 s17, exec_lo
	v_cmpx_gt_u32_e32 8, v18
; %bb.4507:                             ;   in Loop: Header=BB448_2342 Depth=1
	v_and_b32_e32 v6, 7, v3
	s_delay_alu instid0(VALU_DEP_1) | instskip(NEXT) | instid1(VALU_DEP_1)
	v_clz_i32_u32_e32 v6, v6
	v_min_u32_e32 v18, 32, v6
	s_delay_alu instid0(VALU_DEP_1) | instskip(NEXT) | instid1(VALU_DEP_1)
	v_subrev_nc_u32_e32 v6, 28, v18
	v_lshlrev_b64 v[6:7], v6, v[12:13]
	v_sub_nc_u32_e32 v7, 29, v18
; %bb.4508:                             ;   in Loop: Header=BB448_2342 Depth=1
	s_or_b32 exec_lo, exec_lo, s17
	s_delay_alu instid0(VALU_DEP_2) | instskip(SKIP_1) | instid1(VALU_DEP_3)
	v_lshlrev_b32_e32 v6, 20, v6
	v_lshlrev_b32_e32 v18, 24, v12
	v_lshl_add_u32 v7, v7, 23, 0x3c000000
	s_delay_alu instid0(VALU_DEP_3) | instskip(NEXT) | instid1(VALU_DEP_3)
	v_and_b32_e32 v6, 0x700000, v6
	v_and_b32_e32 v18, 0x80000000, v18
	s_delay_alu instid0(VALU_DEP_1)
	v_or3_b32 v6, v6, v18, v7
.LBB448_4509:                           ;   in Loop: Header=BB448_2342 Depth=1
	s_or_b32 exec_lo, exec_lo, s16
.LBB448_4510:                           ;   in Loop: Header=BB448_2342 Depth=1
	s_delay_alu instid0(SALU_CYCLE_1)
	s_or_b32 exec_lo, exec_lo, s15
.LBB448_4511:                           ;   in Loop: Header=BB448_2342 Depth=1
	s_delay_alu instid0(SALU_CYCLE_1) | instskip(NEXT) | instid1(VALU_DEP_1)
	s_or_b32 exec_lo, exec_lo, s13
	v_mul_f32_e32 v6, v118, v6
                                        ; implicit-def: $vgpr18
	s_delay_alu instid0(VALU_DEP_1) | instskip(NEXT) | instid1(VALU_DEP_1)
	v_and_b32_e32 v7, 0x7f800000, v6
	v_cmp_ne_u32_e64 s0, 0x7f800000, v7
	s_delay_alu instid0(VALU_DEP_1) | instskip(NEXT) | instid1(SALU_CYCLE_1)
	s_and_saveexec_b32 s13, s0
	s_xor_b32 s0, exec_lo, s13
; %bb.4512:                             ;   in Loop: Header=BB448_2342 Depth=1
	v_bfe_u32 v7, v6, 16, 1
	s_delay_alu instid0(VALU_DEP_1)
	v_add3_u32 v18, v6, v7, 0x7fff
                                        ; implicit-def: $vgpr6
; %bb.4513:                             ;   in Loop: Header=BB448_2342 Depth=1
	s_and_not1_saveexec_b32 s13, s0
; %bb.4514:                             ;   in Loop: Header=BB448_2342 Depth=1
	v_and_b32_e32 v7, 0xffff, v6
	v_or_b32_e32 v18, 0x10000, v6
	s_delay_alu instid0(VALU_DEP_2) | instskip(NEXT) | instid1(VALU_DEP_1)
	v_cmp_eq_u32_e64 s0, 0, v7
	v_cndmask_b32_e64 v18, v18, v6, s0
; %bb.4515:                             ;   in Loop: Header=BB448_2342 Depth=1
	s_or_b32 exec_lo, exec_lo, s13
	v_lshrrev_b16 v7, 8, v12
	v_mov_b32_e32 v6, 0
	s_mov_b32 s13, exec_lo
	s_delay_alu instid0(VALU_DEP_2)
	v_cmpx_ne_u16_e32 0, v7
	s_cbranch_execz .LBB448_4523
; %bb.4516:                             ;   in Loop: Header=BB448_2342 Depth=1
	v_bfrev_b32_e32 v6, 1
	s_mov_b32 s15, exec_lo
	v_cmpx_ne_u16_e32 0x80, v7
	s_cbranch_execz .LBB448_4522
; %bb.4517:                             ;   in Loop: Header=BB448_2342 Depth=1
	v_and_b32_e32 v7, 0xffff, v7
	v_mov_b32_e32 v6, 0x7f800001
	s_mov_b32 s16, exec_lo
	s_delay_alu instid0(VALU_DEP_2) | instskip(NEXT) | instid1(VALU_DEP_1)
	v_and_b32_e32 v20, 0x7f, v7
	v_cmpx_ne_u32_e32 0x7f, v20
	s_cbranch_execz .LBB448_4521
; %bb.4518:                             ;   in Loop: Header=BB448_2342 Depth=1
	v_dual_mov_b32 v7, v13 :: v_dual_and_b32 v6, 7, v7
	v_lshrrev_b32_e32 v19, 3, v20
	s_mov_b32 s17, exec_lo
	v_cmpx_gt_u32_e32 8, v20
; %bb.4519:                             ;   in Loop: Header=BB448_2342 Depth=1
	s_delay_alu instid0(VALU_DEP_3) | instskip(NEXT) | instid1(VALU_DEP_1)
	v_clz_i32_u32_e32 v19, v6
	v_min_u32_e32 v19, 32, v19
	s_delay_alu instid0(VALU_DEP_1) | instskip(SKIP_1) | instid1(VALU_DEP_2)
	v_subrev_nc_u32_e32 v20, 28, v19
	v_sub_nc_u32_e32 v19, 29, v19
	v_lshlrev_b64 v[6:7], v20, v[6:7]
	s_delay_alu instid0(VALU_DEP_1)
	v_and_b32_e32 v6, 7, v6
; %bb.4520:                             ;   in Loop: Header=BB448_2342 Depth=1
	s_or_b32 exec_lo, exec_lo, s17
	v_lshlrev_b32_e32 v7, 16, v12
	s_delay_alu instid0(VALU_DEP_2) | instskip(SKIP_1) | instid1(VALU_DEP_3)
	v_lshlrev_b32_e32 v6, 20, v6
	v_lshl_add_u32 v12, v19, 23, 0x3c000000
	v_and_b32_e32 v7, 0x80000000, v7
	s_delay_alu instid0(VALU_DEP_1)
	v_or3_b32 v6, v6, v7, v12
.LBB448_4521:                           ;   in Loop: Header=BB448_2342 Depth=1
	s_or_b32 exec_lo, exec_lo, s16
.LBB448_4522:                           ;   in Loop: Header=BB448_2342 Depth=1
	s_delay_alu instid0(SALU_CYCLE_1)
	s_or_b32 exec_lo, exec_lo, s15
.LBB448_4523:                           ;   in Loop: Header=BB448_2342 Depth=1
	s_delay_alu instid0(SALU_CYCLE_1) | instskip(NEXT) | instid1(VALU_DEP_1)
	s_or_b32 exec_lo, exec_lo, s13
	v_mul_f32_e32 v6, v118, v6
                                        ; implicit-def: $vgpr19
	s_delay_alu instid0(VALU_DEP_1) | instskip(NEXT) | instid1(VALU_DEP_1)
	v_and_b32_e32 v7, 0x7f800000, v6
	v_cmp_ne_u32_e64 s0, 0x7f800000, v7
	s_delay_alu instid0(VALU_DEP_1) | instskip(NEXT) | instid1(SALU_CYCLE_1)
	s_and_saveexec_b32 s13, s0
	s_xor_b32 s0, exec_lo, s13
; %bb.4524:                             ;   in Loop: Header=BB448_2342 Depth=1
	v_bfe_u32 v7, v6, 16, 1
	s_delay_alu instid0(VALU_DEP_1)
	v_add3_u32 v19, v6, v7, 0x7fff
                                        ; implicit-def: $vgpr6
; %bb.4525:                             ;   in Loop: Header=BB448_2342 Depth=1
	s_and_not1_saveexec_b32 s13, s0
; %bb.4526:                             ;   in Loop: Header=BB448_2342 Depth=1
	v_and_b32_e32 v7, 0xffff, v6
	v_or_b32_e32 v12, 0x10000, v6
	s_delay_alu instid0(VALU_DEP_2) | instskip(NEXT) | instid1(VALU_DEP_1)
	v_cmp_eq_u32_e64 s0, 0, v7
	v_cndmask_b32_e64 v19, v12, v6, s0
; %bb.4527:                             ;   in Loop: Header=BB448_2342 Depth=1
	s_or_b32 exec_lo, exec_lo, s13
	v_lshrrev_b32_e32 v20, 16, v3
	s_mov_b32 s13, exec_lo
	s_delay_alu instid0(VALU_DEP_1) | instskip(NEXT) | instid1(VALU_DEP_1)
	v_dual_mov_b32 v6, 0 :: v_dual_and_b32 v7, 0xff, v20
	v_cmpx_ne_u16_e32 0, v7
	s_cbranch_execz .LBB448_4535
; %bb.4528:                             ;   in Loop: Header=BB448_2342 Depth=1
	v_bfrev_b32_e32 v6, 1
	s_mov_b32 s15, exec_lo
	v_cmpx_ne_u16_e32 0x80, v7
	s_cbranch_execz .LBB448_4534
; %bb.4529:                             ;   in Loop: Header=BB448_2342 Depth=1
	v_bfe_u32 v21, v3, 16, 7
	v_mov_b32_e32 v6, 0x7f800001
	s_mov_b32 s16, exec_lo
	s_delay_alu instid0(VALU_DEP_2)
	v_cmpx_ne_u32_e32 0x7f, v21
	s_cbranch_execz .LBB448_4533
; %bb.4530:                             ;   in Loop: Header=BB448_2342 Depth=1
	v_and_b32_e32 v12, 7, v20
	s_mov_b32 s17, exec_lo
	s_delay_alu instid0(VALU_DEP_1)
	v_dual_mov_b32 v6, v12 :: v_dual_mov_b32 v7, v13
	v_lshrrev_b32_e32 v7, 3, v21
	v_cmpx_gt_u32_e32 8, v21
; %bb.4531:                             ;   in Loop: Header=BB448_2342 Depth=1
	v_clz_i32_u32_e32 v6, v12
	s_delay_alu instid0(VALU_DEP_1) | instskip(NEXT) | instid1(VALU_DEP_1)
	v_min_u32_e32 v21, 32, v6
	v_subrev_nc_u32_e32 v6, 28, v21
	s_delay_alu instid0(VALU_DEP_1) | instskip(SKIP_1) | instid1(VALU_DEP_2)
	v_lshlrev_b64 v[6:7], v6, v[12:13]
	v_sub_nc_u32_e32 v7, 29, v21
	v_and_b32_e32 v6, 7, v6
; %bb.4532:                             ;   in Loop: Header=BB448_2342 Depth=1
	s_or_b32 exec_lo, exec_lo, s17
	v_lshlrev_b32_e32 v12, 24, v20
	s_delay_alu instid0(VALU_DEP_2) | instskip(SKIP_1) | instid1(VALU_DEP_3)
	v_lshlrev_b32_e32 v6, 20, v6
	v_lshl_add_u32 v7, v7, 23, 0x3c000000
	v_and_b32_e32 v12, 0x80000000, v12
	s_delay_alu instid0(VALU_DEP_1)
	v_or3_b32 v6, v6, v12, v7
.LBB448_4533:                           ;   in Loop: Header=BB448_2342 Depth=1
	s_or_b32 exec_lo, exec_lo, s16
.LBB448_4534:                           ;   in Loop: Header=BB448_2342 Depth=1
	s_delay_alu instid0(SALU_CYCLE_1)
	s_or_b32 exec_lo, exec_lo, s15
.LBB448_4535:                           ;   in Loop: Header=BB448_2342 Depth=1
	s_delay_alu instid0(SALU_CYCLE_1) | instskip(NEXT) | instid1(VALU_DEP_1)
	s_or_b32 exec_lo, exec_lo, s13
	v_mul_f32_e32 v6, v118, v6
                                        ; implicit-def: $vgpr20
	s_delay_alu instid0(VALU_DEP_1) | instskip(NEXT) | instid1(VALU_DEP_1)
	v_and_b32_e32 v7, 0x7f800000, v6
	v_cmp_ne_u32_e64 s0, 0x7f800000, v7
	s_delay_alu instid0(VALU_DEP_1) | instskip(NEXT) | instid1(SALU_CYCLE_1)
	s_and_saveexec_b32 s13, s0
	s_xor_b32 s0, exec_lo, s13
; %bb.4536:                             ;   in Loop: Header=BB448_2342 Depth=1
	v_bfe_u32 v7, v6, 16, 1
	s_delay_alu instid0(VALU_DEP_1)
	v_add3_u32 v20, v6, v7, 0x7fff
                                        ; implicit-def: $vgpr6
; %bb.4537:                             ;   in Loop: Header=BB448_2342 Depth=1
	s_and_not1_saveexec_b32 s13, s0
; %bb.4538:                             ;   in Loop: Header=BB448_2342 Depth=1
	v_and_b32_e32 v7, 0xffff, v6
	v_or_b32_e32 v12, 0x10000, v6
	s_delay_alu instid0(VALU_DEP_2) | instskip(NEXT) | instid1(VALU_DEP_1)
	v_cmp_eq_u32_e64 s0, 0, v7
	v_cndmask_b32_e64 v20, v12, v6, s0
; %bb.4539:                             ;   in Loop: Header=BB448_2342 Depth=1
	s_or_b32 exec_lo, exec_lo, s13
	v_cmp_lt_u64_e64 s0, s[8:9], v[2:3]
	v_mov_b32_e32 v2, 0
	s_delay_alu instid0(VALU_DEP_2)
	s_and_saveexec_b32 s13, s0
	s_cbranch_execz .LBB448_4547
; %bb.4540:                             ;   in Loop: Header=BB448_2342 Depth=1
	v_lshrrev_b32_e32 v6, 24, v3
	v_bfrev_b32_e32 v2, 1
	s_mov_b32 s15, exec_lo
	s_delay_alu instid0(VALU_DEP_2)
	v_cmpx_ne_u32_e32 0x80, v6
	s_cbranch_execz .LBB448_4546
; %bb.4541:                             ;   in Loop: Header=BB448_2342 Depth=1
	v_bfe_u32 v7, v3, 24, 7
	v_mov_b32_e32 v2, 0x7f800001
	s_mov_b32 s16, exec_lo
	s_delay_alu instid0(VALU_DEP_2)
	v_cmpx_ne_u32_e32 0x7f, v7
	s_cbranch_execz .LBB448_4545
; %bb.4542:                             ;   in Loop: Header=BB448_2342 Depth=1
	v_and_b32_e32 v12, 7, v6
	s_mov_b32 s17, exec_lo
	s_delay_alu instid0(VALU_DEP_1)
	v_dual_mov_b32 v2, v12 :: v_dual_mov_b32 v3, v13
	v_lshrrev_b32_e32 v3, 3, v7
	v_cmpx_gt_u32_e32 8, v7
; %bb.4543:                             ;   in Loop: Header=BB448_2342 Depth=1
	v_clz_i32_u32_e32 v2, v12
	s_delay_alu instid0(VALU_DEP_1) | instskip(NEXT) | instid1(VALU_DEP_1)
	v_min_u32_e32 v7, 32, v2
	v_subrev_nc_u32_e32 v2, 28, v7
	s_delay_alu instid0(VALU_DEP_1) | instskip(SKIP_1) | instid1(VALU_DEP_2)
	v_lshlrev_b64 v[2:3], v2, v[12:13]
	v_sub_nc_u32_e32 v3, 29, v7
	v_and_b32_e32 v2, 7, v2
; %bb.4544:                             ;   in Loop: Header=BB448_2342 Depth=1
	s_or_b32 exec_lo, exec_lo, s17
	v_lshlrev_b32_e32 v6, 24, v6
	s_delay_alu instid0(VALU_DEP_2) | instskip(SKIP_1) | instid1(VALU_DEP_3)
	v_lshlrev_b32_e32 v2, 20, v2
	v_lshl_add_u32 v3, v3, 23, 0x3c000000
	v_and_b32_e32 v6, 0x80000000, v6
	s_delay_alu instid0(VALU_DEP_1)
	v_or3_b32 v2, v2, v6, v3
.LBB448_4545:                           ;   in Loop: Header=BB448_2342 Depth=1
	s_or_b32 exec_lo, exec_lo, s16
.LBB448_4546:                           ;   in Loop: Header=BB448_2342 Depth=1
	s_delay_alu instid0(SALU_CYCLE_1)
	s_or_b32 exec_lo, exec_lo, s15
.LBB448_4547:                           ;   in Loop: Header=BB448_2342 Depth=1
	s_delay_alu instid0(SALU_CYCLE_1) | instskip(NEXT) | instid1(VALU_DEP_1)
	s_or_b32 exec_lo, exec_lo, s13
	v_mul_f32_e32 v3, v118, v2
	s_delay_alu instid0(VALU_DEP_1) | instskip(NEXT) | instid1(VALU_DEP_1)
	v_and_b32_e32 v2, 0x7f800000, v3
	v_cmp_ne_u32_e64 s0, 0x7f800000, v2
                                        ; implicit-def: $vgpr2
	s_delay_alu instid0(VALU_DEP_1) | instskip(NEXT) | instid1(SALU_CYCLE_1)
	s_and_saveexec_b32 s13, s0
	s_xor_b32 s0, exec_lo, s13
; %bb.4548:                             ;   in Loop: Header=BB448_2342 Depth=1
	v_bfe_u32 v2, v3, 16, 1
	s_delay_alu instid0(VALU_DEP_1)
	v_add3_u32 v2, v3, v2, 0x7fff
                                        ; implicit-def: $vgpr3
; %bb.4549:                             ;   in Loop: Header=BB448_2342 Depth=1
	s_and_not1_saveexec_b32 s13, s0
; %bb.4550:                             ;   in Loop: Header=BB448_2342 Depth=1
	v_and_b32_e32 v2, 0xffff, v3
	v_or_b32_e32 v6, 0x10000, v3
	s_delay_alu instid0(VALU_DEP_2) | instskip(NEXT) | instid1(VALU_DEP_1)
	v_cmp_eq_u32_e64 s0, 0, v2
	v_cndmask_b32_e64 v2, v6, v3, s0
; %bb.4551:                             ;   in Loop: Header=BB448_2342 Depth=1
	s_or_b32 exec_lo, exec_lo, s13
	v_lshrrev_b32_e32 v6, 16, v19
	v_lshrrev_b32_e32 v7, 16, v18
	;; [unrolled: 1-line block ×8, first 2 shown]
	s_and_saveexec_b32 s13, vcc_lo
	s_cbranch_execz .LBB448_4553
; %bb.4552:                             ;   in Loop: Header=BB448_2342 Depth=1
	v_cmp_lt_i32_e64 s0, v102, v36
	s_delay_alu instid0(VALU_DEP_1) | instskip(SKIP_1) | instid1(VALU_DEP_1)
	v_cndmask_b32_e64 v10, 0, v10, s0
	v_cmp_lt_i32_e64 s0, v133, v36
	v_cndmask_b32_e64 v11, 0, v11, s0
	v_cmp_lt_i32_e64 s0, v132, v36
	s_delay_alu instid0(VALU_DEP_1) | instskip(SKIP_1) | instid1(VALU_DEP_1)
	v_cndmask_b32_e64 v16, 0, v16, s0
	v_cmp_lt_i32_e64 s0, v131, v36
	v_cndmask_b32_e64 v12, 0, v12, s0
	;; [unrolled: 5-line block ×4, first 2 shown]
.LBB448_4553:                           ;   in Loop: Header=BB448_2342 Depth=1
	s_or_b32 exec_lo, exec_lo, s13
	v_lshlrev_b32_e32 v10, 16, v10
	s_delay_alu instid0(VALU_DEP_1) | instskip(NEXT) | instid1(VALU_DEP_1)
	v_mul_f32_e32 v10, v134, v10
	v_and_b32_e32 v15, 0x7f800000, v10
	s_delay_alu instid0(VALU_DEP_1) | instskip(NEXT) | instid1(VALU_DEP_1)
	v_cmp_ne_u32_e64 s0, 0x7f800000, v15
                                        ; implicit-def: $vgpr15
	s_and_saveexec_b32 s13, s0
	s_delay_alu instid0(SALU_CYCLE_1)
	s_xor_b32 s0, exec_lo, s13
; %bb.4554:                             ;   in Loop: Header=BB448_2342 Depth=1
	v_bfe_u32 v15, v10, 16, 1
	s_delay_alu instid0(VALU_DEP_1)
	v_add3_u32 v15, v10, v15, 0x7fff
                                        ; implicit-def: $vgpr10
; %bb.4555:                             ;   in Loop: Header=BB448_2342 Depth=1
	s_and_not1_saveexec_b32 s13, s0
; %bb.4556:                             ;   in Loop: Header=BB448_2342 Depth=1
	v_and_b32_e32 v15, 0xffff, v10
	v_or_b32_e32 v18, 0x10000, v10
	s_delay_alu instid0(VALU_DEP_2) | instskip(NEXT) | instid1(VALU_DEP_1)
	v_cmp_eq_u32_e64 s0, 0, v15
	v_cndmask_b32_e64 v15, v18, v10, s0
; %bb.4557:                             ;   in Loop: Header=BB448_2342 Depth=1
	s_or_b32 exec_lo, exec_lo, s13
	v_lshlrev_b32_e32 v10, 16, v11
                                        ; implicit-def: $vgpr50
	s_delay_alu instid0(VALU_DEP_1) | instskip(NEXT) | instid1(VALU_DEP_1)
	v_mul_f32_e32 v10, v135, v10
	v_and_b32_e32 v11, 0x7f800000, v10
	s_delay_alu instid0(VALU_DEP_1) | instskip(NEXT) | instid1(VALU_DEP_1)
	v_cmp_ne_u32_e64 s0, 0x7f800000, v11
	s_and_saveexec_b32 s13, s0
	s_delay_alu instid0(SALU_CYCLE_1)
	s_xor_b32 s0, exec_lo, s13
; %bb.4558:                             ;   in Loop: Header=BB448_2342 Depth=1
	v_bfe_u32 v11, v10, 16, 1
	s_delay_alu instid0(VALU_DEP_1)
	v_add3_u32 v50, v10, v11, 0x7fff
                                        ; implicit-def: $vgpr10
; %bb.4559:                             ;   in Loop: Header=BB448_2342 Depth=1
	s_and_not1_saveexec_b32 s13, s0
; %bb.4560:                             ;   in Loop: Header=BB448_2342 Depth=1
	v_and_b32_e32 v11, 0xffff, v10
	v_or_b32_e32 v18, 0x10000, v10
	s_delay_alu instid0(VALU_DEP_2) | instskip(NEXT) | instid1(VALU_DEP_1)
	v_cmp_eq_u32_e64 s0, 0, v11
	v_cndmask_b32_e64 v50, v18, v10, s0
; %bb.4561:                             ;   in Loop: Header=BB448_2342 Depth=1
	s_or_b32 exec_lo, exec_lo, s13
	v_lshlrev_b32_e32 v10, 16, v16
	s_delay_alu instid0(VALU_DEP_1) | instskip(NEXT) | instid1(VALU_DEP_1)
	v_mul_f32_e32 v11, v144, v10
	v_and_b32_e32 v10, 0x7f800000, v11
	s_delay_alu instid0(VALU_DEP_1) | instskip(NEXT) | instid1(VALU_DEP_1)
	v_cmp_ne_u32_e64 s0, 0x7f800000, v10
                                        ; implicit-def: $vgpr10
	s_and_saveexec_b32 s13, s0
	s_delay_alu instid0(SALU_CYCLE_1)
	s_xor_b32 s0, exec_lo, s13
; %bb.4562:                             ;   in Loop: Header=BB448_2342 Depth=1
	v_bfe_u32 v10, v11, 16, 1
	s_delay_alu instid0(VALU_DEP_1)
	v_add3_u32 v10, v11, v10, 0x7fff
                                        ; implicit-def: $vgpr11
; %bb.4563:                             ;   in Loop: Header=BB448_2342 Depth=1
	s_and_not1_saveexec_b32 s13, s0
; %bb.4564:                             ;   in Loop: Header=BB448_2342 Depth=1
	v_and_b32_e32 v10, 0xffff, v11
	v_or_b32_e32 v16, 0x10000, v11
	s_delay_alu instid0(VALU_DEP_2) | instskip(NEXT) | instid1(VALU_DEP_1)
	v_cmp_eq_u32_e64 s0, 0, v10
	v_cndmask_b32_e64 v10, v16, v11, s0
; %bb.4565:                             ;   in Loop: Header=BB448_2342 Depth=1
	s_or_b32 exec_lo, exec_lo, s13
	v_lshlrev_b32_e32 v11, 16, v12
	s_delay_alu instid0(VALU_DEP_1) | instskip(NEXT) | instid1(VALU_DEP_1)
	v_mul_f32_e32 v12, v145, v11
	v_and_b32_e32 v11, 0x7f800000, v12
	s_delay_alu instid0(VALU_DEP_1) | instskip(NEXT) | instid1(VALU_DEP_1)
	v_cmp_ne_u32_e64 s0, 0x7f800000, v11
                                        ; implicit-def: $vgpr11
	s_and_saveexec_b32 s13, s0
	s_delay_alu instid0(SALU_CYCLE_1)
	s_xor_b32 s0, exec_lo, s13
; %bb.4566:                             ;   in Loop: Header=BB448_2342 Depth=1
	v_bfe_u32 v11, v12, 16, 1
	s_delay_alu instid0(VALU_DEP_1)
	v_add3_u32 v11, v12, v11, 0x7fff
                                        ; implicit-def: $vgpr12
; %bb.4567:                             ;   in Loop: Header=BB448_2342 Depth=1
	s_and_not1_saveexec_b32 s13, s0
; %bb.4568:                             ;   in Loop: Header=BB448_2342 Depth=1
	v_and_b32_e32 v11, 0xffff, v12
	v_or_b32_e32 v16, 0x10000, v12
	s_delay_alu instid0(VALU_DEP_2) | instskip(NEXT) | instid1(VALU_DEP_1)
	v_cmp_eq_u32_e64 s0, 0, v11
	v_cndmask_b32_e64 v11, v16, v12, s0
; %bb.4569:                             ;   in Loop: Header=BB448_2342 Depth=1
	s_or_b32 exec_lo, exec_lo, s13
	v_lshlrev_b32_e32 v7, 16, v7
                                        ; implicit-def: $vgpr48
	s_delay_alu instid0(VALU_DEP_1) | instskip(NEXT) | instid1(VALU_DEP_1)
	v_mul_f32_e32 v7, v146, v7
	v_and_b32_e32 v12, 0x7f800000, v7
	s_delay_alu instid0(VALU_DEP_1) | instskip(NEXT) | instid1(VALU_DEP_1)
	v_cmp_ne_u32_e64 s0, 0x7f800000, v12
	s_and_saveexec_b32 s13, s0
	s_delay_alu instid0(SALU_CYCLE_1)
	s_xor_b32 s0, exec_lo, s13
; %bb.4570:                             ;   in Loop: Header=BB448_2342 Depth=1
	v_bfe_u32 v12, v7, 16, 1
	s_delay_alu instid0(VALU_DEP_1)
	v_add3_u32 v48, v7, v12, 0x7fff
                                        ; implicit-def: $vgpr7
; %bb.4571:                             ;   in Loop: Header=BB448_2342 Depth=1
	s_and_not1_saveexec_b32 s13, s0
; %bb.4572:                             ;   in Loop: Header=BB448_2342 Depth=1
	v_and_b32_e32 v12, 0xffff, v7
	v_or_b32_e32 v16, 0x10000, v7
	s_delay_alu instid0(VALU_DEP_2) | instskip(NEXT) | instid1(VALU_DEP_1)
	v_cmp_eq_u32_e64 s0, 0, v12
	v_cndmask_b32_e64 v48, v16, v7, s0
; %bb.4573:                             ;   in Loop: Header=BB448_2342 Depth=1
	s_or_b32 exec_lo, exec_lo, s13
	v_lshlrev_b32_e32 v6, 16, v6
                                        ; implicit-def: $vgpr23
	s_delay_alu instid0(VALU_DEP_1) | instskip(NEXT) | instid1(VALU_DEP_1)
	v_mul_f32_e32 v6, v147, v6
	v_and_b32_e32 v7, 0x7f800000, v6
	s_delay_alu instid0(VALU_DEP_1) | instskip(NEXT) | instid1(VALU_DEP_1)
	v_cmp_ne_u32_e64 s0, 0x7f800000, v7
	s_and_saveexec_b32 s13, s0
	s_delay_alu instid0(SALU_CYCLE_1)
	s_xor_b32 s0, exec_lo, s13
; %bb.4574:                             ;   in Loop: Header=BB448_2342 Depth=1
	v_bfe_u32 v7, v6, 16, 1
	s_delay_alu instid0(VALU_DEP_1)
	v_add3_u32 v23, v6, v7, 0x7fff
                                        ; implicit-def: $vgpr6
; %bb.4575:                             ;   in Loop: Header=BB448_2342 Depth=1
	s_and_not1_saveexec_b32 s13, s0
; %bb.4576:                             ;   in Loop: Header=BB448_2342 Depth=1
	v_and_b32_e32 v7, 0xffff, v6
	v_or_b32_e32 v12, 0x10000, v6
	s_delay_alu instid0(VALU_DEP_2) | instskip(NEXT) | instid1(VALU_DEP_1)
	v_cmp_eq_u32_e64 s0, 0, v7
	v_cndmask_b32_e64 v23, v12, v6, s0
; %bb.4577:                             ;   in Loop: Header=BB448_2342 Depth=1
	s_or_b32 exec_lo, exec_lo, s13
	v_lshlrev_b32_e32 v3, 16, v3
                                        ; implicit-def: $vgpr49
	s_delay_alu instid0(VALU_DEP_1) | instskip(NEXT) | instid1(VALU_DEP_1)
	v_mul_f32_e32 v3, v148, v3
	v_and_b32_e32 v6, 0x7f800000, v3
	s_delay_alu instid0(VALU_DEP_1) | instskip(NEXT) | instid1(VALU_DEP_1)
	v_cmp_ne_u32_e64 s0, 0x7f800000, v6
	s_and_saveexec_b32 s13, s0
	s_delay_alu instid0(SALU_CYCLE_1)
	s_xor_b32 s0, exec_lo, s13
; %bb.4578:                             ;   in Loop: Header=BB448_2342 Depth=1
	v_bfe_u32 v6, v3, 16, 1
	s_delay_alu instid0(VALU_DEP_1)
	v_add3_u32 v49, v3, v6, 0x7fff
                                        ; implicit-def: $vgpr3
; %bb.4579:                             ;   in Loop: Header=BB448_2342 Depth=1
	s_and_not1_saveexec_b32 s13, s0
; %bb.4580:                             ;   in Loop: Header=BB448_2342 Depth=1
	v_and_b32_e32 v6, 0xffff, v3
	v_or_b32_e32 v7, 0x10000, v3
	s_delay_alu instid0(VALU_DEP_2) | instskip(NEXT) | instid1(VALU_DEP_1)
	v_cmp_eq_u32_e64 s0, 0, v6
	v_cndmask_b32_e64 v49, v7, v3, s0
; %bb.4581:                             ;   in Loop: Header=BB448_2342 Depth=1
	s_or_b32 exec_lo, exec_lo, s13
	v_lshlrev_b32_e32 v2, 16, v2
                                        ; implicit-def: $vgpr19
	s_delay_alu instid0(VALU_DEP_1) | instskip(NEXT) | instid1(VALU_DEP_1)
	v_mul_f32_e32 v2, v149, v2
	v_and_b32_e32 v3, 0x7f800000, v2
	s_delay_alu instid0(VALU_DEP_1) | instskip(NEXT) | instid1(VALU_DEP_1)
	v_cmp_ne_u32_e64 s0, 0x7f800000, v3
	s_and_saveexec_b32 s13, s0
	s_delay_alu instid0(SALU_CYCLE_1)
	s_xor_b32 s0, exec_lo, s13
; %bb.4582:                             ;   in Loop: Header=BB448_2342 Depth=1
	v_bfe_u32 v3, v2, 16, 1
	s_delay_alu instid0(VALU_DEP_1)
	v_add3_u32 v19, v2, v3, 0x7fff
                                        ; implicit-def: $vgpr2
; %bb.4583:                             ;   in Loop: Header=BB448_2342 Depth=1
	s_and_not1_saveexec_b32 s13, s0
; %bb.4584:                             ;   in Loop: Header=BB448_2342 Depth=1
	v_and_b32_e32 v3, 0xffff, v2
	v_or_b32_e32 v6, 0x10000, v2
	s_delay_alu instid0(VALU_DEP_2) | instskip(NEXT) | instid1(VALU_DEP_1)
	v_cmp_eq_u32_e64 s0, 0, v3
	v_cndmask_b32_e64 v19, v6, v2, s0
; %bb.4585:                             ;   in Loop: Header=BB448_2342 Depth=1
	s_or_b32 exec_lo, exec_lo, s13
	scratch_load_b32 v2, off, s32 offset:616 ; 4-byte Folded Reload
	s_mov_b32 s13, exec_lo
	v_mov_b32_e32 v6, 0
	s_waitcnt vmcnt(0)
	v_add_co_u32 v2, s0, v0, v2
	s_delay_alu instid0(VALU_DEP_1) | instskip(SKIP_3) | instid1(VALU_DEP_1)
	v_add_co_ci_u32_e64 v3, s0, 0, v1, s0
	flat_load_b64 v[2:3], v[2:3]
	s_waitcnt vmcnt(0) lgkmcnt(0)
	v_and_b32_e32 v7, 0xff, v2
	v_cmpx_ne_u16_e32 0, v7
	s_cbranch_execz .LBB448_4593
; %bb.4586:                             ;   in Loop: Header=BB448_2342 Depth=1
	v_bfrev_b32_e32 v6, 1
	s_mov_b32 s15, exec_lo
	v_cmpx_ne_u16_e32 0x80, v7
	s_cbranch_execz .LBB448_4592
; %bb.4587:                             ;   in Loop: Header=BB448_2342 Depth=1
	v_and_b32_e32 v7, 0x7f, v2
	v_mov_b32_e32 v6, 0x7f800001
	s_mov_b32 s16, exec_lo
	s_delay_alu instid0(VALU_DEP_2)
	v_cmpx_ne_u32_e32 0x7f, v7
	s_cbranch_execz .LBB448_4591
; %bb.4588:                             ;   in Loop: Header=BB448_2342 Depth=1
	v_lshrrev_b32_e32 v12, 3, v7
	v_cmp_gt_u32_e64 s0, 8, v7
	v_dual_mov_b32 v7, v3 :: v_dual_mov_b32 v6, v2
	s_delay_alu instid0(VALU_DEP_2)
	s_and_saveexec_b32 s17, s0
; %bb.4589:                             ;   in Loop: Header=BB448_2342 Depth=1
	v_and_b32_e32 v6, 7, v2
	s_delay_alu instid0(VALU_DEP_1) | instskip(NEXT) | instid1(VALU_DEP_1)
	v_clz_i32_u32_e32 v6, v6
	v_min_u32_e32 v12, 32, v6
	s_delay_alu instid0(VALU_DEP_1) | instskip(SKIP_1) | instid1(VALU_DEP_2)
	v_subrev_nc_u32_e32 v6, 28, v12
	v_sub_nc_u32_e32 v12, 29, v12
	v_lshlrev_b64 v[6:7], v6, v[2:3]
; %bb.4590:                             ;   in Loop: Header=BB448_2342 Depth=1
	s_or_b32 exec_lo, exec_lo, s17
	s_delay_alu instid0(VALU_DEP_1) | instskip(SKIP_2) | instid1(VALU_DEP_3)
	v_lshlrev_b32_e32 v6, 20, v6
	v_lshlrev_b32_e32 v7, 24, v2
	v_lshl_add_u32 v12, v12, 23, 0x3c000000
	v_and_b32_e32 v6, 0x700000, v6
	s_delay_alu instid0(VALU_DEP_3) | instskip(NEXT) | instid1(VALU_DEP_1)
	v_and_b32_e32 v7, 0x80000000, v7
	v_or3_b32 v6, v6, v7, v12
.LBB448_4591:                           ;   in Loop: Header=BB448_2342 Depth=1
	s_or_b32 exec_lo, exec_lo, s16
.LBB448_4592:                           ;   in Loop: Header=BB448_2342 Depth=1
	s_delay_alu instid0(SALU_CYCLE_1)
	s_or_b32 exec_lo, exec_lo, s15
.LBB448_4593:                           ;   in Loop: Header=BB448_2342 Depth=1
	s_delay_alu instid0(SALU_CYCLE_1) | instskip(NEXT) | instid1(VALU_DEP_1)
	s_or_b32 exec_lo, exec_lo, s13
	v_mul_f32_e32 v6, v118, v6
                                        ; implicit-def: $vgpr16
	s_delay_alu instid0(VALU_DEP_1) | instskip(NEXT) | instid1(VALU_DEP_1)
	v_and_b32_e32 v7, 0x7f800000, v6
	v_cmp_ne_u32_e64 s0, 0x7f800000, v7
	s_delay_alu instid0(VALU_DEP_1) | instskip(NEXT) | instid1(SALU_CYCLE_1)
	s_and_saveexec_b32 s13, s0
	s_xor_b32 s0, exec_lo, s13
; %bb.4594:                             ;   in Loop: Header=BB448_2342 Depth=1
	v_bfe_u32 v7, v6, 16, 1
	s_delay_alu instid0(VALU_DEP_1)
	v_add3_u32 v16, v6, v7, 0x7fff
                                        ; implicit-def: $vgpr6
; %bb.4595:                             ;   in Loop: Header=BB448_2342 Depth=1
	s_and_not1_saveexec_b32 s13, s0
; %bb.4596:                             ;   in Loop: Header=BB448_2342 Depth=1
	v_and_b32_e32 v7, 0xffff, v6
	v_or_b32_e32 v12, 0x10000, v6
	s_delay_alu instid0(VALU_DEP_2) | instskip(NEXT) | instid1(VALU_DEP_1)
	v_cmp_eq_u32_e64 s0, 0, v7
	v_cndmask_b32_e64 v16, v12, v6, s0
; %bb.4597:                             ;   in Loop: Header=BB448_2342 Depth=1
	s_or_b32 exec_lo, exec_lo, s13
	v_lshrrev_b16 v7, 8, v2
	v_mov_b32_e32 v6, 0
	s_mov_b32 s13, exec_lo
	s_delay_alu instid0(VALU_DEP_2)
	v_cmpx_ne_u16_e32 0, v7
	s_cbranch_execz .LBB448_4605
; %bb.4598:                             ;   in Loop: Header=BB448_2342 Depth=1
	v_bfrev_b32_e32 v6, 1
	s_mov_b32 s15, exec_lo
	v_cmpx_ne_u16_e32 0x80, v7
	s_cbranch_execz .LBB448_4604
; %bb.4599:                             ;   in Loop: Header=BB448_2342 Depth=1
	v_and_b32_e32 v7, 0xffff, v7
	v_mov_b32_e32 v6, 0x7f800001
	s_mov_b32 s16, exec_lo
	s_delay_alu instid0(VALU_DEP_2) | instskip(NEXT) | instid1(VALU_DEP_1)
	v_and_b32_e32 v18, 0x7f, v7
	v_cmpx_ne_u32_e32 0x7f, v18
	s_cbranch_execz .LBB448_4603
; %bb.4600:                             ;   in Loop: Header=BB448_2342 Depth=1
	v_and_b32_e32 v12, 7, v7
	s_mov_b32 s17, exec_lo
	s_delay_alu instid0(VALU_DEP_1)
	v_dual_mov_b32 v6, v12 :: v_dual_mov_b32 v7, v13
	v_lshrrev_b32_e32 v7, 3, v18
	v_cmpx_gt_u32_e32 8, v18
; %bb.4601:                             ;   in Loop: Header=BB448_2342 Depth=1
	v_clz_i32_u32_e32 v6, v12
	s_delay_alu instid0(VALU_DEP_1) | instskip(NEXT) | instid1(VALU_DEP_1)
	v_min_u32_e32 v18, 32, v6
	v_subrev_nc_u32_e32 v6, 28, v18
	s_delay_alu instid0(VALU_DEP_1) | instskip(SKIP_1) | instid1(VALU_DEP_2)
	v_lshlrev_b64 v[6:7], v6, v[12:13]
	v_sub_nc_u32_e32 v7, 29, v18
	v_and_b32_e32 v6, 7, v6
; %bb.4602:                             ;   in Loop: Header=BB448_2342 Depth=1
	s_or_b32 exec_lo, exec_lo, s17
	v_lshlrev_b32_e32 v12, 16, v2
	s_delay_alu instid0(VALU_DEP_2) | instskip(SKIP_1) | instid1(VALU_DEP_3)
	v_lshlrev_b32_e32 v6, 20, v6
	v_lshl_add_u32 v7, v7, 23, 0x3c000000
	v_and_b32_e32 v12, 0x80000000, v12
	s_delay_alu instid0(VALU_DEP_1)
	v_or3_b32 v6, v6, v12, v7
.LBB448_4603:                           ;   in Loop: Header=BB448_2342 Depth=1
	s_or_b32 exec_lo, exec_lo, s16
.LBB448_4604:                           ;   in Loop: Header=BB448_2342 Depth=1
	s_delay_alu instid0(SALU_CYCLE_1)
	s_or_b32 exec_lo, exec_lo, s15
.LBB448_4605:                           ;   in Loop: Header=BB448_2342 Depth=1
	s_delay_alu instid0(SALU_CYCLE_1) | instskip(NEXT) | instid1(VALU_DEP_1)
	s_or_b32 exec_lo, exec_lo, s13
	v_mul_f32_e32 v6, v118, v6
                                        ; implicit-def: $vgpr18
	s_delay_alu instid0(VALU_DEP_1) | instskip(NEXT) | instid1(VALU_DEP_1)
	v_and_b32_e32 v7, 0x7f800000, v6
	v_cmp_ne_u32_e64 s0, 0x7f800000, v7
	s_delay_alu instid0(VALU_DEP_1) | instskip(NEXT) | instid1(SALU_CYCLE_1)
	s_and_saveexec_b32 s13, s0
	s_xor_b32 s0, exec_lo, s13
; %bb.4606:                             ;   in Loop: Header=BB448_2342 Depth=1
	v_bfe_u32 v7, v6, 16, 1
	s_delay_alu instid0(VALU_DEP_1)
	v_add3_u32 v18, v6, v7, 0x7fff
                                        ; implicit-def: $vgpr6
; %bb.4607:                             ;   in Loop: Header=BB448_2342 Depth=1
	s_and_not1_saveexec_b32 s13, s0
; %bb.4608:                             ;   in Loop: Header=BB448_2342 Depth=1
	v_and_b32_e32 v7, 0xffff, v6
	v_or_b32_e32 v12, 0x10000, v6
	s_delay_alu instid0(VALU_DEP_2) | instskip(NEXT) | instid1(VALU_DEP_1)
	v_cmp_eq_u32_e64 s0, 0, v7
	v_cndmask_b32_e64 v18, v12, v6, s0
; %bb.4609:                             ;   in Loop: Header=BB448_2342 Depth=1
	s_or_b32 exec_lo, exec_lo, s13
	v_lshrrev_b32_e32 v20, 16, v2
	s_mov_b32 s13, exec_lo
	s_delay_alu instid0(VALU_DEP_1) | instskip(NEXT) | instid1(VALU_DEP_1)
	v_dual_mov_b32 v6, 0 :: v_dual_and_b32 v7, 0xff, v20
	v_cmpx_ne_u16_e32 0, v7
	s_cbranch_execz .LBB448_4617
; %bb.4610:                             ;   in Loop: Header=BB448_2342 Depth=1
	v_bfrev_b32_e32 v6, 1
	s_mov_b32 s15, exec_lo
	v_cmpx_ne_u16_e32 0x80, v7
	s_cbranch_execz .LBB448_4616
; %bb.4611:                             ;   in Loop: Header=BB448_2342 Depth=1
	v_bfe_u32 v21, v2, 16, 7
	v_mov_b32_e32 v6, 0x7f800001
	s_mov_b32 s16, exec_lo
	s_delay_alu instid0(VALU_DEP_2)
	v_cmpx_ne_u32_e32 0x7f, v21
	s_cbranch_execz .LBB448_4615
; %bb.4612:                             ;   in Loop: Header=BB448_2342 Depth=1
	v_and_b32_e32 v12, 7, v20
	s_mov_b32 s17, exec_lo
	s_delay_alu instid0(VALU_DEP_1)
	v_dual_mov_b32 v6, v12 :: v_dual_mov_b32 v7, v13
	v_lshrrev_b32_e32 v7, 3, v21
	v_cmpx_gt_u32_e32 8, v21
; %bb.4613:                             ;   in Loop: Header=BB448_2342 Depth=1
	v_clz_i32_u32_e32 v6, v12
	s_delay_alu instid0(VALU_DEP_1) | instskip(NEXT) | instid1(VALU_DEP_1)
	v_min_u32_e32 v21, 32, v6
	v_subrev_nc_u32_e32 v6, 28, v21
	s_delay_alu instid0(VALU_DEP_1) | instskip(SKIP_1) | instid1(VALU_DEP_2)
	v_lshlrev_b64 v[6:7], v6, v[12:13]
	v_sub_nc_u32_e32 v7, 29, v21
	v_and_b32_e32 v6, 7, v6
; %bb.4614:                             ;   in Loop: Header=BB448_2342 Depth=1
	s_or_b32 exec_lo, exec_lo, s17
	v_lshlrev_b32_e32 v12, 24, v20
	s_delay_alu instid0(VALU_DEP_2) | instskip(SKIP_1) | instid1(VALU_DEP_3)
	v_lshlrev_b32_e32 v6, 20, v6
	v_lshl_add_u32 v7, v7, 23, 0x3c000000
	v_and_b32_e32 v12, 0x80000000, v12
	s_delay_alu instid0(VALU_DEP_1)
	v_or3_b32 v6, v6, v12, v7
.LBB448_4615:                           ;   in Loop: Header=BB448_2342 Depth=1
	s_or_b32 exec_lo, exec_lo, s16
.LBB448_4616:                           ;   in Loop: Header=BB448_2342 Depth=1
	s_delay_alu instid0(SALU_CYCLE_1)
	s_or_b32 exec_lo, exec_lo, s15
.LBB448_4617:                           ;   in Loop: Header=BB448_2342 Depth=1
	s_delay_alu instid0(SALU_CYCLE_1) | instskip(NEXT) | instid1(VALU_DEP_1)
	s_or_b32 exec_lo, exec_lo, s13
	v_mul_f32_e32 v6, v118, v6
                                        ; implicit-def: $vgpr20
	s_delay_alu instid0(VALU_DEP_1) | instskip(NEXT) | instid1(VALU_DEP_1)
	v_and_b32_e32 v7, 0x7f800000, v6
	v_cmp_ne_u32_e64 s0, 0x7f800000, v7
	s_delay_alu instid0(VALU_DEP_1) | instskip(NEXT) | instid1(SALU_CYCLE_1)
	s_and_saveexec_b32 s13, s0
	s_xor_b32 s0, exec_lo, s13
; %bb.4618:                             ;   in Loop: Header=BB448_2342 Depth=1
	v_bfe_u32 v7, v6, 16, 1
	s_delay_alu instid0(VALU_DEP_1)
	v_add3_u32 v20, v6, v7, 0x7fff
                                        ; implicit-def: $vgpr6
; %bb.4619:                             ;   in Loop: Header=BB448_2342 Depth=1
	s_and_not1_saveexec_b32 s13, s0
; %bb.4620:                             ;   in Loop: Header=BB448_2342 Depth=1
	v_and_b32_e32 v7, 0xffff, v6
	v_or_b32_e32 v12, 0x10000, v6
	s_delay_alu instid0(VALU_DEP_2) | instskip(NEXT) | instid1(VALU_DEP_1)
	v_cmp_eq_u32_e64 s0, 0, v7
	v_cndmask_b32_e64 v20, v12, v6, s0
; %bb.4621:                             ;   in Loop: Header=BB448_2342 Depth=1
	s_or_b32 exec_lo, exec_lo, s13
	v_mov_b32_e32 v6, 0
	s_mov_b32 s13, exec_lo
	v_cmpx_lt_u32_e32 0xffffff, v2
	s_cbranch_execz .LBB448_4629
; %bb.4622:                             ;   in Loop: Header=BB448_2342 Depth=1
	v_lshrrev_b32_e32 v21, 24, v2
	v_bfrev_b32_e32 v6, 1
	s_mov_b32 s15, exec_lo
	s_delay_alu instid0(VALU_DEP_2)
	v_cmpx_ne_u32_e32 0x80, v21
	s_cbranch_execz .LBB448_4628
; %bb.4623:                             ;   in Loop: Header=BB448_2342 Depth=1
	v_bfe_u32 v22, v2, 24, 7
	v_mov_b32_e32 v6, 0x7f800001
	s_mov_b32 s16, exec_lo
	s_delay_alu instid0(VALU_DEP_2)
	v_cmpx_ne_u32_e32 0x7f, v22
	s_cbranch_execz .LBB448_4627
; %bb.4624:                             ;   in Loop: Header=BB448_2342 Depth=1
	v_and_b32_e32 v12, 7, v21
	s_mov_b32 s17, exec_lo
	s_delay_alu instid0(VALU_DEP_1)
	v_dual_mov_b32 v6, v12 :: v_dual_mov_b32 v7, v13
	v_lshrrev_b32_e32 v7, 3, v22
	v_cmpx_gt_u32_e32 8, v22
; %bb.4625:                             ;   in Loop: Header=BB448_2342 Depth=1
	v_clz_i32_u32_e32 v6, v12
	s_delay_alu instid0(VALU_DEP_1) | instskip(NEXT) | instid1(VALU_DEP_1)
	v_min_u32_e32 v22, 32, v6
	v_subrev_nc_u32_e32 v6, 28, v22
	s_delay_alu instid0(VALU_DEP_1) | instskip(SKIP_1) | instid1(VALU_DEP_2)
	v_lshlrev_b64 v[6:7], v6, v[12:13]
	v_sub_nc_u32_e32 v7, 29, v22
	v_and_b32_e32 v6, 7, v6
; %bb.4626:                             ;   in Loop: Header=BB448_2342 Depth=1
	s_or_b32 exec_lo, exec_lo, s17
	v_lshlrev_b32_e32 v12, 24, v21
	s_delay_alu instid0(VALU_DEP_2) | instskip(SKIP_1) | instid1(VALU_DEP_3)
	v_lshlrev_b32_e32 v6, 20, v6
	v_lshl_add_u32 v7, v7, 23, 0x3c000000
	v_and_b32_e32 v12, 0x80000000, v12
	s_delay_alu instid0(VALU_DEP_1)
	v_or3_b32 v6, v6, v12, v7
.LBB448_4627:                           ;   in Loop: Header=BB448_2342 Depth=1
	s_or_b32 exec_lo, exec_lo, s16
.LBB448_4628:                           ;   in Loop: Header=BB448_2342 Depth=1
	s_delay_alu instid0(SALU_CYCLE_1)
	s_or_b32 exec_lo, exec_lo, s15
.LBB448_4629:                           ;   in Loop: Header=BB448_2342 Depth=1
	s_delay_alu instid0(SALU_CYCLE_1) | instskip(NEXT) | instid1(VALU_DEP_1)
	s_or_b32 exec_lo, exec_lo, s13
	v_mul_f32_e32 v6, v118, v6
                                        ; implicit-def: $vgpr21
	s_delay_alu instid0(VALU_DEP_1) | instskip(NEXT) | instid1(VALU_DEP_1)
	v_and_b32_e32 v7, 0x7f800000, v6
	v_cmp_ne_u32_e64 s0, 0x7f800000, v7
	s_delay_alu instid0(VALU_DEP_1) | instskip(NEXT) | instid1(SALU_CYCLE_1)
	s_and_saveexec_b32 s13, s0
	s_xor_b32 s0, exec_lo, s13
; %bb.4630:                             ;   in Loop: Header=BB448_2342 Depth=1
	v_bfe_u32 v7, v6, 16, 1
	s_delay_alu instid0(VALU_DEP_1)
	v_add3_u32 v21, v6, v7, 0x7fff
                                        ; implicit-def: $vgpr6
; %bb.4631:                             ;   in Loop: Header=BB448_2342 Depth=1
	s_and_not1_saveexec_b32 s13, s0
; %bb.4632:                             ;   in Loop: Header=BB448_2342 Depth=1
	v_and_b32_e32 v7, 0xffff, v6
	v_or_b32_e32 v12, 0x10000, v6
	s_delay_alu instid0(VALU_DEP_2) | instskip(NEXT) | instid1(VALU_DEP_1)
	v_cmp_eq_u32_e64 s0, 0, v7
	v_cndmask_b32_e64 v21, v12, v6, s0
; %bb.4633:                             ;   in Loop: Header=BB448_2342 Depth=1
	s_or_b32 exec_lo, exec_lo, s13
	v_dual_mov_b32 v12, v3 :: v_dual_and_b32 v7, 0xff, v3
	v_mov_b32_e32 v6, 0
	s_mov_b32 s13, exec_lo
	s_delay_alu instid0(VALU_DEP_2)
	v_cmpx_ne_u16_e32 0, v7
	s_cbranch_execz .LBB448_4641
; %bb.4634:                             ;   in Loop: Header=BB448_2342 Depth=1
	v_bfrev_b32_e32 v6, 1
	s_mov_b32 s15, exec_lo
	v_cmpx_ne_u16_e32 0x80, v7
	s_cbranch_execz .LBB448_4640
; %bb.4635:                             ;   in Loop: Header=BB448_2342 Depth=1
	v_and_b32_e32 v22, 0x7f, v3
	v_mov_b32_e32 v6, 0x7f800001
	s_mov_b32 s16, exec_lo
	s_delay_alu instid0(VALU_DEP_2)
	v_cmpx_ne_u32_e32 0x7f, v22
	s_cbranch_execz .LBB448_4639
; %bb.4636:                             ;   in Loop: Header=BB448_2342 Depth=1
	v_dual_mov_b32 v6, v12 :: v_dual_mov_b32 v7, v13
	v_lshrrev_b32_e32 v7, 3, v22
	s_mov_b32 s17, exec_lo
	v_cmpx_gt_u32_e32 8, v22
; %bb.4637:                             ;   in Loop: Header=BB448_2342 Depth=1
	v_and_b32_e32 v6, 7, v3
	s_delay_alu instid0(VALU_DEP_1) | instskip(NEXT) | instid1(VALU_DEP_1)
	v_clz_i32_u32_e32 v6, v6
	v_min_u32_e32 v22, 32, v6
	s_delay_alu instid0(VALU_DEP_1) | instskip(NEXT) | instid1(VALU_DEP_1)
	v_subrev_nc_u32_e32 v6, 28, v22
	v_lshlrev_b64 v[6:7], v6, v[12:13]
	v_sub_nc_u32_e32 v7, 29, v22
; %bb.4638:                             ;   in Loop: Header=BB448_2342 Depth=1
	s_or_b32 exec_lo, exec_lo, s17
	s_delay_alu instid0(VALU_DEP_2) | instskip(SKIP_1) | instid1(VALU_DEP_3)
	v_lshlrev_b32_e32 v6, 20, v6
	v_lshlrev_b32_e32 v22, 24, v12
	v_lshl_add_u32 v7, v7, 23, 0x3c000000
	s_delay_alu instid0(VALU_DEP_3) | instskip(NEXT) | instid1(VALU_DEP_3)
	v_and_b32_e32 v6, 0x700000, v6
	v_and_b32_e32 v22, 0x80000000, v22
	s_delay_alu instid0(VALU_DEP_1)
	v_or3_b32 v6, v6, v22, v7
.LBB448_4639:                           ;   in Loop: Header=BB448_2342 Depth=1
	s_or_b32 exec_lo, exec_lo, s16
.LBB448_4640:                           ;   in Loop: Header=BB448_2342 Depth=1
	s_delay_alu instid0(SALU_CYCLE_1)
	s_or_b32 exec_lo, exec_lo, s15
.LBB448_4641:                           ;   in Loop: Header=BB448_2342 Depth=1
	s_delay_alu instid0(SALU_CYCLE_1) | instskip(NEXT) | instid1(VALU_DEP_1)
	s_or_b32 exec_lo, exec_lo, s13
	v_mul_f32_e32 v6, v118, v6
                                        ; implicit-def: $vgpr22
	s_delay_alu instid0(VALU_DEP_1) | instskip(NEXT) | instid1(VALU_DEP_1)
	v_and_b32_e32 v7, 0x7f800000, v6
	v_cmp_ne_u32_e64 s0, 0x7f800000, v7
	s_delay_alu instid0(VALU_DEP_1) | instskip(NEXT) | instid1(SALU_CYCLE_1)
	s_and_saveexec_b32 s13, s0
	s_xor_b32 s0, exec_lo, s13
; %bb.4642:                             ;   in Loop: Header=BB448_2342 Depth=1
	v_bfe_u32 v7, v6, 16, 1
	s_delay_alu instid0(VALU_DEP_1)
	v_add3_u32 v22, v6, v7, 0x7fff
                                        ; implicit-def: $vgpr6
; %bb.4643:                             ;   in Loop: Header=BB448_2342 Depth=1
	s_and_not1_saveexec_b32 s13, s0
; %bb.4644:                             ;   in Loop: Header=BB448_2342 Depth=1
	v_and_b32_e32 v7, 0xffff, v6
	v_or_b32_e32 v22, 0x10000, v6
	s_delay_alu instid0(VALU_DEP_2) | instskip(NEXT) | instid1(VALU_DEP_1)
	v_cmp_eq_u32_e64 s0, 0, v7
	v_cndmask_b32_e64 v22, v22, v6, s0
; %bb.4645:                             ;   in Loop: Header=BB448_2342 Depth=1
	s_or_b32 exec_lo, exec_lo, s13
	v_lshrrev_b16 v7, 8, v12
	v_mov_b32_e32 v6, 0
	s_mov_b32 s13, exec_lo
	s_delay_alu instid0(VALU_DEP_2)
	v_cmpx_ne_u16_e32 0, v7
	s_cbranch_execz .LBB448_4653
; %bb.4646:                             ;   in Loop: Header=BB448_2342 Depth=1
	v_bfrev_b32_e32 v6, 1
	s_mov_b32 s15, exec_lo
	v_cmpx_ne_u16_e32 0x80, v7
	s_cbranch_execz .LBB448_4652
; %bb.4647:                             ;   in Loop: Header=BB448_2342 Depth=1
	v_and_b32_e32 v7, 0xffff, v7
	v_mov_b32_e32 v6, 0x7f800001
	s_mov_b32 s16, exec_lo
	s_delay_alu instid0(VALU_DEP_2) | instskip(NEXT) | instid1(VALU_DEP_1)
	v_and_b32_e32 v25, 0x7f, v7
	v_cmpx_ne_u32_e32 0x7f, v25
	s_cbranch_execz .LBB448_4651
; %bb.4648:                             ;   in Loop: Header=BB448_2342 Depth=1
	v_dual_mov_b32 v7, v13 :: v_dual_and_b32 v6, 7, v7
	v_lshrrev_b32_e32 v24, 3, v25
	s_mov_b32 s17, exec_lo
	v_cmpx_gt_u32_e32 8, v25
; %bb.4649:                             ;   in Loop: Header=BB448_2342 Depth=1
	s_delay_alu instid0(VALU_DEP_3) | instskip(NEXT) | instid1(VALU_DEP_1)
	v_clz_i32_u32_e32 v24, v6
	v_min_u32_e32 v24, 32, v24
	s_delay_alu instid0(VALU_DEP_1) | instskip(SKIP_1) | instid1(VALU_DEP_2)
	v_subrev_nc_u32_e32 v25, 28, v24
	v_sub_nc_u32_e32 v24, 29, v24
	v_lshlrev_b64 v[6:7], v25, v[6:7]
	s_delay_alu instid0(VALU_DEP_1)
	v_and_b32_e32 v6, 7, v6
; %bb.4650:                             ;   in Loop: Header=BB448_2342 Depth=1
	s_or_b32 exec_lo, exec_lo, s17
	v_lshlrev_b32_e32 v7, 16, v12
	s_delay_alu instid0(VALU_DEP_2) | instskip(SKIP_1) | instid1(VALU_DEP_3)
	v_lshlrev_b32_e32 v6, 20, v6
	v_lshl_add_u32 v12, v24, 23, 0x3c000000
	v_and_b32_e32 v7, 0x80000000, v7
	s_delay_alu instid0(VALU_DEP_1)
	v_or3_b32 v6, v6, v7, v12
.LBB448_4651:                           ;   in Loop: Header=BB448_2342 Depth=1
	s_or_b32 exec_lo, exec_lo, s16
.LBB448_4652:                           ;   in Loop: Header=BB448_2342 Depth=1
	s_delay_alu instid0(SALU_CYCLE_1)
	s_or_b32 exec_lo, exec_lo, s15
.LBB448_4653:                           ;   in Loop: Header=BB448_2342 Depth=1
	s_delay_alu instid0(SALU_CYCLE_1) | instskip(NEXT) | instid1(VALU_DEP_1)
	s_or_b32 exec_lo, exec_lo, s13
	v_mul_f32_e32 v6, v118, v6
                                        ; implicit-def: $vgpr24
	s_delay_alu instid0(VALU_DEP_1) | instskip(NEXT) | instid1(VALU_DEP_1)
	v_and_b32_e32 v7, 0x7f800000, v6
	v_cmp_ne_u32_e64 s0, 0x7f800000, v7
	s_delay_alu instid0(VALU_DEP_1) | instskip(NEXT) | instid1(SALU_CYCLE_1)
	s_and_saveexec_b32 s13, s0
	s_xor_b32 s0, exec_lo, s13
; %bb.4654:                             ;   in Loop: Header=BB448_2342 Depth=1
	v_bfe_u32 v7, v6, 16, 1
	s_delay_alu instid0(VALU_DEP_1)
	v_add3_u32 v24, v6, v7, 0x7fff
                                        ; implicit-def: $vgpr6
; %bb.4655:                             ;   in Loop: Header=BB448_2342 Depth=1
	s_and_not1_saveexec_b32 s13, s0
; %bb.4656:                             ;   in Loop: Header=BB448_2342 Depth=1
	v_and_b32_e32 v7, 0xffff, v6
	v_or_b32_e32 v12, 0x10000, v6
	s_delay_alu instid0(VALU_DEP_2) | instskip(NEXT) | instid1(VALU_DEP_1)
	v_cmp_eq_u32_e64 s0, 0, v7
	v_cndmask_b32_e64 v24, v12, v6, s0
; %bb.4657:                             ;   in Loop: Header=BB448_2342 Depth=1
	s_or_b32 exec_lo, exec_lo, s13
	v_lshrrev_b32_e32 v25, 16, v3
	s_mov_b32 s13, exec_lo
	s_delay_alu instid0(VALU_DEP_1) | instskip(NEXT) | instid1(VALU_DEP_1)
	v_dual_mov_b32 v6, 0 :: v_dual_and_b32 v7, 0xff, v25
	v_cmpx_ne_u16_e32 0, v7
	s_cbranch_execz .LBB448_4665
; %bb.4658:                             ;   in Loop: Header=BB448_2342 Depth=1
	v_bfrev_b32_e32 v6, 1
	s_mov_b32 s15, exec_lo
	v_cmpx_ne_u16_e32 0x80, v7
	s_cbranch_execz .LBB448_4664
; %bb.4659:                             ;   in Loop: Header=BB448_2342 Depth=1
	v_bfe_u32 v28, v3, 16, 7
	v_mov_b32_e32 v6, 0x7f800001
	s_mov_b32 s16, exec_lo
	s_delay_alu instid0(VALU_DEP_2)
	v_cmpx_ne_u32_e32 0x7f, v28
	s_cbranch_execz .LBB448_4663
; %bb.4660:                             ;   in Loop: Header=BB448_2342 Depth=1
	v_and_b32_e32 v12, 7, v25
	s_mov_b32 s17, exec_lo
	s_delay_alu instid0(VALU_DEP_1)
	v_dual_mov_b32 v6, v12 :: v_dual_mov_b32 v7, v13
	v_lshrrev_b32_e32 v7, 3, v28
	v_cmpx_gt_u32_e32 8, v28
; %bb.4661:                             ;   in Loop: Header=BB448_2342 Depth=1
	v_clz_i32_u32_e32 v6, v12
	s_delay_alu instid0(VALU_DEP_1) | instskip(NEXT) | instid1(VALU_DEP_1)
	v_min_u32_e32 v28, 32, v6
	v_subrev_nc_u32_e32 v6, 28, v28
	s_delay_alu instid0(VALU_DEP_1) | instskip(SKIP_1) | instid1(VALU_DEP_2)
	v_lshlrev_b64 v[6:7], v6, v[12:13]
	v_sub_nc_u32_e32 v7, 29, v28
	v_and_b32_e32 v6, 7, v6
; %bb.4662:                             ;   in Loop: Header=BB448_2342 Depth=1
	s_or_b32 exec_lo, exec_lo, s17
	v_lshlrev_b32_e32 v12, 24, v25
	s_delay_alu instid0(VALU_DEP_2) | instskip(SKIP_1) | instid1(VALU_DEP_3)
	v_lshlrev_b32_e32 v6, 20, v6
	v_lshl_add_u32 v7, v7, 23, 0x3c000000
	v_and_b32_e32 v12, 0x80000000, v12
	s_delay_alu instid0(VALU_DEP_1)
	v_or3_b32 v6, v6, v12, v7
.LBB448_4663:                           ;   in Loop: Header=BB448_2342 Depth=1
	s_or_b32 exec_lo, exec_lo, s16
.LBB448_4664:                           ;   in Loop: Header=BB448_2342 Depth=1
	s_delay_alu instid0(SALU_CYCLE_1)
	s_or_b32 exec_lo, exec_lo, s15
.LBB448_4665:                           ;   in Loop: Header=BB448_2342 Depth=1
	s_delay_alu instid0(SALU_CYCLE_1) | instskip(NEXT) | instid1(VALU_DEP_1)
	s_or_b32 exec_lo, exec_lo, s13
	v_mul_f32_e32 v6, v118, v6
                                        ; implicit-def: $vgpr25
	s_delay_alu instid0(VALU_DEP_1) | instskip(NEXT) | instid1(VALU_DEP_1)
	v_and_b32_e32 v7, 0x7f800000, v6
	v_cmp_ne_u32_e64 s0, 0x7f800000, v7
	s_delay_alu instid0(VALU_DEP_1) | instskip(NEXT) | instid1(SALU_CYCLE_1)
	s_and_saveexec_b32 s13, s0
	s_xor_b32 s0, exec_lo, s13
; %bb.4666:                             ;   in Loop: Header=BB448_2342 Depth=1
	v_bfe_u32 v7, v6, 16, 1
	s_delay_alu instid0(VALU_DEP_1)
	v_add3_u32 v25, v6, v7, 0x7fff
                                        ; implicit-def: $vgpr6
; %bb.4667:                             ;   in Loop: Header=BB448_2342 Depth=1
	s_and_not1_saveexec_b32 s13, s0
; %bb.4668:                             ;   in Loop: Header=BB448_2342 Depth=1
	v_and_b32_e32 v7, 0xffff, v6
	v_or_b32_e32 v12, 0x10000, v6
	s_delay_alu instid0(VALU_DEP_2) | instskip(NEXT) | instid1(VALU_DEP_1)
	v_cmp_eq_u32_e64 s0, 0, v7
	v_cndmask_b32_e64 v25, v12, v6, s0
; %bb.4669:                             ;   in Loop: Header=BB448_2342 Depth=1
	s_or_b32 exec_lo, exec_lo, s13
	v_cmp_lt_u64_e64 s0, s[8:9], v[2:3]
	v_mov_b32_e32 v2, 0
	s_delay_alu instid0(VALU_DEP_2)
	s_and_saveexec_b32 s13, s0
	s_cbranch_execz .LBB448_4677
; %bb.4670:                             ;   in Loop: Header=BB448_2342 Depth=1
	v_lshrrev_b32_e32 v6, 24, v3
	v_bfrev_b32_e32 v2, 1
	s_mov_b32 s15, exec_lo
	s_delay_alu instid0(VALU_DEP_2)
	v_cmpx_ne_u32_e32 0x80, v6
	s_cbranch_execz .LBB448_4676
; %bb.4671:                             ;   in Loop: Header=BB448_2342 Depth=1
	v_bfe_u32 v7, v3, 24, 7
	v_mov_b32_e32 v2, 0x7f800001
	s_mov_b32 s16, exec_lo
	s_delay_alu instid0(VALU_DEP_2)
	v_cmpx_ne_u32_e32 0x7f, v7
	s_cbranch_execz .LBB448_4675
; %bb.4672:                             ;   in Loop: Header=BB448_2342 Depth=1
	v_and_b32_e32 v12, 7, v6
	s_mov_b32 s17, exec_lo
	s_delay_alu instid0(VALU_DEP_1)
	v_dual_mov_b32 v2, v12 :: v_dual_mov_b32 v3, v13
	v_lshrrev_b32_e32 v3, 3, v7
	v_cmpx_gt_u32_e32 8, v7
; %bb.4673:                             ;   in Loop: Header=BB448_2342 Depth=1
	v_clz_i32_u32_e32 v2, v12
	s_delay_alu instid0(VALU_DEP_1) | instskip(NEXT) | instid1(VALU_DEP_1)
	v_min_u32_e32 v7, 32, v2
	v_subrev_nc_u32_e32 v2, 28, v7
	s_delay_alu instid0(VALU_DEP_1) | instskip(SKIP_1) | instid1(VALU_DEP_2)
	v_lshlrev_b64 v[2:3], v2, v[12:13]
	v_sub_nc_u32_e32 v3, 29, v7
	v_and_b32_e32 v2, 7, v2
; %bb.4674:                             ;   in Loop: Header=BB448_2342 Depth=1
	s_or_b32 exec_lo, exec_lo, s17
	v_lshlrev_b32_e32 v6, 24, v6
	s_delay_alu instid0(VALU_DEP_2) | instskip(SKIP_1) | instid1(VALU_DEP_3)
	v_lshlrev_b32_e32 v2, 20, v2
	v_lshl_add_u32 v3, v3, 23, 0x3c000000
	v_and_b32_e32 v6, 0x80000000, v6
	s_delay_alu instid0(VALU_DEP_1)
	v_or3_b32 v2, v2, v6, v3
.LBB448_4675:                           ;   in Loop: Header=BB448_2342 Depth=1
	s_or_b32 exec_lo, exec_lo, s16
.LBB448_4676:                           ;   in Loop: Header=BB448_2342 Depth=1
	s_delay_alu instid0(SALU_CYCLE_1)
	s_or_b32 exec_lo, exec_lo, s15
.LBB448_4677:                           ;   in Loop: Header=BB448_2342 Depth=1
	s_delay_alu instid0(SALU_CYCLE_1) | instskip(NEXT) | instid1(VALU_DEP_1)
	s_or_b32 exec_lo, exec_lo, s13
	v_mul_f32_e32 v3, v118, v2
	s_delay_alu instid0(VALU_DEP_1) | instskip(NEXT) | instid1(VALU_DEP_1)
	v_and_b32_e32 v2, 0x7f800000, v3
	v_cmp_ne_u32_e64 s0, 0x7f800000, v2
                                        ; implicit-def: $vgpr2
	s_delay_alu instid0(VALU_DEP_1) | instskip(NEXT) | instid1(SALU_CYCLE_1)
	s_and_saveexec_b32 s13, s0
	s_xor_b32 s0, exec_lo, s13
; %bb.4678:                             ;   in Loop: Header=BB448_2342 Depth=1
	v_bfe_u32 v2, v3, 16, 1
	s_delay_alu instid0(VALU_DEP_1)
	v_add3_u32 v2, v3, v2, 0x7fff
                                        ; implicit-def: $vgpr3
; %bb.4679:                             ;   in Loop: Header=BB448_2342 Depth=1
	s_and_not1_saveexec_b32 s13, s0
; %bb.4680:                             ;   in Loop: Header=BB448_2342 Depth=1
	v_and_b32_e32 v2, 0xffff, v3
	v_or_b32_e32 v6, 0x10000, v3
	s_delay_alu instid0(VALU_DEP_2) | instskip(NEXT) | instid1(VALU_DEP_1)
	v_cmp_eq_u32_e64 s0, 0, v2
	v_cndmask_b32_e64 v2, v6, v3, s0
; %bb.4681:                             ;   in Loop: Header=BB448_2342 Depth=1
	s_or_b32 exec_lo, exec_lo, s13
	v_lshrrev_b32_e32 v6, 16, v24
	v_lshrrev_b32_e32 v7, 16, v22
	;; [unrolled: 1-line block ×8, first 2 shown]
	s_and_saveexec_b32 s13, vcc_lo
	s_cbranch_execz .LBB448_4683
; %bb.4682:                             ;   in Loop: Header=BB448_2342 Depth=1
	v_cmp_lt_i32_e64 s0, v102, v36
	s_delay_alu instid0(VALU_DEP_1) | instskip(SKIP_1) | instid1(VALU_DEP_1)
	v_cndmask_b32_e64 v16, 0, v16, s0
	v_cmp_lt_i32_e64 s0, v133, v36
	v_cndmask_b32_e64 v18, 0, v18, s0
	v_cmp_lt_i32_e64 s0, v132, v36
	s_delay_alu instid0(VALU_DEP_1) | instskip(SKIP_1) | instid1(VALU_DEP_1)
	v_cndmask_b32_e64 v21, 0, v21, s0
	v_cmp_lt_i32_e64 s0, v131, v36
	v_cndmask_b32_e64 v12, 0, v12, s0
	;; [unrolled: 5-line block ×4, first 2 shown]
.LBB448_4683:                           ;   in Loop: Header=BB448_2342 Depth=1
	s_or_b32 exec_lo, exec_lo, s13
	v_lshlrev_b32_e32 v16, 16, v16
                                        ; implicit-def: $vgpr22
	s_delay_alu instid0(VALU_DEP_1) | instskip(NEXT) | instid1(VALU_DEP_1)
	v_mul_f32_e32 v16, v134, v16
	v_and_b32_e32 v20, 0x7f800000, v16
	s_delay_alu instid0(VALU_DEP_1) | instskip(NEXT) | instid1(VALU_DEP_1)
	v_cmp_ne_u32_e64 s0, 0x7f800000, v20
	s_and_saveexec_b32 s13, s0
	s_delay_alu instid0(SALU_CYCLE_1)
	s_xor_b32 s0, exec_lo, s13
; %bb.4684:                             ;   in Loop: Header=BB448_2342 Depth=1
	v_bfe_u32 v20, v16, 16, 1
	s_delay_alu instid0(VALU_DEP_1)
	v_add3_u32 v22, v16, v20, 0x7fff
                                        ; implicit-def: $vgpr16
; %bb.4685:                             ;   in Loop: Header=BB448_2342 Depth=1
	s_and_not1_saveexec_b32 s13, s0
; %bb.4686:                             ;   in Loop: Header=BB448_2342 Depth=1
	v_and_b32_e32 v20, 0xffff, v16
	v_or_b32_e32 v22, 0x10000, v16
	s_delay_alu instid0(VALU_DEP_2) | instskip(NEXT) | instid1(VALU_DEP_1)
	v_cmp_eq_u32_e64 s0, 0, v20
	v_cndmask_b32_e64 v22, v22, v16, s0
; %bb.4687:                             ;   in Loop: Header=BB448_2342 Depth=1
	s_or_b32 exec_lo, exec_lo, s13
	v_lshlrev_b32_e32 v16, 16, v18
                                        ; implicit-def: $vgpr20
	s_delay_alu instid0(VALU_DEP_1) | instskip(NEXT) | instid1(VALU_DEP_1)
	v_mul_f32_e32 v16, v135, v16
	v_and_b32_e32 v18, 0x7f800000, v16
	s_delay_alu instid0(VALU_DEP_1) | instskip(NEXT) | instid1(VALU_DEP_1)
	v_cmp_ne_u32_e64 s0, 0x7f800000, v18
	s_and_saveexec_b32 s13, s0
	s_delay_alu instid0(SALU_CYCLE_1)
	s_xor_b32 s0, exec_lo, s13
; %bb.4688:                             ;   in Loop: Header=BB448_2342 Depth=1
	v_bfe_u32 v18, v16, 16, 1
	s_delay_alu instid0(VALU_DEP_1)
	v_add3_u32 v20, v16, v18, 0x7fff
                                        ; implicit-def: $vgpr16
; %bb.4689:                             ;   in Loop: Header=BB448_2342 Depth=1
	s_and_not1_saveexec_b32 s13, s0
; %bb.4690:                             ;   in Loop: Header=BB448_2342 Depth=1
	v_and_b32_e32 v18, 0xffff, v16
	v_or_b32_e32 v20, 0x10000, v16
	s_delay_alu instid0(VALU_DEP_2) | instskip(NEXT) | instid1(VALU_DEP_1)
	v_cmp_eq_u32_e64 s0, 0, v18
	v_cndmask_b32_e64 v20, v20, v16, s0
; %bb.4691:                             ;   in Loop: Header=BB448_2342 Depth=1
	s_or_b32 exec_lo, exec_lo, s13
	v_lshlrev_b32_e32 v16, 16, v21
	s_delay_alu instid0(VALU_DEP_1) | instskip(NEXT) | instid1(VALU_DEP_1)
	v_mul_f32_e32 v16, v144, v16
	v_and_b32_e32 v18, 0x7f800000, v16
	s_delay_alu instid0(VALU_DEP_1) | instskip(NEXT) | instid1(VALU_DEP_1)
	v_cmp_ne_u32_e64 s0, 0x7f800000, v18
                                        ; implicit-def: $vgpr18
	s_and_saveexec_b32 s13, s0
	s_delay_alu instid0(SALU_CYCLE_1)
	s_xor_b32 s0, exec_lo, s13
; %bb.4692:                             ;   in Loop: Header=BB448_2342 Depth=1
	v_bfe_u32 v18, v16, 16, 1
	s_delay_alu instid0(VALU_DEP_1)
	v_add3_u32 v18, v16, v18, 0x7fff
                                        ; implicit-def: $vgpr16
; %bb.4693:                             ;   in Loop: Header=BB448_2342 Depth=1
	s_and_not1_saveexec_b32 s13, s0
; %bb.4694:                             ;   in Loop: Header=BB448_2342 Depth=1
	v_and_b32_e32 v18, 0xffff, v16
	v_or_b32_e32 v21, 0x10000, v16
	s_delay_alu instid0(VALU_DEP_2) | instskip(NEXT) | instid1(VALU_DEP_1)
	v_cmp_eq_u32_e64 s0, 0, v18
	v_cndmask_b32_e64 v18, v21, v16, s0
; %bb.4695:                             ;   in Loop: Header=BB448_2342 Depth=1
	s_or_b32 exec_lo, exec_lo, s13
	v_lshlrev_b32_e32 v12, 16, v12
                                        ; implicit-def: $vgpr103
	s_delay_alu instid0(VALU_DEP_1) | instskip(NEXT) | instid1(VALU_DEP_1)
	v_mul_f32_e32 v12, v145, v12
	v_and_b32_e32 v16, 0x7f800000, v12
	s_delay_alu instid0(VALU_DEP_1) | instskip(NEXT) | instid1(VALU_DEP_1)
	v_cmp_ne_u32_e64 s0, 0x7f800000, v16
	s_and_saveexec_b32 s13, s0
	s_delay_alu instid0(SALU_CYCLE_1)
	s_xor_b32 s0, exec_lo, s13
; %bb.4696:                             ;   in Loop: Header=BB448_2342 Depth=1
	v_bfe_u32 v16, v12, 16, 1
	s_delay_alu instid0(VALU_DEP_1)
	v_add3_u32 v103, v12, v16, 0x7fff
                                        ; implicit-def: $vgpr12
; %bb.4697:                             ;   in Loop: Header=BB448_2342 Depth=1
	s_and_not1_saveexec_b32 s13, s0
; %bb.4698:                             ;   in Loop: Header=BB448_2342 Depth=1
	v_and_b32_e32 v16, 0xffff, v12
	v_or_b32_e32 v21, 0x10000, v12
	s_delay_alu instid0(VALU_DEP_2) | instskip(NEXT) | instid1(VALU_DEP_1)
	v_cmp_eq_u32_e64 s0, 0, v16
	v_cndmask_b32_e64 v103, v21, v12, s0
; %bb.4699:                             ;   in Loop: Header=BB448_2342 Depth=1
	s_or_b32 exec_lo, exec_lo, s13
	v_lshlrev_b32_e32 v7, 16, v7
                                        ; implicit-def: $vgpr112
	s_delay_alu instid0(VALU_DEP_1) | instskip(NEXT) | instid1(VALU_DEP_1)
	v_mul_f32_e32 v7, v146, v7
	v_and_b32_e32 v12, 0x7f800000, v7
	s_delay_alu instid0(VALU_DEP_1) | instskip(NEXT) | instid1(VALU_DEP_1)
	v_cmp_ne_u32_e64 s0, 0x7f800000, v12
	s_and_saveexec_b32 s13, s0
	s_delay_alu instid0(SALU_CYCLE_1)
	s_xor_b32 s0, exec_lo, s13
; %bb.4700:                             ;   in Loop: Header=BB448_2342 Depth=1
	v_bfe_u32 v12, v7, 16, 1
	s_delay_alu instid0(VALU_DEP_1)
	v_add3_u32 v112, v7, v12, 0x7fff
                                        ; implicit-def: $vgpr7
; %bb.4701:                             ;   in Loop: Header=BB448_2342 Depth=1
	s_and_not1_saveexec_b32 s13, s0
; %bb.4702:                             ;   in Loop: Header=BB448_2342 Depth=1
	v_and_b32_e32 v12, 0xffff, v7
	v_or_b32_e32 v16, 0x10000, v7
	s_delay_alu instid0(VALU_DEP_2) | instskip(NEXT) | instid1(VALU_DEP_1)
	v_cmp_eq_u32_e64 s0, 0, v12
	v_cndmask_b32_e64 v112, v16, v7, s0
; %bb.4703:                             ;   in Loop: Header=BB448_2342 Depth=1
	s_or_b32 exec_lo, exec_lo, s13
	v_lshlrev_b32_e32 v6, 16, v6
                                        ; implicit-def: $vgpr113
	s_delay_alu instid0(VALU_DEP_1) | instskip(NEXT) | instid1(VALU_DEP_1)
	v_mul_f32_e32 v6, v147, v6
	v_and_b32_e32 v7, 0x7f800000, v6
	s_delay_alu instid0(VALU_DEP_1) | instskip(NEXT) | instid1(VALU_DEP_1)
	v_cmp_ne_u32_e64 s0, 0x7f800000, v7
	s_and_saveexec_b32 s13, s0
	s_delay_alu instid0(SALU_CYCLE_1)
	s_xor_b32 s0, exec_lo, s13
; %bb.4704:                             ;   in Loop: Header=BB448_2342 Depth=1
	v_bfe_u32 v7, v6, 16, 1
	s_delay_alu instid0(VALU_DEP_1)
	v_add3_u32 v113, v6, v7, 0x7fff
                                        ; implicit-def: $vgpr6
; %bb.4705:                             ;   in Loop: Header=BB448_2342 Depth=1
	s_and_not1_saveexec_b32 s13, s0
; %bb.4706:                             ;   in Loop: Header=BB448_2342 Depth=1
	v_and_b32_e32 v7, 0xffff, v6
	v_or_b32_e32 v12, 0x10000, v6
	s_delay_alu instid0(VALU_DEP_2) | instskip(NEXT) | instid1(VALU_DEP_1)
	v_cmp_eq_u32_e64 s0, 0, v7
	v_cndmask_b32_e64 v113, v12, v6, s0
; %bb.4707:                             ;   in Loop: Header=BB448_2342 Depth=1
	s_or_b32 exec_lo, exec_lo, s13
	v_lshlrev_b32_e32 v3, 16, v3
                                        ; implicit-def: $vgpr114
	s_delay_alu instid0(VALU_DEP_1) | instskip(NEXT) | instid1(VALU_DEP_1)
	v_mul_f32_e32 v3, v148, v3
	v_and_b32_e32 v6, 0x7f800000, v3
	s_delay_alu instid0(VALU_DEP_1) | instskip(NEXT) | instid1(VALU_DEP_1)
	v_cmp_ne_u32_e64 s0, 0x7f800000, v6
	s_and_saveexec_b32 s13, s0
	s_delay_alu instid0(SALU_CYCLE_1)
	s_xor_b32 s0, exec_lo, s13
; %bb.4708:                             ;   in Loop: Header=BB448_2342 Depth=1
	v_bfe_u32 v6, v3, 16, 1
	s_delay_alu instid0(VALU_DEP_1)
	v_add3_u32 v114, v3, v6, 0x7fff
                                        ; implicit-def: $vgpr3
; %bb.4709:                             ;   in Loop: Header=BB448_2342 Depth=1
	s_and_not1_saveexec_b32 s13, s0
; %bb.4710:                             ;   in Loop: Header=BB448_2342 Depth=1
	v_and_b32_e32 v6, 0xffff, v3
	v_or_b32_e32 v7, 0x10000, v3
	s_delay_alu instid0(VALU_DEP_2) | instskip(NEXT) | instid1(VALU_DEP_1)
	v_cmp_eq_u32_e64 s0, 0, v6
	v_cndmask_b32_e64 v114, v7, v3, s0
; %bb.4711:                             ;   in Loop: Header=BB448_2342 Depth=1
	s_or_b32 exec_lo, exec_lo, s13
	v_lshlrev_b32_e32 v2, 16, v2
                                        ; implicit-def: $vgpr115
	s_delay_alu instid0(VALU_DEP_1) | instskip(NEXT) | instid1(VALU_DEP_1)
	v_mul_f32_e32 v2, v149, v2
	v_and_b32_e32 v3, 0x7f800000, v2
	s_delay_alu instid0(VALU_DEP_1) | instskip(NEXT) | instid1(VALU_DEP_1)
	v_cmp_ne_u32_e64 s0, 0x7f800000, v3
	s_and_saveexec_b32 s13, s0
	s_delay_alu instid0(SALU_CYCLE_1)
	s_xor_b32 s0, exec_lo, s13
; %bb.4712:                             ;   in Loop: Header=BB448_2342 Depth=1
	v_bfe_u32 v3, v2, 16, 1
	s_delay_alu instid0(VALU_DEP_1)
	v_add3_u32 v115, v2, v3, 0x7fff
                                        ; implicit-def: $vgpr2
; %bb.4713:                             ;   in Loop: Header=BB448_2342 Depth=1
	s_and_not1_saveexec_b32 s13, s0
; %bb.4714:                             ;   in Loop: Header=BB448_2342 Depth=1
	v_and_b32_e32 v3, 0xffff, v2
	v_or_b32_e32 v6, 0x10000, v2
	s_delay_alu instid0(VALU_DEP_2) | instskip(NEXT) | instid1(VALU_DEP_1)
	v_cmp_eq_u32_e64 s0, 0, v3
	v_cndmask_b32_e64 v115, v6, v2, s0
; %bb.4715:                             ;   in Loop: Header=BB448_2342 Depth=1
	s_or_b32 exec_lo, exec_lo, s13
	scratch_load_b32 v2, off, s32 offset:620 ; 4-byte Folded Reload
	s_mov_b32 s13, exec_lo
	v_mov_b32_e32 v6, 0
	s_waitcnt vmcnt(0)
	v_add_co_u32 v2, s0, v0, v2
	s_delay_alu instid0(VALU_DEP_1) | instskip(SKIP_3) | instid1(VALU_DEP_1)
	v_add_co_ci_u32_e64 v3, s0, 0, v1, s0
	flat_load_b64 v[2:3], v[2:3]
	s_waitcnt vmcnt(0) lgkmcnt(0)
	v_and_b32_e32 v7, 0xff, v2
	v_cmpx_ne_u16_e32 0, v7
	s_cbranch_execz .LBB448_4723
; %bb.4716:                             ;   in Loop: Header=BB448_2342 Depth=1
	v_bfrev_b32_e32 v6, 1
	s_mov_b32 s15, exec_lo
	v_cmpx_ne_u16_e32 0x80, v7
	s_cbranch_execz .LBB448_4722
; %bb.4717:                             ;   in Loop: Header=BB448_2342 Depth=1
	v_and_b32_e32 v7, 0x7f, v2
	v_mov_b32_e32 v6, 0x7f800001
	s_mov_b32 s16, exec_lo
	s_delay_alu instid0(VALU_DEP_2)
	v_cmpx_ne_u32_e32 0x7f, v7
	s_cbranch_execz .LBB448_4721
; %bb.4718:                             ;   in Loop: Header=BB448_2342 Depth=1
	v_lshrrev_b32_e32 v12, 3, v7
	v_cmp_gt_u32_e64 s0, 8, v7
	v_dual_mov_b32 v7, v3 :: v_dual_mov_b32 v6, v2
	s_delay_alu instid0(VALU_DEP_2)
	s_and_saveexec_b32 s17, s0
; %bb.4719:                             ;   in Loop: Header=BB448_2342 Depth=1
	v_and_b32_e32 v6, 7, v2
	s_delay_alu instid0(VALU_DEP_1) | instskip(NEXT) | instid1(VALU_DEP_1)
	v_clz_i32_u32_e32 v6, v6
	v_min_u32_e32 v12, 32, v6
	s_delay_alu instid0(VALU_DEP_1) | instskip(SKIP_1) | instid1(VALU_DEP_2)
	v_subrev_nc_u32_e32 v6, 28, v12
	v_sub_nc_u32_e32 v12, 29, v12
	v_lshlrev_b64 v[6:7], v6, v[2:3]
; %bb.4720:                             ;   in Loop: Header=BB448_2342 Depth=1
	s_or_b32 exec_lo, exec_lo, s17
	s_delay_alu instid0(VALU_DEP_1) | instskip(SKIP_2) | instid1(VALU_DEP_3)
	v_lshlrev_b32_e32 v6, 20, v6
	v_lshlrev_b32_e32 v7, 24, v2
	v_lshl_add_u32 v12, v12, 23, 0x3c000000
	v_and_b32_e32 v6, 0x700000, v6
	s_delay_alu instid0(VALU_DEP_3) | instskip(NEXT) | instid1(VALU_DEP_1)
	v_and_b32_e32 v7, 0x80000000, v7
	v_or3_b32 v6, v6, v7, v12
.LBB448_4721:                           ;   in Loop: Header=BB448_2342 Depth=1
	s_or_b32 exec_lo, exec_lo, s16
.LBB448_4722:                           ;   in Loop: Header=BB448_2342 Depth=1
	s_delay_alu instid0(SALU_CYCLE_1)
	s_or_b32 exec_lo, exec_lo, s15
.LBB448_4723:                           ;   in Loop: Header=BB448_2342 Depth=1
	s_delay_alu instid0(SALU_CYCLE_1) | instskip(NEXT) | instid1(VALU_DEP_1)
	s_or_b32 exec_lo, exec_lo, s13
	v_mul_f32_e32 v6, v118, v6
                                        ; implicit-def: $vgpr16
	s_delay_alu instid0(VALU_DEP_1) | instskip(NEXT) | instid1(VALU_DEP_1)
	v_and_b32_e32 v7, 0x7f800000, v6
	v_cmp_ne_u32_e64 s0, 0x7f800000, v7
	s_delay_alu instid0(VALU_DEP_1) | instskip(NEXT) | instid1(SALU_CYCLE_1)
	s_and_saveexec_b32 s13, s0
	s_xor_b32 s0, exec_lo, s13
; %bb.4724:                             ;   in Loop: Header=BB448_2342 Depth=1
	v_bfe_u32 v7, v6, 16, 1
	s_delay_alu instid0(VALU_DEP_1)
	v_add3_u32 v16, v6, v7, 0x7fff
                                        ; implicit-def: $vgpr6
; %bb.4725:                             ;   in Loop: Header=BB448_2342 Depth=1
	s_and_not1_saveexec_b32 s13, s0
; %bb.4726:                             ;   in Loop: Header=BB448_2342 Depth=1
	v_and_b32_e32 v7, 0xffff, v6
	v_or_b32_e32 v12, 0x10000, v6
	s_delay_alu instid0(VALU_DEP_2) | instskip(NEXT) | instid1(VALU_DEP_1)
	v_cmp_eq_u32_e64 s0, 0, v7
	v_cndmask_b32_e64 v16, v12, v6, s0
; %bb.4727:                             ;   in Loop: Header=BB448_2342 Depth=1
	s_or_b32 exec_lo, exec_lo, s13
	v_lshrrev_b16 v7, 8, v2
	v_mov_b32_e32 v6, 0
	s_mov_b32 s13, exec_lo
	s_delay_alu instid0(VALU_DEP_2)
	v_cmpx_ne_u16_e32 0, v7
	s_cbranch_execz .LBB448_4735
; %bb.4728:                             ;   in Loop: Header=BB448_2342 Depth=1
	v_bfrev_b32_e32 v6, 1
	s_mov_b32 s15, exec_lo
	v_cmpx_ne_u16_e32 0x80, v7
	s_cbranch_execz .LBB448_4734
; %bb.4729:                             ;   in Loop: Header=BB448_2342 Depth=1
	v_and_b32_e32 v7, 0xffff, v7
	v_mov_b32_e32 v6, 0x7f800001
	s_mov_b32 s16, exec_lo
	s_delay_alu instid0(VALU_DEP_2) | instskip(NEXT) | instid1(VALU_DEP_1)
	v_and_b32_e32 v21, 0x7f, v7
	v_cmpx_ne_u32_e32 0x7f, v21
	s_cbranch_execz .LBB448_4733
; %bb.4730:                             ;   in Loop: Header=BB448_2342 Depth=1
	v_and_b32_e32 v12, 7, v7
	s_mov_b32 s17, exec_lo
	s_delay_alu instid0(VALU_DEP_1)
	v_dual_mov_b32 v6, v12 :: v_dual_mov_b32 v7, v13
	v_lshrrev_b32_e32 v7, 3, v21
	v_cmpx_gt_u32_e32 8, v21
; %bb.4731:                             ;   in Loop: Header=BB448_2342 Depth=1
	v_clz_i32_u32_e32 v6, v12
	s_delay_alu instid0(VALU_DEP_1) | instskip(NEXT) | instid1(VALU_DEP_1)
	v_min_u32_e32 v21, 32, v6
	v_subrev_nc_u32_e32 v6, 28, v21
	s_delay_alu instid0(VALU_DEP_1) | instskip(SKIP_1) | instid1(VALU_DEP_2)
	v_lshlrev_b64 v[6:7], v6, v[12:13]
	v_sub_nc_u32_e32 v7, 29, v21
	v_and_b32_e32 v6, 7, v6
; %bb.4732:                             ;   in Loop: Header=BB448_2342 Depth=1
	s_or_b32 exec_lo, exec_lo, s17
	v_lshlrev_b32_e32 v12, 16, v2
	s_delay_alu instid0(VALU_DEP_2) | instskip(SKIP_1) | instid1(VALU_DEP_3)
	v_lshlrev_b32_e32 v6, 20, v6
	v_lshl_add_u32 v7, v7, 23, 0x3c000000
	v_and_b32_e32 v12, 0x80000000, v12
	s_delay_alu instid0(VALU_DEP_1)
	v_or3_b32 v6, v6, v12, v7
.LBB448_4733:                           ;   in Loop: Header=BB448_2342 Depth=1
	s_or_b32 exec_lo, exec_lo, s16
.LBB448_4734:                           ;   in Loop: Header=BB448_2342 Depth=1
	s_delay_alu instid0(SALU_CYCLE_1)
	s_or_b32 exec_lo, exec_lo, s15
.LBB448_4735:                           ;   in Loop: Header=BB448_2342 Depth=1
	s_delay_alu instid0(SALU_CYCLE_1) | instskip(NEXT) | instid1(VALU_DEP_1)
	s_or_b32 exec_lo, exec_lo, s13
	v_mul_f32_e32 v6, v118, v6
                                        ; implicit-def: $vgpr21
	s_delay_alu instid0(VALU_DEP_1) | instskip(NEXT) | instid1(VALU_DEP_1)
	v_and_b32_e32 v7, 0x7f800000, v6
	v_cmp_ne_u32_e64 s0, 0x7f800000, v7
	s_delay_alu instid0(VALU_DEP_1) | instskip(NEXT) | instid1(SALU_CYCLE_1)
	s_and_saveexec_b32 s13, s0
	s_xor_b32 s0, exec_lo, s13
; %bb.4736:                             ;   in Loop: Header=BB448_2342 Depth=1
	v_bfe_u32 v7, v6, 16, 1
	s_delay_alu instid0(VALU_DEP_1)
	v_add3_u32 v21, v6, v7, 0x7fff
                                        ; implicit-def: $vgpr6
; %bb.4737:                             ;   in Loop: Header=BB448_2342 Depth=1
	s_and_not1_saveexec_b32 s13, s0
; %bb.4738:                             ;   in Loop: Header=BB448_2342 Depth=1
	v_and_b32_e32 v7, 0xffff, v6
	v_or_b32_e32 v12, 0x10000, v6
	s_delay_alu instid0(VALU_DEP_2) | instskip(NEXT) | instid1(VALU_DEP_1)
	v_cmp_eq_u32_e64 s0, 0, v7
	v_cndmask_b32_e64 v21, v12, v6, s0
; %bb.4739:                             ;   in Loop: Header=BB448_2342 Depth=1
	s_or_b32 exec_lo, exec_lo, s13
	v_lshrrev_b32_e32 v24, 16, v2
	s_mov_b32 s13, exec_lo
	s_delay_alu instid0(VALU_DEP_1) | instskip(NEXT) | instid1(VALU_DEP_1)
	v_dual_mov_b32 v6, 0 :: v_dual_and_b32 v7, 0xff, v24
	v_cmpx_ne_u16_e32 0, v7
	s_cbranch_execz .LBB448_4747
; %bb.4740:                             ;   in Loop: Header=BB448_2342 Depth=1
	v_bfrev_b32_e32 v6, 1
	s_mov_b32 s15, exec_lo
	v_cmpx_ne_u16_e32 0x80, v7
	s_cbranch_execz .LBB448_4746
; %bb.4741:                             ;   in Loop: Header=BB448_2342 Depth=1
	v_bfe_u32 v25, v2, 16, 7
	v_mov_b32_e32 v6, 0x7f800001
	s_mov_b32 s16, exec_lo
	s_delay_alu instid0(VALU_DEP_2)
	v_cmpx_ne_u32_e32 0x7f, v25
	s_cbranch_execz .LBB448_4745
; %bb.4742:                             ;   in Loop: Header=BB448_2342 Depth=1
	v_and_b32_e32 v12, 7, v24
	s_mov_b32 s17, exec_lo
	s_delay_alu instid0(VALU_DEP_1)
	v_dual_mov_b32 v6, v12 :: v_dual_mov_b32 v7, v13
	v_lshrrev_b32_e32 v7, 3, v25
	v_cmpx_gt_u32_e32 8, v25
; %bb.4743:                             ;   in Loop: Header=BB448_2342 Depth=1
	v_clz_i32_u32_e32 v6, v12
	s_delay_alu instid0(VALU_DEP_1) | instskip(NEXT) | instid1(VALU_DEP_1)
	v_min_u32_e32 v25, 32, v6
	v_subrev_nc_u32_e32 v6, 28, v25
	s_delay_alu instid0(VALU_DEP_1) | instskip(SKIP_1) | instid1(VALU_DEP_2)
	v_lshlrev_b64 v[6:7], v6, v[12:13]
	v_sub_nc_u32_e32 v7, 29, v25
	v_and_b32_e32 v6, 7, v6
; %bb.4744:                             ;   in Loop: Header=BB448_2342 Depth=1
	s_or_b32 exec_lo, exec_lo, s17
	v_lshlrev_b32_e32 v12, 24, v24
	s_delay_alu instid0(VALU_DEP_2) | instskip(SKIP_1) | instid1(VALU_DEP_3)
	v_lshlrev_b32_e32 v6, 20, v6
	v_lshl_add_u32 v7, v7, 23, 0x3c000000
	v_and_b32_e32 v12, 0x80000000, v12
	s_delay_alu instid0(VALU_DEP_1)
	v_or3_b32 v6, v6, v12, v7
.LBB448_4745:                           ;   in Loop: Header=BB448_2342 Depth=1
	s_or_b32 exec_lo, exec_lo, s16
.LBB448_4746:                           ;   in Loop: Header=BB448_2342 Depth=1
	s_delay_alu instid0(SALU_CYCLE_1)
	s_or_b32 exec_lo, exec_lo, s15
.LBB448_4747:                           ;   in Loop: Header=BB448_2342 Depth=1
	s_delay_alu instid0(SALU_CYCLE_1) | instskip(NEXT) | instid1(VALU_DEP_1)
	s_or_b32 exec_lo, exec_lo, s13
	v_mul_f32_e32 v6, v118, v6
                                        ; implicit-def: $vgpr24
	s_delay_alu instid0(VALU_DEP_1) | instskip(NEXT) | instid1(VALU_DEP_1)
	v_and_b32_e32 v7, 0x7f800000, v6
	v_cmp_ne_u32_e64 s0, 0x7f800000, v7
	s_delay_alu instid0(VALU_DEP_1) | instskip(NEXT) | instid1(SALU_CYCLE_1)
	s_and_saveexec_b32 s13, s0
	s_xor_b32 s0, exec_lo, s13
; %bb.4748:                             ;   in Loop: Header=BB448_2342 Depth=1
	v_bfe_u32 v7, v6, 16, 1
	s_delay_alu instid0(VALU_DEP_1)
	v_add3_u32 v24, v6, v7, 0x7fff
                                        ; implicit-def: $vgpr6
; %bb.4749:                             ;   in Loop: Header=BB448_2342 Depth=1
	s_and_not1_saveexec_b32 s13, s0
; %bb.4750:                             ;   in Loop: Header=BB448_2342 Depth=1
	v_and_b32_e32 v7, 0xffff, v6
	v_or_b32_e32 v12, 0x10000, v6
	s_delay_alu instid0(VALU_DEP_2) | instskip(NEXT) | instid1(VALU_DEP_1)
	v_cmp_eq_u32_e64 s0, 0, v7
	v_cndmask_b32_e64 v24, v12, v6, s0
; %bb.4751:                             ;   in Loop: Header=BB448_2342 Depth=1
	s_or_b32 exec_lo, exec_lo, s13
	v_mov_b32_e32 v6, 0
	s_mov_b32 s13, exec_lo
	v_cmpx_lt_u32_e32 0xffffff, v2
	s_cbranch_execz .LBB448_4759
; %bb.4752:                             ;   in Loop: Header=BB448_2342 Depth=1
	v_lshrrev_b32_e32 v25, 24, v2
	v_bfrev_b32_e32 v6, 1
	s_mov_b32 s15, exec_lo
	s_delay_alu instid0(VALU_DEP_2)
	v_cmpx_ne_u32_e32 0x80, v25
	s_cbranch_execz .LBB448_4758
; %bb.4753:                             ;   in Loop: Header=BB448_2342 Depth=1
	v_bfe_u32 v28, v2, 24, 7
	v_mov_b32_e32 v6, 0x7f800001
	s_mov_b32 s16, exec_lo
	s_delay_alu instid0(VALU_DEP_2)
	v_cmpx_ne_u32_e32 0x7f, v28
	s_cbranch_execz .LBB448_4757
; %bb.4754:                             ;   in Loop: Header=BB448_2342 Depth=1
	v_and_b32_e32 v12, 7, v25
	s_mov_b32 s17, exec_lo
	s_delay_alu instid0(VALU_DEP_1)
	v_dual_mov_b32 v6, v12 :: v_dual_mov_b32 v7, v13
	v_lshrrev_b32_e32 v7, 3, v28
	v_cmpx_gt_u32_e32 8, v28
; %bb.4755:                             ;   in Loop: Header=BB448_2342 Depth=1
	v_clz_i32_u32_e32 v6, v12
	s_delay_alu instid0(VALU_DEP_1) | instskip(NEXT) | instid1(VALU_DEP_1)
	v_min_u32_e32 v28, 32, v6
	v_subrev_nc_u32_e32 v6, 28, v28
	s_delay_alu instid0(VALU_DEP_1) | instskip(SKIP_1) | instid1(VALU_DEP_2)
	v_lshlrev_b64 v[6:7], v6, v[12:13]
	v_sub_nc_u32_e32 v7, 29, v28
	v_and_b32_e32 v6, 7, v6
; %bb.4756:                             ;   in Loop: Header=BB448_2342 Depth=1
	s_or_b32 exec_lo, exec_lo, s17
	v_lshlrev_b32_e32 v12, 24, v25
	s_delay_alu instid0(VALU_DEP_2) | instskip(SKIP_1) | instid1(VALU_DEP_3)
	v_lshlrev_b32_e32 v6, 20, v6
	v_lshl_add_u32 v7, v7, 23, 0x3c000000
	v_and_b32_e32 v12, 0x80000000, v12
	s_delay_alu instid0(VALU_DEP_1)
	v_or3_b32 v6, v6, v12, v7
.LBB448_4757:                           ;   in Loop: Header=BB448_2342 Depth=1
	s_or_b32 exec_lo, exec_lo, s16
.LBB448_4758:                           ;   in Loop: Header=BB448_2342 Depth=1
	s_delay_alu instid0(SALU_CYCLE_1)
	s_or_b32 exec_lo, exec_lo, s15
.LBB448_4759:                           ;   in Loop: Header=BB448_2342 Depth=1
	s_delay_alu instid0(SALU_CYCLE_1) | instskip(NEXT) | instid1(VALU_DEP_1)
	s_or_b32 exec_lo, exec_lo, s13
	v_mul_f32_e32 v6, v118, v6
                                        ; implicit-def: $vgpr25
	s_delay_alu instid0(VALU_DEP_1) | instskip(NEXT) | instid1(VALU_DEP_1)
	v_and_b32_e32 v7, 0x7f800000, v6
	v_cmp_ne_u32_e64 s0, 0x7f800000, v7
	s_delay_alu instid0(VALU_DEP_1) | instskip(NEXT) | instid1(SALU_CYCLE_1)
	s_and_saveexec_b32 s13, s0
	s_xor_b32 s0, exec_lo, s13
; %bb.4760:                             ;   in Loop: Header=BB448_2342 Depth=1
	v_bfe_u32 v7, v6, 16, 1
	s_delay_alu instid0(VALU_DEP_1)
	v_add3_u32 v25, v6, v7, 0x7fff
                                        ; implicit-def: $vgpr6
; %bb.4761:                             ;   in Loop: Header=BB448_2342 Depth=1
	s_and_not1_saveexec_b32 s13, s0
; %bb.4762:                             ;   in Loop: Header=BB448_2342 Depth=1
	v_and_b32_e32 v7, 0xffff, v6
	v_or_b32_e32 v12, 0x10000, v6
	s_delay_alu instid0(VALU_DEP_2) | instskip(NEXT) | instid1(VALU_DEP_1)
	v_cmp_eq_u32_e64 s0, 0, v7
	v_cndmask_b32_e64 v25, v12, v6, s0
; %bb.4763:                             ;   in Loop: Header=BB448_2342 Depth=1
	s_or_b32 exec_lo, exec_lo, s13
	v_dual_mov_b32 v12, v3 :: v_dual_and_b32 v7, 0xff, v3
	v_mov_b32_e32 v6, 0
	s_mov_b32 s13, exec_lo
	s_delay_alu instid0(VALU_DEP_2)
	v_cmpx_ne_u16_e32 0, v7
	s_cbranch_execz .LBB448_4771
; %bb.4764:                             ;   in Loop: Header=BB448_2342 Depth=1
	v_bfrev_b32_e32 v6, 1
	s_mov_b32 s15, exec_lo
	v_cmpx_ne_u16_e32 0x80, v7
	s_cbranch_execz .LBB448_4770
; %bb.4765:                             ;   in Loop: Header=BB448_2342 Depth=1
	v_and_b32_e32 v28, 0x7f, v3
	v_mov_b32_e32 v6, 0x7f800001
	s_mov_b32 s16, exec_lo
	s_delay_alu instid0(VALU_DEP_2)
	v_cmpx_ne_u32_e32 0x7f, v28
	s_cbranch_execz .LBB448_4769
; %bb.4766:                             ;   in Loop: Header=BB448_2342 Depth=1
	v_dual_mov_b32 v6, v12 :: v_dual_mov_b32 v7, v13
	v_lshrrev_b32_e32 v7, 3, v28
	s_mov_b32 s17, exec_lo
	v_cmpx_gt_u32_e32 8, v28
; %bb.4767:                             ;   in Loop: Header=BB448_2342 Depth=1
	v_and_b32_e32 v6, 7, v3
	s_delay_alu instid0(VALU_DEP_1) | instskip(NEXT) | instid1(VALU_DEP_1)
	v_clz_i32_u32_e32 v6, v6
	v_min_u32_e32 v28, 32, v6
	s_delay_alu instid0(VALU_DEP_1) | instskip(NEXT) | instid1(VALU_DEP_1)
	v_subrev_nc_u32_e32 v6, 28, v28
	v_lshlrev_b64 v[6:7], v6, v[12:13]
	v_sub_nc_u32_e32 v7, 29, v28
; %bb.4768:                             ;   in Loop: Header=BB448_2342 Depth=1
	s_or_b32 exec_lo, exec_lo, s17
	s_delay_alu instid0(VALU_DEP_2) | instskip(SKIP_1) | instid1(VALU_DEP_3)
	v_lshlrev_b32_e32 v6, 20, v6
	v_lshlrev_b32_e32 v28, 24, v12
	v_lshl_add_u32 v7, v7, 23, 0x3c000000
	s_delay_alu instid0(VALU_DEP_3) | instskip(NEXT) | instid1(VALU_DEP_3)
	v_and_b32_e32 v6, 0x700000, v6
	v_and_b32_e32 v28, 0x80000000, v28
	s_delay_alu instid0(VALU_DEP_1)
	v_or3_b32 v6, v6, v28, v7
.LBB448_4769:                           ;   in Loop: Header=BB448_2342 Depth=1
	s_or_b32 exec_lo, exec_lo, s16
.LBB448_4770:                           ;   in Loop: Header=BB448_2342 Depth=1
	s_delay_alu instid0(SALU_CYCLE_1)
	s_or_b32 exec_lo, exec_lo, s15
.LBB448_4771:                           ;   in Loop: Header=BB448_2342 Depth=1
	s_delay_alu instid0(SALU_CYCLE_1) | instskip(NEXT) | instid1(VALU_DEP_1)
	s_or_b32 exec_lo, exec_lo, s13
	v_mul_f32_e32 v6, v118, v6
                                        ; implicit-def: $vgpr28
	s_delay_alu instid0(VALU_DEP_1) | instskip(NEXT) | instid1(VALU_DEP_1)
	v_and_b32_e32 v7, 0x7f800000, v6
	v_cmp_ne_u32_e64 s0, 0x7f800000, v7
	s_delay_alu instid0(VALU_DEP_1) | instskip(NEXT) | instid1(SALU_CYCLE_1)
	s_and_saveexec_b32 s13, s0
	s_xor_b32 s0, exec_lo, s13
; %bb.4772:                             ;   in Loop: Header=BB448_2342 Depth=1
	v_bfe_u32 v7, v6, 16, 1
	s_delay_alu instid0(VALU_DEP_1)
	v_add3_u32 v28, v6, v7, 0x7fff
                                        ; implicit-def: $vgpr6
; %bb.4773:                             ;   in Loop: Header=BB448_2342 Depth=1
	s_and_not1_saveexec_b32 s13, s0
; %bb.4774:                             ;   in Loop: Header=BB448_2342 Depth=1
	v_and_b32_e32 v7, 0xffff, v6
	v_or_b32_e32 v28, 0x10000, v6
	s_delay_alu instid0(VALU_DEP_2) | instskip(NEXT) | instid1(VALU_DEP_1)
	v_cmp_eq_u32_e64 s0, 0, v7
	v_cndmask_b32_e64 v28, v28, v6, s0
; %bb.4775:                             ;   in Loop: Header=BB448_2342 Depth=1
	s_or_b32 exec_lo, exec_lo, s13
	v_lshrrev_b16 v7, 8, v12
	v_mov_b32_e32 v6, 0
	s_mov_b32 s13, exec_lo
	s_delay_alu instid0(VALU_DEP_2)
	v_cmpx_ne_u16_e32 0, v7
	s_cbranch_execz .LBB448_4783
; %bb.4776:                             ;   in Loop: Header=BB448_2342 Depth=1
	v_bfrev_b32_e32 v6, 1
	s_mov_b32 s15, exec_lo
	v_cmpx_ne_u16_e32 0x80, v7
	s_cbranch_execz .LBB448_4782
; %bb.4777:                             ;   in Loop: Header=BB448_2342 Depth=1
	v_and_b32_e32 v7, 0xffff, v7
	v_mov_b32_e32 v6, 0x7f800001
	s_mov_b32 s16, exec_lo
	s_delay_alu instid0(VALU_DEP_2) | instskip(NEXT) | instid1(VALU_DEP_1)
	v_and_b32_e32 v31, 0x7f, v7
	v_cmpx_ne_u32_e32 0x7f, v31
	s_cbranch_execz .LBB448_4781
; %bb.4778:                             ;   in Loop: Header=BB448_2342 Depth=1
	v_dual_mov_b32 v7, v13 :: v_dual_and_b32 v6, 7, v7
	v_lshrrev_b32_e32 v29, 3, v31
	s_mov_b32 s17, exec_lo
	v_cmpx_gt_u32_e32 8, v31
; %bb.4779:                             ;   in Loop: Header=BB448_2342 Depth=1
	s_delay_alu instid0(VALU_DEP_3) | instskip(NEXT) | instid1(VALU_DEP_1)
	v_clz_i32_u32_e32 v29, v6
	v_min_u32_e32 v29, 32, v29
	s_delay_alu instid0(VALU_DEP_1) | instskip(SKIP_1) | instid1(VALU_DEP_2)
	v_subrev_nc_u32_e32 v31, 28, v29
	v_sub_nc_u32_e32 v29, 29, v29
	v_lshlrev_b64 v[6:7], v31, v[6:7]
	s_delay_alu instid0(VALU_DEP_1)
	v_and_b32_e32 v6, 7, v6
; %bb.4780:                             ;   in Loop: Header=BB448_2342 Depth=1
	s_or_b32 exec_lo, exec_lo, s17
	v_lshlrev_b32_e32 v7, 16, v12
	s_delay_alu instid0(VALU_DEP_2) | instskip(SKIP_1) | instid1(VALU_DEP_3)
	v_lshlrev_b32_e32 v6, 20, v6
	v_lshl_add_u32 v12, v29, 23, 0x3c000000
	v_and_b32_e32 v7, 0x80000000, v7
	s_delay_alu instid0(VALU_DEP_1)
	v_or3_b32 v6, v6, v7, v12
.LBB448_4781:                           ;   in Loop: Header=BB448_2342 Depth=1
	s_or_b32 exec_lo, exec_lo, s16
.LBB448_4782:                           ;   in Loop: Header=BB448_2342 Depth=1
	s_delay_alu instid0(SALU_CYCLE_1)
	s_or_b32 exec_lo, exec_lo, s15
.LBB448_4783:                           ;   in Loop: Header=BB448_2342 Depth=1
	s_delay_alu instid0(SALU_CYCLE_1) | instskip(NEXT) | instid1(VALU_DEP_1)
	s_or_b32 exec_lo, exec_lo, s13
	v_mul_f32_e32 v6, v118, v6
                                        ; implicit-def: $vgpr29
	s_delay_alu instid0(VALU_DEP_1) | instskip(NEXT) | instid1(VALU_DEP_1)
	v_and_b32_e32 v7, 0x7f800000, v6
	v_cmp_ne_u32_e64 s0, 0x7f800000, v7
	s_delay_alu instid0(VALU_DEP_1) | instskip(NEXT) | instid1(SALU_CYCLE_1)
	s_and_saveexec_b32 s13, s0
	s_xor_b32 s0, exec_lo, s13
; %bb.4784:                             ;   in Loop: Header=BB448_2342 Depth=1
	v_bfe_u32 v7, v6, 16, 1
	s_delay_alu instid0(VALU_DEP_1)
	v_add3_u32 v29, v6, v7, 0x7fff
                                        ; implicit-def: $vgpr6
; %bb.4785:                             ;   in Loop: Header=BB448_2342 Depth=1
	s_and_not1_saveexec_b32 s13, s0
; %bb.4786:                             ;   in Loop: Header=BB448_2342 Depth=1
	v_and_b32_e32 v7, 0xffff, v6
	v_or_b32_e32 v12, 0x10000, v6
	s_delay_alu instid0(VALU_DEP_2) | instskip(NEXT) | instid1(VALU_DEP_1)
	v_cmp_eq_u32_e64 s0, 0, v7
	v_cndmask_b32_e64 v29, v12, v6, s0
; %bb.4787:                             ;   in Loop: Header=BB448_2342 Depth=1
	s_or_b32 exec_lo, exec_lo, s13
	v_lshrrev_b32_e32 v31, 16, v3
	s_mov_b32 s13, exec_lo
	s_delay_alu instid0(VALU_DEP_1) | instskip(NEXT) | instid1(VALU_DEP_1)
	v_dual_mov_b32 v6, 0 :: v_dual_and_b32 v7, 0xff, v31
	v_cmpx_ne_u16_e32 0, v7
	s_cbranch_execz .LBB448_4795
; %bb.4788:                             ;   in Loop: Header=BB448_2342 Depth=1
	v_bfrev_b32_e32 v6, 1
	s_mov_b32 s15, exec_lo
	v_cmpx_ne_u16_e32 0x80, v7
	s_cbranch_execz .LBB448_4794
; %bb.4789:                             ;   in Loop: Header=BB448_2342 Depth=1
	v_bfe_u32 v32, v3, 16, 7
	v_mov_b32_e32 v6, 0x7f800001
	s_mov_b32 s16, exec_lo
	s_delay_alu instid0(VALU_DEP_2)
	v_cmpx_ne_u32_e32 0x7f, v32
	s_cbranch_execz .LBB448_4793
; %bb.4790:                             ;   in Loop: Header=BB448_2342 Depth=1
	v_and_b32_e32 v12, 7, v31
	s_mov_b32 s17, exec_lo
	s_delay_alu instid0(VALU_DEP_1)
	v_dual_mov_b32 v6, v12 :: v_dual_mov_b32 v7, v13
	v_lshrrev_b32_e32 v7, 3, v32
	v_cmpx_gt_u32_e32 8, v32
; %bb.4791:                             ;   in Loop: Header=BB448_2342 Depth=1
	v_clz_i32_u32_e32 v6, v12
	s_delay_alu instid0(VALU_DEP_1) | instskip(NEXT) | instid1(VALU_DEP_1)
	v_min_u32_e32 v32, 32, v6
	v_subrev_nc_u32_e32 v6, 28, v32
	s_delay_alu instid0(VALU_DEP_1) | instskip(SKIP_1) | instid1(VALU_DEP_2)
	v_lshlrev_b64 v[6:7], v6, v[12:13]
	v_sub_nc_u32_e32 v7, 29, v32
	v_and_b32_e32 v6, 7, v6
; %bb.4792:                             ;   in Loop: Header=BB448_2342 Depth=1
	s_or_b32 exec_lo, exec_lo, s17
	v_lshlrev_b32_e32 v12, 24, v31
	s_delay_alu instid0(VALU_DEP_2) | instskip(SKIP_1) | instid1(VALU_DEP_3)
	v_lshlrev_b32_e32 v6, 20, v6
	v_lshl_add_u32 v7, v7, 23, 0x3c000000
	v_and_b32_e32 v12, 0x80000000, v12
	s_delay_alu instid0(VALU_DEP_1)
	v_or3_b32 v6, v6, v12, v7
.LBB448_4793:                           ;   in Loop: Header=BB448_2342 Depth=1
	s_or_b32 exec_lo, exec_lo, s16
.LBB448_4794:                           ;   in Loop: Header=BB448_2342 Depth=1
	s_delay_alu instid0(SALU_CYCLE_1)
	s_or_b32 exec_lo, exec_lo, s15
.LBB448_4795:                           ;   in Loop: Header=BB448_2342 Depth=1
	s_delay_alu instid0(SALU_CYCLE_1) | instskip(NEXT) | instid1(VALU_DEP_1)
	s_or_b32 exec_lo, exec_lo, s13
	v_mul_f32_e32 v6, v118, v6
                                        ; implicit-def: $vgpr31
	s_delay_alu instid0(VALU_DEP_1) | instskip(NEXT) | instid1(VALU_DEP_1)
	v_and_b32_e32 v7, 0x7f800000, v6
	v_cmp_ne_u32_e64 s0, 0x7f800000, v7
	s_delay_alu instid0(VALU_DEP_1) | instskip(NEXT) | instid1(SALU_CYCLE_1)
	s_and_saveexec_b32 s13, s0
	s_xor_b32 s0, exec_lo, s13
; %bb.4796:                             ;   in Loop: Header=BB448_2342 Depth=1
	v_bfe_u32 v7, v6, 16, 1
	s_delay_alu instid0(VALU_DEP_1)
	v_add3_u32 v31, v6, v7, 0x7fff
                                        ; implicit-def: $vgpr6
; %bb.4797:                             ;   in Loop: Header=BB448_2342 Depth=1
	s_and_not1_saveexec_b32 s13, s0
; %bb.4798:                             ;   in Loop: Header=BB448_2342 Depth=1
	v_and_b32_e32 v7, 0xffff, v6
	v_or_b32_e32 v12, 0x10000, v6
	s_delay_alu instid0(VALU_DEP_2) | instskip(NEXT) | instid1(VALU_DEP_1)
	v_cmp_eq_u32_e64 s0, 0, v7
	v_cndmask_b32_e64 v31, v12, v6, s0
; %bb.4799:                             ;   in Loop: Header=BB448_2342 Depth=1
	s_or_b32 exec_lo, exec_lo, s13
	v_cmp_lt_u64_e64 s0, s[8:9], v[2:3]
	v_mov_b32_e32 v2, 0
	s_delay_alu instid0(VALU_DEP_2)
	s_and_saveexec_b32 s13, s0
	s_cbranch_execz .LBB448_4807
; %bb.4800:                             ;   in Loop: Header=BB448_2342 Depth=1
	v_lshrrev_b32_e32 v6, 24, v3
	v_bfrev_b32_e32 v2, 1
	s_mov_b32 s15, exec_lo
	s_delay_alu instid0(VALU_DEP_2)
	v_cmpx_ne_u32_e32 0x80, v6
	s_cbranch_execz .LBB448_4806
; %bb.4801:                             ;   in Loop: Header=BB448_2342 Depth=1
	v_bfe_u32 v7, v3, 24, 7
	v_mov_b32_e32 v2, 0x7f800001
	s_mov_b32 s16, exec_lo
	s_delay_alu instid0(VALU_DEP_2)
	v_cmpx_ne_u32_e32 0x7f, v7
	s_cbranch_execz .LBB448_4805
; %bb.4802:                             ;   in Loop: Header=BB448_2342 Depth=1
	v_and_b32_e32 v12, 7, v6
	s_mov_b32 s17, exec_lo
	s_delay_alu instid0(VALU_DEP_1)
	v_dual_mov_b32 v2, v12 :: v_dual_mov_b32 v3, v13
	v_lshrrev_b32_e32 v3, 3, v7
	v_cmpx_gt_u32_e32 8, v7
; %bb.4803:                             ;   in Loop: Header=BB448_2342 Depth=1
	v_clz_i32_u32_e32 v2, v12
	s_delay_alu instid0(VALU_DEP_1) | instskip(NEXT) | instid1(VALU_DEP_1)
	v_min_u32_e32 v7, 32, v2
	v_subrev_nc_u32_e32 v2, 28, v7
	s_delay_alu instid0(VALU_DEP_1) | instskip(SKIP_1) | instid1(VALU_DEP_2)
	v_lshlrev_b64 v[2:3], v2, v[12:13]
	v_sub_nc_u32_e32 v3, 29, v7
	v_and_b32_e32 v2, 7, v2
; %bb.4804:                             ;   in Loop: Header=BB448_2342 Depth=1
	s_or_b32 exec_lo, exec_lo, s17
	v_lshlrev_b32_e32 v6, 24, v6
	s_delay_alu instid0(VALU_DEP_2) | instskip(SKIP_1) | instid1(VALU_DEP_3)
	v_lshlrev_b32_e32 v2, 20, v2
	v_lshl_add_u32 v3, v3, 23, 0x3c000000
	v_and_b32_e32 v6, 0x80000000, v6
	s_delay_alu instid0(VALU_DEP_1)
	v_or3_b32 v2, v2, v6, v3
.LBB448_4805:                           ;   in Loop: Header=BB448_2342 Depth=1
	s_or_b32 exec_lo, exec_lo, s16
.LBB448_4806:                           ;   in Loop: Header=BB448_2342 Depth=1
	s_delay_alu instid0(SALU_CYCLE_1)
	s_or_b32 exec_lo, exec_lo, s15
.LBB448_4807:                           ;   in Loop: Header=BB448_2342 Depth=1
	s_delay_alu instid0(SALU_CYCLE_1) | instskip(NEXT) | instid1(VALU_DEP_1)
	s_or_b32 exec_lo, exec_lo, s13
	v_mul_f32_e32 v3, v118, v2
	s_delay_alu instid0(VALU_DEP_1) | instskip(NEXT) | instid1(VALU_DEP_1)
	v_and_b32_e32 v2, 0x7f800000, v3
	v_cmp_ne_u32_e64 s0, 0x7f800000, v2
                                        ; implicit-def: $vgpr2
	s_delay_alu instid0(VALU_DEP_1) | instskip(NEXT) | instid1(SALU_CYCLE_1)
	s_and_saveexec_b32 s13, s0
	s_xor_b32 s0, exec_lo, s13
; %bb.4808:                             ;   in Loop: Header=BB448_2342 Depth=1
	v_bfe_u32 v2, v3, 16, 1
	s_delay_alu instid0(VALU_DEP_1)
	v_add3_u32 v2, v3, v2, 0x7fff
                                        ; implicit-def: $vgpr3
; %bb.4809:                             ;   in Loop: Header=BB448_2342 Depth=1
	s_and_not1_saveexec_b32 s13, s0
; %bb.4810:                             ;   in Loop: Header=BB448_2342 Depth=1
	v_and_b32_e32 v2, 0xffff, v3
	v_or_b32_e32 v6, 0x10000, v3
	s_delay_alu instid0(VALU_DEP_2) | instskip(NEXT) | instid1(VALU_DEP_1)
	v_cmp_eq_u32_e64 s0, 0, v2
	v_cndmask_b32_e64 v2, v6, v3, s0
; %bb.4811:                             ;   in Loop: Header=BB448_2342 Depth=1
	s_or_b32 exec_lo, exec_lo, s13
	v_lshrrev_b32_e32 v6, 16, v29
	v_lshrrev_b32_e32 v7, 16, v28
	;; [unrolled: 1-line block ×8, first 2 shown]
	s_and_saveexec_b32 s13, vcc_lo
	s_cbranch_execz .LBB448_4813
; %bb.4812:                             ;   in Loop: Header=BB448_2342 Depth=1
	v_cmp_lt_i32_e64 s0, v102, v36
	s_delay_alu instid0(VALU_DEP_1) | instskip(SKIP_1) | instid1(VALU_DEP_1)
	v_cndmask_b32_e64 v16, 0, v16, s0
	v_cmp_lt_i32_e64 s0, v133, v36
	v_cndmask_b32_e64 v21, 0, v21, s0
	v_cmp_lt_i32_e64 s0, v132, v36
	s_delay_alu instid0(VALU_DEP_1) | instskip(SKIP_1) | instid1(VALU_DEP_1)
	v_cndmask_b32_e64 v24, 0, v24, s0
	v_cmp_lt_i32_e64 s0, v131, v36
	v_cndmask_b32_e64 v12, 0, v12, s0
	;; [unrolled: 5-line block ×4, first 2 shown]
.LBB448_4813:                           ;   in Loop: Header=BB448_2342 Depth=1
	s_or_b32 exec_lo, exec_lo, s13
	v_lshlrev_b32_e32 v16, 16, v16
                                        ; implicit-def: $vgpr116
	s_delay_alu instid0(VALU_DEP_1) | instskip(NEXT) | instid1(VALU_DEP_1)
	v_mul_f32_e32 v16, v134, v16
	v_and_b32_e32 v25, 0x7f800000, v16
	s_delay_alu instid0(VALU_DEP_1) | instskip(NEXT) | instid1(VALU_DEP_1)
	v_cmp_ne_u32_e64 s0, 0x7f800000, v25
	s_and_saveexec_b32 s13, s0
	s_delay_alu instid0(SALU_CYCLE_1)
	s_xor_b32 s0, exec_lo, s13
; %bb.4814:                             ;   in Loop: Header=BB448_2342 Depth=1
	v_bfe_u32 v25, v16, 16, 1
	s_delay_alu instid0(VALU_DEP_1)
	v_add3_u32 v116, v16, v25, 0x7fff
                                        ; implicit-def: $vgpr16
; %bb.4815:                             ;   in Loop: Header=BB448_2342 Depth=1
	s_and_not1_saveexec_b32 s13, s0
; %bb.4816:                             ;   in Loop: Header=BB448_2342 Depth=1
	v_and_b32_e32 v25, 0xffff, v16
	v_or_b32_e32 v28, 0x10000, v16
	s_delay_alu instid0(VALU_DEP_2) | instskip(NEXT) | instid1(VALU_DEP_1)
	v_cmp_eq_u32_e64 s0, 0, v25
	v_cndmask_b32_e64 v116, v28, v16, s0
; %bb.4817:                             ;   in Loop: Header=BB448_2342 Depth=1
	s_or_b32 exec_lo, exec_lo, s13
	v_lshlrev_b32_e32 v16, 16, v21
                                        ; implicit-def: $vgpr117
	s_delay_alu instid0(VALU_DEP_1) | instskip(NEXT) | instid1(VALU_DEP_1)
	v_mul_f32_e32 v16, v135, v16
	v_and_b32_e32 v21, 0x7f800000, v16
	s_delay_alu instid0(VALU_DEP_1) | instskip(NEXT) | instid1(VALU_DEP_1)
	v_cmp_ne_u32_e64 s0, 0x7f800000, v21
	s_and_saveexec_b32 s13, s0
	s_delay_alu instid0(SALU_CYCLE_1)
	s_xor_b32 s0, exec_lo, s13
; %bb.4818:                             ;   in Loop: Header=BB448_2342 Depth=1
	v_bfe_u32 v21, v16, 16, 1
	s_delay_alu instid0(VALU_DEP_1)
	v_add3_u32 v117, v16, v21, 0x7fff
                                        ; implicit-def: $vgpr16
; %bb.4819:                             ;   in Loop: Header=BB448_2342 Depth=1
	s_and_not1_saveexec_b32 s13, s0
; %bb.4820:                             ;   in Loop: Header=BB448_2342 Depth=1
	v_and_b32_e32 v21, 0xffff, v16
	v_or_b32_e32 v25, 0x10000, v16
	s_delay_alu instid0(VALU_DEP_2) | instskip(NEXT) | instid1(VALU_DEP_1)
	v_cmp_eq_u32_e64 s0, 0, v21
	v_cndmask_b32_e64 v117, v25, v16, s0
; %bb.4821:                             ;   in Loop: Header=BB448_2342 Depth=1
	s_or_b32 exec_lo, exec_lo, s13
	v_lshlrev_b32_e32 v16, 16, v24
                                        ; implicit-def: $vgpr150
	s_delay_alu instid0(VALU_DEP_1) | instskip(NEXT) | instid1(VALU_DEP_1)
	v_mul_f32_e32 v16, v144, v16
	v_and_b32_e32 v21, 0x7f800000, v16
	s_delay_alu instid0(VALU_DEP_1) | instskip(NEXT) | instid1(VALU_DEP_1)
	v_cmp_ne_u32_e64 s0, 0x7f800000, v21
	s_and_saveexec_b32 s13, s0
	s_delay_alu instid0(SALU_CYCLE_1)
	s_xor_b32 s0, exec_lo, s13
; %bb.4822:                             ;   in Loop: Header=BB448_2342 Depth=1
	v_bfe_u32 v21, v16, 16, 1
	s_delay_alu instid0(VALU_DEP_1)
	v_add3_u32 v150, v16, v21, 0x7fff
                                        ; implicit-def: $vgpr16
; %bb.4823:                             ;   in Loop: Header=BB448_2342 Depth=1
	s_and_not1_saveexec_b32 s13, s0
; %bb.4824:                             ;   in Loop: Header=BB448_2342 Depth=1
	v_and_b32_e32 v21, 0xffff, v16
	v_or_b32_e32 v24, 0x10000, v16
	s_delay_alu instid0(VALU_DEP_2) | instskip(NEXT) | instid1(VALU_DEP_1)
	v_cmp_eq_u32_e64 s0, 0, v21
	v_cndmask_b32_e64 v150, v24, v16, s0
; %bb.4825:                             ;   in Loop: Header=BB448_2342 Depth=1
	s_or_b32 exec_lo, exec_lo, s13
	v_lshlrev_b32_e32 v12, 16, v12
                                        ; implicit-def: $vgpr151
	s_delay_alu instid0(VALU_DEP_1) | instskip(NEXT) | instid1(VALU_DEP_1)
	v_mul_f32_e32 v12, v145, v12
	v_and_b32_e32 v16, 0x7f800000, v12
	s_delay_alu instid0(VALU_DEP_1) | instskip(NEXT) | instid1(VALU_DEP_1)
	v_cmp_ne_u32_e64 s0, 0x7f800000, v16
	s_and_saveexec_b32 s13, s0
	s_delay_alu instid0(SALU_CYCLE_1)
	s_xor_b32 s0, exec_lo, s13
; %bb.4826:                             ;   in Loop: Header=BB448_2342 Depth=1
	v_bfe_u32 v16, v12, 16, 1
	s_delay_alu instid0(VALU_DEP_1)
	v_add3_u32 v151, v12, v16, 0x7fff
                                        ; implicit-def: $vgpr12
; %bb.4827:                             ;   in Loop: Header=BB448_2342 Depth=1
	s_and_not1_saveexec_b32 s13, s0
; %bb.4828:                             ;   in Loop: Header=BB448_2342 Depth=1
	v_and_b32_e32 v16, 0xffff, v12
	v_or_b32_e32 v21, 0x10000, v12
	s_delay_alu instid0(VALU_DEP_2) | instskip(NEXT) | instid1(VALU_DEP_1)
	v_cmp_eq_u32_e64 s0, 0, v16
	v_cndmask_b32_e64 v151, v21, v12, s0
; %bb.4829:                             ;   in Loop: Header=BB448_2342 Depth=1
	s_or_b32 exec_lo, exec_lo, s13
	v_lshlrev_b32_e32 v7, 16, v7
                                        ; implicit-def: $vgpr160
	s_delay_alu instid0(VALU_DEP_1) | instskip(NEXT) | instid1(VALU_DEP_1)
	v_mul_f32_e32 v7, v146, v7
	v_and_b32_e32 v12, 0x7f800000, v7
	s_delay_alu instid0(VALU_DEP_1) | instskip(NEXT) | instid1(VALU_DEP_1)
	v_cmp_ne_u32_e64 s0, 0x7f800000, v12
	s_and_saveexec_b32 s13, s0
	s_delay_alu instid0(SALU_CYCLE_1)
	s_xor_b32 s0, exec_lo, s13
; %bb.4830:                             ;   in Loop: Header=BB448_2342 Depth=1
	v_bfe_u32 v12, v7, 16, 1
	s_delay_alu instid0(VALU_DEP_1)
	v_add3_u32 v160, v7, v12, 0x7fff
                                        ; implicit-def: $vgpr7
; %bb.4831:                             ;   in Loop: Header=BB448_2342 Depth=1
	s_and_not1_saveexec_b32 s13, s0
; %bb.4832:                             ;   in Loop: Header=BB448_2342 Depth=1
	v_and_b32_e32 v12, 0xffff, v7
	v_or_b32_e32 v16, 0x10000, v7
	s_delay_alu instid0(VALU_DEP_2) | instskip(NEXT) | instid1(VALU_DEP_1)
	v_cmp_eq_u32_e64 s0, 0, v12
	v_cndmask_b32_e64 v160, v16, v7, s0
; %bb.4833:                             ;   in Loop: Header=BB448_2342 Depth=1
	s_or_b32 exec_lo, exec_lo, s13
	v_lshlrev_b32_e32 v6, 16, v6
                                        ; implicit-def: $vgpr162
	s_delay_alu instid0(VALU_DEP_1) | instskip(NEXT) | instid1(VALU_DEP_1)
	v_mul_f32_e32 v6, v147, v6
	v_and_b32_e32 v7, 0x7f800000, v6
	s_delay_alu instid0(VALU_DEP_1) | instskip(NEXT) | instid1(VALU_DEP_1)
	v_cmp_ne_u32_e64 s0, 0x7f800000, v7
	s_and_saveexec_b32 s13, s0
	s_delay_alu instid0(SALU_CYCLE_1)
	s_xor_b32 s0, exec_lo, s13
; %bb.4834:                             ;   in Loop: Header=BB448_2342 Depth=1
	v_bfe_u32 v7, v6, 16, 1
	s_delay_alu instid0(VALU_DEP_1)
	v_add3_u32 v162, v6, v7, 0x7fff
                                        ; implicit-def: $vgpr6
; %bb.4835:                             ;   in Loop: Header=BB448_2342 Depth=1
	s_and_not1_saveexec_b32 s13, s0
; %bb.4836:                             ;   in Loop: Header=BB448_2342 Depth=1
	v_and_b32_e32 v7, 0xffff, v6
	v_or_b32_e32 v12, 0x10000, v6
	s_delay_alu instid0(VALU_DEP_2) | instskip(NEXT) | instid1(VALU_DEP_1)
	v_cmp_eq_u32_e64 s0, 0, v7
	v_cndmask_b32_e64 v162, v12, v6, s0
; %bb.4837:                             ;   in Loop: Header=BB448_2342 Depth=1
	s_or_b32 exec_lo, exec_lo, s13
	v_lshlrev_b32_e32 v3, 16, v3
                                        ; implicit-def: $vgpr161
	s_delay_alu instid0(VALU_DEP_1) | instskip(NEXT) | instid1(VALU_DEP_1)
	v_mul_f32_e32 v3, v148, v3
	v_and_b32_e32 v6, 0x7f800000, v3
	s_delay_alu instid0(VALU_DEP_1) | instskip(NEXT) | instid1(VALU_DEP_1)
	v_cmp_ne_u32_e64 s0, 0x7f800000, v6
	s_and_saveexec_b32 s13, s0
	s_delay_alu instid0(SALU_CYCLE_1)
	s_xor_b32 s0, exec_lo, s13
; %bb.4838:                             ;   in Loop: Header=BB448_2342 Depth=1
	v_bfe_u32 v6, v3, 16, 1
	s_delay_alu instid0(VALU_DEP_1)
	v_add3_u32 v161, v3, v6, 0x7fff
                                        ; implicit-def: $vgpr3
; %bb.4839:                             ;   in Loop: Header=BB448_2342 Depth=1
	s_and_not1_saveexec_b32 s13, s0
; %bb.4840:                             ;   in Loop: Header=BB448_2342 Depth=1
	v_and_b32_e32 v6, 0xffff, v3
	v_or_b32_e32 v7, 0x10000, v3
	s_delay_alu instid0(VALU_DEP_2) | instskip(NEXT) | instid1(VALU_DEP_1)
	v_cmp_eq_u32_e64 s0, 0, v6
	v_cndmask_b32_e64 v161, v7, v3, s0
; %bb.4841:                             ;   in Loop: Header=BB448_2342 Depth=1
	s_or_b32 exec_lo, exec_lo, s13
	v_lshlrev_b32_e32 v2, 16, v2
                                        ; implicit-def: $vgpr163
	s_delay_alu instid0(VALU_DEP_1) | instskip(NEXT) | instid1(VALU_DEP_1)
	v_mul_f32_e32 v2, v149, v2
	v_and_b32_e32 v3, 0x7f800000, v2
	s_delay_alu instid0(VALU_DEP_1) | instskip(NEXT) | instid1(VALU_DEP_1)
	v_cmp_ne_u32_e64 s0, 0x7f800000, v3
	s_and_saveexec_b32 s13, s0
	s_delay_alu instid0(SALU_CYCLE_1)
	s_xor_b32 s0, exec_lo, s13
; %bb.4842:                             ;   in Loop: Header=BB448_2342 Depth=1
	v_bfe_u32 v3, v2, 16, 1
	s_delay_alu instid0(VALU_DEP_1)
	v_add3_u32 v163, v2, v3, 0x7fff
                                        ; implicit-def: $vgpr2
; %bb.4843:                             ;   in Loop: Header=BB448_2342 Depth=1
	s_and_not1_saveexec_b32 s13, s0
; %bb.4844:                             ;   in Loop: Header=BB448_2342 Depth=1
	v_and_b32_e32 v3, 0xffff, v2
	v_or_b32_e32 v6, 0x10000, v2
	s_delay_alu instid0(VALU_DEP_2) | instskip(NEXT) | instid1(VALU_DEP_1)
	v_cmp_eq_u32_e64 s0, 0, v3
	v_cndmask_b32_e64 v163, v6, v2, s0
; %bb.4845:                             ;   in Loop: Header=BB448_2342 Depth=1
	s_or_b32 exec_lo, exec_lo, s13
	scratch_load_b32 v2, off, s32 offset:624 ; 4-byte Folded Reload
	s_mov_b32 s13, exec_lo
	v_mov_b32_e32 v6, 0
	s_waitcnt vmcnt(0)
	v_add_co_u32 v2, s0, v0, v2
	s_delay_alu instid0(VALU_DEP_1) | instskip(SKIP_3) | instid1(VALU_DEP_1)
	v_add_co_ci_u32_e64 v3, s0, 0, v1, s0
	flat_load_b64 v[2:3], v[2:3]
	s_waitcnt vmcnt(0) lgkmcnt(0)
	v_and_b32_e32 v7, 0xff, v2
	v_cmpx_ne_u16_e32 0, v7
	s_cbranch_execz .LBB448_4853
; %bb.4846:                             ;   in Loop: Header=BB448_2342 Depth=1
	v_bfrev_b32_e32 v6, 1
	s_mov_b32 s15, exec_lo
	v_cmpx_ne_u16_e32 0x80, v7
	s_cbranch_execz .LBB448_4852
; %bb.4847:                             ;   in Loop: Header=BB448_2342 Depth=1
	v_and_b32_e32 v7, 0x7f, v2
	v_mov_b32_e32 v6, 0x7f800001
	s_mov_b32 s16, exec_lo
	s_delay_alu instid0(VALU_DEP_2)
	v_cmpx_ne_u32_e32 0x7f, v7
	s_cbranch_execz .LBB448_4851
; %bb.4848:                             ;   in Loop: Header=BB448_2342 Depth=1
	v_lshrrev_b32_e32 v12, 3, v7
	v_cmp_gt_u32_e64 s0, 8, v7
	v_dual_mov_b32 v7, v3 :: v_dual_mov_b32 v6, v2
	s_delay_alu instid0(VALU_DEP_2)
	s_and_saveexec_b32 s17, s0
; %bb.4849:                             ;   in Loop: Header=BB448_2342 Depth=1
	v_and_b32_e32 v6, 7, v2
	s_delay_alu instid0(VALU_DEP_1) | instskip(NEXT) | instid1(VALU_DEP_1)
	v_clz_i32_u32_e32 v6, v6
	v_min_u32_e32 v12, 32, v6
	s_delay_alu instid0(VALU_DEP_1) | instskip(SKIP_1) | instid1(VALU_DEP_2)
	v_subrev_nc_u32_e32 v6, 28, v12
	v_sub_nc_u32_e32 v12, 29, v12
	v_lshlrev_b64 v[6:7], v6, v[2:3]
; %bb.4850:                             ;   in Loop: Header=BB448_2342 Depth=1
	s_or_b32 exec_lo, exec_lo, s17
	s_delay_alu instid0(VALU_DEP_1) | instskip(SKIP_2) | instid1(VALU_DEP_3)
	v_lshlrev_b32_e32 v6, 20, v6
	v_lshlrev_b32_e32 v7, 24, v2
	v_lshl_add_u32 v12, v12, 23, 0x3c000000
	v_and_b32_e32 v6, 0x700000, v6
	s_delay_alu instid0(VALU_DEP_3) | instskip(NEXT) | instid1(VALU_DEP_1)
	v_and_b32_e32 v7, 0x80000000, v7
	v_or3_b32 v6, v6, v7, v12
.LBB448_4851:                           ;   in Loop: Header=BB448_2342 Depth=1
	s_or_b32 exec_lo, exec_lo, s16
.LBB448_4852:                           ;   in Loop: Header=BB448_2342 Depth=1
	s_delay_alu instid0(SALU_CYCLE_1)
	s_or_b32 exec_lo, exec_lo, s15
.LBB448_4853:                           ;   in Loop: Header=BB448_2342 Depth=1
	s_delay_alu instid0(SALU_CYCLE_1) | instskip(NEXT) | instid1(VALU_DEP_1)
	s_or_b32 exec_lo, exec_lo, s13
	v_mul_f32_e32 v6, v118, v6
                                        ; implicit-def: $vgpr16
	s_delay_alu instid0(VALU_DEP_1) | instskip(NEXT) | instid1(VALU_DEP_1)
	v_and_b32_e32 v7, 0x7f800000, v6
	v_cmp_ne_u32_e64 s0, 0x7f800000, v7
	s_delay_alu instid0(VALU_DEP_1) | instskip(NEXT) | instid1(SALU_CYCLE_1)
	s_and_saveexec_b32 s13, s0
	s_xor_b32 s0, exec_lo, s13
; %bb.4854:                             ;   in Loop: Header=BB448_2342 Depth=1
	v_bfe_u32 v7, v6, 16, 1
	s_delay_alu instid0(VALU_DEP_1)
	v_add3_u32 v16, v6, v7, 0x7fff
                                        ; implicit-def: $vgpr6
; %bb.4855:                             ;   in Loop: Header=BB448_2342 Depth=1
	s_and_not1_saveexec_b32 s13, s0
; %bb.4856:                             ;   in Loop: Header=BB448_2342 Depth=1
	v_and_b32_e32 v7, 0xffff, v6
	v_or_b32_e32 v12, 0x10000, v6
	s_delay_alu instid0(VALU_DEP_2) | instskip(NEXT) | instid1(VALU_DEP_1)
	v_cmp_eq_u32_e64 s0, 0, v7
	v_cndmask_b32_e64 v16, v12, v6, s0
; %bb.4857:                             ;   in Loop: Header=BB448_2342 Depth=1
	s_or_b32 exec_lo, exec_lo, s13
	v_lshrrev_b16 v7, 8, v2
	v_mov_b32_e32 v6, 0
	s_mov_b32 s13, exec_lo
	s_delay_alu instid0(VALU_DEP_2)
	v_cmpx_ne_u16_e32 0, v7
	s_cbranch_execz .LBB448_4865
; %bb.4858:                             ;   in Loop: Header=BB448_2342 Depth=1
	v_bfrev_b32_e32 v6, 1
	s_mov_b32 s15, exec_lo
	v_cmpx_ne_u16_e32 0x80, v7
	s_cbranch_execz .LBB448_4864
; %bb.4859:                             ;   in Loop: Header=BB448_2342 Depth=1
	v_and_b32_e32 v7, 0xffff, v7
	v_mov_b32_e32 v6, 0x7f800001
	s_mov_b32 s16, exec_lo
	s_delay_alu instid0(VALU_DEP_2) | instskip(NEXT) | instid1(VALU_DEP_1)
	v_and_b32_e32 v21, 0x7f, v7
	v_cmpx_ne_u32_e32 0x7f, v21
	s_cbranch_execz .LBB448_4863
; %bb.4860:                             ;   in Loop: Header=BB448_2342 Depth=1
	v_and_b32_e32 v12, 7, v7
	s_mov_b32 s17, exec_lo
	s_delay_alu instid0(VALU_DEP_1)
	v_dual_mov_b32 v6, v12 :: v_dual_mov_b32 v7, v13
	v_lshrrev_b32_e32 v7, 3, v21
	v_cmpx_gt_u32_e32 8, v21
; %bb.4861:                             ;   in Loop: Header=BB448_2342 Depth=1
	v_clz_i32_u32_e32 v6, v12
	s_delay_alu instid0(VALU_DEP_1) | instskip(NEXT) | instid1(VALU_DEP_1)
	v_min_u32_e32 v21, 32, v6
	v_subrev_nc_u32_e32 v6, 28, v21
	s_delay_alu instid0(VALU_DEP_1) | instskip(SKIP_1) | instid1(VALU_DEP_2)
	v_lshlrev_b64 v[6:7], v6, v[12:13]
	v_sub_nc_u32_e32 v7, 29, v21
	v_and_b32_e32 v6, 7, v6
; %bb.4862:                             ;   in Loop: Header=BB448_2342 Depth=1
	s_or_b32 exec_lo, exec_lo, s17
	v_lshlrev_b32_e32 v12, 16, v2
	s_delay_alu instid0(VALU_DEP_2) | instskip(SKIP_1) | instid1(VALU_DEP_3)
	v_lshlrev_b32_e32 v6, 20, v6
	v_lshl_add_u32 v7, v7, 23, 0x3c000000
	v_and_b32_e32 v12, 0x80000000, v12
	s_delay_alu instid0(VALU_DEP_1)
	v_or3_b32 v6, v6, v12, v7
.LBB448_4863:                           ;   in Loop: Header=BB448_2342 Depth=1
	s_or_b32 exec_lo, exec_lo, s16
.LBB448_4864:                           ;   in Loop: Header=BB448_2342 Depth=1
	s_delay_alu instid0(SALU_CYCLE_1)
	s_or_b32 exec_lo, exec_lo, s15
.LBB448_4865:                           ;   in Loop: Header=BB448_2342 Depth=1
	s_delay_alu instid0(SALU_CYCLE_1) | instskip(NEXT) | instid1(VALU_DEP_1)
	s_or_b32 exec_lo, exec_lo, s13
	v_mul_f32_e32 v6, v118, v6
                                        ; implicit-def: $vgpr21
	s_delay_alu instid0(VALU_DEP_1) | instskip(NEXT) | instid1(VALU_DEP_1)
	v_and_b32_e32 v7, 0x7f800000, v6
	v_cmp_ne_u32_e64 s0, 0x7f800000, v7
	s_delay_alu instid0(VALU_DEP_1) | instskip(NEXT) | instid1(SALU_CYCLE_1)
	s_and_saveexec_b32 s13, s0
	s_xor_b32 s0, exec_lo, s13
; %bb.4866:                             ;   in Loop: Header=BB448_2342 Depth=1
	v_bfe_u32 v7, v6, 16, 1
	s_delay_alu instid0(VALU_DEP_1)
	v_add3_u32 v21, v6, v7, 0x7fff
                                        ; implicit-def: $vgpr6
; %bb.4867:                             ;   in Loop: Header=BB448_2342 Depth=1
	s_and_not1_saveexec_b32 s13, s0
; %bb.4868:                             ;   in Loop: Header=BB448_2342 Depth=1
	v_and_b32_e32 v7, 0xffff, v6
	v_or_b32_e32 v12, 0x10000, v6
	s_delay_alu instid0(VALU_DEP_2) | instskip(NEXT) | instid1(VALU_DEP_1)
	v_cmp_eq_u32_e64 s0, 0, v7
	v_cndmask_b32_e64 v21, v12, v6, s0
; %bb.4869:                             ;   in Loop: Header=BB448_2342 Depth=1
	s_or_b32 exec_lo, exec_lo, s13
	v_lshrrev_b32_e32 v24, 16, v2
	s_mov_b32 s13, exec_lo
	s_delay_alu instid0(VALU_DEP_1) | instskip(NEXT) | instid1(VALU_DEP_1)
	v_dual_mov_b32 v6, 0 :: v_dual_and_b32 v7, 0xff, v24
	v_cmpx_ne_u16_e32 0, v7
	s_cbranch_execz .LBB448_4877
; %bb.4870:                             ;   in Loop: Header=BB448_2342 Depth=1
	v_bfrev_b32_e32 v6, 1
	s_mov_b32 s15, exec_lo
	v_cmpx_ne_u16_e32 0x80, v7
	s_cbranch_execz .LBB448_4876
; %bb.4871:                             ;   in Loop: Header=BB448_2342 Depth=1
	v_bfe_u32 v25, v2, 16, 7
	v_mov_b32_e32 v6, 0x7f800001
	s_mov_b32 s16, exec_lo
	s_delay_alu instid0(VALU_DEP_2)
	v_cmpx_ne_u32_e32 0x7f, v25
	s_cbranch_execz .LBB448_4875
; %bb.4872:                             ;   in Loop: Header=BB448_2342 Depth=1
	v_and_b32_e32 v12, 7, v24
	s_mov_b32 s17, exec_lo
	s_delay_alu instid0(VALU_DEP_1)
	v_dual_mov_b32 v6, v12 :: v_dual_mov_b32 v7, v13
	v_lshrrev_b32_e32 v7, 3, v25
	v_cmpx_gt_u32_e32 8, v25
; %bb.4873:                             ;   in Loop: Header=BB448_2342 Depth=1
	v_clz_i32_u32_e32 v6, v12
	s_delay_alu instid0(VALU_DEP_1) | instskip(NEXT) | instid1(VALU_DEP_1)
	v_min_u32_e32 v25, 32, v6
	v_subrev_nc_u32_e32 v6, 28, v25
	s_delay_alu instid0(VALU_DEP_1) | instskip(SKIP_1) | instid1(VALU_DEP_2)
	v_lshlrev_b64 v[6:7], v6, v[12:13]
	v_sub_nc_u32_e32 v7, 29, v25
	v_and_b32_e32 v6, 7, v6
; %bb.4874:                             ;   in Loop: Header=BB448_2342 Depth=1
	s_or_b32 exec_lo, exec_lo, s17
	v_lshlrev_b32_e32 v12, 24, v24
	s_delay_alu instid0(VALU_DEP_2) | instskip(SKIP_1) | instid1(VALU_DEP_3)
	v_lshlrev_b32_e32 v6, 20, v6
	v_lshl_add_u32 v7, v7, 23, 0x3c000000
	v_and_b32_e32 v12, 0x80000000, v12
	s_delay_alu instid0(VALU_DEP_1)
	v_or3_b32 v6, v6, v12, v7
.LBB448_4875:                           ;   in Loop: Header=BB448_2342 Depth=1
	s_or_b32 exec_lo, exec_lo, s16
.LBB448_4876:                           ;   in Loop: Header=BB448_2342 Depth=1
	s_delay_alu instid0(SALU_CYCLE_1)
	s_or_b32 exec_lo, exec_lo, s15
.LBB448_4877:                           ;   in Loop: Header=BB448_2342 Depth=1
	s_delay_alu instid0(SALU_CYCLE_1) | instskip(NEXT) | instid1(VALU_DEP_1)
	s_or_b32 exec_lo, exec_lo, s13
	v_mul_f32_e32 v6, v118, v6
                                        ; implicit-def: $vgpr24
	s_delay_alu instid0(VALU_DEP_1) | instskip(NEXT) | instid1(VALU_DEP_1)
	v_and_b32_e32 v7, 0x7f800000, v6
	v_cmp_ne_u32_e64 s0, 0x7f800000, v7
	s_delay_alu instid0(VALU_DEP_1) | instskip(NEXT) | instid1(SALU_CYCLE_1)
	s_and_saveexec_b32 s13, s0
	s_xor_b32 s0, exec_lo, s13
; %bb.4878:                             ;   in Loop: Header=BB448_2342 Depth=1
	v_bfe_u32 v7, v6, 16, 1
	s_delay_alu instid0(VALU_DEP_1)
	v_add3_u32 v24, v6, v7, 0x7fff
                                        ; implicit-def: $vgpr6
; %bb.4879:                             ;   in Loop: Header=BB448_2342 Depth=1
	s_and_not1_saveexec_b32 s13, s0
; %bb.4880:                             ;   in Loop: Header=BB448_2342 Depth=1
	v_and_b32_e32 v7, 0xffff, v6
	v_or_b32_e32 v12, 0x10000, v6
	s_delay_alu instid0(VALU_DEP_2) | instskip(NEXT) | instid1(VALU_DEP_1)
	v_cmp_eq_u32_e64 s0, 0, v7
	v_cndmask_b32_e64 v24, v12, v6, s0
; %bb.4881:                             ;   in Loop: Header=BB448_2342 Depth=1
	s_or_b32 exec_lo, exec_lo, s13
	v_mov_b32_e32 v6, 0
	s_mov_b32 s13, exec_lo
	v_cmpx_lt_u32_e32 0xffffff, v2
	s_cbranch_execz .LBB448_4889
; %bb.4882:                             ;   in Loop: Header=BB448_2342 Depth=1
	v_lshrrev_b32_e32 v25, 24, v2
	v_bfrev_b32_e32 v6, 1
	s_mov_b32 s15, exec_lo
	s_delay_alu instid0(VALU_DEP_2)
	v_cmpx_ne_u32_e32 0x80, v25
	s_cbranch_execz .LBB448_4888
; %bb.4883:                             ;   in Loop: Header=BB448_2342 Depth=1
	v_bfe_u32 v28, v2, 24, 7
	v_mov_b32_e32 v6, 0x7f800001
	s_mov_b32 s16, exec_lo
	s_delay_alu instid0(VALU_DEP_2)
	v_cmpx_ne_u32_e32 0x7f, v28
	s_cbranch_execz .LBB448_4887
; %bb.4884:                             ;   in Loop: Header=BB448_2342 Depth=1
	v_and_b32_e32 v12, 7, v25
	s_mov_b32 s17, exec_lo
	s_delay_alu instid0(VALU_DEP_1)
	v_dual_mov_b32 v6, v12 :: v_dual_mov_b32 v7, v13
	v_lshrrev_b32_e32 v7, 3, v28
	v_cmpx_gt_u32_e32 8, v28
; %bb.4885:                             ;   in Loop: Header=BB448_2342 Depth=1
	v_clz_i32_u32_e32 v6, v12
	s_delay_alu instid0(VALU_DEP_1) | instskip(NEXT) | instid1(VALU_DEP_1)
	v_min_u32_e32 v28, 32, v6
	v_subrev_nc_u32_e32 v6, 28, v28
	s_delay_alu instid0(VALU_DEP_1) | instskip(SKIP_1) | instid1(VALU_DEP_2)
	v_lshlrev_b64 v[6:7], v6, v[12:13]
	v_sub_nc_u32_e32 v7, 29, v28
	v_and_b32_e32 v6, 7, v6
; %bb.4886:                             ;   in Loop: Header=BB448_2342 Depth=1
	s_or_b32 exec_lo, exec_lo, s17
	v_lshlrev_b32_e32 v12, 24, v25
	s_delay_alu instid0(VALU_DEP_2) | instskip(SKIP_1) | instid1(VALU_DEP_3)
	v_lshlrev_b32_e32 v6, 20, v6
	v_lshl_add_u32 v7, v7, 23, 0x3c000000
	v_and_b32_e32 v12, 0x80000000, v12
	s_delay_alu instid0(VALU_DEP_1)
	v_or3_b32 v6, v6, v12, v7
.LBB448_4887:                           ;   in Loop: Header=BB448_2342 Depth=1
	s_or_b32 exec_lo, exec_lo, s16
.LBB448_4888:                           ;   in Loop: Header=BB448_2342 Depth=1
	s_delay_alu instid0(SALU_CYCLE_1)
	s_or_b32 exec_lo, exec_lo, s15
.LBB448_4889:                           ;   in Loop: Header=BB448_2342 Depth=1
	s_delay_alu instid0(SALU_CYCLE_1) | instskip(NEXT) | instid1(VALU_DEP_1)
	s_or_b32 exec_lo, exec_lo, s13
	v_mul_f32_e32 v6, v118, v6
                                        ; implicit-def: $vgpr25
	s_delay_alu instid0(VALU_DEP_1) | instskip(NEXT) | instid1(VALU_DEP_1)
	v_and_b32_e32 v7, 0x7f800000, v6
	v_cmp_ne_u32_e64 s0, 0x7f800000, v7
	s_delay_alu instid0(VALU_DEP_1) | instskip(NEXT) | instid1(SALU_CYCLE_1)
	s_and_saveexec_b32 s13, s0
	s_xor_b32 s0, exec_lo, s13
; %bb.4890:                             ;   in Loop: Header=BB448_2342 Depth=1
	v_bfe_u32 v7, v6, 16, 1
	s_delay_alu instid0(VALU_DEP_1)
	v_add3_u32 v25, v6, v7, 0x7fff
                                        ; implicit-def: $vgpr6
; %bb.4891:                             ;   in Loop: Header=BB448_2342 Depth=1
	s_and_not1_saveexec_b32 s13, s0
; %bb.4892:                             ;   in Loop: Header=BB448_2342 Depth=1
	v_and_b32_e32 v7, 0xffff, v6
	v_or_b32_e32 v12, 0x10000, v6
	s_delay_alu instid0(VALU_DEP_2) | instskip(NEXT) | instid1(VALU_DEP_1)
	v_cmp_eq_u32_e64 s0, 0, v7
	v_cndmask_b32_e64 v25, v12, v6, s0
; %bb.4893:                             ;   in Loop: Header=BB448_2342 Depth=1
	s_or_b32 exec_lo, exec_lo, s13
	v_dual_mov_b32 v12, v3 :: v_dual_and_b32 v7, 0xff, v3
	v_mov_b32_e32 v6, 0
	s_mov_b32 s13, exec_lo
	s_delay_alu instid0(VALU_DEP_2)
	v_cmpx_ne_u16_e32 0, v7
	s_cbranch_execz .LBB448_4901
; %bb.4894:                             ;   in Loop: Header=BB448_2342 Depth=1
	v_bfrev_b32_e32 v6, 1
	s_mov_b32 s15, exec_lo
	v_cmpx_ne_u16_e32 0x80, v7
	s_cbranch_execz .LBB448_4900
; %bb.4895:                             ;   in Loop: Header=BB448_2342 Depth=1
	v_and_b32_e32 v28, 0x7f, v3
	v_mov_b32_e32 v6, 0x7f800001
	s_mov_b32 s16, exec_lo
	s_delay_alu instid0(VALU_DEP_2)
	v_cmpx_ne_u32_e32 0x7f, v28
	s_cbranch_execz .LBB448_4899
; %bb.4896:                             ;   in Loop: Header=BB448_2342 Depth=1
	v_dual_mov_b32 v6, v12 :: v_dual_mov_b32 v7, v13
	v_lshrrev_b32_e32 v7, 3, v28
	s_mov_b32 s17, exec_lo
	v_cmpx_gt_u32_e32 8, v28
; %bb.4897:                             ;   in Loop: Header=BB448_2342 Depth=1
	v_and_b32_e32 v6, 7, v3
	s_delay_alu instid0(VALU_DEP_1) | instskip(NEXT) | instid1(VALU_DEP_1)
	v_clz_i32_u32_e32 v6, v6
	v_min_u32_e32 v28, 32, v6
	s_delay_alu instid0(VALU_DEP_1) | instskip(NEXT) | instid1(VALU_DEP_1)
	v_subrev_nc_u32_e32 v6, 28, v28
	v_lshlrev_b64 v[6:7], v6, v[12:13]
	v_sub_nc_u32_e32 v7, 29, v28
; %bb.4898:                             ;   in Loop: Header=BB448_2342 Depth=1
	s_or_b32 exec_lo, exec_lo, s17
	s_delay_alu instid0(VALU_DEP_2) | instskip(SKIP_1) | instid1(VALU_DEP_3)
	v_lshlrev_b32_e32 v6, 20, v6
	v_lshlrev_b32_e32 v28, 24, v12
	v_lshl_add_u32 v7, v7, 23, 0x3c000000
	s_delay_alu instid0(VALU_DEP_3) | instskip(NEXT) | instid1(VALU_DEP_3)
	v_and_b32_e32 v6, 0x700000, v6
	v_and_b32_e32 v28, 0x80000000, v28
	s_delay_alu instid0(VALU_DEP_1)
	v_or3_b32 v6, v6, v28, v7
.LBB448_4899:                           ;   in Loop: Header=BB448_2342 Depth=1
	s_or_b32 exec_lo, exec_lo, s16
.LBB448_4900:                           ;   in Loop: Header=BB448_2342 Depth=1
	s_delay_alu instid0(SALU_CYCLE_1)
	s_or_b32 exec_lo, exec_lo, s15
.LBB448_4901:                           ;   in Loop: Header=BB448_2342 Depth=1
	s_delay_alu instid0(SALU_CYCLE_1) | instskip(NEXT) | instid1(VALU_DEP_1)
	s_or_b32 exec_lo, exec_lo, s13
	v_mul_f32_e32 v6, v118, v6
                                        ; implicit-def: $vgpr28
	s_delay_alu instid0(VALU_DEP_1) | instskip(NEXT) | instid1(VALU_DEP_1)
	v_and_b32_e32 v7, 0x7f800000, v6
	v_cmp_ne_u32_e64 s0, 0x7f800000, v7
	s_delay_alu instid0(VALU_DEP_1) | instskip(NEXT) | instid1(SALU_CYCLE_1)
	s_and_saveexec_b32 s13, s0
	s_xor_b32 s0, exec_lo, s13
; %bb.4902:                             ;   in Loop: Header=BB448_2342 Depth=1
	v_bfe_u32 v7, v6, 16, 1
	s_delay_alu instid0(VALU_DEP_1)
	v_add3_u32 v28, v6, v7, 0x7fff
                                        ; implicit-def: $vgpr6
; %bb.4903:                             ;   in Loop: Header=BB448_2342 Depth=1
	s_and_not1_saveexec_b32 s13, s0
; %bb.4904:                             ;   in Loop: Header=BB448_2342 Depth=1
	v_and_b32_e32 v7, 0xffff, v6
	v_or_b32_e32 v28, 0x10000, v6
	s_delay_alu instid0(VALU_DEP_2) | instskip(NEXT) | instid1(VALU_DEP_1)
	v_cmp_eq_u32_e64 s0, 0, v7
	v_cndmask_b32_e64 v28, v28, v6, s0
; %bb.4905:                             ;   in Loop: Header=BB448_2342 Depth=1
	s_or_b32 exec_lo, exec_lo, s13
	v_lshrrev_b16 v7, 8, v12
	v_mov_b32_e32 v6, 0
	s_mov_b32 s13, exec_lo
	s_delay_alu instid0(VALU_DEP_2)
	v_cmpx_ne_u16_e32 0, v7
	s_cbranch_execz .LBB448_4913
; %bb.4906:                             ;   in Loop: Header=BB448_2342 Depth=1
	v_bfrev_b32_e32 v6, 1
	s_mov_b32 s15, exec_lo
	v_cmpx_ne_u16_e32 0x80, v7
	s_cbranch_execz .LBB448_4912
; %bb.4907:                             ;   in Loop: Header=BB448_2342 Depth=1
	v_and_b32_e32 v7, 0xffff, v7
	v_mov_b32_e32 v6, 0x7f800001
	s_mov_b32 s16, exec_lo
	s_delay_alu instid0(VALU_DEP_2) | instskip(NEXT) | instid1(VALU_DEP_1)
	v_and_b32_e32 v31, 0x7f, v7
	v_cmpx_ne_u32_e32 0x7f, v31
	s_cbranch_execz .LBB448_4911
; %bb.4908:                             ;   in Loop: Header=BB448_2342 Depth=1
	v_dual_mov_b32 v7, v13 :: v_dual_and_b32 v6, 7, v7
	v_lshrrev_b32_e32 v29, 3, v31
	s_mov_b32 s17, exec_lo
	v_cmpx_gt_u32_e32 8, v31
; %bb.4909:                             ;   in Loop: Header=BB448_2342 Depth=1
	s_delay_alu instid0(VALU_DEP_3) | instskip(NEXT) | instid1(VALU_DEP_1)
	v_clz_i32_u32_e32 v29, v6
	v_min_u32_e32 v29, 32, v29
	s_delay_alu instid0(VALU_DEP_1) | instskip(SKIP_1) | instid1(VALU_DEP_2)
	v_subrev_nc_u32_e32 v31, 28, v29
	v_sub_nc_u32_e32 v29, 29, v29
	v_lshlrev_b64 v[6:7], v31, v[6:7]
	s_delay_alu instid0(VALU_DEP_1)
	v_and_b32_e32 v6, 7, v6
; %bb.4910:                             ;   in Loop: Header=BB448_2342 Depth=1
	s_or_b32 exec_lo, exec_lo, s17
	v_lshlrev_b32_e32 v7, 16, v12
	s_delay_alu instid0(VALU_DEP_2) | instskip(SKIP_1) | instid1(VALU_DEP_3)
	v_lshlrev_b32_e32 v6, 20, v6
	v_lshl_add_u32 v12, v29, 23, 0x3c000000
	v_and_b32_e32 v7, 0x80000000, v7
	s_delay_alu instid0(VALU_DEP_1)
	v_or3_b32 v6, v6, v7, v12
.LBB448_4911:                           ;   in Loop: Header=BB448_2342 Depth=1
	s_or_b32 exec_lo, exec_lo, s16
.LBB448_4912:                           ;   in Loop: Header=BB448_2342 Depth=1
	s_delay_alu instid0(SALU_CYCLE_1)
	s_or_b32 exec_lo, exec_lo, s15
.LBB448_4913:                           ;   in Loop: Header=BB448_2342 Depth=1
	s_delay_alu instid0(SALU_CYCLE_1) | instskip(NEXT) | instid1(VALU_DEP_1)
	s_or_b32 exec_lo, exec_lo, s13
	v_mul_f32_e32 v6, v118, v6
                                        ; implicit-def: $vgpr29
	s_delay_alu instid0(VALU_DEP_1) | instskip(NEXT) | instid1(VALU_DEP_1)
	v_and_b32_e32 v7, 0x7f800000, v6
	v_cmp_ne_u32_e64 s0, 0x7f800000, v7
	s_delay_alu instid0(VALU_DEP_1) | instskip(NEXT) | instid1(SALU_CYCLE_1)
	s_and_saveexec_b32 s13, s0
	s_xor_b32 s0, exec_lo, s13
; %bb.4914:                             ;   in Loop: Header=BB448_2342 Depth=1
	v_bfe_u32 v7, v6, 16, 1
	s_delay_alu instid0(VALU_DEP_1)
	v_add3_u32 v29, v6, v7, 0x7fff
                                        ; implicit-def: $vgpr6
; %bb.4915:                             ;   in Loop: Header=BB448_2342 Depth=1
	s_and_not1_saveexec_b32 s13, s0
; %bb.4916:                             ;   in Loop: Header=BB448_2342 Depth=1
	v_and_b32_e32 v7, 0xffff, v6
	v_or_b32_e32 v12, 0x10000, v6
	s_delay_alu instid0(VALU_DEP_2) | instskip(NEXT) | instid1(VALU_DEP_1)
	v_cmp_eq_u32_e64 s0, 0, v7
	v_cndmask_b32_e64 v29, v12, v6, s0
; %bb.4917:                             ;   in Loop: Header=BB448_2342 Depth=1
	s_or_b32 exec_lo, exec_lo, s13
	v_lshrrev_b32_e32 v31, 16, v3
	s_mov_b32 s13, exec_lo
	s_delay_alu instid0(VALU_DEP_1) | instskip(NEXT) | instid1(VALU_DEP_1)
	v_dual_mov_b32 v6, 0 :: v_dual_and_b32 v7, 0xff, v31
	v_cmpx_ne_u16_e32 0, v7
	s_cbranch_execz .LBB448_4925
; %bb.4918:                             ;   in Loop: Header=BB448_2342 Depth=1
	v_bfrev_b32_e32 v6, 1
	s_mov_b32 s15, exec_lo
	v_cmpx_ne_u16_e32 0x80, v7
	s_cbranch_execz .LBB448_4924
; %bb.4919:                             ;   in Loop: Header=BB448_2342 Depth=1
	v_bfe_u32 v32, v3, 16, 7
	v_mov_b32_e32 v6, 0x7f800001
	s_mov_b32 s16, exec_lo
	s_delay_alu instid0(VALU_DEP_2)
	v_cmpx_ne_u32_e32 0x7f, v32
	s_cbranch_execz .LBB448_4923
; %bb.4920:                             ;   in Loop: Header=BB448_2342 Depth=1
	v_and_b32_e32 v12, 7, v31
	s_mov_b32 s17, exec_lo
	s_delay_alu instid0(VALU_DEP_1)
	v_dual_mov_b32 v6, v12 :: v_dual_mov_b32 v7, v13
	v_lshrrev_b32_e32 v7, 3, v32
	v_cmpx_gt_u32_e32 8, v32
; %bb.4921:                             ;   in Loop: Header=BB448_2342 Depth=1
	v_clz_i32_u32_e32 v6, v12
	s_delay_alu instid0(VALU_DEP_1) | instskip(NEXT) | instid1(VALU_DEP_1)
	v_min_u32_e32 v32, 32, v6
	v_subrev_nc_u32_e32 v6, 28, v32
	s_delay_alu instid0(VALU_DEP_1) | instskip(SKIP_1) | instid1(VALU_DEP_2)
	v_lshlrev_b64 v[6:7], v6, v[12:13]
	v_sub_nc_u32_e32 v7, 29, v32
	v_and_b32_e32 v6, 7, v6
; %bb.4922:                             ;   in Loop: Header=BB448_2342 Depth=1
	s_or_b32 exec_lo, exec_lo, s17
	v_lshlrev_b32_e32 v12, 24, v31
	s_delay_alu instid0(VALU_DEP_2) | instskip(SKIP_1) | instid1(VALU_DEP_3)
	v_lshlrev_b32_e32 v6, 20, v6
	v_lshl_add_u32 v7, v7, 23, 0x3c000000
	v_and_b32_e32 v12, 0x80000000, v12
	s_delay_alu instid0(VALU_DEP_1)
	v_or3_b32 v6, v6, v12, v7
.LBB448_4923:                           ;   in Loop: Header=BB448_2342 Depth=1
	s_or_b32 exec_lo, exec_lo, s16
.LBB448_4924:                           ;   in Loop: Header=BB448_2342 Depth=1
	s_delay_alu instid0(SALU_CYCLE_1)
	s_or_b32 exec_lo, exec_lo, s15
.LBB448_4925:                           ;   in Loop: Header=BB448_2342 Depth=1
	s_delay_alu instid0(SALU_CYCLE_1) | instskip(NEXT) | instid1(VALU_DEP_1)
	s_or_b32 exec_lo, exec_lo, s13
	v_mul_f32_e32 v6, v118, v6
                                        ; implicit-def: $vgpr31
	s_delay_alu instid0(VALU_DEP_1) | instskip(NEXT) | instid1(VALU_DEP_1)
	v_and_b32_e32 v7, 0x7f800000, v6
	v_cmp_ne_u32_e64 s0, 0x7f800000, v7
	s_delay_alu instid0(VALU_DEP_1) | instskip(NEXT) | instid1(SALU_CYCLE_1)
	s_and_saveexec_b32 s13, s0
	s_xor_b32 s0, exec_lo, s13
; %bb.4926:                             ;   in Loop: Header=BB448_2342 Depth=1
	v_bfe_u32 v7, v6, 16, 1
	s_delay_alu instid0(VALU_DEP_1)
	v_add3_u32 v31, v6, v7, 0x7fff
                                        ; implicit-def: $vgpr6
; %bb.4927:                             ;   in Loop: Header=BB448_2342 Depth=1
	s_and_not1_saveexec_b32 s13, s0
; %bb.4928:                             ;   in Loop: Header=BB448_2342 Depth=1
	v_and_b32_e32 v7, 0xffff, v6
	v_or_b32_e32 v12, 0x10000, v6
	s_delay_alu instid0(VALU_DEP_2) | instskip(NEXT) | instid1(VALU_DEP_1)
	v_cmp_eq_u32_e64 s0, 0, v7
	v_cndmask_b32_e64 v31, v12, v6, s0
; %bb.4929:                             ;   in Loop: Header=BB448_2342 Depth=1
	s_or_b32 exec_lo, exec_lo, s13
	v_cmp_lt_u64_e64 s0, s[8:9], v[2:3]
	v_mov_b32_e32 v2, 0
	s_delay_alu instid0(VALU_DEP_2)
	s_and_saveexec_b32 s13, s0
	s_cbranch_execz .LBB448_4937
; %bb.4930:                             ;   in Loop: Header=BB448_2342 Depth=1
	v_lshrrev_b32_e32 v6, 24, v3
	v_bfrev_b32_e32 v2, 1
	s_mov_b32 s15, exec_lo
	s_delay_alu instid0(VALU_DEP_2)
	v_cmpx_ne_u32_e32 0x80, v6
	s_cbranch_execz .LBB448_4936
; %bb.4931:                             ;   in Loop: Header=BB448_2342 Depth=1
	v_bfe_u32 v7, v3, 24, 7
	v_mov_b32_e32 v2, 0x7f800001
	s_mov_b32 s16, exec_lo
	s_delay_alu instid0(VALU_DEP_2)
	v_cmpx_ne_u32_e32 0x7f, v7
	s_cbranch_execz .LBB448_4935
; %bb.4932:                             ;   in Loop: Header=BB448_2342 Depth=1
	v_and_b32_e32 v12, 7, v6
	s_mov_b32 s17, exec_lo
	s_delay_alu instid0(VALU_DEP_1)
	v_dual_mov_b32 v2, v12 :: v_dual_mov_b32 v3, v13
	v_lshrrev_b32_e32 v3, 3, v7
	v_cmpx_gt_u32_e32 8, v7
; %bb.4933:                             ;   in Loop: Header=BB448_2342 Depth=1
	v_clz_i32_u32_e32 v2, v12
	s_delay_alu instid0(VALU_DEP_1) | instskip(NEXT) | instid1(VALU_DEP_1)
	v_min_u32_e32 v7, 32, v2
	v_subrev_nc_u32_e32 v2, 28, v7
	s_delay_alu instid0(VALU_DEP_1) | instskip(SKIP_1) | instid1(VALU_DEP_2)
	v_lshlrev_b64 v[2:3], v2, v[12:13]
	v_sub_nc_u32_e32 v3, 29, v7
	v_and_b32_e32 v2, 7, v2
; %bb.4934:                             ;   in Loop: Header=BB448_2342 Depth=1
	s_or_b32 exec_lo, exec_lo, s17
	v_lshlrev_b32_e32 v6, 24, v6
	s_delay_alu instid0(VALU_DEP_2) | instskip(SKIP_1) | instid1(VALU_DEP_3)
	v_lshlrev_b32_e32 v2, 20, v2
	v_lshl_add_u32 v3, v3, 23, 0x3c000000
	v_and_b32_e32 v6, 0x80000000, v6
	s_delay_alu instid0(VALU_DEP_1)
	v_or3_b32 v2, v2, v6, v3
.LBB448_4935:                           ;   in Loop: Header=BB448_2342 Depth=1
	s_or_b32 exec_lo, exec_lo, s16
.LBB448_4936:                           ;   in Loop: Header=BB448_2342 Depth=1
	s_delay_alu instid0(SALU_CYCLE_1)
	s_or_b32 exec_lo, exec_lo, s15
.LBB448_4937:                           ;   in Loop: Header=BB448_2342 Depth=1
	s_delay_alu instid0(SALU_CYCLE_1) | instskip(NEXT) | instid1(VALU_DEP_1)
	s_or_b32 exec_lo, exec_lo, s13
	v_mul_f32_e32 v3, v118, v2
	s_delay_alu instid0(VALU_DEP_1) | instskip(NEXT) | instid1(VALU_DEP_1)
	v_and_b32_e32 v2, 0x7f800000, v3
	v_cmp_ne_u32_e64 s0, 0x7f800000, v2
                                        ; implicit-def: $vgpr2
	s_delay_alu instid0(VALU_DEP_1) | instskip(NEXT) | instid1(SALU_CYCLE_1)
	s_and_saveexec_b32 s13, s0
	s_xor_b32 s0, exec_lo, s13
; %bb.4938:                             ;   in Loop: Header=BB448_2342 Depth=1
	v_bfe_u32 v2, v3, 16, 1
	s_delay_alu instid0(VALU_DEP_1)
	v_add3_u32 v2, v3, v2, 0x7fff
                                        ; implicit-def: $vgpr3
; %bb.4939:                             ;   in Loop: Header=BB448_2342 Depth=1
	s_and_not1_saveexec_b32 s13, s0
; %bb.4940:                             ;   in Loop: Header=BB448_2342 Depth=1
	v_and_b32_e32 v2, 0xffff, v3
	v_or_b32_e32 v6, 0x10000, v3
	s_delay_alu instid0(VALU_DEP_2) | instskip(NEXT) | instid1(VALU_DEP_1)
	v_cmp_eq_u32_e64 s0, 0, v2
	v_cndmask_b32_e64 v2, v6, v3, s0
; %bb.4941:                             ;   in Loop: Header=BB448_2342 Depth=1
	s_or_b32 exec_lo, exec_lo, s13
	v_lshrrev_b32_e32 v6, 16, v29
	v_lshrrev_b32_e32 v7, 16, v28
	;; [unrolled: 1-line block ×8, first 2 shown]
	s_and_saveexec_b32 s13, vcc_lo
	s_cbranch_execz .LBB448_4943
; %bb.4942:                             ;   in Loop: Header=BB448_2342 Depth=1
	v_cmp_lt_i32_e64 s0, v102, v36
	s_delay_alu instid0(VALU_DEP_1) | instskip(SKIP_1) | instid1(VALU_DEP_1)
	v_cndmask_b32_e64 v16, 0, v16, s0
	v_cmp_lt_i32_e64 s0, v133, v36
	v_cndmask_b32_e64 v21, 0, v21, s0
	v_cmp_lt_i32_e64 s0, v132, v36
	s_delay_alu instid0(VALU_DEP_1) | instskip(SKIP_1) | instid1(VALU_DEP_1)
	v_cndmask_b32_e64 v24, 0, v24, s0
	v_cmp_lt_i32_e64 s0, v131, v36
	v_cndmask_b32_e64 v12, 0, v12, s0
	;; [unrolled: 5-line block ×4, first 2 shown]
.LBB448_4943:                           ;   in Loop: Header=BB448_2342 Depth=1
	s_or_b32 exec_lo, exec_lo, s13
	v_lshlrev_b32_e32 v16, 16, v16
                                        ; implicit-def: $vgpr164
	s_delay_alu instid0(VALU_DEP_1) | instskip(NEXT) | instid1(VALU_DEP_1)
	v_mul_f32_e32 v16, v134, v16
	v_and_b32_e32 v25, 0x7f800000, v16
	s_delay_alu instid0(VALU_DEP_1) | instskip(NEXT) | instid1(VALU_DEP_1)
	v_cmp_ne_u32_e64 s0, 0x7f800000, v25
	s_and_saveexec_b32 s13, s0
	s_delay_alu instid0(SALU_CYCLE_1)
	s_xor_b32 s0, exec_lo, s13
; %bb.4944:                             ;   in Loop: Header=BB448_2342 Depth=1
	v_bfe_u32 v25, v16, 16, 1
	s_delay_alu instid0(VALU_DEP_1)
	v_add3_u32 v164, v16, v25, 0x7fff
                                        ; implicit-def: $vgpr16
; %bb.4945:                             ;   in Loop: Header=BB448_2342 Depth=1
	s_and_not1_saveexec_b32 s13, s0
; %bb.4946:                             ;   in Loop: Header=BB448_2342 Depth=1
	v_and_b32_e32 v25, 0xffff, v16
	v_or_b32_e32 v28, 0x10000, v16
	s_delay_alu instid0(VALU_DEP_2) | instskip(NEXT) | instid1(VALU_DEP_1)
	v_cmp_eq_u32_e64 s0, 0, v25
	v_cndmask_b32_e64 v164, v28, v16, s0
; %bb.4947:                             ;   in Loop: Header=BB448_2342 Depth=1
	s_or_b32 exec_lo, exec_lo, s13
	v_lshlrev_b32_e32 v16, 16, v21
                                        ; implicit-def: $vgpr165
	s_delay_alu instid0(VALU_DEP_1) | instskip(NEXT) | instid1(VALU_DEP_1)
	v_mul_f32_e32 v16, v135, v16
	v_and_b32_e32 v21, 0x7f800000, v16
	s_delay_alu instid0(VALU_DEP_1) | instskip(NEXT) | instid1(VALU_DEP_1)
	v_cmp_ne_u32_e64 s0, 0x7f800000, v21
	s_and_saveexec_b32 s13, s0
	s_delay_alu instid0(SALU_CYCLE_1)
	s_xor_b32 s0, exec_lo, s13
; %bb.4948:                             ;   in Loop: Header=BB448_2342 Depth=1
	v_bfe_u32 v21, v16, 16, 1
	s_delay_alu instid0(VALU_DEP_1)
	v_add3_u32 v165, v16, v21, 0x7fff
                                        ; implicit-def: $vgpr16
; %bb.4949:                             ;   in Loop: Header=BB448_2342 Depth=1
	s_and_not1_saveexec_b32 s13, s0
; %bb.4950:                             ;   in Loop: Header=BB448_2342 Depth=1
	v_and_b32_e32 v21, 0xffff, v16
	v_or_b32_e32 v25, 0x10000, v16
	s_delay_alu instid0(VALU_DEP_2) | instskip(NEXT) | instid1(VALU_DEP_1)
	v_cmp_eq_u32_e64 s0, 0, v21
	v_cndmask_b32_e64 v165, v25, v16, s0
; %bb.4951:                             ;   in Loop: Header=BB448_2342 Depth=1
	s_or_b32 exec_lo, exec_lo, s13
	v_lshlrev_b32_e32 v16, 16, v24
                                        ; implicit-def: $vgpr166
	s_delay_alu instid0(VALU_DEP_1) | instskip(NEXT) | instid1(VALU_DEP_1)
	v_mul_f32_e32 v16, v144, v16
	v_and_b32_e32 v21, 0x7f800000, v16
	s_delay_alu instid0(VALU_DEP_1) | instskip(NEXT) | instid1(VALU_DEP_1)
	v_cmp_ne_u32_e64 s0, 0x7f800000, v21
	s_and_saveexec_b32 s13, s0
	s_delay_alu instid0(SALU_CYCLE_1)
	s_xor_b32 s0, exec_lo, s13
; %bb.4952:                             ;   in Loop: Header=BB448_2342 Depth=1
	v_bfe_u32 v21, v16, 16, 1
	s_delay_alu instid0(VALU_DEP_1)
	v_add3_u32 v166, v16, v21, 0x7fff
                                        ; implicit-def: $vgpr16
; %bb.4953:                             ;   in Loop: Header=BB448_2342 Depth=1
	s_and_not1_saveexec_b32 s13, s0
; %bb.4954:                             ;   in Loop: Header=BB448_2342 Depth=1
	v_and_b32_e32 v21, 0xffff, v16
	v_or_b32_e32 v24, 0x10000, v16
	s_delay_alu instid0(VALU_DEP_2) | instskip(NEXT) | instid1(VALU_DEP_1)
	v_cmp_eq_u32_e64 s0, 0, v21
	v_cndmask_b32_e64 v166, v24, v16, s0
; %bb.4955:                             ;   in Loop: Header=BB448_2342 Depth=1
	s_or_b32 exec_lo, exec_lo, s13
	v_lshlrev_b32_e32 v12, 16, v12
                                        ; implicit-def: $vgpr167
	s_delay_alu instid0(VALU_DEP_1) | instskip(NEXT) | instid1(VALU_DEP_1)
	v_mul_f32_e32 v12, v145, v12
	v_and_b32_e32 v16, 0x7f800000, v12
	s_delay_alu instid0(VALU_DEP_1) | instskip(NEXT) | instid1(VALU_DEP_1)
	v_cmp_ne_u32_e64 s0, 0x7f800000, v16
	s_and_saveexec_b32 s13, s0
	s_delay_alu instid0(SALU_CYCLE_1)
	s_xor_b32 s0, exec_lo, s13
; %bb.4956:                             ;   in Loop: Header=BB448_2342 Depth=1
	v_bfe_u32 v16, v12, 16, 1
	s_delay_alu instid0(VALU_DEP_1)
	v_add3_u32 v167, v12, v16, 0x7fff
                                        ; implicit-def: $vgpr12
; %bb.4957:                             ;   in Loop: Header=BB448_2342 Depth=1
	s_and_not1_saveexec_b32 s13, s0
; %bb.4958:                             ;   in Loop: Header=BB448_2342 Depth=1
	v_and_b32_e32 v16, 0xffff, v12
	v_or_b32_e32 v21, 0x10000, v12
	s_delay_alu instid0(VALU_DEP_2) | instskip(NEXT) | instid1(VALU_DEP_1)
	v_cmp_eq_u32_e64 s0, 0, v16
	v_cndmask_b32_e64 v167, v21, v12, s0
; %bb.4959:                             ;   in Loop: Header=BB448_2342 Depth=1
	s_or_b32 exec_lo, exec_lo, s13
	v_lshlrev_b32_e32 v7, 16, v7
                                        ; implicit-def: $vgpr176
	s_delay_alu instid0(VALU_DEP_1) | instskip(NEXT) | instid1(VALU_DEP_1)
	v_mul_f32_e32 v7, v146, v7
	v_and_b32_e32 v12, 0x7f800000, v7
	s_delay_alu instid0(VALU_DEP_1) | instskip(NEXT) | instid1(VALU_DEP_1)
	v_cmp_ne_u32_e64 s0, 0x7f800000, v12
	s_and_saveexec_b32 s13, s0
	s_delay_alu instid0(SALU_CYCLE_1)
	s_xor_b32 s0, exec_lo, s13
; %bb.4960:                             ;   in Loop: Header=BB448_2342 Depth=1
	v_bfe_u32 v12, v7, 16, 1
	s_delay_alu instid0(VALU_DEP_1)
	v_add3_u32 v176, v7, v12, 0x7fff
                                        ; implicit-def: $vgpr7
; %bb.4961:                             ;   in Loop: Header=BB448_2342 Depth=1
	s_and_not1_saveexec_b32 s13, s0
; %bb.4962:                             ;   in Loop: Header=BB448_2342 Depth=1
	v_and_b32_e32 v12, 0xffff, v7
	v_or_b32_e32 v16, 0x10000, v7
	s_delay_alu instid0(VALU_DEP_2) | instskip(NEXT) | instid1(VALU_DEP_1)
	v_cmp_eq_u32_e64 s0, 0, v12
	v_cndmask_b32_e64 v176, v16, v7, s0
; %bb.4963:                             ;   in Loop: Header=BB448_2342 Depth=1
	s_or_b32 exec_lo, exec_lo, s13
	v_lshlrev_b32_e32 v6, 16, v6
                                        ; implicit-def: $vgpr177
	s_delay_alu instid0(VALU_DEP_1) | instskip(NEXT) | instid1(VALU_DEP_1)
	v_mul_f32_e32 v6, v147, v6
	v_and_b32_e32 v7, 0x7f800000, v6
	s_delay_alu instid0(VALU_DEP_1) | instskip(NEXT) | instid1(VALU_DEP_1)
	v_cmp_ne_u32_e64 s0, 0x7f800000, v7
	s_and_saveexec_b32 s13, s0
	s_delay_alu instid0(SALU_CYCLE_1)
	s_xor_b32 s0, exec_lo, s13
; %bb.4964:                             ;   in Loop: Header=BB448_2342 Depth=1
	v_bfe_u32 v7, v6, 16, 1
	s_delay_alu instid0(VALU_DEP_1)
	v_add3_u32 v177, v6, v7, 0x7fff
                                        ; implicit-def: $vgpr6
; %bb.4965:                             ;   in Loop: Header=BB448_2342 Depth=1
	s_and_not1_saveexec_b32 s13, s0
; %bb.4966:                             ;   in Loop: Header=BB448_2342 Depth=1
	v_and_b32_e32 v7, 0xffff, v6
	v_or_b32_e32 v12, 0x10000, v6
	s_delay_alu instid0(VALU_DEP_2) | instskip(NEXT) | instid1(VALU_DEP_1)
	v_cmp_eq_u32_e64 s0, 0, v7
	v_cndmask_b32_e64 v177, v12, v6, s0
; %bb.4967:                             ;   in Loop: Header=BB448_2342 Depth=1
	s_or_b32 exec_lo, exec_lo, s13
	v_lshlrev_b32_e32 v3, 16, v3
                                        ; implicit-def: $vgpr178
	s_delay_alu instid0(VALU_DEP_1) | instskip(NEXT) | instid1(VALU_DEP_1)
	v_mul_f32_e32 v3, v148, v3
	v_and_b32_e32 v6, 0x7f800000, v3
	s_delay_alu instid0(VALU_DEP_1) | instskip(NEXT) | instid1(VALU_DEP_1)
	v_cmp_ne_u32_e64 s0, 0x7f800000, v6
	s_and_saveexec_b32 s13, s0
	s_delay_alu instid0(SALU_CYCLE_1)
	s_xor_b32 s0, exec_lo, s13
; %bb.4968:                             ;   in Loop: Header=BB448_2342 Depth=1
	v_bfe_u32 v6, v3, 16, 1
	s_delay_alu instid0(VALU_DEP_1)
	v_add3_u32 v178, v3, v6, 0x7fff
                                        ; implicit-def: $vgpr3
; %bb.4969:                             ;   in Loop: Header=BB448_2342 Depth=1
	s_and_not1_saveexec_b32 s13, s0
; %bb.4970:                             ;   in Loop: Header=BB448_2342 Depth=1
	v_and_b32_e32 v6, 0xffff, v3
	v_or_b32_e32 v7, 0x10000, v3
	s_delay_alu instid0(VALU_DEP_2) | instskip(NEXT) | instid1(VALU_DEP_1)
	v_cmp_eq_u32_e64 s0, 0, v6
	v_cndmask_b32_e64 v178, v7, v3, s0
; %bb.4971:                             ;   in Loop: Header=BB448_2342 Depth=1
	s_or_b32 exec_lo, exec_lo, s13
	v_lshlrev_b32_e32 v2, 16, v2
                                        ; implicit-def: $vgpr179
	s_delay_alu instid0(VALU_DEP_1) | instskip(NEXT) | instid1(VALU_DEP_1)
	v_mul_f32_e32 v2, v149, v2
	v_and_b32_e32 v3, 0x7f800000, v2
	s_delay_alu instid0(VALU_DEP_1) | instskip(NEXT) | instid1(VALU_DEP_1)
	v_cmp_ne_u32_e64 s0, 0x7f800000, v3
	s_and_saveexec_b32 s13, s0
	s_delay_alu instid0(SALU_CYCLE_1)
	s_xor_b32 s0, exec_lo, s13
; %bb.4972:                             ;   in Loop: Header=BB448_2342 Depth=1
	v_bfe_u32 v3, v2, 16, 1
	s_delay_alu instid0(VALU_DEP_1)
	v_add3_u32 v179, v2, v3, 0x7fff
                                        ; implicit-def: $vgpr2
; %bb.4973:                             ;   in Loop: Header=BB448_2342 Depth=1
	s_and_not1_saveexec_b32 s13, s0
; %bb.4974:                             ;   in Loop: Header=BB448_2342 Depth=1
	v_and_b32_e32 v3, 0xffff, v2
	v_or_b32_e32 v6, 0x10000, v2
	s_delay_alu instid0(VALU_DEP_2) | instskip(NEXT) | instid1(VALU_DEP_1)
	v_cmp_eq_u32_e64 s0, 0, v3
	v_cndmask_b32_e64 v179, v6, v2, s0
; %bb.4975:                             ;   in Loop: Header=BB448_2342 Depth=1
	s_or_b32 exec_lo, exec_lo, s13
	scratch_load_b32 v2, off, s32 offset:628 ; 4-byte Folded Reload
	s_mov_b32 s13, exec_lo
	v_mov_b32_e32 v6, 0
	s_waitcnt vmcnt(0)
	v_add_co_u32 v2, s0, v0, v2
	s_delay_alu instid0(VALU_DEP_1) | instskip(SKIP_3) | instid1(VALU_DEP_1)
	v_add_co_ci_u32_e64 v3, s0, 0, v1, s0
	flat_load_b64 v[2:3], v[2:3]
	s_waitcnt vmcnt(0) lgkmcnt(0)
	v_and_b32_e32 v7, 0xff, v2
	v_cmpx_ne_u16_e32 0, v7
	s_cbranch_execz .LBB448_4983
; %bb.4976:                             ;   in Loop: Header=BB448_2342 Depth=1
	v_bfrev_b32_e32 v6, 1
	s_mov_b32 s15, exec_lo
	v_cmpx_ne_u16_e32 0x80, v7
	s_cbranch_execz .LBB448_4982
; %bb.4977:                             ;   in Loop: Header=BB448_2342 Depth=1
	v_and_b32_e32 v7, 0x7f, v2
	v_mov_b32_e32 v6, 0x7f800001
	s_mov_b32 s16, exec_lo
	s_delay_alu instid0(VALU_DEP_2)
	v_cmpx_ne_u32_e32 0x7f, v7
	s_cbranch_execz .LBB448_4981
; %bb.4978:                             ;   in Loop: Header=BB448_2342 Depth=1
	v_lshrrev_b32_e32 v12, 3, v7
	v_cmp_gt_u32_e64 s0, 8, v7
	v_dual_mov_b32 v7, v3 :: v_dual_mov_b32 v6, v2
	s_delay_alu instid0(VALU_DEP_2)
	s_and_saveexec_b32 s17, s0
; %bb.4979:                             ;   in Loop: Header=BB448_2342 Depth=1
	v_and_b32_e32 v6, 7, v2
	s_delay_alu instid0(VALU_DEP_1) | instskip(NEXT) | instid1(VALU_DEP_1)
	v_clz_i32_u32_e32 v6, v6
	v_min_u32_e32 v12, 32, v6
	s_delay_alu instid0(VALU_DEP_1) | instskip(SKIP_1) | instid1(VALU_DEP_2)
	v_subrev_nc_u32_e32 v6, 28, v12
	v_sub_nc_u32_e32 v12, 29, v12
	v_lshlrev_b64 v[6:7], v6, v[2:3]
; %bb.4980:                             ;   in Loop: Header=BB448_2342 Depth=1
	s_or_b32 exec_lo, exec_lo, s17
	s_delay_alu instid0(VALU_DEP_1) | instskip(SKIP_2) | instid1(VALU_DEP_3)
	v_lshlrev_b32_e32 v6, 20, v6
	v_lshlrev_b32_e32 v7, 24, v2
	v_lshl_add_u32 v12, v12, 23, 0x3c000000
	v_and_b32_e32 v6, 0x700000, v6
	s_delay_alu instid0(VALU_DEP_3) | instskip(NEXT) | instid1(VALU_DEP_1)
	v_and_b32_e32 v7, 0x80000000, v7
	v_or3_b32 v6, v6, v7, v12
.LBB448_4981:                           ;   in Loop: Header=BB448_2342 Depth=1
	s_or_b32 exec_lo, exec_lo, s16
.LBB448_4982:                           ;   in Loop: Header=BB448_2342 Depth=1
	s_delay_alu instid0(SALU_CYCLE_1)
	s_or_b32 exec_lo, exec_lo, s15
.LBB448_4983:                           ;   in Loop: Header=BB448_2342 Depth=1
	s_delay_alu instid0(SALU_CYCLE_1) | instskip(NEXT) | instid1(VALU_DEP_1)
	s_or_b32 exec_lo, exec_lo, s13
	v_mul_f32_e32 v6, v118, v6
                                        ; implicit-def: $vgpr16
	s_delay_alu instid0(VALU_DEP_1) | instskip(NEXT) | instid1(VALU_DEP_1)
	v_and_b32_e32 v7, 0x7f800000, v6
	v_cmp_ne_u32_e64 s0, 0x7f800000, v7
	s_delay_alu instid0(VALU_DEP_1) | instskip(NEXT) | instid1(SALU_CYCLE_1)
	s_and_saveexec_b32 s13, s0
	s_xor_b32 s0, exec_lo, s13
; %bb.4984:                             ;   in Loop: Header=BB448_2342 Depth=1
	v_bfe_u32 v7, v6, 16, 1
	s_delay_alu instid0(VALU_DEP_1)
	v_add3_u32 v16, v6, v7, 0x7fff
                                        ; implicit-def: $vgpr6
; %bb.4985:                             ;   in Loop: Header=BB448_2342 Depth=1
	s_and_not1_saveexec_b32 s13, s0
; %bb.4986:                             ;   in Loop: Header=BB448_2342 Depth=1
	v_and_b32_e32 v7, 0xffff, v6
	v_or_b32_e32 v12, 0x10000, v6
	s_delay_alu instid0(VALU_DEP_2) | instskip(NEXT) | instid1(VALU_DEP_1)
	v_cmp_eq_u32_e64 s0, 0, v7
	v_cndmask_b32_e64 v16, v12, v6, s0
; %bb.4987:                             ;   in Loop: Header=BB448_2342 Depth=1
	s_or_b32 exec_lo, exec_lo, s13
	v_lshrrev_b16 v7, 8, v2
	v_mov_b32_e32 v6, 0
	s_mov_b32 s13, exec_lo
	s_delay_alu instid0(VALU_DEP_2)
	v_cmpx_ne_u16_e32 0, v7
	s_cbranch_execz .LBB448_4995
; %bb.4988:                             ;   in Loop: Header=BB448_2342 Depth=1
	v_bfrev_b32_e32 v6, 1
	s_mov_b32 s15, exec_lo
	v_cmpx_ne_u16_e32 0x80, v7
	s_cbranch_execz .LBB448_4994
; %bb.4989:                             ;   in Loop: Header=BB448_2342 Depth=1
	v_and_b32_e32 v7, 0xffff, v7
	v_mov_b32_e32 v6, 0x7f800001
	s_mov_b32 s16, exec_lo
	s_delay_alu instid0(VALU_DEP_2) | instskip(NEXT) | instid1(VALU_DEP_1)
	v_and_b32_e32 v21, 0x7f, v7
	v_cmpx_ne_u32_e32 0x7f, v21
	s_cbranch_execz .LBB448_4993
; %bb.4990:                             ;   in Loop: Header=BB448_2342 Depth=1
	v_and_b32_e32 v12, 7, v7
	s_mov_b32 s17, exec_lo
	s_delay_alu instid0(VALU_DEP_1)
	v_dual_mov_b32 v6, v12 :: v_dual_mov_b32 v7, v13
	v_lshrrev_b32_e32 v7, 3, v21
	v_cmpx_gt_u32_e32 8, v21
; %bb.4991:                             ;   in Loop: Header=BB448_2342 Depth=1
	v_clz_i32_u32_e32 v6, v12
	s_delay_alu instid0(VALU_DEP_1) | instskip(NEXT) | instid1(VALU_DEP_1)
	v_min_u32_e32 v21, 32, v6
	v_subrev_nc_u32_e32 v6, 28, v21
	s_delay_alu instid0(VALU_DEP_1) | instskip(SKIP_1) | instid1(VALU_DEP_2)
	v_lshlrev_b64 v[6:7], v6, v[12:13]
	v_sub_nc_u32_e32 v7, 29, v21
	v_and_b32_e32 v6, 7, v6
; %bb.4992:                             ;   in Loop: Header=BB448_2342 Depth=1
	s_or_b32 exec_lo, exec_lo, s17
	v_lshlrev_b32_e32 v12, 16, v2
	s_delay_alu instid0(VALU_DEP_2) | instskip(SKIP_1) | instid1(VALU_DEP_3)
	v_lshlrev_b32_e32 v6, 20, v6
	v_lshl_add_u32 v7, v7, 23, 0x3c000000
	v_and_b32_e32 v12, 0x80000000, v12
	s_delay_alu instid0(VALU_DEP_1)
	v_or3_b32 v6, v6, v12, v7
.LBB448_4993:                           ;   in Loop: Header=BB448_2342 Depth=1
	s_or_b32 exec_lo, exec_lo, s16
.LBB448_4994:                           ;   in Loop: Header=BB448_2342 Depth=1
	s_delay_alu instid0(SALU_CYCLE_1)
	s_or_b32 exec_lo, exec_lo, s15
.LBB448_4995:                           ;   in Loop: Header=BB448_2342 Depth=1
	s_delay_alu instid0(SALU_CYCLE_1) | instskip(NEXT) | instid1(VALU_DEP_1)
	s_or_b32 exec_lo, exec_lo, s13
	v_mul_f32_e32 v6, v118, v6
                                        ; implicit-def: $vgpr21
	s_delay_alu instid0(VALU_DEP_1) | instskip(NEXT) | instid1(VALU_DEP_1)
	v_and_b32_e32 v7, 0x7f800000, v6
	v_cmp_ne_u32_e64 s0, 0x7f800000, v7
	s_delay_alu instid0(VALU_DEP_1) | instskip(NEXT) | instid1(SALU_CYCLE_1)
	s_and_saveexec_b32 s13, s0
	s_xor_b32 s0, exec_lo, s13
; %bb.4996:                             ;   in Loop: Header=BB448_2342 Depth=1
	v_bfe_u32 v7, v6, 16, 1
	s_delay_alu instid0(VALU_DEP_1)
	v_add3_u32 v21, v6, v7, 0x7fff
                                        ; implicit-def: $vgpr6
; %bb.4997:                             ;   in Loop: Header=BB448_2342 Depth=1
	s_and_not1_saveexec_b32 s13, s0
; %bb.4998:                             ;   in Loop: Header=BB448_2342 Depth=1
	v_and_b32_e32 v7, 0xffff, v6
	v_or_b32_e32 v12, 0x10000, v6
	s_delay_alu instid0(VALU_DEP_2) | instskip(NEXT) | instid1(VALU_DEP_1)
	v_cmp_eq_u32_e64 s0, 0, v7
	v_cndmask_b32_e64 v21, v12, v6, s0
; %bb.4999:                             ;   in Loop: Header=BB448_2342 Depth=1
	s_or_b32 exec_lo, exec_lo, s13
	v_lshrrev_b32_e32 v24, 16, v2
	s_mov_b32 s13, exec_lo
	s_delay_alu instid0(VALU_DEP_1) | instskip(NEXT) | instid1(VALU_DEP_1)
	v_dual_mov_b32 v6, 0 :: v_dual_and_b32 v7, 0xff, v24
	v_cmpx_ne_u16_e32 0, v7
	s_cbranch_execz .LBB448_5007
; %bb.5000:                             ;   in Loop: Header=BB448_2342 Depth=1
	v_bfrev_b32_e32 v6, 1
	s_mov_b32 s15, exec_lo
	v_cmpx_ne_u16_e32 0x80, v7
	s_cbranch_execz .LBB448_5006
; %bb.5001:                             ;   in Loop: Header=BB448_2342 Depth=1
	v_bfe_u32 v25, v2, 16, 7
	v_mov_b32_e32 v6, 0x7f800001
	s_mov_b32 s16, exec_lo
	s_delay_alu instid0(VALU_DEP_2)
	v_cmpx_ne_u32_e32 0x7f, v25
	s_cbranch_execz .LBB448_5005
; %bb.5002:                             ;   in Loop: Header=BB448_2342 Depth=1
	v_and_b32_e32 v12, 7, v24
	s_mov_b32 s17, exec_lo
	s_delay_alu instid0(VALU_DEP_1)
	v_dual_mov_b32 v6, v12 :: v_dual_mov_b32 v7, v13
	v_lshrrev_b32_e32 v7, 3, v25
	v_cmpx_gt_u32_e32 8, v25
; %bb.5003:                             ;   in Loop: Header=BB448_2342 Depth=1
	v_clz_i32_u32_e32 v6, v12
	s_delay_alu instid0(VALU_DEP_1) | instskip(NEXT) | instid1(VALU_DEP_1)
	v_min_u32_e32 v25, 32, v6
	v_subrev_nc_u32_e32 v6, 28, v25
	s_delay_alu instid0(VALU_DEP_1) | instskip(SKIP_1) | instid1(VALU_DEP_2)
	v_lshlrev_b64 v[6:7], v6, v[12:13]
	v_sub_nc_u32_e32 v7, 29, v25
	v_and_b32_e32 v6, 7, v6
; %bb.5004:                             ;   in Loop: Header=BB448_2342 Depth=1
	s_or_b32 exec_lo, exec_lo, s17
	v_lshlrev_b32_e32 v12, 24, v24
	s_delay_alu instid0(VALU_DEP_2) | instskip(SKIP_1) | instid1(VALU_DEP_3)
	v_lshlrev_b32_e32 v6, 20, v6
	v_lshl_add_u32 v7, v7, 23, 0x3c000000
	v_and_b32_e32 v12, 0x80000000, v12
	s_delay_alu instid0(VALU_DEP_1)
	v_or3_b32 v6, v6, v12, v7
.LBB448_5005:                           ;   in Loop: Header=BB448_2342 Depth=1
	s_or_b32 exec_lo, exec_lo, s16
.LBB448_5006:                           ;   in Loop: Header=BB448_2342 Depth=1
	s_delay_alu instid0(SALU_CYCLE_1)
	s_or_b32 exec_lo, exec_lo, s15
.LBB448_5007:                           ;   in Loop: Header=BB448_2342 Depth=1
	s_delay_alu instid0(SALU_CYCLE_1) | instskip(NEXT) | instid1(VALU_DEP_1)
	s_or_b32 exec_lo, exec_lo, s13
	v_mul_f32_e32 v6, v118, v6
                                        ; implicit-def: $vgpr24
	s_delay_alu instid0(VALU_DEP_1) | instskip(NEXT) | instid1(VALU_DEP_1)
	v_and_b32_e32 v7, 0x7f800000, v6
	v_cmp_ne_u32_e64 s0, 0x7f800000, v7
	s_delay_alu instid0(VALU_DEP_1) | instskip(NEXT) | instid1(SALU_CYCLE_1)
	s_and_saveexec_b32 s13, s0
	s_xor_b32 s0, exec_lo, s13
; %bb.5008:                             ;   in Loop: Header=BB448_2342 Depth=1
	v_bfe_u32 v7, v6, 16, 1
	s_delay_alu instid0(VALU_DEP_1)
	v_add3_u32 v24, v6, v7, 0x7fff
                                        ; implicit-def: $vgpr6
; %bb.5009:                             ;   in Loop: Header=BB448_2342 Depth=1
	s_and_not1_saveexec_b32 s13, s0
; %bb.5010:                             ;   in Loop: Header=BB448_2342 Depth=1
	v_and_b32_e32 v7, 0xffff, v6
	v_or_b32_e32 v12, 0x10000, v6
	s_delay_alu instid0(VALU_DEP_2) | instskip(NEXT) | instid1(VALU_DEP_1)
	v_cmp_eq_u32_e64 s0, 0, v7
	v_cndmask_b32_e64 v24, v12, v6, s0
; %bb.5011:                             ;   in Loop: Header=BB448_2342 Depth=1
	s_or_b32 exec_lo, exec_lo, s13
	v_mov_b32_e32 v6, 0
	s_mov_b32 s13, exec_lo
	v_cmpx_lt_u32_e32 0xffffff, v2
	s_cbranch_execz .LBB448_5019
; %bb.5012:                             ;   in Loop: Header=BB448_2342 Depth=1
	v_lshrrev_b32_e32 v25, 24, v2
	v_bfrev_b32_e32 v6, 1
	s_mov_b32 s15, exec_lo
	s_delay_alu instid0(VALU_DEP_2)
	v_cmpx_ne_u32_e32 0x80, v25
	s_cbranch_execz .LBB448_5018
; %bb.5013:                             ;   in Loop: Header=BB448_2342 Depth=1
	v_bfe_u32 v28, v2, 24, 7
	v_mov_b32_e32 v6, 0x7f800001
	s_mov_b32 s16, exec_lo
	s_delay_alu instid0(VALU_DEP_2)
	v_cmpx_ne_u32_e32 0x7f, v28
	s_cbranch_execz .LBB448_5017
; %bb.5014:                             ;   in Loop: Header=BB448_2342 Depth=1
	v_and_b32_e32 v12, 7, v25
	s_mov_b32 s17, exec_lo
	s_delay_alu instid0(VALU_DEP_1)
	v_dual_mov_b32 v6, v12 :: v_dual_mov_b32 v7, v13
	v_lshrrev_b32_e32 v7, 3, v28
	v_cmpx_gt_u32_e32 8, v28
; %bb.5015:                             ;   in Loop: Header=BB448_2342 Depth=1
	v_clz_i32_u32_e32 v6, v12
	s_delay_alu instid0(VALU_DEP_1) | instskip(NEXT) | instid1(VALU_DEP_1)
	v_min_u32_e32 v28, 32, v6
	v_subrev_nc_u32_e32 v6, 28, v28
	s_delay_alu instid0(VALU_DEP_1) | instskip(SKIP_1) | instid1(VALU_DEP_2)
	v_lshlrev_b64 v[6:7], v6, v[12:13]
	v_sub_nc_u32_e32 v7, 29, v28
	v_and_b32_e32 v6, 7, v6
; %bb.5016:                             ;   in Loop: Header=BB448_2342 Depth=1
	s_or_b32 exec_lo, exec_lo, s17
	v_lshlrev_b32_e32 v12, 24, v25
	s_delay_alu instid0(VALU_DEP_2) | instskip(SKIP_1) | instid1(VALU_DEP_3)
	v_lshlrev_b32_e32 v6, 20, v6
	v_lshl_add_u32 v7, v7, 23, 0x3c000000
	v_and_b32_e32 v12, 0x80000000, v12
	s_delay_alu instid0(VALU_DEP_1)
	v_or3_b32 v6, v6, v12, v7
.LBB448_5017:                           ;   in Loop: Header=BB448_2342 Depth=1
	s_or_b32 exec_lo, exec_lo, s16
.LBB448_5018:                           ;   in Loop: Header=BB448_2342 Depth=1
	s_delay_alu instid0(SALU_CYCLE_1)
	s_or_b32 exec_lo, exec_lo, s15
.LBB448_5019:                           ;   in Loop: Header=BB448_2342 Depth=1
	s_delay_alu instid0(SALU_CYCLE_1) | instskip(NEXT) | instid1(VALU_DEP_1)
	s_or_b32 exec_lo, exec_lo, s13
	v_mul_f32_e32 v6, v118, v6
                                        ; implicit-def: $vgpr25
	s_delay_alu instid0(VALU_DEP_1) | instskip(NEXT) | instid1(VALU_DEP_1)
	v_and_b32_e32 v7, 0x7f800000, v6
	v_cmp_ne_u32_e64 s0, 0x7f800000, v7
	s_delay_alu instid0(VALU_DEP_1) | instskip(NEXT) | instid1(SALU_CYCLE_1)
	s_and_saveexec_b32 s13, s0
	s_xor_b32 s0, exec_lo, s13
; %bb.5020:                             ;   in Loop: Header=BB448_2342 Depth=1
	v_bfe_u32 v7, v6, 16, 1
	s_delay_alu instid0(VALU_DEP_1)
	v_add3_u32 v25, v6, v7, 0x7fff
                                        ; implicit-def: $vgpr6
; %bb.5021:                             ;   in Loop: Header=BB448_2342 Depth=1
	s_and_not1_saveexec_b32 s13, s0
; %bb.5022:                             ;   in Loop: Header=BB448_2342 Depth=1
	v_and_b32_e32 v7, 0xffff, v6
	v_or_b32_e32 v12, 0x10000, v6
	s_delay_alu instid0(VALU_DEP_2) | instskip(NEXT) | instid1(VALU_DEP_1)
	v_cmp_eq_u32_e64 s0, 0, v7
	v_cndmask_b32_e64 v25, v12, v6, s0
; %bb.5023:                             ;   in Loop: Header=BB448_2342 Depth=1
	s_or_b32 exec_lo, exec_lo, s13
	v_dual_mov_b32 v12, v3 :: v_dual_and_b32 v7, 0xff, v3
	v_mov_b32_e32 v6, 0
	s_mov_b32 s13, exec_lo
	s_delay_alu instid0(VALU_DEP_2)
	v_cmpx_ne_u16_e32 0, v7
	s_cbranch_execz .LBB448_5031
; %bb.5024:                             ;   in Loop: Header=BB448_2342 Depth=1
	v_bfrev_b32_e32 v6, 1
	s_mov_b32 s15, exec_lo
	v_cmpx_ne_u16_e32 0x80, v7
	s_cbranch_execz .LBB448_5030
; %bb.5025:                             ;   in Loop: Header=BB448_2342 Depth=1
	v_and_b32_e32 v28, 0x7f, v3
	v_mov_b32_e32 v6, 0x7f800001
	s_mov_b32 s16, exec_lo
	s_delay_alu instid0(VALU_DEP_2)
	v_cmpx_ne_u32_e32 0x7f, v28
	s_cbranch_execz .LBB448_5029
; %bb.5026:                             ;   in Loop: Header=BB448_2342 Depth=1
	v_dual_mov_b32 v6, v12 :: v_dual_mov_b32 v7, v13
	v_lshrrev_b32_e32 v7, 3, v28
	s_mov_b32 s17, exec_lo
	v_cmpx_gt_u32_e32 8, v28
; %bb.5027:                             ;   in Loop: Header=BB448_2342 Depth=1
	v_and_b32_e32 v6, 7, v3
	s_delay_alu instid0(VALU_DEP_1) | instskip(NEXT) | instid1(VALU_DEP_1)
	v_clz_i32_u32_e32 v6, v6
	v_min_u32_e32 v28, 32, v6
	s_delay_alu instid0(VALU_DEP_1) | instskip(NEXT) | instid1(VALU_DEP_1)
	v_subrev_nc_u32_e32 v6, 28, v28
	v_lshlrev_b64 v[6:7], v6, v[12:13]
	v_sub_nc_u32_e32 v7, 29, v28
; %bb.5028:                             ;   in Loop: Header=BB448_2342 Depth=1
	s_or_b32 exec_lo, exec_lo, s17
	s_delay_alu instid0(VALU_DEP_2) | instskip(SKIP_1) | instid1(VALU_DEP_3)
	v_lshlrev_b32_e32 v6, 20, v6
	v_lshlrev_b32_e32 v28, 24, v12
	v_lshl_add_u32 v7, v7, 23, 0x3c000000
	s_delay_alu instid0(VALU_DEP_3) | instskip(NEXT) | instid1(VALU_DEP_3)
	v_and_b32_e32 v6, 0x700000, v6
	v_and_b32_e32 v28, 0x80000000, v28
	s_delay_alu instid0(VALU_DEP_1)
	v_or3_b32 v6, v6, v28, v7
.LBB448_5029:                           ;   in Loop: Header=BB448_2342 Depth=1
	s_or_b32 exec_lo, exec_lo, s16
.LBB448_5030:                           ;   in Loop: Header=BB448_2342 Depth=1
	s_delay_alu instid0(SALU_CYCLE_1)
	s_or_b32 exec_lo, exec_lo, s15
.LBB448_5031:                           ;   in Loop: Header=BB448_2342 Depth=1
	s_delay_alu instid0(SALU_CYCLE_1) | instskip(NEXT) | instid1(VALU_DEP_1)
	s_or_b32 exec_lo, exec_lo, s13
	v_mul_f32_e32 v6, v118, v6
                                        ; implicit-def: $vgpr28
	s_delay_alu instid0(VALU_DEP_1) | instskip(NEXT) | instid1(VALU_DEP_1)
	v_and_b32_e32 v7, 0x7f800000, v6
	v_cmp_ne_u32_e64 s0, 0x7f800000, v7
	s_delay_alu instid0(VALU_DEP_1) | instskip(NEXT) | instid1(SALU_CYCLE_1)
	s_and_saveexec_b32 s13, s0
	s_xor_b32 s0, exec_lo, s13
; %bb.5032:                             ;   in Loop: Header=BB448_2342 Depth=1
	v_bfe_u32 v7, v6, 16, 1
	s_delay_alu instid0(VALU_DEP_1)
	v_add3_u32 v28, v6, v7, 0x7fff
                                        ; implicit-def: $vgpr6
; %bb.5033:                             ;   in Loop: Header=BB448_2342 Depth=1
	s_and_not1_saveexec_b32 s13, s0
; %bb.5034:                             ;   in Loop: Header=BB448_2342 Depth=1
	v_and_b32_e32 v7, 0xffff, v6
	v_or_b32_e32 v28, 0x10000, v6
	s_delay_alu instid0(VALU_DEP_2) | instskip(NEXT) | instid1(VALU_DEP_1)
	v_cmp_eq_u32_e64 s0, 0, v7
	v_cndmask_b32_e64 v28, v28, v6, s0
; %bb.5035:                             ;   in Loop: Header=BB448_2342 Depth=1
	s_or_b32 exec_lo, exec_lo, s13
	v_lshrrev_b16 v7, 8, v12
	v_mov_b32_e32 v6, 0
	s_mov_b32 s13, exec_lo
	s_delay_alu instid0(VALU_DEP_2)
	v_cmpx_ne_u16_e32 0, v7
	s_cbranch_execz .LBB448_5043
; %bb.5036:                             ;   in Loop: Header=BB448_2342 Depth=1
	v_bfrev_b32_e32 v6, 1
	s_mov_b32 s15, exec_lo
	v_cmpx_ne_u16_e32 0x80, v7
	s_cbranch_execz .LBB448_5042
; %bb.5037:                             ;   in Loop: Header=BB448_2342 Depth=1
	v_and_b32_e32 v7, 0xffff, v7
	v_mov_b32_e32 v6, 0x7f800001
	s_mov_b32 s16, exec_lo
	s_delay_alu instid0(VALU_DEP_2) | instskip(NEXT) | instid1(VALU_DEP_1)
	v_and_b32_e32 v31, 0x7f, v7
	v_cmpx_ne_u32_e32 0x7f, v31
	s_cbranch_execz .LBB448_5041
; %bb.5038:                             ;   in Loop: Header=BB448_2342 Depth=1
	v_dual_mov_b32 v7, v13 :: v_dual_and_b32 v6, 7, v7
	v_lshrrev_b32_e32 v29, 3, v31
	s_mov_b32 s17, exec_lo
	v_cmpx_gt_u32_e32 8, v31
; %bb.5039:                             ;   in Loop: Header=BB448_2342 Depth=1
	s_delay_alu instid0(VALU_DEP_3) | instskip(NEXT) | instid1(VALU_DEP_1)
	v_clz_i32_u32_e32 v29, v6
	v_min_u32_e32 v29, 32, v29
	s_delay_alu instid0(VALU_DEP_1) | instskip(SKIP_1) | instid1(VALU_DEP_2)
	v_subrev_nc_u32_e32 v31, 28, v29
	v_sub_nc_u32_e32 v29, 29, v29
	v_lshlrev_b64 v[6:7], v31, v[6:7]
	s_delay_alu instid0(VALU_DEP_1)
	v_and_b32_e32 v6, 7, v6
; %bb.5040:                             ;   in Loop: Header=BB448_2342 Depth=1
	s_or_b32 exec_lo, exec_lo, s17
	v_lshlrev_b32_e32 v7, 16, v12
	s_delay_alu instid0(VALU_DEP_2) | instskip(SKIP_1) | instid1(VALU_DEP_3)
	v_lshlrev_b32_e32 v6, 20, v6
	v_lshl_add_u32 v12, v29, 23, 0x3c000000
	v_and_b32_e32 v7, 0x80000000, v7
	s_delay_alu instid0(VALU_DEP_1)
	v_or3_b32 v6, v6, v7, v12
.LBB448_5041:                           ;   in Loop: Header=BB448_2342 Depth=1
	s_or_b32 exec_lo, exec_lo, s16
.LBB448_5042:                           ;   in Loop: Header=BB448_2342 Depth=1
	s_delay_alu instid0(SALU_CYCLE_1)
	s_or_b32 exec_lo, exec_lo, s15
.LBB448_5043:                           ;   in Loop: Header=BB448_2342 Depth=1
	s_delay_alu instid0(SALU_CYCLE_1) | instskip(NEXT) | instid1(VALU_DEP_1)
	s_or_b32 exec_lo, exec_lo, s13
	v_mul_f32_e32 v6, v118, v6
                                        ; implicit-def: $vgpr29
	s_delay_alu instid0(VALU_DEP_1) | instskip(NEXT) | instid1(VALU_DEP_1)
	v_and_b32_e32 v7, 0x7f800000, v6
	v_cmp_ne_u32_e64 s0, 0x7f800000, v7
	s_delay_alu instid0(VALU_DEP_1) | instskip(NEXT) | instid1(SALU_CYCLE_1)
	s_and_saveexec_b32 s13, s0
	s_xor_b32 s0, exec_lo, s13
; %bb.5044:                             ;   in Loop: Header=BB448_2342 Depth=1
	v_bfe_u32 v7, v6, 16, 1
	s_delay_alu instid0(VALU_DEP_1)
	v_add3_u32 v29, v6, v7, 0x7fff
                                        ; implicit-def: $vgpr6
; %bb.5045:                             ;   in Loop: Header=BB448_2342 Depth=1
	s_and_not1_saveexec_b32 s13, s0
; %bb.5046:                             ;   in Loop: Header=BB448_2342 Depth=1
	v_and_b32_e32 v7, 0xffff, v6
	v_or_b32_e32 v12, 0x10000, v6
	s_delay_alu instid0(VALU_DEP_2) | instskip(NEXT) | instid1(VALU_DEP_1)
	v_cmp_eq_u32_e64 s0, 0, v7
	v_cndmask_b32_e64 v29, v12, v6, s0
; %bb.5047:                             ;   in Loop: Header=BB448_2342 Depth=1
	s_or_b32 exec_lo, exec_lo, s13
	v_lshrrev_b32_e32 v31, 16, v3
	s_mov_b32 s13, exec_lo
	s_delay_alu instid0(VALU_DEP_1) | instskip(NEXT) | instid1(VALU_DEP_1)
	v_dual_mov_b32 v6, 0 :: v_dual_and_b32 v7, 0xff, v31
	v_cmpx_ne_u16_e32 0, v7
	s_cbranch_execz .LBB448_5055
; %bb.5048:                             ;   in Loop: Header=BB448_2342 Depth=1
	v_bfrev_b32_e32 v6, 1
	s_mov_b32 s15, exec_lo
	v_cmpx_ne_u16_e32 0x80, v7
	s_cbranch_execz .LBB448_5054
; %bb.5049:                             ;   in Loop: Header=BB448_2342 Depth=1
	v_bfe_u32 v32, v3, 16, 7
	v_mov_b32_e32 v6, 0x7f800001
	s_mov_b32 s16, exec_lo
	s_delay_alu instid0(VALU_DEP_2)
	v_cmpx_ne_u32_e32 0x7f, v32
	s_cbranch_execz .LBB448_5053
; %bb.5050:                             ;   in Loop: Header=BB448_2342 Depth=1
	v_and_b32_e32 v12, 7, v31
	s_mov_b32 s17, exec_lo
	s_delay_alu instid0(VALU_DEP_1)
	v_dual_mov_b32 v6, v12 :: v_dual_mov_b32 v7, v13
	v_lshrrev_b32_e32 v7, 3, v32
	v_cmpx_gt_u32_e32 8, v32
; %bb.5051:                             ;   in Loop: Header=BB448_2342 Depth=1
	v_clz_i32_u32_e32 v6, v12
	s_delay_alu instid0(VALU_DEP_1) | instskip(NEXT) | instid1(VALU_DEP_1)
	v_min_u32_e32 v32, 32, v6
	v_subrev_nc_u32_e32 v6, 28, v32
	s_delay_alu instid0(VALU_DEP_1) | instskip(SKIP_1) | instid1(VALU_DEP_2)
	v_lshlrev_b64 v[6:7], v6, v[12:13]
	v_sub_nc_u32_e32 v7, 29, v32
	v_and_b32_e32 v6, 7, v6
; %bb.5052:                             ;   in Loop: Header=BB448_2342 Depth=1
	s_or_b32 exec_lo, exec_lo, s17
	v_lshlrev_b32_e32 v12, 24, v31
	s_delay_alu instid0(VALU_DEP_2) | instskip(SKIP_1) | instid1(VALU_DEP_3)
	v_lshlrev_b32_e32 v6, 20, v6
	v_lshl_add_u32 v7, v7, 23, 0x3c000000
	v_and_b32_e32 v12, 0x80000000, v12
	s_delay_alu instid0(VALU_DEP_1)
	v_or3_b32 v6, v6, v12, v7
.LBB448_5053:                           ;   in Loop: Header=BB448_2342 Depth=1
	s_or_b32 exec_lo, exec_lo, s16
.LBB448_5054:                           ;   in Loop: Header=BB448_2342 Depth=1
	s_delay_alu instid0(SALU_CYCLE_1)
	s_or_b32 exec_lo, exec_lo, s15
.LBB448_5055:                           ;   in Loop: Header=BB448_2342 Depth=1
	s_delay_alu instid0(SALU_CYCLE_1) | instskip(NEXT) | instid1(VALU_DEP_1)
	s_or_b32 exec_lo, exec_lo, s13
	v_mul_f32_e32 v6, v118, v6
                                        ; implicit-def: $vgpr31
	s_delay_alu instid0(VALU_DEP_1) | instskip(NEXT) | instid1(VALU_DEP_1)
	v_and_b32_e32 v7, 0x7f800000, v6
	v_cmp_ne_u32_e64 s0, 0x7f800000, v7
	s_delay_alu instid0(VALU_DEP_1) | instskip(NEXT) | instid1(SALU_CYCLE_1)
	s_and_saveexec_b32 s13, s0
	s_xor_b32 s0, exec_lo, s13
; %bb.5056:                             ;   in Loop: Header=BB448_2342 Depth=1
	v_bfe_u32 v7, v6, 16, 1
	s_delay_alu instid0(VALU_DEP_1)
	v_add3_u32 v31, v6, v7, 0x7fff
                                        ; implicit-def: $vgpr6
; %bb.5057:                             ;   in Loop: Header=BB448_2342 Depth=1
	s_and_not1_saveexec_b32 s13, s0
; %bb.5058:                             ;   in Loop: Header=BB448_2342 Depth=1
	v_and_b32_e32 v7, 0xffff, v6
	v_or_b32_e32 v12, 0x10000, v6
	s_delay_alu instid0(VALU_DEP_2) | instskip(NEXT) | instid1(VALU_DEP_1)
	v_cmp_eq_u32_e64 s0, 0, v7
	v_cndmask_b32_e64 v31, v12, v6, s0
; %bb.5059:                             ;   in Loop: Header=BB448_2342 Depth=1
	s_or_b32 exec_lo, exec_lo, s13
	v_cmp_lt_u64_e64 s0, s[8:9], v[2:3]
	v_mov_b32_e32 v2, 0
	s_delay_alu instid0(VALU_DEP_2)
	s_and_saveexec_b32 s13, s0
	s_cbranch_execz .LBB448_5067
; %bb.5060:                             ;   in Loop: Header=BB448_2342 Depth=1
	v_lshrrev_b32_e32 v6, 24, v3
	v_bfrev_b32_e32 v2, 1
	s_mov_b32 s15, exec_lo
	s_delay_alu instid0(VALU_DEP_2)
	v_cmpx_ne_u32_e32 0x80, v6
	s_cbranch_execz .LBB448_5066
; %bb.5061:                             ;   in Loop: Header=BB448_2342 Depth=1
	v_bfe_u32 v7, v3, 24, 7
	v_mov_b32_e32 v2, 0x7f800001
	s_mov_b32 s16, exec_lo
	s_delay_alu instid0(VALU_DEP_2)
	v_cmpx_ne_u32_e32 0x7f, v7
	s_cbranch_execz .LBB448_5065
; %bb.5062:                             ;   in Loop: Header=BB448_2342 Depth=1
	v_and_b32_e32 v12, 7, v6
	s_mov_b32 s17, exec_lo
	s_delay_alu instid0(VALU_DEP_1)
	v_dual_mov_b32 v2, v12 :: v_dual_mov_b32 v3, v13
	v_lshrrev_b32_e32 v3, 3, v7
	v_cmpx_gt_u32_e32 8, v7
; %bb.5063:                             ;   in Loop: Header=BB448_2342 Depth=1
	v_clz_i32_u32_e32 v2, v12
	s_delay_alu instid0(VALU_DEP_1) | instskip(NEXT) | instid1(VALU_DEP_1)
	v_min_u32_e32 v7, 32, v2
	v_subrev_nc_u32_e32 v2, 28, v7
	s_delay_alu instid0(VALU_DEP_1) | instskip(SKIP_1) | instid1(VALU_DEP_2)
	v_lshlrev_b64 v[2:3], v2, v[12:13]
	v_sub_nc_u32_e32 v3, 29, v7
	v_and_b32_e32 v2, 7, v2
; %bb.5064:                             ;   in Loop: Header=BB448_2342 Depth=1
	s_or_b32 exec_lo, exec_lo, s17
	v_lshlrev_b32_e32 v6, 24, v6
	s_delay_alu instid0(VALU_DEP_2) | instskip(SKIP_1) | instid1(VALU_DEP_3)
	v_lshlrev_b32_e32 v2, 20, v2
	v_lshl_add_u32 v3, v3, 23, 0x3c000000
	v_and_b32_e32 v6, 0x80000000, v6
	s_delay_alu instid0(VALU_DEP_1)
	v_or3_b32 v2, v2, v6, v3
.LBB448_5065:                           ;   in Loop: Header=BB448_2342 Depth=1
	s_or_b32 exec_lo, exec_lo, s16
.LBB448_5066:                           ;   in Loop: Header=BB448_2342 Depth=1
	s_delay_alu instid0(SALU_CYCLE_1)
	s_or_b32 exec_lo, exec_lo, s15
.LBB448_5067:                           ;   in Loop: Header=BB448_2342 Depth=1
	s_delay_alu instid0(SALU_CYCLE_1) | instskip(NEXT) | instid1(VALU_DEP_1)
	s_or_b32 exec_lo, exec_lo, s13
	v_mul_f32_e32 v3, v118, v2
	s_delay_alu instid0(VALU_DEP_1) | instskip(NEXT) | instid1(VALU_DEP_1)
	v_and_b32_e32 v2, 0x7f800000, v3
	v_cmp_ne_u32_e64 s0, 0x7f800000, v2
                                        ; implicit-def: $vgpr2
	s_delay_alu instid0(VALU_DEP_1) | instskip(NEXT) | instid1(SALU_CYCLE_1)
	s_and_saveexec_b32 s13, s0
	s_xor_b32 s0, exec_lo, s13
; %bb.5068:                             ;   in Loop: Header=BB448_2342 Depth=1
	v_bfe_u32 v2, v3, 16, 1
	s_delay_alu instid0(VALU_DEP_1)
	v_add3_u32 v2, v3, v2, 0x7fff
                                        ; implicit-def: $vgpr3
; %bb.5069:                             ;   in Loop: Header=BB448_2342 Depth=1
	s_and_not1_saveexec_b32 s13, s0
; %bb.5070:                             ;   in Loop: Header=BB448_2342 Depth=1
	v_and_b32_e32 v2, 0xffff, v3
	v_or_b32_e32 v6, 0x10000, v3
	s_delay_alu instid0(VALU_DEP_2) | instskip(NEXT) | instid1(VALU_DEP_1)
	v_cmp_eq_u32_e64 s0, 0, v2
	v_cndmask_b32_e64 v2, v6, v3, s0
; %bb.5071:                             ;   in Loop: Header=BB448_2342 Depth=1
	s_or_b32 exec_lo, exec_lo, s13
	v_lshrrev_b32_e32 v6, 16, v29
	v_lshrrev_b32_e32 v7, 16, v28
	;; [unrolled: 1-line block ×8, first 2 shown]
	s_and_saveexec_b32 s13, vcc_lo
	s_cbranch_execz .LBB448_5073
; %bb.5072:                             ;   in Loop: Header=BB448_2342 Depth=1
	v_cmp_lt_i32_e64 s0, v102, v36
	s_delay_alu instid0(VALU_DEP_1) | instskip(SKIP_1) | instid1(VALU_DEP_1)
	v_cndmask_b32_e64 v16, 0, v16, s0
	v_cmp_lt_i32_e64 s0, v133, v36
	v_cndmask_b32_e64 v21, 0, v21, s0
	v_cmp_lt_i32_e64 s0, v132, v36
	s_delay_alu instid0(VALU_DEP_1) | instskip(SKIP_1) | instid1(VALU_DEP_1)
	v_cndmask_b32_e64 v24, 0, v24, s0
	v_cmp_lt_i32_e64 s0, v131, v36
	v_cndmask_b32_e64 v12, 0, v12, s0
	;; [unrolled: 5-line block ×4, first 2 shown]
.LBB448_5073:                           ;   in Loop: Header=BB448_2342 Depth=1
	s_or_b32 exec_lo, exec_lo, s13
	v_lshlrev_b32_e32 v16, 16, v16
                                        ; implicit-def: $vgpr180
	s_delay_alu instid0(VALU_DEP_1) | instskip(NEXT) | instid1(VALU_DEP_1)
	v_mul_f32_e32 v16, v134, v16
	v_and_b32_e32 v25, 0x7f800000, v16
	s_delay_alu instid0(VALU_DEP_1) | instskip(NEXT) | instid1(VALU_DEP_1)
	v_cmp_ne_u32_e64 s0, 0x7f800000, v25
	s_and_saveexec_b32 s13, s0
	s_delay_alu instid0(SALU_CYCLE_1)
	s_xor_b32 s0, exec_lo, s13
; %bb.5074:                             ;   in Loop: Header=BB448_2342 Depth=1
	v_bfe_u32 v25, v16, 16, 1
	s_delay_alu instid0(VALU_DEP_1)
	v_add3_u32 v180, v16, v25, 0x7fff
                                        ; implicit-def: $vgpr16
; %bb.5075:                             ;   in Loop: Header=BB448_2342 Depth=1
	s_and_not1_saveexec_b32 s13, s0
; %bb.5076:                             ;   in Loop: Header=BB448_2342 Depth=1
	v_and_b32_e32 v25, 0xffff, v16
	v_or_b32_e32 v28, 0x10000, v16
	s_delay_alu instid0(VALU_DEP_2) | instskip(NEXT) | instid1(VALU_DEP_1)
	v_cmp_eq_u32_e64 s0, 0, v25
	v_cndmask_b32_e64 v180, v28, v16, s0
; %bb.5077:                             ;   in Loop: Header=BB448_2342 Depth=1
	s_or_b32 exec_lo, exec_lo, s13
	v_lshlrev_b32_e32 v16, 16, v21
                                        ; implicit-def: $vgpr181
	s_delay_alu instid0(VALU_DEP_1) | instskip(NEXT) | instid1(VALU_DEP_1)
	v_mul_f32_e32 v16, v135, v16
	v_and_b32_e32 v21, 0x7f800000, v16
	s_delay_alu instid0(VALU_DEP_1) | instskip(NEXT) | instid1(VALU_DEP_1)
	v_cmp_ne_u32_e64 s0, 0x7f800000, v21
	s_and_saveexec_b32 s13, s0
	s_delay_alu instid0(SALU_CYCLE_1)
	s_xor_b32 s0, exec_lo, s13
; %bb.5078:                             ;   in Loop: Header=BB448_2342 Depth=1
	v_bfe_u32 v21, v16, 16, 1
	s_delay_alu instid0(VALU_DEP_1)
	v_add3_u32 v181, v16, v21, 0x7fff
                                        ; implicit-def: $vgpr16
; %bb.5079:                             ;   in Loop: Header=BB448_2342 Depth=1
	s_and_not1_saveexec_b32 s13, s0
; %bb.5080:                             ;   in Loop: Header=BB448_2342 Depth=1
	v_and_b32_e32 v21, 0xffff, v16
	v_or_b32_e32 v25, 0x10000, v16
	s_delay_alu instid0(VALU_DEP_2) | instskip(NEXT) | instid1(VALU_DEP_1)
	v_cmp_eq_u32_e64 s0, 0, v21
	v_cndmask_b32_e64 v181, v25, v16, s0
; %bb.5081:                             ;   in Loop: Header=BB448_2342 Depth=1
	s_or_b32 exec_lo, exec_lo, s13
	v_lshlrev_b32_e32 v16, 16, v24
	s_delay_alu instid0(VALU_DEP_1) | instskip(NEXT) | instid1(VALU_DEP_1)
	v_mul_f32_e32 v21, v144, v16
	v_and_b32_e32 v16, 0x7f800000, v21
	s_delay_alu instid0(VALU_DEP_1) | instskip(NEXT) | instid1(VALU_DEP_1)
	v_cmp_ne_u32_e64 s0, 0x7f800000, v16
                                        ; implicit-def: $vgpr16
	s_and_saveexec_b32 s13, s0
	s_delay_alu instid0(SALU_CYCLE_1)
	s_xor_b32 s0, exec_lo, s13
; %bb.5082:                             ;   in Loop: Header=BB448_2342 Depth=1
	v_bfe_u32 v16, v21, 16, 1
	s_delay_alu instid0(VALU_DEP_1)
	v_add3_u32 v16, v21, v16, 0x7fff
                                        ; implicit-def: $vgpr21
; %bb.5083:                             ;   in Loop: Header=BB448_2342 Depth=1
	s_and_not1_saveexec_b32 s13, s0
; %bb.5084:                             ;   in Loop: Header=BB448_2342 Depth=1
	v_and_b32_e32 v16, 0xffff, v21
	v_or_b32_e32 v24, 0x10000, v21
	s_delay_alu instid0(VALU_DEP_2) | instskip(NEXT) | instid1(VALU_DEP_1)
	v_cmp_eq_u32_e64 s0, 0, v16
	v_cndmask_b32_e64 v16, v24, v21, s0
; %bb.5085:                             ;   in Loop: Header=BB448_2342 Depth=1
	s_or_b32 exec_lo, exec_lo, s13
	v_lshlrev_b32_e32 v12, 16, v12
                                        ; implicit-def: $vgpr182
	s_delay_alu instid0(VALU_DEP_1) | instskip(NEXT) | instid1(VALU_DEP_1)
	v_mul_f32_e32 v12, v145, v12
	v_and_b32_e32 v21, 0x7f800000, v12
	s_delay_alu instid0(VALU_DEP_1) | instskip(NEXT) | instid1(VALU_DEP_1)
	v_cmp_ne_u32_e64 s0, 0x7f800000, v21
	s_and_saveexec_b32 s13, s0
	s_delay_alu instid0(SALU_CYCLE_1)
	s_xor_b32 s0, exec_lo, s13
; %bb.5086:                             ;   in Loop: Header=BB448_2342 Depth=1
	v_bfe_u32 v21, v12, 16, 1
	s_delay_alu instid0(VALU_DEP_1)
	v_add3_u32 v182, v12, v21, 0x7fff
                                        ; implicit-def: $vgpr12
; %bb.5087:                             ;   in Loop: Header=BB448_2342 Depth=1
	s_and_not1_saveexec_b32 s13, s0
; %bb.5088:                             ;   in Loop: Header=BB448_2342 Depth=1
	v_and_b32_e32 v21, 0xffff, v12
	v_or_b32_e32 v24, 0x10000, v12
	s_delay_alu instid0(VALU_DEP_2) | instskip(NEXT) | instid1(VALU_DEP_1)
	v_cmp_eq_u32_e64 s0, 0, v21
	v_cndmask_b32_e64 v182, v24, v12, s0
; %bb.5089:                             ;   in Loop: Header=BB448_2342 Depth=1
	s_or_b32 exec_lo, exec_lo, s13
	v_lshlrev_b32_e32 v7, 16, v7
                                        ; implicit-def: $vgpr183
	s_delay_alu instid0(VALU_DEP_1) | instskip(NEXT) | instid1(VALU_DEP_1)
	v_mul_f32_e32 v7, v146, v7
	v_and_b32_e32 v12, 0x7f800000, v7
	s_delay_alu instid0(VALU_DEP_1) | instskip(NEXT) | instid1(VALU_DEP_1)
	v_cmp_ne_u32_e64 s0, 0x7f800000, v12
	s_and_saveexec_b32 s13, s0
	s_delay_alu instid0(SALU_CYCLE_1)
	s_xor_b32 s0, exec_lo, s13
; %bb.5090:                             ;   in Loop: Header=BB448_2342 Depth=1
	v_bfe_u32 v12, v7, 16, 1
	s_delay_alu instid0(VALU_DEP_1)
	v_add3_u32 v183, v7, v12, 0x7fff
                                        ; implicit-def: $vgpr7
; %bb.5091:                             ;   in Loop: Header=BB448_2342 Depth=1
	s_and_not1_saveexec_b32 s13, s0
; %bb.5092:                             ;   in Loop: Header=BB448_2342 Depth=1
	v_and_b32_e32 v12, 0xffff, v7
	v_or_b32_e32 v21, 0x10000, v7
	s_delay_alu instid0(VALU_DEP_2) | instskip(NEXT) | instid1(VALU_DEP_1)
	v_cmp_eq_u32_e64 s0, 0, v12
	v_cndmask_b32_e64 v183, v21, v7, s0
; %bb.5093:                             ;   in Loop: Header=BB448_2342 Depth=1
	s_or_b32 exec_lo, exec_lo, s13
	v_lshlrev_b32_e32 v6, 16, v6
                                        ; implicit-def: $vgpr40
	s_delay_alu instid0(VALU_DEP_1) | instskip(NEXT) | instid1(VALU_DEP_1)
	v_mul_f32_e32 v6, v147, v6
	v_and_b32_e32 v7, 0x7f800000, v6
	s_delay_alu instid0(VALU_DEP_1) | instskip(NEXT) | instid1(VALU_DEP_1)
	v_cmp_ne_u32_e64 s0, 0x7f800000, v7
	s_and_saveexec_b32 s13, s0
	s_delay_alu instid0(SALU_CYCLE_1)
	s_xor_b32 s0, exec_lo, s13
; %bb.5094:                             ;   in Loop: Header=BB448_2342 Depth=1
	v_bfe_u32 v7, v6, 16, 1
	s_delay_alu instid0(VALU_DEP_1)
	v_add3_u32 v40, v6, v7, 0x7fff
                                        ; implicit-def: $vgpr6
; %bb.5095:                             ;   in Loop: Header=BB448_2342 Depth=1
	s_and_not1_saveexec_b32 s13, s0
; %bb.5096:                             ;   in Loop: Header=BB448_2342 Depth=1
	v_and_b32_e32 v7, 0xffff, v6
	v_or_b32_e32 v12, 0x10000, v6
	s_delay_alu instid0(VALU_DEP_2) | instskip(NEXT) | instid1(VALU_DEP_1)
	v_cmp_eq_u32_e64 s0, 0, v7
	v_cndmask_b32_e64 v40, v12, v6, s0
; %bb.5097:                             ;   in Loop: Header=BB448_2342 Depth=1
	s_or_b32 exec_lo, exec_lo, s13
	v_lshlrev_b32_e32 v3, 16, v3
                                        ; implicit-def: $vgpr41
	s_delay_alu instid0(VALU_DEP_1) | instskip(NEXT) | instid1(VALU_DEP_1)
	v_mul_f32_e32 v3, v148, v3
	v_and_b32_e32 v6, 0x7f800000, v3
	s_delay_alu instid0(VALU_DEP_1) | instskip(NEXT) | instid1(VALU_DEP_1)
	v_cmp_ne_u32_e64 s0, 0x7f800000, v6
	s_and_saveexec_b32 s13, s0
	s_delay_alu instid0(SALU_CYCLE_1)
	s_xor_b32 s0, exec_lo, s13
; %bb.5098:                             ;   in Loop: Header=BB448_2342 Depth=1
	v_bfe_u32 v6, v3, 16, 1
	s_delay_alu instid0(VALU_DEP_1)
	v_add3_u32 v41, v3, v6, 0x7fff
                                        ; implicit-def: $vgpr3
; %bb.5099:                             ;   in Loop: Header=BB448_2342 Depth=1
	s_and_not1_saveexec_b32 s13, s0
; %bb.5100:                             ;   in Loop: Header=BB448_2342 Depth=1
	v_and_b32_e32 v6, 0xffff, v3
	v_or_b32_e32 v7, 0x10000, v3
	s_delay_alu instid0(VALU_DEP_2) | instskip(NEXT) | instid1(VALU_DEP_1)
	v_cmp_eq_u32_e64 s0, 0, v6
	v_cndmask_b32_e64 v41, v7, v3, s0
; %bb.5101:                             ;   in Loop: Header=BB448_2342 Depth=1
	s_or_b32 exec_lo, exec_lo, s13
	v_lshlrev_b32_e32 v2, 16, v2
                                        ; implicit-def: $vgpr42
	s_delay_alu instid0(VALU_DEP_1) | instskip(NEXT) | instid1(VALU_DEP_1)
	v_mul_f32_e32 v2, v149, v2
	v_and_b32_e32 v3, 0x7f800000, v2
	s_delay_alu instid0(VALU_DEP_1) | instskip(NEXT) | instid1(VALU_DEP_1)
	v_cmp_ne_u32_e64 s0, 0x7f800000, v3
	s_and_saveexec_b32 s13, s0
	s_delay_alu instid0(SALU_CYCLE_1)
	s_xor_b32 s0, exec_lo, s13
; %bb.5102:                             ;   in Loop: Header=BB448_2342 Depth=1
	v_bfe_u32 v3, v2, 16, 1
	s_delay_alu instid0(VALU_DEP_1)
	v_add3_u32 v42, v2, v3, 0x7fff
                                        ; implicit-def: $vgpr2
; %bb.5103:                             ;   in Loop: Header=BB448_2342 Depth=1
	s_and_not1_saveexec_b32 s13, s0
; %bb.5104:                             ;   in Loop: Header=BB448_2342 Depth=1
	v_and_b32_e32 v3, 0xffff, v2
	v_or_b32_e32 v6, 0x10000, v2
	s_delay_alu instid0(VALU_DEP_2) | instskip(NEXT) | instid1(VALU_DEP_1)
	v_cmp_eq_u32_e64 s0, 0, v3
	v_cndmask_b32_e64 v42, v6, v2, s0
; %bb.5105:                             ;   in Loop: Header=BB448_2342 Depth=1
	s_or_b32 exec_lo, exec_lo, s13
	scratch_load_b32 v2, off, s32 offset:632 ; 4-byte Folded Reload
	s_mov_b32 s13, exec_lo
	v_mov_b32_e32 v6, 0
	s_waitcnt vmcnt(0)
	v_add_co_u32 v2, s0, v0, v2
	s_delay_alu instid0(VALU_DEP_1) | instskip(SKIP_3) | instid1(VALU_DEP_1)
	v_add_co_ci_u32_e64 v3, s0, 0, v1, s0
	flat_load_b64 v[2:3], v[2:3]
	s_waitcnt vmcnt(0) lgkmcnt(0)
	v_and_b32_e32 v7, 0xff, v2
	v_cmpx_ne_u16_e32 0, v7
	s_cbranch_execz .LBB448_5113
; %bb.5106:                             ;   in Loop: Header=BB448_2342 Depth=1
	v_bfrev_b32_e32 v6, 1
	s_mov_b32 s15, exec_lo
	v_cmpx_ne_u16_e32 0x80, v7
	s_cbranch_execz .LBB448_5112
; %bb.5107:                             ;   in Loop: Header=BB448_2342 Depth=1
	v_and_b32_e32 v7, 0x7f, v2
	v_mov_b32_e32 v6, 0x7f800001
	s_mov_b32 s16, exec_lo
	s_delay_alu instid0(VALU_DEP_2)
	v_cmpx_ne_u32_e32 0x7f, v7
	s_cbranch_execz .LBB448_5111
; %bb.5108:                             ;   in Loop: Header=BB448_2342 Depth=1
	v_lshrrev_b32_e32 v12, 3, v7
	v_cmp_gt_u32_e64 s0, 8, v7
	v_dual_mov_b32 v7, v3 :: v_dual_mov_b32 v6, v2
	s_delay_alu instid0(VALU_DEP_2)
	s_and_saveexec_b32 s17, s0
; %bb.5109:                             ;   in Loop: Header=BB448_2342 Depth=1
	v_and_b32_e32 v6, 7, v2
	s_delay_alu instid0(VALU_DEP_1) | instskip(NEXT) | instid1(VALU_DEP_1)
	v_clz_i32_u32_e32 v6, v6
	v_min_u32_e32 v12, 32, v6
	s_delay_alu instid0(VALU_DEP_1) | instskip(SKIP_1) | instid1(VALU_DEP_2)
	v_subrev_nc_u32_e32 v6, 28, v12
	v_sub_nc_u32_e32 v12, 29, v12
	v_lshlrev_b64 v[6:7], v6, v[2:3]
; %bb.5110:                             ;   in Loop: Header=BB448_2342 Depth=1
	s_or_b32 exec_lo, exec_lo, s17
	s_delay_alu instid0(VALU_DEP_1) | instskip(SKIP_2) | instid1(VALU_DEP_3)
	v_lshlrev_b32_e32 v6, 20, v6
	v_lshlrev_b32_e32 v7, 24, v2
	v_lshl_add_u32 v12, v12, 23, 0x3c000000
	v_and_b32_e32 v6, 0x700000, v6
	s_delay_alu instid0(VALU_DEP_3) | instskip(NEXT) | instid1(VALU_DEP_1)
	v_and_b32_e32 v7, 0x80000000, v7
	v_or3_b32 v6, v6, v7, v12
.LBB448_5111:                           ;   in Loop: Header=BB448_2342 Depth=1
	s_or_b32 exec_lo, exec_lo, s16
.LBB448_5112:                           ;   in Loop: Header=BB448_2342 Depth=1
	s_delay_alu instid0(SALU_CYCLE_1)
	s_or_b32 exec_lo, exec_lo, s15
.LBB448_5113:                           ;   in Loop: Header=BB448_2342 Depth=1
	s_delay_alu instid0(SALU_CYCLE_1) | instskip(NEXT) | instid1(VALU_DEP_1)
	s_or_b32 exec_lo, exec_lo, s13
	v_mul_f32_e32 v6, v118, v6
                                        ; implicit-def: $vgpr21
	s_delay_alu instid0(VALU_DEP_1) | instskip(NEXT) | instid1(VALU_DEP_1)
	v_and_b32_e32 v7, 0x7f800000, v6
	v_cmp_ne_u32_e64 s0, 0x7f800000, v7
	s_delay_alu instid0(VALU_DEP_1) | instskip(NEXT) | instid1(SALU_CYCLE_1)
	s_and_saveexec_b32 s13, s0
	s_xor_b32 s0, exec_lo, s13
; %bb.5114:                             ;   in Loop: Header=BB448_2342 Depth=1
	v_bfe_u32 v7, v6, 16, 1
	s_delay_alu instid0(VALU_DEP_1)
	v_add3_u32 v21, v6, v7, 0x7fff
                                        ; implicit-def: $vgpr6
; %bb.5115:                             ;   in Loop: Header=BB448_2342 Depth=1
	s_and_not1_saveexec_b32 s13, s0
; %bb.5116:                             ;   in Loop: Header=BB448_2342 Depth=1
	v_and_b32_e32 v7, 0xffff, v6
	v_or_b32_e32 v12, 0x10000, v6
	s_delay_alu instid0(VALU_DEP_2) | instskip(NEXT) | instid1(VALU_DEP_1)
	v_cmp_eq_u32_e64 s0, 0, v7
	v_cndmask_b32_e64 v21, v12, v6, s0
; %bb.5117:                             ;   in Loop: Header=BB448_2342 Depth=1
	s_or_b32 exec_lo, exec_lo, s13
	v_lshrrev_b16 v7, 8, v2
	v_mov_b32_e32 v6, 0
	s_mov_b32 s13, exec_lo
	s_delay_alu instid0(VALU_DEP_2)
	v_cmpx_ne_u16_e32 0, v7
	s_cbranch_execz .LBB448_5125
; %bb.5118:                             ;   in Loop: Header=BB448_2342 Depth=1
	v_bfrev_b32_e32 v6, 1
	s_mov_b32 s15, exec_lo
	v_cmpx_ne_u16_e32 0x80, v7
	s_cbranch_execz .LBB448_5124
; %bb.5119:                             ;   in Loop: Header=BB448_2342 Depth=1
	v_and_b32_e32 v7, 0xffff, v7
	v_mov_b32_e32 v6, 0x7f800001
	s_mov_b32 s16, exec_lo
	s_delay_alu instid0(VALU_DEP_2) | instskip(NEXT) | instid1(VALU_DEP_1)
	v_and_b32_e32 v24, 0x7f, v7
	v_cmpx_ne_u32_e32 0x7f, v24
	s_cbranch_execz .LBB448_5123
; %bb.5120:                             ;   in Loop: Header=BB448_2342 Depth=1
	v_and_b32_e32 v12, 7, v7
	s_mov_b32 s17, exec_lo
	s_delay_alu instid0(VALU_DEP_1)
	v_dual_mov_b32 v6, v12 :: v_dual_mov_b32 v7, v13
	v_lshrrev_b32_e32 v7, 3, v24
	v_cmpx_gt_u32_e32 8, v24
; %bb.5121:                             ;   in Loop: Header=BB448_2342 Depth=1
	v_clz_i32_u32_e32 v6, v12
	s_delay_alu instid0(VALU_DEP_1) | instskip(NEXT) | instid1(VALU_DEP_1)
	v_min_u32_e32 v24, 32, v6
	v_subrev_nc_u32_e32 v6, 28, v24
	s_delay_alu instid0(VALU_DEP_1) | instskip(SKIP_1) | instid1(VALU_DEP_2)
	v_lshlrev_b64 v[6:7], v6, v[12:13]
	v_sub_nc_u32_e32 v7, 29, v24
	v_and_b32_e32 v6, 7, v6
; %bb.5122:                             ;   in Loop: Header=BB448_2342 Depth=1
	s_or_b32 exec_lo, exec_lo, s17
	v_lshlrev_b32_e32 v12, 16, v2
	s_delay_alu instid0(VALU_DEP_2) | instskip(SKIP_1) | instid1(VALU_DEP_3)
	v_lshlrev_b32_e32 v6, 20, v6
	v_lshl_add_u32 v7, v7, 23, 0x3c000000
	v_and_b32_e32 v12, 0x80000000, v12
	s_delay_alu instid0(VALU_DEP_1)
	v_or3_b32 v6, v6, v12, v7
.LBB448_5123:                           ;   in Loop: Header=BB448_2342 Depth=1
	s_or_b32 exec_lo, exec_lo, s16
.LBB448_5124:                           ;   in Loop: Header=BB448_2342 Depth=1
	s_delay_alu instid0(SALU_CYCLE_1)
	s_or_b32 exec_lo, exec_lo, s15
.LBB448_5125:                           ;   in Loop: Header=BB448_2342 Depth=1
	s_delay_alu instid0(SALU_CYCLE_1) | instskip(NEXT) | instid1(VALU_DEP_1)
	s_or_b32 exec_lo, exec_lo, s13
	v_mul_f32_e32 v6, v118, v6
                                        ; implicit-def: $vgpr24
	s_delay_alu instid0(VALU_DEP_1) | instskip(NEXT) | instid1(VALU_DEP_1)
	v_and_b32_e32 v7, 0x7f800000, v6
	v_cmp_ne_u32_e64 s0, 0x7f800000, v7
	s_delay_alu instid0(VALU_DEP_1) | instskip(NEXT) | instid1(SALU_CYCLE_1)
	s_and_saveexec_b32 s13, s0
	s_xor_b32 s0, exec_lo, s13
; %bb.5126:                             ;   in Loop: Header=BB448_2342 Depth=1
	v_bfe_u32 v7, v6, 16, 1
	s_delay_alu instid0(VALU_DEP_1)
	v_add3_u32 v24, v6, v7, 0x7fff
                                        ; implicit-def: $vgpr6
; %bb.5127:                             ;   in Loop: Header=BB448_2342 Depth=1
	s_and_not1_saveexec_b32 s13, s0
; %bb.5128:                             ;   in Loop: Header=BB448_2342 Depth=1
	v_and_b32_e32 v7, 0xffff, v6
	v_or_b32_e32 v12, 0x10000, v6
	s_delay_alu instid0(VALU_DEP_2) | instskip(NEXT) | instid1(VALU_DEP_1)
	v_cmp_eq_u32_e64 s0, 0, v7
	v_cndmask_b32_e64 v24, v12, v6, s0
; %bb.5129:                             ;   in Loop: Header=BB448_2342 Depth=1
	s_or_b32 exec_lo, exec_lo, s13
	v_lshrrev_b32_e32 v25, 16, v2
	s_mov_b32 s13, exec_lo
	s_delay_alu instid0(VALU_DEP_1) | instskip(NEXT) | instid1(VALU_DEP_1)
	v_dual_mov_b32 v6, 0 :: v_dual_and_b32 v7, 0xff, v25
	v_cmpx_ne_u16_e32 0, v7
	s_cbranch_execz .LBB448_5137
; %bb.5130:                             ;   in Loop: Header=BB448_2342 Depth=1
	v_bfrev_b32_e32 v6, 1
	s_mov_b32 s15, exec_lo
	v_cmpx_ne_u16_e32 0x80, v7
	s_cbranch_execz .LBB448_5136
; %bb.5131:                             ;   in Loop: Header=BB448_2342 Depth=1
	v_bfe_u32 v28, v2, 16, 7
	v_mov_b32_e32 v6, 0x7f800001
	s_mov_b32 s16, exec_lo
	s_delay_alu instid0(VALU_DEP_2)
	v_cmpx_ne_u32_e32 0x7f, v28
	s_cbranch_execz .LBB448_5135
; %bb.5132:                             ;   in Loop: Header=BB448_2342 Depth=1
	v_and_b32_e32 v12, 7, v25
	s_mov_b32 s17, exec_lo
	s_delay_alu instid0(VALU_DEP_1)
	v_dual_mov_b32 v6, v12 :: v_dual_mov_b32 v7, v13
	v_lshrrev_b32_e32 v7, 3, v28
	v_cmpx_gt_u32_e32 8, v28
; %bb.5133:                             ;   in Loop: Header=BB448_2342 Depth=1
	v_clz_i32_u32_e32 v6, v12
	s_delay_alu instid0(VALU_DEP_1) | instskip(NEXT) | instid1(VALU_DEP_1)
	v_min_u32_e32 v28, 32, v6
	v_subrev_nc_u32_e32 v6, 28, v28
	s_delay_alu instid0(VALU_DEP_1) | instskip(SKIP_1) | instid1(VALU_DEP_2)
	v_lshlrev_b64 v[6:7], v6, v[12:13]
	v_sub_nc_u32_e32 v7, 29, v28
	v_and_b32_e32 v6, 7, v6
; %bb.5134:                             ;   in Loop: Header=BB448_2342 Depth=1
	s_or_b32 exec_lo, exec_lo, s17
	v_lshlrev_b32_e32 v12, 24, v25
	s_delay_alu instid0(VALU_DEP_2) | instskip(SKIP_1) | instid1(VALU_DEP_3)
	v_lshlrev_b32_e32 v6, 20, v6
	v_lshl_add_u32 v7, v7, 23, 0x3c000000
	v_and_b32_e32 v12, 0x80000000, v12
	s_delay_alu instid0(VALU_DEP_1)
	v_or3_b32 v6, v6, v12, v7
.LBB448_5135:                           ;   in Loop: Header=BB448_2342 Depth=1
	s_or_b32 exec_lo, exec_lo, s16
.LBB448_5136:                           ;   in Loop: Header=BB448_2342 Depth=1
	s_delay_alu instid0(SALU_CYCLE_1)
	s_or_b32 exec_lo, exec_lo, s15
.LBB448_5137:                           ;   in Loop: Header=BB448_2342 Depth=1
	s_delay_alu instid0(SALU_CYCLE_1) | instskip(NEXT) | instid1(VALU_DEP_1)
	s_or_b32 exec_lo, exec_lo, s13
	v_mul_f32_e32 v6, v118, v6
                                        ; implicit-def: $vgpr25
	s_delay_alu instid0(VALU_DEP_1) | instskip(NEXT) | instid1(VALU_DEP_1)
	v_and_b32_e32 v7, 0x7f800000, v6
	v_cmp_ne_u32_e64 s0, 0x7f800000, v7
	s_delay_alu instid0(VALU_DEP_1) | instskip(NEXT) | instid1(SALU_CYCLE_1)
	s_and_saveexec_b32 s13, s0
	s_xor_b32 s0, exec_lo, s13
; %bb.5138:                             ;   in Loop: Header=BB448_2342 Depth=1
	v_bfe_u32 v7, v6, 16, 1
	s_delay_alu instid0(VALU_DEP_1)
	v_add3_u32 v25, v6, v7, 0x7fff
                                        ; implicit-def: $vgpr6
; %bb.5139:                             ;   in Loop: Header=BB448_2342 Depth=1
	s_and_not1_saveexec_b32 s13, s0
; %bb.5140:                             ;   in Loop: Header=BB448_2342 Depth=1
	v_and_b32_e32 v7, 0xffff, v6
	v_or_b32_e32 v12, 0x10000, v6
	s_delay_alu instid0(VALU_DEP_2) | instskip(NEXT) | instid1(VALU_DEP_1)
	v_cmp_eq_u32_e64 s0, 0, v7
	v_cndmask_b32_e64 v25, v12, v6, s0
; %bb.5141:                             ;   in Loop: Header=BB448_2342 Depth=1
	s_or_b32 exec_lo, exec_lo, s13
	v_mov_b32_e32 v6, 0
	s_mov_b32 s13, exec_lo
	v_cmpx_lt_u32_e32 0xffffff, v2
	s_cbranch_execz .LBB448_5149
; %bb.5142:                             ;   in Loop: Header=BB448_2342 Depth=1
	v_lshrrev_b32_e32 v28, 24, v2
	v_bfrev_b32_e32 v6, 1
	s_mov_b32 s15, exec_lo
	s_delay_alu instid0(VALU_DEP_2)
	v_cmpx_ne_u32_e32 0x80, v28
	s_cbranch_execz .LBB448_5148
; %bb.5143:                             ;   in Loop: Header=BB448_2342 Depth=1
	v_bfe_u32 v29, v2, 24, 7
	v_mov_b32_e32 v6, 0x7f800001
	s_mov_b32 s16, exec_lo
	s_delay_alu instid0(VALU_DEP_2)
	v_cmpx_ne_u32_e32 0x7f, v29
	s_cbranch_execz .LBB448_5147
; %bb.5144:                             ;   in Loop: Header=BB448_2342 Depth=1
	v_and_b32_e32 v12, 7, v28
	s_mov_b32 s17, exec_lo
	s_delay_alu instid0(VALU_DEP_1)
	v_dual_mov_b32 v6, v12 :: v_dual_mov_b32 v7, v13
	v_lshrrev_b32_e32 v7, 3, v29
	v_cmpx_gt_u32_e32 8, v29
; %bb.5145:                             ;   in Loop: Header=BB448_2342 Depth=1
	v_clz_i32_u32_e32 v6, v12
	s_delay_alu instid0(VALU_DEP_1) | instskip(NEXT) | instid1(VALU_DEP_1)
	v_min_u32_e32 v29, 32, v6
	v_subrev_nc_u32_e32 v6, 28, v29
	s_delay_alu instid0(VALU_DEP_1) | instskip(SKIP_1) | instid1(VALU_DEP_2)
	v_lshlrev_b64 v[6:7], v6, v[12:13]
	v_sub_nc_u32_e32 v7, 29, v29
	v_and_b32_e32 v6, 7, v6
; %bb.5146:                             ;   in Loop: Header=BB448_2342 Depth=1
	s_or_b32 exec_lo, exec_lo, s17
	v_lshlrev_b32_e32 v12, 24, v28
	s_delay_alu instid0(VALU_DEP_2) | instskip(SKIP_1) | instid1(VALU_DEP_3)
	v_lshlrev_b32_e32 v6, 20, v6
	v_lshl_add_u32 v7, v7, 23, 0x3c000000
	v_and_b32_e32 v12, 0x80000000, v12
	s_delay_alu instid0(VALU_DEP_1)
	v_or3_b32 v6, v6, v12, v7
.LBB448_5147:                           ;   in Loop: Header=BB448_2342 Depth=1
	s_or_b32 exec_lo, exec_lo, s16
.LBB448_5148:                           ;   in Loop: Header=BB448_2342 Depth=1
	s_delay_alu instid0(SALU_CYCLE_1)
	s_or_b32 exec_lo, exec_lo, s15
.LBB448_5149:                           ;   in Loop: Header=BB448_2342 Depth=1
	s_delay_alu instid0(SALU_CYCLE_1) | instskip(NEXT) | instid1(VALU_DEP_1)
	s_or_b32 exec_lo, exec_lo, s13
	v_mul_f32_e32 v6, v118, v6
                                        ; implicit-def: $vgpr28
	s_delay_alu instid0(VALU_DEP_1) | instskip(NEXT) | instid1(VALU_DEP_1)
	v_and_b32_e32 v7, 0x7f800000, v6
	v_cmp_ne_u32_e64 s0, 0x7f800000, v7
	s_delay_alu instid0(VALU_DEP_1) | instskip(NEXT) | instid1(SALU_CYCLE_1)
	s_and_saveexec_b32 s13, s0
	s_xor_b32 s0, exec_lo, s13
; %bb.5150:                             ;   in Loop: Header=BB448_2342 Depth=1
	v_bfe_u32 v7, v6, 16, 1
	s_delay_alu instid0(VALU_DEP_1)
	v_add3_u32 v28, v6, v7, 0x7fff
                                        ; implicit-def: $vgpr6
; %bb.5151:                             ;   in Loop: Header=BB448_2342 Depth=1
	s_and_not1_saveexec_b32 s13, s0
; %bb.5152:                             ;   in Loop: Header=BB448_2342 Depth=1
	v_and_b32_e32 v7, 0xffff, v6
	v_or_b32_e32 v12, 0x10000, v6
	s_delay_alu instid0(VALU_DEP_2) | instskip(NEXT) | instid1(VALU_DEP_1)
	v_cmp_eq_u32_e64 s0, 0, v7
	v_cndmask_b32_e64 v28, v12, v6, s0
; %bb.5153:                             ;   in Loop: Header=BB448_2342 Depth=1
	s_or_b32 exec_lo, exec_lo, s13
	v_dual_mov_b32 v12, v3 :: v_dual_and_b32 v7, 0xff, v3
	v_mov_b32_e32 v6, 0
	s_mov_b32 s13, exec_lo
	s_delay_alu instid0(VALU_DEP_2)
	v_cmpx_ne_u16_e32 0, v7
	s_cbranch_execz .LBB448_5161
; %bb.5154:                             ;   in Loop: Header=BB448_2342 Depth=1
	v_bfrev_b32_e32 v6, 1
	s_mov_b32 s15, exec_lo
	v_cmpx_ne_u16_e32 0x80, v7
	s_cbranch_execz .LBB448_5160
; %bb.5155:                             ;   in Loop: Header=BB448_2342 Depth=1
	v_and_b32_e32 v29, 0x7f, v3
	v_mov_b32_e32 v6, 0x7f800001
	s_mov_b32 s16, exec_lo
	s_delay_alu instid0(VALU_DEP_2)
	v_cmpx_ne_u32_e32 0x7f, v29
	s_cbranch_execz .LBB448_5159
; %bb.5156:                             ;   in Loop: Header=BB448_2342 Depth=1
	v_dual_mov_b32 v6, v12 :: v_dual_mov_b32 v7, v13
	v_lshrrev_b32_e32 v7, 3, v29
	s_mov_b32 s17, exec_lo
	v_cmpx_gt_u32_e32 8, v29
; %bb.5157:                             ;   in Loop: Header=BB448_2342 Depth=1
	v_and_b32_e32 v6, 7, v3
	s_delay_alu instid0(VALU_DEP_1) | instskip(NEXT) | instid1(VALU_DEP_1)
	v_clz_i32_u32_e32 v6, v6
	v_min_u32_e32 v29, 32, v6
	s_delay_alu instid0(VALU_DEP_1) | instskip(NEXT) | instid1(VALU_DEP_1)
	v_subrev_nc_u32_e32 v6, 28, v29
	v_lshlrev_b64 v[6:7], v6, v[12:13]
	v_sub_nc_u32_e32 v7, 29, v29
; %bb.5158:                             ;   in Loop: Header=BB448_2342 Depth=1
	s_or_b32 exec_lo, exec_lo, s17
	s_delay_alu instid0(VALU_DEP_2) | instskip(SKIP_1) | instid1(VALU_DEP_3)
	v_lshlrev_b32_e32 v6, 20, v6
	v_lshlrev_b32_e32 v29, 24, v12
	v_lshl_add_u32 v7, v7, 23, 0x3c000000
	s_delay_alu instid0(VALU_DEP_3) | instskip(NEXT) | instid1(VALU_DEP_3)
	v_and_b32_e32 v6, 0x700000, v6
	v_and_b32_e32 v29, 0x80000000, v29
	s_delay_alu instid0(VALU_DEP_1)
	v_or3_b32 v6, v6, v29, v7
.LBB448_5159:                           ;   in Loop: Header=BB448_2342 Depth=1
	s_or_b32 exec_lo, exec_lo, s16
.LBB448_5160:                           ;   in Loop: Header=BB448_2342 Depth=1
	s_delay_alu instid0(SALU_CYCLE_1)
	s_or_b32 exec_lo, exec_lo, s15
.LBB448_5161:                           ;   in Loop: Header=BB448_2342 Depth=1
	s_delay_alu instid0(SALU_CYCLE_1) | instskip(NEXT) | instid1(VALU_DEP_1)
	s_or_b32 exec_lo, exec_lo, s13
	v_mul_f32_e32 v6, v118, v6
                                        ; implicit-def: $vgpr29
	s_delay_alu instid0(VALU_DEP_1) | instskip(NEXT) | instid1(VALU_DEP_1)
	v_and_b32_e32 v7, 0x7f800000, v6
	v_cmp_ne_u32_e64 s0, 0x7f800000, v7
	s_delay_alu instid0(VALU_DEP_1) | instskip(NEXT) | instid1(SALU_CYCLE_1)
	s_and_saveexec_b32 s13, s0
	s_xor_b32 s0, exec_lo, s13
; %bb.5162:                             ;   in Loop: Header=BB448_2342 Depth=1
	v_bfe_u32 v7, v6, 16, 1
	s_delay_alu instid0(VALU_DEP_1)
	v_add3_u32 v29, v6, v7, 0x7fff
                                        ; implicit-def: $vgpr6
; %bb.5163:                             ;   in Loop: Header=BB448_2342 Depth=1
	s_and_not1_saveexec_b32 s13, s0
; %bb.5164:                             ;   in Loop: Header=BB448_2342 Depth=1
	v_and_b32_e32 v7, 0xffff, v6
	v_or_b32_e32 v29, 0x10000, v6
	s_delay_alu instid0(VALU_DEP_2) | instskip(NEXT) | instid1(VALU_DEP_1)
	v_cmp_eq_u32_e64 s0, 0, v7
	v_cndmask_b32_e64 v29, v29, v6, s0
; %bb.5165:                             ;   in Loop: Header=BB448_2342 Depth=1
	s_or_b32 exec_lo, exec_lo, s13
	v_lshrrev_b16 v7, 8, v12
	v_mov_b32_e32 v6, 0
	s_mov_b32 s13, exec_lo
	s_delay_alu instid0(VALU_DEP_2)
	v_cmpx_ne_u16_e32 0, v7
	s_cbranch_execz .LBB448_5173
; %bb.5166:                             ;   in Loop: Header=BB448_2342 Depth=1
	v_bfrev_b32_e32 v6, 1
	s_mov_b32 s15, exec_lo
	v_cmpx_ne_u16_e32 0x80, v7
	s_cbranch_execz .LBB448_5172
; %bb.5167:                             ;   in Loop: Header=BB448_2342 Depth=1
	v_and_b32_e32 v7, 0xffff, v7
	v_mov_b32_e32 v6, 0x7f800001
	s_mov_b32 s16, exec_lo
	s_delay_alu instid0(VALU_DEP_2) | instskip(NEXT) | instid1(VALU_DEP_1)
	v_and_b32_e32 v32, 0x7f, v7
	v_cmpx_ne_u32_e32 0x7f, v32
	s_cbranch_execz .LBB448_5171
; %bb.5168:                             ;   in Loop: Header=BB448_2342 Depth=1
	v_dual_mov_b32 v7, v13 :: v_dual_and_b32 v6, 7, v7
	v_lshrrev_b32_e32 v31, 3, v32
	s_mov_b32 s17, exec_lo
	v_cmpx_gt_u32_e32 8, v32
; %bb.5169:                             ;   in Loop: Header=BB448_2342 Depth=1
	s_delay_alu instid0(VALU_DEP_3) | instskip(NEXT) | instid1(VALU_DEP_1)
	v_clz_i32_u32_e32 v31, v6
	v_min_u32_e32 v31, 32, v31
	s_delay_alu instid0(VALU_DEP_1) | instskip(SKIP_1) | instid1(VALU_DEP_2)
	v_subrev_nc_u32_e32 v32, 28, v31
	v_sub_nc_u32_e32 v31, 29, v31
	v_lshlrev_b64 v[6:7], v32, v[6:7]
	s_delay_alu instid0(VALU_DEP_1)
	v_and_b32_e32 v6, 7, v6
; %bb.5170:                             ;   in Loop: Header=BB448_2342 Depth=1
	s_or_b32 exec_lo, exec_lo, s17
	v_lshlrev_b32_e32 v7, 16, v12
	s_delay_alu instid0(VALU_DEP_2) | instskip(SKIP_1) | instid1(VALU_DEP_3)
	v_lshlrev_b32_e32 v6, 20, v6
	v_lshl_add_u32 v12, v31, 23, 0x3c000000
	v_and_b32_e32 v7, 0x80000000, v7
	s_delay_alu instid0(VALU_DEP_1)
	v_or3_b32 v6, v6, v7, v12
.LBB448_5171:                           ;   in Loop: Header=BB448_2342 Depth=1
	s_or_b32 exec_lo, exec_lo, s16
.LBB448_5172:                           ;   in Loop: Header=BB448_2342 Depth=1
	s_delay_alu instid0(SALU_CYCLE_1)
	s_or_b32 exec_lo, exec_lo, s15
.LBB448_5173:                           ;   in Loop: Header=BB448_2342 Depth=1
	s_delay_alu instid0(SALU_CYCLE_1) | instskip(NEXT) | instid1(VALU_DEP_1)
	s_or_b32 exec_lo, exec_lo, s13
	v_mul_f32_e32 v6, v118, v6
                                        ; implicit-def: $vgpr31
	s_delay_alu instid0(VALU_DEP_1) | instskip(NEXT) | instid1(VALU_DEP_1)
	v_and_b32_e32 v7, 0x7f800000, v6
	v_cmp_ne_u32_e64 s0, 0x7f800000, v7
	s_delay_alu instid0(VALU_DEP_1) | instskip(NEXT) | instid1(SALU_CYCLE_1)
	s_and_saveexec_b32 s13, s0
	s_xor_b32 s0, exec_lo, s13
; %bb.5174:                             ;   in Loop: Header=BB448_2342 Depth=1
	v_bfe_u32 v7, v6, 16, 1
	s_delay_alu instid0(VALU_DEP_1)
	v_add3_u32 v31, v6, v7, 0x7fff
                                        ; implicit-def: $vgpr6
; %bb.5175:                             ;   in Loop: Header=BB448_2342 Depth=1
	s_and_not1_saveexec_b32 s13, s0
; %bb.5176:                             ;   in Loop: Header=BB448_2342 Depth=1
	v_and_b32_e32 v7, 0xffff, v6
	v_or_b32_e32 v12, 0x10000, v6
	s_delay_alu instid0(VALU_DEP_2) | instskip(NEXT) | instid1(VALU_DEP_1)
	v_cmp_eq_u32_e64 s0, 0, v7
	v_cndmask_b32_e64 v31, v12, v6, s0
; %bb.5177:                             ;   in Loop: Header=BB448_2342 Depth=1
	s_or_b32 exec_lo, exec_lo, s13
	v_lshrrev_b32_e32 v32, 16, v3
	s_mov_b32 s13, exec_lo
	s_delay_alu instid0(VALU_DEP_1) | instskip(NEXT) | instid1(VALU_DEP_1)
	v_dual_mov_b32 v6, 0 :: v_dual_and_b32 v7, 0xff, v32
	v_cmpx_ne_u16_e32 0, v7
	s_cbranch_execz .LBB448_5185
; %bb.5178:                             ;   in Loop: Header=BB448_2342 Depth=1
	v_bfrev_b32_e32 v6, 1
	s_mov_b32 s15, exec_lo
	v_cmpx_ne_u16_e32 0x80, v7
	s_cbranch_execz .LBB448_5184
; %bb.5179:                             ;   in Loop: Header=BB448_2342 Depth=1
	v_bfe_u32 v33, v3, 16, 7
	v_mov_b32_e32 v6, 0x7f800001
	s_mov_b32 s16, exec_lo
	s_delay_alu instid0(VALU_DEP_2)
	v_cmpx_ne_u32_e32 0x7f, v33
	s_cbranch_execz .LBB448_5183
; %bb.5180:                             ;   in Loop: Header=BB448_2342 Depth=1
	v_and_b32_e32 v12, 7, v32
	s_mov_b32 s17, exec_lo
	s_delay_alu instid0(VALU_DEP_1)
	v_dual_mov_b32 v6, v12 :: v_dual_mov_b32 v7, v13
	v_lshrrev_b32_e32 v7, 3, v33
	v_cmpx_gt_u32_e32 8, v33
; %bb.5181:                             ;   in Loop: Header=BB448_2342 Depth=1
	v_clz_i32_u32_e32 v6, v12
	s_delay_alu instid0(VALU_DEP_1) | instskip(NEXT) | instid1(VALU_DEP_1)
	v_min_u32_e32 v33, 32, v6
	v_subrev_nc_u32_e32 v6, 28, v33
	s_delay_alu instid0(VALU_DEP_1) | instskip(SKIP_1) | instid1(VALU_DEP_2)
	v_lshlrev_b64 v[6:7], v6, v[12:13]
	v_sub_nc_u32_e32 v7, 29, v33
	v_and_b32_e32 v6, 7, v6
; %bb.5182:                             ;   in Loop: Header=BB448_2342 Depth=1
	s_or_b32 exec_lo, exec_lo, s17
	v_lshlrev_b32_e32 v12, 24, v32
	s_delay_alu instid0(VALU_DEP_2) | instskip(SKIP_1) | instid1(VALU_DEP_3)
	v_lshlrev_b32_e32 v6, 20, v6
	v_lshl_add_u32 v7, v7, 23, 0x3c000000
	v_and_b32_e32 v12, 0x80000000, v12
	s_delay_alu instid0(VALU_DEP_1)
	v_or3_b32 v6, v6, v12, v7
.LBB448_5183:                           ;   in Loop: Header=BB448_2342 Depth=1
	s_or_b32 exec_lo, exec_lo, s16
.LBB448_5184:                           ;   in Loop: Header=BB448_2342 Depth=1
	s_delay_alu instid0(SALU_CYCLE_1)
	s_or_b32 exec_lo, exec_lo, s15
.LBB448_5185:                           ;   in Loop: Header=BB448_2342 Depth=1
	s_delay_alu instid0(SALU_CYCLE_1) | instskip(NEXT) | instid1(VALU_DEP_1)
	s_or_b32 exec_lo, exec_lo, s13
	v_mul_f32_e32 v6, v118, v6
                                        ; implicit-def: $vgpr32
	s_delay_alu instid0(VALU_DEP_1) | instskip(NEXT) | instid1(VALU_DEP_1)
	v_and_b32_e32 v7, 0x7f800000, v6
	v_cmp_ne_u32_e64 s0, 0x7f800000, v7
	s_delay_alu instid0(VALU_DEP_1) | instskip(NEXT) | instid1(SALU_CYCLE_1)
	s_and_saveexec_b32 s13, s0
	s_xor_b32 s0, exec_lo, s13
; %bb.5186:                             ;   in Loop: Header=BB448_2342 Depth=1
	v_bfe_u32 v7, v6, 16, 1
	s_delay_alu instid0(VALU_DEP_1)
	v_add3_u32 v32, v6, v7, 0x7fff
                                        ; implicit-def: $vgpr6
; %bb.5187:                             ;   in Loop: Header=BB448_2342 Depth=1
	s_and_not1_saveexec_b32 s13, s0
; %bb.5188:                             ;   in Loop: Header=BB448_2342 Depth=1
	v_and_b32_e32 v7, 0xffff, v6
	v_or_b32_e32 v12, 0x10000, v6
	s_delay_alu instid0(VALU_DEP_2) | instskip(NEXT) | instid1(VALU_DEP_1)
	v_cmp_eq_u32_e64 s0, 0, v7
	v_cndmask_b32_e64 v32, v12, v6, s0
; %bb.5189:                             ;   in Loop: Header=BB448_2342 Depth=1
	s_or_b32 exec_lo, exec_lo, s13
	v_cmp_lt_u64_e64 s0, s[8:9], v[2:3]
	v_mov_b32_e32 v2, 0
	s_delay_alu instid0(VALU_DEP_2)
	s_and_saveexec_b32 s13, s0
	s_cbranch_execz .LBB448_5197
; %bb.5190:                             ;   in Loop: Header=BB448_2342 Depth=1
	v_lshrrev_b32_e32 v6, 24, v3
	v_bfrev_b32_e32 v2, 1
	s_mov_b32 s15, exec_lo
	s_delay_alu instid0(VALU_DEP_2)
	v_cmpx_ne_u32_e32 0x80, v6
	s_cbranch_execz .LBB448_5196
; %bb.5191:                             ;   in Loop: Header=BB448_2342 Depth=1
	v_bfe_u32 v7, v3, 24, 7
	v_mov_b32_e32 v2, 0x7f800001
	s_mov_b32 s16, exec_lo
	s_delay_alu instid0(VALU_DEP_2)
	v_cmpx_ne_u32_e32 0x7f, v7
	s_cbranch_execz .LBB448_5195
; %bb.5192:                             ;   in Loop: Header=BB448_2342 Depth=1
	v_and_b32_e32 v12, 7, v6
	s_mov_b32 s17, exec_lo
	s_delay_alu instid0(VALU_DEP_1)
	v_dual_mov_b32 v2, v12 :: v_dual_mov_b32 v3, v13
	v_lshrrev_b32_e32 v3, 3, v7
	v_cmpx_gt_u32_e32 8, v7
; %bb.5193:                             ;   in Loop: Header=BB448_2342 Depth=1
	v_clz_i32_u32_e32 v2, v12
	s_delay_alu instid0(VALU_DEP_1) | instskip(NEXT) | instid1(VALU_DEP_1)
	v_min_u32_e32 v7, 32, v2
	v_subrev_nc_u32_e32 v2, 28, v7
	s_delay_alu instid0(VALU_DEP_1) | instskip(SKIP_1) | instid1(VALU_DEP_2)
	v_lshlrev_b64 v[2:3], v2, v[12:13]
	v_sub_nc_u32_e32 v3, 29, v7
	v_and_b32_e32 v2, 7, v2
; %bb.5194:                             ;   in Loop: Header=BB448_2342 Depth=1
	s_or_b32 exec_lo, exec_lo, s17
	v_lshlrev_b32_e32 v6, 24, v6
	s_delay_alu instid0(VALU_DEP_2) | instskip(SKIP_1) | instid1(VALU_DEP_3)
	v_lshlrev_b32_e32 v2, 20, v2
	v_lshl_add_u32 v3, v3, 23, 0x3c000000
	v_and_b32_e32 v6, 0x80000000, v6
	s_delay_alu instid0(VALU_DEP_1)
	v_or3_b32 v2, v2, v6, v3
.LBB448_5195:                           ;   in Loop: Header=BB448_2342 Depth=1
	s_or_b32 exec_lo, exec_lo, s16
.LBB448_5196:                           ;   in Loop: Header=BB448_2342 Depth=1
	s_delay_alu instid0(SALU_CYCLE_1)
	s_or_b32 exec_lo, exec_lo, s15
.LBB448_5197:                           ;   in Loop: Header=BB448_2342 Depth=1
	s_delay_alu instid0(SALU_CYCLE_1) | instskip(NEXT) | instid1(VALU_DEP_1)
	s_or_b32 exec_lo, exec_lo, s13
	v_mul_f32_e32 v3, v118, v2
	s_delay_alu instid0(VALU_DEP_1) | instskip(NEXT) | instid1(VALU_DEP_1)
	v_and_b32_e32 v2, 0x7f800000, v3
	v_cmp_ne_u32_e64 s0, 0x7f800000, v2
                                        ; implicit-def: $vgpr2
	s_delay_alu instid0(VALU_DEP_1) | instskip(NEXT) | instid1(SALU_CYCLE_1)
	s_and_saveexec_b32 s13, s0
	s_xor_b32 s0, exec_lo, s13
; %bb.5198:                             ;   in Loop: Header=BB448_2342 Depth=1
	v_bfe_u32 v2, v3, 16, 1
	s_delay_alu instid0(VALU_DEP_1)
	v_add3_u32 v2, v3, v2, 0x7fff
                                        ; implicit-def: $vgpr3
; %bb.5199:                             ;   in Loop: Header=BB448_2342 Depth=1
	s_and_not1_saveexec_b32 s13, s0
; %bb.5200:                             ;   in Loop: Header=BB448_2342 Depth=1
	v_and_b32_e32 v2, 0xffff, v3
	v_or_b32_e32 v6, 0x10000, v3
	s_delay_alu instid0(VALU_DEP_2) | instskip(NEXT) | instid1(VALU_DEP_1)
	v_cmp_eq_u32_e64 s0, 0, v2
	v_cndmask_b32_e64 v2, v6, v3, s0
; %bb.5201:                             ;   in Loop: Header=BB448_2342 Depth=1
	s_or_b32 exec_lo, exec_lo, s13
	v_lshrrev_b32_e32 v6, 16, v31
	v_lshrrev_b32_e32 v7, 16, v29
	;; [unrolled: 1-line block ×8, first 2 shown]
	s_and_saveexec_b32 s13, vcc_lo
	s_cbranch_execz .LBB448_5203
; %bb.5202:                             ;   in Loop: Header=BB448_2342 Depth=1
	v_cmp_lt_i32_e64 s0, v102, v36
	s_delay_alu instid0(VALU_DEP_1) | instskip(SKIP_1) | instid1(VALU_DEP_1)
	v_cndmask_b32_e64 v21, 0, v21, s0
	v_cmp_lt_i32_e64 s0, v133, v36
	v_cndmask_b32_e64 v24, 0, v24, s0
	v_cmp_lt_i32_e64 s0, v132, v36
	s_delay_alu instid0(VALU_DEP_1) | instskip(SKIP_1) | instid1(VALU_DEP_1)
	v_cndmask_b32_e64 v25, 0, v25, s0
	v_cmp_lt_i32_e64 s0, v131, v36
	v_cndmask_b32_e64 v12, 0, v12, s0
	;; [unrolled: 5-line block ×4, first 2 shown]
.LBB448_5203:                           ;   in Loop: Header=BB448_2342 Depth=1
	s_or_b32 exec_lo, exec_lo, s13
	v_lshlrev_b32_e32 v21, 16, v21
                                        ; implicit-def: $vgpr43
	s_delay_alu instid0(VALU_DEP_1) | instskip(NEXT) | instid1(VALU_DEP_1)
	v_mul_f32_e32 v21, v134, v21
	v_and_b32_e32 v28, 0x7f800000, v21
	s_delay_alu instid0(VALU_DEP_1) | instskip(NEXT) | instid1(VALU_DEP_1)
	v_cmp_ne_u32_e64 s0, 0x7f800000, v28
	s_and_saveexec_b32 s13, s0
	s_delay_alu instid0(SALU_CYCLE_1)
	s_xor_b32 s0, exec_lo, s13
; %bb.5204:                             ;   in Loop: Header=BB448_2342 Depth=1
	v_bfe_u32 v28, v21, 16, 1
	s_delay_alu instid0(VALU_DEP_1)
	v_add3_u32 v43, v21, v28, 0x7fff
                                        ; implicit-def: $vgpr21
; %bb.5205:                             ;   in Loop: Header=BB448_2342 Depth=1
	s_and_not1_saveexec_b32 s13, s0
; %bb.5206:                             ;   in Loop: Header=BB448_2342 Depth=1
	v_and_b32_e32 v28, 0xffff, v21
	v_or_b32_e32 v29, 0x10000, v21
	s_delay_alu instid0(VALU_DEP_2) | instskip(NEXT) | instid1(VALU_DEP_1)
	v_cmp_eq_u32_e64 s0, 0, v28
	v_cndmask_b32_e64 v43, v29, v21, s0
; %bb.5207:                             ;   in Loop: Header=BB448_2342 Depth=1
	s_or_b32 exec_lo, exec_lo, s13
	v_lshlrev_b32_e32 v21, 16, v24
	s_delay_alu instid0(VALU_DEP_1) | instskip(NEXT) | instid1(VALU_DEP_1)
	v_mul_f32_e32 v24, v135, v21
	v_and_b32_e32 v21, 0x7f800000, v24
	s_delay_alu instid0(VALU_DEP_1) | instskip(NEXT) | instid1(VALU_DEP_1)
	v_cmp_ne_u32_e64 s0, 0x7f800000, v21
                                        ; implicit-def: $vgpr21
	s_and_saveexec_b32 s13, s0
	s_delay_alu instid0(SALU_CYCLE_1)
	s_xor_b32 s0, exec_lo, s13
; %bb.5208:                             ;   in Loop: Header=BB448_2342 Depth=1
	v_bfe_u32 v21, v24, 16, 1
	s_delay_alu instid0(VALU_DEP_1)
	v_add3_u32 v21, v24, v21, 0x7fff
                                        ; implicit-def: $vgpr24
; %bb.5209:                             ;   in Loop: Header=BB448_2342 Depth=1
	s_and_not1_saveexec_b32 s13, s0
; %bb.5210:                             ;   in Loop: Header=BB448_2342 Depth=1
	v_and_b32_e32 v21, 0xffff, v24
	v_or_b32_e32 v28, 0x10000, v24
	s_delay_alu instid0(VALU_DEP_2) | instskip(NEXT) | instid1(VALU_DEP_1)
	v_cmp_eq_u32_e64 s0, 0, v21
	v_cndmask_b32_e64 v21, v28, v24, s0
; %bb.5211:                             ;   in Loop: Header=BB448_2342 Depth=1
	s_or_b32 exec_lo, exec_lo, s13
	v_lshlrev_b32_e32 v24, 16, v25
	s_delay_alu instid0(VALU_DEP_1) | instskip(NEXT) | instid1(VALU_DEP_1)
	v_mul_f32_e32 v25, v144, v24
	v_and_b32_e32 v24, 0x7f800000, v25
	s_delay_alu instid0(VALU_DEP_1) | instskip(NEXT) | instid1(VALU_DEP_1)
	v_cmp_ne_u32_e64 s0, 0x7f800000, v24
                                        ; implicit-def: $vgpr24
	s_and_saveexec_b32 s13, s0
	s_delay_alu instid0(SALU_CYCLE_1)
	s_xor_b32 s0, exec_lo, s13
; %bb.5212:                             ;   in Loop: Header=BB448_2342 Depth=1
	v_bfe_u32 v24, v25, 16, 1
	s_delay_alu instid0(VALU_DEP_1)
	v_add3_u32 v24, v25, v24, 0x7fff
                                        ; implicit-def: $vgpr25
; %bb.5213:                             ;   in Loop: Header=BB448_2342 Depth=1
	s_and_not1_saveexec_b32 s13, s0
; %bb.5214:                             ;   in Loop: Header=BB448_2342 Depth=1
	v_and_b32_e32 v24, 0xffff, v25
	v_or_b32_e32 v28, 0x10000, v25
	s_delay_alu instid0(VALU_DEP_2) | instskip(NEXT) | instid1(VALU_DEP_1)
	v_cmp_eq_u32_e64 s0, 0, v24
	v_cndmask_b32_e64 v24, v28, v25, s0
; %bb.5215:                             ;   in Loop: Header=BB448_2342 Depth=1
	s_or_b32 exec_lo, exec_lo, s13
	v_lshlrev_b32_e32 v12, 16, v12
	s_delay_alu instid0(VALU_DEP_1) | instskip(NEXT) | instid1(VALU_DEP_1)
	v_mul_f32_e32 v12, v145, v12
	v_and_b32_e32 v25, 0x7f800000, v12
	s_delay_alu instid0(VALU_DEP_1) | instskip(NEXT) | instid1(VALU_DEP_1)
	v_cmp_ne_u32_e64 s0, 0x7f800000, v25
                                        ; implicit-def: $vgpr25
	s_and_saveexec_b32 s13, s0
	s_delay_alu instid0(SALU_CYCLE_1)
	s_xor_b32 s0, exec_lo, s13
; %bb.5216:                             ;   in Loop: Header=BB448_2342 Depth=1
	v_bfe_u32 v25, v12, 16, 1
	s_delay_alu instid0(VALU_DEP_1)
	v_add3_u32 v25, v12, v25, 0x7fff
                                        ; implicit-def: $vgpr12
; %bb.5217:                             ;   in Loop: Header=BB448_2342 Depth=1
	s_and_not1_saveexec_b32 s13, s0
; %bb.5218:                             ;   in Loop: Header=BB448_2342 Depth=1
	v_and_b32_e32 v25, 0xffff, v12
	v_or_b32_e32 v28, 0x10000, v12
	s_delay_alu instid0(VALU_DEP_2) | instskip(NEXT) | instid1(VALU_DEP_1)
	v_cmp_eq_u32_e64 s0, 0, v25
	v_cndmask_b32_e64 v25, v28, v12, s0
; %bb.5219:                             ;   in Loop: Header=BB448_2342 Depth=1
	s_or_b32 exec_lo, exec_lo, s13
	v_lshlrev_b32_e32 v7, 16, v7
                                        ; implicit-def: $vgpr28
	s_delay_alu instid0(VALU_DEP_1) | instskip(NEXT) | instid1(VALU_DEP_1)
	v_mul_f32_e32 v7, v146, v7
	v_and_b32_e32 v12, 0x7f800000, v7
	s_delay_alu instid0(VALU_DEP_1) | instskip(NEXT) | instid1(VALU_DEP_1)
	v_cmp_ne_u32_e64 s0, 0x7f800000, v12
	s_and_saveexec_b32 s13, s0
	s_delay_alu instid0(SALU_CYCLE_1)
	s_xor_b32 s0, exec_lo, s13
; %bb.5220:                             ;   in Loop: Header=BB448_2342 Depth=1
	v_bfe_u32 v12, v7, 16, 1
	s_delay_alu instid0(VALU_DEP_1)
	v_add3_u32 v28, v7, v12, 0x7fff
                                        ; implicit-def: $vgpr7
; %bb.5221:                             ;   in Loop: Header=BB448_2342 Depth=1
	s_and_not1_saveexec_b32 s13, s0
; %bb.5222:                             ;   in Loop: Header=BB448_2342 Depth=1
	v_and_b32_e32 v12, 0xffff, v7
	v_or_b32_e32 v28, 0x10000, v7
	s_delay_alu instid0(VALU_DEP_2) | instskip(NEXT) | instid1(VALU_DEP_1)
	v_cmp_eq_u32_e64 s0, 0, v12
	v_cndmask_b32_e64 v28, v28, v7, s0
; %bb.5223:                             ;   in Loop: Header=BB448_2342 Depth=1
	s_or_b32 exec_lo, exec_lo, s13
	v_lshlrev_b32_e32 v6, 16, v6
                                        ; implicit-def: $vgpr29
	s_delay_alu instid0(VALU_DEP_1) | instskip(NEXT) | instid1(VALU_DEP_1)
	v_mul_f32_e32 v6, v147, v6
	v_and_b32_e32 v7, 0x7f800000, v6
	s_delay_alu instid0(VALU_DEP_1) | instskip(NEXT) | instid1(VALU_DEP_1)
	v_cmp_ne_u32_e64 s0, 0x7f800000, v7
	s_and_saveexec_b32 s13, s0
	s_delay_alu instid0(SALU_CYCLE_1)
	s_xor_b32 s0, exec_lo, s13
; %bb.5224:                             ;   in Loop: Header=BB448_2342 Depth=1
	v_bfe_u32 v7, v6, 16, 1
	s_delay_alu instid0(VALU_DEP_1)
	v_add3_u32 v29, v6, v7, 0x7fff
                                        ; implicit-def: $vgpr6
; %bb.5225:                             ;   in Loop: Header=BB448_2342 Depth=1
	s_and_not1_saveexec_b32 s13, s0
; %bb.5226:                             ;   in Loop: Header=BB448_2342 Depth=1
	v_and_b32_e32 v7, 0xffff, v6
	v_or_b32_e32 v12, 0x10000, v6
	s_delay_alu instid0(VALU_DEP_2) | instskip(NEXT) | instid1(VALU_DEP_1)
	v_cmp_eq_u32_e64 s0, 0, v7
	v_cndmask_b32_e64 v29, v12, v6, s0
; %bb.5227:                             ;   in Loop: Header=BB448_2342 Depth=1
	s_or_b32 exec_lo, exec_lo, s13
	v_lshlrev_b32_e32 v3, 16, v3
                                        ; implicit-def: $vgpr44
	s_delay_alu instid0(VALU_DEP_1) | instskip(NEXT) | instid1(VALU_DEP_1)
	v_mul_f32_e32 v3, v148, v3
	v_and_b32_e32 v6, 0x7f800000, v3
	s_delay_alu instid0(VALU_DEP_1) | instskip(NEXT) | instid1(VALU_DEP_1)
	v_cmp_ne_u32_e64 s0, 0x7f800000, v6
	s_and_saveexec_b32 s13, s0
	s_delay_alu instid0(SALU_CYCLE_1)
	s_xor_b32 s0, exec_lo, s13
; %bb.5228:                             ;   in Loop: Header=BB448_2342 Depth=1
	v_bfe_u32 v6, v3, 16, 1
	s_delay_alu instid0(VALU_DEP_1)
	v_add3_u32 v44, v3, v6, 0x7fff
                                        ; implicit-def: $vgpr3
; %bb.5229:                             ;   in Loop: Header=BB448_2342 Depth=1
	s_and_not1_saveexec_b32 s13, s0
; %bb.5230:                             ;   in Loop: Header=BB448_2342 Depth=1
	v_and_b32_e32 v6, 0xffff, v3
	v_or_b32_e32 v7, 0x10000, v3
	s_delay_alu instid0(VALU_DEP_2) | instskip(NEXT) | instid1(VALU_DEP_1)
	v_cmp_eq_u32_e64 s0, 0, v6
	v_cndmask_b32_e64 v44, v7, v3, s0
; %bb.5231:                             ;   in Loop: Header=BB448_2342 Depth=1
	s_or_b32 exec_lo, exec_lo, s13
	v_lshlrev_b32_e32 v2, 16, v2
                                        ; implicit-def: $vgpr31
	s_delay_alu instid0(VALU_DEP_1) | instskip(NEXT) | instid1(VALU_DEP_1)
	v_mul_f32_e32 v2, v149, v2
	v_and_b32_e32 v3, 0x7f800000, v2
	s_delay_alu instid0(VALU_DEP_1) | instskip(NEXT) | instid1(VALU_DEP_1)
	v_cmp_ne_u32_e64 s0, 0x7f800000, v3
	s_and_saveexec_b32 s13, s0
	s_delay_alu instid0(SALU_CYCLE_1)
	s_xor_b32 s0, exec_lo, s13
; %bb.5232:                             ;   in Loop: Header=BB448_2342 Depth=1
	v_bfe_u32 v3, v2, 16, 1
	s_delay_alu instid0(VALU_DEP_1)
	v_add3_u32 v31, v2, v3, 0x7fff
                                        ; implicit-def: $vgpr2
; %bb.5233:                             ;   in Loop: Header=BB448_2342 Depth=1
	s_and_not1_saveexec_b32 s13, s0
; %bb.5234:                             ;   in Loop: Header=BB448_2342 Depth=1
	v_and_b32_e32 v3, 0xffff, v2
	v_or_b32_e32 v6, 0x10000, v2
	s_delay_alu instid0(VALU_DEP_2) | instskip(NEXT) | instid1(VALU_DEP_1)
	v_cmp_eq_u32_e64 s0, 0, v3
	v_cndmask_b32_e64 v31, v6, v2, s0
; %bb.5235:                             ;   in Loop: Header=BB448_2342 Depth=1
	s_or_b32 exec_lo, exec_lo, s13
	scratch_load_b32 v2, off, s32 offset:636 ; 4-byte Folded Reload
	s_mov_b32 s13, exec_lo
	v_mov_b32_e32 v6, 0
	s_waitcnt vmcnt(0)
	v_add_co_u32 v2, s0, v0, v2
	s_delay_alu instid0(VALU_DEP_1) | instskip(SKIP_3) | instid1(VALU_DEP_1)
	v_add_co_ci_u32_e64 v3, s0, 0, v1, s0
	flat_load_b64 v[2:3], v[2:3]
	s_waitcnt vmcnt(0) lgkmcnt(0)
	v_and_b32_e32 v7, 0xff, v2
	v_cmpx_ne_u16_e32 0, v7
	s_cbranch_execz .LBB448_5243
; %bb.5236:                             ;   in Loop: Header=BB448_2342 Depth=1
	v_bfrev_b32_e32 v6, 1
	s_mov_b32 s15, exec_lo
	v_cmpx_ne_u16_e32 0x80, v7
	s_cbranch_execz .LBB448_5242
; %bb.5237:                             ;   in Loop: Header=BB448_2342 Depth=1
	v_and_b32_e32 v7, 0x7f, v2
	v_mov_b32_e32 v6, 0x7f800001
	s_mov_b32 s16, exec_lo
	s_delay_alu instid0(VALU_DEP_2)
	v_cmpx_ne_u32_e32 0x7f, v7
	s_cbranch_execz .LBB448_5241
; %bb.5238:                             ;   in Loop: Header=BB448_2342 Depth=1
	v_lshrrev_b32_e32 v12, 3, v7
	v_cmp_gt_u32_e64 s0, 8, v7
	v_dual_mov_b32 v7, v3 :: v_dual_mov_b32 v6, v2
	s_delay_alu instid0(VALU_DEP_2)
	s_and_saveexec_b32 s17, s0
; %bb.5239:                             ;   in Loop: Header=BB448_2342 Depth=1
	v_and_b32_e32 v6, 7, v2
	s_delay_alu instid0(VALU_DEP_1) | instskip(NEXT) | instid1(VALU_DEP_1)
	v_clz_i32_u32_e32 v6, v6
	v_min_u32_e32 v12, 32, v6
	s_delay_alu instid0(VALU_DEP_1) | instskip(SKIP_1) | instid1(VALU_DEP_2)
	v_subrev_nc_u32_e32 v6, 28, v12
	v_sub_nc_u32_e32 v12, 29, v12
	v_lshlrev_b64 v[6:7], v6, v[2:3]
; %bb.5240:                             ;   in Loop: Header=BB448_2342 Depth=1
	s_or_b32 exec_lo, exec_lo, s17
	s_delay_alu instid0(VALU_DEP_1) | instskip(SKIP_2) | instid1(VALU_DEP_3)
	v_lshlrev_b32_e32 v6, 20, v6
	v_lshlrev_b32_e32 v7, 24, v2
	v_lshl_add_u32 v12, v12, 23, 0x3c000000
	v_and_b32_e32 v6, 0x700000, v6
	s_delay_alu instid0(VALU_DEP_3) | instskip(NEXT) | instid1(VALU_DEP_1)
	v_and_b32_e32 v7, 0x80000000, v7
	v_or3_b32 v6, v6, v7, v12
.LBB448_5241:                           ;   in Loop: Header=BB448_2342 Depth=1
	s_or_b32 exec_lo, exec_lo, s16
.LBB448_5242:                           ;   in Loop: Header=BB448_2342 Depth=1
	s_delay_alu instid0(SALU_CYCLE_1)
	s_or_b32 exec_lo, exec_lo, s15
.LBB448_5243:                           ;   in Loop: Header=BB448_2342 Depth=1
	s_delay_alu instid0(SALU_CYCLE_1) | instskip(NEXT) | instid1(VALU_DEP_1)
	s_or_b32 exec_lo, exec_lo, s13
	v_mul_f32_e32 v6, v118, v6
                                        ; implicit-def: $vgpr32
	s_delay_alu instid0(VALU_DEP_1) | instskip(NEXT) | instid1(VALU_DEP_1)
	v_and_b32_e32 v7, 0x7f800000, v6
	v_cmp_ne_u32_e64 s0, 0x7f800000, v7
	s_delay_alu instid0(VALU_DEP_1) | instskip(NEXT) | instid1(SALU_CYCLE_1)
	s_and_saveexec_b32 s13, s0
	s_xor_b32 s0, exec_lo, s13
; %bb.5244:                             ;   in Loop: Header=BB448_2342 Depth=1
	v_bfe_u32 v7, v6, 16, 1
	s_delay_alu instid0(VALU_DEP_1)
	v_add3_u32 v32, v6, v7, 0x7fff
                                        ; implicit-def: $vgpr6
; %bb.5245:                             ;   in Loop: Header=BB448_2342 Depth=1
	s_and_not1_saveexec_b32 s13, s0
; %bb.5246:                             ;   in Loop: Header=BB448_2342 Depth=1
	v_and_b32_e32 v7, 0xffff, v6
	v_or_b32_e32 v12, 0x10000, v6
	s_delay_alu instid0(VALU_DEP_2) | instskip(NEXT) | instid1(VALU_DEP_1)
	v_cmp_eq_u32_e64 s0, 0, v7
	v_cndmask_b32_e64 v32, v12, v6, s0
; %bb.5247:                             ;   in Loop: Header=BB448_2342 Depth=1
	s_or_b32 exec_lo, exec_lo, s13
	v_lshrrev_b16 v7, 8, v2
	v_mov_b32_e32 v6, 0
	s_mov_b32 s13, exec_lo
	s_delay_alu instid0(VALU_DEP_2)
	v_cmpx_ne_u16_e32 0, v7
	s_cbranch_execz .LBB448_5255
; %bb.5248:                             ;   in Loop: Header=BB448_2342 Depth=1
	v_bfrev_b32_e32 v6, 1
	s_mov_b32 s15, exec_lo
	v_cmpx_ne_u16_e32 0x80, v7
	s_cbranch_execz .LBB448_5254
; %bb.5249:                             ;   in Loop: Header=BB448_2342 Depth=1
	v_and_b32_e32 v7, 0xffff, v7
	v_mov_b32_e32 v6, 0x7f800001
	s_mov_b32 s16, exec_lo
	s_delay_alu instid0(VALU_DEP_2) | instskip(NEXT) | instid1(VALU_DEP_1)
	v_and_b32_e32 v33, 0x7f, v7
	v_cmpx_ne_u32_e32 0x7f, v33
	s_cbranch_execz .LBB448_5253
; %bb.5250:                             ;   in Loop: Header=BB448_2342 Depth=1
	v_and_b32_e32 v12, 7, v7
	s_mov_b32 s17, exec_lo
	s_delay_alu instid0(VALU_DEP_1)
	v_dual_mov_b32 v6, v12 :: v_dual_mov_b32 v7, v13
	v_lshrrev_b32_e32 v7, 3, v33
	v_cmpx_gt_u32_e32 8, v33
; %bb.5251:                             ;   in Loop: Header=BB448_2342 Depth=1
	v_clz_i32_u32_e32 v6, v12
	s_delay_alu instid0(VALU_DEP_1) | instskip(NEXT) | instid1(VALU_DEP_1)
	v_min_u32_e32 v33, 32, v6
	v_subrev_nc_u32_e32 v6, 28, v33
	s_delay_alu instid0(VALU_DEP_1) | instskip(SKIP_1) | instid1(VALU_DEP_2)
	v_lshlrev_b64 v[6:7], v6, v[12:13]
	v_sub_nc_u32_e32 v7, 29, v33
	v_and_b32_e32 v6, 7, v6
; %bb.5252:                             ;   in Loop: Header=BB448_2342 Depth=1
	s_or_b32 exec_lo, exec_lo, s17
	v_lshlrev_b32_e32 v12, 16, v2
	s_delay_alu instid0(VALU_DEP_2) | instskip(SKIP_1) | instid1(VALU_DEP_3)
	v_lshlrev_b32_e32 v6, 20, v6
	v_lshl_add_u32 v7, v7, 23, 0x3c000000
	v_and_b32_e32 v12, 0x80000000, v12
	s_delay_alu instid0(VALU_DEP_1)
	v_or3_b32 v6, v6, v12, v7
.LBB448_5253:                           ;   in Loop: Header=BB448_2342 Depth=1
	s_or_b32 exec_lo, exec_lo, s16
.LBB448_5254:                           ;   in Loop: Header=BB448_2342 Depth=1
	s_delay_alu instid0(SALU_CYCLE_1)
	s_or_b32 exec_lo, exec_lo, s15
.LBB448_5255:                           ;   in Loop: Header=BB448_2342 Depth=1
	s_delay_alu instid0(SALU_CYCLE_1) | instskip(NEXT) | instid1(VALU_DEP_1)
	s_or_b32 exec_lo, exec_lo, s13
	v_mul_f32_e32 v6, v118, v6
                                        ; implicit-def: $vgpr33
	s_delay_alu instid0(VALU_DEP_1) | instskip(NEXT) | instid1(VALU_DEP_1)
	v_and_b32_e32 v7, 0x7f800000, v6
	v_cmp_ne_u32_e64 s0, 0x7f800000, v7
	s_delay_alu instid0(VALU_DEP_1) | instskip(NEXT) | instid1(SALU_CYCLE_1)
	s_and_saveexec_b32 s13, s0
	s_xor_b32 s0, exec_lo, s13
; %bb.5256:                             ;   in Loop: Header=BB448_2342 Depth=1
	v_bfe_u32 v7, v6, 16, 1
	s_delay_alu instid0(VALU_DEP_1)
	v_add3_u32 v33, v6, v7, 0x7fff
                                        ; implicit-def: $vgpr6
; %bb.5257:                             ;   in Loop: Header=BB448_2342 Depth=1
	s_and_not1_saveexec_b32 s13, s0
; %bb.5258:                             ;   in Loop: Header=BB448_2342 Depth=1
	v_and_b32_e32 v7, 0xffff, v6
	v_or_b32_e32 v12, 0x10000, v6
	s_delay_alu instid0(VALU_DEP_2) | instskip(NEXT) | instid1(VALU_DEP_1)
	v_cmp_eq_u32_e64 s0, 0, v7
	v_cndmask_b32_e64 v33, v12, v6, s0
; %bb.5259:                             ;   in Loop: Header=BB448_2342 Depth=1
	s_or_b32 exec_lo, exec_lo, s13
	v_lshrrev_b32_e32 v34, 16, v2
	s_mov_b32 s13, exec_lo
	s_delay_alu instid0(VALU_DEP_1) | instskip(NEXT) | instid1(VALU_DEP_1)
	v_dual_mov_b32 v6, 0 :: v_dual_and_b32 v7, 0xff, v34
	v_cmpx_ne_u16_e32 0, v7
	s_cbranch_execz .LBB448_5267
; %bb.5260:                             ;   in Loop: Header=BB448_2342 Depth=1
	v_bfrev_b32_e32 v6, 1
	s_mov_b32 s15, exec_lo
	v_cmpx_ne_u16_e32 0x80, v7
	s_cbranch_execz .LBB448_5266
; %bb.5261:                             ;   in Loop: Header=BB448_2342 Depth=1
	v_bfe_u32 v51, v2, 16, 7
	v_mov_b32_e32 v6, 0x7f800001
	s_mov_b32 s16, exec_lo
	s_delay_alu instid0(VALU_DEP_2)
	v_cmpx_ne_u32_e32 0x7f, v51
	s_cbranch_execz .LBB448_5265
; %bb.5262:                             ;   in Loop: Header=BB448_2342 Depth=1
	v_and_b32_e32 v12, 7, v34
	s_mov_b32 s17, exec_lo
	s_delay_alu instid0(VALU_DEP_1)
	v_dual_mov_b32 v6, v12 :: v_dual_mov_b32 v7, v13
	v_lshrrev_b32_e32 v7, 3, v51
	v_cmpx_gt_u32_e32 8, v51
; %bb.5263:                             ;   in Loop: Header=BB448_2342 Depth=1
	v_clz_i32_u32_e32 v6, v12
	s_delay_alu instid0(VALU_DEP_1) | instskip(NEXT) | instid1(VALU_DEP_1)
	v_min_u32_e32 v51, 32, v6
	v_subrev_nc_u32_e32 v6, 28, v51
	s_delay_alu instid0(VALU_DEP_1) | instskip(SKIP_1) | instid1(VALU_DEP_2)
	v_lshlrev_b64 v[6:7], v6, v[12:13]
	v_sub_nc_u32_e32 v7, 29, v51
	v_and_b32_e32 v6, 7, v6
; %bb.5264:                             ;   in Loop: Header=BB448_2342 Depth=1
	s_or_b32 exec_lo, exec_lo, s17
	v_lshlrev_b32_e32 v12, 24, v34
	s_delay_alu instid0(VALU_DEP_2) | instskip(SKIP_1) | instid1(VALU_DEP_3)
	v_lshlrev_b32_e32 v6, 20, v6
	v_lshl_add_u32 v7, v7, 23, 0x3c000000
	v_and_b32_e32 v12, 0x80000000, v12
	s_delay_alu instid0(VALU_DEP_1)
	v_or3_b32 v6, v6, v12, v7
.LBB448_5265:                           ;   in Loop: Header=BB448_2342 Depth=1
	s_or_b32 exec_lo, exec_lo, s16
.LBB448_5266:                           ;   in Loop: Header=BB448_2342 Depth=1
	s_delay_alu instid0(SALU_CYCLE_1)
	s_or_b32 exec_lo, exec_lo, s15
.LBB448_5267:                           ;   in Loop: Header=BB448_2342 Depth=1
	s_delay_alu instid0(SALU_CYCLE_1) | instskip(NEXT) | instid1(VALU_DEP_1)
	s_or_b32 exec_lo, exec_lo, s13
	v_mul_f32_e32 v6, v118, v6
                                        ; implicit-def: $vgpr34
	s_delay_alu instid0(VALU_DEP_1) | instskip(NEXT) | instid1(VALU_DEP_1)
	v_and_b32_e32 v7, 0x7f800000, v6
	v_cmp_ne_u32_e64 s0, 0x7f800000, v7
	s_delay_alu instid0(VALU_DEP_1) | instskip(NEXT) | instid1(SALU_CYCLE_1)
	s_and_saveexec_b32 s13, s0
	s_xor_b32 s0, exec_lo, s13
; %bb.5268:                             ;   in Loop: Header=BB448_2342 Depth=1
	v_bfe_u32 v7, v6, 16, 1
	s_delay_alu instid0(VALU_DEP_1)
	v_add3_u32 v34, v6, v7, 0x7fff
                                        ; implicit-def: $vgpr6
; %bb.5269:                             ;   in Loop: Header=BB448_2342 Depth=1
	s_and_not1_saveexec_b32 s13, s0
; %bb.5270:                             ;   in Loop: Header=BB448_2342 Depth=1
	v_and_b32_e32 v7, 0xffff, v6
	v_or_b32_e32 v12, 0x10000, v6
	s_delay_alu instid0(VALU_DEP_2) | instskip(NEXT) | instid1(VALU_DEP_1)
	v_cmp_eq_u32_e64 s0, 0, v7
	v_cndmask_b32_e64 v34, v12, v6, s0
; %bb.5271:                             ;   in Loop: Header=BB448_2342 Depth=1
	s_or_b32 exec_lo, exec_lo, s13
	v_mov_b32_e32 v6, 0
	s_mov_b32 s13, exec_lo
	v_cmpx_lt_u32_e32 0xffffff, v2
	s_cbranch_execz .LBB448_5279
; %bb.5272:                             ;   in Loop: Header=BB448_2342 Depth=1
	v_lshrrev_b32_e32 v51, 24, v2
	v_bfrev_b32_e32 v6, 1
	s_mov_b32 s15, exec_lo
	s_delay_alu instid0(VALU_DEP_2)
	v_cmpx_ne_u32_e32 0x80, v51
	s_cbranch_execz .LBB448_5278
; %bb.5273:                             ;   in Loop: Header=BB448_2342 Depth=1
	v_bfe_u32 v52, v2, 24, 7
	v_mov_b32_e32 v6, 0x7f800001
	s_mov_b32 s16, exec_lo
	s_delay_alu instid0(VALU_DEP_2)
	v_cmpx_ne_u32_e32 0x7f, v52
	s_cbranch_execz .LBB448_5277
; %bb.5274:                             ;   in Loop: Header=BB448_2342 Depth=1
	v_and_b32_e32 v12, 7, v51
	s_mov_b32 s17, exec_lo
	s_delay_alu instid0(VALU_DEP_1)
	v_dual_mov_b32 v6, v12 :: v_dual_mov_b32 v7, v13
	v_lshrrev_b32_e32 v7, 3, v52
	v_cmpx_gt_u32_e32 8, v52
; %bb.5275:                             ;   in Loop: Header=BB448_2342 Depth=1
	v_clz_i32_u32_e32 v6, v12
	s_delay_alu instid0(VALU_DEP_1) | instskip(NEXT) | instid1(VALU_DEP_1)
	v_min_u32_e32 v52, 32, v6
	v_subrev_nc_u32_e32 v6, 28, v52
	s_delay_alu instid0(VALU_DEP_1) | instskip(SKIP_1) | instid1(VALU_DEP_2)
	v_lshlrev_b64 v[6:7], v6, v[12:13]
	v_sub_nc_u32_e32 v7, 29, v52
	v_and_b32_e32 v6, 7, v6
; %bb.5276:                             ;   in Loop: Header=BB448_2342 Depth=1
	s_or_b32 exec_lo, exec_lo, s17
	v_lshlrev_b32_e32 v12, 24, v51
	s_delay_alu instid0(VALU_DEP_2) | instskip(SKIP_1) | instid1(VALU_DEP_3)
	v_lshlrev_b32_e32 v6, 20, v6
	v_lshl_add_u32 v7, v7, 23, 0x3c000000
	v_and_b32_e32 v12, 0x80000000, v12
	s_delay_alu instid0(VALU_DEP_1)
	v_or3_b32 v6, v6, v12, v7
.LBB448_5277:                           ;   in Loop: Header=BB448_2342 Depth=1
	s_or_b32 exec_lo, exec_lo, s16
.LBB448_5278:                           ;   in Loop: Header=BB448_2342 Depth=1
	s_delay_alu instid0(SALU_CYCLE_1)
	s_or_b32 exec_lo, exec_lo, s15
.LBB448_5279:                           ;   in Loop: Header=BB448_2342 Depth=1
	s_delay_alu instid0(SALU_CYCLE_1) | instskip(NEXT) | instid1(VALU_DEP_1)
	s_or_b32 exec_lo, exec_lo, s13
	v_mul_f32_e32 v6, v118, v6
                                        ; implicit-def: $vgpr51
	s_delay_alu instid0(VALU_DEP_1) | instskip(NEXT) | instid1(VALU_DEP_1)
	v_and_b32_e32 v7, 0x7f800000, v6
	v_cmp_ne_u32_e64 s0, 0x7f800000, v7
	s_delay_alu instid0(VALU_DEP_1) | instskip(NEXT) | instid1(SALU_CYCLE_1)
	s_and_saveexec_b32 s13, s0
	s_xor_b32 s0, exec_lo, s13
; %bb.5280:                             ;   in Loop: Header=BB448_2342 Depth=1
	v_bfe_u32 v7, v6, 16, 1
	s_delay_alu instid0(VALU_DEP_1)
	v_add3_u32 v51, v6, v7, 0x7fff
                                        ; implicit-def: $vgpr6
; %bb.5281:                             ;   in Loop: Header=BB448_2342 Depth=1
	s_and_not1_saveexec_b32 s13, s0
; %bb.5282:                             ;   in Loop: Header=BB448_2342 Depth=1
	v_and_b32_e32 v7, 0xffff, v6
	v_or_b32_e32 v12, 0x10000, v6
	s_delay_alu instid0(VALU_DEP_2) | instskip(NEXT) | instid1(VALU_DEP_1)
	v_cmp_eq_u32_e64 s0, 0, v7
	v_cndmask_b32_e64 v51, v12, v6, s0
; %bb.5283:                             ;   in Loop: Header=BB448_2342 Depth=1
	s_or_b32 exec_lo, exec_lo, s13
	v_dual_mov_b32 v12, v3 :: v_dual_and_b32 v7, 0xff, v3
	v_mov_b32_e32 v6, 0
	s_mov_b32 s13, exec_lo
	s_delay_alu instid0(VALU_DEP_2)
	v_cmpx_ne_u16_e32 0, v7
	s_cbranch_execz .LBB448_5291
; %bb.5284:                             ;   in Loop: Header=BB448_2342 Depth=1
	v_bfrev_b32_e32 v6, 1
	s_mov_b32 s15, exec_lo
	v_cmpx_ne_u16_e32 0x80, v7
	s_cbranch_execz .LBB448_5290
; %bb.5285:                             ;   in Loop: Header=BB448_2342 Depth=1
	v_and_b32_e32 v52, 0x7f, v3
	v_mov_b32_e32 v6, 0x7f800001
	s_mov_b32 s16, exec_lo
	s_delay_alu instid0(VALU_DEP_2)
	v_cmpx_ne_u32_e32 0x7f, v52
	s_cbranch_execz .LBB448_5289
; %bb.5286:                             ;   in Loop: Header=BB448_2342 Depth=1
	v_dual_mov_b32 v6, v12 :: v_dual_mov_b32 v7, v13
	v_lshrrev_b32_e32 v7, 3, v52
	s_mov_b32 s17, exec_lo
	v_cmpx_gt_u32_e32 8, v52
; %bb.5287:                             ;   in Loop: Header=BB448_2342 Depth=1
	v_and_b32_e32 v6, 7, v3
	s_delay_alu instid0(VALU_DEP_1) | instskip(NEXT) | instid1(VALU_DEP_1)
	v_clz_i32_u32_e32 v6, v6
	v_min_u32_e32 v52, 32, v6
	s_delay_alu instid0(VALU_DEP_1) | instskip(NEXT) | instid1(VALU_DEP_1)
	v_subrev_nc_u32_e32 v6, 28, v52
	v_lshlrev_b64 v[6:7], v6, v[12:13]
	v_sub_nc_u32_e32 v7, 29, v52
; %bb.5288:                             ;   in Loop: Header=BB448_2342 Depth=1
	s_or_b32 exec_lo, exec_lo, s17
	s_delay_alu instid0(VALU_DEP_2) | instskip(SKIP_1) | instid1(VALU_DEP_3)
	v_lshlrev_b32_e32 v6, 20, v6
	v_lshlrev_b32_e32 v52, 24, v12
	v_lshl_add_u32 v7, v7, 23, 0x3c000000
	s_delay_alu instid0(VALU_DEP_3) | instskip(NEXT) | instid1(VALU_DEP_3)
	v_and_b32_e32 v6, 0x700000, v6
	v_and_b32_e32 v52, 0x80000000, v52
	s_delay_alu instid0(VALU_DEP_1)
	v_or3_b32 v6, v6, v52, v7
.LBB448_5289:                           ;   in Loop: Header=BB448_2342 Depth=1
	s_or_b32 exec_lo, exec_lo, s16
.LBB448_5290:                           ;   in Loop: Header=BB448_2342 Depth=1
	s_delay_alu instid0(SALU_CYCLE_1)
	s_or_b32 exec_lo, exec_lo, s15
.LBB448_5291:                           ;   in Loop: Header=BB448_2342 Depth=1
	s_delay_alu instid0(SALU_CYCLE_1) | instskip(NEXT) | instid1(VALU_DEP_1)
	s_or_b32 exec_lo, exec_lo, s13
	v_mul_f32_e32 v6, v118, v6
                                        ; implicit-def: $vgpr52
	s_delay_alu instid0(VALU_DEP_1) | instskip(NEXT) | instid1(VALU_DEP_1)
	v_and_b32_e32 v7, 0x7f800000, v6
	v_cmp_ne_u32_e64 s0, 0x7f800000, v7
	s_delay_alu instid0(VALU_DEP_1) | instskip(NEXT) | instid1(SALU_CYCLE_1)
	s_and_saveexec_b32 s13, s0
	s_xor_b32 s0, exec_lo, s13
; %bb.5292:                             ;   in Loop: Header=BB448_2342 Depth=1
	v_bfe_u32 v7, v6, 16, 1
	s_delay_alu instid0(VALU_DEP_1)
	v_add3_u32 v52, v6, v7, 0x7fff
                                        ; implicit-def: $vgpr6
; %bb.5293:                             ;   in Loop: Header=BB448_2342 Depth=1
	s_and_not1_saveexec_b32 s13, s0
; %bb.5294:                             ;   in Loop: Header=BB448_2342 Depth=1
	v_and_b32_e32 v7, 0xffff, v6
	v_or_b32_e32 v52, 0x10000, v6
	s_delay_alu instid0(VALU_DEP_2) | instskip(NEXT) | instid1(VALU_DEP_1)
	v_cmp_eq_u32_e64 s0, 0, v7
	v_cndmask_b32_e64 v52, v52, v6, s0
; %bb.5295:                             ;   in Loop: Header=BB448_2342 Depth=1
	s_or_b32 exec_lo, exec_lo, s13
	v_lshrrev_b16 v7, 8, v12
	v_mov_b32_e32 v6, 0
	s_mov_b32 s13, exec_lo
	s_delay_alu instid0(VALU_DEP_2)
	v_cmpx_ne_u16_e32 0, v7
	s_cbranch_execz .LBB448_5303
; %bb.5296:                             ;   in Loop: Header=BB448_2342 Depth=1
	v_bfrev_b32_e32 v6, 1
	s_mov_b32 s15, exec_lo
	v_cmpx_ne_u16_e32 0x80, v7
	s_cbranch_execz .LBB448_5302
; %bb.5297:                             ;   in Loop: Header=BB448_2342 Depth=1
	v_and_b32_e32 v7, 0xffff, v7
	v_mov_b32_e32 v6, 0x7f800001
	s_mov_b32 s16, exec_lo
	s_delay_alu instid0(VALU_DEP_2) | instskip(NEXT) | instid1(VALU_DEP_1)
	v_and_b32_e32 v54, 0x7f, v7
	v_cmpx_ne_u32_e32 0x7f, v54
	s_cbranch_execz .LBB448_5301
; %bb.5298:                             ;   in Loop: Header=BB448_2342 Depth=1
	v_dual_mov_b32 v7, v13 :: v_dual_and_b32 v6, 7, v7
	v_lshrrev_b32_e32 v53, 3, v54
	s_mov_b32 s17, exec_lo
	v_cmpx_gt_u32_e32 8, v54
; %bb.5299:                             ;   in Loop: Header=BB448_2342 Depth=1
	s_delay_alu instid0(VALU_DEP_3) | instskip(NEXT) | instid1(VALU_DEP_1)
	v_clz_i32_u32_e32 v53, v6
	v_min_u32_e32 v53, 32, v53
	s_delay_alu instid0(VALU_DEP_1) | instskip(SKIP_1) | instid1(VALU_DEP_2)
	v_subrev_nc_u32_e32 v54, 28, v53
	v_sub_nc_u32_e32 v53, 29, v53
	v_lshlrev_b64 v[6:7], v54, v[6:7]
	s_delay_alu instid0(VALU_DEP_1)
	v_and_b32_e32 v6, 7, v6
; %bb.5300:                             ;   in Loop: Header=BB448_2342 Depth=1
	s_or_b32 exec_lo, exec_lo, s17
	v_lshlrev_b32_e32 v7, 16, v12
	s_delay_alu instid0(VALU_DEP_2) | instskip(SKIP_1) | instid1(VALU_DEP_3)
	v_lshlrev_b32_e32 v6, 20, v6
	v_lshl_add_u32 v12, v53, 23, 0x3c000000
	v_and_b32_e32 v7, 0x80000000, v7
	s_delay_alu instid0(VALU_DEP_1)
	v_or3_b32 v6, v6, v7, v12
.LBB448_5301:                           ;   in Loop: Header=BB448_2342 Depth=1
	s_or_b32 exec_lo, exec_lo, s16
.LBB448_5302:                           ;   in Loop: Header=BB448_2342 Depth=1
	s_delay_alu instid0(SALU_CYCLE_1)
	s_or_b32 exec_lo, exec_lo, s15
.LBB448_5303:                           ;   in Loop: Header=BB448_2342 Depth=1
	s_delay_alu instid0(SALU_CYCLE_1) | instskip(NEXT) | instid1(VALU_DEP_1)
	s_or_b32 exec_lo, exec_lo, s13
	v_mul_f32_e32 v6, v118, v6
                                        ; implicit-def: $vgpr53
	s_delay_alu instid0(VALU_DEP_1) | instskip(NEXT) | instid1(VALU_DEP_1)
	v_and_b32_e32 v7, 0x7f800000, v6
	v_cmp_ne_u32_e64 s0, 0x7f800000, v7
	s_delay_alu instid0(VALU_DEP_1) | instskip(NEXT) | instid1(SALU_CYCLE_1)
	s_and_saveexec_b32 s13, s0
	s_xor_b32 s0, exec_lo, s13
; %bb.5304:                             ;   in Loop: Header=BB448_2342 Depth=1
	v_bfe_u32 v7, v6, 16, 1
	s_delay_alu instid0(VALU_DEP_1)
	v_add3_u32 v53, v6, v7, 0x7fff
                                        ; implicit-def: $vgpr6
; %bb.5305:                             ;   in Loop: Header=BB448_2342 Depth=1
	s_and_not1_saveexec_b32 s13, s0
; %bb.5306:                             ;   in Loop: Header=BB448_2342 Depth=1
	v_and_b32_e32 v7, 0xffff, v6
	v_or_b32_e32 v12, 0x10000, v6
	s_delay_alu instid0(VALU_DEP_2) | instskip(NEXT) | instid1(VALU_DEP_1)
	v_cmp_eq_u32_e64 s0, 0, v7
	v_cndmask_b32_e64 v53, v12, v6, s0
; %bb.5307:                             ;   in Loop: Header=BB448_2342 Depth=1
	s_or_b32 exec_lo, exec_lo, s13
	v_lshrrev_b32_e32 v54, 16, v3
	s_mov_b32 s13, exec_lo
	s_delay_alu instid0(VALU_DEP_1) | instskip(NEXT) | instid1(VALU_DEP_1)
	v_dual_mov_b32 v6, 0 :: v_dual_and_b32 v7, 0xff, v54
	v_cmpx_ne_u16_e32 0, v7
	s_cbranch_execz .LBB448_5315
; %bb.5308:                             ;   in Loop: Header=BB448_2342 Depth=1
	v_bfrev_b32_e32 v6, 1
	s_mov_b32 s15, exec_lo
	v_cmpx_ne_u16_e32 0x80, v7
	s_cbranch_execz .LBB448_5314
; %bb.5309:                             ;   in Loop: Header=BB448_2342 Depth=1
	v_bfe_u32 v55, v3, 16, 7
	v_mov_b32_e32 v6, 0x7f800001
	s_mov_b32 s16, exec_lo
	s_delay_alu instid0(VALU_DEP_2)
	v_cmpx_ne_u32_e32 0x7f, v55
	s_cbranch_execz .LBB448_5313
; %bb.5310:                             ;   in Loop: Header=BB448_2342 Depth=1
	v_and_b32_e32 v12, 7, v54
	s_mov_b32 s17, exec_lo
	s_delay_alu instid0(VALU_DEP_1)
	v_dual_mov_b32 v6, v12 :: v_dual_mov_b32 v7, v13
	v_lshrrev_b32_e32 v7, 3, v55
	v_cmpx_gt_u32_e32 8, v55
; %bb.5311:                             ;   in Loop: Header=BB448_2342 Depth=1
	v_clz_i32_u32_e32 v6, v12
	s_delay_alu instid0(VALU_DEP_1) | instskip(NEXT) | instid1(VALU_DEP_1)
	v_min_u32_e32 v55, 32, v6
	v_subrev_nc_u32_e32 v6, 28, v55
	s_delay_alu instid0(VALU_DEP_1) | instskip(SKIP_1) | instid1(VALU_DEP_2)
	v_lshlrev_b64 v[6:7], v6, v[12:13]
	v_sub_nc_u32_e32 v7, 29, v55
	v_and_b32_e32 v6, 7, v6
; %bb.5312:                             ;   in Loop: Header=BB448_2342 Depth=1
	s_or_b32 exec_lo, exec_lo, s17
	v_lshlrev_b32_e32 v12, 24, v54
	s_delay_alu instid0(VALU_DEP_2) | instskip(SKIP_1) | instid1(VALU_DEP_3)
	v_lshlrev_b32_e32 v6, 20, v6
	v_lshl_add_u32 v7, v7, 23, 0x3c000000
	v_and_b32_e32 v12, 0x80000000, v12
	s_delay_alu instid0(VALU_DEP_1)
	v_or3_b32 v6, v6, v12, v7
.LBB448_5313:                           ;   in Loop: Header=BB448_2342 Depth=1
	s_or_b32 exec_lo, exec_lo, s16
.LBB448_5314:                           ;   in Loop: Header=BB448_2342 Depth=1
	s_delay_alu instid0(SALU_CYCLE_1)
	s_or_b32 exec_lo, exec_lo, s15
.LBB448_5315:                           ;   in Loop: Header=BB448_2342 Depth=1
	s_delay_alu instid0(SALU_CYCLE_1) | instskip(NEXT) | instid1(VALU_DEP_1)
	s_or_b32 exec_lo, exec_lo, s13
	v_mul_f32_e32 v7, v118, v6
	s_delay_alu instid0(VALU_DEP_1) | instskip(NEXT) | instid1(VALU_DEP_1)
	v_and_b32_e32 v6, 0x7f800000, v7
	v_cmp_ne_u32_e64 s0, 0x7f800000, v6
                                        ; implicit-def: $vgpr6
	s_delay_alu instid0(VALU_DEP_1) | instskip(NEXT) | instid1(SALU_CYCLE_1)
	s_and_saveexec_b32 s13, s0
	s_xor_b32 s0, exec_lo, s13
; %bb.5316:                             ;   in Loop: Header=BB448_2342 Depth=1
	v_bfe_u32 v6, v7, 16, 1
	s_delay_alu instid0(VALU_DEP_1)
	v_add3_u32 v6, v7, v6, 0x7fff
                                        ; implicit-def: $vgpr7
; %bb.5317:                             ;   in Loop: Header=BB448_2342 Depth=1
	s_and_not1_saveexec_b32 s13, s0
; %bb.5318:                             ;   in Loop: Header=BB448_2342 Depth=1
	v_and_b32_e32 v6, 0xffff, v7
	v_or_b32_e32 v12, 0x10000, v7
	s_delay_alu instid0(VALU_DEP_2) | instskip(NEXT) | instid1(VALU_DEP_1)
	v_cmp_eq_u32_e64 s0, 0, v6
	v_cndmask_b32_e64 v6, v12, v7, s0
; %bb.5319:                             ;   in Loop: Header=BB448_2342 Depth=1
	s_or_b32 exec_lo, exec_lo, s13
	v_cmp_lt_u64_e64 s0, s[8:9], v[2:3]
	v_mov_b32_e32 v2, 0
	s_delay_alu instid0(VALU_DEP_2)
	s_and_saveexec_b32 s13, s0
	s_cbranch_execz .LBB448_5327
; %bb.5320:                             ;   in Loop: Header=BB448_2342 Depth=1
	v_lshrrev_b32_e32 v7, 24, v3
	v_bfrev_b32_e32 v2, 1
	s_mov_b32 s15, exec_lo
	s_delay_alu instid0(VALU_DEP_2)
	v_cmpx_ne_u32_e32 0x80, v7
	s_cbranch_execz .LBB448_5326
; %bb.5321:                             ;   in Loop: Header=BB448_2342 Depth=1
	v_bfe_u32 v54, v3, 24, 7
	v_mov_b32_e32 v2, 0x7f800001
	s_mov_b32 s16, exec_lo
	s_delay_alu instid0(VALU_DEP_2)
	v_cmpx_ne_u32_e32 0x7f, v54
	s_cbranch_execz .LBB448_5325
; %bb.5322:                             ;   in Loop: Header=BB448_2342 Depth=1
	v_and_b32_e32 v12, 7, v7
	s_mov_b32 s17, exec_lo
	s_delay_alu instid0(VALU_DEP_1)
	v_dual_mov_b32 v2, v12 :: v_dual_mov_b32 v3, v13
	v_lshrrev_b32_e32 v3, 3, v54
	v_cmpx_gt_u32_e32 8, v54
; %bb.5323:                             ;   in Loop: Header=BB448_2342 Depth=1
	v_clz_i32_u32_e32 v2, v12
	s_delay_alu instid0(VALU_DEP_1) | instskip(NEXT) | instid1(VALU_DEP_1)
	v_min_u32_e32 v54, 32, v2
	v_subrev_nc_u32_e32 v2, 28, v54
	s_delay_alu instid0(VALU_DEP_1) | instskip(SKIP_1) | instid1(VALU_DEP_2)
	v_lshlrev_b64 v[2:3], v2, v[12:13]
	v_sub_nc_u32_e32 v3, 29, v54
	v_and_b32_e32 v2, 7, v2
; %bb.5324:                             ;   in Loop: Header=BB448_2342 Depth=1
	s_or_b32 exec_lo, exec_lo, s17
	v_lshlrev_b32_e32 v7, 24, v7
	s_delay_alu instid0(VALU_DEP_2) | instskip(SKIP_1) | instid1(VALU_DEP_3)
	v_lshlrev_b32_e32 v2, 20, v2
	v_lshl_add_u32 v3, v3, 23, 0x3c000000
	v_and_b32_e32 v7, 0x80000000, v7
	s_delay_alu instid0(VALU_DEP_1)
	v_or3_b32 v2, v2, v7, v3
.LBB448_5325:                           ;   in Loop: Header=BB448_2342 Depth=1
	s_or_b32 exec_lo, exec_lo, s16
.LBB448_5326:                           ;   in Loop: Header=BB448_2342 Depth=1
	s_delay_alu instid0(SALU_CYCLE_1)
	s_or_b32 exec_lo, exec_lo, s15
.LBB448_5327:                           ;   in Loop: Header=BB448_2342 Depth=1
	s_delay_alu instid0(SALU_CYCLE_1) | instskip(NEXT) | instid1(VALU_DEP_1)
	s_or_b32 exec_lo, exec_lo, s13
	v_mul_f32_e32 v3, v118, v2
	s_delay_alu instid0(VALU_DEP_1) | instskip(NEXT) | instid1(VALU_DEP_1)
	v_and_b32_e32 v2, 0x7f800000, v3
	v_cmp_ne_u32_e64 s0, 0x7f800000, v2
                                        ; implicit-def: $vgpr2
	s_delay_alu instid0(VALU_DEP_1) | instskip(NEXT) | instid1(SALU_CYCLE_1)
	s_and_saveexec_b32 s13, s0
	s_xor_b32 s0, exec_lo, s13
; %bb.5328:                             ;   in Loop: Header=BB448_2342 Depth=1
	v_bfe_u32 v2, v3, 16, 1
	s_delay_alu instid0(VALU_DEP_1)
	v_add3_u32 v2, v3, v2, 0x7fff
                                        ; implicit-def: $vgpr3
; %bb.5329:                             ;   in Loop: Header=BB448_2342 Depth=1
	s_and_not1_saveexec_b32 s13, s0
; %bb.5330:                             ;   in Loop: Header=BB448_2342 Depth=1
	v_and_b32_e32 v2, 0xffff, v3
	v_or_b32_e32 v7, 0x10000, v3
	s_delay_alu instid0(VALU_DEP_2) | instskip(NEXT) | instid1(VALU_DEP_1)
	v_cmp_eq_u32_e64 s0, 0, v2
	v_cndmask_b32_e64 v2, v7, v3, s0
; %bb.5331:                             ;   in Loop: Header=BB448_2342 Depth=1
	s_or_b32 exec_lo, exec_lo, s13
	v_lshrrev_b32_e32 v12, 16, v53
	v_lshrrev_b32_e32 v52, 16, v52
	;; [unrolled: 1-line block ×8, first 2 shown]
	s_and_saveexec_b32 s13, vcc_lo
	s_cbranch_execz .LBB448_5333
; %bb.5332:                             ;   in Loop: Header=BB448_2342 Depth=1
	v_cmp_lt_i32_e64 s0, v102, v36
	s_delay_alu instid0(VALU_DEP_1) | instskip(SKIP_1) | instid1(VALU_DEP_1)
	v_cndmask_b32_e64 v32, 0, v32, s0
	v_cmp_lt_i32_e64 s0, v133, v36
	v_cndmask_b32_e64 v7, 0, v7, s0
	v_cmp_lt_i32_e64 s0, v132, v36
	s_delay_alu instid0(VALU_DEP_1) | instskip(SKIP_1) | instid1(VALU_DEP_1)
	v_cndmask_b32_e64 v34, 0, v34, s0
	v_cmp_lt_i32_e64 s0, v131, v36
	v_cndmask_b32_e64 v51, 0, v51, s0
	;; [unrolled: 5-line block ×4, first 2 shown]
.LBB448_5333:                           ;   in Loop: Header=BB448_2342 Depth=1
	s_or_b32 exec_lo, exec_lo, s13
	v_lshlrev_b32_e32 v6, 16, v32
	s_delay_alu instid0(VALU_DEP_1) | instskip(NEXT) | instid1(VALU_DEP_1)
	v_mul_f32_e32 v32, v134, v6
	v_and_b32_e32 v6, 0x7f800000, v32
	s_delay_alu instid0(VALU_DEP_1) | instskip(NEXT) | instid1(VALU_DEP_1)
	v_cmp_ne_u32_e64 s0, 0x7f800000, v6
                                        ; implicit-def: $vgpr6
	s_and_saveexec_b32 s13, s0
	s_delay_alu instid0(SALU_CYCLE_1)
	s_xor_b32 s0, exec_lo, s13
; %bb.5334:                             ;   in Loop: Header=BB448_2342 Depth=1
	v_bfe_u32 v6, v32, 16, 1
	s_delay_alu instid0(VALU_DEP_1)
	v_add3_u32 v6, v32, v6, 0x7fff
                                        ; implicit-def: $vgpr32
; %bb.5335:                             ;   in Loop: Header=BB448_2342 Depth=1
	s_and_not1_saveexec_b32 s13, s0
; %bb.5336:                             ;   in Loop: Header=BB448_2342 Depth=1
	v_and_b32_e32 v6, 0xffff, v32
	v_or_b32_e32 v33, 0x10000, v32
	s_delay_alu instid0(VALU_DEP_2) | instskip(NEXT) | instid1(VALU_DEP_1)
	v_cmp_eq_u32_e64 s0, 0, v6
	v_cndmask_b32_e64 v6, v33, v32, s0
; %bb.5337:                             ;   in Loop: Header=BB448_2342 Depth=1
	s_or_b32 exec_lo, exec_lo, s13
	v_lshlrev_b32_e32 v7, 16, v7
	s_delay_alu instid0(VALU_DEP_1) | instskip(NEXT) | instid1(VALU_DEP_1)
	v_mul_f32_e32 v32, v135, v7
	v_and_b32_e32 v7, 0x7f800000, v32
	s_delay_alu instid0(VALU_DEP_1) | instskip(NEXT) | instid1(VALU_DEP_1)
	v_cmp_ne_u32_e64 s0, 0x7f800000, v7
                                        ; implicit-def: $vgpr7
	s_and_saveexec_b32 s13, s0
	s_delay_alu instid0(SALU_CYCLE_1)
	s_xor_b32 s0, exec_lo, s13
; %bb.5338:                             ;   in Loop: Header=BB448_2342 Depth=1
	v_bfe_u32 v7, v32, 16, 1
	s_delay_alu instid0(VALU_DEP_1)
	v_add3_u32 v7, v32, v7, 0x7fff
                                        ; implicit-def: $vgpr32
; %bb.5339:                             ;   in Loop: Header=BB448_2342 Depth=1
	s_and_not1_saveexec_b32 s13, s0
; %bb.5340:                             ;   in Loop: Header=BB448_2342 Depth=1
	v_and_b32_e32 v7, 0xffff, v32
	v_or_b32_e32 v33, 0x10000, v32
	s_delay_alu instid0(VALU_DEP_2) | instskip(NEXT) | instid1(VALU_DEP_1)
	v_cmp_eq_u32_e64 s0, 0, v7
	v_cndmask_b32_e64 v7, v33, v32, s0
; %bb.5341:                             ;   in Loop: Header=BB448_2342 Depth=1
	s_or_b32 exec_lo, exec_lo, s13
	v_lshlrev_b32_e32 v32, 16, v34
	s_delay_alu instid0(VALU_DEP_1) | instskip(NEXT) | instid1(VALU_DEP_1)
	v_mul_f32_e32 v33, v144, v32
	v_and_b32_e32 v32, 0x7f800000, v33
	s_delay_alu instid0(VALU_DEP_1) | instskip(NEXT) | instid1(VALU_DEP_1)
	v_cmp_ne_u32_e64 s0, 0x7f800000, v32
                                        ; implicit-def: $vgpr32
	s_and_saveexec_b32 s13, s0
	s_delay_alu instid0(SALU_CYCLE_1)
	s_xor_b32 s0, exec_lo, s13
; %bb.5342:                             ;   in Loop: Header=BB448_2342 Depth=1
	v_bfe_u32 v32, v33, 16, 1
	s_delay_alu instid0(VALU_DEP_1)
	v_add3_u32 v32, v33, v32, 0x7fff
                                        ; implicit-def: $vgpr33
; %bb.5343:                             ;   in Loop: Header=BB448_2342 Depth=1
	s_and_not1_saveexec_b32 s13, s0
; %bb.5344:                             ;   in Loop: Header=BB448_2342 Depth=1
	v_and_b32_e32 v32, 0xffff, v33
	v_or_b32_e32 v34, 0x10000, v33
	s_delay_alu instid0(VALU_DEP_2) | instskip(NEXT) | instid1(VALU_DEP_1)
	v_cmp_eq_u32_e64 s0, 0, v32
	v_cndmask_b32_e64 v32, v34, v33, s0
; %bb.5345:                             ;   in Loop: Header=BB448_2342 Depth=1
	s_or_b32 exec_lo, exec_lo, s13
	v_lshlrev_b32_e32 v33, 16, v51
	s_delay_alu instid0(VALU_DEP_1) | instskip(NEXT) | instid1(VALU_DEP_1)
	v_mul_f32_e32 v34, v145, v33
	v_and_b32_e32 v33, 0x7f800000, v34
	s_delay_alu instid0(VALU_DEP_1) | instskip(NEXT) | instid1(VALU_DEP_1)
	v_cmp_ne_u32_e64 s0, 0x7f800000, v33
                                        ; implicit-def: $vgpr33
	s_and_saveexec_b32 s13, s0
	s_delay_alu instid0(SALU_CYCLE_1)
	s_xor_b32 s0, exec_lo, s13
; %bb.5346:                             ;   in Loop: Header=BB448_2342 Depth=1
	v_bfe_u32 v33, v34, 16, 1
	s_delay_alu instid0(VALU_DEP_1)
	v_add3_u32 v33, v34, v33, 0x7fff
                                        ; implicit-def: $vgpr34
; %bb.5347:                             ;   in Loop: Header=BB448_2342 Depth=1
	s_and_not1_saveexec_b32 s13, s0
; %bb.5348:                             ;   in Loop: Header=BB448_2342 Depth=1
	v_and_b32_e32 v33, 0xffff, v34
	v_or_b32_e32 v51, 0x10000, v34
	s_delay_alu instid0(VALU_DEP_2) | instskip(NEXT) | instid1(VALU_DEP_1)
	v_cmp_eq_u32_e64 s0, 0, v33
	v_cndmask_b32_e64 v33, v51, v34, s0
; %bb.5349:                             ;   in Loop: Header=BB448_2342 Depth=1
	s_or_b32 exec_lo, exec_lo, s13
	v_lshlrev_b32_e32 v34, 16, v52
	s_delay_alu instid0(VALU_DEP_1) | instskip(NEXT) | instid1(VALU_DEP_1)
	v_mul_f32_e32 v51, v146, v34
	v_and_b32_e32 v34, 0x7f800000, v51
	s_delay_alu instid0(VALU_DEP_1) | instskip(NEXT) | instid1(VALU_DEP_1)
	v_cmp_ne_u32_e64 s0, 0x7f800000, v34
                                        ; implicit-def: $vgpr34
	s_and_saveexec_b32 s13, s0
	s_delay_alu instid0(SALU_CYCLE_1)
	s_xor_b32 s0, exec_lo, s13
; %bb.5350:                             ;   in Loop: Header=BB448_2342 Depth=1
	v_bfe_u32 v34, v51, 16, 1
	s_delay_alu instid0(VALU_DEP_1)
	v_add3_u32 v34, v51, v34, 0x7fff
                                        ; implicit-def: $vgpr51
; %bb.5351:                             ;   in Loop: Header=BB448_2342 Depth=1
	s_and_not1_saveexec_b32 s13, s0
; %bb.5352:                             ;   in Loop: Header=BB448_2342 Depth=1
	v_and_b32_e32 v34, 0xffff, v51
	v_or_b32_e32 v52, 0x10000, v51
	s_delay_alu instid0(VALU_DEP_2) | instskip(NEXT) | instid1(VALU_DEP_1)
	v_cmp_eq_u32_e64 s0, 0, v34
	v_cndmask_b32_e64 v34, v52, v51, s0
; %bb.5353:                             ;   in Loop: Header=BB448_2342 Depth=1
	s_or_b32 exec_lo, exec_lo, s13
	v_lshlrev_b32_e32 v12, 16, v12
	s_delay_alu instid0(VALU_DEP_1) | instskip(NEXT) | instid1(VALU_DEP_1)
	v_mul_f32_e32 v12, v147, v12
	v_and_b32_e32 v51, 0x7f800000, v12
	s_delay_alu instid0(VALU_DEP_1) | instskip(NEXT) | instid1(VALU_DEP_1)
	v_cmp_ne_u32_e64 s0, 0x7f800000, v51
                                        ; implicit-def: $vgpr51
	s_and_saveexec_b32 s13, s0
	s_delay_alu instid0(SALU_CYCLE_1)
	s_xor_b32 s0, exec_lo, s13
; %bb.5354:                             ;   in Loop: Header=BB448_2342 Depth=1
	v_bfe_u32 v51, v12, 16, 1
	s_delay_alu instid0(VALU_DEP_1)
	v_add3_u32 v51, v12, v51, 0x7fff
                                        ; implicit-def: $vgpr12
; %bb.5355:                             ;   in Loop: Header=BB448_2342 Depth=1
	s_and_not1_saveexec_b32 s13, s0
; %bb.5356:                             ;   in Loop: Header=BB448_2342 Depth=1
	v_and_b32_e32 v51, 0xffff, v12
	v_or_b32_e32 v52, 0x10000, v12
	s_delay_alu instid0(VALU_DEP_2) | instskip(NEXT) | instid1(VALU_DEP_1)
	v_cmp_eq_u32_e64 s0, 0, v51
	v_cndmask_b32_e64 v51, v52, v12, s0
; %bb.5357:                             ;   in Loop: Header=BB448_2342 Depth=1
	s_or_b32 exec_lo, exec_lo, s13
	v_lshlrev_b32_e32 v3, 16, v3
                                        ; implicit-def: $vgpr52
	s_delay_alu instid0(VALU_DEP_1) | instskip(NEXT) | instid1(VALU_DEP_1)
	v_mul_f32_e32 v3, v148, v3
	v_and_b32_e32 v12, 0x7f800000, v3
	s_delay_alu instid0(VALU_DEP_1) | instskip(NEXT) | instid1(VALU_DEP_1)
	v_cmp_ne_u32_e64 s0, 0x7f800000, v12
	s_and_saveexec_b32 s13, s0
	s_delay_alu instid0(SALU_CYCLE_1)
	s_xor_b32 s0, exec_lo, s13
; %bb.5358:                             ;   in Loop: Header=BB448_2342 Depth=1
	v_bfe_u32 v12, v3, 16, 1
	s_delay_alu instid0(VALU_DEP_1)
	v_add3_u32 v52, v3, v12, 0x7fff
                                        ; implicit-def: $vgpr3
; %bb.5359:                             ;   in Loop: Header=BB448_2342 Depth=1
	s_and_not1_saveexec_b32 s13, s0
; %bb.5360:                             ;   in Loop: Header=BB448_2342 Depth=1
	v_and_b32_e32 v12, 0xffff, v3
	v_or_b32_e32 v52, 0x10000, v3
	s_delay_alu instid0(VALU_DEP_2) | instskip(NEXT) | instid1(VALU_DEP_1)
	v_cmp_eq_u32_e64 s0, 0, v12
	v_cndmask_b32_e64 v52, v52, v3, s0
; %bb.5361:                             ;   in Loop: Header=BB448_2342 Depth=1
	s_or_b32 exec_lo, exec_lo, s13
	v_lshlrev_b32_e32 v2, 16, v2
                                        ; implicit-def: $vgpr53
	s_delay_alu instid0(VALU_DEP_1) | instskip(NEXT) | instid1(VALU_DEP_1)
	v_mul_f32_e32 v2, v149, v2
	v_and_b32_e32 v3, 0x7f800000, v2
	s_delay_alu instid0(VALU_DEP_1) | instskip(NEXT) | instid1(VALU_DEP_1)
	v_cmp_ne_u32_e64 s0, 0x7f800000, v3
	s_and_saveexec_b32 s13, s0
	s_delay_alu instid0(SALU_CYCLE_1)
	s_xor_b32 s0, exec_lo, s13
; %bb.5362:                             ;   in Loop: Header=BB448_2342 Depth=1
	v_bfe_u32 v3, v2, 16, 1
	s_delay_alu instid0(VALU_DEP_1)
	v_add3_u32 v53, v2, v3, 0x7fff
                                        ; implicit-def: $vgpr2
; %bb.5363:                             ;   in Loop: Header=BB448_2342 Depth=1
	s_and_not1_saveexec_b32 s13, s0
; %bb.5364:                             ;   in Loop: Header=BB448_2342 Depth=1
	v_and_b32_e32 v3, 0xffff, v2
	v_or_b32_e32 v12, 0x10000, v2
	s_delay_alu instid0(VALU_DEP_2) | instskip(NEXT) | instid1(VALU_DEP_1)
	v_cmp_eq_u32_e64 s0, 0, v3
	v_cndmask_b32_e64 v53, v12, v2, s0
; %bb.5365:                             ;   in Loop: Header=BB448_2342 Depth=1
	s_or_b32 exec_lo, exec_lo, s13
	scratch_load_b32 v2, off, s32 offset:640 ; 4-byte Folded Reload
	s_mov_b32 s13, exec_lo
	s_waitcnt vmcnt(0)
	v_add_co_u32 v0, s0, v0, v2
	s_delay_alu instid0(VALU_DEP_1) | instskip(SKIP_4) | instid1(VALU_DEP_1)
	v_add_co_ci_u32_e64 v1, s0, 0, v1, s0
	v_mov_b32_e32 v2, 0
	flat_load_b64 v[0:1], v[0:1]
	s_waitcnt vmcnt(0) lgkmcnt(0)
	v_and_b32_e32 v3, 0xff, v0
	v_cmpx_ne_u16_e32 0, v3
	s_cbranch_execz .LBB448_5373
; %bb.5366:                             ;   in Loop: Header=BB448_2342 Depth=1
	v_bfrev_b32_e32 v2, 1
	s_mov_b32 s15, exec_lo
	v_cmpx_ne_u16_e32 0x80, v3
	s_cbranch_execz .LBB448_5372
; %bb.5367:                             ;   in Loop: Header=BB448_2342 Depth=1
	v_and_b32_e32 v3, 0x7f, v0
	v_mov_b32_e32 v2, 0x7f800001
	s_mov_b32 s16, exec_lo
	s_delay_alu instid0(VALU_DEP_2)
	v_cmpx_ne_u32_e32 0x7f, v3
	s_cbranch_execz .LBB448_5371
; %bb.5368:                             ;   in Loop: Header=BB448_2342 Depth=1
	v_lshrrev_b32_e32 v12, 3, v3
	v_cmp_gt_u32_e64 s0, 8, v3
	v_dual_mov_b32 v3, v1 :: v_dual_mov_b32 v2, v0
	s_delay_alu instid0(VALU_DEP_2)
	s_and_saveexec_b32 s17, s0
; %bb.5369:                             ;   in Loop: Header=BB448_2342 Depth=1
	v_and_b32_e32 v2, 7, v0
	s_delay_alu instid0(VALU_DEP_1) | instskip(NEXT) | instid1(VALU_DEP_1)
	v_clz_i32_u32_e32 v2, v2
	v_min_u32_e32 v12, 32, v2
	s_delay_alu instid0(VALU_DEP_1) | instskip(SKIP_1) | instid1(VALU_DEP_2)
	v_subrev_nc_u32_e32 v2, 28, v12
	v_sub_nc_u32_e32 v12, 29, v12
	v_lshlrev_b64 v[2:3], v2, v[0:1]
; %bb.5370:                             ;   in Loop: Header=BB448_2342 Depth=1
	s_or_b32 exec_lo, exec_lo, s17
	s_delay_alu instid0(VALU_DEP_1) | instskip(SKIP_2) | instid1(VALU_DEP_3)
	v_lshlrev_b32_e32 v2, 20, v2
	v_lshlrev_b32_e32 v3, 24, v0
	v_lshl_add_u32 v12, v12, 23, 0x3c000000
	v_and_b32_e32 v2, 0x700000, v2
	s_delay_alu instid0(VALU_DEP_3) | instskip(NEXT) | instid1(VALU_DEP_1)
	v_and_b32_e32 v3, 0x80000000, v3
	v_or3_b32 v2, v2, v3, v12
.LBB448_5371:                           ;   in Loop: Header=BB448_2342 Depth=1
	s_or_b32 exec_lo, exec_lo, s16
.LBB448_5372:                           ;   in Loop: Header=BB448_2342 Depth=1
	s_delay_alu instid0(SALU_CYCLE_1)
	s_or_b32 exec_lo, exec_lo, s15
.LBB448_5373:                           ;   in Loop: Header=BB448_2342 Depth=1
	s_delay_alu instid0(SALU_CYCLE_1) | instskip(NEXT) | instid1(VALU_DEP_1)
	s_or_b32 exec_lo, exec_lo, s13
	v_mul_f32_e32 v2, v118, v2
                                        ; implicit-def: $vgpr54
	s_delay_alu instid0(VALU_DEP_1) | instskip(NEXT) | instid1(VALU_DEP_1)
	v_and_b32_e32 v3, 0x7f800000, v2
	v_cmp_ne_u32_e64 s0, 0x7f800000, v3
	s_delay_alu instid0(VALU_DEP_1) | instskip(NEXT) | instid1(SALU_CYCLE_1)
	s_and_saveexec_b32 s13, s0
	s_xor_b32 s0, exec_lo, s13
; %bb.5374:                             ;   in Loop: Header=BB448_2342 Depth=1
	v_bfe_u32 v3, v2, 16, 1
	s_delay_alu instid0(VALU_DEP_1)
	v_add3_u32 v54, v2, v3, 0x7fff
                                        ; implicit-def: $vgpr2
; %bb.5375:                             ;   in Loop: Header=BB448_2342 Depth=1
	s_and_not1_saveexec_b32 s13, s0
; %bb.5376:                             ;   in Loop: Header=BB448_2342 Depth=1
	v_and_b32_e32 v3, 0xffff, v2
	v_or_b32_e32 v12, 0x10000, v2
	s_delay_alu instid0(VALU_DEP_2) | instskip(NEXT) | instid1(VALU_DEP_1)
	v_cmp_eq_u32_e64 s0, 0, v3
	v_cndmask_b32_e64 v54, v12, v2, s0
; %bb.5377:                             ;   in Loop: Header=BB448_2342 Depth=1
	s_or_b32 exec_lo, exec_lo, s13
	v_lshrrev_b16 v3, 8, v0
	v_mov_b32_e32 v2, 0
	s_mov_b32 s13, exec_lo
	s_delay_alu instid0(VALU_DEP_2)
	v_cmpx_ne_u16_e32 0, v3
	s_cbranch_execz .LBB448_5385
; %bb.5378:                             ;   in Loop: Header=BB448_2342 Depth=1
	v_bfrev_b32_e32 v2, 1
	s_mov_b32 s15, exec_lo
	v_cmpx_ne_u16_e32 0x80, v3
	s_cbranch_execz .LBB448_5384
; %bb.5379:                             ;   in Loop: Header=BB448_2342 Depth=1
	v_and_b32_e32 v3, 0xffff, v3
	v_mov_b32_e32 v2, 0x7f800001
	s_mov_b32 s16, exec_lo
	s_delay_alu instid0(VALU_DEP_2) | instskip(NEXT) | instid1(VALU_DEP_1)
	v_and_b32_e32 v55, 0x7f, v3
	v_cmpx_ne_u32_e32 0x7f, v55
	s_cbranch_execz .LBB448_5383
; %bb.5380:                             ;   in Loop: Header=BB448_2342 Depth=1
	v_and_b32_e32 v12, 7, v3
	s_mov_b32 s17, exec_lo
	s_delay_alu instid0(VALU_DEP_1)
	v_dual_mov_b32 v2, v12 :: v_dual_mov_b32 v3, v13
	v_lshrrev_b32_e32 v3, 3, v55
	v_cmpx_gt_u32_e32 8, v55
; %bb.5381:                             ;   in Loop: Header=BB448_2342 Depth=1
	v_clz_i32_u32_e32 v2, v12
	s_delay_alu instid0(VALU_DEP_1) | instskip(NEXT) | instid1(VALU_DEP_1)
	v_min_u32_e32 v55, 32, v2
	v_subrev_nc_u32_e32 v2, 28, v55
	s_delay_alu instid0(VALU_DEP_1) | instskip(SKIP_1) | instid1(VALU_DEP_2)
	v_lshlrev_b64 v[2:3], v2, v[12:13]
	v_sub_nc_u32_e32 v3, 29, v55
	v_and_b32_e32 v2, 7, v2
; %bb.5382:                             ;   in Loop: Header=BB448_2342 Depth=1
	s_or_b32 exec_lo, exec_lo, s17
	v_lshlrev_b32_e32 v12, 16, v0
	s_delay_alu instid0(VALU_DEP_2) | instskip(SKIP_1) | instid1(VALU_DEP_3)
	v_lshlrev_b32_e32 v2, 20, v2
	v_lshl_add_u32 v3, v3, 23, 0x3c000000
	v_and_b32_e32 v12, 0x80000000, v12
	s_delay_alu instid0(VALU_DEP_1)
	v_or3_b32 v2, v2, v12, v3
.LBB448_5383:                           ;   in Loop: Header=BB448_2342 Depth=1
	s_or_b32 exec_lo, exec_lo, s16
.LBB448_5384:                           ;   in Loop: Header=BB448_2342 Depth=1
	s_delay_alu instid0(SALU_CYCLE_1)
	s_or_b32 exec_lo, exec_lo, s15
.LBB448_5385:                           ;   in Loop: Header=BB448_2342 Depth=1
	s_delay_alu instid0(SALU_CYCLE_1) | instskip(NEXT) | instid1(VALU_DEP_1)
	s_or_b32 exec_lo, exec_lo, s13
	v_mul_f32_e32 v2, v118, v2
                                        ; implicit-def: $vgpr45
	s_delay_alu instid0(VALU_DEP_1) | instskip(NEXT) | instid1(VALU_DEP_1)
	v_and_b32_e32 v3, 0x7f800000, v2
	v_cmp_ne_u32_e64 s0, 0x7f800000, v3
	s_delay_alu instid0(VALU_DEP_1) | instskip(NEXT) | instid1(SALU_CYCLE_1)
	s_and_saveexec_b32 s13, s0
	s_xor_b32 s0, exec_lo, s13
; %bb.5386:                             ;   in Loop: Header=BB448_2342 Depth=1
	v_bfe_u32 v3, v2, 16, 1
	s_delay_alu instid0(VALU_DEP_1)
	v_add3_u32 v45, v2, v3, 0x7fff
                                        ; implicit-def: $vgpr2
; %bb.5387:                             ;   in Loop: Header=BB448_2342 Depth=1
	s_and_not1_saveexec_b32 s13, s0
; %bb.5388:                             ;   in Loop: Header=BB448_2342 Depth=1
	v_and_b32_e32 v3, 0xffff, v2
	v_or_b32_e32 v12, 0x10000, v2
	s_delay_alu instid0(VALU_DEP_2) | instskip(NEXT) | instid1(VALU_DEP_1)
	v_cmp_eq_u32_e64 s0, 0, v3
	v_cndmask_b32_e64 v45, v12, v2, s0
; %bb.5389:                             ;   in Loop: Header=BB448_2342 Depth=1
	s_or_b32 exec_lo, exec_lo, s13
	v_lshrrev_b32_e32 v55, 16, v0
	s_mov_b32 s13, exec_lo
	s_delay_alu instid0(VALU_DEP_1) | instskip(NEXT) | instid1(VALU_DEP_1)
	v_dual_mov_b32 v2, 0 :: v_dual_and_b32 v3, 0xff, v55
	v_cmpx_ne_u16_e32 0, v3
	s_cbranch_execz .LBB448_5397
; %bb.5390:                             ;   in Loop: Header=BB448_2342 Depth=1
	v_bfrev_b32_e32 v2, 1
	s_mov_b32 s15, exec_lo
	v_cmpx_ne_u16_e32 0x80, v3
	s_cbranch_execz .LBB448_5396
; %bb.5391:                             ;   in Loop: Header=BB448_2342 Depth=1
	v_bfe_u32 v64, v0, 16, 7
	v_mov_b32_e32 v2, 0x7f800001
	s_mov_b32 s16, exec_lo
	s_delay_alu instid0(VALU_DEP_2)
	v_cmpx_ne_u32_e32 0x7f, v64
	s_cbranch_execz .LBB448_5395
; %bb.5392:                             ;   in Loop: Header=BB448_2342 Depth=1
	v_and_b32_e32 v12, 7, v55
	s_mov_b32 s17, exec_lo
	s_delay_alu instid0(VALU_DEP_1)
	v_dual_mov_b32 v2, v12 :: v_dual_mov_b32 v3, v13
	v_lshrrev_b32_e32 v3, 3, v64
	v_cmpx_gt_u32_e32 8, v64
; %bb.5393:                             ;   in Loop: Header=BB448_2342 Depth=1
	v_clz_i32_u32_e32 v2, v12
	s_delay_alu instid0(VALU_DEP_1) | instskip(NEXT) | instid1(VALU_DEP_1)
	v_min_u32_e32 v64, 32, v2
	v_subrev_nc_u32_e32 v2, 28, v64
	s_delay_alu instid0(VALU_DEP_1) | instskip(SKIP_1) | instid1(VALU_DEP_2)
	v_lshlrev_b64 v[2:3], v2, v[12:13]
	v_sub_nc_u32_e32 v3, 29, v64
	v_and_b32_e32 v2, 7, v2
; %bb.5394:                             ;   in Loop: Header=BB448_2342 Depth=1
	s_or_b32 exec_lo, exec_lo, s17
	v_lshlrev_b32_e32 v12, 24, v55
	s_delay_alu instid0(VALU_DEP_2) | instskip(SKIP_1) | instid1(VALU_DEP_3)
	v_lshlrev_b32_e32 v2, 20, v2
	v_lshl_add_u32 v3, v3, 23, 0x3c000000
	v_and_b32_e32 v12, 0x80000000, v12
	s_delay_alu instid0(VALU_DEP_1)
	v_or3_b32 v2, v2, v12, v3
.LBB448_5395:                           ;   in Loop: Header=BB448_2342 Depth=1
	s_or_b32 exec_lo, exec_lo, s16
.LBB448_5396:                           ;   in Loop: Header=BB448_2342 Depth=1
	s_delay_alu instid0(SALU_CYCLE_1)
	s_or_b32 exec_lo, exec_lo, s15
.LBB448_5397:                           ;   in Loop: Header=BB448_2342 Depth=1
	s_delay_alu instid0(SALU_CYCLE_1) | instskip(NEXT) | instid1(VALU_DEP_1)
	s_or_b32 exec_lo, exec_lo, s13
	v_mul_f32_e32 v2, v118, v2
                                        ; implicit-def: $vgpr55
	s_delay_alu instid0(VALU_DEP_1) | instskip(NEXT) | instid1(VALU_DEP_1)
	v_and_b32_e32 v3, 0x7f800000, v2
	v_cmp_ne_u32_e64 s0, 0x7f800000, v3
	s_delay_alu instid0(VALU_DEP_1) | instskip(NEXT) | instid1(SALU_CYCLE_1)
	s_and_saveexec_b32 s13, s0
	s_xor_b32 s0, exec_lo, s13
; %bb.5398:                             ;   in Loop: Header=BB448_2342 Depth=1
	v_bfe_u32 v3, v2, 16, 1
	s_delay_alu instid0(VALU_DEP_1)
	v_add3_u32 v55, v2, v3, 0x7fff
                                        ; implicit-def: $vgpr2
; %bb.5399:                             ;   in Loop: Header=BB448_2342 Depth=1
	s_and_not1_saveexec_b32 s13, s0
; %bb.5400:                             ;   in Loop: Header=BB448_2342 Depth=1
	v_and_b32_e32 v3, 0xffff, v2
	v_or_b32_e32 v12, 0x10000, v2
	s_delay_alu instid0(VALU_DEP_2) | instskip(NEXT) | instid1(VALU_DEP_1)
	v_cmp_eq_u32_e64 s0, 0, v3
	v_cndmask_b32_e64 v55, v12, v2, s0
; %bb.5401:                             ;   in Loop: Header=BB448_2342 Depth=1
	s_or_b32 exec_lo, exec_lo, s13
	v_mov_b32_e32 v2, 0
	s_mov_b32 s13, exec_lo
	v_cmpx_lt_u32_e32 0xffffff, v0
	s_cbranch_execz .LBB448_5409
; %bb.5402:                             ;   in Loop: Header=BB448_2342 Depth=1
	v_lshrrev_b32_e32 v64, 24, v0
	v_bfrev_b32_e32 v2, 1
	s_mov_b32 s15, exec_lo
	s_delay_alu instid0(VALU_DEP_2)
	v_cmpx_ne_u32_e32 0x80, v64
	s_cbranch_execz .LBB448_5408
; %bb.5403:                             ;   in Loop: Header=BB448_2342 Depth=1
	v_bfe_u32 v65, v0, 24, 7
	v_mov_b32_e32 v2, 0x7f800001
	s_mov_b32 s16, exec_lo
	s_delay_alu instid0(VALU_DEP_2)
	v_cmpx_ne_u32_e32 0x7f, v65
	s_cbranch_execz .LBB448_5407
; %bb.5404:                             ;   in Loop: Header=BB448_2342 Depth=1
	v_and_b32_e32 v12, 7, v64
	s_mov_b32 s17, exec_lo
	s_delay_alu instid0(VALU_DEP_1)
	v_dual_mov_b32 v2, v12 :: v_dual_mov_b32 v3, v13
	v_lshrrev_b32_e32 v3, 3, v65
	v_cmpx_gt_u32_e32 8, v65
; %bb.5405:                             ;   in Loop: Header=BB448_2342 Depth=1
	v_clz_i32_u32_e32 v2, v12
	s_delay_alu instid0(VALU_DEP_1) | instskip(NEXT) | instid1(VALU_DEP_1)
	v_min_u32_e32 v65, 32, v2
	v_subrev_nc_u32_e32 v2, 28, v65
	s_delay_alu instid0(VALU_DEP_1) | instskip(SKIP_1) | instid1(VALU_DEP_2)
	v_lshlrev_b64 v[2:3], v2, v[12:13]
	v_sub_nc_u32_e32 v3, 29, v65
	v_and_b32_e32 v2, 7, v2
; %bb.5406:                             ;   in Loop: Header=BB448_2342 Depth=1
	s_or_b32 exec_lo, exec_lo, s17
	v_lshlrev_b32_e32 v12, 24, v64
	s_delay_alu instid0(VALU_DEP_2) | instskip(SKIP_1) | instid1(VALU_DEP_3)
	v_lshlrev_b32_e32 v2, 20, v2
	v_lshl_add_u32 v3, v3, 23, 0x3c000000
	v_and_b32_e32 v12, 0x80000000, v12
	s_delay_alu instid0(VALU_DEP_1)
	v_or3_b32 v2, v2, v12, v3
.LBB448_5407:                           ;   in Loop: Header=BB448_2342 Depth=1
	s_or_b32 exec_lo, exec_lo, s16
.LBB448_5408:                           ;   in Loop: Header=BB448_2342 Depth=1
	s_delay_alu instid0(SALU_CYCLE_1)
	s_or_b32 exec_lo, exec_lo, s15
.LBB448_5409:                           ;   in Loop: Header=BB448_2342 Depth=1
	s_delay_alu instid0(SALU_CYCLE_1) | instskip(NEXT) | instid1(VALU_DEP_1)
	s_or_b32 exec_lo, exec_lo, s13
	v_mul_f32_e32 v2, v118, v2
                                        ; implicit-def: $vgpr64
	s_delay_alu instid0(VALU_DEP_1) | instskip(NEXT) | instid1(VALU_DEP_1)
	v_and_b32_e32 v3, 0x7f800000, v2
	v_cmp_ne_u32_e64 s0, 0x7f800000, v3
	s_delay_alu instid0(VALU_DEP_1) | instskip(NEXT) | instid1(SALU_CYCLE_1)
	s_and_saveexec_b32 s13, s0
	s_xor_b32 s0, exec_lo, s13
; %bb.5410:                             ;   in Loop: Header=BB448_2342 Depth=1
	v_bfe_u32 v3, v2, 16, 1
	s_delay_alu instid0(VALU_DEP_1)
	v_add3_u32 v64, v2, v3, 0x7fff
                                        ; implicit-def: $vgpr2
; %bb.5411:                             ;   in Loop: Header=BB448_2342 Depth=1
	s_and_not1_saveexec_b32 s13, s0
; %bb.5412:                             ;   in Loop: Header=BB448_2342 Depth=1
	v_and_b32_e32 v3, 0xffff, v2
	v_or_b32_e32 v12, 0x10000, v2
	s_delay_alu instid0(VALU_DEP_2) | instskip(NEXT) | instid1(VALU_DEP_1)
	v_cmp_eq_u32_e64 s0, 0, v3
	v_cndmask_b32_e64 v64, v12, v2, s0
; %bb.5413:                             ;   in Loop: Header=BB448_2342 Depth=1
	s_or_b32 exec_lo, exec_lo, s13
	v_dual_mov_b32 v12, v1 :: v_dual_and_b32 v3, 0xff, v1
	v_mov_b32_e32 v2, 0
	s_mov_b32 s13, exec_lo
	s_delay_alu instid0(VALU_DEP_2)
	v_cmpx_ne_u16_e32 0, v3
	s_cbranch_execz .LBB448_5421
; %bb.5414:                             ;   in Loop: Header=BB448_2342 Depth=1
	v_bfrev_b32_e32 v2, 1
	s_mov_b32 s15, exec_lo
	v_cmpx_ne_u16_e32 0x80, v3
	s_cbranch_execz .LBB448_5420
; %bb.5415:                             ;   in Loop: Header=BB448_2342 Depth=1
	v_and_b32_e32 v65, 0x7f, v1
	v_mov_b32_e32 v2, 0x7f800001
	s_mov_b32 s16, exec_lo
	s_delay_alu instid0(VALU_DEP_2)
	v_cmpx_ne_u32_e32 0x7f, v65
	s_cbranch_execz .LBB448_5419
; %bb.5416:                             ;   in Loop: Header=BB448_2342 Depth=1
	v_dual_mov_b32 v2, v12 :: v_dual_mov_b32 v3, v13
	v_lshrrev_b32_e32 v3, 3, v65
	s_mov_b32 s17, exec_lo
	v_cmpx_gt_u32_e32 8, v65
; %bb.5417:                             ;   in Loop: Header=BB448_2342 Depth=1
	v_and_b32_e32 v2, 7, v1
	s_delay_alu instid0(VALU_DEP_1) | instskip(NEXT) | instid1(VALU_DEP_1)
	v_clz_i32_u32_e32 v2, v2
	v_min_u32_e32 v65, 32, v2
	s_delay_alu instid0(VALU_DEP_1) | instskip(NEXT) | instid1(VALU_DEP_1)
	v_subrev_nc_u32_e32 v2, 28, v65
	v_lshlrev_b64 v[2:3], v2, v[12:13]
	v_sub_nc_u32_e32 v3, 29, v65
; %bb.5418:                             ;   in Loop: Header=BB448_2342 Depth=1
	s_or_b32 exec_lo, exec_lo, s17
	s_delay_alu instid0(VALU_DEP_2) | instskip(SKIP_1) | instid1(VALU_DEP_3)
	v_lshlrev_b32_e32 v2, 20, v2
	v_lshlrev_b32_e32 v65, 24, v12
	v_lshl_add_u32 v3, v3, 23, 0x3c000000
	s_delay_alu instid0(VALU_DEP_3) | instskip(NEXT) | instid1(VALU_DEP_3)
	v_and_b32_e32 v2, 0x700000, v2
	v_and_b32_e32 v65, 0x80000000, v65
	s_delay_alu instid0(VALU_DEP_1)
	v_or3_b32 v2, v2, v65, v3
.LBB448_5419:                           ;   in Loop: Header=BB448_2342 Depth=1
	s_or_b32 exec_lo, exec_lo, s16
.LBB448_5420:                           ;   in Loop: Header=BB448_2342 Depth=1
	s_delay_alu instid0(SALU_CYCLE_1)
	s_or_b32 exec_lo, exec_lo, s15
.LBB448_5421:                           ;   in Loop: Header=BB448_2342 Depth=1
	s_delay_alu instid0(SALU_CYCLE_1) | instskip(NEXT) | instid1(VALU_DEP_1)
	s_or_b32 exec_lo, exec_lo, s13
	v_mul_f32_e32 v2, v118, v2
                                        ; implicit-def: $vgpr65
	s_delay_alu instid0(VALU_DEP_1) | instskip(NEXT) | instid1(VALU_DEP_1)
	v_and_b32_e32 v3, 0x7f800000, v2
	v_cmp_ne_u32_e64 s0, 0x7f800000, v3
	s_delay_alu instid0(VALU_DEP_1) | instskip(NEXT) | instid1(SALU_CYCLE_1)
	s_and_saveexec_b32 s13, s0
	s_xor_b32 s0, exec_lo, s13
; %bb.5422:                             ;   in Loop: Header=BB448_2342 Depth=1
	v_bfe_u32 v3, v2, 16, 1
	s_delay_alu instid0(VALU_DEP_1)
	v_add3_u32 v65, v2, v3, 0x7fff
                                        ; implicit-def: $vgpr2
; %bb.5423:                             ;   in Loop: Header=BB448_2342 Depth=1
	s_and_not1_saveexec_b32 s13, s0
; %bb.5424:                             ;   in Loop: Header=BB448_2342 Depth=1
	v_and_b32_e32 v3, 0xffff, v2
	v_or_b32_e32 v65, 0x10000, v2
	s_delay_alu instid0(VALU_DEP_2) | instskip(NEXT) | instid1(VALU_DEP_1)
	v_cmp_eq_u32_e64 s0, 0, v3
	v_cndmask_b32_e64 v65, v65, v2, s0
; %bb.5425:                             ;   in Loop: Header=BB448_2342 Depth=1
	s_or_b32 exec_lo, exec_lo, s13
	v_lshrrev_b16 v3, 8, v12
	v_mov_b32_e32 v2, 0
	s_mov_b32 s13, exec_lo
	s_delay_alu instid0(VALU_DEP_2)
	v_cmpx_ne_u16_e32 0, v3
	s_cbranch_execz .LBB448_5433
; %bb.5426:                             ;   in Loop: Header=BB448_2342 Depth=1
	v_bfrev_b32_e32 v2, 1
	s_mov_b32 s15, exec_lo
	v_cmpx_ne_u16_e32 0x80, v3
	s_cbranch_execz .LBB448_5432
; %bb.5427:                             ;   in Loop: Header=BB448_2342 Depth=1
	v_and_b32_e32 v3, 0xffff, v3
	v_mov_b32_e32 v2, 0x7f800001
	s_mov_b32 s16, exec_lo
	s_delay_alu instid0(VALU_DEP_2) | instskip(NEXT) | instid1(VALU_DEP_1)
	v_and_b32_e32 v67, 0x7f, v3
	v_cmpx_ne_u32_e32 0x7f, v67
	s_cbranch_execz .LBB448_5431
; %bb.5428:                             ;   in Loop: Header=BB448_2342 Depth=1
	v_dual_mov_b32 v3, v13 :: v_dual_and_b32 v2, 7, v3
	v_lshrrev_b32_e32 v66, 3, v67
	s_mov_b32 s17, exec_lo
	v_cmpx_gt_u32_e32 8, v67
; %bb.5429:                             ;   in Loop: Header=BB448_2342 Depth=1
	s_delay_alu instid0(VALU_DEP_3) | instskip(NEXT) | instid1(VALU_DEP_1)
	v_clz_i32_u32_e32 v66, v2
	v_min_u32_e32 v66, 32, v66
	s_delay_alu instid0(VALU_DEP_1) | instskip(SKIP_1) | instid1(VALU_DEP_2)
	v_subrev_nc_u32_e32 v67, 28, v66
	v_sub_nc_u32_e32 v66, 29, v66
	v_lshlrev_b64 v[2:3], v67, v[2:3]
	s_delay_alu instid0(VALU_DEP_1)
	v_and_b32_e32 v2, 7, v2
; %bb.5430:                             ;   in Loop: Header=BB448_2342 Depth=1
	s_or_b32 exec_lo, exec_lo, s17
	v_lshlrev_b32_e32 v3, 16, v12
	s_delay_alu instid0(VALU_DEP_2) | instskip(SKIP_1) | instid1(VALU_DEP_3)
	v_lshlrev_b32_e32 v2, 20, v2
	v_lshl_add_u32 v12, v66, 23, 0x3c000000
	v_and_b32_e32 v3, 0x80000000, v3
	s_delay_alu instid0(VALU_DEP_1)
	v_or3_b32 v2, v2, v3, v12
.LBB448_5431:                           ;   in Loop: Header=BB448_2342 Depth=1
	s_or_b32 exec_lo, exec_lo, s16
.LBB448_5432:                           ;   in Loop: Header=BB448_2342 Depth=1
	s_delay_alu instid0(SALU_CYCLE_1)
	s_or_b32 exec_lo, exec_lo, s15
.LBB448_5433:                           ;   in Loop: Header=BB448_2342 Depth=1
	s_delay_alu instid0(SALU_CYCLE_1) | instskip(NEXT) | instid1(VALU_DEP_1)
	s_or_b32 exec_lo, exec_lo, s13
	v_mul_f32_e32 v2, v118, v2
                                        ; implicit-def: $vgpr66
	s_delay_alu instid0(VALU_DEP_1) | instskip(NEXT) | instid1(VALU_DEP_1)
	v_and_b32_e32 v3, 0x7f800000, v2
	v_cmp_ne_u32_e64 s0, 0x7f800000, v3
	s_delay_alu instid0(VALU_DEP_1) | instskip(NEXT) | instid1(SALU_CYCLE_1)
	s_and_saveexec_b32 s13, s0
	s_xor_b32 s0, exec_lo, s13
; %bb.5434:                             ;   in Loop: Header=BB448_2342 Depth=1
	v_bfe_u32 v3, v2, 16, 1
	s_delay_alu instid0(VALU_DEP_1)
	v_add3_u32 v66, v2, v3, 0x7fff
                                        ; implicit-def: $vgpr2
; %bb.5435:                             ;   in Loop: Header=BB448_2342 Depth=1
	s_and_not1_saveexec_b32 s13, s0
; %bb.5436:                             ;   in Loop: Header=BB448_2342 Depth=1
	v_and_b32_e32 v3, 0xffff, v2
	v_or_b32_e32 v12, 0x10000, v2
	s_delay_alu instid0(VALU_DEP_2) | instskip(NEXT) | instid1(VALU_DEP_1)
	v_cmp_eq_u32_e64 s0, 0, v3
	v_cndmask_b32_e64 v66, v12, v2, s0
; %bb.5437:                             ;   in Loop: Header=BB448_2342 Depth=1
	s_or_b32 exec_lo, exec_lo, s13
	v_lshrrev_b32_e32 v67, 16, v1
	s_mov_b32 s13, exec_lo
	s_delay_alu instid0(VALU_DEP_1) | instskip(NEXT) | instid1(VALU_DEP_1)
	v_dual_mov_b32 v2, 0 :: v_dual_and_b32 v3, 0xff, v67
	v_cmpx_ne_u16_e32 0, v3
	s_cbranch_execz .LBB448_5445
; %bb.5438:                             ;   in Loop: Header=BB448_2342 Depth=1
	v_bfrev_b32_e32 v2, 1
	s_mov_b32 s15, exec_lo
	v_cmpx_ne_u16_e32 0x80, v3
	s_cbranch_execz .LBB448_5444
; %bb.5439:                             ;   in Loop: Header=BB448_2342 Depth=1
	v_bfe_u32 v68, v1, 16, 7
	v_mov_b32_e32 v2, 0x7f800001
	s_mov_b32 s16, exec_lo
	s_delay_alu instid0(VALU_DEP_2)
	v_cmpx_ne_u32_e32 0x7f, v68
	s_cbranch_execz .LBB448_5443
; %bb.5440:                             ;   in Loop: Header=BB448_2342 Depth=1
	v_and_b32_e32 v12, 7, v67
	s_mov_b32 s17, exec_lo
	s_delay_alu instid0(VALU_DEP_1)
	v_dual_mov_b32 v2, v12 :: v_dual_mov_b32 v3, v13
	v_lshrrev_b32_e32 v3, 3, v68
	v_cmpx_gt_u32_e32 8, v68
; %bb.5441:                             ;   in Loop: Header=BB448_2342 Depth=1
	v_clz_i32_u32_e32 v2, v12
	s_delay_alu instid0(VALU_DEP_1) | instskip(NEXT) | instid1(VALU_DEP_1)
	v_min_u32_e32 v68, 32, v2
	v_subrev_nc_u32_e32 v2, 28, v68
	s_delay_alu instid0(VALU_DEP_1) | instskip(SKIP_1) | instid1(VALU_DEP_2)
	v_lshlrev_b64 v[2:3], v2, v[12:13]
	v_sub_nc_u32_e32 v3, 29, v68
	v_and_b32_e32 v2, 7, v2
; %bb.5442:                             ;   in Loop: Header=BB448_2342 Depth=1
	s_or_b32 exec_lo, exec_lo, s17
	v_lshlrev_b32_e32 v12, 24, v67
	s_delay_alu instid0(VALU_DEP_2) | instskip(SKIP_1) | instid1(VALU_DEP_3)
	v_lshlrev_b32_e32 v2, 20, v2
	v_lshl_add_u32 v3, v3, 23, 0x3c000000
	v_and_b32_e32 v12, 0x80000000, v12
	s_delay_alu instid0(VALU_DEP_1)
	v_or3_b32 v2, v2, v12, v3
.LBB448_5443:                           ;   in Loop: Header=BB448_2342 Depth=1
	s_or_b32 exec_lo, exec_lo, s16
.LBB448_5444:                           ;   in Loop: Header=BB448_2342 Depth=1
	s_delay_alu instid0(SALU_CYCLE_1)
	s_or_b32 exec_lo, exec_lo, s15
.LBB448_5445:                           ;   in Loop: Header=BB448_2342 Depth=1
	s_delay_alu instid0(SALU_CYCLE_1) | instskip(NEXT) | instid1(VALU_DEP_1)
	s_or_b32 exec_lo, exec_lo, s13
	v_mul_f32_e32 v3, v118, v2
	s_delay_alu instid0(VALU_DEP_1) | instskip(NEXT) | instid1(VALU_DEP_1)
	v_and_b32_e32 v2, 0x7f800000, v3
	v_cmp_ne_u32_e64 s0, 0x7f800000, v2
                                        ; implicit-def: $vgpr2
	s_delay_alu instid0(VALU_DEP_1) | instskip(NEXT) | instid1(SALU_CYCLE_1)
	s_and_saveexec_b32 s13, s0
	s_xor_b32 s0, exec_lo, s13
; %bb.5446:                             ;   in Loop: Header=BB448_2342 Depth=1
	v_bfe_u32 v2, v3, 16, 1
	s_delay_alu instid0(VALU_DEP_1)
	v_add3_u32 v2, v3, v2, 0x7fff
                                        ; implicit-def: $vgpr3
; %bb.5447:                             ;   in Loop: Header=BB448_2342 Depth=1
	s_and_not1_saveexec_b32 s13, s0
; %bb.5448:                             ;   in Loop: Header=BB448_2342 Depth=1
	v_and_b32_e32 v2, 0xffff, v3
	v_or_b32_e32 v12, 0x10000, v3
	s_delay_alu instid0(VALU_DEP_2) | instskip(NEXT) | instid1(VALU_DEP_1)
	v_cmp_eq_u32_e64 s0, 0, v2
	v_cndmask_b32_e64 v2, v12, v3, s0
; %bb.5449:                             ;   in Loop: Header=BB448_2342 Depth=1
	s_or_b32 exec_lo, exec_lo, s13
	v_cmp_lt_u64_e64 s0, s[8:9], v[0:1]
	v_mov_b32_e32 v0, 0
	s_delay_alu instid0(VALU_DEP_2)
	s_and_saveexec_b32 s13, s0
	s_cbranch_execz .LBB448_5457
; %bb.5450:                             ;   in Loop: Header=BB448_2342 Depth=1
	v_lshrrev_b32_e32 v3, 24, v1
	v_bfrev_b32_e32 v0, 1
	s_mov_b32 s15, exec_lo
	s_delay_alu instid0(VALU_DEP_2)
	v_cmpx_ne_u32_e32 0x80, v3
	s_cbranch_execz .LBB448_5456
; %bb.5451:                             ;   in Loop: Header=BB448_2342 Depth=1
	v_bfe_u32 v67, v1, 24, 7
	v_mov_b32_e32 v0, 0x7f800001
	s_mov_b32 s16, exec_lo
	s_delay_alu instid0(VALU_DEP_2)
	v_cmpx_ne_u32_e32 0x7f, v67
	s_cbranch_execz .LBB448_5455
; %bb.5452:                             ;   in Loop: Header=BB448_2342 Depth=1
	v_and_b32_e32 v12, 7, v3
	s_mov_b32 s17, exec_lo
	s_delay_alu instid0(VALU_DEP_1)
	v_dual_mov_b32 v0, v12 :: v_dual_mov_b32 v1, v13
	v_lshrrev_b32_e32 v1, 3, v67
	v_cmpx_gt_u32_e32 8, v67
; %bb.5453:                             ;   in Loop: Header=BB448_2342 Depth=1
	v_clz_i32_u32_e32 v0, v12
	s_delay_alu instid0(VALU_DEP_1) | instskip(NEXT) | instid1(VALU_DEP_1)
	v_min_u32_e32 v67, 32, v0
	v_subrev_nc_u32_e32 v0, 28, v67
	s_delay_alu instid0(VALU_DEP_1) | instskip(SKIP_1) | instid1(VALU_DEP_2)
	v_lshlrev_b64 v[0:1], v0, v[12:13]
	v_sub_nc_u32_e32 v1, 29, v67
	v_and_b32_e32 v0, 7, v0
; %bb.5454:                             ;   in Loop: Header=BB448_2342 Depth=1
	s_or_b32 exec_lo, exec_lo, s17
	v_lshlrev_b32_e32 v3, 24, v3
	s_delay_alu instid0(VALU_DEP_2) | instskip(SKIP_1) | instid1(VALU_DEP_3)
	v_lshlrev_b32_e32 v0, 20, v0
	v_lshl_add_u32 v1, v1, 23, 0x3c000000
	v_and_b32_e32 v3, 0x80000000, v3
	s_delay_alu instid0(VALU_DEP_1)
	v_or3_b32 v0, v0, v3, v1
.LBB448_5455:                           ;   in Loop: Header=BB448_2342 Depth=1
	s_or_b32 exec_lo, exec_lo, s16
.LBB448_5456:                           ;   in Loop: Header=BB448_2342 Depth=1
	s_delay_alu instid0(SALU_CYCLE_1)
	s_or_b32 exec_lo, exec_lo, s15
.LBB448_5457:                           ;   in Loop: Header=BB448_2342 Depth=1
	s_delay_alu instid0(SALU_CYCLE_1) | instskip(NEXT) | instid1(VALU_DEP_1)
	s_or_b32 exec_lo, exec_lo, s13
	v_mul_f32_e32 v0, v118, v0
                                        ; implicit-def: $vgpr67
	s_delay_alu instid0(VALU_DEP_1) | instskip(NEXT) | instid1(VALU_DEP_1)
	v_and_b32_e32 v1, 0x7f800000, v0
	v_cmp_ne_u32_e64 s0, 0x7f800000, v1
	s_delay_alu instid0(VALU_DEP_1) | instskip(NEXT) | instid1(SALU_CYCLE_1)
	s_and_saveexec_b32 s13, s0
	s_xor_b32 s0, exec_lo, s13
; %bb.5458:                             ;   in Loop: Header=BB448_2342 Depth=1
	v_bfe_u32 v1, v0, 16, 1
	s_delay_alu instid0(VALU_DEP_1)
	v_add3_u32 v67, v0, v1, 0x7fff
                                        ; implicit-def: $vgpr0
; %bb.5459:                             ;   in Loop: Header=BB448_2342 Depth=1
	s_and_not1_saveexec_b32 s13, s0
; %bb.5460:                             ;   in Loop: Header=BB448_2342 Depth=1
	v_and_b32_e32 v1, 0xffff, v0
	v_or_b32_e32 v3, 0x10000, v0
	s_delay_alu instid0(VALU_DEP_2) | instskip(NEXT) | instid1(VALU_DEP_1)
	v_cmp_eq_u32_e64 s0, 0, v1
	v_cndmask_b32_e64 v67, v3, v0, s0
; %bb.5461:                             ;   in Loop: Header=BB448_2342 Depth=1
	s_or_b32 exec_lo, exec_lo, s13
	v_lshrrev_b32_e32 v66, 16, v66
	v_lshrrev_b32_e32 v12, 16, v65
	;; [unrolled: 1-line block ×8, first 2 shown]
	s_and_saveexec_b32 s0, vcc_lo
	s_cbranch_execz .LBB448_5463
; %bb.5462:                             ;   in Loop: Header=BB448_2342 Depth=1
	v_cmp_lt_i32_e32 vcc_lo, v102, v36
	v_cndmask_b32_e32 v0, 0, v0, vcc_lo
	v_cmp_lt_i32_e32 vcc_lo, v133, v36
	v_cndmask_b32_e32 v1, 0, v1, vcc_lo
	;; [unrolled: 2-line block ×8, first 2 shown]
.LBB448_5463:                           ;   in Loop: Header=BB448_2342 Depth=1
	s_or_b32 exec_lo, exec_lo, s0
	v_lshlrev_b32_e32 v0, 16, v0
	s_delay_alu instid0(VALU_DEP_1) | instskip(NEXT) | instid1(VALU_DEP_1)
	v_mul_f32_e32 v2, v134, v0
	v_and_b32_e32 v0, 0x7f800000, v2
	s_delay_alu instid0(VALU_DEP_1) | instskip(SKIP_1) | instid1(SALU_CYCLE_1)
	v_cmp_ne_u32_e32 vcc_lo, 0x7f800000, v0
                                        ; implicit-def: $vgpr0
	s_and_saveexec_b32 s0, vcc_lo
	s_xor_b32 s0, exec_lo, s0
; %bb.5464:                             ;   in Loop: Header=BB448_2342 Depth=1
	v_bfe_u32 v0, v2, 16, 1
	s_delay_alu instid0(VALU_DEP_1)
	v_add3_u32 v0, v2, v0, 0x7fff
                                        ; implicit-def: $vgpr2
; %bb.5465:                             ;   in Loop: Header=BB448_2342 Depth=1
	s_and_not1_saveexec_b32 s0, s0
; %bb.5466:                             ;   in Loop: Header=BB448_2342 Depth=1
	v_and_b32_e32 v0, 0xffff, v2
	v_or_b32_e32 v65, 0x10000, v2
	s_delay_alu instid0(VALU_DEP_2) | instskip(NEXT) | instid1(VALU_DEP_2)
	v_cmp_eq_u32_e32 vcc_lo, 0, v0
	v_cndmask_b32_e32 v0, v65, v2, vcc_lo
; %bb.5467:                             ;   in Loop: Header=BB448_2342 Depth=1
	s_or_b32 exec_lo, exec_lo, s0
	v_lshlrev_b32_e32 v1, 16, v1
	s_delay_alu instid0(VALU_DEP_1) | instskip(NEXT) | instid1(VALU_DEP_1)
	v_mul_f32_e32 v2, v135, v1
	v_and_b32_e32 v1, 0x7f800000, v2
	s_delay_alu instid0(VALU_DEP_1) | instskip(SKIP_1) | instid1(SALU_CYCLE_1)
	v_cmp_ne_u32_e32 vcc_lo, 0x7f800000, v1
                                        ; implicit-def: $vgpr1
	s_and_saveexec_b32 s0, vcc_lo
	s_xor_b32 s0, exec_lo, s0
; %bb.5468:                             ;   in Loop: Header=BB448_2342 Depth=1
	v_bfe_u32 v1, v2, 16, 1
	s_delay_alu instid0(VALU_DEP_1)
	v_add3_u32 v1, v2, v1, 0x7fff
                                        ; implicit-def: $vgpr2
; %bb.5469:                             ;   in Loop: Header=BB448_2342 Depth=1
	s_and_not1_saveexec_b32 s0, s0
; %bb.5470:                             ;   in Loop: Header=BB448_2342 Depth=1
	v_and_b32_e32 v1, 0xffff, v2
	v_or_b32_e32 v65, 0x10000, v2
	s_delay_alu instid0(VALU_DEP_2) | instskip(NEXT) | instid1(VALU_DEP_2)
	v_cmp_eq_u32_e32 vcc_lo, 0, v1
	v_cndmask_b32_e32 v1, v65, v2, vcc_lo
; %bb.5471:                             ;   in Loop: Header=BB448_2342 Depth=1
	s_or_b32 exec_lo, exec_lo, s0
	v_lshlrev_b32_e32 v2, 16, v64
	s_delay_alu instid0(VALU_DEP_1) | instskip(NEXT) | instid1(VALU_DEP_1)
	v_mul_f32_e32 v64, v144, v2
	v_and_b32_e32 v2, 0x7f800000, v64
	s_delay_alu instid0(VALU_DEP_1) | instskip(SKIP_1) | instid1(SALU_CYCLE_1)
	v_cmp_ne_u32_e32 vcc_lo, 0x7f800000, v2
                                        ; implicit-def: $vgpr2
	s_and_saveexec_b32 s0, vcc_lo
	s_xor_b32 s0, exec_lo, s0
; %bb.5472:                             ;   in Loop: Header=BB448_2342 Depth=1
	v_bfe_u32 v2, v64, 16, 1
	s_delay_alu instid0(VALU_DEP_1)
	v_add3_u32 v2, v64, v2, 0x7fff
                                        ; implicit-def: $vgpr64
; %bb.5473:                             ;   in Loop: Header=BB448_2342 Depth=1
	s_and_not1_saveexec_b32 s0, s0
; %bb.5474:                             ;   in Loop: Header=BB448_2342 Depth=1
	v_and_b32_e32 v2, 0xffff, v64
	v_or_b32_e32 v65, 0x10000, v64
	s_delay_alu instid0(VALU_DEP_2) | instskip(NEXT) | instid1(VALU_DEP_2)
	v_cmp_eq_u32_e32 vcc_lo, 0, v2
	v_cndmask_b32_e32 v2, v65, v64, vcc_lo
; %bb.5475:                             ;   in Loop: Header=BB448_2342 Depth=1
	s_or_b32 exec_lo, exec_lo, s0
	v_lshlrev_b32_e32 v3, 16, v3
	s_delay_alu instid0(VALU_DEP_1) | instskip(NEXT) | instid1(VALU_DEP_1)
	v_mul_f32_e32 v64, v145, v3
	v_and_b32_e32 v3, 0x7f800000, v64
	s_delay_alu instid0(VALU_DEP_1) | instskip(SKIP_1) | instid1(SALU_CYCLE_1)
	v_cmp_ne_u32_e32 vcc_lo, 0x7f800000, v3
                                        ; implicit-def: $vgpr3
	s_and_saveexec_b32 s0, vcc_lo
	s_xor_b32 s0, exec_lo, s0
; %bb.5476:                             ;   in Loop: Header=BB448_2342 Depth=1
	v_bfe_u32 v3, v64, 16, 1
	s_delay_alu instid0(VALU_DEP_1)
	v_add3_u32 v3, v64, v3, 0x7fff
                                        ; implicit-def: $vgpr64
; %bb.5477:                             ;   in Loop: Header=BB448_2342 Depth=1
	s_and_not1_saveexec_b32 s0, s0
; %bb.5478:                             ;   in Loop: Header=BB448_2342 Depth=1
	v_and_b32_e32 v3, 0xffff, v64
	v_or_b32_e32 v65, 0x10000, v64
	s_delay_alu instid0(VALU_DEP_2) | instskip(NEXT) | instid1(VALU_DEP_2)
	v_cmp_eq_u32_e32 vcc_lo, 0, v3
	v_cndmask_b32_e32 v3, v65, v64, vcc_lo
; %bb.5479:                             ;   in Loop: Header=BB448_2342 Depth=1
	s_or_b32 exec_lo, exec_lo, s0
	v_lshlrev_b32_e32 v12, 16, v12
	s_delay_alu instid0(VALU_DEP_1) | instskip(NEXT) | instid1(VALU_DEP_1)
	v_mul_f32_e32 v64, v146, v12
	v_and_b32_e32 v12, 0x7f800000, v64
	s_delay_alu instid0(VALU_DEP_1) | instskip(SKIP_1) | instid1(SALU_CYCLE_1)
	v_cmp_ne_u32_e32 vcc_lo, 0x7f800000, v12
                                        ; implicit-def: $vgpr12
	s_and_saveexec_b32 s0, vcc_lo
	s_xor_b32 s0, exec_lo, s0
; %bb.5480:                             ;   in Loop: Header=BB448_2342 Depth=1
	v_bfe_u32 v12, v64, 16, 1
	s_delay_alu instid0(VALU_DEP_1)
	v_add3_u32 v12, v64, v12, 0x7fff
                                        ; implicit-def: $vgpr64
; %bb.5481:                             ;   in Loop: Header=BB448_2342 Depth=1
	s_and_not1_saveexec_b32 s0, s0
; %bb.5482:                             ;   in Loop: Header=BB448_2342 Depth=1
	v_and_b32_e32 v12, 0xffff, v64
	v_or_b32_e32 v65, 0x10000, v64
	s_delay_alu instid0(VALU_DEP_2) | instskip(NEXT) | instid1(VALU_DEP_2)
	v_cmp_eq_u32_e32 vcc_lo, 0, v12
	v_cndmask_b32_e32 v12, v65, v64, vcc_lo
; %bb.5483:                             ;   in Loop: Header=BB448_2342 Depth=1
	s_or_b32 exec_lo, exec_lo, s0
	v_lshlrev_b32_e32 v64, 16, v66
	s_mov_b32 s0, exec_lo
                                        ; implicit-def: $vgpr102
	s_delay_alu instid0(VALU_DEP_1) | instskip(NEXT) | instid1(VALU_DEP_1)
	v_mul_f32_e32 v64, v147, v64
	v_and_b32_e32 v65, 0x7f800000, v64
	s_delay_alu instid0(VALU_DEP_1)
	v_cmpx_ne_u32_e32 0x7f800000, v65
	s_xor_b32 s0, exec_lo, s0
; %bb.5484:                             ;   in Loop: Header=BB448_2342 Depth=1
	v_bfe_u32 v65, v64, 16, 1
	s_delay_alu instid0(VALU_DEP_1)
	v_add3_u32 v102, v64, v65, 0x7fff
                                        ; implicit-def: $vgpr64
; %bb.5485:                             ;   in Loop: Header=BB448_2342 Depth=1
	s_and_not1_saveexec_b32 s0, s0
; %bb.5486:                             ;   in Loop: Header=BB448_2342 Depth=1
	v_and_b32_e32 v65, 0xffff, v64
	v_or_b32_e32 v66, 0x10000, v64
	s_delay_alu instid0(VALU_DEP_2) | instskip(NEXT) | instid1(VALU_DEP_2)
	v_cmp_eq_u32_e32 vcc_lo, 0, v65
	v_cndmask_b32_e32 v102, v66, v64, vcc_lo
; %bb.5487:                             ;   in Loop: Header=BB448_2342 Depth=1
	s_or_b32 exec_lo, exec_lo, s0
	v_lshlrev_b32_e32 v55, 16, v55
	s_mov_b32 s0, exec_lo
                                        ; implicit-def: $vgpr118
	s_delay_alu instid0(VALU_DEP_1) | instskip(NEXT) | instid1(VALU_DEP_1)
	v_mul_f32_e32 v55, v148, v55
	v_and_b32_e32 v64, 0x7f800000, v55
	s_delay_alu instid0(VALU_DEP_1)
	v_cmpx_ne_u32_e32 0x7f800000, v64
	s_xor_b32 s0, exec_lo, s0
; %bb.5488:                             ;   in Loop: Header=BB448_2342 Depth=1
	v_bfe_u32 v64, v55, 16, 1
	s_delay_alu instid0(VALU_DEP_1)
	v_add3_u32 v118, v55, v64, 0x7fff
                                        ; implicit-def: $vgpr55
; %bb.5489:                             ;   in Loop: Header=BB448_2342 Depth=1
	s_and_not1_saveexec_b32 s0, s0
; %bb.5490:                             ;   in Loop: Header=BB448_2342 Depth=1
	v_and_b32_e32 v64, 0xffff, v55
	v_or_b32_e32 v65, 0x10000, v55
	s_delay_alu instid0(VALU_DEP_2) | instskip(NEXT) | instid1(VALU_DEP_2)
	v_cmp_eq_u32_e32 vcc_lo, 0, v64
	v_cndmask_b32_e32 v118, v65, v55, vcc_lo
; %bb.5491:                             ;   in Loop: Header=BB448_2342 Depth=1
	s_or_b32 exec_lo, exec_lo, s0
	v_lshlrev_b32_e32 v54, 16, v54
	s_mov_b32 s0, exec_lo
                                        ; implicit-def: $vgpr119
	s_delay_alu instid0(VALU_DEP_1) | instskip(NEXT) | instid1(VALU_DEP_1)
	v_mul_f32_e32 v54, v149, v54
	v_and_b32_e32 v55, 0x7f800000, v54
	s_delay_alu instid0(VALU_DEP_1)
	v_cmpx_ne_u32_e32 0x7f800000, v55
	s_xor_b32 s0, exec_lo, s0
; %bb.5492:                             ;   in Loop: Header=BB448_2342 Depth=1
	v_bfe_u32 v55, v54, 16, 1
	s_delay_alu instid0(VALU_DEP_1)
	v_add3_u32 v119, v54, v55, 0x7fff
                                        ; implicit-def: $vgpr54
; %bb.5493:                             ;   in Loop: Header=BB448_2342 Depth=1
	s_and_not1_saveexec_b32 s0, s0
	s_cbranch_execz .LBB448_2340
; %bb.5494:                             ;   in Loop: Header=BB448_2342 Depth=1
	v_and_b32_e32 v55, 0xffff, v54
	v_or_b32_e32 v64, 0x10000, v54
	s_delay_alu instid0(VALU_DEP_2) | instskip(NEXT) | instid1(VALU_DEP_2)
	v_cmp_eq_u32_e32 vcc_lo, 0, v55
	v_cndmask_b32_e32 v119, v64, v54, vcc_lo
	s_branch .LBB448_2340
.LBB448_5495:
	s_or_b32 exec_lo, exec_lo, s10
	s_clause 0x8
	scratch_load_b32 v13, off, s32 offset:644
	scratch_load_b32 v20, off, s32 offset:648
	;; [unrolled: 1-line block ×9, first 2 shown]
.LBB448_5496:
	s_or_b32 exec_lo, exec_lo, s7
	s_clause 0x7
	scratch_load_b32 v12, off, s32 offset:396
	scratch_load_b32 v35, off, s32 offset:392
	;; [unrolled: 1-line block ×8, first 2 shown]
	s_waitcnt vmcnt(15)
	ds_bpermute_b32 v0, v20, v81
	ds_bpermute_b32 v1, v20, v80
	;; [unrolled: 1-line block ×4, first 2 shown]
	s_waitcnt vmcnt(8)
	v_dual_mov_b32 v15, v4 :: v_dual_mov_b32 v14, v5
	ds_bpermute_b32 v4, v20, v4
	ds_bpermute_b32 v5, v20, v5
	v_mov_b32_e32 v54, v13
	ds_bpermute_b32 v26, v20, v50
	ds_bpermute_b32 v27, v20, v24
	;; [unrolled: 1-line block ×4, first 2 shown]
	v_dual_mov_b32 v38, v24 :: v_dual_mov_b32 v39, v50
	ds_bpermute_b32 v30, v20, v21
	v_dual_mov_b32 v36, v22 :: v_dual_mov_b32 v37, v23
	s_waitcnt lgkmcnt(9)
	v_dual_add_f32 v0, v81, v0 :: v_dual_add_f32 v1, v80, v1
	s_waitcnt lgkmcnt(7)
	v_dual_add_f32 v2, v71, v2 :: v_dual_add_f32 v3, v70, v3
	;; [unrolled: 2-line block ×4, first 2 shown]
	s_waitcnt lgkmcnt(1)
	v_add_f32_e32 v29, v36, v29
	s_waitcnt vmcnt(7)
	ds_bpermute_b32 v6, v20, v12
	s_waitcnt vmcnt(6)
	ds_bpermute_b32 v7, v20, v35
	;; [unrolled: 2-line block ×7, first 2 shown]
	s_waitcnt lgkmcnt(5)
	v_dual_add_f32 v6, v12, v6 :: v_dual_add_f32 v7, v35, v7
	ds_bpermute_b32 v12, v13, v0
	ds_bpermute_b32 v13, v13, v1
	s_waitcnt lgkmcnt(6)
	v_dual_add_f32 v8, v33, v8 :: v_dual_mov_b32 v33, v20
	ds_bpermute_b32 v14, v54, v2
	ds_bpermute_b32 v15, v54, v3
	;; [unrolled: 1-line block ×4, first 2 shown]
	v_mov_b32_e32 v35, v21
	ds_bpermute_b32 v18, v54, v6
	s_waitcnt lgkmcnt(9)
	v_dual_add_f32 v9, v32, v9 :: v_dual_add_f32 v10, v31, v10
	ds_bpermute_b32 v32, v54, v8
	ds_bpermute_b32 v31, v54, v7
	;; [unrolled: 1-line block ×4, first 2 shown]
	s_waitcnt lgkmcnt(10)
	v_add_f32_e32 v0, v0, v12
	s_waitcnt lgkmcnt(9)
	v_add_f32_e32 v24, v1, v13
	v_add_f32_e32 v1, v49, v11
	ds_bpermute_b32 v13, v54, v9
	s_waitcnt lgkmcnt(9)
	v_dual_add_f32 v23, v2, v14 :: v_dual_add_f32 v2, v48, v19
	s_waitcnt lgkmcnt(7)
	v_add_f32_e32 v21, v4, v16
	scratch_load_b32 v19, off, s32 offset:364 ; 4-byte Folded Reload
	s_waitcnt vmcnt(1)
	ds_bpermute_b32 v25, v20, v34
	v_add_f32_e32 v22, v3, v15
	s_waitcnt lgkmcnt(7)
	v_add_f32_e32 v20, v5, v17
	s_clause 0x2
	scratch_load_b32 v17, off, s32 offset:360
	scratch_load_b32 v16, off, s32 offset:356
	;; [unrolled: 1-line block ×3, first 2 shown]
	s_waitcnt lgkmcnt(6)
	v_add_f32_e32 v18, v6, v18
	ds_bpermute_b32 v14, v54, v10
	v_add_f32_e32 v30, v35, v30
	s_waitcnt vmcnt(0) lgkmcnt(0)
	s_waitcnt_vscnt null, 0x0
	s_barrier
	buffer_gl0_inv
	ds_bpermute_b32 v35, v54, v26
	ds_bpermute_b32 v12, v33, v69
	s_load_b32 s0, s[2:3], 0x0
	v_add_f32_e32 v3, v34, v25
	ds_bpermute_b32 v25, v54, v1
	ds_bpermute_b32 v34, v54, v3
	;; [unrolled: 1-line block ×6, first 2 shown]
	v_add_f32_e32 v28, v37, v28
	s_waitcnt lgkmcnt(0)
	v_add_f32_e32 v4, v19, v4
	v_add_f32_e32 v19, v7, v31
	;; [unrolled: 1-line block ×4, first 2 shown]
	ds_bpermute_b32 v39, v54, v30
	v_add_f32_e32 v49, v15, v11
	v_dual_add_f32 v15, v10, v14 :: v_dual_add_f32 v14, v1, v25
	scratch_load_b32 v1, off, s32 offset:572 ; 4-byte Folded Reload
	v_add_f32_e32 v48, v16, v6
	v_dual_add_f32 v16, v9, v13 :: v_dual_add_f32 v11, v26, v35
	ds_bpermute_b32 v33, v54, v2
	v_add_f32_e32 v50, v69, v12
	ds_bpermute_b32 v37, v54, v28
	ds_bpermute_b32 v6, v54, v4
	;; [unrolled: 1-line block ×5, first 2 shown]
	v_add_f32_e32 v12, v3, v34
	v_add_f32_e32 v10, v27, v36
	;; [unrolled: 1-line block ×3, first 2 shown]
	scratch_load_b32 v25, off, s32 offset:1244 ; 4-byte Folded Reload
	s_waitcnt lgkmcnt(6)
	v_add_f32_e32 v7, v30, v39
	s_waitcnt lgkmcnt(5)
	v_add_f32_e32 v13, v2, v33
	ds_bpermute_b32 v54, v54, v50
	s_waitcnt lgkmcnt(5)
	v_add_f32_e32 v9, v28, v37
	s_waitcnt lgkmcnt(3)
	v_dual_add_f32 v6, v4, v6 :: v_dual_add_f32 v5, v5, v51
	s_waitcnt lgkmcnt(1)
	v_dual_add_f32 v4, v48, v52 :: v_dual_add_f32 v3, v49, v53
	s_waitcnt lgkmcnt(0)
	v_add_f32_e32 v2, v50, v54
	s_waitcnt vmcnt(1)
	v_and_b32_e32 v26, 0x3c3, v1
	scratch_load_b32 v1, off, s32 offset:568 ; 4-byte Folded Reload
	v_cmp_eq_u32_e32 vcc_lo, 64, v26
	s_waitcnt vmcnt(1)
	v_mad_u32_u24 v25, 0x300, v25, s0
	s_waitcnt vmcnt(0)
	v_lshrrev_b32_e32 v1, 2, v1
	s_delay_alu instid0(VALU_DEP_1)
	v_lshlrev_b32_e32 v26, 2, v1
	s_and_saveexec_b32 s0, vcc_lo
	s_cbranch_execz .LBB448_5498
; %bb.5497:
	s_delay_alu instid0(VALU_DEP_1)
	v_add3_u32 v27, v25, v26, 0xfffffa00
	ds_store_2addr_b32 v27, v0, v24 offset1:8
	ds_store_2addr_b32 v27, v23, v22 offset0:16 offset1:24
	ds_store_2addr_b32 v27, v21, v20 offset0:32 offset1:40
	ds_store_2addr_b32 v27, v18, v19 offset0:48 offset1:56
	ds_store_2addr_b32 v27, v17, v16 offset0:64 offset1:72
	ds_store_2addr_b32 v27, v15, v14 offset0:80 offset1:88
	ds_store_2addr_b32 v27, v13, v12 offset0:96 offset1:104
	ds_store_2addr_b32 v27, v11, v10 offset0:112 offset1:120
	ds_store_2addr_b32 v27, v9, v8 offset0:128 offset1:136
	ds_store_2addr_b32 v27, v7, v6 offset0:144 offset1:152
	ds_store_2addr_b32 v27, v5, v4 offset0:160 offset1:168
	ds_store_2addr_b32 v27, v3, v2 offset0:176 offset1:184
.LBB448_5498:
	s_or_b32 exec_lo, exec_lo, s0
	scratch_load_b32 v28, off, s32 offset:572 ; 4-byte Folded Reload
	s_mov_b32 s2, exec_lo
	s_waitcnt vmcnt(0) lgkmcnt(0)
	s_barrier
	buffer_gl0_inv
	v_and_b32_e32 v27, 3, v28
	s_delay_alu instid0(VALU_DEP_1)
	v_cmp_eq_u32_e32 vcc_lo, 0, v27
	v_cmpx_gt_u32_e32 64, v28
	s_cbranch_execz .LBB448_5525
; %bb.5499:
	s_and_saveexec_b32 s0, vcc_lo
	s_cbranch_execnz .LBB448_5654
; %bb.5500:
	s_or_b32 exec_lo, exec_lo, s0
	s_and_saveexec_b32 s0, vcc_lo
	s_cbranch_execnz .LBB448_5655
.LBB448_5501:
	s_or_b32 exec_lo, exec_lo, s0
	s_and_saveexec_b32 s0, vcc_lo
	s_cbranch_execnz .LBB448_5656
.LBB448_5502:
	s_or_b32 exec_lo, exec_lo, s0
	s_and_saveexec_b32 s0, vcc_lo
	s_cbranch_execnz .LBB448_5657
.LBB448_5503:
	s_or_b32 exec_lo, exec_lo, s0
	s_and_saveexec_b32 s0, vcc_lo
	s_cbranch_execnz .LBB448_5658
.LBB448_5504:
	s_or_b32 exec_lo, exec_lo, s0
	s_and_saveexec_b32 s0, vcc_lo
	s_cbranch_execnz .LBB448_5659
.LBB448_5505:
	s_or_b32 exec_lo, exec_lo, s0
	s_and_saveexec_b32 s0, vcc_lo
	s_cbranch_execnz .LBB448_5660
.LBB448_5506:
	s_or_b32 exec_lo, exec_lo, s0
	s_and_saveexec_b32 s0, vcc_lo
	s_cbranch_execnz .LBB448_5661
.LBB448_5507:
	s_or_b32 exec_lo, exec_lo, s0
	s_and_saveexec_b32 s0, vcc_lo
	s_cbranch_execnz .LBB448_5662
.LBB448_5508:
	s_or_b32 exec_lo, exec_lo, s0
	s_and_saveexec_b32 s0, vcc_lo
	s_cbranch_execnz .LBB448_5663
.LBB448_5509:
	s_or_b32 exec_lo, exec_lo, s0
	s_and_saveexec_b32 s0, vcc_lo
	s_cbranch_execnz .LBB448_5664
.LBB448_5510:
	s_or_b32 exec_lo, exec_lo, s0
	s_and_saveexec_b32 s0, vcc_lo
	s_cbranch_execnz .LBB448_5665
.LBB448_5511:
	s_or_b32 exec_lo, exec_lo, s0
	s_and_saveexec_b32 s0, vcc_lo
	s_cbranch_execnz .LBB448_5666
.LBB448_5512:
	s_or_b32 exec_lo, exec_lo, s0
	s_and_saveexec_b32 s0, vcc_lo
	s_cbranch_execnz .LBB448_5667
.LBB448_5513:
	s_or_b32 exec_lo, exec_lo, s0
	s_and_saveexec_b32 s0, vcc_lo
	s_cbranch_execnz .LBB448_5668
.LBB448_5514:
	s_or_b32 exec_lo, exec_lo, s0
	s_and_saveexec_b32 s0, vcc_lo
	s_cbranch_execnz .LBB448_5669
.LBB448_5515:
	s_or_b32 exec_lo, exec_lo, s0
	s_and_saveexec_b32 s0, vcc_lo
	s_cbranch_execnz .LBB448_5670
.LBB448_5516:
	s_or_b32 exec_lo, exec_lo, s0
	s_and_saveexec_b32 s0, vcc_lo
	s_cbranch_execnz .LBB448_5671
.LBB448_5517:
	s_or_b32 exec_lo, exec_lo, s0
	s_and_saveexec_b32 s0, vcc_lo
	s_cbranch_execnz .LBB448_5672
.LBB448_5518:
	s_or_b32 exec_lo, exec_lo, s0
	s_and_saveexec_b32 s0, vcc_lo
	s_cbranch_execnz .LBB448_5673
.LBB448_5519:
	s_or_b32 exec_lo, exec_lo, s0
	s_and_saveexec_b32 s0, vcc_lo
	s_cbranch_execnz .LBB448_5674
.LBB448_5520:
	s_or_b32 exec_lo, exec_lo, s0
	s_and_saveexec_b32 s0, vcc_lo
	s_cbranch_execnz .LBB448_5675
.LBB448_5521:
	s_or_b32 exec_lo, exec_lo, s0
	s_and_saveexec_b32 s0, vcc_lo
	s_cbranch_execnz .LBB448_5676
.LBB448_5522:
	s_or_b32 exec_lo, exec_lo, s0
	s_and_saveexec_b32 s0, vcc_lo
	s_cbranch_execz .LBB448_5524
.LBB448_5523:
	v_lshl_add_u32 v27, v1, 2, v25
	ds_load_b32 v27, v27 offset:736
	s_waitcnt lgkmcnt(0)
	v_add_f32_e32 v2, v27, v2
.LBB448_5524:
	s_or_b32 exec_lo, exec_lo, s0
.LBB448_5525:
	s_delay_alu instid0(SALU_CYCLE_1)
	s_or_b32 exec_lo, exec_lo, s2
	scratch_load_b32 v27, off, s32 offset:572 ; 4-byte Folded Reload
	s_mov_b32 s2, exec_lo
	s_waitcnt vmcnt(0)
	s_barrier
	buffer_gl0_inv
	v_and_b32_e32 v27, 0x3e3, v27
	s_delay_alu instid0(VALU_DEP_1)
	v_cmpx_eq_u32_e32 32, v27
	s_cbranch_execz .LBB448_5527
; %bb.5526:
	v_add3_u32 v26, v25, v26, 0xfffffd00
	ds_store_2addr_b32 v26, v0, v24 offset1:8
	ds_store_2addr_b32 v26, v23, v22 offset0:16 offset1:24
	ds_store_2addr_b32 v26, v21, v20 offset0:32 offset1:40
	;; [unrolled: 1-line block ×11, first 2 shown]
.LBB448_5527:
	s_or_b32 exec_lo, exec_lo, s2
	scratch_load_b32 v26, off, s32 offset:572 ; 4-byte Folded Reload
	s_waitcnt vmcnt(0) lgkmcnt(0)
	s_barrier
	buffer_gl0_inv
	v_cmp_gt_u32_e64 s0, 32, v26
	s_delay_alu instid0(VALU_DEP_1)
	s_and_saveexec_b32 s2, s0
	s_cbranch_execz .LBB448_5554
; %bb.5528:
	v_lshl_add_u32 v1, v1, 2, v25
	s_and_saveexec_b32 s3, vcc_lo
	s_cbranch_execnz .LBB448_5677
; %bb.5529:
	s_or_b32 exec_lo, exec_lo, s3
	s_and_saveexec_b32 s3, vcc_lo
	s_cbranch_execnz .LBB448_5678
.LBB448_5530:
	s_or_b32 exec_lo, exec_lo, s3
	s_and_saveexec_b32 s3, vcc_lo
	s_cbranch_execnz .LBB448_5679
.LBB448_5531:
	s_or_b32 exec_lo, exec_lo, s3
	s_and_saveexec_b32 s3, vcc_lo
	s_cbranch_execnz .LBB448_5680
.LBB448_5532:
	s_or_b32 exec_lo, exec_lo, s3
	s_and_saveexec_b32 s3, vcc_lo
	s_cbranch_execnz .LBB448_5681
.LBB448_5533:
	s_or_b32 exec_lo, exec_lo, s3
	s_and_saveexec_b32 s3, vcc_lo
	s_cbranch_execnz .LBB448_5682
.LBB448_5534:
	s_or_b32 exec_lo, exec_lo, s3
	s_and_saveexec_b32 s3, vcc_lo
	s_cbranch_execnz .LBB448_5683
.LBB448_5535:
	s_or_b32 exec_lo, exec_lo, s3
	s_and_saveexec_b32 s3, vcc_lo
	s_cbranch_execnz .LBB448_5684
.LBB448_5536:
	s_or_b32 exec_lo, exec_lo, s3
	s_and_saveexec_b32 s3, vcc_lo
	s_cbranch_execnz .LBB448_5685
.LBB448_5537:
	s_or_b32 exec_lo, exec_lo, s3
	s_and_saveexec_b32 s3, vcc_lo
	s_cbranch_execnz .LBB448_5686
.LBB448_5538:
	s_or_b32 exec_lo, exec_lo, s3
	s_and_saveexec_b32 s3, vcc_lo
	s_cbranch_execnz .LBB448_5687
.LBB448_5539:
	s_or_b32 exec_lo, exec_lo, s3
	s_and_saveexec_b32 s3, vcc_lo
	s_cbranch_execnz .LBB448_5688
.LBB448_5540:
	s_or_b32 exec_lo, exec_lo, s3
	s_and_saveexec_b32 s3, vcc_lo
	s_cbranch_execnz .LBB448_5689
.LBB448_5541:
	s_or_b32 exec_lo, exec_lo, s3
	s_and_saveexec_b32 s3, vcc_lo
	s_cbranch_execnz .LBB448_5690
.LBB448_5542:
	s_or_b32 exec_lo, exec_lo, s3
	s_and_saveexec_b32 s3, vcc_lo
	s_cbranch_execnz .LBB448_5691
.LBB448_5543:
	s_or_b32 exec_lo, exec_lo, s3
	s_and_saveexec_b32 s3, vcc_lo
	s_cbranch_execnz .LBB448_5692
.LBB448_5544:
	s_or_b32 exec_lo, exec_lo, s3
	s_and_saveexec_b32 s3, vcc_lo
	s_cbranch_execnz .LBB448_5693
.LBB448_5545:
	s_or_b32 exec_lo, exec_lo, s3
	s_and_saveexec_b32 s3, vcc_lo
	s_cbranch_execnz .LBB448_5694
.LBB448_5546:
	s_or_b32 exec_lo, exec_lo, s3
	s_and_saveexec_b32 s3, vcc_lo
	s_cbranch_execnz .LBB448_5695
.LBB448_5547:
	s_or_b32 exec_lo, exec_lo, s3
	s_and_saveexec_b32 s3, vcc_lo
	s_cbranch_execnz .LBB448_5696
.LBB448_5548:
	s_or_b32 exec_lo, exec_lo, s3
	s_and_saveexec_b32 s3, vcc_lo
	s_cbranch_execnz .LBB448_5697
.LBB448_5549:
	s_or_b32 exec_lo, exec_lo, s3
	s_and_saveexec_b32 s3, vcc_lo
	s_cbranch_execnz .LBB448_5698
.LBB448_5550:
	s_or_b32 exec_lo, exec_lo, s3
	s_and_saveexec_b32 s3, vcc_lo
	s_cbranch_execnz .LBB448_5699
.LBB448_5551:
	s_or_b32 exec_lo, exec_lo, s3
	s_and_saveexec_b32 s3, vcc_lo
	s_cbranch_execz .LBB448_5553
.LBB448_5552:
	ds_load_b32 v1, v1 offset:736
	s_waitcnt lgkmcnt(0)
	v_add_f32_e32 v2, v1, v2
.LBB448_5553:
	s_or_b32 exec_lo, exec_lo, s3
.LBB448_5554:
	s_delay_alu instid0(SALU_CYCLE_1)
	s_or_b32 exec_lo, exec_lo, s2
	s_barrier
	buffer_gl0_inv
	s_and_b32 exec_lo, exec_lo, s0
	s_cbranch_execz .LBB448_5653
; %bb.5555:
	s_and_b32 exec_lo, exec_lo, vcc_lo
	s_cbranch_execz .LBB448_5653
; %bb.5556:
	v_and_b32_e32 v1, 0x7f800000, v0
	s_mov_b32 s0, exec_lo
                                        ; implicit-def: $vgpr25
	s_delay_alu instid0(VALU_DEP_1)
	v_cmpx_ne_u32_e32 0x7f800000, v1
	s_xor_b32 s0, exec_lo, s0
; %bb.5557:
	v_bfe_u32 v1, v0, 16, 1
	s_delay_alu instid0(VALU_DEP_1)
	v_add3_u32 v25, v0, v1, 0x7fff
                                        ; implicit-def: $vgpr0
; %bb.5558:
	s_and_not1_saveexec_b32 s0, s0
; %bb.5559:
	v_and_b32_e32 v1, 0xffff, v0
	v_or_b32_e32 v25, 0x10000, v0
	s_delay_alu instid0(VALU_DEP_2) | instskip(NEXT) | instid1(VALU_DEP_2)
	v_cmp_eq_u32_e32 vcc_lo, 0, v1
	v_cndmask_b32_e32 v25, v25, v0, vcc_lo
; %bb.5560:
	s_or_b32 exec_lo, exec_lo, s0
	s_clause 0x2
	scratch_load_b32 v0, off, s32 offset:572
	scratch_load_b32 v26, off, s32 offset:1248
	;; [unrolled: 1-line block ×3, first 2 shown]
	s_mul_i32 s2, s1, s4
	s_mul_i32 s0, s6, s1
	;; [unrolled: 1-line block ×5, first 2 shown]
	s_ashr_i32 s1, s0, 31
	s_ashr_i32 s3, s2, 31
	;; [unrolled: 1-line block ×3, first 2 shown]
	s_lshl_b64 s[0:1], s[0:1], 1
	s_lshl_b64 s[2:3], s[2:3], 1
	s_lshl_b64 s[6:7], s[6:7], 1
	s_add_u32 s0, s2, s0
	s_addc_u32 s1, s3, s1
	s_add_u32 s0, s0, s6
	s_addc_u32 s1, s1, s7
	v_and_b32_e32 v27, 0x7f800000, v24
	s_waitcnt vmcnt(2)
	v_lshrrev_b32_e32 v0, 1, v0
	s_waitcnt vmcnt(0)
	v_add_co_u32 v1, vcc_lo, s0, v1
	v_add_co_ci_u32_e32 v26, vcc_lo, s1, v26, vcc_lo
	s_delay_alu instid0(VALU_DEP_3) | instskip(SKIP_1) | instid1(VALU_DEP_1)
	v_and_b32_e32 v0, 0x1fe, v0
	s_mov_b32 s0, exec_lo
	v_add_co_u32 v0, vcc_lo, v1, v0
	s_delay_alu instid0(VALU_DEP_3)
	v_add_co_ci_u32_e32 v1, vcc_lo, 0, v26, vcc_lo
	flat_store_d16_hi_b16 v[0:1], v25
                                        ; implicit-def: $vgpr25
	v_cmpx_ne_u32_e32 0x7f800000, v27
	s_xor_b32 s0, exec_lo, s0
; %bb.5561:
	v_bfe_u32 v25, v24, 16, 1
	s_delay_alu instid0(VALU_DEP_1)
	v_add3_u32 v25, v24, v25, 0x7fff
                                        ; implicit-def: $vgpr24
; %bb.5562:
	s_and_not1_saveexec_b32 s0, s0
; %bb.5563:
	v_and_b32_e32 v25, 0xffff, v24
	v_or_b32_e32 v26, 0x10000, v24
	s_delay_alu instid0(VALU_DEP_2) | instskip(NEXT) | instid1(VALU_DEP_2)
	v_cmp_eq_u32_e32 vcc_lo, 0, v25
	v_cndmask_b32_e32 v25, v26, v24, vcc_lo
; %bb.5564:
	s_or_b32 exec_lo, exec_lo, s0
	v_and_b32_e32 v24, 0x7f800000, v23
	flat_store_d16_hi_b16 v[0:1], v25 offset:16
	v_cmp_ne_u32_e32 vcc_lo, 0x7f800000, v24
                                        ; implicit-def: $vgpr24
	s_and_saveexec_b32 s0, vcc_lo
	s_delay_alu instid0(SALU_CYCLE_1)
	s_xor_b32 s0, exec_lo, s0
; %bb.5565:
	v_bfe_u32 v24, v23, 16, 1
	s_delay_alu instid0(VALU_DEP_1)
	v_add3_u32 v24, v23, v24, 0x7fff
                                        ; implicit-def: $vgpr23
; %bb.5566:
	s_and_not1_saveexec_b32 s0, s0
; %bb.5567:
	v_and_b32_e32 v24, 0xffff, v23
	v_or_b32_e32 v25, 0x10000, v23
	s_delay_alu instid0(VALU_DEP_2) | instskip(NEXT) | instid1(VALU_DEP_2)
	v_cmp_eq_u32_e32 vcc_lo, 0, v24
	v_cndmask_b32_e32 v24, v25, v23, vcc_lo
; %bb.5568:
	s_or_b32 exec_lo, exec_lo, s0
	v_and_b32_e32 v23, 0x7f800000, v22
	flat_store_d16_hi_b16 v[0:1], v24 offset:32
	v_cmp_ne_u32_e32 vcc_lo, 0x7f800000, v23
                                        ; implicit-def: $vgpr23
	s_and_saveexec_b32 s0, vcc_lo
	s_delay_alu instid0(SALU_CYCLE_1)
	s_xor_b32 s0, exec_lo, s0
; %bb.5569:
	v_bfe_u32 v23, v22, 16, 1
	s_delay_alu instid0(VALU_DEP_1)
	v_add3_u32 v23, v22, v23, 0x7fff
                                        ; implicit-def: $vgpr22
; %bb.5570:
	s_and_not1_saveexec_b32 s0, s0
; %bb.5571:
	v_and_b32_e32 v23, 0xffff, v22
	v_or_b32_e32 v24, 0x10000, v22
	s_delay_alu instid0(VALU_DEP_2) | instskip(NEXT) | instid1(VALU_DEP_2)
	v_cmp_eq_u32_e32 vcc_lo, 0, v23
	v_cndmask_b32_e32 v23, v24, v22, vcc_lo
; %bb.5572:
	s_or_b32 exec_lo, exec_lo, s0
	v_and_b32_e32 v22, 0x7f800000, v21
	flat_store_d16_hi_b16 v[0:1], v23 offset:48
	v_cmp_ne_u32_e32 vcc_lo, 0x7f800000, v22
                                        ; implicit-def: $vgpr22
	s_and_saveexec_b32 s0, vcc_lo
	s_delay_alu instid0(SALU_CYCLE_1)
	s_xor_b32 s0, exec_lo, s0
; %bb.5573:
	v_bfe_u32 v22, v21, 16, 1
	s_delay_alu instid0(VALU_DEP_1)
	v_add3_u32 v22, v21, v22, 0x7fff
                                        ; implicit-def: $vgpr21
; %bb.5574:
	s_and_not1_saveexec_b32 s0, s0
; %bb.5575:
	v_and_b32_e32 v22, 0xffff, v21
	v_or_b32_e32 v23, 0x10000, v21
	s_delay_alu instid0(VALU_DEP_2) | instskip(NEXT) | instid1(VALU_DEP_2)
	v_cmp_eq_u32_e32 vcc_lo, 0, v22
	v_cndmask_b32_e32 v22, v23, v21, vcc_lo
; %bb.5576:
	s_or_b32 exec_lo, exec_lo, s0
	v_and_b32_e32 v21, 0x7f800000, v20
	flat_store_d16_hi_b16 v[0:1], v22 offset:64
	v_cmp_ne_u32_e32 vcc_lo, 0x7f800000, v21
                                        ; implicit-def: $vgpr21
	s_and_saveexec_b32 s0, vcc_lo
	s_delay_alu instid0(SALU_CYCLE_1)
	s_xor_b32 s0, exec_lo, s0
; %bb.5577:
	v_bfe_u32 v21, v20, 16, 1
	s_delay_alu instid0(VALU_DEP_1)
	v_add3_u32 v21, v20, v21, 0x7fff
                                        ; implicit-def: $vgpr20
; %bb.5578:
	s_and_not1_saveexec_b32 s0, s0
; %bb.5579:
	v_and_b32_e32 v21, 0xffff, v20
	v_or_b32_e32 v22, 0x10000, v20
	s_delay_alu instid0(VALU_DEP_2) | instskip(NEXT) | instid1(VALU_DEP_2)
	v_cmp_eq_u32_e32 vcc_lo, 0, v21
	v_cndmask_b32_e32 v21, v22, v20, vcc_lo
; %bb.5580:
	s_or_b32 exec_lo, exec_lo, s0
	v_and_b32_e32 v20, 0x7f800000, v18
	flat_store_d16_hi_b16 v[0:1], v21 offset:80
	v_cmp_ne_u32_e32 vcc_lo, 0x7f800000, v20
                                        ; implicit-def: $vgpr20
	s_and_saveexec_b32 s0, vcc_lo
	s_delay_alu instid0(SALU_CYCLE_1)
	s_xor_b32 s0, exec_lo, s0
; %bb.5581:
	v_bfe_u32 v20, v18, 16, 1
	s_delay_alu instid0(VALU_DEP_1)
	v_add3_u32 v20, v18, v20, 0x7fff
                                        ; implicit-def: $vgpr18
; %bb.5582:
	s_and_not1_saveexec_b32 s0, s0
; %bb.5583:
	v_and_b32_e32 v20, 0xffff, v18
	v_or_b32_e32 v21, 0x10000, v18
	s_delay_alu instid0(VALU_DEP_2) | instskip(NEXT) | instid1(VALU_DEP_2)
	v_cmp_eq_u32_e32 vcc_lo, 0, v20
	v_cndmask_b32_e32 v20, v21, v18, vcc_lo
; %bb.5584:
	s_or_b32 exec_lo, exec_lo, s0
	v_and_b32_e32 v18, 0x7f800000, v19
	flat_store_d16_hi_b16 v[0:1], v20 offset:96
	v_cmp_ne_u32_e32 vcc_lo, 0x7f800000, v18
                                        ; implicit-def: $vgpr18
	s_and_saveexec_b32 s0, vcc_lo
	s_delay_alu instid0(SALU_CYCLE_1)
	s_xor_b32 s0, exec_lo, s0
; %bb.5585:
	v_bfe_u32 v18, v19, 16, 1
	s_delay_alu instid0(VALU_DEP_1)
	v_add3_u32 v18, v19, v18, 0x7fff
                                        ; implicit-def: $vgpr19
; %bb.5586:
	s_and_not1_saveexec_b32 s0, s0
; %bb.5587:
	v_and_b32_e32 v18, 0xffff, v19
	v_or_b32_e32 v20, 0x10000, v19
	s_delay_alu instid0(VALU_DEP_2) | instskip(NEXT) | instid1(VALU_DEP_2)
	v_cmp_eq_u32_e32 vcc_lo, 0, v18
	v_cndmask_b32_e32 v18, v20, v19, vcc_lo
; %bb.5588:
	s_or_b32 exec_lo, exec_lo, s0
	v_and_b32_e32 v19, 0x7f800000, v17
	s_mov_b32 s0, exec_lo
	flat_store_d16_hi_b16 v[0:1], v18 offset:112
                                        ; implicit-def: $vgpr18
	v_cmpx_ne_u32_e32 0x7f800000, v19
	s_xor_b32 s0, exec_lo, s0
; %bb.5589:
	v_bfe_u32 v18, v17, 16, 1
	s_delay_alu instid0(VALU_DEP_1)
	v_add3_u32 v18, v17, v18, 0x7fff
                                        ; implicit-def: $vgpr17
; %bb.5590:
	s_and_not1_saveexec_b32 s0, s0
; %bb.5591:
	v_and_b32_e32 v18, 0xffff, v17
	v_or_b32_e32 v19, 0x10000, v17
	s_delay_alu instid0(VALU_DEP_2) | instskip(NEXT) | instid1(VALU_DEP_2)
	v_cmp_eq_u32_e32 vcc_lo, 0, v18
	v_cndmask_b32_e32 v18, v19, v17, vcc_lo
; %bb.5592:
	s_or_b32 exec_lo, exec_lo, s0
	v_and_b32_e32 v17, 0x7f800000, v16
	flat_store_d16_hi_b16 v[0:1], v18 offset:128
	v_cmp_ne_u32_e32 vcc_lo, 0x7f800000, v17
                                        ; implicit-def: $vgpr17
	s_and_saveexec_b32 s0, vcc_lo
	s_delay_alu instid0(SALU_CYCLE_1)
	s_xor_b32 s0, exec_lo, s0
; %bb.5593:
	v_bfe_u32 v17, v16, 16, 1
	s_delay_alu instid0(VALU_DEP_1)
	v_add3_u32 v17, v16, v17, 0x7fff
                                        ; implicit-def: $vgpr16
; %bb.5594:
	s_and_not1_saveexec_b32 s0, s0
; %bb.5595:
	v_and_b32_e32 v17, 0xffff, v16
	v_or_b32_e32 v18, 0x10000, v16
	s_delay_alu instid0(VALU_DEP_2) | instskip(NEXT) | instid1(VALU_DEP_2)
	v_cmp_eq_u32_e32 vcc_lo, 0, v17
	v_cndmask_b32_e32 v17, v18, v16, vcc_lo
; %bb.5596:
	s_or_b32 exec_lo, exec_lo, s0
	v_and_b32_e32 v16, 0x7f800000, v15
	flat_store_d16_hi_b16 v[0:1], v17 offset:144
	v_cmp_ne_u32_e32 vcc_lo, 0x7f800000, v16
                                        ; implicit-def: $vgpr16
	s_and_saveexec_b32 s0, vcc_lo
	s_delay_alu instid0(SALU_CYCLE_1)
	s_xor_b32 s0, exec_lo, s0
; %bb.5597:
	v_bfe_u32 v16, v15, 16, 1
	s_delay_alu instid0(VALU_DEP_1)
	v_add3_u32 v16, v15, v16, 0x7fff
                                        ; implicit-def: $vgpr15
; %bb.5598:
	s_and_not1_saveexec_b32 s0, s0
; %bb.5599:
	v_and_b32_e32 v16, 0xffff, v15
	v_or_b32_e32 v17, 0x10000, v15
	s_delay_alu instid0(VALU_DEP_2) | instskip(NEXT) | instid1(VALU_DEP_2)
	v_cmp_eq_u32_e32 vcc_lo, 0, v16
	v_cndmask_b32_e32 v16, v17, v15, vcc_lo
; %bb.5600:
	s_or_b32 exec_lo, exec_lo, s0
	v_and_b32_e32 v15, 0x7f800000, v14
	flat_store_d16_hi_b16 v[0:1], v16 offset:160
	v_cmp_ne_u32_e32 vcc_lo, 0x7f800000, v15
                                        ; implicit-def: $vgpr15
	s_and_saveexec_b32 s0, vcc_lo
	s_delay_alu instid0(SALU_CYCLE_1)
	s_xor_b32 s0, exec_lo, s0
; %bb.5601:
	v_bfe_u32 v15, v14, 16, 1
	s_delay_alu instid0(VALU_DEP_1)
	v_add3_u32 v15, v14, v15, 0x7fff
                                        ; implicit-def: $vgpr14
; %bb.5602:
	s_and_not1_saveexec_b32 s0, s0
; %bb.5603:
	v_and_b32_e32 v15, 0xffff, v14
	v_or_b32_e32 v16, 0x10000, v14
	s_delay_alu instid0(VALU_DEP_2) | instskip(NEXT) | instid1(VALU_DEP_2)
	v_cmp_eq_u32_e32 vcc_lo, 0, v15
	v_cndmask_b32_e32 v15, v16, v14, vcc_lo
; %bb.5604:
	s_or_b32 exec_lo, exec_lo, s0
	v_and_b32_e32 v14, 0x7f800000, v13
	flat_store_d16_hi_b16 v[0:1], v15 offset:176
	v_cmp_ne_u32_e32 vcc_lo, 0x7f800000, v14
                                        ; implicit-def: $vgpr14
	s_and_saveexec_b32 s0, vcc_lo
	s_delay_alu instid0(SALU_CYCLE_1)
	s_xor_b32 s0, exec_lo, s0
; %bb.5605:
	v_bfe_u32 v14, v13, 16, 1
	s_delay_alu instid0(VALU_DEP_1)
	v_add3_u32 v14, v13, v14, 0x7fff
                                        ; implicit-def: $vgpr13
; %bb.5606:
	s_and_not1_saveexec_b32 s0, s0
; %bb.5607:
	v_and_b32_e32 v14, 0xffff, v13
	v_or_b32_e32 v15, 0x10000, v13
	s_delay_alu instid0(VALU_DEP_2) | instskip(NEXT) | instid1(VALU_DEP_2)
	v_cmp_eq_u32_e32 vcc_lo, 0, v14
	v_cndmask_b32_e32 v14, v15, v13, vcc_lo
; %bb.5608:
	s_or_b32 exec_lo, exec_lo, s0
	v_and_b32_e32 v13, 0x7f800000, v12
	flat_store_d16_hi_b16 v[0:1], v14 offset:192
	v_cmp_ne_u32_e32 vcc_lo, 0x7f800000, v13
                                        ; implicit-def: $vgpr13
	s_and_saveexec_b32 s0, vcc_lo
	s_delay_alu instid0(SALU_CYCLE_1)
	s_xor_b32 s0, exec_lo, s0
; %bb.5609:
	v_bfe_u32 v13, v12, 16, 1
	s_delay_alu instid0(VALU_DEP_1)
	v_add3_u32 v13, v12, v13, 0x7fff
                                        ; implicit-def: $vgpr12
; %bb.5610:
	s_and_not1_saveexec_b32 s0, s0
; %bb.5611:
	v_and_b32_e32 v13, 0xffff, v12
	v_or_b32_e32 v14, 0x10000, v12
	s_delay_alu instid0(VALU_DEP_2) | instskip(NEXT) | instid1(VALU_DEP_2)
	v_cmp_eq_u32_e32 vcc_lo, 0, v13
	v_cndmask_b32_e32 v13, v14, v12, vcc_lo
; %bb.5612:
	s_or_b32 exec_lo, exec_lo, s0
	v_and_b32_e32 v12, 0x7f800000, v11
	flat_store_d16_hi_b16 v[0:1], v13 offset:208
	v_cmp_ne_u32_e32 vcc_lo, 0x7f800000, v12
                                        ; implicit-def: $vgpr12
	s_and_saveexec_b32 s0, vcc_lo
	s_delay_alu instid0(SALU_CYCLE_1)
	s_xor_b32 s0, exec_lo, s0
; %bb.5613:
	v_bfe_u32 v12, v11, 16, 1
	s_delay_alu instid0(VALU_DEP_1)
	v_add3_u32 v12, v11, v12, 0x7fff
                                        ; implicit-def: $vgpr11
; %bb.5614:
	s_and_not1_saveexec_b32 s0, s0
; %bb.5615:
	v_and_b32_e32 v12, 0xffff, v11
	v_or_b32_e32 v13, 0x10000, v11
	s_delay_alu instid0(VALU_DEP_2) | instskip(NEXT) | instid1(VALU_DEP_2)
	v_cmp_eq_u32_e32 vcc_lo, 0, v12
	v_cndmask_b32_e32 v12, v13, v11, vcc_lo
; %bb.5616:
	s_or_b32 exec_lo, exec_lo, s0
	v_and_b32_e32 v11, 0x7f800000, v10
	flat_store_d16_hi_b16 v[0:1], v12 offset:224
	v_cmp_ne_u32_e32 vcc_lo, 0x7f800000, v11
                                        ; implicit-def: $vgpr11
	s_and_saveexec_b32 s0, vcc_lo
	s_delay_alu instid0(SALU_CYCLE_1)
	s_xor_b32 s0, exec_lo, s0
; %bb.5617:
	v_bfe_u32 v11, v10, 16, 1
	s_delay_alu instid0(VALU_DEP_1)
	v_add3_u32 v11, v10, v11, 0x7fff
                                        ; implicit-def: $vgpr10
; %bb.5618:
	s_and_not1_saveexec_b32 s0, s0
; %bb.5619:
	v_and_b32_e32 v11, 0xffff, v10
	v_or_b32_e32 v12, 0x10000, v10
	s_delay_alu instid0(VALU_DEP_2) | instskip(NEXT) | instid1(VALU_DEP_2)
	v_cmp_eq_u32_e32 vcc_lo, 0, v11
	v_cndmask_b32_e32 v11, v12, v10, vcc_lo
; %bb.5620:
	s_or_b32 exec_lo, exec_lo, s0
	v_and_b32_e32 v10, 0x7f800000, v9
	flat_store_d16_hi_b16 v[0:1], v11 offset:240
	v_cmp_ne_u32_e32 vcc_lo, 0x7f800000, v10
                                        ; implicit-def: $vgpr10
	s_and_saveexec_b32 s0, vcc_lo
	s_delay_alu instid0(SALU_CYCLE_1)
	s_xor_b32 s0, exec_lo, s0
; %bb.5621:
	v_bfe_u32 v10, v9, 16, 1
	s_delay_alu instid0(VALU_DEP_1)
	v_add3_u32 v10, v9, v10, 0x7fff
                                        ; implicit-def: $vgpr9
; %bb.5622:
	s_and_not1_saveexec_b32 s0, s0
; %bb.5623:
	v_and_b32_e32 v10, 0xffff, v9
	v_or_b32_e32 v11, 0x10000, v9
	s_delay_alu instid0(VALU_DEP_2) | instskip(NEXT) | instid1(VALU_DEP_2)
	v_cmp_eq_u32_e32 vcc_lo, 0, v10
	v_cndmask_b32_e32 v10, v11, v9, vcc_lo
; %bb.5624:
	s_or_b32 exec_lo, exec_lo, s0
	v_and_b32_e32 v9, 0x7f800000, v8
	flat_store_d16_hi_b16 v[0:1], v10 offset:256
	v_cmp_ne_u32_e32 vcc_lo, 0x7f800000, v9
                                        ; implicit-def: $vgpr9
	s_and_saveexec_b32 s0, vcc_lo
	s_delay_alu instid0(SALU_CYCLE_1)
	s_xor_b32 s0, exec_lo, s0
; %bb.5625:
	v_bfe_u32 v9, v8, 16, 1
	s_delay_alu instid0(VALU_DEP_1)
	v_add3_u32 v9, v8, v9, 0x7fff
                                        ; implicit-def: $vgpr8
; %bb.5626:
	s_and_not1_saveexec_b32 s0, s0
; %bb.5627:
	v_and_b32_e32 v9, 0xffff, v8
	v_or_b32_e32 v10, 0x10000, v8
	s_delay_alu instid0(VALU_DEP_2) | instskip(NEXT) | instid1(VALU_DEP_2)
	v_cmp_eq_u32_e32 vcc_lo, 0, v9
	v_cndmask_b32_e32 v9, v10, v8, vcc_lo
; %bb.5628:
	s_or_b32 exec_lo, exec_lo, s0
	v_and_b32_e32 v8, 0x7f800000, v7
	flat_store_d16_hi_b16 v[0:1], v9 offset:272
	v_cmp_ne_u32_e32 vcc_lo, 0x7f800000, v8
                                        ; implicit-def: $vgpr8
	s_and_saveexec_b32 s0, vcc_lo
	s_delay_alu instid0(SALU_CYCLE_1)
	s_xor_b32 s0, exec_lo, s0
; %bb.5629:
	v_bfe_u32 v8, v7, 16, 1
	s_delay_alu instid0(VALU_DEP_1)
	v_add3_u32 v8, v7, v8, 0x7fff
                                        ; implicit-def: $vgpr7
; %bb.5630:
	s_and_not1_saveexec_b32 s0, s0
; %bb.5631:
	v_and_b32_e32 v8, 0xffff, v7
	v_or_b32_e32 v9, 0x10000, v7
	s_delay_alu instid0(VALU_DEP_2) | instskip(NEXT) | instid1(VALU_DEP_2)
	v_cmp_eq_u32_e32 vcc_lo, 0, v8
	v_cndmask_b32_e32 v8, v9, v7, vcc_lo
; %bb.5632:
	s_or_b32 exec_lo, exec_lo, s0
	v_and_b32_e32 v7, 0x7f800000, v6
	flat_store_d16_hi_b16 v[0:1], v8 offset:288
	v_cmp_ne_u32_e32 vcc_lo, 0x7f800000, v7
                                        ; implicit-def: $vgpr7
	s_and_saveexec_b32 s0, vcc_lo
	s_delay_alu instid0(SALU_CYCLE_1)
	s_xor_b32 s0, exec_lo, s0
; %bb.5633:
	v_bfe_u32 v7, v6, 16, 1
	s_delay_alu instid0(VALU_DEP_1)
	v_add3_u32 v7, v6, v7, 0x7fff
                                        ; implicit-def: $vgpr6
; %bb.5634:
	s_and_not1_saveexec_b32 s0, s0
; %bb.5635:
	v_and_b32_e32 v7, 0xffff, v6
	v_or_b32_e32 v8, 0x10000, v6
	s_delay_alu instid0(VALU_DEP_2) | instskip(NEXT) | instid1(VALU_DEP_2)
	v_cmp_eq_u32_e32 vcc_lo, 0, v7
	v_cndmask_b32_e32 v7, v8, v6, vcc_lo
; %bb.5636:
	s_or_b32 exec_lo, exec_lo, s0
	v_and_b32_e32 v6, 0x7f800000, v5
	flat_store_d16_hi_b16 v[0:1], v7 offset:304
	v_cmp_ne_u32_e32 vcc_lo, 0x7f800000, v6
                                        ; implicit-def: $vgpr6
	s_and_saveexec_b32 s0, vcc_lo
	s_delay_alu instid0(SALU_CYCLE_1)
	s_xor_b32 s0, exec_lo, s0
; %bb.5637:
	v_bfe_u32 v6, v5, 16, 1
	s_delay_alu instid0(VALU_DEP_1)
	v_add3_u32 v6, v5, v6, 0x7fff
                                        ; implicit-def: $vgpr5
; %bb.5638:
	s_and_not1_saveexec_b32 s0, s0
; %bb.5639:
	v_and_b32_e32 v6, 0xffff, v5
	v_or_b32_e32 v7, 0x10000, v5
	s_delay_alu instid0(VALU_DEP_2) | instskip(NEXT) | instid1(VALU_DEP_2)
	v_cmp_eq_u32_e32 vcc_lo, 0, v6
	v_cndmask_b32_e32 v6, v7, v5, vcc_lo
; %bb.5640:
	s_or_b32 exec_lo, exec_lo, s0
	v_and_b32_e32 v5, 0x7f800000, v4
	flat_store_d16_hi_b16 v[0:1], v6 offset:320
	v_cmp_ne_u32_e32 vcc_lo, 0x7f800000, v5
                                        ; implicit-def: $vgpr5
	s_and_saveexec_b32 s0, vcc_lo
	s_delay_alu instid0(SALU_CYCLE_1)
	s_xor_b32 s0, exec_lo, s0
; %bb.5641:
	v_bfe_u32 v5, v4, 16, 1
	s_delay_alu instid0(VALU_DEP_1)
	v_add3_u32 v5, v4, v5, 0x7fff
                                        ; implicit-def: $vgpr4
; %bb.5642:
	s_and_not1_saveexec_b32 s0, s0
; %bb.5643:
	v_and_b32_e32 v5, 0xffff, v4
	v_or_b32_e32 v6, 0x10000, v4
	s_delay_alu instid0(VALU_DEP_2) | instskip(NEXT) | instid1(VALU_DEP_2)
	v_cmp_eq_u32_e32 vcc_lo, 0, v5
	v_cndmask_b32_e32 v5, v6, v4, vcc_lo
; %bb.5644:
	s_or_b32 exec_lo, exec_lo, s0
	v_and_b32_e32 v4, 0x7f800000, v3
	flat_store_d16_hi_b16 v[0:1], v5 offset:336
	v_cmp_ne_u32_e32 vcc_lo, 0x7f800000, v4
                                        ; implicit-def: $vgpr4
	s_and_saveexec_b32 s0, vcc_lo
	s_delay_alu instid0(SALU_CYCLE_1)
	s_xor_b32 s0, exec_lo, s0
; %bb.5645:
	v_bfe_u32 v4, v3, 16, 1
	s_delay_alu instid0(VALU_DEP_1)
	v_add3_u32 v4, v3, v4, 0x7fff
                                        ; implicit-def: $vgpr3
; %bb.5646:
	s_and_not1_saveexec_b32 s0, s0
; %bb.5647:
	v_and_b32_e32 v4, 0xffff, v3
	v_or_b32_e32 v5, 0x10000, v3
	s_delay_alu instid0(VALU_DEP_2) | instskip(NEXT) | instid1(VALU_DEP_2)
	v_cmp_eq_u32_e32 vcc_lo, 0, v4
	v_cndmask_b32_e32 v4, v5, v3, vcc_lo
; %bb.5648:
	s_or_b32 exec_lo, exec_lo, s0
	v_and_b32_e32 v3, 0x7f800000, v2
	flat_store_d16_hi_b16 v[0:1], v4 offset:352
	v_cmp_ne_u32_e32 vcc_lo, 0x7f800000, v3
                                        ; implicit-def: $vgpr3
	s_and_saveexec_b32 s0, vcc_lo
	s_delay_alu instid0(SALU_CYCLE_1)
	s_xor_b32 s0, exec_lo, s0
; %bb.5649:
	v_bfe_u32 v3, v2, 16, 1
	s_delay_alu instid0(VALU_DEP_1)
	v_add3_u32 v3, v2, v3, 0x7fff
                                        ; implicit-def: $vgpr2
; %bb.5650:
	s_and_not1_saveexec_b32 s0, s0
; %bb.5651:
	v_and_b32_e32 v3, 0xffff, v2
	v_or_b32_e32 v4, 0x10000, v2
	s_delay_alu instid0(VALU_DEP_2) | instskip(NEXT) | instid1(VALU_DEP_2)
	v_cmp_eq_u32_e32 vcc_lo, 0, v3
	v_cndmask_b32_e32 v3, v4, v2, vcc_lo
; %bb.5652:
	s_or_b32 exec_lo, exec_lo, s0
	flat_store_d16_hi_b16 v[0:1], v3 offset:368
.LBB448_5653:
	s_or_b32 exec_lo, exec_lo, s5
	s_clause 0x1f
	scratch_load_b32 v191, off, s32 offset:8
	scratch_load_b32 v190, off, s32 offset:12
	;; [unrolled: 1-line block ×32, first 2 shown]
	s_clause 0x1f
	scratch_load_b32 v127, off, s32 offset:136
	scratch_load_b32 v126, off, s32 offset:140
	;; [unrolled: 1-line block ×32, first 2 shown]
	s_clause 0xf
	scratch_load_b32 v63, off, s32 offset:264
	scratch_load_b32 v62, off, s32 offset:268
	scratch_load_b32 v61, off, s32 offset:272
	scratch_load_b32 v60, off, s32 offset:276
	scratch_load_b32 v59, off, s32 offset:280
	scratch_load_b32 v58, off, s32 offset:284
	scratch_load_b32 v57, off, s32 offset:288
	scratch_load_b32 v56, off, s32 offset:292
	scratch_load_b32 v47, off, s32 offset:296
	scratch_load_b32 v46, off, s32 offset:300
	scratch_load_b32 v45, off, s32 offset:304
	scratch_load_b32 v44, off, s32 offset:308
	scratch_load_b32 v43, off, s32 offset:312
	scratch_load_b32 v42, off, s32 offset:316
	scratch_load_b32 v41, off, s32 offset:320
	scratch_load_b32 v40, off, s32 offset:324
	s_waitcnt vmcnt(0) lgkmcnt(0)
	s_setpc_b64 s[30:31]
.LBB448_5654:
	v_lshl_add_u32 v27, v1, 2, v25
	ds_load_b32 v27, v27
	s_waitcnt lgkmcnt(0)
	v_add_f32_e32 v0, v27, v0
	s_or_b32 exec_lo, exec_lo, s0
	s_and_saveexec_b32 s0, vcc_lo
	s_cbranch_execz .LBB448_5501
.LBB448_5655:
	v_lshl_add_u32 v27, v1, 2, v25
	ds_load_b32 v27, v27 offset:32
	s_waitcnt lgkmcnt(0)
	v_add_f32_e32 v24, v27, v24
	s_or_b32 exec_lo, exec_lo, s0
	s_and_saveexec_b32 s0, vcc_lo
	s_cbranch_execz .LBB448_5502
.LBB448_5656:
	v_lshl_add_u32 v27, v1, 2, v25
	ds_load_b32 v27, v27 offset:64
	s_waitcnt lgkmcnt(0)
	v_add_f32_e32 v23, v27, v23
	s_or_b32 exec_lo, exec_lo, s0
	s_and_saveexec_b32 s0, vcc_lo
	s_cbranch_execz .LBB448_5503
.LBB448_5657:
	v_lshl_add_u32 v27, v1, 2, v25
	ds_load_b32 v27, v27 offset:96
	s_waitcnt lgkmcnt(0)
	v_add_f32_e32 v22, v27, v22
	s_or_b32 exec_lo, exec_lo, s0
	s_and_saveexec_b32 s0, vcc_lo
	s_cbranch_execz .LBB448_5504
.LBB448_5658:
	v_lshl_add_u32 v27, v1, 2, v25
	ds_load_b32 v27, v27 offset:128
	s_waitcnt lgkmcnt(0)
	v_add_f32_e32 v21, v27, v21
	s_or_b32 exec_lo, exec_lo, s0
	s_and_saveexec_b32 s0, vcc_lo
	s_cbranch_execz .LBB448_5505
.LBB448_5659:
	v_lshl_add_u32 v27, v1, 2, v25
	ds_load_b32 v27, v27 offset:160
	s_waitcnt lgkmcnt(0)
	v_add_f32_e32 v20, v27, v20
	s_or_b32 exec_lo, exec_lo, s0
	s_and_saveexec_b32 s0, vcc_lo
	s_cbranch_execz .LBB448_5506
.LBB448_5660:
	v_lshl_add_u32 v27, v1, 2, v25
	ds_load_b32 v27, v27 offset:192
	s_waitcnt lgkmcnt(0)
	v_add_f32_e32 v18, v27, v18
	s_or_b32 exec_lo, exec_lo, s0
	s_and_saveexec_b32 s0, vcc_lo
	s_cbranch_execz .LBB448_5507
.LBB448_5661:
	v_lshl_add_u32 v27, v1, 2, v25
	ds_load_b32 v27, v27 offset:224
	s_waitcnt lgkmcnt(0)
	v_add_f32_e32 v19, v27, v19
	s_or_b32 exec_lo, exec_lo, s0
	s_and_saveexec_b32 s0, vcc_lo
	s_cbranch_execz .LBB448_5508
.LBB448_5662:
	v_lshl_add_u32 v27, v1, 2, v25
	ds_load_b32 v27, v27 offset:256
	s_waitcnt lgkmcnt(0)
	v_add_f32_e32 v17, v27, v17
	s_or_b32 exec_lo, exec_lo, s0
	s_and_saveexec_b32 s0, vcc_lo
	s_cbranch_execz .LBB448_5509
.LBB448_5663:
	v_lshl_add_u32 v27, v1, 2, v25
	ds_load_b32 v27, v27 offset:288
	s_waitcnt lgkmcnt(0)
	v_add_f32_e32 v16, v27, v16
	s_or_b32 exec_lo, exec_lo, s0
	s_and_saveexec_b32 s0, vcc_lo
	s_cbranch_execz .LBB448_5510
.LBB448_5664:
	v_lshl_add_u32 v27, v1, 2, v25
	ds_load_b32 v27, v27 offset:320
	s_waitcnt lgkmcnt(0)
	v_add_f32_e32 v15, v27, v15
	s_or_b32 exec_lo, exec_lo, s0
	s_and_saveexec_b32 s0, vcc_lo
	s_cbranch_execz .LBB448_5511
.LBB448_5665:
	v_lshl_add_u32 v27, v1, 2, v25
	ds_load_b32 v27, v27 offset:352
	s_waitcnt lgkmcnt(0)
	v_add_f32_e32 v14, v27, v14
	s_or_b32 exec_lo, exec_lo, s0
	s_and_saveexec_b32 s0, vcc_lo
	s_cbranch_execz .LBB448_5512
.LBB448_5666:
	v_lshl_add_u32 v27, v1, 2, v25
	ds_load_b32 v27, v27 offset:384
	s_waitcnt lgkmcnt(0)
	v_add_f32_e32 v13, v27, v13
	s_or_b32 exec_lo, exec_lo, s0
	s_and_saveexec_b32 s0, vcc_lo
	s_cbranch_execz .LBB448_5513
.LBB448_5667:
	v_lshl_add_u32 v27, v1, 2, v25
	ds_load_b32 v27, v27 offset:416
	s_waitcnt lgkmcnt(0)
	v_add_f32_e32 v12, v27, v12
	s_or_b32 exec_lo, exec_lo, s0
	s_and_saveexec_b32 s0, vcc_lo
	s_cbranch_execz .LBB448_5514
.LBB448_5668:
	v_lshl_add_u32 v27, v1, 2, v25
	ds_load_b32 v27, v27 offset:448
	s_waitcnt lgkmcnt(0)
	v_add_f32_e32 v11, v27, v11
	s_or_b32 exec_lo, exec_lo, s0
	s_and_saveexec_b32 s0, vcc_lo
	s_cbranch_execz .LBB448_5515
.LBB448_5669:
	v_lshl_add_u32 v27, v1, 2, v25
	ds_load_b32 v27, v27 offset:480
	s_waitcnt lgkmcnt(0)
	v_add_f32_e32 v10, v27, v10
	s_or_b32 exec_lo, exec_lo, s0
	s_and_saveexec_b32 s0, vcc_lo
	s_cbranch_execz .LBB448_5516
.LBB448_5670:
	v_lshl_add_u32 v27, v1, 2, v25
	ds_load_b32 v27, v27 offset:512
	s_waitcnt lgkmcnt(0)
	v_add_f32_e32 v9, v27, v9
	s_or_b32 exec_lo, exec_lo, s0
	s_and_saveexec_b32 s0, vcc_lo
	s_cbranch_execz .LBB448_5517
.LBB448_5671:
	v_lshl_add_u32 v27, v1, 2, v25
	ds_load_b32 v27, v27 offset:544
	s_waitcnt lgkmcnt(0)
	v_add_f32_e32 v8, v27, v8
	s_or_b32 exec_lo, exec_lo, s0
	s_and_saveexec_b32 s0, vcc_lo
	s_cbranch_execz .LBB448_5518
.LBB448_5672:
	v_lshl_add_u32 v27, v1, 2, v25
	ds_load_b32 v27, v27 offset:576
	s_waitcnt lgkmcnt(0)
	v_add_f32_e32 v7, v27, v7
	s_or_b32 exec_lo, exec_lo, s0
	s_and_saveexec_b32 s0, vcc_lo
	s_cbranch_execz .LBB448_5519
.LBB448_5673:
	v_lshl_add_u32 v27, v1, 2, v25
	ds_load_b32 v27, v27 offset:608
	s_waitcnt lgkmcnt(0)
	v_add_f32_e32 v6, v27, v6
	s_or_b32 exec_lo, exec_lo, s0
	s_and_saveexec_b32 s0, vcc_lo
	s_cbranch_execz .LBB448_5520
.LBB448_5674:
	v_lshl_add_u32 v27, v1, 2, v25
	ds_load_b32 v27, v27 offset:640
	s_waitcnt lgkmcnt(0)
	v_add_f32_e32 v5, v27, v5
	s_or_b32 exec_lo, exec_lo, s0
	s_and_saveexec_b32 s0, vcc_lo
	s_cbranch_execz .LBB448_5521
.LBB448_5675:
	v_lshl_add_u32 v27, v1, 2, v25
	ds_load_b32 v27, v27 offset:672
	s_waitcnt lgkmcnt(0)
	v_add_f32_e32 v4, v27, v4
	s_or_b32 exec_lo, exec_lo, s0
	s_and_saveexec_b32 s0, vcc_lo
	s_cbranch_execz .LBB448_5522
.LBB448_5676:
	v_lshl_add_u32 v27, v1, 2, v25
	ds_load_b32 v27, v27 offset:704
	s_waitcnt lgkmcnt(0)
	v_add_f32_e32 v3, v27, v3
	s_or_b32 exec_lo, exec_lo, s0
	s_and_saveexec_b32 s0, vcc_lo
	s_cbranch_execnz .LBB448_5523
	s_branch .LBB448_5524
.LBB448_5677:
	ds_load_b32 v25, v1
	s_waitcnt lgkmcnt(0)
	v_add_f32_e32 v0, v25, v0
	s_or_b32 exec_lo, exec_lo, s3
	s_and_saveexec_b32 s3, vcc_lo
	s_cbranch_execz .LBB448_5530
.LBB448_5678:
	ds_load_b32 v25, v1 offset:32
	s_waitcnt lgkmcnt(0)
	v_add_f32_e32 v24, v25, v24
	s_or_b32 exec_lo, exec_lo, s3
	s_and_saveexec_b32 s3, vcc_lo
	s_cbranch_execz .LBB448_5531
.LBB448_5679:
	ds_load_b32 v25, v1 offset:64
	s_waitcnt lgkmcnt(0)
	v_add_f32_e32 v23, v25, v23
	s_or_b32 exec_lo, exec_lo, s3
	s_and_saveexec_b32 s3, vcc_lo
	s_cbranch_execz .LBB448_5532
.LBB448_5680:
	ds_load_b32 v25, v1 offset:96
	s_waitcnt lgkmcnt(0)
	v_add_f32_e32 v22, v25, v22
	s_or_b32 exec_lo, exec_lo, s3
	s_and_saveexec_b32 s3, vcc_lo
	s_cbranch_execz .LBB448_5533
.LBB448_5681:
	ds_load_b32 v25, v1 offset:128
	s_waitcnt lgkmcnt(0)
	v_add_f32_e32 v21, v25, v21
	s_or_b32 exec_lo, exec_lo, s3
	s_and_saveexec_b32 s3, vcc_lo
	s_cbranch_execz .LBB448_5534
.LBB448_5682:
	ds_load_b32 v25, v1 offset:160
	s_waitcnt lgkmcnt(0)
	v_add_f32_e32 v20, v25, v20
	s_or_b32 exec_lo, exec_lo, s3
	s_and_saveexec_b32 s3, vcc_lo
	s_cbranch_execz .LBB448_5535
.LBB448_5683:
	ds_load_b32 v25, v1 offset:192
	s_waitcnt lgkmcnt(0)
	v_add_f32_e32 v18, v25, v18
	s_or_b32 exec_lo, exec_lo, s3
	s_and_saveexec_b32 s3, vcc_lo
	s_cbranch_execz .LBB448_5536
.LBB448_5684:
	ds_load_b32 v25, v1 offset:224
	s_waitcnt lgkmcnt(0)
	v_add_f32_e32 v19, v25, v19
	s_or_b32 exec_lo, exec_lo, s3
	s_and_saveexec_b32 s3, vcc_lo
	s_cbranch_execz .LBB448_5537
.LBB448_5685:
	ds_load_b32 v25, v1 offset:256
	s_waitcnt lgkmcnt(0)
	v_add_f32_e32 v17, v25, v17
	s_or_b32 exec_lo, exec_lo, s3
	s_and_saveexec_b32 s3, vcc_lo
	s_cbranch_execz .LBB448_5538
.LBB448_5686:
	ds_load_b32 v25, v1 offset:288
	s_waitcnt lgkmcnt(0)
	v_add_f32_e32 v16, v25, v16
	s_or_b32 exec_lo, exec_lo, s3
	s_and_saveexec_b32 s3, vcc_lo
	s_cbranch_execz .LBB448_5539
.LBB448_5687:
	ds_load_b32 v25, v1 offset:320
	s_waitcnt lgkmcnt(0)
	v_add_f32_e32 v15, v25, v15
	s_or_b32 exec_lo, exec_lo, s3
	s_and_saveexec_b32 s3, vcc_lo
	s_cbranch_execz .LBB448_5540
.LBB448_5688:
	ds_load_b32 v25, v1 offset:352
	s_waitcnt lgkmcnt(0)
	v_add_f32_e32 v14, v25, v14
	s_or_b32 exec_lo, exec_lo, s3
	s_and_saveexec_b32 s3, vcc_lo
	s_cbranch_execz .LBB448_5541
.LBB448_5689:
	ds_load_b32 v25, v1 offset:384
	s_waitcnt lgkmcnt(0)
	v_add_f32_e32 v13, v25, v13
	s_or_b32 exec_lo, exec_lo, s3
	s_and_saveexec_b32 s3, vcc_lo
	s_cbranch_execz .LBB448_5542
.LBB448_5690:
	ds_load_b32 v25, v1 offset:416
	s_waitcnt lgkmcnt(0)
	v_add_f32_e32 v12, v25, v12
	s_or_b32 exec_lo, exec_lo, s3
	s_and_saveexec_b32 s3, vcc_lo
	s_cbranch_execz .LBB448_5543
.LBB448_5691:
	ds_load_b32 v25, v1 offset:448
	s_waitcnt lgkmcnt(0)
	v_add_f32_e32 v11, v25, v11
	s_or_b32 exec_lo, exec_lo, s3
	s_and_saveexec_b32 s3, vcc_lo
	s_cbranch_execz .LBB448_5544
.LBB448_5692:
	ds_load_b32 v25, v1 offset:480
	s_waitcnt lgkmcnt(0)
	v_add_f32_e32 v10, v25, v10
	s_or_b32 exec_lo, exec_lo, s3
	s_and_saveexec_b32 s3, vcc_lo
	s_cbranch_execz .LBB448_5545
.LBB448_5693:
	ds_load_b32 v25, v1 offset:512
	s_waitcnt lgkmcnt(0)
	v_add_f32_e32 v9, v25, v9
	s_or_b32 exec_lo, exec_lo, s3
	s_and_saveexec_b32 s3, vcc_lo
	s_cbranch_execz .LBB448_5546
.LBB448_5694:
	ds_load_b32 v25, v1 offset:544
	s_waitcnt lgkmcnt(0)
	v_add_f32_e32 v8, v25, v8
	s_or_b32 exec_lo, exec_lo, s3
	s_and_saveexec_b32 s3, vcc_lo
	s_cbranch_execz .LBB448_5547
.LBB448_5695:
	ds_load_b32 v25, v1 offset:576
	s_waitcnt lgkmcnt(0)
	v_add_f32_e32 v7, v25, v7
	s_or_b32 exec_lo, exec_lo, s3
	s_and_saveexec_b32 s3, vcc_lo
	s_cbranch_execz .LBB448_5548
.LBB448_5696:
	ds_load_b32 v25, v1 offset:608
	s_waitcnt lgkmcnt(0)
	v_add_f32_e32 v6, v25, v6
	s_or_b32 exec_lo, exec_lo, s3
	s_and_saveexec_b32 s3, vcc_lo
	s_cbranch_execz .LBB448_5549
.LBB448_5697:
	ds_load_b32 v25, v1 offset:640
	s_waitcnt lgkmcnt(0)
	v_add_f32_e32 v5, v25, v5
	s_or_b32 exec_lo, exec_lo, s3
	s_and_saveexec_b32 s3, vcc_lo
	s_cbranch_execz .LBB448_5550
.LBB448_5698:
	ds_load_b32 v25, v1 offset:672
	s_waitcnt lgkmcnt(0)
	v_add_f32_e32 v4, v25, v4
	s_or_b32 exec_lo, exec_lo, s3
	s_and_saveexec_b32 s3, vcc_lo
	s_cbranch_execz .LBB448_5551
.LBB448_5699:
	ds_load_b32 v25, v1 offset:704
	s_waitcnt lgkmcnt(0)
	v_add_f32_e32 v3, v25, v3
	s_or_b32 exec_lo, exec_lo, s3
	s_and_saveexec_b32 s3, vcc_lo
	s_cbranch_execnz .LBB448_5552
	s_branch .LBB448_5553
.Lfunc_end448:
	.size	_ZN4vllm22paged_attention_kernelI14__hip_bfloat16hLi192ELi32ELi128ELNS_18Fp8KVCacheDataTypeE1ELb1ELi512EEEvPfS3_PT_PKS4_PKT0_SA_ifPKiSC_iPKfiiiSE_SE_iiiii, .Lfunc_end448-_ZN4vllm22paged_attention_kernelI14__hip_bfloat16hLi192ELi32ELi128ELNS_18Fp8KVCacheDataTypeE1ELb1ELi512EEEvPfS3_PT_PKS4_PKT0_SA_ifPKiSC_iPKfiiiSE_SE_iiiii
                                        ; -- End function
	.section	.AMDGPU.csdata,"",@progbits
; Function info:
; codeLenInByte = 179540
; NumSgprs: 35
; NumVgprs: 192
; ScratchSize: 1324
; MemoryBound: 0
	.section	.text._ZN4vllm25paged_attention_v2_kernelI14__hip_bfloat16hLi192ELi32ELi128ELNS_18Fp8KVCacheDataTypeE1ELb1ELi512EEEvPfS3_PT_PKS4_PKT0_SA_ifPKiSC_iPKfiiiSE_SE_iiiii,"axG",@progbits,_ZN4vllm25paged_attention_v2_kernelI14__hip_bfloat16hLi192ELi32ELi128ELNS_18Fp8KVCacheDataTypeE1ELb1ELi512EEEvPfS3_PT_PKS4_PKT0_SA_ifPKiSC_iPKfiiiSE_SE_iiiii,comdat
	.protected	_ZN4vllm25paged_attention_v2_kernelI14__hip_bfloat16hLi192ELi32ELi128ELNS_18Fp8KVCacheDataTypeE1ELb1ELi512EEEvPfS3_PT_PKS4_PKT0_SA_ifPKiSC_iPKfiiiSE_SE_iiiii ; -- Begin function _ZN4vllm25paged_attention_v2_kernelI14__hip_bfloat16hLi192ELi32ELi128ELNS_18Fp8KVCacheDataTypeE1ELb1ELi512EEEvPfS3_PT_PKS4_PKT0_SA_ifPKiSC_iPKfiiiSE_SE_iiiii
	.globl	_ZN4vllm25paged_attention_v2_kernelI14__hip_bfloat16hLi192ELi32ELi128ELNS_18Fp8KVCacheDataTypeE1ELb1ELi512EEEvPfS3_PT_PKS4_PKT0_SA_ifPKiSC_iPKfiiiSE_SE_iiiii
	.p2align	8
	.type	_ZN4vllm25paged_attention_v2_kernelI14__hip_bfloat16hLi192ELi32ELi128ELNS_18Fp8KVCacheDataTypeE1ELb1ELi512EEEvPfS3_PT_PKS4_PKT0_SA_ifPKiSC_iPKfiiiSE_SE_iiiii,@function
_ZN4vllm25paged_attention_v2_kernelI14__hip_bfloat16hLi192ELi32ELi128ELNS_18Fp8KVCacheDataTypeE1ELb1ELi512EEEvPfS3_PT_PKS4_PKT0_SA_ifPKiSC_iPKfiiiSE_SE_iiiii: ; @_ZN4vllm25paged_attention_v2_kernelI14__hip_bfloat16hLi192ELi32ELi128ELNS_18Fp8KVCacheDataTypeE1ELb1ELi512EEEvPfS3_PT_PKS4_PKT0_SA_ifPKiSC_iPKfiiiSE_SE_iiiii
; %bb.0:
	s_mov_b32 s12, s13
	s_clause 0x7
	s_load_b128 s[4:7], s[0:1], 0x78
	s_load_b32 s8, s[0:1], 0x88
	s_load_b256 s[24:31], s[0:1], 0x0
	s_load_b256 s[36:43], s[0:1], 0x20
	s_load_b64 s[2:3], s[0:1], 0x40
	s_load_b64 s[10:11], s[0:1], 0x50
	s_load_b32 s13, s[0:1], 0x48
	s_load_b256 s[16:23], s[0:1], 0x58
	s_mov_b32 s32, 0
	v_mov_b32_e32 v31, v0
	s_waitcnt lgkmcnt(0)
	v_dual_mov_b32 v1, s7 :: v_dual_mov_b32 v2, s8
	v_dual_mov_b32 v0, s24 :: v_dual_mov_b32 v3, s27
	;; [unrolled: 1-line block ×3, first 2 shown]
	v_mov_b32_e32 v6, s30
	scratch_store_b64 off, v[1:2], s32
	v_dual_mov_b32 v1, s25 :: v_dual_mov_b32 v2, s26
	v_dual_mov_b32 v7, s31 :: v_dual_mov_b32 v8, s36
	v_dual_mov_b32 v9, s37 :: v_dual_mov_b32 v10, s38
	v_dual_mov_b32 v11, s39 :: v_dual_mov_b32 v12, s40
	v_dual_mov_b32 v13, s41 :: v_dual_mov_b32 v14, s42
	v_dual_mov_b32 v15, s43 :: v_dual_mov_b32 v16, s2
	v_dual_mov_b32 v17, s3 :: v_dual_mov_b32 v18, s13
	v_dual_mov_b32 v19, s10 :: v_dual_mov_b32 v20, s11
	v_dual_mov_b32 v21, s16 :: v_dual_mov_b32 v22, s17
	v_dual_mov_b32 v23, s18 :: v_dual_mov_b32 v24, s20
	v_dual_mov_b32 v25, s21 :: v_dual_mov_b32 v26, s22
	v_dual_mov_b32 v27, s23 :: v_dual_mov_b32 v28, s4
	v_dual_mov_b32 v29, s5 :: v_dual_mov_b32 v30, s6
	s_add_u32 s8, s0, 0x90
	s_addc_u32 s9, s1, 0
	s_mov_b32 s13, s14
	s_mov_b32 s14, s15
	;; [unrolled: 1-line block ×3, first 2 shown]
	s_getpc_b64 s[0:1]
	s_add_u32 s0, s0, _ZN4vllm22paged_attention_kernelI14__hip_bfloat16hLi192ELi32ELi128ELNS_18Fp8KVCacheDataTypeE1ELb1ELi512EEEvPfS3_PT_PKS4_PKT0_SA_ifPKiSC_iPKfiiiSE_SE_iiiii@rel32@lo+4
	s_addc_u32 s1, s1, _ZN4vllm22paged_attention_kernelI14__hip_bfloat16hLi192ELi32ELi128ELNS_18Fp8KVCacheDataTypeE1ELb1ELi512EEEvPfS3_PT_PKS4_PKT0_SA_ifPKiSC_iPKfiiiSE_SE_iiiii@rel32@hi+12
	s_delay_alu instid0(SALU_CYCLE_1)
	s_swappc_b64 s[30:31], s[0:1]
	s_endpgm
	.section	.rodata,"a",@progbits
	.p2align	6, 0x0
	.amdhsa_kernel _ZN4vllm25paged_attention_v2_kernelI14__hip_bfloat16hLi192ELi32ELi128ELNS_18Fp8KVCacheDataTypeE1ELb1ELi512EEEvPfS3_PT_PKS4_PKT0_SA_ifPKiSC_iPKfiiiSE_SE_iiiii
		.amdhsa_group_segment_fixed_size 416
		.amdhsa_private_segment_fixed_size 1324
		.amdhsa_kernarg_size 400
		.amdhsa_user_sgpr_count 13
		.amdhsa_user_sgpr_dispatch_ptr 0
		.amdhsa_user_sgpr_queue_ptr 0
		.amdhsa_user_sgpr_kernarg_segment_ptr 1
		.amdhsa_user_sgpr_dispatch_id 0
		.amdhsa_user_sgpr_private_segment_size 0
		.amdhsa_wavefront_size32 1
		.amdhsa_uses_dynamic_stack 0
		.amdhsa_enable_private_segment 1
		.amdhsa_system_sgpr_workgroup_id_x 1
		.amdhsa_system_sgpr_workgroup_id_y 1
		.amdhsa_system_sgpr_workgroup_id_z 1
		.amdhsa_system_sgpr_workgroup_info 0
		.amdhsa_system_vgpr_workitem_id 0
		.amdhsa_next_free_vgpr 192
		.amdhsa_next_free_sgpr 44
		.amdhsa_reserve_vcc 1
		.amdhsa_float_round_mode_32 0
		.amdhsa_float_round_mode_16_64 0
		.amdhsa_float_denorm_mode_32 3
		.amdhsa_float_denorm_mode_16_64 3
		.amdhsa_dx10_clamp 1
		.amdhsa_ieee_mode 1
		.amdhsa_fp16_overflow 0
		.amdhsa_workgroup_processor_mode 1
		.amdhsa_memory_ordered 1
		.amdhsa_forward_progress 0
		.amdhsa_shared_vgpr_count 0
		.amdhsa_exception_fp_ieee_invalid_op 0
		.amdhsa_exception_fp_denorm_src 0
		.amdhsa_exception_fp_ieee_div_zero 0
		.amdhsa_exception_fp_ieee_overflow 0
		.amdhsa_exception_fp_ieee_underflow 0
		.amdhsa_exception_fp_ieee_inexact 0
		.amdhsa_exception_int_div_zero 0
	.end_amdhsa_kernel
	.section	.text._ZN4vllm25paged_attention_v2_kernelI14__hip_bfloat16hLi192ELi32ELi128ELNS_18Fp8KVCacheDataTypeE1ELb1ELi512EEEvPfS3_PT_PKS4_PKT0_SA_ifPKiSC_iPKfiiiSE_SE_iiiii,"axG",@progbits,_ZN4vllm25paged_attention_v2_kernelI14__hip_bfloat16hLi192ELi32ELi128ELNS_18Fp8KVCacheDataTypeE1ELb1ELi512EEEvPfS3_PT_PKS4_PKT0_SA_ifPKiSC_iPKfiiiSE_SE_iiiii,comdat
.Lfunc_end449:
	.size	_ZN4vllm25paged_attention_v2_kernelI14__hip_bfloat16hLi192ELi32ELi128ELNS_18Fp8KVCacheDataTypeE1ELb1ELi512EEEvPfS3_PT_PKS4_PKT0_SA_ifPKiSC_iPKfiiiSE_SE_iiiii, .Lfunc_end449-_ZN4vllm25paged_attention_v2_kernelI14__hip_bfloat16hLi192ELi32ELi128ELNS_18Fp8KVCacheDataTypeE1ELb1ELi512EEEvPfS3_PT_PKS4_PKT0_SA_ifPKiSC_iPKfiiiSE_SE_iiiii
                                        ; -- End function
	.section	.AMDGPU.csdata,"",@progbits
; Kernel info:
; codeLenInByte = 280
; NumSgprs: 46
; NumVgprs: 192
; ScratchSize: 1324
; MemoryBound: 0
; FloatMode: 240
; IeeeMode: 1
; LDSByteSize: 416 bytes/workgroup (compile time only)
; SGPRBlocks: 5
; VGPRBlocks: 23
; NumSGPRsForWavesPerEU: 46
; NumVGPRsForWavesPerEU: 192
; Occupancy: 8
; WaveLimiterHint : 1
; COMPUTE_PGM_RSRC2:SCRATCH_EN: 1
; COMPUTE_PGM_RSRC2:USER_SGPR: 13
; COMPUTE_PGM_RSRC2:TRAP_HANDLER: 0
; COMPUTE_PGM_RSRC2:TGID_X_EN: 1
; COMPUTE_PGM_RSRC2:TGID_Y_EN: 1
; COMPUTE_PGM_RSRC2:TGID_Z_EN: 1
; COMPUTE_PGM_RSRC2:TIDIG_COMP_CNT: 0
	.text
	.p2align	2                               ; -- Begin function _ZN4vllm22paged_attention_kernelI14__hip_bfloat16hLi256ELi32ELi128ELNS_18Fp8KVCacheDataTypeE1ELb1ELi512EEEvPfS3_PT_PKS4_PKT0_SA_ifPKiSC_iPKfiiiSE_SE_iiiii
	.type	_ZN4vllm22paged_attention_kernelI14__hip_bfloat16hLi256ELi32ELi128ELNS_18Fp8KVCacheDataTypeE1ELb1ELi512EEEvPfS3_PT_PKS4_PKT0_SA_ifPKiSC_iPKfiiiSE_SE_iiiii,@function
_ZN4vllm22paged_attention_kernelI14__hip_bfloat16hLi256ELi32ELi128ELNS_18Fp8KVCacheDataTypeE1ELb1ELi512EEEvPfS3_PT_PKS4_PKT0_SA_ifPKiSC_iPKfiiiSE_SE_iiiii: ; @_ZN4vllm22paged_attention_kernelI14__hip_bfloat16hLi256ELi32ELi128ELNS_18Fp8KVCacheDataTypeE1ELb1ELi512EEEvPfS3_PT_PKS4_PKT0_SA_ifPKiSC_iPKfiiiSE_SE_iiiii
; %bb.0:
	s_waitcnt vmcnt(0) expcnt(0) lgkmcnt(0)
	s_clause 0x1f
	scratch_store_b32 off, v40, s32 offset:324
	; meta instruction
	scratch_store_b32 off, v41, s32 offset:320
	; meta instruction
	scratch_store_b32 off, v42, s32 offset:316
	; meta instruction
	scratch_store_b32 off, v43, s32 offset:312
	; meta instruction
	scratch_store_b32 off, v44, s32 offset:308
	; meta instruction
	scratch_store_b32 off, v45, s32 offset:304
	; meta instruction
	scratch_store_b32 off, v46, s32 offset:300
	; meta instruction
	scratch_store_b32 off, v47, s32 offset:296
	; meta instruction
	scratch_store_b32 off, v56, s32 offset:292
	; meta instruction
	scratch_store_b32 off, v57, s32 offset:288
	; meta instruction
	scratch_store_b32 off, v58, s32 offset:284
	; meta instruction
	scratch_store_b32 off, v59, s32 offset:280
	; meta instruction
	scratch_store_b32 off, v60, s32 offset:276
	; meta instruction
	scratch_store_b32 off, v61, s32 offset:272
	; meta instruction
	scratch_store_b32 off, v62, s32 offset:268
	; meta instruction
	scratch_store_b32 off, v63, s32 offset:264
	; meta instruction
	scratch_store_b32 off, v72, s32 offset:260
	; meta instruction
	scratch_store_b32 off, v73, s32 offset:256
	; meta instruction
	scratch_store_b32 off, v74, s32 offset:252
	; meta instruction
	scratch_store_b32 off, v75, s32 offset:248
	; meta instruction
	scratch_store_b32 off, v76, s32 offset:244
	; meta instruction
	scratch_store_b32 off, v77, s32 offset:240
	; meta instruction
	scratch_store_b32 off, v78, s32 offset:236
	; meta instruction
	scratch_store_b32 off, v79, s32 offset:232
	; meta instruction
	scratch_store_b32 off, v88, s32 offset:228
	; meta instruction
	scratch_store_b32 off, v89, s32 offset:224
	; meta instruction
	scratch_store_b32 off, v90, s32 offset:220
	; meta instruction
	scratch_store_b32 off, v91, s32 offset:216
	; meta instruction
	scratch_store_b32 off, v92, s32 offset:212
	; meta instruction
	scratch_store_b32 off, v93, s32 offset:208
	; meta instruction
	scratch_store_b32 off, v94, s32 offset:204
	; meta instruction
	scratch_store_b32 off, v95, s32 offset:200
	s_clause 0x1f
	scratch_store_b32 off, v104, s32 offset:196
	; meta instruction
	scratch_store_b32 off, v105, s32 offset:192
	; meta instruction
	;; [unrolled: 2-line block ×31, first 2 shown]
	scratch_store_b32 off, v159, s32 offset:72
	s_clause 0xf
	scratch_store_b32 off, v168, s32 offset:68
	; meta instruction
	scratch_store_b32 off, v169, s32 offset:64
	; meta instruction
	;; [unrolled: 2-line block ×15, first 2 shown]
	scratch_store_b32 off, v191, s32 offset:8
	s_mov_b32 s10, s13
	s_ashr_i32 s11, s13, 31
	s_clause 0x3
	scratch_store_b64 off, v[26:27], s32 offset:844
	scratch_store_b64 off, v[24:25], s32 offset:692
	scratch_store_b32 off, v22, s32 offset:352
	scratch_store_b32 off, v13, s32 offset:700
	s_lshl_b64 s[0:1], s[10:11], 2
	v_mov_b32_e32 v24, v0
	v_add_co_u32 v0, vcc_lo, v16, s0
	v_mov_b32_e32 v22, v1
	v_add_co_ci_u32_e32 v1, vcc_lo, s1, v17, vcc_lo
	s_clause 0x1
	scratch_store_b32 off, v5, s32 offset:1768
	scratch_store_b32 off, v4, s32 offset:1772
	flat_load_b32 v39, v[0:1]
	s_clause 0x1
	scratch_load_b32 v0, off, s32 offset:4
	scratch_load_b32 v1, off, s32
	v_dual_mov_b32 v33, v11 :: v_dual_mov_b32 v34, v10
	v_dual_mov_b32 v25, v3 :: v_dual_mov_b32 v26, v2
	s_mov_b32 s6, s15
	s_lshl_b32 s15, s14, 9
	s_mov_b32 s11, exec_lo
	s_waitcnt vmcnt(2) lgkmcnt(0)
	v_cmpx_lt_i32_e64 s15, v39
	s_cbranch_execnz .LBB450_1
; %bb.7444:
	s_getpc_b64 s[28:29]
.Lpost_getpc5:
	s_add_u32 s28, s28, (.LBB450_7443-.Lpost_getpc5)&4294967295
	s_addc_u32 s29, s29, (.LBB450_7443-.Lpost_getpc5)>>32
	s_setpc_b64 s[28:29]
.LBB450_1:
	v_sub_nc_u32_e32 v2, 0, v12
	s_clause 0x1
	s_load_b32 s0, s[8:9], 0x10
	s_load_b32 s1, s[8:9], 0x0
	s_delay_alu instid0(VALU_DEP_1) | instskip(NEXT) | instid1(VALU_DEP_1)
	v_max_i32_e32 v2, v12, v2
	v_cvt_f32_u32_e32 v3, v2
	v_sub_nc_u32_e32 v4, 0, v2
	s_delay_alu instid0(VALU_DEP_2) | instskip(SKIP_2) | instid1(SALU_CYCLE_1)
	v_rcp_iflag_f32_e32 v3, v3
	s_waitcnt lgkmcnt(0)
	s_lshr_b32 s0, s0, 16
	s_cmp_lg_u32 s0, 0
	s_cselect_b32 s0, -1, 0
	s_waitcnt_depctr 0xfff
	v_mul_f32_e32 v3, 0x4f7ffffe, v3
	s_cmp_lg_u32 s0, 0
	s_addc_u32 s20, s1, 0
	s_abs_i32 s1, s12
	s_delay_alu instid0(VALU_DEP_1) | instskip(SKIP_1) | instid1(VALU_DEP_1)
	v_cvt_u32_f32_e32 v3, v3
	s_abs_i32 s0, s20
	v_mul_lo_u32 v4, v4, v3
	s_delay_alu instid0(VALU_DEP_1) | instskip(NEXT) | instid1(VALU_DEP_1)
	v_mul_hi_u32 v4, v3, v4
	v_add_nc_u32_e32 v3, v3, v4
	s_delay_alu instid0(VALU_DEP_1) | instskip(NEXT) | instid1(VALU_DEP_1)
	v_mul_hi_u32 v3, s0, v3
	v_mul_lo_u32 v4, v3, v2
	v_add_nc_u32_e32 v5, 1, v3
	s_delay_alu instid0(VALU_DEP_2) | instskip(SKIP_1) | instid1(VALU_DEP_1)
	v_sub_nc_u32_e32 v4, s0, v4
	s_mov_b32 s0, exec_lo
	v_sub_nc_u32_e32 v10, v4, v2
	v_cmp_ge_u32_e32 vcc_lo, v4, v2
	s_delay_alu instid0(VALU_DEP_2) | instskip(SKIP_1) | instid1(VALU_DEP_2)
	v_dual_cndmask_b32 v3, v3, v5 :: v_dual_cndmask_b32 v4, v4, v10
	v_xor_b32_e32 v5, s20, v12
	v_add_nc_u32_e32 v10, 1, v3
	s_delay_alu instid0(VALU_DEP_3) | instskip(NEXT) | instid1(VALU_DEP_3)
	v_cmp_ge_u32_e32 vcc_lo, v4, v2
	v_ashrrev_i32_e32 v5, 31, v5
	s_delay_alu instid0(VALU_DEP_3) | instskip(NEXT) | instid1(VALU_DEP_1)
	v_cndmask_b32_e32 v2, v3, v10, vcc_lo
	v_xor_b32_e32 v2, v2, v5
	s_delay_alu instid0(VALU_DEP_1) | instskip(NEXT) | instid1(VALU_DEP_1)
	v_sub_nc_u32_e32 v3, v2, v5
	v_sub_nc_u32_e32 v2, 0, v3
	s_delay_alu instid0(VALU_DEP_1) | instskip(NEXT) | instid1(VALU_DEP_1)
	v_max_i32_e32 v2, v3, v2
	v_cvt_f32_u32_e32 v4, v2
	v_sub_nc_u32_e32 v5, 0, v2
	s_delay_alu instid0(VALU_DEP_2) | instskip(SKIP_2) | instid1(VALU_DEP_1)
	v_rcp_iflag_f32_e32 v4, v4
	s_waitcnt_depctr 0xfff
	v_mul_f32_e32 v4, 0x4f7ffffe, v4
	v_cvt_u32_f32_e32 v4, v4
	s_delay_alu instid0(VALU_DEP_1) | instskip(NEXT) | instid1(VALU_DEP_1)
	v_mul_lo_u32 v5, v5, v4
	v_mul_hi_u32 v5, v4, v5
	s_delay_alu instid0(VALU_DEP_1) | instskip(NEXT) | instid1(VALU_DEP_1)
	v_add_nc_u32_e32 v4, v4, v5
	v_mad_u64_u32 v[16:17], null, s1, v4, 0
	v_mov_b32_e32 v4, 0
	scratch_store_b32 off, v4, s32 offset:704 ; 4-byte Folded Spill
	v_cmpx_ne_u64_e32 0, v[19:20]
	s_cbranch_execz .LBB450_3
; %bb.2:
	s_ashr_i32 s13, s12, 31
	s_delay_alu instid0(SALU_CYCLE_1) | instskip(NEXT) | instid1(SALU_CYCLE_1)
	s_lshl_b64 s[2:3], s[12:13], 2
	v_add_co_u32 v4, vcc_lo, v19, s2
	v_add_co_ci_u32_e32 v5, vcc_lo, s3, v20, vcc_lo
	flat_load_b32 v4, v[4:5]
	s_waitcnt vmcnt(0) lgkmcnt(0)
	scratch_store_b32 off, v4, s32 offset:704 ; 4-byte Folded Spill
.LBB450_3:
	s_or_b32 exec_lo, exec_lo, s0
	v_and_b32_e32 v4, 0x3ff, v31
	v_ashrrev_i32_e32 v3, 31, v3
	s_ashr_i32 s2, s12, 31
	s_lshl_b32 s16, s12, 8
	s_delay_alu instid0(VALU_DEP_2)
	v_cmp_gt_u32_e64 s0, 32, v4
	scratch_store_b32 off, v4, s32 offset:852 ; 4-byte Folded Spill
	s_and_saveexec_b32 s3, s0
	s_cbranch_execz .LBB450_5
; %bb.4:
	scratch_load_b32 v10, off, s32 offset:852 ; 4-byte Folded Reload
	v_mul_lo_u32 v4, s10, v21
	s_ashr_i32 s17, s16, 31
	s_delay_alu instid0(SALU_CYCLE_1) | instskip(NEXT) | instid1(VALU_DEP_1)
	s_lshl_b64 s[4:5], s[16:17], 1
	v_ashrrev_i32_e32 v5, 31, v4
	s_delay_alu instid0(VALU_DEP_1) | instskip(NEXT) | instid1(VALU_DEP_1)
	v_lshlrev_b64 v[4:5], 1, v[4:5]
	v_add_co_u32 v4, vcc_lo, v6, v4
	s_delay_alu instid0(VALU_DEP_2) | instskip(NEXT) | instid1(VALU_DEP_2)
	v_add_co_ci_u32_e32 v5, vcc_lo, v7, v5, vcc_lo
	v_add_co_u32 v4, vcc_lo, v4, s4
	s_delay_alu instid0(VALU_DEP_2) | instskip(SKIP_2) | instid1(VALU_DEP_1)
	v_add_co_ci_u32_e32 v5, vcc_lo, s5, v5, vcc_lo
	s_waitcnt vmcnt(0)
	v_lshlrev_b32_e32 v10, 4, v10
	v_add_co_u32 v4, vcc_lo, v4, v10
	s_delay_alu instid0(VALU_DEP_3)
	v_add_co_ci_u32_e32 v5, vcc_lo, 0, v5, vcc_lo
	flat_load_b128 v[4:7], v[4:5]
	s_waitcnt vmcnt(0) lgkmcnt(0)
	ds_store_b128 v10, v[4:7]
.LBB450_5:
	s_or_b32 exec_lo, exec_lo, s3
	s_waitcnt vmcnt(0)
	v_sub_nc_u32_e32 v4, 0, v1
	v_mul_lo_u32 v5, v17, v2
	v_xor_b32_e32 v3, s2, v3
	v_add_nc_u32_e32 v7, 1, v17
	s_delay_alu instid0(VALU_DEP_4) | instskip(NEXT) | instid1(VALU_DEP_4)
	v_max_i32_e32 v48, v1, v4
	v_sub_nc_u32_e32 v5, s1, v5
	s_delay_alu instid0(VALU_DEP_2) | instskip(SKIP_1) | instid1(VALU_DEP_2)
	v_cvt_f32_u32_e32 v4, v48
	s_mov_b32 s1, exec_lo
	v_sub_nc_u32_e32 v10, v5, v2
	s_delay_alu instid0(VALU_DEP_2)
	v_rcp_iflag_f32_e32 v4, v4
	v_cmp_ge_u32_e32 vcc_lo, v5, v2
	v_cndmask_b32_e32 v7, v17, v7, vcc_lo
	s_waitcnt_depctr 0xfff
	v_dual_cndmask_b32 v5, v5, v10 :: v_dual_mul_f32 v4, 0x4f7ffffe, v4
	v_add_nc_u32_e32 v10, 1, v7
	s_delay_alu instid0(VALU_DEP_2) | instskip(NEXT) | instid1(VALU_DEP_3)
	v_cmp_ge_u32_e32 vcc_lo, v5, v2
	v_cvt_u32_f32_e32 v6, v4
	v_sub_nc_u32_e32 v4, 0, v48
	s_delay_alu instid0(VALU_DEP_1) | instskip(SKIP_1) | instid1(VALU_DEP_1)
	v_mul_lo_u32 v11, v4, v6
	v_add_nc_u32_e32 v4, -1, v39
	v_sub_nc_u32_e32 v13, 0, v4
	s_delay_alu instid0(VALU_DEP_3) | instskip(SKIP_1) | instid1(VALU_DEP_3)
	v_mul_hi_u32 v11, v6, v11
	v_cndmask_b32_e32 v5, v7, v10, vcc_lo
	v_max_i32_e32 v2, v4, v13
	s_delay_alu instid0(VALU_DEP_3) | instskip(NEXT) | instid1(VALU_DEP_3)
	v_add_nc_u32_e32 v10, v6, v11
	v_xor_b32_e32 v5, v5, v3
	s_delay_alu instid0(VALU_DEP_2) | instskip(NEXT) | instid1(VALU_DEP_2)
	v_mad_u64_u32 v[6:7], null, v2, v10, 0
	v_sub_nc_u32_e32 v6, v5, v3
	scratch_store_b32 off, v10, s32 offset:344 ; 4-byte Folded Spill
	s_waitcnt lgkmcnt(0)
	s_waitcnt_vscnt null, 0x0
	s_barrier
	buffer_gl0_inv
                                        ; implicit-def: $vgpr3
	scratch_store_b64 off, v[3:4], s32 offset:328 ; 8-byte Folded Spill
	v_cmpx_gt_i32_e32 0, v0
	s_xor_b32 s1, exec_lo, s1
	s_cbranch_execz .LBB450_7
; %bb.6:
	v_mad_u64_u32 v[10:11], null, v28, v12, v[6:7]
                                        ; implicit-def: $vgpr28
	s_delay_alu instid0(VALU_DEP_1) | instskip(NEXT) | instid1(VALU_DEP_1)
	v_mul_lo_u32 v0, v10, v0
	v_sub_nc_u32_e32 v0, 1, v0
	scratch_store_b64 off, v[0:1], s32 offset:328 ; 8-byte Folded Spill
                                        ; implicit-def: $vgpr0
.LBB450_7:
	s_or_saveexec_b32 s1, s1
	v_ashrrev_i32_e32 v3, 31, v4
	v_ashrrev_i32_e32 v1, 31, v1
	scratch_store_b32 off, v1, s32 offset:336 ; 4-byte Folded Spill
	s_xor_b32 exec_lo, exec_lo, s1
	s_cbranch_execz .LBB450_9
; %bb.8:
	v_mad_u64_u32 v[4:5], null, s20, v28, s[12:13]
	s_delay_alu instid0(VALU_DEP_1)
	v_mad_u64_u32 v[10:11], null, v4, v0, 1
	scratch_store_b64 off, v[10:11], s32 offset:328 ; 8-byte Folded Spill
.LBB450_9:
	s_or_b32 exec_lo, exec_lo, s1
	s_clause 0x1
	s_load_b32 s18, s[8:9], 0x14
	s_load_b32 s13, s[8:9], 0x8
	s_clause 0x1
	scratch_load_b32 v5, off, s32 offset:336
	scratch_load_b32 v11, off, s32 offset:852
	v_mul_lo_u32 v0, v7, v48
	v_dual_mov_b32 v95, 0xff7fffff :: v_dual_add_nc_u32 v4, 1, v7
	s_lshl_b32 s17, s14, 4
	v_mul_lo_u32 v16, v6, v23
	s_add_i32 s1, s17, 16
	v_sub_nc_u32_e32 v31, 0, v30
	s_delay_alu instid0(VALU_DEP_4) | instskip(SKIP_1) | instid1(VALU_DEP_4)
	v_sub_nc_u32_e32 v2, v2, v0
	v_mul_lo_u32 v0, s10, v18
	v_ashrrev_i32_e32 v35, 31, v16
	s_delay_alu instid0(VALU_DEP_3) | instskip(SKIP_2) | instid1(VALU_DEP_1)
	v_sub_nc_u32_e32 v10, v2, v48
	v_cmp_ge_u32_e32 vcc_lo, v2, v48
	v_dual_cndmask_b32 v4, v7, v4 :: v_dual_add_nc_u32 v1, 31, v39
	v_dual_cndmask_b32 v2, v2, v10 :: v_dual_add_nc_u32 v7, 1, v4
	s_delay_alu instid0(VALU_DEP_1) | instskip(NEXT) | instid1(VALU_DEP_2)
	v_cmp_ge_u32_e32 vcc_lo, v2, v48
	v_cndmask_b32_e32 v2, v4, v7, vcc_lo
	s_waitcnt vmcnt(1)
	v_xor_b32_e32 v3, v3, v5
	v_ashrrev_i32_e32 v5, 31, v1
	s_waitcnt vmcnt(0)
	v_lshrrev_b32_e32 v12, 5, v11
	v_and_b32_e32 v10, 31, v11
	v_xor_b32_e32 v2, v2, v3
	v_lshrrev_b32_e32 v5, 27, v5
	s_delay_alu instid0(VALU_DEP_4)
	v_add_nc_u32_e32 v17, s17, v12
	v_lshl_add_u32 v23, v12, 5, s15
	v_lshlrev_b32_e32 v19, 2, v10
	v_sub_nc_u32_e32 v2, v2, v3
	v_add_nc_u32_e32 v1, v1, v5
	v_ashrrev_i32_e32 v18, 31, v17
	s_delay_alu instid0(VALU_DEP_2) | instskip(SKIP_1) | instid1(VALU_DEP_2)
	v_ashrrev_i32_e32 v11, 5, v1
	v_ashrrev_i32_e32 v1, 31, v0
	v_min_i32_e32 v4, s1, v11
	s_delay_alu instid0(VALU_DEP_2)
	v_lshlrev_b64 v[80:81], 2, v[0:1]
	scratch_store_b32 off, v12, s32 offset:1764 ; 4-byte Folded Spill
	v_sub_nc_u32_e32 v0, v2, v29
	scratch_store_b32 off, v4, s32 offset:340 ; 4-byte Folded Spill
	v_cmp_lt_i32_e64 s1, v17, v4
	s_clause 0x1
	scratch_store_b32 off, v0, s32 offset:348
	scratch_store_b32 off, v10, s32 offset:840
	s_and_saveexec_b32 s19, s1
	s_cbranch_execz .LBB450_3089
; %bb.10:
	v_mov_b32_e32 v20, 0
	s_clause 0x6
	scratch_store_b32 off, v11, s32 offset:1824
	scratch_store_b32 off, v26, s32 offset:1808
	;; [unrolled: 1-line block ×7, first 2 shown]
	v_max_i32_e32 v104, v30, v31
	s_ashr_i32 s7, s6, 31
	s_mov_b32 s8, -1
	ds_load_b128 v[0:3], v20
	ds_load_b128 v[4:7], v20 offset:16
	ds_load_b128 v[10:13], v20 offset:32
	;; [unrolled: 1-line block ×3, first 2 shown]
	s_lshl_b64 s[2:3], s[6:7], 2
	s_getpc_b64 s[4:5]
	s_add_u32 s4, s4, llvm.amdgcn.dynlds.offset.table@rel32@lo+4
	s_addc_u32 s5, s5, llvm.amdgcn.dynlds.offset.table@rel32@hi+12
	s_add_u32 s4, s2, s4
	s_addc_u32 s5, s3, s5
	s_mov_b32 s7, 0
	s_mov_b32 s9, 0xffffff
	v_dual_mov_b32 v110, v17 :: v_dual_mov_b32 v95, 0xff7fffff
	s_waitcnt lgkmcnt(0)
	v_lshlrev_b32_e32 v21, 16, v0
	v_and_b32_e32 v0, 0xffff0000, v0
	scratch_store_b32 off, v21, s32 offset:708 ; 4-byte Folded Spill
	v_and_b32_e32 v21, 0xffff0000, v27
	scratch_store_b32 off, v0, s32 offset:712 ; 4-byte Folded Spill
	v_lshlrev_b32_e32 v0, 16, v1
	s_clause 0x1
	scratch_store_b32 off, v21, s32 offset:832
	scratch_store_b32 off, v0, s32 offset:716
	v_and_b32_e32 v0, 0xffff0000, v1
	scratch_store_b32 off, v0, s32 offset:720 ; 4-byte Folded Spill
	v_lshlrev_b32_e32 v0, 16, v2
	scratch_store_b32 off, v0, s32 offset:724 ; 4-byte Folded Spill
	v_and_b32_e32 v0, 0xffff0000, v2
	scratch_store_b32 off, v0, s32 offset:728 ; 4-byte Folded Spill
	v_lshlrev_b32_e32 v0, 16, v3
	scratch_store_b32 off, v0, s32 offset:732 ; 4-byte Folded Spill
	;; [unrolled: 4-line block ×3, first 2 shown]
	v_and_b32_e32 v0, 0xffff0000, v4
	v_and_b32_e32 v4, 0xffff0000, v7
	s_clause 0x1
	scratch_store_b32 off, v0, s32 offset:744
	scratch_store_b32 off, v4, s32 offset:768
	v_lshlrev_b32_e32 v0, 16, v5
	v_lshlrev_b32_e32 v4, 16, v10
	s_clause 0x1
	scratch_store_b32 off, v0, s32 offset:748
	scratch_store_b32 off, v4, s32 offset:772
	v_and_b32_e32 v0, 0xffff0000, v5
	v_and_b32_e32 v4, 0xffff0000, v10
	;; [unrolled: 1-line block ×3, first 2 shown]
	s_clause 0x2
	scratch_store_b32 off, v0, s32 offset:752
	scratch_store_b32 off, v4, s32 offset:776
	;; [unrolled: 1-line block ×3, first 2 shown]
	v_lshlrev_b32_e32 v0, 16, v6
	v_lshlrev_b32_e32 v4, 16, v11
	;; [unrolled: 1-line block ×3, first 2 shown]
	s_clause 0x2
	scratch_store_b32 off, v0, s32 offset:756
	scratch_store_b32 off, v4, s32 offset:780
	;; [unrolled: 1-line block ×3, first 2 shown]
	v_and_b32_e32 v0, 0xffff0000, v6
	v_and_b32_e32 v4, 0xffff0000, v11
	;; [unrolled: 1-line block ×3, first 2 shown]
	s_clause 0x2
	scratch_store_b32 off, v0, s32 offset:760
	scratch_store_b32 off, v4, s32 offset:784
	;; [unrolled: 1-line block ×3, first 2 shown]
	v_lshlrev_b32_e32 v0, 16, v7
	v_lshlrev_b32_e32 v4, 16, v12
	;; [unrolled: 1-line block ×3, first 2 shown]
	s_clause 0x2
	scratch_store_b32 off, v0, s32 offset:764
	scratch_store_b32 off, v4, s32 offset:788
	;; [unrolled: 1-line block ×3, first 2 shown]
	ds_load_b128 v[0:3], v20 offset:64
	v_and_b32_e32 v4, 0xffff0000, v12
	v_and_b32_e32 v10, 0xffff0000, v25
	s_clause 0x1
	scratch_store_b32 off, v4, s32 offset:792
	scratch_store_b32 off, v10, s32 offset:816
	v_lshlrev_b32_e32 v4, 16, v13
	v_lshlrev_b32_e32 v10, 16, v26
	scratch_store_b32 off, v4, s32 offset:796 ; 4-byte Folded Spill
	ds_load_b128 v[4:7], v20 offset:80
	s_waitcnt lgkmcnt(1)
	v_lshlrev_b32_e32 v21, 16, v0
	scratch_store_b32 off, v10, s32 offset:820 ; 4-byte Folded Spill
	v_and_b32_e32 v10, 0xffff0000, v26
	v_and_b32_e32 v0, 0xffff0000, v0
	s_clause 0x1
	scratch_store_b32 off, v10, s32 offset:824
	scratch_store_b32 off, v0, s32 offset:856
	v_lshlrev_b32_e32 v10, 16, v27
	v_lshlrev_b32_e32 v0, 16, v1
	ds_load_b128 v[24:27], v20 offset:112
	s_clause 0x1
	scratch_store_b32 off, v10, s32 offset:828
	scratch_store_b32 off, v0, s32 offset:864
	ds_load_b128 v[10:13], v20 offset:96
	v_and_b32_e32 v0, 0xffff0000, v1
	scratch_store_b32 off, v21, s32 offset:836 ; 4-byte Folded Spill
	s_waitcnt lgkmcnt(1)
	v_lshlrev_b32_e32 v21, 16, v27
	scratch_store_b32 off, v0, s32 offset:868 ; 4-byte Folded Spill
	v_lshlrev_b32_e32 v0, 16, v2
	scratch_store_b32 off, v21, s32 offset:976 ; 4-byte Folded Spill
	v_and_b32_e32 v21, 0xffff0000, v27
	scratch_store_b32 off, v0, s32 offset:872 ; 4-byte Folded Spill
	v_and_b32_e32 v0, 0xffff0000, v2
	s_clause 0x1
	scratch_store_b32 off, v21, s32 offset:980
	scratch_store_b32 off, v0, s32 offset:876
	v_lshlrev_b32_e32 v0, 16, v3
	scratch_store_b32 off, v0, s32 offset:880 ; 4-byte Folded Spill
	v_and_b32_e32 v0, 0xffff0000, v3
	scratch_store_b32 off, v0, s32 offset:884 ; 4-byte Folded Spill
	v_lshlrev_b32_e32 v0, 16, v4
	scratch_store_b32 off, v0, s32 offset:888 ; 4-byte Folded Spill
	v_and_b32_e32 v0, 0xffff0000, v4
	v_and_b32_e32 v4, 0xffff0000, v7
	s_clause 0x1
	scratch_store_b32 off, v0, s32 offset:892
	scratch_store_b32 off, v4, s32 offset:916
	v_lshlrev_b32_e32 v0, 16, v5
	s_waitcnt lgkmcnt(0)
	v_lshlrev_b32_e32 v4, 16, v10
	s_clause 0x1
	scratch_store_b32 off, v0, s32 offset:896
	scratch_store_b32 off, v4, s32 offset:920
	v_and_b32_e32 v0, 0xffff0000, v5
	v_and_b32_e32 v4, 0xffff0000, v10
	;; [unrolled: 1-line block ×3, first 2 shown]
	s_clause 0x2
	scratch_store_b32 off, v0, s32 offset:900
	scratch_store_b32 off, v4, s32 offset:924
	;; [unrolled: 1-line block ×3, first 2 shown]
	v_lshlrev_b32_e32 v0, 16, v6
	v_lshlrev_b32_e32 v4, 16, v11
	v_lshlrev_b32_e32 v10, 16, v24
	s_clause 0x2
	scratch_store_b32 off, v0, s32 offset:904
	scratch_store_b32 off, v4, s32 offset:928
	scratch_store_b32 off, v10, s32 offset:952
	v_and_b32_e32 v0, 0xffff0000, v6
	v_and_b32_e32 v4, 0xffff0000, v11
	;; [unrolled: 1-line block ×3, first 2 shown]
	s_clause 0x2
	scratch_store_b32 off, v0, s32 offset:908
	scratch_store_b32 off, v4, s32 offset:932
	;; [unrolled: 1-line block ×3, first 2 shown]
	v_lshlrev_b32_e32 v0, 16, v7
	v_lshlrev_b32_e32 v4, 16, v12
	;; [unrolled: 1-line block ×3, first 2 shown]
	s_clause 0x2
	scratch_store_b32 off, v0, s32 offset:912
	scratch_store_b32 off, v4, s32 offset:936
	;; [unrolled: 1-line block ×3, first 2 shown]
	ds_load_b128 v[0:3], v20 offset:128
	v_and_b32_e32 v4, 0xffff0000, v12
	v_and_b32_e32 v10, 0xffff0000, v25
	s_clause 0x1
	scratch_store_b32 off, v4, s32 offset:940
	scratch_store_b32 off, v10, s32 offset:964
	v_lshlrev_b32_e32 v4, 16, v13
	v_lshlrev_b32_e32 v10, 16, v26
	scratch_store_b32 off, v4, s32 offset:944 ; 4-byte Folded Spill
	ds_load_b128 v[4:7], v20 offset:144
	s_waitcnt lgkmcnt(1)
	v_lshlrev_b32_e32 v21, 16, v0
	scratch_store_b32 off, v10, s32 offset:968 ; 4-byte Folded Spill
	v_and_b32_e32 v10, 0xffff0000, v26
	v_and_b32_e32 v0, 0xffff0000, v0
	ds_load_b128 v[24:27], v20 offset:176
	s_clause 0x1
	scratch_store_b32 off, v10, s32 offset:972
	scratch_store_b32 off, v0, s32 offset:988
	v_lshlrev_b32_e32 v0, 16, v1
	scratch_store_b32 off, v21, s32 offset:984 ; 4-byte Folded Spill
	ds_load_b128 v[10:13], v20 offset:160
	scratch_store_b32 off, v0, s32 offset:992 ; 4-byte Folded Spill
	v_and_b32_e32 v0, 0xffff0000, v1
	scratch_store_b32 off, v0, s32 offset:996 ; 4-byte Folded Spill
	v_lshlrev_b32_e32 v0, 16, v2
	scratch_store_b32 off, v0, s32 offset:1000 ; 4-byte Folded Spill
	v_and_b32_e32 v0, 0xffff0000, v2
	scratch_store_b32 off, v0, s32 offset:1004 ; 4-byte Folded Spill
	v_lshlrev_b32_e32 v0, 16, v3
	scratch_store_b32 off, v0, s32 offset:1008 ; 4-byte Folded Spill
	v_and_b32_e32 v0, 0xffff0000, v3
	scratch_store_b32 off, v0, s32 offset:1012 ; 4-byte Folded Spill
	s_waitcnt lgkmcnt(2)
	v_lshlrev_b32_e32 v0, 16, v4
	scratch_store_b32 off, v0, s32 offset:1016 ; 4-byte Folded Spill
	v_and_b32_e32 v0, 0xffff0000, v4
	scratch_store_b32 off, v0, s32 offset:1020 ; 4-byte Folded Spill
	v_lshlrev_b32_e32 v0, 16, v5
	scratch_store_b32 off, v0, s32 offset:1024 ; 4-byte Folded Spill
	v_and_b32_e32 v0, 0xffff0000, v5
	scratch_store_b32 off, v0, s32 offset:1028 ; 4-byte Folded Spill
	;; [unrolled: 4-line block ×4, first 2 shown]
	s_waitcnt lgkmcnt(0)
	v_lshlrev_b32_e32 v0, 16, v10
	scratch_store_b32 off, v0, s32 offset:1048 ; 4-byte Folded Spill
	v_and_b32_e32 v0, 0xffff0000, v10
	scratch_store_b32 off, v0, s32 offset:1052 ; 4-byte Folded Spill
	v_lshlrev_b32_e32 v0, 16, v11
	scratch_store_b32 off, v0, s32 offset:1056 ; 4-byte Folded Spill
	v_and_b32_e32 v0, 0xffff0000, v11
	scratch_store_b32 off, v0, s32 offset:1060 ; 4-byte Folded Spill
	;; [unrolled: 4-line block ×8, first 2 shown]
	ds_load_b128 v[0:3], v20 offset:192
	ds_load_b128 v[4:7], v20 offset:208
	s_waitcnt lgkmcnt(1)
	v_lshlrev_b32_e32 v10, 16, v0
	v_and_b32_e32 v0, 0xffff0000, v0
	s_clause 0x1
	scratch_store_b32 off, v10, s32 offset:1112
	scratch_store_b32 off, v0, s32 offset:1116
	v_lshlrev_b32_e32 v0, 16, v1
	scratch_store_b32 off, v0, s32 offset:1120 ; 4-byte Folded Spill
	v_and_b32_e32 v0, 0xffff0000, v1
	scratch_store_b32 off, v0, s32 offset:1124 ; 4-byte Folded Spill
	v_lshlrev_b32_e32 v0, 16, v2
	scratch_store_b32 off, v0, s32 offset:1128 ; 4-byte Folded Spill
	v_and_b32_e32 v0, 0xffff0000, v2
	scratch_store_b32 off, v0, s32 offset:1132 ; 4-byte Folded Spill
	v_lshlrev_b32_e32 v0, 16, v3
	scratch_store_b32 off, v0, s32 offset:1136 ; 4-byte Folded Spill
	v_and_b32_e32 v0, 0xffff0000, v3
	scratch_store_b32 off, v0, s32 offset:1140 ; 4-byte Folded Spill
	s_waitcnt lgkmcnt(0)
	v_lshlrev_b32_e32 v0, 16, v4
	scratch_store_b32 off, v0, s32 offset:1144 ; 4-byte Folded Spill
	v_and_b32_e32 v0, 0xffff0000, v4
	scratch_store_b32 off, v0, s32 offset:1148 ; 4-byte Folded Spill
	v_lshlrev_b32_e32 v0, 16, v5
	scratch_store_b32 off, v0, s32 offset:1152 ; 4-byte Folded Spill
	v_and_b32_e32 v0, 0xffff0000, v5
	scratch_store_b32 off, v0, s32 offset:1156 ; 4-byte Folded Spill
	v_lshlrev_b32_e32 v0, 16, v6
	scratch_store_b32 off, v0, s32 offset:1160 ; 4-byte Folded Spill
	v_and_b32_e32 v0, 0xffff0000, v6
	scratch_store_b32 off, v0, s32 offset:1164 ; 4-byte Folded Spill
	v_lshlrev_b32_e32 v0, 16, v7
	scratch_store_b32 off, v0, s32 offset:1168 ; 4-byte Folded Spill
	v_and_b32_e32 v0, 0xffff0000, v7
	scratch_store_b32 off, v0, s32 offset:1172 ; 4-byte Folded Spill
	ds_load_b128 v[0:3], v20 offset:224
	ds_load_b128 v[4:7], v20 offset:240
	s_waitcnt lgkmcnt(1)
	v_lshlrev_b32_e32 v10, 16, v0
	v_and_b32_e32 v0, 0xffff0000, v0
	s_clause 0x1
	scratch_store_b32 off, v10, s32 offset:1176
	scratch_store_b32 off, v0, s32 offset:1180
	v_lshlrev_b32_e32 v0, 16, v1
	scratch_store_b32 off, v0, s32 offset:1184 ; 4-byte Folded Spill
	v_and_b32_e32 v0, 0xffff0000, v1
	scratch_store_b32 off, v0, s32 offset:1188 ; 4-byte Folded Spill
	v_lshlrev_b32_e32 v0, 16, v2
	scratch_store_b32 off, v0, s32 offset:1192 ; 4-byte Folded Spill
	v_and_b32_e32 v0, 0xffff0000, v2
	scratch_store_b32 off, v0, s32 offset:1196 ; 4-byte Folded Spill
	v_lshlrev_b32_e32 v0, 16, v3
	scratch_store_b32 off, v0, s32 offset:1200 ; 4-byte Folded Spill
	v_and_b32_e32 v0, 0xffff0000, v3
	scratch_store_b32 off, v0, s32 offset:1204 ; 4-byte Folded Spill
	s_waitcnt lgkmcnt(0)
	v_lshlrev_b32_e32 v0, 16, v4
	scratch_store_b32 off, v0, s32 offset:1208 ; 4-byte Folded Spill
	v_and_b32_e32 v0, 0xffff0000, v4
	scratch_store_b32 off, v0, s32 offset:1212 ; 4-byte Folded Spill
	v_lshlrev_b32_e32 v0, 16, v5
	scratch_store_b32 off, v0, s32 offset:1216 ; 4-byte Folded Spill
	v_and_b32_e32 v0, 0xffff0000, v5
	scratch_store_b32 off, v0, s32 offset:1220 ; 4-byte Folded Spill
	v_lshlrev_b32_e32 v0, 16, v6
	scratch_store_b32 off, v0, s32 offset:1224 ; 4-byte Folded Spill
	v_and_b32_e32 v0, 0xffff0000, v6
	scratch_store_b32 off, v0, s32 offset:1228 ; 4-byte Folded Spill
	v_lshlrev_b32_e32 v0, 16, v7
	scratch_store_b32 off, v0, s32 offset:1232 ; 4-byte Folded Spill
	v_and_b32_e32 v0, 0xffff0000, v7
	scratch_store_b32 off, v0, s32 offset:1236 ; 4-byte Folded Spill
	;; [unrolled: 37-line block ×4, first 2 shown]
	ds_load_b128 v[0:3], v20 offset:320
	ds_load_b128 v[4:7], v20 offset:336
	s_waitcnt lgkmcnt(1)
	v_lshlrev_b32_e32 v10, 16, v0
	v_and_b32_e32 v0, 0xffff0000, v0
	s_clause 0x1
	scratch_store_b32 off, v10, s32 offset:1368
	scratch_store_b32 off, v0, s32 offset:1372
	v_lshlrev_b32_e32 v0, 16, v1
	scratch_store_b32 off, v0, s32 offset:1376 ; 4-byte Folded Spill
	v_and_b32_e32 v0, 0xffff0000, v1
	scratch_store_b32 off, v0, s32 offset:1380 ; 4-byte Folded Spill
	v_lshlrev_b32_e32 v0, 16, v2
	scratch_store_b32 off, v0, s32 offset:1384 ; 4-byte Folded Spill
	v_and_b32_e32 v0, 0xffff0000, v2
	scratch_store_b32 off, v0, s32 offset:1388 ; 4-byte Folded Spill
	;; [unrolled: 4-line block ×3, first 2 shown]
	s_waitcnt lgkmcnt(0)
	v_bfi_b32 v0, 0xffff, 0, v4
	scratch_store_b32 off, v0, s32 offset:1400 ; 4-byte Folded Spill
	v_lshlrev_b32_e32 v0, 16, v4
	scratch_store_b32 off, v0, s32 offset:1404 ; 4-byte Folded Spill
	v_bfi_b32 v0, 0xffff, 0, v5
	scratch_store_b32 off, v0, s32 offset:1408 ; 4-byte Folded Spill
	v_lshlrev_b32_e32 v0, 16, v5
	scratch_store_b32 off, v0, s32 offset:1412 ; 4-byte Folded Spill
	;; [unrolled: 4-line block ×4, first 2 shown]
	ds_load_b128 v[0:3], v20 offset:352
	ds_load_b128 v[4:7], v20 offset:368
	s_waitcnt lgkmcnt(1)
	v_bfi_b32 v10, 0xffff, 0, v0
	v_lshlrev_b32_e32 v0, 16, v0
	s_clause 0x1
	scratch_store_b32 off, v10, s32 offset:1432
	scratch_store_b32 off, v0, s32 offset:1436
	v_bfi_b32 v0, 0xffff, 0, v1
	scratch_store_b32 off, v0, s32 offset:1440 ; 4-byte Folded Spill
	v_lshlrev_b32_e32 v0, 16, v1
	scratch_store_b32 off, v0, s32 offset:1444 ; 4-byte Folded Spill
	v_bfi_b32 v0, 0xffff, 0, v2
	scratch_store_b32 off, v0, s32 offset:1448 ; 4-byte Folded Spill
	v_lshlrev_b32_e32 v0, 16, v2
	scratch_store_b32 off, v0, s32 offset:1452 ; 4-byte Folded Spill
	;; [unrolled: 4-line block ×3, first 2 shown]
	s_waitcnt lgkmcnt(0)
	v_bfi_b32 v0, 0xffff, 0, v6
	scratch_store_b32 off, v0, s32 offset:1464 ; 4-byte Folded Spill
	v_lshlrev_b32_e32 v0, 16, v6
	scratch_store_b32 off, v0, s32 offset:1468 ; 4-byte Folded Spill
	v_bfi_b32 v0, 0xffff, 0, v7
	scratch_store_b32 off, v0, s32 offset:1472 ; 4-byte Folded Spill
	v_lshlrev_b32_e32 v0, 16, v7
	scratch_store_b32 off, v0, s32 offset:1476 ; 4-byte Folded Spill
	;; [unrolled: 4-line block ×4, first 2 shown]
	ds_load_b128 v[0:3], v20 offset:384
	ds_load_b128 v[4:7], v20 offset:400
	s_waitcnt lgkmcnt(1)
	v_bfi_b32 v10, 0xffff, 0, v0
	v_lshlrev_b32_e32 v0, 16, v0
	s_clause 0x1
	scratch_store_b32 off, v10, s32 offset:1496
	scratch_store_b32 off, v0, s32 offset:1500
	v_bfi_b32 v0, 0xffff, 0, v1
	scratch_store_b32 off, v0, s32 offset:1504 ; 4-byte Folded Spill
	v_lshlrev_b32_e32 v0, 16, v1
	scratch_store_b32 off, v0, s32 offset:1508 ; 4-byte Folded Spill
	v_lshlrev_b32_e32 v0, 16, v2
	scratch_store_b32 off, v0, s32 offset:1512 ; 4-byte Folded Spill
	v_and_b32_e32 v0, 0xffff0000, v2
	scratch_store_b32 off, v0, s32 offset:1516 ; 4-byte Folded Spill
	v_bfi_b32 v0, 0xffff, 0, v3
	scratch_store_b32 off, v0, s32 offset:1520 ; 4-byte Folded Spill
	v_lshlrev_b32_e32 v0, 16, v3
	scratch_store_b32 off, v0, s32 offset:1524 ; 4-byte Folded Spill
	s_waitcnt lgkmcnt(0)
	v_bfi_b32 v0, 0xffff, 0, v4
	scratch_store_b32 off, v0, s32 offset:1528 ; 4-byte Folded Spill
	v_lshlrev_b32_e32 v0, 16, v4
	scratch_store_b32 off, v0, s32 offset:1532 ; 4-byte Folded Spill
	v_bfi_b32 v0, 0xffff, 0, v5
	scratch_store_b32 off, v0, s32 offset:1536 ; 4-byte Folded Spill
	v_lshlrev_b32_e32 v0, 16, v5
	scratch_store_b32 off, v0, s32 offset:1540 ; 4-byte Folded Spill
	v_bfi_b32 v0, 0xffff, 0, v6
	scratch_store_b32 off, v0, s32 offset:1544 ; 4-byte Folded Spill
	v_lshlrev_b32_e32 v0, 16, v6
	scratch_store_b32 off, v0, s32 offset:1548 ; 4-byte Folded Spill
	v_bfi_b32 v0, 0xffff, 0, v7
	scratch_store_b32 off, v0, s32 offset:1552 ; 4-byte Folded Spill
	v_lshlrev_b32_e32 v0, 16, v7
	scratch_store_b32 off, v0, s32 offset:1556 ; 4-byte Folded Spill
	ds_load_b128 v[0:3], v20 offset:416
	ds_load_b128 v[4:7], v20 offset:432
	s_waitcnt lgkmcnt(1)
	v_bfi_b32 v10, 0xffff, 0, v0
	v_lshlrev_b32_e32 v0, 16, v0
	s_clause 0x1
	scratch_store_b32 off, v10, s32 offset:1560
	scratch_store_b32 off, v0, s32 offset:1564
	v_bfi_b32 v0, 0xffff, 0, v1
	scratch_store_b32 off, v0, s32 offset:1568 ; 4-byte Folded Spill
	v_lshlrev_b32_e32 v0, 16, v1
	scratch_store_b32 off, v0, s32 offset:1572 ; 4-byte Folded Spill
	v_bfi_b32 v0, 0xffff, 0, v2
	scratch_store_b32 off, v0, s32 offset:1576 ; 4-byte Folded Spill
	v_lshlrev_b32_e32 v0, 16, v2
	scratch_store_b32 off, v0, s32 offset:1580 ; 4-byte Folded Spill
	v_bfi_b32 v0, 0xffff, 0, v3
	scratch_store_b32 off, v0, s32 offset:1584 ; 4-byte Folded Spill
	v_lshlrev_b32_e32 v0, 16, v3
	scratch_store_b32 off, v0, s32 offset:1588 ; 4-byte Folded Spill
	s_waitcnt lgkmcnt(0)
	v_bfi_b32 v0, 0xffff, 0, v4
	scratch_store_b32 off, v0, s32 offset:1592 ; 4-byte Folded Spill
	v_lshlrev_b32_e32 v0, 16, v4
	scratch_store_b32 off, v0, s32 offset:1596 ; 4-byte Folded Spill
	v_bfi_b32 v0, 0xffff, 0, v5
	scratch_store_b32 off, v0, s32 offset:1600 ; 4-byte Folded Spill
	v_lshlrev_b32_e32 v0, 16, v5
	scratch_store_b32 off, v0, s32 offset:1604 ; 4-byte Folded Spill
	v_bfi_b32 v0, 0xffff, 0, v6
	scratch_store_b32 off, v0, s32 offset:1608 ; 4-byte Folded Spill
	v_lshlrev_b32_e32 v0, 16, v6
	scratch_store_b32 off, v0, s32 offset:1612 ; 4-byte Folded Spill
	v_bfi_b32 v0, 0xffff, 0, v7
	scratch_store_b32 off, v0, s32 offset:1616 ; 4-byte Folded Spill
	v_lshlrev_b32_e32 v0, 16, v7
	scratch_store_b32 off, v0, s32 offset:1620 ; 4-byte Folded Spill
	ds_load_b128 v[0:3], v20 offset:448
	ds_load_b128 v[4:7], v20 offset:464
	s_waitcnt lgkmcnt(1)
	v_bfi_b32 v10, 0xffff, 0, v0
	v_lshlrev_b32_e32 v0, 16, v0
	s_clause 0x1
	scratch_store_b32 off, v10, s32 offset:1624
	scratch_store_b32 off, v0, s32 offset:1628
	v_bfi_b32 v0, 0xffff, 0, v1
	scratch_store_b32 off, v0, s32 offset:1632 ; 4-byte Folded Spill
	v_lshlrev_b32_e32 v0, 16, v1
	scratch_store_b32 off, v0, s32 offset:1636 ; 4-byte Folded Spill
	v_bfi_b32 v0, 0xffff, 0, v2
	scratch_store_b32 off, v0, s32 offset:1640 ; 4-byte Folded Spill
	v_lshlrev_b32_e32 v0, 16, v2
	;; [unrolled: 37-line block ×3, first 2 shown]
	s_waitcnt lgkmcnt(0)
	v_bfi_b32 v2, 0xffff, 0, v4
	scratch_store_b32 off, v0, s32 offset:1708 ; 4-byte Folded Spill
	v_bfi_b32 v0, 0xffff, 0, v3
	scratch_store_b32 off, v0, s32 offset:1712 ; 4-byte Folded Spill
	v_lshlrev_b32_e32 v0, 16, v3
	s_clause 0x3
	scratch_store_b32 off, v0, s32 offset:1716
	scratch_store_b32 off, v16, s32 offset:1820
	;; [unrolled: 1-line block ×3, first 2 shown]
	scratch_store_b64 off, v[80:81], s32 offset:1812
	v_lshlrev_b32_e32 v2, 16, v4
	scratch_load_b32 v4, off, s32 offset:840 ; 4-byte Folded Reload
	scratch_store_b32 off, v35, s32 offset:1832 ; 4-byte Folded Spill
	v_cvt_f32_u32_e32 v3, v104
	v_add_co_u32 v0, vcc_lo, v8, v16
	scratch_store_b32 off, v2, s32 offset:1724 ; 4-byte Folded Spill
	v_bfi_b32 v2, 0xffff, 0, v5
	v_rcp_iflag_f32_e32 v3, v3
	v_add_co_ci_u32_e32 v1, vcc_lo, v9, v35, vcc_lo
	scratch_store_b32 off, v2, s32 offset:1728 ; 4-byte Folded Spill
	v_lshlrev_b32_e32 v2, 16, v5
	scratch_store_b32 off, v2, s32 offset:1732 ; 4-byte Folded Spill
	v_bfi_b32 v2, 0xffff, 0, v6
	v_mul_f32_e32 v3, 0x4f7ffffe, v3
	scratch_store_b32 off, v2, s32 offset:1736 ; 4-byte Folded Spill
	v_lshlrev_b32_e32 v2, 16, v6
	v_cvt_u32_f32_e32 v3, v3
	scratch_store_b32 off, v2, s32 offset:1740 ; 4-byte Folded Spill
	v_bfi_b32 v2, 0xffff, 0, v7
	scratch_store_b32 off, v2, s32 offset:1744 ; 4-byte Folded Spill
	v_lshlrev_b32_e32 v2, 16, v7
	scratch_store_b32 off, v2, s32 offset:1748 ; 4-byte Folded Spill
	s_waitcnt vmcnt(0)
	v_lshlrev_b32_e32 v2, 4, v4
	s_delay_alu instid0(VALU_DEP_1) | instskip(SKIP_2) | instid1(VALU_DEP_2)
	v_add_co_u32 v0, vcc_lo, v0, v2
	v_sub_nc_u32_e32 v2, 0, v104
	v_add_co_ci_u32_e32 v1, vcc_lo, 0, v1, vcc_lo
	v_mul_lo_u32 v2, v2, v3
	scratch_store_b64 off, v[0:1], s32 offset:1752 ; 8-byte Folded Spill
	v_lshlrev_b64 v[0:1], 2, v[17:18]
	s_clause 0x1
	scratch_store_b32 off, v30, s32 offset:1784
	scratch_store_b32 off, v31, s32 offset:1828
	v_mul_hi_u32 v2, v3, v2
	v_add_co_u32 v0, vcc_lo, v80, v0
	v_add_co_ci_u32_e32 v1, vcc_lo, v81, v1, vcc_lo
	s_delay_alu instid0(VALU_DEP_2) | instskip(NEXT) | instid1(VALU_DEP_4)
	v_add_co_u32 v28, vcc_lo, v14, v0
	v_add_nc_u32_e32 v2, v3, v2
	s_clause 0x1
	scratch_store_b32 off, v2, s32 offset:356
	scratch_store_b32 off, v14, s32 offset:1780
	scratch_load_b32 v0, off, s32 offset:704 ; 4-byte Folded Reload
	v_add_co_ci_u32_e32 v29, vcc_lo, v15, v1, vcc_lo
	s_load_b32 s21, s[4:5], 0x0
	scratch_store_b32 off, v19, s32 offset:1836 ; 4-byte Folded Spill
	s_waitcnt vmcnt(0)
	v_cmp_neq_f32_e32 vcc_lo, 0, v0
	v_sub_nc_u32_e32 v0, v4, v39
	s_delay_alu instid0(VALU_DEP_1)
	v_add_nc_u32_e32 v0, 1, v0
	s_clause 0x1
	scratch_store_b32 off, v15, s32 offset:1776
	scratch_store_b32 off, v0, s32 offset:1760
	scratch_load_b32 v0, off, s32 offset:1764 ; 4-byte Folded Reload
	s_waitcnt vmcnt(0)
	v_lshl_add_u32 v107, v0, 5, s15
	v_lshl_or_b32 v108, v0, 7, v19
	s_branch .LBB450_13
.LBB450_11:                             ;   in Loop: Header=BB450_13 Depth=1
	s_or_b32 exec_lo, exec_lo, s22
	scratch_load_b32 v34, off, s32 offset:740 ; 4-byte Folded Reload
	v_and_b32_e32 v31, 0xffff0000, v98
	scratch_load_b32 v32, off, s32 offset:376 ; 4-byte Folded Reload
	v_and_b32_e32 v22, 0xffff0000, v22
	v_and_b32_e32 v13, 0xffff0000, v13
	;; [unrolled: 1-line block ×9, first 2 shown]
	s_load_b32 s22, s[4:5], 0x0
	s_clause 0x2
	scratch_load_b32 v52, off, s32 offset:744
	scratch_load_b32 v97, off, s32 offset:748
	;; [unrolled: 1-line block ×3, first 2 shown]
	v_and_b32_e32 v49, 0xffff0000, v49
	s_waitcnt vmcnt(4)
	v_mul_f32_e32 v31, v34, v31
	scratch_load_b32 v34, off, s32 offset:708 ; 4-byte Folded Reload
	s_waitcnt vmcnt(4)
	v_and_b32_e32 v32, 0xffff0000, v32
	s_waitcnt vmcnt(0)
	s_delay_alu instid0(VALU_DEP_1)
	v_dual_fmac_f32 v31, v34, v32 :: v_dual_and_b32 v34, 0xffff0000, v99
	s_clause 0x1
	scratch_load_b32 v32, off, s32 offset:380
	scratch_load_b32 v99, off, s32 offset:760
	s_waitcnt vmcnt(1)
	v_and_b32_e32 v32, 0xffff0000, v32
	s_delay_alu instid0(VALU_DEP_1)
	v_mul_f32_e32 v32, v52, v32
	scratch_load_b32 v52, off, s32 offset:712 ; 4-byte Folded Reload
	s_waitcnt vmcnt(0)
	v_fmac_f32_e32 v32, v52, v34
	scratch_load_b32 v34, off, s32 offset:384 ; 4-byte Folded Reload
	v_and_b32_e32 v52, 0xffff0000, v103
	scratch_load_b32 v103, off, s32 offset:764 ; 4-byte Folded Reload
	s_waitcnt vmcnt(1)
	v_and_b32_e32 v34, 0xffff0000, v34
	s_delay_alu instid0(VALU_DEP_1)
	v_mul_f32_e32 v34, v97, v34
	scratch_load_b32 v97, off, s32 offset:716 ; 4-byte Folded Reload
	s_waitcnt vmcnt(0)
	v_fmac_f32_e32 v34, v97, v52
	scratch_load_b32 v52, off, s32 offset:388 ; 4-byte Folded Reload
	v_and_b32_e32 v97, 0xffff0000, v112
	scratch_load_b32 v112, off, s32 offset:768 ; 4-byte Folded Reload
	s_waitcnt vmcnt(1)
	v_and_b32_e32 v52, 0xffff0000, v52
	s_delay_alu instid0(VALU_DEP_1)
	v_mul_f32_e32 v121, v98, v52
	s_clause 0x1
	scratch_load_b32 v52, off, s32 offset:720
	scratch_load_b32 v98, off, s32 offset:756
	s_waitcnt vmcnt(1)
	v_fmac_f32_e32 v121, v52, v97
	s_clause 0x1
	scratch_load_b32 v52, off, s32 offset:392
	scratch_load_b32 v97, off, s32 offset:360
	s_waitcnt vmcnt(1)
	v_and_b32_e32 v52, 0xffff0000, v52
	s_waitcnt vmcnt(0)
	s_delay_alu instid0(VALU_DEP_1)
	v_dual_mul_f32 v52, v98, v52 :: v_dual_and_b32 v97, 0xffff0000, v97
	scratch_load_b32 v98, off, s32 offset:724 ; 4-byte Folded Reload
	s_waitcnt vmcnt(0)
	v_fmac_f32_e32 v52, v98, v97
	s_clause 0x1
	scratch_load_b32 v97, off, s32 offset:396
	scratch_load_b32 v98, off, s32 offset:364
	s_waitcnt vmcnt(1)
	v_and_b32_e32 v97, 0xffff0000, v97
	s_waitcnt vmcnt(0)
	s_delay_alu instid0(VALU_DEP_1)
	v_dual_mul_f32 v97, v99, v97 :: v_dual_and_b32 v98, 0xffff0000, v98
	scratch_load_b32 v99, off, s32 offset:728 ; 4-byte Folded Reload
	;; [unrolled: 11-line block ×3, first 2 shown]
	s_waitcnt vmcnt(0)
	v_fmac_f32_e32 v98, v103, v99
	s_clause 0x1
	scratch_load_b32 v99, off, s32 offset:404
	scratch_load_b32 v103, off, s32 offset:372
	s_waitcnt vmcnt(1)
	v_and_b32_e32 v99, 0xffff0000, v99
	s_waitcnt vmcnt(0)
	v_and_b32_e32 v103, 0xffff0000, v103
	s_delay_alu instid0(VALU_DEP_2)
	v_mul_f32_e32 v99, v112, v99
	scratch_load_b32 v112, off, s32 offset:736 ; 4-byte Folded Reload
	s_waitcnt vmcnt(0)
	v_fmac_f32_e32 v99, v112, v103
	s_clause 0x1
	scratch_load_b32 v103, off, s32 offset:408
	scratch_load_b32 v112, off, s32 offset:772
	s_waitcnt vmcnt(1)
	v_and_b32_e32 v103, 0xffff0000, v103
	s_waitcnt vmcnt(0)
	s_delay_alu instid0(VALU_DEP_1)
	v_fmac_f32_e32 v31, v112, v103
	s_clause 0x1
	scratch_load_b32 v103, off, s32 offset:412
	scratch_load_b32 v112, off, s32 offset:776
	s_waitcnt vmcnt(1)
	v_and_b32_e32 v103, 0xffff0000, v103
	s_waitcnt vmcnt(0)
	s_delay_alu instid0(VALU_DEP_1)
	;; [unrolled: 8-line block ×70, first 2 shown]
	v_fmac_f32_e32 v97, v112, v103
	s_clause 0x1
	scratch_load_b32 v103, off, s32 offset:688
	scratch_load_b32 v112, off, s32 offset:1072
	s_waitcnt vmcnt(1)
	v_and_b32_e32 v103, 0xffff0000, v103
	s_waitcnt vmcnt(0)
	s_delay_alu instid0(VALU_DEP_1) | instskip(SKIP_3) | instid1(VALU_DEP_1)
	v_fmac_f32_e32 v98, v112, v103
	scratch_load_b32 v112, off, s32 offset:1076 ; 4-byte Folded Reload
	v_and_b32_e32 v103, 0xffff0000, v113
	s_waitcnt vmcnt(0)
	v_fmac_f32_e32 v99, v112, v103
	scratch_load_b32 v112, off, s32 offset:1080 ; 4-byte Folded Reload
	v_and_b32_e32 v103, 0xffff0000, v114
	s_waitcnt vmcnt(0)
	s_delay_alu instid0(VALU_DEP_1) | instskip(SKIP_3) | instid1(VALU_DEP_1)
	v_fmac_f32_e32 v31, v112, v103
	scratch_load_b32 v112, off, s32 offset:1084 ; 4-byte Folded Reload
	v_and_b32_e32 v103, 0xffff0000, v115
	s_waitcnt vmcnt(0)
	v_fmac_f32_e32 v32, v112, v103
	scratch_load_b32 v103, off, s32 offset:1088 ; 4-byte Folded Reload
	s_waitcnt vmcnt(0)
	v_fmac_f32_e32 v34, v103, v49
	scratch_load_b32 v49, off, s32 offset:1092 ; 4-byte Folded Reload
	;; [unrolled: 3-line block ×3, first 2 shown]
	v_and_b32_e32 v22, 0xffff0000, v50
	s_waitcnt vmcnt(0)
	s_delay_alu instid0(VALU_DEP_1) | instskip(SKIP_3) | instid1(VALU_DEP_1)
	v_fmac_f32_e32 v52, v49, v22
	scratch_load_b32 v49, off, s32 offset:1100 ; 4-byte Folded Reload
	v_and_b32_e32 v22, 0xffff0000, v51
	s_waitcnt vmcnt(0)
	v_fmac_f32_e32 v97, v49, v22
	scratch_load_b32 v49, off, s32 offset:1104 ; 4-byte Folded Reload
	v_and_b32_e32 v22, 0xffff0000, v116
	s_waitcnt vmcnt(0)
	s_delay_alu instid0(VALU_DEP_1) | instskip(SKIP_3) | instid1(VALU_DEP_1)
	v_fmac_f32_e32 v98, v49, v22
	scratch_load_b32 v49, off, s32 offset:1108 ; 4-byte Folded Reload
	v_and_b32_e32 v22, 0xffff0000, v117
	s_waitcnt vmcnt(0)
	v_fmac_f32_e32 v99, v49, v22
	scratch_load_b32 v49, off, s32 offset:1112 ; 4-byte Folded Reload
	;; [unrolled: 9-line block ×23, first 2 shown]
	v_and_b32_e32 v22, 0xffff0000, v56
	s_waitcnt vmcnt(0)
	s_delay_alu instid0(VALU_DEP_1)
	v_fmac_f32_e32 v34, v49, v22
	scratch_load_b32 v22, off, s32 offset:1284 ; 4-byte Folded Reload
	s_waitcnt vmcnt(0)
	v_fmac_f32_e32 v121, v22, v16
	scratch_load_b32 v22, off, s32 offset:1288 ; 4-byte Folded Reload
	v_and_b32_e32 v16, 0xffff0000, v57
	s_waitcnt vmcnt(0)
	s_delay_alu instid0(VALU_DEP_1) | instskip(SKIP_3) | instid1(VALU_DEP_1)
	v_fmac_f32_e32 v52, v22, v16
	scratch_load_b32 v22, off, s32 offset:1292 ; 4-byte Folded Reload
	v_and_b32_e32 v16, 0xffff0000, v58
	s_waitcnt vmcnt(0)
	v_fmac_f32_e32 v97, v22, v16
	scratch_load_b32 v22, off, s32 offset:1296 ; 4-byte Folded Reload
	v_and_b32_e32 v16, 0xffff0000, v59
	s_waitcnt vmcnt(0)
	s_delay_alu instid0(VALU_DEP_1) | instskip(SKIP_3) | instid1(VALU_DEP_1)
	v_fmac_f32_e32 v98, v22, v16
	scratch_load_b32 v22, off, s32 offset:1300 ; 4-byte Folded Reload
	v_and_b32_e32 v16, 0xffff0000, v60
	;; [unrolled: 9-line block ×10, first 2 shown]
	s_waitcnt vmcnt(0)
	v_fmac_f32_e32 v99, v22, v16
	scratch_load_b32 v22, off, s32 offset:1368 ; 4-byte Folded Reload
	v_and_b32_e32 v16, 0xffff0000, v93
	s_waitcnt vmcnt(0)
	s_delay_alu instid0(VALU_DEP_1)
	v_dual_fmac_f32 v31, v22, v16 :: v_dual_and_b32 v16, 0xffff0000, v94
	scratch_load_b32 v22, off, s32 offset:1372 ; 4-byte Folded Reload
	s_waitcnt vmcnt(0)
	v_fmac_f32_e32 v32, v22, v16
	scratch_load_b32 v16, off, s32 offset:1400 ; 4-byte Folded Reload
	s_waitcnt vmcnt(0)
	v_fmac_f32_e32 v32, v16, v13
	scratch_load_b32 v16, off, s32 offset:1404 ; 4-byte Folded Reload
	v_and_b32_e32 v13, 0xffff0000, v111
	s_waitcnt vmcnt(0)
	s_delay_alu instid0(VALU_DEP_1) | instskip(SKIP_3) | instid1(VALU_DEP_1)
	v_fmac_f32_e32 v31, v16, v13
	scratch_load_b32 v16, off, s32 offset:1436 ; 4-byte Folded Reload
	v_and_b32_e32 v13, 0xffff0000, v125
	s_waitcnt vmcnt(0)
	v_fmac_f32_e32 v31, v16, v13
	scratch_load_b32 v16, off, s32 offset:1432 ; 4-byte Folded Reload
	v_and_b32_e32 v13, 0xffff0000, v126
	s_waitcnt vmcnt(0)
	s_delay_alu instid0(VALU_DEP_1) | instskip(SKIP_3) | instid1(VALU_DEP_1)
	v_fmac_f32_e32 v32, v16, v13
	scratch_load_b32 v16, off, s32 offset:1480 ; 4-byte Folded Reload
	v_and_b32_e32 v13, 0xffff0000, v142
	;; [unrolled: 9-line block ×6, first 2 shown]
	s_waitcnt vmcnt(0)
	v_fmac_f32_e32 v32, v16, v13
	scratch_load_b32 v16, off, s32 offset:1596 ; 4-byte Folded Reload
	v_and_b32_e32 v13, 0xffff0000, v54
	s_waitcnt vmcnt(0)
	s_delay_alu instid0(VALU_DEP_1)
	v_fmac_f32_e32 v31, v16, v13
	scratch_load_b32 v13, off, s32 offset:1628 ; 4-byte Folded Reload
	s_waitcnt vmcnt(0)
	v_fmac_f32_e32 v31, v13, v11
	scratch_load_b32 v11, off, s32 offset:1624 ; 4-byte Folded Reload
	s_waitcnt vmcnt(0)
	v_fmac_f32_e32 v32, v11, v10
	scratch_load_b32 v11, off, s32 offset:1656 ; 4-byte Folded Reload
	v_and_b32_e32 v10, 0xffff0000, v64
	s_waitcnt vmcnt(0)
	s_delay_alu instid0(VALU_DEP_1) | instskip(SKIP_3) | instid1(VALU_DEP_1)
	v_fmac_f32_e32 v32, v11, v10
	scratch_load_b32 v11, off, s32 offset:1660 ; 4-byte Folded Reload
	v_and_b32_e32 v10, 0xffff0000, v30
	s_waitcnt vmcnt(0)
	v_fmac_f32_e32 v31, v11, v10
	scratch_load_b32 v11, off, s32 offset:1692 ; 4-byte Folded Reload
	v_and_b32_e32 v10, 0xffff0000, v71
	s_waitcnt vmcnt(0)
	s_delay_alu instid0(VALU_DEP_1) | instskip(SKIP_3) | instid1(VALU_DEP_1)
	v_fmac_f32_e32 v31, v11, v10
	scratch_load_b32 v11, off, s32 offset:1688 ; 4-byte Folded Reload
	v_and_b32_e32 v10, 0xffff0000, v80
	;; [unrolled: 9-line block ×10, first 2 shown]
	s_waitcnt vmcnt(0)
	v_fmac_f32_e32 v121, v11, v10
	scratch_load_b32 v10, off, s32 offset:1600 ; 4-byte Folded Reload
	s_waitcnt vmcnt(0)
	v_fmac_f32_e32 v121, v10, v7
	scratch_load_b32 v7, off, s32 offset:1604 ; 4-byte Folded Reload
	;; [unrolled: 3-line block ×5, first 2 shown]
	v_and_b32_e32 v0, 0xffff0000, v66
	s_waitcnt vmcnt(0)
	s_delay_alu instid0(VALU_DEP_1) | instskip(SKIP_3) | instid1(VALU_DEP_1)
	v_fmac_f32_e32 v121, v1, v0
	scratch_load_b32 v1, off, s32 offset:1668 ; 4-byte Folded Reload
	v_and_b32_e32 v0, 0xffff0000, v65
	s_waitcnt vmcnt(0)
	v_fmac_f32_e32 v34, v1, v0
	scratch_load_b32 v1, off, s32 offset:1700 ; 4-byte Folded Reload
	v_and_b32_e32 v0, 0xffff0000, v81
	s_waitcnt vmcnt(0)
	s_delay_alu instid0(VALU_DEP_1) | instskip(SKIP_3) | instid1(VALU_DEP_1)
	v_fmac_f32_e32 v34, v1, v0
	scratch_load_b32 v1, off, s32 offset:1696 ; 4-byte Folded Reload
	v_and_b32_e32 v0, 0xffff0000, v82
	s_waitcnt vmcnt(0)
	v_fmac_f32_e32 v121, v1, v0
	scratch_load_b32 v1, off, s32 offset:1728 ; 4-byte Folded Reload
	;; [unrolled: 9-line block ×11, first 2 shown]
	v_and_b32_e32 v0, 0xffff0000, v3
	s_waitcnt vmcnt(0)
	s_delay_alu instid0(VALU_DEP_1)
	v_fmac_f32_e32 v52, v1, v0
	scratch_load_b32 v1, off, s32 offset:1640 ; 4-byte Folded Reload
	v_and_b32_e32 v0, 0xffff0000, v2
	scratch_load_b32 v2, off, s32 offset:1684 ; 4-byte Folded Reload
	s_waitcnt vmcnt(1)
	v_fmac_f32_e32 v97, v1, v0
	scratch_load_b32 v1, off, s32 offset:1672 ; 4-byte Folded Reload
	v_and_b32_e32 v0, 0xffff0000, v68
	s_waitcnt vmcnt(0)
	s_delay_alu instid0(VALU_DEP_1) | instskip(SKIP_3) | instid1(VALU_DEP_1)
	v_fmac_f32_e32 v97, v1, v0
	scratch_load_b32 v1, off, s32 offset:1676 ; 4-byte Folded Reload
	v_and_b32_e32 v0, 0xffff0000, v67
	s_waitcnt vmcnt(0)
	v_fmac_f32_e32 v52, v1, v0
	scratch_load_b32 v1, off, s32 offset:1708 ; 4-byte Folded Reload
	v_and_b32_e32 v0, 0xffff0000, v83
	s_waitcnt vmcnt(0)
	s_delay_alu instid0(VALU_DEP_1) | instskip(SKIP_3) | instid1(VALU_DEP_1)
	v_fmac_f32_e32 v52, v1, v0
	scratch_load_b32 v1, off, s32 offset:1704 ; 4-byte Folded Reload
	v_and_b32_e32 v0, 0xffff0000, v84
	;; [unrolled: 9-line block ×12, first 2 shown]
	s_waitcnt vmcnt(0)
	v_fmac_f32_e32 v99, v1, v0
	scratch_load_b32 v1, off, s32 offset:1680 ; 4-byte Folded Reload
	v_and_b32_e32 v0, 0xffff0000, v70
	s_waitcnt vmcnt(0)
	s_delay_alu instid0(VALU_DEP_1) | instskip(SKIP_1) | instid1(VALU_DEP_1)
	v_fmac_f32_e32 v99, v1, v0
	v_dual_add_f32 v0, v31, v32 :: v_dual_and_b32 v1, 0xffff0000, v69
	v_fmac_f32_e32 v98, v2, v1
	scratch_load_b32 v2, off, s32 offset:1716 ; 4-byte Folded Reload
	v_dual_add_f32 v0, v0, v34 :: v_dual_and_b32 v1, 0xffff0000, v35
	s_delay_alu instid0(VALU_DEP_1) | instskip(NEXT) | instid1(VALU_DEP_1)
	v_add_f32_e32 v0, v121, v0
	v_add_f32_e32 v0, v52, v0
	s_delay_alu instid0(VALU_DEP_1)
	v_add_f32_e32 v0, v97, v0
	s_waitcnt vmcnt(0)
	v_fmac_f32_e32 v98, v2, v1
	scratch_load_b32 v2, off, s32 offset:1712 ; 4-byte Folded Reload
	v_and_b32_e32 v1, 0xffff0000, v36
	s_waitcnt vmcnt(0)
	s_delay_alu instid0(VALU_DEP_1) | instskip(SKIP_3) | instid1(VALU_DEP_1)
	v_fmac_f32_e32 v99, v2, v1
	scratch_load_b32 v2, off, s32 offset:1748 ; 4-byte Folded Reload
	v_and_b32_e32 v1, 0xffff0000, v33
	s_waitcnt vmcnt(0)
	v_fmac_f32_e32 v98, v2, v1
	scratch_load_b32 v2, off, s32 offset:1744 ; 4-byte Folded Reload
	v_dual_add_f32 v0, v98, v0 :: v_dual_and_b32 v1, 0xffff0000, v19
	s_waitcnt vmcnt(0)
	s_delay_alu instid0(VALU_DEP_1)
	v_fmac_f32_e32 v99, v2, v1
	s_clause 0x1
	scratch_load_b32 v1, off, s32 offset:1760
	scratch_load_b32 v2, off, s32 offset:704
	s_waitcnt vmcnt(1)
	v_dual_add_f32 v0, v99, v0 :: v_dual_add_nc_u32 v1, v1, v107
	s_delay_alu instid0(VALU_DEP_1) | instskip(SKIP_1) | instid1(VALU_DEP_1)
	v_cvt_f32_i32_e32 v1, v1
	s_waitcnt vmcnt(0)
	v_mul_f32_e32 v1, v2, v1
	scratch_load_b32 v2, off, s32 offset:700 ; 4-byte Folded Reload
	v_cndmask_b32_e32 v1, 0, v1, vcc_lo
	s_waitcnt vmcnt(0)
	s_delay_alu instid0(VALU_DEP_1) | instskip(SKIP_3) | instid1(VALU_DEP_1)
	v_fmac_f32_e32 v1, v0, v2
	scratch_load_b32 v0, off, s32 offset:840 ; 4-byte Folded Reload
	s_waitcnt vmcnt(0)
	v_add_nc_u32_e32 v0, v0, v107
	v_cmp_lt_i32_e64 s2, v0, v39
	s_waitcnt lgkmcnt(0)
	v_add_nc_u32_e32 v0, s22, v108
	s_delay_alu instid0(VALU_DEP_2) | instskip(SKIP_2) | instid1(VALU_DEP_1)
	v_cndmask_b32_e64 v2, 0, v1, s2
	ds_store_b32 v0, v2
	v_max_f32_e32 v0, v95, v95
	v_max_f32_e32 v0, v0, v1
	s_delay_alu instid0(VALU_DEP_1)
	v_cndmask_b32_e64 v95, v95, v0, s2
.LBB450_12:                             ;   in Loop: Header=BB450_13 Depth=1
	s_or_b32 exec_lo, exec_lo, s3
	scratch_load_b32 v0, off, s32 offset:340 ; 4-byte Folded Reload
	v_add_nc_u32_e32 v110, 4, v110
	v_add_co_u32 v28, s2, v28, 16
	s_delay_alu instid0(VALU_DEP_1) | instskip(SKIP_4) | instid1(VALU_DEP_1)
	v_add_co_ci_u32_e64 v29, s2, 0, v29, s2
	v_add_nc_u32_e32 v107, 0x80, v107
	v_add_nc_u32_e32 v108, 0x200, v108
	s_waitcnt vmcnt(0)
	v_cmp_ge_i32_e64 s2, v110, v0
	s_or_b32 s7, s2, s7
	s_delay_alu instid0(SALU_CYCLE_1)
	s_and_not1_b32 exec_lo, exec_lo, s7
	s_cbranch_execz .LBB450_3088
.LBB450_13:                             ; =>This Inner Loop Header: Depth=1
	s_clause 0x1
	scratch_load_b32 v1, off, s32 offset:344
	scratch_load_b32 v4, off, s32 offset:336
	v_sub_nc_u32_e32 v0, 0, v107
	s_delay_alu instid0(VALU_DEP_1) | instskip(SKIP_1) | instid1(VALU_DEP_1)
	v_max_i32_e32 v0, v107, v0
	s_waitcnt vmcnt(1)
	v_mul_hi_u32 v1, v0, v1
	s_delay_alu instid0(VALU_DEP_1) | instskip(NEXT) | instid1(VALU_DEP_1)
	v_mul_lo_u32 v2, v1, v48
	v_sub_nc_u32_e32 v0, v0, v2
	v_add_nc_u32_e32 v2, 1, v1
	s_delay_alu instid0(VALU_DEP_2) | instskip(SKIP_1) | instid1(VALU_DEP_1)
	v_sub_nc_u32_e32 v3, v0, v48
	v_cmp_ge_u32_e64 s2, v0, v48
	v_cndmask_b32_e64 v1, v1, v2, s2
	s_delay_alu instid0(VALU_DEP_3) | instskip(SKIP_1) | instid1(VALU_DEP_3)
	v_cndmask_b32_e64 v0, v0, v3, s2
	v_ashrrev_i32_e32 v2, 31, v107
	v_add_nc_u32_e32 v3, 1, v1
	s_delay_alu instid0(VALU_DEP_3) | instskip(SKIP_1) | instid1(VALU_DEP_3)
	v_cmp_ge_u32_e64 s2, v0, v48
	s_waitcnt vmcnt(0)
	v_xor_b32_e32 v2, v2, v4
	s_delay_alu instid0(VALU_DEP_2) | instskip(SKIP_2) | instid1(VALU_DEP_1)
	v_cndmask_b32_e64 v0, v1, v3, s2
	scratch_load_b32 v3, off, s32 offset:356 ; 4-byte Folded Reload
	v_xor_b32_e32 v0, v0, v2
	v_sub_nc_u32_e32 v0, v0, v2
	scratch_load_b64 v[1:2], off, s32 offset:328 ; 8-byte Folded Reload
	s_waitcnt vmcnt(0)
	v_add_nc_u32_e32 v1, v0, v1
	s_delay_alu instid0(VALU_DEP_1) | instskip(NEXT) | instid1(VALU_DEP_1)
	v_sub_nc_u32_e32 v2, 0, v1
	v_max_i32_e32 v2, v1, v2
	v_ashrrev_i32_e32 v1, 31, v1
	s_delay_alu instid0(VALU_DEP_2) | instskip(NEXT) | instid1(VALU_DEP_1)
	v_mul_hi_u32 v3, v2, v3
	v_mul_lo_u32 v3, v3, v104
	s_delay_alu instid0(VALU_DEP_1) | instskip(NEXT) | instid1(VALU_DEP_1)
	v_sub_nc_u32_e32 v2, v2, v3
	v_sub_nc_u32_e32 v3, v2, v104
	v_cmp_ge_u32_e64 s2, v2, v104
	s_delay_alu instid0(VALU_DEP_1) | instskip(NEXT) | instid1(VALU_DEP_1)
	v_cndmask_b32_e64 v2, v2, v3, s2
	v_sub_nc_u32_e32 v3, v2, v104
	v_cmp_ge_u32_e64 s2, v2, v104
	s_delay_alu instid0(VALU_DEP_1) | instskip(NEXT) | instid1(VALU_DEP_1)
	v_cndmask_b32_e64 v2, v2, v3, s2
	v_xor_b32_e32 v2, v2, v1
	s_delay_alu instid0(VALU_DEP_1) | instskip(NEXT) | instid1(VALU_DEP_1)
	v_sub_nc_u32_e32 v1, v2, v1
	v_cmp_ne_u32_e64 s2, 0, v1
	scratch_load_b32 v1, off, s32 offset:348 ; 4-byte Folded Reload
	s_waitcnt vmcnt(0)
	v_cmp_le_i32_e64 s3, v0, v1
	s_delay_alu instid0(VALU_DEP_1) | instskip(NEXT) | instid1(SALU_CYCLE_1)
	s_and_b32 s2, s2, s3
	s_and_saveexec_b32 s3, s2
	s_delay_alu instid0(SALU_CYCLE_1)
	s_xor_b32 s2, exec_lo, s3
	s_cbranch_execz .LBB450_15
; %bb.14:                               ;   in Loop: Header=BB450_13 Depth=1
	s_waitcnt lgkmcnt(0)
	v_dual_mov_b32 v1, 0xff7fffff :: v_dual_add_nc_u32 v0, s21, v108
	ds_store_b32 v0, v1
.LBB450_15:                             ;   in Loop: Header=BB450_13 Depth=1
	s_and_not1_saveexec_b32 s3, s2
	s_cbranch_execz .LBB450_12
; %bb.16:                               ;   in Loop: Header=BB450_13 Depth=1
	flat_load_b32 v0, v[28:29]
	s_clause 0x1
	scratch_load_b32 v1, off, s32 offset:352
	scratch_load_b64 v[2:3], off, s32 offset:1752
	s_mov_b32 s22, exec_lo
	s_waitcnt vmcnt(0) lgkmcnt(0)
	v_mad_i64_i32 v[31:32], null, v0, v1, v[2:3]
	flat_load_b64 v[33:34], v[31:32]
	scratch_load_b64 v[0:1], off, s32 offset:692 ; 8-byte Folded Reload
	s_waitcnt vmcnt(0)
	flat_load_b32 v121, v[0:1]
	s_waitcnt lgkmcnt(1)
	v_dual_mov_b32 v0, 0 :: v_dual_and_b32 v1, 0xff, v33
	s_delay_alu instid0(VALU_DEP_1)
	v_cmpx_ne_u16_e32 0, v1
	s_cbranch_execz .LBB450_24
; %bb.17:                               ;   in Loop: Header=BB450_13 Depth=1
	v_bfrev_b32_e32 v0, 1
	s_mov_b32 s23, exec_lo
	v_cmpx_ne_u16_e32 0x80, v1
	s_cbranch_execz .LBB450_23
; %bb.18:                               ;   in Loop: Header=BB450_13 Depth=1
	v_and_b32_e32 v1, 0x7f, v33
	v_mov_b32_e32 v0, 0x7f800001
	s_mov_b32 s24, exec_lo
	s_delay_alu instid0(VALU_DEP_2)
	v_cmpx_ne_u32_e32 0x7f, v1
	s_cbranch_execz .LBB450_22
; %bb.19:                               ;   in Loop: Header=BB450_13 Depth=1
	v_lshrrev_b32_e32 v0, 3, v1
	v_dual_mov_b32 v36, v34 :: v_dual_mov_b32 v35, v33
	s_mov_b32 s25, exec_lo
	v_cmpx_gt_u32_e32 8, v1
; %bb.20:                               ;   in Loop: Header=BB450_13 Depth=1
	v_and_b32_e32 v0, 7, v33
	s_delay_alu instid0(VALU_DEP_1) | instskip(NEXT) | instid1(VALU_DEP_1)
	v_clz_i32_u32_e32 v0, v0
	v_min_u32_e32 v0, 32, v0
	s_delay_alu instid0(VALU_DEP_1) | instskip(SKIP_1) | instid1(VALU_DEP_2)
	v_subrev_nc_u32_e32 v1, 28, v0
	v_sub_nc_u32_e32 v0, 29, v0
	v_lshlrev_b64 v[35:36], v1, v[33:34]
; %bb.21:                               ;   in Loop: Header=BB450_13 Depth=1
	s_or_b32 exec_lo, exec_lo, s25
	s_delay_alu instid0(VALU_DEP_1) | instskip(SKIP_2) | instid1(VALU_DEP_3)
	v_lshlrev_b32_e32 v1, 20, v35
	v_lshlrev_b32_e32 v2, 24, v33
	v_lshl_add_u32 v0, v0, 23, 0x3c000000
	v_and_b32_e32 v1, 0x700000, v1
	s_delay_alu instid0(VALU_DEP_3) | instskip(NEXT) | instid1(VALU_DEP_1)
	v_and_b32_e32 v2, 0x80000000, v2
	v_or3_b32 v0, v1, v2, v0
.LBB450_22:                             ;   in Loop: Header=BB450_13 Depth=1
	s_or_b32 exec_lo, exec_lo, s24
.LBB450_23:                             ;   in Loop: Header=BB450_13 Depth=1
	s_delay_alu instid0(SALU_CYCLE_1)
	s_or_b32 exec_lo, exec_lo, s23
.LBB450_24:                             ;   in Loop: Header=BB450_13 Depth=1
	s_delay_alu instid0(SALU_CYCLE_1) | instskip(SKIP_2) | instid1(VALU_DEP_1)
	s_or_b32 exec_lo, exec_lo, s22
	s_waitcnt vmcnt(0) lgkmcnt(0)
	v_mul_f32_e32 v0, v121, v0
	v_and_b32_e32 v1, 0x7f800000, v0
	s_delay_alu instid0(VALU_DEP_1) | instskip(NEXT) | instid1(VALU_DEP_1)
	v_cmp_ne_u32_e64 s2, 0x7f800000, v1
                                        ; implicit-def: $vgpr1
                                        ; kill: killed $vgpr1
	s_and_saveexec_b32 s22, s2
	s_delay_alu instid0(SALU_CYCLE_1)
	s_xor_b32 s2, exec_lo, s22
	s_cbranch_execz .LBB450_26
; %bb.25:                               ;   in Loop: Header=BB450_13 Depth=1
	v_bfe_u32 v1, v0, 16, 1
	s_delay_alu instid0(VALU_DEP_1)
	v_add3_u32 v0, v0, v1, 0x7fff
	scratch_store_b32 off, v0, s32 offset:376 ; 4-byte Folded Spill
                                        ; implicit-def: $vgpr0
.LBB450_26:                             ;   in Loop: Header=BB450_13 Depth=1
	s_and_not1_saveexec_b32 s22, s2
	s_cbranch_execz .LBB450_28
; %bb.27:                               ;   in Loop: Header=BB450_13 Depth=1
	v_and_b32_e32 v1, 0xffff, v0
	v_or_b32_e32 v2, 0x10000, v0
	s_delay_alu instid0(VALU_DEP_2) | instskip(NEXT) | instid1(VALU_DEP_1)
	v_cmp_eq_u32_e64 s2, 0, v1
	v_cndmask_b32_e64 v0, v2, v0, s2
	scratch_store_b32 off, v0, s32 offset:376 ; 4-byte Folded Spill
.LBB450_28:                             ;   in Loop: Header=BB450_13 Depth=1
	s_or_b32 exec_lo, exec_lo, s22
	v_lshrrev_b16 v1, 8, v33
	v_mov_b32_e32 v0, 0
	s_mov_b32 s22, exec_lo
	s_delay_alu instid0(VALU_DEP_2)
	v_cmpx_ne_u16_e32 0, v1
	s_cbranch_execz .LBB450_36
; %bb.29:                               ;   in Loop: Header=BB450_13 Depth=1
	v_bfrev_b32_e32 v0, 1
	s_mov_b32 s23, exec_lo
	v_cmpx_ne_u16_e32 0x80, v1
	s_cbranch_execz .LBB450_35
; %bb.30:                               ;   in Loop: Header=BB450_13 Depth=1
	v_and_b32_e32 v2, 0xffff, v1
	v_mov_b32_e32 v0, 0x7f800001
	s_mov_b32 s24, exec_lo
	s_delay_alu instid0(VALU_DEP_2) | instskip(NEXT) | instid1(VALU_DEP_1)
	v_and_b32_e32 v1, 0x7f, v2
	v_cmpx_ne_u32_e32 0x7f, v1
	s_cbranch_execz .LBB450_34
; %bb.31:                               ;   in Loop: Header=BB450_13 Depth=1
	v_and_b32_e32 v19, 7, v2
	v_lshrrev_b32_e32 v0, 3, v1
	v_mov_b32_e32 v36, v20
	s_mov_b32 s25, exec_lo
	s_delay_alu instid0(VALU_DEP_3)
	v_mov_b32_e32 v35, v19
	v_cmpx_gt_u32_e32 8, v1
; %bb.32:                               ;   in Loop: Header=BB450_13 Depth=1
	v_clz_i32_u32_e32 v0, v19
	s_delay_alu instid0(VALU_DEP_1) | instskip(NEXT) | instid1(VALU_DEP_1)
	v_min_u32_e32 v0, 32, v0
	v_subrev_nc_u32_e32 v1, 28, v0
	v_sub_nc_u32_e32 v0, 29, v0
	s_delay_alu instid0(VALU_DEP_2) | instskip(NEXT) | instid1(VALU_DEP_1)
	v_lshlrev_b64 v[1:2], v1, v[19:20]
	v_and_b32_e32 v35, 7, v1
; %bb.33:                               ;   in Loop: Header=BB450_13 Depth=1
	s_or_b32 exec_lo, exec_lo, s25
	v_lshlrev_b32_e32 v1, 16, v33
	s_delay_alu instid0(VALU_DEP_2) | instskip(SKIP_1) | instid1(VALU_DEP_3)
	v_lshlrev_b32_e32 v2, 20, v35
	v_lshl_add_u32 v0, v0, 23, 0x3c000000
	v_and_b32_e32 v1, 0x80000000, v1
	s_delay_alu instid0(VALU_DEP_1)
	v_or3_b32 v0, v2, v1, v0
.LBB450_34:                             ;   in Loop: Header=BB450_13 Depth=1
	s_or_b32 exec_lo, exec_lo, s24
.LBB450_35:                             ;   in Loop: Header=BB450_13 Depth=1
	s_delay_alu instid0(SALU_CYCLE_1)
	s_or_b32 exec_lo, exec_lo, s23
.LBB450_36:                             ;   in Loop: Header=BB450_13 Depth=1
	s_delay_alu instid0(SALU_CYCLE_1) | instskip(NEXT) | instid1(VALU_DEP_1)
	s_or_b32 exec_lo, exec_lo, s22
	v_mul_f32_e32 v0, v121, v0
                                        ; implicit-def: $vgpr99
	s_delay_alu instid0(VALU_DEP_1) | instskip(NEXT) | instid1(VALU_DEP_1)
	v_and_b32_e32 v1, 0x7f800000, v0
	v_cmp_ne_u32_e64 s2, 0x7f800000, v1
	s_delay_alu instid0(VALU_DEP_1) | instskip(NEXT) | instid1(SALU_CYCLE_1)
	s_and_saveexec_b32 s22, s2
	s_xor_b32 s2, exec_lo, s22
; %bb.37:                               ;   in Loop: Header=BB450_13 Depth=1
	v_bfe_u32 v1, v0, 16, 1
	s_delay_alu instid0(VALU_DEP_1)
	v_add3_u32 v99, v0, v1, 0x7fff
                                        ; implicit-def: $vgpr0
; %bb.38:                               ;   in Loop: Header=BB450_13 Depth=1
	s_and_not1_saveexec_b32 s22, s2
; %bb.39:                               ;   in Loop: Header=BB450_13 Depth=1
	v_and_b32_e32 v1, 0xffff, v0
	v_or_b32_e32 v2, 0x10000, v0
	s_delay_alu instid0(VALU_DEP_2) | instskip(NEXT) | instid1(VALU_DEP_1)
	v_cmp_eq_u32_e64 s2, 0, v1
	v_cndmask_b32_e64 v99, v2, v0, s2
; %bb.40:                               ;   in Loop: Header=BB450_13 Depth=1
	s_or_b32 exec_lo, exec_lo, s22
	v_lshrrev_b32_e32 v0, 16, v33
	s_mov_b32 s22, exec_lo
	s_delay_alu instid0(VALU_DEP_1) | instskip(NEXT) | instid1(VALU_DEP_1)
	v_dual_mov_b32 v1, 0 :: v_dual_and_b32 v2, 0xff, v0
	v_cmpx_ne_u16_e32 0, v2
	s_cbranch_execz .LBB450_48
; %bb.41:                               ;   in Loop: Header=BB450_13 Depth=1
	v_bfrev_b32_e32 v1, 1
	s_mov_b32 s23, exec_lo
	v_cmpx_ne_u16_e32 0x80, v2
	s_cbranch_execz .LBB450_47
; %bb.42:                               ;   in Loop: Header=BB450_13 Depth=1
	v_bfe_u32 v2, v33, 16, 7
	v_mov_b32_e32 v1, 0x7f800001
	s_mov_b32 s24, exec_lo
	s_delay_alu instid0(VALU_DEP_2)
	v_cmpx_ne_u32_e32 0x7f, v2
	s_cbranch_execz .LBB450_46
; %bb.43:                               ;   in Loop: Header=BB450_13 Depth=1
	v_and_b32_e32 v19, 7, v0
	v_lshrrev_b32_e32 v1, 3, v2
	v_mov_b32_e32 v36, v20
	s_mov_b32 s25, exec_lo
	s_delay_alu instid0(VALU_DEP_3)
	v_mov_b32_e32 v35, v19
	v_cmpx_gt_u32_e32 8, v2
; %bb.44:                               ;   in Loop: Header=BB450_13 Depth=1
	v_clz_i32_u32_e32 v1, v19
	s_delay_alu instid0(VALU_DEP_1) | instskip(NEXT) | instid1(VALU_DEP_1)
	v_min_u32_e32 v1, 32, v1
	v_subrev_nc_u32_e32 v2, 28, v1
	v_sub_nc_u32_e32 v1, 29, v1
	s_delay_alu instid0(VALU_DEP_2) | instskip(NEXT) | instid1(VALU_DEP_1)
	v_lshlrev_b64 v[2:3], v2, v[19:20]
	v_and_b32_e32 v35, 7, v2
; %bb.45:                               ;   in Loop: Header=BB450_13 Depth=1
	s_or_b32 exec_lo, exec_lo, s25
	v_lshlrev_b32_e32 v0, 24, v0
	s_delay_alu instid0(VALU_DEP_2) | instskip(SKIP_1) | instid1(VALU_DEP_3)
	v_lshlrev_b32_e32 v2, 20, v35
	v_lshl_add_u32 v1, v1, 23, 0x3c000000
	v_and_b32_e32 v0, 0x80000000, v0
	s_delay_alu instid0(VALU_DEP_1)
	v_or3_b32 v1, v2, v0, v1
.LBB450_46:                             ;   in Loop: Header=BB450_13 Depth=1
	s_or_b32 exec_lo, exec_lo, s24
.LBB450_47:                             ;   in Loop: Header=BB450_13 Depth=1
	s_delay_alu instid0(SALU_CYCLE_1)
	s_or_b32 exec_lo, exec_lo, s23
.LBB450_48:                             ;   in Loop: Header=BB450_13 Depth=1
	s_delay_alu instid0(SALU_CYCLE_1) | instskip(NEXT) | instid1(VALU_DEP_1)
	s_or_b32 exec_lo, exec_lo, s22
	v_mul_f32_e32 v0, v121, v1
                                        ; implicit-def: $vgpr103
	s_delay_alu instid0(VALU_DEP_1) | instskip(NEXT) | instid1(VALU_DEP_1)
	v_and_b32_e32 v1, 0x7f800000, v0
	v_cmp_ne_u32_e64 s2, 0x7f800000, v1
	s_delay_alu instid0(VALU_DEP_1) | instskip(NEXT) | instid1(SALU_CYCLE_1)
	s_and_saveexec_b32 s22, s2
	s_xor_b32 s2, exec_lo, s22
; %bb.49:                               ;   in Loop: Header=BB450_13 Depth=1
	v_bfe_u32 v1, v0, 16, 1
	s_delay_alu instid0(VALU_DEP_1)
	v_add3_u32 v103, v0, v1, 0x7fff
                                        ; implicit-def: $vgpr0
; %bb.50:                               ;   in Loop: Header=BB450_13 Depth=1
	s_and_not1_saveexec_b32 s22, s2
; %bb.51:                               ;   in Loop: Header=BB450_13 Depth=1
	v_and_b32_e32 v1, 0xffff, v0
	v_or_b32_e32 v2, 0x10000, v0
	s_delay_alu instid0(VALU_DEP_2) | instskip(NEXT) | instid1(VALU_DEP_1)
	v_cmp_eq_u32_e64 s2, 0, v1
	v_cndmask_b32_e64 v103, v2, v0, s2
; %bb.52:                               ;   in Loop: Header=BB450_13 Depth=1
	s_or_b32 exec_lo, exec_lo, s22
	v_mov_b32_e32 v1, 0
	s_mov_b32 s22, exec_lo
	v_cmpx_lt_u32_e32 0xffffff, v33
	s_cbranch_execz .LBB450_60
; %bb.53:                               ;   in Loop: Header=BB450_13 Depth=1
	v_lshrrev_b32_e32 v0, 24, v33
	v_bfrev_b32_e32 v1, 1
	s_mov_b32 s23, exec_lo
	s_delay_alu instid0(VALU_DEP_2)
	v_cmpx_ne_u32_e32 0x80, v0
	s_cbranch_execz .LBB450_59
; %bb.54:                               ;   in Loop: Header=BB450_13 Depth=1
	v_bfe_u32 v2, v33, 24, 7
	v_mov_b32_e32 v1, 0x7f800001
	s_mov_b32 s24, exec_lo
	s_delay_alu instid0(VALU_DEP_2)
	v_cmpx_ne_u32_e32 0x7f, v2
	s_cbranch_execz .LBB450_58
; %bb.55:                               ;   in Loop: Header=BB450_13 Depth=1
	v_and_b32_e32 v19, 7, v0
	v_lshrrev_b32_e32 v1, 3, v2
	v_mov_b32_e32 v36, v20
	s_mov_b32 s25, exec_lo
	s_delay_alu instid0(VALU_DEP_3)
	v_mov_b32_e32 v35, v19
	v_cmpx_gt_u32_e32 8, v2
; %bb.56:                               ;   in Loop: Header=BB450_13 Depth=1
	v_clz_i32_u32_e32 v1, v19
	s_delay_alu instid0(VALU_DEP_1) | instskip(NEXT) | instid1(VALU_DEP_1)
	v_min_u32_e32 v1, 32, v1
	v_subrev_nc_u32_e32 v2, 28, v1
	v_sub_nc_u32_e32 v1, 29, v1
	s_delay_alu instid0(VALU_DEP_2) | instskip(NEXT) | instid1(VALU_DEP_1)
	v_lshlrev_b64 v[2:3], v2, v[19:20]
	v_and_b32_e32 v35, 7, v2
; %bb.57:                               ;   in Loop: Header=BB450_13 Depth=1
	s_or_b32 exec_lo, exec_lo, s25
	v_lshlrev_b32_e32 v0, 24, v0
	s_delay_alu instid0(VALU_DEP_2) | instskip(SKIP_1) | instid1(VALU_DEP_3)
	v_lshlrev_b32_e32 v2, 20, v35
	v_lshl_add_u32 v1, v1, 23, 0x3c000000
	v_and_b32_e32 v0, 0x80000000, v0
	s_delay_alu instid0(VALU_DEP_1)
	v_or3_b32 v1, v2, v0, v1
.LBB450_58:                             ;   in Loop: Header=BB450_13 Depth=1
	s_or_b32 exec_lo, exec_lo, s24
.LBB450_59:                             ;   in Loop: Header=BB450_13 Depth=1
	s_delay_alu instid0(SALU_CYCLE_1)
	s_or_b32 exec_lo, exec_lo, s23
.LBB450_60:                             ;   in Loop: Header=BB450_13 Depth=1
	s_delay_alu instid0(SALU_CYCLE_1) | instskip(NEXT) | instid1(VALU_DEP_1)
	s_or_b32 exec_lo, exec_lo, s22
	v_mul_f32_e32 v0, v121, v1
                                        ; implicit-def: $vgpr112
	s_delay_alu instid0(VALU_DEP_1) | instskip(NEXT) | instid1(VALU_DEP_1)
	v_and_b32_e32 v1, 0x7f800000, v0
	v_cmp_ne_u32_e64 s2, 0x7f800000, v1
	s_delay_alu instid0(VALU_DEP_1) | instskip(NEXT) | instid1(SALU_CYCLE_1)
	s_and_saveexec_b32 s22, s2
	s_xor_b32 s2, exec_lo, s22
; %bb.61:                               ;   in Loop: Header=BB450_13 Depth=1
	v_bfe_u32 v1, v0, 16, 1
	s_delay_alu instid0(VALU_DEP_1)
	v_add3_u32 v112, v0, v1, 0x7fff
                                        ; implicit-def: $vgpr0
; %bb.62:                               ;   in Loop: Header=BB450_13 Depth=1
	s_and_not1_saveexec_b32 s22, s2
; %bb.63:                               ;   in Loop: Header=BB450_13 Depth=1
	v_and_b32_e32 v1, 0xffff, v0
	v_or_b32_e32 v2, 0x10000, v0
	s_delay_alu instid0(VALU_DEP_2) | instskip(NEXT) | instid1(VALU_DEP_1)
	v_cmp_eq_u32_e64 s2, 0, v1
	v_cndmask_b32_e64 v112, v2, v0, s2
; %bb.64:                               ;   in Loop: Header=BB450_13 Depth=1
	s_or_b32 exec_lo, exec_lo, s22
	v_dual_mov_b32 v0, 0 :: v_dual_and_b32 v1, 0xff, v34
	v_mov_b32_e32 v19, v34
	s_mov_b32 s22, exec_lo
	s_delay_alu instid0(VALU_DEP_2)
	v_cmpx_ne_u16_e32 0, v1
	s_cbranch_execz .LBB450_72
; %bb.65:                               ;   in Loop: Header=BB450_13 Depth=1
	v_bfrev_b32_e32 v0, 1
	s_mov_b32 s23, exec_lo
	v_cmpx_ne_u16_e32 0x80, v1
	s_cbranch_execz .LBB450_71
; %bb.66:                               ;   in Loop: Header=BB450_13 Depth=1
	v_and_b32_e32 v1, 0x7f, v34
	v_mov_b32_e32 v0, 0x7f800001
	s_mov_b32 s24, exec_lo
	s_delay_alu instid0(VALU_DEP_2)
	v_cmpx_ne_u32_e32 0x7f, v1
	s_cbranch_execz .LBB450_70
; %bb.67:                               ;   in Loop: Header=BB450_13 Depth=1
	v_lshrrev_b32_e32 v0, 3, v1
	v_dual_mov_b32 v36, v20 :: v_dual_mov_b32 v35, v19
	s_mov_b32 s25, exec_lo
	v_cmpx_gt_u32_e32 8, v1
; %bb.68:                               ;   in Loop: Header=BB450_13 Depth=1
	v_and_b32_e32 v0, 7, v34
	s_delay_alu instid0(VALU_DEP_1) | instskip(NEXT) | instid1(VALU_DEP_1)
	v_clz_i32_u32_e32 v0, v0
	v_min_u32_e32 v0, 32, v0
	s_delay_alu instid0(VALU_DEP_1) | instskip(SKIP_1) | instid1(VALU_DEP_2)
	v_subrev_nc_u32_e32 v1, 28, v0
	v_sub_nc_u32_e32 v0, 29, v0
	v_lshlrev_b64 v[35:36], v1, v[19:20]
; %bb.69:                               ;   in Loop: Header=BB450_13 Depth=1
	s_or_b32 exec_lo, exec_lo, s25
	s_delay_alu instid0(VALU_DEP_1) | instskip(SKIP_2) | instid1(VALU_DEP_3)
	v_lshlrev_b32_e32 v1, 20, v35
	v_lshlrev_b32_e32 v2, 24, v19
	v_lshl_add_u32 v0, v0, 23, 0x3c000000
	v_and_b32_e32 v1, 0x700000, v1
	s_delay_alu instid0(VALU_DEP_3) | instskip(NEXT) | instid1(VALU_DEP_1)
	v_and_b32_e32 v2, 0x80000000, v2
	v_or3_b32 v0, v1, v2, v0
.LBB450_70:                             ;   in Loop: Header=BB450_13 Depth=1
	s_or_b32 exec_lo, exec_lo, s24
.LBB450_71:                             ;   in Loop: Header=BB450_13 Depth=1
	s_delay_alu instid0(SALU_CYCLE_1)
	s_or_b32 exec_lo, exec_lo, s23
.LBB450_72:                             ;   in Loop: Header=BB450_13 Depth=1
	s_delay_alu instid0(SALU_CYCLE_1) | instskip(NEXT) | instid1(VALU_DEP_1)
	s_or_b32 exec_lo, exec_lo, s22
	v_mul_f32_e32 v0, v121, v0
	s_delay_alu instid0(VALU_DEP_1) | instskip(NEXT) | instid1(VALU_DEP_1)
	v_and_b32_e32 v1, 0x7f800000, v0
	v_cmp_ne_u32_e64 s2, 0x7f800000, v1
                                        ; implicit-def: $vgpr1
                                        ; kill: killed $vgpr1
	s_delay_alu instid0(VALU_DEP_1) | instskip(NEXT) | instid1(SALU_CYCLE_1)
	s_and_saveexec_b32 s22, s2
	s_xor_b32 s2, exec_lo, s22
	s_cbranch_execz .LBB450_74
; %bb.73:                               ;   in Loop: Header=BB450_13 Depth=1
	v_bfe_u32 v1, v0, 16, 1
	s_delay_alu instid0(VALU_DEP_1)
	v_add3_u32 v0, v0, v1, 0x7fff
	scratch_store_b32 off, v0, s32 offset:360 ; 4-byte Folded Spill
                                        ; implicit-def: $vgpr0
.LBB450_74:                             ;   in Loop: Header=BB450_13 Depth=1
	s_and_not1_saveexec_b32 s22, s2
	s_cbranch_execz .LBB450_76
; %bb.75:                               ;   in Loop: Header=BB450_13 Depth=1
	v_and_b32_e32 v1, 0xffff, v0
	v_or_b32_e32 v2, 0x10000, v0
	s_delay_alu instid0(VALU_DEP_2) | instskip(NEXT) | instid1(VALU_DEP_1)
	v_cmp_eq_u32_e64 s2, 0, v1
	v_cndmask_b32_e64 v0, v2, v0, s2
	scratch_store_b32 off, v0, s32 offset:360 ; 4-byte Folded Spill
.LBB450_76:                             ;   in Loop: Header=BB450_13 Depth=1
	s_or_b32 exec_lo, exec_lo, s22
	v_lshrrev_b16 v1, 8, v19
	v_mov_b32_e32 v0, 0
	s_mov_b32 s22, exec_lo
	s_delay_alu instid0(VALU_DEP_2)
	v_cmpx_ne_u16_e32 0, v1
	s_cbranch_execz .LBB450_84
; %bb.77:                               ;   in Loop: Header=BB450_13 Depth=1
	v_bfrev_b32_e32 v0, 1
	s_mov_b32 s23, exec_lo
	v_cmpx_ne_u16_e32 0x80, v1
	s_cbranch_execz .LBB450_83
; %bb.78:                               ;   in Loop: Header=BB450_13 Depth=1
	v_and_b32_e32 v2, 0xffff, v1
	v_mov_b32_e32 v0, 0x7f800001
	s_mov_b32 s24, exec_lo
	s_delay_alu instid0(VALU_DEP_2) | instskip(NEXT) | instid1(VALU_DEP_1)
	v_and_b32_e32 v1, 0x7f, v2
	v_cmpx_ne_u32_e32 0x7f, v1
	s_cbranch_execz .LBB450_82
; %bb.79:                               ;   in Loop: Header=BB450_13 Depth=1
	v_dual_mov_b32 v36, v20 :: v_dual_and_b32 v35, 7, v2
	v_lshrrev_b32_e32 v0, 3, v1
	s_mov_b32 s25, exec_lo
	v_cmpx_gt_u32_e32 8, v1
; %bb.80:                               ;   in Loop: Header=BB450_13 Depth=1
	s_delay_alu instid0(VALU_DEP_3) | instskip(NEXT) | instid1(VALU_DEP_1)
	v_clz_i32_u32_e32 v0, v35
	v_min_u32_e32 v0, 32, v0
	s_delay_alu instid0(VALU_DEP_1) | instskip(SKIP_1) | instid1(VALU_DEP_2)
	v_subrev_nc_u32_e32 v1, 28, v0
	v_sub_nc_u32_e32 v0, 29, v0
	v_lshlrev_b64 v[1:2], v1, v[35:36]
	s_delay_alu instid0(VALU_DEP_1)
	v_and_b32_e32 v35, 7, v1
; %bb.81:                               ;   in Loop: Header=BB450_13 Depth=1
	s_or_b32 exec_lo, exec_lo, s25
	v_lshlrev_b32_e32 v1, 16, v19
	s_delay_alu instid0(VALU_DEP_2) | instskip(SKIP_1) | instid1(VALU_DEP_3)
	v_lshlrev_b32_e32 v2, 20, v35
	v_lshl_add_u32 v0, v0, 23, 0x3c000000
	v_and_b32_e32 v1, 0x80000000, v1
	s_delay_alu instid0(VALU_DEP_1)
	v_or3_b32 v0, v2, v1, v0
.LBB450_82:                             ;   in Loop: Header=BB450_13 Depth=1
	s_or_b32 exec_lo, exec_lo, s24
.LBB450_83:                             ;   in Loop: Header=BB450_13 Depth=1
	s_delay_alu instid0(SALU_CYCLE_1)
	s_or_b32 exec_lo, exec_lo, s23
.LBB450_84:                             ;   in Loop: Header=BB450_13 Depth=1
	s_delay_alu instid0(SALU_CYCLE_1) | instskip(NEXT) | instid1(VALU_DEP_1)
	s_or_b32 exec_lo, exec_lo, s22
	v_mul_f32_e32 v0, v121, v0
	s_delay_alu instid0(VALU_DEP_1) | instskip(NEXT) | instid1(VALU_DEP_1)
	v_and_b32_e32 v1, 0x7f800000, v0
	v_cmp_ne_u32_e64 s2, 0x7f800000, v1
                                        ; implicit-def: $vgpr1
                                        ; kill: killed $vgpr1
	s_delay_alu instid0(VALU_DEP_1) | instskip(NEXT) | instid1(SALU_CYCLE_1)
	s_and_saveexec_b32 s22, s2
	s_xor_b32 s2, exec_lo, s22
	s_cbranch_execz .LBB450_86
; %bb.85:                               ;   in Loop: Header=BB450_13 Depth=1
	v_bfe_u32 v1, v0, 16, 1
	s_delay_alu instid0(VALU_DEP_1)
	v_add3_u32 v0, v0, v1, 0x7fff
	scratch_store_b32 off, v0, s32 offset:364 ; 4-byte Folded Spill
                                        ; implicit-def: $vgpr0
.LBB450_86:                             ;   in Loop: Header=BB450_13 Depth=1
	s_and_not1_saveexec_b32 s22, s2
	s_cbranch_execz .LBB450_88
; %bb.87:                               ;   in Loop: Header=BB450_13 Depth=1
	v_and_b32_e32 v1, 0xffff, v0
	v_or_b32_e32 v2, 0x10000, v0
	s_delay_alu instid0(VALU_DEP_2) | instskip(NEXT) | instid1(VALU_DEP_1)
	v_cmp_eq_u32_e64 s2, 0, v1
	v_cndmask_b32_e64 v0, v2, v0, s2
	scratch_store_b32 off, v0, s32 offset:364 ; 4-byte Folded Spill
.LBB450_88:                             ;   in Loop: Header=BB450_13 Depth=1
	s_or_b32 exec_lo, exec_lo, s22
	v_lshrrev_b32_e32 v0, 16, v34
	s_mov_b32 s22, exec_lo
	s_delay_alu instid0(VALU_DEP_1) | instskip(NEXT) | instid1(VALU_DEP_1)
	v_dual_mov_b32 v1, 0 :: v_dual_and_b32 v2, 0xff, v0
	v_cmpx_ne_u16_e32 0, v2
	s_cbranch_execz .LBB450_96
; %bb.89:                               ;   in Loop: Header=BB450_13 Depth=1
	v_bfrev_b32_e32 v1, 1
	s_mov_b32 s23, exec_lo
	v_cmpx_ne_u16_e32 0x80, v2
	s_cbranch_execz .LBB450_95
; %bb.90:                               ;   in Loop: Header=BB450_13 Depth=1
	v_bfe_u32 v2, v34, 16, 7
	v_mov_b32_e32 v1, 0x7f800001
	s_mov_b32 s24, exec_lo
	s_delay_alu instid0(VALU_DEP_2)
	v_cmpx_ne_u32_e32 0x7f, v2
	s_cbranch_execz .LBB450_94
; %bb.91:                               ;   in Loop: Header=BB450_13 Depth=1
	v_and_b32_e32 v19, 7, v0
	v_lshrrev_b32_e32 v1, 3, v2
	v_mov_b32_e32 v36, v20
	s_mov_b32 s25, exec_lo
	s_delay_alu instid0(VALU_DEP_3)
	v_mov_b32_e32 v35, v19
	v_cmpx_gt_u32_e32 8, v2
; %bb.92:                               ;   in Loop: Header=BB450_13 Depth=1
	v_clz_i32_u32_e32 v1, v19
	s_delay_alu instid0(VALU_DEP_1) | instskip(NEXT) | instid1(VALU_DEP_1)
	v_min_u32_e32 v1, 32, v1
	v_subrev_nc_u32_e32 v2, 28, v1
	v_sub_nc_u32_e32 v1, 29, v1
	s_delay_alu instid0(VALU_DEP_2) | instskip(NEXT) | instid1(VALU_DEP_1)
	v_lshlrev_b64 v[2:3], v2, v[19:20]
	v_and_b32_e32 v35, 7, v2
; %bb.93:                               ;   in Loop: Header=BB450_13 Depth=1
	s_or_b32 exec_lo, exec_lo, s25
	v_lshlrev_b32_e32 v0, 24, v0
	s_delay_alu instid0(VALU_DEP_2) | instskip(SKIP_1) | instid1(VALU_DEP_3)
	v_lshlrev_b32_e32 v2, 20, v35
	v_lshl_add_u32 v1, v1, 23, 0x3c000000
	v_and_b32_e32 v0, 0x80000000, v0
	s_delay_alu instid0(VALU_DEP_1)
	v_or3_b32 v1, v2, v0, v1
.LBB450_94:                             ;   in Loop: Header=BB450_13 Depth=1
	s_or_b32 exec_lo, exec_lo, s24
.LBB450_95:                             ;   in Loop: Header=BB450_13 Depth=1
	s_delay_alu instid0(SALU_CYCLE_1)
	s_or_b32 exec_lo, exec_lo, s23
.LBB450_96:                             ;   in Loop: Header=BB450_13 Depth=1
	s_delay_alu instid0(SALU_CYCLE_1) | instskip(NEXT) | instid1(VALU_DEP_1)
	s_or_b32 exec_lo, exec_lo, s22
	v_mul_f32_e32 v0, v121, v1
	s_delay_alu instid0(VALU_DEP_1) | instskip(NEXT) | instid1(VALU_DEP_1)
	v_and_b32_e32 v1, 0x7f800000, v0
	v_cmp_ne_u32_e64 s2, 0x7f800000, v1
                                        ; implicit-def: $vgpr1
                                        ; kill: killed $vgpr1
	s_delay_alu instid0(VALU_DEP_1) | instskip(NEXT) | instid1(SALU_CYCLE_1)
	s_and_saveexec_b32 s22, s2
	s_xor_b32 s2, exec_lo, s22
	s_cbranch_execz .LBB450_98
; %bb.97:                               ;   in Loop: Header=BB450_13 Depth=1
	v_bfe_u32 v1, v0, 16, 1
	s_delay_alu instid0(VALU_DEP_1)
	v_add3_u32 v0, v0, v1, 0x7fff
	scratch_store_b32 off, v0, s32 offset:368 ; 4-byte Folded Spill
                                        ; implicit-def: $vgpr0
.LBB450_98:                             ;   in Loop: Header=BB450_13 Depth=1
	s_and_not1_saveexec_b32 s22, s2
	s_cbranch_execz .LBB450_100
; %bb.99:                               ;   in Loop: Header=BB450_13 Depth=1
	v_and_b32_e32 v1, 0xffff, v0
	v_or_b32_e32 v2, 0x10000, v0
	s_delay_alu instid0(VALU_DEP_2) | instskip(NEXT) | instid1(VALU_DEP_1)
	v_cmp_eq_u32_e64 s2, 0, v1
	v_cndmask_b32_e64 v0, v2, v0, s2
	scratch_store_b32 off, v0, s32 offset:368 ; 4-byte Folded Spill
.LBB450_100:                            ;   in Loop: Header=BB450_13 Depth=1
	s_or_b32 exec_lo, exec_lo, s22
	v_mov_b32_e32 v1, 0
	s_mov_b32 s22, exec_lo
	v_cmpx_lt_u64_e64 s[8:9], v[33:34]
	s_cbranch_execz .LBB450_108
; %bb.101:                              ;   in Loop: Header=BB450_13 Depth=1
	v_lshrrev_b32_e32 v0, 24, v34
	v_bfrev_b32_e32 v1, 1
	s_mov_b32 s23, exec_lo
	s_delay_alu instid0(VALU_DEP_2)
	v_cmpx_ne_u32_e32 0x80, v0
	s_cbranch_execz .LBB450_107
; %bb.102:                              ;   in Loop: Header=BB450_13 Depth=1
	v_bfe_u32 v2, v34, 24, 7
	v_mov_b32_e32 v1, 0x7f800001
	s_mov_b32 s24, exec_lo
	s_delay_alu instid0(VALU_DEP_2)
	v_cmpx_ne_u32_e32 0x7f, v2
	s_cbranch_execz .LBB450_106
; %bb.103:                              ;   in Loop: Header=BB450_13 Depth=1
	v_and_b32_e32 v19, 7, v0
	v_lshrrev_b32_e32 v1, 3, v2
	v_mov_b32_e32 v34, v20
	s_mov_b32 s25, exec_lo
	s_delay_alu instid0(VALU_DEP_3)
	v_mov_b32_e32 v33, v19
	v_cmpx_gt_u32_e32 8, v2
; %bb.104:                              ;   in Loop: Header=BB450_13 Depth=1
	v_clz_i32_u32_e32 v1, v19
	s_delay_alu instid0(VALU_DEP_1) | instskip(NEXT) | instid1(VALU_DEP_1)
	v_min_u32_e32 v1, 32, v1
	v_subrev_nc_u32_e32 v2, 28, v1
	v_sub_nc_u32_e32 v1, 29, v1
	s_delay_alu instid0(VALU_DEP_2) | instskip(NEXT) | instid1(VALU_DEP_1)
	v_lshlrev_b64 v[2:3], v2, v[19:20]
	v_and_b32_e32 v33, 7, v2
; %bb.105:                              ;   in Loop: Header=BB450_13 Depth=1
	s_or_b32 exec_lo, exec_lo, s25
	v_lshlrev_b32_e32 v0, 24, v0
	s_delay_alu instid0(VALU_DEP_2) | instskip(SKIP_1) | instid1(VALU_DEP_3)
	v_lshlrev_b32_e32 v2, 20, v33
	v_lshl_add_u32 v1, v1, 23, 0x3c000000
	v_and_b32_e32 v0, 0x80000000, v0
	s_delay_alu instid0(VALU_DEP_1)
	v_or3_b32 v1, v2, v0, v1
.LBB450_106:                            ;   in Loop: Header=BB450_13 Depth=1
	s_or_b32 exec_lo, exec_lo, s24
.LBB450_107:                            ;   in Loop: Header=BB450_13 Depth=1
	s_delay_alu instid0(SALU_CYCLE_1)
	s_or_b32 exec_lo, exec_lo, s23
.LBB450_108:                            ;   in Loop: Header=BB450_13 Depth=1
	s_delay_alu instid0(SALU_CYCLE_1) | instskip(NEXT) | instid1(VALU_DEP_1)
	s_or_b32 exec_lo, exec_lo, s22
	v_mul_f32_e32 v0, v121, v1
	s_delay_alu instid0(VALU_DEP_1) | instskip(NEXT) | instid1(VALU_DEP_1)
	v_and_b32_e32 v1, 0x7f800000, v0
	v_cmp_ne_u32_e64 s2, 0x7f800000, v1
                                        ; implicit-def: $vgpr1
                                        ; kill: killed $vgpr1
	s_delay_alu instid0(VALU_DEP_1) | instskip(NEXT) | instid1(SALU_CYCLE_1)
	s_and_saveexec_b32 s22, s2
	s_xor_b32 s2, exec_lo, s22
	s_cbranch_execz .LBB450_110
; %bb.109:                              ;   in Loop: Header=BB450_13 Depth=1
	v_bfe_u32 v1, v0, 16, 1
	s_delay_alu instid0(VALU_DEP_1)
	v_add3_u32 v0, v0, v1, 0x7fff
	scratch_store_b32 off, v0, s32 offset:372 ; 4-byte Folded Spill
                                        ; implicit-def: $vgpr0
.LBB450_110:                            ;   in Loop: Header=BB450_13 Depth=1
	s_and_not1_saveexec_b32 s22, s2
	s_cbranch_execz .LBB450_112
; %bb.111:                              ;   in Loop: Header=BB450_13 Depth=1
	v_and_b32_e32 v1, 0xffff, v0
	v_or_b32_e32 v2, 0x10000, v0
	s_delay_alu instid0(VALU_DEP_2) | instskip(NEXT) | instid1(VALU_DEP_1)
	v_cmp_eq_u32_e64 s2, 0, v1
	v_cndmask_b32_e64 v0, v2, v0, s2
	scratch_store_b32 off, v0, s32 offset:372 ; 4-byte Folded Spill
.LBB450_112:                            ;   in Loop: Header=BB450_13 Depth=1
	s_or_b32 exec_lo, exec_lo, s22
	flat_load_b64 v[33:34], v[31:32] offset:8
	s_mov_b32 s22, exec_lo
	s_waitcnt vmcnt(0) lgkmcnt(0)
	v_dual_mov_b32 v0, 0 :: v_dual_and_b32 v1, 0xff, v33
	s_delay_alu instid0(VALU_DEP_1)
	v_cmpx_ne_u16_e32 0, v1
	s_cbranch_execz .LBB450_120
; %bb.113:                              ;   in Loop: Header=BB450_13 Depth=1
	v_bfrev_b32_e32 v0, 1
	s_mov_b32 s23, exec_lo
	v_cmpx_ne_u16_e32 0x80, v1
	s_cbranch_execz .LBB450_119
; %bb.114:                              ;   in Loop: Header=BB450_13 Depth=1
	v_and_b32_e32 v1, 0x7f, v33
	v_mov_b32_e32 v0, 0x7f800001
	s_mov_b32 s24, exec_lo
	s_delay_alu instid0(VALU_DEP_2)
	v_cmpx_ne_u32_e32 0x7f, v1
	s_cbranch_execz .LBB450_118
; %bb.115:                              ;   in Loop: Header=BB450_13 Depth=1
	v_lshrrev_b32_e32 v0, 3, v1
	v_dual_mov_b32 v36, v34 :: v_dual_mov_b32 v35, v33
	s_mov_b32 s25, exec_lo
	v_cmpx_gt_u32_e32 8, v1
; %bb.116:                              ;   in Loop: Header=BB450_13 Depth=1
	v_and_b32_e32 v0, 7, v33
	s_delay_alu instid0(VALU_DEP_1) | instskip(NEXT) | instid1(VALU_DEP_1)
	v_clz_i32_u32_e32 v0, v0
	v_min_u32_e32 v0, 32, v0
	s_delay_alu instid0(VALU_DEP_1) | instskip(SKIP_1) | instid1(VALU_DEP_2)
	v_subrev_nc_u32_e32 v1, 28, v0
	v_sub_nc_u32_e32 v0, 29, v0
	v_lshlrev_b64 v[35:36], v1, v[33:34]
; %bb.117:                              ;   in Loop: Header=BB450_13 Depth=1
	s_or_b32 exec_lo, exec_lo, s25
	s_delay_alu instid0(VALU_DEP_1) | instskip(SKIP_2) | instid1(VALU_DEP_3)
	v_lshlrev_b32_e32 v1, 20, v35
	v_lshlrev_b32_e32 v2, 24, v33
	v_lshl_add_u32 v0, v0, 23, 0x3c000000
	v_and_b32_e32 v1, 0x700000, v1
	s_delay_alu instid0(VALU_DEP_3) | instskip(NEXT) | instid1(VALU_DEP_1)
	v_and_b32_e32 v2, 0x80000000, v2
	v_or3_b32 v0, v1, v2, v0
.LBB450_118:                            ;   in Loop: Header=BB450_13 Depth=1
	s_or_b32 exec_lo, exec_lo, s24
.LBB450_119:                            ;   in Loop: Header=BB450_13 Depth=1
	s_delay_alu instid0(SALU_CYCLE_1)
	s_or_b32 exec_lo, exec_lo, s23
.LBB450_120:                            ;   in Loop: Header=BB450_13 Depth=1
	s_delay_alu instid0(SALU_CYCLE_1) | instskip(NEXT) | instid1(VALU_DEP_1)
	s_or_b32 exec_lo, exec_lo, s22
	v_mul_f32_e32 v0, v121, v0
                                        ; implicit-def: $vgpr98
	s_delay_alu instid0(VALU_DEP_1) | instskip(NEXT) | instid1(VALU_DEP_1)
	v_and_b32_e32 v1, 0x7f800000, v0
	v_cmp_ne_u32_e64 s2, 0x7f800000, v1
	s_delay_alu instid0(VALU_DEP_1) | instskip(NEXT) | instid1(SALU_CYCLE_1)
	s_and_saveexec_b32 s22, s2
	s_xor_b32 s2, exec_lo, s22
; %bb.121:                              ;   in Loop: Header=BB450_13 Depth=1
	v_bfe_u32 v1, v0, 16, 1
	s_delay_alu instid0(VALU_DEP_1)
	v_add3_u32 v98, v0, v1, 0x7fff
                                        ; implicit-def: $vgpr0
; %bb.122:                              ;   in Loop: Header=BB450_13 Depth=1
	s_and_not1_saveexec_b32 s22, s2
; %bb.123:                              ;   in Loop: Header=BB450_13 Depth=1
	v_and_b32_e32 v1, 0xffff, v0
	v_or_b32_e32 v2, 0x10000, v0
	s_delay_alu instid0(VALU_DEP_2) | instskip(NEXT) | instid1(VALU_DEP_1)
	v_cmp_eq_u32_e64 s2, 0, v1
	v_cndmask_b32_e64 v98, v2, v0, s2
; %bb.124:                              ;   in Loop: Header=BB450_13 Depth=1
	s_or_b32 exec_lo, exec_lo, s22
	v_lshrrev_b16 v1, 8, v33
	v_mov_b32_e32 v0, 0
	s_mov_b32 s22, exec_lo
	s_delay_alu instid0(VALU_DEP_2)
	v_cmpx_ne_u16_e32 0, v1
	s_cbranch_execz .LBB450_132
; %bb.125:                              ;   in Loop: Header=BB450_13 Depth=1
	v_bfrev_b32_e32 v0, 1
	s_mov_b32 s23, exec_lo
	v_cmpx_ne_u16_e32 0x80, v1
	s_cbranch_execz .LBB450_131
; %bb.126:                              ;   in Loop: Header=BB450_13 Depth=1
	v_and_b32_e32 v2, 0xffff, v1
	v_mov_b32_e32 v0, 0x7f800001
	s_mov_b32 s24, exec_lo
	s_delay_alu instid0(VALU_DEP_2) | instskip(NEXT) | instid1(VALU_DEP_1)
	v_and_b32_e32 v1, 0x7f, v2
	v_cmpx_ne_u32_e32 0x7f, v1
	s_cbranch_execz .LBB450_130
; %bb.127:                              ;   in Loop: Header=BB450_13 Depth=1
	v_and_b32_e32 v19, 7, v2
	v_lshrrev_b32_e32 v0, 3, v1
	v_mov_b32_e32 v36, v20
	s_mov_b32 s25, exec_lo
	s_delay_alu instid0(VALU_DEP_3)
	v_mov_b32_e32 v35, v19
	v_cmpx_gt_u32_e32 8, v1
; %bb.128:                              ;   in Loop: Header=BB450_13 Depth=1
	v_clz_i32_u32_e32 v0, v19
	s_delay_alu instid0(VALU_DEP_1) | instskip(NEXT) | instid1(VALU_DEP_1)
	v_min_u32_e32 v0, 32, v0
	v_subrev_nc_u32_e32 v1, 28, v0
	v_sub_nc_u32_e32 v0, 29, v0
	s_delay_alu instid0(VALU_DEP_2) | instskip(NEXT) | instid1(VALU_DEP_1)
	v_lshlrev_b64 v[1:2], v1, v[19:20]
	v_and_b32_e32 v35, 7, v1
; %bb.129:                              ;   in Loop: Header=BB450_13 Depth=1
	s_or_b32 exec_lo, exec_lo, s25
	v_lshlrev_b32_e32 v1, 16, v33
	s_delay_alu instid0(VALU_DEP_2) | instskip(SKIP_1) | instid1(VALU_DEP_3)
	v_lshlrev_b32_e32 v2, 20, v35
	v_lshl_add_u32 v0, v0, 23, 0x3c000000
	v_and_b32_e32 v1, 0x80000000, v1
	s_delay_alu instid0(VALU_DEP_1)
	v_or3_b32 v0, v2, v1, v0
.LBB450_130:                            ;   in Loop: Header=BB450_13 Depth=1
	s_or_b32 exec_lo, exec_lo, s24
.LBB450_131:                            ;   in Loop: Header=BB450_13 Depth=1
	s_delay_alu instid0(SALU_CYCLE_1)
	s_or_b32 exec_lo, exec_lo, s23
.LBB450_132:                            ;   in Loop: Header=BB450_13 Depth=1
	s_delay_alu instid0(SALU_CYCLE_1) | instskip(NEXT) | instid1(VALU_DEP_1)
	s_or_b32 exec_lo, exec_lo, s22
	v_mul_f32_e32 v0, v121, v0
	s_delay_alu instid0(VALU_DEP_1) | instskip(NEXT) | instid1(VALU_DEP_1)
	v_and_b32_e32 v1, 0x7f800000, v0
	v_cmp_ne_u32_e64 s2, 0x7f800000, v1
                                        ; implicit-def: $vgpr1
                                        ; kill: killed $vgpr1
	s_delay_alu instid0(VALU_DEP_1) | instskip(NEXT) | instid1(SALU_CYCLE_1)
	s_and_saveexec_b32 s22, s2
	s_xor_b32 s2, exec_lo, s22
	s_cbranch_execz .LBB450_134
; %bb.133:                              ;   in Loop: Header=BB450_13 Depth=1
	v_bfe_u32 v1, v0, 16, 1
	s_delay_alu instid0(VALU_DEP_1)
	v_add3_u32 v0, v0, v1, 0x7fff
	scratch_store_b32 off, v0, s32 offset:380 ; 4-byte Folded Spill
                                        ; implicit-def: $vgpr0
.LBB450_134:                            ;   in Loop: Header=BB450_13 Depth=1
	s_and_not1_saveexec_b32 s22, s2
	s_cbranch_execz .LBB450_136
; %bb.135:                              ;   in Loop: Header=BB450_13 Depth=1
	v_and_b32_e32 v1, 0xffff, v0
	v_or_b32_e32 v2, 0x10000, v0
	s_delay_alu instid0(VALU_DEP_2) | instskip(NEXT) | instid1(VALU_DEP_1)
	v_cmp_eq_u32_e64 s2, 0, v1
	v_cndmask_b32_e64 v0, v2, v0, s2
	scratch_store_b32 off, v0, s32 offset:380 ; 4-byte Folded Spill
.LBB450_136:                            ;   in Loop: Header=BB450_13 Depth=1
	s_or_b32 exec_lo, exec_lo, s22
	v_lshrrev_b32_e32 v0, 16, v33
	s_mov_b32 s22, exec_lo
	s_delay_alu instid0(VALU_DEP_1) | instskip(NEXT) | instid1(VALU_DEP_1)
	v_dual_mov_b32 v1, 0 :: v_dual_and_b32 v2, 0xff, v0
	v_cmpx_ne_u16_e32 0, v2
	s_cbranch_execz .LBB450_144
; %bb.137:                              ;   in Loop: Header=BB450_13 Depth=1
	v_bfrev_b32_e32 v1, 1
	s_mov_b32 s23, exec_lo
	v_cmpx_ne_u16_e32 0x80, v2
	s_cbranch_execz .LBB450_143
; %bb.138:                              ;   in Loop: Header=BB450_13 Depth=1
	v_bfe_u32 v2, v33, 16, 7
	v_mov_b32_e32 v1, 0x7f800001
	s_mov_b32 s24, exec_lo
	s_delay_alu instid0(VALU_DEP_2)
	v_cmpx_ne_u32_e32 0x7f, v2
	s_cbranch_execz .LBB450_142
; %bb.139:                              ;   in Loop: Header=BB450_13 Depth=1
	v_and_b32_e32 v19, 7, v0
	v_lshrrev_b32_e32 v1, 3, v2
	v_mov_b32_e32 v36, v20
	s_mov_b32 s25, exec_lo
	s_delay_alu instid0(VALU_DEP_3)
	v_mov_b32_e32 v35, v19
	v_cmpx_gt_u32_e32 8, v2
; %bb.140:                              ;   in Loop: Header=BB450_13 Depth=1
	v_clz_i32_u32_e32 v1, v19
	s_delay_alu instid0(VALU_DEP_1) | instskip(NEXT) | instid1(VALU_DEP_1)
	v_min_u32_e32 v1, 32, v1
	v_subrev_nc_u32_e32 v2, 28, v1
	v_sub_nc_u32_e32 v1, 29, v1
	s_delay_alu instid0(VALU_DEP_2) | instskip(NEXT) | instid1(VALU_DEP_1)
	v_lshlrev_b64 v[2:3], v2, v[19:20]
	v_and_b32_e32 v35, 7, v2
; %bb.141:                              ;   in Loop: Header=BB450_13 Depth=1
	s_or_b32 exec_lo, exec_lo, s25
	v_lshlrev_b32_e32 v0, 24, v0
	s_delay_alu instid0(VALU_DEP_2) | instskip(SKIP_1) | instid1(VALU_DEP_3)
	v_lshlrev_b32_e32 v2, 20, v35
	v_lshl_add_u32 v1, v1, 23, 0x3c000000
	v_and_b32_e32 v0, 0x80000000, v0
	s_delay_alu instid0(VALU_DEP_1)
	v_or3_b32 v1, v2, v0, v1
.LBB450_142:                            ;   in Loop: Header=BB450_13 Depth=1
	s_or_b32 exec_lo, exec_lo, s24
.LBB450_143:                            ;   in Loop: Header=BB450_13 Depth=1
	s_delay_alu instid0(SALU_CYCLE_1)
	s_or_b32 exec_lo, exec_lo, s23
.LBB450_144:                            ;   in Loop: Header=BB450_13 Depth=1
	s_delay_alu instid0(SALU_CYCLE_1) | instskip(NEXT) | instid1(VALU_DEP_1)
	s_or_b32 exec_lo, exec_lo, s22
	v_mul_f32_e32 v0, v121, v1
	s_delay_alu instid0(VALU_DEP_1) | instskip(NEXT) | instid1(VALU_DEP_1)
	v_and_b32_e32 v1, 0x7f800000, v0
	v_cmp_ne_u32_e64 s2, 0x7f800000, v1
                                        ; implicit-def: $vgpr1
                                        ; kill: killed $vgpr1
	s_delay_alu instid0(VALU_DEP_1) | instskip(NEXT) | instid1(SALU_CYCLE_1)
	s_and_saveexec_b32 s22, s2
	s_xor_b32 s2, exec_lo, s22
	s_cbranch_execz .LBB450_146
; %bb.145:                              ;   in Loop: Header=BB450_13 Depth=1
	v_bfe_u32 v1, v0, 16, 1
	s_delay_alu instid0(VALU_DEP_1)
	v_add3_u32 v0, v0, v1, 0x7fff
	scratch_store_b32 off, v0, s32 offset:384 ; 4-byte Folded Spill
                                        ; implicit-def: $vgpr0
.LBB450_146:                            ;   in Loop: Header=BB450_13 Depth=1
	s_and_not1_saveexec_b32 s22, s2
	s_cbranch_execz .LBB450_148
; %bb.147:                              ;   in Loop: Header=BB450_13 Depth=1
	v_and_b32_e32 v1, 0xffff, v0
	v_or_b32_e32 v2, 0x10000, v0
	s_delay_alu instid0(VALU_DEP_2) | instskip(NEXT) | instid1(VALU_DEP_1)
	v_cmp_eq_u32_e64 s2, 0, v1
	v_cndmask_b32_e64 v0, v2, v0, s2
	scratch_store_b32 off, v0, s32 offset:384 ; 4-byte Folded Spill
.LBB450_148:                            ;   in Loop: Header=BB450_13 Depth=1
	s_or_b32 exec_lo, exec_lo, s22
	v_mov_b32_e32 v1, 0
	s_mov_b32 s22, exec_lo
	v_cmpx_lt_u32_e32 0xffffff, v33
	s_cbranch_execz .LBB450_156
; %bb.149:                              ;   in Loop: Header=BB450_13 Depth=1
	v_lshrrev_b32_e32 v0, 24, v33
	v_bfrev_b32_e32 v1, 1
	s_mov_b32 s23, exec_lo
	s_delay_alu instid0(VALU_DEP_2)
	v_cmpx_ne_u32_e32 0x80, v0
	s_cbranch_execz .LBB450_155
; %bb.150:                              ;   in Loop: Header=BB450_13 Depth=1
	v_bfe_u32 v2, v33, 24, 7
	v_mov_b32_e32 v1, 0x7f800001
	s_mov_b32 s24, exec_lo
	s_delay_alu instid0(VALU_DEP_2)
	v_cmpx_ne_u32_e32 0x7f, v2
	s_cbranch_execz .LBB450_154
; %bb.151:                              ;   in Loop: Header=BB450_13 Depth=1
	v_and_b32_e32 v19, 7, v0
	v_lshrrev_b32_e32 v1, 3, v2
	v_mov_b32_e32 v36, v20
	s_mov_b32 s25, exec_lo
	s_delay_alu instid0(VALU_DEP_3)
	v_mov_b32_e32 v35, v19
	v_cmpx_gt_u32_e32 8, v2
; %bb.152:                              ;   in Loop: Header=BB450_13 Depth=1
	v_clz_i32_u32_e32 v1, v19
	s_delay_alu instid0(VALU_DEP_1) | instskip(NEXT) | instid1(VALU_DEP_1)
	v_min_u32_e32 v1, 32, v1
	v_subrev_nc_u32_e32 v2, 28, v1
	v_sub_nc_u32_e32 v1, 29, v1
	s_delay_alu instid0(VALU_DEP_2) | instskip(NEXT) | instid1(VALU_DEP_1)
	v_lshlrev_b64 v[2:3], v2, v[19:20]
	v_and_b32_e32 v35, 7, v2
; %bb.153:                              ;   in Loop: Header=BB450_13 Depth=1
	s_or_b32 exec_lo, exec_lo, s25
	v_lshlrev_b32_e32 v0, 24, v0
	s_delay_alu instid0(VALU_DEP_2) | instskip(SKIP_1) | instid1(VALU_DEP_3)
	v_lshlrev_b32_e32 v2, 20, v35
	v_lshl_add_u32 v1, v1, 23, 0x3c000000
	v_and_b32_e32 v0, 0x80000000, v0
	s_delay_alu instid0(VALU_DEP_1)
	v_or3_b32 v1, v2, v0, v1
.LBB450_154:                            ;   in Loop: Header=BB450_13 Depth=1
	s_or_b32 exec_lo, exec_lo, s24
.LBB450_155:                            ;   in Loop: Header=BB450_13 Depth=1
	s_delay_alu instid0(SALU_CYCLE_1)
	s_or_b32 exec_lo, exec_lo, s23
.LBB450_156:                            ;   in Loop: Header=BB450_13 Depth=1
	s_delay_alu instid0(SALU_CYCLE_1) | instskip(NEXT) | instid1(VALU_DEP_1)
	s_or_b32 exec_lo, exec_lo, s22
	v_mul_f32_e32 v0, v121, v1
	s_delay_alu instid0(VALU_DEP_1) | instskip(NEXT) | instid1(VALU_DEP_1)
	v_and_b32_e32 v1, 0x7f800000, v0
	v_cmp_ne_u32_e64 s2, 0x7f800000, v1
                                        ; implicit-def: $vgpr1
                                        ; kill: killed $vgpr1
	s_delay_alu instid0(VALU_DEP_1) | instskip(NEXT) | instid1(SALU_CYCLE_1)
	s_and_saveexec_b32 s22, s2
	s_xor_b32 s2, exec_lo, s22
	s_cbranch_execz .LBB450_158
; %bb.157:                              ;   in Loop: Header=BB450_13 Depth=1
	v_bfe_u32 v1, v0, 16, 1
	s_delay_alu instid0(VALU_DEP_1)
	v_add3_u32 v0, v0, v1, 0x7fff
	scratch_store_b32 off, v0, s32 offset:388 ; 4-byte Folded Spill
                                        ; implicit-def: $vgpr0
.LBB450_158:                            ;   in Loop: Header=BB450_13 Depth=1
	s_and_not1_saveexec_b32 s22, s2
	s_cbranch_execz .LBB450_160
; %bb.159:                              ;   in Loop: Header=BB450_13 Depth=1
	v_and_b32_e32 v1, 0xffff, v0
	v_or_b32_e32 v2, 0x10000, v0
	s_delay_alu instid0(VALU_DEP_2) | instskip(NEXT) | instid1(VALU_DEP_1)
	v_cmp_eq_u32_e64 s2, 0, v1
	v_cndmask_b32_e64 v0, v2, v0, s2
	scratch_store_b32 off, v0, s32 offset:388 ; 4-byte Folded Spill
.LBB450_160:                            ;   in Loop: Header=BB450_13 Depth=1
	s_or_b32 exec_lo, exec_lo, s22
	v_dual_mov_b32 v0, 0 :: v_dual_and_b32 v1, 0xff, v34
	v_mov_b32_e32 v19, v34
	s_mov_b32 s22, exec_lo
	s_delay_alu instid0(VALU_DEP_2)
	v_cmpx_ne_u16_e32 0, v1
	s_cbranch_execz .LBB450_168
; %bb.161:                              ;   in Loop: Header=BB450_13 Depth=1
	v_bfrev_b32_e32 v0, 1
	s_mov_b32 s23, exec_lo
	v_cmpx_ne_u16_e32 0x80, v1
	s_cbranch_execz .LBB450_167
; %bb.162:                              ;   in Loop: Header=BB450_13 Depth=1
	v_and_b32_e32 v1, 0x7f, v34
	v_mov_b32_e32 v0, 0x7f800001
	s_mov_b32 s24, exec_lo
	s_delay_alu instid0(VALU_DEP_2)
	v_cmpx_ne_u32_e32 0x7f, v1
	s_cbranch_execz .LBB450_166
; %bb.163:                              ;   in Loop: Header=BB450_13 Depth=1
	v_lshrrev_b32_e32 v0, 3, v1
	v_dual_mov_b32 v36, v20 :: v_dual_mov_b32 v35, v19
	s_mov_b32 s25, exec_lo
	v_cmpx_gt_u32_e32 8, v1
; %bb.164:                              ;   in Loop: Header=BB450_13 Depth=1
	v_and_b32_e32 v0, 7, v34
	s_delay_alu instid0(VALU_DEP_1) | instskip(NEXT) | instid1(VALU_DEP_1)
	v_clz_i32_u32_e32 v0, v0
	v_min_u32_e32 v0, 32, v0
	s_delay_alu instid0(VALU_DEP_1) | instskip(SKIP_1) | instid1(VALU_DEP_2)
	v_subrev_nc_u32_e32 v1, 28, v0
	v_sub_nc_u32_e32 v0, 29, v0
	v_lshlrev_b64 v[35:36], v1, v[19:20]
; %bb.165:                              ;   in Loop: Header=BB450_13 Depth=1
	s_or_b32 exec_lo, exec_lo, s25
	s_delay_alu instid0(VALU_DEP_1) | instskip(SKIP_2) | instid1(VALU_DEP_3)
	v_lshlrev_b32_e32 v1, 20, v35
	v_lshlrev_b32_e32 v2, 24, v19
	v_lshl_add_u32 v0, v0, 23, 0x3c000000
	v_and_b32_e32 v1, 0x700000, v1
	s_delay_alu instid0(VALU_DEP_3) | instskip(NEXT) | instid1(VALU_DEP_1)
	v_and_b32_e32 v2, 0x80000000, v2
	v_or3_b32 v0, v1, v2, v0
.LBB450_166:                            ;   in Loop: Header=BB450_13 Depth=1
	s_or_b32 exec_lo, exec_lo, s24
.LBB450_167:                            ;   in Loop: Header=BB450_13 Depth=1
	s_delay_alu instid0(SALU_CYCLE_1)
	s_or_b32 exec_lo, exec_lo, s23
.LBB450_168:                            ;   in Loop: Header=BB450_13 Depth=1
	s_delay_alu instid0(SALU_CYCLE_1) | instskip(NEXT) | instid1(VALU_DEP_1)
	s_or_b32 exec_lo, exec_lo, s22
	v_mul_f32_e32 v0, v121, v0
	s_delay_alu instid0(VALU_DEP_1) | instskip(NEXT) | instid1(VALU_DEP_1)
	v_and_b32_e32 v1, 0x7f800000, v0
	v_cmp_ne_u32_e64 s2, 0x7f800000, v1
                                        ; implicit-def: $vgpr1
                                        ; kill: killed $vgpr1
	s_delay_alu instid0(VALU_DEP_1) | instskip(NEXT) | instid1(SALU_CYCLE_1)
	s_and_saveexec_b32 s22, s2
	s_xor_b32 s2, exec_lo, s22
	s_cbranch_execz .LBB450_170
; %bb.169:                              ;   in Loop: Header=BB450_13 Depth=1
	v_bfe_u32 v1, v0, 16, 1
	s_delay_alu instid0(VALU_DEP_1)
	v_add3_u32 v0, v0, v1, 0x7fff
	scratch_store_b32 off, v0, s32 offset:392 ; 4-byte Folded Spill
                                        ; implicit-def: $vgpr0
.LBB450_170:                            ;   in Loop: Header=BB450_13 Depth=1
	s_and_not1_saveexec_b32 s22, s2
	s_cbranch_execz .LBB450_172
; %bb.171:                              ;   in Loop: Header=BB450_13 Depth=1
	v_and_b32_e32 v1, 0xffff, v0
	v_or_b32_e32 v2, 0x10000, v0
	s_delay_alu instid0(VALU_DEP_2) | instskip(NEXT) | instid1(VALU_DEP_1)
	v_cmp_eq_u32_e64 s2, 0, v1
	v_cndmask_b32_e64 v0, v2, v0, s2
	scratch_store_b32 off, v0, s32 offset:392 ; 4-byte Folded Spill
.LBB450_172:                            ;   in Loop: Header=BB450_13 Depth=1
	s_or_b32 exec_lo, exec_lo, s22
	v_lshrrev_b16 v1, 8, v19
	v_mov_b32_e32 v0, 0
	s_mov_b32 s22, exec_lo
	s_delay_alu instid0(VALU_DEP_2)
	v_cmpx_ne_u16_e32 0, v1
	s_cbranch_execz .LBB450_180
; %bb.173:                              ;   in Loop: Header=BB450_13 Depth=1
	v_bfrev_b32_e32 v0, 1
	s_mov_b32 s23, exec_lo
	v_cmpx_ne_u16_e32 0x80, v1
	s_cbranch_execz .LBB450_179
; %bb.174:                              ;   in Loop: Header=BB450_13 Depth=1
	v_and_b32_e32 v2, 0xffff, v1
	v_mov_b32_e32 v0, 0x7f800001
	s_mov_b32 s24, exec_lo
	s_delay_alu instid0(VALU_DEP_2) | instskip(NEXT) | instid1(VALU_DEP_1)
	v_and_b32_e32 v1, 0x7f, v2
	v_cmpx_ne_u32_e32 0x7f, v1
	s_cbranch_execz .LBB450_178
; %bb.175:                              ;   in Loop: Header=BB450_13 Depth=1
	v_dual_mov_b32 v36, v20 :: v_dual_and_b32 v35, 7, v2
	v_lshrrev_b32_e32 v0, 3, v1
	s_mov_b32 s25, exec_lo
	v_cmpx_gt_u32_e32 8, v1
; %bb.176:                              ;   in Loop: Header=BB450_13 Depth=1
	s_delay_alu instid0(VALU_DEP_3) | instskip(NEXT) | instid1(VALU_DEP_1)
	v_clz_i32_u32_e32 v0, v35
	v_min_u32_e32 v0, 32, v0
	s_delay_alu instid0(VALU_DEP_1) | instskip(SKIP_1) | instid1(VALU_DEP_2)
	v_subrev_nc_u32_e32 v1, 28, v0
	v_sub_nc_u32_e32 v0, 29, v0
	v_lshlrev_b64 v[1:2], v1, v[35:36]
	s_delay_alu instid0(VALU_DEP_1)
	v_and_b32_e32 v35, 7, v1
; %bb.177:                              ;   in Loop: Header=BB450_13 Depth=1
	s_or_b32 exec_lo, exec_lo, s25
	v_lshlrev_b32_e32 v1, 16, v19
	s_delay_alu instid0(VALU_DEP_2) | instskip(SKIP_1) | instid1(VALU_DEP_3)
	v_lshlrev_b32_e32 v2, 20, v35
	v_lshl_add_u32 v0, v0, 23, 0x3c000000
	v_and_b32_e32 v1, 0x80000000, v1
	s_delay_alu instid0(VALU_DEP_1)
	v_or3_b32 v0, v2, v1, v0
.LBB450_178:                            ;   in Loop: Header=BB450_13 Depth=1
	s_or_b32 exec_lo, exec_lo, s24
.LBB450_179:                            ;   in Loop: Header=BB450_13 Depth=1
	s_delay_alu instid0(SALU_CYCLE_1)
	s_or_b32 exec_lo, exec_lo, s23
.LBB450_180:                            ;   in Loop: Header=BB450_13 Depth=1
	s_delay_alu instid0(SALU_CYCLE_1) | instskip(NEXT) | instid1(VALU_DEP_1)
	s_or_b32 exec_lo, exec_lo, s22
	v_mul_f32_e32 v0, v121, v0
	s_delay_alu instid0(VALU_DEP_1) | instskip(NEXT) | instid1(VALU_DEP_1)
	v_and_b32_e32 v1, 0x7f800000, v0
	v_cmp_ne_u32_e64 s2, 0x7f800000, v1
                                        ; implicit-def: $vgpr1
                                        ; kill: killed $vgpr1
	s_delay_alu instid0(VALU_DEP_1) | instskip(NEXT) | instid1(SALU_CYCLE_1)
	s_and_saveexec_b32 s22, s2
	s_xor_b32 s2, exec_lo, s22
	s_cbranch_execz .LBB450_182
; %bb.181:                              ;   in Loop: Header=BB450_13 Depth=1
	v_bfe_u32 v1, v0, 16, 1
	s_delay_alu instid0(VALU_DEP_1)
	v_add3_u32 v0, v0, v1, 0x7fff
	scratch_store_b32 off, v0, s32 offset:396 ; 4-byte Folded Spill
                                        ; implicit-def: $vgpr0
.LBB450_182:                            ;   in Loop: Header=BB450_13 Depth=1
	s_and_not1_saveexec_b32 s22, s2
	s_cbranch_execz .LBB450_184
; %bb.183:                              ;   in Loop: Header=BB450_13 Depth=1
	v_and_b32_e32 v1, 0xffff, v0
	v_or_b32_e32 v2, 0x10000, v0
	s_delay_alu instid0(VALU_DEP_2) | instskip(NEXT) | instid1(VALU_DEP_1)
	v_cmp_eq_u32_e64 s2, 0, v1
	v_cndmask_b32_e64 v0, v2, v0, s2
	scratch_store_b32 off, v0, s32 offset:396 ; 4-byte Folded Spill
.LBB450_184:                            ;   in Loop: Header=BB450_13 Depth=1
	s_or_b32 exec_lo, exec_lo, s22
	v_lshrrev_b32_e32 v0, 16, v34
	s_mov_b32 s22, exec_lo
	s_delay_alu instid0(VALU_DEP_1) | instskip(NEXT) | instid1(VALU_DEP_1)
	v_dual_mov_b32 v1, 0 :: v_dual_and_b32 v2, 0xff, v0
	v_cmpx_ne_u16_e32 0, v2
	s_cbranch_execz .LBB450_192
; %bb.185:                              ;   in Loop: Header=BB450_13 Depth=1
	v_bfrev_b32_e32 v1, 1
	s_mov_b32 s23, exec_lo
	v_cmpx_ne_u16_e32 0x80, v2
	s_cbranch_execz .LBB450_191
; %bb.186:                              ;   in Loop: Header=BB450_13 Depth=1
	v_bfe_u32 v2, v34, 16, 7
	v_mov_b32_e32 v1, 0x7f800001
	s_mov_b32 s24, exec_lo
	s_delay_alu instid0(VALU_DEP_2)
	v_cmpx_ne_u32_e32 0x7f, v2
	s_cbranch_execz .LBB450_190
; %bb.187:                              ;   in Loop: Header=BB450_13 Depth=1
	v_and_b32_e32 v19, 7, v0
	v_lshrrev_b32_e32 v1, 3, v2
	v_mov_b32_e32 v36, v20
	s_mov_b32 s25, exec_lo
	s_delay_alu instid0(VALU_DEP_3)
	v_mov_b32_e32 v35, v19
	v_cmpx_gt_u32_e32 8, v2
; %bb.188:                              ;   in Loop: Header=BB450_13 Depth=1
	v_clz_i32_u32_e32 v1, v19
	s_delay_alu instid0(VALU_DEP_1) | instskip(NEXT) | instid1(VALU_DEP_1)
	v_min_u32_e32 v1, 32, v1
	v_subrev_nc_u32_e32 v2, 28, v1
	v_sub_nc_u32_e32 v1, 29, v1
	s_delay_alu instid0(VALU_DEP_2) | instskip(NEXT) | instid1(VALU_DEP_1)
	v_lshlrev_b64 v[2:3], v2, v[19:20]
	v_and_b32_e32 v35, 7, v2
; %bb.189:                              ;   in Loop: Header=BB450_13 Depth=1
	s_or_b32 exec_lo, exec_lo, s25
	v_lshlrev_b32_e32 v0, 24, v0
	s_delay_alu instid0(VALU_DEP_2) | instskip(SKIP_1) | instid1(VALU_DEP_3)
	v_lshlrev_b32_e32 v2, 20, v35
	v_lshl_add_u32 v1, v1, 23, 0x3c000000
	v_and_b32_e32 v0, 0x80000000, v0
	s_delay_alu instid0(VALU_DEP_1)
	v_or3_b32 v1, v2, v0, v1
.LBB450_190:                            ;   in Loop: Header=BB450_13 Depth=1
	s_or_b32 exec_lo, exec_lo, s24
.LBB450_191:                            ;   in Loop: Header=BB450_13 Depth=1
	s_delay_alu instid0(SALU_CYCLE_1)
	s_or_b32 exec_lo, exec_lo, s23
.LBB450_192:                            ;   in Loop: Header=BB450_13 Depth=1
	s_delay_alu instid0(SALU_CYCLE_1) | instskip(NEXT) | instid1(VALU_DEP_1)
	s_or_b32 exec_lo, exec_lo, s22
	v_mul_f32_e32 v0, v121, v1
	s_delay_alu instid0(VALU_DEP_1) | instskip(NEXT) | instid1(VALU_DEP_1)
	v_and_b32_e32 v1, 0x7f800000, v0
	v_cmp_ne_u32_e64 s2, 0x7f800000, v1
                                        ; implicit-def: $vgpr1
                                        ; kill: killed $vgpr1
	s_delay_alu instid0(VALU_DEP_1) | instskip(NEXT) | instid1(SALU_CYCLE_1)
	s_and_saveexec_b32 s22, s2
	s_xor_b32 s2, exec_lo, s22
	s_cbranch_execz .LBB450_194
; %bb.193:                              ;   in Loop: Header=BB450_13 Depth=1
	v_bfe_u32 v1, v0, 16, 1
	s_delay_alu instid0(VALU_DEP_1)
	v_add3_u32 v0, v0, v1, 0x7fff
	scratch_store_b32 off, v0, s32 offset:400 ; 4-byte Folded Spill
                                        ; implicit-def: $vgpr0
.LBB450_194:                            ;   in Loop: Header=BB450_13 Depth=1
	s_and_not1_saveexec_b32 s22, s2
	s_cbranch_execz .LBB450_196
; %bb.195:                              ;   in Loop: Header=BB450_13 Depth=1
	v_and_b32_e32 v1, 0xffff, v0
	v_or_b32_e32 v2, 0x10000, v0
	s_delay_alu instid0(VALU_DEP_2) | instskip(NEXT) | instid1(VALU_DEP_1)
	v_cmp_eq_u32_e64 s2, 0, v1
	v_cndmask_b32_e64 v0, v2, v0, s2
	scratch_store_b32 off, v0, s32 offset:400 ; 4-byte Folded Spill
.LBB450_196:                            ;   in Loop: Header=BB450_13 Depth=1
	s_or_b32 exec_lo, exec_lo, s22
	v_mov_b32_e32 v1, 0
	s_mov_b32 s22, exec_lo
	v_cmpx_lt_u64_e64 s[8:9], v[33:34]
	s_cbranch_execz .LBB450_204
; %bb.197:                              ;   in Loop: Header=BB450_13 Depth=1
	v_lshrrev_b32_e32 v0, 24, v34
	v_bfrev_b32_e32 v1, 1
	s_mov_b32 s23, exec_lo
	s_delay_alu instid0(VALU_DEP_2)
	v_cmpx_ne_u32_e32 0x80, v0
	s_cbranch_execz .LBB450_203
; %bb.198:                              ;   in Loop: Header=BB450_13 Depth=1
	v_bfe_u32 v2, v34, 24, 7
	v_mov_b32_e32 v1, 0x7f800001
	s_mov_b32 s24, exec_lo
	s_delay_alu instid0(VALU_DEP_2)
	v_cmpx_ne_u32_e32 0x7f, v2
	s_cbranch_execz .LBB450_202
; %bb.199:                              ;   in Loop: Header=BB450_13 Depth=1
	v_and_b32_e32 v19, 7, v0
	v_lshrrev_b32_e32 v1, 3, v2
	v_mov_b32_e32 v34, v20
	s_mov_b32 s25, exec_lo
	s_delay_alu instid0(VALU_DEP_3)
	v_mov_b32_e32 v33, v19
	v_cmpx_gt_u32_e32 8, v2
; %bb.200:                              ;   in Loop: Header=BB450_13 Depth=1
	v_clz_i32_u32_e32 v1, v19
	s_delay_alu instid0(VALU_DEP_1) | instskip(NEXT) | instid1(VALU_DEP_1)
	v_min_u32_e32 v1, 32, v1
	v_subrev_nc_u32_e32 v2, 28, v1
	v_sub_nc_u32_e32 v1, 29, v1
	s_delay_alu instid0(VALU_DEP_2) | instskip(NEXT) | instid1(VALU_DEP_1)
	v_lshlrev_b64 v[2:3], v2, v[19:20]
	v_and_b32_e32 v33, 7, v2
; %bb.201:                              ;   in Loop: Header=BB450_13 Depth=1
	s_or_b32 exec_lo, exec_lo, s25
	v_lshlrev_b32_e32 v0, 24, v0
	s_delay_alu instid0(VALU_DEP_2) | instskip(SKIP_1) | instid1(VALU_DEP_3)
	v_lshlrev_b32_e32 v2, 20, v33
	v_lshl_add_u32 v1, v1, 23, 0x3c000000
	v_and_b32_e32 v0, 0x80000000, v0
	s_delay_alu instid0(VALU_DEP_1)
	v_or3_b32 v1, v2, v0, v1
.LBB450_202:                            ;   in Loop: Header=BB450_13 Depth=1
	s_or_b32 exec_lo, exec_lo, s24
.LBB450_203:                            ;   in Loop: Header=BB450_13 Depth=1
	s_delay_alu instid0(SALU_CYCLE_1)
	s_or_b32 exec_lo, exec_lo, s23
.LBB450_204:                            ;   in Loop: Header=BB450_13 Depth=1
	s_delay_alu instid0(SALU_CYCLE_1) | instskip(NEXT) | instid1(VALU_DEP_1)
	s_or_b32 exec_lo, exec_lo, s22
	v_mul_f32_e32 v0, v121, v1
	s_delay_alu instid0(VALU_DEP_1) | instskip(NEXT) | instid1(VALU_DEP_1)
	v_and_b32_e32 v1, 0x7f800000, v0
	v_cmp_ne_u32_e64 s2, 0x7f800000, v1
                                        ; implicit-def: $vgpr1
                                        ; kill: killed $vgpr1
	s_delay_alu instid0(VALU_DEP_1) | instskip(NEXT) | instid1(SALU_CYCLE_1)
	s_and_saveexec_b32 s22, s2
	s_xor_b32 s2, exec_lo, s22
	s_cbranch_execz .LBB450_206
; %bb.205:                              ;   in Loop: Header=BB450_13 Depth=1
	v_bfe_u32 v1, v0, 16, 1
	s_delay_alu instid0(VALU_DEP_1)
	v_add3_u32 v0, v0, v1, 0x7fff
	scratch_store_b32 off, v0, s32 offset:404 ; 4-byte Folded Spill
                                        ; implicit-def: $vgpr0
.LBB450_206:                            ;   in Loop: Header=BB450_13 Depth=1
	s_and_not1_saveexec_b32 s22, s2
	s_cbranch_execz .LBB450_208
; %bb.207:                              ;   in Loop: Header=BB450_13 Depth=1
	v_and_b32_e32 v1, 0xffff, v0
	v_or_b32_e32 v2, 0x10000, v0
	s_delay_alu instid0(VALU_DEP_2) | instskip(NEXT) | instid1(VALU_DEP_1)
	v_cmp_eq_u32_e64 s2, 0, v1
	v_cndmask_b32_e64 v0, v2, v0, s2
	scratch_store_b32 off, v0, s32 offset:404 ; 4-byte Folded Spill
.LBB450_208:                            ;   in Loop: Header=BB450_13 Depth=1
	s_or_b32 exec_lo, exec_lo, s22
	flat_load_b64 v[33:34], v[31:32] offset:512
	s_mov_b32 s22, exec_lo
	s_waitcnt vmcnt(0) lgkmcnt(0)
	v_dual_mov_b32 v0, 0 :: v_dual_and_b32 v1, 0xff, v33
	s_delay_alu instid0(VALU_DEP_1)
	v_cmpx_ne_u16_e32 0, v1
	s_cbranch_execz .LBB450_216
; %bb.209:                              ;   in Loop: Header=BB450_13 Depth=1
	v_bfrev_b32_e32 v0, 1
	s_mov_b32 s23, exec_lo
	v_cmpx_ne_u16_e32 0x80, v1
	s_cbranch_execz .LBB450_215
; %bb.210:                              ;   in Loop: Header=BB450_13 Depth=1
	v_and_b32_e32 v1, 0x7f, v33
	v_mov_b32_e32 v0, 0x7f800001
	s_mov_b32 s24, exec_lo
	s_delay_alu instid0(VALU_DEP_2)
	v_cmpx_ne_u32_e32 0x7f, v1
	s_cbranch_execz .LBB450_214
; %bb.211:                              ;   in Loop: Header=BB450_13 Depth=1
	v_lshrrev_b32_e32 v0, 3, v1
	v_dual_mov_b32 v36, v34 :: v_dual_mov_b32 v35, v33
	s_mov_b32 s25, exec_lo
	v_cmpx_gt_u32_e32 8, v1
; %bb.212:                              ;   in Loop: Header=BB450_13 Depth=1
	v_and_b32_e32 v0, 7, v33
	s_delay_alu instid0(VALU_DEP_1) | instskip(NEXT) | instid1(VALU_DEP_1)
	v_clz_i32_u32_e32 v0, v0
	v_min_u32_e32 v0, 32, v0
	s_delay_alu instid0(VALU_DEP_1) | instskip(SKIP_1) | instid1(VALU_DEP_2)
	v_subrev_nc_u32_e32 v1, 28, v0
	v_sub_nc_u32_e32 v0, 29, v0
	v_lshlrev_b64 v[35:36], v1, v[33:34]
; %bb.213:                              ;   in Loop: Header=BB450_13 Depth=1
	s_or_b32 exec_lo, exec_lo, s25
	s_delay_alu instid0(VALU_DEP_1) | instskip(SKIP_2) | instid1(VALU_DEP_3)
	v_lshlrev_b32_e32 v1, 20, v35
	v_lshlrev_b32_e32 v2, 24, v33
	v_lshl_add_u32 v0, v0, 23, 0x3c000000
	v_and_b32_e32 v1, 0x700000, v1
	s_delay_alu instid0(VALU_DEP_3) | instskip(NEXT) | instid1(VALU_DEP_1)
	v_and_b32_e32 v2, 0x80000000, v2
	v_or3_b32 v0, v1, v2, v0
.LBB450_214:                            ;   in Loop: Header=BB450_13 Depth=1
	s_or_b32 exec_lo, exec_lo, s24
.LBB450_215:                            ;   in Loop: Header=BB450_13 Depth=1
	s_delay_alu instid0(SALU_CYCLE_1)
	s_or_b32 exec_lo, exec_lo, s23
.LBB450_216:                            ;   in Loop: Header=BB450_13 Depth=1
	s_delay_alu instid0(SALU_CYCLE_1) | instskip(NEXT) | instid1(VALU_DEP_1)
	s_or_b32 exec_lo, exec_lo, s22
	v_mul_f32_e32 v0, v121, v0
	s_delay_alu instid0(VALU_DEP_1) | instskip(NEXT) | instid1(VALU_DEP_1)
	v_and_b32_e32 v1, 0x7f800000, v0
	v_cmp_ne_u32_e64 s2, 0x7f800000, v1
                                        ; implicit-def: $vgpr1
                                        ; kill: killed $vgpr1
	s_delay_alu instid0(VALU_DEP_1) | instskip(NEXT) | instid1(SALU_CYCLE_1)
	s_and_saveexec_b32 s22, s2
	s_xor_b32 s2, exec_lo, s22
	s_cbranch_execz .LBB450_218
; %bb.217:                              ;   in Loop: Header=BB450_13 Depth=1
	v_bfe_u32 v1, v0, 16, 1
	s_delay_alu instid0(VALU_DEP_1)
	v_add3_u32 v0, v0, v1, 0x7fff
	scratch_store_b32 off, v0, s32 offset:408 ; 4-byte Folded Spill
                                        ; implicit-def: $vgpr0
.LBB450_218:                            ;   in Loop: Header=BB450_13 Depth=1
	s_and_not1_saveexec_b32 s22, s2
	s_cbranch_execz .LBB450_220
; %bb.219:                              ;   in Loop: Header=BB450_13 Depth=1
	v_and_b32_e32 v1, 0xffff, v0
	v_or_b32_e32 v2, 0x10000, v0
	s_delay_alu instid0(VALU_DEP_2) | instskip(NEXT) | instid1(VALU_DEP_1)
	v_cmp_eq_u32_e64 s2, 0, v1
	v_cndmask_b32_e64 v0, v2, v0, s2
	scratch_store_b32 off, v0, s32 offset:408 ; 4-byte Folded Spill
.LBB450_220:                            ;   in Loop: Header=BB450_13 Depth=1
	s_or_b32 exec_lo, exec_lo, s22
	v_lshrrev_b16 v1, 8, v33
	v_mov_b32_e32 v0, 0
	s_mov_b32 s22, exec_lo
	s_delay_alu instid0(VALU_DEP_2)
	v_cmpx_ne_u16_e32 0, v1
	s_cbranch_execz .LBB450_228
; %bb.221:                              ;   in Loop: Header=BB450_13 Depth=1
	v_bfrev_b32_e32 v0, 1
	s_mov_b32 s23, exec_lo
	v_cmpx_ne_u16_e32 0x80, v1
	s_cbranch_execz .LBB450_227
; %bb.222:                              ;   in Loop: Header=BB450_13 Depth=1
	v_and_b32_e32 v2, 0xffff, v1
	v_mov_b32_e32 v0, 0x7f800001
	s_mov_b32 s24, exec_lo
	s_delay_alu instid0(VALU_DEP_2) | instskip(NEXT) | instid1(VALU_DEP_1)
	v_and_b32_e32 v1, 0x7f, v2
	v_cmpx_ne_u32_e32 0x7f, v1
	s_cbranch_execz .LBB450_226
; %bb.223:                              ;   in Loop: Header=BB450_13 Depth=1
	v_and_b32_e32 v19, 7, v2
	v_lshrrev_b32_e32 v0, 3, v1
	v_mov_b32_e32 v36, v20
	s_mov_b32 s25, exec_lo
	s_delay_alu instid0(VALU_DEP_3)
	v_mov_b32_e32 v35, v19
	v_cmpx_gt_u32_e32 8, v1
; %bb.224:                              ;   in Loop: Header=BB450_13 Depth=1
	v_clz_i32_u32_e32 v0, v19
	s_delay_alu instid0(VALU_DEP_1) | instskip(NEXT) | instid1(VALU_DEP_1)
	v_min_u32_e32 v0, 32, v0
	v_subrev_nc_u32_e32 v1, 28, v0
	v_sub_nc_u32_e32 v0, 29, v0
	s_delay_alu instid0(VALU_DEP_2) | instskip(NEXT) | instid1(VALU_DEP_1)
	v_lshlrev_b64 v[1:2], v1, v[19:20]
	v_and_b32_e32 v35, 7, v1
; %bb.225:                              ;   in Loop: Header=BB450_13 Depth=1
	s_or_b32 exec_lo, exec_lo, s25
	v_lshlrev_b32_e32 v1, 16, v33
	s_delay_alu instid0(VALU_DEP_2) | instskip(SKIP_1) | instid1(VALU_DEP_3)
	v_lshlrev_b32_e32 v2, 20, v35
	v_lshl_add_u32 v0, v0, 23, 0x3c000000
	v_and_b32_e32 v1, 0x80000000, v1
	s_delay_alu instid0(VALU_DEP_1)
	v_or3_b32 v0, v2, v1, v0
.LBB450_226:                            ;   in Loop: Header=BB450_13 Depth=1
	s_or_b32 exec_lo, exec_lo, s24
.LBB450_227:                            ;   in Loop: Header=BB450_13 Depth=1
	s_delay_alu instid0(SALU_CYCLE_1)
	s_or_b32 exec_lo, exec_lo, s23
.LBB450_228:                            ;   in Loop: Header=BB450_13 Depth=1
	s_delay_alu instid0(SALU_CYCLE_1) | instskip(NEXT) | instid1(VALU_DEP_1)
	s_or_b32 exec_lo, exec_lo, s22
	v_mul_f32_e32 v0, v121, v0
	s_delay_alu instid0(VALU_DEP_1) | instskip(NEXT) | instid1(VALU_DEP_1)
	v_and_b32_e32 v1, 0x7f800000, v0
	v_cmp_ne_u32_e64 s2, 0x7f800000, v1
                                        ; implicit-def: $vgpr1
                                        ; kill: killed $vgpr1
	s_delay_alu instid0(VALU_DEP_1) | instskip(NEXT) | instid1(SALU_CYCLE_1)
	s_and_saveexec_b32 s22, s2
	s_xor_b32 s2, exec_lo, s22
	s_cbranch_execz .LBB450_230
; %bb.229:                              ;   in Loop: Header=BB450_13 Depth=1
	v_bfe_u32 v1, v0, 16, 1
	s_delay_alu instid0(VALU_DEP_1)
	v_add3_u32 v0, v0, v1, 0x7fff
	scratch_store_b32 off, v0, s32 offset:412 ; 4-byte Folded Spill
                                        ; implicit-def: $vgpr0
.LBB450_230:                            ;   in Loop: Header=BB450_13 Depth=1
	s_and_not1_saveexec_b32 s22, s2
	s_cbranch_execz .LBB450_232
; %bb.231:                              ;   in Loop: Header=BB450_13 Depth=1
	v_and_b32_e32 v1, 0xffff, v0
	v_or_b32_e32 v2, 0x10000, v0
	s_delay_alu instid0(VALU_DEP_2) | instskip(NEXT) | instid1(VALU_DEP_1)
	v_cmp_eq_u32_e64 s2, 0, v1
	v_cndmask_b32_e64 v0, v2, v0, s2
	scratch_store_b32 off, v0, s32 offset:412 ; 4-byte Folded Spill
.LBB450_232:                            ;   in Loop: Header=BB450_13 Depth=1
	s_or_b32 exec_lo, exec_lo, s22
	v_lshrrev_b32_e32 v0, 16, v33
	s_mov_b32 s22, exec_lo
	s_delay_alu instid0(VALU_DEP_1) | instskip(NEXT) | instid1(VALU_DEP_1)
	v_dual_mov_b32 v1, 0 :: v_dual_and_b32 v2, 0xff, v0
	v_cmpx_ne_u16_e32 0, v2
	s_cbranch_execz .LBB450_240
; %bb.233:                              ;   in Loop: Header=BB450_13 Depth=1
	v_bfrev_b32_e32 v1, 1
	s_mov_b32 s23, exec_lo
	v_cmpx_ne_u16_e32 0x80, v2
	s_cbranch_execz .LBB450_239
; %bb.234:                              ;   in Loop: Header=BB450_13 Depth=1
	v_bfe_u32 v2, v33, 16, 7
	v_mov_b32_e32 v1, 0x7f800001
	s_mov_b32 s24, exec_lo
	s_delay_alu instid0(VALU_DEP_2)
	v_cmpx_ne_u32_e32 0x7f, v2
	s_cbranch_execz .LBB450_238
; %bb.235:                              ;   in Loop: Header=BB450_13 Depth=1
	v_and_b32_e32 v19, 7, v0
	v_lshrrev_b32_e32 v1, 3, v2
	v_mov_b32_e32 v36, v20
	s_mov_b32 s25, exec_lo
	s_delay_alu instid0(VALU_DEP_3)
	v_mov_b32_e32 v35, v19
	v_cmpx_gt_u32_e32 8, v2
; %bb.236:                              ;   in Loop: Header=BB450_13 Depth=1
	v_clz_i32_u32_e32 v1, v19
	s_delay_alu instid0(VALU_DEP_1) | instskip(NEXT) | instid1(VALU_DEP_1)
	v_min_u32_e32 v1, 32, v1
	v_subrev_nc_u32_e32 v2, 28, v1
	v_sub_nc_u32_e32 v1, 29, v1
	s_delay_alu instid0(VALU_DEP_2) | instskip(NEXT) | instid1(VALU_DEP_1)
	v_lshlrev_b64 v[2:3], v2, v[19:20]
	v_and_b32_e32 v35, 7, v2
; %bb.237:                              ;   in Loop: Header=BB450_13 Depth=1
	s_or_b32 exec_lo, exec_lo, s25
	v_lshlrev_b32_e32 v0, 24, v0
	s_delay_alu instid0(VALU_DEP_2) | instskip(SKIP_1) | instid1(VALU_DEP_3)
	v_lshlrev_b32_e32 v2, 20, v35
	v_lshl_add_u32 v1, v1, 23, 0x3c000000
	v_and_b32_e32 v0, 0x80000000, v0
	s_delay_alu instid0(VALU_DEP_1)
	v_or3_b32 v1, v2, v0, v1
.LBB450_238:                            ;   in Loop: Header=BB450_13 Depth=1
	s_or_b32 exec_lo, exec_lo, s24
.LBB450_239:                            ;   in Loop: Header=BB450_13 Depth=1
	s_delay_alu instid0(SALU_CYCLE_1)
	s_or_b32 exec_lo, exec_lo, s23
.LBB450_240:                            ;   in Loop: Header=BB450_13 Depth=1
	s_delay_alu instid0(SALU_CYCLE_1) | instskip(NEXT) | instid1(VALU_DEP_1)
	s_or_b32 exec_lo, exec_lo, s22
	v_mul_f32_e32 v0, v121, v1
	s_delay_alu instid0(VALU_DEP_1) | instskip(NEXT) | instid1(VALU_DEP_1)
	v_and_b32_e32 v1, 0x7f800000, v0
	v_cmp_ne_u32_e64 s2, 0x7f800000, v1
                                        ; implicit-def: $vgpr1
                                        ; kill: killed $vgpr1
	s_delay_alu instid0(VALU_DEP_1) | instskip(NEXT) | instid1(SALU_CYCLE_1)
	s_and_saveexec_b32 s22, s2
	s_xor_b32 s2, exec_lo, s22
	s_cbranch_execz .LBB450_242
; %bb.241:                              ;   in Loop: Header=BB450_13 Depth=1
	v_bfe_u32 v1, v0, 16, 1
	s_delay_alu instid0(VALU_DEP_1)
	v_add3_u32 v0, v0, v1, 0x7fff
	scratch_store_b32 off, v0, s32 offset:416 ; 4-byte Folded Spill
                                        ; implicit-def: $vgpr0
.LBB450_242:                            ;   in Loop: Header=BB450_13 Depth=1
	s_and_not1_saveexec_b32 s22, s2
	s_cbranch_execz .LBB450_244
; %bb.243:                              ;   in Loop: Header=BB450_13 Depth=1
	v_and_b32_e32 v1, 0xffff, v0
	v_or_b32_e32 v2, 0x10000, v0
	s_delay_alu instid0(VALU_DEP_2) | instskip(NEXT) | instid1(VALU_DEP_1)
	v_cmp_eq_u32_e64 s2, 0, v1
	v_cndmask_b32_e64 v0, v2, v0, s2
	scratch_store_b32 off, v0, s32 offset:416 ; 4-byte Folded Spill
.LBB450_244:                            ;   in Loop: Header=BB450_13 Depth=1
	s_or_b32 exec_lo, exec_lo, s22
	v_mov_b32_e32 v1, 0
	s_mov_b32 s22, exec_lo
	v_cmpx_lt_u32_e32 0xffffff, v33
	s_cbranch_execz .LBB450_252
; %bb.245:                              ;   in Loop: Header=BB450_13 Depth=1
	v_lshrrev_b32_e32 v0, 24, v33
	v_bfrev_b32_e32 v1, 1
	s_mov_b32 s23, exec_lo
	s_delay_alu instid0(VALU_DEP_2)
	v_cmpx_ne_u32_e32 0x80, v0
	s_cbranch_execz .LBB450_251
; %bb.246:                              ;   in Loop: Header=BB450_13 Depth=1
	v_bfe_u32 v2, v33, 24, 7
	v_mov_b32_e32 v1, 0x7f800001
	s_mov_b32 s24, exec_lo
	s_delay_alu instid0(VALU_DEP_2)
	v_cmpx_ne_u32_e32 0x7f, v2
	s_cbranch_execz .LBB450_250
; %bb.247:                              ;   in Loop: Header=BB450_13 Depth=1
	v_and_b32_e32 v19, 7, v0
	v_lshrrev_b32_e32 v1, 3, v2
	v_mov_b32_e32 v36, v20
	s_mov_b32 s25, exec_lo
	s_delay_alu instid0(VALU_DEP_3)
	v_mov_b32_e32 v35, v19
	v_cmpx_gt_u32_e32 8, v2
; %bb.248:                              ;   in Loop: Header=BB450_13 Depth=1
	v_clz_i32_u32_e32 v1, v19
	s_delay_alu instid0(VALU_DEP_1) | instskip(NEXT) | instid1(VALU_DEP_1)
	v_min_u32_e32 v1, 32, v1
	v_subrev_nc_u32_e32 v2, 28, v1
	v_sub_nc_u32_e32 v1, 29, v1
	s_delay_alu instid0(VALU_DEP_2) | instskip(NEXT) | instid1(VALU_DEP_1)
	v_lshlrev_b64 v[2:3], v2, v[19:20]
	v_and_b32_e32 v35, 7, v2
; %bb.249:                              ;   in Loop: Header=BB450_13 Depth=1
	s_or_b32 exec_lo, exec_lo, s25
	v_lshlrev_b32_e32 v0, 24, v0
	s_delay_alu instid0(VALU_DEP_2) | instskip(SKIP_1) | instid1(VALU_DEP_3)
	v_lshlrev_b32_e32 v2, 20, v35
	v_lshl_add_u32 v1, v1, 23, 0x3c000000
	v_and_b32_e32 v0, 0x80000000, v0
	s_delay_alu instid0(VALU_DEP_1)
	v_or3_b32 v1, v2, v0, v1
.LBB450_250:                            ;   in Loop: Header=BB450_13 Depth=1
	s_or_b32 exec_lo, exec_lo, s24
.LBB450_251:                            ;   in Loop: Header=BB450_13 Depth=1
	s_delay_alu instid0(SALU_CYCLE_1)
	s_or_b32 exec_lo, exec_lo, s23
.LBB450_252:                            ;   in Loop: Header=BB450_13 Depth=1
	s_delay_alu instid0(SALU_CYCLE_1) | instskip(NEXT) | instid1(VALU_DEP_1)
	s_or_b32 exec_lo, exec_lo, s22
	v_mul_f32_e32 v0, v121, v1
	s_delay_alu instid0(VALU_DEP_1) | instskip(NEXT) | instid1(VALU_DEP_1)
	v_and_b32_e32 v1, 0x7f800000, v0
	v_cmp_ne_u32_e64 s2, 0x7f800000, v1
                                        ; implicit-def: $vgpr1
                                        ; kill: killed $vgpr1
	s_delay_alu instid0(VALU_DEP_1) | instskip(NEXT) | instid1(SALU_CYCLE_1)
	s_and_saveexec_b32 s22, s2
	s_xor_b32 s2, exec_lo, s22
	s_cbranch_execz .LBB450_254
; %bb.253:                              ;   in Loop: Header=BB450_13 Depth=1
	v_bfe_u32 v1, v0, 16, 1
	s_delay_alu instid0(VALU_DEP_1)
	v_add3_u32 v0, v0, v1, 0x7fff
	scratch_store_b32 off, v0, s32 offset:420 ; 4-byte Folded Spill
                                        ; implicit-def: $vgpr0
.LBB450_254:                            ;   in Loop: Header=BB450_13 Depth=1
	s_and_not1_saveexec_b32 s22, s2
	s_cbranch_execz .LBB450_256
; %bb.255:                              ;   in Loop: Header=BB450_13 Depth=1
	v_and_b32_e32 v1, 0xffff, v0
	v_or_b32_e32 v2, 0x10000, v0
	s_delay_alu instid0(VALU_DEP_2) | instskip(NEXT) | instid1(VALU_DEP_1)
	v_cmp_eq_u32_e64 s2, 0, v1
	v_cndmask_b32_e64 v0, v2, v0, s2
	scratch_store_b32 off, v0, s32 offset:420 ; 4-byte Folded Spill
.LBB450_256:                            ;   in Loop: Header=BB450_13 Depth=1
	s_or_b32 exec_lo, exec_lo, s22
	v_dual_mov_b32 v0, 0 :: v_dual_and_b32 v1, 0xff, v34
	v_mov_b32_e32 v19, v34
	s_mov_b32 s22, exec_lo
	s_delay_alu instid0(VALU_DEP_2)
	v_cmpx_ne_u16_e32 0, v1
	s_cbranch_execz .LBB450_264
; %bb.257:                              ;   in Loop: Header=BB450_13 Depth=1
	v_bfrev_b32_e32 v0, 1
	s_mov_b32 s23, exec_lo
	v_cmpx_ne_u16_e32 0x80, v1
	s_cbranch_execz .LBB450_263
; %bb.258:                              ;   in Loop: Header=BB450_13 Depth=1
	v_and_b32_e32 v1, 0x7f, v34
	v_mov_b32_e32 v0, 0x7f800001
	s_mov_b32 s24, exec_lo
	s_delay_alu instid0(VALU_DEP_2)
	v_cmpx_ne_u32_e32 0x7f, v1
	s_cbranch_execz .LBB450_262
; %bb.259:                              ;   in Loop: Header=BB450_13 Depth=1
	v_lshrrev_b32_e32 v0, 3, v1
	v_dual_mov_b32 v36, v20 :: v_dual_mov_b32 v35, v19
	s_mov_b32 s25, exec_lo
	v_cmpx_gt_u32_e32 8, v1
; %bb.260:                              ;   in Loop: Header=BB450_13 Depth=1
	v_and_b32_e32 v0, 7, v34
	s_delay_alu instid0(VALU_DEP_1) | instskip(NEXT) | instid1(VALU_DEP_1)
	v_clz_i32_u32_e32 v0, v0
	v_min_u32_e32 v0, 32, v0
	s_delay_alu instid0(VALU_DEP_1) | instskip(SKIP_1) | instid1(VALU_DEP_2)
	v_subrev_nc_u32_e32 v1, 28, v0
	v_sub_nc_u32_e32 v0, 29, v0
	v_lshlrev_b64 v[35:36], v1, v[19:20]
; %bb.261:                              ;   in Loop: Header=BB450_13 Depth=1
	s_or_b32 exec_lo, exec_lo, s25
	s_delay_alu instid0(VALU_DEP_1) | instskip(SKIP_2) | instid1(VALU_DEP_3)
	v_lshlrev_b32_e32 v1, 20, v35
	v_lshlrev_b32_e32 v2, 24, v19
	v_lshl_add_u32 v0, v0, 23, 0x3c000000
	v_and_b32_e32 v1, 0x700000, v1
	s_delay_alu instid0(VALU_DEP_3) | instskip(NEXT) | instid1(VALU_DEP_1)
	v_and_b32_e32 v2, 0x80000000, v2
	v_or3_b32 v0, v1, v2, v0
.LBB450_262:                            ;   in Loop: Header=BB450_13 Depth=1
	s_or_b32 exec_lo, exec_lo, s24
.LBB450_263:                            ;   in Loop: Header=BB450_13 Depth=1
	s_delay_alu instid0(SALU_CYCLE_1)
	s_or_b32 exec_lo, exec_lo, s23
.LBB450_264:                            ;   in Loop: Header=BB450_13 Depth=1
	s_delay_alu instid0(SALU_CYCLE_1) | instskip(NEXT) | instid1(VALU_DEP_1)
	s_or_b32 exec_lo, exec_lo, s22
	v_mul_f32_e32 v0, v121, v0
	s_delay_alu instid0(VALU_DEP_1) | instskip(NEXT) | instid1(VALU_DEP_1)
	v_and_b32_e32 v1, 0x7f800000, v0
	v_cmp_ne_u32_e64 s2, 0x7f800000, v1
                                        ; implicit-def: $vgpr1
                                        ; kill: killed $vgpr1
	s_delay_alu instid0(VALU_DEP_1) | instskip(NEXT) | instid1(SALU_CYCLE_1)
	s_and_saveexec_b32 s22, s2
	s_xor_b32 s2, exec_lo, s22
	s_cbranch_execz .LBB450_266
; %bb.265:                              ;   in Loop: Header=BB450_13 Depth=1
	v_bfe_u32 v1, v0, 16, 1
	s_delay_alu instid0(VALU_DEP_1)
	v_add3_u32 v0, v0, v1, 0x7fff
	scratch_store_b32 off, v0, s32 offset:424 ; 4-byte Folded Spill
                                        ; implicit-def: $vgpr0
.LBB450_266:                            ;   in Loop: Header=BB450_13 Depth=1
	s_and_not1_saveexec_b32 s22, s2
	s_cbranch_execz .LBB450_268
; %bb.267:                              ;   in Loop: Header=BB450_13 Depth=1
	v_and_b32_e32 v1, 0xffff, v0
	v_or_b32_e32 v2, 0x10000, v0
	s_delay_alu instid0(VALU_DEP_2) | instskip(NEXT) | instid1(VALU_DEP_1)
	v_cmp_eq_u32_e64 s2, 0, v1
	v_cndmask_b32_e64 v0, v2, v0, s2
	scratch_store_b32 off, v0, s32 offset:424 ; 4-byte Folded Spill
.LBB450_268:                            ;   in Loop: Header=BB450_13 Depth=1
	s_or_b32 exec_lo, exec_lo, s22
	v_lshrrev_b16 v1, 8, v19
	v_mov_b32_e32 v0, 0
	s_mov_b32 s22, exec_lo
	s_delay_alu instid0(VALU_DEP_2)
	v_cmpx_ne_u16_e32 0, v1
	s_cbranch_execz .LBB450_276
; %bb.269:                              ;   in Loop: Header=BB450_13 Depth=1
	v_bfrev_b32_e32 v0, 1
	s_mov_b32 s23, exec_lo
	v_cmpx_ne_u16_e32 0x80, v1
	s_cbranch_execz .LBB450_275
; %bb.270:                              ;   in Loop: Header=BB450_13 Depth=1
	v_and_b32_e32 v2, 0xffff, v1
	v_mov_b32_e32 v0, 0x7f800001
	s_mov_b32 s24, exec_lo
	s_delay_alu instid0(VALU_DEP_2) | instskip(NEXT) | instid1(VALU_DEP_1)
	v_and_b32_e32 v1, 0x7f, v2
	v_cmpx_ne_u32_e32 0x7f, v1
	s_cbranch_execz .LBB450_274
; %bb.271:                              ;   in Loop: Header=BB450_13 Depth=1
	v_dual_mov_b32 v36, v20 :: v_dual_and_b32 v35, 7, v2
	v_lshrrev_b32_e32 v0, 3, v1
	s_mov_b32 s25, exec_lo
	v_cmpx_gt_u32_e32 8, v1
; %bb.272:                              ;   in Loop: Header=BB450_13 Depth=1
	s_delay_alu instid0(VALU_DEP_3) | instskip(NEXT) | instid1(VALU_DEP_1)
	v_clz_i32_u32_e32 v0, v35
	v_min_u32_e32 v0, 32, v0
	s_delay_alu instid0(VALU_DEP_1) | instskip(SKIP_1) | instid1(VALU_DEP_2)
	v_subrev_nc_u32_e32 v1, 28, v0
	v_sub_nc_u32_e32 v0, 29, v0
	v_lshlrev_b64 v[1:2], v1, v[35:36]
	s_delay_alu instid0(VALU_DEP_1)
	v_and_b32_e32 v35, 7, v1
; %bb.273:                              ;   in Loop: Header=BB450_13 Depth=1
	s_or_b32 exec_lo, exec_lo, s25
	v_lshlrev_b32_e32 v1, 16, v19
	s_delay_alu instid0(VALU_DEP_2) | instskip(SKIP_1) | instid1(VALU_DEP_3)
	v_lshlrev_b32_e32 v2, 20, v35
	v_lshl_add_u32 v0, v0, 23, 0x3c000000
	v_and_b32_e32 v1, 0x80000000, v1
	s_delay_alu instid0(VALU_DEP_1)
	v_or3_b32 v0, v2, v1, v0
.LBB450_274:                            ;   in Loop: Header=BB450_13 Depth=1
	s_or_b32 exec_lo, exec_lo, s24
.LBB450_275:                            ;   in Loop: Header=BB450_13 Depth=1
	s_delay_alu instid0(SALU_CYCLE_1)
	s_or_b32 exec_lo, exec_lo, s23
.LBB450_276:                            ;   in Loop: Header=BB450_13 Depth=1
	s_delay_alu instid0(SALU_CYCLE_1) | instskip(NEXT) | instid1(VALU_DEP_1)
	s_or_b32 exec_lo, exec_lo, s22
	v_mul_f32_e32 v0, v121, v0
	s_delay_alu instid0(VALU_DEP_1) | instskip(NEXT) | instid1(VALU_DEP_1)
	v_and_b32_e32 v1, 0x7f800000, v0
	v_cmp_ne_u32_e64 s2, 0x7f800000, v1
                                        ; implicit-def: $vgpr1
                                        ; kill: killed $vgpr1
	s_delay_alu instid0(VALU_DEP_1) | instskip(NEXT) | instid1(SALU_CYCLE_1)
	s_and_saveexec_b32 s22, s2
	s_xor_b32 s2, exec_lo, s22
	s_cbranch_execz .LBB450_278
; %bb.277:                              ;   in Loop: Header=BB450_13 Depth=1
	v_bfe_u32 v1, v0, 16, 1
	s_delay_alu instid0(VALU_DEP_1)
	v_add3_u32 v0, v0, v1, 0x7fff
	scratch_store_b32 off, v0, s32 offset:428 ; 4-byte Folded Spill
                                        ; implicit-def: $vgpr0
.LBB450_278:                            ;   in Loop: Header=BB450_13 Depth=1
	s_and_not1_saveexec_b32 s22, s2
	s_cbranch_execz .LBB450_280
; %bb.279:                              ;   in Loop: Header=BB450_13 Depth=1
	v_and_b32_e32 v1, 0xffff, v0
	v_or_b32_e32 v2, 0x10000, v0
	s_delay_alu instid0(VALU_DEP_2) | instskip(NEXT) | instid1(VALU_DEP_1)
	v_cmp_eq_u32_e64 s2, 0, v1
	v_cndmask_b32_e64 v0, v2, v0, s2
	scratch_store_b32 off, v0, s32 offset:428 ; 4-byte Folded Spill
.LBB450_280:                            ;   in Loop: Header=BB450_13 Depth=1
	s_or_b32 exec_lo, exec_lo, s22
	v_lshrrev_b32_e32 v0, 16, v34
	s_mov_b32 s22, exec_lo
	s_delay_alu instid0(VALU_DEP_1) | instskip(NEXT) | instid1(VALU_DEP_1)
	v_dual_mov_b32 v1, 0 :: v_dual_and_b32 v2, 0xff, v0
	v_cmpx_ne_u16_e32 0, v2
	s_cbranch_execz .LBB450_288
; %bb.281:                              ;   in Loop: Header=BB450_13 Depth=1
	v_bfrev_b32_e32 v1, 1
	s_mov_b32 s23, exec_lo
	v_cmpx_ne_u16_e32 0x80, v2
	s_cbranch_execz .LBB450_287
; %bb.282:                              ;   in Loop: Header=BB450_13 Depth=1
	v_bfe_u32 v2, v34, 16, 7
	v_mov_b32_e32 v1, 0x7f800001
	s_mov_b32 s24, exec_lo
	s_delay_alu instid0(VALU_DEP_2)
	v_cmpx_ne_u32_e32 0x7f, v2
	s_cbranch_execz .LBB450_286
; %bb.283:                              ;   in Loop: Header=BB450_13 Depth=1
	v_and_b32_e32 v19, 7, v0
	v_lshrrev_b32_e32 v1, 3, v2
	v_mov_b32_e32 v36, v20
	s_mov_b32 s25, exec_lo
	s_delay_alu instid0(VALU_DEP_3)
	v_mov_b32_e32 v35, v19
	v_cmpx_gt_u32_e32 8, v2
; %bb.284:                              ;   in Loop: Header=BB450_13 Depth=1
	v_clz_i32_u32_e32 v1, v19
	s_delay_alu instid0(VALU_DEP_1) | instskip(NEXT) | instid1(VALU_DEP_1)
	v_min_u32_e32 v1, 32, v1
	v_subrev_nc_u32_e32 v2, 28, v1
	v_sub_nc_u32_e32 v1, 29, v1
	s_delay_alu instid0(VALU_DEP_2) | instskip(NEXT) | instid1(VALU_DEP_1)
	v_lshlrev_b64 v[2:3], v2, v[19:20]
	v_and_b32_e32 v35, 7, v2
; %bb.285:                              ;   in Loop: Header=BB450_13 Depth=1
	s_or_b32 exec_lo, exec_lo, s25
	v_lshlrev_b32_e32 v0, 24, v0
	s_delay_alu instid0(VALU_DEP_2) | instskip(SKIP_1) | instid1(VALU_DEP_3)
	v_lshlrev_b32_e32 v2, 20, v35
	v_lshl_add_u32 v1, v1, 23, 0x3c000000
	v_and_b32_e32 v0, 0x80000000, v0
	s_delay_alu instid0(VALU_DEP_1)
	v_or3_b32 v1, v2, v0, v1
.LBB450_286:                            ;   in Loop: Header=BB450_13 Depth=1
	s_or_b32 exec_lo, exec_lo, s24
.LBB450_287:                            ;   in Loop: Header=BB450_13 Depth=1
	s_delay_alu instid0(SALU_CYCLE_1)
	s_or_b32 exec_lo, exec_lo, s23
.LBB450_288:                            ;   in Loop: Header=BB450_13 Depth=1
	s_delay_alu instid0(SALU_CYCLE_1) | instskip(NEXT) | instid1(VALU_DEP_1)
	s_or_b32 exec_lo, exec_lo, s22
	v_mul_f32_e32 v0, v121, v1
	s_delay_alu instid0(VALU_DEP_1) | instskip(NEXT) | instid1(VALU_DEP_1)
	v_and_b32_e32 v1, 0x7f800000, v0
	v_cmp_ne_u32_e64 s2, 0x7f800000, v1
                                        ; implicit-def: $vgpr1
                                        ; kill: killed $vgpr1
	s_delay_alu instid0(VALU_DEP_1) | instskip(NEXT) | instid1(SALU_CYCLE_1)
	s_and_saveexec_b32 s22, s2
	s_xor_b32 s2, exec_lo, s22
	s_cbranch_execz .LBB450_290
; %bb.289:                              ;   in Loop: Header=BB450_13 Depth=1
	v_bfe_u32 v1, v0, 16, 1
	s_delay_alu instid0(VALU_DEP_1)
	v_add3_u32 v0, v0, v1, 0x7fff
	scratch_store_b32 off, v0, s32 offset:432 ; 4-byte Folded Spill
                                        ; implicit-def: $vgpr0
.LBB450_290:                            ;   in Loop: Header=BB450_13 Depth=1
	s_and_not1_saveexec_b32 s22, s2
	s_cbranch_execz .LBB450_292
; %bb.291:                              ;   in Loop: Header=BB450_13 Depth=1
	v_and_b32_e32 v1, 0xffff, v0
	v_or_b32_e32 v2, 0x10000, v0
	s_delay_alu instid0(VALU_DEP_2) | instskip(NEXT) | instid1(VALU_DEP_1)
	v_cmp_eq_u32_e64 s2, 0, v1
	v_cndmask_b32_e64 v0, v2, v0, s2
	scratch_store_b32 off, v0, s32 offset:432 ; 4-byte Folded Spill
.LBB450_292:                            ;   in Loop: Header=BB450_13 Depth=1
	s_or_b32 exec_lo, exec_lo, s22
	v_mov_b32_e32 v1, 0
	s_mov_b32 s22, exec_lo
	v_cmpx_lt_u64_e64 s[8:9], v[33:34]
	s_cbranch_execz .LBB450_300
; %bb.293:                              ;   in Loop: Header=BB450_13 Depth=1
	v_lshrrev_b32_e32 v0, 24, v34
	v_bfrev_b32_e32 v1, 1
	s_mov_b32 s23, exec_lo
	s_delay_alu instid0(VALU_DEP_2)
	v_cmpx_ne_u32_e32 0x80, v0
	s_cbranch_execz .LBB450_299
; %bb.294:                              ;   in Loop: Header=BB450_13 Depth=1
	v_bfe_u32 v2, v34, 24, 7
	v_mov_b32_e32 v1, 0x7f800001
	s_mov_b32 s24, exec_lo
	s_delay_alu instid0(VALU_DEP_2)
	v_cmpx_ne_u32_e32 0x7f, v2
	s_cbranch_execz .LBB450_298
; %bb.295:                              ;   in Loop: Header=BB450_13 Depth=1
	v_and_b32_e32 v19, 7, v0
	v_lshrrev_b32_e32 v1, 3, v2
	v_mov_b32_e32 v34, v20
	s_mov_b32 s25, exec_lo
	s_delay_alu instid0(VALU_DEP_3)
	v_mov_b32_e32 v33, v19
	v_cmpx_gt_u32_e32 8, v2
; %bb.296:                              ;   in Loop: Header=BB450_13 Depth=1
	v_clz_i32_u32_e32 v1, v19
	s_delay_alu instid0(VALU_DEP_1) | instskip(NEXT) | instid1(VALU_DEP_1)
	v_min_u32_e32 v1, 32, v1
	v_subrev_nc_u32_e32 v2, 28, v1
	v_sub_nc_u32_e32 v1, 29, v1
	s_delay_alu instid0(VALU_DEP_2) | instskip(NEXT) | instid1(VALU_DEP_1)
	v_lshlrev_b64 v[2:3], v2, v[19:20]
	v_and_b32_e32 v33, 7, v2
; %bb.297:                              ;   in Loop: Header=BB450_13 Depth=1
	s_or_b32 exec_lo, exec_lo, s25
	v_lshlrev_b32_e32 v0, 24, v0
	s_delay_alu instid0(VALU_DEP_2) | instskip(SKIP_1) | instid1(VALU_DEP_3)
	v_lshlrev_b32_e32 v2, 20, v33
	v_lshl_add_u32 v1, v1, 23, 0x3c000000
	v_and_b32_e32 v0, 0x80000000, v0
	s_delay_alu instid0(VALU_DEP_1)
	v_or3_b32 v1, v2, v0, v1
.LBB450_298:                            ;   in Loop: Header=BB450_13 Depth=1
	s_or_b32 exec_lo, exec_lo, s24
.LBB450_299:                            ;   in Loop: Header=BB450_13 Depth=1
	s_delay_alu instid0(SALU_CYCLE_1)
	s_or_b32 exec_lo, exec_lo, s23
.LBB450_300:                            ;   in Loop: Header=BB450_13 Depth=1
	s_delay_alu instid0(SALU_CYCLE_1) | instskip(NEXT) | instid1(VALU_DEP_1)
	s_or_b32 exec_lo, exec_lo, s22
	v_mul_f32_e32 v0, v121, v1
	s_delay_alu instid0(VALU_DEP_1) | instskip(NEXT) | instid1(VALU_DEP_1)
	v_and_b32_e32 v1, 0x7f800000, v0
	v_cmp_ne_u32_e64 s2, 0x7f800000, v1
                                        ; implicit-def: $vgpr1
                                        ; kill: killed $vgpr1
	s_delay_alu instid0(VALU_DEP_1) | instskip(NEXT) | instid1(SALU_CYCLE_1)
	s_and_saveexec_b32 s22, s2
	s_xor_b32 s2, exec_lo, s22
	s_cbranch_execz .LBB450_302
; %bb.301:                              ;   in Loop: Header=BB450_13 Depth=1
	v_bfe_u32 v1, v0, 16, 1
	s_delay_alu instid0(VALU_DEP_1)
	v_add3_u32 v0, v0, v1, 0x7fff
	scratch_store_b32 off, v0, s32 offset:436 ; 4-byte Folded Spill
                                        ; implicit-def: $vgpr0
.LBB450_302:                            ;   in Loop: Header=BB450_13 Depth=1
	s_and_not1_saveexec_b32 s22, s2
	s_cbranch_execz .LBB450_304
; %bb.303:                              ;   in Loop: Header=BB450_13 Depth=1
	v_and_b32_e32 v1, 0xffff, v0
	v_or_b32_e32 v2, 0x10000, v0
	s_delay_alu instid0(VALU_DEP_2) | instskip(NEXT) | instid1(VALU_DEP_1)
	v_cmp_eq_u32_e64 s2, 0, v1
	v_cndmask_b32_e64 v0, v2, v0, s2
	scratch_store_b32 off, v0, s32 offset:436 ; 4-byte Folded Spill
.LBB450_304:                            ;   in Loop: Header=BB450_13 Depth=1
	s_or_b32 exec_lo, exec_lo, s22
	flat_load_b64 v[33:34], v[31:32] offset:520
	s_mov_b32 s22, exec_lo
	s_waitcnt vmcnt(0) lgkmcnt(0)
	v_dual_mov_b32 v0, 0 :: v_dual_and_b32 v1, 0xff, v33
	s_delay_alu instid0(VALU_DEP_1)
	v_cmpx_ne_u16_e32 0, v1
	s_cbranch_execz .LBB450_312
; %bb.305:                              ;   in Loop: Header=BB450_13 Depth=1
	v_bfrev_b32_e32 v0, 1
	s_mov_b32 s23, exec_lo
	v_cmpx_ne_u16_e32 0x80, v1
	s_cbranch_execz .LBB450_311
; %bb.306:                              ;   in Loop: Header=BB450_13 Depth=1
	v_and_b32_e32 v1, 0x7f, v33
	v_mov_b32_e32 v0, 0x7f800001
	s_mov_b32 s24, exec_lo
	s_delay_alu instid0(VALU_DEP_2)
	v_cmpx_ne_u32_e32 0x7f, v1
	s_cbranch_execz .LBB450_310
; %bb.307:                              ;   in Loop: Header=BB450_13 Depth=1
	v_lshrrev_b32_e32 v0, 3, v1
	v_dual_mov_b32 v36, v34 :: v_dual_mov_b32 v35, v33
	s_mov_b32 s25, exec_lo
	v_cmpx_gt_u32_e32 8, v1
; %bb.308:                              ;   in Loop: Header=BB450_13 Depth=1
	v_and_b32_e32 v0, 7, v33
	s_delay_alu instid0(VALU_DEP_1) | instskip(NEXT) | instid1(VALU_DEP_1)
	v_clz_i32_u32_e32 v0, v0
	v_min_u32_e32 v0, 32, v0
	s_delay_alu instid0(VALU_DEP_1) | instskip(SKIP_1) | instid1(VALU_DEP_2)
	v_subrev_nc_u32_e32 v1, 28, v0
	v_sub_nc_u32_e32 v0, 29, v0
	v_lshlrev_b64 v[35:36], v1, v[33:34]
; %bb.309:                              ;   in Loop: Header=BB450_13 Depth=1
	s_or_b32 exec_lo, exec_lo, s25
	s_delay_alu instid0(VALU_DEP_1) | instskip(SKIP_2) | instid1(VALU_DEP_3)
	v_lshlrev_b32_e32 v1, 20, v35
	v_lshlrev_b32_e32 v2, 24, v33
	v_lshl_add_u32 v0, v0, 23, 0x3c000000
	v_and_b32_e32 v1, 0x700000, v1
	s_delay_alu instid0(VALU_DEP_3) | instskip(NEXT) | instid1(VALU_DEP_1)
	v_and_b32_e32 v2, 0x80000000, v2
	v_or3_b32 v0, v1, v2, v0
.LBB450_310:                            ;   in Loop: Header=BB450_13 Depth=1
	s_or_b32 exec_lo, exec_lo, s24
.LBB450_311:                            ;   in Loop: Header=BB450_13 Depth=1
	s_delay_alu instid0(SALU_CYCLE_1)
	s_or_b32 exec_lo, exec_lo, s23
.LBB450_312:                            ;   in Loop: Header=BB450_13 Depth=1
	s_delay_alu instid0(SALU_CYCLE_1) | instskip(NEXT) | instid1(VALU_DEP_1)
	s_or_b32 exec_lo, exec_lo, s22
	v_mul_f32_e32 v0, v121, v0
	s_delay_alu instid0(VALU_DEP_1) | instskip(NEXT) | instid1(VALU_DEP_1)
	v_and_b32_e32 v1, 0x7f800000, v0
	v_cmp_ne_u32_e64 s2, 0x7f800000, v1
                                        ; implicit-def: $vgpr1
                                        ; kill: killed $vgpr1
	s_delay_alu instid0(VALU_DEP_1) | instskip(NEXT) | instid1(SALU_CYCLE_1)
	s_and_saveexec_b32 s22, s2
	s_xor_b32 s2, exec_lo, s22
	s_cbranch_execz .LBB450_314
; %bb.313:                              ;   in Loop: Header=BB450_13 Depth=1
	v_bfe_u32 v1, v0, 16, 1
	s_delay_alu instid0(VALU_DEP_1)
	v_add3_u32 v0, v0, v1, 0x7fff
	scratch_store_b32 off, v0, s32 offset:440 ; 4-byte Folded Spill
                                        ; implicit-def: $vgpr0
.LBB450_314:                            ;   in Loop: Header=BB450_13 Depth=1
	s_and_not1_saveexec_b32 s22, s2
	s_cbranch_execz .LBB450_316
; %bb.315:                              ;   in Loop: Header=BB450_13 Depth=1
	v_and_b32_e32 v1, 0xffff, v0
	v_or_b32_e32 v2, 0x10000, v0
	s_delay_alu instid0(VALU_DEP_2) | instskip(NEXT) | instid1(VALU_DEP_1)
	v_cmp_eq_u32_e64 s2, 0, v1
	v_cndmask_b32_e64 v0, v2, v0, s2
	scratch_store_b32 off, v0, s32 offset:440 ; 4-byte Folded Spill
.LBB450_316:                            ;   in Loop: Header=BB450_13 Depth=1
	s_or_b32 exec_lo, exec_lo, s22
	v_lshrrev_b16 v1, 8, v33
	v_mov_b32_e32 v0, 0
	s_mov_b32 s22, exec_lo
	s_delay_alu instid0(VALU_DEP_2)
	v_cmpx_ne_u16_e32 0, v1
	s_cbranch_execz .LBB450_324
; %bb.317:                              ;   in Loop: Header=BB450_13 Depth=1
	v_bfrev_b32_e32 v0, 1
	s_mov_b32 s23, exec_lo
	v_cmpx_ne_u16_e32 0x80, v1
	s_cbranch_execz .LBB450_323
; %bb.318:                              ;   in Loop: Header=BB450_13 Depth=1
	v_and_b32_e32 v2, 0xffff, v1
	v_mov_b32_e32 v0, 0x7f800001
	s_mov_b32 s24, exec_lo
	s_delay_alu instid0(VALU_DEP_2) | instskip(NEXT) | instid1(VALU_DEP_1)
	v_and_b32_e32 v1, 0x7f, v2
	v_cmpx_ne_u32_e32 0x7f, v1
	s_cbranch_execz .LBB450_322
; %bb.319:                              ;   in Loop: Header=BB450_13 Depth=1
	v_and_b32_e32 v19, 7, v2
	v_lshrrev_b32_e32 v0, 3, v1
	v_mov_b32_e32 v36, v20
	s_mov_b32 s25, exec_lo
	s_delay_alu instid0(VALU_DEP_3)
	v_mov_b32_e32 v35, v19
	v_cmpx_gt_u32_e32 8, v1
; %bb.320:                              ;   in Loop: Header=BB450_13 Depth=1
	v_clz_i32_u32_e32 v0, v19
	s_delay_alu instid0(VALU_DEP_1) | instskip(NEXT) | instid1(VALU_DEP_1)
	v_min_u32_e32 v0, 32, v0
	v_subrev_nc_u32_e32 v1, 28, v0
	v_sub_nc_u32_e32 v0, 29, v0
	s_delay_alu instid0(VALU_DEP_2) | instskip(NEXT) | instid1(VALU_DEP_1)
	v_lshlrev_b64 v[1:2], v1, v[19:20]
	v_and_b32_e32 v35, 7, v1
; %bb.321:                              ;   in Loop: Header=BB450_13 Depth=1
	s_or_b32 exec_lo, exec_lo, s25
	v_lshlrev_b32_e32 v1, 16, v33
	s_delay_alu instid0(VALU_DEP_2) | instskip(SKIP_1) | instid1(VALU_DEP_3)
	v_lshlrev_b32_e32 v2, 20, v35
	v_lshl_add_u32 v0, v0, 23, 0x3c000000
	v_and_b32_e32 v1, 0x80000000, v1
	s_delay_alu instid0(VALU_DEP_1)
	v_or3_b32 v0, v2, v1, v0
.LBB450_322:                            ;   in Loop: Header=BB450_13 Depth=1
	s_or_b32 exec_lo, exec_lo, s24
.LBB450_323:                            ;   in Loop: Header=BB450_13 Depth=1
	s_delay_alu instid0(SALU_CYCLE_1)
	s_or_b32 exec_lo, exec_lo, s23
.LBB450_324:                            ;   in Loop: Header=BB450_13 Depth=1
	s_delay_alu instid0(SALU_CYCLE_1) | instskip(NEXT) | instid1(VALU_DEP_1)
	s_or_b32 exec_lo, exec_lo, s22
	v_mul_f32_e32 v0, v121, v0
	s_delay_alu instid0(VALU_DEP_1) | instskip(NEXT) | instid1(VALU_DEP_1)
	v_and_b32_e32 v1, 0x7f800000, v0
	v_cmp_ne_u32_e64 s2, 0x7f800000, v1
                                        ; implicit-def: $vgpr1
                                        ; kill: killed $vgpr1
	s_delay_alu instid0(VALU_DEP_1) | instskip(NEXT) | instid1(SALU_CYCLE_1)
	s_and_saveexec_b32 s22, s2
	s_xor_b32 s2, exec_lo, s22
	s_cbranch_execz .LBB450_326
; %bb.325:                              ;   in Loop: Header=BB450_13 Depth=1
	v_bfe_u32 v1, v0, 16, 1
	s_delay_alu instid0(VALU_DEP_1)
	v_add3_u32 v0, v0, v1, 0x7fff
	scratch_store_b32 off, v0, s32 offset:444 ; 4-byte Folded Spill
                                        ; implicit-def: $vgpr0
.LBB450_326:                            ;   in Loop: Header=BB450_13 Depth=1
	s_and_not1_saveexec_b32 s22, s2
	s_cbranch_execz .LBB450_328
; %bb.327:                              ;   in Loop: Header=BB450_13 Depth=1
	v_and_b32_e32 v1, 0xffff, v0
	v_or_b32_e32 v2, 0x10000, v0
	s_delay_alu instid0(VALU_DEP_2) | instskip(NEXT) | instid1(VALU_DEP_1)
	v_cmp_eq_u32_e64 s2, 0, v1
	v_cndmask_b32_e64 v0, v2, v0, s2
	scratch_store_b32 off, v0, s32 offset:444 ; 4-byte Folded Spill
.LBB450_328:                            ;   in Loop: Header=BB450_13 Depth=1
	s_or_b32 exec_lo, exec_lo, s22
	v_lshrrev_b32_e32 v0, 16, v33
	s_mov_b32 s22, exec_lo
	s_delay_alu instid0(VALU_DEP_1) | instskip(NEXT) | instid1(VALU_DEP_1)
	v_dual_mov_b32 v1, 0 :: v_dual_and_b32 v2, 0xff, v0
	v_cmpx_ne_u16_e32 0, v2
	s_cbranch_execz .LBB450_336
; %bb.329:                              ;   in Loop: Header=BB450_13 Depth=1
	v_bfrev_b32_e32 v1, 1
	s_mov_b32 s23, exec_lo
	v_cmpx_ne_u16_e32 0x80, v2
	s_cbranch_execz .LBB450_335
; %bb.330:                              ;   in Loop: Header=BB450_13 Depth=1
	v_bfe_u32 v2, v33, 16, 7
	v_mov_b32_e32 v1, 0x7f800001
	s_mov_b32 s24, exec_lo
	s_delay_alu instid0(VALU_DEP_2)
	v_cmpx_ne_u32_e32 0x7f, v2
	s_cbranch_execz .LBB450_334
; %bb.331:                              ;   in Loop: Header=BB450_13 Depth=1
	v_and_b32_e32 v19, 7, v0
	v_lshrrev_b32_e32 v1, 3, v2
	v_mov_b32_e32 v36, v20
	s_mov_b32 s25, exec_lo
	s_delay_alu instid0(VALU_DEP_3)
	v_mov_b32_e32 v35, v19
	v_cmpx_gt_u32_e32 8, v2
; %bb.332:                              ;   in Loop: Header=BB450_13 Depth=1
	v_clz_i32_u32_e32 v1, v19
	s_delay_alu instid0(VALU_DEP_1) | instskip(NEXT) | instid1(VALU_DEP_1)
	v_min_u32_e32 v1, 32, v1
	v_subrev_nc_u32_e32 v2, 28, v1
	v_sub_nc_u32_e32 v1, 29, v1
	s_delay_alu instid0(VALU_DEP_2) | instskip(NEXT) | instid1(VALU_DEP_1)
	v_lshlrev_b64 v[2:3], v2, v[19:20]
	v_and_b32_e32 v35, 7, v2
; %bb.333:                              ;   in Loop: Header=BB450_13 Depth=1
	s_or_b32 exec_lo, exec_lo, s25
	v_lshlrev_b32_e32 v0, 24, v0
	s_delay_alu instid0(VALU_DEP_2) | instskip(SKIP_1) | instid1(VALU_DEP_3)
	v_lshlrev_b32_e32 v2, 20, v35
	v_lshl_add_u32 v1, v1, 23, 0x3c000000
	v_and_b32_e32 v0, 0x80000000, v0
	s_delay_alu instid0(VALU_DEP_1)
	v_or3_b32 v1, v2, v0, v1
.LBB450_334:                            ;   in Loop: Header=BB450_13 Depth=1
	s_or_b32 exec_lo, exec_lo, s24
.LBB450_335:                            ;   in Loop: Header=BB450_13 Depth=1
	s_delay_alu instid0(SALU_CYCLE_1)
	s_or_b32 exec_lo, exec_lo, s23
.LBB450_336:                            ;   in Loop: Header=BB450_13 Depth=1
	s_delay_alu instid0(SALU_CYCLE_1) | instskip(NEXT) | instid1(VALU_DEP_1)
	s_or_b32 exec_lo, exec_lo, s22
	v_mul_f32_e32 v0, v121, v1
	s_delay_alu instid0(VALU_DEP_1) | instskip(NEXT) | instid1(VALU_DEP_1)
	v_and_b32_e32 v1, 0x7f800000, v0
	v_cmp_ne_u32_e64 s2, 0x7f800000, v1
                                        ; implicit-def: $vgpr1
                                        ; kill: killed $vgpr1
	s_delay_alu instid0(VALU_DEP_1) | instskip(NEXT) | instid1(SALU_CYCLE_1)
	s_and_saveexec_b32 s22, s2
	s_xor_b32 s2, exec_lo, s22
	s_cbranch_execz .LBB450_338
; %bb.337:                              ;   in Loop: Header=BB450_13 Depth=1
	v_bfe_u32 v1, v0, 16, 1
	s_delay_alu instid0(VALU_DEP_1)
	v_add3_u32 v0, v0, v1, 0x7fff
	scratch_store_b32 off, v0, s32 offset:448 ; 4-byte Folded Spill
                                        ; implicit-def: $vgpr0
.LBB450_338:                            ;   in Loop: Header=BB450_13 Depth=1
	s_and_not1_saveexec_b32 s22, s2
	s_cbranch_execz .LBB450_340
; %bb.339:                              ;   in Loop: Header=BB450_13 Depth=1
	v_and_b32_e32 v1, 0xffff, v0
	v_or_b32_e32 v2, 0x10000, v0
	s_delay_alu instid0(VALU_DEP_2) | instskip(NEXT) | instid1(VALU_DEP_1)
	v_cmp_eq_u32_e64 s2, 0, v1
	v_cndmask_b32_e64 v0, v2, v0, s2
	scratch_store_b32 off, v0, s32 offset:448 ; 4-byte Folded Spill
.LBB450_340:                            ;   in Loop: Header=BB450_13 Depth=1
	s_or_b32 exec_lo, exec_lo, s22
	v_mov_b32_e32 v1, 0
	s_mov_b32 s22, exec_lo
	v_cmpx_lt_u32_e32 0xffffff, v33
	s_cbranch_execz .LBB450_348
; %bb.341:                              ;   in Loop: Header=BB450_13 Depth=1
	v_lshrrev_b32_e32 v0, 24, v33
	v_bfrev_b32_e32 v1, 1
	s_mov_b32 s23, exec_lo
	s_delay_alu instid0(VALU_DEP_2)
	v_cmpx_ne_u32_e32 0x80, v0
	s_cbranch_execz .LBB450_347
; %bb.342:                              ;   in Loop: Header=BB450_13 Depth=1
	v_bfe_u32 v2, v33, 24, 7
	v_mov_b32_e32 v1, 0x7f800001
	s_mov_b32 s24, exec_lo
	s_delay_alu instid0(VALU_DEP_2)
	v_cmpx_ne_u32_e32 0x7f, v2
	s_cbranch_execz .LBB450_346
; %bb.343:                              ;   in Loop: Header=BB450_13 Depth=1
	v_and_b32_e32 v19, 7, v0
	v_lshrrev_b32_e32 v1, 3, v2
	v_mov_b32_e32 v36, v20
	s_mov_b32 s25, exec_lo
	s_delay_alu instid0(VALU_DEP_3)
	v_mov_b32_e32 v35, v19
	v_cmpx_gt_u32_e32 8, v2
; %bb.344:                              ;   in Loop: Header=BB450_13 Depth=1
	v_clz_i32_u32_e32 v1, v19
	s_delay_alu instid0(VALU_DEP_1) | instskip(NEXT) | instid1(VALU_DEP_1)
	v_min_u32_e32 v1, 32, v1
	v_subrev_nc_u32_e32 v2, 28, v1
	v_sub_nc_u32_e32 v1, 29, v1
	s_delay_alu instid0(VALU_DEP_2) | instskip(NEXT) | instid1(VALU_DEP_1)
	v_lshlrev_b64 v[2:3], v2, v[19:20]
	v_and_b32_e32 v35, 7, v2
; %bb.345:                              ;   in Loop: Header=BB450_13 Depth=1
	s_or_b32 exec_lo, exec_lo, s25
	v_lshlrev_b32_e32 v0, 24, v0
	s_delay_alu instid0(VALU_DEP_2) | instskip(SKIP_1) | instid1(VALU_DEP_3)
	v_lshlrev_b32_e32 v2, 20, v35
	v_lshl_add_u32 v1, v1, 23, 0x3c000000
	v_and_b32_e32 v0, 0x80000000, v0
	s_delay_alu instid0(VALU_DEP_1)
	v_or3_b32 v1, v2, v0, v1
.LBB450_346:                            ;   in Loop: Header=BB450_13 Depth=1
	s_or_b32 exec_lo, exec_lo, s24
.LBB450_347:                            ;   in Loop: Header=BB450_13 Depth=1
	s_delay_alu instid0(SALU_CYCLE_1)
	s_or_b32 exec_lo, exec_lo, s23
.LBB450_348:                            ;   in Loop: Header=BB450_13 Depth=1
	s_delay_alu instid0(SALU_CYCLE_1) | instskip(NEXT) | instid1(VALU_DEP_1)
	s_or_b32 exec_lo, exec_lo, s22
	v_mul_f32_e32 v0, v121, v1
	s_delay_alu instid0(VALU_DEP_1) | instskip(NEXT) | instid1(VALU_DEP_1)
	v_and_b32_e32 v1, 0x7f800000, v0
	v_cmp_ne_u32_e64 s2, 0x7f800000, v1
                                        ; implicit-def: $vgpr1
                                        ; kill: killed $vgpr1
	s_delay_alu instid0(VALU_DEP_1) | instskip(NEXT) | instid1(SALU_CYCLE_1)
	s_and_saveexec_b32 s22, s2
	s_xor_b32 s2, exec_lo, s22
	s_cbranch_execz .LBB450_350
; %bb.349:                              ;   in Loop: Header=BB450_13 Depth=1
	v_bfe_u32 v1, v0, 16, 1
	s_delay_alu instid0(VALU_DEP_1)
	v_add3_u32 v0, v0, v1, 0x7fff
	scratch_store_b32 off, v0, s32 offset:452 ; 4-byte Folded Spill
                                        ; implicit-def: $vgpr0
.LBB450_350:                            ;   in Loop: Header=BB450_13 Depth=1
	s_and_not1_saveexec_b32 s22, s2
	s_cbranch_execz .LBB450_352
; %bb.351:                              ;   in Loop: Header=BB450_13 Depth=1
	v_and_b32_e32 v1, 0xffff, v0
	v_or_b32_e32 v2, 0x10000, v0
	s_delay_alu instid0(VALU_DEP_2) | instskip(NEXT) | instid1(VALU_DEP_1)
	v_cmp_eq_u32_e64 s2, 0, v1
	v_cndmask_b32_e64 v0, v2, v0, s2
	scratch_store_b32 off, v0, s32 offset:452 ; 4-byte Folded Spill
.LBB450_352:                            ;   in Loop: Header=BB450_13 Depth=1
	s_or_b32 exec_lo, exec_lo, s22
	v_dual_mov_b32 v0, 0 :: v_dual_and_b32 v1, 0xff, v34
	v_mov_b32_e32 v19, v34
	s_mov_b32 s22, exec_lo
	s_delay_alu instid0(VALU_DEP_2)
	v_cmpx_ne_u16_e32 0, v1
	s_cbranch_execz .LBB450_360
; %bb.353:                              ;   in Loop: Header=BB450_13 Depth=1
	v_bfrev_b32_e32 v0, 1
	s_mov_b32 s23, exec_lo
	v_cmpx_ne_u16_e32 0x80, v1
	s_cbranch_execz .LBB450_359
; %bb.354:                              ;   in Loop: Header=BB450_13 Depth=1
	v_and_b32_e32 v1, 0x7f, v34
	v_mov_b32_e32 v0, 0x7f800001
	s_mov_b32 s24, exec_lo
	s_delay_alu instid0(VALU_DEP_2)
	v_cmpx_ne_u32_e32 0x7f, v1
	s_cbranch_execz .LBB450_358
; %bb.355:                              ;   in Loop: Header=BB450_13 Depth=1
	v_lshrrev_b32_e32 v0, 3, v1
	v_dual_mov_b32 v36, v20 :: v_dual_mov_b32 v35, v19
	s_mov_b32 s25, exec_lo
	v_cmpx_gt_u32_e32 8, v1
; %bb.356:                              ;   in Loop: Header=BB450_13 Depth=1
	v_and_b32_e32 v0, 7, v34
	s_delay_alu instid0(VALU_DEP_1) | instskip(NEXT) | instid1(VALU_DEP_1)
	v_clz_i32_u32_e32 v0, v0
	v_min_u32_e32 v0, 32, v0
	s_delay_alu instid0(VALU_DEP_1) | instskip(SKIP_1) | instid1(VALU_DEP_2)
	v_subrev_nc_u32_e32 v1, 28, v0
	v_sub_nc_u32_e32 v0, 29, v0
	v_lshlrev_b64 v[35:36], v1, v[19:20]
; %bb.357:                              ;   in Loop: Header=BB450_13 Depth=1
	s_or_b32 exec_lo, exec_lo, s25
	s_delay_alu instid0(VALU_DEP_1) | instskip(SKIP_2) | instid1(VALU_DEP_3)
	v_lshlrev_b32_e32 v1, 20, v35
	v_lshlrev_b32_e32 v2, 24, v19
	v_lshl_add_u32 v0, v0, 23, 0x3c000000
	v_and_b32_e32 v1, 0x700000, v1
	s_delay_alu instid0(VALU_DEP_3) | instskip(NEXT) | instid1(VALU_DEP_1)
	v_and_b32_e32 v2, 0x80000000, v2
	v_or3_b32 v0, v1, v2, v0
.LBB450_358:                            ;   in Loop: Header=BB450_13 Depth=1
	s_or_b32 exec_lo, exec_lo, s24
.LBB450_359:                            ;   in Loop: Header=BB450_13 Depth=1
	s_delay_alu instid0(SALU_CYCLE_1)
	s_or_b32 exec_lo, exec_lo, s23
.LBB450_360:                            ;   in Loop: Header=BB450_13 Depth=1
	s_delay_alu instid0(SALU_CYCLE_1) | instskip(NEXT) | instid1(VALU_DEP_1)
	s_or_b32 exec_lo, exec_lo, s22
	v_mul_f32_e32 v0, v121, v0
	s_delay_alu instid0(VALU_DEP_1) | instskip(NEXT) | instid1(VALU_DEP_1)
	v_and_b32_e32 v1, 0x7f800000, v0
	v_cmp_ne_u32_e64 s2, 0x7f800000, v1
                                        ; implicit-def: $vgpr1
                                        ; kill: killed $vgpr1
	s_delay_alu instid0(VALU_DEP_1) | instskip(NEXT) | instid1(SALU_CYCLE_1)
	s_and_saveexec_b32 s22, s2
	s_xor_b32 s2, exec_lo, s22
	s_cbranch_execz .LBB450_362
; %bb.361:                              ;   in Loop: Header=BB450_13 Depth=1
	v_bfe_u32 v1, v0, 16, 1
	s_delay_alu instid0(VALU_DEP_1)
	v_add3_u32 v0, v0, v1, 0x7fff
	scratch_store_b32 off, v0, s32 offset:456 ; 4-byte Folded Spill
                                        ; implicit-def: $vgpr0
.LBB450_362:                            ;   in Loop: Header=BB450_13 Depth=1
	s_and_not1_saveexec_b32 s22, s2
	s_cbranch_execz .LBB450_364
; %bb.363:                              ;   in Loop: Header=BB450_13 Depth=1
	v_and_b32_e32 v1, 0xffff, v0
	v_or_b32_e32 v2, 0x10000, v0
	s_delay_alu instid0(VALU_DEP_2) | instskip(NEXT) | instid1(VALU_DEP_1)
	v_cmp_eq_u32_e64 s2, 0, v1
	v_cndmask_b32_e64 v0, v2, v0, s2
	scratch_store_b32 off, v0, s32 offset:456 ; 4-byte Folded Spill
.LBB450_364:                            ;   in Loop: Header=BB450_13 Depth=1
	s_or_b32 exec_lo, exec_lo, s22
	v_lshrrev_b16 v1, 8, v19
	v_mov_b32_e32 v0, 0
	s_mov_b32 s22, exec_lo
	s_delay_alu instid0(VALU_DEP_2)
	v_cmpx_ne_u16_e32 0, v1
	s_cbranch_execz .LBB450_372
; %bb.365:                              ;   in Loop: Header=BB450_13 Depth=1
	v_bfrev_b32_e32 v0, 1
	s_mov_b32 s23, exec_lo
	v_cmpx_ne_u16_e32 0x80, v1
	s_cbranch_execz .LBB450_371
; %bb.366:                              ;   in Loop: Header=BB450_13 Depth=1
	v_and_b32_e32 v2, 0xffff, v1
	v_mov_b32_e32 v0, 0x7f800001
	s_mov_b32 s24, exec_lo
	s_delay_alu instid0(VALU_DEP_2) | instskip(NEXT) | instid1(VALU_DEP_1)
	v_and_b32_e32 v1, 0x7f, v2
	v_cmpx_ne_u32_e32 0x7f, v1
	s_cbranch_execz .LBB450_370
; %bb.367:                              ;   in Loop: Header=BB450_13 Depth=1
	v_dual_mov_b32 v36, v20 :: v_dual_and_b32 v35, 7, v2
	v_lshrrev_b32_e32 v0, 3, v1
	s_mov_b32 s25, exec_lo
	v_cmpx_gt_u32_e32 8, v1
; %bb.368:                              ;   in Loop: Header=BB450_13 Depth=1
	s_delay_alu instid0(VALU_DEP_3) | instskip(NEXT) | instid1(VALU_DEP_1)
	v_clz_i32_u32_e32 v0, v35
	v_min_u32_e32 v0, 32, v0
	s_delay_alu instid0(VALU_DEP_1) | instskip(SKIP_1) | instid1(VALU_DEP_2)
	v_subrev_nc_u32_e32 v1, 28, v0
	v_sub_nc_u32_e32 v0, 29, v0
	v_lshlrev_b64 v[1:2], v1, v[35:36]
	s_delay_alu instid0(VALU_DEP_1)
	v_and_b32_e32 v35, 7, v1
; %bb.369:                              ;   in Loop: Header=BB450_13 Depth=1
	s_or_b32 exec_lo, exec_lo, s25
	v_lshlrev_b32_e32 v1, 16, v19
	s_delay_alu instid0(VALU_DEP_2) | instskip(SKIP_1) | instid1(VALU_DEP_3)
	v_lshlrev_b32_e32 v2, 20, v35
	v_lshl_add_u32 v0, v0, 23, 0x3c000000
	v_and_b32_e32 v1, 0x80000000, v1
	s_delay_alu instid0(VALU_DEP_1)
	v_or3_b32 v0, v2, v1, v0
.LBB450_370:                            ;   in Loop: Header=BB450_13 Depth=1
	s_or_b32 exec_lo, exec_lo, s24
.LBB450_371:                            ;   in Loop: Header=BB450_13 Depth=1
	s_delay_alu instid0(SALU_CYCLE_1)
	s_or_b32 exec_lo, exec_lo, s23
.LBB450_372:                            ;   in Loop: Header=BB450_13 Depth=1
	s_delay_alu instid0(SALU_CYCLE_1) | instskip(NEXT) | instid1(VALU_DEP_1)
	s_or_b32 exec_lo, exec_lo, s22
	v_mul_f32_e32 v0, v121, v0
	s_delay_alu instid0(VALU_DEP_1) | instskip(NEXT) | instid1(VALU_DEP_1)
	v_and_b32_e32 v1, 0x7f800000, v0
	v_cmp_ne_u32_e64 s2, 0x7f800000, v1
                                        ; implicit-def: $vgpr1
                                        ; kill: killed $vgpr1
	s_delay_alu instid0(VALU_DEP_1) | instskip(NEXT) | instid1(SALU_CYCLE_1)
	s_and_saveexec_b32 s22, s2
	s_xor_b32 s2, exec_lo, s22
	s_cbranch_execz .LBB450_374
; %bb.373:                              ;   in Loop: Header=BB450_13 Depth=1
	v_bfe_u32 v1, v0, 16, 1
	s_delay_alu instid0(VALU_DEP_1)
	v_add3_u32 v0, v0, v1, 0x7fff
	scratch_store_b32 off, v0, s32 offset:460 ; 4-byte Folded Spill
                                        ; implicit-def: $vgpr0
.LBB450_374:                            ;   in Loop: Header=BB450_13 Depth=1
	s_and_not1_saveexec_b32 s22, s2
	s_cbranch_execz .LBB450_376
; %bb.375:                              ;   in Loop: Header=BB450_13 Depth=1
	v_and_b32_e32 v1, 0xffff, v0
	v_or_b32_e32 v2, 0x10000, v0
	s_delay_alu instid0(VALU_DEP_2) | instskip(NEXT) | instid1(VALU_DEP_1)
	v_cmp_eq_u32_e64 s2, 0, v1
	v_cndmask_b32_e64 v0, v2, v0, s2
	scratch_store_b32 off, v0, s32 offset:460 ; 4-byte Folded Spill
.LBB450_376:                            ;   in Loop: Header=BB450_13 Depth=1
	s_or_b32 exec_lo, exec_lo, s22
	v_lshrrev_b32_e32 v0, 16, v34
	s_mov_b32 s22, exec_lo
	s_delay_alu instid0(VALU_DEP_1) | instskip(NEXT) | instid1(VALU_DEP_1)
	v_dual_mov_b32 v1, 0 :: v_dual_and_b32 v2, 0xff, v0
	v_cmpx_ne_u16_e32 0, v2
	s_cbranch_execz .LBB450_384
; %bb.377:                              ;   in Loop: Header=BB450_13 Depth=1
	v_bfrev_b32_e32 v1, 1
	s_mov_b32 s23, exec_lo
	v_cmpx_ne_u16_e32 0x80, v2
	s_cbranch_execz .LBB450_383
; %bb.378:                              ;   in Loop: Header=BB450_13 Depth=1
	v_bfe_u32 v2, v34, 16, 7
	v_mov_b32_e32 v1, 0x7f800001
	s_mov_b32 s24, exec_lo
	s_delay_alu instid0(VALU_DEP_2)
	v_cmpx_ne_u32_e32 0x7f, v2
	s_cbranch_execz .LBB450_382
; %bb.379:                              ;   in Loop: Header=BB450_13 Depth=1
	v_and_b32_e32 v19, 7, v0
	v_lshrrev_b32_e32 v1, 3, v2
	v_mov_b32_e32 v36, v20
	s_mov_b32 s25, exec_lo
	s_delay_alu instid0(VALU_DEP_3)
	v_mov_b32_e32 v35, v19
	v_cmpx_gt_u32_e32 8, v2
; %bb.380:                              ;   in Loop: Header=BB450_13 Depth=1
	v_clz_i32_u32_e32 v1, v19
	s_delay_alu instid0(VALU_DEP_1) | instskip(NEXT) | instid1(VALU_DEP_1)
	v_min_u32_e32 v1, 32, v1
	v_subrev_nc_u32_e32 v2, 28, v1
	v_sub_nc_u32_e32 v1, 29, v1
	s_delay_alu instid0(VALU_DEP_2) | instskip(NEXT) | instid1(VALU_DEP_1)
	v_lshlrev_b64 v[2:3], v2, v[19:20]
	v_and_b32_e32 v35, 7, v2
; %bb.381:                              ;   in Loop: Header=BB450_13 Depth=1
	s_or_b32 exec_lo, exec_lo, s25
	v_lshlrev_b32_e32 v0, 24, v0
	s_delay_alu instid0(VALU_DEP_2) | instskip(SKIP_1) | instid1(VALU_DEP_3)
	v_lshlrev_b32_e32 v2, 20, v35
	v_lshl_add_u32 v1, v1, 23, 0x3c000000
	v_and_b32_e32 v0, 0x80000000, v0
	s_delay_alu instid0(VALU_DEP_1)
	v_or3_b32 v1, v2, v0, v1
.LBB450_382:                            ;   in Loop: Header=BB450_13 Depth=1
	s_or_b32 exec_lo, exec_lo, s24
.LBB450_383:                            ;   in Loop: Header=BB450_13 Depth=1
	s_delay_alu instid0(SALU_CYCLE_1)
	s_or_b32 exec_lo, exec_lo, s23
.LBB450_384:                            ;   in Loop: Header=BB450_13 Depth=1
	s_delay_alu instid0(SALU_CYCLE_1) | instskip(NEXT) | instid1(VALU_DEP_1)
	s_or_b32 exec_lo, exec_lo, s22
	v_mul_f32_e32 v0, v121, v1
	s_delay_alu instid0(VALU_DEP_1) | instskip(NEXT) | instid1(VALU_DEP_1)
	v_and_b32_e32 v1, 0x7f800000, v0
	v_cmp_ne_u32_e64 s2, 0x7f800000, v1
                                        ; implicit-def: $vgpr1
                                        ; kill: killed $vgpr1
	s_delay_alu instid0(VALU_DEP_1) | instskip(NEXT) | instid1(SALU_CYCLE_1)
	s_and_saveexec_b32 s22, s2
	s_xor_b32 s2, exec_lo, s22
	s_cbranch_execz .LBB450_386
; %bb.385:                              ;   in Loop: Header=BB450_13 Depth=1
	v_bfe_u32 v1, v0, 16, 1
	s_delay_alu instid0(VALU_DEP_1)
	v_add3_u32 v0, v0, v1, 0x7fff
	scratch_store_b32 off, v0, s32 offset:464 ; 4-byte Folded Spill
                                        ; implicit-def: $vgpr0
.LBB450_386:                            ;   in Loop: Header=BB450_13 Depth=1
	s_and_not1_saveexec_b32 s22, s2
	s_cbranch_execz .LBB450_388
; %bb.387:                              ;   in Loop: Header=BB450_13 Depth=1
	v_and_b32_e32 v1, 0xffff, v0
	v_or_b32_e32 v2, 0x10000, v0
	s_delay_alu instid0(VALU_DEP_2) | instskip(NEXT) | instid1(VALU_DEP_1)
	v_cmp_eq_u32_e64 s2, 0, v1
	v_cndmask_b32_e64 v0, v2, v0, s2
	scratch_store_b32 off, v0, s32 offset:464 ; 4-byte Folded Spill
.LBB450_388:                            ;   in Loop: Header=BB450_13 Depth=1
	s_or_b32 exec_lo, exec_lo, s22
	v_mov_b32_e32 v1, 0
	s_mov_b32 s22, exec_lo
	v_cmpx_lt_u64_e64 s[8:9], v[33:34]
	s_cbranch_execz .LBB450_396
; %bb.389:                              ;   in Loop: Header=BB450_13 Depth=1
	v_lshrrev_b32_e32 v0, 24, v34
	v_bfrev_b32_e32 v1, 1
	s_mov_b32 s23, exec_lo
	s_delay_alu instid0(VALU_DEP_2)
	v_cmpx_ne_u32_e32 0x80, v0
	s_cbranch_execz .LBB450_395
; %bb.390:                              ;   in Loop: Header=BB450_13 Depth=1
	v_bfe_u32 v2, v34, 24, 7
	v_mov_b32_e32 v1, 0x7f800001
	s_mov_b32 s24, exec_lo
	s_delay_alu instid0(VALU_DEP_2)
	v_cmpx_ne_u32_e32 0x7f, v2
	s_cbranch_execz .LBB450_394
; %bb.391:                              ;   in Loop: Header=BB450_13 Depth=1
	v_and_b32_e32 v19, 7, v0
	v_lshrrev_b32_e32 v1, 3, v2
	v_mov_b32_e32 v34, v20
	s_mov_b32 s25, exec_lo
	s_delay_alu instid0(VALU_DEP_3)
	v_mov_b32_e32 v33, v19
	v_cmpx_gt_u32_e32 8, v2
; %bb.392:                              ;   in Loop: Header=BB450_13 Depth=1
	v_clz_i32_u32_e32 v1, v19
	s_delay_alu instid0(VALU_DEP_1) | instskip(NEXT) | instid1(VALU_DEP_1)
	v_min_u32_e32 v1, 32, v1
	v_subrev_nc_u32_e32 v2, 28, v1
	v_sub_nc_u32_e32 v1, 29, v1
	s_delay_alu instid0(VALU_DEP_2) | instskip(NEXT) | instid1(VALU_DEP_1)
	v_lshlrev_b64 v[2:3], v2, v[19:20]
	v_and_b32_e32 v33, 7, v2
; %bb.393:                              ;   in Loop: Header=BB450_13 Depth=1
	s_or_b32 exec_lo, exec_lo, s25
	v_lshlrev_b32_e32 v0, 24, v0
	s_delay_alu instid0(VALU_DEP_2) | instskip(SKIP_1) | instid1(VALU_DEP_3)
	v_lshlrev_b32_e32 v2, 20, v33
	v_lshl_add_u32 v1, v1, 23, 0x3c000000
	v_and_b32_e32 v0, 0x80000000, v0
	s_delay_alu instid0(VALU_DEP_1)
	v_or3_b32 v1, v2, v0, v1
.LBB450_394:                            ;   in Loop: Header=BB450_13 Depth=1
	s_or_b32 exec_lo, exec_lo, s24
.LBB450_395:                            ;   in Loop: Header=BB450_13 Depth=1
	s_delay_alu instid0(SALU_CYCLE_1)
	s_or_b32 exec_lo, exec_lo, s23
.LBB450_396:                            ;   in Loop: Header=BB450_13 Depth=1
	s_delay_alu instid0(SALU_CYCLE_1) | instskip(NEXT) | instid1(VALU_DEP_1)
	s_or_b32 exec_lo, exec_lo, s22
	v_mul_f32_e32 v0, v121, v1
	s_delay_alu instid0(VALU_DEP_1) | instskip(NEXT) | instid1(VALU_DEP_1)
	v_and_b32_e32 v1, 0x7f800000, v0
	v_cmp_ne_u32_e64 s2, 0x7f800000, v1
                                        ; implicit-def: $vgpr1
                                        ; kill: killed $vgpr1
	s_delay_alu instid0(VALU_DEP_1) | instskip(NEXT) | instid1(SALU_CYCLE_1)
	s_and_saveexec_b32 s22, s2
	s_xor_b32 s2, exec_lo, s22
	s_cbranch_execz .LBB450_398
; %bb.397:                              ;   in Loop: Header=BB450_13 Depth=1
	v_bfe_u32 v1, v0, 16, 1
	s_delay_alu instid0(VALU_DEP_1)
	v_add3_u32 v0, v0, v1, 0x7fff
	scratch_store_b32 off, v0, s32 offset:468 ; 4-byte Folded Spill
                                        ; implicit-def: $vgpr0
.LBB450_398:                            ;   in Loop: Header=BB450_13 Depth=1
	s_and_not1_saveexec_b32 s22, s2
	s_cbranch_execz .LBB450_400
; %bb.399:                              ;   in Loop: Header=BB450_13 Depth=1
	v_and_b32_e32 v1, 0xffff, v0
	v_or_b32_e32 v2, 0x10000, v0
	s_delay_alu instid0(VALU_DEP_2) | instskip(NEXT) | instid1(VALU_DEP_1)
	v_cmp_eq_u32_e64 s2, 0, v1
	v_cndmask_b32_e64 v0, v2, v0, s2
	scratch_store_b32 off, v0, s32 offset:468 ; 4-byte Folded Spill
.LBB450_400:                            ;   in Loop: Header=BB450_13 Depth=1
	s_or_b32 exec_lo, exec_lo, s22
	flat_load_b64 v[33:34], v[31:32] offset:1024
	s_mov_b32 s22, exec_lo
	s_waitcnt vmcnt(0) lgkmcnt(0)
	v_dual_mov_b32 v0, 0 :: v_dual_and_b32 v1, 0xff, v33
	s_delay_alu instid0(VALU_DEP_1)
	v_cmpx_ne_u16_e32 0, v1
	s_cbranch_execz .LBB450_408
; %bb.401:                              ;   in Loop: Header=BB450_13 Depth=1
	v_bfrev_b32_e32 v0, 1
	s_mov_b32 s23, exec_lo
	v_cmpx_ne_u16_e32 0x80, v1
	s_cbranch_execz .LBB450_407
; %bb.402:                              ;   in Loop: Header=BB450_13 Depth=1
	v_and_b32_e32 v1, 0x7f, v33
	v_mov_b32_e32 v0, 0x7f800001
	s_mov_b32 s24, exec_lo
	s_delay_alu instid0(VALU_DEP_2)
	v_cmpx_ne_u32_e32 0x7f, v1
	s_cbranch_execz .LBB450_406
; %bb.403:                              ;   in Loop: Header=BB450_13 Depth=1
	v_lshrrev_b32_e32 v0, 3, v1
	v_dual_mov_b32 v36, v34 :: v_dual_mov_b32 v35, v33
	s_mov_b32 s25, exec_lo
	v_cmpx_gt_u32_e32 8, v1
; %bb.404:                              ;   in Loop: Header=BB450_13 Depth=1
	v_and_b32_e32 v0, 7, v33
	s_delay_alu instid0(VALU_DEP_1) | instskip(NEXT) | instid1(VALU_DEP_1)
	v_clz_i32_u32_e32 v0, v0
	v_min_u32_e32 v0, 32, v0
	s_delay_alu instid0(VALU_DEP_1) | instskip(SKIP_1) | instid1(VALU_DEP_2)
	v_subrev_nc_u32_e32 v1, 28, v0
	v_sub_nc_u32_e32 v0, 29, v0
	v_lshlrev_b64 v[35:36], v1, v[33:34]
; %bb.405:                              ;   in Loop: Header=BB450_13 Depth=1
	s_or_b32 exec_lo, exec_lo, s25
	s_delay_alu instid0(VALU_DEP_1) | instskip(SKIP_2) | instid1(VALU_DEP_3)
	v_lshlrev_b32_e32 v1, 20, v35
	v_lshlrev_b32_e32 v2, 24, v33
	v_lshl_add_u32 v0, v0, 23, 0x3c000000
	v_and_b32_e32 v1, 0x700000, v1
	s_delay_alu instid0(VALU_DEP_3) | instskip(NEXT) | instid1(VALU_DEP_1)
	v_and_b32_e32 v2, 0x80000000, v2
	v_or3_b32 v0, v1, v2, v0
.LBB450_406:                            ;   in Loop: Header=BB450_13 Depth=1
	s_or_b32 exec_lo, exec_lo, s24
.LBB450_407:                            ;   in Loop: Header=BB450_13 Depth=1
	s_delay_alu instid0(SALU_CYCLE_1)
	s_or_b32 exec_lo, exec_lo, s23
.LBB450_408:                            ;   in Loop: Header=BB450_13 Depth=1
	s_delay_alu instid0(SALU_CYCLE_1) | instskip(NEXT) | instid1(VALU_DEP_1)
	s_or_b32 exec_lo, exec_lo, s22
	v_mul_f32_e32 v0, v121, v0
	s_delay_alu instid0(VALU_DEP_1) | instskip(NEXT) | instid1(VALU_DEP_1)
	v_and_b32_e32 v1, 0x7f800000, v0
	v_cmp_ne_u32_e64 s2, 0x7f800000, v1
                                        ; implicit-def: $vgpr1
                                        ; kill: killed $vgpr1
	s_delay_alu instid0(VALU_DEP_1) | instskip(NEXT) | instid1(SALU_CYCLE_1)
	s_and_saveexec_b32 s22, s2
	s_xor_b32 s2, exec_lo, s22
	s_cbranch_execz .LBB450_410
; %bb.409:                              ;   in Loop: Header=BB450_13 Depth=1
	v_bfe_u32 v1, v0, 16, 1
	s_delay_alu instid0(VALU_DEP_1)
	v_add3_u32 v0, v0, v1, 0x7fff
	scratch_store_b32 off, v0, s32 offset:472 ; 4-byte Folded Spill
                                        ; implicit-def: $vgpr0
.LBB450_410:                            ;   in Loop: Header=BB450_13 Depth=1
	s_and_not1_saveexec_b32 s22, s2
	s_cbranch_execz .LBB450_412
; %bb.411:                              ;   in Loop: Header=BB450_13 Depth=1
	v_and_b32_e32 v1, 0xffff, v0
	v_or_b32_e32 v2, 0x10000, v0
	s_delay_alu instid0(VALU_DEP_2) | instskip(NEXT) | instid1(VALU_DEP_1)
	v_cmp_eq_u32_e64 s2, 0, v1
	v_cndmask_b32_e64 v0, v2, v0, s2
	scratch_store_b32 off, v0, s32 offset:472 ; 4-byte Folded Spill
.LBB450_412:                            ;   in Loop: Header=BB450_13 Depth=1
	s_or_b32 exec_lo, exec_lo, s22
	v_lshrrev_b16 v1, 8, v33
	v_mov_b32_e32 v0, 0
	s_mov_b32 s22, exec_lo
	s_delay_alu instid0(VALU_DEP_2)
	v_cmpx_ne_u16_e32 0, v1
	s_cbranch_execz .LBB450_420
; %bb.413:                              ;   in Loop: Header=BB450_13 Depth=1
	v_bfrev_b32_e32 v0, 1
	s_mov_b32 s23, exec_lo
	v_cmpx_ne_u16_e32 0x80, v1
	s_cbranch_execz .LBB450_419
; %bb.414:                              ;   in Loop: Header=BB450_13 Depth=1
	v_and_b32_e32 v2, 0xffff, v1
	v_mov_b32_e32 v0, 0x7f800001
	s_mov_b32 s24, exec_lo
	s_delay_alu instid0(VALU_DEP_2) | instskip(NEXT) | instid1(VALU_DEP_1)
	v_and_b32_e32 v1, 0x7f, v2
	v_cmpx_ne_u32_e32 0x7f, v1
	s_cbranch_execz .LBB450_418
; %bb.415:                              ;   in Loop: Header=BB450_13 Depth=1
	v_and_b32_e32 v19, 7, v2
	v_lshrrev_b32_e32 v0, 3, v1
	v_mov_b32_e32 v36, v20
	s_mov_b32 s25, exec_lo
	s_delay_alu instid0(VALU_DEP_3)
	v_mov_b32_e32 v35, v19
	v_cmpx_gt_u32_e32 8, v1
; %bb.416:                              ;   in Loop: Header=BB450_13 Depth=1
	v_clz_i32_u32_e32 v0, v19
	s_delay_alu instid0(VALU_DEP_1) | instskip(NEXT) | instid1(VALU_DEP_1)
	v_min_u32_e32 v0, 32, v0
	v_subrev_nc_u32_e32 v1, 28, v0
	v_sub_nc_u32_e32 v0, 29, v0
	s_delay_alu instid0(VALU_DEP_2) | instskip(NEXT) | instid1(VALU_DEP_1)
	v_lshlrev_b64 v[1:2], v1, v[19:20]
	v_and_b32_e32 v35, 7, v1
; %bb.417:                              ;   in Loop: Header=BB450_13 Depth=1
	s_or_b32 exec_lo, exec_lo, s25
	v_lshlrev_b32_e32 v1, 16, v33
	s_delay_alu instid0(VALU_DEP_2) | instskip(SKIP_1) | instid1(VALU_DEP_3)
	v_lshlrev_b32_e32 v2, 20, v35
	v_lshl_add_u32 v0, v0, 23, 0x3c000000
	v_and_b32_e32 v1, 0x80000000, v1
	s_delay_alu instid0(VALU_DEP_1)
	v_or3_b32 v0, v2, v1, v0
.LBB450_418:                            ;   in Loop: Header=BB450_13 Depth=1
	s_or_b32 exec_lo, exec_lo, s24
.LBB450_419:                            ;   in Loop: Header=BB450_13 Depth=1
	s_delay_alu instid0(SALU_CYCLE_1)
	s_or_b32 exec_lo, exec_lo, s23
.LBB450_420:                            ;   in Loop: Header=BB450_13 Depth=1
	s_delay_alu instid0(SALU_CYCLE_1) | instskip(NEXT) | instid1(VALU_DEP_1)
	s_or_b32 exec_lo, exec_lo, s22
	v_mul_f32_e32 v0, v121, v0
	s_delay_alu instid0(VALU_DEP_1) | instskip(NEXT) | instid1(VALU_DEP_1)
	v_and_b32_e32 v1, 0x7f800000, v0
	v_cmp_ne_u32_e64 s2, 0x7f800000, v1
                                        ; implicit-def: $vgpr1
                                        ; kill: killed $vgpr1
	s_delay_alu instid0(VALU_DEP_1) | instskip(NEXT) | instid1(SALU_CYCLE_1)
	s_and_saveexec_b32 s22, s2
	s_xor_b32 s2, exec_lo, s22
	s_cbranch_execz .LBB450_422
; %bb.421:                              ;   in Loop: Header=BB450_13 Depth=1
	v_bfe_u32 v1, v0, 16, 1
	s_delay_alu instid0(VALU_DEP_1)
	v_add3_u32 v0, v0, v1, 0x7fff
	scratch_store_b32 off, v0, s32 offset:476 ; 4-byte Folded Spill
                                        ; implicit-def: $vgpr0
.LBB450_422:                            ;   in Loop: Header=BB450_13 Depth=1
	s_and_not1_saveexec_b32 s22, s2
	s_cbranch_execz .LBB450_424
; %bb.423:                              ;   in Loop: Header=BB450_13 Depth=1
	v_and_b32_e32 v1, 0xffff, v0
	v_or_b32_e32 v2, 0x10000, v0
	s_delay_alu instid0(VALU_DEP_2) | instskip(NEXT) | instid1(VALU_DEP_1)
	v_cmp_eq_u32_e64 s2, 0, v1
	v_cndmask_b32_e64 v0, v2, v0, s2
	scratch_store_b32 off, v0, s32 offset:476 ; 4-byte Folded Spill
.LBB450_424:                            ;   in Loop: Header=BB450_13 Depth=1
	s_or_b32 exec_lo, exec_lo, s22
	v_lshrrev_b32_e32 v0, 16, v33
	s_mov_b32 s22, exec_lo
	s_delay_alu instid0(VALU_DEP_1) | instskip(NEXT) | instid1(VALU_DEP_1)
	v_dual_mov_b32 v1, 0 :: v_dual_and_b32 v2, 0xff, v0
	v_cmpx_ne_u16_e32 0, v2
	s_cbranch_execz .LBB450_432
; %bb.425:                              ;   in Loop: Header=BB450_13 Depth=1
	v_bfrev_b32_e32 v1, 1
	s_mov_b32 s23, exec_lo
	v_cmpx_ne_u16_e32 0x80, v2
	s_cbranch_execz .LBB450_431
; %bb.426:                              ;   in Loop: Header=BB450_13 Depth=1
	v_bfe_u32 v2, v33, 16, 7
	v_mov_b32_e32 v1, 0x7f800001
	s_mov_b32 s24, exec_lo
	s_delay_alu instid0(VALU_DEP_2)
	v_cmpx_ne_u32_e32 0x7f, v2
	s_cbranch_execz .LBB450_430
; %bb.427:                              ;   in Loop: Header=BB450_13 Depth=1
	v_and_b32_e32 v19, 7, v0
	v_lshrrev_b32_e32 v1, 3, v2
	v_mov_b32_e32 v36, v20
	s_mov_b32 s25, exec_lo
	s_delay_alu instid0(VALU_DEP_3)
	v_mov_b32_e32 v35, v19
	v_cmpx_gt_u32_e32 8, v2
; %bb.428:                              ;   in Loop: Header=BB450_13 Depth=1
	v_clz_i32_u32_e32 v1, v19
	s_delay_alu instid0(VALU_DEP_1) | instskip(NEXT) | instid1(VALU_DEP_1)
	v_min_u32_e32 v1, 32, v1
	v_subrev_nc_u32_e32 v2, 28, v1
	v_sub_nc_u32_e32 v1, 29, v1
	s_delay_alu instid0(VALU_DEP_2) | instskip(NEXT) | instid1(VALU_DEP_1)
	v_lshlrev_b64 v[2:3], v2, v[19:20]
	v_and_b32_e32 v35, 7, v2
; %bb.429:                              ;   in Loop: Header=BB450_13 Depth=1
	s_or_b32 exec_lo, exec_lo, s25
	v_lshlrev_b32_e32 v0, 24, v0
	s_delay_alu instid0(VALU_DEP_2) | instskip(SKIP_1) | instid1(VALU_DEP_3)
	v_lshlrev_b32_e32 v2, 20, v35
	v_lshl_add_u32 v1, v1, 23, 0x3c000000
	v_and_b32_e32 v0, 0x80000000, v0
	s_delay_alu instid0(VALU_DEP_1)
	v_or3_b32 v1, v2, v0, v1
.LBB450_430:                            ;   in Loop: Header=BB450_13 Depth=1
	s_or_b32 exec_lo, exec_lo, s24
.LBB450_431:                            ;   in Loop: Header=BB450_13 Depth=1
	s_delay_alu instid0(SALU_CYCLE_1)
	s_or_b32 exec_lo, exec_lo, s23
.LBB450_432:                            ;   in Loop: Header=BB450_13 Depth=1
	s_delay_alu instid0(SALU_CYCLE_1) | instskip(NEXT) | instid1(VALU_DEP_1)
	s_or_b32 exec_lo, exec_lo, s22
	v_mul_f32_e32 v0, v121, v1
	s_delay_alu instid0(VALU_DEP_1) | instskip(NEXT) | instid1(VALU_DEP_1)
	v_and_b32_e32 v1, 0x7f800000, v0
	v_cmp_ne_u32_e64 s2, 0x7f800000, v1
                                        ; implicit-def: $vgpr1
                                        ; kill: killed $vgpr1
	s_delay_alu instid0(VALU_DEP_1) | instskip(NEXT) | instid1(SALU_CYCLE_1)
	s_and_saveexec_b32 s22, s2
	s_xor_b32 s2, exec_lo, s22
	s_cbranch_execz .LBB450_434
; %bb.433:                              ;   in Loop: Header=BB450_13 Depth=1
	v_bfe_u32 v1, v0, 16, 1
	s_delay_alu instid0(VALU_DEP_1)
	v_add3_u32 v0, v0, v1, 0x7fff
	scratch_store_b32 off, v0, s32 offset:480 ; 4-byte Folded Spill
                                        ; implicit-def: $vgpr0
.LBB450_434:                            ;   in Loop: Header=BB450_13 Depth=1
	s_and_not1_saveexec_b32 s22, s2
	s_cbranch_execz .LBB450_436
; %bb.435:                              ;   in Loop: Header=BB450_13 Depth=1
	v_and_b32_e32 v1, 0xffff, v0
	v_or_b32_e32 v2, 0x10000, v0
	s_delay_alu instid0(VALU_DEP_2) | instskip(NEXT) | instid1(VALU_DEP_1)
	v_cmp_eq_u32_e64 s2, 0, v1
	v_cndmask_b32_e64 v0, v2, v0, s2
	scratch_store_b32 off, v0, s32 offset:480 ; 4-byte Folded Spill
.LBB450_436:                            ;   in Loop: Header=BB450_13 Depth=1
	s_or_b32 exec_lo, exec_lo, s22
	v_mov_b32_e32 v1, 0
	s_mov_b32 s22, exec_lo
	v_cmpx_lt_u32_e32 0xffffff, v33
	s_cbranch_execz .LBB450_444
; %bb.437:                              ;   in Loop: Header=BB450_13 Depth=1
	v_lshrrev_b32_e32 v0, 24, v33
	v_bfrev_b32_e32 v1, 1
	s_mov_b32 s23, exec_lo
	s_delay_alu instid0(VALU_DEP_2)
	v_cmpx_ne_u32_e32 0x80, v0
	s_cbranch_execz .LBB450_443
; %bb.438:                              ;   in Loop: Header=BB450_13 Depth=1
	v_bfe_u32 v2, v33, 24, 7
	v_mov_b32_e32 v1, 0x7f800001
	s_mov_b32 s24, exec_lo
	s_delay_alu instid0(VALU_DEP_2)
	v_cmpx_ne_u32_e32 0x7f, v2
	s_cbranch_execz .LBB450_442
; %bb.439:                              ;   in Loop: Header=BB450_13 Depth=1
	v_and_b32_e32 v19, 7, v0
	v_lshrrev_b32_e32 v1, 3, v2
	v_mov_b32_e32 v36, v20
	s_mov_b32 s25, exec_lo
	s_delay_alu instid0(VALU_DEP_3)
	v_mov_b32_e32 v35, v19
	v_cmpx_gt_u32_e32 8, v2
; %bb.440:                              ;   in Loop: Header=BB450_13 Depth=1
	v_clz_i32_u32_e32 v1, v19
	s_delay_alu instid0(VALU_DEP_1) | instskip(NEXT) | instid1(VALU_DEP_1)
	v_min_u32_e32 v1, 32, v1
	v_subrev_nc_u32_e32 v2, 28, v1
	v_sub_nc_u32_e32 v1, 29, v1
	s_delay_alu instid0(VALU_DEP_2) | instskip(NEXT) | instid1(VALU_DEP_1)
	v_lshlrev_b64 v[2:3], v2, v[19:20]
	v_and_b32_e32 v35, 7, v2
; %bb.441:                              ;   in Loop: Header=BB450_13 Depth=1
	s_or_b32 exec_lo, exec_lo, s25
	v_lshlrev_b32_e32 v0, 24, v0
	s_delay_alu instid0(VALU_DEP_2) | instskip(SKIP_1) | instid1(VALU_DEP_3)
	v_lshlrev_b32_e32 v2, 20, v35
	v_lshl_add_u32 v1, v1, 23, 0x3c000000
	v_and_b32_e32 v0, 0x80000000, v0
	s_delay_alu instid0(VALU_DEP_1)
	v_or3_b32 v1, v2, v0, v1
.LBB450_442:                            ;   in Loop: Header=BB450_13 Depth=1
	s_or_b32 exec_lo, exec_lo, s24
.LBB450_443:                            ;   in Loop: Header=BB450_13 Depth=1
	s_delay_alu instid0(SALU_CYCLE_1)
	s_or_b32 exec_lo, exec_lo, s23
.LBB450_444:                            ;   in Loop: Header=BB450_13 Depth=1
	s_delay_alu instid0(SALU_CYCLE_1) | instskip(NEXT) | instid1(VALU_DEP_1)
	s_or_b32 exec_lo, exec_lo, s22
	v_mul_f32_e32 v0, v121, v1
	s_delay_alu instid0(VALU_DEP_1) | instskip(NEXT) | instid1(VALU_DEP_1)
	v_and_b32_e32 v1, 0x7f800000, v0
	v_cmp_ne_u32_e64 s2, 0x7f800000, v1
                                        ; implicit-def: $vgpr1
                                        ; kill: killed $vgpr1
	s_delay_alu instid0(VALU_DEP_1) | instskip(NEXT) | instid1(SALU_CYCLE_1)
	s_and_saveexec_b32 s22, s2
	s_xor_b32 s2, exec_lo, s22
	s_cbranch_execz .LBB450_446
; %bb.445:                              ;   in Loop: Header=BB450_13 Depth=1
	v_bfe_u32 v1, v0, 16, 1
	s_delay_alu instid0(VALU_DEP_1)
	v_add3_u32 v0, v0, v1, 0x7fff
	scratch_store_b32 off, v0, s32 offset:484 ; 4-byte Folded Spill
                                        ; implicit-def: $vgpr0
.LBB450_446:                            ;   in Loop: Header=BB450_13 Depth=1
	s_and_not1_saveexec_b32 s22, s2
	s_cbranch_execz .LBB450_448
; %bb.447:                              ;   in Loop: Header=BB450_13 Depth=1
	v_and_b32_e32 v1, 0xffff, v0
	v_or_b32_e32 v2, 0x10000, v0
	s_delay_alu instid0(VALU_DEP_2) | instskip(NEXT) | instid1(VALU_DEP_1)
	v_cmp_eq_u32_e64 s2, 0, v1
	v_cndmask_b32_e64 v0, v2, v0, s2
	scratch_store_b32 off, v0, s32 offset:484 ; 4-byte Folded Spill
.LBB450_448:                            ;   in Loop: Header=BB450_13 Depth=1
	s_or_b32 exec_lo, exec_lo, s22
	v_dual_mov_b32 v0, 0 :: v_dual_and_b32 v1, 0xff, v34
	v_mov_b32_e32 v19, v34
	s_mov_b32 s22, exec_lo
	s_delay_alu instid0(VALU_DEP_2)
	v_cmpx_ne_u16_e32 0, v1
	s_cbranch_execz .LBB450_456
; %bb.449:                              ;   in Loop: Header=BB450_13 Depth=1
	v_bfrev_b32_e32 v0, 1
	s_mov_b32 s23, exec_lo
	v_cmpx_ne_u16_e32 0x80, v1
	s_cbranch_execz .LBB450_455
; %bb.450:                              ;   in Loop: Header=BB450_13 Depth=1
	v_and_b32_e32 v1, 0x7f, v34
	v_mov_b32_e32 v0, 0x7f800001
	s_mov_b32 s24, exec_lo
	s_delay_alu instid0(VALU_DEP_2)
	v_cmpx_ne_u32_e32 0x7f, v1
	s_cbranch_execz .LBB450_454
; %bb.451:                              ;   in Loop: Header=BB450_13 Depth=1
	v_lshrrev_b32_e32 v0, 3, v1
	v_dual_mov_b32 v36, v20 :: v_dual_mov_b32 v35, v19
	s_mov_b32 s25, exec_lo
	v_cmpx_gt_u32_e32 8, v1
; %bb.452:                              ;   in Loop: Header=BB450_13 Depth=1
	v_and_b32_e32 v0, 7, v34
	s_delay_alu instid0(VALU_DEP_1) | instskip(NEXT) | instid1(VALU_DEP_1)
	v_clz_i32_u32_e32 v0, v0
	v_min_u32_e32 v0, 32, v0
	s_delay_alu instid0(VALU_DEP_1) | instskip(SKIP_1) | instid1(VALU_DEP_2)
	v_subrev_nc_u32_e32 v1, 28, v0
	v_sub_nc_u32_e32 v0, 29, v0
	v_lshlrev_b64 v[35:36], v1, v[19:20]
; %bb.453:                              ;   in Loop: Header=BB450_13 Depth=1
	s_or_b32 exec_lo, exec_lo, s25
	s_delay_alu instid0(VALU_DEP_1) | instskip(SKIP_2) | instid1(VALU_DEP_3)
	v_lshlrev_b32_e32 v1, 20, v35
	v_lshlrev_b32_e32 v2, 24, v19
	v_lshl_add_u32 v0, v0, 23, 0x3c000000
	v_and_b32_e32 v1, 0x700000, v1
	s_delay_alu instid0(VALU_DEP_3) | instskip(NEXT) | instid1(VALU_DEP_1)
	v_and_b32_e32 v2, 0x80000000, v2
	v_or3_b32 v0, v1, v2, v0
.LBB450_454:                            ;   in Loop: Header=BB450_13 Depth=1
	s_or_b32 exec_lo, exec_lo, s24
.LBB450_455:                            ;   in Loop: Header=BB450_13 Depth=1
	s_delay_alu instid0(SALU_CYCLE_1)
	s_or_b32 exec_lo, exec_lo, s23
.LBB450_456:                            ;   in Loop: Header=BB450_13 Depth=1
	s_delay_alu instid0(SALU_CYCLE_1) | instskip(NEXT) | instid1(VALU_DEP_1)
	s_or_b32 exec_lo, exec_lo, s22
	v_mul_f32_e32 v0, v121, v0
	s_delay_alu instid0(VALU_DEP_1) | instskip(NEXT) | instid1(VALU_DEP_1)
	v_and_b32_e32 v1, 0x7f800000, v0
	v_cmp_ne_u32_e64 s2, 0x7f800000, v1
                                        ; implicit-def: $vgpr1
                                        ; kill: killed $vgpr1
	s_delay_alu instid0(VALU_DEP_1) | instskip(NEXT) | instid1(SALU_CYCLE_1)
	s_and_saveexec_b32 s22, s2
	s_xor_b32 s2, exec_lo, s22
	s_cbranch_execz .LBB450_458
; %bb.457:                              ;   in Loop: Header=BB450_13 Depth=1
	v_bfe_u32 v1, v0, 16, 1
	s_delay_alu instid0(VALU_DEP_1)
	v_add3_u32 v0, v0, v1, 0x7fff
	scratch_store_b32 off, v0, s32 offset:488 ; 4-byte Folded Spill
                                        ; implicit-def: $vgpr0
.LBB450_458:                            ;   in Loop: Header=BB450_13 Depth=1
	s_and_not1_saveexec_b32 s22, s2
	s_cbranch_execz .LBB450_460
; %bb.459:                              ;   in Loop: Header=BB450_13 Depth=1
	v_and_b32_e32 v1, 0xffff, v0
	v_or_b32_e32 v2, 0x10000, v0
	s_delay_alu instid0(VALU_DEP_2) | instskip(NEXT) | instid1(VALU_DEP_1)
	v_cmp_eq_u32_e64 s2, 0, v1
	v_cndmask_b32_e64 v0, v2, v0, s2
	scratch_store_b32 off, v0, s32 offset:488 ; 4-byte Folded Spill
.LBB450_460:                            ;   in Loop: Header=BB450_13 Depth=1
	s_or_b32 exec_lo, exec_lo, s22
	v_lshrrev_b16 v1, 8, v19
	v_mov_b32_e32 v0, 0
	s_mov_b32 s22, exec_lo
	s_delay_alu instid0(VALU_DEP_2)
	v_cmpx_ne_u16_e32 0, v1
	s_cbranch_execz .LBB450_468
; %bb.461:                              ;   in Loop: Header=BB450_13 Depth=1
	v_bfrev_b32_e32 v0, 1
	s_mov_b32 s23, exec_lo
	v_cmpx_ne_u16_e32 0x80, v1
	s_cbranch_execz .LBB450_467
; %bb.462:                              ;   in Loop: Header=BB450_13 Depth=1
	v_and_b32_e32 v2, 0xffff, v1
	v_mov_b32_e32 v0, 0x7f800001
	s_mov_b32 s24, exec_lo
	s_delay_alu instid0(VALU_DEP_2) | instskip(NEXT) | instid1(VALU_DEP_1)
	v_and_b32_e32 v1, 0x7f, v2
	v_cmpx_ne_u32_e32 0x7f, v1
	s_cbranch_execz .LBB450_466
; %bb.463:                              ;   in Loop: Header=BB450_13 Depth=1
	v_dual_mov_b32 v36, v20 :: v_dual_and_b32 v35, 7, v2
	v_lshrrev_b32_e32 v0, 3, v1
	s_mov_b32 s25, exec_lo
	v_cmpx_gt_u32_e32 8, v1
; %bb.464:                              ;   in Loop: Header=BB450_13 Depth=1
	s_delay_alu instid0(VALU_DEP_3) | instskip(NEXT) | instid1(VALU_DEP_1)
	v_clz_i32_u32_e32 v0, v35
	v_min_u32_e32 v0, 32, v0
	s_delay_alu instid0(VALU_DEP_1) | instskip(SKIP_1) | instid1(VALU_DEP_2)
	v_subrev_nc_u32_e32 v1, 28, v0
	v_sub_nc_u32_e32 v0, 29, v0
	v_lshlrev_b64 v[1:2], v1, v[35:36]
	s_delay_alu instid0(VALU_DEP_1)
	v_and_b32_e32 v35, 7, v1
; %bb.465:                              ;   in Loop: Header=BB450_13 Depth=1
	s_or_b32 exec_lo, exec_lo, s25
	v_lshlrev_b32_e32 v1, 16, v19
	s_delay_alu instid0(VALU_DEP_2) | instskip(SKIP_1) | instid1(VALU_DEP_3)
	v_lshlrev_b32_e32 v2, 20, v35
	v_lshl_add_u32 v0, v0, 23, 0x3c000000
	v_and_b32_e32 v1, 0x80000000, v1
	s_delay_alu instid0(VALU_DEP_1)
	v_or3_b32 v0, v2, v1, v0
.LBB450_466:                            ;   in Loop: Header=BB450_13 Depth=1
	s_or_b32 exec_lo, exec_lo, s24
.LBB450_467:                            ;   in Loop: Header=BB450_13 Depth=1
	s_delay_alu instid0(SALU_CYCLE_1)
	s_or_b32 exec_lo, exec_lo, s23
.LBB450_468:                            ;   in Loop: Header=BB450_13 Depth=1
	s_delay_alu instid0(SALU_CYCLE_1) | instskip(NEXT) | instid1(VALU_DEP_1)
	s_or_b32 exec_lo, exec_lo, s22
	v_mul_f32_e32 v0, v121, v0
	s_delay_alu instid0(VALU_DEP_1) | instskip(NEXT) | instid1(VALU_DEP_1)
	v_and_b32_e32 v1, 0x7f800000, v0
	v_cmp_ne_u32_e64 s2, 0x7f800000, v1
                                        ; implicit-def: $vgpr1
                                        ; kill: killed $vgpr1
	s_delay_alu instid0(VALU_DEP_1) | instskip(NEXT) | instid1(SALU_CYCLE_1)
	s_and_saveexec_b32 s22, s2
	s_xor_b32 s2, exec_lo, s22
	s_cbranch_execz .LBB450_470
; %bb.469:                              ;   in Loop: Header=BB450_13 Depth=1
	v_bfe_u32 v1, v0, 16, 1
	s_delay_alu instid0(VALU_DEP_1)
	v_add3_u32 v0, v0, v1, 0x7fff
	scratch_store_b32 off, v0, s32 offset:492 ; 4-byte Folded Spill
                                        ; implicit-def: $vgpr0
.LBB450_470:                            ;   in Loop: Header=BB450_13 Depth=1
	s_and_not1_saveexec_b32 s22, s2
	s_cbranch_execz .LBB450_472
; %bb.471:                              ;   in Loop: Header=BB450_13 Depth=1
	v_and_b32_e32 v1, 0xffff, v0
	v_or_b32_e32 v2, 0x10000, v0
	s_delay_alu instid0(VALU_DEP_2) | instskip(NEXT) | instid1(VALU_DEP_1)
	v_cmp_eq_u32_e64 s2, 0, v1
	v_cndmask_b32_e64 v0, v2, v0, s2
	scratch_store_b32 off, v0, s32 offset:492 ; 4-byte Folded Spill
.LBB450_472:                            ;   in Loop: Header=BB450_13 Depth=1
	s_or_b32 exec_lo, exec_lo, s22
	v_lshrrev_b32_e32 v0, 16, v34
	s_mov_b32 s22, exec_lo
	s_delay_alu instid0(VALU_DEP_1) | instskip(NEXT) | instid1(VALU_DEP_1)
	v_dual_mov_b32 v1, 0 :: v_dual_and_b32 v2, 0xff, v0
	v_cmpx_ne_u16_e32 0, v2
	s_cbranch_execz .LBB450_480
; %bb.473:                              ;   in Loop: Header=BB450_13 Depth=1
	v_bfrev_b32_e32 v1, 1
	s_mov_b32 s23, exec_lo
	v_cmpx_ne_u16_e32 0x80, v2
	s_cbranch_execz .LBB450_479
; %bb.474:                              ;   in Loop: Header=BB450_13 Depth=1
	v_bfe_u32 v2, v34, 16, 7
	v_mov_b32_e32 v1, 0x7f800001
	s_mov_b32 s24, exec_lo
	s_delay_alu instid0(VALU_DEP_2)
	v_cmpx_ne_u32_e32 0x7f, v2
	s_cbranch_execz .LBB450_478
; %bb.475:                              ;   in Loop: Header=BB450_13 Depth=1
	v_and_b32_e32 v19, 7, v0
	v_lshrrev_b32_e32 v1, 3, v2
	v_mov_b32_e32 v36, v20
	s_mov_b32 s25, exec_lo
	s_delay_alu instid0(VALU_DEP_3)
	v_mov_b32_e32 v35, v19
	v_cmpx_gt_u32_e32 8, v2
; %bb.476:                              ;   in Loop: Header=BB450_13 Depth=1
	v_clz_i32_u32_e32 v1, v19
	s_delay_alu instid0(VALU_DEP_1) | instskip(NEXT) | instid1(VALU_DEP_1)
	v_min_u32_e32 v1, 32, v1
	v_subrev_nc_u32_e32 v2, 28, v1
	v_sub_nc_u32_e32 v1, 29, v1
	s_delay_alu instid0(VALU_DEP_2) | instskip(NEXT) | instid1(VALU_DEP_1)
	v_lshlrev_b64 v[2:3], v2, v[19:20]
	v_and_b32_e32 v35, 7, v2
; %bb.477:                              ;   in Loop: Header=BB450_13 Depth=1
	s_or_b32 exec_lo, exec_lo, s25
	v_lshlrev_b32_e32 v0, 24, v0
	s_delay_alu instid0(VALU_DEP_2) | instskip(SKIP_1) | instid1(VALU_DEP_3)
	v_lshlrev_b32_e32 v2, 20, v35
	v_lshl_add_u32 v1, v1, 23, 0x3c000000
	v_and_b32_e32 v0, 0x80000000, v0
	s_delay_alu instid0(VALU_DEP_1)
	v_or3_b32 v1, v2, v0, v1
.LBB450_478:                            ;   in Loop: Header=BB450_13 Depth=1
	s_or_b32 exec_lo, exec_lo, s24
.LBB450_479:                            ;   in Loop: Header=BB450_13 Depth=1
	s_delay_alu instid0(SALU_CYCLE_1)
	s_or_b32 exec_lo, exec_lo, s23
.LBB450_480:                            ;   in Loop: Header=BB450_13 Depth=1
	s_delay_alu instid0(SALU_CYCLE_1) | instskip(NEXT) | instid1(VALU_DEP_1)
	s_or_b32 exec_lo, exec_lo, s22
	v_mul_f32_e32 v0, v121, v1
	s_delay_alu instid0(VALU_DEP_1) | instskip(NEXT) | instid1(VALU_DEP_1)
	v_and_b32_e32 v1, 0x7f800000, v0
	v_cmp_ne_u32_e64 s2, 0x7f800000, v1
                                        ; implicit-def: $vgpr1
                                        ; kill: killed $vgpr1
	s_delay_alu instid0(VALU_DEP_1) | instskip(NEXT) | instid1(SALU_CYCLE_1)
	s_and_saveexec_b32 s22, s2
	s_xor_b32 s2, exec_lo, s22
	s_cbranch_execz .LBB450_482
; %bb.481:                              ;   in Loop: Header=BB450_13 Depth=1
	v_bfe_u32 v1, v0, 16, 1
	s_delay_alu instid0(VALU_DEP_1)
	v_add3_u32 v0, v0, v1, 0x7fff
	scratch_store_b32 off, v0, s32 offset:496 ; 4-byte Folded Spill
                                        ; implicit-def: $vgpr0
.LBB450_482:                            ;   in Loop: Header=BB450_13 Depth=1
	s_and_not1_saveexec_b32 s22, s2
	s_cbranch_execz .LBB450_484
; %bb.483:                              ;   in Loop: Header=BB450_13 Depth=1
	v_and_b32_e32 v1, 0xffff, v0
	v_or_b32_e32 v2, 0x10000, v0
	s_delay_alu instid0(VALU_DEP_2) | instskip(NEXT) | instid1(VALU_DEP_1)
	v_cmp_eq_u32_e64 s2, 0, v1
	v_cndmask_b32_e64 v0, v2, v0, s2
	scratch_store_b32 off, v0, s32 offset:496 ; 4-byte Folded Spill
.LBB450_484:                            ;   in Loop: Header=BB450_13 Depth=1
	s_or_b32 exec_lo, exec_lo, s22
	v_mov_b32_e32 v1, 0
	s_mov_b32 s22, exec_lo
	v_cmpx_lt_u64_e64 s[8:9], v[33:34]
	s_cbranch_execz .LBB450_492
; %bb.485:                              ;   in Loop: Header=BB450_13 Depth=1
	v_lshrrev_b32_e32 v0, 24, v34
	v_bfrev_b32_e32 v1, 1
	s_mov_b32 s23, exec_lo
	s_delay_alu instid0(VALU_DEP_2)
	v_cmpx_ne_u32_e32 0x80, v0
	s_cbranch_execz .LBB450_491
; %bb.486:                              ;   in Loop: Header=BB450_13 Depth=1
	v_bfe_u32 v2, v34, 24, 7
	v_mov_b32_e32 v1, 0x7f800001
	s_mov_b32 s24, exec_lo
	s_delay_alu instid0(VALU_DEP_2)
	v_cmpx_ne_u32_e32 0x7f, v2
	s_cbranch_execz .LBB450_490
; %bb.487:                              ;   in Loop: Header=BB450_13 Depth=1
	v_and_b32_e32 v19, 7, v0
	v_lshrrev_b32_e32 v1, 3, v2
	v_mov_b32_e32 v34, v20
	s_mov_b32 s25, exec_lo
	s_delay_alu instid0(VALU_DEP_3)
	v_mov_b32_e32 v33, v19
	v_cmpx_gt_u32_e32 8, v2
; %bb.488:                              ;   in Loop: Header=BB450_13 Depth=1
	v_clz_i32_u32_e32 v1, v19
	s_delay_alu instid0(VALU_DEP_1) | instskip(NEXT) | instid1(VALU_DEP_1)
	v_min_u32_e32 v1, 32, v1
	v_subrev_nc_u32_e32 v2, 28, v1
	v_sub_nc_u32_e32 v1, 29, v1
	s_delay_alu instid0(VALU_DEP_2) | instskip(NEXT) | instid1(VALU_DEP_1)
	v_lshlrev_b64 v[2:3], v2, v[19:20]
	v_and_b32_e32 v33, 7, v2
; %bb.489:                              ;   in Loop: Header=BB450_13 Depth=1
	s_or_b32 exec_lo, exec_lo, s25
	v_lshlrev_b32_e32 v0, 24, v0
	s_delay_alu instid0(VALU_DEP_2) | instskip(SKIP_1) | instid1(VALU_DEP_3)
	v_lshlrev_b32_e32 v2, 20, v33
	v_lshl_add_u32 v1, v1, 23, 0x3c000000
	v_and_b32_e32 v0, 0x80000000, v0
	s_delay_alu instid0(VALU_DEP_1)
	v_or3_b32 v1, v2, v0, v1
.LBB450_490:                            ;   in Loop: Header=BB450_13 Depth=1
	s_or_b32 exec_lo, exec_lo, s24
.LBB450_491:                            ;   in Loop: Header=BB450_13 Depth=1
	s_delay_alu instid0(SALU_CYCLE_1)
	s_or_b32 exec_lo, exec_lo, s23
.LBB450_492:                            ;   in Loop: Header=BB450_13 Depth=1
	s_delay_alu instid0(SALU_CYCLE_1) | instskip(NEXT) | instid1(VALU_DEP_1)
	s_or_b32 exec_lo, exec_lo, s22
	v_mul_f32_e32 v0, v121, v1
	s_delay_alu instid0(VALU_DEP_1) | instskip(NEXT) | instid1(VALU_DEP_1)
	v_and_b32_e32 v1, 0x7f800000, v0
	v_cmp_ne_u32_e64 s2, 0x7f800000, v1
                                        ; implicit-def: $vgpr1
                                        ; kill: killed $vgpr1
	s_delay_alu instid0(VALU_DEP_1) | instskip(NEXT) | instid1(SALU_CYCLE_1)
	s_and_saveexec_b32 s22, s2
	s_xor_b32 s2, exec_lo, s22
	s_cbranch_execz .LBB450_494
; %bb.493:                              ;   in Loop: Header=BB450_13 Depth=1
	v_bfe_u32 v1, v0, 16, 1
	s_delay_alu instid0(VALU_DEP_1)
	v_add3_u32 v0, v0, v1, 0x7fff
	scratch_store_b32 off, v0, s32 offset:500 ; 4-byte Folded Spill
                                        ; implicit-def: $vgpr0
.LBB450_494:                            ;   in Loop: Header=BB450_13 Depth=1
	s_and_not1_saveexec_b32 s22, s2
	s_cbranch_execz .LBB450_496
; %bb.495:                              ;   in Loop: Header=BB450_13 Depth=1
	v_and_b32_e32 v1, 0xffff, v0
	v_or_b32_e32 v2, 0x10000, v0
	s_delay_alu instid0(VALU_DEP_2) | instskip(NEXT) | instid1(VALU_DEP_1)
	v_cmp_eq_u32_e64 s2, 0, v1
	v_cndmask_b32_e64 v0, v2, v0, s2
	scratch_store_b32 off, v0, s32 offset:500 ; 4-byte Folded Spill
.LBB450_496:                            ;   in Loop: Header=BB450_13 Depth=1
	s_or_b32 exec_lo, exec_lo, s22
	flat_load_b64 v[33:34], v[31:32] offset:1032
	s_mov_b32 s22, exec_lo
	s_waitcnt vmcnt(0) lgkmcnt(0)
	v_dual_mov_b32 v0, 0 :: v_dual_and_b32 v1, 0xff, v33
	s_delay_alu instid0(VALU_DEP_1)
	v_cmpx_ne_u16_e32 0, v1
	s_cbranch_execz .LBB450_504
; %bb.497:                              ;   in Loop: Header=BB450_13 Depth=1
	v_bfrev_b32_e32 v0, 1
	s_mov_b32 s23, exec_lo
	v_cmpx_ne_u16_e32 0x80, v1
	s_cbranch_execz .LBB450_503
; %bb.498:                              ;   in Loop: Header=BB450_13 Depth=1
	v_and_b32_e32 v1, 0x7f, v33
	v_mov_b32_e32 v0, 0x7f800001
	s_mov_b32 s24, exec_lo
	s_delay_alu instid0(VALU_DEP_2)
	v_cmpx_ne_u32_e32 0x7f, v1
	s_cbranch_execz .LBB450_502
; %bb.499:                              ;   in Loop: Header=BB450_13 Depth=1
	v_lshrrev_b32_e32 v0, 3, v1
	v_dual_mov_b32 v36, v34 :: v_dual_mov_b32 v35, v33
	s_mov_b32 s25, exec_lo
	v_cmpx_gt_u32_e32 8, v1
; %bb.500:                              ;   in Loop: Header=BB450_13 Depth=1
	v_and_b32_e32 v0, 7, v33
	s_delay_alu instid0(VALU_DEP_1) | instskip(NEXT) | instid1(VALU_DEP_1)
	v_clz_i32_u32_e32 v0, v0
	v_min_u32_e32 v0, 32, v0
	s_delay_alu instid0(VALU_DEP_1) | instskip(SKIP_1) | instid1(VALU_DEP_2)
	v_subrev_nc_u32_e32 v1, 28, v0
	v_sub_nc_u32_e32 v0, 29, v0
	v_lshlrev_b64 v[35:36], v1, v[33:34]
; %bb.501:                              ;   in Loop: Header=BB450_13 Depth=1
	s_or_b32 exec_lo, exec_lo, s25
	s_delay_alu instid0(VALU_DEP_1) | instskip(SKIP_2) | instid1(VALU_DEP_3)
	v_lshlrev_b32_e32 v1, 20, v35
	v_lshlrev_b32_e32 v2, 24, v33
	v_lshl_add_u32 v0, v0, 23, 0x3c000000
	v_and_b32_e32 v1, 0x700000, v1
	s_delay_alu instid0(VALU_DEP_3) | instskip(NEXT) | instid1(VALU_DEP_1)
	v_and_b32_e32 v2, 0x80000000, v2
	v_or3_b32 v0, v1, v2, v0
.LBB450_502:                            ;   in Loop: Header=BB450_13 Depth=1
	s_or_b32 exec_lo, exec_lo, s24
.LBB450_503:                            ;   in Loop: Header=BB450_13 Depth=1
	s_delay_alu instid0(SALU_CYCLE_1)
	s_or_b32 exec_lo, exec_lo, s23
.LBB450_504:                            ;   in Loop: Header=BB450_13 Depth=1
	s_delay_alu instid0(SALU_CYCLE_1) | instskip(NEXT) | instid1(VALU_DEP_1)
	s_or_b32 exec_lo, exec_lo, s22
	v_mul_f32_e32 v0, v121, v0
	s_delay_alu instid0(VALU_DEP_1) | instskip(NEXT) | instid1(VALU_DEP_1)
	v_and_b32_e32 v1, 0x7f800000, v0
	v_cmp_ne_u32_e64 s2, 0x7f800000, v1
                                        ; implicit-def: $vgpr1
                                        ; kill: killed $vgpr1
	s_delay_alu instid0(VALU_DEP_1) | instskip(NEXT) | instid1(SALU_CYCLE_1)
	s_and_saveexec_b32 s22, s2
	s_xor_b32 s2, exec_lo, s22
	s_cbranch_execz .LBB450_506
; %bb.505:                              ;   in Loop: Header=BB450_13 Depth=1
	v_bfe_u32 v1, v0, 16, 1
	s_delay_alu instid0(VALU_DEP_1)
	v_add3_u32 v0, v0, v1, 0x7fff
	scratch_store_b32 off, v0, s32 offset:504 ; 4-byte Folded Spill
                                        ; implicit-def: $vgpr0
.LBB450_506:                            ;   in Loop: Header=BB450_13 Depth=1
	s_and_not1_saveexec_b32 s22, s2
	s_cbranch_execz .LBB450_508
; %bb.507:                              ;   in Loop: Header=BB450_13 Depth=1
	v_and_b32_e32 v1, 0xffff, v0
	v_or_b32_e32 v2, 0x10000, v0
	s_delay_alu instid0(VALU_DEP_2) | instskip(NEXT) | instid1(VALU_DEP_1)
	v_cmp_eq_u32_e64 s2, 0, v1
	v_cndmask_b32_e64 v0, v2, v0, s2
	scratch_store_b32 off, v0, s32 offset:504 ; 4-byte Folded Spill
.LBB450_508:                            ;   in Loop: Header=BB450_13 Depth=1
	s_or_b32 exec_lo, exec_lo, s22
	v_lshrrev_b16 v1, 8, v33
	v_mov_b32_e32 v0, 0
	s_mov_b32 s22, exec_lo
	s_delay_alu instid0(VALU_DEP_2)
	v_cmpx_ne_u16_e32 0, v1
	s_cbranch_execz .LBB450_516
; %bb.509:                              ;   in Loop: Header=BB450_13 Depth=1
	v_bfrev_b32_e32 v0, 1
	s_mov_b32 s23, exec_lo
	v_cmpx_ne_u16_e32 0x80, v1
	s_cbranch_execz .LBB450_515
; %bb.510:                              ;   in Loop: Header=BB450_13 Depth=1
	v_and_b32_e32 v2, 0xffff, v1
	v_mov_b32_e32 v0, 0x7f800001
	s_mov_b32 s24, exec_lo
	s_delay_alu instid0(VALU_DEP_2) | instskip(NEXT) | instid1(VALU_DEP_1)
	v_and_b32_e32 v1, 0x7f, v2
	v_cmpx_ne_u32_e32 0x7f, v1
	s_cbranch_execz .LBB450_514
; %bb.511:                              ;   in Loop: Header=BB450_13 Depth=1
	v_and_b32_e32 v19, 7, v2
	v_lshrrev_b32_e32 v0, 3, v1
	v_mov_b32_e32 v36, v20
	s_mov_b32 s25, exec_lo
	s_delay_alu instid0(VALU_DEP_3)
	v_mov_b32_e32 v35, v19
	v_cmpx_gt_u32_e32 8, v1
; %bb.512:                              ;   in Loop: Header=BB450_13 Depth=1
	v_clz_i32_u32_e32 v0, v19
	s_delay_alu instid0(VALU_DEP_1) | instskip(NEXT) | instid1(VALU_DEP_1)
	v_min_u32_e32 v0, 32, v0
	v_subrev_nc_u32_e32 v1, 28, v0
	v_sub_nc_u32_e32 v0, 29, v0
	s_delay_alu instid0(VALU_DEP_2) | instskip(NEXT) | instid1(VALU_DEP_1)
	v_lshlrev_b64 v[1:2], v1, v[19:20]
	v_and_b32_e32 v35, 7, v1
; %bb.513:                              ;   in Loop: Header=BB450_13 Depth=1
	s_or_b32 exec_lo, exec_lo, s25
	v_lshlrev_b32_e32 v1, 16, v33
	s_delay_alu instid0(VALU_DEP_2) | instskip(SKIP_1) | instid1(VALU_DEP_3)
	v_lshlrev_b32_e32 v2, 20, v35
	v_lshl_add_u32 v0, v0, 23, 0x3c000000
	v_and_b32_e32 v1, 0x80000000, v1
	s_delay_alu instid0(VALU_DEP_1)
	v_or3_b32 v0, v2, v1, v0
.LBB450_514:                            ;   in Loop: Header=BB450_13 Depth=1
	s_or_b32 exec_lo, exec_lo, s24
.LBB450_515:                            ;   in Loop: Header=BB450_13 Depth=1
	s_delay_alu instid0(SALU_CYCLE_1)
	s_or_b32 exec_lo, exec_lo, s23
.LBB450_516:                            ;   in Loop: Header=BB450_13 Depth=1
	s_delay_alu instid0(SALU_CYCLE_1) | instskip(NEXT) | instid1(VALU_DEP_1)
	s_or_b32 exec_lo, exec_lo, s22
	v_mul_f32_e32 v0, v121, v0
	s_delay_alu instid0(VALU_DEP_1) | instskip(NEXT) | instid1(VALU_DEP_1)
	v_and_b32_e32 v1, 0x7f800000, v0
	v_cmp_ne_u32_e64 s2, 0x7f800000, v1
                                        ; implicit-def: $vgpr1
                                        ; kill: killed $vgpr1
	s_delay_alu instid0(VALU_DEP_1) | instskip(NEXT) | instid1(SALU_CYCLE_1)
	s_and_saveexec_b32 s22, s2
	s_xor_b32 s2, exec_lo, s22
	s_cbranch_execz .LBB450_518
; %bb.517:                              ;   in Loop: Header=BB450_13 Depth=1
	v_bfe_u32 v1, v0, 16, 1
	s_delay_alu instid0(VALU_DEP_1)
	v_add3_u32 v0, v0, v1, 0x7fff
	scratch_store_b32 off, v0, s32 offset:508 ; 4-byte Folded Spill
                                        ; implicit-def: $vgpr0
.LBB450_518:                            ;   in Loop: Header=BB450_13 Depth=1
	s_and_not1_saveexec_b32 s22, s2
	s_cbranch_execz .LBB450_520
; %bb.519:                              ;   in Loop: Header=BB450_13 Depth=1
	v_and_b32_e32 v1, 0xffff, v0
	v_or_b32_e32 v2, 0x10000, v0
	s_delay_alu instid0(VALU_DEP_2) | instskip(NEXT) | instid1(VALU_DEP_1)
	v_cmp_eq_u32_e64 s2, 0, v1
	v_cndmask_b32_e64 v0, v2, v0, s2
	scratch_store_b32 off, v0, s32 offset:508 ; 4-byte Folded Spill
.LBB450_520:                            ;   in Loop: Header=BB450_13 Depth=1
	s_or_b32 exec_lo, exec_lo, s22
	v_lshrrev_b32_e32 v0, 16, v33
	s_mov_b32 s22, exec_lo
	s_delay_alu instid0(VALU_DEP_1) | instskip(NEXT) | instid1(VALU_DEP_1)
	v_dual_mov_b32 v1, 0 :: v_dual_and_b32 v2, 0xff, v0
	v_cmpx_ne_u16_e32 0, v2
	s_cbranch_execz .LBB450_528
; %bb.521:                              ;   in Loop: Header=BB450_13 Depth=1
	v_bfrev_b32_e32 v1, 1
	s_mov_b32 s23, exec_lo
	v_cmpx_ne_u16_e32 0x80, v2
	s_cbranch_execz .LBB450_527
; %bb.522:                              ;   in Loop: Header=BB450_13 Depth=1
	v_bfe_u32 v2, v33, 16, 7
	v_mov_b32_e32 v1, 0x7f800001
	s_mov_b32 s24, exec_lo
	s_delay_alu instid0(VALU_DEP_2)
	v_cmpx_ne_u32_e32 0x7f, v2
	s_cbranch_execz .LBB450_526
; %bb.523:                              ;   in Loop: Header=BB450_13 Depth=1
	v_and_b32_e32 v19, 7, v0
	v_lshrrev_b32_e32 v1, 3, v2
	v_mov_b32_e32 v36, v20
	s_mov_b32 s25, exec_lo
	s_delay_alu instid0(VALU_DEP_3)
	v_mov_b32_e32 v35, v19
	v_cmpx_gt_u32_e32 8, v2
; %bb.524:                              ;   in Loop: Header=BB450_13 Depth=1
	v_clz_i32_u32_e32 v1, v19
	s_delay_alu instid0(VALU_DEP_1) | instskip(NEXT) | instid1(VALU_DEP_1)
	v_min_u32_e32 v1, 32, v1
	v_subrev_nc_u32_e32 v2, 28, v1
	v_sub_nc_u32_e32 v1, 29, v1
	s_delay_alu instid0(VALU_DEP_2) | instskip(NEXT) | instid1(VALU_DEP_1)
	v_lshlrev_b64 v[2:3], v2, v[19:20]
	v_and_b32_e32 v35, 7, v2
; %bb.525:                              ;   in Loop: Header=BB450_13 Depth=1
	s_or_b32 exec_lo, exec_lo, s25
	v_lshlrev_b32_e32 v0, 24, v0
	s_delay_alu instid0(VALU_DEP_2) | instskip(SKIP_1) | instid1(VALU_DEP_3)
	v_lshlrev_b32_e32 v2, 20, v35
	v_lshl_add_u32 v1, v1, 23, 0x3c000000
	v_and_b32_e32 v0, 0x80000000, v0
	s_delay_alu instid0(VALU_DEP_1)
	v_or3_b32 v1, v2, v0, v1
.LBB450_526:                            ;   in Loop: Header=BB450_13 Depth=1
	s_or_b32 exec_lo, exec_lo, s24
.LBB450_527:                            ;   in Loop: Header=BB450_13 Depth=1
	s_delay_alu instid0(SALU_CYCLE_1)
	s_or_b32 exec_lo, exec_lo, s23
.LBB450_528:                            ;   in Loop: Header=BB450_13 Depth=1
	s_delay_alu instid0(SALU_CYCLE_1) | instskip(NEXT) | instid1(VALU_DEP_1)
	s_or_b32 exec_lo, exec_lo, s22
	v_mul_f32_e32 v0, v121, v1
	s_delay_alu instid0(VALU_DEP_1) | instskip(NEXT) | instid1(VALU_DEP_1)
	v_and_b32_e32 v1, 0x7f800000, v0
	v_cmp_ne_u32_e64 s2, 0x7f800000, v1
                                        ; implicit-def: $vgpr1
                                        ; kill: killed $vgpr1
	s_delay_alu instid0(VALU_DEP_1) | instskip(NEXT) | instid1(SALU_CYCLE_1)
	s_and_saveexec_b32 s22, s2
	s_xor_b32 s2, exec_lo, s22
	s_cbranch_execz .LBB450_530
; %bb.529:                              ;   in Loop: Header=BB450_13 Depth=1
	v_bfe_u32 v1, v0, 16, 1
	s_delay_alu instid0(VALU_DEP_1)
	v_add3_u32 v0, v0, v1, 0x7fff
	scratch_store_b32 off, v0, s32 offset:512 ; 4-byte Folded Spill
                                        ; implicit-def: $vgpr0
.LBB450_530:                            ;   in Loop: Header=BB450_13 Depth=1
	s_and_not1_saveexec_b32 s22, s2
	s_cbranch_execz .LBB450_532
; %bb.531:                              ;   in Loop: Header=BB450_13 Depth=1
	v_and_b32_e32 v1, 0xffff, v0
	v_or_b32_e32 v2, 0x10000, v0
	s_delay_alu instid0(VALU_DEP_2) | instskip(NEXT) | instid1(VALU_DEP_1)
	v_cmp_eq_u32_e64 s2, 0, v1
	v_cndmask_b32_e64 v0, v2, v0, s2
	scratch_store_b32 off, v0, s32 offset:512 ; 4-byte Folded Spill
.LBB450_532:                            ;   in Loop: Header=BB450_13 Depth=1
	s_or_b32 exec_lo, exec_lo, s22
	v_mov_b32_e32 v1, 0
	s_mov_b32 s22, exec_lo
	v_cmpx_lt_u32_e32 0xffffff, v33
	s_cbranch_execz .LBB450_540
; %bb.533:                              ;   in Loop: Header=BB450_13 Depth=1
	v_lshrrev_b32_e32 v0, 24, v33
	v_bfrev_b32_e32 v1, 1
	s_mov_b32 s23, exec_lo
	s_delay_alu instid0(VALU_DEP_2)
	v_cmpx_ne_u32_e32 0x80, v0
	s_cbranch_execz .LBB450_539
; %bb.534:                              ;   in Loop: Header=BB450_13 Depth=1
	v_bfe_u32 v2, v33, 24, 7
	v_mov_b32_e32 v1, 0x7f800001
	s_mov_b32 s24, exec_lo
	s_delay_alu instid0(VALU_DEP_2)
	v_cmpx_ne_u32_e32 0x7f, v2
	s_cbranch_execz .LBB450_538
; %bb.535:                              ;   in Loop: Header=BB450_13 Depth=1
	v_and_b32_e32 v19, 7, v0
	v_lshrrev_b32_e32 v1, 3, v2
	v_mov_b32_e32 v36, v20
	s_mov_b32 s25, exec_lo
	s_delay_alu instid0(VALU_DEP_3)
	v_mov_b32_e32 v35, v19
	v_cmpx_gt_u32_e32 8, v2
; %bb.536:                              ;   in Loop: Header=BB450_13 Depth=1
	v_clz_i32_u32_e32 v1, v19
	s_delay_alu instid0(VALU_DEP_1) | instskip(NEXT) | instid1(VALU_DEP_1)
	v_min_u32_e32 v1, 32, v1
	v_subrev_nc_u32_e32 v2, 28, v1
	v_sub_nc_u32_e32 v1, 29, v1
	s_delay_alu instid0(VALU_DEP_2) | instskip(NEXT) | instid1(VALU_DEP_1)
	v_lshlrev_b64 v[2:3], v2, v[19:20]
	v_and_b32_e32 v35, 7, v2
; %bb.537:                              ;   in Loop: Header=BB450_13 Depth=1
	s_or_b32 exec_lo, exec_lo, s25
	v_lshlrev_b32_e32 v0, 24, v0
	s_delay_alu instid0(VALU_DEP_2) | instskip(SKIP_1) | instid1(VALU_DEP_3)
	v_lshlrev_b32_e32 v2, 20, v35
	v_lshl_add_u32 v1, v1, 23, 0x3c000000
	v_and_b32_e32 v0, 0x80000000, v0
	s_delay_alu instid0(VALU_DEP_1)
	v_or3_b32 v1, v2, v0, v1
.LBB450_538:                            ;   in Loop: Header=BB450_13 Depth=1
	s_or_b32 exec_lo, exec_lo, s24
.LBB450_539:                            ;   in Loop: Header=BB450_13 Depth=1
	s_delay_alu instid0(SALU_CYCLE_1)
	s_or_b32 exec_lo, exec_lo, s23
.LBB450_540:                            ;   in Loop: Header=BB450_13 Depth=1
	s_delay_alu instid0(SALU_CYCLE_1) | instskip(NEXT) | instid1(VALU_DEP_1)
	s_or_b32 exec_lo, exec_lo, s22
	v_mul_f32_e32 v0, v121, v1
	s_delay_alu instid0(VALU_DEP_1) | instskip(NEXT) | instid1(VALU_DEP_1)
	v_and_b32_e32 v1, 0x7f800000, v0
	v_cmp_ne_u32_e64 s2, 0x7f800000, v1
                                        ; implicit-def: $vgpr1
                                        ; kill: killed $vgpr1
	s_delay_alu instid0(VALU_DEP_1) | instskip(NEXT) | instid1(SALU_CYCLE_1)
	s_and_saveexec_b32 s22, s2
	s_xor_b32 s2, exec_lo, s22
	s_cbranch_execz .LBB450_542
; %bb.541:                              ;   in Loop: Header=BB450_13 Depth=1
	v_bfe_u32 v1, v0, 16, 1
	s_delay_alu instid0(VALU_DEP_1)
	v_add3_u32 v0, v0, v1, 0x7fff
	scratch_store_b32 off, v0, s32 offset:516 ; 4-byte Folded Spill
                                        ; implicit-def: $vgpr0
.LBB450_542:                            ;   in Loop: Header=BB450_13 Depth=1
	s_and_not1_saveexec_b32 s22, s2
	s_cbranch_execz .LBB450_544
; %bb.543:                              ;   in Loop: Header=BB450_13 Depth=1
	v_and_b32_e32 v1, 0xffff, v0
	v_or_b32_e32 v2, 0x10000, v0
	s_delay_alu instid0(VALU_DEP_2) | instskip(NEXT) | instid1(VALU_DEP_1)
	v_cmp_eq_u32_e64 s2, 0, v1
	v_cndmask_b32_e64 v0, v2, v0, s2
	scratch_store_b32 off, v0, s32 offset:516 ; 4-byte Folded Spill
.LBB450_544:                            ;   in Loop: Header=BB450_13 Depth=1
	s_or_b32 exec_lo, exec_lo, s22
	v_dual_mov_b32 v0, 0 :: v_dual_and_b32 v1, 0xff, v34
	v_mov_b32_e32 v19, v34
	s_mov_b32 s22, exec_lo
	s_delay_alu instid0(VALU_DEP_2)
	v_cmpx_ne_u16_e32 0, v1
	s_cbranch_execz .LBB450_552
; %bb.545:                              ;   in Loop: Header=BB450_13 Depth=1
	v_bfrev_b32_e32 v0, 1
	s_mov_b32 s23, exec_lo
	v_cmpx_ne_u16_e32 0x80, v1
	s_cbranch_execz .LBB450_551
; %bb.546:                              ;   in Loop: Header=BB450_13 Depth=1
	v_and_b32_e32 v1, 0x7f, v34
	v_mov_b32_e32 v0, 0x7f800001
	s_mov_b32 s24, exec_lo
	s_delay_alu instid0(VALU_DEP_2)
	v_cmpx_ne_u32_e32 0x7f, v1
	s_cbranch_execz .LBB450_550
; %bb.547:                              ;   in Loop: Header=BB450_13 Depth=1
	v_lshrrev_b32_e32 v0, 3, v1
	v_dual_mov_b32 v36, v20 :: v_dual_mov_b32 v35, v19
	s_mov_b32 s25, exec_lo
	v_cmpx_gt_u32_e32 8, v1
; %bb.548:                              ;   in Loop: Header=BB450_13 Depth=1
	v_and_b32_e32 v0, 7, v34
	s_delay_alu instid0(VALU_DEP_1) | instskip(NEXT) | instid1(VALU_DEP_1)
	v_clz_i32_u32_e32 v0, v0
	v_min_u32_e32 v0, 32, v0
	s_delay_alu instid0(VALU_DEP_1) | instskip(SKIP_1) | instid1(VALU_DEP_2)
	v_subrev_nc_u32_e32 v1, 28, v0
	v_sub_nc_u32_e32 v0, 29, v0
	v_lshlrev_b64 v[35:36], v1, v[19:20]
; %bb.549:                              ;   in Loop: Header=BB450_13 Depth=1
	s_or_b32 exec_lo, exec_lo, s25
	s_delay_alu instid0(VALU_DEP_1) | instskip(SKIP_2) | instid1(VALU_DEP_3)
	v_lshlrev_b32_e32 v1, 20, v35
	v_lshlrev_b32_e32 v2, 24, v19
	v_lshl_add_u32 v0, v0, 23, 0x3c000000
	v_and_b32_e32 v1, 0x700000, v1
	s_delay_alu instid0(VALU_DEP_3) | instskip(NEXT) | instid1(VALU_DEP_1)
	v_and_b32_e32 v2, 0x80000000, v2
	v_or3_b32 v0, v1, v2, v0
.LBB450_550:                            ;   in Loop: Header=BB450_13 Depth=1
	s_or_b32 exec_lo, exec_lo, s24
.LBB450_551:                            ;   in Loop: Header=BB450_13 Depth=1
	s_delay_alu instid0(SALU_CYCLE_1)
	s_or_b32 exec_lo, exec_lo, s23
.LBB450_552:                            ;   in Loop: Header=BB450_13 Depth=1
	s_delay_alu instid0(SALU_CYCLE_1) | instskip(NEXT) | instid1(VALU_DEP_1)
	s_or_b32 exec_lo, exec_lo, s22
	v_mul_f32_e32 v0, v121, v0
	s_delay_alu instid0(VALU_DEP_1) | instskip(NEXT) | instid1(VALU_DEP_1)
	v_and_b32_e32 v1, 0x7f800000, v0
	v_cmp_ne_u32_e64 s2, 0x7f800000, v1
                                        ; implicit-def: $vgpr1
                                        ; kill: killed $vgpr1
	s_delay_alu instid0(VALU_DEP_1) | instskip(NEXT) | instid1(SALU_CYCLE_1)
	s_and_saveexec_b32 s22, s2
	s_xor_b32 s2, exec_lo, s22
	s_cbranch_execz .LBB450_554
; %bb.553:                              ;   in Loop: Header=BB450_13 Depth=1
	v_bfe_u32 v1, v0, 16, 1
	s_delay_alu instid0(VALU_DEP_1)
	v_add3_u32 v0, v0, v1, 0x7fff
	scratch_store_b32 off, v0, s32 offset:520 ; 4-byte Folded Spill
                                        ; implicit-def: $vgpr0
.LBB450_554:                            ;   in Loop: Header=BB450_13 Depth=1
	s_and_not1_saveexec_b32 s22, s2
	s_cbranch_execz .LBB450_556
; %bb.555:                              ;   in Loop: Header=BB450_13 Depth=1
	v_and_b32_e32 v1, 0xffff, v0
	v_or_b32_e32 v2, 0x10000, v0
	s_delay_alu instid0(VALU_DEP_2) | instskip(NEXT) | instid1(VALU_DEP_1)
	v_cmp_eq_u32_e64 s2, 0, v1
	v_cndmask_b32_e64 v0, v2, v0, s2
	scratch_store_b32 off, v0, s32 offset:520 ; 4-byte Folded Spill
.LBB450_556:                            ;   in Loop: Header=BB450_13 Depth=1
	s_or_b32 exec_lo, exec_lo, s22
	v_lshrrev_b16 v1, 8, v19
	v_mov_b32_e32 v0, 0
	s_mov_b32 s22, exec_lo
	s_delay_alu instid0(VALU_DEP_2)
	v_cmpx_ne_u16_e32 0, v1
	s_cbranch_execz .LBB450_564
; %bb.557:                              ;   in Loop: Header=BB450_13 Depth=1
	v_bfrev_b32_e32 v0, 1
	s_mov_b32 s23, exec_lo
	v_cmpx_ne_u16_e32 0x80, v1
	s_cbranch_execz .LBB450_563
; %bb.558:                              ;   in Loop: Header=BB450_13 Depth=1
	v_and_b32_e32 v2, 0xffff, v1
	v_mov_b32_e32 v0, 0x7f800001
	s_mov_b32 s24, exec_lo
	s_delay_alu instid0(VALU_DEP_2) | instskip(NEXT) | instid1(VALU_DEP_1)
	v_and_b32_e32 v1, 0x7f, v2
	v_cmpx_ne_u32_e32 0x7f, v1
	s_cbranch_execz .LBB450_562
; %bb.559:                              ;   in Loop: Header=BB450_13 Depth=1
	v_dual_mov_b32 v36, v20 :: v_dual_and_b32 v35, 7, v2
	v_lshrrev_b32_e32 v0, 3, v1
	s_mov_b32 s25, exec_lo
	v_cmpx_gt_u32_e32 8, v1
; %bb.560:                              ;   in Loop: Header=BB450_13 Depth=1
	s_delay_alu instid0(VALU_DEP_3) | instskip(NEXT) | instid1(VALU_DEP_1)
	v_clz_i32_u32_e32 v0, v35
	v_min_u32_e32 v0, 32, v0
	s_delay_alu instid0(VALU_DEP_1) | instskip(SKIP_1) | instid1(VALU_DEP_2)
	v_subrev_nc_u32_e32 v1, 28, v0
	v_sub_nc_u32_e32 v0, 29, v0
	v_lshlrev_b64 v[1:2], v1, v[35:36]
	s_delay_alu instid0(VALU_DEP_1)
	v_and_b32_e32 v35, 7, v1
; %bb.561:                              ;   in Loop: Header=BB450_13 Depth=1
	s_or_b32 exec_lo, exec_lo, s25
	v_lshlrev_b32_e32 v1, 16, v19
	s_delay_alu instid0(VALU_DEP_2) | instskip(SKIP_1) | instid1(VALU_DEP_3)
	v_lshlrev_b32_e32 v2, 20, v35
	v_lshl_add_u32 v0, v0, 23, 0x3c000000
	v_and_b32_e32 v1, 0x80000000, v1
	s_delay_alu instid0(VALU_DEP_1)
	v_or3_b32 v0, v2, v1, v0
.LBB450_562:                            ;   in Loop: Header=BB450_13 Depth=1
	s_or_b32 exec_lo, exec_lo, s24
.LBB450_563:                            ;   in Loop: Header=BB450_13 Depth=1
	s_delay_alu instid0(SALU_CYCLE_1)
	s_or_b32 exec_lo, exec_lo, s23
.LBB450_564:                            ;   in Loop: Header=BB450_13 Depth=1
	s_delay_alu instid0(SALU_CYCLE_1) | instskip(NEXT) | instid1(VALU_DEP_1)
	s_or_b32 exec_lo, exec_lo, s22
	v_mul_f32_e32 v0, v121, v0
	s_delay_alu instid0(VALU_DEP_1) | instskip(NEXT) | instid1(VALU_DEP_1)
	v_and_b32_e32 v1, 0x7f800000, v0
	v_cmp_ne_u32_e64 s2, 0x7f800000, v1
                                        ; implicit-def: $vgpr1
                                        ; kill: killed $vgpr1
	s_delay_alu instid0(VALU_DEP_1) | instskip(NEXT) | instid1(SALU_CYCLE_1)
	s_and_saveexec_b32 s22, s2
	s_xor_b32 s2, exec_lo, s22
	s_cbranch_execz .LBB450_566
; %bb.565:                              ;   in Loop: Header=BB450_13 Depth=1
	v_bfe_u32 v1, v0, 16, 1
	s_delay_alu instid0(VALU_DEP_1)
	v_add3_u32 v0, v0, v1, 0x7fff
	scratch_store_b32 off, v0, s32 offset:524 ; 4-byte Folded Spill
                                        ; implicit-def: $vgpr0
.LBB450_566:                            ;   in Loop: Header=BB450_13 Depth=1
	s_and_not1_saveexec_b32 s22, s2
	s_cbranch_execz .LBB450_568
; %bb.567:                              ;   in Loop: Header=BB450_13 Depth=1
	v_and_b32_e32 v1, 0xffff, v0
	v_or_b32_e32 v2, 0x10000, v0
	s_delay_alu instid0(VALU_DEP_2) | instskip(NEXT) | instid1(VALU_DEP_1)
	v_cmp_eq_u32_e64 s2, 0, v1
	v_cndmask_b32_e64 v0, v2, v0, s2
	scratch_store_b32 off, v0, s32 offset:524 ; 4-byte Folded Spill
.LBB450_568:                            ;   in Loop: Header=BB450_13 Depth=1
	s_or_b32 exec_lo, exec_lo, s22
	v_lshrrev_b32_e32 v0, 16, v34
	s_mov_b32 s22, exec_lo
	s_delay_alu instid0(VALU_DEP_1) | instskip(NEXT) | instid1(VALU_DEP_1)
	v_dual_mov_b32 v1, 0 :: v_dual_and_b32 v2, 0xff, v0
	v_cmpx_ne_u16_e32 0, v2
	s_cbranch_execz .LBB450_576
; %bb.569:                              ;   in Loop: Header=BB450_13 Depth=1
	v_bfrev_b32_e32 v1, 1
	s_mov_b32 s23, exec_lo
	v_cmpx_ne_u16_e32 0x80, v2
	s_cbranch_execz .LBB450_575
; %bb.570:                              ;   in Loop: Header=BB450_13 Depth=1
	v_bfe_u32 v2, v34, 16, 7
	v_mov_b32_e32 v1, 0x7f800001
	s_mov_b32 s24, exec_lo
	s_delay_alu instid0(VALU_DEP_2)
	v_cmpx_ne_u32_e32 0x7f, v2
	s_cbranch_execz .LBB450_574
; %bb.571:                              ;   in Loop: Header=BB450_13 Depth=1
	v_and_b32_e32 v19, 7, v0
	v_lshrrev_b32_e32 v1, 3, v2
	v_mov_b32_e32 v36, v20
	s_mov_b32 s25, exec_lo
	s_delay_alu instid0(VALU_DEP_3)
	v_mov_b32_e32 v35, v19
	v_cmpx_gt_u32_e32 8, v2
; %bb.572:                              ;   in Loop: Header=BB450_13 Depth=1
	v_clz_i32_u32_e32 v1, v19
	s_delay_alu instid0(VALU_DEP_1) | instskip(NEXT) | instid1(VALU_DEP_1)
	v_min_u32_e32 v1, 32, v1
	v_subrev_nc_u32_e32 v2, 28, v1
	v_sub_nc_u32_e32 v1, 29, v1
	s_delay_alu instid0(VALU_DEP_2) | instskip(NEXT) | instid1(VALU_DEP_1)
	v_lshlrev_b64 v[2:3], v2, v[19:20]
	v_and_b32_e32 v35, 7, v2
; %bb.573:                              ;   in Loop: Header=BB450_13 Depth=1
	s_or_b32 exec_lo, exec_lo, s25
	v_lshlrev_b32_e32 v0, 24, v0
	s_delay_alu instid0(VALU_DEP_2) | instskip(SKIP_1) | instid1(VALU_DEP_3)
	v_lshlrev_b32_e32 v2, 20, v35
	v_lshl_add_u32 v1, v1, 23, 0x3c000000
	v_and_b32_e32 v0, 0x80000000, v0
	s_delay_alu instid0(VALU_DEP_1)
	v_or3_b32 v1, v2, v0, v1
.LBB450_574:                            ;   in Loop: Header=BB450_13 Depth=1
	s_or_b32 exec_lo, exec_lo, s24
.LBB450_575:                            ;   in Loop: Header=BB450_13 Depth=1
	s_delay_alu instid0(SALU_CYCLE_1)
	s_or_b32 exec_lo, exec_lo, s23
.LBB450_576:                            ;   in Loop: Header=BB450_13 Depth=1
	s_delay_alu instid0(SALU_CYCLE_1) | instskip(NEXT) | instid1(VALU_DEP_1)
	s_or_b32 exec_lo, exec_lo, s22
	v_mul_f32_e32 v0, v121, v1
	s_delay_alu instid0(VALU_DEP_1) | instskip(NEXT) | instid1(VALU_DEP_1)
	v_and_b32_e32 v1, 0x7f800000, v0
	v_cmp_ne_u32_e64 s2, 0x7f800000, v1
                                        ; implicit-def: $vgpr1
                                        ; kill: killed $vgpr1
	s_delay_alu instid0(VALU_DEP_1) | instskip(NEXT) | instid1(SALU_CYCLE_1)
	s_and_saveexec_b32 s22, s2
	s_xor_b32 s2, exec_lo, s22
	s_cbranch_execz .LBB450_578
; %bb.577:                              ;   in Loop: Header=BB450_13 Depth=1
	v_bfe_u32 v1, v0, 16, 1
	s_delay_alu instid0(VALU_DEP_1)
	v_add3_u32 v0, v0, v1, 0x7fff
	scratch_store_b32 off, v0, s32 offset:528 ; 4-byte Folded Spill
                                        ; implicit-def: $vgpr0
.LBB450_578:                            ;   in Loop: Header=BB450_13 Depth=1
	s_and_not1_saveexec_b32 s22, s2
	s_cbranch_execz .LBB450_580
; %bb.579:                              ;   in Loop: Header=BB450_13 Depth=1
	v_and_b32_e32 v1, 0xffff, v0
	v_or_b32_e32 v2, 0x10000, v0
	s_delay_alu instid0(VALU_DEP_2) | instskip(NEXT) | instid1(VALU_DEP_1)
	v_cmp_eq_u32_e64 s2, 0, v1
	v_cndmask_b32_e64 v0, v2, v0, s2
	scratch_store_b32 off, v0, s32 offset:528 ; 4-byte Folded Spill
.LBB450_580:                            ;   in Loop: Header=BB450_13 Depth=1
	s_or_b32 exec_lo, exec_lo, s22
	v_mov_b32_e32 v1, 0
	s_mov_b32 s22, exec_lo
	v_cmpx_lt_u64_e64 s[8:9], v[33:34]
	s_cbranch_execz .LBB450_588
; %bb.581:                              ;   in Loop: Header=BB450_13 Depth=1
	v_lshrrev_b32_e32 v0, 24, v34
	v_bfrev_b32_e32 v1, 1
	s_mov_b32 s23, exec_lo
	s_delay_alu instid0(VALU_DEP_2)
	v_cmpx_ne_u32_e32 0x80, v0
	s_cbranch_execz .LBB450_587
; %bb.582:                              ;   in Loop: Header=BB450_13 Depth=1
	v_bfe_u32 v2, v34, 24, 7
	v_mov_b32_e32 v1, 0x7f800001
	s_mov_b32 s24, exec_lo
	s_delay_alu instid0(VALU_DEP_2)
	v_cmpx_ne_u32_e32 0x7f, v2
	s_cbranch_execz .LBB450_586
; %bb.583:                              ;   in Loop: Header=BB450_13 Depth=1
	v_and_b32_e32 v19, 7, v0
	v_lshrrev_b32_e32 v1, 3, v2
	v_mov_b32_e32 v34, v20
	s_mov_b32 s25, exec_lo
	s_delay_alu instid0(VALU_DEP_3)
	v_mov_b32_e32 v33, v19
	v_cmpx_gt_u32_e32 8, v2
; %bb.584:                              ;   in Loop: Header=BB450_13 Depth=1
	v_clz_i32_u32_e32 v1, v19
	s_delay_alu instid0(VALU_DEP_1) | instskip(NEXT) | instid1(VALU_DEP_1)
	v_min_u32_e32 v1, 32, v1
	v_subrev_nc_u32_e32 v2, 28, v1
	v_sub_nc_u32_e32 v1, 29, v1
	s_delay_alu instid0(VALU_DEP_2) | instskip(NEXT) | instid1(VALU_DEP_1)
	v_lshlrev_b64 v[2:3], v2, v[19:20]
	v_and_b32_e32 v33, 7, v2
; %bb.585:                              ;   in Loop: Header=BB450_13 Depth=1
	s_or_b32 exec_lo, exec_lo, s25
	v_lshlrev_b32_e32 v0, 24, v0
	s_delay_alu instid0(VALU_DEP_2) | instskip(SKIP_1) | instid1(VALU_DEP_3)
	v_lshlrev_b32_e32 v2, 20, v33
	v_lshl_add_u32 v1, v1, 23, 0x3c000000
	v_and_b32_e32 v0, 0x80000000, v0
	s_delay_alu instid0(VALU_DEP_1)
	v_or3_b32 v1, v2, v0, v1
.LBB450_586:                            ;   in Loop: Header=BB450_13 Depth=1
	s_or_b32 exec_lo, exec_lo, s24
.LBB450_587:                            ;   in Loop: Header=BB450_13 Depth=1
	s_delay_alu instid0(SALU_CYCLE_1)
	s_or_b32 exec_lo, exec_lo, s23
.LBB450_588:                            ;   in Loop: Header=BB450_13 Depth=1
	s_delay_alu instid0(SALU_CYCLE_1) | instskip(NEXT) | instid1(VALU_DEP_1)
	s_or_b32 exec_lo, exec_lo, s22
	v_mul_f32_e32 v0, v121, v1
	s_delay_alu instid0(VALU_DEP_1) | instskip(NEXT) | instid1(VALU_DEP_1)
	v_and_b32_e32 v1, 0x7f800000, v0
	v_cmp_ne_u32_e64 s2, 0x7f800000, v1
                                        ; implicit-def: $vgpr1
                                        ; kill: killed $vgpr1
	s_delay_alu instid0(VALU_DEP_1) | instskip(NEXT) | instid1(SALU_CYCLE_1)
	s_and_saveexec_b32 s22, s2
	s_xor_b32 s2, exec_lo, s22
	s_cbranch_execz .LBB450_590
; %bb.589:                              ;   in Loop: Header=BB450_13 Depth=1
	v_bfe_u32 v1, v0, 16, 1
	s_delay_alu instid0(VALU_DEP_1)
	v_add3_u32 v0, v0, v1, 0x7fff
	scratch_store_b32 off, v0, s32 offset:532 ; 4-byte Folded Spill
                                        ; implicit-def: $vgpr0
.LBB450_590:                            ;   in Loop: Header=BB450_13 Depth=1
	s_and_not1_saveexec_b32 s22, s2
	s_cbranch_execz .LBB450_592
; %bb.591:                              ;   in Loop: Header=BB450_13 Depth=1
	v_and_b32_e32 v1, 0xffff, v0
	v_or_b32_e32 v2, 0x10000, v0
	s_delay_alu instid0(VALU_DEP_2) | instskip(NEXT) | instid1(VALU_DEP_1)
	v_cmp_eq_u32_e64 s2, 0, v1
	v_cndmask_b32_e64 v0, v2, v0, s2
	scratch_store_b32 off, v0, s32 offset:532 ; 4-byte Folded Spill
.LBB450_592:                            ;   in Loop: Header=BB450_13 Depth=1
	s_or_b32 exec_lo, exec_lo, s22
	flat_load_b64 v[33:34], v[31:32] offset:1536
	s_mov_b32 s22, exec_lo
	s_waitcnt vmcnt(0) lgkmcnt(0)
	v_dual_mov_b32 v0, 0 :: v_dual_and_b32 v1, 0xff, v33
	s_delay_alu instid0(VALU_DEP_1)
	v_cmpx_ne_u16_e32 0, v1
	s_cbranch_execz .LBB450_600
; %bb.593:                              ;   in Loop: Header=BB450_13 Depth=1
	v_bfrev_b32_e32 v0, 1
	s_mov_b32 s23, exec_lo
	v_cmpx_ne_u16_e32 0x80, v1
	s_cbranch_execz .LBB450_599
; %bb.594:                              ;   in Loop: Header=BB450_13 Depth=1
	v_and_b32_e32 v1, 0x7f, v33
	v_mov_b32_e32 v0, 0x7f800001
	s_mov_b32 s24, exec_lo
	s_delay_alu instid0(VALU_DEP_2)
	v_cmpx_ne_u32_e32 0x7f, v1
	s_cbranch_execz .LBB450_598
; %bb.595:                              ;   in Loop: Header=BB450_13 Depth=1
	v_lshrrev_b32_e32 v0, 3, v1
	v_dual_mov_b32 v36, v34 :: v_dual_mov_b32 v35, v33
	s_mov_b32 s25, exec_lo
	v_cmpx_gt_u32_e32 8, v1
; %bb.596:                              ;   in Loop: Header=BB450_13 Depth=1
	v_and_b32_e32 v0, 7, v33
	s_delay_alu instid0(VALU_DEP_1) | instskip(NEXT) | instid1(VALU_DEP_1)
	v_clz_i32_u32_e32 v0, v0
	v_min_u32_e32 v0, 32, v0
	s_delay_alu instid0(VALU_DEP_1) | instskip(SKIP_1) | instid1(VALU_DEP_2)
	v_subrev_nc_u32_e32 v1, 28, v0
	v_sub_nc_u32_e32 v0, 29, v0
	v_lshlrev_b64 v[35:36], v1, v[33:34]
; %bb.597:                              ;   in Loop: Header=BB450_13 Depth=1
	s_or_b32 exec_lo, exec_lo, s25
	s_delay_alu instid0(VALU_DEP_1) | instskip(SKIP_2) | instid1(VALU_DEP_3)
	v_lshlrev_b32_e32 v1, 20, v35
	v_lshlrev_b32_e32 v2, 24, v33
	v_lshl_add_u32 v0, v0, 23, 0x3c000000
	v_and_b32_e32 v1, 0x700000, v1
	s_delay_alu instid0(VALU_DEP_3) | instskip(NEXT) | instid1(VALU_DEP_1)
	v_and_b32_e32 v2, 0x80000000, v2
	v_or3_b32 v0, v1, v2, v0
.LBB450_598:                            ;   in Loop: Header=BB450_13 Depth=1
	s_or_b32 exec_lo, exec_lo, s24
.LBB450_599:                            ;   in Loop: Header=BB450_13 Depth=1
	s_delay_alu instid0(SALU_CYCLE_1)
	s_or_b32 exec_lo, exec_lo, s23
.LBB450_600:                            ;   in Loop: Header=BB450_13 Depth=1
	s_delay_alu instid0(SALU_CYCLE_1) | instskip(NEXT) | instid1(VALU_DEP_1)
	s_or_b32 exec_lo, exec_lo, s22
	v_mul_f32_e32 v0, v121, v0
	s_delay_alu instid0(VALU_DEP_1) | instskip(NEXT) | instid1(VALU_DEP_1)
	v_and_b32_e32 v1, 0x7f800000, v0
	v_cmp_ne_u32_e64 s2, 0x7f800000, v1
                                        ; implicit-def: $vgpr1
                                        ; kill: killed $vgpr1
	s_delay_alu instid0(VALU_DEP_1) | instskip(NEXT) | instid1(SALU_CYCLE_1)
	s_and_saveexec_b32 s22, s2
	s_xor_b32 s2, exec_lo, s22
	s_cbranch_execz .LBB450_602
; %bb.601:                              ;   in Loop: Header=BB450_13 Depth=1
	v_bfe_u32 v1, v0, 16, 1
	s_delay_alu instid0(VALU_DEP_1)
	v_add3_u32 v0, v0, v1, 0x7fff
	scratch_store_b32 off, v0, s32 offset:536 ; 4-byte Folded Spill
                                        ; implicit-def: $vgpr0
.LBB450_602:                            ;   in Loop: Header=BB450_13 Depth=1
	s_and_not1_saveexec_b32 s22, s2
	s_cbranch_execz .LBB450_604
; %bb.603:                              ;   in Loop: Header=BB450_13 Depth=1
	v_and_b32_e32 v1, 0xffff, v0
	v_or_b32_e32 v2, 0x10000, v0
	s_delay_alu instid0(VALU_DEP_2) | instskip(NEXT) | instid1(VALU_DEP_1)
	v_cmp_eq_u32_e64 s2, 0, v1
	v_cndmask_b32_e64 v0, v2, v0, s2
	scratch_store_b32 off, v0, s32 offset:536 ; 4-byte Folded Spill
.LBB450_604:                            ;   in Loop: Header=BB450_13 Depth=1
	s_or_b32 exec_lo, exec_lo, s22
	v_lshrrev_b16 v1, 8, v33
	v_mov_b32_e32 v0, 0
	s_mov_b32 s22, exec_lo
	s_delay_alu instid0(VALU_DEP_2)
	v_cmpx_ne_u16_e32 0, v1
	s_cbranch_execz .LBB450_612
; %bb.605:                              ;   in Loop: Header=BB450_13 Depth=1
	v_bfrev_b32_e32 v0, 1
	s_mov_b32 s23, exec_lo
	v_cmpx_ne_u16_e32 0x80, v1
	s_cbranch_execz .LBB450_611
; %bb.606:                              ;   in Loop: Header=BB450_13 Depth=1
	v_and_b32_e32 v2, 0xffff, v1
	v_mov_b32_e32 v0, 0x7f800001
	s_mov_b32 s24, exec_lo
	s_delay_alu instid0(VALU_DEP_2) | instskip(NEXT) | instid1(VALU_DEP_1)
	v_and_b32_e32 v1, 0x7f, v2
	v_cmpx_ne_u32_e32 0x7f, v1
	s_cbranch_execz .LBB450_610
; %bb.607:                              ;   in Loop: Header=BB450_13 Depth=1
	v_and_b32_e32 v19, 7, v2
	v_lshrrev_b32_e32 v0, 3, v1
	v_mov_b32_e32 v36, v20
	s_mov_b32 s25, exec_lo
	s_delay_alu instid0(VALU_DEP_3)
	v_mov_b32_e32 v35, v19
	v_cmpx_gt_u32_e32 8, v1
; %bb.608:                              ;   in Loop: Header=BB450_13 Depth=1
	v_clz_i32_u32_e32 v0, v19
	s_delay_alu instid0(VALU_DEP_1) | instskip(NEXT) | instid1(VALU_DEP_1)
	v_min_u32_e32 v0, 32, v0
	v_subrev_nc_u32_e32 v1, 28, v0
	v_sub_nc_u32_e32 v0, 29, v0
	s_delay_alu instid0(VALU_DEP_2) | instskip(NEXT) | instid1(VALU_DEP_1)
	v_lshlrev_b64 v[1:2], v1, v[19:20]
	v_and_b32_e32 v35, 7, v1
; %bb.609:                              ;   in Loop: Header=BB450_13 Depth=1
	s_or_b32 exec_lo, exec_lo, s25
	v_lshlrev_b32_e32 v1, 16, v33
	s_delay_alu instid0(VALU_DEP_2) | instskip(SKIP_1) | instid1(VALU_DEP_3)
	v_lshlrev_b32_e32 v2, 20, v35
	v_lshl_add_u32 v0, v0, 23, 0x3c000000
	v_and_b32_e32 v1, 0x80000000, v1
	s_delay_alu instid0(VALU_DEP_1)
	v_or3_b32 v0, v2, v1, v0
.LBB450_610:                            ;   in Loop: Header=BB450_13 Depth=1
	s_or_b32 exec_lo, exec_lo, s24
.LBB450_611:                            ;   in Loop: Header=BB450_13 Depth=1
	s_delay_alu instid0(SALU_CYCLE_1)
	s_or_b32 exec_lo, exec_lo, s23
.LBB450_612:                            ;   in Loop: Header=BB450_13 Depth=1
	s_delay_alu instid0(SALU_CYCLE_1) | instskip(NEXT) | instid1(VALU_DEP_1)
	s_or_b32 exec_lo, exec_lo, s22
	v_mul_f32_e32 v0, v121, v0
	s_delay_alu instid0(VALU_DEP_1) | instskip(NEXT) | instid1(VALU_DEP_1)
	v_and_b32_e32 v1, 0x7f800000, v0
	v_cmp_ne_u32_e64 s2, 0x7f800000, v1
                                        ; implicit-def: $vgpr1
                                        ; kill: killed $vgpr1
	s_delay_alu instid0(VALU_DEP_1) | instskip(NEXT) | instid1(SALU_CYCLE_1)
	s_and_saveexec_b32 s22, s2
	s_xor_b32 s2, exec_lo, s22
	s_cbranch_execz .LBB450_614
; %bb.613:                              ;   in Loop: Header=BB450_13 Depth=1
	v_bfe_u32 v1, v0, 16, 1
	s_delay_alu instid0(VALU_DEP_1)
	v_add3_u32 v0, v0, v1, 0x7fff
	scratch_store_b32 off, v0, s32 offset:540 ; 4-byte Folded Spill
                                        ; implicit-def: $vgpr0
.LBB450_614:                            ;   in Loop: Header=BB450_13 Depth=1
	s_and_not1_saveexec_b32 s22, s2
	s_cbranch_execz .LBB450_616
; %bb.615:                              ;   in Loop: Header=BB450_13 Depth=1
	v_and_b32_e32 v1, 0xffff, v0
	v_or_b32_e32 v2, 0x10000, v0
	s_delay_alu instid0(VALU_DEP_2) | instskip(NEXT) | instid1(VALU_DEP_1)
	v_cmp_eq_u32_e64 s2, 0, v1
	v_cndmask_b32_e64 v0, v2, v0, s2
	scratch_store_b32 off, v0, s32 offset:540 ; 4-byte Folded Spill
.LBB450_616:                            ;   in Loop: Header=BB450_13 Depth=1
	s_or_b32 exec_lo, exec_lo, s22
	v_lshrrev_b32_e32 v0, 16, v33
	s_mov_b32 s22, exec_lo
	s_delay_alu instid0(VALU_DEP_1) | instskip(NEXT) | instid1(VALU_DEP_1)
	v_dual_mov_b32 v1, 0 :: v_dual_and_b32 v2, 0xff, v0
	v_cmpx_ne_u16_e32 0, v2
	s_cbranch_execz .LBB450_624
; %bb.617:                              ;   in Loop: Header=BB450_13 Depth=1
	v_bfrev_b32_e32 v1, 1
	s_mov_b32 s23, exec_lo
	v_cmpx_ne_u16_e32 0x80, v2
	s_cbranch_execz .LBB450_623
; %bb.618:                              ;   in Loop: Header=BB450_13 Depth=1
	v_bfe_u32 v2, v33, 16, 7
	v_mov_b32_e32 v1, 0x7f800001
	s_mov_b32 s24, exec_lo
	s_delay_alu instid0(VALU_DEP_2)
	v_cmpx_ne_u32_e32 0x7f, v2
	s_cbranch_execz .LBB450_622
; %bb.619:                              ;   in Loop: Header=BB450_13 Depth=1
	v_and_b32_e32 v19, 7, v0
	v_lshrrev_b32_e32 v1, 3, v2
	v_mov_b32_e32 v36, v20
	s_mov_b32 s25, exec_lo
	s_delay_alu instid0(VALU_DEP_3)
	v_mov_b32_e32 v35, v19
	v_cmpx_gt_u32_e32 8, v2
; %bb.620:                              ;   in Loop: Header=BB450_13 Depth=1
	v_clz_i32_u32_e32 v1, v19
	s_delay_alu instid0(VALU_DEP_1) | instskip(NEXT) | instid1(VALU_DEP_1)
	v_min_u32_e32 v1, 32, v1
	v_subrev_nc_u32_e32 v2, 28, v1
	v_sub_nc_u32_e32 v1, 29, v1
	s_delay_alu instid0(VALU_DEP_2) | instskip(NEXT) | instid1(VALU_DEP_1)
	v_lshlrev_b64 v[2:3], v2, v[19:20]
	v_and_b32_e32 v35, 7, v2
; %bb.621:                              ;   in Loop: Header=BB450_13 Depth=1
	s_or_b32 exec_lo, exec_lo, s25
	v_lshlrev_b32_e32 v0, 24, v0
	s_delay_alu instid0(VALU_DEP_2) | instskip(SKIP_1) | instid1(VALU_DEP_3)
	v_lshlrev_b32_e32 v2, 20, v35
	v_lshl_add_u32 v1, v1, 23, 0x3c000000
	v_and_b32_e32 v0, 0x80000000, v0
	s_delay_alu instid0(VALU_DEP_1)
	v_or3_b32 v1, v2, v0, v1
.LBB450_622:                            ;   in Loop: Header=BB450_13 Depth=1
	s_or_b32 exec_lo, exec_lo, s24
.LBB450_623:                            ;   in Loop: Header=BB450_13 Depth=1
	s_delay_alu instid0(SALU_CYCLE_1)
	s_or_b32 exec_lo, exec_lo, s23
.LBB450_624:                            ;   in Loop: Header=BB450_13 Depth=1
	s_delay_alu instid0(SALU_CYCLE_1) | instskip(NEXT) | instid1(VALU_DEP_1)
	s_or_b32 exec_lo, exec_lo, s22
	v_mul_f32_e32 v0, v121, v1
	s_delay_alu instid0(VALU_DEP_1) | instskip(NEXT) | instid1(VALU_DEP_1)
	v_and_b32_e32 v1, 0x7f800000, v0
	v_cmp_ne_u32_e64 s2, 0x7f800000, v1
                                        ; implicit-def: $vgpr1
                                        ; kill: killed $vgpr1
	s_delay_alu instid0(VALU_DEP_1) | instskip(NEXT) | instid1(SALU_CYCLE_1)
	s_and_saveexec_b32 s22, s2
	s_xor_b32 s2, exec_lo, s22
	s_cbranch_execz .LBB450_626
; %bb.625:                              ;   in Loop: Header=BB450_13 Depth=1
	v_bfe_u32 v1, v0, 16, 1
	s_delay_alu instid0(VALU_DEP_1)
	v_add3_u32 v0, v0, v1, 0x7fff
	scratch_store_b32 off, v0, s32 offset:544 ; 4-byte Folded Spill
                                        ; implicit-def: $vgpr0
.LBB450_626:                            ;   in Loop: Header=BB450_13 Depth=1
	s_and_not1_saveexec_b32 s22, s2
	s_cbranch_execz .LBB450_628
; %bb.627:                              ;   in Loop: Header=BB450_13 Depth=1
	v_and_b32_e32 v1, 0xffff, v0
	v_or_b32_e32 v2, 0x10000, v0
	s_delay_alu instid0(VALU_DEP_2) | instskip(NEXT) | instid1(VALU_DEP_1)
	v_cmp_eq_u32_e64 s2, 0, v1
	v_cndmask_b32_e64 v0, v2, v0, s2
	scratch_store_b32 off, v0, s32 offset:544 ; 4-byte Folded Spill
.LBB450_628:                            ;   in Loop: Header=BB450_13 Depth=1
	s_or_b32 exec_lo, exec_lo, s22
	v_mov_b32_e32 v1, 0
	s_mov_b32 s22, exec_lo
	v_cmpx_lt_u32_e32 0xffffff, v33
	s_cbranch_execz .LBB450_636
; %bb.629:                              ;   in Loop: Header=BB450_13 Depth=1
	v_lshrrev_b32_e32 v0, 24, v33
	v_bfrev_b32_e32 v1, 1
	s_mov_b32 s23, exec_lo
	s_delay_alu instid0(VALU_DEP_2)
	v_cmpx_ne_u32_e32 0x80, v0
	s_cbranch_execz .LBB450_635
; %bb.630:                              ;   in Loop: Header=BB450_13 Depth=1
	v_bfe_u32 v2, v33, 24, 7
	v_mov_b32_e32 v1, 0x7f800001
	s_mov_b32 s24, exec_lo
	s_delay_alu instid0(VALU_DEP_2)
	v_cmpx_ne_u32_e32 0x7f, v2
	s_cbranch_execz .LBB450_634
; %bb.631:                              ;   in Loop: Header=BB450_13 Depth=1
	v_and_b32_e32 v19, 7, v0
	v_lshrrev_b32_e32 v1, 3, v2
	v_mov_b32_e32 v36, v20
	s_mov_b32 s25, exec_lo
	s_delay_alu instid0(VALU_DEP_3)
	v_mov_b32_e32 v35, v19
	v_cmpx_gt_u32_e32 8, v2
; %bb.632:                              ;   in Loop: Header=BB450_13 Depth=1
	v_clz_i32_u32_e32 v1, v19
	s_delay_alu instid0(VALU_DEP_1) | instskip(NEXT) | instid1(VALU_DEP_1)
	v_min_u32_e32 v1, 32, v1
	v_subrev_nc_u32_e32 v2, 28, v1
	v_sub_nc_u32_e32 v1, 29, v1
	s_delay_alu instid0(VALU_DEP_2) | instskip(NEXT) | instid1(VALU_DEP_1)
	v_lshlrev_b64 v[2:3], v2, v[19:20]
	v_and_b32_e32 v35, 7, v2
; %bb.633:                              ;   in Loop: Header=BB450_13 Depth=1
	s_or_b32 exec_lo, exec_lo, s25
	v_lshlrev_b32_e32 v0, 24, v0
	s_delay_alu instid0(VALU_DEP_2) | instskip(SKIP_1) | instid1(VALU_DEP_3)
	v_lshlrev_b32_e32 v2, 20, v35
	v_lshl_add_u32 v1, v1, 23, 0x3c000000
	v_and_b32_e32 v0, 0x80000000, v0
	s_delay_alu instid0(VALU_DEP_1)
	v_or3_b32 v1, v2, v0, v1
.LBB450_634:                            ;   in Loop: Header=BB450_13 Depth=1
	s_or_b32 exec_lo, exec_lo, s24
.LBB450_635:                            ;   in Loop: Header=BB450_13 Depth=1
	s_delay_alu instid0(SALU_CYCLE_1)
	s_or_b32 exec_lo, exec_lo, s23
.LBB450_636:                            ;   in Loop: Header=BB450_13 Depth=1
	s_delay_alu instid0(SALU_CYCLE_1) | instskip(NEXT) | instid1(VALU_DEP_1)
	s_or_b32 exec_lo, exec_lo, s22
	v_mul_f32_e32 v0, v121, v1
	s_delay_alu instid0(VALU_DEP_1) | instskip(NEXT) | instid1(VALU_DEP_1)
	v_and_b32_e32 v1, 0x7f800000, v0
	v_cmp_ne_u32_e64 s2, 0x7f800000, v1
                                        ; implicit-def: $vgpr1
                                        ; kill: killed $vgpr1
	s_delay_alu instid0(VALU_DEP_1) | instskip(NEXT) | instid1(SALU_CYCLE_1)
	s_and_saveexec_b32 s22, s2
	s_xor_b32 s2, exec_lo, s22
	s_cbranch_execz .LBB450_638
; %bb.637:                              ;   in Loop: Header=BB450_13 Depth=1
	v_bfe_u32 v1, v0, 16, 1
	s_delay_alu instid0(VALU_DEP_1)
	v_add3_u32 v0, v0, v1, 0x7fff
	scratch_store_b32 off, v0, s32 offset:548 ; 4-byte Folded Spill
                                        ; implicit-def: $vgpr0
.LBB450_638:                            ;   in Loop: Header=BB450_13 Depth=1
	s_and_not1_saveexec_b32 s22, s2
	s_cbranch_execz .LBB450_640
; %bb.639:                              ;   in Loop: Header=BB450_13 Depth=1
	v_and_b32_e32 v1, 0xffff, v0
	v_or_b32_e32 v2, 0x10000, v0
	s_delay_alu instid0(VALU_DEP_2) | instskip(NEXT) | instid1(VALU_DEP_1)
	v_cmp_eq_u32_e64 s2, 0, v1
	v_cndmask_b32_e64 v0, v2, v0, s2
	scratch_store_b32 off, v0, s32 offset:548 ; 4-byte Folded Spill
.LBB450_640:                            ;   in Loop: Header=BB450_13 Depth=1
	s_or_b32 exec_lo, exec_lo, s22
	v_dual_mov_b32 v0, 0 :: v_dual_and_b32 v1, 0xff, v34
	v_mov_b32_e32 v19, v34
	s_mov_b32 s22, exec_lo
	s_delay_alu instid0(VALU_DEP_2)
	v_cmpx_ne_u16_e32 0, v1
	s_cbranch_execz .LBB450_648
; %bb.641:                              ;   in Loop: Header=BB450_13 Depth=1
	v_bfrev_b32_e32 v0, 1
	s_mov_b32 s23, exec_lo
	v_cmpx_ne_u16_e32 0x80, v1
	s_cbranch_execz .LBB450_647
; %bb.642:                              ;   in Loop: Header=BB450_13 Depth=1
	v_and_b32_e32 v1, 0x7f, v34
	v_mov_b32_e32 v0, 0x7f800001
	s_mov_b32 s24, exec_lo
	s_delay_alu instid0(VALU_DEP_2)
	v_cmpx_ne_u32_e32 0x7f, v1
	s_cbranch_execz .LBB450_646
; %bb.643:                              ;   in Loop: Header=BB450_13 Depth=1
	v_lshrrev_b32_e32 v0, 3, v1
	v_dual_mov_b32 v36, v20 :: v_dual_mov_b32 v35, v19
	s_mov_b32 s25, exec_lo
	v_cmpx_gt_u32_e32 8, v1
; %bb.644:                              ;   in Loop: Header=BB450_13 Depth=1
	v_and_b32_e32 v0, 7, v34
	s_delay_alu instid0(VALU_DEP_1) | instskip(NEXT) | instid1(VALU_DEP_1)
	v_clz_i32_u32_e32 v0, v0
	v_min_u32_e32 v0, 32, v0
	s_delay_alu instid0(VALU_DEP_1) | instskip(SKIP_1) | instid1(VALU_DEP_2)
	v_subrev_nc_u32_e32 v1, 28, v0
	v_sub_nc_u32_e32 v0, 29, v0
	v_lshlrev_b64 v[35:36], v1, v[19:20]
; %bb.645:                              ;   in Loop: Header=BB450_13 Depth=1
	s_or_b32 exec_lo, exec_lo, s25
	s_delay_alu instid0(VALU_DEP_1) | instskip(SKIP_2) | instid1(VALU_DEP_3)
	v_lshlrev_b32_e32 v1, 20, v35
	v_lshlrev_b32_e32 v2, 24, v19
	v_lshl_add_u32 v0, v0, 23, 0x3c000000
	v_and_b32_e32 v1, 0x700000, v1
	s_delay_alu instid0(VALU_DEP_3) | instskip(NEXT) | instid1(VALU_DEP_1)
	v_and_b32_e32 v2, 0x80000000, v2
	v_or3_b32 v0, v1, v2, v0
.LBB450_646:                            ;   in Loop: Header=BB450_13 Depth=1
	s_or_b32 exec_lo, exec_lo, s24
.LBB450_647:                            ;   in Loop: Header=BB450_13 Depth=1
	s_delay_alu instid0(SALU_CYCLE_1)
	s_or_b32 exec_lo, exec_lo, s23
.LBB450_648:                            ;   in Loop: Header=BB450_13 Depth=1
	s_delay_alu instid0(SALU_CYCLE_1) | instskip(NEXT) | instid1(VALU_DEP_1)
	s_or_b32 exec_lo, exec_lo, s22
	v_mul_f32_e32 v0, v121, v0
	s_delay_alu instid0(VALU_DEP_1) | instskip(NEXT) | instid1(VALU_DEP_1)
	v_and_b32_e32 v1, 0x7f800000, v0
	v_cmp_ne_u32_e64 s2, 0x7f800000, v1
                                        ; implicit-def: $vgpr1
                                        ; kill: killed $vgpr1
	s_delay_alu instid0(VALU_DEP_1) | instskip(NEXT) | instid1(SALU_CYCLE_1)
	s_and_saveexec_b32 s22, s2
	s_xor_b32 s2, exec_lo, s22
	s_cbranch_execz .LBB450_650
; %bb.649:                              ;   in Loop: Header=BB450_13 Depth=1
	v_bfe_u32 v1, v0, 16, 1
	s_delay_alu instid0(VALU_DEP_1)
	v_add3_u32 v0, v0, v1, 0x7fff
	scratch_store_b32 off, v0, s32 offset:552 ; 4-byte Folded Spill
                                        ; implicit-def: $vgpr0
.LBB450_650:                            ;   in Loop: Header=BB450_13 Depth=1
	s_and_not1_saveexec_b32 s22, s2
	s_cbranch_execz .LBB450_652
; %bb.651:                              ;   in Loop: Header=BB450_13 Depth=1
	v_and_b32_e32 v1, 0xffff, v0
	v_or_b32_e32 v2, 0x10000, v0
	s_delay_alu instid0(VALU_DEP_2) | instskip(NEXT) | instid1(VALU_DEP_1)
	v_cmp_eq_u32_e64 s2, 0, v1
	v_cndmask_b32_e64 v0, v2, v0, s2
	scratch_store_b32 off, v0, s32 offset:552 ; 4-byte Folded Spill
.LBB450_652:                            ;   in Loop: Header=BB450_13 Depth=1
	s_or_b32 exec_lo, exec_lo, s22
	v_lshrrev_b16 v1, 8, v19
	v_mov_b32_e32 v0, 0
	s_mov_b32 s22, exec_lo
	s_delay_alu instid0(VALU_DEP_2)
	v_cmpx_ne_u16_e32 0, v1
	s_cbranch_execz .LBB450_660
; %bb.653:                              ;   in Loop: Header=BB450_13 Depth=1
	v_bfrev_b32_e32 v0, 1
	s_mov_b32 s23, exec_lo
	v_cmpx_ne_u16_e32 0x80, v1
	s_cbranch_execz .LBB450_659
; %bb.654:                              ;   in Loop: Header=BB450_13 Depth=1
	v_and_b32_e32 v2, 0xffff, v1
	v_mov_b32_e32 v0, 0x7f800001
	s_mov_b32 s24, exec_lo
	s_delay_alu instid0(VALU_DEP_2) | instskip(NEXT) | instid1(VALU_DEP_1)
	v_and_b32_e32 v1, 0x7f, v2
	v_cmpx_ne_u32_e32 0x7f, v1
	s_cbranch_execz .LBB450_658
; %bb.655:                              ;   in Loop: Header=BB450_13 Depth=1
	v_dual_mov_b32 v36, v20 :: v_dual_and_b32 v35, 7, v2
	v_lshrrev_b32_e32 v0, 3, v1
	s_mov_b32 s25, exec_lo
	v_cmpx_gt_u32_e32 8, v1
; %bb.656:                              ;   in Loop: Header=BB450_13 Depth=1
	s_delay_alu instid0(VALU_DEP_3) | instskip(NEXT) | instid1(VALU_DEP_1)
	v_clz_i32_u32_e32 v0, v35
	v_min_u32_e32 v0, 32, v0
	s_delay_alu instid0(VALU_DEP_1) | instskip(SKIP_1) | instid1(VALU_DEP_2)
	v_subrev_nc_u32_e32 v1, 28, v0
	v_sub_nc_u32_e32 v0, 29, v0
	v_lshlrev_b64 v[1:2], v1, v[35:36]
	s_delay_alu instid0(VALU_DEP_1)
	v_and_b32_e32 v35, 7, v1
; %bb.657:                              ;   in Loop: Header=BB450_13 Depth=1
	s_or_b32 exec_lo, exec_lo, s25
	v_lshlrev_b32_e32 v1, 16, v19
	s_delay_alu instid0(VALU_DEP_2) | instskip(SKIP_1) | instid1(VALU_DEP_3)
	v_lshlrev_b32_e32 v2, 20, v35
	v_lshl_add_u32 v0, v0, 23, 0x3c000000
	v_and_b32_e32 v1, 0x80000000, v1
	s_delay_alu instid0(VALU_DEP_1)
	v_or3_b32 v0, v2, v1, v0
.LBB450_658:                            ;   in Loop: Header=BB450_13 Depth=1
	s_or_b32 exec_lo, exec_lo, s24
.LBB450_659:                            ;   in Loop: Header=BB450_13 Depth=1
	s_delay_alu instid0(SALU_CYCLE_1)
	s_or_b32 exec_lo, exec_lo, s23
.LBB450_660:                            ;   in Loop: Header=BB450_13 Depth=1
	s_delay_alu instid0(SALU_CYCLE_1) | instskip(NEXT) | instid1(VALU_DEP_1)
	s_or_b32 exec_lo, exec_lo, s22
	v_mul_f32_e32 v0, v121, v0
	s_delay_alu instid0(VALU_DEP_1) | instskip(NEXT) | instid1(VALU_DEP_1)
	v_and_b32_e32 v1, 0x7f800000, v0
	v_cmp_ne_u32_e64 s2, 0x7f800000, v1
                                        ; implicit-def: $vgpr1
                                        ; kill: killed $vgpr1
	s_delay_alu instid0(VALU_DEP_1) | instskip(NEXT) | instid1(SALU_CYCLE_1)
	s_and_saveexec_b32 s22, s2
	s_xor_b32 s2, exec_lo, s22
	s_cbranch_execz .LBB450_662
; %bb.661:                              ;   in Loop: Header=BB450_13 Depth=1
	v_bfe_u32 v1, v0, 16, 1
	s_delay_alu instid0(VALU_DEP_1)
	v_add3_u32 v0, v0, v1, 0x7fff
	scratch_store_b32 off, v0, s32 offset:556 ; 4-byte Folded Spill
                                        ; implicit-def: $vgpr0
.LBB450_662:                            ;   in Loop: Header=BB450_13 Depth=1
	s_and_not1_saveexec_b32 s22, s2
	s_cbranch_execz .LBB450_664
; %bb.663:                              ;   in Loop: Header=BB450_13 Depth=1
	v_and_b32_e32 v1, 0xffff, v0
	v_or_b32_e32 v2, 0x10000, v0
	s_delay_alu instid0(VALU_DEP_2) | instskip(NEXT) | instid1(VALU_DEP_1)
	v_cmp_eq_u32_e64 s2, 0, v1
	v_cndmask_b32_e64 v0, v2, v0, s2
	scratch_store_b32 off, v0, s32 offset:556 ; 4-byte Folded Spill
.LBB450_664:                            ;   in Loop: Header=BB450_13 Depth=1
	s_or_b32 exec_lo, exec_lo, s22
	v_lshrrev_b32_e32 v0, 16, v34
	s_mov_b32 s22, exec_lo
	s_delay_alu instid0(VALU_DEP_1) | instskip(NEXT) | instid1(VALU_DEP_1)
	v_dual_mov_b32 v1, 0 :: v_dual_and_b32 v2, 0xff, v0
	v_cmpx_ne_u16_e32 0, v2
	s_cbranch_execz .LBB450_672
; %bb.665:                              ;   in Loop: Header=BB450_13 Depth=1
	v_bfrev_b32_e32 v1, 1
	s_mov_b32 s23, exec_lo
	v_cmpx_ne_u16_e32 0x80, v2
	s_cbranch_execz .LBB450_671
; %bb.666:                              ;   in Loop: Header=BB450_13 Depth=1
	v_bfe_u32 v2, v34, 16, 7
	v_mov_b32_e32 v1, 0x7f800001
	s_mov_b32 s24, exec_lo
	s_delay_alu instid0(VALU_DEP_2)
	v_cmpx_ne_u32_e32 0x7f, v2
	s_cbranch_execz .LBB450_670
; %bb.667:                              ;   in Loop: Header=BB450_13 Depth=1
	v_and_b32_e32 v19, 7, v0
	v_lshrrev_b32_e32 v1, 3, v2
	v_mov_b32_e32 v36, v20
	s_mov_b32 s25, exec_lo
	s_delay_alu instid0(VALU_DEP_3)
	v_mov_b32_e32 v35, v19
	v_cmpx_gt_u32_e32 8, v2
; %bb.668:                              ;   in Loop: Header=BB450_13 Depth=1
	v_clz_i32_u32_e32 v1, v19
	s_delay_alu instid0(VALU_DEP_1) | instskip(NEXT) | instid1(VALU_DEP_1)
	v_min_u32_e32 v1, 32, v1
	v_subrev_nc_u32_e32 v2, 28, v1
	v_sub_nc_u32_e32 v1, 29, v1
	s_delay_alu instid0(VALU_DEP_2) | instskip(NEXT) | instid1(VALU_DEP_1)
	v_lshlrev_b64 v[2:3], v2, v[19:20]
	v_and_b32_e32 v35, 7, v2
; %bb.669:                              ;   in Loop: Header=BB450_13 Depth=1
	s_or_b32 exec_lo, exec_lo, s25
	v_lshlrev_b32_e32 v0, 24, v0
	s_delay_alu instid0(VALU_DEP_2) | instskip(SKIP_1) | instid1(VALU_DEP_3)
	v_lshlrev_b32_e32 v2, 20, v35
	v_lshl_add_u32 v1, v1, 23, 0x3c000000
	v_and_b32_e32 v0, 0x80000000, v0
	s_delay_alu instid0(VALU_DEP_1)
	v_or3_b32 v1, v2, v0, v1
.LBB450_670:                            ;   in Loop: Header=BB450_13 Depth=1
	s_or_b32 exec_lo, exec_lo, s24
.LBB450_671:                            ;   in Loop: Header=BB450_13 Depth=1
	s_delay_alu instid0(SALU_CYCLE_1)
	s_or_b32 exec_lo, exec_lo, s23
.LBB450_672:                            ;   in Loop: Header=BB450_13 Depth=1
	s_delay_alu instid0(SALU_CYCLE_1) | instskip(NEXT) | instid1(VALU_DEP_1)
	s_or_b32 exec_lo, exec_lo, s22
	v_mul_f32_e32 v0, v121, v1
	s_delay_alu instid0(VALU_DEP_1) | instskip(NEXT) | instid1(VALU_DEP_1)
	v_and_b32_e32 v1, 0x7f800000, v0
	v_cmp_ne_u32_e64 s2, 0x7f800000, v1
                                        ; implicit-def: $vgpr1
                                        ; kill: killed $vgpr1
	s_delay_alu instid0(VALU_DEP_1) | instskip(NEXT) | instid1(SALU_CYCLE_1)
	s_and_saveexec_b32 s22, s2
	s_xor_b32 s2, exec_lo, s22
	s_cbranch_execz .LBB450_674
; %bb.673:                              ;   in Loop: Header=BB450_13 Depth=1
	v_bfe_u32 v1, v0, 16, 1
	s_delay_alu instid0(VALU_DEP_1)
	v_add3_u32 v0, v0, v1, 0x7fff
	scratch_store_b32 off, v0, s32 offset:560 ; 4-byte Folded Spill
                                        ; implicit-def: $vgpr0
.LBB450_674:                            ;   in Loop: Header=BB450_13 Depth=1
	s_and_not1_saveexec_b32 s22, s2
	s_cbranch_execz .LBB450_676
; %bb.675:                              ;   in Loop: Header=BB450_13 Depth=1
	v_and_b32_e32 v1, 0xffff, v0
	v_or_b32_e32 v2, 0x10000, v0
	s_delay_alu instid0(VALU_DEP_2) | instskip(NEXT) | instid1(VALU_DEP_1)
	v_cmp_eq_u32_e64 s2, 0, v1
	v_cndmask_b32_e64 v0, v2, v0, s2
	scratch_store_b32 off, v0, s32 offset:560 ; 4-byte Folded Spill
.LBB450_676:                            ;   in Loop: Header=BB450_13 Depth=1
	s_or_b32 exec_lo, exec_lo, s22
	v_mov_b32_e32 v1, 0
	s_mov_b32 s22, exec_lo
	v_cmpx_lt_u64_e64 s[8:9], v[33:34]
	s_cbranch_execz .LBB450_684
; %bb.677:                              ;   in Loop: Header=BB450_13 Depth=1
	v_lshrrev_b32_e32 v0, 24, v34
	v_bfrev_b32_e32 v1, 1
	s_mov_b32 s23, exec_lo
	s_delay_alu instid0(VALU_DEP_2)
	v_cmpx_ne_u32_e32 0x80, v0
	s_cbranch_execz .LBB450_683
; %bb.678:                              ;   in Loop: Header=BB450_13 Depth=1
	v_bfe_u32 v2, v34, 24, 7
	v_mov_b32_e32 v1, 0x7f800001
	s_mov_b32 s24, exec_lo
	s_delay_alu instid0(VALU_DEP_2)
	v_cmpx_ne_u32_e32 0x7f, v2
	s_cbranch_execz .LBB450_682
; %bb.679:                              ;   in Loop: Header=BB450_13 Depth=1
	v_and_b32_e32 v19, 7, v0
	v_lshrrev_b32_e32 v1, 3, v2
	v_mov_b32_e32 v34, v20
	s_mov_b32 s25, exec_lo
	s_delay_alu instid0(VALU_DEP_3)
	v_mov_b32_e32 v33, v19
	v_cmpx_gt_u32_e32 8, v2
; %bb.680:                              ;   in Loop: Header=BB450_13 Depth=1
	v_clz_i32_u32_e32 v1, v19
	s_delay_alu instid0(VALU_DEP_1) | instskip(NEXT) | instid1(VALU_DEP_1)
	v_min_u32_e32 v1, 32, v1
	v_subrev_nc_u32_e32 v2, 28, v1
	v_sub_nc_u32_e32 v1, 29, v1
	s_delay_alu instid0(VALU_DEP_2) | instskip(NEXT) | instid1(VALU_DEP_1)
	v_lshlrev_b64 v[2:3], v2, v[19:20]
	v_and_b32_e32 v33, 7, v2
; %bb.681:                              ;   in Loop: Header=BB450_13 Depth=1
	s_or_b32 exec_lo, exec_lo, s25
	v_lshlrev_b32_e32 v0, 24, v0
	s_delay_alu instid0(VALU_DEP_2) | instskip(SKIP_1) | instid1(VALU_DEP_3)
	v_lshlrev_b32_e32 v2, 20, v33
	v_lshl_add_u32 v1, v1, 23, 0x3c000000
	v_and_b32_e32 v0, 0x80000000, v0
	s_delay_alu instid0(VALU_DEP_1)
	v_or3_b32 v1, v2, v0, v1
.LBB450_682:                            ;   in Loop: Header=BB450_13 Depth=1
	s_or_b32 exec_lo, exec_lo, s24
.LBB450_683:                            ;   in Loop: Header=BB450_13 Depth=1
	s_delay_alu instid0(SALU_CYCLE_1)
	s_or_b32 exec_lo, exec_lo, s23
.LBB450_684:                            ;   in Loop: Header=BB450_13 Depth=1
	s_delay_alu instid0(SALU_CYCLE_1) | instskip(NEXT) | instid1(VALU_DEP_1)
	s_or_b32 exec_lo, exec_lo, s22
	v_mul_f32_e32 v0, v121, v1
	s_delay_alu instid0(VALU_DEP_1) | instskip(NEXT) | instid1(VALU_DEP_1)
	v_and_b32_e32 v1, 0x7f800000, v0
	v_cmp_ne_u32_e64 s2, 0x7f800000, v1
                                        ; implicit-def: $vgpr1
                                        ; kill: killed $vgpr1
	s_delay_alu instid0(VALU_DEP_1) | instskip(NEXT) | instid1(SALU_CYCLE_1)
	s_and_saveexec_b32 s22, s2
	s_xor_b32 s2, exec_lo, s22
	s_cbranch_execz .LBB450_686
; %bb.685:                              ;   in Loop: Header=BB450_13 Depth=1
	v_bfe_u32 v1, v0, 16, 1
	s_delay_alu instid0(VALU_DEP_1)
	v_add3_u32 v0, v0, v1, 0x7fff
	scratch_store_b32 off, v0, s32 offset:564 ; 4-byte Folded Spill
                                        ; implicit-def: $vgpr0
.LBB450_686:                            ;   in Loop: Header=BB450_13 Depth=1
	s_and_not1_saveexec_b32 s22, s2
	s_cbranch_execz .LBB450_688
; %bb.687:                              ;   in Loop: Header=BB450_13 Depth=1
	v_and_b32_e32 v1, 0xffff, v0
	v_or_b32_e32 v2, 0x10000, v0
	s_delay_alu instid0(VALU_DEP_2) | instskip(NEXT) | instid1(VALU_DEP_1)
	v_cmp_eq_u32_e64 s2, 0, v1
	v_cndmask_b32_e64 v0, v2, v0, s2
	scratch_store_b32 off, v0, s32 offset:564 ; 4-byte Folded Spill
.LBB450_688:                            ;   in Loop: Header=BB450_13 Depth=1
	s_or_b32 exec_lo, exec_lo, s22
	flat_load_b64 v[33:34], v[31:32] offset:1544
	s_mov_b32 s22, exec_lo
	s_waitcnt vmcnt(0) lgkmcnt(0)
	v_dual_mov_b32 v0, 0 :: v_dual_and_b32 v1, 0xff, v33
	s_delay_alu instid0(VALU_DEP_1)
	v_cmpx_ne_u16_e32 0, v1
	s_cbranch_execz .LBB450_696
; %bb.689:                              ;   in Loop: Header=BB450_13 Depth=1
	v_bfrev_b32_e32 v0, 1
	s_mov_b32 s23, exec_lo
	v_cmpx_ne_u16_e32 0x80, v1
	s_cbranch_execz .LBB450_695
; %bb.690:                              ;   in Loop: Header=BB450_13 Depth=1
	v_and_b32_e32 v1, 0x7f, v33
	v_mov_b32_e32 v0, 0x7f800001
	s_mov_b32 s24, exec_lo
	s_delay_alu instid0(VALU_DEP_2)
	v_cmpx_ne_u32_e32 0x7f, v1
	s_cbranch_execz .LBB450_694
; %bb.691:                              ;   in Loop: Header=BB450_13 Depth=1
	v_lshrrev_b32_e32 v0, 3, v1
	v_dual_mov_b32 v36, v34 :: v_dual_mov_b32 v35, v33
	s_mov_b32 s25, exec_lo
	v_cmpx_gt_u32_e32 8, v1
; %bb.692:                              ;   in Loop: Header=BB450_13 Depth=1
	v_and_b32_e32 v0, 7, v33
	s_delay_alu instid0(VALU_DEP_1) | instskip(NEXT) | instid1(VALU_DEP_1)
	v_clz_i32_u32_e32 v0, v0
	v_min_u32_e32 v0, 32, v0
	s_delay_alu instid0(VALU_DEP_1) | instskip(SKIP_1) | instid1(VALU_DEP_2)
	v_subrev_nc_u32_e32 v1, 28, v0
	v_sub_nc_u32_e32 v0, 29, v0
	v_lshlrev_b64 v[35:36], v1, v[33:34]
; %bb.693:                              ;   in Loop: Header=BB450_13 Depth=1
	s_or_b32 exec_lo, exec_lo, s25
	s_delay_alu instid0(VALU_DEP_1) | instskip(SKIP_2) | instid1(VALU_DEP_3)
	v_lshlrev_b32_e32 v1, 20, v35
	v_lshlrev_b32_e32 v2, 24, v33
	v_lshl_add_u32 v0, v0, 23, 0x3c000000
	v_and_b32_e32 v1, 0x700000, v1
	s_delay_alu instid0(VALU_DEP_3) | instskip(NEXT) | instid1(VALU_DEP_1)
	v_and_b32_e32 v2, 0x80000000, v2
	v_or3_b32 v0, v1, v2, v0
.LBB450_694:                            ;   in Loop: Header=BB450_13 Depth=1
	s_or_b32 exec_lo, exec_lo, s24
.LBB450_695:                            ;   in Loop: Header=BB450_13 Depth=1
	s_delay_alu instid0(SALU_CYCLE_1)
	s_or_b32 exec_lo, exec_lo, s23
.LBB450_696:                            ;   in Loop: Header=BB450_13 Depth=1
	s_delay_alu instid0(SALU_CYCLE_1) | instskip(NEXT) | instid1(VALU_DEP_1)
	s_or_b32 exec_lo, exec_lo, s22
	v_mul_f32_e32 v0, v121, v0
	s_delay_alu instid0(VALU_DEP_1) | instskip(NEXT) | instid1(VALU_DEP_1)
	v_and_b32_e32 v1, 0x7f800000, v0
	v_cmp_ne_u32_e64 s2, 0x7f800000, v1
                                        ; implicit-def: $vgpr1
                                        ; kill: killed $vgpr1
	s_delay_alu instid0(VALU_DEP_1) | instskip(NEXT) | instid1(SALU_CYCLE_1)
	s_and_saveexec_b32 s22, s2
	s_xor_b32 s2, exec_lo, s22
	s_cbranch_execz .LBB450_698
; %bb.697:                              ;   in Loop: Header=BB450_13 Depth=1
	v_bfe_u32 v1, v0, 16, 1
	s_delay_alu instid0(VALU_DEP_1)
	v_add3_u32 v0, v0, v1, 0x7fff
	scratch_store_b32 off, v0, s32 offset:568 ; 4-byte Folded Spill
                                        ; implicit-def: $vgpr0
.LBB450_698:                            ;   in Loop: Header=BB450_13 Depth=1
	s_and_not1_saveexec_b32 s22, s2
	s_cbranch_execz .LBB450_700
; %bb.699:                              ;   in Loop: Header=BB450_13 Depth=1
	v_and_b32_e32 v1, 0xffff, v0
	v_or_b32_e32 v2, 0x10000, v0
	s_delay_alu instid0(VALU_DEP_2) | instskip(NEXT) | instid1(VALU_DEP_1)
	v_cmp_eq_u32_e64 s2, 0, v1
	v_cndmask_b32_e64 v0, v2, v0, s2
	scratch_store_b32 off, v0, s32 offset:568 ; 4-byte Folded Spill
.LBB450_700:                            ;   in Loop: Header=BB450_13 Depth=1
	s_or_b32 exec_lo, exec_lo, s22
	v_lshrrev_b16 v1, 8, v33
	v_mov_b32_e32 v0, 0
	s_mov_b32 s22, exec_lo
	s_delay_alu instid0(VALU_DEP_2)
	v_cmpx_ne_u16_e32 0, v1
	s_cbranch_execz .LBB450_708
; %bb.701:                              ;   in Loop: Header=BB450_13 Depth=1
	v_bfrev_b32_e32 v0, 1
	s_mov_b32 s23, exec_lo
	v_cmpx_ne_u16_e32 0x80, v1
	s_cbranch_execz .LBB450_707
; %bb.702:                              ;   in Loop: Header=BB450_13 Depth=1
	v_and_b32_e32 v2, 0xffff, v1
	v_mov_b32_e32 v0, 0x7f800001
	s_mov_b32 s24, exec_lo
	s_delay_alu instid0(VALU_DEP_2) | instskip(NEXT) | instid1(VALU_DEP_1)
	v_and_b32_e32 v1, 0x7f, v2
	v_cmpx_ne_u32_e32 0x7f, v1
	s_cbranch_execz .LBB450_706
; %bb.703:                              ;   in Loop: Header=BB450_13 Depth=1
	v_and_b32_e32 v19, 7, v2
	v_lshrrev_b32_e32 v0, 3, v1
	v_mov_b32_e32 v36, v20
	s_mov_b32 s25, exec_lo
	s_delay_alu instid0(VALU_DEP_3)
	v_mov_b32_e32 v35, v19
	v_cmpx_gt_u32_e32 8, v1
; %bb.704:                              ;   in Loop: Header=BB450_13 Depth=1
	v_clz_i32_u32_e32 v0, v19
	s_delay_alu instid0(VALU_DEP_1) | instskip(NEXT) | instid1(VALU_DEP_1)
	v_min_u32_e32 v0, 32, v0
	v_subrev_nc_u32_e32 v1, 28, v0
	v_sub_nc_u32_e32 v0, 29, v0
	s_delay_alu instid0(VALU_DEP_2) | instskip(NEXT) | instid1(VALU_DEP_1)
	v_lshlrev_b64 v[1:2], v1, v[19:20]
	v_and_b32_e32 v35, 7, v1
; %bb.705:                              ;   in Loop: Header=BB450_13 Depth=1
	s_or_b32 exec_lo, exec_lo, s25
	v_lshlrev_b32_e32 v1, 16, v33
	s_delay_alu instid0(VALU_DEP_2) | instskip(SKIP_1) | instid1(VALU_DEP_3)
	v_lshlrev_b32_e32 v2, 20, v35
	v_lshl_add_u32 v0, v0, 23, 0x3c000000
	v_and_b32_e32 v1, 0x80000000, v1
	s_delay_alu instid0(VALU_DEP_1)
	v_or3_b32 v0, v2, v1, v0
.LBB450_706:                            ;   in Loop: Header=BB450_13 Depth=1
	s_or_b32 exec_lo, exec_lo, s24
.LBB450_707:                            ;   in Loop: Header=BB450_13 Depth=1
	s_delay_alu instid0(SALU_CYCLE_1)
	s_or_b32 exec_lo, exec_lo, s23
.LBB450_708:                            ;   in Loop: Header=BB450_13 Depth=1
	s_delay_alu instid0(SALU_CYCLE_1) | instskip(NEXT) | instid1(VALU_DEP_1)
	s_or_b32 exec_lo, exec_lo, s22
	v_mul_f32_e32 v0, v121, v0
	s_delay_alu instid0(VALU_DEP_1) | instskip(NEXT) | instid1(VALU_DEP_1)
	v_and_b32_e32 v1, 0x7f800000, v0
	v_cmp_ne_u32_e64 s2, 0x7f800000, v1
                                        ; implicit-def: $vgpr1
                                        ; kill: killed $vgpr1
	s_delay_alu instid0(VALU_DEP_1) | instskip(NEXT) | instid1(SALU_CYCLE_1)
	s_and_saveexec_b32 s22, s2
	s_xor_b32 s2, exec_lo, s22
	s_cbranch_execz .LBB450_710
; %bb.709:                              ;   in Loop: Header=BB450_13 Depth=1
	v_bfe_u32 v1, v0, 16, 1
	s_delay_alu instid0(VALU_DEP_1)
	v_add3_u32 v0, v0, v1, 0x7fff
	scratch_store_b32 off, v0, s32 offset:572 ; 4-byte Folded Spill
                                        ; implicit-def: $vgpr0
.LBB450_710:                            ;   in Loop: Header=BB450_13 Depth=1
	s_and_not1_saveexec_b32 s22, s2
	s_cbranch_execz .LBB450_712
; %bb.711:                              ;   in Loop: Header=BB450_13 Depth=1
	v_and_b32_e32 v1, 0xffff, v0
	v_or_b32_e32 v2, 0x10000, v0
	s_delay_alu instid0(VALU_DEP_2) | instskip(NEXT) | instid1(VALU_DEP_1)
	v_cmp_eq_u32_e64 s2, 0, v1
	v_cndmask_b32_e64 v0, v2, v0, s2
	scratch_store_b32 off, v0, s32 offset:572 ; 4-byte Folded Spill
.LBB450_712:                            ;   in Loop: Header=BB450_13 Depth=1
	s_or_b32 exec_lo, exec_lo, s22
	v_lshrrev_b32_e32 v0, 16, v33
	s_mov_b32 s22, exec_lo
	s_delay_alu instid0(VALU_DEP_1) | instskip(NEXT) | instid1(VALU_DEP_1)
	v_dual_mov_b32 v1, 0 :: v_dual_and_b32 v2, 0xff, v0
	v_cmpx_ne_u16_e32 0, v2
	s_cbranch_execz .LBB450_720
; %bb.713:                              ;   in Loop: Header=BB450_13 Depth=1
	v_bfrev_b32_e32 v1, 1
	s_mov_b32 s23, exec_lo
	v_cmpx_ne_u16_e32 0x80, v2
	s_cbranch_execz .LBB450_719
; %bb.714:                              ;   in Loop: Header=BB450_13 Depth=1
	v_bfe_u32 v2, v33, 16, 7
	v_mov_b32_e32 v1, 0x7f800001
	s_mov_b32 s24, exec_lo
	s_delay_alu instid0(VALU_DEP_2)
	v_cmpx_ne_u32_e32 0x7f, v2
	s_cbranch_execz .LBB450_718
; %bb.715:                              ;   in Loop: Header=BB450_13 Depth=1
	v_and_b32_e32 v19, 7, v0
	v_lshrrev_b32_e32 v1, 3, v2
	v_mov_b32_e32 v36, v20
	s_mov_b32 s25, exec_lo
	s_delay_alu instid0(VALU_DEP_3)
	v_mov_b32_e32 v35, v19
	v_cmpx_gt_u32_e32 8, v2
; %bb.716:                              ;   in Loop: Header=BB450_13 Depth=1
	v_clz_i32_u32_e32 v1, v19
	s_delay_alu instid0(VALU_DEP_1) | instskip(NEXT) | instid1(VALU_DEP_1)
	v_min_u32_e32 v1, 32, v1
	v_subrev_nc_u32_e32 v2, 28, v1
	v_sub_nc_u32_e32 v1, 29, v1
	s_delay_alu instid0(VALU_DEP_2) | instskip(NEXT) | instid1(VALU_DEP_1)
	v_lshlrev_b64 v[2:3], v2, v[19:20]
	v_and_b32_e32 v35, 7, v2
; %bb.717:                              ;   in Loop: Header=BB450_13 Depth=1
	s_or_b32 exec_lo, exec_lo, s25
	v_lshlrev_b32_e32 v0, 24, v0
	s_delay_alu instid0(VALU_DEP_2) | instskip(SKIP_1) | instid1(VALU_DEP_3)
	v_lshlrev_b32_e32 v2, 20, v35
	v_lshl_add_u32 v1, v1, 23, 0x3c000000
	v_and_b32_e32 v0, 0x80000000, v0
	s_delay_alu instid0(VALU_DEP_1)
	v_or3_b32 v1, v2, v0, v1
.LBB450_718:                            ;   in Loop: Header=BB450_13 Depth=1
	s_or_b32 exec_lo, exec_lo, s24
.LBB450_719:                            ;   in Loop: Header=BB450_13 Depth=1
	s_delay_alu instid0(SALU_CYCLE_1)
	s_or_b32 exec_lo, exec_lo, s23
.LBB450_720:                            ;   in Loop: Header=BB450_13 Depth=1
	s_delay_alu instid0(SALU_CYCLE_1) | instskip(NEXT) | instid1(VALU_DEP_1)
	s_or_b32 exec_lo, exec_lo, s22
	v_mul_f32_e32 v0, v121, v1
	s_delay_alu instid0(VALU_DEP_1) | instskip(NEXT) | instid1(VALU_DEP_1)
	v_and_b32_e32 v1, 0x7f800000, v0
	v_cmp_ne_u32_e64 s2, 0x7f800000, v1
                                        ; implicit-def: $vgpr1
                                        ; kill: killed $vgpr1
	s_delay_alu instid0(VALU_DEP_1) | instskip(NEXT) | instid1(SALU_CYCLE_1)
	s_and_saveexec_b32 s22, s2
	s_xor_b32 s2, exec_lo, s22
	s_cbranch_execz .LBB450_722
; %bb.721:                              ;   in Loop: Header=BB450_13 Depth=1
	v_bfe_u32 v1, v0, 16, 1
	s_delay_alu instid0(VALU_DEP_1)
	v_add3_u32 v0, v0, v1, 0x7fff
	scratch_store_b32 off, v0, s32 offset:576 ; 4-byte Folded Spill
                                        ; implicit-def: $vgpr0
.LBB450_722:                            ;   in Loop: Header=BB450_13 Depth=1
	s_and_not1_saveexec_b32 s22, s2
	s_cbranch_execz .LBB450_724
; %bb.723:                              ;   in Loop: Header=BB450_13 Depth=1
	v_and_b32_e32 v1, 0xffff, v0
	v_or_b32_e32 v2, 0x10000, v0
	s_delay_alu instid0(VALU_DEP_2) | instskip(NEXT) | instid1(VALU_DEP_1)
	v_cmp_eq_u32_e64 s2, 0, v1
	v_cndmask_b32_e64 v0, v2, v0, s2
	scratch_store_b32 off, v0, s32 offset:576 ; 4-byte Folded Spill
.LBB450_724:                            ;   in Loop: Header=BB450_13 Depth=1
	s_or_b32 exec_lo, exec_lo, s22
	v_mov_b32_e32 v1, 0
	s_mov_b32 s22, exec_lo
	v_cmpx_lt_u32_e32 0xffffff, v33
	s_cbranch_execz .LBB450_732
; %bb.725:                              ;   in Loop: Header=BB450_13 Depth=1
	v_lshrrev_b32_e32 v0, 24, v33
	v_bfrev_b32_e32 v1, 1
	s_mov_b32 s23, exec_lo
	s_delay_alu instid0(VALU_DEP_2)
	v_cmpx_ne_u32_e32 0x80, v0
	s_cbranch_execz .LBB450_731
; %bb.726:                              ;   in Loop: Header=BB450_13 Depth=1
	v_bfe_u32 v2, v33, 24, 7
	v_mov_b32_e32 v1, 0x7f800001
	s_mov_b32 s24, exec_lo
	s_delay_alu instid0(VALU_DEP_2)
	v_cmpx_ne_u32_e32 0x7f, v2
	s_cbranch_execz .LBB450_730
; %bb.727:                              ;   in Loop: Header=BB450_13 Depth=1
	v_and_b32_e32 v19, 7, v0
	v_lshrrev_b32_e32 v1, 3, v2
	v_mov_b32_e32 v36, v20
	s_mov_b32 s25, exec_lo
	s_delay_alu instid0(VALU_DEP_3)
	v_mov_b32_e32 v35, v19
	v_cmpx_gt_u32_e32 8, v2
; %bb.728:                              ;   in Loop: Header=BB450_13 Depth=1
	v_clz_i32_u32_e32 v1, v19
	s_delay_alu instid0(VALU_DEP_1) | instskip(NEXT) | instid1(VALU_DEP_1)
	v_min_u32_e32 v1, 32, v1
	v_subrev_nc_u32_e32 v2, 28, v1
	v_sub_nc_u32_e32 v1, 29, v1
	s_delay_alu instid0(VALU_DEP_2) | instskip(NEXT) | instid1(VALU_DEP_1)
	v_lshlrev_b64 v[2:3], v2, v[19:20]
	v_and_b32_e32 v35, 7, v2
; %bb.729:                              ;   in Loop: Header=BB450_13 Depth=1
	s_or_b32 exec_lo, exec_lo, s25
	v_lshlrev_b32_e32 v0, 24, v0
	s_delay_alu instid0(VALU_DEP_2) | instskip(SKIP_1) | instid1(VALU_DEP_3)
	v_lshlrev_b32_e32 v2, 20, v35
	v_lshl_add_u32 v1, v1, 23, 0x3c000000
	v_and_b32_e32 v0, 0x80000000, v0
	s_delay_alu instid0(VALU_DEP_1)
	v_or3_b32 v1, v2, v0, v1
.LBB450_730:                            ;   in Loop: Header=BB450_13 Depth=1
	s_or_b32 exec_lo, exec_lo, s24
.LBB450_731:                            ;   in Loop: Header=BB450_13 Depth=1
	s_delay_alu instid0(SALU_CYCLE_1)
	s_or_b32 exec_lo, exec_lo, s23
.LBB450_732:                            ;   in Loop: Header=BB450_13 Depth=1
	s_delay_alu instid0(SALU_CYCLE_1) | instskip(NEXT) | instid1(VALU_DEP_1)
	s_or_b32 exec_lo, exec_lo, s22
	v_mul_f32_e32 v0, v121, v1
	s_delay_alu instid0(VALU_DEP_1) | instskip(NEXT) | instid1(VALU_DEP_1)
	v_and_b32_e32 v1, 0x7f800000, v0
	v_cmp_ne_u32_e64 s2, 0x7f800000, v1
                                        ; implicit-def: $vgpr1
                                        ; kill: killed $vgpr1
	s_delay_alu instid0(VALU_DEP_1) | instskip(NEXT) | instid1(SALU_CYCLE_1)
	s_and_saveexec_b32 s22, s2
	s_xor_b32 s2, exec_lo, s22
	s_cbranch_execz .LBB450_734
; %bb.733:                              ;   in Loop: Header=BB450_13 Depth=1
	v_bfe_u32 v1, v0, 16, 1
	s_delay_alu instid0(VALU_DEP_1)
	v_add3_u32 v0, v0, v1, 0x7fff
	scratch_store_b32 off, v0, s32 offset:580 ; 4-byte Folded Spill
                                        ; implicit-def: $vgpr0
.LBB450_734:                            ;   in Loop: Header=BB450_13 Depth=1
	s_and_not1_saveexec_b32 s22, s2
	s_cbranch_execz .LBB450_736
; %bb.735:                              ;   in Loop: Header=BB450_13 Depth=1
	v_and_b32_e32 v1, 0xffff, v0
	v_or_b32_e32 v2, 0x10000, v0
	s_delay_alu instid0(VALU_DEP_2) | instskip(NEXT) | instid1(VALU_DEP_1)
	v_cmp_eq_u32_e64 s2, 0, v1
	v_cndmask_b32_e64 v0, v2, v0, s2
	scratch_store_b32 off, v0, s32 offset:580 ; 4-byte Folded Spill
.LBB450_736:                            ;   in Loop: Header=BB450_13 Depth=1
	s_or_b32 exec_lo, exec_lo, s22
	v_dual_mov_b32 v0, 0 :: v_dual_and_b32 v1, 0xff, v34
	v_mov_b32_e32 v19, v34
	s_mov_b32 s22, exec_lo
	s_delay_alu instid0(VALU_DEP_2)
	v_cmpx_ne_u16_e32 0, v1
	s_cbranch_execz .LBB450_744
; %bb.737:                              ;   in Loop: Header=BB450_13 Depth=1
	v_bfrev_b32_e32 v0, 1
	s_mov_b32 s23, exec_lo
	v_cmpx_ne_u16_e32 0x80, v1
	s_cbranch_execz .LBB450_743
; %bb.738:                              ;   in Loop: Header=BB450_13 Depth=1
	v_and_b32_e32 v1, 0x7f, v34
	v_mov_b32_e32 v0, 0x7f800001
	s_mov_b32 s24, exec_lo
	s_delay_alu instid0(VALU_DEP_2)
	v_cmpx_ne_u32_e32 0x7f, v1
	s_cbranch_execz .LBB450_742
; %bb.739:                              ;   in Loop: Header=BB450_13 Depth=1
	v_lshrrev_b32_e32 v0, 3, v1
	v_dual_mov_b32 v36, v20 :: v_dual_mov_b32 v35, v19
	s_mov_b32 s25, exec_lo
	v_cmpx_gt_u32_e32 8, v1
; %bb.740:                              ;   in Loop: Header=BB450_13 Depth=1
	v_and_b32_e32 v0, 7, v34
	s_delay_alu instid0(VALU_DEP_1) | instskip(NEXT) | instid1(VALU_DEP_1)
	v_clz_i32_u32_e32 v0, v0
	v_min_u32_e32 v0, 32, v0
	s_delay_alu instid0(VALU_DEP_1) | instskip(SKIP_1) | instid1(VALU_DEP_2)
	v_subrev_nc_u32_e32 v1, 28, v0
	v_sub_nc_u32_e32 v0, 29, v0
	v_lshlrev_b64 v[35:36], v1, v[19:20]
; %bb.741:                              ;   in Loop: Header=BB450_13 Depth=1
	s_or_b32 exec_lo, exec_lo, s25
	s_delay_alu instid0(VALU_DEP_1) | instskip(SKIP_2) | instid1(VALU_DEP_3)
	v_lshlrev_b32_e32 v1, 20, v35
	v_lshlrev_b32_e32 v2, 24, v19
	v_lshl_add_u32 v0, v0, 23, 0x3c000000
	v_and_b32_e32 v1, 0x700000, v1
	s_delay_alu instid0(VALU_DEP_3) | instskip(NEXT) | instid1(VALU_DEP_1)
	v_and_b32_e32 v2, 0x80000000, v2
	v_or3_b32 v0, v1, v2, v0
.LBB450_742:                            ;   in Loop: Header=BB450_13 Depth=1
	s_or_b32 exec_lo, exec_lo, s24
.LBB450_743:                            ;   in Loop: Header=BB450_13 Depth=1
	s_delay_alu instid0(SALU_CYCLE_1)
	s_or_b32 exec_lo, exec_lo, s23
.LBB450_744:                            ;   in Loop: Header=BB450_13 Depth=1
	s_delay_alu instid0(SALU_CYCLE_1) | instskip(NEXT) | instid1(VALU_DEP_1)
	s_or_b32 exec_lo, exec_lo, s22
	v_mul_f32_e32 v0, v121, v0
	s_delay_alu instid0(VALU_DEP_1) | instskip(NEXT) | instid1(VALU_DEP_1)
	v_and_b32_e32 v1, 0x7f800000, v0
	v_cmp_ne_u32_e64 s2, 0x7f800000, v1
                                        ; implicit-def: $vgpr1
                                        ; kill: killed $vgpr1
	s_delay_alu instid0(VALU_DEP_1) | instskip(NEXT) | instid1(SALU_CYCLE_1)
	s_and_saveexec_b32 s22, s2
	s_xor_b32 s2, exec_lo, s22
	s_cbranch_execz .LBB450_746
; %bb.745:                              ;   in Loop: Header=BB450_13 Depth=1
	v_bfe_u32 v1, v0, 16, 1
	s_delay_alu instid0(VALU_DEP_1)
	v_add3_u32 v0, v0, v1, 0x7fff
	scratch_store_b32 off, v0, s32 offset:584 ; 4-byte Folded Spill
                                        ; implicit-def: $vgpr0
.LBB450_746:                            ;   in Loop: Header=BB450_13 Depth=1
	s_and_not1_saveexec_b32 s22, s2
	s_cbranch_execz .LBB450_748
; %bb.747:                              ;   in Loop: Header=BB450_13 Depth=1
	v_and_b32_e32 v1, 0xffff, v0
	v_or_b32_e32 v2, 0x10000, v0
	s_delay_alu instid0(VALU_DEP_2) | instskip(NEXT) | instid1(VALU_DEP_1)
	v_cmp_eq_u32_e64 s2, 0, v1
	v_cndmask_b32_e64 v0, v2, v0, s2
	scratch_store_b32 off, v0, s32 offset:584 ; 4-byte Folded Spill
.LBB450_748:                            ;   in Loop: Header=BB450_13 Depth=1
	s_or_b32 exec_lo, exec_lo, s22
	v_lshrrev_b16 v1, 8, v19
	v_mov_b32_e32 v0, 0
	s_mov_b32 s22, exec_lo
	s_delay_alu instid0(VALU_DEP_2)
	v_cmpx_ne_u16_e32 0, v1
	s_cbranch_execz .LBB450_756
; %bb.749:                              ;   in Loop: Header=BB450_13 Depth=1
	v_bfrev_b32_e32 v0, 1
	s_mov_b32 s23, exec_lo
	v_cmpx_ne_u16_e32 0x80, v1
	s_cbranch_execz .LBB450_755
; %bb.750:                              ;   in Loop: Header=BB450_13 Depth=1
	v_and_b32_e32 v2, 0xffff, v1
	v_mov_b32_e32 v0, 0x7f800001
	s_mov_b32 s24, exec_lo
	s_delay_alu instid0(VALU_DEP_2) | instskip(NEXT) | instid1(VALU_DEP_1)
	v_and_b32_e32 v1, 0x7f, v2
	v_cmpx_ne_u32_e32 0x7f, v1
	s_cbranch_execz .LBB450_754
; %bb.751:                              ;   in Loop: Header=BB450_13 Depth=1
	v_dual_mov_b32 v36, v20 :: v_dual_and_b32 v35, 7, v2
	v_lshrrev_b32_e32 v0, 3, v1
	s_mov_b32 s25, exec_lo
	v_cmpx_gt_u32_e32 8, v1
; %bb.752:                              ;   in Loop: Header=BB450_13 Depth=1
	s_delay_alu instid0(VALU_DEP_3) | instskip(NEXT) | instid1(VALU_DEP_1)
	v_clz_i32_u32_e32 v0, v35
	v_min_u32_e32 v0, 32, v0
	s_delay_alu instid0(VALU_DEP_1) | instskip(SKIP_1) | instid1(VALU_DEP_2)
	v_subrev_nc_u32_e32 v1, 28, v0
	v_sub_nc_u32_e32 v0, 29, v0
	v_lshlrev_b64 v[1:2], v1, v[35:36]
	s_delay_alu instid0(VALU_DEP_1)
	v_and_b32_e32 v35, 7, v1
; %bb.753:                              ;   in Loop: Header=BB450_13 Depth=1
	s_or_b32 exec_lo, exec_lo, s25
	v_lshlrev_b32_e32 v1, 16, v19
	s_delay_alu instid0(VALU_DEP_2) | instskip(SKIP_1) | instid1(VALU_DEP_3)
	v_lshlrev_b32_e32 v2, 20, v35
	v_lshl_add_u32 v0, v0, 23, 0x3c000000
	v_and_b32_e32 v1, 0x80000000, v1
	s_delay_alu instid0(VALU_DEP_1)
	v_or3_b32 v0, v2, v1, v0
.LBB450_754:                            ;   in Loop: Header=BB450_13 Depth=1
	s_or_b32 exec_lo, exec_lo, s24
.LBB450_755:                            ;   in Loop: Header=BB450_13 Depth=1
	s_delay_alu instid0(SALU_CYCLE_1)
	s_or_b32 exec_lo, exec_lo, s23
.LBB450_756:                            ;   in Loop: Header=BB450_13 Depth=1
	s_delay_alu instid0(SALU_CYCLE_1) | instskip(NEXT) | instid1(VALU_DEP_1)
	s_or_b32 exec_lo, exec_lo, s22
	v_mul_f32_e32 v0, v121, v0
	s_delay_alu instid0(VALU_DEP_1) | instskip(NEXT) | instid1(VALU_DEP_1)
	v_and_b32_e32 v1, 0x7f800000, v0
	v_cmp_ne_u32_e64 s2, 0x7f800000, v1
                                        ; implicit-def: $vgpr1
                                        ; kill: killed $vgpr1
	s_delay_alu instid0(VALU_DEP_1) | instskip(NEXT) | instid1(SALU_CYCLE_1)
	s_and_saveexec_b32 s22, s2
	s_xor_b32 s2, exec_lo, s22
	s_cbranch_execz .LBB450_758
; %bb.757:                              ;   in Loop: Header=BB450_13 Depth=1
	v_bfe_u32 v1, v0, 16, 1
	s_delay_alu instid0(VALU_DEP_1)
	v_add3_u32 v0, v0, v1, 0x7fff
	scratch_store_b32 off, v0, s32 offset:588 ; 4-byte Folded Spill
                                        ; implicit-def: $vgpr0
.LBB450_758:                            ;   in Loop: Header=BB450_13 Depth=1
	s_and_not1_saveexec_b32 s22, s2
	s_cbranch_execz .LBB450_760
; %bb.759:                              ;   in Loop: Header=BB450_13 Depth=1
	v_and_b32_e32 v1, 0xffff, v0
	v_or_b32_e32 v2, 0x10000, v0
	s_delay_alu instid0(VALU_DEP_2) | instskip(NEXT) | instid1(VALU_DEP_1)
	v_cmp_eq_u32_e64 s2, 0, v1
	v_cndmask_b32_e64 v0, v2, v0, s2
	scratch_store_b32 off, v0, s32 offset:588 ; 4-byte Folded Spill
.LBB450_760:                            ;   in Loop: Header=BB450_13 Depth=1
	s_or_b32 exec_lo, exec_lo, s22
	v_lshrrev_b32_e32 v0, 16, v34
	s_mov_b32 s22, exec_lo
	s_delay_alu instid0(VALU_DEP_1) | instskip(NEXT) | instid1(VALU_DEP_1)
	v_dual_mov_b32 v1, 0 :: v_dual_and_b32 v2, 0xff, v0
	v_cmpx_ne_u16_e32 0, v2
	s_cbranch_execz .LBB450_768
; %bb.761:                              ;   in Loop: Header=BB450_13 Depth=1
	v_bfrev_b32_e32 v1, 1
	s_mov_b32 s23, exec_lo
	v_cmpx_ne_u16_e32 0x80, v2
	s_cbranch_execz .LBB450_767
; %bb.762:                              ;   in Loop: Header=BB450_13 Depth=1
	v_bfe_u32 v2, v34, 16, 7
	v_mov_b32_e32 v1, 0x7f800001
	s_mov_b32 s24, exec_lo
	s_delay_alu instid0(VALU_DEP_2)
	v_cmpx_ne_u32_e32 0x7f, v2
	s_cbranch_execz .LBB450_766
; %bb.763:                              ;   in Loop: Header=BB450_13 Depth=1
	v_and_b32_e32 v19, 7, v0
	v_lshrrev_b32_e32 v1, 3, v2
	v_mov_b32_e32 v36, v20
	s_mov_b32 s25, exec_lo
	s_delay_alu instid0(VALU_DEP_3)
	v_mov_b32_e32 v35, v19
	v_cmpx_gt_u32_e32 8, v2
; %bb.764:                              ;   in Loop: Header=BB450_13 Depth=1
	v_clz_i32_u32_e32 v1, v19
	s_delay_alu instid0(VALU_DEP_1) | instskip(NEXT) | instid1(VALU_DEP_1)
	v_min_u32_e32 v1, 32, v1
	v_subrev_nc_u32_e32 v2, 28, v1
	v_sub_nc_u32_e32 v1, 29, v1
	s_delay_alu instid0(VALU_DEP_2) | instskip(NEXT) | instid1(VALU_DEP_1)
	v_lshlrev_b64 v[2:3], v2, v[19:20]
	v_and_b32_e32 v35, 7, v2
; %bb.765:                              ;   in Loop: Header=BB450_13 Depth=1
	s_or_b32 exec_lo, exec_lo, s25
	v_lshlrev_b32_e32 v0, 24, v0
	s_delay_alu instid0(VALU_DEP_2) | instskip(SKIP_1) | instid1(VALU_DEP_3)
	v_lshlrev_b32_e32 v2, 20, v35
	v_lshl_add_u32 v1, v1, 23, 0x3c000000
	v_and_b32_e32 v0, 0x80000000, v0
	s_delay_alu instid0(VALU_DEP_1)
	v_or3_b32 v1, v2, v0, v1
.LBB450_766:                            ;   in Loop: Header=BB450_13 Depth=1
	s_or_b32 exec_lo, exec_lo, s24
.LBB450_767:                            ;   in Loop: Header=BB450_13 Depth=1
	s_delay_alu instid0(SALU_CYCLE_1)
	s_or_b32 exec_lo, exec_lo, s23
.LBB450_768:                            ;   in Loop: Header=BB450_13 Depth=1
	s_delay_alu instid0(SALU_CYCLE_1) | instskip(NEXT) | instid1(VALU_DEP_1)
	s_or_b32 exec_lo, exec_lo, s22
	v_mul_f32_e32 v0, v121, v1
	s_delay_alu instid0(VALU_DEP_1) | instskip(NEXT) | instid1(VALU_DEP_1)
	v_and_b32_e32 v1, 0x7f800000, v0
	v_cmp_ne_u32_e64 s2, 0x7f800000, v1
                                        ; implicit-def: $vgpr1
                                        ; kill: killed $vgpr1
	s_delay_alu instid0(VALU_DEP_1) | instskip(NEXT) | instid1(SALU_CYCLE_1)
	s_and_saveexec_b32 s22, s2
	s_xor_b32 s2, exec_lo, s22
	s_cbranch_execz .LBB450_770
; %bb.769:                              ;   in Loop: Header=BB450_13 Depth=1
	v_bfe_u32 v1, v0, 16, 1
	s_delay_alu instid0(VALU_DEP_1)
	v_add3_u32 v0, v0, v1, 0x7fff
	scratch_store_b32 off, v0, s32 offset:592 ; 4-byte Folded Spill
                                        ; implicit-def: $vgpr0
.LBB450_770:                            ;   in Loop: Header=BB450_13 Depth=1
	s_and_not1_saveexec_b32 s22, s2
	s_cbranch_execz .LBB450_772
; %bb.771:                              ;   in Loop: Header=BB450_13 Depth=1
	v_and_b32_e32 v1, 0xffff, v0
	v_or_b32_e32 v2, 0x10000, v0
	s_delay_alu instid0(VALU_DEP_2) | instskip(NEXT) | instid1(VALU_DEP_1)
	v_cmp_eq_u32_e64 s2, 0, v1
	v_cndmask_b32_e64 v0, v2, v0, s2
	scratch_store_b32 off, v0, s32 offset:592 ; 4-byte Folded Spill
.LBB450_772:                            ;   in Loop: Header=BB450_13 Depth=1
	s_or_b32 exec_lo, exec_lo, s22
	v_mov_b32_e32 v1, 0
	s_mov_b32 s22, exec_lo
	v_cmpx_lt_u64_e64 s[8:9], v[33:34]
	s_cbranch_execz .LBB450_780
; %bb.773:                              ;   in Loop: Header=BB450_13 Depth=1
	v_lshrrev_b32_e32 v0, 24, v34
	v_bfrev_b32_e32 v1, 1
	s_mov_b32 s23, exec_lo
	s_delay_alu instid0(VALU_DEP_2)
	v_cmpx_ne_u32_e32 0x80, v0
	s_cbranch_execz .LBB450_779
; %bb.774:                              ;   in Loop: Header=BB450_13 Depth=1
	v_bfe_u32 v2, v34, 24, 7
	v_mov_b32_e32 v1, 0x7f800001
	s_mov_b32 s24, exec_lo
	s_delay_alu instid0(VALU_DEP_2)
	v_cmpx_ne_u32_e32 0x7f, v2
	s_cbranch_execz .LBB450_778
; %bb.775:                              ;   in Loop: Header=BB450_13 Depth=1
	v_and_b32_e32 v19, 7, v0
	v_lshrrev_b32_e32 v1, 3, v2
	v_mov_b32_e32 v34, v20
	s_mov_b32 s25, exec_lo
	s_delay_alu instid0(VALU_DEP_3)
	v_mov_b32_e32 v33, v19
	v_cmpx_gt_u32_e32 8, v2
; %bb.776:                              ;   in Loop: Header=BB450_13 Depth=1
	v_clz_i32_u32_e32 v1, v19
	s_delay_alu instid0(VALU_DEP_1) | instskip(NEXT) | instid1(VALU_DEP_1)
	v_min_u32_e32 v1, 32, v1
	v_subrev_nc_u32_e32 v2, 28, v1
	v_sub_nc_u32_e32 v1, 29, v1
	s_delay_alu instid0(VALU_DEP_2) | instskip(NEXT) | instid1(VALU_DEP_1)
	v_lshlrev_b64 v[2:3], v2, v[19:20]
	v_and_b32_e32 v33, 7, v2
; %bb.777:                              ;   in Loop: Header=BB450_13 Depth=1
	s_or_b32 exec_lo, exec_lo, s25
	v_lshlrev_b32_e32 v0, 24, v0
	s_delay_alu instid0(VALU_DEP_2) | instskip(SKIP_1) | instid1(VALU_DEP_3)
	v_lshlrev_b32_e32 v2, 20, v33
	v_lshl_add_u32 v1, v1, 23, 0x3c000000
	v_and_b32_e32 v0, 0x80000000, v0
	s_delay_alu instid0(VALU_DEP_1)
	v_or3_b32 v1, v2, v0, v1
.LBB450_778:                            ;   in Loop: Header=BB450_13 Depth=1
	s_or_b32 exec_lo, exec_lo, s24
.LBB450_779:                            ;   in Loop: Header=BB450_13 Depth=1
	s_delay_alu instid0(SALU_CYCLE_1)
	s_or_b32 exec_lo, exec_lo, s23
.LBB450_780:                            ;   in Loop: Header=BB450_13 Depth=1
	s_delay_alu instid0(SALU_CYCLE_1) | instskip(NEXT) | instid1(VALU_DEP_1)
	s_or_b32 exec_lo, exec_lo, s22
	v_mul_f32_e32 v0, v121, v1
	s_delay_alu instid0(VALU_DEP_1) | instskip(NEXT) | instid1(VALU_DEP_1)
	v_and_b32_e32 v1, 0x7f800000, v0
	v_cmp_ne_u32_e64 s2, 0x7f800000, v1
                                        ; implicit-def: $vgpr1
                                        ; kill: killed $vgpr1
	s_delay_alu instid0(VALU_DEP_1) | instskip(NEXT) | instid1(SALU_CYCLE_1)
	s_and_saveexec_b32 s22, s2
	s_xor_b32 s2, exec_lo, s22
	s_cbranch_execz .LBB450_782
; %bb.781:                              ;   in Loop: Header=BB450_13 Depth=1
	v_bfe_u32 v1, v0, 16, 1
	s_delay_alu instid0(VALU_DEP_1)
	v_add3_u32 v0, v0, v1, 0x7fff
	scratch_store_b32 off, v0, s32 offset:596 ; 4-byte Folded Spill
                                        ; implicit-def: $vgpr0
.LBB450_782:                            ;   in Loop: Header=BB450_13 Depth=1
	s_and_not1_saveexec_b32 s22, s2
	s_cbranch_execz .LBB450_784
; %bb.783:                              ;   in Loop: Header=BB450_13 Depth=1
	v_and_b32_e32 v1, 0xffff, v0
	v_or_b32_e32 v2, 0x10000, v0
	s_delay_alu instid0(VALU_DEP_2) | instskip(NEXT) | instid1(VALU_DEP_1)
	v_cmp_eq_u32_e64 s2, 0, v1
	v_cndmask_b32_e64 v0, v2, v0, s2
	scratch_store_b32 off, v0, s32 offset:596 ; 4-byte Folded Spill
.LBB450_784:                            ;   in Loop: Header=BB450_13 Depth=1
	s_or_b32 exec_lo, exec_lo, s22
	flat_load_b64 v[33:34], v[31:32] offset:2048
	s_mov_b32 s22, exec_lo
	s_waitcnt vmcnt(0) lgkmcnt(0)
	v_dual_mov_b32 v0, 0 :: v_dual_and_b32 v1, 0xff, v33
	s_delay_alu instid0(VALU_DEP_1)
	v_cmpx_ne_u16_e32 0, v1
	s_cbranch_execz .LBB450_792
; %bb.785:                              ;   in Loop: Header=BB450_13 Depth=1
	v_bfrev_b32_e32 v0, 1
	s_mov_b32 s23, exec_lo
	v_cmpx_ne_u16_e32 0x80, v1
	s_cbranch_execz .LBB450_791
; %bb.786:                              ;   in Loop: Header=BB450_13 Depth=1
	v_and_b32_e32 v1, 0x7f, v33
	v_mov_b32_e32 v0, 0x7f800001
	s_mov_b32 s24, exec_lo
	s_delay_alu instid0(VALU_DEP_2)
	v_cmpx_ne_u32_e32 0x7f, v1
	s_cbranch_execz .LBB450_790
; %bb.787:                              ;   in Loop: Header=BB450_13 Depth=1
	v_lshrrev_b32_e32 v0, 3, v1
	v_dual_mov_b32 v36, v34 :: v_dual_mov_b32 v35, v33
	s_mov_b32 s25, exec_lo
	v_cmpx_gt_u32_e32 8, v1
; %bb.788:                              ;   in Loop: Header=BB450_13 Depth=1
	v_and_b32_e32 v0, 7, v33
	s_delay_alu instid0(VALU_DEP_1) | instskip(NEXT) | instid1(VALU_DEP_1)
	v_clz_i32_u32_e32 v0, v0
	v_min_u32_e32 v0, 32, v0
	s_delay_alu instid0(VALU_DEP_1) | instskip(SKIP_1) | instid1(VALU_DEP_2)
	v_subrev_nc_u32_e32 v1, 28, v0
	v_sub_nc_u32_e32 v0, 29, v0
	v_lshlrev_b64 v[35:36], v1, v[33:34]
; %bb.789:                              ;   in Loop: Header=BB450_13 Depth=1
	s_or_b32 exec_lo, exec_lo, s25
	s_delay_alu instid0(VALU_DEP_1) | instskip(SKIP_2) | instid1(VALU_DEP_3)
	v_lshlrev_b32_e32 v1, 20, v35
	v_lshlrev_b32_e32 v2, 24, v33
	v_lshl_add_u32 v0, v0, 23, 0x3c000000
	v_and_b32_e32 v1, 0x700000, v1
	s_delay_alu instid0(VALU_DEP_3) | instskip(NEXT) | instid1(VALU_DEP_1)
	v_and_b32_e32 v2, 0x80000000, v2
	v_or3_b32 v0, v1, v2, v0
.LBB450_790:                            ;   in Loop: Header=BB450_13 Depth=1
	s_or_b32 exec_lo, exec_lo, s24
.LBB450_791:                            ;   in Loop: Header=BB450_13 Depth=1
	s_delay_alu instid0(SALU_CYCLE_1)
	s_or_b32 exec_lo, exec_lo, s23
.LBB450_792:                            ;   in Loop: Header=BB450_13 Depth=1
	s_delay_alu instid0(SALU_CYCLE_1) | instskip(NEXT) | instid1(VALU_DEP_1)
	s_or_b32 exec_lo, exec_lo, s22
	v_mul_f32_e32 v0, v121, v0
	s_delay_alu instid0(VALU_DEP_1) | instskip(NEXT) | instid1(VALU_DEP_1)
	v_and_b32_e32 v1, 0x7f800000, v0
	v_cmp_ne_u32_e64 s2, 0x7f800000, v1
                                        ; implicit-def: $vgpr1
                                        ; kill: killed $vgpr1
	s_delay_alu instid0(VALU_DEP_1) | instskip(NEXT) | instid1(SALU_CYCLE_1)
	s_and_saveexec_b32 s22, s2
	s_xor_b32 s2, exec_lo, s22
	s_cbranch_execz .LBB450_794
; %bb.793:                              ;   in Loop: Header=BB450_13 Depth=1
	v_bfe_u32 v1, v0, 16, 1
	s_delay_alu instid0(VALU_DEP_1)
	v_add3_u32 v0, v0, v1, 0x7fff
	scratch_store_b32 off, v0, s32 offset:600 ; 4-byte Folded Spill
                                        ; implicit-def: $vgpr0
.LBB450_794:                            ;   in Loop: Header=BB450_13 Depth=1
	s_and_not1_saveexec_b32 s22, s2
	s_cbranch_execz .LBB450_796
; %bb.795:                              ;   in Loop: Header=BB450_13 Depth=1
	v_and_b32_e32 v1, 0xffff, v0
	v_or_b32_e32 v2, 0x10000, v0
	s_delay_alu instid0(VALU_DEP_2) | instskip(NEXT) | instid1(VALU_DEP_1)
	v_cmp_eq_u32_e64 s2, 0, v1
	v_cndmask_b32_e64 v0, v2, v0, s2
	scratch_store_b32 off, v0, s32 offset:600 ; 4-byte Folded Spill
.LBB450_796:                            ;   in Loop: Header=BB450_13 Depth=1
	s_or_b32 exec_lo, exec_lo, s22
	v_lshrrev_b16 v1, 8, v33
	v_mov_b32_e32 v0, 0
	s_mov_b32 s22, exec_lo
	s_delay_alu instid0(VALU_DEP_2)
	v_cmpx_ne_u16_e32 0, v1
	s_cbranch_execz .LBB450_804
; %bb.797:                              ;   in Loop: Header=BB450_13 Depth=1
	v_bfrev_b32_e32 v0, 1
	s_mov_b32 s23, exec_lo
	v_cmpx_ne_u16_e32 0x80, v1
	s_cbranch_execz .LBB450_803
; %bb.798:                              ;   in Loop: Header=BB450_13 Depth=1
	v_and_b32_e32 v2, 0xffff, v1
	v_mov_b32_e32 v0, 0x7f800001
	s_mov_b32 s24, exec_lo
	s_delay_alu instid0(VALU_DEP_2) | instskip(NEXT) | instid1(VALU_DEP_1)
	v_and_b32_e32 v1, 0x7f, v2
	v_cmpx_ne_u32_e32 0x7f, v1
	s_cbranch_execz .LBB450_802
; %bb.799:                              ;   in Loop: Header=BB450_13 Depth=1
	v_and_b32_e32 v19, 7, v2
	v_lshrrev_b32_e32 v0, 3, v1
	v_mov_b32_e32 v36, v20
	s_mov_b32 s25, exec_lo
	s_delay_alu instid0(VALU_DEP_3)
	v_mov_b32_e32 v35, v19
	v_cmpx_gt_u32_e32 8, v1
; %bb.800:                              ;   in Loop: Header=BB450_13 Depth=1
	v_clz_i32_u32_e32 v0, v19
	s_delay_alu instid0(VALU_DEP_1) | instskip(NEXT) | instid1(VALU_DEP_1)
	v_min_u32_e32 v0, 32, v0
	v_subrev_nc_u32_e32 v1, 28, v0
	v_sub_nc_u32_e32 v0, 29, v0
	s_delay_alu instid0(VALU_DEP_2) | instskip(NEXT) | instid1(VALU_DEP_1)
	v_lshlrev_b64 v[1:2], v1, v[19:20]
	v_and_b32_e32 v35, 7, v1
; %bb.801:                              ;   in Loop: Header=BB450_13 Depth=1
	s_or_b32 exec_lo, exec_lo, s25
	v_lshlrev_b32_e32 v1, 16, v33
	s_delay_alu instid0(VALU_DEP_2) | instskip(SKIP_1) | instid1(VALU_DEP_3)
	v_lshlrev_b32_e32 v2, 20, v35
	v_lshl_add_u32 v0, v0, 23, 0x3c000000
	v_and_b32_e32 v1, 0x80000000, v1
	s_delay_alu instid0(VALU_DEP_1)
	v_or3_b32 v0, v2, v1, v0
.LBB450_802:                            ;   in Loop: Header=BB450_13 Depth=1
	s_or_b32 exec_lo, exec_lo, s24
.LBB450_803:                            ;   in Loop: Header=BB450_13 Depth=1
	s_delay_alu instid0(SALU_CYCLE_1)
	s_or_b32 exec_lo, exec_lo, s23
.LBB450_804:                            ;   in Loop: Header=BB450_13 Depth=1
	s_delay_alu instid0(SALU_CYCLE_1) | instskip(NEXT) | instid1(VALU_DEP_1)
	s_or_b32 exec_lo, exec_lo, s22
	v_mul_f32_e32 v0, v121, v0
	s_delay_alu instid0(VALU_DEP_1) | instskip(NEXT) | instid1(VALU_DEP_1)
	v_and_b32_e32 v1, 0x7f800000, v0
	v_cmp_ne_u32_e64 s2, 0x7f800000, v1
                                        ; implicit-def: $vgpr1
                                        ; kill: killed $vgpr1
	s_delay_alu instid0(VALU_DEP_1) | instskip(NEXT) | instid1(SALU_CYCLE_1)
	s_and_saveexec_b32 s22, s2
	s_xor_b32 s2, exec_lo, s22
	s_cbranch_execz .LBB450_806
; %bb.805:                              ;   in Loop: Header=BB450_13 Depth=1
	v_bfe_u32 v1, v0, 16, 1
	s_delay_alu instid0(VALU_DEP_1)
	v_add3_u32 v0, v0, v1, 0x7fff
	scratch_store_b32 off, v0, s32 offset:604 ; 4-byte Folded Spill
                                        ; implicit-def: $vgpr0
.LBB450_806:                            ;   in Loop: Header=BB450_13 Depth=1
	s_and_not1_saveexec_b32 s22, s2
	s_cbranch_execz .LBB450_808
; %bb.807:                              ;   in Loop: Header=BB450_13 Depth=1
	v_and_b32_e32 v1, 0xffff, v0
	v_or_b32_e32 v2, 0x10000, v0
	s_delay_alu instid0(VALU_DEP_2) | instskip(NEXT) | instid1(VALU_DEP_1)
	v_cmp_eq_u32_e64 s2, 0, v1
	v_cndmask_b32_e64 v0, v2, v0, s2
	scratch_store_b32 off, v0, s32 offset:604 ; 4-byte Folded Spill
.LBB450_808:                            ;   in Loop: Header=BB450_13 Depth=1
	s_or_b32 exec_lo, exec_lo, s22
	v_lshrrev_b32_e32 v0, 16, v33
	s_mov_b32 s22, exec_lo
	s_delay_alu instid0(VALU_DEP_1) | instskip(NEXT) | instid1(VALU_DEP_1)
	v_dual_mov_b32 v1, 0 :: v_dual_and_b32 v2, 0xff, v0
	v_cmpx_ne_u16_e32 0, v2
	s_cbranch_execz .LBB450_816
; %bb.809:                              ;   in Loop: Header=BB450_13 Depth=1
	v_bfrev_b32_e32 v1, 1
	s_mov_b32 s23, exec_lo
	v_cmpx_ne_u16_e32 0x80, v2
	s_cbranch_execz .LBB450_815
; %bb.810:                              ;   in Loop: Header=BB450_13 Depth=1
	v_bfe_u32 v2, v33, 16, 7
	v_mov_b32_e32 v1, 0x7f800001
	s_mov_b32 s24, exec_lo
	s_delay_alu instid0(VALU_DEP_2)
	v_cmpx_ne_u32_e32 0x7f, v2
	s_cbranch_execz .LBB450_814
; %bb.811:                              ;   in Loop: Header=BB450_13 Depth=1
	v_and_b32_e32 v19, 7, v0
	v_lshrrev_b32_e32 v1, 3, v2
	v_mov_b32_e32 v36, v20
	s_mov_b32 s25, exec_lo
	s_delay_alu instid0(VALU_DEP_3)
	v_mov_b32_e32 v35, v19
	v_cmpx_gt_u32_e32 8, v2
; %bb.812:                              ;   in Loop: Header=BB450_13 Depth=1
	v_clz_i32_u32_e32 v1, v19
	s_delay_alu instid0(VALU_DEP_1) | instskip(NEXT) | instid1(VALU_DEP_1)
	v_min_u32_e32 v1, 32, v1
	v_subrev_nc_u32_e32 v2, 28, v1
	v_sub_nc_u32_e32 v1, 29, v1
	s_delay_alu instid0(VALU_DEP_2) | instskip(NEXT) | instid1(VALU_DEP_1)
	v_lshlrev_b64 v[2:3], v2, v[19:20]
	v_and_b32_e32 v35, 7, v2
; %bb.813:                              ;   in Loop: Header=BB450_13 Depth=1
	s_or_b32 exec_lo, exec_lo, s25
	v_lshlrev_b32_e32 v0, 24, v0
	s_delay_alu instid0(VALU_DEP_2) | instskip(SKIP_1) | instid1(VALU_DEP_3)
	v_lshlrev_b32_e32 v2, 20, v35
	v_lshl_add_u32 v1, v1, 23, 0x3c000000
	v_and_b32_e32 v0, 0x80000000, v0
	s_delay_alu instid0(VALU_DEP_1)
	v_or3_b32 v1, v2, v0, v1
.LBB450_814:                            ;   in Loop: Header=BB450_13 Depth=1
	s_or_b32 exec_lo, exec_lo, s24
.LBB450_815:                            ;   in Loop: Header=BB450_13 Depth=1
	s_delay_alu instid0(SALU_CYCLE_1)
	s_or_b32 exec_lo, exec_lo, s23
.LBB450_816:                            ;   in Loop: Header=BB450_13 Depth=1
	s_delay_alu instid0(SALU_CYCLE_1) | instskip(NEXT) | instid1(VALU_DEP_1)
	s_or_b32 exec_lo, exec_lo, s22
	v_mul_f32_e32 v0, v121, v1
	s_delay_alu instid0(VALU_DEP_1) | instskip(NEXT) | instid1(VALU_DEP_1)
	v_and_b32_e32 v1, 0x7f800000, v0
	v_cmp_ne_u32_e64 s2, 0x7f800000, v1
                                        ; implicit-def: $vgpr1
                                        ; kill: killed $vgpr1
	s_delay_alu instid0(VALU_DEP_1) | instskip(NEXT) | instid1(SALU_CYCLE_1)
	s_and_saveexec_b32 s22, s2
	s_xor_b32 s2, exec_lo, s22
	s_cbranch_execz .LBB450_818
; %bb.817:                              ;   in Loop: Header=BB450_13 Depth=1
	v_bfe_u32 v1, v0, 16, 1
	s_delay_alu instid0(VALU_DEP_1)
	v_add3_u32 v0, v0, v1, 0x7fff
	scratch_store_b32 off, v0, s32 offset:608 ; 4-byte Folded Spill
                                        ; implicit-def: $vgpr0
.LBB450_818:                            ;   in Loop: Header=BB450_13 Depth=1
	s_and_not1_saveexec_b32 s22, s2
	s_cbranch_execz .LBB450_820
; %bb.819:                              ;   in Loop: Header=BB450_13 Depth=1
	v_and_b32_e32 v1, 0xffff, v0
	v_or_b32_e32 v2, 0x10000, v0
	s_delay_alu instid0(VALU_DEP_2) | instskip(NEXT) | instid1(VALU_DEP_1)
	v_cmp_eq_u32_e64 s2, 0, v1
	v_cndmask_b32_e64 v0, v2, v0, s2
	scratch_store_b32 off, v0, s32 offset:608 ; 4-byte Folded Spill
.LBB450_820:                            ;   in Loop: Header=BB450_13 Depth=1
	s_or_b32 exec_lo, exec_lo, s22
	v_mov_b32_e32 v1, 0
	s_mov_b32 s22, exec_lo
	v_cmpx_lt_u32_e32 0xffffff, v33
	s_cbranch_execz .LBB450_828
; %bb.821:                              ;   in Loop: Header=BB450_13 Depth=1
	v_lshrrev_b32_e32 v0, 24, v33
	v_bfrev_b32_e32 v1, 1
	s_mov_b32 s23, exec_lo
	s_delay_alu instid0(VALU_DEP_2)
	v_cmpx_ne_u32_e32 0x80, v0
	s_cbranch_execz .LBB450_827
; %bb.822:                              ;   in Loop: Header=BB450_13 Depth=1
	v_bfe_u32 v2, v33, 24, 7
	v_mov_b32_e32 v1, 0x7f800001
	s_mov_b32 s24, exec_lo
	s_delay_alu instid0(VALU_DEP_2)
	v_cmpx_ne_u32_e32 0x7f, v2
	s_cbranch_execz .LBB450_826
; %bb.823:                              ;   in Loop: Header=BB450_13 Depth=1
	v_and_b32_e32 v19, 7, v0
	v_lshrrev_b32_e32 v1, 3, v2
	v_mov_b32_e32 v36, v20
	s_mov_b32 s25, exec_lo
	s_delay_alu instid0(VALU_DEP_3)
	v_mov_b32_e32 v35, v19
	v_cmpx_gt_u32_e32 8, v2
; %bb.824:                              ;   in Loop: Header=BB450_13 Depth=1
	v_clz_i32_u32_e32 v1, v19
	s_delay_alu instid0(VALU_DEP_1) | instskip(NEXT) | instid1(VALU_DEP_1)
	v_min_u32_e32 v1, 32, v1
	v_subrev_nc_u32_e32 v2, 28, v1
	v_sub_nc_u32_e32 v1, 29, v1
	s_delay_alu instid0(VALU_DEP_2) | instskip(NEXT) | instid1(VALU_DEP_1)
	v_lshlrev_b64 v[2:3], v2, v[19:20]
	v_and_b32_e32 v35, 7, v2
; %bb.825:                              ;   in Loop: Header=BB450_13 Depth=1
	s_or_b32 exec_lo, exec_lo, s25
	v_lshlrev_b32_e32 v0, 24, v0
	s_delay_alu instid0(VALU_DEP_2) | instskip(SKIP_1) | instid1(VALU_DEP_3)
	v_lshlrev_b32_e32 v2, 20, v35
	v_lshl_add_u32 v1, v1, 23, 0x3c000000
	v_and_b32_e32 v0, 0x80000000, v0
	s_delay_alu instid0(VALU_DEP_1)
	v_or3_b32 v1, v2, v0, v1
.LBB450_826:                            ;   in Loop: Header=BB450_13 Depth=1
	s_or_b32 exec_lo, exec_lo, s24
.LBB450_827:                            ;   in Loop: Header=BB450_13 Depth=1
	s_delay_alu instid0(SALU_CYCLE_1)
	s_or_b32 exec_lo, exec_lo, s23
.LBB450_828:                            ;   in Loop: Header=BB450_13 Depth=1
	s_delay_alu instid0(SALU_CYCLE_1) | instskip(NEXT) | instid1(VALU_DEP_1)
	s_or_b32 exec_lo, exec_lo, s22
	v_mul_f32_e32 v0, v121, v1
	s_delay_alu instid0(VALU_DEP_1) | instskip(NEXT) | instid1(VALU_DEP_1)
	v_and_b32_e32 v1, 0x7f800000, v0
	v_cmp_ne_u32_e64 s2, 0x7f800000, v1
                                        ; implicit-def: $vgpr1
                                        ; kill: killed $vgpr1
	s_delay_alu instid0(VALU_DEP_1) | instskip(NEXT) | instid1(SALU_CYCLE_1)
	s_and_saveexec_b32 s22, s2
	s_xor_b32 s2, exec_lo, s22
	s_cbranch_execz .LBB450_830
; %bb.829:                              ;   in Loop: Header=BB450_13 Depth=1
	v_bfe_u32 v1, v0, 16, 1
	s_delay_alu instid0(VALU_DEP_1)
	v_add3_u32 v0, v0, v1, 0x7fff
	scratch_store_b32 off, v0, s32 offset:612 ; 4-byte Folded Spill
                                        ; implicit-def: $vgpr0
.LBB450_830:                            ;   in Loop: Header=BB450_13 Depth=1
	s_and_not1_saveexec_b32 s22, s2
	s_cbranch_execz .LBB450_832
; %bb.831:                              ;   in Loop: Header=BB450_13 Depth=1
	v_and_b32_e32 v1, 0xffff, v0
	v_or_b32_e32 v2, 0x10000, v0
	s_delay_alu instid0(VALU_DEP_2) | instskip(NEXT) | instid1(VALU_DEP_1)
	v_cmp_eq_u32_e64 s2, 0, v1
	v_cndmask_b32_e64 v0, v2, v0, s2
	scratch_store_b32 off, v0, s32 offset:612 ; 4-byte Folded Spill
.LBB450_832:                            ;   in Loop: Header=BB450_13 Depth=1
	s_or_b32 exec_lo, exec_lo, s22
	v_dual_mov_b32 v0, 0 :: v_dual_and_b32 v1, 0xff, v34
	v_mov_b32_e32 v19, v34
	s_mov_b32 s22, exec_lo
	s_delay_alu instid0(VALU_DEP_2)
	v_cmpx_ne_u16_e32 0, v1
	s_cbranch_execz .LBB450_840
; %bb.833:                              ;   in Loop: Header=BB450_13 Depth=1
	v_bfrev_b32_e32 v0, 1
	s_mov_b32 s23, exec_lo
	v_cmpx_ne_u16_e32 0x80, v1
	s_cbranch_execz .LBB450_839
; %bb.834:                              ;   in Loop: Header=BB450_13 Depth=1
	v_and_b32_e32 v1, 0x7f, v34
	v_mov_b32_e32 v0, 0x7f800001
	s_mov_b32 s24, exec_lo
	s_delay_alu instid0(VALU_DEP_2)
	v_cmpx_ne_u32_e32 0x7f, v1
	s_cbranch_execz .LBB450_838
; %bb.835:                              ;   in Loop: Header=BB450_13 Depth=1
	v_lshrrev_b32_e32 v0, 3, v1
	v_dual_mov_b32 v36, v20 :: v_dual_mov_b32 v35, v19
	s_mov_b32 s25, exec_lo
	v_cmpx_gt_u32_e32 8, v1
; %bb.836:                              ;   in Loop: Header=BB450_13 Depth=1
	v_and_b32_e32 v0, 7, v34
	s_delay_alu instid0(VALU_DEP_1) | instskip(NEXT) | instid1(VALU_DEP_1)
	v_clz_i32_u32_e32 v0, v0
	v_min_u32_e32 v0, 32, v0
	s_delay_alu instid0(VALU_DEP_1) | instskip(SKIP_1) | instid1(VALU_DEP_2)
	v_subrev_nc_u32_e32 v1, 28, v0
	v_sub_nc_u32_e32 v0, 29, v0
	v_lshlrev_b64 v[35:36], v1, v[19:20]
; %bb.837:                              ;   in Loop: Header=BB450_13 Depth=1
	s_or_b32 exec_lo, exec_lo, s25
	s_delay_alu instid0(VALU_DEP_1) | instskip(SKIP_2) | instid1(VALU_DEP_3)
	v_lshlrev_b32_e32 v1, 20, v35
	v_lshlrev_b32_e32 v2, 24, v19
	v_lshl_add_u32 v0, v0, 23, 0x3c000000
	v_and_b32_e32 v1, 0x700000, v1
	s_delay_alu instid0(VALU_DEP_3) | instskip(NEXT) | instid1(VALU_DEP_1)
	v_and_b32_e32 v2, 0x80000000, v2
	v_or3_b32 v0, v1, v2, v0
.LBB450_838:                            ;   in Loop: Header=BB450_13 Depth=1
	s_or_b32 exec_lo, exec_lo, s24
.LBB450_839:                            ;   in Loop: Header=BB450_13 Depth=1
	s_delay_alu instid0(SALU_CYCLE_1)
	s_or_b32 exec_lo, exec_lo, s23
.LBB450_840:                            ;   in Loop: Header=BB450_13 Depth=1
	s_delay_alu instid0(SALU_CYCLE_1) | instskip(NEXT) | instid1(VALU_DEP_1)
	s_or_b32 exec_lo, exec_lo, s22
	v_mul_f32_e32 v0, v121, v0
	s_delay_alu instid0(VALU_DEP_1) | instskip(NEXT) | instid1(VALU_DEP_1)
	v_and_b32_e32 v1, 0x7f800000, v0
	v_cmp_ne_u32_e64 s2, 0x7f800000, v1
                                        ; implicit-def: $vgpr1
                                        ; kill: killed $vgpr1
	s_delay_alu instid0(VALU_DEP_1) | instskip(NEXT) | instid1(SALU_CYCLE_1)
	s_and_saveexec_b32 s22, s2
	s_xor_b32 s2, exec_lo, s22
	s_cbranch_execz .LBB450_842
; %bb.841:                              ;   in Loop: Header=BB450_13 Depth=1
	v_bfe_u32 v1, v0, 16, 1
	s_delay_alu instid0(VALU_DEP_1)
	v_add3_u32 v0, v0, v1, 0x7fff
	scratch_store_b32 off, v0, s32 offset:616 ; 4-byte Folded Spill
                                        ; implicit-def: $vgpr0
.LBB450_842:                            ;   in Loop: Header=BB450_13 Depth=1
	s_and_not1_saveexec_b32 s22, s2
	s_cbranch_execz .LBB450_844
; %bb.843:                              ;   in Loop: Header=BB450_13 Depth=1
	v_and_b32_e32 v1, 0xffff, v0
	v_or_b32_e32 v2, 0x10000, v0
	s_delay_alu instid0(VALU_DEP_2) | instskip(NEXT) | instid1(VALU_DEP_1)
	v_cmp_eq_u32_e64 s2, 0, v1
	v_cndmask_b32_e64 v0, v2, v0, s2
	scratch_store_b32 off, v0, s32 offset:616 ; 4-byte Folded Spill
.LBB450_844:                            ;   in Loop: Header=BB450_13 Depth=1
	s_or_b32 exec_lo, exec_lo, s22
	v_lshrrev_b16 v1, 8, v19
	v_mov_b32_e32 v0, 0
	s_mov_b32 s22, exec_lo
	s_delay_alu instid0(VALU_DEP_2)
	v_cmpx_ne_u16_e32 0, v1
	s_cbranch_execz .LBB450_852
; %bb.845:                              ;   in Loop: Header=BB450_13 Depth=1
	v_bfrev_b32_e32 v0, 1
	s_mov_b32 s23, exec_lo
	v_cmpx_ne_u16_e32 0x80, v1
	s_cbranch_execz .LBB450_851
; %bb.846:                              ;   in Loop: Header=BB450_13 Depth=1
	v_and_b32_e32 v2, 0xffff, v1
	v_mov_b32_e32 v0, 0x7f800001
	s_mov_b32 s24, exec_lo
	s_delay_alu instid0(VALU_DEP_2) | instskip(NEXT) | instid1(VALU_DEP_1)
	v_and_b32_e32 v1, 0x7f, v2
	v_cmpx_ne_u32_e32 0x7f, v1
	s_cbranch_execz .LBB450_850
; %bb.847:                              ;   in Loop: Header=BB450_13 Depth=1
	v_dual_mov_b32 v36, v20 :: v_dual_and_b32 v35, 7, v2
	v_lshrrev_b32_e32 v0, 3, v1
	s_mov_b32 s25, exec_lo
	v_cmpx_gt_u32_e32 8, v1
; %bb.848:                              ;   in Loop: Header=BB450_13 Depth=1
	s_delay_alu instid0(VALU_DEP_3) | instskip(NEXT) | instid1(VALU_DEP_1)
	v_clz_i32_u32_e32 v0, v35
	v_min_u32_e32 v0, 32, v0
	s_delay_alu instid0(VALU_DEP_1) | instskip(SKIP_1) | instid1(VALU_DEP_2)
	v_subrev_nc_u32_e32 v1, 28, v0
	v_sub_nc_u32_e32 v0, 29, v0
	v_lshlrev_b64 v[1:2], v1, v[35:36]
	s_delay_alu instid0(VALU_DEP_1)
	v_and_b32_e32 v35, 7, v1
; %bb.849:                              ;   in Loop: Header=BB450_13 Depth=1
	s_or_b32 exec_lo, exec_lo, s25
	v_lshlrev_b32_e32 v1, 16, v19
	s_delay_alu instid0(VALU_DEP_2) | instskip(SKIP_1) | instid1(VALU_DEP_3)
	v_lshlrev_b32_e32 v2, 20, v35
	v_lshl_add_u32 v0, v0, 23, 0x3c000000
	v_and_b32_e32 v1, 0x80000000, v1
	s_delay_alu instid0(VALU_DEP_1)
	v_or3_b32 v0, v2, v1, v0
.LBB450_850:                            ;   in Loop: Header=BB450_13 Depth=1
	s_or_b32 exec_lo, exec_lo, s24
.LBB450_851:                            ;   in Loop: Header=BB450_13 Depth=1
	s_delay_alu instid0(SALU_CYCLE_1)
	s_or_b32 exec_lo, exec_lo, s23
.LBB450_852:                            ;   in Loop: Header=BB450_13 Depth=1
	s_delay_alu instid0(SALU_CYCLE_1) | instskip(NEXT) | instid1(VALU_DEP_1)
	s_or_b32 exec_lo, exec_lo, s22
	v_mul_f32_e32 v0, v121, v0
	s_delay_alu instid0(VALU_DEP_1) | instskip(NEXT) | instid1(VALU_DEP_1)
	v_and_b32_e32 v1, 0x7f800000, v0
	v_cmp_ne_u32_e64 s2, 0x7f800000, v1
                                        ; implicit-def: $vgpr1
                                        ; kill: killed $vgpr1
	s_delay_alu instid0(VALU_DEP_1) | instskip(NEXT) | instid1(SALU_CYCLE_1)
	s_and_saveexec_b32 s22, s2
	s_xor_b32 s2, exec_lo, s22
	s_cbranch_execz .LBB450_854
; %bb.853:                              ;   in Loop: Header=BB450_13 Depth=1
	v_bfe_u32 v1, v0, 16, 1
	s_delay_alu instid0(VALU_DEP_1)
	v_add3_u32 v0, v0, v1, 0x7fff
	scratch_store_b32 off, v0, s32 offset:620 ; 4-byte Folded Spill
                                        ; implicit-def: $vgpr0
.LBB450_854:                            ;   in Loop: Header=BB450_13 Depth=1
	s_and_not1_saveexec_b32 s22, s2
	s_cbranch_execz .LBB450_856
; %bb.855:                              ;   in Loop: Header=BB450_13 Depth=1
	v_and_b32_e32 v1, 0xffff, v0
	v_or_b32_e32 v2, 0x10000, v0
	s_delay_alu instid0(VALU_DEP_2) | instskip(NEXT) | instid1(VALU_DEP_1)
	v_cmp_eq_u32_e64 s2, 0, v1
	v_cndmask_b32_e64 v0, v2, v0, s2
	scratch_store_b32 off, v0, s32 offset:620 ; 4-byte Folded Spill
.LBB450_856:                            ;   in Loop: Header=BB450_13 Depth=1
	s_or_b32 exec_lo, exec_lo, s22
	v_lshrrev_b32_e32 v0, 16, v34
	s_mov_b32 s22, exec_lo
	s_delay_alu instid0(VALU_DEP_1) | instskip(NEXT) | instid1(VALU_DEP_1)
	v_dual_mov_b32 v1, 0 :: v_dual_and_b32 v2, 0xff, v0
	v_cmpx_ne_u16_e32 0, v2
	s_cbranch_execz .LBB450_864
; %bb.857:                              ;   in Loop: Header=BB450_13 Depth=1
	v_bfrev_b32_e32 v1, 1
	s_mov_b32 s23, exec_lo
	v_cmpx_ne_u16_e32 0x80, v2
	s_cbranch_execz .LBB450_863
; %bb.858:                              ;   in Loop: Header=BB450_13 Depth=1
	v_bfe_u32 v2, v34, 16, 7
	v_mov_b32_e32 v1, 0x7f800001
	s_mov_b32 s24, exec_lo
	s_delay_alu instid0(VALU_DEP_2)
	v_cmpx_ne_u32_e32 0x7f, v2
	s_cbranch_execz .LBB450_862
; %bb.859:                              ;   in Loop: Header=BB450_13 Depth=1
	v_and_b32_e32 v19, 7, v0
	v_lshrrev_b32_e32 v1, 3, v2
	v_mov_b32_e32 v36, v20
	s_mov_b32 s25, exec_lo
	s_delay_alu instid0(VALU_DEP_3)
	v_mov_b32_e32 v35, v19
	v_cmpx_gt_u32_e32 8, v2
; %bb.860:                              ;   in Loop: Header=BB450_13 Depth=1
	v_clz_i32_u32_e32 v1, v19
	s_delay_alu instid0(VALU_DEP_1) | instskip(NEXT) | instid1(VALU_DEP_1)
	v_min_u32_e32 v1, 32, v1
	v_subrev_nc_u32_e32 v2, 28, v1
	v_sub_nc_u32_e32 v1, 29, v1
	s_delay_alu instid0(VALU_DEP_2) | instskip(NEXT) | instid1(VALU_DEP_1)
	v_lshlrev_b64 v[2:3], v2, v[19:20]
	v_and_b32_e32 v35, 7, v2
; %bb.861:                              ;   in Loop: Header=BB450_13 Depth=1
	s_or_b32 exec_lo, exec_lo, s25
	v_lshlrev_b32_e32 v0, 24, v0
	s_delay_alu instid0(VALU_DEP_2) | instskip(SKIP_1) | instid1(VALU_DEP_3)
	v_lshlrev_b32_e32 v2, 20, v35
	v_lshl_add_u32 v1, v1, 23, 0x3c000000
	v_and_b32_e32 v0, 0x80000000, v0
	s_delay_alu instid0(VALU_DEP_1)
	v_or3_b32 v1, v2, v0, v1
.LBB450_862:                            ;   in Loop: Header=BB450_13 Depth=1
	s_or_b32 exec_lo, exec_lo, s24
.LBB450_863:                            ;   in Loop: Header=BB450_13 Depth=1
	s_delay_alu instid0(SALU_CYCLE_1)
	s_or_b32 exec_lo, exec_lo, s23
.LBB450_864:                            ;   in Loop: Header=BB450_13 Depth=1
	s_delay_alu instid0(SALU_CYCLE_1) | instskip(NEXT) | instid1(VALU_DEP_1)
	s_or_b32 exec_lo, exec_lo, s22
	v_mul_f32_e32 v0, v121, v1
	s_delay_alu instid0(VALU_DEP_1) | instskip(NEXT) | instid1(VALU_DEP_1)
	v_and_b32_e32 v1, 0x7f800000, v0
	v_cmp_ne_u32_e64 s2, 0x7f800000, v1
                                        ; implicit-def: $vgpr1
                                        ; kill: killed $vgpr1
	s_delay_alu instid0(VALU_DEP_1) | instskip(NEXT) | instid1(SALU_CYCLE_1)
	s_and_saveexec_b32 s22, s2
	s_xor_b32 s2, exec_lo, s22
	s_cbranch_execz .LBB450_866
; %bb.865:                              ;   in Loop: Header=BB450_13 Depth=1
	v_bfe_u32 v1, v0, 16, 1
	s_delay_alu instid0(VALU_DEP_1)
	v_add3_u32 v0, v0, v1, 0x7fff
	scratch_store_b32 off, v0, s32 offset:624 ; 4-byte Folded Spill
                                        ; implicit-def: $vgpr0
.LBB450_866:                            ;   in Loop: Header=BB450_13 Depth=1
	s_and_not1_saveexec_b32 s22, s2
	s_cbranch_execz .LBB450_868
; %bb.867:                              ;   in Loop: Header=BB450_13 Depth=1
	v_and_b32_e32 v1, 0xffff, v0
	v_or_b32_e32 v2, 0x10000, v0
	s_delay_alu instid0(VALU_DEP_2) | instskip(NEXT) | instid1(VALU_DEP_1)
	v_cmp_eq_u32_e64 s2, 0, v1
	v_cndmask_b32_e64 v0, v2, v0, s2
	scratch_store_b32 off, v0, s32 offset:624 ; 4-byte Folded Spill
.LBB450_868:                            ;   in Loop: Header=BB450_13 Depth=1
	s_or_b32 exec_lo, exec_lo, s22
	v_mov_b32_e32 v1, 0
	s_mov_b32 s22, exec_lo
	v_cmpx_lt_u64_e64 s[8:9], v[33:34]
	s_cbranch_execz .LBB450_876
; %bb.869:                              ;   in Loop: Header=BB450_13 Depth=1
	v_lshrrev_b32_e32 v0, 24, v34
	v_bfrev_b32_e32 v1, 1
	s_mov_b32 s23, exec_lo
	s_delay_alu instid0(VALU_DEP_2)
	v_cmpx_ne_u32_e32 0x80, v0
	s_cbranch_execz .LBB450_875
; %bb.870:                              ;   in Loop: Header=BB450_13 Depth=1
	v_bfe_u32 v2, v34, 24, 7
	v_mov_b32_e32 v1, 0x7f800001
	s_mov_b32 s24, exec_lo
	s_delay_alu instid0(VALU_DEP_2)
	v_cmpx_ne_u32_e32 0x7f, v2
	s_cbranch_execz .LBB450_874
; %bb.871:                              ;   in Loop: Header=BB450_13 Depth=1
	v_and_b32_e32 v19, 7, v0
	v_lshrrev_b32_e32 v1, 3, v2
	v_mov_b32_e32 v34, v20
	s_mov_b32 s25, exec_lo
	s_delay_alu instid0(VALU_DEP_3)
	v_mov_b32_e32 v33, v19
	v_cmpx_gt_u32_e32 8, v2
; %bb.872:                              ;   in Loop: Header=BB450_13 Depth=1
	v_clz_i32_u32_e32 v1, v19
	s_delay_alu instid0(VALU_DEP_1) | instskip(NEXT) | instid1(VALU_DEP_1)
	v_min_u32_e32 v1, 32, v1
	v_subrev_nc_u32_e32 v2, 28, v1
	v_sub_nc_u32_e32 v1, 29, v1
	s_delay_alu instid0(VALU_DEP_2) | instskip(NEXT) | instid1(VALU_DEP_1)
	v_lshlrev_b64 v[2:3], v2, v[19:20]
	v_and_b32_e32 v33, 7, v2
; %bb.873:                              ;   in Loop: Header=BB450_13 Depth=1
	s_or_b32 exec_lo, exec_lo, s25
	v_lshlrev_b32_e32 v0, 24, v0
	s_delay_alu instid0(VALU_DEP_2) | instskip(SKIP_1) | instid1(VALU_DEP_3)
	v_lshlrev_b32_e32 v2, 20, v33
	v_lshl_add_u32 v1, v1, 23, 0x3c000000
	v_and_b32_e32 v0, 0x80000000, v0
	s_delay_alu instid0(VALU_DEP_1)
	v_or3_b32 v1, v2, v0, v1
.LBB450_874:                            ;   in Loop: Header=BB450_13 Depth=1
	s_or_b32 exec_lo, exec_lo, s24
.LBB450_875:                            ;   in Loop: Header=BB450_13 Depth=1
	s_delay_alu instid0(SALU_CYCLE_1)
	s_or_b32 exec_lo, exec_lo, s23
.LBB450_876:                            ;   in Loop: Header=BB450_13 Depth=1
	s_delay_alu instid0(SALU_CYCLE_1) | instskip(NEXT) | instid1(VALU_DEP_1)
	s_or_b32 exec_lo, exec_lo, s22
	v_mul_f32_e32 v0, v121, v1
	s_delay_alu instid0(VALU_DEP_1) | instskip(NEXT) | instid1(VALU_DEP_1)
	v_and_b32_e32 v1, 0x7f800000, v0
	v_cmp_ne_u32_e64 s2, 0x7f800000, v1
                                        ; implicit-def: $vgpr1
                                        ; kill: killed $vgpr1
	s_delay_alu instid0(VALU_DEP_1) | instskip(NEXT) | instid1(SALU_CYCLE_1)
	s_and_saveexec_b32 s22, s2
	s_xor_b32 s2, exec_lo, s22
	s_cbranch_execz .LBB450_878
; %bb.877:                              ;   in Loop: Header=BB450_13 Depth=1
	v_bfe_u32 v1, v0, 16, 1
	s_delay_alu instid0(VALU_DEP_1)
	v_add3_u32 v0, v0, v1, 0x7fff
	scratch_store_b32 off, v0, s32 offset:628 ; 4-byte Folded Spill
                                        ; implicit-def: $vgpr0
.LBB450_878:                            ;   in Loop: Header=BB450_13 Depth=1
	s_and_not1_saveexec_b32 s22, s2
	s_cbranch_execz .LBB450_880
; %bb.879:                              ;   in Loop: Header=BB450_13 Depth=1
	v_and_b32_e32 v1, 0xffff, v0
	v_or_b32_e32 v2, 0x10000, v0
	s_delay_alu instid0(VALU_DEP_2) | instskip(NEXT) | instid1(VALU_DEP_1)
	v_cmp_eq_u32_e64 s2, 0, v1
	v_cndmask_b32_e64 v0, v2, v0, s2
	scratch_store_b32 off, v0, s32 offset:628 ; 4-byte Folded Spill
.LBB450_880:                            ;   in Loop: Header=BB450_13 Depth=1
	s_or_b32 exec_lo, exec_lo, s22
	flat_load_b64 v[33:34], v[31:32] offset:2056
	s_mov_b32 s22, exec_lo
	s_waitcnt vmcnt(0) lgkmcnt(0)
	v_dual_mov_b32 v0, 0 :: v_dual_and_b32 v1, 0xff, v33
	s_delay_alu instid0(VALU_DEP_1)
	v_cmpx_ne_u16_e32 0, v1
	s_cbranch_execz .LBB450_888
; %bb.881:                              ;   in Loop: Header=BB450_13 Depth=1
	v_bfrev_b32_e32 v0, 1
	s_mov_b32 s23, exec_lo
	v_cmpx_ne_u16_e32 0x80, v1
	s_cbranch_execz .LBB450_887
; %bb.882:                              ;   in Loop: Header=BB450_13 Depth=1
	v_and_b32_e32 v1, 0x7f, v33
	v_mov_b32_e32 v0, 0x7f800001
	s_mov_b32 s24, exec_lo
	s_delay_alu instid0(VALU_DEP_2)
	v_cmpx_ne_u32_e32 0x7f, v1
	s_cbranch_execz .LBB450_886
; %bb.883:                              ;   in Loop: Header=BB450_13 Depth=1
	v_lshrrev_b32_e32 v0, 3, v1
	v_dual_mov_b32 v36, v34 :: v_dual_mov_b32 v35, v33
	s_mov_b32 s25, exec_lo
	v_cmpx_gt_u32_e32 8, v1
; %bb.884:                              ;   in Loop: Header=BB450_13 Depth=1
	v_and_b32_e32 v0, 7, v33
	s_delay_alu instid0(VALU_DEP_1) | instskip(NEXT) | instid1(VALU_DEP_1)
	v_clz_i32_u32_e32 v0, v0
	v_min_u32_e32 v0, 32, v0
	s_delay_alu instid0(VALU_DEP_1) | instskip(SKIP_1) | instid1(VALU_DEP_2)
	v_subrev_nc_u32_e32 v1, 28, v0
	v_sub_nc_u32_e32 v0, 29, v0
	v_lshlrev_b64 v[35:36], v1, v[33:34]
; %bb.885:                              ;   in Loop: Header=BB450_13 Depth=1
	s_or_b32 exec_lo, exec_lo, s25
	s_delay_alu instid0(VALU_DEP_1) | instskip(SKIP_2) | instid1(VALU_DEP_3)
	v_lshlrev_b32_e32 v1, 20, v35
	v_lshlrev_b32_e32 v2, 24, v33
	v_lshl_add_u32 v0, v0, 23, 0x3c000000
	v_and_b32_e32 v1, 0x700000, v1
	s_delay_alu instid0(VALU_DEP_3) | instskip(NEXT) | instid1(VALU_DEP_1)
	v_and_b32_e32 v2, 0x80000000, v2
	v_or3_b32 v0, v1, v2, v0
.LBB450_886:                            ;   in Loop: Header=BB450_13 Depth=1
	s_or_b32 exec_lo, exec_lo, s24
.LBB450_887:                            ;   in Loop: Header=BB450_13 Depth=1
	s_delay_alu instid0(SALU_CYCLE_1)
	s_or_b32 exec_lo, exec_lo, s23
.LBB450_888:                            ;   in Loop: Header=BB450_13 Depth=1
	s_delay_alu instid0(SALU_CYCLE_1) | instskip(NEXT) | instid1(VALU_DEP_1)
	s_or_b32 exec_lo, exec_lo, s22
	v_mul_f32_e32 v0, v121, v0
	s_delay_alu instid0(VALU_DEP_1) | instskip(NEXT) | instid1(VALU_DEP_1)
	v_and_b32_e32 v1, 0x7f800000, v0
	v_cmp_ne_u32_e64 s2, 0x7f800000, v1
                                        ; implicit-def: $vgpr1
                                        ; kill: killed $vgpr1
	s_delay_alu instid0(VALU_DEP_1) | instskip(NEXT) | instid1(SALU_CYCLE_1)
	s_and_saveexec_b32 s22, s2
	s_xor_b32 s2, exec_lo, s22
	s_cbranch_execz .LBB450_890
; %bb.889:                              ;   in Loop: Header=BB450_13 Depth=1
	v_bfe_u32 v1, v0, 16, 1
	s_delay_alu instid0(VALU_DEP_1)
	v_add3_u32 v0, v0, v1, 0x7fff
	scratch_store_b32 off, v0, s32 offset:632 ; 4-byte Folded Spill
                                        ; implicit-def: $vgpr0
.LBB450_890:                            ;   in Loop: Header=BB450_13 Depth=1
	s_and_not1_saveexec_b32 s22, s2
	s_cbranch_execz .LBB450_892
; %bb.891:                              ;   in Loop: Header=BB450_13 Depth=1
	v_and_b32_e32 v1, 0xffff, v0
	v_or_b32_e32 v2, 0x10000, v0
	s_delay_alu instid0(VALU_DEP_2) | instskip(NEXT) | instid1(VALU_DEP_1)
	v_cmp_eq_u32_e64 s2, 0, v1
	v_cndmask_b32_e64 v0, v2, v0, s2
	scratch_store_b32 off, v0, s32 offset:632 ; 4-byte Folded Spill
.LBB450_892:                            ;   in Loop: Header=BB450_13 Depth=1
	s_or_b32 exec_lo, exec_lo, s22
	v_lshrrev_b16 v1, 8, v33
	v_mov_b32_e32 v0, 0
	s_mov_b32 s22, exec_lo
	s_delay_alu instid0(VALU_DEP_2)
	v_cmpx_ne_u16_e32 0, v1
	s_cbranch_execz .LBB450_900
; %bb.893:                              ;   in Loop: Header=BB450_13 Depth=1
	v_bfrev_b32_e32 v0, 1
	s_mov_b32 s23, exec_lo
	v_cmpx_ne_u16_e32 0x80, v1
	s_cbranch_execz .LBB450_899
; %bb.894:                              ;   in Loop: Header=BB450_13 Depth=1
	v_and_b32_e32 v2, 0xffff, v1
	v_mov_b32_e32 v0, 0x7f800001
	s_mov_b32 s24, exec_lo
	s_delay_alu instid0(VALU_DEP_2) | instskip(NEXT) | instid1(VALU_DEP_1)
	v_and_b32_e32 v1, 0x7f, v2
	v_cmpx_ne_u32_e32 0x7f, v1
	s_cbranch_execz .LBB450_898
; %bb.895:                              ;   in Loop: Header=BB450_13 Depth=1
	v_and_b32_e32 v19, 7, v2
	v_lshrrev_b32_e32 v0, 3, v1
	v_mov_b32_e32 v36, v20
	s_mov_b32 s25, exec_lo
	s_delay_alu instid0(VALU_DEP_3)
	v_mov_b32_e32 v35, v19
	v_cmpx_gt_u32_e32 8, v1
; %bb.896:                              ;   in Loop: Header=BB450_13 Depth=1
	v_clz_i32_u32_e32 v0, v19
	s_delay_alu instid0(VALU_DEP_1) | instskip(NEXT) | instid1(VALU_DEP_1)
	v_min_u32_e32 v0, 32, v0
	v_subrev_nc_u32_e32 v1, 28, v0
	v_sub_nc_u32_e32 v0, 29, v0
	s_delay_alu instid0(VALU_DEP_2) | instskip(NEXT) | instid1(VALU_DEP_1)
	v_lshlrev_b64 v[1:2], v1, v[19:20]
	v_and_b32_e32 v35, 7, v1
; %bb.897:                              ;   in Loop: Header=BB450_13 Depth=1
	s_or_b32 exec_lo, exec_lo, s25
	v_lshlrev_b32_e32 v1, 16, v33
	s_delay_alu instid0(VALU_DEP_2) | instskip(SKIP_1) | instid1(VALU_DEP_3)
	v_lshlrev_b32_e32 v2, 20, v35
	v_lshl_add_u32 v0, v0, 23, 0x3c000000
	v_and_b32_e32 v1, 0x80000000, v1
	s_delay_alu instid0(VALU_DEP_1)
	v_or3_b32 v0, v2, v1, v0
.LBB450_898:                            ;   in Loop: Header=BB450_13 Depth=1
	s_or_b32 exec_lo, exec_lo, s24
.LBB450_899:                            ;   in Loop: Header=BB450_13 Depth=1
	s_delay_alu instid0(SALU_CYCLE_1)
	s_or_b32 exec_lo, exec_lo, s23
.LBB450_900:                            ;   in Loop: Header=BB450_13 Depth=1
	s_delay_alu instid0(SALU_CYCLE_1) | instskip(NEXT) | instid1(VALU_DEP_1)
	s_or_b32 exec_lo, exec_lo, s22
	v_mul_f32_e32 v0, v121, v0
	s_delay_alu instid0(VALU_DEP_1) | instskip(NEXT) | instid1(VALU_DEP_1)
	v_and_b32_e32 v1, 0x7f800000, v0
	v_cmp_ne_u32_e64 s2, 0x7f800000, v1
                                        ; implicit-def: $vgpr1
                                        ; kill: killed $vgpr1
	s_delay_alu instid0(VALU_DEP_1) | instskip(NEXT) | instid1(SALU_CYCLE_1)
	s_and_saveexec_b32 s22, s2
	s_xor_b32 s2, exec_lo, s22
	s_cbranch_execz .LBB450_902
; %bb.901:                              ;   in Loop: Header=BB450_13 Depth=1
	v_bfe_u32 v1, v0, 16, 1
	s_delay_alu instid0(VALU_DEP_1)
	v_add3_u32 v0, v0, v1, 0x7fff
	scratch_store_b32 off, v0, s32 offset:636 ; 4-byte Folded Spill
                                        ; implicit-def: $vgpr0
.LBB450_902:                            ;   in Loop: Header=BB450_13 Depth=1
	s_and_not1_saveexec_b32 s22, s2
	s_cbranch_execz .LBB450_904
; %bb.903:                              ;   in Loop: Header=BB450_13 Depth=1
	v_and_b32_e32 v1, 0xffff, v0
	v_or_b32_e32 v2, 0x10000, v0
	s_delay_alu instid0(VALU_DEP_2) | instskip(NEXT) | instid1(VALU_DEP_1)
	v_cmp_eq_u32_e64 s2, 0, v1
	v_cndmask_b32_e64 v0, v2, v0, s2
	scratch_store_b32 off, v0, s32 offset:636 ; 4-byte Folded Spill
.LBB450_904:                            ;   in Loop: Header=BB450_13 Depth=1
	s_or_b32 exec_lo, exec_lo, s22
	v_lshrrev_b32_e32 v0, 16, v33
	s_mov_b32 s22, exec_lo
	s_delay_alu instid0(VALU_DEP_1) | instskip(NEXT) | instid1(VALU_DEP_1)
	v_dual_mov_b32 v1, 0 :: v_dual_and_b32 v2, 0xff, v0
	v_cmpx_ne_u16_e32 0, v2
	s_cbranch_execz .LBB450_912
; %bb.905:                              ;   in Loop: Header=BB450_13 Depth=1
	v_bfrev_b32_e32 v1, 1
	s_mov_b32 s23, exec_lo
	v_cmpx_ne_u16_e32 0x80, v2
	s_cbranch_execz .LBB450_911
; %bb.906:                              ;   in Loop: Header=BB450_13 Depth=1
	v_bfe_u32 v2, v33, 16, 7
	v_mov_b32_e32 v1, 0x7f800001
	s_mov_b32 s24, exec_lo
	s_delay_alu instid0(VALU_DEP_2)
	v_cmpx_ne_u32_e32 0x7f, v2
	s_cbranch_execz .LBB450_910
; %bb.907:                              ;   in Loop: Header=BB450_13 Depth=1
	v_and_b32_e32 v19, 7, v0
	v_lshrrev_b32_e32 v1, 3, v2
	v_mov_b32_e32 v36, v20
	s_mov_b32 s25, exec_lo
	s_delay_alu instid0(VALU_DEP_3)
	v_mov_b32_e32 v35, v19
	v_cmpx_gt_u32_e32 8, v2
; %bb.908:                              ;   in Loop: Header=BB450_13 Depth=1
	v_clz_i32_u32_e32 v1, v19
	s_delay_alu instid0(VALU_DEP_1) | instskip(NEXT) | instid1(VALU_DEP_1)
	v_min_u32_e32 v1, 32, v1
	v_subrev_nc_u32_e32 v2, 28, v1
	v_sub_nc_u32_e32 v1, 29, v1
	s_delay_alu instid0(VALU_DEP_2) | instskip(NEXT) | instid1(VALU_DEP_1)
	v_lshlrev_b64 v[2:3], v2, v[19:20]
	v_and_b32_e32 v35, 7, v2
; %bb.909:                              ;   in Loop: Header=BB450_13 Depth=1
	s_or_b32 exec_lo, exec_lo, s25
	v_lshlrev_b32_e32 v0, 24, v0
	s_delay_alu instid0(VALU_DEP_2) | instskip(SKIP_1) | instid1(VALU_DEP_3)
	v_lshlrev_b32_e32 v2, 20, v35
	v_lshl_add_u32 v1, v1, 23, 0x3c000000
	v_and_b32_e32 v0, 0x80000000, v0
	s_delay_alu instid0(VALU_DEP_1)
	v_or3_b32 v1, v2, v0, v1
.LBB450_910:                            ;   in Loop: Header=BB450_13 Depth=1
	s_or_b32 exec_lo, exec_lo, s24
.LBB450_911:                            ;   in Loop: Header=BB450_13 Depth=1
	s_delay_alu instid0(SALU_CYCLE_1)
	s_or_b32 exec_lo, exec_lo, s23
.LBB450_912:                            ;   in Loop: Header=BB450_13 Depth=1
	s_delay_alu instid0(SALU_CYCLE_1) | instskip(NEXT) | instid1(VALU_DEP_1)
	s_or_b32 exec_lo, exec_lo, s22
	v_mul_f32_e32 v0, v121, v1
	s_delay_alu instid0(VALU_DEP_1) | instskip(NEXT) | instid1(VALU_DEP_1)
	v_and_b32_e32 v1, 0x7f800000, v0
	v_cmp_ne_u32_e64 s2, 0x7f800000, v1
                                        ; implicit-def: $vgpr1
                                        ; kill: killed $vgpr1
	s_delay_alu instid0(VALU_DEP_1) | instskip(NEXT) | instid1(SALU_CYCLE_1)
	s_and_saveexec_b32 s22, s2
	s_xor_b32 s2, exec_lo, s22
	s_cbranch_execz .LBB450_914
; %bb.913:                              ;   in Loop: Header=BB450_13 Depth=1
	v_bfe_u32 v1, v0, 16, 1
	s_delay_alu instid0(VALU_DEP_1)
	v_add3_u32 v0, v0, v1, 0x7fff
	scratch_store_b32 off, v0, s32 offset:640 ; 4-byte Folded Spill
                                        ; implicit-def: $vgpr0
.LBB450_914:                            ;   in Loop: Header=BB450_13 Depth=1
	s_and_not1_saveexec_b32 s22, s2
	s_cbranch_execz .LBB450_916
; %bb.915:                              ;   in Loop: Header=BB450_13 Depth=1
	v_and_b32_e32 v1, 0xffff, v0
	v_or_b32_e32 v2, 0x10000, v0
	s_delay_alu instid0(VALU_DEP_2) | instskip(NEXT) | instid1(VALU_DEP_1)
	v_cmp_eq_u32_e64 s2, 0, v1
	v_cndmask_b32_e64 v0, v2, v0, s2
	scratch_store_b32 off, v0, s32 offset:640 ; 4-byte Folded Spill
.LBB450_916:                            ;   in Loop: Header=BB450_13 Depth=1
	s_or_b32 exec_lo, exec_lo, s22
	v_mov_b32_e32 v1, 0
	s_mov_b32 s22, exec_lo
	v_cmpx_lt_u32_e32 0xffffff, v33
	s_cbranch_execz .LBB450_924
; %bb.917:                              ;   in Loop: Header=BB450_13 Depth=1
	v_lshrrev_b32_e32 v0, 24, v33
	v_bfrev_b32_e32 v1, 1
	s_mov_b32 s23, exec_lo
	s_delay_alu instid0(VALU_DEP_2)
	v_cmpx_ne_u32_e32 0x80, v0
	s_cbranch_execz .LBB450_923
; %bb.918:                              ;   in Loop: Header=BB450_13 Depth=1
	v_bfe_u32 v2, v33, 24, 7
	v_mov_b32_e32 v1, 0x7f800001
	s_mov_b32 s24, exec_lo
	s_delay_alu instid0(VALU_DEP_2)
	v_cmpx_ne_u32_e32 0x7f, v2
	s_cbranch_execz .LBB450_922
; %bb.919:                              ;   in Loop: Header=BB450_13 Depth=1
	v_and_b32_e32 v19, 7, v0
	v_lshrrev_b32_e32 v1, 3, v2
	v_mov_b32_e32 v36, v20
	s_mov_b32 s25, exec_lo
	s_delay_alu instid0(VALU_DEP_3)
	v_mov_b32_e32 v35, v19
	v_cmpx_gt_u32_e32 8, v2
; %bb.920:                              ;   in Loop: Header=BB450_13 Depth=1
	v_clz_i32_u32_e32 v1, v19
	s_delay_alu instid0(VALU_DEP_1) | instskip(NEXT) | instid1(VALU_DEP_1)
	v_min_u32_e32 v1, 32, v1
	v_subrev_nc_u32_e32 v2, 28, v1
	v_sub_nc_u32_e32 v1, 29, v1
	s_delay_alu instid0(VALU_DEP_2) | instskip(NEXT) | instid1(VALU_DEP_1)
	v_lshlrev_b64 v[2:3], v2, v[19:20]
	v_and_b32_e32 v35, 7, v2
; %bb.921:                              ;   in Loop: Header=BB450_13 Depth=1
	s_or_b32 exec_lo, exec_lo, s25
	v_lshlrev_b32_e32 v0, 24, v0
	s_delay_alu instid0(VALU_DEP_2) | instskip(SKIP_1) | instid1(VALU_DEP_3)
	v_lshlrev_b32_e32 v2, 20, v35
	v_lshl_add_u32 v1, v1, 23, 0x3c000000
	v_and_b32_e32 v0, 0x80000000, v0
	s_delay_alu instid0(VALU_DEP_1)
	v_or3_b32 v1, v2, v0, v1
.LBB450_922:                            ;   in Loop: Header=BB450_13 Depth=1
	s_or_b32 exec_lo, exec_lo, s24
.LBB450_923:                            ;   in Loop: Header=BB450_13 Depth=1
	s_delay_alu instid0(SALU_CYCLE_1)
	s_or_b32 exec_lo, exec_lo, s23
.LBB450_924:                            ;   in Loop: Header=BB450_13 Depth=1
	s_delay_alu instid0(SALU_CYCLE_1) | instskip(NEXT) | instid1(VALU_DEP_1)
	s_or_b32 exec_lo, exec_lo, s22
	v_mul_f32_e32 v0, v121, v1
	s_delay_alu instid0(VALU_DEP_1) | instskip(NEXT) | instid1(VALU_DEP_1)
	v_and_b32_e32 v1, 0x7f800000, v0
	v_cmp_ne_u32_e64 s2, 0x7f800000, v1
                                        ; implicit-def: $vgpr1
                                        ; kill: killed $vgpr1
	s_delay_alu instid0(VALU_DEP_1) | instskip(NEXT) | instid1(SALU_CYCLE_1)
	s_and_saveexec_b32 s22, s2
	s_xor_b32 s2, exec_lo, s22
	s_cbranch_execz .LBB450_926
; %bb.925:                              ;   in Loop: Header=BB450_13 Depth=1
	v_bfe_u32 v1, v0, 16, 1
	s_delay_alu instid0(VALU_DEP_1)
	v_add3_u32 v0, v0, v1, 0x7fff
	scratch_store_b32 off, v0, s32 offset:644 ; 4-byte Folded Spill
                                        ; implicit-def: $vgpr0
.LBB450_926:                            ;   in Loop: Header=BB450_13 Depth=1
	s_and_not1_saveexec_b32 s22, s2
	s_cbranch_execz .LBB450_928
; %bb.927:                              ;   in Loop: Header=BB450_13 Depth=1
	v_and_b32_e32 v1, 0xffff, v0
	v_or_b32_e32 v2, 0x10000, v0
	s_delay_alu instid0(VALU_DEP_2) | instskip(NEXT) | instid1(VALU_DEP_1)
	v_cmp_eq_u32_e64 s2, 0, v1
	v_cndmask_b32_e64 v0, v2, v0, s2
	scratch_store_b32 off, v0, s32 offset:644 ; 4-byte Folded Spill
.LBB450_928:                            ;   in Loop: Header=BB450_13 Depth=1
	s_or_b32 exec_lo, exec_lo, s22
	v_dual_mov_b32 v0, 0 :: v_dual_and_b32 v1, 0xff, v34
	v_mov_b32_e32 v19, v34
	s_mov_b32 s22, exec_lo
	s_delay_alu instid0(VALU_DEP_2)
	v_cmpx_ne_u16_e32 0, v1
	s_cbranch_execz .LBB450_936
; %bb.929:                              ;   in Loop: Header=BB450_13 Depth=1
	v_bfrev_b32_e32 v0, 1
	s_mov_b32 s23, exec_lo
	v_cmpx_ne_u16_e32 0x80, v1
	s_cbranch_execz .LBB450_935
; %bb.930:                              ;   in Loop: Header=BB450_13 Depth=1
	v_and_b32_e32 v1, 0x7f, v34
	v_mov_b32_e32 v0, 0x7f800001
	s_mov_b32 s24, exec_lo
	s_delay_alu instid0(VALU_DEP_2)
	v_cmpx_ne_u32_e32 0x7f, v1
	s_cbranch_execz .LBB450_934
; %bb.931:                              ;   in Loop: Header=BB450_13 Depth=1
	v_lshrrev_b32_e32 v0, 3, v1
	v_dual_mov_b32 v36, v20 :: v_dual_mov_b32 v35, v19
	s_mov_b32 s25, exec_lo
	v_cmpx_gt_u32_e32 8, v1
; %bb.932:                              ;   in Loop: Header=BB450_13 Depth=1
	v_and_b32_e32 v0, 7, v34
	s_delay_alu instid0(VALU_DEP_1) | instskip(NEXT) | instid1(VALU_DEP_1)
	v_clz_i32_u32_e32 v0, v0
	v_min_u32_e32 v0, 32, v0
	s_delay_alu instid0(VALU_DEP_1) | instskip(SKIP_1) | instid1(VALU_DEP_2)
	v_subrev_nc_u32_e32 v1, 28, v0
	v_sub_nc_u32_e32 v0, 29, v0
	v_lshlrev_b64 v[35:36], v1, v[19:20]
; %bb.933:                              ;   in Loop: Header=BB450_13 Depth=1
	s_or_b32 exec_lo, exec_lo, s25
	s_delay_alu instid0(VALU_DEP_1) | instskip(SKIP_2) | instid1(VALU_DEP_3)
	v_lshlrev_b32_e32 v1, 20, v35
	v_lshlrev_b32_e32 v2, 24, v19
	v_lshl_add_u32 v0, v0, 23, 0x3c000000
	v_and_b32_e32 v1, 0x700000, v1
	s_delay_alu instid0(VALU_DEP_3) | instskip(NEXT) | instid1(VALU_DEP_1)
	v_and_b32_e32 v2, 0x80000000, v2
	v_or3_b32 v0, v1, v2, v0
.LBB450_934:                            ;   in Loop: Header=BB450_13 Depth=1
	s_or_b32 exec_lo, exec_lo, s24
.LBB450_935:                            ;   in Loop: Header=BB450_13 Depth=1
	s_delay_alu instid0(SALU_CYCLE_1)
	s_or_b32 exec_lo, exec_lo, s23
.LBB450_936:                            ;   in Loop: Header=BB450_13 Depth=1
	s_delay_alu instid0(SALU_CYCLE_1) | instskip(NEXT) | instid1(VALU_DEP_1)
	s_or_b32 exec_lo, exec_lo, s22
	v_mul_f32_e32 v0, v121, v0
	s_delay_alu instid0(VALU_DEP_1) | instskip(NEXT) | instid1(VALU_DEP_1)
	v_and_b32_e32 v1, 0x7f800000, v0
	v_cmp_ne_u32_e64 s2, 0x7f800000, v1
                                        ; implicit-def: $vgpr1
                                        ; kill: killed $vgpr1
	s_delay_alu instid0(VALU_DEP_1) | instskip(NEXT) | instid1(SALU_CYCLE_1)
	s_and_saveexec_b32 s22, s2
	s_xor_b32 s2, exec_lo, s22
	s_cbranch_execz .LBB450_938
; %bb.937:                              ;   in Loop: Header=BB450_13 Depth=1
	v_bfe_u32 v1, v0, 16, 1
	s_delay_alu instid0(VALU_DEP_1)
	v_add3_u32 v0, v0, v1, 0x7fff
	scratch_store_b32 off, v0, s32 offset:648 ; 4-byte Folded Spill
                                        ; implicit-def: $vgpr0
.LBB450_938:                            ;   in Loop: Header=BB450_13 Depth=1
	s_and_not1_saveexec_b32 s22, s2
	s_cbranch_execz .LBB450_940
; %bb.939:                              ;   in Loop: Header=BB450_13 Depth=1
	v_and_b32_e32 v1, 0xffff, v0
	v_or_b32_e32 v2, 0x10000, v0
	s_delay_alu instid0(VALU_DEP_2) | instskip(NEXT) | instid1(VALU_DEP_1)
	v_cmp_eq_u32_e64 s2, 0, v1
	v_cndmask_b32_e64 v0, v2, v0, s2
	scratch_store_b32 off, v0, s32 offset:648 ; 4-byte Folded Spill
.LBB450_940:                            ;   in Loop: Header=BB450_13 Depth=1
	s_or_b32 exec_lo, exec_lo, s22
	v_lshrrev_b16 v1, 8, v19
	v_mov_b32_e32 v0, 0
	s_mov_b32 s22, exec_lo
	s_delay_alu instid0(VALU_DEP_2)
	v_cmpx_ne_u16_e32 0, v1
	s_cbranch_execz .LBB450_948
; %bb.941:                              ;   in Loop: Header=BB450_13 Depth=1
	v_bfrev_b32_e32 v0, 1
	s_mov_b32 s23, exec_lo
	v_cmpx_ne_u16_e32 0x80, v1
	s_cbranch_execz .LBB450_947
; %bb.942:                              ;   in Loop: Header=BB450_13 Depth=1
	v_and_b32_e32 v2, 0xffff, v1
	v_mov_b32_e32 v0, 0x7f800001
	s_mov_b32 s24, exec_lo
	s_delay_alu instid0(VALU_DEP_2) | instskip(NEXT) | instid1(VALU_DEP_1)
	v_and_b32_e32 v1, 0x7f, v2
	v_cmpx_ne_u32_e32 0x7f, v1
	s_cbranch_execz .LBB450_946
; %bb.943:                              ;   in Loop: Header=BB450_13 Depth=1
	v_dual_mov_b32 v36, v20 :: v_dual_and_b32 v35, 7, v2
	v_lshrrev_b32_e32 v0, 3, v1
	s_mov_b32 s25, exec_lo
	v_cmpx_gt_u32_e32 8, v1
; %bb.944:                              ;   in Loop: Header=BB450_13 Depth=1
	s_delay_alu instid0(VALU_DEP_3) | instskip(NEXT) | instid1(VALU_DEP_1)
	v_clz_i32_u32_e32 v0, v35
	v_min_u32_e32 v0, 32, v0
	s_delay_alu instid0(VALU_DEP_1) | instskip(SKIP_1) | instid1(VALU_DEP_2)
	v_subrev_nc_u32_e32 v1, 28, v0
	v_sub_nc_u32_e32 v0, 29, v0
	v_lshlrev_b64 v[1:2], v1, v[35:36]
	s_delay_alu instid0(VALU_DEP_1)
	v_and_b32_e32 v35, 7, v1
; %bb.945:                              ;   in Loop: Header=BB450_13 Depth=1
	s_or_b32 exec_lo, exec_lo, s25
	v_lshlrev_b32_e32 v1, 16, v19
	s_delay_alu instid0(VALU_DEP_2) | instskip(SKIP_1) | instid1(VALU_DEP_3)
	v_lshlrev_b32_e32 v2, 20, v35
	v_lshl_add_u32 v0, v0, 23, 0x3c000000
	v_and_b32_e32 v1, 0x80000000, v1
	s_delay_alu instid0(VALU_DEP_1)
	v_or3_b32 v0, v2, v1, v0
.LBB450_946:                            ;   in Loop: Header=BB450_13 Depth=1
	s_or_b32 exec_lo, exec_lo, s24
.LBB450_947:                            ;   in Loop: Header=BB450_13 Depth=1
	s_delay_alu instid0(SALU_CYCLE_1)
	s_or_b32 exec_lo, exec_lo, s23
.LBB450_948:                            ;   in Loop: Header=BB450_13 Depth=1
	s_delay_alu instid0(SALU_CYCLE_1) | instskip(NEXT) | instid1(VALU_DEP_1)
	s_or_b32 exec_lo, exec_lo, s22
	v_mul_f32_e32 v0, v121, v0
	s_delay_alu instid0(VALU_DEP_1) | instskip(NEXT) | instid1(VALU_DEP_1)
	v_and_b32_e32 v1, 0x7f800000, v0
	v_cmp_ne_u32_e64 s2, 0x7f800000, v1
                                        ; implicit-def: $vgpr1
                                        ; kill: killed $vgpr1
	s_delay_alu instid0(VALU_DEP_1) | instskip(NEXT) | instid1(SALU_CYCLE_1)
	s_and_saveexec_b32 s22, s2
	s_xor_b32 s2, exec_lo, s22
	s_cbranch_execz .LBB450_950
; %bb.949:                              ;   in Loop: Header=BB450_13 Depth=1
	v_bfe_u32 v1, v0, 16, 1
	s_delay_alu instid0(VALU_DEP_1)
	v_add3_u32 v0, v0, v1, 0x7fff
	scratch_store_b32 off, v0, s32 offset:652 ; 4-byte Folded Spill
                                        ; implicit-def: $vgpr0
.LBB450_950:                            ;   in Loop: Header=BB450_13 Depth=1
	s_and_not1_saveexec_b32 s22, s2
	s_cbranch_execz .LBB450_952
; %bb.951:                              ;   in Loop: Header=BB450_13 Depth=1
	v_and_b32_e32 v1, 0xffff, v0
	v_or_b32_e32 v2, 0x10000, v0
	s_delay_alu instid0(VALU_DEP_2) | instskip(NEXT) | instid1(VALU_DEP_1)
	v_cmp_eq_u32_e64 s2, 0, v1
	v_cndmask_b32_e64 v0, v2, v0, s2
	scratch_store_b32 off, v0, s32 offset:652 ; 4-byte Folded Spill
.LBB450_952:                            ;   in Loop: Header=BB450_13 Depth=1
	s_or_b32 exec_lo, exec_lo, s22
	v_lshrrev_b32_e32 v0, 16, v34
	s_mov_b32 s22, exec_lo
	s_delay_alu instid0(VALU_DEP_1) | instskip(NEXT) | instid1(VALU_DEP_1)
	v_dual_mov_b32 v1, 0 :: v_dual_and_b32 v2, 0xff, v0
	v_cmpx_ne_u16_e32 0, v2
	s_cbranch_execz .LBB450_960
; %bb.953:                              ;   in Loop: Header=BB450_13 Depth=1
	v_bfrev_b32_e32 v1, 1
	s_mov_b32 s23, exec_lo
	v_cmpx_ne_u16_e32 0x80, v2
	s_cbranch_execz .LBB450_959
; %bb.954:                              ;   in Loop: Header=BB450_13 Depth=1
	v_bfe_u32 v2, v34, 16, 7
	v_mov_b32_e32 v1, 0x7f800001
	s_mov_b32 s24, exec_lo
	s_delay_alu instid0(VALU_DEP_2)
	v_cmpx_ne_u32_e32 0x7f, v2
	s_cbranch_execz .LBB450_958
; %bb.955:                              ;   in Loop: Header=BB450_13 Depth=1
	v_and_b32_e32 v19, 7, v0
	v_lshrrev_b32_e32 v1, 3, v2
	v_mov_b32_e32 v36, v20
	s_mov_b32 s25, exec_lo
	s_delay_alu instid0(VALU_DEP_3)
	v_mov_b32_e32 v35, v19
	v_cmpx_gt_u32_e32 8, v2
; %bb.956:                              ;   in Loop: Header=BB450_13 Depth=1
	v_clz_i32_u32_e32 v1, v19
	s_delay_alu instid0(VALU_DEP_1) | instskip(NEXT) | instid1(VALU_DEP_1)
	v_min_u32_e32 v1, 32, v1
	v_subrev_nc_u32_e32 v2, 28, v1
	v_sub_nc_u32_e32 v1, 29, v1
	s_delay_alu instid0(VALU_DEP_2) | instskip(NEXT) | instid1(VALU_DEP_1)
	v_lshlrev_b64 v[2:3], v2, v[19:20]
	v_and_b32_e32 v35, 7, v2
; %bb.957:                              ;   in Loop: Header=BB450_13 Depth=1
	s_or_b32 exec_lo, exec_lo, s25
	v_lshlrev_b32_e32 v0, 24, v0
	s_delay_alu instid0(VALU_DEP_2) | instskip(SKIP_1) | instid1(VALU_DEP_3)
	v_lshlrev_b32_e32 v2, 20, v35
	v_lshl_add_u32 v1, v1, 23, 0x3c000000
	v_and_b32_e32 v0, 0x80000000, v0
	s_delay_alu instid0(VALU_DEP_1)
	v_or3_b32 v1, v2, v0, v1
.LBB450_958:                            ;   in Loop: Header=BB450_13 Depth=1
	s_or_b32 exec_lo, exec_lo, s24
.LBB450_959:                            ;   in Loop: Header=BB450_13 Depth=1
	s_delay_alu instid0(SALU_CYCLE_1)
	s_or_b32 exec_lo, exec_lo, s23
.LBB450_960:                            ;   in Loop: Header=BB450_13 Depth=1
	s_delay_alu instid0(SALU_CYCLE_1) | instskip(NEXT) | instid1(VALU_DEP_1)
	s_or_b32 exec_lo, exec_lo, s22
	v_mul_f32_e32 v0, v121, v1
	s_delay_alu instid0(VALU_DEP_1) | instskip(NEXT) | instid1(VALU_DEP_1)
	v_and_b32_e32 v1, 0x7f800000, v0
	v_cmp_ne_u32_e64 s2, 0x7f800000, v1
                                        ; implicit-def: $vgpr1
                                        ; kill: killed $vgpr1
	s_delay_alu instid0(VALU_DEP_1) | instskip(NEXT) | instid1(SALU_CYCLE_1)
	s_and_saveexec_b32 s22, s2
	s_xor_b32 s2, exec_lo, s22
	s_cbranch_execz .LBB450_962
; %bb.961:                              ;   in Loop: Header=BB450_13 Depth=1
	v_bfe_u32 v1, v0, 16, 1
	s_delay_alu instid0(VALU_DEP_1)
	v_add3_u32 v0, v0, v1, 0x7fff
	scratch_store_b32 off, v0, s32 offset:656 ; 4-byte Folded Spill
                                        ; implicit-def: $vgpr0
.LBB450_962:                            ;   in Loop: Header=BB450_13 Depth=1
	s_and_not1_saveexec_b32 s22, s2
	s_cbranch_execz .LBB450_964
; %bb.963:                              ;   in Loop: Header=BB450_13 Depth=1
	v_and_b32_e32 v1, 0xffff, v0
	v_or_b32_e32 v2, 0x10000, v0
	s_delay_alu instid0(VALU_DEP_2) | instskip(NEXT) | instid1(VALU_DEP_1)
	v_cmp_eq_u32_e64 s2, 0, v1
	v_cndmask_b32_e64 v0, v2, v0, s2
	scratch_store_b32 off, v0, s32 offset:656 ; 4-byte Folded Spill
.LBB450_964:                            ;   in Loop: Header=BB450_13 Depth=1
	s_or_b32 exec_lo, exec_lo, s22
	v_mov_b32_e32 v1, 0
	s_mov_b32 s22, exec_lo
	v_cmpx_lt_u64_e64 s[8:9], v[33:34]
	s_cbranch_execz .LBB450_972
; %bb.965:                              ;   in Loop: Header=BB450_13 Depth=1
	v_lshrrev_b32_e32 v0, 24, v34
	v_bfrev_b32_e32 v1, 1
	s_mov_b32 s23, exec_lo
	s_delay_alu instid0(VALU_DEP_2)
	v_cmpx_ne_u32_e32 0x80, v0
	s_cbranch_execz .LBB450_971
; %bb.966:                              ;   in Loop: Header=BB450_13 Depth=1
	v_bfe_u32 v2, v34, 24, 7
	v_mov_b32_e32 v1, 0x7f800001
	s_mov_b32 s24, exec_lo
	s_delay_alu instid0(VALU_DEP_2)
	v_cmpx_ne_u32_e32 0x7f, v2
	s_cbranch_execz .LBB450_970
; %bb.967:                              ;   in Loop: Header=BB450_13 Depth=1
	v_and_b32_e32 v19, 7, v0
	v_lshrrev_b32_e32 v1, 3, v2
	v_mov_b32_e32 v34, v20
	s_mov_b32 s25, exec_lo
	s_delay_alu instid0(VALU_DEP_3)
	v_mov_b32_e32 v33, v19
	v_cmpx_gt_u32_e32 8, v2
; %bb.968:                              ;   in Loop: Header=BB450_13 Depth=1
	v_clz_i32_u32_e32 v1, v19
	s_delay_alu instid0(VALU_DEP_1) | instskip(NEXT) | instid1(VALU_DEP_1)
	v_min_u32_e32 v1, 32, v1
	v_subrev_nc_u32_e32 v2, 28, v1
	v_sub_nc_u32_e32 v1, 29, v1
	s_delay_alu instid0(VALU_DEP_2) | instskip(NEXT) | instid1(VALU_DEP_1)
	v_lshlrev_b64 v[2:3], v2, v[19:20]
	v_and_b32_e32 v33, 7, v2
; %bb.969:                              ;   in Loop: Header=BB450_13 Depth=1
	s_or_b32 exec_lo, exec_lo, s25
	v_lshlrev_b32_e32 v0, 24, v0
	s_delay_alu instid0(VALU_DEP_2) | instskip(SKIP_1) | instid1(VALU_DEP_3)
	v_lshlrev_b32_e32 v2, 20, v33
	v_lshl_add_u32 v1, v1, 23, 0x3c000000
	v_and_b32_e32 v0, 0x80000000, v0
	s_delay_alu instid0(VALU_DEP_1)
	v_or3_b32 v1, v2, v0, v1
.LBB450_970:                            ;   in Loop: Header=BB450_13 Depth=1
	s_or_b32 exec_lo, exec_lo, s24
.LBB450_971:                            ;   in Loop: Header=BB450_13 Depth=1
	s_delay_alu instid0(SALU_CYCLE_1)
	s_or_b32 exec_lo, exec_lo, s23
.LBB450_972:                            ;   in Loop: Header=BB450_13 Depth=1
	s_delay_alu instid0(SALU_CYCLE_1) | instskip(NEXT) | instid1(VALU_DEP_1)
	s_or_b32 exec_lo, exec_lo, s22
	v_mul_f32_e32 v0, v121, v1
	s_delay_alu instid0(VALU_DEP_1) | instskip(NEXT) | instid1(VALU_DEP_1)
	v_and_b32_e32 v1, 0x7f800000, v0
	v_cmp_ne_u32_e64 s2, 0x7f800000, v1
                                        ; implicit-def: $vgpr1
                                        ; kill: killed $vgpr1
	s_delay_alu instid0(VALU_DEP_1) | instskip(NEXT) | instid1(SALU_CYCLE_1)
	s_and_saveexec_b32 s22, s2
	s_xor_b32 s2, exec_lo, s22
	s_cbranch_execz .LBB450_974
; %bb.973:                              ;   in Loop: Header=BB450_13 Depth=1
	v_bfe_u32 v1, v0, 16, 1
	s_delay_alu instid0(VALU_DEP_1)
	v_add3_u32 v0, v0, v1, 0x7fff
	scratch_store_b32 off, v0, s32 offset:660 ; 4-byte Folded Spill
                                        ; implicit-def: $vgpr0
.LBB450_974:                            ;   in Loop: Header=BB450_13 Depth=1
	s_and_not1_saveexec_b32 s22, s2
	s_cbranch_execz .LBB450_976
; %bb.975:                              ;   in Loop: Header=BB450_13 Depth=1
	v_and_b32_e32 v1, 0xffff, v0
	v_or_b32_e32 v2, 0x10000, v0
	s_delay_alu instid0(VALU_DEP_2) | instskip(NEXT) | instid1(VALU_DEP_1)
	v_cmp_eq_u32_e64 s2, 0, v1
	v_cndmask_b32_e64 v0, v2, v0, s2
	scratch_store_b32 off, v0, s32 offset:660 ; 4-byte Folded Spill
.LBB450_976:                            ;   in Loop: Header=BB450_13 Depth=1
	s_or_b32 exec_lo, exec_lo, s22
	flat_load_b64 v[33:34], v[31:32] offset:2560
	s_mov_b32 s22, exec_lo
	s_waitcnt vmcnt(0) lgkmcnt(0)
	v_dual_mov_b32 v0, 0 :: v_dual_and_b32 v1, 0xff, v33
	s_delay_alu instid0(VALU_DEP_1)
	v_cmpx_ne_u16_e32 0, v1
	s_cbranch_execz .LBB450_984
; %bb.977:                              ;   in Loop: Header=BB450_13 Depth=1
	v_bfrev_b32_e32 v0, 1
	s_mov_b32 s23, exec_lo
	v_cmpx_ne_u16_e32 0x80, v1
	s_cbranch_execz .LBB450_983
; %bb.978:                              ;   in Loop: Header=BB450_13 Depth=1
	v_and_b32_e32 v1, 0x7f, v33
	v_mov_b32_e32 v0, 0x7f800001
	s_mov_b32 s24, exec_lo
	s_delay_alu instid0(VALU_DEP_2)
	v_cmpx_ne_u32_e32 0x7f, v1
	s_cbranch_execz .LBB450_982
; %bb.979:                              ;   in Loop: Header=BB450_13 Depth=1
	v_lshrrev_b32_e32 v0, 3, v1
	v_dual_mov_b32 v36, v34 :: v_dual_mov_b32 v35, v33
	s_mov_b32 s25, exec_lo
	v_cmpx_gt_u32_e32 8, v1
; %bb.980:                              ;   in Loop: Header=BB450_13 Depth=1
	v_and_b32_e32 v0, 7, v33
	s_delay_alu instid0(VALU_DEP_1) | instskip(NEXT) | instid1(VALU_DEP_1)
	v_clz_i32_u32_e32 v0, v0
	v_min_u32_e32 v0, 32, v0
	s_delay_alu instid0(VALU_DEP_1) | instskip(SKIP_1) | instid1(VALU_DEP_2)
	v_subrev_nc_u32_e32 v1, 28, v0
	v_sub_nc_u32_e32 v0, 29, v0
	v_lshlrev_b64 v[35:36], v1, v[33:34]
; %bb.981:                              ;   in Loop: Header=BB450_13 Depth=1
	s_or_b32 exec_lo, exec_lo, s25
	s_delay_alu instid0(VALU_DEP_1) | instskip(SKIP_2) | instid1(VALU_DEP_3)
	v_lshlrev_b32_e32 v1, 20, v35
	v_lshlrev_b32_e32 v2, 24, v33
	v_lshl_add_u32 v0, v0, 23, 0x3c000000
	v_and_b32_e32 v1, 0x700000, v1
	s_delay_alu instid0(VALU_DEP_3) | instskip(NEXT) | instid1(VALU_DEP_1)
	v_and_b32_e32 v2, 0x80000000, v2
	v_or3_b32 v0, v1, v2, v0
.LBB450_982:                            ;   in Loop: Header=BB450_13 Depth=1
	s_or_b32 exec_lo, exec_lo, s24
.LBB450_983:                            ;   in Loop: Header=BB450_13 Depth=1
	s_delay_alu instid0(SALU_CYCLE_1)
	s_or_b32 exec_lo, exec_lo, s23
.LBB450_984:                            ;   in Loop: Header=BB450_13 Depth=1
	s_delay_alu instid0(SALU_CYCLE_1) | instskip(NEXT) | instid1(VALU_DEP_1)
	s_or_b32 exec_lo, exec_lo, s22
	v_mul_f32_e32 v0, v121, v0
	s_delay_alu instid0(VALU_DEP_1) | instskip(NEXT) | instid1(VALU_DEP_1)
	v_and_b32_e32 v1, 0x7f800000, v0
	v_cmp_ne_u32_e64 s2, 0x7f800000, v1
                                        ; implicit-def: $vgpr1
                                        ; kill: killed $vgpr1
	s_delay_alu instid0(VALU_DEP_1) | instskip(NEXT) | instid1(SALU_CYCLE_1)
	s_and_saveexec_b32 s22, s2
	s_xor_b32 s2, exec_lo, s22
	s_cbranch_execz .LBB450_986
; %bb.985:                              ;   in Loop: Header=BB450_13 Depth=1
	v_bfe_u32 v1, v0, 16, 1
	s_delay_alu instid0(VALU_DEP_1)
	v_add3_u32 v0, v0, v1, 0x7fff
	scratch_store_b32 off, v0, s32 offset:664 ; 4-byte Folded Spill
                                        ; implicit-def: $vgpr0
.LBB450_986:                            ;   in Loop: Header=BB450_13 Depth=1
	s_and_not1_saveexec_b32 s22, s2
	s_cbranch_execz .LBB450_988
; %bb.987:                              ;   in Loop: Header=BB450_13 Depth=1
	v_and_b32_e32 v1, 0xffff, v0
	v_or_b32_e32 v2, 0x10000, v0
	s_delay_alu instid0(VALU_DEP_2) | instskip(NEXT) | instid1(VALU_DEP_1)
	v_cmp_eq_u32_e64 s2, 0, v1
	v_cndmask_b32_e64 v0, v2, v0, s2
	scratch_store_b32 off, v0, s32 offset:664 ; 4-byte Folded Spill
.LBB450_988:                            ;   in Loop: Header=BB450_13 Depth=1
	s_or_b32 exec_lo, exec_lo, s22
	v_lshrrev_b16 v1, 8, v33
	v_mov_b32_e32 v0, 0
	s_mov_b32 s22, exec_lo
	s_delay_alu instid0(VALU_DEP_2)
	v_cmpx_ne_u16_e32 0, v1
	s_cbranch_execz .LBB450_996
; %bb.989:                              ;   in Loop: Header=BB450_13 Depth=1
	v_bfrev_b32_e32 v0, 1
	s_mov_b32 s23, exec_lo
	v_cmpx_ne_u16_e32 0x80, v1
	s_cbranch_execz .LBB450_995
; %bb.990:                              ;   in Loop: Header=BB450_13 Depth=1
	v_and_b32_e32 v2, 0xffff, v1
	v_mov_b32_e32 v0, 0x7f800001
	s_mov_b32 s24, exec_lo
	s_delay_alu instid0(VALU_DEP_2) | instskip(NEXT) | instid1(VALU_DEP_1)
	v_and_b32_e32 v1, 0x7f, v2
	v_cmpx_ne_u32_e32 0x7f, v1
	s_cbranch_execz .LBB450_994
; %bb.991:                              ;   in Loop: Header=BB450_13 Depth=1
	v_and_b32_e32 v19, 7, v2
	v_lshrrev_b32_e32 v0, 3, v1
	v_mov_b32_e32 v36, v20
	s_mov_b32 s25, exec_lo
	s_delay_alu instid0(VALU_DEP_3)
	v_mov_b32_e32 v35, v19
	v_cmpx_gt_u32_e32 8, v1
; %bb.992:                              ;   in Loop: Header=BB450_13 Depth=1
	v_clz_i32_u32_e32 v0, v19
	s_delay_alu instid0(VALU_DEP_1) | instskip(NEXT) | instid1(VALU_DEP_1)
	v_min_u32_e32 v0, 32, v0
	v_subrev_nc_u32_e32 v1, 28, v0
	v_sub_nc_u32_e32 v0, 29, v0
	s_delay_alu instid0(VALU_DEP_2) | instskip(NEXT) | instid1(VALU_DEP_1)
	v_lshlrev_b64 v[1:2], v1, v[19:20]
	v_and_b32_e32 v35, 7, v1
; %bb.993:                              ;   in Loop: Header=BB450_13 Depth=1
	s_or_b32 exec_lo, exec_lo, s25
	v_lshlrev_b32_e32 v1, 16, v33
	s_delay_alu instid0(VALU_DEP_2) | instskip(SKIP_1) | instid1(VALU_DEP_3)
	v_lshlrev_b32_e32 v2, 20, v35
	v_lshl_add_u32 v0, v0, 23, 0x3c000000
	v_and_b32_e32 v1, 0x80000000, v1
	s_delay_alu instid0(VALU_DEP_1)
	v_or3_b32 v0, v2, v1, v0
.LBB450_994:                            ;   in Loop: Header=BB450_13 Depth=1
	s_or_b32 exec_lo, exec_lo, s24
.LBB450_995:                            ;   in Loop: Header=BB450_13 Depth=1
	s_delay_alu instid0(SALU_CYCLE_1)
	s_or_b32 exec_lo, exec_lo, s23
.LBB450_996:                            ;   in Loop: Header=BB450_13 Depth=1
	s_delay_alu instid0(SALU_CYCLE_1) | instskip(NEXT) | instid1(VALU_DEP_1)
	s_or_b32 exec_lo, exec_lo, s22
	v_mul_f32_e32 v0, v121, v0
	s_delay_alu instid0(VALU_DEP_1) | instskip(NEXT) | instid1(VALU_DEP_1)
	v_and_b32_e32 v1, 0x7f800000, v0
	v_cmp_ne_u32_e64 s2, 0x7f800000, v1
                                        ; implicit-def: $vgpr1
                                        ; kill: killed $vgpr1
	s_delay_alu instid0(VALU_DEP_1) | instskip(NEXT) | instid1(SALU_CYCLE_1)
	s_and_saveexec_b32 s22, s2
	s_xor_b32 s2, exec_lo, s22
	s_cbranch_execz .LBB450_998
; %bb.997:                              ;   in Loop: Header=BB450_13 Depth=1
	v_bfe_u32 v1, v0, 16, 1
	s_delay_alu instid0(VALU_DEP_1)
	v_add3_u32 v0, v0, v1, 0x7fff
	scratch_store_b32 off, v0, s32 offset:668 ; 4-byte Folded Spill
                                        ; implicit-def: $vgpr0
.LBB450_998:                            ;   in Loop: Header=BB450_13 Depth=1
	s_and_not1_saveexec_b32 s22, s2
	s_cbranch_execz .LBB450_1000
; %bb.999:                              ;   in Loop: Header=BB450_13 Depth=1
	v_and_b32_e32 v1, 0xffff, v0
	v_or_b32_e32 v2, 0x10000, v0
	s_delay_alu instid0(VALU_DEP_2) | instskip(NEXT) | instid1(VALU_DEP_1)
	v_cmp_eq_u32_e64 s2, 0, v1
	v_cndmask_b32_e64 v0, v2, v0, s2
	scratch_store_b32 off, v0, s32 offset:668 ; 4-byte Folded Spill
.LBB450_1000:                           ;   in Loop: Header=BB450_13 Depth=1
	s_or_b32 exec_lo, exec_lo, s22
	v_lshrrev_b32_e32 v0, 16, v33
	s_mov_b32 s22, exec_lo
	s_delay_alu instid0(VALU_DEP_1) | instskip(NEXT) | instid1(VALU_DEP_1)
	v_dual_mov_b32 v1, 0 :: v_dual_and_b32 v2, 0xff, v0
	v_cmpx_ne_u16_e32 0, v2
	s_cbranch_execz .LBB450_1008
; %bb.1001:                             ;   in Loop: Header=BB450_13 Depth=1
	v_bfrev_b32_e32 v1, 1
	s_mov_b32 s23, exec_lo
	v_cmpx_ne_u16_e32 0x80, v2
	s_cbranch_execz .LBB450_1007
; %bb.1002:                             ;   in Loop: Header=BB450_13 Depth=1
	v_bfe_u32 v2, v33, 16, 7
	v_mov_b32_e32 v1, 0x7f800001
	s_mov_b32 s24, exec_lo
	s_delay_alu instid0(VALU_DEP_2)
	v_cmpx_ne_u32_e32 0x7f, v2
	s_cbranch_execz .LBB450_1006
; %bb.1003:                             ;   in Loop: Header=BB450_13 Depth=1
	v_and_b32_e32 v19, 7, v0
	v_lshrrev_b32_e32 v1, 3, v2
	v_mov_b32_e32 v36, v20
	s_mov_b32 s25, exec_lo
	s_delay_alu instid0(VALU_DEP_3)
	v_mov_b32_e32 v35, v19
	v_cmpx_gt_u32_e32 8, v2
; %bb.1004:                             ;   in Loop: Header=BB450_13 Depth=1
	v_clz_i32_u32_e32 v1, v19
	s_delay_alu instid0(VALU_DEP_1) | instskip(NEXT) | instid1(VALU_DEP_1)
	v_min_u32_e32 v1, 32, v1
	v_subrev_nc_u32_e32 v2, 28, v1
	v_sub_nc_u32_e32 v1, 29, v1
	s_delay_alu instid0(VALU_DEP_2) | instskip(NEXT) | instid1(VALU_DEP_1)
	v_lshlrev_b64 v[2:3], v2, v[19:20]
	v_and_b32_e32 v35, 7, v2
; %bb.1005:                             ;   in Loop: Header=BB450_13 Depth=1
	s_or_b32 exec_lo, exec_lo, s25
	v_lshlrev_b32_e32 v0, 24, v0
	s_delay_alu instid0(VALU_DEP_2) | instskip(SKIP_1) | instid1(VALU_DEP_3)
	v_lshlrev_b32_e32 v2, 20, v35
	v_lshl_add_u32 v1, v1, 23, 0x3c000000
	v_and_b32_e32 v0, 0x80000000, v0
	s_delay_alu instid0(VALU_DEP_1)
	v_or3_b32 v1, v2, v0, v1
.LBB450_1006:                           ;   in Loop: Header=BB450_13 Depth=1
	s_or_b32 exec_lo, exec_lo, s24
.LBB450_1007:                           ;   in Loop: Header=BB450_13 Depth=1
	s_delay_alu instid0(SALU_CYCLE_1)
	s_or_b32 exec_lo, exec_lo, s23
.LBB450_1008:                           ;   in Loop: Header=BB450_13 Depth=1
	s_delay_alu instid0(SALU_CYCLE_1) | instskip(NEXT) | instid1(VALU_DEP_1)
	s_or_b32 exec_lo, exec_lo, s22
	v_mul_f32_e32 v0, v121, v1
	s_delay_alu instid0(VALU_DEP_1) | instskip(NEXT) | instid1(VALU_DEP_1)
	v_and_b32_e32 v1, 0x7f800000, v0
	v_cmp_ne_u32_e64 s2, 0x7f800000, v1
                                        ; implicit-def: $vgpr1
                                        ; kill: killed $vgpr1
	s_delay_alu instid0(VALU_DEP_1) | instskip(NEXT) | instid1(SALU_CYCLE_1)
	s_and_saveexec_b32 s22, s2
	s_xor_b32 s2, exec_lo, s22
	s_cbranch_execz .LBB450_1010
; %bb.1009:                             ;   in Loop: Header=BB450_13 Depth=1
	v_bfe_u32 v1, v0, 16, 1
	s_delay_alu instid0(VALU_DEP_1)
	v_add3_u32 v0, v0, v1, 0x7fff
	scratch_store_b32 off, v0, s32 offset:672 ; 4-byte Folded Spill
                                        ; implicit-def: $vgpr0
.LBB450_1010:                           ;   in Loop: Header=BB450_13 Depth=1
	s_and_not1_saveexec_b32 s22, s2
	s_cbranch_execz .LBB450_1012
; %bb.1011:                             ;   in Loop: Header=BB450_13 Depth=1
	v_and_b32_e32 v1, 0xffff, v0
	v_or_b32_e32 v2, 0x10000, v0
	s_delay_alu instid0(VALU_DEP_2) | instskip(NEXT) | instid1(VALU_DEP_1)
	v_cmp_eq_u32_e64 s2, 0, v1
	v_cndmask_b32_e64 v0, v2, v0, s2
	scratch_store_b32 off, v0, s32 offset:672 ; 4-byte Folded Spill
.LBB450_1012:                           ;   in Loop: Header=BB450_13 Depth=1
	s_or_b32 exec_lo, exec_lo, s22
	v_mov_b32_e32 v1, 0
	s_mov_b32 s22, exec_lo
	v_cmpx_lt_u32_e32 0xffffff, v33
	s_cbranch_execz .LBB450_1020
; %bb.1013:                             ;   in Loop: Header=BB450_13 Depth=1
	v_lshrrev_b32_e32 v0, 24, v33
	v_bfrev_b32_e32 v1, 1
	s_mov_b32 s23, exec_lo
	s_delay_alu instid0(VALU_DEP_2)
	v_cmpx_ne_u32_e32 0x80, v0
	s_cbranch_execz .LBB450_1019
; %bb.1014:                             ;   in Loop: Header=BB450_13 Depth=1
	v_bfe_u32 v2, v33, 24, 7
	v_mov_b32_e32 v1, 0x7f800001
	s_mov_b32 s24, exec_lo
	s_delay_alu instid0(VALU_DEP_2)
	v_cmpx_ne_u32_e32 0x7f, v2
	s_cbranch_execz .LBB450_1018
; %bb.1015:                             ;   in Loop: Header=BB450_13 Depth=1
	v_and_b32_e32 v19, 7, v0
	v_lshrrev_b32_e32 v1, 3, v2
	v_mov_b32_e32 v36, v20
	s_mov_b32 s25, exec_lo
	s_delay_alu instid0(VALU_DEP_3)
	v_mov_b32_e32 v35, v19
	v_cmpx_gt_u32_e32 8, v2
; %bb.1016:                             ;   in Loop: Header=BB450_13 Depth=1
	v_clz_i32_u32_e32 v1, v19
	s_delay_alu instid0(VALU_DEP_1) | instskip(NEXT) | instid1(VALU_DEP_1)
	v_min_u32_e32 v1, 32, v1
	v_subrev_nc_u32_e32 v2, 28, v1
	v_sub_nc_u32_e32 v1, 29, v1
	s_delay_alu instid0(VALU_DEP_2) | instskip(NEXT) | instid1(VALU_DEP_1)
	v_lshlrev_b64 v[2:3], v2, v[19:20]
	v_and_b32_e32 v35, 7, v2
; %bb.1017:                             ;   in Loop: Header=BB450_13 Depth=1
	s_or_b32 exec_lo, exec_lo, s25
	v_lshlrev_b32_e32 v0, 24, v0
	s_delay_alu instid0(VALU_DEP_2) | instskip(SKIP_1) | instid1(VALU_DEP_3)
	v_lshlrev_b32_e32 v2, 20, v35
	v_lshl_add_u32 v1, v1, 23, 0x3c000000
	v_and_b32_e32 v0, 0x80000000, v0
	s_delay_alu instid0(VALU_DEP_1)
	v_or3_b32 v1, v2, v0, v1
.LBB450_1018:                           ;   in Loop: Header=BB450_13 Depth=1
	s_or_b32 exec_lo, exec_lo, s24
.LBB450_1019:                           ;   in Loop: Header=BB450_13 Depth=1
	s_delay_alu instid0(SALU_CYCLE_1)
	s_or_b32 exec_lo, exec_lo, s23
.LBB450_1020:                           ;   in Loop: Header=BB450_13 Depth=1
	s_delay_alu instid0(SALU_CYCLE_1) | instskip(NEXT) | instid1(VALU_DEP_1)
	s_or_b32 exec_lo, exec_lo, s22
	v_mul_f32_e32 v0, v121, v1
	s_delay_alu instid0(VALU_DEP_1) | instskip(NEXT) | instid1(VALU_DEP_1)
	v_and_b32_e32 v1, 0x7f800000, v0
	v_cmp_ne_u32_e64 s2, 0x7f800000, v1
                                        ; implicit-def: $vgpr1
                                        ; kill: killed $vgpr1
	s_delay_alu instid0(VALU_DEP_1) | instskip(NEXT) | instid1(SALU_CYCLE_1)
	s_and_saveexec_b32 s22, s2
	s_xor_b32 s2, exec_lo, s22
	s_cbranch_execz .LBB450_1022
; %bb.1021:                             ;   in Loop: Header=BB450_13 Depth=1
	v_bfe_u32 v1, v0, 16, 1
	s_delay_alu instid0(VALU_DEP_1)
	v_add3_u32 v0, v0, v1, 0x7fff
	scratch_store_b32 off, v0, s32 offset:676 ; 4-byte Folded Spill
                                        ; implicit-def: $vgpr0
.LBB450_1022:                           ;   in Loop: Header=BB450_13 Depth=1
	s_and_not1_saveexec_b32 s22, s2
	s_cbranch_execz .LBB450_1024
; %bb.1023:                             ;   in Loop: Header=BB450_13 Depth=1
	v_and_b32_e32 v1, 0xffff, v0
	v_or_b32_e32 v2, 0x10000, v0
	s_delay_alu instid0(VALU_DEP_2) | instskip(NEXT) | instid1(VALU_DEP_1)
	v_cmp_eq_u32_e64 s2, 0, v1
	v_cndmask_b32_e64 v0, v2, v0, s2
	scratch_store_b32 off, v0, s32 offset:676 ; 4-byte Folded Spill
.LBB450_1024:                           ;   in Loop: Header=BB450_13 Depth=1
	s_or_b32 exec_lo, exec_lo, s22
	v_dual_mov_b32 v0, 0 :: v_dual_and_b32 v1, 0xff, v34
	v_mov_b32_e32 v19, v34
	s_mov_b32 s22, exec_lo
	s_delay_alu instid0(VALU_DEP_2)
	v_cmpx_ne_u16_e32 0, v1
	s_cbranch_execz .LBB450_1032
; %bb.1025:                             ;   in Loop: Header=BB450_13 Depth=1
	v_bfrev_b32_e32 v0, 1
	s_mov_b32 s23, exec_lo
	v_cmpx_ne_u16_e32 0x80, v1
	s_cbranch_execz .LBB450_1031
; %bb.1026:                             ;   in Loop: Header=BB450_13 Depth=1
	v_and_b32_e32 v1, 0x7f, v34
	v_mov_b32_e32 v0, 0x7f800001
	s_mov_b32 s24, exec_lo
	s_delay_alu instid0(VALU_DEP_2)
	v_cmpx_ne_u32_e32 0x7f, v1
	s_cbranch_execz .LBB450_1030
; %bb.1027:                             ;   in Loop: Header=BB450_13 Depth=1
	v_lshrrev_b32_e32 v0, 3, v1
	v_dual_mov_b32 v36, v20 :: v_dual_mov_b32 v35, v19
	s_mov_b32 s25, exec_lo
	v_cmpx_gt_u32_e32 8, v1
; %bb.1028:                             ;   in Loop: Header=BB450_13 Depth=1
	v_and_b32_e32 v0, 7, v34
	s_delay_alu instid0(VALU_DEP_1) | instskip(NEXT) | instid1(VALU_DEP_1)
	v_clz_i32_u32_e32 v0, v0
	v_min_u32_e32 v0, 32, v0
	s_delay_alu instid0(VALU_DEP_1) | instskip(SKIP_1) | instid1(VALU_DEP_2)
	v_subrev_nc_u32_e32 v1, 28, v0
	v_sub_nc_u32_e32 v0, 29, v0
	v_lshlrev_b64 v[35:36], v1, v[19:20]
; %bb.1029:                             ;   in Loop: Header=BB450_13 Depth=1
	s_or_b32 exec_lo, exec_lo, s25
	s_delay_alu instid0(VALU_DEP_1) | instskip(SKIP_2) | instid1(VALU_DEP_3)
	v_lshlrev_b32_e32 v1, 20, v35
	v_lshlrev_b32_e32 v2, 24, v19
	v_lshl_add_u32 v0, v0, 23, 0x3c000000
	v_and_b32_e32 v1, 0x700000, v1
	s_delay_alu instid0(VALU_DEP_3) | instskip(NEXT) | instid1(VALU_DEP_1)
	v_and_b32_e32 v2, 0x80000000, v2
	v_or3_b32 v0, v1, v2, v0
.LBB450_1030:                           ;   in Loop: Header=BB450_13 Depth=1
	s_or_b32 exec_lo, exec_lo, s24
.LBB450_1031:                           ;   in Loop: Header=BB450_13 Depth=1
	s_delay_alu instid0(SALU_CYCLE_1)
	s_or_b32 exec_lo, exec_lo, s23
.LBB450_1032:                           ;   in Loop: Header=BB450_13 Depth=1
	s_delay_alu instid0(SALU_CYCLE_1) | instskip(NEXT) | instid1(VALU_DEP_1)
	s_or_b32 exec_lo, exec_lo, s22
	v_mul_f32_e32 v0, v121, v0
	s_delay_alu instid0(VALU_DEP_1) | instskip(NEXT) | instid1(VALU_DEP_1)
	v_and_b32_e32 v1, 0x7f800000, v0
	v_cmp_ne_u32_e64 s2, 0x7f800000, v1
                                        ; implicit-def: $vgpr1
                                        ; kill: killed $vgpr1
	s_delay_alu instid0(VALU_DEP_1) | instskip(NEXT) | instid1(SALU_CYCLE_1)
	s_and_saveexec_b32 s22, s2
	s_xor_b32 s2, exec_lo, s22
	s_cbranch_execz .LBB450_1034
; %bb.1033:                             ;   in Loop: Header=BB450_13 Depth=1
	v_bfe_u32 v1, v0, 16, 1
	s_delay_alu instid0(VALU_DEP_1)
	v_add3_u32 v0, v0, v1, 0x7fff
	scratch_store_b32 off, v0, s32 offset:680 ; 4-byte Folded Spill
                                        ; implicit-def: $vgpr0
.LBB450_1034:                           ;   in Loop: Header=BB450_13 Depth=1
	s_and_not1_saveexec_b32 s22, s2
	s_cbranch_execz .LBB450_1036
; %bb.1035:                             ;   in Loop: Header=BB450_13 Depth=1
	v_and_b32_e32 v1, 0xffff, v0
	v_or_b32_e32 v2, 0x10000, v0
	s_delay_alu instid0(VALU_DEP_2) | instskip(NEXT) | instid1(VALU_DEP_1)
	v_cmp_eq_u32_e64 s2, 0, v1
	v_cndmask_b32_e64 v0, v2, v0, s2
	scratch_store_b32 off, v0, s32 offset:680 ; 4-byte Folded Spill
.LBB450_1036:                           ;   in Loop: Header=BB450_13 Depth=1
	s_or_b32 exec_lo, exec_lo, s22
	v_lshrrev_b16 v1, 8, v19
	v_mov_b32_e32 v0, 0
	s_mov_b32 s22, exec_lo
	s_delay_alu instid0(VALU_DEP_2)
	v_cmpx_ne_u16_e32 0, v1
	s_cbranch_execz .LBB450_1044
; %bb.1037:                             ;   in Loop: Header=BB450_13 Depth=1
	v_bfrev_b32_e32 v0, 1
	s_mov_b32 s23, exec_lo
	v_cmpx_ne_u16_e32 0x80, v1
	s_cbranch_execz .LBB450_1043
; %bb.1038:                             ;   in Loop: Header=BB450_13 Depth=1
	v_and_b32_e32 v2, 0xffff, v1
	v_mov_b32_e32 v0, 0x7f800001
	s_mov_b32 s24, exec_lo
	s_delay_alu instid0(VALU_DEP_2) | instskip(NEXT) | instid1(VALU_DEP_1)
	v_and_b32_e32 v1, 0x7f, v2
	v_cmpx_ne_u32_e32 0x7f, v1
	s_cbranch_execz .LBB450_1042
; %bb.1039:                             ;   in Loop: Header=BB450_13 Depth=1
	v_dual_mov_b32 v36, v20 :: v_dual_and_b32 v35, 7, v2
	v_lshrrev_b32_e32 v0, 3, v1
	s_mov_b32 s25, exec_lo
	v_cmpx_gt_u32_e32 8, v1
; %bb.1040:                             ;   in Loop: Header=BB450_13 Depth=1
	s_delay_alu instid0(VALU_DEP_3) | instskip(NEXT) | instid1(VALU_DEP_1)
	v_clz_i32_u32_e32 v0, v35
	v_min_u32_e32 v0, 32, v0
	s_delay_alu instid0(VALU_DEP_1) | instskip(SKIP_1) | instid1(VALU_DEP_2)
	v_subrev_nc_u32_e32 v1, 28, v0
	v_sub_nc_u32_e32 v0, 29, v0
	v_lshlrev_b64 v[1:2], v1, v[35:36]
	s_delay_alu instid0(VALU_DEP_1)
	v_and_b32_e32 v35, 7, v1
; %bb.1041:                             ;   in Loop: Header=BB450_13 Depth=1
	s_or_b32 exec_lo, exec_lo, s25
	v_lshlrev_b32_e32 v1, 16, v19
	s_delay_alu instid0(VALU_DEP_2) | instskip(SKIP_1) | instid1(VALU_DEP_3)
	v_lshlrev_b32_e32 v2, 20, v35
	v_lshl_add_u32 v0, v0, 23, 0x3c000000
	v_and_b32_e32 v1, 0x80000000, v1
	s_delay_alu instid0(VALU_DEP_1)
	v_or3_b32 v0, v2, v1, v0
.LBB450_1042:                           ;   in Loop: Header=BB450_13 Depth=1
	s_or_b32 exec_lo, exec_lo, s24
.LBB450_1043:                           ;   in Loop: Header=BB450_13 Depth=1
	s_delay_alu instid0(SALU_CYCLE_1)
	s_or_b32 exec_lo, exec_lo, s23
.LBB450_1044:                           ;   in Loop: Header=BB450_13 Depth=1
	s_delay_alu instid0(SALU_CYCLE_1) | instskip(NEXT) | instid1(VALU_DEP_1)
	s_or_b32 exec_lo, exec_lo, s22
	v_mul_f32_e32 v0, v121, v0
	s_delay_alu instid0(VALU_DEP_1) | instskip(NEXT) | instid1(VALU_DEP_1)
	v_and_b32_e32 v1, 0x7f800000, v0
	v_cmp_ne_u32_e64 s2, 0x7f800000, v1
                                        ; implicit-def: $vgpr1
                                        ; kill: killed $vgpr1
	s_delay_alu instid0(VALU_DEP_1) | instskip(NEXT) | instid1(SALU_CYCLE_1)
	s_and_saveexec_b32 s22, s2
	s_xor_b32 s2, exec_lo, s22
	s_cbranch_execz .LBB450_1046
; %bb.1045:                             ;   in Loop: Header=BB450_13 Depth=1
	v_bfe_u32 v1, v0, 16, 1
	s_delay_alu instid0(VALU_DEP_1)
	v_add3_u32 v0, v0, v1, 0x7fff
	scratch_store_b32 off, v0, s32 offset:684 ; 4-byte Folded Spill
                                        ; implicit-def: $vgpr0
.LBB450_1046:                           ;   in Loop: Header=BB450_13 Depth=1
	s_and_not1_saveexec_b32 s22, s2
	s_cbranch_execz .LBB450_1048
; %bb.1047:                             ;   in Loop: Header=BB450_13 Depth=1
	v_and_b32_e32 v1, 0xffff, v0
	v_or_b32_e32 v2, 0x10000, v0
	s_delay_alu instid0(VALU_DEP_2) | instskip(NEXT) | instid1(VALU_DEP_1)
	v_cmp_eq_u32_e64 s2, 0, v1
	v_cndmask_b32_e64 v0, v2, v0, s2
	scratch_store_b32 off, v0, s32 offset:684 ; 4-byte Folded Spill
.LBB450_1048:                           ;   in Loop: Header=BB450_13 Depth=1
	s_or_b32 exec_lo, exec_lo, s22
	v_lshrrev_b32_e32 v0, 16, v34
	s_mov_b32 s22, exec_lo
	s_delay_alu instid0(VALU_DEP_1) | instskip(NEXT) | instid1(VALU_DEP_1)
	v_dual_mov_b32 v1, 0 :: v_dual_and_b32 v2, 0xff, v0
	v_cmpx_ne_u16_e32 0, v2
	s_cbranch_execz .LBB450_1056
; %bb.1049:                             ;   in Loop: Header=BB450_13 Depth=1
	v_bfrev_b32_e32 v1, 1
	s_mov_b32 s23, exec_lo
	v_cmpx_ne_u16_e32 0x80, v2
	s_cbranch_execz .LBB450_1055
; %bb.1050:                             ;   in Loop: Header=BB450_13 Depth=1
	v_bfe_u32 v2, v34, 16, 7
	v_mov_b32_e32 v1, 0x7f800001
	s_mov_b32 s24, exec_lo
	s_delay_alu instid0(VALU_DEP_2)
	v_cmpx_ne_u32_e32 0x7f, v2
	s_cbranch_execz .LBB450_1054
; %bb.1051:                             ;   in Loop: Header=BB450_13 Depth=1
	v_and_b32_e32 v19, 7, v0
	v_lshrrev_b32_e32 v1, 3, v2
	v_mov_b32_e32 v36, v20
	s_mov_b32 s25, exec_lo
	s_delay_alu instid0(VALU_DEP_3)
	v_mov_b32_e32 v35, v19
	v_cmpx_gt_u32_e32 8, v2
; %bb.1052:                             ;   in Loop: Header=BB450_13 Depth=1
	v_clz_i32_u32_e32 v1, v19
	s_delay_alu instid0(VALU_DEP_1) | instskip(NEXT) | instid1(VALU_DEP_1)
	v_min_u32_e32 v1, 32, v1
	v_subrev_nc_u32_e32 v2, 28, v1
	v_sub_nc_u32_e32 v1, 29, v1
	s_delay_alu instid0(VALU_DEP_2) | instskip(NEXT) | instid1(VALU_DEP_1)
	v_lshlrev_b64 v[2:3], v2, v[19:20]
	v_and_b32_e32 v35, 7, v2
; %bb.1053:                             ;   in Loop: Header=BB450_13 Depth=1
	s_or_b32 exec_lo, exec_lo, s25
	v_lshlrev_b32_e32 v0, 24, v0
	s_delay_alu instid0(VALU_DEP_2) | instskip(SKIP_1) | instid1(VALU_DEP_3)
	v_lshlrev_b32_e32 v2, 20, v35
	v_lshl_add_u32 v1, v1, 23, 0x3c000000
	v_and_b32_e32 v0, 0x80000000, v0
	s_delay_alu instid0(VALU_DEP_1)
	v_or3_b32 v1, v2, v0, v1
.LBB450_1054:                           ;   in Loop: Header=BB450_13 Depth=1
	s_or_b32 exec_lo, exec_lo, s24
.LBB450_1055:                           ;   in Loop: Header=BB450_13 Depth=1
	s_delay_alu instid0(SALU_CYCLE_1)
	s_or_b32 exec_lo, exec_lo, s23
.LBB450_1056:                           ;   in Loop: Header=BB450_13 Depth=1
	s_delay_alu instid0(SALU_CYCLE_1) | instskip(NEXT) | instid1(VALU_DEP_1)
	s_or_b32 exec_lo, exec_lo, s22
	v_mul_f32_e32 v0, v121, v1
	s_delay_alu instid0(VALU_DEP_1) | instskip(NEXT) | instid1(VALU_DEP_1)
	v_and_b32_e32 v1, 0x7f800000, v0
	v_cmp_ne_u32_e64 s2, 0x7f800000, v1
                                        ; implicit-def: $vgpr1
                                        ; kill: killed $vgpr1
	s_delay_alu instid0(VALU_DEP_1) | instskip(NEXT) | instid1(SALU_CYCLE_1)
	s_and_saveexec_b32 s22, s2
	s_xor_b32 s2, exec_lo, s22
	s_cbranch_execz .LBB450_1058
; %bb.1057:                             ;   in Loop: Header=BB450_13 Depth=1
	v_bfe_u32 v1, v0, 16, 1
	s_delay_alu instid0(VALU_DEP_1)
	v_add3_u32 v0, v0, v1, 0x7fff
	scratch_store_b32 off, v0, s32 offset:688 ; 4-byte Folded Spill
                                        ; implicit-def: $vgpr0
.LBB450_1058:                           ;   in Loop: Header=BB450_13 Depth=1
	s_and_not1_saveexec_b32 s22, s2
	s_cbranch_execz .LBB450_1060
; %bb.1059:                             ;   in Loop: Header=BB450_13 Depth=1
	v_and_b32_e32 v1, 0xffff, v0
	v_or_b32_e32 v2, 0x10000, v0
	s_delay_alu instid0(VALU_DEP_2) | instskip(NEXT) | instid1(VALU_DEP_1)
	v_cmp_eq_u32_e64 s2, 0, v1
	v_cndmask_b32_e64 v0, v2, v0, s2
	scratch_store_b32 off, v0, s32 offset:688 ; 4-byte Folded Spill
.LBB450_1060:                           ;   in Loop: Header=BB450_13 Depth=1
	s_or_b32 exec_lo, exec_lo, s22
	v_mov_b32_e32 v1, 0
	s_mov_b32 s22, exec_lo
	v_cmpx_lt_u64_e64 s[8:9], v[33:34]
	s_cbranch_execz .LBB450_1068
; %bb.1061:                             ;   in Loop: Header=BB450_13 Depth=1
	v_lshrrev_b32_e32 v0, 24, v34
	v_bfrev_b32_e32 v1, 1
	s_mov_b32 s23, exec_lo
	s_delay_alu instid0(VALU_DEP_2)
	v_cmpx_ne_u32_e32 0x80, v0
	s_cbranch_execz .LBB450_1067
; %bb.1062:                             ;   in Loop: Header=BB450_13 Depth=1
	v_bfe_u32 v2, v34, 24, 7
	v_mov_b32_e32 v1, 0x7f800001
	s_mov_b32 s24, exec_lo
	s_delay_alu instid0(VALU_DEP_2)
	v_cmpx_ne_u32_e32 0x7f, v2
	s_cbranch_execz .LBB450_1066
; %bb.1063:                             ;   in Loop: Header=BB450_13 Depth=1
	v_and_b32_e32 v19, 7, v0
	v_lshrrev_b32_e32 v1, 3, v2
	v_mov_b32_e32 v34, v20
	s_mov_b32 s25, exec_lo
	s_delay_alu instid0(VALU_DEP_3)
	v_mov_b32_e32 v33, v19
	v_cmpx_gt_u32_e32 8, v2
; %bb.1064:                             ;   in Loop: Header=BB450_13 Depth=1
	v_clz_i32_u32_e32 v1, v19
	s_delay_alu instid0(VALU_DEP_1) | instskip(NEXT) | instid1(VALU_DEP_1)
	v_min_u32_e32 v1, 32, v1
	v_subrev_nc_u32_e32 v2, 28, v1
	v_sub_nc_u32_e32 v1, 29, v1
	s_delay_alu instid0(VALU_DEP_2) | instskip(NEXT) | instid1(VALU_DEP_1)
	v_lshlrev_b64 v[2:3], v2, v[19:20]
	v_and_b32_e32 v33, 7, v2
; %bb.1065:                             ;   in Loop: Header=BB450_13 Depth=1
	s_or_b32 exec_lo, exec_lo, s25
	v_lshlrev_b32_e32 v0, 24, v0
	s_delay_alu instid0(VALU_DEP_2) | instskip(SKIP_1) | instid1(VALU_DEP_3)
	v_lshlrev_b32_e32 v2, 20, v33
	v_lshl_add_u32 v1, v1, 23, 0x3c000000
	v_and_b32_e32 v0, 0x80000000, v0
	s_delay_alu instid0(VALU_DEP_1)
	v_or3_b32 v1, v2, v0, v1
.LBB450_1066:                           ;   in Loop: Header=BB450_13 Depth=1
	s_or_b32 exec_lo, exec_lo, s24
.LBB450_1067:                           ;   in Loop: Header=BB450_13 Depth=1
	s_delay_alu instid0(SALU_CYCLE_1)
	s_or_b32 exec_lo, exec_lo, s23
.LBB450_1068:                           ;   in Loop: Header=BB450_13 Depth=1
	s_delay_alu instid0(SALU_CYCLE_1) | instskip(NEXT) | instid1(VALU_DEP_1)
	s_or_b32 exec_lo, exec_lo, s22
	v_mul_f32_e32 v0, v121, v1
                                        ; implicit-def: $vgpr113
	s_delay_alu instid0(VALU_DEP_1) | instskip(NEXT) | instid1(VALU_DEP_1)
	v_and_b32_e32 v1, 0x7f800000, v0
	v_cmp_ne_u32_e64 s2, 0x7f800000, v1
	s_delay_alu instid0(VALU_DEP_1) | instskip(NEXT) | instid1(SALU_CYCLE_1)
	s_and_saveexec_b32 s22, s2
	s_xor_b32 s2, exec_lo, s22
; %bb.1069:                             ;   in Loop: Header=BB450_13 Depth=1
	v_bfe_u32 v1, v0, 16, 1
	s_delay_alu instid0(VALU_DEP_1)
	v_add3_u32 v113, v0, v1, 0x7fff
                                        ; implicit-def: $vgpr0
; %bb.1070:                             ;   in Loop: Header=BB450_13 Depth=1
	s_and_not1_saveexec_b32 s22, s2
; %bb.1071:                             ;   in Loop: Header=BB450_13 Depth=1
	v_and_b32_e32 v1, 0xffff, v0
	v_or_b32_e32 v2, 0x10000, v0
	s_delay_alu instid0(VALU_DEP_2) | instskip(NEXT) | instid1(VALU_DEP_1)
	v_cmp_eq_u32_e64 s2, 0, v1
	v_cndmask_b32_e64 v113, v2, v0, s2
; %bb.1072:                             ;   in Loop: Header=BB450_13 Depth=1
	s_or_b32 exec_lo, exec_lo, s22
	flat_load_b64 v[33:34], v[31:32] offset:2568
	s_mov_b32 s22, exec_lo
	s_waitcnt vmcnt(0) lgkmcnt(0)
	v_dual_mov_b32 v0, 0 :: v_dual_and_b32 v1, 0xff, v33
	s_delay_alu instid0(VALU_DEP_1)
	v_cmpx_ne_u16_e32 0, v1
	s_cbranch_execz .LBB450_1080
; %bb.1073:                             ;   in Loop: Header=BB450_13 Depth=1
	v_bfrev_b32_e32 v0, 1
	s_mov_b32 s23, exec_lo
	v_cmpx_ne_u16_e32 0x80, v1
	s_cbranch_execz .LBB450_1079
; %bb.1074:                             ;   in Loop: Header=BB450_13 Depth=1
	v_and_b32_e32 v1, 0x7f, v33
	v_mov_b32_e32 v0, 0x7f800001
	s_mov_b32 s24, exec_lo
	s_delay_alu instid0(VALU_DEP_2)
	v_cmpx_ne_u32_e32 0x7f, v1
	s_cbranch_execz .LBB450_1078
; %bb.1075:                             ;   in Loop: Header=BB450_13 Depth=1
	v_lshrrev_b32_e32 v0, 3, v1
	v_dual_mov_b32 v36, v34 :: v_dual_mov_b32 v35, v33
	s_mov_b32 s25, exec_lo
	v_cmpx_gt_u32_e32 8, v1
; %bb.1076:                             ;   in Loop: Header=BB450_13 Depth=1
	v_and_b32_e32 v0, 7, v33
	s_delay_alu instid0(VALU_DEP_1) | instskip(NEXT) | instid1(VALU_DEP_1)
	v_clz_i32_u32_e32 v0, v0
	v_min_u32_e32 v0, 32, v0
	s_delay_alu instid0(VALU_DEP_1) | instskip(SKIP_1) | instid1(VALU_DEP_2)
	v_subrev_nc_u32_e32 v1, 28, v0
	v_sub_nc_u32_e32 v0, 29, v0
	v_lshlrev_b64 v[35:36], v1, v[33:34]
; %bb.1077:                             ;   in Loop: Header=BB450_13 Depth=1
	s_or_b32 exec_lo, exec_lo, s25
	s_delay_alu instid0(VALU_DEP_1) | instskip(SKIP_2) | instid1(VALU_DEP_3)
	v_lshlrev_b32_e32 v1, 20, v35
	v_lshlrev_b32_e32 v2, 24, v33
	v_lshl_add_u32 v0, v0, 23, 0x3c000000
	v_and_b32_e32 v1, 0x700000, v1
	s_delay_alu instid0(VALU_DEP_3) | instskip(NEXT) | instid1(VALU_DEP_1)
	v_and_b32_e32 v2, 0x80000000, v2
	v_or3_b32 v0, v1, v2, v0
.LBB450_1078:                           ;   in Loop: Header=BB450_13 Depth=1
	s_or_b32 exec_lo, exec_lo, s24
.LBB450_1079:                           ;   in Loop: Header=BB450_13 Depth=1
	s_delay_alu instid0(SALU_CYCLE_1)
	s_or_b32 exec_lo, exec_lo, s23
.LBB450_1080:                           ;   in Loop: Header=BB450_13 Depth=1
	s_delay_alu instid0(SALU_CYCLE_1) | instskip(NEXT) | instid1(VALU_DEP_1)
	s_or_b32 exec_lo, exec_lo, s22
	v_mul_f32_e32 v0, v121, v0
                                        ; implicit-def: $vgpr114
	s_delay_alu instid0(VALU_DEP_1) | instskip(NEXT) | instid1(VALU_DEP_1)
	v_and_b32_e32 v1, 0x7f800000, v0
	v_cmp_ne_u32_e64 s2, 0x7f800000, v1
	s_delay_alu instid0(VALU_DEP_1) | instskip(NEXT) | instid1(SALU_CYCLE_1)
	s_and_saveexec_b32 s22, s2
	s_xor_b32 s2, exec_lo, s22
; %bb.1081:                             ;   in Loop: Header=BB450_13 Depth=1
	v_bfe_u32 v1, v0, 16, 1
	s_delay_alu instid0(VALU_DEP_1)
	v_add3_u32 v114, v0, v1, 0x7fff
                                        ; implicit-def: $vgpr0
; %bb.1082:                             ;   in Loop: Header=BB450_13 Depth=1
	s_and_not1_saveexec_b32 s22, s2
; %bb.1083:                             ;   in Loop: Header=BB450_13 Depth=1
	v_and_b32_e32 v1, 0xffff, v0
	v_or_b32_e32 v2, 0x10000, v0
	s_delay_alu instid0(VALU_DEP_2) | instskip(NEXT) | instid1(VALU_DEP_1)
	v_cmp_eq_u32_e64 s2, 0, v1
	v_cndmask_b32_e64 v114, v2, v0, s2
; %bb.1084:                             ;   in Loop: Header=BB450_13 Depth=1
	s_or_b32 exec_lo, exec_lo, s22
	v_lshrrev_b16 v1, 8, v33
	v_mov_b32_e32 v0, 0
	s_mov_b32 s22, exec_lo
	s_delay_alu instid0(VALU_DEP_2)
	v_cmpx_ne_u16_e32 0, v1
	s_cbranch_execz .LBB450_1092
; %bb.1085:                             ;   in Loop: Header=BB450_13 Depth=1
	v_bfrev_b32_e32 v0, 1
	s_mov_b32 s23, exec_lo
	v_cmpx_ne_u16_e32 0x80, v1
	s_cbranch_execz .LBB450_1091
; %bb.1086:                             ;   in Loop: Header=BB450_13 Depth=1
	v_and_b32_e32 v2, 0xffff, v1
	v_mov_b32_e32 v0, 0x7f800001
	s_mov_b32 s24, exec_lo
	s_delay_alu instid0(VALU_DEP_2) | instskip(NEXT) | instid1(VALU_DEP_1)
	v_and_b32_e32 v1, 0x7f, v2
	v_cmpx_ne_u32_e32 0x7f, v1
	s_cbranch_execz .LBB450_1090
; %bb.1087:                             ;   in Loop: Header=BB450_13 Depth=1
	v_and_b32_e32 v19, 7, v2
	v_lshrrev_b32_e32 v0, 3, v1
	v_mov_b32_e32 v36, v20
	s_mov_b32 s25, exec_lo
	s_delay_alu instid0(VALU_DEP_3)
	v_mov_b32_e32 v35, v19
	v_cmpx_gt_u32_e32 8, v1
; %bb.1088:                             ;   in Loop: Header=BB450_13 Depth=1
	v_clz_i32_u32_e32 v0, v19
	s_delay_alu instid0(VALU_DEP_1) | instskip(NEXT) | instid1(VALU_DEP_1)
	v_min_u32_e32 v0, 32, v0
	v_subrev_nc_u32_e32 v1, 28, v0
	v_sub_nc_u32_e32 v0, 29, v0
	s_delay_alu instid0(VALU_DEP_2) | instskip(NEXT) | instid1(VALU_DEP_1)
	v_lshlrev_b64 v[1:2], v1, v[19:20]
	v_and_b32_e32 v35, 7, v1
; %bb.1089:                             ;   in Loop: Header=BB450_13 Depth=1
	s_or_b32 exec_lo, exec_lo, s25
	v_lshlrev_b32_e32 v1, 16, v33
	s_delay_alu instid0(VALU_DEP_2) | instskip(SKIP_1) | instid1(VALU_DEP_3)
	v_lshlrev_b32_e32 v2, 20, v35
	v_lshl_add_u32 v0, v0, 23, 0x3c000000
	v_and_b32_e32 v1, 0x80000000, v1
	s_delay_alu instid0(VALU_DEP_1)
	v_or3_b32 v0, v2, v1, v0
.LBB450_1090:                           ;   in Loop: Header=BB450_13 Depth=1
	s_or_b32 exec_lo, exec_lo, s24
.LBB450_1091:                           ;   in Loop: Header=BB450_13 Depth=1
	s_delay_alu instid0(SALU_CYCLE_1)
	s_or_b32 exec_lo, exec_lo, s23
.LBB450_1092:                           ;   in Loop: Header=BB450_13 Depth=1
	s_delay_alu instid0(SALU_CYCLE_1) | instskip(NEXT) | instid1(VALU_DEP_1)
	s_or_b32 exec_lo, exec_lo, s22
	v_mul_f32_e32 v0, v121, v0
                                        ; implicit-def: $vgpr115
	s_delay_alu instid0(VALU_DEP_1) | instskip(NEXT) | instid1(VALU_DEP_1)
	v_and_b32_e32 v1, 0x7f800000, v0
	v_cmp_ne_u32_e64 s2, 0x7f800000, v1
	s_delay_alu instid0(VALU_DEP_1) | instskip(NEXT) | instid1(SALU_CYCLE_1)
	s_and_saveexec_b32 s22, s2
	s_xor_b32 s2, exec_lo, s22
; %bb.1093:                             ;   in Loop: Header=BB450_13 Depth=1
	v_bfe_u32 v1, v0, 16, 1
	s_delay_alu instid0(VALU_DEP_1)
	v_add3_u32 v115, v0, v1, 0x7fff
                                        ; implicit-def: $vgpr0
; %bb.1094:                             ;   in Loop: Header=BB450_13 Depth=1
	s_and_not1_saveexec_b32 s22, s2
; %bb.1095:                             ;   in Loop: Header=BB450_13 Depth=1
	v_and_b32_e32 v1, 0xffff, v0
	v_or_b32_e32 v2, 0x10000, v0
	s_delay_alu instid0(VALU_DEP_2) | instskip(NEXT) | instid1(VALU_DEP_1)
	v_cmp_eq_u32_e64 s2, 0, v1
	v_cndmask_b32_e64 v115, v2, v0, s2
; %bb.1096:                             ;   in Loop: Header=BB450_13 Depth=1
	s_or_b32 exec_lo, exec_lo, s22
	v_lshrrev_b32_e32 v0, 16, v33
	s_mov_b32 s22, exec_lo
	s_delay_alu instid0(VALU_DEP_1) | instskip(NEXT) | instid1(VALU_DEP_1)
	v_dual_mov_b32 v1, 0 :: v_dual_and_b32 v2, 0xff, v0
	v_cmpx_ne_u16_e32 0, v2
	s_cbranch_execz .LBB450_1104
; %bb.1097:                             ;   in Loop: Header=BB450_13 Depth=1
	v_bfrev_b32_e32 v1, 1
	s_mov_b32 s23, exec_lo
	v_cmpx_ne_u16_e32 0x80, v2
	s_cbranch_execz .LBB450_1103
; %bb.1098:                             ;   in Loop: Header=BB450_13 Depth=1
	v_bfe_u32 v2, v33, 16, 7
	v_mov_b32_e32 v1, 0x7f800001
	s_mov_b32 s24, exec_lo
	s_delay_alu instid0(VALU_DEP_2)
	v_cmpx_ne_u32_e32 0x7f, v2
	s_cbranch_execz .LBB450_1102
; %bb.1099:                             ;   in Loop: Header=BB450_13 Depth=1
	v_and_b32_e32 v19, 7, v0
	v_lshrrev_b32_e32 v1, 3, v2
	v_mov_b32_e32 v36, v20
	s_mov_b32 s25, exec_lo
	s_delay_alu instid0(VALU_DEP_3)
	v_mov_b32_e32 v35, v19
	v_cmpx_gt_u32_e32 8, v2
; %bb.1100:                             ;   in Loop: Header=BB450_13 Depth=1
	v_clz_i32_u32_e32 v1, v19
	s_delay_alu instid0(VALU_DEP_1) | instskip(NEXT) | instid1(VALU_DEP_1)
	v_min_u32_e32 v1, 32, v1
	v_subrev_nc_u32_e32 v2, 28, v1
	v_sub_nc_u32_e32 v1, 29, v1
	s_delay_alu instid0(VALU_DEP_2) | instskip(NEXT) | instid1(VALU_DEP_1)
	v_lshlrev_b64 v[2:3], v2, v[19:20]
	v_and_b32_e32 v35, 7, v2
; %bb.1101:                             ;   in Loop: Header=BB450_13 Depth=1
	s_or_b32 exec_lo, exec_lo, s25
	v_lshlrev_b32_e32 v0, 24, v0
	s_delay_alu instid0(VALU_DEP_2) | instskip(SKIP_1) | instid1(VALU_DEP_3)
	v_lshlrev_b32_e32 v2, 20, v35
	v_lshl_add_u32 v1, v1, 23, 0x3c000000
	v_and_b32_e32 v0, 0x80000000, v0
	s_delay_alu instid0(VALU_DEP_1)
	v_or3_b32 v1, v2, v0, v1
.LBB450_1102:                           ;   in Loop: Header=BB450_13 Depth=1
	s_or_b32 exec_lo, exec_lo, s24
.LBB450_1103:                           ;   in Loop: Header=BB450_13 Depth=1
	s_delay_alu instid0(SALU_CYCLE_1)
	s_or_b32 exec_lo, exec_lo, s23
.LBB450_1104:                           ;   in Loop: Header=BB450_13 Depth=1
	s_delay_alu instid0(SALU_CYCLE_1) | instskip(NEXT) | instid1(VALU_DEP_1)
	s_or_b32 exec_lo, exec_lo, s22
	v_mul_f32_e32 v0, v121, v1
                                        ; implicit-def: $vgpr49
	s_delay_alu instid0(VALU_DEP_1) | instskip(NEXT) | instid1(VALU_DEP_1)
	v_and_b32_e32 v1, 0x7f800000, v0
	v_cmp_ne_u32_e64 s2, 0x7f800000, v1
	s_delay_alu instid0(VALU_DEP_1) | instskip(NEXT) | instid1(SALU_CYCLE_1)
	s_and_saveexec_b32 s22, s2
	s_xor_b32 s2, exec_lo, s22
; %bb.1105:                             ;   in Loop: Header=BB450_13 Depth=1
	v_bfe_u32 v1, v0, 16, 1
	s_delay_alu instid0(VALU_DEP_1)
	v_add3_u32 v49, v0, v1, 0x7fff
                                        ; implicit-def: $vgpr0
; %bb.1106:                             ;   in Loop: Header=BB450_13 Depth=1
	s_and_not1_saveexec_b32 s22, s2
; %bb.1107:                             ;   in Loop: Header=BB450_13 Depth=1
	v_and_b32_e32 v1, 0xffff, v0
	v_or_b32_e32 v2, 0x10000, v0
	s_delay_alu instid0(VALU_DEP_2) | instskip(NEXT) | instid1(VALU_DEP_1)
	v_cmp_eq_u32_e64 s2, 0, v1
	v_cndmask_b32_e64 v49, v2, v0, s2
; %bb.1108:                             ;   in Loop: Header=BB450_13 Depth=1
	s_or_b32 exec_lo, exec_lo, s22
	v_mov_b32_e32 v1, 0
	s_mov_b32 s22, exec_lo
	v_cmpx_lt_u32_e32 0xffffff, v33
	s_cbranch_execz .LBB450_1116
; %bb.1109:                             ;   in Loop: Header=BB450_13 Depth=1
	v_lshrrev_b32_e32 v0, 24, v33
	v_bfrev_b32_e32 v1, 1
	s_mov_b32 s23, exec_lo
	s_delay_alu instid0(VALU_DEP_2)
	v_cmpx_ne_u32_e32 0x80, v0
	s_cbranch_execz .LBB450_1115
; %bb.1110:                             ;   in Loop: Header=BB450_13 Depth=1
	v_bfe_u32 v2, v33, 24, 7
	v_mov_b32_e32 v1, 0x7f800001
	s_mov_b32 s24, exec_lo
	s_delay_alu instid0(VALU_DEP_2)
	v_cmpx_ne_u32_e32 0x7f, v2
	s_cbranch_execz .LBB450_1114
; %bb.1111:                             ;   in Loop: Header=BB450_13 Depth=1
	v_and_b32_e32 v19, 7, v0
	v_lshrrev_b32_e32 v1, 3, v2
	v_mov_b32_e32 v36, v20
	s_mov_b32 s25, exec_lo
	s_delay_alu instid0(VALU_DEP_3)
	v_mov_b32_e32 v35, v19
	v_cmpx_gt_u32_e32 8, v2
; %bb.1112:                             ;   in Loop: Header=BB450_13 Depth=1
	v_clz_i32_u32_e32 v1, v19
	s_delay_alu instid0(VALU_DEP_1) | instskip(NEXT) | instid1(VALU_DEP_1)
	v_min_u32_e32 v1, 32, v1
	v_subrev_nc_u32_e32 v2, 28, v1
	v_sub_nc_u32_e32 v1, 29, v1
	s_delay_alu instid0(VALU_DEP_2) | instskip(NEXT) | instid1(VALU_DEP_1)
	v_lshlrev_b64 v[2:3], v2, v[19:20]
	v_and_b32_e32 v35, 7, v2
; %bb.1113:                             ;   in Loop: Header=BB450_13 Depth=1
	s_or_b32 exec_lo, exec_lo, s25
	v_lshlrev_b32_e32 v0, 24, v0
	s_delay_alu instid0(VALU_DEP_2) | instskip(SKIP_1) | instid1(VALU_DEP_3)
	v_lshlrev_b32_e32 v2, 20, v35
	v_lshl_add_u32 v1, v1, 23, 0x3c000000
	v_and_b32_e32 v0, 0x80000000, v0
	s_delay_alu instid0(VALU_DEP_1)
	v_or3_b32 v1, v2, v0, v1
.LBB450_1114:                           ;   in Loop: Header=BB450_13 Depth=1
	s_or_b32 exec_lo, exec_lo, s24
.LBB450_1115:                           ;   in Loop: Header=BB450_13 Depth=1
	s_delay_alu instid0(SALU_CYCLE_1)
	s_or_b32 exec_lo, exec_lo, s23
.LBB450_1116:                           ;   in Loop: Header=BB450_13 Depth=1
	s_delay_alu instid0(SALU_CYCLE_1) | instskip(NEXT) | instid1(VALU_DEP_1)
	s_or_b32 exec_lo, exec_lo, s22
	v_mul_f32_e32 v0, v121, v1
                                        ; implicit-def: $vgpr22
	s_delay_alu instid0(VALU_DEP_1) | instskip(NEXT) | instid1(VALU_DEP_1)
	v_and_b32_e32 v1, 0x7f800000, v0
	v_cmp_ne_u32_e64 s2, 0x7f800000, v1
	s_delay_alu instid0(VALU_DEP_1) | instskip(NEXT) | instid1(SALU_CYCLE_1)
	s_and_saveexec_b32 s22, s2
	s_xor_b32 s2, exec_lo, s22
; %bb.1117:                             ;   in Loop: Header=BB450_13 Depth=1
	v_bfe_u32 v1, v0, 16, 1
	s_delay_alu instid0(VALU_DEP_1)
	v_add3_u32 v22, v0, v1, 0x7fff
                                        ; implicit-def: $vgpr0
; %bb.1118:                             ;   in Loop: Header=BB450_13 Depth=1
	s_and_not1_saveexec_b32 s22, s2
; %bb.1119:                             ;   in Loop: Header=BB450_13 Depth=1
	v_and_b32_e32 v1, 0xffff, v0
	v_or_b32_e32 v2, 0x10000, v0
	s_delay_alu instid0(VALU_DEP_2) | instskip(NEXT) | instid1(VALU_DEP_1)
	v_cmp_eq_u32_e64 s2, 0, v1
	v_cndmask_b32_e64 v22, v2, v0, s2
; %bb.1120:                             ;   in Loop: Header=BB450_13 Depth=1
	s_or_b32 exec_lo, exec_lo, s22
	v_dual_mov_b32 v0, 0 :: v_dual_and_b32 v1, 0xff, v34
	v_mov_b32_e32 v19, v34
	s_mov_b32 s22, exec_lo
	s_delay_alu instid0(VALU_DEP_2)
	v_cmpx_ne_u16_e32 0, v1
	s_cbranch_execz .LBB450_1128
; %bb.1121:                             ;   in Loop: Header=BB450_13 Depth=1
	v_bfrev_b32_e32 v0, 1
	s_mov_b32 s23, exec_lo
	v_cmpx_ne_u16_e32 0x80, v1
	s_cbranch_execz .LBB450_1127
; %bb.1122:                             ;   in Loop: Header=BB450_13 Depth=1
	v_and_b32_e32 v1, 0x7f, v34
	v_mov_b32_e32 v0, 0x7f800001
	s_mov_b32 s24, exec_lo
	s_delay_alu instid0(VALU_DEP_2)
	v_cmpx_ne_u32_e32 0x7f, v1
	s_cbranch_execz .LBB450_1126
; %bb.1123:                             ;   in Loop: Header=BB450_13 Depth=1
	v_lshrrev_b32_e32 v0, 3, v1
	v_dual_mov_b32 v36, v20 :: v_dual_mov_b32 v35, v19
	s_mov_b32 s25, exec_lo
	v_cmpx_gt_u32_e32 8, v1
; %bb.1124:                             ;   in Loop: Header=BB450_13 Depth=1
	v_and_b32_e32 v0, 7, v34
	s_delay_alu instid0(VALU_DEP_1) | instskip(NEXT) | instid1(VALU_DEP_1)
	v_clz_i32_u32_e32 v0, v0
	v_min_u32_e32 v0, 32, v0
	s_delay_alu instid0(VALU_DEP_1) | instskip(SKIP_1) | instid1(VALU_DEP_2)
	v_subrev_nc_u32_e32 v1, 28, v0
	v_sub_nc_u32_e32 v0, 29, v0
	v_lshlrev_b64 v[35:36], v1, v[19:20]
; %bb.1125:                             ;   in Loop: Header=BB450_13 Depth=1
	s_or_b32 exec_lo, exec_lo, s25
	s_delay_alu instid0(VALU_DEP_1) | instskip(SKIP_2) | instid1(VALU_DEP_3)
	v_lshlrev_b32_e32 v1, 20, v35
	v_lshlrev_b32_e32 v2, 24, v19
	v_lshl_add_u32 v0, v0, 23, 0x3c000000
	v_and_b32_e32 v1, 0x700000, v1
	s_delay_alu instid0(VALU_DEP_3) | instskip(NEXT) | instid1(VALU_DEP_1)
	v_and_b32_e32 v2, 0x80000000, v2
	v_or3_b32 v0, v1, v2, v0
.LBB450_1126:                           ;   in Loop: Header=BB450_13 Depth=1
	s_or_b32 exec_lo, exec_lo, s24
.LBB450_1127:                           ;   in Loop: Header=BB450_13 Depth=1
	s_delay_alu instid0(SALU_CYCLE_1)
	s_or_b32 exec_lo, exec_lo, s23
.LBB450_1128:                           ;   in Loop: Header=BB450_13 Depth=1
	s_delay_alu instid0(SALU_CYCLE_1) | instskip(NEXT) | instid1(VALU_DEP_1)
	s_or_b32 exec_lo, exec_lo, s22
	v_mul_f32_e32 v0, v121, v0
                                        ; implicit-def: $vgpr50
	s_delay_alu instid0(VALU_DEP_1) | instskip(NEXT) | instid1(VALU_DEP_1)
	v_and_b32_e32 v1, 0x7f800000, v0
	v_cmp_ne_u32_e64 s2, 0x7f800000, v1
	s_delay_alu instid0(VALU_DEP_1) | instskip(NEXT) | instid1(SALU_CYCLE_1)
	s_and_saveexec_b32 s22, s2
	s_xor_b32 s2, exec_lo, s22
; %bb.1129:                             ;   in Loop: Header=BB450_13 Depth=1
	v_bfe_u32 v1, v0, 16, 1
	s_delay_alu instid0(VALU_DEP_1)
	v_add3_u32 v50, v0, v1, 0x7fff
                                        ; implicit-def: $vgpr0
; %bb.1130:                             ;   in Loop: Header=BB450_13 Depth=1
	s_and_not1_saveexec_b32 s22, s2
; %bb.1131:                             ;   in Loop: Header=BB450_13 Depth=1
	v_and_b32_e32 v1, 0xffff, v0
	v_or_b32_e32 v2, 0x10000, v0
	s_delay_alu instid0(VALU_DEP_2) | instskip(NEXT) | instid1(VALU_DEP_1)
	v_cmp_eq_u32_e64 s2, 0, v1
	v_cndmask_b32_e64 v50, v2, v0, s2
; %bb.1132:                             ;   in Loop: Header=BB450_13 Depth=1
	s_or_b32 exec_lo, exec_lo, s22
	v_lshrrev_b16 v1, 8, v19
	v_mov_b32_e32 v0, 0
	s_mov_b32 s22, exec_lo
	s_delay_alu instid0(VALU_DEP_2)
	v_cmpx_ne_u16_e32 0, v1
	s_cbranch_execz .LBB450_1140
; %bb.1133:                             ;   in Loop: Header=BB450_13 Depth=1
	v_bfrev_b32_e32 v0, 1
	s_mov_b32 s23, exec_lo
	v_cmpx_ne_u16_e32 0x80, v1
	s_cbranch_execz .LBB450_1139
; %bb.1134:                             ;   in Loop: Header=BB450_13 Depth=1
	v_and_b32_e32 v2, 0xffff, v1
	v_mov_b32_e32 v0, 0x7f800001
	s_mov_b32 s24, exec_lo
	s_delay_alu instid0(VALU_DEP_2) | instskip(NEXT) | instid1(VALU_DEP_1)
	v_and_b32_e32 v1, 0x7f, v2
	v_cmpx_ne_u32_e32 0x7f, v1
	s_cbranch_execz .LBB450_1138
; %bb.1135:                             ;   in Loop: Header=BB450_13 Depth=1
	v_dual_mov_b32 v36, v20 :: v_dual_and_b32 v35, 7, v2
	v_lshrrev_b32_e32 v0, 3, v1
	s_mov_b32 s25, exec_lo
	v_cmpx_gt_u32_e32 8, v1
; %bb.1136:                             ;   in Loop: Header=BB450_13 Depth=1
	s_delay_alu instid0(VALU_DEP_3) | instskip(NEXT) | instid1(VALU_DEP_1)
	v_clz_i32_u32_e32 v0, v35
	v_min_u32_e32 v0, 32, v0
	s_delay_alu instid0(VALU_DEP_1) | instskip(SKIP_1) | instid1(VALU_DEP_2)
	v_subrev_nc_u32_e32 v1, 28, v0
	v_sub_nc_u32_e32 v0, 29, v0
	v_lshlrev_b64 v[1:2], v1, v[35:36]
	s_delay_alu instid0(VALU_DEP_1)
	v_and_b32_e32 v35, 7, v1
; %bb.1137:                             ;   in Loop: Header=BB450_13 Depth=1
	s_or_b32 exec_lo, exec_lo, s25
	v_lshlrev_b32_e32 v1, 16, v19
	s_delay_alu instid0(VALU_DEP_2) | instskip(SKIP_1) | instid1(VALU_DEP_3)
	v_lshlrev_b32_e32 v2, 20, v35
	v_lshl_add_u32 v0, v0, 23, 0x3c000000
	v_and_b32_e32 v1, 0x80000000, v1
	s_delay_alu instid0(VALU_DEP_1)
	v_or3_b32 v0, v2, v1, v0
.LBB450_1138:                           ;   in Loop: Header=BB450_13 Depth=1
	s_or_b32 exec_lo, exec_lo, s24
.LBB450_1139:                           ;   in Loop: Header=BB450_13 Depth=1
	s_delay_alu instid0(SALU_CYCLE_1)
	s_or_b32 exec_lo, exec_lo, s23
.LBB450_1140:                           ;   in Loop: Header=BB450_13 Depth=1
	s_delay_alu instid0(SALU_CYCLE_1) | instskip(NEXT) | instid1(VALU_DEP_1)
	s_or_b32 exec_lo, exec_lo, s22
	v_mul_f32_e32 v0, v121, v0
                                        ; implicit-def: $vgpr51
	s_delay_alu instid0(VALU_DEP_1) | instskip(NEXT) | instid1(VALU_DEP_1)
	v_and_b32_e32 v1, 0x7f800000, v0
	v_cmp_ne_u32_e64 s2, 0x7f800000, v1
	s_delay_alu instid0(VALU_DEP_1) | instskip(NEXT) | instid1(SALU_CYCLE_1)
	s_and_saveexec_b32 s22, s2
	s_xor_b32 s2, exec_lo, s22
; %bb.1141:                             ;   in Loop: Header=BB450_13 Depth=1
	v_bfe_u32 v1, v0, 16, 1
	s_delay_alu instid0(VALU_DEP_1)
	v_add3_u32 v51, v0, v1, 0x7fff
                                        ; implicit-def: $vgpr0
; %bb.1142:                             ;   in Loop: Header=BB450_13 Depth=1
	s_and_not1_saveexec_b32 s22, s2
; %bb.1143:                             ;   in Loop: Header=BB450_13 Depth=1
	v_and_b32_e32 v1, 0xffff, v0
	v_or_b32_e32 v2, 0x10000, v0
	s_delay_alu instid0(VALU_DEP_2) | instskip(NEXT) | instid1(VALU_DEP_1)
	v_cmp_eq_u32_e64 s2, 0, v1
	v_cndmask_b32_e64 v51, v2, v0, s2
; %bb.1144:                             ;   in Loop: Header=BB450_13 Depth=1
	s_or_b32 exec_lo, exec_lo, s22
	v_lshrrev_b32_e32 v0, 16, v34
	s_mov_b32 s22, exec_lo
	s_delay_alu instid0(VALU_DEP_1) | instskip(NEXT) | instid1(VALU_DEP_1)
	v_dual_mov_b32 v1, 0 :: v_dual_and_b32 v2, 0xff, v0
	v_cmpx_ne_u16_e32 0, v2
	s_cbranch_execz .LBB450_1152
; %bb.1145:                             ;   in Loop: Header=BB450_13 Depth=1
	v_bfrev_b32_e32 v1, 1
	s_mov_b32 s23, exec_lo
	v_cmpx_ne_u16_e32 0x80, v2
	s_cbranch_execz .LBB450_1151
; %bb.1146:                             ;   in Loop: Header=BB450_13 Depth=1
	v_bfe_u32 v2, v34, 16, 7
	v_mov_b32_e32 v1, 0x7f800001
	s_mov_b32 s24, exec_lo
	s_delay_alu instid0(VALU_DEP_2)
	v_cmpx_ne_u32_e32 0x7f, v2
	s_cbranch_execz .LBB450_1150
; %bb.1147:                             ;   in Loop: Header=BB450_13 Depth=1
	v_and_b32_e32 v19, 7, v0
	v_lshrrev_b32_e32 v1, 3, v2
	v_mov_b32_e32 v36, v20
	s_mov_b32 s25, exec_lo
	s_delay_alu instid0(VALU_DEP_3)
	v_mov_b32_e32 v35, v19
	v_cmpx_gt_u32_e32 8, v2
; %bb.1148:                             ;   in Loop: Header=BB450_13 Depth=1
	v_clz_i32_u32_e32 v1, v19
	s_delay_alu instid0(VALU_DEP_1) | instskip(NEXT) | instid1(VALU_DEP_1)
	v_min_u32_e32 v1, 32, v1
	v_subrev_nc_u32_e32 v2, 28, v1
	v_sub_nc_u32_e32 v1, 29, v1
	s_delay_alu instid0(VALU_DEP_2) | instskip(NEXT) | instid1(VALU_DEP_1)
	v_lshlrev_b64 v[2:3], v2, v[19:20]
	v_and_b32_e32 v35, 7, v2
; %bb.1149:                             ;   in Loop: Header=BB450_13 Depth=1
	s_or_b32 exec_lo, exec_lo, s25
	v_lshlrev_b32_e32 v0, 24, v0
	s_delay_alu instid0(VALU_DEP_2) | instskip(SKIP_1) | instid1(VALU_DEP_3)
	v_lshlrev_b32_e32 v2, 20, v35
	v_lshl_add_u32 v1, v1, 23, 0x3c000000
	v_and_b32_e32 v0, 0x80000000, v0
	s_delay_alu instid0(VALU_DEP_1)
	v_or3_b32 v1, v2, v0, v1
.LBB450_1150:                           ;   in Loop: Header=BB450_13 Depth=1
	s_or_b32 exec_lo, exec_lo, s24
.LBB450_1151:                           ;   in Loop: Header=BB450_13 Depth=1
	s_delay_alu instid0(SALU_CYCLE_1)
	s_or_b32 exec_lo, exec_lo, s23
.LBB450_1152:                           ;   in Loop: Header=BB450_13 Depth=1
	s_delay_alu instid0(SALU_CYCLE_1) | instskip(NEXT) | instid1(VALU_DEP_1)
	s_or_b32 exec_lo, exec_lo, s22
	v_mul_f32_e32 v0, v121, v1
                                        ; implicit-def: $vgpr116
	s_delay_alu instid0(VALU_DEP_1) | instskip(NEXT) | instid1(VALU_DEP_1)
	v_and_b32_e32 v1, 0x7f800000, v0
	v_cmp_ne_u32_e64 s2, 0x7f800000, v1
	s_delay_alu instid0(VALU_DEP_1) | instskip(NEXT) | instid1(SALU_CYCLE_1)
	s_and_saveexec_b32 s22, s2
	s_xor_b32 s2, exec_lo, s22
; %bb.1153:                             ;   in Loop: Header=BB450_13 Depth=1
	v_bfe_u32 v1, v0, 16, 1
	s_delay_alu instid0(VALU_DEP_1)
	v_add3_u32 v116, v0, v1, 0x7fff
                                        ; implicit-def: $vgpr0
; %bb.1154:                             ;   in Loop: Header=BB450_13 Depth=1
	s_and_not1_saveexec_b32 s22, s2
; %bb.1155:                             ;   in Loop: Header=BB450_13 Depth=1
	v_and_b32_e32 v1, 0xffff, v0
	v_or_b32_e32 v2, 0x10000, v0
	s_delay_alu instid0(VALU_DEP_2) | instskip(NEXT) | instid1(VALU_DEP_1)
	v_cmp_eq_u32_e64 s2, 0, v1
	v_cndmask_b32_e64 v116, v2, v0, s2
; %bb.1156:                             ;   in Loop: Header=BB450_13 Depth=1
	s_or_b32 exec_lo, exec_lo, s22
	v_mov_b32_e32 v1, 0
	s_mov_b32 s22, exec_lo
	v_cmpx_lt_u64_e64 s[8:9], v[33:34]
	s_cbranch_execz .LBB450_1164
; %bb.1157:                             ;   in Loop: Header=BB450_13 Depth=1
	v_lshrrev_b32_e32 v0, 24, v34
	v_bfrev_b32_e32 v1, 1
	s_mov_b32 s23, exec_lo
	s_delay_alu instid0(VALU_DEP_2)
	v_cmpx_ne_u32_e32 0x80, v0
	s_cbranch_execz .LBB450_1163
; %bb.1158:                             ;   in Loop: Header=BB450_13 Depth=1
	v_bfe_u32 v2, v34, 24, 7
	v_mov_b32_e32 v1, 0x7f800001
	s_mov_b32 s24, exec_lo
	s_delay_alu instid0(VALU_DEP_2)
	v_cmpx_ne_u32_e32 0x7f, v2
	s_cbranch_execz .LBB450_1162
; %bb.1159:                             ;   in Loop: Header=BB450_13 Depth=1
	v_and_b32_e32 v19, 7, v0
	v_lshrrev_b32_e32 v1, 3, v2
	v_mov_b32_e32 v34, v20
	s_mov_b32 s25, exec_lo
	s_delay_alu instid0(VALU_DEP_3)
	v_mov_b32_e32 v33, v19
	v_cmpx_gt_u32_e32 8, v2
; %bb.1160:                             ;   in Loop: Header=BB450_13 Depth=1
	v_clz_i32_u32_e32 v1, v19
	s_delay_alu instid0(VALU_DEP_1) | instskip(NEXT) | instid1(VALU_DEP_1)
	v_min_u32_e32 v1, 32, v1
	v_subrev_nc_u32_e32 v2, 28, v1
	v_sub_nc_u32_e32 v1, 29, v1
	s_delay_alu instid0(VALU_DEP_2) | instskip(NEXT) | instid1(VALU_DEP_1)
	v_lshlrev_b64 v[2:3], v2, v[19:20]
	v_and_b32_e32 v33, 7, v2
; %bb.1161:                             ;   in Loop: Header=BB450_13 Depth=1
	s_or_b32 exec_lo, exec_lo, s25
	v_lshlrev_b32_e32 v0, 24, v0
	s_delay_alu instid0(VALU_DEP_2) | instskip(SKIP_1) | instid1(VALU_DEP_3)
	v_lshlrev_b32_e32 v2, 20, v33
	v_lshl_add_u32 v1, v1, 23, 0x3c000000
	v_and_b32_e32 v0, 0x80000000, v0
	s_delay_alu instid0(VALU_DEP_1)
	v_or3_b32 v1, v2, v0, v1
.LBB450_1162:                           ;   in Loop: Header=BB450_13 Depth=1
	s_or_b32 exec_lo, exec_lo, s24
.LBB450_1163:                           ;   in Loop: Header=BB450_13 Depth=1
	s_delay_alu instid0(SALU_CYCLE_1)
	s_or_b32 exec_lo, exec_lo, s23
.LBB450_1164:                           ;   in Loop: Header=BB450_13 Depth=1
	s_delay_alu instid0(SALU_CYCLE_1) | instskip(NEXT) | instid1(VALU_DEP_1)
	s_or_b32 exec_lo, exec_lo, s22
	v_mul_f32_e32 v0, v121, v1
                                        ; implicit-def: $vgpr117
	s_delay_alu instid0(VALU_DEP_1) | instskip(NEXT) | instid1(VALU_DEP_1)
	v_and_b32_e32 v1, 0x7f800000, v0
	v_cmp_ne_u32_e64 s2, 0x7f800000, v1
	s_delay_alu instid0(VALU_DEP_1) | instskip(NEXT) | instid1(SALU_CYCLE_1)
	s_and_saveexec_b32 s22, s2
	s_xor_b32 s2, exec_lo, s22
; %bb.1165:                             ;   in Loop: Header=BB450_13 Depth=1
	v_bfe_u32 v1, v0, 16, 1
	s_delay_alu instid0(VALU_DEP_1)
	v_add3_u32 v117, v0, v1, 0x7fff
                                        ; implicit-def: $vgpr0
; %bb.1166:                             ;   in Loop: Header=BB450_13 Depth=1
	s_and_not1_saveexec_b32 s22, s2
; %bb.1167:                             ;   in Loop: Header=BB450_13 Depth=1
	v_and_b32_e32 v1, 0xffff, v0
	v_or_b32_e32 v2, 0x10000, v0
	s_delay_alu instid0(VALU_DEP_2) | instskip(NEXT) | instid1(VALU_DEP_1)
	v_cmp_eq_u32_e64 s2, 0, v1
	v_cndmask_b32_e64 v117, v2, v0, s2
; %bb.1168:                             ;   in Loop: Header=BB450_13 Depth=1
	s_or_b32 exec_lo, exec_lo, s22
	flat_load_b64 v[33:34], v[31:32] offset:3072
	s_mov_b32 s22, exec_lo
	s_waitcnt vmcnt(0) lgkmcnt(0)
	v_dual_mov_b32 v0, 0 :: v_dual_and_b32 v1, 0xff, v33
	s_delay_alu instid0(VALU_DEP_1)
	v_cmpx_ne_u16_e32 0, v1
	s_cbranch_execz .LBB450_1176
; %bb.1169:                             ;   in Loop: Header=BB450_13 Depth=1
	v_bfrev_b32_e32 v0, 1
	s_mov_b32 s23, exec_lo
	v_cmpx_ne_u16_e32 0x80, v1
	s_cbranch_execz .LBB450_1175
; %bb.1170:                             ;   in Loop: Header=BB450_13 Depth=1
	v_and_b32_e32 v1, 0x7f, v33
	v_mov_b32_e32 v0, 0x7f800001
	s_mov_b32 s24, exec_lo
	s_delay_alu instid0(VALU_DEP_2)
	v_cmpx_ne_u32_e32 0x7f, v1
	s_cbranch_execz .LBB450_1174
; %bb.1171:                             ;   in Loop: Header=BB450_13 Depth=1
	v_lshrrev_b32_e32 v0, 3, v1
	v_dual_mov_b32 v36, v34 :: v_dual_mov_b32 v35, v33
	s_mov_b32 s25, exec_lo
	v_cmpx_gt_u32_e32 8, v1
; %bb.1172:                             ;   in Loop: Header=BB450_13 Depth=1
	v_and_b32_e32 v0, 7, v33
	s_delay_alu instid0(VALU_DEP_1) | instskip(NEXT) | instid1(VALU_DEP_1)
	v_clz_i32_u32_e32 v0, v0
	v_min_u32_e32 v0, 32, v0
	s_delay_alu instid0(VALU_DEP_1) | instskip(SKIP_1) | instid1(VALU_DEP_2)
	v_subrev_nc_u32_e32 v1, 28, v0
	v_sub_nc_u32_e32 v0, 29, v0
	v_lshlrev_b64 v[35:36], v1, v[33:34]
; %bb.1173:                             ;   in Loop: Header=BB450_13 Depth=1
	s_or_b32 exec_lo, exec_lo, s25
	s_delay_alu instid0(VALU_DEP_1) | instskip(SKIP_2) | instid1(VALU_DEP_3)
	v_lshlrev_b32_e32 v1, 20, v35
	v_lshlrev_b32_e32 v2, 24, v33
	v_lshl_add_u32 v0, v0, 23, 0x3c000000
	v_and_b32_e32 v1, 0x700000, v1
	s_delay_alu instid0(VALU_DEP_3) | instskip(NEXT) | instid1(VALU_DEP_1)
	v_and_b32_e32 v2, 0x80000000, v2
	v_or3_b32 v0, v1, v2, v0
.LBB450_1174:                           ;   in Loop: Header=BB450_13 Depth=1
	s_or_b32 exec_lo, exec_lo, s24
.LBB450_1175:                           ;   in Loop: Header=BB450_13 Depth=1
	s_delay_alu instid0(SALU_CYCLE_1)
	s_or_b32 exec_lo, exec_lo, s23
.LBB450_1176:                           ;   in Loop: Header=BB450_13 Depth=1
	s_delay_alu instid0(SALU_CYCLE_1) | instskip(NEXT) | instid1(VALU_DEP_1)
	s_or_b32 exec_lo, exec_lo, s22
	v_mul_f32_e32 v0, v121, v0
                                        ; implicit-def: $vgpr118
	s_delay_alu instid0(VALU_DEP_1) | instskip(NEXT) | instid1(VALU_DEP_1)
	v_and_b32_e32 v1, 0x7f800000, v0
	v_cmp_ne_u32_e64 s2, 0x7f800000, v1
	s_delay_alu instid0(VALU_DEP_1) | instskip(NEXT) | instid1(SALU_CYCLE_1)
	s_and_saveexec_b32 s22, s2
	s_xor_b32 s2, exec_lo, s22
; %bb.1177:                             ;   in Loop: Header=BB450_13 Depth=1
	v_bfe_u32 v1, v0, 16, 1
	s_delay_alu instid0(VALU_DEP_1)
	v_add3_u32 v118, v0, v1, 0x7fff
                                        ; implicit-def: $vgpr0
; %bb.1178:                             ;   in Loop: Header=BB450_13 Depth=1
	s_and_not1_saveexec_b32 s22, s2
; %bb.1179:                             ;   in Loop: Header=BB450_13 Depth=1
	v_and_b32_e32 v1, 0xffff, v0
	v_or_b32_e32 v2, 0x10000, v0
	s_delay_alu instid0(VALU_DEP_2) | instskip(NEXT) | instid1(VALU_DEP_1)
	v_cmp_eq_u32_e64 s2, 0, v1
	v_cndmask_b32_e64 v118, v2, v0, s2
; %bb.1180:                             ;   in Loop: Header=BB450_13 Depth=1
	s_or_b32 exec_lo, exec_lo, s22
	v_lshrrev_b16 v1, 8, v33
	v_mov_b32_e32 v0, 0
	s_mov_b32 s22, exec_lo
	s_delay_alu instid0(VALU_DEP_2)
	v_cmpx_ne_u16_e32 0, v1
	s_cbranch_execz .LBB450_1188
; %bb.1181:                             ;   in Loop: Header=BB450_13 Depth=1
	v_bfrev_b32_e32 v0, 1
	s_mov_b32 s23, exec_lo
	v_cmpx_ne_u16_e32 0x80, v1
	s_cbranch_execz .LBB450_1187
; %bb.1182:                             ;   in Loop: Header=BB450_13 Depth=1
	v_and_b32_e32 v2, 0xffff, v1
	v_mov_b32_e32 v0, 0x7f800001
	s_mov_b32 s24, exec_lo
	s_delay_alu instid0(VALU_DEP_2) | instskip(NEXT) | instid1(VALU_DEP_1)
	v_and_b32_e32 v1, 0x7f, v2
	v_cmpx_ne_u32_e32 0x7f, v1
	s_cbranch_execz .LBB450_1186
; %bb.1183:                             ;   in Loop: Header=BB450_13 Depth=1
	v_and_b32_e32 v19, 7, v2
	v_lshrrev_b32_e32 v0, 3, v1
	v_mov_b32_e32 v36, v20
	s_mov_b32 s25, exec_lo
	s_delay_alu instid0(VALU_DEP_3)
	v_mov_b32_e32 v35, v19
	v_cmpx_gt_u32_e32 8, v1
; %bb.1184:                             ;   in Loop: Header=BB450_13 Depth=1
	v_clz_i32_u32_e32 v0, v19
	s_delay_alu instid0(VALU_DEP_1) | instskip(NEXT) | instid1(VALU_DEP_1)
	v_min_u32_e32 v0, 32, v0
	v_subrev_nc_u32_e32 v1, 28, v0
	v_sub_nc_u32_e32 v0, 29, v0
	s_delay_alu instid0(VALU_DEP_2) | instskip(NEXT) | instid1(VALU_DEP_1)
	v_lshlrev_b64 v[1:2], v1, v[19:20]
	v_and_b32_e32 v35, 7, v1
; %bb.1185:                             ;   in Loop: Header=BB450_13 Depth=1
	s_or_b32 exec_lo, exec_lo, s25
	v_lshlrev_b32_e32 v1, 16, v33
	s_delay_alu instid0(VALU_DEP_2) | instskip(SKIP_1) | instid1(VALU_DEP_3)
	v_lshlrev_b32_e32 v2, 20, v35
	v_lshl_add_u32 v0, v0, 23, 0x3c000000
	v_and_b32_e32 v1, 0x80000000, v1
	s_delay_alu instid0(VALU_DEP_1)
	v_or3_b32 v0, v2, v1, v0
.LBB450_1186:                           ;   in Loop: Header=BB450_13 Depth=1
	s_or_b32 exec_lo, exec_lo, s24
.LBB450_1187:                           ;   in Loop: Header=BB450_13 Depth=1
	s_delay_alu instid0(SALU_CYCLE_1)
	s_or_b32 exec_lo, exec_lo, s23
.LBB450_1188:                           ;   in Loop: Header=BB450_13 Depth=1
	s_delay_alu instid0(SALU_CYCLE_1) | instskip(NEXT) | instid1(VALU_DEP_1)
	s_or_b32 exec_lo, exec_lo, s22
	v_mul_f32_e32 v0, v121, v0
                                        ; implicit-def: $vgpr119
	s_delay_alu instid0(VALU_DEP_1) | instskip(NEXT) | instid1(VALU_DEP_1)
	v_and_b32_e32 v1, 0x7f800000, v0
	v_cmp_ne_u32_e64 s2, 0x7f800000, v1
	s_delay_alu instid0(VALU_DEP_1) | instskip(NEXT) | instid1(SALU_CYCLE_1)
	s_and_saveexec_b32 s22, s2
	s_xor_b32 s2, exec_lo, s22
; %bb.1189:                             ;   in Loop: Header=BB450_13 Depth=1
	v_bfe_u32 v1, v0, 16, 1
	s_delay_alu instid0(VALU_DEP_1)
	v_add3_u32 v119, v0, v1, 0x7fff
                                        ; implicit-def: $vgpr0
; %bb.1190:                             ;   in Loop: Header=BB450_13 Depth=1
	s_and_not1_saveexec_b32 s22, s2
; %bb.1191:                             ;   in Loop: Header=BB450_13 Depth=1
	v_and_b32_e32 v1, 0xffff, v0
	v_or_b32_e32 v2, 0x10000, v0
	s_delay_alu instid0(VALU_DEP_2) | instskip(NEXT) | instid1(VALU_DEP_1)
	v_cmp_eq_u32_e64 s2, 0, v1
	v_cndmask_b32_e64 v119, v2, v0, s2
; %bb.1192:                             ;   in Loop: Header=BB450_13 Depth=1
	s_or_b32 exec_lo, exec_lo, s22
	v_lshrrev_b32_e32 v0, 16, v33
	s_mov_b32 s22, exec_lo
	s_delay_alu instid0(VALU_DEP_1) | instskip(NEXT) | instid1(VALU_DEP_1)
	v_dual_mov_b32 v1, 0 :: v_dual_and_b32 v2, 0xff, v0
	v_cmpx_ne_u16_e32 0, v2
	s_cbranch_execz .LBB450_1200
; %bb.1193:                             ;   in Loop: Header=BB450_13 Depth=1
	v_bfrev_b32_e32 v1, 1
	s_mov_b32 s23, exec_lo
	v_cmpx_ne_u16_e32 0x80, v2
	s_cbranch_execz .LBB450_1199
; %bb.1194:                             ;   in Loop: Header=BB450_13 Depth=1
	v_bfe_u32 v2, v33, 16, 7
	v_mov_b32_e32 v1, 0x7f800001
	s_mov_b32 s24, exec_lo
	s_delay_alu instid0(VALU_DEP_2)
	v_cmpx_ne_u32_e32 0x7f, v2
	s_cbranch_execz .LBB450_1198
; %bb.1195:                             ;   in Loop: Header=BB450_13 Depth=1
	v_and_b32_e32 v19, 7, v0
	v_lshrrev_b32_e32 v1, 3, v2
	v_mov_b32_e32 v36, v20
	s_mov_b32 s25, exec_lo
	s_delay_alu instid0(VALU_DEP_3)
	v_mov_b32_e32 v35, v19
	v_cmpx_gt_u32_e32 8, v2
; %bb.1196:                             ;   in Loop: Header=BB450_13 Depth=1
	v_clz_i32_u32_e32 v1, v19
	s_delay_alu instid0(VALU_DEP_1) | instskip(NEXT) | instid1(VALU_DEP_1)
	v_min_u32_e32 v1, 32, v1
	v_subrev_nc_u32_e32 v2, 28, v1
	v_sub_nc_u32_e32 v1, 29, v1
	s_delay_alu instid0(VALU_DEP_2) | instskip(NEXT) | instid1(VALU_DEP_1)
	v_lshlrev_b64 v[2:3], v2, v[19:20]
	v_and_b32_e32 v35, 7, v2
; %bb.1197:                             ;   in Loop: Header=BB450_13 Depth=1
	s_or_b32 exec_lo, exec_lo, s25
	v_lshlrev_b32_e32 v0, 24, v0
	s_delay_alu instid0(VALU_DEP_2) | instskip(SKIP_1) | instid1(VALU_DEP_3)
	v_lshlrev_b32_e32 v2, 20, v35
	v_lshl_add_u32 v1, v1, 23, 0x3c000000
	v_and_b32_e32 v0, 0x80000000, v0
	s_delay_alu instid0(VALU_DEP_1)
	v_or3_b32 v1, v2, v0, v1
.LBB450_1198:                           ;   in Loop: Header=BB450_13 Depth=1
	s_or_b32 exec_lo, exec_lo, s24
.LBB450_1199:                           ;   in Loop: Header=BB450_13 Depth=1
	s_delay_alu instid0(SALU_CYCLE_1)
	s_or_b32 exec_lo, exec_lo, s23
.LBB450_1200:                           ;   in Loop: Header=BB450_13 Depth=1
	s_delay_alu instid0(SALU_CYCLE_1) | instskip(NEXT) | instid1(VALU_DEP_1)
	s_or_b32 exec_lo, exec_lo, s22
	v_mul_f32_e32 v0, v121, v1
                                        ; implicit-def: $vgpr128
	s_delay_alu instid0(VALU_DEP_1) | instskip(NEXT) | instid1(VALU_DEP_1)
	v_and_b32_e32 v1, 0x7f800000, v0
	v_cmp_ne_u32_e64 s2, 0x7f800000, v1
	s_delay_alu instid0(VALU_DEP_1) | instskip(NEXT) | instid1(SALU_CYCLE_1)
	s_and_saveexec_b32 s22, s2
	s_xor_b32 s2, exec_lo, s22
; %bb.1201:                             ;   in Loop: Header=BB450_13 Depth=1
	v_bfe_u32 v1, v0, 16, 1
	s_delay_alu instid0(VALU_DEP_1)
	v_add3_u32 v128, v0, v1, 0x7fff
                                        ; implicit-def: $vgpr0
; %bb.1202:                             ;   in Loop: Header=BB450_13 Depth=1
	s_and_not1_saveexec_b32 s22, s2
; %bb.1203:                             ;   in Loop: Header=BB450_13 Depth=1
	v_and_b32_e32 v1, 0xffff, v0
	v_or_b32_e32 v2, 0x10000, v0
	s_delay_alu instid0(VALU_DEP_2) | instskip(NEXT) | instid1(VALU_DEP_1)
	v_cmp_eq_u32_e64 s2, 0, v1
	v_cndmask_b32_e64 v128, v2, v0, s2
; %bb.1204:                             ;   in Loop: Header=BB450_13 Depth=1
	s_or_b32 exec_lo, exec_lo, s22
	v_mov_b32_e32 v1, 0
	s_mov_b32 s22, exec_lo
	v_cmpx_lt_u32_e32 0xffffff, v33
	s_cbranch_execz .LBB450_1212
; %bb.1205:                             ;   in Loop: Header=BB450_13 Depth=1
	v_lshrrev_b32_e32 v0, 24, v33
	v_bfrev_b32_e32 v1, 1
	s_mov_b32 s23, exec_lo
	s_delay_alu instid0(VALU_DEP_2)
	v_cmpx_ne_u32_e32 0x80, v0
	s_cbranch_execz .LBB450_1211
; %bb.1206:                             ;   in Loop: Header=BB450_13 Depth=1
	v_bfe_u32 v2, v33, 24, 7
	v_mov_b32_e32 v1, 0x7f800001
	s_mov_b32 s24, exec_lo
	s_delay_alu instid0(VALU_DEP_2)
	v_cmpx_ne_u32_e32 0x7f, v2
	s_cbranch_execz .LBB450_1210
; %bb.1207:                             ;   in Loop: Header=BB450_13 Depth=1
	v_and_b32_e32 v19, 7, v0
	v_lshrrev_b32_e32 v1, 3, v2
	v_mov_b32_e32 v36, v20
	s_mov_b32 s25, exec_lo
	s_delay_alu instid0(VALU_DEP_3)
	v_mov_b32_e32 v35, v19
	v_cmpx_gt_u32_e32 8, v2
; %bb.1208:                             ;   in Loop: Header=BB450_13 Depth=1
	v_clz_i32_u32_e32 v1, v19
	s_delay_alu instid0(VALU_DEP_1) | instskip(NEXT) | instid1(VALU_DEP_1)
	v_min_u32_e32 v1, 32, v1
	v_subrev_nc_u32_e32 v2, 28, v1
	v_sub_nc_u32_e32 v1, 29, v1
	s_delay_alu instid0(VALU_DEP_2) | instskip(NEXT) | instid1(VALU_DEP_1)
	v_lshlrev_b64 v[2:3], v2, v[19:20]
	v_and_b32_e32 v35, 7, v2
; %bb.1209:                             ;   in Loop: Header=BB450_13 Depth=1
	s_or_b32 exec_lo, exec_lo, s25
	v_lshlrev_b32_e32 v0, 24, v0
	s_delay_alu instid0(VALU_DEP_2) | instskip(SKIP_1) | instid1(VALU_DEP_3)
	v_lshlrev_b32_e32 v2, 20, v35
	v_lshl_add_u32 v1, v1, 23, 0x3c000000
	v_and_b32_e32 v0, 0x80000000, v0
	s_delay_alu instid0(VALU_DEP_1)
	v_or3_b32 v1, v2, v0, v1
.LBB450_1210:                           ;   in Loop: Header=BB450_13 Depth=1
	s_or_b32 exec_lo, exec_lo, s24
.LBB450_1211:                           ;   in Loop: Header=BB450_13 Depth=1
	s_delay_alu instid0(SALU_CYCLE_1)
	s_or_b32 exec_lo, exec_lo, s23
.LBB450_1212:                           ;   in Loop: Header=BB450_13 Depth=1
	s_delay_alu instid0(SALU_CYCLE_1) | instskip(NEXT) | instid1(VALU_DEP_1)
	s_or_b32 exec_lo, exec_lo, s22
	v_mul_f32_e32 v0, v121, v1
                                        ; implicit-def: $vgpr129
	s_delay_alu instid0(VALU_DEP_1) | instskip(NEXT) | instid1(VALU_DEP_1)
	v_and_b32_e32 v1, 0x7f800000, v0
	v_cmp_ne_u32_e64 s2, 0x7f800000, v1
	s_delay_alu instid0(VALU_DEP_1) | instskip(NEXT) | instid1(SALU_CYCLE_1)
	s_and_saveexec_b32 s22, s2
	s_xor_b32 s2, exec_lo, s22
; %bb.1213:                             ;   in Loop: Header=BB450_13 Depth=1
	v_bfe_u32 v1, v0, 16, 1
	s_delay_alu instid0(VALU_DEP_1)
	v_add3_u32 v129, v0, v1, 0x7fff
                                        ; implicit-def: $vgpr0
; %bb.1214:                             ;   in Loop: Header=BB450_13 Depth=1
	s_and_not1_saveexec_b32 s22, s2
; %bb.1215:                             ;   in Loop: Header=BB450_13 Depth=1
	v_and_b32_e32 v1, 0xffff, v0
	v_or_b32_e32 v2, 0x10000, v0
	s_delay_alu instid0(VALU_DEP_2) | instskip(NEXT) | instid1(VALU_DEP_1)
	v_cmp_eq_u32_e64 s2, 0, v1
	v_cndmask_b32_e64 v129, v2, v0, s2
; %bb.1216:                             ;   in Loop: Header=BB450_13 Depth=1
	s_or_b32 exec_lo, exec_lo, s22
	v_dual_mov_b32 v0, 0 :: v_dual_and_b32 v1, 0xff, v34
	v_mov_b32_e32 v19, v34
	s_mov_b32 s22, exec_lo
	s_delay_alu instid0(VALU_DEP_2)
	v_cmpx_ne_u16_e32 0, v1
	s_cbranch_execz .LBB450_1224
; %bb.1217:                             ;   in Loop: Header=BB450_13 Depth=1
	v_bfrev_b32_e32 v0, 1
	s_mov_b32 s23, exec_lo
	v_cmpx_ne_u16_e32 0x80, v1
	s_cbranch_execz .LBB450_1223
; %bb.1218:                             ;   in Loop: Header=BB450_13 Depth=1
	v_and_b32_e32 v1, 0x7f, v34
	v_mov_b32_e32 v0, 0x7f800001
	s_mov_b32 s24, exec_lo
	s_delay_alu instid0(VALU_DEP_2)
	v_cmpx_ne_u32_e32 0x7f, v1
	s_cbranch_execz .LBB450_1222
; %bb.1219:                             ;   in Loop: Header=BB450_13 Depth=1
	v_lshrrev_b32_e32 v0, 3, v1
	v_dual_mov_b32 v36, v20 :: v_dual_mov_b32 v35, v19
	s_mov_b32 s25, exec_lo
	v_cmpx_gt_u32_e32 8, v1
; %bb.1220:                             ;   in Loop: Header=BB450_13 Depth=1
	v_and_b32_e32 v0, 7, v34
	s_delay_alu instid0(VALU_DEP_1) | instskip(NEXT) | instid1(VALU_DEP_1)
	v_clz_i32_u32_e32 v0, v0
	v_min_u32_e32 v0, 32, v0
	s_delay_alu instid0(VALU_DEP_1) | instskip(SKIP_1) | instid1(VALU_DEP_2)
	v_subrev_nc_u32_e32 v1, 28, v0
	v_sub_nc_u32_e32 v0, 29, v0
	v_lshlrev_b64 v[35:36], v1, v[19:20]
; %bb.1221:                             ;   in Loop: Header=BB450_13 Depth=1
	s_or_b32 exec_lo, exec_lo, s25
	s_delay_alu instid0(VALU_DEP_1) | instskip(SKIP_2) | instid1(VALU_DEP_3)
	v_lshlrev_b32_e32 v1, 20, v35
	v_lshlrev_b32_e32 v2, 24, v19
	v_lshl_add_u32 v0, v0, 23, 0x3c000000
	v_and_b32_e32 v1, 0x700000, v1
	s_delay_alu instid0(VALU_DEP_3) | instskip(NEXT) | instid1(VALU_DEP_1)
	v_and_b32_e32 v2, 0x80000000, v2
	v_or3_b32 v0, v1, v2, v0
.LBB450_1222:                           ;   in Loop: Header=BB450_13 Depth=1
	s_or_b32 exec_lo, exec_lo, s24
.LBB450_1223:                           ;   in Loop: Header=BB450_13 Depth=1
	s_delay_alu instid0(SALU_CYCLE_1)
	s_or_b32 exec_lo, exec_lo, s23
.LBB450_1224:                           ;   in Loop: Header=BB450_13 Depth=1
	s_delay_alu instid0(SALU_CYCLE_1) | instskip(NEXT) | instid1(VALU_DEP_1)
	s_or_b32 exec_lo, exec_lo, s22
	v_mul_f32_e32 v0, v121, v0
                                        ; implicit-def: $vgpr130
	s_delay_alu instid0(VALU_DEP_1) | instskip(NEXT) | instid1(VALU_DEP_1)
	v_and_b32_e32 v1, 0x7f800000, v0
	v_cmp_ne_u32_e64 s2, 0x7f800000, v1
	s_delay_alu instid0(VALU_DEP_1) | instskip(NEXT) | instid1(SALU_CYCLE_1)
	s_and_saveexec_b32 s22, s2
	s_xor_b32 s2, exec_lo, s22
; %bb.1225:                             ;   in Loop: Header=BB450_13 Depth=1
	v_bfe_u32 v1, v0, 16, 1
	s_delay_alu instid0(VALU_DEP_1)
	v_add3_u32 v130, v0, v1, 0x7fff
                                        ; implicit-def: $vgpr0
; %bb.1226:                             ;   in Loop: Header=BB450_13 Depth=1
	s_and_not1_saveexec_b32 s22, s2
; %bb.1227:                             ;   in Loop: Header=BB450_13 Depth=1
	v_and_b32_e32 v1, 0xffff, v0
	v_or_b32_e32 v2, 0x10000, v0
	s_delay_alu instid0(VALU_DEP_2) | instskip(NEXT) | instid1(VALU_DEP_1)
	v_cmp_eq_u32_e64 s2, 0, v1
	v_cndmask_b32_e64 v130, v2, v0, s2
; %bb.1228:                             ;   in Loop: Header=BB450_13 Depth=1
	s_or_b32 exec_lo, exec_lo, s22
	v_lshrrev_b16 v1, 8, v19
	v_mov_b32_e32 v0, 0
	s_mov_b32 s22, exec_lo
	s_delay_alu instid0(VALU_DEP_2)
	v_cmpx_ne_u16_e32 0, v1
	s_cbranch_execz .LBB450_1236
; %bb.1229:                             ;   in Loop: Header=BB450_13 Depth=1
	v_bfrev_b32_e32 v0, 1
	s_mov_b32 s23, exec_lo
	v_cmpx_ne_u16_e32 0x80, v1
	s_cbranch_execz .LBB450_1235
; %bb.1230:                             ;   in Loop: Header=BB450_13 Depth=1
	v_and_b32_e32 v2, 0xffff, v1
	v_mov_b32_e32 v0, 0x7f800001
	s_mov_b32 s24, exec_lo
	s_delay_alu instid0(VALU_DEP_2) | instskip(NEXT) | instid1(VALU_DEP_1)
	v_and_b32_e32 v1, 0x7f, v2
	v_cmpx_ne_u32_e32 0x7f, v1
	s_cbranch_execz .LBB450_1234
; %bb.1231:                             ;   in Loop: Header=BB450_13 Depth=1
	v_dual_mov_b32 v36, v20 :: v_dual_and_b32 v35, 7, v2
	v_lshrrev_b32_e32 v0, 3, v1
	s_mov_b32 s25, exec_lo
	v_cmpx_gt_u32_e32 8, v1
; %bb.1232:                             ;   in Loop: Header=BB450_13 Depth=1
	s_delay_alu instid0(VALU_DEP_3) | instskip(NEXT) | instid1(VALU_DEP_1)
	v_clz_i32_u32_e32 v0, v35
	v_min_u32_e32 v0, 32, v0
	s_delay_alu instid0(VALU_DEP_1) | instskip(SKIP_1) | instid1(VALU_DEP_2)
	v_subrev_nc_u32_e32 v1, 28, v0
	v_sub_nc_u32_e32 v0, 29, v0
	v_lshlrev_b64 v[1:2], v1, v[35:36]
	s_delay_alu instid0(VALU_DEP_1)
	v_and_b32_e32 v35, 7, v1
; %bb.1233:                             ;   in Loop: Header=BB450_13 Depth=1
	s_or_b32 exec_lo, exec_lo, s25
	v_lshlrev_b32_e32 v1, 16, v19
	s_delay_alu instid0(VALU_DEP_2) | instskip(SKIP_1) | instid1(VALU_DEP_3)
	v_lshlrev_b32_e32 v2, 20, v35
	v_lshl_add_u32 v0, v0, 23, 0x3c000000
	v_and_b32_e32 v1, 0x80000000, v1
	s_delay_alu instid0(VALU_DEP_1)
	v_or3_b32 v0, v2, v1, v0
.LBB450_1234:                           ;   in Loop: Header=BB450_13 Depth=1
	s_or_b32 exec_lo, exec_lo, s24
.LBB450_1235:                           ;   in Loop: Header=BB450_13 Depth=1
	s_delay_alu instid0(SALU_CYCLE_1)
	s_or_b32 exec_lo, exec_lo, s23
.LBB450_1236:                           ;   in Loop: Header=BB450_13 Depth=1
	s_delay_alu instid0(SALU_CYCLE_1) | instskip(NEXT) | instid1(VALU_DEP_1)
	s_or_b32 exec_lo, exec_lo, s22
	v_mul_f32_e32 v0, v121, v0
                                        ; implicit-def: $vgpr131
	s_delay_alu instid0(VALU_DEP_1) | instskip(NEXT) | instid1(VALU_DEP_1)
	v_and_b32_e32 v1, 0x7f800000, v0
	v_cmp_ne_u32_e64 s2, 0x7f800000, v1
	s_delay_alu instid0(VALU_DEP_1) | instskip(NEXT) | instid1(SALU_CYCLE_1)
	s_and_saveexec_b32 s22, s2
	s_xor_b32 s2, exec_lo, s22
; %bb.1237:                             ;   in Loop: Header=BB450_13 Depth=1
	v_bfe_u32 v1, v0, 16, 1
	s_delay_alu instid0(VALU_DEP_1)
	v_add3_u32 v131, v0, v1, 0x7fff
                                        ; implicit-def: $vgpr0
; %bb.1238:                             ;   in Loop: Header=BB450_13 Depth=1
	s_and_not1_saveexec_b32 s22, s2
; %bb.1239:                             ;   in Loop: Header=BB450_13 Depth=1
	v_and_b32_e32 v1, 0xffff, v0
	v_or_b32_e32 v2, 0x10000, v0
	s_delay_alu instid0(VALU_DEP_2) | instskip(NEXT) | instid1(VALU_DEP_1)
	v_cmp_eq_u32_e64 s2, 0, v1
	v_cndmask_b32_e64 v131, v2, v0, s2
; %bb.1240:                             ;   in Loop: Header=BB450_13 Depth=1
	s_or_b32 exec_lo, exec_lo, s22
	v_lshrrev_b32_e32 v0, 16, v34
	s_mov_b32 s22, exec_lo
	s_delay_alu instid0(VALU_DEP_1) | instskip(NEXT) | instid1(VALU_DEP_1)
	v_dual_mov_b32 v1, 0 :: v_dual_and_b32 v2, 0xff, v0
	v_cmpx_ne_u16_e32 0, v2
	s_cbranch_execz .LBB450_1248
; %bb.1241:                             ;   in Loop: Header=BB450_13 Depth=1
	v_bfrev_b32_e32 v1, 1
	s_mov_b32 s23, exec_lo
	v_cmpx_ne_u16_e32 0x80, v2
	s_cbranch_execz .LBB450_1247
; %bb.1242:                             ;   in Loop: Header=BB450_13 Depth=1
	v_bfe_u32 v2, v34, 16, 7
	v_mov_b32_e32 v1, 0x7f800001
	s_mov_b32 s24, exec_lo
	s_delay_alu instid0(VALU_DEP_2)
	v_cmpx_ne_u32_e32 0x7f, v2
	s_cbranch_execz .LBB450_1246
; %bb.1243:                             ;   in Loop: Header=BB450_13 Depth=1
	v_and_b32_e32 v19, 7, v0
	v_lshrrev_b32_e32 v1, 3, v2
	v_mov_b32_e32 v36, v20
	s_mov_b32 s25, exec_lo
	s_delay_alu instid0(VALU_DEP_3)
	v_mov_b32_e32 v35, v19
	v_cmpx_gt_u32_e32 8, v2
; %bb.1244:                             ;   in Loop: Header=BB450_13 Depth=1
	v_clz_i32_u32_e32 v1, v19
	s_delay_alu instid0(VALU_DEP_1) | instskip(NEXT) | instid1(VALU_DEP_1)
	v_min_u32_e32 v1, 32, v1
	v_subrev_nc_u32_e32 v2, 28, v1
	v_sub_nc_u32_e32 v1, 29, v1
	s_delay_alu instid0(VALU_DEP_2) | instskip(NEXT) | instid1(VALU_DEP_1)
	v_lshlrev_b64 v[2:3], v2, v[19:20]
	v_and_b32_e32 v35, 7, v2
; %bb.1245:                             ;   in Loop: Header=BB450_13 Depth=1
	s_or_b32 exec_lo, exec_lo, s25
	v_lshlrev_b32_e32 v0, 24, v0
	s_delay_alu instid0(VALU_DEP_2) | instskip(SKIP_1) | instid1(VALU_DEP_3)
	v_lshlrev_b32_e32 v2, 20, v35
	v_lshl_add_u32 v1, v1, 23, 0x3c000000
	v_and_b32_e32 v0, 0x80000000, v0
	s_delay_alu instid0(VALU_DEP_1)
	v_or3_b32 v1, v2, v0, v1
.LBB450_1246:                           ;   in Loop: Header=BB450_13 Depth=1
	s_or_b32 exec_lo, exec_lo, s24
.LBB450_1247:                           ;   in Loop: Header=BB450_13 Depth=1
	s_delay_alu instid0(SALU_CYCLE_1)
	s_or_b32 exec_lo, exec_lo, s23
.LBB450_1248:                           ;   in Loop: Header=BB450_13 Depth=1
	s_delay_alu instid0(SALU_CYCLE_1) | instskip(NEXT) | instid1(VALU_DEP_1)
	s_or_b32 exec_lo, exec_lo, s22
	v_mul_f32_e32 v0, v121, v1
                                        ; implicit-def: $vgpr132
	s_delay_alu instid0(VALU_DEP_1) | instskip(NEXT) | instid1(VALU_DEP_1)
	v_and_b32_e32 v1, 0x7f800000, v0
	v_cmp_ne_u32_e64 s2, 0x7f800000, v1
	s_delay_alu instid0(VALU_DEP_1) | instskip(NEXT) | instid1(SALU_CYCLE_1)
	s_and_saveexec_b32 s22, s2
	s_xor_b32 s2, exec_lo, s22
; %bb.1249:                             ;   in Loop: Header=BB450_13 Depth=1
	v_bfe_u32 v1, v0, 16, 1
	s_delay_alu instid0(VALU_DEP_1)
	v_add3_u32 v132, v0, v1, 0x7fff
                                        ; implicit-def: $vgpr0
; %bb.1250:                             ;   in Loop: Header=BB450_13 Depth=1
	s_and_not1_saveexec_b32 s22, s2
; %bb.1251:                             ;   in Loop: Header=BB450_13 Depth=1
	v_and_b32_e32 v1, 0xffff, v0
	v_or_b32_e32 v2, 0x10000, v0
	s_delay_alu instid0(VALU_DEP_2) | instskip(NEXT) | instid1(VALU_DEP_1)
	v_cmp_eq_u32_e64 s2, 0, v1
	v_cndmask_b32_e64 v132, v2, v0, s2
; %bb.1252:                             ;   in Loop: Header=BB450_13 Depth=1
	s_or_b32 exec_lo, exec_lo, s22
	v_mov_b32_e32 v1, 0
	s_mov_b32 s22, exec_lo
	v_cmpx_lt_u64_e64 s[8:9], v[33:34]
	s_cbranch_execz .LBB450_1260
; %bb.1253:                             ;   in Loop: Header=BB450_13 Depth=1
	v_lshrrev_b32_e32 v0, 24, v34
	v_bfrev_b32_e32 v1, 1
	s_mov_b32 s23, exec_lo
	s_delay_alu instid0(VALU_DEP_2)
	v_cmpx_ne_u32_e32 0x80, v0
	s_cbranch_execz .LBB450_1259
; %bb.1254:                             ;   in Loop: Header=BB450_13 Depth=1
	v_bfe_u32 v2, v34, 24, 7
	v_mov_b32_e32 v1, 0x7f800001
	s_mov_b32 s24, exec_lo
	s_delay_alu instid0(VALU_DEP_2)
	v_cmpx_ne_u32_e32 0x7f, v2
	s_cbranch_execz .LBB450_1258
; %bb.1255:                             ;   in Loop: Header=BB450_13 Depth=1
	v_and_b32_e32 v19, 7, v0
	v_lshrrev_b32_e32 v1, 3, v2
	v_mov_b32_e32 v34, v20
	s_mov_b32 s25, exec_lo
	s_delay_alu instid0(VALU_DEP_3)
	v_mov_b32_e32 v33, v19
	v_cmpx_gt_u32_e32 8, v2
; %bb.1256:                             ;   in Loop: Header=BB450_13 Depth=1
	v_clz_i32_u32_e32 v1, v19
	s_delay_alu instid0(VALU_DEP_1) | instskip(NEXT) | instid1(VALU_DEP_1)
	v_min_u32_e32 v1, 32, v1
	v_subrev_nc_u32_e32 v2, 28, v1
	v_sub_nc_u32_e32 v1, 29, v1
	s_delay_alu instid0(VALU_DEP_2) | instskip(NEXT) | instid1(VALU_DEP_1)
	v_lshlrev_b64 v[2:3], v2, v[19:20]
	v_and_b32_e32 v33, 7, v2
; %bb.1257:                             ;   in Loop: Header=BB450_13 Depth=1
	s_or_b32 exec_lo, exec_lo, s25
	v_lshlrev_b32_e32 v0, 24, v0
	s_delay_alu instid0(VALU_DEP_2) | instskip(SKIP_1) | instid1(VALU_DEP_3)
	v_lshlrev_b32_e32 v2, 20, v33
	v_lshl_add_u32 v1, v1, 23, 0x3c000000
	v_and_b32_e32 v0, 0x80000000, v0
	s_delay_alu instid0(VALU_DEP_1)
	v_or3_b32 v1, v2, v0, v1
.LBB450_1258:                           ;   in Loop: Header=BB450_13 Depth=1
	s_or_b32 exec_lo, exec_lo, s24
.LBB450_1259:                           ;   in Loop: Header=BB450_13 Depth=1
	s_delay_alu instid0(SALU_CYCLE_1)
	s_or_b32 exec_lo, exec_lo, s23
.LBB450_1260:                           ;   in Loop: Header=BB450_13 Depth=1
	s_delay_alu instid0(SALU_CYCLE_1) | instskip(NEXT) | instid1(VALU_DEP_1)
	s_or_b32 exec_lo, exec_lo, s22
	v_mul_f32_e32 v0, v121, v1
                                        ; implicit-def: $vgpr133
	s_delay_alu instid0(VALU_DEP_1) | instskip(NEXT) | instid1(VALU_DEP_1)
	v_and_b32_e32 v1, 0x7f800000, v0
	v_cmp_ne_u32_e64 s2, 0x7f800000, v1
	s_delay_alu instid0(VALU_DEP_1) | instskip(NEXT) | instid1(SALU_CYCLE_1)
	s_and_saveexec_b32 s22, s2
	s_xor_b32 s2, exec_lo, s22
; %bb.1261:                             ;   in Loop: Header=BB450_13 Depth=1
	v_bfe_u32 v1, v0, 16, 1
	s_delay_alu instid0(VALU_DEP_1)
	v_add3_u32 v133, v0, v1, 0x7fff
                                        ; implicit-def: $vgpr0
; %bb.1262:                             ;   in Loop: Header=BB450_13 Depth=1
	s_and_not1_saveexec_b32 s22, s2
; %bb.1263:                             ;   in Loop: Header=BB450_13 Depth=1
	v_and_b32_e32 v1, 0xffff, v0
	v_or_b32_e32 v2, 0x10000, v0
	s_delay_alu instid0(VALU_DEP_2) | instskip(NEXT) | instid1(VALU_DEP_1)
	v_cmp_eq_u32_e64 s2, 0, v1
	v_cndmask_b32_e64 v133, v2, v0, s2
; %bb.1264:                             ;   in Loop: Header=BB450_13 Depth=1
	s_or_b32 exec_lo, exec_lo, s22
	flat_load_b64 v[33:34], v[31:32] offset:3080
	s_mov_b32 s22, exec_lo
	s_waitcnt vmcnt(0) lgkmcnt(0)
	v_dual_mov_b32 v0, 0 :: v_dual_and_b32 v1, 0xff, v33
	s_delay_alu instid0(VALU_DEP_1)
	v_cmpx_ne_u16_e32 0, v1
	s_cbranch_execz .LBB450_1272
; %bb.1265:                             ;   in Loop: Header=BB450_13 Depth=1
	v_bfrev_b32_e32 v0, 1
	s_mov_b32 s23, exec_lo
	v_cmpx_ne_u16_e32 0x80, v1
	s_cbranch_execz .LBB450_1271
; %bb.1266:                             ;   in Loop: Header=BB450_13 Depth=1
	v_and_b32_e32 v1, 0x7f, v33
	v_mov_b32_e32 v0, 0x7f800001
	s_mov_b32 s24, exec_lo
	s_delay_alu instid0(VALU_DEP_2)
	v_cmpx_ne_u32_e32 0x7f, v1
	s_cbranch_execz .LBB450_1270
; %bb.1267:                             ;   in Loop: Header=BB450_13 Depth=1
	v_lshrrev_b32_e32 v0, 3, v1
	v_dual_mov_b32 v36, v34 :: v_dual_mov_b32 v35, v33
	s_mov_b32 s25, exec_lo
	v_cmpx_gt_u32_e32 8, v1
; %bb.1268:                             ;   in Loop: Header=BB450_13 Depth=1
	v_and_b32_e32 v0, 7, v33
	s_delay_alu instid0(VALU_DEP_1) | instskip(NEXT) | instid1(VALU_DEP_1)
	v_clz_i32_u32_e32 v0, v0
	v_min_u32_e32 v0, 32, v0
	s_delay_alu instid0(VALU_DEP_1) | instskip(SKIP_1) | instid1(VALU_DEP_2)
	v_subrev_nc_u32_e32 v1, 28, v0
	v_sub_nc_u32_e32 v0, 29, v0
	v_lshlrev_b64 v[35:36], v1, v[33:34]
; %bb.1269:                             ;   in Loop: Header=BB450_13 Depth=1
	s_or_b32 exec_lo, exec_lo, s25
	s_delay_alu instid0(VALU_DEP_1) | instskip(SKIP_2) | instid1(VALU_DEP_3)
	v_lshlrev_b32_e32 v1, 20, v35
	v_lshlrev_b32_e32 v2, 24, v33
	v_lshl_add_u32 v0, v0, 23, 0x3c000000
	v_and_b32_e32 v1, 0x700000, v1
	s_delay_alu instid0(VALU_DEP_3) | instskip(NEXT) | instid1(VALU_DEP_1)
	v_and_b32_e32 v2, 0x80000000, v2
	v_or3_b32 v0, v1, v2, v0
.LBB450_1270:                           ;   in Loop: Header=BB450_13 Depth=1
	s_or_b32 exec_lo, exec_lo, s24
.LBB450_1271:                           ;   in Loop: Header=BB450_13 Depth=1
	s_delay_alu instid0(SALU_CYCLE_1)
	s_or_b32 exec_lo, exec_lo, s23
.LBB450_1272:                           ;   in Loop: Header=BB450_13 Depth=1
	s_delay_alu instid0(SALU_CYCLE_1) | instskip(NEXT) | instid1(VALU_DEP_1)
	s_or_b32 exec_lo, exec_lo, s22
	v_mul_f32_e32 v0, v121, v0
                                        ; implicit-def: $vgpr134
	s_delay_alu instid0(VALU_DEP_1) | instskip(NEXT) | instid1(VALU_DEP_1)
	v_and_b32_e32 v1, 0x7f800000, v0
	v_cmp_ne_u32_e64 s2, 0x7f800000, v1
	s_delay_alu instid0(VALU_DEP_1) | instskip(NEXT) | instid1(SALU_CYCLE_1)
	s_and_saveexec_b32 s22, s2
	s_xor_b32 s2, exec_lo, s22
; %bb.1273:                             ;   in Loop: Header=BB450_13 Depth=1
	v_bfe_u32 v1, v0, 16, 1
	s_delay_alu instid0(VALU_DEP_1)
	v_add3_u32 v134, v0, v1, 0x7fff
                                        ; implicit-def: $vgpr0
; %bb.1274:                             ;   in Loop: Header=BB450_13 Depth=1
	s_and_not1_saveexec_b32 s22, s2
; %bb.1275:                             ;   in Loop: Header=BB450_13 Depth=1
	v_and_b32_e32 v1, 0xffff, v0
	v_or_b32_e32 v2, 0x10000, v0
	s_delay_alu instid0(VALU_DEP_2) | instskip(NEXT) | instid1(VALU_DEP_1)
	v_cmp_eq_u32_e64 s2, 0, v1
	v_cndmask_b32_e64 v134, v2, v0, s2
; %bb.1276:                             ;   in Loop: Header=BB450_13 Depth=1
	s_or_b32 exec_lo, exec_lo, s22
	v_lshrrev_b16 v1, 8, v33
	v_mov_b32_e32 v0, 0
	s_mov_b32 s22, exec_lo
	s_delay_alu instid0(VALU_DEP_2)
	v_cmpx_ne_u16_e32 0, v1
	s_cbranch_execz .LBB450_1284
; %bb.1277:                             ;   in Loop: Header=BB450_13 Depth=1
	v_bfrev_b32_e32 v0, 1
	s_mov_b32 s23, exec_lo
	v_cmpx_ne_u16_e32 0x80, v1
	s_cbranch_execz .LBB450_1283
; %bb.1278:                             ;   in Loop: Header=BB450_13 Depth=1
	v_and_b32_e32 v2, 0xffff, v1
	v_mov_b32_e32 v0, 0x7f800001
	s_mov_b32 s24, exec_lo
	s_delay_alu instid0(VALU_DEP_2) | instskip(NEXT) | instid1(VALU_DEP_1)
	v_and_b32_e32 v1, 0x7f, v2
	v_cmpx_ne_u32_e32 0x7f, v1
	s_cbranch_execz .LBB450_1282
; %bb.1279:                             ;   in Loop: Header=BB450_13 Depth=1
	v_and_b32_e32 v19, 7, v2
	v_lshrrev_b32_e32 v0, 3, v1
	v_mov_b32_e32 v36, v20
	s_mov_b32 s25, exec_lo
	s_delay_alu instid0(VALU_DEP_3)
	v_mov_b32_e32 v35, v19
	v_cmpx_gt_u32_e32 8, v1
; %bb.1280:                             ;   in Loop: Header=BB450_13 Depth=1
	v_clz_i32_u32_e32 v0, v19
	s_delay_alu instid0(VALU_DEP_1) | instskip(NEXT) | instid1(VALU_DEP_1)
	v_min_u32_e32 v0, 32, v0
	v_subrev_nc_u32_e32 v1, 28, v0
	v_sub_nc_u32_e32 v0, 29, v0
	s_delay_alu instid0(VALU_DEP_2) | instskip(NEXT) | instid1(VALU_DEP_1)
	v_lshlrev_b64 v[1:2], v1, v[19:20]
	v_and_b32_e32 v35, 7, v1
; %bb.1281:                             ;   in Loop: Header=BB450_13 Depth=1
	s_or_b32 exec_lo, exec_lo, s25
	v_lshlrev_b32_e32 v1, 16, v33
	s_delay_alu instid0(VALU_DEP_2) | instskip(SKIP_1) | instid1(VALU_DEP_3)
	v_lshlrev_b32_e32 v2, 20, v35
	v_lshl_add_u32 v0, v0, 23, 0x3c000000
	v_and_b32_e32 v1, 0x80000000, v1
	s_delay_alu instid0(VALU_DEP_1)
	v_or3_b32 v0, v2, v1, v0
.LBB450_1282:                           ;   in Loop: Header=BB450_13 Depth=1
	s_or_b32 exec_lo, exec_lo, s24
.LBB450_1283:                           ;   in Loop: Header=BB450_13 Depth=1
	s_delay_alu instid0(SALU_CYCLE_1)
	s_or_b32 exec_lo, exec_lo, s23
.LBB450_1284:                           ;   in Loop: Header=BB450_13 Depth=1
	s_delay_alu instid0(SALU_CYCLE_1) | instskip(NEXT) | instid1(VALU_DEP_1)
	s_or_b32 exec_lo, exec_lo, s22
	v_mul_f32_e32 v0, v121, v0
                                        ; implicit-def: $vgpr135
	s_delay_alu instid0(VALU_DEP_1) | instskip(NEXT) | instid1(VALU_DEP_1)
	v_and_b32_e32 v1, 0x7f800000, v0
	v_cmp_ne_u32_e64 s2, 0x7f800000, v1
	s_delay_alu instid0(VALU_DEP_1) | instskip(NEXT) | instid1(SALU_CYCLE_1)
	s_and_saveexec_b32 s22, s2
	s_xor_b32 s2, exec_lo, s22
; %bb.1285:                             ;   in Loop: Header=BB450_13 Depth=1
	v_bfe_u32 v1, v0, 16, 1
	s_delay_alu instid0(VALU_DEP_1)
	v_add3_u32 v135, v0, v1, 0x7fff
                                        ; implicit-def: $vgpr0
; %bb.1286:                             ;   in Loop: Header=BB450_13 Depth=1
	s_and_not1_saveexec_b32 s22, s2
; %bb.1287:                             ;   in Loop: Header=BB450_13 Depth=1
	v_and_b32_e32 v1, 0xffff, v0
	v_or_b32_e32 v2, 0x10000, v0
	s_delay_alu instid0(VALU_DEP_2) | instskip(NEXT) | instid1(VALU_DEP_1)
	v_cmp_eq_u32_e64 s2, 0, v1
	v_cndmask_b32_e64 v135, v2, v0, s2
; %bb.1288:                             ;   in Loop: Header=BB450_13 Depth=1
	s_or_b32 exec_lo, exec_lo, s22
	v_lshrrev_b32_e32 v0, 16, v33
	s_mov_b32 s22, exec_lo
	s_delay_alu instid0(VALU_DEP_1) | instskip(NEXT) | instid1(VALU_DEP_1)
	v_dual_mov_b32 v1, 0 :: v_dual_and_b32 v2, 0xff, v0
	v_cmpx_ne_u16_e32 0, v2
	s_cbranch_execz .LBB450_1296
; %bb.1289:                             ;   in Loop: Header=BB450_13 Depth=1
	v_bfrev_b32_e32 v1, 1
	s_mov_b32 s23, exec_lo
	v_cmpx_ne_u16_e32 0x80, v2
	s_cbranch_execz .LBB450_1295
; %bb.1290:                             ;   in Loop: Header=BB450_13 Depth=1
	v_bfe_u32 v2, v33, 16, 7
	v_mov_b32_e32 v1, 0x7f800001
	s_mov_b32 s24, exec_lo
	s_delay_alu instid0(VALU_DEP_2)
	v_cmpx_ne_u32_e32 0x7f, v2
	s_cbranch_execz .LBB450_1294
; %bb.1291:                             ;   in Loop: Header=BB450_13 Depth=1
	v_and_b32_e32 v19, 7, v0
	v_lshrrev_b32_e32 v1, 3, v2
	v_mov_b32_e32 v36, v20
	s_mov_b32 s25, exec_lo
	s_delay_alu instid0(VALU_DEP_3)
	v_mov_b32_e32 v35, v19
	v_cmpx_gt_u32_e32 8, v2
; %bb.1292:                             ;   in Loop: Header=BB450_13 Depth=1
	v_clz_i32_u32_e32 v1, v19
	s_delay_alu instid0(VALU_DEP_1) | instskip(NEXT) | instid1(VALU_DEP_1)
	v_min_u32_e32 v1, 32, v1
	v_subrev_nc_u32_e32 v2, 28, v1
	v_sub_nc_u32_e32 v1, 29, v1
	s_delay_alu instid0(VALU_DEP_2) | instskip(NEXT) | instid1(VALU_DEP_1)
	v_lshlrev_b64 v[2:3], v2, v[19:20]
	v_and_b32_e32 v35, 7, v2
; %bb.1293:                             ;   in Loop: Header=BB450_13 Depth=1
	s_or_b32 exec_lo, exec_lo, s25
	v_lshlrev_b32_e32 v0, 24, v0
	s_delay_alu instid0(VALU_DEP_2) | instskip(SKIP_1) | instid1(VALU_DEP_3)
	v_lshlrev_b32_e32 v2, 20, v35
	v_lshl_add_u32 v1, v1, 23, 0x3c000000
	v_and_b32_e32 v0, 0x80000000, v0
	s_delay_alu instid0(VALU_DEP_1)
	v_or3_b32 v1, v2, v0, v1
.LBB450_1294:                           ;   in Loop: Header=BB450_13 Depth=1
	s_or_b32 exec_lo, exec_lo, s24
.LBB450_1295:                           ;   in Loop: Header=BB450_13 Depth=1
	s_delay_alu instid0(SALU_CYCLE_1)
	s_or_b32 exec_lo, exec_lo, s23
.LBB450_1296:                           ;   in Loop: Header=BB450_13 Depth=1
	s_delay_alu instid0(SALU_CYCLE_1) | instskip(NEXT) | instid1(VALU_DEP_1)
	s_or_b32 exec_lo, exec_lo, s22
	v_mul_f32_e32 v0, v121, v1
                                        ; implicit-def: $vgpr144
	s_delay_alu instid0(VALU_DEP_1) | instskip(NEXT) | instid1(VALU_DEP_1)
	v_and_b32_e32 v1, 0x7f800000, v0
	v_cmp_ne_u32_e64 s2, 0x7f800000, v1
	s_delay_alu instid0(VALU_DEP_1) | instskip(NEXT) | instid1(SALU_CYCLE_1)
	s_and_saveexec_b32 s22, s2
	s_xor_b32 s2, exec_lo, s22
; %bb.1297:                             ;   in Loop: Header=BB450_13 Depth=1
	v_bfe_u32 v1, v0, 16, 1
	s_delay_alu instid0(VALU_DEP_1)
	v_add3_u32 v144, v0, v1, 0x7fff
                                        ; implicit-def: $vgpr0
; %bb.1298:                             ;   in Loop: Header=BB450_13 Depth=1
	s_and_not1_saveexec_b32 s22, s2
; %bb.1299:                             ;   in Loop: Header=BB450_13 Depth=1
	v_and_b32_e32 v1, 0xffff, v0
	v_or_b32_e32 v2, 0x10000, v0
	s_delay_alu instid0(VALU_DEP_2) | instskip(NEXT) | instid1(VALU_DEP_1)
	v_cmp_eq_u32_e64 s2, 0, v1
	v_cndmask_b32_e64 v144, v2, v0, s2
; %bb.1300:                             ;   in Loop: Header=BB450_13 Depth=1
	s_or_b32 exec_lo, exec_lo, s22
	v_mov_b32_e32 v1, 0
	s_mov_b32 s22, exec_lo
	v_cmpx_lt_u32_e32 0xffffff, v33
	s_cbranch_execz .LBB450_1308
; %bb.1301:                             ;   in Loop: Header=BB450_13 Depth=1
	v_lshrrev_b32_e32 v0, 24, v33
	v_bfrev_b32_e32 v1, 1
	s_mov_b32 s23, exec_lo
	s_delay_alu instid0(VALU_DEP_2)
	v_cmpx_ne_u32_e32 0x80, v0
	s_cbranch_execz .LBB450_1307
; %bb.1302:                             ;   in Loop: Header=BB450_13 Depth=1
	v_bfe_u32 v2, v33, 24, 7
	v_mov_b32_e32 v1, 0x7f800001
	s_mov_b32 s24, exec_lo
	s_delay_alu instid0(VALU_DEP_2)
	v_cmpx_ne_u32_e32 0x7f, v2
	s_cbranch_execz .LBB450_1306
; %bb.1303:                             ;   in Loop: Header=BB450_13 Depth=1
	v_and_b32_e32 v19, 7, v0
	v_lshrrev_b32_e32 v1, 3, v2
	v_mov_b32_e32 v36, v20
	s_mov_b32 s25, exec_lo
	s_delay_alu instid0(VALU_DEP_3)
	v_mov_b32_e32 v35, v19
	v_cmpx_gt_u32_e32 8, v2
; %bb.1304:                             ;   in Loop: Header=BB450_13 Depth=1
	v_clz_i32_u32_e32 v1, v19
	s_delay_alu instid0(VALU_DEP_1) | instskip(NEXT) | instid1(VALU_DEP_1)
	v_min_u32_e32 v1, 32, v1
	v_subrev_nc_u32_e32 v2, 28, v1
	v_sub_nc_u32_e32 v1, 29, v1
	s_delay_alu instid0(VALU_DEP_2) | instskip(NEXT) | instid1(VALU_DEP_1)
	v_lshlrev_b64 v[2:3], v2, v[19:20]
	v_and_b32_e32 v35, 7, v2
; %bb.1305:                             ;   in Loop: Header=BB450_13 Depth=1
	s_or_b32 exec_lo, exec_lo, s25
	v_lshlrev_b32_e32 v0, 24, v0
	s_delay_alu instid0(VALU_DEP_2) | instskip(SKIP_1) | instid1(VALU_DEP_3)
	v_lshlrev_b32_e32 v2, 20, v35
	v_lshl_add_u32 v1, v1, 23, 0x3c000000
	v_and_b32_e32 v0, 0x80000000, v0
	s_delay_alu instid0(VALU_DEP_1)
	v_or3_b32 v1, v2, v0, v1
.LBB450_1306:                           ;   in Loop: Header=BB450_13 Depth=1
	s_or_b32 exec_lo, exec_lo, s24
.LBB450_1307:                           ;   in Loop: Header=BB450_13 Depth=1
	s_delay_alu instid0(SALU_CYCLE_1)
	s_or_b32 exec_lo, exec_lo, s23
.LBB450_1308:                           ;   in Loop: Header=BB450_13 Depth=1
	s_delay_alu instid0(SALU_CYCLE_1) | instskip(NEXT) | instid1(VALU_DEP_1)
	s_or_b32 exec_lo, exec_lo, s22
	v_mul_f32_e32 v0, v121, v1
                                        ; implicit-def: $vgpr145
	s_delay_alu instid0(VALU_DEP_1) | instskip(NEXT) | instid1(VALU_DEP_1)
	v_and_b32_e32 v1, 0x7f800000, v0
	v_cmp_ne_u32_e64 s2, 0x7f800000, v1
	s_delay_alu instid0(VALU_DEP_1) | instskip(NEXT) | instid1(SALU_CYCLE_1)
	s_and_saveexec_b32 s22, s2
	s_xor_b32 s2, exec_lo, s22
; %bb.1309:                             ;   in Loop: Header=BB450_13 Depth=1
	v_bfe_u32 v1, v0, 16, 1
	s_delay_alu instid0(VALU_DEP_1)
	v_add3_u32 v145, v0, v1, 0x7fff
                                        ; implicit-def: $vgpr0
; %bb.1310:                             ;   in Loop: Header=BB450_13 Depth=1
	s_and_not1_saveexec_b32 s22, s2
; %bb.1311:                             ;   in Loop: Header=BB450_13 Depth=1
	v_and_b32_e32 v1, 0xffff, v0
	v_or_b32_e32 v2, 0x10000, v0
	s_delay_alu instid0(VALU_DEP_2) | instskip(NEXT) | instid1(VALU_DEP_1)
	v_cmp_eq_u32_e64 s2, 0, v1
	v_cndmask_b32_e64 v145, v2, v0, s2
; %bb.1312:                             ;   in Loop: Header=BB450_13 Depth=1
	s_or_b32 exec_lo, exec_lo, s22
	v_dual_mov_b32 v0, 0 :: v_dual_and_b32 v1, 0xff, v34
	v_mov_b32_e32 v19, v34
	s_mov_b32 s22, exec_lo
	s_delay_alu instid0(VALU_DEP_2)
	v_cmpx_ne_u16_e32 0, v1
	s_cbranch_execz .LBB450_1320
; %bb.1313:                             ;   in Loop: Header=BB450_13 Depth=1
	v_bfrev_b32_e32 v0, 1
	s_mov_b32 s23, exec_lo
	v_cmpx_ne_u16_e32 0x80, v1
	s_cbranch_execz .LBB450_1319
; %bb.1314:                             ;   in Loop: Header=BB450_13 Depth=1
	v_and_b32_e32 v1, 0x7f, v34
	v_mov_b32_e32 v0, 0x7f800001
	s_mov_b32 s24, exec_lo
	s_delay_alu instid0(VALU_DEP_2)
	v_cmpx_ne_u32_e32 0x7f, v1
	s_cbranch_execz .LBB450_1318
; %bb.1315:                             ;   in Loop: Header=BB450_13 Depth=1
	v_lshrrev_b32_e32 v0, 3, v1
	v_dual_mov_b32 v36, v20 :: v_dual_mov_b32 v35, v19
	s_mov_b32 s25, exec_lo
	v_cmpx_gt_u32_e32 8, v1
; %bb.1316:                             ;   in Loop: Header=BB450_13 Depth=1
	v_and_b32_e32 v0, 7, v34
	s_delay_alu instid0(VALU_DEP_1) | instskip(NEXT) | instid1(VALU_DEP_1)
	v_clz_i32_u32_e32 v0, v0
	v_min_u32_e32 v0, 32, v0
	s_delay_alu instid0(VALU_DEP_1) | instskip(SKIP_1) | instid1(VALU_DEP_2)
	v_subrev_nc_u32_e32 v1, 28, v0
	v_sub_nc_u32_e32 v0, 29, v0
	v_lshlrev_b64 v[35:36], v1, v[19:20]
; %bb.1317:                             ;   in Loop: Header=BB450_13 Depth=1
	s_or_b32 exec_lo, exec_lo, s25
	s_delay_alu instid0(VALU_DEP_1) | instskip(SKIP_2) | instid1(VALU_DEP_3)
	v_lshlrev_b32_e32 v1, 20, v35
	v_lshlrev_b32_e32 v2, 24, v19
	v_lshl_add_u32 v0, v0, 23, 0x3c000000
	v_and_b32_e32 v1, 0x700000, v1
	s_delay_alu instid0(VALU_DEP_3) | instskip(NEXT) | instid1(VALU_DEP_1)
	v_and_b32_e32 v2, 0x80000000, v2
	v_or3_b32 v0, v1, v2, v0
.LBB450_1318:                           ;   in Loop: Header=BB450_13 Depth=1
	s_or_b32 exec_lo, exec_lo, s24
.LBB450_1319:                           ;   in Loop: Header=BB450_13 Depth=1
	s_delay_alu instid0(SALU_CYCLE_1)
	s_or_b32 exec_lo, exec_lo, s23
.LBB450_1320:                           ;   in Loop: Header=BB450_13 Depth=1
	s_delay_alu instid0(SALU_CYCLE_1) | instskip(NEXT) | instid1(VALU_DEP_1)
	s_or_b32 exec_lo, exec_lo, s22
	v_mul_f32_e32 v0, v121, v0
                                        ; implicit-def: $vgpr146
	s_delay_alu instid0(VALU_DEP_1) | instskip(NEXT) | instid1(VALU_DEP_1)
	v_and_b32_e32 v1, 0x7f800000, v0
	v_cmp_ne_u32_e64 s2, 0x7f800000, v1
	s_delay_alu instid0(VALU_DEP_1) | instskip(NEXT) | instid1(SALU_CYCLE_1)
	s_and_saveexec_b32 s22, s2
	s_xor_b32 s2, exec_lo, s22
; %bb.1321:                             ;   in Loop: Header=BB450_13 Depth=1
	v_bfe_u32 v1, v0, 16, 1
	s_delay_alu instid0(VALU_DEP_1)
	v_add3_u32 v146, v0, v1, 0x7fff
                                        ; implicit-def: $vgpr0
; %bb.1322:                             ;   in Loop: Header=BB450_13 Depth=1
	s_and_not1_saveexec_b32 s22, s2
; %bb.1323:                             ;   in Loop: Header=BB450_13 Depth=1
	v_and_b32_e32 v1, 0xffff, v0
	v_or_b32_e32 v2, 0x10000, v0
	s_delay_alu instid0(VALU_DEP_2) | instskip(NEXT) | instid1(VALU_DEP_1)
	v_cmp_eq_u32_e64 s2, 0, v1
	v_cndmask_b32_e64 v146, v2, v0, s2
; %bb.1324:                             ;   in Loop: Header=BB450_13 Depth=1
	s_or_b32 exec_lo, exec_lo, s22
	v_lshrrev_b16 v1, 8, v19
	v_mov_b32_e32 v0, 0
	s_mov_b32 s22, exec_lo
	s_delay_alu instid0(VALU_DEP_2)
	v_cmpx_ne_u16_e32 0, v1
	s_cbranch_execz .LBB450_1332
; %bb.1325:                             ;   in Loop: Header=BB450_13 Depth=1
	v_bfrev_b32_e32 v0, 1
	s_mov_b32 s23, exec_lo
	v_cmpx_ne_u16_e32 0x80, v1
	s_cbranch_execz .LBB450_1331
; %bb.1326:                             ;   in Loop: Header=BB450_13 Depth=1
	v_and_b32_e32 v2, 0xffff, v1
	v_mov_b32_e32 v0, 0x7f800001
	s_mov_b32 s24, exec_lo
	s_delay_alu instid0(VALU_DEP_2) | instskip(NEXT) | instid1(VALU_DEP_1)
	v_and_b32_e32 v1, 0x7f, v2
	v_cmpx_ne_u32_e32 0x7f, v1
	s_cbranch_execz .LBB450_1330
; %bb.1327:                             ;   in Loop: Header=BB450_13 Depth=1
	v_dual_mov_b32 v36, v20 :: v_dual_and_b32 v35, 7, v2
	v_lshrrev_b32_e32 v0, 3, v1
	s_mov_b32 s25, exec_lo
	v_cmpx_gt_u32_e32 8, v1
; %bb.1328:                             ;   in Loop: Header=BB450_13 Depth=1
	s_delay_alu instid0(VALU_DEP_3) | instskip(NEXT) | instid1(VALU_DEP_1)
	v_clz_i32_u32_e32 v0, v35
	v_min_u32_e32 v0, 32, v0
	s_delay_alu instid0(VALU_DEP_1) | instskip(SKIP_1) | instid1(VALU_DEP_2)
	v_subrev_nc_u32_e32 v1, 28, v0
	v_sub_nc_u32_e32 v0, 29, v0
	v_lshlrev_b64 v[1:2], v1, v[35:36]
	s_delay_alu instid0(VALU_DEP_1)
	v_and_b32_e32 v35, 7, v1
; %bb.1329:                             ;   in Loop: Header=BB450_13 Depth=1
	s_or_b32 exec_lo, exec_lo, s25
	v_lshlrev_b32_e32 v1, 16, v19
	s_delay_alu instid0(VALU_DEP_2) | instskip(SKIP_1) | instid1(VALU_DEP_3)
	v_lshlrev_b32_e32 v2, 20, v35
	v_lshl_add_u32 v0, v0, 23, 0x3c000000
	v_and_b32_e32 v1, 0x80000000, v1
	s_delay_alu instid0(VALU_DEP_1)
	v_or3_b32 v0, v2, v1, v0
.LBB450_1330:                           ;   in Loop: Header=BB450_13 Depth=1
	s_or_b32 exec_lo, exec_lo, s24
.LBB450_1331:                           ;   in Loop: Header=BB450_13 Depth=1
	s_delay_alu instid0(SALU_CYCLE_1)
	s_or_b32 exec_lo, exec_lo, s23
.LBB450_1332:                           ;   in Loop: Header=BB450_13 Depth=1
	s_delay_alu instid0(SALU_CYCLE_1) | instskip(NEXT) | instid1(VALU_DEP_1)
	s_or_b32 exec_lo, exec_lo, s22
	v_mul_f32_e32 v0, v121, v0
                                        ; implicit-def: $vgpr147
	s_delay_alu instid0(VALU_DEP_1) | instskip(NEXT) | instid1(VALU_DEP_1)
	v_and_b32_e32 v1, 0x7f800000, v0
	v_cmp_ne_u32_e64 s2, 0x7f800000, v1
	s_delay_alu instid0(VALU_DEP_1) | instskip(NEXT) | instid1(SALU_CYCLE_1)
	s_and_saveexec_b32 s22, s2
	s_xor_b32 s2, exec_lo, s22
; %bb.1333:                             ;   in Loop: Header=BB450_13 Depth=1
	v_bfe_u32 v1, v0, 16, 1
	s_delay_alu instid0(VALU_DEP_1)
	v_add3_u32 v147, v0, v1, 0x7fff
                                        ; implicit-def: $vgpr0
; %bb.1334:                             ;   in Loop: Header=BB450_13 Depth=1
	s_and_not1_saveexec_b32 s22, s2
; %bb.1335:                             ;   in Loop: Header=BB450_13 Depth=1
	v_and_b32_e32 v1, 0xffff, v0
	v_or_b32_e32 v2, 0x10000, v0
	s_delay_alu instid0(VALU_DEP_2) | instskip(NEXT) | instid1(VALU_DEP_1)
	v_cmp_eq_u32_e64 s2, 0, v1
	v_cndmask_b32_e64 v147, v2, v0, s2
; %bb.1336:                             ;   in Loop: Header=BB450_13 Depth=1
	s_or_b32 exec_lo, exec_lo, s22
	v_lshrrev_b32_e32 v0, 16, v34
	s_mov_b32 s22, exec_lo
	s_delay_alu instid0(VALU_DEP_1) | instskip(NEXT) | instid1(VALU_DEP_1)
	v_dual_mov_b32 v1, 0 :: v_dual_and_b32 v2, 0xff, v0
	v_cmpx_ne_u16_e32 0, v2
	s_cbranch_execz .LBB450_1344
; %bb.1337:                             ;   in Loop: Header=BB450_13 Depth=1
	v_bfrev_b32_e32 v1, 1
	s_mov_b32 s23, exec_lo
	v_cmpx_ne_u16_e32 0x80, v2
	s_cbranch_execz .LBB450_1343
; %bb.1338:                             ;   in Loop: Header=BB450_13 Depth=1
	v_bfe_u32 v2, v34, 16, 7
	v_mov_b32_e32 v1, 0x7f800001
	s_mov_b32 s24, exec_lo
	s_delay_alu instid0(VALU_DEP_2)
	v_cmpx_ne_u32_e32 0x7f, v2
	s_cbranch_execz .LBB450_1342
; %bb.1339:                             ;   in Loop: Header=BB450_13 Depth=1
	v_and_b32_e32 v19, 7, v0
	v_lshrrev_b32_e32 v1, 3, v2
	v_mov_b32_e32 v36, v20
	s_mov_b32 s25, exec_lo
	s_delay_alu instid0(VALU_DEP_3)
	v_mov_b32_e32 v35, v19
	v_cmpx_gt_u32_e32 8, v2
; %bb.1340:                             ;   in Loop: Header=BB450_13 Depth=1
	v_clz_i32_u32_e32 v1, v19
	s_delay_alu instid0(VALU_DEP_1) | instskip(NEXT) | instid1(VALU_DEP_1)
	v_min_u32_e32 v1, 32, v1
	v_subrev_nc_u32_e32 v2, 28, v1
	v_sub_nc_u32_e32 v1, 29, v1
	s_delay_alu instid0(VALU_DEP_2) | instskip(NEXT) | instid1(VALU_DEP_1)
	v_lshlrev_b64 v[2:3], v2, v[19:20]
	v_and_b32_e32 v35, 7, v2
; %bb.1341:                             ;   in Loop: Header=BB450_13 Depth=1
	s_or_b32 exec_lo, exec_lo, s25
	v_lshlrev_b32_e32 v0, 24, v0
	s_delay_alu instid0(VALU_DEP_2) | instskip(SKIP_1) | instid1(VALU_DEP_3)
	v_lshlrev_b32_e32 v2, 20, v35
	v_lshl_add_u32 v1, v1, 23, 0x3c000000
	v_and_b32_e32 v0, 0x80000000, v0
	s_delay_alu instid0(VALU_DEP_1)
	v_or3_b32 v1, v2, v0, v1
.LBB450_1342:                           ;   in Loop: Header=BB450_13 Depth=1
	s_or_b32 exec_lo, exec_lo, s24
.LBB450_1343:                           ;   in Loop: Header=BB450_13 Depth=1
	s_delay_alu instid0(SALU_CYCLE_1)
	s_or_b32 exec_lo, exec_lo, s23
.LBB450_1344:                           ;   in Loop: Header=BB450_13 Depth=1
	s_delay_alu instid0(SALU_CYCLE_1) | instskip(NEXT) | instid1(VALU_DEP_1)
	s_or_b32 exec_lo, exec_lo, s22
	v_mul_f32_e32 v0, v121, v1
                                        ; implicit-def: $vgpr148
	s_delay_alu instid0(VALU_DEP_1) | instskip(NEXT) | instid1(VALU_DEP_1)
	v_and_b32_e32 v1, 0x7f800000, v0
	v_cmp_ne_u32_e64 s2, 0x7f800000, v1
	s_delay_alu instid0(VALU_DEP_1) | instskip(NEXT) | instid1(SALU_CYCLE_1)
	s_and_saveexec_b32 s22, s2
	s_xor_b32 s2, exec_lo, s22
; %bb.1345:                             ;   in Loop: Header=BB450_13 Depth=1
	v_bfe_u32 v1, v0, 16, 1
	s_delay_alu instid0(VALU_DEP_1)
	v_add3_u32 v148, v0, v1, 0x7fff
                                        ; implicit-def: $vgpr0
; %bb.1346:                             ;   in Loop: Header=BB450_13 Depth=1
	s_and_not1_saveexec_b32 s22, s2
; %bb.1347:                             ;   in Loop: Header=BB450_13 Depth=1
	v_and_b32_e32 v1, 0xffff, v0
	v_or_b32_e32 v2, 0x10000, v0
	s_delay_alu instid0(VALU_DEP_2) | instskip(NEXT) | instid1(VALU_DEP_1)
	v_cmp_eq_u32_e64 s2, 0, v1
	v_cndmask_b32_e64 v148, v2, v0, s2
; %bb.1348:                             ;   in Loop: Header=BB450_13 Depth=1
	s_or_b32 exec_lo, exec_lo, s22
	v_mov_b32_e32 v1, 0
	s_mov_b32 s22, exec_lo
	v_cmpx_lt_u64_e64 s[8:9], v[33:34]
	s_cbranch_execz .LBB450_1356
; %bb.1349:                             ;   in Loop: Header=BB450_13 Depth=1
	v_lshrrev_b32_e32 v0, 24, v34
	v_bfrev_b32_e32 v1, 1
	s_mov_b32 s23, exec_lo
	s_delay_alu instid0(VALU_DEP_2)
	v_cmpx_ne_u32_e32 0x80, v0
	s_cbranch_execz .LBB450_1355
; %bb.1350:                             ;   in Loop: Header=BB450_13 Depth=1
	v_bfe_u32 v2, v34, 24, 7
	v_mov_b32_e32 v1, 0x7f800001
	s_mov_b32 s24, exec_lo
	s_delay_alu instid0(VALU_DEP_2)
	v_cmpx_ne_u32_e32 0x7f, v2
	s_cbranch_execz .LBB450_1354
; %bb.1351:                             ;   in Loop: Header=BB450_13 Depth=1
	v_and_b32_e32 v19, 7, v0
	v_lshrrev_b32_e32 v1, 3, v2
	v_mov_b32_e32 v34, v20
	s_mov_b32 s25, exec_lo
	s_delay_alu instid0(VALU_DEP_3)
	v_mov_b32_e32 v33, v19
	v_cmpx_gt_u32_e32 8, v2
; %bb.1352:                             ;   in Loop: Header=BB450_13 Depth=1
	v_clz_i32_u32_e32 v1, v19
	s_delay_alu instid0(VALU_DEP_1) | instskip(NEXT) | instid1(VALU_DEP_1)
	v_min_u32_e32 v1, 32, v1
	v_subrev_nc_u32_e32 v2, 28, v1
	v_sub_nc_u32_e32 v1, 29, v1
	s_delay_alu instid0(VALU_DEP_2) | instskip(NEXT) | instid1(VALU_DEP_1)
	v_lshlrev_b64 v[2:3], v2, v[19:20]
	v_and_b32_e32 v33, 7, v2
; %bb.1353:                             ;   in Loop: Header=BB450_13 Depth=1
	s_or_b32 exec_lo, exec_lo, s25
	v_lshlrev_b32_e32 v0, 24, v0
	s_delay_alu instid0(VALU_DEP_2) | instskip(SKIP_1) | instid1(VALU_DEP_3)
	v_lshlrev_b32_e32 v2, 20, v33
	v_lshl_add_u32 v1, v1, 23, 0x3c000000
	v_and_b32_e32 v0, 0x80000000, v0
	s_delay_alu instid0(VALU_DEP_1)
	v_or3_b32 v1, v2, v0, v1
.LBB450_1354:                           ;   in Loop: Header=BB450_13 Depth=1
	s_or_b32 exec_lo, exec_lo, s24
.LBB450_1355:                           ;   in Loop: Header=BB450_13 Depth=1
	s_delay_alu instid0(SALU_CYCLE_1)
	s_or_b32 exec_lo, exec_lo, s23
.LBB450_1356:                           ;   in Loop: Header=BB450_13 Depth=1
	s_delay_alu instid0(SALU_CYCLE_1) | instskip(NEXT) | instid1(VALU_DEP_1)
	s_or_b32 exec_lo, exec_lo, s22
	v_mul_f32_e32 v0, v121, v1
                                        ; implicit-def: $vgpr149
	s_delay_alu instid0(VALU_DEP_1) | instskip(NEXT) | instid1(VALU_DEP_1)
	v_and_b32_e32 v1, 0x7f800000, v0
	v_cmp_ne_u32_e64 s2, 0x7f800000, v1
	s_delay_alu instid0(VALU_DEP_1) | instskip(NEXT) | instid1(SALU_CYCLE_1)
	s_and_saveexec_b32 s22, s2
	s_xor_b32 s2, exec_lo, s22
; %bb.1357:                             ;   in Loop: Header=BB450_13 Depth=1
	v_bfe_u32 v1, v0, 16, 1
	s_delay_alu instid0(VALU_DEP_1)
	v_add3_u32 v149, v0, v1, 0x7fff
                                        ; implicit-def: $vgpr0
; %bb.1358:                             ;   in Loop: Header=BB450_13 Depth=1
	s_and_not1_saveexec_b32 s22, s2
; %bb.1359:                             ;   in Loop: Header=BB450_13 Depth=1
	v_and_b32_e32 v1, 0xffff, v0
	v_or_b32_e32 v2, 0x10000, v0
	s_delay_alu instid0(VALU_DEP_2) | instskip(NEXT) | instid1(VALU_DEP_1)
	v_cmp_eq_u32_e64 s2, 0, v1
	v_cndmask_b32_e64 v149, v2, v0, s2
; %bb.1360:                             ;   in Loop: Header=BB450_13 Depth=1
	s_or_b32 exec_lo, exec_lo, s22
	flat_load_b64 v[33:34], v[31:32] offset:3584
	s_mov_b32 s22, exec_lo
	s_waitcnt vmcnt(0) lgkmcnt(0)
	v_dual_mov_b32 v0, 0 :: v_dual_and_b32 v1, 0xff, v33
	s_delay_alu instid0(VALU_DEP_1)
	v_cmpx_ne_u16_e32 0, v1
	s_cbranch_execz .LBB450_1368
; %bb.1361:                             ;   in Loop: Header=BB450_13 Depth=1
	v_bfrev_b32_e32 v0, 1
	s_mov_b32 s23, exec_lo
	v_cmpx_ne_u16_e32 0x80, v1
	s_cbranch_execz .LBB450_1367
; %bb.1362:                             ;   in Loop: Header=BB450_13 Depth=1
	v_and_b32_e32 v1, 0x7f, v33
	v_mov_b32_e32 v0, 0x7f800001
	s_mov_b32 s24, exec_lo
	s_delay_alu instid0(VALU_DEP_2)
	v_cmpx_ne_u32_e32 0x7f, v1
	s_cbranch_execz .LBB450_1366
; %bb.1363:                             ;   in Loop: Header=BB450_13 Depth=1
	v_lshrrev_b32_e32 v0, 3, v1
	v_dual_mov_b32 v36, v34 :: v_dual_mov_b32 v35, v33
	s_mov_b32 s25, exec_lo
	v_cmpx_gt_u32_e32 8, v1
; %bb.1364:                             ;   in Loop: Header=BB450_13 Depth=1
	v_and_b32_e32 v0, 7, v33
	s_delay_alu instid0(VALU_DEP_1) | instskip(NEXT) | instid1(VALU_DEP_1)
	v_clz_i32_u32_e32 v0, v0
	v_min_u32_e32 v0, 32, v0
	s_delay_alu instid0(VALU_DEP_1) | instskip(SKIP_1) | instid1(VALU_DEP_2)
	v_subrev_nc_u32_e32 v1, 28, v0
	v_sub_nc_u32_e32 v0, 29, v0
	v_lshlrev_b64 v[35:36], v1, v[33:34]
; %bb.1365:                             ;   in Loop: Header=BB450_13 Depth=1
	s_or_b32 exec_lo, exec_lo, s25
	s_delay_alu instid0(VALU_DEP_1) | instskip(SKIP_2) | instid1(VALU_DEP_3)
	v_lshlrev_b32_e32 v1, 20, v35
	v_lshlrev_b32_e32 v2, 24, v33
	v_lshl_add_u32 v0, v0, 23, 0x3c000000
	v_and_b32_e32 v1, 0x700000, v1
	s_delay_alu instid0(VALU_DEP_3) | instskip(NEXT) | instid1(VALU_DEP_1)
	v_and_b32_e32 v2, 0x80000000, v2
	v_or3_b32 v0, v1, v2, v0
.LBB450_1366:                           ;   in Loop: Header=BB450_13 Depth=1
	s_or_b32 exec_lo, exec_lo, s24
.LBB450_1367:                           ;   in Loop: Header=BB450_13 Depth=1
	s_delay_alu instid0(SALU_CYCLE_1)
	s_or_b32 exec_lo, exec_lo, s23
.LBB450_1368:                           ;   in Loop: Header=BB450_13 Depth=1
	s_delay_alu instid0(SALU_CYCLE_1) | instskip(NEXT) | instid1(VALU_DEP_1)
	s_or_b32 exec_lo, exec_lo, s22
	v_mul_f32_e32 v0, v121, v0
                                        ; implicit-def: $vgpr150
	s_delay_alu instid0(VALU_DEP_1) | instskip(NEXT) | instid1(VALU_DEP_1)
	v_and_b32_e32 v1, 0x7f800000, v0
	v_cmp_ne_u32_e64 s2, 0x7f800000, v1
	s_delay_alu instid0(VALU_DEP_1) | instskip(NEXT) | instid1(SALU_CYCLE_1)
	s_and_saveexec_b32 s22, s2
	s_xor_b32 s2, exec_lo, s22
; %bb.1369:                             ;   in Loop: Header=BB450_13 Depth=1
	v_bfe_u32 v1, v0, 16, 1
	s_delay_alu instid0(VALU_DEP_1)
	v_add3_u32 v150, v0, v1, 0x7fff
                                        ; implicit-def: $vgpr0
; %bb.1370:                             ;   in Loop: Header=BB450_13 Depth=1
	s_and_not1_saveexec_b32 s22, s2
; %bb.1371:                             ;   in Loop: Header=BB450_13 Depth=1
	v_and_b32_e32 v1, 0xffff, v0
	v_or_b32_e32 v2, 0x10000, v0
	s_delay_alu instid0(VALU_DEP_2) | instskip(NEXT) | instid1(VALU_DEP_1)
	v_cmp_eq_u32_e64 s2, 0, v1
	v_cndmask_b32_e64 v150, v2, v0, s2
; %bb.1372:                             ;   in Loop: Header=BB450_13 Depth=1
	s_or_b32 exec_lo, exec_lo, s22
	v_lshrrev_b16 v1, 8, v33
	v_mov_b32_e32 v0, 0
	s_mov_b32 s22, exec_lo
	s_delay_alu instid0(VALU_DEP_2)
	v_cmpx_ne_u16_e32 0, v1
	s_cbranch_execz .LBB450_1380
; %bb.1373:                             ;   in Loop: Header=BB450_13 Depth=1
	v_bfrev_b32_e32 v0, 1
	s_mov_b32 s23, exec_lo
	v_cmpx_ne_u16_e32 0x80, v1
	s_cbranch_execz .LBB450_1379
; %bb.1374:                             ;   in Loop: Header=BB450_13 Depth=1
	v_and_b32_e32 v2, 0xffff, v1
	v_mov_b32_e32 v0, 0x7f800001
	s_mov_b32 s24, exec_lo
	s_delay_alu instid0(VALU_DEP_2) | instskip(NEXT) | instid1(VALU_DEP_1)
	v_and_b32_e32 v1, 0x7f, v2
	v_cmpx_ne_u32_e32 0x7f, v1
	s_cbranch_execz .LBB450_1378
; %bb.1375:                             ;   in Loop: Header=BB450_13 Depth=1
	v_and_b32_e32 v19, 7, v2
	v_lshrrev_b32_e32 v0, 3, v1
	v_mov_b32_e32 v36, v20
	s_mov_b32 s25, exec_lo
	s_delay_alu instid0(VALU_DEP_3)
	v_mov_b32_e32 v35, v19
	v_cmpx_gt_u32_e32 8, v1
; %bb.1376:                             ;   in Loop: Header=BB450_13 Depth=1
	v_clz_i32_u32_e32 v0, v19
	s_delay_alu instid0(VALU_DEP_1) | instskip(NEXT) | instid1(VALU_DEP_1)
	v_min_u32_e32 v0, 32, v0
	v_subrev_nc_u32_e32 v1, 28, v0
	v_sub_nc_u32_e32 v0, 29, v0
	s_delay_alu instid0(VALU_DEP_2) | instskip(NEXT) | instid1(VALU_DEP_1)
	v_lshlrev_b64 v[1:2], v1, v[19:20]
	v_and_b32_e32 v35, 7, v1
; %bb.1377:                             ;   in Loop: Header=BB450_13 Depth=1
	s_or_b32 exec_lo, exec_lo, s25
	v_lshlrev_b32_e32 v1, 16, v33
	s_delay_alu instid0(VALU_DEP_2) | instskip(SKIP_1) | instid1(VALU_DEP_3)
	v_lshlrev_b32_e32 v2, 20, v35
	v_lshl_add_u32 v0, v0, 23, 0x3c000000
	v_and_b32_e32 v1, 0x80000000, v1
	s_delay_alu instid0(VALU_DEP_1)
	v_or3_b32 v0, v2, v1, v0
.LBB450_1378:                           ;   in Loop: Header=BB450_13 Depth=1
	s_or_b32 exec_lo, exec_lo, s24
.LBB450_1379:                           ;   in Loop: Header=BB450_13 Depth=1
	s_delay_alu instid0(SALU_CYCLE_1)
	s_or_b32 exec_lo, exec_lo, s23
.LBB450_1380:                           ;   in Loop: Header=BB450_13 Depth=1
	s_delay_alu instid0(SALU_CYCLE_1) | instskip(NEXT) | instid1(VALU_DEP_1)
	s_or_b32 exec_lo, exec_lo, s22
	v_mul_f32_e32 v0, v121, v0
                                        ; implicit-def: $vgpr151
	s_delay_alu instid0(VALU_DEP_1) | instskip(NEXT) | instid1(VALU_DEP_1)
	v_and_b32_e32 v1, 0x7f800000, v0
	v_cmp_ne_u32_e64 s2, 0x7f800000, v1
	s_delay_alu instid0(VALU_DEP_1) | instskip(NEXT) | instid1(SALU_CYCLE_1)
	s_and_saveexec_b32 s22, s2
	s_xor_b32 s2, exec_lo, s22
; %bb.1381:                             ;   in Loop: Header=BB450_13 Depth=1
	v_bfe_u32 v1, v0, 16, 1
	s_delay_alu instid0(VALU_DEP_1)
	v_add3_u32 v151, v0, v1, 0x7fff
                                        ; implicit-def: $vgpr0
; %bb.1382:                             ;   in Loop: Header=BB450_13 Depth=1
	s_and_not1_saveexec_b32 s22, s2
; %bb.1383:                             ;   in Loop: Header=BB450_13 Depth=1
	v_and_b32_e32 v1, 0xffff, v0
	v_or_b32_e32 v2, 0x10000, v0
	s_delay_alu instid0(VALU_DEP_2) | instskip(NEXT) | instid1(VALU_DEP_1)
	v_cmp_eq_u32_e64 s2, 0, v1
	v_cndmask_b32_e64 v151, v2, v0, s2
; %bb.1384:                             ;   in Loop: Header=BB450_13 Depth=1
	s_or_b32 exec_lo, exec_lo, s22
	v_lshrrev_b32_e32 v0, 16, v33
	s_mov_b32 s22, exec_lo
	s_delay_alu instid0(VALU_DEP_1) | instskip(NEXT) | instid1(VALU_DEP_1)
	v_dual_mov_b32 v1, 0 :: v_dual_and_b32 v2, 0xff, v0
	v_cmpx_ne_u16_e32 0, v2
	s_cbranch_execz .LBB450_1392
; %bb.1385:                             ;   in Loop: Header=BB450_13 Depth=1
	v_bfrev_b32_e32 v1, 1
	s_mov_b32 s23, exec_lo
	v_cmpx_ne_u16_e32 0x80, v2
	s_cbranch_execz .LBB450_1391
; %bb.1386:                             ;   in Loop: Header=BB450_13 Depth=1
	v_bfe_u32 v2, v33, 16, 7
	v_mov_b32_e32 v1, 0x7f800001
	s_mov_b32 s24, exec_lo
	s_delay_alu instid0(VALU_DEP_2)
	v_cmpx_ne_u32_e32 0x7f, v2
	s_cbranch_execz .LBB450_1390
; %bb.1387:                             ;   in Loop: Header=BB450_13 Depth=1
	v_and_b32_e32 v19, 7, v0
	v_lshrrev_b32_e32 v1, 3, v2
	v_mov_b32_e32 v36, v20
	s_mov_b32 s25, exec_lo
	s_delay_alu instid0(VALU_DEP_3)
	v_mov_b32_e32 v35, v19
	v_cmpx_gt_u32_e32 8, v2
; %bb.1388:                             ;   in Loop: Header=BB450_13 Depth=1
	v_clz_i32_u32_e32 v1, v19
	s_delay_alu instid0(VALU_DEP_1) | instskip(NEXT) | instid1(VALU_DEP_1)
	v_min_u32_e32 v1, 32, v1
	v_subrev_nc_u32_e32 v2, 28, v1
	v_sub_nc_u32_e32 v1, 29, v1
	s_delay_alu instid0(VALU_DEP_2) | instskip(NEXT) | instid1(VALU_DEP_1)
	v_lshlrev_b64 v[2:3], v2, v[19:20]
	v_and_b32_e32 v35, 7, v2
; %bb.1389:                             ;   in Loop: Header=BB450_13 Depth=1
	s_or_b32 exec_lo, exec_lo, s25
	v_lshlrev_b32_e32 v0, 24, v0
	s_delay_alu instid0(VALU_DEP_2) | instskip(SKIP_1) | instid1(VALU_DEP_3)
	v_lshlrev_b32_e32 v2, 20, v35
	v_lshl_add_u32 v1, v1, 23, 0x3c000000
	v_and_b32_e32 v0, 0x80000000, v0
	s_delay_alu instid0(VALU_DEP_1)
	v_or3_b32 v1, v2, v0, v1
.LBB450_1390:                           ;   in Loop: Header=BB450_13 Depth=1
	s_or_b32 exec_lo, exec_lo, s24
.LBB450_1391:                           ;   in Loop: Header=BB450_13 Depth=1
	s_delay_alu instid0(SALU_CYCLE_1)
	s_or_b32 exec_lo, exec_lo, s23
.LBB450_1392:                           ;   in Loop: Header=BB450_13 Depth=1
	s_delay_alu instid0(SALU_CYCLE_1) | instskip(NEXT) | instid1(VALU_DEP_1)
	s_or_b32 exec_lo, exec_lo, s22
	v_mul_f32_e32 v0, v121, v1
                                        ; implicit-def: $vgpr160
	s_delay_alu instid0(VALU_DEP_1) | instskip(NEXT) | instid1(VALU_DEP_1)
	v_and_b32_e32 v1, 0x7f800000, v0
	v_cmp_ne_u32_e64 s2, 0x7f800000, v1
	s_delay_alu instid0(VALU_DEP_1) | instskip(NEXT) | instid1(SALU_CYCLE_1)
	s_and_saveexec_b32 s22, s2
	s_xor_b32 s2, exec_lo, s22
; %bb.1393:                             ;   in Loop: Header=BB450_13 Depth=1
	v_bfe_u32 v1, v0, 16, 1
	s_delay_alu instid0(VALU_DEP_1)
	v_add3_u32 v160, v0, v1, 0x7fff
                                        ; implicit-def: $vgpr0
; %bb.1394:                             ;   in Loop: Header=BB450_13 Depth=1
	s_and_not1_saveexec_b32 s22, s2
; %bb.1395:                             ;   in Loop: Header=BB450_13 Depth=1
	v_and_b32_e32 v1, 0xffff, v0
	v_or_b32_e32 v2, 0x10000, v0
	s_delay_alu instid0(VALU_DEP_2) | instskip(NEXT) | instid1(VALU_DEP_1)
	v_cmp_eq_u32_e64 s2, 0, v1
	v_cndmask_b32_e64 v160, v2, v0, s2
; %bb.1396:                             ;   in Loop: Header=BB450_13 Depth=1
	s_or_b32 exec_lo, exec_lo, s22
	v_mov_b32_e32 v1, 0
	s_mov_b32 s22, exec_lo
	v_cmpx_lt_u32_e32 0xffffff, v33
	s_cbranch_execz .LBB450_1404
; %bb.1397:                             ;   in Loop: Header=BB450_13 Depth=1
	v_lshrrev_b32_e32 v0, 24, v33
	v_bfrev_b32_e32 v1, 1
	s_mov_b32 s23, exec_lo
	s_delay_alu instid0(VALU_DEP_2)
	v_cmpx_ne_u32_e32 0x80, v0
	s_cbranch_execz .LBB450_1403
; %bb.1398:                             ;   in Loop: Header=BB450_13 Depth=1
	v_bfe_u32 v2, v33, 24, 7
	v_mov_b32_e32 v1, 0x7f800001
	s_mov_b32 s24, exec_lo
	s_delay_alu instid0(VALU_DEP_2)
	v_cmpx_ne_u32_e32 0x7f, v2
	s_cbranch_execz .LBB450_1402
; %bb.1399:                             ;   in Loop: Header=BB450_13 Depth=1
	v_and_b32_e32 v19, 7, v0
	v_lshrrev_b32_e32 v1, 3, v2
	v_mov_b32_e32 v36, v20
	s_mov_b32 s25, exec_lo
	s_delay_alu instid0(VALU_DEP_3)
	v_mov_b32_e32 v35, v19
	v_cmpx_gt_u32_e32 8, v2
; %bb.1400:                             ;   in Loop: Header=BB450_13 Depth=1
	v_clz_i32_u32_e32 v1, v19
	s_delay_alu instid0(VALU_DEP_1) | instskip(NEXT) | instid1(VALU_DEP_1)
	v_min_u32_e32 v1, 32, v1
	v_subrev_nc_u32_e32 v2, 28, v1
	v_sub_nc_u32_e32 v1, 29, v1
	s_delay_alu instid0(VALU_DEP_2) | instskip(NEXT) | instid1(VALU_DEP_1)
	v_lshlrev_b64 v[2:3], v2, v[19:20]
	v_and_b32_e32 v35, 7, v2
; %bb.1401:                             ;   in Loop: Header=BB450_13 Depth=1
	s_or_b32 exec_lo, exec_lo, s25
	v_lshlrev_b32_e32 v0, 24, v0
	s_delay_alu instid0(VALU_DEP_2) | instskip(SKIP_1) | instid1(VALU_DEP_3)
	v_lshlrev_b32_e32 v2, 20, v35
	v_lshl_add_u32 v1, v1, 23, 0x3c000000
	v_and_b32_e32 v0, 0x80000000, v0
	s_delay_alu instid0(VALU_DEP_1)
	v_or3_b32 v1, v2, v0, v1
.LBB450_1402:                           ;   in Loop: Header=BB450_13 Depth=1
	s_or_b32 exec_lo, exec_lo, s24
.LBB450_1403:                           ;   in Loop: Header=BB450_13 Depth=1
	s_delay_alu instid0(SALU_CYCLE_1)
	s_or_b32 exec_lo, exec_lo, s23
.LBB450_1404:                           ;   in Loop: Header=BB450_13 Depth=1
	s_delay_alu instid0(SALU_CYCLE_1) | instskip(NEXT) | instid1(VALU_DEP_1)
	s_or_b32 exec_lo, exec_lo, s22
	v_mul_f32_e32 v0, v121, v1
                                        ; implicit-def: $vgpr161
	s_delay_alu instid0(VALU_DEP_1) | instskip(NEXT) | instid1(VALU_DEP_1)
	v_and_b32_e32 v1, 0x7f800000, v0
	v_cmp_ne_u32_e64 s2, 0x7f800000, v1
	s_delay_alu instid0(VALU_DEP_1) | instskip(NEXT) | instid1(SALU_CYCLE_1)
	s_and_saveexec_b32 s22, s2
	s_xor_b32 s2, exec_lo, s22
; %bb.1405:                             ;   in Loop: Header=BB450_13 Depth=1
	v_bfe_u32 v1, v0, 16, 1
	s_delay_alu instid0(VALU_DEP_1)
	v_add3_u32 v161, v0, v1, 0x7fff
                                        ; implicit-def: $vgpr0
; %bb.1406:                             ;   in Loop: Header=BB450_13 Depth=1
	s_and_not1_saveexec_b32 s22, s2
; %bb.1407:                             ;   in Loop: Header=BB450_13 Depth=1
	v_and_b32_e32 v1, 0xffff, v0
	v_or_b32_e32 v2, 0x10000, v0
	s_delay_alu instid0(VALU_DEP_2) | instskip(NEXT) | instid1(VALU_DEP_1)
	v_cmp_eq_u32_e64 s2, 0, v1
	v_cndmask_b32_e64 v161, v2, v0, s2
; %bb.1408:                             ;   in Loop: Header=BB450_13 Depth=1
	s_or_b32 exec_lo, exec_lo, s22
	v_dual_mov_b32 v0, 0 :: v_dual_and_b32 v1, 0xff, v34
	v_mov_b32_e32 v19, v34
	s_mov_b32 s22, exec_lo
	s_delay_alu instid0(VALU_DEP_2)
	v_cmpx_ne_u16_e32 0, v1
	s_cbranch_execz .LBB450_1416
; %bb.1409:                             ;   in Loop: Header=BB450_13 Depth=1
	v_bfrev_b32_e32 v0, 1
	s_mov_b32 s23, exec_lo
	v_cmpx_ne_u16_e32 0x80, v1
	s_cbranch_execz .LBB450_1415
; %bb.1410:                             ;   in Loop: Header=BB450_13 Depth=1
	v_and_b32_e32 v1, 0x7f, v34
	v_mov_b32_e32 v0, 0x7f800001
	s_mov_b32 s24, exec_lo
	s_delay_alu instid0(VALU_DEP_2)
	v_cmpx_ne_u32_e32 0x7f, v1
	s_cbranch_execz .LBB450_1414
; %bb.1411:                             ;   in Loop: Header=BB450_13 Depth=1
	v_lshrrev_b32_e32 v0, 3, v1
	v_dual_mov_b32 v36, v20 :: v_dual_mov_b32 v35, v19
	s_mov_b32 s25, exec_lo
	v_cmpx_gt_u32_e32 8, v1
; %bb.1412:                             ;   in Loop: Header=BB450_13 Depth=1
	v_and_b32_e32 v0, 7, v34
	s_delay_alu instid0(VALU_DEP_1) | instskip(NEXT) | instid1(VALU_DEP_1)
	v_clz_i32_u32_e32 v0, v0
	v_min_u32_e32 v0, 32, v0
	s_delay_alu instid0(VALU_DEP_1) | instskip(SKIP_1) | instid1(VALU_DEP_2)
	v_subrev_nc_u32_e32 v1, 28, v0
	v_sub_nc_u32_e32 v0, 29, v0
	v_lshlrev_b64 v[35:36], v1, v[19:20]
; %bb.1413:                             ;   in Loop: Header=BB450_13 Depth=1
	s_or_b32 exec_lo, exec_lo, s25
	s_delay_alu instid0(VALU_DEP_1) | instskip(SKIP_2) | instid1(VALU_DEP_3)
	v_lshlrev_b32_e32 v1, 20, v35
	v_lshlrev_b32_e32 v2, 24, v19
	v_lshl_add_u32 v0, v0, 23, 0x3c000000
	v_and_b32_e32 v1, 0x700000, v1
	s_delay_alu instid0(VALU_DEP_3) | instskip(NEXT) | instid1(VALU_DEP_1)
	v_and_b32_e32 v2, 0x80000000, v2
	v_or3_b32 v0, v1, v2, v0
.LBB450_1414:                           ;   in Loop: Header=BB450_13 Depth=1
	s_or_b32 exec_lo, exec_lo, s24
.LBB450_1415:                           ;   in Loop: Header=BB450_13 Depth=1
	s_delay_alu instid0(SALU_CYCLE_1)
	s_or_b32 exec_lo, exec_lo, s23
.LBB450_1416:                           ;   in Loop: Header=BB450_13 Depth=1
	s_delay_alu instid0(SALU_CYCLE_1) | instskip(NEXT) | instid1(VALU_DEP_1)
	s_or_b32 exec_lo, exec_lo, s22
	v_mul_f32_e32 v0, v121, v0
                                        ; implicit-def: $vgpr162
	s_delay_alu instid0(VALU_DEP_1) | instskip(NEXT) | instid1(VALU_DEP_1)
	v_and_b32_e32 v1, 0x7f800000, v0
	v_cmp_ne_u32_e64 s2, 0x7f800000, v1
	s_delay_alu instid0(VALU_DEP_1) | instskip(NEXT) | instid1(SALU_CYCLE_1)
	s_and_saveexec_b32 s22, s2
	s_xor_b32 s2, exec_lo, s22
; %bb.1417:                             ;   in Loop: Header=BB450_13 Depth=1
	v_bfe_u32 v1, v0, 16, 1
	s_delay_alu instid0(VALU_DEP_1)
	v_add3_u32 v162, v0, v1, 0x7fff
                                        ; implicit-def: $vgpr0
; %bb.1418:                             ;   in Loop: Header=BB450_13 Depth=1
	s_and_not1_saveexec_b32 s22, s2
; %bb.1419:                             ;   in Loop: Header=BB450_13 Depth=1
	v_and_b32_e32 v1, 0xffff, v0
	v_or_b32_e32 v2, 0x10000, v0
	s_delay_alu instid0(VALU_DEP_2) | instskip(NEXT) | instid1(VALU_DEP_1)
	v_cmp_eq_u32_e64 s2, 0, v1
	v_cndmask_b32_e64 v162, v2, v0, s2
; %bb.1420:                             ;   in Loop: Header=BB450_13 Depth=1
	s_or_b32 exec_lo, exec_lo, s22
	v_lshrrev_b16 v1, 8, v19
	v_mov_b32_e32 v0, 0
	s_mov_b32 s22, exec_lo
	s_delay_alu instid0(VALU_DEP_2)
	v_cmpx_ne_u16_e32 0, v1
	s_cbranch_execz .LBB450_1428
; %bb.1421:                             ;   in Loop: Header=BB450_13 Depth=1
	v_bfrev_b32_e32 v0, 1
	s_mov_b32 s23, exec_lo
	v_cmpx_ne_u16_e32 0x80, v1
	s_cbranch_execz .LBB450_1427
; %bb.1422:                             ;   in Loop: Header=BB450_13 Depth=1
	v_and_b32_e32 v2, 0xffff, v1
	v_mov_b32_e32 v0, 0x7f800001
	s_mov_b32 s24, exec_lo
	s_delay_alu instid0(VALU_DEP_2) | instskip(NEXT) | instid1(VALU_DEP_1)
	v_and_b32_e32 v1, 0x7f, v2
	v_cmpx_ne_u32_e32 0x7f, v1
	s_cbranch_execz .LBB450_1426
; %bb.1423:                             ;   in Loop: Header=BB450_13 Depth=1
	v_dual_mov_b32 v36, v20 :: v_dual_and_b32 v35, 7, v2
	v_lshrrev_b32_e32 v0, 3, v1
	s_mov_b32 s25, exec_lo
	v_cmpx_gt_u32_e32 8, v1
; %bb.1424:                             ;   in Loop: Header=BB450_13 Depth=1
	s_delay_alu instid0(VALU_DEP_3) | instskip(NEXT) | instid1(VALU_DEP_1)
	v_clz_i32_u32_e32 v0, v35
	v_min_u32_e32 v0, 32, v0
	s_delay_alu instid0(VALU_DEP_1) | instskip(SKIP_1) | instid1(VALU_DEP_2)
	v_subrev_nc_u32_e32 v1, 28, v0
	v_sub_nc_u32_e32 v0, 29, v0
	v_lshlrev_b64 v[1:2], v1, v[35:36]
	s_delay_alu instid0(VALU_DEP_1)
	v_and_b32_e32 v35, 7, v1
; %bb.1425:                             ;   in Loop: Header=BB450_13 Depth=1
	s_or_b32 exec_lo, exec_lo, s25
	v_lshlrev_b32_e32 v1, 16, v19
	s_delay_alu instid0(VALU_DEP_2) | instskip(SKIP_1) | instid1(VALU_DEP_3)
	v_lshlrev_b32_e32 v2, 20, v35
	v_lshl_add_u32 v0, v0, 23, 0x3c000000
	v_and_b32_e32 v1, 0x80000000, v1
	s_delay_alu instid0(VALU_DEP_1)
	v_or3_b32 v0, v2, v1, v0
.LBB450_1426:                           ;   in Loop: Header=BB450_13 Depth=1
	s_or_b32 exec_lo, exec_lo, s24
.LBB450_1427:                           ;   in Loop: Header=BB450_13 Depth=1
	s_delay_alu instid0(SALU_CYCLE_1)
	s_or_b32 exec_lo, exec_lo, s23
.LBB450_1428:                           ;   in Loop: Header=BB450_13 Depth=1
	s_delay_alu instid0(SALU_CYCLE_1) | instskip(NEXT) | instid1(VALU_DEP_1)
	s_or_b32 exec_lo, exec_lo, s22
	v_mul_f32_e32 v0, v121, v0
                                        ; implicit-def: $vgpr163
	s_delay_alu instid0(VALU_DEP_1) | instskip(NEXT) | instid1(VALU_DEP_1)
	v_and_b32_e32 v1, 0x7f800000, v0
	v_cmp_ne_u32_e64 s2, 0x7f800000, v1
	s_delay_alu instid0(VALU_DEP_1) | instskip(NEXT) | instid1(SALU_CYCLE_1)
	s_and_saveexec_b32 s22, s2
	s_xor_b32 s2, exec_lo, s22
; %bb.1429:                             ;   in Loop: Header=BB450_13 Depth=1
	v_bfe_u32 v1, v0, 16, 1
	s_delay_alu instid0(VALU_DEP_1)
	v_add3_u32 v163, v0, v1, 0x7fff
                                        ; implicit-def: $vgpr0
; %bb.1430:                             ;   in Loop: Header=BB450_13 Depth=1
	s_and_not1_saveexec_b32 s22, s2
; %bb.1431:                             ;   in Loop: Header=BB450_13 Depth=1
	v_and_b32_e32 v1, 0xffff, v0
	v_or_b32_e32 v2, 0x10000, v0
	s_delay_alu instid0(VALU_DEP_2) | instskip(NEXT) | instid1(VALU_DEP_1)
	v_cmp_eq_u32_e64 s2, 0, v1
	v_cndmask_b32_e64 v163, v2, v0, s2
; %bb.1432:                             ;   in Loop: Header=BB450_13 Depth=1
	s_or_b32 exec_lo, exec_lo, s22
	v_lshrrev_b32_e32 v0, 16, v34
	s_mov_b32 s22, exec_lo
	s_delay_alu instid0(VALU_DEP_1) | instskip(NEXT) | instid1(VALU_DEP_1)
	v_dual_mov_b32 v1, 0 :: v_dual_and_b32 v2, 0xff, v0
	v_cmpx_ne_u16_e32 0, v2
	s_cbranch_execz .LBB450_1440
; %bb.1433:                             ;   in Loop: Header=BB450_13 Depth=1
	v_bfrev_b32_e32 v1, 1
	s_mov_b32 s23, exec_lo
	v_cmpx_ne_u16_e32 0x80, v2
	s_cbranch_execz .LBB450_1439
; %bb.1434:                             ;   in Loop: Header=BB450_13 Depth=1
	v_bfe_u32 v2, v34, 16, 7
	v_mov_b32_e32 v1, 0x7f800001
	s_mov_b32 s24, exec_lo
	s_delay_alu instid0(VALU_DEP_2)
	v_cmpx_ne_u32_e32 0x7f, v2
	s_cbranch_execz .LBB450_1438
; %bb.1435:                             ;   in Loop: Header=BB450_13 Depth=1
	v_and_b32_e32 v19, 7, v0
	v_lshrrev_b32_e32 v1, 3, v2
	v_mov_b32_e32 v36, v20
	s_mov_b32 s25, exec_lo
	s_delay_alu instid0(VALU_DEP_3)
	v_mov_b32_e32 v35, v19
	v_cmpx_gt_u32_e32 8, v2
; %bb.1436:                             ;   in Loop: Header=BB450_13 Depth=1
	v_clz_i32_u32_e32 v1, v19
	s_delay_alu instid0(VALU_DEP_1) | instskip(NEXT) | instid1(VALU_DEP_1)
	v_min_u32_e32 v1, 32, v1
	v_subrev_nc_u32_e32 v2, 28, v1
	v_sub_nc_u32_e32 v1, 29, v1
	s_delay_alu instid0(VALU_DEP_2) | instskip(NEXT) | instid1(VALU_DEP_1)
	v_lshlrev_b64 v[2:3], v2, v[19:20]
	v_and_b32_e32 v35, 7, v2
; %bb.1437:                             ;   in Loop: Header=BB450_13 Depth=1
	s_or_b32 exec_lo, exec_lo, s25
	v_lshlrev_b32_e32 v0, 24, v0
	s_delay_alu instid0(VALU_DEP_2) | instskip(SKIP_1) | instid1(VALU_DEP_3)
	v_lshlrev_b32_e32 v2, 20, v35
	v_lshl_add_u32 v1, v1, 23, 0x3c000000
	v_and_b32_e32 v0, 0x80000000, v0
	s_delay_alu instid0(VALU_DEP_1)
	v_or3_b32 v1, v2, v0, v1
.LBB450_1438:                           ;   in Loop: Header=BB450_13 Depth=1
	s_or_b32 exec_lo, exec_lo, s24
.LBB450_1439:                           ;   in Loop: Header=BB450_13 Depth=1
	s_delay_alu instid0(SALU_CYCLE_1)
	s_or_b32 exec_lo, exec_lo, s23
.LBB450_1440:                           ;   in Loop: Header=BB450_13 Depth=1
	s_delay_alu instid0(SALU_CYCLE_1) | instskip(NEXT) | instid1(VALU_DEP_1)
	s_or_b32 exec_lo, exec_lo, s22
	v_mul_f32_e32 v0, v121, v1
                                        ; implicit-def: $vgpr164
	s_delay_alu instid0(VALU_DEP_1) | instskip(NEXT) | instid1(VALU_DEP_1)
	v_and_b32_e32 v1, 0x7f800000, v0
	v_cmp_ne_u32_e64 s2, 0x7f800000, v1
	s_delay_alu instid0(VALU_DEP_1) | instskip(NEXT) | instid1(SALU_CYCLE_1)
	s_and_saveexec_b32 s22, s2
	s_xor_b32 s2, exec_lo, s22
; %bb.1441:                             ;   in Loop: Header=BB450_13 Depth=1
	v_bfe_u32 v1, v0, 16, 1
	s_delay_alu instid0(VALU_DEP_1)
	v_add3_u32 v164, v0, v1, 0x7fff
                                        ; implicit-def: $vgpr0
; %bb.1442:                             ;   in Loop: Header=BB450_13 Depth=1
	s_and_not1_saveexec_b32 s22, s2
; %bb.1443:                             ;   in Loop: Header=BB450_13 Depth=1
	v_and_b32_e32 v1, 0xffff, v0
	v_or_b32_e32 v2, 0x10000, v0
	s_delay_alu instid0(VALU_DEP_2) | instskip(NEXT) | instid1(VALU_DEP_1)
	v_cmp_eq_u32_e64 s2, 0, v1
	v_cndmask_b32_e64 v164, v2, v0, s2
; %bb.1444:                             ;   in Loop: Header=BB450_13 Depth=1
	s_or_b32 exec_lo, exec_lo, s22
	v_mov_b32_e32 v1, 0
	s_mov_b32 s22, exec_lo
	v_cmpx_lt_u64_e64 s[8:9], v[33:34]
	s_cbranch_execz .LBB450_1452
; %bb.1445:                             ;   in Loop: Header=BB450_13 Depth=1
	v_lshrrev_b32_e32 v0, 24, v34
	v_bfrev_b32_e32 v1, 1
	s_mov_b32 s23, exec_lo
	s_delay_alu instid0(VALU_DEP_2)
	v_cmpx_ne_u32_e32 0x80, v0
	s_cbranch_execz .LBB450_1451
; %bb.1446:                             ;   in Loop: Header=BB450_13 Depth=1
	v_bfe_u32 v2, v34, 24, 7
	v_mov_b32_e32 v1, 0x7f800001
	s_mov_b32 s24, exec_lo
	s_delay_alu instid0(VALU_DEP_2)
	v_cmpx_ne_u32_e32 0x7f, v2
	s_cbranch_execz .LBB450_1450
; %bb.1447:                             ;   in Loop: Header=BB450_13 Depth=1
	v_and_b32_e32 v19, 7, v0
	v_lshrrev_b32_e32 v1, 3, v2
	v_mov_b32_e32 v34, v20
	s_mov_b32 s25, exec_lo
	s_delay_alu instid0(VALU_DEP_3)
	v_mov_b32_e32 v33, v19
	v_cmpx_gt_u32_e32 8, v2
; %bb.1448:                             ;   in Loop: Header=BB450_13 Depth=1
	v_clz_i32_u32_e32 v1, v19
	s_delay_alu instid0(VALU_DEP_1) | instskip(NEXT) | instid1(VALU_DEP_1)
	v_min_u32_e32 v1, 32, v1
	v_subrev_nc_u32_e32 v2, 28, v1
	v_sub_nc_u32_e32 v1, 29, v1
	s_delay_alu instid0(VALU_DEP_2) | instskip(NEXT) | instid1(VALU_DEP_1)
	v_lshlrev_b64 v[2:3], v2, v[19:20]
	v_and_b32_e32 v33, 7, v2
; %bb.1449:                             ;   in Loop: Header=BB450_13 Depth=1
	s_or_b32 exec_lo, exec_lo, s25
	v_lshlrev_b32_e32 v0, 24, v0
	s_delay_alu instid0(VALU_DEP_2) | instskip(SKIP_1) | instid1(VALU_DEP_3)
	v_lshlrev_b32_e32 v2, 20, v33
	v_lshl_add_u32 v1, v1, 23, 0x3c000000
	v_and_b32_e32 v0, 0x80000000, v0
	s_delay_alu instid0(VALU_DEP_1)
	v_or3_b32 v1, v2, v0, v1
.LBB450_1450:                           ;   in Loop: Header=BB450_13 Depth=1
	s_or_b32 exec_lo, exec_lo, s24
.LBB450_1451:                           ;   in Loop: Header=BB450_13 Depth=1
	s_delay_alu instid0(SALU_CYCLE_1)
	s_or_b32 exec_lo, exec_lo, s23
.LBB450_1452:                           ;   in Loop: Header=BB450_13 Depth=1
	s_delay_alu instid0(SALU_CYCLE_1) | instskip(NEXT) | instid1(VALU_DEP_1)
	s_or_b32 exec_lo, exec_lo, s22
	v_mul_f32_e32 v0, v121, v1
                                        ; implicit-def: $vgpr165
	s_delay_alu instid0(VALU_DEP_1) | instskip(NEXT) | instid1(VALU_DEP_1)
	v_and_b32_e32 v1, 0x7f800000, v0
	v_cmp_ne_u32_e64 s2, 0x7f800000, v1
	s_delay_alu instid0(VALU_DEP_1) | instskip(NEXT) | instid1(SALU_CYCLE_1)
	s_and_saveexec_b32 s22, s2
	s_xor_b32 s2, exec_lo, s22
; %bb.1453:                             ;   in Loop: Header=BB450_13 Depth=1
	v_bfe_u32 v1, v0, 16, 1
	s_delay_alu instid0(VALU_DEP_1)
	v_add3_u32 v165, v0, v1, 0x7fff
                                        ; implicit-def: $vgpr0
; %bb.1454:                             ;   in Loop: Header=BB450_13 Depth=1
	s_and_not1_saveexec_b32 s22, s2
; %bb.1455:                             ;   in Loop: Header=BB450_13 Depth=1
	v_and_b32_e32 v1, 0xffff, v0
	v_or_b32_e32 v2, 0x10000, v0
	s_delay_alu instid0(VALU_DEP_2) | instskip(NEXT) | instid1(VALU_DEP_1)
	v_cmp_eq_u32_e64 s2, 0, v1
	v_cndmask_b32_e64 v165, v2, v0, s2
; %bb.1456:                             ;   in Loop: Header=BB450_13 Depth=1
	s_or_b32 exec_lo, exec_lo, s22
	flat_load_b64 v[33:34], v[31:32] offset:3592
	s_mov_b32 s22, exec_lo
	s_waitcnt vmcnt(0) lgkmcnt(0)
	v_dual_mov_b32 v0, 0 :: v_dual_and_b32 v1, 0xff, v33
	s_delay_alu instid0(VALU_DEP_1)
	v_cmpx_ne_u16_e32 0, v1
	s_cbranch_execz .LBB450_1464
; %bb.1457:                             ;   in Loop: Header=BB450_13 Depth=1
	v_bfrev_b32_e32 v0, 1
	s_mov_b32 s23, exec_lo
	v_cmpx_ne_u16_e32 0x80, v1
	s_cbranch_execz .LBB450_1463
; %bb.1458:                             ;   in Loop: Header=BB450_13 Depth=1
	v_and_b32_e32 v1, 0x7f, v33
	v_mov_b32_e32 v0, 0x7f800001
	s_mov_b32 s24, exec_lo
	s_delay_alu instid0(VALU_DEP_2)
	v_cmpx_ne_u32_e32 0x7f, v1
	s_cbranch_execz .LBB450_1462
; %bb.1459:                             ;   in Loop: Header=BB450_13 Depth=1
	v_lshrrev_b32_e32 v0, 3, v1
	v_dual_mov_b32 v36, v34 :: v_dual_mov_b32 v35, v33
	s_mov_b32 s25, exec_lo
	v_cmpx_gt_u32_e32 8, v1
; %bb.1460:                             ;   in Loop: Header=BB450_13 Depth=1
	v_and_b32_e32 v0, 7, v33
	s_delay_alu instid0(VALU_DEP_1) | instskip(NEXT) | instid1(VALU_DEP_1)
	v_clz_i32_u32_e32 v0, v0
	v_min_u32_e32 v0, 32, v0
	s_delay_alu instid0(VALU_DEP_1) | instskip(SKIP_1) | instid1(VALU_DEP_2)
	v_subrev_nc_u32_e32 v1, 28, v0
	v_sub_nc_u32_e32 v0, 29, v0
	v_lshlrev_b64 v[35:36], v1, v[33:34]
; %bb.1461:                             ;   in Loop: Header=BB450_13 Depth=1
	s_or_b32 exec_lo, exec_lo, s25
	s_delay_alu instid0(VALU_DEP_1) | instskip(SKIP_2) | instid1(VALU_DEP_3)
	v_lshlrev_b32_e32 v1, 20, v35
	v_lshlrev_b32_e32 v2, 24, v33
	v_lshl_add_u32 v0, v0, 23, 0x3c000000
	v_and_b32_e32 v1, 0x700000, v1
	s_delay_alu instid0(VALU_DEP_3) | instskip(NEXT) | instid1(VALU_DEP_1)
	v_and_b32_e32 v2, 0x80000000, v2
	v_or3_b32 v0, v1, v2, v0
.LBB450_1462:                           ;   in Loop: Header=BB450_13 Depth=1
	s_or_b32 exec_lo, exec_lo, s24
.LBB450_1463:                           ;   in Loop: Header=BB450_13 Depth=1
	s_delay_alu instid0(SALU_CYCLE_1)
	s_or_b32 exec_lo, exec_lo, s23
.LBB450_1464:                           ;   in Loop: Header=BB450_13 Depth=1
	s_delay_alu instid0(SALU_CYCLE_1) | instskip(NEXT) | instid1(VALU_DEP_1)
	s_or_b32 exec_lo, exec_lo, s22
	v_mul_f32_e32 v0, v121, v0
                                        ; implicit-def: $vgpr166
	s_delay_alu instid0(VALU_DEP_1) | instskip(NEXT) | instid1(VALU_DEP_1)
	v_and_b32_e32 v1, 0x7f800000, v0
	v_cmp_ne_u32_e64 s2, 0x7f800000, v1
	s_delay_alu instid0(VALU_DEP_1) | instskip(NEXT) | instid1(SALU_CYCLE_1)
	s_and_saveexec_b32 s22, s2
	s_xor_b32 s2, exec_lo, s22
; %bb.1465:                             ;   in Loop: Header=BB450_13 Depth=1
	v_bfe_u32 v1, v0, 16, 1
	s_delay_alu instid0(VALU_DEP_1)
	v_add3_u32 v166, v0, v1, 0x7fff
                                        ; implicit-def: $vgpr0
; %bb.1466:                             ;   in Loop: Header=BB450_13 Depth=1
	s_and_not1_saveexec_b32 s22, s2
; %bb.1467:                             ;   in Loop: Header=BB450_13 Depth=1
	v_and_b32_e32 v1, 0xffff, v0
	v_or_b32_e32 v2, 0x10000, v0
	s_delay_alu instid0(VALU_DEP_2) | instskip(NEXT) | instid1(VALU_DEP_1)
	v_cmp_eq_u32_e64 s2, 0, v1
	v_cndmask_b32_e64 v166, v2, v0, s2
; %bb.1468:                             ;   in Loop: Header=BB450_13 Depth=1
	s_or_b32 exec_lo, exec_lo, s22
	v_lshrrev_b16 v1, 8, v33
	v_mov_b32_e32 v0, 0
	s_mov_b32 s22, exec_lo
	s_delay_alu instid0(VALU_DEP_2)
	v_cmpx_ne_u16_e32 0, v1
	s_cbranch_execz .LBB450_1476
; %bb.1469:                             ;   in Loop: Header=BB450_13 Depth=1
	v_bfrev_b32_e32 v0, 1
	s_mov_b32 s23, exec_lo
	v_cmpx_ne_u16_e32 0x80, v1
	s_cbranch_execz .LBB450_1475
; %bb.1470:                             ;   in Loop: Header=BB450_13 Depth=1
	v_and_b32_e32 v2, 0xffff, v1
	v_mov_b32_e32 v0, 0x7f800001
	s_mov_b32 s24, exec_lo
	s_delay_alu instid0(VALU_DEP_2) | instskip(NEXT) | instid1(VALU_DEP_1)
	v_and_b32_e32 v1, 0x7f, v2
	v_cmpx_ne_u32_e32 0x7f, v1
	s_cbranch_execz .LBB450_1474
; %bb.1471:                             ;   in Loop: Header=BB450_13 Depth=1
	v_and_b32_e32 v19, 7, v2
	v_mov_b32_e32 v36, v20
	v_lshrrev_b32_e32 v0, 3, v1
	s_mov_b32 s25, exec_lo
	s_delay_alu instid0(VALU_DEP_3)
	v_mov_b32_e32 v35, v19
	v_cmpx_gt_u32_e32 8, v1
; %bb.1472:                             ;   in Loop: Header=BB450_13 Depth=1
	v_clz_i32_u32_e32 v0, v19
	s_delay_alu instid0(VALU_DEP_1) | instskip(NEXT) | instid1(VALU_DEP_1)
	v_min_u32_e32 v0, 32, v0
	v_subrev_nc_u32_e32 v1, 28, v0
	v_sub_nc_u32_e32 v0, 29, v0
	s_delay_alu instid0(VALU_DEP_2) | instskip(NEXT) | instid1(VALU_DEP_1)
	v_lshlrev_b64 v[1:2], v1, v[19:20]
	v_and_b32_e32 v35, 7, v1
; %bb.1473:                             ;   in Loop: Header=BB450_13 Depth=1
	s_or_b32 exec_lo, exec_lo, s25
	v_lshlrev_b32_e32 v1, 16, v33
	s_delay_alu instid0(VALU_DEP_2) | instskip(SKIP_1) | instid1(VALU_DEP_3)
	v_lshlrev_b32_e32 v2, 20, v35
	v_lshl_add_u32 v0, v0, 23, 0x3c000000
	v_and_b32_e32 v1, 0x80000000, v1
	s_delay_alu instid0(VALU_DEP_1)
	v_or3_b32 v0, v2, v1, v0
.LBB450_1474:                           ;   in Loop: Header=BB450_13 Depth=1
	s_or_b32 exec_lo, exec_lo, s24
.LBB450_1475:                           ;   in Loop: Header=BB450_13 Depth=1
	s_delay_alu instid0(SALU_CYCLE_1)
	s_or_b32 exec_lo, exec_lo, s23
.LBB450_1476:                           ;   in Loop: Header=BB450_13 Depth=1
	s_delay_alu instid0(SALU_CYCLE_1) | instskip(NEXT) | instid1(VALU_DEP_1)
	s_or_b32 exec_lo, exec_lo, s22
	v_mul_f32_e32 v0, v121, v0
                                        ; implicit-def: $vgpr167
	s_delay_alu instid0(VALU_DEP_1) | instskip(NEXT) | instid1(VALU_DEP_1)
	v_and_b32_e32 v1, 0x7f800000, v0
	v_cmp_ne_u32_e64 s2, 0x7f800000, v1
	s_delay_alu instid0(VALU_DEP_1) | instskip(NEXT) | instid1(SALU_CYCLE_1)
	s_and_saveexec_b32 s22, s2
	s_xor_b32 s2, exec_lo, s22
; %bb.1477:                             ;   in Loop: Header=BB450_13 Depth=1
	v_bfe_u32 v1, v0, 16, 1
	s_delay_alu instid0(VALU_DEP_1)
	v_add3_u32 v167, v0, v1, 0x7fff
                                        ; implicit-def: $vgpr0
; %bb.1478:                             ;   in Loop: Header=BB450_13 Depth=1
	s_and_not1_saveexec_b32 s22, s2
; %bb.1479:                             ;   in Loop: Header=BB450_13 Depth=1
	v_and_b32_e32 v1, 0xffff, v0
	v_or_b32_e32 v2, 0x10000, v0
	s_delay_alu instid0(VALU_DEP_2) | instskip(NEXT) | instid1(VALU_DEP_1)
	v_cmp_eq_u32_e64 s2, 0, v1
	v_cndmask_b32_e64 v167, v2, v0, s2
; %bb.1480:                             ;   in Loop: Header=BB450_13 Depth=1
	s_or_b32 exec_lo, exec_lo, s22
	v_lshrrev_b32_e32 v0, 16, v33
	s_mov_b32 s22, exec_lo
	s_delay_alu instid0(VALU_DEP_1) | instskip(NEXT) | instid1(VALU_DEP_1)
	v_dual_mov_b32 v1, 0 :: v_dual_and_b32 v2, 0xff, v0
	v_cmpx_ne_u16_e32 0, v2
	s_cbranch_execz .LBB450_1488
; %bb.1481:                             ;   in Loop: Header=BB450_13 Depth=1
	v_bfrev_b32_e32 v1, 1
	s_mov_b32 s23, exec_lo
	v_cmpx_ne_u16_e32 0x80, v2
	s_cbranch_execz .LBB450_1487
; %bb.1482:                             ;   in Loop: Header=BB450_13 Depth=1
	v_bfe_u32 v2, v33, 16, 7
	v_mov_b32_e32 v1, 0x7f800001
	s_mov_b32 s24, exec_lo
	s_delay_alu instid0(VALU_DEP_2)
	v_cmpx_ne_u32_e32 0x7f, v2
	s_cbranch_execz .LBB450_1486
; %bb.1483:                             ;   in Loop: Header=BB450_13 Depth=1
	v_and_b32_e32 v19, 7, v0
	v_mov_b32_e32 v36, v20
	v_lshrrev_b32_e32 v1, 3, v2
	s_mov_b32 s25, exec_lo
	s_delay_alu instid0(VALU_DEP_3)
	v_mov_b32_e32 v35, v19
	v_cmpx_gt_u32_e32 8, v2
; %bb.1484:                             ;   in Loop: Header=BB450_13 Depth=1
	v_clz_i32_u32_e32 v1, v19
	s_delay_alu instid0(VALU_DEP_1) | instskip(NEXT) | instid1(VALU_DEP_1)
	v_min_u32_e32 v1, 32, v1
	v_subrev_nc_u32_e32 v2, 28, v1
	v_sub_nc_u32_e32 v1, 29, v1
	s_delay_alu instid0(VALU_DEP_2) | instskip(NEXT) | instid1(VALU_DEP_1)
	v_lshlrev_b64 v[2:3], v2, v[19:20]
	v_and_b32_e32 v35, 7, v2
; %bb.1485:                             ;   in Loop: Header=BB450_13 Depth=1
	s_or_b32 exec_lo, exec_lo, s25
	v_lshlrev_b32_e32 v0, 24, v0
	s_delay_alu instid0(VALU_DEP_2) | instskip(SKIP_1) | instid1(VALU_DEP_3)
	v_lshlrev_b32_e32 v2, 20, v35
	v_lshl_add_u32 v1, v1, 23, 0x3c000000
	v_and_b32_e32 v0, 0x80000000, v0
	s_delay_alu instid0(VALU_DEP_1)
	v_or3_b32 v1, v2, v0, v1
.LBB450_1486:                           ;   in Loop: Header=BB450_13 Depth=1
	s_or_b32 exec_lo, exec_lo, s24
.LBB450_1487:                           ;   in Loop: Header=BB450_13 Depth=1
	s_delay_alu instid0(SALU_CYCLE_1)
	s_or_b32 exec_lo, exec_lo, s23
.LBB450_1488:                           ;   in Loop: Header=BB450_13 Depth=1
	s_delay_alu instid0(SALU_CYCLE_1) | instskip(NEXT) | instid1(VALU_DEP_1)
	s_or_b32 exec_lo, exec_lo, s22
	v_mul_f32_e32 v0, v121, v1
                                        ; implicit-def: $vgpr176
	s_delay_alu instid0(VALU_DEP_1) | instskip(NEXT) | instid1(VALU_DEP_1)
	v_and_b32_e32 v1, 0x7f800000, v0
	v_cmp_ne_u32_e64 s2, 0x7f800000, v1
	s_delay_alu instid0(VALU_DEP_1) | instskip(NEXT) | instid1(SALU_CYCLE_1)
	s_and_saveexec_b32 s22, s2
	s_xor_b32 s2, exec_lo, s22
; %bb.1489:                             ;   in Loop: Header=BB450_13 Depth=1
	v_bfe_u32 v1, v0, 16, 1
	s_delay_alu instid0(VALU_DEP_1)
	v_add3_u32 v176, v0, v1, 0x7fff
                                        ; implicit-def: $vgpr0
; %bb.1490:                             ;   in Loop: Header=BB450_13 Depth=1
	s_and_not1_saveexec_b32 s22, s2
; %bb.1491:                             ;   in Loop: Header=BB450_13 Depth=1
	v_and_b32_e32 v1, 0xffff, v0
	v_or_b32_e32 v2, 0x10000, v0
	s_delay_alu instid0(VALU_DEP_2) | instskip(NEXT) | instid1(VALU_DEP_1)
	v_cmp_eq_u32_e64 s2, 0, v1
	v_cndmask_b32_e64 v176, v2, v0, s2
; %bb.1492:                             ;   in Loop: Header=BB450_13 Depth=1
	s_or_b32 exec_lo, exec_lo, s22
	v_mov_b32_e32 v1, 0
	s_mov_b32 s22, exec_lo
	v_cmpx_lt_u32_e32 0xffffff, v33
	s_cbranch_execz .LBB450_1500
; %bb.1493:                             ;   in Loop: Header=BB450_13 Depth=1
	v_lshrrev_b32_e32 v0, 24, v33
	v_bfrev_b32_e32 v1, 1
	s_mov_b32 s23, exec_lo
	s_delay_alu instid0(VALU_DEP_2)
	v_cmpx_ne_u32_e32 0x80, v0
	s_cbranch_execz .LBB450_1499
; %bb.1494:                             ;   in Loop: Header=BB450_13 Depth=1
	v_bfe_u32 v2, v33, 24, 7
	v_mov_b32_e32 v1, 0x7f800001
	s_mov_b32 s24, exec_lo
	s_delay_alu instid0(VALU_DEP_2)
	v_cmpx_ne_u32_e32 0x7f, v2
	s_cbranch_execz .LBB450_1498
; %bb.1495:                             ;   in Loop: Header=BB450_13 Depth=1
	v_and_b32_e32 v19, 7, v0
	v_mov_b32_e32 v36, v20
	v_lshrrev_b32_e32 v1, 3, v2
	s_mov_b32 s25, exec_lo
	s_delay_alu instid0(VALU_DEP_3)
	v_mov_b32_e32 v35, v19
	v_cmpx_gt_u32_e32 8, v2
; %bb.1496:                             ;   in Loop: Header=BB450_13 Depth=1
	v_clz_i32_u32_e32 v1, v19
	s_delay_alu instid0(VALU_DEP_1) | instskip(NEXT) | instid1(VALU_DEP_1)
	v_min_u32_e32 v1, 32, v1
	v_subrev_nc_u32_e32 v2, 28, v1
	v_sub_nc_u32_e32 v1, 29, v1
	s_delay_alu instid0(VALU_DEP_2) | instskip(NEXT) | instid1(VALU_DEP_1)
	v_lshlrev_b64 v[2:3], v2, v[19:20]
	v_and_b32_e32 v35, 7, v2
; %bb.1497:                             ;   in Loop: Header=BB450_13 Depth=1
	s_or_b32 exec_lo, exec_lo, s25
	v_lshlrev_b32_e32 v0, 24, v0
	s_delay_alu instid0(VALU_DEP_2) | instskip(SKIP_1) | instid1(VALU_DEP_3)
	v_lshlrev_b32_e32 v2, 20, v35
	v_lshl_add_u32 v1, v1, 23, 0x3c000000
	v_and_b32_e32 v0, 0x80000000, v0
	s_delay_alu instid0(VALU_DEP_1)
	v_or3_b32 v1, v2, v0, v1
.LBB450_1498:                           ;   in Loop: Header=BB450_13 Depth=1
	s_or_b32 exec_lo, exec_lo, s24
.LBB450_1499:                           ;   in Loop: Header=BB450_13 Depth=1
	s_delay_alu instid0(SALU_CYCLE_1)
	s_or_b32 exec_lo, exec_lo, s23
.LBB450_1500:                           ;   in Loop: Header=BB450_13 Depth=1
	s_delay_alu instid0(SALU_CYCLE_1) | instskip(NEXT) | instid1(VALU_DEP_1)
	s_or_b32 exec_lo, exec_lo, s22
	v_mul_f32_e32 v0, v121, v1
                                        ; implicit-def: $vgpr177
	s_delay_alu instid0(VALU_DEP_1) | instskip(NEXT) | instid1(VALU_DEP_1)
	v_and_b32_e32 v1, 0x7f800000, v0
	v_cmp_ne_u32_e64 s2, 0x7f800000, v1
	s_delay_alu instid0(VALU_DEP_1) | instskip(NEXT) | instid1(SALU_CYCLE_1)
	s_and_saveexec_b32 s22, s2
	s_xor_b32 s2, exec_lo, s22
; %bb.1501:                             ;   in Loop: Header=BB450_13 Depth=1
	v_bfe_u32 v1, v0, 16, 1
	s_delay_alu instid0(VALU_DEP_1)
	v_add3_u32 v177, v0, v1, 0x7fff
                                        ; implicit-def: $vgpr0
; %bb.1502:                             ;   in Loop: Header=BB450_13 Depth=1
	s_and_not1_saveexec_b32 s22, s2
; %bb.1503:                             ;   in Loop: Header=BB450_13 Depth=1
	v_and_b32_e32 v1, 0xffff, v0
	v_or_b32_e32 v2, 0x10000, v0
	s_delay_alu instid0(VALU_DEP_2) | instskip(NEXT) | instid1(VALU_DEP_1)
	v_cmp_eq_u32_e64 s2, 0, v1
	v_cndmask_b32_e64 v177, v2, v0, s2
; %bb.1504:                             ;   in Loop: Header=BB450_13 Depth=1
	s_or_b32 exec_lo, exec_lo, s22
	v_dual_mov_b32 v0, 0 :: v_dual_and_b32 v1, 0xff, v34
	v_mov_b32_e32 v19, v34
	s_mov_b32 s22, exec_lo
	s_delay_alu instid0(VALU_DEP_2)
	v_cmpx_ne_u16_e32 0, v1
	s_cbranch_execz .LBB450_1512
; %bb.1505:                             ;   in Loop: Header=BB450_13 Depth=1
	v_bfrev_b32_e32 v0, 1
	s_mov_b32 s23, exec_lo
	v_cmpx_ne_u16_e32 0x80, v1
	s_cbranch_execz .LBB450_1511
; %bb.1506:                             ;   in Loop: Header=BB450_13 Depth=1
	v_and_b32_e32 v1, 0x7f, v34
	v_mov_b32_e32 v0, 0x7f800001
	s_mov_b32 s24, exec_lo
	s_delay_alu instid0(VALU_DEP_2)
	v_cmpx_ne_u32_e32 0x7f, v1
	s_cbranch_execz .LBB450_1510
; %bb.1507:                             ;   in Loop: Header=BB450_13 Depth=1
	v_dual_mov_b32 v36, v20 :: v_dual_mov_b32 v35, v19
	v_lshrrev_b32_e32 v0, 3, v1
	s_mov_b32 s25, exec_lo
	v_cmpx_gt_u32_e32 8, v1
; %bb.1508:                             ;   in Loop: Header=BB450_13 Depth=1
	v_and_b32_e32 v0, 7, v34
	s_delay_alu instid0(VALU_DEP_1) | instskip(NEXT) | instid1(VALU_DEP_1)
	v_clz_i32_u32_e32 v0, v0
	v_min_u32_e32 v0, 32, v0
	s_delay_alu instid0(VALU_DEP_1) | instskip(SKIP_1) | instid1(VALU_DEP_2)
	v_subrev_nc_u32_e32 v1, 28, v0
	v_sub_nc_u32_e32 v0, 29, v0
	v_lshlrev_b64 v[35:36], v1, v[19:20]
; %bb.1509:                             ;   in Loop: Header=BB450_13 Depth=1
	s_or_b32 exec_lo, exec_lo, s25
	s_delay_alu instid0(VALU_DEP_1) | instskip(SKIP_2) | instid1(VALU_DEP_3)
	v_lshlrev_b32_e32 v1, 20, v35
	v_lshlrev_b32_e32 v2, 24, v19
	v_lshl_add_u32 v0, v0, 23, 0x3c000000
	v_and_b32_e32 v1, 0x700000, v1
	s_delay_alu instid0(VALU_DEP_3) | instskip(NEXT) | instid1(VALU_DEP_1)
	v_and_b32_e32 v2, 0x80000000, v2
	v_or3_b32 v0, v1, v2, v0
.LBB450_1510:                           ;   in Loop: Header=BB450_13 Depth=1
	s_or_b32 exec_lo, exec_lo, s24
.LBB450_1511:                           ;   in Loop: Header=BB450_13 Depth=1
	s_delay_alu instid0(SALU_CYCLE_1)
	s_or_b32 exec_lo, exec_lo, s23
.LBB450_1512:                           ;   in Loop: Header=BB450_13 Depth=1
	s_delay_alu instid0(SALU_CYCLE_1) | instskip(NEXT) | instid1(VALU_DEP_1)
	s_or_b32 exec_lo, exec_lo, s22
	v_mul_f32_e32 v0, v121, v0
                                        ; implicit-def: $vgpr178
	s_delay_alu instid0(VALU_DEP_1) | instskip(NEXT) | instid1(VALU_DEP_1)
	v_and_b32_e32 v1, 0x7f800000, v0
	v_cmp_ne_u32_e64 s2, 0x7f800000, v1
	s_delay_alu instid0(VALU_DEP_1) | instskip(NEXT) | instid1(SALU_CYCLE_1)
	s_and_saveexec_b32 s22, s2
	s_xor_b32 s2, exec_lo, s22
; %bb.1513:                             ;   in Loop: Header=BB450_13 Depth=1
	v_bfe_u32 v1, v0, 16, 1
	s_delay_alu instid0(VALU_DEP_1)
	v_add3_u32 v178, v0, v1, 0x7fff
                                        ; implicit-def: $vgpr0
; %bb.1514:                             ;   in Loop: Header=BB450_13 Depth=1
	s_and_not1_saveexec_b32 s22, s2
; %bb.1515:                             ;   in Loop: Header=BB450_13 Depth=1
	v_and_b32_e32 v1, 0xffff, v0
	v_or_b32_e32 v2, 0x10000, v0
	s_delay_alu instid0(VALU_DEP_2) | instskip(NEXT) | instid1(VALU_DEP_1)
	v_cmp_eq_u32_e64 s2, 0, v1
	v_cndmask_b32_e64 v178, v2, v0, s2
; %bb.1516:                             ;   in Loop: Header=BB450_13 Depth=1
	s_or_b32 exec_lo, exec_lo, s22
	v_lshrrev_b16 v1, 8, v19
	v_mov_b32_e32 v0, 0
	s_mov_b32 s22, exec_lo
	s_delay_alu instid0(VALU_DEP_2)
	v_cmpx_ne_u16_e32 0, v1
	s_cbranch_execz .LBB450_1524
; %bb.1517:                             ;   in Loop: Header=BB450_13 Depth=1
	v_bfrev_b32_e32 v0, 1
	s_mov_b32 s23, exec_lo
	v_cmpx_ne_u16_e32 0x80, v1
	s_cbranch_execz .LBB450_1523
; %bb.1518:                             ;   in Loop: Header=BB450_13 Depth=1
	v_and_b32_e32 v2, 0xffff, v1
	v_mov_b32_e32 v0, 0x7f800001
	s_mov_b32 s24, exec_lo
	s_delay_alu instid0(VALU_DEP_2) | instskip(NEXT) | instid1(VALU_DEP_1)
	v_and_b32_e32 v1, 0x7f, v2
	v_cmpx_ne_u32_e32 0x7f, v1
	s_cbranch_execz .LBB450_1522
; %bb.1519:                             ;   in Loop: Header=BB450_13 Depth=1
	v_dual_mov_b32 v36, v20 :: v_dual_and_b32 v35, 7, v2
	v_lshrrev_b32_e32 v0, 3, v1
	s_mov_b32 s25, exec_lo
	v_cmpx_gt_u32_e32 8, v1
; %bb.1520:                             ;   in Loop: Header=BB450_13 Depth=1
	s_delay_alu instid0(VALU_DEP_3) | instskip(NEXT) | instid1(VALU_DEP_1)
	v_clz_i32_u32_e32 v0, v35
	v_min_u32_e32 v0, 32, v0
	s_delay_alu instid0(VALU_DEP_1) | instskip(SKIP_1) | instid1(VALU_DEP_2)
	v_subrev_nc_u32_e32 v1, 28, v0
	v_sub_nc_u32_e32 v0, 29, v0
	v_lshlrev_b64 v[1:2], v1, v[35:36]
	s_delay_alu instid0(VALU_DEP_1)
	v_and_b32_e32 v35, 7, v1
; %bb.1521:                             ;   in Loop: Header=BB450_13 Depth=1
	s_or_b32 exec_lo, exec_lo, s25
	v_lshlrev_b32_e32 v1, 16, v19
	s_delay_alu instid0(VALU_DEP_2) | instskip(SKIP_1) | instid1(VALU_DEP_3)
	v_lshlrev_b32_e32 v2, 20, v35
	v_lshl_add_u32 v0, v0, 23, 0x3c000000
	v_and_b32_e32 v1, 0x80000000, v1
	s_delay_alu instid0(VALU_DEP_1)
	v_or3_b32 v0, v2, v1, v0
.LBB450_1522:                           ;   in Loop: Header=BB450_13 Depth=1
	s_or_b32 exec_lo, exec_lo, s24
.LBB450_1523:                           ;   in Loop: Header=BB450_13 Depth=1
	s_delay_alu instid0(SALU_CYCLE_1)
	s_or_b32 exec_lo, exec_lo, s23
.LBB450_1524:                           ;   in Loop: Header=BB450_13 Depth=1
	s_delay_alu instid0(SALU_CYCLE_1) | instskip(NEXT) | instid1(VALU_DEP_1)
	s_or_b32 exec_lo, exec_lo, s22
	v_mul_f32_e32 v0, v121, v0
                                        ; implicit-def: $vgpr179
	s_delay_alu instid0(VALU_DEP_1) | instskip(NEXT) | instid1(VALU_DEP_1)
	v_and_b32_e32 v1, 0x7f800000, v0
	v_cmp_ne_u32_e64 s2, 0x7f800000, v1
	s_delay_alu instid0(VALU_DEP_1) | instskip(NEXT) | instid1(SALU_CYCLE_1)
	s_and_saveexec_b32 s22, s2
	s_xor_b32 s2, exec_lo, s22
; %bb.1525:                             ;   in Loop: Header=BB450_13 Depth=1
	v_bfe_u32 v1, v0, 16, 1
	s_delay_alu instid0(VALU_DEP_1)
	v_add3_u32 v179, v0, v1, 0x7fff
                                        ; implicit-def: $vgpr0
; %bb.1526:                             ;   in Loop: Header=BB450_13 Depth=1
	s_and_not1_saveexec_b32 s22, s2
; %bb.1527:                             ;   in Loop: Header=BB450_13 Depth=1
	v_and_b32_e32 v1, 0xffff, v0
	v_or_b32_e32 v2, 0x10000, v0
	s_delay_alu instid0(VALU_DEP_2) | instskip(NEXT) | instid1(VALU_DEP_1)
	v_cmp_eq_u32_e64 s2, 0, v1
	v_cndmask_b32_e64 v179, v2, v0, s2
; %bb.1528:                             ;   in Loop: Header=BB450_13 Depth=1
	s_or_b32 exec_lo, exec_lo, s22
	v_lshrrev_b32_e32 v0, 16, v34
	s_mov_b32 s22, exec_lo
	s_delay_alu instid0(VALU_DEP_1) | instskip(NEXT) | instid1(VALU_DEP_1)
	v_dual_mov_b32 v1, 0 :: v_dual_and_b32 v2, 0xff, v0
	v_cmpx_ne_u16_e32 0, v2
	s_cbranch_execz .LBB450_1536
; %bb.1529:                             ;   in Loop: Header=BB450_13 Depth=1
	v_bfrev_b32_e32 v1, 1
	s_mov_b32 s23, exec_lo
	v_cmpx_ne_u16_e32 0x80, v2
	s_cbranch_execz .LBB450_1535
; %bb.1530:                             ;   in Loop: Header=BB450_13 Depth=1
	v_bfe_u32 v2, v34, 16, 7
	v_mov_b32_e32 v1, 0x7f800001
	s_mov_b32 s24, exec_lo
	s_delay_alu instid0(VALU_DEP_2)
	v_cmpx_ne_u32_e32 0x7f, v2
	s_cbranch_execz .LBB450_1534
; %bb.1531:                             ;   in Loop: Header=BB450_13 Depth=1
	v_and_b32_e32 v19, 7, v0
	v_mov_b32_e32 v36, v20
	v_lshrrev_b32_e32 v1, 3, v2
	s_mov_b32 s25, exec_lo
	s_delay_alu instid0(VALU_DEP_3)
	v_mov_b32_e32 v35, v19
	v_cmpx_gt_u32_e32 8, v2
; %bb.1532:                             ;   in Loop: Header=BB450_13 Depth=1
	v_clz_i32_u32_e32 v1, v19
	s_delay_alu instid0(VALU_DEP_1) | instskip(NEXT) | instid1(VALU_DEP_1)
	v_min_u32_e32 v1, 32, v1
	v_subrev_nc_u32_e32 v2, 28, v1
	v_sub_nc_u32_e32 v1, 29, v1
	s_delay_alu instid0(VALU_DEP_2) | instskip(NEXT) | instid1(VALU_DEP_1)
	v_lshlrev_b64 v[2:3], v2, v[19:20]
	v_and_b32_e32 v35, 7, v2
; %bb.1533:                             ;   in Loop: Header=BB450_13 Depth=1
	s_or_b32 exec_lo, exec_lo, s25
	v_lshlrev_b32_e32 v0, 24, v0
	s_delay_alu instid0(VALU_DEP_2) | instskip(SKIP_1) | instid1(VALU_DEP_3)
	v_lshlrev_b32_e32 v2, 20, v35
	v_lshl_add_u32 v1, v1, 23, 0x3c000000
	v_and_b32_e32 v0, 0x80000000, v0
	s_delay_alu instid0(VALU_DEP_1)
	v_or3_b32 v1, v2, v0, v1
.LBB450_1534:                           ;   in Loop: Header=BB450_13 Depth=1
	s_or_b32 exec_lo, exec_lo, s24
.LBB450_1535:                           ;   in Loop: Header=BB450_13 Depth=1
	s_delay_alu instid0(SALU_CYCLE_1)
	s_or_b32 exec_lo, exec_lo, s23
.LBB450_1536:                           ;   in Loop: Header=BB450_13 Depth=1
	s_delay_alu instid0(SALU_CYCLE_1) | instskip(NEXT) | instid1(VALU_DEP_1)
	s_or_b32 exec_lo, exec_lo, s22
	v_mul_f32_e32 v0, v121, v1
                                        ; implicit-def: $vgpr180
	s_delay_alu instid0(VALU_DEP_1) | instskip(NEXT) | instid1(VALU_DEP_1)
	v_and_b32_e32 v1, 0x7f800000, v0
	v_cmp_ne_u32_e64 s2, 0x7f800000, v1
	s_delay_alu instid0(VALU_DEP_1) | instskip(NEXT) | instid1(SALU_CYCLE_1)
	s_and_saveexec_b32 s22, s2
	s_xor_b32 s2, exec_lo, s22
; %bb.1537:                             ;   in Loop: Header=BB450_13 Depth=1
	v_bfe_u32 v1, v0, 16, 1
	s_delay_alu instid0(VALU_DEP_1)
	v_add3_u32 v180, v0, v1, 0x7fff
                                        ; implicit-def: $vgpr0
; %bb.1538:                             ;   in Loop: Header=BB450_13 Depth=1
	s_and_not1_saveexec_b32 s22, s2
; %bb.1539:                             ;   in Loop: Header=BB450_13 Depth=1
	v_and_b32_e32 v1, 0xffff, v0
	v_or_b32_e32 v2, 0x10000, v0
	s_delay_alu instid0(VALU_DEP_2) | instskip(NEXT) | instid1(VALU_DEP_1)
	v_cmp_eq_u32_e64 s2, 0, v1
	v_cndmask_b32_e64 v180, v2, v0, s2
; %bb.1540:                             ;   in Loop: Header=BB450_13 Depth=1
	s_or_b32 exec_lo, exec_lo, s22
	v_mov_b32_e32 v1, 0
	s_mov_b32 s22, exec_lo
	v_cmpx_lt_u64_e64 s[8:9], v[33:34]
	s_cbranch_execz .LBB450_1548
; %bb.1541:                             ;   in Loop: Header=BB450_13 Depth=1
	v_lshrrev_b32_e32 v0, 24, v34
	v_bfrev_b32_e32 v1, 1
	s_mov_b32 s23, exec_lo
	s_delay_alu instid0(VALU_DEP_2)
	v_cmpx_ne_u32_e32 0x80, v0
	s_cbranch_execz .LBB450_1547
; %bb.1542:                             ;   in Loop: Header=BB450_13 Depth=1
	v_bfe_u32 v2, v34, 24, 7
	v_mov_b32_e32 v1, 0x7f800001
	s_mov_b32 s24, exec_lo
	s_delay_alu instid0(VALU_DEP_2)
	v_cmpx_ne_u32_e32 0x7f, v2
	s_cbranch_execz .LBB450_1546
; %bb.1543:                             ;   in Loop: Header=BB450_13 Depth=1
	v_and_b32_e32 v19, 7, v0
	v_mov_b32_e32 v34, v20
	v_lshrrev_b32_e32 v1, 3, v2
	s_mov_b32 s25, exec_lo
	s_delay_alu instid0(VALU_DEP_3)
	v_mov_b32_e32 v33, v19
	v_cmpx_gt_u32_e32 8, v2
; %bb.1544:                             ;   in Loop: Header=BB450_13 Depth=1
	v_clz_i32_u32_e32 v1, v19
	s_delay_alu instid0(VALU_DEP_1) | instskip(NEXT) | instid1(VALU_DEP_1)
	v_min_u32_e32 v1, 32, v1
	v_subrev_nc_u32_e32 v2, 28, v1
	v_sub_nc_u32_e32 v1, 29, v1
	s_delay_alu instid0(VALU_DEP_2) | instskip(NEXT) | instid1(VALU_DEP_1)
	v_lshlrev_b64 v[2:3], v2, v[19:20]
	v_and_b32_e32 v33, 7, v2
; %bb.1545:                             ;   in Loop: Header=BB450_13 Depth=1
	s_or_b32 exec_lo, exec_lo, s25
	v_lshlrev_b32_e32 v0, 24, v0
	s_delay_alu instid0(VALU_DEP_2) | instskip(SKIP_1) | instid1(VALU_DEP_3)
	v_lshlrev_b32_e32 v2, 20, v33
	v_lshl_add_u32 v1, v1, 23, 0x3c000000
	v_and_b32_e32 v0, 0x80000000, v0
	s_delay_alu instid0(VALU_DEP_1)
	v_or3_b32 v1, v2, v0, v1
.LBB450_1546:                           ;   in Loop: Header=BB450_13 Depth=1
	s_or_b32 exec_lo, exec_lo, s24
.LBB450_1547:                           ;   in Loop: Header=BB450_13 Depth=1
	s_delay_alu instid0(SALU_CYCLE_1)
	s_or_b32 exec_lo, exec_lo, s23
.LBB450_1548:                           ;   in Loop: Header=BB450_13 Depth=1
	s_delay_alu instid0(SALU_CYCLE_1) | instskip(NEXT) | instid1(VALU_DEP_1)
	s_or_b32 exec_lo, exec_lo, s22
	v_mul_f32_e32 v0, v121, v1
                                        ; implicit-def: $vgpr181
	s_delay_alu instid0(VALU_DEP_1) | instskip(NEXT) | instid1(VALU_DEP_1)
	v_and_b32_e32 v1, 0x7f800000, v0
	v_cmp_ne_u32_e64 s2, 0x7f800000, v1
	s_delay_alu instid0(VALU_DEP_1) | instskip(NEXT) | instid1(SALU_CYCLE_1)
	s_and_saveexec_b32 s22, s2
	s_xor_b32 s2, exec_lo, s22
; %bb.1549:                             ;   in Loop: Header=BB450_13 Depth=1
	v_bfe_u32 v1, v0, 16, 1
	s_delay_alu instid0(VALU_DEP_1)
	v_add3_u32 v181, v0, v1, 0x7fff
                                        ; implicit-def: $vgpr0
; %bb.1550:                             ;   in Loop: Header=BB450_13 Depth=1
	s_and_not1_saveexec_b32 s22, s2
; %bb.1551:                             ;   in Loop: Header=BB450_13 Depth=1
	v_and_b32_e32 v1, 0xffff, v0
	v_or_b32_e32 v2, 0x10000, v0
	s_delay_alu instid0(VALU_DEP_2) | instskip(NEXT) | instid1(VALU_DEP_1)
	v_cmp_eq_u32_e64 s2, 0, v1
	v_cndmask_b32_e64 v181, v2, v0, s2
; %bb.1552:                             ;   in Loop: Header=BB450_13 Depth=1
	s_or_b32 exec_lo, exec_lo, s22
	v_add_co_u32 v31, s2, 0x1000, v31
	s_delay_alu instid0(VALU_DEP_1)
	v_add_co_ci_u32_e64 v32, s2, 0, v32, s2
	s_mov_b32 s22, exec_lo
	v_mov_b32_e32 v0, 0
	flat_load_b64 v[33:34], v[31:32]
	s_waitcnt vmcnt(0) lgkmcnt(0)
	v_and_b32_e32 v1, 0xff, v33
	s_delay_alu instid0(VALU_DEP_1)
	v_cmpx_ne_u16_e32 0, v1
	s_cbranch_execz .LBB450_1560
; %bb.1553:                             ;   in Loop: Header=BB450_13 Depth=1
	v_bfrev_b32_e32 v0, 1
	s_mov_b32 s23, exec_lo
	v_cmpx_ne_u16_e32 0x80, v1
	s_cbranch_execz .LBB450_1559
; %bb.1554:                             ;   in Loop: Header=BB450_13 Depth=1
	v_and_b32_e32 v1, 0x7f, v33
	v_mov_b32_e32 v0, 0x7f800001
	s_mov_b32 s24, exec_lo
	s_delay_alu instid0(VALU_DEP_2)
	v_cmpx_ne_u32_e32 0x7f, v1
	s_cbranch_execz .LBB450_1558
; %bb.1555:                             ;   in Loop: Header=BB450_13 Depth=1
	v_lshrrev_b32_e32 v0, 3, v1
	v_dual_mov_b32 v36, v34 :: v_dual_mov_b32 v35, v33
	s_mov_b32 s25, exec_lo
	v_cmpx_gt_u32_e32 8, v1
; %bb.1556:                             ;   in Loop: Header=BB450_13 Depth=1
	v_and_b32_e32 v0, 7, v33
	s_delay_alu instid0(VALU_DEP_1) | instskip(NEXT) | instid1(VALU_DEP_1)
	v_clz_i32_u32_e32 v0, v0
	v_min_u32_e32 v0, 32, v0
	s_delay_alu instid0(VALU_DEP_1) | instskip(SKIP_1) | instid1(VALU_DEP_2)
	v_subrev_nc_u32_e32 v1, 28, v0
	v_sub_nc_u32_e32 v0, 29, v0
	v_lshlrev_b64 v[35:36], v1, v[33:34]
; %bb.1557:                             ;   in Loop: Header=BB450_13 Depth=1
	s_or_b32 exec_lo, exec_lo, s25
	s_delay_alu instid0(VALU_DEP_1) | instskip(SKIP_2) | instid1(VALU_DEP_3)
	v_lshlrev_b32_e32 v1, 20, v35
	v_lshlrev_b32_e32 v2, 24, v33
	v_lshl_add_u32 v0, v0, 23, 0x3c000000
	v_and_b32_e32 v1, 0x700000, v1
	s_delay_alu instid0(VALU_DEP_3) | instskip(NEXT) | instid1(VALU_DEP_1)
	v_and_b32_e32 v2, 0x80000000, v2
	v_or3_b32 v0, v1, v2, v0
.LBB450_1558:                           ;   in Loop: Header=BB450_13 Depth=1
	s_or_b32 exec_lo, exec_lo, s24
.LBB450_1559:                           ;   in Loop: Header=BB450_13 Depth=1
	s_delay_alu instid0(SALU_CYCLE_1)
	s_or_b32 exec_lo, exec_lo, s23
.LBB450_1560:                           ;   in Loop: Header=BB450_13 Depth=1
	s_delay_alu instid0(SALU_CYCLE_1) | instskip(NEXT) | instid1(VALU_DEP_1)
	s_or_b32 exec_lo, exec_lo, s22
	v_mul_f32_e32 v0, v121, v0
                                        ; implicit-def: $vgpr182
	s_delay_alu instid0(VALU_DEP_1) | instskip(NEXT) | instid1(VALU_DEP_1)
	v_and_b32_e32 v1, 0x7f800000, v0
	v_cmp_ne_u32_e64 s2, 0x7f800000, v1
	s_delay_alu instid0(VALU_DEP_1) | instskip(NEXT) | instid1(SALU_CYCLE_1)
	s_and_saveexec_b32 s22, s2
	s_xor_b32 s2, exec_lo, s22
; %bb.1561:                             ;   in Loop: Header=BB450_13 Depth=1
	v_bfe_u32 v1, v0, 16, 1
	s_delay_alu instid0(VALU_DEP_1)
	v_add3_u32 v182, v0, v1, 0x7fff
                                        ; implicit-def: $vgpr0
; %bb.1562:                             ;   in Loop: Header=BB450_13 Depth=1
	s_and_not1_saveexec_b32 s22, s2
; %bb.1563:                             ;   in Loop: Header=BB450_13 Depth=1
	v_and_b32_e32 v1, 0xffff, v0
	v_or_b32_e32 v2, 0x10000, v0
	s_delay_alu instid0(VALU_DEP_2) | instskip(NEXT) | instid1(VALU_DEP_1)
	v_cmp_eq_u32_e64 s2, 0, v1
	v_cndmask_b32_e64 v182, v2, v0, s2
; %bb.1564:                             ;   in Loop: Header=BB450_13 Depth=1
	s_or_b32 exec_lo, exec_lo, s22
	v_lshrrev_b16 v1, 8, v33
	v_mov_b32_e32 v0, 0
	s_mov_b32 s22, exec_lo
	s_delay_alu instid0(VALU_DEP_2)
	v_cmpx_ne_u16_e32 0, v1
	s_cbranch_execz .LBB450_1572
; %bb.1565:                             ;   in Loop: Header=BB450_13 Depth=1
	v_bfrev_b32_e32 v0, 1
	s_mov_b32 s23, exec_lo
	v_cmpx_ne_u16_e32 0x80, v1
	s_cbranch_execz .LBB450_1571
; %bb.1566:                             ;   in Loop: Header=BB450_13 Depth=1
	v_and_b32_e32 v2, 0xffff, v1
	v_mov_b32_e32 v0, 0x7f800001
	s_mov_b32 s24, exec_lo
	s_delay_alu instid0(VALU_DEP_2) | instskip(NEXT) | instid1(VALU_DEP_1)
	v_and_b32_e32 v1, 0x7f, v2
	v_cmpx_ne_u32_e32 0x7f, v1
	s_cbranch_execz .LBB450_1570
; %bb.1567:                             ;   in Loop: Header=BB450_13 Depth=1
	v_and_b32_e32 v19, 7, v2
	v_mov_b32_e32 v36, v20
	v_lshrrev_b32_e32 v0, 3, v1
	s_mov_b32 s25, exec_lo
	s_delay_alu instid0(VALU_DEP_3)
	v_mov_b32_e32 v35, v19
	v_cmpx_gt_u32_e32 8, v1
; %bb.1568:                             ;   in Loop: Header=BB450_13 Depth=1
	v_clz_i32_u32_e32 v0, v19
	s_delay_alu instid0(VALU_DEP_1) | instskip(NEXT) | instid1(VALU_DEP_1)
	v_min_u32_e32 v0, 32, v0
	v_subrev_nc_u32_e32 v1, 28, v0
	v_sub_nc_u32_e32 v0, 29, v0
	s_delay_alu instid0(VALU_DEP_2) | instskip(NEXT) | instid1(VALU_DEP_1)
	v_lshlrev_b64 v[1:2], v1, v[19:20]
	v_and_b32_e32 v35, 7, v1
; %bb.1569:                             ;   in Loop: Header=BB450_13 Depth=1
	s_or_b32 exec_lo, exec_lo, s25
	v_lshlrev_b32_e32 v1, 16, v33
	s_delay_alu instid0(VALU_DEP_2) | instskip(SKIP_1) | instid1(VALU_DEP_3)
	v_lshlrev_b32_e32 v2, 20, v35
	v_lshl_add_u32 v0, v0, 23, 0x3c000000
	v_and_b32_e32 v1, 0x80000000, v1
	s_delay_alu instid0(VALU_DEP_1)
	v_or3_b32 v0, v2, v1, v0
.LBB450_1570:                           ;   in Loop: Header=BB450_13 Depth=1
	s_or_b32 exec_lo, exec_lo, s24
.LBB450_1571:                           ;   in Loop: Header=BB450_13 Depth=1
	s_delay_alu instid0(SALU_CYCLE_1)
	s_or_b32 exec_lo, exec_lo, s23
.LBB450_1572:                           ;   in Loop: Header=BB450_13 Depth=1
	s_delay_alu instid0(SALU_CYCLE_1) | instskip(NEXT) | instid1(VALU_DEP_1)
	s_or_b32 exec_lo, exec_lo, s22
	v_mul_f32_e32 v0, v121, v0
                                        ; implicit-def: $vgpr183
	s_delay_alu instid0(VALU_DEP_1) | instskip(NEXT) | instid1(VALU_DEP_1)
	v_and_b32_e32 v1, 0x7f800000, v0
	v_cmp_ne_u32_e64 s2, 0x7f800000, v1
	s_delay_alu instid0(VALU_DEP_1) | instskip(NEXT) | instid1(SALU_CYCLE_1)
	s_and_saveexec_b32 s22, s2
	s_xor_b32 s2, exec_lo, s22
; %bb.1573:                             ;   in Loop: Header=BB450_13 Depth=1
	v_bfe_u32 v1, v0, 16, 1
	s_delay_alu instid0(VALU_DEP_1)
	v_add3_u32 v183, v0, v1, 0x7fff
                                        ; implicit-def: $vgpr0
; %bb.1574:                             ;   in Loop: Header=BB450_13 Depth=1
	s_and_not1_saveexec_b32 s22, s2
; %bb.1575:                             ;   in Loop: Header=BB450_13 Depth=1
	v_and_b32_e32 v1, 0xffff, v0
	v_or_b32_e32 v2, 0x10000, v0
	s_delay_alu instid0(VALU_DEP_2) | instskip(NEXT) | instid1(VALU_DEP_1)
	v_cmp_eq_u32_e64 s2, 0, v1
	v_cndmask_b32_e64 v183, v2, v0, s2
; %bb.1576:                             ;   in Loop: Header=BB450_13 Depth=1
	s_or_b32 exec_lo, exec_lo, s22
	v_lshrrev_b32_e32 v0, 16, v33
	s_mov_b32 s22, exec_lo
	s_delay_alu instid0(VALU_DEP_1) | instskip(NEXT) | instid1(VALU_DEP_1)
	v_dual_mov_b32 v1, 0 :: v_dual_and_b32 v2, 0xff, v0
	v_cmpx_ne_u16_e32 0, v2
	s_cbranch_execz .LBB450_1584
; %bb.1577:                             ;   in Loop: Header=BB450_13 Depth=1
	v_bfrev_b32_e32 v1, 1
	s_mov_b32 s23, exec_lo
	v_cmpx_ne_u16_e32 0x80, v2
	s_cbranch_execz .LBB450_1583
; %bb.1578:                             ;   in Loop: Header=BB450_13 Depth=1
	v_bfe_u32 v2, v33, 16, 7
	v_mov_b32_e32 v1, 0x7f800001
	s_mov_b32 s24, exec_lo
	s_delay_alu instid0(VALU_DEP_2)
	v_cmpx_ne_u32_e32 0x7f, v2
	s_cbranch_execz .LBB450_1582
; %bb.1579:                             ;   in Loop: Header=BB450_13 Depth=1
	v_and_b32_e32 v19, 7, v0
	v_mov_b32_e32 v36, v20
	v_lshrrev_b32_e32 v1, 3, v2
	s_mov_b32 s25, exec_lo
	s_delay_alu instid0(VALU_DEP_3)
	v_mov_b32_e32 v35, v19
	v_cmpx_gt_u32_e32 8, v2
; %bb.1580:                             ;   in Loop: Header=BB450_13 Depth=1
	v_clz_i32_u32_e32 v1, v19
	s_delay_alu instid0(VALU_DEP_1) | instskip(NEXT) | instid1(VALU_DEP_1)
	v_min_u32_e32 v1, 32, v1
	v_subrev_nc_u32_e32 v2, 28, v1
	v_sub_nc_u32_e32 v1, 29, v1
	s_delay_alu instid0(VALU_DEP_2) | instskip(NEXT) | instid1(VALU_DEP_1)
	v_lshlrev_b64 v[2:3], v2, v[19:20]
	v_and_b32_e32 v35, 7, v2
; %bb.1581:                             ;   in Loop: Header=BB450_13 Depth=1
	s_or_b32 exec_lo, exec_lo, s25
	v_lshlrev_b32_e32 v0, 24, v0
	s_delay_alu instid0(VALU_DEP_2) | instskip(SKIP_1) | instid1(VALU_DEP_3)
	v_lshlrev_b32_e32 v2, 20, v35
	v_lshl_add_u32 v1, v1, 23, 0x3c000000
	v_and_b32_e32 v0, 0x80000000, v0
	s_delay_alu instid0(VALU_DEP_1)
	v_or3_b32 v1, v2, v0, v1
.LBB450_1582:                           ;   in Loop: Header=BB450_13 Depth=1
	s_or_b32 exec_lo, exec_lo, s24
.LBB450_1583:                           ;   in Loop: Header=BB450_13 Depth=1
	s_delay_alu instid0(SALU_CYCLE_1)
	s_or_b32 exec_lo, exec_lo, s23
.LBB450_1584:                           ;   in Loop: Header=BB450_13 Depth=1
	s_delay_alu instid0(SALU_CYCLE_1) | instskip(NEXT) | instid1(VALU_DEP_1)
	s_or_b32 exec_lo, exec_lo, s22
	v_mul_f32_e32 v0, v121, v1
                                        ; implicit-def: $vgpr40
	s_delay_alu instid0(VALU_DEP_1) | instskip(NEXT) | instid1(VALU_DEP_1)
	v_and_b32_e32 v1, 0x7f800000, v0
	v_cmp_ne_u32_e64 s2, 0x7f800000, v1
	s_delay_alu instid0(VALU_DEP_1) | instskip(NEXT) | instid1(SALU_CYCLE_1)
	s_and_saveexec_b32 s22, s2
	s_xor_b32 s2, exec_lo, s22
; %bb.1585:                             ;   in Loop: Header=BB450_13 Depth=1
	v_bfe_u32 v1, v0, 16, 1
	s_delay_alu instid0(VALU_DEP_1)
	v_add3_u32 v40, v0, v1, 0x7fff
                                        ; implicit-def: $vgpr0
; %bb.1586:                             ;   in Loop: Header=BB450_13 Depth=1
	s_and_not1_saveexec_b32 s22, s2
; %bb.1587:                             ;   in Loop: Header=BB450_13 Depth=1
	v_and_b32_e32 v1, 0xffff, v0
	v_or_b32_e32 v2, 0x10000, v0
	s_delay_alu instid0(VALU_DEP_2) | instskip(NEXT) | instid1(VALU_DEP_1)
	v_cmp_eq_u32_e64 s2, 0, v1
	v_cndmask_b32_e64 v40, v2, v0, s2
; %bb.1588:                             ;   in Loop: Header=BB450_13 Depth=1
	s_or_b32 exec_lo, exec_lo, s22
	v_mov_b32_e32 v1, 0
	s_mov_b32 s22, exec_lo
	v_cmpx_lt_u32_e32 0xffffff, v33
	s_cbranch_execz .LBB450_1596
; %bb.1589:                             ;   in Loop: Header=BB450_13 Depth=1
	v_lshrrev_b32_e32 v0, 24, v33
	v_bfrev_b32_e32 v1, 1
	s_mov_b32 s23, exec_lo
	s_delay_alu instid0(VALU_DEP_2)
	v_cmpx_ne_u32_e32 0x80, v0
	s_cbranch_execz .LBB450_1595
; %bb.1590:                             ;   in Loop: Header=BB450_13 Depth=1
	v_bfe_u32 v2, v33, 24, 7
	v_mov_b32_e32 v1, 0x7f800001
	s_mov_b32 s24, exec_lo
	s_delay_alu instid0(VALU_DEP_2)
	v_cmpx_ne_u32_e32 0x7f, v2
	s_cbranch_execz .LBB450_1594
; %bb.1591:                             ;   in Loop: Header=BB450_13 Depth=1
	v_and_b32_e32 v19, 7, v0
	v_mov_b32_e32 v36, v20
	v_lshrrev_b32_e32 v1, 3, v2
	s_mov_b32 s25, exec_lo
	s_delay_alu instid0(VALU_DEP_3)
	v_mov_b32_e32 v35, v19
	v_cmpx_gt_u32_e32 8, v2
; %bb.1592:                             ;   in Loop: Header=BB450_13 Depth=1
	v_clz_i32_u32_e32 v1, v19
	s_delay_alu instid0(VALU_DEP_1) | instskip(NEXT) | instid1(VALU_DEP_1)
	v_min_u32_e32 v1, 32, v1
	v_subrev_nc_u32_e32 v2, 28, v1
	v_sub_nc_u32_e32 v1, 29, v1
	s_delay_alu instid0(VALU_DEP_2) | instskip(NEXT) | instid1(VALU_DEP_1)
	v_lshlrev_b64 v[2:3], v2, v[19:20]
	v_and_b32_e32 v35, 7, v2
; %bb.1593:                             ;   in Loop: Header=BB450_13 Depth=1
	s_or_b32 exec_lo, exec_lo, s25
	v_lshlrev_b32_e32 v0, 24, v0
	s_delay_alu instid0(VALU_DEP_2) | instskip(SKIP_1) | instid1(VALU_DEP_3)
	v_lshlrev_b32_e32 v2, 20, v35
	v_lshl_add_u32 v1, v1, 23, 0x3c000000
	v_and_b32_e32 v0, 0x80000000, v0
	s_delay_alu instid0(VALU_DEP_1)
	v_or3_b32 v1, v2, v0, v1
.LBB450_1594:                           ;   in Loop: Header=BB450_13 Depth=1
	s_or_b32 exec_lo, exec_lo, s24
.LBB450_1595:                           ;   in Loop: Header=BB450_13 Depth=1
	s_delay_alu instid0(SALU_CYCLE_1)
	s_or_b32 exec_lo, exec_lo, s23
.LBB450_1596:                           ;   in Loop: Header=BB450_13 Depth=1
	s_delay_alu instid0(SALU_CYCLE_1) | instskip(NEXT) | instid1(VALU_DEP_1)
	s_or_b32 exec_lo, exec_lo, s22
	v_mul_f32_e32 v0, v121, v1
                                        ; implicit-def: $vgpr41
	s_delay_alu instid0(VALU_DEP_1) | instskip(NEXT) | instid1(VALU_DEP_1)
	v_and_b32_e32 v1, 0x7f800000, v0
	v_cmp_ne_u32_e64 s2, 0x7f800000, v1
	s_delay_alu instid0(VALU_DEP_1) | instskip(NEXT) | instid1(SALU_CYCLE_1)
	s_and_saveexec_b32 s22, s2
	s_xor_b32 s2, exec_lo, s22
; %bb.1597:                             ;   in Loop: Header=BB450_13 Depth=1
	v_bfe_u32 v1, v0, 16, 1
	s_delay_alu instid0(VALU_DEP_1)
	v_add3_u32 v41, v0, v1, 0x7fff
                                        ; implicit-def: $vgpr0
; %bb.1598:                             ;   in Loop: Header=BB450_13 Depth=1
	s_and_not1_saveexec_b32 s22, s2
; %bb.1599:                             ;   in Loop: Header=BB450_13 Depth=1
	v_and_b32_e32 v1, 0xffff, v0
	v_or_b32_e32 v2, 0x10000, v0
	s_delay_alu instid0(VALU_DEP_2) | instskip(NEXT) | instid1(VALU_DEP_1)
	v_cmp_eq_u32_e64 s2, 0, v1
	v_cndmask_b32_e64 v41, v2, v0, s2
; %bb.1600:                             ;   in Loop: Header=BB450_13 Depth=1
	s_or_b32 exec_lo, exec_lo, s22
	v_dual_mov_b32 v0, 0 :: v_dual_and_b32 v1, 0xff, v34
	v_mov_b32_e32 v19, v34
	s_mov_b32 s22, exec_lo
	s_delay_alu instid0(VALU_DEP_2)
	v_cmpx_ne_u16_e32 0, v1
	s_cbranch_execz .LBB450_1608
; %bb.1601:                             ;   in Loop: Header=BB450_13 Depth=1
	v_bfrev_b32_e32 v0, 1
	s_mov_b32 s23, exec_lo
	v_cmpx_ne_u16_e32 0x80, v1
	s_cbranch_execz .LBB450_1607
; %bb.1602:                             ;   in Loop: Header=BB450_13 Depth=1
	v_and_b32_e32 v1, 0x7f, v34
	v_mov_b32_e32 v0, 0x7f800001
	s_mov_b32 s24, exec_lo
	s_delay_alu instid0(VALU_DEP_2)
	v_cmpx_ne_u32_e32 0x7f, v1
	s_cbranch_execz .LBB450_1606
; %bb.1603:                             ;   in Loop: Header=BB450_13 Depth=1
	v_dual_mov_b32 v36, v20 :: v_dual_mov_b32 v35, v19
	v_lshrrev_b32_e32 v0, 3, v1
	s_mov_b32 s25, exec_lo
	v_cmpx_gt_u32_e32 8, v1
; %bb.1604:                             ;   in Loop: Header=BB450_13 Depth=1
	v_and_b32_e32 v0, 7, v34
	s_delay_alu instid0(VALU_DEP_1) | instskip(NEXT) | instid1(VALU_DEP_1)
	v_clz_i32_u32_e32 v0, v0
	v_min_u32_e32 v0, 32, v0
	s_delay_alu instid0(VALU_DEP_1) | instskip(SKIP_1) | instid1(VALU_DEP_2)
	v_subrev_nc_u32_e32 v1, 28, v0
	v_sub_nc_u32_e32 v0, 29, v0
	v_lshlrev_b64 v[35:36], v1, v[19:20]
; %bb.1605:                             ;   in Loop: Header=BB450_13 Depth=1
	s_or_b32 exec_lo, exec_lo, s25
	s_delay_alu instid0(VALU_DEP_1) | instskip(SKIP_2) | instid1(VALU_DEP_3)
	v_lshlrev_b32_e32 v1, 20, v35
	v_lshlrev_b32_e32 v2, 24, v19
	v_lshl_add_u32 v0, v0, 23, 0x3c000000
	v_and_b32_e32 v1, 0x700000, v1
	s_delay_alu instid0(VALU_DEP_3) | instskip(NEXT) | instid1(VALU_DEP_1)
	v_and_b32_e32 v2, 0x80000000, v2
	v_or3_b32 v0, v1, v2, v0
.LBB450_1606:                           ;   in Loop: Header=BB450_13 Depth=1
	s_or_b32 exec_lo, exec_lo, s24
.LBB450_1607:                           ;   in Loop: Header=BB450_13 Depth=1
	s_delay_alu instid0(SALU_CYCLE_1)
	s_or_b32 exec_lo, exec_lo, s23
.LBB450_1608:                           ;   in Loop: Header=BB450_13 Depth=1
	s_delay_alu instid0(SALU_CYCLE_1) | instskip(NEXT) | instid1(VALU_DEP_1)
	s_or_b32 exec_lo, exec_lo, s22
	v_mul_f32_e32 v0, v121, v0
                                        ; implicit-def: $vgpr42
	s_delay_alu instid0(VALU_DEP_1) | instskip(NEXT) | instid1(VALU_DEP_1)
	v_and_b32_e32 v1, 0x7f800000, v0
	v_cmp_ne_u32_e64 s2, 0x7f800000, v1
	s_delay_alu instid0(VALU_DEP_1) | instskip(NEXT) | instid1(SALU_CYCLE_1)
	s_and_saveexec_b32 s22, s2
	s_xor_b32 s2, exec_lo, s22
; %bb.1609:                             ;   in Loop: Header=BB450_13 Depth=1
	v_bfe_u32 v1, v0, 16, 1
	s_delay_alu instid0(VALU_DEP_1)
	v_add3_u32 v42, v0, v1, 0x7fff
                                        ; implicit-def: $vgpr0
; %bb.1610:                             ;   in Loop: Header=BB450_13 Depth=1
	s_and_not1_saveexec_b32 s22, s2
; %bb.1611:                             ;   in Loop: Header=BB450_13 Depth=1
	v_and_b32_e32 v1, 0xffff, v0
	v_or_b32_e32 v2, 0x10000, v0
	s_delay_alu instid0(VALU_DEP_2) | instskip(NEXT) | instid1(VALU_DEP_1)
	v_cmp_eq_u32_e64 s2, 0, v1
	v_cndmask_b32_e64 v42, v2, v0, s2
; %bb.1612:                             ;   in Loop: Header=BB450_13 Depth=1
	s_or_b32 exec_lo, exec_lo, s22
	v_lshrrev_b16 v1, 8, v19
	v_mov_b32_e32 v0, 0
	s_mov_b32 s22, exec_lo
	s_delay_alu instid0(VALU_DEP_2)
	v_cmpx_ne_u16_e32 0, v1
	s_cbranch_execz .LBB450_1620
; %bb.1613:                             ;   in Loop: Header=BB450_13 Depth=1
	v_bfrev_b32_e32 v0, 1
	s_mov_b32 s23, exec_lo
	v_cmpx_ne_u16_e32 0x80, v1
	s_cbranch_execz .LBB450_1619
; %bb.1614:                             ;   in Loop: Header=BB450_13 Depth=1
	v_and_b32_e32 v2, 0xffff, v1
	v_mov_b32_e32 v0, 0x7f800001
	s_mov_b32 s24, exec_lo
	s_delay_alu instid0(VALU_DEP_2) | instskip(NEXT) | instid1(VALU_DEP_1)
	v_and_b32_e32 v1, 0x7f, v2
	v_cmpx_ne_u32_e32 0x7f, v1
	s_cbranch_execz .LBB450_1618
; %bb.1615:                             ;   in Loop: Header=BB450_13 Depth=1
	v_dual_mov_b32 v36, v20 :: v_dual_and_b32 v35, 7, v2
	v_lshrrev_b32_e32 v0, 3, v1
	s_mov_b32 s25, exec_lo
	v_cmpx_gt_u32_e32 8, v1
; %bb.1616:                             ;   in Loop: Header=BB450_13 Depth=1
	s_delay_alu instid0(VALU_DEP_3) | instskip(NEXT) | instid1(VALU_DEP_1)
	v_clz_i32_u32_e32 v0, v35
	v_min_u32_e32 v0, 32, v0
	s_delay_alu instid0(VALU_DEP_1) | instskip(SKIP_1) | instid1(VALU_DEP_2)
	v_subrev_nc_u32_e32 v1, 28, v0
	v_sub_nc_u32_e32 v0, 29, v0
	v_lshlrev_b64 v[1:2], v1, v[35:36]
	s_delay_alu instid0(VALU_DEP_1)
	v_and_b32_e32 v35, 7, v1
; %bb.1617:                             ;   in Loop: Header=BB450_13 Depth=1
	s_or_b32 exec_lo, exec_lo, s25
	v_lshlrev_b32_e32 v1, 16, v19
	s_delay_alu instid0(VALU_DEP_2) | instskip(SKIP_1) | instid1(VALU_DEP_3)
	v_lshlrev_b32_e32 v2, 20, v35
	v_lshl_add_u32 v0, v0, 23, 0x3c000000
	v_and_b32_e32 v1, 0x80000000, v1
	s_delay_alu instid0(VALU_DEP_1)
	v_or3_b32 v0, v2, v1, v0
.LBB450_1618:                           ;   in Loop: Header=BB450_13 Depth=1
	s_or_b32 exec_lo, exec_lo, s24
.LBB450_1619:                           ;   in Loop: Header=BB450_13 Depth=1
	s_delay_alu instid0(SALU_CYCLE_1)
	s_or_b32 exec_lo, exec_lo, s23
.LBB450_1620:                           ;   in Loop: Header=BB450_13 Depth=1
	s_delay_alu instid0(SALU_CYCLE_1) | instskip(NEXT) | instid1(VALU_DEP_1)
	s_or_b32 exec_lo, exec_lo, s22
	v_mul_f32_e32 v0, v121, v0
                                        ; implicit-def: $vgpr43
	s_delay_alu instid0(VALU_DEP_1) | instskip(NEXT) | instid1(VALU_DEP_1)
	v_and_b32_e32 v1, 0x7f800000, v0
	v_cmp_ne_u32_e64 s2, 0x7f800000, v1
	s_delay_alu instid0(VALU_DEP_1) | instskip(NEXT) | instid1(SALU_CYCLE_1)
	s_and_saveexec_b32 s22, s2
	s_xor_b32 s2, exec_lo, s22
; %bb.1621:                             ;   in Loop: Header=BB450_13 Depth=1
	v_bfe_u32 v1, v0, 16, 1
	s_delay_alu instid0(VALU_DEP_1)
	v_add3_u32 v43, v0, v1, 0x7fff
                                        ; implicit-def: $vgpr0
; %bb.1622:                             ;   in Loop: Header=BB450_13 Depth=1
	s_and_not1_saveexec_b32 s22, s2
; %bb.1623:                             ;   in Loop: Header=BB450_13 Depth=1
	v_and_b32_e32 v1, 0xffff, v0
	v_or_b32_e32 v2, 0x10000, v0
	s_delay_alu instid0(VALU_DEP_2) | instskip(NEXT) | instid1(VALU_DEP_1)
	v_cmp_eq_u32_e64 s2, 0, v1
	v_cndmask_b32_e64 v43, v2, v0, s2
; %bb.1624:                             ;   in Loop: Header=BB450_13 Depth=1
	s_or_b32 exec_lo, exec_lo, s22
	v_lshrrev_b32_e32 v0, 16, v34
	s_mov_b32 s22, exec_lo
	s_delay_alu instid0(VALU_DEP_1) | instskip(NEXT) | instid1(VALU_DEP_1)
	v_dual_mov_b32 v1, 0 :: v_dual_and_b32 v2, 0xff, v0
	v_cmpx_ne_u16_e32 0, v2
	s_cbranch_execz .LBB450_1632
; %bb.1625:                             ;   in Loop: Header=BB450_13 Depth=1
	v_bfrev_b32_e32 v1, 1
	s_mov_b32 s23, exec_lo
	v_cmpx_ne_u16_e32 0x80, v2
	s_cbranch_execz .LBB450_1631
; %bb.1626:                             ;   in Loop: Header=BB450_13 Depth=1
	v_bfe_u32 v2, v34, 16, 7
	v_mov_b32_e32 v1, 0x7f800001
	s_mov_b32 s24, exec_lo
	s_delay_alu instid0(VALU_DEP_2)
	v_cmpx_ne_u32_e32 0x7f, v2
	s_cbranch_execz .LBB450_1630
; %bb.1627:                             ;   in Loop: Header=BB450_13 Depth=1
	v_and_b32_e32 v19, 7, v0
	v_mov_b32_e32 v36, v20
	v_lshrrev_b32_e32 v1, 3, v2
	s_mov_b32 s25, exec_lo
	s_delay_alu instid0(VALU_DEP_3)
	v_mov_b32_e32 v35, v19
	v_cmpx_gt_u32_e32 8, v2
; %bb.1628:                             ;   in Loop: Header=BB450_13 Depth=1
	v_clz_i32_u32_e32 v1, v19
	s_delay_alu instid0(VALU_DEP_1) | instskip(NEXT) | instid1(VALU_DEP_1)
	v_min_u32_e32 v1, 32, v1
	v_subrev_nc_u32_e32 v2, 28, v1
	v_sub_nc_u32_e32 v1, 29, v1
	s_delay_alu instid0(VALU_DEP_2) | instskip(NEXT) | instid1(VALU_DEP_1)
	v_lshlrev_b64 v[2:3], v2, v[19:20]
	v_and_b32_e32 v35, 7, v2
; %bb.1629:                             ;   in Loop: Header=BB450_13 Depth=1
	s_or_b32 exec_lo, exec_lo, s25
	v_lshlrev_b32_e32 v0, 24, v0
	s_delay_alu instid0(VALU_DEP_2) | instskip(SKIP_1) | instid1(VALU_DEP_3)
	v_lshlrev_b32_e32 v2, 20, v35
	v_lshl_add_u32 v1, v1, 23, 0x3c000000
	v_and_b32_e32 v0, 0x80000000, v0
	s_delay_alu instid0(VALU_DEP_1)
	v_or3_b32 v1, v2, v0, v1
.LBB450_1630:                           ;   in Loop: Header=BB450_13 Depth=1
	s_or_b32 exec_lo, exec_lo, s24
.LBB450_1631:                           ;   in Loop: Header=BB450_13 Depth=1
	s_delay_alu instid0(SALU_CYCLE_1)
	s_or_b32 exec_lo, exec_lo, s23
.LBB450_1632:                           ;   in Loop: Header=BB450_13 Depth=1
	s_delay_alu instid0(SALU_CYCLE_1) | instskip(NEXT) | instid1(VALU_DEP_1)
	s_or_b32 exec_lo, exec_lo, s22
	v_mul_f32_e32 v0, v121, v1
                                        ; implicit-def: $vgpr44
	s_delay_alu instid0(VALU_DEP_1) | instskip(NEXT) | instid1(VALU_DEP_1)
	v_and_b32_e32 v1, 0x7f800000, v0
	v_cmp_ne_u32_e64 s2, 0x7f800000, v1
	s_delay_alu instid0(VALU_DEP_1) | instskip(NEXT) | instid1(SALU_CYCLE_1)
	s_and_saveexec_b32 s22, s2
	s_xor_b32 s2, exec_lo, s22
; %bb.1633:                             ;   in Loop: Header=BB450_13 Depth=1
	v_bfe_u32 v1, v0, 16, 1
	s_delay_alu instid0(VALU_DEP_1)
	v_add3_u32 v44, v0, v1, 0x7fff
                                        ; implicit-def: $vgpr0
; %bb.1634:                             ;   in Loop: Header=BB450_13 Depth=1
	s_and_not1_saveexec_b32 s22, s2
; %bb.1635:                             ;   in Loop: Header=BB450_13 Depth=1
	v_and_b32_e32 v1, 0xffff, v0
	v_or_b32_e32 v2, 0x10000, v0
	s_delay_alu instid0(VALU_DEP_2) | instskip(NEXT) | instid1(VALU_DEP_1)
	v_cmp_eq_u32_e64 s2, 0, v1
	v_cndmask_b32_e64 v44, v2, v0, s2
; %bb.1636:                             ;   in Loop: Header=BB450_13 Depth=1
	s_or_b32 exec_lo, exec_lo, s22
	v_mov_b32_e32 v1, 0
	s_mov_b32 s22, exec_lo
	v_cmpx_lt_u64_e64 s[8:9], v[33:34]
	s_cbranch_execz .LBB450_1644
; %bb.1637:                             ;   in Loop: Header=BB450_13 Depth=1
	v_lshrrev_b32_e32 v0, 24, v34
	v_bfrev_b32_e32 v1, 1
	s_mov_b32 s23, exec_lo
	s_delay_alu instid0(VALU_DEP_2)
	v_cmpx_ne_u32_e32 0x80, v0
	s_cbranch_execz .LBB450_1643
; %bb.1638:                             ;   in Loop: Header=BB450_13 Depth=1
	v_bfe_u32 v2, v34, 24, 7
	v_mov_b32_e32 v1, 0x7f800001
	s_mov_b32 s24, exec_lo
	s_delay_alu instid0(VALU_DEP_2)
	v_cmpx_ne_u32_e32 0x7f, v2
	s_cbranch_execz .LBB450_1642
; %bb.1639:                             ;   in Loop: Header=BB450_13 Depth=1
	v_and_b32_e32 v19, 7, v0
	v_mov_b32_e32 v34, v20
	v_lshrrev_b32_e32 v1, 3, v2
	s_mov_b32 s25, exec_lo
	s_delay_alu instid0(VALU_DEP_3)
	v_mov_b32_e32 v33, v19
	v_cmpx_gt_u32_e32 8, v2
; %bb.1640:                             ;   in Loop: Header=BB450_13 Depth=1
	v_clz_i32_u32_e32 v1, v19
	s_delay_alu instid0(VALU_DEP_1) | instskip(NEXT) | instid1(VALU_DEP_1)
	v_min_u32_e32 v1, 32, v1
	v_subrev_nc_u32_e32 v2, 28, v1
	v_sub_nc_u32_e32 v1, 29, v1
	s_delay_alu instid0(VALU_DEP_2) | instskip(NEXT) | instid1(VALU_DEP_1)
	v_lshlrev_b64 v[2:3], v2, v[19:20]
	v_and_b32_e32 v33, 7, v2
; %bb.1641:                             ;   in Loop: Header=BB450_13 Depth=1
	s_or_b32 exec_lo, exec_lo, s25
	v_lshlrev_b32_e32 v0, 24, v0
	s_delay_alu instid0(VALU_DEP_2) | instskip(SKIP_1) | instid1(VALU_DEP_3)
	v_lshlrev_b32_e32 v2, 20, v33
	v_lshl_add_u32 v1, v1, 23, 0x3c000000
	v_and_b32_e32 v0, 0x80000000, v0
	s_delay_alu instid0(VALU_DEP_1)
	v_or3_b32 v1, v2, v0, v1
.LBB450_1642:                           ;   in Loop: Header=BB450_13 Depth=1
	s_or_b32 exec_lo, exec_lo, s24
.LBB450_1643:                           ;   in Loop: Header=BB450_13 Depth=1
	s_delay_alu instid0(SALU_CYCLE_1)
	s_or_b32 exec_lo, exec_lo, s23
.LBB450_1644:                           ;   in Loop: Header=BB450_13 Depth=1
	s_delay_alu instid0(SALU_CYCLE_1) | instskip(NEXT) | instid1(VALU_DEP_1)
	s_or_b32 exec_lo, exec_lo, s22
	v_mul_f32_e32 v0, v121, v1
                                        ; implicit-def: $vgpr45
	s_delay_alu instid0(VALU_DEP_1) | instskip(NEXT) | instid1(VALU_DEP_1)
	v_and_b32_e32 v1, 0x7f800000, v0
	v_cmp_ne_u32_e64 s2, 0x7f800000, v1
	s_delay_alu instid0(VALU_DEP_1) | instskip(NEXT) | instid1(SALU_CYCLE_1)
	s_and_saveexec_b32 s22, s2
	s_xor_b32 s2, exec_lo, s22
; %bb.1645:                             ;   in Loop: Header=BB450_13 Depth=1
	v_bfe_u32 v1, v0, 16, 1
	s_delay_alu instid0(VALU_DEP_1)
	v_add3_u32 v45, v0, v1, 0x7fff
                                        ; implicit-def: $vgpr0
; %bb.1646:                             ;   in Loop: Header=BB450_13 Depth=1
	s_and_not1_saveexec_b32 s22, s2
; %bb.1647:                             ;   in Loop: Header=BB450_13 Depth=1
	v_and_b32_e32 v1, 0xffff, v0
	v_or_b32_e32 v2, 0x10000, v0
	s_delay_alu instid0(VALU_DEP_2) | instskip(NEXT) | instid1(VALU_DEP_1)
	v_cmp_eq_u32_e64 s2, 0, v1
	v_cndmask_b32_e64 v45, v2, v0, s2
; %bb.1648:                             ;   in Loop: Header=BB450_13 Depth=1
	s_or_b32 exec_lo, exec_lo, s22
	flat_load_b64 v[33:34], v[31:32] offset:8
	s_mov_b32 s22, exec_lo
	s_waitcnt vmcnt(0) lgkmcnt(0)
	v_dual_mov_b32 v0, 0 :: v_dual_and_b32 v1, 0xff, v33
	s_delay_alu instid0(VALU_DEP_1)
	v_cmpx_ne_u16_e32 0, v1
	s_cbranch_execz .LBB450_1656
; %bb.1649:                             ;   in Loop: Header=BB450_13 Depth=1
	v_bfrev_b32_e32 v0, 1
	s_mov_b32 s23, exec_lo
	v_cmpx_ne_u16_e32 0x80, v1
	s_cbranch_execz .LBB450_1655
; %bb.1650:                             ;   in Loop: Header=BB450_13 Depth=1
	v_and_b32_e32 v1, 0x7f, v33
	v_mov_b32_e32 v0, 0x7f800001
	s_mov_b32 s24, exec_lo
	s_delay_alu instid0(VALU_DEP_2)
	v_cmpx_ne_u32_e32 0x7f, v1
	s_cbranch_execz .LBB450_1654
; %bb.1651:                             ;   in Loop: Header=BB450_13 Depth=1
	v_lshrrev_b32_e32 v0, 3, v1
	v_dual_mov_b32 v36, v34 :: v_dual_mov_b32 v35, v33
	s_mov_b32 s25, exec_lo
	v_cmpx_gt_u32_e32 8, v1
; %bb.1652:                             ;   in Loop: Header=BB450_13 Depth=1
	v_and_b32_e32 v0, 7, v33
	s_delay_alu instid0(VALU_DEP_1) | instskip(NEXT) | instid1(VALU_DEP_1)
	v_clz_i32_u32_e32 v0, v0
	v_min_u32_e32 v0, 32, v0
	s_delay_alu instid0(VALU_DEP_1) | instskip(SKIP_1) | instid1(VALU_DEP_2)
	v_subrev_nc_u32_e32 v1, 28, v0
	v_sub_nc_u32_e32 v0, 29, v0
	v_lshlrev_b64 v[35:36], v1, v[33:34]
; %bb.1653:                             ;   in Loop: Header=BB450_13 Depth=1
	s_or_b32 exec_lo, exec_lo, s25
	s_delay_alu instid0(VALU_DEP_1) | instskip(SKIP_2) | instid1(VALU_DEP_3)
	v_lshlrev_b32_e32 v1, 20, v35
	v_lshlrev_b32_e32 v2, 24, v33
	v_lshl_add_u32 v0, v0, 23, 0x3c000000
	v_and_b32_e32 v1, 0x700000, v1
	s_delay_alu instid0(VALU_DEP_3) | instskip(NEXT) | instid1(VALU_DEP_1)
	v_and_b32_e32 v2, 0x80000000, v2
	v_or3_b32 v0, v1, v2, v0
.LBB450_1654:                           ;   in Loop: Header=BB450_13 Depth=1
	s_or_b32 exec_lo, exec_lo, s24
.LBB450_1655:                           ;   in Loop: Header=BB450_13 Depth=1
	s_delay_alu instid0(SALU_CYCLE_1)
	s_or_b32 exec_lo, exec_lo, s23
.LBB450_1656:                           ;   in Loop: Header=BB450_13 Depth=1
	s_delay_alu instid0(SALU_CYCLE_1) | instskip(NEXT) | instid1(VALU_DEP_1)
	s_or_b32 exec_lo, exec_lo, s22
	v_mul_f32_e32 v0, v121, v0
                                        ; implicit-def: $vgpr46
	s_delay_alu instid0(VALU_DEP_1) | instskip(NEXT) | instid1(VALU_DEP_1)
	v_and_b32_e32 v1, 0x7f800000, v0
	v_cmp_ne_u32_e64 s2, 0x7f800000, v1
	s_delay_alu instid0(VALU_DEP_1) | instskip(NEXT) | instid1(SALU_CYCLE_1)
	s_and_saveexec_b32 s22, s2
	s_xor_b32 s2, exec_lo, s22
; %bb.1657:                             ;   in Loop: Header=BB450_13 Depth=1
	v_bfe_u32 v1, v0, 16, 1
	s_delay_alu instid0(VALU_DEP_1)
	v_add3_u32 v46, v0, v1, 0x7fff
                                        ; implicit-def: $vgpr0
; %bb.1658:                             ;   in Loop: Header=BB450_13 Depth=1
	s_and_not1_saveexec_b32 s22, s2
; %bb.1659:                             ;   in Loop: Header=BB450_13 Depth=1
	v_and_b32_e32 v1, 0xffff, v0
	v_or_b32_e32 v2, 0x10000, v0
	s_delay_alu instid0(VALU_DEP_2) | instskip(NEXT) | instid1(VALU_DEP_1)
	v_cmp_eq_u32_e64 s2, 0, v1
	v_cndmask_b32_e64 v46, v2, v0, s2
; %bb.1660:                             ;   in Loop: Header=BB450_13 Depth=1
	s_or_b32 exec_lo, exec_lo, s22
	v_lshrrev_b16 v1, 8, v33
	v_mov_b32_e32 v0, 0
	s_mov_b32 s22, exec_lo
	s_delay_alu instid0(VALU_DEP_2)
	v_cmpx_ne_u16_e32 0, v1
	s_cbranch_execz .LBB450_1668
; %bb.1661:                             ;   in Loop: Header=BB450_13 Depth=1
	v_bfrev_b32_e32 v0, 1
	s_mov_b32 s23, exec_lo
	v_cmpx_ne_u16_e32 0x80, v1
	s_cbranch_execz .LBB450_1667
; %bb.1662:                             ;   in Loop: Header=BB450_13 Depth=1
	v_and_b32_e32 v2, 0xffff, v1
	v_mov_b32_e32 v0, 0x7f800001
	s_mov_b32 s24, exec_lo
	s_delay_alu instid0(VALU_DEP_2) | instskip(NEXT) | instid1(VALU_DEP_1)
	v_and_b32_e32 v1, 0x7f, v2
	v_cmpx_ne_u32_e32 0x7f, v1
	s_cbranch_execz .LBB450_1666
; %bb.1663:                             ;   in Loop: Header=BB450_13 Depth=1
	v_and_b32_e32 v19, 7, v2
	v_mov_b32_e32 v36, v20
	v_lshrrev_b32_e32 v0, 3, v1
	s_mov_b32 s25, exec_lo
	s_delay_alu instid0(VALU_DEP_3)
	v_mov_b32_e32 v35, v19
	v_cmpx_gt_u32_e32 8, v1
; %bb.1664:                             ;   in Loop: Header=BB450_13 Depth=1
	v_clz_i32_u32_e32 v0, v19
	s_delay_alu instid0(VALU_DEP_1) | instskip(NEXT) | instid1(VALU_DEP_1)
	v_min_u32_e32 v0, 32, v0
	v_subrev_nc_u32_e32 v1, 28, v0
	v_sub_nc_u32_e32 v0, 29, v0
	s_delay_alu instid0(VALU_DEP_2) | instskip(NEXT) | instid1(VALU_DEP_1)
	v_lshlrev_b64 v[1:2], v1, v[19:20]
	v_and_b32_e32 v35, 7, v1
; %bb.1665:                             ;   in Loop: Header=BB450_13 Depth=1
	s_or_b32 exec_lo, exec_lo, s25
	v_lshlrev_b32_e32 v1, 16, v33
	s_delay_alu instid0(VALU_DEP_2) | instskip(SKIP_1) | instid1(VALU_DEP_3)
	v_lshlrev_b32_e32 v2, 20, v35
	v_lshl_add_u32 v0, v0, 23, 0x3c000000
	v_and_b32_e32 v1, 0x80000000, v1
	s_delay_alu instid0(VALU_DEP_1)
	v_or3_b32 v0, v2, v1, v0
.LBB450_1666:                           ;   in Loop: Header=BB450_13 Depth=1
	s_or_b32 exec_lo, exec_lo, s24
.LBB450_1667:                           ;   in Loop: Header=BB450_13 Depth=1
	s_delay_alu instid0(SALU_CYCLE_1)
	s_or_b32 exec_lo, exec_lo, s23
.LBB450_1668:                           ;   in Loop: Header=BB450_13 Depth=1
	s_delay_alu instid0(SALU_CYCLE_1) | instskip(NEXT) | instid1(VALU_DEP_1)
	s_or_b32 exec_lo, exec_lo, s22
	v_mul_f32_e32 v0, v121, v0
                                        ; implicit-def: $vgpr47
	s_delay_alu instid0(VALU_DEP_1) | instskip(NEXT) | instid1(VALU_DEP_1)
	v_and_b32_e32 v1, 0x7f800000, v0
	v_cmp_ne_u32_e64 s2, 0x7f800000, v1
	s_delay_alu instid0(VALU_DEP_1) | instskip(NEXT) | instid1(SALU_CYCLE_1)
	s_and_saveexec_b32 s22, s2
	s_xor_b32 s2, exec_lo, s22
; %bb.1669:                             ;   in Loop: Header=BB450_13 Depth=1
	v_bfe_u32 v1, v0, 16, 1
	s_delay_alu instid0(VALU_DEP_1)
	v_add3_u32 v47, v0, v1, 0x7fff
                                        ; implicit-def: $vgpr0
; %bb.1670:                             ;   in Loop: Header=BB450_13 Depth=1
	s_and_not1_saveexec_b32 s22, s2
; %bb.1671:                             ;   in Loop: Header=BB450_13 Depth=1
	v_and_b32_e32 v1, 0xffff, v0
	v_or_b32_e32 v2, 0x10000, v0
	s_delay_alu instid0(VALU_DEP_2) | instskip(NEXT) | instid1(VALU_DEP_1)
	v_cmp_eq_u32_e64 s2, 0, v1
	v_cndmask_b32_e64 v47, v2, v0, s2
; %bb.1672:                             ;   in Loop: Header=BB450_13 Depth=1
	s_or_b32 exec_lo, exec_lo, s22
	v_lshrrev_b32_e32 v0, 16, v33
	s_mov_b32 s22, exec_lo
	s_delay_alu instid0(VALU_DEP_1) | instskip(NEXT) | instid1(VALU_DEP_1)
	v_dual_mov_b32 v1, 0 :: v_dual_and_b32 v2, 0xff, v0
	v_cmpx_ne_u16_e32 0, v2
	s_cbranch_execz .LBB450_1680
; %bb.1673:                             ;   in Loop: Header=BB450_13 Depth=1
	v_bfrev_b32_e32 v1, 1
	s_mov_b32 s23, exec_lo
	v_cmpx_ne_u16_e32 0x80, v2
	s_cbranch_execz .LBB450_1679
; %bb.1674:                             ;   in Loop: Header=BB450_13 Depth=1
	v_bfe_u32 v2, v33, 16, 7
	v_mov_b32_e32 v1, 0x7f800001
	s_mov_b32 s24, exec_lo
	s_delay_alu instid0(VALU_DEP_2)
	v_cmpx_ne_u32_e32 0x7f, v2
	s_cbranch_execz .LBB450_1678
; %bb.1675:                             ;   in Loop: Header=BB450_13 Depth=1
	v_and_b32_e32 v19, 7, v0
	v_mov_b32_e32 v36, v20
	v_lshrrev_b32_e32 v1, 3, v2
	s_mov_b32 s25, exec_lo
	s_delay_alu instid0(VALU_DEP_3)
	v_mov_b32_e32 v35, v19
	v_cmpx_gt_u32_e32 8, v2
; %bb.1676:                             ;   in Loop: Header=BB450_13 Depth=1
	v_clz_i32_u32_e32 v1, v19
	s_delay_alu instid0(VALU_DEP_1) | instskip(NEXT) | instid1(VALU_DEP_1)
	v_min_u32_e32 v1, 32, v1
	v_subrev_nc_u32_e32 v2, 28, v1
	v_sub_nc_u32_e32 v1, 29, v1
	s_delay_alu instid0(VALU_DEP_2) | instskip(NEXT) | instid1(VALU_DEP_1)
	v_lshlrev_b64 v[2:3], v2, v[19:20]
	v_and_b32_e32 v35, 7, v2
; %bb.1677:                             ;   in Loop: Header=BB450_13 Depth=1
	s_or_b32 exec_lo, exec_lo, s25
	v_lshlrev_b32_e32 v0, 24, v0
	s_delay_alu instid0(VALU_DEP_2) | instskip(SKIP_1) | instid1(VALU_DEP_3)
	v_lshlrev_b32_e32 v2, 20, v35
	v_lshl_add_u32 v1, v1, 23, 0x3c000000
	v_and_b32_e32 v0, 0x80000000, v0
	s_delay_alu instid0(VALU_DEP_1)
	v_or3_b32 v1, v2, v0, v1
.LBB450_1678:                           ;   in Loop: Header=BB450_13 Depth=1
	s_or_b32 exec_lo, exec_lo, s24
.LBB450_1679:                           ;   in Loop: Header=BB450_13 Depth=1
	s_delay_alu instid0(SALU_CYCLE_1)
	s_or_b32 exec_lo, exec_lo, s23
.LBB450_1680:                           ;   in Loop: Header=BB450_13 Depth=1
	s_delay_alu instid0(SALU_CYCLE_1) | instskip(NEXT) | instid1(VALU_DEP_1)
	s_or_b32 exec_lo, exec_lo, s22
	v_mul_f32_e32 v0, v121, v1
                                        ; implicit-def: $vgpr56
	s_delay_alu instid0(VALU_DEP_1) | instskip(NEXT) | instid1(VALU_DEP_1)
	v_and_b32_e32 v1, 0x7f800000, v0
	v_cmp_ne_u32_e64 s2, 0x7f800000, v1
	s_delay_alu instid0(VALU_DEP_1) | instskip(NEXT) | instid1(SALU_CYCLE_1)
	s_and_saveexec_b32 s22, s2
	s_xor_b32 s2, exec_lo, s22
; %bb.1681:                             ;   in Loop: Header=BB450_13 Depth=1
	v_bfe_u32 v1, v0, 16, 1
	s_delay_alu instid0(VALU_DEP_1)
	v_add3_u32 v56, v0, v1, 0x7fff
                                        ; implicit-def: $vgpr0
; %bb.1682:                             ;   in Loop: Header=BB450_13 Depth=1
	s_and_not1_saveexec_b32 s22, s2
; %bb.1683:                             ;   in Loop: Header=BB450_13 Depth=1
	v_and_b32_e32 v1, 0xffff, v0
	v_or_b32_e32 v2, 0x10000, v0
	s_delay_alu instid0(VALU_DEP_2) | instskip(NEXT) | instid1(VALU_DEP_1)
	v_cmp_eq_u32_e64 s2, 0, v1
	v_cndmask_b32_e64 v56, v2, v0, s2
; %bb.1684:                             ;   in Loop: Header=BB450_13 Depth=1
	s_or_b32 exec_lo, exec_lo, s22
	v_mov_b32_e32 v1, 0
	s_mov_b32 s22, exec_lo
	v_cmpx_lt_u32_e32 0xffffff, v33
	s_cbranch_execz .LBB450_1692
; %bb.1685:                             ;   in Loop: Header=BB450_13 Depth=1
	v_lshrrev_b32_e32 v0, 24, v33
	v_bfrev_b32_e32 v1, 1
	s_mov_b32 s23, exec_lo
	s_delay_alu instid0(VALU_DEP_2)
	v_cmpx_ne_u32_e32 0x80, v0
	s_cbranch_execz .LBB450_1691
; %bb.1686:                             ;   in Loop: Header=BB450_13 Depth=1
	v_bfe_u32 v2, v33, 24, 7
	v_mov_b32_e32 v1, 0x7f800001
	s_mov_b32 s24, exec_lo
	s_delay_alu instid0(VALU_DEP_2)
	v_cmpx_ne_u32_e32 0x7f, v2
	s_cbranch_execz .LBB450_1690
; %bb.1687:                             ;   in Loop: Header=BB450_13 Depth=1
	v_and_b32_e32 v19, 7, v0
	v_mov_b32_e32 v36, v20
	v_lshrrev_b32_e32 v1, 3, v2
	s_mov_b32 s25, exec_lo
	s_delay_alu instid0(VALU_DEP_3)
	v_mov_b32_e32 v35, v19
	v_cmpx_gt_u32_e32 8, v2
; %bb.1688:                             ;   in Loop: Header=BB450_13 Depth=1
	v_clz_i32_u32_e32 v1, v19
	s_delay_alu instid0(VALU_DEP_1) | instskip(NEXT) | instid1(VALU_DEP_1)
	v_min_u32_e32 v1, 32, v1
	v_subrev_nc_u32_e32 v2, 28, v1
	v_sub_nc_u32_e32 v1, 29, v1
	s_delay_alu instid0(VALU_DEP_2) | instskip(NEXT) | instid1(VALU_DEP_1)
	v_lshlrev_b64 v[2:3], v2, v[19:20]
	v_and_b32_e32 v35, 7, v2
; %bb.1689:                             ;   in Loop: Header=BB450_13 Depth=1
	s_or_b32 exec_lo, exec_lo, s25
	v_lshlrev_b32_e32 v0, 24, v0
	s_delay_alu instid0(VALU_DEP_2) | instskip(SKIP_1) | instid1(VALU_DEP_3)
	v_lshlrev_b32_e32 v2, 20, v35
	v_lshl_add_u32 v1, v1, 23, 0x3c000000
	v_and_b32_e32 v0, 0x80000000, v0
	s_delay_alu instid0(VALU_DEP_1)
	v_or3_b32 v1, v2, v0, v1
.LBB450_1690:                           ;   in Loop: Header=BB450_13 Depth=1
	s_or_b32 exec_lo, exec_lo, s24
.LBB450_1691:                           ;   in Loop: Header=BB450_13 Depth=1
	s_delay_alu instid0(SALU_CYCLE_1)
	s_or_b32 exec_lo, exec_lo, s23
.LBB450_1692:                           ;   in Loop: Header=BB450_13 Depth=1
	s_delay_alu instid0(SALU_CYCLE_1) | instskip(NEXT) | instid1(VALU_DEP_1)
	s_or_b32 exec_lo, exec_lo, s22
	v_mul_f32_e32 v0, v121, v1
                                        ; implicit-def: $vgpr16
	s_delay_alu instid0(VALU_DEP_1) | instskip(NEXT) | instid1(VALU_DEP_1)
	v_and_b32_e32 v1, 0x7f800000, v0
	v_cmp_ne_u32_e64 s2, 0x7f800000, v1
	s_delay_alu instid0(VALU_DEP_1) | instskip(NEXT) | instid1(SALU_CYCLE_1)
	s_and_saveexec_b32 s22, s2
	s_xor_b32 s2, exec_lo, s22
; %bb.1693:                             ;   in Loop: Header=BB450_13 Depth=1
	v_bfe_u32 v1, v0, 16, 1
	s_delay_alu instid0(VALU_DEP_1)
	v_add3_u32 v16, v0, v1, 0x7fff
                                        ; implicit-def: $vgpr0
; %bb.1694:                             ;   in Loop: Header=BB450_13 Depth=1
	s_and_not1_saveexec_b32 s22, s2
; %bb.1695:                             ;   in Loop: Header=BB450_13 Depth=1
	v_and_b32_e32 v1, 0xffff, v0
	v_or_b32_e32 v2, 0x10000, v0
	s_delay_alu instid0(VALU_DEP_2) | instskip(NEXT) | instid1(VALU_DEP_1)
	v_cmp_eq_u32_e64 s2, 0, v1
	v_cndmask_b32_e64 v16, v2, v0, s2
; %bb.1696:                             ;   in Loop: Header=BB450_13 Depth=1
	s_or_b32 exec_lo, exec_lo, s22
	v_dual_mov_b32 v0, 0 :: v_dual_and_b32 v1, 0xff, v34
	v_mov_b32_e32 v19, v34
	s_mov_b32 s22, exec_lo
	s_delay_alu instid0(VALU_DEP_2)
	v_cmpx_ne_u16_e32 0, v1
	s_cbranch_execz .LBB450_1704
; %bb.1697:                             ;   in Loop: Header=BB450_13 Depth=1
	v_bfrev_b32_e32 v0, 1
	s_mov_b32 s23, exec_lo
	v_cmpx_ne_u16_e32 0x80, v1
	s_cbranch_execz .LBB450_1703
; %bb.1698:                             ;   in Loop: Header=BB450_13 Depth=1
	v_and_b32_e32 v1, 0x7f, v34
	v_mov_b32_e32 v0, 0x7f800001
	s_mov_b32 s24, exec_lo
	s_delay_alu instid0(VALU_DEP_2)
	v_cmpx_ne_u32_e32 0x7f, v1
	s_cbranch_execz .LBB450_1702
; %bb.1699:                             ;   in Loop: Header=BB450_13 Depth=1
	v_dual_mov_b32 v36, v20 :: v_dual_mov_b32 v35, v19
	v_lshrrev_b32_e32 v0, 3, v1
	s_mov_b32 s25, exec_lo
	v_cmpx_gt_u32_e32 8, v1
; %bb.1700:                             ;   in Loop: Header=BB450_13 Depth=1
	v_and_b32_e32 v0, 7, v34
	s_delay_alu instid0(VALU_DEP_1) | instskip(NEXT) | instid1(VALU_DEP_1)
	v_clz_i32_u32_e32 v0, v0
	v_min_u32_e32 v0, 32, v0
	s_delay_alu instid0(VALU_DEP_1) | instskip(SKIP_1) | instid1(VALU_DEP_2)
	v_subrev_nc_u32_e32 v1, 28, v0
	v_sub_nc_u32_e32 v0, 29, v0
	v_lshlrev_b64 v[35:36], v1, v[19:20]
; %bb.1701:                             ;   in Loop: Header=BB450_13 Depth=1
	s_or_b32 exec_lo, exec_lo, s25
	s_delay_alu instid0(VALU_DEP_1) | instskip(SKIP_2) | instid1(VALU_DEP_3)
	v_lshlrev_b32_e32 v1, 20, v35
	v_lshlrev_b32_e32 v2, 24, v19
	v_lshl_add_u32 v0, v0, 23, 0x3c000000
	v_and_b32_e32 v1, 0x700000, v1
	s_delay_alu instid0(VALU_DEP_3) | instskip(NEXT) | instid1(VALU_DEP_1)
	v_and_b32_e32 v2, 0x80000000, v2
	v_or3_b32 v0, v1, v2, v0
.LBB450_1702:                           ;   in Loop: Header=BB450_13 Depth=1
	s_or_b32 exec_lo, exec_lo, s24
.LBB450_1703:                           ;   in Loop: Header=BB450_13 Depth=1
	s_delay_alu instid0(SALU_CYCLE_1)
	s_or_b32 exec_lo, exec_lo, s23
.LBB450_1704:                           ;   in Loop: Header=BB450_13 Depth=1
	s_delay_alu instid0(SALU_CYCLE_1) | instskip(NEXT) | instid1(VALU_DEP_1)
	s_or_b32 exec_lo, exec_lo, s22
	v_mul_f32_e32 v0, v121, v0
                                        ; implicit-def: $vgpr57
	s_delay_alu instid0(VALU_DEP_1) | instskip(NEXT) | instid1(VALU_DEP_1)
	v_and_b32_e32 v1, 0x7f800000, v0
	v_cmp_ne_u32_e64 s2, 0x7f800000, v1
	s_delay_alu instid0(VALU_DEP_1) | instskip(NEXT) | instid1(SALU_CYCLE_1)
	s_and_saveexec_b32 s22, s2
	s_xor_b32 s2, exec_lo, s22
; %bb.1705:                             ;   in Loop: Header=BB450_13 Depth=1
	v_bfe_u32 v1, v0, 16, 1
	s_delay_alu instid0(VALU_DEP_1)
	v_add3_u32 v57, v0, v1, 0x7fff
                                        ; implicit-def: $vgpr0
; %bb.1706:                             ;   in Loop: Header=BB450_13 Depth=1
	s_and_not1_saveexec_b32 s22, s2
; %bb.1707:                             ;   in Loop: Header=BB450_13 Depth=1
	v_and_b32_e32 v1, 0xffff, v0
	v_or_b32_e32 v2, 0x10000, v0
	s_delay_alu instid0(VALU_DEP_2) | instskip(NEXT) | instid1(VALU_DEP_1)
	v_cmp_eq_u32_e64 s2, 0, v1
	v_cndmask_b32_e64 v57, v2, v0, s2
; %bb.1708:                             ;   in Loop: Header=BB450_13 Depth=1
	s_or_b32 exec_lo, exec_lo, s22
	v_lshrrev_b16 v1, 8, v19
	v_mov_b32_e32 v0, 0
	s_mov_b32 s22, exec_lo
	s_delay_alu instid0(VALU_DEP_2)
	v_cmpx_ne_u16_e32 0, v1
	s_cbranch_execz .LBB450_1716
; %bb.1709:                             ;   in Loop: Header=BB450_13 Depth=1
	v_bfrev_b32_e32 v0, 1
	s_mov_b32 s23, exec_lo
	v_cmpx_ne_u16_e32 0x80, v1
	s_cbranch_execz .LBB450_1715
; %bb.1710:                             ;   in Loop: Header=BB450_13 Depth=1
	v_and_b32_e32 v2, 0xffff, v1
	v_mov_b32_e32 v0, 0x7f800001
	s_mov_b32 s24, exec_lo
	s_delay_alu instid0(VALU_DEP_2) | instskip(NEXT) | instid1(VALU_DEP_1)
	v_and_b32_e32 v1, 0x7f, v2
	v_cmpx_ne_u32_e32 0x7f, v1
	s_cbranch_execz .LBB450_1714
; %bb.1711:                             ;   in Loop: Header=BB450_13 Depth=1
	v_dual_mov_b32 v36, v20 :: v_dual_and_b32 v35, 7, v2
	v_lshrrev_b32_e32 v0, 3, v1
	s_mov_b32 s25, exec_lo
	v_cmpx_gt_u32_e32 8, v1
; %bb.1712:                             ;   in Loop: Header=BB450_13 Depth=1
	s_delay_alu instid0(VALU_DEP_3) | instskip(NEXT) | instid1(VALU_DEP_1)
	v_clz_i32_u32_e32 v0, v35
	v_min_u32_e32 v0, 32, v0
	s_delay_alu instid0(VALU_DEP_1) | instskip(SKIP_1) | instid1(VALU_DEP_2)
	v_subrev_nc_u32_e32 v1, 28, v0
	v_sub_nc_u32_e32 v0, 29, v0
	v_lshlrev_b64 v[1:2], v1, v[35:36]
	s_delay_alu instid0(VALU_DEP_1)
	v_and_b32_e32 v35, 7, v1
; %bb.1713:                             ;   in Loop: Header=BB450_13 Depth=1
	s_or_b32 exec_lo, exec_lo, s25
	v_lshlrev_b32_e32 v1, 16, v19
	s_delay_alu instid0(VALU_DEP_2) | instskip(SKIP_1) | instid1(VALU_DEP_3)
	v_lshlrev_b32_e32 v2, 20, v35
	v_lshl_add_u32 v0, v0, 23, 0x3c000000
	v_and_b32_e32 v1, 0x80000000, v1
	s_delay_alu instid0(VALU_DEP_1)
	v_or3_b32 v0, v2, v1, v0
.LBB450_1714:                           ;   in Loop: Header=BB450_13 Depth=1
	s_or_b32 exec_lo, exec_lo, s24
.LBB450_1715:                           ;   in Loop: Header=BB450_13 Depth=1
	s_delay_alu instid0(SALU_CYCLE_1)
	s_or_b32 exec_lo, exec_lo, s23
.LBB450_1716:                           ;   in Loop: Header=BB450_13 Depth=1
	s_delay_alu instid0(SALU_CYCLE_1) | instskip(NEXT) | instid1(VALU_DEP_1)
	s_or_b32 exec_lo, exec_lo, s22
	v_mul_f32_e32 v0, v121, v0
                                        ; implicit-def: $vgpr58
	s_delay_alu instid0(VALU_DEP_1) | instskip(NEXT) | instid1(VALU_DEP_1)
	v_and_b32_e32 v1, 0x7f800000, v0
	v_cmp_ne_u32_e64 s2, 0x7f800000, v1
	s_delay_alu instid0(VALU_DEP_1) | instskip(NEXT) | instid1(SALU_CYCLE_1)
	s_and_saveexec_b32 s22, s2
	s_xor_b32 s2, exec_lo, s22
; %bb.1717:                             ;   in Loop: Header=BB450_13 Depth=1
	v_bfe_u32 v1, v0, 16, 1
	s_delay_alu instid0(VALU_DEP_1)
	v_add3_u32 v58, v0, v1, 0x7fff
                                        ; implicit-def: $vgpr0
; %bb.1718:                             ;   in Loop: Header=BB450_13 Depth=1
	s_and_not1_saveexec_b32 s22, s2
; %bb.1719:                             ;   in Loop: Header=BB450_13 Depth=1
	v_and_b32_e32 v1, 0xffff, v0
	v_or_b32_e32 v2, 0x10000, v0
	s_delay_alu instid0(VALU_DEP_2) | instskip(NEXT) | instid1(VALU_DEP_1)
	v_cmp_eq_u32_e64 s2, 0, v1
	v_cndmask_b32_e64 v58, v2, v0, s2
; %bb.1720:                             ;   in Loop: Header=BB450_13 Depth=1
	s_or_b32 exec_lo, exec_lo, s22
	v_lshrrev_b32_e32 v0, 16, v34
	s_mov_b32 s22, exec_lo
	s_delay_alu instid0(VALU_DEP_1) | instskip(NEXT) | instid1(VALU_DEP_1)
	v_dual_mov_b32 v1, 0 :: v_dual_and_b32 v2, 0xff, v0
	v_cmpx_ne_u16_e32 0, v2
	s_cbranch_execz .LBB450_1728
; %bb.1721:                             ;   in Loop: Header=BB450_13 Depth=1
	v_bfrev_b32_e32 v1, 1
	s_mov_b32 s23, exec_lo
	v_cmpx_ne_u16_e32 0x80, v2
	s_cbranch_execz .LBB450_1727
; %bb.1722:                             ;   in Loop: Header=BB450_13 Depth=1
	v_bfe_u32 v2, v34, 16, 7
	v_mov_b32_e32 v1, 0x7f800001
	s_mov_b32 s24, exec_lo
	s_delay_alu instid0(VALU_DEP_2)
	v_cmpx_ne_u32_e32 0x7f, v2
	s_cbranch_execz .LBB450_1726
; %bb.1723:                             ;   in Loop: Header=BB450_13 Depth=1
	v_and_b32_e32 v19, 7, v0
	v_mov_b32_e32 v36, v20
	v_lshrrev_b32_e32 v1, 3, v2
	s_mov_b32 s25, exec_lo
	s_delay_alu instid0(VALU_DEP_3)
	v_mov_b32_e32 v35, v19
	v_cmpx_gt_u32_e32 8, v2
; %bb.1724:                             ;   in Loop: Header=BB450_13 Depth=1
	v_clz_i32_u32_e32 v1, v19
	s_delay_alu instid0(VALU_DEP_1) | instskip(NEXT) | instid1(VALU_DEP_1)
	v_min_u32_e32 v1, 32, v1
	v_subrev_nc_u32_e32 v2, 28, v1
	v_sub_nc_u32_e32 v1, 29, v1
	s_delay_alu instid0(VALU_DEP_2) | instskip(NEXT) | instid1(VALU_DEP_1)
	v_lshlrev_b64 v[2:3], v2, v[19:20]
	v_and_b32_e32 v35, 7, v2
; %bb.1725:                             ;   in Loop: Header=BB450_13 Depth=1
	s_or_b32 exec_lo, exec_lo, s25
	v_lshlrev_b32_e32 v0, 24, v0
	s_delay_alu instid0(VALU_DEP_2) | instskip(SKIP_1) | instid1(VALU_DEP_3)
	v_lshlrev_b32_e32 v2, 20, v35
	v_lshl_add_u32 v1, v1, 23, 0x3c000000
	v_and_b32_e32 v0, 0x80000000, v0
	s_delay_alu instid0(VALU_DEP_1)
	v_or3_b32 v1, v2, v0, v1
.LBB450_1726:                           ;   in Loop: Header=BB450_13 Depth=1
	s_or_b32 exec_lo, exec_lo, s24
.LBB450_1727:                           ;   in Loop: Header=BB450_13 Depth=1
	s_delay_alu instid0(SALU_CYCLE_1)
	s_or_b32 exec_lo, exec_lo, s23
.LBB450_1728:                           ;   in Loop: Header=BB450_13 Depth=1
	s_delay_alu instid0(SALU_CYCLE_1) | instskip(NEXT) | instid1(VALU_DEP_1)
	s_or_b32 exec_lo, exec_lo, s22
	v_mul_f32_e32 v0, v121, v1
                                        ; implicit-def: $vgpr59
	s_delay_alu instid0(VALU_DEP_1) | instskip(NEXT) | instid1(VALU_DEP_1)
	v_and_b32_e32 v1, 0x7f800000, v0
	v_cmp_ne_u32_e64 s2, 0x7f800000, v1
	s_delay_alu instid0(VALU_DEP_1) | instskip(NEXT) | instid1(SALU_CYCLE_1)
	s_and_saveexec_b32 s22, s2
	s_xor_b32 s2, exec_lo, s22
; %bb.1729:                             ;   in Loop: Header=BB450_13 Depth=1
	v_bfe_u32 v1, v0, 16, 1
	s_delay_alu instid0(VALU_DEP_1)
	v_add3_u32 v59, v0, v1, 0x7fff
                                        ; implicit-def: $vgpr0
; %bb.1730:                             ;   in Loop: Header=BB450_13 Depth=1
	s_and_not1_saveexec_b32 s22, s2
; %bb.1731:                             ;   in Loop: Header=BB450_13 Depth=1
	v_and_b32_e32 v1, 0xffff, v0
	v_or_b32_e32 v2, 0x10000, v0
	s_delay_alu instid0(VALU_DEP_2) | instskip(NEXT) | instid1(VALU_DEP_1)
	v_cmp_eq_u32_e64 s2, 0, v1
	v_cndmask_b32_e64 v59, v2, v0, s2
; %bb.1732:                             ;   in Loop: Header=BB450_13 Depth=1
	s_or_b32 exec_lo, exec_lo, s22
	v_mov_b32_e32 v1, 0
	s_mov_b32 s22, exec_lo
	v_cmpx_lt_u64_e64 s[8:9], v[33:34]
	s_cbranch_execz .LBB450_1740
; %bb.1733:                             ;   in Loop: Header=BB450_13 Depth=1
	v_lshrrev_b32_e32 v0, 24, v34
	v_bfrev_b32_e32 v1, 1
	s_mov_b32 s23, exec_lo
	s_delay_alu instid0(VALU_DEP_2)
	v_cmpx_ne_u32_e32 0x80, v0
	s_cbranch_execz .LBB450_1739
; %bb.1734:                             ;   in Loop: Header=BB450_13 Depth=1
	v_bfe_u32 v2, v34, 24, 7
	v_mov_b32_e32 v1, 0x7f800001
	s_mov_b32 s24, exec_lo
	s_delay_alu instid0(VALU_DEP_2)
	v_cmpx_ne_u32_e32 0x7f, v2
	s_cbranch_execz .LBB450_1738
; %bb.1735:                             ;   in Loop: Header=BB450_13 Depth=1
	v_and_b32_e32 v19, 7, v0
	v_mov_b32_e32 v34, v20
	v_lshrrev_b32_e32 v1, 3, v2
	s_mov_b32 s25, exec_lo
	s_delay_alu instid0(VALU_DEP_3)
	v_mov_b32_e32 v33, v19
	v_cmpx_gt_u32_e32 8, v2
; %bb.1736:                             ;   in Loop: Header=BB450_13 Depth=1
	v_clz_i32_u32_e32 v1, v19
	s_delay_alu instid0(VALU_DEP_1) | instskip(NEXT) | instid1(VALU_DEP_1)
	v_min_u32_e32 v1, 32, v1
	v_subrev_nc_u32_e32 v2, 28, v1
	v_sub_nc_u32_e32 v1, 29, v1
	s_delay_alu instid0(VALU_DEP_2) | instskip(NEXT) | instid1(VALU_DEP_1)
	v_lshlrev_b64 v[2:3], v2, v[19:20]
	v_and_b32_e32 v33, 7, v2
; %bb.1737:                             ;   in Loop: Header=BB450_13 Depth=1
	s_or_b32 exec_lo, exec_lo, s25
	v_lshlrev_b32_e32 v0, 24, v0
	s_delay_alu instid0(VALU_DEP_2) | instskip(SKIP_1) | instid1(VALU_DEP_3)
	v_lshlrev_b32_e32 v2, 20, v33
	v_lshl_add_u32 v1, v1, 23, 0x3c000000
	v_and_b32_e32 v0, 0x80000000, v0
	s_delay_alu instid0(VALU_DEP_1)
	v_or3_b32 v1, v2, v0, v1
.LBB450_1738:                           ;   in Loop: Header=BB450_13 Depth=1
	s_or_b32 exec_lo, exec_lo, s24
.LBB450_1739:                           ;   in Loop: Header=BB450_13 Depth=1
	s_delay_alu instid0(SALU_CYCLE_1)
	s_or_b32 exec_lo, exec_lo, s23
.LBB450_1740:                           ;   in Loop: Header=BB450_13 Depth=1
	s_delay_alu instid0(SALU_CYCLE_1) | instskip(NEXT) | instid1(VALU_DEP_1)
	s_or_b32 exec_lo, exec_lo, s22
	v_mul_f32_e32 v0, v121, v1
                                        ; implicit-def: $vgpr60
	s_delay_alu instid0(VALU_DEP_1) | instskip(NEXT) | instid1(VALU_DEP_1)
	v_and_b32_e32 v1, 0x7f800000, v0
	v_cmp_ne_u32_e64 s2, 0x7f800000, v1
	s_delay_alu instid0(VALU_DEP_1) | instskip(NEXT) | instid1(SALU_CYCLE_1)
	s_and_saveexec_b32 s22, s2
	s_xor_b32 s2, exec_lo, s22
; %bb.1741:                             ;   in Loop: Header=BB450_13 Depth=1
	v_bfe_u32 v1, v0, 16, 1
	s_delay_alu instid0(VALU_DEP_1)
	v_add3_u32 v60, v0, v1, 0x7fff
                                        ; implicit-def: $vgpr0
; %bb.1742:                             ;   in Loop: Header=BB450_13 Depth=1
	s_and_not1_saveexec_b32 s22, s2
; %bb.1743:                             ;   in Loop: Header=BB450_13 Depth=1
	v_and_b32_e32 v1, 0xffff, v0
	v_or_b32_e32 v2, 0x10000, v0
	s_delay_alu instid0(VALU_DEP_2) | instskip(NEXT) | instid1(VALU_DEP_1)
	v_cmp_eq_u32_e64 s2, 0, v1
	v_cndmask_b32_e64 v60, v2, v0, s2
; %bb.1744:                             ;   in Loop: Header=BB450_13 Depth=1
	s_or_b32 exec_lo, exec_lo, s22
	flat_load_b64 v[33:34], v[31:32] offset:512
	s_mov_b32 s22, exec_lo
	s_waitcnt vmcnt(0) lgkmcnt(0)
	v_dual_mov_b32 v0, 0 :: v_dual_and_b32 v1, 0xff, v33
	s_delay_alu instid0(VALU_DEP_1)
	v_cmpx_ne_u16_e32 0, v1
	s_cbranch_execz .LBB450_1752
; %bb.1745:                             ;   in Loop: Header=BB450_13 Depth=1
	v_bfrev_b32_e32 v0, 1
	s_mov_b32 s23, exec_lo
	v_cmpx_ne_u16_e32 0x80, v1
	s_cbranch_execz .LBB450_1751
; %bb.1746:                             ;   in Loop: Header=BB450_13 Depth=1
	v_and_b32_e32 v1, 0x7f, v33
	v_mov_b32_e32 v0, 0x7f800001
	s_mov_b32 s24, exec_lo
	s_delay_alu instid0(VALU_DEP_2)
	v_cmpx_ne_u32_e32 0x7f, v1
	s_cbranch_execz .LBB450_1750
; %bb.1747:                             ;   in Loop: Header=BB450_13 Depth=1
	v_lshrrev_b32_e32 v0, 3, v1
	v_dual_mov_b32 v36, v34 :: v_dual_mov_b32 v35, v33
	s_mov_b32 s25, exec_lo
	v_cmpx_gt_u32_e32 8, v1
; %bb.1748:                             ;   in Loop: Header=BB450_13 Depth=1
	v_and_b32_e32 v0, 7, v33
	s_delay_alu instid0(VALU_DEP_1) | instskip(NEXT) | instid1(VALU_DEP_1)
	v_clz_i32_u32_e32 v0, v0
	v_min_u32_e32 v0, 32, v0
	s_delay_alu instid0(VALU_DEP_1) | instskip(SKIP_1) | instid1(VALU_DEP_2)
	v_subrev_nc_u32_e32 v1, 28, v0
	v_sub_nc_u32_e32 v0, 29, v0
	v_lshlrev_b64 v[35:36], v1, v[33:34]
; %bb.1749:                             ;   in Loop: Header=BB450_13 Depth=1
	s_or_b32 exec_lo, exec_lo, s25
	s_delay_alu instid0(VALU_DEP_1) | instskip(SKIP_2) | instid1(VALU_DEP_3)
	v_lshlrev_b32_e32 v1, 20, v35
	v_lshlrev_b32_e32 v2, 24, v33
	v_lshl_add_u32 v0, v0, 23, 0x3c000000
	v_and_b32_e32 v1, 0x700000, v1
	s_delay_alu instid0(VALU_DEP_3) | instskip(NEXT) | instid1(VALU_DEP_1)
	v_and_b32_e32 v2, 0x80000000, v2
	v_or3_b32 v0, v1, v2, v0
.LBB450_1750:                           ;   in Loop: Header=BB450_13 Depth=1
	s_or_b32 exec_lo, exec_lo, s24
.LBB450_1751:                           ;   in Loop: Header=BB450_13 Depth=1
	s_delay_alu instid0(SALU_CYCLE_1)
	s_or_b32 exec_lo, exec_lo, s23
.LBB450_1752:                           ;   in Loop: Header=BB450_13 Depth=1
	s_delay_alu instid0(SALU_CYCLE_1) | instskip(NEXT) | instid1(VALU_DEP_1)
	s_or_b32 exec_lo, exec_lo, s22
	v_mul_f32_e32 v0, v121, v0
                                        ; implicit-def: $vgpr61
	s_delay_alu instid0(VALU_DEP_1) | instskip(NEXT) | instid1(VALU_DEP_1)
	v_and_b32_e32 v1, 0x7f800000, v0
	v_cmp_ne_u32_e64 s2, 0x7f800000, v1
	s_delay_alu instid0(VALU_DEP_1) | instskip(NEXT) | instid1(SALU_CYCLE_1)
	s_and_saveexec_b32 s22, s2
	s_xor_b32 s2, exec_lo, s22
; %bb.1753:                             ;   in Loop: Header=BB450_13 Depth=1
	v_bfe_u32 v1, v0, 16, 1
	s_delay_alu instid0(VALU_DEP_1)
	v_add3_u32 v61, v0, v1, 0x7fff
                                        ; implicit-def: $vgpr0
; %bb.1754:                             ;   in Loop: Header=BB450_13 Depth=1
	s_and_not1_saveexec_b32 s22, s2
; %bb.1755:                             ;   in Loop: Header=BB450_13 Depth=1
	v_and_b32_e32 v1, 0xffff, v0
	v_or_b32_e32 v2, 0x10000, v0
	s_delay_alu instid0(VALU_DEP_2) | instskip(NEXT) | instid1(VALU_DEP_1)
	v_cmp_eq_u32_e64 s2, 0, v1
	v_cndmask_b32_e64 v61, v2, v0, s2
; %bb.1756:                             ;   in Loop: Header=BB450_13 Depth=1
	s_or_b32 exec_lo, exec_lo, s22
	v_lshrrev_b16 v1, 8, v33
	v_mov_b32_e32 v0, 0
	s_mov_b32 s22, exec_lo
	s_delay_alu instid0(VALU_DEP_2)
	v_cmpx_ne_u16_e32 0, v1
	s_cbranch_execz .LBB450_1764
; %bb.1757:                             ;   in Loop: Header=BB450_13 Depth=1
	v_bfrev_b32_e32 v0, 1
	s_mov_b32 s23, exec_lo
	v_cmpx_ne_u16_e32 0x80, v1
	s_cbranch_execz .LBB450_1763
; %bb.1758:                             ;   in Loop: Header=BB450_13 Depth=1
	v_and_b32_e32 v2, 0xffff, v1
	v_mov_b32_e32 v0, 0x7f800001
	s_mov_b32 s24, exec_lo
	s_delay_alu instid0(VALU_DEP_2) | instskip(NEXT) | instid1(VALU_DEP_1)
	v_and_b32_e32 v1, 0x7f, v2
	v_cmpx_ne_u32_e32 0x7f, v1
	s_cbranch_execz .LBB450_1762
; %bb.1759:                             ;   in Loop: Header=BB450_13 Depth=1
	v_and_b32_e32 v19, 7, v2
	v_mov_b32_e32 v36, v20
	v_lshrrev_b32_e32 v0, 3, v1
	s_mov_b32 s25, exec_lo
	s_delay_alu instid0(VALU_DEP_3)
	v_mov_b32_e32 v35, v19
	v_cmpx_gt_u32_e32 8, v1
; %bb.1760:                             ;   in Loop: Header=BB450_13 Depth=1
	v_clz_i32_u32_e32 v0, v19
	s_delay_alu instid0(VALU_DEP_1) | instskip(NEXT) | instid1(VALU_DEP_1)
	v_min_u32_e32 v0, 32, v0
	v_subrev_nc_u32_e32 v1, 28, v0
	v_sub_nc_u32_e32 v0, 29, v0
	s_delay_alu instid0(VALU_DEP_2) | instskip(NEXT) | instid1(VALU_DEP_1)
	v_lshlrev_b64 v[1:2], v1, v[19:20]
	v_and_b32_e32 v35, 7, v1
; %bb.1761:                             ;   in Loop: Header=BB450_13 Depth=1
	s_or_b32 exec_lo, exec_lo, s25
	v_lshlrev_b32_e32 v1, 16, v33
	s_delay_alu instid0(VALU_DEP_2) | instskip(SKIP_1) | instid1(VALU_DEP_3)
	v_lshlrev_b32_e32 v2, 20, v35
	v_lshl_add_u32 v0, v0, 23, 0x3c000000
	v_and_b32_e32 v1, 0x80000000, v1
	s_delay_alu instid0(VALU_DEP_1)
	v_or3_b32 v0, v2, v1, v0
.LBB450_1762:                           ;   in Loop: Header=BB450_13 Depth=1
	s_or_b32 exec_lo, exec_lo, s24
.LBB450_1763:                           ;   in Loop: Header=BB450_13 Depth=1
	s_delay_alu instid0(SALU_CYCLE_1)
	s_or_b32 exec_lo, exec_lo, s23
.LBB450_1764:                           ;   in Loop: Header=BB450_13 Depth=1
	s_delay_alu instid0(SALU_CYCLE_1) | instskip(NEXT) | instid1(VALU_DEP_1)
	s_or_b32 exec_lo, exec_lo, s22
	v_mul_f32_e32 v0, v121, v0
                                        ; implicit-def: $vgpr62
	s_delay_alu instid0(VALU_DEP_1) | instskip(NEXT) | instid1(VALU_DEP_1)
	v_and_b32_e32 v1, 0x7f800000, v0
	v_cmp_ne_u32_e64 s2, 0x7f800000, v1
	s_delay_alu instid0(VALU_DEP_1) | instskip(NEXT) | instid1(SALU_CYCLE_1)
	s_and_saveexec_b32 s22, s2
	s_xor_b32 s2, exec_lo, s22
; %bb.1765:                             ;   in Loop: Header=BB450_13 Depth=1
	v_bfe_u32 v1, v0, 16, 1
	s_delay_alu instid0(VALU_DEP_1)
	v_add3_u32 v62, v0, v1, 0x7fff
                                        ; implicit-def: $vgpr0
; %bb.1766:                             ;   in Loop: Header=BB450_13 Depth=1
	s_and_not1_saveexec_b32 s22, s2
; %bb.1767:                             ;   in Loop: Header=BB450_13 Depth=1
	v_and_b32_e32 v1, 0xffff, v0
	v_or_b32_e32 v2, 0x10000, v0
	s_delay_alu instid0(VALU_DEP_2) | instskip(NEXT) | instid1(VALU_DEP_1)
	v_cmp_eq_u32_e64 s2, 0, v1
	v_cndmask_b32_e64 v62, v2, v0, s2
; %bb.1768:                             ;   in Loop: Header=BB450_13 Depth=1
	s_or_b32 exec_lo, exec_lo, s22
	v_lshrrev_b32_e32 v0, 16, v33
	s_mov_b32 s22, exec_lo
	s_delay_alu instid0(VALU_DEP_1) | instskip(NEXT) | instid1(VALU_DEP_1)
	v_dual_mov_b32 v1, 0 :: v_dual_and_b32 v2, 0xff, v0
	v_cmpx_ne_u16_e32 0, v2
	s_cbranch_execz .LBB450_1776
; %bb.1769:                             ;   in Loop: Header=BB450_13 Depth=1
	v_bfrev_b32_e32 v1, 1
	s_mov_b32 s23, exec_lo
	v_cmpx_ne_u16_e32 0x80, v2
	s_cbranch_execz .LBB450_1775
; %bb.1770:                             ;   in Loop: Header=BB450_13 Depth=1
	v_bfe_u32 v2, v33, 16, 7
	v_mov_b32_e32 v1, 0x7f800001
	s_mov_b32 s24, exec_lo
	s_delay_alu instid0(VALU_DEP_2)
	v_cmpx_ne_u32_e32 0x7f, v2
	s_cbranch_execz .LBB450_1774
; %bb.1771:                             ;   in Loop: Header=BB450_13 Depth=1
	v_and_b32_e32 v19, 7, v0
	v_mov_b32_e32 v36, v20
	v_lshrrev_b32_e32 v1, 3, v2
	s_mov_b32 s25, exec_lo
	s_delay_alu instid0(VALU_DEP_3)
	v_mov_b32_e32 v35, v19
	v_cmpx_gt_u32_e32 8, v2
; %bb.1772:                             ;   in Loop: Header=BB450_13 Depth=1
	v_clz_i32_u32_e32 v1, v19
	s_delay_alu instid0(VALU_DEP_1) | instskip(NEXT) | instid1(VALU_DEP_1)
	v_min_u32_e32 v1, 32, v1
	v_subrev_nc_u32_e32 v2, 28, v1
	v_sub_nc_u32_e32 v1, 29, v1
	s_delay_alu instid0(VALU_DEP_2) | instskip(NEXT) | instid1(VALU_DEP_1)
	v_lshlrev_b64 v[2:3], v2, v[19:20]
	v_and_b32_e32 v35, 7, v2
; %bb.1773:                             ;   in Loop: Header=BB450_13 Depth=1
	s_or_b32 exec_lo, exec_lo, s25
	v_lshlrev_b32_e32 v0, 24, v0
	s_delay_alu instid0(VALU_DEP_2) | instskip(SKIP_1) | instid1(VALU_DEP_3)
	v_lshlrev_b32_e32 v2, 20, v35
	v_lshl_add_u32 v1, v1, 23, 0x3c000000
	v_and_b32_e32 v0, 0x80000000, v0
	s_delay_alu instid0(VALU_DEP_1)
	v_or3_b32 v1, v2, v0, v1
.LBB450_1774:                           ;   in Loop: Header=BB450_13 Depth=1
	s_or_b32 exec_lo, exec_lo, s24
.LBB450_1775:                           ;   in Loop: Header=BB450_13 Depth=1
	s_delay_alu instid0(SALU_CYCLE_1)
	s_or_b32 exec_lo, exec_lo, s23
.LBB450_1776:                           ;   in Loop: Header=BB450_13 Depth=1
	s_delay_alu instid0(SALU_CYCLE_1) | instskip(NEXT) | instid1(VALU_DEP_1)
	s_or_b32 exec_lo, exec_lo, s22
	v_mul_f32_e32 v0, v121, v1
                                        ; implicit-def: $vgpr63
	s_delay_alu instid0(VALU_DEP_1) | instskip(NEXT) | instid1(VALU_DEP_1)
	v_and_b32_e32 v1, 0x7f800000, v0
	v_cmp_ne_u32_e64 s2, 0x7f800000, v1
	s_delay_alu instid0(VALU_DEP_1) | instskip(NEXT) | instid1(SALU_CYCLE_1)
	s_and_saveexec_b32 s22, s2
	s_xor_b32 s2, exec_lo, s22
; %bb.1777:                             ;   in Loop: Header=BB450_13 Depth=1
	v_bfe_u32 v1, v0, 16, 1
	s_delay_alu instid0(VALU_DEP_1)
	v_add3_u32 v63, v0, v1, 0x7fff
                                        ; implicit-def: $vgpr0
; %bb.1778:                             ;   in Loop: Header=BB450_13 Depth=1
	s_and_not1_saveexec_b32 s22, s2
; %bb.1779:                             ;   in Loop: Header=BB450_13 Depth=1
	v_and_b32_e32 v1, 0xffff, v0
	v_or_b32_e32 v2, 0x10000, v0
	s_delay_alu instid0(VALU_DEP_2) | instskip(NEXT) | instid1(VALU_DEP_1)
	v_cmp_eq_u32_e64 s2, 0, v1
	v_cndmask_b32_e64 v63, v2, v0, s2
; %bb.1780:                             ;   in Loop: Header=BB450_13 Depth=1
	s_or_b32 exec_lo, exec_lo, s22
	v_mov_b32_e32 v1, 0
	s_mov_b32 s22, exec_lo
	v_cmpx_lt_u32_e32 0xffffff, v33
	s_cbranch_execz .LBB450_1788
; %bb.1781:                             ;   in Loop: Header=BB450_13 Depth=1
	v_lshrrev_b32_e32 v0, 24, v33
	v_bfrev_b32_e32 v1, 1
	s_mov_b32 s23, exec_lo
	s_delay_alu instid0(VALU_DEP_2)
	v_cmpx_ne_u32_e32 0x80, v0
	s_cbranch_execz .LBB450_1787
; %bb.1782:                             ;   in Loop: Header=BB450_13 Depth=1
	v_bfe_u32 v2, v33, 24, 7
	v_mov_b32_e32 v1, 0x7f800001
	s_mov_b32 s24, exec_lo
	s_delay_alu instid0(VALU_DEP_2)
	v_cmpx_ne_u32_e32 0x7f, v2
	s_cbranch_execz .LBB450_1786
; %bb.1783:                             ;   in Loop: Header=BB450_13 Depth=1
	v_and_b32_e32 v19, 7, v0
	v_mov_b32_e32 v36, v20
	v_lshrrev_b32_e32 v1, 3, v2
	s_mov_b32 s25, exec_lo
	s_delay_alu instid0(VALU_DEP_3)
	v_mov_b32_e32 v35, v19
	v_cmpx_gt_u32_e32 8, v2
; %bb.1784:                             ;   in Loop: Header=BB450_13 Depth=1
	v_clz_i32_u32_e32 v1, v19
	s_delay_alu instid0(VALU_DEP_1) | instskip(NEXT) | instid1(VALU_DEP_1)
	v_min_u32_e32 v1, 32, v1
	v_subrev_nc_u32_e32 v2, 28, v1
	v_sub_nc_u32_e32 v1, 29, v1
	s_delay_alu instid0(VALU_DEP_2) | instskip(NEXT) | instid1(VALU_DEP_1)
	v_lshlrev_b64 v[2:3], v2, v[19:20]
	v_and_b32_e32 v35, 7, v2
; %bb.1785:                             ;   in Loop: Header=BB450_13 Depth=1
	s_or_b32 exec_lo, exec_lo, s25
	v_lshlrev_b32_e32 v0, 24, v0
	s_delay_alu instid0(VALU_DEP_2) | instskip(SKIP_1) | instid1(VALU_DEP_3)
	v_lshlrev_b32_e32 v2, 20, v35
	v_lshl_add_u32 v1, v1, 23, 0x3c000000
	v_and_b32_e32 v0, 0x80000000, v0
	s_delay_alu instid0(VALU_DEP_1)
	v_or3_b32 v1, v2, v0, v1
.LBB450_1786:                           ;   in Loop: Header=BB450_13 Depth=1
	s_or_b32 exec_lo, exec_lo, s24
.LBB450_1787:                           ;   in Loop: Header=BB450_13 Depth=1
	s_delay_alu instid0(SALU_CYCLE_1)
	s_or_b32 exec_lo, exec_lo, s23
.LBB450_1788:                           ;   in Loop: Header=BB450_13 Depth=1
	s_delay_alu instid0(SALU_CYCLE_1) | instskip(NEXT) | instid1(VALU_DEP_1)
	s_or_b32 exec_lo, exec_lo, s22
	v_mul_f32_e32 v0, v121, v1
                                        ; implicit-def: $vgpr72
	s_delay_alu instid0(VALU_DEP_1) | instskip(NEXT) | instid1(VALU_DEP_1)
	v_and_b32_e32 v1, 0x7f800000, v0
	v_cmp_ne_u32_e64 s2, 0x7f800000, v1
	s_delay_alu instid0(VALU_DEP_1) | instskip(NEXT) | instid1(SALU_CYCLE_1)
	s_and_saveexec_b32 s22, s2
	s_xor_b32 s2, exec_lo, s22
; %bb.1789:                             ;   in Loop: Header=BB450_13 Depth=1
	v_bfe_u32 v1, v0, 16, 1
	s_delay_alu instid0(VALU_DEP_1)
	v_add3_u32 v72, v0, v1, 0x7fff
                                        ; implicit-def: $vgpr0
; %bb.1790:                             ;   in Loop: Header=BB450_13 Depth=1
	s_and_not1_saveexec_b32 s22, s2
; %bb.1791:                             ;   in Loop: Header=BB450_13 Depth=1
	v_and_b32_e32 v1, 0xffff, v0
	v_or_b32_e32 v2, 0x10000, v0
	s_delay_alu instid0(VALU_DEP_2) | instskip(NEXT) | instid1(VALU_DEP_1)
	v_cmp_eq_u32_e64 s2, 0, v1
	v_cndmask_b32_e64 v72, v2, v0, s2
; %bb.1792:                             ;   in Loop: Header=BB450_13 Depth=1
	s_or_b32 exec_lo, exec_lo, s22
	v_dual_mov_b32 v0, 0 :: v_dual_and_b32 v1, 0xff, v34
	v_mov_b32_e32 v19, v34
	s_mov_b32 s22, exec_lo
	s_delay_alu instid0(VALU_DEP_2)
	v_cmpx_ne_u16_e32 0, v1
	s_cbranch_execz .LBB450_1800
; %bb.1793:                             ;   in Loop: Header=BB450_13 Depth=1
	v_bfrev_b32_e32 v0, 1
	s_mov_b32 s23, exec_lo
	v_cmpx_ne_u16_e32 0x80, v1
	s_cbranch_execz .LBB450_1799
; %bb.1794:                             ;   in Loop: Header=BB450_13 Depth=1
	v_and_b32_e32 v1, 0x7f, v34
	v_mov_b32_e32 v0, 0x7f800001
	s_mov_b32 s24, exec_lo
	s_delay_alu instid0(VALU_DEP_2)
	v_cmpx_ne_u32_e32 0x7f, v1
	s_cbranch_execz .LBB450_1798
; %bb.1795:                             ;   in Loop: Header=BB450_13 Depth=1
	v_dual_mov_b32 v36, v20 :: v_dual_mov_b32 v35, v19
	v_lshrrev_b32_e32 v0, 3, v1
	s_mov_b32 s25, exec_lo
	v_cmpx_gt_u32_e32 8, v1
; %bb.1796:                             ;   in Loop: Header=BB450_13 Depth=1
	v_and_b32_e32 v0, 7, v34
	s_delay_alu instid0(VALU_DEP_1) | instskip(NEXT) | instid1(VALU_DEP_1)
	v_clz_i32_u32_e32 v0, v0
	v_min_u32_e32 v0, 32, v0
	s_delay_alu instid0(VALU_DEP_1) | instskip(SKIP_1) | instid1(VALU_DEP_2)
	v_subrev_nc_u32_e32 v1, 28, v0
	v_sub_nc_u32_e32 v0, 29, v0
	v_lshlrev_b64 v[35:36], v1, v[19:20]
; %bb.1797:                             ;   in Loop: Header=BB450_13 Depth=1
	s_or_b32 exec_lo, exec_lo, s25
	s_delay_alu instid0(VALU_DEP_1) | instskip(SKIP_2) | instid1(VALU_DEP_3)
	v_lshlrev_b32_e32 v1, 20, v35
	v_lshlrev_b32_e32 v2, 24, v19
	v_lshl_add_u32 v0, v0, 23, 0x3c000000
	v_and_b32_e32 v1, 0x700000, v1
	s_delay_alu instid0(VALU_DEP_3) | instskip(NEXT) | instid1(VALU_DEP_1)
	v_and_b32_e32 v2, 0x80000000, v2
	v_or3_b32 v0, v1, v2, v0
.LBB450_1798:                           ;   in Loop: Header=BB450_13 Depth=1
	s_or_b32 exec_lo, exec_lo, s24
.LBB450_1799:                           ;   in Loop: Header=BB450_13 Depth=1
	s_delay_alu instid0(SALU_CYCLE_1)
	s_or_b32 exec_lo, exec_lo, s23
.LBB450_1800:                           ;   in Loop: Header=BB450_13 Depth=1
	s_delay_alu instid0(SALU_CYCLE_1) | instskip(NEXT) | instid1(VALU_DEP_1)
	s_or_b32 exec_lo, exec_lo, s22
	v_mul_f32_e32 v0, v121, v0
                                        ; implicit-def: $vgpr73
	s_delay_alu instid0(VALU_DEP_1) | instskip(NEXT) | instid1(VALU_DEP_1)
	v_and_b32_e32 v1, 0x7f800000, v0
	v_cmp_ne_u32_e64 s2, 0x7f800000, v1
	s_delay_alu instid0(VALU_DEP_1) | instskip(NEXT) | instid1(SALU_CYCLE_1)
	s_and_saveexec_b32 s22, s2
	s_xor_b32 s2, exec_lo, s22
; %bb.1801:                             ;   in Loop: Header=BB450_13 Depth=1
	v_bfe_u32 v1, v0, 16, 1
	s_delay_alu instid0(VALU_DEP_1)
	v_add3_u32 v73, v0, v1, 0x7fff
                                        ; implicit-def: $vgpr0
; %bb.1802:                             ;   in Loop: Header=BB450_13 Depth=1
	s_and_not1_saveexec_b32 s22, s2
; %bb.1803:                             ;   in Loop: Header=BB450_13 Depth=1
	v_and_b32_e32 v1, 0xffff, v0
	v_or_b32_e32 v2, 0x10000, v0
	s_delay_alu instid0(VALU_DEP_2) | instskip(NEXT) | instid1(VALU_DEP_1)
	v_cmp_eq_u32_e64 s2, 0, v1
	v_cndmask_b32_e64 v73, v2, v0, s2
; %bb.1804:                             ;   in Loop: Header=BB450_13 Depth=1
	s_or_b32 exec_lo, exec_lo, s22
	v_lshrrev_b16 v1, 8, v19
	v_mov_b32_e32 v0, 0
	s_mov_b32 s22, exec_lo
	s_delay_alu instid0(VALU_DEP_2)
	v_cmpx_ne_u16_e32 0, v1
	s_cbranch_execz .LBB450_1812
; %bb.1805:                             ;   in Loop: Header=BB450_13 Depth=1
	v_bfrev_b32_e32 v0, 1
	s_mov_b32 s23, exec_lo
	v_cmpx_ne_u16_e32 0x80, v1
	s_cbranch_execz .LBB450_1811
; %bb.1806:                             ;   in Loop: Header=BB450_13 Depth=1
	v_and_b32_e32 v2, 0xffff, v1
	v_mov_b32_e32 v0, 0x7f800001
	s_mov_b32 s24, exec_lo
	s_delay_alu instid0(VALU_DEP_2) | instskip(NEXT) | instid1(VALU_DEP_1)
	v_and_b32_e32 v1, 0x7f, v2
	v_cmpx_ne_u32_e32 0x7f, v1
	s_cbranch_execz .LBB450_1810
; %bb.1807:                             ;   in Loop: Header=BB450_13 Depth=1
	v_dual_mov_b32 v36, v20 :: v_dual_and_b32 v35, 7, v2
	v_lshrrev_b32_e32 v0, 3, v1
	s_mov_b32 s25, exec_lo
	v_cmpx_gt_u32_e32 8, v1
; %bb.1808:                             ;   in Loop: Header=BB450_13 Depth=1
	s_delay_alu instid0(VALU_DEP_3) | instskip(NEXT) | instid1(VALU_DEP_1)
	v_clz_i32_u32_e32 v0, v35
	v_min_u32_e32 v0, 32, v0
	s_delay_alu instid0(VALU_DEP_1) | instskip(SKIP_1) | instid1(VALU_DEP_2)
	v_subrev_nc_u32_e32 v1, 28, v0
	v_sub_nc_u32_e32 v0, 29, v0
	v_lshlrev_b64 v[1:2], v1, v[35:36]
	s_delay_alu instid0(VALU_DEP_1)
	v_and_b32_e32 v35, 7, v1
; %bb.1809:                             ;   in Loop: Header=BB450_13 Depth=1
	s_or_b32 exec_lo, exec_lo, s25
	v_lshlrev_b32_e32 v1, 16, v19
	s_delay_alu instid0(VALU_DEP_2) | instskip(SKIP_1) | instid1(VALU_DEP_3)
	v_lshlrev_b32_e32 v2, 20, v35
	v_lshl_add_u32 v0, v0, 23, 0x3c000000
	v_and_b32_e32 v1, 0x80000000, v1
	s_delay_alu instid0(VALU_DEP_1)
	v_or3_b32 v0, v2, v1, v0
.LBB450_1810:                           ;   in Loop: Header=BB450_13 Depth=1
	s_or_b32 exec_lo, exec_lo, s24
.LBB450_1811:                           ;   in Loop: Header=BB450_13 Depth=1
	s_delay_alu instid0(SALU_CYCLE_1)
	s_or_b32 exec_lo, exec_lo, s23
.LBB450_1812:                           ;   in Loop: Header=BB450_13 Depth=1
	s_delay_alu instid0(SALU_CYCLE_1) | instskip(NEXT) | instid1(VALU_DEP_1)
	s_or_b32 exec_lo, exec_lo, s22
	v_mul_f32_e32 v0, v121, v0
                                        ; implicit-def: $vgpr74
	s_delay_alu instid0(VALU_DEP_1) | instskip(NEXT) | instid1(VALU_DEP_1)
	v_and_b32_e32 v1, 0x7f800000, v0
	v_cmp_ne_u32_e64 s2, 0x7f800000, v1
	s_delay_alu instid0(VALU_DEP_1) | instskip(NEXT) | instid1(SALU_CYCLE_1)
	s_and_saveexec_b32 s22, s2
	s_xor_b32 s2, exec_lo, s22
; %bb.1813:                             ;   in Loop: Header=BB450_13 Depth=1
	v_bfe_u32 v1, v0, 16, 1
	s_delay_alu instid0(VALU_DEP_1)
	v_add3_u32 v74, v0, v1, 0x7fff
                                        ; implicit-def: $vgpr0
; %bb.1814:                             ;   in Loop: Header=BB450_13 Depth=1
	s_and_not1_saveexec_b32 s22, s2
; %bb.1815:                             ;   in Loop: Header=BB450_13 Depth=1
	v_and_b32_e32 v1, 0xffff, v0
	v_or_b32_e32 v2, 0x10000, v0
	s_delay_alu instid0(VALU_DEP_2) | instskip(NEXT) | instid1(VALU_DEP_1)
	v_cmp_eq_u32_e64 s2, 0, v1
	v_cndmask_b32_e64 v74, v2, v0, s2
; %bb.1816:                             ;   in Loop: Header=BB450_13 Depth=1
	s_or_b32 exec_lo, exec_lo, s22
	v_lshrrev_b32_e32 v0, 16, v34
	s_mov_b32 s22, exec_lo
	s_delay_alu instid0(VALU_DEP_1) | instskip(NEXT) | instid1(VALU_DEP_1)
	v_dual_mov_b32 v1, 0 :: v_dual_and_b32 v2, 0xff, v0
	v_cmpx_ne_u16_e32 0, v2
	s_cbranch_execz .LBB450_1824
; %bb.1817:                             ;   in Loop: Header=BB450_13 Depth=1
	v_bfrev_b32_e32 v1, 1
	s_mov_b32 s23, exec_lo
	v_cmpx_ne_u16_e32 0x80, v2
	s_cbranch_execz .LBB450_1823
; %bb.1818:                             ;   in Loop: Header=BB450_13 Depth=1
	v_bfe_u32 v2, v34, 16, 7
	v_mov_b32_e32 v1, 0x7f800001
	s_mov_b32 s24, exec_lo
	s_delay_alu instid0(VALU_DEP_2)
	v_cmpx_ne_u32_e32 0x7f, v2
	s_cbranch_execz .LBB450_1822
; %bb.1819:                             ;   in Loop: Header=BB450_13 Depth=1
	v_and_b32_e32 v19, 7, v0
	v_mov_b32_e32 v36, v20
	v_lshrrev_b32_e32 v1, 3, v2
	s_mov_b32 s25, exec_lo
	s_delay_alu instid0(VALU_DEP_3)
	v_mov_b32_e32 v35, v19
	v_cmpx_gt_u32_e32 8, v2
; %bb.1820:                             ;   in Loop: Header=BB450_13 Depth=1
	v_clz_i32_u32_e32 v1, v19
	s_delay_alu instid0(VALU_DEP_1) | instskip(NEXT) | instid1(VALU_DEP_1)
	v_min_u32_e32 v1, 32, v1
	v_subrev_nc_u32_e32 v2, 28, v1
	v_sub_nc_u32_e32 v1, 29, v1
	s_delay_alu instid0(VALU_DEP_2) | instskip(NEXT) | instid1(VALU_DEP_1)
	v_lshlrev_b64 v[2:3], v2, v[19:20]
	v_and_b32_e32 v35, 7, v2
; %bb.1821:                             ;   in Loop: Header=BB450_13 Depth=1
	s_or_b32 exec_lo, exec_lo, s25
	v_lshlrev_b32_e32 v0, 24, v0
	s_delay_alu instid0(VALU_DEP_2) | instskip(SKIP_1) | instid1(VALU_DEP_3)
	v_lshlrev_b32_e32 v2, 20, v35
	v_lshl_add_u32 v1, v1, 23, 0x3c000000
	v_and_b32_e32 v0, 0x80000000, v0
	s_delay_alu instid0(VALU_DEP_1)
	v_or3_b32 v1, v2, v0, v1
.LBB450_1822:                           ;   in Loop: Header=BB450_13 Depth=1
	s_or_b32 exec_lo, exec_lo, s24
.LBB450_1823:                           ;   in Loop: Header=BB450_13 Depth=1
	s_delay_alu instid0(SALU_CYCLE_1)
	s_or_b32 exec_lo, exec_lo, s23
.LBB450_1824:                           ;   in Loop: Header=BB450_13 Depth=1
	s_delay_alu instid0(SALU_CYCLE_1) | instskip(NEXT) | instid1(VALU_DEP_1)
	s_or_b32 exec_lo, exec_lo, s22
	v_mul_f32_e32 v0, v121, v1
                                        ; implicit-def: $vgpr75
	s_delay_alu instid0(VALU_DEP_1) | instskip(NEXT) | instid1(VALU_DEP_1)
	v_and_b32_e32 v1, 0x7f800000, v0
	v_cmp_ne_u32_e64 s2, 0x7f800000, v1
	s_delay_alu instid0(VALU_DEP_1) | instskip(NEXT) | instid1(SALU_CYCLE_1)
	s_and_saveexec_b32 s22, s2
	s_xor_b32 s2, exec_lo, s22
; %bb.1825:                             ;   in Loop: Header=BB450_13 Depth=1
	v_bfe_u32 v1, v0, 16, 1
	s_delay_alu instid0(VALU_DEP_1)
	v_add3_u32 v75, v0, v1, 0x7fff
                                        ; implicit-def: $vgpr0
; %bb.1826:                             ;   in Loop: Header=BB450_13 Depth=1
	s_and_not1_saveexec_b32 s22, s2
; %bb.1827:                             ;   in Loop: Header=BB450_13 Depth=1
	v_and_b32_e32 v1, 0xffff, v0
	v_or_b32_e32 v2, 0x10000, v0
	s_delay_alu instid0(VALU_DEP_2) | instskip(NEXT) | instid1(VALU_DEP_1)
	v_cmp_eq_u32_e64 s2, 0, v1
	v_cndmask_b32_e64 v75, v2, v0, s2
; %bb.1828:                             ;   in Loop: Header=BB450_13 Depth=1
	s_or_b32 exec_lo, exec_lo, s22
	v_mov_b32_e32 v1, 0
	s_mov_b32 s22, exec_lo
	v_cmpx_lt_u64_e64 s[8:9], v[33:34]
	s_cbranch_execz .LBB450_1836
; %bb.1829:                             ;   in Loop: Header=BB450_13 Depth=1
	v_lshrrev_b32_e32 v0, 24, v34
	v_bfrev_b32_e32 v1, 1
	s_mov_b32 s23, exec_lo
	s_delay_alu instid0(VALU_DEP_2)
	v_cmpx_ne_u32_e32 0x80, v0
	s_cbranch_execz .LBB450_1835
; %bb.1830:                             ;   in Loop: Header=BB450_13 Depth=1
	v_bfe_u32 v2, v34, 24, 7
	v_mov_b32_e32 v1, 0x7f800001
	s_mov_b32 s24, exec_lo
	s_delay_alu instid0(VALU_DEP_2)
	v_cmpx_ne_u32_e32 0x7f, v2
	s_cbranch_execz .LBB450_1834
; %bb.1831:                             ;   in Loop: Header=BB450_13 Depth=1
	v_and_b32_e32 v19, 7, v0
	v_mov_b32_e32 v34, v20
	v_lshrrev_b32_e32 v1, 3, v2
	s_mov_b32 s25, exec_lo
	s_delay_alu instid0(VALU_DEP_3)
	v_mov_b32_e32 v33, v19
	v_cmpx_gt_u32_e32 8, v2
; %bb.1832:                             ;   in Loop: Header=BB450_13 Depth=1
	v_clz_i32_u32_e32 v1, v19
	s_delay_alu instid0(VALU_DEP_1) | instskip(NEXT) | instid1(VALU_DEP_1)
	v_min_u32_e32 v1, 32, v1
	v_subrev_nc_u32_e32 v2, 28, v1
	v_sub_nc_u32_e32 v1, 29, v1
	s_delay_alu instid0(VALU_DEP_2) | instskip(NEXT) | instid1(VALU_DEP_1)
	v_lshlrev_b64 v[2:3], v2, v[19:20]
	v_and_b32_e32 v33, 7, v2
; %bb.1833:                             ;   in Loop: Header=BB450_13 Depth=1
	s_or_b32 exec_lo, exec_lo, s25
	v_lshlrev_b32_e32 v0, 24, v0
	s_delay_alu instid0(VALU_DEP_2) | instskip(SKIP_1) | instid1(VALU_DEP_3)
	v_lshlrev_b32_e32 v2, 20, v33
	v_lshl_add_u32 v1, v1, 23, 0x3c000000
	v_and_b32_e32 v0, 0x80000000, v0
	s_delay_alu instid0(VALU_DEP_1)
	v_or3_b32 v1, v2, v0, v1
.LBB450_1834:                           ;   in Loop: Header=BB450_13 Depth=1
	s_or_b32 exec_lo, exec_lo, s24
.LBB450_1835:                           ;   in Loop: Header=BB450_13 Depth=1
	s_delay_alu instid0(SALU_CYCLE_1)
	s_or_b32 exec_lo, exec_lo, s23
.LBB450_1836:                           ;   in Loop: Header=BB450_13 Depth=1
	s_delay_alu instid0(SALU_CYCLE_1) | instskip(NEXT) | instid1(VALU_DEP_1)
	s_or_b32 exec_lo, exec_lo, s22
	v_mul_f32_e32 v0, v121, v1
                                        ; implicit-def: $vgpr76
	s_delay_alu instid0(VALU_DEP_1) | instskip(NEXT) | instid1(VALU_DEP_1)
	v_and_b32_e32 v1, 0x7f800000, v0
	v_cmp_ne_u32_e64 s2, 0x7f800000, v1
	s_delay_alu instid0(VALU_DEP_1) | instskip(NEXT) | instid1(SALU_CYCLE_1)
	s_and_saveexec_b32 s22, s2
	s_xor_b32 s2, exec_lo, s22
; %bb.1837:                             ;   in Loop: Header=BB450_13 Depth=1
	v_bfe_u32 v1, v0, 16, 1
	s_delay_alu instid0(VALU_DEP_1)
	v_add3_u32 v76, v0, v1, 0x7fff
                                        ; implicit-def: $vgpr0
; %bb.1838:                             ;   in Loop: Header=BB450_13 Depth=1
	s_and_not1_saveexec_b32 s22, s2
; %bb.1839:                             ;   in Loop: Header=BB450_13 Depth=1
	v_and_b32_e32 v1, 0xffff, v0
	v_or_b32_e32 v2, 0x10000, v0
	s_delay_alu instid0(VALU_DEP_2) | instskip(NEXT) | instid1(VALU_DEP_1)
	v_cmp_eq_u32_e64 s2, 0, v1
	v_cndmask_b32_e64 v76, v2, v0, s2
; %bb.1840:                             ;   in Loop: Header=BB450_13 Depth=1
	s_or_b32 exec_lo, exec_lo, s22
	flat_load_b64 v[33:34], v[31:32] offset:520
	s_mov_b32 s22, exec_lo
	s_waitcnt vmcnt(0) lgkmcnt(0)
	v_dual_mov_b32 v0, 0 :: v_dual_and_b32 v1, 0xff, v33
	s_delay_alu instid0(VALU_DEP_1)
	v_cmpx_ne_u16_e32 0, v1
	s_cbranch_execz .LBB450_1848
; %bb.1841:                             ;   in Loop: Header=BB450_13 Depth=1
	v_bfrev_b32_e32 v0, 1
	s_mov_b32 s23, exec_lo
	v_cmpx_ne_u16_e32 0x80, v1
	s_cbranch_execz .LBB450_1847
; %bb.1842:                             ;   in Loop: Header=BB450_13 Depth=1
	v_and_b32_e32 v1, 0x7f, v33
	v_mov_b32_e32 v0, 0x7f800001
	s_mov_b32 s24, exec_lo
	s_delay_alu instid0(VALU_DEP_2)
	v_cmpx_ne_u32_e32 0x7f, v1
	s_cbranch_execz .LBB450_1846
; %bb.1843:                             ;   in Loop: Header=BB450_13 Depth=1
	v_lshrrev_b32_e32 v0, 3, v1
	v_dual_mov_b32 v36, v34 :: v_dual_mov_b32 v35, v33
	s_mov_b32 s25, exec_lo
	v_cmpx_gt_u32_e32 8, v1
; %bb.1844:                             ;   in Loop: Header=BB450_13 Depth=1
	v_and_b32_e32 v0, 7, v33
	s_delay_alu instid0(VALU_DEP_1) | instskip(NEXT) | instid1(VALU_DEP_1)
	v_clz_i32_u32_e32 v0, v0
	v_min_u32_e32 v0, 32, v0
	s_delay_alu instid0(VALU_DEP_1) | instskip(SKIP_1) | instid1(VALU_DEP_2)
	v_subrev_nc_u32_e32 v1, 28, v0
	v_sub_nc_u32_e32 v0, 29, v0
	v_lshlrev_b64 v[35:36], v1, v[33:34]
; %bb.1845:                             ;   in Loop: Header=BB450_13 Depth=1
	s_or_b32 exec_lo, exec_lo, s25
	s_delay_alu instid0(VALU_DEP_1) | instskip(SKIP_2) | instid1(VALU_DEP_3)
	v_lshlrev_b32_e32 v1, 20, v35
	v_lshlrev_b32_e32 v2, 24, v33
	v_lshl_add_u32 v0, v0, 23, 0x3c000000
	v_and_b32_e32 v1, 0x700000, v1
	s_delay_alu instid0(VALU_DEP_3) | instskip(NEXT) | instid1(VALU_DEP_1)
	v_and_b32_e32 v2, 0x80000000, v2
	v_or3_b32 v0, v1, v2, v0
.LBB450_1846:                           ;   in Loop: Header=BB450_13 Depth=1
	s_or_b32 exec_lo, exec_lo, s24
.LBB450_1847:                           ;   in Loop: Header=BB450_13 Depth=1
	s_delay_alu instid0(SALU_CYCLE_1)
	s_or_b32 exec_lo, exec_lo, s23
.LBB450_1848:                           ;   in Loop: Header=BB450_13 Depth=1
	s_delay_alu instid0(SALU_CYCLE_1) | instskip(NEXT) | instid1(VALU_DEP_1)
	s_or_b32 exec_lo, exec_lo, s22
	v_mul_f32_e32 v0, v121, v0
                                        ; implicit-def: $vgpr77
	s_delay_alu instid0(VALU_DEP_1) | instskip(NEXT) | instid1(VALU_DEP_1)
	v_and_b32_e32 v1, 0x7f800000, v0
	v_cmp_ne_u32_e64 s2, 0x7f800000, v1
	s_delay_alu instid0(VALU_DEP_1) | instskip(NEXT) | instid1(SALU_CYCLE_1)
	s_and_saveexec_b32 s22, s2
	s_xor_b32 s2, exec_lo, s22
; %bb.1849:                             ;   in Loop: Header=BB450_13 Depth=1
	v_bfe_u32 v1, v0, 16, 1
	s_delay_alu instid0(VALU_DEP_1)
	v_add3_u32 v77, v0, v1, 0x7fff
                                        ; implicit-def: $vgpr0
; %bb.1850:                             ;   in Loop: Header=BB450_13 Depth=1
	s_and_not1_saveexec_b32 s22, s2
; %bb.1851:                             ;   in Loop: Header=BB450_13 Depth=1
	v_and_b32_e32 v1, 0xffff, v0
	v_or_b32_e32 v2, 0x10000, v0
	s_delay_alu instid0(VALU_DEP_2) | instskip(NEXT) | instid1(VALU_DEP_1)
	v_cmp_eq_u32_e64 s2, 0, v1
	v_cndmask_b32_e64 v77, v2, v0, s2
; %bb.1852:                             ;   in Loop: Header=BB450_13 Depth=1
	s_or_b32 exec_lo, exec_lo, s22
	v_lshrrev_b16 v1, 8, v33
	v_mov_b32_e32 v0, 0
	s_mov_b32 s22, exec_lo
	s_delay_alu instid0(VALU_DEP_2)
	v_cmpx_ne_u16_e32 0, v1
	s_cbranch_execz .LBB450_1860
; %bb.1853:                             ;   in Loop: Header=BB450_13 Depth=1
	v_bfrev_b32_e32 v0, 1
	s_mov_b32 s23, exec_lo
	v_cmpx_ne_u16_e32 0x80, v1
	s_cbranch_execz .LBB450_1859
; %bb.1854:                             ;   in Loop: Header=BB450_13 Depth=1
	v_and_b32_e32 v2, 0xffff, v1
	v_mov_b32_e32 v0, 0x7f800001
	s_mov_b32 s24, exec_lo
	s_delay_alu instid0(VALU_DEP_2) | instskip(NEXT) | instid1(VALU_DEP_1)
	v_and_b32_e32 v1, 0x7f, v2
	v_cmpx_ne_u32_e32 0x7f, v1
	s_cbranch_execz .LBB450_1858
; %bb.1855:                             ;   in Loop: Header=BB450_13 Depth=1
	v_and_b32_e32 v19, 7, v2
	v_mov_b32_e32 v36, v20
	v_lshrrev_b32_e32 v0, 3, v1
	s_mov_b32 s25, exec_lo
	s_delay_alu instid0(VALU_DEP_3)
	v_mov_b32_e32 v35, v19
	v_cmpx_gt_u32_e32 8, v1
; %bb.1856:                             ;   in Loop: Header=BB450_13 Depth=1
	v_clz_i32_u32_e32 v0, v19
	s_delay_alu instid0(VALU_DEP_1) | instskip(NEXT) | instid1(VALU_DEP_1)
	v_min_u32_e32 v0, 32, v0
	v_subrev_nc_u32_e32 v1, 28, v0
	v_sub_nc_u32_e32 v0, 29, v0
	s_delay_alu instid0(VALU_DEP_2) | instskip(NEXT) | instid1(VALU_DEP_1)
	v_lshlrev_b64 v[1:2], v1, v[19:20]
	v_and_b32_e32 v35, 7, v1
; %bb.1857:                             ;   in Loop: Header=BB450_13 Depth=1
	s_or_b32 exec_lo, exec_lo, s25
	v_lshlrev_b32_e32 v1, 16, v33
	s_delay_alu instid0(VALU_DEP_2) | instskip(SKIP_1) | instid1(VALU_DEP_3)
	v_lshlrev_b32_e32 v2, 20, v35
	v_lshl_add_u32 v0, v0, 23, 0x3c000000
	v_and_b32_e32 v1, 0x80000000, v1
	s_delay_alu instid0(VALU_DEP_1)
	v_or3_b32 v0, v2, v1, v0
.LBB450_1858:                           ;   in Loop: Header=BB450_13 Depth=1
	s_or_b32 exec_lo, exec_lo, s24
.LBB450_1859:                           ;   in Loop: Header=BB450_13 Depth=1
	s_delay_alu instid0(SALU_CYCLE_1)
	s_or_b32 exec_lo, exec_lo, s23
.LBB450_1860:                           ;   in Loop: Header=BB450_13 Depth=1
	s_delay_alu instid0(SALU_CYCLE_1) | instskip(NEXT) | instid1(VALU_DEP_1)
	s_or_b32 exec_lo, exec_lo, s22
	v_mul_f32_e32 v0, v121, v0
                                        ; implicit-def: $vgpr78
	s_delay_alu instid0(VALU_DEP_1) | instskip(NEXT) | instid1(VALU_DEP_1)
	v_and_b32_e32 v1, 0x7f800000, v0
	v_cmp_ne_u32_e64 s2, 0x7f800000, v1
	s_delay_alu instid0(VALU_DEP_1) | instskip(NEXT) | instid1(SALU_CYCLE_1)
	s_and_saveexec_b32 s22, s2
	s_xor_b32 s2, exec_lo, s22
; %bb.1861:                             ;   in Loop: Header=BB450_13 Depth=1
	v_bfe_u32 v1, v0, 16, 1
	s_delay_alu instid0(VALU_DEP_1)
	v_add3_u32 v78, v0, v1, 0x7fff
                                        ; implicit-def: $vgpr0
; %bb.1862:                             ;   in Loop: Header=BB450_13 Depth=1
	s_and_not1_saveexec_b32 s22, s2
; %bb.1863:                             ;   in Loop: Header=BB450_13 Depth=1
	v_and_b32_e32 v1, 0xffff, v0
	v_or_b32_e32 v2, 0x10000, v0
	s_delay_alu instid0(VALU_DEP_2) | instskip(NEXT) | instid1(VALU_DEP_1)
	v_cmp_eq_u32_e64 s2, 0, v1
	v_cndmask_b32_e64 v78, v2, v0, s2
; %bb.1864:                             ;   in Loop: Header=BB450_13 Depth=1
	s_or_b32 exec_lo, exec_lo, s22
	v_lshrrev_b32_e32 v0, 16, v33
	s_mov_b32 s22, exec_lo
	s_delay_alu instid0(VALU_DEP_1) | instskip(NEXT) | instid1(VALU_DEP_1)
	v_dual_mov_b32 v1, 0 :: v_dual_and_b32 v2, 0xff, v0
	v_cmpx_ne_u16_e32 0, v2
	s_cbranch_execz .LBB450_1872
; %bb.1865:                             ;   in Loop: Header=BB450_13 Depth=1
	v_bfrev_b32_e32 v1, 1
	s_mov_b32 s23, exec_lo
	v_cmpx_ne_u16_e32 0x80, v2
	s_cbranch_execz .LBB450_1871
; %bb.1866:                             ;   in Loop: Header=BB450_13 Depth=1
	v_bfe_u32 v2, v33, 16, 7
	v_mov_b32_e32 v1, 0x7f800001
	s_mov_b32 s24, exec_lo
	s_delay_alu instid0(VALU_DEP_2)
	v_cmpx_ne_u32_e32 0x7f, v2
	s_cbranch_execz .LBB450_1870
; %bb.1867:                             ;   in Loop: Header=BB450_13 Depth=1
	v_and_b32_e32 v19, 7, v0
	v_mov_b32_e32 v36, v20
	v_lshrrev_b32_e32 v1, 3, v2
	s_mov_b32 s25, exec_lo
	s_delay_alu instid0(VALU_DEP_3)
	v_mov_b32_e32 v35, v19
	v_cmpx_gt_u32_e32 8, v2
; %bb.1868:                             ;   in Loop: Header=BB450_13 Depth=1
	v_clz_i32_u32_e32 v1, v19
	s_delay_alu instid0(VALU_DEP_1) | instskip(NEXT) | instid1(VALU_DEP_1)
	v_min_u32_e32 v1, 32, v1
	v_subrev_nc_u32_e32 v2, 28, v1
	v_sub_nc_u32_e32 v1, 29, v1
	s_delay_alu instid0(VALU_DEP_2) | instskip(NEXT) | instid1(VALU_DEP_1)
	v_lshlrev_b64 v[2:3], v2, v[19:20]
	v_and_b32_e32 v35, 7, v2
; %bb.1869:                             ;   in Loop: Header=BB450_13 Depth=1
	s_or_b32 exec_lo, exec_lo, s25
	v_lshlrev_b32_e32 v0, 24, v0
	s_delay_alu instid0(VALU_DEP_2) | instskip(SKIP_1) | instid1(VALU_DEP_3)
	v_lshlrev_b32_e32 v2, 20, v35
	v_lshl_add_u32 v1, v1, 23, 0x3c000000
	v_and_b32_e32 v0, 0x80000000, v0
	s_delay_alu instid0(VALU_DEP_1)
	v_or3_b32 v1, v2, v0, v1
.LBB450_1870:                           ;   in Loop: Header=BB450_13 Depth=1
	s_or_b32 exec_lo, exec_lo, s24
.LBB450_1871:                           ;   in Loop: Header=BB450_13 Depth=1
	s_delay_alu instid0(SALU_CYCLE_1)
	s_or_b32 exec_lo, exec_lo, s23
.LBB450_1872:                           ;   in Loop: Header=BB450_13 Depth=1
	s_delay_alu instid0(SALU_CYCLE_1) | instskip(NEXT) | instid1(VALU_DEP_1)
	s_or_b32 exec_lo, exec_lo, s22
	v_mul_f32_e32 v0, v121, v1
                                        ; implicit-def: $vgpr79
	s_delay_alu instid0(VALU_DEP_1) | instskip(NEXT) | instid1(VALU_DEP_1)
	v_and_b32_e32 v1, 0x7f800000, v0
	v_cmp_ne_u32_e64 s2, 0x7f800000, v1
	s_delay_alu instid0(VALU_DEP_1) | instskip(NEXT) | instid1(SALU_CYCLE_1)
	s_and_saveexec_b32 s22, s2
	s_xor_b32 s2, exec_lo, s22
; %bb.1873:                             ;   in Loop: Header=BB450_13 Depth=1
	v_bfe_u32 v1, v0, 16, 1
	s_delay_alu instid0(VALU_DEP_1)
	v_add3_u32 v79, v0, v1, 0x7fff
                                        ; implicit-def: $vgpr0
; %bb.1874:                             ;   in Loop: Header=BB450_13 Depth=1
	s_and_not1_saveexec_b32 s22, s2
; %bb.1875:                             ;   in Loop: Header=BB450_13 Depth=1
	v_and_b32_e32 v1, 0xffff, v0
	v_or_b32_e32 v2, 0x10000, v0
	s_delay_alu instid0(VALU_DEP_2) | instskip(NEXT) | instid1(VALU_DEP_1)
	v_cmp_eq_u32_e64 s2, 0, v1
	v_cndmask_b32_e64 v79, v2, v0, s2
; %bb.1876:                             ;   in Loop: Header=BB450_13 Depth=1
	s_or_b32 exec_lo, exec_lo, s22
	v_mov_b32_e32 v1, 0
	s_mov_b32 s22, exec_lo
	v_cmpx_lt_u32_e32 0xffffff, v33
	s_cbranch_execz .LBB450_1884
; %bb.1877:                             ;   in Loop: Header=BB450_13 Depth=1
	v_lshrrev_b32_e32 v0, 24, v33
	v_bfrev_b32_e32 v1, 1
	s_mov_b32 s23, exec_lo
	s_delay_alu instid0(VALU_DEP_2)
	v_cmpx_ne_u32_e32 0x80, v0
	s_cbranch_execz .LBB450_1883
; %bb.1878:                             ;   in Loop: Header=BB450_13 Depth=1
	v_bfe_u32 v2, v33, 24, 7
	v_mov_b32_e32 v1, 0x7f800001
	s_mov_b32 s24, exec_lo
	s_delay_alu instid0(VALU_DEP_2)
	v_cmpx_ne_u32_e32 0x7f, v2
	s_cbranch_execz .LBB450_1882
; %bb.1879:                             ;   in Loop: Header=BB450_13 Depth=1
	v_and_b32_e32 v19, 7, v0
	v_mov_b32_e32 v36, v20
	v_lshrrev_b32_e32 v1, 3, v2
	s_mov_b32 s25, exec_lo
	s_delay_alu instid0(VALU_DEP_3)
	v_mov_b32_e32 v35, v19
	v_cmpx_gt_u32_e32 8, v2
; %bb.1880:                             ;   in Loop: Header=BB450_13 Depth=1
	v_clz_i32_u32_e32 v1, v19
	s_delay_alu instid0(VALU_DEP_1) | instskip(NEXT) | instid1(VALU_DEP_1)
	v_min_u32_e32 v1, 32, v1
	v_subrev_nc_u32_e32 v2, 28, v1
	v_sub_nc_u32_e32 v1, 29, v1
	s_delay_alu instid0(VALU_DEP_2) | instskip(NEXT) | instid1(VALU_DEP_1)
	v_lshlrev_b64 v[2:3], v2, v[19:20]
	v_and_b32_e32 v35, 7, v2
; %bb.1881:                             ;   in Loop: Header=BB450_13 Depth=1
	s_or_b32 exec_lo, exec_lo, s25
	v_lshlrev_b32_e32 v0, 24, v0
	s_delay_alu instid0(VALU_DEP_2) | instskip(SKIP_1) | instid1(VALU_DEP_3)
	v_lshlrev_b32_e32 v2, 20, v35
	v_lshl_add_u32 v1, v1, 23, 0x3c000000
	v_and_b32_e32 v0, 0x80000000, v0
	s_delay_alu instid0(VALU_DEP_1)
	v_or3_b32 v1, v2, v0, v1
.LBB450_1882:                           ;   in Loop: Header=BB450_13 Depth=1
	s_or_b32 exec_lo, exec_lo, s24
.LBB450_1883:                           ;   in Loop: Header=BB450_13 Depth=1
	s_delay_alu instid0(SALU_CYCLE_1)
	s_or_b32 exec_lo, exec_lo, s23
.LBB450_1884:                           ;   in Loop: Header=BB450_13 Depth=1
	s_delay_alu instid0(SALU_CYCLE_1) | instskip(NEXT) | instid1(VALU_DEP_1)
	s_or_b32 exec_lo, exec_lo, s22
	v_mul_f32_e32 v0, v121, v1
                                        ; implicit-def: $vgpr88
	s_delay_alu instid0(VALU_DEP_1) | instskip(NEXT) | instid1(VALU_DEP_1)
	v_and_b32_e32 v1, 0x7f800000, v0
	v_cmp_ne_u32_e64 s2, 0x7f800000, v1
	s_delay_alu instid0(VALU_DEP_1) | instskip(NEXT) | instid1(SALU_CYCLE_1)
	s_and_saveexec_b32 s22, s2
	s_xor_b32 s2, exec_lo, s22
; %bb.1885:                             ;   in Loop: Header=BB450_13 Depth=1
	v_bfe_u32 v1, v0, 16, 1
	s_delay_alu instid0(VALU_DEP_1)
	v_add3_u32 v88, v0, v1, 0x7fff
                                        ; implicit-def: $vgpr0
; %bb.1886:                             ;   in Loop: Header=BB450_13 Depth=1
	s_and_not1_saveexec_b32 s22, s2
; %bb.1887:                             ;   in Loop: Header=BB450_13 Depth=1
	v_and_b32_e32 v1, 0xffff, v0
	v_or_b32_e32 v2, 0x10000, v0
	s_delay_alu instid0(VALU_DEP_2) | instskip(NEXT) | instid1(VALU_DEP_1)
	v_cmp_eq_u32_e64 s2, 0, v1
	v_cndmask_b32_e64 v88, v2, v0, s2
; %bb.1888:                             ;   in Loop: Header=BB450_13 Depth=1
	s_or_b32 exec_lo, exec_lo, s22
	v_dual_mov_b32 v0, 0 :: v_dual_and_b32 v1, 0xff, v34
	v_mov_b32_e32 v19, v34
	s_mov_b32 s22, exec_lo
	s_delay_alu instid0(VALU_DEP_2)
	v_cmpx_ne_u16_e32 0, v1
	s_cbranch_execz .LBB450_1896
; %bb.1889:                             ;   in Loop: Header=BB450_13 Depth=1
	v_bfrev_b32_e32 v0, 1
	s_mov_b32 s23, exec_lo
	v_cmpx_ne_u16_e32 0x80, v1
	s_cbranch_execz .LBB450_1895
; %bb.1890:                             ;   in Loop: Header=BB450_13 Depth=1
	v_and_b32_e32 v1, 0x7f, v34
	v_mov_b32_e32 v0, 0x7f800001
	s_mov_b32 s24, exec_lo
	s_delay_alu instid0(VALU_DEP_2)
	v_cmpx_ne_u32_e32 0x7f, v1
	s_cbranch_execz .LBB450_1894
; %bb.1891:                             ;   in Loop: Header=BB450_13 Depth=1
	v_dual_mov_b32 v36, v20 :: v_dual_mov_b32 v35, v19
	v_lshrrev_b32_e32 v0, 3, v1
	s_mov_b32 s25, exec_lo
	v_cmpx_gt_u32_e32 8, v1
; %bb.1892:                             ;   in Loop: Header=BB450_13 Depth=1
	v_and_b32_e32 v0, 7, v34
	s_delay_alu instid0(VALU_DEP_1) | instskip(NEXT) | instid1(VALU_DEP_1)
	v_clz_i32_u32_e32 v0, v0
	v_min_u32_e32 v0, 32, v0
	s_delay_alu instid0(VALU_DEP_1) | instskip(SKIP_1) | instid1(VALU_DEP_2)
	v_subrev_nc_u32_e32 v1, 28, v0
	v_sub_nc_u32_e32 v0, 29, v0
	v_lshlrev_b64 v[35:36], v1, v[19:20]
; %bb.1893:                             ;   in Loop: Header=BB450_13 Depth=1
	s_or_b32 exec_lo, exec_lo, s25
	s_delay_alu instid0(VALU_DEP_1) | instskip(SKIP_2) | instid1(VALU_DEP_3)
	v_lshlrev_b32_e32 v1, 20, v35
	v_lshlrev_b32_e32 v2, 24, v19
	v_lshl_add_u32 v0, v0, 23, 0x3c000000
	v_and_b32_e32 v1, 0x700000, v1
	s_delay_alu instid0(VALU_DEP_3) | instskip(NEXT) | instid1(VALU_DEP_1)
	v_and_b32_e32 v2, 0x80000000, v2
	v_or3_b32 v0, v1, v2, v0
.LBB450_1894:                           ;   in Loop: Header=BB450_13 Depth=1
	s_or_b32 exec_lo, exec_lo, s24
.LBB450_1895:                           ;   in Loop: Header=BB450_13 Depth=1
	s_delay_alu instid0(SALU_CYCLE_1)
	s_or_b32 exec_lo, exec_lo, s23
.LBB450_1896:                           ;   in Loop: Header=BB450_13 Depth=1
	s_delay_alu instid0(SALU_CYCLE_1) | instskip(NEXT) | instid1(VALU_DEP_1)
	s_or_b32 exec_lo, exec_lo, s22
	v_mul_f32_e32 v0, v121, v0
                                        ; implicit-def: $vgpr89
	s_delay_alu instid0(VALU_DEP_1) | instskip(NEXT) | instid1(VALU_DEP_1)
	v_and_b32_e32 v1, 0x7f800000, v0
	v_cmp_ne_u32_e64 s2, 0x7f800000, v1
	s_delay_alu instid0(VALU_DEP_1) | instskip(NEXT) | instid1(SALU_CYCLE_1)
	s_and_saveexec_b32 s22, s2
	s_xor_b32 s2, exec_lo, s22
; %bb.1897:                             ;   in Loop: Header=BB450_13 Depth=1
	v_bfe_u32 v1, v0, 16, 1
	s_delay_alu instid0(VALU_DEP_1)
	v_add3_u32 v89, v0, v1, 0x7fff
                                        ; implicit-def: $vgpr0
; %bb.1898:                             ;   in Loop: Header=BB450_13 Depth=1
	s_and_not1_saveexec_b32 s22, s2
; %bb.1899:                             ;   in Loop: Header=BB450_13 Depth=1
	v_and_b32_e32 v1, 0xffff, v0
	v_or_b32_e32 v2, 0x10000, v0
	s_delay_alu instid0(VALU_DEP_2) | instskip(NEXT) | instid1(VALU_DEP_1)
	v_cmp_eq_u32_e64 s2, 0, v1
	v_cndmask_b32_e64 v89, v2, v0, s2
; %bb.1900:                             ;   in Loop: Header=BB450_13 Depth=1
	s_or_b32 exec_lo, exec_lo, s22
	v_lshrrev_b16 v1, 8, v19
	v_mov_b32_e32 v0, 0
	s_mov_b32 s22, exec_lo
	s_delay_alu instid0(VALU_DEP_2)
	v_cmpx_ne_u16_e32 0, v1
	s_cbranch_execz .LBB450_1908
; %bb.1901:                             ;   in Loop: Header=BB450_13 Depth=1
	v_bfrev_b32_e32 v0, 1
	s_mov_b32 s23, exec_lo
	v_cmpx_ne_u16_e32 0x80, v1
	s_cbranch_execz .LBB450_1907
; %bb.1902:                             ;   in Loop: Header=BB450_13 Depth=1
	v_and_b32_e32 v2, 0xffff, v1
	v_mov_b32_e32 v0, 0x7f800001
	s_mov_b32 s24, exec_lo
	s_delay_alu instid0(VALU_DEP_2) | instskip(NEXT) | instid1(VALU_DEP_1)
	v_and_b32_e32 v1, 0x7f, v2
	v_cmpx_ne_u32_e32 0x7f, v1
	s_cbranch_execz .LBB450_1906
; %bb.1903:                             ;   in Loop: Header=BB450_13 Depth=1
	v_dual_mov_b32 v36, v20 :: v_dual_and_b32 v35, 7, v2
	v_lshrrev_b32_e32 v0, 3, v1
	s_mov_b32 s25, exec_lo
	v_cmpx_gt_u32_e32 8, v1
; %bb.1904:                             ;   in Loop: Header=BB450_13 Depth=1
	s_delay_alu instid0(VALU_DEP_3) | instskip(NEXT) | instid1(VALU_DEP_1)
	v_clz_i32_u32_e32 v0, v35
	v_min_u32_e32 v0, 32, v0
	s_delay_alu instid0(VALU_DEP_1) | instskip(SKIP_1) | instid1(VALU_DEP_2)
	v_subrev_nc_u32_e32 v1, 28, v0
	v_sub_nc_u32_e32 v0, 29, v0
	v_lshlrev_b64 v[1:2], v1, v[35:36]
	s_delay_alu instid0(VALU_DEP_1)
	v_and_b32_e32 v35, 7, v1
; %bb.1905:                             ;   in Loop: Header=BB450_13 Depth=1
	s_or_b32 exec_lo, exec_lo, s25
	v_lshlrev_b32_e32 v1, 16, v19
	s_delay_alu instid0(VALU_DEP_2) | instskip(SKIP_1) | instid1(VALU_DEP_3)
	v_lshlrev_b32_e32 v2, 20, v35
	v_lshl_add_u32 v0, v0, 23, 0x3c000000
	v_and_b32_e32 v1, 0x80000000, v1
	s_delay_alu instid0(VALU_DEP_1)
	v_or3_b32 v0, v2, v1, v0
.LBB450_1906:                           ;   in Loop: Header=BB450_13 Depth=1
	s_or_b32 exec_lo, exec_lo, s24
.LBB450_1907:                           ;   in Loop: Header=BB450_13 Depth=1
	s_delay_alu instid0(SALU_CYCLE_1)
	s_or_b32 exec_lo, exec_lo, s23
.LBB450_1908:                           ;   in Loop: Header=BB450_13 Depth=1
	s_delay_alu instid0(SALU_CYCLE_1) | instskip(NEXT) | instid1(VALU_DEP_1)
	s_or_b32 exec_lo, exec_lo, s22
	v_mul_f32_e32 v0, v121, v0
                                        ; implicit-def: $vgpr90
	s_delay_alu instid0(VALU_DEP_1) | instskip(NEXT) | instid1(VALU_DEP_1)
	v_and_b32_e32 v1, 0x7f800000, v0
	v_cmp_ne_u32_e64 s2, 0x7f800000, v1
	s_delay_alu instid0(VALU_DEP_1) | instskip(NEXT) | instid1(SALU_CYCLE_1)
	s_and_saveexec_b32 s22, s2
	s_xor_b32 s2, exec_lo, s22
; %bb.1909:                             ;   in Loop: Header=BB450_13 Depth=1
	v_bfe_u32 v1, v0, 16, 1
	s_delay_alu instid0(VALU_DEP_1)
	v_add3_u32 v90, v0, v1, 0x7fff
                                        ; implicit-def: $vgpr0
; %bb.1910:                             ;   in Loop: Header=BB450_13 Depth=1
	s_and_not1_saveexec_b32 s22, s2
; %bb.1911:                             ;   in Loop: Header=BB450_13 Depth=1
	v_and_b32_e32 v1, 0xffff, v0
	v_or_b32_e32 v2, 0x10000, v0
	s_delay_alu instid0(VALU_DEP_2) | instskip(NEXT) | instid1(VALU_DEP_1)
	v_cmp_eq_u32_e64 s2, 0, v1
	v_cndmask_b32_e64 v90, v2, v0, s2
; %bb.1912:                             ;   in Loop: Header=BB450_13 Depth=1
	s_or_b32 exec_lo, exec_lo, s22
	v_lshrrev_b32_e32 v0, 16, v34
	s_mov_b32 s22, exec_lo
	s_delay_alu instid0(VALU_DEP_1) | instskip(NEXT) | instid1(VALU_DEP_1)
	v_dual_mov_b32 v1, 0 :: v_dual_and_b32 v2, 0xff, v0
	v_cmpx_ne_u16_e32 0, v2
	s_cbranch_execz .LBB450_1920
; %bb.1913:                             ;   in Loop: Header=BB450_13 Depth=1
	v_bfrev_b32_e32 v1, 1
	s_mov_b32 s23, exec_lo
	v_cmpx_ne_u16_e32 0x80, v2
	s_cbranch_execz .LBB450_1919
; %bb.1914:                             ;   in Loop: Header=BB450_13 Depth=1
	v_bfe_u32 v2, v34, 16, 7
	v_mov_b32_e32 v1, 0x7f800001
	s_mov_b32 s24, exec_lo
	s_delay_alu instid0(VALU_DEP_2)
	v_cmpx_ne_u32_e32 0x7f, v2
	s_cbranch_execz .LBB450_1918
; %bb.1915:                             ;   in Loop: Header=BB450_13 Depth=1
	v_and_b32_e32 v19, 7, v0
	v_mov_b32_e32 v36, v20
	v_lshrrev_b32_e32 v1, 3, v2
	s_mov_b32 s25, exec_lo
	s_delay_alu instid0(VALU_DEP_3)
	v_mov_b32_e32 v35, v19
	v_cmpx_gt_u32_e32 8, v2
; %bb.1916:                             ;   in Loop: Header=BB450_13 Depth=1
	v_clz_i32_u32_e32 v1, v19
	s_delay_alu instid0(VALU_DEP_1) | instskip(NEXT) | instid1(VALU_DEP_1)
	v_min_u32_e32 v1, 32, v1
	v_subrev_nc_u32_e32 v2, 28, v1
	v_sub_nc_u32_e32 v1, 29, v1
	s_delay_alu instid0(VALU_DEP_2) | instskip(NEXT) | instid1(VALU_DEP_1)
	v_lshlrev_b64 v[2:3], v2, v[19:20]
	v_and_b32_e32 v35, 7, v2
; %bb.1917:                             ;   in Loop: Header=BB450_13 Depth=1
	s_or_b32 exec_lo, exec_lo, s25
	v_lshlrev_b32_e32 v0, 24, v0
	s_delay_alu instid0(VALU_DEP_2) | instskip(SKIP_1) | instid1(VALU_DEP_3)
	v_lshlrev_b32_e32 v2, 20, v35
	v_lshl_add_u32 v1, v1, 23, 0x3c000000
	v_and_b32_e32 v0, 0x80000000, v0
	s_delay_alu instid0(VALU_DEP_1)
	v_or3_b32 v1, v2, v0, v1
.LBB450_1918:                           ;   in Loop: Header=BB450_13 Depth=1
	s_or_b32 exec_lo, exec_lo, s24
.LBB450_1919:                           ;   in Loop: Header=BB450_13 Depth=1
	s_delay_alu instid0(SALU_CYCLE_1)
	s_or_b32 exec_lo, exec_lo, s23
.LBB450_1920:                           ;   in Loop: Header=BB450_13 Depth=1
	s_delay_alu instid0(SALU_CYCLE_1) | instskip(NEXT) | instid1(VALU_DEP_1)
	s_or_b32 exec_lo, exec_lo, s22
	v_mul_f32_e32 v0, v121, v1
                                        ; implicit-def: $vgpr91
	s_delay_alu instid0(VALU_DEP_1) | instskip(NEXT) | instid1(VALU_DEP_1)
	v_and_b32_e32 v1, 0x7f800000, v0
	v_cmp_ne_u32_e64 s2, 0x7f800000, v1
	s_delay_alu instid0(VALU_DEP_1) | instskip(NEXT) | instid1(SALU_CYCLE_1)
	s_and_saveexec_b32 s22, s2
	s_xor_b32 s2, exec_lo, s22
; %bb.1921:                             ;   in Loop: Header=BB450_13 Depth=1
	v_bfe_u32 v1, v0, 16, 1
	s_delay_alu instid0(VALU_DEP_1)
	v_add3_u32 v91, v0, v1, 0x7fff
                                        ; implicit-def: $vgpr0
; %bb.1922:                             ;   in Loop: Header=BB450_13 Depth=1
	s_and_not1_saveexec_b32 s22, s2
; %bb.1923:                             ;   in Loop: Header=BB450_13 Depth=1
	v_and_b32_e32 v1, 0xffff, v0
	v_or_b32_e32 v2, 0x10000, v0
	s_delay_alu instid0(VALU_DEP_2) | instskip(NEXT) | instid1(VALU_DEP_1)
	v_cmp_eq_u32_e64 s2, 0, v1
	v_cndmask_b32_e64 v91, v2, v0, s2
; %bb.1924:                             ;   in Loop: Header=BB450_13 Depth=1
	s_or_b32 exec_lo, exec_lo, s22
	v_mov_b32_e32 v1, 0
	s_mov_b32 s22, exec_lo
	v_cmpx_lt_u64_e64 s[8:9], v[33:34]
	s_cbranch_execz .LBB450_1932
; %bb.1925:                             ;   in Loop: Header=BB450_13 Depth=1
	v_lshrrev_b32_e32 v0, 24, v34
	v_bfrev_b32_e32 v1, 1
	s_mov_b32 s23, exec_lo
	s_delay_alu instid0(VALU_DEP_2)
	v_cmpx_ne_u32_e32 0x80, v0
	s_cbranch_execz .LBB450_1931
; %bb.1926:                             ;   in Loop: Header=BB450_13 Depth=1
	v_bfe_u32 v2, v34, 24, 7
	v_mov_b32_e32 v1, 0x7f800001
	s_mov_b32 s24, exec_lo
	s_delay_alu instid0(VALU_DEP_2)
	v_cmpx_ne_u32_e32 0x7f, v2
	s_cbranch_execz .LBB450_1930
; %bb.1927:                             ;   in Loop: Header=BB450_13 Depth=1
	v_and_b32_e32 v19, 7, v0
	v_mov_b32_e32 v34, v20
	v_lshrrev_b32_e32 v1, 3, v2
	s_mov_b32 s25, exec_lo
	s_delay_alu instid0(VALU_DEP_3)
	v_mov_b32_e32 v33, v19
	v_cmpx_gt_u32_e32 8, v2
; %bb.1928:                             ;   in Loop: Header=BB450_13 Depth=1
	v_clz_i32_u32_e32 v1, v19
	s_delay_alu instid0(VALU_DEP_1) | instskip(NEXT) | instid1(VALU_DEP_1)
	v_min_u32_e32 v1, 32, v1
	v_subrev_nc_u32_e32 v2, 28, v1
	v_sub_nc_u32_e32 v1, 29, v1
	s_delay_alu instid0(VALU_DEP_2) | instskip(NEXT) | instid1(VALU_DEP_1)
	v_lshlrev_b64 v[2:3], v2, v[19:20]
	v_and_b32_e32 v33, 7, v2
; %bb.1929:                             ;   in Loop: Header=BB450_13 Depth=1
	s_or_b32 exec_lo, exec_lo, s25
	v_lshlrev_b32_e32 v0, 24, v0
	s_delay_alu instid0(VALU_DEP_2) | instskip(SKIP_1) | instid1(VALU_DEP_3)
	v_lshlrev_b32_e32 v2, 20, v33
	v_lshl_add_u32 v1, v1, 23, 0x3c000000
	v_and_b32_e32 v0, 0x80000000, v0
	s_delay_alu instid0(VALU_DEP_1)
	v_or3_b32 v1, v2, v0, v1
.LBB450_1930:                           ;   in Loop: Header=BB450_13 Depth=1
	s_or_b32 exec_lo, exec_lo, s24
.LBB450_1931:                           ;   in Loop: Header=BB450_13 Depth=1
	s_delay_alu instid0(SALU_CYCLE_1)
	s_or_b32 exec_lo, exec_lo, s23
.LBB450_1932:                           ;   in Loop: Header=BB450_13 Depth=1
	s_delay_alu instid0(SALU_CYCLE_1) | instskip(NEXT) | instid1(VALU_DEP_1)
	s_or_b32 exec_lo, exec_lo, s22
	v_mul_f32_e32 v0, v121, v1
                                        ; implicit-def: $vgpr92
	s_delay_alu instid0(VALU_DEP_1) | instskip(NEXT) | instid1(VALU_DEP_1)
	v_and_b32_e32 v1, 0x7f800000, v0
	v_cmp_ne_u32_e64 s2, 0x7f800000, v1
	s_delay_alu instid0(VALU_DEP_1) | instskip(NEXT) | instid1(SALU_CYCLE_1)
	s_and_saveexec_b32 s22, s2
	s_xor_b32 s2, exec_lo, s22
; %bb.1933:                             ;   in Loop: Header=BB450_13 Depth=1
	v_bfe_u32 v1, v0, 16, 1
	s_delay_alu instid0(VALU_DEP_1)
	v_add3_u32 v92, v0, v1, 0x7fff
                                        ; implicit-def: $vgpr0
; %bb.1934:                             ;   in Loop: Header=BB450_13 Depth=1
	s_and_not1_saveexec_b32 s22, s2
; %bb.1935:                             ;   in Loop: Header=BB450_13 Depth=1
	v_and_b32_e32 v1, 0xffff, v0
	v_or_b32_e32 v2, 0x10000, v0
	s_delay_alu instid0(VALU_DEP_2) | instskip(NEXT) | instid1(VALU_DEP_1)
	v_cmp_eq_u32_e64 s2, 0, v1
	v_cndmask_b32_e64 v92, v2, v0, s2
; %bb.1936:                             ;   in Loop: Header=BB450_13 Depth=1
	s_or_b32 exec_lo, exec_lo, s22
	flat_load_b64 v[33:34], v[31:32] offset:1024
	s_mov_b32 s22, exec_lo
	s_waitcnt vmcnt(0) lgkmcnt(0)
	v_dual_mov_b32 v0, 0 :: v_dual_and_b32 v1, 0xff, v33
	s_delay_alu instid0(VALU_DEP_1)
	v_cmpx_ne_u16_e32 0, v1
	s_cbranch_execz .LBB450_1944
; %bb.1937:                             ;   in Loop: Header=BB450_13 Depth=1
	v_bfrev_b32_e32 v0, 1
	s_mov_b32 s23, exec_lo
	v_cmpx_ne_u16_e32 0x80, v1
	s_cbranch_execz .LBB450_1943
; %bb.1938:                             ;   in Loop: Header=BB450_13 Depth=1
	v_and_b32_e32 v1, 0x7f, v33
	v_mov_b32_e32 v0, 0x7f800001
	s_mov_b32 s24, exec_lo
	s_delay_alu instid0(VALU_DEP_2)
	v_cmpx_ne_u32_e32 0x7f, v1
	s_cbranch_execz .LBB450_1942
; %bb.1939:                             ;   in Loop: Header=BB450_13 Depth=1
	v_lshrrev_b32_e32 v0, 3, v1
	v_dual_mov_b32 v36, v34 :: v_dual_mov_b32 v35, v33
	s_mov_b32 s25, exec_lo
	v_cmpx_gt_u32_e32 8, v1
; %bb.1940:                             ;   in Loop: Header=BB450_13 Depth=1
	v_and_b32_e32 v0, 7, v33
	s_delay_alu instid0(VALU_DEP_1) | instskip(NEXT) | instid1(VALU_DEP_1)
	v_clz_i32_u32_e32 v0, v0
	v_min_u32_e32 v0, 32, v0
	s_delay_alu instid0(VALU_DEP_1) | instskip(SKIP_1) | instid1(VALU_DEP_2)
	v_subrev_nc_u32_e32 v1, 28, v0
	v_sub_nc_u32_e32 v0, 29, v0
	v_lshlrev_b64 v[35:36], v1, v[33:34]
; %bb.1941:                             ;   in Loop: Header=BB450_13 Depth=1
	s_or_b32 exec_lo, exec_lo, s25
	s_delay_alu instid0(VALU_DEP_1) | instskip(SKIP_2) | instid1(VALU_DEP_3)
	v_lshlrev_b32_e32 v1, 20, v35
	v_lshlrev_b32_e32 v2, 24, v33
	v_lshl_add_u32 v0, v0, 23, 0x3c000000
	v_and_b32_e32 v1, 0x700000, v1
	s_delay_alu instid0(VALU_DEP_3) | instskip(NEXT) | instid1(VALU_DEP_1)
	v_and_b32_e32 v2, 0x80000000, v2
	v_or3_b32 v0, v1, v2, v0
.LBB450_1942:                           ;   in Loop: Header=BB450_13 Depth=1
	s_or_b32 exec_lo, exec_lo, s24
.LBB450_1943:                           ;   in Loop: Header=BB450_13 Depth=1
	s_delay_alu instid0(SALU_CYCLE_1)
	s_or_b32 exec_lo, exec_lo, s23
.LBB450_1944:                           ;   in Loop: Header=BB450_13 Depth=1
	s_delay_alu instid0(SALU_CYCLE_1) | instskip(NEXT) | instid1(VALU_DEP_1)
	s_or_b32 exec_lo, exec_lo, s22
	v_mul_f32_e32 v0, v121, v0
                                        ; implicit-def: $vgpr93
	s_delay_alu instid0(VALU_DEP_1) | instskip(NEXT) | instid1(VALU_DEP_1)
	v_and_b32_e32 v1, 0x7f800000, v0
	v_cmp_ne_u32_e64 s2, 0x7f800000, v1
	s_delay_alu instid0(VALU_DEP_1) | instskip(NEXT) | instid1(SALU_CYCLE_1)
	s_and_saveexec_b32 s22, s2
	s_xor_b32 s2, exec_lo, s22
; %bb.1945:                             ;   in Loop: Header=BB450_13 Depth=1
	v_bfe_u32 v1, v0, 16, 1
	s_delay_alu instid0(VALU_DEP_1)
	v_add3_u32 v93, v0, v1, 0x7fff
                                        ; implicit-def: $vgpr0
; %bb.1946:                             ;   in Loop: Header=BB450_13 Depth=1
	s_and_not1_saveexec_b32 s22, s2
; %bb.1947:                             ;   in Loop: Header=BB450_13 Depth=1
	v_and_b32_e32 v1, 0xffff, v0
	v_or_b32_e32 v2, 0x10000, v0
	s_delay_alu instid0(VALU_DEP_2) | instskip(NEXT) | instid1(VALU_DEP_1)
	v_cmp_eq_u32_e64 s2, 0, v1
	v_cndmask_b32_e64 v93, v2, v0, s2
; %bb.1948:                             ;   in Loop: Header=BB450_13 Depth=1
	s_or_b32 exec_lo, exec_lo, s22
	v_lshrrev_b16 v1, 8, v33
	v_mov_b32_e32 v0, 0
	s_mov_b32 s22, exec_lo
	s_delay_alu instid0(VALU_DEP_2)
	v_cmpx_ne_u16_e32 0, v1
	s_cbranch_execz .LBB450_1956
; %bb.1949:                             ;   in Loop: Header=BB450_13 Depth=1
	v_bfrev_b32_e32 v0, 1
	s_mov_b32 s23, exec_lo
	v_cmpx_ne_u16_e32 0x80, v1
	s_cbranch_execz .LBB450_1955
; %bb.1950:                             ;   in Loop: Header=BB450_13 Depth=1
	v_and_b32_e32 v2, 0xffff, v1
	v_mov_b32_e32 v0, 0x7f800001
	s_mov_b32 s24, exec_lo
	s_delay_alu instid0(VALU_DEP_2) | instskip(NEXT) | instid1(VALU_DEP_1)
	v_and_b32_e32 v1, 0x7f, v2
	v_cmpx_ne_u32_e32 0x7f, v1
	s_cbranch_execz .LBB450_1954
; %bb.1951:                             ;   in Loop: Header=BB450_13 Depth=1
	v_and_b32_e32 v19, 7, v2
	v_mov_b32_e32 v36, v20
	v_lshrrev_b32_e32 v0, 3, v1
	s_mov_b32 s25, exec_lo
	s_delay_alu instid0(VALU_DEP_3)
	v_mov_b32_e32 v35, v19
	v_cmpx_gt_u32_e32 8, v1
; %bb.1952:                             ;   in Loop: Header=BB450_13 Depth=1
	v_clz_i32_u32_e32 v0, v19
	s_delay_alu instid0(VALU_DEP_1) | instskip(NEXT) | instid1(VALU_DEP_1)
	v_min_u32_e32 v0, 32, v0
	v_subrev_nc_u32_e32 v1, 28, v0
	v_sub_nc_u32_e32 v0, 29, v0
	s_delay_alu instid0(VALU_DEP_2) | instskip(NEXT) | instid1(VALU_DEP_1)
	v_lshlrev_b64 v[1:2], v1, v[19:20]
	v_and_b32_e32 v35, 7, v1
; %bb.1953:                             ;   in Loop: Header=BB450_13 Depth=1
	s_or_b32 exec_lo, exec_lo, s25
	v_lshlrev_b32_e32 v1, 16, v33
	s_delay_alu instid0(VALU_DEP_2) | instskip(SKIP_1) | instid1(VALU_DEP_3)
	v_lshlrev_b32_e32 v2, 20, v35
	v_lshl_add_u32 v0, v0, 23, 0x3c000000
	v_and_b32_e32 v1, 0x80000000, v1
	s_delay_alu instid0(VALU_DEP_1)
	v_or3_b32 v0, v2, v1, v0
.LBB450_1954:                           ;   in Loop: Header=BB450_13 Depth=1
	s_or_b32 exec_lo, exec_lo, s24
.LBB450_1955:                           ;   in Loop: Header=BB450_13 Depth=1
	s_delay_alu instid0(SALU_CYCLE_1)
	s_or_b32 exec_lo, exec_lo, s23
.LBB450_1956:                           ;   in Loop: Header=BB450_13 Depth=1
	s_delay_alu instid0(SALU_CYCLE_1) | instskip(NEXT) | instid1(VALU_DEP_1)
	s_or_b32 exec_lo, exec_lo, s22
	v_mul_f32_e32 v0, v121, v0
                                        ; implicit-def: $vgpr94
	s_delay_alu instid0(VALU_DEP_1) | instskip(NEXT) | instid1(VALU_DEP_1)
	v_and_b32_e32 v1, 0x7f800000, v0
	v_cmp_ne_u32_e64 s2, 0x7f800000, v1
	s_delay_alu instid0(VALU_DEP_1) | instskip(NEXT) | instid1(SALU_CYCLE_1)
	s_and_saveexec_b32 s22, s2
	s_xor_b32 s2, exec_lo, s22
; %bb.1957:                             ;   in Loop: Header=BB450_13 Depth=1
	v_bfe_u32 v1, v0, 16, 1
	s_delay_alu instid0(VALU_DEP_1)
	v_add3_u32 v94, v0, v1, 0x7fff
                                        ; implicit-def: $vgpr0
; %bb.1958:                             ;   in Loop: Header=BB450_13 Depth=1
	s_and_not1_saveexec_b32 s22, s2
; %bb.1959:                             ;   in Loop: Header=BB450_13 Depth=1
	v_and_b32_e32 v1, 0xffff, v0
	v_or_b32_e32 v2, 0x10000, v0
	s_delay_alu instid0(VALU_DEP_2) | instskip(NEXT) | instid1(VALU_DEP_1)
	v_cmp_eq_u32_e64 s2, 0, v1
	v_cndmask_b32_e64 v94, v2, v0, s2
; %bb.1960:                             ;   in Loop: Header=BB450_13 Depth=1
	s_or_b32 exec_lo, exec_lo, s22
	v_lshrrev_b32_e32 v0, 16, v33
	s_mov_b32 s22, exec_lo
	s_delay_alu instid0(VALU_DEP_1) | instskip(NEXT) | instid1(VALU_DEP_1)
	v_dual_mov_b32 v1, 0 :: v_dual_and_b32 v2, 0xff, v0
	v_cmpx_ne_u16_e32 0, v2
	s_cbranch_execz .LBB450_1968
; %bb.1961:                             ;   in Loop: Header=BB450_13 Depth=1
	v_bfrev_b32_e32 v1, 1
	s_mov_b32 s23, exec_lo
	v_cmpx_ne_u16_e32 0x80, v2
	s_cbranch_execz .LBB450_1967
; %bb.1962:                             ;   in Loop: Header=BB450_13 Depth=1
	v_bfe_u32 v2, v33, 16, 7
	v_mov_b32_e32 v1, 0x7f800001
	s_mov_b32 s24, exec_lo
	s_delay_alu instid0(VALU_DEP_2)
	v_cmpx_ne_u32_e32 0x7f, v2
	s_cbranch_execz .LBB450_1966
; %bb.1963:                             ;   in Loop: Header=BB450_13 Depth=1
	v_and_b32_e32 v19, 7, v0
	v_mov_b32_e32 v36, v20
	v_lshrrev_b32_e32 v1, 3, v2
	s_mov_b32 s25, exec_lo
	s_delay_alu instid0(VALU_DEP_3)
	v_mov_b32_e32 v35, v19
	v_cmpx_gt_u32_e32 8, v2
; %bb.1964:                             ;   in Loop: Header=BB450_13 Depth=1
	v_clz_i32_u32_e32 v1, v19
	s_delay_alu instid0(VALU_DEP_1) | instskip(NEXT) | instid1(VALU_DEP_1)
	v_min_u32_e32 v1, 32, v1
	v_subrev_nc_u32_e32 v2, 28, v1
	v_sub_nc_u32_e32 v1, 29, v1
	s_delay_alu instid0(VALU_DEP_2) | instskip(NEXT) | instid1(VALU_DEP_1)
	v_lshlrev_b64 v[2:3], v2, v[19:20]
	v_and_b32_e32 v35, 7, v2
; %bb.1965:                             ;   in Loop: Header=BB450_13 Depth=1
	s_or_b32 exec_lo, exec_lo, s25
	v_lshlrev_b32_e32 v0, 24, v0
	s_delay_alu instid0(VALU_DEP_2) | instskip(SKIP_1) | instid1(VALU_DEP_3)
	v_lshlrev_b32_e32 v2, 20, v35
	v_lshl_add_u32 v1, v1, 23, 0x3c000000
	v_and_b32_e32 v0, 0x80000000, v0
	s_delay_alu instid0(VALU_DEP_1)
	v_or3_b32 v1, v2, v0, v1
.LBB450_1966:                           ;   in Loop: Header=BB450_13 Depth=1
	s_or_b32 exec_lo, exec_lo, s24
.LBB450_1967:                           ;   in Loop: Header=BB450_13 Depth=1
	s_delay_alu instid0(SALU_CYCLE_1)
	s_or_b32 exec_lo, exec_lo, s23
.LBB450_1968:                           ;   in Loop: Header=BB450_13 Depth=1
	s_delay_alu instid0(SALU_CYCLE_1) | instskip(NEXT) | instid1(VALU_DEP_1)
	s_or_b32 exec_lo, exec_lo, s22
	v_mul_f32_e32 v0, v121, v1
                                        ; implicit-def: $vgpr106
	s_delay_alu instid0(VALU_DEP_1) | instskip(NEXT) | instid1(VALU_DEP_1)
	v_and_b32_e32 v1, 0x7f800000, v0
	v_cmp_ne_u32_e64 s2, 0x7f800000, v1
	s_delay_alu instid0(VALU_DEP_1) | instskip(NEXT) | instid1(SALU_CYCLE_1)
	s_and_saveexec_b32 s22, s2
	s_xor_b32 s2, exec_lo, s22
; %bb.1969:                             ;   in Loop: Header=BB450_13 Depth=1
	v_bfe_u32 v1, v0, 16, 1
	s_delay_alu instid0(VALU_DEP_1)
	v_add3_u32 v106, v0, v1, 0x7fff
                                        ; implicit-def: $vgpr0
; %bb.1970:                             ;   in Loop: Header=BB450_13 Depth=1
	s_and_not1_saveexec_b32 s22, s2
; %bb.1971:                             ;   in Loop: Header=BB450_13 Depth=1
	v_and_b32_e32 v1, 0xffff, v0
	v_or_b32_e32 v2, 0x10000, v0
	s_delay_alu instid0(VALU_DEP_2) | instskip(NEXT) | instid1(VALU_DEP_1)
	v_cmp_eq_u32_e64 s2, 0, v1
	v_cndmask_b32_e64 v106, v2, v0, s2
; %bb.1972:                             ;   in Loop: Header=BB450_13 Depth=1
	s_or_b32 exec_lo, exec_lo, s22
	v_mov_b32_e32 v1, 0
	s_mov_b32 s22, exec_lo
	v_cmpx_lt_u32_e32 0xffffff, v33
	s_cbranch_execz .LBB450_1980
; %bb.1973:                             ;   in Loop: Header=BB450_13 Depth=1
	v_lshrrev_b32_e32 v0, 24, v33
	v_bfrev_b32_e32 v1, 1
	s_mov_b32 s23, exec_lo
	s_delay_alu instid0(VALU_DEP_2)
	v_cmpx_ne_u32_e32 0x80, v0
	s_cbranch_execz .LBB450_1979
; %bb.1974:                             ;   in Loop: Header=BB450_13 Depth=1
	v_bfe_u32 v2, v33, 24, 7
	v_mov_b32_e32 v1, 0x7f800001
	s_mov_b32 s24, exec_lo
	s_delay_alu instid0(VALU_DEP_2)
	v_cmpx_ne_u32_e32 0x7f, v2
	s_cbranch_execz .LBB450_1978
; %bb.1975:                             ;   in Loop: Header=BB450_13 Depth=1
	v_and_b32_e32 v19, 7, v0
	v_mov_b32_e32 v36, v20
	v_lshrrev_b32_e32 v1, 3, v2
	s_mov_b32 s25, exec_lo
	s_delay_alu instid0(VALU_DEP_3)
	v_mov_b32_e32 v35, v19
	v_cmpx_gt_u32_e32 8, v2
; %bb.1976:                             ;   in Loop: Header=BB450_13 Depth=1
	v_clz_i32_u32_e32 v1, v19
	s_delay_alu instid0(VALU_DEP_1) | instskip(NEXT) | instid1(VALU_DEP_1)
	v_min_u32_e32 v1, 32, v1
	v_subrev_nc_u32_e32 v2, 28, v1
	v_sub_nc_u32_e32 v1, 29, v1
	s_delay_alu instid0(VALU_DEP_2) | instskip(NEXT) | instid1(VALU_DEP_1)
	v_lshlrev_b64 v[2:3], v2, v[19:20]
	v_and_b32_e32 v35, 7, v2
; %bb.1977:                             ;   in Loop: Header=BB450_13 Depth=1
	s_or_b32 exec_lo, exec_lo, s25
	v_lshlrev_b32_e32 v0, 24, v0
	s_delay_alu instid0(VALU_DEP_2) | instskip(SKIP_1) | instid1(VALU_DEP_3)
	v_lshlrev_b32_e32 v2, 20, v35
	v_lshl_add_u32 v1, v1, 23, 0x3c000000
	v_and_b32_e32 v0, 0x80000000, v0
	s_delay_alu instid0(VALU_DEP_1)
	v_or3_b32 v1, v2, v0, v1
.LBB450_1978:                           ;   in Loop: Header=BB450_13 Depth=1
	s_or_b32 exec_lo, exec_lo, s24
.LBB450_1979:                           ;   in Loop: Header=BB450_13 Depth=1
	s_delay_alu instid0(SALU_CYCLE_1)
	s_or_b32 exec_lo, exec_lo, s23
.LBB450_1980:                           ;   in Loop: Header=BB450_13 Depth=1
	s_delay_alu instid0(SALU_CYCLE_1) | instskip(NEXT) | instid1(VALU_DEP_1)
	s_or_b32 exec_lo, exec_lo, s22
	v_mul_f32_e32 v0, v121, v1
                                        ; implicit-def: $vgpr109
	s_delay_alu instid0(VALU_DEP_1) | instskip(NEXT) | instid1(VALU_DEP_1)
	v_and_b32_e32 v1, 0x7f800000, v0
	v_cmp_ne_u32_e64 s2, 0x7f800000, v1
	s_delay_alu instid0(VALU_DEP_1) | instskip(NEXT) | instid1(SALU_CYCLE_1)
	s_and_saveexec_b32 s22, s2
	s_xor_b32 s2, exec_lo, s22
; %bb.1981:                             ;   in Loop: Header=BB450_13 Depth=1
	v_bfe_u32 v1, v0, 16, 1
	s_delay_alu instid0(VALU_DEP_1)
	v_add3_u32 v109, v0, v1, 0x7fff
                                        ; implicit-def: $vgpr0
; %bb.1982:                             ;   in Loop: Header=BB450_13 Depth=1
	s_and_not1_saveexec_b32 s22, s2
; %bb.1983:                             ;   in Loop: Header=BB450_13 Depth=1
	v_and_b32_e32 v1, 0xffff, v0
	v_or_b32_e32 v2, 0x10000, v0
	s_delay_alu instid0(VALU_DEP_2) | instskip(NEXT) | instid1(VALU_DEP_1)
	v_cmp_eq_u32_e64 s2, 0, v1
	v_cndmask_b32_e64 v109, v2, v0, s2
; %bb.1984:                             ;   in Loop: Header=BB450_13 Depth=1
	s_or_b32 exec_lo, exec_lo, s22
	v_dual_mov_b32 v0, 0 :: v_dual_and_b32 v1, 0xff, v34
	v_mov_b32_e32 v19, v34
	s_mov_b32 s22, exec_lo
	s_delay_alu instid0(VALU_DEP_2)
	v_cmpx_ne_u16_e32 0, v1
	s_cbranch_execz .LBB450_1992
; %bb.1985:                             ;   in Loop: Header=BB450_13 Depth=1
	v_bfrev_b32_e32 v0, 1
	s_mov_b32 s23, exec_lo
	v_cmpx_ne_u16_e32 0x80, v1
	s_cbranch_execz .LBB450_1991
; %bb.1986:                             ;   in Loop: Header=BB450_13 Depth=1
	v_and_b32_e32 v1, 0x7f, v34
	v_mov_b32_e32 v0, 0x7f800001
	s_mov_b32 s24, exec_lo
	s_delay_alu instid0(VALU_DEP_2)
	v_cmpx_ne_u32_e32 0x7f, v1
	s_cbranch_execz .LBB450_1990
; %bb.1987:                             ;   in Loop: Header=BB450_13 Depth=1
	v_dual_mov_b32 v36, v20 :: v_dual_mov_b32 v35, v19
	v_lshrrev_b32_e32 v0, 3, v1
	s_mov_b32 s25, exec_lo
	v_cmpx_gt_u32_e32 8, v1
; %bb.1988:                             ;   in Loop: Header=BB450_13 Depth=1
	v_and_b32_e32 v0, 7, v34
	s_delay_alu instid0(VALU_DEP_1) | instskip(NEXT) | instid1(VALU_DEP_1)
	v_clz_i32_u32_e32 v0, v0
	v_min_u32_e32 v0, 32, v0
	s_delay_alu instid0(VALU_DEP_1) | instskip(SKIP_1) | instid1(VALU_DEP_2)
	v_subrev_nc_u32_e32 v1, 28, v0
	v_sub_nc_u32_e32 v0, 29, v0
	v_lshlrev_b64 v[35:36], v1, v[19:20]
; %bb.1989:                             ;   in Loop: Header=BB450_13 Depth=1
	s_or_b32 exec_lo, exec_lo, s25
	s_delay_alu instid0(VALU_DEP_1) | instskip(SKIP_2) | instid1(VALU_DEP_3)
	v_lshlrev_b32_e32 v1, 20, v35
	v_lshlrev_b32_e32 v2, 24, v19
	v_lshl_add_u32 v0, v0, 23, 0x3c000000
	v_and_b32_e32 v1, 0x700000, v1
	s_delay_alu instid0(VALU_DEP_3) | instskip(NEXT) | instid1(VALU_DEP_1)
	v_and_b32_e32 v2, 0x80000000, v2
	v_or3_b32 v0, v1, v2, v0
.LBB450_1990:                           ;   in Loop: Header=BB450_13 Depth=1
	s_or_b32 exec_lo, exec_lo, s24
.LBB450_1991:                           ;   in Loop: Header=BB450_13 Depth=1
	s_delay_alu instid0(SALU_CYCLE_1)
	s_or_b32 exec_lo, exec_lo, s23
.LBB450_1992:                           ;   in Loop: Header=BB450_13 Depth=1
	s_delay_alu instid0(SALU_CYCLE_1) | instskip(NEXT) | instid1(VALU_DEP_1)
	s_or_b32 exec_lo, exec_lo, s22
	v_mul_f32_e32 v0, v121, v0
                                        ; implicit-def: $vgpr105
	s_delay_alu instid0(VALU_DEP_1) | instskip(NEXT) | instid1(VALU_DEP_1)
	v_and_b32_e32 v1, 0x7f800000, v0
	v_cmp_ne_u32_e64 s2, 0x7f800000, v1
	s_delay_alu instid0(VALU_DEP_1) | instskip(NEXT) | instid1(SALU_CYCLE_1)
	s_and_saveexec_b32 s22, s2
	s_xor_b32 s2, exec_lo, s22
; %bb.1993:                             ;   in Loop: Header=BB450_13 Depth=1
	v_bfe_u32 v1, v0, 16, 1
	s_delay_alu instid0(VALU_DEP_1)
	v_add3_u32 v105, v0, v1, 0x7fff
                                        ; implicit-def: $vgpr0
; %bb.1994:                             ;   in Loop: Header=BB450_13 Depth=1
	s_and_not1_saveexec_b32 s22, s2
; %bb.1995:                             ;   in Loop: Header=BB450_13 Depth=1
	v_and_b32_e32 v1, 0xffff, v0
	v_or_b32_e32 v2, 0x10000, v0
	s_delay_alu instid0(VALU_DEP_2) | instskip(NEXT) | instid1(VALU_DEP_1)
	v_cmp_eq_u32_e64 s2, 0, v1
	v_cndmask_b32_e64 v105, v2, v0, s2
; %bb.1996:                             ;   in Loop: Header=BB450_13 Depth=1
	s_or_b32 exec_lo, exec_lo, s22
	v_lshrrev_b16 v1, 8, v19
	v_mov_b32_e32 v0, 0
	s_mov_b32 s22, exec_lo
	s_delay_alu instid0(VALU_DEP_2)
	v_cmpx_ne_u16_e32 0, v1
	s_cbranch_execz .LBB450_2004
; %bb.1997:                             ;   in Loop: Header=BB450_13 Depth=1
	v_bfrev_b32_e32 v0, 1
	s_mov_b32 s23, exec_lo
	v_cmpx_ne_u16_e32 0x80, v1
	s_cbranch_execz .LBB450_2003
; %bb.1998:                             ;   in Loop: Header=BB450_13 Depth=1
	v_and_b32_e32 v2, 0xffff, v1
	v_mov_b32_e32 v0, 0x7f800001
	s_mov_b32 s24, exec_lo
	s_delay_alu instid0(VALU_DEP_2) | instskip(NEXT) | instid1(VALU_DEP_1)
	v_and_b32_e32 v1, 0x7f, v2
	v_cmpx_ne_u32_e32 0x7f, v1
	s_cbranch_execz .LBB450_2002
; %bb.1999:                             ;   in Loop: Header=BB450_13 Depth=1
	v_dual_mov_b32 v36, v20 :: v_dual_and_b32 v35, 7, v2
	v_lshrrev_b32_e32 v0, 3, v1
	s_mov_b32 s25, exec_lo
	v_cmpx_gt_u32_e32 8, v1
; %bb.2000:                             ;   in Loop: Header=BB450_13 Depth=1
	s_delay_alu instid0(VALU_DEP_3) | instskip(NEXT) | instid1(VALU_DEP_1)
	v_clz_i32_u32_e32 v0, v35
	v_min_u32_e32 v0, 32, v0
	s_delay_alu instid0(VALU_DEP_1) | instskip(SKIP_1) | instid1(VALU_DEP_2)
	v_subrev_nc_u32_e32 v1, 28, v0
	v_sub_nc_u32_e32 v0, 29, v0
	v_lshlrev_b64 v[1:2], v1, v[35:36]
	s_delay_alu instid0(VALU_DEP_1)
	v_and_b32_e32 v35, 7, v1
; %bb.2001:                             ;   in Loop: Header=BB450_13 Depth=1
	s_or_b32 exec_lo, exec_lo, s25
	v_lshlrev_b32_e32 v1, 16, v19
	s_delay_alu instid0(VALU_DEP_2) | instskip(SKIP_1) | instid1(VALU_DEP_3)
	v_lshlrev_b32_e32 v2, 20, v35
	v_lshl_add_u32 v0, v0, 23, 0x3c000000
	v_and_b32_e32 v1, 0x80000000, v1
	s_delay_alu instid0(VALU_DEP_1)
	v_or3_b32 v0, v2, v1, v0
.LBB450_2002:                           ;   in Loop: Header=BB450_13 Depth=1
	s_or_b32 exec_lo, exec_lo, s24
.LBB450_2003:                           ;   in Loop: Header=BB450_13 Depth=1
	s_delay_alu instid0(SALU_CYCLE_1)
	s_or_b32 exec_lo, exec_lo, s23
.LBB450_2004:                           ;   in Loop: Header=BB450_13 Depth=1
	s_delay_alu instid0(SALU_CYCLE_1) | instskip(NEXT) | instid1(VALU_DEP_1)
	s_or_b32 exec_lo, exec_lo, s22
	v_mul_f32_e32 v0, v121, v0
                                        ; implicit-def: $vgpr8
	s_delay_alu instid0(VALU_DEP_1) | instskip(NEXT) | instid1(VALU_DEP_1)
	v_and_b32_e32 v1, 0x7f800000, v0
	v_cmp_ne_u32_e64 s2, 0x7f800000, v1
	s_delay_alu instid0(VALU_DEP_1) | instskip(NEXT) | instid1(SALU_CYCLE_1)
	s_and_saveexec_b32 s22, s2
	s_xor_b32 s2, exec_lo, s22
; %bb.2005:                             ;   in Loop: Header=BB450_13 Depth=1
	v_bfe_u32 v1, v0, 16, 1
	s_delay_alu instid0(VALU_DEP_1)
	v_add3_u32 v8, v0, v1, 0x7fff
                                        ; implicit-def: $vgpr0
; %bb.2006:                             ;   in Loop: Header=BB450_13 Depth=1
	s_and_not1_saveexec_b32 s22, s2
; %bb.2007:                             ;   in Loop: Header=BB450_13 Depth=1
	v_and_b32_e32 v1, 0xffff, v0
	v_or_b32_e32 v2, 0x10000, v0
	s_delay_alu instid0(VALU_DEP_2) | instskip(NEXT) | instid1(VALU_DEP_1)
	v_cmp_eq_u32_e64 s2, 0, v1
	v_cndmask_b32_e64 v8, v2, v0, s2
; %bb.2008:                             ;   in Loop: Header=BB450_13 Depth=1
	s_or_b32 exec_lo, exec_lo, s22
	v_lshrrev_b32_e32 v0, 16, v34
	s_mov_b32 s22, exec_lo
	s_delay_alu instid0(VALU_DEP_1) | instskip(NEXT) | instid1(VALU_DEP_1)
	v_dual_mov_b32 v1, 0 :: v_dual_and_b32 v2, 0xff, v0
	v_cmpx_ne_u16_e32 0, v2
	s_cbranch_execz .LBB450_2016
; %bb.2009:                             ;   in Loop: Header=BB450_13 Depth=1
	v_bfrev_b32_e32 v1, 1
	s_mov_b32 s23, exec_lo
	v_cmpx_ne_u16_e32 0x80, v2
	s_cbranch_execz .LBB450_2015
; %bb.2010:                             ;   in Loop: Header=BB450_13 Depth=1
	v_bfe_u32 v2, v34, 16, 7
	v_mov_b32_e32 v1, 0x7f800001
	s_mov_b32 s24, exec_lo
	s_delay_alu instid0(VALU_DEP_2)
	v_cmpx_ne_u32_e32 0x7f, v2
	s_cbranch_execz .LBB450_2014
; %bb.2011:                             ;   in Loop: Header=BB450_13 Depth=1
	v_and_b32_e32 v19, 7, v0
	v_mov_b32_e32 v36, v20
	v_lshrrev_b32_e32 v1, 3, v2
	s_mov_b32 s25, exec_lo
	s_delay_alu instid0(VALU_DEP_3)
	v_mov_b32_e32 v35, v19
	v_cmpx_gt_u32_e32 8, v2
; %bb.2012:                             ;   in Loop: Header=BB450_13 Depth=1
	v_clz_i32_u32_e32 v1, v19
	s_delay_alu instid0(VALU_DEP_1) | instskip(NEXT) | instid1(VALU_DEP_1)
	v_min_u32_e32 v1, 32, v1
	v_subrev_nc_u32_e32 v2, 28, v1
	v_sub_nc_u32_e32 v1, 29, v1
	s_delay_alu instid0(VALU_DEP_2) | instskip(NEXT) | instid1(VALU_DEP_1)
	v_lshlrev_b64 v[2:3], v2, v[19:20]
	v_and_b32_e32 v35, 7, v2
; %bb.2013:                             ;   in Loop: Header=BB450_13 Depth=1
	s_or_b32 exec_lo, exec_lo, s25
	v_lshlrev_b32_e32 v0, 24, v0
	s_delay_alu instid0(VALU_DEP_2) | instskip(SKIP_1) | instid1(VALU_DEP_3)
	v_lshlrev_b32_e32 v2, 20, v35
	v_lshl_add_u32 v1, v1, 23, 0x3c000000
	v_and_b32_e32 v0, 0x80000000, v0
	s_delay_alu instid0(VALU_DEP_1)
	v_or3_b32 v1, v2, v0, v1
.LBB450_2014:                           ;   in Loop: Header=BB450_13 Depth=1
	s_or_b32 exec_lo, exec_lo, s24
.LBB450_2015:                           ;   in Loop: Header=BB450_13 Depth=1
	s_delay_alu instid0(SALU_CYCLE_1)
	s_or_b32 exec_lo, exec_lo, s23
.LBB450_2016:                           ;   in Loop: Header=BB450_13 Depth=1
	s_delay_alu instid0(SALU_CYCLE_1) | instskip(NEXT) | instid1(VALU_DEP_1)
	s_or_b32 exec_lo, exec_lo, s22
	v_mul_f32_e32 v0, v121, v1
                                        ; implicit-def: $vgpr9
	s_delay_alu instid0(VALU_DEP_1) | instskip(NEXT) | instid1(VALU_DEP_1)
	v_and_b32_e32 v1, 0x7f800000, v0
	v_cmp_ne_u32_e64 s2, 0x7f800000, v1
	s_delay_alu instid0(VALU_DEP_1) | instskip(NEXT) | instid1(SALU_CYCLE_1)
	s_and_saveexec_b32 s22, s2
	s_xor_b32 s2, exec_lo, s22
; %bb.2017:                             ;   in Loop: Header=BB450_13 Depth=1
	v_bfe_u32 v1, v0, 16, 1
	s_delay_alu instid0(VALU_DEP_1)
	v_add3_u32 v9, v0, v1, 0x7fff
                                        ; implicit-def: $vgpr0
; %bb.2018:                             ;   in Loop: Header=BB450_13 Depth=1
	s_and_not1_saveexec_b32 s22, s2
; %bb.2019:                             ;   in Loop: Header=BB450_13 Depth=1
	v_and_b32_e32 v1, 0xffff, v0
	v_or_b32_e32 v2, 0x10000, v0
	s_delay_alu instid0(VALU_DEP_2) | instskip(NEXT) | instid1(VALU_DEP_1)
	v_cmp_eq_u32_e64 s2, 0, v1
	v_cndmask_b32_e64 v9, v2, v0, s2
; %bb.2020:                             ;   in Loop: Header=BB450_13 Depth=1
	s_or_b32 exec_lo, exec_lo, s22
	v_mov_b32_e32 v1, 0
	s_mov_b32 s22, exec_lo
	v_cmpx_lt_u64_e64 s[8:9], v[33:34]
	s_cbranch_execz .LBB450_2028
; %bb.2021:                             ;   in Loop: Header=BB450_13 Depth=1
	v_lshrrev_b32_e32 v0, 24, v34
	v_bfrev_b32_e32 v1, 1
	s_mov_b32 s23, exec_lo
	s_delay_alu instid0(VALU_DEP_2)
	v_cmpx_ne_u32_e32 0x80, v0
	s_cbranch_execz .LBB450_2027
; %bb.2022:                             ;   in Loop: Header=BB450_13 Depth=1
	v_bfe_u32 v2, v34, 24, 7
	v_mov_b32_e32 v1, 0x7f800001
	s_mov_b32 s24, exec_lo
	s_delay_alu instid0(VALU_DEP_2)
	v_cmpx_ne_u32_e32 0x7f, v2
	s_cbranch_execz .LBB450_2026
; %bb.2023:                             ;   in Loop: Header=BB450_13 Depth=1
	v_and_b32_e32 v19, 7, v0
	v_mov_b32_e32 v34, v20
	v_lshrrev_b32_e32 v1, 3, v2
	s_mov_b32 s25, exec_lo
	s_delay_alu instid0(VALU_DEP_3)
	v_mov_b32_e32 v33, v19
	v_cmpx_gt_u32_e32 8, v2
; %bb.2024:                             ;   in Loop: Header=BB450_13 Depth=1
	v_clz_i32_u32_e32 v1, v19
	s_delay_alu instid0(VALU_DEP_1) | instskip(NEXT) | instid1(VALU_DEP_1)
	v_min_u32_e32 v1, 32, v1
	v_subrev_nc_u32_e32 v2, 28, v1
	v_sub_nc_u32_e32 v1, 29, v1
	s_delay_alu instid0(VALU_DEP_2) | instskip(NEXT) | instid1(VALU_DEP_1)
	v_lshlrev_b64 v[2:3], v2, v[19:20]
	v_and_b32_e32 v33, 7, v2
; %bb.2025:                             ;   in Loop: Header=BB450_13 Depth=1
	s_or_b32 exec_lo, exec_lo, s25
	v_lshlrev_b32_e32 v0, 24, v0
	s_delay_alu instid0(VALU_DEP_2) | instskip(SKIP_1) | instid1(VALU_DEP_3)
	v_lshlrev_b32_e32 v2, 20, v33
	v_lshl_add_u32 v1, v1, 23, 0x3c000000
	v_and_b32_e32 v0, 0x80000000, v0
	s_delay_alu instid0(VALU_DEP_1)
	v_or3_b32 v1, v2, v0, v1
.LBB450_2026:                           ;   in Loop: Header=BB450_13 Depth=1
	s_or_b32 exec_lo, exec_lo, s24
.LBB450_2027:                           ;   in Loop: Header=BB450_13 Depth=1
	s_delay_alu instid0(SALU_CYCLE_1)
	s_or_b32 exec_lo, exec_lo, s23
.LBB450_2028:                           ;   in Loop: Header=BB450_13 Depth=1
	s_delay_alu instid0(SALU_CYCLE_1) | instskip(NEXT) | instid1(VALU_DEP_1)
	s_or_b32 exec_lo, exec_lo, s22
	v_mul_f32_e32 v0, v121, v1
                                        ; implicit-def: $vgpr53
	s_delay_alu instid0(VALU_DEP_1) | instskip(NEXT) | instid1(VALU_DEP_1)
	v_and_b32_e32 v1, 0x7f800000, v0
	v_cmp_ne_u32_e64 s2, 0x7f800000, v1
	s_delay_alu instid0(VALU_DEP_1) | instskip(NEXT) | instid1(SALU_CYCLE_1)
	s_and_saveexec_b32 s22, s2
	s_xor_b32 s2, exec_lo, s22
; %bb.2029:                             ;   in Loop: Header=BB450_13 Depth=1
	v_bfe_u32 v1, v0, 16, 1
	s_delay_alu instid0(VALU_DEP_1)
	v_add3_u32 v53, v0, v1, 0x7fff
                                        ; implicit-def: $vgpr0
; %bb.2030:                             ;   in Loop: Header=BB450_13 Depth=1
	s_and_not1_saveexec_b32 s22, s2
; %bb.2031:                             ;   in Loop: Header=BB450_13 Depth=1
	v_and_b32_e32 v1, 0xffff, v0
	v_or_b32_e32 v2, 0x10000, v0
	s_delay_alu instid0(VALU_DEP_2) | instskip(NEXT) | instid1(VALU_DEP_1)
	v_cmp_eq_u32_e64 s2, 0, v1
	v_cndmask_b32_e64 v53, v2, v0, s2
; %bb.2032:                             ;   in Loop: Header=BB450_13 Depth=1
	s_or_b32 exec_lo, exec_lo, s22
	flat_load_b64 v[33:34], v[31:32] offset:1032
	s_mov_b32 s22, exec_lo
	s_waitcnt vmcnt(0) lgkmcnt(0)
	v_dual_mov_b32 v0, 0 :: v_dual_and_b32 v1, 0xff, v33
	s_delay_alu instid0(VALU_DEP_1)
	v_cmpx_ne_u16_e32 0, v1
	s_cbranch_execz .LBB450_2040
; %bb.2033:                             ;   in Loop: Header=BB450_13 Depth=1
	v_bfrev_b32_e32 v0, 1
	s_mov_b32 s23, exec_lo
	v_cmpx_ne_u16_e32 0x80, v1
	s_cbranch_execz .LBB450_2039
; %bb.2034:                             ;   in Loop: Header=BB450_13 Depth=1
	v_and_b32_e32 v1, 0x7f, v33
	v_mov_b32_e32 v0, 0x7f800001
	s_mov_b32 s24, exec_lo
	s_delay_alu instid0(VALU_DEP_2)
	v_cmpx_ne_u32_e32 0x7f, v1
	s_cbranch_execz .LBB450_2038
; %bb.2035:                             ;   in Loop: Header=BB450_13 Depth=1
	v_lshrrev_b32_e32 v0, 3, v1
	v_dual_mov_b32 v36, v34 :: v_dual_mov_b32 v35, v33
	s_mov_b32 s25, exec_lo
	v_cmpx_gt_u32_e32 8, v1
; %bb.2036:                             ;   in Loop: Header=BB450_13 Depth=1
	v_and_b32_e32 v0, 7, v33
	s_delay_alu instid0(VALU_DEP_1) | instskip(NEXT) | instid1(VALU_DEP_1)
	v_clz_i32_u32_e32 v0, v0
	v_min_u32_e32 v0, 32, v0
	s_delay_alu instid0(VALU_DEP_1) | instskip(SKIP_1) | instid1(VALU_DEP_2)
	v_subrev_nc_u32_e32 v1, 28, v0
	v_sub_nc_u32_e32 v0, 29, v0
	v_lshlrev_b64 v[35:36], v1, v[33:34]
; %bb.2037:                             ;   in Loop: Header=BB450_13 Depth=1
	s_or_b32 exec_lo, exec_lo, s25
	s_delay_alu instid0(VALU_DEP_1) | instskip(SKIP_2) | instid1(VALU_DEP_3)
	v_lshlrev_b32_e32 v1, 20, v35
	v_lshlrev_b32_e32 v2, 24, v33
	v_lshl_add_u32 v0, v0, 23, 0x3c000000
	v_and_b32_e32 v1, 0x700000, v1
	s_delay_alu instid0(VALU_DEP_3) | instskip(NEXT) | instid1(VALU_DEP_1)
	v_and_b32_e32 v2, 0x80000000, v2
	v_or3_b32 v0, v1, v2, v0
.LBB450_2038:                           ;   in Loop: Header=BB450_13 Depth=1
	s_or_b32 exec_lo, exec_lo, s24
.LBB450_2039:                           ;   in Loop: Header=BB450_13 Depth=1
	s_delay_alu instid0(SALU_CYCLE_1)
	s_or_b32 exec_lo, exec_lo, s23
.LBB450_2040:                           ;   in Loop: Header=BB450_13 Depth=1
	s_delay_alu instid0(SALU_CYCLE_1) | instskip(NEXT) | instid1(VALU_DEP_1)
	s_or_b32 exec_lo, exec_lo, s22
	v_mul_f32_e32 v0, v121, v0
                                        ; implicit-def: $vgpr111
	s_delay_alu instid0(VALU_DEP_1) | instskip(NEXT) | instid1(VALU_DEP_1)
	v_and_b32_e32 v1, 0x7f800000, v0
	v_cmp_ne_u32_e64 s2, 0x7f800000, v1
	s_delay_alu instid0(VALU_DEP_1) | instskip(NEXT) | instid1(SALU_CYCLE_1)
	s_and_saveexec_b32 s22, s2
	s_xor_b32 s2, exec_lo, s22
; %bb.2041:                             ;   in Loop: Header=BB450_13 Depth=1
	v_bfe_u32 v1, v0, 16, 1
	s_delay_alu instid0(VALU_DEP_1)
	v_add3_u32 v111, v0, v1, 0x7fff
                                        ; implicit-def: $vgpr0
; %bb.2042:                             ;   in Loop: Header=BB450_13 Depth=1
	s_and_not1_saveexec_b32 s22, s2
; %bb.2043:                             ;   in Loop: Header=BB450_13 Depth=1
	v_and_b32_e32 v1, 0xffff, v0
	v_or_b32_e32 v2, 0x10000, v0
	s_delay_alu instid0(VALU_DEP_2) | instskip(NEXT) | instid1(VALU_DEP_1)
	v_cmp_eq_u32_e64 s2, 0, v1
	v_cndmask_b32_e64 v111, v2, v0, s2
; %bb.2044:                             ;   in Loop: Header=BB450_13 Depth=1
	s_or_b32 exec_lo, exec_lo, s22
	v_lshrrev_b16 v1, 8, v33
	v_mov_b32_e32 v0, 0
	s_mov_b32 s22, exec_lo
	s_delay_alu instid0(VALU_DEP_2)
	v_cmpx_ne_u16_e32 0, v1
	s_cbranch_execz .LBB450_2052
; %bb.2045:                             ;   in Loop: Header=BB450_13 Depth=1
	v_bfrev_b32_e32 v0, 1
	s_mov_b32 s23, exec_lo
	v_cmpx_ne_u16_e32 0x80, v1
	s_cbranch_execz .LBB450_2051
; %bb.2046:                             ;   in Loop: Header=BB450_13 Depth=1
	v_and_b32_e32 v2, 0xffff, v1
	v_mov_b32_e32 v0, 0x7f800001
	s_mov_b32 s24, exec_lo
	s_delay_alu instid0(VALU_DEP_2) | instskip(NEXT) | instid1(VALU_DEP_1)
	v_and_b32_e32 v1, 0x7f, v2
	v_cmpx_ne_u32_e32 0x7f, v1
	s_cbranch_execz .LBB450_2050
; %bb.2047:                             ;   in Loop: Header=BB450_13 Depth=1
	v_and_b32_e32 v19, 7, v2
	v_mov_b32_e32 v36, v20
	v_lshrrev_b32_e32 v0, 3, v1
	s_mov_b32 s25, exec_lo
	s_delay_alu instid0(VALU_DEP_3)
	v_mov_b32_e32 v35, v19
	v_cmpx_gt_u32_e32 8, v1
; %bb.2048:                             ;   in Loop: Header=BB450_13 Depth=1
	v_clz_i32_u32_e32 v0, v19
	s_delay_alu instid0(VALU_DEP_1) | instskip(NEXT) | instid1(VALU_DEP_1)
	v_min_u32_e32 v0, 32, v0
	v_subrev_nc_u32_e32 v1, 28, v0
	v_sub_nc_u32_e32 v0, 29, v0
	s_delay_alu instid0(VALU_DEP_2) | instskip(NEXT) | instid1(VALU_DEP_1)
	v_lshlrev_b64 v[1:2], v1, v[19:20]
	v_and_b32_e32 v35, 7, v1
; %bb.2049:                             ;   in Loop: Header=BB450_13 Depth=1
	s_or_b32 exec_lo, exec_lo, s25
	v_lshlrev_b32_e32 v1, 16, v33
	s_delay_alu instid0(VALU_DEP_2) | instskip(SKIP_1) | instid1(VALU_DEP_3)
	v_lshlrev_b32_e32 v2, 20, v35
	v_lshl_add_u32 v0, v0, 23, 0x3c000000
	v_and_b32_e32 v1, 0x80000000, v1
	s_delay_alu instid0(VALU_DEP_1)
	v_or3_b32 v0, v2, v1, v0
.LBB450_2050:                           ;   in Loop: Header=BB450_13 Depth=1
	s_or_b32 exec_lo, exec_lo, s24
.LBB450_2051:                           ;   in Loop: Header=BB450_13 Depth=1
	s_delay_alu instid0(SALU_CYCLE_1)
	s_or_b32 exec_lo, exec_lo, s23
.LBB450_2052:                           ;   in Loop: Header=BB450_13 Depth=1
	s_delay_alu instid0(SALU_CYCLE_1) | instskip(NEXT) | instid1(VALU_DEP_1)
	s_or_b32 exec_lo, exec_lo, s22
	v_mul_f32_e32 v0, v121, v0
                                        ; implicit-def: $vgpr13
	s_delay_alu instid0(VALU_DEP_1) | instskip(NEXT) | instid1(VALU_DEP_1)
	v_and_b32_e32 v1, 0x7f800000, v0
	v_cmp_ne_u32_e64 s2, 0x7f800000, v1
	s_delay_alu instid0(VALU_DEP_1) | instskip(NEXT) | instid1(SALU_CYCLE_1)
	s_and_saveexec_b32 s22, s2
	s_xor_b32 s2, exec_lo, s22
; %bb.2053:                             ;   in Loop: Header=BB450_13 Depth=1
	v_bfe_u32 v1, v0, 16, 1
	s_delay_alu instid0(VALU_DEP_1)
	v_add3_u32 v13, v0, v1, 0x7fff
                                        ; implicit-def: $vgpr0
; %bb.2054:                             ;   in Loop: Header=BB450_13 Depth=1
	s_and_not1_saveexec_b32 s22, s2
; %bb.2055:                             ;   in Loop: Header=BB450_13 Depth=1
	v_and_b32_e32 v1, 0xffff, v0
	v_or_b32_e32 v2, 0x10000, v0
	s_delay_alu instid0(VALU_DEP_2) | instskip(NEXT) | instid1(VALU_DEP_1)
	v_cmp_eq_u32_e64 s2, 0, v1
	v_cndmask_b32_e64 v13, v2, v0, s2
; %bb.2056:                             ;   in Loop: Header=BB450_13 Depth=1
	s_or_b32 exec_lo, exec_lo, s22
	v_lshrrev_b32_e32 v0, 16, v33
	s_mov_b32 s22, exec_lo
	s_delay_alu instid0(VALU_DEP_1) | instskip(NEXT) | instid1(VALU_DEP_1)
	v_dual_mov_b32 v1, 0 :: v_dual_and_b32 v2, 0xff, v0
	v_cmpx_ne_u16_e32 0, v2
	s_cbranch_execz .LBB450_2064
; %bb.2057:                             ;   in Loop: Header=BB450_13 Depth=1
	v_bfrev_b32_e32 v1, 1
	s_mov_b32 s23, exec_lo
	v_cmpx_ne_u16_e32 0x80, v2
	s_cbranch_execz .LBB450_2063
; %bb.2058:                             ;   in Loop: Header=BB450_13 Depth=1
	v_bfe_u32 v2, v33, 16, 7
	v_mov_b32_e32 v1, 0x7f800001
	s_mov_b32 s24, exec_lo
	s_delay_alu instid0(VALU_DEP_2)
	v_cmpx_ne_u32_e32 0x7f, v2
	s_cbranch_execz .LBB450_2062
; %bb.2059:                             ;   in Loop: Header=BB450_13 Depth=1
	v_and_b32_e32 v19, 7, v0
	v_mov_b32_e32 v36, v20
	v_lshrrev_b32_e32 v1, 3, v2
	s_mov_b32 s25, exec_lo
	s_delay_alu instid0(VALU_DEP_3)
	v_mov_b32_e32 v35, v19
	v_cmpx_gt_u32_e32 8, v2
; %bb.2060:                             ;   in Loop: Header=BB450_13 Depth=1
	v_clz_i32_u32_e32 v1, v19
	s_delay_alu instid0(VALU_DEP_1) | instskip(NEXT) | instid1(VALU_DEP_1)
	v_min_u32_e32 v1, 32, v1
	v_subrev_nc_u32_e32 v2, 28, v1
	v_sub_nc_u32_e32 v1, 29, v1
	s_delay_alu instid0(VALU_DEP_2) | instskip(NEXT) | instid1(VALU_DEP_1)
	v_lshlrev_b64 v[2:3], v2, v[19:20]
	v_and_b32_e32 v35, 7, v2
; %bb.2061:                             ;   in Loop: Header=BB450_13 Depth=1
	s_or_b32 exec_lo, exec_lo, s25
	v_lshlrev_b32_e32 v0, 24, v0
	s_delay_alu instid0(VALU_DEP_2) | instskip(SKIP_1) | instid1(VALU_DEP_3)
	v_lshlrev_b32_e32 v2, 20, v35
	v_lshl_add_u32 v1, v1, 23, 0x3c000000
	v_and_b32_e32 v0, 0x80000000, v0
	s_delay_alu instid0(VALU_DEP_1)
	v_or3_b32 v1, v2, v0, v1
.LBB450_2062:                           ;   in Loop: Header=BB450_13 Depth=1
	s_or_b32 exec_lo, exec_lo, s24
.LBB450_2063:                           ;   in Loop: Header=BB450_13 Depth=1
	s_delay_alu instid0(SALU_CYCLE_1)
	s_or_b32 exec_lo, exec_lo, s23
.LBB450_2064:                           ;   in Loop: Header=BB450_13 Depth=1
	s_delay_alu instid0(SALU_CYCLE_1) | instskip(NEXT) | instid1(VALU_DEP_1)
	s_or_b32 exec_lo, exec_lo, s22
	v_mul_f32_e32 v0, v121, v1
                                        ; implicit-def: $vgpr25
	s_delay_alu instid0(VALU_DEP_1) | instskip(NEXT) | instid1(VALU_DEP_1)
	v_and_b32_e32 v1, 0x7f800000, v0
	v_cmp_ne_u32_e64 s2, 0x7f800000, v1
	s_delay_alu instid0(VALU_DEP_1) | instskip(NEXT) | instid1(SALU_CYCLE_1)
	s_and_saveexec_b32 s22, s2
	s_xor_b32 s2, exec_lo, s22
; %bb.2065:                             ;   in Loop: Header=BB450_13 Depth=1
	v_bfe_u32 v1, v0, 16, 1
	s_delay_alu instid0(VALU_DEP_1)
	v_add3_u32 v25, v0, v1, 0x7fff
                                        ; implicit-def: $vgpr0
; %bb.2066:                             ;   in Loop: Header=BB450_13 Depth=1
	s_and_not1_saveexec_b32 s22, s2
; %bb.2067:                             ;   in Loop: Header=BB450_13 Depth=1
	v_and_b32_e32 v1, 0xffff, v0
	v_or_b32_e32 v2, 0x10000, v0
	s_delay_alu instid0(VALU_DEP_2) | instskip(NEXT) | instid1(VALU_DEP_1)
	v_cmp_eq_u32_e64 s2, 0, v1
	v_cndmask_b32_e64 v25, v2, v0, s2
; %bb.2068:                             ;   in Loop: Header=BB450_13 Depth=1
	s_or_b32 exec_lo, exec_lo, s22
	v_mov_b32_e32 v1, 0
	s_mov_b32 s22, exec_lo
	v_cmpx_lt_u32_e32 0xffffff, v33
	s_cbranch_execz .LBB450_2076
; %bb.2069:                             ;   in Loop: Header=BB450_13 Depth=1
	v_lshrrev_b32_e32 v0, 24, v33
	v_bfrev_b32_e32 v1, 1
	s_mov_b32 s23, exec_lo
	s_delay_alu instid0(VALU_DEP_2)
	v_cmpx_ne_u32_e32 0x80, v0
	s_cbranch_execz .LBB450_2075
; %bb.2070:                             ;   in Loop: Header=BB450_13 Depth=1
	v_bfe_u32 v2, v33, 24, 7
	v_mov_b32_e32 v1, 0x7f800001
	s_mov_b32 s24, exec_lo
	s_delay_alu instid0(VALU_DEP_2)
	v_cmpx_ne_u32_e32 0x7f, v2
	s_cbranch_execz .LBB450_2074
; %bb.2071:                             ;   in Loop: Header=BB450_13 Depth=1
	v_and_b32_e32 v19, 7, v0
	v_mov_b32_e32 v36, v20
	v_lshrrev_b32_e32 v1, 3, v2
	s_mov_b32 s25, exec_lo
	s_delay_alu instid0(VALU_DEP_3)
	v_mov_b32_e32 v35, v19
	v_cmpx_gt_u32_e32 8, v2
; %bb.2072:                             ;   in Loop: Header=BB450_13 Depth=1
	v_clz_i32_u32_e32 v1, v19
	s_delay_alu instid0(VALU_DEP_1) | instskip(NEXT) | instid1(VALU_DEP_1)
	v_min_u32_e32 v1, 32, v1
	v_subrev_nc_u32_e32 v2, 28, v1
	v_sub_nc_u32_e32 v1, 29, v1
	s_delay_alu instid0(VALU_DEP_2) | instskip(NEXT) | instid1(VALU_DEP_1)
	v_lshlrev_b64 v[2:3], v2, v[19:20]
	v_and_b32_e32 v35, 7, v2
; %bb.2073:                             ;   in Loop: Header=BB450_13 Depth=1
	s_or_b32 exec_lo, exec_lo, s25
	v_lshlrev_b32_e32 v0, 24, v0
	s_delay_alu instid0(VALU_DEP_2) | instskip(SKIP_1) | instid1(VALU_DEP_3)
	v_lshlrev_b32_e32 v2, 20, v35
	v_lshl_add_u32 v1, v1, 23, 0x3c000000
	v_and_b32_e32 v0, 0x80000000, v0
	s_delay_alu instid0(VALU_DEP_1)
	v_or3_b32 v1, v2, v0, v1
.LBB450_2074:                           ;   in Loop: Header=BB450_13 Depth=1
	s_or_b32 exec_lo, exec_lo, s24
.LBB450_2075:                           ;   in Loop: Header=BB450_13 Depth=1
	s_delay_alu instid0(SALU_CYCLE_1)
	s_or_b32 exec_lo, exec_lo, s23
.LBB450_2076:                           ;   in Loop: Header=BB450_13 Depth=1
	s_delay_alu instid0(SALU_CYCLE_1) | instskip(NEXT) | instid1(VALU_DEP_1)
	s_or_b32 exec_lo, exec_lo, s22
	v_mul_f32_e32 v0, v121, v1
                                        ; implicit-def: $vgpr24
	s_delay_alu instid0(VALU_DEP_1) | instskip(NEXT) | instid1(VALU_DEP_1)
	v_and_b32_e32 v1, 0x7f800000, v0
	v_cmp_ne_u32_e64 s2, 0x7f800000, v1
	s_delay_alu instid0(VALU_DEP_1) | instskip(NEXT) | instid1(SALU_CYCLE_1)
	s_and_saveexec_b32 s22, s2
	s_xor_b32 s2, exec_lo, s22
; %bb.2077:                             ;   in Loop: Header=BB450_13 Depth=1
	v_bfe_u32 v1, v0, 16, 1
	s_delay_alu instid0(VALU_DEP_1)
	v_add3_u32 v24, v0, v1, 0x7fff
                                        ; implicit-def: $vgpr0
; %bb.2078:                             ;   in Loop: Header=BB450_13 Depth=1
	s_and_not1_saveexec_b32 s22, s2
; %bb.2079:                             ;   in Loop: Header=BB450_13 Depth=1
	v_and_b32_e32 v1, 0xffff, v0
	v_or_b32_e32 v2, 0x10000, v0
	s_delay_alu instid0(VALU_DEP_2) | instskip(NEXT) | instid1(VALU_DEP_1)
	v_cmp_eq_u32_e64 s2, 0, v1
	v_cndmask_b32_e64 v24, v2, v0, s2
; %bb.2080:                             ;   in Loop: Header=BB450_13 Depth=1
	s_or_b32 exec_lo, exec_lo, s22
	v_dual_mov_b32 v0, 0 :: v_dual_and_b32 v1, 0xff, v34
	v_mov_b32_e32 v19, v34
	s_mov_b32 s22, exec_lo
	s_delay_alu instid0(VALU_DEP_2)
	v_cmpx_ne_u16_e32 0, v1
	s_cbranch_execz .LBB450_2088
; %bb.2081:                             ;   in Loop: Header=BB450_13 Depth=1
	v_bfrev_b32_e32 v0, 1
	s_mov_b32 s23, exec_lo
	v_cmpx_ne_u16_e32 0x80, v1
	s_cbranch_execz .LBB450_2087
; %bb.2082:                             ;   in Loop: Header=BB450_13 Depth=1
	v_and_b32_e32 v1, 0x7f, v34
	v_mov_b32_e32 v0, 0x7f800001
	s_mov_b32 s24, exec_lo
	s_delay_alu instid0(VALU_DEP_2)
	v_cmpx_ne_u32_e32 0x7f, v1
	s_cbranch_execz .LBB450_2086
; %bb.2083:                             ;   in Loop: Header=BB450_13 Depth=1
	v_dual_mov_b32 v36, v20 :: v_dual_mov_b32 v35, v19
	v_lshrrev_b32_e32 v0, 3, v1
	s_mov_b32 s25, exec_lo
	v_cmpx_gt_u32_e32 8, v1
; %bb.2084:                             ;   in Loop: Header=BB450_13 Depth=1
	v_and_b32_e32 v0, 7, v34
	s_delay_alu instid0(VALU_DEP_1) | instskip(NEXT) | instid1(VALU_DEP_1)
	v_clz_i32_u32_e32 v0, v0
	v_min_u32_e32 v0, 32, v0
	s_delay_alu instid0(VALU_DEP_1) | instskip(SKIP_1) | instid1(VALU_DEP_2)
	v_subrev_nc_u32_e32 v1, 28, v0
	v_sub_nc_u32_e32 v0, 29, v0
	v_lshlrev_b64 v[35:36], v1, v[19:20]
; %bb.2085:                             ;   in Loop: Header=BB450_13 Depth=1
	s_or_b32 exec_lo, exec_lo, s25
	s_delay_alu instid0(VALU_DEP_1) | instskip(SKIP_2) | instid1(VALU_DEP_3)
	v_lshlrev_b32_e32 v1, 20, v35
	v_lshlrev_b32_e32 v2, 24, v19
	v_lshl_add_u32 v0, v0, 23, 0x3c000000
	v_and_b32_e32 v1, 0x700000, v1
	s_delay_alu instid0(VALU_DEP_3) | instskip(NEXT) | instid1(VALU_DEP_1)
	v_and_b32_e32 v2, 0x80000000, v2
	v_or3_b32 v0, v1, v2, v0
.LBB450_2086:                           ;   in Loop: Header=BB450_13 Depth=1
	s_or_b32 exec_lo, exec_lo, s24
.LBB450_2087:                           ;   in Loop: Header=BB450_13 Depth=1
	s_delay_alu instid0(SALU_CYCLE_1)
	s_or_b32 exec_lo, exec_lo, s23
.LBB450_2088:                           ;   in Loop: Header=BB450_13 Depth=1
	s_delay_alu instid0(SALU_CYCLE_1) | instskip(NEXT) | instid1(VALU_DEP_1)
	s_or_b32 exec_lo, exec_lo, s22
	v_mul_f32_e32 v0, v121, v0
                                        ; implicit-def: $vgpr120
	s_delay_alu instid0(VALU_DEP_1) | instskip(NEXT) | instid1(VALU_DEP_1)
	v_and_b32_e32 v1, 0x7f800000, v0
	v_cmp_ne_u32_e64 s2, 0x7f800000, v1
	s_delay_alu instid0(VALU_DEP_1) | instskip(NEXT) | instid1(SALU_CYCLE_1)
	s_and_saveexec_b32 s22, s2
	s_xor_b32 s2, exec_lo, s22
; %bb.2089:                             ;   in Loop: Header=BB450_13 Depth=1
	v_bfe_u32 v1, v0, 16, 1
	s_delay_alu instid0(VALU_DEP_1)
	v_add3_u32 v120, v0, v1, 0x7fff
                                        ; implicit-def: $vgpr0
; %bb.2090:                             ;   in Loop: Header=BB450_13 Depth=1
	s_and_not1_saveexec_b32 s22, s2
; %bb.2091:                             ;   in Loop: Header=BB450_13 Depth=1
	v_and_b32_e32 v1, 0xffff, v0
	v_or_b32_e32 v2, 0x10000, v0
	s_delay_alu instid0(VALU_DEP_2) | instskip(NEXT) | instid1(VALU_DEP_1)
	v_cmp_eq_u32_e64 s2, 0, v1
	v_cndmask_b32_e64 v120, v2, v0, s2
; %bb.2092:                             ;   in Loop: Header=BB450_13 Depth=1
	s_or_b32 exec_lo, exec_lo, s22
	v_lshrrev_b16 v1, 8, v19
	v_mov_b32_e32 v0, 0
	s_mov_b32 s22, exec_lo
	s_delay_alu instid0(VALU_DEP_2)
	v_cmpx_ne_u16_e32 0, v1
	s_cbranch_execz .LBB450_2100
; %bb.2093:                             ;   in Loop: Header=BB450_13 Depth=1
	v_bfrev_b32_e32 v0, 1
	s_mov_b32 s23, exec_lo
	v_cmpx_ne_u16_e32 0x80, v1
	s_cbranch_execz .LBB450_2099
; %bb.2094:                             ;   in Loop: Header=BB450_13 Depth=1
	v_and_b32_e32 v2, 0xffff, v1
	v_mov_b32_e32 v0, 0x7f800001
	s_mov_b32 s24, exec_lo
	s_delay_alu instid0(VALU_DEP_2) | instskip(NEXT) | instid1(VALU_DEP_1)
	v_and_b32_e32 v1, 0x7f, v2
	v_cmpx_ne_u32_e32 0x7f, v1
	s_cbranch_execz .LBB450_2098
; %bb.2095:                             ;   in Loop: Header=BB450_13 Depth=1
	v_dual_mov_b32 v36, v20 :: v_dual_and_b32 v35, 7, v2
	v_lshrrev_b32_e32 v0, 3, v1
	s_mov_b32 s25, exec_lo
	v_cmpx_gt_u32_e32 8, v1
; %bb.2096:                             ;   in Loop: Header=BB450_13 Depth=1
	s_delay_alu instid0(VALU_DEP_3) | instskip(NEXT) | instid1(VALU_DEP_1)
	v_clz_i32_u32_e32 v0, v35
	v_min_u32_e32 v0, 32, v0
	s_delay_alu instid0(VALU_DEP_1) | instskip(SKIP_1) | instid1(VALU_DEP_2)
	v_subrev_nc_u32_e32 v1, 28, v0
	v_sub_nc_u32_e32 v0, 29, v0
	v_lshlrev_b64 v[1:2], v1, v[35:36]
	s_delay_alu instid0(VALU_DEP_1)
	v_and_b32_e32 v35, 7, v1
; %bb.2097:                             ;   in Loop: Header=BB450_13 Depth=1
	s_or_b32 exec_lo, exec_lo, s25
	v_lshlrev_b32_e32 v1, 16, v19
	s_delay_alu instid0(VALU_DEP_2) | instskip(SKIP_1) | instid1(VALU_DEP_3)
	v_lshlrev_b32_e32 v2, 20, v35
	v_lshl_add_u32 v0, v0, 23, 0x3c000000
	v_and_b32_e32 v1, 0x80000000, v1
	s_delay_alu instid0(VALU_DEP_1)
	v_or3_b32 v0, v2, v1, v0
.LBB450_2098:                           ;   in Loop: Header=BB450_13 Depth=1
	s_or_b32 exec_lo, exec_lo, s24
.LBB450_2099:                           ;   in Loop: Header=BB450_13 Depth=1
	s_delay_alu instid0(SALU_CYCLE_1)
	s_or_b32 exec_lo, exec_lo, s23
.LBB450_2100:                           ;   in Loop: Header=BB450_13 Depth=1
	s_delay_alu instid0(SALU_CYCLE_1) | instskip(NEXT) | instid1(VALU_DEP_1)
	s_or_b32 exec_lo, exec_lo, s22
	v_mul_f32_e32 v0, v121, v0
                                        ; implicit-def: $vgpr122
	s_delay_alu instid0(VALU_DEP_1) | instskip(NEXT) | instid1(VALU_DEP_1)
	v_and_b32_e32 v1, 0x7f800000, v0
	v_cmp_ne_u32_e64 s2, 0x7f800000, v1
	s_delay_alu instid0(VALU_DEP_1) | instskip(NEXT) | instid1(SALU_CYCLE_1)
	s_and_saveexec_b32 s22, s2
	s_xor_b32 s2, exec_lo, s22
; %bb.2101:                             ;   in Loop: Header=BB450_13 Depth=1
	v_bfe_u32 v1, v0, 16, 1
	s_delay_alu instid0(VALU_DEP_1)
	v_add3_u32 v122, v0, v1, 0x7fff
                                        ; implicit-def: $vgpr0
; %bb.2102:                             ;   in Loop: Header=BB450_13 Depth=1
	s_and_not1_saveexec_b32 s22, s2
; %bb.2103:                             ;   in Loop: Header=BB450_13 Depth=1
	v_and_b32_e32 v1, 0xffff, v0
	v_or_b32_e32 v2, 0x10000, v0
	s_delay_alu instid0(VALU_DEP_2) | instskip(NEXT) | instid1(VALU_DEP_1)
	v_cmp_eq_u32_e64 s2, 0, v1
	v_cndmask_b32_e64 v122, v2, v0, s2
; %bb.2104:                             ;   in Loop: Header=BB450_13 Depth=1
	s_or_b32 exec_lo, exec_lo, s22
	v_lshrrev_b32_e32 v0, 16, v34
	s_mov_b32 s22, exec_lo
	s_delay_alu instid0(VALU_DEP_1) | instskip(NEXT) | instid1(VALU_DEP_1)
	v_dual_mov_b32 v1, 0 :: v_dual_and_b32 v2, 0xff, v0
	v_cmpx_ne_u16_e32 0, v2
	s_cbranch_execz .LBB450_2112
; %bb.2105:                             ;   in Loop: Header=BB450_13 Depth=1
	v_bfrev_b32_e32 v1, 1
	s_mov_b32 s23, exec_lo
	v_cmpx_ne_u16_e32 0x80, v2
	s_cbranch_execz .LBB450_2111
; %bb.2106:                             ;   in Loop: Header=BB450_13 Depth=1
	v_bfe_u32 v2, v34, 16, 7
	v_mov_b32_e32 v1, 0x7f800001
	s_mov_b32 s24, exec_lo
	s_delay_alu instid0(VALU_DEP_2)
	v_cmpx_ne_u32_e32 0x7f, v2
	s_cbranch_execz .LBB450_2110
; %bb.2107:                             ;   in Loop: Header=BB450_13 Depth=1
	v_and_b32_e32 v19, 7, v0
	v_mov_b32_e32 v36, v20
	v_lshrrev_b32_e32 v1, 3, v2
	s_mov_b32 s25, exec_lo
	s_delay_alu instid0(VALU_DEP_3)
	v_mov_b32_e32 v35, v19
	v_cmpx_gt_u32_e32 8, v2
; %bb.2108:                             ;   in Loop: Header=BB450_13 Depth=1
	v_clz_i32_u32_e32 v1, v19
	s_delay_alu instid0(VALU_DEP_1) | instskip(NEXT) | instid1(VALU_DEP_1)
	v_min_u32_e32 v1, 32, v1
	v_subrev_nc_u32_e32 v2, 28, v1
	v_sub_nc_u32_e32 v1, 29, v1
	s_delay_alu instid0(VALU_DEP_2) | instskip(NEXT) | instid1(VALU_DEP_1)
	v_lshlrev_b64 v[2:3], v2, v[19:20]
	v_and_b32_e32 v35, 7, v2
; %bb.2109:                             ;   in Loop: Header=BB450_13 Depth=1
	s_or_b32 exec_lo, exec_lo, s25
	v_lshlrev_b32_e32 v0, 24, v0
	s_delay_alu instid0(VALU_DEP_2) | instskip(SKIP_1) | instid1(VALU_DEP_3)
	v_lshlrev_b32_e32 v2, 20, v35
	v_lshl_add_u32 v1, v1, 23, 0x3c000000
	v_and_b32_e32 v0, 0x80000000, v0
	s_delay_alu instid0(VALU_DEP_1)
	v_or3_b32 v1, v2, v0, v1
.LBB450_2110:                           ;   in Loop: Header=BB450_13 Depth=1
	s_or_b32 exec_lo, exec_lo, s24
.LBB450_2111:                           ;   in Loop: Header=BB450_13 Depth=1
	s_delay_alu instid0(SALU_CYCLE_1)
	s_or_b32 exec_lo, exec_lo, s23
.LBB450_2112:                           ;   in Loop: Header=BB450_13 Depth=1
	s_delay_alu instid0(SALU_CYCLE_1) | instskip(NEXT) | instid1(VALU_DEP_1)
	s_or_b32 exec_lo, exec_lo, s22
	v_mul_f32_e32 v0, v121, v1
                                        ; implicit-def: $vgpr123
	s_delay_alu instid0(VALU_DEP_1) | instskip(NEXT) | instid1(VALU_DEP_1)
	v_and_b32_e32 v1, 0x7f800000, v0
	v_cmp_ne_u32_e64 s2, 0x7f800000, v1
	s_delay_alu instid0(VALU_DEP_1) | instskip(NEXT) | instid1(SALU_CYCLE_1)
	s_and_saveexec_b32 s22, s2
	s_xor_b32 s2, exec_lo, s22
; %bb.2113:                             ;   in Loop: Header=BB450_13 Depth=1
	v_bfe_u32 v1, v0, 16, 1
	s_delay_alu instid0(VALU_DEP_1)
	v_add3_u32 v123, v0, v1, 0x7fff
                                        ; implicit-def: $vgpr0
; %bb.2114:                             ;   in Loop: Header=BB450_13 Depth=1
	s_and_not1_saveexec_b32 s22, s2
; %bb.2115:                             ;   in Loop: Header=BB450_13 Depth=1
	v_and_b32_e32 v1, 0xffff, v0
	v_or_b32_e32 v2, 0x10000, v0
	s_delay_alu instid0(VALU_DEP_2) | instskip(NEXT) | instid1(VALU_DEP_1)
	v_cmp_eq_u32_e64 s2, 0, v1
	v_cndmask_b32_e64 v123, v2, v0, s2
; %bb.2116:                             ;   in Loop: Header=BB450_13 Depth=1
	s_or_b32 exec_lo, exec_lo, s22
	v_mov_b32_e32 v1, 0
	s_mov_b32 s22, exec_lo
	v_cmpx_lt_u64_e64 s[8:9], v[33:34]
	s_cbranch_execz .LBB450_2124
; %bb.2117:                             ;   in Loop: Header=BB450_13 Depth=1
	v_lshrrev_b32_e32 v0, 24, v34
	v_bfrev_b32_e32 v1, 1
	s_mov_b32 s23, exec_lo
	s_delay_alu instid0(VALU_DEP_2)
	v_cmpx_ne_u32_e32 0x80, v0
	s_cbranch_execz .LBB450_2123
; %bb.2118:                             ;   in Loop: Header=BB450_13 Depth=1
	v_bfe_u32 v2, v34, 24, 7
	v_mov_b32_e32 v1, 0x7f800001
	s_mov_b32 s24, exec_lo
	s_delay_alu instid0(VALU_DEP_2)
	v_cmpx_ne_u32_e32 0x7f, v2
	s_cbranch_execz .LBB450_2122
; %bb.2119:                             ;   in Loop: Header=BB450_13 Depth=1
	v_and_b32_e32 v19, 7, v0
	v_mov_b32_e32 v34, v20
	v_lshrrev_b32_e32 v1, 3, v2
	s_mov_b32 s25, exec_lo
	s_delay_alu instid0(VALU_DEP_3)
	v_mov_b32_e32 v33, v19
	v_cmpx_gt_u32_e32 8, v2
; %bb.2120:                             ;   in Loop: Header=BB450_13 Depth=1
	v_clz_i32_u32_e32 v1, v19
	s_delay_alu instid0(VALU_DEP_1) | instskip(NEXT) | instid1(VALU_DEP_1)
	v_min_u32_e32 v1, 32, v1
	v_subrev_nc_u32_e32 v2, 28, v1
	v_sub_nc_u32_e32 v1, 29, v1
	s_delay_alu instid0(VALU_DEP_2) | instskip(NEXT) | instid1(VALU_DEP_1)
	v_lshlrev_b64 v[2:3], v2, v[19:20]
	v_and_b32_e32 v33, 7, v2
; %bb.2121:                             ;   in Loop: Header=BB450_13 Depth=1
	s_or_b32 exec_lo, exec_lo, s25
	v_lshlrev_b32_e32 v0, 24, v0
	s_delay_alu instid0(VALU_DEP_2) | instskip(SKIP_1) | instid1(VALU_DEP_3)
	v_lshlrev_b32_e32 v2, 20, v33
	v_lshl_add_u32 v1, v1, 23, 0x3c000000
	v_and_b32_e32 v0, 0x80000000, v0
	s_delay_alu instid0(VALU_DEP_1)
	v_or3_b32 v1, v2, v0, v1
.LBB450_2122:                           ;   in Loop: Header=BB450_13 Depth=1
	s_or_b32 exec_lo, exec_lo, s24
.LBB450_2123:                           ;   in Loop: Header=BB450_13 Depth=1
	s_delay_alu instid0(SALU_CYCLE_1)
	s_or_b32 exec_lo, exec_lo, s23
.LBB450_2124:                           ;   in Loop: Header=BB450_13 Depth=1
	s_delay_alu instid0(SALU_CYCLE_1) | instskip(NEXT) | instid1(VALU_DEP_1)
	s_or_b32 exec_lo, exec_lo, s22
	v_mul_f32_e32 v0, v121, v1
                                        ; implicit-def: $vgpr124
	s_delay_alu instid0(VALU_DEP_1) | instskip(NEXT) | instid1(VALU_DEP_1)
	v_and_b32_e32 v1, 0x7f800000, v0
	v_cmp_ne_u32_e64 s2, 0x7f800000, v1
	s_delay_alu instid0(VALU_DEP_1) | instskip(NEXT) | instid1(SALU_CYCLE_1)
	s_and_saveexec_b32 s22, s2
	s_xor_b32 s2, exec_lo, s22
; %bb.2125:                             ;   in Loop: Header=BB450_13 Depth=1
	v_bfe_u32 v1, v0, 16, 1
	s_delay_alu instid0(VALU_DEP_1)
	v_add3_u32 v124, v0, v1, 0x7fff
                                        ; implicit-def: $vgpr0
; %bb.2126:                             ;   in Loop: Header=BB450_13 Depth=1
	s_and_not1_saveexec_b32 s22, s2
; %bb.2127:                             ;   in Loop: Header=BB450_13 Depth=1
	v_and_b32_e32 v1, 0xffff, v0
	v_or_b32_e32 v2, 0x10000, v0
	s_delay_alu instid0(VALU_DEP_2) | instskip(NEXT) | instid1(VALU_DEP_1)
	v_cmp_eq_u32_e64 s2, 0, v1
	v_cndmask_b32_e64 v124, v2, v0, s2
; %bb.2128:                             ;   in Loop: Header=BB450_13 Depth=1
	s_or_b32 exec_lo, exec_lo, s22
	flat_load_b64 v[33:34], v[31:32] offset:1536
	s_mov_b32 s22, exec_lo
	s_waitcnt vmcnt(0) lgkmcnt(0)
	v_dual_mov_b32 v0, 0 :: v_dual_and_b32 v1, 0xff, v33
	s_delay_alu instid0(VALU_DEP_1)
	v_cmpx_ne_u16_e32 0, v1
	s_cbranch_execz .LBB450_2136
; %bb.2129:                             ;   in Loop: Header=BB450_13 Depth=1
	v_bfrev_b32_e32 v0, 1
	s_mov_b32 s23, exec_lo
	v_cmpx_ne_u16_e32 0x80, v1
	s_cbranch_execz .LBB450_2135
; %bb.2130:                             ;   in Loop: Header=BB450_13 Depth=1
	v_and_b32_e32 v1, 0x7f, v33
	v_mov_b32_e32 v0, 0x7f800001
	s_mov_b32 s24, exec_lo
	s_delay_alu instid0(VALU_DEP_2)
	v_cmpx_ne_u32_e32 0x7f, v1
	s_cbranch_execz .LBB450_2134
; %bb.2131:                             ;   in Loop: Header=BB450_13 Depth=1
	v_lshrrev_b32_e32 v0, 3, v1
	v_dual_mov_b32 v36, v34 :: v_dual_mov_b32 v35, v33
	s_mov_b32 s25, exec_lo
	v_cmpx_gt_u32_e32 8, v1
; %bb.2132:                             ;   in Loop: Header=BB450_13 Depth=1
	v_and_b32_e32 v0, 7, v33
	s_delay_alu instid0(VALU_DEP_1) | instskip(NEXT) | instid1(VALU_DEP_1)
	v_clz_i32_u32_e32 v0, v0
	v_min_u32_e32 v0, 32, v0
	s_delay_alu instid0(VALU_DEP_1) | instskip(SKIP_1) | instid1(VALU_DEP_2)
	v_subrev_nc_u32_e32 v1, 28, v0
	v_sub_nc_u32_e32 v0, 29, v0
	v_lshlrev_b64 v[35:36], v1, v[33:34]
; %bb.2133:                             ;   in Loop: Header=BB450_13 Depth=1
	s_or_b32 exec_lo, exec_lo, s25
	s_delay_alu instid0(VALU_DEP_1) | instskip(SKIP_2) | instid1(VALU_DEP_3)
	v_lshlrev_b32_e32 v1, 20, v35
	v_lshlrev_b32_e32 v2, 24, v33
	v_lshl_add_u32 v0, v0, 23, 0x3c000000
	v_and_b32_e32 v1, 0x700000, v1
	s_delay_alu instid0(VALU_DEP_3) | instskip(NEXT) | instid1(VALU_DEP_1)
	v_and_b32_e32 v2, 0x80000000, v2
	v_or3_b32 v0, v1, v2, v0
.LBB450_2134:                           ;   in Loop: Header=BB450_13 Depth=1
	s_or_b32 exec_lo, exec_lo, s24
.LBB450_2135:                           ;   in Loop: Header=BB450_13 Depth=1
	s_delay_alu instid0(SALU_CYCLE_1)
	s_or_b32 exec_lo, exec_lo, s23
.LBB450_2136:                           ;   in Loop: Header=BB450_13 Depth=1
	s_delay_alu instid0(SALU_CYCLE_1) | instskip(NEXT) | instid1(VALU_DEP_1)
	s_or_b32 exec_lo, exec_lo, s22
	v_mul_f32_e32 v0, v121, v0
                                        ; implicit-def: $vgpr125
	s_delay_alu instid0(VALU_DEP_1) | instskip(NEXT) | instid1(VALU_DEP_1)
	v_and_b32_e32 v1, 0x7f800000, v0
	v_cmp_ne_u32_e64 s2, 0x7f800000, v1
	s_delay_alu instid0(VALU_DEP_1) | instskip(NEXT) | instid1(SALU_CYCLE_1)
	s_and_saveexec_b32 s22, s2
	s_xor_b32 s2, exec_lo, s22
; %bb.2137:                             ;   in Loop: Header=BB450_13 Depth=1
	v_bfe_u32 v1, v0, 16, 1
	s_delay_alu instid0(VALU_DEP_1)
	v_add3_u32 v125, v0, v1, 0x7fff
                                        ; implicit-def: $vgpr0
; %bb.2138:                             ;   in Loop: Header=BB450_13 Depth=1
	s_and_not1_saveexec_b32 s22, s2
; %bb.2139:                             ;   in Loop: Header=BB450_13 Depth=1
	v_and_b32_e32 v1, 0xffff, v0
	v_or_b32_e32 v2, 0x10000, v0
	s_delay_alu instid0(VALU_DEP_2) | instskip(NEXT) | instid1(VALU_DEP_1)
	v_cmp_eq_u32_e64 s2, 0, v1
	v_cndmask_b32_e64 v125, v2, v0, s2
; %bb.2140:                             ;   in Loop: Header=BB450_13 Depth=1
	s_or_b32 exec_lo, exec_lo, s22
	v_lshrrev_b16 v1, 8, v33
	v_mov_b32_e32 v0, 0
	s_mov_b32 s22, exec_lo
	s_delay_alu instid0(VALU_DEP_2)
	v_cmpx_ne_u16_e32 0, v1
	s_cbranch_execz .LBB450_2148
; %bb.2141:                             ;   in Loop: Header=BB450_13 Depth=1
	v_bfrev_b32_e32 v0, 1
	s_mov_b32 s23, exec_lo
	v_cmpx_ne_u16_e32 0x80, v1
	s_cbranch_execz .LBB450_2147
; %bb.2142:                             ;   in Loop: Header=BB450_13 Depth=1
	v_and_b32_e32 v2, 0xffff, v1
	v_mov_b32_e32 v0, 0x7f800001
	s_mov_b32 s24, exec_lo
	s_delay_alu instid0(VALU_DEP_2) | instskip(NEXT) | instid1(VALU_DEP_1)
	v_and_b32_e32 v1, 0x7f, v2
	v_cmpx_ne_u32_e32 0x7f, v1
	s_cbranch_execz .LBB450_2146
; %bb.2143:                             ;   in Loop: Header=BB450_13 Depth=1
	v_and_b32_e32 v19, 7, v2
	v_mov_b32_e32 v36, v20
	v_lshrrev_b32_e32 v0, 3, v1
	s_mov_b32 s25, exec_lo
	s_delay_alu instid0(VALU_DEP_3)
	v_mov_b32_e32 v35, v19
	v_cmpx_gt_u32_e32 8, v1
; %bb.2144:                             ;   in Loop: Header=BB450_13 Depth=1
	v_clz_i32_u32_e32 v0, v19
	s_delay_alu instid0(VALU_DEP_1) | instskip(NEXT) | instid1(VALU_DEP_1)
	v_min_u32_e32 v0, 32, v0
	v_subrev_nc_u32_e32 v1, 28, v0
	v_sub_nc_u32_e32 v0, 29, v0
	s_delay_alu instid0(VALU_DEP_2) | instskip(NEXT) | instid1(VALU_DEP_1)
	v_lshlrev_b64 v[1:2], v1, v[19:20]
	v_and_b32_e32 v35, 7, v1
; %bb.2145:                             ;   in Loop: Header=BB450_13 Depth=1
	s_or_b32 exec_lo, exec_lo, s25
	v_lshlrev_b32_e32 v1, 16, v33
	s_delay_alu instid0(VALU_DEP_2) | instskip(SKIP_1) | instid1(VALU_DEP_3)
	v_lshlrev_b32_e32 v2, 20, v35
	v_lshl_add_u32 v0, v0, 23, 0x3c000000
	v_and_b32_e32 v1, 0x80000000, v1
	s_delay_alu instid0(VALU_DEP_1)
	v_or3_b32 v0, v2, v1, v0
.LBB450_2146:                           ;   in Loop: Header=BB450_13 Depth=1
	s_or_b32 exec_lo, exec_lo, s24
.LBB450_2147:                           ;   in Loop: Header=BB450_13 Depth=1
	s_delay_alu instid0(SALU_CYCLE_1)
	s_or_b32 exec_lo, exec_lo, s23
.LBB450_2148:                           ;   in Loop: Header=BB450_13 Depth=1
	s_delay_alu instid0(SALU_CYCLE_1) | instskip(NEXT) | instid1(VALU_DEP_1)
	s_or_b32 exec_lo, exec_lo, s22
	v_mul_f32_e32 v0, v121, v0
                                        ; implicit-def: $vgpr126
	s_delay_alu instid0(VALU_DEP_1) | instskip(NEXT) | instid1(VALU_DEP_1)
	v_and_b32_e32 v1, 0x7f800000, v0
	v_cmp_ne_u32_e64 s2, 0x7f800000, v1
	s_delay_alu instid0(VALU_DEP_1) | instskip(NEXT) | instid1(SALU_CYCLE_1)
	s_and_saveexec_b32 s22, s2
	s_xor_b32 s2, exec_lo, s22
; %bb.2149:                             ;   in Loop: Header=BB450_13 Depth=1
	v_bfe_u32 v1, v0, 16, 1
	s_delay_alu instid0(VALU_DEP_1)
	v_add3_u32 v126, v0, v1, 0x7fff
                                        ; implicit-def: $vgpr0
; %bb.2150:                             ;   in Loop: Header=BB450_13 Depth=1
	s_and_not1_saveexec_b32 s22, s2
; %bb.2151:                             ;   in Loop: Header=BB450_13 Depth=1
	v_and_b32_e32 v1, 0xffff, v0
	v_or_b32_e32 v2, 0x10000, v0
	s_delay_alu instid0(VALU_DEP_2) | instskip(NEXT) | instid1(VALU_DEP_1)
	v_cmp_eq_u32_e64 s2, 0, v1
	v_cndmask_b32_e64 v126, v2, v0, s2
; %bb.2152:                             ;   in Loop: Header=BB450_13 Depth=1
	s_or_b32 exec_lo, exec_lo, s22
	v_lshrrev_b32_e32 v0, 16, v33
	s_mov_b32 s22, exec_lo
	s_delay_alu instid0(VALU_DEP_1) | instskip(NEXT) | instid1(VALU_DEP_1)
	v_dual_mov_b32 v1, 0 :: v_dual_and_b32 v2, 0xff, v0
	v_cmpx_ne_u16_e32 0, v2
	s_cbranch_execz .LBB450_2160
; %bb.2153:                             ;   in Loop: Header=BB450_13 Depth=1
	v_bfrev_b32_e32 v1, 1
	s_mov_b32 s23, exec_lo
	v_cmpx_ne_u16_e32 0x80, v2
	s_cbranch_execz .LBB450_2159
; %bb.2154:                             ;   in Loop: Header=BB450_13 Depth=1
	v_bfe_u32 v2, v33, 16, 7
	v_mov_b32_e32 v1, 0x7f800001
	s_mov_b32 s24, exec_lo
	s_delay_alu instid0(VALU_DEP_2)
	v_cmpx_ne_u32_e32 0x7f, v2
	s_cbranch_execz .LBB450_2158
; %bb.2155:                             ;   in Loop: Header=BB450_13 Depth=1
	v_and_b32_e32 v19, 7, v0
	v_mov_b32_e32 v36, v20
	v_lshrrev_b32_e32 v1, 3, v2
	s_mov_b32 s25, exec_lo
	s_delay_alu instid0(VALU_DEP_3)
	v_mov_b32_e32 v35, v19
	v_cmpx_gt_u32_e32 8, v2
; %bb.2156:                             ;   in Loop: Header=BB450_13 Depth=1
	v_clz_i32_u32_e32 v1, v19
	s_delay_alu instid0(VALU_DEP_1) | instskip(NEXT) | instid1(VALU_DEP_1)
	v_min_u32_e32 v1, 32, v1
	v_subrev_nc_u32_e32 v2, 28, v1
	v_sub_nc_u32_e32 v1, 29, v1
	s_delay_alu instid0(VALU_DEP_2) | instskip(NEXT) | instid1(VALU_DEP_1)
	v_lshlrev_b64 v[2:3], v2, v[19:20]
	v_and_b32_e32 v35, 7, v2
; %bb.2157:                             ;   in Loop: Header=BB450_13 Depth=1
	s_or_b32 exec_lo, exec_lo, s25
	v_lshlrev_b32_e32 v0, 24, v0
	s_delay_alu instid0(VALU_DEP_2) | instskip(SKIP_1) | instid1(VALU_DEP_3)
	v_lshlrev_b32_e32 v2, 20, v35
	v_lshl_add_u32 v1, v1, 23, 0x3c000000
	v_and_b32_e32 v0, 0x80000000, v0
	s_delay_alu instid0(VALU_DEP_1)
	v_or3_b32 v1, v2, v0, v1
.LBB450_2158:                           ;   in Loop: Header=BB450_13 Depth=1
	s_or_b32 exec_lo, exec_lo, s24
.LBB450_2159:                           ;   in Loop: Header=BB450_13 Depth=1
	s_delay_alu instid0(SALU_CYCLE_1)
	s_or_b32 exec_lo, exec_lo, s23
.LBB450_2160:                           ;   in Loop: Header=BB450_13 Depth=1
	s_delay_alu instid0(SALU_CYCLE_1) | instskip(NEXT) | instid1(VALU_DEP_1)
	s_or_b32 exec_lo, exec_lo, s22
	v_mul_f32_e32 v0, v121, v1
                                        ; implicit-def: $vgpr127
	s_delay_alu instid0(VALU_DEP_1) | instskip(NEXT) | instid1(VALU_DEP_1)
	v_and_b32_e32 v1, 0x7f800000, v0
	v_cmp_ne_u32_e64 s2, 0x7f800000, v1
	s_delay_alu instid0(VALU_DEP_1) | instskip(NEXT) | instid1(SALU_CYCLE_1)
	s_and_saveexec_b32 s22, s2
	s_xor_b32 s2, exec_lo, s22
; %bb.2161:                             ;   in Loop: Header=BB450_13 Depth=1
	v_bfe_u32 v1, v0, 16, 1
	s_delay_alu instid0(VALU_DEP_1)
	v_add3_u32 v127, v0, v1, 0x7fff
                                        ; implicit-def: $vgpr0
; %bb.2162:                             ;   in Loop: Header=BB450_13 Depth=1
	s_and_not1_saveexec_b32 s22, s2
; %bb.2163:                             ;   in Loop: Header=BB450_13 Depth=1
	v_and_b32_e32 v1, 0xffff, v0
	v_or_b32_e32 v2, 0x10000, v0
	s_delay_alu instid0(VALU_DEP_2) | instskip(NEXT) | instid1(VALU_DEP_1)
	v_cmp_eq_u32_e64 s2, 0, v1
	v_cndmask_b32_e64 v127, v2, v0, s2
; %bb.2164:                             ;   in Loop: Header=BB450_13 Depth=1
	s_or_b32 exec_lo, exec_lo, s22
	v_mov_b32_e32 v1, 0
	s_mov_b32 s22, exec_lo
	v_cmpx_lt_u32_e32 0xffffff, v33
	s_cbranch_execz .LBB450_2172
; %bb.2165:                             ;   in Loop: Header=BB450_13 Depth=1
	v_lshrrev_b32_e32 v0, 24, v33
	v_bfrev_b32_e32 v1, 1
	s_mov_b32 s23, exec_lo
	s_delay_alu instid0(VALU_DEP_2)
	v_cmpx_ne_u32_e32 0x80, v0
	s_cbranch_execz .LBB450_2171
; %bb.2166:                             ;   in Loop: Header=BB450_13 Depth=1
	v_bfe_u32 v2, v33, 24, 7
	v_mov_b32_e32 v1, 0x7f800001
	s_mov_b32 s24, exec_lo
	s_delay_alu instid0(VALU_DEP_2)
	v_cmpx_ne_u32_e32 0x7f, v2
	s_cbranch_execz .LBB450_2170
; %bb.2167:                             ;   in Loop: Header=BB450_13 Depth=1
	v_and_b32_e32 v19, 7, v0
	v_mov_b32_e32 v36, v20
	v_lshrrev_b32_e32 v1, 3, v2
	s_mov_b32 s25, exec_lo
	s_delay_alu instid0(VALU_DEP_3)
	v_mov_b32_e32 v35, v19
	v_cmpx_gt_u32_e32 8, v2
; %bb.2168:                             ;   in Loop: Header=BB450_13 Depth=1
	v_clz_i32_u32_e32 v1, v19
	s_delay_alu instid0(VALU_DEP_1) | instskip(NEXT) | instid1(VALU_DEP_1)
	v_min_u32_e32 v1, 32, v1
	v_subrev_nc_u32_e32 v2, 28, v1
	v_sub_nc_u32_e32 v1, 29, v1
	s_delay_alu instid0(VALU_DEP_2) | instskip(NEXT) | instid1(VALU_DEP_1)
	v_lshlrev_b64 v[2:3], v2, v[19:20]
	v_and_b32_e32 v35, 7, v2
; %bb.2169:                             ;   in Loop: Header=BB450_13 Depth=1
	s_or_b32 exec_lo, exec_lo, s25
	v_lshlrev_b32_e32 v0, 24, v0
	s_delay_alu instid0(VALU_DEP_2) | instskip(SKIP_1) | instid1(VALU_DEP_3)
	v_lshlrev_b32_e32 v2, 20, v35
	v_lshl_add_u32 v1, v1, 23, 0x3c000000
	v_and_b32_e32 v0, 0x80000000, v0
	s_delay_alu instid0(VALU_DEP_1)
	v_or3_b32 v1, v2, v0, v1
.LBB450_2170:                           ;   in Loop: Header=BB450_13 Depth=1
	s_or_b32 exec_lo, exec_lo, s24
.LBB450_2171:                           ;   in Loop: Header=BB450_13 Depth=1
	s_delay_alu instid0(SALU_CYCLE_1)
	s_or_b32 exec_lo, exec_lo, s23
.LBB450_2172:                           ;   in Loop: Header=BB450_13 Depth=1
	s_delay_alu instid0(SALU_CYCLE_1) | instskip(NEXT) | instid1(VALU_DEP_1)
	s_or_b32 exec_lo, exec_lo, s22
	v_mul_f32_e32 v0, v121, v1
                                        ; implicit-def: $vgpr136
	s_delay_alu instid0(VALU_DEP_1) | instskip(NEXT) | instid1(VALU_DEP_1)
	v_and_b32_e32 v1, 0x7f800000, v0
	v_cmp_ne_u32_e64 s2, 0x7f800000, v1
	s_delay_alu instid0(VALU_DEP_1) | instskip(NEXT) | instid1(SALU_CYCLE_1)
	s_and_saveexec_b32 s22, s2
	s_xor_b32 s2, exec_lo, s22
; %bb.2173:                             ;   in Loop: Header=BB450_13 Depth=1
	v_bfe_u32 v1, v0, 16, 1
	s_delay_alu instid0(VALU_DEP_1)
	v_add3_u32 v136, v0, v1, 0x7fff
                                        ; implicit-def: $vgpr0
; %bb.2174:                             ;   in Loop: Header=BB450_13 Depth=1
	s_and_not1_saveexec_b32 s22, s2
; %bb.2175:                             ;   in Loop: Header=BB450_13 Depth=1
	v_and_b32_e32 v1, 0xffff, v0
	v_or_b32_e32 v2, 0x10000, v0
	s_delay_alu instid0(VALU_DEP_2) | instskip(NEXT) | instid1(VALU_DEP_1)
	v_cmp_eq_u32_e64 s2, 0, v1
	v_cndmask_b32_e64 v136, v2, v0, s2
; %bb.2176:                             ;   in Loop: Header=BB450_13 Depth=1
	s_or_b32 exec_lo, exec_lo, s22
	v_dual_mov_b32 v0, 0 :: v_dual_and_b32 v1, 0xff, v34
	v_mov_b32_e32 v19, v34
	s_mov_b32 s22, exec_lo
	s_delay_alu instid0(VALU_DEP_2)
	v_cmpx_ne_u16_e32 0, v1
	s_cbranch_execz .LBB450_2184
; %bb.2177:                             ;   in Loop: Header=BB450_13 Depth=1
	v_bfrev_b32_e32 v0, 1
	s_mov_b32 s23, exec_lo
	v_cmpx_ne_u16_e32 0x80, v1
	s_cbranch_execz .LBB450_2183
; %bb.2178:                             ;   in Loop: Header=BB450_13 Depth=1
	v_and_b32_e32 v1, 0x7f, v34
	v_mov_b32_e32 v0, 0x7f800001
	s_mov_b32 s24, exec_lo
	s_delay_alu instid0(VALU_DEP_2)
	v_cmpx_ne_u32_e32 0x7f, v1
	s_cbranch_execz .LBB450_2182
; %bb.2179:                             ;   in Loop: Header=BB450_13 Depth=1
	v_dual_mov_b32 v36, v20 :: v_dual_mov_b32 v35, v19
	v_lshrrev_b32_e32 v0, 3, v1
	s_mov_b32 s25, exec_lo
	v_cmpx_gt_u32_e32 8, v1
; %bb.2180:                             ;   in Loop: Header=BB450_13 Depth=1
	v_and_b32_e32 v0, 7, v34
	s_delay_alu instid0(VALU_DEP_1) | instskip(NEXT) | instid1(VALU_DEP_1)
	v_clz_i32_u32_e32 v0, v0
	v_min_u32_e32 v0, 32, v0
	s_delay_alu instid0(VALU_DEP_1) | instskip(SKIP_1) | instid1(VALU_DEP_2)
	v_subrev_nc_u32_e32 v1, 28, v0
	v_sub_nc_u32_e32 v0, 29, v0
	v_lshlrev_b64 v[35:36], v1, v[19:20]
; %bb.2181:                             ;   in Loop: Header=BB450_13 Depth=1
	s_or_b32 exec_lo, exec_lo, s25
	s_delay_alu instid0(VALU_DEP_1) | instskip(SKIP_2) | instid1(VALU_DEP_3)
	v_lshlrev_b32_e32 v1, 20, v35
	v_lshlrev_b32_e32 v2, 24, v19
	v_lshl_add_u32 v0, v0, 23, 0x3c000000
	v_and_b32_e32 v1, 0x700000, v1
	s_delay_alu instid0(VALU_DEP_3) | instskip(NEXT) | instid1(VALU_DEP_1)
	v_and_b32_e32 v2, 0x80000000, v2
	v_or3_b32 v0, v1, v2, v0
.LBB450_2182:                           ;   in Loop: Header=BB450_13 Depth=1
	s_or_b32 exec_lo, exec_lo, s24
.LBB450_2183:                           ;   in Loop: Header=BB450_13 Depth=1
	s_delay_alu instid0(SALU_CYCLE_1)
	s_or_b32 exec_lo, exec_lo, s23
.LBB450_2184:                           ;   in Loop: Header=BB450_13 Depth=1
	s_delay_alu instid0(SALU_CYCLE_1) | instskip(NEXT) | instid1(VALU_DEP_1)
	s_or_b32 exec_lo, exec_lo, s22
	v_mul_f32_e32 v0, v121, v0
                                        ; implicit-def: $vgpr137
	s_delay_alu instid0(VALU_DEP_1) | instskip(NEXT) | instid1(VALU_DEP_1)
	v_and_b32_e32 v1, 0x7f800000, v0
	v_cmp_ne_u32_e64 s2, 0x7f800000, v1
	s_delay_alu instid0(VALU_DEP_1) | instskip(NEXT) | instid1(SALU_CYCLE_1)
	s_and_saveexec_b32 s22, s2
	s_xor_b32 s2, exec_lo, s22
; %bb.2185:                             ;   in Loop: Header=BB450_13 Depth=1
	v_bfe_u32 v1, v0, 16, 1
	s_delay_alu instid0(VALU_DEP_1)
	v_add3_u32 v137, v0, v1, 0x7fff
                                        ; implicit-def: $vgpr0
; %bb.2186:                             ;   in Loop: Header=BB450_13 Depth=1
	s_and_not1_saveexec_b32 s22, s2
; %bb.2187:                             ;   in Loop: Header=BB450_13 Depth=1
	v_and_b32_e32 v1, 0xffff, v0
	v_or_b32_e32 v2, 0x10000, v0
	s_delay_alu instid0(VALU_DEP_2) | instskip(NEXT) | instid1(VALU_DEP_1)
	v_cmp_eq_u32_e64 s2, 0, v1
	v_cndmask_b32_e64 v137, v2, v0, s2
; %bb.2188:                             ;   in Loop: Header=BB450_13 Depth=1
	s_or_b32 exec_lo, exec_lo, s22
	v_lshrrev_b16 v1, 8, v19
	v_mov_b32_e32 v0, 0
	s_mov_b32 s22, exec_lo
	s_delay_alu instid0(VALU_DEP_2)
	v_cmpx_ne_u16_e32 0, v1
	s_cbranch_execz .LBB450_2196
; %bb.2189:                             ;   in Loop: Header=BB450_13 Depth=1
	v_bfrev_b32_e32 v0, 1
	s_mov_b32 s23, exec_lo
	v_cmpx_ne_u16_e32 0x80, v1
	s_cbranch_execz .LBB450_2195
; %bb.2190:                             ;   in Loop: Header=BB450_13 Depth=1
	v_and_b32_e32 v2, 0xffff, v1
	v_mov_b32_e32 v0, 0x7f800001
	s_mov_b32 s24, exec_lo
	s_delay_alu instid0(VALU_DEP_2) | instskip(NEXT) | instid1(VALU_DEP_1)
	v_and_b32_e32 v1, 0x7f, v2
	v_cmpx_ne_u32_e32 0x7f, v1
	s_cbranch_execz .LBB450_2194
; %bb.2191:                             ;   in Loop: Header=BB450_13 Depth=1
	v_dual_mov_b32 v36, v20 :: v_dual_and_b32 v35, 7, v2
	v_lshrrev_b32_e32 v0, 3, v1
	s_mov_b32 s25, exec_lo
	v_cmpx_gt_u32_e32 8, v1
; %bb.2192:                             ;   in Loop: Header=BB450_13 Depth=1
	s_delay_alu instid0(VALU_DEP_3) | instskip(NEXT) | instid1(VALU_DEP_1)
	v_clz_i32_u32_e32 v0, v35
	v_min_u32_e32 v0, 32, v0
	s_delay_alu instid0(VALU_DEP_1) | instskip(SKIP_1) | instid1(VALU_DEP_2)
	v_subrev_nc_u32_e32 v1, 28, v0
	v_sub_nc_u32_e32 v0, 29, v0
	v_lshlrev_b64 v[1:2], v1, v[35:36]
	s_delay_alu instid0(VALU_DEP_1)
	v_and_b32_e32 v35, 7, v1
; %bb.2193:                             ;   in Loop: Header=BB450_13 Depth=1
	s_or_b32 exec_lo, exec_lo, s25
	v_lshlrev_b32_e32 v1, 16, v19
	s_delay_alu instid0(VALU_DEP_2) | instskip(SKIP_1) | instid1(VALU_DEP_3)
	v_lshlrev_b32_e32 v2, 20, v35
	v_lshl_add_u32 v0, v0, 23, 0x3c000000
	v_and_b32_e32 v1, 0x80000000, v1
	s_delay_alu instid0(VALU_DEP_1)
	v_or3_b32 v0, v2, v1, v0
.LBB450_2194:                           ;   in Loop: Header=BB450_13 Depth=1
	s_or_b32 exec_lo, exec_lo, s24
.LBB450_2195:                           ;   in Loop: Header=BB450_13 Depth=1
	s_delay_alu instid0(SALU_CYCLE_1)
	s_or_b32 exec_lo, exec_lo, s23
.LBB450_2196:                           ;   in Loop: Header=BB450_13 Depth=1
	s_delay_alu instid0(SALU_CYCLE_1) | instskip(NEXT) | instid1(VALU_DEP_1)
	s_or_b32 exec_lo, exec_lo, s22
	v_mul_f32_e32 v0, v121, v0
                                        ; implicit-def: $vgpr138
	s_delay_alu instid0(VALU_DEP_1) | instskip(NEXT) | instid1(VALU_DEP_1)
	v_and_b32_e32 v1, 0x7f800000, v0
	v_cmp_ne_u32_e64 s2, 0x7f800000, v1
	s_delay_alu instid0(VALU_DEP_1) | instskip(NEXT) | instid1(SALU_CYCLE_1)
	s_and_saveexec_b32 s22, s2
	s_xor_b32 s2, exec_lo, s22
; %bb.2197:                             ;   in Loop: Header=BB450_13 Depth=1
	v_bfe_u32 v1, v0, 16, 1
	s_delay_alu instid0(VALU_DEP_1)
	v_add3_u32 v138, v0, v1, 0x7fff
                                        ; implicit-def: $vgpr0
; %bb.2198:                             ;   in Loop: Header=BB450_13 Depth=1
	s_and_not1_saveexec_b32 s22, s2
; %bb.2199:                             ;   in Loop: Header=BB450_13 Depth=1
	v_and_b32_e32 v1, 0xffff, v0
	v_or_b32_e32 v2, 0x10000, v0
	s_delay_alu instid0(VALU_DEP_2) | instskip(NEXT) | instid1(VALU_DEP_1)
	v_cmp_eq_u32_e64 s2, 0, v1
	v_cndmask_b32_e64 v138, v2, v0, s2
; %bb.2200:                             ;   in Loop: Header=BB450_13 Depth=1
	s_or_b32 exec_lo, exec_lo, s22
	v_lshrrev_b32_e32 v0, 16, v34
	s_mov_b32 s22, exec_lo
	s_delay_alu instid0(VALU_DEP_1) | instskip(NEXT) | instid1(VALU_DEP_1)
	v_dual_mov_b32 v1, 0 :: v_dual_and_b32 v2, 0xff, v0
	v_cmpx_ne_u16_e32 0, v2
	s_cbranch_execz .LBB450_2208
; %bb.2201:                             ;   in Loop: Header=BB450_13 Depth=1
	v_bfrev_b32_e32 v1, 1
	s_mov_b32 s23, exec_lo
	v_cmpx_ne_u16_e32 0x80, v2
	s_cbranch_execz .LBB450_2207
; %bb.2202:                             ;   in Loop: Header=BB450_13 Depth=1
	v_bfe_u32 v2, v34, 16, 7
	v_mov_b32_e32 v1, 0x7f800001
	s_mov_b32 s24, exec_lo
	s_delay_alu instid0(VALU_DEP_2)
	v_cmpx_ne_u32_e32 0x7f, v2
	s_cbranch_execz .LBB450_2206
; %bb.2203:                             ;   in Loop: Header=BB450_13 Depth=1
	v_and_b32_e32 v19, 7, v0
	v_mov_b32_e32 v36, v20
	v_lshrrev_b32_e32 v1, 3, v2
	s_mov_b32 s25, exec_lo
	s_delay_alu instid0(VALU_DEP_3)
	v_mov_b32_e32 v35, v19
	v_cmpx_gt_u32_e32 8, v2
; %bb.2204:                             ;   in Loop: Header=BB450_13 Depth=1
	v_clz_i32_u32_e32 v1, v19
	s_delay_alu instid0(VALU_DEP_1) | instskip(NEXT) | instid1(VALU_DEP_1)
	v_min_u32_e32 v1, 32, v1
	v_subrev_nc_u32_e32 v2, 28, v1
	v_sub_nc_u32_e32 v1, 29, v1
	s_delay_alu instid0(VALU_DEP_2) | instskip(NEXT) | instid1(VALU_DEP_1)
	v_lshlrev_b64 v[2:3], v2, v[19:20]
	v_and_b32_e32 v35, 7, v2
; %bb.2205:                             ;   in Loop: Header=BB450_13 Depth=1
	s_or_b32 exec_lo, exec_lo, s25
	v_lshlrev_b32_e32 v0, 24, v0
	s_delay_alu instid0(VALU_DEP_2) | instskip(SKIP_1) | instid1(VALU_DEP_3)
	v_lshlrev_b32_e32 v2, 20, v35
	v_lshl_add_u32 v1, v1, 23, 0x3c000000
	v_and_b32_e32 v0, 0x80000000, v0
	s_delay_alu instid0(VALU_DEP_1)
	v_or3_b32 v1, v2, v0, v1
.LBB450_2206:                           ;   in Loop: Header=BB450_13 Depth=1
	s_or_b32 exec_lo, exec_lo, s24
.LBB450_2207:                           ;   in Loop: Header=BB450_13 Depth=1
	s_delay_alu instid0(SALU_CYCLE_1)
	s_or_b32 exec_lo, exec_lo, s23
.LBB450_2208:                           ;   in Loop: Header=BB450_13 Depth=1
	s_delay_alu instid0(SALU_CYCLE_1) | instskip(NEXT) | instid1(VALU_DEP_1)
	s_or_b32 exec_lo, exec_lo, s22
	v_mul_f32_e32 v0, v121, v1
                                        ; implicit-def: $vgpr139
	s_delay_alu instid0(VALU_DEP_1) | instskip(NEXT) | instid1(VALU_DEP_1)
	v_and_b32_e32 v1, 0x7f800000, v0
	v_cmp_ne_u32_e64 s2, 0x7f800000, v1
	s_delay_alu instid0(VALU_DEP_1) | instskip(NEXT) | instid1(SALU_CYCLE_1)
	s_and_saveexec_b32 s22, s2
	s_xor_b32 s2, exec_lo, s22
; %bb.2209:                             ;   in Loop: Header=BB450_13 Depth=1
	v_bfe_u32 v1, v0, 16, 1
	s_delay_alu instid0(VALU_DEP_1)
	v_add3_u32 v139, v0, v1, 0x7fff
                                        ; implicit-def: $vgpr0
; %bb.2210:                             ;   in Loop: Header=BB450_13 Depth=1
	s_and_not1_saveexec_b32 s22, s2
; %bb.2211:                             ;   in Loop: Header=BB450_13 Depth=1
	v_and_b32_e32 v1, 0xffff, v0
	v_or_b32_e32 v2, 0x10000, v0
	s_delay_alu instid0(VALU_DEP_2) | instskip(NEXT) | instid1(VALU_DEP_1)
	v_cmp_eq_u32_e64 s2, 0, v1
	v_cndmask_b32_e64 v139, v2, v0, s2
; %bb.2212:                             ;   in Loop: Header=BB450_13 Depth=1
	s_or_b32 exec_lo, exec_lo, s22
	v_mov_b32_e32 v1, 0
	s_mov_b32 s22, exec_lo
	v_cmpx_lt_u64_e64 s[8:9], v[33:34]
	s_cbranch_execz .LBB450_2220
; %bb.2213:                             ;   in Loop: Header=BB450_13 Depth=1
	v_lshrrev_b32_e32 v0, 24, v34
	v_bfrev_b32_e32 v1, 1
	s_mov_b32 s23, exec_lo
	s_delay_alu instid0(VALU_DEP_2)
	v_cmpx_ne_u32_e32 0x80, v0
	s_cbranch_execz .LBB450_2219
; %bb.2214:                             ;   in Loop: Header=BB450_13 Depth=1
	v_bfe_u32 v2, v34, 24, 7
	v_mov_b32_e32 v1, 0x7f800001
	s_mov_b32 s24, exec_lo
	s_delay_alu instid0(VALU_DEP_2)
	v_cmpx_ne_u32_e32 0x7f, v2
	s_cbranch_execz .LBB450_2218
; %bb.2215:                             ;   in Loop: Header=BB450_13 Depth=1
	v_and_b32_e32 v19, 7, v0
	v_mov_b32_e32 v34, v20
	v_lshrrev_b32_e32 v1, 3, v2
	s_mov_b32 s25, exec_lo
	s_delay_alu instid0(VALU_DEP_3)
	v_mov_b32_e32 v33, v19
	v_cmpx_gt_u32_e32 8, v2
; %bb.2216:                             ;   in Loop: Header=BB450_13 Depth=1
	v_clz_i32_u32_e32 v1, v19
	s_delay_alu instid0(VALU_DEP_1) | instskip(NEXT) | instid1(VALU_DEP_1)
	v_min_u32_e32 v1, 32, v1
	v_subrev_nc_u32_e32 v2, 28, v1
	v_sub_nc_u32_e32 v1, 29, v1
	s_delay_alu instid0(VALU_DEP_2) | instskip(NEXT) | instid1(VALU_DEP_1)
	v_lshlrev_b64 v[2:3], v2, v[19:20]
	v_and_b32_e32 v33, 7, v2
; %bb.2217:                             ;   in Loop: Header=BB450_13 Depth=1
	s_or_b32 exec_lo, exec_lo, s25
	v_lshlrev_b32_e32 v0, 24, v0
	s_delay_alu instid0(VALU_DEP_2) | instskip(SKIP_1) | instid1(VALU_DEP_3)
	v_lshlrev_b32_e32 v2, 20, v33
	v_lshl_add_u32 v1, v1, 23, 0x3c000000
	v_and_b32_e32 v0, 0x80000000, v0
	s_delay_alu instid0(VALU_DEP_1)
	v_or3_b32 v1, v2, v0, v1
.LBB450_2218:                           ;   in Loop: Header=BB450_13 Depth=1
	s_or_b32 exec_lo, exec_lo, s24
.LBB450_2219:                           ;   in Loop: Header=BB450_13 Depth=1
	s_delay_alu instid0(SALU_CYCLE_1)
	s_or_b32 exec_lo, exec_lo, s23
.LBB450_2220:                           ;   in Loop: Header=BB450_13 Depth=1
	s_delay_alu instid0(SALU_CYCLE_1) | instskip(NEXT) | instid1(VALU_DEP_1)
	s_or_b32 exec_lo, exec_lo, s22
	v_mul_f32_e32 v0, v121, v1
                                        ; implicit-def: $vgpr140
	s_delay_alu instid0(VALU_DEP_1) | instskip(NEXT) | instid1(VALU_DEP_1)
	v_and_b32_e32 v1, 0x7f800000, v0
	v_cmp_ne_u32_e64 s2, 0x7f800000, v1
	s_delay_alu instid0(VALU_DEP_1) | instskip(NEXT) | instid1(SALU_CYCLE_1)
	s_and_saveexec_b32 s22, s2
	s_xor_b32 s2, exec_lo, s22
; %bb.2221:                             ;   in Loop: Header=BB450_13 Depth=1
	v_bfe_u32 v1, v0, 16, 1
	s_delay_alu instid0(VALU_DEP_1)
	v_add3_u32 v140, v0, v1, 0x7fff
                                        ; implicit-def: $vgpr0
; %bb.2222:                             ;   in Loop: Header=BB450_13 Depth=1
	s_and_not1_saveexec_b32 s22, s2
; %bb.2223:                             ;   in Loop: Header=BB450_13 Depth=1
	v_and_b32_e32 v1, 0xffff, v0
	v_or_b32_e32 v2, 0x10000, v0
	s_delay_alu instid0(VALU_DEP_2) | instskip(NEXT) | instid1(VALU_DEP_1)
	v_cmp_eq_u32_e64 s2, 0, v1
	v_cndmask_b32_e64 v140, v2, v0, s2
; %bb.2224:                             ;   in Loop: Header=BB450_13 Depth=1
	s_or_b32 exec_lo, exec_lo, s22
	flat_load_b64 v[33:34], v[31:32] offset:1544
	s_mov_b32 s22, exec_lo
	s_waitcnt vmcnt(0) lgkmcnt(0)
	v_dual_mov_b32 v0, 0 :: v_dual_and_b32 v1, 0xff, v33
	s_delay_alu instid0(VALU_DEP_1)
	v_cmpx_ne_u16_e32 0, v1
	s_cbranch_execz .LBB450_2232
; %bb.2225:                             ;   in Loop: Header=BB450_13 Depth=1
	v_bfrev_b32_e32 v0, 1
	s_mov_b32 s23, exec_lo
	v_cmpx_ne_u16_e32 0x80, v1
	s_cbranch_execz .LBB450_2231
; %bb.2226:                             ;   in Loop: Header=BB450_13 Depth=1
	v_and_b32_e32 v1, 0x7f, v33
	v_mov_b32_e32 v0, 0x7f800001
	s_mov_b32 s24, exec_lo
	s_delay_alu instid0(VALU_DEP_2)
	v_cmpx_ne_u32_e32 0x7f, v1
	s_cbranch_execz .LBB450_2230
; %bb.2227:                             ;   in Loop: Header=BB450_13 Depth=1
	v_lshrrev_b32_e32 v0, 3, v1
	v_dual_mov_b32 v36, v34 :: v_dual_mov_b32 v35, v33
	s_mov_b32 s25, exec_lo
	v_cmpx_gt_u32_e32 8, v1
; %bb.2228:                             ;   in Loop: Header=BB450_13 Depth=1
	v_and_b32_e32 v0, 7, v33
	s_delay_alu instid0(VALU_DEP_1) | instskip(NEXT) | instid1(VALU_DEP_1)
	v_clz_i32_u32_e32 v0, v0
	v_min_u32_e32 v0, 32, v0
	s_delay_alu instid0(VALU_DEP_1) | instskip(SKIP_1) | instid1(VALU_DEP_2)
	v_subrev_nc_u32_e32 v1, 28, v0
	v_sub_nc_u32_e32 v0, 29, v0
	v_lshlrev_b64 v[35:36], v1, v[33:34]
; %bb.2229:                             ;   in Loop: Header=BB450_13 Depth=1
	s_or_b32 exec_lo, exec_lo, s25
	s_delay_alu instid0(VALU_DEP_1) | instskip(SKIP_2) | instid1(VALU_DEP_3)
	v_lshlrev_b32_e32 v1, 20, v35
	v_lshlrev_b32_e32 v2, 24, v33
	v_lshl_add_u32 v0, v0, 23, 0x3c000000
	v_and_b32_e32 v1, 0x700000, v1
	s_delay_alu instid0(VALU_DEP_3) | instskip(NEXT) | instid1(VALU_DEP_1)
	v_and_b32_e32 v2, 0x80000000, v2
	v_or3_b32 v0, v1, v2, v0
.LBB450_2230:                           ;   in Loop: Header=BB450_13 Depth=1
	s_or_b32 exec_lo, exec_lo, s24
.LBB450_2231:                           ;   in Loop: Header=BB450_13 Depth=1
	s_delay_alu instid0(SALU_CYCLE_1)
	s_or_b32 exec_lo, exec_lo, s23
.LBB450_2232:                           ;   in Loop: Header=BB450_13 Depth=1
	s_delay_alu instid0(SALU_CYCLE_1) | instskip(NEXT) | instid1(VALU_DEP_1)
	s_or_b32 exec_lo, exec_lo, s22
	v_mul_f32_e32 v0, v121, v0
                                        ; implicit-def: $vgpr141
	s_delay_alu instid0(VALU_DEP_1) | instskip(NEXT) | instid1(VALU_DEP_1)
	v_and_b32_e32 v1, 0x7f800000, v0
	v_cmp_ne_u32_e64 s2, 0x7f800000, v1
	s_delay_alu instid0(VALU_DEP_1) | instskip(NEXT) | instid1(SALU_CYCLE_1)
	s_and_saveexec_b32 s22, s2
	s_xor_b32 s2, exec_lo, s22
; %bb.2233:                             ;   in Loop: Header=BB450_13 Depth=1
	v_bfe_u32 v1, v0, 16, 1
	s_delay_alu instid0(VALU_DEP_1)
	v_add3_u32 v141, v0, v1, 0x7fff
                                        ; implicit-def: $vgpr0
; %bb.2234:                             ;   in Loop: Header=BB450_13 Depth=1
	s_and_not1_saveexec_b32 s22, s2
; %bb.2235:                             ;   in Loop: Header=BB450_13 Depth=1
	v_and_b32_e32 v1, 0xffff, v0
	v_or_b32_e32 v2, 0x10000, v0
	s_delay_alu instid0(VALU_DEP_2) | instskip(NEXT) | instid1(VALU_DEP_1)
	v_cmp_eq_u32_e64 s2, 0, v1
	v_cndmask_b32_e64 v141, v2, v0, s2
; %bb.2236:                             ;   in Loop: Header=BB450_13 Depth=1
	s_or_b32 exec_lo, exec_lo, s22
	v_lshrrev_b16 v1, 8, v33
	v_mov_b32_e32 v0, 0
	s_mov_b32 s22, exec_lo
	s_delay_alu instid0(VALU_DEP_2)
	v_cmpx_ne_u16_e32 0, v1
	s_cbranch_execz .LBB450_2244
; %bb.2237:                             ;   in Loop: Header=BB450_13 Depth=1
	v_bfrev_b32_e32 v0, 1
	s_mov_b32 s23, exec_lo
	v_cmpx_ne_u16_e32 0x80, v1
	s_cbranch_execz .LBB450_2243
; %bb.2238:                             ;   in Loop: Header=BB450_13 Depth=1
	v_and_b32_e32 v2, 0xffff, v1
	v_mov_b32_e32 v0, 0x7f800001
	s_mov_b32 s24, exec_lo
	s_delay_alu instid0(VALU_DEP_2) | instskip(NEXT) | instid1(VALU_DEP_1)
	v_and_b32_e32 v1, 0x7f, v2
	v_cmpx_ne_u32_e32 0x7f, v1
	s_cbranch_execz .LBB450_2242
; %bb.2239:                             ;   in Loop: Header=BB450_13 Depth=1
	v_and_b32_e32 v19, 7, v2
	v_mov_b32_e32 v36, v20
	v_lshrrev_b32_e32 v0, 3, v1
	s_mov_b32 s25, exec_lo
	s_delay_alu instid0(VALU_DEP_3)
	v_mov_b32_e32 v35, v19
	v_cmpx_gt_u32_e32 8, v1
; %bb.2240:                             ;   in Loop: Header=BB450_13 Depth=1
	v_clz_i32_u32_e32 v0, v19
	s_delay_alu instid0(VALU_DEP_1) | instskip(NEXT) | instid1(VALU_DEP_1)
	v_min_u32_e32 v0, 32, v0
	v_subrev_nc_u32_e32 v1, 28, v0
	v_sub_nc_u32_e32 v0, 29, v0
	s_delay_alu instid0(VALU_DEP_2) | instskip(NEXT) | instid1(VALU_DEP_1)
	v_lshlrev_b64 v[1:2], v1, v[19:20]
	v_and_b32_e32 v35, 7, v1
; %bb.2241:                             ;   in Loop: Header=BB450_13 Depth=1
	s_or_b32 exec_lo, exec_lo, s25
	v_lshlrev_b32_e32 v1, 16, v33
	s_delay_alu instid0(VALU_DEP_2) | instskip(SKIP_1) | instid1(VALU_DEP_3)
	v_lshlrev_b32_e32 v2, 20, v35
	v_lshl_add_u32 v0, v0, 23, 0x3c000000
	v_and_b32_e32 v1, 0x80000000, v1
	s_delay_alu instid0(VALU_DEP_1)
	v_or3_b32 v0, v2, v1, v0
.LBB450_2242:                           ;   in Loop: Header=BB450_13 Depth=1
	s_or_b32 exec_lo, exec_lo, s24
.LBB450_2243:                           ;   in Loop: Header=BB450_13 Depth=1
	s_delay_alu instid0(SALU_CYCLE_1)
	s_or_b32 exec_lo, exec_lo, s23
.LBB450_2244:                           ;   in Loop: Header=BB450_13 Depth=1
	s_delay_alu instid0(SALU_CYCLE_1) | instskip(NEXT) | instid1(VALU_DEP_1)
	s_or_b32 exec_lo, exec_lo, s22
	v_mul_f32_e32 v0, v121, v0
                                        ; implicit-def: $vgpr142
	s_delay_alu instid0(VALU_DEP_1) | instskip(NEXT) | instid1(VALU_DEP_1)
	v_and_b32_e32 v1, 0x7f800000, v0
	v_cmp_ne_u32_e64 s2, 0x7f800000, v1
	s_delay_alu instid0(VALU_DEP_1) | instskip(NEXT) | instid1(SALU_CYCLE_1)
	s_and_saveexec_b32 s22, s2
	s_xor_b32 s2, exec_lo, s22
; %bb.2245:                             ;   in Loop: Header=BB450_13 Depth=1
	v_bfe_u32 v1, v0, 16, 1
	s_delay_alu instid0(VALU_DEP_1)
	v_add3_u32 v142, v0, v1, 0x7fff
                                        ; implicit-def: $vgpr0
; %bb.2246:                             ;   in Loop: Header=BB450_13 Depth=1
	s_and_not1_saveexec_b32 s22, s2
; %bb.2247:                             ;   in Loop: Header=BB450_13 Depth=1
	v_and_b32_e32 v1, 0xffff, v0
	v_or_b32_e32 v2, 0x10000, v0
	s_delay_alu instid0(VALU_DEP_2) | instskip(NEXT) | instid1(VALU_DEP_1)
	v_cmp_eq_u32_e64 s2, 0, v1
	v_cndmask_b32_e64 v142, v2, v0, s2
; %bb.2248:                             ;   in Loop: Header=BB450_13 Depth=1
	s_or_b32 exec_lo, exec_lo, s22
	v_lshrrev_b32_e32 v0, 16, v33
	s_mov_b32 s22, exec_lo
	s_delay_alu instid0(VALU_DEP_1) | instskip(NEXT) | instid1(VALU_DEP_1)
	v_dual_mov_b32 v1, 0 :: v_dual_and_b32 v2, 0xff, v0
	v_cmpx_ne_u16_e32 0, v2
	s_cbranch_execz .LBB450_2256
; %bb.2249:                             ;   in Loop: Header=BB450_13 Depth=1
	v_bfrev_b32_e32 v1, 1
	s_mov_b32 s23, exec_lo
	v_cmpx_ne_u16_e32 0x80, v2
	s_cbranch_execz .LBB450_2255
; %bb.2250:                             ;   in Loop: Header=BB450_13 Depth=1
	v_bfe_u32 v2, v33, 16, 7
	v_mov_b32_e32 v1, 0x7f800001
	s_mov_b32 s24, exec_lo
	s_delay_alu instid0(VALU_DEP_2)
	v_cmpx_ne_u32_e32 0x7f, v2
	s_cbranch_execz .LBB450_2254
; %bb.2251:                             ;   in Loop: Header=BB450_13 Depth=1
	v_and_b32_e32 v19, 7, v0
	v_mov_b32_e32 v36, v20
	v_lshrrev_b32_e32 v1, 3, v2
	s_mov_b32 s25, exec_lo
	s_delay_alu instid0(VALU_DEP_3)
	v_mov_b32_e32 v35, v19
	v_cmpx_gt_u32_e32 8, v2
; %bb.2252:                             ;   in Loop: Header=BB450_13 Depth=1
	v_clz_i32_u32_e32 v1, v19
	s_delay_alu instid0(VALU_DEP_1) | instskip(NEXT) | instid1(VALU_DEP_1)
	v_min_u32_e32 v1, 32, v1
	v_subrev_nc_u32_e32 v2, 28, v1
	v_sub_nc_u32_e32 v1, 29, v1
	s_delay_alu instid0(VALU_DEP_2) | instskip(NEXT) | instid1(VALU_DEP_1)
	v_lshlrev_b64 v[2:3], v2, v[19:20]
	v_and_b32_e32 v35, 7, v2
; %bb.2253:                             ;   in Loop: Header=BB450_13 Depth=1
	s_or_b32 exec_lo, exec_lo, s25
	v_lshlrev_b32_e32 v0, 24, v0
	s_delay_alu instid0(VALU_DEP_2) | instskip(SKIP_1) | instid1(VALU_DEP_3)
	v_lshlrev_b32_e32 v2, 20, v35
	v_lshl_add_u32 v1, v1, 23, 0x3c000000
	v_and_b32_e32 v0, 0x80000000, v0
	s_delay_alu instid0(VALU_DEP_1)
	v_or3_b32 v1, v2, v0, v1
.LBB450_2254:                           ;   in Loop: Header=BB450_13 Depth=1
	s_or_b32 exec_lo, exec_lo, s24
.LBB450_2255:                           ;   in Loop: Header=BB450_13 Depth=1
	s_delay_alu instid0(SALU_CYCLE_1)
	s_or_b32 exec_lo, exec_lo, s23
.LBB450_2256:                           ;   in Loop: Header=BB450_13 Depth=1
	s_delay_alu instid0(SALU_CYCLE_1) | instskip(NEXT) | instid1(VALU_DEP_1)
	s_or_b32 exec_lo, exec_lo, s22
	v_mul_f32_e32 v0, v121, v1
                                        ; implicit-def: $vgpr143
	s_delay_alu instid0(VALU_DEP_1) | instskip(NEXT) | instid1(VALU_DEP_1)
	v_and_b32_e32 v1, 0x7f800000, v0
	v_cmp_ne_u32_e64 s2, 0x7f800000, v1
	s_delay_alu instid0(VALU_DEP_1) | instskip(NEXT) | instid1(SALU_CYCLE_1)
	s_and_saveexec_b32 s22, s2
	s_xor_b32 s2, exec_lo, s22
; %bb.2257:                             ;   in Loop: Header=BB450_13 Depth=1
	v_bfe_u32 v1, v0, 16, 1
	s_delay_alu instid0(VALU_DEP_1)
	v_add3_u32 v143, v0, v1, 0x7fff
                                        ; implicit-def: $vgpr0
; %bb.2258:                             ;   in Loop: Header=BB450_13 Depth=1
	s_and_not1_saveexec_b32 s22, s2
; %bb.2259:                             ;   in Loop: Header=BB450_13 Depth=1
	v_and_b32_e32 v1, 0xffff, v0
	v_or_b32_e32 v2, 0x10000, v0
	s_delay_alu instid0(VALU_DEP_2) | instskip(NEXT) | instid1(VALU_DEP_1)
	v_cmp_eq_u32_e64 s2, 0, v1
	v_cndmask_b32_e64 v143, v2, v0, s2
; %bb.2260:                             ;   in Loop: Header=BB450_13 Depth=1
	s_or_b32 exec_lo, exec_lo, s22
	v_mov_b32_e32 v1, 0
	s_mov_b32 s22, exec_lo
	v_cmpx_lt_u32_e32 0xffffff, v33
	s_cbranch_execz .LBB450_2268
; %bb.2261:                             ;   in Loop: Header=BB450_13 Depth=1
	v_lshrrev_b32_e32 v0, 24, v33
	v_bfrev_b32_e32 v1, 1
	s_mov_b32 s23, exec_lo
	s_delay_alu instid0(VALU_DEP_2)
	v_cmpx_ne_u32_e32 0x80, v0
	s_cbranch_execz .LBB450_2267
; %bb.2262:                             ;   in Loop: Header=BB450_13 Depth=1
	v_bfe_u32 v2, v33, 24, 7
	v_mov_b32_e32 v1, 0x7f800001
	s_mov_b32 s24, exec_lo
	s_delay_alu instid0(VALU_DEP_2)
	v_cmpx_ne_u32_e32 0x7f, v2
	s_cbranch_execz .LBB450_2266
; %bb.2263:                             ;   in Loop: Header=BB450_13 Depth=1
	v_and_b32_e32 v19, 7, v0
	v_mov_b32_e32 v36, v20
	v_lshrrev_b32_e32 v1, 3, v2
	s_mov_b32 s25, exec_lo
	s_delay_alu instid0(VALU_DEP_3)
	v_mov_b32_e32 v35, v19
	v_cmpx_gt_u32_e32 8, v2
; %bb.2264:                             ;   in Loop: Header=BB450_13 Depth=1
	v_clz_i32_u32_e32 v1, v19
	s_delay_alu instid0(VALU_DEP_1) | instskip(NEXT) | instid1(VALU_DEP_1)
	v_min_u32_e32 v1, 32, v1
	v_subrev_nc_u32_e32 v2, 28, v1
	v_sub_nc_u32_e32 v1, 29, v1
	s_delay_alu instid0(VALU_DEP_2) | instskip(NEXT) | instid1(VALU_DEP_1)
	v_lshlrev_b64 v[2:3], v2, v[19:20]
	v_and_b32_e32 v35, 7, v2
; %bb.2265:                             ;   in Loop: Header=BB450_13 Depth=1
	s_or_b32 exec_lo, exec_lo, s25
	v_lshlrev_b32_e32 v0, 24, v0
	s_delay_alu instid0(VALU_DEP_2) | instskip(SKIP_1) | instid1(VALU_DEP_3)
	v_lshlrev_b32_e32 v2, 20, v35
	v_lshl_add_u32 v1, v1, 23, 0x3c000000
	v_and_b32_e32 v0, 0x80000000, v0
	s_delay_alu instid0(VALU_DEP_1)
	v_or3_b32 v1, v2, v0, v1
.LBB450_2266:                           ;   in Loop: Header=BB450_13 Depth=1
	s_or_b32 exec_lo, exec_lo, s24
.LBB450_2267:                           ;   in Loop: Header=BB450_13 Depth=1
	s_delay_alu instid0(SALU_CYCLE_1)
	s_or_b32 exec_lo, exec_lo, s23
.LBB450_2268:                           ;   in Loop: Header=BB450_13 Depth=1
	s_delay_alu instid0(SALU_CYCLE_1) | instskip(NEXT) | instid1(VALU_DEP_1)
	s_or_b32 exec_lo, exec_lo, s22
	v_mul_f32_e32 v0, v121, v1
                                        ; implicit-def: $vgpr152
	s_delay_alu instid0(VALU_DEP_1) | instskip(NEXT) | instid1(VALU_DEP_1)
	v_and_b32_e32 v1, 0x7f800000, v0
	v_cmp_ne_u32_e64 s2, 0x7f800000, v1
	s_delay_alu instid0(VALU_DEP_1) | instskip(NEXT) | instid1(SALU_CYCLE_1)
	s_and_saveexec_b32 s22, s2
	s_xor_b32 s2, exec_lo, s22
; %bb.2269:                             ;   in Loop: Header=BB450_13 Depth=1
	v_bfe_u32 v1, v0, 16, 1
	s_delay_alu instid0(VALU_DEP_1)
	v_add3_u32 v152, v0, v1, 0x7fff
                                        ; implicit-def: $vgpr0
; %bb.2270:                             ;   in Loop: Header=BB450_13 Depth=1
	s_and_not1_saveexec_b32 s22, s2
; %bb.2271:                             ;   in Loop: Header=BB450_13 Depth=1
	v_and_b32_e32 v1, 0xffff, v0
	v_or_b32_e32 v2, 0x10000, v0
	s_delay_alu instid0(VALU_DEP_2) | instskip(NEXT) | instid1(VALU_DEP_1)
	v_cmp_eq_u32_e64 s2, 0, v1
	v_cndmask_b32_e64 v152, v2, v0, s2
; %bb.2272:                             ;   in Loop: Header=BB450_13 Depth=1
	s_or_b32 exec_lo, exec_lo, s22
	v_dual_mov_b32 v0, 0 :: v_dual_and_b32 v1, 0xff, v34
	v_mov_b32_e32 v19, v34
	s_mov_b32 s22, exec_lo
	s_delay_alu instid0(VALU_DEP_2)
	v_cmpx_ne_u16_e32 0, v1
	s_cbranch_execz .LBB450_2280
; %bb.2273:                             ;   in Loop: Header=BB450_13 Depth=1
	v_bfrev_b32_e32 v0, 1
	s_mov_b32 s23, exec_lo
	v_cmpx_ne_u16_e32 0x80, v1
	s_cbranch_execz .LBB450_2279
; %bb.2274:                             ;   in Loop: Header=BB450_13 Depth=1
	v_and_b32_e32 v1, 0x7f, v34
	v_mov_b32_e32 v0, 0x7f800001
	s_mov_b32 s24, exec_lo
	s_delay_alu instid0(VALU_DEP_2)
	v_cmpx_ne_u32_e32 0x7f, v1
	s_cbranch_execz .LBB450_2278
; %bb.2275:                             ;   in Loop: Header=BB450_13 Depth=1
	v_dual_mov_b32 v36, v20 :: v_dual_mov_b32 v35, v19
	v_lshrrev_b32_e32 v0, 3, v1
	s_mov_b32 s25, exec_lo
	v_cmpx_gt_u32_e32 8, v1
; %bb.2276:                             ;   in Loop: Header=BB450_13 Depth=1
	v_and_b32_e32 v0, 7, v34
	s_delay_alu instid0(VALU_DEP_1) | instskip(NEXT) | instid1(VALU_DEP_1)
	v_clz_i32_u32_e32 v0, v0
	v_min_u32_e32 v0, 32, v0
	s_delay_alu instid0(VALU_DEP_1) | instskip(SKIP_1) | instid1(VALU_DEP_2)
	v_subrev_nc_u32_e32 v1, 28, v0
	v_sub_nc_u32_e32 v0, 29, v0
	v_lshlrev_b64 v[35:36], v1, v[19:20]
; %bb.2277:                             ;   in Loop: Header=BB450_13 Depth=1
	s_or_b32 exec_lo, exec_lo, s25
	s_delay_alu instid0(VALU_DEP_1) | instskip(SKIP_2) | instid1(VALU_DEP_3)
	v_lshlrev_b32_e32 v1, 20, v35
	v_lshlrev_b32_e32 v2, 24, v19
	v_lshl_add_u32 v0, v0, 23, 0x3c000000
	v_and_b32_e32 v1, 0x700000, v1
	s_delay_alu instid0(VALU_DEP_3) | instskip(NEXT) | instid1(VALU_DEP_1)
	v_and_b32_e32 v2, 0x80000000, v2
	v_or3_b32 v0, v1, v2, v0
.LBB450_2278:                           ;   in Loop: Header=BB450_13 Depth=1
	s_or_b32 exec_lo, exec_lo, s24
.LBB450_2279:                           ;   in Loop: Header=BB450_13 Depth=1
	s_delay_alu instid0(SALU_CYCLE_1)
	s_or_b32 exec_lo, exec_lo, s23
.LBB450_2280:                           ;   in Loop: Header=BB450_13 Depth=1
	s_delay_alu instid0(SALU_CYCLE_1) | instskip(NEXT) | instid1(VALU_DEP_1)
	s_or_b32 exec_lo, exec_lo, s22
	v_mul_f32_e32 v0, v121, v0
                                        ; implicit-def: $vgpr153
	s_delay_alu instid0(VALU_DEP_1) | instskip(NEXT) | instid1(VALU_DEP_1)
	v_and_b32_e32 v1, 0x7f800000, v0
	v_cmp_ne_u32_e64 s2, 0x7f800000, v1
	s_delay_alu instid0(VALU_DEP_1) | instskip(NEXT) | instid1(SALU_CYCLE_1)
	s_and_saveexec_b32 s22, s2
	s_xor_b32 s2, exec_lo, s22
; %bb.2281:                             ;   in Loop: Header=BB450_13 Depth=1
	v_bfe_u32 v1, v0, 16, 1
	s_delay_alu instid0(VALU_DEP_1)
	v_add3_u32 v153, v0, v1, 0x7fff
                                        ; implicit-def: $vgpr0
; %bb.2282:                             ;   in Loop: Header=BB450_13 Depth=1
	s_and_not1_saveexec_b32 s22, s2
; %bb.2283:                             ;   in Loop: Header=BB450_13 Depth=1
	v_and_b32_e32 v1, 0xffff, v0
	v_or_b32_e32 v2, 0x10000, v0
	s_delay_alu instid0(VALU_DEP_2) | instskip(NEXT) | instid1(VALU_DEP_1)
	v_cmp_eq_u32_e64 s2, 0, v1
	v_cndmask_b32_e64 v153, v2, v0, s2
; %bb.2284:                             ;   in Loop: Header=BB450_13 Depth=1
	s_or_b32 exec_lo, exec_lo, s22
	v_lshrrev_b16 v1, 8, v19
	v_mov_b32_e32 v0, 0
	s_mov_b32 s22, exec_lo
	s_delay_alu instid0(VALU_DEP_2)
	v_cmpx_ne_u16_e32 0, v1
	s_cbranch_execz .LBB450_2292
; %bb.2285:                             ;   in Loop: Header=BB450_13 Depth=1
	v_bfrev_b32_e32 v0, 1
	s_mov_b32 s23, exec_lo
	v_cmpx_ne_u16_e32 0x80, v1
	s_cbranch_execz .LBB450_2291
; %bb.2286:                             ;   in Loop: Header=BB450_13 Depth=1
	v_and_b32_e32 v2, 0xffff, v1
	v_mov_b32_e32 v0, 0x7f800001
	s_mov_b32 s24, exec_lo
	s_delay_alu instid0(VALU_DEP_2) | instskip(NEXT) | instid1(VALU_DEP_1)
	v_and_b32_e32 v1, 0x7f, v2
	v_cmpx_ne_u32_e32 0x7f, v1
	s_cbranch_execz .LBB450_2290
; %bb.2287:                             ;   in Loop: Header=BB450_13 Depth=1
	v_dual_mov_b32 v36, v20 :: v_dual_and_b32 v35, 7, v2
	v_lshrrev_b32_e32 v0, 3, v1
	s_mov_b32 s25, exec_lo
	v_cmpx_gt_u32_e32 8, v1
; %bb.2288:                             ;   in Loop: Header=BB450_13 Depth=1
	s_delay_alu instid0(VALU_DEP_3) | instskip(NEXT) | instid1(VALU_DEP_1)
	v_clz_i32_u32_e32 v0, v35
	v_min_u32_e32 v0, 32, v0
	s_delay_alu instid0(VALU_DEP_1) | instskip(SKIP_1) | instid1(VALU_DEP_2)
	v_subrev_nc_u32_e32 v1, 28, v0
	v_sub_nc_u32_e32 v0, 29, v0
	v_lshlrev_b64 v[1:2], v1, v[35:36]
	s_delay_alu instid0(VALU_DEP_1)
	v_and_b32_e32 v35, 7, v1
; %bb.2289:                             ;   in Loop: Header=BB450_13 Depth=1
	s_or_b32 exec_lo, exec_lo, s25
	v_lshlrev_b32_e32 v1, 16, v19
	s_delay_alu instid0(VALU_DEP_2) | instskip(SKIP_1) | instid1(VALU_DEP_3)
	v_lshlrev_b32_e32 v2, 20, v35
	v_lshl_add_u32 v0, v0, 23, 0x3c000000
	v_and_b32_e32 v1, 0x80000000, v1
	s_delay_alu instid0(VALU_DEP_1)
	v_or3_b32 v0, v2, v1, v0
.LBB450_2290:                           ;   in Loop: Header=BB450_13 Depth=1
	s_or_b32 exec_lo, exec_lo, s24
.LBB450_2291:                           ;   in Loop: Header=BB450_13 Depth=1
	s_delay_alu instid0(SALU_CYCLE_1)
	s_or_b32 exec_lo, exec_lo, s23
.LBB450_2292:                           ;   in Loop: Header=BB450_13 Depth=1
	s_delay_alu instid0(SALU_CYCLE_1) | instskip(NEXT) | instid1(VALU_DEP_1)
	s_or_b32 exec_lo, exec_lo, s22
	v_mul_f32_e32 v0, v121, v0
                                        ; implicit-def: $vgpr154
	s_delay_alu instid0(VALU_DEP_1) | instskip(NEXT) | instid1(VALU_DEP_1)
	v_and_b32_e32 v1, 0x7f800000, v0
	v_cmp_ne_u32_e64 s2, 0x7f800000, v1
	s_delay_alu instid0(VALU_DEP_1) | instskip(NEXT) | instid1(SALU_CYCLE_1)
	s_and_saveexec_b32 s22, s2
	s_xor_b32 s2, exec_lo, s22
; %bb.2293:                             ;   in Loop: Header=BB450_13 Depth=1
	v_bfe_u32 v1, v0, 16, 1
	s_delay_alu instid0(VALU_DEP_1)
	v_add3_u32 v154, v0, v1, 0x7fff
                                        ; implicit-def: $vgpr0
; %bb.2294:                             ;   in Loop: Header=BB450_13 Depth=1
	s_and_not1_saveexec_b32 s22, s2
; %bb.2295:                             ;   in Loop: Header=BB450_13 Depth=1
	v_and_b32_e32 v1, 0xffff, v0
	v_or_b32_e32 v2, 0x10000, v0
	s_delay_alu instid0(VALU_DEP_2) | instskip(NEXT) | instid1(VALU_DEP_1)
	v_cmp_eq_u32_e64 s2, 0, v1
	v_cndmask_b32_e64 v154, v2, v0, s2
; %bb.2296:                             ;   in Loop: Header=BB450_13 Depth=1
	s_or_b32 exec_lo, exec_lo, s22
	v_lshrrev_b32_e32 v0, 16, v34
	s_mov_b32 s22, exec_lo
	s_delay_alu instid0(VALU_DEP_1) | instskip(NEXT) | instid1(VALU_DEP_1)
	v_dual_mov_b32 v1, 0 :: v_dual_and_b32 v2, 0xff, v0
	v_cmpx_ne_u16_e32 0, v2
	s_cbranch_execz .LBB450_2304
; %bb.2297:                             ;   in Loop: Header=BB450_13 Depth=1
	v_bfrev_b32_e32 v1, 1
	s_mov_b32 s23, exec_lo
	v_cmpx_ne_u16_e32 0x80, v2
	s_cbranch_execz .LBB450_2303
; %bb.2298:                             ;   in Loop: Header=BB450_13 Depth=1
	v_bfe_u32 v2, v34, 16, 7
	v_mov_b32_e32 v1, 0x7f800001
	s_mov_b32 s24, exec_lo
	s_delay_alu instid0(VALU_DEP_2)
	v_cmpx_ne_u32_e32 0x7f, v2
	s_cbranch_execz .LBB450_2302
; %bb.2299:                             ;   in Loop: Header=BB450_13 Depth=1
	v_and_b32_e32 v19, 7, v0
	v_mov_b32_e32 v36, v20
	v_lshrrev_b32_e32 v1, 3, v2
	s_mov_b32 s25, exec_lo
	s_delay_alu instid0(VALU_DEP_3)
	v_mov_b32_e32 v35, v19
	v_cmpx_gt_u32_e32 8, v2
; %bb.2300:                             ;   in Loop: Header=BB450_13 Depth=1
	v_clz_i32_u32_e32 v1, v19
	s_delay_alu instid0(VALU_DEP_1) | instskip(NEXT) | instid1(VALU_DEP_1)
	v_min_u32_e32 v1, 32, v1
	v_subrev_nc_u32_e32 v2, 28, v1
	v_sub_nc_u32_e32 v1, 29, v1
	s_delay_alu instid0(VALU_DEP_2) | instskip(NEXT) | instid1(VALU_DEP_1)
	v_lshlrev_b64 v[2:3], v2, v[19:20]
	v_and_b32_e32 v35, 7, v2
; %bb.2301:                             ;   in Loop: Header=BB450_13 Depth=1
	s_or_b32 exec_lo, exec_lo, s25
	v_lshlrev_b32_e32 v0, 24, v0
	s_delay_alu instid0(VALU_DEP_2) | instskip(SKIP_1) | instid1(VALU_DEP_3)
	v_lshlrev_b32_e32 v2, 20, v35
	v_lshl_add_u32 v1, v1, 23, 0x3c000000
	v_and_b32_e32 v0, 0x80000000, v0
	s_delay_alu instid0(VALU_DEP_1)
	v_or3_b32 v1, v2, v0, v1
.LBB450_2302:                           ;   in Loop: Header=BB450_13 Depth=1
	s_or_b32 exec_lo, exec_lo, s24
.LBB450_2303:                           ;   in Loop: Header=BB450_13 Depth=1
	s_delay_alu instid0(SALU_CYCLE_1)
	s_or_b32 exec_lo, exec_lo, s23
.LBB450_2304:                           ;   in Loop: Header=BB450_13 Depth=1
	s_delay_alu instid0(SALU_CYCLE_1) | instskip(NEXT) | instid1(VALU_DEP_1)
	s_or_b32 exec_lo, exec_lo, s22
	v_mul_f32_e32 v0, v121, v1
                                        ; implicit-def: $vgpr155
	s_delay_alu instid0(VALU_DEP_1) | instskip(NEXT) | instid1(VALU_DEP_1)
	v_and_b32_e32 v1, 0x7f800000, v0
	v_cmp_ne_u32_e64 s2, 0x7f800000, v1
	s_delay_alu instid0(VALU_DEP_1) | instskip(NEXT) | instid1(SALU_CYCLE_1)
	s_and_saveexec_b32 s22, s2
	s_xor_b32 s2, exec_lo, s22
; %bb.2305:                             ;   in Loop: Header=BB450_13 Depth=1
	v_bfe_u32 v1, v0, 16, 1
	s_delay_alu instid0(VALU_DEP_1)
	v_add3_u32 v155, v0, v1, 0x7fff
                                        ; implicit-def: $vgpr0
; %bb.2306:                             ;   in Loop: Header=BB450_13 Depth=1
	s_and_not1_saveexec_b32 s22, s2
; %bb.2307:                             ;   in Loop: Header=BB450_13 Depth=1
	v_and_b32_e32 v1, 0xffff, v0
	v_or_b32_e32 v2, 0x10000, v0
	s_delay_alu instid0(VALU_DEP_2) | instskip(NEXT) | instid1(VALU_DEP_1)
	v_cmp_eq_u32_e64 s2, 0, v1
	v_cndmask_b32_e64 v155, v2, v0, s2
; %bb.2308:                             ;   in Loop: Header=BB450_13 Depth=1
	s_or_b32 exec_lo, exec_lo, s22
	v_mov_b32_e32 v1, 0
	s_mov_b32 s22, exec_lo
	v_cmpx_lt_u64_e64 s[8:9], v[33:34]
	s_cbranch_execz .LBB450_2316
; %bb.2309:                             ;   in Loop: Header=BB450_13 Depth=1
	v_lshrrev_b32_e32 v0, 24, v34
	v_bfrev_b32_e32 v1, 1
	s_mov_b32 s23, exec_lo
	s_delay_alu instid0(VALU_DEP_2)
	v_cmpx_ne_u32_e32 0x80, v0
	s_cbranch_execz .LBB450_2315
; %bb.2310:                             ;   in Loop: Header=BB450_13 Depth=1
	v_bfe_u32 v2, v34, 24, 7
	v_mov_b32_e32 v1, 0x7f800001
	s_mov_b32 s24, exec_lo
	s_delay_alu instid0(VALU_DEP_2)
	v_cmpx_ne_u32_e32 0x7f, v2
	s_cbranch_execz .LBB450_2314
; %bb.2311:                             ;   in Loop: Header=BB450_13 Depth=1
	v_and_b32_e32 v19, 7, v0
	v_mov_b32_e32 v34, v20
	v_lshrrev_b32_e32 v1, 3, v2
	s_mov_b32 s25, exec_lo
	s_delay_alu instid0(VALU_DEP_3)
	v_mov_b32_e32 v33, v19
	v_cmpx_gt_u32_e32 8, v2
; %bb.2312:                             ;   in Loop: Header=BB450_13 Depth=1
	v_clz_i32_u32_e32 v1, v19
	s_delay_alu instid0(VALU_DEP_1) | instskip(NEXT) | instid1(VALU_DEP_1)
	v_min_u32_e32 v1, 32, v1
	v_subrev_nc_u32_e32 v2, 28, v1
	v_sub_nc_u32_e32 v1, 29, v1
	s_delay_alu instid0(VALU_DEP_2) | instskip(NEXT) | instid1(VALU_DEP_1)
	v_lshlrev_b64 v[2:3], v2, v[19:20]
	v_and_b32_e32 v33, 7, v2
; %bb.2313:                             ;   in Loop: Header=BB450_13 Depth=1
	s_or_b32 exec_lo, exec_lo, s25
	v_lshlrev_b32_e32 v0, 24, v0
	s_delay_alu instid0(VALU_DEP_2) | instskip(SKIP_1) | instid1(VALU_DEP_3)
	v_lshlrev_b32_e32 v2, 20, v33
	v_lshl_add_u32 v1, v1, 23, 0x3c000000
	v_and_b32_e32 v0, 0x80000000, v0
	s_delay_alu instid0(VALU_DEP_1)
	v_or3_b32 v1, v2, v0, v1
.LBB450_2314:                           ;   in Loop: Header=BB450_13 Depth=1
	s_or_b32 exec_lo, exec_lo, s24
.LBB450_2315:                           ;   in Loop: Header=BB450_13 Depth=1
	s_delay_alu instid0(SALU_CYCLE_1)
	s_or_b32 exec_lo, exec_lo, s23
.LBB450_2316:                           ;   in Loop: Header=BB450_13 Depth=1
	s_delay_alu instid0(SALU_CYCLE_1) | instskip(NEXT) | instid1(VALU_DEP_1)
	s_or_b32 exec_lo, exec_lo, s22
	v_mul_f32_e32 v0, v121, v1
                                        ; implicit-def: $vgpr156
	s_delay_alu instid0(VALU_DEP_1) | instskip(NEXT) | instid1(VALU_DEP_1)
	v_and_b32_e32 v1, 0x7f800000, v0
	v_cmp_ne_u32_e64 s2, 0x7f800000, v1
	s_delay_alu instid0(VALU_DEP_1) | instskip(NEXT) | instid1(SALU_CYCLE_1)
	s_and_saveexec_b32 s22, s2
	s_xor_b32 s2, exec_lo, s22
; %bb.2317:                             ;   in Loop: Header=BB450_13 Depth=1
	v_bfe_u32 v1, v0, 16, 1
	s_delay_alu instid0(VALU_DEP_1)
	v_add3_u32 v156, v0, v1, 0x7fff
                                        ; implicit-def: $vgpr0
; %bb.2318:                             ;   in Loop: Header=BB450_13 Depth=1
	s_and_not1_saveexec_b32 s22, s2
; %bb.2319:                             ;   in Loop: Header=BB450_13 Depth=1
	v_and_b32_e32 v1, 0xffff, v0
	v_or_b32_e32 v2, 0x10000, v0
	s_delay_alu instid0(VALU_DEP_2) | instskip(NEXT) | instid1(VALU_DEP_1)
	v_cmp_eq_u32_e64 s2, 0, v1
	v_cndmask_b32_e64 v156, v2, v0, s2
; %bb.2320:                             ;   in Loop: Header=BB450_13 Depth=1
	s_or_b32 exec_lo, exec_lo, s22
	flat_load_b64 v[33:34], v[31:32] offset:2048
	s_mov_b32 s22, exec_lo
	s_waitcnt vmcnt(0) lgkmcnt(0)
	v_dual_mov_b32 v0, 0 :: v_dual_and_b32 v1, 0xff, v33
	s_delay_alu instid0(VALU_DEP_1)
	v_cmpx_ne_u16_e32 0, v1
	s_cbranch_execz .LBB450_2328
; %bb.2321:                             ;   in Loop: Header=BB450_13 Depth=1
	v_bfrev_b32_e32 v0, 1
	s_mov_b32 s23, exec_lo
	v_cmpx_ne_u16_e32 0x80, v1
	s_cbranch_execz .LBB450_2327
; %bb.2322:                             ;   in Loop: Header=BB450_13 Depth=1
	v_and_b32_e32 v1, 0x7f, v33
	v_mov_b32_e32 v0, 0x7f800001
	s_mov_b32 s24, exec_lo
	s_delay_alu instid0(VALU_DEP_2)
	v_cmpx_ne_u32_e32 0x7f, v1
	s_cbranch_execz .LBB450_2326
; %bb.2323:                             ;   in Loop: Header=BB450_13 Depth=1
	v_lshrrev_b32_e32 v0, 3, v1
	v_dual_mov_b32 v36, v34 :: v_dual_mov_b32 v35, v33
	s_mov_b32 s25, exec_lo
	v_cmpx_gt_u32_e32 8, v1
; %bb.2324:                             ;   in Loop: Header=BB450_13 Depth=1
	v_and_b32_e32 v0, 7, v33
	s_delay_alu instid0(VALU_DEP_1) | instskip(NEXT) | instid1(VALU_DEP_1)
	v_clz_i32_u32_e32 v0, v0
	v_min_u32_e32 v0, 32, v0
	s_delay_alu instid0(VALU_DEP_1) | instskip(SKIP_1) | instid1(VALU_DEP_2)
	v_subrev_nc_u32_e32 v1, 28, v0
	v_sub_nc_u32_e32 v0, 29, v0
	v_lshlrev_b64 v[35:36], v1, v[33:34]
; %bb.2325:                             ;   in Loop: Header=BB450_13 Depth=1
	s_or_b32 exec_lo, exec_lo, s25
	s_delay_alu instid0(VALU_DEP_1) | instskip(SKIP_2) | instid1(VALU_DEP_3)
	v_lshlrev_b32_e32 v1, 20, v35
	v_lshlrev_b32_e32 v2, 24, v33
	v_lshl_add_u32 v0, v0, 23, 0x3c000000
	v_and_b32_e32 v1, 0x700000, v1
	s_delay_alu instid0(VALU_DEP_3) | instskip(NEXT) | instid1(VALU_DEP_1)
	v_and_b32_e32 v2, 0x80000000, v2
	v_or3_b32 v0, v1, v2, v0
.LBB450_2326:                           ;   in Loop: Header=BB450_13 Depth=1
	s_or_b32 exec_lo, exec_lo, s24
.LBB450_2327:                           ;   in Loop: Header=BB450_13 Depth=1
	s_delay_alu instid0(SALU_CYCLE_1)
	s_or_b32 exec_lo, exec_lo, s23
.LBB450_2328:                           ;   in Loop: Header=BB450_13 Depth=1
	s_delay_alu instid0(SALU_CYCLE_1) | instskip(NEXT) | instid1(VALU_DEP_1)
	s_or_b32 exec_lo, exec_lo, s22
	v_mul_f32_e32 v0, v121, v0
                                        ; implicit-def: $vgpr157
	s_delay_alu instid0(VALU_DEP_1) | instskip(NEXT) | instid1(VALU_DEP_1)
	v_and_b32_e32 v1, 0x7f800000, v0
	v_cmp_ne_u32_e64 s2, 0x7f800000, v1
	s_delay_alu instid0(VALU_DEP_1) | instskip(NEXT) | instid1(SALU_CYCLE_1)
	s_and_saveexec_b32 s22, s2
	s_xor_b32 s2, exec_lo, s22
; %bb.2329:                             ;   in Loop: Header=BB450_13 Depth=1
	v_bfe_u32 v1, v0, 16, 1
	s_delay_alu instid0(VALU_DEP_1)
	v_add3_u32 v157, v0, v1, 0x7fff
                                        ; implicit-def: $vgpr0
; %bb.2330:                             ;   in Loop: Header=BB450_13 Depth=1
	s_and_not1_saveexec_b32 s22, s2
; %bb.2331:                             ;   in Loop: Header=BB450_13 Depth=1
	v_and_b32_e32 v1, 0xffff, v0
	v_or_b32_e32 v2, 0x10000, v0
	s_delay_alu instid0(VALU_DEP_2) | instskip(NEXT) | instid1(VALU_DEP_1)
	v_cmp_eq_u32_e64 s2, 0, v1
	v_cndmask_b32_e64 v157, v2, v0, s2
; %bb.2332:                             ;   in Loop: Header=BB450_13 Depth=1
	s_or_b32 exec_lo, exec_lo, s22
	v_lshrrev_b16 v1, 8, v33
	v_mov_b32_e32 v0, 0
	s_mov_b32 s22, exec_lo
	s_delay_alu instid0(VALU_DEP_2)
	v_cmpx_ne_u16_e32 0, v1
	s_cbranch_execz .LBB450_2340
; %bb.2333:                             ;   in Loop: Header=BB450_13 Depth=1
	v_bfrev_b32_e32 v0, 1
	s_mov_b32 s23, exec_lo
	v_cmpx_ne_u16_e32 0x80, v1
	s_cbranch_execz .LBB450_2339
; %bb.2334:                             ;   in Loop: Header=BB450_13 Depth=1
	v_and_b32_e32 v2, 0xffff, v1
	v_mov_b32_e32 v0, 0x7f800001
	s_mov_b32 s24, exec_lo
	s_delay_alu instid0(VALU_DEP_2) | instskip(NEXT) | instid1(VALU_DEP_1)
	v_and_b32_e32 v1, 0x7f, v2
	v_cmpx_ne_u32_e32 0x7f, v1
	s_cbranch_execz .LBB450_2338
; %bb.2335:                             ;   in Loop: Header=BB450_13 Depth=1
	v_and_b32_e32 v19, 7, v2
	v_mov_b32_e32 v36, v20
	v_lshrrev_b32_e32 v0, 3, v1
	s_mov_b32 s25, exec_lo
	s_delay_alu instid0(VALU_DEP_3)
	v_mov_b32_e32 v35, v19
	v_cmpx_gt_u32_e32 8, v1
; %bb.2336:                             ;   in Loop: Header=BB450_13 Depth=1
	v_clz_i32_u32_e32 v0, v19
	s_delay_alu instid0(VALU_DEP_1) | instskip(NEXT) | instid1(VALU_DEP_1)
	v_min_u32_e32 v0, 32, v0
	v_subrev_nc_u32_e32 v1, 28, v0
	v_sub_nc_u32_e32 v0, 29, v0
	s_delay_alu instid0(VALU_DEP_2) | instskip(NEXT) | instid1(VALU_DEP_1)
	v_lshlrev_b64 v[1:2], v1, v[19:20]
	v_and_b32_e32 v35, 7, v1
; %bb.2337:                             ;   in Loop: Header=BB450_13 Depth=1
	s_or_b32 exec_lo, exec_lo, s25
	v_lshlrev_b32_e32 v1, 16, v33
	s_delay_alu instid0(VALU_DEP_2) | instskip(SKIP_1) | instid1(VALU_DEP_3)
	v_lshlrev_b32_e32 v2, 20, v35
	v_lshl_add_u32 v0, v0, 23, 0x3c000000
	v_and_b32_e32 v1, 0x80000000, v1
	s_delay_alu instid0(VALU_DEP_1)
	v_or3_b32 v0, v2, v1, v0
.LBB450_2338:                           ;   in Loop: Header=BB450_13 Depth=1
	s_or_b32 exec_lo, exec_lo, s24
.LBB450_2339:                           ;   in Loop: Header=BB450_13 Depth=1
	s_delay_alu instid0(SALU_CYCLE_1)
	s_or_b32 exec_lo, exec_lo, s23
.LBB450_2340:                           ;   in Loop: Header=BB450_13 Depth=1
	s_delay_alu instid0(SALU_CYCLE_1) | instskip(NEXT) | instid1(VALU_DEP_1)
	s_or_b32 exec_lo, exec_lo, s22
	v_mul_f32_e32 v0, v121, v0
                                        ; implicit-def: $vgpr158
	s_delay_alu instid0(VALU_DEP_1) | instskip(NEXT) | instid1(VALU_DEP_1)
	v_and_b32_e32 v1, 0x7f800000, v0
	v_cmp_ne_u32_e64 s2, 0x7f800000, v1
	s_delay_alu instid0(VALU_DEP_1) | instskip(NEXT) | instid1(SALU_CYCLE_1)
	s_and_saveexec_b32 s22, s2
	s_xor_b32 s2, exec_lo, s22
; %bb.2341:                             ;   in Loop: Header=BB450_13 Depth=1
	v_bfe_u32 v1, v0, 16, 1
	s_delay_alu instid0(VALU_DEP_1)
	v_add3_u32 v158, v0, v1, 0x7fff
                                        ; implicit-def: $vgpr0
; %bb.2342:                             ;   in Loop: Header=BB450_13 Depth=1
	s_and_not1_saveexec_b32 s22, s2
; %bb.2343:                             ;   in Loop: Header=BB450_13 Depth=1
	v_and_b32_e32 v1, 0xffff, v0
	v_or_b32_e32 v2, 0x10000, v0
	s_delay_alu instid0(VALU_DEP_2) | instskip(NEXT) | instid1(VALU_DEP_1)
	v_cmp_eq_u32_e64 s2, 0, v1
	v_cndmask_b32_e64 v158, v2, v0, s2
; %bb.2344:                             ;   in Loop: Header=BB450_13 Depth=1
	s_or_b32 exec_lo, exec_lo, s22
	v_lshrrev_b32_e32 v0, 16, v33
	s_mov_b32 s22, exec_lo
	s_delay_alu instid0(VALU_DEP_1) | instskip(NEXT) | instid1(VALU_DEP_1)
	v_dual_mov_b32 v1, 0 :: v_dual_and_b32 v2, 0xff, v0
	v_cmpx_ne_u16_e32 0, v2
	s_cbranch_execz .LBB450_2352
; %bb.2345:                             ;   in Loop: Header=BB450_13 Depth=1
	v_bfrev_b32_e32 v1, 1
	s_mov_b32 s23, exec_lo
	v_cmpx_ne_u16_e32 0x80, v2
	s_cbranch_execz .LBB450_2351
; %bb.2346:                             ;   in Loop: Header=BB450_13 Depth=1
	v_bfe_u32 v2, v33, 16, 7
	v_mov_b32_e32 v1, 0x7f800001
	s_mov_b32 s24, exec_lo
	s_delay_alu instid0(VALU_DEP_2)
	v_cmpx_ne_u32_e32 0x7f, v2
	s_cbranch_execz .LBB450_2350
; %bb.2347:                             ;   in Loop: Header=BB450_13 Depth=1
	v_and_b32_e32 v19, 7, v0
	v_mov_b32_e32 v36, v20
	v_lshrrev_b32_e32 v1, 3, v2
	s_mov_b32 s25, exec_lo
	s_delay_alu instid0(VALU_DEP_3)
	v_mov_b32_e32 v35, v19
	v_cmpx_gt_u32_e32 8, v2
; %bb.2348:                             ;   in Loop: Header=BB450_13 Depth=1
	v_clz_i32_u32_e32 v1, v19
	s_delay_alu instid0(VALU_DEP_1) | instskip(NEXT) | instid1(VALU_DEP_1)
	v_min_u32_e32 v1, 32, v1
	v_subrev_nc_u32_e32 v2, 28, v1
	v_sub_nc_u32_e32 v1, 29, v1
	s_delay_alu instid0(VALU_DEP_2) | instskip(NEXT) | instid1(VALU_DEP_1)
	v_lshlrev_b64 v[2:3], v2, v[19:20]
	v_and_b32_e32 v35, 7, v2
; %bb.2349:                             ;   in Loop: Header=BB450_13 Depth=1
	s_or_b32 exec_lo, exec_lo, s25
	v_lshlrev_b32_e32 v0, 24, v0
	s_delay_alu instid0(VALU_DEP_2) | instskip(SKIP_1) | instid1(VALU_DEP_3)
	v_lshlrev_b32_e32 v2, 20, v35
	v_lshl_add_u32 v1, v1, 23, 0x3c000000
	v_and_b32_e32 v0, 0x80000000, v0
	s_delay_alu instid0(VALU_DEP_1)
	v_or3_b32 v1, v2, v0, v1
.LBB450_2350:                           ;   in Loop: Header=BB450_13 Depth=1
	s_or_b32 exec_lo, exec_lo, s24
.LBB450_2351:                           ;   in Loop: Header=BB450_13 Depth=1
	s_delay_alu instid0(SALU_CYCLE_1)
	s_or_b32 exec_lo, exec_lo, s23
.LBB450_2352:                           ;   in Loop: Header=BB450_13 Depth=1
	s_delay_alu instid0(SALU_CYCLE_1) | instskip(NEXT) | instid1(VALU_DEP_1)
	s_or_b32 exec_lo, exec_lo, s22
	v_mul_f32_e32 v0, v121, v1
                                        ; implicit-def: $vgpr159
	s_delay_alu instid0(VALU_DEP_1) | instskip(NEXT) | instid1(VALU_DEP_1)
	v_and_b32_e32 v1, 0x7f800000, v0
	v_cmp_ne_u32_e64 s2, 0x7f800000, v1
	s_delay_alu instid0(VALU_DEP_1) | instskip(NEXT) | instid1(SALU_CYCLE_1)
	s_and_saveexec_b32 s22, s2
	s_xor_b32 s2, exec_lo, s22
; %bb.2353:                             ;   in Loop: Header=BB450_13 Depth=1
	v_bfe_u32 v1, v0, 16, 1
	s_delay_alu instid0(VALU_DEP_1)
	v_add3_u32 v159, v0, v1, 0x7fff
                                        ; implicit-def: $vgpr0
; %bb.2354:                             ;   in Loop: Header=BB450_13 Depth=1
	s_and_not1_saveexec_b32 s22, s2
; %bb.2355:                             ;   in Loop: Header=BB450_13 Depth=1
	v_and_b32_e32 v1, 0xffff, v0
	v_or_b32_e32 v2, 0x10000, v0
	s_delay_alu instid0(VALU_DEP_2) | instskip(NEXT) | instid1(VALU_DEP_1)
	v_cmp_eq_u32_e64 s2, 0, v1
	v_cndmask_b32_e64 v159, v2, v0, s2
; %bb.2356:                             ;   in Loop: Header=BB450_13 Depth=1
	s_or_b32 exec_lo, exec_lo, s22
	v_mov_b32_e32 v1, 0
	s_mov_b32 s22, exec_lo
	v_cmpx_lt_u32_e32 0xffffff, v33
	s_cbranch_execz .LBB450_2364
; %bb.2357:                             ;   in Loop: Header=BB450_13 Depth=1
	v_lshrrev_b32_e32 v0, 24, v33
	v_bfrev_b32_e32 v1, 1
	s_mov_b32 s23, exec_lo
	s_delay_alu instid0(VALU_DEP_2)
	v_cmpx_ne_u32_e32 0x80, v0
	s_cbranch_execz .LBB450_2363
; %bb.2358:                             ;   in Loop: Header=BB450_13 Depth=1
	v_bfe_u32 v2, v33, 24, 7
	v_mov_b32_e32 v1, 0x7f800001
	s_mov_b32 s24, exec_lo
	s_delay_alu instid0(VALU_DEP_2)
	v_cmpx_ne_u32_e32 0x7f, v2
	s_cbranch_execz .LBB450_2362
; %bb.2359:                             ;   in Loop: Header=BB450_13 Depth=1
	v_and_b32_e32 v19, 7, v0
	v_mov_b32_e32 v36, v20
	v_lshrrev_b32_e32 v1, 3, v2
	s_mov_b32 s25, exec_lo
	s_delay_alu instid0(VALU_DEP_3)
	v_mov_b32_e32 v35, v19
	v_cmpx_gt_u32_e32 8, v2
; %bb.2360:                             ;   in Loop: Header=BB450_13 Depth=1
	v_clz_i32_u32_e32 v1, v19
	s_delay_alu instid0(VALU_DEP_1) | instskip(NEXT) | instid1(VALU_DEP_1)
	v_min_u32_e32 v1, 32, v1
	v_subrev_nc_u32_e32 v2, 28, v1
	v_sub_nc_u32_e32 v1, 29, v1
	s_delay_alu instid0(VALU_DEP_2) | instskip(NEXT) | instid1(VALU_DEP_1)
	v_lshlrev_b64 v[2:3], v2, v[19:20]
	v_and_b32_e32 v35, 7, v2
; %bb.2361:                             ;   in Loop: Header=BB450_13 Depth=1
	s_or_b32 exec_lo, exec_lo, s25
	v_lshlrev_b32_e32 v0, 24, v0
	s_delay_alu instid0(VALU_DEP_2) | instskip(SKIP_1) | instid1(VALU_DEP_3)
	v_lshlrev_b32_e32 v2, 20, v35
	v_lshl_add_u32 v1, v1, 23, 0x3c000000
	v_and_b32_e32 v0, 0x80000000, v0
	s_delay_alu instid0(VALU_DEP_1)
	v_or3_b32 v1, v2, v0, v1
.LBB450_2362:                           ;   in Loop: Header=BB450_13 Depth=1
	s_or_b32 exec_lo, exec_lo, s24
.LBB450_2363:                           ;   in Loop: Header=BB450_13 Depth=1
	s_delay_alu instid0(SALU_CYCLE_1)
	s_or_b32 exec_lo, exec_lo, s23
.LBB450_2364:                           ;   in Loop: Header=BB450_13 Depth=1
	s_delay_alu instid0(SALU_CYCLE_1) | instskip(NEXT) | instid1(VALU_DEP_1)
	s_or_b32 exec_lo, exec_lo, s22
	v_mul_f32_e32 v0, v121, v1
                                        ; implicit-def: $vgpr168
	s_delay_alu instid0(VALU_DEP_1) | instskip(NEXT) | instid1(VALU_DEP_1)
	v_and_b32_e32 v1, 0x7f800000, v0
	v_cmp_ne_u32_e64 s2, 0x7f800000, v1
	s_delay_alu instid0(VALU_DEP_1) | instskip(NEXT) | instid1(SALU_CYCLE_1)
	s_and_saveexec_b32 s22, s2
	s_xor_b32 s2, exec_lo, s22
; %bb.2365:                             ;   in Loop: Header=BB450_13 Depth=1
	v_bfe_u32 v1, v0, 16, 1
	s_delay_alu instid0(VALU_DEP_1)
	v_add3_u32 v168, v0, v1, 0x7fff
                                        ; implicit-def: $vgpr0
; %bb.2366:                             ;   in Loop: Header=BB450_13 Depth=1
	s_and_not1_saveexec_b32 s22, s2
; %bb.2367:                             ;   in Loop: Header=BB450_13 Depth=1
	v_and_b32_e32 v1, 0xffff, v0
	v_or_b32_e32 v2, 0x10000, v0
	s_delay_alu instid0(VALU_DEP_2) | instskip(NEXT) | instid1(VALU_DEP_1)
	v_cmp_eq_u32_e64 s2, 0, v1
	v_cndmask_b32_e64 v168, v2, v0, s2
; %bb.2368:                             ;   in Loop: Header=BB450_13 Depth=1
	s_or_b32 exec_lo, exec_lo, s22
	v_dual_mov_b32 v0, 0 :: v_dual_and_b32 v1, 0xff, v34
	v_mov_b32_e32 v19, v34
	s_mov_b32 s22, exec_lo
	s_delay_alu instid0(VALU_DEP_2)
	v_cmpx_ne_u16_e32 0, v1
	s_cbranch_execz .LBB450_2376
; %bb.2369:                             ;   in Loop: Header=BB450_13 Depth=1
	v_bfrev_b32_e32 v0, 1
	s_mov_b32 s23, exec_lo
	v_cmpx_ne_u16_e32 0x80, v1
	s_cbranch_execz .LBB450_2375
; %bb.2370:                             ;   in Loop: Header=BB450_13 Depth=1
	v_and_b32_e32 v1, 0x7f, v34
	v_mov_b32_e32 v0, 0x7f800001
	s_mov_b32 s24, exec_lo
	s_delay_alu instid0(VALU_DEP_2)
	v_cmpx_ne_u32_e32 0x7f, v1
	s_cbranch_execz .LBB450_2374
; %bb.2371:                             ;   in Loop: Header=BB450_13 Depth=1
	v_dual_mov_b32 v36, v20 :: v_dual_mov_b32 v35, v19
	v_lshrrev_b32_e32 v0, 3, v1
	s_mov_b32 s25, exec_lo
	v_cmpx_gt_u32_e32 8, v1
; %bb.2372:                             ;   in Loop: Header=BB450_13 Depth=1
	v_and_b32_e32 v0, 7, v34
	s_delay_alu instid0(VALU_DEP_1) | instskip(NEXT) | instid1(VALU_DEP_1)
	v_clz_i32_u32_e32 v0, v0
	v_min_u32_e32 v0, 32, v0
	s_delay_alu instid0(VALU_DEP_1) | instskip(SKIP_1) | instid1(VALU_DEP_2)
	v_subrev_nc_u32_e32 v1, 28, v0
	v_sub_nc_u32_e32 v0, 29, v0
	v_lshlrev_b64 v[35:36], v1, v[19:20]
; %bb.2373:                             ;   in Loop: Header=BB450_13 Depth=1
	s_or_b32 exec_lo, exec_lo, s25
	s_delay_alu instid0(VALU_DEP_1) | instskip(SKIP_2) | instid1(VALU_DEP_3)
	v_lshlrev_b32_e32 v1, 20, v35
	v_lshlrev_b32_e32 v2, 24, v19
	v_lshl_add_u32 v0, v0, 23, 0x3c000000
	v_and_b32_e32 v1, 0x700000, v1
	s_delay_alu instid0(VALU_DEP_3) | instskip(NEXT) | instid1(VALU_DEP_1)
	v_and_b32_e32 v2, 0x80000000, v2
	v_or3_b32 v0, v1, v2, v0
.LBB450_2374:                           ;   in Loop: Header=BB450_13 Depth=1
	s_or_b32 exec_lo, exec_lo, s24
.LBB450_2375:                           ;   in Loop: Header=BB450_13 Depth=1
	s_delay_alu instid0(SALU_CYCLE_1)
	s_or_b32 exec_lo, exec_lo, s23
.LBB450_2376:                           ;   in Loop: Header=BB450_13 Depth=1
	s_delay_alu instid0(SALU_CYCLE_1) | instskip(NEXT) | instid1(VALU_DEP_1)
	s_or_b32 exec_lo, exec_lo, s22
	v_mul_f32_e32 v0, v121, v0
                                        ; implicit-def: $vgpr169
	s_delay_alu instid0(VALU_DEP_1) | instskip(NEXT) | instid1(VALU_DEP_1)
	v_and_b32_e32 v1, 0x7f800000, v0
	v_cmp_ne_u32_e64 s2, 0x7f800000, v1
	s_delay_alu instid0(VALU_DEP_1) | instskip(NEXT) | instid1(SALU_CYCLE_1)
	s_and_saveexec_b32 s22, s2
	s_xor_b32 s2, exec_lo, s22
; %bb.2377:                             ;   in Loop: Header=BB450_13 Depth=1
	v_bfe_u32 v1, v0, 16, 1
	s_delay_alu instid0(VALU_DEP_1)
	v_add3_u32 v169, v0, v1, 0x7fff
                                        ; implicit-def: $vgpr0
; %bb.2378:                             ;   in Loop: Header=BB450_13 Depth=1
	s_and_not1_saveexec_b32 s22, s2
; %bb.2379:                             ;   in Loop: Header=BB450_13 Depth=1
	v_and_b32_e32 v1, 0xffff, v0
	v_or_b32_e32 v2, 0x10000, v0
	s_delay_alu instid0(VALU_DEP_2) | instskip(NEXT) | instid1(VALU_DEP_1)
	v_cmp_eq_u32_e64 s2, 0, v1
	v_cndmask_b32_e64 v169, v2, v0, s2
; %bb.2380:                             ;   in Loop: Header=BB450_13 Depth=1
	s_or_b32 exec_lo, exec_lo, s22
	v_lshrrev_b16 v1, 8, v19
	v_mov_b32_e32 v0, 0
	s_mov_b32 s22, exec_lo
	s_delay_alu instid0(VALU_DEP_2)
	v_cmpx_ne_u16_e32 0, v1
	s_cbranch_execz .LBB450_2388
; %bb.2381:                             ;   in Loop: Header=BB450_13 Depth=1
	v_bfrev_b32_e32 v0, 1
	s_mov_b32 s23, exec_lo
	v_cmpx_ne_u16_e32 0x80, v1
	s_cbranch_execz .LBB450_2387
; %bb.2382:                             ;   in Loop: Header=BB450_13 Depth=1
	v_and_b32_e32 v2, 0xffff, v1
	v_mov_b32_e32 v0, 0x7f800001
	s_mov_b32 s24, exec_lo
	s_delay_alu instid0(VALU_DEP_2) | instskip(NEXT) | instid1(VALU_DEP_1)
	v_and_b32_e32 v1, 0x7f, v2
	v_cmpx_ne_u32_e32 0x7f, v1
	s_cbranch_execz .LBB450_2386
; %bb.2383:                             ;   in Loop: Header=BB450_13 Depth=1
	v_dual_mov_b32 v36, v20 :: v_dual_and_b32 v35, 7, v2
	v_lshrrev_b32_e32 v0, 3, v1
	s_mov_b32 s25, exec_lo
	v_cmpx_gt_u32_e32 8, v1
; %bb.2384:                             ;   in Loop: Header=BB450_13 Depth=1
	s_delay_alu instid0(VALU_DEP_3) | instskip(NEXT) | instid1(VALU_DEP_1)
	v_clz_i32_u32_e32 v0, v35
	v_min_u32_e32 v0, 32, v0
	s_delay_alu instid0(VALU_DEP_1) | instskip(SKIP_1) | instid1(VALU_DEP_2)
	v_subrev_nc_u32_e32 v1, 28, v0
	v_sub_nc_u32_e32 v0, 29, v0
	v_lshlrev_b64 v[1:2], v1, v[35:36]
	s_delay_alu instid0(VALU_DEP_1)
	v_and_b32_e32 v35, 7, v1
; %bb.2385:                             ;   in Loop: Header=BB450_13 Depth=1
	s_or_b32 exec_lo, exec_lo, s25
	v_lshlrev_b32_e32 v1, 16, v19
	s_delay_alu instid0(VALU_DEP_2) | instskip(SKIP_1) | instid1(VALU_DEP_3)
	v_lshlrev_b32_e32 v2, 20, v35
	v_lshl_add_u32 v0, v0, 23, 0x3c000000
	v_and_b32_e32 v1, 0x80000000, v1
	s_delay_alu instid0(VALU_DEP_1)
	v_or3_b32 v0, v2, v1, v0
.LBB450_2386:                           ;   in Loop: Header=BB450_13 Depth=1
	s_or_b32 exec_lo, exec_lo, s24
.LBB450_2387:                           ;   in Loop: Header=BB450_13 Depth=1
	s_delay_alu instid0(SALU_CYCLE_1)
	s_or_b32 exec_lo, exec_lo, s23
.LBB450_2388:                           ;   in Loop: Header=BB450_13 Depth=1
	s_delay_alu instid0(SALU_CYCLE_1) | instskip(NEXT) | instid1(VALU_DEP_1)
	s_or_b32 exec_lo, exec_lo, s22
	v_mul_f32_e32 v0, v121, v0
                                        ; implicit-def: $vgpr170
	s_delay_alu instid0(VALU_DEP_1) | instskip(NEXT) | instid1(VALU_DEP_1)
	v_and_b32_e32 v1, 0x7f800000, v0
	v_cmp_ne_u32_e64 s2, 0x7f800000, v1
	s_delay_alu instid0(VALU_DEP_1) | instskip(NEXT) | instid1(SALU_CYCLE_1)
	s_and_saveexec_b32 s22, s2
	s_xor_b32 s2, exec_lo, s22
; %bb.2389:                             ;   in Loop: Header=BB450_13 Depth=1
	v_bfe_u32 v1, v0, 16, 1
	s_delay_alu instid0(VALU_DEP_1)
	v_add3_u32 v170, v0, v1, 0x7fff
                                        ; implicit-def: $vgpr0
; %bb.2390:                             ;   in Loop: Header=BB450_13 Depth=1
	s_and_not1_saveexec_b32 s22, s2
; %bb.2391:                             ;   in Loop: Header=BB450_13 Depth=1
	v_and_b32_e32 v1, 0xffff, v0
	v_or_b32_e32 v2, 0x10000, v0
	s_delay_alu instid0(VALU_DEP_2) | instskip(NEXT) | instid1(VALU_DEP_1)
	v_cmp_eq_u32_e64 s2, 0, v1
	v_cndmask_b32_e64 v170, v2, v0, s2
; %bb.2392:                             ;   in Loop: Header=BB450_13 Depth=1
	s_or_b32 exec_lo, exec_lo, s22
	v_lshrrev_b32_e32 v0, 16, v34
	s_mov_b32 s22, exec_lo
	s_delay_alu instid0(VALU_DEP_1) | instskip(NEXT) | instid1(VALU_DEP_1)
	v_dual_mov_b32 v1, 0 :: v_dual_and_b32 v2, 0xff, v0
	v_cmpx_ne_u16_e32 0, v2
	s_cbranch_execz .LBB450_2400
; %bb.2393:                             ;   in Loop: Header=BB450_13 Depth=1
	v_bfrev_b32_e32 v1, 1
	s_mov_b32 s23, exec_lo
	v_cmpx_ne_u16_e32 0x80, v2
	s_cbranch_execz .LBB450_2399
; %bb.2394:                             ;   in Loop: Header=BB450_13 Depth=1
	v_bfe_u32 v2, v34, 16, 7
	v_mov_b32_e32 v1, 0x7f800001
	s_mov_b32 s24, exec_lo
	s_delay_alu instid0(VALU_DEP_2)
	v_cmpx_ne_u32_e32 0x7f, v2
	s_cbranch_execz .LBB450_2398
; %bb.2395:                             ;   in Loop: Header=BB450_13 Depth=1
	v_and_b32_e32 v19, 7, v0
	v_mov_b32_e32 v36, v20
	v_lshrrev_b32_e32 v1, 3, v2
	s_mov_b32 s25, exec_lo
	s_delay_alu instid0(VALU_DEP_3)
	v_mov_b32_e32 v35, v19
	v_cmpx_gt_u32_e32 8, v2
; %bb.2396:                             ;   in Loop: Header=BB450_13 Depth=1
	v_clz_i32_u32_e32 v1, v19
	s_delay_alu instid0(VALU_DEP_1) | instskip(NEXT) | instid1(VALU_DEP_1)
	v_min_u32_e32 v1, 32, v1
	v_subrev_nc_u32_e32 v2, 28, v1
	v_sub_nc_u32_e32 v1, 29, v1
	s_delay_alu instid0(VALU_DEP_2) | instskip(NEXT) | instid1(VALU_DEP_1)
	v_lshlrev_b64 v[2:3], v2, v[19:20]
	v_and_b32_e32 v35, 7, v2
; %bb.2397:                             ;   in Loop: Header=BB450_13 Depth=1
	s_or_b32 exec_lo, exec_lo, s25
	v_lshlrev_b32_e32 v0, 24, v0
	s_delay_alu instid0(VALU_DEP_2) | instskip(SKIP_1) | instid1(VALU_DEP_3)
	v_lshlrev_b32_e32 v2, 20, v35
	v_lshl_add_u32 v1, v1, 23, 0x3c000000
	v_and_b32_e32 v0, 0x80000000, v0
	s_delay_alu instid0(VALU_DEP_1)
	v_or3_b32 v1, v2, v0, v1
.LBB450_2398:                           ;   in Loop: Header=BB450_13 Depth=1
	s_or_b32 exec_lo, exec_lo, s24
.LBB450_2399:                           ;   in Loop: Header=BB450_13 Depth=1
	s_delay_alu instid0(SALU_CYCLE_1)
	s_or_b32 exec_lo, exec_lo, s23
.LBB450_2400:                           ;   in Loop: Header=BB450_13 Depth=1
	s_delay_alu instid0(SALU_CYCLE_1) | instskip(NEXT) | instid1(VALU_DEP_1)
	s_or_b32 exec_lo, exec_lo, s22
	v_mul_f32_e32 v0, v121, v1
                                        ; implicit-def: $vgpr171
	s_delay_alu instid0(VALU_DEP_1) | instskip(NEXT) | instid1(VALU_DEP_1)
	v_and_b32_e32 v1, 0x7f800000, v0
	v_cmp_ne_u32_e64 s2, 0x7f800000, v1
	s_delay_alu instid0(VALU_DEP_1) | instskip(NEXT) | instid1(SALU_CYCLE_1)
	s_and_saveexec_b32 s22, s2
	s_xor_b32 s2, exec_lo, s22
; %bb.2401:                             ;   in Loop: Header=BB450_13 Depth=1
	v_bfe_u32 v1, v0, 16, 1
	s_delay_alu instid0(VALU_DEP_1)
	v_add3_u32 v171, v0, v1, 0x7fff
                                        ; implicit-def: $vgpr0
; %bb.2402:                             ;   in Loop: Header=BB450_13 Depth=1
	s_and_not1_saveexec_b32 s22, s2
; %bb.2403:                             ;   in Loop: Header=BB450_13 Depth=1
	v_and_b32_e32 v1, 0xffff, v0
	v_or_b32_e32 v2, 0x10000, v0
	s_delay_alu instid0(VALU_DEP_2) | instskip(NEXT) | instid1(VALU_DEP_1)
	v_cmp_eq_u32_e64 s2, 0, v1
	v_cndmask_b32_e64 v171, v2, v0, s2
; %bb.2404:                             ;   in Loop: Header=BB450_13 Depth=1
	s_or_b32 exec_lo, exec_lo, s22
	v_mov_b32_e32 v1, 0
	s_mov_b32 s22, exec_lo
	v_cmpx_lt_u64_e64 s[8:9], v[33:34]
	s_cbranch_execz .LBB450_2412
; %bb.2405:                             ;   in Loop: Header=BB450_13 Depth=1
	v_lshrrev_b32_e32 v0, 24, v34
	v_bfrev_b32_e32 v1, 1
	s_mov_b32 s23, exec_lo
	s_delay_alu instid0(VALU_DEP_2)
	v_cmpx_ne_u32_e32 0x80, v0
	s_cbranch_execz .LBB450_2411
; %bb.2406:                             ;   in Loop: Header=BB450_13 Depth=1
	v_bfe_u32 v2, v34, 24, 7
	v_mov_b32_e32 v1, 0x7f800001
	s_mov_b32 s24, exec_lo
	s_delay_alu instid0(VALU_DEP_2)
	v_cmpx_ne_u32_e32 0x7f, v2
	s_cbranch_execz .LBB450_2410
; %bb.2407:                             ;   in Loop: Header=BB450_13 Depth=1
	v_and_b32_e32 v19, 7, v0
	v_mov_b32_e32 v34, v20
	v_lshrrev_b32_e32 v1, 3, v2
	s_mov_b32 s25, exec_lo
	s_delay_alu instid0(VALU_DEP_3)
	v_mov_b32_e32 v33, v19
	v_cmpx_gt_u32_e32 8, v2
; %bb.2408:                             ;   in Loop: Header=BB450_13 Depth=1
	v_clz_i32_u32_e32 v1, v19
	s_delay_alu instid0(VALU_DEP_1) | instskip(NEXT) | instid1(VALU_DEP_1)
	v_min_u32_e32 v1, 32, v1
	v_subrev_nc_u32_e32 v2, 28, v1
	v_sub_nc_u32_e32 v1, 29, v1
	s_delay_alu instid0(VALU_DEP_2) | instskip(NEXT) | instid1(VALU_DEP_1)
	v_lshlrev_b64 v[2:3], v2, v[19:20]
	v_and_b32_e32 v33, 7, v2
; %bb.2409:                             ;   in Loop: Header=BB450_13 Depth=1
	s_or_b32 exec_lo, exec_lo, s25
	v_lshlrev_b32_e32 v0, 24, v0
	s_delay_alu instid0(VALU_DEP_2) | instskip(SKIP_1) | instid1(VALU_DEP_3)
	v_lshlrev_b32_e32 v2, 20, v33
	v_lshl_add_u32 v1, v1, 23, 0x3c000000
	v_and_b32_e32 v0, 0x80000000, v0
	s_delay_alu instid0(VALU_DEP_1)
	v_or3_b32 v1, v2, v0, v1
.LBB450_2410:                           ;   in Loop: Header=BB450_13 Depth=1
	s_or_b32 exec_lo, exec_lo, s24
.LBB450_2411:                           ;   in Loop: Header=BB450_13 Depth=1
	s_delay_alu instid0(SALU_CYCLE_1)
	s_or_b32 exec_lo, exec_lo, s23
.LBB450_2412:                           ;   in Loop: Header=BB450_13 Depth=1
	s_delay_alu instid0(SALU_CYCLE_1) | instskip(NEXT) | instid1(VALU_DEP_1)
	s_or_b32 exec_lo, exec_lo, s22
	v_mul_f32_e32 v0, v121, v1
                                        ; implicit-def: $vgpr172
	s_delay_alu instid0(VALU_DEP_1) | instskip(NEXT) | instid1(VALU_DEP_1)
	v_and_b32_e32 v1, 0x7f800000, v0
	v_cmp_ne_u32_e64 s2, 0x7f800000, v1
	s_delay_alu instid0(VALU_DEP_1) | instskip(NEXT) | instid1(SALU_CYCLE_1)
	s_and_saveexec_b32 s22, s2
	s_xor_b32 s2, exec_lo, s22
; %bb.2413:                             ;   in Loop: Header=BB450_13 Depth=1
	v_bfe_u32 v1, v0, 16, 1
	s_delay_alu instid0(VALU_DEP_1)
	v_add3_u32 v172, v0, v1, 0x7fff
                                        ; implicit-def: $vgpr0
; %bb.2414:                             ;   in Loop: Header=BB450_13 Depth=1
	s_and_not1_saveexec_b32 s22, s2
; %bb.2415:                             ;   in Loop: Header=BB450_13 Depth=1
	v_and_b32_e32 v1, 0xffff, v0
	v_or_b32_e32 v2, 0x10000, v0
	s_delay_alu instid0(VALU_DEP_2) | instskip(NEXT) | instid1(VALU_DEP_1)
	v_cmp_eq_u32_e64 s2, 0, v1
	v_cndmask_b32_e64 v172, v2, v0, s2
; %bb.2416:                             ;   in Loop: Header=BB450_13 Depth=1
	s_or_b32 exec_lo, exec_lo, s22
	flat_load_b64 v[33:34], v[31:32] offset:2056
	s_mov_b32 s22, exec_lo
	s_waitcnt vmcnt(0) lgkmcnt(0)
	v_dual_mov_b32 v0, 0 :: v_dual_and_b32 v1, 0xff, v33
	s_delay_alu instid0(VALU_DEP_1)
	v_cmpx_ne_u16_e32 0, v1
	s_cbranch_execz .LBB450_2424
; %bb.2417:                             ;   in Loop: Header=BB450_13 Depth=1
	v_bfrev_b32_e32 v0, 1
	s_mov_b32 s23, exec_lo
	v_cmpx_ne_u16_e32 0x80, v1
	s_cbranch_execz .LBB450_2423
; %bb.2418:                             ;   in Loop: Header=BB450_13 Depth=1
	v_and_b32_e32 v1, 0x7f, v33
	v_mov_b32_e32 v0, 0x7f800001
	s_mov_b32 s24, exec_lo
	s_delay_alu instid0(VALU_DEP_2)
	v_cmpx_ne_u32_e32 0x7f, v1
	s_cbranch_execz .LBB450_2422
; %bb.2419:                             ;   in Loop: Header=BB450_13 Depth=1
	v_lshrrev_b32_e32 v0, 3, v1
	v_dual_mov_b32 v36, v34 :: v_dual_mov_b32 v35, v33
	s_mov_b32 s25, exec_lo
	v_cmpx_gt_u32_e32 8, v1
; %bb.2420:                             ;   in Loop: Header=BB450_13 Depth=1
	v_and_b32_e32 v0, 7, v33
	s_delay_alu instid0(VALU_DEP_1) | instskip(NEXT) | instid1(VALU_DEP_1)
	v_clz_i32_u32_e32 v0, v0
	v_min_u32_e32 v0, 32, v0
	s_delay_alu instid0(VALU_DEP_1) | instskip(SKIP_1) | instid1(VALU_DEP_2)
	v_subrev_nc_u32_e32 v1, 28, v0
	v_sub_nc_u32_e32 v0, 29, v0
	v_lshlrev_b64 v[35:36], v1, v[33:34]
; %bb.2421:                             ;   in Loop: Header=BB450_13 Depth=1
	s_or_b32 exec_lo, exec_lo, s25
	s_delay_alu instid0(VALU_DEP_1) | instskip(SKIP_2) | instid1(VALU_DEP_3)
	v_lshlrev_b32_e32 v1, 20, v35
	v_lshlrev_b32_e32 v2, 24, v33
	v_lshl_add_u32 v0, v0, 23, 0x3c000000
	v_and_b32_e32 v1, 0x700000, v1
	s_delay_alu instid0(VALU_DEP_3) | instskip(NEXT) | instid1(VALU_DEP_1)
	v_and_b32_e32 v2, 0x80000000, v2
	v_or3_b32 v0, v1, v2, v0
.LBB450_2422:                           ;   in Loop: Header=BB450_13 Depth=1
	s_or_b32 exec_lo, exec_lo, s24
.LBB450_2423:                           ;   in Loop: Header=BB450_13 Depth=1
	s_delay_alu instid0(SALU_CYCLE_1)
	s_or_b32 exec_lo, exec_lo, s23
.LBB450_2424:                           ;   in Loop: Header=BB450_13 Depth=1
	s_delay_alu instid0(SALU_CYCLE_1) | instskip(NEXT) | instid1(VALU_DEP_1)
	s_or_b32 exec_lo, exec_lo, s22
	v_mul_f32_e32 v0, v121, v0
                                        ; implicit-def: $vgpr173
	s_delay_alu instid0(VALU_DEP_1) | instskip(NEXT) | instid1(VALU_DEP_1)
	v_and_b32_e32 v1, 0x7f800000, v0
	v_cmp_ne_u32_e64 s2, 0x7f800000, v1
	s_delay_alu instid0(VALU_DEP_1) | instskip(NEXT) | instid1(SALU_CYCLE_1)
	s_and_saveexec_b32 s22, s2
	s_xor_b32 s2, exec_lo, s22
; %bb.2425:                             ;   in Loop: Header=BB450_13 Depth=1
	v_bfe_u32 v1, v0, 16, 1
	s_delay_alu instid0(VALU_DEP_1)
	v_add3_u32 v173, v0, v1, 0x7fff
                                        ; implicit-def: $vgpr0
; %bb.2426:                             ;   in Loop: Header=BB450_13 Depth=1
	s_and_not1_saveexec_b32 s22, s2
; %bb.2427:                             ;   in Loop: Header=BB450_13 Depth=1
	v_and_b32_e32 v1, 0xffff, v0
	v_or_b32_e32 v2, 0x10000, v0
	s_delay_alu instid0(VALU_DEP_2) | instskip(NEXT) | instid1(VALU_DEP_1)
	v_cmp_eq_u32_e64 s2, 0, v1
	v_cndmask_b32_e64 v173, v2, v0, s2
; %bb.2428:                             ;   in Loop: Header=BB450_13 Depth=1
	s_or_b32 exec_lo, exec_lo, s22
	v_lshrrev_b16 v1, 8, v33
	v_mov_b32_e32 v0, 0
	s_mov_b32 s22, exec_lo
	s_delay_alu instid0(VALU_DEP_2)
	v_cmpx_ne_u16_e32 0, v1
	s_cbranch_execz .LBB450_2436
; %bb.2429:                             ;   in Loop: Header=BB450_13 Depth=1
	v_bfrev_b32_e32 v0, 1
	s_mov_b32 s23, exec_lo
	v_cmpx_ne_u16_e32 0x80, v1
	s_cbranch_execz .LBB450_2435
; %bb.2430:                             ;   in Loop: Header=BB450_13 Depth=1
	v_and_b32_e32 v2, 0xffff, v1
	v_mov_b32_e32 v0, 0x7f800001
	s_mov_b32 s24, exec_lo
	s_delay_alu instid0(VALU_DEP_2) | instskip(NEXT) | instid1(VALU_DEP_1)
	v_and_b32_e32 v1, 0x7f, v2
	v_cmpx_ne_u32_e32 0x7f, v1
	s_cbranch_execz .LBB450_2434
; %bb.2431:                             ;   in Loop: Header=BB450_13 Depth=1
	v_and_b32_e32 v19, 7, v2
	v_mov_b32_e32 v36, v20
	v_lshrrev_b32_e32 v0, 3, v1
	s_mov_b32 s25, exec_lo
	s_delay_alu instid0(VALU_DEP_3)
	v_mov_b32_e32 v35, v19
	v_cmpx_gt_u32_e32 8, v1
; %bb.2432:                             ;   in Loop: Header=BB450_13 Depth=1
	v_clz_i32_u32_e32 v0, v19
	s_delay_alu instid0(VALU_DEP_1) | instskip(NEXT) | instid1(VALU_DEP_1)
	v_min_u32_e32 v0, 32, v0
	v_subrev_nc_u32_e32 v1, 28, v0
	v_sub_nc_u32_e32 v0, 29, v0
	s_delay_alu instid0(VALU_DEP_2) | instskip(NEXT) | instid1(VALU_DEP_1)
	v_lshlrev_b64 v[1:2], v1, v[19:20]
	v_and_b32_e32 v35, 7, v1
; %bb.2433:                             ;   in Loop: Header=BB450_13 Depth=1
	s_or_b32 exec_lo, exec_lo, s25
	v_lshlrev_b32_e32 v1, 16, v33
	s_delay_alu instid0(VALU_DEP_2) | instskip(SKIP_1) | instid1(VALU_DEP_3)
	v_lshlrev_b32_e32 v2, 20, v35
	v_lshl_add_u32 v0, v0, 23, 0x3c000000
	v_and_b32_e32 v1, 0x80000000, v1
	s_delay_alu instid0(VALU_DEP_1)
	v_or3_b32 v0, v2, v1, v0
.LBB450_2434:                           ;   in Loop: Header=BB450_13 Depth=1
	s_or_b32 exec_lo, exec_lo, s24
.LBB450_2435:                           ;   in Loop: Header=BB450_13 Depth=1
	s_delay_alu instid0(SALU_CYCLE_1)
	s_or_b32 exec_lo, exec_lo, s23
.LBB450_2436:                           ;   in Loop: Header=BB450_13 Depth=1
	s_delay_alu instid0(SALU_CYCLE_1) | instskip(NEXT) | instid1(VALU_DEP_1)
	s_or_b32 exec_lo, exec_lo, s22
	v_mul_f32_e32 v0, v121, v0
                                        ; implicit-def: $vgpr174
	s_delay_alu instid0(VALU_DEP_1) | instskip(NEXT) | instid1(VALU_DEP_1)
	v_and_b32_e32 v1, 0x7f800000, v0
	v_cmp_ne_u32_e64 s2, 0x7f800000, v1
	s_delay_alu instid0(VALU_DEP_1) | instskip(NEXT) | instid1(SALU_CYCLE_1)
	s_and_saveexec_b32 s22, s2
	s_xor_b32 s2, exec_lo, s22
; %bb.2437:                             ;   in Loop: Header=BB450_13 Depth=1
	v_bfe_u32 v1, v0, 16, 1
	s_delay_alu instid0(VALU_DEP_1)
	v_add3_u32 v174, v0, v1, 0x7fff
                                        ; implicit-def: $vgpr0
; %bb.2438:                             ;   in Loop: Header=BB450_13 Depth=1
	s_and_not1_saveexec_b32 s22, s2
; %bb.2439:                             ;   in Loop: Header=BB450_13 Depth=1
	v_and_b32_e32 v1, 0xffff, v0
	v_or_b32_e32 v2, 0x10000, v0
	s_delay_alu instid0(VALU_DEP_2) | instskip(NEXT) | instid1(VALU_DEP_1)
	v_cmp_eq_u32_e64 s2, 0, v1
	v_cndmask_b32_e64 v174, v2, v0, s2
; %bb.2440:                             ;   in Loop: Header=BB450_13 Depth=1
	s_or_b32 exec_lo, exec_lo, s22
	v_lshrrev_b32_e32 v0, 16, v33
	s_mov_b32 s22, exec_lo
	s_delay_alu instid0(VALU_DEP_1) | instskip(NEXT) | instid1(VALU_DEP_1)
	v_dual_mov_b32 v1, 0 :: v_dual_and_b32 v2, 0xff, v0
	v_cmpx_ne_u16_e32 0, v2
	s_cbranch_execz .LBB450_2448
; %bb.2441:                             ;   in Loop: Header=BB450_13 Depth=1
	v_bfrev_b32_e32 v1, 1
	s_mov_b32 s23, exec_lo
	v_cmpx_ne_u16_e32 0x80, v2
	s_cbranch_execz .LBB450_2447
; %bb.2442:                             ;   in Loop: Header=BB450_13 Depth=1
	v_bfe_u32 v2, v33, 16, 7
	v_mov_b32_e32 v1, 0x7f800001
	s_mov_b32 s24, exec_lo
	s_delay_alu instid0(VALU_DEP_2)
	v_cmpx_ne_u32_e32 0x7f, v2
	s_cbranch_execz .LBB450_2446
; %bb.2443:                             ;   in Loop: Header=BB450_13 Depth=1
	v_and_b32_e32 v19, 7, v0
	v_mov_b32_e32 v36, v20
	v_lshrrev_b32_e32 v1, 3, v2
	s_mov_b32 s25, exec_lo
	s_delay_alu instid0(VALU_DEP_3)
	v_mov_b32_e32 v35, v19
	v_cmpx_gt_u32_e32 8, v2
; %bb.2444:                             ;   in Loop: Header=BB450_13 Depth=1
	v_clz_i32_u32_e32 v1, v19
	s_delay_alu instid0(VALU_DEP_1) | instskip(NEXT) | instid1(VALU_DEP_1)
	v_min_u32_e32 v1, 32, v1
	v_subrev_nc_u32_e32 v2, 28, v1
	v_sub_nc_u32_e32 v1, 29, v1
	s_delay_alu instid0(VALU_DEP_2) | instskip(NEXT) | instid1(VALU_DEP_1)
	v_lshlrev_b64 v[2:3], v2, v[19:20]
	v_and_b32_e32 v35, 7, v2
; %bb.2445:                             ;   in Loop: Header=BB450_13 Depth=1
	s_or_b32 exec_lo, exec_lo, s25
	v_lshlrev_b32_e32 v0, 24, v0
	s_delay_alu instid0(VALU_DEP_2) | instskip(SKIP_1) | instid1(VALU_DEP_3)
	v_lshlrev_b32_e32 v2, 20, v35
	v_lshl_add_u32 v1, v1, 23, 0x3c000000
	v_and_b32_e32 v0, 0x80000000, v0
	s_delay_alu instid0(VALU_DEP_1)
	v_or3_b32 v1, v2, v0, v1
.LBB450_2446:                           ;   in Loop: Header=BB450_13 Depth=1
	s_or_b32 exec_lo, exec_lo, s24
.LBB450_2447:                           ;   in Loop: Header=BB450_13 Depth=1
	s_delay_alu instid0(SALU_CYCLE_1)
	s_or_b32 exec_lo, exec_lo, s23
.LBB450_2448:                           ;   in Loop: Header=BB450_13 Depth=1
	s_delay_alu instid0(SALU_CYCLE_1) | instskip(NEXT) | instid1(VALU_DEP_1)
	s_or_b32 exec_lo, exec_lo, s22
	v_mul_f32_e32 v0, v121, v1
                                        ; implicit-def: $vgpr175
	s_delay_alu instid0(VALU_DEP_1) | instskip(NEXT) | instid1(VALU_DEP_1)
	v_and_b32_e32 v1, 0x7f800000, v0
	v_cmp_ne_u32_e64 s2, 0x7f800000, v1
	s_delay_alu instid0(VALU_DEP_1) | instskip(NEXT) | instid1(SALU_CYCLE_1)
	s_and_saveexec_b32 s22, s2
	s_xor_b32 s2, exec_lo, s22
; %bb.2449:                             ;   in Loop: Header=BB450_13 Depth=1
	v_bfe_u32 v1, v0, 16, 1
	s_delay_alu instid0(VALU_DEP_1)
	v_add3_u32 v175, v0, v1, 0x7fff
                                        ; implicit-def: $vgpr0
; %bb.2450:                             ;   in Loop: Header=BB450_13 Depth=1
	s_and_not1_saveexec_b32 s22, s2
; %bb.2451:                             ;   in Loop: Header=BB450_13 Depth=1
	v_and_b32_e32 v1, 0xffff, v0
	v_or_b32_e32 v2, 0x10000, v0
	s_delay_alu instid0(VALU_DEP_2) | instskip(NEXT) | instid1(VALU_DEP_1)
	v_cmp_eq_u32_e64 s2, 0, v1
	v_cndmask_b32_e64 v175, v2, v0, s2
; %bb.2452:                             ;   in Loop: Header=BB450_13 Depth=1
	s_or_b32 exec_lo, exec_lo, s22
	v_mov_b32_e32 v1, 0
	s_mov_b32 s22, exec_lo
	v_cmpx_lt_u32_e32 0xffffff, v33
	s_cbranch_execz .LBB450_2460
; %bb.2453:                             ;   in Loop: Header=BB450_13 Depth=1
	v_lshrrev_b32_e32 v0, 24, v33
	v_bfrev_b32_e32 v1, 1
	s_mov_b32 s23, exec_lo
	s_delay_alu instid0(VALU_DEP_2)
	v_cmpx_ne_u32_e32 0x80, v0
	s_cbranch_execz .LBB450_2459
; %bb.2454:                             ;   in Loop: Header=BB450_13 Depth=1
	v_bfe_u32 v2, v33, 24, 7
	v_mov_b32_e32 v1, 0x7f800001
	s_mov_b32 s24, exec_lo
	s_delay_alu instid0(VALU_DEP_2)
	v_cmpx_ne_u32_e32 0x7f, v2
	s_cbranch_execz .LBB450_2458
; %bb.2455:                             ;   in Loop: Header=BB450_13 Depth=1
	v_and_b32_e32 v19, 7, v0
	v_mov_b32_e32 v36, v20
	v_lshrrev_b32_e32 v1, 3, v2
	s_mov_b32 s25, exec_lo
	s_delay_alu instid0(VALU_DEP_3)
	v_mov_b32_e32 v35, v19
	v_cmpx_gt_u32_e32 8, v2
; %bb.2456:                             ;   in Loop: Header=BB450_13 Depth=1
	v_clz_i32_u32_e32 v1, v19
	s_delay_alu instid0(VALU_DEP_1) | instskip(NEXT) | instid1(VALU_DEP_1)
	v_min_u32_e32 v1, 32, v1
	v_subrev_nc_u32_e32 v2, 28, v1
	v_sub_nc_u32_e32 v1, 29, v1
	s_delay_alu instid0(VALU_DEP_2) | instskip(NEXT) | instid1(VALU_DEP_1)
	v_lshlrev_b64 v[2:3], v2, v[19:20]
	v_and_b32_e32 v35, 7, v2
; %bb.2457:                             ;   in Loop: Header=BB450_13 Depth=1
	s_or_b32 exec_lo, exec_lo, s25
	v_lshlrev_b32_e32 v0, 24, v0
	s_delay_alu instid0(VALU_DEP_2) | instskip(SKIP_1) | instid1(VALU_DEP_3)
	v_lshlrev_b32_e32 v2, 20, v35
	v_lshl_add_u32 v1, v1, 23, 0x3c000000
	v_and_b32_e32 v0, 0x80000000, v0
	s_delay_alu instid0(VALU_DEP_1)
	v_or3_b32 v1, v2, v0, v1
.LBB450_2458:                           ;   in Loop: Header=BB450_13 Depth=1
	s_or_b32 exec_lo, exec_lo, s24
.LBB450_2459:                           ;   in Loop: Header=BB450_13 Depth=1
	s_delay_alu instid0(SALU_CYCLE_1)
	s_or_b32 exec_lo, exec_lo, s23
.LBB450_2460:                           ;   in Loop: Header=BB450_13 Depth=1
	s_delay_alu instid0(SALU_CYCLE_1) | instskip(NEXT) | instid1(VALU_DEP_1)
	s_or_b32 exec_lo, exec_lo, s22
	v_mul_f32_e32 v0, v121, v1
                                        ; implicit-def: $vgpr184
	s_delay_alu instid0(VALU_DEP_1) | instskip(NEXT) | instid1(VALU_DEP_1)
	v_and_b32_e32 v1, 0x7f800000, v0
	v_cmp_ne_u32_e64 s2, 0x7f800000, v1
	s_delay_alu instid0(VALU_DEP_1) | instskip(NEXT) | instid1(SALU_CYCLE_1)
	s_and_saveexec_b32 s22, s2
	s_xor_b32 s2, exec_lo, s22
; %bb.2461:                             ;   in Loop: Header=BB450_13 Depth=1
	v_bfe_u32 v1, v0, 16, 1
	s_delay_alu instid0(VALU_DEP_1)
	v_add3_u32 v184, v0, v1, 0x7fff
                                        ; implicit-def: $vgpr0
; %bb.2462:                             ;   in Loop: Header=BB450_13 Depth=1
	s_and_not1_saveexec_b32 s22, s2
; %bb.2463:                             ;   in Loop: Header=BB450_13 Depth=1
	v_and_b32_e32 v1, 0xffff, v0
	v_or_b32_e32 v2, 0x10000, v0
	s_delay_alu instid0(VALU_DEP_2) | instskip(NEXT) | instid1(VALU_DEP_1)
	v_cmp_eq_u32_e64 s2, 0, v1
	v_cndmask_b32_e64 v184, v2, v0, s2
; %bb.2464:                             ;   in Loop: Header=BB450_13 Depth=1
	s_or_b32 exec_lo, exec_lo, s22
	v_dual_mov_b32 v0, 0 :: v_dual_and_b32 v1, 0xff, v34
	v_mov_b32_e32 v19, v34
	s_mov_b32 s22, exec_lo
	s_delay_alu instid0(VALU_DEP_2)
	v_cmpx_ne_u16_e32 0, v1
	s_cbranch_execz .LBB450_2472
; %bb.2465:                             ;   in Loop: Header=BB450_13 Depth=1
	v_bfrev_b32_e32 v0, 1
	s_mov_b32 s23, exec_lo
	v_cmpx_ne_u16_e32 0x80, v1
	s_cbranch_execz .LBB450_2471
; %bb.2466:                             ;   in Loop: Header=BB450_13 Depth=1
	v_and_b32_e32 v1, 0x7f, v34
	v_mov_b32_e32 v0, 0x7f800001
	s_mov_b32 s24, exec_lo
	s_delay_alu instid0(VALU_DEP_2)
	v_cmpx_ne_u32_e32 0x7f, v1
	s_cbranch_execz .LBB450_2470
; %bb.2467:                             ;   in Loop: Header=BB450_13 Depth=1
	v_dual_mov_b32 v36, v20 :: v_dual_mov_b32 v35, v19
	v_lshrrev_b32_e32 v0, 3, v1
	s_mov_b32 s25, exec_lo
	v_cmpx_gt_u32_e32 8, v1
; %bb.2468:                             ;   in Loop: Header=BB450_13 Depth=1
	v_and_b32_e32 v0, 7, v34
	s_delay_alu instid0(VALU_DEP_1) | instskip(NEXT) | instid1(VALU_DEP_1)
	v_clz_i32_u32_e32 v0, v0
	v_min_u32_e32 v0, 32, v0
	s_delay_alu instid0(VALU_DEP_1) | instskip(SKIP_1) | instid1(VALU_DEP_2)
	v_subrev_nc_u32_e32 v1, 28, v0
	v_sub_nc_u32_e32 v0, 29, v0
	v_lshlrev_b64 v[35:36], v1, v[19:20]
; %bb.2469:                             ;   in Loop: Header=BB450_13 Depth=1
	s_or_b32 exec_lo, exec_lo, s25
	s_delay_alu instid0(VALU_DEP_1) | instskip(SKIP_2) | instid1(VALU_DEP_3)
	v_lshlrev_b32_e32 v1, 20, v35
	v_lshlrev_b32_e32 v2, 24, v19
	v_lshl_add_u32 v0, v0, 23, 0x3c000000
	v_and_b32_e32 v1, 0x700000, v1
	s_delay_alu instid0(VALU_DEP_3) | instskip(NEXT) | instid1(VALU_DEP_1)
	v_and_b32_e32 v2, 0x80000000, v2
	v_or3_b32 v0, v1, v2, v0
.LBB450_2470:                           ;   in Loop: Header=BB450_13 Depth=1
	s_or_b32 exec_lo, exec_lo, s24
.LBB450_2471:                           ;   in Loop: Header=BB450_13 Depth=1
	s_delay_alu instid0(SALU_CYCLE_1)
	s_or_b32 exec_lo, exec_lo, s23
.LBB450_2472:                           ;   in Loop: Header=BB450_13 Depth=1
	s_delay_alu instid0(SALU_CYCLE_1) | instskip(NEXT) | instid1(VALU_DEP_1)
	s_or_b32 exec_lo, exec_lo, s22
	v_mul_f32_e32 v0, v121, v0
                                        ; implicit-def: $vgpr185
	s_delay_alu instid0(VALU_DEP_1) | instskip(NEXT) | instid1(VALU_DEP_1)
	v_and_b32_e32 v1, 0x7f800000, v0
	v_cmp_ne_u32_e64 s2, 0x7f800000, v1
	s_delay_alu instid0(VALU_DEP_1) | instskip(NEXT) | instid1(SALU_CYCLE_1)
	s_and_saveexec_b32 s22, s2
	s_xor_b32 s2, exec_lo, s22
; %bb.2473:                             ;   in Loop: Header=BB450_13 Depth=1
	v_bfe_u32 v1, v0, 16, 1
	s_delay_alu instid0(VALU_DEP_1)
	v_add3_u32 v185, v0, v1, 0x7fff
                                        ; implicit-def: $vgpr0
; %bb.2474:                             ;   in Loop: Header=BB450_13 Depth=1
	s_and_not1_saveexec_b32 s22, s2
; %bb.2475:                             ;   in Loop: Header=BB450_13 Depth=1
	v_and_b32_e32 v1, 0xffff, v0
	v_or_b32_e32 v2, 0x10000, v0
	s_delay_alu instid0(VALU_DEP_2) | instskip(NEXT) | instid1(VALU_DEP_1)
	v_cmp_eq_u32_e64 s2, 0, v1
	v_cndmask_b32_e64 v185, v2, v0, s2
; %bb.2476:                             ;   in Loop: Header=BB450_13 Depth=1
	s_or_b32 exec_lo, exec_lo, s22
	v_lshrrev_b16 v1, 8, v19
	v_mov_b32_e32 v0, 0
	s_mov_b32 s22, exec_lo
	s_delay_alu instid0(VALU_DEP_2)
	v_cmpx_ne_u16_e32 0, v1
	s_cbranch_execz .LBB450_2484
; %bb.2477:                             ;   in Loop: Header=BB450_13 Depth=1
	v_bfrev_b32_e32 v0, 1
	s_mov_b32 s23, exec_lo
	v_cmpx_ne_u16_e32 0x80, v1
	s_cbranch_execz .LBB450_2483
; %bb.2478:                             ;   in Loop: Header=BB450_13 Depth=1
	v_and_b32_e32 v2, 0xffff, v1
	v_mov_b32_e32 v0, 0x7f800001
	s_mov_b32 s24, exec_lo
	s_delay_alu instid0(VALU_DEP_2) | instskip(NEXT) | instid1(VALU_DEP_1)
	v_and_b32_e32 v1, 0x7f, v2
	v_cmpx_ne_u32_e32 0x7f, v1
	s_cbranch_execz .LBB450_2482
; %bb.2479:                             ;   in Loop: Header=BB450_13 Depth=1
	v_dual_mov_b32 v36, v20 :: v_dual_and_b32 v35, 7, v2
	v_lshrrev_b32_e32 v0, 3, v1
	s_mov_b32 s25, exec_lo
	v_cmpx_gt_u32_e32 8, v1
; %bb.2480:                             ;   in Loop: Header=BB450_13 Depth=1
	s_delay_alu instid0(VALU_DEP_3) | instskip(NEXT) | instid1(VALU_DEP_1)
	v_clz_i32_u32_e32 v0, v35
	v_min_u32_e32 v0, 32, v0
	s_delay_alu instid0(VALU_DEP_1) | instskip(SKIP_1) | instid1(VALU_DEP_2)
	v_subrev_nc_u32_e32 v1, 28, v0
	v_sub_nc_u32_e32 v0, 29, v0
	v_lshlrev_b64 v[1:2], v1, v[35:36]
	s_delay_alu instid0(VALU_DEP_1)
	v_and_b32_e32 v35, 7, v1
; %bb.2481:                             ;   in Loop: Header=BB450_13 Depth=1
	s_or_b32 exec_lo, exec_lo, s25
	v_lshlrev_b32_e32 v1, 16, v19
	s_delay_alu instid0(VALU_DEP_2) | instskip(SKIP_1) | instid1(VALU_DEP_3)
	v_lshlrev_b32_e32 v2, 20, v35
	v_lshl_add_u32 v0, v0, 23, 0x3c000000
	v_and_b32_e32 v1, 0x80000000, v1
	s_delay_alu instid0(VALU_DEP_1)
	v_or3_b32 v0, v2, v1, v0
.LBB450_2482:                           ;   in Loop: Header=BB450_13 Depth=1
	s_or_b32 exec_lo, exec_lo, s24
.LBB450_2483:                           ;   in Loop: Header=BB450_13 Depth=1
	s_delay_alu instid0(SALU_CYCLE_1)
	s_or_b32 exec_lo, exec_lo, s23
.LBB450_2484:                           ;   in Loop: Header=BB450_13 Depth=1
	s_delay_alu instid0(SALU_CYCLE_1) | instskip(NEXT) | instid1(VALU_DEP_1)
	s_or_b32 exec_lo, exec_lo, s22
	v_mul_f32_e32 v0, v121, v0
                                        ; implicit-def: $vgpr186
	s_delay_alu instid0(VALU_DEP_1) | instskip(NEXT) | instid1(VALU_DEP_1)
	v_and_b32_e32 v1, 0x7f800000, v0
	v_cmp_ne_u32_e64 s2, 0x7f800000, v1
	s_delay_alu instid0(VALU_DEP_1) | instskip(NEXT) | instid1(SALU_CYCLE_1)
	s_and_saveexec_b32 s22, s2
	s_xor_b32 s2, exec_lo, s22
; %bb.2485:                             ;   in Loop: Header=BB450_13 Depth=1
	v_bfe_u32 v1, v0, 16, 1
	s_delay_alu instid0(VALU_DEP_1)
	v_add3_u32 v186, v0, v1, 0x7fff
                                        ; implicit-def: $vgpr0
; %bb.2486:                             ;   in Loop: Header=BB450_13 Depth=1
	s_and_not1_saveexec_b32 s22, s2
; %bb.2487:                             ;   in Loop: Header=BB450_13 Depth=1
	v_and_b32_e32 v1, 0xffff, v0
	v_or_b32_e32 v2, 0x10000, v0
	s_delay_alu instid0(VALU_DEP_2) | instskip(NEXT) | instid1(VALU_DEP_1)
	v_cmp_eq_u32_e64 s2, 0, v1
	v_cndmask_b32_e64 v186, v2, v0, s2
; %bb.2488:                             ;   in Loop: Header=BB450_13 Depth=1
	s_or_b32 exec_lo, exec_lo, s22
	v_lshrrev_b32_e32 v0, 16, v34
	s_mov_b32 s22, exec_lo
	s_delay_alu instid0(VALU_DEP_1) | instskip(NEXT) | instid1(VALU_DEP_1)
	v_dual_mov_b32 v1, 0 :: v_dual_and_b32 v2, 0xff, v0
	v_cmpx_ne_u16_e32 0, v2
	s_cbranch_execz .LBB450_2496
; %bb.2489:                             ;   in Loop: Header=BB450_13 Depth=1
	v_bfrev_b32_e32 v1, 1
	s_mov_b32 s23, exec_lo
	v_cmpx_ne_u16_e32 0x80, v2
	s_cbranch_execz .LBB450_2495
; %bb.2490:                             ;   in Loop: Header=BB450_13 Depth=1
	v_bfe_u32 v2, v34, 16, 7
	v_mov_b32_e32 v1, 0x7f800001
	s_mov_b32 s24, exec_lo
	s_delay_alu instid0(VALU_DEP_2)
	v_cmpx_ne_u32_e32 0x7f, v2
	s_cbranch_execz .LBB450_2494
; %bb.2491:                             ;   in Loop: Header=BB450_13 Depth=1
	v_and_b32_e32 v19, 7, v0
	v_mov_b32_e32 v36, v20
	v_lshrrev_b32_e32 v1, 3, v2
	s_mov_b32 s25, exec_lo
	s_delay_alu instid0(VALU_DEP_3)
	v_mov_b32_e32 v35, v19
	v_cmpx_gt_u32_e32 8, v2
; %bb.2492:                             ;   in Loop: Header=BB450_13 Depth=1
	v_clz_i32_u32_e32 v1, v19
	s_delay_alu instid0(VALU_DEP_1) | instskip(NEXT) | instid1(VALU_DEP_1)
	v_min_u32_e32 v1, 32, v1
	v_subrev_nc_u32_e32 v2, 28, v1
	v_sub_nc_u32_e32 v1, 29, v1
	s_delay_alu instid0(VALU_DEP_2) | instskip(NEXT) | instid1(VALU_DEP_1)
	v_lshlrev_b64 v[2:3], v2, v[19:20]
	v_and_b32_e32 v35, 7, v2
; %bb.2493:                             ;   in Loop: Header=BB450_13 Depth=1
	s_or_b32 exec_lo, exec_lo, s25
	v_lshlrev_b32_e32 v0, 24, v0
	s_delay_alu instid0(VALU_DEP_2) | instskip(SKIP_1) | instid1(VALU_DEP_3)
	v_lshlrev_b32_e32 v2, 20, v35
	v_lshl_add_u32 v1, v1, 23, 0x3c000000
	v_and_b32_e32 v0, 0x80000000, v0
	s_delay_alu instid0(VALU_DEP_1)
	v_or3_b32 v1, v2, v0, v1
.LBB450_2494:                           ;   in Loop: Header=BB450_13 Depth=1
	s_or_b32 exec_lo, exec_lo, s24
.LBB450_2495:                           ;   in Loop: Header=BB450_13 Depth=1
	s_delay_alu instid0(SALU_CYCLE_1)
	s_or_b32 exec_lo, exec_lo, s23
.LBB450_2496:                           ;   in Loop: Header=BB450_13 Depth=1
	s_delay_alu instid0(SALU_CYCLE_1) | instskip(NEXT) | instid1(VALU_DEP_1)
	s_or_b32 exec_lo, exec_lo, s22
	v_mul_f32_e32 v0, v121, v1
                                        ; implicit-def: $vgpr187
	s_delay_alu instid0(VALU_DEP_1) | instskip(NEXT) | instid1(VALU_DEP_1)
	v_and_b32_e32 v1, 0x7f800000, v0
	v_cmp_ne_u32_e64 s2, 0x7f800000, v1
	s_delay_alu instid0(VALU_DEP_1) | instskip(NEXT) | instid1(SALU_CYCLE_1)
	s_and_saveexec_b32 s22, s2
	s_xor_b32 s2, exec_lo, s22
; %bb.2497:                             ;   in Loop: Header=BB450_13 Depth=1
	v_bfe_u32 v1, v0, 16, 1
	s_delay_alu instid0(VALU_DEP_1)
	v_add3_u32 v187, v0, v1, 0x7fff
                                        ; implicit-def: $vgpr0
; %bb.2498:                             ;   in Loop: Header=BB450_13 Depth=1
	s_and_not1_saveexec_b32 s22, s2
; %bb.2499:                             ;   in Loop: Header=BB450_13 Depth=1
	v_and_b32_e32 v1, 0xffff, v0
	v_or_b32_e32 v2, 0x10000, v0
	s_delay_alu instid0(VALU_DEP_2) | instskip(NEXT) | instid1(VALU_DEP_1)
	v_cmp_eq_u32_e64 s2, 0, v1
	v_cndmask_b32_e64 v187, v2, v0, s2
; %bb.2500:                             ;   in Loop: Header=BB450_13 Depth=1
	s_or_b32 exec_lo, exec_lo, s22
	v_mov_b32_e32 v1, 0
	s_mov_b32 s22, exec_lo
	v_cmpx_lt_u64_e64 s[8:9], v[33:34]
	s_cbranch_execz .LBB450_2508
; %bb.2501:                             ;   in Loop: Header=BB450_13 Depth=1
	v_lshrrev_b32_e32 v0, 24, v34
	v_bfrev_b32_e32 v1, 1
	s_mov_b32 s23, exec_lo
	s_delay_alu instid0(VALU_DEP_2)
	v_cmpx_ne_u32_e32 0x80, v0
	s_cbranch_execz .LBB450_2507
; %bb.2502:                             ;   in Loop: Header=BB450_13 Depth=1
	v_bfe_u32 v2, v34, 24, 7
	v_mov_b32_e32 v1, 0x7f800001
	s_mov_b32 s24, exec_lo
	s_delay_alu instid0(VALU_DEP_2)
	v_cmpx_ne_u32_e32 0x7f, v2
	s_cbranch_execz .LBB450_2506
; %bb.2503:                             ;   in Loop: Header=BB450_13 Depth=1
	v_and_b32_e32 v19, 7, v0
	v_mov_b32_e32 v34, v20
	v_lshrrev_b32_e32 v1, 3, v2
	s_mov_b32 s25, exec_lo
	s_delay_alu instid0(VALU_DEP_3)
	v_mov_b32_e32 v33, v19
	v_cmpx_gt_u32_e32 8, v2
; %bb.2504:                             ;   in Loop: Header=BB450_13 Depth=1
	v_clz_i32_u32_e32 v1, v19
	s_delay_alu instid0(VALU_DEP_1) | instskip(NEXT) | instid1(VALU_DEP_1)
	v_min_u32_e32 v1, 32, v1
	v_subrev_nc_u32_e32 v2, 28, v1
	v_sub_nc_u32_e32 v1, 29, v1
	s_delay_alu instid0(VALU_DEP_2) | instskip(NEXT) | instid1(VALU_DEP_1)
	v_lshlrev_b64 v[2:3], v2, v[19:20]
	v_and_b32_e32 v33, 7, v2
; %bb.2505:                             ;   in Loop: Header=BB450_13 Depth=1
	s_or_b32 exec_lo, exec_lo, s25
	v_lshlrev_b32_e32 v0, 24, v0
	s_delay_alu instid0(VALU_DEP_2) | instskip(SKIP_1) | instid1(VALU_DEP_3)
	v_lshlrev_b32_e32 v2, 20, v33
	v_lshl_add_u32 v1, v1, 23, 0x3c000000
	v_and_b32_e32 v0, 0x80000000, v0
	s_delay_alu instid0(VALU_DEP_1)
	v_or3_b32 v1, v2, v0, v1
.LBB450_2506:                           ;   in Loop: Header=BB450_13 Depth=1
	s_or_b32 exec_lo, exec_lo, s24
.LBB450_2507:                           ;   in Loop: Header=BB450_13 Depth=1
	s_delay_alu instid0(SALU_CYCLE_1)
	s_or_b32 exec_lo, exec_lo, s23
.LBB450_2508:                           ;   in Loop: Header=BB450_13 Depth=1
	s_delay_alu instid0(SALU_CYCLE_1) | instskip(NEXT) | instid1(VALU_DEP_1)
	s_or_b32 exec_lo, exec_lo, s22
	v_mul_f32_e32 v0, v121, v1
                                        ; implicit-def: $vgpr188
	s_delay_alu instid0(VALU_DEP_1) | instskip(NEXT) | instid1(VALU_DEP_1)
	v_and_b32_e32 v1, 0x7f800000, v0
	v_cmp_ne_u32_e64 s2, 0x7f800000, v1
	s_delay_alu instid0(VALU_DEP_1) | instskip(NEXT) | instid1(SALU_CYCLE_1)
	s_and_saveexec_b32 s22, s2
	s_xor_b32 s2, exec_lo, s22
; %bb.2509:                             ;   in Loop: Header=BB450_13 Depth=1
	v_bfe_u32 v1, v0, 16, 1
	s_delay_alu instid0(VALU_DEP_1)
	v_add3_u32 v188, v0, v1, 0x7fff
                                        ; implicit-def: $vgpr0
; %bb.2510:                             ;   in Loop: Header=BB450_13 Depth=1
	s_and_not1_saveexec_b32 s22, s2
; %bb.2511:                             ;   in Loop: Header=BB450_13 Depth=1
	v_and_b32_e32 v1, 0xffff, v0
	v_or_b32_e32 v2, 0x10000, v0
	s_delay_alu instid0(VALU_DEP_2) | instskip(NEXT) | instid1(VALU_DEP_1)
	v_cmp_eq_u32_e64 s2, 0, v1
	v_cndmask_b32_e64 v188, v2, v0, s2
; %bb.2512:                             ;   in Loop: Header=BB450_13 Depth=1
	s_or_b32 exec_lo, exec_lo, s22
	flat_load_b64 v[33:34], v[31:32] offset:2560
	s_mov_b32 s22, exec_lo
	s_waitcnt vmcnt(0) lgkmcnt(0)
	v_dual_mov_b32 v0, 0 :: v_dual_and_b32 v1, 0xff, v33
	s_delay_alu instid0(VALU_DEP_1)
	v_cmpx_ne_u16_e32 0, v1
	s_cbranch_execz .LBB450_2520
; %bb.2513:                             ;   in Loop: Header=BB450_13 Depth=1
	v_bfrev_b32_e32 v0, 1
	s_mov_b32 s23, exec_lo
	v_cmpx_ne_u16_e32 0x80, v1
	s_cbranch_execz .LBB450_2519
; %bb.2514:                             ;   in Loop: Header=BB450_13 Depth=1
	v_and_b32_e32 v1, 0x7f, v33
	v_mov_b32_e32 v0, 0x7f800001
	s_mov_b32 s24, exec_lo
	s_delay_alu instid0(VALU_DEP_2)
	v_cmpx_ne_u32_e32 0x7f, v1
	s_cbranch_execz .LBB450_2518
; %bb.2515:                             ;   in Loop: Header=BB450_13 Depth=1
	v_lshrrev_b32_e32 v0, 3, v1
	v_dual_mov_b32 v36, v34 :: v_dual_mov_b32 v35, v33
	s_mov_b32 s25, exec_lo
	v_cmpx_gt_u32_e32 8, v1
; %bb.2516:                             ;   in Loop: Header=BB450_13 Depth=1
	v_and_b32_e32 v0, 7, v33
	s_delay_alu instid0(VALU_DEP_1) | instskip(NEXT) | instid1(VALU_DEP_1)
	v_clz_i32_u32_e32 v0, v0
	v_min_u32_e32 v0, 32, v0
	s_delay_alu instid0(VALU_DEP_1) | instskip(SKIP_1) | instid1(VALU_DEP_2)
	v_subrev_nc_u32_e32 v1, 28, v0
	v_sub_nc_u32_e32 v0, 29, v0
	v_lshlrev_b64 v[35:36], v1, v[33:34]
; %bb.2517:                             ;   in Loop: Header=BB450_13 Depth=1
	s_or_b32 exec_lo, exec_lo, s25
	s_delay_alu instid0(VALU_DEP_1) | instskip(SKIP_2) | instid1(VALU_DEP_3)
	v_lshlrev_b32_e32 v1, 20, v35
	v_lshlrev_b32_e32 v2, 24, v33
	v_lshl_add_u32 v0, v0, 23, 0x3c000000
	v_and_b32_e32 v1, 0x700000, v1
	s_delay_alu instid0(VALU_DEP_3) | instskip(NEXT) | instid1(VALU_DEP_1)
	v_and_b32_e32 v2, 0x80000000, v2
	v_or3_b32 v0, v1, v2, v0
.LBB450_2518:                           ;   in Loop: Header=BB450_13 Depth=1
	s_or_b32 exec_lo, exec_lo, s24
.LBB450_2519:                           ;   in Loop: Header=BB450_13 Depth=1
	s_delay_alu instid0(SALU_CYCLE_1)
	s_or_b32 exec_lo, exec_lo, s23
.LBB450_2520:                           ;   in Loop: Header=BB450_13 Depth=1
	s_delay_alu instid0(SALU_CYCLE_1) | instskip(NEXT) | instid1(VALU_DEP_1)
	s_or_b32 exec_lo, exec_lo, s22
	v_mul_f32_e32 v0, v121, v0
                                        ; implicit-def: $vgpr189
	s_delay_alu instid0(VALU_DEP_1) | instskip(NEXT) | instid1(VALU_DEP_1)
	v_and_b32_e32 v1, 0x7f800000, v0
	v_cmp_ne_u32_e64 s2, 0x7f800000, v1
	s_delay_alu instid0(VALU_DEP_1) | instskip(NEXT) | instid1(SALU_CYCLE_1)
	s_and_saveexec_b32 s22, s2
	s_xor_b32 s2, exec_lo, s22
; %bb.2521:                             ;   in Loop: Header=BB450_13 Depth=1
	v_bfe_u32 v1, v0, 16, 1
	s_delay_alu instid0(VALU_DEP_1)
	v_add3_u32 v189, v0, v1, 0x7fff
                                        ; implicit-def: $vgpr0
; %bb.2522:                             ;   in Loop: Header=BB450_13 Depth=1
	s_and_not1_saveexec_b32 s22, s2
; %bb.2523:                             ;   in Loop: Header=BB450_13 Depth=1
	v_and_b32_e32 v1, 0xffff, v0
	v_or_b32_e32 v2, 0x10000, v0
	s_delay_alu instid0(VALU_DEP_2) | instskip(NEXT) | instid1(VALU_DEP_1)
	v_cmp_eq_u32_e64 s2, 0, v1
	v_cndmask_b32_e64 v189, v2, v0, s2
; %bb.2524:                             ;   in Loop: Header=BB450_13 Depth=1
	s_or_b32 exec_lo, exec_lo, s22
	v_lshrrev_b16 v1, 8, v33
	v_mov_b32_e32 v0, 0
	s_mov_b32 s22, exec_lo
	s_delay_alu instid0(VALU_DEP_2)
	v_cmpx_ne_u16_e32 0, v1
	s_cbranch_execz .LBB450_2532
; %bb.2525:                             ;   in Loop: Header=BB450_13 Depth=1
	v_bfrev_b32_e32 v0, 1
	s_mov_b32 s23, exec_lo
	v_cmpx_ne_u16_e32 0x80, v1
	s_cbranch_execz .LBB450_2531
; %bb.2526:                             ;   in Loop: Header=BB450_13 Depth=1
	v_and_b32_e32 v2, 0xffff, v1
	v_mov_b32_e32 v0, 0x7f800001
	s_mov_b32 s24, exec_lo
	s_delay_alu instid0(VALU_DEP_2) | instskip(NEXT) | instid1(VALU_DEP_1)
	v_and_b32_e32 v1, 0x7f, v2
	v_cmpx_ne_u32_e32 0x7f, v1
	s_cbranch_execz .LBB450_2530
; %bb.2527:                             ;   in Loop: Header=BB450_13 Depth=1
	v_and_b32_e32 v19, 7, v2
	v_mov_b32_e32 v36, v20
	v_lshrrev_b32_e32 v0, 3, v1
	s_mov_b32 s25, exec_lo
	s_delay_alu instid0(VALU_DEP_3)
	v_mov_b32_e32 v35, v19
	v_cmpx_gt_u32_e32 8, v1
; %bb.2528:                             ;   in Loop: Header=BB450_13 Depth=1
	v_clz_i32_u32_e32 v0, v19
	s_delay_alu instid0(VALU_DEP_1) | instskip(NEXT) | instid1(VALU_DEP_1)
	v_min_u32_e32 v0, 32, v0
	v_subrev_nc_u32_e32 v1, 28, v0
	v_sub_nc_u32_e32 v0, 29, v0
	s_delay_alu instid0(VALU_DEP_2) | instskip(NEXT) | instid1(VALU_DEP_1)
	v_lshlrev_b64 v[1:2], v1, v[19:20]
	v_and_b32_e32 v35, 7, v1
; %bb.2529:                             ;   in Loop: Header=BB450_13 Depth=1
	s_or_b32 exec_lo, exec_lo, s25
	v_lshlrev_b32_e32 v1, 16, v33
	s_delay_alu instid0(VALU_DEP_2) | instskip(SKIP_1) | instid1(VALU_DEP_3)
	v_lshlrev_b32_e32 v2, 20, v35
	v_lshl_add_u32 v0, v0, 23, 0x3c000000
	v_and_b32_e32 v1, 0x80000000, v1
	s_delay_alu instid0(VALU_DEP_1)
	v_or3_b32 v0, v2, v1, v0
.LBB450_2530:                           ;   in Loop: Header=BB450_13 Depth=1
	s_or_b32 exec_lo, exec_lo, s24
.LBB450_2531:                           ;   in Loop: Header=BB450_13 Depth=1
	s_delay_alu instid0(SALU_CYCLE_1)
	s_or_b32 exec_lo, exec_lo, s23
.LBB450_2532:                           ;   in Loop: Header=BB450_13 Depth=1
	s_delay_alu instid0(SALU_CYCLE_1) | instskip(NEXT) | instid1(VALU_DEP_1)
	s_or_b32 exec_lo, exec_lo, s22
	v_mul_f32_e32 v0, v121, v0
                                        ; implicit-def: $vgpr190
	s_delay_alu instid0(VALU_DEP_1) | instskip(NEXT) | instid1(VALU_DEP_1)
	v_and_b32_e32 v1, 0x7f800000, v0
	v_cmp_ne_u32_e64 s2, 0x7f800000, v1
	s_delay_alu instid0(VALU_DEP_1) | instskip(NEXT) | instid1(SALU_CYCLE_1)
	s_and_saveexec_b32 s22, s2
	s_xor_b32 s2, exec_lo, s22
; %bb.2533:                             ;   in Loop: Header=BB450_13 Depth=1
	v_bfe_u32 v1, v0, 16, 1
	s_delay_alu instid0(VALU_DEP_1)
	v_add3_u32 v190, v0, v1, 0x7fff
                                        ; implicit-def: $vgpr0
; %bb.2534:                             ;   in Loop: Header=BB450_13 Depth=1
	s_and_not1_saveexec_b32 s22, s2
; %bb.2535:                             ;   in Loop: Header=BB450_13 Depth=1
	v_and_b32_e32 v1, 0xffff, v0
	v_or_b32_e32 v2, 0x10000, v0
	s_delay_alu instid0(VALU_DEP_2) | instskip(NEXT) | instid1(VALU_DEP_1)
	v_cmp_eq_u32_e64 s2, 0, v1
	v_cndmask_b32_e64 v190, v2, v0, s2
; %bb.2536:                             ;   in Loop: Header=BB450_13 Depth=1
	s_or_b32 exec_lo, exec_lo, s22
	v_lshrrev_b32_e32 v0, 16, v33
	s_mov_b32 s22, exec_lo
	s_delay_alu instid0(VALU_DEP_1) | instskip(NEXT) | instid1(VALU_DEP_1)
	v_dual_mov_b32 v1, 0 :: v_dual_and_b32 v2, 0xff, v0
	v_cmpx_ne_u16_e32 0, v2
	s_cbranch_execz .LBB450_2544
; %bb.2537:                             ;   in Loop: Header=BB450_13 Depth=1
	v_bfrev_b32_e32 v1, 1
	s_mov_b32 s23, exec_lo
	v_cmpx_ne_u16_e32 0x80, v2
	s_cbranch_execz .LBB450_2543
; %bb.2538:                             ;   in Loop: Header=BB450_13 Depth=1
	v_bfe_u32 v2, v33, 16, 7
	v_mov_b32_e32 v1, 0x7f800001
	s_mov_b32 s24, exec_lo
	s_delay_alu instid0(VALU_DEP_2)
	v_cmpx_ne_u32_e32 0x7f, v2
	s_cbranch_execz .LBB450_2542
; %bb.2539:                             ;   in Loop: Header=BB450_13 Depth=1
	v_and_b32_e32 v19, 7, v0
	v_mov_b32_e32 v36, v20
	v_lshrrev_b32_e32 v1, 3, v2
	s_mov_b32 s25, exec_lo
	s_delay_alu instid0(VALU_DEP_3)
	v_mov_b32_e32 v35, v19
	v_cmpx_gt_u32_e32 8, v2
; %bb.2540:                             ;   in Loop: Header=BB450_13 Depth=1
	v_clz_i32_u32_e32 v1, v19
	s_delay_alu instid0(VALU_DEP_1) | instskip(NEXT) | instid1(VALU_DEP_1)
	v_min_u32_e32 v1, 32, v1
	v_subrev_nc_u32_e32 v2, 28, v1
	v_sub_nc_u32_e32 v1, 29, v1
	s_delay_alu instid0(VALU_DEP_2) | instskip(NEXT) | instid1(VALU_DEP_1)
	v_lshlrev_b64 v[2:3], v2, v[19:20]
	v_and_b32_e32 v35, 7, v2
; %bb.2541:                             ;   in Loop: Header=BB450_13 Depth=1
	s_or_b32 exec_lo, exec_lo, s25
	v_lshlrev_b32_e32 v0, 24, v0
	s_delay_alu instid0(VALU_DEP_2) | instskip(SKIP_1) | instid1(VALU_DEP_3)
	v_lshlrev_b32_e32 v2, 20, v35
	v_lshl_add_u32 v1, v1, 23, 0x3c000000
	v_and_b32_e32 v0, 0x80000000, v0
	s_delay_alu instid0(VALU_DEP_1)
	v_or3_b32 v1, v2, v0, v1
.LBB450_2542:                           ;   in Loop: Header=BB450_13 Depth=1
	s_or_b32 exec_lo, exec_lo, s24
.LBB450_2543:                           ;   in Loop: Header=BB450_13 Depth=1
	s_delay_alu instid0(SALU_CYCLE_1)
	s_or_b32 exec_lo, exec_lo, s23
.LBB450_2544:                           ;   in Loop: Header=BB450_13 Depth=1
	s_delay_alu instid0(SALU_CYCLE_1) | instskip(NEXT) | instid1(VALU_DEP_1)
	s_or_b32 exec_lo, exec_lo, s22
	v_mul_f32_e32 v0, v121, v1
                                        ; implicit-def: $vgpr191
	s_delay_alu instid0(VALU_DEP_1) | instskip(NEXT) | instid1(VALU_DEP_1)
	v_and_b32_e32 v1, 0x7f800000, v0
	v_cmp_ne_u32_e64 s2, 0x7f800000, v1
	s_delay_alu instid0(VALU_DEP_1) | instskip(NEXT) | instid1(SALU_CYCLE_1)
	s_and_saveexec_b32 s22, s2
	s_xor_b32 s2, exec_lo, s22
; %bb.2545:                             ;   in Loop: Header=BB450_13 Depth=1
	v_bfe_u32 v1, v0, 16, 1
	s_delay_alu instid0(VALU_DEP_1)
	v_add3_u32 v191, v0, v1, 0x7fff
                                        ; implicit-def: $vgpr0
; %bb.2546:                             ;   in Loop: Header=BB450_13 Depth=1
	s_and_not1_saveexec_b32 s22, s2
; %bb.2547:                             ;   in Loop: Header=BB450_13 Depth=1
	v_and_b32_e32 v1, 0xffff, v0
	v_or_b32_e32 v2, 0x10000, v0
	s_delay_alu instid0(VALU_DEP_2) | instskip(NEXT) | instid1(VALU_DEP_1)
	v_cmp_eq_u32_e64 s2, 0, v1
	v_cndmask_b32_e64 v191, v2, v0, s2
; %bb.2548:                             ;   in Loop: Header=BB450_13 Depth=1
	s_or_b32 exec_lo, exec_lo, s22
	v_mov_b32_e32 v1, 0
	s_mov_b32 s22, exec_lo
	v_cmpx_lt_u32_e32 0xffffff, v33
	s_cbranch_execz .LBB450_2556
; %bb.2549:                             ;   in Loop: Header=BB450_13 Depth=1
	v_lshrrev_b32_e32 v0, 24, v33
	v_bfrev_b32_e32 v1, 1
	s_mov_b32 s23, exec_lo
	s_delay_alu instid0(VALU_DEP_2)
	v_cmpx_ne_u32_e32 0x80, v0
	s_cbranch_execz .LBB450_2555
; %bb.2550:                             ;   in Loop: Header=BB450_13 Depth=1
	v_bfe_u32 v2, v33, 24, 7
	v_mov_b32_e32 v1, 0x7f800001
	s_mov_b32 s24, exec_lo
	s_delay_alu instid0(VALU_DEP_2)
	v_cmpx_ne_u32_e32 0x7f, v2
	s_cbranch_execz .LBB450_2554
; %bb.2551:                             ;   in Loop: Header=BB450_13 Depth=1
	v_and_b32_e32 v19, 7, v0
	v_mov_b32_e32 v36, v20
	v_lshrrev_b32_e32 v1, 3, v2
	s_mov_b32 s25, exec_lo
	s_delay_alu instid0(VALU_DEP_3)
	v_mov_b32_e32 v35, v19
	v_cmpx_gt_u32_e32 8, v2
; %bb.2552:                             ;   in Loop: Header=BB450_13 Depth=1
	v_clz_i32_u32_e32 v1, v19
	s_delay_alu instid0(VALU_DEP_1) | instskip(NEXT) | instid1(VALU_DEP_1)
	v_min_u32_e32 v1, 32, v1
	v_subrev_nc_u32_e32 v2, 28, v1
	v_sub_nc_u32_e32 v1, 29, v1
	s_delay_alu instid0(VALU_DEP_2) | instskip(NEXT) | instid1(VALU_DEP_1)
	v_lshlrev_b64 v[2:3], v2, v[19:20]
	v_and_b32_e32 v35, 7, v2
; %bb.2553:                             ;   in Loop: Header=BB450_13 Depth=1
	s_or_b32 exec_lo, exec_lo, s25
	v_lshlrev_b32_e32 v0, 24, v0
	s_delay_alu instid0(VALU_DEP_2) | instskip(SKIP_1) | instid1(VALU_DEP_3)
	v_lshlrev_b32_e32 v2, 20, v35
	v_lshl_add_u32 v1, v1, 23, 0x3c000000
	v_and_b32_e32 v0, 0x80000000, v0
	s_delay_alu instid0(VALU_DEP_1)
	v_or3_b32 v1, v2, v0, v1
.LBB450_2554:                           ;   in Loop: Header=BB450_13 Depth=1
	s_or_b32 exec_lo, exec_lo, s24
.LBB450_2555:                           ;   in Loop: Header=BB450_13 Depth=1
	s_delay_alu instid0(SALU_CYCLE_1)
	s_or_b32 exec_lo, exec_lo, s23
.LBB450_2556:                           ;   in Loop: Header=BB450_13 Depth=1
	s_delay_alu instid0(SALU_CYCLE_1) | instskip(NEXT) | instid1(VALU_DEP_1)
	s_or_b32 exec_lo, exec_lo, s22
	v_mul_f32_e32 v0, v121, v1
                                        ; implicit-def: $vgpr101
	s_delay_alu instid0(VALU_DEP_1) | instskip(NEXT) | instid1(VALU_DEP_1)
	v_and_b32_e32 v1, 0x7f800000, v0
	v_cmp_ne_u32_e64 s2, 0x7f800000, v1
	s_delay_alu instid0(VALU_DEP_1) | instskip(NEXT) | instid1(SALU_CYCLE_1)
	s_and_saveexec_b32 s22, s2
	s_xor_b32 s2, exec_lo, s22
; %bb.2557:                             ;   in Loop: Header=BB450_13 Depth=1
	v_bfe_u32 v1, v0, 16, 1
	s_delay_alu instid0(VALU_DEP_1)
	v_add3_u32 v101, v0, v1, 0x7fff
                                        ; implicit-def: $vgpr0
; %bb.2558:                             ;   in Loop: Header=BB450_13 Depth=1
	s_and_not1_saveexec_b32 s22, s2
; %bb.2559:                             ;   in Loop: Header=BB450_13 Depth=1
	v_and_b32_e32 v1, 0xffff, v0
	v_or_b32_e32 v2, 0x10000, v0
	s_delay_alu instid0(VALU_DEP_2) | instskip(NEXT) | instid1(VALU_DEP_1)
	v_cmp_eq_u32_e64 s2, 0, v1
	v_cndmask_b32_e64 v101, v2, v0, s2
; %bb.2560:                             ;   in Loop: Header=BB450_13 Depth=1
	s_or_b32 exec_lo, exec_lo, s22
	v_dual_mov_b32 v0, 0 :: v_dual_and_b32 v1, 0xff, v34
	v_mov_b32_e32 v19, v34
	s_mov_b32 s22, exec_lo
	s_delay_alu instid0(VALU_DEP_2)
	v_cmpx_ne_u16_e32 0, v1
	s_cbranch_execz .LBB450_2568
; %bb.2561:                             ;   in Loop: Header=BB450_13 Depth=1
	v_bfrev_b32_e32 v0, 1
	s_mov_b32 s23, exec_lo
	v_cmpx_ne_u16_e32 0x80, v1
	s_cbranch_execz .LBB450_2567
; %bb.2562:                             ;   in Loop: Header=BB450_13 Depth=1
	v_and_b32_e32 v1, 0x7f, v34
	v_mov_b32_e32 v0, 0x7f800001
	s_mov_b32 s24, exec_lo
	s_delay_alu instid0(VALU_DEP_2)
	v_cmpx_ne_u32_e32 0x7f, v1
	s_cbranch_execz .LBB450_2566
; %bb.2563:                             ;   in Loop: Header=BB450_13 Depth=1
	v_dual_mov_b32 v36, v20 :: v_dual_mov_b32 v35, v19
	v_lshrrev_b32_e32 v0, 3, v1
	s_mov_b32 s25, exec_lo
	v_cmpx_gt_u32_e32 8, v1
; %bb.2564:                             ;   in Loop: Header=BB450_13 Depth=1
	v_and_b32_e32 v0, 7, v34
	s_delay_alu instid0(VALU_DEP_1) | instskip(NEXT) | instid1(VALU_DEP_1)
	v_clz_i32_u32_e32 v0, v0
	v_min_u32_e32 v0, 32, v0
	s_delay_alu instid0(VALU_DEP_1) | instskip(SKIP_1) | instid1(VALU_DEP_2)
	v_subrev_nc_u32_e32 v1, 28, v0
	v_sub_nc_u32_e32 v0, 29, v0
	v_lshlrev_b64 v[35:36], v1, v[19:20]
; %bb.2565:                             ;   in Loop: Header=BB450_13 Depth=1
	s_or_b32 exec_lo, exec_lo, s25
	s_delay_alu instid0(VALU_DEP_1) | instskip(SKIP_2) | instid1(VALU_DEP_3)
	v_lshlrev_b32_e32 v1, 20, v35
	v_lshlrev_b32_e32 v2, 24, v19
	v_lshl_add_u32 v0, v0, 23, 0x3c000000
	v_and_b32_e32 v1, 0x700000, v1
	s_delay_alu instid0(VALU_DEP_3) | instskip(NEXT) | instid1(VALU_DEP_1)
	v_and_b32_e32 v2, 0x80000000, v2
	v_or3_b32 v0, v1, v2, v0
.LBB450_2566:                           ;   in Loop: Header=BB450_13 Depth=1
	s_or_b32 exec_lo, exec_lo, s24
.LBB450_2567:                           ;   in Loop: Header=BB450_13 Depth=1
	s_delay_alu instid0(SALU_CYCLE_1)
	s_or_b32 exec_lo, exec_lo, s23
.LBB450_2568:                           ;   in Loop: Header=BB450_13 Depth=1
	s_delay_alu instid0(SALU_CYCLE_1) | instskip(NEXT) | instid1(VALU_DEP_1)
	s_or_b32 exec_lo, exec_lo, s22
	v_mul_f32_e32 v0, v121, v0
                                        ; implicit-def: $vgpr5
	s_delay_alu instid0(VALU_DEP_1) | instskip(NEXT) | instid1(VALU_DEP_1)
	v_and_b32_e32 v1, 0x7f800000, v0
	v_cmp_ne_u32_e64 s2, 0x7f800000, v1
	s_delay_alu instid0(VALU_DEP_1) | instskip(NEXT) | instid1(SALU_CYCLE_1)
	s_and_saveexec_b32 s22, s2
	s_xor_b32 s2, exec_lo, s22
; %bb.2569:                             ;   in Loop: Header=BB450_13 Depth=1
	v_bfe_u32 v1, v0, 16, 1
	s_delay_alu instid0(VALU_DEP_1)
	v_add3_u32 v5, v0, v1, 0x7fff
                                        ; implicit-def: $vgpr0
; %bb.2570:                             ;   in Loop: Header=BB450_13 Depth=1
	s_and_not1_saveexec_b32 s22, s2
; %bb.2571:                             ;   in Loop: Header=BB450_13 Depth=1
	v_and_b32_e32 v1, 0xffff, v0
	v_or_b32_e32 v2, 0x10000, v0
	s_delay_alu instid0(VALU_DEP_2) | instskip(NEXT) | instid1(VALU_DEP_1)
	v_cmp_eq_u32_e64 s2, 0, v1
	v_cndmask_b32_e64 v5, v2, v0, s2
; %bb.2572:                             ;   in Loop: Header=BB450_13 Depth=1
	s_or_b32 exec_lo, exec_lo, s22
	v_lshrrev_b16 v1, 8, v19
	v_mov_b32_e32 v0, 0
	s_mov_b32 s22, exec_lo
	s_delay_alu instid0(VALU_DEP_2)
	v_cmpx_ne_u16_e32 0, v1
	s_cbranch_execz .LBB450_2580
; %bb.2573:                             ;   in Loop: Header=BB450_13 Depth=1
	v_bfrev_b32_e32 v0, 1
	s_mov_b32 s23, exec_lo
	v_cmpx_ne_u16_e32 0x80, v1
	s_cbranch_execz .LBB450_2579
; %bb.2574:                             ;   in Loop: Header=BB450_13 Depth=1
	v_and_b32_e32 v2, 0xffff, v1
	v_mov_b32_e32 v0, 0x7f800001
	s_mov_b32 s24, exec_lo
	s_delay_alu instid0(VALU_DEP_2) | instskip(NEXT) | instid1(VALU_DEP_1)
	v_and_b32_e32 v1, 0x7f, v2
	v_cmpx_ne_u32_e32 0x7f, v1
	s_cbranch_execz .LBB450_2578
; %bb.2575:                             ;   in Loop: Header=BB450_13 Depth=1
	v_dual_mov_b32 v36, v20 :: v_dual_and_b32 v35, 7, v2
	v_lshrrev_b32_e32 v0, 3, v1
	s_mov_b32 s25, exec_lo
	v_cmpx_gt_u32_e32 8, v1
; %bb.2576:                             ;   in Loop: Header=BB450_13 Depth=1
	s_delay_alu instid0(VALU_DEP_3) | instskip(NEXT) | instid1(VALU_DEP_1)
	v_clz_i32_u32_e32 v0, v35
	v_min_u32_e32 v0, 32, v0
	s_delay_alu instid0(VALU_DEP_1) | instskip(SKIP_1) | instid1(VALU_DEP_2)
	v_subrev_nc_u32_e32 v1, 28, v0
	v_sub_nc_u32_e32 v0, 29, v0
	v_lshlrev_b64 v[1:2], v1, v[35:36]
	s_delay_alu instid0(VALU_DEP_1)
	v_and_b32_e32 v35, 7, v1
; %bb.2577:                             ;   in Loop: Header=BB450_13 Depth=1
	s_or_b32 exec_lo, exec_lo, s25
	v_lshlrev_b32_e32 v1, 16, v19
	s_delay_alu instid0(VALU_DEP_2) | instskip(SKIP_1) | instid1(VALU_DEP_3)
	v_lshlrev_b32_e32 v2, 20, v35
	v_lshl_add_u32 v0, v0, 23, 0x3c000000
	v_and_b32_e32 v1, 0x80000000, v1
	s_delay_alu instid0(VALU_DEP_1)
	v_or3_b32 v0, v2, v1, v0
.LBB450_2578:                           ;   in Loop: Header=BB450_13 Depth=1
	s_or_b32 exec_lo, exec_lo, s24
.LBB450_2579:                           ;   in Loop: Header=BB450_13 Depth=1
	s_delay_alu instid0(SALU_CYCLE_1)
	s_or_b32 exec_lo, exec_lo, s23
.LBB450_2580:                           ;   in Loop: Header=BB450_13 Depth=1
	s_delay_alu instid0(SALU_CYCLE_1) | instskip(NEXT) | instid1(VALU_DEP_1)
	s_or_b32 exec_lo, exec_lo, s22
	v_mul_f32_e32 v0, v121, v0
                                        ; implicit-def: $vgpr4
	s_delay_alu instid0(VALU_DEP_1) | instskip(NEXT) | instid1(VALU_DEP_1)
	v_and_b32_e32 v1, 0x7f800000, v0
	v_cmp_ne_u32_e64 s2, 0x7f800000, v1
	s_delay_alu instid0(VALU_DEP_1) | instskip(NEXT) | instid1(SALU_CYCLE_1)
	s_and_saveexec_b32 s22, s2
	s_xor_b32 s2, exec_lo, s22
; %bb.2581:                             ;   in Loop: Header=BB450_13 Depth=1
	v_bfe_u32 v1, v0, 16, 1
	s_delay_alu instid0(VALU_DEP_1)
	v_add3_u32 v4, v0, v1, 0x7fff
                                        ; implicit-def: $vgpr0
; %bb.2582:                             ;   in Loop: Header=BB450_13 Depth=1
	s_and_not1_saveexec_b32 s22, s2
; %bb.2583:                             ;   in Loop: Header=BB450_13 Depth=1
	v_and_b32_e32 v1, 0xffff, v0
	v_or_b32_e32 v2, 0x10000, v0
	s_delay_alu instid0(VALU_DEP_2) | instskip(NEXT) | instid1(VALU_DEP_1)
	v_cmp_eq_u32_e64 s2, 0, v1
	v_cndmask_b32_e64 v4, v2, v0, s2
; %bb.2584:                             ;   in Loop: Header=BB450_13 Depth=1
	s_or_b32 exec_lo, exec_lo, s22
	v_lshrrev_b32_e32 v0, 16, v34
	s_mov_b32 s22, exec_lo
	s_delay_alu instid0(VALU_DEP_1) | instskip(NEXT) | instid1(VALU_DEP_1)
	v_dual_mov_b32 v1, 0 :: v_dual_and_b32 v2, 0xff, v0
	v_cmpx_ne_u16_e32 0, v2
	s_cbranch_execz .LBB450_2592
; %bb.2585:                             ;   in Loop: Header=BB450_13 Depth=1
	v_bfrev_b32_e32 v1, 1
	s_mov_b32 s23, exec_lo
	v_cmpx_ne_u16_e32 0x80, v2
	s_cbranch_execz .LBB450_2591
; %bb.2586:                             ;   in Loop: Header=BB450_13 Depth=1
	v_bfe_u32 v2, v34, 16, 7
	v_mov_b32_e32 v1, 0x7f800001
	s_mov_b32 s24, exec_lo
	s_delay_alu instid0(VALU_DEP_2)
	v_cmpx_ne_u32_e32 0x7f, v2
	s_cbranch_execz .LBB450_2590
; %bb.2587:                             ;   in Loop: Header=BB450_13 Depth=1
	v_and_b32_e32 v19, 7, v0
	v_mov_b32_e32 v36, v20
	v_lshrrev_b32_e32 v1, 3, v2
	s_mov_b32 s25, exec_lo
	s_delay_alu instid0(VALU_DEP_3)
	v_mov_b32_e32 v35, v19
	v_cmpx_gt_u32_e32 8, v2
; %bb.2588:                             ;   in Loop: Header=BB450_13 Depth=1
	v_clz_i32_u32_e32 v1, v19
	s_delay_alu instid0(VALU_DEP_1) | instskip(NEXT) | instid1(VALU_DEP_1)
	v_min_u32_e32 v1, 32, v1
	v_subrev_nc_u32_e32 v2, 28, v1
	v_sub_nc_u32_e32 v1, 29, v1
	s_delay_alu instid0(VALU_DEP_2) | instskip(NEXT) | instid1(VALU_DEP_1)
	v_lshlrev_b64 v[2:3], v2, v[19:20]
	v_and_b32_e32 v35, 7, v2
; %bb.2589:                             ;   in Loop: Header=BB450_13 Depth=1
	s_or_b32 exec_lo, exec_lo, s25
	v_lshlrev_b32_e32 v0, 24, v0
	s_delay_alu instid0(VALU_DEP_2) | instskip(SKIP_1) | instid1(VALU_DEP_3)
	v_lshlrev_b32_e32 v2, 20, v35
	v_lshl_add_u32 v1, v1, 23, 0x3c000000
	v_and_b32_e32 v0, 0x80000000, v0
	s_delay_alu instid0(VALU_DEP_1)
	v_or3_b32 v1, v2, v0, v1
.LBB450_2590:                           ;   in Loop: Header=BB450_13 Depth=1
	s_or_b32 exec_lo, exec_lo, s24
.LBB450_2591:                           ;   in Loop: Header=BB450_13 Depth=1
	s_delay_alu instid0(SALU_CYCLE_1)
	s_or_b32 exec_lo, exec_lo, s23
.LBB450_2592:                           ;   in Loop: Header=BB450_13 Depth=1
	s_delay_alu instid0(SALU_CYCLE_1) | instskip(NEXT) | instid1(VALU_DEP_1)
	s_or_b32 exec_lo, exec_lo, s22
	v_mul_f32_e32 v0, v121, v1
                                        ; implicit-def: $vgpr102
	s_delay_alu instid0(VALU_DEP_1) | instskip(NEXT) | instid1(VALU_DEP_1)
	v_and_b32_e32 v1, 0x7f800000, v0
	v_cmp_ne_u32_e64 s2, 0x7f800000, v1
	s_delay_alu instid0(VALU_DEP_1) | instskip(NEXT) | instid1(SALU_CYCLE_1)
	s_and_saveexec_b32 s22, s2
	s_xor_b32 s2, exec_lo, s22
; %bb.2593:                             ;   in Loop: Header=BB450_13 Depth=1
	v_bfe_u32 v1, v0, 16, 1
	s_delay_alu instid0(VALU_DEP_1)
	v_add3_u32 v102, v0, v1, 0x7fff
                                        ; implicit-def: $vgpr0
; %bb.2594:                             ;   in Loop: Header=BB450_13 Depth=1
	s_and_not1_saveexec_b32 s22, s2
; %bb.2595:                             ;   in Loop: Header=BB450_13 Depth=1
	v_and_b32_e32 v1, 0xffff, v0
	v_or_b32_e32 v2, 0x10000, v0
	s_delay_alu instid0(VALU_DEP_2) | instskip(NEXT) | instid1(VALU_DEP_1)
	v_cmp_eq_u32_e64 s2, 0, v1
	v_cndmask_b32_e64 v102, v2, v0, s2
; %bb.2596:                             ;   in Loop: Header=BB450_13 Depth=1
	s_or_b32 exec_lo, exec_lo, s22
	v_mov_b32_e32 v1, 0
	s_mov_b32 s22, exec_lo
	v_cmpx_lt_u64_e64 s[8:9], v[33:34]
	s_cbranch_execz .LBB450_2604
; %bb.2597:                             ;   in Loop: Header=BB450_13 Depth=1
	v_lshrrev_b32_e32 v0, 24, v34
	v_bfrev_b32_e32 v1, 1
	s_mov_b32 s23, exec_lo
	s_delay_alu instid0(VALU_DEP_2)
	v_cmpx_ne_u32_e32 0x80, v0
	s_cbranch_execz .LBB450_2603
; %bb.2598:                             ;   in Loop: Header=BB450_13 Depth=1
	v_bfe_u32 v2, v34, 24, 7
	v_mov_b32_e32 v1, 0x7f800001
	s_mov_b32 s24, exec_lo
	s_delay_alu instid0(VALU_DEP_2)
	v_cmpx_ne_u32_e32 0x7f, v2
	s_cbranch_execz .LBB450_2602
; %bb.2599:                             ;   in Loop: Header=BB450_13 Depth=1
	v_and_b32_e32 v19, 7, v0
	v_mov_b32_e32 v34, v20
	v_lshrrev_b32_e32 v1, 3, v2
	s_mov_b32 s25, exec_lo
	s_delay_alu instid0(VALU_DEP_3)
	v_mov_b32_e32 v33, v19
	v_cmpx_gt_u32_e32 8, v2
; %bb.2600:                             ;   in Loop: Header=BB450_13 Depth=1
	v_clz_i32_u32_e32 v1, v19
	s_delay_alu instid0(VALU_DEP_1) | instskip(NEXT) | instid1(VALU_DEP_1)
	v_min_u32_e32 v1, 32, v1
	v_subrev_nc_u32_e32 v2, 28, v1
	v_sub_nc_u32_e32 v1, 29, v1
	s_delay_alu instid0(VALU_DEP_2) | instskip(NEXT) | instid1(VALU_DEP_1)
	v_lshlrev_b64 v[2:3], v2, v[19:20]
	v_and_b32_e32 v33, 7, v2
; %bb.2601:                             ;   in Loop: Header=BB450_13 Depth=1
	s_or_b32 exec_lo, exec_lo, s25
	v_lshlrev_b32_e32 v0, 24, v0
	s_delay_alu instid0(VALU_DEP_2) | instskip(SKIP_1) | instid1(VALU_DEP_3)
	v_lshlrev_b32_e32 v2, 20, v33
	v_lshl_add_u32 v1, v1, 23, 0x3c000000
	v_and_b32_e32 v0, 0x80000000, v0
	s_delay_alu instid0(VALU_DEP_1)
	v_or3_b32 v1, v2, v0, v1
.LBB450_2602:                           ;   in Loop: Header=BB450_13 Depth=1
	s_or_b32 exec_lo, exec_lo, s24
.LBB450_2603:                           ;   in Loop: Header=BB450_13 Depth=1
	s_delay_alu instid0(SALU_CYCLE_1)
	s_or_b32 exec_lo, exec_lo, s23
.LBB450_2604:                           ;   in Loop: Header=BB450_13 Depth=1
	s_delay_alu instid0(SALU_CYCLE_1) | instskip(NEXT) | instid1(VALU_DEP_1)
	s_or_b32 exec_lo, exec_lo, s22
	v_mul_f32_e32 v0, v121, v1
                                        ; implicit-def: $vgpr100
	s_delay_alu instid0(VALU_DEP_1) | instskip(NEXT) | instid1(VALU_DEP_1)
	v_and_b32_e32 v1, 0x7f800000, v0
	v_cmp_ne_u32_e64 s2, 0x7f800000, v1
	s_delay_alu instid0(VALU_DEP_1) | instskip(NEXT) | instid1(SALU_CYCLE_1)
	s_and_saveexec_b32 s22, s2
	s_xor_b32 s2, exec_lo, s22
; %bb.2605:                             ;   in Loop: Header=BB450_13 Depth=1
	v_bfe_u32 v1, v0, 16, 1
	s_delay_alu instid0(VALU_DEP_1)
	v_add3_u32 v100, v0, v1, 0x7fff
                                        ; implicit-def: $vgpr0
; %bb.2606:                             ;   in Loop: Header=BB450_13 Depth=1
	s_and_not1_saveexec_b32 s22, s2
; %bb.2607:                             ;   in Loop: Header=BB450_13 Depth=1
	v_and_b32_e32 v1, 0xffff, v0
	v_or_b32_e32 v2, 0x10000, v0
	s_delay_alu instid0(VALU_DEP_2) | instskip(NEXT) | instid1(VALU_DEP_1)
	v_cmp_eq_u32_e64 s2, 0, v1
	v_cndmask_b32_e64 v100, v2, v0, s2
; %bb.2608:                             ;   in Loop: Header=BB450_13 Depth=1
	s_or_b32 exec_lo, exec_lo, s22
	flat_load_b64 v[33:34], v[31:32] offset:2568
	s_mov_b32 s22, exec_lo
	s_waitcnt vmcnt(0) lgkmcnt(0)
	v_dual_mov_b32 v0, 0 :: v_dual_and_b32 v1, 0xff, v33
	s_delay_alu instid0(VALU_DEP_1)
	v_cmpx_ne_u16_e32 0, v1
	s_cbranch_execz .LBB450_2616
; %bb.2609:                             ;   in Loop: Header=BB450_13 Depth=1
	v_bfrev_b32_e32 v0, 1
	s_mov_b32 s23, exec_lo
	v_cmpx_ne_u16_e32 0x80, v1
	s_cbranch_execz .LBB450_2615
; %bb.2610:                             ;   in Loop: Header=BB450_13 Depth=1
	v_and_b32_e32 v1, 0x7f, v33
	v_mov_b32_e32 v0, 0x7f800001
	s_mov_b32 s24, exec_lo
	s_delay_alu instid0(VALU_DEP_2)
	v_cmpx_ne_u32_e32 0x7f, v1
	s_cbranch_execz .LBB450_2614
; %bb.2611:                             ;   in Loop: Header=BB450_13 Depth=1
	v_lshrrev_b32_e32 v0, 3, v1
	v_dual_mov_b32 v36, v34 :: v_dual_mov_b32 v35, v33
	s_mov_b32 s25, exec_lo
	v_cmpx_gt_u32_e32 8, v1
; %bb.2612:                             ;   in Loop: Header=BB450_13 Depth=1
	v_and_b32_e32 v0, 7, v33
	s_delay_alu instid0(VALU_DEP_1) | instskip(NEXT) | instid1(VALU_DEP_1)
	v_clz_i32_u32_e32 v0, v0
	v_min_u32_e32 v0, 32, v0
	s_delay_alu instid0(VALU_DEP_1) | instskip(SKIP_1) | instid1(VALU_DEP_2)
	v_subrev_nc_u32_e32 v1, 28, v0
	v_sub_nc_u32_e32 v0, 29, v0
	v_lshlrev_b64 v[35:36], v1, v[33:34]
; %bb.2613:                             ;   in Loop: Header=BB450_13 Depth=1
	s_or_b32 exec_lo, exec_lo, s25
	s_delay_alu instid0(VALU_DEP_1) | instskip(SKIP_2) | instid1(VALU_DEP_3)
	v_lshlrev_b32_e32 v1, 20, v35
	v_lshlrev_b32_e32 v2, 24, v33
	v_lshl_add_u32 v0, v0, 23, 0x3c000000
	v_and_b32_e32 v1, 0x700000, v1
	s_delay_alu instid0(VALU_DEP_3) | instskip(NEXT) | instid1(VALU_DEP_1)
	v_and_b32_e32 v2, 0x80000000, v2
	v_or3_b32 v0, v1, v2, v0
.LBB450_2614:                           ;   in Loop: Header=BB450_13 Depth=1
	s_or_b32 exec_lo, exec_lo, s24
.LBB450_2615:                           ;   in Loop: Header=BB450_13 Depth=1
	s_delay_alu instid0(SALU_CYCLE_1)
	s_or_b32 exec_lo, exec_lo, s23
.LBB450_2616:                           ;   in Loop: Header=BB450_13 Depth=1
	s_delay_alu instid0(SALU_CYCLE_1) | instskip(NEXT) | instid1(VALU_DEP_1)
	s_or_b32 exec_lo, exec_lo, s22
	v_mul_f32_e32 v0, v121, v0
                                        ; implicit-def: $vgpr54
	s_delay_alu instid0(VALU_DEP_1) | instskip(NEXT) | instid1(VALU_DEP_1)
	v_and_b32_e32 v1, 0x7f800000, v0
	v_cmp_ne_u32_e64 s2, 0x7f800000, v1
	s_delay_alu instid0(VALU_DEP_1) | instskip(NEXT) | instid1(SALU_CYCLE_1)
	s_and_saveexec_b32 s22, s2
	s_xor_b32 s2, exec_lo, s22
; %bb.2617:                             ;   in Loop: Header=BB450_13 Depth=1
	v_bfe_u32 v1, v0, 16, 1
	s_delay_alu instid0(VALU_DEP_1)
	v_add3_u32 v54, v0, v1, 0x7fff
                                        ; implicit-def: $vgpr0
; %bb.2618:                             ;   in Loop: Header=BB450_13 Depth=1
	s_and_not1_saveexec_b32 s22, s2
; %bb.2619:                             ;   in Loop: Header=BB450_13 Depth=1
	v_and_b32_e32 v1, 0xffff, v0
	v_or_b32_e32 v2, 0x10000, v0
	s_delay_alu instid0(VALU_DEP_2) | instskip(NEXT) | instid1(VALU_DEP_1)
	v_cmp_eq_u32_e64 s2, 0, v1
	v_cndmask_b32_e64 v54, v2, v0, s2
; %bb.2620:                             ;   in Loop: Header=BB450_13 Depth=1
	s_or_b32 exec_lo, exec_lo, s22
	v_lshrrev_b16 v1, 8, v33
	v_mov_b32_e32 v0, 0
	s_mov_b32 s22, exec_lo
	s_delay_alu instid0(VALU_DEP_2)
	v_cmpx_ne_u16_e32 0, v1
	s_cbranch_execz .LBB450_2628
; %bb.2621:                             ;   in Loop: Header=BB450_13 Depth=1
	v_bfrev_b32_e32 v0, 1
	s_mov_b32 s23, exec_lo
	v_cmpx_ne_u16_e32 0x80, v1
	s_cbranch_execz .LBB450_2627
; %bb.2622:                             ;   in Loop: Header=BB450_13 Depth=1
	v_and_b32_e32 v2, 0xffff, v1
	v_mov_b32_e32 v0, 0x7f800001
	s_mov_b32 s24, exec_lo
	s_delay_alu instid0(VALU_DEP_2) | instskip(NEXT) | instid1(VALU_DEP_1)
	v_and_b32_e32 v1, 0x7f, v2
	v_cmpx_ne_u32_e32 0x7f, v1
	s_cbranch_execz .LBB450_2626
; %bb.2623:                             ;   in Loop: Header=BB450_13 Depth=1
	v_and_b32_e32 v19, 7, v2
	v_mov_b32_e32 v36, v20
	v_lshrrev_b32_e32 v0, 3, v1
	s_mov_b32 s25, exec_lo
	s_delay_alu instid0(VALU_DEP_3)
	v_mov_b32_e32 v35, v19
	v_cmpx_gt_u32_e32 8, v1
; %bb.2624:                             ;   in Loop: Header=BB450_13 Depth=1
	v_clz_i32_u32_e32 v0, v19
	s_delay_alu instid0(VALU_DEP_1) | instskip(NEXT) | instid1(VALU_DEP_1)
	v_min_u32_e32 v0, 32, v0
	v_subrev_nc_u32_e32 v1, 28, v0
	v_sub_nc_u32_e32 v0, 29, v0
	s_delay_alu instid0(VALU_DEP_2) | instskip(NEXT) | instid1(VALU_DEP_1)
	v_lshlrev_b64 v[1:2], v1, v[19:20]
	v_and_b32_e32 v35, 7, v1
; %bb.2625:                             ;   in Loop: Header=BB450_13 Depth=1
	s_or_b32 exec_lo, exec_lo, s25
	v_lshlrev_b32_e32 v1, 16, v33
	s_delay_alu instid0(VALU_DEP_2) | instskip(SKIP_1) | instid1(VALU_DEP_3)
	v_lshlrev_b32_e32 v2, 20, v35
	v_lshl_add_u32 v0, v0, 23, 0x3c000000
	v_and_b32_e32 v1, 0x80000000, v1
	s_delay_alu instid0(VALU_DEP_1)
	v_or3_b32 v0, v2, v1, v0
.LBB450_2626:                           ;   in Loop: Header=BB450_13 Depth=1
	s_or_b32 exec_lo, exec_lo, s24
.LBB450_2627:                           ;   in Loop: Header=BB450_13 Depth=1
	s_delay_alu instid0(SALU_CYCLE_1)
	s_or_b32 exec_lo, exec_lo, s23
.LBB450_2628:                           ;   in Loop: Header=BB450_13 Depth=1
	s_delay_alu instid0(SALU_CYCLE_1) | instskip(NEXT) | instid1(VALU_DEP_1)
	s_or_b32 exec_lo, exec_lo, s22
	v_mul_f32_e32 v0, v121, v0
                                        ; implicit-def: $vgpr21
	s_delay_alu instid0(VALU_DEP_1) | instskip(NEXT) | instid1(VALU_DEP_1)
	v_and_b32_e32 v1, 0x7f800000, v0
	v_cmp_ne_u32_e64 s2, 0x7f800000, v1
	s_delay_alu instid0(VALU_DEP_1) | instskip(NEXT) | instid1(SALU_CYCLE_1)
	s_and_saveexec_b32 s22, s2
	s_xor_b32 s2, exec_lo, s22
; %bb.2629:                             ;   in Loop: Header=BB450_13 Depth=1
	v_bfe_u32 v1, v0, 16, 1
	s_delay_alu instid0(VALU_DEP_1)
	v_add3_u32 v21, v0, v1, 0x7fff
                                        ; implicit-def: $vgpr0
; %bb.2630:                             ;   in Loop: Header=BB450_13 Depth=1
	s_and_not1_saveexec_b32 s22, s2
; %bb.2631:                             ;   in Loop: Header=BB450_13 Depth=1
	v_and_b32_e32 v1, 0xffff, v0
	v_or_b32_e32 v2, 0x10000, v0
	s_delay_alu instid0(VALU_DEP_2) | instskip(NEXT) | instid1(VALU_DEP_1)
	v_cmp_eq_u32_e64 s2, 0, v1
	v_cndmask_b32_e64 v21, v2, v0, s2
; %bb.2632:                             ;   in Loop: Header=BB450_13 Depth=1
	s_or_b32 exec_lo, exec_lo, s22
	v_lshrrev_b32_e32 v0, 16, v33
	s_mov_b32 s22, exec_lo
	s_delay_alu instid0(VALU_DEP_1) | instskip(NEXT) | instid1(VALU_DEP_1)
	v_dual_mov_b32 v1, 0 :: v_dual_and_b32 v2, 0xff, v0
	v_cmpx_ne_u16_e32 0, v2
	s_cbranch_execz .LBB450_2640
; %bb.2633:                             ;   in Loop: Header=BB450_13 Depth=1
	v_bfrev_b32_e32 v1, 1
	s_mov_b32 s23, exec_lo
	v_cmpx_ne_u16_e32 0x80, v2
	s_cbranch_execz .LBB450_2639
; %bb.2634:                             ;   in Loop: Header=BB450_13 Depth=1
	v_bfe_u32 v2, v33, 16, 7
	v_mov_b32_e32 v1, 0x7f800001
	s_mov_b32 s24, exec_lo
	s_delay_alu instid0(VALU_DEP_2)
	v_cmpx_ne_u32_e32 0x7f, v2
	s_cbranch_execz .LBB450_2638
; %bb.2635:                             ;   in Loop: Header=BB450_13 Depth=1
	v_and_b32_e32 v19, 7, v0
	v_mov_b32_e32 v36, v20
	v_lshrrev_b32_e32 v1, 3, v2
	s_mov_b32 s25, exec_lo
	s_delay_alu instid0(VALU_DEP_3)
	v_mov_b32_e32 v35, v19
	v_cmpx_gt_u32_e32 8, v2
; %bb.2636:                             ;   in Loop: Header=BB450_13 Depth=1
	v_clz_i32_u32_e32 v1, v19
	s_delay_alu instid0(VALU_DEP_1) | instskip(NEXT) | instid1(VALU_DEP_1)
	v_min_u32_e32 v1, 32, v1
	v_subrev_nc_u32_e32 v2, 28, v1
	v_sub_nc_u32_e32 v1, 29, v1
	s_delay_alu instid0(VALU_DEP_2) | instskip(NEXT) | instid1(VALU_DEP_1)
	v_lshlrev_b64 v[2:3], v2, v[19:20]
	v_and_b32_e32 v35, 7, v2
; %bb.2637:                             ;   in Loop: Header=BB450_13 Depth=1
	s_or_b32 exec_lo, exec_lo, s25
	v_lshlrev_b32_e32 v0, 24, v0
	s_delay_alu instid0(VALU_DEP_2) | instskip(SKIP_1) | instid1(VALU_DEP_3)
	v_lshlrev_b32_e32 v2, 20, v35
	v_lshl_add_u32 v1, v1, 23, 0x3c000000
	v_and_b32_e32 v0, 0x80000000, v0
	s_delay_alu instid0(VALU_DEP_1)
	v_or3_b32 v1, v2, v0, v1
.LBB450_2638:                           ;   in Loop: Header=BB450_13 Depth=1
	s_or_b32 exec_lo, exec_lo, s24
.LBB450_2639:                           ;   in Loop: Header=BB450_13 Depth=1
	s_delay_alu instid0(SALU_CYCLE_1)
	s_or_b32 exec_lo, exec_lo, s23
.LBB450_2640:                           ;   in Loop: Header=BB450_13 Depth=1
	s_delay_alu instid0(SALU_CYCLE_1) | instskip(NEXT) | instid1(VALU_DEP_1)
	s_or_b32 exec_lo, exec_lo, s22
	v_mul_f32_e32 v0, v121, v1
                                        ; implicit-def: $vgpr6
	s_delay_alu instid0(VALU_DEP_1) | instskip(NEXT) | instid1(VALU_DEP_1)
	v_and_b32_e32 v1, 0x7f800000, v0
	v_cmp_ne_u32_e64 s2, 0x7f800000, v1
	s_delay_alu instid0(VALU_DEP_1) | instskip(NEXT) | instid1(SALU_CYCLE_1)
	s_and_saveexec_b32 s22, s2
	s_xor_b32 s2, exec_lo, s22
; %bb.2641:                             ;   in Loop: Header=BB450_13 Depth=1
	v_bfe_u32 v1, v0, 16, 1
	s_delay_alu instid0(VALU_DEP_1)
	v_add3_u32 v6, v0, v1, 0x7fff
                                        ; implicit-def: $vgpr0
; %bb.2642:                             ;   in Loop: Header=BB450_13 Depth=1
	s_and_not1_saveexec_b32 s22, s2
; %bb.2643:                             ;   in Loop: Header=BB450_13 Depth=1
	v_and_b32_e32 v1, 0xffff, v0
	v_or_b32_e32 v2, 0x10000, v0
	s_delay_alu instid0(VALU_DEP_2) | instskip(NEXT) | instid1(VALU_DEP_1)
	v_cmp_eq_u32_e64 s2, 0, v1
	v_cndmask_b32_e64 v6, v2, v0, s2
; %bb.2644:                             ;   in Loop: Header=BB450_13 Depth=1
	s_or_b32 exec_lo, exec_lo, s22
	v_mov_b32_e32 v1, 0
	s_mov_b32 s22, exec_lo
	v_cmpx_lt_u32_e32 0xffffff, v33
	s_cbranch_execz .LBB450_2652
; %bb.2645:                             ;   in Loop: Header=BB450_13 Depth=1
	v_lshrrev_b32_e32 v0, 24, v33
	v_bfrev_b32_e32 v1, 1
	s_mov_b32 s23, exec_lo
	s_delay_alu instid0(VALU_DEP_2)
	v_cmpx_ne_u32_e32 0x80, v0
	s_cbranch_execz .LBB450_2651
; %bb.2646:                             ;   in Loop: Header=BB450_13 Depth=1
	v_bfe_u32 v2, v33, 24, 7
	v_mov_b32_e32 v1, 0x7f800001
	s_mov_b32 s24, exec_lo
	s_delay_alu instid0(VALU_DEP_2)
	v_cmpx_ne_u32_e32 0x7f, v2
	s_cbranch_execz .LBB450_2650
; %bb.2647:                             ;   in Loop: Header=BB450_13 Depth=1
	v_and_b32_e32 v19, 7, v0
	v_mov_b32_e32 v36, v20
	v_lshrrev_b32_e32 v1, 3, v2
	s_mov_b32 s25, exec_lo
	s_delay_alu instid0(VALU_DEP_3)
	v_mov_b32_e32 v35, v19
	v_cmpx_gt_u32_e32 8, v2
; %bb.2648:                             ;   in Loop: Header=BB450_13 Depth=1
	v_clz_i32_u32_e32 v1, v19
	s_delay_alu instid0(VALU_DEP_1) | instskip(NEXT) | instid1(VALU_DEP_1)
	v_min_u32_e32 v1, 32, v1
	v_subrev_nc_u32_e32 v2, 28, v1
	v_sub_nc_u32_e32 v1, 29, v1
	s_delay_alu instid0(VALU_DEP_2) | instskip(NEXT) | instid1(VALU_DEP_1)
	v_lshlrev_b64 v[2:3], v2, v[19:20]
	v_and_b32_e32 v35, 7, v2
; %bb.2649:                             ;   in Loop: Header=BB450_13 Depth=1
	s_or_b32 exec_lo, exec_lo, s25
	v_lshlrev_b32_e32 v0, 24, v0
	s_delay_alu instid0(VALU_DEP_2) | instskip(SKIP_1) | instid1(VALU_DEP_3)
	v_lshlrev_b32_e32 v2, 20, v35
	v_lshl_add_u32 v1, v1, 23, 0x3c000000
	v_and_b32_e32 v0, 0x80000000, v0
	s_delay_alu instid0(VALU_DEP_1)
	v_or3_b32 v1, v2, v0, v1
.LBB450_2650:                           ;   in Loop: Header=BB450_13 Depth=1
	s_or_b32 exec_lo, exec_lo, s24
.LBB450_2651:                           ;   in Loop: Header=BB450_13 Depth=1
	s_delay_alu instid0(SALU_CYCLE_1)
	s_or_b32 exec_lo, exec_lo, s23
.LBB450_2652:                           ;   in Loop: Header=BB450_13 Depth=1
	s_delay_alu instid0(SALU_CYCLE_1) | instskip(NEXT) | instid1(VALU_DEP_1)
	s_or_b32 exec_lo, exec_lo, s22
	v_mul_f32_e32 v0, v121, v1
                                        ; implicit-def: $vgpr7
	s_delay_alu instid0(VALU_DEP_1) | instskip(NEXT) | instid1(VALU_DEP_1)
	v_and_b32_e32 v1, 0x7f800000, v0
	v_cmp_ne_u32_e64 s2, 0x7f800000, v1
	s_delay_alu instid0(VALU_DEP_1) | instskip(NEXT) | instid1(SALU_CYCLE_1)
	s_and_saveexec_b32 s22, s2
	s_xor_b32 s2, exec_lo, s22
; %bb.2653:                             ;   in Loop: Header=BB450_13 Depth=1
	v_bfe_u32 v1, v0, 16, 1
	s_delay_alu instid0(VALU_DEP_1)
	v_add3_u32 v7, v0, v1, 0x7fff
                                        ; implicit-def: $vgpr0
; %bb.2654:                             ;   in Loop: Header=BB450_13 Depth=1
	s_and_not1_saveexec_b32 s22, s2
; %bb.2655:                             ;   in Loop: Header=BB450_13 Depth=1
	v_and_b32_e32 v1, 0xffff, v0
	v_or_b32_e32 v2, 0x10000, v0
	s_delay_alu instid0(VALU_DEP_2) | instskip(NEXT) | instid1(VALU_DEP_1)
	v_cmp_eq_u32_e64 s2, 0, v1
	v_cndmask_b32_e64 v7, v2, v0, s2
; %bb.2656:                             ;   in Loop: Header=BB450_13 Depth=1
	s_or_b32 exec_lo, exec_lo, s22
	v_dual_mov_b32 v0, 0 :: v_dual_and_b32 v1, 0xff, v34
	v_mov_b32_e32 v19, v34
	s_mov_b32 s22, exec_lo
	s_delay_alu instid0(VALU_DEP_2)
	v_cmpx_ne_u16_e32 0, v1
	s_cbranch_execz .LBB450_2664
; %bb.2657:                             ;   in Loop: Header=BB450_13 Depth=1
	v_bfrev_b32_e32 v0, 1
	s_mov_b32 s23, exec_lo
	v_cmpx_ne_u16_e32 0x80, v1
	s_cbranch_execz .LBB450_2663
; %bb.2658:                             ;   in Loop: Header=BB450_13 Depth=1
	v_and_b32_e32 v1, 0x7f, v34
	v_mov_b32_e32 v0, 0x7f800001
	s_mov_b32 s24, exec_lo
	s_delay_alu instid0(VALU_DEP_2)
	v_cmpx_ne_u32_e32 0x7f, v1
	s_cbranch_execz .LBB450_2662
; %bb.2659:                             ;   in Loop: Header=BB450_13 Depth=1
	v_dual_mov_b32 v36, v20 :: v_dual_mov_b32 v35, v19
	v_lshrrev_b32_e32 v0, 3, v1
	s_mov_b32 s25, exec_lo
	v_cmpx_gt_u32_e32 8, v1
; %bb.2660:                             ;   in Loop: Header=BB450_13 Depth=1
	v_and_b32_e32 v0, 7, v34
	s_delay_alu instid0(VALU_DEP_1) | instskip(NEXT) | instid1(VALU_DEP_1)
	v_clz_i32_u32_e32 v0, v0
	v_min_u32_e32 v0, 32, v0
	s_delay_alu instid0(VALU_DEP_1) | instskip(SKIP_1) | instid1(VALU_DEP_2)
	v_subrev_nc_u32_e32 v1, 28, v0
	v_sub_nc_u32_e32 v0, 29, v0
	v_lshlrev_b64 v[35:36], v1, v[19:20]
; %bb.2661:                             ;   in Loop: Header=BB450_13 Depth=1
	s_or_b32 exec_lo, exec_lo, s25
	s_delay_alu instid0(VALU_DEP_1) | instskip(SKIP_2) | instid1(VALU_DEP_3)
	v_lshlrev_b32_e32 v1, 20, v35
	v_lshlrev_b32_e32 v2, 24, v19
	v_lshl_add_u32 v0, v0, 23, 0x3c000000
	v_and_b32_e32 v1, 0x700000, v1
	s_delay_alu instid0(VALU_DEP_3) | instskip(NEXT) | instid1(VALU_DEP_1)
	v_and_b32_e32 v2, 0x80000000, v2
	v_or3_b32 v0, v1, v2, v0
.LBB450_2662:                           ;   in Loop: Header=BB450_13 Depth=1
	s_or_b32 exec_lo, exec_lo, s24
.LBB450_2663:                           ;   in Loop: Header=BB450_13 Depth=1
	s_delay_alu instid0(SALU_CYCLE_1)
	s_or_b32 exec_lo, exec_lo, s23
.LBB450_2664:                           ;   in Loop: Header=BB450_13 Depth=1
	s_delay_alu instid0(SALU_CYCLE_1) | instskip(NEXT) | instid1(VALU_DEP_1)
	s_or_b32 exec_lo, exec_lo, s22
	v_mul_f32_e32 v0, v121, v0
                                        ; implicit-def: $vgpr12
	s_delay_alu instid0(VALU_DEP_1) | instskip(NEXT) | instid1(VALU_DEP_1)
	v_and_b32_e32 v1, 0x7f800000, v0
	v_cmp_ne_u32_e64 s2, 0x7f800000, v1
	s_delay_alu instid0(VALU_DEP_1) | instskip(NEXT) | instid1(SALU_CYCLE_1)
	s_and_saveexec_b32 s22, s2
	s_xor_b32 s2, exec_lo, s22
; %bb.2665:                             ;   in Loop: Header=BB450_13 Depth=1
	v_bfe_u32 v1, v0, 16, 1
	s_delay_alu instid0(VALU_DEP_1)
	v_add3_u32 v12, v0, v1, 0x7fff
                                        ; implicit-def: $vgpr0
; %bb.2666:                             ;   in Loop: Header=BB450_13 Depth=1
	s_and_not1_saveexec_b32 s22, s2
; %bb.2667:                             ;   in Loop: Header=BB450_13 Depth=1
	v_and_b32_e32 v1, 0xffff, v0
	v_or_b32_e32 v2, 0x10000, v0
	s_delay_alu instid0(VALU_DEP_2) | instskip(NEXT) | instid1(VALU_DEP_1)
	v_cmp_eq_u32_e64 s2, 0, v1
	v_cndmask_b32_e64 v12, v2, v0, s2
; %bb.2668:                             ;   in Loop: Header=BB450_13 Depth=1
	s_or_b32 exec_lo, exec_lo, s22
	v_lshrrev_b16 v1, 8, v19
	v_mov_b32_e32 v0, 0
	s_mov_b32 s22, exec_lo
	s_delay_alu instid0(VALU_DEP_2)
	v_cmpx_ne_u16_e32 0, v1
	s_cbranch_execz .LBB450_2676
; %bb.2669:                             ;   in Loop: Header=BB450_13 Depth=1
	v_bfrev_b32_e32 v0, 1
	s_mov_b32 s23, exec_lo
	v_cmpx_ne_u16_e32 0x80, v1
	s_cbranch_execz .LBB450_2675
; %bb.2670:                             ;   in Loop: Header=BB450_13 Depth=1
	v_and_b32_e32 v2, 0xffff, v1
	v_mov_b32_e32 v0, 0x7f800001
	s_mov_b32 s24, exec_lo
	s_delay_alu instid0(VALU_DEP_2) | instskip(NEXT) | instid1(VALU_DEP_1)
	v_and_b32_e32 v1, 0x7f, v2
	v_cmpx_ne_u32_e32 0x7f, v1
	s_cbranch_execz .LBB450_2674
; %bb.2671:                             ;   in Loop: Header=BB450_13 Depth=1
	v_dual_mov_b32 v36, v20 :: v_dual_and_b32 v35, 7, v2
	v_lshrrev_b32_e32 v0, 3, v1
	s_mov_b32 s25, exec_lo
	v_cmpx_gt_u32_e32 8, v1
; %bb.2672:                             ;   in Loop: Header=BB450_13 Depth=1
	s_delay_alu instid0(VALU_DEP_3) | instskip(NEXT) | instid1(VALU_DEP_1)
	v_clz_i32_u32_e32 v0, v35
	v_min_u32_e32 v0, 32, v0
	s_delay_alu instid0(VALU_DEP_1) | instskip(SKIP_1) | instid1(VALU_DEP_2)
	v_subrev_nc_u32_e32 v1, 28, v0
	v_sub_nc_u32_e32 v0, 29, v0
	v_lshlrev_b64 v[1:2], v1, v[35:36]
	s_delay_alu instid0(VALU_DEP_1)
	v_and_b32_e32 v35, 7, v1
; %bb.2673:                             ;   in Loop: Header=BB450_13 Depth=1
	s_or_b32 exec_lo, exec_lo, s25
	v_lshlrev_b32_e32 v1, 16, v19
	s_delay_alu instid0(VALU_DEP_2) | instskip(SKIP_1) | instid1(VALU_DEP_3)
	v_lshlrev_b32_e32 v2, 20, v35
	v_lshl_add_u32 v0, v0, 23, 0x3c000000
	v_and_b32_e32 v1, 0x80000000, v1
	s_delay_alu instid0(VALU_DEP_1)
	v_or3_b32 v0, v2, v1, v0
.LBB450_2674:                           ;   in Loop: Header=BB450_13 Depth=1
	s_or_b32 exec_lo, exec_lo, s24
.LBB450_2675:                           ;   in Loop: Header=BB450_13 Depth=1
	s_delay_alu instid0(SALU_CYCLE_1)
	s_or_b32 exec_lo, exec_lo, s23
.LBB450_2676:                           ;   in Loop: Header=BB450_13 Depth=1
	s_delay_alu instid0(SALU_CYCLE_1) | instskip(NEXT) | instid1(VALU_DEP_1)
	s_or_b32 exec_lo, exec_lo, s22
	v_mul_f32_e32 v0, v121, v0
                                        ; implicit-def: $vgpr37
	s_delay_alu instid0(VALU_DEP_1) | instskip(NEXT) | instid1(VALU_DEP_1)
	v_and_b32_e32 v1, 0x7f800000, v0
	v_cmp_ne_u32_e64 s2, 0x7f800000, v1
	s_delay_alu instid0(VALU_DEP_1) | instskip(NEXT) | instid1(SALU_CYCLE_1)
	s_and_saveexec_b32 s22, s2
	s_xor_b32 s2, exec_lo, s22
; %bb.2677:                             ;   in Loop: Header=BB450_13 Depth=1
	v_bfe_u32 v1, v0, 16, 1
	s_delay_alu instid0(VALU_DEP_1)
	v_add3_u32 v37, v0, v1, 0x7fff
                                        ; implicit-def: $vgpr0
; %bb.2678:                             ;   in Loop: Header=BB450_13 Depth=1
	s_and_not1_saveexec_b32 s22, s2
; %bb.2679:                             ;   in Loop: Header=BB450_13 Depth=1
	v_and_b32_e32 v1, 0xffff, v0
	v_or_b32_e32 v2, 0x10000, v0
	s_delay_alu instid0(VALU_DEP_2) | instskip(NEXT) | instid1(VALU_DEP_1)
	v_cmp_eq_u32_e64 s2, 0, v1
	v_cndmask_b32_e64 v37, v2, v0, s2
; %bb.2680:                             ;   in Loop: Header=BB450_13 Depth=1
	s_or_b32 exec_lo, exec_lo, s22
	v_lshrrev_b32_e32 v0, 16, v34
	s_mov_b32 s22, exec_lo
	s_delay_alu instid0(VALU_DEP_1) | instskip(NEXT) | instid1(VALU_DEP_1)
	v_dual_mov_b32 v1, 0 :: v_dual_and_b32 v2, 0xff, v0
	v_cmpx_ne_u16_e32 0, v2
	s_cbranch_execz .LBB450_2688
; %bb.2681:                             ;   in Loop: Header=BB450_13 Depth=1
	v_bfrev_b32_e32 v1, 1
	s_mov_b32 s23, exec_lo
	v_cmpx_ne_u16_e32 0x80, v2
	s_cbranch_execz .LBB450_2687
; %bb.2682:                             ;   in Loop: Header=BB450_13 Depth=1
	v_bfe_u32 v2, v34, 16, 7
	v_mov_b32_e32 v1, 0x7f800001
	s_mov_b32 s24, exec_lo
	s_delay_alu instid0(VALU_DEP_2)
	v_cmpx_ne_u32_e32 0x7f, v2
	s_cbranch_execz .LBB450_2686
; %bb.2683:                             ;   in Loop: Header=BB450_13 Depth=1
	v_and_b32_e32 v19, 7, v0
	v_mov_b32_e32 v36, v20
	v_lshrrev_b32_e32 v1, 3, v2
	s_mov_b32 s25, exec_lo
	s_delay_alu instid0(VALU_DEP_3)
	v_mov_b32_e32 v35, v19
	v_cmpx_gt_u32_e32 8, v2
; %bb.2684:                             ;   in Loop: Header=BB450_13 Depth=1
	v_clz_i32_u32_e32 v1, v19
	s_delay_alu instid0(VALU_DEP_1) | instskip(NEXT) | instid1(VALU_DEP_1)
	v_min_u32_e32 v1, 32, v1
	v_subrev_nc_u32_e32 v2, 28, v1
	v_sub_nc_u32_e32 v1, 29, v1
	s_delay_alu instid0(VALU_DEP_2) | instskip(NEXT) | instid1(VALU_DEP_1)
	v_lshlrev_b64 v[2:3], v2, v[19:20]
	v_and_b32_e32 v35, 7, v2
; %bb.2685:                             ;   in Loop: Header=BB450_13 Depth=1
	s_or_b32 exec_lo, exec_lo, s25
	v_lshlrev_b32_e32 v0, 24, v0
	s_delay_alu instid0(VALU_DEP_2) | instskip(SKIP_1) | instid1(VALU_DEP_3)
	v_lshlrev_b32_e32 v2, 20, v35
	v_lshl_add_u32 v1, v1, 23, 0x3c000000
	v_and_b32_e32 v0, 0x80000000, v0
	s_delay_alu instid0(VALU_DEP_1)
	v_or3_b32 v1, v2, v0, v1
.LBB450_2686:                           ;   in Loop: Header=BB450_13 Depth=1
	s_or_b32 exec_lo, exec_lo, s24
.LBB450_2687:                           ;   in Loop: Header=BB450_13 Depth=1
	s_delay_alu instid0(SALU_CYCLE_1)
	s_or_b32 exec_lo, exec_lo, s23
.LBB450_2688:                           ;   in Loop: Header=BB450_13 Depth=1
	s_delay_alu instid0(SALU_CYCLE_1) | instskip(NEXT) | instid1(VALU_DEP_1)
	s_or_b32 exec_lo, exec_lo, s22
	v_mul_f32_e32 v0, v121, v1
                                        ; implicit-def: $vgpr38
	s_delay_alu instid0(VALU_DEP_1) | instskip(NEXT) | instid1(VALU_DEP_1)
	v_and_b32_e32 v1, 0x7f800000, v0
	v_cmp_ne_u32_e64 s2, 0x7f800000, v1
	s_delay_alu instid0(VALU_DEP_1) | instskip(NEXT) | instid1(SALU_CYCLE_1)
	s_and_saveexec_b32 s22, s2
	s_xor_b32 s2, exec_lo, s22
; %bb.2689:                             ;   in Loop: Header=BB450_13 Depth=1
	v_bfe_u32 v1, v0, 16, 1
	s_delay_alu instid0(VALU_DEP_1)
	v_add3_u32 v38, v0, v1, 0x7fff
                                        ; implicit-def: $vgpr0
; %bb.2690:                             ;   in Loop: Header=BB450_13 Depth=1
	s_and_not1_saveexec_b32 s22, s2
; %bb.2691:                             ;   in Loop: Header=BB450_13 Depth=1
	v_and_b32_e32 v1, 0xffff, v0
	v_or_b32_e32 v2, 0x10000, v0
	s_delay_alu instid0(VALU_DEP_2) | instskip(NEXT) | instid1(VALU_DEP_1)
	v_cmp_eq_u32_e64 s2, 0, v1
	v_cndmask_b32_e64 v38, v2, v0, s2
; %bb.2692:                             ;   in Loop: Header=BB450_13 Depth=1
	s_or_b32 exec_lo, exec_lo, s22
	v_mov_b32_e32 v1, 0
	s_mov_b32 s22, exec_lo
	v_cmpx_lt_u64_e64 s[8:9], v[33:34]
	s_cbranch_execz .LBB450_2700
; %bb.2693:                             ;   in Loop: Header=BB450_13 Depth=1
	v_lshrrev_b32_e32 v0, 24, v34
	v_bfrev_b32_e32 v1, 1
	s_mov_b32 s23, exec_lo
	s_delay_alu instid0(VALU_DEP_2)
	v_cmpx_ne_u32_e32 0x80, v0
	s_cbranch_execz .LBB450_2699
; %bb.2694:                             ;   in Loop: Header=BB450_13 Depth=1
	v_bfe_u32 v2, v34, 24, 7
	v_mov_b32_e32 v1, 0x7f800001
	s_mov_b32 s24, exec_lo
	s_delay_alu instid0(VALU_DEP_2)
	v_cmpx_ne_u32_e32 0x7f, v2
	s_cbranch_execz .LBB450_2698
; %bb.2695:                             ;   in Loop: Header=BB450_13 Depth=1
	v_and_b32_e32 v19, 7, v0
	v_mov_b32_e32 v34, v20
	v_lshrrev_b32_e32 v1, 3, v2
	s_mov_b32 s25, exec_lo
	s_delay_alu instid0(VALU_DEP_3)
	v_mov_b32_e32 v33, v19
	v_cmpx_gt_u32_e32 8, v2
; %bb.2696:                             ;   in Loop: Header=BB450_13 Depth=1
	v_clz_i32_u32_e32 v1, v19
	s_delay_alu instid0(VALU_DEP_1) | instskip(NEXT) | instid1(VALU_DEP_1)
	v_min_u32_e32 v1, 32, v1
	v_subrev_nc_u32_e32 v2, 28, v1
	v_sub_nc_u32_e32 v1, 29, v1
	s_delay_alu instid0(VALU_DEP_2) | instskip(NEXT) | instid1(VALU_DEP_1)
	v_lshlrev_b64 v[2:3], v2, v[19:20]
	v_and_b32_e32 v33, 7, v2
; %bb.2697:                             ;   in Loop: Header=BB450_13 Depth=1
	s_or_b32 exec_lo, exec_lo, s25
	v_lshlrev_b32_e32 v0, 24, v0
	s_delay_alu instid0(VALU_DEP_2) | instskip(SKIP_1) | instid1(VALU_DEP_3)
	v_lshlrev_b32_e32 v2, 20, v33
	v_lshl_add_u32 v1, v1, 23, 0x3c000000
	v_and_b32_e32 v0, 0x80000000, v0
	s_delay_alu instid0(VALU_DEP_1)
	v_or3_b32 v1, v2, v0, v1
.LBB450_2698:                           ;   in Loop: Header=BB450_13 Depth=1
	s_or_b32 exec_lo, exec_lo, s24
.LBB450_2699:                           ;   in Loop: Header=BB450_13 Depth=1
	s_delay_alu instid0(SALU_CYCLE_1)
	s_or_b32 exec_lo, exec_lo, s23
.LBB450_2700:                           ;   in Loop: Header=BB450_13 Depth=1
	s_delay_alu instid0(SALU_CYCLE_1) | instskip(NEXT) | instid1(VALU_DEP_1)
	s_or_b32 exec_lo, exec_lo, s22
	v_mul_f32_e32 v0, v121, v1
                                        ; implicit-def: $vgpr55
	s_delay_alu instid0(VALU_DEP_1) | instskip(NEXT) | instid1(VALU_DEP_1)
	v_and_b32_e32 v1, 0x7f800000, v0
	v_cmp_ne_u32_e64 s2, 0x7f800000, v1
	s_delay_alu instid0(VALU_DEP_1) | instskip(NEXT) | instid1(SALU_CYCLE_1)
	s_and_saveexec_b32 s22, s2
	s_xor_b32 s2, exec_lo, s22
; %bb.2701:                             ;   in Loop: Header=BB450_13 Depth=1
	v_bfe_u32 v1, v0, 16, 1
	s_delay_alu instid0(VALU_DEP_1)
	v_add3_u32 v55, v0, v1, 0x7fff
                                        ; implicit-def: $vgpr0
; %bb.2702:                             ;   in Loop: Header=BB450_13 Depth=1
	s_and_not1_saveexec_b32 s22, s2
; %bb.2703:                             ;   in Loop: Header=BB450_13 Depth=1
	v_and_b32_e32 v1, 0xffff, v0
	v_or_b32_e32 v2, 0x10000, v0
	s_delay_alu instid0(VALU_DEP_2) | instskip(NEXT) | instid1(VALU_DEP_1)
	v_cmp_eq_u32_e64 s2, 0, v1
	v_cndmask_b32_e64 v55, v2, v0, s2
; %bb.2704:                             ;   in Loop: Header=BB450_13 Depth=1
	s_or_b32 exec_lo, exec_lo, s22
	flat_load_b64 v[33:34], v[31:32] offset:3072
	s_mov_b32 s22, exec_lo
	s_waitcnt vmcnt(0) lgkmcnt(0)
	v_dual_mov_b32 v0, 0 :: v_dual_and_b32 v1, 0xff, v33
	s_delay_alu instid0(VALU_DEP_1)
	v_cmpx_ne_u16_e32 0, v1
	s_cbranch_execz .LBB450_2712
; %bb.2705:                             ;   in Loop: Header=BB450_13 Depth=1
	v_bfrev_b32_e32 v0, 1
	s_mov_b32 s23, exec_lo
	v_cmpx_ne_u16_e32 0x80, v1
	s_cbranch_execz .LBB450_2711
; %bb.2706:                             ;   in Loop: Header=BB450_13 Depth=1
	v_and_b32_e32 v1, 0x7f, v33
	v_mov_b32_e32 v0, 0x7f800001
	s_mov_b32 s24, exec_lo
	s_delay_alu instid0(VALU_DEP_2)
	v_cmpx_ne_u32_e32 0x7f, v1
	s_cbranch_execz .LBB450_2710
; %bb.2707:                             ;   in Loop: Header=BB450_13 Depth=1
	v_lshrrev_b32_e32 v0, 3, v1
	v_dual_mov_b32 v36, v34 :: v_dual_mov_b32 v35, v33
	s_mov_b32 s25, exec_lo
	v_cmpx_gt_u32_e32 8, v1
; %bb.2708:                             ;   in Loop: Header=BB450_13 Depth=1
	v_and_b32_e32 v0, 7, v33
	s_delay_alu instid0(VALU_DEP_1) | instskip(NEXT) | instid1(VALU_DEP_1)
	v_clz_i32_u32_e32 v0, v0
	v_min_u32_e32 v0, 32, v0
	s_delay_alu instid0(VALU_DEP_1) | instskip(SKIP_1) | instid1(VALU_DEP_2)
	v_subrev_nc_u32_e32 v1, 28, v0
	v_sub_nc_u32_e32 v0, 29, v0
	v_lshlrev_b64 v[35:36], v1, v[33:34]
; %bb.2709:                             ;   in Loop: Header=BB450_13 Depth=1
	s_or_b32 exec_lo, exec_lo, s25
	s_delay_alu instid0(VALU_DEP_1) | instskip(SKIP_2) | instid1(VALU_DEP_3)
	v_lshlrev_b32_e32 v1, 20, v35
	v_lshlrev_b32_e32 v2, 24, v33
	v_lshl_add_u32 v0, v0, 23, 0x3c000000
	v_and_b32_e32 v1, 0x700000, v1
	s_delay_alu instid0(VALU_DEP_3) | instskip(NEXT) | instid1(VALU_DEP_1)
	v_and_b32_e32 v2, 0x80000000, v2
	v_or3_b32 v0, v1, v2, v0
.LBB450_2710:                           ;   in Loop: Header=BB450_13 Depth=1
	s_or_b32 exec_lo, exec_lo, s24
.LBB450_2711:                           ;   in Loop: Header=BB450_13 Depth=1
	s_delay_alu instid0(SALU_CYCLE_1)
	s_or_b32 exec_lo, exec_lo, s23
.LBB450_2712:                           ;   in Loop: Header=BB450_13 Depth=1
	s_delay_alu instid0(SALU_CYCLE_1) | instskip(NEXT) | instid1(VALU_DEP_1)
	s_or_b32 exec_lo, exec_lo, s22
	v_mul_f32_e32 v0, v121, v0
                                        ; implicit-def: $vgpr11
	s_delay_alu instid0(VALU_DEP_1) | instskip(NEXT) | instid1(VALU_DEP_1)
	v_and_b32_e32 v1, 0x7f800000, v0
	v_cmp_ne_u32_e64 s2, 0x7f800000, v1
	s_delay_alu instid0(VALU_DEP_1) | instskip(NEXT) | instid1(SALU_CYCLE_1)
	s_and_saveexec_b32 s22, s2
	s_xor_b32 s2, exec_lo, s22
; %bb.2713:                             ;   in Loop: Header=BB450_13 Depth=1
	v_bfe_u32 v1, v0, 16, 1
	s_delay_alu instid0(VALU_DEP_1)
	v_add3_u32 v11, v0, v1, 0x7fff
                                        ; implicit-def: $vgpr0
; %bb.2714:                             ;   in Loop: Header=BB450_13 Depth=1
	s_and_not1_saveexec_b32 s22, s2
; %bb.2715:                             ;   in Loop: Header=BB450_13 Depth=1
	v_and_b32_e32 v1, 0xffff, v0
	v_or_b32_e32 v2, 0x10000, v0
	s_delay_alu instid0(VALU_DEP_2) | instskip(NEXT) | instid1(VALU_DEP_1)
	v_cmp_eq_u32_e64 s2, 0, v1
	v_cndmask_b32_e64 v11, v2, v0, s2
; %bb.2716:                             ;   in Loop: Header=BB450_13 Depth=1
	s_or_b32 exec_lo, exec_lo, s22
	v_lshrrev_b16 v1, 8, v33
	v_mov_b32_e32 v0, 0
	s_mov_b32 s22, exec_lo
	s_delay_alu instid0(VALU_DEP_2)
	v_cmpx_ne_u16_e32 0, v1
	s_cbranch_execz .LBB450_2724
; %bb.2717:                             ;   in Loop: Header=BB450_13 Depth=1
	v_bfrev_b32_e32 v0, 1
	s_mov_b32 s23, exec_lo
	v_cmpx_ne_u16_e32 0x80, v1
	s_cbranch_execz .LBB450_2723
; %bb.2718:                             ;   in Loop: Header=BB450_13 Depth=1
	v_and_b32_e32 v2, 0xffff, v1
	v_mov_b32_e32 v0, 0x7f800001
	s_mov_b32 s24, exec_lo
	s_delay_alu instid0(VALU_DEP_2) | instskip(NEXT) | instid1(VALU_DEP_1)
	v_and_b32_e32 v1, 0x7f, v2
	v_cmpx_ne_u32_e32 0x7f, v1
	s_cbranch_execz .LBB450_2722
; %bb.2719:                             ;   in Loop: Header=BB450_13 Depth=1
	v_and_b32_e32 v19, 7, v2
	v_mov_b32_e32 v36, v20
	v_lshrrev_b32_e32 v0, 3, v1
	s_mov_b32 s25, exec_lo
	s_delay_alu instid0(VALU_DEP_3)
	v_mov_b32_e32 v35, v19
	v_cmpx_gt_u32_e32 8, v1
; %bb.2720:                             ;   in Loop: Header=BB450_13 Depth=1
	v_clz_i32_u32_e32 v0, v19
	s_delay_alu instid0(VALU_DEP_1) | instskip(NEXT) | instid1(VALU_DEP_1)
	v_min_u32_e32 v0, 32, v0
	v_subrev_nc_u32_e32 v1, 28, v0
	v_sub_nc_u32_e32 v0, 29, v0
	s_delay_alu instid0(VALU_DEP_2) | instskip(NEXT) | instid1(VALU_DEP_1)
	v_lshlrev_b64 v[1:2], v1, v[19:20]
	v_and_b32_e32 v35, 7, v1
; %bb.2721:                             ;   in Loop: Header=BB450_13 Depth=1
	s_or_b32 exec_lo, exec_lo, s25
	v_lshlrev_b32_e32 v1, 16, v33
	s_delay_alu instid0(VALU_DEP_2) | instskip(SKIP_1) | instid1(VALU_DEP_3)
	v_lshlrev_b32_e32 v2, 20, v35
	v_lshl_add_u32 v0, v0, 23, 0x3c000000
	v_and_b32_e32 v1, 0x80000000, v1
	s_delay_alu instid0(VALU_DEP_1)
	v_or3_b32 v0, v2, v1, v0
.LBB450_2722:                           ;   in Loop: Header=BB450_13 Depth=1
	s_or_b32 exec_lo, exec_lo, s24
.LBB450_2723:                           ;   in Loop: Header=BB450_13 Depth=1
	s_delay_alu instid0(SALU_CYCLE_1)
	s_or_b32 exec_lo, exec_lo, s23
.LBB450_2724:                           ;   in Loop: Header=BB450_13 Depth=1
	s_delay_alu instid0(SALU_CYCLE_1) | instskip(NEXT) | instid1(VALU_DEP_1)
	s_or_b32 exec_lo, exec_lo, s22
	v_mul_f32_e32 v0, v121, v0
                                        ; implicit-def: $vgpr10
	s_delay_alu instid0(VALU_DEP_1) | instskip(NEXT) | instid1(VALU_DEP_1)
	v_and_b32_e32 v1, 0x7f800000, v0
	v_cmp_ne_u32_e64 s2, 0x7f800000, v1
	s_delay_alu instid0(VALU_DEP_1) | instskip(NEXT) | instid1(SALU_CYCLE_1)
	s_and_saveexec_b32 s22, s2
	s_xor_b32 s2, exec_lo, s22
; %bb.2725:                             ;   in Loop: Header=BB450_13 Depth=1
	v_bfe_u32 v1, v0, 16, 1
	s_delay_alu instid0(VALU_DEP_1)
	v_add3_u32 v10, v0, v1, 0x7fff
                                        ; implicit-def: $vgpr0
; %bb.2726:                             ;   in Loop: Header=BB450_13 Depth=1
	s_and_not1_saveexec_b32 s22, s2
; %bb.2727:                             ;   in Loop: Header=BB450_13 Depth=1
	v_and_b32_e32 v1, 0xffff, v0
	v_or_b32_e32 v2, 0x10000, v0
	s_delay_alu instid0(VALU_DEP_2) | instskip(NEXT) | instid1(VALU_DEP_1)
	v_cmp_eq_u32_e64 s2, 0, v1
	v_cndmask_b32_e64 v10, v2, v0, s2
; %bb.2728:                             ;   in Loop: Header=BB450_13 Depth=1
	s_or_b32 exec_lo, exec_lo, s22
	v_lshrrev_b32_e32 v0, 16, v33
	s_mov_b32 s22, exec_lo
	s_delay_alu instid0(VALU_DEP_1) | instskip(NEXT) | instid1(VALU_DEP_1)
	v_dual_mov_b32 v1, 0 :: v_dual_and_b32 v2, 0xff, v0
	v_cmpx_ne_u16_e32 0, v2
	s_cbranch_execz .LBB450_2736
; %bb.2729:                             ;   in Loop: Header=BB450_13 Depth=1
	v_bfrev_b32_e32 v1, 1
	s_mov_b32 s23, exec_lo
	v_cmpx_ne_u16_e32 0x80, v2
	s_cbranch_execz .LBB450_2735
; %bb.2730:                             ;   in Loop: Header=BB450_13 Depth=1
	v_bfe_u32 v2, v33, 16, 7
	v_mov_b32_e32 v1, 0x7f800001
	s_mov_b32 s24, exec_lo
	s_delay_alu instid0(VALU_DEP_2)
	v_cmpx_ne_u32_e32 0x7f, v2
	s_cbranch_execz .LBB450_2734
; %bb.2731:                             ;   in Loop: Header=BB450_13 Depth=1
	v_and_b32_e32 v19, 7, v0
	v_mov_b32_e32 v36, v20
	v_lshrrev_b32_e32 v1, 3, v2
	s_mov_b32 s25, exec_lo
	s_delay_alu instid0(VALU_DEP_3)
	v_mov_b32_e32 v35, v19
	v_cmpx_gt_u32_e32 8, v2
; %bb.2732:                             ;   in Loop: Header=BB450_13 Depth=1
	v_clz_i32_u32_e32 v1, v19
	s_delay_alu instid0(VALU_DEP_1) | instskip(NEXT) | instid1(VALU_DEP_1)
	v_min_u32_e32 v1, 32, v1
	v_subrev_nc_u32_e32 v2, 28, v1
	v_sub_nc_u32_e32 v1, 29, v1
	s_delay_alu instid0(VALU_DEP_2) | instskip(NEXT) | instid1(VALU_DEP_1)
	v_lshlrev_b64 v[2:3], v2, v[19:20]
	v_and_b32_e32 v35, 7, v2
; %bb.2733:                             ;   in Loop: Header=BB450_13 Depth=1
	s_or_b32 exec_lo, exec_lo, s25
	v_lshlrev_b32_e32 v0, 24, v0
	s_delay_alu instid0(VALU_DEP_2) | instskip(SKIP_1) | instid1(VALU_DEP_3)
	v_lshlrev_b32_e32 v2, 20, v35
	v_lshl_add_u32 v1, v1, 23, 0x3c000000
	v_and_b32_e32 v0, 0x80000000, v0
	s_delay_alu instid0(VALU_DEP_1)
	v_or3_b32 v1, v2, v0, v1
.LBB450_2734:                           ;   in Loop: Header=BB450_13 Depth=1
	s_or_b32 exec_lo, exec_lo, s24
.LBB450_2735:                           ;   in Loop: Header=BB450_13 Depth=1
	s_delay_alu instid0(SALU_CYCLE_1)
	s_or_b32 exec_lo, exec_lo, s23
.LBB450_2736:                           ;   in Loop: Header=BB450_13 Depth=1
	s_delay_alu instid0(SALU_CYCLE_1) | instskip(NEXT) | instid1(VALU_DEP_1)
	s_or_b32 exec_lo, exec_lo, s22
	v_mul_f32_e32 v0, v121, v1
	s_delay_alu instid0(VALU_DEP_1) | instskip(NEXT) | instid1(VALU_DEP_1)
	v_and_b32_e32 v1, 0x7f800000, v0
	v_cmp_ne_u32_e64 s2, 0x7f800000, v1
                                        ; implicit-def: $vgpr1
	s_delay_alu instid0(VALU_DEP_1) | instskip(NEXT) | instid1(SALU_CYCLE_1)
	s_and_saveexec_b32 s22, s2
	s_xor_b32 s2, exec_lo, s22
; %bb.2737:                             ;   in Loop: Header=BB450_13 Depth=1
	v_bfe_u32 v1, v0, 16, 1
	s_delay_alu instid0(VALU_DEP_1)
	v_add3_u32 v1, v0, v1, 0x7fff
                                        ; implicit-def: $vgpr0
; %bb.2738:                             ;   in Loop: Header=BB450_13 Depth=1
	s_and_not1_saveexec_b32 s22, s2
; %bb.2739:                             ;   in Loop: Header=BB450_13 Depth=1
	v_and_b32_e32 v1, 0xffff, v0
	v_or_b32_e32 v2, 0x10000, v0
	s_delay_alu instid0(VALU_DEP_2) | instskip(NEXT) | instid1(VALU_DEP_1)
	v_cmp_eq_u32_e64 s2, 0, v1
	v_cndmask_b32_e64 v1, v2, v0, s2
; %bb.2740:                             ;   in Loop: Header=BB450_13 Depth=1
	s_or_b32 exec_lo, exec_lo, s22
	v_mov_b32_e32 v2, 0
	s_mov_b32 s22, exec_lo
	v_cmpx_lt_u32_e32 0xffffff, v33
	s_cbranch_execz .LBB450_2748
; %bb.2741:                             ;   in Loop: Header=BB450_13 Depth=1
	v_lshrrev_b32_e32 v0, 24, v33
	v_bfrev_b32_e32 v2, 1
	s_mov_b32 s23, exec_lo
	s_delay_alu instid0(VALU_DEP_2)
	v_cmpx_ne_u32_e32 0x80, v0
	s_cbranch_execz .LBB450_2747
; %bb.2742:                             ;   in Loop: Header=BB450_13 Depth=1
	v_bfe_u32 v3, v33, 24, 7
	v_mov_b32_e32 v2, 0x7f800001
	s_mov_b32 s24, exec_lo
	s_delay_alu instid0(VALU_DEP_2)
	v_cmpx_ne_u32_e32 0x7f, v3
	s_cbranch_execz .LBB450_2746
; %bb.2743:                             ;   in Loop: Header=BB450_13 Depth=1
	v_and_b32_e32 v19, 7, v0
	v_mov_b32_e32 v36, v20
	v_lshrrev_b32_e32 v2, 3, v3
	s_mov_b32 s25, exec_lo
	s_delay_alu instid0(VALU_DEP_3)
	v_mov_b32_e32 v35, v19
	v_cmpx_gt_u32_e32 8, v3
; %bb.2744:                             ;   in Loop: Header=BB450_13 Depth=1
	v_clz_i32_u32_e32 v2, v19
	s_delay_alu instid0(VALU_DEP_1) | instskip(NEXT) | instid1(VALU_DEP_1)
	v_min_u32_e32 v2, 32, v2
	v_subrev_nc_u32_e32 v3, 28, v2
	v_sub_nc_u32_e32 v2, 29, v2
	s_delay_alu instid0(VALU_DEP_2) | instskip(NEXT) | instid1(VALU_DEP_1)
	v_lshlrev_b64 v[14:15], v3, v[19:20]
	v_and_b32_e32 v35, 7, v14
; %bb.2745:                             ;   in Loop: Header=BB450_13 Depth=1
	s_or_b32 exec_lo, exec_lo, s25
	v_lshlrev_b32_e32 v0, 24, v0
	s_delay_alu instid0(VALU_DEP_2) | instskip(SKIP_1) | instid1(VALU_DEP_3)
	v_lshlrev_b32_e32 v3, 20, v35
	v_lshl_add_u32 v2, v2, 23, 0x3c000000
	v_and_b32_e32 v0, 0x80000000, v0
	s_delay_alu instid0(VALU_DEP_1)
	v_or3_b32 v2, v3, v0, v2
.LBB450_2746:                           ;   in Loop: Header=BB450_13 Depth=1
	s_or_b32 exec_lo, exec_lo, s24
.LBB450_2747:                           ;   in Loop: Header=BB450_13 Depth=1
	s_delay_alu instid0(SALU_CYCLE_1)
	s_or_b32 exec_lo, exec_lo, s23
.LBB450_2748:                           ;   in Loop: Header=BB450_13 Depth=1
	s_delay_alu instid0(SALU_CYCLE_1) | instskip(NEXT) | instid1(VALU_DEP_1)
	s_or_b32 exec_lo, exec_lo, s22
	v_mul_f32_e32 v2, v121, v2
	s_delay_alu instid0(VALU_DEP_1) | instskip(NEXT) | instid1(VALU_DEP_1)
	v_and_b32_e32 v0, 0x7f800000, v2
	v_cmp_ne_u32_e64 s2, 0x7f800000, v0
                                        ; implicit-def: $vgpr0
	s_delay_alu instid0(VALU_DEP_1) | instskip(NEXT) | instid1(SALU_CYCLE_1)
	s_and_saveexec_b32 s22, s2
	s_xor_b32 s2, exec_lo, s22
; %bb.2749:                             ;   in Loop: Header=BB450_13 Depth=1
	v_bfe_u32 v0, v2, 16, 1
	s_delay_alu instid0(VALU_DEP_1)
	v_add3_u32 v0, v2, v0, 0x7fff
                                        ; implicit-def: $vgpr2
; %bb.2750:                             ;   in Loop: Header=BB450_13 Depth=1
	s_and_not1_saveexec_b32 s22, s2
; %bb.2751:                             ;   in Loop: Header=BB450_13 Depth=1
	v_and_b32_e32 v0, 0xffff, v2
	v_or_b32_e32 v3, 0x10000, v2
	s_delay_alu instid0(VALU_DEP_2) | instskip(NEXT) | instid1(VALU_DEP_1)
	v_cmp_eq_u32_e64 s2, 0, v0
	v_cndmask_b32_e64 v0, v3, v2, s2
; %bb.2752:                             ;   in Loop: Header=BB450_13 Depth=1
	s_or_b32 exec_lo, exec_lo, s22
	v_dual_mov_b32 v2, 0 :: v_dual_and_b32 v3, 0xff, v34
	v_mov_b32_e32 v19, v34
	s_mov_b32 s22, exec_lo
	s_delay_alu instid0(VALU_DEP_2)
	v_cmpx_ne_u16_e32 0, v3
	s_cbranch_execz .LBB450_2760
; %bb.2753:                             ;   in Loop: Header=BB450_13 Depth=1
	v_bfrev_b32_e32 v2, 1
	s_mov_b32 s23, exec_lo
	v_cmpx_ne_u16_e32 0x80, v3
	s_cbranch_execz .LBB450_2759
; %bb.2754:                             ;   in Loop: Header=BB450_13 Depth=1
	v_and_b32_e32 v3, 0x7f, v34
	v_mov_b32_e32 v2, 0x7f800001
	s_mov_b32 s24, exec_lo
	s_delay_alu instid0(VALU_DEP_2)
	v_cmpx_ne_u32_e32 0x7f, v3
	s_cbranch_execz .LBB450_2758
; %bb.2755:                             ;   in Loop: Header=BB450_13 Depth=1
	v_dual_mov_b32 v36, v20 :: v_dual_mov_b32 v35, v19
	v_lshrrev_b32_e32 v2, 3, v3
	s_mov_b32 s25, exec_lo
	v_cmpx_gt_u32_e32 8, v3
; %bb.2756:                             ;   in Loop: Header=BB450_13 Depth=1
	v_and_b32_e32 v2, 7, v34
	s_delay_alu instid0(VALU_DEP_1) | instskip(NEXT) | instid1(VALU_DEP_1)
	v_clz_i32_u32_e32 v2, v2
	v_min_u32_e32 v2, 32, v2
	s_delay_alu instid0(VALU_DEP_1) | instskip(SKIP_1) | instid1(VALU_DEP_2)
	v_subrev_nc_u32_e32 v3, 28, v2
	v_sub_nc_u32_e32 v2, 29, v2
	v_lshlrev_b64 v[35:36], v3, v[19:20]
; %bb.2757:                             ;   in Loop: Header=BB450_13 Depth=1
	s_or_b32 exec_lo, exec_lo, s25
	s_delay_alu instid0(VALU_DEP_1) | instskip(SKIP_2) | instid1(VALU_DEP_3)
	v_lshlrev_b32_e32 v3, 20, v35
	v_lshlrev_b32_e32 v14, 24, v19
	v_lshl_add_u32 v2, v2, 23, 0x3c000000
	v_and_b32_e32 v3, 0x700000, v3
	s_delay_alu instid0(VALU_DEP_3) | instskip(NEXT) | instid1(VALU_DEP_1)
	v_and_b32_e32 v14, 0x80000000, v14
	v_or3_b32 v2, v3, v14, v2
.LBB450_2758:                           ;   in Loop: Header=BB450_13 Depth=1
	s_or_b32 exec_lo, exec_lo, s24
.LBB450_2759:                           ;   in Loop: Header=BB450_13 Depth=1
	s_delay_alu instid0(SALU_CYCLE_1)
	s_or_b32 exec_lo, exec_lo, s23
.LBB450_2760:                           ;   in Loop: Header=BB450_13 Depth=1
	s_delay_alu instid0(SALU_CYCLE_1) | instskip(NEXT) | instid1(VALU_DEP_1)
	s_or_b32 exec_lo, exec_lo, s22
	v_mul_f32_e32 v2, v121, v2
	s_delay_alu instid0(VALU_DEP_1) | instskip(NEXT) | instid1(VALU_DEP_1)
	v_and_b32_e32 v3, 0x7f800000, v2
	v_cmp_ne_u32_e64 s2, 0x7f800000, v3
                                        ; implicit-def: $vgpr3
	s_delay_alu instid0(VALU_DEP_1) | instskip(NEXT) | instid1(SALU_CYCLE_1)
	s_and_saveexec_b32 s22, s2
	s_xor_b32 s2, exec_lo, s22
; %bb.2761:                             ;   in Loop: Header=BB450_13 Depth=1
	v_bfe_u32 v3, v2, 16, 1
	s_delay_alu instid0(VALU_DEP_1)
	v_add3_u32 v3, v2, v3, 0x7fff
                                        ; implicit-def: $vgpr2
; %bb.2762:                             ;   in Loop: Header=BB450_13 Depth=1
	s_and_not1_saveexec_b32 s22, s2
; %bb.2763:                             ;   in Loop: Header=BB450_13 Depth=1
	v_and_b32_e32 v3, 0xffff, v2
	v_or_b32_e32 v14, 0x10000, v2
	s_delay_alu instid0(VALU_DEP_2) | instskip(NEXT) | instid1(VALU_DEP_1)
	v_cmp_eq_u32_e64 s2, 0, v3
	v_cndmask_b32_e64 v3, v14, v2, s2
; %bb.2764:                             ;   in Loop: Header=BB450_13 Depth=1
	s_or_b32 exec_lo, exec_lo, s22
	v_lshrrev_b16 v14, 8, v19
	v_mov_b32_e32 v2, 0
	s_mov_b32 s22, exec_lo
	s_delay_alu instid0(VALU_DEP_2)
	v_cmpx_ne_u16_e32 0, v14
	s_cbranch_execz .LBB450_2772
; %bb.2765:                             ;   in Loop: Header=BB450_13 Depth=1
	v_bfrev_b32_e32 v2, 1
	s_mov_b32 s23, exec_lo
	v_cmpx_ne_u16_e32 0x80, v14
	s_cbranch_execz .LBB450_2771
; %bb.2766:                             ;   in Loop: Header=BB450_13 Depth=1
	v_and_b32_e32 v15, 0xffff, v14
	v_mov_b32_e32 v2, 0x7f800001
	s_mov_b32 s24, exec_lo
	s_delay_alu instid0(VALU_DEP_2) | instskip(NEXT) | instid1(VALU_DEP_1)
	v_and_b32_e32 v14, 0x7f, v15
	v_cmpx_ne_u32_e32 0x7f, v14
	s_cbranch_execz .LBB450_2770
; %bb.2767:                             ;   in Loop: Header=BB450_13 Depth=1
	v_dual_mov_b32 v36, v20 :: v_dual_and_b32 v35, 7, v15
	v_lshrrev_b32_e32 v2, 3, v14
	s_mov_b32 s25, exec_lo
	v_cmpx_gt_u32_e32 8, v14
; %bb.2768:                             ;   in Loop: Header=BB450_13 Depth=1
	s_delay_alu instid0(VALU_DEP_3) | instskip(NEXT) | instid1(VALU_DEP_1)
	v_clz_i32_u32_e32 v2, v35
	v_min_u32_e32 v2, 32, v2
	s_delay_alu instid0(VALU_DEP_1) | instskip(SKIP_1) | instid1(VALU_DEP_2)
	v_subrev_nc_u32_e32 v14, 28, v2
	v_sub_nc_u32_e32 v2, 29, v2
	v_lshlrev_b64 v[14:15], v14, v[35:36]
	s_delay_alu instid0(VALU_DEP_1)
	v_and_b32_e32 v35, 7, v14
; %bb.2769:                             ;   in Loop: Header=BB450_13 Depth=1
	s_or_b32 exec_lo, exec_lo, s25
	v_lshlrev_b32_e32 v14, 16, v19
	s_delay_alu instid0(VALU_DEP_2) | instskip(SKIP_1) | instid1(VALU_DEP_3)
	v_lshlrev_b32_e32 v15, 20, v35
	v_lshl_add_u32 v2, v2, 23, 0x3c000000
	v_and_b32_e32 v14, 0x80000000, v14
	s_delay_alu instid0(VALU_DEP_1)
	v_or3_b32 v2, v15, v14, v2
.LBB450_2770:                           ;   in Loop: Header=BB450_13 Depth=1
	s_or_b32 exec_lo, exec_lo, s24
.LBB450_2771:                           ;   in Loop: Header=BB450_13 Depth=1
	s_delay_alu instid0(SALU_CYCLE_1)
	s_or_b32 exec_lo, exec_lo, s23
.LBB450_2772:                           ;   in Loop: Header=BB450_13 Depth=1
	s_delay_alu instid0(SALU_CYCLE_1) | instskip(NEXT) | instid1(VALU_DEP_1)
	s_or_b32 exec_lo, exec_lo, s22
	v_mul_f32_e32 v14, v121, v2
	s_delay_alu instid0(VALU_DEP_1) | instskip(NEXT) | instid1(VALU_DEP_1)
	v_and_b32_e32 v2, 0x7f800000, v14
	v_cmp_ne_u32_e64 s2, 0x7f800000, v2
                                        ; implicit-def: $vgpr2
	s_delay_alu instid0(VALU_DEP_1) | instskip(NEXT) | instid1(SALU_CYCLE_1)
	s_and_saveexec_b32 s22, s2
	s_xor_b32 s2, exec_lo, s22
; %bb.2773:                             ;   in Loop: Header=BB450_13 Depth=1
	v_bfe_u32 v2, v14, 16, 1
	s_delay_alu instid0(VALU_DEP_1)
	v_add3_u32 v2, v14, v2, 0x7fff
                                        ; implicit-def: $vgpr14
; %bb.2774:                             ;   in Loop: Header=BB450_13 Depth=1
	s_and_not1_saveexec_b32 s22, s2
; %bb.2775:                             ;   in Loop: Header=BB450_13 Depth=1
	v_and_b32_e32 v2, 0xffff, v14
	v_or_b32_e32 v15, 0x10000, v14
	s_delay_alu instid0(VALU_DEP_2) | instskip(NEXT) | instid1(VALU_DEP_1)
	v_cmp_eq_u32_e64 s2, 0, v2
	v_cndmask_b32_e64 v2, v15, v14, s2
; %bb.2776:                             ;   in Loop: Header=BB450_13 Depth=1
	s_or_b32 exec_lo, exec_lo, s22
	v_lshrrev_b32_e32 v14, 16, v34
	v_mov_b32_e32 v15, 0
	s_mov_b32 s22, exec_lo
	s_delay_alu instid0(VALU_DEP_2) | instskip(NEXT) | instid1(VALU_DEP_1)
	v_and_b32_e32 v19, 0xff, v14
	v_cmpx_ne_u16_e32 0, v19
	s_cbranch_execz .LBB450_2784
; %bb.2777:                             ;   in Loop: Header=BB450_13 Depth=1
	v_bfrev_b32_e32 v15, 1
	s_mov_b32 s23, exec_lo
	v_cmpx_ne_u16_e32 0x80, v19
	s_cbranch_execz .LBB450_2783
; %bb.2778:                             ;   in Loop: Header=BB450_13 Depth=1
	v_bfe_u32 v26, v34, 16, 7
	v_mov_b32_e32 v15, 0x7f800001
	s_mov_b32 s24, exec_lo
	s_delay_alu instid0(VALU_DEP_2)
	v_cmpx_ne_u32_e32 0x7f, v26
	s_cbranch_execz .LBB450_2782
; %bb.2779:                             ;   in Loop: Header=BB450_13 Depth=1
	v_and_b32_e32 v19, 7, v14
	v_mov_b32_e32 v36, v20
	v_lshrrev_b32_e32 v15, 3, v26
	s_mov_b32 s25, exec_lo
	s_delay_alu instid0(VALU_DEP_3)
	v_mov_b32_e32 v35, v19
	v_cmpx_gt_u32_e32 8, v26
; %bb.2780:                             ;   in Loop: Header=BB450_13 Depth=1
	v_clz_i32_u32_e32 v15, v19
	s_delay_alu instid0(VALU_DEP_1) | instskip(NEXT) | instid1(VALU_DEP_1)
	v_min_u32_e32 v15, 32, v15
	v_subrev_nc_u32_e32 v26, 28, v15
	v_sub_nc_u32_e32 v15, 29, v15
	s_delay_alu instid0(VALU_DEP_2) | instskip(NEXT) | instid1(VALU_DEP_1)
	v_lshlrev_b64 v[26:27], v26, v[19:20]
	v_and_b32_e32 v35, 7, v26
; %bb.2781:                             ;   in Loop: Header=BB450_13 Depth=1
	s_or_b32 exec_lo, exec_lo, s25
	v_lshlrev_b32_e32 v14, 24, v14
	s_delay_alu instid0(VALU_DEP_2) | instskip(SKIP_1) | instid1(VALU_DEP_3)
	v_lshlrev_b32_e32 v19, 20, v35
	v_lshl_add_u32 v15, v15, 23, 0x3c000000
	v_and_b32_e32 v14, 0x80000000, v14
	s_delay_alu instid0(VALU_DEP_1)
	v_or3_b32 v15, v19, v14, v15
.LBB450_2782:                           ;   in Loop: Header=BB450_13 Depth=1
	s_or_b32 exec_lo, exec_lo, s24
.LBB450_2783:                           ;   in Loop: Header=BB450_13 Depth=1
	s_delay_alu instid0(SALU_CYCLE_1)
	s_or_b32 exec_lo, exec_lo, s23
.LBB450_2784:                           ;   in Loop: Header=BB450_13 Depth=1
	s_delay_alu instid0(SALU_CYCLE_1) | instskip(NEXT) | instid1(VALU_DEP_1)
	s_or_b32 exec_lo, exec_lo, s22
	v_mul_f32_e32 v14, v121, v15
	s_delay_alu instid0(VALU_DEP_1) | instskip(NEXT) | instid1(VALU_DEP_1)
	v_and_b32_e32 v15, 0x7f800000, v14
	v_cmp_ne_u32_e64 s2, 0x7f800000, v15
                                        ; implicit-def: $vgpr15
	s_delay_alu instid0(VALU_DEP_1) | instskip(NEXT) | instid1(SALU_CYCLE_1)
	s_and_saveexec_b32 s22, s2
	s_xor_b32 s2, exec_lo, s22
; %bb.2785:                             ;   in Loop: Header=BB450_13 Depth=1
	v_bfe_u32 v15, v14, 16, 1
	s_delay_alu instid0(VALU_DEP_1)
	v_add3_u32 v15, v14, v15, 0x7fff
                                        ; implicit-def: $vgpr14
; %bb.2786:                             ;   in Loop: Header=BB450_13 Depth=1
	s_and_not1_saveexec_b32 s22, s2
; %bb.2787:                             ;   in Loop: Header=BB450_13 Depth=1
	v_and_b32_e32 v15, 0xffff, v14
	v_or_b32_e32 v19, 0x10000, v14
	s_delay_alu instid0(VALU_DEP_2) | instskip(NEXT) | instid1(VALU_DEP_1)
	v_cmp_eq_u32_e64 s2, 0, v15
	v_cndmask_b32_e64 v15, v19, v14, s2
; %bb.2788:                             ;   in Loop: Header=BB450_13 Depth=1
	s_or_b32 exec_lo, exec_lo, s22
	v_mov_b32_e32 v19, 0
	s_mov_b32 s22, exec_lo
	v_cmpx_lt_u64_e64 s[8:9], v[33:34]
	s_cbranch_execz .LBB450_2796
; %bb.2789:                             ;   in Loop: Header=BB450_13 Depth=1
	v_lshrrev_b32_e32 v14, 24, v34
	v_bfrev_b32_e32 v19, 1
	s_mov_b32 s23, exec_lo
	s_delay_alu instid0(VALU_DEP_2)
	v_cmpx_ne_u32_e32 0x80, v14
	s_cbranch_execz .LBB450_2795
; %bb.2790:                             ;   in Loop: Header=BB450_13 Depth=1
	v_bfe_u32 v27, v34, 24, 7
	v_mov_b32_e32 v19, 0x7f800001
	s_mov_b32 s24, exec_lo
	s_delay_alu instid0(VALU_DEP_2)
	v_cmpx_ne_u32_e32 0x7f, v27
	s_cbranch_execz .LBB450_2794
; %bb.2791:                             ;   in Loop: Header=BB450_13 Depth=1
	v_and_b32_e32 v19, 7, v14
	v_mov_b32_e32 v34, v20
	v_lshrrev_b32_e32 v26, 3, v27
	s_mov_b32 s25, exec_lo
	s_delay_alu instid0(VALU_DEP_3)
	v_mov_b32_e32 v33, v19
	v_cmpx_gt_u32_e32 8, v27
; %bb.2792:                             ;   in Loop: Header=BB450_13 Depth=1
	v_clz_i32_u32_e32 v26, v19
	s_delay_alu instid0(VALU_DEP_1) | instskip(NEXT) | instid1(VALU_DEP_1)
	v_min_u32_e32 v26, 32, v26
	v_subrev_nc_u32_e32 v27, 28, v26
	v_sub_nc_u32_e32 v26, 29, v26
	s_delay_alu instid0(VALU_DEP_2) | instskip(NEXT) | instid1(VALU_DEP_1)
	v_lshlrev_b64 v[33:34], v27, v[19:20]
	v_and_b32_e32 v33, 7, v33
; %bb.2793:                             ;   in Loop: Header=BB450_13 Depth=1
	s_or_b32 exec_lo, exec_lo, s25
	v_lshlrev_b32_e32 v14, 24, v14
	s_delay_alu instid0(VALU_DEP_2) | instskip(SKIP_1) | instid1(VALU_DEP_3)
	v_lshlrev_b32_e32 v19, 20, v33
	v_lshl_add_u32 v26, v26, 23, 0x3c000000
	v_and_b32_e32 v14, 0x80000000, v14
	s_delay_alu instid0(VALU_DEP_1)
	v_or3_b32 v19, v19, v14, v26
.LBB450_2794:                           ;   in Loop: Header=BB450_13 Depth=1
	s_or_b32 exec_lo, exec_lo, s24
.LBB450_2795:                           ;   in Loop: Header=BB450_13 Depth=1
	s_delay_alu instid0(SALU_CYCLE_1)
	s_or_b32 exec_lo, exec_lo, s23
.LBB450_2796:                           ;   in Loop: Header=BB450_13 Depth=1
	s_delay_alu instid0(SALU_CYCLE_1) | instskip(NEXT) | instid1(VALU_DEP_1)
	s_or_b32 exec_lo, exec_lo, s22
	v_mul_f32_e32 v19, v121, v19
	s_delay_alu instid0(VALU_DEP_1) | instskip(NEXT) | instid1(VALU_DEP_1)
	v_and_b32_e32 v14, 0x7f800000, v19
	v_cmp_ne_u32_e64 s2, 0x7f800000, v14
                                        ; implicit-def: $vgpr14
	s_delay_alu instid0(VALU_DEP_1) | instskip(NEXT) | instid1(SALU_CYCLE_1)
	s_and_saveexec_b32 s22, s2
	s_xor_b32 s2, exec_lo, s22
; %bb.2797:                             ;   in Loop: Header=BB450_13 Depth=1
	v_bfe_u32 v14, v19, 16, 1
	s_delay_alu instid0(VALU_DEP_1)
	v_add3_u32 v14, v19, v14, 0x7fff
                                        ; implicit-def: $vgpr19
; %bb.2798:                             ;   in Loop: Header=BB450_13 Depth=1
	s_and_not1_saveexec_b32 s22, s2
; %bb.2799:                             ;   in Loop: Header=BB450_13 Depth=1
	v_and_b32_e32 v14, 0xffff, v19
	v_or_b32_e32 v26, 0x10000, v19
	s_delay_alu instid0(VALU_DEP_2) | instskip(NEXT) | instid1(VALU_DEP_1)
	v_cmp_eq_u32_e64 s2, 0, v14
	v_cndmask_b32_e64 v14, v26, v19, s2
; %bb.2800:                             ;   in Loop: Header=BB450_13 Depth=1
	s_or_b32 exec_lo, exec_lo, s22
	flat_load_b64 v[33:34], v[31:32] offset:3080
	s_mov_b32 s22, exec_lo
	s_waitcnt vmcnt(0) lgkmcnt(0)
	v_dual_mov_b32 v19, 0 :: v_dual_and_b32 v26, 0xff, v33
	s_delay_alu instid0(VALU_DEP_1)
	v_cmpx_ne_u16_e32 0, v26
	s_cbranch_execz .LBB450_2808
; %bb.2801:                             ;   in Loop: Header=BB450_13 Depth=1
	v_bfrev_b32_e32 v19, 1
	s_mov_b32 s23, exec_lo
	v_cmpx_ne_u16_e32 0x80, v26
	s_cbranch_execz .LBB450_2807
; %bb.2802:                             ;   in Loop: Header=BB450_13 Depth=1
	v_and_b32_e32 v26, 0x7f, v33
	v_mov_b32_e32 v19, 0x7f800001
	s_mov_b32 s24, exec_lo
	s_delay_alu instid0(VALU_DEP_2)
	v_cmpx_ne_u32_e32 0x7f, v26
	s_cbranch_execz .LBB450_2806
; %bb.2803:                             ;   in Loop: Header=BB450_13 Depth=1
	v_lshrrev_b32_e32 v19, 3, v26
	v_dual_mov_b32 v36, v34 :: v_dual_mov_b32 v35, v33
	s_mov_b32 s25, exec_lo
	v_cmpx_gt_u32_e32 8, v26
; %bb.2804:                             ;   in Loop: Header=BB450_13 Depth=1
	v_and_b32_e32 v19, 7, v33
	s_delay_alu instid0(VALU_DEP_1) | instskip(NEXT) | instid1(VALU_DEP_1)
	v_clz_i32_u32_e32 v19, v19
	v_min_u32_e32 v19, 32, v19
	s_delay_alu instid0(VALU_DEP_1) | instskip(SKIP_1) | instid1(VALU_DEP_2)
	v_subrev_nc_u32_e32 v26, 28, v19
	v_sub_nc_u32_e32 v19, 29, v19
	v_lshlrev_b64 v[35:36], v26, v[33:34]
; %bb.2805:                             ;   in Loop: Header=BB450_13 Depth=1
	s_or_b32 exec_lo, exec_lo, s25
	s_delay_alu instid0(VALU_DEP_1) | instskip(SKIP_2) | instid1(VALU_DEP_3)
	v_lshlrev_b32_e32 v26, 20, v35
	v_lshlrev_b32_e32 v27, 24, v33
	v_lshl_add_u32 v19, v19, 23, 0x3c000000
	v_and_b32_e32 v26, 0x700000, v26
	s_delay_alu instid0(VALU_DEP_3) | instskip(NEXT) | instid1(VALU_DEP_1)
	v_and_b32_e32 v27, 0x80000000, v27
	v_or3_b32 v19, v26, v27, v19
.LBB450_2806:                           ;   in Loop: Header=BB450_13 Depth=1
	s_or_b32 exec_lo, exec_lo, s24
.LBB450_2807:                           ;   in Loop: Header=BB450_13 Depth=1
	s_delay_alu instid0(SALU_CYCLE_1)
	s_or_b32 exec_lo, exec_lo, s23
.LBB450_2808:                           ;   in Loop: Header=BB450_13 Depth=1
	s_delay_alu instid0(SALU_CYCLE_1) | instskip(NEXT) | instid1(VALU_DEP_1)
	s_or_b32 exec_lo, exec_lo, s22
	v_mul_f32_e32 v19, v121, v19
                                        ; implicit-def: $vgpr30
	s_delay_alu instid0(VALU_DEP_1) | instskip(NEXT) | instid1(VALU_DEP_1)
	v_and_b32_e32 v26, 0x7f800000, v19
	v_cmp_ne_u32_e64 s2, 0x7f800000, v26
	s_delay_alu instid0(VALU_DEP_1) | instskip(NEXT) | instid1(SALU_CYCLE_1)
	s_and_saveexec_b32 s22, s2
	s_xor_b32 s2, exec_lo, s22
; %bb.2809:                             ;   in Loop: Header=BB450_13 Depth=1
	v_bfe_u32 v26, v19, 16, 1
	s_delay_alu instid0(VALU_DEP_1)
	v_add3_u32 v30, v19, v26, 0x7fff
                                        ; implicit-def: $vgpr19
; %bb.2810:                             ;   in Loop: Header=BB450_13 Depth=1
	s_and_not1_saveexec_b32 s22, s2
; %bb.2811:                             ;   in Loop: Header=BB450_13 Depth=1
	v_and_b32_e32 v26, 0xffff, v19
	v_or_b32_e32 v27, 0x10000, v19
	s_delay_alu instid0(VALU_DEP_2) | instskip(NEXT) | instid1(VALU_DEP_1)
	v_cmp_eq_u32_e64 s2, 0, v26
	v_cndmask_b32_e64 v30, v27, v19, s2
; %bb.2812:                             ;   in Loop: Header=BB450_13 Depth=1
	s_or_b32 exec_lo, exec_lo, s22
	v_lshrrev_b16 v26, 8, v33
	v_mov_b32_e32 v19, 0
	s_mov_b32 s22, exec_lo
	s_delay_alu instid0(VALU_DEP_2)
	v_cmpx_ne_u16_e32 0, v26
	s_cbranch_execz .LBB450_2820
; %bb.2813:                             ;   in Loop: Header=BB450_13 Depth=1
	v_bfrev_b32_e32 v19, 1
	s_mov_b32 s23, exec_lo
	v_cmpx_ne_u16_e32 0x80, v26
	s_cbranch_execz .LBB450_2819
; %bb.2814:                             ;   in Loop: Header=BB450_13 Depth=1
	v_and_b32_e32 v26, 0xffff, v26
	v_mov_b32_e32 v19, 0x7f800001
	s_mov_b32 s24, exec_lo
	s_delay_alu instid0(VALU_DEP_2) | instskip(NEXT) | instid1(VALU_DEP_1)
	v_and_b32_e32 v27, 0x7f, v26
	v_cmpx_ne_u32_e32 0x7f, v27
	s_cbranch_execz .LBB450_2818
; %bb.2815:                             ;   in Loop: Header=BB450_13 Depth=1
	v_and_b32_e32 v19, 7, v26
	v_mov_b32_e32 v36, v20
	v_lshrrev_b32_e32 v26, 3, v27
	s_mov_b32 s25, exec_lo
	s_delay_alu instid0(VALU_DEP_3)
	v_mov_b32_e32 v35, v19
	v_cmpx_gt_u32_e32 8, v27
; %bb.2816:                             ;   in Loop: Header=BB450_13 Depth=1
	v_clz_i32_u32_e32 v26, v19
	s_delay_alu instid0(VALU_DEP_1) | instskip(NEXT) | instid1(VALU_DEP_1)
	v_min_u32_e32 v26, 32, v26
	v_subrev_nc_u32_e32 v27, 28, v26
	v_sub_nc_u32_e32 v26, 29, v26
	s_delay_alu instid0(VALU_DEP_2) | instskip(NEXT) | instid1(VALU_DEP_1)
	v_lshlrev_b64 v[35:36], v27, v[19:20]
	v_and_b32_e32 v35, 7, v35
; %bb.2817:                             ;   in Loop: Header=BB450_13 Depth=1
	s_or_b32 exec_lo, exec_lo, s25
	v_lshlrev_b32_e32 v19, 16, v33
	s_delay_alu instid0(VALU_DEP_2) | instskip(SKIP_1) | instid1(VALU_DEP_3)
	v_lshlrev_b32_e32 v27, 20, v35
	v_lshl_add_u32 v26, v26, 23, 0x3c000000
	v_and_b32_e32 v19, 0x80000000, v19
	s_delay_alu instid0(VALU_DEP_1)
	v_or3_b32 v19, v27, v19, v26
.LBB450_2818:                           ;   in Loop: Header=BB450_13 Depth=1
	s_or_b32 exec_lo, exec_lo, s24
.LBB450_2819:                           ;   in Loop: Header=BB450_13 Depth=1
	s_delay_alu instid0(SALU_CYCLE_1)
	s_or_b32 exec_lo, exec_lo, s23
.LBB450_2820:                           ;   in Loop: Header=BB450_13 Depth=1
	s_delay_alu instid0(SALU_CYCLE_1) | instskip(NEXT) | instid1(VALU_DEP_1)
	s_or_b32 exec_lo, exec_lo, s22
	v_mul_f32_e32 v19, v121, v19
                                        ; implicit-def: $vgpr64
	s_delay_alu instid0(VALU_DEP_1) | instskip(NEXT) | instid1(VALU_DEP_1)
	v_and_b32_e32 v26, 0x7f800000, v19
	v_cmp_ne_u32_e64 s2, 0x7f800000, v26
	s_delay_alu instid0(VALU_DEP_1) | instskip(NEXT) | instid1(SALU_CYCLE_1)
	s_and_saveexec_b32 s22, s2
	s_xor_b32 s2, exec_lo, s22
; %bb.2821:                             ;   in Loop: Header=BB450_13 Depth=1
	v_bfe_u32 v26, v19, 16, 1
	s_delay_alu instid0(VALU_DEP_1)
	v_add3_u32 v64, v19, v26, 0x7fff
                                        ; implicit-def: $vgpr19
; %bb.2822:                             ;   in Loop: Header=BB450_13 Depth=1
	s_and_not1_saveexec_b32 s22, s2
; %bb.2823:                             ;   in Loop: Header=BB450_13 Depth=1
	v_and_b32_e32 v26, 0xffff, v19
	v_or_b32_e32 v27, 0x10000, v19
	s_delay_alu instid0(VALU_DEP_2) | instskip(NEXT) | instid1(VALU_DEP_1)
	v_cmp_eq_u32_e64 s2, 0, v26
	v_cndmask_b32_e64 v64, v27, v19, s2
; %bb.2824:                             ;   in Loop: Header=BB450_13 Depth=1
	s_or_b32 exec_lo, exec_lo, s22
	v_lshrrev_b32_e32 v26, 16, v33
	v_mov_b32_e32 v19, 0
	s_mov_b32 s22, exec_lo
	s_delay_alu instid0(VALU_DEP_2) | instskip(NEXT) | instid1(VALU_DEP_1)
	v_and_b32_e32 v27, 0xff, v26
	v_cmpx_ne_u16_e32 0, v27
	s_cbranch_execz .LBB450_2832
; %bb.2825:                             ;   in Loop: Header=BB450_13 Depth=1
	v_bfrev_b32_e32 v19, 1
	s_mov_b32 s23, exec_lo
	v_cmpx_ne_u16_e32 0x80, v27
	s_cbranch_execz .LBB450_2831
; %bb.2826:                             ;   in Loop: Header=BB450_13 Depth=1
	v_bfe_u32 v52, v33, 16, 7
	v_mov_b32_e32 v19, 0x7f800001
	s_mov_b32 s24, exec_lo
	s_delay_alu instid0(VALU_DEP_2)
	v_cmpx_ne_u32_e32 0x7f, v52
	s_cbranch_execz .LBB450_2830
; %bb.2827:                             ;   in Loop: Header=BB450_13 Depth=1
	v_and_b32_e32 v19, 7, v26
	v_mov_b32_e32 v36, v20
	v_lshrrev_b32_e32 v27, 3, v52
	s_mov_b32 s25, exec_lo
	s_delay_alu instid0(VALU_DEP_3)
	v_mov_b32_e32 v35, v19
	v_cmpx_gt_u32_e32 8, v52
; %bb.2828:                             ;   in Loop: Header=BB450_13 Depth=1
	v_clz_i32_u32_e32 v27, v19
	s_delay_alu instid0(VALU_DEP_1) | instskip(NEXT) | instid1(VALU_DEP_1)
	v_min_u32_e32 v27, 32, v27
	v_subrev_nc_u32_e32 v35, 28, v27
	v_sub_nc_u32_e32 v27, 29, v27
	s_delay_alu instid0(VALU_DEP_2) | instskip(NEXT) | instid1(VALU_DEP_1)
	v_lshlrev_b64 v[35:36], v35, v[19:20]
	v_and_b32_e32 v35, 7, v35
; %bb.2829:                             ;   in Loop: Header=BB450_13 Depth=1
	s_or_b32 exec_lo, exec_lo, s25
	v_lshlrev_b32_e32 v19, 24, v26
	s_delay_alu instid0(VALU_DEP_2) | instskip(SKIP_1) | instid1(VALU_DEP_3)
	v_lshlrev_b32_e32 v26, 20, v35
	v_lshl_add_u32 v27, v27, 23, 0x3c000000
	v_and_b32_e32 v19, 0x80000000, v19
	s_delay_alu instid0(VALU_DEP_1)
	v_or3_b32 v19, v26, v19, v27
.LBB450_2830:                           ;   in Loop: Header=BB450_13 Depth=1
	s_or_b32 exec_lo, exec_lo, s24
.LBB450_2831:                           ;   in Loop: Header=BB450_13 Depth=1
	s_delay_alu instid0(SALU_CYCLE_1)
	s_or_b32 exec_lo, exec_lo, s23
.LBB450_2832:                           ;   in Loop: Header=BB450_13 Depth=1
	s_delay_alu instid0(SALU_CYCLE_1) | instskip(NEXT) | instid1(VALU_DEP_1)
	s_or_b32 exec_lo, exec_lo, s22
	v_mul_f32_e32 v19, v121, v19
                                        ; implicit-def: $vgpr65
	s_delay_alu instid0(VALU_DEP_1) | instskip(NEXT) | instid1(VALU_DEP_1)
	v_and_b32_e32 v26, 0x7f800000, v19
	v_cmp_ne_u32_e64 s2, 0x7f800000, v26
	s_delay_alu instid0(VALU_DEP_1) | instskip(NEXT) | instid1(SALU_CYCLE_1)
	s_and_saveexec_b32 s22, s2
	s_xor_b32 s2, exec_lo, s22
; %bb.2833:                             ;   in Loop: Header=BB450_13 Depth=1
	v_bfe_u32 v26, v19, 16, 1
	s_delay_alu instid0(VALU_DEP_1)
	v_add3_u32 v65, v19, v26, 0x7fff
                                        ; implicit-def: $vgpr19
; %bb.2834:                             ;   in Loop: Header=BB450_13 Depth=1
	s_and_not1_saveexec_b32 s22, s2
; %bb.2835:                             ;   in Loop: Header=BB450_13 Depth=1
	v_and_b32_e32 v26, 0xffff, v19
	v_or_b32_e32 v27, 0x10000, v19
	s_delay_alu instid0(VALU_DEP_2) | instskip(NEXT) | instid1(VALU_DEP_1)
	v_cmp_eq_u32_e64 s2, 0, v26
	v_cndmask_b32_e64 v65, v27, v19, s2
; %bb.2836:                             ;   in Loop: Header=BB450_13 Depth=1
	s_or_b32 exec_lo, exec_lo, s22
	v_mov_b32_e32 v19, 0
	s_mov_b32 s22, exec_lo
	v_cmpx_lt_u32_e32 0xffffff, v33
	s_cbranch_execz .LBB450_2844
; %bb.2837:                             ;   in Loop: Header=BB450_13 Depth=1
	v_lshrrev_b32_e32 v26, 24, v33
	v_bfrev_b32_e32 v19, 1
	s_mov_b32 s23, exec_lo
	s_delay_alu instid0(VALU_DEP_2)
	v_cmpx_ne_u32_e32 0x80, v26
	s_cbranch_execz .LBB450_2843
; %bb.2838:                             ;   in Loop: Header=BB450_13 Depth=1
	v_bfe_u32 v52, v33, 24, 7
	v_mov_b32_e32 v19, 0x7f800001
	s_mov_b32 s24, exec_lo
	s_delay_alu instid0(VALU_DEP_2)
	v_cmpx_ne_u32_e32 0x7f, v52
	s_cbranch_execz .LBB450_2842
; %bb.2839:                             ;   in Loop: Header=BB450_13 Depth=1
	v_and_b32_e32 v19, 7, v26
	v_mov_b32_e32 v36, v20
	v_lshrrev_b32_e32 v27, 3, v52
	s_mov_b32 s25, exec_lo
	s_delay_alu instid0(VALU_DEP_3)
	v_mov_b32_e32 v35, v19
	v_cmpx_gt_u32_e32 8, v52
; %bb.2840:                             ;   in Loop: Header=BB450_13 Depth=1
	v_clz_i32_u32_e32 v27, v19
	s_delay_alu instid0(VALU_DEP_1) | instskip(NEXT) | instid1(VALU_DEP_1)
	v_min_u32_e32 v27, 32, v27
	v_subrev_nc_u32_e32 v35, 28, v27
	v_sub_nc_u32_e32 v27, 29, v27
	s_delay_alu instid0(VALU_DEP_2) | instskip(NEXT) | instid1(VALU_DEP_1)
	v_lshlrev_b64 v[35:36], v35, v[19:20]
	v_and_b32_e32 v35, 7, v35
; %bb.2841:                             ;   in Loop: Header=BB450_13 Depth=1
	s_or_b32 exec_lo, exec_lo, s25
	v_lshlrev_b32_e32 v19, 24, v26
	s_delay_alu instid0(VALU_DEP_2) | instskip(SKIP_1) | instid1(VALU_DEP_3)
	v_lshlrev_b32_e32 v26, 20, v35
	v_lshl_add_u32 v27, v27, 23, 0x3c000000
	v_and_b32_e32 v19, 0x80000000, v19
	s_delay_alu instid0(VALU_DEP_1)
	v_or3_b32 v19, v26, v19, v27
.LBB450_2842:                           ;   in Loop: Header=BB450_13 Depth=1
	s_or_b32 exec_lo, exec_lo, s24
.LBB450_2843:                           ;   in Loop: Header=BB450_13 Depth=1
	s_delay_alu instid0(SALU_CYCLE_1)
	s_or_b32 exec_lo, exec_lo, s23
.LBB450_2844:                           ;   in Loop: Header=BB450_13 Depth=1
	s_delay_alu instid0(SALU_CYCLE_1) | instskip(NEXT) | instid1(VALU_DEP_1)
	s_or_b32 exec_lo, exec_lo, s22
	v_mul_f32_e32 v19, v121, v19
                                        ; implicit-def: $vgpr66
	s_delay_alu instid0(VALU_DEP_1) | instskip(NEXT) | instid1(VALU_DEP_1)
	v_and_b32_e32 v26, 0x7f800000, v19
	v_cmp_ne_u32_e64 s2, 0x7f800000, v26
	s_delay_alu instid0(VALU_DEP_1) | instskip(NEXT) | instid1(SALU_CYCLE_1)
	s_and_saveexec_b32 s22, s2
	s_xor_b32 s2, exec_lo, s22
; %bb.2845:                             ;   in Loop: Header=BB450_13 Depth=1
	v_bfe_u32 v26, v19, 16, 1
	s_delay_alu instid0(VALU_DEP_1)
	v_add3_u32 v66, v19, v26, 0x7fff
                                        ; implicit-def: $vgpr19
; %bb.2846:                             ;   in Loop: Header=BB450_13 Depth=1
	s_and_not1_saveexec_b32 s22, s2
; %bb.2847:                             ;   in Loop: Header=BB450_13 Depth=1
	v_and_b32_e32 v26, 0xffff, v19
	v_or_b32_e32 v27, 0x10000, v19
	s_delay_alu instid0(VALU_DEP_2) | instskip(NEXT) | instid1(VALU_DEP_1)
	v_cmp_eq_u32_e64 s2, 0, v26
	v_cndmask_b32_e64 v66, v27, v19, s2
; %bb.2848:                             ;   in Loop: Header=BB450_13 Depth=1
	s_or_b32 exec_lo, exec_lo, s22
	v_dual_mov_b32 v26, 0 :: v_dual_and_b32 v27, 0xff, v34
	v_mov_b32_e32 v19, v34
	s_mov_b32 s22, exec_lo
	s_delay_alu instid0(VALU_DEP_2)
	v_cmpx_ne_u16_e32 0, v27
	s_cbranch_execz .LBB450_2856
; %bb.2849:                             ;   in Loop: Header=BB450_13 Depth=1
	v_bfrev_b32_e32 v26, 1
	s_mov_b32 s23, exec_lo
	v_cmpx_ne_u16_e32 0x80, v27
	s_cbranch_execz .LBB450_2855
; %bb.2850:                             ;   in Loop: Header=BB450_13 Depth=1
	v_and_b32_e32 v27, 0x7f, v34
	v_mov_b32_e32 v26, 0x7f800001
	s_mov_b32 s24, exec_lo
	s_delay_alu instid0(VALU_DEP_2)
	v_cmpx_ne_u32_e32 0x7f, v27
	s_cbranch_execz .LBB450_2854
; %bb.2851:                             ;   in Loop: Header=BB450_13 Depth=1
	v_dual_mov_b32 v36, v20 :: v_dual_mov_b32 v35, v19
	v_lshrrev_b32_e32 v26, 3, v27
	s_mov_b32 s25, exec_lo
	v_cmpx_gt_u32_e32 8, v27
; %bb.2852:                             ;   in Loop: Header=BB450_13 Depth=1
	v_and_b32_e32 v26, 7, v34
	s_delay_alu instid0(VALU_DEP_1) | instskip(NEXT) | instid1(VALU_DEP_1)
	v_clz_i32_u32_e32 v26, v26
	v_min_u32_e32 v26, 32, v26
	s_delay_alu instid0(VALU_DEP_1) | instskip(SKIP_1) | instid1(VALU_DEP_2)
	v_subrev_nc_u32_e32 v27, 28, v26
	v_sub_nc_u32_e32 v26, 29, v26
	v_lshlrev_b64 v[35:36], v27, v[19:20]
; %bb.2853:                             ;   in Loop: Header=BB450_13 Depth=1
	s_or_b32 exec_lo, exec_lo, s25
	s_delay_alu instid0(VALU_DEP_1) | instskip(SKIP_2) | instid1(VALU_DEP_3)
	v_lshlrev_b32_e32 v27, 20, v35
	v_lshlrev_b32_e32 v35, 24, v19
	v_lshl_add_u32 v26, v26, 23, 0x3c000000
	v_and_b32_e32 v27, 0x700000, v27
	s_delay_alu instid0(VALU_DEP_3) | instskip(NEXT) | instid1(VALU_DEP_1)
	v_and_b32_e32 v35, 0x80000000, v35
	v_or3_b32 v26, v27, v35, v26
.LBB450_2854:                           ;   in Loop: Header=BB450_13 Depth=1
	s_or_b32 exec_lo, exec_lo, s24
.LBB450_2855:                           ;   in Loop: Header=BB450_13 Depth=1
	s_delay_alu instid0(SALU_CYCLE_1)
	s_or_b32 exec_lo, exec_lo, s23
.LBB450_2856:                           ;   in Loop: Header=BB450_13 Depth=1
	s_delay_alu instid0(SALU_CYCLE_1) | instskip(NEXT) | instid1(VALU_DEP_1)
	s_or_b32 exec_lo, exec_lo, s22
	v_mul_f32_e32 v26, v121, v26
                                        ; implicit-def: $vgpr67
	s_delay_alu instid0(VALU_DEP_1) | instskip(NEXT) | instid1(VALU_DEP_1)
	v_and_b32_e32 v27, 0x7f800000, v26
	v_cmp_ne_u32_e64 s2, 0x7f800000, v27
	s_delay_alu instid0(VALU_DEP_1) | instskip(NEXT) | instid1(SALU_CYCLE_1)
	s_and_saveexec_b32 s22, s2
	s_xor_b32 s2, exec_lo, s22
; %bb.2857:                             ;   in Loop: Header=BB450_13 Depth=1
	v_bfe_u32 v27, v26, 16, 1
	s_delay_alu instid0(VALU_DEP_1)
	v_add3_u32 v67, v26, v27, 0x7fff
                                        ; implicit-def: $vgpr26
; %bb.2858:                             ;   in Loop: Header=BB450_13 Depth=1
	s_and_not1_saveexec_b32 s22, s2
; %bb.2859:                             ;   in Loop: Header=BB450_13 Depth=1
	v_and_b32_e32 v27, 0xffff, v26
	v_or_b32_e32 v35, 0x10000, v26
	s_delay_alu instid0(VALU_DEP_2) | instskip(NEXT) | instid1(VALU_DEP_1)
	v_cmp_eq_u32_e64 s2, 0, v27
	v_cndmask_b32_e64 v67, v35, v26, s2
; %bb.2860:                             ;   in Loop: Header=BB450_13 Depth=1
	s_or_b32 exec_lo, exec_lo, s22
	v_lshrrev_b16 v27, 8, v19
	v_mov_b32_e32 v26, 0
	s_mov_b32 s22, exec_lo
	s_delay_alu instid0(VALU_DEP_2)
	v_cmpx_ne_u16_e32 0, v27
	s_cbranch_execz .LBB450_2868
; %bb.2861:                             ;   in Loop: Header=BB450_13 Depth=1
	v_bfrev_b32_e32 v26, 1
	s_mov_b32 s23, exec_lo
	v_cmpx_ne_u16_e32 0x80, v27
	s_cbranch_execz .LBB450_2867
; %bb.2862:                             ;   in Loop: Header=BB450_13 Depth=1
	v_and_b32_e32 v35, 0xffff, v27
	v_mov_b32_e32 v26, 0x7f800001
	s_mov_b32 s24, exec_lo
	s_delay_alu instid0(VALU_DEP_2) | instskip(NEXT) | instid1(VALU_DEP_1)
	v_and_b32_e32 v27, 0x7f, v35
	v_cmpx_ne_u32_e32 0x7f, v27
	s_cbranch_execz .LBB450_2866
; %bb.2863:                             ;   in Loop: Header=BB450_13 Depth=1
	v_dual_mov_b32 v36, v20 :: v_dual_and_b32 v35, 7, v35
	v_lshrrev_b32_e32 v26, 3, v27
	s_mov_b32 s25, exec_lo
	v_cmpx_gt_u32_e32 8, v27
; %bb.2864:                             ;   in Loop: Header=BB450_13 Depth=1
	s_delay_alu instid0(VALU_DEP_3) | instskip(NEXT) | instid1(VALU_DEP_1)
	v_clz_i32_u32_e32 v26, v35
	v_min_u32_e32 v26, 32, v26
	s_delay_alu instid0(VALU_DEP_1) | instskip(SKIP_1) | instid1(VALU_DEP_2)
	v_subrev_nc_u32_e32 v27, 28, v26
	v_sub_nc_u32_e32 v26, 29, v26
	v_lshlrev_b64 v[35:36], v27, v[35:36]
	s_delay_alu instid0(VALU_DEP_1)
	v_and_b32_e32 v35, 7, v35
; %bb.2865:                             ;   in Loop: Header=BB450_13 Depth=1
	s_or_b32 exec_lo, exec_lo, s25
	v_lshlrev_b32_e32 v19, 16, v19
	s_delay_alu instid0(VALU_DEP_2) | instskip(SKIP_1) | instid1(VALU_DEP_3)
	v_lshlrev_b32_e32 v27, 20, v35
	v_lshl_add_u32 v26, v26, 23, 0x3c000000
	v_and_b32_e32 v19, 0x80000000, v19
	s_delay_alu instid0(VALU_DEP_1)
	v_or3_b32 v26, v27, v19, v26
.LBB450_2866:                           ;   in Loop: Header=BB450_13 Depth=1
	s_or_b32 exec_lo, exec_lo, s24
.LBB450_2867:                           ;   in Loop: Header=BB450_13 Depth=1
	s_delay_alu instid0(SALU_CYCLE_1)
	s_or_b32 exec_lo, exec_lo, s23
.LBB450_2868:                           ;   in Loop: Header=BB450_13 Depth=1
	s_delay_alu instid0(SALU_CYCLE_1) | instskip(NEXT) | instid1(VALU_DEP_1)
	s_or_b32 exec_lo, exec_lo, s22
	v_mul_f32_e32 v19, v121, v26
                                        ; implicit-def: $vgpr68
	s_delay_alu instid0(VALU_DEP_1) | instskip(NEXT) | instid1(VALU_DEP_1)
	v_and_b32_e32 v26, 0x7f800000, v19
	v_cmp_ne_u32_e64 s2, 0x7f800000, v26
	s_delay_alu instid0(VALU_DEP_1) | instskip(NEXT) | instid1(SALU_CYCLE_1)
	s_and_saveexec_b32 s22, s2
	s_xor_b32 s2, exec_lo, s22
; %bb.2869:                             ;   in Loop: Header=BB450_13 Depth=1
	v_bfe_u32 v26, v19, 16, 1
	s_delay_alu instid0(VALU_DEP_1)
	v_add3_u32 v68, v19, v26, 0x7fff
                                        ; implicit-def: $vgpr19
; %bb.2870:                             ;   in Loop: Header=BB450_13 Depth=1
	s_and_not1_saveexec_b32 s22, s2
; %bb.2871:                             ;   in Loop: Header=BB450_13 Depth=1
	v_and_b32_e32 v26, 0xffff, v19
	v_or_b32_e32 v27, 0x10000, v19
	s_delay_alu instid0(VALU_DEP_2) | instskip(NEXT) | instid1(VALU_DEP_1)
	v_cmp_eq_u32_e64 s2, 0, v26
	v_cndmask_b32_e64 v68, v27, v19, s2
; %bb.2872:                             ;   in Loop: Header=BB450_13 Depth=1
	s_or_b32 exec_lo, exec_lo, s22
	v_lshrrev_b32_e32 v26, 16, v34
	v_mov_b32_e32 v19, 0
	s_mov_b32 s22, exec_lo
	s_delay_alu instid0(VALU_DEP_2) | instskip(NEXT) | instid1(VALU_DEP_1)
	v_and_b32_e32 v27, 0xff, v26
	v_cmpx_ne_u16_e32 0, v27
	s_cbranch_execz .LBB450_2880
; %bb.2873:                             ;   in Loop: Header=BB450_13 Depth=1
	v_bfrev_b32_e32 v19, 1
	s_mov_b32 s23, exec_lo
	v_cmpx_ne_u16_e32 0x80, v27
	s_cbranch_execz .LBB450_2879
; %bb.2874:                             ;   in Loop: Header=BB450_13 Depth=1
	v_bfe_u32 v52, v34, 16, 7
	v_mov_b32_e32 v19, 0x7f800001
	s_mov_b32 s24, exec_lo
	s_delay_alu instid0(VALU_DEP_2)
	v_cmpx_ne_u32_e32 0x7f, v52
	s_cbranch_execz .LBB450_2878
; %bb.2875:                             ;   in Loop: Header=BB450_13 Depth=1
	v_and_b32_e32 v19, 7, v26
	v_mov_b32_e32 v36, v20
	v_lshrrev_b32_e32 v27, 3, v52
	s_mov_b32 s25, exec_lo
	s_delay_alu instid0(VALU_DEP_3)
	v_mov_b32_e32 v35, v19
	v_cmpx_gt_u32_e32 8, v52
; %bb.2876:                             ;   in Loop: Header=BB450_13 Depth=1
	v_clz_i32_u32_e32 v27, v19
	s_delay_alu instid0(VALU_DEP_1) | instskip(NEXT) | instid1(VALU_DEP_1)
	v_min_u32_e32 v27, 32, v27
	v_subrev_nc_u32_e32 v35, 28, v27
	v_sub_nc_u32_e32 v27, 29, v27
	s_delay_alu instid0(VALU_DEP_2) | instskip(NEXT) | instid1(VALU_DEP_1)
	v_lshlrev_b64 v[35:36], v35, v[19:20]
	v_and_b32_e32 v35, 7, v35
; %bb.2877:                             ;   in Loop: Header=BB450_13 Depth=1
	s_or_b32 exec_lo, exec_lo, s25
	v_lshlrev_b32_e32 v19, 24, v26
	s_delay_alu instid0(VALU_DEP_2) | instskip(SKIP_1) | instid1(VALU_DEP_3)
	v_lshlrev_b32_e32 v26, 20, v35
	v_lshl_add_u32 v27, v27, 23, 0x3c000000
	v_and_b32_e32 v19, 0x80000000, v19
	s_delay_alu instid0(VALU_DEP_1)
	v_or3_b32 v19, v26, v19, v27
.LBB450_2878:                           ;   in Loop: Header=BB450_13 Depth=1
	s_or_b32 exec_lo, exec_lo, s24
.LBB450_2879:                           ;   in Loop: Header=BB450_13 Depth=1
	s_delay_alu instid0(SALU_CYCLE_1)
	s_or_b32 exec_lo, exec_lo, s23
.LBB450_2880:                           ;   in Loop: Header=BB450_13 Depth=1
	s_delay_alu instid0(SALU_CYCLE_1) | instskip(NEXT) | instid1(VALU_DEP_1)
	s_or_b32 exec_lo, exec_lo, s22
	v_mul_f32_e32 v19, v121, v19
                                        ; implicit-def: $vgpr69
	s_delay_alu instid0(VALU_DEP_1) | instskip(NEXT) | instid1(VALU_DEP_1)
	v_and_b32_e32 v26, 0x7f800000, v19
	v_cmp_ne_u32_e64 s2, 0x7f800000, v26
	s_delay_alu instid0(VALU_DEP_1) | instskip(NEXT) | instid1(SALU_CYCLE_1)
	s_and_saveexec_b32 s22, s2
	s_xor_b32 s2, exec_lo, s22
; %bb.2881:                             ;   in Loop: Header=BB450_13 Depth=1
	v_bfe_u32 v26, v19, 16, 1
	s_delay_alu instid0(VALU_DEP_1)
	v_add3_u32 v69, v19, v26, 0x7fff
                                        ; implicit-def: $vgpr19
; %bb.2882:                             ;   in Loop: Header=BB450_13 Depth=1
	s_and_not1_saveexec_b32 s22, s2
; %bb.2883:                             ;   in Loop: Header=BB450_13 Depth=1
	v_and_b32_e32 v26, 0xffff, v19
	v_or_b32_e32 v27, 0x10000, v19
	s_delay_alu instid0(VALU_DEP_2) | instskip(NEXT) | instid1(VALU_DEP_1)
	v_cmp_eq_u32_e64 s2, 0, v26
	v_cndmask_b32_e64 v69, v27, v19, s2
; %bb.2884:                             ;   in Loop: Header=BB450_13 Depth=1
	s_or_b32 exec_lo, exec_lo, s22
	v_mov_b32_e32 v19, 0
	s_mov_b32 s22, exec_lo
	v_cmpx_lt_u64_e64 s[8:9], v[33:34]
	s_cbranch_execz .LBB450_2892
; %bb.2885:                             ;   in Loop: Header=BB450_13 Depth=1
	v_lshrrev_b32_e32 v26, 24, v34
	v_bfrev_b32_e32 v19, 1
	s_mov_b32 s23, exec_lo
	s_delay_alu instid0(VALU_DEP_2)
	v_cmpx_ne_u32_e32 0x80, v26
	s_cbranch_execz .LBB450_2891
; %bb.2886:                             ;   in Loop: Header=BB450_13 Depth=1
	v_bfe_u32 v35, v34, 24, 7
	v_mov_b32_e32 v19, 0x7f800001
	s_mov_b32 s24, exec_lo
	s_delay_alu instid0(VALU_DEP_2)
	v_cmpx_ne_u32_e32 0x7f, v35
	s_cbranch_execz .LBB450_2890
; %bb.2887:                             ;   in Loop: Header=BB450_13 Depth=1
	v_and_b32_e32 v19, 7, v26
	v_mov_b32_e32 v34, v20
	v_lshrrev_b32_e32 v27, 3, v35
	s_mov_b32 s25, exec_lo
	s_delay_alu instid0(VALU_DEP_3)
	v_mov_b32_e32 v33, v19
	v_cmpx_gt_u32_e32 8, v35
; %bb.2888:                             ;   in Loop: Header=BB450_13 Depth=1
	v_clz_i32_u32_e32 v27, v19
	s_delay_alu instid0(VALU_DEP_1) | instskip(NEXT) | instid1(VALU_DEP_1)
	v_min_u32_e32 v27, 32, v27
	v_subrev_nc_u32_e32 v33, 28, v27
	v_sub_nc_u32_e32 v27, 29, v27
	s_delay_alu instid0(VALU_DEP_2) | instskip(NEXT) | instid1(VALU_DEP_1)
	v_lshlrev_b64 v[33:34], v33, v[19:20]
	v_and_b32_e32 v33, 7, v33
; %bb.2889:                             ;   in Loop: Header=BB450_13 Depth=1
	s_or_b32 exec_lo, exec_lo, s25
	v_lshlrev_b32_e32 v19, 24, v26
	s_delay_alu instid0(VALU_DEP_2) | instskip(SKIP_1) | instid1(VALU_DEP_3)
	v_lshlrev_b32_e32 v26, 20, v33
	v_lshl_add_u32 v27, v27, 23, 0x3c000000
	v_and_b32_e32 v19, 0x80000000, v19
	s_delay_alu instid0(VALU_DEP_1)
	v_or3_b32 v19, v26, v19, v27
.LBB450_2890:                           ;   in Loop: Header=BB450_13 Depth=1
	s_or_b32 exec_lo, exec_lo, s24
.LBB450_2891:                           ;   in Loop: Header=BB450_13 Depth=1
	s_delay_alu instid0(SALU_CYCLE_1)
	s_or_b32 exec_lo, exec_lo, s23
.LBB450_2892:                           ;   in Loop: Header=BB450_13 Depth=1
	s_delay_alu instid0(SALU_CYCLE_1) | instskip(NEXT) | instid1(VALU_DEP_1)
	s_or_b32 exec_lo, exec_lo, s22
	v_mul_f32_e32 v19, v121, v19
                                        ; implicit-def: $vgpr70
	s_delay_alu instid0(VALU_DEP_1) | instskip(NEXT) | instid1(VALU_DEP_1)
	v_and_b32_e32 v26, 0x7f800000, v19
	v_cmp_ne_u32_e64 s2, 0x7f800000, v26
	s_delay_alu instid0(VALU_DEP_1) | instskip(NEXT) | instid1(SALU_CYCLE_1)
	s_and_saveexec_b32 s22, s2
	s_xor_b32 s2, exec_lo, s22
; %bb.2893:                             ;   in Loop: Header=BB450_13 Depth=1
	v_bfe_u32 v26, v19, 16, 1
	s_delay_alu instid0(VALU_DEP_1)
	v_add3_u32 v70, v19, v26, 0x7fff
                                        ; implicit-def: $vgpr19
; %bb.2894:                             ;   in Loop: Header=BB450_13 Depth=1
	s_and_not1_saveexec_b32 s22, s2
; %bb.2895:                             ;   in Loop: Header=BB450_13 Depth=1
	v_and_b32_e32 v26, 0xffff, v19
	v_or_b32_e32 v27, 0x10000, v19
	s_delay_alu instid0(VALU_DEP_2) | instskip(NEXT) | instid1(VALU_DEP_1)
	v_cmp_eq_u32_e64 s2, 0, v26
	v_cndmask_b32_e64 v70, v27, v19, s2
; %bb.2896:                             ;   in Loop: Header=BB450_13 Depth=1
	s_or_b32 exec_lo, exec_lo, s22
	flat_load_b64 v[33:34], v[31:32] offset:3584
	s_mov_b32 s22, exec_lo
	s_waitcnt vmcnt(0) lgkmcnt(0)
	v_dual_mov_b32 v19, 0 :: v_dual_and_b32 v26, 0xff, v33
	s_delay_alu instid0(VALU_DEP_1)
	v_cmpx_ne_u16_e32 0, v26
	s_cbranch_execz .LBB450_2904
; %bb.2897:                             ;   in Loop: Header=BB450_13 Depth=1
	v_bfrev_b32_e32 v19, 1
	s_mov_b32 s23, exec_lo
	v_cmpx_ne_u16_e32 0x80, v26
	s_cbranch_execz .LBB450_2903
; %bb.2898:                             ;   in Loop: Header=BB450_13 Depth=1
	v_and_b32_e32 v26, 0x7f, v33
	v_mov_b32_e32 v19, 0x7f800001
	s_mov_b32 s24, exec_lo
	s_delay_alu instid0(VALU_DEP_2)
	v_cmpx_ne_u32_e32 0x7f, v26
	s_cbranch_execz .LBB450_2902
; %bb.2899:                             ;   in Loop: Header=BB450_13 Depth=1
	v_lshrrev_b32_e32 v19, 3, v26
	v_dual_mov_b32 v36, v34 :: v_dual_mov_b32 v35, v33
	s_mov_b32 s25, exec_lo
	v_cmpx_gt_u32_e32 8, v26
; %bb.2900:                             ;   in Loop: Header=BB450_13 Depth=1
	v_and_b32_e32 v19, 7, v33
	s_delay_alu instid0(VALU_DEP_1) | instskip(NEXT) | instid1(VALU_DEP_1)
	v_clz_i32_u32_e32 v19, v19
	v_min_u32_e32 v19, 32, v19
	s_delay_alu instid0(VALU_DEP_1) | instskip(SKIP_1) | instid1(VALU_DEP_2)
	v_subrev_nc_u32_e32 v26, 28, v19
	v_sub_nc_u32_e32 v19, 29, v19
	v_lshlrev_b64 v[35:36], v26, v[33:34]
; %bb.2901:                             ;   in Loop: Header=BB450_13 Depth=1
	s_or_b32 exec_lo, exec_lo, s25
	s_delay_alu instid0(VALU_DEP_1) | instskip(SKIP_2) | instid1(VALU_DEP_3)
	v_lshlrev_b32_e32 v26, 20, v35
	v_lshlrev_b32_e32 v27, 24, v33
	v_lshl_add_u32 v19, v19, 23, 0x3c000000
	v_and_b32_e32 v26, 0x700000, v26
	s_delay_alu instid0(VALU_DEP_3) | instskip(NEXT) | instid1(VALU_DEP_1)
	v_and_b32_e32 v27, 0x80000000, v27
	v_or3_b32 v19, v26, v27, v19
.LBB450_2902:                           ;   in Loop: Header=BB450_13 Depth=1
	s_or_b32 exec_lo, exec_lo, s24
.LBB450_2903:                           ;   in Loop: Header=BB450_13 Depth=1
	s_delay_alu instid0(SALU_CYCLE_1)
	s_or_b32 exec_lo, exec_lo, s23
.LBB450_2904:                           ;   in Loop: Header=BB450_13 Depth=1
	s_delay_alu instid0(SALU_CYCLE_1) | instskip(NEXT) | instid1(VALU_DEP_1)
	s_or_b32 exec_lo, exec_lo, s22
	v_mul_f32_e32 v19, v121, v19
                                        ; implicit-def: $vgpr71
	s_delay_alu instid0(VALU_DEP_1) | instskip(NEXT) | instid1(VALU_DEP_1)
	v_and_b32_e32 v26, 0x7f800000, v19
	v_cmp_ne_u32_e64 s2, 0x7f800000, v26
	s_delay_alu instid0(VALU_DEP_1) | instskip(NEXT) | instid1(SALU_CYCLE_1)
	s_and_saveexec_b32 s22, s2
	s_xor_b32 s2, exec_lo, s22
; %bb.2905:                             ;   in Loop: Header=BB450_13 Depth=1
	v_bfe_u32 v26, v19, 16, 1
	s_delay_alu instid0(VALU_DEP_1)
	v_add3_u32 v71, v19, v26, 0x7fff
                                        ; implicit-def: $vgpr19
; %bb.2906:                             ;   in Loop: Header=BB450_13 Depth=1
	s_and_not1_saveexec_b32 s22, s2
; %bb.2907:                             ;   in Loop: Header=BB450_13 Depth=1
	v_and_b32_e32 v26, 0xffff, v19
	v_or_b32_e32 v27, 0x10000, v19
	s_delay_alu instid0(VALU_DEP_2) | instskip(NEXT) | instid1(VALU_DEP_1)
	v_cmp_eq_u32_e64 s2, 0, v26
	v_cndmask_b32_e64 v71, v27, v19, s2
; %bb.2908:                             ;   in Loop: Header=BB450_13 Depth=1
	s_or_b32 exec_lo, exec_lo, s22
	v_lshrrev_b16 v26, 8, v33
	v_mov_b32_e32 v19, 0
	s_mov_b32 s22, exec_lo
	s_delay_alu instid0(VALU_DEP_2)
	v_cmpx_ne_u16_e32 0, v26
	s_cbranch_execz .LBB450_2916
; %bb.2909:                             ;   in Loop: Header=BB450_13 Depth=1
	v_bfrev_b32_e32 v19, 1
	s_mov_b32 s23, exec_lo
	v_cmpx_ne_u16_e32 0x80, v26
	s_cbranch_execz .LBB450_2915
; %bb.2910:                             ;   in Loop: Header=BB450_13 Depth=1
	v_and_b32_e32 v26, 0xffff, v26
	v_mov_b32_e32 v19, 0x7f800001
	s_mov_b32 s24, exec_lo
	s_delay_alu instid0(VALU_DEP_2) | instskip(NEXT) | instid1(VALU_DEP_1)
	v_and_b32_e32 v27, 0x7f, v26
	v_cmpx_ne_u32_e32 0x7f, v27
	s_cbranch_execz .LBB450_2914
; %bb.2911:                             ;   in Loop: Header=BB450_13 Depth=1
	v_and_b32_e32 v19, 7, v26
	v_mov_b32_e32 v36, v20
	v_lshrrev_b32_e32 v26, 3, v27
	s_mov_b32 s25, exec_lo
	s_delay_alu instid0(VALU_DEP_3)
	v_mov_b32_e32 v35, v19
	v_cmpx_gt_u32_e32 8, v27
; %bb.2912:                             ;   in Loop: Header=BB450_13 Depth=1
	v_clz_i32_u32_e32 v26, v19
	s_delay_alu instid0(VALU_DEP_1) | instskip(NEXT) | instid1(VALU_DEP_1)
	v_min_u32_e32 v26, 32, v26
	v_subrev_nc_u32_e32 v27, 28, v26
	v_sub_nc_u32_e32 v26, 29, v26
	s_delay_alu instid0(VALU_DEP_2) | instskip(NEXT) | instid1(VALU_DEP_1)
	v_lshlrev_b64 v[35:36], v27, v[19:20]
	v_and_b32_e32 v35, 7, v35
; %bb.2913:                             ;   in Loop: Header=BB450_13 Depth=1
	s_or_b32 exec_lo, exec_lo, s25
	v_lshlrev_b32_e32 v19, 16, v33
	s_delay_alu instid0(VALU_DEP_2) | instskip(SKIP_1) | instid1(VALU_DEP_3)
	v_lshlrev_b32_e32 v27, 20, v35
	v_lshl_add_u32 v26, v26, 23, 0x3c000000
	v_and_b32_e32 v19, 0x80000000, v19
	s_delay_alu instid0(VALU_DEP_1)
	v_or3_b32 v19, v27, v19, v26
.LBB450_2914:                           ;   in Loop: Header=BB450_13 Depth=1
	s_or_b32 exec_lo, exec_lo, s24
.LBB450_2915:                           ;   in Loop: Header=BB450_13 Depth=1
	s_delay_alu instid0(SALU_CYCLE_1)
	s_or_b32 exec_lo, exec_lo, s23
.LBB450_2916:                           ;   in Loop: Header=BB450_13 Depth=1
	s_delay_alu instid0(SALU_CYCLE_1) | instskip(NEXT) | instid1(VALU_DEP_1)
	s_or_b32 exec_lo, exec_lo, s22
	v_mul_f32_e32 v19, v121, v19
                                        ; implicit-def: $vgpr80
	s_delay_alu instid0(VALU_DEP_1) | instskip(NEXT) | instid1(VALU_DEP_1)
	v_and_b32_e32 v26, 0x7f800000, v19
	v_cmp_ne_u32_e64 s2, 0x7f800000, v26
	s_delay_alu instid0(VALU_DEP_1) | instskip(NEXT) | instid1(SALU_CYCLE_1)
	s_and_saveexec_b32 s22, s2
	s_xor_b32 s2, exec_lo, s22
; %bb.2917:                             ;   in Loop: Header=BB450_13 Depth=1
	v_bfe_u32 v26, v19, 16, 1
	s_delay_alu instid0(VALU_DEP_1)
	v_add3_u32 v80, v19, v26, 0x7fff
                                        ; implicit-def: $vgpr19
; %bb.2918:                             ;   in Loop: Header=BB450_13 Depth=1
	s_and_not1_saveexec_b32 s22, s2
; %bb.2919:                             ;   in Loop: Header=BB450_13 Depth=1
	v_and_b32_e32 v26, 0xffff, v19
	v_or_b32_e32 v27, 0x10000, v19
	s_delay_alu instid0(VALU_DEP_2) | instskip(NEXT) | instid1(VALU_DEP_1)
	v_cmp_eq_u32_e64 s2, 0, v26
	v_cndmask_b32_e64 v80, v27, v19, s2
; %bb.2920:                             ;   in Loop: Header=BB450_13 Depth=1
	s_or_b32 exec_lo, exec_lo, s22
	v_lshrrev_b32_e32 v26, 16, v33
	v_mov_b32_e32 v19, 0
	s_mov_b32 s22, exec_lo
	s_delay_alu instid0(VALU_DEP_2) | instskip(NEXT) | instid1(VALU_DEP_1)
	v_and_b32_e32 v27, 0xff, v26
	v_cmpx_ne_u16_e32 0, v27
	s_cbranch_execz .LBB450_2928
; %bb.2921:                             ;   in Loop: Header=BB450_13 Depth=1
	v_bfrev_b32_e32 v19, 1
	s_mov_b32 s23, exec_lo
	v_cmpx_ne_u16_e32 0x80, v27
	s_cbranch_execz .LBB450_2927
; %bb.2922:                             ;   in Loop: Header=BB450_13 Depth=1
	v_bfe_u32 v52, v33, 16, 7
	v_mov_b32_e32 v19, 0x7f800001
	s_mov_b32 s24, exec_lo
	s_delay_alu instid0(VALU_DEP_2)
	v_cmpx_ne_u32_e32 0x7f, v52
	s_cbranch_execz .LBB450_2926
; %bb.2923:                             ;   in Loop: Header=BB450_13 Depth=1
	v_and_b32_e32 v19, 7, v26
	v_mov_b32_e32 v36, v20
	v_lshrrev_b32_e32 v27, 3, v52
	s_mov_b32 s25, exec_lo
	s_delay_alu instid0(VALU_DEP_3)
	v_mov_b32_e32 v35, v19
	v_cmpx_gt_u32_e32 8, v52
; %bb.2924:                             ;   in Loop: Header=BB450_13 Depth=1
	v_clz_i32_u32_e32 v27, v19
	s_delay_alu instid0(VALU_DEP_1) | instskip(NEXT) | instid1(VALU_DEP_1)
	v_min_u32_e32 v27, 32, v27
	v_subrev_nc_u32_e32 v35, 28, v27
	v_sub_nc_u32_e32 v27, 29, v27
	s_delay_alu instid0(VALU_DEP_2) | instskip(NEXT) | instid1(VALU_DEP_1)
	v_lshlrev_b64 v[35:36], v35, v[19:20]
	v_and_b32_e32 v35, 7, v35
; %bb.2925:                             ;   in Loop: Header=BB450_13 Depth=1
	s_or_b32 exec_lo, exec_lo, s25
	v_lshlrev_b32_e32 v19, 24, v26
	s_delay_alu instid0(VALU_DEP_2) | instskip(SKIP_1) | instid1(VALU_DEP_3)
	v_lshlrev_b32_e32 v26, 20, v35
	v_lshl_add_u32 v27, v27, 23, 0x3c000000
	v_and_b32_e32 v19, 0x80000000, v19
	s_delay_alu instid0(VALU_DEP_1)
	v_or3_b32 v19, v26, v19, v27
.LBB450_2926:                           ;   in Loop: Header=BB450_13 Depth=1
	s_or_b32 exec_lo, exec_lo, s24
.LBB450_2927:                           ;   in Loop: Header=BB450_13 Depth=1
	s_delay_alu instid0(SALU_CYCLE_1)
	s_or_b32 exec_lo, exec_lo, s23
.LBB450_2928:                           ;   in Loop: Header=BB450_13 Depth=1
	s_delay_alu instid0(SALU_CYCLE_1) | instskip(NEXT) | instid1(VALU_DEP_1)
	s_or_b32 exec_lo, exec_lo, s22
	v_mul_f32_e32 v19, v121, v19
                                        ; implicit-def: $vgpr81
	s_delay_alu instid0(VALU_DEP_1) | instskip(NEXT) | instid1(VALU_DEP_1)
	v_and_b32_e32 v26, 0x7f800000, v19
	v_cmp_ne_u32_e64 s2, 0x7f800000, v26
	s_delay_alu instid0(VALU_DEP_1) | instskip(NEXT) | instid1(SALU_CYCLE_1)
	s_and_saveexec_b32 s22, s2
	s_xor_b32 s2, exec_lo, s22
; %bb.2929:                             ;   in Loop: Header=BB450_13 Depth=1
	v_bfe_u32 v26, v19, 16, 1
	s_delay_alu instid0(VALU_DEP_1)
	v_add3_u32 v81, v19, v26, 0x7fff
                                        ; implicit-def: $vgpr19
; %bb.2930:                             ;   in Loop: Header=BB450_13 Depth=1
	s_and_not1_saveexec_b32 s22, s2
; %bb.2931:                             ;   in Loop: Header=BB450_13 Depth=1
	v_and_b32_e32 v26, 0xffff, v19
	v_or_b32_e32 v27, 0x10000, v19
	s_delay_alu instid0(VALU_DEP_2) | instskip(NEXT) | instid1(VALU_DEP_1)
	v_cmp_eq_u32_e64 s2, 0, v26
	v_cndmask_b32_e64 v81, v27, v19, s2
; %bb.2932:                             ;   in Loop: Header=BB450_13 Depth=1
	s_or_b32 exec_lo, exec_lo, s22
	v_mov_b32_e32 v19, 0
	s_mov_b32 s22, exec_lo
	v_cmpx_lt_u32_e32 0xffffff, v33
	s_cbranch_execz .LBB450_2940
; %bb.2933:                             ;   in Loop: Header=BB450_13 Depth=1
	v_lshrrev_b32_e32 v26, 24, v33
	v_bfrev_b32_e32 v19, 1
	s_mov_b32 s23, exec_lo
	s_delay_alu instid0(VALU_DEP_2)
	v_cmpx_ne_u32_e32 0x80, v26
	s_cbranch_execz .LBB450_2939
; %bb.2934:                             ;   in Loop: Header=BB450_13 Depth=1
	v_bfe_u32 v52, v33, 24, 7
	v_mov_b32_e32 v19, 0x7f800001
	s_mov_b32 s24, exec_lo
	s_delay_alu instid0(VALU_DEP_2)
	v_cmpx_ne_u32_e32 0x7f, v52
	s_cbranch_execz .LBB450_2938
; %bb.2935:                             ;   in Loop: Header=BB450_13 Depth=1
	v_and_b32_e32 v19, 7, v26
	v_mov_b32_e32 v36, v20
	v_lshrrev_b32_e32 v27, 3, v52
	s_mov_b32 s25, exec_lo
	s_delay_alu instid0(VALU_DEP_3)
	v_mov_b32_e32 v35, v19
	v_cmpx_gt_u32_e32 8, v52
; %bb.2936:                             ;   in Loop: Header=BB450_13 Depth=1
	v_clz_i32_u32_e32 v27, v19
	s_delay_alu instid0(VALU_DEP_1) | instskip(NEXT) | instid1(VALU_DEP_1)
	v_min_u32_e32 v27, 32, v27
	v_subrev_nc_u32_e32 v35, 28, v27
	v_sub_nc_u32_e32 v27, 29, v27
	s_delay_alu instid0(VALU_DEP_2) | instskip(NEXT) | instid1(VALU_DEP_1)
	v_lshlrev_b64 v[35:36], v35, v[19:20]
	v_and_b32_e32 v35, 7, v35
; %bb.2937:                             ;   in Loop: Header=BB450_13 Depth=1
	s_or_b32 exec_lo, exec_lo, s25
	v_lshlrev_b32_e32 v19, 24, v26
	s_delay_alu instid0(VALU_DEP_2) | instskip(SKIP_1) | instid1(VALU_DEP_3)
	v_lshlrev_b32_e32 v26, 20, v35
	v_lshl_add_u32 v27, v27, 23, 0x3c000000
	v_and_b32_e32 v19, 0x80000000, v19
	s_delay_alu instid0(VALU_DEP_1)
	v_or3_b32 v19, v26, v19, v27
.LBB450_2938:                           ;   in Loop: Header=BB450_13 Depth=1
	s_or_b32 exec_lo, exec_lo, s24
.LBB450_2939:                           ;   in Loop: Header=BB450_13 Depth=1
	s_delay_alu instid0(SALU_CYCLE_1)
	s_or_b32 exec_lo, exec_lo, s23
.LBB450_2940:                           ;   in Loop: Header=BB450_13 Depth=1
	s_delay_alu instid0(SALU_CYCLE_1) | instskip(NEXT) | instid1(VALU_DEP_1)
	s_or_b32 exec_lo, exec_lo, s22
	v_mul_f32_e32 v19, v121, v19
                                        ; implicit-def: $vgpr82
	s_delay_alu instid0(VALU_DEP_1) | instskip(NEXT) | instid1(VALU_DEP_1)
	v_and_b32_e32 v26, 0x7f800000, v19
	v_cmp_ne_u32_e64 s2, 0x7f800000, v26
	s_delay_alu instid0(VALU_DEP_1) | instskip(NEXT) | instid1(SALU_CYCLE_1)
	s_and_saveexec_b32 s22, s2
	s_xor_b32 s2, exec_lo, s22
; %bb.2941:                             ;   in Loop: Header=BB450_13 Depth=1
	v_bfe_u32 v26, v19, 16, 1
	s_delay_alu instid0(VALU_DEP_1)
	v_add3_u32 v82, v19, v26, 0x7fff
                                        ; implicit-def: $vgpr19
; %bb.2942:                             ;   in Loop: Header=BB450_13 Depth=1
	s_and_not1_saveexec_b32 s22, s2
; %bb.2943:                             ;   in Loop: Header=BB450_13 Depth=1
	v_and_b32_e32 v26, 0xffff, v19
	v_or_b32_e32 v27, 0x10000, v19
	s_delay_alu instid0(VALU_DEP_2) | instskip(NEXT) | instid1(VALU_DEP_1)
	v_cmp_eq_u32_e64 s2, 0, v26
	v_cndmask_b32_e64 v82, v27, v19, s2
; %bb.2944:                             ;   in Loop: Header=BB450_13 Depth=1
	s_or_b32 exec_lo, exec_lo, s22
	v_dual_mov_b32 v26, 0 :: v_dual_and_b32 v27, 0xff, v34
	v_mov_b32_e32 v19, v34
	s_mov_b32 s22, exec_lo
	s_delay_alu instid0(VALU_DEP_2)
	v_cmpx_ne_u16_e32 0, v27
	s_cbranch_execz .LBB450_2952
; %bb.2945:                             ;   in Loop: Header=BB450_13 Depth=1
	v_bfrev_b32_e32 v26, 1
	s_mov_b32 s23, exec_lo
	v_cmpx_ne_u16_e32 0x80, v27
	s_cbranch_execz .LBB450_2951
; %bb.2946:                             ;   in Loop: Header=BB450_13 Depth=1
	v_and_b32_e32 v27, 0x7f, v34
	v_mov_b32_e32 v26, 0x7f800001
	s_mov_b32 s24, exec_lo
	s_delay_alu instid0(VALU_DEP_2)
	v_cmpx_ne_u32_e32 0x7f, v27
	s_cbranch_execz .LBB450_2950
; %bb.2947:                             ;   in Loop: Header=BB450_13 Depth=1
	v_dual_mov_b32 v36, v20 :: v_dual_mov_b32 v35, v19
	v_lshrrev_b32_e32 v26, 3, v27
	s_mov_b32 s25, exec_lo
	v_cmpx_gt_u32_e32 8, v27
; %bb.2948:                             ;   in Loop: Header=BB450_13 Depth=1
	v_and_b32_e32 v26, 7, v34
	s_delay_alu instid0(VALU_DEP_1) | instskip(NEXT) | instid1(VALU_DEP_1)
	v_clz_i32_u32_e32 v26, v26
	v_min_u32_e32 v26, 32, v26
	s_delay_alu instid0(VALU_DEP_1) | instskip(SKIP_1) | instid1(VALU_DEP_2)
	v_subrev_nc_u32_e32 v27, 28, v26
	v_sub_nc_u32_e32 v26, 29, v26
	v_lshlrev_b64 v[35:36], v27, v[19:20]
; %bb.2949:                             ;   in Loop: Header=BB450_13 Depth=1
	s_or_b32 exec_lo, exec_lo, s25
	s_delay_alu instid0(VALU_DEP_1) | instskip(SKIP_2) | instid1(VALU_DEP_3)
	v_lshlrev_b32_e32 v27, 20, v35
	v_lshlrev_b32_e32 v35, 24, v19
	v_lshl_add_u32 v26, v26, 23, 0x3c000000
	v_and_b32_e32 v27, 0x700000, v27
	s_delay_alu instid0(VALU_DEP_3) | instskip(NEXT) | instid1(VALU_DEP_1)
	v_and_b32_e32 v35, 0x80000000, v35
	v_or3_b32 v26, v27, v35, v26
.LBB450_2950:                           ;   in Loop: Header=BB450_13 Depth=1
	s_or_b32 exec_lo, exec_lo, s24
.LBB450_2951:                           ;   in Loop: Header=BB450_13 Depth=1
	s_delay_alu instid0(SALU_CYCLE_1)
	s_or_b32 exec_lo, exec_lo, s23
.LBB450_2952:                           ;   in Loop: Header=BB450_13 Depth=1
	s_delay_alu instid0(SALU_CYCLE_1) | instskip(NEXT) | instid1(VALU_DEP_1)
	s_or_b32 exec_lo, exec_lo, s22
	v_mul_f32_e32 v26, v121, v26
                                        ; implicit-def: $vgpr83
	s_delay_alu instid0(VALU_DEP_1) | instskip(NEXT) | instid1(VALU_DEP_1)
	v_and_b32_e32 v27, 0x7f800000, v26
	v_cmp_ne_u32_e64 s2, 0x7f800000, v27
	s_delay_alu instid0(VALU_DEP_1) | instskip(NEXT) | instid1(SALU_CYCLE_1)
	s_and_saveexec_b32 s22, s2
	s_xor_b32 s2, exec_lo, s22
; %bb.2953:                             ;   in Loop: Header=BB450_13 Depth=1
	v_bfe_u32 v27, v26, 16, 1
	s_delay_alu instid0(VALU_DEP_1)
	v_add3_u32 v83, v26, v27, 0x7fff
                                        ; implicit-def: $vgpr26
; %bb.2954:                             ;   in Loop: Header=BB450_13 Depth=1
	s_and_not1_saveexec_b32 s22, s2
; %bb.2955:                             ;   in Loop: Header=BB450_13 Depth=1
	v_and_b32_e32 v27, 0xffff, v26
	v_or_b32_e32 v35, 0x10000, v26
	s_delay_alu instid0(VALU_DEP_2) | instskip(NEXT) | instid1(VALU_DEP_1)
	v_cmp_eq_u32_e64 s2, 0, v27
	v_cndmask_b32_e64 v83, v35, v26, s2
; %bb.2956:                             ;   in Loop: Header=BB450_13 Depth=1
	s_or_b32 exec_lo, exec_lo, s22
	v_lshrrev_b16 v27, 8, v19
	v_mov_b32_e32 v26, 0
	s_mov_b32 s22, exec_lo
	s_delay_alu instid0(VALU_DEP_2)
	v_cmpx_ne_u16_e32 0, v27
	s_cbranch_execz .LBB450_2964
; %bb.2957:                             ;   in Loop: Header=BB450_13 Depth=1
	v_bfrev_b32_e32 v26, 1
	s_mov_b32 s23, exec_lo
	v_cmpx_ne_u16_e32 0x80, v27
	s_cbranch_execz .LBB450_2963
; %bb.2958:                             ;   in Loop: Header=BB450_13 Depth=1
	v_and_b32_e32 v35, 0xffff, v27
	v_mov_b32_e32 v26, 0x7f800001
	s_mov_b32 s24, exec_lo
	s_delay_alu instid0(VALU_DEP_2) | instskip(NEXT) | instid1(VALU_DEP_1)
	v_and_b32_e32 v27, 0x7f, v35
	v_cmpx_ne_u32_e32 0x7f, v27
	s_cbranch_execz .LBB450_2962
; %bb.2959:                             ;   in Loop: Header=BB450_13 Depth=1
	v_dual_mov_b32 v36, v20 :: v_dual_and_b32 v35, 7, v35
	v_lshrrev_b32_e32 v26, 3, v27
	s_mov_b32 s25, exec_lo
	v_cmpx_gt_u32_e32 8, v27
; %bb.2960:                             ;   in Loop: Header=BB450_13 Depth=1
	s_delay_alu instid0(VALU_DEP_3) | instskip(NEXT) | instid1(VALU_DEP_1)
	v_clz_i32_u32_e32 v26, v35
	v_min_u32_e32 v26, 32, v26
	s_delay_alu instid0(VALU_DEP_1) | instskip(SKIP_1) | instid1(VALU_DEP_2)
	v_subrev_nc_u32_e32 v27, 28, v26
	v_sub_nc_u32_e32 v26, 29, v26
	v_lshlrev_b64 v[35:36], v27, v[35:36]
	s_delay_alu instid0(VALU_DEP_1)
	v_and_b32_e32 v35, 7, v35
; %bb.2961:                             ;   in Loop: Header=BB450_13 Depth=1
	s_or_b32 exec_lo, exec_lo, s25
	v_lshlrev_b32_e32 v19, 16, v19
	s_delay_alu instid0(VALU_DEP_2) | instskip(SKIP_1) | instid1(VALU_DEP_3)
	v_lshlrev_b32_e32 v27, 20, v35
	v_lshl_add_u32 v26, v26, 23, 0x3c000000
	v_and_b32_e32 v19, 0x80000000, v19
	s_delay_alu instid0(VALU_DEP_1)
	v_or3_b32 v26, v27, v19, v26
.LBB450_2962:                           ;   in Loop: Header=BB450_13 Depth=1
	s_or_b32 exec_lo, exec_lo, s24
.LBB450_2963:                           ;   in Loop: Header=BB450_13 Depth=1
	s_delay_alu instid0(SALU_CYCLE_1)
	s_or_b32 exec_lo, exec_lo, s23
.LBB450_2964:                           ;   in Loop: Header=BB450_13 Depth=1
	s_delay_alu instid0(SALU_CYCLE_1) | instskip(NEXT) | instid1(VALU_DEP_1)
	s_or_b32 exec_lo, exec_lo, s22
	v_mul_f32_e32 v19, v121, v26
                                        ; implicit-def: $vgpr84
	s_delay_alu instid0(VALU_DEP_1) | instskip(NEXT) | instid1(VALU_DEP_1)
	v_and_b32_e32 v26, 0x7f800000, v19
	v_cmp_ne_u32_e64 s2, 0x7f800000, v26
	s_delay_alu instid0(VALU_DEP_1) | instskip(NEXT) | instid1(SALU_CYCLE_1)
	s_and_saveexec_b32 s22, s2
	s_xor_b32 s2, exec_lo, s22
; %bb.2965:                             ;   in Loop: Header=BB450_13 Depth=1
	v_bfe_u32 v26, v19, 16, 1
	s_delay_alu instid0(VALU_DEP_1)
	v_add3_u32 v84, v19, v26, 0x7fff
                                        ; implicit-def: $vgpr19
; %bb.2966:                             ;   in Loop: Header=BB450_13 Depth=1
	s_and_not1_saveexec_b32 s22, s2
; %bb.2967:                             ;   in Loop: Header=BB450_13 Depth=1
	v_and_b32_e32 v26, 0xffff, v19
	v_or_b32_e32 v27, 0x10000, v19
	s_delay_alu instid0(VALU_DEP_2) | instskip(NEXT) | instid1(VALU_DEP_1)
	v_cmp_eq_u32_e64 s2, 0, v26
	v_cndmask_b32_e64 v84, v27, v19, s2
; %bb.2968:                             ;   in Loop: Header=BB450_13 Depth=1
	s_or_b32 exec_lo, exec_lo, s22
	v_lshrrev_b32_e32 v26, 16, v34
	v_mov_b32_e32 v19, 0
	s_mov_b32 s22, exec_lo
	s_delay_alu instid0(VALU_DEP_2) | instskip(NEXT) | instid1(VALU_DEP_1)
	v_and_b32_e32 v27, 0xff, v26
	v_cmpx_ne_u16_e32 0, v27
	s_cbranch_execz .LBB450_2976
; %bb.2969:                             ;   in Loop: Header=BB450_13 Depth=1
	v_bfrev_b32_e32 v19, 1
	s_mov_b32 s23, exec_lo
	v_cmpx_ne_u16_e32 0x80, v27
	s_cbranch_execz .LBB450_2975
; %bb.2970:                             ;   in Loop: Header=BB450_13 Depth=1
	v_bfe_u32 v52, v34, 16, 7
	v_mov_b32_e32 v19, 0x7f800001
	s_mov_b32 s24, exec_lo
	s_delay_alu instid0(VALU_DEP_2)
	v_cmpx_ne_u32_e32 0x7f, v52
	s_cbranch_execz .LBB450_2974
; %bb.2971:                             ;   in Loop: Header=BB450_13 Depth=1
	v_and_b32_e32 v19, 7, v26
	v_mov_b32_e32 v36, v20
	v_lshrrev_b32_e32 v27, 3, v52
	s_mov_b32 s25, exec_lo
	s_delay_alu instid0(VALU_DEP_3)
	v_mov_b32_e32 v35, v19
	v_cmpx_gt_u32_e32 8, v52
; %bb.2972:                             ;   in Loop: Header=BB450_13 Depth=1
	v_clz_i32_u32_e32 v27, v19
	s_delay_alu instid0(VALU_DEP_1) | instskip(NEXT) | instid1(VALU_DEP_1)
	v_min_u32_e32 v27, 32, v27
	v_subrev_nc_u32_e32 v35, 28, v27
	v_sub_nc_u32_e32 v27, 29, v27
	s_delay_alu instid0(VALU_DEP_2) | instskip(NEXT) | instid1(VALU_DEP_1)
	v_lshlrev_b64 v[35:36], v35, v[19:20]
	v_and_b32_e32 v35, 7, v35
; %bb.2973:                             ;   in Loop: Header=BB450_13 Depth=1
	s_or_b32 exec_lo, exec_lo, s25
	v_lshlrev_b32_e32 v19, 24, v26
	s_delay_alu instid0(VALU_DEP_2) | instskip(SKIP_1) | instid1(VALU_DEP_3)
	v_lshlrev_b32_e32 v26, 20, v35
	v_lshl_add_u32 v27, v27, 23, 0x3c000000
	v_and_b32_e32 v19, 0x80000000, v19
	s_delay_alu instid0(VALU_DEP_1)
	v_or3_b32 v19, v26, v19, v27
.LBB450_2974:                           ;   in Loop: Header=BB450_13 Depth=1
	s_or_b32 exec_lo, exec_lo, s24
.LBB450_2975:                           ;   in Loop: Header=BB450_13 Depth=1
	s_delay_alu instid0(SALU_CYCLE_1)
	s_or_b32 exec_lo, exec_lo, s23
.LBB450_2976:                           ;   in Loop: Header=BB450_13 Depth=1
	s_delay_alu instid0(SALU_CYCLE_1) | instskip(NEXT) | instid1(VALU_DEP_1)
	s_or_b32 exec_lo, exec_lo, s22
	v_mul_f32_e32 v19, v121, v19
                                        ; implicit-def: $vgpr35
	s_delay_alu instid0(VALU_DEP_1) | instskip(NEXT) | instid1(VALU_DEP_1)
	v_and_b32_e32 v26, 0x7f800000, v19
	v_cmp_ne_u32_e64 s2, 0x7f800000, v26
	s_delay_alu instid0(VALU_DEP_1) | instskip(NEXT) | instid1(SALU_CYCLE_1)
	s_and_saveexec_b32 s22, s2
	s_xor_b32 s2, exec_lo, s22
; %bb.2977:                             ;   in Loop: Header=BB450_13 Depth=1
	v_bfe_u32 v26, v19, 16, 1
	s_delay_alu instid0(VALU_DEP_1)
	v_add3_u32 v35, v19, v26, 0x7fff
                                        ; implicit-def: $vgpr19
; %bb.2978:                             ;   in Loop: Header=BB450_13 Depth=1
	s_and_not1_saveexec_b32 s22, s2
; %bb.2979:                             ;   in Loop: Header=BB450_13 Depth=1
	v_and_b32_e32 v26, 0xffff, v19
	v_or_b32_e32 v27, 0x10000, v19
	s_delay_alu instid0(VALU_DEP_2) | instskip(NEXT) | instid1(VALU_DEP_1)
	v_cmp_eq_u32_e64 s2, 0, v26
	v_cndmask_b32_e64 v35, v27, v19, s2
; %bb.2980:                             ;   in Loop: Header=BB450_13 Depth=1
	s_or_b32 exec_lo, exec_lo, s22
	v_mov_b32_e32 v19, 0
	s_mov_b32 s22, exec_lo
	v_cmpx_lt_u64_e64 s[8:9], v[33:34]
	s_cbranch_execz .LBB450_2988
; %bb.2981:                             ;   in Loop: Header=BB450_13 Depth=1
	v_lshrrev_b32_e32 v26, 24, v34
	v_bfrev_b32_e32 v19, 1
	s_mov_b32 s23, exec_lo
	s_delay_alu instid0(VALU_DEP_2)
	v_cmpx_ne_u32_e32 0x80, v26
	s_cbranch_execz .LBB450_2987
; %bb.2982:                             ;   in Loop: Header=BB450_13 Depth=1
	v_bfe_u32 v36, v34, 24, 7
	v_mov_b32_e32 v19, 0x7f800001
	s_mov_b32 s24, exec_lo
	s_delay_alu instid0(VALU_DEP_2)
	v_cmpx_ne_u32_e32 0x7f, v36
	s_cbranch_execz .LBB450_2986
; %bb.2983:                             ;   in Loop: Header=BB450_13 Depth=1
	v_and_b32_e32 v19, 7, v26
	v_mov_b32_e32 v34, v20
	v_lshrrev_b32_e32 v27, 3, v36
	s_mov_b32 s25, exec_lo
	s_delay_alu instid0(VALU_DEP_3)
	v_mov_b32_e32 v33, v19
	v_cmpx_gt_u32_e32 8, v36
; %bb.2984:                             ;   in Loop: Header=BB450_13 Depth=1
	v_clz_i32_u32_e32 v27, v19
	s_delay_alu instid0(VALU_DEP_1) | instskip(NEXT) | instid1(VALU_DEP_1)
	v_min_u32_e32 v27, 32, v27
	v_subrev_nc_u32_e32 v33, 28, v27
	v_sub_nc_u32_e32 v27, 29, v27
	s_delay_alu instid0(VALU_DEP_2) | instskip(NEXT) | instid1(VALU_DEP_1)
	v_lshlrev_b64 v[33:34], v33, v[19:20]
	v_and_b32_e32 v33, 7, v33
; %bb.2985:                             ;   in Loop: Header=BB450_13 Depth=1
	s_or_b32 exec_lo, exec_lo, s25
	v_lshlrev_b32_e32 v19, 24, v26
	s_delay_alu instid0(VALU_DEP_2) | instskip(SKIP_1) | instid1(VALU_DEP_3)
	v_lshlrev_b32_e32 v26, 20, v33
	v_lshl_add_u32 v27, v27, 23, 0x3c000000
	v_and_b32_e32 v19, 0x80000000, v19
	s_delay_alu instid0(VALU_DEP_1)
	v_or3_b32 v19, v26, v19, v27
.LBB450_2986:                           ;   in Loop: Header=BB450_13 Depth=1
	s_or_b32 exec_lo, exec_lo, s24
.LBB450_2987:                           ;   in Loop: Header=BB450_13 Depth=1
	s_delay_alu instid0(SALU_CYCLE_1)
	s_or_b32 exec_lo, exec_lo, s23
.LBB450_2988:                           ;   in Loop: Header=BB450_13 Depth=1
	s_delay_alu instid0(SALU_CYCLE_1) | instskip(NEXT) | instid1(VALU_DEP_1)
	s_or_b32 exec_lo, exec_lo, s22
	v_mul_f32_e32 v19, v121, v19
                                        ; implicit-def: $vgpr36
	s_delay_alu instid0(VALU_DEP_1) | instskip(NEXT) | instid1(VALU_DEP_1)
	v_and_b32_e32 v26, 0x7f800000, v19
	v_cmp_ne_u32_e64 s2, 0x7f800000, v26
	s_delay_alu instid0(VALU_DEP_1) | instskip(NEXT) | instid1(SALU_CYCLE_1)
	s_and_saveexec_b32 s22, s2
	s_xor_b32 s2, exec_lo, s22
; %bb.2989:                             ;   in Loop: Header=BB450_13 Depth=1
	v_bfe_u32 v26, v19, 16, 1
	s_delay_alu instid0(VALU_DEP_1)
	v_add3_u32 v36, v19, v26, 0x7fff
                                        ; implicit-def: $vgpr19
; %bb.2990:                             ;   in Loop: Header=BB450_13 Depth=1
	s_and_not1_saveexec_b32 s22, s2
; %bb.2991:                             ;   in Loop: Header=BB450_13 Depth=1
	v_and_b32_e32 v26, 0xffff, v19
	v_or_b32_e32 v27, 0x10000, v19
	s_delay_alu instid0(VALU_DEP_2) | instskip(NEXT) | instid1(VALU_DEP_1)
	v_cmp_eq_u32_e64 s2, 0, v26
	v_cndmask_b32_e64 v36, v27, v19, s2
; %bb.2992:                             ;   in Loop: Header=BB450_13 Depth=1
	s_or_b32 exec_lo, exec_lo, s22
	flat_load_b64 v[31:32], v[31:32] offset:3592
	s_mov_b32 s22, exec_lo
	s_waitcnt vmcnt(0) lgkmcnt(0)
	v_dual_mov_b32 v19, 0 :: v_dual_and_b32 v26, 0xff, v31
	s_delay_alu instid0(VALU_DEP_1)
	v_cmpx_ne_u16_e32 0, v26
	s_cbranch_execz .LBB450_3000
; %bb.2993:                             ;   in Loop: Header=BB450_13 Depth=1
	v_bfrev_b32_e32 v19, 1
	s_mov_b32 s23, exec_lo
	v_cmpx_ne_u16_e32 0x80, v26
	s_cbranch_execz .LBB450_2999
; %bb.2994:                             ;   in Loop: Header=BB450_13 Depth=1
	v_and_b32_e32 v26, 0x7f, v31
	v_mov_b32_e32 v19, 0x7f800001
	s_mov_b32 s24, exec_lo
	s_delay_alu instid0(VALU_DEP_2)
	v_cmpx_ne_u32_e32 0x7f, v26
	s_cbranch_execz .LBB450_2998
; %bb.2995:                             ;   in Loop: Header=BB450_13 Depth=1
	v_lshrrev_b32_e32 v19, 3, v26
	v_dual_mov_b32 v34, v32 :: v_dual_mov_b32 v33, v31
	s_mov_b32 s25, exec_lo
	v_cmpx_gt_u32_e32 8, v26
; %bb.2996:                             ;   in Loop: Header=BB450_13 Depth=1
	v_and_b32_e32 v19, 7, v31
	s_delay_alu instid0(VALU_DEP_1) | instskip(NEXT) | instid1(VALU_DEP_1)
	v_clz_i32_u32_e32 v19, v19
	v_min_u32_e32 v19, 32, v19
	s_delay_alu instid0(VALU_DEP_1) | instskip(SKIP_1) | instid1(VALU_DEP_2)
	v_subrev_nc_u32_e32 v26, 28, v19
	v_sub_nc_u32_e32 v19, 29, v19
	v_lshlrev_b64 v[33:34], v26, v[31:32]
; %bb.2997:                             ;   in Loop: Header=BB450_13 Depth=1
	s_or_b32 exec_lo, exec_lo, s25
	s_delay_alu instid0(VALU_DEP_1) | instskip(SKIP_2) | instid1(VALU_DEP_3)
	v_lshlrev_b32_e32 v26, 20, v33
	v_lshlrev_b32_e32 v27, 24, v31
	v_lshl_add_u32 v19, v19, 23, 0x3c000000
	v_and_b32_e32 v26, 0x700000, v26
	s_delay_alu instid0(VALU_DEP_3) | instskip(NEXT) | instid1(VALU_DEP_1)
	v_and_b32_e32 v27, 0x80000000, v27
	v_or3_b32 v19, v26, v27, v19
.LBB450_2998:                           ;   in Loop: Header=BB450_13 Depth=1
	s_or_b32 exec_lo, exec_lo, s24
.LBB450_2999:                           ;   in Loop: Header=BB450_13 Depth=1
	s_delay_alu instid0(SALU_CYCLE_1)
	s_or_b32 exec_lo, exec_lo, s23
.LBB450_3000:                           ;   in Loop: Header=BB450_13 Depth=1
	s_delay_alu instid0(SALU_CYCLE_1) | instskip(NEXT) | instid1(VALU_DEP_1)
	s_or_b32 exec_lo, exec_lo, s22
	v_mul_f32_e32 v19, v121, v19
                                        ; implicit-def: $vgpr85
	s_delay_alu instid0(VALU_DEP_1) | instskip(NEXT) | instid1(VALU_DEP_1)
	v_and_b32_e32 v26, 0x7f800000, v19
	v_cmp_ne_u32_e64 s2, 0x7f800000, v26
	s_delay_alu instid0(VALU_DEP_1) | instskip(NEXT) | instid1(SALU_CYCLE_1)
	s_and_saveexec_b32 s22, s2
	s_xor_b32 s2, exec_lo, s22
; %bb.3001:                             ;   in Loop: Header=BB450_13 Depth=1
	v_bfe_u32 v26, v19, 16, 1
	s_delay_alu instid0(VALU_DEP_1)
	v_add3_u32 v85, v19, v26, 0x7fff
                                        ; implicit-def: $vgpr19
; %bb.3002:                             ;   in Loop: Header=BB450_13 Depth=1
	s_and_not1_saveexec_b32 s22, s2
; %bb.3003:                             ;   in Loop: Header=BB450_13 Depth=1
	v_and_b32_e32 v26, 0xffff, v19
	v_or_b32_e32 v27, 0x10000, v19
	s_delay_alu instid0(VALU_DEP_2) | instskip(NEXT) | instid1(VALU_DEP_1)
	v_cmp_eq_u32_e64 s2, 0, v26
	v_cndmask_b32_e64 v85, v27, v19, s2
; %bb.3004:                             ;   in Loop: Header=BB450_13 Depth=1
	s_or_b32 exec_lo, exec_lo, s22
	v_lshrrev_b16 v26, 8, v31
	v_mov_b32_e32 v19, 0
	s_mov_b32 s22, exec_lo
	s_delay_alu instid0(VALU_DEP_2)
	v_cmpx_ne_u16_e32 0, v26
	s_cbranch_execz .LBB450_3012
; %bb.3005:                             ;   in Loop: Header=BB450_13 Depth=1
	v_bfrev_b32_e32 v19, 1
	s_mov_b32 s23, exec_lo
	v_cmpx_ne_u16_e32 0x80, v26
	s_cbranch_execz .LBB450_3011
; %bb.3006:                             ;   in Loop: Header=BB450_13 Depth=1
	v_and_b32_e32 v26, 0xffff, v26
	v_mov_b32_e32 v19, 0x7f800001
	s_mov_b32 s24, exec_lo
	s_delay_alu instid0(VALU_DEP_2) | instskip(NEXT) | instid1(VALU_DEP_1)
	v_and_b32_e32 v27, 0x7f, v26
	v_cmpx_ne_u32_e32 0x7f, v27
	s_cbranch_execz .LBB450_3010
; %bb.3007:                             ;   in Loop: Header=BB450_13 Depth=1
	v_and_b32_e32 v19, 7, v26
	v_mov_b32_e32 v34, v20
	v_lshrrev_b32_e32 v26, 3, v27
	s_mov_b32 s25, exec_lo
	s_delay_alu instid0(VALU_DEP_3)
	v_mov_b32_e32 v33, v19
	v_cmpx_gt_u32_e32 8, v27
; %bb.3008:                             ;   in Loop: Header=BB450_13 Depth=1
	v_clz_i32_u32_e32 v26, v19
	s_delay_alu instid0(VALU_DEP_1) | instskip(NEXT) | instid1(VALU_DEP_1)
	v_min_u32_e32 v26, 32, v26
	v_subrev_nc_u32_e32 v27, 28, v26
	v_sub_nc_u32_e32 v26, 29, v26
	s_delay_alu instid0(VALU_DEP_2) | instskip(NEXT) | instid1(VALU_DEP_1)
	v_lshlrev_b64 v[33:34], v27, v[19:20]
	v_and_b32_e32 v33, 7, v33
; %bb.3009:                             ;   in Loop: Header=BB450_13 Depth=1
	s_or_b32 exec_lo, exec_lo, s25
	v_lshlrev_b32_e32 v19, 16, v31
	s_delay_alu instid0(VALU_DEP_2) | instskip(SKIP_1) | instid1(VALU_DEP_3)
	v_lshlrev_b32_e32 v27, 20, v33
	v_lshl_add_u32 v26, v26, 23, 0x3c000000
	v_and_b32_e32 v19, 0x80000000, v19
	s_delay_alu instid0(VALU_DEP_1)
	v_or3_b32 v19, v27, v19, v26
.LBB450_3010:                           ;   in Loop: Header=BB450_13 Depth=1
	s_or_b32 exec_lo, exec_lo, s24
.LBB450_3011:                           ;   in Loop: Header=BB450_13 Depth=1
	s_delay_alu instid0(SALU_CYCLE_1)
	s_or_b32 exec_lo, exec_lo, s23
.LBB450_3012:                           ;   in Loop: Header=BB450_13 Depth=1
	s_delay_alu instid0(SALU_CYCLE_1) | instskip(NEXT) | instid1(VALU_DEP_1)
	s_or_b32 exec_lo, exec_lo, s22
	v_mul_f32_e32 v19, v121, v19
                                        ; implicit-def: $vgpr86
	s_delay_alu instid0(VALU_DEP_1) | instskip(NEXT) | instid1(VALU_DEP_1)
	v_and_b32_e32 v26, 0x7f800000, v19
	v_cmp_ne_u32_e64 s2, 0x7f800000, v26
	s_delay_alu instid0(VALU_DEP_1) | instskip(NEXT) | instid1(SALU_CYCLE_1)
	s_and_saveexec_b32 s22, s2
	s_xor_b32 s2, exec_lo, s22
; %bb.3013:                             ;   in Loop: Header=BB450_13 Depth=1
	v_bfe_u32 v26, v19, 16, 1
	s_delay_alu instid0(VALU_DEP_1)
	v_add3_u32 v86, v19, v26, 0x7fff
                                        ; implicit-def: $vgpr19
; %bb.3014:                             ;   in Loop: Header=BB450_13 Depth=1
	s_and_not1_saveexec_b32 s22, s2
; %bb.3015:                             ;   in Loop: Header=BB450_13 Depth=1
	v_and_b32_e32 v26, 0xffff, v19
	v_or_b32_e32 v27, 0x10000, v19
	s_delay_alu instid0(VALU_DEP_2) | instskip(NEXT) | instid1(VALU_DEP_1)
	v_cmp_eq_u32_e64 s2, 0, v26
	v_cndmask_b32_e64 v86, v27, v19, s2
; %bb.3016:                             ;   in Loop: Header=BB450_13 Depth=1
	s_or_b32 exec_lo, exec_lo, s22
	v_lshrrev_b32_e32 v26, 16, v31
	v_mov_b32_e32 v19, 0
	s_mov_b32 s22, exec_lo
	s_delay_alu instid0(VALU_DEP_2) | instskip(NEXT) | instid1(VALU_DEP_1)
	v_and_b32_e32 v27, 0xff, v26
	v_cmpx_ne_u16_e32 0, v27
	s_cbranch_execz .LBB450_3024
; %bb.3017:                             ;   in Loop: Header=BB450_13 Depth=1
	v_bfrev_b32_e32 v19, 1
	s_mov_b32 s23, exec_lo
	v_cmpx_ne_u16_e32 0x80, v27
	s_cbranch_execz .LBB450_3023
; %bb.3018:                             ;   in Loop: Header=BB450_13 Depth=1
	v_bfe_u32 v52, v31, 16, 7
	v_mov_b32_e32 v19, 0x7f800001
	s_mov_b32 s24, exec_lo
	s_delay_alu instid0(VALU_DEP_2)
	v_cmpx_ne_u32_e32 0x7f, v52
	s_cbranch_execz .LBB450_3022
; %bb.3019:                             ;   in Loop: Header=BB450_13 Depth=1
	v_and_b32_e32 v19, 7, v26
	v_mov_b32_e32 v34, v20
	v_lshrrev_b32_e32 v27, 3, v52
	s_mov_b32 s25, exec_lo
	s_delay_alu instid0(VALU_DEP_3)
	v_mov_b32_e32 v33, v19
	v_cmpx_gt_u32_e32 8, v52
; %bb.3020:                             ;   in Loop: Header=BB450_13 Depth=1
	v_clz_i32_u32_e32 v27, v19
	s_delay_alu instid0(VALU_DEP_1) | instskip(NEXT) | instid1(VALU_DEP_1)
	v_min_u32_e32 v27, 32, v27
	v_subrev_nc_u32_e32 v33, 28, v27
	v_sub_nc_u32_e32 v27, 29, v27
	s_delay_alu instid0(VALU_DEP_2) | instskip(NEXT) | instid1(VALU_DEP_1)
	v_lshlrev_b64 v[33:34], v33, v[19:20]
	v_and_b32_e32 v33, 7, v33
; %bb.3021:                             ;   in Loop: Header=BB450_13 Depth=1
	s_or_b32 exec_lo, exec_lo, s25
	v_lshlrev_b32_e32 v19, 24, v26
	s_delay_alu instid0(VALU_DEP_2) | instskip(SKIP_1) | instid1(VALU_DEP_3)
	v_lshlrev_b32_e32 v26, 20, v33
	v_lshl_add_u32 v27, v27, 23, 0x3c000000
	v_and_b32_e32 v19, 0x80000000, v19
	s_delay_alu instid0(VALU_DEP_1)
	v_or3_b32 v19, v26, v19, v27
.LBB450_3022:                           ;   in Loop: Header=BB450_13 Depth=1
	s_or_b32 exec_lo, exec_lo, s24
.LBB450_3023:                           ;   in Loop: Header=BB450_13 Depth=1
	s_delay_alu instid0(SALU_CYCLE_1)
	s_or_b32 exec_lo, exec_lo, s23
.LBB450_3024:                           ;   in Loop: Header=BB450_13 Depth=1
	s_delay_alu instid0(SALU_CYCLE_1) | instskip(NEXT) | instid1(VALU_DEP_1)
	s_or_b32 exec_lo, exec_lo, s22
	v_mul_f32_e32 v19, v121, v19
                                        ; implicit-def: $vgpr87
	s_delay_alu instid0(VALU_DEP_1) | instskip(NEXT) | instid1(VALU_DEP_1)
	v_and_b32_e32 v26, 0x7f800000, v19
	v_cmp_ne_u32_e64 s2, 0x7f800000, v26
	s_delay_alu instid0(VALU_DEP_1) | instskip(NEXT) | instid1(SALU_CYCLE_1)
	s_and_saveexec_b32 s22, s2
	s_xor_b32 s2, exec_lo, s22
; %bb.3025:                             ;   in Loop: Header=BB450_13 Depth=1
	v_bfe_u32 v26, v19, 16, 1
	s_delay_alu instid0(VALU_DEP_1)
	v_add3_u32 v87, v19, v26, 0x7fff
                                        ; implicit-def: $vgpr19
; %bb.3026:                             ;   in Loop: Header=BB450_13 Depth=1
	s_and_not1_saveexec_b32 s22, s2
; %bb.3027:                             ;   in Loop: Header=BB450_13 Depth=1
	v_and_b32_e32 v26, 0xffff, v19
	v_or_b32_e32 v27, 0x10000, v19
	s_delay_alu instid0(VALU_DEP_2) | instskip(NEXT) | instid1(VALU_DEP_1)
	v_cmp_eq_u32_e64 s2, 0, v26
	v_cndmask_b32_e64 v87, v27, v19, s2
; %bb.3028:                             ;   in Loop: Header=BB450_13 Depth=1
	s_or_b32 exec_lo, exec_lo, s22
	v_mov_b32_e32 v19, 0
	s_mov_b32 s22, exec_lo
	v_cmpx_lt_u32_e32 0xffffff, v31
	s_cbranch_execz .LBB450_3036
; %bb.3029:                             ;   in Loop: Header=BB450_13 Depth=1
	v_lshrrev_b32_e32 v26, 24, v31
	v_bfrev_b32_e32 v19, 1
	s_mov_b32 s23, exec_lo
	s_delay_alu instid0(VALU_DEP_2)
	v_cmpx_ne_u32_e32 0x80, v26
	s_cbranch_execz .LBB450_3035
; %bb.3030:                             ;   in Loop: Header=BB450_13 Depth=1
	v_bfe_u32 v52, v31, 24, 7
	v_mov_b32_e32 v19, 0x7f800001
	s_mov_b32 s24, exec_lo
	s_delay_alu instid0(VALU_DEP_2)
	v_cmpx_ne_u32_e32 0x7f, v52
	s_cbranch_execz .LBB450_3034
; %bb.3031:                             ;   in Loop: Header=BB450_13 Depth=1
	v_and_b32_e32 v19, 7, v26
	v_mov_b32_e32 v34, v20
	v_lshrrev_b32_e32 v27, 3, v52
	s_mov_b32 s25, exec_lo
	s_delay_alu instid0(VALU_DEP_3)
	v_mov_b32_e32 v33, v19
	v_cmpx_gt_u32_e32 8, v52
; %bb.3032:                             ;   in Loop: Header=BB450_13 Depth=1
	v_clz_i32_u32_e32 v27, v19
	s_delay_alu instid0(VALU_DEP_1) | instskip(NEXT) | instid1(VALU_DEP_1)
	v_min_u32_e32 v27, 32, v27
	v_subrev_nc_u32_e32 v33, 28, v27
	v_sub_nc_u32_e32 v27, 29, v27
	s_delay_alu instid0(VALU_DEP_2) | instskip(NEXT) | instid1(VALU_DEP_1)
	v_lshlrev_b64 v[33:34], v33, v[19:20]
	v_and_b32_e32 v33, 7, v33
; %bb.3033:                             ;   in Loop: Header=BB450_13 Depth=1
	s_or_b32 exec_lo, exec_lo, s25
	v_lshlrev_b32_e32 v19, 24, v26
	s_delay_alu instid0(VALU_DEP_2) | instskip(SKIP_1) | instid1(VALU_DEP_3)
	v_lshlrev_b32_e32 v26, 20, v33
	v_lshl_add_u32 v27, v27, 23, 0x3c000000
	v_and_b32_e32 v19, 0x80000000, v19
	s_delay_alu instid0(VALU_DEP_1)
	v_or3_b32 v19, v26, v19, v27
.LBB450_3034:                           ;   in Loop: Header=BB450_13 Depth=1
	s_or_b32 exec_lo, exec_lo, s24
.LBB450_3035:                           ;   in Loop: Header=BB450_13 Depth=1
	s_delay_alu instid0(SALU_CYCLE_1)
	s_or_b32 exec_lo, exec_lo, s23
.LBB450_3036:                           ;   in Loop: Header=BB450_13 Depth=1
	s_delay_alu instid0(SALU_CYCLE_1) | instskip(NEXT) | instid1(VALU_DEP_1)
	s_or_b32 exec_lo, exec_lo, s22
	v_mul_f32_e32 v19, v121, v19
                                        ; implicit-def: $vgpr96
	s_delay_alu instid0(VALU_DEP_1) | instskip(NEXT) | instid1(VALU_DEP_1)
	v_and_b32_e32 v26, 0x7f800000, v19
	v_cmp_ne_u32_e64 s2, 0x7f800000, v26
	s_delay_alu instid0(VALU_DEP_1) | instskip(NEXT) | instid1(SALU_CYCLE_1)
	s_and_saveexec_b32 s22, s2
	s_xor_b32 s2, exec_lo, s22
; %bb.3037:                             ;   in Loop: Header=BB450_13 Depth=1
	v_bfe_u32 v26, v19, 16, 1
	s_delay_alu instid0(VALU_DEP_1)
	v_add3_u32 v96, v19, v26, 0x7fff
                                        ; implicit-def: $vgpr19
; %bb.3038:                             ;   in Loop: Header=BB450_13 Depth=1
	s_and_not1_saveexec_b32 s22, s2
; %bb.3039:                             ;   in Loop: Header=BB450_13 Depth=1
	v_and_b32_e32 v26, 0xffff, v19
	v_or_b32_e32 v27, 0x10000, v19
	s_delay_alu instid0(VALU_DEP_2) | instskip(NEXT) | instid1(VALU_DEP_1)
	v_cmp_eq_u32_e64 s2, 0, v26
	v_cndmask_b32_e64 v96, v27, v19, s2
; %bb.3040:                             ;   in Loop: Header=BB450_13 Depth=1
	s_or_b32 exec_lo, exec_lo, s22
	v_dual_mov_b32 v26, 0 :: v_dual_and_b32 v27, 0xff, v32
	v_mov_b32_e32 v19, v32
	s_mov_b32 s22, exec_lo
	s_delay_alu instid0(VALU_DEP_2)
	v_cmpx_ne_u16_e32 0, v27
	s_cbranch_execz .LBB450_3048
; %bb.3041:                             ;   in Loop: Header=BB450_13 Depth=1
	v_bfrev_b32_e32 v26, 1
	s_mov_b32 s23, exec_lo
	v_cmpx_ne_u16_e32 0x80, v27
	s_cbranch_execz .LBB450_3047
; %bb.3042:                             ;   in Loop: Header=BB450_13 Depth=1
	v_and_b32_e32 v27, 0x7f, v32
	v_mov_b32_e32 v26, 0x7f800001
	s_mov_b32 s24, exec_lo
	s_delay_alu instid0(VALU_DEP_2)
	v_cmpx_ne_u32_e32 0x7f, v27
	s_cbranch_execz .LBB450_3046
; %bb.3043:                             ;   in Loop: Header=BB450_13 Depth=1
	v_dual_mov_b32 v34, v20 :: v_dual_mov_b32 v33, v19
	v_lshrrev_b32_e32 v26, 3, v27
	s_mov_b32 s25, exec_lo
	v_cmpx_gt_u32_e32 8, v27
; %bb.3044:                             ;   in Loop: Header=BB450_13 Depth=1
	v_and_b32_e32 v26, 7, v32
	s_delay_alu instid0(VALU_DEP_1) | instskip(NEXT) | instid1(VALU_DEP_1)
	v_clz_i32_u32_e32 v26, v26
	v_min_u32_e32 v26, 32, v26
	s_delay_alu instid0(VALU_DEP_1) | instskip(SKIP_1) | instid1(VALU_DEP_2)
	v_subrev_nc_u32_e32 v27, 28, v26
	v_sub_nc_u32_e32 v26, 29, v26
	v_lshlrev_b64 v[33:34], v27, v[19:20]
; %bb.3045:                             ;   in Loop: Header=BB450_13 Depth=1
	s_or_b32 exec_lo, exec_lo, s25
	s_delay_alu instid0(VALU_DEP_1) | instskip(SKIP_2) | instid1(VALU_DEP_3)
	v_lshlrev_b32_e32 v27, 20, v33
	v_lshlrev_b32_e32 v33, 24, v19
	v_lshl_add_u32 v26, v26, 23, 0x3c000000
	v_and_b32_e32 v27, 0x700000, v27
	s_delay_alu instid0(VALU_DEP_3) | instskip(NEXT) | instid1(VALU_DEP_1)
	v_and_b32_e32 v33, 0x80000000, v33
	v_or3_b32 v26, v27, v33, v26
.LBB450_3046:                           ;   in Loop: Header=BB450_13 Depth=1
	s_or_b32 exec_lo, exec_lo, s24
.LBB450_3047:                           ;   in Loop: Header=BB450_13 Depth=1
	s_delay_alu instid0(SALU_CYCLE_1)
	s_or_b32 exec_lo, exec_lo, s23
.LBB450_3048:                           ;   in Loop: Header=BB450_13 Depth=1
	s_delay_alu instid0(SALU_CYCLE_1) | instskip(NEXT) | instid1(VALU_DEP_1)
	s_or_b32 exec_lo, exec_lo, s22
	v_mul_f32_e32 v27, v121, v26
	s_delay_alu instid0(VALU_DEP_1) | instskip(NEXT) | instid1(VALU_DEP_1)
	v_and_b32_e32 v26, 0x7f800000, v27
	v_cmp_ne_u32_e64 s2, 0x7f800000, v26
                                        ; implicit-def: $vgpr26
	s_delay_alu instid0(VALU_DEP_1) | instskip(NEXT) | instid1(SALU_CYCLE_1)
	s_and_saveexec_b32 s22, s2
	s_xor_b32 s2, exec_lo, s22
; %bb.3049:                             ;   in Loop: Header=BB450_13 Depth=1
	v_bfe_u32 v26, v27, 16, 1
	s_delay_alu instid0(VALU_DEP_1)
	v_add3_u32 v26, v27, v26, 0x7fff
                                        ; implicit-def: $vgpr27
; %bb.3050:                             ;   in Loop: Header=BB450_13 Depth=1
	s_and_not1_saveexec_b32 s22, s2
; %bb.3051:                             ;   in Loop: Header=BB450_13 Depth=1
	v_and_b32_e32 v26, 0xffff, v27
	v_or_b32_e32 v33, 0x10000, v27
	s_delay_alu instid0(VALU_DEP_2) | instskip(NEXT) | instid1(VALU_DEP_1)
	v_cmp_eq_u32_e64 s2, 0, v26
	v_cndmask_b32_e64 v26, v33, v27, s2
; %bb.3052:                             ;   in Loop: Header=BB450_13 Depth=1
	s_or_b32 exec_lo, exec_lo, s22
	v_lshrrev_b16 v33, 8, v19
	v_mov_b32_e32 v27, 0
	s_mov_b32 s22, exec_lo
	s_delay_alu instid0(VALU_DEP_2)
	v_cmpx_ne_u16_e32 0, v33
	s_cbranch_execz .LBB450_3060
; %bb.3053:                             ;   in Loop: Header=BB450_13 Depth=1
	v_bfrev_b32_e32 v27, 1
	s_mov_b32 s23, exec_lo
	v_cmpx_ne_u16_e32 0x80, v33
	s_cbranch_execz .LBB450_3059
; %bb.3054:                             ;   in Loop: Header=BB450_13 Depth=1
	v_and_b32_e32 v33, 0xffff, v33
	v_mov_b32_e32 v27, 0x7f800001
	s_mov_b32 s24, exec_lo
	s_delay_alu instid0(VALU_DEP_2) | instskip(NEXT) | instid1(VALU_DEP_1)
	v_and_b32_e32 v52, 0x7f, v33
	v_cmpx_ne_u32_e32 0x7f, v52
	s_cbranch_execz .LBB450_3058
; %bb.3055:                             ;   in Loop: Header=BB450_13 Depth=1
	v_dual_mov_b32 v34, v20 :: v_dual_and_b32 v33, 7, v33
	v_lshrrev_b32_e32 v27, 3, v52
	s_mov_b32 s25, exec_lo
	v_cmpx_gt_u32_e32 8, v52
; %bb.3056:                             ;   in Loop: Header=BB450_13 Depth=1
	s_delay_alu instid0(VALU_DEP_3) | instskip(NEXT) | instid1(VALU_DEP_1)
	v_clz_i32_u32_e32 v27, v33
	v_min_u32_e32 v27, 32, v27
	s_delay_alu instid0(VALU_DEP_1) | instskip(SKIP_1) | instid1(VALU_DEP_2)
	v_subrev_nc_u32_e32 v52, 28, v27
	v_sub_nc_u32_e32 v27, 29, v27
	v_lshlrev_b64 v[33:34], v52, v[33:34]
	s_delay_alu instid0(VALU_DEP_1)
	v_and_b32_e32 v33, 7, v33
; %bb.3057:                             ;   in Loop: Header=BB450_13 Depth=1
	s_or_b32 exec_lo, exec_lo, s25
	v_lshlrev_b32_e32 v19, 16, v19
	s_delay_alu instid0(VALU_DEP_2) | instskip(SKIP_1) | instid1(VALU_DEP_3)
	v_lshlrev_b32_e32 v33, 20, v33
	v_lshl_add_u32 v27, v27, 23, 0x3c000000
	v_and_b32_e32 v19, 0x80000000, v19
	s_delay_alu instid0(VALU_DEP_1)
	v_or3_b32 v27, v33, v19, v27
.LBB450_3058:                           ;   in Loop: Header=BB450_13 Depth=1
	s_or_b32 exec_lo, exec_lo, s24
.LBB450_3059:                           ;   in Loop: Header=BB450_13 Depth=1
	s_delay_alu instid0(SALU_CYCLE_1)
	s_or_b32 exec_lo, exec_lo, s23
.LBB450_3060:                           ;   in Loop: Header=BB450_13 Depth=1
	s_delay_alu instid0(SALU_CYCLE_1) | instskip(NEXT) | instid1(VALU_DEP_1)
	s_or_b32 exec_lo, exec_lo, s22
	v_mul_f32_e32 v19, v121, v27
	s_delay_alu instid0(VALU_DEP_1) | instskip(NEXT) | instid1(VALU_DEP_1)
	v_and_b32_e32 v27, 0x7f800000, v19
	v_cmp_ne_u32_e64 s2, 0x7f800000, v27
                                        ; implicit-def: $vgpr27
	s_delay_alu instid0(VALU_DEP_1) | instskip(NEXT) | instid1(SALU_CYCLE_1)
	s_and_saveexec_b32 s22, s2
	s_xor_b32 s2, exec_lo, s22
; %bb.3061:                             ;   in Loop: Header=BB450_13 Depth=1
	v_bfe_u32 v27, v19, 16, 1
	s_delay_alu instid0(VALU_DEP_1)
	v_add3_u32 v27, v19, v27, 0x7fff
                                        ; implicit-def: $vgpr19
; %bb.3062:                             ;   in Loop: Header=BB450_13 Depth=1
	s_and_not1_saveexec_b32 s22, s2
; %bb.3063:                             ;   in Loop: Header=BB450_13 Depth=1
	v_and_b32_e32 v27, 0xffff, v19
	v_or_b32_e32 v33, 0x10000, v19
	s_delay_alu instid0(VALU_DEP_2) | instskip(NEXT) | instid1(VALU_DEP_1)
	v_cmp_eq_u32_e64 s2, 0, v27
	v_cndmask_b32_e64 v27, v33, v19, s2
; %bb.3064:                             ;   in Loop: Header=BB450_13 Depth=1
	s_or_b32 exec_lo, exec_lo, s22
	v_lshrrev_b32_e32 v52, 16, v32
	v_mov_b32_e32 v19, 0
	s_mov_b32 s22, exec_lo
	s_delay_alu instid0(VALU_DEP_2) | instskip(NEXT) | instid1(VALU_DEP_1)
	v_and_b32_e32 v33, 0xff, v52
	v_cmpx_ne_u16_e32 0, v33
	s_cbranch_execz .LBB450_3072
; %bb.3065:                             ;   in Loop: Header=BB450_13 Depth=1
	v_bfrev_b32_e32 v19, 1
	s_mov_b32 s23, exec_lo
	v_cmpx_ne_u16_e32 0x80, v33
	s_cbranch_execz .LBB450_3071
; %bb.3066:                             ;   in Loop: Header=BB450_13 Depth=1
	v_bfe_u32 v97, v32, 16, 7
	v_mov_b32_e32 v19, 0x7f800001
	s_mov_b32 s24, exec_lo
	s_delay_alu instid0(VALU_DEP_2)
	v_cmpx_ne_u32_e32 0x7f, v97
	s_cbranch_execz .LBB450_3070
; %bb.3067:                             ;   in Loop: Header=BB450_13 Depth=1
	v_and_b32_e32 v19, 7, v52
	v_mov_b32_e32 v34, v20
	v_lshrrev_b32_e32 v34, 3, v97
	s_mov_b32 s25, exec_lo
	s_delay_alu instid0(VALU_DEP_3)
	v_mov_b32_e32 v33, v19
	v_cmpx_gt_u32_e32 8, v97
; %bb.3068:                             ;   in Loop: Header=BB450_13 Depth=1
	v_clz_i32_u32_e32 v33, v19
	s_delay_alu instid0(VALU_DEP_1) | instskip(NEXT) | instid1(VALU_DEP_1)
	v_min_u32_e32 v97, 32, v33
	v_subrev_nc_u32_e32 v33, 28, v97
	s_delay_alu instid0(VALU_DEP_1) | instskip(SKIP_1) | instid1(VALU_DEP_2)
	v_lshlrev_b64 v[33:34], v33, v[19:20]
	v_sub_nc_u32_e32 v34, 29, v97
	v_and_b32_e32 v33, 7, v33
; %bb.3069:                             ;   in Loop: Header=BB450_13 Depth=1
	s_or_b32 exec_lo, exec_lo, s25
	v_lshlrev_b32_e32 v19, 24, v52
	s_delay_alu instid0(VALU_DEP_2) | instskip(SKIP_1) | instid1(VALU_DEP_3)
	v_lshlrev_b32_e32 v33, 20, v33
	v_lshl_add_u32 v34, v34, 23, 0x3c000000
	v_and_b32_e32 v19, 0x80000000, v19
	s_delay_alu instid0(VALU_DEP_1)
	v_or3_b32 v19, v33, v19, v34
.LBB450_3070:                           ;   in Loop: Header=BB450_13 Depth=1
	s_or_b32 exec_lo, exec_lo, s24
.LBB450_3071:                           ;   in Loop: Header=BB450_13 Depth=1
	s_delay_alu instid0(SALU_CYCLE_1)
	s_or_b32 exec_lo, exec_lo, s23
.LBB450_3072:                           ;   in Loop: Header=BB450_13 Depth=1
	s_delay_alu instid0(SALU_CYCLE_1) | instskip(NEXT) | instid1(VALU_DEP_1)
	s_or_b32 exec_lo, exec_lo, s22
	v_mul_f32_e32 v19, v121, v19
	s_delay_alu instid0(VALU_DEP_1) | instskip(NEXT) | instid1(VALU_DEP_1)
	v_and_b32_e32 v33, 0x7f800000, v19
	v_cmp_ne_u32_e64 s2, 0x7f800000, v33
                                        ; implicit-def: $vgpr33
	s_delay_alu instid0(VALU_DEP_1) | instskip(NEXT) | instid1(SALU_CYCLE_1)
	s_and_saveexec_b32 s22, s2
	s_xor_b32 s2, exec_lo, s22
; %bb.3073:                             ;   in Loop: Header=BB450_13 Depth=1
	v_bfe_u32 v33, v19, 16, 1
	s_delay_alu instid0(VALU_DEP_1)
	v_add3_u32 v33, v19, v33, 0x7fff
                                        ; implicit-def: $vgpr19
; %bb.3074:                             ;   in Loop: Header=BB450_13 Depth=1
	s_and_not1_saveexec_b32 s22, s2
; %bb.3075:                             ;   in Loop: Header=BB450_13 Depth=1
	v_and_b32_e32 v33, 0xffff, v19
	v_or_b32_e32 v34, 0x10000, v19
	s_delay_alu instid0(VALU_DEP_2) | instskip(NEXT) | instid1(VALU_DEP_1)
	v_cmp_eq_u32_e64 s2, 0, v33
	v_cndmask_b32_e64 v33, v34, v19, s2
; %bb.3076:                             ;   in Loop: Header=BB450_13 Depth=1
	s_or_b32 exec_lo, exec_lo, s22
	v_mov_b32_e32 v19, 0
	s_mov_b32 s22, exec_lo
	v_cmpx_lt_u64_e64 s[8:9], v[31:32]
	s_cbranch_execz .LBB450_3084
; %bb.3077:                             ;   in Loop: Header=BB450_13 Depth=1
	v_lshrrev_b32_e32 v34, 24, v32
	v_bfrev_b32_e32 v19, 1
	s_mov_b32 s23, exec_lo
	s_delay_alu instid0(VALU_DEP_2)
	v_cmpx_ne_u32_e32 0x80, v34
	s_cbranch_execz .LBB450_3083
; %bb.3078:                             ;   in Loop: Header=BB450_13 Depth=1
	v_bfe_u32 v52, v32, 24, 7
	v_mov_b32_e32 v19, 0x7f800001
	s_mov_b32 s24, exec_lo
	s_delay_alu instid0(VALU_DEP_2)
	v_cmpx_ne_u32_e32 0x7f, v52
	s_cbranch_execz .LBB450_3082
; %bb.3079:                             ;   in Loop: Header=BB450_13 Depth=1
	v_and_b32_e32 v19, 7, v34
	v_mov_b32_e32 v32, v20
	v_lshrrev_b32_e32 v32, 3, v52
	s_mov_b32 s25, exec_lo
	s_delay_alu instid0(VALU_DEP_3)
	v_mov_b32_e32 v31, v19
	v_cmpx_gt_u32_e32 8, v52
; %bb.3080:                             ;   in Loop: Header=BB450_13 Depth=1
	v_clz_i32_u32_e32 v31, v19
	s_delay_alu instid0(VALU_DEP_1) | instskip(NEXT) | instid1(VALU_DEP_1)
	v_min_u32_e32 v52, 32, v31
	v_subrev_nc_u32_e32 v31, 28, v52
	s_delay_alu instid0(VALU_DEP_1) | instskip(SKIP_1) | instid1(VALU_DEP_2)
	v_lshlrev_b64 v[31:32], v31, v[19:20]
	v_sub_nc_u32_e32 v32, 29, v52
	v_and_b32_e32 v31, 7, v31
; %bb.3081:                             ;   in Loop: Header=BB450_13 Depth=1
	s_or_b32 exec_lo, exec_lo, s25
	v_lshlrev_b32_e32 v19, 24, v34
	s_delay_alu instid0(VALU_DEP_2) | instskip(SKIP_1) | instid1(VALU_DEP_3)
	v_lshlrev_b32_e32 v31, 20, v31
	v_lshl_add_u32 v32, v32, 23, 0x3c000000
	v_and_b32_e32 v19, 0x80000000, v19
	s_delay_alu instid0(VALU_DEP_1)
	v_or3_b32 v19, v31, v19, v32
.LBB450_3082:                           ;   in Loop: Header=BB450_13 Depth=1
	s_or_b32 exec_lo, exec_lo, s24
.LBB450_3083:                           ;   in Loop: Header=BB450_13 Depth=1
	s_delay_alu instid0(SALU_CYCLE_1)
	s_or_b32 exec_lo, exec_lo, s23
.LBB450_3084:                           ;   in Loop: Header=BB450_13 Depth=1
	s_delay_alu instid0(SALU_CYCLE_1) | instskip(NEXT) | instid1(VALU_DEP_1)
	s_or_b32 exec_lo, exec_lo, s22
	v_mul_f32_e32 v31, v121, v19
	s_delay_alu instid0(VALU_DEP_1) | instskip(NEXT) | instid1(VALU_DEP_1)
	v_and_b32_e32 v19, 0x7f800000, v31
	v_cmp_ne_u32_e64 s2, 0x7f800000, v19
                                        ; implicit-def: $vgpr19
	s_delay_alu instid0(VALU_DEP_1) | instskip(NEXT) | instid1(SALU_CYCLE_1)
	s_and_saveexec_b32 s22, s2
	s_xor_b32 s2, exec_lo, s22
; %bb.3085:                             ;   in Loop: Header=BB450_13 Depth=1
	v_bfe_u32 v19, v31, 16, 1
	s_delay_alu instid0(VALU_DEP_1)
	v_add3_u32 v19, v31, v19, 0x7fff
                                        ; implicit-def: $vgpr31
; %bb.3086:                             ;   in Loop: Header=BB450_13 Depth=1
	s_and_not1_saveexec_b32 s22, s2
	s_cbranch_execz .LBB450_11
; %bb.3087:                             ;   in Loop: Header=BB450_13 Depth=1
	v_and_b32_e32 v19, 0xffff, v31
	v_or_b32_e32 v32, 0x10000, v31
	s_delay_alu instid0(VALU_DEP_2) | instskip(NEXT) | instid1(VALU_DEP_1)
	v_cmp_eq_u32_e64 s2, 0, v19
	v_cndmask_b32_e64 v19, v32, v31, s2
	s_branch .LBB450_11
.LBB450_3088:
	s_or_b32 exec_lo, exec_lo, s7
	s_clause 0xe
	scratch_load_b32 v15, off, s32 offset:1776
	scratch_load_b32 v14, off, s32 offset:1780
	;; [unrolled: 1-line block ×9, first 2 shown]
	scratch_load_b64 v[80:81], off, s32 offset:1812
	scratch_load_b32 v16, off, s32 offset:1820
	scratch_load_b32 v11, off, s32 offset:1824
	;; [unrolled: 1-line block ×5, first 2 shown]
.LBB450_3089:
	s_or_b32 exec_lo, exec_lo, s19
	v_mbcnt_lo_u32_b32 v0, -1, 0
	s_waitcnt lgkmcnt(0)
	s_lshr_b32 s5, s18, 16
	v_max_f32_e32 v4, v95, v95
	s_delay_alu instid0(VALU_DEP_2) | instskip(SKIP_2) | instid1(VALU_DEP_3)
	v_xor_b32_e32 v1, 16, v0
	v_xor_b32_e32 v3, 8, v0
	;; [unrolled: 1-line block ×3, first 2 shown]
	v_cmp_gt_i32_e32 vcc_lo, 32, v1
	v_cndmask_b32_e32 v1, v0, v1, vcc_lo
	s_delay_alu instid0(VALU_DEP_4) | instskip(NEXT) | instid1(VALU_DEP_2)
	v_cmp_gt_i32_e32 vcc_lo, 32, v3
	v_dual_cndmask_b32 v3, v0, v3 :: v_dual_lshlrev_b32 v2, 2, v1
	v_cmp_gt_i32_e32 vcc_lo, 32, v5
	ds_bpermute_b32 v1, v2, v95
	v_lshlrev_b32_e32 v3, 2, v3
	v_cndmask_b32_e32 v5, v0, v5, vcc_lo
	s_waitcnt lgkmcnt(0)
	v_max_f32_e32 v1, v1, v1
	s_delay_alu instid0(VALU_DEP_1) | instskip(SKIP_3) | instid1(VALU_DEP_1)
	v_max_f32_e32 v1, v4, v1
	ds_bpermute_b32 v4, v3, v1
	s_waitcnt lgkmcnt(0)
	v_max_f32_e32 v6, v4, v4
	v_dual_max_f32 v1, v1, v6 :: v_dual_lshlrev_b32 v4, 2, v5
	v_xor_b32_e32 v6, 2, v0
	ds_bpermute_b32 v5, v4, v1
	v_cmp_gt_i32_e32 vcc_lo, 32, v6
	v_cndmask_b32_e32 v6, v0, v6, vcc_lo
	s_delay_alu instid0(VALU_DEP_1) | instskip(SKIP_1) | instid1(VALU_DEP_1)
	v_lshlrev_b32_e32 v36, 2, v6
	v_xor_b32_e32 v6, 1, v0
	v_cmp_gt_i32_e32 vcc_lo, 32, v6
	s_waitcnt lgkmcnt(0)
	v_dual_max_f32 v5, v5, v5 :: v_dual_cndmask_b32 v6, v0, v6
	s_delay_alu instid0(VALU_DEP_1) | instskip(NEXT) | instid1(VALU_DEP_2)
	v_max_f32_e32 v1, v1, v5
	v_lshlrev_b32_e32 v71, 2, v6
	ds_bpermute_b32 v5, v36, v1
	s_waitcnt lgkmcnt(0)
	v_max_f32_e32 v5, v5, v5
	s_delay_alu instid0(VALU_DEP_1)
	v_max_f32_e32 v0, v1, v5
	scratch_load_b32 v5, off, s32 offset:840 ; 4-byte Folded Reload
	ds_bpermute_b32 v1, v71, v0
	s_waitcnt vmcnt(0)
	v_cmp_eq_u32_e32 vcc_lo, 0, v5
	scratch_load_b32 v5, off, s32 offset:1764 ; 4-byte Folded Reload
	s_waitcnt vmcnt(0)
	v_lshlrev_b32_e32 v5, 2, v5
	s_and_saveexec_b32 s2, vcc_lo
	s_cbranch_execz .LBB450_3091
; %bb.3090:
	s_waitcnt lgkmcnt(0)
	v_dual_max_f32 v1, v1, v1 :: v_dual_max_f32 v0, v0, v0
	s_delay_alu instid0(VALU_DEP_1)
	v_max_f32_e32 v0, v0, v1
	ds_store_b32 v5, v0 offset:512
.LBB450_3091:
	s_or_b32 exec_lo, exec_lo, s2
	scratch_load_b32 v0, off, s32 offset:840 ; 4-byte Folded Reload
	s_waitcnt vmcnt(0) lgkmcnt(0)
	s_waitcnt_vscnt null, 0x0
	s_barrier
	buffer_gl0_inv
	v_cmp_gt_u32_e64 s2, 4, v0
	v_mov_b32_e32 v0, 0xff7fffff
	s_delay_alu instid0(VALU_DEP_2)
	s_and_saveexec_b32 s3, s2
	s_cbranch_execz .LBB450_3093
; %bb.3092:
	ds_load_b32 v0, v19 offset:512
.LBB450_3093:
	s_or_b32 exec_lo, exec_lo, s3
	scratch_load_b32 v6, off, s32 offset:340 ; 4-byte Folded Reload
	s_waitcnt lgkmcnt(0)
	ds_bpermute_b32 v1, v36, v0
	s_waitcnt lgkmcnt(0)
	v_dual_max_f32 v0, v0, v0 :: v_dual_max_f32 v1, v1, v1
	s_delay_alu instid0(VALU_DEP_1)
	v_max_f32_e32 v0, v0, v1
	ds_bpermute_b32 v1, v71, v0
	s_waitcnt lgkmcnt(0)
	v_max_f32_e32 v1, v1, v1
	s_waitcnt vmcnt(0)
	v_subrev_nc_u32_e32 v7, s17, v6
	v_mov_b32_e32 v6, 0
	s_delay_alu instid0(VALU_DEP_3) | instskip(NEXT) | instid1(VALU_DEP_3)
	v_max_f32_e32 v0, v0, v1
	v_lshl_add_u32 v1, v7, 5, s15
	scratch_load_b32 v7, off, s32 offset:852 ; 4-byte Folded Reload
	ds_bpermute_b32 v0, v6, v0
	v_min_i32_e32 v1, v1, v39
	s_delay_alu instid0(VALU_DEP_1) | instskip(SKIP_1) | instid1(VALU_DEP_1)
	v_subrev_nc_u32_e32 v1, s15, v1
	s_waitcnt vmcnt(0)
	v_cmp_lt_i32_e64 s3, v7, v1
	s_delay_alu instid0(VALU_DEP_1)
	s_and_saveexec_b32 s8, s3
	s_cbranch_execz .LBB450_3097
; %bb.3094:
	scratch_load_b32 v8, off, s32 offset:852 ; 4-byte Folded Reload
	s_getpc_b64 s[18:19]
	s_add_u32 s18, s18, llvm.amdgcn.dynlds.offset.table@rel32@lo+4
	s_addc_u32 s19, s19, llvm.amdgcn.dynlds.offset.table@rel32@hi+12
	s_ashr_i32 s7, s6, 31
	v_mov_b32_e32 v6, 0
	s_lshl_b64 s[22:23], s[6:7], 2
	s_mov_b32 s7, 0
	s_add_u32 s18, s22, s18
	s_addc_u32 s19, s23, s19
	s_load_b32 s4, s[18:19], 0x0
	s_waitcnt vmcnt(0) lgkmcnt(0)
	v_lshl_add_u32 v7, v8, 2, s4
	.p2align	6
.LBB450_3095:                           ; =>This Inner Loop Header: Depth=1
	ds_load_b32 v9, v7
	v_add_nc_u32_e32 v8, 0x80, v8
	s_delay_alu instid0(VALU_DEP_1) | instskip(NEXT) | instid1(VALU_DEP_1)
	v_cmp_ge_i32_e64 s4, v8, v1
	s_or_b32 s7, s4, s7
	s_waitcnt lgkmcnt(0)
	v_sub_f32_e32 v9, v9, v0
	s_delay_alu instid0(VALU_DEP_1) | instskip(NEXT) | instid1(VALU_DEP_1)
	v_mul_f32_e32 v9, 0x3fb8aa3b, v9
	v_exp_f32_e32 v9, v9
	ds_store_b32 v7, v9
	v_dual_add_f32 v6, v6, v9 :: v_dual_add_nc_u32 v7, 0x200, v7
	s_and_not1_b32 exec_lo, exec_lo, s7
	s_cbranch_execnz .LBB450_3095
; %bb.3096:
	s_or_b32 exec_lo, exec_lo, s7
.LBB450_3097:
	s_delay_alu instid0(SALU_CYCLE_1)
	s_or_b32 exec_lo, exec_lo, s8
	ds_bpermute_b32 v2, v2, v6
	s_waitcnt lgkmcnt(0)
	v_add_f32_e32 v2, v6, v2
	ds_bpermute_b32 v3, v3, v2
	s_waitcnt lgkmcnt(0)
	v_add_f32_e32 v2, v2, v3
	;; [unrolled: 3-line block ×5, first 2 shown]
	s_and_saveexec_b32 s4, vcc_lo
	s_cbranch_execz .LBB450_3099
; %bb.3098:
	ds_store_b32 v5, v2 offset:528
.LBB450_3099:
	s_or_b32 exec_lo, exec_lo, s4
	s_waitcnt lgkmcnt(0)
	s_barrier
	buffer_gl0_inv
	s_and_saveexec_b32 s4, s2
	s_cbranch_execz .LBB450_3101
; %bb.3100:
	ds_load_b32 v2, v19 offset:528
.LBB450_3101:
	s_or_b32 exec_lo, exec_lo, s4
	s_waitcnt lgkmcnt(0)
	ds_bpermute_b32 v3, v36, v2
	s_waitcnt lgkmcnt(0)
	v_add_f32_e32 v2, v2, v3
	ds_bpermute_b32 v3, v71, v2
	s_waitcnt lgkmcnt(0)
	v_dual_add_f32 v2, v2, v3 :: v_dual_mov_b32 v3, 0
	ds_bpermute_b32 v2, v3, v2
	s_and_saveexec_b32 s2, s3
	s_cbranch_execz .LBB450_3104
; %bb.3102:
	s_waitcnt lgkmcnt(0)
	v_add_f32_e32 v4, 0x358637bd, v2
	s_getpc_b64 s[8:9]
	s_add_u32 s8, s8, llvm.amdgcn.dynlds.offset.table@rel32@lo+4
	s_addc_u32 s9, s9, llvm.amdgcn.dynlds.offset.table@rel32@hi+12
	s_ashr_i32 s7, s6, 31
	s_delay_alu instid0(SALU_CYCLE_1) | instskip(SKIP_4) | instid1(VALU_DEP_1)
	s_lshl_b64 s[18:19], s[6:7], 2
	v_div_scale_f32 v3, null, v4, v4, 1.0
	s_add_u32 s8, s18, s8
	s_addc_u32 s9, s19, s9
	s_load_b32 s3, s[8:9], 0x0
	v_rcp_f32_e32 v5, v3
	s_waitcnt_depctr 0xfff
	v_fma_f32 v6, -v3, v5, 1.0
	s_delay_alu instid0(VALU_DEP_1) | instskip(SKIP_1) | instid1(VALU_DEP_1)
	v_fmac_f32_e32 v5, v6, v5
	v_div_scale_f32 v7, vcc_lo, 1.0, v4, 1.0
	v_mul_f32_e32 v6, v7, v5
	s_delay_alu instid0(VALU_DEP_1) | instskip(NEXT) | instid1(VALU_DEP_1)
	v_fma_f32 v8, -v3, v6, v7
	v_fmac_f32_e32 v6, v8, v5
	s_delay_alu instid0(VALU_DEP_1) | instskip(NEXT) | instid1(VALU_DEP_1)
	v_fma_f32 v3, -v3, v6, v7
	v_div_fmas_f32 v5, v3, v5, v6
	scratch_load_b32 v6, off, s32 offset:852 ; 4-byte Folded Reload
	v_div_fixup_f32 v4, v5, v4, 1.0
	s_waitcnt vmcnt(0) lgkmcnt(0)
	v_lshl_add_u32 v3, v6, 2, s3
	v_mov_b32_e32 v5, v6
	s_mov_b32 s3, 0
.LBB450_3103:                           ; =>This Inner Loop Header: Depth=1
	ds_load_b32 v6, v3
	s_waitcnt lgkmcnt(0)
	v_dual_mul_f32 v6, v4, v6 :: v_dual_add_nc_u32 v5, 0x80, v5
	s_delay_alu instid0(VALU_DEP_1) | instskip(SKIP_3) | instid1(SALU_CYCLE_1)
	v_cmp_ge_i32_e32 vcc_lo, v5, v1
	ds_store_b32 v3, v6
	v_add_nc_u32_e32 v3, 0x200, v3
	s_or_b32 s3, vcc_lo, s3
	s_and_not1_b32 exec_lo, exec_lo, s3
	s_cbranch_execnz .LBB450_3103
.LBB450_3104:
	s_or_b32 exec_lo, exec_lo, s2
	scratch_load_b32 v1, off, s32 offset:852 ; 4-byte Folded Reload
	v_cmp_ne_u16_e64 s2, s5, 0
	s_waitcnt vmcnt(0) lgkmcnt(0)
	s_barrier
	buffer_gl0_inv
	s_cmp_lg_u32 s2, 0
	s_mov_b32 s2, exec_lo
	s_addc_u32 s17, s13, 0
	v_cmpx_eq_u32_e32 0, v1
	s_cbranch_execz .LBB450_3106
; %bb.3105:
	s_mul_i32 s3, s17, s10
	s_mul_i32 s4, s17, s12
	;; [unrolled: 1-line block ×3, first 2 shown]
	s_ashr_i32 s5, s4, 31
	s_ashr_i32 s15, s14, 31
	s_ashr_i32 s9, s8, 31
	s_lshl_b64 s[4:5], s[4:5], 2
	s_lshl_b64 s[12:13], s[14:15], 2
	;; [unrolled: 1-line block ×3, first 2 shown]
	s_add_u32 s3, s12, s4
	s_addc_u32 s4, s13, s5
	s_add_u32 s3, s3, s8
	s_addc_u32 s4, s4, s9
	v_add_co_u32 v3, vcc_lo, s3, v26
	v_add_co_ci_u32_e32 v4, vcc_lo, s4, v25, vcc_lo
	v_add_co_u32 v5, vcc_lo, s3, v24
	v_add_co_ci_u32_e32 v6, vcc_lo, s4, v22, vcc_lo
	flat_store_b32 v[3:4], v0
	flat_store_b32 v[5:6], v2
.LBB450_3106:
	s_or_b32 exec_lo, exec_lo, s2
	scratch_load_b32 v0, off, s32 offset:852 ; 4-byte Folded Reload
	s_ashr_i32 s7, s6, 31
	s_getpc_b64 s[2:3]
	s_add_u32 s2, s2, llvm.amdgcn.dynlds.offset.table@rel32@lo+4
	s_addc_u32 s3, s3, llvm.amdgcn.dynlds.offset.table@rel32@hi+12
	s_lshl_b64 s[4:5], s[6:7], 2
	v_dual_mov_b32 v8, 0 :: v_dual_mov_b32 v9, 0
	v_dual_mov_b32 v6, 0 :: v_dual_mov_b32 v25, 0
	v_dual_mov_b32 v24, 0 :: v_dual_mov_b32 v21, 0
	v_dual_mov_b32 v22, 0 :: v_dual_mov_b32 v19, 0
	v_dual_mov_b32 v20, 0 :: v_dual_mov_b32 v29, 0
	v_dual_mov_b32 v32, 0 :: v_dual_mov_b32 v27, 0
	v_dual_mov_b32 v28, 0 :: v_dual_mov_b32 v69, 0
	v_dual_mov_b32 v26, 0 :: v_dual_mov_b32 v67, 0
	v_dual_mov_b32 v70, 0 :: v_dual_mov_b32 v37, 0
	v_dual_mov_b32 v68, 0 :: v_dual_mov_b32 v53, 0
	v_dual_mov_b32 v54, 0 :: v_dual_mov_b32 v51, 0
	v_dual_mov_b32 v38, 0 :: v_dual_mov_b32 v49, 0
	v_dual_mov_b32 v52, 0 :: v_dual_mov_b32 v55, 0
	v_dual_mov_b32 v50, 0 :: v_dual_mov_b32 v65, 0
	v_dual_mov_b32 v64, 0 :: v_dual_mov_b32 v171, 0
	v_mov_b32_e32 v66, 0
	s_add_u32 s12, s4, s2
	s_addc_u32 s13, s5, s3
	s_mov_b32 s21, 0
	s_waitcnt vmcnt(0)
	v_dual_mov_b32 v7, 0 :: v_dual_and_b32 v84, 3, v0
	s_and_saveexec_b32 s15, s1
	s_cbranch_execz .LBB450_7304
; %bb.3107:
	s_clause 0x1
	scratch_store_b32 off, v36, s32 offset:948
	scratch_store_b32 off, v71, s32 offset:944
	scratch_load_b32 v1, off, s32 offset:852 ; 4-byte Folded Reload
	v_max_i32_e32 v30, v30, v31
	s_load_b32 s1, s[12:13], 0x0
	v_mov_b32_e32 v8, 0
	s_mov_b32 s18, -1
	s_mov_b32 s19, 0xffffff
	v_cvt_f32_u32_e32 v0, v30
	v_mov_b32_e32 v13, 0
	v_mov_b32_e32 v171, 0
	;; [unrolled: 1-line block ×4, first 2 shown]
	v_rcp_iflag_f32_e32 v3, v0
	v_add_co_u32 v0, vcc_lo, v34, v16
	s_waitcnt_depctr 0xfff
	v_dual_mul_f32 v3, 0x4f7ffffe, v3 :: v_dual_lshlrev_b32 v4, 5, v84
	s_delay_alu instid0(VALU_DEP_1) | instskip(SKIP_3) | instid1(VALU_DEP_2)
	v_cvt_u32_f32_e32 v3, v3
	s_waitcnt vmcnt(0)
	v_lshlrev_b32_e32 v2, 3, v1
	v_add_co_ci_u32_e32 v1, vcc_lo, v33, v35, vcc_lo
	v_and_b32_e32 v5, 24, v2
	scratch_store_b64 off, v[0:1], s32 offset:856 ; 8-byte Folded Spill
	v_add_nc_u32_e32 v0, -1, v11
	v_and_b32_e32 v6, 0xf8, v2
	v_or_b32_e32 v2, 0x1f00, v2
	scratch_store_b32 off, v0, s32 offset:864 ; 4-byte Folded Spill
	v_lshlrev_b64 v[0:1], 2, v[17:18]
	s_delay_alu instid0(VALU_DEP_1) | instskip(NEXT) | instid1(VALU_DEP_2)
	v_add_co_u32 v0, vcc_lo, v80, v0
	v_add_co_ci_u32_e32 v1, vcc_lo, v81, v1, vcc_lo
	s_delay_alu instid0(VALU_DEP_2)
	v_add_co_u32 v14, vcc_lo, v14, v0
	v_mov_b32_e32 v0, 0
	s_clause 0x1
	scratch_store_b32 off, v84, s32 offset:940
	scratch_store_b32 off, v5, s32 offset:868
	scratch_load_b32 v5, off, s32 offset:1764 ; 4-byte Folded Reload
	v_add_co_ci_u32_e32 v15, vcc_lo, v15, v1, vcc_lo
	s_waitcnt vmcnt(0)
	v_lshl_or_b32 v4, v5, 7, v4
	v_or_b32_e32 v5, 0x1000, v6
	scratch_store_b32 off, v2, s32 offset:876 ; 4-byte Folded Spill
	v_sub_nc_u32_e32 v2, 0, v30
	s_waitcnt lgkmcnt(0)
	v_add_nc_u32_e32 v135, s1, v4
	scratch_store_b32 off, v5, s32 offset:880 ; 4-byte Folded Spill
	v_or_b32_e32 v5, 0x1100, v6
	v_mul_lo_u32 v2, v2, v3
	scratch_store_b32 off, v5, s32 offset:884 ; 4-byte Folded Spill
	v_or_b32_e32 v5, 0x1200, v6
	v_mul_hi_u32 v2, v3, v2
	scratch_store_b32 off, v5, s32 offset:888 ; 4-byte Folded Spill
	v_or_b32_e32 v5, 0x1300, v6
	scratch_store_b32 off, v5, s32 offset:892 ; 4-byte Folded Spill
	v_or_b32_e32 v5, 0x1400, v6
	v_add_nc_u32_e32 v2, v3, v2
	scratch_store_b32 off, v5, s32 offset:896 ; 4-byte Folded Spill
	v_or_b32_e32 v5, 0x1500, v6
	scratch_store_b32 off, v5, s32 offset:900 ; 4-byte Folded Spill
	v_or_b32_e32 v5, 0x1600, v6
	;; [unrolled: 2-line block ×9, first 2 shown]
	s_clause 0x1
	scratch_store_b32 off, v5, s32 offset:932
	scratch_store_b32 off, v6, s32 offset:872
	v_or_b32_e32 v5, 0x1e00, v6
	s_clause 0x1
	scratch_store_b32 off, v2, s32 offset:464
	scratch_store_b32 off, v0, s32 offset:356
	v_mov_b32_e32 v0, 0
	v_mov_b32_e32 v6, 0
	s_clause 0x1
	scratch_store_b32 off, v5, s32 offset:936
	scratch_store_b32 off, v0, s32 offset:360
	v_mov_b32_e32 v0, 0
	scratch_store_b32 off, v0, s32 offset:364 ; 4-byte Folded Spill
	v_mov_b32_e32 v0, 0
	scratch_store_b32 off, v0, s32 offset:368 ; 4-byte Folded Spill
	;; [unrolled: 2-line block ×25, first 2 shown]
	s_branch .LBB450_3110
.LBB450_3108:                           ;   in Loop: Header=BB450_3110 Depth=1
	s_or_b32 exec_lo, exec_lo, s1
	v_and_b32_e32 v163, 0xffff0000, v141
	v_and_b32_e32 v6, 0xffff0000, v6
	;; [unrolled: 1-line block ×7, first 2 shown]
	s_delay_alu instid0(VALU_DEP_4)
	v_dual_add_f32 v6, v6, v7 :: v_dual_and_b32 v29, 0xffff0000, v29
	v_and_b32_e32 v7, 0xffff0000, v142
	v_and_b32_e32 v31, 0xffff0000, v31
	;; [unrolled: 1-line block ×5, first 2 shown]
	v_dual_add_f32 v7, v163, v7 :: v_dual_and_b32 v8, 0xffff0000, v8
	v_and_b32_e32 v10, 0xffff0000, v10
	v_and_b32_e32 v11, 0xffff0000, v11
	s_delay_alu instid0(VALU_DEP_3)
	v_dual_add_f32 v6, v6, v7 :: v_dual_and_b32 v25, 0xffff0000, v25
	v_and_b32_e32 v7, 0xffff0000, v21
	v_and_b32_e32 v21, 0xffff0000, v37
	;; [unrolled: 1-line block ×5, first 2 shown]
	v_add_f32_e32 v5, v5, v7
	v_and_b32_e32 v7, 0xffff0000, v38
	v_and_b32_e32 v2, 0xffff0000, v2
	;; [unrolled: 1-line block ×4, first 2 shown]
	s_delay_alu instid0(VALU_DEP_4) | instskip(SKIP_3) | instid1(VALU_DEP_4)
	v_dual_add_f32 v28, v28, v29 :: v_dual_add_f32 v7, v21, v7
	v_and_b32_e32 v21, 0xffff0000, v137
	v_and_b32_e32 v29, 0xffff0000, v32
	;; [unrolled: 1-line block ×3, first 2 shown]
	v_dual_add_f32 v5, v5, v7 :: v_dual_and_b32 v20, 0xffff0000, v20
	v_and_b32_e32 v7, 0xffff0000, v138
	s_delay_alu instid0(VALU_DEP_4)
	v_add_f32_e32 v29, v31, v29
	scratch_load_b32 v31, off, s32 offset:372 ; 4-byte Folded Reload
	v_add_f32_e32 v20, v20, v24
	v_dual_add_f32 v7, v21, v7 :: v_dual_and_b32 v24, 0xffff0000, v182
	v_and_b32_e32 v21, 0xffff0000, v153
	v_and_b32_e32 v164, 0xffff0000, v143
	v_dual_add_f32 v8, v8, v9 :: v_dual_and_b32 v9, 0xffff0000, v128
	s_delay_alu instid0(VALU_DEP_4) | instskip(NEXT) | instid1(VALU_DEP_4)
	v_add_f32_e32 v5, v5, v7
	v_add_f32_e32 v21, v21, v37
	v_and_b32_e32 v163, 0xffff0000, v152
	v_and_b32_e32 v7, 0xffff0000, v123
	;; [unrolled: 1-line block ×4, first 2 shown]
	v_add_f32_e32 v10, v10, v11
	v_dual_add_f32 v163, v164, v163 :: v_dual_and_b32 v164, 0xffff0000, v106
	s_delay_alu instid0(VALU_DEP_4) | instskip(SKIP_2) | instid1(VALU_DEP_4)
	v_add_f32_e32 v7, v37, v7
	v_and_b32_e32 v37, 0xffff0000, v125
	v_add_f32_e32 v0, v0, v1
	v_dual_add_f32 v6, v6, v163 :: v_dual_and_b32 v163, 0xffff0000, v140
	v_add_f32_e32 v1, v2, v3
	s_delay_alu instid0(VALU_DEP_4) | instskip(NEXT) | instid1(VALU_DEP_3)
	v_dual_add_f32 v37, v38, v37 :: v_dual_and_b32 v38, 0xffff0000, v139
	v_add_f32_e32 v6, v6, v21
	v_and_b32_e32 v2, 0xffff0000, v12
	s_delay_alu instid0(VALU_DEP_4) | instskip(NEXT) | instid1(VALU_DEP_4)
	v_add_f32_e32 v0, v0, v1
	v_dual_add_f32 v7, v7, v37 :: v_dual_add_f32 v38, v38, v163
	v_and_b32_e32 v37, 0xffff0000, v127
	v_and_b32_e32 v163, 0xffff0000, v126
	s_delay_alu instid0(VALU_DEP_3) | instskip(NEXT) | instid1(VALU_DEP_2)
	v_dual_add_f32 v5, v5, v38 :: v_dual_and_b32 v12, 0xffff0000, v161
	v_dual_add_f32 v37, v163, v37 :: v_dual_and_b32 v38, 0xffff0000, v110
	v_and_b32_e32 v163, 0xffff0000, v107
	s_delay_alu instid0(VALU_DEP_2) | instskip(NEXT) | instid1(VALU_DEP_2)
	v_add_f32_e32 v7, v7, v37
	v_dual_add_f32 v163, v164, v163 :: v_dual_and_b32 v164, 0xffff0000, v109
	s_delay_alu instid0(VALU_DEP_1) | instskip(NEXT) | instid1(VALU_DEP_1)
	v_dual_add_f32 v164, v165, v164 :: v_dual_and_b32 v37, 0xffff0000, v111
	v_dual_add_f32 v37, v38, v37 :: v_dual_and_b32 v38, 0xffff0000, v136
	s_delay_alu instid0(VALU_DEP_2) | instskip(SKIP_2) | instid1(VALU_DEP_3)
	v_add_f32_e32 v21, v163, v164
	v_and_b32_e32 v163, 0xffff0000, v92
	v_and_b32_e32 v164, 0xffff0000, v121
	v_dual_add_f32 v21, v21, v37 :: v_dual_add_f32 v4, v38, v4
	v_and_b32_e32 v37, 0xffff0000, v91
	v_and_b32_e32 v38, 0xffff0000, v90
	s_delay_alu instid0(VALU_DEP_3) | instskip(NEXT) | instid1(VALU_DEP_2)
	v_dual_add_f32 v4, v7, v4 :: v_dual_and_b32 v7, 0xffff0000, v86
	v_add_f32_e32 v37, v38, v37
	v_and_b32_e32 v38, 0xffff0000, v93
	s_delay_alu instid0(VALU_DEP_1) | instskip(NEXT) | instid1(VALU_DEP_1)
	v_dual_add_f32 v38, v163, v38 :: v_dual_and_b32 v163, 0xffff0000, v120
	v_add_f32_e32 v37, v37, v38
	s_delay_alu instid0(VALU_DEP_2) | instskip(SKIP_1) | instid1(VALU_DEP_1)
	v_dual_add_f32 v163, v163, v164 :: v_dual_and_b32 v38, 0xffff0000, v95
	v_and_b32_e32 v164, 0xffff0000, v94
	v_add_f32_e32 v38, v164, v38
	scratch_load_b32 v164, off, s32 offset:356 ; 4-byte Folded Reload
	s_waitcnt vmcnt(0)
	v_add_f32_e32 v164, v164, v6
	scratch_load_b32 v6, off, s32 offset:360 ; 4-byte Folded Reload
	s_waitcnt vmcnt(0)
	v_dual_add_f32 v6, v6, v5 :: v_dual_add_f32 v5, v21, v163
	v_and_b32_e32 v21, 0xffff0000, v85
	s_clause 0x1
	scratch_store_b32 off, v164, s32 offset:356
	scratch_store_b32 off, v6, s32 offset:360
	v_add_f32_e32 v6, v37, v38
	v_add_f32_e32 v7, v21, v7
	v_and_b32_e32 v21, 0xffff0000, v96
	v_and_b32_e32 v37, 0xffff0000, v87
	;; [unrolled: 1-line block ×3, first 2 shown]
	s_delay_alu instid0(VALU_DEP_2) | instskip(SKIP_1) | instid1(VALU_DEP_2)
	v_add_f32_e32 v21, v37, v21
	v_and_b32_e32 v37, 0xffff0000, v104
	v_add_f32_e32 v7, v7, v21
	s_delay_alu instid0(VALU_DEP_2) | instskip(SKIP_2) | instid1(VALU_DEP_1)
	v_add_f32_e32 v37, v37, v38
	v_and_b32_e32 v21, 0xffff0000, v99
	v_and_b32_e32 v38, 0xffff0000, v97
	v_dual_add_f32 v21, v38, v21 :: v_dual_and_b32 v38, 0xffff0000, v70
	v_and_b32_e32 v70, 0xffff0000, v71
	s_delay_alu instid0(VALU_DEP_2) | instskip(NEXT) | instid1(VALU_DEP_1)
	v_dual_add_f32 v38, v69, v38 :: v_dual_and_b32 v69, 0xffff0000, v80
	v_add_f32_e32 v69, v70, v69
	scratch_load_b32 v70, off, s32 offset:364 ; 4-byte Folded Reload
	s_waitcnt vmcnt(0)
	v_add_f32_e32 v70, v70, v4
	scratch_load_b32 v4, off, s32 offset:368 ; 4-byte Folded Reload
	s_waitcnt vmcnt(0)
	v_add_f32_e32 v4, v4, v5
	scratch_store_b32 off, v70, s32 offset:364 ; 4-byte Folded Spill
	v_add_f32_e32 v5, v7, v21
	v_and_b32_e32 v7, 0xffff0000, v82
	v_and_b32_e32 v21, 0xffff0000, v81
	scratch_store_b32 off, v4, s32 offset:368 ; 4-byte Folded Spill
	v_add_f32_e32 v4, v6, v37
	v_and_b32_e32 v37, 0xffff0000, v53
	v_dual_add_f32 v6, v38, v69 :: v_dual_add_f32 v7, v21, v7
	v_and_b32_e32 v21, 0xffff0000, v54
	s_delay_alu instid0(VALU_DEP_4) | instskip(NEXT) | instid1(VALU_DEP_3)
	v_dual_add_f32 v31, v31, v4 :: v_dual_and_b32 v38, 0xffff0000, v55
	v_dual_add_f32 v6, v6, v7 :: v_dual_and_b32 v53, 0xffff0000, v89
	s_delay_alu instid0(VALU_DEP_3) | instskip(SKIP_4) | instid1(VALU_DEP_1)
	v_add_f32_e32 v21, v37, v21
	v_and_b32_e32 v37, 0xffff0000, v64
	scratch_store_b32 off, v31, s32 offset:372 ; 4-byte Folded Spill
	v_and_b32_e32 v31, 0xffff0000, v76
	v_dual_add_f32 v37, v38, v37 :: v_dual_and_b32 v38, 0xffff0000, v98
	v_add_f32_e32 v7, v21, v37
	v_and_b32_e32 v21, 0xffff0000, v66
	v_and_b32_e32 v37, 0xffff0000, v65
	s_delay_alu instid0(VALU_DEP_4) | instskip(NEXT) | instid1(VALU_DEP_2)
	v_dual_add_f32 v38, v38, v53 :: v_dual_and_b32 v53, 0xffff0000, v84
	v_add_f32_e32 v21, v37, v21
	s_delay_alu instid0(VALU_DEP_2) | instskip(NEXT) | instid1(VALU_DEP_2)
	v_dual_add_f32 v4, v5, v38 :: v_dual_and_b32 v37, 0xffff0000, v83
	v_add_f32_e32 v7, v7, v21
	s_delay_alu instid0(VALU_DEP_2) | instskip(SKIP_2) | instid1(VALU_DEP_3)
	v_add_f32_e32 v37, v37, v53
	v_and_b32_e32 v21, 0xffff0000, v67
	v_and_b32_e32 v53, 0xffff0000, v68
	v_add_f32_e32 v5, v6, v37
	s_delay_alu instid0(VALU_DEP_2) | instskip(NEXT) | instid1(VALU_DEP_1)
	v_add_f32_e32 v21, v21, v53
	v_add_f32_e32 v6, v7, v21
	;; [unrolled: 1-line block ×3, first 2 shown]
	v_and_b32_e32 v21, 0xffff0000, v35
	v_and_b32_e32 v28, 0xffff0000, v33
	;; [unrolled: 1-line block ×3, first 2 shown]
	s_delay_alu instid0(VALU_DEP_2) | instskip(NEXT) | instid1(VALU_DEP_1)
	v_dual_add_f32 v21, v28, v21 :: v_dual_and_b32 v28, 0xffff0000, v75
	v_dual_add_f32 v28, v29, v28 :: v_dual_and_b32 v29, 0xffff0000, v77
	s_delay_alu instid0(VALU_DEP_1)
	v_add_f32_e32 v29, v31, v29
	scratch_load_b32 v31, off, s32 offset:376 ; 4-byte Folded Reload
	s_waitcnt vmcnt(0)
	v_add_f32_e32 v31, v31, v4
	scratch_load_b32 v4, off, s32 offset:380 ; 4-byte Folded Reload
	s_waitcnt vmcnt(0)
	v_add_f32_e32 v4, v4, v5
	scratch_store_b32 off, v31, s32 offset:376 ; 4-byte Folded Spill
	v_add_f32_e32 v5, v28, v29
	v_and_b32_e32 v28, 0xffff0000, v61
	v_and_b32_e32 v29, 0xffff0000, v36
	scratch_store_b32 off, v4, s32 offset:380 ; 4-byte Folded Spill
	scratch_load_b32 v4, off, s32 offset:384 ; 4-byte Folded Reload
	s_waitcnt vmcnt(0)
	v_add_f32_e32 v4, v4, v6
	v_and_b32_e32 v6, 0xffff0000, v79
	scratch_store_b32 off, v4, s32 offset:384 ; 4-byte Folded Spill
	v_dual_add_f32 v4, v7, v21 :: v_dual_and_b32 v7, 0xffff0000, v78
	s_delay_alu instid0(VALU_DEP_1) | instskip(SKIP_1) | instid1(VALU_DEP_2)
	v_dual_add_f32 v6, v7, v6 :: v_dual_and_b32 v21, 0xffff0000, v59
	v_and_b32_e32 v7, 0xffff0000, v60
	v_add_f32_e32 v5, v5, v6
	s_delay_alu instid0(VALU_DEP_2) | instskip(SKIP_1) | instid1(VALU_DEP_1)
	v_add_f32_e32 v7, v21, v7
	v_and_b32_e32 v21, 0xffff0000, v62
	v_dual_add_f32 v21, v28, v21 :: v_dual_and_b32 v28, 0xffff0000, v34
	s_delay_alu instid0(VALU_DEP_1) | instskip(NEXT) | instid1(VALU_DEP_2)
	v_dual_add_f32 v6, v7, v21 :: v_dual_and_b32 v7, 0xffff0000, v72
	v_dual_add_f32 v28, v28, v29 :: v_dual_and_b32 v21, 0xffff0000, v63
	v_and_b32_e32 v29, 0xffff0000, v47
	s_delay_alu instid0(VALU_DEP_2) | instskip(SKIP_1) | instid1(VALU_DEP_4)
	v_add_f32_e32 v7, v21, v7
	v_and_b32_e32 v21, 0xffff0000, v88
	v_add_f32_e32 v4, v4, v28
	v_and_b32_e32 v28, 0xffff0000, v44
	s_delay_alu instid0(VALU_DEP_3) | instskip(SKIP_2) | instid1(VALU_DEP_3)
	v_dual_add_f32 v6, v6, v7 :: v_dual_add_f32 v21, v21, v25
	v_and_b32_e32 v7, 0xffff0000, v46
	v_and_b32_e32 v25, 0xffff0000, v45
	v_add_f32_e32 v5, v5, v21
	v_and_b32_e32 v21, 0xffff0000, v41
	s_delay_alu instid0(VALU_DEP_3) | instskip(SKIP_1) | instid1(VALU_DEP_1)
	v_add_f32_e32 v7, v25, v7
	v_and_b32_e32 v25, 0xffff0000, v56
	v_add_f32_e32 v25, v29, v25
	v_and_b32_e32 v29, 0xffff0000, v73
	s_delay_alu instid0(VALU_DEP_2) | instskip(SKIP_1) | instid1(VALU_DEP_3)
	v_add_f32_e32 v7, v7, v25
	v_and_b32_e32 v25, 0xffff0000, v181
	v_dual_add_f32 v16, v16, v29 :: v_dual_and_b32 v29, 0xffff0000, v183
	s_delay_alu instid0(VALU_DEP_3) | instskip(NEXT) | instid1(VALU_DEP_3)
	v_add_f32_e32 v7, v7, v20
	v_add_f32_e32 v24, v25, v24
	v_and_b32_e32 v25, 0xffff0000, v40
	v_and_b32_e32 v20, 0xffff0000, v43
	s_delay_alu instid0(VALU_DEP_2) | instskip(NEXT) | instid1(VALU_DEP_2)
	v_dual_add_f32 v6, v6, v16 :: v_dual_add_f32 v25, v29, v25
	v_dual_add_f32 v20, v21, v20 :: v_dual_and_b32 v21, 0xffff0000, v57
	s_delay_alu instid0(VALU_DEP_2) | instskip(SKIP_1) | instid1(VALU_DEP_2)
	v_add_f32_e32 v16, v24, v25
	v_and_b32_e32 v24, 0xffff0000, v58
	v_dual_add_f32 v16, v16, v20 :: v_dual_and_b32 v25, 0xffff0000, v150
	s_delay_alu instid0(VALU_DEP_2) | instskip(SKIP_1) | instid1(VALU_DEP_1)
	v_dual_add_f32 v21, v21, v24 :: v_dual_and_b32 v20, 0xffff0000, v149
	v_and_b32_e32 v24, 0xffff0000, v148
	v_add_f32_e32 v20, v24, v20
	v_and_b32_e32 v24, 0xffff0000, v151
	s_delay_alu instid0(VALU_DEP_1) | instskip(NEXT) | instid1(VALU_DEP_1)
	v_dual_add_f32 v24, v25, v24 :: v_dual_and_b32 v25, 0xffff0000, v42
	v_add_f32_e32 v25, v25, v28
	scratch_load_b32 v28, off, s32 offset:388 ; 4-byte Folded Reload
	s_waitcnt vmcnt(0)
	v_add_f32_e32 v28, v28, v4
	scratch_load_b32 v4, off, s32 offset:392 ; 4-byte Folded Reload
	s_waitcnt vmcnt(0)
	v_add_f32_e32 v4, v4, v5
	scratch_store_b32 off, v28, s32 offset:388 ; 4-byte Folded Spill
	v_dual_add_f32 v5, v20, v24 :: v_dual_and_b32 v20, 0xffff0000, v177
	v_and_b32_e32 v24, 0xffff0000, v51
	scratch_store_b32 off, v4, s32 offset:392 ; 4-byte Folded Spill
	v_dual_add_f32 v4, v7, v21 :: v_dual_and_b32 v7, 0xffff0000, v178
	v_and_b32_e32 v21, 0xffff0000, v49
	s_delay_alu instid0(VALU_DEP_2) | instskip(NEXT) | instid1(VALU_DEP_1)
	v_dual_add_f32 v7, v20, v7 :: v_dual_and_b32 v20, 0xffff0000, v50
	v_add_f32_e32 v5, v5, v7
	s_delay_alu instid0(VALU_DEP_2) | instskip(SKIP_2) | instid1(VALU_DEP_2)
	v_add_f32_e32 v20, v21, v20
	v_and_b32_e32 v21, 0xffff0000, v144
	v_and_b32_e32 v7, 0xffff0000, v179
	v_dual_add_f32 v21, v24, v21 :: v_dual_and_b32 v24, 0xffff0000, v180
	s_delay_alu instid0(VALU_DEP_1) | instskip(NEXT) | instid1(VALU_DEP_2)
	v_dual_add_f32 v20, v20, v21 :: v_dual_and_b32 v21, 0xffff0000, v146
	v_add_f32_e32 v7, v7, v24
	scratch_load_b32 v24, off, s32 offset:676 ; 4-byte Folded Reload
	v_add_f32_e32 v21, v22, v21
	scratch_load_b32 v22, off, s32 offset:396 ; 4-byte Folded Reload
	s_waitcnt vmcnt(1)
	v_and_b32_e32 v24, 0xffff0000, v24
	s_waitcnt vmcnt(0)
	v_add_f32_e32 v22, v22, v6
	v_add_f32_e32 v6, v16, v25
	s_clause 0x1
	scratch_load_b32 v16, off, s32 offset:400
	scratch_load_b32 v25, off, s32 offset:684
	scratch_store_b32 off, v22, s32 offset:396 ; 4-byte Folded Spill
	scratch_load_b32 v22, off, s32 offset:680 ; 4-byte Folded Reload
	s_waitcnt vmcnt(2)
	v_add_f32_e32 v16, v16, v4
	v_dual_add_f32 v4, v5, v7 :: v_dual_and_b32 v7, 0xffff0000, v101
	v_dual_add_f32 v5, v20, v21 :: v_dual_and_b32 v20, 0xffff0000, v134
	scratch_store_b32 off, v16, s32 offset:400 ; 4-byte Folded Spill
	v_and_b32_e32 v16, 0xffff0000, v133
	v_and_b32_e32 v21, 0xffff0000, v147
	s_waitcnt vmcnt(0)
	v_and_b32_e32 v22, 0xffff0000, v22
	v_and_b32_e32 v11, 0xffff0000, v129
	;; [unrolled: 1-line block ×3, first 2 shown]
	v_add_f32_e32 v7, v16, v7
	v_and_b32_e32 v16, 0xffff0000, v27
	s_delay_alu instid0(VALU_DEP_1) | instskip(NEXT) | instid1(VALU_DEP_1)
	v_add_f32_e32 v16, v20, v16
	v_dual_add_f32 v7, v7, v16 :: v_dual_and_b32 v20, 0xffff0000, v145
	s_delay_alu instid0(VALU_DEP_1) | instskip(SKIP_2) | instid1(VALU_DEP_1)
	v_add_f32_e32 v20, v20, v21
	v_and_b32_e32 v16, 0xffff0000, v52
	v_and_b32_e32 v21, 0xffff0000, v26
	v_dual_add_f32 v16, v21, v16 :: v_dual_and_b32 v21, 0xffff0000, v119
	s_delay_alu instid0(VALU_DEP_1) | instskip(NEXT) | instid1(VALU_DEP_2)
	v_add_f32_e32 v7, v7, v16
	v_add_f32_e32 v9, v21, v9
	scratch_load_b32 v21, off, s32 offset:688 ; 4-byte Folded Reload
	v_and_b32_e32 v16, 0xffff0000, v190
	v_dual_add_f32 v8, v8, v9 :: v_dual_and_b32 v9, 0xffff0000, v130
	s_delay_alu instid0(VALU_DEP_1) | instskip(SKIP_3) | instid1(VALU_DEP_1)
	v_add_f32_e32 v9, v11, v9
	scratch_load_b32 v11, off, s32 offset:404 ; 4-byte Folded Reload
	s_waitcnt vmcnt(1)
	v_and_b32_e32 v21, 0xffff0000, v21
	v_add_f32_e32 v21, v25, v21
	s_waitcnt vmcnt(0)
	v_add_f32_e32 v11, v11, v6
	scratch_load_b32 v6, off, s32 offset:408 ; 4-byte Folded Reload
	s_waitcnt vmcnt(0)
	v_add_f32_e32 v6, v6, v4
	scratch_store_b32 off, v11, s32 offset:404 ; 4-byte Folded Spill
	v_dual_add_f32 v4, v5, v20 :: v_dual_add_f32 v5, v7, v10
	v_and_b32_e32 v7, 0xffff0000, v131
	scratch_store_b32 off, v6, s32 offset:408 ; 4-byte Folded Spill
	v_add_f32_e32 v6, v8, v9
	v_and_b32_e32 v8, 0xffff0000, v132
	v_and_b32_e32 v9, 0xffff0000, v103
	;; [unrolled: 1-line block ×4, first 2 shown]
	scratch_load_b32 v20, off, s32 offset:740 ; 4-byte Folded Reload
	v_add_f32_e32 v7, v7, v8
	v_and_b32_e32 v8, 0xffff0000, v112
	s_delay_alu instid0(VALU_DEP_2) | instskip(NEXT) | instid1(VALU_DEP_2)
	v_add_f32_e32 v6, v6, v7
	v_dual_add_f32 v8, v9, v8 :: v_dual_and_b32 v9, 0xffff0000, v114
	s_delay_alu instid0(VALU_DEP_1) | instskip(SKIP_1) | instid1(VALU_DEP_2)
	v_add_f32_e32 v9, v10, v9
	v_and_b32_e32 v10, 0xffff0000, v189
	v_add_f32_e32 v8, v8, v9
	s_delay_alu instid0(VALU_DEP_2) | instskip(SKIP_1) | instid1(VALU_DEP_2)
	v_dual_add_f32 v10, v11, v10 :: v_dual_and_b32 v11, 0xffff0000, v191
	v_and_b32_e32 v9, 0xffff0000, v116
	v_add_f32_e32 v11, v16, v11
	v_and_b32_e32 v16, 0xffff0000, v115
	s_delay_alu instid0(VALU_DEP_1)
	v_dual_add_f32 v10, v10, v11 :: v_dual_add_f32 v9, v16, v9
	v_and_b32_e32 v11, 0xffff0000, v100
	v_and_b32_e32 v16, 0xffff0000, v19
	scratch_load_b32 v19, off, s32 offset:736 ; 4-byte Folded Reload
	v_add_f32_e32 v7, v8, v9
	v_dual_add_f32 v11, v16, v11 :: v_dual_and_b32 v8, 0xffff0000, v117
	v_and_b32_e32 v9, 0xffff0000, v118
	v_and_b32_e32 v16, 0xffff0000, v172
	s_delay_alu instid0(VALU_DEP_2) | instskip(SKIP_3) | instid1(VALU_DEP_2)
	v_dual_add_f32 v8, v8, v9 :: v_dual_add_f32 v9, v10, v11
	v_and_b32_e32 v10, 0xffff0000, v18
	v_and_b32_e32 v11, 0xffff0000, v102
	;; [unrolled: 1-line block ×3, first 2 shown]
	v_dual_add_f32 v10, v10, v11 :: v_dual_and_b32 v11, 0xffff0000, v173
	s_delay_alu instid0(VALU_DEP_1) | instskip(SKIP_1) | instid1(VALU_DEP_1)
	v_add_f32_e32 v11, v16, v11
	v_and_b32_e32 v16, 0xffff0000, v175
	v_add_f32_e32 v16, v18, v16
	scratch_load_b32 v18, off, s32 offset:412 ; 4-byte Folded Reload
	s_waitcnt vmcnt(2)
	v_and_b32_e32 v20, 0xffff0000, v20
	s_waitcnt vmcnt(0)
	v_dual_add_f32 v18, v18, v4 :: v_dual_and_b32 v19, 0xffff0000, v19
	scratch_load_b32 v4, off, s32 offset:416 ; 4-byte Folded Reload
	s_waitcnt vmcnt(0)
	v_add_f32_e32 v4, v4, v5
	scratch_store_b32 off, v18, s32 offset:412 ; 4-byte Folded Spill
	v_add_f32_e32 v5, v9, v10
	v_and_b32_e32 v9, 0xffff0000, v184
	scratch_load_b32 v18, off, s32 offset:760 ; 4-byte Folded Reload
	scratch_store_b32 off, v4, s32 offset:416 ; 4-byte Folded Spill
	v_add_f32_e32 v4, v7, v8
	v_dual_add_f32 v7, v11, v16 :: v_dual_and_b32 v8, 0xffff0000, v185
	s_clause 0x2
	scratch_load_b32 v11, off, s32 offset:816
	scratch_load_b32 v10, off, s32 offset:808
	;; [unrolled: 1-line block ×3, first 2 shown]
	v_add_f32_e32 v8, v9, v8
	scratch_load_b32 v9, off, s32 offset:812 ; 4-byte Folded Reload
	v_dual_add_f32 v7, v7, v8 :: v_dual_and_b32 v8, 0xffff0000, v186
	s_waitcnt vmcnt(4)
	v_and_b32_e32 v18, 0xffff0000, v18
	s_waitcnt vmcnt(3)
	v_and_b32_e32 v11, 0xffff0000, v11
	;; [unrolled: 2-line block ×5, first 2 shown]
	s_delay_alu instid0(VALU_DEP_1) | instskip(SKIP_3) | instid1(VALU_DEP_1)
	v_add_f32_e32 v9, v10, v9
	scratch_load_b32 v10, off, s32 offset:820 ; 4-byte Folded Reload
	s_waitcnt vmcnt(0)
	v_and_b32_e32 v10, 0xffff0000, v10
	v_dual_add_f32 v10, v11, v10 :: v_dual_and_b32 v11, 0xffff0000, v187
	s_delay_alu instid0(VALU_DEP_1)
	v_dual_add_f32 v9, v9, v10 :: v_dual_add_f32 v8, v8, v11
	s_clause 0x1
	scratch_load_b32 v10, off, s32 offset:832
	scratch_load_b32 v11, off, s32 offset:824
	s_waitcnt vmcnt(1)
	v_and_b32_e32 v10, 0xffff0000, v10
	s_waitcnt vmcnt(0)
	v_and_b32_e32 v11, 0xffff0000, v11
	s_delay_alu instid0(VALU_DEP_1)
	v_add_f32_e32 v10, v11, v10
	scratch_load_b32 v11, off, s32 offset:420 ; 4-byte Folded Reload
	s_waitcnt vmcnt(0)
	v_add_f32_e32 v11, v11, v6
	scratch_load_b32 v6, off, s32 offset:424 ; 4-byte Folded Reload
	scratch_store_b32 off, v11, s32 offset:420 ; 4-byte Folded Spill
	scratch_load_b32 v11, off, s32 offset:752 ; 4-byte Folded Reload
	s_waitcnt vmcnt(1)
	v_add_f32_e32 v6, v6, v4
	scratch_load_b32 v4, off, s32 offset:428 ; 4-byte Folded Reload
	scratch_store_b32 off, v6, s32 offset:424 ; 4-byte Folded Spill
	scratch_load_b32 v6, off, s32 offset:780 ; 4-byte Folded Reload
	s_waitcnt vmcnt(1)
	v_dual_add_f32 v4, v4, v5 :: v_dual_and_b32 v11, 0xffff0000, v11
	v_add_f32_e32 v5, v9, v10
	scratch_load_b32 v9, off, s32 offset:836 ; 4-byte Folded Reload
	scratch_store_b32 off, v4, s32 offset:428 ; 4-byte Folded Spill
	v_add_f32_e32 v4, v7, v8
	s_clause 0x1
	scratch_load_b32 v7, off, s32 offset:776
	scratch_load_b32 v8, off, s32 offset:784
	s_waitcnt vmcnt(3)
	v_and_b32_e32 v6, 0xffff0000, v6
	s_waitcnt vmcnt(2)
	v_and_b32_e32 v9, 0xffff0000, v9
	;; [unrolled: 2-line block ×4, first 2 shown]
	s_delay_alu instid0(VALU_DEP_2) | instskip(SKIP_3) | instid1(VALU_DEP_1)
	v_add_f32_e32 v6, v7, v6
	scratch_load_b32 v7, off, s32 offset:788 ; 4-byte Folded Reload
	s_waitcnt vmcnt(0)
	v_and_b32_e32 v7, 0xffff0000, v7
	v_add_f32_e32 v7, v8, v7
	scratch_load_b32 v8, off, s32 offset:828 ; 4-byte Folded Reload
	v_add_f32_e32 v6, v6, v7
	scratch_load_b32 v7, off, s32 offset:796 ; 4-byte Folded Reload
	s_waitcnt vmcnt(1)
	v_and_b32_e32 v8, 0xffff0000, v8
	s_delay_alu instid0(VALU_DEP_1)
	v_add_f32_e32 v8, v8, v9
	scratch_load_b32 v9, off, s32 offset:792 ; 4-byte Folded Reload
	s_waitcnt vmcnt(1)
	v_and_b32_e32 v7, 0xffff0000, v7
	s_waitcnt vmcnt(0)
	v_and_b32_e32 v9, 0xffff0000, v9
	s_delay_alu instid0(VALU_DEP_1)
	v_add_f32_e32 v7, v9, v7
	scratch_load_b32 v9, off, s32 offset:748 ; 4-byte Folded Reload
	v_add_f32_e32 v6, v6, v7
	s_clause 0x1
	scratch_load_b32 v7, off, s32 offset:800
	scratch_load_b32 v10, off, s32 offset:744
	s_waitcnt vmcnt(2)
	v_and_b32_e32 v9, 0xffff0000, v9
	s_waitcnt vmcnt(1)
	v_and_b32_e32 v7, 0xffff0000, v7
	;; [unrolled: 2-line block ×3, first 2 shown]
	s_delay_alu instid0(VALU_DEP_1) | instskip(SKIP_3) | instid1(VALU_DEP_1)
	v_add_f32_e32 v9, v10, v9
	scratch_load_b32 v10, off, s32 offset:756 ; 4-byte Folded Reload
	s_waitcnt vmcnt(0)
	v_and_b32_e32 v10, 0xffff0000, v10
	v_add_f32_e32 v10, v11, v10
	scratch_load_b32 v11, off, s32 offset:804 ; 4-byte Folded Reload
	v_dual_add_f32 v9, v9, v10 :: v_dual_add_f32 v10, v18, v16
	s_clause 0x1
	scratch_load_b32 v16, off, s32 offset:772
	scratch_load_b32 v18, off, s32 offset:432
	s_waitcnt vmcnt(2)
	v_and_b32_e32 v11, 0xffff0000, v11
	s_delay_alu instid0(VALU_DEP_1)
	v_add_f32_e32 v7, v7, v11
	scratch_load_b32 v11, off, s32 offset:768 ; 4-byte Folded Reload
	s_waitcnt vmcnt(1)
	v_add_f32_e32 v18, v18, v4
	v_add_f32_e32 v4, v5, v8
	scratch_load_b32 v8, off, s32 offset:732 ; 4-byte Folded Reload
	v_dual_add_f32 v5, v6, v7 :: v_dual_add_f32 v6, v9, v10
	scratch_load_b32 v9, off, s32 offset:728 ; 4-byte Folded Reload
	v_and_b32_e32 v16, 0xffff0000, v16
	scratch_load_b32 v10, off, s32 offset:724 ; 4-byte Folded Reload
	scratch_store_b32 off, v18, s32 offset:432 ; 4-byte Folded Spill
	scratch_load_b32 v18, off, s32 offset:712 ; 4-byte Folded Reload
	s_waitcnt vmcnt(4)
	v_and_b32_e32 v11, 0xffff0000, v11
	s_waitcnt vmcnt(3)
	v_and_b32_e32 v8, 0xffff0000, v8
	s_delay_alu instid0(VALU_DEP_2)
	v_add_f32_e32 v7, v11, v16
	s_clause 0x1
	scratch_load_b32 v11, off, s32 offset:720
	scratch_load_b32 v16, off, s32 offset:716
	s_waitcnt vmcnt(4)
	v_and_b32_e32 v9, 0xffff0000, v9
	s_waitcnt vmcnt(3)
	v_and_b32_e32 v10, 0xffff0000, v10
	v_add_f32_e32 v6, v6, v7
	s_delay_alu instid0(VALU_DEP_3)
	v_add_f32_e32 v8, v9, v8
	scratch_load_b32 v9, off, s32 offset:704 ; 4-byte Folded Reload
	s_waitcnt vmcnt(2)
	v_and_b32_e32 v11, 0xffff0000, v11
	s_waitcnt vmcnt(1)
	v_and_b32_e32 v16, 0xffff0000, v16
	s_delay_alu instid0(VALU_DEP_2) | instskip(SKIP_2) | instid1(VALU_DEP_1)
	v_add_f32_e32 v10, v11, v10
	scratch_load_b32 v11, off, s32 offset:700 ; 4-byte Folded Reload
	v_and_b32_e32 v18, 0xffff0000, v18
	v_add_f32_e32 v16, v18, v16
	v_add_f32_e32 v18, v24, v22
	scratch_load_b32 v22, off, s32 offset:692 ; 4-byte Folded Reload
	v_add_f32_e32 v10, v16, v10
	v_add_f32_e32 v16, v18, v21
	s_clause 0x1
	scratch_load_b32 v18, off, s32 offset:708
	scratch_load_b32 v21, off, s32 offset:484
	v_add_f32_e32 v7, v10, v8
	v_add_f32_e32 v8, v19, v20
	s_clause 0x1
	scratch_load_b32 v19, off, s32 offset:612
	scratch_load_b32 v20, off, s32 offset:620
	s_waitcnt vmcnt(5)
	v_and_b32_e32 v11, 0xffff0000, v11
	s_waitcnt vmcnt(4)
	v_and_b32_e32 v22, 0xffff0000, v22
	s_delay_alu instid0(VALU_DEP_1)
	v_add_f32_e32 v11, v22, v11
	scratch_load_b32 v22, off, s32 offset:508 ; 4-byte Folded Reload
	s_waitcnt vmcnt(3)
	v_dual_add_f32 v10, v16, v11 :: v_dual_and_b32 v21, 0xffff0000, v21
	s_clause 0x1
	scratch_load_b32 v11, off, s32 offset:436
	scratch_load_b32 v16, off, s32 offset:668
	v_and_b32_e32 v18, 0xffff0000, v18
	s_waitcnt vmcnt(3)
	v_and_b32_e32 v20, 0xffff0000, v20
	v_and_b32_e32 v19, 0xffff0000, v19
	s_waitcnt vmcnt(1)
	v_dual_add_f32 v11, v11, v4 :: v_dual_and_b32 v22, 0xffff0000, v22
	scratch_load_b32 v4, off, s32 offset:440 ; 4-byte Folded Reload
	s_waitcnt vmcnt(1)
	v_and_b32_e32 v16, 0xffff0000, v16
	scratch_store_b32 off, v11, s32 offset:436 ; 4-byte Folded Spill
	scratch_load_b32 v11, off, s32 offset:660 ; 4-byte Folded Reload
	v_and_b32_e32 v9, 0xffff0000, v9
	s_delay_alu instid0(VALU_DEP_1)
	v_add_f32_e32 v9, v9, v18
	scratch_load_b32 v18, off, s32 offset:672 ; 4-byte Folded Reload
	s_waitcnt vmcnt(2)
	v_add_f32_e32 v4, v4, v5
	v_add_f32_e32 v5, v10, v9
	s_clause 0x2
	scratch_load_b32 v9, off, s32 offset:644
	scratch_load_b32 v10, off, s32 offset:652
	;; [unrolled: 1-line block ×3, first 2 shown]
	scratch_store_b32 off, v4, s32 offset:440 ; 4-byte Folded Spill
	scratch_load_b32 v4, off, s32 offset:444 ; 4-byte Folded Reload
	s_waitcnt vmcnt(5)
	v_and_b32_e32 v11, 0xffff0000, v11
	s_waitcnt vmcnt(4)
	v_and_b32_e32 v18, 0xffff0000, v18
	;; [unrolled: 2-line block ×5, first 2 shown]
	s_waitcnt vmcnt(0)
	v_add_f32_e32 v4, v4, v6
	scratch_load_b32 v6, off, s32 offset:664 ; 4-byte Folded Reload
	scratch_store_b32 off, v4, s32 offset:444 ; 4-byte Folded Spill
	v_add_f32_e32 v4, v7, v8
	s_clause 0x1
	scratch_load_b32 v7, off, s32 offset:656
	scratch_load_b32 v8, off, s32 offset:648
	s_waitcnt vmcnt(1)
	v_and_b32_e32 v7, 0xffff0000, v7
	s_waitcnt vmcnt(0)
	s_delay_alu instid0(VALU_DEP_1) | instskip(NEXT) | instid1(VALU_DEP_1)
	v_dual_add_f32 v7, v10, v7 :: v_dual_and_b32 v8, 0xffff0000, v8
	v_add_f32_e32 v8, v9, v8
	scratch_load_b32 v9, off, s32 offset:624 ; 4-byte Folded Reload
	v_add_f32_e32 v7, v8, v7
	scratch_load_b32 v8, off, s32 offset:632 ; 4-byte Folded Reload
	v_and_b32_e32 v6, 0xffff0000, v6
	s_delay_alu instid0(VALU_DEP_1)
	v_add_f32_e32 v6, v11, v6
	s_clause 0x1
	scratch_load_b32 v11, off, s32 offset:628
	scratch_load_b32 v10, off, s32 offset:616
	v_add_f32_e32 v6, v7, v6
	v_add_f32_e32 v7, v16, v18
	s_clause 0x1
	scratch_load_b32 v18, off, s32 offset:516
	scratch_load_b32 v16, off, s32 offset:636
	s_waitcnt vmcnt(5)
	v_and_b32_e32 v9, 0xffff0000, v9
	s_waitcnt vmcnt(4)
	s_delay_alu instid0(VALU_DEP_1)
	v_dual_add_f32 v9, v20, v9 :: v_dual_and_b32 v8, 0xffff0000, v8
	scratch_load_b32 v20, off, s32 offset:572 ; 4-byte Folded Reload
	s_waitcnt vmcnt(4)
	v_and_b32_e32 v11, 0xffff0000, v11
	s_waitcnt vmcnt(3)
	v_and_b32_e32 v10, 0xffff0000, v10
	s_delay_alu instid0(VALU_DEP_2) | instskip(SKIP_3) | instid1(VALU_DEP_1)
	v_add_f32_e32 v8, v11, v8
	scratch_load_b32 v11, off, s32 offset:448 ; 4-byte Folded Reload
	v_add_f32_e32 v10, v19, v10
	s_waitcnt vmcnt(3)
	v_dual_add_f32 v9, v10, v9 :: v_dual_and_b32 v18, 0xffff0000, v18
	s_clause 0x1
	scratch_load_b32 v10, off, s32 offset:640
	scratch_load_b32 v19, off, s32 offset:524
	s_waitcnt vmcnt(4)
	v_and_b32_e32 v16, 0xffff0000, v16
	s_waitcnt vmcnt(3)
	v_and_b32_e32 v20, 0xffff0000, v20
	s_waitcnt vmcnt(2)
	v_add_f32_e32 v11, v11, v4
	scratch_load_b32 v4, off, s32 offset:452 ; 4-byte Folded Reload
	scratch_store_b32 off, v11, s32 offset:448 ; 4-byte Folded Spill
	scratch_load_b32 v11, off, s32 offset:456 ; 4-byte Folded Reload
	s_waitcnt vmcnt(3)
	v_and_b32_e32 v10, 0xffff0000, v10
	s_waitcnt vmcnt(1)
	v_dual_add_f32 v4, v4, v5 :: v_dual_and_b32 v19, 0xffff0000, v19
	v_add_f32_e32 v5, v9, v8
	scratch_load_b32 v8, off, s32 offset:584 ; 4-byte Folded Reload
	scratch_store_b32 off, v4, s32 offset:452 ; 4-byte Folded Spill
	v_add_f32_e32 v4, v6, v7
	v_add_f32_e32 v6, v16, v10
	s_clause 0x1
	scratch_load_b32 v7, off, s32 offset:592
	scratch_load_b32 v16, off, s32 offset:564
	s_waitcnt vmcnt(3)
	v_dual_add_f32 v11, v11, v4 :: v_dual_add_f32 v4, v5, v6
	s_clause 0x2
	scratch_load_b32 v5, off, s32 offset:600
	scratch_load_b32 v10, off, s32 offset:588
	;; [unrolled: 1-line block ×3, first 2 shown]
	scratch_store_b32 off, v11, s32 offset:456 ; 4-byte Folded Spill
	scratch_load_b32 v11, off, s32 offset:556 ; 4-byte Folded Reload
	s_waitcnt vmcnt(6)
	v_and_b32_e32 v8, 0xffff0000, v8
	s_waitcnt vmcnt(5)
	v_and_b32_e32 v7, 0xffff0000, v7
	;; [unrolled: 2-line block ×7, first 2 shown]
	s_delay_alu instid0(VALU_DEP_2)
	v_dual_add_f32 v7, v10, v7 :: v_dual_add_f32 v6, v9, v8
	s_clause 0x2
	scratch_load_b32 v8, off, s32 offset:596
	scratch_load_b32 v10, off, s32 offset:548
	;; [unrolled: 1-line block ×3, first 2 shown]
	v_add_f32_e32 v6, v6, v7
	scratch_load_b32 v7, off, s32 offset:560 ; 4-byte Folded Reload
	s_waitcnt vmcnt(3)
	v_and_b32_e32 v8, 0xffff0000, v8
	s_waitcnt vmcnt(2)
	s_delay_alu instid0(VALU_DEP_1)
	v_dual_add_f32 v5, v8, v5 :: v_dual_and_b32 v10, 0xffff0000, v10
	scratch_load_b32 v8, off, s32 offset:552 ; 4-byte Folded Reload
	s_waitcnt vmcnt(1)
	v_and_b32_e32 v7, 0xffff0000, v7
	v_add_f32_e32 v5, v6, v5
	scratch_load_b32 v6, off, s32 offset:568 ; 4-byte Folded Reload
	s_waitcnt vmcnt(1)
	v_dual_add_f32 v7, v11, v7 :: v_dual_and_b32 v8, 0xffff0000, v8
	s_waitcnt vmcnt(0)
	v_and_b32_e32 v6, 0xffff0000, v6
	s_delay_alu instid0(VALU_DEP_2)
	v_add_f32_e32 v8, v10, v8
	scratch_load_b32 v10, off, s32 offset:528 ; 4-byte Folded Reload
	v_add_f32_e32 v6, v16, v6
	scratch_load_b32 v16, off, s32 offset:576 ; 4-byte Folded Reload
	v_add_f32_e32 v7, v8, v7
	s_clause 0x1
	scratch_load_b32 v8, off, s32 offset:536
	scratch_load_b32 v11, off, s32 offset:520
	v_add_f32_e32 v6, v7, v6
	s_waitcnt vmcnt(3)
	v_and_b32_e32 v10, 0xffff0000, v10
	s_waitcnt vmcnt(2)
	v_and_b32_e32 v16, 0xffff0000, v16
	s_delay_alu instid0(VALU_DEP_2)
	v_add_f32_e32 v10, v19, v10
	s_waitcnt vmcnt(1)
	v_and_b32_e32 v8, 0xffff0000, v8
	scratch_load_b32 v19, off, s32 offset:492 ; 4-byte Folded Reload
	v_add_f32_e32 v7, v20, v16
	scratch_load_b32 v16, off, s32 offset:500 ; 4-byte Folded Reload
	s_waitcnt vmcnt(2)
	v_and_b32_e32 v11, 0xffff0000, v11
	scratch_load_b32 v20, off, s32 offset:488 ; 4-byte Folded Reload
	v_add_f32_e32 v11, v18, v11
	scratch_load_b32 v18, off, s32 offset:532 ; 4-byte Folded Reload
	s_waitcnt vmcnt(3)
	v_and_b32_e32 v19, 0xffff0000, v19
	s_waitcnt vmcnt(1)
	v_and_b32_e32 v20, 0xffff0000, v20
	;; [unrolled: 2-line block ×3, first 2 shown]
	s_delay_alu instid0(VALU_DEP_2) | instskip(NEXT) | instid1(VALU_DEP_2)
	v_add_f32_e32 v20, v21, v20
	v_add_f32_e32 v8, v18, v8
	scratch_load_b32 v18, off, s32 offset:496 ; 4-byte Folded Reload
	v_add_f32_e32 v9, v9, v4
	scratch_load_b32 v4, off, s32 offset:604 ; 4-byte Folded Reload
	v_and_b32_e32 v16, 0xffff0000, v16
	s_waitcnt vmcnt(1)
	v_and_b32_e32 v18, 0xffff0000, v18
	scratch_store_b32 off, v9, s32 offset:460 ; 4-byte Folded Spill
	scratch_load_b32 v9, off, s32 offset:608 ; 4-byte Folded Reload
	s_waitcnt vmcnt(1)
	v_and_b32_e32 v4, 0xffff0000, v4
	v_dual_add_f32 v18, v19, v18 :: v_dual_and_b32 v19, 0xffff0000, v160
	s_delay_alu instid0(VALU_DEP_1) | instskip(NEXT) | instid1(VALU_DEP_2)
	v_add_f32_e32 v3, v20, v18
	v_dual_add_f32 v1, v2, v19 :: v_dual_and_b32 v2, 0xffff0000, v162
	s_delay_alu instid0(VALU_DEP_1) | instskip(NEXT) | instid1(VALU_DEP_2)
	v_add_f32_e32 v0, v0, v1
	v_add_f32_e32 v1, v12, v2
	s_delay_alu instid0(VALU_DEP_1) | instskip(NEXT) | instid1(VALU_DEP_1)
	v_add_f32_e32 v0, v0, v1
	v_add_f32_e32 v171, v171, v0
	s_waitcnt vmcnt(0)
	v_and_b32_e32 v9, 0xffff0000, v9
	s_delay_alu instid0(VALU_DEP_1)
	v_dual_add_f32 v4, v4, v9 :: v_dual_add_f32 v9, v11, v10
	s_clause 0x1
	scratch_load_b32 v11, off, s32 offset:544
	scratch_load_b32 v10, off, s32 offset:540
	v_add_f32_e32 v2, v5, v4
	v_add_f32_e32 v8, v9, v8
	scratch_load_b32 v9, off, s32 offset:504 ; 4-byte Folded Reload
	v_add_f32_e32 v4, v6, v7
	s_clause 0x1
	scratch_load_b32 v6, off, s32 offset:468
	scratch_load_b32 v7, off, s32 offset:472
	s_waitcnt vmcnt(4)
	v_and_b32_e32 v11, 0xffff0000, v11
	s_waitcnt vmcnt(2)
	v_and_b32_e32 v9, 0xffff0000, v9
	s_delay_alu instid0(VALU_DEP_1) | instskip(NEXT) | instid1(VALU_DEP_1)
	v_add_f32_e32 v9, v16, v9
	v_add_f32_e32 v3, v3, v9
	;; [unrolled: 1-line block ×3, first 2 shown]
	s_delay_alu instid0(VALU_DEP_1) | instskip(SKIP_2) | instid1(VALU_DEP_1)
	v_add_f32_e32 v3, v3, v9
	scratch_load_b32 v9, off, s32 offset:480 ; 4-byte Folded Reload
	v_and_b32_e32 v10, 0xffff0000, v10
	v_add_f32_e32 v10, v10, v11
	s_delay_alu instid0(VALU_DEP_1)
	v_add_f32_e32 v5, v8, v10
	scratch_load_b32 v8, off, s32 offset:476 ; 4-byte Folded Reload
	s_waitcnt vmcnt(2)
	v_dual_add_f32 v6, v6, v2 :: v_dual_add_f32 v7, v7, v4
	s_waitcnt vmcnt(0)
	v_dual_add_f32 v9, v9, v5 :: v_dual_add_f32 v8, v8, v3
.LBB450_3109:                           ;   in Loop: Header=BB450_3110 Depth=1
	s_or_b32 exec_lo, exec_lo, s22
	scratch_load_b32 v0, off, s32 offset:340 ; 4-byte Folded Reload
	v_add_nc_u32_e32 v17, 4, v17
	v_add_co_u32 v14, s1, v14, 16
	s_delay_alu instid0(VALU_DEP_1)
	v_add_co_ci_u32_e64 v15, s1, 0, v15, s1
	v_add_nc_u32_e32 v23, 0x80, v23
	v_add_nc_u32_e32 v135, 0x200, v135
	s_waitcnt vmcnt(0)
	v_cmp_ge_i32_e32 vcc_lo, v17, v0
	s_or_b32 s21, vcc_lo, s21
	s_delay_alu instid0(SALU_CYCLE_1)
	s_and_not1_b32 exec_lo, exec_lo, s21
	s_cbranch_execz .LBB450_7303
.LBB450_3110:                           ; =>This Inner Loop Header: Depth=1
	s_clause 0x1
	scratch_load_b32 v1, off, s32 offset:344
	scratch_load_b32 v4, off, s32 offset:336
	v_sub_nc_u32_e32 v0, 0, v23
	s_delay_alu instid0(VALU_DEP_1) | instskip(SKIP_1) | instid1(VALU_DEP_1)
	v_max_i32_e32 v0, v23, v0
	s_waitcnt vmcnt(1)
	v_mul_hi_u32 v1, v0, v1
	s_delay_alu instid0(VALU_DEP_1) | instskip(NEXT) | instid1(VALU_DEP_1)
	v_mul_lo_u32 v2, v1, v48
	v_sub_nc_u32_e32 v0, v0, v2
	v_add_nc_u32_e32 v2, 1, v1
	s_delay_alu instid0(VALU_DEP_2) | instskip(SKIP_1) | instid1(VALU_DEP_2)
	v_sub_nc_u32_e32 v3, v0, v48
	v_cmp_ge_u32_e32 vcc_lo, v0, v48
	v_dual_cndmask_b32 v1, v1, v2 :: v_dual_cndmask_b32 v0, v0, v3
	v_ashrrev_i32_e32 v2, 31, v23
	s_delay_alu instid0(VALU_DEP_2) | instskip(NEXT) | instid1(VALU_DEP_3)
	v_add_nc_u32_e32 v3, 1, v1
	v_cmp_ge_u32_e32 vcc_lo, v0, v48
	s_waitcnt vmcnt(0)
	s_delay_alu instid0(VALU_DEP_3) | instskip(NEXT) | instid1(VALU_DEP_3)
	v_xor_b32_e32 v2, v2, v4
	v_cndmask_b32_e32 v0, v1, v3, vcc_lo
	scratch_load_b32 v3, off, s32 offset:464 ; 4-byte Folded Reload
	v_xor_b32_e32 v0, v0, v2
	s_delay_alu instid0(VALU_DEP_1) | instskip(SKIP_3) | instid1(VALU_DEP_1)
	v_sub_nc_u32_e32 v0, v0, v2
	scratch_load_b64 v[1:2], off, s32 offset:328 ; 8-byte Folded Reload
	s_waitcnt vmcnt(0)
	v_add_nc_u32_e32 v1, v0, v1
	v_sub_nc_u32_e32 v2, 0, v1
	s_delay_alu instid0(VALU_DEP_1) | instskip(NEXT) | instid1(VALU_DEP_1)
	v_max_i32_e32 v2, v1, v2
	v_mul_hi_u32 v3, v2, v3
	s_delay_alu instid0(VALU_DEP_1) | instskip(NEXT) | instid1(VALU_DEP_1)
	v_mul_lo_u32 v3, v3, v30
	v_sub_nc_u32_e32 v2, v2, v3
	s_delay_alu instid0(VALU_DEP_1) | instskip(SKIP_1) | instid1(VALU_DEP_2)
	v_sub_nc_u32_e32 v3, v2, v30
	v_cmp_ge_u32_e32 vcc_lo, v2, v30
	v_cndmask_b32_e32 v2, v2, v3, vcc_lo
	v_ashrrev_i32_e32 v1, 31, v1
	s_delay_alu instid0(VALU_DEP_2) | instskip(SKIP_1) | instid1(VALU_DEP_2)
	v_sub_nc_u32_e32 v3, v2, v30
	v_cmp_ge_u32_e32 vcc_lo, v2, v30
	v_cndmask_b32_e32 v2, v2, v3, vcc_lo
	s_delay_alu instid0(VALU_DEP_1) | instskip(NEXT) | instid1(VALU_DEP_1)
	v_xor_b32_e32 v2, v2, v1
	v_sub_nc_u32_e32 v1, v2, v1
	s_delay_alu instid0(VALU_DEP_1) | instskip(SKIP_3) | instid1(VALU_DEP_1)
	v_cmp_eq_u32_e32 vcc_lo, 0, v1
	scratch_load_b32 v1, off, s32 offset:348 ; 4-byte Folded Reload
	s_waitcnt vmcnt(0)
	v_cmp_gt_i32_e64 s1, v0, v1
	s_or_b32 s1, vcc_lo, s1
	s_delay_alu instid0(SALU_CYCLE_1)
	s_and_saveexec_b32 s22, s1
	s_cbranch_execz .LBB450_3109
; %bb.3111:                             ;   in Loop: Header=BB450_3110 Depth=1
	s_clause 0x3
	scratch_store_b32 off, v9, s32 offset:480
	scratch_store_b32 off, v8, s32 offset:476
	;; [unrolled: 1-line block ×4, first 2 shown]
	flat_load_b32 v12, v[14:15]
	ds_load_2addr_b64 v[6:9], v135 offset1:1
	ds_load_2addr_b64 v[0:3], v135 offset0:2 offset1:3
	s_mov_b32 s1, exec_lo
                                        ; implicit-def: $vgpr20
	s_waitcnt lgkmcnt(1)
	v_and_b32_e32 v4, 0x7f800000, v6
	s_delay_alu instid0(VALU_DEP_1)
	v_cmpx_ne_u32_e32 0x7f800000, v4
	s_xor_b32 s1, exec_lo, s1
; %bb.3112:                             ;   in Loop: Header=BB450_3110 Depth=1
	v_bfe_u32 v4, v6, 16, 1
	s_delay_alu instid0(VALU_DEP_1)
	v_add3_u32 v20, v6, v4, 0x7fff
; %bb.3113:                             ;   in Loop: Header=BB450_3110 Depth=1
	s_and_not1_saveexec_b32 s1, s1
; %bb.3114:                             ;   in Loop: Header=BB450_3110 Depth=1
	v_and_b32_e32 v4, 0xffff, v6
	v_or_b32_e32 v5, 0x10000, v6
	s_delay_alu instid0(VALU_DEP_2) | instskip(NEXT) | instid1(VALU_DEP_2)
	v_cmp_eq_u32_e32 vcc_lo, 0, v4
	v_cndmask_b32_e32 v20, v5, v6, vcc_lo
; %bb.3115:                             ;   in Loop: Header=BB450_3110 Depth=1
	s_or_b32 exec_lo, exec_lo, s1
	v_and_b32_e32 v4, 0x7f800000, v7
	s_mov_b32 s1, exec_lo
                                        ; implicit-def: $vgpr19
	s_delay_alu instid0(VALU_DEP_1)
	v_cmpx_ne_u32_e32 0x7f800000, v4
	s_xor_b32 s1, exec_lo, s1
; %bb.3116:                             ;   in Loop: Header=BB450_3110 Depth=1
	v_bfe_u32 v4, v7, 16, 1
	s_delay_alu instid0(VALU_DEP_1)
	v_add3_u32 v19, v7, v4, 0x7fff
; %bb.3117:                             ;   in Loop: Header=BB450_3110 Depth=1
	s_and_not1_saveexec_b32 s1, s1
; %bb.3118:                             ;   in Loop: Header=BB450_3110 Depth=1
	v_and_b32_e32 v4, 0xffff, v7
	v_or_b32_e32 v5, 0x10000, v7
	s_delay_alu instid0(VALU_DEP_2) | instskip(NEXT) | instid1(VALU_DEP_2)
	v_cmp_eq_u32_e32 vcc_lo, 0, v4
	v_cndmask_b32_e32 v19, v5, v7, vcc_lo
; %bb.3119:                             ;   in Loop: Header=BB450_3110 Depth=1
	s_or_b32 exec_lo, exec_lo, s1
	v_and_b32_e32 v4, 0x7f800000, v8
	s_mov_b32 s1, exec_lo
                                        ; implicit-def: $vgpr18
	s_delay_alu instid0(VALU_DEP_1)
	v_cmpx_ne_u32_e32 0x7f800000, v4
	s_xor_b32 s1, exec_lo, s1
; %bb.3120:                             ;   in Loop: Header=BB450_3110 Depth=1
	v_bfe_u32 v4, v8, 16, 1
	s_delay_alu instid0(VALU_DEP_1)
	v_add3_u32 v18, v8, v4, 0x7fff
; %bb.3121:                             ;   in Loop: Header=BB450_3110 Depth=1
	s_and_not1_saveexec_b32 s1, s1
; %bb.3122:                             ;   in Loop: Header=BB450_3110 Depth=1
	v_and_b32_e32 v4, 0xffff, v8
	v_or_b32_e32 v5, 0x10000, v8
	s_delay_alu instid0(VALU_DEP_2) | instskip(NEXT) | instid1(VALU_DEP_2)
	v_cmp_eq_u32_e32 vcc_lo, 0, v4
	v_cndmask_b32_e32 v18, v5, v8, vcc_lo
; %bb.3123:                             ;   in Loop: Header=BB450_3110 Depth=1
	s_or_b32 exec_lo, exec_lo, s1
	v_and_b32_e32 v4, 0x7f800000, v9
	s_mov_b32 s1, exec_lo
                                        ; implicit-def: $vgpr16
	s_delay_alu instid0(VALU_DEP_1)
	v_cmpx_ne_u32_e32 0x7f800000, v4
	s_xor_b32 s1, exec_lo, s1
; %bb.3124:                             ;   in Loop: Header=BB450_3110 Depth=1
	v_bfe_u32 v4, v9, 16, 1
	s_delay_alu instid0(VALU_DEP_1)
	v_add3_u32 v16, v9, v4, 0x7fff
                                        ; implicit-def: $vgpr6_vgpr7_vgpr8_vgpr9
; %bb.3125:                             ;   in Loop: Header=BB450_3110 Depth=1
	s_and_not1_saveexec_b32 s1, s1
; %bb.3126:                             ;   in Loop: Header=BB450_3110 Depth=1
	v_and_b32_e32 v4, 0xffff, v9
	v_or_b32_e32 v5, 0x10000, v9
	s_delay_alu instid0(VALU_DEP_2) | instskip(NEXT) | instid1(VALU_DEP_2)
	v_cmp_eq_u32_e32 vcc_lo, 0, v4
	v_cndmask_b32_e32 v16, v5, v9, vcc_lo
; %bb.3127:                             ;   in Loop: Header=BB450_3110 Depth=1
	s_or_b32 exec_lo, exec_lo, s1
	s_waitcnt lgkmcnt(0)
	v_and_b32_e32 v4, 0x7f800000, v0
	s_mov_b32 s1, exec_lo
                                        ; implicit-def: $vgpr11
	s_delay_alu instid0(VALU_DEP_1)
	v_cmpx_ne_u32_e32 0x7f800000, v4
	s_xor_b32 s1, exec_lo, s1
; %bb.3128:                             ;   in Loop: Header=BB450_3110 Depth=1
	v_bfe_u32 v4, v0, 16, 1
	s_delay_alu instid0(VALU_DEP_1)
	v_add3_u32 v11, v0, v4, 0x7fff
; %bb.3129:                             ;   in Loop: Header=BB450_3110 Depth=1
	s_and_not1_saveexec_b32 s1, s1
; %bb.3130:                             ;   in Loop: Header=BB450_3110 Depth=1
	v_and_b32_e32 v4, 0xffff, v0
	v_or_b32_e32 v5, 0x10000, v0
	s_delay_alu instid0(VALU_DEP_2) | instskip(NEXT) | instid1(VALU_DEP_2)
	v_cmp_eq_u32_e32 vcc_lo, 0, v4
	v_cndmask_b32_e32 v11, v5, v0, vcc_lo
; %bb.3131:                             ;   in Loop: Header=BB450_3110 Depth=1
	s_or_b32 exec_lo, exec_lo, s1
	v_and_b32_e32 v0, 0x7f800000, v1
	s_mov_b32 s1, exec_lo
                                        ; implicit-def: $vgpr10
	s_delay_alu instid0(VALU_DEP_1)
	v_cmpx_ne_u32_e32 0x7f800000, v0
	s_xor_b32 s1, exec_lo, s1
; %bb.3132:                             ;   in Loop: Header=BB450_3110 Depth=1
	v_bfe_u32 v0, v1, 16, 1
	s_delay_alu instid0(VALU_DEP_1)
	v_add3_u32 v10, v1, v0, 0x7fff
; %bb.3133:                             ;   in Loop: Header=BB450_3110 Depth=1
	s_and_not1_saveexec_b32 s1, s1
; %bb.3134:                             ;   in Loop: Header=BB450_3110 Depth=1
	v_and_b32_e32 v0, 0xffff, v1
	v_or_b32_e32 v4, 0x10000, v1
	s_delay_alu instid0(VALU_DEP_2) | instskip(NEXT) | instid1(VALU_DEP_2)
	v_cmp_eq_u32_e32 vcc_lo, 0, v0
	v_cndmask_b32_e32 v10, v4, v1, vcc_lo
; %bb.3135:                             ;   in Loop: Header=BB450_3110 Depth=1
	s_or_b32 exec_lo, exec_lo, s1
	v_and_b32_e32 v0, 0x7f800000, v2
	s_mov_b32 s1, exec_lo
                                        ; implicit-def: $vgpr5
	s_delay_alu instid0(VALU_DEP_1)
	v_cmpx_ne_u32_e32 0x7f800000, v0
	s_xor_b32 s1, exec_lo, s1
; %bb.3136:                             ;   in Loop: Header=BB450_3110 Depth=1
	v_bfe_u32 v0, v2, 16, 1
	s_delay_alu instid0(VALU_DEP_1)
	v_add3_u32 v5, v2, v0, 0x7fff
; %bb.3137:                             ;   in Loop: Header=BB450_3110 Depth=1
	s_and_not1_saveexec_b32 s1, s1
; %bb.3138:                             ;   in Loop: Header=BB450_3110 Depth=1
	v_and_b32_e32 v0, 0xffff, v2
	v_or_b32_e32 v1, 0x10000, v2
	s_delay_alu instid0(VALU_DEP_2) | instskip(NEXT) | instid1(VALU_DEP_2)
	v_cmp_eq_u32_e32 vcc_lo, 0, v0
	v_cndmask_b32_e32 v5, v1, v2, vcc_lo
; %bb.3139:                             ;   in Loop: Header=BB450_3110 Depth=1
	s_or_b32 exec_lo, exec_lo, s1
	v_and_b32_e32 v0, 0x7f800000, v3
	s_mov_b32 s1, exec_lo
                                        ; implicit-def: $vgpr4
	s_delay_alu instid0(VALU_DEP_1)
	v_cmpx_ne_u32_e32 0x7f800000, v0
	s_xor_b32 s1, exec_lo, s1
; %bb.3140:                             ;   in Loop: Header=BB450_3110 Depth=1
	v_bfe_u32 v0, v3, 16, 1
	s_delay_alu instid0(VALU_DEP_1)
	v_add3_u32 v4, v3, v0, 0x7fff
                                        ; implicit-def: $vgpr0_vgpr1_vgpr2_vgpr3
; %bb.3141:                             ;   in Loop: Header=BB450_3110 Depth=1
	s_and_not1_saveexec_b32 s1, s1
; %bb.3142:                             ;   in Loop: Header=BB450_3110 Depth=1
	v_and_b32_e32 v0, 0xffff, v3
	v_or_b32_e32 v1, 0x10000, v3
	s_delay_alu instid0(VALU_DEP_2) | instskip(NEXT) | instid1(VALU_DEP_2)
	v_cmp_eq_u32_e32 vcc_lo, 0, v0
	v_cndmask_b32_e32 v4, v1, v3, vcc_lo
; %bb.3143:                             ;   in Loop: Header=BB450_3110 Depth=1
	s_or_b32 exec_lo, exec_lo, s1
	s_clause 0x1
	scratch_load_b32 v2, off, s32 offset:352
	scratch_load_b64 v[6:7], off, s32 offset:856
	s_mov_b32 s1, exec_lo
	s_waitcnt vmcnt(0)
	v_mad_i64_i32 v[0:1], null, v12, v2, v[6:7]
	scratch_load_b32 v2, off, s32 offset:872 ; 4-byte Folded Reload
	s_waitcnt vmcnt(0)
	v_add_co_u32 v2, vcc_lo, v0, v2
	v_add_co_ci_u32_e32 v3, vcc_lo, 0, v1, vcc_lo
	flat_load_b64 v[6:7], v[2:3]
	scratch_load_b64 v[8:9], off, s32 offset:844 ; 8-byte Folded Reload
	s_waitcnt vmcnt(0)
	flat_load_b32 v160, v[8:9]
	s_waitcnt lgkmcnt(1)
	v_dual_mov_b32 v8, 0 :: v_dual_and_b32 v9, 0xff, v6
	s_delay_alu instid0(VALU_DEP_1)
	v_cmpx_ne_u16_e32 0, v9
	s_cbranch_execz .LBB450_3151
; %bb.3144:                             ;   in Loop: Header=BB450_3110 Depth=1
	v_bfrev_b32_e32 v8, 1
	s_mov_b32 s2, exec_lo
	v_cmpx_ne_u16_e32 0x80, v9
	s_cbranch_execz .LBB450_3150
; %bb.3145:                             ;   in Loop: Header=BB450_3110 Depth=1
	v_and_b32_e32 v9, 0x7f, v6
	v_mov_b32_e32 v8, 0x7f800001
	s_mov_b32 s3, exec_lo
	s_delay_alu instid0(VALU_DEP_2)
	v_cmpx_ne_u32_e32 0x7f, v9
	s_cbranch_execz .LBB450_3149
; %bb.3146:                             ;   in Loop: Header=BB450_3110 Depth=1
	v_lshrrev_b32_e32 v12, 3, v9
	v_cmp_gt_u32_e32 vcc_lo, 8, v9
	v_dual_mov_b32 v9, v7 :: v_dual_mov_b32 v8, v6
	s_and_saveexec_b32 s4, vcc_lo
; %bb.3147:                             ;   in Loop: Header=BB450_3110 Depth=1
	v_and_b32_e32 v8, 7, v6
	s_delay_alu instid0(VALU_DEP_1) | instskip(NEXT) | instid1(VALU_DEP_1)
	v_clz_i32_u32_e32 v8, v8
	v_min_u32_e32 v12, 32, v8
	s_delay_alu instid0(VALU_DEP_1) | instskip(SKIP_1) | instid1(VALU_DEP_2)
	v_subrev_nc_u32_e32 v8, 28, v12
	v_sub_nc_u32_e32 v12, 29, v12
	v_lshlrev_b64 v[8:9], v8, v[6:7]
; %bb.3148:                             ;   in Loop: Header=BB450_3110 Depth=1
	s_or_b32 exec_lo, exec_lo, s4
	s_delay_alu instid0(VALU_DEP_1) | instskip(SKIP_2) | instid1(VALU_DEP_3)
	v_lshlrev_b32_e32 v8, 20, v8
	v_lshlrev_b32_e32 v9, 24, v6
	v_lshl_add_u32 v12, v12, 23, 0x3c000000
	v_and_b32_e32 v8, 0x700000, v8
	s_delay_alu instid0(VALU_DEP_3) | instskip(NEXT) | instid1(VALU_DEP_1)
	v_and_b32_e32 v9, 0x80000000, v9
	v_or3_b32 v8, v8, v9, v12
.LBB450_3149:                           ;   in Loop: Header=BB450_3110 Depth=1
	s_or_b32 exec_lo, exec_lo, s3
.LBB450_3150:                           ;   in Loop: Header=BB450_3110 Depth=1
	s_delay_alu instid0(SALU_CYCLE_1)
	s_or_b32 exec_lo, exec_lo, s2
.LBB450_3151:                           ;   in Loop: Header=BB450_3110 Depth=1
	s_delay_alu instid0(SALU_CYCLE_1) | instskip(SKIP_3) | instid1(VALU_DEP_1)
	s_or_b32 exec_lo, exec_lo, s1
	s_waitcnt vmcnt(0) lgkmcnt(0)
	v_mul_f32_e32 v8, v160, v8
	s_mov_b32 s1, exec_lo
                                        ; implicit-def: $vgpr21
	v_and_b32_e32 v9, 0x7f800000, v8
	s_delay_alu instid0(VALU_DEP_1)
	v_cmpx_ne_u32_e32 0x7f800000, v9
	s_xor_b32 s1, exec_lo, s1
; %bb.3152:                             ;   in Loop: Header=BB450_3110 Depth=1
	v_bfe_u32 v9, v8, 16, 1
	s_delay_alu instid0(VALU_DEP_1)
	v_add3_u32 v21, v8, v9, 0x7fff
                                        ; implicit-def: $vgpr8
; %bb.3153:                             ;   in Loop: Header=BB450_3110 Depth=1
	s_and_not1_saveexec_b32 s1, s1
; %bb.3154:                             ;   in Loop: Header=BB450_3110 Depth=1
	v_and_b32_e32 v9, 0xffff, v8
	v_or_b32_e32 v12, 0x10000, v8
	s_delay_alu instid0(VALU_DEP_2) | instskip(NEXT) | instid1(VALU_DEP_2)
	v_cmp_eq_u32_e32 vcc_lo, 0, v9
	v_cndmask_b32_e32 v21, v12, v8, vcc_lo
; %bb.3155:                             ;   in Loop: Header=BB450_3110 Depth=1
	s_or_b32 exec_lo, exec_lo, s1
	v_lshrrev_b16 v9, 8, v6
	v_mov_b32_e32 v8, 0
	s_mov_b32 s1, exec_lo
	s_delay_alu instid0(VALU_DEP_2)
	v_cmpx_ne_u16_e32 0, v9
	s_cbranch_execz .LBB450_3163
; %bb.3156:                             ;   in Loop: Header=BB450_3110 Depth=1
	v_bfrev_b32_e32 v8, 1
	s_mov_b32 s2, exec_lo
	v_cmpx_ne_u16_e32 0x80, v9
	s_cbranch_execz .LBB450_3162
; %bb.3157:                             ;   in Loop: Header=BB450_3110 Depth=1
	v_and_b32_e32 v12, 0xffff, v9
	v_mov_b32_e32 v8, 0x7f800001
	s_mov_b32 s3, exec_lo
	s_delay_alu instid0(VALU_DEP_2) | instskip(NEXT) | instid1(VALU_DEP_1)
	v_and_b32_e32 v9, 0x7f, v12
	v_cmpx_ne_u32_e32 0x7f, v9
	s_cbranch_execz .LBB450_3161
; %bb.3158:                             ;   in Loop: Header=BB450_3110 Depth=1
	v_and_b32_e32 v12, 7, v12
	v_lshrrev_b32_e32 v22, 3, v9
	v_cmp_gt_u32_e32 vcc_lo, 8, v9
	s_delay_alu instid0(VALU_DEP_3)
	v_dual_mov_b32 v8, v12 :: v_dual_mov_b32 v9, v13
	s_and_saveexec_b32 s4, vcc_lo
; %bb.3159:                             ;   in Loop: Header=BB450_3110 Depth=1
	v_clz_i32_u32_e32 v8, v12
	s_delay_alu instid0(VALU_DEP_1) | instskip(NEXT) | instid1(VALU_DEP_1)
	v_min_u32_e32 v22, 32, v8
	v_subrev_nc_u32_e32 v8, 28, v22
	v_sub_nc_u32_e32 v22, 29, v22
	s_delay_alu instid0(VALU_DEP_2) | instskip(NEXT) | instid1(VALU_DEP_1)
	v_lshlrev_b64 v[8:9], v8, v[12:13]
	v_and_b32_e32 v8, 7, v8
; %bb.3160:                             ;   in Loop: Header=BB450_3110 Depth=1
	s_or_b32 exec_lo, exec_lo, s4
	v_lshlrev_b32_e32 v9, 16, v6
	s_delay_alu instid0(VALU_DEP_2) | instskip(SKIP_1) | instid1(VALU_DEP_3)
	v_lshlrev_b32_e32 v8, 20, v8
	v_lshl_add_u32 v12, v22, 23, 0x3c000000
	v_and_b32_e32 v9, 0x80000000, v9
	s_delay_alu instid0(VALU_DEP_1)
	v_or3_b32 v8, v8, v9, v12
.LBB450_3161:                           ;   in Loop: Header=BB450_3110 Depth=1
	s_or_b32 exec_lo, exec_lo, s3
.LBB450_3162:                           ;   in Loop: Header=BB450_3110 Depth=1
	s_delay_alu instid0(SALU_CYCLE_1)
	s_or_b32 exec_lo, exec_lo, s2
.LBB450_3163:                           ;   in Loop: Header=BB450_3110 Depth=1
	s_delay_alu instid0(SALU_CYCLE_1) | instskip(NEXT) | instid1(VALU_DEP_1)
	s_or_b32 exec_lo, exec_lo, s1
	v_mul_f32_e32 v8, v160, v8
	s_mov_b32 s1, exec_lo
                                        ; implicit-def: $vgpr22
	s_delay_alu instid0(VALU_DEP_1) | instskip(NEXT) | instid1(VALU_DEP_1)
	v_and_b32_e32 v9, 0x7f800000, v8
	v_cmpx_ne_u32_e32 0x7f800000, v9
	s_xor_b32 s1, exec_lo, s1
; %bb.3164:                             ;   in Loop: Header=BB450_3110 Depth=1
	v_bfe_u32 v9, v8, 16, 1
	s_delay_alu instid0(VALU_DEP_1)
	v_add3_u32 v22, v8, v9, 0x7fff
                                        ; implicit-def: $vgpr8
; %bb.3165:                             ;   in Loop: Header=BB450_3110 Depth=1
	s_and_not1_saveexec_b32 s1, s1
; %bb.3166:                             ;   in Loop: Header=BB450_3110 Depth=1
	v_and_b32_e32 v9, 0xffff, v8
	v_or_b32_e32 v12, 0x10000, v8
	s_delay_alu instid0(VALU_DEP_2) | instskip(NEXT) | instid1(VALU_DEP_2)
	v_cmp_eq_u32_e32 vcc_lo, 0, v9
	v_cndmask_b32_e32 v22, v12, v8, vcc_lo
; %bb.3167:                             ;   in Loop: Header=BB450_3110 Depth=1
	s_or_b32 exec_lo, exec_lo, s1
	v_lshrrev_b32_e32 v24, 16, v6
	s_mov_b32 s1, exec_lo
	s_delay_alu instid0(VALU_DEP_1) | instskip(NEXT) | instid1(VALU_DEP_1)
	v_dual_mov_b32 v8, 0 :: v_dual_and_b32 v9, 0xff, v24
	v_cmpx_ne_u16_e32 0, v9
	s_cbranch_execz .LBB450_3175
; %bb.3168:                             ;   in Loop: Header=BB450_3110 Depth=1
	v_bfrev_b32_e32 v8, 1
	s_mov_b32 s2, exec_lo
	v_cmpx_ne_u16_e32 0x80, v9
	s_cbranch_execz .LBB450_3174
; %bb.3169:                             ;   in Loop: Header=BB450_3110 Depth=1
	v_bfe_u32 v9, v6, 16, 7
	v_mov_b32_e32 v8, 0x7f800001
	s_mov_b32 s3, exec_lo
	s_delay_alu instid0(VALU_DEP_2)
	v_cmpx_ne_u32_e32 0x7f, v9
	s_cbranch_execz .LBB450_3173
; %bb.3170:                             ;   in Loop: Header=BB450_3110 Depth=1
	v_and_b32_e32 v12, 7, v24
	v_lshrrev_b32_e32 v25, 3, v9
	v_cmp_gt_u32_e32 vcc_lo, 8, v9
	s_delay_alu instid0(VALU_DEP_3)
	v_dual_mov_b32 v8, v12 :: v_dual_mov_b32 v9, v13
	s_and_saveexec_b32 s4, vcc_lo
; %bb.3171:                             ;   in Loop: Header=BB450_3110 Depth=1
	v_clz_i32_u32_e32 v8, v12
	s_delay_alu instid0(VALU_DEP_1) | instskip(NEXT) | instid1(VALU_DEP_1)
	v_min_u32_e32 v25, 32, v8
	v_subrev_nc_u32_e32 v8, 28, v25
	v_sub_nc_u32_e32 v25, 29, v25
	s_delay_alu instid0(VALU_DEP_2) | instskip(NEXT) | instid1(VALU_DEP_1)
	v_lshlrev_b64 v[8:9], v8, v[12:13]
	v_and_b32_e32 v8, 7, v8
; %bb.3172:                             ;   in Loop: Header=BB450_3110 Depth=1
	s_or_b32 exec_lo, exec_lo, s4
	v_lshlrev_b32_e32 v9, 24, v24
	s_delay_alu instid0(VALU_DEP_2) | instskip(SKIP_1) | instid1(VALU_DEP_3)
	v_lshlrev_b32_e32 v8, 20, v8
	v_lshl_add_u32 v12, v25, 23, 0x3c000000
	v_and_b32_e32 v9, 0x80000000, v9
	s_delay_alu instid0(VALU_DEP_1)
	v_or3_b32 v8, v8, v9, v12
.LBB450_3173:                           ;   in Loop: Header=BB450_3110 Depth=1
	s_or_b32 exec_lo, exec_lo, s3
.LBB450_3174:                           ;   in Loop: Header=BB450_3110 Depth=1
	s_delay_alu instid0(SALU_CYCLE_1)
	s_or_b32 exec_lo, exec_lo, s2
.LBB450_3175:                           ;   in Loop: Header=BB450_3110 Depth=1
	s_delay_alu instid0(SALU_CYCLE_1) | instskip(NEXT) | instid1(VALU_DEP_1)
	s_or_b32 exec_lo, exec_lo, s1
	v_mul_f32_e32 v8, v160, v8
	s_mov_b32 s1, exec_lo
                                        ; implicit-def: $vgpr24
	s_delay_alu instid0(VALU_DEP_1) | instskip(NEXT) | instid1(VALU_DEP_1)
	v_and_b32_e32 v9, 0x7f800000, v8
	v_cmpx_ne_u32_e32 0x7f800000, v9
	s_xor_b32 s1, exec_lo, s1
; %bb.3176:                             ;   in Loop: Header=BB450_3110 Depth=1
	v_bfe_u32 v9, v8, 16, 1
	s_delay_alu instid0(VALU_DEP_1)
	v_add3_u32 v24, v8, v9, 0x7fff
                                        ; implicit-def: $vgpr8
; %bb.3177:                             ;   in Loop: Header=BB450_3110 Depth=1
	s_and_not1_saveexec_b32 s1, s1
; %bb.3178:                             ;   in Loop: Header=BB450_3110 Depth=1
	v_and_b32_e32 v9, 0xffff, v8
	v_or_b32_e32 v12, 0x10000, v8
	s_delay_alu instid0(VALU_DEP_2) | instskip(NEXT) | instid1(VALU_DEP_2)
	v_cmp_eq_u32_e32 vcc_lo, 0, v9
	v_cndmask_b32_e32 v24, v12, v8, vcc_lo
; %bb.3179:                             ;   in Loop: Header=BB450_3110 Depth=1
	s_or_b32 exec_lo, exec_lo, s1
	v_mov_b32_e32 v8, 0
	s_mov_b32 s1, exec_lo
	v_cmpx_lt_u32_e32 0xffffff, v6
	s_cbranch_execz .LBB450_3187
; %bb.3180:                             ;   in Loop: Header=BB450_3110 Depth=1
	v_lshrrev_b32_e32 v25, 24, v6
	v_bfrev_b32_e32 v8, 1
	s_mov_b32 s2, exec_lo
	s_delay_alu instid0(VALU_DEP_2)
	v_cmpx_ne_u32_e32 0x80, v25
	s_cbranch_execz .LBB450_3186
; %bb.3181:                             ;   in Loop: Header=BB450_3110 Depth=1
	v_bfe_u32 v9, v6, 24, 7
	v_mov_b32_e32 v8, 0x7f800001
	s_mov_b32 s3, exec_lo
	s_delay_alu instid0(VALU_DEP_2)
	v_cmpx_ne_u32_e32 0x7f, v9
	s_cbranch_execz .LBB450_3185
; %bb.3182:                             ;   in Loop: Header=BB450_3110 Depth=1
	v_and_b32_e32 v12, 7, v25
	v_lshrrev_b32_e32 v26, 3, v9
	v_cmp_gt_u32_e32 vcc_lo, 8, v9
	s_delay_alu instid0(VALU_DEP_3)
	v_dual_mov_b32 v8, v12 :: v_dual_mov_b32 v9, v13
	s_and_saveexec_b32 s4, vcc_lo
; %bb.3183:                             ;   in Loop: Header=BB450_3110 Depth=1
	v_clz_i32_u32_e32 v8, v12
	s_delay_alu instid0(VALU_DEP_1) | instskip(NEXT) | instid1(VALU_DEP_1)
	v_min_u32_e32 v26, 32, v8
	v_subrev_nc_u32_e32 v8, 28, v26
	v_sub_nc_u32_e32 v26, 29, v26
	s_delay_alu instid0(VALU_DEP_2) | instskip(NEXT) | instid1(VALU_DEP_1)
	v_lshlrev_b64 v[8:9], v8, v[12:13]
	v_and_b32_e32 v8, 7, v8
; %bb.3184:                             ;   in Loop: Header=BB450_3110 Depth=1
	s_or_b32 exec_lo, exec_lo, s4
	v_lshlrev_b32_e32 v9, 24, v25
	s_delay_alu instid0(VALU_DEP_2) | instskip(SKIP_1) | instid1(VALU_DEP_3)
	v_lshlrev_b32_e32 v8, 20, v8
	v_lshl_add_u32 v12, v26, 23, 0x3c000000
	v_and_b32_e32 v9, 0x80000000, v9
	s_delay_alu instid0(VALU_DEP_1)
	v_or3_b32 v8, v8, v9, v12
.LBB450_3185:                           ;   in Loop: Header=BB450_3110 Depth=1
	s_or_b32 exec_lo, exec_lo, s3
.LBB450_3186:                           ;   in Loop: Header=BB450_3110 Depth=1
	s_delay_alu instid0(SALU_CYCLE_1)
	s_or_b32 exec_lo, exec_lo, s2
.LBB450_3187:                           ;   in Loop: Header=BB450_3110 Depth=1
	s_delay_alu instid0(SALU_CYCLE_1) | instskip(NEXT) | instid1(VALU_DEP_1)
	s_or_b32 exec_lo, exec_lo, s1
	v_mul_f32_e32 v8, v160, v8
	s_mov_b32 s1, exec_lo
                                        ; implicit-def: $vgpr25
	s_delay_alu instid0(VALU_DEP_1) | instskip(NEXT) | instid1(VALU_DEP_1)
	v_and_b32_e32 v9, 0x7f800000, v8
	v_cmpx_ne_u32_e32 0x7f800000, v9
	s_xor_b32 s1, exec_lo, s1
; %bb.3188:                             ;   in Loop: Header=BB450_3110 Depth=1
	v_bfe_u32 v9, v8, 16, 1
	s_delay_alu instid0(VALU_DEP_1)
	v_add3_u32 v25, v8, v9, 0x7fff
                                        ; implicit-def: $vgpr8
; %bb.3189:                             ;   in Loop: Header=BB450_3110 Depth=1
	s_and_not1_saveexec_b32 s1, s1
; %bb.3190:                             ;   in Loop: Header=BB450_3110 Depth=1
	v_and_b32_e32 v9, 0xffff, v8
	v_or_b32_e32 v12, 0x10000, v8
	s_delay_alu instid0(VALU_DEP_2) | instskip(NEXT) | instid1(VALU_DEP_2)
	v_cmp_eq_u32_e32 vcc_lo, 0, v9
	v_cndmask_b32_e32 v25, v12, v8, vcc_lo
; %bb.3191:                             ;   in Loop: Header=BB450_3110 Depth=1
	s_or_b32 exec_lo, exec_lo, s1
	v_dual_mov_b32 v12, v7 :: v_dual_and_b32 v9, 0xff, v7
	v_mov_b32_e32 v8, 0
	s_mov_b32 s1, exec_lo
	s_delay_alu instid0(VALU_DEP_2)
	v_cmpx_ne_u16_e32 0, v9
	s_cbranch_execz .LBB450_3199
; %bb.3192:                             ;   in Loop: Header=BB450_3110 Depth=1
	v_bfrev_b32_e32 v8, 1
	s_mov_b32 s2, exec_lo
	v_cmpx_ne_u16_e32 0x80, v9
	s_cbranch_execz .LBB450_3198
; %bb.3193:                             ;   in Loop: Header=BB450_3110 Depth=1
	v_and_b32_e32 v9, 0x7f, v7
	v_mov_b32_e32 v8, 0x7f800001
	s_mov_b32 s3, exec_lo
	s_delay_alu instid0(VALU_DEP_2)
	v_cmpx_ne_u32_e32 0x7f, v9
	s_cbranch_execz .LBB450_3197
; %bb.3194:                             ;   in Loop: Header=BB450_3110 Depth=1
	v_lshrrev_b32_e32 v26, 3, v9
	v_cmp_gt_u32_e32 vcc_lo, 8, v9
	v_dual_mov_b32 v8, v12 :: v_dual_mov_b32 v9, v13
	s_and_saveexec_b32 s4, vcc_lo
; %bb.3195:                             ;   in Loop: Header=BB450_3110 Depth=1
	v_and_b32_e32 v8, 7, v7
	s_delay_alu instid0(VALU_DEP_1) | instskip(NEXT) | instid1(VALU_DEP_1)
	v_clz_i32_u32_e32 v8, v8
	v_min_u32_e32 v26, 32, v8
	s_delay_alu instid0(VALU_DEP_1) | instskip(SKIP_1) | instid1(VALU_DEP_2)
	v_subrev_nc_u32_e32 v8, 28, v26
	v_sub_nc_u32_e32 v26, 29, v26
	v_lshlrev_b64 v[8:9], v8, v[12:13]
; %bb.3196:                             ;   in Loop: Header=BB450_3110 Depth=1
	s_or_b32 exec_lo, exec_lo, s4
	s_delay_alu instid0(VALU_DEP_1) | instskip(SKIP_2) | instid1(VALU_DEP_3)
	v_lshlrev_b32_e32 v8, 20, v8
	v_lshlrev_b32_e32 v9, 24, v12
	v_lshl_add_u32 v26, v26, 23, 0x3c000000
	v_and_b32_e32 v8, 0x700000, v8
	s_delay_alu instid0(VALU_DEP_3) | instskip(NEXT) | instid1(VALU_DEP_1)
	v_and_b32_e32 v9, 0x80000000, v9
	v_or3_b32 v8, v8, v9, v26
.LBB450_3197:                           ;   in Loop: Header=BB450_3110 Depth=1
	s_or_b32 exec_lo, exec_lo, s3
.LBB450_3198:                           ;   in Loop: Header=BB450_3110 Depth=1
	s_delay_alu instid0(SALU_CYCLE_1)
	s_or_b32 exec_lo, exec_lo, s2
.LBB450_3199:                           ;   in Loop: Header=BB450_3110 Depth=1
	s_delay_alu instid0(SALU_CYCLE_1) | instskip(NEXT) | instid1(VALU_DEP_1)
	s_or_b32 exec_lo, exec_lo, s1
	v_mul_f32_e32 v8, v160, v8
	s_mov_b32 s1, exec_lo
                                        ; implicit-def: $vgpr26
	s_delay_alu instid0(VALU_DEP_1) | instskip(NEXT) | instid1(VALU_DEP_1)
	v_and_b32_e32 v9, 0x7f800000, v8
	v_cmpx_ne_u32_e32 0x7f800000, v9
	s_xor_b32 s1, exec_lo, s1
; %bb.3200:                             ;   in Loop: Header=BB450_3110 Depth=1
	v_bfe_u32 v9, v8, 16, 1
	s_delay_alu instid0(VALU_DEP_1)
	v_add3_u32 v26, v8, v9, 0x7fff
                                        ; implicit-def: $vgpr8
; %bb.3201:                             ;   in Loop: Header=BB450_3110 Depth=1
	s_and_not1_saveexec_b32 s1, s1
; %bb.3202:                             ;   in Loop: Header=BB450_3110 Depth=1
	v_and_b32_e32 v9, 0xffff, v8
	v_or_b32_e32 v26, 0x10000, v8
	s_delay_alu instid0(VALU_DEP_2) | instskip(NEXT) | instid1(VALU_DEP_2)
	v_cmp_eq_u32_e32 vcc_lo, 0, v9
	v_cndmask_b32_e32 v26, v26, v8, vcc_lo
; %bb.3203:                             ;   in Loop: Header=BB450_3110 Depth=1
	s_or_b32 exec_lo, exec_lo, s1
	v_lshrrev_b16 v9, 8, v12
	v_mov_b32_e32 v8, 0
	s_mov_b32 s1, exec_lo
	s_delay_alu instid0(VALU_DEP_2)
	v_cmpx_ne_u16_e32 0, v9
	s_cbranch_execz .LBB450_3211
; %bb.3204:                             ;   in Loop: Header=BB450_3110 Depth=1
	v_bfrev_b32_e32 v8, 1
	s_mov_b32 s2, exec_lo
	v_cmpx_ne_u16_e32 0x80, v9
	s_cbranch_execz .LBB450_3210
; %bb.3205:                             ;   in Loop: Header=BB450_3110 Depth=1
	v_and_b32_e32 v9, 0xffff, v9
	v_mov_b32_e32 v8, 0x7f800001
	s_mov_b32 s3, exec_lo
	s_delay_alu instid0(VALU_DEP_2) | instskip(NEXT) | instid1(VALU_DEP_1)
	v_and_b32_e32 v28, 0x7f, v9
	v_cmpx_ne_u32_e32 0x7f, v28
	s_cbranch_execz .LBB450_3209
; %bb.3206:                             ;   in Loop: Header=BB450_3110 Depth=1
	v_dual_mov_b32 v9, v13 :: v_dual_and_b32 v8, 7, v9
	v_lshrrev_b32_e32 v27, 3, v28
	s_mov_b32 s4, exec_lo
	v_cmpx_gt_u32_e32 8, v28
; %bb.3207:                             ;   in Loop: Header=BB450_3110 Depth=1
	s_delay_alu instid0(VALU_DEP_3) | instskip(NEXT) | instid1(VALU_DEP_1)
	v_clz_i32_u32_e32 v27, v8
	v_min_u32_e32 v27, 32, v27
	s_delay_alu instid0(VALU_DEP_1) | instskip(SKIP_1) | instid1(VALU_DEP_2)
	v_subrev_nc_u32_e32 v28, 28, v27
	v_sub_nc_u32_e32 v27, 29, v27
	v_lshlrev_b64 v[8:9], v28, v[8:9]
	s_delay_alu instid0(VALU_DEP_1)
	v_and_b32_e32 v8, 7, v8
; %bb.3208:                             ;   in Loop: Header=BB450_3110 Depth=1
	s_or_b32 exec_lo, exec_lo, s4
	v_lshlrev_b32_e32 v9, 16, v12
	s_delay_alu instid0(VALU_DEP_2) | instskip(SKIP_1) | instid1(VALU_DEP_3)
	v_lshlrev_b32_e32 v8, 20, v8
	v_lshl_add_u32 v12, v27, 23, 0x3c000000
	v_and_b32_e32 v9, 0x80000000, v9
	s_delay_alu instid0(VALU_DEP_1)
	v_or3_b32 v8, v8, v9, v12
.LBB450_3209:                           ;   in Loop: Header=BB450_3110 Depth=1
	s_or_b32 exec_lo, exec_lo, s3
.LBB450_3210:                           ;   in Loop: Header=BB450_3110 Depth=1
	s_delay_alu instid0(SALU_CYCLE_1)
	s_or_b32 exec_lo, exec_lo, s2
.LBB450_3211:                           ;   in Loop: Header=BB450_3110 Depth=1
	s_delay_alu instid0(SALU_CYCLE_1) | instskip(NEXT) | instid1(VALU_DEP_1)
	s_or_b32 exec_lo, exec_lo, s1
	v_mul_f32_e32 v8, v160, v8
	s_mov_b32 s1, exec_lo
                                        ; implicit-def: $vgpr27
	s_delay_alu instid0(VALU_DEP_1) | instskip(NEXT) | instid1(VALU_DEP_1)
	v_and_b32_e32 v9, 0x7f800000, v8
	v_cmpx_ne_u32_e32 0x7f800000, v9
	s_xor_b32 s1, exec_lo, s1
; %bb.3212:                             ;   in Loop: Header=BB450_3110 Depth=1
	v_bfe_u32 v9, v8, 16, 1
	s_delay_alu instid0(VALU_DEP_1)
	v_add3_u32 v27, v8, v9, 0x7fff
                                        ; implicit-def: $vgpr8
; %bb.3213:                             ;   in Loop: Header=BB450_3110 Depth=1
	s_and_not1_saveexec_b32 s1, s1
; %bb.3214:                             ;   in Loop: Header=BB450_3110 Depth=1
	v_and_b32_e32 v9, 0xffff, v8
	v_or_b32_e32 v12, 0x10000, v8
	s_delay_alu instid0(VALU_DEP_2) | instskip(NEXT) | instid1(VALU_DEP_2)
	v_cmp_eq_u32_e32 vcc_lo, 0, v9
	v_cndmask_b32_e32 v27, v12, v8, vcc_lo
; %bb.3215:                             ;   in Loop: Header=BB450_3110 Depth=1
	s_or_b32 exec_lo, exec_lo, s1
	v_lshrrev_b32_e32 v28, 16, v7
	s_mov_b32 s1, exec_lo
	s_delay_alu instid0(VALU_DEP_1) | instskip(NEXT) | instid1(VALU_DEP_1)
	v_dual_mov_b32 v8, 0 :: v_dual_and_b32 v9, 0xff, v28
	v_cmpx_ne_u16_e32 0, v9
	s_cbranch_execz .LBB450_3223
; %bb.3216:                             ;   in Loop: Header=BB450_3110 Depth=1
	v_bfrev_b32_e32 v8, 1
	s_mov_b32 s2, exec_lo
	v_cmpx_ne_u16_e32 0x80, v9
	s_cbranch_execz .LBB450_3222
; %bb.3217:                             ;   in Loop: Header=BB450_3110 Depth=1
	v_bfe_u32 v9, v7, 16, 7
	v_mov_b32_e32 v8, 0x7f800001
	s_mov_b32 s3, exec_lo
	s_delay_alu instid0(VALU_DEP_2)
	v_cmpx_ne_u32_e32 0x7f, v9
	s_cbranch_execz .LBB450_3221
; %bb.3218:                             ;   in Loop: Header=BB450_3110 Depth=1
	v_and_b32_e32 v12, 7, v28
	v_lshrrev_b32_e32 v29, 3, v9
	v_cmp_gt_u32_e32 vcc_lo, 8, v9
	s_delay_alu instid0(VALU_DEP_3)
	v_dual_mov_b32 v8, v12 :: v_dual_mov_b32 v9, v13
	s_and_saveexec_b32 s4, vcc_lo
; %bb.3219:                             ;   in Loop: Header=BB450_3110 Depth=1
	v_clz_i32_u32_e32 v8, v12
	s_delay_alu instid0(VALU_DEP_1) | instskip(NEXT) | instid1(VALU_DEP_1)
	v_min_u32_e32 v29, 32, v8
	v_subrev_nc_u32_e32 v8, 28, v29
	v_sub_nc_u32_e32 v29, 29, v29
	s_delay_alu instid0(VALU_DEP_2) | instskip(NEXT) | instid1(VALU_DEP_1)
	v_lshlrev_b64 v[8:9], v8, v[12:13]
	v_and_b32_e32 v8, 7, v8
; %bb.3220:                             ;   in Loop: Header=BB450_3110 Depth=1
	s_or_b32 exec_lo, exec_lo, s4
	v_lshlrev_b32_e32 v9, 24, v28
	s_delay_alu instid0(VALU_DEP_2) | instskip(SKIP_1) | instid1(VALU_DEP_3)
	v_lshlrev_b32_e32 v8, 20, v8
	v_lshl_add_u32 v12, v29, 23, 0x3c000000
	v_and_b32_e32 v9, 0x80000000, v9
	s_delay_alu instid0(VALU_DEP_1)
	v_or3_b32 v8, v8, v9, v12
.LBB450_3221:                           ;   in Loop: Header=BB450_3110 Depth=1
	s_or_b32 exec_lo, exec_lo, s3
.LBB450_3222:                           ;   in Loop: Header=BB450_3110 Depth=1
	s_delay_alu instid0(SALU_CYCLE_1)
	s_or_b32 exec_lo, exec_lo, s2
.LBB450_3223:                           ;   in Loop: Header=BB450_3110 Depth=1
	s_delay_alu instid0(SALU_CYCLE_1) | instskip(NEXT) | instid1(VALU_DEP_1)
	s_or_b32 exec_lo, exec_lo, s1
	v_mul_f32_e32 v8, v160, v8
	s_mov_b32 s1, exec_lo
                                        ; implicit-def: $vgpr28
	s_delay_alu instid0(VALU_DEP_1) | instskip(NEXT) | instid1(VALU_DEP_1)
	v_and_b32_e32 v9, 0x7f800000, v8
	v_cmpx_ne_u32_e32 0x7f800000, v9
	s_xor_b32 s1, exec_lo, s1
; %bb.3224:                             ;   in Loop: Header=BB450_3110 Depth=1
	v_bfe_u32 v9, v8, 16, 1
	s_delay_alu instid0(VALU_DEP_1)
	v_add3_u32 v28, v8, v9, 0x7fff
                                        ; implicit-def: $vgpr8
; %bb.3225:                             ;   in Loop: Header=BB450_3110 Depth=1
	s_and_not1_saveexec_b32 s1, s1
; %bb.3226:                             ;   in Loop: Header=BB450_3110 Depth=1
	v_and_b32_e32 v9, 0xffff, v8
	v_or_b32_e32 v12, 0x10000, v8
	s_delay_alu instid0(VALU_DEP_2) | instskip(NEXT) | instid1(VALU_DEP_2)
	v_cmp_eq_u32_e32 vcc_lo, 0, v9
	v_cndmask_b32_e32 v28, v12, v8, vcc_lo
; %bb.3227:                             ;   in Loop: Header=BB450_3110 Depth=1
	s_or_b32 exec_lo, exec_lo, s1
	v_cmp_lt_u64_e32 vcc_lo, s[18:19], v[6:7]
	v_mov_b32_e32 v6, 0
	s_and_saveexec_b32 s1, vcc_lo
	s_cbranch_execz .LBB450_3235
; %bb.3228:                             ;   in Loop: Header=BB450_3110 Depth=1
	v_lshrrev_b32_e32 v8, 24, v7
	v_bfrev_b32_e32 v6, 1
	s_mov_b32 s2, exec_lo
	s_delay_alu instid0(VALU_DEP_2)
	v_cmpx_ne_u32_e32 0x80, v8
	s_cbranch_execz .LBB450_3234
; %bb.3229:                             ;   in Loop: Header=BB450_3110 Depth=1
	v_bfe_u32 v7, v7, 24, 7
	v_mov_b32_e32 v6, 0x7f800001
	s_mov_b32 s3, exec_lo
	s_delay_alu instid0(VALU_DEP_2)
	v_cmpx_ne_u32_e32 0x7f, v7
	s_cbranch_execz .LBB450_3233
; %bb.3230:                             ;   in Loop: Header=BB450_3110 Depth=1
	v_and_b32_e32 v12, 7, v8
	v_lshrrev_b32_e32 v9, 3, v7
	v_cmp_gt_u32_e32 vcc_lo, 8, v7
	s_delay_alu instid0(VALU_DEP_3)
	v_dual_mov_b32 v6, v12 :: v_dual_mov_b32 v7, v13
	s_and_saveexec_b32 s4, vcc_lo
; %bb.3231:                             ;   in Loop: Header=BB450_3110 Depth=1
	v_clz_i32_u32_e32 v6, v12
	s_delay_alu instid0(VALU_DEP_1) | instskip(NEXT) | instid1(VALU_DEP_1)
	v_min_u32_e32 v9, 32, v6
	v_subrev_nc_u32_e32 v6, 28, v9
	v_sub_nc_u32_e32 v9, 29, v9
	s_delay_alu instid0(VALU_DEP_2) | instskip(NEXT) | instid1(VALU_DEP_1)
	v_lshlrev_b64 v[6:7], v6, v[12:13]
	v_and_b32_e32 v6, 7, v6
; %bb.3232:                             ;   in Loop: Header=BB450_3110 Depth=1
	s_or_b32 exec_lo, exec_lo, s4
	v_lshlrev_b32_e32 v7, 24, v8
	s_delay_alu instid0(VALU_DEP_2) | instskip(SKIP_1) | instid1(VALU_DEP_3)
	v_lshlrev_b32_e32 v6, 20, v6
	v_lshl_add_u32 v8, v9, 23, 0x3c000000
	v_and_b32_e32 v7, 0x80000000, v7
	s_delay_alu instid0(VALU_DEP_1)
	v_or3_b32 v6, v6, v7, v8
.LBB450_3233:                           ;   in Loop: Header=BB450_3110 Depth=1
	s_or_b32 exec_lo, exec_lo, s3
.LBB450_3234:                           ;   in Loop: Header=BB450_3110 Depth=1
	s_delay_alu instid0(SALU_CYCLE_1)
	s_or_b32 exec_lo, exec_lo, s2
.LBB450_3235:                           ;   in Loop: Header=BB450_3110 Depth=1
	s_delay_alu instid0(SALU_CYCLE_1) | instskip(NEXT) | instid1(VALU_DEP_1)
	s_or_b32 exec_lo, exec_lo, s1
	v_mul_f32_e32 v7, v160, v6
	s_delay_alu instid0(VALU_DEP_1) | instskip(NEXT) | instid1(VALU_DEP_1)
	v_and_b32_e32 v6, 0x7f800000, v7
	v_cmp_ne_u32_e32 vcc_lo, 0x7f800000, v6
                                        ; implicit-def: $vgpr6
	s_and_saveexec_b32 s1, vcc_lo
	s_delay_alu instid0(SALU_CYCLE_1)
	s_xor_b32 s1, exec_lo, s1
; %bb.3236:                             ;   in Loop: Header=BB450_3110 Depth=1
	v_bfe_u32 v6, v7, 16, 1
	s_delay_alu instid0(VALU_DEP_1)
	v_add3_u32 v6, v7, v6, 0x7fff
                                        ; implicit-def: $vgpr7
; %bb.3237:                             ;   in Loop: Header=BB450_3110 Depth=1
	s_and_not1_saveexec_b32 s1, s1
; %bb.3238:                             ;   in Loop: Header=BB450_3110 Depth=1
	v_and_b32_e32 v6, 0xffff, v7
	v_or_b32_e32 v8, 0x10000, v7
	s_delay_alu instid0(VALU_DEP_2) | instskip(NEXT) | instid1(VALU_DEP_2)
	v_cmp_eq_u32_e32 vcc_lo, 0, v6
	v_cndmask_b32_e32 v6, v8, v7, vcc_lo
; %bb.3239:                             ;   in Loop: Header=BB450_3110 Depth=1
	s_or_b32 exec_lo, exec_lo, s1
	s_clause 0x1
	scratch_load_b32 v7, off, s32 offset:868
	scratch_load_b32 v8, off, s32 offset:864
	v_lshrrev_b32_e32 v24, 16, v24
	v_lshrrev_b32_e32 v22, 16, v22
	;; [unrolled: 1-line block ×4, first 2 shown]
	s_waitcnt vmcnt(1)
	v_add_nc_u32_e32 v7, v7, v23
	s_waitcnt vmcnt(0)
	v_cmp_eq_u32_e64 s1, v8, v17
	s_delay_alu instid0(VALU_DEP_2)
	v_cmp_lt_i32_e32 vcc_lo, v7, v39
	v_add_nc_u32_e32 v8, 1, v7
	v_add_nc_u32_e32 v9, 2, v7
	;; [unrolled: 1-line block ×7, first 2 shown]
	v_cmp_lt_i32_e64 s2, v8, v39
	v_cmp_lt_i32_e64 s3, v9, v39
	;; [unrolled: 1-line block ×7, first 2 shown]
	v_lshrrev_b32_e32 v8, 16, v27
	v_lshrrev_b32_e32 v9, 16, v26
	;; [unrolled: 1-line block ×4, first 2 shown]
	s_and_saveexec_b32 s9, s1
; %bb.3240:                             ;   in Loop: Header=BB450_3110 Depth=1
	v_cndmask_b32_e32 v21, 0, v21, vcc_lo
	v_cndmask_b32_e64 v22, 0, v22, s2
	v_cndmask_b32_e64 v24, 0, v24, s3
	;; [unrolled: 1-line block ×7, first 2 shown]
; %bb.3241:                             ;   in Loop: Header=BB450_3110 Depth=1
	s_or_b32 exec_lo, exec_lo, s9
	v_and_b32_e32 v161, 0xffff0000, v20
	v_lshlrev_b32_e32 v20, 16, v21
	s_delay_alu instid0(VALU_DEP_1) | instskip(NEXT) | instid1(VALU_DEP_1)
	v_mul_f32_e32 v20, v161, v20
	v_and_b32_e32 v21, 0x7f800000, v20
	s_delay_alu instid0(VALU_DEP_1) | instskip(NEXT) | instid1(VALU_DEP_1)
	v_cmp_ne_u32_e64 s9, 0x7f800000, v21
                                        ; implicit-def: $vgpr21
                                        ; kill: killed $vgpr21
	s_and_saveexec_b32 s23, s9
	s_delay_alu instid0(SALU_CYCLE_1)
	s_xor_b32 s9, exec_lo, s23
	s_cbranch_execz .LBB450_3243
; %bb.3242:                             ;   in Loop: Header=BB450_3110 Depth=1
	v_bfe_u32 v21, v20, 16, 1
	s_delay_alu instid0(VALU_DEP_1)
	v_add3_u32 v20, v20, v21, 0x7fff
	scratch_store_b32 off, v20, s32 offset:484 ; 4-byte Folded Spill
                                        ; implicit-def: $vgpr20
.LBB450_3243:                           ;   in Loop: Header=BB450_3110 Depth=1
	s_and_not1_saveexec_b32 s23, s9
	s_cbranch_execz .LBB450_3245
; %bb.3244:                             ;   in Loop: Header=BB450_3110 Depth=1
	v_and_b32_e32 v21, 0xffff, v20
	v_or_b32_e32 v25, 0x10000, v20
	s_delay_alu instid0(VALU_DEP_2) | instskip(NEXT) | instid1(VALU_DEP_1)
	v_cmp_eq_u32_e64 s9, 0, v21
	v_cndmask_b32_e64 v20, v25, v20, s9
	scratch_store_b32 off, v20, s32 offset:484 ; 4-byte Folded Spill
.LBB450_3245:                           ;   in Loop: Header=BB450_3110 Depth=1
	s_or_b32 exec_lo, exec_lo, s23
	v_and_b32_e32 v162, 0xffff0000, v19
	v_lshlrev_b32_e32 v19, 16, v22
	s_delay_alu instid0(VALU_DEP_1) | instskip(NEXT) | instid1(VALU_DEP_1)
	v_mul_f32_e32 v19, v162, v19
	v_and_b32_e32 v20, 0x7f800000, v19
	s_delay_alu instid0(VALU_DEP_1) | instskip(NEXT) | instid1(VALU_DEP_1)
	v_cmp_ne_u32_e64 s9, 0x7f800000, v20
                                        ; implicit-def: $vgpr20
                                        ; kill: killed $vgpr20
	s_and_saveexec_b32 s23, s9
	s_delay_alu instid0(SALU_CYCLE_1)
	s_xor_b32 s9, exec_lo, s23
	s_cbranch_execz .LBB450_3247
; %bb.3246:                             ;   in Loop: Header=BB450_3110 Depth=1
	v_bfe_u32 v20, v19, 16, 1
	s_delay_alu instid0(VALU_DEP_1)
	v_add3_u32 v19, v19, v20, 0x7fff
	scratch_store_b32 off, v19, s32 offset:488 ; 4-byte Folded Spill
                                        ; implicit-def: $vgpr19
.LBB450_3247:                           ;   in Loop: Header=BB450_3110 Depth=1
	s_and_not1_saveexec_b32 s23, s9
	s_cbranch_execz .LBB450_3249
; %bb.3248:                             ;   in Loop: Header=BB450_3110 Depth=1
	v_and_b32_e32 v20, 0xffff, v19
	v_or_b32_e32 v21, 0x10000, v19
	s_delay_alu instid0(VALU_DEP_2) | instskip(NEXT) | instid1(VALU_DEP_1)
	v_cmp_eq_u32_e64 s9, 0, v20
	v_cndmask_b32_e64 v19, v21, v19, s9
	scratch_store_b32 off, v19, s32 offset:488 ; 4-byte Folded Spill
.LBB450_3249:                           ;   in Loop: Header=BB450_3110 Depth=1
	s_or_b32 exec_lo, exec_lo, s23
	v_and_b32_e32 v163, 0xffff0000, v18
	v_lshlrev_b32_e32 v18, 16, v24
	s_delay_alu instid0(VALU_DEP_1) | instskip(NEXT) | instid1(VALU_DEP_1)
	v_mul_f32_e32 v18, v163, v18
	v_and_b32_e32 v19, 0x7f800000, v18
	s_delay_alu instid0(VALU_DEP_1) | instskip(NEXT) | instid1(VALU_DEP_1)
	v_cmp_ne_u32_e64 s9, 0x7f800000, v19
                                        ; implicit-def: $vgpr19
                                        ; kill: killed $vgpr19
	s_and_saveexec_b32 s23, s9
	s_delay_alu instid0(SALU_CYCLE_1)
	s_xor_b32 s9, exec_lo, s23
	s_cbranch_execz .LBB450_3251
; %bb.3250:                             ;   in Loop: Header=BB450_3110 Depth=1
	v_bfe_u32 v19, v18, 16, 1
	s_delay_alu instid0(VALU_DEP_1)
	v_add3_u32 v18, v18, v19, 0x7fff
	scratch_store_b32 off, v18, s32 offset:492 ; 4-byte Folded Spill
                                        ; implicit-def: $vgpr18
.LBB450_3251:                           ;   in Loop: Header=BB450_3110 Depth=1
	s_and_not1_saveexec_b32 s23, s9
	s_cbranch_execz .LBB450_3253
; %bb.3252:                             ;   in Loop: Header=BB450_3110 Depth=1
	v_and_b32_e32 v19, 0xffff, v18
	v_or_b32_e32 v20, 0x10000, v18
	s_delay_alu instid0(VALU_DEP_2) | instskip(NEXT) | instid1(VALU_DEP_1)
	v_cmp_eq_u32_e64 s9, 0, v19
	v_cndmask_b32_e64 v18, v20, v18, s9
	scratch_store_b32 off, v18, s32 offset:492 ; 4-byte Folded Spill
.LBB450_3253:                           ;   in Loop: Header=BB450_3110 Depth=1
	s_or_b32 exec_lo, exec_lo, s23
	v_and_b32_e32 v164, 0xffff0000, v16
	v_lshlrev_b32_e32 v12, 16, v12
	s_delay_alu instid0(VALU_DEP_1) | instskip(NEXT) | instid1(VALU_DEP_1)
	v_mul_f32_e32 v12, v164, v12
	v_and_b32_e32 v16, 0x7f800000, v12
	s_delay_alu instid0(VALU_DEP_1) | instskip(NEXT) | instid1(VALU_DEP_1)
	v_cmp_ne_u32_e64 s9, 0x7f800000, v16
                                        ; implicit-def: $vgpr16
                                        ; kill: killed $vgpr16
	s_and_saveexec_b32 s23, s9
	s_delay_alu instid0(SALU_CYCLE_1)
	s_xor_b32 s9, exec_lo, s23
	s_cbranch_execz .LBB450_3255
; %bb.3254:                             ;   in Loop: Header=BB450_3110 Depth=1
	v_bfe_u32 v16, v12, 16, 1
	s_delay_alu instid0(VALU_DEP_1)
	v_add3_u32 v12, v12, v16, 0x7fff
	scratch_store_b32 off, v12, s32 offset:496 ; 4-byte Folded Spill
                                        ; implicit-def: $vgpr12
.LBB450_3255:                           ;   in Loop: Header=BB450_3110 Depth=1
	s_and_not1_saveexec_b32 s23, s9
	s_cbranch_execz .LBB450_3257
; %bb.3256:                             ;   in Loop: Header=BB450_3110 Depth=1
	v_and_b32_e32 v16, 0xffff, v12
	v_or_b32_e32 v18, 0x10000, v12
	s_delay_alu instid0(VALU_DEP_2) | instskip(NEXT) | instid1(VALU_DEP_1)
	v_cmp_eq_u32_e64 s9, 0, v16
	v_cndmask_b32_e64 v12, v18, v12, s9
	scratch_store_b32 off, v12, s32 offset:496 ; 4-byte Folded Spill
.LBB450_3257:                           ;   in Loop: Header=BB450_3110 Depth=1
	s_or_b32 exec_lo, exec_lo, s23
	v_and_b32_e32 v165, 0xffff0000, v11
	v_lshlrev_b32_e32 v9, 16, v9
	s_delay_alu instid0(VALU_DEP_1) | instskip(NEXT) | instid1(VALU_DEP_1)
	v_mul_f32_e32 v9, v165, v9
	v_and_b32_e32 v11, 0x7f800000, v9
	s_delay_alu instid0(VALU_DEP_1) | instskip(NEXT) | instid1(VALU_DEP_1)
	v_cmp_ne_u32_e64 s9, 0x7f800000, v11
                                        ; implicit-def: $vgpr11
                                        ; kill: killed $vgpr11
	s_and_saveexec_b32 s23, s9
	s_delay_alu instid0(SALU_CYCLE_1)
	s_xor_b32 s9, exec_lo, s23
	s_cbranch_execz .LBB450_3259
; %bb.3258:                             ;   in Loop: Header=BB450_3110 Depth=1
	v_bfe_u32 v11, v9, 16, 1
	s_delay_alu instid0(VALU_DEP_1)
	v_add3_u32 v9, v9, v11, 0x7fff
	scratch_store_b32 off, v9, s32 offset:500 ; 4-byte Folded Spill
                                        ; implicit-def: $vgpr9
.LBB450_3259:                           ;   in Loop: Header=BB450_3110 Depth=1
	s_and_not1_saveexec_b32 s23, s9
	s_cbranch_execz .LBB450_3261
; %bb.3260:                             ;   in Loop: Header=BB450_3110 Depth=1
	v_and_b32_e32 v11, 0xffff, v9
	v_or_b32_e32 v12, 0x10000, v9
	s_delay_alu instid0(VALU_DEP_2) | instskip(NEXT) | instid1(VALU_DEP_1)
	v_cmp_eq_u32_e64 s9, 0, v11
	v_cndmask_b32_e64 v9, v12, v9, s9
	scratch_store_b32 off, v9, s32 offset:500 ; 4-byte Folded Spill
.LBB450_3261:                           ;   in Loop: Header=BB450_3110 Depth=1
	s_or_b32 exec_lo, exec_lo, s23
	v_and_b32_e32 v166, 0xffff0000, v10
	v_lshlrev_b32_e32 v8, 16, v8
	s_delay_alu instid0(VALU_DEP_1) | instskip(NEXT) | instid1(VALU_DEP_1)
	v_mul_f32_e32 v8, v166, v8
	v_and_b32_e32 v9, 0x7f800000, v8
	s_delay_alu instid0(VALU_DEP_1) | instskip(NEXT) | instid1(VALU_DEP_1)
	v_cmp_ne_u32_e64 s9, 0x7f800000, v9
                                        ; implicit-def: $vgpr9
                                        ; kill: killed $vgpr9
	s_and_saveexec_b32 s23, s9
	s_delay_alu instid0(SALU_CYCLE_1)
	s_xor_b32 s9, exec_lo, s23
	s_cbranch_execz .LBB450_3263
; %bb.3262:                             ;   in Loop: Header=BB450_3110 Depth=1
	v_bfe_u32 v9, v8, 16, 1
	s_delay_alu instid0(VALU_DEP_1)
	v_add3_u32 v8, v8, v9, 0x7fff
	scratch_store_b32 off, v8, s32 offset:504 ; 4-byte Folded Spill
                                        ; implicit-def: $vgpr8
.LBB450_3263:                           ;   in Loop: Header=BB450_3110 Depth=1
	s_and_not1_saveexec_b32 s23, s9
	s_cbranch_execz .LBB450_3265
; %bb.3264:                             ;   in Loop: Header=BB450_3110 Depth=1
	v_and_b32_e32 v9, 0xffff, v8
	v_or_b32_e32 v10, 0x10000, v8
	s_delay_alu instid0(VALU_DEP_2) | instskip(NEXT) | instid1(VALU_DEP_1)
	v_cmp_eq_u32_e64 s9, 0, v9
	v_cndmask_b32_e64 v8, v10, v8, s9
	scratch_store_b32 off, v8, s32 offset:504 ; 4-byte Folded Spill
.LBB450_3265:                           ;   in Loop: Header=BB450_3110 Depth=1
	s_or_b32 exec_lo, exec_lo, s23
	v_and_b32_e32 v167, 0xffff0000, v5
	v_lshlrev_b32_e32 v5, 16, v7
	s_delay_alu instid0(VALU_DEP_1) | instskip(NEXT) | instid1(VALU_DEP_1)
	v_mul_f32_e32 v5, v167, v5
	v_and_b32_e32 v7, 0x7f800000, v5
	s_delay_alu instid0(VALU_DEP_1) | instskip(NEXT) | instid1(VALU_DEP_1)
	v_cmp_ne_u32_e64 s9, 0x7f800000, v7
                                        ; implicit-def: $vgpr7
                                        ; kill: killed $vgpr7
	s_and_saveexec_b32 s23, s9
	s_delay_alu instid0(SALU_CYCLE_1)
	s_xor_b32 s9, exec_lo, s23
	s_cbranch_execz .LBB450_3267
; %bb.3266:                             ;   in Loop: Header=BB450_3110 Depth=1
	v_bfe_u32 v7, v5, 16, 1
	s_delay_alu instid0(VALU_DEP_1)
	v_add3_u32 v5, v5, v7, 0x7fff
	scratch_store_b32 off, v5, s32 offset:508 ; 4-byte Folded Spill
                                        ; implicit-def: $vgpr5
.LBB450_3267:                           ;   in Loop: Header=BB450_3110 Depth=1
	s_and_not1_saveexec_b32 s23, s9
	s_cbranch_execz .LBB450_3269
; %bb.3268:                             ;   in Loop: Header=BB450_3110 Depth=1
	v_and_b32_e32 v7, 0xffff, v5
	v_or_b32_e32 v8, 0x10000, v5
	s_delay_alu instid0(VALU_DEP_2) | instskip(NEXT) | instid1(VALU_DEP_1)
	v_cmp_eq_u32_e64 s9, 0, v7
	v_cndmask_b32_e64 v5, v8, v5, s9
	scratch_store_b32 off, v5, s32 offset:508 ; 4-byte Folded Spill
.LBB450_3269:                           ;   in Loop: Header=BB450_3110 Depth=1
	s_or_b32 exec_lo, exec_lo, s23
	v_and_b32_e32 v176, 0xffff0000, v4
	v_lshlrev_b32_e32 v4, 16, v6
	s_delay_alu instid0(VALU_DEP_1) | instskip(NEXT) | instid1(VALU_DEP_1)
	v_mul_f32_e32 v4, v176, v4
	v_and_b32_e32 v5, 0x7f800000, v4
	s_delay_alu instid0(VALU_DEP_1) | instskip(NEXT) | instid1(VALU_DEP_1)
	v_cmp_ne_u32_e64 s9, 0x7f800000, v5
                                        ; implicit-def: $vgpr5
                                        ; kill: killed $vgpr5
	s_and_saveexec_b32 s23, s9
	s_delay_alu instid0(SALU_CYCLE_1)
	s_xor_b32 s9, exec_lo, s23
	s_cbranch_execz .LBB450_3271
; %bb.3270:                             ;   in Loop: Header=BB450_3110 Depth=1
	v_bfe_u32 v5, v4, 16, 1
	s_delay_alu instid0(VALU_DEP_1)
	v_add3_u32 v4, v4, v5, 0x7fff
	scratch_store_b32 off, v4, s32 offset:512 ; 4-byte Folded Spill
                                        ; implicit-def: $vgpr4
.LBB450_3271:                           ;   in Loop: Header=BB450_3110 Depth=1
	s_and_not1_saveexec_b32 s23, s9
	s_cbranch_execz .LBB450_3273
; %bb.3272:                             ;   in Loop: Header=BB450_3110 Depth=1
	v_and_b32_e32 v5, 0xffff, v4
	v_or_b32_e32 v6, 0x10000, v4
	s_delay_alu instid0(VALU_DEP_2) | instskip(NEXT) | instid1(VALU_DEP_1)
	v_cmp_eq_u32_e64 s9, 0, v5
	v_cndmask_b32_e64 v4, v6, v4, s9
	scratch_store_b32 off, v4, s32 offset:512 ; 4-byte Folded Spill
.LBB450_3273:                           ;   in Loop: Header=BB450_3110 Depth=1
	s_or_b32 exec_lo, exec_lo, s23
	flat_load_b64 v[6:7], v[2:3] offset:256
	s_mov_b32 s23, exec_lo
	s_waitcnt vmcnt(0) lgkmcnt(0)
	v_dual_mov_b32 v4, 0 :: v_dual_and_b32 v5, 0xff, v6
	s_delay_alu instid0(VALU_DEP_1)
	v_cmpx_ne_u16_e32 0, v5
	s_cbranch_execz .LBB450_3281
; %bb.3274:                             ;   in Loop: Header=BB450_3110 Depth=1
	v_bfrev_b32_e32 v4, 1
	s_mov_b32 s24, exec_lo
	v_cmpx_ne_u16_e32 0x80, v5
	s_cbranch_execz .LBB450_3280
; %bb.3275:                             ;   in Loop: Header=BB450_3110 Depth=1
	v_and_b32_e32 v5, 0x7f, v6
	v_mov_b32_e32 v4, 0x7f800001
	s_mov_b32 s25, exec_lo
	s_delay_alu instid0(VALU_DEP_2)
	v_cmpx_ne_u32_e32 0x7f, v5
	s_cbranch_execz .LBB450_3279
; %bb.3276:                             ;   in Loop: Header=BB450_3110 Depth=1
	v_lshrrev_b32_e32 v4, 3, v5
	v_dual_mov_b32 v9, v7 :: v_dual_mov_b32 v8, v6
	s_mov_b32 s26, exec_lo
	v_cmpx_gt_u32_e32 8, v5
; %bb.3277:                             ;   in Loop: Header=BB450_3110 Depth=1
	v_and_b32_e32 v4, 7, v6
	s_delay_alu instid0(VALU_DEP_1) | instskip(NEXT) | instid1(VALU_DEP_1)
	v_clz_i32_u32_e32 v4, v4
	v_min_u32_e32 v4, 32, v4
	s_delay_alu instid0(VALU_DEP_1) | instskip(SKIP_1) | instid1(VALU_DEP_2)
	v_subrev_nc_u32_e32 v5, 28, v4
	v_sub_nc_u32_e32 v4, 29, v4
	v_lshlrev_b64 v[8:9], v5, v[6:7]
; %bb.3278:                             ;   in Loop: Header=BB450_3110 Depth=1
	s_or_b32 exec_lo, exec_lo, s26
	s_delay_alu instid0(VALU_DEP_1) | instskip(SKIP_2) | instid1(VALU_DEP_3)
	v_lshlrev_b32_e32 v5, 20, v8
	v_lshlrev_b32_e32 v8, 24, v6
	v_lshl_add_u32 v4, v4, 23, 0x3c000000
	v_and_b32_e32 v5, 0x700000, v5
	s_delay_alu instid0(VALU_DEP_3) | instskip(NEXT) | instid1(VALU_DEP_1)
	v_and_b32_e32 v8, 0x80000000, v8
	v_or3_b32 v4, v5, v8, v4
.LBB450_3279:                           ;   in Loop: Header=BB450_3110 Depth=1
	s_or_b32 exec_lo, exec_lo, s25
.LBB450_3280:                           ;   in Loop: Header=BB450_3110 Depth=1
	s_delay_alu instid0(SALU_CYCLE_1)
	s_or_b32 exec_lo, exec_lo, s24
.LBB450_3281:                           ;   in Loop: Header=BB450_3110 Depth=1
	s_delay_alu instid0(SALU_CYCLE_1) | instskip(NEXT) | instid1(VALU_DEP_1)
	s_or_b32 exec_lo, exec_lo, s23
	v_mul_f32_e32 v5, v160, v4
	s_delay_alu instid0(VALU_DEP_1) | instskip(NEXT) | instid1(VALU_DEP_1)
	v_and_b32_e32 v4, 0x7f800000, v5
	v_cmp_ne_u32_e64 s9, 0x7f800000, v4
                                        ; implicit-def: $vgpr4
	s_delay_alu instid0(VALU_DEP_1) | instskip(NEXT) | instid1(SALU_CYCLE_1)
	s_and_saveexec_b32 s23, s9
	s_xor_b32 s9, exec_lo, s23
; %bb.3282:                             ;   in Loop: Header=BB450_3110 Depth=1
	v_bfe_u32 v4, v5, 16, 1
	s_delay_alu instid0(VALU_DEP_1)
	v_add3_u32 v4, v5, v4, 0x7fff
                                        ; implicit-def: $vgpr5
; %bb.3283:                             ;   in Loop: Header=BB450_3110 Depth=1
	s_and_not1_saveexec_b32 s23, s9
; %bb.3284:                             ;   in Loop: Header=BB450_3110 Depth=1
	v_and_b32_e32 v4, 0xffff, v5
	v_or_b32_e32 v8, 0x10000, v5
	s_delay_alu instid0(VALU_DEP_2) | instskip(NEXT) | instid1(VALU_DEP_1)
	v_cmp_eq_u32_e64 s9, 0, v4
	v_cndmask_b32_e64 v4, v8, v5, s9
; %bb.3285:                             ;   in Loop: Header=BB450_3110 Depth=1
	s_or_b32 exec_lo, exec_lo, s23
	v_lshrrev_b16 v8, 8, v6
	v_mov_b32_e32 v5, 0
	s_mov_b32 s23, exec_lo
	s_delay_alu instid0(VALU_DEP_2)
	v_cmpx_ne_u16_e32 0, v8
	s_cbranch_execz .LBB450_3293
; %bb.3286:                             ;   in Loop: Header=BB450_3110 Depth=1
	v_bfrev_b32_e32 v5, 1
	s_mov_b32 s24, exec_lo
	v_cmpx_ne_u16_e32 0x80, v8
	s_cbranch_execz .LBB450_3292
; %bb.3287:                             ;   in Loop: Header=BB450_3110 Depth=1
	v_and_b32_e32 v9, 0xffff, v8
	v_mov_b32_e32 v5, 0x7f800001
	s_mov_b32 s25, exec_lo
	s_delay_alu instid0(VALU_DEP_2) | instskip(NEXT) | instid1(VALU_DEP_1)
	v_and_b32_e32 v8, 0x7f, v9
	v_cmpx_ne_u32_e32 0x7f, v8
	s_cbranch_execz .LBB450_3291
; %bb.3288:                             ;   in Loop: Header=BB450_3110 Depth=1
	v_and_b32_e32 v12, 7, v9
	v_lshrrev_b32_e32 v5, 3, v8
	v_cmp_gt_u32_e64 s9, 8, v8
	s_delay_alu instid0(VALU_DEP_3) | instskip(NEXT) | instid1(VALU_DEP_2)
	v_dual_mov_b32 v8, v12 :: v_dual_mov_b32 v9, v13
	s_and_saveexec_b32 s26, s9
; %bb.3289:                             ;   in Loop: Header=BB450_3110 Depth=1
	v_clz_i32_u32_e32 v5, v12
	s_delay_alu instid0(VALU_DEP_1) | instskip(NEXT) | instid1(VALU_DEP_1)
	v_min_u32_e32 v5, 32, v5
	v_subrev_nc_u32_e32 v8, 28, v5
	v_sub_nc_u32_e32 v5, 29, v5
	s_delay_alu instid0(VALU_DEP_2) | instskip(NEXT) | instid1(VALU_DEP_1)
	v_lshlrev_b64 v[8:9], v8, v[12:13]
	v_and_b32_e32 v8, 7, v8
; %bb.3290:                             ;   in Loop: Header=BB450_3110 Depth=1
	s_or_b32 exec_lo, exec_lo, s26
	v_lshlrev_b32_e32 v9, 16, v6
	s_delay_alu instid0(VALU_DEP_2) | instskip(SKIP_1) | instid1(VALU_DEP_3)
	v_lshlrev_b32_e32 v8, 20, v8
	v_lshl_add_u32 v5, v5, 23, 0x3c000000
	v_and_b32_e32 v9, 0x80000000, v9
	s_delay_alu instid0(VALU_DEP_1)
	v_or3_b32 v5, v8, v9, v5
.LBB450_3291:                           ;   in Loop: Header=BB450_3110 Depth=1
	s_or_b32 exec_lo, exec_lo, s25
.LBB450_3292:                           ;   in Loop: Header=BB450_3110 Depth=1
	s_delay_alu instid0(SALU_CYCLE_1)
	s_or_b32 exec_lo, exec_lo, s24
.LBB450_3293:                           ;   in Loop: Header=BB450_3110 Depth=1
	s_delay_alu instid0(SALU_CYCLE_1) | instskip(NEXT) | instid1(VALU_DEP_1)
	s_or_b32 exec_lo, exec_lo, s23
	v_mul_f32_e32 v8, v160, v5
	s_delay_alu instid0(VALU_DEP_1) | instskip(NEXT) | instid1(VALU_DEP_1)
	v_and_b32_e32 v5, 0x7f800000, v8
	v_cmp_ne_u32_e64 s9, 0x7f800000, v5
                                        ; implicit-def: $vgpr5
	s_delay_alu instid0(VALU_DEP_1) | instskip(NEXT) | instid1(SALU_CYCLE_1)
	s_and_saveexec_b32 s23, s9
	s_xor_b32 s9, exec_lo, s23
; %bb.3294:                             ;   in Loop: Header=BB450_3110 Depth=1
	v_bfe_u32 v5, v8, 16, 1
	s_delay_alu instid0(VALU_DEP_1)
	v_add3_u32 v5, v8, v5, 0x7fff
                                        ; implicit-def: $vgpr8
; %bb.3295:                             ;   in Loop: Header=BB450_3110 Depth=1
	s_and_not1_saveexec_b32 s23, s9
; %bb.3296:                             ;   in Loop: Header=BB450_3110 Depth=1
	v_and_b32_e32 v5, 0xffff, v8
	v_or_b32_e32 v9, 0x10000, v8
	s_delay_alu instid0(VALU_DEP_2) | instskip(NEXT) | instid1(VALU_DEP_1)
	v_cmp_eq_u32_e64 s9, 0, v5
	v_cndmask_b32_e64 v5, v9, v8, s9
; %bb.3297:                             ;   in Loop: Header=BB450_3110 Depth=1
	s_or_b32 exec_lo, exec_lo, s23
	v_lshrrev_b32_e32 v10, 16, v6
	s_mov_b32 s23, exec_lo
	s_delay_alu instid0(VALU_DEP_1) | instskip(NEXT) | instid1(VALU_DEP_1)
	v_dual_mov_b32 v8, 0 :: v_dual_and_b32 v9, 0xff, v10
	v_cmpx_ne_u16_e32 0, v9
	s_cbranch_execz .LBB450_3305
; %bb.3298:                             ;   in Loop: Header=BB450_3110 Depth=1
	v_bfrev_b32_e32 v8, 1
	s_mov_b32 s24, exec_lo
	v_cmpx_ne_u16_e32 0x80, v9
	s_cbranch_execz .LBB450_3304
; %bb.3299:                             ;   in Loop: Header=BB450_3110 Depth=1
	v_bfe_u32 v9, v6, 16, 7
	v_mov_b32_e32 v8, 0x7f800001
	s_mov_b32 s25, exec_lo
	s_delay_alu instid0(VALU_DEP_2)
	v_cmpx_ne_u32_e32 0x7f, v9
	s_cbranch_execz .LBB450_3303
; %bb.3300:                             ;   in Loop: Header=BB450_3110 Depth=1
	v_and_b32_e32 v12, 7, v10
	v_lshrrev_b32_e32 v11, 3, v9
	v_cmp_gt_u32_e64 s9, 8, v9
	s_delay_alu instid0(VALU_DEP_3) | instskip(NEXT) | instid1(VALU_DEP_2)
	v_dual_mov_b32 v8, v12 :: v_dual_mov_b32 v9, v13
	s_and_saveexec_b32 s26, s9
; %bb.3301:                             ;   in Loop: Header=BB450_3110 Depth=1
	v_clz_i32_u32_e32 v8, v12
	s_delay_alu instid0(VALU_DEP_1) | instskip(NEXT) | instid1(VALU_DEP_1)
	v_min_u32_e32 v11, 32, v8
	v_subrev_nc_u32_e32 v8, 28, v11
	v_sub_nc_u32_e32 v11, 29, v11
	s_delay_alu instid0(VALU_DEP_2) | instskip(NEXT) | instid1(VALU_DEP_1)
	v_lshlrev_b64 v[8:9], v8, v[12:13]
	v_and_b32_e32 v8, 7, v8
; %bb.3302:                             ;   in Loop: Header=BB450_3110 Depth=1
	s_or_b32 exec_lo, exec_lo, s26
	v_lshlrev_b32_e32 v9, 24, v10
	s_delay_alu instid0(VALU_DEP_2) | instskip(SKIP_1) | instid1(VALU_DEP_3)
	v_lshlrev_b32_e32 v8, 20, v8
	v_lshl_add_u32 v10, v11, 23, 0x3c000000
	v_and_b32_e32 v9, 0x80000000, v9
	s_delay_alu instid0(VALU_DEP_1)
	v_or3_b32 v8, v8, v9, v10
.LBB450_3303:                           ;   in Loop: Header=BB450_3110 Depth=1
	s_or_b32 exec_lo, exec_lo, s25
.LBB450_3304:                           ;   in Loop: Header=BB450_3110 Depth=1
	s_delay_alu instid0(SALU_CYCLE_1)
	s_or_b32 exec_lo, exec_lo, s24
.LBB450_3305:                           ;   in Loop: Header=BB450_3110 Depth=1
	s_delay_alu instid0(SALU_CYCLE_1) | instskip(NEXT) | instid1(VALU_DEP_1)
	s_or_b32 exec_lo, exec_lo, s23
	v_mul_f32_e32 v8, v160, v8
                                        ; implicit-def: $vgpr10
	s_delay_alu instid0(VALU_DEP_1) | instskip(NEXT) | instid1(VALU_DEP_1)
	v_and_b32_e32 v9, 0x7f800000, v8
	v_cmp_ne_u32_e64 s9, 0x7f800000, v9
	s_delay_alu instid0(VALU_DEP_1) | instskip(NEXT) | instid1(SALU_CYCLE_1)
	s_and_saveexec_b32 s23, s9
	s_xor_b32 s9, exec_lo, s23
; %bb.3306:                             ;   in Loop: Header=BB450_3110 Depth=1
	v_bfe_u32 v9, v8, 16, 1
	s_delay_alu instid0(VALU_DEP_1)
	v_add3_u32 v10, v8, v9, 0x7fff
                                        ; implicit-def: $vgpr8
; %bb.3307:                             ;   in Loop: Header=BB450_3110 Depth=1
	s_and_not1_saveexec_b32 s23, s9
; %bb.3308:                             ;   in Loop: Header=BB450_3110 Depth=1
	v_and_b32_e32 v9, 0xffff, v8
	v_or_b32_e32 v10, 0x10000, v8
	s_delay_alu instid0(VALU_DEP_2) | instskip(NEXT) | instid1(VALU_DEP_1)
	v_cmp_eq_u32_e64 s9, 0, v9
	v_cndmask_b32_e64 v10, v10, v8, s9
; %bb.3309:                             ;   in Loop: Header=BB450_3110 Depth=1
	s_or_b32 exec_lo, exec_lo, s23
	v_mov_b32_e32 v8, 0
	s_mov_b32 s23, exec_lo
	v_cmpx_lt_u32_e32 0xffffff, v6
	s_cbranch_execz .LBB450_3317
; %bb.3310:                             ;   in Loop: Header=BB450_3110 Depth=1
	v_lshrrev_b32_e32 v11, 24, v6
	v_bfrev_b32_e32 v8, 1
	s_mov_b32 s24, exec_lo
	s_delay_alu instid0(VALU_DEP_2)
	v_cmpx_ne_u32_e32 0x80, v11
	s_cbranch_execz .LBB450_3316
; %bb.3311:                             ;   in Loop: Header=BB450_3110 Depth=1
	v_bfe_u32 v9, v6, 24, 7
	v_mov_b32_e32 v8, 0x7f800001
	s_mov_b32 s25, exec_lo
	s_delay_alu instid0(VALU_DEP_2)
	v_cmpx_ne_u32_e32 0x7f, v9
	s_cbranch_execz .LBB450_3315
; %bb.3312:                             ;   in Loop: Header=BB450_3110 Depth=1
	v_and_b32_e32 v12, 7, v11
	v_lshrrev_b32_e32 v16, 3, v9
	v_cmp_gt_u32_e64 s9, 8, v9
	s_delay_alu instid0(VALU_DEP_3) | instskip(NEXT) | instid1(VALU_DEP_2)
	v_dual_mov_b32 v8, v12 :: v_dual_mov_b32 v9, v13
	s_and_saveexec_b32 s26, s9
; %bb.3313:                             ;   in Loop: Header=BB450_3110 Depth=1
	v_clz_i32_u32_e32 v8, v12
	s_delay_alu instid0(VALU_DEP_1) | instskip(NEXT) | instid1(VALU_DEP_1)
	v_min_u32_e32 v16, 32, v8
	v_subrev_nc_u32_e32 v8, 28, v16
	v_sub_nc_u32_e32 v16, 29, v16
	s_delay_alu instid0(VALU_DEP_2) | instskip(NEXT) | instid1(VALU_DEP_1)
	v_lshlrev_b64 v[8:9], v8, v[12:13]
	v_and_b32_e32 v8, 7, v8
; %bb.3314:                             ;   in Loop: Header=BB450_3110 Depth=1
	s_or_b32 exec_lo, exec_lo, s26
	v_lshlrev_b32_e32 v9, 24, v11
	s_delay_alu instid0(VALU_DEP_2) | instskip(SKIP_1) | instid1(VALU_DEP_3)
	v_lshlrev_b32_e32 v8, 20, v8
	v_lshl_add_u32 v11, v16, 23, 0x3c000000
	v_and_b32_e32 v9, 0x80000000, v9
	s_delay_alu instid0(VALU_DEP_1)
	v_or3_b32 v8, v8, v9, v11
.LBB450_3315:                           ;   in Loop: Header=BB450_3110 Depth=1
	s_or_b32 exec_lo, exec_lo, s25
.LBB450_3316:                           ;   in Loop: Header=BB450_3110 Depth=1
	s_delay_alu instid0(SALU_CYCLE_1)
	s_or_b32 exec_lo, exec_lo, s24
.LBB450_3317:                           ;   in Loop: Header=BB450_3110 Depth=1
	s_delay_alu instid0(SALU_CYCLE_1) | instskip(NEXT) | instid1(VALU_DEP_1)
	s_or_b32 exec_lo, exec_lo, s23
	v_mul_f32_e32 v8, v160, v8
                                        ; implicit-def: $vgpr11
	s_delay_alu instid0(VALU_DEP_1) | instskip(NEXT) | instid1(VALU_DEP_1)
	v_and_b32_e32 v9, 0x7f800000, v8
	v_cmp_ne_u32_e64 s9, 0x7f800000, v9
	s_delay_alu instid0(VALU_DEP_1) | instskip(NEXT) | instid1(SALU_CYCLE_1)
	s_and_saveexec_b32 s23, s9
	s_xor_b32 s9, exec_lo, s23
; %bb.3318:                             ;   in Loop: Header=BB450_3110 Depth=1
	v_bfe_u32 v9, v8, 16, 1
	s_delay_alu instid0(VALU_DEP_1)
	v_add3_u32 v11, v8, v9, 0x7fff
                                        ; implicit-def: $vgpr8
; %bb.3319:                             ;   in Loop: Header=BB450_3110 Depth=1
	s_and_not1_saveexec_b32 s23, s9
; %bb.3320:                             ;   in Loop: Header=BB450_3110 Depth=1
	v_and_b32_e32 v9, 0xffff, v8
	v_or_b32_e32 v11, 0x10000, v8
	s_delay_alu instid0(VALU_DEP_2) | instskip(NEXT) | instid1(VALU_DEP_1)
	v_cmp_eq_u32_e64 s9, 0, v9
	v_cndmask_b32_e64 v11, v11, v8, s9
; %bb.3321:                             ;   in Loop: Header=BB450_3110 Depth=1
	s_or_b32 exec_lo, exec_lo, s23
	v_dual_mov_b32 v12, v7 :: v_dual_and_b32 v9, 0xff, v7
	v_mov_b32_e32 v8, 0
	s_mov_b32 s23, exec_lo
	s_delay_alu instid0(VALU_DEP_2)
	v_cmpx_ne_u16_e32 0, v9
	s_cbranch_execz .LBB450_3329
; %bb.3322:                             ;   in Loop: Header=BB450_3110 Depth=1
	v_bfrev_b32_e32 v8, 1
	s_mov_b32 s24, exec_lo
	v_cmpx_ne_u16_e32 0x80, v9
	s_cbranch_execz .LBB450_3328
; %bb.3323:                             ;   in Loop: Header=BB450_3110 Depth=1
	v_and_b32_e32 v9, 0x7f, v7
	v_mov_b32_e32 v8, 0x7f800001
	s_mov_b32 s25, exec_lo
	s_delay_alu instid0(VALU_DEP_2)
	v_cmpx_ne_u32_e32 0x7f, v9
	s_cbranch_execz .LBB450_3327
; %bb.3324:                             ;   in Loop: Header=BB450_3110 Depth=1
	v_lshrrev_b32_e32 v16, 3, v9
	v_cmp_gt_u32_e64 s9, 8, v9
	v_dual_mov_b32 v8, v12 :: v_dual_mov_b32 v9, v13
	s_delay_alu instid0(VALU_DEP_2)
	s_and_saveexec_b32 s26, s9
; %bb.3325:                             ;   in Loop: Header=BB450_3110 Depth=1
	v_and_b32_e32 v8, 7, v7
	s_delay_alu instid0(VALU_DEP_1) | instskip(NEXT) | instid1(VALU_DEP_1)
	v_clz_i32_u32_e32 v8, v8
	v_min_u32_e32 v16, 32, v8
	s_delay_alu instid0(VALU_DEP_1) | instskip(SKIP_1) | instid1(VALU_DEP_2)
	v_subrev_nc_u32_e32 v8, 28, v16
	v_sub_nc_u32_e32 v16, 29, v16
	v_lshlrev_b64 v[8:9], v8, v[12:13]
; %bb.3326:                             ;   in Loop: Header=BB450_3110 Depth=1
	s_or_b32 exec_lo, exec_lo, s26
	s_delay_alu instid0(VALU_DEP_1) | instskip(SKIP_2) | instid1(VALU_DEP_3)
	v_lshlrev_b32_e32 v8, 20, v8
	v_lshlrev_b32_e32 v9, 24, v12
	v_lshl_add_u32 v16, v16, 23, 0x3c000000
	v_and_b32_e32 v8, 0x700000, v8
	s_delay_alu instid0(VALU_DEP_3) | instskip(NEXT) | instid1(VALU_DEP_1)
	v_and_b32_e32 v9, 0x80000000, v9
	v_or3_b32 v8, v8, v9, v16
.LBB450_3327:                           ;   in Loop: Header=BB450_3110 Depth=1
	s_or_b32 exec_lo, exec_lo, s25
.LBB450_3328:                           ;   in Loop: Header=BB450_3110 Depth=1
	s_delay_alu instid0(SALU_CYCLE_1)
	s_or_b32 exec_lo, exec_lo, s24
.LBB450_3329:                           ;   in Loop: Header=BB450_3110 Depth=1
	s_delay_alu instid0(SALU_CYCLE_1) | instskip(NEXT) | instid1(VALU_DEP_1)
	s_or_b32 exec_lo, exec_lo, s23
	v_mul_f32_e32 v8, v160, v8
                                        ; implicit-def: $vgpr16
	s_delay_alu instid0(VALU_DEP_1) | instskip(NEXT) | instid1(VALU_DEP_1)
	v_and_b32_e32 v9, 0x7f800000, v8
	v_cmp_ne_u32_e64 s9, 0x7f800000, v9
	s_delay_alu instid0(VALU_DEP_1) | instskip(NEXT) | instid1(SALU_CYCLE_1)
	s_and_saveexec_b32 s23, s9
	s_xor_b32 s9, exec_lo, s23
; %bb.3330:                             ;   in Loop: Header=BB450_3110 Depth=1
	v_bfe_u32 v9, v8, 16, 1
	s_delay_alu instid0(VALU_DEP_1)
	v_add3_u32 v16, v8, v9, 0x7fff
                                        ; implicit-def: $vgpr8
; %bb.3331:                             ;   in Loop: Header=BB450_3110 Depth=1
	s_and_not1_saveexec_b32 s23, s9
; %bb.3332:                             ;   in Loop: Header=BB450_3110 Depth=1
	v_and_b32_e32 v9, 0xffff, v8
	v_or_b32_e32 v16, 0x10000, v8
	s_delay_alu instid0(VALU_DEP_2) | instskip(NEXT) | instid1(VALU_DEP_1)
	v_cmp_eq_u32_e64 s9, 0, v9
	v_cndmask_b32_e64 v16, v16, v8, s9
; %bb.3333:                             ;   in Loop: Header=BB450_3110 Depth=1
	s_or_b32 exec_lo, exec_lo, s23
	v_lshrrev_b16 v9, 8, v12
	v_mov_b32_e32 v8, 0
	s_mov_b32 s23, exec_lo
	s_delay_alu instid0(VALU_DEP_2)
	v_cmpx_ne_u16_e32 0, v9
	s_cbranch_execz .LBB450_3341
; %bb.3334:                             ;   in Loop: Header=BB450_3110 Depth=1
	v_bfrev_b32_e32 v8, 1
	s_mov_b32 s24, exec_lo
	v_cmpx_ne_u16_e32 0x80, v9
	s_cbranch_execz .LBB450_3340
; %bb.3335:                             ;   in Loop: Header=BB450_3110 Depth=1
	v_and_b32_e32 v9, 0xffff, v9
	v_mov_b32_e32 v8, 0x7f800001
	s_mov_b32 s25, exec_lo
	s_delay_alu instid0(VALU_DEP_2) | instskip(NEXT) | instid1(VALU_DEP_1)
	v_and_b32_e32 v19, 0x7f, v9
	v_cmpx_ne_u32_e32 0x7f, v19
	s_cbranch_execz .LBB450_3339
; %bb.3336:                             ;   in Loop: Header=BB450_3110 Depth=1
	v_dual_mov_b32 v9, v13 :: v_dual_and_b32 v8, 7, v9
	v_lshrrev_b32_e32 v18, 3, v19
	s_mov_b32 s26, exec_lo
	v_cmpx_gt_u32_e32 8, v19
; %bb.3337:                             ;   in Loop: Header=BB450_3110 Depth=1
	s_delay_alu instid0(VALU_DEP_3) | instskip(NEXT) | instid1(VALU_DEP_1)
	v_clz_i32_u32_e32 v18, v8
	v_min_u32_e32 v18, 32, v18
	s_delay_alu instid0(VALU_DEP_1) | instskip(SKIP_1) | instid1(VALU_DEP_2)
	v_subrev_nc_u32_e32 v19, 28, v18
	v_sub_nc_u32_e32 v18, 29, v18
	v_lshlrev_b64 v[8:9], v19, v[8:9]
	s_delay_alu instid0(VALU_DEP_1)
	v_and_b32_e32 v8, 7, v8
; %bb.3338:                             ;   in Loop: Header=BB450_3110 Depth=1
	s_or_b32 exec_lo, exec_lo, s26
	v_lshlrev_b32_e32 v9, 16, v12
	s_delay_alu instid0(VALU_DEP_2) | instskip(SKIP_1) | instid1(VALU_DEP_3)
	v_lshlrev_b32_e32 v8, 20, v8
	v_lshl_add_u32 v12, v18, 23, 0x3c000000
	v_and_b32_e32 v9, 0x80000000, v9
	s_delay_alu instid0(VALU_DEP_1)
	v_or3_b32 v8, v8, v9, v12
.LBB450_3339:                           ;   in Loop: Header=BB450_3110 Depth=1
	s_or_b32 exec_lo, exec_lo, s25
.LBB450_3340:                           ;   in Loop: Header=BB450_3110 Depth=1
	s_delay_alu instid0(SALU_CYCLE_1)
	s_or_b32 exec_lo, exec_lo, s24
.LBB450_3341:                           ;   in Loop: Header=BB450_3110 Depth=1
	s_delay_alu instid0(SALU_CYCLE_1) | instskip(NEXT) | instid1(VALU_DEP_1)
	s_or_b32 exec_lo, exec_lo, s23
	v_mul_f32_e32 v8, v160, v8
                                        ; implicit-def: $vgpr18
	s_delay_alu instid0(VALU_DEP_1) | instskip(NEXT) | instid1(VALU_DEP_1)
	v_and_b32_e32 v9, 0x7f800000, v8
	v_cmp_ne_u32_e64 s9, 0x7f800000, v9
	s_delay_alu instid0(VALU_DEP_1) | instskip(NEXT) | instid1(SALU_CYCLE_1)
	s_and_saveexec_b32 s23, s9
	s_xor_b32 s9, exec_lo, s23
; %bb.3342:                             ;   in Loop: Header=BB450_3110 Depth=1
	v_bfe_u32 v9, v8, 16, 1
	s_delay_alu instid0(VALU_DEP_1)
	v_add3_u32 v18, v8, v9, 0x7fff
                                        ; implicit-def: $vgpr8
; %bb.3343:                             ;   in Loop: Header=BB450_3110 Depth=1
	s_and_not1_saveexec_b32 s23, s9
; %bb.3344:                             ;   in Loop: Header=BB450_3110 Depth=1
	v_and_b32_e32 v9, 0xffff, v8
	v_or_b32_e32 v12, 0x10000, v8
	s_delay_alu instid0(VALU_DEP_2) | instskip(NEXT) | instid1(VALU_DEP_1)
	v_cmp_eq_u32_e64 s9, 0, v9
	v_cndmask_b32_e64 v18, v12, v8, s9
; %bb.3345:                             ;   in Loop: Header=BB450_3110 Depth=1
	s_or_b32 exec_lo, exec_lo, s23
	v_lshrrev_b32_e32 v19, 16, v7
	s_mov_b32 s23, exec_lo
	s_delay_alu instid0(VALU_DEP_1) | instskip(NEXT) | instid1(VALU_DEP_1)
	v_dual_mov_b32 v8, 0 :: v_dual_and_b32 v9, 0xff, v19
	v_cmpx_ne_u16_e32 0, v9
	s_cbranch_execz .LBB450_3353
; %bb.3346:                             ;   in Loop: Header=BB450_3110 Depth=1
	v_bfrev_b32_e32 v8, 1
	s_mov_b32 s24, exec_lo
	v_cmpx_ne_u16_e32 0x80, v9
	s_cbranch_execz .LBB450_3352
; %bb.3347:                             ;   in Loop: Header=BB450_3110 Depth=1
	v_bfe_u32 v9, v7, 16, 7
	v_mov_b32_e32 v8, 0x7f800001
	s_mov_b32 s25, exec_lo
	s_delay_alu instid0(VALU_DEP_2)
	v_cmpx_ne_u32_e32 0x7f, v9
	s_cbranch_execz .LBB450_3351
; %bb.3348:                             ;   in Loop: Header=BB450_3110 Depth=1
	v_and_b32_e32 v12, 7, v19
	v_lshrrev_b32_e32 v20, 3, v9
	v_cmp_gt_u32_e64 s9, 8, v9
	s_delay_alu instid0(VALU_DEP_3) | instskip(NEXT) | instid1(VALU_DEP_2)
	v_dual_mov_b32 v8, v12 :: v_dual_mov_b32 v9, v13
	s_and_saveexec_b32 s26, s9
; %bb.3349:                             ;   in Loop: Header=BB450_3110 Depth=1
	v_clz_i32_u32_e32 v8, v12
	s_delay_alu instid0(VALU_DEP_1) | instskip(NEXT) | instid1(VALU_DEP_1)
	v_min_u32_e32 v20, 32, v8
	v_subrev_nc_u32_e32 v8, 28, v20
	v_sub_nc_u32_e32 v20, 29, v20
	s_delay_alu instid0(VALU_DEP_2) | instskip(NEXT) | instid1(VALU_DEP_1)
	v_lshlrev_b64 v[8:9], v8, v[12:13]
	v_and_b32_e32 v8, 7, v8
; %bb.3350:                             ;   in Loop: Header=BB450_3110 Depth=1
	s_or_b32 exec_lo, exec_lo, s26
	v_lshlrev_b32_e32 v9, 24, v19
	s_delay_alu instid0(VALU_DEP_2) | instskip(SKIP_1) | instid1(VALU_DEP_3)
	v_lshlrev_b32_e32 v8, 20, v8
	v_lshl_add_u32 v12, v20, 23, 0x3c000000
	v_and_b32_e32 v9, 0x80000000, v9
	s_delay_alu instid0(VALU_DEP_1)
	v_or3_b32 v8, v8, v9, v12
.LBB450_3351:                           ;   in Loop: Header=BB450_3110 Depth=1
	s_or_b32 exec_lo, exec_lo, s25
.LBB450_3352:                           ;   in Loop: Header=BB450_3110 Depth=1
	s_delay_alu instid0(SALU_CYCLE_1)
	s_or_b32 exec_lo, exec_lo, s24
.LBB450_3353:                           ;   in Loop: Header=BB450_3110 Depth=1
	s_delay_alu instid0(SALU_CYCLE_1) | instskip(NEXT) | instid1(VALU_DEP_1)
	s_or_b32 exec_lo, exec_lo, s23
	v_mul_f32_e32 v8, v160, v8
	s_delay_alu instid0(VALU_DEP_1) | instskip(NEXT) | instid1(VALU_DEP_1)
	v_and_b32_e32 v9, 0x7f800000, v8
	v_cmp_ne_u32_e64 s9, 0x7f800000, v9
                                        ; implicit-def: $vgpr9
	s_delay_alu instid0(VALU_DEP_1) | instskip(NEXT) | instid1(SALU_CYCLE_1)
	s_and_saveexec_b32 s23, s9
	s_xor_b32 s9, exec_lo, s23
; %bb.3354:                             ;   in Loop: Header=BB450_3110 Depth=1
	v_bfe_u32 v9, v8, 16, 1
	s_delay_alu instid0(VALU_DEP_1)
	v_add3_u32 v9, v8, v9, 0x7fff
                                        ; implicit-def: $vgpr8
; %bb.3355:                             ;   in Loop: Header=BB450_3110 Depth=1
	s_and_not1_saveexec_b32 s23, s9
; %bb.3356:                             ;   in Loop: Header=BB450_3110 Depth=1
	v_and_b32_e32 v9, 0xffff, v8
	v_or_b32_e32 v12, 0x10000, v8
	s_delay_alu instid0(VALU_DEP_2) | instskip(NEXT) | instid1(VALU_DEP_1)
	v_cmp_eq_u32_e64 s9, 0, v9
	v_cndmask_b32_e64 v9, v12, v8, s9
; %bb.3357:                             ;   in Loop: Header=BB450_3110 Depth=1
	s_or_b32 exec_lo, exec_lo, s23
	v_cmp_lt_u64_e64 s9, s[18:19], v[6:7]
	v_mov_b32_e32 v6, 0
	s_delay_alu instid0(VALU_DEP_2)
	s_and_saveexec_b32 s23, s9
	s_cbranch_execz .LBB450_3365
; %bb.3358:                             ;   in Loop: Header=BB450_3110 Depth=1
	v_lshrrev_b32_e32 v8, 24, v7
	v_bfrev_b32_e32 v6, 1
	s_mov_b32 s24, exec_lo
	s_delay_alu instid0(VALU_DEP_2)
	v_cmpx_ne_u32_e32 0x80, v8
	s_cbranch_execz .LBB450_3364
; %bb.3359:                             ;   in Loop: Header=BB450_3110 Depth=1
	v_bfe_u32 v7, v7, 24, 7
	v_mov_b32_e32 v6, 0x7f800001
	s_mov_b32 s25, exec_lo
	s_delay_alu instid0(VALU_DEP_2)
	v_cmpx_ne_u32_e32 0x7f, v7
	s_cbranch_execz .LBB450_3363
; %bb.3360:                             ;   in Loop: Header=BB450_3110 Depth=1
	v_and_b32_e32 v12, 7, v8
	v_lshrrev_b32_e32 v19, 3, v7
	v_cmp_gt_u32_e64 s9, 8, v7
	s_delay_alu instid0(VALU_DEP_3) | instskip(NEXT) | instid1(VALU_DEP_2)
	v_dual_mov_b32 v6, v12 :: v_dual_mov_b32 v7, v13
	s_and_saveexec_b32 s26, s9
; %bb.3361:                             ;   in Loop: Header=BB450_3110 Depth=1
	v_clz_i32_u32_e32 v6, v12
	s_delay_alu instid0(VALU_DEP_1) | instskip(NEXT) | instid1(VALU_DEP_1)
	v_min_u32_e32 v19, 32, v6
	v_subrev_nc_u32_e32 v6, 28, v19
	v_sub_nc_u32_e32 v19, 29, v19
	s_delay_alu instid0(VALU_DEP_2) | instskip(NEXT) | instid1(VALU_DEP_1)
	v_lshlrev_b64 v[6:7], v6, v[12:13]
	v_and_b32_e32 v6, 7, v6
; %bb.3362:                             ;   in Loop: Header=BB450_3110 Depth=1
	s_or_b32 exec_lo, exec_lo, s26
	v_lshlrev_b32_e32 v7, 24, v8
	s_delay_alu instid0(VALU_DEP_2) | instskip(SKIP_1) | instid1(VALU_DEP_3)
	v_lshlrev_b32_e32 v6, 20, v6
	v_lshl_add_u32 v8, v19, 23, 0x3c000000
	v_and_b32_e32 v7, 0x80000000, v7
	s_delay_alu instid0(VALU_DEP_1)
	v_or3_b32 v6, v6, v7, v8
.LBB450_3363:                           ;   in Loop: Header=BB450_3110 Depth=1
	s_or_b32 exec_lo, exec_lo, s25
.LBB450_3364:                           ;   in Loop: Header=BB450_3110 Depth=1
	s_delay_alu instid0(SALU_CYCLE_1)
	s_or_b32 exec_lo, exec_lo, s24
.LBB450_3365:                           ;   in Loop: Header=BB450_3110 Depth=1
	s_delay_alu instid0(SALU_CYCLE_1) | instskip(NEXT) | instid1(VALU_DEP_1)
	s_or_b32 exec_lo, exec_lo, s23
	v_mul_f32_e32 v6, v160, v6
                                        ; implicit-def: $vgpr19
	s_delay_alu instid0(VALU_DEP_1) | instskip(NEXT) | instid1(VALU_DEP_1)
	v_and_b32_e32 v7, 0x7f800000, v6
	v_cmp_ne_u32_e64 s9, 0x7f800000, v7
	s_delay_alu instid0(VALU_DEP_1) | instskip(NEXT) | instid1(SALU_CYCLE_1)
	s_and_saveexec_b32 s23, s9
	s_xor_b32 s9, exec_lo, s23
; %bb.3366:                             ;   in Loop: Header=BB450_3110 Depth=1
	v_bfe_u32 v7, v6, 16, 1
	s_delay_alu instid0(VALU_DEP_1)
	v_add3_u32 v19, v6, v7, 0x7fff
                                        ; implicit-def: $vgpr6
; %bb.3367:                             ;   in Loop: Header=BB450_3110 Depth=1
	s_and_not1_saveexec_b32 s23, s9
; %bb.3368:                             ;   in Loop: Header=BB450_3110 Depth=1
	v_and_b32_e32 v7, 0xffff, v6
	v_or_b32_e32 v8, 0x10000, v6
	s_delay_alu instid0(VALU_DEP_2) | instskip(NEXT) | instid1(VALU_DEP_1)
	v_cmp_eq_u32_e64 s9, 0, v7
	v_cndmask_b32_e64 v19, v8, v6, s9
; %bb.3369:                             ;   in Loop: Header=BB450_3110 Depth=1
	s_or_b32 exec_lo, exec_lo, s23
	v_lshrrev_b32_e32 v6, 16, v18
	v_lshrrev_b32_e32 v7, 16, v16
	;; [unrolled: 1-line block ×8, first 2 shown]
	s_and_saveexec_b32 s9, s1
; %bb.3370:                             ;   in Loop: Header=BB450_3110 Depth=1
	s_delay_alu instid0(VALU_DEP_3)
	v_cndmask_b32_e32 v12, 0, v12, vcc_lo
	v_cndmask_b32_e64 v11, 0, v11, s2
	v_cndmask_b32_e64 v10, 0, v10, s3
	;; [unrolled: 1-line block ×7, first 2 shown]
; %bb.3371:                             ;   in Loop: Header=BB450_3110 Depth=1
	s_or_b32 exec_lo, exec_lo, s9
	v_lshlrev_b32_e32 v9, 16, v12
	s_delay_alu instid0(VALU_DEP_1) | instskip(NEXT) | instid1(VALU_DEP_1)
	v_mul_f32_e32 v9, v161, v9
	v_and_b32_e32 v12, 0x7f800000, v9
	s_delay_alu instid0(VALU_DEP_1) | instskip(NEXT) | instid1(VALU_DEP_1)
	v_cmp_ne_u32_e64 s9, 0x7f800000, v12
                                        ; implicit-def: $vgpr12
                                        ; kill: killed $vgpr12
	s_and_saveexec_b32 s23, s9
	s_delay_alu instid0(SALU_CYCLE_1)
	s_xor_b32 s9, exec_lo, s23
	s_cbranch_execz .LBB450_3373
; %bb.3372:                             ;   in Loop: Header=BB450_3110 Depth=1
	v_bfe_u32 v12, v9, 16, 1
	s_delay_alu instid0(VALU_DEP_1)
	v_add3_u32 v9, v9, v12, 0x7fff
	scratch_store_b32 off, v9, s32 offset:516 ; 4-byte Folded Spill
                                        ; implicit-def: $vgpr9
.LBB450_3373:                           ;   in Loop: Header=BB450_3110 Depth=1
	s_and_not1_saveexec_b32 s23, s9
	s_cbranch_execz .LBB450_3375
; %bb.3374:                             ;   in Loop: Header=BB450_3110 Depth=1
	v_and_b32_e32 v12, 0xffff, v9
	v_or_b32_e32 v16, 0x10000, v9
	s_delay_alu instid0(VALU_DEP_2) | instskip(NEXT) | instid1(VALU_DEP_1)
	v_cmp_eq_u32_e64 s9, 0, v12
	v_cndmask_b32_e64 v9, v16, v9, s9
	scratch_store_b32 off, v9, s32 offset:516 ; 4-byte Folded Spill
.LBB450_3375:                           ;   in Loop: Header=BB450_3110 Depth=1
	s_or_b32 exec_lo, exec_lo, s23
	v_lshlrev_b32_e32 v9, 16, v11
	s_delay_alu instid0(VALU_DEP_1) | instskip(NEXT) | instid1(VALU_DEP_1)
	v_mul_f32_e32 v9, v162, v9
	v_and_b32_e32 v11, 0x7f800000, v9
	s_delay_alu instid0(VALU_DEP_1) | instskip(NEXT) | instid1(VALU_DEP_1)
	v_cmp_ne_u32_e64 s9, 0x7f800000, v11
                                        ; implicit-def: $vgpr11
                                        ; kill: killed $vgpr11
	s_and_saveexec_b32 s23, s9
	s_delay_alu instid0(SALU_CYCLE_1)
	s_xor_b32 s9, exec_lo, s23
	s_cbranch_execz .LBB450_3377
; %bb.3376:                             ;   in Loop: Header=BB450_3110 Depth=1
	v_bfe_u32 v11, v9, 16, 1
	s_delay_alu instid0(VALU_DEP_1)
	v_add3_u32 v9, v9, v11, 0x7fff
	scratch_store_b32 off, v9, s32 offset:520 ; 4-byte Folded Spill
                                        ; implicit-def: $vgpr9
.LBB450_3377:                           ;   in Loop: Header=BB450_3110 Depth=1
	s_and_not1_saveexec_b32 s23, s9
	s_cbranch_execz .LBB450_3379
; %bb.3378:                             ;   in Loop: Header=BB450_3110 Depth=1
	v_and_b32_e32 v11, 0xffff, v9
	v_or_b32_e32 v12, 0x10000, v9
	s_delay_alu instid0(VALU_DEP_2) | instskip(NEXT) | instid1(VALU_DEP_1)
	v_cmp_eq_u32_e64 s9, 0, v11
	v_cndmask_b32_e64 v9, v12, v9, s9
	scratch_store_b32 off, v9, s32 offset:520 ; 4-byte Folded Spill
.LBB450_3379:                           ;   in Loop: Header=BB450_3110 Depth=1
	s_or_b32 exec_lo, exec_lo, s23
	v_lshlrev_b32_e32 v9, 16, v10
	s_delay_alu instid0(VALU_DEP_1) | instskip(NEXT) | instid1(VALU_DEP_1)
	v_mul_f32_e32 v9, v163, v9
	v_and_b32_e32 v10, 0x7f800000, v9
	s_delay_alu instid0(VALU_DEP_1) | instskip(NEXT) | instid1(VALU_DEP_1)
	v_cmp_ne_u32_e64 s9, 0x7f800000, v10
                                        ; implicit-def: $vgpr10
                                        ; kill: killed $vgpr10
	s_and_saveexec_b32 s23, s9
	s_delay_alu instid0(SALU_CYCLE_1)
	s_xor_b32 s9, exec_lo, s23
	s_cbranch_execz .LBB450_3381
; %bb.3380:                             ;   in Loop: Header=BB450_3110 Depth=1
	v_bfe_u32 v10, v9, 16, 1
	s_delay_alu instid0(VALU_DEP_1)
	v_add3_u32 v9, v9, v10, 0x7fff
	scratch_store_b32 off, v9, s32 offset:524 ; 4-byte Folded Spill
                                        ; implicit-def: $vgpr9
.LBB450_3381:                           ;   in Loop: Header=BB450_3110 Depth=1
	s_and_not1_saveexec_b32 s23, s9
	s_cbranch_execz .LBB450_3383
; %bb.3382:                             ;   in Loop: Header=BB450_3110 Depth=1
	v_and_b32_e32 v10, 0xffff, v9
	v_or_b32_e32 v11, 0x10000, v9
	s_delay_alu instid0(VALU_DEP_2) | instskip(NEXT) | instid1(VALU_DEP_1)
	v_cmp_eq_u32_e64 s9, 0, v10
	v_cndmask_b32_e64 v9, v11, v9, s9
	scratch_store_b32 off, v9, s32 offset:524 ; 4-byte Folded Spill
.LBB450_3383:                           ;   in Loop: Header=BB450_3110 Depth=1
	s_or_b32 exec_lo, exec_lo, s23
	v_lshlrev_b32_e32 v8, 16, v8
	s_delay_alu instid0(VALU_DEP_1) | instskip(NEXT) | instid1(VALU_DEP_1)
	v_mul_f32_e32 v8, v164, v8
	v_and_b32_e32 v9, 0x7f800000, v8
	s_delay_alu instid0(VALU_DEP_1) | instskip(NEXT) | instid1(VALU_DEP_1)
	v_cmp_ne_u32_e64 s9, 0x7f800000, v9
                                        ; implicit-def: $vgpr9
                                        ; kill: killed $vgpr9
	s_and_saveexec_b32 s23, s9
	s_delay_alu instid0(SALU_CYCLE_1)
	s_xor_b32 s9, exec_lo, s23
	s_cbranch_execz .LBB450_3385
; %bb.3384:                             ;   in Loop: Header=BB450_3110 Depth=1
	v_bfe_u32 v9, v8, 16, 1
	s_delay_alu instid0(VALU_DEP_1)
	v_add3_u32 v8, v8, v9, 0x7fff
	scratch_store_b32 off, v8, s32 offset:528 ; 4-byte Folded Spill
                                        ; implicit-def: $vgpr8
.LBB450_3385:                           ;   in Loop: Header=BB450_3110 Depth=1
	s_and_not1_saveexec_b32 s23, s9
	s_cbranch_execz .LBB450_3387
; %bb.3386:                             ;   in Loop: Header=BB450_3110 Depth=1
	v_and_b32_e32 v9, 0xffff, v8
	v_or_b32_e32 v10, 0x10000, v8
	s_delay_alu instid0(VALU_DEP_2) | instskip(NEXT) | instid1(VALU_DEP_1)
	v_cmp_eq_u32_e64 s9, 0, v9
	v_cndmask_b32_e64 v8, v10, v8, s9
	scratch_store_b32 off, v8, s32 offset:528 ; 4-byte Folded Spill
.LBB450_3387:                           ;   in Loop: Header=BB450_3110 Depth=1
	s_or_b32 exec_lo, exec_lo, s23
	v_lshlrev_b32_e32 v7, 16, v7
	s_delay_alu instid0(VALU_DEP_1) | instskip(NEXT) | instid1(VALU_DEP_1)
	v_mul_f32_e32 v7, v165, v7
	v_and_b32_e32 v8, 0x7f800000, v7
	s_delay_alu instid0(VALU_DEP_1) | instskip(NEXT) | instid1(VALU_DEP_1)
	v_cmp_ne_u32_e64 s9, 0x7f800000, v8
                                        ; implicit-def: $vgpr8
                                        ; kill: killed $vgpr8
	s_and_saveexec_b32 s23, s9
	s_delay_alu instid0(SALU_CYCLE_1)
	s_xor_b32 s9, exec_lo, s23
	s_cbranch_execz .LBB450_3389
; %bb.3388:                             ;   in Loop: Header=BB450_3110 Depth=1
	v_bfe_u32 v8, v7, 16, 1
	s_delay_alu instid0(VALU_DEP_1)
	v_add3_u32 v7, v7, v8, 0x7fff
	scratch_store_b32 off, v7, s32 offset:532 ; 4-byte Folded Spill
                                        ; implicit-def: $vgpr7
.LBB450_3389:                           ;   in Loop: Header=BB450_3110 Depth=1
	s_and_not1_saveexec_b32 s23, s9
	s_cbranch_execz .LBB450_3391
; %bb.3390:                             ;   in Loop: Header=BB450_3110 Depth=1
	v_and_b32_e32 v8, 0xffff, v7
	v_or_b32_e32 v9, 0x10000, v7
	s_delay_alu instid0(VALU_DEP_2) | instskip(NEXT) | instid1(VALU_DEP_1)
	v_cmp_eq_u32_e64 s9, 0, v8
	v_cndmask_b32_e64 v7, v9, v7, s9
	scratch_store_b32 off, v7, s32 offset:532 ; 4-byte Folded Spill
.LBB450_3391:                           ;   in Loop: Header=BB450_3110 Depth=1
	s_or_b32 exec_lo, exec_lo, s23
	v_lshlrev_b32_e32 v6, 16, v6
	s_delay_alu instid0(VALU_DEP_1) | instskip(NEXT) | instid1(VALU_DEP_1)
	v_mul_f32_e32 v6, v166, v6
	v_and_b32_e32 v7, 0x7f800000, v6
	s_delay_alu instid0(VALU_DEP_1) | instskip(NEXT) | instid1(VALU_DEP_1)
	v_cmp_ne_u32_e64 s9, 0x7f800000, v7
                                        ; implicit-def: $vgpr7
                                        ; kill: killed $vgpr7
	s_and_saveexec_b32 s23, s9
	s_delay_alu instid0(SALU_CYCLE_1)
	s_xor_b32 s9, exec_lo, s23
	s_cbranch_execz .LBB450_3393
; %bb.3392:                             ;   in Loop: Header=BB450_3110 Depth=1
	v_bfe_u32 v7, v6, 16, 1
	s_delay_alu instid0(VALU_DEP_1)
	v_add3_u32 v6, v6, v7, 0x7fff
	scratch_store_b32 off, v6, s32 offset:536 ; 4-byte Folded Spill
                                        ; implicit-def: $vgpr6
.LBB450_3393:                           ;   in Loop: Header=BB450_3110 Depth=1
	s_and_not1_saveexec_b32 s23, s9
	s_cbranch_execz .LBB450_3395
; %bb.3394:                             ;   in Loop: Header=BB450_3110 Depth=1
	v_and_b32_e32 v7, 0xffff, v6
	v_or_b32_e32 v8, 0x10000, v6
	s_delay_alu instid0(VALU_DEP_2) | instskip(NEXT) | instid1(VALU_DEP_1)
	v_cmp_eq_u32_e64 s9, 0, v7
	v_cndmask_b32_e64 v6, v8, v6, s9
	scratch_store_b32 off, v6, s32 offset:536 ; 4-byte Folded Spill
.LBB450_3395:                           ;   in Loop: Header=BB450_3110 Depth=1
	s_or_b32 exec_lo, exec_lo, s23
	v_lshlrev_b32_e32 v5, 16, v5
	s_delay_alu instid0(VALU_DEP_1) | instskip(NEXT) | instid1(VALU_DEP_1)
	v_mul_f32_e32 v5, v167, v5
	v_and_b32_e32 v6, 0x7f800000, v5
	s_delay_alu instid0(VALU_DEP_1) | instskip(NEXT) | instid1(VALU_DEP_1)
	v_cmp_ne_u32_e64 s9, 0x7f800000, v6
                                        ; implicit-def: $vgpr6
                                        ; kill: killed $vgpr6
	s_and_saveexec_b32 s23, s9
	s_delay_alu instid0(SALU_CYCLE_1)
	s_xor_b32 s9, exec_lo, s23
	s_cbranch_execz .LBB450_3397
; %bb.3396:                             ;   in Loop: Header=BB450_3110 Depth=1
	v_bfe_u32 v6, v5, 16, 1
	s_delay_alu instid0(VALU_DEP_1)
	v_add3_u32 v5, v5, v6, 0x7fff
	scratch_store_b32 off, v5, s32 offset:540 ; 4-byte Folded Spill
                                        ; implicit-def: $vgpr5
.LBB450_3397:                           ;   in Loop: Header=BB450_3110 Depth=1
	s_and_not1_saveexec_b32 s23, s9
	s_cbranch_execz .LBB450_3399
; %bb.3398:                             ;   in Loop: Header=BB450_3110 Depth=1
	v_and_b32_e32 v6, 0xffff, v5
	v_or_b32_e32 v7, 0x10000, v5
	s_delay_alu instid0(VALU_DEP_2) | instskip(NEXT) | instid1(VALU_DEP_1)
	v_cmp_eq_u32_e64 s9, 0, v6
	v_cndmask_b32_e64 v5, v7, v5, s9
	scratch_store_b32 off, v5, s32 offset:540 ; 4-byte Folded Spill
.LBB450_3399:                           ;   in Loop: Header=BB450_3110 Depth=1
	s_or_b32 exec_lo, exec_lo, s23
	v_lshlrev_b32_e32 v4, 16, v4
	s_delay_alu instid0(VALU_DEP_1) | instskip(NEXT) | instid1(VALU_DEP_1)
	v_mul_f32_e32 v4, v176, v4
	v_and_b32_e32 v5, 0x7f800000, v4
	s_delay_alu instid0(VALU_DEP_1) | instskip(NEXT) | instid1(VALU_DEP_1)
	v_cmp_ne_u32_e64 s9, 0x7f800000, v5
                                        ; implicit-def: $vgpr5
                                        ; kill: killed $vgpr5
	s_and_saveexec_b32 s23, s9
	s_delay_alu instid0(SALU_CYCLE_1)
	s_xor_b32 s9, exec_lo, s23
	s_cbranch_execz .LBB450_3401
; %bb.3400:                             ;   in Loop: Header=BB450_3110 Depth=1
	v_bfe_u32 v5, v4, 16, 1
	s_delay_alu instid0(VALU_DEP_1)
	v_add3_u32 v4, v4, v5, 0x7fff
	scratch_store_b32 off, v4, s32 offset:544 ; 4-byte Folded Spill
                                        ; implicit-def: $vgpr4
.LBB450_3401:                           ;   in Loop: Header=BB450_3110 Depth=1
	s_and_not1_saveexec_b32 s23, s9
	s_cbranch_execz .LBB450_3403
; %bb.3402:                             ;   in Loop: Header=BB450_3110 Depth=1
	v_and_b32_e32 v5, 0xffff, v4
	v_or_b32_e32 v6, 0x10000, v4
	s_delay_alu instid0(VALU_DEP_2) | instskip(NEXT) | instid1(VALU_DEP_1)
	v_cmp_eq_u32_e64 s9, 0, v5
	v_cndmask_b32_e64 v4, v6, v4, s9
	scratch_store_b32 off, v4, s32 offset:544 ; 4-byte Folded Spill
.LBB450_3403:                           ;   in Loop: Header=BB450_3110 Depth=1
	s_or_b32 exec_lo, exec_lo, s23
	flat_load_b64 v[6:7], v[2:3] offset:512
	s_mov_b32 s23, exec_lo
	s_waitcnt vmcnt(0) lgkmcnt(0)
	v_dual_mov_b32 v4, 0 :: v_dual_and_b32 v5, 0xff, v6
	s_delay_alu instid0(VALU_DEP_1)
	v_cmpx_ne_u16_e32 0, v5
	s_cbranch_execz .LBB450_3411
; %bb.3404:                             ;   in Loop: Header=BB450_3110 Depth=1
	v_bfrev_b32_e32 v4, 1
	s_mov_b32 s24, exec_lo
	v_cmpx_ne_u16_e32 0x80, v5
	s_cbranch_execz .LBB450_3410
; %bb.3405:                             ;   in Loop: Header=BB450_3110 Depth=1
	v_and_b32_e32 v5, 0x7f, v6
	v_mov_b32_e32 v4, 0x7f800001
	s_mov_b32 s25, exec_lo
	s_delay_alu instid0(VALU_DEP_2)
	v_cmpx_ne_u32_e32 0x7f, v5
	s_cbranch_execz .LBB450_3409
; %bb.3406:                             ;   in Loop: Header=BB450_3110 Depth=1
	v_lshrrev_b32_e32 v4, 3, v5
	v_dual_mov_b32 v9, v7 :: v_dual_mov_b32 v8, v6
	s_mov_b32 s26, exec_lo
	v_cmpx_gt_u32_e32 8, v5
; %bb.3407:                             ;   in Loop: Header=BB450_3110 Depth=1
	v_and_b32_e32 v4, 7, v6
	s_delay_alu instid0(VALU_DEP_1) | instskip(NEXT) | instid1(VALU_DEP_1)
	v_clz_i32_u32_e32 v4, v4
	v_min_u32_e32 v4, 32, v4
	s_delay_alu instid0(VALU_DEP_1) | instskip(SKIP_1) | instid1(VALU_DEP_2)
	v_subrev_nc_u32_e32 v5, 28, v4
	v_sub_nc_u32_e32 v4, 29, v4
	v_lshlrev_b64 v[8:9], v5, v[6:7]
; %bb.3408:                             ;   in Loop: Header=BB450_3110 Depth=1
	s_or_b32 exec_lo, exec_lo, s26
	s_delay_alu instid0(VALU_DEP_1) | instskip(SKIP_2) | instid1(VALU_DEP_3)
	v_lshlrev_b32_e32 v5, 20, v8
	v_lshlrev_b32_e32 v8, 24, v6
	v_lshl_add_u32 v4, v4, 23, 0x3c000000
	v_and_b32_e32 v5, 0x700000, v5
	s_delay_alu instid0(VALU_DEP_3) | instskip(NEXT) | instid1(VALU_DEP_1)
	v_and_b32_e32 v8, 0x80000000, v8
	v_or3_b32 v4, v5, v8, v4
.LBB450_3409:                           ;   in Loop: Header=BB450_3110 Depth=1
	s_or_b32 exec_lo, exec_lo, s25
.LBB450_3410:                           ;   in Loop: Header=BB450_3110 Depth=1
	s_delay_alu instid0(SALU_CYCLE_1)
	s_or_b32 exec_lo, exec_lo, s24
.LBB450_3411:                           ;   in Loop: Header=BB450_3110 Depth=1
	s_delay_alu instid0(SALU_CYCLE_1) | instskip(NEXT) | instid1(VALU_DEP_1)
	s_or_b32 exec_lo, exec_lo, s23
	v_mul_f32_e32 v5, v160, v4
	s_delay_alu instid0(VALU_DEP_1) | instskip(NEXT) | instid1(VALU_DEP_1)
	v_and_b32_e32 v4, 0x7f800000, v5
	v_cmp_ne_u32_e64 s9, 0x7f800000, v4
                                        ; implicit-def: $vgpr4
	s_delay_alu instid0(VALU_DEP_1) | instskip(NEXT) | instid1(SALU_CYCLE_1)
	s_and_saveexec_b32 s23, s9
	s_xor_b32 s9, exec_lo, s23
; %bb.3412:                             ;   in Loop: Header=BB450_3110 Depth=1
	v_bfe_u32 v4, v5, 16, 1
	s_delay_alu instid0(VALU_DEP_1)
	v_add3_u32 v4, v5, v4, 0x7fff
                                        ; implicit-def: $vgpr5
; %bb.3413:                             ;   in Loop: Header=BB450_3110 Depth=1
	s_and_not1_saveexec_b32 s23, s9
; %bb.3414:                             ;   in Loop: Header=BB450_3110 Depth=1
	v_and_b32_e32 v4, 0xffff, v5
	v_or_b32_e32 v8, 0x10000, v5
	s_delay_alu instid0(VALU_DEP_2) | instskip(NEXT) | instid1(VALU_DEP_1)
	v_cmp_eq_u32_e64 s9, 0, v4
	v_cndmask_b32_e64 v4, v8, v5, s9
; %bb.3415:                             ;   in Loop: Header=BB450_3110 Depth=1
	s_or_b32 exec_lo, exec_lo, s23
	v_lshrrev_b16 v8, 8, v6
	v_mov_b32_e32 v5, 0
	s_mov_b32 s23, exec_lo
	s_delay_alu instid0(VALU_DEP_2)
	v_cmpx_ne_u16_e32 0, v8
	s_cbranch_execz .LBB450_3423
; %bb.3416:                             ;   in Loop: Header=BB450_3110 Depth=1
	v_bfrev_b32_e32 v5, 1
	s_mov_b32 s24, exec_lo
	v_cmpx_ne_u16_e32 0x80, v8
	s_cbranch_execz .LBB450_3422
; %bb.3417:                             ;   in Loop: Header=BB450_3110 Depth=1
	v_and_b32_e32 v9, 0xffff, v8
	v_mov_b32_e32 v5, 0x7f800001
	s_mov_b32 s25, exec_lo
	s_delay_alu instid0(VALU_DEP_2) | instskip(NEXT) | instid1(VALU_DEP_1)
	v_and_b32_e32 v8, 0x7f, v9
	v_cmpx_ne_u32_e32 0x7f, v8
	s_cbranch_execz .LBB450_3421
; %bb.3418:                             ;   in Loop: Header=BB450_3110 Depth=1
	v_and_b32_e32 v12, 7, v9
	v_lshrrev_b32_e32 v5, 3, v8
	v_cmp_gt_u32_e64 s9, 8, v8
	s_delay_alu instid0(VALU_DEP_3) | instskip(NEXT) | instid1(VALU_DEP_2)
	v_dual_mov_b32 v8, v12 :: v_dual_mov_b32 v9, v13
	s_and_saveexec_b32 s26, s9
; %bb.3419:                             ;   in Loop: Header=BB450_3110 Depth=1
	v_clz_i32_u32_e32 v5, v12
	s_delay_alu instid0(VALU_DEP_1) | instskip(NEXT) | instid1(VALU_DEP_1)
	v_min_u32_e32 v5, 32, v5
	v_subrev_nc_u32_e32 v8, 28, v5
	v_sub_nc_u32_e32 v5, 29, v5
	s_delay_alu instid0(VALU_DEP_2) | instskip(NEXT) | instid1(VALU_DEP_1)
	v_lshlrev_b64 v[8:9], v8, v[12:13]
	v_and_b32_e32 v8, 7, v8
; %bb.3420:                             ;   in Loop: Header=BB450_3110 Depth=1
	s_or_b32 exec_lo, exec_lo, s26
	v_lshlrev_b32_e32 v9, 16, v6
	s_delay_alu instid0(VALU_DEP_2) | instskip(SKIP_1) | instid1(VALU_DEP_3)
	v_lshlrev_b32_e32 v8, 20, v8
	v_lshl_add_u32 v5, v5, 23, 0x3c000000
	v_and_b32_e32 v9, 0x80000000, v9
	s_delay_alu instid0(VALU_DEP_1)
	v_or3_b32 v5, v8, v9, v5
.LBB450_3421:                           ;   in Loop: Header=BB450_3110 Depth=1
	s_or_b32 exec_lo, exec_lo, s25
.LBB450_3422:                           ;   in Loop: Header=BB450_3110 Depth=1
	s_delay_alu instid0(SALU_CYCLE_1)
	s_or_b32 exec_lo, exec_lo, s24
.LBB450_3423:                           ;   in Loop: Header=BB450_3110 Depth=1
	s_delay_alu instid0(SALU_CYCLE_1) | instskip(NEXT) | instid1(VALU_DEP_1)
	s_or_b32 exec_lo, exec_lo, s23
	v_mul_f32_e32 v8, v160, v5
	s_delay_alu instid0(VALU_DEP_1) | instskip(NEXT) | instid1(VALU_DEP_1)
	v_and_b32_e32 v5, 0x7f800000, v8
	v_cmp_ne_u32_e64 s9, 0x7f800000, v5
                                        ; implicit-def: $vgpr5
	s_delay_alu instid0(VALU_DEP_1) | instskip(NEXT) | instid1(SALU_CYCLE_1)
	s_and_saveexec_b32 s23, s9
	s_xor_b32 s9, exec_lo, s23
; %bb.3424:                             ;   in Loop: Header=BB450_3110 Depth=1
	v_bfe_u32 v5, v8, 16, 1
	s_delay_alu instid0(VALU_DEP_1)
	v_add3_u32 v5, v8, v5, 0x7fff
                                        ; implicit-def: $vgpr8
; %bb.3425:                             ;   in Loop: Header=BB450_3110 Depth=1
	s_and_not1_saveexec_b32 s23, s9
; %bb.3426:                             ;   in Loop: Header=BB450_3110 Depth=1
	v_and_b32_e32 v5, 0xffff, v8
	v_or_b32_e32 v9, 0x10000, v8
	s_delay_alu instid0(VALU_DEP_2) | instskip(NEXT) | instid1(VALU_DEP_1)
	v_cmp_eq_u32_e64 s9, 0, v5
	v_cndmask_b32_e64 v5, v9, v8, s9
; %bb.3427:                             ;   in Loop: Header=BB450_3110 Depth=1
	s_or_b32 exec_lo, exec_lo, s23
	v_lshrrev_b32_e32 v10, 16, v6
	s_mov_b32 s23, exec_lo
	s_delay_alu instid0(VALU_DEP_1) | instskip(NEXT) | instid1(VALU_DEP_1)
	v_dual_mov_b32 v8, 0 :: v_dual_and_b32 v9, 0xff, v10
	v_cmpx_ne_u16_e32 0, v9
	s_cbranch_execz .LBB450_3435
; %bb.3428:                             ;   in Loop: Header=BB450_3110 Depth=1
	v_bfrev_b32_e32 v8, 1
	s_mov_b32 s24, exec_lo
	v_cmpx_ne_u16_e32 0x80, v9
	s_cbranch_execz .LBB450_3434
; %bb.3429:                             ;   in Loop: Header=BB450_3110 Depth=1
	v_bfe_u32 v9, v6, 16, 7
	v_mov_b32_e32 v8, 0x7f800001
	s_mov_b32 s25, exec_lo
	s_delay_alu instid0(VALU_DEP_2)
	v_cmpx_ne_u32_e32 0x7f, v9
	s_cbranch_execz .LBB450_3433
; %bb.3430:                             ;   in Loop: Header=BB450_3110 Depth=1
	v_and_b32_e32 v12, 7, v10
	v_lshrrev_b32_e32 v11, 3, v9
	v_cmp_gt_u32_e64 s9, 8, v9
	s_delay_alu instid0(VALU_DEP_3) | instskip(NEXT) | instid1(VALU_DEP_2)
	v_dual_mov_b32 v8, v12 :: v_dual_mov_b32 v9, v13
	s_and_saveexec_b32 s26, s9
; %bb.3431:                             ;   in Loop: Header=BB450_3110 Depth=1
	v_clz_i32_u32_e32 v8, v12
	s_delay_alu instid0(VALU_DEP_1) | instskip(NEXT) | instid1(VALU_DEP_1)
	v_min_u32_e32 v11, 32, v8
	v_subrev_nc_u32_e32 v8, 28, v11
	v_sub_nc_u32_e32 v11, 29, v11
	s_delay_alu instid0(VALU_DEP_2) | instskip(NEXT) | instid1(VALU_DEP_1)
	v_lshlrev_b64 v[8:9], v8, v[12:13]
	v_and_b32_e32 v8, 7, v8
; %bb.3432:                             ;   in Loop: Header=BB450_3110 Depth=1
	s_or_b32 exec_lo, exec_lo, s26
	v_lshlrev_b32_e32 v9, 24, v10
	s_delay_alu instid0(VALU_DEP_2) | instskip(SKIP_1) | instid1(VALU_DEP_3)
	v_lshlrev_b32_e32 v8, 20, v8
	v_lshl_add_u32 v10, v11, 23, 0x3c000000
	v_and_b32_e32 v9, 0x80000000, v9
	s_delay_alu instid0(VALU_DEP_1)
	v_or3_b32 v8, v8, v9, v10
.LBB450_3433:                           ;   in Loop: Header=BB450_3110 Depth=1
	s_or_b32 exec_lo, exec_lo, s25
.LBB450_3434:                           ;   in Loop: Header=BB450_3110 Depth=1
	s_delay_alu instid0(SALU_CYCLE_1)
	s_or_b32 exec_lo, exec_lo, s24
.LBB450_3435:                           ;   in Loop: Header=BB450_3110 Depth=1
	s_delay_alu instid0(SALU_CYCLE_1) | instskip(NEXT) | instid1(VALU_DEP_1)
	s_or_b32 exec_lo, exec_lo, s23
	v_mul_f32_e32 v8, v160, v8
                                        ; implicit-def: $vgpr10
	s_delay_alu instid0(VALU_DEP_1) | instskip(NEXT) | instid1(VALU_DEP_1)
	v_and_b32_e32 v9, 0x7f800000, v8
	v_cmp_ne_u32_e64 s9, 0x7f800000, v9
	s_delay_alu instid0(VALU_DEP_1) | instskip(NEXT) | instid1(SALU_CYCLE_1)
	s_and_saveexec_b32 s23, s9
	s_xor_b32 s9, exec_lo, s23
; %bb.3436:                             ;   in Loop: Header=BB450_3110 Depth=1
	v_bfe_u32 v9, v8, 16, 1
	s_delay_alu instid0(VALU_DEP_1)
	v_add3_u32 v10, v8, v9, 0x7fff
                                        ; implicit-def: $vgpr8
; %bb.3437:                             ;   in Loop: Header=BB450_3110 Depth=1
	s_and_not1_saveexec_b32 s23, s9
; %bb.3438:                             ;   in Loop: Header=BB450_3110 Depth=1
	v_and_b32_e32 v9, 0xffff, v8
	v_or_b32_e32 v10, 0x10000, v8
	s_delay_alu instid0(VALU_DEP_2) | instskip(NEXT) | instid1(VALU_DEP_1)
	v_cmp_eq_u32_e64 s9, 0, v9
	v_cndmask_b32_e64 v10, v10, v8, s9
; %bb.3439:                             ;   in Loop: Header=BB450_3110 Depth=1
	s_or_b32 exec_lo, exec_lo, s23
	v_mov_b32_e32 v8, 0
	s_mov_b32 s23, exec_lo
	v_cmpx_lt_u32_e32 0xffffff, v6
	s_cbranch_execz .LBB450_3447
; %bb.3440:                             ;   in Loop: Header=BB450_3110 Depth=1
	v_lshrrev_b32_e32 v11, 24, v6
	v_bfrev_b32_e32 v8, 1
	s_mov_b32 s24, exec_lo
	s_delay_alu instid0(VALU_DEP_2)
	v_cmpx_ne_u32_e32 0x80, v11
	s_cbranch_execz .LBB450_3446
; %bb.3441:                             ;   in Loop: Header=BB450_3110 Depth=1
	v_bfe_u32 v9, v6, 24, 7
	v_mov_b32_e32 v8, 0x7f800001
	s_mov_b32 s25, exec_lo
	s_delay_alu instid0(VALU_DEP_2)
	v_cmpx_ne_u32_e32 0x7f, v9
	s_cbranch_execz .LBB450_3445
; %bb.3442:                             ;   in Loop: Header=BB450_3110 Depth=1
	v_and_b32_e32 v12, 7, v11
	v_lshrrev_b32_e32 v16, 3, v9
	v_cmp_gt_u32_e64 s9, 8, v9
	s_delay_alu instid0(VALU_DEP_3) | instskip(NEXT) | instid1(VALU_DEP_2)
	v_dual_mov_b32 v8, v12 :: v_dual_mov_b32 v9, v13
	s_and_saveexec_b32 s26, s9
; %bb.3443:                             ;   in Loop: Header=BB450_3110 Depth=1
	v_clz_i32_u32_e32 v8, v12
	s_delay_alu instid0(VALU_DEP_1) | instskip(NEXT) | instid1(VALU_DEP_1)
	v_min_u32_e32 v16, 32, v8
	v_subrev_nc_u32_e32 v8, 28, v16
	v_sub_nc_u32_e32 v16, 29, v16
	s_delay_alu instid0(VALU_DEP_2) | instskip(NEXT) | instid1(VALU_DEP_1)
	v_lshlrev_b64 v[8:9], v8, v[12:13]
	v_and_b32_e32 v8, 7, v8
; %bb.3444:                             ;   in Loop: Header=BB450_3110 Depth=1
	s_or_b32 exec_lo, exec_lo, s26
	v_lshlrev_b32_e32 v9, 24, v11
	s_delay_alu instid0(VALU_DEP_2) | instskip(SKIP_1) | instid1(VALU_DEP_3)
	v_lshlrev_b32_e32 v8, 20, v8
	v_lshl_add_u32 v11, v16, 23, 0x3c000000
	v_and_b32_e32 v9, 0x80000000, v9
	s_delay_alu instid0(VALU_DEP_1)
	v_or3_b32 v8, v8, v9, v11
.LBB450_3445:                           ;   in Loop: Header=BB450_3110 Depth=1
	s_or_b32 exec_lo, exec_lo, s25
.LBB450_3446:                           ;   in Loop: Header=BB450_3110 Depth=1
	s_delay_alu instid0(SALU_CYCLE_1)
	s_or_b32 exec_lo, exec_lo, s24
.LBB450_3447:                           ;   in Loop: Header=BB450_3110 Depth=1
	s_delay_alu instid0(SALU_CYCLE_1) | instskip(NEXT) | instid1(VALU_DEP_1)
	s_or_b32 exec_lo, exec_lo, s23
	v_mul_f32_e32 v8, v160, v8
                                        ; implicit-def: $vgpr11
	s_delay_alu instid0(VALU_DEP_1) | instskip(NEXT) | instid1(VALU_DEP_1)
	v_and_b32_e32 v9, 0x7f800000, v8
	v_cmp_ne_u32_e64 s9, 0x7f800000, v9
	s_delay_alu instid0(VALU_DEP_1) | instskip(NEXT) | instid1(SALU_CYCLE_1)
	s_and_saveexec_b32 s23, s9
	s_xor_b32 s9, exec_lo, s23
; %bb.3448:                             ;   in Loop: Header=BB450_3110 Depth=1
	v_bfe_u32 v9, v8, 16, 1
	s_delay_alu instid0(VALU_DEP_1)
	v_add3_u32 v11, v8, v9, 0x7fff
                                        ; implicit-def: $vgpr8
; %bb.3449:                             ;   in Loop: Header=BB450_3110 Depth=1
	s_and_not1_saveexec_b32 s23, s9
; %bb.3450:                             ;   in Loop: Header=BB450_3110 Depth=1
	v_and_b32_e32 v9, 0xffff, v8
	v_or_b32_e32 v11, 0x10000, v8
	s_delay_alu instid0(VALU_DEP_2) | instskip(NEXT) | instid1(VALU_DEP_1)
	v_cmp_eq_u32_e64 s9, 0, v9
	v_cndmask_b32_e64 v11, v11, v8, s9
; %bb.3451:                             ;   in Loop: Header=BB450_3110 Depth=1
	s_or_b32 exec_lo, exec_lo, s23
	v_dual_mov_b32 v12, v7 :: v_dual_and_b32 v9, 0xff, v7
	v_mov_b32_e32 v8, 0
	s_mov_b32 s23, exec_lo
	s_delay_alu instid0(VALU_DEP_2)
	v_cmpx_ne_u16_e32 0, v9
	s_cbranch_execz .LBB450_3459
; %bb.3452:                             ;   in Loop: Header=BB450_3110 Depth=1
	v_bfrev_b32_e32 v8, 1
	s_mov_b32 s24, exec_lo
	v_cmpx_ne_u16_e32 0x80, v9
	s_cbranch_execz .LBB450_3458
; %bb.3453:                             ;   in Loop: Header=BB450_3110 Depth=1
	v_and_b32_e32 v9, 0x7f, v7
	v_mov_b32_e32 v8, 0x7f800001
	s_mov_b32 s25, exec_lo
	s_delay_alu instid0(VALU_DEP_2)
	v_cmpx_ne_u32_e32 0x7f, v9
	s_cbranch_execz .LBB450_3457
; %bb.3454:                             ;   in Loop: Header=BB450_3110 Depth=1
	v_lshrrev_b32_e32 v16, 3, v9
	v_cmp_gt_u32_e64 s9, 8, v9
	v_dual_mov_b32 v8, v12 :: v_dual_mov_b32 v9, v13
	s_delay_alu instid0(VALU_DEP_2)
	s_and_saveexec_b32 s26, s9
; %bb.3455:                             ;   in Loop: Header=BB450_3110 Depth=1
	v_and_b32_e32 v8, 7, v7
	s_delay_alu instid0(VALU_DEP_1) | instskip(NEXT) | instid1(VALU_DEP_1)
	v_clz_i32_u32_e32 v8, v8
	v_min_u32_e32 v16, 32, v8
	s_delay_alu instid0(VALU_DEP_1) | instskip(SKIP_1) | instid1(VALU_DEP_2)
	v_subrev_nc_u32_e32 v8, 28, v16
	v_sub_nc_u32_e32 v16, 29, v16
	v_lshlrev_b64 v[8:9], v8, v[12:13]
; %bb.3456:                             ;   in Loop: Header=BB450_3110 Depth=1
	s_or_b32 exec_lo, exec_lo, s26
	s_delay_alu instid0(VALU_DEP_1) | instskip(SKIP_2) | instid1(VALU_DEP_3)
	v_lshlrev_b32_e32 v8, 20, v8
	v_lshlrev_b32_e32 v9, 24, v12
	v_lshl_add_u32 v16, v16, 23, 0x3c000000
	v_and_b32_e32 v8, 0x700000, v8
	s_delay_alu instid0(VALU_DEP_3) | instskip(NEXT) | instid1(VALU_DEP_1)
	v_and_b32_e32 v9, 0x80000000, v9
	v_or3_b32 v8, v8, v9, v16
.LBB450_3457:                           ;   in Loop: Header=BB450_3110 Depth=1
	s_or_b32 exec_lo, exec_lo, s25
.LBB450_3458:                           ;   in Loop: Header=BB450_3110 Depth=1
	s_delay_alu instid0(SALU_CYCLE_1)
	s_or_b32 exec_lo, exec_lo, s24
.LBB450_3459:                           ;   in Loop: Header=BB450_3110 Depth=1
	s_delay_alu instid0(SALU_CYCLE_1) | instskip(NEXT) | instid1(VALU_DEP_1)
	s_or_b32 exec_lo, exec_lo, s23
	v_mul_f32_e32 v8, v160, v8
                                        ; implicit-def: $vgpr16
	s_delay_alu instid0(VALU_DEP_1) | instskip(NEXT) | instid1(VALU_DEP_1)
	v_and_b32_e32 v9, 0x7f800000, v8
	v_cmp_ne_u32_e64 s9, 0x7f800000, v9
	s_delay_alu instid0(VALU_DEP_1) | instskip(NEXT) | instid1(SALU_CYCLE_1)
	s_and_saveexec_b32 s23, s9
	s_xor_b32 s9, exec_lo, s23
; %bb.3460:                             ;   in Loop: Header=BB450_3110 Depth=1
	v_bfe_u32 v9, v8, 16, 1
	s_delay_alu instid0(VALU_DEP_1)
	v_add3_u32 v16, v8, v9, 0x7fff
                                        ; implicit-def: $vgpr8
; %bb.3461:                             ;   in Loop: Header=BB450_3110 Depth=1
	s_and_not1_saveexec_b32 s23, s9
; %bb.3462:                             ;   in Loop: Header=BB450_3110 Depth=1
	v_and_b32_e32 v9, 0xffff, v8
	v_or_b32_e32 v16, 0x10000, v8
	s_delay_alu instid0(VALU_DEP_2) | instskip(NEXT) | instid1(VALU_DEP_1)
	v_cmp_eq_u32_e64 s9, 0, v9
	v_cndmask_b32_e64 v16, v16, v8, s9
; %bb.3463:                             ;   in Loop: Header=BB450_3110 Depth=1
	s_or_b32 exec_lo, exec_lo, s23
	v_lshrrev_b16 v9, 8, v12
	v_mov_b32_e32 v8, 0
	s_mov_b32 s23, exec_lo
	s_delay_alu instid0(VALU_DEP_2)
	v_cmpx_ne_u16_e32 0, v9
	s_cbranch_execz .LBB450_3471
; %bb.3464:                             ;   in Loop: Header=BB450_3110 Depth=1
	v_bfrev_b32_e32 v8, 1
	s_mov_b32 s24, exec_lo
	v_cmpx_ne_u16_e32 0x80, v9
	s_cbranch_execz .LBB450_3470
; %bb.3465:                             ;   in Loop: Header=BB450_3110 Depth=1
	v_and_b32_e32 v9, 0xffff, v9
	v_mov_b32_e32 v8, 0x7f800001
	s_mov_b32 s25, exec_lo
	s_delay_alu instid0(VALU_DEP_2) | instskip(NEXT) | instid1(VALU_DEP_1)
	v_and_b32_e32 v19, 0x7f, v9
	v_cmpx_ne_u32_e32 0x7f, v19
	s_cbranch_execz .LBB450_3469
; %bb.3466:                             ;   in Loop: Header=BB450_3110 Depth=1
	v_dual_mov_b32 v9, v13 :: v_dual_and_b32 v8, 7, v9
	v_lshrrev_b32_e32 v18, 3, v19
	s_mov_b32 s26, exec_lo
	v_cmpx_gt_u32_e32 8, v19
; %bb.3467:                             ;   in Loop: Header=BB450_3110 Depth=1
	s_delay_alu instid0(VALU_DEP_3) | instskip(NEXT) | instid1(VALU_DEP_1)
	v_clz_i32_u32_e32 v18, v8
	v_min_u32_e32 v18, 32, v18
	s_delay_alu instid0(VALU_DEP_1) | instskip(SKIP_1) | instid1(VALU_DEP_2)
	v_subrev_nc_u32_e32 v19, 28, v18
	v_sub_nc_u32_e32 v18, 29, v18
	v_lshlrev_b64 v[8:9], v19, v[8:9]
	s_delay_alu instid0(VALU_DEP_1)
	v_and_b32_e32 v8, 7, v8
; %bb.3468:                             ;   in Loop: Header=BB450_3110 Depth=1
	s_or_b32 exec_lo, exec_lo, s26
	v_lshlrev_b32_e32 v9, 16, v12
	s_delay_alu instid0(VALU_DEP_2) | instskip(SKIP_1) | instid1(VALU_DEP_3)
	v_lshlrev_b32_e32 v8, 20, v8
	v_lshl_add_u32 v12, v18, 23, 0x3c000000
	v_and_b32_e32 v9, 0x80000000, v9
	s_delay_alu instid0(VALU_DEP_1)
	v_or3_b32 v8, v8, v9, v12
.LBB450_3469:                           ;   in Loop: Header=BB450_3110 Depth=1
	s_or_b32 exec_lo, exec_lo, s25
.LBB450_3470:                           ;   in Loop: Header=BB450_3110 Depth=1
	s_delay_alu instid0(SALU_CYCLE_1)
	s_or_b32 exec_lo, exec_lo, s24
.LBB450_3471:                           ;   in Loop: Header=BB450_3110 Depth=1
	s_delay_alu instid0(SALU_CYCLE_1) | instskip(NEXT) | instid1(VALU_DEP_1)
	s_or_b32 exec_lo, exec_lo, s23
	v_mul_f32_e32 v8, v160, v8
                                        ; implicit-def: $vgpr18
	s_delay_alu instid0(VALU_DEP_1) | instskip(NEXT) | instid1(VALU_DEP_1)
	v_and_b32_e32 v9, 0x7f800000, v8
	v_cmp_ne_u32_e64 s9, 0x7f800000, v9
	s_delay_alu instid0(VALU_DEP_1) | instskip(NEXT) | instid1(SALU_CYCLE_1)
	s_and_saveexec_b32 s23, s9
	s_xor_b32 s9, exec_lo, s23
; %bb.3472:                             ;   in Loop: Header=BB450_3110 Depth=1
	v_bfe_u32 v9, v8, 16, 1
	s_delay_alu instid0(VALU_DEP_1)
	v_add3_u32 v18, v8, v9, 0x7fff
                                        ; implicit-def: $vgpr8
; %bb.3473:                             ;   in Loop: Header=BB450_3110 Depth=1
	s_and_not1_saveexec_b32 s23, s9
; %bb.3474:                             ;   in Loop: Header=BB450_3110 Depth=1
	v_and_b32_e32 v9, 0xffff, v8
	v_or_b32_e32 v12, 0x10000, v8
	s_delay_alu instid0(VALU_DEP_2) | instskip(NEXT) | instid1(VALU_DEP_1)
	v_cmp_eq_u32_e64 s9, 0, v9
	v_cndmask_b32_e64 v18, v12, v8, s9
; %bb.3475:                             ;   in Loop: Header=BB450_3110 Depth=1
	s_or_b32 exec_lo, exec_lo, s23
	v_lshrrev_b32_e32 v19, 16, v7
	s_mov_b32 s23, exec_lo
	s_delay_alu instid0(VALU_DEP_1) | instskip(NEXT) | instid1(VALU_DEP_1)
	v_dual_mov_b32 v8, 0 :: v_dual_and_b32 v9, 0xff, v19
	v_cmpx_ne_u16_e32 0, v9
	s_cbranch_execz .LBB450_3483
; %bb.3476:                             ;   in Loop: Header=BB450_3110 Depth=1
	v_bfrev_b32_e32 v8, 1
	s_mov_b32 s24, exec_lo
	v_cmpx_ne_u16_e32 0x80, v9
	s_cbranch_execz .LBB450_3482
; %bb.3477:                             ;   in Loop: Header=BB450_3110 Depth=1
	v_bfe_u32 v9, v7, 16, 7
	v_mov_b32_e32 v8, 0x7f800001
	s_mov_b32 s25, exec_lo
	s_delay_alu instid0(VALU_DEP_2)
	v_cmpx_ne_u32_e32 0x7f, v9
	s_cbranch_execz .LBB450_3481
; %bb.3478:                             ;   in Loop: Header=BB450_3110 Depth=1
	v_and_b32_e32 v12, 7, v19
	v_lshrrev_b32_e32 v20, 3, v9
	v_cmp_gt_u32_e64 s9, 8, v9
	s_delay_alu instid0(VALU_DEP_3) | instskip(NEXT) | instid1(VALU_DEP_2)
	v_dual_mov_b32 v8, v12 :: v_dual_mov_b32 v9, v13
	s_and_saveexec_b32 s26, s9
; %bb.3479:                             ;   in Loop: Header=BB450_3110 Depth=1
	v_clz_i32_u32_e32 v8, v12
	s_delay_alu instid0(VALU_DEP_1) | instskip(NEXT) | instid1(VALU_DEP_1)
	v_min_u32_e32 v20, 32, v8
	v_subrev_nc_u32_e32 v8, 28, v20
	v_sub_nc_u32_e32 v20, 29, v20
	s_delay_alu instid0(VALU_DEP_2) | instskip(NEXT) | instid1(VALU_DEP_1)
	v_lshlrev_b64 v[8:9], v8, v[12:13]
	v_and_b32_e32 v8, 7, v8
; %bb.3480:                             ;   in Loop: Header=BB450_3110 Depth=1
	s_or_b32 exec_lo, exec_lo, s26
	v_lshlrev_b32_e32 v9, 24, v19
	s_delay_alu instid0(VALU_DEP_2) | instskip(SKIP_1) | instid1(VALU_DEP_3)
	v_lshlrev_b32_e32 v8, 20, v8
	v_lshl_add_u32 v12, v20, 23, 0x3c000000
	v_and_b32_e32 v9, 0x80000000, v9
	s_delay_alu instid0(VALU_DEP_1)
	v_or3_b32 v8, v8, v9, v12
.LBB450_3481:                           ;   in Loop: Header=BB450_3110 Depth=1
	s_or_b32 exec_lo, exec_lo, s25
.LBB450_3482:                           ;   in Loop: Header=BB450_3110 Depth=1
	s_delay_alu instid0(SALU_CYCLE_1)
	s_or_b32 exec_lo, exec_lo, s24
.LBB450_3483:                           ;   in Loop: Header=BB450_3110 Depth=1
	s_delay_alu instid0(SALU_CYCLE_1) | instskip(NEXT) | instid1(VALU_DEP_1)
	s_or_b32 exec_lo, exec_lo, s23
	v_mul_f32_e32 v8, v160, v8
	s_delay_alu instid0(VALU_DEP_1) | instskip(NEXT) | instid1(VALU_DEP_1)
	v_and_b32_e32 v9, 0x7f800000, v8
	v_cmp_ne_u32_e64 s9, 0x7f800000, v9
                                        ; implicit-def: $vgpr9
	s_delay_alu instid0(VALU_DEP_1) | instskip(NEXT) | instid1(SALU_CYCLE_1)
	s_and_saveexec_b32 s23, s9
	s_xor_b32 s9, exec_lo, s23
; %bb.3484:                             ;   in Loop: Header=BB450_3110 Depth=1
	v_bfe_u32 v9, v8, 16, 1
	s_delay_alu instid0(VALU_DEP_1)
	v_add3_u32 v9, v8, v9, 0x7fff
                                        ; implicit-def: $vgpr8
; %bb.3485:                             ;   in Loop: Header=BB450_3110 Depth=1
	s_and_not1_saveexec_b32 s23, s9
; %bb.3486:                             ;   in Loop: Header=BB450_3110 Depth=1
	v_and_b32_e32 v9, 0xffff, v8
	v_or_b32_e32 v12, 0x10000, v8
	s_delay_alu instid0(VALU_DEP_2) | instskip(NEXT) | instid1(VALU_DEP_1)
	v_cmp_eq_u32_e64 s9, 0, v9
	v_cndmask_b32_e64 v9, v12, v8, s9
; %bb.3487:                             ;   in Loop: Header=BB450_3110 Depth=1
	s_or_b32 exec_lo, exec_lo, s23
	v_cmp_lt_u64_e64 s9, s[18:19], v[6:7]
	v_mov_b32_e32 v6, 0
	s_delay_alu instid0(VALU_DEP_2)
	s_and_saveexec_b32 s23, s9
	s_cbranch_execz .LBB450_3495
; %bb.3488:                             ;   in Loop: Header=BB450_3110 Depth=1
	v_lshrrev_b32_e32 v8, 24, v7
	v_bfrev_b32_e32 v6, 1
	s_mov_b32 s24, exec_lo
	s_delay_alu instid0(VALU_DEP_2)
	v_cmpx_ne_u32_e32 0x80, v8
	s_cbranch_execz .LBB450_3494
; %bb.3489:                             ;   in Loop: Header=BB450_3110 Depth=1
	v_bfe_u32 v7, v7, 24, 7
	v_mov_b32_e32 v6, 0x7f800001
	s_mov_b32 s25, exec_lo
	s_delay_alu instid0(VALU_DEP_2)
	v_cmpx_ne_u32_e32 0x7f, v7
	s_cbranch_execz .LBB450_3493
; %bb.3490:                             ;   in Loop: Header=BB450_3110 Depth=1
	v_and_b32_e32 v12, 7, v8
	v_lshrrev_b32_e32 v19, 3, v7
	v_cmp_gt_u32_e64 s9, 8, v7
	s_delay_alu instid0(VALU_DEP_3) | instskip(NEXT) | instid1(VALU_DEP_2)
	v_dual_mov_b32 v6, v12 :: v_dual_mov_b32 v7, v13
	s_and_saveexec_b32 s26, s9
; %bb.3491:                             ;   in Loop: Header=BB450_3110 Depth=1
	v_clz_i32_u32_e32 v6, v12
	s_delay_alu instid0(VALU_DEP_1) | instskip(NEXT) | instid1(VALU_DEP_1)
	v_min_u32_e32 v19, 32, v6
	v_subrev_nc_u32_e32 v6, 28, v19
	v_sub_nc_u32_e32 v19, 29, v19
	s_delay_alu instid0(VALU_DEP_2) | instskip(NEXT) | instid1(VALU_DEP_1)
	v_lshlrev_b64 v[6:7], v6, v[12:13]
	v_and_b32_e32 v6, 7, v6
; %bb.3492:                             ;   in Loop: Header=BB450_3110 Depth=1
	s_or_b32 exec_lo, exec_lo, s26
	v_lshlrev_b32_e32 v7, 24, v8
	s_delay_alu instid0(VALU_DEP_2) | instskip(SKIP_1) | instid1(VALU_DEP_3)
	v_lshlrev_b32_e32 v6, 20, v6
	v_lshl_add_u32 v8, v19, 23, 0x3c000000
	v_and_b32_e32 v7, 0x80000000, v7
	s_delay_alu instid0(VALU_DEP_1)
	v_or3_b32 v6, v6, v7, v8
.LBB450_3493:                           ;   in Loop: Header=BB450_3110 Depth=1
	s_or_b32 exec_lo, exec_lo, s25
.LBB450_3494:                           ;   in Loop: Header=BB450_3110 Depth=1
	s_delay_alu instid0(SALU_CYCLE_1)
	s_or_b32 exec_lo, exec_lo, s24
.LBB450_3495:                           ;   in Loop: Header=BB450_3110 Depth=1
	s_delay_alu instid0(SALU_CYCLE_1) | instskip(NEXT) | instid1(VALU_DEP_1)
	s_or_b32 exec_lo, exec_lo, s23
	v_mul_f32_e32 v6, v160, v6
                                        ; implicit-def: $vgpr19
	s_delay_alu instid0(VALU_DEP_1) | instskip(NEXT) | instid1(VALU_DEP_1)
	v_and_b32_e32 v7, 0x7f800000, v6
	v_cmp_ne_u32_e64 s9, 0x7f800000, v7
	s_delay_alu instid0(VALU_DEP_1) | instskip(NEXT) | instid1(SALU_CYCLE_1)
	s_and_saveexec_b32 s23, s9
	s_xor_b32 s9, exec_lo, s23
; %bb.3496:                             ;   in Loop: Header=BB450_3110 Depth=1
	v_bfe_u32 v7, v6, 16, 1
	s_delay_alu instid0(VALU_DEP_1)
	v_add3_u32 v19, v6, v7, 0x7fff
                                        ; implicit-def: $vgpr6
; %bb.3497:                             ;   in Loop: Header=BB450_3110 Depth=1
	s_and_not1_saveexec_b32 s23, s9
; %bb.3498:                             ;   in Loop: Header=BB450_3110 Depth=1
	v_and_b32_e32 v7, 0xffff, v6
	v_or_b32_e32 v8, 0x10000, v6
	s_delay_alu instid0(VALU_DEP_2) | instskip(NEXT) | instid1(VALU_DEP_1)
	v_cmp_eq_u32_e64 s9, 0, v7
	v_cndmask_b32_e64 v19, v8, v6, s9
; %bb.3499:                             ;   in Loop: Header=BB450_3110 Depth=1
	s_or_b32 exec_lo, exec_lo, s23
	v_lshrrev_b32_e32 v6, 16, v18
	v_lshrrev_b32_e32 v7, 16, v16
	;; [unrolled: 1-line block ×8, first 2 shown]
	s_and_saveexec_b32 s9, s1
; %bb.3500:                             ;   in Loop: Header=BB450_3110 Depth=1
	s_delay_alu instid0(VALU_DEP_3)
	v_cndmask_b32_e32 v12, 0, v12, vcc_lo
	v_cndmask_b32_e64 v11, 0, v11, s2
	v_cndmask_b32_e64 v10, 0, v10, s3
	;; [unrolled: 1-line block ×7, first 2 shown]
; %bb.3501:                             ;   in Loop: Header=BB450_3110 Depth=1
	s_or_b32 exec_lo, exec_lo, s9
	v_lshlrev_b32_e32 v9, 16, v12
	s_delay_alu instid0(VALU_DEP_1) | instskip(NEXT) | instid1(VALU_DEP_1)
	v_mul_f32_e32 v9, v161, v9
	v_and_b32_e32 v12, 0x7f800000, v9
	s_delay_alu instid0(VALU_DEP_1) | instskip(NEXT) | instid1(VALU_DEP_1)
	v_cmp_ne_u32_e64 s9, 0x7f800000, v12
                                        ; implicit-def: $vgpr12
                                        ; kill: killed $vgpr12
	s_and_saveexec_b32 s23, s9
	s_delay_alu instid0(SALU_CYCLE_1)
	s_xor_b32 s9, exec_lo, s23
	s_cbranch_execz .LBB450_3503
; %bb.3502:                             ;   in Loop: Header=BB450_3110 Depth=1
	v_bfe_u32 v12, v9, 16, 1
	s_delay_alu instid0(VALU_DEP_1)
	v_add3_u32 v9, v9, v12, 0x7fff
	scratch_store_b32 off, v9, s32 offset:548 ; 4-byte Folded Spill
                                        ; implicit-def: $vgpr9
.LBB450_3503:                           ;   in Loop: Header=BB450_3110 Depth=1
	s_and_not1_saveexec_b32 s23, s9
	s_cbranch_execz .LBB450_3505
; %bb.3504:                             ;   in Loop: Header=BB450_3110 Depth=1
	v_and_b32_e32 v12, 0xffff, v9
	v_or_b32_e32 v16, 0x10000, v9
	s_delay_alu instid0(VALU_DEP_2) | instskip(NEXT) | instid1(VALU_DEP_1)
	v_cmp_eq_u32_e64 s9, 0, v12
	v_cndmask_b32_e64 v9, v16, v9, s9
	scratch_store_b32 off, v9, s32 offset:548 ; 4-byte Folded Spill
.LBB450_3505:                           ;   in Loop: Header=BB450_3110 Depth=1
	s_or_b32 exec_lo, exec_lo, s23
	v_lshlrev_b32_e32 v9, 16, v11
	s_delay_alu instid0(VALU_DEP_1) | instskip(NEXT) | instid1(VALU_DEP_1)
	v_mul_f32_e32 v9, v162, v9
	v_and_b32_e32 v11, 0x7f800000, v9
	s_delay_alu instid0(VALU_DEP_1) | instskip(NEXT) | instid1(VALU_DEP_1)
	v_cmp_ne_u32_e64 s9, 0x7f800000, v11
                                        ; implicit-def: $vgpr11
                                        ; kill: killed $vgpr11
	s_and_saveexec_b32 s23, s9
	s_delay_alu instid0(SALU_CYCLE_1)
	s_xor_b32 s9, exec_lo, s23
	s_cbranch_execz .LBB450_3507
; %bb.3506:                             ;   in Loop: Header=BB450_3110 Depth=1
	v_bfe_u32 v11, v9, 16, 1
	s_delay_alu instid0(VALU_DEP_1)
	v_add3_u32 v9, v9, v11, 0x7fff
	scratch_store_b32 off, v9, s32 offset:552 ; 4-byte Folded Spill
                                        ; implicit-def: $vgpr9
.LBB450_3507:                           ;   in Loop: Header=BB450_3110 Depth=1
	s_and_not1_saveexec_b32 s23, s9
	s_cbranch_execz .LBB450_3509
; %bb.3508:                             ;   in Loop: Header=BB450_3110 Depth=1
	v_and_b32_e32 v11, 0xffff, v9
	v_or_b32_e32 v12, 0x10000, v9
	s_delay_alu instid0(VALU_DEP_2) | instskip(NEXT) | instid1(VALU_DEP_1)
	v_cmp_eq_u32_e64 s9, 0, v11
	v_cndmask_b32_e64 v9, v12, v9, s9
	scratch_store_b32 off, v9, s32 offset:552 ; 4-byte Folded Spill
.LBB450_3509:                           ;   in Loop: Header=BB450_3110 Depth=1
	s_or_b32 exec_lo, exec_lo, s23
	v_lshlrev_b32_e32 v9, 16, v10
	s_delay_alu instid0(VALU_DEP_1) | instskip(NEXT) | instid1(VALU_DEP_1)
	v_mul_f32_e32 v9, v163, v9
	v_and_b32_e32 v10, 0x7f800000, v9
	s_delay_alu instid0(VALU_DEP_1) | instskip(NEXT) | instid1(VALU_DEP_1)
	v_cmp_ne_u32_e64 s9, 0x7f800000, v10
                                        ; implicit-def: $vgpr10
                                        ; kill: killed $vgpr10
	s_and_saveexec_b32 s23, s9
	s_delay_alu instid0(SALU_CYCLE_1)
	s_xor_b32 s9, exec_lo, s23
	s_cbranch_execz .LBB450_3511
; %bb.3510:                             ;   in Loop: Header=BB450_3110 Depth=1
	v_bfe_u32 v10, v9, 16, 1
	s_delay_alu instid0(VALU_DEP_1)
	v_add3_u32 v9, v9, v10, 0x7fff
	scratch_store_b32 off, v9, s32 offset:556 ; 4-byte Folded Spill
                                        ; implicit-def: $vgpr9
.LBB450_3511:                           ;   in Loop: Header=BB450_3110 Depth=1
	s_and_not1_saveexec_b32 s23, s9
	s_cbranch_execz .LBB450_3513
; %bb.3512:                             ;   in Loop: Header=BB450_3110 Depth=1
	v_and_b32_e32 v10, 0xffff, v9
	v_or_b32_e32 v11, 0x10000, v9
	s_delay_alu instid0(VALU_DEP_2) | instskip(NEXT) | instid1(VALU_DEP_1)
	v_cmp_eq_u32_e64 s9, 0, v10
	v_cndmask_b32_e64 v9, v11, v9, s9
	scratch_store_b32 off, v9, s32 offset:556 ; 4-byte Folded Spill
.LBB450_3513:                           ;   in Loop: Header=BB450_3110 Depth=1
	s_or_b32 exec_lo, exec_lo, s23
	v_lshlrev_b32_e32 v8, 16, v8
	s_delay_alu instid0(VALU_DEP_1) | instskip(NEXT) | instid1(VALU_DEP_1)
	v_mul_f32_e32 v8, v164, v8
	v_and_b32_e32 v9, 0x7f800000, v8
	s_delay_alu instid0(VALU_DEP_1) | instskip(NEXT) | instid1(VALU_DEP_1)
	v_cmp_ne_u32_e64 s9, 0x7f800000, v9
                                        ; implicit-def: $vgpr9
                                        ; kill: killed $vgpr9
	s_and_saveexec_b32 s23, s9
	s_delay_alu instid0(SALU_CYCLE_1)
	s_xor_b32 s9, exec_lo, s23
	s_cbranch_execz .LBB450_3515
; %bb.3514:                             ;   in Loop: Header=BB450_3110 Depth=1
	v_bfe_u32 v9, v8, 16, 1
	s_delay_alu instid0(VALU_DEP_1)
	v_add3_u32 v8, v8, v9, 0x7fff
	scratch_store_b32 off, v8, s32 offset:560 ; 4-byte Folded Spill
                                        ; implicit-def: $vgpr8
.LBB450_3515:                           ;   in Loop: Header=BB450_3110 Depth=1
	s_and_not1_saveexec_b32 s23, s9
	s_cbranch_execz .LBB450_3517
; %bb.3516:                             ;   in Loop: Header=BB450_3110 Depth=1
	v_and_b32_e32 v9, 0xffff, v8
	v_or_b32_e32 v10, 0x10000, v8
	s_delay_alu instid0(VALU_DEP_2) | instskip(NEXT) | instid1(VALU_DEP_1)
	v_cmp_eq_u32_e64 s9, 0, v9
	v_cndmask_b32_e64 v8, v10, v8, s9
	scratch_store_b32 off, v8, s32 offset:560 ; 4-byte Folded Spill
.LBB450_3517:                           ;   in Loop: Header=BB450_3110 Depth=1
	s_or_b32 exec_lo, exec_lo, s23
	v_lshlrev_b32_e32 v7, 16, v7
	s_delay_alu instid0(VALU_DEP_1) | instskip(NEXT) | instid1(VALU_DEP_1)
	v_mul_f32_e32 v7, v165, v7
	v_and_b32_e32 v8, 0x7f800000, v7
	s_delay_alu instid0(VALU_DEP_1) | instskip(NEXT) | instid1(VALU_DEP_1)
	v_cmp_ne_u32_e64 s9, 0x7f800000, v8
                                        ; implicit-def: $vgpr8
                                        ; kill: killed $vgpr8
	s_and_saveexec_b32 s23, s9
	s_delay_alu instid0(SALU_CYCLE_1)
	s_xor_b32 s9, exec_lo, s23
	s_cbranch_execz .LBB450_3519
; %bb.3518:                             ;   in Loop: Header=BB450_3110 Depth=1
	v_bfe_u32 v8, v7, 16, 1
	s_delay_alu instid0(VALU_DEP_1)
	v_add3_u32 v7, v7, v8, 0x7fff
	scratch_store_b32 off, v7, s32 offset:564 ; 4-byte Folded Spill
                                        ; implicit-def: $vgpr7
.LBB450_3519:                           ;   in Loop: Header=BB450_3110 Depth=1
	s_and_not1_saveexec_b32 s23, s9
	s_cbranch_execz .LBB450_3521
; %bb.3520:                             ;   in Loop: Header=BB450_3110 Depth=1
	v_and_b32_e32 v8, 0xffff, v7
	v_or_b32_e32 v9, 0x10000, v7
	s_delay_alu instid0(VALU_DEP_2) | instskip(NEXT) | instid1(VALU_DEP_1)
	v_cmp_eq_u32_e64 s9, 0, v8
	v_cndmask_b32_e64 v7, v9, v7, s9
	scratch_store_b32 off, v7, s32 offset:564 ; 4-byte Folded Spill
.LBB450_3521:                           ;   in Loop: Header=BB450_3110 Depth=1
	s_or_b32 exec_lo, exec_lo, s23
	v_lshlrev_b32_e32 v6, 16, v6
	s_delay_alu instid0(VALU_DEP_1) | instskip(NEXT) | instid1(VALU_DEP_1)
	v_mul_f32_e32 v6, v166, v6
	v_and_b32_e32 v7, 0x7f800000, v6
	s_delay_alu instid0(VALU_DEP_1) | instskip(NEXT) | instid1(VALU_DEP_1)
	v_cmp_ne_u32_e64 s9, 0x7f800000, v7
                                        ; implicit-def: $vgpr7
                                        ; kill: killed $vgpr7
	s_and_saveexec_b32 s23, s9
	s_delay_alu instid0(SALU_CYCLE_1)
	s_xor_b32 s9, exec_lo, s23
	s_cbranch_execz .LBB450_3523
; %bb.3522:                             ;   in Loop: Header=BB450_3110 Depth=1
	v_bfe_u32 v7, v6, 16, 1
	s_delay_alu instid0(VALU_DEP_1)
	v_add3_u32 v6, v6, v7, 0x7fff
	scratch_store_b32 off, v6, s32 offset:568 ; 4-byte Folded Spill
                                        ; implicit-def: $vgpr6
.LBB450_3523:                           ;   in Loop: Header=BB450_3110 Depth=1
	s_and_not1_saveexec_b32 s23, s9
	s_cbranch_execz .LBB450_3525
; %bb.3524:                             ;   in Loop: Header=BB450_3110 Depth=1
	v_and_b32_e32 v7, 0xffff, v6
	v_or_b32_e32 v8, 0x10000, v6
	s_delay_alu instid0(VALU_DEP_2) | instskip(NEXT) | instid1(VALU_DEP_1)
	v_cmp_eq_u32_e64 s9, 0, v7
	v_cndmask_b32_e64 v6, v8, v6, s9
	scratch_store_b32 off, v6, s32 offset:568 ; 4-byte Folded Spill
.LBB450_3525:                           ;   in Loop: Header=BB450_3110 Depth=1
	s_or_b32 exec_lo, exec_lo, s23
	v_lshlrev_b32_e32 v5, 16, v5
	s_delay_alu instid0(VALU_DEP_1) | instskip(NEXT) | instid1(VALU_DEP_1)
	v_mul_f32_e32 v5, v167, v5
	v_and_b32_e32 v6, 0x7f800000, v5
	s_delay_alu instid0(VALU_DEP_1) | instskip(NEXT) | instid1(VALU_DEP_1)
	v_cmp_ne_u32_e64 s9, 0x7f800000, v6
                                        ; implicit-def: $vgpr6
                                        ; kill: killed $vgpr6
	s_and_saveexec_b32 s23, s9
	s_delay_alu instid0(SALU_CYCLE_1)
	s_xor_b32 s9, exec_lo, s23
	s_cbranch_execz .LBB450_3527
; %bb.3526:                             ;   in Loop: Header=BB450_3110 Depth=1
	v_bfe_u32 v6, v5, 16, 1
	s_delay_alu instid0(VALU_DEP_1)
	v_add3_u32 v5, v5, v6, 0x7fff
	scratch_store_b32 off, v5, s32 offset:572 ; 4-byte Folded Spill
                                        ; implicit-def: $vgpr5
.LBB450_3527:                           ;   in Loop: Header=BB450_3110 Depth=1
	s_and_not1_saveexec_b32 s23, s9
	s_cbranch_execz .LBB450_3529
; %bb.3528:                             ;   in Loop: Header=BB450_3110 Depth=1
	v_and_b32_e32 v6, 0xffff, v5
	v_or_b32_e32 v7, 0x10000, v5
	s_delay_alu instid0(VALU_DEP_2) | instskip(NEXT) | instid1(VALU_DEP_1)
	v_cmp_eq_u32_e64 s9, 0, v6
	v_cndmask_b32_e64 v5, v7, v5, s9
	scratch_store_b32 off, v5, s32 offset:572 ; 4-byte Folded Spill
.LBB450_3529:                           ;   in Loop: Header=BB450_3110 Depth=1
	s_or_b32 exec_lo, exec_lo, s23
	v_lshlrev_b32_e32 v4, 16, v4
	s_delay_alu instid0(VALU_DEP_1) | instskip(NEXT) | instid1(VALU_DEP_1)
	v_mul_f32_e32 v4, v176, v4
	v_and_b32_e32 v5, 0x7f800000, v4
	s_delay_alu instid0(VALU_DEP_1) | instskip(NEXT) | instid1(VALU_DEP_1)
	v_cmp_ne_u32_e64 s9, 0x7f800000, v5
                                        ; implicit-def: $vgpr5
                                        ; kill: killed $vgpr5
	s_and_saveexec_b32 s23, s9
	s_delay_alu instid0(SALU_CYCLE_1)
	s_xor_b32 s9, exec_lo, s23
	s_cbranch_execz .LBB450_3531
; %bb.3530:                             ;   in Loop: Header=BB450_3110 Depth=1
	v_bfe_u32 v5, v4, 16, 1
	s_delay_alu instid0(VALU_DEP_1)
	v_add3_u32 v4, v4, v5, 0x7fff
	scratch_store_b32 off, v4, s32 offset:576 ; 4-byte Folded Spill
                                        ; implicit-def: $vgpr4
.LBB450_3531:                           ;   in Loop: Header=BB450_3110 Depth=1
	s_and_not1_saveexec_b32 s23, s9
	s_cbranch_execz .LBB450_3533
; %bb.3532:                             ;   in Loop: Header=BB450_3110 Depth=1
	v_and_b32_e32 v5, 0xffff, v4
	v_or_b32_e32 v6, 0x10000, v4
	s_delay_alu instid0(VALU_DEP_2) | instskip(NEXT) | instid1(VALU_DEP_1)
	v_cmp_eq_u32_e64 s9, 0, v5
	v_cndmask_b32_e64 v4, v6, v4, s9
	scratch_store_b32 off, v4, s32 offset:576 ; 4-byte Folded Spill
.LBB450_3533:                           ;   in Loop: Header=BB450_3110 Depth=1
	s_or_b32 exec_lo, exec_lo, s23
	flat_load_b64 v[6:7], v[2:3] offset:768
	s_mov_b32 s23, exec_lo
	s_waitcnt vmcnt(0) lgkmcnt(0)
	v_dual_mov_b32 v4, 0 :: v_dual_and_b32 v5, 0xff, v6
	s_delay_alu instid0(VALU_DEP_1)
	v_cmpx_ne_u16_e32 0, v5
	s_cbranch_execz .LBB450_3541
; %bb.3534:                             ;   in Loop: Header=BB450_3110 Depth=1
	v_bfrev_b32_e32 v4, 1
	s_mov_b32 s24, exec_lo
	v_cmpx_ne_u16_e32 0x80, v5
	s_cbranch_execz .LBB450_3540
; %bb.3535:                             ;   in Loop: Header=BB450_3110 Depth=1
	v_and_b32_e32 v5, 0x7f, v6
	v_mov_b32_e32 v4, 0x7f800001
	s_mov_b32 s25, exec_lo
	s_delay_alu instid0(VALU_DEP_2)
	v_cmpx_ne_u32_e32 0x7f, v5
	s_cbranch_execz .LBB450_3539
; %bb.3536:                             ;   in Loop: Header=BB450_3110 Depth=1
	v_lshrrev_b32_e32 v4, 3, v5
	v_dual_mov_b32 v9, v7 :: v_dual_mov_b32 v8, v6
	s_mov_b32 s26, exec_lo
	v_cmpx_gt_u32_e32 8, v5
; %bb.3537:                             ;   in Loop: Header=BB450_3110 Depth=1
	v_and_b32_e32 v4, 7, v6
	s_delay_alu instid0(VALU_DEP_1) | instskip(NEXT) | instid1(VALU_DEP_1)
	v_clz_i32_u32_e32 v4, v4
	v_min_u32_e32 v4, 32, v4
	s_delay_alu instid0(VALU_DEP_1) | instskip(SKIP_1) | instid1(VALU_DEP_2)
	v_subrev_nc_u32_e32 v5, 28, v4
	v_sub_nc_u32_e32 v4, 29, v4
	v_lshlrev_b64 v[8:9], v5, v[6:7]
; %bb.3538:                             ;   in Loop: Header=BB450_3110 Depth=1
	s_or_b32 exec_lo, exec_lo, s26
	s_delay_alu instid0(VALU_DEP_1) | instskip(SKIP_2) | instid1(VALU_DEP_3)
	v_lshlrev_b32_e32 v5, 20, v8
	v_lshlrev_b32_e32 v8, 24, v6
	v_lshl_add_u32 v4, v4, 23, 0x3c000000
	v_and_b32_e32 v5, 0x700000, v5
	s_delay_alu instid0(VALU_DEP_3) | instskip(NEXT) | instid1(VALU_DEP_1)
	v_and_b32_e32 v8, 0x80000000, v8
	v_or3_b32 v4, v5, v8, v4
.LBB450_3539:                           ;   in Loop: Header=BB450_3110 Depth=1
	s_or_b32 exec_lo, exec_lo, s25
.LBB450_3540:                           ;   in Loop: Header=BB450_3110 Depth=1
	s_delay_alu instid0(SALU_CYCLE_1)
	s_or_b32 exec_lo, exec_lo, s24
.LBB450_3541:                           ;   in Loop: Header=BB450_3110 Depth=1
	s_delay_alu instid0(SALU_CYCLE_1) | instskip(NEXT) | instid1(VALU_DEP_1)
	s_or_b32 exec_lo, exec_lo, s23
	v_mul_f32_e32 v5, v160, v4
	s_delay_alu instid0(VALU_DEP_1) | instskip(NEXT) | instid1(VALU_DEP_1)
	v_and_b32_e32 v4, 0x7f800000, v5
	v_cmp_ne_u32_e64 s9, 0x7f800000, v4
                                        ; implicit-def: $vgpr4
	s_delay_alu instid0(VALU_DEP_1) | instskip(NEXT) | instid1(SALU_CYCLE_1)
	s_and_saveexec_b32 s23, s9
	s_xor_b32 s9, exec_lo, s23
; %bb.3542:                             ;   in Loop: Header=BB450_3110 Depth=1
	v_bfe_u32 v4, v5, 16, 1
	s_delay_alu instid0(VALU_DEP_1)
	v_add3_u32 v4, v5, v4, 0x7fff
                                        ; implicit-def: $vgpr5
; %bb.3543:                             ;   in Loop: Header=BB450_3110 Depth=1
	s_and_not1_saveexec_b32 s23, s9
; %bb.3544:                             ;   in Loop: Header=BB450_3110 Depth=1
	v_and_b32_e32 v4, 0xffff, v5
	v_or_b32_e32 v8, 0x10000, v5
	s_delay_alu instid0(VALU_DEP_2) | instskip(NEXT) | instid1(VALU_DEP_1)
	v_cmp_eq_u32_e64 s9, 0, v4
	v_cndmask_b32_e64 v4, v8, v5, s9
; %bb.3545:                             ;   in Loop: Header=BB450_3110 Depth=1
	s_or_b32 exec_lo, exec_lo, s23
	v_lshrrev_b16 v8, 8, v6
	v_mov_b32_e32 v5, 0
	s_mov_b32 s23, exec_lo
	s_delay_alu instid0(VALU_DEP_2)
	v_cmpx_ne_u16_e32 0, v8
	s_cbranch_execz .LBB450_3553
; %bb.3546:                             ;   in Loop: Header=BB450_3110 Depth=1
	v_bfrev_b32_e32 v5, 1
	s_mov_b32 s24, exec_lo
	v_cmpx_ne_u16_e32 0x80, v8
	s_cbranch_execz .LBB450_3552
; %bb.3547:                             ;   in Loop: Header=BB450_3110 Depth=1
	v_and_b32_e32 v9, 0xffff, v8
	v_mov_b32_e32 v5, 0x7f800001
	s_mov_b32 s25, exec_lo
	s_delay_alu instid0(VALU_DEP_2) | instskip(NEXT) | instid1(VALU_DEP_1)
	v_and_b32_e32 v8, 0x7f, v9
	v_cmpx_ne_u32_e32 0x7f, v8
	s_cbranch_execz .LBB450_3551
; %bb.3548:                             ;   in Loop: Header=BB450_3110 Depth=1
	v_and_b32_e32 v12, 7, v9
	v_lshrrev_b32_e32 v5, 3, v8
	v_cmp_gt_u32_e64 s9, 8, v8
	s_delay_alu instid0(VALU_DEP_3) | instskip(NEXT) | instid1(VALU_DEP_2)
	v_dual_mov_b32 v8, v12 :: v_dual_mov_b32 v9, v13
	s_and_saveexec_b32 s26, s9
; %bb.3549:                             ;   in Loop: Header=BB450_3110 Depth=1
	v_clz_i32_u32_e32 v5, v12
	s_delay_alu instid0(VALU_DEP_1) | instskip(NEXT) | instid1(VALU_DEP_1)
	v_min_u32_e32 v5, 32, v5
	v_subrev_nc_u32_e32 v8, 28, v5
	v_sub_nc_u32_e32 v5, 29, v5
	s_delay_alu instid0(VALU_DEP_2) | instskip(NEXT) | instid1(VALU_DEP_1)
	v_lshlrev_b64 v[8:9], v8, v[12:13]
	v_and_b32_e32 v8, 7, v8
; %bb.3550:                             ;   in Loop: Header=BB450_3110 Depth=1
	s_or_b32 exec_lo, exec_lo, s26
	v_lshlrev_b32_e32 v9, 16, v6
	s_delay_alu instid0(VALU_DEP_2) | instskip(SKIP_1) | instid1(VALU_DEP_3)
	v_lshlrev_b32_e32 v8, 20, v8
	v_lshl_add_u32 v5, v5, 23, 0x3c000000
	v_and_b32_e32 v9, 0x80000000, v9
	s_delay_alu instid0(VALU_DEP_1)
	v_or3_b32 v5, v8, v9, v5
.LBB450_3551:                           ;   in Loop: Header=BB450_3110 Depth=1
	s_or_b32 exec_lo, exec_lo, s25
.LBB450_3552:                           ;   in Loop: Header=BB450_3110 Depth=1
	s_delay_alu instid0(SALU_CYCLE_1)
	s_or_b32 exec_lo, exec_lo, s24
.LBB450_3553:                           ;   in Loop: Header=BB450_3110 Depth=1
	s_delay_alu instid0(SALU_CYCLE_1) | instskip(NEXT) | instid1(VALU_DEP_1)
	s_or_b32 exec_lo, exec_lo, s23
	v_mul_f32_e32 v8, v160, v5
	s_delay_alu instid0(VALU_DEP_1) | instskip(NEXT) | instid1(VALU_DEP_1)
	v_and_b32_e32 v5, 0x7f800000, v8
	v_cmp_ne_u32_e64 s9, 0x7f800000, v5
                                        ; implicit-def: $vgpr5
	s_delay_alu instid0(VALU_DEP_1) | instskip(NEXT) | instid1(SALU_CYCLE_1)
	s_and_saveexec_b32 s23, s9
	s_xor_b32 s9, exec_lo, s23
; %bb.3554:                             ;   in Loop: Header=BB450_3110 Depth=1
	v_bfe_u32 v5, v8, 16, 1
	s_delay_alu instid0(VALU_DEP_1)
	v_add3_u32 v5, v8, v5, 0x7fff
                                        ; implicit-def: $vgpr8
; %bb.3555:                             ;   in Loop: Header=BB450_3110 Depth=1
	s_and_not1_saveexec_b32 s23, s9
; %bb.3556:                             ;   in Loop: Header=BB450_3110 Depth=1
	v_and_b32_e32 v5, 0xffff, v8
	v_or_b32_e32 v9, 0x10000, v8
	s_delay_alu instid0(VALU_DEP_2) | instskip(NEXT) | instid1(VALU_DEP_1)
	v_cmp_eq_u32_e64 s9, 0, v5
	v_cndmask_b32_e64 v5, v9, v8, s9
; %bb.3557:                             ;   in Loop: Header=BB450_3110 Depth=1
	s_or_b32 exec_lo, exec_lo, s23
	v_lshrrev_b32_e32 v10, 16, v6
	s_mov_b32 s23, exec_lo
	s_delay_alu instid0(VALU_DEP_1) | instskip(NEXT) | instid1(VALU_DEP_1)
	v_dual_mov_b32 v8, 0 :: v_dual_and_b32 v9, 0xff, v10
	v_cmpx_ne_u16_e32 0, v9
	s_cbranch_execz .LBB450_3565
; %bb.3558:                             ;   in Loop: Header=BB450_3110 Depth=1
	v_bfrev_b32_e32 v8, 1
	s_mov_b32 s24, exec_lo
	v_cmpx_ne_u16_e32 0x80, v9
	s_cbranch_execz .LBB450_3564
; %bb.3559:                             ;   in Loop: Header=BB450_3110 Depth=1
	v_bfe_u32 v9, v6, 16, 7
	v_mov_b32_e32 v8, 0x7f800001
	s_mov_b32 s25, exec_lo
	s_delay_alu instid0(VALU_DEP_2)
	v_cmpx_ne_u32_e32 0x7f, v9
	s_cbranch_execz .LBB450_3563
; %bb.3560:                             ;   in Loop: Header=BB450_3110 Depth=1
	v_and_b32_e32 v12, 7, v10
	v_lshrrev_b32_e32 v11, 3, v9
	v_cmp_gt_u32_e64 s9, 8, v9
	s_delay_alu instid0(VALU_DEP_3) | instskip(NEXT) | instid1(VALU_DEP_2)
	v_dual_mov_b32 v8, v12 :: v_dual_mov_b32 v9, v13
	s_and_saveexec_b32 s26, s9
; %bb.3561:                             ;   in Loop: Header=BB450_3110 Depth=1
	v_clz_i32_u32_e32 v8, v12
	s_delay_alu instid0(VALU_DEP_1) | instskip(NEXT) | instid1(VALU_DEP_1)
	v_min_u32_e32 v11, 32, v8
	v_subrev_nc_u32_e32 v8, 28, v11
	v_sub_nc_u32_e32 v11, 29, v11
	s_delay_alu instid0(VALU_DEP_2) | instskip(NEXT) | instid1(VALU_DEP_1)
	v_lshlrev_b64 v[8:9], v8, v[12:13]
	v_and_b32_e32 v8, 7, v8
; %bb.3562:                             ;   in Loop: Header=BB450_3110 Depth=1
	s_or_b32 exec_lo, exec_lo, s26
	v_lshlrev_b32_e32 v9, 24, v10
	s_delay_alu instid0(VALU_DEP_2) | instskip(SKIP_1) | instid1(VALU_DEP_3)
	v_lshlrev_b32_e32 v8, 20, v8
	v_lshl_add_u32 v10, v11, 23, 0x3c000000
	v_and_b32_e32 v9, 0x80000000, v9
	s_delay_alu instid0(VALU_DEP_1)
	v_or3_b32 v8, v8, v9, v10
.LBB450_3563:                           ;   in Loop: Header=BB450_3110 Depth=1
	s_or_b32 exec_lo, exec_lo, s25
.LBB450_3564:                           ;   in Loop: Header=BB450_3110 Depth=1
	s_delay_alu instid0(SALU_CYCLE_1)
	s_or_b32 exec_lo, exec_lo, s24
.LBB450_3565:                           ;   in Loop: Header=BB450_3110 Depth=1
	s_delay_alu instid0(SALU_CYCLE_1) | instskip(NEXT) | instid1(VALU_DEP_1)
	s_or_b32 exec_lo, exec_lo, s23
	v_mul_f32_e32 v8, v160, v8
                                        ; implicit-def: $vgpr10
	s_delay_alu instid0(VALU_DEP_1) | instskip(NEXT) | instid1(VALU_DEP_1)
	v_and_b32_e32 v9, 0x7f800000, v8
	v_cmp_ne_u32_e64 s9, 0x7f800000, v9
	s_delay_alu instid0(VALU_DEP_1) | instskip(NEXT) | instid1(SALU_CYCLE_1)
	s_and_saveexec_b32 s23, s9
	s_xor_b32 s9, exec_lo, s23
; %bb.3566:                             ;   in Loop: Header=BB450_3110 Depth=1
	v_bfe_u32 v9, v8, 16, 1
	s_delay_alu instid0(VALU_DEP_1)
	v_add3_u32 v10, v8, v9, 0x7fff
                                        ; implicit-def: $vgpr8
; %bb.3567:                             ;   in Loop: Header=BB450_3110 Depth=1
	s_and_not1_saveexec_b32 s23, s9
; %bb.3568:                             ;   in Loop: Header=BB450_3110 Depth=1
	v_and_b32_e32 v9, 0xffff, v8
	v_or_b32_e32 v10, 0x10000, v8
	s_delay_alu instid0(VALU_DEP_2) | instskip(NEXT) | instid1(VALU_DEP_1)
	v_cmp_eq_u32_e64 s9, 0, v9
	v_cndmask_b32_e64 v10, v10, v8, s9
; %bb.3569:                             ;   in Loop: Header=BB450_3110 Depth=1
	s_or_b32 exec_lo, exec_lo, s23
	v_mov_b32_e32 v8, 0
	s_mov_b32 s23, exec_lo
	v_cmpx_lt_u32_e32 0xffffff, v6
	s_cbranch_execz .LBB450_3577
; %bb.3570:                             ;   in Loop: Header=BB450_3110 Depth=1
	v_lshrrev_b32_e32 v11, 24, v6
	v_bfrev_b32_e32 v8, 1
	s_mov_b32 s24, exec_lo
	s_delay_alu instid0(VALU_DEP_2)
	v_cmpx_ne_u32_e32 0x80, v11
	s_cbranch_execz .LBB450_3576
; %bb.3571:                             ;   in Loop: Header=BB450_3110 Depth=1
	v_bfe_u32 v9, v6, 24, 7
	v_mov_b32_e32 v8, 0x7f800001
	s_mov_b32 s25, exec_lo
	s_delay_alu instid0(VALU_DEP_2)
	v_cmpx_ne_u32_e32 0x7f, v9
	s_cbranch_execz .LBB450_3575
; %bb.3572:                             ;   in Loop: Header=BB450_3110 Depth=1
	v_and_b32_e32 v12, 7, v11
	v_lshrrev_b32_e32 v16, 3, v9
	v_cmp_gt_u32_e64 s9, 8, v9
	s_delay_alu instid0(VALU_DEP_3) | instskip(NEXT) | instid1(VALU_DEP_2)
	v_dual_mov_b32 v8, v12 :: v_dual_mov_b32 v9, v13
	s_and_saveexec_b32 s26, s9
; %bb.3573:                             ;   in Loop: Header=BB450_3110 Depth=1
	v_clz_i32_u32_e32 v8, v12
	s_delay_alu instid0(VALU_DEP_1) | instskip(NEXT) | instid1(VALU_DEP_1)
	v_min_u32_e32 v16, 32, v8
	v_subrev_nc_u32_e32 v8, 28, v16
	v_sub_nc_u32_e32 v16, 29, v16
	s_delay_alu instid0(VALU_DEP_2) | instskip(NEXT) | instid1(VALU_DEP_1)
	v_lshlrev_b64 v[8:9], v8, v[12:13]
	v_and_b32_e32 v8, 7, v8
; %bb.3574:                             ;   in Loop: Header=BB450_3110 Depth=1
	s_or_b32 exec_lo, exec_lo, s26
	v_lshlrev_b32_e32 v9, 24, v11
	s_delay_alu instid0(VALU_DEP_2) | instskip(SKIP_1) | instid1(VALU_DEP_3)
	v_lshlrev_b32_e32 v8, 20, v8
	v_lshl_add_u32 v11, v16, 23, 0x3c000000
	v_and_b32_e32 v9, 0x80000000, v9
	s_delay_alu instid0(VALU_DEP_1)
	v_or3_b32 v8, v8, v9, v11
.LBB450_3575:                           ;   in Loop: Header=BB450_3110 Depth=1
	s_or_b32 exec_lo, exec_lo, s25
.LBB450_3576:                           ;   in Loop: Header=BB450_3110 Depth=1
	s_delay_alu instid0(SALU_CYCLE_1)
	s_or_b32 exec_lo, exec_lo, s24
.LBB450_3577:                           ;   in Loop: Header=BB450_3110 Depth=1
	s_delay_alu instid0(SALU_CYCLE_1) | instskip(NEXT) | instid1(VALU_DEP_1)
	s_or_b32 exec_lo, exec_lo, s23
	v_mul_f32_e32 v8, v160, v8
                                        ; implicit-def: $vgpr11
	s_delay_alu instid0(VALU_DEP_1) | instskip(NEXT) | instid1(VALU_DEP_1)
	v_and_b32_e32 v9, 0x7f800000, v8
	v_cmp_ne_u32_e64 s9, 0x7f800000, v9
	s_delay_alu instid0(VALU_DEP_1) | instskip(NEXT) | instid1(SALU_CYCLE_1)
	s_and_saveexec_b32 s23, s9
	s_xor_b32 s9, exec_lo, s23
; %bb.3578:                             ;   in Loop: Header=BB450_3110 Depth=1
	v_bfe_u32 v9, v8, 16, 1
	s_delay_alu instid0(VALU_DEP_1)
	v_add3_u32 v11, v8, v9, 0x7fff
                                        ; implicit-def: $vgpr8
; %bb.3579:                             ;   in Loop: Header=BB450_3110 Depth=1
	s_and_not1_saveexec_b32 s23, s9
; %bb.3580:                             ;   in Loop: Header=BB450_3110 Depth=1
	v_and_b32_e32 v9, 0xffff, v8
	v_or_b32_e32 v11, 0x10000, v8
	s_delay_alu instid0(VALU_DEP_2) | instskip(NEXT) | instid1(VALU_DEP_1)
	v_cmp_eq_u32_e64 s9, 0, v9
	v_cndmask_b32_e64 v11, v11, v8, s9
; %bb.3581:                             ;   in Loop: Header=BB450_3110 Depth=1
	s_or_b32 exec_lo, exec_lo, s23
	v_dual_mov_b32 v12, v7 :: v_dual_and_b32 v9, 0xff, v7
	v_mov_b32_e32 v8, 0
	s_mov_b32 s23, exec_lo
	s_delay_alu instid0(VALU_DEP_2)
	v_cmpx_ne_u16_e32 0, v9
	s_cbranch_execz .LBB450_3589
; %bb.3582:                             ;   in Loop: Header=BB450_3110 Depth=1
	v_bfrev_b32_e32 v8, 1
	s_mov_b32 s24, exec_lo
	v_cmpx_ne_u16_e32 0x80, v9
	s_cbranch_execz .LBB450_3588
; %bb.3583:                             ;   in Loop: Header=BB450_3110 Depth=1
	v_and_b32_e32 v9, 0x7f, v7
	v_mov_b32_e32 v8, 0x7f800001
	s_mov_b32 s25, exec_lo
	s_delay_alu instid0(VALU_DEP_2)
	v_cmpx_ne_u32_e32 0x7f, v9
	s_cbranch_execz .LBB450_3587
; %bb.3584:                             ;   in Loop: Header=BB450_3110 Depth=1
	v_lshrrev_b32_e32 v16, 3, v9
	v_cmp_gt_u32_e64 s9, 8, v9
	v_dual_mov_b32 v8, v12 :: v_dual_mov_b32 v9, v13
	s_delay_alu instid0(VALU_DEP_2)
	s_and_saveexec_b32 s26, s9
; %bb.3585:                             ;   in Loop: Header=BB450_3110 Depth=1
	v_and_b32_e32 v8, 7, v7
	s_delay_alu instid0(VALU_DEP_1) | instskip(NEXT) | instid1(VALU_DEP_1)
	v_clz_i32_u32_e32 v8, v8
	v_min_u32_e32 v16, 32, v8
	s_delay_alu instid0(VALU_DEP_1) | instskip(SKIP_1) | instid1(VALU_DEP_2)
	v_subrev_nc_u32_e32 v8, 28, v16
	v_sub_nc_u32_e32 v16, 29, v16
	v_lshlrev_b64 v[8:9], v8, v[12:13]
; %bb.3586:                             ;   in Loop: Header=BB450_3110 Depth=1
	s_or_b32 exec_lo, exec_lo, s26
	s_delay_alu instid0(VALU_DEP_1) | instskip(SKIP_2) | instid1(VALU_DEP_3)
	v_lshlrev_b32_e32 v8, 20, v8
	v_lshlrev_b32_e32 v9, 24, v12
	v_lshl_add_u32 v16, v16, 23, 0x3c000000
	v_and_b32_e32 v8, 0x700000, v8
	s_delay_alu instid0(VALU_DEP_3) | instskip(NEXT) | instid1(VALU_DEP_1)
	v_and_b32_e32 v9, 0x80000000, v9
	v_or3_b32 v8, v8, v9, v16
.LBB450_3587:                           ;   in Loop: Header=BB450_3110 Depth=1
	s_or_b32 exec_lo, exec_lo, s25
.LBB450_3588:                           ;   in Loop: Header=BB450_3110 Depth=1
	s_delay_alu instid0(SALU_CYCLE_1)
	s_or_b32 exec_lo, exec_lo, s24
.LBB450_3589:                           ;   in Loop: Header=BB450_3110 Depth=1
	s_delay_alu instid0(SALU_CYCLE_1) | instskip(NEXT) | instid1(VALU_DEP_1)
	s_or_b32 exec_lo, exec_lo, s23
	v_mul_f32_e32 v8, v160, v8
                                        ; implicit-def: $vgpr16
	s_delay_alu instid0(VALU_DEP_1) | instskip(NEXT) | instid1(VALU_DEP_1)
	v_and_b32_e32 v9, 0x7f800000, v8
	v_cmp_ne_u32_e64 s9, 0x7f800000, v9
	s_delay_alu instid0(VALU_DEP_1) | instskip(NEXT) | instid1(SALU_CYCLE_1)
	s_and_saveexec_b32 s23, s9
	s_xor_b32 s9, exec_lo, s23
; %bb.3590:                             ;   in Loop: Header=BB450_3110 Depth=1
	v_bfe_u32 v9, v8, 16, 1
	s_delay_alu instid0(VALU_DEP_1)
	v_add3_u32 v16, v8, v9, 0x7fff
                                        ; implicit-def: $vgpr8
; %bb.3591:                             ;   in Loop: Header=BB450_3110 Depth=1
	s_and_not1_saveexec_b32 s23, s9
; %bb.3592:                             ;   in Loop: Header=BB450_3110 Depth=1
	v_and_b32_e32 v9, 0xffff, v8
	v_or_b32_e32 v16, 0x10000, v8
	s_delay_alu instid0(VALU_DEP_2) | instskip(NEXT) | instid1(VALU_DEP_1)
	v_cmp_eq_u32_e64 s9, 0, v9
	v_cndmask_b32_e64 v16, v16, v8, s9
; %bb.3593:                             ;   in Loop: Header=BB450_3110 Depth=1
	s_or_b32 exec_lo, exec_lo, s23
	v_lshrrev_b16 v9, 8, v12
	v_mov_b32_e32 v8, 0
	s_mov_b32 s23, exec_lo
	s_delay_alu instid0(VALU_DEP_2)
	v_cmpx_ne_u16_e32 0, v9
	s_cbranch_execz .LBB450_3601
; %bb.3594:                             ;   in Loop: Header=BB450_3110 Depth=1
	v_bfrev_b32_e32 v8, 1
	s_mov_b32 s24, exec_lo
	v_cmpx_ne_u16_e32 0x80, v9
	s_cbranch_execz .LBB450_3600
; %bb.3595:                             ;   in Loop: Header=BB450_3110 Depth=1
	v_and_b32_e32 v9, 0xffff, v9
	v_mov_b32_e32 v8, 0x7f800001
	s_mov_b32 s25, exec_lo
	s_delay_alu instid0(VALU_DEP_2) | instskip(NEXT) | instid1(VALU_DEP_1)
	v_and_b32_e32 v19, 0x7f, v9
	v_cmpx_ne_u32_e32 0x7f, v19
	s_cbranch_execz .LBB450_3599
; %bb.3596:                             ;   in Loop: Header=BB450_3110 Depth=1
	v_dual_mov_b32 v9, v13 :: v_dual_and_b32 v8, 7, v9
	v_lshrrev_b32_e32 v18, 3, v19
	s_mov_b32 s26, exec_lo
	v_cmpx_gt_u32_e32 8, v19
; %bb.3597:                             ;   in Loop: Header=BB450_3110 Depth=1
	s_delay_alu instid0(VALU_DEP_3) | instskip(NEXT) | instid1(VALU_DEP_1)
	v_clz_i32_u32_e32 v18, v8
	v_min_u32_e32 v18, 32, v18
	s_delay_alu instid0(VALU_DEP_1) | instskip(SKIP_1) | instid1(VALU_DEP_2)
	v_subrev_nc_u32_e32 v19, 28, v18
	v_sub_nc_u32_e32 v18, 29, v18
	v_lshlrev_b64 v[8:9], v19, v[8:9]
	s_delay_alu instid0(VALU_DEP_1)
	v_and_b32_e32 v8, 7, v8
; %bb.3598:                             ;   in Loop: Header=BB450_3110 Depth=1
	s_or_b32 exec_lo, exec_lo, s26
	v_lshlrev_b32_e32 v9, 16, v12
	s_delay_alu instid0(VALU_DEP_2) | instskip(SKIP_1) | instid1(VALU_DEP_3)
	v_lshlrev_b32_e32 v8, 20, v8
	v_lshl_add_u32 v12, v18, 23, 0x3c000000
	v_and_b32_e32 v9, 0x80000000, v9
	s_delay_alu instid0(VALU_DEP_1)
	v_or3_b32 v8, v8, v9, v12
.LBB450_3599:                           ;   in Loop: Header=BB450_3110 Depth=1
	s_or_b32 exec_lo, exec_lo, s25
.LBB450_3600:                           ;   in Loop: Header=BB450_3110 Depth=1
	s_delay_alu instid0(SALU_CYCLE_1)
	s_or_b32 exec_lo, exec_lo, s24
.LBB450_3601:                           ;   in Loop: Header=BB450_3110 Depth=1
	s_delay_alu instid0(SALU_CYCLE_1) | instskip(NEXT) | instid1(VALU_DEP_1)
	s_or_b32 exec_lo, exec_lo, s23
	v_mul_f32_e32 v8, v160, v8
                                        ; implicit-def: $vgpr18
	s_delay_alu instid0(VALU_DEP_1) | instskip(NEXT) | instid1(VALU_DEP_1)
	v_and_b32_e32 v9, 0x7f800000, v8
	v_cmp_ne_u32_e64 s9, 0x7f800000, v9
	s_delay_alu instid0(VALU_DEP_1) | instskip(NEXT) | instid1(SALU_CYCLE_1)
	s_and_saveexec_b32 s23, s9
	s_xor_b32 s9, exec_lo, s23
; %bb.3602:                             ;   in Loop: Header=BB450_3110 Depth=1
	v_bfe_u32 v9, v8, 16, 1
	s_delay_alu instid0(VALU_DEP_1)
	v_add3_u32 v18, v8, v9, 0x7fff
                                        ; implicit-def: $vgpr8
; %bb.3603:                             ;   in Loop: Header=BB450_3110 Depth=1
	s_and_not1_saveexec_b32 s23, s9
; %bb.3604:                             ;   in Loop: Header=BB450_3110 Depth=1
	v_and_b32_e32 v9, 0xffff, v8
	v_or_b32_e32 v12, 0x10000, v8
	s_delay_alu instid0(VALU_DEP_2) | instskip(NEXT) | instid1(VALU_DEP_1)
	v_cmp_eq_u32_e64 s9, 0, v9
	v_cndmask_b32_e64 v18, v12, v8, s9
; %bb.3605:                             ;   in Loop: Header=BB450_3110 Depth=1
	s_or_b32 exec_lo, exec_lo, s23
	v_lshrrev_b32_e32 v19, 16, v7
	s_mov_b32 s23, exec_lo
	s_delay_alu instid0(VALU_DEP_1) | instskip(NEXT) | instid1(VALU_DEP_1)
	v_dual_mov_b32 v8, 0 :: v_dual_and_b32 v9, 0xff, v19
	v_cmpx_ne_u16_e32 0, v9
	s_cbranch_execz .LBB450_3613
; %bb.3606:                             ;   in Loop: Header=BB450_3110 Depth=1
	v_bfrev_b32_e32 v8, 1
	s_mov_b32 s24, exec_lo
	v_cmpx_ne_u16_e32 0x80, v9
	s_cbranch_execz .LBB450_3612
; %bb.3607:                             ;   in Loop: Header=BB450_3110 Depth=1
	v_bfe_u32 v9, v7, 16, 7
	v_mov_b32_e32 v8, 0x7f800001
	s_mov_b32 s25, exec_lo
	s_delay_alu instid0(VALU_DEP_2)
	v_cmpx_ne_u32_e32 0x7f, v9
	s_cbranch_execz .LBB450_3611
; %bb.3608:                             ;   in Loop: Header=BB450_3110 Depth=1
	v_and_b32_e32 v12, 7, v19
	v_lshrrev_b32_e32 v20, 3, v9
	v_cmp_gt_u32_e64 s9, 8, v9
	s_delay_alu instid0(VALU_DEP_3) | instskip(NEXT) | instid1(VALU_DEP_2)
	v_dual_mov_b32 v8, v12 :: v_dual_mov_b32 v9, v13
	s_and_saveexec_b32 s26, s9
; %bb.3609:                             ;   in Loop: Header=BB450_3110 Depth=1
	v_clz_i32_u32_e32 v8, v12
	s_delay_alu instid0(VALU_DEP_1) | instskip(NEXT) | instid1(VALU_DEP_1)
	v_min_u32_e32 v20, 32, v8
	v_subrev_nc_u32_e32 v8, 28, v20
	v_sub_nc_u32_e32 v20, 29, v20
	s_delay_alu instid0(VALU_DEP_2) | instskip(NEXT) | instid1(VALU_DEP_1)
	v_lshlrev_b64 v[8:9], v8, v[12:13]
	v_and_b32_e32 v8, 7, v8
; %bb.3610:                             ;   in Loop: Header=BB450_3110 Depth=1
	s_or_b32 exec_lo, exec_lo, s26
	v_lshlrev_b32_e32 v9, 24, v19
	s_delay_alu instid0(VALU_DEP_2) | instskip(SKIP_1) | instid1(VALU_DEP_3)
	v_lshlrev_b32_e32 v8, 20, v8
	v_lshl_add_u32 v12, v20, 23, 0x3c000000
	v_and_b32_e32 v9, 0x80000000, v9
	s_delay_alu instid0(VALU_DEP_1)
	v_or3_b32 v8, v8, v9, v12
.LBB450_3611:                           ;   in Loop: Header=BB450_3110 Depth=1
	s_or_b32 exec_lo, exec_lo, s25
.LBB450_3612:                           ;   in Loop: Header=BB450_3110 Depth=1
	s_delay_alu instid0(SALU_CYCLE_1)
	s_or_b32 exec_lo, exec_lo, s24
.LBB450_3613:                           ;   in Loop: Header=BB450_3110 Depth=1
	s_delay_alu instid0(SALU_CYCLE_1) | instskip(NEXT) | instid1(VALU_DEP_1)
	s_or_b32 exec_lo, exec_lo, s23
	v_mul_f32_e32 v8, v160, v8
	s_delay_alu instid0(VALU_DEP_1) | instskip(NEXT) | instid1(VALU_DEP_1)
	v_and_b32_e32 v9, 0x7f800000, v8
	v_cmp_ne_u32_e64 s9, 0x7f800000, v9
                                        ; implicit-def: $vgpr9
	s_delay_alu instid0(VALU_DEP_1) | instskip(NEXT) | instid1(SALU_CYCLE_1)
	s_and_saveexec_b32 s23, s9
	s_xor_b32 s9, exec_lo, s23
; %bb.3614:                             ;   in Loop: Header=BB450_3110 Depth=1
	v_bfe_u32 v9, v8, 16, 1
	s_delay_alu instid0(VALU_DEP_1)
	v_add3_u32 v9, v8, v9, 0x7fff
                                        ; implicit-def: $vgpr8
; %bb.3615:                             ;   in Loop: Header=BB450_3110 Depth=1
	s_and_not1_saveexec_b32 s23, s9
; %bb.3616:                             ;   in Loop: Header=BB450_3110 Depth=1
	v_and_b32_e32 v9, 0xffff, v8
	v_or_b32_e32 v12, 0x10000, v8
	s_delay_alu instid0(VALU_DEP_2) | instskip(NEXT) | instid1(VALU_DEP_1)
	v_cmp_eq_u32_e64 s9, 0, v9
	v_cndmask_b32_e64 v9, v12, v8, s9
; %bb.3617:                             ;   in Loop: Header=BB450_3110 Depth=1
	s_or_b32 exec_lo, exec_lo, s23
	v_cmp_lt_u64_e64 s9, s[18:19], v[6:7]
	v_mov_b32_e32 v6, 0
	s_delay_alu instid0(VALU_DEP_2)
	s_and_saveexec_b32 s23, s9
	s_cbranch_execz .LBB450_3625
; %bb.3618:                             ;   in Loop: Header=BB450_3110 Depth=1
	v_lshrrev_b32_e32 v8, 24, v7
	v_bfrev_b32_e32 v6, 1
	s_mov_b32 s24, exec_lo
	s_delay_alu instid0(VALU_DEP_2)
	v_cmpx_ne_u32_e32 0x80, v8
	s_cbranch_execz .LBB450_3624
; %bb.3619:                             ;   in Loop: Header=BB450_3110 Depth=1
	v_bfe_u32 v7, v7, 24, 7
	v_mov_b32_e32 v6, 0x7f800001
	s_mov_b32 s25, exec_lo
	s_delay_alu instid0(VALU_DEP_2)
	v_cmpx_ne_u32_e32 0x7f, v7
	s_cbranch_execz .LBB450_3623
; %bb.3620:                             ;   in Loop: Header=BB450_3110 Depth=1
	v_and_b32_e32 v12, 7, v8
	v_lshrrev_b32_e32 v19, 3, v7
	v_cmp_gt_u32_e64 s9, 8, v7
	s_delay_alu instid0(VALU_DEP_3) | instskip(NEXT) | instid1(VALU_DEP_2)
	v_dual_mov_b32 v6, v12 :: v_dual_mov_b32 v7, v13
	s_and_saveexec_b32 s26, s9
; %bb.3621:                             ;   in Loop: Header=BB450_3110 Depth=1
	v_clz_i32_u32_e32 v6, v12
	s_delay_alu instid0(VALU_DEP_1) | instskip(NEXT) | instid1(VALU_DEP_1)
	v_min_u32_e32 v19, 32, v6
	v_subrev_nc_u32_e32 v6, 28, v19
	v_sub_nc_u32_e32 v19, 29, v19
	s_delay_alu instid0(VALU_DEP_2) | instskip(NEXT) | instid1(VALU_DEP_1)
	v_lshlrev_b64 v[6:7], v6, v[12:13]
	v_and_b32_e32 v6, 7, v6
; %bb.3622:                             ;   in Loop: Header=BB450_3110 Depth=1
	s_or_b32 exec_lo, exec_lo, s26
	v_lshlrev_b32_e32 v7, 24, v8
	s_delay_alu instid0(VALU_DEP_2) | instskip(SKIP_1) | instid1(VALU_DEP_3)
	v_lshlrev_b32_e32 v6, 20, v6
	v_lshl_add_u32 v8, v19, 23, 0x3c000000
	v_and_b32_e32 v7, 0x80000000, v7
	s_delay_alu instid0(VALU_DEP_1)
	v_or3_b32 v6, v6, v7, v8
.LBB450_3623:                           ;   in Loop: Header=BB450_3110 Depth=1
	s_or_b32 exec_lo, exec_lo, s25
.LBB450_3624:                           ;   in Loop: Header=BB450_3110 Depth=1
	s_delay_alu instid0(SALU_CYCLE_1)
	s_or_b32 exec_lo, exec_lo, s24
.LBB450_3625:                           ;   in Loop: Header=BB450_3110 Depth=1
	s_delay_alu instid0(SALU_CYCLE_1) | instskip(NEXT) | instid1(VALU_DEP_1)
	s_or_b32 exec_lo, exec_lo, s23
	v_mul_f32_e32 v6, v160, v6
                                        ; implicit-def: $vgpr19
	s_delay_alu instid0(VALU_DEP_1) | instskip(NEXT) | instid1(VALU_DEP_1)
	v_and_b32_e32 v7, 0x7f800000, v6
	v_cmp_ne_u32_e64 s9, 0x7f800000, v7
	s_delay_alu instid0(VALU_DEP_1) | instskip(NEXT) | instid1(SALU_CYCLE_1)
	s_and_saveexec_b32 s23, s9
	s_xor_b32 s9, exec_lo, s23
; %bb.3626:                             ;   in Loop: Header=BB450_3110 Depth=1
	v_bfe_u32 v7, v6, 16, 1
	s_delay_alu instid0(VALU_DEP_1)
	v_add3_u32 v19, v6, v7, 0x7fff
                                        ; implicit-def: $vgpr6
; %bb.3627:                             ;   in Loop: Header=BB450_3110 Depth=1
	s_and_not1_saveexec_b32 s23, s9
; %bb.3628:                             ;   in Loop: Header=BB450_3110 Depth=1
	v_and_b32_e32 v7, 0xffff, v6
	v_or_b32_e32 v8, 0x10000, v6
	s_delay_alu instid0(VALU_DEP_2) | instskip(NEXT) | instid1(VALU_DEP_1)
	v_cmp_eq_u32_e64 s9, 0, v7
	v_cndmask_b32_e64 v19, v8, v6, s9
; %bb.3629:                             ;   in Loop: Header=BB450_3110 Depth=1
	s_or_b32 exec_lo, exec_lo, s23
	v_lshrrev_b32_e32 v6, 16, v18
	v_lshrrev_b32_e32 v7, 16, v16
	;; [unrolled: 1-line block ×8, first 2 shown]
	s_and_saveexec_b32 s9, s1
; %bb.3630:                             ;   in Loop: Header=BB450_3110 Depth=1
	s_delay_alu instid0(VALU_DEP_3)
	v_cndmask_b32_e32 v12, 0, v12, vcc_lo
	v_cndmask_b32_e64 v11, 0, v11, s2
	v_cndmask_b32_e64 v10, 0, v10, s3
	;; [unrolled: 1-line block ×7, first 2 shown]
; %bb.3631:                             ;   in Loop: Header=BB450_3110 Depth=1
	s_or_b32 exec_lo, exec_lo, s9
	v_lshlrev_b32_e32 v9, 16, v12
	s_delay_alu instid0(VALU_DEP_1) | instskip(NEXT) | instid1(VALU_DEP_1)
	v_mul_f32_e32 v9, v161, v9
	v_and_b32_e32 v12, 0x7f800000, v9
	s_delay_alu instid0(VALU_DEP_1) | instskip(NEXT) | instid1(VALU_DEP_1)
	v_cmp_ne_u32_e64 s9, 0x7f800000, v12
                                        ; implicit-def: $vgpr12
                                        ; kill: killed $vgpr12
	s_and_saveexec_b32 s23, s9
	s_delay_alu instid0(SALU_CYCLE_1)
	s_xor_b32 s9, exec_lo, s23
	s_cbranch_execz .LBB450_3633
; %bb.3632:                             ;   in Loop: Header=BB450_3110 Depth=1
	v_bfe_u32 v12, v9, 16, 1
	s_delay_alu instid0(VALU_DEP_1)
	v_add3_u32 v9, v9, v12, 0x7fff
	scratch_store_b32 off, v9, s32 offset:580 ; 4-byte Folded Spill
                                        ; implicit-def: $vgpr9
.LBB450_3633:                           ;   in Loop: Header=BB450_3110 Depth=1
	s_and_not1_saveexec_b32 s23, s9
	s_cbranch_execz .LBB450_3635
; %bb.3634:                             ;   in Loop: Header=BB450_3110 Depth=1
	v_and_b32_e32 v12, 0xffff, v9
	v_or_b32_e32 v16, 0x10000, v9
	s_delay_alu instid0(VALU_DEP_2) | instskip(NEXT) | instid1(VALU_DEP_1)
	v_cmp_eq_u32_e64 s9, 0, v12
	v_cndmask_b32_e64 v9, v16, v9, s9
	scratch_store_b32 off, v9, s32 offset:580 ; 4-byte Folded Spill
.LBB450_3635:                           ;   in Loop: Header=BB450_3110 Depth=1
	s_or_b32 exec_lo, exec_lo, s23
	v_lshlrev_b32_e32 v9, 16, v11
	s_delay_alu instid0(VALU_DEP_1) | instskip(NEXT) | instid1(VALU_DEP_1)
	v_mul_f32_e32 v9, v162, v9
	v_and_b32_e32 v11, 0x7f800000, v9
	s_delay_alu instid0(VALU_DEP_1) | instskip(NEXT) | instid1(VALU_DEP_1)
	v_cmp_ne_u32_e64 s9, 0x7f800000, v11
                                        ; implicit-def: $vgpr11
                                        ; kill: killed $vgpr11
	s_and_saveexec_b32 s23, s9
	s_delay_alu instid0(SALU_CYCLE_1)
	s_xor_b32 s9, exec_lo, s23
	s_cbranch_execz .LBB450_3637
; %bb.3636:                             ;   in Loop: Header=BB450_3110 Depth=1
	v_bfe_u32 v11, v9, 16, 1
	s_delay_alu instid0(VALU_DEP_1)
	v_add3_u32 v9, v9, v11, 0x7fff
	scratch_store_b32 off, v9, s32 offset:584 ; 4-byte Folded Spill
                                        ; implicit-def: $vgpr9
.LBB450_3637:                           ;   in Loop: Header=BB450_3110 Depth=1
	s_and_not1_saveexec_b32 s23, s9
	s_cbranch_execz .LBB450_3639
; %bb.3638:                             ;   in Loop: Header=BB450_3110 Depth=1
	v_and_b32_e32 v11, 0xffff, v9
	v_or_b32_e32 v12, 0x10000, v9
	s_delay_alu instid0(VALU_DEP_2) | instskip(NEXT) | instid1(VALU_DEP_1)
	v_cmp_eq_u32_e64 s9, 0, v11
	v_cndmask_b32_e64 v9, v12, v9, s9
	scratch_store_b32 off, v9, s32 offset:584 ; 4-byte Folded Spill
.LBB450_3639:                           ;   in Loop: Header=BB450_3110 Depth=1
	s_or_b32 exec_lo, exec_lo, s23
	v_lshlrev_b32_e32 v9, 16, v10
	s_delay_alu instid0(VALU_DEP_1) | instskip(NEXT) | instid1(VALU_DEP_1)
	v_mul_f32_e32 v9, v163, v9
	v_and_b32_e32 v10, 0x7f800000, v9
	s_delay_alu instid0(VALU_DEP_1) | instskip(NEXT) | instid1(VALU_DEP_1)
	v_cmp_ne_u32_e64 s9, 0x7f800000, v10
                                        ; implicit-def: $vgpr10
                                        ; kill: killed $vgpr10
	s_and_saveexec_b32 s23, s9
	s_delay_alu instid0(SALU_CYCLE_1)
	s_xor_b32 s9, exec_lo, s23
	s_cbranch_execz .LBB450_3641
; %bb.3640:                             ;   in Loop: Header=BB450_3110 Depth=1
	v_bfe_u32 v10, v9, 16, 1
	s_delay_alu instid0(VALU_DEP_1)
	v_add3_u32 v9, v9, v10, 0x7fff
	scratch_store_b32 off, v9, s32 offset:588 ; 4-byte Folded Spill
                                        ; implicit-def: $vgpr9
.LBB450_3641:                           ;   in Loop: Header=BB450_3110 Depth=1
	s_and_not1_saveexec_b32 s23, s9
	s_cbranch_execz .LBB450_3643
; %bb.3642:                             ;   in Loop: Header=BB450_3110 Depth=1
	v_and_b32_e32 v10, 0xffff, v9
	v_or_b32_e32 v11, 0x10000, v9
	s_delay_alu instid0(VALU_DEP_2) | instskip(NEXT) | instid1(VALU_DEP_1)
	v_cmp_eq_u32_e64 s9, 0, v10
	v_cndmask_b32_e64 v9, v11, v9, s9
	scratch_store_b32 off, v9, s32 offset:588 ; 4-byte Folded Spill
.LBB450_3643:                           ;   in Loop: Header=BB450_3110 Depth=1
	s_or_b32 exec_lo, exec_lo, s23
	v_lshlrev_b32_e32 v8, 16, v8
	s_delay_alu instid0(VALU_DEP_1) | instskip(NEXT) | instid1(VALU_DEP_1)
	v_mul_f32_e32 v8, v164, v8
	v_and_b32_e32 v9, 0x7f800000, v8
	s_delay_alu instid0(VALU_DEP_1) | instskip(NEXT) | instid1(VALU_DEP_1)
	v_cmp_ne_u32_e64 s9, 0x7f800000, v9
                                        ; implicit-def: $vgpr9
                                        ; kill: killed $vgpr9
	s_and_saveexec_b32 s23, s9
	s_delay_alu instid0(SALU_CYCLE_1)
	s_xor_b32 s9, exec_lo, s23
	s_cbranch_execz .LBB450_3645
; %bb.3644:                             ;   in Loop: Header=BB450_3110 Depth=1
	v_bfe_u32 v9, v8, 16, 1
	s_delay_alu instid0(VALU_DEP_1)
	v_add3_u32 v8, v8, v9, 0x7fff
	scratch_store_b32 off, v8, s32 offset:592 ; 4-byte Folded Spill
                                        ; implicit-def: $vgpr8
.LBB450_3645:                           ;   in Loop: Header=BB450_3110 Depth=1
	s_and_not1_saveexec_b32 s23, s9
	s_cbranch_execz .LBB450_3647
; %bb.3646:                             ;   in Loop: Header=BB450_3110 Depth=1
	v_and_b32_e32 v9, 0xffff, v8
	v_or_b32_e32 v10, 0x10000, v8
	s_delay_alu instid0(VALU_DEP_2) | instskip(NEXT) | instid1(VALU_DEP_1)
	v_cmp_eq_u32_e64 s9, 0, v9
	v_cndmask_b32_e64 v8, v10, v8, s9
	scratch_store_b32 off, v8, s32 offset:592 ; 4-byte Folded Spill
.LBB450_3647:                           ;   in Loop: Header=BB450_3110 Depth=1
	s_or_b32 exec_lo, exec_lo, s23
	v_lshlrev_b32_e32 v7, 16, v7
	s_delay_alu instid0(VALU_DEP_1) | instskip(NEXT) | instid1(VALU_DEP_1)
	v_mul_f32_e32 v7, v165, v7
	v_and_b32_e32 v8, 0x7f800000, v7
	s_delay_alu instid0(VALU_DEP_1) | instskip(NEXT) | instid1(VALU_DEP_1)
	v_cmp_ne_u32_e64 s9, 0x7f800000, v8
                                        ; implicit-def: $vgpr8
                                        ; kill: killed $vgpr8
	s_and_saveexec_b32 s23, s9
	s_delay_alu instid0(SALU_CYCLE_1)
	s_xor_b32 s9, exec_lo, s23
	s_cbranch_execz .LBB450_3649
; %bb.3648:                             ;   in Loop: Header=BB450_3110 Depth=1
	v_bfe_u32 v8, v7, 16, 1
	s_delay_alu instid0(VALU_DEP_1)
	v_add3_u32 v7, v7, v8, 0x7fff
	scratch_store_b32 off, v7, s32 offset:596 ; 4-byte Folded Spill
                                        ; implicit-def: $vgpr7
.LBB450_3649:                           ;   in Loop: Header=BB450_3110 Depth=1
	s_and_not1_saveexec_b32 s23, s9
	s_cbranch_execz .LBB450_3651
; %bb.3650:                             ;   in Loop: Header=BB450_3110 Depth=1
	v_and_b32_e32 v8, 0xffff, v7
	v_or_b32_e32 v9, 0x10000, v7
	s_delay_alu instid0(VALU_DEP_2) | instskip(NEXT) | instid1(VALU_DEP_1)
	v_cmp_eq_u32_e64 s9, 0, v8
	v_cndmask_b32_e64 v7, v9, v7, s9
	scratch_store_b32 off, v7, s32 offset:596 ; 4-byte Folded Spill
.LBB450_3651:                           ;   in Loop: Header=BB450_3110 Depth=1
	s_or_b32 exec_lo, exec_lo, s23
	v_lshlrev_b32_e32 v6, 16, v6
	s_delay_alu instid0(VALU_DEP_1) | instskip(NEXT) | instid1(VALU_DEP_1)
	v_mul_f32_e32 v6, v166, v6
	v_and_b32_e32 v7, 0x7f800000, v6
	s_delay_alu instid0(VALU_DEP_1) | instskip(NEXT) | instid1(VALU_DEP_1)
	v_cmp_ne_u32_e64 s9, 0x7f800000, v7
                                        ; implicit-def: $vgpr7
                                        ; kill: killed $vgpr7
	s_and_saveexec_b32 s23, s9
	s_delay_alu instid0(SALU_CYCLE_1)
	s_xor_b32 s9, exec_lo, s23
	s_cbranch_execz .LBB450_3653
; %bb.3652:                             ;   in Loop: Header=BB450_3110 Depth=1
	v_bfe_u32 v7, v6, 16, 1
	s_delay_alu instid0(VALU_DEP_1)
	v_add3_u32 v6, v6, v7, 0x7fff
	scratch_store_b32 off, v6, s32 offset:600 ; 4-byte Folded Spill
                                        ; implicit-def: $vgpr6
.LBB450_3653:                           ;   in Loop: Header=BB450_3110 Depth=1
	s_and_not1_saveexec_b32 s23, s9
	s_cbranch_execz .LBB450_3655
; %bb.3654:                             ;   in Loop: Header=BB450_3110 Depth=1
	v_and_b32_e32 v7, 0xffff, v6
	v_or_b32_e32 v8, 0x10000, v6
	s_delay_alu instid0(VALU_DEP_2) | instskip(NEXT) | instid1(VALU_DEP_1)
	v_cmp_eq_u32_e64 s9, 0, v7
	v_cndmask_b32_e64 v6, v8, v6, s9
	scratch_store_b32 off, v6, s32 offset:600 ; 4-byte Folded Spill
.LBB450_3655:                           ;   in Loop: Header=BB450_3110 Depth=1
	s_or_b32 exec_lo, exec_lo, s23
	v_lshlrev_b32_e32 v5, 16, v5
	s_delay_alu instid0(VALU_DEP_1) | instskip(NEXT) | instid1(VALU_DEP_1)
	v_mul_f32_e32 v5, v167, v5
	v_and_b32_e32 v6, 0x7f800000, v5
	s_delay_alu instid0(VALU_DEP_1) | instskip(NEXT) | instid1(VALU_DEP_1)
	v_cmp_ne_u32_e64 s9, 0x7f800000, v6
                                        ; implicit-def: $vgpr6
                                        ; kill: killed $vgpr6
	s_and_saveexec_b32 s23, s9
	s_delay_alu instid0(SALU_CYCLE_1)
	s_xor_b32 s9, exec_lo, s23
	s_cbranch_execz .LBB450_3657
; %bb.3656:                             ;   in Loop: Header=BB450_3110 Depth=1
	v_bfe_u32 v6, v5, 16, 1
	s_delay_alu instid0(VALU_DEP_1)
	v_add3_u32 v5, v5, v6, 0x7fff
	scratch_store_b32 off, v5, s32 offset:604 ; 4-byte Folded Spill
                                        ; implicit-def: $vgpr5
.LBB450_3657:                           ;   in Loop: Header=BB450_3110 Depth=1
	s_and_not1_saveexec_b32 s23, s9
	s_cbranch_execz .LBB450_3659
; %bb.3658:                             ;   in Loop: Header=BB450_3110 Depth=1
	v_and_b32_e32 v6, 0xffff, v5
	v_or_b32_e32 v7, 0x10000, v5
	s_delay_alu instid0(VALU_DEP_2) | instskip(NEXT) | instid1(VALU_DEP_1)
	v_cmp_eq_u32_e64 s9, 0, v6
	v_cndmask_b32_e64 v5, v7, v5, s9
	scratch_store_b32 off, v5, s32 offset:604 ; 4-byte Folded Spill
.LBB450_3659:                           ;   in Loop: Header=BB450_3110 Depth=1
	s_or_b32 exec_lo, exec_lo, s23
	v_lshlrev_b32_e32 v4, 16, v4
	s_delay_alu instid0(VALU_DEP_1) | instskip(NEXT) | instid1(VALU_DEP_1)
	v_mul_f32_e32 v4, v176, v4
	v_and_b32_e32 v5, 0x7f800000, v4
	s_delay_alu instid0(VALU_DEP_1) | instskip(NEXT) | instid1(VALU_DEP_1)
	v_cmp_ne_u32_e64 s9, 0x7f800000, v5
                                        ; implicit-def: $vgpr5
                                        ; kill: killed $vgpr5
	s_and_saveexec_b32 s23, s9
	s_delay_alu instid0(SALU_CYCLE_1)
	s_xor_b32 s9, exec_lo, s23
	s_cbranch_execz .LBB450_3661
; %bb.3660:                             ;   in Loop: Header=BB450_3110 Depth=1
	v_bfe_u32 v5, v4, 16, 1
	s_delay_alu instid0(VALU_DEP_1)
	v_add3_u32 v4, v4, v5, 0x7fff
	scratch_store_b32 off, v4, s32 offset:608 ; 4-byte Folded Spill
                                        ; implicit-def: $vgpr4
.LBB450_3661:                           ;   in Loop: Header=BB450_3110 Depth=1
	s_and_not1_saveexec_b32 s23, s9
	s_cbranch_execz .LBB450_3663
; %bb.3662:                             ;   in Loop: Header=BB450_3110 Depth=1
	v_and_b32_e32 v5, 0xffff, v4
	v_or_b32_e32 v6, 0x10000, v4
	s_delay_alu instid0(VALU_DEP_2) | instskip(NEXT) | instid1(VALU_DEP_1)
	v_cmp_eq_u32_e64 s9, 0, v5
	v_cndmask_b32_e64 v4, v6, v4, s9
	scratch_store_b32 off, v4, s32 offset:608 ; 4-byte Folded Spill
.LBB450_3663:                           ;   in Loop: Header=BB450_3110 Depth=1
	s_or_b32 exec_lo, exec_lo, s23
	flat_load_b64 v[6:7], v[2:3] offset:1024
	s_mov_b32 s23, exec_lo
	s_waitcnt vmcnt(0) lgkmcnt(0)
	v_dual_mov_b32 v4, 0 :: v_dual_and_b32 v5, 0xff, v6
	s_delay_alu instid0(VALU_DEP_1)
	v_cmpx_ne_u16_e32 0, v5
	s_cbranch_execz .LBB450_3671
; %bb.3664:                             ;   in Loop: Header=BB450_3110 Depth=1
	v_bfrev_b32_e32 v4, 1
	s_mov_b32 s24, exec_lo
	v_cmpx_ne_u16_e32 0x80, v5
	s_cbranch_execz .LBB450_3670
; %bb.3665:                             ;   in Loop: Header=BB450_3110 Depth=1
	v_and_b32_e32 v5, 0x7f, v6
	v_mov_b32_e32 v4, 0x7f800001
	s_mov_b32 s25, exec_lo
	s_delay_alu instid0(VALU_DEP_2)
	v_cmpx_ne_u32_e32 0x7f, v5
	s_cbranch_execz .LBB450_3669
; %bb.3666:                             ;   in Loop: Header=BB450_3110 Depth=1
	v_lshrrev_b32_e32 v4, 3, v5
	v_dual_mov_b32 v9, v7 :: v_dual_mov_b32 v8, v6
	s_mov_b32 s26, exec_lo
	v_cmpx_gt_u32_e32 8, v5
; %bb.3667:                             ;   in Loop: Header=BB450_3110 Depth=1
	v_and_b32_e32 v4, 7, v6
	s_delay_alu instid0(VALU_DEP_1) | instskip(NEXT) | instid1(VALU_DEP_1)
	v_clz_i32_u32_e32 v4, v4
	v_min_u32_e32 v4, 32, v4
	s_delay_alu instid0(VALU_DEP_1) | instskip(SKIP_1) | instid1(VALU_DEP_2)
	v_subrev_nc_u32_e32 v5, 28, v4
	v_sub_nc_u32_e32 v4, 29, v4
	v_lshlrev_b64 v[8:9], v5, v[6:7]
; %bb.3668:                             ;   in Loop: Header=BB450_3110 Depth=1
	s_or_b32 exec_lo, exec_lo, s26
	s_delay_alu instid0(VALU_DEP_1) | instskip(SKIP_2) | instid1(VALU_DEP_3)
	v_lshlrev_b32_e32 v5, 20, v8
	v_lshlrev_b32_e32 v8, 24, v6
	v_lshl_add_u32 v4, v4, 23, 0x3c000000
	v_and_b32_e32 v5, 0x700000, v5
	s_delay_alu instid0(VALU_DEP_3) | instskip(NEXT) | instid1(VALU_DEP_1)
	v_and_b32_e32 v8, 0x80000000, v8
	v_or3_b32 v4, v5, v8, v4
.LBB450_3669:                           ;   in Loop: Header=BB450_3110 Depth=1
	s_or_b32 exec_lo, exec_lo, s25
.LBB450_3670:                           ;   in Loop: Header=BB450_3110 Depth=1
	s_delay_alu instid0(SALU_CYCLE_1)
	s_or_b32 exec_lo, exec_lo, s24
.LBB450_3671:                           ;   in Loop: Header=BB450_3110 Depth=1
	s_delay_alu instid0(SALU_CYCLE_1) | instskip(NEXT) | instid1(VALU_DEP_1)
	s_or_b32 exec_lo, exec_lo, s23
	v_mul_f32_e32 v5, v160, v4
	s_delay_alu instid0(VALU_DEP_1) | instskip(NEXT) | instid1(VALU_DEP_1)
	v_and_b32_e32 v4, 0x7f800000, v5
	v_cmp_ne_u32_e64 s9, 0x7f800000, v4
                                        ; implicit-def: $vgpr4
	s_delay_alu instid0(VALU_DEP_1) | instskip(NEXT) | instid1(SALU_CYCLE_1)
	s_and_saveexec_b32 s23, s9
	s_xor_b32 s9, exec_lo, s23
; %bb.3672:                             ;   in Loop: Header=BB450_3110 Depth=1
	v_bfe_u32 v4, v5, 16, 1
	s_delay_alu instid0(VALU_DEP_1)
	v_add3_u32 v4, v5, v4, 0x7fff
                                        ; implicit-def: $vgpr5
; %bb.3673:                             ;   in Loop: Header=BB450_3110 Depth=1
	s_and_not1_saveexec_b32 s23, s9
; %bb.3674:                             ;   in Loop: Header=BB450_3110 Depth=1
	v_and_b32_e32 v4, 0xffff, v5
	v_or_b32_e32 v8, 0x10000, v5
	s_delay_alu instid0(VALU_DEP_2) | instskip(NEXT) | instid1(VALU_DEP_1)
	v_cmp_eq_u32_e64 s9, 0, v4
	v_cndmask_b32_e64 v4, v8, v5, s9
; %bb.3675:                             ;   in Loop: Header=BB450_3110 Depth=1
	s_or_b32 exec_lo, exec_lo, s23
	v_lshrrev_b16 v8, 8, v6
	v_mov_b32_e32 v5, 0
	s_mov_b32 s23, exec_lo
	s_delay_alu instid0(VALU_DEP_2)
	v_cmpx_ne_u16_e32 0, v8
	s_cbranch_execz .LBB450_3683
; %bb.3676:                             ;   in Loop: Header=BB450_3110 Depth=1
	v_bfrev_b32_e32 v5, 1
	s_mov_b32 s24, exec_lo
	v_cmpx_ne_u16_e32 0x80, v8
	s_cbranch_execz .LBB450_3682
; %bb.3677:                             ;   in Loop: Header=BB450_3110 Depth=1
	v_and_b32_e32 v9, 0xffff, v8
	v_mov_b32_e32 v5, 0x7f800001
	s_mov_b32 s25, exec_lo
	s_delay_alu instid0(VALU_DEP_2) | instskip(NEXT) | instid1(VALU_DEP_1)
	v_and_b32_e32 v8, 0x7f, v9
	v_cmpx_ne_u32_e32 0x7f, v8
	s_cbranch_execz .LBB450_3681
; %bb.3678:                             ;   in Loop: Header=BB450_3110 Depth=1
	v_and_b32_e32 v12, 7, v9
	v_lshrrev_b32_e32 v5, 3, v8
	v_cmp_gt_u32_e64 s9, 8, v8
	s_delay_alu instid0(VALU_DEP_3) | instskip(NEXT) | instid1(VALU_DEP_2)
	v_dual_mov_b32 v8, v12 :: v_dual_mov_b32 v9, v13
	s_and_saveexec_b32 s26, s9
; %bb.3679:                             ;   in Loop: Header=BB450_3110 Depth=1
	v_clz_i32_u32_e32 v5, v12
	s_delay_alu instid0(VALU_DEP_1) | instskip(NEXT) | instid1(VALU_DEP_1)
	v_min_u32_e32 v5, 32, v5
	v_subrev_nc_u32_e32 v8, 28, v5
	v_sub_nc_u32_e32 v5, 29, v5
	s_delay_alu instid0(VALU_DEP_2) | instskip(NEXT) | instid1(VALU_DEP_1)
	v_lshlrev_b64 v[8:9], v8, v[12:13]
	v_and_b32_e32 v8, 7, v8
; %bb.3680:                             ;   in Loop: Header=BB450_3110 Depth=1
	s_or_b32 exec_lo, exec_lo, s26
	v_lshlrev_b32_e32 v9, 16, v6
	s_delay_alu instid0(VALU_DEP_2) | instskip(SKIP_1) | instid1(VALU_DEP_3)
	v_lshlrev_b32_e32 v8, 20, v8
	v_lshl_add_u32 v5, v5, 23, 0x3c000000
	v_and_b32_e32 v9, 0x80000000, v9
	s_delay_alu instid0(VALU_DEP_1)
	v_or3_b32 v5, v8, v9, v5
.LBB450_3681:                           ;   in Loop: Header=BB450_3110 Depth=1
	s_or_b32 exec_lo, exec_lo, s25
.LBB450_3682:                           ;   in Loop: Header=BB450_3110 Depth=1
	s_delay_alu instid0(SALU_CYCLE_1)
	s_or_b32 exec_lo, exec_lo, s24
.LBB450_3683:                           ;   in Loop: Header=BB450_3110 Depth=1
	s_delay_alu instid0(SALU_CYCLE_1) | instskip(NEXT) | instid1(VALU_DEP_1)
	s_or_b32 exec_lo, exec_lo, s23
	v_mul_f32_e32 v8, v160, v5
	s_delay_alu instid0(VALU_DEP_1) | instskip(NEXT) | instid1(VALU_DEP_1)
	v_and_b32_e32 v5, 0x7f800000, v8
	v_cmp_ne_u32_e64 s9, 0x7f800000, v5
                                        ; implicit-def: $vgpr5
	s_delay_alu instid0(VALU_DEP_1) | instskip(NEXT) | instid1(SALU_CYCLE_1)
	s_and_saveexec_b32 s23, s9
	s_xor_b32 s9, exec_lo, s23
; %bb.3684:                             ;   in Loop: Header=BB450_3110 Depth=1
	v_bfe_u32 v5, v8, 16, 1
	s_delay_alu instid0(VALU_DEP_1)
	v_add3_u32 v5, v8, v5, 0x7fff
                                        ; implicit-def: $vgpr8
; %bb.3685:                             ;   in Loop: Header=BB450_3110 Depth=1
	s_and_not1_saveexec_b32 s23, s9
; %bb.3686:                             ;   in Loop: Header=BB450_3110 Depth=1
	v_and_b32_e32 v5, 0xffff, v8
	v_or_b32_e32 v9, 0x10000, v8
	s_delay_alu instid0(VALU_DEP_2) | instskip(NEXT) | instid1(VALU_DEP_1)
	v_cmp_eq_u32_e64 s9, 0, v5
	v_cndmask_b32_e64 v5, v9, v8, s9
; %bb.3687:                             ;   in Loop: Header=BB450_3110 Depth=1
	s_or_b32 exec_lo, exec_lo, s23
	v_lshrrev_b32_e32 v10, 16, v6
	s_mov_b32 s23, exec_lo
	s_delay_alu instid0(VALU_DEP_1) | instskip(NEXT) | instid1(VALU_DEP_1)
	v_dual_mov_b32 v8, 0 :: v_dual_and_b32 v9, 0xff, v10
	v_cmpx_ne_u16_e32 0, v9
	s_cbranch_execz .LBB450_3695
; %bb.3688:                             ;   in Loop: Header=BB450_3110 Depth=1
	v_bfrev_b32_e32 v8, 1
	s_mov_b32 s24, exec_lo
	v_cmpx_ne_u16_e32 0x80, v9
	s_cbranch_execz .LBB450_3694
; %bb.3689:                             ;   in Loop: Header=BB450_3110 Depth=1
	v_bfe_u32 v9, v6, 16, 7
	v_mov_b32_e32 v8, 0x7f800001
	s_mov_b32 s25, exec_lo
	s_delay_alu instid0(VALU_DEP_2)
	v_cmpx_ne_u32_e32 0x7f, v9
	s_cbranch_execz .LBB450_3693
; %bb.3690:                             ;   in Loop: Header=BB450_3110 Depth=1
	v_and_b32_e32 v12, 7, v10
	v_lshrrev_b32_e32 v11, 3, v9
	v_cmp_gt_u32_e64 s9, 8, v9
	s_delay_alu instid0(VALU_DEP_3) | instskip(NEXT) | instid1(VALU_DEP_2)
	v_dual_mov_b32 v8, v12 :: v_dual_mov_b32 v9, v13
	s_and_saveexec_b32 s26, s9
; %bb.3691:                             ;   in Loop: Header=BB450_3110 Depth=1
	v_clz_i32_u32_e32 v8, v12
	s_delay_alu instid0(VALU_DEP_1) | instskip(NEXT) | instid1(VALU_DEP_1)
	v_min_u32_e32 v11, 32, v8
	v_subrev_nc_u32_e32 v8, 28, v11
	v_sub_nc_u32_e32 v11, 29, v11
	s_delay_alu instid0(VALU_DEP_2) | instskip(NEXT) | instid1(VALU_DEP_1)
	v_lshlrev_b64 v[8:9], v8, v[12:13]
	v_and_b32_e32 v8, 7, v8
; %bb.3692:                             ;   in Loop: Header=BB450_3110 Depth=1
	s_or_b32 exec_lo, exec_lo, s26
	v_lshlrev_b32_e32 v9, 24, v10
	s_delay_alu instid0(VALU_DEP_2) | instskip(SKIP_1) | instid1(VALU_DEP_3)
	v_lshlrev_b32_e32 v8, 20, v8
	v_lshl_add_u32 v10, v11, 23, 0x3c000000
	v_and_b32_e32 v9, 0x80000000, v9
	s_delay_alu instid0(VALU_DEP_1)
	v_or3_b32 v8, v8, v9, v10
.LBB450_3693:                           ;   in Loop: Header=BB450_3110 Depth=1
	s_or_b32 exec_lo, exec_lo, s25
.LBB450_3694:                           ;   in Loop: Header=BB450_3110 Depth=1
	s_delay_alu instid0(SALU_CYCLE_1)
	s_or_b32 exec_lo, exec_lo, s24
.LBB450_3695:                           ;   in Loop: Header=BB450_3110 Depth=1
	s_delay_alu instid0(SALU_CYCLE_1) | instskip(NEXT) | instid1(VALU_DEP_1)
	s_or_b32 exec_lo, exec_lo, s23
	v_mul_f32_e32 v8, v160, v8
                                        ; implicit-def: $vgpr10
	s_delay_alu instid0(VALU_DEP_1) | instskip(NEXT) | instid1(VALU_DEP_1)
	v_and_b32_e32 v9, 0x7f800000, v8
	v_cmp_ne_u32_e64 s9, 0x7f800000, v9
	s_delay_alu instid0(VALU_DEP_1) | instskip(NEXT) | instid1(SALU_CYCLE_1)
	s_and_saveexec_b32 s23, s9
	s_xor_b32 s9, exec_lo, s23
; %bb.3696:                             ;   in Loop: Header=BB450_3110 Depth=1
	v_bfe_u32 v9, v8, 16, 1
	s_delay_alu instid0(VALU_DEP_1)
	v_add3_u32 v10, v8, v9, 0x7fff
                                        ; implicit-def: $vgpr8
; %bb.3697:                             ;   in Loop: Header=BB450_3110 Depth=1
	s_and_not1_saveexec_b32 s23, s9
; %bb.3698:                             ;   in Loop: Header=BB450_3110 Depth=1
	v_and_b32_e32 v9, 0xffff, v8
	v_or_b32_e32 v10, 0x10000, v8
	s_delay_alu instid0(VALU_DEP_2) | instskip(NEXT) | instid1(VALU_DEP_1)
	v_cmp_eq_u32_e64 s9, 0, v9
	v_cndmask_b32_e64 v10, v10, v8, s9
; %bb.3699:                             ;   in Loop: Header=BB450_3110 Depth=1
	s_or_b32 exec_lo, exec_lo, s23
	v_mov_b32_e32 v8, 0
	s_mov_b32 s23, exec_lo
	v_cmpx_lt_u32_e32 0xffffff, v6
	s_cbranch_execz .LBB450_3707
; %bb.3700:                             ;   in Loop: Header=BB450_3110 Depth=1
	v_lshrrev_b32_e32 v11, 24, v6
	v_bfrev_b32_e32 v8, 1
	s_mov_b32 s24, exec_lo
	s_delay_alu instid0(VALU_DEP_2)
	v_cmpx_ne_u32_e32 0x80, v11
	s_cbranch_execz .LBB450_3706
; %bb.3701:                             ;   in Loop: Header=BB450_3110 Depth=1
	v_bfe_u32 v9, v6, 24, 7
	v_mov_b32_e32 v8, 0x7f800001
	s_mov_b32 s25, exec_lo
	s_delay_alu instid0(VALU_DEP_2)
	v_cmpx_ne_u32_e32 0x7f, v9
	s_cbranch_execz .LBB450_3705
; %bb.3702:                             ;   in Loop: Header=BB450_3110 Depth=1
	v_and_b32_e32 v12, 7, v11
	v_lshrrev_b32_e32 v16, 3, v9
	v_cmp_gt_u32_e64 s9, 8, v9
	s_delay_alu instid0(VALU_DEP_3) | instskip(NEXT) | instid1(VALU_DEP_2)
	v_dual_mov_b32 v8, v12 :: v_dual_mov_b32 v9, v13
	s_and_saveexec_b32 s26, s9
; %bb.3703:                             ;   in Loop: Header=BB450_3110 Depth=1
	v_clz_i32_u32_e32 v8, v12
	s_delay_alu instid0(VALU_DEP_1) | instskip(NEXT) | instid1(VALU_DEP_1)
	v_min_u32_e32 v16, 32, v8
	v_subrev_nc_u32_e32 v8, 28, v16
	v_sub_nc_u32_e32 v16, 29, v16
	s_delay_alu instid0(VALU_DEP_2) | instskip(NEXT) | instid1(VALU_DEP_1)
	v_lshlrev_b64 v[8:9], v8, v[12:13]
	v_and_b32_e32 v8, 7, v8
; %bb.3704:                             ;   in Loop: Header=BB450_3110 Depth=1
	s_or_b32 exec_lo, exec_lo, s26
	v_lshlrev_b32_e32 v9, 24, v11
	s_delay_alu instid0(VALU_DEP_2) | instskip(SKIP_1) | instid1(VALU_DEP_3)
	v_lshlrev_b32_e32 v8, 20, v8
	v_lshl_add_u32 v11, v16, 23, 0x3c000000
	v_and_b32_e32 v9, 0x80000000, v9
	s_delay_alu instid0(VALU_DEP_1)
	v_or3_b32 v8, v8, v9, v11
.LBB450_3705:                           ;   in Loop: Header=BB450_3110 Depth=1
	s_or_b32 exec_lo, exec_lo, s25
.LBB450_3706:                           ;   in Loop: Header=BB450_3110 Depth=1
	s_delay_alu instid0(SALU_CYCLE_1)
	s_or_b32 exec_lo, exec_lo, s24
.LBB450_3707:                           ;   in Loop: Header=BB450_3110 Depth=1
	s_delay_alu instid0(SALU_CYCLE_1) | instskip(NEXT) | instid1(VALU_DEP_1)
	s_or_b32 exec_lo, exec_lo, s23
	v_mul_f32_e32 v8, v160, v8
                                        ; implicit-def: $vgpr11
	s_delay_alu instid0(VALU_DEP_1) | instskip(NEXT) | instid1(VALU_DEP_1)
	v_and_b32_e32 v9, 0x7f800000, v8
	v_cmp_ne_u32_e64 s9, 0x7f800000, v9
	s_delay_alu instid0(VALU_DEP_1) | instskip(NEXT) | instid1(SALU_CYCLE_1)
	s_and_saveexec_b32 s23, s9
	s_xor_b32 s9, exec_lo, s23
; %bb.3708:                             ;   in Loop: Header=BB450_3110 Depth=1
	v_bfe_u32 v9, v8, 16, 1
	s_delay_alu instid0(VALU_DEP_1)
	v_add3_u32 v11, v8, v9, 0x7fff
                                        ; implicit-def: $vgpr8
; %bb.3709:                             ;   in Loop: Header=BB450_3110 Depth=1
	s_and_not1_saveexec_b32 s23, s9
; %bb.3710:                             ;   in Loop: Header=BB450_3110 Depth=1
	v_and_b32_e32 v9, 0xffff, v8
	v_or_b32_e32 v11, 0x10000, v8
	s_delay_alu instid0(VALU_DEP_2) | instskip(NEXT) | instid1(VALU_DEP_1)
	v_cmp_eq_u32_e64 s9, 0, v9
	v_cndmask_b32_e64 v11, v11, v8, s9
; %bb.3711:                             ;   in Loop: Header=BB450_3110 Depth=1
	s_or_b32 exec_lo, exec_lo, s23
	v_dual_mov_b32 v12, v7 :: v_dual_and_b32 v9, 0xff, v7
	v_mov_b32_e32 v8, 0
	s_mov_b32 s23, exec_lo
	s_delay_alu instid0(VALU_DEP_2)
	v_cmpx_ne_u16_e32 0, v9
	s_cbranch_execz .LBB450_3719
; %bb.3712:                             ;   in Loop: Header=BB450_3110 Depth=1
	v_bfrev_b32_e32 v8, 1
	s_mov_b32 s24, exec_lo
	v_cmpx_ne_u16_e32 0x80, v9
	s_cbranch_execz .LBB450_3718
; %bb.3713:                             ;   in Loop: Header=BB450_3110 Depth=1
	v_and_b32_e32 v9, 0x7f, v7
	v_mov_b32_e32 v8, 0x7f800001
	s_mov_b32 s25, exec_lo
	s_delay_alu instid0(VALU_DEP_2)
	v_cmpx_ne_u32_e32 0x7f, v9
	s_cbranch_execz .LBB450_3717
; %bb.3714:                             ;   in Loop: Header=BB450_3110 Depth=1
	v_lshrrev_b32_e32 v16, 3, v9
	v_cmp_gt_u32_e64 s9, 8, v9
	v_dual_mov_b32 v8, v12 :: v_dual_mov_b32 v9, v13
	s_delay_alu instid0(VALU_DEP_2)
	s_and_saveexec_b32 s26, s9
; %bb.3715:                             ;   in Loop: Header=BB450_3110 Depth=1
	v_and_b32_e32 v8, 7, v7
	s_delay_alu instid0(VALU_DEP_1) | instskip(NEXT) | instid1(VALU_DEP_1)
	v_clz_i32_u32_e32 v8, v8
	v_min_u32_e32 v16, 32, v8
	s_delay_alu instid0(VALU_DEP_1) | instskip(SKIP_1) | instid1(VALU_DEP_2)
	v_subrev_nc_u32_e32 v8, 28, v16
	v_sub_nc_u32_e32 v16, 29, v16
	v_lshlrev_b64 v[8:9], v8, v[12:13]
; %bb.3716:                             ;   in Loop: Header=BB450_3110 Depth=1
	s_or_b32 exec_lo, exec_lo, s26
	s_delay_alu instid0(VALU_DEP_1) | instskip(SKIP_2) | instid1(VALU_DEP_3)
	v_lshlrev_b32_e32 v8, 20, v8
	v_lshlrev_b32_e32 v9, 24, v12
	v_lshl_add_u32 v16, v16, 23, 0x3c000000
	v_and_b32_e32 v8, 0x700000, v8
	s_delay_alu instid0(VALU_DEP_3) | instskip(NEXT) | instid1(VALU_DEP_1)
	v_and_b32_e32 v9, 0x80000000, v9
	v_or3_b32 v8, v8, v9, v16
.LBB450_3717:                           ;   in Loop: Header=BB450_3110 Depth=1
	s_or_b32 exec_lo, exec_lo, s25
.LBB450_3718:                           ;   in Loop: Header=BB450_3110 Depth=1
	s_delay_alu instid0(SALU_CYCLE_1)
	s_or_b32 exec_lo, exec_lo, s24
.LBB450_3719:                           ;   in Loop: Header=BB450_3110 Depth=1
	s_delay_alu instid0(SALU_CYCLE_1) | instskip(NEXT) | instid1(VALU_DEP_1)
	s_or_b32 exec_lo, exec_lo, s23
	v_mul_f32_e32 v8, v160, v8
                                        ; implicit-def: $vgpr16
	s_delay_alu instid0(VALU_DEP_1) | instskip(NEXT) | instid1(VALU_DEP_1)
	v_and_b32_e32 v9, 0x7f800000, v8
	v_cmp_ne_u32_e64 s9, 0x7f800000, v9
	s_delay_alu instid0(VALU_DEP_1) | instskip(NEXT) | instid1(SALU_CYCLE_1)
	s_and_saveexec_b32 s23, s9
	s_xor_b32 s9, exec_lo, s23
; %bb.3720:                             ;   in Loop: Header=BB450_3110 Depth=1
	v_bfe_u32 v9, v8, 16, 1
	s_delay_alu instid0(VALU_DEP_1)
	v_add3_u32 v16, v8, v9, 0x7fff
                                        ; implicit-def: $vgpr8
; %bb.3721:                             ;   in Loop: Header=BB450_3110 Depth=1
	s_and_not1_saveexec_b32 s23, s9
; %bb.3722:                             ;   in Loop: Header=BB450_3110 Depth=1
	v_and_b32_e32 v9, 0xffff, v8
	v_or_b32_e32 v16, 0x10000, v8
	s_delay_alu instid0(VALU_DEP_2) | instskip(NEXT) | instid1(VALU_DEP_1)
	v_cmp_eq_u32_e64 s9, 0, v9
	v_cndmask_b32_e64 v16, v16, v8, s9
; %bb.3723:                             ;   in Loop: Header=BB450_3110 Depth=1
	s_or_b32 exec_lo, exec_lo, s23
	v_lshrrev_b16 v9, 8, v12
	v_mov_b32_e32 v8, 0
	s_mov_b32 s23, exec_lo
	s_delay_alu instid0(VALU_DEP_2)
	v_cmpx_ne_u16_e32 0, v9
	s_cbranch_execz .LBB450_3731
; %bb.3724:                             ;   in Loop: Header=BB450_3110 Depth=1
	v_bfrev_b32_e32 v8, 1
	s_mov_b32 s24, exec_lo
	v_cmpx_ne_u16_e32 0x80, v9
	s_cbranch_execz .LBB450_3730
; %bb.3725:                             ;   in Loop: Header=BB450_3110 Depth=1
	v_and_b32_e32 v9, 0xffff, v9
	v_mov_b32_e32 v8, 0x7f800001
	s_mov_b32 s25, exec_lo
	s_delay_alu instid0(VALU_DEP_2) | instskip(NEXT) | instid1(VALU_DEP_1)
	v_and_b32_e32 v19, 0x7f, v9
	v_cmpx_ne_u32_e32 0x7f, v19
	s_cbranch_execz .LBB450_3729
; %bb.3726:                             ;   in Loop: Header=BB450_3110 Depth=1
	v_dual_mov_b32 v9, v13 :: v_dual_and_b32 v8, 7, v9
	v_lshrrev_b32_e32 v18, 3, v19
	s_mov_b32 s26, exec_lo
	v_cmpx_gt_u32_e32 8, v19
; %bb.3727:                             ;   in Loop: Header=BB450_3110 Depth=1
	s_delay_alu instid0(VALU_DEP_3) | instskip(NEXT) | instid1(VALU_DEP_1)
	v_clz_i32_u32_e32 v18, v8
	v_min_u32_e32 v18, 32, v18
	s_delay_alu instid0(VALU_DEP_1) | instskip(SKIP_1) | instid1(VALU_DEP_2)
	v_subrev_nc_u32_e32 v19, 28, v18
	v_sub_nc_u32_e32 v18, 29, v18
	v_lshlrev_b64 v[8:9], v19, v[8:9]
	s_delay_alu instid0(VALU_DEP_1)
	v_and_b32_e32 v8, 7, v8
; %bb.3728:                             ;   in Loop: Header=BB450_3110 Depth=1
	s_or_b32 exec_lo, exec_lo, s26
	v_lshlrev_b32_e32 v9, 16, v12
	s_delay_alu instid0(VALU_DEP_2) | instskip(SKIP_1) | instid1(VALU_DEP_3)
	v_lshlrev_b32_e32 v8, 20, v8
	v_lshl_add_u32 v12, v18, 23, 0x3c000000
	v_and_b32_e32 v9, 0x80000000, v9
	s_delay_alu instid0(VALU_DEP_1)
	v_or3_b32 v8, v8, v9, v12
.LBB450_3729:                           ;   in Loop: Header=BB450_3110 Depth=1
	s_or_b32 exec_lo, exec_lo, s25
.LBB450_3730:                           ;   in Loop: Header=BB450_3110 Depth=1
	s_delay_alu instid0(SALU_CYCLE_1)
	s_or_b32 exec_lo, exec_lo, s24
.LBB450_3731:                           ;   in Loop: Header=BB450_3110 Depth=1
	s_delay_alu instid0(SALU_CYCLE_1) | instskip(NEXT) | instid1(VALU_DEP_1)
	s_or_b32 exec_lo, exec_lo, s23
	v_mul_f32_e32 v8, v160, v8
                                        ; implicit-def: $vgpr18
	s_delay_alu instid0(VALU_DEP_1) | instskip(NEXT) | instid1(VALU_DEP_1)
	v_and_b32_e32 v9, 0x7f800000, v8
	v_cmp_ne_u32_e64 s9, 0x7f800000, v9
	s_delay_alu instid0(VALU_DEP_1) | instskip(NEXT) | instid1(SALU_CYCLE_1)
	s_and_saveexec_b32 s23, s9
	s_xor_b32 s9, exec_lo, s23
; %bb.3732:                             ;   in Loop: Header=BB450_3110 Depth=1
	v_bfe_u32 v9, v8, 16, 1
	s_delay_alu instid0(VALU_DEP_1)
	v_add3_u32 v18, v8, v9, 0x7fff
                                        ; implicit-def: $vgpr8
; %bb.3733:                             ;   in Loop: Header=BB450_3110 Depth=1
	s_and_not1_saveexec_b32 s23, s9
; %bb.3734:                             ;   in Loop: Header=BB450_3110 Depth=1
	v_and_b32_e32 v9, 0xffff, v8
	v_or_b32_e32 v12, 0x10000, v8
	s_delay_alu instid0(VALU_DEP_2) | instskip(NEXT) | instid1(VALU_DEP_1)
	v_cmp_eq_u32_e64 s9, 0, v9
	v_cndmask_b32_e64 v18, v12, v8, s9
; %bb.3735:                             ;   in Loop: Header=BB450_3110 Depth=1
	s_or_b32 exec_lo, exec_lo, s23
	v_lshrrev_b32_e32 v19, 16, v7
	s_mov_b32 s23, exec_lo
	s_delay_alu instid0(VALU_DEP_1) | instskip(NEXT) | instid1(VALU_DEP_1)
	v_dual_mov_b32 v8, 0 :: v_dual_and_b32 v9, 0xff, v19
	v_cmpx_ne_u16_e32 0, v9
	s_cbranch_execz .LBB450_3743
; %bb.3736:                             ;   in Loop: Header=BB450_3110 Depth=1
	v_bfrev_b32_e32 v8, 1
	s_mov_b32 s24, exec_lo
	v_cmpx_ne_u16_e32 0x80, v9
	s_cbranch_execz .LBB450_3742
; %bb.3737:                             ;   in Loop: Header=BB450_3110 Depth=1
	v_bfe_u32 v9, v7, 16, 7
	v_mov_b32_e32 v8, 0x7f800001
	s_mov_b32 s25, exec_lo
	s_delay_alu instid0(VALU_DEP_2)
	v_cmpx_ne_u32_e32 0x7f, v9
	s_cbranch_execz .LBB450_3741
; %bb.3738:                             ;   in Loop: Header=BB450_3110 Depth=1
	v_and_b32_e32 v12, 7, v19
	v_lshrrev_b32_e32 v20, 3, v9
	v_cmp_gt_u32_e64 s9, 8, v9
	s_delay_alu instid0(VALU_DEP_3) | instskip(NEXT) | instid1(VALU_DEP_2)
	v_dual_mov_b32 v8, v12 :: v_dual_mov_b32 v9, v13
	s_and_saveexec_b32 s26, s9
; %bb.3739:                             ;   in Loop: Header=BB450_3110 Depth=1
	v_clz_i32_u32_e32 v8, v12
	s_delay_alu instid0(VALU_DEP_1) | instskip(NEXT) | instid1(VALU_DEP_1)
	v_min_u32_e32 v20, 32, v8
	v_subrev_nc_u32_e32 v8, 28, v20
	v_sub_nc_u32_e32 v20, 29, v20
	s_delay_alu instid0(VALU_DEP_2) | instskip(NEXT) | instid1(VALU_DEP_1)
	v_lshlrev_b64 v[8:9], v8, v[12:13]
	v_and_b32_e32 v8, 7, v8
; %bb.3740:                             ;   in Loop: Header=BB450_3110 Depth=1
	s_or_b32 exec_lo, exec_lo, s26
	v_lshlrev_b32_e32 v9, 24, v19
	s_delay_alu instid0(VALU_DEP_2) | instskip(SKIP_1) | instid1(VALU_DEP_3)
	v_lshlrev_b32_e32 v8, 20, v8
	v_lshl_add_u32 v12, v20, 23, 0x3c000000
	v_and_b32_e32 v9, 0x80000000, v9
	s_delay_alu instid0(VALU_DEP_1)
	v_or3_b32 v8, v8, v9, v12
.LBB450_3741:                           ;   in Loop: Header=BB450_3110 Depth=1
	s_or_b32 exec_lo, exec_lo, s25
.LBB450_3742:                           ;   in Loop: Header=BB450_3110 Depth=1
	s_delay_alu instid0(SALU_CYCLE_1)
	s_or_b32 exec_lo, exec_lo, s24
.LBB450_3743:                           ;   in Loop: Header=BB450_3110 Depth=1
	s_delay_alu instid0(SALU_CYCLE_1) | instskip(NEXT) | instid1(VALU_DEP_1)
	s_or_b32 exec_lo, exec_lo, s23
	v_mul_f32_e32 v8, v160, v8
	s_delay_alu instid0(VALU_DEP_1) | instskip(NEXT) | instid1(VALU_DEP_1)
	v_and_b32_e32 v9, 0x7f800000, v8
	v_cmp_ne_u32_e64 s9, 0x7f800000, v9
                                        ; implicit-def: $vgpr9
	s_delay_alu instid0(VALU_DEP_1) | instskip(NEXT) | instid1(SALU_CYCLE_1)
	s_and_saveexec_b32 s23, s9
	s_xor_b32 s9, exec_lo, s23
; %bb.3744:                             ;   in Loop: Header=BB450_3110 Depth=1
	v_bfe_u32 v9, v8, 16, 1
	s_delay_alu instid0(VALU_DEP_1)
	v_add3_u32 v9, v8, v9, 0x7fff
                                        ; implicit-def: $vgpr8
; %bb.3745:                             ;   in Loop: Header=BB450_3110 Depth=1
	s_and_not1_saveexec_b32 s23, s9
; %bb.3746:                             ;   in Loop: Header=BB450_3110 Depth=1
	v_and_b32_e32 v9, 0xffff, v8
	v_or_b32_e32 v12, 0x10000, v8
	s_delay_alu instid0(VALU_DEP_2) | instskip(NEXT) | instid1(VALU_DEP_1)
	v_cmp_eq_u32_e64 s9, 0, v9
	v_cndmask_b32_e64 v9, v12, v8, s9
; %bb.3747:                             ;   in Loop: Header=BB450_3110 Depth=1
	s_or_b32 exec_lo, exec_lo, s23
	v_cmp_lt_u64_e64 s9, s[18:19], v[6:7]
	v_mov_b32_e32 v6, 0
	s_delay_alu instid0(VALU_DEP_2)
	s_and_saveexec_b32 s23, s9
	s_cbranch_execz .LBB450_3755
; %bb.3748:                             ;   in Loop: Header=BB450_3110 Depth=1
	v_lshrrev_b32_e32 v8, 24, v7
	v_bfrev_b32_e32 v6, 1
	s_mov_b32 s24, exec_lo
	s_delay_alu instid0(VALU_DEP_2)
	v_cmpx_ne_u32_e32 0x80, v8
	s_cbranch_execz .LBB450_3754
; %bb.3749:                             ;   in Loop: Header=BB450_3110 Depth=1
	v_bfe_u32 v7, v7, 24, 7
	v_mov_b32_e32 v6, 0x7f800001
	s_mov_b32 s25, exec_lo
	s_delay_alu instid0(VALU_DEP_2)
	v_cmpx_ne_u32_e32 0x7f, v7
	s_cbranch_execz .LBB450_3753
; %bb.3750:                             ;   in Loop: Header=BB450_3110 Depth=1
	v_and_b32_e32 v12, 7, v8
	v_lshrrev_b32_e32 v19, 3, v7
	v_cmp_gt_u32_e64 s9, 8, v7
	s_delay_alu instid0(VALU_DEP_3) | instskip(NEXT) | instid1(VALU_DEP_2)
	v_dual_mov_b32 v6, v12 :: v_dual_mov_b32 v7, v13
	s_and_saveexec_b32 s26, s9
; %bb.3751:                             ;   in Loop: Header=BB450_3110 Depth=1
	v_clz_i32_u32_e32 v6, v12
	s_delay_alu instid0(VALU_DEP_1) | instskip(NEXT) | instid1(VALU_DEP_1)
	v_min_u32_e32 v19, 32, v6
	v_subrev_nc_u32_e32 v6, 28, v19
	v_sub_nc_u32_e32 v19, 29, v19
	s_delay_alu instid0(VALU_DEP_2) | instskip(NEXT) | instid1(VALU_DEP_1)
	v_lshlrev_b64 v[6:7], v6, v[12:13]
	v_and_b32_e32 v6, 7, v6
; %bb.3752:                             ;   in Loop: Header=BB450_3110 Depth=1
	s_or_b32 exec_lo, exec_lo, s26
	v_lshlrev_b32_e32 v7, 24, v8
	s_delay_alu instid0(VALU_DEP_2) | instskip(SKIP_1) | instid1(VALU_DEP_3)
	v_lshlrev_b32_e32 v6, 20, v6
	v_lshl_add_u32 v8, v19, 23, 0x3c000000
	v_and_b32_e32 v7, 0x80000000, v7
	s_delay_alu instid0(VALU_DEP_1)
	v_or3_b32 v6, v6, v7, v8
.LBB450_3753:                           ;   in Loop: Header=BB450_3110 Depth=1
	s_or_b32 exec_lo, exec_lo, s25
.LBB450_3754:                           ;   in Loop: Header=BB450_3110 Depth=1
	s_delay_alu instid0(SALU_CYCLE_1)
	s_or_b32 exec_lo, exec_lo, s24
.LBB450_3755:                           ;   in Loop: Header=BB450_3110 Depth=1
	s_delay_alu instid0(SALU_CYCLE_1) | instskip(NEXT) | instid1(VALU_DEP_1)
	s_or_b32 exec_lo, exec_lo, s23
	v_mul_f32_e32 v6, v160, v6
                                        ; implicit-def: $vgpr19
	s_delay_alu instid0(VALU_DEP_1) | instskip(NEXT) | instid1(VALU_DEP_1)
	v_and_b32_e32 v7, 0x7f800000, v6
	v_cmp_ne_u32_e64 s9, 0x7f800000, v7
	s_delay_alu instid0(VALU_DEP_1) | instskip(NEXT) | instid1(SALU_CYCLE_1)
	s_and_saveexec_b32 s23, s9
	s_xor_b32 s9, exec_lo, s23
; %bb.3756:                             ;   in Loop: Header=BB450_3110 Depth=1
	v_bfe_u32 v7, v6, 16, 1
	s_delay_alu instid0(VALU_DEP_1)
	v_add3_u32 v19, v6, v7, 0x7fff
                                        ; implicit-def: $vgpr6
; %bb.3757:                             ;   in Loop: Header=BB450_3110 Depth=1
	s_and_not1_saveexec_b32 s23, s9
; %bb.3758:                             ;   in Loop: Header=BB450_3110 Depth=1
	v_and_b32_e32 v7, 0xffff, v6
	v_or_b32_e32 v8, 0x10000, v6
	s_delay_alu instid0(VALU_DEP_2) | instskip(NEXT) | instid1(VALU_DEP_1)
	v_cmp_eq_u32_e64 s9, 0, v7
	v_cndmask_b32_e64 v19, v8, v6, s9
; %bb.3759:                             ;   in Loop: Header=BB450_3110 Depth=1
	s_or_b32 exec_lo, exec_lo, s23
	v_lshrrev_b32_e32 v6, 16, v18
	v_lshrrev_b32_e32 v7, 16, v16
	;; [unrolled: 1-line block ×8, first 2 shown]
	s_and_saveexec_b32 s9, s1
; %bb.3760:                             ;   in Loop: Header=BB450_3110 Depth=1
	s_delay_alu instid0(VALU_DEP_3)
	v_cndmask_b32_e32 v12, 0, v12, vcc_lo
	v_cndmask_b32_e64 v11, 0, v11, s2
	v_cndmask_b32_e64 v10, 0, v10, s3
	v_cndmask_b32_e64 v8, 0, v8, s4
	v_cndmask_b32_e64 v7, 0, v7, s5
	v_cndmask_b32_e64 v6, 0, v6, s6
	v_cndmask_b32_e64 v5, 0, v5, s7
	v_cndmask_b32_e64 v4, 0, v4, s8
; %bb.3761:                             ;   in Loop: Header=BB450_3110 Depth=1
	s_or_b32 exec_lo, exec_lo, s9
	v_lshlrev_b32_e32 v9, 16, v12
	s_delay_alu instid0(VALU_DEP_1) | instskip(NEXT) | instid1(VALU_DEP_1)
	v_mul_f32_e32 v9, v161, v9
	v_and_b32_e32 v12, 0x7f800000, v9
	s_delay_alu instid0(VALU_DEP_1) | instskip(NEXT) | instid1(VALU_DEP_1)
	v_cmp_ne_u32_e64 s9, 0x7f800000, v12
                                        ; implicit-def: $vgpr12
                                        ; kill: killed $vgpr12
	s_and_saveexec_b32 s23, s9
	s_delay_alu instid0(SALU_CYCLE_1)
	s_xor_b32 s9, exec_lo, s23
	s_cbranch_execz .LBB450_3763
; %bb.3762:                             ;   in Loop: Header=BB450_3110 Depth=1
	v_bfe_u32 v12, v9, 16, 1
	s_delay_alu instid0(VALU_DEP_1)
	v_add3_u32 v9, v9, v12, 0x7fff
	scratch_store_b32 off, v9, s32 offset:612 ; 4-byte Folded Spill
                                        ; implicit-def: $vgpr9
.LBB450_3763:                           ;   in Loop: Header=BB450_3110 Depth=1
	s_and_not1_saveexec_b32 s23, s9
	s_cbranch_execz .LBB450_3765
; %bb.3764:                             ;   in Loop: Header=BB450_3110 Depth=1
	v_and_b32_e32 v12, 0xffff, v9
	v_or_b32_e32 v16, 0x10000, v9
	s_delay_alu instid0(VALU_DEP_2) | instskip(NEXT) | instid1(VALU_DEP_1)
	v_cmp_eq_u32_e64 s9, 0, v12
	v_cndmask_b32_e64 v9, v16, v9, s9
	scratch_store_b32 off, v9, s32 offset:612 ; 4-byte Folded Spill
.LBB450_3765:                           ;   in Loop: Header=BB450_3110 Depth=1
	s_or_b32 exec_lo, exec_lo, s23
	v_lshlrev_b32_e32 v9, 16, v11
	s_delay_alu instid0(VALU_DEP_1) | instskip(NEXT) | instid1(VALU_DEP_1)
	v_mul_f32_e32 v9, v162, v9
	v_and_b32_e32 v11, 0x7f800000, v9
	s_delay_alu instid0(VALU_DEP_1) | instskip(NEXT) | instid1(VALU_DEP_1)
	v_cmp_ne_u32_e64 s9, 0x7f800000, v11
                                        ; implicit-def: $vgpr11
                                        ; kill: killed $vgpr11
	s_and_saveexec_b32 s23, s9
	s_delay_alu instid0(SALU_CYCLE_1)
	s_xor_b32 s9, exec_lo, s23
	s_cbranch_execz .LBB450_3767
; %bb.3766:                             ;   in Loop: Header=BB450_3110 Depth=1
	v_bfe_u32 v11, v9, 16, 1
	s_delay_alu instid0(VALU_DEP_1)
	v_add3_u32 v9, v9, v11, 0x7fff
	scratch_store_b32 off, v9, s32 offset:616 ; 4-byte Folded Spill
                                        ; implicit-def: $vgpr9
.LBB450_3767:                           ;   in Loop: Header=BB450_3110 Depth=1
	s_and_not1_saveexec_b32 s23, s9
	s_cbranch_execz .LBB450_3769
; %bb.3768:                             ;   in Loop: Header=BB450_3110 Depth=1
	v_and_b32_e32 v11, 0xffff, v9
	v_or_b32_e32 v12, 0x10000, v9
	s_delay_alu instid0(VALU_DEP_2) | instskip(NEXT) | instid1(VALU_DEP_1)
	v_cmp_eq_u32_e64 s9, 0, v11
	v_cndmask_b32_e64 v9, v12, v9, s9
	scratch_store_b32 off, v9, s32 offset:616 ; 4-byte Folded Spill
.LBB450_3769:                           ;   in Loop: Header=BB450_3110 Depth=1
	s_or_b32 exec_lo, exec_lo, s23
	v_lshlrev_b32_e32 v9, 16, v10
	s_delay_alu instid0(VALU_DEP_1) | instskip(NEXT) | instid1(VALU_DEP_1)
	v_mul_f32_e32 v9, v163, v9
	v_and_b32_e32 v10, 0x7f800000, v9
	s_delay_alu instid0(VALU_DEP_1) | instskip(NEXT) | instid1(VALU_DEP_1)
	v_cmp_ne_u32_e64 s9, 0x7f800000, v10
                                        ; implicit-def: $vgpr10
                                        ; kill: killed $vgpr10
	s_and_saveexec_b32 s23, s9
	s_delay_alu instid0(SALU_CYCLE_1)
	s_xor_b32 s9, exec_lo, s23
	s_cbranch_execz .LBB450_3771
; %bb.3770:                             ;   in Loop: Header=BB450_3110 Depth=1
	v_bfe_u32 v10, v9, 16, 1
	s_delay_alu instid0(VALU_DEP_1)
	v_add3_u32 v9, v9, v10, 0x7fff
	scratch_store_b32 off, v9, s32 offset:620 ; 4-byte Folded Spill
                                        ; implicit-def: $vgpr9
.LBB450_3771:                           ;   in Loop: Header=BB450_3110 Depth=1
	s_and_not1_saveexec_b32 s23, s9
	s_cbranch_execz .LBB450_3773
; %bb.3772:                             ;   in Loop: Header=BB450_3110 Depth=1
	v_and_b32_e32 v10, 0xffff, v9
	v_or_b32_e32 v11, 0x10000, v9
	s_delay_alu instid0(VALU_DEP_2) | instskip(NEXT) | instid1(VALU_DEP_1)
	v_cmp_eq_u32_e64 s9, 0, v10
	v_cndmask_b32_e64 v9, v11, v9, s9
	scratch_store_b32 off, v9, s32 offset:620 ; 4-byte Folded Spill
.LBB450_3773:                           ;   in Loop: Header=BB450_3110 Depth=1
	s_or_b32 exec_lo, exec_lo, s23
	v_lshlrev_b32_e32 v8, 16, v8
	s_delay_alu instid0(VALU_DEP_1) | instskip(NEXT) | instid1(VALU_DEP_1)
	v_mul_f32_e32 v8, v164, v8
	v_and_b32_e32 v9, 0x7f800000, v8
	s_delay_alu instid0(VALU_DEP_1) | instskip(NEXT) | instid1(VALU_DEP_1)
	v_cmp_ne_u32_e64 s9, 0x7f800000, v9
                                        ; implicit-def: $vgpr9
                                        ; kill: killed $vgpr9
	s_and_saveexec_b32 s23, s9
	s_delay_alu instid0(SALU_CYCLE_1)
	s_xor_b32 s9, exec_lo, s23
	s_cbranch_execz .LBB450_3775
; %bb.3774:                             ;   in Loop: Header=BB450_3110 Depth=1
	v_bfe_u32 v9, v8, 16, 1
	s_delay_alu instid0(VALU_DEP_1)
	v_add3_u32 v8, v8, v9, 0x7fff
	scratch_store_b32 off, v8, s32 offset:624 ; 4-byte Folded Spill
                                        ; implicit-def: $vgpr8
.LBB450_3775:                           ;   in Loop: Header=BB450_3110 Depth=1
	s_and_not1_saveexec_b32 s23, s9
	s_cbranch_execz .LBB450_3777
; %bb.3776:                             ;   in Loop: Header=BB450_3110 Depth=1
	v_and_b32_e32 v9, 0xffff, v8
	v_or_b32_e32 v10, 0x10000, v8
	s_delay_alu instid0(VALU_DEP_2) | instskip(NEXT) | instid1(VALU_DEP_1)
	v_cmp_eq_u32_e64 s9, 0, v9
	v_cndmask_b32_e64 v8, v10, v8, s9
	scratch_store_b32 off, v8, s32 offset:624 ; 4-byte Folded Spill
.LBB450_3777:                           ;   in Loop: Header=BB450_3110 Depth=1
	s_or_b32 exec_lo, exec_lo, s23
	v_lshlrev_b32_e32 v7, 16, v7
	s_delay_alu instid0(VALU_DEP_1) | instskip(NEXT) | instid1(VALU_DEP_1)
	v_mul_f32_e32 v7, v165, v7
	v_and_b32_e32 v8, 0x7f800000, v7
	s_delay_alu instid0(VALU_DEP_1) | instskip(NEXT) | instid1(VALU_DEP_1)
	v_cmp_ne_u32_e64 s9, 0x7f800000, v8
                                        ; implicit-def: $vgpr8
                                        ; kill: killed $vgpr8
	s_and_saveexec_b32 s23, s9
	s_delay_alu instid0(SALU_CYCLE_1)
	s_xor_b32 s9, exec_lo, s23
	s_cbranch_execz .LBB450_3779
; %bb.3778:                             ;   in Loop: Header=BB450_3110 Depth=1
	v_bfe_u32 v8, v7, 16, 1
	s_delay_alu instid0(VALU_DEP_1)
	v_add3_u32 v7, v7, v8, 0x7fff
	scratch_store_b32 off, v7, s32 offset:628 ; 4-byte Folded Spill
                                        ; implicit-def: $vgpr7
.LBB450_3779:                           ;   in Loop: Header=BB450_3110 Depth=1
	s_and_not1_saveexec_b32 s23, s9
	s_cbranch_execz .LBB450_3781
; %bb.3780:                             ;   in Loop: Header=BB450_3110 Depth=1
	v_and_b32_e32 v8, 0xffff, v7
	v_or_b32_e32 v9, 0x10000, v7
	s_delay_alu instid0(VALU_DEP_2) | instskip(NEXT) | instid1(VALU_DEP_1)
	v_cmp_eq_u32_e64 s9, 0, v8
	v_cndmask_b32_e64 v7, v9, v7, s9
	scratch_store_b32 off, v7, s32 offset:628 ; 4-byte Folded Spill
.LBB450_3781:                           ;   in Loop: Header=BB450_3110 Depth=1
	s_or_b32 exec_lo, exec_lo, s23
	v_lshlrev_b32_e32 v6, 16, v6
	s_delay_alu instid0(VALU_DEP_1) | instskip(NEXT) | instid1(VALU_DEP_1)
	v_mul_f32_e32 v6, v166, v6
	v_and_b32_e32 v7, 0x7f800000, v6
	s_delay_alu instid0(VALU_DEP_1) | instskip(NEXT) | instid1(VALU_DEP_1)
	v_cmp_ne_u32_e64 s9, 0x7f800000, v7
                                        ; implicit-def: $vgpr7
                                        ; kill: killed $vgpr7
	s_and_saveexec_b32 s23, s9
	s_delay_alu instid0(SALU_CYCLE_1)
	s_xor_b32 s9, exec_lo, s23
	s_cbranch_execz .LBB450_3783
; %bb.3782:                             ;   in Loop: Header=BB450_3110 Depth=1
	v_bfe_u32 v7, v6, 16, 1
	s_delay_alu instid0(VALU_DEP_1)
	v_add3_u32 v6, v6, v7, 0x7fff
	scratch_store_b32 off, v6, s32 offset:632 ; 4-byte Folded Spill
                                        ; implicit-def: $vgpr6
.LBB450_3783:                           ;   in Loop: Header=BB450_3110 Depth=1
	s_and_not1_saveexec_b32 s23, s9
	s_cbranch_execz .LBB450_3785
; %bb.3784:                             ;   in Loop: Header=BB450_3110 Depth=1
	v_and_b32_e32 v7, 0xffff, v6
	v_or_b32_e32 v8, 0x10000, v6
	s_delay_alu instid0(VALU_DEP_2) | instskip(NEXT) | instid1(VALU_DEP_1)
	v_cmp_eq_u32_e64 s9, 0, v7
	v_cndmask_b32_e64 v6, v8, v6, s9
	scratch_store_b32 off, v6, s32 offset:632 ; 4-byte Folded Spill
.LBB450_3785:                           ;   in Loop: Header=BB450_3110 Depth=1
	s_or_b32 exec_lo, exec_lo, s23
	v_lshlrev_b32_e32 v5, 16, v5
	s_delay_alu instid0(VALU_DEP_1) | instskip(NEXT) | instid1(VALU_DEP_1)
	v_mul_f32_e32 v5, v167, v5
	v_and_b32_e32 v6, 0x7f800000, v5
	s_delay_alu instid0(VALU_DEP_1) | instskip(NEXT) | instid1(VALU_DEP_1)
	v_cmp_ne_u32_e64 s9, 0x7f800000, v6
                                        ; implicit-def: $vgpr6
                                        ; kill: killed $vgpr6
	s_and_saveexec_b32 s23, s9
	s_delay_alu instid0(SALU_CYCLE_1)
	s_xor_b32 s9, exec_lo, s23
	s_cbranch_execz .LBB450_3787
; %bb.3786:                             ;   in Loop: Header=BB450_3110 Depth=1
	v_bfe_u32 v6, v5, 16, 1
	s_delay_alu instid0(VALU_DEP_1)
	v_add3_u32 v5, v5, v6, 0x7fff
	scratch_store_b32 off, v5, s32 offset:636 ; 4-byte Folded Spill
                                        ; implicit-def: $vgpr5
.LBB450_3787:                           ;   in Loop: Header=BB450_3110 Depth=1
	s_and_not1_saveexec_b32 s23, s9
	s_cbranch_execz .LBB450_3789
; %bb.3788:                             ;   in Loop: Header=BB450_3110 Depth=1
	v_and_b32_e32 v6, 0xffff, v5
	v_or_b32_e32 v7, 0x10000, v5
	s_delay_alu instid0(VALU_DEP_2) | instskip(NEXT) | instid1(VALU_DEP_1)
	v_cmp_eq_u32_e64 s9, 0, v6
	v_cndmask_b32_e64 v5, v7, v5, s9
	scratch_store_b32 off, v5, s32 offset:636 ; 4-byte Folded Spill
.LBB450_3789:                           ;   in Loop: Header=BB450_3110 Depth=1
	s_or_b32 exec_lo, exec_lo, s23
	v_lshlrev_b32_e32 v4, 16, v4
	s_delay_alu instid0(VALU_DEP_1) | instskip(NEXT) | instid1(VALU_DEP_1)
	v_mul_f32_e32 v4, v176, v4
	v_and_b32_e32 v5, 0x7f800000, v4
	s_delay_alu instid0(VALU_DEP_1) | instskip(NEXT) | instid1(VALU_DEP_1)
	v_cmp_ne_u32_e64 s9, 0x7f800000, v5
                                        ; implicit-def: $vgpr5
                                        ; kill: killed $vgpr5
	s_and_saveexec_b32 s23, s9
	s_delay_alu instid0(SALU_CYCLE_1)
	s_xor_b32 s9, exec_lo, s23
	s_cbranch_execz .LBB450_3791
; %bb.3790:                             ;   in Loop: Header=BB450_3110 Depth=1
	v_bfe_u32 v5, v4, 16, 1
	s_delay_alu instid0(VALU_DEP_1)
	v_add3_u32 v4, v4, v5, 0x7fff
	scratch_store_b32 off, v4, s32 offset:640 ; 4-byte Folded Spill
                                        ; implicit-def: $vgpr4
.LBB450_3791:                           ;   in Loop: Header=BB450_3110 Depth=1
	s_and_not1_saveexec_b32 s23, s9
	s_cbranch_execz .LBB450_3793
; %bb.3792:                             ;   in Loop: Header=BB450_3110 Depth=1
	v_and_b32_e32 v5, 0xffff, v4
	v_or_b32_e32 v6, 0x10000, v4
	s_delay_alu instid0(VALU_DEP_2) | instskip(NEXT) | instid1(VALU_DEP_1)
	v_cmp_eq_u32_e64 s9, 0, v5
	v_cndmask_b32_e64 v4, v6, v4, s9
	scratch_store_b32 off, v4, s32 offset:640 ; 4-byte Folded Spill
.LBB450_3793:                           ;   in Loop: Header=BB450_3110 Depth=1
	s_or_b32 exec_lo, exec_lo, s23
	flat_load_b64 v[6:7], v[2:3] offset:1280
	s_mov_b32 s23, exec_lo
	s_waitcnt vmcnt(0) lgkmcnt(0)
	v_dual_mov_b32 v4, 0 :: v_dual_and_b32 v5, 0xff, v6
	s_delay_alu instid0(VALU_DEP_1)
	v_cmpx_ne_u16_e32 0, v5
	s_cbranch_execz .LBB450_3801
; %bb.3794:                             ;   in Loop: Header=BB450_3110 Depth=1
	v_bfrev_b32_e32 v4, 1
	s_mov_b32 s24, exec_lo
	v_cmpx_ne_u16_e32 0x80, v5
	s_cbranch_execz .LBB450_3800
; %bb.3795:                             ;   in Loop: Header=BB450_3110 Depth=1
	v_and_b32_e32 v5, 0x7f, v6
	v_mov_b32_e32 v4, 0x7f800001
	s_mov_b32 s25, exec_lo
	s_delay_alu instid0(VALU_DEP_2)
	v_cmpx_ne_u32_e32 0x7f, v5
	s_cbranch_execz .LBB450_3799
; %bb.3796:                             ;   in Loop: Header=BB450_3110 Depth=1
	v_lshrrev_b32_e32 v4, 3, v5
	v_dual_mov_b32 v9, v7 :: v_dual_mov_b32 v8, v6
	s_mov_b32 s26, exec_lo
	v_cmpx_gt_u32_e32 8, v5
; %bb.3797:                             ;   in Loop: Header=BB450_3110 Depth=1
	v_and_b32_e32 v4, 7, v6
	s_delay_alu instid0(VALU_DEP_1) | instskip(NEXT) | instid1(VALU_DEP_1)
	v_clz_i32_u32_e32 v4, v4
	v_min_u32_e32 v4, 32, v4
	s_delay_alu instid0(VALU_DEP_1) | instskip(SKIP_1) | instid1(VALU_DEP_2)
	v_subrev_nc_u32_e32 v5, 28, v4
	v_sub_nc_u32_e32 v4, 29, v4
	v_lshlrev_b64 v[8:9], v5, v[6:7]
; %bb.3798:                             ;   in Loop: Header=BB450_3110 Depth=1
	s_or_b32 exec_lo, exec_lo, s26
	s_delay_alu instid0(VALU_DEP_1) | instskip(SKIP_2) | instid1(VALU_DEP_3)
	v_lshlrev_b32_e32 v5, 20, v8
	v_lshlrev_b32_e32 v8, 24, v6
	v_lshl_add_u32 v4, v4, 23, 0x3c000000
	v_and_b32_e32 v5, 0x700000, v5
	s_delay_alu instid0(VALU_DEP_3) | instskip(NEXT) | instid1(VALU_DEP_1)
	v_and_b32_e32 v8, 0x80000000, v8
	v_or3_b32 v4, v5, v8, v4
.LBB450_3799:                           ;   in Loop: Header=BB450_3110 Depth=1
	s_or_b32 exec_lo, exec_lo, s25
.LBB450_3800:                           ;   in Loop: Header=BB450_3110 Depth=1
	s_delay_alu instid0(SALU_CYCLE_1)
	s_or_b32 exec_lo, exec_lo, s24
.LBB450_3801:                           ;   in Loop: Header=BB450_3110 Depth=1
	s_delay_alu instid0(SALU_CYCLE_1) | instskip(NEXT) | instid1(VALU_DEP_1)
	s_or_b32 exec_lo, exec_lo, s23
	v_mul_f32_e32 v5, v160, v4
	s_delay_alu instid0(VALU_DEP_1) | instskip(NEXT) | instid1(VALU_DEP_1)
	v_and_b32_e32 v4, 0x7f800000, v5
	v_cmp_ne_u32_e64 s9, 0x7f800000, v4
                                        ; implicit-def: $vgpr4
	s_delay_alu instid0(VALU_DEP_1) | instskip(NEXT) | instid1(SALU_CYCLE_1)
	s_and_saveexec_b32 s23, s9
	s_xor_b32 s9, exec_lo, s23
; %bb.3802:                             ;   in Loop: Header=BB450_3110 Depth=1
	v_bfe_u32 v4, v5, 16, 1
	s_delay_alu instid0(VALU_DEP_1)
	v_add3_u32 v4, v5, v4, 0x7fff
                                        ; implicit-def: $vgpr5
; %bb.3803:                             ;   in Loop: Header=BB450_3110 Depth=1
	s_and_not1_saveexec_b32 s23, s9
; %bb.3804:                             ;   in Loop: Header=BB450_3110 Depth=1
	v_and_b32_e32 v4, 0xffff, v5
	v_or_b32_e32 v8, 0x10000, v5
	s_delay_alu instid0(VALU_DEP_2) | instskip(NEXT) | instid1(VALU_DEP_1)
	v_cmp_eq_u32_e64 s9, 0, v4
	v_cndmask_b32_e64 v4, v8, v5, s9
; %bb.3805:                             ;   in Loop: Header=BB450_3110 Depth=1
	s_or_b32 exec_lo, exec_lo, s23
	v_lshrrev_b16 v8, 8, v6
	v_mov_b32_e32 v5, 0
	s_mov_b32 s23, exec_lo
	s_delay_alu instid0(VALU_DEP_2)
	v_cmpx_ne_u16_e32 0, v8
	s_cbranch_execz .LBB450_3813
; %bb.3806:                             ;   in Loop: Header=BB450_3110 Depth=1
	v_bfrev_b32_e32 v5, 1
	s_mov_b32 s24, exec_lo
	v_cmpx_ne_u16_e32 0x80, v8
	s_cbranch_execz .LBB450_3812
; %bb.3807:                             ;   in Loop: Header=BB450_3110 Depth=1
	v_and_b32_e32 v9, 0xffff, v8
	v_mov_b32_e32 v5, 0x7f800001
	s_mov_b32 s25, exec_lo
	s_delay_alu instid0(VALU_DEP_2) | instskip(NEXT) | instid1(VALU_DEP_1)
	v_and_b32_e32 v8, 0x7f, v9
	v_cmpx_ne_u32_e32 0x7f, v8
	s_cbranch_execz .LBB450_3811
; %bb.3808:                             ;   in Loop: Header=BB450_3110 Depth=1
	v_and_b32_e32 v12, 7, v9
	v_lshrrev_b32_e32 v5, 3, v8
	v_cmp_gt_u32_e64 s9, 8, v8
	s_delay_alu instid0(VALU_DEP_3) | instskip(NEXT) | instid1(VALU_DEP_2)
	v_dual_mov_b32 v8, v12 :: v_dual_mov_b32 v9, v13
	s_and_saveexec_b32 s26, s9
; %bb.3809:                             ;   in Loop: Header=BB450_3110 Depth=1
	v_clz_i32_u32_e32 v5, v12
	s_delay_alu instid0(VALU_DEP_1) | instskip(NEXT) | instid1(VALU_DEP_1)
	v_min_u32_e32 v5, 32, v5
	v_subrev_nc_u32_e32 v8, 28, v5
	v_sub_nc_u32_e32 v5, 29, v5
	s_delay_alu instid0(VALU_DEP_2) | instskip(NEXT) | instid1(VALU_DEP_1)
	v_lshlrev_b64 v[8:9], v8, v[12:13]
	v_and_b32_e32 v8, 7, v8
; %bb.3810:                             ;   in Loop: Header=BB450_3110 Depth=1
	s_or_b32 exec_lo, exec_lo, s26
	v_lshlrev_b32_e32 v9, 16, v6
	s_delay_alu instid0(VALU_DEP_2) | instskip(SKIP_1) | instid1(VALU_DEP_3)
	v_lshlrev_b32_e32 v8, 20, v8
	v_lshl_add_u32 v5, v5, 23, 0x3c000000
	v_and_b32_e32 v9, 0x80000000, v9
	s_delay_alu instid0(VALU_DEP_1)
	v_or3_b32 v5, v8, v9, v5
.LBB450_3811:                           ;   in Loop: Header=BB450_3110 Depth=1
	s_or_b32 exec_lo, exec_lo, s25
.LBB450_3812:                           ;   in Loop: Header=BB450_3110 Depth=1
	s_delay_alu instid0(SALU_CYCLE_1)
	s_or_b32 exec_lo, exec_lo, s24
.LBB450_3813:                           ;   in Loop: Header=BB450_3110 Depth=1
	s_delay_alu instid0(SALU_CYCLE_1) | instskip(NEXT) | instid1(VALU_DEP_1)
	s_or_b32 exec_lo, exec_lo, s23
	v_mul_f32_e32 v8, v160, v5
	s_delay_alu instid0(VALU_DEP_1) | instskip(NEXT) | instid1(VALU_DEP_1)
	v_and_b32_e32 v5, 0x7f800000, v8
	v_cmp_ne_u32_e64 s9, 0x7f800000, v5
                                        ; implicit-def: $vgpr5
	s_delay_alu instid0(VALU_DEP_1) | instskip(NEXT) | instid1(SALU_CYCLE_1)
	s_and_saveexec_b32 s23, s9
	s_xor_b32 s9, exec_lo, s23
; %bb.3814:                             ;   in Loop: Header=BB450_3110 Depth=1
	v_bfe_u32 v5, v8, 16, 1
	s_delay_alu instid0(VALU_DEP_1)
	v_add3_u32 v5, v8, v5, 0x7fff
                                        ; implicit-def: $vgpr8
; %bb.3815:                             ;   in Loop: Header=BB450_3110 Depth=1
	s_and_not1_saveexec_b32 s23, s9
; %bb.3816:                             ;   in Loop: Header=BB450_3110 Depth=1
	v_and_b32_e32 v5, 0xffff, v8
	v_or_b32_e32 v9, 0x10000, v8
	s_delay_alu instid0(VALU_DEP_2) | instskip(NEXT) | instid1(VALU_DEP_1)
	v_cmp_eq_u32_e64 s9, 0, v5
	v_cndmask_b32_e64 v5, v9, v8, s9
; %bb.3817:                             ;   in Loop: Header=BB450_3110 Depth=1
	s_or_b32 exec_lo, exec_lo, s23
	v_lshrrev_b32_e32 v10, 16, v6
	s_mov_b32 s23, exec_lo
	s_delay_alu instid0(VALU_DEP_1) | instskip(NEXT) | instid1(VALU_DEP_1)
	v_dual_mov_b32 v8, 0 :: v_dual_and_b32 v9, 0xff, v10
	v_cmpx_ne_u16_e32 0, v9
	s_cbranch_execz .LBB450_3825
; %bb.3818:                             ;   in Loop: Header=BB450_3110 Depth=1
	v_bfrev_b32_e32 v8, 1
	s_mov_b32 s24, exec_lo
	v_cmpx_ne_u16_e32 0x80, v9
	s_cbranch_execz .LBB450_3824
; %bb.3819:                             ;   in Loop: Header=BB450_3110 Depth=1
	v_bfe_u32 v9, v6, 16, 7
	v_mov_b32_e32 v8, 0x7f800001
	s_mov_b32 s25, exec_lo
	s_delay_alu instid0(VALU_DEP_2)
	v_cmpx_ne_u32_e32 0x7f, v9
	s_cbranch_execz .LBB450_3823
; %bb.3820:                             ;   in Loop: Header=BB450_3110 Depth=1
	v_and_b32_e32 v12, 7, v10
	v_lshrrev_b32_e32 v11, 3, v9
	v_cmp_gt_u32_e64 s9, 8, v9
	s_delay_alu instid0(VALU_DEP_3) | instskip(NEXT) | instid1(VALU_DEP_2)
	v_dual_mov_b32 v8, v12 :: v_dual_mov_b32 v9, v13
	s_and_saveexec_b32 s26, s9
; %bb.3821:                             ;   in Loop: Header=BB450_3110 Depth=1
	v_clz_i32_u32_e32 v8, v12
	s_delay_alu instid0(VALU_DEP_1) | instskip(NEXT) | instid1(VALU_DEP_1)
	v_min_u32_e32 v11, 32, v8
	v_subrev_nc_u32_e32 v8, 28, v11
	v_sub_nc_u32_e32 v11, 29, v11
	s_delay_alu instid0(VALU_DEP_2) | instskip(NEXT) | instid1(VALU_DEP_1)
	v_lshlrev_b64 v[8:9], v8, v[12:13]
	v_and_b32_e32 v8, 7, v8
; %bb.3822:                             ;   in Loop: Header=BB450_3110 Depth=1
	s_or_b32 exec_lo, exec_lo, s26
	v_lshlrev_b32_e32 v9, 24, v10
	s_delay_alu instid0(VALU_DEP_2) | instskip(SKIP_1) | instid1(VALU_DEP_3)
	v_lshlrev_b32_e32 v8, 20, v8
	v_lshl_add_u32 v10, v11, 23, 0x3c000000
	v_and_b32_e32 v9, 0x80000000, v9
	s_delay_alu instid0(VALU_DEP_1)
	v_or3_b32 v8, v8, v9, v10
.LBB450_3823:                           ;   in Loop: Header=BB450_3110 Depth=1
	s_or_b32 exec_lo, exec_lo, s25
.LBB450_3824:                           ;   in Loop: Header=BB450_3110 Depth=1
	s_delay_alu instid0(SALU_CYCLE_1)
	s_or_b32 exec_lo, exec_lo, s24
.LBB450_3825:                           ;   in Loop: Header=BB450_3110 Depth=1
	s_delay_alu instid0(SALU_CYCLE_1) | instskip(NEXT) | instid1(VALU_DEP_1)
	s_or_b32 exec_lo, exec_lo, s23
	v_mul_f32_e32 v8, v160, v8
                                        ; implicit-def: $vgpr10
	s_delay_alu instid0(VALU_DEP_1) | instskip(NEXT) | instid1(VALU_DEP_1)
	v_and_b32_e32 v9, 0x7f800000, v8
	v_cmp_ne_u32_e64 s9, 0x7f800000, v9
	s_delay_alu instid0(VALU_DEP_1) | instskip(NEXT) | instid1(SALU_CYCLE_1)
	s_and_saveexec_b32 s23, s9
	s_xor_b32 s9, exec_lo, s23
; %bb.3826:                             ;   in Loop: Header=BB450_3110 Depth=1
	v_bfe_u32 v9, v8, 16, 1
	s_delay_alu instid0(VALU_DEP_1)
	v_add3_u32 v10, v8, v9, 0x7fff
                                        ; implicit-def: $vgpr8
; %bb.3827:                             ;   in Loop: Header=BB450_3110 Depth=1
	s_and_not1_saveexec_b32 s23, s9
; %bb.3828:                             ;   in Loop: Header=BB450_3110 Depth=1
	v_and_b32_e32 v9, 0xffff, v8
	v_or_b32_e32 v10, 0x10000, v8
	s_delay_alu instid0(VALU_DEP_2) | instskip(NEXT) | instid1(VALU_DEP_1)
	v_cmp_eq_u32_e64 s9, 0, v9
	v_cndmask_b32_e64 v10, v10, v8, s9
; %bb.3829:                             ;   in Loop: Header=BB450_3110 Depth=1
	s_or_b32 exec_lo, exec_lo, s23
	v_mov_b32_e32 v8, 0
	s_mov_b32 s23, exec_lo
	v_cmpx_lt_u32_e32 0xffffff, v6
	s_cbranch_execz .LBB450_3837
; %bb.3830:                             ;   in Loop: Header=BB450_3110 Depth=1
	v_lshrrev_b32_e32 v11, 24, v6
	v_bfrev_b32_e32 v8, 1
	s_mov_b32 s24, exec_lo
	s_delay_alu instid0(VALU_DEP_2)
	v_cmpx_ne_u32_e32 0x80, v11
	s_cbranch_execz .LBB450_3836
; %bb.3831:                             ;   in Loop: Header=BB450_3110 Depth=1
	v_bfe_u32 v9, v6, 24, 7
	v_mov_b32_e32 v8, 0x7f800001
	s_mov_b32 s25, exec_lo
	s_delay_alu instid0(VALU_DEP_2)
	v_cmpx_ne_u32_e32 0x7f, v9
	s_cbranch_execz .LBB450_3835
; %bb.3832:                             ;   in Loop: Header=BB450_3110 Depth=1
	v_and_b32_e32 v12, 7, v11
	v_lshrrev_b32_e32 v16, 3, v9
	v_cmp_gt_u32_e64 s9, 8, v9
	s_delay_alu instid0(VALU_DEP_3) | instskip(NEXT) | instid1(VALU_DEP_2)
	v_dual_mov_b32 v8, v12 :: v_dual_mov_b32 v9, v13
	s_and_saveexec_b32 s26, s9
; %bb.3833:                             ;   in Loop: Header=BB450_3110 Depth=1
	v_clz_i32_u32_e32 v8, v12
	s_delay_alu instid0(VALU_DEP_1) | instskip(NEXT) | instid1(VALU_DEP_1)
	v_min_u32_e32 v16, 32, v8
	v_subrev_nc_u32_e32 v8, 28, v16
	v_sub_nc_u32_e32 v16, 29, v16
	s_delay_alu instid0(VALU_DEP_2) | instskip(NEXT) | instid1(VALU_DEP_1)
	v_lshlrev_b64 v[8:9], v8, v[12:13]
	v_and_b32_e32 v8, 7, v8
; %bb.3834:                             ;   in Loop: Header=BB450_3110 Depth=1
	s_or_b32 exec_lo, exec_lo, s26
	v_lshlrev_b32_e32 v9, 24, v11
	s_delay_alu instid0(VALU_DEP_2) | instskip(SKIP_1) | instid1(VALU_DEP_3)
	v_lshlrev_b32_e32 v8, 20, v8
	v_lshl_add_u32 v11, v16, 23, 0x3c000000
	v_and_b32_e32 v9, 0x80000000, v9
	s_delay_alu instid0(VALU_DEP_1)
	v_or3_b32 v8, v8, v9, v11
.LBB450_3835:                           ;   in Loop: Header=BB450_3110 Depth=1
	s_or_b32 exec_lo, exec_lo, s25
.LBB450_3836:                           ;   in Loop: Header=BB450_3110 Depth=1
	s_delay_alu instid0(SALU_CYCLE_1)
	s_or_b32 exec_lo, exec_lo, s24
.LBB450_3837:                           ;   in Loop: Header=BB450_3110 Depth=1
	s_delay_alu instid0(SALU_CYCLE_1) | instskip(NEXT) | instid1(VALU_DEP_1)
	s_or_b32 exec_lo, exec_lo, s23
	v_mul_f32_e32 v8, v160, v8
                                        ; implicit-def: $vgpr11
	s_delay_alu instid0(VALU_DEP_1) | instskip(NEXT) | instid1(VALU_DEP_1)
	v_and_b32_e32 v9, 0x7f800000, v8
	v_cmp_ne_u32_e64 s9, 0x7f800000, v9
	s_delay_alu instid0(VALU_DEP_1) | instskip(NEXT) | instid1(SALU_CYCLE_1)
	s_and_saveexec_b32 s23, s9
	s_xor_b32 s9, exec_lo, s23
; %bb.3838:                             ;   in Loop: Header=BB450_3110 Depth=1
	v_bfe_u32 v9, v8, 16, 1
	s_delay_alu instid0(VALU_DEP_1)
	v_add3_u32 v11, v8, v9, 0x7fff
                                        ; implicit-def: $vgpr8
; %bb.3839:                             ;   in Loop: Header=BB450_3110 Depth=1
	s_and_not1_saveexec_b32 s23, s9
; %bb.3840:                             ;   in Loop: Header=BB450_3110 Depth=1
	v_and_b32_e32 v9, 0xffff, v8
	v_or_b32_e32 v11, 0x10000, v8
	s_delay_alu instid0(VALU_DEP_2) | instskip(NEXT) | instid1(VALU_DEP_1)
	v_cmp_eq_u32_e64 s9, 0, v9
	v_cndmask_b32_e64 v11, v11, v8, s9
; %bb.3841:                             ;   in Loop: Header=BB450_3110 Depth=1
	s_or_b32 exec_lo, exec_lo, s23
	v_dual_mov_b32 v12, v7 :: v_dual_and_b32 v9, 0xff, v7
	v_mov_b32_e32 v8, 0
	s_mov_b32 s23, exec_lo
	s_delay_alu instid0(VALU_DEP_2)
	v_cmpx_ne_u16_e32 0, v9
	s_cbranch_execz .LBB450_3849
; %bb.3842:                             ;   in Loop: Header=BB450_3110 Depth=1
	v_bfrev_b32_e32 v8, 1
	s_mov_b32 s24, exec_lo
	v_cmpx_ne_u16_e32 0x80, v9
	s_cbranch_execz .LBB450_3848
; %bb.3843:                             ;   in Loop: Header=BB450_3110 Depth=1
	v_and_b32_e32 v9, 0x7f, v7
	v_mov_b32_e32 v8, 0x7f800001
	s_mov_b32 s25, exec_lo
	s_delay_alu instid0(VALU_DEP_2)
	v_cmpx_ne_u32_e32 0x7f, v9
	s_cbranch_execz .LBB450_3847
; %bb.3844:                             ;   in Loop: Header=BB450_3110 Depth=1
	v_lshrrev_b32_e32 v16, 3, v9
	v_cmp_gt_u32_e64 s9, 8, v9
	v_dual_mov_b32 v8, v12 :: v_dual_mov_b32 v9, v13
	s_delay_alu instid0(VALU_DEP_2)
	s_and_saveexec_b32 s26, s9
; %bb.3845:                             ;   in Loop: Header=BB450_3110 Depth=1
	v_and_b32_e32 v8, 7, v7
	s_delay_alu instid0(VALU_DEP_1) | instskip(NEXT) | instid1(VALU_DEP_1)
	v_clz_i32_u32_e32 v8, v8
	v_min_u32_e32 v16, 32, v8
	s_delay_alu instid0(VALU_DEP_1) | instskip(SKIP_1) | instid1(VALU_DEP_2)
	v_subrev_nc_u32_e32 v8, 28, v16
	v_sub_nc_u32_e32 v16, 29, v16
	v_lshlrev_b64 v[8:9], v8, v[12:13]
; %bb.3846:                             ;   in Loop: Header=BB450_3110 Depth=1
	s_or_b32 exec_lo, exec_lo, s26
	s_delay_alu instid0(VALU_DEP_1) | instskip(SKIP_2) | instid1(VALU_DEP_3)
	v_lshlrev_b32_e32 v8, 20, v8
	v_lshlrev_b32_e32 v9, 24, v12
	v_lshl_add_u32 v16, v16, 23, 0x3c000000
	v_and_b32_e32 v8, 0x700000, v8
	s_delay_alu instid0(VALU_DEP_3) | instskip(NEXT) | instid1(VALU_DEP_1)
	v_and_b32_e32 v9, 0x80000000, v9
	v_or3_b32 v8, v8, v9, v16
.LBB450_3847:                           ;   in Loop: Header=BB450_3110 Depth=1
	s_or_b32 exec_lo, exec_lo, s25
.LBB450_3848:                           ;   in Loop: Header=BB450_3110 Depth=1
	s_delay_alu instid0(SALU_CYCLE_1)
	s_or_b32 exec_lo, exec_lo, s24
.LBB450_3849:                           ;   in Loop: Header=BB450_3110 Depth=1
	s_delay_alu instid0(SALU_CYCLE_1) | instskip(NEXT) | instid1(VALU_DEP_1)
	s_or_b32 exec_lo, exec_lo, s23
	v_mul_f32_e32 v8, v160, v8
                                        ; implicit-def: $vgpr16
	s_delay_alu instid0(VALU_DEP_1) | instskip(NEXT) | instid1(VALU_DEP_1)
	v_and_b32_e32 v9, 0x7f800000, v8
	v_cmp_ne_u32_e64 s9, 0x7f800000, v9
	s_delay_alu instid0(VALU_DEP_1) | instskip(NEXT) | instid1(SALU_CYCLE_1)
	s_and_saveexec_b32 s23, s9
	s_xor_b32 s9, exec_lo, s23
; %bb.3850:                             ;   in Loop: Header=BB450_3110 Depth=1
	v_bfe_u32 v9, v8, 16, 1
	s_delay_alu instid0(VALU_DEP_1)
	v_add3_u32 v16, v8, v9, 0x7fff
                                        ; implicit-def: $vgpr8
; %bb.3851:                             ;   in Loop: Header=BB450_3110 Depth=1
	s_and_not1_saveexec_b32 s23, s9
; %bb.3852:                             ;   in Loop: Header=BB450_3110 Depth=1
	v_and_b32_e32 v9, 0xffff, v8
	v_or_b32_e32 v16, 0x10000, v8
	s_delay_alu instid0(VALU_DEP_2) | instskip(NEXT) | instid1(VALU_DEP_1)
	v_cmp_eq_u32_e64 s9, 0, v9
	v_cndmask_b32_e64 v16, v16, v8, s9
; %bb.3853:                             ;   in Loop: Header=BB450_3110 Depth=1
	s_or_b32 exec_lo, exec_lo, s23
	v_lshrrev_b16 v9, 8, v12
	v_mov_b32_e32 v8, 0
	s_mov_b32 s23, exec_lo
	s_delay_alu instid0(VALU_DEP_2)
	v_cmpx_ne_u16_e32 0, v9
	s_cbranch_execz .LBB450_3861
; %bb.3854:                             ;   in Loop: Header=BB450_3110 Depth=1
	v_bfrev_b32_e32 v8, 1
	s_mov_b32 s24, exec_lo
	v_cmpx_ne_u16_e32 0x80, v9
	s_cbranch_execz .LBB450_3860
; %bb.3855:                             ;   in Loop: Header=BB450_3110 Depth=1
	v_and_b32_e32 v9, 0xffff, v9
	v_mov_b32_e32 v8, 0x7f800001
	s_mov_b32 s25, exec_lo
	s_delay_alu instid0(VALU_DEP_2) | instskip(NEXT) | instid1(VALU_DEP_1)
	v_and_b32_e32 v19, 0x7f, v9
	v_cmpx_ne_u32_e32 0x7f, v19
	s_cbranch_execz .LBB450_3859
; %bb.3856:                             ;   in Loop: Header=BB450_3110 Depth=1
	v_dual_mov_b32 v9, v13 :: v_dual_and_b32 v8, 7, v9
	v_lshrrev_b32_e32 v18, 3, v19
	s_mov_b32 s26, exec_lo
	v_cmpx_gt_u32_e32 8, v19
; %bb.3857:                             ;   in Loop: Header=BB450_3110 Depth=1
	s_delay_alu instid0(VALU_DEP_3) | instskip(NEXT) | instid1(VALU_DEP_1)
	v_clz_i32_u32_e32 v18, v8
	v_min_u32_e32 v18, 32, v18
	s_delay_alu instid0(VALU_DEP_1) | instskip(SKIP_1) | instid1(VALU_DEP_2)
	v_subrev_nc_u32_e32 v19, 28, v18
	v_sub_nc_u32_e32 v18, 29, v18
	v_lshlrev_b64 v[8:9], v19, v[8:9]
	s_delay_alu instid0(VALU_DEP_1)
	v_and_b32_e32 v8, 7, v8
; %bb.3858:                             ;   in Loop: Header=BB450_3110 Depth=1
	s_or_b32 exec_lo, exec_lo, s26
	v_lshlrev_b32_e32 v9, 16, v12
	s_delay_alu instid0(VALU_DEP_2) | instskip(SKIP_1) | instid1(VALU_DEP_3)
	v_lshlrev_b32_e32 v8, 20, v8
	v_lshl_add_u32 v12, v18, 23, 0x3c000000
	v_and_b32_e32 v9, 0x80000000, v9
	s_delay_alu instid0(VALU_DEP_1)
	v_or3_b32 v8, v8, v9, v12
.LBB450_3859:                           ;   in Loop: Header=BB450_3110 Depth=1
	s_or_b32 exec_lo, exec_lo, s25
.LBB450_3860:                           ;   in Loop: Header=BB450_3110 Depth=1
	s_delay_alu instid0(SALU_CYCLE_1)
	s_or_b32 exec_lo, exec_lo, s24
.LBB450_3861:                           ;   in Loop: Header=BB450_3110 Depth=1
	s_delay_alu instid0(SALU_CYCLE_1) | instskip(NEXT) | instid1(VALU_DEP_1)
	s_or_b32 exec_lo, exec_lo, s23
	v_mul_f32_e32 v8, v160, v8
                                        ; implicit-def: $vgpr18
	s_delay_alu instid0(VALU_DEP_1) | instskip(NEXT) | instid1(VALU_DEP_1)
	v_and_b32_e32 v9, 0x7f800000, v8
	v_cmp_ne_u32_e64 s9, 0x7f800000, v9
	s_delay_alu instid0(VALU_DEP_1) | instskip(NEXT) | instid1(SALU_CYCLE_1)
	s_and_saveexec_b32 s23, s9
	s_xor_b32 s9, exec_lo, s23
; %bb.3862:                             ;   in Loop: Header=BB450_3110 Depth=1
	v_bfe_u32 v9, v8, 16, 1
	s_delay_alu instid0(VALU_DEP_1)
	v_add3_u32 v18, v8, v9, 0x7fff
                                        ; implicit-def: $vgpr8
; %bb.3863:                             ;   in Loop: Header=BB450_3110 Depth=1
	s_and_not1_saveexec_b32 s23, s9
; %bb.3864:                             ;   in Loop: Header=BB450_3110 Depth=1
	v_and_b32_e32 v9, 0xffff, v8
	v_or_b32_e32 v12, 0x10000, v8
	s_delay_alu instid0(VALU_DEP_2) | instskip(NEXT) | instid1(VALU_DEP_1)
	v_cmp_eq_u32_e64 s9, 0, v9
	v_cndmask_b32_e64 v18, v12, v8, s9
; %bb.3865:                             ;   in Loop: Header=BB450_3110 Depth=1
	s_or_b32 exec_lo, exec_lo, s23
	v_lshrrev_b32_e32 v19, 16, v7
	s_mov_b32 s23, exec_lo
	s_delay_alu instid0(VALU_DEP_1) | instskip(NEXT) | instid1(VALU_DEP_1)
	v_dual_mov_b32 v8, 0 :: v_dual_and_b32 v9, 0xff, v19
	v_cmpx_ne_u16_e32 0, v9
	s_cbranch_execz .LBB450_3873
; %bb.3866:                             ;   in Loop: Header=BB450_3110 Depth=1
	v_bfrev_b32_e32 v8, 1
	s_mov_b32 s24, exec_lo
	v_cmpx_ne_u16_e32 0x80, v9
	s_cbranch_execz .LBB450_3872
; %bb.3867:                             ;   in Loop: Header=BB450_3110 Depth=1
	v_bfe_u32 v9, v7, 16, 7
	v_mov_b32_e32 v8, 0x7f800001
	s_mov_b32 s25, exec_lo
	s_delay_alu instid0(VALU_DEP_2)
	v_cmpx_ne_u32_e32 0x7f, v9
	s_cbranch_execz .LBB450_3871
; %bb.3868:                             ;   in Loop: Header=BB450_3110 Depth=1
	v_and_b32_e32 v12, 7, v19
	v_lshrrev_b32_e32 v20, 3, v9
	v_cmp_gt_u32_e64 s9, 8, v9
	s_delay_alu instid0(VALU_DEP_3) | instskip(NEXT) | instid1(VALU_DEP_2)
	v_dual_mov_b32 v8, v12 :: v_dual_mov_b32 v9, v13
	s_and_saveexec_b32 s26, s9
; %bb.3869:                             ;   in Loop: Header=BB450_3110 Depth=1
	v_clz_i32_u32_e32 v8, v12
	s_delay_alu instid0(VALU_DEP_1) | instskip(NEXT) | instid1(VALU_DEP_1)
	v_min_u32_e32 v20, 32, v8
	v_subrev_nc_u32_e32 v8, 28, v20
	v_sub_nc_u32_e32 v20, 29, v20
	s_delay_alu instid0(VALU_DEP_2) | instskip(NEXT) | instid1(VALU_DEP_1)
	v_lshlrev_b64 v[8:9], v8, v[12:13]
	v_and_b32_e32 v8, 7, v8
; %bb.3870:                             ;   in Loop: Header=BB450_3110 Depth=1
	s_or_b32 exec_lo, exec_lo, s26
	v_lshlrev_b32_e32 v9, 24, v19
	s_delay_alu instid0(VALU_DEP_2) | instskip(SKIP_1) | instid1(VALU_DEP_3)
	v_lshlrev_b32_e32 v8, 20, v8
	v_lshl_add_u32 v12, v20, 23, 0x3c000000
	v_and_b32_e32 v9, 0x80000000, v9
	s_delay_alu instid0(VALU_DEP_1)
	v_or3_b32 v8, v8, v9, v12
.LBB450_3871:                           ;   in Loop: Header=BB450_3110 Depth=1
	s_or_b32 exec_lo, exec_lo, s25
.LBB450_3872:                           ;   in Loop: Header=BB450_3110 Depth=1
	s_delay_alu instid0(SALU_CYCLE_1)
	s_or_b32 exec_lo, exec_lo, s24
.LBB450_3873:                           ;   in Loop: Header=BB450_3110 Depth=1
	s_delay_alu instid0(SALU_CYCLE_1) | instskip(NEXT) | instid1(VALU_DEP_1)
	s_or_b32 exec_lo, exec_lo, s23
	v_mul_f32_e32 v8, v160, v8
	s_delay_alu instid0(VALU_DEP_1) | instskip(NEXT) | instid1(VALU_DEP_1)
	v_and_b32_e32 v9, 0x7f800000, v8
	v_cmp_ne_u32_e64 s9, 0x7f800000, v9
                                        ; implicit-def: $vgpr9
	s_delay_alu instid0(VALU_DEP_1) | instskip(NEXT) | instid1(SALU_CYCLE_1)
	s_and_saveexec_b32 s23, s9
	s_xor_b32 s9, exec_lo, s23
; %bb.3874:                             ;   in Loop: Header=BB450_3110 Depth=1
	v_bfe_u32 v9, v8, 16, 1
	s_delay_alu instid0(VALU_DEP_1)
	v_add3_u32 v9, v8, v9, 0x7fff
                                        ; implicit-def: $vgpr8
; %bb.3875:                             ;   in Loop: Header=BB450_3110 Depth=1
	s_and_not1_saveexec_b32 s23, s9
; %bb.3876:                             ;   in Loop: Header=BB450_3110 Depth=1
	v_and_b32_e32 v9, 0xffff, v8
	v_or_b32_e32 v12, 0x10000, v8
	s_delay_alu instid0(VALU_DEP_2) | instskip(NEXT) | instid1(VALU_DEP_1)
	v_cmp_eq_u32_e64 s9, 0, v9
	v_cndmask_b32_e64 v9, v12, v8, s9
; %bb.3877:                             ;   in Loop: Header=BB450_3110 Depth=1
	s_or_b32 exec_lo, exec_lo, s23
	v_cmp_lt_u64_e64 s9, s[18:19], v[6:7]
	v_mov_b32_e32 v6, 0
	s_delay_alu instid0(VALU_DEP_2)
	s_and_saveexec_b32 s23, s9
	s_cbranch_execz .LBB450_3885
; %bb.3878:                             ;   in Loop: Header=BB450_3110 Depth=1
	v_lshrrev_b32_e32 v8, 24, v7
	v_bfrev_b32_e32 v6, 1
	s_mov_b32 s24, exec_lo
	s_delay_alu instid0(VALU_DEP_2)
	v_cmpx_ne_u32_e32 0x80, v8
	s_cbranch_execz .LBB450_3884
; %bb.3879:                             ;   in Loop: Header=BB450_3110 Depth=1
	v_bfe_u32 v7, v7, 24, 7
	v_mov_b32_e32 v6, 0x7f800001
	s_mov_b32 s25, exec_lo
	s_delay_alu instid0(VALU_DEP_2)
	v_cmpx_ne_u32_e32 0x7f, v7
	s_cbranch_execz .LBB450_3883
; %bb.3880:                             ;   in Loop: Header=BB450_3110 Depth=1
	v_and_b32_e32 v12, 7, v8
	v_lshrrev_b32_e32 v19, 3, v7
	v_cmp_gt_u32_e64 s9, 8, v7
	s_delay_alu instid0(VALU_DEP_3) | instskip(NEXT) | instid1(VALU_DEP_2)
	v_dual_mov_b32 v6, v12 :: v_dual_mov_b32 v7, v13
	s_and_saveexec_b32 s26, s9
; %bb.3881:                             ;   in Loop: Header=BB450_3110 Depth=1
	v_clz_i32_u32_e32 v6, v12
	s_delay_alu instid0(VALU_DEP_1) | instskip(NEXT) | instid1(VALU_DEP_1)
	v_min_u32_e32 v19, 32, v6
	v_subrev_nc_u32_e32 v6, 28, v19
	v_sub_nc_u32_e32 v19, 29, v19
	s_delay_alu instid0(VALU_DEP_2) | instskip(NEXT) | instid1(VALU_DEP_1)
	v_lshlrev_b64 v[6:7], v6, v[12:13]
	v_and_b32_e32 v6, 7, v6
; %bb.3882:                             ;   in Loop: Header=BB450_3110 Depth=1
	s_or_b32 exec_lo, exec_lo, s26
	v_lshlrev_b32_e32 v7, 24, v8
	s_delay_alu instid0(VALU_DEP_2) | instskip(SKIP_1) | instid1(VALU_DEP_3)
	v_lshlrev_b32_e32 v6, 20, v6
	v_lshl_add_u32 v8, v19, 23, 0x3c000000
	v_and_b32_e32 v7, 0x80000000, v7
	s_delay_alu instid0(VALU_DEP_1)
	v_or3_b32 v6, v6, v7, v8
.LBB450_3883:                           ;   in Loop: Header=BB450_3110 Depth=1
	s_or_b32 exec_lo, exec_lo, s25
.LBB450_3884:                           ;   in Loop: Header=BB450_3110 Depth=1
	s_delay_alu instid0(SALU_CYCLE_1)
	s_or_b32 exec_lo, exec_lo, s24
.LBB450_3885:                           ;   in Loop: Header=BB450_3110 Depth=1
	s_delay_alu instid0(SALU_CYCLE_1) | instskip(NEXT) | instid1(VALU_DEP_1)
	s_or_b32 exec_lo, exec_lo, s23
	v_mul_f32_e32 v6, v160, v6
                                        ; implicit-def: $vgpr19
	s_delay_alu instid0(VALU_DEP_1) | instskip(NEXT) | instid1(VALU_DEP_1)
	v_and_b32_e32 v7, 0x7f800000, v6
	v_cmp_ne_u32_e64 s9, 0x7f800000, v7
	s_delay_alu instid0(VALU_DEP_1) | instskip(NEXT) | instid1(SALU_CYCLE_1)
	s_and_saveexec_b32 s23, s9
	s_xor_b32 s9, exec_lo, s23
; %bb.3886:                             ;   in Loop: Header=BB450_3110 Depth=1
	v_bfe_u32 v7, v6, 16, 1
	s_delay_alu instid0(VALU_DEP_1)
	v_add3_u32 v19, v6, v7, 0x7fff
                                        ; implicit-def: $vgpr6
; %bb.3887:                             ;   in Loop: Header=BB450_3110 Depth=1
	s_and_not1_saveexec_b32 s23, s9
; %bb.3888:                             ;   in Loop: Header=BB450_3110 Depth=1
	v_and_b32_e32 v7, 0xffff, v6
	v_or_b32_e32 v8, 0x10000, v6
	s_delay_alu instid0(VALU_DEP_2) | instskip(NEXT) | instid1(VALU_DEP_1)
	v_cmp_eq_u32_e64 s9, 0, v7
	v_cndmask_b32_e64 v19, v8, v6, s9
; %bb.3889:                             ;   in Loop: Header=BB450_3110 Depth=1
	s_or_b32 exec_lo, exec_lo, s23
	v_lshrrev_b32_e32 v6, 16, v18
	v_lshrrev_b32_e32 v7, 16, v16
	;; [unrolled: 1-line block ×8, first 2 shown]
	s_and_saveexec_b32 s9, s1
; %bb.3890:                             ;   in Loop: Header=BB450_3110 Depth=1
	s_delay_alu instid0(VALU_DEP_3)
	v_cndmask_b32_e32 v12, 0, v12, vcc_lo
	v_cndmask_b32_e64 v11, 0, v11, s2
	v_cndmask_b32_e64 v10, 0, v10, s3
	;; [unrolled: 1-line block ×7, first 2 shown]
; %bb.3891:                             ;   in Loop: Header=BB450_3110 Depth=1
	s_or_b32 exec_lo, exec_lo, s9
	v_lshlrev_b32_e32 v9, 16, v12
	s_delay_alu instid0(VALU_DEP_1) | instskip(NEXT) | instid1(VALU_DEP_1)
	v_mul_f32_e32 v9, v161, v9
	v_and_b32_e32 v12, 0x7f800000, v9
	s_delay_alu instid0(VALU_DEP_1) | instskip(NEXT) | instid1(VALU_DEP_1)
	v_cmp_ne_u32_e64 s9, 0x7f800000, v12
                                        ; implicit-def: $vgpr12
                                        ; kill: killed $vgpr12
	s_and_saveexec_b32 s23, s9
	s_delay_alu instid0(SALU_CYCLE_1)
	s_xor_b32 s9, exec_lo, s23
	s_cbranch_execz .LBB450_3893
; %bb.3892:                             ;   in Loop: Header=BB450_3110 Depth=1
	v_bfe_u32 v12, v9, 16, 1
	s_delay_alu instid0(VALU_DEP_1)
	v_add3_u32 v9, v9, v12, 0x7fff
	scratch_store_b32 off, v9, s32 offset:644 ; 4-byte Folded Spill
                                        ; implicit-def: $vgpr9
.LBB450_3893:                           ;   in Loop: Header=BB450_3110 Depth=1
	s_and_not1_saveexec_b32 s23, s9
	s_cbranch_execz .LBB450_3895
; %bb.3894:                             ;   in Loop: Header=BB450_3110 Depth=1
	v_and_b32_e32 v12, 0xffff, v9
	v_or_b32_e32 v16, 0x10000, v9
	s_delay_alu instid0(VALU_DEP_2) | instskip(NEXT) | instid1(VALU_DEP_1)
	v_cmp_eq_u32_e64 s9, 0, v12
	v_cndmask_b32_e64 v9, v16, v9, s9
	scratch_store_b32 off, v9, s32 offset:644 ; 4-byte Folded Spill
.LBB450_3895:                           ;   in Loop: Header=BB450_3110 Depth=1
	s_or_b32 exec_lo, exec_lo, s23
	v_lshlrev_b32_e32 v9, 16, v11
	s_delay_alu instid0(VALU_DEP_1) | instskip(NEXT) | instid1(VALU_DEP_1)
	v_mul_f32_e32 v9, v162, v9
	v_and_b32_e32 v11, 0x7f800000, v9
	s_delay_alu instid0(VALU_DEP_1) | instskip(NEXT) | instid1(VALU_DEP_1)
	v_cmp_ne_u32_e64 s9, 0x7f800000, v11
                                        ; implicit-def: $vgpr11
                                        ; kill: killed $vgpr11
	s_and_saveexec_b32 s23, s9
	s_delay_alu instid0(SALU_CYCLE_1)
	s_xor_b32 s9, exec_lo, s23
	s_cbranch_execz .LBB450_3897
; %bb.3896:                             ;   in Loop: Header=BB450_3110 Depth=1
	v_bfe_u32 v11, v9, 16, 1
	s_delay_alu instid0(VALU_DEP_1)
	v_add3_u32 v9, v9, v11, 0x7fff
	scratch_store_b32 off, v9, s32 offset:648 ; 4-byte Folded Spill
                                        ; implicit-def: $vgpr9
.LBB450_3897:                           ;   in Loop: Header=BB450_3110 Depth=1
	s_and_not1_saveexec_b32 s23, s9
	s_cbranch_execz .LBB450_3899
; %bb.3898:                             ;   in Loop: Header=BB450_3110 Depth=1
	v_and_b32_e32 v11, 0xffff, v9
	v_or_b32_e32 v12, 0x10000, v9
	s_delay_alu instid0(VALU_DEP_2) | instskip(NEXT) | instid1(VALU_DEP_1)
	v_cmp_eq_u32_e64 s9, 0, v11
	v_cndmask_b32_e64 v9, v12, v9, s9
	scratch_store_b32 off, v9, s32 offset:648 ; 4-byte Folded Spill
.LBB450_3899:                           ;   in Loop: Header=BB450_3110 Depth=1
	s_or_b32 exec_lo, exec_lo, s23
	v_lshlrev_b32_e32 v9, 16, v10
	s_delay_alu instid0(VALU_DEP_1) | instskip(NEXT) | instid1(VALU_DEP_1)
	v_mul_f32_e32 v9, v163, v9
	v_and_b32_e32 v10, 0x7f800000, v9
	s_delay_alu instid0(VALU_DEP_1) | instskip(NEXT) | instid1(VALU_DEP_1)
	v_cmp_ne_u32_e64 s9, 0x7f800000, v10
                                        ; implicit-def: $vgpr10
                                        ; kill: killed $vgpr10
	s_and_saveexec_b32 s23, s9
	s_delay_alu instid0(SALU_CYCLE_1)
	s_xor_b32 s9, exec_lo, s23
	s_cbranch_execz .LBB450_3901
; %bb.3900:                             ;   in Loop: Header=BB450_3110 Depth=1
	v_bfe_u32 v10, v9, 16, 1
	s_delay_alu instid0(VALU_DEP_1)
	v_add3_u32 v9, v9, v10, 0x7fff
	scratch_store_b32 off, v9, s32 offset:652 ; 4-byte Folded Spill
                                        ; implicit-def: $vgpr9
.LBB450_3901:                           ;   in Loop: Header=BB450_3110 Depth=1
	s_and_not1_saveexec_b32 s23, s9
	s_cbranch_execz .LBB450_3903
; %bb.3902:                             ;   in Loop: Header=BB450_3110 Depth=1
	v_and_b32_e32 v10, 0xffff, v9
	v_or_b32_e32 v11, 0x10000, v9
	s_delay_alu instid0(VALU_DEP_2) | instskip(NEXT) | instid1(VALU_DEP_1)
	v_cmp_eq_u32_e64 s9, 0, v10
	v_cndmask_b32_e64 v9, v11, v9, s9
	scratch_store_b32 off, v9, s32 offset:652 ; 4-byte Folded Spill
.LBB450_3903:                           ;   in Loop: Header=BB450_3110 Depth=1
	s_or_b32 exec_lo, exec_lo, s23
	v_lshlrev_b32_e32 v8, 16, v8
	s_delay_alu instid0(VALU_DEP_1) | instskip(NEXT) | instid1(VALU_DEP_1)
	v_mul_f32_e32 v8, v164, v8
	v_and_b32_e32 v9, 0x7f800000, v8
	s_delay_alu instid0(VALU_DEP_1) | instskip(NEXT) | instid1(VALU_DEP_1)
	v_cmp_ne_u32_e64 s9, 0x7f800000, v9
                                        ; implicit-def: $vgpr9
                                        ; kill: killed $vgpr9
	s_and_saveexec_b32 s23, s9
	s_delay_alu instid0(SALU_CYCLE_1)
	s_xor_b32 s9, exec_lo, s23
	s_cbranch_execz .LBB450_3905
; %bb.3904:                             ;   in Loop: Header=BB450_3110 Depth=1
	v_bfe_u32 v9, v8, 16, 1
	s_delay_alu instid0(VALU_DEP_1)
	v_add3_u32 v8, v8, v9, 0x7fff
	scratch_store_b32 off, v8, s32 offset:656 ; 4-byte Folded Spill
                                        ; implicit-def: $vgpr8
.LBB450_3905:                           ;   in Loop: Header=BB450_3110 Depth=1
	s_and_not1_saveexec_b32 s23, s9
	s_cbranch_execz .LBB450_3907
; %bb.3906:                             ;   in Loop: Header=BB450_3110 Depth=1
	v_and_b32_e32 v9, 0xffff, v8
	v_or_b32_e32 v10, 0x10000, v8
	s_delay_alu instid0(VALU_DEP_2) | instskip(NEXT) | instid1(VALU_DEP_1)
	v_cmp_eq_u32_e64 s9, 0, v9
	v_cndmask_b32_e64 v8, v10, v8, s9
	scratch_store_b32 off, v8, s32 offset:656 ; 4-byte Folded Spill
.LBB450_3907:                           ;   in Loop: Header=BB450_3110 Depth=1
	s_or_b32 exec_lo, exec_lo, s23
	v_lshlrev_b32_e32 v7, 16, v7
	s_delay_alu instid0(VALU_DEP_1) | instskip(NEXT) | instid1(VALU_DEP_1)
	v_mul_f32_e32 v7, v165, v7
	v_and_b32_e32 v8, 0x7f800000, v7
	s_delay_alu instid0(VALU_DEP_1) | instskip(NEXT) | instid1(VALU_DEP_1)
	v_cmp_ne_u32_e64 s9, 0x7f800000, v8
                                        ; implicit-def: $vgpr8
                                        ; kill: killed $vgpr8
	s_and_saveexec_b32 s23, s9
	s_delay_alu instid0(SALU_CYCLE_1)
	s_xor_b32 s9, exec_lo, s23
	s_cbranch_execz .LBB450_3909
; %bb.3908:                             ;   in Loop: Header=BB450_3110 Depth=1
	v_bfe_u32 v8, v7, 16, 1
	s_delay_alu instid0(VALU_DEP_1)
	v_add3_u32 v7, v7, v8, 0x7fff
	scratch_store_b32 off, v7, s32 offset:660 ; 4-byte Folded Spill
                                        ; implicit-def: $vgpr7
.LBB450_3909:                           ;   in Loop: Header=BB450_3110 Depth=1
	s_and_not1_saveexec_b32 s23, s9
	s_cbranch_execz .LBB450_3911
; %bb.3910:                             ;   in Loop: Header=BB450_3110 Depth=1
	v_and_b32_e32 v8, 0xffff, v7
	v_or_b32_e32 v9, 0x10000, v7
	s_delay_alu instid0(VALU_DEP_2) | instskip(NEXT) | instid1(VALU_DEP_1)
	v_cmp_eq_u32_e64 s9, 0, v8
	v_cndmask_b32_e64 v7, v9, v7, s9
	scratch_store_b32 off, v7, s32 offset:660 ; 4-byte Folded Spill
.LBB450_3911:                           ;   in Loop: Header=BB450_3110 Depth=1
	s_or_b32 exec_lo, exec_lo, s23
	v_lshlrev_b32_e32 v6, 16, v6
	s_delay_alu instid0(VALU_DEP_1) | instskip(NEXT) | instid1(VALU_DEP_1)
	v_mul_f32_e32 v6, v166, v6
	v_and_b32_e32 v7, 0x7f800000, v6
	s_delay_alu instid0(VALU_DEP_1) | instskip(NEXT) | instid1(VALU_DEP_1)
	v_cmp_ne_u32_e64 s9, 0x7f800000, v7
                                        ; implicit-def: $vgpr7
                                        ; kill: killed $vgpr7
	s_and_saveexec_b32 s23, s9
	s_delay_alu instid0(SALU_CYCLE_1)
	s_xor_b32 s9, exec_lo, s23
	s_cbranch_execz .LBB450_3913
; %bb.3912:                             ;   in Loop: Header=BB450_3110 Depth=1
	v_bfe_u32 v7, v6, 16, 1
	s_delay_alu instid0(VALU_DEP_1)
	v_add3_u32 v6, v6, v7, 0x7fff
	scratch_store_b32 off, v6, s32 offset:664 ; 4-byte Folded Spill
                                        ; implicit-def: $vgpr6
.LBB450_3913:                           ;   in Loop: Header=BB450_3110 Depth=1
	s_and_not1_saveexec_b32 s23, s9
	s_cbranch_execz .LBB450_3915
; %bb.3914:                             ;   in Loop: Header=BB450_3110 Depth=1
	v_and_b32_e32 v7, 0xffff, v6
	v_or_b32_e32 v8, 0x10000, v6
	s_delay_alu instid0(VALU_DEP_2) | instskip(NEXT) | instid1(VALU_DEP_1)
	v_cmp_eq_u32_e64 s9, 0, v7
	v_cndmask_b32_e64 v6, v8, v6, s9
	scratch_store_b32 off, v6, s32 offset:664 ; 4-byte Folded Spill
.LBB450_3915:                           ;   in Loop: Header=BB450_3110 Depth=1
	s_or_b32 exec_lo, exec_lo, s23
	v_lshlrev_b32_e32 v5, 16, v5
	s_delay_alu instid0(VALU_DEP_1) | instskip(NEXT) | instid1(VALU_DEP_1)
	v_mul_f32_e32 v5, v167, v5
	v_and_b32_e32 v6, 0x7f800000, v5
	s_delay_alu instid0(VALU_DEP_1) | instskip(NEXT) | instid1(VALU_DEP_1)
	v_cmp_ne_u32_e64 s9, 0x7f800000, v6
                                        ; implicit-def: $vgpr6
                                        ; kill: killed $vgpr6
	s_and_saveexec_b32 s23, s9
	s_delay_alu instid0(SALU_CYCLE_1)
	s_xor_b32 s9, exec_lo, s23
	s_cbranch_execz .LBB450_3917
; %bb.3916:                             ;   in Loop: Header=BB450_3110 Depth=1
	v_bfe_u32 v6, v5, 16, 1
	s_delay_alu instid0(VALU_DEP_1)
	v_add3_u32 v5, v5, v6, 0x7fff
	scratch_store_b32 off, v5, s32 offset:668 ; 4-byte Folded Spill
                                        ; implicit-def: $vgpr5
.LBB450_3917:                           ;   in Loop: Header=BB450_3110 Depth=1
	s_and_not1_saveexec_b32 s23, s9
	s_cbranch_execz .LBB450_3919
; %bb.3918:                             ;   in Loop: Header=BB450_3110 Depth=1
	v_and_b32_e32 v6, 0xffff, v5
	v_or_b32_e32 v7, 0x10000, v5
	s_delay_alu instid0(VALU_DEP_2) | instskip(NEXT) | instid1(VALU_DEP_1)
	v_cmp_eq_u32_e64 s9, 0, v6
	v_cndmask_b32_e64 v5, v7, v5, s9
	scratch_store_b32 off, v5, s32 offset:668 ; 4-byte Folded Spill
.LBB450_3919:                           ;   in Loop: Header=BB450_3110 Depth=1
	s_or_b32 exec_lo, exec_lo, s23
	v_lshlrev_b32_e32 v4, 16, v4
	s_delay_alu instid0(VALU_DEP_1) | instskip(NEXT) | instid1(VALU_DEP_1)
	v_mul_f32_e32 v4, v176, v4
	v_and_b32_e32 v5, 0x7f800000, v4
	s_delay_alu instid0(VALU_DEP_1) | instskip(NEXT) | instid1(VALU_DEP_1)
	v_cmp_ne_u32_e64 s9, 0x7f800000, v5
                                        ; implicit-def: $vgpr5
                                        ; kill: killed $vgpr5
	s_and_saveexec_b32 s23, s9
	s_delay_alu instid0(SALU_CYCLE_1)
	s_xor_b32 s9, exec_lo, s23
	s_cbranch_execz .LBB450_3921
; %bb.3920:                             ;   in Loop: Header=BB450_3110 Depth=1
	v_bfe_u32 v5, v4, 16, 1
	s_delay_alu instid0(VALU_DEP_1)
	v_add3_u32 v4, v4, v5, 0x7fff
	scratch_store_b32 off, v4, s32 offset:672 ; 4-byte Folded Spill
                                        ; implicit-def: $vgpr4
.LBB450_3921:                           ;   in Loop: Header=BB450_3110 Depth=1
	s_and_not1_saveexec_b32 s23, s9
	s_cbranch_execz .LBB450_3923
; %bb.3922:                             ;   in Loop: Header=BB450_3110 Depth=1
	v_and_b32_e32 v5, 0xffff, v4
	v_or_b32_e32 v6, 0x10000, v4
	s_delay_alu instid0(VALU_DEP_2) | instskip(NEXT) | instid1(VALU_DEP_1)
	v_cmp_eq_u32_e64 s9, 0, v5
	v_cndmask_b32_e64 v4, v6, v4, s9
	scratch_store_b32 off, v4, s32 offset:672 ; 4-byte Folded Spill
.LBB450_3923:                           ;   in Loop: Header=BB450_3110 Depth=1
	s_or_b32 exec_lo, exec_lo, s23
	flat_load_b64 v[6:7], v[2:3] offset:1536
	s_mov_b32 s23, exec_lo
	s_waitcnt vmcnt(0) lgkmcnt(0)
	v_dual_mov_b32 v4, 0 :: v_dual_and_b32 v5, 0xff, v6
	s_delay_alu instid0(VALU_DEP_1)
	v_cmpx_ne_u16_e32 0, v5
	s_cbranch_execz .LBB450_3931
; %bb.3924:                             ;   in Loop: Header=BB450_3110 Depth=1
	v_bfrev_b32_e32 v4, 1
	s_mov_b32 s24, exec_lo
	v_cmpx_ne_u16_e32 0x80, v5
	s_cbranch_execz .LBB450_3930
; %bb.3925:                             ;   in Loop: Header=BB450_3110 Depth=1
	v_and_b32_e32 v5, 0x7f, v6
	v_mov_b32_e32 v4, 0x7f800001
	s_mov_b32 s25, exec_lo
	s_delay_alu instid0(VALU_DEP_2)
	v_cmpx_ne_u32_e32 0x7f, v5
	s_cbranch_execz .LBB450_3929
; %bb.3926:                             ;   in Loop: Header=BB450_3110 Depth=1
	v_lshrrev_b32_e32 v4, 3, v5
	v_dual_mov_b32 v9, v7 :: v_dual_mov_b32 v8, v6
	s_mov_b32 s26, exec_lo
	v_cmpx_gt_u32_e32 8, v5
; %bb.3927:                             ;   in Loop: Header=BB450_3110 Depth=1
	v_and_b32_e32 v4, 7, v6
	s_delay_alu instid0(VALU_DEP_1) | instskip(NEXT) | instid1(VALU_DEP_1)
	v_clz_i32_u32_e32 v4, v4
	v_min_u32_e32 v4, 32, v4
	s_delay_alu instid0(VALU_DEP_1) | instskip(SKIP_1) | instid1(VALU_DEP_2)
	v_subrev_nc_u32_e32 v5, 28, v4
	v_sub_nc_u32_e32 v4, 29, v4
	v_lshlrev_b64 v[8:9], v5, v[6:7]
; %bb.3928:                             ;   in Loop: Header=BB450_3110 Depth=1
	s_or_b32 exec_lo, exec_lo, s26
	s_delay_alu instid0(VALU_DEP_1) | instskip(SKIP_2) | instid1(VALU_DEP_3)
	v_lshlrev_b32_e32 v5, 20, v8
	v_lshlrev_b32_e32 v8, 24, v6
	v_lshl_add_u32 v4, v4, 23, 0x3c000000
	v_and_b32_e32 v5, 0x700000, v5
	s_delay_alu instid0(VALU_DEP_3) | instskip(NEXT) | instid1(VALU_DEP_1)
	v_and_b32_e32 v8, 0x80000000, v8
	v_or3_b32 v4, v5, v8, v4
.LBB450_3929:                           ;   in Loop: Header=BB450_3110 Depth=1
	s_or_b32 exec_lo, exec_lo, s25
.LBB450_3930:                           ;   in Loop: Header=BB450_3110 Depth=1
	s_delay_alu instid0(SALU_CYCLE_1)
	s_or_b32 exec_lo, exec_lo, s24
.LBB450_3931:                           ;   in Loop: Header=BB450_3110 Depth=1
	s_delay_alu instid0(SALU_CYCLE_1) | instskip(NEXT) | instid1(VALU_DEP_1)
	s_or_b32 exec_lo, exec_lo, s23
	v_mul_f32_e32 v5, v160, v4
	s_delay_alu instid0(VALU_DEP_1) | instskip(NEXT) | instid1(VALU_DEP_1)
	v_and_b32_e32 v4, 0x7f800000, v5
	v_cmp_ne_u32_e64 s9, 0x7f800000, v4
                                        ; implicit-def: $vgpr4
	s_delay_alu instid0(VALU_DEP_1) | instskip(NEXT) | instid1(SALU_CYCLE_1)
	s_and_saveexec_b32 s23, s9
	s_xor_b32 s9, exec_lo, s23
; %bb.3932:                             ;   in Loop: Header=BB450_3110 Depth=1
	v_bfe_u32 v4, v5, 16, 1
	s_delay_alu instid0(VALU_DEP_1)
	v_add3_u32 v4, v5, v4, 0x7fff
                                        ; implicit-def: $vgpr5
; %bb.3933:                             ;   in Loop: Header=BB450_3110 Depth=1
	s_and_not1_saveexec_b32 s23, s9
; %bb.3934:                             ;   in Loop: Header=BB450_3110 Depth=1
	v_and_b32_e32 v4, 0xffff, v5
	v_or_b32_e32 v8, 0x10000, v5
	s_delay_alu instid0(VALU_DEP_2) | instskip(NEXT) | instid1(VALU_DEP_1)
	v_cmp_eq_u32_e64 s9, 0, v4
	v_cndmask_b32_e64 v4, v8, v5, s9
; %bb.3935:                             ;   in Loop: Header=BB450_3110 Depth=1
	s_or_b32 exec_lo, exec_lo, s23
	v_lshrrev_b16 v8, 8, v6
	v_mov_b32_e32 v5, 0
	s_mov_b32 s23, exec_lo
	s_delay_alu instid0(VALU_DEP_2)
	v_cmpx_ne_u16_e32 0, v8
	s_cbranch_execz .LBB450_3943
; %bb.3936:                             ;   in Loop: Header=BB450_3110 Depth=1
	v_bfrev_b32_e32 v5, 1
	s_mov_b32 s24, exec_lo
	v_cmpx_ne_u16_e32 0x80, v8
	s_cbranch_execz .LBB450_3942
; %bb.3937:                             ;   in Loop: Header=BB450_3110 Depth=1
	v_and_b32_e32 v9, 0xffff, v8
	v_mov_b32_e32 v5, 0x7f800001
	s_mov_b32 s25, exec_lo
	s_delay_alu instid0(VALU_DEP_2) | instskip(NEXT) | instid1(VALU_DEP_1)
	v_and_b32_e32 v8, 0x7f, v9
	v_cmpx_ne_u32_e32 0x7f, v8
	s_cbranch_execz .LBB450_3941
; %bb.3938:                             ;   in Loop: Header=BB450_3110 Depth=1
	v_and_b32_e32 v12, 7, v9
	v_lshrrev_b32_e32 v5, 3, v8
	v_cmp_gt_u32_e64 s9, 8, v8
	s_delay_alu instid0(VALU_DEP_3) | instskip(NEXT) | instid1(VALU_DEP_2)
	v_dual_mov_b32 v8, v12 :: v_dual_mov_b32 v9, v13
	s_and_saveexec_b32 s26, s9
; %bb.3939:                             ;   in Loop: Header=BB450_3110 Depth=1
	v_clz_i32_u32_e32 v5, v12
	s_delay_alu instid0(VALU_DEP_1) | instskip(NEXT) | instid1(VALU_DEP_1)
	v_min_u32_e32 v5, 32, v5
	v_subrev_nc_u32_e32 v8, 28, v5
	v_sub_nc_u32_e32 v5, 29, v5
	s_delay_alu instid0(VALU_DEP_2) | instskip(NEXT) | instid1(VALU_DEP_1)
	v_lshlrev_b64 v[8:9], v8, v[12:13]
	v_and_b32_e32 v8, 7, v8
; %bb.3940:                             ;   in Loop: Header=BB450_3110 Depth=1
	s_or_b32 exec_lo, exec_lo, s26
	v_lshlrev_b32_e32 v9, 16, v6
	s_delay_alu instid0(VALU_DEP_2) | instskip(SKIP_1) | instid1(VALU_DEP_3)
	v_lshlrev_b32_e32 v8, 20, v8
	v_lshl_add_u32 v5, v5, 23, 0x3c000000
	v_and_b32_e32 v9, 0x80000000, v9
	s_delay_alu instid0(VALU_DEP_1)
	v_or3_b32 v5, v8, v9, v5
.LBB450_3941:                           ;   in Loop: Header=BB450_3110 Depth=1
	s_or_b32 exec_lo, exec_lo, s25
.LBB450_3942:                           ;   in Loop: Header=BB450_3110 Depth=1
	s_delay_alu instid0(SALU_CYCLE_1)
	s_or_b32 exec_lo, exec_lo, s24
.LBB450_3943:                           ;   in Loop: Header=BB450_3110 Depth=1
	s_delay_alu instid0(SALU_CYCLE_1) | instskip(NEXT) | instid1(VALU_DEP_1)
	s_or_b32 exec_lo, exec_lo, s23
	v_mul_f32_e32 v8, v160, v5
	s_delay_alu instid0(VALU_DEP_1) | instskip(NEXT) | instid1(VALU_DEP_1)
	v_and_b32_e32 v5, 0x7f800000, v8
	v_cmp_ne_u32_e64 s9, 0x7f800000, v5
                                        ; implicit-def: $vgpr5
	s_delay_alu instid0(VALU_DEP_1) | instskip(NEXT) | instid1(SALU_CYCLE_1)
	s_and_saveexec_b32 s23, s9
	s_xor_b32 s9, exec_lo, s23
; %bb.3944:                             ;   in Loop: Header=BB450_3110 Depth=1
	v_bfe_u32 v5, v8, 16, 1
	s_delay_alu instid0(VALU_DEP_1)
	v_add3_u32 v5, v8, v5, 0x7fff
                                        ; implicit-def: $vgpr8
; %bb.3945:                             ;   in Loop: Header=BB450_3110 Depth=1
	s_and_not1_saveexec_b32 s23, s9
; %bb.3946:                             ;   in Loop: Header=BB450_3110 Depth=1
	v_and_b32_e32 v5, 0xffff, v8
	v_or_b32_e32 v9, 0x10000, v8
	s_delay_alu instid0(VALU_DEP_2) | instskip(NEXT) | instid1(VALU_DEP_1)
	v_cmp_eq_u32_e64 s9, 0, v5
	v_cndmask_b32_e64 v5, v9, v8, s9
; %bb.3947:                             ;   in Loop: Header=BB450_3110 Depth=1
	s_or_b32 exec_lo, exec_lo, s23
	v_lshrrev_b32_e32 v10, 16, v6
	s_mov_b32 s23, exec_lo
	s_delay_alu instid0(VALU_DEP_1) | instskip(NEXT) | instid1(VALU_DEP_1)
	v_dual_mov_b32 v8, 0 :: v_dual_and_b32 v9, 0xff, v10
	v_cmpx_ne_u16_e32 0, v9
	s_cbranch_execz .LBB450_3955
; %bb.3948:                             ;   in Loop: Header=BB450_3110 Depth=1
	v_bfrev_b32_e32 v8, 1
	s_mov_b32 s24, exec_lo
	v_cmpx_ne_u16_e32 0x80, v9
	s_cbranch_execz .LBB450_3954
; %bb.3949:                             ;   in Loop: Header=BB450_3110 Depth=1
	v_bfe_u32 v9, v6, 16, 7
	v_mov_b32_e32 v8, 0x7f800001
	s_mov_b32 s25, exec_lo
	s_delay_alu instid0(VALU_DEP_2)
	v_cmpx_ne_u32_e32 0x7f, v9
	s_cbranch_execz .LBB450_3953
; %bb.3950:                             ;   in Loop: Header=BB450_3110 Depth=1
	v_and_b32_e32 v12, 7, v10
	v_lshrrev_b32_e32 v11, 3, v9
	v_cmp_gt_u32_e64 s9, 8, v9
	s_delay_alu instid0(VALU_DEP_3) | instskip(NEXT) | instid1(VALU_DEP_2)
	v_dual_mov_b32 v8, v12 :: v_dual_mov_b32 v9, v13
	s_and_saveexec_b32 s26, s9
; %bb.3951:                             ;   in Loop: Header=BB450_3110 Depth=1
	v_clz_i32_u32_e32 v8, v12
	s_delay_alu instid0(VALU_DEP_1) | instskip(NEXT) | instid1(VALU_DEP_1)
	v_min_u32_e32 v11, 32, v8
	v_subrev_nc_u32_e32 v8, 28, v11
	v_sub_nc_u32_e32 v11, 29, v11
	s_delay_alu instid0(VALU_DEP_2) | instskip(NEXT) | instid1(VALU_DEP_1)
	v_lshlrev_b64 v[8:9], v8, v[12:13]
	v_and_b32_e32 v8, 7, v8
; %bb.3952:                             ;   in Loop: Header=BB450_3110 Depth=1
	s_or_b32 exec_lo, exec_lo, s26
	v_lshlrev_b32_e32 v9, 24, v10
	s_delay_alu instid0(VALU_DEP_2) | instskip(SKIP_1) | instid1(VALU_DEP_3)
	v_lshlrev_b32_e32 v8, 20, v8
	v_lshl_add_u32 v10, v11, 23, 0x3c000000
	v_and_b32_e32 v9, 0x80000000, v9
	s_delay_alu instid0(VALU_DEP_1)
	v_or3_b32 v8, v8, v9, v10
.LBB450_3953:                           ;   in Loop: Header=BB450_3110 Depth=1
	s_or_b32 exec_lo, exec_lo, s25
.LBB450_3954:                           ;   in Loop: Header=BB450_3110 Depth=1
	s_delay_alu instid0(SALU_CYCLE_1)
	s_or_b32 exec_lo, exec_lo, s24
.LBB450_3955:                           ;   in Loop: Header=BB450_3110 Depth=1
	s_delay_alu instid0(SALU_CYCLE_1) | instskip(NEXT) | instid1(VALU_DEP_1)
	s_or_b32 exec_lo, exec_lo, s23
	v_mul_f32_e32 v8, v160, v8
                                        ; implicit-def: $vgpr10
	s_delay_alu instid0(VALU_DEP_1) | instskip(NEXT) | instid1(VALU_DEP_1)
	v_and_b32_e32 v9, 0x7f800000, v8
	v_cmp_ne_u32_e64 s9, 0x7f800000, v9
	s_delay_alu instid0(VALU_DEP_1) | instskip(NEXT) | instid1(SALU_CYCLE_1)
	s_and_saveexec_b32 s23, s9
	s_xor_b32 s9, exec_lo, s23
; %bb.3956:                             ;   in Loop: Header=BB450_3110 Depth=1
	v_bfe_u32 v9, v8, 16, 1
	s_delay_alu instid0(VALU_DEP_1)
	v_add3_u32 v10, v8, v9, 0x7fff
                                        ; implicit-def: $vgpr8
; %bb.3957:                             ;   in Loop: Header=BB450_3110 Depth=1
	s_and_not1_saveexec_b32 s23, s9
; %bb.3958:                             ;   in Loop: Header=BB450_3110 Depth=1
	v_and_b32_e32 v9, 0xffff, v8
	v_or_b32_e32 v10, 0x10000, v8
	s_delay_alu instid0(VALU_DEP_2) | instskip(NEXT) | instid1(VALU_DEP_1)
	v_cmp_eq_u32_e64 s9, 0, v9
	v_cndmask_b32_e64 v10, v10, v8, s9
; %bb.3959:                             ;   in Loop: Header=BB450_3110 Depth=1
	s_or_b32 exec_lo, exec_lo, s23
	v_mov_b32_e32 v8, 0
	s_mov_b32 s23, exec_lo
	v_cmpx_lt_u32_e32 0xffffff, v6
	s_cbranch_execz .LBB450_3967
; %bb.3960:                             ;   in Loop: Header=BB450_3110 Depth=1
	v_lshrrev_b32_e32 v11, 24, v6
	v_bfrev_b32_e32 v8, 1
	s_mov_b32 s24, exec_lo
	s_delay_alu instid0(VALU_DEP_2)
	v_cmpx_ne_u32_e32 0x80, v11
	s_cbranch_execz .LBB450_3966
; %bb.3961:                             ;   in Loop: Header=BB450_3110 Depth=1
	v_bfe_u32 v9, v6, 24, 7
	v_mov_b32_e32 v8, 0x7f800001
	s_mov_b32 s25, exec_lo
	s_delay_alu instid0(VALU_DEP_2)
	v_cmpx_ne_u32_e32 0x7f, v9
	s_cbranch_execz .LBB450_3965
; %bb.3962:                             ;   in Loop: Header=BB450_3110 Depth=1
	v_and_b32_e32 v12, 7, v11
	v_lshrrev_b32_e32 v16, 3, v9
	v_cmp_gt_u32_e64 s9, 8, v9
	s_delay_alu instid0(VALU_DEP_3) | instskip(NEXT) | instid1(VALU_DEP_2)
	v_dual_mov_b32 v8, v12 :: v_dual_mov_b32 v9, v13
	s_and_saveexec_b32 s26, s9
; %bb.3963:                             ;   in Loop: Header=BB450_3110 Depth=1
	v_clz_i32_u32_e32 v8, v12
	s_delay_alu instid0(VALU_DEP_1) | instskip(NEXT) | instid1(VALU_DEP_1)
	v_min_u32_e32 v16, 32, v8
	v_subrev_nc_u32_e32 v8, 28, v16
	v_sub_nc_u32_e32 v16, 29, v16
	s_delay_alu instid0(VALU_DEP_2) | instskip(NEXT) | instid1(VALU_DEP_1)
	v_lshlrev_b64 v[8:9], v8, v[12:13]
	v_and_b32_e32 v8, 7, v8
; %bb.3964:                             ;   in Loop: Header=BB450_3110 Depth=1
	s_or_b32 exec_lo, exec_lo, s26
	v_lshlrev_b32_e32 v9, 24, v11
	s_delay_alu instid0(VALU_DEP_2) | instskip(SKIP_1) | instid1(VALU_DEP_3)
	v_lshlrev_b32_e32 v8, 20, v8
	v_lshl_add_u32 v11, v16, 23, 0x3c000000
	v_and_b32_e32 v9, 0x80000000, v9
	s_delay_alu instid0(VALU_DEP_1)
	v_or3_b32 v8, v8, v9, v11
.LBB450_3965:                           ;   in Loop: Header=BB450_3110 Depth=1
	s_or_b32 exec_lo, exec_lo, s25
.LBB450_3966:                           ;   in Loop: Header=BB450_3110 Depth=1
	s_delay_alu instid0(SALU_CYCLE_1)
	s_or_b32 exec_lo, exec_lo, s24
.LBB450_3967:                           ;   in Loop: Header=BB450_3110 Depth=1
	s_delay_alu instid0(SALU_CYCLE_1) | instskip(NEXT) | instid1(VALU_DEP_1)
	s_or_b32 exec_lo, exec_lo, s23
	v_mul_f32_e32 v8, v160, v8
                                        ; implicit-def: $vgpr11
	s_delay_alu instid0(VALU_DEP_1) | instskip(NEXT) | instid1(VALU_DEP_1)
	v_and_b32_e32 v9, 0x7f800000, v8
	v_cmp_ne_u32_e64 s9, 0x7f800000, v9
	s_delay_alu instid0(VALU_DEP_1) | instskip(NEXT) | instid1(SALU_CYCLE_1)
	s_and_saveexec_b32 s23, s9
	s_xor_b32 s9, exec_lo, s23
; %bb.3968:                             ;   in Loop: Header=BB450_3110 Depth=1
	v_bfe_u32 v9, v8, 16, 1
	s_delay_alu instid0(VALU_DEP_1)
	v_add3_u32 v11, v8, v9, 0x7fff
                                        ; implicit-def: $vgpr8
; %bb.3969:                             ;   in Loop: Header=BB450_3110 Depth=1
	s_and_not1_saveexec_b32 s23, s9
; %bb.3970:                             ;   in Loop: Header=BB450_3110 Depth=1
	v_and_b32_e32 v9, 0xffff, v8
	v_or_b32_e32 v11, 0x10000, v8
	s_delay_alu instid0(VALU_DEP_2) | instskip(NEXT) | instid1(VALU_DEP_1)
	v_cmp_eq_u32_e64 s9, 0, v9
	v_cndmask_b32_e64 v11, v11, v8, s9
; %bb.3971:                             ;   in Loop: Header=BB450_3110 Depth=1
	s_or_b32 exec_lo, exec_lo, s23
	v_dual_mov_b32 v12, v7 :: v_dual_and_b32 v9, 0xff, v7
	v_mov_b32_e32 v8, 0
	s_mov_b32 s23, exec_lo
	s_delay_alu instid0(VALU_DEP_2)
	v_cmpx_ne_u16_e32 0, v9
	s_cbranch_execz .LBB450_3979
; %bb.3972:                             ;   in Loop: Header=BB450_3110 Depth=1
	v_bfrev_b32_e32 v8, 1
	s_mov_b32 s24, exec_lo
	v_cmpx_ne_u16_e32 0x80, v9
	s_cbranch_execz .LBB450_3978
; %bb.3973:                             ;   in Loop: Header=BB450_3110 Depth=1
	v_and_b32_e32 v9, 0x7f, v7
	v_mov_b32_e32 v8, 0x7f800001
	s_mov_b32 s25, exec_lo
	s_delay_alu instid0(VALU_DEP_2)
	v_cmpx_ne_u32_e32 0x7f, v9
	s_cbranch_execz .LBB450_3977
; %bb.3974:                             ;   in Loop: Header=BB450_3110 Depth=1
	v_lshrrev_b32_e32 v16, 3, v9
	v_cmp_gt_u32_e64 s9, 8, v9
	v_dual_mov_b32 v8, v12 :: v_dual_mov_b32 v9, v13
	s_delay_alu instid0(VALU_DEP_2)
	s_and_saveexec_b32 s26, s9
; %bb.3975:                             ;   in Loop: Header=BB450_3110 Depth=1
	v_and_b32_e32 v8, 7, v7
	s_delay_alu instid0(VALU_DEP_1) | instskip(NEXT) | instid1(VALU_DEP_1)
	v_clz_i32_u32_e32 v8, v8
	v_min_u32_e32 v16, 32, v8
	s_delay_alu instid0(VALU_DEP_1) | instskip(SKIP_1) | instid1(VALU_DEP_2)
	v_subrev_nc_u32_e32 v8, 28, v16
	v_sub_nc_u32_e32 v16, 29, v16
	v_lshlrev_b64 v[8:9], v8, v[12:13]
; %bb.3976:                             ;   in Loop: Header=BB450_3110 Depth=1
	s_or_b32 exec_lo, exec_lo, s26
	s_delay_alu instid0(VALU_DEP_1) | instskip(SKIP_2) | instid1(VALU_DEP_3)
	v_lshlrev_b32_e32 v8, 20, v8
	v_lshlrev_b32_e32 v9, 24, v12
	v_lshl_add_u32 v16, v16, 23, 0x3c000000
	v_and_b32_e32 v8, 0x700000, v8
	s_delay_alu instid0(VALU_DEP_3) | instskip(NEXT) | instid1(VALU_DEP_1)
	v_and_b32_e32 v9, 0x80000000, v9
	v_or3_b32 v8, v8, v9, v16
.LBB450_3977:                           ;   in Loop: Header=BB450_3110 Depth=1
	s_or_b32 exec_lo, exec_lo, s25
.LBB450_3978:                           ;   in Loop: Header=BB450_3110 Depth=1
	s_delay_alu instid0(SALU_CYCLE_1)
	s_or_b32 exec_lo, exec_lo, s24
.LBB450_3979:                           ;   in Loop: Header=BB450_3110 Depth=1
	s_delay_alu instid0(SALU_CYCLE_1) | instskip(NEXT) | instid1(VALU_DEP_1)
	s_or_b32 exec_lo, exec_lo, s23
	v_mul_f32_e32 v8, v160, v8
                                        ; implicit-def: $vgpr16
	s_delay_alu instid0(VALU_DEP_1) | instskip(NEXT) | instid1(VALU_DEP_1)
	v_and_b32_e32 v9, 0x7f800000, v8
	v_cmp_ne_u32_e64 s9, 0x7f800000, v9
	s_delay_alu instid0(VALU_DEP_1) | instskip(NEXT) | instid1(SALU_CYCLE_1)
	s_and_saveexec_b32 s23, s9
	s_xor_b32 s9, exec_lo, s23
; %bb.3980:                             ;   in Loop: Header=BB450_3110 Depth=1
	v_bfe_u32 v9, v8, 16, 1
	s_delay_alu instid0(VALU_DEP_1)
	v_add3_u32 v16, v8, v9, 0x7fff
                                        ; implicit-def: $vgpr8
; %bb.3981:                             ;   in Loop: Header=BB450_3110 Depth=1
	s_and_not1_saveexec_b32 s23, s9
; %bb.3982:                             ;   in Loop: Header=BB450_3110 Depth=1
	v_and_b32_e32 v9, 0xffff, v8
	v_or_b32_e32 v16, 0x10000, v8
	s_delay_alu instid0(VALU_DEP_2) | instskip(NEXT) | instid1(VALU_DEP_1)
	v_cmp_eq_u32_e64 s9, 0, v9
	v_cndmask_b32_e64 v16, v16, v8, s9
; %bb.3983:                             ;   in Loop: Header=BB450_3110 Depth=1
	s_or_b32 exec_lo, exec_lo, s23
	v_lshrrev_b16 v9, 8, v12
	v_mov_b32_e32 v8, 0
	s_mov_b32 s23, exec_lo
	s_delay_alu instid0(VALU_DEP_2)
	v_cmpx_ne_u16_e32 0, v9
	s_cbranch_execz .LBB450_3991
; %bb.3984:                             ;   in Loop: Header=BB450_3110 Depth=1
	v_bfrev_b32_e32 v8, 1
	s_mov_b32 s24, exec_lo
	v_cmpx_ne_u16_e32 0x80, v9
	s_cbranch_execz .LBB450_3990
; %bb.3985:                             ;   in Loop: Header=BB450_3110 Depth=1
	v_and_b32_e32 v9, 0xffff, v9
	v_mov_b32_e32 v8, 0x7f800001
	s_mov_b32 s25, exec_lo
	s_delay_alu instid0(VALU_DEP_2) | instskip(NEXT) | instid1(VALU_DEP_1)
	v_and_b32_e32 v19, 0x7f, v9
	v_cmpx_ne_u32_e32 0x7f, v19
	s_cbranch_execz .LBB450_3989
; %bb.3986:                             ;   in Loop: Header=BB450_3110 Depth=1
	v_dual_mov_b32 v9, v13 :: v_dual_and_b32 v8, 7, v9
	v_lshrrev_b32_e32 v18, 3, v19
	s_mov_b32 s26, exec_lo
	v_cmpx_gt_u32_e32 8, v19
; %bb.3987:                             ;   in Loop: Header=BB450_3110 Depth=1
	s_delay_alu instid0(VALU_DEP_3) | instskip(NEXT) | instid1(VALU_DEP_1)
	v_clz_i32_u32_e32 v18, v8
	v_min_u32_e32 v18, 32, v18
	s_delay_alu instid0(VALU_DEP_1) | instskip(SKIP_1) | instid1(VALU_DEP_2)
	v_subrev_nc_u32_e32 v19, 28, v18
	v_sub_nc_u32_e32 v18, 29, v18
	v_lshlrev_b64 v[8:9], v19, v[8:9]
	s_delay_alu instid0(VALU_DEP_1)
	v_and_b32_e32 v8, 7, v8
; %bb.3988:                             ;   in Loop: Header=BB450_3110 Depth=1
	s_or_b32 exec_lo, exec_lo, s26
	v_lshlrev_b32_e32 v9, 16, v12
	s_delay_alu instid0(VALU_DEP_2) | instskip(SKIP_1) | instid1(VALU_DEP_3)
	v_lshlrev_b32_e32 v8, 20, v8
	v_lshl_add_u32 v12, v18, 23, 0x3c000000
	v_and_b32_e32 v9, 0x80000000, v9
	s_delay_alu instid0(VALU_DEP_1)
	v_or3_b32 v8, v8, v9, v12
.LBB450_3989:                           ;   in Loop: Header=BB450_3110 Depth=1
	s_or_b32 exec_lo, exec_lo, s25
.LBB450_3990:                           ;   in Loop: Header=BB450_3110 Depth=1
	s_delay_alu instid0(SALU_CYCLE_1)
	s_or_b32 exec_lo, exec_lo, s24
.LBB450_3991:                           ;   in Loop: Header=BB450_3110 Depth=1
	s_delay_alu instid0(SALU_CYCLE_1) | instskip(NEXT) | instid1(VALU_DEP_1)
	s_or_b32 exec_lo, exec_lo, s23
	v_mul_f32_e32 v8, v160, v8
                                        ; implicit-def: $vgpr18
	s_delay_alu instid0(VALU_DEP_1) | instskip(NEXT) | instid1(VALU_DEP_1)
	v_and_b32_e32 v9, 0x7f800000, v8
	v_cmp_ne_u32_e64 s9, 0x7f800000, v9
	s_delay_alu instid0(VALU_DEP_1) | instskip(NEXT) | instid1(SALU_CYCLE_1)
	s_and_saveexec_b32 s23, s9
	s_xor_b32 s9, exec_lo, s23
; %bb.3992:                             ;   in Loop: Header=BB450_3110 Depth=1
	v_bfe_u32 v9, v8, 16, 1
	s_delay_alu instid0(VALU_DEP_1)
	v_add3_u32 v18, v8, v9, 0x7fff
                                        ; implicit-def: $vgpr8
; %bb.3993:                             ;   in Loop: Header=BB450_3110 Depth=1
	s_and_not1_saveexec_b32 s23, s9
; %bb.3994:                             ;   in Loop: Header=BB450_3110 Depth=1
	v_and_b32_e32 v9, 0xffff, v8
	v_or_b32_e32 v12, 0x10000, v8
	s_delay_alu instid0(VALU_DEP_2) | instskip(NEXT) | instid1(VALU_DEP_1)
	v_cmp_eq_u32_e64 s9, 0, v9
	v_cndmask_b32_e64 v18, v12, v8, s9
; %bb.3995:                             ;   in Loop: Header=BB450_3110 Depth=1
	s_or_b32 exec_lo, exec_lo, s23
	v_lshrrev_b32_e32 v19, 16, v7
	s_mov_b32 s23, exec_lo
	s_delay_alu instid0(VALU_DEP_1) | instskip(NEXT) | instid1(VALU_DEP_1)
	v_dual_mov_b32 v8, 0 :: v_dual_and_b32 v9, 0xff, v19
	v_cmpx_ne_u16_e32 0, v9
	s_cbranch_execz .LBB450_4003
; %bb.3996:                             ;   in Loop: Header=BB450_3110 Depth=1
	v_bfrev_b32_e32 v8, 1
	s_mov_b32 s24, exec_lo
	v_cmpx_ne_u16_e32 0x80, v9
	s_cbranch_execz .LBB450_4002
; %bb.3997:                             ;   in Loop: Header=BB450_3110 Depth=1
	v_bfe_u32 v9, v7, 16, 7
	v_mov_b32_e32 v8, 0x7f800001
	s_mov_b32 s25, exec_lo
	s_delay_alu instid0(VALU_DEP_2)
	v_cmpx_ne_u32_e32 0x7f, v9
	s_cbranch_execz .LBB450_4001
; %bb.3998:                             ;   in Loop: Header=BB450_3110 Depth=1
	v_and_b32_e32 v12, 7, v19
	v_lshrrev_b32_e32 v20, 3, v9
	v_cmp_gt_u32_e64 s9, 8, v9
	s_delay_alu instid0(VALU_DEP_3) | instskip(NEXT) | instid1(VALU_DEP_2)
	v_dual_mov_b32 v8, v12 :: v_dual_mov_b32 v9, v13
	s_and_saveexec_b32 s26, s9
; %bb.3999:                             ;   in Loop: Header=BB450_3110 Depth=1
	v_clz_i32_u32_e32 v8, v12
	s_delay_alu instid0(VALU_DEP_1) | instskip(NEXT) | instid1(VALU_DEP_1)
	v_min_u32_e32 v20, 32, v8
	v_subrev_nc_u32_e32 v8, 28, v20
	v_sub_nc_u32_e32 v20, 29, v20
	s_delay_alu instid0(VALU_DEP_2) | instskip(NEXT) | instid1(VALU_DEP_1)
	v_lshlrev_b64 v[8:9], v8, v[12:13]
	v_and_b32_e32 v8, 7, v8
; %bb.4000:                             ;   in Loop: Header=BB450_3110 Depth=1
	s_or_b32 exec_lo, exec_lo, s26
	v_lshlrev_b32_e32 v9, 24, v19
	s_delay_alu instid0(VALU_DEP_2) | instskip(SKIP_1) | instid1(VALU_DEP_3)
	v_lshlrev_b32_e32 v8, 20, v8
	v_lshl_add_u32 v12, v20, 23, 0x3c000000
	v_and_b32_e32 v9, 0x80000000, v9
	s_delay_alu instid0(VALU_DEP_1)
	v_or3_b32 v8, v8, v9, v12
.LBB450_4001:                           ;   in Loop: Header=BB450_3110 Depth=1
	s_or_b32 exec_lo, exec_lo, s25
.LBB450_4002:                           ;   in Loop: Header=BB450_3110 Depth=1
	s_delay_alu instid0(SALU_CYCLE_1)
	s_or_b32 exec_lo, exec_lo, s24
.LBB450_4003:                           ;   in Loop: Header=BB450_3110 Depth=1
	s_delay_alu instid0(SALU_CYCLE_1) | instskip(NEXT) | instid1(VALU_DEP_1)
	s_or_b32 exec_lo, exec_lo, s23
	v_mul_f32_e32 v8, v160, v8
	s_delay_alu instid0(VALU_DEP_1) | instskip(NEXT) | instid1(VALU_DEP_1)
	v_and_b32_e32 v9, 0x7f800000, v8
	v_cmp_ne_u32_e64 s9, 0x7f800000, v9
                                        ; implicit-def: $vgpr9
	s_delay_alu instid0(VALU_DEP_1) | instskip(NEXT) | instid1(SALU_CYCLE_1)
	s_and_saveexec_b32 s23, s9
	s_xor_b32 s9, exec_lo, s23
; %bb.4004:                             ;   in Loop: Header=BB450_3110 Depth=1
	v_bfe_u32 v9, v8, 16, 1
	s_delay_alu instid0(VALU_DEP_1)
	v_add3_u32 v9, v8, v9, 0x7fff
                                        ; implicit-def: $vgpr8
; %bb.4005:                             ;   in Loop: Header=BB450_3110 Depth=1
	s_and_not1_saveexec_b32 s23, s9
; %bb.4006:                             ;   in Loop: Header=BB450_3110 Depth=1
	v_and_b32_e32 v9, 0xffff, v8
	v_or_b32_e32 v12, 0x10000, v8
	s_delay_alu instid0(VALU_DEP_2) | instskip(NEXT) | instid1(VALU_DEP_1)
	v_cmp_eq_u32_e64 s9, 0, v9
	v_cndmask_b32_e64 v9, v12, v8, s9
; %bb.4007:                             ;   in Loop: Header=BB450_3110 Depth=1
	s_or_b32 exec_lo, exec_lo, s23
	v_cmp_lt_u64_e64 s9, s[18:19], v[6:7]
	v_mov_b32_e32 v6, 0
	s_delay_alu instid0(VALU_DEP_2)
	s_and_saveexec_b32 s23, s9
	s_cbranch_execz .LBB450_4015
; %bb.4008:                             ;   in Loop: Header=BB450_3110 Depth=1
	v_lshrrev_b32_e32 v8, 24, v7
	v_bfrev_b32_e32 v6, 1
	s_mov_b32 s24, exec_lo
	s_delay_alu instid0(VALU_DEP_2)
	v_cmpx_ne_u32_e32 0x80, v8
	s_cbranch_execz .LBB450_4014
; %bb.4009:                             ;   in Loop: Header=BB450_3110 Depth=1
	v_bfe_u32 v7, v7, 24, 7
	v_mov_b32_e32 v6, 0x7f800001
	s_mov_b32 s25, exec_lo
	s_delay_alu instid0(VALU_DEP_2)
	v_cmpx_ne_u32_e32 0x7f, v7
	s_cbranch_execz .LBB450_4013
; %bb.4010:                             ;   in Loop: Header=BB450_3110 Depth=1
	v_and_b32_e32 v12, 7, v8
	v_lshrrev_b32_e32 v19, 3, v7
	v_cmp_gt_u32_e64 s9, 8, v7
	s_delay_alu instid0(VALU_DEP_3) | instskip(NEXT) | instid1(VALU_DEP_2)
	v_dual_mov_b32 v6, v12 :: v_dual_mov_b32 v7, v13
	s_and_saveexec_b32 s26, s9
; %bb.4011:                             ;   in Loop: Header=BB450_3110 Depth=1
	v_clz_i32_u32_e32 v6, v12
	s_delay_alu instid0(VALU_DEP_1) | instskip(NEXT) | instid1(VALU_DEP_1)
	v_min_u32_e32 v19, 32, v6
	v_subrev_nc_u32_e32 v6, 28, v19
	v_sub_nc_u32_e32 v19, 29, v19
	s_delay_alu instid0(VALU_DEP_2) | instskip(NEXT) | instid1(VALU_DEP_1)
	v_lshlrev_b64 v[6:7], v6, v[12:13]
	v_and_b32_e32 v6, 7, v6
; %bb.4012:                             ;   in Loop: Header=BB450_3110 Depth=1
	s_or_b32 exec_lo, exec_lo, s26
	v_lshlrev_b32_e32 v7, 24, v8
	s_delay_alu instid0(VALU_DEP_2) | instskip(SKIP_1) | instid1(VALU_DEP_3)
	v_lshlrev_b32_e32 v6, 20, v6
	v_lshl_add_u32 v8, v19, 23, 0x3c000000
	v_and_b32_e32 v7, 0x80000000, v7
	s_delay_alu instid0(VALU_DEP_1)
	v_or3_b32 v6, v6, v7, v8
.LBB450_4013:                           ;   in Loop: Header=BB450_3110 Depth=1
	s_or_b32 exec_lo, exec_lo, s25
.LBB450_4014:                           ;   in Loop: Header=BB450_3110 Depth=1
	s_delay_alu instid0(SALU_CYCLE_1)
	s_or_b32 exec_lo, exec_lo, s24
.LBB450_4015:                           ;   in Loop: Header=BB450_3110 Depth=1
	s_delay_alu instid0(SALU_CYCLE_1) | instskip(NEXT) | instid1(VALU_DEP_1)
	s_or_b32 exec_lo, exec_lo, s23
	v_mul_f32_e32 v6, v160, v6
                                        ; implicit-def: $vgpr19
	s_delay_alu instid0(VALU_DEP_1) | instskip(NEXT) | instid1(VALU_DEP_1)
	v_and_b32_e32 v7, 0x7f800000, v6
	v_cmp_ne_u32_e64 s9, 0x7f800000, v7
	s_delay_alu instid0(VALU_DEP_1) | instskip(NEXT) | instid1(SALU_CYCLE_1)
	s_and_saveexec_b32 s23, s9
	s_xor_b32 s9, exec_lo, s23
; %bb.4016:                             ;   in Loop: Header=BB450_3110 Depth=1
	v_bfe_u32 v7, v6, 16, 1
	s_delay_alu instid0(VALU_DEP_1)
	v_add3_u32 v19, v6, v7, 0x7fff
                                        ; implicit-def: $vgpr6
; %bb.4017:                             ;   in Loop: Header=BB450_3110 Depth=1
	s_and_not1_saveexec_b32 s23, s9
; %bb.4018:                             ;   in Loop: Header=BB450_3110 Depth=1
	v_and_b32_e32 v7, 0xffff, v6
	v_or_b32_e32 v8, 0x10000, v6
	s_delay_alu instid0(VALU_DEP_2) | instskip(NEXT) | instid1(VALU_DEP_1)
	v_cmp_eq_u32_e64 s9, 0, v7
	v_cndmask_b32_e64 v19, v8, v6, s9
; %bb.4019:                             ;   in Loop: Header=BB450_3110 Depth=1
	s_or_b32 exec_lo, exec_lo, s23
	v_lshrrev_b32_e32 v6, 16, v18
	v_lshrrev_b32_e32 v7, 16, v16
	;; [unrolled: 1-line block ×8, first 2 shown]
	s_and_saveexec_b32 s9, s1
; %bb.4020:                             ;   in Loop: Header=BB450_3110 Depth=1
	s_delay_alu instid0(VALU_DEP_3)
	v_cndmask_b32_e32 v12, 0, v12, vcc_lo
	v_cndmask_b32_e64 v11, 0, v11, s2
	v_cndmask_b32_e64 v10, 0, v10, s3
	;; [unrolled: 1-line block ×7, first 2 shown]
; %bb.4021:                             ;   in Loop: Header=BB450_3110 Depth=1
	s_or_b32 exec_lo, exec_lo, s9
	v_lshlrev_b32_e32 v9, 16, v12
	s_delay_alu instid0(VALU_DEP_1) | instskip(NEXT) | instid1(VALU_DEP_1)
	v_mul_f32_e32 v9, v161, v9
	v_and_b32_e32 v12, 0x7f800000, v9
	s_delay_alu instid0(VALU_DEP_1) | instskip(NEXT) | instid1(VALU_DEP_1)
	v_cmp_ne_u32_e64 s9, 0x7f800000, v12
                                        ; implicit-def: $vgpr12
                                        ; kill: killed $vgpr12
	s_and_saveexec_b32 s23, s9
	s_delay_alu instid0(SALU_CYCLE_1)
	s_xor_b32 s9, exec_lo, s23
	s_cbranch_execz .LBB450_4023
; %bb.4022:                             ;   in Loop: Header=BB450_3110 Depth=1
	v_bfe_u32 v12, v9, 16, 1
	s_delay_alu instid0(VALU_DEP_1)
	v_add3_u32 v9, v9, v12, 0x7fff
	scratch_store_b32 off, v9, s32 offset:676 ; 4-byte Folded Spill
                                        ; implicit-def: $vgpr9
.LBB450_4023:                           ;   in Loop: Header=BB450_3110 Depth=1
	s_and_not1_saveexec_b32 s23, s9
	s_cbranch_execz .LBB450_4025
; %bb.4024:                             ;   in Loop: Header=BB450_3110 Depth=1
	v_and_b32_e32 v12, 0xffff, v9
	v_or_b32_e32 v16, 0x10000, v9
	s_delay_alu instid0(VALU_DEP_2) | instskip(NEXT) | instid1(VALU_DEP_1)
	v_cmp_eq_u32_e64 s9, 0, v12
	v_cndmask_b32_e64 v9, v16, v9, s9
	scratch_store_b32 off, v9, s32 offset:676 ; 4-byte Folded Spill
.LBB450_4025:                           ;   in Loop: Header=BB450_3110 Depth=1
	s_or_b32 exec_lo, exec_lo, s23
	v_lshlrev_b32_e32 v9, 16, v11
	s_delay_alu instid0(VALU_DEP_1) | instskip(NEXT) | instid1(VALU_DEP_1)
	v_mul_f32_e32 v9, v162, v9
	v_and_b32_e32 v11, 0x7f800000, v9
	s_delay_alu instid0(VALU_DEP_1) | instskip(NEXT) | instid1(VALU_DEP_1)
	v_cmp_ne_u32_e64 s9, 0x7f800000, v11
                                        ; implicit-def: $vgpr11
                                        ; kill: killed $vgpr11
	s_and_saveexec_b32 s23, s9
	s_delay_alu instid0(SALU_CYCLE_1)
	s_xor_b32 s9, exec_lo, s23
	s_cbranch_execz .LBB450_4027
; %bb.4026:                             ;   in Loop: Header=BB450_3110 Depth=1
	v_bfe_u32 v11, v9, 16, 1
	s_delay_alu instid0(VALU_DEP_1)
	v_add3_u32 v9, v9, v11, 0x7fff
	scratch_store_b32 off, v9, s32 offset:680 ; 4-byte Folded Spill
                                        ; implicit-def: $vgpr9
.LBB450_4027:                           ;   in Loop: Header=BB450_3110 Depth=1
	s_and_not1_saveexec_b32 s23, s9
	s_cbranch_execz .LBB450_4029
; %bb.4028:                             ;   in Loop: Header=BB450_3110 Depth=1
	v_and_b32_e32 v11, 0xffff, v9
	v_or_b32_e32 v12, 0x10000, v9
	s_delay_alu instid0(VALU_DEP_2) | instskip(NEXT) | instid1(VALU_DEP_1)
	v_cmp_eq_u32_e64 s9, 0, v11
	v_cndmask_b32_e64 v9, v12, v9, s9
	scratch_store_b32 off, v9, s32 offset:680 ; 4-byte Folded Spill
.LBB450_4029:                           ;   in Loop: Header=BB450_3110 Depth=1
	s_or_b32 exec_lo, exec_lo, s23
	v_lshlrev_b32_e32 v9, 16, v10
	s_delay_alu instid0(VALU_DEP_1) | instskip(NEXT) | instid1(VALU_DEP_1)
	v_mul_f32_e32 v9, v163, v9
	v_and_b32_e32 v10, 0x7f800000, v9
	s_delay_alu instid0(VALU_DEP_1) | instskip(NEXT) | instid1(VALU_DEP_1)
	v_cmp_ne_u32_e64 s9, 0x7f800000, v10
                                        ; implicit-def: $vgpr10
                                        ; kill: killed $vgpr10
	s_and_saveexec_b32 s23, s9
	s_delay_alu instid0(SALU_CYCLE_1)
	s_xor_b32 s9, exec_lo, s23
	s_cbranch_execz .LBB450_4031
; %bb.4030:                             ;   in Loop: Header=BB450_3110 Depth=1
	v_bfe_u32 v10, v9, 16, 1
	s_delay_alu instid0(VALU_DEP_1)
	v_add3_u32 v9, v9, v10, 0x7fff
	scratch_store_b32 off, v9, s32 offset:684 ; 4-byte Folded Spill
                                        ; implicit-def: $vgpr9
.LBB450_4031:                           ;   in Loop: Header=BB450_3110 Depth=1
	s_and_not1_saveexec_b32 s23, s9
	s_cbranch_execz .LBB450_4033
; %bb.4032:                             ;   in Loop: Header=BB450_3110 Depth=1
	v_and_b32_e32 v10, 0xffff, v9
	v_or_b32_e32 v11, 0x10000, v9
	s_delay_alu instid0(VALU_DEP_2) | instskip(NEXT) | instid1(VALU_DEP_1)
	v_cmp_eq_u32_e64 s9, 0, v10
	v_cndmask_b32_e64 v9, v11, v9, s9
	scratch_store_b32 off, v9, s32 offset:684 ; 4-byte Folded Spill
.LBB450_4033:                           ;   in Loop: Header=BB450_3110 Depth=1
	s_or_b32 exec_lo, exec_lo, s23
	v_lshlrev_b32_e32 v8, 16, v8
	s_delay_alu instid0(VALU_DEP_1) | instskip(NEXT) | instid1(VALU_DEP_1)
	v_mul_f32_e32 v8, v164, v8
	v_and_b32_e32 v9, 0x7f800000, v8
	s_delay_alu instid0(VALU_DEP_1) | instskip(NEXT) | instid1(VALU_DEP_1)
	v_cmp_ne_u32_e64 s9, 0x7f800000, v9
                                        ; implicit-def: $vgpr9
                                        ; kill: killed $vgpr9
	s_and_saveexec_b32 s23, s9
	s_delay_alu instid0(SALU_CYCLE_1)
	s_xor_b32 s9, exec_lo, s23
	s_cbranch_execz .LBB450_4035
; %bb.4034:                             ;   in Loop: Header=BB450_3110 Depth=1
	v_bfe_u32 v9, v8, 16, 1
	s_delay_alu instid0(VALU_DEP_1)
	v_add3_u32 v8, v8, v9, 0x7fff
	scratch_store_b32 off, v8, s32 offset:688 ; 4-byte Folded Spill
                                        ; implicit-def: $vgpr8
.LBB450_4035:                           ;   in Loop: Header=BB450_3110 Depth=1
	s_and_not1_saveexec_b32 s23, s9
	s_cbranch_execz .LBB450_4037
; %bb.4036:                             ;   in Loop: Header=BB450_3110 Depth=1
	v_and_b32_e32 v9, 0xffff, v8
	v_or_b32_e32 v10, 0x10000, v8
	s_delay_alu instid0(VALU_DEP_2) | instskip(NEXT) | instid1(VALU_DEP_1)
	v_cmp_eq_u32_e64 s9, 0, v9
	v_cndmask_b32_e64 v8, v10, v8, s9
	scratch_store_b32 off, v8, s32 offset:688 ; 4-byte Folded Spill
.LBB450_4037:                           ;   in Loop: Header=BB450_3110 Depth=1
	s_or_b32 exec_lo, exec_lo, s23
	v_lshlrev_b32_e32 v7, 16, v7
	s_delay_alu instid0(VALU_DEP_1) | instskip(NEXT) | instid1(VALU_DEP_1)
	v_mul_f32_e32 v7, v165, v7
	v_and_b32_e32 v8, 0x7f800000, v7
	s_delay_alu instid0(VALU_DEP_1) | instskip(NEXT) | instid1(VALU_DEP_1)
	v_cmp_ne_u32_e64 s9, 0x7f800000, v8
                                        ; implicit-def: $vgpr8
                                        ; kill: killed $vgpr8
	s_and_saveexec_b32 s23, s9
	s_delay_alu instid0(SALU_CYCLE_1)
	s_xor_b32 s9, exec_lo, s23
	s_cbranch_execz .LBB450_4039
; %bb.4038:                             ;   in Loop: Header=BB450_3110 Depth=1
	v_bfe_u32 v8, v7, 16, 1
	s_delay_alu instid0(VALU_DEP_1)
	v_add3_u32 v7, v7, v8, 0x7fff
	scratch_store_b32 off, v7, s32 offset:692 ; 4-byte Folded Spill
                                        ; implicit-def: $vgpr7
.LBB450_4039:                           ;   in Loop: Header=BB450_3110 Depth=1
	s_and_not1_saveexec_b32 s23, s9
	s_cbranch_execz .LBB450_4041
; %bb.4040:                             ;   in Loop: Header=BB450_3110 Depth=1
	v_and_b32_e32 v8, 0xffff, v7
	v_or_b32_e32 v9, 0x10000, v7
	s_delay_alu instid0(VALU_DEP_2) | instskip(NEXT) | instid1(VALU_DEP_1)
	v_cmp_eq_u32_e64 s9, 0, v8
	v_cndmask_b32_e64 v7, v9, v7, s9
	scratch_store_b32 off, v7, s32 offset:692 ; 4-byte Folded Spill
.LBB450_4041:                           ;   in Loop: Header=BB450_3110 Depth=1
	s_or_b32 exec_lo, exec_lo, s23
	v_lshlrev_b32_e32 v6, 16, v6
	s_delay_alu instid0(VALU_DEP_1) | instskip(NEXT) | instid1(VALU_DEP_1)
	v_mul_f32_e32 v6, v166, v6
	v_and_b32_e32 v7, 0x7f800000, v6
	s_delay_alu instid0(VALU_DEP_1) | instskip(NEXT) | instid1(VALU_DEP_1)
	v_cmp_ne_u32_e64 s9, 0x7f800000, v7
                                        ; implicit-def: $vgpr7
                                        ; kill: killed $vgpr7
	s_and_saveexec_b32 s23, s9
	s_delay_alu instid0(SALU_CYCLE_1)
	s_xor_b32 s9, exec_lo, s23
	s_cbranch_execz .LBB450_4043
; %bb.4042:                             ;   in Loop: Header=BB450_3110 Depth=1
	v_bfe_u32 v7, v6, 16, 1
	s_delay_alu instid0(VALU_DEP_1)
	v_add3_u32 v6, v6, v7, 0x7fff
	scratch_store_b32 off, v6, s32 offset:700 ; 4-byte Folded Spill
                                        ; implicit-def: $vgpr6
.LBB450_4043:                           ;   in Loop: Header=BB450_3110 Depth=1
	s_and_not1_saveexec_b32 s23, s9
	s_cbranch_execz .LBB450_4045
; %bb.4044:                             ;   in Loop: Header=BB450_3110 Depth=1
	v_and_b32_e32 v7, 0xffff, v6
	v_or_b32_e32 v8, 0x10000, v6
	s_delay_alu instid0(VALU_DEP_2) | instskip(NEXT) | instid1(VALU_DEP_1)
	v_cmp_eq_u32_e64 s9, 0, v7
	v_cndmask_b32_e64 v6, v8, v6, s9
	scratch_store_b32 off, v6, s32 offset:700 ; 4-byte Folded Spill
.LBB450_4045:                           ;   in Loop: Header=BB450_3110 Depth=1
	s_or_b32 exec_lo, exec_lo, s23
	v_lshlrev_b32_e32 v5, 16, v5
	s_delay_alu instid0(VALU_DEP_1) | instskip(NEXT) | instid1(VALU_DEP_1)
	v_mul_f32_e32 v5, v167, v5
	v_and_b32_e32 v6, 0x7f800000, v5
	s_delay_alu instid0(VALU_DEP_1) | instskip(NEXT) | instid1(VALU_DEP_1)
	v_cmp_ne_u32_e64 s9, 0x7f800000, v6
                                        ; implicit-def: $vgpr6
                                        ; kill: killed $vgpr6
	s_and_saveexec_b32 s23, s9
	s_delay_alu instid0(SALU_CYCLE_1)
	s_xor_b32 s9, exec_lo, s23
	s_cbranch_execz .LBB450_4047
; %bb.4046:                             ;   in Loop: Header=BB450_3110 Depth=1
	v_bfe_u32 v6, v5, 16, 1
	s_delay_alu instid0(VALU_DEP_1)
	v_add3_u32 v5, v5, v6, 0x7fff
	scratch_store_b32 off, v5, s32 offset:704 ; 4-byte Folded Spill
                                        ; implicit-def: $vgpr5
.LBB450_4047:                           ;   in Loop: Header=BB450_3110 Depth=1
	s_and_not1_saveexec_b32 s23, s9
	s_cbranch_execz .LBB450_4049
; %bb.4048:                             ;   in Loop: Header=BB450_3110 Depth=1
	v_and_b32_e32 v6, 0xffff, v5
	v_or_b32_e32 v7, 0x10000, v5
	s_delay_alu instid0(VALU_DEP_2) | instskip(NEXT) | instid1(VALU_DEP_1)
	v_cmp_eq_u32_e64 s9, 0, v6
	v_cndmask_b32_e64 v5, v7, v5, s9
	scratch_store_b32 off, v5, s32 offset:704 ; 4-byte Folded Spill
.LBB450_4049:                           ;   in Loop: Header=BB450_3110 Depth=1
	s_or_b32 exec_lo, exec_lo, s23
	v_lshlrev_b32_e32 v4, 16, v4
	s_delay_alu instid0(VALU_DEP_1) | instskip(NEXT) | instid1(VALU_DEP_1)
	v_mul_f32_e32 v4, v176, v4
	v_and_b32_e32 v5, 0x7f800000, v4
	s_delay_alu instid0(VALU_DEP_1) | instskip(NEXT) | instid1(VALU_DEP_1)
	v_cmp_ne_u32_e64 s9, 0x7f800000, v5
                                        ; implicit-def: $vgpr5
                                        ; kill: killed $vgpr5
	s_and_saveexec_b32 s23, s9
	s_delay_alu instid0(SALU_CYCLE_1)
	s_xor_b32 s9, exec_lo, s23
	s_cbranch_execz .LBB450_4051
; %bb.4050:                             ;   in Loop: Header=BB450_3110 Depth=1
	v_bfe_u32 v5, v4, 16, 1
	s_delay_alu instid0(VALU_DEP_1)
	v_add3_u32 v4, v4, v5, 0x7fff
	scratch_store_b32 off, v4, s32 offset:708 ; 4-byte Folded Spill
                                        ; implicit-def: $vgpr4
.LBB450_4051:                           ;   in Loop: Header=BB450_3110 Depth=1
	s_and_not1_saveexec_b32 s23, s9
	s_cbranch_execz .LBB450_4053
; %bb.4052:                             ;   in Loop: Header=BB450_3110 Depth=1
	v_and_b32_e32 v5, 0xffff, v4
	v_or_b32_e32 v6, 0x10000, v4
	s_delay_alu instid0(VALU_DEP_2) | instskip(NEXT) | instid1(VALU_DEP_1)
	v_cmp_eq_u32_e64 s9, 0, v5
	v_cndmask_b32_e64 v4, v6, v4, s9
	scratch_store_b32 off, v4, s32 offset:708 ; 4-byte Folded Spill
.LBB450_4053:                           ;   in Loop: Header=BB450_3110 Depth=1
	s_or_b32 exec_lo, exec_lo, s23
	flat_load_b64 v[6:7], v[2:3] offset:1792
	s_mov_b32 s23, exec_lo
	s_waitcnt vmcnt(0) lgkmcnt(0)
	v_dual_mov_b32 v4, 0 :: v_dual_and_b32 v5, 0xff, v6
	s_delay_alu instid0(VALU_DEP_1)
	v_cmpx_ne_u16_e32 0, v5
	s_cbranch_execz .LBB450_4061
; %bb.4054:                             ;   in Loop: Header=BB450_3110 Depth=1
	v_bfrev_b32_e32 v4, 1
	s_mov_b32 s24, exec_lo
	v_cmpx_ne_u16_e32 0x80, v5
	s_cbranch_execz .LBB450_4060
; %bb.4055:                             ;   in Loop: Header=BB450_3110 Depth=1
	v_and_b32_e32 v5, 0x7f, v6
	v_mov_b32_e32 v4, 0x7f800001
	s_mov_b32 s25, exec_lo
	s_delay_alu instid0(VALU_DEP_2)
	v_cmpx_ne_u32_e32 0x7f, v5
	s_cbranch_execz .LBB450_4059
; %bb.4056:                             ;   in Loop: Header=BB450_3110 Depth=1
	v_lshrrev_b32_e32 v4, 3, v5
	v_dual_mov_b32 v9, v7 :: v_dual_mov_b32 v8, v6
	s_mov_b32 s26, exec_lo
	v_cmpx_gt_u32_e32 8, v5
; %bb.4057:                             ;   in Loop: Header=BB450_3110 Depth=1
	v_and_b32_e32 v4, 7, v6
	s_delay_alu instid0(VALU_DEP_1) | instskip(NEXT) | instid1(VALU_DEP_1)
	v_clz_i32_u32_e32 v4, v4
	v_min_u32_e32 v4, 32, v4
	s_delay_alu instid0(VALU_DEP_1) | instskip(SKIP_1) | instid1(VALU_DEP_2)
	v_subrev_nc_u32_e32 v5, 28, v4
	v_sub_nc_u32_e32 v4, 29, v4
	v_lshlrev_b64 v[8:9], v5, v[6:7]
; %bb.4058:                             ;   in Loop: Header=BB450_3110 Depth=1
	s_or_b32 exec_lo, exec_lo, s26
	s_delay_alu instid0(VALU_DEP_1) | instskip(SKIP_2) | instid1(VALU_DEP_3)
	v_lshlrev_b32_e32 v5, 20, v8
	v_lshlrev_b32_e32 v8, 24, v6
	v_lshl_add_u32 v4, v4, 23, 0x3c000000
	v_and_b32_e32 v5, 0x700000, v5
	s_delay_alu instid0(VALU_DEP_3) | instskip(NEXT) | instid1(VALU_DEP_1)
	v_and_b32_e32 v8, 0x80000000, v8
	v_or3_b32 v4, v5, v8, v4
.LBB450_4059:                           ;   in Loop: Header=BB450_3110 Depth=1
	s_or_b32 exec_lo, exec_lo, s25
.LBB450_4060:                           ;   in Loop: Header=BB450_3110 Depth=1
	s_delay_alu instid0(SALU_CYCLE_1)
	s_or_b32 exec_lo, exec_lo, s24
.LBB450_4061:                           ;   in Loop: Header=BB450_3110 Depth=1
	s_delay_alu instid0(SALU_CYCLE_1) | instskip(NEXT) | instid1(VALU_DEP_1)
	s_or_b32 exec_lo, exec_lo, s23
	v_mul_f32_e32 v5, v160, v4
	s_delay_alu instid0(VALU_DEP_1) | instskip(NEXT) | instid1(VALU_DEP_1)
	v_and_b32_e32 v4, 0x7f800000, v5
	v_cmp_ne_u32_e64 s9, 0x7f800000, v4
                                        ; implicit-def: $vgpr4
	s_delay_alu instid0(VALU_DEP_1) | instskip(NEXT) | instid1(SALU_CYCLE_1)
	s_and_saveexec_b32 s23, s9
	s_xor_b32 s9, exec_lo, s23
; %bb.4062:                             ;   in Loop: Header=BB450_3110 Depth=1
	v_bfe_u32 v4, v5, 16, 1
	s_delay_alu instid0(VALU_DEP_1)
	v_add3_u32 v4, v5, v4, 0x7fff
                                        ; implicit-def: $vgpr5
; %bb.4063:                             ;   in Loop: Header=BB450_3110 Depth=1
	s_and_not1_saveexec_b32 s23, s9
; %bb.4064:                             ;   in Loop: Header=BB450_3110 Depth=1
	v_and_b32_e32 v4, 0xffff, v5
	v_or_b32_e32 v8, 0x10000, v5
	s_delay_alu instid0(VALU_DEP_2) | instskip(NEXT) | instid1(VALU_DEP_1)
	v_cmp_eq_u32_e64 s9, 0, v4
	v_cndmask_b32_e64 v4, v8, v5, s9
; %bb.4065:                             ;   in Loop: Header=BB450_3110 Depth=1
	s_or_b32 exec_lo, exec_lo, s23
	v_lshrrev_b16 v8, 8, v6
	v_mov_b32_e32 v5, 0
	s_mov_b32 s23, exec_lo
	s_delay_alu instid0(VALU_DEP_2)
	v_cmpx_ne_u16_e32 0, v8
	s_cbranch_execz .LBB450_4073
; %bb.4066:                             ;   in Loop: Header=BB450_3110 Depth=1
	v_bfrev_b32_e32 v5, 1
	s_mov_b32 s24, exec_lo
	v_cmpx_ne_u16_e32 0x80, v8
	s_cbranch_execz .LBB450_4072
; %bb.4067:                             ;   in Loop: Header=BB450_3110 Depth=1
	v_and_b32_e32 v9, 0xffff, v8
	v_mov_b32_e32 v5, 0x7f800001
	s_mov_b32 s25, exec_lo
	s_delay_alu instid0(VALU_DEP_2) | instskip(NEXT) | instid1(VALU_DEP_1)
	v_and_b32_e32 v8, 0x7f, v9
	v_cmpx_ne_u32_e32 0x7f, v8
	s_cbranch_execz .LBB450_4071
; %bb.4068:                             ;   in Loop: Header=BB450_3110 Depth=1
	v_and_b32_e32 v12, 7, v9
	v_lshrrev_b32_e32 v5, 3, v8
	v_cmp_gt_u32_e64 s9, 8, v8
	s_delay_alu instid0(VALU_DEP_3) | instskip(NEXT) | instid1(VALU_DEP_2)
	v_dual_mov_b32 v8, v12 :: v_dual_mov_b32 v9, v13
	s_and_saveexec_b32 s26, s9
; %bb.4069:                             ;   in Loop: Header=BB450_3110 Depth=1
	v_clz_i32_u32_e32 v5, v12
	s_delay_alu instid0(VALU_DEP_1) | instskip(NEXT) | instid1(VALU_DEP_1)
	v_min_u32_e32 v5, 32, v5
	v_subrev_nc_u32_e32 v8, 28, v5
	v_sub_nc_u32_e32 v5, 29, v5
	s_delay_alu instid0(VALU_DEP_2) | instskip(NEXT) | instid1(VALU_DEP_1)
	v_lshlrev_b64 v[8:9], v8, v[12:13]
	v_and_b32_e32 v8, 7, v8
; %bb.4070:                             ;   in Loop: Header=BB450_3110 Depth=1
	s_or_b32 exec_lo, exec_lo, s26
	v_lshlrev_b32_e32 v9, 16, v6
	s_delay_alu instid0(VALU_DEP_2) | instskip(SKIP_1) | instid1(VALU_DEP_3)
	v_lshlrev_b32_e32 v8, 20, v8
	v_lshl_add_u32 v5, v5, 23, 0x3c000000
	v_and_b32_e32 v9, 0x80000000, v9
	s_delay_alu instid0(VALU_DEP_1)
	v_or3_b32 v5, v8, v9, v5
.LBB450_4071:                           ;   in Loop: Header=BB450_3110 Depth=1
	s_or_b32 exec_lo, exec_lo, s25
.LBB450_4072:                           ;   in Loop: Header=BB450_3110 Depth=1
	s_delay_alu instid0(SALU_CYCLE_1)
	s_or_b32 exec_lo, exec_lo, s24
.LBB450_4073:                           ;   in Loop: Header=BB450_3110 Depth=1
	s_delay_alu instid0(SALU_CYCLE_1) | instskip(NEXT) | instid1(VALU_DEP_1)
	s_or_b32 exec_lo, exec_lo, s23
	v_mul_f32_e32 v8, v160, v5
	s_delay_alu instid0(VALU_DEP_1) | instskip(NEXT) | instid1(VALU_DEP_1)
	v_and_b32_e32 v5, 0x7f800000, v8
	v_cmp_ne_u32_e64 s9, 0x7f800000, v5
                                        ; implicit-def: $vgpr5
	s_delay_alu instid0(VALU_DEP_1) | instskip(NEXT) | instid1(SALU_CYCLE_1)
	s_and_saveexec_b32 s23, s9
	s_xor_b32 s9, exec_lo, s23
; %bb.4074:                             ;   in Loop: Header=BB450_3110 Depth=1
	v_bfe_u32 v5, v8, 16, 1
	s_delay_alu instid0(VALU_DEP_1)
	v_add3_u32 v5, v8, v5, 0x7fff
                                        ; implicit-def: $vgpr8
; %bb.4075:                             ;   in Loop: Header=BB450_3110 Depth=1
	s_and_not1_saveexec_b32 s23, s9
; %bb.4076:                             ;   in Loop: Header=BB450_3110 Depth=1
	v_and_b32_e32 v5, 0xffff, v8
	v_or_b32_e32 v9, 0x10000, v8
	s_delay_alu instid0(VALU_DEP_2) | instskip(NEXT) | instid1(VALU_DEP_1)
	v_cmp_eq_u32_e64 s9, 0, v5
	v_cndmask_b32_e64 v5, v9, v8, s9
; %bb.4077:                             ;   in Loop: Header=BB450_3110 Depth=1
	s_or_b32 exec_lo, exec_lo, s23
	v_lshrrev_b32_e32 v10, 16, v6
	s_mov_b32 s23, exec_lo
	s_delay_alu instid0(VALU_DEP_1) | instskip(NEXT) | instid1(VALU_DEP_1)
	v_dual_mov_b32 v8, 0 :: v_dual_and_b32 v9, 0xff, v10
	v_cmpx_ne_u16_e32 0, v9
	s_cbranch_execz .LBB450_4085
; %bb.4078:                             ;   in Loop: Header=BB450_3110 Depth=1
	v_bfrev_b32_e32 v8, 1
	s_mov_b32 s24, exec_lo
	v_cmpx_ne_u16_e32 0x80, v9
	s_cbranch_execz .LBB450_4084
; %bb.4079:                             ;   in Loop: Header=BB450_3110 Depth=1
	v_bfe_u32 v9, v6, 16, 7
	v_mov_b32_e32 v8, 0x7f800001
	s_mov_b32 s25, exec_lo
	s_delay_alu instid0(VALU_DEP_2)
	v_cmpx_ne_u32_e32 0x7f, v9
	s_cbranch_execz .LBB450_4083
; %bb.4080:                             ;   in Loop: Header=BB450_3110 Depth=1
	v_and_b32_e32 v12, 7, v10
	v_lshrrev_b32_e32 v11, 3, v9
	v_cmp_gt_u32_e64 s9, 8, v9
	s_delay_alu instid0(VALU_DEP_3) | instskip(NEXT) | instid1(VALU_DEP_2)
	v_dual_mov_b32 v8, v12 :: v_dual_mov_b32 v9, v13
	s_and_saveexec_b32 s26, s9
; %bb.4081:                             ;   in Loop: Header=BB450_3110 Depth=1
	v_clz_i32_u32_e32 v8, v12
	s_delay_alu instid0(VALU_DEP_1) | instskip(NEXT) | instid1(VALU_DEP_1)
	v_min_u32_e32 v11, 32, v8
	v_subrev_nc_u32_e32 v8, 28, v11
	v_sub_nc_u32_e32 v11, 29, v11
	s_delay_alu instid0(VALU_DEP_2) | instskip(NEXT) | instid1(VALU_DEP_1)
	v_lshlrev_b64 v[8:9], v8, v[12:13]
	v_and_b32_e32 v8, 7, v8
; %bb.4082:                             ;   in Loop: Header=BB450_3110 Depth=1
	s_or_b32 exec_lo, exec_lo, s26
	v_lshlrev_b32_e32 v9, 24, v10
	s_delay_alu instid0(VALU_DEP_2) | instskip(SKIP_1) | instid1(VALU_DEP_3)
	v_lshlrev_b32_e32 v8, 20, v8
	v_lshl_add_u32 v10, v11, 23, 0x3c000000
	v_and_b32_e32 v9, 0x80000000, v9
	s_delay_alu instid0(VALU_DEP_1)
	v_or3_b32 v8, v8, v9, v10
.LBB450_4083:                           ;   in Loop: Header=BB450_3110 Depth=1
	s_or_b32 exec_lo, exec_lo, s25
.LBB450_4084:                           ;   in Loop: Header=BB450_3110 Depth=1
	s_delay_alu instid0(SALU_CYCLE_1)
	s_or_b32 exec_lo, exec_lo, s24
.LBB450_4085:                           ;   in Loop: Header=BB450_3110 Depth=1
	s_delay_alu instid0(SALU_CYCLE_1) | instskip(NEXT) | instid1(VALU_DEP_1)
	s_or_b32 exec_lo, exec_lo, s23
	v_mul_f32_e32 v8, v160, v8
                                        ; implicit-def: $vgpr10
	s_delay_alu instid0(VALU_DEP_1) | instskip(NEXT) | instid1(VALU_DEP_1)
	v_and_b32_e32 v9, 0x7f800000, v8
	v_cmp_ne_u32_e64 s9, 0x7f800000, v9
	s_delay_alu instid0(VALU_DEP_1) | instskip(NEXT) | instid1(SALU_CYCLE_1)
	s_and_saveexec_b32 s23, s9
	s_xor_b32 s9, exec_lo, s23
; %bb.4086:                             ;   in Loop: Header=BB450_3110 Depth=1
	v_bfe_u32 v9, v8, 16, 1
	s_delay_alu instid0(VALU_DEP_1)
	v_add3_u32 v10, v8, v9, 0x7fff
                                        ; implicit-def: $vgpr8
; %bb.4087:                             ;   in Loop: Header=BB450_3110 Depth=1
	s_and_not1_saveexec_b32 s23, s9
; %bb.4088:                             ;   in Loop: Header=BB450_3110 Depth=1
	v_and_b32_e32 v9, 0xffff, v8
	v_or_b32_e32 v10, 0x10000, v8
	s_delay_alu instid0(VALU_DEP_2) | instskip(NEXT) | instid1(VALU_DEP_1)
	v_cmp_eq_u32_e64 s9, 0, v9
	v_cndmask_b32_e64 v10, v10, v8, s9
; %bb.4089:                             ;   in Loop: Header=BB450_3110 Depth=1
	s_or_b32 exec_lo, exec_lo, s23
	v_mov_b32_e32 v8, 0
	s_mov_b32 s23, exec_lo
	v_cmpx_lt_u32_e32 0xffffff, v6
	s_cbranch_execz .LBB450_4097
; %bb.4090:                             ;   in Loop: Header=BB450_3110 Depth=1
	v_lshrrev_b32_e32 v11, 24, v6
	v_bfrev_b32_e32 v8, 1
	s_mov_b32 s24, exec_lo
	s_delay_alu instid0(VALU_DEP_2)
	v_cmpx_ne_u32_e32 0x80, v11
	s_cbranch_execz .LBB450_4096
; %bb.4091:                             ;   in Loop: Header=BB450_3110 Depth=1
	v_bfe_u32 v9, v6, 24, 7
	v_mov_b32_e32 v8, 0x7f800001
	s_mov_b32 s25, exec_lo
	s_delay_alu instid0(VALU_DEP_2)
	v_cmpx_ne_u32_e32 0x7f, v9
	s_cbranch_execz .LBB450_4095
; %bb.4092:                             ;   in Loop: Header=BB450_3110 Depth=1
	v_and_b32_e32 v12, 7, v11
	v_lshrrev_b32_e32 v16, 3, v9
	v_cmp_gt_u32_e64 s9, 8, v9
	s_delay_alu instid0(VALU_DEP_3) | instskip(NEXT) | instid1(VALU_DEP_2)
	v_dual_mov_b32 v8, v12 :: v_dual_mov_b32 v9, v13
	s_and_saveexec_b32 s26, s9
; %bb.4093:                             ;   in Loop: Header=BB450_3110 Depth=1
	v_clz_i32_u32_e32 v8, v12
	s_delay_alu instid0(VALU_DEP_1) | instskip(NEXT) | instid1(VALU_DEP_1)
	v_min_u32_e32 v16, 32, v8
	v_subrev_nc_u32_e32 v8, 28, v16
	v_sub_nc_u32_e32 v16, 29, v16
	s_delay_alu instid0(VALU_DEP_2) | instskip(NEXT) | instid1(VALU_DEP_1)
	v_lshlrev_b64 v[8:9], v8, v[12:13]
	v_and_b32_e32 v8, 7, v8
; %bb.4094:                             ;   in Loop: Header=BB450_3110 Depth=1
	s_or_b32 exec_lo, exec_lo, s26
	v_lshlrev_b32_e32 v9, 24, v11
	s_delay_alu instid0(VALU_DEP_2) | instskip(SKIP_1) | instid1(VALU_DEP_3)
	v_lshlrev_b32_e32 v8, 20, v8
	v_lshl_add_u32 v11, v16, 23, 0x3c000000
	v_and_b32_e32 v9, 0x80000000, v9
	s_delay_alu instid0(VALU_DEP_1)
	v_or3_b32 v8, v8, v9, v11
.LBB450_4095:                           ;   in Loop: Header=BB450_3110 Depth=1
	s_or_b32 exec_lo, exec_lo, s25
.LBB450_4096:                           ;   in Loop: Header=BB450_3110 Depth=1
	s_delay_alu instid0(SALU_CYCLE_1)
	s_or_b32 exec_lo, exec_lo, s24
.LBB450_4097:                           ;   in Loop: Header=BB450_3110 Depth=1
	s_delay_alu instid0(SALU_CYCLE_1) | instskip(NEXT) | instid1(VALU_DEP_1)
	s_or_b32 exec_lo, exec_lo, s23
	v_mul_f32_e32 v8, v160, v8
                                        ; implicit-def: $vgpr11
	s_delay_alu instid0(VALU_DEP_1) | instskip(NEXT) | instid1(VALU_DEP_1)
	v_and_b32_e32 v9, 0x7f800000, v8
	v_cmp_ne_u32_e64 s9, 0x7f800000, v9
	s_delay_alu instid0(VALU_DEP_1) | instskip(NEXT) | instid1(SALU_CYCLE_1)
	s_and_saveexec_b32 s23, s9
	s_xor_b32 s9, exec_lo, s23
; %bb.4098:                             ;   in Loop: Header=BB450_3110 Depth=1
	v_bfe_u32 v9, v8, 16, 1
	s_delay_alu instid0(VALU_DEP_1)
	v_add3_u32 v11, v8, v9, 0x7fff
                                        ; implicit-def: $vgpr8
; %bb.4099:                             ;   in Loop: Header=BB450_3110 Depth=1
	s_and_not1_saveexec_b32 s23, s9
; %bb.4100:                             ;   in Loop: Header=BB450_3110 Depth=1
	v_and_b32_e32 v9, 0xffff, v8
	v_or_b32_e32 v11, 0x10000, v8
	s_delay_alu instid0(VALU_DEP_2) | instskip(NEXT) | instid1(VALU_DEP_1)
	v_cmp_eq_u32_e64 s9, 0, v9
	v_cndmask_b32_e64 v11, v11, v8, s9
; %bb.4101:                             ;   in Loop: Header=BB450_3110 Depth=1
	s_or_b32 exec_lo, exec_lo, s23
	v_dual_mov_b32 v12, v7 :: v_dual_and_b32 v9, 0xff, v7
	v_mov_b32_e32 v8, 0
	s_mov_b32 s23, exec_lo
	s_delay_alu instid0(VALU_DEP_2)
	v_cmpx_ne_u16_e32 0, v9
	s_cbranch_execz .LBB450_4109
; %bb.4102:                             ;   in Loop: Header=BB450_3110 Depth=1
	v_bfrev_b32_e32 v8, 1
	s_mov_b32 s24, exec_lo
	v_cmpx_ne_u16_e32 0x80, v9
	s_cbranch_execz .LBB450_4108
; %bb.4103:                             ;   in Loop: Header=BB450_3110 Depth=1
	v_and_b32_e32 v9, 0x7f, v7
	v_mov_b32_e32 v8, 0x7f800001
	s_mov_b32 s25, exec_lo
	s_delay_alu instid0(VALU_DEP_2)
	v_cmpx_ne_u32_e32 0x7f, v9
	s_cbranch_execz .LBB450_4107
; %bb.4104:                             ;   in Loop: Header=BB450_3110 Depth=1
	v_lshrrev_b32_e32 v16, 3, v9
	v_cmp_gt_u32_e64 s9, 8, v9
	v_dual_mov_b32 v8, v12 :: v_dual_mov_b32 v9, v13
	s_delay_alu instid0(VALU_DEP_2)
	s_and_saveexec_b32 s26, s9
; %bb.4105:                             ;   in Loop: Header=BB450_3110 Depth=1
	v_and_b32_e32 v8, 7, v7
	s_delay_alu instid0(VALU_DEP_1) | instskip(NEXT) | instid1(VALU_DEP_1)
	v_clz_i32_u32_e32 v8, v8
	v_min_u32_e32 v16, 32, v8
	s_delay_alu instid0(VALU_DEP_1) | instskip(SKIP_1) | instid1(VALU_DEP_2)
	v_subrev_nc_u32_e32 v8, 28, v16
	v_sub_nc_u32_e32 v16, 29, v16
	v_lshlrev_b64 v[8:9], v8, v[12:13]
; %bb.4106:                             ;   in Loop: Header=BB450_3110 Depth=1
	s_or_b32 exec_lo, exec_lo, s26
	s_delay_alu instid0(VALU_DEP_1) | instskip(SKIP_2) | instid1(VALU_DEP_3)
	v_lshlrev_b32_e32 v8, 20, v8
	v_lshlrev_b32_e32 v9, 24, v12
	v_lshl_add_u32 v16, v16, 23, 0x3c000000
	v_and_b32_e32 v8, 0x700000, v8
	s_delay_alu instid0(VALU_DEP_3) | instskip(NEXT) | instid1(VALU_DEP_1)
	v_and_b32_e32 v9, 0x80000000, v9
	v_or3_b32 v8, v8, v9, v16
.LBB450_4107:                           ;   in Loop: Header=BB450_3110 Depth=1
	s_or_b32 exec_lo, exec_lo, s25
.LBB450_4108:                           ;   in Loop: Header=BB450_3110 Depth=1
	s_delay_alu instid0(SALU_CYCLE_1)
	s_or_b32 exec_lo, exec_lo, s24
.LBB450_4109:                           ;   in Loop: Header=BB450_3110 Depth=1
	s_delay_alu instid0(SALU_CYCLE_1) | instskip(NEXT) | instid1(VALU_DEP_1)
	s_or_b32 exec_lo, exec_lo, s23
	v_mul_f32_e32 v8, v160, v8
                                        ; implicit-def: $vgpr16
	s_delay_alu instid0(VALU_DEP_1) | instskip(NEXT) | instid1(VALU_DEP_1)
	v_and_b32_e32 v9, 0x7f800000, v8
	v_cmp_ne_u32_e64 s9, 0x7f800000, v9
	s_delay_alu instid0(VALU_DEP_1) | instskip(NEXT) | instid1(SALU_CYCLE_1)
	s_and_saveexec_b32 s23, s9
	s_xor_b32 s9, exec_lo, s23
; %bb.4110:                             ;   in Loop: Header=BB450_3110 Depth=1
	v_bfe_u32 v9, v8, 16, 1
	s_delay_alu instid0(VALU_DEP_1)
	v_add3_u32 v16, v8, v9, 0x7fff
                                        ; implicit-def: $vgpr8
; %bb.4111:                             ;   in Loop: Header=BB450_3110 Depth=1
	s_and_not1_saveexec_b32 s23, s9
; %bb.4112:                             ;   in Loop: Header=BB450_3110 Depth=1
	v_and_b32_e32 v9, 0xffff, v8
	v_or_b32_e32 v16, 0x10000, v8
	s_delay_alu instid0(VALU_DEP_2) | instskip(NEXT) | instid1(VALU_DEP_1)
	v_cmp_eq_u32_e64 s9, 0, v9
	v_cndmask_b32_e64 v16, v16, v8, s9
; %bb.4113:                             ;   in Loop: Header=BB450_3110 Depth=1
	s_or_b32 exec_lo, exec_lo, s23
	v_lshrrev_b16 v9, 8, v12
	v_mov_b32_e32 v8, 0
	s_mov_b32 s23, exec_lo
	s_delay_alu instid0(VALU_DEP_2)
	v_cmpx_ne_u16_e32 0, v9
	s_cbranch_execz .LBB450_4121
; %bb.4114:                             ;   in Loop: Header=BB450_3110 Depth=1
	v_bfrev_b32_e32 v8, 1
	s_mov_b32 s24, exec_lo
	v_cmpx_ne_u16_e32 0x80, v9
	s_cbranch_execz .LBB450_4120
; %bb.4115:                             ;   in Loop: Header=BB450_3110 Depth=1
	v_and_b32_e32 v9, 0xffff, v9
	v_mov_b32_e32 v8, 0x7f800001
	s_mov_b32 s25, exec_lo
	s_delay_alu instid0(VALU_DEP_2) | instskip(NEXT) | instid1(VALU_DEP_1)
	v_and_b32_e32 v19, 0x7f, v9
	v_cmpx_ne_u32_e32 0x7f, v19
	s_cbranch_execz .LBB450_4119
; %bb.4116:                             ;   in Loop: Header=BB450_3110 Depth=1
	v_dual_mov_b32 v9, v13 :: v_dual_and_b32 v8, 7, v9
	v_lshrrev_b32_e32 v18, 3, v19
	s_mov_b32 s26, exec_lo
	v_cmpx_gt_u32_e32 8, v19
; %bb.4117:                             ;   in Loop: Header=BB450_3110 Depth=1
	s_delay_alu instid0(VALU_DEP_3) | instskip(NEXT) | instid1(VALU_DEP_1)
	v_clz_i32_u32_e32 v18, v8
	v_min_u32_e32 v18, 32, v18
	s_delay_alu instid0(VALU_DEP_1) | instskip(SKIP_1) | instid1(VALU_DEP_2)
	v_subrev_nc_u32_e32 v19, 28, v18
	v_sub_nc_u32_e32 v18, 29, v18
	v_lshlrev_b64 v[8:9], v19, v[8:9]
	s_delay_alu instid0(VALU_DEP_1)
	v_and_b32_e32 v8, 7, v8
; %bb.4118:                             ;   in Loop: Header=BB450_3110 Depth=1
	s_or_b32 exec_lo, exec_lo, s26
	v_lshlrev_b32_e32 v9, 16, v12
	s_delay_alu instid0(VALU_DEP_2) | instskip(SKIP_1) | instid1(VALU_DEP_3)
	v_lshlrev_b32_e32 v8, 20, v8
	v_lshl_add_u32 v12, v18, 23, 0x3c000000
	v_and_b32_e32 v9, 0x80000000, v9
	s_delay_alu instid0(VALU_DEP_1)
	v_or3_b32 v8, v8, v9, v12
.LBB450_4119:                           ;   in Loop: Header=BB450_3110 Depth=1
	s_or_b32 exec_lo, exec_lo, s25
.LBB450_4120:                           ;   in Loop: Header=BB450_3110 Depth=1
	s_delay_alu instid0(SALU_CYCLE_1)
	s_or_b32 exec_lo, exec_lo, s24
.LBB450_4121:                           ;   in Loop: Header=BB450_3110 Depth=1
	s_delay_alu instid0(SALU_CYCLE_1) | instskip(NEXT) | instid1(VALU_DEP_1)
	s_or_b32 exec_lo, exec_lo, s23
	v_mul_f32_e32 v8, v160, v8
                                        ; implicit-def: $vgpr18
	s_delay_alu instid0(VALU_DEP_1) | instskip(NEXT) | instid1(VALU_DEP_1)
	v_and_b32_e32 v9, 0x7f800000, v8
	v_cmp_ne_u32_e64 s9, 0x7f800000, v9
	s_delay_alu instid0(VALU_DEP_1) | instskip(NEXT) | instid1(SALU_CYCLE_1)
	s_and_saveexec_b32 s23, s9
	s_xor_b32 s9, exec_lo, s23
; %bb.4122:                             ;   in Loop: Header=BB450_3110 Depth=1
	v_bfe_u32 v9, v8, 16, 1
	s_delay_alu instid0(VALU_DEP_1)
	v_add3_u32 v18, v8, v9, 0x7fff
                                        ; implicit-def: $vgpr8
; %bb.4123:                             ;   in Loop: Header=BB450_3110 Depth=1
	s_and_not1_saveexec_b32 s23, s9
; %bb.4124:                             ;   in Loop: Header=BB450_3110 Depth=1
	v_and_b32_e32 v9, 0xffff, v8
	v_or_b32_e32 v12, 0x10000, v8
	s_delay_alu instid0(VALU_DEP_2) | instskip(NEXT) | instid1(VALU_DEP_1)
	v_cmp_eq_u32_e64 s9, 0, v9
	v_cndmask_b32_e64 v18, v12, v8, s9
; %bb.4125:                             ;   in Loop: Header=BB450_3110 Depth=1
	s_or_b32 exec_lo, exec_lo, s23
	v_lshrrev_b32_e32 v19, 16, v7
	s_mov_b32 s23, exec_lo
	s_delay_alu instid0(VALU_DEP_1) | instskip(NEXT) | instid1(VALU_DEP_1)
	v_dual_mov_b32 v8, 0 :: v_dual_and_b32 v9, 0xff, v19
	v_cmpx_ne_u16_e32 0, v9
	s_cbranch_execz .LBB450_4133
; %bb.4126:                             ;   in Loop: Header=BB450_3110 Depth=1
	v_bfrev_b32_e32 v8, 1
	s_mov_b32 s24, exec_lo
	v_cmpx_ne_u16_e32 0x80, v9
	s_cbranch_execz .LBB450_4132
; %bb.4127:                             ;   in Loop: Header=BB450_3110 Depth=1
	v_bfe_u32 v9, v7, 16, 7
	v_mov_b32_e32 v8, 0x7f800001
	s_mov_b32 s25, exec_lo
	s_delay_alu instid0(VALU_DEP_2)
	v_cmpx_ne_u32_e32 0x7f, v9
	s_cbranch_execz .LBB450_4131
; %bb.4128:                             ;   in Loop: Header=BB450_3110 Depth=1
	v_and_b32_e32 v12, 7, v19
	v_lshrrev_b32_e32 v20, 3, v9
	v_cmp_gt_u32_e64 s9, 8, v9
	s_delay_alu instid0(VALU_DEP_3) | instskip(NEXT) | instid1(VALU_DEP_2)
	v_dual_mov_b32 v8, v12 :: v_dual_mov_b32 v9, v13
	s_and_saveexec_b32 s26, s9
; %bb.4129:                             ;   in Loop: Header=BB450_3110 Depth=1
	v_clz_i32_u32_e32 v8, v12
	s_delay_alu instid0(VALU_DEP_1) | instskip(NEXT) | instid1(VALU_DEP_1)
	v_min_u32_e32 v20, 32, v8
	v_subrev_nc_u32_e32 v8, 28, v20
	v_sub_nc_u32_e32 v20, 29, v20
	s_delay_alu instid0(VALU_DEP_2) | instskip(NEXT) | instid1(VALU_DEP_1)
	v_lshlrev_b64 v[8:9], v8, v[12:13]
	v_and_b32_e32 v8, 7, v8
; %bb.4130:                             ;   in Loop: Header=BB450_3110 Depth=1
	s_or_b32 exec_lo, exec_lo, s26
	v_lshlrev_b32_e32 v9, 24, v19
	s_delay_alu instid0(VALU_DEP_2) | instskip(SKIP_1) | instid1(VALU_DEP_3)
	v_lshlrev_b32_e32 v8, 20, v8
	v_lshl_add_u32 v12, v20, 23, 0x3c000000
	v_and_b32_e32 v9, 0x80000000, v9
	s_delay_alu instid0(VALU_DEP_1)
	v_or3_b32 v8, v8, v9, v12
.LBB450_4131:                           ;   in Loop: Header=BB450_3110 Depth=1
	s_or_b32 exec_lo, exec_lo, s25
.LBB450_4132:                           ;   in Loop: Header=BB450_3110 Depth=1
	s_delay_alu instid0(SALU_CYCLE_1)
	s_or_b32 exec_lo, exec_lo, s24
.LBB450_4133:                           ;   in Loop: Header=BB450_3110 Depth=1
	s_delay_alu instid0(SALU_CYCLE_1) | instskip(NEXT) | instid1(VALU_DEP_1)
	s_or_b32 exec_lo, exec_lo, s23
	v_mul_f32_e32 v8, v160, v8
	s_delay_alu instid0(VALU_DEP_1) | instskip(NEXT) | instid1(VALU_DEP_1)
	v_and_b32_e32 v9, 0x7f800000, v8
	v_cmp_ne_u32_e64 s9, 0x7f800000, v9
                                        ; implicit-def: $vgpr9
	s_delay_alu instid0(VALU_DEP_1) | instskip(NEXT) | instid1(SALU_CYCLE_1)
	s_and_saveexec_b32 s23, s9
	s_xor_b32 s9, exec_lo, s23
; %bb.4134:                             ;   in Loop: Header=BB450_3110 Depth=1
	v_bfe_u32 v9, v8, 16, 1
	s_delay_alu instid0(VALU_DEP_1)
	v_add3_u32 v9, v8, v9, 0x7fff
                                        ; implicit-def: $vgpr8
; %bb.4135:                             ;   in Loop: Header=BB450_3110 Depth=1
	s_and_not1_saveexec_b32 s23, s9
; %bb.4136:                             ;   in Loop: Header=BB450_3110 Depth=1
	v_and_b32_e32 v9, 0xffff, v8
	v_or_b32_e32 v12, 0x10000, v8
	s_delay_alu instid0(VALU_DEP_2) | instskip(NEXT) | instid1(VALU_DEP_1)
	v_cmp_eq_u32_e64 s9, 0, v9
	v_cndmask_b32_e64 v9, v12, v8, s9
; %bb.4137:                             ;   in Loop: Header=BB450_3110 Depth=1
	s_or_b32 exec_lo, exec_lo, s23
	v_cmp_lt_u64_e64 s9, s[18:19], v[6:7]
	v_mov_b32_e32 v6, 0
	s_delay_alu instid0(VALU_DEP_2)
	s_and_saveexec_b32 s23, s9
	s_cbranch_execz .LBB450_4145
; %bb.4138:                             ;   in Loop: Header=BB450_3110 Depth=1
	v_lshrrev_b32_e32 v8, 24, v7
	v_bfrev_b32_e32 v6, 1
	s_mov_b32 s24, exec_lo
	s_delay_alu instid0(VALU_DEP_2)
	v_cmpx_ne_u32_e32 0x80, v8
	s_cbranch_execz .LBB450_4144
; %bb.4139:                             ;   in Loop: Header=BB450_3110 Depth=1
	v_bfe_u32 v7, v7, 24, 7
	v_mov_b32_e32 v6, 0x7f800001
	s_mov_b32 s25, exec_lo
	s_delay_alu instid0(VALU_DEP_2)
	v_cmpx_ne_u32_e32 0x7f, v7
	s_cbranch_execz .LBB450_4143
; %bb.4140:                             ;   in Loop: Header=BB450_3110 Depth=1
	v_and_b32_e32 v12, 7, v8
	v_lshrrev_b32_e32 v19, 3, v7
	v_cmp_gt_u32_e64 s9, 8, v7
	s_delay_alu instid0(VALU_DEP_3) | instskip(NEXT) | instid1(VALU_DEP_2)
	v_dual_mov_b32 v6, v12 :: v_dual_mov_b32 v7, v13
	s_and_saveexec_b32 s26, s9
; %bb.4141:                             ;   in Loop: Header=BB450_3110 Depth=1
	v_clz_i32_u32_e32 v6, v12
	s_delay_alu instid0(VALU_DEP_1) | instskip(NEXT) | instid1(VALU_DEP_1)
	v_min_u32_e32 v19, 32, v6
	v_subrev_nc_u32_e32 v6, 28, v19
	v_sub_nc_u32_e32 v19, 29, v19
	s_delay_alu instid0(VALU_DEP_2) | instskip(NEXT) | instid1(VALU_DEP_1)
	v_lshlrev_b64 v[6:7], v6, v[12:13]
	v_and_b32_e32 v6, 7, v6
; %bb.4142:                             ;   in Loop: Header=BB450_3110 Depth=1
	s_or_b32 exec_lo, exec_lo, s26
	v_lshlrev_b32_e32 v7, 24, v8
	s_delay_alu instid0(VALU_DEP_2) | instskip(SKIP_1) | instid1(VALU_DEP_3)
	v_lshlrev_b32_e32 v6, 20, v6
	v_lshl_add_u32 v8, v19, 23, 0x3c000000
	v_and_b32_e32 v7, 0x80000000, v7
	s_delay_alu instid0(VALU_DEP_1)
	v_or3_b32 v6, v6, v7, v8
.LBB450_4143:                           ;   in Loop: Header=BB450_3110 Depth=1
	s_or_b32 exec_lo, exec_lo, s25
.LBB450_4144:                           ;   in Loop: Header=BB450_3110 Depth=1
	s_delay_alu instid0(SALU_CYCLE_1)
	s_or_b32 exec_lo, exec_lo, s24
.LBB450_4145:                           ;   in Loop: Header=BB450_3110 Depth=1
	s_delay_alu instid0(SALU_CYCLE_1) | instskip(NEXT) | instid1(VALU_DEP_1)
	s_or_b32 exec_lo, exec_lo, s23
	v_mul_f32_e32 v6, v160, v6
                                        ; implicit-def: $vgpr19
	s_delay_alu instid0(VALU_DEP_1) | instskip(NEXT) | instid1(VALU_DEP_1)
	v_and_b32_e32 v7, 0x7f800000, v6
	v_cmp_ne_u32_e64 s9, 0x7f800000, v7
	s_delay_alu instid0(VALU_DEP_1) | instskip(NEXT) | instid1(SALU_CYCLE_1)
	s_and_saveexec_b32 s23, s9
	s_xor_b32 s9, exec_lo, s23
; %bb.4146:                             ;   in Loop: Header=BB450_3110 Depth=1
	v_bfe_u32 v7, v6, 16, 1
	s_delay_alu instid0(VALU_DEP_1)
	v_add3_u32 v19, v6, v7, 0x7fff
                                        ; implicit-def: $vgpr6
; %bb.4147:                             ;   in Loop: Header=BB450_3110 Depth=1
	s_and_not1_saveexec_b32 s23, s9
; %bb.4148:                             ;   in Loop: Header=BB450_3110 Depth=1
	v_and_b32_e32 v7, 0xffff, v6
	v_or_b32_e32 v8, 0x10000, v6
	s_delay_alu instid0(VALU_DEP_2) | instskip(NEXT) | instid1(VALU_DEP_1)
	v_cmp_eq_u32_e64 s9, 0, v7
	v_cndmask_b32_e64 v19, v8, v6, s9
; %bb.4149:                             ;   in Loop: Header=BB450_3110 Depth=1
	s_or_b32 exec_lo, exec_lo, s23
	v_lshrrev_b32_e32 v6, 16, v18
	v_lshrrev_b32_e32 v7, 16, v16
	;; [unrolled: 1-line block ×8, first 2 shown]
	s_and_saveexec_b32 s9, s1
; %bb.4150:                             ;   in Loop: Header=BB450_3110 Depth=1
	s_delay_alu instid0(VALU_DEP_3)
	v_cndmask_b32_e32 v12, 0, v12, vcc_lo
	v_cndmask_b32_e64 v11, 0, v11, s2
	v_cndmask_b32_e64 v10, 0, v10, s3
	;; [unrolled: 1-line block ×7, first 2 shown]
; %bb.4151:                             ;   in Loop: Header=BB450_3110 Depth=1
	s_or_b32 exec_lo, exec_lo, s9
	v_lshlrev_b32_e32 v9, 16, v12
	s_delay_alu instid0(VALU_DEP_1) | instskip(NEXT) | instid1(VALU_DEP_1)
	v_mul_f32_e32 v9, v161, v9
	v_and_b32_e32 v12, 0x7f800000, v9
	s_delay_alu instid0(VALU_DEP_1) | instskip(NEXT) | instid1(VALU_DEP_1)
	v_cmp_ne_u32_e64 s9, 0x7f800000, v12
                                        ; implicit-def: $vgpr12
                                        ; kill: killed $vgpr12
	s_and_saveexec_b32 s23, s9
	s_delay_alu instid0(SALU_CYCLE_1)
	s_xor_b32 s9, exec_lo, s23
	s_cbranch_execz .LBB450_4153
; %bb.4152:                             ;   in Loop: Header=BB450_3110 Depth=1
	v_bfe_u32 v12, v9, 16, 1
	s_delay_alu instid0(VALU_DEP_1)
	v_add3_u32 v9, v9, v12, 0x7fff
	scratch_store_b32 off, v9, s32 offset:712 ; 4-byte Folded Spill
                                        ; implicit-def: $vgpr9
.LBB450_4153:                           ;   in Loop: Header=BB450_3110 Depth=1
	s_and_not1_saveexec_b32 s23, s9
	s_cbranch_execz .LBB450_4155
; %bb.4154:                             ;   in Loop: Header=BB450_3110 Depth=1
	v_and_b32_e32 v12, 0xffff, v9
	v_or_b32_e32 v16, 0x10000, v9
	s_delay_alu instid0(VALU_DEP_2) | instskip(NEXT) | instid1(VALU_DEP_1)
	v_cmp_eq_u32_e64 s9, 0, v12
	v_cndmask_b32_e64 v9, v16, v9, s9
	scratch_store_b32 off, v9, s32 offset:712 ; 4-byte Folded Spill
.LBB450_4155:                           ;   in Loop: Header=BB450_3110 Depth=1
	s_or_b32 exec_lo, exec_lo, s23
	v_lshlrev_b32_e32 v9, 16, v11
	s_delay_alu instid0(VALU_DEP_1) | instskip(NEXT) | instid1(VALU_DEP_1)
	v_mul_f32_e32 v9, v162, v9
	v_and_b32_e32 v11, 0x7f800000, v9
	s_delay_alu instid0(VALU_DEP_1) | instskip(NEXT) | instid1(VALU_DEP_1)
	v_cmp_ne_u32_e64 s9, 0x7f800000, v11
                                        ; implicit-def: $vgpr11
                                        ; kill: killed $vgpr11
	s_and_saveexec_b32 s23, s9
	s_delay_alu instid0(SALU_CYCLE_1)
	s_xor_b32 s9, exec_lo, s23
	s_cbranch_execz .LBB450_4157
; %bb.4156:                             ;   in Loop: Header=BB450_3110 Depth=1
	v_bfe_u32 v11, v9, 16, 1
	s_delay_alu instid0(VALU_DEP_1)
	v_add3_u32 v9, v9, v11, 0x7fff
	scratch_store_b32 off, v9, s32 offset:716 ; 4-byte Folded Spill
                                        ; implicit-def: $vgpr9
.LBB450_4157:                           ;   in Loop: Header=BB450_3110 Depth=1
	s_and_not1_saveexec_b32 s23, s9
	s_cbranch_execz .LBB450_4159
; %bb.4158:                             ;   in Loop: Header=BB450_3110 Depth=1
	v_and_b32_e32 v11, 0xffff, v9
	v_or_b32_e32 v12, 0x10000, v9
	s_delay_alu instid0(VALU_DEP_2) | instskip(NEXT) | instid1(VALU_DEP_1)
	v_cmp_eq_u32_e64 s9, 0, v11
	v_cndmask_b32_e64 v9, v12, v9, s9
	scratch_store_b32 off, v9, s32 offset:716 ; 4-byte Folded Spill
.LBB450_4159:                           ;   in Loop: Header=BB450_3110 Depth=1
	s_or_b32 exec_lo, exec_lo, s23
	v_lshlrev_b32_e32 v9, 16, v10
	s_delay_alu instid0(VALU_DEP_1) | instskip(NEXT) | instid1(VALU_DEP_1)
	v_mul_f32_e32 v9, v163, v9
	v_and_b32_e32 v10, 0x7f800000, v9
	s_delay_alu instid0(VALU_DEP_1) | instskip(NEXT) | instid1(VALU_DEP_1)
	v_cmp_ne_u32_e64 s9, 0x7f800000, v10
                                        ; implicit-def: $vgpr10
                                        ; kill: killed $vgpr10
	s_and_saveexec_b32 s23, s9
	s_delay_alu instid0(SALU_CYCLE_1)
	s_xor_b32 s9, exec_lo, s23
	s_cbranch_execz .LBB450_4161
; %bb.4160:                             ;   in Loop: Header=BB450_3110 Depth=1
	v_bfe_u32 v10, v9, 16, 1
	s_delay_alu instid0(VALU_DEP_1)
	v_add3_u32 v9, v9, v10, 0x7fff
	scratch_store_b32 off, v9, s32 offset:720 ; 4-byte Folded Spill
                                        ; implicit-def: $vgpr9
.LBB450_4161:                           ;   in Loop: Header=BB450_3110 Depth=1
	s_and_not1_saveexec_b32 s23, s9
	s_cbranch_execz .LBB450_4163
; %bb.4162:                             ;   in Loop: Header=BB450_3110 Depth=1
	v_and_b32_e32 v10, 0xffff, v9
	v_or_b32_e32 v11, 0x10000, v9
	s_delay_alu instid0(VALU_DEP_2) | instskip(NEXT) | instid1(VALU_DEP_1)
	v_cmp_eq_u32_e64 s9, 0, v10
	v_cndmask_b32_e64 v9, v11, v9, s9
	scratch_store_b32 off, v9, s32 offset:720 ; 4-byte Folded Spill
.LBB450_4163:                           ;   in Loop: Header=BB450_3110 Depth=1
	s_or_b32 exec_lo, exec_lo, s23
	v_lshlrev_b32_e32 v8, 16, v8
	s_delay_alu instid0(VALU_DEP_1) | instskip(NEXT) | instid1(VALU_DEP_1)
	v_mul_f32_e32 v8, v164, v8
	v_and_b32_e32 v9, 0x7f800000, v8
	s_delay_alu instid0(VALU_DEP_1) | instskip(NEXT) | instid1(VALU_DEP_1)
	v_cmp_ne_u32_e64 s9, 0x7f800000, v9
                                        ; implicit-def: $vgpr9
                                        ; kill: killed $vgpr9
	s_and_saveexec_b32 s23, s9
	s_delay_alu instid0(SALU_CYCLE_1)
	s_xor_b32 s9, exec_lo, s23
	s_cbranch_execz .LBB450_4165
; %bb.4164:                             ;   in Loop: Header=BB450_3110 Depth=1
	v_bfe_u32 v9, v8, 16, 1
	s_delay_alu instid0(VALU_DEP_1)
	v_add3_u32 v8, v8, v9, 0x7fff
	scratch_store_b32 off, v8, s32 offset:724 ; 4-byte Folded Spill
                                        ; implicit-def: $vgpr8
.LBB450_4165:                           ;   in Loop: Header=BB450_3110 Depth=1
	s_and_not1_saveexec_b32 s23, s9
	s_cbranch_execz .LBB450_4167
; %bb.4166:                             ;   in Loop: Header=BB450_3110 Depth=1
	v_and_b32_e32 v9, 0xffff, v8
	v_or_b32_e32 v10, 0x10000, v8
	s_delay_alu instid0(VALU_DEP_2) | instskip(NEXT) | instid1(VALU_DEP_1)
	v_cmp_eq_u32_e64 s9, 0, v9
	v_cndmask_b32_e64 v8, v10, v8, s9
	scratch_store_b32 off, v8, s32 offset:724 ; 4-byte Folded Spill
.LBB450_4167:                           ;   in Loop: Header=BB450_3110 Depth=1
	s_or_b32 exec_lo, exec_lo, s23
	v_lshlrev_b32_e32 v7, 16, v7
	s_delay_alu instid0(VALU_DEP_1) | instskip(NEXT) | instid1(VALU_DEP_1)
	v_mul_f32_e32 v7, v165, v7
	v_and_b32_e32 v8, 0x7f800000, v7
	s_delay_alu instid0(VALU_DEP_1) | instskip(NEXT) | instid1(VALU_DEP_1)
	v_cmp_ne_u32_e64 s9, 0x7f800000, v8
                                        ; implicit-def: $vgpr8
                                        ; kill: killed $vgpr8
	s_and_saveexec_b32 s23, s9
	s_delay_alu instid0(SALU_CYCLE_1)
	s_xor_b32 s9, exec_lo, s23
	s_cbranch_execz .LBB450_4169
; %bb.4168:                             ;   in Loop: Header=BB450_3110 Depth=1
	v_bfe_u32 v8, v7, 16, 1
	s_delay_alu instid0(VALU_DEP_1)
	v_add3_u32 v7, v7, v8, 0x7fff
	scratch_store_b32 off, v7, s32 offset:728 ; 4-byte Folded Spill
                                        ; implicit-def: $vgpr7
.LBB450_4169:                           ;   in Loop: Header=BB450_3110 Depth=1
	s_and_not1_saveexec_b32 s23, s9
	s_cbranch_execz .LBB450_4171
; %bb.4170:                             ;   in Loop: Header=BB450_3110 Depth=1
	v_and_b32_e32 v8, 0xffff, v7
	v_or_b32_e32 v9, 0x10000, v7
	s_delay_alu instid0(VALU_DEP_2) | instskip(NEXT) | instid1(VALU_DEP_1)
	v_cmp_eq_u32_e64 s9, 0, v8
	v_cndmask_b32_e64 v7, v9, v7, s9
	scratch_store_b32 off, v7, s32 offset:728 ; 4-byte Folded Spill
.LBB450_4171:                           ;   in Loop: Header=BB450_3110 Depth=1
	s_or_b32 exec_lo, exec_lo, s23
	v_lshlrev_b32_e32 v6, 16, v6
	s_delay_alu instid0(VALU_DEP_1) | instskip(NEXT) | instid1(VALU_DEP_1)
	v_mul_f32_e32 v6, v166, v6
	v_and_b32_e32 v7, 0x7f800000, v6
	s_delay_alu instid0(VALU_DEP_1) | instskip(NEXT) | instid1(VALU_DEP_1)
	v_cmp_ne_u32_e64 s9, 0x7f800000, v7
                                        ; implicit-def: $vgpr7
                                        ; kill: killed $vgpr7
	s_and_saveexec_b32 s23, s9
	s_delay_alu instid0(SALU_CYCLE_1)
	s_xor_b32 s9, exec_lo, s23
	s_cbranch_execz .LBB450_4173
; %bb.4172:                             ;   in Loop: Header=BB450_3110 Depth=1
	v_bfe_u32 v7, v6, 16, 1
	s_delay_alu instid0(VALU_DEP_1)
	v_add3_u32 v6, v6, v7, 0x7fff
	scratch_store_b32 off, v6, s32 offset:732 ; 4-byte Folded Spill
                                        ; implicit-def: $vgpr6
.LBB450_4173:                           ;   in Loop: Header=BB450_3110 Depth=1
	s_and_not1_saveexec_b32 s23, s9
	s_cbranch_execz .LBB450_4175
; %bb.4174:                             ;   in Loop: Header=BB450_3110 Depth=1
	v_and_b32_e32 v7, 0xffff, v6
	v_or_b32_e32 v8, 0x10000, v6
	s_delay_alu instid0(VALU_DEP_2) | instskip(NEXT) | instid1(VALU_DEP_1)
	v_cmp_eq_u32_e64 s9, 0, v7
	v_cndmask_b32_e64 v6, v8, v6, s9
	scratch_store_b32 off, v6, s32 offset:732 ; 4-byte Folded Spill
.LBB450_4175:                           ;   in Loop: Header=BB450_3110 Depth=1
	s_or_b32 exec_lo, exec_lo, s23
	v_lshlrev_b32_e32 v5, 16, v5
	s_delay_alu instid0(VALU_DEP_1) | instskip(NEXT) | instid1(VALU_DEP_1)
	v_mul_f32_e32 v5, v167, v5
	v_and_b32_e32 v6, 0x7f800000, v5
	s_delay_alu instid0(VALU_DEP_1) | instskip(NEXT) | instid1(VALU_DEP_1)
	v_cmp_ne_u32_e64 s9, 0x7f800000, v6
                                        ; implicit-def: $vgpr6
                                        ; kill: killed $vgpr6
	s_and_saveexec_b32 s23, s9
	s_delay_alu instid0(SALU_CYCLE_1)
	s_xor_b32 s9, exec_lo, s23
	s_cbranch_execz .LBB450_4177
; %bb.4176:                             ;   in Loop: Header=BB450_3110 Depth=1
	v_bfe_u32 v6, v5, 16, 1
	s_delay_alu instid0(VALU_DEP_1)
	v_add3_u32 v5, v5, v6, 0x7fff
	scratch_store_b32 off, v5, s32 offset:736 ; 4-byte Folded Spill
                                        ; implicit-def: $vgpr5
.LBB450_4177:                           ;   in Loop: Header=BB450_3110 Depth=1
	s_and_not1_saveexec_b32 s23, s9
	s_cbranch_execz .LBB450_4179
; %bb.4178:                             ;   in Loop: Header=BB450_3110 Depth=1
	v_and_b32_e32 v6, 0xffff, v5
	v_or_b32_e32 v7, 0x10000, v5
	s_delay_alu instid0(VALU_DEP_2) | instskip(NEXT) | instid1(VALU_DEP_1)
	v_cmp_eq_u32_e64 s9, 0, v6
	v_cndmask_b32_e64 v5, v7, v5, s9
	scratch_store_b32 off, v5, s32 offset:736 ; 4-byte Folded Spill
.LBB450_4179:                           ;   in Loop: Header=BB450_3110 Depth=1
	s_or_b32 exec_lo, exec_lo, s23
	v_lshlrev_b32_e32 v4, 16, v4
	s_delay_alu instid0(VALU_DEP_1) | instskip(NEXT) | instid1(VALU_DEP_1)
	v_mul_f32_e32 v4, v176, v4
	v_and_b32_e32 v5, 0x7f800000, v4
	s_delay_alu instid0(VALU_DEP_1) | instskip(NEXT) | instid1(VALU_DEP_1)
	v_cmp_ne_u32_e64 s9, 0x7f800000, v5
                                        ; implicit-def: $vgpr5
                                        ; kill: killed $vgpr5
	s_and_saveexec_b32 s23, s9
	s_delay_alu instid0(SALU_CYCLE_1)
	s_xor_b32 s9, exec_lo, s23
	s_cbranch_execz .LBB450_4181
; %bb.4180:                             ;   in Loop: Header=BB450_3110 Depth=1
	v_bfe_u32 v5, v4, 16, 1
	s_delay_alu instid0(VALU_DEP_1)
	v_add3_u32 v4, v4, v5, 0x7fff
	scratch_store_b32 off, v4, s32 offset:740 ; 4-byte Folded Spill
                                        ; implicit-def: $vgpr4
.LBB450_4181:                           ;   in Loop: Header=BB450_3110 Depth=1
	s_and_not1_saveexec_b32 s23, s9
	s_cbranch_execz .LBB450_4183
; %bb.4182:                             ;   in Loop: Header=BB450_3110 Depth=1
	v_and_b32_e32 v5, 0xffff, v4
	v_or_b32_e32 v6, 0x10000, v4
	s_delay_alu instid0(VALU_DEP_2) | instskip(NEXT) | instid1(VALU_DEP_1)
	v_cmp_eq_u32_e64 s9, 0, v5
	v_cndmask_b32_e64 v4, v6, v4, s9
	scratch_store_b32 off, v4, s32 offset:740 ; 4-byte Folded Spill
.LBB450_4183:                           ;   in Loop: Header=BB450_3110 Depth=1
	s_or_b32 exec_lo, exec_lo, s23
	flat_load_b64 v[6:7], v[2:3] offset:2048
	s_mov_b32 s23, exec_lo
	s_waitcnt vmcnt(0) lgkmcnt(0)
	v_dual_mov_b32 v4, 0 :: v_dual_and_b32 v5, 0xff, v6
	s_delay_alu instid0(VALU_DEP_1)
	v_cmpx_ne_u16_e32 0, v5
	s_cbranch_execz .LBB450_4191
; %bb.4184:                             ;   in Loop: Header=BB450_3110 Depth=1
	v_bfrev_b32_e32 v4, 1
	s_mov_b32 s24, exec_lo
	v_cmpx_ne_u16_e32 0x80, v5
	s_cbranch_execz .LBB450_4190
; %bb.4185:                             ;   in Loop: Header=BB450_3110 Depth=1
	v_and_b32_e32 v5, 0x7f, v6
	v_mov_b32_e32 v4, 0x7f800001
	s_mov_b32 s25, exec_lo
	s_delay_alu instid0(VALU_DEP_2)
	v_cmpx_ne_u32_e32 0x7f, v5
	s_cbranch_execz .LBB450_4189
; %bb.4186:                             ;   in Loop: Header=BB450_3110 Depth=1
	v_lshrrev_b32_e32 v4, 3, v5
	v_dual_mov_b32 v9, v7 :: v_dual_mov_b32 v8, v6
	s_mov_b32 s26, exec_lo
	v_cmpx_gt_u32_e32 8, v5
; %bb.4187:                             ;   in Loop: Header=BB450_3110 Depth=1
	v_and_b32_e32 v4, 7, v6
	s_delay_alu instid0(VALU_DEP_1) | instskip(NEXT) | instid1(VALU_DEP_1)
	v_clz_i32_u32_e32 v4, v4
	v_min_u32_e32 v4, 32, v4
	s_delay_alu instid0(VALU_DEP_1) | instskip(SKIP_1) | instid1(VALU_DEP_2)
	v_subrev_nc_u32_e32 v5, 28, v4
	v_sub_nc_u32_e32 v4, 29, v4
	v_lshlrev_b64 v[8:9], v5, v[6:7]
; %bb.4188:                             ;   in Loop: Header=BB450_3110 Depth=1
	s_or_b32 exec_lo, exec_lo, s26
	s_delay_alu instid0(VALU_DEP_1) | instskip(SKIP_2) | instid1(VALU_DEP_3)
	v_lshlrev_b32_e32 v5, 20, v8
	v_lshlrev_b32_e32 v8, 24, v6
	v_lshl_add_u32 v4, v4, 23, 0x3c000000
	v_and_b32_e32 v5, 0x700000, v5
	s_delay_alu instid0(VALU_DEP_3) | instskip(NEXT) | instid1(VALU_DEP_1)
	v_and_b32_e32 v8, 0x80000000, v8
	v_or3_b32 v4, v5, v8, v4
.LBB450_4189:                           ;   in Loop: Header=BB450_3110 Depth=1
	s_or_b32 exec_lo, exec_lo, s25
.LBB450_4190:                           ;   in Loop: Header=BB450_3110 Depth=1
	s_delay_alu instid0(SALU_CYCLE_1)
	s_or_b32 exec_lo, exec_lo, s24
.LBB450_4191:                           ;   in Loop: Header=BB450_3110 Depth=1
	s_delay_alu instid0(SALU_CYCLE_1) | instskip(NEXT) | instid1(VALU_DEP_1)
	s_or_b32 exec_lo, exec_lo, s23
	v_mul_f32_e32 v5, v160, v4
	s_delay_alu instid0(VALU_DEP_1) | instskip(NEXT) | instid1(VALU_DEP_1)
	v_and_b32_e32 v4, 0x7f800000, v5
	v_cmp_ne_u32_e64 s9, 0x7f800000, v4
                                        ; implicit-def: $vgpr4
	s_delay_alu instid0(VALU_DEP_1) | instskip(NEXT) | instid1(SALU_CYCLE_1)
	s_and_saveexec_b32 s23, s9
	s_xor_b32 s9, exec_lo, s23
; %bb.4192:                             ;   in Loop: Header=BB450_3110 Depth=1
	v_bfe_u32 v4, v5, 16, 1
	s_delay_alu instid0(VALU_DEP_1)
	v_add3_u32 v4, v5, v4, 0x7fff
                                        ; implicit-def: $vgpr5
; %bb.4193:                             ;   in Loop: Header=BB450_3110 Depth=1
	s_and_not1_saveexec_b32 s23, s9
; %bb.4194:                             ;   in Loop: Header=BB450_3110 Depth=1
	v_and_b32_e32 v4, 0xffff, v5
	v_or_b32_e32 v8, 0x10000, v5
	s_delay_alu instid0(VALU_DEP_2) | instskip(NEXT) | instid1(VALU_DEP_1)
	v_cmp_eq_u32_e64 s9, 0, v4
	v_cndmask_b32_e64 v4, v8, v5, s9
; %bb.4195:                             ;   in Loop: Header=BB450_3110 Depth=1
	s_or_b32 exec_lo, exec_lo, s23
	v_lshrrev_b16 v8, 8, v6
	v_mov_b32_e32 v5, 0
	s_mov_b32 s23, exec_lo
	s_delay_alu instid0(VALU_DEP_2)
	v_cmpx_ne_u16_e32 0, v8
	s_cbranch_execz .LBB450_4203
; %bb.4196:                             ;   in Loop: Header=BB450_3110 Depth=1
	v_bfrev_b32_e32 v5, 1
	s_mov_b32 s24, exec_lo
	v_cmpx_ne_u16_e32 0x80, v8
	s_cbranch_execz .LBB450_4202
; %bb.4197:                             ;   in Loop: Header=BB450_3110 Depth=1
	v_and_b32_e32 v9, 0xffff, v8
	v_mov_b32_e32 v5, 0x7f800001
	s_mov_b32 s25, exec_lo
	s_delay_alu instid0(VALU_DEP_2) | instskip(NEXT) | instid1(VALU_DEP_1)
	v_and_b32_e32 v8, 0x7f, v9
	v_cmpx_ne_u32_e32 0x7f, v8
	s_cbranch_execz .LBB450_4201
; %bb.4198:                             ;   in Loop: Header=BB450_3110 Depth=1
	v_and_b32_e32 v12, 7, v9
	v_lshrrev_b32_e32 v5, 3, v8
	v_cmp_gt_u32_e64 s9, 8, v8
	s_delay_alu instid0(VALU_DEP_3) | instskip(NEXT) | instid1(VALU_DEP_2)
	v_dual_mov_b32 v8, v12 :: v_dual_mov_b32 v9, v13
	s_and_saveexec_b32 s26, s9
; %bb.4199:                             ;   in Loop: Header=BB450_3110 Depth=1
	v_clz_i32_u32_e32 v5, v12
	s_delay_alu instid0(VALU_DEP_1) | instskip(NEXT) | instid1(VALU_DEP_1)
	v_min_u32_e32 v5, 32, v5
	v_subrev_nc_u32_e32 v8, 28, v5
	v_sub_nc_u32_e32 v5, 29, v5
	s_delay_alu instid0(VALU_DEP_2) | instskip(NEXT) | instid1(VALU_DEP_1)
	v_lshlrev_b64 v[8:9], v8, v[12:13]
	v_and_b32_e32 v8, 7, v8
; %bb.4200:                             ;   in Loop: Header=BB450_3110 Depth=1
	s_or_b32 exec_lo, exec_lo, s26
	v_lshlrev_b32_e32 v9, 16, v6
	s_delay_alu instid0(VALU_DEP_2) | instskip(SKIP_1) | instid1(VALU_DEP_3)
	v_lshlrev_b32_e32 v8, 20, v8
	v_lshl_add_u32 v5, v5, 23, 0x3c000000
	v_and_b32_e32 v9, 0x80000000, v9
	s_delay_alu instid0(VALU_DEP_1)
	v_or3_b32 v5, v8, v9, v5
.LBB450_4201:                           ;   in Loop: Header=BB450_3110 Depth=1
	s_or_b32 exec_lo, exec_lo, s25
.LBB450_4202:                           ;   in Loop: Header=BB450_3110 Depth=1
	s_delay_alu instid0(SALU_CYCLE_1)
	s_or_b32 exec_lo, exec_lo, s24
.LBB450_4203:                           ;   in Loop: Header=BB450_3110 Depth=1
	s_delay_alu instid0(SALU_CYCLE_1) | instskip(NEXT) | instid1(VALU_DEP_1)
	s_or_b32 exec_lo, exec_lo, s23
	v_mul_f32_e32 v8, v160, v5
	s_delay_alu instid0(VALU_DEP_1) | instskip(NEXT) | instid1(VALU_DEP_1)
	v_and_b32_e32 v5, 0x7f800000, v8
	v_cmp_ne_u32_e64 s9, 0x7f800000, v5
                                        ; implicit-def: $vgpr5
	s_delay_alu instid0(VALU_DEP_1) | instskip(NEXT) | instid1(SALU_CYCLE_1)
	s_and_saveexec_b32 s23, s9
	s_xor_b32 s9, exec_lo, s23
; %bb.4204:                             ;   in Loop: Header=BB450_3110 Depth=1
	v_bfe_u32 v5, v8, 16, 1
	s_delay_alu instid0(VALU_DEP_1)
	v_add3_u32 v5, v8, v5, 0x7fff
                                        ; implicit-def: $vgpr8
; %bb.4205:                             ;   in Loop: Header=BB450_3110 Depth=1
	s_and_not1_saveexec_b32 s23, s9
; %bb.4206:                             ;   in Loop: Header=BB450_3110 Depth=1
	v_and_b32_e32 v5, 0xffff, v8
	v_or_b32_e32 v9, 0x10000, v8
	s_delay_alu instid0(VALU_DEP_2) | instskip(NEXT) | instid1(VALU_DEP_1)
	v_cmp_eq_u32_e64 s9, 0, v5
	v_cndmask_b32_e64 v5, v9, v8, s9
; %bb.4207:                             ;   in Loop: Header=BB450_3110 Depth=1
	s_or_b32 exec_lo, exec_lo, s23
	v_lshrrev_b32_e32 v10, 16, v6
	s_mov_b32 s23, exec_lo
	s_delay_alu instid0(VALU_DEP_1) | instskip(NEXT) | instid1(VALU_DEP_1)
	v_dual_mov_b32 v8, 0 :: v_dual_and_b32 v9, 0xff, v10
	v_cmpx_ne_u16_e32 0, v9
	s_cbranch_execz .LBB450_4215
; %bb.4208:                             ;   in Loop: Header=BB450_3110 Depth=1
	v_bfrev_b32_e32 v8, 1
	s_mov_b32 s24, exec_lo
	v_cmpx_ne_u16_e32 0x80, v9
	s_cbranch_execz .LBB450_4214
; %bb.4209:                             ;   in Loop: Header=BB450_3110 Depth=1
	v_bfe_u32 v9, v6, 16, 7
	v_mov_b32_e32 v8, 0x7f800001
	s_mov_b32 s25, exec_lo
	s_delay_alu instid0(VALU_DEP_2)
	v_cmpx_ne_u32_e32 0x7f, v9
	s_cbranch_execz .LBB450_4213
; %bb.4210:                             ;   in Loop: Header=BB450_3110 Depth=1
	v_and_b32_e32 v12, 7, v10
	v_lshrrev_b32_e32 v11, 3, v9
	v_cmp_gt_u32_e64 s9, 8, v9
	s_delay_alu instid0(VALU_DEP_3) | instskip(NEXT) | instid1(VALU_DEP_2)
	v_dual_mov_b32 v8, v12 :: v_dual_mov_b32 v9, v13
	s_and_saveexec_b32 s26, s9
; %bb.4211:                             ;   in Loop: Header=BB450_3110 Depth=1
	v_clz_i32_u32_e32 v8, v12
	s_delay_alu instid0(VALU_DEP_1) | instskip(NEXT) | instid1(VALU_DEP_1)
	v_min_u32_e32 v11, 32, v8
	v_subrev_nc_u32_e32 v8, 28, v11
	v_sub_nc_u32_e32 v11, 29, v11
	s_delay_alu instid0(VALU_DEP_2) | instskip(NEXT) | instid1(VALU_DEP_1)
	v_lshlrev_b64 v[8:9], v8, v[12:13]
	v_and_b32_e32 v8, 7, v8
; %bb.4212:                             ;   in Loop: Header=BB450_3110 Depth=1
	s_or_b32 exec_lo, exec_lo, s26
	v_lshlrev_b32_e32 v9, 24, v10
	s_delay_alu instid0(VALU_DEP_2) | instskip(SKIP_1) | instid1(VALU_DEP_3)
	v_lshlrev_b32_e32 v8, 20, v8
	v_lshl_add_u32 v10, v11, 23, 0x3c000000
	v_and_b32_e32 v9, 0x80000000, v9
	s_delay_alu instid0(VALU_DEP_1)
	v_or3_b32 v8, v8, v9, v10
.LBB450_4213:                           ;   in Loop: Header=BB450_3110 Depth=1
	s_or_b32 exec_lo, exec_lo, s25
.LBB450_4214:                           ;   in Loop: Header=BB450_3110 Depth=1
	s_delay_alu instid0(SALU_CYCLE_1)
	s_or_b32 exec_lo, exec_lo, s24
.LBB450_4215:                           ;   in Loop: Header=BB450_3110 Depth=1
	s_delay_alu instid0(SALU_CYCLE_1) | instskip(NEXT) | instid1(VALU_DEP_1)
	s_or_b32 exec_lo, exec_lo, s23
	v_mul_f32_e32 v8, v160, v8
                                        ; implicit-def: $vgpr10
	s_delay_alu instid0(VALU_DEP_1) | instskip(NEXT) | instid1(VALU_DEP_1)
	v_and_b32_e32 v9, 0x7f800000, v8
	v_cmp_ne_u32_e64 s9, 0x7f800000, v9
	s_delay_alu instid0(VALU_DEP_1) | instskip(NEXT) | instid1(SALU_CYCLE_1)
	s_and_saveexec_b32 s23, s9
	s_xor_b32 s9, exec_lo, s23
; %bb.4216:                             ;   in Loop: Header=BB450_3110 Depth=1
	v_bfe_u32 v9, v8, 16, 1
	s_delay_alu instid0(VALU_DEP_1)
	v_add3_u32 v10, v8, v9, 0x7fff
                                        ; implicit-def: $vgpr8
; %bb.4217:                             ;   in Loop: Header=BB450_3110 Depth=1
	s_and_not1_saveexec_b32 s23, s9
; %bb.4218:                             ;   in Loop: Header=BB450_3110 Depth=1
	v_and_b32_e32 v9, 0xffff, v8
	v_or_b32_e32 v10, 0x10000, v8
	s_delay_alu instid0(VALU_DEP_2) | instskip(NEXT) | instid1(VALU_DEP_1)
	v_cmp_eq_u32_e64 s9, 0, v9
	v_cndmask_b32_e64 v10, v10, v8, s9
; %bb.4219:                             ;   in Loop: Header=BB450_3110 Depth=1
	s_or_b32 exec_lo, exec_lo, s23
	v_mov_b32_e32 v8, 0
	s_mov_b32 s23, exec_lo
	v_cmpx_lt_u32_e32 0xffffff, v6
	s_cbranch_execz .LBB450_4227
; %bb.4220:                             ;   in Loop: Header=BB450_3110 Depth=1
	v_lshrrev_b32_e32 v11, 24, v6
	v_bfrev_b32_e32 v8, 1
	s_mov_b32 s24, exec_lo
	s_delay_alu instid0(VALU_DEP_2)
	v_cmpx_ne_u32_e32 0x80, v11
	s_cbranch_execz .LBB450_4226
; %bb.4221:                             ;   in Loop: Header=BB450_3110 Depth=1
	v_bfe_u32 v9, v6, 24, 7
	v_mov_b32_e32 v8, 0x7f800001
	s_mov_b32 s25, exec_lo
	s_delay_alu instid0(VALU_DEP_2)
	v_cmpx_ne_u32_e32 0x7f, v9
	s_cbranch_execz .LBB450_4225
; %bb.4222:                             ;   in Loop: Header=BB450_3110 Depth=1
	v_and_b32_e32 v12, 7, v11
	v_lshrrev_b32_e32 v16, 3, v9
	v_cmp_gt_u32_e64 s9, 8, v9
	s_delay_alu instid0(VALU_DEP_3) | instskip(NEXT) | instid1(VALU_DEP_2)
	v_dual_mov_b32 v8, v12 :: v_dual_mov_b32 v9, v13
	s_and_saveexec_b32 s26, s9
; %bb.4223:                             ;   in Loop: Header=BB450_3110 Depth=1
	v_clz_i32_u32_e32 v8, v12
	s_delay_alu instid0(VALU_DEP_1) | instskip(NEXT) | instid1(VALU_DEP_1)
	v_min_u32_e32 v16, 32, v8
	v_subrev_nc_u32_e32 v8, 28, v16
	v_sub_nc_u32_e32 v16, 29, v16
	s_delay_alu instid0(VALU_DEP_2) | instskip(NEXT) | instid1(VALU_DEP_1)
	v_lshlrev_b64 v[8:9], v8, v[12:13]
	v_and_b32_e32 v8, 7, v8
; %bb.4224:                             ;   in Loop: Header=BB450_3110 Depth=1
	s_or_b32 exec_lo, exec_lo, s26
	v_lshlrev_b32_e32 v9, 24, v11
	s_delay_alu instid0(VALU_DEP_2) | instskip(SKIP_1) | instid1(VALU_DEP_3)
	v_lshlrev_b32_e32 v8, 20, v8
	v_lshl_add_u32 v11, v16, 23, 0x3c000000
	v_and_b32_e32 v9, 0x80000000, v9
	s_delay_alu instid0(VALU_DEP_1)
	v_or3_b32 v8, v8, v9, v11
.LBB450_4225:                           ;   in Loop: Header=BB450_3110 Depth=1
	s_or_b32 exec_lo, exec_lo, s25
.LBB450_4226:                           ;   in Loop: Header=BB450_3110 Depth=1
	s_delay_alu instid0(SALU_CYCLE_1)
	s_or_b32 exec_lo, exec_lo, s24
.LBB450_4227:                           ;   in Loop: Header=BB450_3110 Depth=1
	s_delay_alu instid0(SALU_CYCLE_1) | instskip(NEXT) | instid1(VALU_DEP_1)
	s_or_b32 exec_lo, exec_lo, s23
	v_mul_f32_e32 v8, v160, v8
                                        ; implicit-def: $vgpr11
	s_delay_alu instid0(VALU_DEP_1) | instskip(NEXT) | instid1(VALU_DEP_1)
	v_and_b32_e32 v9, 0x7f800000, v8
	v_cmp_ne_u32_e64 s9, 0x7f800000, v9
	s_delay_alu instid0(VALU_DEP_1) | instskip(NEXT) | instid1(SALU_CYCLE_1)
	s_and_saveexec_b32 s23, s9
	s_xor_b32 s9, exec_lo, s23
; %bb.4228:                             ;   in Loop: Header=BB450_3110 Depth=1
	v_bfe_u32 v9, v8, 16, 1
	s_delay_alu instid0(VALU_DEP_1)
	v_add3_u32 v11, v8, v9, 0x7fff
                                        ; implicit-def: $vgpr8
; %bb.4229:                             ;   in Loop: Header=BB450_3110 Depth=1
	s_and_not1_saveexec_b32 s23, s9
; %bb.4230:                             ;   in Loop: Header=BB450_3110 Depth=1
	v_and_b32_e32 v9, 0xffff, v8
	v_or_b32_e32 v11, 0x10000, v8
	s_delay_alu instid0(VALU_DEP_2) | instskip(NEXT) | instid1(VALU_DEP_1)
	v_cmp_eq_u32_e64 s9, 0, v9
	v_cndmask_b32_e64 v11, v11, v8, s9
; %bb.4231:                             ;   in Loop: Header=BB450_3110 Depth=1
	s_or_b32 exec_lo, exec_lo, s23
	v_dual_mov_b32 v12, v7 :: v_dual_and_b32 v9, 0xff, v7
	v_mov_b32_e32 v8, 0
	s_mov_b32 s23, exec_lo
	s_delay_alu instid0(VALU_DEP_2)
	v_cmpx_ne_u16_e32 0, v9
	s_cbranch_execz .LBB450_4239
; %bb.4232:                             ;   in Loop: Header=BB450_3110 Depth=1
	v_bfrev_b32_e32 v8, 1
	s_mov_b32 s24, exec_lo
	v_cmpx_ne_u16_e32 0x80, v9
	s_cbranch_execz .LBB450_4238
; %bb.4233:                             ;   in Loop: Header=BB450_3110 Depth=1
	v_and_b32_e32 v9, 0x7f, v7
	v_mov_b32_e32 v8, 0x7f800001
	s_mov_b32 s25, exec_lo
	s_delay_alu instid0(VALU_DEP_2)
	v_cmpx_ne_u32_e32 0x7f, v9
	s_cbranch_execz .LBB450_4237
; %bb.4234:                             ;   in Loop: Header=BB450_3110 Depth=1
	v_lshrrev_b32_e32 v16, 3, v9
	v_cmp_gt_u32_e64 s9, 8, v9
	v_dual_mov_b32 v8, v12 :: v_dual_mov_b32 v9, v13
	s_delay_alu instid0(VALU_DEP_2)
	s_and_saveexec_b32 s26, s9
; %bb.4235:                             ;   in Loop: Header=BB450_3110 Depth=1
	v_and_b32_e32 v8, 7, v7
	s_delay_alu instid0(VALU_DEP_1) | instskip(NEXT) | instid1(VALU_DEP_1)
	v_clz_i32_u32_e32 v8, v8
	v_min_u32_e32 v16, 32, v8
	s_delay_alu instid0(VALU_DEP_1) | instskip(SKIP_1) | instid1(VALU_DEP_2)
	v_subrev_nc_u32_e32 v8, 28, v16
	v_sub_nc_u32_e32 v16, 29, v16
	v_lshlrev_b64 v[8:9], v8, v[12:13]
; %bb.4236:                             ;   in Loop: Header=BB450_3110 Depth=1
	s_or_b32 exec_lo, exec_lo, s26
	s_delay_alu instid0(VALU_DEP_1) | instskip(SKIP_2) | instid1(VALU_DEP_3)
	v_lshlrev_b32_e32 v8, 20, v8
	v_lshlrev_b32_e32 v9, 24, v12
	v_lshl_add_u32 v16, v16, 23, 0x3c000000
	v_and_b32_e32 v8, 0x700000, v8
	s_delay_alu instid0(VALU_DEP_3) | instskip(NEXT) | instid1(VALU_DEP_1)
	v_and_b32_e32 v9, 0x80000000, v9
	v_or3_b32 v8, v8, v9, v16
.LBB450_4237:                           ;   in Loop: Header=BB450_3110 Depth=1
	s_or_b32 exec_lo, exec_lo, s25
.LBB450_4238:                           ;   in Loop: Header=BB450_3110 Depth=1
	s_delay_alu instid0(SALU_CYCLE_1)
	s_or_b32 exec_lo, exec_lo, s24
.LBB450_4239:                           ;   in Loop: Header=BB450_3110 Depth=1
	s_delay_alu instid0(SALU_CYCLE_1) | instskip(NEXT) | instid1(VALU_DEP_1)
	s_or_b32 exec_lo, exec_lo, s23
	v_mul_f32_e32 v8, v160, v8
                                        ; implicit-def: $vgpr16
	s_delay_alu instid0(VALU_DEP_1) | instskip(NEXT) | instid1(VALU_DEP_1)
	v_and_b32_e32 v9, 0x7f800000, v8
	v_cmp_ne_u32_e64 s9, 0x7f800000, v9
	s_delay_alu instid0(VALU_DEP_1) | instskip(NEXT) | instid1(SALU_CYCLE_1)
	s_and_saveexec_b32 s23, s9
	s_xor_b32 s9, exec_lo, s23
; %bb.4240:                             ;   in Loop: Header=BB450_3110 Depth=1
	v_bfe_u32 v9, v8, 16, 1
	s_delay_alu instid0(VALU_DEP_1)
	v_add3_u32 v16, v8, v9, 0x7fff
                                        ; implicit-def: $vgpr8
; %bb.4241:                             ;   in Loop: Header=BB450_3110 Depth=1
	s_and_not1_saveexec_b32 s23, s9
; %bb.4242:                             ;   in Loop: Header=BB450_3110 Depth=1
	v_and_b32_e32 v9, 0xffff, v8
	v_or_b32_e32 v16, 0x10000, v8
	s_delay_alu instid0(VALU_DEP_2) | instskip(NEXT) | instid1(VALU_DEP_1)
	v_cmp_eq_u32_e64 s9, 0, v9
	v_cndmask_b32_e64 v16, v16, v8, s9
; %bb.4243:                             ;   in Loop: Header=BB450_3110 Depth=1
	s_or_b32 exec_lo, exec_lo, s23
	v_lshrrev_b16 v9, 8, v12
	v_mov_b32_e32 v8, 0
	s_mov_b32 s23, exec_lo
	s_delay_alu instid0(VALU_DEP_2)
	v_cmpx_ne_u16_e32 0, v9
	s_cbranch_execz .LBB450_4251
; %bb.4244:                             ;   in Loop: Header=BB450_3110 Depth=1
	v_bfrev_b32_e32 v8, 1
	s_mov_b32 s24, exec_lo
	v_cmpx_ne_u16_e32 0x80, v9
	s_cbranch_execz .LBB450_4250
; %bb.4245:                             ;   in Loop: Header=BB450_3110 Depth=1
	v_and_b32_e32 v9, 0xffff, v9
	v_mov_b32_e32 v8, 0x7f800001
	s_mov_b32 s25, exec_lo
	s_delay_alu instid0(VALU_DEP_2) | instskip(NEXT) | instid1(VALU_DEP_1)
	v_and_b32_e32 v19, 0x7f, v9
	v_cmpx_ne_u32_e32 0x7f, v19
	s_cbranch_execz .LBB450_4249
; %bb.4246:                             ;   in Loop: Header=BB450_3110 Depth=1
	v_dual_mov_b32 v9, v13 :: v_dual_and_b32 v8, 7, v9
	v_lshrrev_b32_e32 v18, 3, v19
	s_mov_b32 s26, exec_lo
	v_cmpx_gt_u32_e32 8, v19
; %bb.4247:                             ;   in Loop: Header=BB450_3110 Depth=1
	s_delay_alu instid0(VALU_DEP_3) | instskip(NEXT) | instid1(VALU_DEP_1)
	v_clz_i32_u32_e32 v18, v8
	v_min_u32_e32 v18, 32, v18
	s_delay_alu instid0(VALU_DEP_1) | instskip(SKIP_1) | instid1(VALU_DEP_2)
	v_subrev_nc_u32_e32 v19, 28, v18
	v_sub_nc_u32_e32 v18, 29, v18
	v_lshlrev_b64 v[8:9], v19, v[8:9]
	s_delay_alu instid0(VALU_DEP_1)
	v_and_b32_e32 v8, 7, v8
; %bb.4248:                             ;   in Loop: Header=BB450_3110 Depth=1
	s_or_b32 exec_lo, exec_lo, s26
	v_lshlrev_b32_e32 v9, 16, v12
	s_delay_alu instid0(VALU_DEP_2) | instskip(SKIP_1) | instid1(VALU_DEP_3)
	v_lshlrev_b32_e32 v8, 20, v8
	v_lshl_add_u32 v12, v18, 23, 0x3c000000
	v_and_b32_e32 v9, 0x80000000, v9
	s_delay_alu instid0(VALU_DEP_1)
	v_or3_b32 v8, v8, v9, v12
.LBB450_4249:                           ;   in Loop: Header=BB450_3110 Depth=1
	s_or_b32 exec_lo, exec_lo, s25
.LBB450_4250:                           ;   in Loop: Header=BB450_3110 Depth=1
	s_delay_alu instid0(SALU_CYCLE_1)
	s_or_b32 exec_lo, exec_lo, s24
.LBB450_4251:                           ;   in Loop: Header=BB450_3110 Depth=1
	s_delay_alu instid0(SALU_CYCLE_1) | instskip(NEXT) | instid1(VALU_DEP_1)
	s_or_b32 exec_lo, exec_lo, s23
	v_mul_f32_e32 v8, v160, v8
                                        ; implicit-def: $vgpr18
	s_delay_alu instid0(VALU_DEP_1) | instskip(NEXT) | instid1(VALU_DEP_1)
	v_and_b32_e32 v9, 0x7f800000, v8
	v_cmp_ne_u32_e64 s9, 0x7f800000, v9
	s_delay_alu instid0(VALU_DEP_1) | instskip(NEXT) | instid1(SALU_CYCLE_1)
	s_and_saveexec_b32 s23, s9
	s_xor_b32 s9, exec_lo, s23
; %bb.4252:                             ;   in Loop: Header=BB450_3110 Depth=1
	v_bfe_u32 v9, v8, 16, 1
	s_delay_alu instid0(VALU_DEP_1)
	v_add3_u32 v18, v8, v9, 0x7fff
                                        ; implicit-def: $vgpr8
; %bb.4253:                             ;   in Loop: Header=BB450_3110 Depth=1
	s_and_not1_saveexec_b32 s23, s9
; %bb.4254:                             ;   in Loop: Header=BB450_3110 Depth=1
	v_and_b32_e32 v9, 0xffff, v8
	v_or_b32_e32 v12, 0x10000, v8
	s_delay_alu instid0(VALU_DEP_2) | instskip(NEXT) | instid1(VALU_DEP_1)
	v_cmp_eq_u32_e64 s9, 0, v9
	v_cndmask_b32_e64 v18, v12, v8, s9
; %bb.4255:                             ;   in Loop: Header=BB450_3110 Depth=1
	s_or_b32 exec_lo, exec_lo, s23
	v_lshrrev_b32_e32 v19, 16, v7
	s_mov_b32 s23, exec_lo
	s_delay_alu instid0(VALU_DEP_1) | instskip(NEXT) | instid1(VALU_DEP_1)
	v_dual_mov_b32 v8, 0 :: v_dual_and_b32 v9, 0xff, v19
	v_cmpx_ne_u16_e32 0, v9
	s_cbranch_execz .LBB450_4263
; %bb.4256:                             ;   in Loop: Header=BB450_3110 Depth=1
	v_bfrev_b32_e32 v8, 1
	s_mov_b32 s24, exec_lo
	v_cmpx_ne_u16_e32 0x80, v9
	s_cbranch_execz .LBB450_4262
; %bb.4257:                             ;   in Loop: Header=BB450_3110 Depth=1
	v_bfe_u32 v9, v7, 16, 7
	v_mov_b32_e32 v8, 0x7f800001
	s_mov_b32 s25, exec_lo
	s_delay_alu instid0(VALU_DEP_2)
	v_cmpx_ne_u32_e32 0x7f, v9
	s_cbranch_execz .LBB450_4261
; %bb.4258:                             ;   in Loop: Header=BB450_3110 Depth=1
	v_and_b32_e32 v12, 7, v19
	v_lshrrev_b32_e32 v20, 3, v9
	v_cmp_gt_u32_e64 s9, 8, v9
	s_delay_alu instid0(VALU_DEP_3) | instskip(NEXT) | instid1(VALU_DEP_2)
	v_dual_mov_b32 v8, v12 :: v_dual_mov_b32 v9, v13
	s_and_saveexec_b32 s26, s9
; %bb.4259:                             ;   in Loop: Header=BB450_3110 Depth=1
	v_clz_i32_u32_e32 v8, v12
	s_delay_alu instid0(VALU_DEP_1) | instskip(NEXT) | instid1(VALU_DEP_1)
	v_min_u32_e32 v20, 32, v8
	v_subrev_nc_u32_e32 v8, 28, v20
	v_sub_nc_u32_e32 v20, 29, v20
	s_delay_alu instid0(VALU_DEP_2) | instskip(NEXT) | instid1(VALU_DEP_1)
	v_lshlrev_b64 v[8:9], v8, v[12:13]
	v_and_b32_e32 v8, 7, v8
; %bb.4260:                             ;   in Loop: Header=BB450_3110 Depth=1
	s_or_b32 exec_lo, exec_lo, s26
	v_lshlrev_b32_e32 v9, 24, v19
	s_delay_alu instid0(VALU_DEP_2) | instskip(SKIP_1) | instid1(VALU_DEP_3)
	v_lshlrev_b32_e32 v8, 20, v8
	v_lshl_add_u32 v12, v20, 23, 0x3c000000
	v_and_b32_e32 v9, 0x80000000, v9
	s_delay_alu instid0(VALU_DEP_1)
	v_or3_b32 v8, v8, v9, v12
.LBB450_4261:                           ;   in Loop: Header=BB450_3110 Depth=1
	s_or_b32 exec_lo, exec_lo, s25
.LBB450_4262:                           ;   in Loop: Header=BB450_3110 Depth=1
	s_delay_alu instid0(SALU_CYCLE_1)
	s_or_b32 exec_lo, exec_lo, s24
.LBB450_4263:                           ;   in Loop: Header=BB450_3110 Depth=1
	s_delay_alu instid0(SALU_CYCLE_1) | instskip(NEXT) | instid1(VALU_DEP_1)
	s_or_b32 exec_lo, exec_lo, s23
	v_mul_f32_e32 v8, v160, v8
	s_delay_alu instid0(VALU_DEP_1) | instskip(NEXT) | instid1(VALU_DEP_1)
	v_and_b32_e32 v9, 0x7f800000, v8
	v_cmp_ne_u32_e64 s9, 0x7f800000, v9
                                        ; implicit-def: $vgpr9
	s_delay_alu instid0(VALU_DEP_1) | instskip(NEXT) | instid1(SALU_CYCLE_1)
	s_and_saveexec_b32 s23, s9
	s_xor_b32 s9, exec_lo, s23
; %bb.4264:                             ;   in Loop: Header=BB450_3110 Depth=1
	v_bfe_u32 v9, v8, 16, 1
	s_delay_alu instid0(VALU_DEP_1)
	v_add3_u32 v9, v8, v9, 0x7fff
                                        ; implicit-def: $vgpr8
; %bb.4265:                             ;   in Loop: Header=BB450_3110 Depth=1
	s_and_not1_saveexec_b32 s23, s9
; %bb.4266:                             ;   in Loop: Header=BB450_3110 Depth=1
	v_and_b32_e32 v9, 0xffff, v8
	v_or_b32_e32 v12, 0x10000, v8
	s_delay_alu instid0(VALU_DEP_2) | instskip(NEXT) | instid1(VALU_DEP_1)
	v_cmp_eq_u32_e64 s9, 0, v9
	v_cndmask_b32_e64 v9, v12, v8, s9
; %bb.4267:                             ;   in Loop: Header=BB450_3110 Depth=1
	s_or_b32 exec_lo, exec_lo, s23
	v_cmp_lt_u64_e64 s9, s[18:19], v[6:7]
	v_mov_b32_e32 v6, 0
	s_delay_alu instid0(VALU_DEP_2)
	s_and_saveexec_b32 s23, s9
	s_cbranch_execz .LBB450_4275
; %bb.4268:                             ;   in Loop: Header=BB450_3110 Depth=1
	v_lshrrev_b32_e32 v8, 24, v7
	v_bfrev_b32_e32 v6, 1
	s_mov_b32 s24, exec_lo
	s_delay_alu instid0(VALU_DEP_2)
	v_cmpx_ne_u32_e32 0x80, v8
	s_cbranch_execz .LBB450_4274
; %bb.4269:                             ;   in Loop: Header=BB450_3110 Depth=1
	v_bfe_u32 v7, v7, 24, 7
	v_mov_b32_e32 v6, 0x7f800001
	s_mov_b32 s25, exec_lo
	s_delay_alu instid0(VALU_DEP_2)
	v_cmpx_ne_u32_e32 0x7f, v7
	s_cbranch_execz .LBB450_4273
; %bb.4270:                             ;   in Loop: Header=BB450_3110 Depth=1
	v_and_b32_e32 v12, 7, v8
	v_lshrrev_b32_e32 v19, 3, v7
	v_cmp_gt_u32_e64 s9, 8, v7
	s_delay_alu instid0(VALU_DEP_3) | instskip(NEXT) | instid1(VALU_DEP_2)
	v_dual_mov_b32 v6, v12 :: v_dual_mov_b32 v7, v13
	s_and_saveexec_b32 s26, s9
; %bb.4271:                             ;   in Loop: Header=BB450_3110 Depth=1
	v_clz_i32_u32_e32 v6, v12
	s_delay_alu instid0(VALU_DEP_1) | instskip(NEXT) | instid1(VALU_DEP_1)
	v_min_u32_e32 v19, 32, v6
	v_subrev_nc_u32_e32 v6, 28, v19
	v_sub_nc_u32_e32 v19, 29, v19
	s_delay_alu instid0(VALU_DEP_2) | instskip(NEXT) | instid1(VALU_DEP_1)
	v_lshlrev_b64 v[6:7], v6, v[12:13]
	v_and_b32_e32 v6, 7, v6
; %bb.4272:                             ;   in Loop: Header=BB450_3110 Depth=1
	s_or_b32 exec_lo, exec_lo, s26
	v_lshlrev_b32_e32 v7, 24, v8
	s_delay_alu instid0(VALU_DEP_2) | instskip(SKIP_1) | instid1(VALU_DEP_3)
	v_lshlrev_b32_e32 v6, 20, v6
	v_lshl_add_u32 v8, v19, 23, 0x3c000000
	v_and_b32_e32 v7, 0x80000000, v7
	s_delay_alu instid0(VALU_DEP_1)
	v_or3_b32 v6, v6, v7, v8
.LBB450_4273:                           ;   in Loop: Header=BB450_3110 Depth=1
	s_or_b32 exec_lo, exec_lo, s25
.LBB450_4274:                           ;   in Loop: Header=BB450_3110 Depth=1
	s_delay_alu instid0(SALU_CYCLE_1)
	s_or_b32 exec_lo, exec_lo, s24
.LBB450_4275:                           ;   in Loop: Header=BB450_3110 Depth=1
	s_delay_alu instid0(SALU_CYCLE_1) | instskip(NEXT) | instid1(VALU_DEP_1)
	s_or_b32 exec_lo, exec_lo, s23
	v_mul_f32_e32 v6, v160, v6
                                        ; implicit-def: $vgpr19
	s_delay_alu instid0(VALU_DEP_1) | instskip(NEXT) | instid1(VALU_DEP_1)
	v_and_b32_e32 v7, 0x7f800000, v6
	v_cmp_ne_u32_e64 s9, 0x7f800000, v7
	s_delay_alu instid0(VALU_DEP_1) | instskip(NEXT) | instid1(SALU_CYCLE_1)
	s_and_saveexec_b32 s23, s9
	s_xor_b32 s9, exec_lo, s23
; %bb.4276:                             ;   in Loop: Header=BB450_3110 Depth=1
	v_bfe_u32 v7, v6, 16, 1
	s_delay_alu instid0(VALU_DEP_1)
	v_add3_u32 v19, v6, v7, 0x7fff
                                        ; implicit-def: $vgpr6
; %bb.4277:                             ;   in Loop: Header=BB450_3110 Depth=1
	s_and_not1_saveexec_b32 s23, s9
; %bb.4278:                             ;   in Loop: Header=BB450_3110 Depth=1
	v_and_b32_e32 v7, 0xffff, v6
	v_or_b32_e32 v8, 0x10000, v6
	s_delay_alu instid0(VALU_DEP_2) | instskip(NEXT) | instid1(VALU_DEP_1)
	v_cmp_eq_u32_e64 s9, 0, v7
	v_cndmask_b32_e64 v19, v8, v6, s9
; %bb.4279:                             ;   in Loop: Header=BB450_3110 Depth=1
	s_or_b32 exec_lo, exec_lo, s23
	v_lshrrev_b32_e32 v6, 16, v18
	v_lshrrev_b32_e32 v7, 16, v16
	;; [unrolled: 1-line block ×8, first 2 shown]
	s_and_saveexec_b32 s9, s1
; %bb.4280:                             ;   in Loop: Header=BB450_3110 Depth=1
	s_delay_alu instid0(VALU_DEP_3)
	v_cndmask_b32_e32 v12, 0, v12, vcc_lo
	v_cndmask_b32_e64 v11, 0, v11, s2
	v_cndmask_b32_e64 v10, 0, v10, s3
	;; [unrolled: 1-line block ×7, first 2 shown]
; %bb.4281:                             ;   in Loop: Header=BB450_3110 Depth=1
	s_or_b32 exec_lo, exec_lo, s9
	v_lshlrev_b32_e32 v9, 16, v12
	s_delay_alu instid0(VALU_DEP_1) | instskip(NEXT) | instid1(VALU_DEP_1)
	v_mul_f32_e32 v9, v161, v9
	v_and_b32_e32 v12, 0x7f800000, v9
	s_delay_alu instid0(VALU_DEP_1) | instskip(NEXT) | instid1(VALU_DEP_1)
	v_cmp_ne_u32_e64 s9, 0x7f800000, v12
                                        ; implicit-def: $vgpr12
                                        ; kill: killed $vgpr12
	s_and_saveexec_b32 s23, s9
	s_delay_alu instid0(SALU_CYCLE_1)
	s_xor_b32 s9, exec_lo, s23
	s_cbranch_execz .LBB450_4283
; %bb.4282:                             ;   in Loop: Header=BB450_3110 Depth=1
	v_bfe_u32 v12, v9, 16, 1
	s_delay_alu instid0(VALU_DEP_1)
	v_add3_u32 v9, v9, v12, 0x7fff
	scratch_store_b32 off, v9, s32 offset:744 ; 4-byte Folded Spill
                                        ; implicit-def: $vgpr9
.LBB450_4283:                           ;   in Loop: Header=BB450_3110 Depth=1
	s_and_not1_saveexec_b32 s23, s9
	s_cbranch_execz .LBB450_4285
; %bb.4284:                             ;   in Loop: Header=BB450_3110 Depth=1
	v_and_b32_e32 v12, 0xffff, v9
	v_or_b32_e32 v16, 0x10000, v9
	s_delay_alu instid0(VALU_DEP_2) | instskip(NEXT) | instid1(VALU_DEP_1)
	v_cmp_eq_u32_e64 s9, 0, v12
	v_cndmask_b32_e64 v9, v16, v9, s9
	scratch_store_b32 off, v9, s32 offset:744 ; 4-byte Folded Spill
.LBB450_4285:                           ;   in Loop: Header=BB450_3110 Depth=1
	s_or_b32 exec_lo, exec_lo, s23
	v_lshlrev_b32_e32 v9, 16, v11
	s_delay_alu instid0(VALU_DEP_1) | instskip(NEXT) | instid1(VALU_DEP_1)
	v_mul_f32_e32 v9, v162, v9
	v_and_b32_e32 v11, 0x7f800000, v9
	s_delay_alu instid0(VALU_DEP_1) | instskip(NEXT) | instid1(VALU_DEP_1)
	v_cmp_ne_u32_e64 s9, 0x7f800000, v11
                                        ; implicit-def: $vgpr11
                                        ; kill: killed $vgpr11
	s_and_saveexec_b32 s23, s9
	s_delay_alu instid0(SALU_CYCLE_1)
	s_xor_b32 s9, exec_lo, s23
	s_cbranch_execz .LBB450_4287
; %bb.4286:                             ;   in Loop: Header=BB450_3110 Depth=1
	v_bfe_u32 v11, v9, 16, 1
	s_delay_alu instid0(VALU_DEP_1)
	v_add3_u32 v9, v9, v11, 0x7fff
	scratch_store_b32 off, v9, s32 offset:748 ; 4-byte Folded Spill
                                        ; implicit-def: $vgpr9
.LBB450_4287:                           ;   in Loop: Header=BB450_3110 Depth=1
	s_and_not1_saveexec_b32 s23, s9
	s_cbranch_execz .LBB450_4289
; %bb.4288:                             ;   in Loop: Header=BB450_3110 Depth=1
	v_and_b32_e32 v11, 0xffff, v9
	v_or_b32_e32 v12, 0x10000, v9
	s_delay_alu instid0(VALU_DEP_2) | instskip(NEXT) | instid1(VALU_DEP_1)
	v_cmp_eq_u32_e64 s9, 0, v11
	v_cndmask_b32_e64 v9, v12, v9, s9
	scratch_store_b32 off, v9, s32 offset:748 ; 4-byte Folded Spill
.LBB450_4289:                           ;   in Loop: Header=BB450_3110 Depth=1
	s_or_b32 exec_lo, exec_lo, s23
	v_lshlrev_b32_e32 v9, 16, v10
	s_delay_alu instid0(VALU_DEP_1) | instskip(NEXT) | instid1(VALU_DEP_1)
	v_mul_f32_e32 v9, v163, v9
	v_and_b32_e32 v10, 0x7f800000, v9
	s_delay_alu instid0(VALU_DEP_1) | instskip(NEXT) | instid1(VALU_DEP_1)
	v_cmp_ne_u32_e64 s9, 0x7f800000, v10
                                        ; implicit-def: $vgpr10
                                        ; kill: killed $vgpr10
	s_and_saveexec_b32 s23, s9
	s_delay_alu instid0(SALU_CYCLE_1)
	s_xor_b32 s9, exec_lo, s23
	s_cbranch_execz .LBB450_4291
; %bb.4290:                             ;   in Loop: Header=BB450_3110 Depth=1
	v_bfe_u32 v10, v9, 16, 1
	s_delay_alu instid0(VALU_DEP_1)
	v_add3_u32 v9, v9, v10, 0x7fff
	scratch_store_b32 off, v9, s32 offset:752 ; 4-byte Folded Spill
                                        ; implicit-def: $vgpr9
.LBB450_4291:                           ;   in Loop: Header=BB450_3110 Depth=1
	s_and_not1_saveexec_b32 s23, s9
	s_cbranch_execz .LBB450_4293
; %bb.4292:                             ;   in Loop: Header=BB450_3110 Depth=1
	v_and_b32_e32 v10, 0xffff, v9
	v_or_b32_e32 v11, 0x10000, v9
	s_delay_alu instid0(VALU_DEP_2) | instskip(NEXT) | instid1(VALU_DEP_1)
	v_cmp_eq_u32_e64 s9, 0, v10
	v_cndmask_b32_e64 v9, v11, v9, s9
	scratch_store_b32 off, v9, s32 offset:752 ; 4-byte Folded Spill
.LBB450_4293:                           ;   in Loop: Header=BB450_3110 Depth=1
	s_or_b32 exec_lo, exec_lo, s23
	v_lshlrev_b32_e32 v8, 16, v8
	s_delay_alu instid0(VALU_DEP_1) | instskip(NEXT) | instid1(VALU_DEP_1)
	v_mul_f32_e32 v8, v164, v8
	v_and_b32_e32 v9, 0x7f800000, v8
	s_delay_alu instid0(VALU_DEP_1) | instskip(NEXT) | instid1(VALU_DEP_1)
	v_cmp_ne_u32_e64 s9, 0x7f800000, v9
                                        ; implicit-def: $vgpr9
                                        ; kill: killed $vgpr9
	s_and_saveexec_b32 s23, s9
	s_delay_alu instid0(SALU_CYCLE_1)
	s_xor_b32 s9, exec_lo, s23
	s_cbranch_execz .LBB450_4295
; %bb.4294:                             ;   in Loop: Header=BB450_3110 Depth=1
	v_bfe_u32 v9, v8, 16, 1
	s_delay_alu instid0(VALU_DEP_1)
	v_add3_u32 v8, v8, v9, 0x7fff
	scratch_store_b32 off, v8, s32 offset:756 ; 4-byte Folded Spill
                                        ; implicit-def: $vgpr8
.LBB450_4295:                           ;   in Loop: Header=BB450_3110 Depth=1
	s_and_not1_saveexec_b32 s23, s9
	s_cbranch_execz .LBB450_4297
; %bb.4296:                             ;   in Loop: Header=BB450_3110 Depth=1
	v_and_b32_e32 v9, 0xffff, v8
	v_or_b32_e32 v10, 0x10000, v8
	s_delay_alu instid0(VALU_DEP_2) | instskip(NEXT) | instid1(VALU_DEP_1)
	v_cmp_eq_u32_e64 s9, 0, v9
	v_cndmask_b32_e64 v8, v10, v8, s9
	scratch_store_b32 off, v8, s32 offset:756 ; 4-byte Folded Spill
.LBB450_4297:                           ;   in Loop: Header=BB450_3110 Depth=1
	s_or_b32 exec_lo, exec_lo, s23
	v_lshlrev_b32_e32 v7, 16, v7
	s_delay_alu instid0(VALU_DEP_1) | instskip(NEXT) | instid1(VALU_DEP_1)
	v_mul_f32_e32 v7, v165, v7
	v_and_b32_e32 v8, 0x7f800000, v7
	s_delay_alu instid0(VALU_DEP_1) | instskip(NEXT) | instid1(VALU_DEP_1)
	v_cmp_ne_u32_e64 s9, 0x7f800000, v8
                                        ; implicit-def: $vgpr8
                                        ; kill: killed $vgpr8
	s_and_saveexec_b32 s23, s9
	s_delay_alu instid0(SALU_CYCLE_1)
	s_xor_b32 s9, exec_lo, s23
	s_cbranch_execz .LBB450_4299
; %bb.4298:                             ;   in Loop: Header=BB450_3110 Depth=1
	v_bfe_u32 v8, v7, 16, 1
	s_delay_alu instid0(VALU_DEP_1)
	v_add3_u32 v7, v7, v8, 0x7fff
	scratch_store_b32 off, v7, s32 offset:760 ; 4-byte Folded Spill
                                        ; implicit-def: $vgpr7
.LBB450_4299:                           ;   in Loop: Header=BB450_3110 Depth=1
	s_and_not1_saveexec_b32 s23, s9
	s_cbranch_execz .LBB450_4301
; %bb.4300:                             ;   in Loop: Header=BB450_3110 Depth=1
	v_and_b32_e32 v8, 0xffff, v7
	v_or_b32_e32 v9, 0x10000, v7
	s_delay_alu instid0(VALU_DEP_2) | instskip(NEXT) | instid1(VALU_DEP_1)
	v_cmp_eq_u32_e64 s9, 0, v8
	v_cndmask_b32_e64 v7, v9, v7, s9
	scratch_store_b32 off, v7, s32 offset:760 ; 4-byte Folded Spill
.LBB450_4301:                           ;   in Loop: Header=BB450_3110 Depth=1
	s_or_b32 exec_lo, exec_lo, s23
	v_lshlrev_b32_e32 v6, 16, v6
	s_delay_alu instid0(VALU_DEP_1) | instskip(NEXT) | instid1(VALU_DEP_1)
	v_mul_f32_e32 v6, v166, v6
	v_and_b32_e32 v7, 0x7f800000, v6
	s_delay_alu instid0(VALU_DEP_1) | instskip(NEXT) | instid1(VALU_DEP_1)
	v_cmp_ne_u32_e64 s9, 0x7f800000, v7
                                        ; implicit-def: $vgpr7
                                        ; kill: killed $vgpr7
	s_and_saveexec_b32 s23, s9
	s_delay_alu instid0(SALU_CYCLE_1)
	s_xor_b32 s9, exec_lo, s23
	s_cbranch_execz .LBB450_4303
; %bb.4302:                             ;   in Loop: Header=BB450_3110 Depth=1
	v_bfe_u32 v7, v6, 16, 1
	s_delay_alu instid0(VALU_DEP_1)
	v_add3_u32 v6, v6, v7, 0x7fff
	scratch_store_b32 off, v6, s32 offset:764 ; 4-byte Folded Spill
                                        ; implicit-def: $vgpr6
.LBB450_4303:                           ;   in Loop: Header=BB450_3110 Depth=1
	s_and_not1_saveexec_b32 s23, s9
	s_cbranch_execz .LBB450_4305
; %bb.4304:                             ;   in Loop: Header=BB450_3110 Depth=1
	v_and_b32_e32 v7, 0xffff, v6
	v_or_b32_e32 v8, 0x10000, v6
	s_delay_alu instid0(VALU_DEP_2) | instskip(NEXT) | instid1(VALU_DEP_1)
	v_cmp_eq_u32_e64 s9, 0, v7
	v_cndmask_b32_e64 v6, v8, v6, s9
	scratch_store_b32 off, v6, s32 offset:764 ; 4-byte Folded Spill
.LBB450_4305:                           ;   in Loop: Header=BB450_3110 Depth=1
	s_or_b32 exec_lo, exec_lo, s23
	v_lshlrev_b32_e32 v5, 16, v5
	s_delay_alu instid0(VALU_DEP_1) | instskip(NEXT) | instid1(VALU_DEP_1)
	v_mul_f32_e32 v5, v167, v5
	v_and_b32_e32 v6, 0x7f800000, v5
	s_delay_alu instid0(VALU_DEP_1) | instskip(NEXT) | instid1(VALU_DEP_1)
	v_cmp_ne_u32_e64 s9, 0x7f800000, v6
                                        ; implicit-def: $vgpr6
                                        ; kill: killed $vgpr6
	s_and_saveexec_b32 s23, s9
	s_delay_alu instid0(SALU_CYCLE_1)
	s_xor_b32 s9, exec_lo, s23
	s_cbranch_execz .LBB450_4307
; %bb.4306:                             ;   in Loop: Header=BB450_3110 Depth=1
	v_bfe_u32 v6, v5, 16, 1
	s_delay_alu instid0(VALU_DEP_1)
	v_add3_u32 v5, v5, v6, 0x7fff
	scratch_store_b32 off, v5, s32 offset:768 ; 4-byte Folded Spill
                                        ; implicit-def: $vgpr5
.LBB450_4307:                           ;   in Loop: Header=BB450_3110 Depth=1
	s_and_not1_saveexec_b32 s23, s9
	s_cbranch_execz .LBB450_4309
; %bb.4308:                             ;   in Loop: Header=BB450_3110 Depth=1
	v_and_b32_e32 v6, 0xffff, v5
	v_or_b32_e32 v7, 0x10000, v5
	s_delay_alu instid0(VALU_DEP_2) | instskip(NEXT) | instid1(VALU_DEP_1)
	v_cmp_eq_u32_e64 s9, 0, v6
	v_cndmask_b32_e64 v5, v7, v5, s9
	scratch_store_b32 off, v5, s32 offset:768 ; 4-byte Folded Spill
.LBB450_4309:                           ;   in Loop: Header=BB450_3110 Depth=1
	s_or_b32 exec_lo, exec_lo, s23
	v_lshlrev_b32_e32 v4, 16, v4
	s_delay_alu instid0(VALU_DEP_1) | instskip(NEXT) | instid1(VALU_DEP_1)
	v_mul_f32_e32 v4, v176, v4
	v_and_b32_e32 v5, 0x7f800000, v4
	s_delay_alu instid0(VALU_DEP_1) | instskip(NEXT) | instid1(VALU_DEP_1)
	v_cmp_ne_u32_e64 s9, 0x7f800000, v5
                                        ; implicit-def: $vgpr5
                                        ; kill: killed $vgpr5
	s_and_saveexec_b32 s23, s9
	s_delay_alu instid0(SALU_CYCLE_1)
	s_xor_b32 s9, exec_lo, s23
	s_cbranch_execz .LBB450_4311
; %bb.4310:                             ;   in Loop: Header=BB450_3110 Depth=1
	v_bfe_u32 v5, v4, 16, 1
	s_delay_alu instid0(VALU_DEP_1)
	v_add3_u32 v4, v4, v5, 0x7fff
	scratch_store_b32 off, v4, s32 offset:772 ; 4-byte Folded Spill
                                        ; implicit-def: $vgpr4
.LBB450_4311:                           ;   in Loop: Header=BB450_3110 Depth=1
	s_and_not1_saveexec_b32 s23, s9
	s_cbranch_execz .LBB450_4313
; %bb.4312:                             ;   in Loop: Header=BB450_3110 Depth=1
	v_and_b32_e32 v5, 0xffff, v4
	v_or_b32_e32 v6, 0x10000, v4
	s_delay_alu instid0(VALU_DEP_2) | instskip(NEXT) | instid1(VALU_DEP_1)
	v_cmp_eq_u32_e64 s9, 0, v5
	v_cndmask_b32_e64 v4, v6, v4, s9
	scratch_store_b32 off, v4, s32 offset:772 ; 4-byte Folded Spill
.LBB450_4313:                           ;   in Loop: Header=BB450_3110 Depth=1
	s_or_b32 exec_lo, exec_lo, s23
	flat_load_b64 v[6:7], v[2:3] offset:2304
	s_mov_b32 s23, exec_lo
	s_waitcnt vmcnt(0) lgkmcnt(0)
	v_dual_mov_b32 v4, 0 :: v_dual_and_b32 v5, 0xff, v6
	s_delay_alu instid0(VALU_DEP_1)
	v_cmpx_ne_u16_e32 0, v5
	s_cbranch_execz .LBB450_4321
; %bb.4314:                             ;   in Loop: Header=BB450_3110 Depth=1
	v_bfrev_b32_e32 v4, 1
	s_mov_b32 s24, exec_lo
	v_cmpx_ne_u16_e32 0x80, v5
	s_cbranch_execz .LBB450_4320
; %bb.4315:                             ;   in Loop: Header=BB450_3110 Depth=1
	v_and_b32_e32 v5, 0x7f, v6
	v_mov_b32_e32 v4, 0x7f800001
	s_mov_b32 s25, exec_lo
	s_delay_alu instid0(VALU_DEP_2)
	v_cmpx_ne_u32_e32 0x7f, v5
	s_cbranch_execz .LBB450_4319
; %bb.4316:                             ;   in Loop: Header=BB450_3110 Depth=1
	v_lshrrev_b32_e32 v4, 3, v5
	v_dual_mov_b32 v9, v7 :: v_dual_mov_b32 v8, v6
	s_mov_b32 s26, exec_lo
	v_cmpx_gt_u32_e32 8, v5
; %bb.4317:                             ;   in Loop: Header=BB450_3110 Depth=1
	v_and_b32_e32 v4, 7, v6
	s_delay_alu instid0(VALU_DEP_1) | instskip(NEXT) | instid1(VALU_DEP_1)
	v_clz_i32_u32_e32 v4, v4
	v_min_u32_e32 v4, 32, v4
	s_delay_alu instid0(VALU_DEP_1) | instskip(SKIP_1) | instid1(VALU_DEP_2)
	v_subrev_nc_u32_e32 v5, 28, v4
	v_sub_nc_u32_e32 v4, 29, v4
	v_lshlrev_b64 v[8:9], v5, v[6:7]
; %bb.4318:                             ;   in Loop: Header=BB450_3110 Depth=1
	s_or_b32 exec_lo, exec_lo, s26
	s_delay_alu instid0(VALU_DEP_1) | instskip(SKIP_2) | instid1(VALU_DEP_3)
	v_lshlrev_b32_e32 v5, 20, v8
	v_lshlrev_b32_e32 v8, 24, v6
	v_lshl_add_u32 v4, v4, 23, 0x3c000000
	v_and_b32_e32 v5, 0x700000, v5
	s_delay_alu instid0(VALU_DEP_3) | instskip(NEXT) | instid1(VALU_DEP_1)
	v_and_b32_e32 v8, 0x80000000, v8
	v_or3_b32 v4, v5, v8, v4
.LBB450_4319:                           ;   in Loop: Header=BB450_3110 Depth=1
	s_or_b32 exec_lo, exec_lo, s25
.LBB450_4320:                           ;   in Loop: Header=BB450_3110 Depth=1
	s_delay_alu instid0(SALU_CYCLE_1)
	s_or_b32 exec_lo, exec_lo, s24
.LBB450_4321:                           ;   in Loop: Header=BB450_3110 Depth=1
	s_delay_alu instid0(SALU_CYCLE_1) | instskip(NEXT) | instid1(VALU_DEP_1)
	s_or_b32 exec_lo, exec_lo, s23
	v_mul_f32_e32 v5, v160, v4
	s_delay_alu instid0(VALU_DEP_1) | instskip(NEXT) | instid1(VALU_DEP_1)
	v_and_b32_e32 v4, 0x7f800000, v5
	v_cmp_ne_u32_e64 s9, 0x7f800000, v4
                                        ; implicit-def: $vgpr4
	s_delay_alu instid0(VALU_DEP_1) | instskip(NEXT) | instid1(SALU_CYCLE_1)
	s_and_saveexec_b32 s23, s9
	s_xor_b32 s9, exec_lo, s23
; %bb.4322:                             ;   in Loop: Header=BB450_3110 Depth=1
	v_bfe_u32 v4, v5, 16, 1
	s_delay_alu instid0(VALU_DEP_1)
	v_add3_u32 v4, v5, v4, 0x7fff
                                        ; implicit-def: $vgpr5
; %bb.4323:                             ;   in Loop: Header=BB450_3110 Depth=1
	s_and_not1_saveexec_b32 s23, s9
; %bb.4324:                             ;   in Loop: Header=BB450_3110 Depth=1
	v_and_b32_e32 v4, 0xffff, v5
	v_or_b32_e32 v8, 0x10000, v5
	s_delay_alu instid0(VALU_DEP_2) | instskip(NEXT) | instid1(VALU_DEP_1)
	v_cmp_eq_u32_e64 s9, 0, v4
	v_cndmask_b32_e64 v4, v8, v5, s9
; %bb.4325:                             ;   in Loop: Header=BB450_3110 Depth=1
	s_or_b32 exec_lo, exec_lo, s23
	v_lshrrev_b16 v8, 8, v6
	v_mov_b32_e32 v5, 0
	s_mov_b32 s23, exec_lo
	s_delay_alu instid0(VALU_DEP_2)
	v_cmpx_ne_u16_e32 0, v8
	s_cbranch_execz .LBB450_4333
; %bb.4326:                             ;   in Loop: Header=BB450_3110 Depth=1
	v_bfrev_b32_e32 v5, 1
	s_mov_b32 s24, exec_lo
	v_cmpx_ne_u16_e32 0x80, v8
	s_cbranch_execz .LBB450_4332
; %bb.4327:                             ;   in Loop: Header=BB450_3110 Depth=1
	v_and_b32_e32 v9, 0xffff, v8
	v_mov_b32_e32 v5, 0x7f800001
	s_mov_b32 s25, exec_lo
	s_delay_alu instid0(VALU_DEP_2) | instskip(NEXT) | instid1(VALU_DEP_1)
	v_and_b32_e32 v8, 0x7f, v9
	v_cmpx_ne_u32_e32 0x7f, v8
	s_cbranch_execz .LBB450_4331
; %bb.4328:                             ;   in Loop: Header=BB450_3110 Depth=1
	v_and_b32_e32 v12, 7, v9
	v_lshrrev_b32_e32 v5, 3, v8
	v_cmp_gt_u32_e64 s9, 8, v8
	s_delay_alu instid0(VALU_DEP_3) | instskip(NEXT) | instid1(VALU_DEP_2)
	v_dual_mov_b32 v8, v12 :: v_dual_mov_b32 v9, v13
	s_and_saveexec_b32 s26, s9
; %bb.4329:                             ;   in Loop: Header=BB450_3110 Depth=1
	v_clz_i32_u32_e32 v5, v12
	s_delay_alu instid0(VALU_DEP_1) | instskip(NEXT) | instid1(VALU_DEP_1)
	v_min_u32_e32 v5, 32, v5
	v_subrev_nc_u32_e32 v8, 28, v5
	v_sub_nc_u32_e32 v5, 29, v5
	s_delay_alu instid0(VALU_DEP_2) | instskip(NEXT) | instid1(VALU_DEP_1)
	v_lshlrev_b64 v[8:9], v8, v[12:13]
	v_and_b32_e32 v8, 7, v8
; %bb.4330:                             ;   in Loop: Header=BB450_3110 Depth=1
	s_or_b32 exec_lo, exec_lo, s26
	v_lshlrev_b32_e32 v9, 16, v6
	s_delay_alu instid0(VALU_DEP_2) | instskip(SKIP_1) | instid1(VALU_DEP_3)
	v_lshlrev_b32_e32 v8, 20, v8
	v_lshl_add_u32 v5, v5, 23, 0x3c000000
	v_and_b32_e32 v9, 0x80000000, v9
	s_delay_alu instid0(VALU_DEP_1)
	v_or3_b32 v5, v8, v9, v5
.LBB450_4331:                           ;   in Loop: Header=BB450_3110 Depth=1
	s_or_b32 exec_lo, exec_lo, s25
.LBB450_4332:                           ;   in Loop: Header=BB450_3110 Depth=1
	s_delay_alu instid0(SALU_CYCLE_1)
	s_or_b32 exec_lo, exec_lo, s24
.LBB450_4333:                           ;   in Loop: Header=BB450_3110 Depth=1
	s_delay_alu instid0(SALU_CYCLE_1) | instskip(NEXT) | instid1(VALU_DEP_1)
	s_or_b32 exec_lo, exec_lo, s23
	v_mul_f32_e32 v8, v160, v5
	s_delay_alu instid0(VALU_DEP_1) | instskip(NEXT) | instid1(VALU_DEP_1)
	v_and_b32_e32 v5, 0x7f800000, v8
	v_cmp_ne_u32_e64 s9, 0x7f800000, v5
                                        ; implicit-def: $vgpr5
	s_delay_alu instid0(VALU_DEP_1) | instskip(NEXT) | instid1(SALU_CYCLE_1)
	s_and_saveexec_b32 s23, s9
	s_xor_b32 s9, exec_lo, s23
; %bb.4334:                             ;   in Loop: Header=BB450_3110 Depth=1
	v_bfe_u32 v5, v8, 16, 1
	s_delay_alu instid0(VALU_DEP_1)
	v_add3_u32 v5, v8, v5, 0x7fff
                                        ; implicit-def: $vgpr8
; %bb.4335:                             ;   in Loop: Header=BB450_3110 Depth=1
	s_and_not1_saveexec_b32 s23, s9
; %bb.4336:                             ;   in Loop: Header=BB450_3110 Depth=1
	v_and_b32_e32 v5, 0xffff, v8
	v_or_b32_e32 v9, 0x10000, v8
	s_delay_alu instid0(VALU_DEP_2) | instskip(NEXT) | instid1(VALU_DEP_1)
	v_cmp_eq_u32_e64 s9, 0, v5
	v_cndmask_b32_e64 v5, v9, v8, s9
; %bb.4337:                             ;   in Loop: Header=BB450_3110 Depth=1
	s_or_b32 exec_lo, exec_lo, s23
	v_lshrrev_b32_e32 v10, 16, v6
	s_mov_b32 s23, exec_lo
	s_delay_alu instid0(VALU_DEP_1) | instskip(NEXT) | instid1(VALU_DEP_1)
	v_dual_mov_b32 v8, 0 :: v_dual_and_b32 v9, 0xff, v10
	v_cmpx_ne_u16_e32 0, v9
	s_cbranch_execz .LBB450_4345
; %bb.4338:                             ;   in Loop: Header=BB450_3110 Depth=1
	v_bfrev_b32_e32 v8, 1
	s_mov_b32 s24, exec_lo
	v_cmpx_ne_u16_e32 0x80, v9
	s_cbranch_execz .LBB450_4344
; %bb.4339:                             ;   in Loop: Header=BB450_3110 Depth=1
	v_bfe_u32 v9, v6, 16, 7
	v_mov_b32_e32 v8, 0x7f800001
	s_mov_b32 s25, exec_lo
	s_delay_alu instid0(VALU_DEP_2)
	v_cmpx_ne_u32_e32 0x7f, v9
	s_cbranch_execz .LBB450_4343
; %bb.4340:                             ;   in Loop: Header=BB450_3110 Depth=1
	v_and_b32_e32 v12, 7, v10
	v_lshrrev_b32_e32 v11, 3, v9
	v_cmp_gt_u32_e64 s9, 8, v9
	s_delay_alu instid0(VALU_DEP_3) | instskip(NEXT) | instid1(VALU_DEP_2)
	v_dual_mov_b32 v8, v12 :: v_dual_mov_b32 v9, v13
	s_and_saveexec_b32 s26, s9
; %bb.4341:                             ;   in Loop: Header=BB450_3110 Depth=1
	v_clz_i32_u32_e32 v8, v12
	s_delay_alu instid0(VALU_DEP_1) | instskip(NEXT) | instid1(VALU_DEP_1)
	v_min_u32_e32 v11, 32, v8
	v_subrev_nc_u32_e32 v8, 28, v11
	v_sub_nc_u32_e32 v11, 29, v11
	s_delay_alu instid0(VALU_DEP_2) | instskip(NEXT) | instid1(VALU_DEP_1)
	v_lshlrev_b64 v[8:9], v8, v[12:13]
	v_and_b32_e32 v8, 7, v8
; %bb.4342:                             ;   in Loop: Header=BB450_3110 Depth=1
	s_or_b32 exec_lo, exec_lo, s26
	v_lshlrev_b32_e32 v9, 24, v10
	s_delay_alu instid0(VALU_DEP_2) | instskip(SKIP_1) | instid1(VALU_DEP_3)
	v_lshlrev_b32_e32 v8, 20, v8
	v_lshl_add_u32 v10, v11, 23, 0x3c000000
	v_and_b32_e32 v9, 0x80000000, v9
	s_delay_alu instid0(VALU_DEP_1)
	v_or3_b32 v8, v8, v9, v10
.LBB450_4343:                           ;   in Loop: Header=BB450_3110 Depth=1
	s_or_b32 exec_lo, exec_lo, s25
.LBB450_4344:                           ;   in Loop: Header=BB450_3110 Depth=1
	s_delay_alu instid0(SALU_CYCLE_1)
	s_or_b32 exec_lo, exec_lo, s24
.LBB450_4345:                           ;   in Loop: Header=BB450_3110 Depth=1
	s_delay_alu instid0(SALU_CYCLE_1) | instskip(NEXT) | instid1(VALU_DEP_1)
	s_or_b32 exec_lo, exec_lo, s23
	v_mul_f32_e32 v8, v160, v8
                                        ; implicit-def: $vgpr10
	s_delay_alu instid0(VALU_DEP_1) | instskip(NEXT) | instid1(VALU_DEP_1)
	v_and_b32_e32 v9, 0x7f800000, v8
	v_cmp_ne_u32_e64 s9, 0x7f800000, v9
	s_delay_alu instid0(VALU_DEP_1) | instskip(NEXT) | instid1(SALU_CYCLE_1)
	s_and_saveexec_b32 s23, s9
	s_xor_b32 s9, exec_lo, s23
; %bb.4346:                             ;   in Loop: Header=BB450_3110 Depth=1
	v_bfe_u32 v9, v8, 16, 1
	s_delay_alu instid0(VALU_DEP_1)
	v_add3_u32 v10, v8, v9, 0x7fff
                                        ; implicit-def: $vgpr8
; %bb.4347:                             ;   in Loop: Header=BB450_3110 Depth=1
	s_and_not1_saveexec_b32 s23, s9
; %bb.4348:                             ;   in Loop: Header=BB450_3110 Depth=1
	v_and_b32_e32 v9, 0xffff, v8
	v_or_b32_e32 v10, 0x10000, v8
	s_delay_alu instid0(VALU_DEP_2) | instskip(NEXT) | instid1(VALU_DEP_1)
	v_cmp_eq_u32_e64 s9, 0, v9
	v_cndmask_b32_e64 v10, v10, v8, s9
; %bb.4349:                             ;   in Loop: Header=BB450_3110 Depth=1
	s_or_b32 exec_lo, exec_lo, s23
	v_mov_b32_e32 v8, 0
	s_mov_b32 s23, exec_lo
	v_cmpx_lt_u32_e32 0xffffff, v6
	s_cbranch_execz .LBB450_4357
; %bb.4350:                             ;   in Loop: Header=BB450_3110 Depth=1
	v_lshrrev_b32_e32 v11, 24, v6
	v_bfrev_b32_e32 v8, 1
	s_mov_b32 s24, exec_lo
	s_delay_alu instid0(VALU_DEP_2)
	v_cmpx_ne_u32_e32 0x80, v11
	s_cbranch_execz .LBB450_4356
; %bb.4351:                             ;   in Loop: Header=BB450_3110 Depth=1
	v_bfe_u32 v9, v6, 24, 7
	v_mov_b32_e32 v8, 0x7f800001
	s_mov_b32 s25, exec_lo
	s_delay_alu instid0(VALU_DEP_2)
	v_cmpx_ne_u32_e32 0x7f, v9
	s_cbranch_execz .LBB450_4355
; %bb.4352:                             ;   in Loop: Header=BB450_3110 Depth=1
	v_and_b32_e32 v12, 7, v11
	v_lshrrev_b32_e32 v16, 3, v9
	v_cmp_gt_u32_e64 s9, 8, v9
	s_delay_alu instid0(VALU_DEP_3) | instskip(NEXT) | instid1(VALU_DEP_2)
	v_dual_mov_b32 v8, v12 :: v_dual_mov_b32 v9, v13
	s_and_saveexec_b32 s26, s9
; %bb.4353:                             ;   in Loop: Header=BB450_3110 Depth=1
	v_clz_i32_u32_e32 v8, v12
	s_delay_alu instid0(VALU_DEP_1) | instskip(NEXT) | instid1(VALU_DEP_1)
	v_min_u32_e32 v16, 32, v8
	v_subrev_nc_u32_e32 v8, 28, v16
	v_sub_nc_u32_e32 v16, 29, v16
	s_delay_alu instid0(VALU_DEP_2) | instskip(NEXT) | instid1(VALU_DEP_1)
	v_lshlrev_b64 v[8:9], v8, v[12:13]
	v_and_b32_e32 v8, 7, v8
; %bb.4354:                             ;   in Loop: Header=BB450_3110 Depth=1
	s_or_b32 exec_lo, exec_lo, s26
	v_lshlrev_b32_e32 v9, 24, v11
	s_delay_alu instid0(VALU_DEP_2) | instskip(SKIP_1) | instid1(VALU_DEP_3)
	v_lshlrev_b32_e32 v8, 20, v8
	v_lshl_add_u32 v11, v16, 23, 0x3c000000
	v_and_b32_e32 v9, 0x80000000, v9
	s_delay_alu instid0(VALU_DEP_1)
	v_or3_b32 v8, v8, v9, v11
.LBB450_4355:                           ;   in Loop: Header=BB450_3110 Depth=1
	s_or_b32 exec_lo, exec_lo, s25
.LBB450_4356:                           ;   in Loop: Header=BB450_3110 Depth=1
	s_delay_alu instid0(SALU_CYCLE_1)
	s_or_b32 exec_lo, exec_lo, s24
.LBB450_4357:                           ;   in Loop: Header=BB450_3110 Depth=1
	s_delay_alu instid0(SALU_CYCLE_1) | instskip(NEXT) | instid1(VALU_DEP_1)
	s_or_b32 exec_lo, exec_lo, s23
	v_mul_f32_e32 v8, v160, v8
                                        ; implicit-def: $vgpr11
	s_delay_alu instid0(VALU_DEP_1) | instskip(NEXT) | instid1(VALU_DEP_1)
	v_and_b32_e32 v9, 0x7f800000, v8
	v_cmp_ne_u32_e64 s9, 0x7f800000, v9
	s_delay_alu instid0(VALU_DEP_1) | instskip(NEXT) | instid1(SALU_CYCLE_1)
	s_and_saveexec_b32 s23, s9
	s_xor_b32 s9, exec_lo, s23
; %bb.4358:                             ;   in Loop: Header=BB450_3110 Depth=1
	v_bfe_u32 v9, v8, 16, 1
	s_delay_alu instid0(VALU_DEP_1)
	v_add3_u32 v11, v8, v9, 0x7fff
                                        ; implicit-def: $vgpr8
; %bb.4359:                             ;   in Loop: Header=BB450_3110 Depth=1
	s_and_not1_saveexec_b32 s23, s9
; %bb.4360:                             ;   in Loop: Header=BB450_3110 Depth=1
	v_and_b32_e32 v9, 0xffff, v8
	v_or_b32_e32 v11, 0x10000, v8
	s_delay_alu instid0(VALU_DEP_2) | instskip(NEXT) | instid1(VALU_DEP_1)
	v_cmp_eq_u32_e64 s9, 0, v9
	v_cndmask_b32_e64 v11, v11, v8, s9
; %bb.4361:                             ;   in Loop: Header=BB450_3110 Depth=1
	s_or_b32 exec_lo, exec_lo, s23
	v_dual_mov_b32 v12, v7 :: v_dual_and_b32 v9, 0xff, v7
	v_mov_b32_e32 v8, 0
	s_mov_b32 s23, exec_lo
	s_delay_alu instid0(VALU_DEP_2)
	v_cmpx_ne_u16_e32 0, v9
	s_cbranch_execz .LBB450_4369
; %bb.4362:                             ;   in Loop: Header=BB450_3110 Depth=1
	v_bfrev_b32_e32 v8, 1
	s_mov_b32 s24, exec_lo
	v_cmpx_ne_u16_e32 0x80, v9
	s_cbranch_execz .LBB450_4368
; %bb.4363:                             ;   in Loop: Header=BB450_3110 Depth=1
	v_and_b32_e32 v9, 0x7f, v7
	v_mov_b32_e32 v8, 0x7f800001
	s_mov_b32 s25, exec_lo
	s_delay_alu instid0(VALU_DEP_2)
	v_cmpx_ne_u32_e32 0x7f, v9
	s_cbranch_execz .LBB450_4367
; %bb.4364:                             ;   in Loop: Header=BB450_3110 Depth=1
	v_lshrrev_b32_e32 v16, 3, v9
	v_cmp_gt_u32_e64 s9, 8, v9
	v_dual_mov_b32 v8, v12 :: v_dual_mov_b32 v9, v13
	s_delay_alu instid0(VALU_DEP_2)
	s_and_saveexec_b32 s26, s9
; %bb.4365:                             ;   in Loop: Header=BB450_3110 Depth=1
	v_and_b32_e32 v8, 7, v7
	s_delay_alu instid0(VALU_DEP_1) | instskip(NEXT) | instid1(VALU_DEP_1)
	v_clz_i32_u32_e32 v8, v8
	v_min_u32_e32 v16, 32, v8
	s_delay_alu instid0(VALU_DEP_1) | instskip(SKIP_1) | instid1(VALU_DEP_2)
	v_subrev_nc_u32_e32 v8, 28, v16
	v_sub_nc_u32_e32 v16, 29, v16
	v_lshlrev_b64 v[8:9], v8, v[12:13]
; %bb.4366:                             ;   in Loop: Header=BB450_3110 Depth=1
	s_or_b32 exec_lo, exec_lo, s26
	s_delay_alu instid0(VALU_DEP_1) | instskip(SKIP_2) | instid1(VALU_DEP_3)
	v_lshlrev_b32_e32 v8, 20, v8
	v_lshlrev_b32_e32 v9, 24, v12
	v_lshl_add_u32 v16, v16, 23, 0x3c000000
	v_and_b32_e32 v8, 0x700000, v8
	s_delay_alu instid0(VALU_DEP_3) | instskip(NEXT) | instid1(VALU_DEP_1)
	v_and_b32_e32 v9, 0x80000000, v9
	v_or3_b32 v8, v8, v9, v16
.LBB450_4367:                           ;   in Loop: Header=BB450_3110 Depth=1
	s_or_b32 exec_lo, exec_lo, s25
.LBB450_4368:                           ;   in Loop: Header=BB450_3110 Depth=1
	s_delay_alu instid0(SALU_CYCLE_1)
	s_or_b32 exec_lo, exec_lo, s24
.LBB450_4369:                           ;   in Loop: Header=BB450_3110 Depth=1
	s_delay_alu instid0(SALU_CYCLE_1) | instskip(NEXT) | instid1(VALU_DEP_1)
	s_or_b32 exec_lo, exec_lo, s23
	v_mul_f32_e32 v8, v160, v8
                                        ; implicit-def: $vgpr16
	s_delay_alu instid0(VALU_DEP_1) | instskip(NEXT) | instid1(VALU_DEP_1)
	v_and_b32_e32 v9, 0x7f800000, v8
	v_cmp_ne_u32_e64 s9, 0x7f800000, v9
	s_delay_alu instid0(VALU_DEP_1) | instskip(NEXT) | instid1(SALU_CYCLE_1)
	s_and_saveexec_b32 s23, s9
	s_xor_b32 s9, exec_lo, s23
; %bb.4370:                             ;   in Loop: Header=BB450_3110 Depth=1
	v_bfe_u32 v9, v8, 16, 1
	s_delay_alu instid0(VALU_DEP_1)
	v_add3_u32 v16, v8, v9, 0x7fff
                                        ; implicit-def: $vgpr8
; %bb.4371:                             ;   in Loop: Header=BB450_3110 Depth=1
	s_and_not1_saveexec_b32 s23, s9
; %bb.4372:                             ;   in Loop: Header=BB450_3110 Depth=1
	v_and_b32_e32 v9, 0xffff, v8
	v_or_b32_e32 v16, 0x10000, v8
	s_delay_alu instid0(VALU_DEP_2) | instskip(NEXT) | instid1(VALU_DEP_1)
	v_cmp_eq_u32_e64 s9, 0, v9
	v_cndmask_b32_e64 v16, v16, v8, s9
; %bb.4373:                             ;   in Loop: Header=BB450_3110 Depth=1
	s_or_b32 exec_lo, exec_lo, s23
	v_lshrrev_b16 v9, 8, v12
	v_mov_b32_e32 v8, 0
	s_mov_b32 s23, exec_lo
	s_delay_alu instid0(VALU_DEP_2)
	v_cmpx_ne_u16_e32 0, v9
	s_cbranch_execz .LBB450_4381
; %bb.4374:                             ;   in Loop: Header=BB450_3110 Depth=1
	v_bfrev_b32_e32 v8, 1
	s_mov_b32 s24, exec_lo
	v_cmpx_ne_u16_e32 0x80, v9
	s_cbranch_execz .LBB450_4380
; %bb.4375:                             ;   in Loop: Header=BB450_3110 Depth=1
	v_and_b32_e32 v9, 0xffff, v9
	v_mov_b32_e32 v8, 0x7f800001
	s_mov_b32 s25, exec_lo
	s_delay_alu instid0(VALU_DEP_2) | instskip(NEXT) | instid1(VALU_DEP_1)
	v_and_b32_e32 v19, 0x7f, v9
	v_cmpx_ne_u32_e32 0x7f, v19
	s_cbranch_execz .LBB450_4379
; %bb.4376:                             ;   in Loop: Header=BB450_3110 Depth=1
	v_dual_mov_b32 v9, v13 :: v_dual_and_b32 v8, 7, v9
	v_lshrrev_b32_e32 v18, 3, v19
	s_mov_b32 s26, exec_lo
	v_cmpx_gt_u32_e32 8, v19
; %bb.4377:                             ;   in Loop: Header=BB450_3110 Depth=1
	s_delay_alu instid0(VALU_DEP_3) | instskip(NEXT) | instid1(VALU_DEP_1)
	v_clz_i32_u32_e32 v18, v8
	v_min_u32_e32 v18, 32, v18
	s_delay_alu instid0(VALU_DEP_1) | instskip(SKIP_1) | instid1(VALU_DEP_2)
	v_subrev_nc_u32_e32 v19, 28, v18
	v_sub_nc_u32_e32 v18, 29, v18
	v_lshlrev_b64 v[8:9], v19, v[8:9]
	s_delay_alu instid0(VALU_DEP_1)
	v_and_b32_e32 v8, 7, v8
; %bb.4378:                             ;   in Loop: Header=BB450_3110 Depth=1
	s_or_b32 exec_lo, exec_lo, s26
	v_lshlrev_b32_e32 v9, 16, v12
	s_delay_alu instid0(VALU_DEP_2) | instskip(SKIP_1) | instid1(VALU_DEP_3)
	v_lshlrev_b32_e32 v8, 20, v8
	v_lshl_add_u32 v12, v18, 23, 0x3c000000
	v_and_b32_e32 v9, 0x80000000, v9
	s_delay_alu instid0(VALU_DEP_1)
	v_or3_b32 v8, v8, v9, v12
.LBB450_4379:                           ;   in Loop: Header=BB450_3110 Depth=1
	s_or_b32 exec_lo, exec_lo, s25
.LBB450_4380:                           ;   in Loop: Header=BB450_3110 Depth=1
	s_delay_alu instid0(SALU_CYCLE_1)
	s_or_b32 exec_lo, exec_lo, s24
.LBB450_4381:                           ;   in Loop: Header=BB450_3110 Depth=1
	s_delay_alu instid0(SALU_CYCLE_1) | instskip(NEXT) | instid1(VALU_DEP_1)
	s_or_b32 exec_lo, exec_lo, s23
	v_mul_f32_e32 v8, v160, v8
                                        ; implicit-def: $vgpr18
	s_delay_alu instid0(VALU_DEP_1) | instskip(NEXT) | instid1(VALU_DEP_1)
	v_and_b32_e32 v9, 0x7f800000, v8
	v_cmp_ne_u32_e64 s9, 0x7f800000, v9
	s_delay_alu instid0(VALU_DEP_1) | instskip(NEXT) | instid1(SALU_CYCLE_1)
	s_and_saveexec_b32 s23, s9
	s_xor_b32 s9, exec_lo, s23
; %bb.4382:                             ;   in Loop: Header=BB450_3110 Depth=1
	v_bfe_u32 v9, v8, 16, 1
	s_delay_alu instid0(VALU_DEP_1)
	v_add3_u32 v18, v8, v9, 0x7fff
                                        ; implicit-def: $vgpr8
; %bb.4383:                             ;   in Loop: Header=BB450_3110 Depth=1
	s_and_not1_saveexec_b32 s23, s9
; %bb.4384:                             ;   in Loop: Header=BB450_3110 Depth=1
	v_and_b32_e32 v9, 0xffff, v8
	v_or_b32_e32 v12, 0x10000, v8
	s_delay_alu instid0(VALU_DEP_2) | instskip(NEXT) | instid1(VALU_DEP_1)
	v_cmp_eq_u32_e64 s9, 0, v9
	v_cndmask_b32_e64 v18, v12, v8, s9
; %bb.4385:                             ;   in Loop: Header=BB450_3110 Depth=1
	s_or_b32 exec_lo, exec_lo, s23
	v_lshrrev_b32_e32 v19, 16, v7
	s_mov_b32 s23, exec_lo
	s_delay_alu instid0(VALU_DEP_1) | instskip(NEXT) | instid1(VALU_DEP_1)
	v_dual_mov_b32 v8, 0 :: v_dual_and_b32 v9, 0xff, v19
	v_cmpx_ne_u16_e32 0, v9
	s_cbranch_execz .LBB450_4393
; %bb.4386:                             ;   in Loop: Header=BB450_3110 Depth=1
	v_bfrev_b32_e32 v8, 1
	s_mov_b32 s24, exec_lo
	v_cmpx_ne_u16_e32 0x80, v9
	s_cbranch_execz .LBB450_4392
; %bb.4387:                             ;   in Loop: Header=BB450_3110 Depth=1
	v_bfe_u32 v9, v7, 16, 7
	v_mov_b32_e32 v8, 0x7f800001
	s_mov_b32 s25, exec_lo
	s_delay_alu instid0(VALU_DEP_2)
	v_cmpx_ne_u32_e32 0x7f, v9
	s_cbranch_execz .LBB450_4391
; %bb.4388:                             ;   in Loop: Header=BB450_3110 Depth=1
	v_and_b32_e32 v12, 7, v19
	v_lshrrev_b32_e32 v20, 3, v9
	v_cmp_gt_u32_e64 s9, 8, v9
	s_delay_alu instid0(VALU_DEP_3) | instskip(NEXT) | instid1(VALU_DEP_2)
	v_dual_mov_b32 v8, v12 :: v_dual_mov_b32 v9, v13
	s_and_saveexec_b32 s26, s9
; %bb.4389:                             ;   in Loop: Header=BB450_3110 Depth=1
	v_clz_i32_u32_e32 v8, v12
	s_delay_alu instid0(VALU_DEP_1) | instskip(NEXT) | instid1(VALU_DEP_1)
	v_min_u32_e32 v20, 32, v8
	v_subrev_nc_u32_e32 v8, 28, v20
	v_sub_nc_u32_e32 v20, 29, v20
	s_delay_alu instid0(VALU_DEP_2) | instskip(NEXT) | instid1(VALU_DEP_1)
	v_lshlrev_b64 v[8:9], v8, v[12:13]
	v_and_b32_e32 v8, 7, v8
; %bb.4390:                             ;   in Loop: Header=BB450_3110 Depth=1
	s_or_b32 exec_lo, exec_lo, s26
	v_lshlrev_b32_e32 v9, 24, v19
	s_delay_alu instid0(VALU_DEP_2) | instskip(SKIP_1) | instid1(VALU_DEP_3)
	v_lshlrev_b32_e32 v8, 20, v8
	v_lshl_add_u32 v12, v20, 23, 0x3c000000
	v_and_b32_e32 v9, 0x80000000, v9
	s_delay_alu instid0(VALU_DEP_1)
	v_or3_b32 v8, v8, v9, v12
.LBB450_4391:                           ;   in Loop: Header=BB450_3110 Depth=1
	s_or_b32 exec_lo, exec_lo, s25
.LBB450_4392:                           ;   in Loop: Header=BB450_3110 Depth=1
	s_delay_alu instid0(SALU_CYCLE_1)
	s_or_b32 exec_lo, exec_lo, s24
.LBB450_4393:                           ;   in Loop: Header=BB450_3110 Depth=1
	s_delay_alu instid0(SALU_CYCLE_1) | instskip(NEXT) | instid1(VALU_DEP_1)
	s_or_b32 exec_lo, exec_lo, s23
	v_mul_f32_e32 v8, v160, v8
	s_delay_alu instid0(VALU_DEP_1) | instskip(NEXT) | instid1(VALU_DEP_1)
	v_and_b32_e32 v9, 0x7f800000, v8
	v_cmp_ne_u32_e64 s9, 0x7f800000, v9
                                        ; implicit-def: $vgpr9
	s_delay_alu instid0(VALU_DEP_1) | instskip(NEXT) | instid1(SALU_CYCLE_1)
	s_and_saveexec_b32 s23, s9
	s_xor_b32 s9, exec_lo, s23
; %bb.4394:                             ;   in Loop: Header=BB450_3110 Depth=1
	v_bfe_u32 v9, v8, 16, 1
	s_delay_alu instid0(VALU_DEP_1)
	v_add3_u32 v9, v8, v9, 0x7fff
                                        ; implicit-def: $vgpr8
; %bb.4395:                             ;   in Loop: Header=BB450_3110 Depth=1
	s_and_not1_saveexec_b32 s23, s9
; %bb.4396:                             ;   in Loop: Header=BB450_3110 Depth=1
	v_and_b32_e32 v9, 0xffff, v8
	v_or_b32_e32 v12, 0x10000, v8
	s_delay_alu instid0(VALU_DEP_2) | instskip(NEXT) | instid1(VALU_DEP_1)
	v_cmp_eq_u32_e64 s9, 0, v9
	v_cndmask_b32_e64 v9, v12, v8, s9
; %bb.4397:                             ;   in Loop: Header=BB450_3110 Depth=1
	s_or_b32 exec_lo, exec_lo, s23
	v_cmp_lt_u64_e64 s9, s[18:19], v[6:7]
	v_mov_b32_e32 v6, 0
	s_delay_alu instid0(VALU_DEP_2)
	s_and_saveexec_b32 s23, s9
	s_cbranch_execz .LBB450_4405
; %bb.4398:                             ;   in Loop: Header=BB450_3110 Depth=1
	v_lshrrev_b32_e32 v8, 24, v7
	v_bfrev_b32_e32 v6, 1
	s_mov_b32 s24, exec_lo
	s_delay_alu instid0(VALU_DEP_2)
	v_cmpx_ne_u32_e32 0x80, v8
	s_cbranch_execz .LBB450_4404
; %bb.4399:                             ;   in Loop: Header=BB450_3110 Depth=1
	v_bfe_u32 v7, v7, 24, 7
	v_mov_b32_e32 v6, 0x7f800001
	s_mov_b32 s25, exec_lo
	s_delay_alu instid0(VALU_DEP_2)
	v_cmpx_ne_u32_e32 0x7f, v7
	s_cbranch_execz .LBB450_4403
; %bb.4400:                             ;   in Loop: Header=BB450_3110 Depth=1
	v_and_b32_e32 v12, 7, v8
	v_lshrrev_b32_e32 v19, 3, v7
	v_cmp_gt_u32_e64 s9, 8, v7
	s_delay_alu instid0(VALU_DEP_3) | instskip(NEXT) | instid1(VALU_DEP_2)
	v_dual_mov_b32 v6, v12 :: v_dual_mov_b32 v7, v13
	s_and_saveexec_b32 s26, s9
; %bb.4401:                             ;   in Loop: Header=BB450_3110 Depth=1
	v_clz_i32_u32_e32 v6, v12
	s_delay_alu instid0(VALU_DEP_1) | instskip(NEXT) | instid1(VALU_DEP_1)
	v_min_u32_e32 v19, 32, v6
	v_subrev_nc_u32_e32 v6, 28, v19
	v_sub_nc_u32_e32 v19, 29, v19
	s_delay_alu instid0(VALU_DEP_2) | instskip(NEXT) | instid1(VALU_DEP_1)
	v_lshlrev_b64 v[6:7], v6, v[12:13]
	v_and_b32_e32 v6, 7, v6
; %bb.4402:                             ;   in Loop: Header=BB450_3110 Depth=1
	s_or_b32 exec_lo, exec_lo, s26
	v_lshlrev_b32_e32 v7, 24, v8
	s_delay_alu instid0(VALU_DEP_2) | instskip(SKIP_1) | instid1(VALU_DEP_3)
	v_lshlrev_b32_e32 v6, 20, v6
	v_lshl_add_u32 v8, v19, 23, 0x3c000000
	v_and_b32_e32 v7, 0x80000000, v7
	s_delay_alu instid0(VALU_DEP_1)
	v_or3_b32 v6, v6, v7, v8
.LBB450_4403:                           ;   in Loop: Header=BB450_3110 Depth=1
	s_or_b32 exec_lo, exec_lo, s25
.LBB450_4404:                           ;   in Loop: Header=BB450_3110 Depth=1
	s_delay_alu instid0(SALU_CYCLE_1)
	s_or_b32 exec_lo, exec_lo, s24
.LBB450_4405:                           ;   in Loop: Header=BB450_3110 Depth=1
	s_delay_alu instid0(SALU_CYCLE_1) | instskip(NEXT) | instid1(VALU_DEP_1)
	s_or_b32 exec_lo, exec_lo, s23
	v_mul_f32_e32 v6, v160, v6
                                        ; implicit-def: $vgpr19
	s_delay_alu instid0(VALU_DEP_1) | instskip(NEXT) | instid1(VALU_DEP_1)
	v_and_b32_e32 v7, 0x7f800000, v6
	v_cmp_ne_u32_e64 s9, 0x7f800000, v7
	s_delay_alu instid0(VALU_DEP_1) | instskip(NEXT) | instid1(SALU_CYCLE_1)
	s_and_saveexec_b32 s23, s9
	s_xor_b32 s9, exec_lo, s23
; %bb.4406:                             ;   in Loop: Header=BB450_3110 Depth=1
	v_bfe_u32 v7, v6, 16, 1
	s_delay_alu instid0(VALU_DEP_1)
	v_add3_u32 v19, v6, v7, 0x7fff
                                        ; implicit-def: $vgpr6
; %bb.4407:                             ;   in Loop: Header=BB450_3110 Depth=1
	s_and_not1_saveexec_b32 s23, s9
; %bb.4408:                             ;   in Loop: Header=BB450_3110 Depth=1
	v_and_b32_e32 v7, 0xffff, v6
	v_or_b32_e32 v8, 0x10000, v6
	s_delay_alu instid0(VALU_DEP_2) | instskip(NEXT) | instid1(VALU_DEP_1)
	v_cmp_eq_u32_e64 s9, 0, v7
	v_cndmask_b32_e64 v19, v8, v6, s9
; %bb.4409:                             ;   in Loop: Header=BB450_3110 Depth=1
	s_or_b32 exec_lo, exec_lo, s23
	v_lshrrev_b32_e32 v6, 16, v18
	v_lshrrev_b32_e32 v7, 16, v16
	;; [unrolled: 1-line block ×8, first 2 shown]
	s_and_saveexec_b32 s9, s1
; %bb.4410:                             ;   in Loop: Header=BB450_3110 Depth=1
	s_delay_alu instid0(VALU_DEP_3)
	v_cndmask_b32_e32 v12, 0, v12, vcc_lo
	v_cndmask_b32_e64 v11, 0, v11, s2
	v_cndmask_b32_e64 v10, 0, v10, s3
	;; [unrolled: 1-line block ×7, first 2 shown]
; %bb.4411:                             ;   in Loop: Header=BB450_3110 Depth=1
	s_or_b32 exec_lo, exec_lo, s9
	v_lshlrev_b32_e32 v9, 16, v12
	s_delay_alu instid0(VALU_DEP_1) | instskip(NEXT) | instid1(VALU_DEP_1)
	v_mul_f32_e32 v9, v161, v9
	v_and_b32_e32 v12, 0x7f800000, v9
	s_delay_alu instid0(VALU_DEP_1) | instskip(NEXT) | instid1(VALU_DEP_1)
	v_cmp_ne_u32_e64 s9, 0x7f800000, v12
                                        ; implicit-def: $vgpr12
                                        ; kill: killed $vgpr12
	s_and_saveexec_b32 s23, s9
	s_delay_alu instid0(SALU_CYCLE_1)
	s_xor_b32 s9, exec_lo, s23
	s_cbranch_execz .LBB450_4413
; %bb.4412:                             ;   in Loop: Header=BB450_3110 Depth=1
	v_bfe_u32 v12, v9, 16, 1
	s_delay_alu instid0(VALU_DEP_1)
	v_add3_u32 v9, v9, v12, 0x7fff
	scratch_store_b32 off, v9, s32 offset:776 ; 4-byte Folded Spill
                                        ; implicit-def: $vgpr9
.LBB450_4413:                           ;   in Loop: Header=BB450_3110 Depth=1
	s_and_not1_saveexec_b32 s23, s9
	s_cbranch_execz .LBB450_4415
; %bb.4414:                             ;   in Loop: Header=BB450_3110 Depth=1
	v_and_b32_e32 v12, 0xffff, v9
	v_or_b32_e32 v16, 0x10000, v9
	s_delay_alu instid0(VALU_DEP_2) | instskip(NEXT) | instid1(VALU_DEP_1)
	v_cmp_eq_u32_e64 s9, 0, v12
	v_cndmask_b32_e64 v9, v16, v9, s9
	scratch_store_b32 off, v9, s32 offset:776 ; 4-byte Folded Spill
.LBB450_4415:                           ;   in Loop: Header=BB450_3110 Depth=1
	s_or_b32 exec_lo, exec_lo, s23
	v_lshlrev_b32_e32 v9, 16, v11
	s_delay_alu instid0(VALU_DEP_1) | instskip(NEXT) | instid1(VALU_DEP_1)
	v_mul_f32_e32 v9, v162, v9
	v_and_b32_e32 v11, 0x7f800000, v9
	s_delay_alu instid0(VALU_DEP_1) | instskip(NEXT) | instid1(VALU_DEP_1)
	v_cmp_ne_u32_e64 s9, 0x7f800000, v11
                                        ; implicit-def: $vgpr11
                                        ; kill: killed $vgpr11
	s_and_saveexec_b32 s23, s9
	s_delay_alu instid0(SALU_CYCLE_1)
	s_xor_b32 s9, exec_lo, s23
	s_cbranch_execz .LBB450_4417
; %bb.4416:                             ;   in Loop: Header=BB450_3110 Depth=1
	v_bfe_u32 v11, v9, 16, 1
	s_delay_alu instid0(VALU_DEP_1)
	v_add3_u32 v9, v9, v11, 0x7fff
	scratch_store_b32 off, v9, s32 offset:780 ; 4-byte Folded Spill
                                        ; implicit-def: $vgpr9
.LBB450_4417:                           ;   in Loop: Header=BB450_3110 Depth=1
	s_and_not1_saveexec_b32 s23, s9
	s_cbranch_execz .LBB450_4419
; %bb.4418:                             ;   in Loop: Header=BB450_3110 Depth=1
	v_and_b32_e32 v11, 0xffff, v9
	v_or_b32_e32 v12, 0x10000, v9
	s_delay_alu instid0(VALU_DEP_2) | instskip(NEXT) | instid1(VALU_DEP_1)
	v_cmp_eq_u32_e64 s9, 0, v11
	v_cndmask_b32_e64 v9, v12, v9, s9
	scratch_store_b32 off, v9, s32 offset:780 ; 4-byte Folded Spill
.LBB450_4419:                           ;   in Loop: Header=BB450_3110 Depth=1
	s_or_b32 exec_lo, exec_lo, s23
	v_lshlrev_b32_e32 v9, 16, v10
	s_delay_alu instid0(VALU_DEP_1) | instskip(NEXT) | instid1(VALU_DEP_1)
	v_mul_f32_e32 v9, v163, v9
	v_and_b32_e32 v10, 0x7f800000, v9
	s_delay_alu instid0(VALU_DEP_1) | instskip(NEXT) | instid1(VALU_DEP_1)
	v_cmp_ne_u32_e64 s9, 0x7f800000, v10
                                        ; implicit-def: $vgpr10
                                        ; kill: killed $vgpr10
	s_and_saveexec_b32 s23, s9
	s_delay_alu instid0(SALU_CYCLE_1)
	s_xor_b32 s9, exec_lo, s23
	s_cbranch_execz .LBB450_4421
; %bb.4420:                             ;   in Loop: Header=BB450_3110 Depth=1
	v_bfe_u32 v10, v9, 16, 1
	s_delay_alu instid0(VALU_DEP_1)
	v_add3_u32 v9, v9, v10, 0x7fff
	scratch_store_b32 off, v9, s32 offset:784 ; 4-byte Folded Spill
                                        ; implicit-def: $vgpr9
.LBB450_4421:                           ;   in Loop: Header=BB450_3110 Depth=1
	s_and_not1_saveexec_b32 s23, s9
	s_cbranch_execz .LBB450_4423
; %bb.4422:                             ;   in Loop: Header=BB450_3110 Depth=1
	v_and_b32_e32 v10, 0xffff, v9
	v_or_b32_e32 v11, 0x10000, v9
	s_delay_alu instid0(VALU_DEP_2) | instskip(NEXT) | instid1(VALU_DEP_1)
	v_cmp_eq_u32_e64 s9, 0, v10
	v_cndmask_b32_e64 v9, v11, v9, s9
	scratch_store_b32 off, v9, s32 offset:784 ; 4-byte Folded Spill
.LBB450_4423:                           ;   in Loop: Header=BB450_3110 Depth=1
	s_or_b32 exec_lo, exec_lo, s23
	v_lshlrev_b32_e32 v8, 16, v8
	s_delay_alu instid0(VALU_DEP_1) | instskip(NEXT) | instid1(VALU_DEP_1)
	v_mul_f32_e32 v8, v164, v8
	v_and_b32_e32 v9, 0x7f800000, v8
	s_delay_alu instid0(VALU_DEP_1) | instskip(NEXT) | instid1(VALU_DEP_1)
	v_cmp_ne_u32_e64 s9, 0x7f800000, v9
                                        ; implicit-def: $vgpr9
                                        ; kill: killed $vgpr9
	s_and_saveexec_b32 s23, s9
	s_delay_alu instid0(SALU_CYCLE_1)
	s_xor_b32 s9, exec_lo, s23
	s_cbranch_execz .LBB450_4425
; %bb.4424:                             ;   in Loop: Header=BB450_3110 Depth=1
	v_bfe_u32 v9, v8, 16, 1
	s_delay_alu instid0(VALU_DEP_1)
	v_add3_u32 v8, v8, v9, 0x7fff
	scratch_store_b32 off, v8, s32 offset:788 ; 4-byte Folded Spill
                                        ; implicit-def: $vgpr8
.LBB450_4425:                           ;   in Loop: Header=BB450_3110 Depth=1
	s_and_not1_saveexec_b32 s23, s9
	s_cbranch_execz .LBB450_4427
; %bb.4426:                             ;   in Loop: Header=BB450_3110 Depth=1
	v_and_b32_e32 v9, 0xffff, v8
	v_or_b32_e32 v10, 0x10000, v8
	s_delay_alu instid0(VALU_DEP_2) | instskip(NEXT) | instid1(VALU_DEP_1)
	v_cmp_eq_u32_e64 s9, 0, v9
	v_cndmask_b32_e64 v8, v10, v8, s9
	scratch_store_b32 off, v8, s32 offset:788 ; 4-byte Folded Spill
.LBB450_4427:                           ;   in Loop: Header=BB450_3110 Depth=1
	s_or_b32 exec_lo, exec_lo, s23
	v_lshlrev_b32_e32 v7, 16, v7
	s_delay_alu instid0(VALU_DEP_1) | instskip(NEXT) | instid1(VALU_DEP_1)
	v_mul_f32_e32 v7, v165, v7
	v_and_b32_e32 v8, 0x7f800000, v7
	s_delay_alu instid0(VALU_DEP_1) | instskip(NEXT) | instid1(VALU_DEP_1)
	v_cmp_ne_u32_e64 s9, 0x7f800000, v8
                                        ; implicit-def: $vgpr8
                                        ; kill: killed $vgpr8
	s_and_saveexec_b32 s23, s9
	s_delay_alu instid0(SALU_CYCLE_1)
	s_xor_b32 s9, exec_lo, s23
	s_cbranch_execz .LBB450_4429
; %bb.4428:                             ;   in Loop: Header=BB450_3110 Depth=1
	v_bfe_u32 v8, v7, 16, 1
	s_delay_alu instid0(VALU_DEP_1)
	v_add3_u32 v7, v7, v8, 0x7fff
	scratch_store_b32 off, v7, s32 offset:792 ; 4-byte Folded Spill
                                        ; implicit-def: $vgpr7
.LBB450_4429:                           ;   in Loop: Header=BB450_3110 Depth=1
	s_and_not1_saveexec_b32 s23, s9
	s_cbranch_execz .LBB450_4431
; %bb.4430:                             ;   in Loop: Header=BB450_3110 Depth=1
	v_and_b32_e32 v8, 0xffff, v7
	v_or_b32_e32 v9, 0x10000, v7
	s_delay_alu instid0(VALU_DEP_2) | instskip(NEXT) | instid1(VALU_DEP_1)
	v_cmp_eq_u32_e64 s9, 0, v8
	v_cndmask_b32_e64 v7, v9, v7, s9
	scratch_store_b32 off, v7, s32 offset:792 ; 4-byte Folded Spill
.LBB450_4431:                           ;   in Loop: Header=BB450_3110 Depth=1
	s_or_b32 exec_lo, exec_lo, s23
	v_lshlrev_b32_e32 v6, 16, v6
	s_delay_alu instid0(VALU_DEP_1) | instskip(NEXT) | instid1(VALU_DEP_1)
	v_mul_f32_e32 v6, v166, v6
	v_and_b32_e32 v7, 0x7f800000, v6
	s_delay_alu instid0(VALU_DEP_1) | instskip(NEXT) | instid1(VALU_DEP_1)
	v_cmp_ne_u32_e64 s9, 0x7f800000, v7
                                        ; implicit-def: $vgpr7
                                        ; kill: killed $vgpr7
	s_and_saveexec_b32 s23, s9
	s_delay_alu instid0(SALU_CYCLE_1)
	s_xor_b32 s9, exec_lo, s23
	s_cbranch_execz .LBB450_4433
; %bb.4432:                             ;   in Loop: Header=BB450_3110 Depth=1
	v_bfe_u32 v7, v6, 16, 1
	s_delay_alu instid0(VALU_DEP_1)
	v_add3_u32 v6, v6, v7, 0x7fff
	scratch_store_b32 off, v6, s32 offset:796 ; 4-byte Folded Spill
                                        ; implicit-def: $vgpr6
.LBB450_4433:                           ;   in Loop: Header=BB450_3110 Depth=1
	s_and_not1_saveexec_b32 s23, s9
	s_cbranch_execz .LBB450_4435
; %bb.4434:                             ;   in Loop: Header=BB450_3110 Depth=1
	v_and_b32_e32 v7, 0xffff, v6
	v_or_b32_e32 v8, 0x10000, v6
	s_delay_alu instid0(VALU_DEP_2) | instskip(NEXT) | instid1(VALU_DEP_1)
	v_cmp_eq_u32_e64 s9, 0, v7
	v_cndmask_b32_e64 v6, v8, v6, s9
	scratch_store_b32 off, v6, s32 offset:796 ; 4-byte Folded Spill
.LBB450_4435:                           ;   in Loop: Header=BB450_3110 Depth=1
	s_or_b32 exec_lo, exec_lo, s23
	v_lshlrev_b32_e32 v5, 16, v5
	s_delay_alu instid0(VALU_DEP_1) | instskip(NEXT) | instid1(VALU_DEP_1)
	v_mul_f32_e32 v5, v167, v5
	v_and_b32_e32 v6, 0x7f800000, v5
	s_delay_alu instid0(VALU_DEP_1) | instskip(NEXT) | instid1(VALU_DEP_1)
	v_cmp_ne_u32_e64 s9, 0x7f800000, v6
                                        ; implicit-def: $vgpr6
                                        ; kill: killed $vgpr6
	s_and_saveexec_b32 s23, s9
	s_delay_alu instid0(SALU_CYCLE_1)
	s_xor_b32 s9, exec_lo, s23
	s_cbranch_execz .LBB450_4437
; %bb.4436:                             ;   in Loop: Header=BB450_3110 Depth=1
	v_bfe_u32 v6, v5, 16, 1
	s_delay_alu instid0(VALU_DEP_1)
	v_add3_u32 v5, v5, v6, 0x7fff
	scratch_store_b32 off, v5, s32 offset:800 ; 4-byte Folded Spill
                                        ; implicit-def: $vgpr5
.LBB450_4437:                           ;   in Loop: Header=BB450_3110 Depth=1
	s_and_not1_saveexec_b32 s23, s9
	s_cbranch_execz .LBB450_4439
; %bb.4438:                             ;   in Loop: Header=BB450_3110 Depth=1
	v_and_b32_e32 v6, 0xffff, v5
	v_or_b32_e32 v7, 0x10000, v5
	s_delay_alu instid0(VALU_DEP_2) | instskip(NEXT) | instid1(VALU_DEP_1)
	v_cmp_eq_u32_e64 s9, 0, v6
	v_cndmask_b32_e64 v5, v7, v5, s9
	scratch_store_b32 off, v5, s32 offset:800 ; 4-byte Folded Spill
.LBB450_4439:                           ;   in Loop: Header=BB450_3110 Depth=1
	s_or_b32 exec_lo, exec_lo, s23
	v_lshlrev_b32_e32 v4, 16, v4
	s_delay_alu instid0(VALU_DEP_1) | instskip(NEXT) | instid1(VALU_DEP_1)
	v_mul_f32_e32 v4, v176, v4
	v_and_b32_e32 v5, 0x7f800000, v4
	s_delay_alu instid0(VALU_DEP_1) | instskip(NEXT) | instid1(VALU_DEP_1)
	v_cmp_ne_u32_e64 s9, 0x7f800000, v5
                                        ; implicit-def: $vgpr5
                                        ; kill: killed $vgpr5
	s_and_saveexec_b32 s23, s9
	s_delay_alu instid0(SALU_CYCLE_1)
	s_xor_b32 s9, exec_lo, s23
	s_cbranch_execz .LBB450_4441
; %bb.4440:                             ;   in Loop: Header=BB450_3110 Depth=1
	v_bfe_u32 v5, v4, 16, 1
	s_delay_alu instid0(VALU_DEP_1)
	v_add3_u32 v4, v4, v5, 0x7fff
	scratch_store_b32 off, v4, s32 offset:804 ; 4-byte Folded Spill
                                        ; implicit-def: $vgpr4
.LBB450_4441:                           ;   in Loop: Header=BB450_3110 Depth=1
	s_and_not1_saveexec_b32 s23, s9
	s_cbranch_execz .LBB450_4443
; %bb.4442:                             ;   in Loop: Header=BB450_3110 Depth=1
	v_and_b32_e32 v5, 0xffff, v4
	v_or_b32_e32 v6, 0x10000, v4
	s_delay_alu instid0(VALU_DEP_2) | instskip(NEXT) | instid1(VALU_DEP_1)
	v_cmp_eq_u32_e64 s9, 0, v5
	v_cndmask_b32_e64 v4, v6, v4, s9
	scratch_store_b32 off, v4, s32 offset:804 ; 4-byte Folded Spill
.LBB450_4443:                           ;   in Loop: Header=BB450_3110 Depth=1
	s_or_b32 exec_lo, exec_lo, s23
	flat_load_b64 v[6:7], v[2:3] offset:2560
	s_mov_b32 s23, exec_lo
	s_waitcnt vmcnt(0) lgkmcnt(0)
	v_dual_mov_b32 v4, 0 :: v_dual_and_b32 v5, 0xff, v6
	s_delay_alu instid0(VALU_DEP_1)
	v_cmpx_ne_u16_e32 0, v5
	s_cbranch_execz .LBB450_4451
; %bb.4444:                             ;   in Loop: Header=BB450_3110 Depth=1
	v_bfrev_b32_e32 v4, 1
	s_mov_b32 s24, exec_lo
	v_cmpx_ne_u16_e32 0x80, v5
	s_cbranch_execz .LBB450_4450
; %bb.4445:                             ;   in Loop: Header=BB450_3110 Depth=1
	v_and_b32_e32 v5, 0x7f, v6
	v_mov_b32_e32 v4, 0x7f800001
	s_mov_b32 s25, exec_lo
	s_delay_alu instid0(VALU_DEP_2)
	v_cmpx_ne_u32_e32 0x7f, v5
	s_cbranch_execz .LBB450_4449
; %bb.4446:                             ;   in Loop: Header=BB450_3110 Depth=1
	v_lshrrev_b32_e32 v4, 3, v5
	v_dual_mov_b32 v9, v7 :: v_dual_mov_b32 v8, v6
	s_mov_b32 s26, exec_lo
	v_cmpx_gt_u32_e32 8, v5
; %bb.4447:                             ;   in Loop: Header=BB450_3110 Depth=1
	v_and_b32_e32 v4, 7, v6
	s_delay_alu instid0(VALU_DEP_1) | instskip(NEXT) | instid1(VALU_DEP_1)
	v_clz_i32_u32_e32 v4, v4
	v_min_u32_e32 v4, 32, v4
	s_delay_alu instid0(VALU_DEP_1) | instskip(SKIP_1) | instid1(VALU_DEP_2)
	v_subrev_nc_u32_e32 v5, 28, v4
	v_sub_nc_u32_e32 v4, 29, v4
	v_lshlrev_b64 v[8:9], v5, v[6:7]
; %bb.4448:                             ;   in Loop: Header=BB450_3110 Depth=1
	s_or_b32 exec_lo, exec_lo, s26
	s_delay_alu instid0(VALU_DEP_1) | instskip(SKIP_2) | instid1(VALU_DEP_3)
	v_lshlrev_b32_e32 v5, 20, v8
	v_lshlrev_b32_e32 v8, 24, v6
	v_lshl_add_u32 v4, v4, 23, 0x3c000000
	v_and_b32_e32 v5, 0x700000, v5
	s_delay_alu instid0(VALU_DEP_3) | instskip(NEXT) | instid1(VALU_DEP_1)
	v_and_b32_e32 v8, 0x80000000, v8
	v_or3_b32 v4, v5, v8, v4
.LBB450_4449:                           ;   in Loop: Header=BB450_3110 Depth=1
	s_or_b32 exec_lo, exec_lo, s25
.LBB450_4450:                           ;   in Loop: Header=BB450_3110 Depth=1
	s_delay_alu instid0(SALU_CYCLE_1)
	s_or_b32 exec_lo, exec_lo, s24
.LBB450_4451:                           ;   in Loop: Header=BB450_3110 Depth=1
	s_delay_alu instid0(SALU_CYCLE_1) | instskip(NEXT) | instid1(VALU_DEP_1)
	s_or_b32 exec_lo, exec_lo, s23
	v_mul_f32_e32 v5, v160, v4
	s_delay_alu instid0(VALU_DEP_1) | instskip(NEXT) | instid1(VALU_DEP_1)
	v_and_b32_e32 v4, 0x7f800000, v5
	v_cmp_ne_u32_e64 s9, 0x7f800000, v4
                                        ; implicit-def: $vgpr4
	s_delay_alu instid0(VALU_DEP_1) | instskip(NEXT) | instid1(SALU_CYCLE_1)
	s_and_saveexec_b32 s23, s9
	s_xor_b32 s9, exec_lo, s23
; %bb.4452:                             ;   in Loop: Header=BB450_3110 Depth=1
	v_bfe_u32 v4, v5, 16, 1
	s_delay_alu instid0(VALU_DEP_1)
	v_add3_u32 v4, v5, v4, 0x7fff
                                        ; implicit-def: $vgpr5
; %bb.4453:                             ;   in Loop: Header=BB450_3110 Depth=1
	s_and_not1_saveexec_b32 s23, s9
; %bb.4454:                             ;   in Loop: Header=BB450_3110 Depth=1
	v_and_b32_e32 v4, 0xffff, v5
	v_or_b32_e32 v8, 0x10000, v5
	s_delay_alu instid0(VALU_DEP_2) | instskip(NEXT) | instid1(VALU_DEP_1)
	v_cmp_eq_u32_e64 s9, 0, v4
	v_cndmask_b32_e64 v4, v8, v5, s9
; %bb.4455:                             ;   in Loop: Header=BB450_3110 Depth=1
	s_or_b32 exec_lo, exec_lo, s23
	v_lshrrev_b16 v8, 8, v6
	v_mov_b32_e32 v5, 0
	s_mov_b32 s23, exec_lo
	s_delay_alu instid0(VALU_DEP_2)
	v_cmpx_ne_u16_e32 0, v8
	s_cbranch_execz .LBB450_4463
; %bb.4456:                             ;   in Loop: Header=BB450_3110 Depth=1
	v_bfrev_b32_e32 v5, 1
	s_mov_b32 s24, exec_lo
	v_cmpx_ne_u16_e32 0x80, v8
	s_cbranch_execz .LBB450_4462
; %bb.4457:                             ;   in Loop: Header=BB450_3110 Depth=1
	v_and_b32_e32 v9, 0xffff, v8
	v_mov_b32_e32 v5, 0x7f800001
	s_mov_b32 s25, exec_lo
	s_delay_alu instid0(VALU_DEP_2) | instskip(NEXT) | instid1(VALU_DEP_1)
	v_and_b32_e32 v8, 0x7f, v9
	v_cmpx_ne_u32_e32 0x7f, v8
	s_cbranch_execz .LBB450_4461
; %bb.4458:                             ;   in Loop: Header=BB450_3110 Depth=1
	v_and_b32_e32 v12, 7, v9
	v_lshrrev_b32_e32 v5, 3, v8
	v_cmp_gt_u32_e64 s9, 8, v8
	s_delay_alu instid0(VALU_DEP_3) | instskip(NEXT) | instid1(VALU_DEP_2)
	v_dual_mov_b32 v8, v12 :: v_dual_mov_b32 v9, v13
	s_and_saveexec_b32 s26, s9
; %bb.4459:                             ;   in Loop: Header=BB450_3110 Depth=1
	v_clz_i32_u32_e32 v5, v12
	s_delay_alu instid0(VALU_DEP_1) | instskip(NEXT) | instid1(VALU_DEP_1)
	v_min_u32_e32 v5, 32, v5
	v_subrev_nc_u32_e32 v8, 28, v5
	v_sub_nc_u32_e32 v5, 29, v5
	s_delay_alu instid0(VALU_DEP_2) | instskip(NEXT) | instid1(VALU_DEP_1)
	v_lshlrev_b64 v[8:9], v8, v[12:13]
	v_and_b32_e32 v8, 7, v8
; %bb.4460:                             ;   in Loop: Header=BB450_3110 Depth=1
	s_or_b32 exec_lo, exec_lo, s26
	v_lshlrev_b32_e32 v9, 16, v6
	s_delay_alu instid0(VALU_DEP_2) | instskip(SKIP_1) | instid1(VALU_DEP_3)
	v_lshlrev_b32_e32 v8, 20, v8
	v_lshl_add_u32 v5, v5, 23, 0x3c000000
	v_and_b32_e32 v9, 0x80000000, v9
	s_delay_alu instid0(VALU_DEP_1)
	v_or3_b32 v5, v8, v9, v5
.LBB450_4461:                           ;   in Loop: Header=BB450_3110 Depth=1
	s_or_b32 exec_lo, exec_lo, s25
.LBB450_4462:                           ;   in Loop: Header=BB450_3110 Depth=1
	s_delay_alu instid0(SALU_CYCLE_1)
	s_or_b32 exec_lo, exec_lo, s24
.LBB450_4463:                           ;   in Loop: Header=BB450_3110 Depth=1
	s_delay_alu instid0(SALU_CYCLE_1) | instskip(NEXT) | instid1(VALU_DEP_1)
	s_or_b32 exec_lo, exec_lo, s23
	v_mul_f32_e32 v8, v160, v5
	s_delay_alu instid0(VALU_DEP_1) | instskip(NEXT) | instid1(VALU_DEP_1)
	v_and_b32_e32 v5, 0x7f800000, v8
	v_cmp_ne_u32_e64 s9, 0x7f800000, v5
                                        ; implicit-def: $vgpr5
	s_delay_alu instid0(VALU_DEP_1) | instskip(NEXT) | instid1(SALU_CYCLE_1)
	s_and_saveexec_b32 s23, s9
	s_xor_b32 s9, exec_lo, s23
; %bb.4464:                             ;   in Loop: Header=BB450_3110 Depth=1
	v_bfe_u32 v5, v8, 16, 1
	s_delay_alu instid0(VALU_DEP_1)
	v_add3_u32 v5, v8, v5, 0x7fff
                                        ; implicit-def: $vgpr8
; %bb.4465:                             ;   in Loop: Header=BB450_3110 Depth=1
	s_and_not1_saveexec_b32 s23, s9
; %bb.4466:                             ;   in Loop: Header=BB450_3110 Depth=1
	v_and_b32_e32 v5, 0xffff, v8
	v_or_b32_e32 v9, 0x10000, v8
	s_delay_alu instid0(VALU_DEP_2) | instskip(NEXT) | instid1(VALU_DEP_1)
	v_cmp_eq_u32_e64 s9, 0, v5
	v_cndmask_b32_e64 v5, v9, v8, s9
; %bb.4467:                             ;   in Loop: Header=BB450_3110 Depth=1
	s_or_b32 exec_lo, exec_lo, s23
	v_lshrrev_b32_e32 v10, 16, v6
	s_mov_b32 s23, exec_lo
	s_delay_alu instid0(VALU_DEP_1) | instskip(NEXT) | instid1(VALU_DEP_1)
	v_dual_mov_b32 v8, 0 :: v_dual_and_b32 v9, 0xff, v10
	v_cmpx_ne_u16_e32 0, v9
	s_cbranch_execz .LBB450_4475
; %bb.4468:                             ;   in Loop: Header=BB450_3110 Depth=1
	v_bfrev_b32_e32 v8, 1
	s_mov_b32 s24, exec_lo
	v_cmpx_ne_u16_e32 0x80, v9
	s_cbranch_execz .LBB450_4474
; %bb.4469:                             ;   in Loop: Header=BB450_3110 Depth=1
	v_bfe_u32 v9, v6, 16, 7
	v_mov_b32_e32 v8, 0x7f800001
	s_mov_b32 s25, exec_lo
	s_delay_alu instid0(VALU_DEP_2)
	v_cmpx_ne_u32_e32 0x7f, v9
	s_cbranch_execz .LBB450_4473
; %bb.4470:                             ;   in Loop: Header=BB450_3110 Depth=1
	v_and_b32_e32 v12, 7, v10
	v_lshrrev_b32_e32 v11, 3, v9
	v_cmp_gt_u32_e64 s9, 8, v9
	s_delay_alu instid0(VALU_DEP_3) | instskip(NEXT) | instid1(VALU_DEP_2)
	v_dual_mov_b32 v8, v12 :: v_dual_mov_b32 v9, v13
	s_and_saveexec_b32 s26, s9
; %bb.4471:                             ;   in Loop: Header=BB450_3110 Depth=1
	v_clz_i32_u32_e32 v8, v12
	s_delay_alu instid0(VALU_DEP_1) | instskip(NEXT) | instid1(VALU_DEP_1)
	v_min_u32_e32 v11, 32, v8
	v_subrev_nc_u32_e32 v8, 28, v11
	v_sub_nc_u32_e32 v11, 29, v11
	s_delay_alu instid0(VALU_DEP_2) | instskip(NEXT) | instid1(VALU_DEP_1)
	v_lshlrev_b64 v[8:9], v8, v[12:13]
	v_and_b32_e32 v8, 7, v8
; %bb.4472:                             ;   in Loop: Header=BB450_3110 Depth=1
	s_or_b32 exec_lo, exec_lo, s26
	v_lshlrev_b32_e32 v9, 24, v10
	s_delay_alu instid0(VALU_DEP_2) | instskip(SKIP_1) | instid1(VALU_DEP_3)
	v_lshlrev_b32_e32 v8, 20, v8
	v_lshl_add_u32 v10, v11, 23, 0x3c000000
	v_and_b32_e32 v9, 0x80000000, v9
	s_delay_alu instid0(VALU_DEP_1)
	v_or3_b32 v8, v8, v9, v10
.LBB450_4473:                           ;   in Loop: Header=BB450_3110 Depth=1
	s_or_b32 exec_lo, exec_lo, s25
.LBB450_4474:                           ;   in Loop: Header=BB450_3110 Depth=1
	s_delay_alu instid0(SALU_CYCLE_1)
	s_or_b32 exec_lo, exec_lo, s24
.LBB450_4475:                           ;   in Loop: Header=BB450_3110 Depth=1
	s_delay_alu instid0(SALU_CYCLE_1) | instskip(NEXT) | instid1(VALU_DEP_1)
	s_or_b32 exec_lo, exec_lo, s23
	v_mul_f32_e32 v8, v160, v8
                                        ; implicit-def: $vgpr10
	s_delay_alu instid0(VALU_DEP_1) | instskip(NEXT) | instid1(VALU_DEP_1)
	v_and_b32_e32 v9, 0x7f800000, v8
	v_cmp_ne_u32_e64 s9, 0x7f800000, v9
	s_delay_alu instid0(VALU_DEP_1) | instskip(NEXT) | instid1(SALU_CYCLE_1)
	s_and_saveexec_b32 s23, s9
	s_xor_b32 s9, exec_lo, s23
; %bb.4476:                             ;   in Loop: Header=BB450_3110 Depth=1
	v_bfe_u32 v9, v8, 16, 1
	s_delay_alu instid0(VALU_DEP_1)
	v_add3_u32 v10, v8, v9, 0x7fff
                                        ; implicit-def: $vgpr8
; %bb.4477:                             ;   in Loop: Header=BB450_3110 Depth=1
	s_and_not1_saveexec_b32 s23, s9
; %bb.4478:                             ;   in Loop: Header=BB450_3110 Depth=1
	v_and_b32_e32 v9, 0xffff, v8
	v_or_b32_e32 v10, 0x10000, v8
	s_delay_alu instid0(VALU_DEP_2) | instskip(NEXT) | instid1(VALU_DEP_1)
	v_cmp_eq_u32_e64 s9, 0, v9
	v_cndmask_b32_e64 v10, v10, v8, s9
; %bb.4479:                             ;   in Loop: Header=BB450_3110 Depth=1
	s_or_b32 exec_lo, exec_lo, s23
	v_mov_b32_e32 v8, 0
	s_mov_b32 s23, exec_lo
	v_cmpx_lt_u32_e32 0xffffff, v6
	s_cbranch_execz .LBB450_4487
; %bb.4480:                             ;   in Loop: Header=BB450_3110 Depth=1
	v_lshrrev_b32_e32 v11, 24, v6
	v_bfrev_b32_e32 v8, 1
	s_mov_b32 s24, exec_lo
	s_delay_alu instid0(VALU_DEP_2)
	v_cmpx_ne_u32_e32 0x80, v11
	s_cbranch_execz .LBB450_4486
; %bb.4481:                             ;   in Loop: Header=BB450_3110 Depth=1
	v_bfe_u32 v9, v6, 24, 7
	v_mov_b32_e32 v8, 0x7f800001
	s_mov_b32 s25, exec_lo
	s_delay_alu instid0(VALU_DEP_2)
	v_cmpx_ne_u32_e32 0x7f, v9
	s_cbranch_execz .LBB450_4485
; %bb.4482:                             ;   in Loop: Header=BB450_3110 Depth=1
	v_and_b32_e32 v12, 7, v11
	v_lshrrev_b32_e32 v16, 3, v9
	v_cmp_gt_u32_e64 s9, 8, v9
	s_delay_alu instid0(VALU_DEP_3) | instskip(NEXT) | instid1(VALU_DEP_2)
	v_dual_mov_b32 v8, v12 :: v_dual_mov_b32 v9, v13
	s_and_saveexec_b32 s26, s9
; %bb.4483:                             ;   in Loop: Header=BB450_3110 Depth=1
	v_clz_i32_u32_e32 v8, v12
	s_delay_alu instid0(VALU_DEP_1) | instskip(NEXT) | instid1(VALU_DEP_1)
	v_min_u32_e32 v16, 32, v8
	v_subrev_nc_u32_e32 v8, 28, v16
	v_sub_nc_u32_e32 v16, 29, v16
	s_delay_alu instid0(VALU_DEP_2) | instskip(NEXT) | instid1(VALU_DEP_1)
	v_lshlrev_b64 v[8:9], v8, v[12:13]
	v_and_b32_e32 v8, 7, v8
; %bb.4484:                             ;   in Loop: Header=BB450_3110 Depth=1
	s_or_b32 exec_lo, exec_lo, s26
	v_lshlrev_b32_e32 v9, 24, v11
	s_delay_alu instid0(VALU_DEP_2) | instskip(SKIP_1) | instid1(VALU_DEP_3)
	v_lshlrev_b32_e32 v8, 20, v8
	v_lshl_add_u32 v11, v16, 23, 0x3c000000
	v_and_b32_e32 v9, 0x80000000, v9
	s_delay_alu instid0(VALU_DEP_1)
	v_or3_b32 v8, v8, v9, v11
.LBB450_4485:                           ;   in Loop: Header=BB450_3110 Depth=1
	s_or_b32 exec_lo, exec_lo, s25
.LBB450_4486:                           ;   in Loop: Header=BB450_3110 Depth=1
	s_delay_alu instid0(SALU_CYCLE_1)
	s_or_b32 exec_lo, exec_lo, s24
.LBB450_4487:                           ;   in Loop: Header=BB450_3110 Depth=1
	s_delay_alu instid0(SALU_CYCLE_1) | instskip(NEXT) | instid1(VALU_DEP_1)
	s_or_b32 exec_lo, exec_lo, s23
	v_mul_f32_e32 v8, v160, v8
                                        ; implicit-def: $vgpr11
	s_delay_alu instid0(VALU_DEP_1) | instskip(NEXT) | instid1(VALU_DEP_1)
	v_and_b32_e32 v9, 0x7f800000, v8
	v_cmp_ne_u32_e64 s9, 0x7f800000, v9
	s_delay_alu instid0(VALU_DEP_1) | instskip(NEXT) | instid1(SALU_CYCLE_1)
	s_and_saveexec_b32 s23, s9
	s_xor_b32 s9, exec_lo, s23
; %bb.4488:                             ;   in Loop: Header=BB450_3110 Depth=1
	v_bfe_u32 v9, v8, 16, 1
	s_delay_alu instid0(VALU_DEP_1)
	v_add3_u32 v11, v8, v9, 0x7fff
                                        ; implicit-def: $vgpr8
; %bb.4489:                             ;   in Loop: Header=BB450_3110 Depth=1
	s_and_not1_saveexec_b32 s23, s9
; %bb.4490:                             ;   in Loop: Header=BB450_3110 Depth=1
	v_and_b32_e32 v9, 0xffff, v8
	v_or_b32_e32 v11, 0x10000, v8
	s_delay_alu instid0(VALU_DEP_2) | instskip(NEXT) | instid1(VALU_DEP_1)
	v_cmp_eq_u32_e64 s9, 0, v9
	v_cndmask_b32_e64 v11, v11, v8, s9
; %bb.4491:                             ;   in Loop: Header=BB450_3110 Depth=1
	s_or_b32 exec_lo, exec_lo, s23
	v_dual_mov_b32 v12, v7 :: v_dual_and_b32 v9, 0xff, v7
	v_mov_b32_e32 v8, 0
	s_mov_b32 s23, exec_lo
	s_delay_alu instid0(VALU_DEP_2)
	v_cmpx_ne_u16_e32 0, v9
	s_cbranch_execz .LBB450_4499
; %bb.4492:                             ;   in Loop: Header=BB450_3110 Depth=1
	v_bfrev_b32_e32 v8, 1
	s_mov_b32 s24, exec_lo
	v_cmpx_ne_u16_e32 0x80, v9
	s_cbranch_execz .LBB450_4498
; %bb.4493:                             ;   in Loop: Header=BB450_3110 Depth=1
	v_and_b32_e32 v9, 0x7f, v7
	v_mov_b32_e32 v8, 0x7f800001
	s_mov_b32 s25, exec_lo
	s_delay_alu instid0(VALU_DEP_2)
	v_cmpx_ne_u32_e32 0x7f, v9
	s_cbranch_execz .LBB450_4497
; %bb.4494:                             ;   in Loop: Header=BB450_3110 Depth=1
	v_lshrrev_b32_e32 v16, 3, v9
	v_cmp_gt_u32_e64 s9, 8, v9
	v_dual_mov_b32 v8, v12 :: v_dual_mov_b32 v9, v13
	s_delay_alu instid0(VALU_DEP_2)
	s_and_saveexec_b32 s26, s9
; %bb.4495:                             ;   in Loop: Header=BB450_3110 Depth=1
	v_and_b32_e32 v8, 7, v7
	s_delay_alu instid0(VALU_DEP_1) | instskip(NEXT) | instid1(VALU_DEP_1)
	v_clz_i32_u32_e32 v8, v8
	v_min_u32_e32 v16, 32, v8
	s_delay_alu instid0(VALU_DEP_1) | instskip(SKIP_1) | instid1(VALU_DEP_2)
	v_subrev_nc_u32_e32 v8, 28, v16
	v_sub_nc_u32_e32 v16, 29, v16
	v_lshlrev_b64 v[8:9], v8, v[12:13]
; %bb.4496:                             ;   in Loop: Header=BB450_3110 Depth=1
	s_or_b32 exec_lo, exec_lo, s26
	s_delay_alu instid0(VALU_DEP_1) | instskip(SKIP_2) | instid1(VALU_DEP_3)
	v_lshlrev_b32_e32 v8, 20, v8
	v_lshlrev_b32_e32 v9, 24, v12
	v_lshl_add_u32 v16, v16, 23, 0x3c000000
	v_and_b32_e32 v8, 0x700000, v8
	s_delay_alu instid0(VALU_DEP_3) | instskip(NEXT) | instid1(VALU_DEP_1)
	v_and_b32_e32 v9, 0x80000000, v9
	v_or3_b32 v8, v8, v9, v16
.LBB450_4497:                           ;   in Loop: Header=BB450_3110 Depth=1
	s_or_b32 exec_lo, exec_lo, s25
.LBB450_4498:                           ;   in Loop: Header=BB450_3110 Depth=1
	s_delay_alu instid0(SALU_CYCLE_1)
	s_or_b32 exec_lo, exec_lo, s24
.LBB450_4499:                           ;   in Loop: Header=BB450_3110 Depth=1
	s_delay_alu instid0(SALU_CYCLE_1) | instskip(NEXT) | instid1(VALU_DEP_1)
	s_or_b32 exec_lo, exec_lo, s23
	v_mul_f32_e32 v8, v160, v8
                                        ; implicit-def: $vgpr16
	s_delay_alu instid0(VALU_DEP_1) | instskip(NEXT) | instid1(VALU_DEP_1)
	v_and_b32_e32 v9, 0x7f800000, v8
	v_cmp_ne_u32_e64 s9, 0x7f800000, v9
	s_delay_alu instid0(VALU_DEP_1) | instskip(NEXT) | instid1(SALU_CYCLE_1)
	s_and_saveexec_b32 s23, s9
	s_xor_b32 s9, exec_lo, s23
; %bb.4500:                             ;   in Loop: Header=BB450_3110 Depth=1
	v_bfe_u32 v9, v8, 16, 1
	s_delay_alu instid0(VALU_DEP_1)
	v_add3_u32 v16, v8, v9, 0x7fff
                                        ; implicit-def: $vgpr8
; %bb.4501:                             ;   in Loop: Header=BB450_3110 Depth=1
	s_and_not1_saveexec_b32 s23, s9
; %bb.4502:                             ;   in Loop: Header=BB450_3110 Depth=1
	v_and_b32_e32 v9, 0xffff, v8
	v_or_b32_e32 v16, 0x10000, v8
	s_delay_alu instid0(VALU_DEP_2) | instskip(NEXT) | instid1(VALU_DEP_1)
	v_cmp_eq_u32_e64 s9, 0, v9
	v_cndmask_b32_e64 v16, v16, v8, s9
; %bb.4503:                             ;   in Loop: Header=BB450_3110 Depth=1
	s_or_b32 exec_lo, exec_lo, s23
	v_lshrrev_b16 v9, 8, v12
	v_mov_b32_e32 v8, 0
	s_mov_b32 s23, exec_lo
	s_delay_alu instid0(VALU_DEP_2)
	v_cmpx_ne_u16_e32 0, v9
	s_cbranch_execz .LBB450_4511
; %bb.4504:                             ;   in Loop: Header=BB450_3110 Depth=1
	v_bfrev_b32_e32 v8, 1
	s_mov_b32 s24, exec_lo
	v_cmpx_ne_u16_e32 0x80, v9
	s_cbranch_execz .LBB450_4510
; %bb.4505:                             ;   in Loop: Header=BB450_3110 Depth=1
	v_and_b32_e32 v9, 0xffff, v9
	v_mov_b32_e32 v8, 0x7f800001
	s_mov_b32 s25, exec_lo
	s_delay_alu instid0(VALU_DEP_2) | instskip(NEXT) | instid1(VALU_DEP_1)
	v_and_b32_e32 v19, 0x7f, v9
	v_cmpx_ne_u32_e32 0x7f, v19
	s_cbranch_execz .LBB450_4509
; %bb.4506:                             ;   in Loop: Header=BB450_3110 Depth=1
	v_dual_mov_b32 v9, v13 :: v_dual_and_b32 v8, 7, v9
	v_lshrrev_b32_e32 v18, 3, v19
	s_mov_b32 s26, exec_lo
	v_cmpx_gt_u32_e32 8, v19
; %bb.4507:                             ;   in Loop: Header=BB450_3110 Depth=1
	s_delay_alu instid0(VALU_DEP_3) | instskip(NEXT) | instid1(VALU_DEP_1)
	v_clz_i32_u32_e32 v18, v8
	v_min_u32_e32 v18, 32, v18
	s_delay_alu instid0(VALU_DEP_1) | instskip(SKIP_1) | instid1(VALU_DEP_2)
	v_subrev_nc_u32_e32 v19, 28, v18
	v_sub_nc_u32_e32 v18, 29, v18
	v_lshlrev_b64 v[8:9], v19, v[8:9]
	s_delay_alu instid0(VALU_DEP_1)
	v_and_b32_e32 v8, 7, v8
; %bb.4508:                             ;   in Loop: Header=BB450_3110 Depth=1
	s_or_b32 exec_lo, exec_lo, s26
	v_lshlrev_b32_e32 v9, 16, v12
	s_delay_alu instid0(VALU_DEP_2) | instskip(SKIP_1) | instid1(VALU_DEP_3)
	v_lshlrev_b32_e32 v8, 20, v8
	v_lshl_add_u32 v12, v18, 23, 0x3c000000
	v_and_b32_e32 v9, 0x80000000, v9
	s_delay_alu instid0(VALU_DEP_1)
	v_or3_b32 v8, v8, v9, v12
.LBB450_4509:                           ;   in Loop: Header=BB450_3110 Depth=1
	s_or_b32 exec_lo, exec_lo, s25
.LBB450_4510:                           ;   in Loop: Header=BB450_3110 Depth=1
	s_delay_alu instid0(SALU_CYCLE_1)
	s_or_b32 exec_lo, exec_lo, s24
.LBB450_4511:                           ;   in Loop: Header=BB450_3110 Depth=1
	s_delay_alu instid0(SALU_CYCLE_1) | instskip(NEXT) | instid1(VALU_DEP_1)
	s_or_b32 exec_lo, exec_lo, s23
	v_mul_f32_e32 v8, v160, v8
                                        ; implicit-def: $vgpr18
	s_delay_alu instid0(VALU_DEP_1) | instskip(NEXT) | instid1(VALU_DEP_1)
	v_and_b32_e32 v9, 0x7f800000, v8
	v_cmp_ne_u32_e64 s9, 0x7f800000, v9
	s_delay_alu instid0(VALU_DEP_1) | instskip(NEXT) | instid1(SALU_CYCLE_1)
	s_and_saveexec_b32 s23, s9
	s_xor_b32 s9, exec_lo, s23
; %bb.4512:                             ;   in Loop: Header=BB450_3110 Depth=1
	v_bfe_u32 v9, v8, 16, 1
	s_delay_alu instid0(VALU_DEP_1)
	v_add3_u32 v18, v8, v9, 0x7fff
                                        ; implicit-def: $vgpr8
; %bb.4513:                             ;   in Loop: Header=BB450_3110 Depth=1
	s_and_not1_saveexec_b32 s23, s9
; %bb.4514:                             ;   in Loop: Header=BB450_3110 Depth=1
	v_and_b32_e32 v9, 0xffff, v8
	v_or_b32_e32 v12, 0x10000, v8
	s_delay_alu instid0(VALU_DEP_2) | instskip(NEXT) | instid1(VALU_DEP_1)
	v_cmp_eq_u32_e64 s9, 0, v9
	v_cndmask_b32_e64 v18, v12, v8, s9
; %bb.4515:                             ;   in Loop: Header=BB450_3110 Depth=1
	s_or_b32 exec_lo, exec_lo, s23
	v_lshrrev_b32_e32 v19, 16, v7
	s_mov_b32 s23, exec_lo
	s_delay_alu instid0(VALU_DEP_1) | instskip(NEXT) | instid1(VALU_DEP_1)
	v_dual_mov_b32 v8, 0 :: v_dual_and_b32 v9, 0xff, v19
	v_cmpx_ne_u16_e32 0, v9
	s_cbranch_execz .LBB450_4523
; %bb.4516:                             ;   in Loop: Header=BB450_3110 Depth=1
	v_bfrev_b32_e32 v8, 1
	s_mov_b32 s24, exec_lo
	v_cmpx_ne_u16_e32 0x80, v9
	s_cbranch_execz .LBB450_4522
; %bb.4517:                             ;   in Loop: Header=BB450_3110 Depth=1
	v_bfe_u32 v9, v7, 16, 7
	v_mov_b32_e32 v8, 0x7f800001
	s_mov_b32 s25, exec_lo
	s_delay_alu instid0(VALU_DEP_2)
	v_cmpx_ne_u32_e32 0x7f, v9
	s_cbranch_execz .LBB450_4521
; %bb.4518:                             ;   in Loop: Header=BB450_3110 Depth=1
	v_and_b32_e32 v12, 7, v19
	v_lshrrev_b32_e32 v20, 3, v9
	v_cmp_gt_u32_e64 s9, 8, v9
	s_delay_alu instid0(VALU_DEP_3) | instskip(NEXT) | instid1(VALU_DEP_2)
	v_dual_mov_b32 v8, v12 :: v_dual_mov_b32 v9, v13
	s_and_saveexec_b32 s26, s9
; %bb.4519:                             ;   in Loop: Header=BB450_3110 Depth=1
	v_clz_i32_u32_e32 v8, v12
	s_delay_alu instid0(VALU_DEP_1) | instskip(NEXT) | instid1(VALU_DEP_1)
	v_min_u32_e32 v20, 32, v8
	v_subrev_nc_u32_e32 v8, 28, v20
	v_sub_nc_u32_e32 v20, 29, v20
	s_delay_alu instid0(VALU_DEP_2) | instskip(NEXT) | instid1(VALU_DEP_1)
	v_lshlrev_b64 v[8:9], v8, v[12:13]
	v_and_b32_e32 v8, 7, v8
; %bb.4520:                             ;   in Loop: Header=BB450_3110 Depth=1
	s_or_b32 exec_lo, exec_lo, s26
	v_lshlrev_b32_e32 v9, 24, v19
	s_delay_alu instid0(VALU_DEP_2) | instskip(SKIP_1) | instid1(VALU_DEP_3)
	v_lshlrev_b32_e32 v8, 20, v8
	v_lshl_add_u32 v12, v20, 23, 0x3c000000
	v_and_b32_e32 v9, 0x80000000, v9
	s_delay_alu instid0(VALU_DEP_1)
	v_or3_b32 v8, v8, v9, v12
.LBB450_4521:                           ;   in Loop: Header=BB450_3110 Depth=1
	s_or_b32 exec_lo, exec_lo, s25
.LBB450_4522:                           ;   in Loop: Header=BB450_3110 Depth=1
	s_delay_alu instid0(SALU_CYCLE_1)
	s_or_b32 exec_lo, exec_lo, s24
.LBB450_4523:                           ;   in Loop: Header=BB450_3110 Depth=1
	s_delay_alu instid0(SALU_CYCLE_1) | instskip(NEXT) | instid1(VALU_DEP_1)
	s_or_b32 exec_lo, exec_lo, s23
	v_mul_f32_e32 v8, v160, v8
	s_delay_alu instid0(VALU_DEP_1) | instskip(NEXT) | instid1(VALU_DEP_1)
	v_and_b32_e32 v9, 0x7f800000, v8
	v_cmp_ne_u32_e64 s9, 0x7f800000, v9
                                        ; implicit-def: $vgpr9
	s_delay_alu instid0(VALU_DEP_1) | instskip(NEXT) | instid1(SALU_CYCLE_1)
	s_and_saveexec_b32 s23, s9
	s_xor_b32 s9, exec_lo, s23
; %bb.4524:                             ;   in Loop: Header=BB450_3110 Depth=1
	v_bfe_u32 v9, v8, 16, 1
	s_delay_alu instid0(VALU_DEP_1)
	v_add3_u32 v9, v8, v9, 0x7fff
                                        ; implicit-def: $vgpr8
; %bb.4525:                             ;   in Loop: Header=BB450_3110 Depth=1
	s_and_not1_saveexec_b32 s23, s9
; %bb.4526:                             ;   in Loop: Header=BB450_3110 Depth=1
	v_and_b32_e32 v9, 0xffff, v8
	v_or_b32_e32 v12, 0x10000, v8
	s_delay_alu instid0(VALU_DEP_2) | instskip(NEXT) | instid1(VALU_DEP_1)
	v_cmp_eq_u32_e64 s9, 0, v9
	v_cndmask_b32_e64 v9, v12, v8, s9
; %bb.4527:                             ;   in Loop: Header=BB450_3110 Depth=1
	s_or_b32 exec_lo, exec_lo, s23
	v_cmp_lt_u64_e64 s9, s[18:19], v[6:7]
	v_mov_b32_e32 v6, 0
	s_delay_alu instid0(VALU_DEP_2)
	s_and_saveexec_b32 s23, s9
	s_cbranch_execz .LBB450_4535
; %bb.4528:                             ;   in Loop: Header=BB450_3110 Depth=1
	v_lshrrev_b32_e32 v8, 24, v7
	v_bfrev_b32_e32 v6, 1
	s_mov_b32 s24, exec_lo
	s_delay_alu instid0(VALU_DEP_2)
	v_cmpx_ne_u32_e32 0x80, v8
	s_cbranch_execz .LBB450_4534
; %bb.4529:                             ;   in Loop: Header=BB450_3110 Depth=1
	v_bfe_u32 v7, v7, 24, 7
	v_mov_b32_e32 v6, 0x7f800001
	s_mov_b32 s25, exec_lo
	s_delay_alu instid0(VALU_DEP_2)
	v_cmpx_ne_u32_e32 0x7f, v7
	s_cbranch_execz .LBB450_4533
; %bb.4530:                             ;   in Loop: Header=BB450_3110 Depth=1
	v_and_b32_e32 v12, 7, v8
	v_lshrrev_b32_e32 v19, 3, v7
	v_cmp_gt_u32_e64 s9, 8, v7
	s_delay_alu instid0(VALU_DEP_3) | instskip(NEXT) | instid1(VALU_DEP_2)
	v_dual_mov_b32 v6, v12 :: v_dual_mov_b32 v7, v13
	s_and_saveexec_b32 s26, s9
; %bb.4531:                             ;   in Loop: Header=BB450_3110 Depth=1
	v_clz_i32_u32_e32 v6, v12
	s_delay_alu instid0(VALU_DEP_1) | instskip(NEXT) | instid1(VALU_DEP_1)
	v_min_u32_e32 v19, 32, v6
	v_subrev_nc_u32_e32 v6, 28, v19
	v_sub_nc_u32_e32 v19, 29, v19
	s_delay_alu instid0(VALU_DEP_2) | instskip(NEXT) | instid1(VALU_DEP_1)
	v_lshlrev_b64 v[6:7], v6, v[12:13]
	v_and_b32_e32 v6, 7, v6
; %bb.4532:                             ;   in Loop: Header=BB450_3110 Depth=1
	s_or_b32 exec_lo, exec_lo, s26
	v_lshlrev_b32_e32 v7, 24, v8
	s_delay_alu instid0(VALU_DEP_2) | instskip(SKIP_1) | instid1(VALU_DEP_3)
	v_lshlrev_b32_e32 v6, 20, v6
	v_lshl_add_u32 v8, v19, 23, 0x3c000000
	v_and_b32_e32 v7, 0x80000000, v7
	s_delay_alu instid0(VALU_DEP_1)
	v_or3_b32 v6, v6, v7, v8
.LBB450_4533:                           ;   in Loop: Header=BB450_3110 Depth=1
	s_or_b32 exec_lo, exec_lo, s25
.LBB450_4534:                           ;   in Loop: Header=BB450_3110 Depth=1
	s_delay_alu instid0(SALU_CYCLE_1)
	s_or_b32 exec_lo, exec_lo, s24
.LBB450_4535:                           ;   in Loop: Header=BB450_3110 Depth=1
	s_delay_alu instid0(SALU_CYCLE_1) | instskip(NEXT) | instid1(VALU_DEP_1)
	s_or_b32 exec_lo, exec_lo, s23
	v_mul_f32_e32 v6, v160, v6
                                        ; implicit-def: $vgpr19
	s_delay_alu instid0(VALU_DEP_1) | instskip(NEXT) | instid1(VALU_DEP_1)
	v_and_b32_e32 v7, 0x7f800000, v6
	v_cmp_ne_u32_e64 s9, 0x7f800000, v7
	s_delay_alu instid0(VALU_DEP_1) | instskip(NEXT) | instid1(SALU_CYCLE_1)
	s_and_saveexec_b32 s23, s9
	s_xor_b32 s9, exec_lo, s23
; %bb.4536:                             ;   in Loop: Header=BB450_3110 Depth=1
	v_bfe_u32 v7, v6, 16, 1
	s_delay_alu instid0(VALU_DEP_1)
	v_add3_u32 v19, v6, v7, 0x7fff
                                        ; implicit-def: $vgpr6
; %bb.4537:                             ;   in Loop: Header=BB450_3110 Depth=1
	s_and_not1_saveexec_b32 s23, s9
; %bb.4538:                             ;   in Loop: Header=BB450_3110 Depth=1
	v_and_b32_e32 v7, 0xffff, v6
	v_or_b32_e32 v8, 0x10000, v6
	s_delay_alu instid0(VALU_DEP_2) | instskip(NEXT) | instid1(VALU_DEP_1)
	v_cmp_eq_u32_e64 s9, 0, v7
	v_cndmask_b32_e64 v19, v8, v6, s9
; %bb.4539:                             ;   in Loop: Header=BB450_3110 Depth=1
	s_or_b32 exec_lo, exec_lo, s23
	v_lshrrev_b32_e32 v6, 16, v18
	v_lshrrev_b32_e32 v7, 16, v16
	;; [unrolled: 1-line block ×8, first 2 shown]
	s_and_saveexec_b32 s9, s1
; %bb.4540:                             ;   in Loop: Header=BB450_3110 Depth=1
	s_delay_alu instid0(VALU_DEP_3)
	v_cndmask_b32_e32 v12, 0, v12, vcc_lo
	v_cndmask_b32_e64 v11, 0, v11, s2
	v_cndmask_b32_e64 v10, 0, v10, s3
	;; [unrolled: 1-line block ×7, first 2 shown]
; %bb.4541:                             ;   in Loop: Header=BB450_3110 Depth=1
	s_or_b32 exec_lo, exec_lo, s9
	v_lshlrev_b32_e32 v9, 16, v12
	s_delay_alu instid0(VALU_DEP_1) | instskip(NEXT) | instid1(VALU_DEP_1)
	v_mul_f32_e32 v9, v161, v9
	v_and_b32_e32 v12, 0x7f800000, v9
	s_delay_alu instid0(VALU_DEP_1) | instskip(NEXT) | instid1(VALU_DEP_1)
	v_cmp_ne_u32_e64 s9, 0x7f800000, v12
                                        ; implicit-def: $vgpr12
                                        ; kill: killed $vgpr12
	s_and_saveexec_b32 s23, s9
	s_delay_alu instid0(SALU_CYCLE_1)
	s_xor_b32 s9, exec_lo, s23
	s_cbranch_execz .LBB450_4543
; %bb.4542:                             ;   in Loop: Header=BB450_3110 Depth=1
	v_bfe_u32 v12, v9, 16, 1
	s_delay_alu instid0(VALU_DEP_1)
	v_add3_u32 v9, v9, v12, 0x7fff
	scratch_store_b32 off, v9, s32 offset:808 ; 4-byte Folded Spill
                                        ; implicit-def: $vgpr9
.LBB450_4543:                           ;   in Loop: Header=BB450_3110 Depth=1
	s_and_not1_saveexec_b32 s23, s9
	s_cbranch_execz .LBB450_4545
; %bb.4544:                             ;   in Loop: Header=BB450_3110 Depth=1
	v_and_b32_e32 v12, 0xffff, v9
	v_or_b32_e32 v16, 0x10000, v9
	s_delay_alu instid0(VALU_DEP_2) | instskip(NEXT) | instid1(VALU_DEP_1)
	v_cmp_eq_u32_e64 s9, 0, v12
	v_cndmask_b32_e64 v9, v16, v9, s9
	scratch_store_b32 off, v9, s32 offset:808 ; 4-byte Folded Spill
.LBB450_4545:                           ;   in Loop: Header=BB450_3110 Depth=1
	s_or_b32 exec_lo, exec_lo, s23
	v_lshlrev_b32_e32 v9, 16, v11
	s_delay_alu instid0(VALU_DEP_1) | instskip(NEXT) | instid1(VALU_DEP_1)
	v_mul_f32_e32 v9, v162, v9
	v_and_b32_e32 v11, 0x7f800000, v9
	s_delay_alu instid0(VALU_DEP_1) | instskip(NEXT) | instid1(VALU_DEP_1)
	v_cmp_ne_u32_e64 s9, 0x7f800000, v11
                                        ; implicit-def: $vgpr11
                                        ; kill: killed $vgpr11
	s_and_saveexec_b32 s23, s9
	s_delay_alu instid0(SALU_CYCLE_1)
	s_xor_b32 s9, exec_lo, s23
	s_cbranch_execz .LBB450_4547
; %bb.4546:                             ;   in Loop: Header=BB450_3110 Depth=1
	v_bfe_u32 v11, v9, 16, 1
	s_delay_alu instid0(VALU_DEP_1)
	v_add3_u32 v9, v9, v11, 0x7fff
	scratch_store_b32 off, v9, s32 offset:812 ; 4-byte Folded Spill
                                        ; implicit-def: $vgpr9
.LBB450_4547:                           ;   in Loop: Header=BB450_3110 Depth=1
	s_and_not1_saveexec_b32 s23, s9
	s_cbranch_execz .LBB450_4549
; %bb.4548:                             ;   in Loop: Header=BB450_3110 Depth=1
	v_and_b32_e32 v11, 0xffff, v9
	v_or_b32_e32 v12, 0x10000, v9
	s_delay_alu instid0(VALU_DEP_2) | instskip(NEXT) | instid1(VALU_DEP_1)
	v_cmp_eq_u32_e64 s9, 0, v11
	v_cndmask_b32_e64 v9, v12, v9, s9
	scratch_store_b32 off, v9, s32 offset:812 ; 4-byte Folded Spill
.LBB450_4549:                           ;   in Loop: Header=BB450_3110 Depth=1
	s_or_b32 exec_lo, exec_lo, s23
	v_lshlrev_b32_e32 v9, 16, v10
	s_delay_alu instid0(VALU_DEP_1) | instskip(NEXT) | instid1(VALU_DEP_1)
	v_mul_f32_e32 v9, v163, v9
	v_and_b32_e32 v10, 0x7f800000, v9
	s_delay_alu instid0(VALU_DEP_1) | instskip(NEXT) | instid1(VALU_DEP_1)
	v_cmp_ne_u32_e64 s9, 0x7f800000, v10
                                        ; implicit-def: $vgpr10
                                        ; kill: killed $vgpr10
	s_and_saveexec_b32 s23, s9
	s_delay_alu instid0(SALU_CYCLE_1)
	s_xor_b32 s9, exec_lo, s23
	s_cbranch_execz .LBB450_4551
; %bb.4550:                             ;   in Loop: Header=BB450_3110 Depth=1
	v_bfe_u32 v10, v9, 16, 1
	s_delay_alu instid0(VALU_DEP_1)
	v_add3_u32 v9, v9, v10, 0x7fff
	scratch_store_b32 off, v9, s32 offset:816 ; 4-byte Folded Spill
                                        ; implicit-def: $vgpr9
.LBB450_4551:                           ;   in Loop: Header=BB450_3110 Depth=1
	s_and_not1_saveexec_b32 s23, s9
	s_cbranch_execz .LBB450_4553
; %bb.4552:                             ;   in Loop: Header=BB450_3110 Depth=1
	v_and_b32_e32 v10, 0xffff, v9
	v_or_b32_e32 v11, 0x10000, v9
	s_delay_alu instid0(VALU_DEP_2) | instskip(NEXT) | instid1(VALU_DEP_1)
	v_cmp_eq_u32_e64 s9, 0, v10
	v_cndmask_b32_e64 v9, v11, v9, s9
	scratch_store_b32 off, v9, s32 offset:816 ; 4-byte Folded Spill
.LBB450_4553:                           ;   in Loop: Header=BB450_3110 Depth=1
	s_or_b32 exec_lo, exec_lo, s23
	v_lshlrev_b32_e32 v8, 16, v8
	s_delay_alu instid0(VALU_DEP_1) | instskip(NEXT) | instid1(VALU_DEP_1)
	v_mul_f32_e32 v8, v164, v8
	v_and_b32_e32 v9, 0x7f800000, v8
	s_delay_alu instid0(VALU_DEP_1) | instskip(NEXT) | instid1(VALU_DEP_1)
	v_cmp_ne_u32_e64 s9, 0x7f800000, v9
                                        ; implicit-def: $vgpr9
                                        ; kill: killed $vgpr9
	s_and_saveexec_b32 s23, s9
	s_delay_alu instid0(SALU_CYCLE_1)
	s_xor_b32 s9, exec_lo, s23
	s_cbranch_execz .LBB450_4555
; %bb.4554:                             ;   in Loop: Header=BB450_3110 Depth=1
	v_bfe_u32 v9, v8, 16, 1
	s_delay_alu instid0(VALU_DEP_1)
	v_add3_u32 v8, v8, v9, 0x7fff
	scratch_store_b32 off, v8, s32 offset:820 ; 4-byte Folded Spill
                                        ; implicit-def: $vgpr8
.LBB450_4555:                           ;   in Loop: Header=BB450_3110 Depth=1
	s_and_not1_saveexec_b32 s23, s9
	s_cbranch_execz .LBB450_4557
; %bb.4556:                             ;   in Loop: Header=BB450_3110 Depth=1
	v_and_b32_e32 v9, 0xffff, v8
	v_or_b32_e32 v10, 0x10000, v8
	s_delay_alu instid0(VALU_DEP_2) | instskip(NEXT) | instid1(VALU_DEP_1)
	v_cmp_eq_u32_e64 s9, 0, v9
	v_cndmask_b32_e64 v8, v10, v8, s9
	scratch_store_b32 off, v8, s32 offset:820 ; 4-byte Folded Spill
.LBB450_4557:                           ;   in Loop: Header=BB450_3110 Depth=1
	s_or_b32 exec_lo, exec_lo, s23
	v_lshlrev_b32_e32 v7, 16, v7
	s_delay_alu instid0(VALU_DEP_1) | instskip(NEXT) | instid1(VALU_DEP_1)
	v_mul_f32_e32 v7, v165, v7
	v_and_b32_e32 v8, 0x7f800000, v7
	s_delay_alu instid0(VALU_DEP_1) | instskip(NEXT) | instid1(VALU_DEP_1)
	v_cmp_ne_u32_e64 s9, 0x7f800000, v8
                                        ; implicit-def: $vgpr8
                                        ; kill: killed $vgpr8
	s_and_saveexec_b32 s23, s9
	s_delay_alu instid0(SALU_CYCLE_1)
	s_xor_b32 s9, exec_lo, s23
	s_cbranch_execz .LBB450_4559
; %bb.4558:                             ;   in Loop: Header=BB450_3110 Depth=1
	v_bfe_u32 v8, v7, 16, 1
	s_delay_alu instid0(VALU_DEP_1)
	v_add3_u32 v7, v7, v8, 0x7fff
	scratch_store_b32 off, v7, s32 offset:824 ; 4-byte Folded Spill
                                        ; implicit-def: $vgpr7
.LBB450_4559:                           ;   in Loop: Header=BB450_3110 Depth=1
	s_and_not1_saveexec_b32 s23, s9
	s_cbranch_execz .LBB450_4561
; %bb.4560:                             ;   in Loop: Header=BB450_3110 Depth=1
	v_and_b32_e32 v8, 0xffff, v7
	v_or_b32_e32 v9, 0x10000, v7
	s_delay_alu instid0(VALU_DEP_2) | instskip(NEXT) | instid1(VALU_DEP_1)
	v_cmp_eq_u32_e64 s9, 0, v8
	v_cndmask_b32_e64 v7, v9, v7, s9
	scratch_store_b32 off, v7, s32 offset:824 ; 4-byte Folded Spill
.LBB450_4561:                           ;   in Loop: Header=BB450_3110 Depth=1
	s_or_b32 exec_lo, exec_lo, s23
	v_lshlrev_b32_e32 v6, 16, v6
	s_delay_alu instid0(VALU_DEP_1) | instskip(NEXT) | instid1(VALU_DEP_1)
	v_mul_f32_e32 v6, v166, v6
	v_and_b32_e32 v7, 0x7f800000, v6
	s_delay_alu instid0(VALU_DEP_1) | instskip(NEXT) | instid1(VALU_DEP_1)
	v_cmp_ne_u32_e64 s9, 0x7f800000, v7
                                        ; implicit-def: $vgpr7
                                        ; kill: killed $vgpr7
	s_and_saveexec_b32 s23, s9
	s_delay_alu instid0(SALU_CYCLE_1)
	s_xor_b32 s9, exec_lo, s23
	s_cbranch_execz .LBB450_4563
; %bb.4562:                             ;   in Loop: Header=BB450_3110 Depth=1
	v_bfe_u32 v7, v6, 16, 1
	s_delay_alu instid0(VALU_DEP_1)
	v_add3_u32 v6, v6, v7, 0x7fff
	scratch_store_b32 off, v6, s32 offset:832 ; 4-byte Folded Spill
                                        ; implicit-def: $vgpr6
.LBB450_4563:                           ;   in Loop: Header=BB450_3110 Depth=1
	s_and_not1_saveexec_b32 s23, s9
	s_cbranch_execz .LBB450_4565
; %bb.4564:                             ;   in Loop: Header=BB450_3110 Depth=1
	v_and_b32_e32 v7, 0xffff, v6
	v_or_b32_e32 v8, 0x10000, v6
	s_delay_alu instid0(VALU_DEP_2) | instskip(NEXT) | instid1(VALU_DEP_1)
	v_cmp_eq_u32_e64 s9, 0, v7
	v_cndmask_b32_e64 v6, v8, v6, s9
	scratch_store_b32 off, v6, s32 offset:832 ; 4-byte Folded Spill
.LBB450_4565:                           ;   in Loop: Header=BB450_3110 Depth=1
	s_or_b32 exec_lo, exec_lo, s23
	v_lshlrev_b32_e32 v5, 16, v5
	s_delay_alu instid0(VALU_DEP_1) | instskip(NEXT) | instid1(VALU_DEP_1)
	v_mul_f32_e32 v5, v167, v5
	v_and_b32_e32 v6, 0x7f800000, v5
	s_delay_alu instid0(VALU_DEP_1) | instskip(NEXT) | instid1(VALU_DEP_1)
	v_cmp_ne_u32_e64 s9, 0x7f800000, v6
                                        ; implicit-def: $vgpr6
                                        ; kill: killed $vgpr6
	s_and_saveexec_b32 s23, s9
	s_delay_alu instid0(SALU_CYCLE_1)
	s_xor_b32 s9, exec_lo, s23
	s_cbranch_execz .LBB450_4567
; %bb.4566:                             ;   in Loop: Header=BB450_3110 Depth=1
	v_bfe_u32 v6, v5, 16, 1
	s_delay_alu instid0(VALU_DEP_1)
	v_add3_u32 v5, v5, v6, 0x7fff
	scratch_store_b32 off, v5, s32 offset:828 ; 4-byte Folded Spill
                                        ; implicit-def: $vgpr5
.LBB450_4567:                           ;   in Loop: Header=BB450_3110 Depth=1
	s_and_not1_saveexec_b32 s23, s9
	s_cbranch_execz .LBB450_4569
; %bb.4568:                             ;   in Loop: Header=BB450_3110 Depth=1
	v_and_b32_e32 v6, 0xffff, v5
	v_or_b32_e32 v7, 0x10000, v5
	s_delay_alu instid0(VALU_DEP_2) | instskip(NEXT) | instid1(VALU_DEP_1)
	v_cmp_eq_u32_e64 s9, 0, v6
	v_cndmask_b32_e64 v5, v7, v5, s9
	scratch_store_b32 off, v5, s32 offset:828 ; 4-byte Folded Spill
.LBB450_4569:                           ;   in Loop: Header=BB450_3110 Depth=1
	s_or_b32 exec_lo, exec_lo, s23
	v_lshlrev_b32_e32 v4, 16, v4
	s_delay_alu instid0(VALU_DEP_1) | instskip(NEXT) | instid1(VALU_DEP_1)
	v_mul_f32_e32 v4, v176, v4
	v_and_b32_e32 v5, 0x7f800000, v4
	s_delay_alu instid0(VALU_DEP_1) | instskip(NEXT) | instid1(VALU_DEP_1)
	v_cmp_ne_u32_e64 s9, 0x7f800000, v5
                                        ; implicit-def: $vgpr5
                                        ; kill: killed $vgpr5
	s_and_saveexec_b32 s23, s9
	s_delay_alu instid0(SALU_CYCLE_1)
	s_xor_b32 s9, exec_lo, s23
	s_cbranch_execz .LBB450_4571
; %bb.4570:                             ;   in Loop: Header=BB450_3110 Depth=1
	v_bfe_u32 v5, v4, 16, 1
	s_delay_alu instid0(VALU_DEP_1)
	v_add3_u32 v4, v4, v5, 0x7fff
	scratch_store_b32 off, v4, s32 offset:836 ; 4-byte Folded Spill
                                        ; implicit-def: $vgpr4
.LBB450_4571:                           ;   in Loop: Header=BB450_3110 Depth=1
	s_and_not1_saveexec_b32 s23, s9
	s_cbranch_execz .LBB450_4573
; %bb.4572:                             ;   in Loop: Header=BB450_3110 Depth=1
	v_and_b32_e32 v5, 0xffff, v4
	v_or_b32_e32 v6, 0x10000, v4
	s_delay_alu instid0(VALU_DEP_2) | instskip(NEXT) | instid1(VALU_DEP_1)
	v_cmp_eq_u32_e64 s9, 0, v5
	v_cndmask_b32_e64 v4, v6, v4, s9
	scratch_store_b32 off, v4, s32 offset:836 ; 4-byte Folded Spill
.LBB450_4573:                           ;   in Loop: Header=BB450_3110 Depth=1
	s_or_b32 exec_lo, exec_lo, s23
	flat_load_b64 v[6:7], v[2:3] offset:2816
	s_mov_b32 s23, exec_lo
	s_waitcnt vmcnt(0) lgkmcnt(0)
	v_dual_mov_b32 v4, 0 :: v_dual_and_b32 v5, 0xff, v6
	s_delay_alu instid0(VALU_DEP_1)
	v_cmpx_ne_u16_e32 0, v5
	s_cbranch_execz .LBB450_4581
; %bb.4574:                             ;   in Loop: Header=BB450_3110 Depth=1
	v_bfrev_b32_e32 v4, 1
	s_mov_b32 s24, exec_lo
	v_cmpx_ne_u16_e32 0x80, v5
	s_cbranch_execz .LBB450_4580
; %bb.4575:                             ;   in Loop: Header=BB450_3110 Depth=1
	v_and_b32_e32 v5, 0x7f, v6
	v_mov_b32_e32 v4, 0x7f800001
	s_mov_b32 s25, exec_lo
	s_delay_alu instid0(VALU_DEP_2)
	v_cmpx_ne_u32_e32 0x7f, v5
	s_cbranch_execz .LBB450_4579
; %bb.4576:                             ;   in Loop: Header=BB450_3110 Depth=1
	v_lshrrev_b32_e32 v4, 3, v5
	v_dual_mov_b32 v9, v7 :: v_dual_mov_b32 v8, v6
	s_mov_b32 s26, exec_lo
	v_cmpx_gt_u32_e32 8, v5
; %bb.4577:                             ;   in Loop: Header=BB450_3110 Depth=1
	v_and_b32_e32 v4, 7, v6
	s_delay_alu instid0(VALU_DEP_1) | instskip(NEXT) | instid1(VALU_DEP_1)
	v_clz_i32_u32_e32 v4, v4
	v_min_u32_e32 v4, 32, v4
	s_delay_alu instid0(VALU_DEP_1) | instskip(SKIP_1) | instid1(VALU_DEP_2)
	v_subrev_nc_u32_e32 v5, 28, v4
	v_sub_nc_u32_e32 v4, 29, v4
	v_lshlrev_b64 v[8:9], v5, v[6:7]
; %bb.4578:                             ;   in Loop: Header=BB450_3110 Depth=1
	s_or_b32 exec_lo, exec_lo, s26
	s_delay_alu instid0(VALU_DEP_1) | instskip(SKIP_2) | instid1(VALU_DEP_3)
	v_lshlrev_b32_e32 v5, 20, v8
	v_lshlrev_b32_e32 v8, 24, v6
	v_lshl_add_u32 v4, v4, 23, 0x3c000000
	v_and_b32_e32 v5, 0x700000, v5
	s_delay_alu instid0(VALU_DEP_3) | instskip(NEXT) | instid1(VALU_DEP_1)
	v_and_b32_e32 v8, 0x80000000, v8
	v_or3_b32 v4, v5, v8, v4
.LBB450_4579:                           ;   in Loop: Header=BB450_3110 Depth=1
	s_or_b32 exec_lo, exec_lo, s25
.LBB450_4580:                           ;   in Loop: Header=BB450_3110 Depth=1
	s_delay_alu instid0(SALU_CYCLE_1)
	s_or_b32 exec_lo, exec_lo, s24
.LBB450_4581:                           ;   in Loop: Header=BB450_3110 Depth=1
	s_delay_alu instid0(SALU_CYCLE_1) | instskip(NEXT) | instid1(VALU_DEP_1)
	s_or_b32 exec_lo, exec_lo, s23
	v_mul_f32_e32 v5, v160, v4
	s_delay_alu instid0(VALU_DEP_1) | instskip(NEXT) | instid1(VALU_DEP_1)
	v_and_b32_e32 v4, 0x7f800000, v5
	v_cmp_ne_u32_e64 s9, 0x7f800000, v4
                                        ; implicit-def: $vgpr4
	s_delay_alu instid0(VALU_DEP_1) | instskip(NEXT) | instid1(SALU_CYCLE_1)
	s_and_saveexec_b32 s23, s9
	s_xor_b32 s9, exec_lo, s23
; %bb.4582:                             ;   in Loop: Header=BB450_3110 Depth=1
	v_bfe_u32 v4, v5, 16, 1
	s_delay_alu instid0(VALU_DEP_1)
	v_add3_u32 v4, v5, v4, 0x7fff
                                        ; implicit-def: $vgpr5
; %bb.4583:                             ;   in Loop: Header=BB450_3110 Depth=1
	s_and_not1_saveexec_b32 s23, s9
; %bb.4584:                             ;   in Loop: Header=BB450_3110 Depth=1
	v_and_b32_e32 v4, 0xffff, v5
	v_or_b32_e32 v8, 0x10000, v5
	s_delay_alu instid0(VALU_DEP_2) | instskip(NEXT) | instid1(VALU_DEP_1)
	v_cmp_eq_u32_e64 s9, 0, v4
	v_cndmask_b32_e64 v4, v8, v5, s9
; %bb.4585:                             ;   in Loop: Header=BB450_3110 Depth=1
	s_or_b32 exec_lo, exec_lo, s23
	v_lshrrev_b16 v8, 8, v6
	v_mov_b32_e32 v5, 0
	s_mov_b32 s23, exec_lo
	s_delay_alu instid0(VALU_DEP_2)
	v_cmpx_ne_u16_e32 0, v8
	s_cbranch_execz .LBB450_4593
; %bb.4586:                             ;   in Loop: Header=BB450_3110 Depth=1
	v_bfrev_b32_e32 v5, 1
	s_mov_b32 s24, exec_lo
	v_cmpx_ne_u16_e32 0x80, v8
	s_cbranch_execz .LBB450_4592
; %bb.4587:                             ;   in Loop: Header=BB450_3110 Depth=1
	v_and_b32_e32 v9, 0xffff, v8
	v_mov_b32_e32 v5, 0x7f800001
	s_mov_b32 s25, exec_lo
	s_delay_alu instid0(VALU_DEP_2) | instskip(NEXT) | instid1(VALU_DEP_1)
	v_and_b32_e32 v8, 0x7f, v9
	v_cmpx_ne_u32_e32 0x7f, v8
	s_cbranch_execz .LBB450_4591
; %bb.4588:                             ;   in Loop: Header=BB450_3110 Depth=1
	v_and_b32_e32 v12, 7, v9
	v_lshrrev_b32_e32 v5, 3, v8
	v_cmp_gt_u32_e64 s9, 8, v8
	s_delay_alu instid0(VALU_DEP_3) | instskip(NEXT) | instid1(VALU_DEP_2)
	v_dual_mov_b32 v8, v12 :: v_dual_mov_b32 v9, v13
	s_and_saveexec_b32 s26, s9
; %bb.4589:                             ;   in Loop: Header=BB450_3110 Depth=1
	v_clz_i32_u32_e32 v5, v12
	s_delay_alu instid0(VALU_DEP_1) | instskip(NEXT) | instid1(VALU_DEP_1)
	v_min_u32_e32 v5, 32, v5
	v_subrev_nc_u32_e32 v8, 28, v5
	v_sub_nc_u32_e32 v5, 29, v5
	s_delay_alu instid0(VALU_DEP_2) | instskip(NEXT) | instid1(VALU_DEP_1)
	v_lshlrev_b64 v[8:9], v8, v[12:13]
	v_and_b32_e32 v8, 7, v8
; %bb.4590:                             ;   in Loop: Header=BB450_3110 Depth=1
	s_or_b32 exec_lo, exec_lo, s26
	v_lshlrev_b32_e32 v9, 16, v6
	s_delay_alu instid0(VALU_DEP_2) | instskip(SKIP_1) | instid1(VALU_DEP_3)
	v_lshlrev_b32_e32 v8, 20, v8
	v_lshl_add_u32 v5, v5, 23, 0x3c000000
	v_and_b32_e32 v9, 0x80000000, v9
	s_delay_alu instid0(VALU_DEP_1)
	v_or3_b32 v5, v8, v9, v5
.LBB450_4591:                           ;   in Loop: Header=BB450_3110 Depth=1
	s_or_b32 exec_lo, exec_lo, s25
.LBB450_4592:                           ;   in Loop: Header=BB450_3110 Depth=1
	s_delay_alu instid0(SALU_CYCLE_1)
	s_or_b32 exec_lo, exec_lo, s24
.LBB450_4593:                           ;   in Loop: Header=BB450_3110 Depth=1
	s_delay_alu instid0(SALU_CYCLE_1) | instskip(NEXT) | instid1(VALU_DEP_1)
	s_or_b32 exec_lo, exec_lo, s23
	v_mul_f32_e32 v8, v160, v5
	s_delay_alu instid0(VALU_DEP_1) | instskip(NEXT) | instid1(VALU_DEP_1)
	v_and_b32_e32 v5, 0x7f800000, v8
	v_cmp_ne_u32_e64 s9, 0x7f800000, v5
                                        ; implicit-def: $vgpr5
	s_delay_alu instid0(VALU_DEP_1) | instskip(NEXT) | instid1(SALU_CYCLE_1)
	s_and_saveexec_b32 s23, s9
	s_xor_b32 s9, exec_lo, s23
; %bb.4594:                             ;   in Loop: Header=BB450_3110 Depth=1
	v_bfe_u32 v5, v8, 16, 1
	s_delay_alu instid0(VALU_DEP_1)
	v_add3_u32 v5, v8, v5, 0x7fff
                                        ; implicit-def: $vgpr8
; %bb.4595:                             ;   in Loop: Header=BB450_3110 Depth=1
	s_and_not1_saveexec_b32 s23, s9
; %bb.4596:                             ;   in Loop: Header=BB450_3110 Depth=1
	v_and_b32_e32 v5, 0xffff, v8
	v_or_b32_e32 v9, 0x10000, v8
	s_delay_alu instid0(VALU_DEP_2) | instskip(NEXT) | instid1(VALU_DEP_1)
	v_cmp_eq_u32_e64 s9, 0, v5
	v_cndmask_b32_e64 v5, v9, v8, s9
; %bb.4597:                             ;   in Loop: Header=BB450_3110 Depth=1
	s_or_b32 exec_lo, exec_lo, s23
	v_lshrrev_b32_e32 v10, 16, v6
	s_mov_b32 s23, exec_lo
	s_delay_alu instid0(VALU_DEP_1) | instskip(NEXT) | instid1(VALU_DEP_1)
	v_dual_mov_b32 v8, 0 :: v_dual_and_b32 v9, 0xff, v10
	v_cmpx_ne_u16_e32 0, v9
	s_cbranch_execz .LBB450_4605
; %bb.4598:                             ;   in Loop: Header=BB450_3110 Depth=1
	v_bfrev_b32_e32 v8, 1
	s_mov_b32 s24, exec_lo
	v_cmpx_ne_u16_e32 0x80, v9
	s_cbranch_execz .LBB450_4604
; %bb.4599:                             ;   in Loop: Header=BB450_3110 Depth=1
	v_bfe_u32 v9, v6, 16, 7
	v_mov_b32_e32 v8, 0x7f800001
	s_mov_b32 s25, exec_lo
	s_delay_alu instid0(VALU_DEP_2)
	v_cmpx_ne_u32_e32 0x7f, v9
	s_cbranch_execz .LBB450_4603
; %bb.4600:                             ;   in Loop: Header=BB450_3110 Depth=1
	v_and_b32_e32 v12, 7, v10
	v_lshrrev_b32_e32 v11, 3, v9
	v_cmp_gt_u32_e64 s9, 8, v9
	s_delay_alu instid0(VALU_DEP_3) | instskip(NEXT) | instid1(VALU_DEP_2)
	v_dual_mov_b32 v8, v12 :: v_dual_mov_b32 v9, v13
	s_and_saveexec_b32 s26, s9
; %bb.4601:                             ;   in Loop: Header=BB450_3110 Depth=1
	v_clz_i32_u32_e32 v8, v12
	s_delay_alu instid0(VALU_DEP_1) | instskip(NEXT) | instid1(VALU_DEP_1)
	v_min_u32_e32 v11, 32, v8
	v_subrev_nc_u32_e32 v8, 28, v11
	v_sub_nc_u32_e32 v11, 29, v11
	s_delay_alu instid0(VALU_DEP_2) | instskip(NEXT) | instid1(VALU_DEP_1)
	v_lshlrev_b64 v[8:9], v8, v[12:13]
	v_and_b32_e32 v8, 7, v8
; %bb.4602:                             ;   in Loop: Header=BB450_3110 Depth=1
	s_or_b32 exec_lo, exec_lo, s26
	v_lshlrev_b32_e32 v9, 24, v10
	s_delay_alu instid0(VALU_DEP_2) | instskip(SKIP_1) | instid1(VALU_DEP_3)
	v_lshlrev_b32_e32 v8, 20, v8
	v_lshl_add_u32 v10, v11, 23, 0x3c000000
	v_and_b32_e32 v9, 0x80000000, v9
	s_delay_alu instid0(VALU_DEP_1)
	v_or3_b32 v8, v8, v9, v10
.LBB450_4603:                           ;   in Loop: Header=BB450_3110 Depth=1
	s_or_b32 exec_lo, exec_lo, s25
.LBB450_4604:                           ;   in Loop: Header=BB450_3110 Depth=1
	s_delay_alu instid0(SALU_CYCLE_1)
	s_or_b32 exec_lo, exec_lo, s24
.LBB450_4605:                           ;   in Loop: Header=BB450_3110 Depth=1
	s_delay_alu instid0(SALU_CYCLE_1) | instskip(NEXT) | instid1(VALU_DEP_1)
	s_or_b32 exec_lo, exec_lo, s23
	v_mul_f32_e32 v8, v160, v8
                                        ; implicit-def: $vgpr10
	s_delay_alu instid0(VALU_DEP_1) | instskip(NEXT) | instid1(VALU_DEP_1)
	v_and_b32_e32 v9, 0x7f800000, v8
	v_cmp_ne_u32_e64 s9, 0x7f800000, v9
	s_delay_alu instid0(VALU_DEP_1) | instskip(NEXT) | instid1(SALU_CYCLE_1)
	s_and_saveexec_b32 s23, s9
	s_xor_b32 s9, exec_lo, s23
; %bb.4606:                             ;   in Loop: Header=BB450_3110 Depth=1
	v_bfe_u32 v9, v8, 16, 1
	s_delay_alu instid0(VALU_DEP_1)
	v_add3_u32 v10, v8, v9, 0x7fff
                                        ; implicit-def: $vgpr8
; %bb.4607:                             ;   in Loop: Header=BB450_3110 Depth=1
	s_and_not1_saveexec_b32 s23, s9
; %bb.4608:                             ;   in Loop: Header=BB450_3110 Depth=1
	v_and_b32_e32 v9, 0xffff, v8
	v_or_b32_e32 v10, 0x10000, v8
	s_delay_alu instid0(VALU_DEP_2) | instskip(NEXT) | instid1(VALU_DEP_1)
	v_cmp_eq_u32_e64 s9, 0, v9
	v_cndmask_b32_e64 v10, v10, v8, s9
; %bb.4609:                             ;   in Loop: Header=BB450_3110 Depth=1
	s_or_b32 exec_lo, exec_lo, s23
	v_mov_b32_e32 v8, 0
	s_mov_b32 s23, exec_lo
	v_cmpx_lt_u32_e32 0xffffff, v6
	s_cbranch_execz .LBB450_4617
; %bb.4610:                             ;   in Loop: Header=BB450_3110 Depth=1
	v_lshrrev_b32_e32 v11, 24, v6
	v_bfrev_b32_e32 v8, 1
	s_mov_b32 s24, exec_lo
	s_delay_alu instid0(VALU_DEP_2)
	v_cmpx_ne_u32_e32 0x80, v11
	s_cbranch_execz .LBB450_4616
; %bb.4611:                             ;   in Loop: Header=BB450_3110 Depth=1
	v_bfe_u32 v9, v6, 24, 7
	v_mov_b32_e32 v8, 0x7f800001
	s_mov_b32 s25, exec_lo
	s_delay_alu instid0(VALU_DEP_2)
	v_cmpx_ne_u32_e32 0x7f, v9
	s_cbranch_execz .LBB450_4615
; %bb.4612:                             ;   in Loop: Header=BB450_3110 Depth=1
	v_and_b32_e32 v12, 7, v11
	v_lshrrev_b32_e32 v16, 3, v9
	v_cmp_gt_u32_e64 s9, 8, v9
	s_delay_alu instid0(VALU_DEP_3) | instskip(NEXT) | instid1(VALU_DEP_2)
	v_dual_mov_b32 v8, v12 :: v_dual_mov_b32 v9, v13
	s_and_saveexec_b32 s26, s9
; %bb.4613:                             ;   in Loop: Header=BB450_3110 Depth=1
	v_clz_i32_u32_e32 v8, v12
	s_delay_alu instid0(VALU_DEP_1) | instskip(NEXT) | instid1(VALU_DEP_1)
	v_min_u32_e32 v16, 32, v8
	v_subrev_nc_u32_e32 v8, 28, v16
	v_sub_nc_u32_e32 v16, 29, v16
	s_delay_alu instid0(VALU_DEP_2) | instskip(NEXT) | instid1(VALU_DEP_1)
	v_lshlrev_b64 v[8:9], v8, v[12:13]
	v_and_b32_e32 v8, 7, v8
; %bb.4614:                             ;   in Loop: Header=BB450_3110 Depth=1
	s_or_b32 exec_lo, exec_lo, s26
	v_lshlrev_b32_e32 v9, 24, v11
	s_delay_alu instid0(VALU_DEP_2) | instskip(SKIP_1) | instid1(VALU_DEP_3)
	v_lshlrev_b32_e32 v8, 20, v8
	v_lshl_add_u32 v11, v16, 23, 0x3c000000
	v_and_b32_e32 v9, 0x80000000, v9
	s_delay_alu instid0(VALU_DEP_1)
	v_or3_b32 v8, v8, v9, v11
.LBB450_4615:                           ;   in Loop: Header=BB450_3110 Depth=1
	s_or_b32 exec_lo, exec_lo, s25
.LBB450_4616:                           ;   in Loop: Header=BB450_3110 Depth=1
	s_delay_alu instid0(SALU_CYCLE_1)
	s_or_b32 exec_lo, exec_lo, s24
.LBB450_4617:                           ;   in Loop: Header=BB450_3110 Depth=1
	s_delay_alu instid0(SALU_CYCLE_1) | instskip(NEXT) | instid1(VALU_DEP_1)
	s_or_b32 exec_lo, exec_lo, s23
	v_mul_f32_e32 v8, v160, v8
                                        ; implicit-def: $vgpr11
	s_delay_alu instid0(VALU_DEP_1) | instskip(NEXT) | instid1(VALU_DEP_1)
	v_and_b32_e32 v9, 0x7f800000, v8
	v_cmp_ne_u32_e64 s9, 0x7f800000, v9
	s_delay_alu instid0(VALU_DEP_1) | instskip(NEXT) | instid1(SALU_CYCLE_1)
	s_and_saveexec_b32 s23, s9
	s_xor_b32 s9, exec_lo, s23
; %bb.4618:                             ;   in Loop: Header=BB450_3110 Depth=1
	v_bfe_u32 v9, v8, 16, 1
	s_delay_alu instid0(VALU_DEP_1)
	v_add3_u32 v11, v8, v9, 0x7fff
                                        ; implicit-def: $vgpr8
; %bb.4619:                             ;   in Loop: Header=BB450_3110 Depth=1
	s_and_not1_saveexec_b32 s23, s9
; %bb.4620:                             ;   in Loop: Header=BB450_3110 Depth=1
	v_and_b32_e32 v9, 0xffff, v8
	v_or_b32_e32 v11, 0x10000, v8
	s_delay_alu instid0(VALU_DEP_2) | instskip(NEXT) | instid1(VALU_DEP_1)
	v_cmp_eq_u32_e64 s9, 0, v9
	v_cndmask_b32_e64 v11, v11, v8, s9
; %bb.4621:                             ;   in Loop: Header=BB450_3110 Depth=1
	s_or_b32 exec_lo, exec_lo, s23
	v_dual_mov_b32 v12, v7 :: v_dual_and_b32 v9, 0xff, v7
	v_mov_b32_e32 v8, 0
	s_mov_b32 s23, exec_lo
	s_delay_alu instid0(VALU_DEP_2)
	v_cmpx_ne_u16_e32 0, v9
	s_cbranch_execz .LBB450_4629
; %bb.4622:                             ;   in Loop: Header=BB450_3110 Depth=1
	v_bfrev_b32_e32 v8, 1
	s_mov_b32 s24, exec_lo
	v_cmpx_ne_u16_e32 0x80, v9
	s_cbranch_execz .LBB450_4628
; %bb.4623:                             ;   in Loop: Header=BB450_3110 Depth=1
	v_and_b32_e32 v9, 0x7f, v7
	v_mov_b32_e32 v8, 0x7f800001
	s_mov_b32 s25, exec_lo
	s_delay_alu instid0(VALU_DEP_2)
	v_cmpx_ne_u32_e32 0x7f, v9
	s_cbranch_execz .LBB450_4627
; %bb.4624:                             ;   in Loop: Header=BB450_3110 Depth=1
	v_lshrrev_b32_e32 v16, 3, v9
	v_cmp_gt_u32_e64 s9, 8, v9
	v_dual_mov_b32 v8, v12 :: v_dual_mov_b32 v9, v13
	s_delay_alu instid0(VALU_DEP_2)
	s_and_saveexec_b32 s26, s9
; %bb.4625:                             ;   in Loop: Header=BB450_3110 Depth=1
	v_and_b32_e32 v8, 7, v7
	s_delay_alu instid0(VALU_DEP_1) | instskip(NEXT) | instid1(VALU_DEP_1)
	v_clz_i32_u32_e32 v8, v8
	v_min_u32_e32 v16, 32, v8
	s_delay_alu instid0(VALU_DEP_1) | instskip(SKIP_1) | instid1(VALU_DEP_2)
	v_subrev_nc_u32_e32 v8, 28, v16
	v_sub_nc_u32_e32 v16, 29, v16
	v_lshlrev_b64 v[8:9], v8, v[12:13]
; %bb.4626:                             ;   in Loop: Header=BB450_3110 Depth=1
	s_or_b32 exec_lo, exec_lo, s26
	s_delay_alu instid0(VALU_DEP_1) | instskip(SKIP_2) | instid1(VALU_DEP_3)
	v_lshlrev_b32_e32 v8, 20, v8
	v_lshlrev_b32_e32 v9, 24, v12
	v_lshl_add_u32 v16, v16, 23, 0x3c000000
	v_and_b32_e32 v8, 0x700000, v8
	s_delay_alu instid0(VALU_DEP_3) | instskip(NEXT) | instid1(VALU_DEP_1)
	v_and_b32_e32 v9, 0x80000000, v9
	v_or3_b32 v8, v8, v9, v16
.LBB450_4627:                           ;   in Loop: Header=BB450_3110 Depth=1
	s_or_b32 exec_lo, exec_lo, s25
.LBB450_4628:                           ;   in Loop: Header=BB450_3110 Depth=1
	s_delay_alu instid0(SALU_CYCLE_1)
	s_or_b32 exec_lo, exec_lo, s24
.LBB450_4629:                           ;   in Loop: Header=BB450_3110 Depth=1
	s_delay_alu instid0(SALU_CYCLE_1) | instskip(NEXT) | instid1(VALU_DEP_1)
	s_or_b32 exec_lo, exec_lo, s23
	v_mul_f32_e32 v8, v160, v8
                                        ; implicit-def: $vgpr16
	s_delay_alu instid0(VALU_DEP_1) | instskip(NEXT) | instid1(VALU_DEP_1)
	v_and_b32_e32 v9, 0x7f800000, v8
	v_cmp_ne_u32_e64 s9, 0x7f800000, v9
	s_delay_alu instid0(VALU_DEP_1) | instskip(NEXT) | instid1(SALU_CYCLE_1)
	s_and_saveexec_b32 s23, s9
	s_xor_b32 s9, exec_lo, s23
; %bb.4630:                             ;   in Loop: Header=BB450_3110 Depth=1
	v_bfe_u32 v9, v8, 16, 1
	s_delay_alu instid0(VALU_DEP_1)
	v_add3_u32 v16, v8, v9, 0x7fff
                                        ; implicit-def: $vgpr8
; %bb.4631:                             ;   in Loop: Header=BB450_3110 Depth=1
	s_and_not1_saveexec_b32 s23, s9
; %bb.4632:                             ;   in Loop: Header=BB450_3110 Depth=1
	v_and_b32_e32 v9, 0xffff, v8
	v_or_b32_e32 v16, 0x10000, v8
	s_delay_alu instid0(VALU_DEP_2) | instskip(NEXT) | instid1(VALU_DEP_1)
	v_cmp_eq_u32_e64 s9, 0, v9
	v_cndmask_b32_e64 v16, v16, v8, s9
; %bb.4633:                             ;   in Loop: Header=BB450_3110 Depth=1
	s_or_b32 exec_lo, exec_lo, s23
	v_lshrrev_b16 v9, 8, v12
	v_mov_b32_e32 v8, 0
	s_mov_b32 s23, exec_lo
	s_delay_alu instid0(VALU_DEP_2)
	v_cmpx_ne_u16_e32 0, v9
	s_cbranch_execz .LBB450_4641
; %bb.4634:                             ;   in Loop: Header=BB450_3110 Depth=1
	v_bfrev_b32_e32 v8, 1
	s_mov_b32 s24, exec_lo
	v_cmpx_ne_u16_e32 0x80, v9
	s_cbranch_execz .LBB450_4640
; %bb.4635:                             ;   in Loop: Header=BB450_3110 Depth=1
	v_and_b32_e32 v9, 0xffff, v9
	v_mov_b32_e32 v8, 0x7f800001
	s_mov_b32 s25, exec_lo
	s_delay_alu instid0(VALU_DEP_2) | instskip(NEXT) | instid1(VALU_DEP_1)
	v_and_b32_e32 v19, 0x7f, v9
	v_cmpx_ne_u32_e32 0x7f, v19
	s_cbranch_execz .LBB450_4639
; %bb.4636:                             ;   in Loop: Header=BB450_3110 Depth=1
	v_dual_mov_b32 v9, v13 :: v_dual_and_b32 v8, 7, v9
	v_lshrrev_b32_e32 v18, 3, v19
	s_mov_b32 s26, exec_lo
	v_cmpx_gt_u32_e32 8, v19
; %bb.4637:                             ;   in Loop: Header=BB450_3110 Depth=1
	s_delay_alu instid0(VALU_DEP_3) | instskip(NEXT) | instid1(VALU_DEP_1)
	v_clz_i32_u32_e32 v18, v8
	v_min_u32_e32 v18, 32, v18
	s_delay_alu instid0(VALU_DEP_1) | instskip(SKIP_1) | instid1(VALU_DEP_2)
	v_subrev_nc_u32_e32 v19, 28, v18
	v_sub_nc_u32_e32 v18, 29, v18
	v_lshlrev_b64 v[8:9], v19, v[8:9]
	s_delay_alu instid0(VALU_DEP_1)
	v_and_b32_e32 v8, 7, v8
; %bb.4638:                             ;   in Loop: Header=BB450_3110 Depth=1
	s_or_b32 exec_lo, exec_lo, s26
	v_lshlrev_b32_e32 v9, 16, v12
	s_delay_alu instid0(VALU_DEP_2) | instskip(SKIP_1) | instid1(VALU_DEP_3)
	v_lshlrev_b32_e32 v8, 20, v8
	v_lshl_add_u32 v12, v18, 23, 0x3c000000
	v_and_b32_e32 v9, 0x80000000, v9
	s_delay_alu instid0(VALU_DEP_1)
	v_or3_b32 v8, v8, v9, v12
.LBB450_4639:                           ;   in Loop: Header=BB450_3110 Depth=1
	s_or_b32 exec_lo, exec_lo, s25
.LBB450_4640:                           ;   in Loop: Header=BB450_3110 Depth=1
	s_delay_alu instid0(SALU_CYCLE_1)
	s_or_b32 exec_lo, exec_lo, s24
.LBB450_4641:                           ;   in Loop: Header=BB450_3110 Depth=1
	s_delay_alu instid0(SALU_CYCLE_1) | instskip(NEXT) | instid1(VALU_DEP_1)
	s_or_b32 exec_lo, exec_lo, s23
	v_mul_f32_e32 v8, v160, v8
                                        ; implicit-def: $vgpr18
	s_delay_alu instid0(VALU_DEP_1) | instskip(NEXT) | instid1(VALU_DEP_1)
	v_and_b32_e32 v9, 0x7f800000, v8
	v_cmp_ne_u32_e64 s9, 0x7f800000, v9
	s_delay_alu instid0(VALU_DEP_1) | instskip(NEXT) | instid1(SALU_CYCLE_1)
	s_and_saveexec_b32 s23, s9
	s_xor_b32 s9, exec_lo, s23
; %bb.4642:                             ;   in Loop: Header=BB450_3110 Depth=1
	v_bfe_u32 v9, v8, 16, 1
	s_delay_alu instid0(VALU_DEP_1)
	v_add3_u32 v18, v8, v9, 0x7fff
                                        ; implicit-def: $vgpr8
; %bb.4643:                             ;   in Loop: Header=BB450_3110 Depth=1
	s_and_not1_saveexec_b32 s23, s9
; %bb.4644:                             ;   in Loop: Header=BB450_3110 Depth=1
	v_and_b32_e32 v9, 0xffff, v8
	v_or_b32_e32 v12, 0x10000, v8
	s_delay_alu instid0(VALU_DEP_2) | instskip(NEXT) | instid1(VALU_DEP_1)
	v_cmp_eq_u32_e64 s9, 0, v9
	v_cndmask_b32_e64 v18, v12, v8, s9
; %bb.4645:                             ;   in Loop: Header=BB450_3110 Depth=1
	s_or_b32 exec_lo, exec_lo, s23
	v_lshrrev_b32_e32 v19, 16, v7
	s_mov_b32 s23, exec_lo
	s_delay_alu instid0(VALU_DEP_1) | instskip(NEXT) | instid1(VALU_DEP_1)
	v_dual_mov_b32 v8, 0 :: v_dual_and_b32 v9, 0xff, v19
	v_cmpx_ne_u16_e32 0, v9
	s_cbranch_execz .LBB450_4653
; %bb.4646:                             ;   in Loop: Header=BB450_3110 Depth=1
	v_bfrev_b32_e32 v8, 1
	s_mov_b32 s24, exec_lo
	v_cmpx_ne_u16_e32 0x80, v9
	s_cbranch_execz .LBB450_4652
; %bb.4647:                             ;   in Loop: Header=BB450_3110 Depth=1
	v_bfe_u32 v9, v7, 16, 7
	v_mov_b32_e32 v8, 0x7f800001
	s_mov_b32 s25, exec_lo
	s_delay_alu instid0(VALU_DEP_2)
	v_cmpx_ne_u32_e32 0x7f, v9
	s_cbranch_execz .LBB450_4651
; %bb.4648:                             ;   in Loop: Header=BB450_3110 Depth=1
	v_and_b32_e32 v12, 7, v19
	v_lshrrev_b32_e32 v20, 3, v9
	v_cmp_gt_u32_e64 s9, 8, v9
	s_delay_alu instid0(VALU_DEP_3) | instskip(NEXT) | instid1(VALU_DEP_2)
	v_dual_mov_b32 v8, v12 :: v_dual_mov_b32 v9, v13
	s_and_saveexec_b32 s26, s9
; %bb.4649:                             ;   in Loop: Header=BB450_3110 Depth=1
	v_clz_i32_u32_e32 v8, v12
	s_delay_alu instid0(VALU_DEP_1) | instskip(NEXT) | instid1(VALU_DEP_1)
	v_min_u32_e32 v20, 32, v8
	v_subrev_nc_u32_e32 v8, 28, v20
	v_sub_nc_u32_e32 v20, 29, v20
	s_delay_alu instid0(VALU_DEP_2) | instskip(NEXT) | instid1(VALU_DEP_1)
	v_lshlrev_b64 v[8:9], v8, v[12:13]
	v_and_b32_e32 v8, 7, v8
; %bb.4650:                             ;   in Loop: Header=BB450_3110 Depth=1
	s_or_b32 exec_lo, exec_lo, s26
	v_lshlrev_b32_e32 v9, 24, v19
	s_delay_alu instid0(VALU_DEP_2) | instskip(SKIP_1) | instid1(VALU_DEP_3)
	v_lshlrev_b32_e32 v8, 20, v8
	v_lshl_add_u32 v12, v20, 23, 0x3c000000
	v_and_b32_e32 v9, 0x80000000, v9
	s_delay_alu instid0(VALU_DEP_1)
	v_or3_b32 v8, v8, v9, v12
.LBB450_4651:                           ;   in Loop: Header=BB450_3110 Depth=1
	s_or_b32 exec_lo, exec_lo, s25
.LBB450_4652:                           ;   in Loop: Header=BB450_3110 Depth=1
	s_delay_alu instid0(SALU_CYCLE_1)
	s_or_b32 exec_lo, exec_lo, s24
.LBB450_4653:                           ;   in Loop: Header=BB450_3110 Depth=1
	s_delay_alu instid0(SALU_CYCLE_1) | instskip(NEXT) | instid1(VALU_DEP_1)
	s_or_b32 exec_lo, exec_lo, s23
	v_mul_f32_e32 v8, v160, v8
	s_delay_alu instid0(VALU_DEP_1) | instskip(NEXT) | instid1(VALU_DEP_1)
	v_and_b32_e32 v9, 0x7f800000, v8
	v_cmp_ne_u32_e64 s9, 0x7f800000, v9
                                        ; implicit-def: $vgpr9
	s_delay_alu instid0(VALU_DEP_1) | instskip(NEXT) | instid1(SALU_CYCLE_1)
	s_and_saveexec_b32 s23, s9
	s_xor_b32 s9, exec_lo, s23
; %bb.4654:                             ;   in Loop: Header=BB450_3110 Depth=1
	v_bfe_u32 v9, v8, 16, 1
	s_delay_alu instid0(VALU_DEP_1)
	v_add3_u32 v9, v8, v9, 0x7fff
                                        ; implicit-def: $vgpr8
; %bb.4655:                             ;   in Loop: Header=BB450_3110 Depth=1
	s_and_not1_saveexec_b32 s23, s9
; %bb.4656:                             ;   in Loop: Header=BB450_3110 Depth=1
	v_and_b32_e32 v9, 0xffff, v8
	v_or_b32_e32 v12, 0x10000, v8
	s_delay_alu instid0(VALU_DEP_2) | instskip(NEXT) | instid1(VALU_DEP_1)
	v_cmp_eq_u32_e64 s9, 0, v9
	v_cndmask_b32_e64 v9, v12, v8, s9
; %bb.4657:                             ;   in Loop: Header=BB450_3110 Depth=1
	s_or_b32 exec_lo, exec_lo, s23
	v_cmp_lt_u64_e64 s9, s[18:19], v[6:7]
	v_mov_b32_e32 v6, 0
	s_delay_alu instid0(VALU_DEP_2)
	s_and_saveexec_b32 s23, s9
	s_cbranch_execz .LBB450_4665
; %bb.4658:                             ;   in Loop: Header=BB450_3110 Depth=1
	v_lshrrev_b32_e32 v8, 24, v7
	v_bfrev_b32_e32 v6, 1
	s_mov_b32 s24, exec_lo
	s_delay_alu instid0(VALU_DEP_2)
	v_cmpx_ne_u32_e32 0x80, v8
	s_cbranch_execz .LBB450_4664
; %bb.4659:                             ;   in Loop: Header=BB450_3110 Depth=1
	v_bfe_u32 v7, v7, 24, 7
	v_mov_b32_e32 v6, 0x7f800001
	s_mov_b32 s25, exec_lo
	s_delay_alu instid0(VALU_DEP_2)
	v_cmpx_ne_u32_e32 0x7f, v7
	s_cbranch_execz .LBB450_4663
; %bb.4660:                             ;   in Loop: Header=BB450_3110 Depth=1
	v_and_b32_e32 v12, 7, v8
	v_lshrrev_b32_e32 v19, 3, v7
	v_cmp_gt_u32_e64 s9, 8, v7
	s_delay_alu instid0(VALU_DEP_3) | instskip(NEXT) | instid1(VALU_DEP_2)
	v_dual_mov_b32 v6, v12 :: v_dual_mov_b32 v7, v13
	s_and_saveexec_b32 s26, s9
; %bb.4661:                             ;   in Loop: Header=BB450_3110 Depth=1
	v_clz_i32_u32_e32 v6, v12
	s_delay_alu instid0(VALU_DEP_1) | instskip(NEXT) | instid1(VALU_DEP_1)
	v_min_u32_e32 v19, 32, v6
	v_subrev_nc_u32_e32 v6, 28, v19
	v_sub_nc_u32_e32 v19, 29, v19
	s_delay_alu instid0(VALU_DEP_2) | instskip(NEXT) | instid1(VALU_DEP_1)
	v_lshlrev_b64 v[6:7], v6, v[12:13]
	v_and_b32_e32 v6, 7, v6
; %bb.4662:                             ;   in Loop: Header=BB450_3110 Depth=1
	s_or_b32 exec_lo, exec_lo, s26
	v_lshlrev_b32_e32 v7, 24, v8
	s_delay_alu instid0(VALU_DEP_2) | instskip(SKIP_1) | instid1(VALU_DEP_3)
	v_lshlrev_b32_e32 v6, 20, v6
	v_lshl_add_u32 v8, v19, 23, 0x3c000000
	v_and_b32_e32 v7, 0x80000000, v7
	s_delay_alu instid0(VALU_DEP_1)
	v_or3_b32 v6, v6, v7, v8
.LBB450_4663:                           ;   in Loop: Header=BB450_3110 Depth=1
	s_or_b32 exec_lo, exec_lo, s25
.LBB450_4664:                           ;   in Loop: Header=BB450_3110 Depth=1
	s_delay_alu instid0(SALU_CYCLE_1)
	s_or_b32 exec_lo, exec_lo, s24
.LBB450_4665:                           ;   in Loop: Header=BB450_3110 Depth=1
	s_delay_alu instid0(SALU_CYCLE_1) | instskip(NEXT) | instid1(VALU_DEP_1)
	s_or_b32 exec_lo, exec_lo, s23
	v_mul_f32_e32 v6, v160, v6
                                        ; implicit-def: $vgpr19
	s_delay_alu instid0(VALU_DEP_1) | instskip(NEXT) | instid1(VALU_DEP_1)
	v_and_b32_e32 v7, 0x7f800000, v6
	v_cmp_ne_u32_e64 s9, 0x7f800000, v7
	s_delay_alu instid0(VALU_DEP_1) | instskip(NEXT) | instid1(SALU_CYCLE_1)
	s_and_saveexec_b32 s23, s9
	s_xor_b32 s9, exec_lo, s23
; %bb.4666:                             ;   in Loop: Header=BB450_3110 Depth=1
	v_bfe_u32 v7, v6, 16, 1
	s_delay_alu instid0(VALU_DEP_1)
	v_add3_u32 v19, v6, v7, 0x7fff
                                        ; implicit-def: $vgpr6
; %bb.4667:                             ;   in Loop: Header=BB450_3110 Depth=1
	s_and_not1_saveexec_b32 s23, s9
; %bb.4668:                             ;   in Loop: Header=BB450_3110 Depth=1
	v_and_b32_e32 v7, 0xffff, v6
	v_or_b32_e32 v8, 0x10000, v6
	s_delay_alu instid0(VALU_DEP_2) | instskip(NEXT) | instid1(VALU_DEP_1)
	v_cmp_eq_u32_e64 s9, 0, v7
	v_cndmask_b32_e64 v19, v8, v6, s9
; %bb.4669:                             ;   in Loop: Header=BB450_3110 Depth=1
	s_or_b32 exec_lo, exec_lo, s23
	v_lshrrev_b32_e32 v6, 16, v18
	v_lshrrev_b32_e32 v7, 16, v16
	;; [unrolled: 1-line block ×8, first 2 shown]
	s_and_saveexec_b32 s9, s1
; %bb.4670:                             ;   in Loop: Header=BB450_3110 Depth=1
	s_delay_alu instid0(VALU_DEP_3)
	v_cndmask_b32_e32 v12, 0, v12, vcc_lo
	v_cndmask_b32_e64 v11, 0, v11, s2
	v_cndmask_b32_e64 v10, 0, v10, s3
	v_cndmask_b32_e64 v8, 0, v8, s4
	v_cndmask_b32_e64 v7, 0, v7, s5
	v_cndmask_b32_e64 v6, 0, v6, s6
	v_cndmask_b32_e64 v5, 0, v5, s7
	v_cndmask_b32_e64 v4, 0, v4, s8
; %bb.4671:                             ;   in Loop: Header=BB450_3110 Depth=1
	s_or_b32 exec_lo, exec_lo, s9
	v_lshlrev_b32_e32 v9, 16, v12
                                        ; implicit-def: $vgpr172
	s_delay_alu instid0(VALU_DEP_1) | instskip(NEXT) | instid1(VALU_DEP_1)
	v_mul_f32_e32 v9, v161, v9
	v_and_b32_e32 v12, 0x7f800000, v9
	s_delay_alu instid0(VALU_DEP_1) | instskip(NEXT) | instid1(VALU_DEP_1)
	v_cmp_ne_u32_e64 s9, 0x7f800000, v12
	s_and_saveexec_b32 s23, s9
	s_delay_alu instid0(SALU_CYCLE_1)
	s_xor_b32 s9, exec_lo, s23
; %bb.4672:                             ;   in Loop: Header=BB450_3110 Depth=1
	v_bfe_u32 v12, v9, 16, 1
	s_delay_alu instid0(VALU_DEP_1)
	v_add3_u32 v172, v9, v12, 0x7fff
                                        ; implicit-def: $vgpr9
; %bb.4673:                             ;   in Loop: Header=BB450_3110 Depth=1
	s_and_not1_saveexec_b32 s23, s9
; %bb.4674:                             ;   in Loop: Header=BB450_3110 Depth=1
	v_and_b32_e32 v12, 0xffff, v9
	v_or_b32_e32 v16, 0x10000, v9
	s_delay_alu instid0(VALU_DEP_2) | instskip(NEXT) | instid1(VALU_DEP_1)
	v_cmp_eq_u32_e64 s9, 0, v12
	v_cndmask_b32_e64 v172, v16, v9, s9
; %bb.4675:                             ;   in Loop: Header=BB450_3110 Depth=1
	s_or_b32 exec_lo, exec_lo, s23
	v_lshlrev_b32_e32 v9, 16, v11
                                        ; implicit-def: $vgpr173
	s_delay_alu instid0(VALU_DEP_1) | instskip(NEXT) | instid1(VALU_DEP_1)
	v_mul_f32_e32 v9, v162, v9
	v_and_b32_e32 v11, 0x7f800000, v9
	s_delay_alu instid0(VALU_DEP_1) | instskip(NEXT) | instid1(VALU_DEP_1)
	v_cmp_ne_u32_e64 s9, 0x7f800000, v11
	s_and_saveexec_b32 s23, s9
	s_delay_alu instid0(SALU_CYCLE_1)
	s_xor_b32 s9, exec_lo, s23
; %bb.4676:                             ;   in Loop: Header=BB450_3110 Depth=1
	v_bfe_u32 v11, v9, 16, 1
	s_delay_alu instid0(VALU_DEP_1)
	v_add3_u32 v173, v9, v11, 0x7fff
                                        ; implicit-def: $vgpr9
; %bb.4677:                             ;   in Loop: Header=BB450_3110 Depth=1
	s_and_not1_saveexec_b32 s23, s9
; %bb.4678:                             ;   in Loop: Header=BB450_3110 Depth=1
	v_and_b32_e32 v11, 0xffff, v9
	v_or_b32_e32 v12, 0x10000, v9
	s_delay_alu instid0(VALU_DEP_2) | instskip(NEXT) | instid1(VALU_DEP_1)
	v_cmp_eq_u32_e64 s9, 0, v11
	v_cndmask_b32_e64 v173, v12, v9, s9
; %bb.4679:                             ;   in Loop: Header=BB450_3110 Depth=1
	s_or_b32 exec_lo, exec_lo, s23
	v_lshlrev_b32_e32 v9, 16, v10
                                        ; implicit-def: $vgpr174
	s_delay_alu instid0(VALU_DEP_1) | instskip(NEXT) | instid1(VALU_DEP_1)
	v_mul_f32_e32 v9, v163, v9
	v_and_b32_e32 v10, 0x7f800000, v9
	s_delay_alu instid0(VALU_DEP_1) | instskip(NEXT) | instid1(VALU_DEP_1)
	v_cmp_ne_u32_e64 s9, 0x7f800000, v10
	s_and_saveexec_b32 s23, s9
	s_delay_alu instid0(SALU_CYCLE_1)
	s_xor_b32 s9, exec_lo, s23
; %bb.4680:                             ;   in Loop: Header=BB450_3110 Depth=1
	v_bfe_u32 v10, v9, 16, 1
	s_delay_alu instid0(VALU_DEP_1)
	v_add3_u32 v174, v9, v10, 0x7fff
                                        ; implicit-def: $vgpr9
; %bb.4681:                             ;   in Loop: Header=BB450_3110 Depth=1
	s_and_not1_saveexec_b32 s23, s9
; %bb.4682:                             ;   in Loop: Header=BB450_3110 Depth=1
	v_and_b32_e32 v10, 0xffff, v9
	v_or_b32_e32 v11, 0x10000, v9
	s_delay_alu instid0(VALU_DEP_2) | instskip(NEXT) | instid1(VALU_DEP_1)
	v_cmp_eq_u32_e64 s9, 0, v10
	v_cndmask_b32_e64 v174, v11, v9, s9
; %bb.4683:                             ;   in Loop: Header=BB450_3110 Depth=1
	s_or_b32 exec_lo, exec_lo, s23
	v_lshlrev_b32_e32 v8, 16, v8
                                        ; implicit-def: $vgpr175
	s_delay_alu instid0(VALU_DEP_1) | instskip(NEXT) | instid1(VALU_DEP_1)
	v_mul_f32_e32 v8, v164, v8
	v_and_b32_e32 v9, 0x7f800000, v8
	s_delay_alu instid0(VALU_DEP_1) | instskip(NEXT) | instid1(VALU_DEP_1)
	v_cmp_ne_u32_e64 s9, 0x7f800000, v9
	s_and_saveexec_b32 s23, s9
	s_delay_alu instid0(SALU_CYCLE_1)
	s_xor_b32 s9, exec_lo, s23
; %bb.4684:                             ;   in Loop: Header=BB450_3110 Depth=1
	v_bfe_u32 v9, v8, 16, 1
	s_delay_alu instid0(VALU_DEP_1)
	v_add3_u32 v175, v8, v9, 0x7fff
                                        ; implicit-def: $vgpr8
; %bb.4685:                             ;   in Loop: Header=BB450_3110 Depth=1
	s_and_not1_saveexec_b32 s23, s9
; %bb.4686:                             ;   in Loop: Header=BB450_3110 Depth=1
	v_and_b32_e32 v9, 0xffff, v8
	v_or_b32_e32 v10, 0x10000, v8
	s_delay_alu instid0(VALU_DEP_2) | instskip(NEXT) | instid1(VALU_DEP_1)
	v_cmp_eq_u32_e64 s9, 0, v9
	v_cndmask_b32_e64 v175, v10, v8, s9
; %bb.4687:                             ;   in Loop: Header=BB450_3110 Depth=1
	s_or_b32 exec_lo, exec_lo, s23
	v_lshlrev_b32_e32 v7, 16, v7
                                        ; implicit-def: $vgpr184
	s_delay_alu instid0(VALU_DEP_1) | instskip(NEXT) | instid1(VALU_DEP_1)
	v_mul_f32_e32 v7, v165, v7
	v_and_b32_e32 v8, 0x7f800000, v7
	s_delay_alu instid0(VALU_DEP_1) | instskip(NEXT) | instid1(VALU_DEP_1)
	v_cmp_ne_u32_e64 s9, 0x7f800000, v8
	s_and_saveexec_b32 s23, s9
	s_delay_alu instid0(SALU_CYCLE_1)
	s_xor_b32 s9, exec_lo, s23
; %bb.4688:                             ;   in Loop: Header=BB450_3110 Depth=1
	v_bfe_u32 v8, v7, 16, 1
	s_delay_alu instid0(VALU_DEP_1)
	v_add3_u32 v184, v7, v8, 0x7fff
                                        ; implicit-def: $vgpr7
; %bb.4689:                             ;   in Loop: Header=BB450_3110 Depth=1
	s_and_not1_saveexec_b32 s23, s9
; %bb.4690:                             ;   in Loop: Header=BB450_3110 Depth=1
	v_and_b32_e32 v8, 0xffff, v7
	v_or_b32_e32 v9, 0x10000, v7
	s_delay_alu instid0(VALU_DEP_2) | instskip(NEXT) | instid1(VALU_DEP_1)
	v_cmp_eq_u32_e64 s9, 0, v8
	v_cndmask_b32_e64 v184, v9, v7, s9
; %bb.4691:                             ;   in Loop: Header=BB450_3110 Depth=1
	s_or_b32 exec_lo, exec_lo, s23
	v_lshlrev_b32_e32 v6, 16, v6
                                        ; implicit-def: $vgpr185
	s_delay_alu instid0(VALU_DEP_1) | instskip(NEXT) | instid1(VALU_DEP_1)
	v_mul_f32_e32 v6, v166, v6
	v_and_b32_e32 v7, 0x7f800000, v6
	s_delay_alu instid0(VALU_DEP_1) | instskip(NEXT) | instid1(VALU_DEP_1)
	v_cmp_ne_u32_e64 s9, 0x7f800000, v7
	s_and_saveexec_b32 s23, s9
	s_delay_alu instid0(SALU_CYCLE_1)
	s_xor_b32 s9, exec_lo, s23
; %bb.4692:                             ;   in Loop: Header=BB450_3110 Depth=1
	v_bfe_u32 v7, v6, 16, 1
	s_delay_alu instid0(VALU_DEP_1)
	v_add3_u32 v185, v6, v7, 0x7fff
                                        ; implicit-def: $vgpr6
; %bb.4693:                             ;   in Loop: Header=BB450_3110 Depth=1
	s_and_not1_saveexec_b32 s23, s9
; %bb.4694:                             ;   in Loop: Header=BB450_3110 Depth=1
	v_and_b32_e32 v7, 0xffff, v6
	v_or_b32_e32 v8, 0x10000, v6
	s_delay_alu instid0(VALU_DEP_2) | instskip(NEXT) | instid1(VALU_DEP_1)
	v_cmp_eq_u32_e64 s9, 0, v7
	v_cndmask_b32_e64 v185, v8, v6, s9
; %bb.4695:                             ;   in Loop: Header=BB450_3110 Depth=1
	s_or_b32 exec_lo, exec_lo, s23
	v_lshlrev_b32_e32 v5, 16, v5
                                        ; implicit-def: $vgpr186
	s_delay_alu instid0(VALU_DEP_1) | instskip(NEXT) | instid1(VALU_DEP_1)
	v_mul_f32_e32 v5, v167, v5
	v_and_b32_e32 v6, 0x7f800000, v5
	s_delay_alu instid0(VALU_DEP_1) | instskip(NEXT) | instid1(VALU_DEP_1)
	v_cmp_ne_u32_e64 s9, 0x7f800000, v6
	s_and_saveexec_b32 s23, s9
	s_delay_alu instid0(SALU_CYCLE_1)
	s_xor_b32 s9, exec_lo, s23
; %bb.4696:                             ;   in Loop: Header=BB450_3110 Depth=1
	v_bfe_u32 v6, v5, 16, 1
	s_delay_alu instid0(VALU_DEP_1)
	v_add3_u32 v186, v5, v6, 0x7fff
                                        ; implicit-def: $vgpr5
; %bb.4697:                             ;   in Loop: Header=BB450_3110 Depth=1
	s_and_not1_saveexec_b32 s23, s9
; %bb.4698:                             ;   in Loop: Header=BB450_3110 Depth=1
	v_and_b32_e32 v6, 0xffff, v5
	v_or_b32_e32 v7, 0x10000, v5
	s_delay_alu instid0(VALU_DEP_2) | instskip(NEXT) | instid1(VALU_DEP_1)
	v_cmp_eq_u32_e64 s9, 0, v6
	v_cndmask_b32_e64 v186, v7, v5, s9
; %bb.4699:                             ;   in Loop: Header=BB450_3110 Depth=1
	s_or_b32 exec_lo, exec_lo, s23
	v_lshlrev_b32_e32 v4, 16, v4
                                        ; implicit-def: $vgpr187
	s_delay_alu instid0(VALU_DEP_1) | instskip(NEXT) | instid1(VALU_DEP_1)
	v_mul_f32_e32 v4, v176, v4
	v_and_b32_e32 v5, 0x7f800000, v4
	s_delay_alu instid0(VALU_DEP_1) | instskip(NEXT) | instid1(VALU_DEP_1)
	v_cmp_ne_u32_e64 s9, 0x7f800000, v5
	s_and_saveexec_b32 s23, s9
	s_delay_alu instid0(SALU_CYCLE_1)
	s_xor_b32 s9, exec_lo, s23
; %bb.4700:                             ;   in Loop: Header=BB450_3110 Depth=1
	v_bfe_u32 v5, v4, 16, 1
	s_delay_alu instid0(VALU_DEP_1)
	v_add3_u32 v187, v4, v5, 0x7fff
                                        ; implicit-def: $vgpr4
; %bb.4701:                             ;   in Loop: Header=BB450_3110 Depth=1
	s_and_not1_saveexec_b32 s23, s9
; %bb.4702:                             ;   in Loop: Header=BB450_3110 Depth=1
	v_and_b32_e32 v5, 0xffff, v4
	v_or_b32_e32 v6, 0x10000, v4
	s_delay_alu instid0(VALU_DEP_2) | instskip(NEXT) | instid1(VALU_DEP_1)
	v_cmp_eq_u32_e64 s9, 0, v5
	v_cndmask_b32_e64 v187, v6, v4, s9
; %bb.4703:                             ;   in Loop: Header=BB450_3110 Depth=1
	s_or_b32 exec_lo, exec_lo, s23
	flat_load_b64 v[6:7], v[2:3] offset:3072
	s_mov_b32 s23, exec_lo
	s_waitcnt vmcnt(0) lgkmcnt(0)
	v_dual_mov_b32 v4, 0 :: v_dual_and_b32 v5, 0xff, v6
	s_delay_alu instid0(VALU_DEP_1)
	v_cmpx_ne_u16_e32 0, v5
	s_cbranch_execz .LBB450_4711
; %bb.4704:                             ;   in Loop: Header=BB450_3110 Depth=1
	v_bfrev_b32_e32 v4, 1
	s_mov_b32 s24, exec_lo
	v_cmpx_ne_u16_e32 0x80, v5
	s_cbranch_execz .LBB450_4710
; %bb.4705:                             ;   in Loop: Header=BB450_3110 Depth=1
	v_and_b32_e32 v5, 0x7f, v6
	v_mov_b32_e32 v4, 0x7f800001
	s_mov_b32 s25, exec_lo
	s_delay_alu instid0(VALU_DEP_2)
	v_cmpx_ne_u32_e32 0x7f, v5
	s_cbranch_execz .LBB450_4709
; %bb.4706:                             ;   in Loop: Header=BB450_3110 Depth=1
	v_lshrrev_b32_e32 v4, 3, v5
	v_dual_mov_b32 v9, v7 :: v_dual_mov_b32 v8, v6
	s_mov_b32 s26, exec_lo
	v_cmpx_gt_u32_e32 8, v5
; %bb.4707:                             ;   in Loop: Header=BB450_3110 Depth=1
	v_and_b32_e32 v4, 7, v6
	s_delay_alu instid0(VALU_DEP_1) | instskip(NEXT) | instid1(VALU_DEP_1)
	v_clz_i32_u32_e32 v4, v4
	v_min_u32_e32 v4, 32, v4
	s_delay_alu instid0(VALU_DEP_1) | instskip(SKIP_1) | instid1(VALU_DEP_2)
	v_subrev_nc_u32_e32 v5, 28, v4
	v_sub_nc_u32_e32 v4, 29, v4
	v_lshlrev_b64 v[8:9], v5, v[6:7]
; %bb.4708:                             ;   in Loop: Header=BB450_3110 Depth=1
	s_or_b32 exec_lo, exec_lo, s26
	s_delay_alu instid0(VALU_DEP_1) | instskip(SKIP_2) | instid1(VALU_DEP_3)
	v_lshlrev_b32_e32 v5, 20, v8
	v_lshlrev_b32_e32 v8, 24, v6
	v_lshl_add_u32 v4, v4, 23, 0x3c000000
	v_and_b32_e32 v5, 0x700000, v5
	s_delay_alu instid0(VALU_DEP_3) | instskip(NEXT) | instid1(VALU_DEP_1)
	v_and_b32_e32 v8, 0x80000000, v8
	v_or3_b32 v4, v5, v8, v4
.LBB450_4709:                           ;   in Loop: Header=BB450_3110 Depth=1
	s_or_b32 exec_lo, exec_lo, s25
.LBB450_4710:                           ;   in Loop: Header=BB450_3110 Depth=1
	s_delay_alu instid0(SALU_CYCLE_1)
	s_or_b32 exec_lo, exec_lo, s24
.LBB450_4711:                           ;   in Loop: Header=BB450_3110 Depth=1
	s_delay_alu instid0(SALU_CYCLE_1) | instskip(NEXT) | instid1(VALU_DEP_1)
	s_or_b32 exec_lo, exec_lo, s23
	v_mul_f32_e32 v5, v160, v4
	s_delay_alu instid0(VALU_DEP_1) | instskip(NEXT) | instid1(VALU_DEP_1)
	v_and_b32_e32 v4, 0x7f800000, v5
	v_cmp_ne_u32_e64 s9, 0x7f800000, v4
                                        ; implicit-def: $vgpr4
	s_delay_alu instid0(VALU_DEP_1) | instskip(NEXT) | instid1(SALU_CYCLE_1)
	s_and_saveexec_b32 s23, s9
	s_xor_b32 s9, exec_lo, s23
; %bb.4712:                             ;   in Loop: Header=BB450_3110 Depth=1
	v_bfe_u32 v4, v5, 16, 1
	s_delay_alu instid0(VALU_DEP_1)
	v_add3_u32 v4, v5, v4, 0x7fff
                                        ; implicit-def: $vgpr5
; %bb.4713:                             ;   in Loop: Header=BB450_3110 Depth=1
	s_and_not1_saveexec_b32 s23, s9
; %bb.4714:                             ;   in Loop: Header=BB450_3110 Depth=1
	v_and_b32_e32 v4, 0xffff, v5
	v_or_b32_e32 v8, 0x10000, v5
	s_delay_alu instid0(VALU_DEP_2) | instskip(NEXT) | instid1(VALU_DEP_1)
	v_cmp_eq_u32_e64 s9, 0, v4
	v_cndmask_b32_e64 v4, v8, v5, s9
; %bb.4715:                             ;   in Loop: Header=BB450_3110 Depth=1
	s_or_b32 exec_lo, exec_lo, s23
	v_lshrrev_b16 v8, 8, v6
	v_mov_b32_e32 v5, 0
	s_mov_b32 s23, exec_lo
	s_delay_alu instid0(VALU_DEP_2)
	v_cmpx_ne_u16_e32 0, v8
	s_cbranch_execz .LBB450_4723
; %bb.4716:                             ;   in Loop: Header=BB450_3110 Depth=1
	v_bfrev_b32_e32 v5, 1
	s_mov_b32 s24, exec_lo
	v_cmpx_ne_u16_e32 0x80, v8
	s_cbranch_execz .LBB450_4722
; %bb.4717:                             ;   in Loop: Header=BB450_3110 Depth=1
	v_and_b32_e32 v9, 0xffff, v8
	v_mov_b32_e32 v5, 0x7f800001
	s_mov_b32 s25, exec_lo
	s_delay_alu instid0(VALU_DEP_2) | instskip(NEXT) | instid1(VALU_DEP_1)
	v_and_b32_e32 v8, 0x7f, v9
	v_cmpx_ne_u32_e32 0x7f, v8
	s_cbranch_execz .LBB450_4721
; %bb.4718:                             ;   in Loop: Header=BB450_3110 Depth=1
	v_and_b32_e32 v12, 7, v9
	v_lshrrev_b32_e32 v5, 3, v8
	v_cmp_gt_u32_e64 s9, 8, v8
	s_delay_alu instid0(VALU_DEP_3) | instskip(NEXT) | instid1(VALU_DEP_2)
	v_dual_mov_b32 v8, v12 :: v_dual_mov_b32 v9, v13
	s_and_saveexec_b32 s26, s9
; %bb.4719:                             ;   in Loop: Header=BB450_3110 Depth=1
	v_clz_i32_u32_e32 v5, v12
	s_delay_alu instid0(VALU_DEP_1) | instskip(NEXT) | instid1(VALU_DEP_1)
	v_min_u32_e32 v5, 32, v5
	v_subrev_nc_u32_e32 v8, 28, v5
	v_sub_nc_u32_e32 v5, 29, v5
	s_delay_alu instid0(VALU_DEP_2) | instskip(NEXT) | instid1(VALU_DEP_1)
	v_lshlrev_b64 v[8:9], v8, v[12:13]
	v_and_b32_e32 v8, 7, v8
; %bb.4720:                             ;   in Loop: Header=BB450_3110 Depth=1
	s_or_b32 exec_lo, exec_lo, s26
	v_lshlrev_b32_e32 v9, 16, v6
	s_delay_alu instid0(VALU_DEP_2) | instskip(SKIP_1) | instid1(VALU_DEP_3)
	v_lshlrev_b32_e32 v8, 20, v8
	v_lshl_add_u32 v5, v5, 23, 0x3c000000
	v_and_b32_e32 v9, 0x80000000, v9
	s_delay_alu instid0(VALU_DEP_1)
	v_or3_b32 v5, v8, v9, v5
.LBB450_4721:                           ;   in Loop: Header=BB450_3110 Depth=1
	s_or_b32 exec_lo, exec_lo, s25
.LBB450_4722:                           ;   in Loop: Header=BB450_3110 Depth=1
	s_delay_alu instid0(SALU_CYCLE_1)
	s_or_b32 exec_lo, exec_lo, s24
.LBB450_4723:                           ;   in Loop: Header=BB450_3110 Depth=1
	s_delay_alu instid0(SALU_CYCLE_1) | instskip(NEXT) | instid1(VALU_DEP_1)
	s_or_b32 exec_lo, exec_lo, s23
	v_mul_f32_e32 v8, v160, v5
	s_delay_alu instid0(VALU_DEP_1) | instskip(NEXT) | instid1(VALU_DEP_1)
	v_and_b32_e32 v5, 0x7f800000, v8
	v_cmp_ne_u32_e64 s9, 0x7f800000, v5
                                        ; implicit-def: $vgpr5
	s_delay_alu instid0(VALU_DEP_1) | instskip(NEXT) | instid1(SALU_CYCLE_1)
	s_and_saveexec_b32 s23, s9
	s_xor_b32 s9, exec_lo, s23
; %bb.4724:                             ;   in Loop: Header=BB450_3110 Depth=1
	v_bfe_u32 v5, v8, 16, 1
	s_delay_alu instid0(VALU_DEP_1)
	v_add3_u32 v5, v8, v5, 0x7fff
                                        ; implicit-def: $vgpr8
; %bb.4725:                             ;   in Loop: Header=BB450_3110 Depth=1
	s_and_not1_saveexec_b32 s23, s9
; %bb.4726:                             ;   in Loop: Header=BB450_3110 Depth=1
	v_and_b32_e32 v5, 0xffff, v8
	v_or_b32_e32 v9, 0x10000, v8
	s_delay_alu instid0(VALU_DEP_2) | instskip(NEXT) | instid1(VALU_DEP_1)
	v_cmp_eq_u32_e64 s9, 0, v5
	v_cndmask_b32_e64 v5, v9, v8, s9
; %bb.4727:                             ;   in Loop: Header=BB450_3110 Depth=1
	s_or_b32 exec_lo, exec_lo, s23
	v_lshrrev_b32_e32 v10, 16, v6
	s_mov_b32 s23, exec_lo
	s_delay_alu instid0(VALU_DEP_1) | instskip(NEXT) | instid1(VALU_DEP_1)
	v_dual_mov_b32 v8, 0 :: v_dual_and_b32 v9, 0xff, v10
	v_cmpx_ne_u16_e32 0, v9
	s_cbranch_execz .LBB450_4735
; %bb.4728:                             ;   in Loop: Header=BB450_3110 Depth=1
	v_bfrev_b32_e32 v8, 1
	s_mov_b32 s24, exec_lo
	v_cmpx_ne_u16_e32 0x80, v9
	s_cbranch_execz .LBB450_4734
; %bb.4729:                             ;   in Loop: Header=BB450_3110 Depth=1
	v_bfe_u32 v9, v6, 16, 7
	v_mov_b32_e32 v8, 0x7f800001
	s_mov_b32 s25, exec_lo
	s_delay_alu instid0(VALU_DEP_2)
	v_cmpx_ne_u32_e32 0x7f, v9
	s_cbranch_execz .LBB450_4733
; %bb.4730:                             ;   in Loop: Header=BB450_3110 Depth=1
	v_and_b32_e32 v12, 7, v10
	v_lshrrev_b32_e32 v11, 3, v9
	v_cmp_gt_u32_e64 s9, 8, v9
	s_delay_alu instid0(VALU_DEP_3) | instskip(NEXT) | instid1(VALU_DEP_2)
	v_dual_mov_b32 v8, v12 :: v_dual_mov_b32 v9, v13
	s_and_saveexec_b32 s26, s9
; %bb.4731:                             ;   in Loop: Header=BB450_3110 Depth=1
	v_clz_i32_u32_e32 v8, v12
	s_delay_alu instid0(VALU_DEP_1) | instskip(NEXT) | instid1(VALU_DEP_1)
	v_min_u32_e32 v11, 32, v8
	v_subrev_nc_u32_e32 v8, 28, v11
	v_sub_nc_u32_e32 v11, 29, v11
	s_delay_alu instid0(VALU_DEP_2) | instskip(NEXT) | instid1(VALU_DEP_1)
	v_lshlrev_b64 v[8:9], v8, v[12:13]
	v_and_b32_e32 v8, 7, v8
; %bb.4732:                             ;   in Loop: Header=BB450_3110 Depth=1
	s_or_b32 exec_lo, exec_lo, s26
	v_lshlrev_b32_e32 v9, 24, v10
	s_delay_alu instid0(VALU_DEP_2) | instskip(SKIP_1) | instid1(VALU_DEP_3)
	v_lshlrev_b32_e32 v8, 20, v8
	v_lshl_add_u32 v10, v11, 23, 0x3c000000
	v_and_b32_e32 v9, 0x80000000, v9
	s_delay_alu instid0(VALU_DEP_1)
	v_or3_b32 v8, v8, v9, v10
.LBB450_4733:                           ;   in Loop: Header=BB450_3110 Depth=1
	s_or_b32 exec_lo, exec_lo, s25
.LBB450_4734:                           ;   in Loop: Header=BB450_3110 Depth=1
	s_delay_alu instid0(SALU_CYCLE_1)
	s_or_b32 exec_lo, exec_lo, s24
.LBB450_4735:                           ;   in Loop: Header=BB450_3110 Depth=1
	s_delay_alu instid0(SALU_CYCLE_1) | instskip(NEXT) | instid1(VALU_DEP_1)
	s_or_b32 exec_lo, exec_lo, s23
	v_mul_f32_e32 v8, v160, v8
                                        ; implicit-def: $vgpr10
	s_delay_alu instid0(VALU_DEP_1) | instskip(NEXT) | instid1(VALU_DEP_1)
	v_and_b32_e32 v9, 0x7f800000, v8
	v_cmp_ne_u32_e64 s9, 0x7f800000, v9
	s_delay_alu instid0(VALU_DEP_1) | instskip(NEXT) | instid1(SALU_CYCLE_1)
	s_and_saveexec_b32 s23, s9
	s_xor_b32 s9, exec_lo, s23
; %bb.4736:                             ;   in Loop: Header=BB450_3110 Depth=1
	v_bfe_u32 v9, v8, 16, 1
	s_delay_alu instid0(VALU_DEP_1)
	v_add3_u32 v10, v8, v9, 0x7fff
                                        ; implicit-def: $vgpr8
; %bb.4737:                             ;   in Loop: Header=BB450_3110 Depth=1
	s_and_not1_saveexec_b32 s23, s9
; %bb.4738:                             ;   in Loop: Header=BB450_3110 Depth=1
	v_and_b32_e32 v9, 0xffff, v8
	v_or_b32_e32 v10, 0x10000, v8
	s_delay_alu instid0(VALU_DEP_2) | instskip(NEXT) | instid1(VALU_DEP_1)
	v_cmp_eq_u32_e64 s9, 0, v9
	v_cndmask_b32_e64 v10, v10, v8, s9
; %bb.4739:                             ;   in Loop: Header=BB450_3110 Depth=1
	s_or_b32 exec_lo, exec_lo, s23
	v_mov_b32_e32 v8, 0
	s_mov_b32 s23, exec_lo
	v_cmpx_lt_u32_e32 0xffffff, v6
	s_cbranch_execz .LBB450_4747
; %bb.4740:                             ;   in Loop: Header=BB450_3110 Depth=1
	v_lshrrev_b32_e32 v11, 24, v6
	v_bfrev_b32_e32 v8, 1
	s_mov_b32 s24, exec_lo
	s_delay_alu instid0(VALU_DEP_2)
	v_cmpx_ne_u32_e32 0x80, v11
	s_cbranch_execz .LBB450_4746
; %bb.4741:                             ;   in Loop: Header=BB450_3110 Depth=1
	v_bfe_u32 v9, v6, 24, 7
	v_mov_b32_e32 v8, 0x7f800001
	s_mov_b32 s25, exec_lo
	s_delay_alu instid0(VALU_DEP_2)
	v_cmpx_ne_u32_e32 0x7f, v9
	s_cbranch_execz .LBB450_4745
; %bb.4742:                             ;   in Loop: Header=BB450_3110 Depth=1
	v_and_b32_e32 v12, 7, v11
	v_lshrrev_b32_e32 v16, 3, v9
	v_cmp_gt_u32_e64 s9, 8, v9
	s_delay_alu instid0(VALU_DEP_3) | instskip(NEXT) | instid1(VALU_DEP_2)
	v_dual_mov_b32 v8, v12 :: v_dual_mov_b32 v9, v13
	s_and_saveexec_b32 s26, s9
; %bb.4743:                             ;   in Loop: Header=BB450_3110 Depth=1
	v_clz_i32_u32_e32 v8, v12
	s_delay_alu instid0(VALU_DEP_1) | instskip(NEXT) | instid1(VALU_DEP_1)
	v_min_u32_e32 v16, 32, v8
	v_subrev_nc_u32_e32 v8, 28, v16
	v_sub_nc_u32_e32 v16, 29, v16
	s_delay_alu instid0(VALU_DEP_2) | instskip(NEXT) | instid1(VALU_DEP_1)
	v_lshlrev_b64 v[8:9], v8, v[12:13]
	v_and_b32_e32 v8, 7, v8
; %bb.4744:                             ;   in Loop: Header=BB450_3110 Depth=1
	s_or_b32 exec_lo, exec_lo, s26
	v_lshlrev_b32_e32 v9, 24, v11
	s_delay_alu instid0(VALU_DEP_2) | instskip(SKIP_1) | instid1(VALU_DEP_3)
	v_lshlrev_b32_e32 v8, 20, v8
	v_lshl_add_u32 v11, v16, 23, 0x3c000000
	v_and_b32_e32 v9, 0x80000000, v9
	s_delay_alu instid0(VALU_DEP_1)
	v_or3_b32 v8, v8, v9, v11
.LBB450_4745:                           ;   in Loop: Header=BB450_3110 Depth=1
	s_or_b32 exec_lo, exec_lo, s25
.LBB450_4746:                           ;   in Loop: Header=BB450_3110 Depth=1
	s_delay_alu instid0(SALU_CYCLE_1)
	s_or_b32 exec_lo, exec_lo, s24
.LBB450_4747:                           ;   in Loop: Header=BB450_3110 Depth=1
	s_delay_alu instid0(SALU_CYCLE_1) | instskip(NEXT) | instid1(VALU_DEP_1)
	s_or_b32 exec_lo, exec_lo, s23
	v_mul_f32_e32 v8, v160, v8
                                        ; implicit-def: $vgpr11
	s_delay_alu instid0(VALU_DEP_1) | instskip(NEXT) | instid1(VALU_DEP_1)
	v_and_b32_e32 v9, 0x7f800000, v8
	v_cmp_ne_u32_e64 s9, 0x7f800000, v9
	s_delay_alu instid0(VALU_DEP_1) | instskip(NEXT) | instid1(SALU_CYCLE_1)
	s_and_saveexec_b32 s23, s9
	s_xor_b32 s9, exec_lo, s23
; %bb.4748:                             ;   in Loop: Header=BB450_3110 Depth=1
	v_bfe_u32 v9, v8, 16, 1
	s_delay_alu instid0(VALU_DEP_1)
	v_add3_u32 v11, v8, v9, 0x7fff
                                        ; implicit-def: $vgpr8
; %bb.4749:                             ;   in Loop: Header=BB450_3110 Depth=1
	s_and_not1_saveexec_b32 s23, s9
; %bb.4750:                             ;   in Loop: Header=BB450_3110 Depth=1
	v_and_b32_e32 v9, 0xffff, v8
	v_or_b32_e32 v11, 0x10000, v8
	s_delay_alu instid0(VALU_DEP_2) | instskip(NEXT) | instid1(VALU_DEP_1)
	v_cmp_eq_u32_e64 s9, 0, v9
	v_cndmask_b32_e64 v11, v11, v8, s9
; %bb.4751:                             ;   in Loop: Header=BB450_3110 Depth=1
	s_or_b32 exec_lo, exec_lo, s23
	v_dual_mov_b32 v12, v7 :: v_dual_and_b32 v9, 0xff, v7
	v_mov_b32_e32 v8, 0
	s_mov_b32 s23, exec_lo
	s_delay_alu instid0(VALU_DEP_2)
	v_cmpx_ne_u16_e32 0, v9
	s_cbranch_execz .LBB450_4759
; %bb.4752:                             ;   in Loop: Header=BB450_3110 Depth=1
	v_bfrev_b32_e32 v8, 1
	s_mov_b32 s24, exec_lo
	v_cmpx_ne_u16_e32 0x80, v9
	s_cbranch_execz .LBB450_4758
; %bb.4753:                             ;   in Loop: Header=BB450_3110 Depth=1
	v_and_b32_e32 v9, 0x7f, v7
	v_mov_b32_e32 v8, 0x7f800001
	s_mov_b32 s25, exec_lo
	s_delay_alu instid0(VALU_DEP_2)
	v_cmpx_ne_u32_e32 0x7f, v9
	s_cbranch_execz .LBB450_4757
; %bb.4754:                             ;   in Loop: Header=BB450_3110 Depth=1
	v_lshrrev_b32_e32 v16, 3, v9
	v_cmp_gt_u32_e64 s9, 8, v9
	v_dual_mov_b32 v8, v12 :: v_dual_mov_b32 v9, v13
	s_delay_alu instid0(VALU_DEP_2)
	s_and_saveexec_b32 s26, s9
; %bb.4755:                             ;   in Loop: Header=BB450_3110 Depth=1
	v_and_b32_e32 v8, 7, v7
	s_delay_alu instid0(VALU_DEP_1) | instskip(NEXT) | instid1(VALU_DEP_1)
	v_clz_i32_u32_e32 v8, v8
	v_min_u32_e32 v16, 32, v8
	s_delay_alu instid0(VALU_DEP_1) | instskip(SKIP_1) | instid1(VALU_DEP_2)
	v_subrev_nc_u32_e32 v8, 28, v16
	v_sub_nc_u32_e32 v16, 29, v16
	v_lshlrev_b64 v[8:9], v8, v[12:13]
; %bb.4756:                             ;   in Loop: Header=BB450_3110 Depth=1
	s_or_b32 exec_lo, exec_lo, s26
	s_delay_alu instid0(VALU_DEP_1) | instskip(SKIP_2) | instid1(VALU_DEP_3)
	v_lshlrev_b32_e32 v8, 20, v8
	v_lshlrev_b32_e32 v9, 24, v12
	v_lshl_add_u32 v16, v16, 23, 0x3c000000
	v_and_b32_e32 v8, 0x700000, v8
	s_delay_alu instid0(VALU_DEP_3) | instskip(NEXT) | instid1(VALU_DEP_1)
	v_and_b32_e32 v9, 0x80000000, v9
	v_or3_b32 v8, v8, v9, v16
.LBB450_4757:                           ;   in Loop: Header=BB450_3110 Depth=1
	s_or_b32 exec_lo, exec_lo, s25
.LBB450_4758:                           ;   in Loop: Header=BB450_3110 Depth=1
	s_delay_alu instid0(SALU_CYCLE_1)
	s_or_b32 exec_lo, exec_lo, s24
.LBB450_4759:                           ;   in Loop: Header=BB450_3110 Depth=1
	s_delay_alu instid0(SALU_CYCLE_1) | instskip(NEXT) | instid1(VALU_DEP_1)
	s_or_b32 exec_lo, exec_lo, s23
	v_mul_f32_e32 v8, v160, v8
                                        ; implicit-def: $vgpr16
	s_delay_alu instid0(VALU_DEP_1) | instskip(NEXT) | instid1(VALU_DEP_1)
	v_and_b32_e32 v9, 0x7f800000, v8
	v_cmp_ne_u32_e64 s9, 0x7f800000, v9
	s_delay_alu instid0(VALU_DEP_1) | instskip(NEXT) | instid1(SALU_CYCLE_1)
	s_and_saveexec_b32 s23, s9
	s_xor_b32 s9, exec_lo, s23
; %bb.4760:                             ;   in Loop: Header=BB450_3110 Depth=1
	v_bfe_u32 v9, v8, 16, 1
	s_delay_alu instid0(VALU_DEP_1)
	v_add3_u32 v16, v8, v9, 0x7fff
                                        ; implicit-def: $vgpr8
; %bb.4761:                             ;   in Loop: Header=BB450_3110 Depth=1
	s_and_not1_saveexec_b32 s23, s9
; %bb.4762:                             ;   in Loop: Header=BB450_3110 Depth=1
	v_and_b32_e32 v9, 0xffff, v8
	v_or_b32_e32 v16, 0x10000, v8
	s_delay_alu instid0(VALU_DEP_2) | instskip(NEXT) | instid1(VALU_DEP_1)
	v_cmp_eq_u32_e64 s9, 0, v9
	v_cndmask_b32_e64 v16, v16, v8, s9
; %bb.4763:                             ;   in Loop: Header=BB450_3110 Depth=1
	s_or_b32 exec_lo, exec_lo, s23
	v_lshrrev_b16 v9, 8, v12
	v_mov_b32_e32 v8, 0
	s_mov_b32 s23, exec_lo
	s_delay_alu instid0(VALU_DEP_2)
	v_cmpx_ne_u16_e32 0, v9
	s_cbranch_execz .LBB450_4771
; %bb.4764:                             ;   in Loop: Header=BB450_3110 Depth=1
	v_bfrev_b32_e32 v8, 1
	s_mov_b32 s24, exec_lo
	v_cmpx_ne_u16_e32 0x80, v9
	s_cbranch_execz .LBB450_4770
; %bb.4765:                             ;   in Loop: Header=BB450_3110 Depth=1
	v_and_b32_e32 v9, 0xffff, v9
	v_mov_b32_e32 v8, 0x7f800001
	s_mov_b32 s25, exec_lo
	s_delay_alu instid0(VALU_DEP_2) | instskip(NEXT) | instid1(VALU_DEP_1)
	v_and_b32_e32 v19, 0x7f, v9
	v_cmpx_ne_u32_e32 0x7f, v19
	s_cbranch_execz .LBB450_4769
; %bb.4766:                             ;   in Loop: Header=BB450_3110 Depth=1
	v_dual_mov_b32 v9, v13 :: v_dual_and_b32 v8, 7, v9
	v_lshrrev_b32_e32 v18, 3, v19
	s_mov_b32 s26, exec_lo
	v_cmpx_gt_u32_e32 8, v19
; %bb.4767:                             ;   in Loop: Header=BB450_3110 Depth=1
	s_delay_alu instid0(VALU_DEP_3) | instskip(NEXT) | instid1(VALU_DEP_1)
	v_clz_i32_u32_e32 v18, v8
	v_min_u32_e32 v18, 32, v18
	s_delay_alu instid0(VALU_DEP_1) | instskip(SKIP_1) | instid1(VALU_DEP_2)
	v_subrev_nc_u32_e32 v19, 28, v18
	v_sub_nc_u32_e32 v18, 29, v18
	v_lshlrev_b64 v[8:9], v19, v[8:9]
	s_delay_alu instid0(VALU_DEP_1)
	v_and_b32_e32 v8, 7, v8
; %bb.4768:                             ;   in Loop: Header=BB450_3110 Depth=1
	s_or_b32 exec_lo, exec_lo, s26
	v_lshlrev_b32_e32 v9, 16, v12
	s_delay_alu instid0(VALU_DEP_2) | instskip(SKIP_1) | instid1(VALU_DEP_3)
	v_lshlrev_b32_e32 v8, 20, v8
	v_lshl_add_u32 v12, v18, 23, 0x3c000000
	v_and_b32_e32 v9, 0x80000000, v9
	s_delay_alu instid0(VALU_DEP_1)
	v_or3_b32 v8, v8, v9, v12
.LBB450_4769:                           ;   in Loop: Header=BB450_3110 Depth=1
	s_or_b32 exec_lo, exec_lo, s25
.LBB450_4770:                           ;   in Loop: Header=BB450_3110 Depth=1
	s_delay_alu instid0(SALU_CYCLE_1)
	s_or_b32 exec_lo, exec_lo, s24
.LBB450_4771:                           ;   in Loop: Header=BB450_3110 Depth=1
	s_delay_alu instid0(SALU_CYCLE_1) | instskip(NEXT) | instid1(VALU_DEP_1)
	s_or_b32 exec_lo, exec_lo, s23
	v_mul_f32_e32 v8, v160, v8
                                        ; implicit-def: $vgpr18
	s_delay_alu instid0(VALU_DEP_1) | instskip(NEXT) | instid1(VALU_DEP_1)
	v_and_b32_e32 v9, 0x7f800000, v8
	v_cmp_ne_u32_e64 s9, 0x7f800000, v9
	s_delay_alu instid0(VALU_DEP_1) | instskip(NEXT) | instid1(SALU_CYCLE_1)
	s_and_saveexec_b32 s23, s9
	s_xor_b32 s9, exec_lo, s23
; %bb.4772:                             ;   in Loop: Header=BB450_3110 Depth=1
	v_bfe_u32 v9, v8, 16, 1
	s_delay_alu instid0(VALU_DEP_1)
	v_add3_u32 v18, v8, v9, 0x7fff
                                        ; implicit-def: $vgpr8
; %bb.4773:                             ;   in Loop: Header=BB450_3110 Depth=1
	s_and_not1_saveexec_b32 s23, s9
; %bb.4774:                             ;   in Loop: Header=BB450_3110 Depth=1
	v_and_b32_e32 v9, 0xffff, v8
	v_or_b32_e32 v12, 0x10000, v8
	s_delay_alu instid0(VALU_DEP_2) | instskip(NEXT) | instid1(VALU_DEP_1)
	v_cmp_eq_u32_e64 s9, 0, v9
	v_cndmask_b32_e64 v18, v12, v8, s9
; %bb.4775:                             ;   in Loop: Header=BB450_3110 Depth=1
	s_or_b32 exec_lo, exec_lo, s23
	v_lshrrev_b32_e32 v19, 16, v7
	s_mov_b32 s23, exec_lo
	s_delay_alu instid0(VALU_DEP_1) | instskip(NEXT) | instid1(VALU_DEP_1)
	v_dual_mov_b32 v8, 0 :: v_dual_and_b32 v9, 0xff, v19
	v_cmpx_ne_u16_e32 0, v9
	s_cbranch_execz .LBB450_4783
; %bb.4776:                             ;   in Loop: Header=BB450_3110 Depth=1
	v_bfrev_b32_e32 v8, 1
	s_mov_b32 s24, exec_lo
	v_cmpx_ne_u16_e32 0x80, v9
	s_cbranch_execz .LBB450_4782
; %bb.4777:                             ;   in Loop: Header=BB450_3110 Depth=1
	v_bfe_u32 v9, v7, 16, 7
	v_mov_b32_e32 v8, 0x7f800001
	s_mov_b32 s25, exec_lo
	s_delay_alu instid0(VALU_DEP_2)
	v_cmpx_ne_u32_e32 0x7f, v9
	s_cbranch_execz .LBB450_4781
; %bb.4778:                             ;   in Loop: Header=BB450_3110 Depth=1
	v_and_b32_e32 v12, 7, v19
	v_lshrrev_b32_e32 v20, 3, v9
	v_cmp_gt_u32_e64 s9, 8, v9
	s_delay_alu instid0(VALU_DEP_3) | instskip(NEXT) | instid1(VALU_DEP_2)
	v_dual_mov_b32 v8, v12 :: v_dual_mov_b32 v9, v13
	s_and_saveexec_b32 s26, s9
; %bb.4779:                             ;   in Loop: Header=BB450_3110 Depth=1
	v_clz_i32_u32_e32 v8, v12
	s_delay_alu instid0(VALU_DEP_1) | instskip(NEXT) | instid1(VALU_DEP_1)
	v_min_u32_e32 v20, 32, v8
	v_subrev_nc_u32_e32 v8, 28, v20
	v_sub_nc_u32_e32 v20, 29, v20
	s_delay_alu instid0(VALU_DEP_2) | instskip(NEXT) | instid1(VALU_DEP_1)
	v_lshlrev_b64 v[8:9], v8, v[12:13]
	v_and_b32_e32 v8, 7, v8
; %bb.4780:                             ;   in Loop: Header=BB450_3110 Depth=1
	s_or_b32 exec_lo, exec_lo, s26
	v_lshlrev_b32_e32 v9, 24, v19
	s_delay_alu instid0(VALU_DEP_2) | instskip(SKIP_1) | instid1(VALU_DEP_3)
	v_lshlrev_b32_e32 v8, 20, v8
	v_lshl_add_u32 v12, v20, 23, 0x3c000000
	v_and_b32_e32 v9, 0x80000000, v9
	s_delay_alu instid0(VALU_DEP_1)
	v_or3_b32 v8, v8, v9, v12
.LBB450_4781:                           ;   in Loop: Header=BB450_3110 Depth=1
	s_or_b32 exec_lo, exec_lo, s25
.LBB450_4782:                           ;   in Loop: Header=BB450_3110 Depth=1
	s_delay_alu instid0(SALU_CYCLE_1)
	s_or_b32 exec_lo, exec_lo, s24
.LBB450_4783:                           ;   in Loop: Header=BB450_3110 Depth=1
	s_delay_alu instid0(SALU_CYCLE_1) | instskip(NEXT) | instid1(VALU_DEP_1)
	s_or_b32 exec_lo, exec_lo, s23
	v_mul_f32_e32 v8, v160, v8
	s_delay_alu instid0(VALU_DEP_1) | instskip(NEXT) | instid1(VALU_DEP_1)
	v_and_b32_e32 v9, 0x7f800000, v8
	v_cmp_ne_u32_e64 s9, 0x7f800000, v9
                                        ; implicit-def: $vgpr9
	s_delay_alu instid0(VALU_DEP_1) | instskip(NEXT) | instid1(SALU_CYCLE_1)
	s_and_saveexec_b32 s23, s9
	s_xor_b32 s9, exec_lo, s23
; %bb.4784:                             ;   in Loop: Header=BB450_3110 Depth=1
	v_bfe_u32 v9, v8, 16, 1
	s_delay_alu instid0(VALU_DEP_1)
	v_add3_u32 v9, v8, v9, 0x7fff
                                        ; implicit-def: $vgpr8
; %bb.4785:                             ;   in Loop: Header=BB450_3110 Depth=1
	s_and_not1_saveexec_b32 s23, s9
; %bb.4786:                             ;   in Loop: Header=BB450_3110 Depth=1
	v_and_b32_e32 v9, 0xffff, v8
	v_or_b32_e32 v12, 0x10000, v8
	s_delay_alu instid0(VALU_DEP_2) | instskip(NEXT) | instid1(VALU_DEP_1)
	v_cmp_eq_u32_e64 s9, 0, v9
	v_cndmask_b32_e64 v9, v12, v8, s9
; %bb.4787:                             ;   in Loop: Header=BB450_3110 Depth=1
	s_or_b32 exec_lo, exec_lo, s23
	v_cmp_lt_u64_e64 s9, s[18:19], v[6:7]
	v_mov_b32_e32 v6, 0
	s_delay_alu instid0(VALU_DEP_2)
	s_and_saveexec_b32 s23, s9
	s_cbranch_execz .LBB450_4795
; %bb.4788:                             ;   in Loop: Header=BB450_3110 Depth=1
	v_lshrrev_b32_e32 v8, 24, v7
	v_bfrev_b32_e32 v6, 1
	s_mov_b32 s24, exec_lo
	s_delay_alu instid0(VALU_DEP_2)
	v_cmpx_ne_u32_e32 0x80, v8
	s_cbranch_execz .LBB450_4794
; %bb.4789:                             ;   in Loop: Header=BB450_3110 Depth=1
	v_bfe_u32 v7, v7, 24, 7
	v_mov_b32_e32 v6, 0x7f800001
	s_mov_b32 s25, exec_lo
	s_delay_alu instid0(VALU_DEP_2)
	v_cmpx_ne_u32_e32 0x7f, v7
	s_cbranch_execz .LBB450_4793
; %bb.4790:                             ;   in Loop: Header=BB450_3110 Depth=1
	v_and_b32_e32 v12, 7, v8
	v_lshrrev_b32_e32 v19, 3, v7
	v_cmp_gt_u32_e64 s9, 8, v7
	s_delay_alu instid0(VALU_DEP_3) | instskip(NEXT) | instid1(VALU_DEP_2)
	v_dual_mov_b32 v6, v12 :: v_dual_mov_b32 v7, v13
	s_and_saveexec_b32 s26, s9
; %bb.4791:                             ;   in Loop: Header=BB450_3110 Depth=1
	v_clz_i32_u32_e32 v6, v12
	s_delay_alu instid0(VALU_DEP_1) | instskip(NEXT) | instid1(VALU_DEP_1)
	v_min_u32_e32 v19, 32, v6
	v_subrev_nc_u32_e32 v6, 28, v19
	v_sub_nc_u32_e32 v19, 29, v19
	s_delay_alu instid0(VALU_DEP_2) | instskip(NEXT) | instid1(VALU_DEP_1)
	v_lshlrev_b64 v[6:7], v6, v[12:13]
	v_and_b32_e32 v6, 7, v6
; %bb.4792:                             ;   in Loop: Header=BB450_3110 Depth=1
	s_or_b32 exec_lo, exec_lo, s26
	v_lshlrev_b32_e32 v7, 24, v8
	s_delay_alu instid0(VALU_DEP_2) | instskip(SKIP_1) | instid1(VALU_DEP_3)
	v_lshlrev_b32_e32 v6, 20, v6
	v_lshl_add_u32 v8, v19, 23, 0x3c000000
	v_and_b32_e32 v7, 0x80000000, v7
	s_delay_alu instid0(VALU_DEP_1)
	v_or3_b32 v6, v6, v7, v8
.LBB450_4793:                           ;   in Loop: Header=BB450_3110 Depth=1
	s_or_b32 exec_lo, exec_lo, s25
.LBB450_4794:                           ;   in Loop: Header=BB450_3110 Depth=1
	s_delay_alu instid0(SALU_CYCLE_1)
	s_or_b32 exec_lo, exec_lo, s24
.LBB450_4795:                           ;   in Loop: Header=BB450_3110 Depth=1
	s_delay_alu instid0(SALU_CYCLE_1) | instskip(NEXT) | instid1(VALU_DEP_1)
	s_or_b32 exec_lo, exec_lo, s23
	v_mul_f32_e32 v6, v160, v6
                                        ; implicit-def: $vgpr19
	s_delay_alu instid0(VALU_DEP_1) | instskip(NEXT) | instid1(VALU_DEP_1)
	v_and_b32_e32 v7, 0x7f800000, v6
	v_cmp_ne_u32_e64 s9, 0x7f800000, v7
	s_delay_alu instid0(VALU_DEP_1) | instskip(NEXT) | instid1(SALU_CYCLE_1)
	s_and_saveexec_b32 s23, s9
	s_xor_b32 s9, exec_lo, s23
; %bb.4796:                             ;   in Loop: Header=BB450_3110 Depth=1
	v_bfe_u32 v7, v6, 16, 1
	s_delay_alu instid0(VALU_DEP_1)
	v_add3_u32 v19, v6, v7, 0x7fff
                                        ; implicit-def: $vgpr6
; %bb.4797:                             ;   in Loop: Header=BB450_3110 Depth=1
	s_and_not1_saveexec_b32 s23, s9
; %bb.4798:                             ;   in Loop: Header=BB450_3110 Depth=1
	v_and_b32_e32 v7, 0xffff, v6
	v_or_b32_e32 v8, 0x10000, v6
	s_delay_alu instid0(VALU_DEP_2) | instskip(NEXT) | instid1(VALU_DEP_1)
	v_cmp_eq_u32_e64 s9, 0, v7
	v_cndmask_b32_e64 v19, v8, v6, s9
; %bb.4799:                             ;   in Loop: Header=BB450_3110 Depth=1
	s_or_b32 exec_lo, exec_lo, s23
	v_lshrrev_b32_e32 v6, 16, v18
	v_lshrrev_b32_e32 v7, 16, v16
	;; [unrolled: 1-line block ×8, first 2 shown]
	s_and_saveexec_b32 s9, s1
; %bb.4800:                             ;   in Loop: Header=BB450_3110 Depth=1
	s_delay_alu instid0(VALU_DEP_3)
	v_cndmask_b32_e32 v12, 0, v12, vcc_lo
	v_cndmask_b32_e64 v11, 0, v11, s2
	v_cndmask_b32_e64 v10, 0, v10, s3
	;; [unrolled: 1-line block ×7, first 2 shown]
; %bb.4801:                             ;   in Loop: Header=BB450_3110 Depth=1
	s_or_b32 exec_lo, exec_lo, s9
	v_lshlrev_b32_e32 v9, 16, v12
                                        ; implicit-def: $vgpr188
	s_delay_alu instid0(VALU_DEP_1) | instskip(NEXT) | instid1(VALU_DEP_1)
	v_mul_f32_e32 v9, v161, v9
	v_and_b32_e32 v12, 0x7f800000, v9
	s_delay_alu instid0(VALU_DEP_1) | instskip(NEXT) | instid1(VALU_DEP_1)
	v_cmp_ne_u32_e64 s9, 0x7f800000, v12
	s_and_saveexec_b32 s23, s9
	s_delay_alu instid0(SALU_CYCLE_1)
	s_xor_b32 s9, exec_lo, s23
; %bb.4802:                             ;   in Loop: Header=BB450_3110 Depth=1
	v_bfe_u32 v12, v9, 16, 1
	s_delay_alu instid0(VALU_DEP_1)
	v_add3_u32 v188, v9, v12, 0x7fff
                                        ; implicit-def: $vgpr9
; %bb.4803:                             ;   in Loop: Header=BB450_3110 Depth=1
	s_and_not1_saveexec_b32 s23, s9
; %bb.4804:                             ;   in Loop: Header=BB450_3110 Depth=1
	v_and_b32_e32 v12, 0xffff, v9
	v_or_b32_e32 v16, 0x10000, v9
	s_delay_alu instid0(VALU_DEP_2) | instskip(NEXT) | instid1(VALU_DEP_1)
	v_cmp_eq_u32_e64 s9, 0, v12
	v_cndmask_b32_e64 v188, v16, v9, s9
; %bb.4805:                             ;   in Loop: Header=BB450_3110 Depth=1
	s_or_b32 exec_lo, exec_lo, s23
	v_lshlrev_b32_e32 v9, 16, v11
                                        ; implicit-def: $vgpr189
	s_delay_alu instid0(VALU_DEP_1) | instskip(NEXT) | instid1(VALU_DEP_1)
	v_mul_f32_e32 v9, v162, v9
	v_and_b32_e32 v11, 0x7f800000, v9
	s_delay_alu instid0(VALU_DEP_1) | instskip(NEXT) | instid1(VALU_DEP_1)
	v_cmp_ne_u32_e64 s9, 0x7f800000, v11
	s_and_saveexec_b32 s23, s9
	s_delay_alu instid0(SALU_CYCLE_1)
	s_xor_b32 s9, exec_lo, s23
; %bb.4806:                             ;   in Loop: Header=BB450_3110 Depth=1
	v_bfe_u32 v11, v9, 16, 1
	s_delay_alu instid0(VALU_DEP_1)
	v_add3_u32 v189, v9, v11, 0x7fff
                                        ; implicit-def: $vgpr9
; %bb.4807:                             ;   in Loop: Header=BB450_3110 Depth=1
	s_and_not1_saveexec_b32 s23, s9
; %bb.4808:                             ;   in Loop: Header=BB450_3110 Depth=1
	v_and_b32_e32 v11, 0xffff, v9
	v_or_b32_e32 v12, 0x10000, v9
	s_delay_alu instid0(VALU_DEP_2) | instskip(NEXT) | instid1(VALU_DEP_1)
	v_cmp_eq_u32_e64 s9, 0, v11
	v_cndmask_b32_e64 v189, v12, v9, s9
; %bb.4809:                             ;   in Loop: Header=BB450_3110 Depth=1
	s_or_b32 exec_lo, exec_lo, s23
	v_lshlrev_b32_e32 v9, 16, v10
                                        ; implicit-def: $vgpr190
	s_delay_alu instid0(VALU_DEP_1) | instskip(NEXT) | instid1(VALU_DEP_1)
	v_mul_f32_e32 v9, v163, v9
	v_and_b32_e32 v10, 0x7f800000, v9
	s_delay_alu instid0(VALU_DEP_1) | instskip(NEXT) | instid1(VALU_DEP_1)
	v_cmp_ne_u32_e64 s9, 0x7f800000, v10
	s_and_saveexec_b32 s23, s9
	s_delay_alu instid0(SALU_CYCLE_1)
	s_xor_b32 s9, exec_lo, s23
; %bb.4810:                             ;   in Loop: Header=BB450_3110 Depth=1
	v_bfe_u32 v10, v9, 16, 1
	s_delay_alu instid0(VALU_DEP_1)
	v_add3_u32 v190, v9, v10, 0x7fff
                                        ; implicit-def: $vgpr9
; %bb.4811:                             ;   in Loop: Header=BB450_3110 Depth=1
	s_and_not1_saveexec_b32 s23, s9
; %bb.4812:                             ;   in Loop: Header=BB450_3110 Depth=1
	v_and_b32_e32 v10, 0xffff, v9
	v_or_b32_e32 v11, 0x10000, v9
	s_delay_alu instid0(VALU_DEP_2) | instskip(NEXT) | instid1(VALU_DEP_1)
	v_cmp_eq_u32_e64 s9, 0, v10
	v_cndmask_b32_e64 v190, v11, v9, s9
; %bb.4813:                             ;   in Loop: Header=BB450_3110 Depth=1
	s_or_b32 exec_lo, exec_lo, s23
	v_lshlrev_b32_e32 v8, 16, v8
                                        ; implicit-def: $vgpr191
	s_delay_alu instid0(VALU_DEP_1) | instskip(NEXT) | instid1(VALU_DEP_1)
	v_mul_f32_e32 v8, v164, v8
	v_and_b32_e32 v9, 0x7f800000, v8
	s_delay_alu instid0(VALU_DEP_1) | instskip(NEXT) | instid1(VALU_DEP_1)
	v_cmp_ne_u32_e64 s9, 0x7f800000, v9
	s_and_saveexec_b32 s23, s9
	s_delay_alu instid0(SALU_CYCLE_1)
	s_xor_b32 s9, exec_lo, s23
; %bb.4814:                             ;   in Loop: Header=BB450_3110 Depth=1
	v_bfe_u32 v9, v8, 16, 1
	s_delay_alu instid0(VALU_DEP_1)
	v_add3_u32 v191, v8, v9, 0x7fff
                                        ; implicit-def: $vgpr8
; %bb.4815:                             ;   in Loop: Header=BB450_3110 Depth=1
	s_and_not1_saveexec_b32 s23, s9
; %bb.4816:                             ;   in Loop: Header=BB450_3110 Depth=1
	v_and_b32_e32 v9, 0xffff, v8
	v_or_b32_e32 v10, 0x10000, v8
	s_delay_alu instid0(VALU_DEP_2) | instskip(NEXT) | instid1(VALU_DEP_1)
	v_cmp_eq_u32_e64 s9, 0, v9
	v_cndmask_b32_e64 v191, v10, v8, s9
; %bb.4817:                             ;   in Loop: Header=BB450_3110 Depth=1
	s_or_b32 exec_lo, exec_lo, s23
	v_lshlrev_b32_e32 v7, 16, v7
                                        ; implicit-def: $vgpr19
	s_delay_alu instid0(VALU_DEP_1) | instskip(NEXT) | instid1(VALU_DEP_1)
	v_mul_f32_e32 v7, v165, v7
	v_and_b32_e32 v8, 0x7f800000, v7
	s_delay_alu instid0(VALU_DEP_1) | instskip(NEXT) | instid1(VALU_DEP_1)
	v_cmp_ne_u32_e64 s9, 0x7f800000, v8
	s_and_saveexec_b32 s23, s9
	s_delay_alu instid0(SALU_CYCLE_1)
	s_xor_b32 s9, exec_lo, s23
; %bb.4818:                             ;   in Loop: Header=BB450_3110 Depth=1
	v_bfe_u32 v8, v7, 16, 1
	s_delay_alu instid0(VALU_DEP_1)
	v_add3_u32 v19, v7, v8, 0x7fff
                                        ; implicit-def: $vgpr7
; %bb.4819:                             ;   in Loop: Header=BB450_3110 Depth=1
	s_and_not1_saveexec_b32 s23, s9
; %bb.4820:                             ;   in Loop: Header=BB450_3110 Depth=1
	v_and_b32_e32 v8, 0xffff, v7
	v_or_b32_e32 v9, 0x10000, v7
	s_delay_alu instid0(VALU_DEP_2) | instskip(NEXT) | instid1(VALU_DEP_1)
	v_cmp_eq_u32_e64 s9, 0, v8
	v_cndmask_b32_e64 v19, v9, v7, s9
; %bb.4821:                             ;   in Loop: Header=BB450_3110 Depth=1
	s_or_b32 exec_lo, exec_lo, s23
	v_lshlrev_b32_e32 v6, 16, v6
                                        ; implicit-def: $vgpr100
	s_delay_alu instid0(VALU_DEP_1) | instskip(NEXT) | instid1(VALU_DEP_1)
	v_mul_f32_e32 v6, v166, v6
	v_and_b32_e32 v7, 0x7f800000, v6
	s_delay_alu instid0(VALU_DEP_1) | instskip(NEXT) | instid1(VALU_DEP_1)
	v_cmp_ne_u32_e64 s9, 0x7f800000, v7
	s_and_saveexec_b32 s23, s9
	s_delay_alu instid0(SALU_CYCLE_1)
	s_xor_b32 s9, exec_lo, s23
; %bb.4822:                             ;   in Loop: Header=BB450_3110 Depth=1
	v_bfe_u32 v7, v6, 16, 1
	s_delay_alu instid0(VALU_DEP_1)
	v_add3_u32 v100, v6, v7, 0x7fff
                                        ; implicit-def: $vgpr6
; %bb.4823:                             ;   in Loop: Header=BB450_3110 Depth=1
	s_and_not1_saveexec_b32 s23, s9
; %bb.4824:                             ;   in Loop: Header=BB450_3110 Depth=1
	v_and_b32_e32 v7, 0xffff, v6
	v_or_b32_e32 v8, 0x10000, v6
	s_delay_alu instid0(VALU_DEP_2) | instskip(NEXT) | instid1(VALU_DEP_1)
	v_cmp_eq_u32_e64 s9, 0, v7
	v_cndmask_b32_e64 v100, v8, v6, s9
; %bb.4825:                             ;   in Loop: Header=BB450_3110 Depth=1
	s_or_b32 exec_lo, exec_lo, s23
	v_lshlrev_b32_e32 v5, 16, v5
                                        ; implicit-def: $vgpr18
	s_delay_alu instid0(VALU_DEP_1) | instskip(NEXT) | instid1(VALU_DEP_1)
	v_mul_f32_e32 v5, v167, v5
	v_and_b32_e32 v6, 0x7f800000, v5
	s_delay_alu instid0(VALU_DEP_1) | instskip(NEXT) | instid1(VALU_DEP_1)
	v_cmp_ne_u32_e64 s9, 0x7f800000, v6
	s_and_saveexec_b32 s23, s9
	s_delay_alu instid0(SALU_CYCLE_1)
	s_xor_b32 s9, exec_lo, s23
; %bb.4826:                             ;   in Loop: Header=BB450_3110 Depth=1
	v_bfe_u32 v6, v5, 16, 1
	s_delay_alu instid0(VALU_DEP_1)
	v_add3_u32 v18, v5, v6, 0x7fff
                                        ; implicit-def: $vgpr5
; %bb.4827:                             ;   in Loop: Header=BB450_3110 Depth=1
	s_and_not1_saveexec_b32 s23, s9
; %bb.4828:                             ;   in Loop: Header=BB450_3110 Depth=1
	v_and_b32_e32 v6, 0xffff, v5
	v_or_b32_e32 v7, 0x10000, v5
	s_delay_alu instid0(VALU_DEP_2) | instskip(NEXT) | instid1(VALU_DEP_1)
	v_cmp_eq_u32_e64 s9, 0, v6
	v_cndmask_b32_e64 v18, v7, v5, s9
; %bb.4829:                             ;   in Loop: Header=BB450_3110 Depth=1
	s_or_b32 exec_lo, exec_lo, s23
	v_lshlrev_b32_e32 v4, 16, v4
                                        ; implicit-def: $vgpr102
	s_delay_alu instid0(VALU_DEP_1) | instskip(NEXT) | instid1(VALU_DEP_1)
	v_mul_f32_e32 v4, v176, v4
	v_and_b32_e32 v5, 0x7f800000, v4
	s_delay_alu instid0(VALU_DEP_1) | instskip(NEXT) | instid1(VALU_DEP_1)
	v_cmp_ne_u32_e64 s9, 0x7f800000, v5
	s_and_saveexec_b32 s23, s9
	s_delay_alu instid0(SALU_CYCLE_1)
	s_xor_b32 s9, exec_lo, s23
; %bb.4830:                             ;   in Loop: Header=BB450_3110 Depth=1
	v_bfe_u32 v5, v4, 16, 1
	s_delay_alu instid0(VALU_DEP_1)
	v_add3_u32 v102, v4, v5, 0x7fff
                                        ; implicit-def: $vgpr4
; %bb.4831:                             ;   in Loop: Header=BB450_3110 Depth=1
	s_and_not1_saveexec_b32 s23, s9
; %bb.4832:                             ;   in Loop: Header=BB450_3110 Depth=1
	v_and_b32_e32 v5, 0xffff, v4
	v_or_b32_e32 v6, 0x10000, v4
	s_delay_alu instid0(VALU_DEP_2) | instskip(NEXT) | instid1(VALU_DEP_1)
	v_cmp_eq_u32_e64 s9, 0, v5
	v_cndmask_b32_e64 v102, v6, v4, s9
; %bb.4833:                             ;   in Loop: Header=BB450_3110 Depth=1
	s_or_b32 exec_lo, exec_lo, s23
	flat_load_b64 v[6:7], v[2:3] offset:3328
	s_mov_b32 s23, exec_lo
	s_waitcnt vmcnt(0) lgkmcnt(0)
	v_dual_mov_b32 v4, 0 :: v_dual_and_b32 v5, 0xff, v6
	s_delay_alu instid0(VALU_DEP_1)
	v_cmpx_ne_u16_e32 0, v5
	s_cbranch_execz .LBB450_4841
; %bb.4834:                             ;   in Loop: Header=BB450_3110 Depth=1
	v_bfrev_b32_e32 v4, 1
	s_mov_b32 s24, exec_lo
	v_cmpx_ne_u16_e32 0x80, v5
	s_cbranch_execz .LBB450_4840
; %bb.4835:                             ;   in Loop: Header=BB450_3110 Depth=1
	v_and_b32_e32 v5, 0x7f, v6
	v_mov_b32_e32 v4, 0x7f800001
	s_mov_b32 s25, exec_lo
	s_delay_alu instid0(VALU_DEP_2)
	v_cmpx_ne_u32_e32 0x7f, v5
	s_cbranch_execz .LBB450_4839
; %bb.4836:                             ;   in Loop: Header=BB450_3110 Depth=1
	v_lshrrev_b32_e32 v4, 3, v5
	v_dual_mov_b32 v9, v7 :: v_dual_mov_b32 v8, v6
	s_mov_b32 s26, exec_lo
	v_cmpx_gt_u32_e32 8, v5
; %bb.4837:                             ;   in Loop: Header=BB450_3110 Depth=1
	v_and_b32_e32 v4, 7, v6
	s_delay_alu instid0(VALU_DEP_1) | instskip(NEXT) | instid1(VALU_DEP_1)
	v_clz_i32_u32_e32 v4, v4
	v_min_u32_e32 v4, 32, v4
	s_delay_alu instid0(VALU_DEP_1) | instskip(SKIP_1) | instid1(VALU_DEP_2)
	v_subrev_nc_u32_e32 v5, 28, v4
	v_sub_nc_u32_e32 v4, 29, v4
	v_lshlrev_b64 v[8:9], v5, v[6:7]
; %bb.4838:                             ;   in Loop: Header=BB450_3110 Depth=1
	s_or_b32 exec_lo, exec_lo, s26
	s_delay_alu instid0(VALU_DEP_1) | instskip(SKIP_2) | instid1(VALU_DEP_3)
	v_lshlrev_b32_e32 v5, 20, v8
	v_lshlrev_b32_e32 v8, 24, v6
	v_lshl_add_u32 v4, v4, 23, 0x3c000000
	v_and_b32_e32 v5, 0x700000, v5
	s_delay_alu instid0(VALU_DEP_3) | instskip(NEXT) | instid1(VALU_DEP_1)
	v_and_b32_e32 v8, 0x80000000, v8
	v_or3_b32 v4, v5, v8, v4
.LBB450_4839:                           ;   in Loop: Header=BB450_3110 Depth=1
	s_or_b32 exec_lo, exec_lo, s25
.LBB450_4840:                           ;   in Loop: Header=BB450_3110 Depth=1
	s_delay_alu instid0(SALU_CYCLE_1)
	s_or_b32 exec_lo, exec_lo, s24
.LBB450_4841:                           ;   in Loop: Header=BB450_3110 Depth=1
	s_delay_alu instid0(SALU_CYCLE_1) | instskip(NEXT) | instid1(VALU_DEP_1)
	s_or_b32 exec_lo, exec_lo, s23
	v_mul_f32_e32 v5, v160, v4
	s_delay_alu instid0(VALU_DEP_1) | instskip(NEXT) | instid1(VALU_DEP_1)
	v_and_b32_e32 v4, 0x7f800000, v5
	v_cmp_ne_u32_e64 s9, 0x7f800000, v4
                                        ; implicit-def: $vgpr4
	s_delay_alu instid0(VALU_DEP_1) | instskip(NEXT) | instid1(SALU_CYCLE_1)
	s_and_saveexec_b32 s23, s9
	s_xor_b32 s9, exec_lo, s23
; %bb.4842:                             ;   in Loop: Header=BB450_3110 Depth=1
	v_bfe_u32 v4, v5, 16, 1
	s_delay_alu instid0(VALU_DEP_1)
	v_add3_u32 v4, v5, v4, 0x7fff
                                        ; implicit-def: $vgpr5
; %bb.4843:                             ;   in Loop: Header=BB450_3110 Depth=1
	s_and_not1_saveexec_b32 s23, s9
; %bb.4844:                             ;   in Loop: Header=BB450_3110 Depth=1
	v_and_b32_e32 v4, 0xffff, v5
	v_or_b32_e32 v8, 0x10000, v5
	s_delay_alu instid0(VALU_DEP_2) | instskip(NEXT) | instid1(VALU_DEP_1)
	v_cmp_eq_u32_e64 s9, 0, v4
	v_cndmask_b32_e64 v4, v8, v5, s9
; %bb.4845:                             ;   in Loop: Header=BB450_3110 Depth=1
	s_or_b32 exec_lo, exec_lo, s23
	v_lshrrev_b16 v8, 8, v6
	v_mov_b32_e32 v5, 0
	s_mov_b32 s23, exec_lo
	s_delay_alu instid0(VALU_DEP_2)
	v_cmpx_ne_u16_e32 0, v8
	s_cbranch_execz .LBB450_4853
; %bb.4846:                             ;   in Loop: Header=BB450_3110 Depth=1
	v_bfrev_b32_e32 v5, 1
	s_mov_b32 s24, exec_lo
	v_cmpx_ne_u16_e32 0x80, v8
	s_cbranch_execz .LBB450_4852
; %bb.4847:                             ;   in Loop: Header=BB450_3110 Depth=1
	v_and_b32_e32 v9, 0xffff, v8
	v_mov_b32_e32 v5, 0x7f800001
	s_mov_b32 s25, exec_lo
	s_delay_alu instid0(VALU_DEP_2) | instskip(NEXT) | instid1(VALU_DEP_1)
	v_and_b32_e32 v8, 0x7f, v9
	v_cmpx_ne_u32_e32 0x7f, v8
	s_cbranch_execz .LBB450_4851
; %bb.4848:                             ;   in Loop: Header=BB450_3110 Depth=1
	v_and_b32_e32 v12, 7, v9
	v_lshrrev_b32_e32 v5, 3, v8
	v_cmp_gt_u32_e64 s9, 8, v8
	s_delay_alu instid0(VALU_DEP_3) | instskip(NEXT) | instid1(VALU_DEP_2)
	v_dual_mov_b32 v8, v12 :: v_dual_mov_b32 v9, v13
	s_and_saveexec_b32 s26, s9
; %bb.4849:                             ;   in Loop: Header=BB450_3110 Depth=1
	v_clz_i32_u32_e32 v5, v12
	s_delay_alu instid0(VALU_DEP_1) | instskip(NEXT) | instid1(VALU_DEP_1)
	v_min_u32_e32 v5, 32, v5
	v_subrev_nc_u32_e32 v8, 28, v5
	v_sub_nc_u32_e32 v5, 29, v5
	s_delay_alu instid0(VALU_DEP_2) | instskip(NEXT) | instid1(VALU_DEP_1)
	v_lshlrev_b64 v[8:9], v8, v[12:13]
	v_and_b32_e32 v8, 7, v8
; %bb.4850:                             ;   in Loop: Header=BB450_3110 Depth=1
	s_or_b32 exec_lo, exec_lo, s26
	v_lshlrev_b32_e32 v9, 16, v6
	s_delay_alu instid0(VALU_DEP_2) | instskip(SKIP_1) | instid1(VALU_DEP_3)
	v_lshlrev_b32_e32 v8, 20, v8
	v_lshl_add_u32 v5, v5, 23, 0x3c000000
	v_and_b32_e32 v9, 0x80000000, v9
	s_delay_alu instid0(VALU_DEP_1)
	v_or3_b32 v5, v8, v9, v5
.LBB450_4851:                           ;   in Loop: Header=BB450_3110 Depth=1
	s_or_b32 exec_lo, exec_lo, s25
.LBB450_4852:                           ;   in Loop: Header=BB450_3110 Depth=1
	s_delay_alu instid0(SALU_CYCLE_1)
	s_or_b32 exec_lo, exec_lo, s24
.LBB450_4853:                           ;   in Loop: Header=BB450_3110 Depth=1
	s_delay_alu instid0(SALU_CYCLE_1) | instskip(NEXT) | instid1(VALU_DEP_1)
	s_or_b32 exec_lo, exec_lo, s23
	v_mul_f32_e32 v8, v160, v5
	s_delay_alu instid0(VALU_DEP_1) | instskip(NEXT) | instid1(VALU_DEP_1)
	v_and_b32_e32 v5, 0x7f800000, v8
	v_cmp_ne_u32_e64 s9, 0x7f800000, v5
                                        ; implicit-def: $vgpr5
	s_delay_alu instid0(VALU_DEP_1) | instskip(NEXT) | instid1(SALU_CYCLE_1)
	s_and_saveexec_b32 s23, s9
	s_xor_b32 s9, exec_lo, s23
; %bb.4854:                             ;   in Loop: Header=BB450_3110 Depth=1
	v_bfe_u32 v5, v8, 16, 1
	s_delay_alu instid0(VALU_DEP_1)
	v_add3_u32 v5, v8, v5, 0x7fff
                                        ; implicit-def: $vgpr8
; %bb.4855:                             ;   in Loop: Header=BB450_3110 Depth=1
	s_and_not1_saveexec_b32 s23, s9
; %bb.4856:                             ;   in Loop: Header=BB450_3110 Depth=1
	v_and_b32_e32 v5, 0xffff, v8
	v_or_b32_e32 v9, 0x10000, v8
	s_delay_alu instid0(VALU_DEP_2) | instskip(NEXT) | instid1(VALU_DEP_1)
	v_cmp_eq_u32_e64 s9, 0, v5
	v_cndmask_b32_e64 v5, v9, v8, s9
; %bb.4857:                             ;   in Loop: Header=BB450_3110 Depth=1
	s_or_b32 exec_lo, exec_lo, s23
	v_lshrrev_b32_e32 v10, 16, v6
	s_mov_b32 s23, exec_lo
	s_delay_alu instid0(VALU_DEP_1) | instskip(NEXT) | instid1(VALU_DEP_1)
	v_dual_mov_b32 v8, 0 :: v_dual_and_b32 v9, 0xff, v10
	v_cmpx_ne_u16_e32 0, v9
	s_cbranch_execz .LBB450_4865
; %bb.4858:                             ;   in Loop: Header=BB450_3110 Depth=1
	v_bfrev_b32_e32 v8, 1
	s_mov_b32 s24, exec_lo
	v_cmpx_ne_u16_e32 0x80, v9
	s_cbranch_execz .LBB450_4864
; %bb.4859:                             ;   in Loop: Header=BB450_3110 Depth=1
	v_bfe_u32 v9, v6, 16, 7
	v_mov_b32_e32 v8, 0x7f800001
	s_mov_b32 s25, exec_lo
	s_delay_alu instid0(VALU_DEP_2)
	v_cmpx_ne_u32_e32 0x7f, v9
	s_cbranch_execz .LBB450_4863
; %bb.4860:                             ;   in Loop: Header=BB450_3110 Depth=1
	v_and_b32_e32 v12, 7, v10
	v_lshrrev_b32_e32 v11, 3, v9
	v_cmp_gt_u32_e64 s9, 8, v9
	s_delay_alu instid0(VALU_DEP_3) | instskip(NEXT) | instid1(VALU_DEP_2)
	v_dual_mov_b32 v8, v12 :: v_dual_mov_b32 v9, v13
	s_and_saveexec_b32 s26, s9
; %bb.4861:                             ;   in Loop: Header=BB450_3110 Depth=1
	v_clz_i32_u32_e32 v8, v12
	s_delay_alu instid0(VALU_DEP_1) | instskip(NEXT) | instid1(VALU_DEP_1)
	v_min_u32_e32 v11, 32, v8
	v_subrev_nc_u32_e32 v8, 28, v11
	v_sub_nc_u32_e32 v11, 29, v11
	s_delay_alu instid0(VALU_DEP_2) | instskip(NEXT) | instid1(VALU_DEP_1)
	v_lshlrev_b64 v[8:9], v8, v[12:13]
	v_and_b32_e32 v8, 7, v8
; %bb.4862:                             ;   in Loop: Header=BB450_3110 Depth=1
	s_or_b32 exec_lo, exec_lo, s26
	v_lshlrev_b32_e32 v9, 24, v10
	s_delay_alu instid0(VALU_DEP_2) | instskip(SKIP_1) | instid1(VALU_DEP_3)
	v_lshlrev_b32_e32 v8, 20, v8
	v_lshl_add_u32 v10, v11, 23, 0x3c000000
	v_and_b32_e32 v9, 0x80000000, v9
	s_delay_alu instid0(VALU_DEP_1)
	v_or3_b32 v8, v8, v9, v10
.LBB450_4863:                           ;   in Loop: Header=BB450_3110 Depth=1
	s_or_b32 exec_lo, exec_lo, s25
.LBB450_4864:                           ;   in Loop: Header=BB450_3110 Depth=1
	s_delay_alu instid0(SALU_CYCLE_1)
	s_or_b32 exec_lo, exec_lo, s24
.LBB450_4865:                           ;   in Loop: Header=BB450_3110 Depth=1
	s_delay_alu instid0(SALU_CYCLE_1) | instskip(NEXT) | instid1(VALU_DEP_1)
	s_or_b32 exec_lo, exec_lo, s23
	v_mul_f32_e32 v8, v160, v8
                                        ; implicit-def: $vgpr10
	s_delay_alu instid0(VALU_DEP_1) | instskip(NEXT) | instid1(VALU_DEP_1)
	v_and_b32_e32 v9, 0x7f800000, v8
	v_cmp_ne_u32_e64 s9, 0x7f800000, v9
	s_delay_alu instid0(VALU_DEP_1) | instskip(NEXT) | instid1(SALU_CYCLE_1)
	s_and_saveexec_b32 s23, s9
	s_xor_b32 s9, exec_lo, s23
; %bb.4866:                             ;   in Loop: Header=BB450_3110 Depth=1
	v_bfe_u32 v9, v8, 16, 1
	s_delay_alu instid0(VALU_DEP_1)
	v_add3_u32 v10, v8, v9, 0x7fff
                                        ; implicit-def: $vgpr8
; %bb.4867:                             ;   in Loop: Header=BB450_3110 Depth=1
	s_and_not1_saveexec_b32 s23, s9
; %bb.4868:                             ;   in Loop: Header=BB450_3110 Depth=1
	v_and_b32_e32 v9, 0xffff, v8
	v_or_b32_e32 v10, 0x10000, v8
	s_delay_alu instid0(VALU_DEP_2) | instskip(NEXT) | instid1(VALU_DEP_1)
	v_cmp_eq_u32_e64 s9, 0, v9
	v_cndmask_b32_e64 v10, v10, v8, s9
; %bb.4869:                             ;   in Loop: Header=BB450_3110 Depth=1
	s_or_b32 exec_lo, exec_lo, s23
	v_mov_b32_e32 v8, 0
	s_mov_b32 s23, exec_lo
	v_cmpx_lt_u32_e32 0xffffff, v6
	s_cbranch_execz .LBB450_4877
; %bb.4870:                             ;   in Loop: Header=BB450_3110 Depth=1
	v_lshrrev_b32_e32 v11, 24, v6
	v_bfrev_b32_e32 v8, 1
	s_mov_b32 s24, exec_lo
	s_delay_alu instid0(VALU_DEP_2)
	v_cmpx_ne_u32_e32 0x80, v11
	s_cbranch_execz .LBB450_4876
; %bb.4871:                             ;   in Loop: Header=BB450_3110 Depth=1
	v_bfe_u32 v9, v6, 24, 7
	v_mov_b32_e32 v8, 0x7f800001
	s_mov_b32 s25, exec_lo
	s_delay_alu instid0(VALU_DEP_2)
	v_cmpx_ne_u32_e32 0x7f, v9
	s_cbranch_execz .LBB450_4875
; %bb.4872:                             ;   in Loop: Header=BB450_3110 Depth=1
	v_and_b32_e32 v12, 7, v11
	v_lshrrev_b32_e32 v16, 3, v9
	v_cmp_gt_u32_e64 s9, 8, v9
	s_delay_alu instid0(VALU_DEP_3) | instskip(NEXT) | instid1(VALU_DEP_2)
	v_dual_mov_b32 v8, v12 :: v_dual_mov_b32 v9, v13
	s_and_saveexec_b32 s26, s9
; %bb.4873:                             ;   in Loop: Header=BB450_3110 Depth=1
	v_clz_i32_u32_e32 v8, v12
	s_delay_alu instid0(VALU_DEP_1) | instskip(NEXT) | instid1(VALU_DEP_1)
	v_min_u32_e32 v16, 32, v8
	v_subrev_nc_u32_e32 v8, 28, v16
	v_sub_nc_u32_e32 v16, 29, v16
	s_delay_alu instid0(VALU_DEP_2) | instskip(NEXT) | instid1(VALU_DEP_1)
	v_lshlrev_b64 v[8:9], v8, v[12:13]
	v_and_b32_e32 v8, 7, v8
; %bb.4874:                             ;   in Loop: Header=BB450_3110 Depth=1
	s_or_b32 exec_lo, exec_lo, s26
	v_lshlrev_b32_e32 v9, 24, v11
	s_delay_alu instid0(VALU_DEP_2) | instskip(SKIP_1) | instid1(VALU_DEP_3)
	v_lshlrev_b32_e32 v8, 20, v8
	v_lshl_add_u32 v11, v16, 23, 0x3c000000
	v_and_b32_e32 v9, 0x80000000, v9
	s_delay_alu instid0(VALU_DEP_1)
	v_or3_b32 v8, v8, v9, v11
.LBB450_4875:                           ;   in Loop: Header=BB450_3110 Depth=1
	s_or_b32 exec_lo, exec_lo, s25
.LBB450_4876:                           ;   in Loop: Header=BB450_3110 Depth=1
	s_delay_alu instid0(SALU_CYCLE_1)
	s_or_b32 exec_lo, exec_lo, s24
.LBB450_4877:                           ;   in Loop: Header=BB450_3110 Depth=1
	s_delay_alu instid0(SALU_CYCLE_1) | instskip(NEXT) | instid1(VALU_DEP_1)
	s_or_b32 exec_lo, exec_lo, s23
	v_mul_f32_e32 v8, v160, v8
                                        ; implicit-def: $vgpr11
	s_delay_alu instid0(VALU_DEP_1) | instskip(NEXT) | instid1(VALU_DEP_1)
	v_and_b32_e32 v9, 0x7f800000, v8
	v_cmp_ne_u32_e64 s9, 0x7f800000, v9
	s_delay_alu instid0(VALU_DEP_1) | instskip(NEXT) | instid1(SALU_CYCLE_1)
	s_and_saveexec_b32 s23, s9
	s_xor_b32 s9, exec_lo, s23
; %bb.4878:                             ;   in Loop: Header=BB450_3110 Depth=1
	v_bfe_u32 v9, v8, 16, 1
	s_delay_alu instid0(VALU_DEP_1)
	v_add3_u32 v11, v8, v9, 0x7fff
                                        ; implicit-def: $vgpr8
; %bb.4879:                             ;   in Loop: Header=BB450_3110 Depth=1
	s_and_not1_saveexec_b32 s23, s9
; %bb.4880:                             ;   in Loop: Header=BB450_3110 Depth=1
	v_and_b32_e32 v9, 0xffff, v8
	v_or_b32_e32 v11, 0x10000, v8
	s_delay_alu instid0(VALU_DEP_2) | instskip(NEXT) | instid1(VALU_DEP_1)
	v_cmp_eq_u32_e64 s9, 0, v9
	v_cndmask_b32_e64 v11, v11, v8, s9
; %bb.4881:                             ;   in Loop: Header=BB450_3110 Depth=1
	s_or_b32 exec_lo, exec_lo, s23
	v_dual_mov_b32 v12, v7 :: v_dual_and_b32 v9, 0xff, v7
	v_mov_b32_e32 v8, 0
	s_mov_b32 s23, exec_lo
	s_delay_alu instid0(VALU_DEP_2)
	v_cmpx_ne_u16_e32 0, v9
	s_cbranch_execz .LBB450_4889
; %bb.4882:                             ;   in Loop: Header=BB450_3110 Depth=1
	v_bfrev_b32_e32 v8, 1
	s_mov_b32 s24, exec_lo
	v_cmpx_ne_u16_e32 0x80, v9
	s_cbranch_execz .LBB450_4888
; %bb.4883:                             ;   in Loop: Header=BB450_3110 Depth=1
	v_and_b32_e32 v9, 0x7f, v7
	v_mov_b32_e32 v8, 0x7f800001
	s_mov_b32 s25, exec_lo
	s_delay_alu instid0(VALU_DEP_2)
	v_cmpx_ne_u32_e32 0x7f, v9
	s_cbranch_execz .LBB450_4887
; %bb.4884:                             ;   in Loop: Header=BB450_3110 Depth=1
	v_lshrrev_b32_e32 v16, 3, v9
	v_cmp_gt_u32_e64 s9, 8, v9
	v_dual_mov_b32 v8, v12 :: v_dual_mov_b32 v9, v13
	s_delay_alu instid0(VALU_DEP_2)
	s_and_saveexec_b32 s26, s9
; %bb.4885:                             ;   in Loop: Header=BB450_3110 Depth=1
	v_and_b32_e32 v8, 7, v7
	s_delay_alu instid0(VALU_DEP_1) | instskip(NEXT) | instid1(VALU_DEP_1)
	v_clz_i32_u32_e32 v8, v8
	v_min_u32_e32 v16, 32, v8
	s_delay_alu instid0(VALU_DEP_1) | instskip(SKIP_1) | instid1(VALU_DEP_2)
	v_subrev_nc_u32_e32 v8, 28, v16
	v_sub_nc_u32_e32 v16, 29, v16
	v_lshlrev_b64 v[8:9], v8, v[12:13]
; %bb.4886:                             ;   in Loop: Header=BB450_3110 Depth=1
	s_or_b32 exec_lo, exec_lo, s26
	s_delay_alu instid0(VALU_DEP_1) | instskip(SKIP_2) | instid1(VALU_DEP_3)
	v_lshlrev_b32_e32 v8, 20, v8
	v_lshlrev_b32_e32 v9, 24, v12
	v_lshl_add_u32 v16, v16, 23, 0x3c000000
	v_and_b32_e32 v8, 0x700000, v8
	s_delay_alu instid0(VALU_DEP_3) | instskip(NEXT) | instid1(VALU_DEP_1)
	v_and_b32_e32 v9, 0x80000000, v9
	v_or3_b32 v8, v8, v9, v16
.LBB450_4887:                           ;   in Loop: Header=BB450_3110 Depth=1
	s_or_b32 exec_lo, exec_lo, s25
.LBB450_4888:                           ;   in Loop: Header=BB450_3110 Depth=1
	s_delay_alu instid0(SALU_CYCLE_1)
	s_or_b32 exec_lo, exec_lo, s24
.LBB450_4889:                           ;   in Loop: Header=BB450_3110 Depth=1
	s_delay_alu instid0(SALU_CYCLE_1) | instskip(NEXT) | instid1(VALU_DEP_1)
	s_or_b32 exec_lo, exec_lo, s23
	v_mul_f32_e32 v8, v160, v8
                                        ; implicit-def: $vgpr16
	s_delay_alu instid0(VALU_DEP_1) | instskip(NEXT) | instid1(VALU_DEP_1)
	v_and_b32_e32 v9, 0x7f800000, v8
	v_cmp_ne_u32_e64 s9, 0x7f800000, v9
	s_delay_alu instid0(VALU_DEP_1) | instskip(NEXT) | instid1(SALU_CYCLE_1)
	s_and_saveexec_b32 s23, s9
	s_xor_b32 s9, exec_lo, s23
; %bb.4890:                             ;   in Loop: Header=BB450_3110 Depth=1
	v_bfe_u32 v9, v8, 16, 1
	s_delay_alu instid0(VALU_DEP_1)
	v_add3_u32 v16, v8, v9, 0x7fff
                                        ; implicit-def: $vgpr8
; %bb.4891:                             ;   in Loop: Header=BB450_3110 Depth=1
	s_and_not1_saveexec_b32 s23, s9
; %bb.4892:                             ;   in Loop: Header=BB450_3110 Depth=1
	v_and_b32_e32 v9, 0xffff, v8
	v_or_b32_e32 v16, 0x10000, v8
	s_delay_alu instid0(VALU_DEP_2) | instskip(NEXT) | instid1(VALU_DEP_1)
	v_cmp_eq_u32_e64 s9, 0, v9
	v_cndmask_b32_e64 v16, v16, v8, s9
; %bb.4893:                             ;   in Loop: Header=BB450_3110 Depth=1
	s_or_b32 exec_lo, exec_lo, s23
	v_lshrrev_b16 v9, 8, v12
	v_mov_b32_e32 v8, 0
	s_mov_b32 s23, exec_lo
	s_delay_alu instid0(VALU_DEP_2)
	v_cmpx_ne_u16_e32 0, v9
	s_cbranch_execz .LBB450_4901
; %bb.4894:                             ;   in Loop: Header=BB450_3110 Depth=1
	v_bfrev_b32_e32 v8, 1
	s_mov_b32 s24, exec_lo
	v_cmpx_ne_u16_e32 0x80, v9
	s_cbranch_execz .LBB450_4900
; %bb.4895:                             ;   in Loop: Header=BB450_3110 Depth=1
	v_and_b32_e32 v9, 0xffff, v9
	v_mov_b32_e32 v8, 0x7f800001
	s_mov_b32 s25, exec_lo
	s_delay_alu instid0(VALU_DEP_2) | instskip(NEXT) | instid1(VALU_DEP_1)
	v_and_b32_e32 v21, 0x7f, v9
	v_cmpx_ne_u32_e32 0x7f, v21
	s_cbranch_execz .LBB450_4899
; %bb.4896:                             ;   in Loop: Header=BB450_3110 Depth=1
	v_dual_mov_b32 v9, v13 :: v_dual_and_b32 v8, 7, v9
	v_lshrrev_b32_e32 v20, 3, v21
	s_mov_b32 s26, exec_lo
	v_cmpx_gt_u32_e32 8, v21
; %bb.4897:                             ;   in Loop: Header=BB450_3110 Depth=1
	s_delay_alu instid0(VALU_DEP_3) | instskip(NEXT) | instid1(VALU_DEP_1)
	v_clz_i32_u32_e32 v20, v8
	v_min_u32_e32 v20, 32, v20
	s_delay_alu instid0(VALU_DEP_1) | instskip(SKIP_1) | instid1(VALU_DEP_2)
	v_subrev_nc_u32_e32 v21, 28, v20
	v_sub_nc_u32_e32 v20, 29, v20
	v_lshlrev_b64 v[8:9], v21, v[8:9]
	s_delay_alu instid0(VALU_DEP_1)
	v_and_b32_e32 v8, 7, v8
; %bb.4898:                             ;   in Loop: Header=BB450_3110 Depth=1
	s_or_b32 exec_lo, exec_lo, s26
	v_lshlrev_b32_e32 v9, 16, v12
	s_delay_alu instid0(VALU_DEP_2) | instskip(SKIP_1) | instid1(VALU_DEP_3)
	v_lshlrev_b32_e32 v8, 20, v8
	v_lshl_add_u32 v12, v20, 23, 0x3c000000
	v_and_b32_e32 v9, 0x80000000, v9
	s_delay_alu instid0(VALU_DEP_1)
	v_or3_b32 v8, v8, v9, v12
.LBB450_4899:                           ;   in Loop: Header=BB450_3110 Depth=1
	s_or_b32 exec_lo, exec_lo, s25
.LBB450_4900:                           ;   in Loop: Header=BB450_3110 Depth=1
	s_delay_alu instid0(SALU_CYCLE_1)
	s_or_b32 exec_lo, exec_lo, s24
.LBB450_4901:                           ;   in Loop: Header=BB450_3110 Depth=1
	s_delay_alu instid0(SALU_CYCLE_1) | instskip(NEXT) | instid1(VALU_DEP_1)
	s_or_b32 exec_lo, exec_lo, s23
	v_mul_f32_e32 v8, v160, v8
                                        ; implicit-def: $vgpr20
	s_delay_alu instid0(VALU_DEP_1) | instskip(NEXT) | instid1(VALU_DEP_1)
	v_and_b32_e32 v9, 0x7f800000, v8
	v_cmp_ne_u32_e64 s9, 0x7f800000, v9
	s_delay_alu instid0(VALU_DEP_1) | instskip(NEXT) | instid1(SALU_CYCLE_1)
	s_and_saveexec_b32 s23, s9
	s_xor_b32 s9, exec_lo, s23
; %bb.4902:                             ;   in Loop: Header=BB450_3110 Depth=1
	v_bfe_u32 v9, v8, 16, 1
	s_delay_alu instid0(VALU_DEP_1)
	v_add3_u32 v20, v8, v9, 0x7fff
                                        ; implicit-def: $vgpr8
; %bb.4903:                             ;   in Loop: Header=BB450_3110 Depth=1
	s_and_not1_saveexec_b32 s23, s9
; %bb.4904:                             ;   in Loop: Header=BB450_3110 Depth=1
	v_and_b32_e32 v9, 0xffff, v8
	v_or_b32_e32 v12, 0x10000, v8
	s_delay_alu instid0(VALU_DEP_2) | instskip(NEXT) | instid1(VALU_DEP_1)
	v_cmp_eq_u32_e64 s9, 0, v9
	v_cndmask_b32_e64 v20, v12, v8, s9
; %bb.4905:                             ;   in Loop: Header=BB450_3110 Depth=1
	s_or_b32 exec_lo, exec_lo, s23
	v_lshrrev_b32_e32 v21, 16, v7
	s_mov_b32 s23, exec_lo
	s_delay_alu instid0(VALU_DEP_1) | instskip(NEXT) | instid1(VALU_DEP_1)
	v_dual_mov_b32 v8, 0 :: v_dual_and_b32 v9, 0xff, v21
	v_cmpx_ne_u16_e32 0, v9
	s_cbranch_execz .LBB450_4913
; %bb.4906:                             ;   in Loop: Header=BB450_3110 Depth=1
	v_bfrev_b32_e32 v8, 1
	s_mov_b32 s24, exec_lo
	v_cmpx_ne_u16_e32 0x80, v9
	s_cbranch_execz .LBB450_4912
; %bb.4907:                             ;   in Loop: Header=BB450_3110 Depth=1
	v_bfe_u32 v9, v7, 16, 7
	v_mov_b32_e32 v8, 0x7f800001
	s_mov_b32 s25, exec_lo
	s_delay_alu instid0(VALU_DEP_2)
	v_cmpx_ne_u32_e32 0x7f, v9
	s_cbranch_execz .LBB450_4911
; %bb.4908:                             ;   in Loop: Header=BB450_3110 Depth=1
	v_and_b32_e32 v12, 7, v21
	v_lshrrev_b32_e32 v22, 3, v9
	v_cmp_gt_u32_e64 s9, 8, v9
	s_delay_alu instid0(VALU_DEP_3) | instskip(NEXT) | instid1(VALU_DEP_2)
	v_dual_mov_b32 v8, v12 :: v_dual_mov_b32 v9, v13
	s_and_saveexec_b32 s26, s9
; %bb.4909:                             ;   in Loop: Header=BB450_3110 Depth=1
	v_clz_i32_u32_e32 v8, v12
	s_delay_alu instid0(VALU_DEP_1) | instskip(NEXT) | instid1(VALU_DEP_1)
	v_min_u32_e32 v22, 32, v8
	v_subrev_nc_u32_e32 v8, 28, v22
	v_sub_nc_u32_e32 v22, 29, v22
	s_delay_alu instid0(VALU_DEP_2) | instskip(NEXT) | instid1(VALU_DEP_1)
	v_lshlrev_b64 v[8:9], v8, v[12:13]
	v_and_b32_e32 v8, 7, v8
; %bb.4910:                             ;   in Loop: Header=BB450_3110 Depth=1
	s_or_b32 exec_lo, exec_lo, s26
	v_lshlrev_b32_e32 v9, 24, v21
	s_delay_alu instid0(VALU_DEP_2) | instskip(SKIP_1) | instid1(VALU_DEP_3)
	v_lshlrev_b32_e32 v8, 20, v8
	v_lshl_add_u32 v12, v22, 23, 0x3c000000
	v_and_b32_e32 v9, 0x80000000, v9
	s_delay_alu instid0(VALU_DEP_1)
	v_or3_b32 v8, v8, v9, v12
.LBB450_4911:                           ;   in Loop: Header=BB450_3110 Depth=1
	s_or_b32 exec_lo, exec_lo, s25
.LBB450_4912:                           ;   in Loop: Header=BB450_3110 Depth=1
	s_delay_alu instid0(SALU_CYCLE_1)
	s_or_b32 exec_lo, exec_lo, s24
.LBB450_4913:                           ;   in Loop: Header=BB450_3110 Depth=1
	s_delay_alu instid0(SALU_CYCLE_1) | instskip(NEXT) | instid1(VALU_DEP_1)
	s_or_b32 exec_lo, exec_lo, s23
	v_mul_f32_e32 v8, v160, v8
	s_delay_alu instid0(VALU_DEP_1) | instskip(NEXT) | instid1(VALU_DEP_1)
	v_and_b32_e32 v9, 0x7f800000, v8
	v_cmp_ne_u32_e64 s9, 0x7f800000, v9
                                        ; implicit-def: $vgpr9
	s_delay_alu instid0(VALU_DEP_1) | instskip(NEXT) | instid1(SALU_CYCLE_1)
	s_and_saveexec_b32 s23, s9
	s_xor_b32 s9, exec_lo, s23
; %bb.4914:                             ;   in Loop: Header=BB450_3110 Depth=1
	v_bfe_u32 v9, v8, 16, 1
	s_delay_alu instid0(VALU_DEP_1)
	v_add3_u32 v9, v8, v9, 0x7fff
                                        ; implicit-def: $vgpr8
; %bb.4915:                             ;   in Loop: Header=BB450_3110 Depth=1
	s_and_not1_saveexec_b32 s23, s9
; %bb.4916:                             ;   in Loop: Header=BB450_3110 Depth=1
	v_and_b32_e32 v9, 0xffff, v8
	v_or_b32_e32 v12, 0x10000, v8
	s_delay_alu instid0(VALU_DEP_2) | instskip(NEXT) | instid1(VALU_DEP_1)
	v_cmp_eq_u32_e64 s9, 0, v9
	v_cndmask_b32_e64 v9, v12, v8, s9
; %bb.4917:                             ;   in Loop: Header=BB450_3110 Depth=1
	s_or_b32 exec_lo, exec_lo, s23
	v_cmp_lt_u64_e64 s9, s[18:19], v[6:7]
	v_mov_b32_e32 v6, 0
	s_delay_alu instid0(VALU_DEP_2)
	s_and_saveexec_b32 s23, s9
	s_cbranch_execz .LBB450_4925
; %bb.4918:                             ;   in Loop: Header=BB450_3110 Depth=1
	v_lshrrev_b32_e32 v8, 24, v7
	v_bfrev_b32_e32 v6, 1
	s_mov_b32 s24, exec_lo
	s_delay_alu instid0(VALU_DEP_2)
	v_cmpx_ne_u32_e32 0x80, v8
	s_cbranch_execz .LBB450_4924
; %bb.4919:                             ;   in Loop: Header=BB450_3110 Depth=1
	v_bfe_u32 v7, v7, 24, 7
	v_mov_b32_e32 v6, 0x7f800001
	s_mov_b32 s25, exec_lo
	s_delay_alu instid0(VALU_DEP_2)
	v_cmpx_ne_u32_e32 0x7f, v7
	s_cbranch_execz .LBB450_4923
; %bb.4920:                             ;   in Loop: Header=BB450_3110 Depth=1
	v_and_b32_e32 v12, 7, v8
	v_lshrrev_b32_e32 v21, 3, v7
	v_cmp_gt_u32_e64 s9, 8, v7
	s_delay_alu instid0(VALU_DEP_3) | instskip(NEXT) | instid1(VALU_DEP_2)
	v_dual_mov_b32 v6, v12 :: v_dual_mov_b32 v7, v13
	s_and_saveexec_b32 s26, s9
; %bb.4921:                             ;   in Loop: Header=BB450_3110 Depth=1
	v_clz_i32_u32_e32 v6, v12
	s_delay_alu instid0(VALU_DEP_1) | instskip(NEXT) | instid1(VALU_DEP_1)
	v_min_u32_e32 v21, 32, v6
	v_subrev_nc_u32_e32 v6, 28, v21
	v_sub_nc_u32_e32 v21, 29, v21
	s_delay_alu instid0(VALU_DEP_2) | instskip(NEXT) | instid1(VALU_DEP_1)
	v_lshlrev_b64 v[6:7], v6, v[12:13]
	v_and_b32_e32 v6, 7, v6
; %bb.4922:                             ;   in Loop: Header=BB450_3110 Depth=1
	s_or_b32 exec_lo, exec_lo, s26
	v_lshlrev_b32_e32 v7, 24, v8
	s_delay_alu instid0(VALU_DEP_2) | instskip(SKIP_1) | instid1(VALU_DEP_3)
	v_lshlrev_b32_e32 v6, 20, v6
	v_lshl_add_u32 v8, v21, 23, 0x3c000000
	v_and_b32_e32 v7, 0x80000000, v7
	s_delay_alu instid0(VALU_DEP_1)
	v_or3_b32 v6, v6, v7, v8
.LBB450_4923:                           ;   in Loop: Header=BB450_3110 Depth=1
	s_or_b32 exec_lo, exec_lo, s25
.LBB450_4924:                           ;   in Loop: Header=BB450_3110 Depth=1
	s_delay_alu instid0(SALU_CYCLE_1)
	s_or_b32 exec_lo, exec_lo, s24
.LBB450_4925:                           ;   in Loop: Header=BB450_3110 Depth=1
	s_delay_alu instid0(SALU_CYCLE_1) | instskip(NEXT) | instid1(VALU_DEP_1)
	s_or_b32 exec_lo, exec_lo, s23
	v_mul_f32_e32 v6, v160, v6
                                        ; implicit-def: $vgpr21
	s_delay_alu instid0(VALU_DEP_1) | instskip(NEXT) | instid1(VALU_DEP_1)
	v_and_b32_e32 v7, 0x7f800000, v6
	v_cmp_ne_u32_e64 s9, 0x7f800000, v7
	s_delay_alu instid0(VALU_DEP_1) | instskip(NEXT) | instid1(SALU_CYCLE_1)
	s_and_saveexec_b32 s23, s9
	s_xor_b32 s9, exec_lo, s23
; %bb.4926:                             ;   in Loop: Header=BB450_3110 Depth=1
	v_bfe_u32 v7, v6, 16, 1
	s_delay_alu instid0(VALU_DEP_1)
	v_add3_u32 v21, v6, v7, 0x7fff
                                        ; implicit-def: $vgpr6
; %bb.4927:                             ;   in Loop: Header=BB450_3110 Depth=1
	s_and_not1_saveexec_b32 s23, s9
; %bb.4928:                             ;   in Loop: Header=BB450_3110 Depth=1
	v_and_b32_e32 v7, 0xffff, v6
	v_or_b32_e32 v8, 0x10000, v6
	s_delay_alu instid0(VALU_DEP_2) | instskip(NEXT) | instid1(VALU_DEP_1)
	v_cmp_eq_u32_e64 s9, 0, v7
	v_cndmask_b32_e64 v21, v8, v6, s9
; %bb.4929:                             ;   in Loop: Header=BB450_3110 Depth=1
	s_or_b32 exec_lo, exec_lo, s23
	v_lshrrev_b32_e32 v6, 16, v20
	v_lshrrev_b32_e32 v7, 16, v16
	;; [unrolled: 1-line block ×8, first 2 shown]
	s_and_saveexec_b32 s9, s1
; %bb.4930:                             ;   in Loop: Header=BB450_3110 Depth=1
	s_delay_alu instid0(VALU_DEP_3)
	v_cndmask_b32_e32 v12, 0, v12, vcc_lo
	v_cndmask_b32_e64 v11, 0, v11, s2
	v_cndmask_b32_e64 v10, 0, v10, s3
	;; [unrolled: 1-line block ×7, first 2 shown]
; %bb.4931:                             ;   in Loop: Header=BB450_3110 Depth=1
	s_or_b32 exec_lo, exec_lo, s9
	v_lshlrev_b32_e32 v9, 16, v12
                                        ; implicit-def: $vgpr103
	s_delay_alu instid0(VALU_DEP_1) | instskip(NEXT) | instid1(VALU_DEP_1)
	v_mul_f32_e32 v9, v161, v9
	v_and_b32_e32 v12, 0x7f800000, v9
	s_delay_alu instid0(VALU_DEP_1) | instskip(NEXT) | instid1(VALU_DEP_1)
	v_cmp_ne_u32_e64 s9, 0x7f800000, v12
	s_and_saveexec_b32 s23, s9
	s_delay_alu instid0(SALU_CYCLE_1)
	s_xor_b32 s9, exec_lo, s23
; %bb.4932:                             ;   in Loop: Header=BB450_3110 Depth=1
	v_bfe_u32 v12, v9, 16, 1
	s_delay_alu instid0(VALU_DEP_1)
	v_add3_u32 v103, v9, v12, 0x7fff
                                        ; implicit-def: $vgpr9
; %bb.4933:                             ;   in Loop: Header=BB450_3110 Depth=1
	s_and_not1_saveexec_b32 s23, s9
; %bb.4934:                             ;   in Loop: Header=BB450_3110 Depth=1
	v_and_b32_e32 v12, 0xffff, v9
	v_or_b32_e32 v16, 0x10000, v9
	s_delay_alu instid0(VALU_DEP_2) | instskip(NEXT) | instid1(VALU_DEP_1)
	v_cmp_eq_u32_e64 s9, 0, v12
	v_cndmask_b32_e64 v103, v16, v9, s9
; %bb.4935:                             ;   in Loop: Header=BB450_3110 Depth=1
	s_or_b32 exec_lo, exec_lo, s23
	v_lshlrev_b32_e32 v9, 16, v11
                                        ; implicit-def: $vgpr112
	s_delay_alu instid0(VALU_DEP_1) | instskip(NEXT) | instid1(VALU_DEP_1)
	v_mul_f32_e32 v9, v162, v9
	v_and_b32_e32 v11, 0x7f800000, v9
	s_delay_alu instid0(VALU_DEP_1) | instskip(NEXT) | instid1(VALU_DEP_1)
	v_cmp_ne_u32_e64 s9, 0x7f800000, v11
	s_and_saveexec_b32 s23, s9
	s_delay_alu instid0(SALU_CYCLE_1)
	s_xor_b32 s9, exec_lo, s23
; %bb.4936:                             ;   in Loop: Header=BB450_3110 Depth=1
	v_bfe_u32 v11, v9, 16, 1
	s_delay_alu instid0(VALU_DEP_1)
	v_add3_u32 v112, v9, v11, 0x7fff
                                        ; implicit-def: $vgpr9
; %bb.4937:                             ;   in Loop: Header=BB450_3110 Depth=1
	s_and_not1_saveexec_b32 s23, s9
; %bb.4938:                             ;   in Loop: Header=BB450_3110 Depth=1
	v_and_b32_e32 v11, 0xffff, v9
	v_or_b32_e32 v12, 0x10000, v9
	s_delay_alu instid0(VALU_DEP_2) | instskip(NEXT) | instid1(VALU_DEP_1)
	v_cmp_eq_u32_e64 s9, 0, v11
	v_cndmask_b32_e64 v112, v12, v9, s9
; %bb.4939:                             ;   in Loop: Header=BB450_3110 Depth=1
	s_or_b32 exec_lo, exec_lo, s23
	v_lshlrev_b32_e32 v9, 16, v10
                                        ; implicit-def: $vgpr113
	s_delay_alu instid0(VALU_DEP_1) | instskip(NEXT) | instid1(VALU_DEP_1)
	v_mul_f32_e32 v9, v163, v9
	v_and_b32_e32 v10, 0x7f800000, v9
	s_delay_alu instid0(VALU_DEP_1) | instskip(NEXT) | instid1(VALU_DEP_1)
	v_cmp_ne_u32_e64 s9, 0x7f800000, v10
	s_and_saveexec_b32 s23, s9
	s_delay_alu instid0(SALU_CYCLE_1)
	s_xor_b32 s9, exec_lo, s23
; %bb.4940:                             ;   in Loop: Header=BB450_3110 Depth=1
	v_bfe_u32 v10, v9, 16, 1
	s_delay_alu instid0(VALU_DEP_1)
	v_add3_u32 v113, v9, v10, 0x7fff
                                        ; implicit-def: $vgpr9
; %bb.4941:                             ;   in Loop: Header=BB450_3110 Depth=1
	s_and_not1_saveexec_b32 s23, s9
; %bb.4942:                             ;   in Loop: Header=BB450_3110 Depth=1
	v_and_b32_e32 v10, 0xffff, v9
	v_or_b32_e32 v11, 0x10000, v9
	s_delay_alu instid0(VALU_DEP_2) | instskip(NEXT) | instid1(VALU_DEP_1)
	v_cmp_eq_u32_e64 s9, 0, v10
	v_cndmask_b32_e64 v113, v11, v9, s9
; %bb.4943:                             ;   in Loop: Header=BB450_3110 Depth=1
	s_or_b32 exec_lo, exec_lo, s23
	v_lshlrev_b32_e32 v8, 16, v8
                                        ; implicit-def: $vgpr114
	s_delay_alu instid0(VALU_DEP_1) | instskip(NEXT) | instid1(VALU_DEP_1)
	v_mul_f32_e32 v8, v164, v8
	v_and_b32_e32 v9, 0x7f800000, v8
	s_delay_alu instid0(VALU_DEP_1) | instskip(NEXT) | instid1(VALU_DEP_1)
	v_cmp_ne_u32_e64 s9, 0x7f800000, v9
	s_and_saveexec_b32 s23, s9
	s_delay_alu instid0(SALU_CYCLE_1)
	s_xor_b32 s9, exec_lo, s23
; %bb.4944:                             ;   in Loop: Header=BB450_3110 Depth=1
	v_bfe_u32 v9, v8, 16, 1
	s_delay_alu instid0(VALU_DEP_1)
	v_add3_u32 v114, v8, v9, 0x7fff
                                        ; implicit-def: $vgpr8
; %bb.4945:                             ;   in Loop: Header=BB450_3110 Depth=1
	s_and_not1_saveexec_b32 s23, s9
; %bb.4946:                             ;   in Loop: Header=BB450_3110 Depth=1
	v_and_b32_e32 v9, 0xffff, v8
	v_or_b32_e32 v10, 0x10000, v8
	s_delay_alu instid0(VALU_DEP_2) | instskip(NEXT) | instid1(VALU_DEP_1)
	v_cmp_eq_u32_e64 s9, 0, v9
	v_cndmask_b32_e64 v114, v10, v8, s9
; %bb.4947:                             ;   in Loop: Header=BB450_3110 Depth=1
	s_or_b32 exec_lo, exec_lo, s23
	v_lshlrev_b32_e32 v7, 16, v7
                                        ; implicit-def: $vgpr115
	s_delay_alu instid0(VALU_DEP_1) | instskip(NEXT) | instid1(VALU_DEP_1)
	v_mul_f32_e32 v7, v165, v7
	v_and_b32_e32 v8, 0x7f800000, v7
	s_delay_alu instid0(VALU_DEP_1) | instskip(NEXT) | instid1(VALU_DEP_1)
	v_cmp_ne_u32_e64 s9, 0x7f800000, v8
	s_and_saveexec_b32 s23, s9
	s_delay_alu instid0(SALU_CYCLE_1)
	s_xor_b32 s9, exec_lo, s23
; %bb.4948:                             ;   in Loop: Header=BB450_3110 Depth=1
	v_bfe_u32 v8, v7, 16, 1
	s_delay_alu instid0(VALU_DEP_1)
	v_add3_u32 v115, v7, v8, 0x7fff
                                        ; implicit-def: $vgpr7
; %bb.4949:                             ;   in Loop: Header=BB450_3110 Depth=1
	s_and_not1_saveexec_b32 s23, s9
; %bb.4950:                             ;   in Loop: Header=BB450_3110 Depth=1
	v_and_b32_e32 v8, 0xffff, v7
	v_or_b32_e32 v9, 0x10000, v7
	s_delay_alu instid0(VALU_DEP_2) | instskip(NEXT) | instid1(VALU_DEP_1)
	v_cmp_eq_u32_e64 s9, 0, v8
	v_cndmask_b32_e64 v115, v9, v7, s9
; %bb.4951:                             ;   in Loop: Header=BB450_3110 Depth=1
	s_or_b32 exec_lo, exec_lo, s23
	v_lshlrev_b32_e32 v6, 16, v6
                                        ; implicit-def: $vgpr116
	s_delay_alu instid0(VALU_DEP_1) | instskip(NEXT) | instid1(VALU_DEP_1)
	v_mul_f32_e32 v6, v166, v6
	v_and_b32_e32 v7, 0x7f800000, v6
	s_delay_alu instid0(VALU_DEP_1) | instskip(NEXT) | instid1(VALU_DEP_1)
	v_cmp_ne_u32_e64 s9, 0x7f800000, v7
	s_and_saveexec_b32 s23, s9
	s_delay_alu instid0(SALU_CYCLE_1)
	s_xor_b32 s9, exec_lo, s23
; %bb.4952:                             ;   in Loop: Header=BB450_3110 Depth=1
	v_bfe_u32 v7, v6, 16, 1
	s_delay_alu instid0(VALU_DEP_1)
	v_add3_u32 v116, v6, v7, 0x7fff
                                        ; implicit-def: $vgpr6
; %bb.4953:                             ;   in Loop: Header=BB450_3110 Depth=1
	s_and_not1_saveexec_b32 s23, s9
; %bb.4954:                             ;   in Loop: Header=BB450_3110 Depth=1
	v_and_b32_e32 v7, 0xffff, v6
	v_or_b32_e32 v8, 0x10000, v6
	s_delay_alu instid0(VALU_DEP_2) | instskip(NEXT) | instid1(VALU_DEP_1)
	v_cmp_eq_u32_e64 s9, 0, v7
	v_cndmask_b32_e64 v116, v8, v6, s9
; %bb.4955:                             ;   in Loop: Header=BB450_3110 Depth=1
	s_or_b32 exec_lo, exec_lo, s23
	v_lshlrev_b32_e32 v5, 16, v5
                                        ; implicit-def: $vgpr117
	s_delay_alu instid0(VALU_DEP_1) | instskip(NEXT) | instid1(VALU_DEP_1)
	v_mul_f32_e32 v5, v167, v5
	v_and_b32_e32 v6, 0x7f800000, v5
	s_delay_alu instid0(VALU_DEP_1) | instskip(NEXT) | instid1(VALU_DEP_1)
	v_cmp_ne_u32_e64 s9, 0x7f800000, v6
	s_and_saveexec_b32 s23, s9
	s_delay_alu instid0(SALU_CYCLE_1)
	s_xor_b32 s9, exec_lo, s23
; %bb.4956:                             ;   in Loop: Header=BB450_3110 Depth=1
	v_bfe_u32 v6, v5, 16, 1
	s_delay_alu instid0(VALU_DEP_1)
	v_add3_u32 v117, v5, v6, 0x7fff
                                        ; implicit-def: $vgpr5
; %bb.4957:                             ;   in Loop: Header=BB450_3110 Depth=1
	s_and_not1_saveexec_b32 s23, s9
; %bb.4958:                             ;   in Loop: Header=BB450_3110 Depth=1
	v_and_b32_e32 v6, 0xffff, v5
	v_or_b32_e32 v7, 0x10000, v5
	s_delay_alu instid0(VALU_DEP_2) | instskip(NEXT) | instid1(VALU_DEP_1)
	v_cmp_eq_u32_e64 s9, 0, v6
	v_cndmask_b32_e64 v117, v7, v5, s9
; %bb.4959:                             ;   in Loop: Header=BB450_3110 Depth=1
	s_or_b32 exec_lo, exec_lo, s23
	v_lshlrev_b32_e32 v4, 16, v4
                                        ; implicit-def: $vgpr118
	s_delay_alu instid0(VALU_DEP_1) | instskip(NEXT) | instid1(VALU_DEP_1)
	v_mul_f32_e32 v4, v176, v4
	v_and_b32_e32 v5, 0x7f800000, v4
	s_delay_alu instid0(VALU_DEP_1) | instskip(NEXT) | instid1(VALU_DEP_1)
	v_cmp_ne_u32_e64 s9, 0x7f800000, v5
	s_and_saveexec_b32 s23, s9
	s_delay_alu instid0(SALU_CYCLE_1)
	s_xor_b32 s9, exec_lo, s23
; %bb.4960:                             ;   in Loop: Header=BB450_3110 Depth=1
	v_bfe_u32 v5, v4, 16, 1
	s_delay_alu instid0(VALU_DEP_1)
	v_add3_u32 v118, v4, v5, 0x7fff
                                        ; implicit-def: $vgpr4
; %bb.4961:                             ;   in Loop: Header=BB450_3110 Depth=1
	s_and_not1_saveexec_b32 s23, s9
; %bb.4962:                             ;   in Loop: Header=BB450_3110 Depth=1
	v_and_b32_e32 v5, 0xffff, v4
	v_or_b32_e32 v6, 0x10000, v4
	s_delay_alu instid0(VALU_DEP_2) | instskip(NEXT) | instid1(VALU_DEP_1)
	v_cmp_eq_u32_e64 s9, 0, v5
	v_cndmask_b32_e64 v118, v6, v4, s9
; %bb.4963:                             ;   in Loop: Header=BB450_3110 Depth=1
	s_or_b32 exec_lo, exec_lo, s23
	flat_load_b64 v[6:7], v[2:3] offset:3584
	s_mov_b32 s23, exec_lo
	s_waitcnt vmcnt(0) lgkmcnt(0)
	v_dual_mov_b32 v4, 0 :: v_dual_and_b32 v5, 0xff, v6
	s_delay_alu instid0(VALU_DEP_1)
	v_cmpx_ne_u16_e32 0, v5
	s_cbranch_execz .LBB450_4971
; %bb.4964:                             ;   in Loop: Header=BB450_3110 Depth=1
	v_bfrev_b32_e32 v4, 1
	s_mov_b32 s24, exec_lo
	v_cmpx_ne_u16_e32 0x80, v5
	s_cbranch_execz .LBB450_4970
; %bb.4965:                             ;   in Loop: Header=BB450_3110 Depth=1
	v_and_b32_e32 v5, 0x7f, v6
	v_mov_b32_e32 v4, 0x7f800001
	s_mov_b32 s25, exec_lo
	s_delay_alu instid0(VALU_DEP_2)
	v_cmpx_ne_u32_e32 0x7f, v5
	s_cbranch_execz .LBB450_4969
; %bb.4966:                             ;   in Loop: Header=BB450_3110 Depth=1
	v_lshrrev_b32_e32 v4, 3, v5
	v_dual_mov_b32 v9, v7 :: v_dual_mov_b32 v8, v6
	s_mov_b32 s26, exec_lo
	v_cmpx_gt_u32_e32 8, v5
; %bb.4967:                             ;   in Loop: Header=BB450_3110 Depth=1
	v_and_b32_e32 v4, 7, v6
	s_delay_alu instid0(VALU_DEP_1) | instskip(NEXT) | instid1(VALU_DEP_1)
	v_clz_i32_u32_e32 v4, v4
	v_min_u32_e32 v4, 32, v4
	s_delay_alu instid0(VALU_DEP_1) | instskip(SKIP_1) | instid1(VALU_DEP_2)
	v_subrev_nc_u32_e32 v5, 28, v4
	v_sub_nc_u32_e32 v4, 29, v4
	v_lshlrev_b64 v[8:9], v5, v[6:7]
; %bb.4968:                             ;   in Loop: Header=BB450_3110 Depth=1
	s_or_b32 exec_lo, exec_lo, s26
	s_delay_alu instid0(VALU_DEP_1) | instskip(SKIP_2) | instid1(VALU_DEP_3)
	v_lshlrev_b32_e32 v5, 20, v8
	v_lshlrev_b32_e32 v8, 24, v6
	v_lshl_add_u32 v4, v4, 23, 0x3c000000
	v_and_b32_e32 v5, 0x700000, v5
	s_delay_alu instid0(VALU_DEP_3) | instskip(NEXT) | instid1(VALU_DEP_1)
	v_and_b32_e32 v8, 0x80000000, v8
	v_or3_b32 v4, v5, v8, v4
.LBB450_4969:                           ;   in Loop: Header=BB450_3110 Depth=1
	s_or_b32 exec_lo, exec_lo, s25
.LBB450_4970:                           ;   in Loop: Header=BB450_3110 Depth=1
	s_delay_alu instid0(SALU_CYCLE_1)
	s_or_b32 exec_lo, exec_lo, s24
.LBB450_4971:                           ;   in Loop: Header=BB450_3110 Depth=1
	s_delay_alu instid0(SALU_CYCLE_1) | instskip(NEXT) | instid1(VALU_DEP_1)
	s_or_b32 exec_lo, exec_lo, s23
	v_mul_f32_e32 v5, v160, v4
	s_delay_alu instid0(VALU_DEP_1) | instskip(NEXT) | instid1(VALU_DEP_1)
	v_and_b32_e32 v4, 0x7f800000, v5
	v_cmp_ne_u32_e64 s9, 0x7f800000, v4
                                        ; implicit-def: $vgpr4
	s_delay_alu instid0(VALU_DEP_1) | instskip(NEXT) | instid1(SALU_CYCLE_1)
	s_and_saveexec_b32 s23, s9
	s_xor_b32 s9, exec_lo, s23
; %bb.4972:                             ;   in Loop: Header=BB450_3110 Depth=1
	v_bfe_u32 v4, v5, 16, 1
	s_delay_alu instid0(VALU_DEP_1)
	v_add3_u32 v4, v5, v4, 0x7fff
                                        ; implicit-def: $vgpr5
; %bb.4973:                             ;   in Loop: Header=BB450_3110 Depth=1
	s_and_not1_saveexec_b32 s23, s9
; %bb.4974:                             ;   in Loop: Header=BB450_3110 Depth=1
	v_and_b32_e32 v4, 0xffff, v5
	v_or_b32_e32 v8, 0x10000, v5
	s_delay_alu instid0(VALU_DEP_2) | instskip(NEXT) | instid1(VALU_DEP_1)
	v_cmp_eq_u32_e64 s9, 0, v4
	v_cndmask_b32_e64 v4, v8, v5, s9
; %bb.4975:                             ;   in Loop: Header=BB450_3110 Depth=1
	s_or_b32 exec_lo, exec_lo, s23
	v_lshrrev_b16 v8, 8, v6
	v_mov_b32_e32 v5, 0
	s_mov_b32 s23, exec_lo
	s_delay_alu instid0(VALU_DEP_2)
	v_cmpx_ne_u16_e32 0, v8
	s_cbranch_execz .LBB450_4983
; %bb.4976:                             ;   in Loop: Header=BB450_3110 Depth=1
	v_bfrev_b32_e32 v5, 1
	s_mov_b32 s24, exec_lo
	v_cmpx_ne_u16_e32 0x80, v8
	s_cbranch_execz .LBB450_4982
; %bb.4977:                             ;   in Loop: Header=BB450_3110 Depth=1
	v_and_b32_e32 v9, 0xffff, v8
	v_mov_b32_e32 v5, 0x7f800001
	s_mov_b32 s25, exec_lo
	s_delay_alu instid0(VALU_DEP_2) | instskip(NEXT) | instid1(VALU_DEP_1)
	v_and_b32_e32 v8, 0x7f, v9
	v_cmpx_ne_u32_e32 0x7f, v8
	s_cbranch_execz .LBB450_4981
; %bb.4978:                             ;   in Loop: Header=BB450_3110 Depth=1
	v_and_b32_e32 v12, 7, v9
	v_lshrrev_b32_e32 v5, 3, v8
	v_cmp_gt_u32_e64 s9, 8, v8
	s_delay_alu instid0(VALU_DEP_3) | instskip(NEXT) | instid1(VALU_DEP_2)
	v_dual_mov_b32 v8, v12 :: v_dual_mov_b32 v9, v13
	s_and_saveexec_b32 s26, s9
; %bb.4979:                             ;   in Loop: Header=BB450_3110 Depth=1
	v_clz_i32_u32_e32 v5, v12
	s_delay_alu instid0(VALU_DEP_1) | instskip(NEXT) | instid1(VALU_DEP_1)
	v_min_u32_e32 v5, 32, v5
	v_subrev_nc_u32_e32 v8, 28, v5
	v_sub_nc_u32_e32 v5, 29, v5
	s_delay_alu instid0(VALU_DEP_2) | instskip(NEXT) | instid1(VALU_DEP_1)
	v_lshlrev_b64 v[8:9], v8, v[12:13]
	v_and_b32_e32 v8, 7, v8
; %bb.4980:                             ;   in Loop: Header=BB450_3110 Depth=1
	s_or_b32 exec_lo, exec_lo, s26
	v_lshlrev_b32_e32 v9, 16, v6
	s_delay_alu instid0(VALU_DEP_2) | instskip(SKIP_1) | instid1(VALU_DEP_3)
	v_lshlrev_b32_e32 v8, 20, v8
	v_lshl_add_u32 v5, v5, 23, 0x3c000000
	v_and_b32_e32 v9, 0x80000000, v9
	s_delay_alu instid0(VALU_DEP_1)
	v_or3_b32 v5, v8, v9, v5
.LBB450_4981:                           ;   in Loop: Header=BB450_3110 Depth=1
	s_or_b32 exec_lo, exec_lo, s25
.LBB450_4982:                           ;   in Loop: Header=BB450_3110 Depth=1
	s_delay_alu instid0(SALU_CYCLE_1)
	s_or_b32 exec_lo, exec_lo, s24
.LBB450_4983:                           ;   in Loop: Header=BB450_3110 Depth=1
	s_delay_alu instid0(SALU_CYCLE_1) | instskip(NEXT) | instid1(VALU_DEP_1)
	s_or_b32 exec_lo, exec_lo, s23
	v_mul_f32_e32 v8, v160, v5
	s_delay_alu instid0(VALU_DEP_1) | instskip(NEXT) | instid1(VALU_DEP_1)
	v_and_b32_e32 v5, 0x7f800000, v8
	v_cmp_ne_u32_e64 s9, 0x7f800000, v5
                                        ; implicit-def: $vgpr5
	s_delay_alu instid0(VALU_DEP_1) | instskip(NEXT) | instid1(SALU_CYCLE_1)
	s_and_saveexec_b32 s23, s9
	s_xor_b32 s9, exec_lo, s23
; %bb.4984:                             ;   in Loop: Header=BB450_3110 Depth=1
	v_bfe_u32 v5, v8, 16, 1
	s_delay_alu instid0(VALU_DEP_1)
	v_add3_u32 v5, v8, v5, 0x7fff
                                        ; implicit-def: $vgpr8
; %bb.4985:                             ;   in Loop: Header=BB450_3110 Depth=1
	s_and_not1_saveexec_b32 s23, s9
; %bb.4986:                             ;   in Loop: Header=BB450_3110 Depth=1
	v_and_b32_e32 v5, 0xffff, v8
	v_or_b32_e32 v9, 0x10000, v8
	s_delay_alu instid0(VALU_DEP_2) | instskip(NEXT) | instid1(VALU_DEP_1)
	v_cmp_eq_u32_e64 s9, 0, v5
	v_cndmask_b32_e64 v5, v9, v8, s9
; %bb.4987:                             ;   in Loop: Header=BB450_3110 Depth=1
	s_or_b32 exec_lo, exec_lo, s23
	v_lshrrev_b32_e32 v10, 16, v6
	s_mov_b32 s23, exec_lo
	s_delay_alu instid0(VALU_DEP_1) | instskip(NEXT) | instid1(VALU_DEP_1)
	v_dual_mov_b32 v8, 0 :: v_dual_and_b32 v9, 0xff, v10
	v_cmpx_ne_u16_e32 0, v9
	s_cbranch_execz .LBB450_4995
; %bb.4988:                             ;   in Loop: Header=BB450_3110 Depth=1
	v_bfrev_b32_e32 v8, 1
	s_mov_b32 s24, exec_lo
	v_cmpx_ne_u16_e32 0x80, v9
	s_cbranch_execz .LBB450_4994
; %bb.4989:                             ;   in Loop: Header=BB450_3110 Depth=1
	v_bfe_u32 v9, v6, 16, 7
	v_mov_b32_e32 v8, 0x7f800001
	s_mov_b32 s25, exec_lo
	s_delay_alu instid0(VALU_DEP_2)
	v_cmpx_ne_u32_e32 0x7f, v9
	s_cbranch_execz .LBB450_4993
; %bb.4990:                             ;   in Loop: Header=BB450_3110 Depth=1
	v_and_b32_e32 v12, 7, v10
	v_lshrrev_b32_e32 v11, 3, v9
	v_cmp_gt_u32_e64 s9, 8, v9
	s_delay_alu instid0(VALU_DEP_3) | instskip(NEXT) | instid1(VALU_DEP_2)
	v_dual_mov_b32 v8, v12 :: v_dual_mov_b32 v9, v13
	s_and_saveexec_b32 s26, s9
; %bb.4991:                             ;   in Loop: Header=BB450_3110 Depth=1
	v_clz_i32_u32_e32 v8, v12
	s_delay_alu instid0(VALU_DEP_1) | instskip(NEXT) | instid1(VALU_DEP_1)
	v_min_u32_e32 v11, 32, v8
	v_subrev_nc_u32_e32 v8, 28, v11
	v_sub_nc_u32_e32 v11, 29, v11
	s_delay_alu instid0(VALU_DEP_2) | instskip(NEXT) | instid1(VALU_DEP_1)
	v_lshlrev_b64 v[8:9], v8, v[12:13]
	v_and_b32_e32 v8, 7, v8
; %bb.4992:                             ;   in Loop: Header=BB450_3110 Depth=1
	s_or_b32 exec_lo, exec_lo, s26
	v_lshlrev_b32_e32 v9, 24, v10
	s_delay_alu instid0(VALU_DEP_2) | instskip(SKIP_1) | instid1(VALU_DEP_3)
	v_lshlrev_b32_e32 v8, 20, v8
	v_lshl_add_u32 v10, v11, 23, 0x3c000000
	v_and_b32_e32 v9, 0x80000000, v9
	s_delay_alu instid0(VALU_DEP_1)
	v_or3_b32 v8, v8, v9, v10
.LBB450_4993:                           ;   in Loop: Header=BB450_3110 Depth=1
	s_or_b32 exec_lo, exec_lo, s25
.LBB450_4994:                           ;   in Loop: Header=BB450_3110 Depth=1
	s_delay_alu instid0(SALU_CYCLE_1)
	s_or_b32 exec_lo, exec_lo, s24
.LBB450_4995:                           ;   in Loop: Header=BB450_3110 Depth=1
	s_delay_alu instid0(SALU_CYCLE_1) | instskip(NEXT) | instid1(VALU_DEP_1)
	s_or_b32 exec_lo, exec_lo, s23
	v_mul_f32_e32 v8, v160, v8
                                        ; implicit-def: $vgpr10
	s_delay_alu instid0(VALU_DEP_1) | instskip(NEXT) | instid1(VALU_DEP_1)
	v_and_b32_e32 v9, 0x7f800000, v8
	v_cmp_ne_u32_e64 s9, 0x7f800000, v9
	s_delay_alu instid0(VALU_DEP_1) | instskip(NEXT) | instid1(SALU_CYCLE_1)
	s_and_saveexec_b32 s23, s9
	s_xor_b32 s9, exec_lo, s23
; %bb.4996:                             ;   in Loop: Header=BB450_3110 Depth=1
	v_bfe_u32 v9, v8, 16, 1
	s_delay_alu instid0(VALU_DEP_1)
	v_add3_u32 v10, v8, v9, 0x7fff
                                        ; implicit-def: $vgpr8
; %bb.4997:                             ;   in Loop: Header=BB450_3110 Depth=1
	s_and_not1_saveexec_b32 s23, s9
; %bb.4998:                             ;   in Loop: Header=BB450_3110 Depth=1
	v_and_b32_e32 v9, 0xffff, v8
	v_or_b32_e32 v10, 0x10000, v8
	s_delay_alu instid0(VALU_DEP_2) | instskip(NEXT) | instid1(VALU_DEP_1)
	v_cmp_eq_u32_e64 s9, 0, v9
	v_cndmask_b32_e64 v10, v10, v8, s9
; %bb.4999:                             ;   in Loop: Header=BB450_3110 Depth=1
	s_or_b32 exec_lo, exec_lo, s23
	v_mov_b32_e32 v8, 0
	s_mov_b32 s23, exec_lo
	v_cmpx_lt_u32_e32 0xffffff, v6
	s_cbranch_execz .LBB450_5007
; %bb.5000:                             ;   in Loop: Header=BB450_3110 Depth=1
	v_lshrrev_b32_e32 v11, 24, v6
	v_bfrev_b32_e32 v8, 1
	s_mov_b32 s24, exec_lo
	s_delay_alu instid0(VALU_DEP_2)
	v_cmpx_ne_u32_e32 0x80, v11
	s_cbranch_execz .LBB450_5006
; %bb.5001:                             ;   in Loop: Header=BB450_3110 Depth=1
	v_bfe_u32 v9, v6, 24, 7
	v_mov_b32_e32 v8, 0x7f800001
	s_mov_b32 s25, exec_lo
	s_delay_alu instid0(VALU_DEP_2)
	v_cmpx_ne_u32_e32 0x7f, v9
	s_cbranch_execz .LBB450_5005
; %bb.5002:                             ;   in Loop: Header=BB450_3110 Depth=1
	v_and_b32_e32 v12, 7, v11
	v_lshrrev_b32_e32 v16, 3, v9
	v_cmp_gt_u32_e64 s9, 8, v9
	s_delay_alu instid0(VALU_DEP_3) | instskip(NEXT) | instid1(VALU_DEP_2)
	v_dual_mov_b32 v8, v12 :: v_dual_mov_b32 v9, v13
	s_and_saveexec_b32 s26, s9
; %bb.5003:                             ;   in Loop: Header=BB450_3110 Depth=1
	v_clz_i32_u32_e32 v8, v12
	s_delay_alu instid0(VALU_DEP_1) | instskip(NEXT) | instid1(VALU_DEP_1)
	v_min_u32_e32 v16, 32, v8
	v_subrev_nc_u32_e32 v8, 28, v16
	v_sub_nc_u32_e32 v16, 29, v16
	s_delay_alu instid0(VALU_DEP_2) | instskip(NEXT) | instid1(VALU_DEP_1)
	v_lshlrev_b64 v[8:9], v8, v[12:13]
	v_and_b32_e32 v8, 7, v8
; %bb.5004:                             ;   in Loop: Header=BB450_3110 Depth=1
	s_or_b32 exec_lo, exec_lo, s26
	v_lshlrev_b32_e32 v9, 24, v11
	s_delay_alu instid0(VALU_DEP_2) | instskip(SKIP_1) | instid1(VALU_DEP_3)
	v_lshlrev_b32_e32 v8, 20, v8
	v_lshl_add_u32 v11, v16, 23, 0x3c000000
	v_and_b32_e32 v9, 0x80000000, v9
	s_delay_alu instid0(VALU_DEP_1)
	v_or3_b32 v8, v8, v9, v11
.LBB450_5005:                           ;   in Loop: Header=BB450_3110 Depth=1
	s_or_b32 exec_lo, exec_lo, s25
.LBB450_5006:                           ;   in Loop: Header=BB450_3110 Depth=1
	s_delay_alu instid0(SALU_CYCLE_1)
	s_or_b32 exec_lo, exec_lo, s24
.LBB450_5007:                           ;   in Loop: Header=BB450_3110 Depth=1
	s_delay_alu instid0(SALU_CYCLE_1) | instskip(NEXT) | instid1(VALU_DEP_1)
	s_or_b32 exec_lo, exec_lo, s23
	v_mul_f32_e32 v8, v160, v8
                                        ; implicit-def: $vgpr11
	s_delay_alu instid0(VALU_DEP_1) | instskip(NEXT) | instid1(VALU_DEP_1)
	v_and_b32_e32 v9, 0x7f800000, v8
	v_cmp_ne_u32_e64 s9, 0x7f800000, v9
	s_delay_alu instid0(VALU_DEP_1) | instskip(NEXT) | instid1(SALU_CYCLE_1)
	s_and_saveexec_b32 s23, s9
	s_xor_b32 s9, exec_lo, s23
; %bb.5008:                             ;   in Loop: Header=BB450_3110 Depth=1
	v_bfe_u32 v9, v8, 16, 1
	s_delay_alu instid0(VALU_DEP_1)
	v_add3_u32 v11, v8, v9, 0x7fff
                                        ; implicit-def: $vgpr8
; %bb.5009:                             ;   in Loop: Header=BB450_3110 Depth=1
	s_and_not1_saveexec_b32 s23, s9
; %bb.5010:                             ;   in Loop: Header=BB450_3110 Depth=1
	v_and_b32_e32 v9, 0xffff, v8
	v_or_b32_e32 v11, 0x10000, v8
	s_delay_alu instid0(VALU_DEP_2) | instskip(NEXT) | instid1(VALU_DEP_1)
	v_cmp_eq_u32_e64 s9, 0, v9
	v_cndmask_b32_e64 v11, v11, v8, s9
; %bb.5011:                             ;   in Loop: Header=BB450_3110 Depth=1
	s_or_b32 exec_lo, exec_lo, s23
	v_dual_mov_b32 v12, v7 :: v_dual_and_b32 v9, 0xff, v7
	v_mov_b32_e32 v8, 0
	s_mov_b32 s23, exec_lo
	s_delay_alu instid0(VALU_DEP_2)
	v_cmpx_ne_u16_e32 0, v9
	s_cbranch_execz .LBB450_5019
; %bb.5012:                             ;   in Loop: Header=BB450_3110 Depth=1
	v_bfrev_b32_e32 v8, 1
	s_mov_b32 s24, exec_lo
	v_cmpx_ne_u16_e32 0x80, v9
	s_cbranch_execz .LBB450_5018
; %bb.5013:                             ;   in Loop: Header=BB450_3110 Depth=1
	v_and_b32_e32 v9, 0x7f, v7
	v_mov_b32_e32 v8, 0x7f800001
	s_mov_b32 s25, exec_lo
	s_delay_alu instid0(VALU_DEP_2)
	v_cmpx_ne_u32_e32 0x7f, v9
	s_cbranch_execz .LBB450_5017
; %bb.5014:                             ;   in Loop: Header=BB450_3110 Depth=1
	v_lshrrev_b32_e32 v16, 3, v9
	v_cmp_gt_u32_e64 s9, 8, v9
	v_dual_mov_b32 v8, v12 :: v_dual_mov_b32 v9, v13
	s_delay_alu instid0(VALU_DEP_2)
	s_and_saveexec_b32 s26, s9
; %bb.5015:                             ;   in Loop: Header=BB450_3110 Depth=1
	v_and_b32_e32 v8, 7, v7
	s_delay_alu instid0(VALU_DEP_1) | instskip(NEXT) | instid1(VALU_DEP_1)
	v_clz_i32_u32_e32 v8, v8
	v_min_u32_e32 v16, 32, v8
	s_delay_alu instid0(VALU_DEP_1) | instskip(SKIP_1) | instid1(VALU_DEP_2)
	v_subrev_nc_u32_e32 v8, 28, v16
	v_sub_nc_u32_e32 v16, 29, v16
	v_lshlrev_b64 v[8:9], v8, v[12:13]
; %bb.5016:                             ;   in Loop: Header=BB450_3110 Depth=1
	s_or_b32 exec_lo, exec_lo, s26
	s_delay_alu instid0(VALU_DEP_1) | instskip(SKIP_2) | instid1(VALU_DEP_3)
	v_lshlrev_b32_e32 v8, 20, v8
	v_lshlrev_b32_e32 v9, 24, v12
	v_lshl_add_u32 v16, v16, 23, 0x3c000000
	v_and_b32_e32 v8, 0x700000, v8
	s_delay_alu instid0(VALU_DEP_3) | instskip(NEXT) | instid1(VALU_DEP_1)
	v_and_b32_e32 v9, 0x80000000, v9
	v_or3_b32 v8, v8, v9, v16
.LBB450_5017:                           ;   in Loop: Header=BB450_3110 Depth=1
	s_or_b32 exec_lo, exec_lo, s25
.LBB450_5018:                           ;   in Loop: Header=BB450_3110 Depth=1
	s_delay_alu instid0(SALU_CYCLE_1)
	s_or_b32 exec_lo, exec_lo, s24
.LBB450_5019:                           ;   in Loop: Header=BB450_3110 Depth=1
	s_delay_alu instid0(SALU_CYCLE_1) | instskip(NEXT) | instid1(VALU_DEP_1)
	s_or_b32 exec_lo, exec_lo, s23
	v_mul_f32_e32 v8, v160, v8
                                        ; implicit-def: $vgpr16
	s_delay_alu instid0(VALU_DEP_1) | instskip(NEXT) | instid1(VALU_DEP_1)
	v_and_b32_e32 v9, 0x7f800000, v8
	v_cmp_ne_u32_e64 s9, 0x7f800000, v9
	s_delay_alu instid0(VALU_DEP_1) | instskip(NEXT) | instid1(SALU_CYCLE_1)
	s_and_saveexec_b32 s23, s9
	s_xor_b32 s9, exec_lo, s23
; %bb.5020:                             ;   in Loop: Header=BB450_3110 Depth=1
	v_bfe_u32 v9, v8, 16, 1
	s_delay_alu instid0(VALU_DEP_1)
	v_add3_u32 v16, v8, v9, 0x7fff
                                        ; implicit-def: $vgpr8
; %bb.5021:                             ;   in Loop: Header=BB450_3110 Depth=1
	s_and_not1_saveexec_b32 s23, s9
; %bb.5022:                             ;   in Loop: Header=BB450_3110 Depth=1
	v_and_b32_e32 v9, 0xffff, v8
	v_or_b32_e32 v16, 0x10000, v8
	s_delay_alu instid0(VALU_DEP_2) | instskip(NEXT) | instid1(VALU_DEP_1)
	v_cmp_eq_u32_e64 s9, 0, v9
	v_cndmask_b32_e64 v16, v16, v8, s9
; %bb.5023:                             ;   in Loop: Header=BB450_3110 Depth=1
	s_or_b32 exec_lo, exec_lo, s23
	v_lshrrev_b16 v9, 8, v12
	v_mov_b32_e32 v8, 0
	s_mov_b32 s23, exec_lo
	s_delay_alu instid0(VALU_DEP_2)
	v_cmpx_ne_u16_e32 0, v9
	s_cbranch_execz .LBB450_5031
; %bb.5024:                             ;   in Loop: Header=BB450_3110 Depth=1
	v_bfrev_b32_e32 v8, 1
	s_mov_b32 s24, exec_lo
	v_cmpx_ne_u16_e32 0x80, v9
	s_cbranch_execz .LBB450_5030
; %bb.5025:                             ;   in Loop: Header=BB450_3110 Depth=1
	v_and_b32_e32 v9, 0xffff, v9
	v_mov_b32_e32 v8, 0x7f800001
	s_mov_b32 s25, exec_lo
	s_delay_alu instid0(VALU_DEP_2) | instskip(NEXT) | instid1(VALU_DEP_1)
	v_and_b32_e32 v21, 0x7f, v9
	v_cmpx_ne_u32_e32 0x7f, v21
	s_cbranch_execz .LBB450_5029
; %bb.5026:                             ;   in Loop: Header=BB450_3110 Depth=1
	v_dual_mov_b32 v9, v13 :: v_dual_and_b32 v8, 7, v9
	v_lshrrev_b32_e32 v20, 3, v21
	s_mov_b32 s26, exec_lo
	v_cmpx_gt_u32_e32 8, v21
; %bb.5027:                             ;   in Loop: Header=BB450_3110 Depth=1
	s_delay_alu instid0(VALU_DEP_3) | instskip(NEXT) | instid1(VALU_DEP_1)
	v_clz_i32_u32_e32 v20, v8
	v_min_u32_e32 v20, 32, v20
	s_delay_alu instid0(VALU_DEP_1) | instskip(SKIP_1) | instid1(VALU_DEP_2)
	v_subrev_nc_u32_e32 v21, 28, v20
	v_sub_nc_u32_e32 v20, 29, v20
	v_lshlrev_b64 v[8:9], v21, v[8:9]
	s_delay_alu instid0(VALU_DEP_1)
	v_and_b32_e32 v8, 7, v8
; %bb.5028:                             ;   in Loop: Header=BB450_3110 Depth=1
	s_or_b32 exec_lo, exec_lo, s26
	v_lshlrev_b32_e32 v9, 16, v12
	s_delay_alu instid0(VALU_DEP_2) | instskip(SKIP_1) | instid1(VALU_DEP_3)
	v_lshlrev_b32_e32 v8, 20, v8
	v_lshl_add_u32 v12, v20, 23, 0x3c000000
	v_and_b32_e32 v9, 0x80000000, v9
	s_delay_alu instid0(VALU_DEP_1)
	v_or3_b32 v8, v8, v9, v12
.LBB450_5029:                           ;   in Loop: Header=BB450_3110 Depth=1
	s_or_b32 exec_lo, exec_lo, s25
.LBB450_5030:                           ;   in Loop: Header=BB450_3110 Depth=1
	s_delay_alu instid0(SALU_CYCLE_1)
	s_or_b32 exec_lo, exec_lo, s24
.LBB450_5031:                           ;   in Loop: Header=BB450_3110 Depth=1
	s_delay_alu instid0(SALU_CYCLE_1) | instskip(NEXT) | instid1(VALU_DEP_1)
	s_or_b32 exec_lo, exec_lo, s23
	v_mul_f32_e32 v8, v160, v8
                                        ; implicit-def: $vgpr20
	s_delay_alu instid0(VALU_DEP_1) | instskip(NEXT) | instid1(VALU_DEP_1)
	v_and_b32_e32 v9, 0x7f800000, v8
	v_cmp_ne_u32_e64 s9, 0x7f800000, v9
	s_delay_alu instid0(VALU_DEP_1) | instskip(NEXT) | instid1(SALU_CYCLE_1)
	s_and_saveexec_b32 s23, s9
	s_xor_b32 s9, exec_lo, s23
; %bb.5032:                             ;   in Loop: Header=BB450_3110 Depth=1
	v_bfe_u32 v9, v8, 16, 1
	s_delay_alu instid0(VALU_DEP_1)
	v_add3_u32 v20, v8, v9, 0x7fff
                                        ; implicit-def: $vgpr8
; %bb.5033:                             ;   in Loop: Header=BB450_3110 Depth=1
	s_and_not1_saveexec_b32 s23, s9
; %bb.5034:                             ;   in Loop: Header=BB450_3110 Depth=1
	v_and_b32_e32 v9, 0xffff, v8
	v_or_b32_e32 v12, 0x10000, v8
	s_delay_alu instid0(VALU_DEP_2) | instskip(NEXT) | instid1(VALU_DEP_1)
	v_cmp_eq_u32_e64 s9, 0, v9
	v_cndmask_b32_e64 v20, v12, v8, s9
; %bb.5035:                             ;   in Loop: Header=BB450_3110 Depth=1
	s_or_b32 exec_lo, exec_lo, s23
	v_lshrrev_b32_e32 v21, 16, v7
	s_mov_b32 s23, exec_lo
	s_delay_alu instid0(VALU_DEP_1) | instskip(NEXT) | instid1(VALU_DEP_1)
	v_dual_mov_b32 v8, 0 :: v_dual_and_b32 v9, 0xff, v21
	v_cmpx_ne_u16_e32 0, v9
	s_cbranch_execz .LBB450_5043
; %bb.5036:                             ;   in Loop: Header=BB450_3110 Depth=1
	v_bfrev_b32_e32 v8, 1
	s_mov_b32 s24, exec_lo
	v_cmpx_ne_u16_e32 0x80, v9
	s_cbranch_execz .LBB450_5042
; %bb.5037:                             ;   in Loop: Header=BB450_3110 Depth=1
	v_bfe_u32 v9, v7, 16, 7
	v_mov_b32_e32 v8, 0x7f800001
	s_mov_b32 s25, exec_lo
	s_delay_alu instid0(VALU_DEP_2)
	v_cmpx_ne_u32_e32 0x7f, v9
	s_cbranch_execz .LBB450_5041
; %bb.5038:                             ;   in Loop: Header=BB450_3110 Depth=1
	v_and_b32_e32 v12, 7, v21
	v_lshrrev_b32_e32 v22, 3, v9
	v_cmp_gt_u32_e64 s9, 8, v9
	s_delay_alu instid0(VALU_DEP_3) | instskip(NEXT) | instid1(VALU_DEP_2)
	v_dual_mov_b32 v8, v12 :: v_dual_mov_b32 v9, v13
	s_and_saveexec_b32 s26, s9
; %bb.5039:                             ;   in Loop: Header=BB450_3110 Depth=1
	v_clz_i32_u32_e32 v8, v12
	s_delay_alu instid0(VALU_DEP_1) | instskip(NEXT) | instid1(VALU_DEP_1)
	v_min_u32_e32 v22, 32, v8
	v_subrev_nc_u32_e32 v8, 28, v22
	v_sub_nc_u32_e32 v22, 29, v22
	s_delay_alu instid0(VALU_DEP_2) | instskip(NEXT) | instid1(VALU_DEP_1)
	v_lshlrev_b64 v[8:9], v8, v[12:13]
	v_and_b32_e32 v8, 7, v8
; %bb.5040:                             ;   in Loop: Header=BB450_3110 Depth=1
	s_or_b32 exec_lo, exec_lo, s26
	v_lshlrev_b32_e32 v9, 24, v21
	s_delay_alu instid0(VALU_DEP_2) | instskip(SKIP_1) | instid1(VALU_DEP_3)
	v_lshlrev_b32_e32 v8, 20, v8
	v_lshl_add_u32 v12, v22, 23, 0x3c000000
	v_and_b32_e32 v9, 0x80000000, v9
	s_delay_alu instid0(VALU_DEP_1)
	v_or3_b32 v8, v8, v9, v12
.LBB450_5041:                           ;   in Loop: Header=BB450_3110 Depth=1
	s_or_b32 exec_lo, exec_lo, s25
.LBB450_5042:                           ;   in Loop: Header=BB450_3110 Depth=1
	s_delay_alu instid0(SALU_CYCLE_1)
	s_or_b32 exec_lo, exec_lo, s24
.LBB450_5043:                           ;   in Loop: Header=BB450_3110 Depth=1
	s_delay_alu instid0(SALU_CYCLE_1) | instskip(NEXT) | instid1(VALU_DEP_1)
	s_or_b32 exec_lo, exec_lo, s23
	v_mul_f32_e32 v9, v160, v8
	s_delay_alu instid0(VALU_DEP_1) | instskip(NEXT) | instid1(VALU_DEP_1)
	v_and_b32_e32 v8, 0x7f800000, v9
	v_cmp_ne_u32_e64 s9, 0x7f800000, v8
                                        ; implicit-def: $vgpr8
	s_delay_alu instid0(VALU_DEP_1) | instskip(NEXT) | instid1(SALU_CYCLE_1)
	s_and_saveexec_b32 s23, s9
	s_xor_b32 s9, exec_lo, s23
; %bb.5044:                             ;   in Loop: Header=BB450_3110 Depth=1
	v_bfe_u32 v8, v9, 16, 1
	s_delay_alu instid0(VALU_DEP_1)
	v_add3_u32 v8, v9, v8, 0x7fff
                                        ; implicit-def: $vgpr9
; %bb.5045:                             ;   in Loop: Header=BB450_3110 Depth=1
	s_and_not1_saveexec_b32 s23, s9
; %bb.5046:                             ;   in Loop: Header=BB450_3110 Depth=1
	v_and_b32_e32 v8, 0xffff, v9
	v_or_b32_e32 v12, 0x10000, v9
	s_delay_alu instid0(VALU_DEP_2) | instskip(NEXT) | instid1(VALU_DEP_1)
	v_cmp_eq_u32_e64 s9, 0, v8
	v_cndmask_b32_e64 v8, v12, v9, s9
; %bb.5047:                             ;   in Loop: Header=BB450_3110 Depth=1
	s_or_b32 exec_lo, exec_lo, s23
	v_cmp_lt_u64_e64 s9, s[18:19], v[6:7]
	v_mov_b32_e32 v6, 0
	s_delay_alu instid0(VALU_DEP_2)
	s_and_saveexec_b32 s23, s9
	s_cbranch_execz .LBB450_5055
; %bb.5048:                             ;   in Loop: Header=BB450_3110 Depth=1
	v_lshrrev_b32_e32 v9, 24, v7
	v_bfrev_b32_e32 v6, 1
	s_mov_b32 s24, exec_lo
	s_delay_alu instid0(VALU_DEP_2)
	v_cmpx_ne_u32_e32 0x80, v9
	s_cbranch_execz .LBB450_5054
; %bb.5049:                             ;   in Loop: Header=BB450_3110 Depth=1
	v_bfe_u32 v7, v7, 24, 7
	v_mov_b32_e32 v6, 0x7f800001
	s_mov_b32 s25, exec_lo
	s_delay_alu instid0(VALU_DEP_2)
	v_cmpx_ne_u32_e32 0x7f, v7
	s_cbranch_execz .LBB450_5053
; %bb.5050:                             ;   in Loop: Header=BB450_3110 Depth=1
	v_and_b32_e32 v12, 7, v9
	v_lshrrev_b32_e32 v21, 3, v7
	v_cmp_gt_u32_e64 s9, 8, v7
	s_delay_alu instid0(VALU_DEP_3) | instskip(NEXT) | instid1(VALU_DEP_2)
	v_dual_mov_b32 v6, v12 :: v_dual_mov_b32 v7, v13
	s_and_saveexec_b32 s26, s9
; %bb.5051:                             ;   in Loop: Header=BB450_3110 Depth=1
	v_clz_i32_u32_e32 v6, v12
	s_delay_alu instid0(VALU_DEP_1) | instskip(NEXT) | instid1(VALU_DEP_1)
	v_min_u32_e32 v21, 32, v6
	v_subrev_nc_u32_e32 v6, 28, v21
	v_sub_nc_u32_e32 v21, 29, v21
	s_delay_alu instid0(VALU_DEP_2) | instskip(NEXT) | instid1(VALU_DEP_1)
	v_lshlrev_b64 v[6:7], v6, v[12:13]
	v_and_b32_e32 v6, 7, v6
; %bb.5052:                             ;   in Loop: Header=BB450_3110 Depth=1
	s_or_b32 exec_lo, exec_lo, s26
	v_lshlrev_b32_e32 v7, 24, v9
	s_delay_alu instid0(VALU_DEP_2) | instskip(SKIP_1) | instid1(VALU_DEP_3)
	v_lshlrev_b32_e32 v6, 20, v6
	v_lshl_add_u32 v9, v21, 23, 0x3c000000
	v_and_b32_e32 v7, 0x80000000, v7
	s_delay_alu instid0(VALU_DEP_1)
	v_or3_b32 v6, v6, v7, v9
.LBB450_5053:                           ;   in Loop: Header=BB450_3110 Depth=1
	s_or_b32 exec_lo, exec_lo, s25
.LBB450_5054:                           ;   in Loop: Header=BB450_3110 Depth=1
	s_delay_alu instid0(SALU_CYCLE_1)
	s_or_b32 exec_lo, exec_lo, s24
.LBB450_5055:                           ;   in Loop: Header=BB450_3110 Depth=1
	s_delay_alu instid0(SALU_CYCLE_1) | instskip(NEXT) | instid1(VALU_DEP_1)
	s_or_b32 exec_lo, exec_lo, s23
	v_mul_f32_e32 v6, v160, v6
                                        ; implicit-def: $vgpr21
	s_delay_alu instid0(VALU_DEP_1) | instskip(NEXT) | instid1(VALU_DEP_1)
	v_and_b32_e32 v7, 0x7f800000, v6
	v_cmp_ne_u32_e64 s9, 0x7f800000, v7
	s_delay_alu instid0(VALU_DEP_1) | instskip(NEXT) | instid1(SALU_CYCLE_1)
	s_and_saveexec_b32 s23, s9
	s_xor_b32 s9, exec_lo, s23
; %bb.5056:                             ;   in Loop: Header=BB450_3110 Depth=1
	v_bfe_u32 v7, v6, 16, 1
	s_delay_alu instid0(VALU_DEP_1)
	v_add3_u32 v21, v6, v7, 0x7fff
                                        ; implicit-def: $vgpr6
; %bb.5057:                             ;   in Loop: Header=BB450_3110 Depth=1
	s_and_not1_saveexec_b32 s23, s9
; %bb.5058:                             ;   in Loop: Header=BB450_3110 Depth=1
	v_and_b32_e32 v7, 0xffff, v6
	v_or_b32_e32 v9, 0x10000, v6
	s_delay_alu instid0(VALU_DEP_2) | instskip(NEXT) | instid1(VALU_DEP_1)
	v_cmp_eq_u32_e64 s9, 0, v7
	v_cndmask_b32_e64 v21, v9, v6, s9
; %bb.5059:                             ;   in Loop: Header=BB450_3110 Depth=1
	s_or_b32 exec_lo, exec_lo, s23
	v_lshrrev_b32_e32 v6, 16, v20
	v_lshrrev_b32_e32 v7, 16, v16
	;; [unrolled: 1-line block ×8, first 2 shown]
	s_and_saveexec_b32 s9, s1
; %bb.5060:                             ;   in Loop: Header=BB450_3110 Depth=1
	s_delay_alu instid0(VALU_DEP_3)
	v_cndmask_b32_e32 v12, 0, v12, vcc_lo
	v_cndmask_b32_e64 v9, 0, v9, s2
	v_cndmask_b32_e64 v10, 0, v10, s3
	;; [unrolled: 1-line block ×7, first 2 shown]
; %bb.5061:                             ;   in Loop: Header=BB450_3110 Depth=1
	s_or_b32 exec_lo, exec_lo, s9
	v_lshlrev_b32_e32 v8, 16, v12
	s_delay_alu instid0(VALU_DEP_1) | instskip(NEXT) | instid1(VALU_DEP_1)
	v_mul_f32_e32 v12, v161, v8
	v_and_b32_e32 v8, 0x7f800000, v12
	s_delay_alu instid0(VALU_DEP_1) | instskip(NEXT) | instid1(VALU_DEP_1)
	v_cmp_ne_u32_e64 s9, 0x7f800000, v8
                                        ; implicit-def: $vgpr8
	s_and_saveexec_b32 s23, s9
	s_delay_alu instid0(SALU_CYCLE_1)
	s_xor_b32 s9, exec_lo, s23
; %bb.5062:                             ;   in Loop: Header=BB450_3110 Depth=1
	v_bfe_u32 v8, v12, 16, 1
	s_delay_alu instid0(VALU_DEP_1)
	v_add3_u32 v8, v12, v8, 0x7fff
                                        ; implicit-def: $vgpr12
; %bb.5063:                             ;   in Loop: Header=BB450_3110 Depth=1
	s_and_not1_saveexec_b32 s23, s9
; %bb.5064:                             ;   in Loop: Header=BB450_3110 Depth=1
	v_and_b32_e32 v8, 0xffff, v12
	v_or_b32_e32 v16, 0x10000, v12
	s_delay_alu instid0(VALU_DEP_2) | instskip(NEXT) | instid1(VALU_DEP_1)
	v_cmp_eq_u32_e64 s9, 0, v8
	v_cndmask_b32_e64 v8, v16, v12, s9
; %bb.5065:                             ;   in Loop: Header=BB450_3110 Depth=1
	s_or_b32 exec_lo, exec_lo, s23
	v_lshlrev_b32_e32 v9, 16, v9
	s_delay_alu instid0(VALU_DEP_1) | instskip(NEXT) | instid1(VALU_DEP_1)
	v_mul_f32_e32 v12, v162, v9
	v_and_b32_e32 v9, 0x7f800000, v12
	s_delay_alu instid0(VALU_DEP_1) | instskip(NEXT) | instid1(VALU_DEP_1)
	v_cmp_ne_u32_e64 s9, 0x7f800000, v9
                                        ; implicit-def: $vgpr9
	s_and_saveexec_b32 s23, s9
	s_delay_alu instid0(SALU_CYCLE_1)
	s_xor_b32 s9, exec_lo, s23
; %bb.5066:                             ;   in Loop: Header=BB450_3110 Depth=1
	v_bfe_u32 v9, v12, 16, 1
	s_delay_alu instid0(VALU_DEP_1)
	v_add3_u32 v9, v12, v9, 0x7fff
                                        ; implicit-def: $vgpr12
; %bb.5067:                             ;   in Loop: Header=BB450_3110 Depth=1
	s_and_not1_saveexec_b32 s23, s9
; %bb.5068:                             ;   in Loop: Header=BB450_3110 Depth=1
	v_and_b32_e32 v9, 0xffff, v12
	v_or_b32_e32 v16, 0x10000, v12
	s_delay_alu instid0(VALU_DEP_2) | instskip(NEXT) | instid1(VALU_DEP_1)
	v_cmp_eq_u32_e64 s9, 0, v9
	v_cndmask_b32_e64 v9, v16, v12, s9
; %bb.5069:                             ;   in Loop: Header=BB450_3110 Depth=1
	s_or_b32 exec_lo, exec_lo, s23
	v_lshlrev_b32_e32 v10, 16, v10
                                        ; implicit-def: $vgpr119
	s_delay_alu instid0(VALU_DEP_1) | instskip(NEXT) | instid1(VALU_DEP_1)
	v_mul_f32_e32 v10, v163, v10
	v_and_b32_e32 v12, 0x7f800000, v10
	s_delay_alu instid0(VALU_DEP_1) | instskip(NEXT) | instid1(VALU_DEP_1)
	v_cmp_ne_u32_e64 s9, 0x7f800000, v12
	s_and_saveexec_b32 s23, s9
	s_delay_alu instid0(SALU_CYCLE_1)
	s_xor_b32 s9, exec_lo, s23
; %bb.5070:                             ;   in Loop: Header=BB450_3110 Depth=1
	v_bfe_u32 v12, v10, 16, 1
	s_delay_alu instid0(VALU_DEP_1)
	v_add3_u32 v119, v10, v12, 0x7fff
                                        ; implicit-def: $vgpr10
; %bb.5071:                             ;   in Loop: Header=BB450_3110 Depth=1
	s_and_not1_saveexec_b32 s23, s9
; %bb.5072:                             ;   in Loop: Header=BB450_3110 Depth=1
	v_and_b32_e32 v12, 0xffff, v10
	v_or_b32_e32 v16, 0x10000, v10
	s_delay_alu instid0(VALU_DEP_2) | instskip(NEXT) | instid1(VALU_DEP_1)
	v_cmp_eq_u32_e64 s9, 0, v12
	v_cndmask_b32_e64 v119, v16, v10, s9
; %bb.5073:                             ;   in Loop: Header=BB450_3110 Depth=1
	s_or_b32 exec_lo, exec_lo, s23
	v_lshlrev_b32_e32 v10, 16, v11
                                        ; implicit-def: $vgpr128
	s_delay_alu instid0(VALU_DEP_1) | instskip(NEXT) | instid1(VALU_DEP_1)
	v_mul_f32_e32 v10, v164, v10
	v_and_b32_e32 v11, 0x7f800000, v10
	s_delay_alu instid0(VALU_DEP_1) | instskip(NEXT) | instid1(VALU_DEP_1)
	v_cmp_ne_u32_e64 s9, 0x7f800000, v11
	s_and_saveexec_b32 s23, s9
	s_delay_alu instid0(SALU_CYCLE_1)
	s_xor_b32 s9, exec_lo, s23
; %bb.5074:                             ;   in Loop: Header=BB450_3110 Depth=1
	v_bfe_u32 v11, v10, 16, 1
	s_delay_alu instid0(VALU_DEP_1)
	v_add3_u32 v128, v10, v11, 0x7fff
                                        ; implicit-def: $vgpr10
; %bb.5075:                             ;   in Loop: Header=BB450_3110 Depth=1
	s_and_not1_saveexec_b32 s23, s9
; %bb.5076:                             ;   in Loop: Header=BB450_3110 Depth=1
	v_and_b32_e32 v11, 0xffff, v10
	v_or_b32_e32 v12, 0x10000, v10
	s_delay_alu instid0(VALU_DEP_2) | instskip(NEXT) | instid1(VALU_DEP_1)
	v_cmp_eq_u32_e64 s9, 0, v11
	v_cndmask_b32_e64 v128, v12, v10, s9
; %bb.5077:                             ;   in Loop: Header=BB450_3110 Depth=1
	s_or_b32 exec_lo, exec_lo, s23
	v_lshlrev_b32_e32 v7, 16, v7
                                        ; implicit-def: $vgpr129
	s_delay_alu instid0(VALU_DEP_1) | instskip(NEXT) | instid1(VALU_DEP_1)
	v_mul_f32_e32 v7, v165, v7
	v_and_b32_e32 v10, 0x7f800000, v7
	s_delay_alu instid0(VALU_DEP_1) | instskip(NEXT) | instid1(VALU_DEP_1)
	v_cmp_ne_u32_e64 s9, 0x7f800000, v10
	s_and_saveexec_b32 s23, s9
	s_delay_alu instid0(SALU_CYCLE_1)
	s_xor_b32 s9, exec_lo, s23
; %bb.5078:                             ;   in Loop: Header=BB450_3110 Depth=1
	v_bfe_u32 v10, v7, 16, 1
	s_delay_alu instid0(VALU_DEP_1)
	v_add3_u32 v129, v7, v10, 0x7fff
                                        ; implicit-def: $vgpr7
; %bb.5079:                             ;   in Loop: Header=BB450_3110 Depth=1
	s_and_not1_saveexec_b32 s23, s9
; %bb.5080:                             ;   in Loop: Header=BB450_3110 Depth=1
	v_and_b32_e32 v10, 0xffff, v7
	v_or_b32_e32 v11, 0x10000, v7
	s_delay_alu instid0(VALU_DEP_2) | instskip(NEXT) | instid1(VALU_DEP_1)
	v_cmp_eq_u32_e64 s9, 0, v10
	v_cndmask_b32_e64 v129, v11, v7, s9
; %bb.5081:                             ;   in Loop: Header=BB450_3110 Depth=1
	s_or_b32 exec_lo, exec_lo, s23
	v_lshlrev_b32_e32 v6, 16, v6
                                        ; implicit-def: $vgpr130
	s_delay_alu instid0(VALU_DEP_1) | instskip(NEXT) | instid1(VALU_DEP_1)
	v_mul_f32_e32 v6, v166, v6
	v_and_b32_e32 v7, 0x7f800000, v6
	s_delay_alu instid0(VALU_DEP_1) | instskip(NEXT) | instid1(VALU_DEP_1)
	v_cmp_ne_u32_e64 s9, 0x7f800000, v7
	s_and_saveexec_b32 s23, s9
	s_delay_alu instid0(SALU_CYCLE_1)
	s_xor_b32 s9, exec_lo, s23
; %bb.5082:                             ;   in Loop: Header=BB450_3110 Depth=1
	v_bfe_u32 v7, v6, 16, 1
	s_delay_alu instid0(VALU_DEP_1)
	v_add3_u32 v130, v6, v7, 0x7fff
                                        ; implicit-def: $vgpr6
; %bb.5083:                             ;   in Loop: Header=BB450_3110 Depth=1
	s_and_not1_saveexec_b32 s23, s9
; %bb.5084:                             ;   in Loop: Header=BB450_3110 Depth=1
	v_and_b32_e32 v7, 0xffff, v6
	v_or_b32_e32 v10, 0x10000, v6
	s_delay_alu instid0(VALU_DEP_2) | instskip(NEXT) | instid1(VALU_DEP_1)
	v_cmp_eq_u32_e64 s9, 0, v7
	v_cndmask_b32_e64 v130, v10, v6, s9
; %bb.5085:                             ;   in Loop: Header=BB450_3110 Depth=1
	s_or_b32 exec_lo, exec_lo, s23
	v_lshlrev_b32_e32 v5, 16, v5
                                        ; implicit-def: $vgpr131
	s_delay_alu instid0(VALU_DEP_1) | instskip(NEXT) | instid1(VALU_DEP_1)
	v_mul_f32_e32 v5, v167, v5
	v_and_b32_e32 v6, 0x7f800000, v5
	s_delay_alu instid0(VALU_DEP_1) | instskip(NEXT) | instid1(VALU_DEP_1)
	v_cmp_ne_u32_e64 s9, 0x7f800000, v6
	s_and_saveexec_b32 s23, s9
	s_delay_alu instid0(SALU_CYCLE_1)
	s_xor_b32 s9, exec_lo, s23
; %bb.5086:                             ;   in Loop: Header=BB450_3110 Depth=1
	v_bfe_u32 v6, v5, 16, 1
	s_delay_alu instid0(VALU_DEP_1)
	v_add3_u32 v131, v5, v6, 0x7fff
                                        ; implicit-def: $vgpr5
; %bb.5087:                             ;   in Loop: Header=BB450_3110 Depth=1
	s_and_not1_saveexec_b32 s23, s9
; %bb.5088:                             ;   in Loop: Header=BB450_3110 Depth=1
	v_and_b32_e32 v6, 0xffff, v5
	v_or_b32_e32 v7, 0x10000, v5
	s_delay_alu instid0(VALU_DEP_2) | instskip(NEXT) | instid1(VALU_DEP_1)
	v_cmp_eq_u32_e64 s9, 0, v6
	v_cndmask_b32_e64 v131, v7, v5, s9
; %bb.5089:                             ;   in Loop: Header=BB450_3110 Depth=1
	s_or_b32 exec_lo, exec_lo, s23
	v_lshlrev_b32_e32 v4, 16, v4
                                        ; implicit-def: $vgpr132
	s_delay_alu instid0(VALU_DEP_1) | instskip(NEXT) | instid1(VALU_DEP_1)
	v_mul_f32_e32 v4, v176, v4
	v_and_b32_e32 v5, 0x7f800000, v4
	s_delay_alu instid0(VALU_DEP_1) | instskip(NEXT) | instid1(VALU_DEP_1)
	v_cmp_ne_u32_e64 s9, 0x7f800000, v5
	s_and_saveexec_b32 s23, s9
	s_delay_alu instid0(SALU_CYCLE_1)
	s_xor_b32 s9, exec_lo, s23
; %bb.5090:                             ;   in Loop: Header=BB450_3110 Depth=1
	v_bfe_u32 v5, v4, 16, 1
	s_delay_alu instid0(VALU_DEP_1)
	v_add3_u32 v132, v4, v5, 0x7fff
                                        ; implicit-def: $vgpr4
; %bb.5091:                             ;   in Loop: Header=BB450_3110 Depth=1
	s_and_not1_saveexec_b32 s23, s9
; %bb.5092:                             ;   in Loop: Header=BB450_3110 Depth=1
	v_and_b32_e32 v5, 0xffff, v4
	v_or_b32_e32 v6, 0x10000, v4
	s_delay_alu instid0(VALU_DEP_2) | instskip(NEXT) | instid1(VALU_DEP_1)
	v_cmp_eq_u32_e64 s9, 0, v5
	v_cndmask_b32_e64 v132, v6, v4, s9
; %bb.5093:                             ;   in Loop: Header=BB450_3110 Depth=1
	s_or_b32 exec_lo, exec_lo, s23
	flat_load_b64 v[2:3], v[2:3] offset:3840
	s_mov_b32 s23, exec_lo
	s_waitcnt vmcnt(0) lgkmcnt(0)
	v_dual_mov_b32 v4, 0 :: v_dual_and_b32 v5, 0xff, v2
	s_delay_alu instid0(VALU_DEP_1)
	v_cmpx_ne_u16_e32 0, v5
	s_cbranch_execz .LBB450_5101
; %bb.5094:                             ;   in Loop: Header=BB450_3110 Depth=1
	v_bfrev_b32_e32 v4, 1
	s_mov_b32 s24, exec_lo
	v_cmpx_ne_u16_e32 0x80, v5
	s_cbranch_execz .LBB450_5100
; %bb.5095:                             ;   in Loop: Header=BB450_3110 Depth=1
	v_and_b32_e32 v5, 0x7f, v2
	v_mov_b32_e32 v4, 0x7f800001
	s_mov_b32 s25, exec_lo
	s_delay_alu instid0(VALU_DEP_2)
	v_cmpx_ne_u32_e32 0x7f, v5
	s_cbranch_execz .LBB450_5099
; %bb.5096:                             ;   in Loop: Header=BB450_3110 Depth=1
	v_lshrrev_b32_e32 v4, 3, v5
	v_dual_mov_b32 v7, v3 :: v_dual_mov_b32 v6, v2
	s_mov_b32 s26, exec_lo
	v_cmpx_gt_u32_e32 8, v5
; %bb.5097:                             ;   in Loop: Header=BB450_3110 Depth=1
	v_and_b32_e32 v4, 7, v2
	s_delay_alu instid0(VALU_DEP_1) | instskip(NEXT) | instid1(VALU_DEP_1)
	v_clz_i32_u32_e32 v4, v4
	v_min_u32_e32 v4, 32, v4
	s_delay_alu instid0(VALU_DEP_1) | instskip(SKIP_1) | instid1(VALU_DEP_2)
	v_subrev_nc_u32_e32 v5, 28, v4
	v_sub_nc_u32_e32 v4, 29, v4
	v_lshlrev_b64 v[6:7], v5, v[2:3]
; %bb.5098:                             ;   in Loop: Header=BB450_3110 Depth=1
	s_or_b32 exec_lo, exec_lo, s26
	s_delay_alu instid0(VALU_DEP_1) | instskip(SKIP_2) | instid1(VALU_DEP_3)
	v_lshlrev_b32_e32 v5, 20, v6
	v_lshlrev_b32_e32 v6, 24, v2
	v_lshl_add_u32 v4, v4, 23, 0x3c000000
	v_and_b32_e32 v5, 0x700000, v5
	s_delay_alu instid0(VALU_DEP_3) | instskip(NEXT) | instid1(VALU_DEP_1)
	v_and_b32_e32 v6, 0x80000000, v6
	v_or3_b32 v4, v5, v6, v4
.LBB450_5099:                           ;   in Loop: Header=BB450_3110 Depth=1
	s_or_b32 exec_lo, exec_lo, s25
.LBB450_5100:                           ;   in Loop: Header=BB450_3110 Depth=1
	s_delay_alu instid0(SALU_CYCLE_1)
	s_or_b32 exec_lo, exec_lo, s24
.LBB450_5101:                           ;   in Loop: Header=BB450_3110 Depth=1
	s_delay_alu instid0(SALU_CYCLE_1) | instskip(NEXT) | instid1(VALU_DEP_1)
	s_or_b32 exec_lo, exec_lo, s23
	v_mul_f32_e32 v5, v160, v4
	s_delay_alu instid0(VALU_DEP_1) | instskip(NEXT) | instid1(VALU_DEP_1)
	v_and_b32_e32 v4, 0x7f800000, v5
	v_cmp_ne_u32_e64 s9, 0x7f800000, v4
                                        ; implicit-def: $vgpr4
	s_delay_alu instid0(VALU_DEP_1) | instskip(NEXT) | instid1(SALU_CYCLE_1)
	s_and_saveexec_b32 s23, s9
	s_xor_b32 s9, exec_lo, s23
; %bb.5102:                             ;   in Loop: Header=BB450_3110 Depth=1
	v_bfe_u32 v4, v5, 16, 1
	s_delay_alu instid0(VALU_DEP_1)
	v_add3_u32 v4, v5, v4, 0x7fff
                                        ; implicit-def: $vgpr5
; %bb.5103:                             ;   in Loop: Header=BB450_3110 Depth=1
	s_and_not1_saveexec_b32 s23, s9
; %bb.5104:                             ;   in Loop: Header=BB450_3110 Depth=1
	v_and_b32_e32 v4, 0xffff, v5
	v_or_b32_e32 v6, 0x10000, v5
	s_delay_alu instid0(VALU_DEP_2) | instskip(NEXT) | instid1(VALU_DEP_1)
	v_cmp_eq_u32_e64 s9, 0, v4
	v_cndmask_b32_e64 v4, v6, v5, s9
; %bb.5105:                             ;   in Loop: Header=BB450_3110 Depth=1
	s_or_b32 exec_lo, exec_lo, s23
	v_lshrrev_b16 v6, 8, v2
	v_mov_b32_e32 v5, 0
	s_mov_b32 s23, exec_lo
	s_delay_alu instid0(VALU_DEP_2)
	v_cmpx_ne_u16_e32 0, v6
	s_cbranch_execz .LBB450_5113
; %bb.5106:                             ;   in Loop: Header=BB450_3110 Depth=1
	v_bfrev_b32_e32 v5, 1
	s_mov_b32 s24, exec_lo
	v_cmpx_ne_u16_e32 0x80, v6
	s_cbranch_execz .LBB450_5112
; %bb.5107:                             ;   in Loop: Header=BB450_3110 Depth=1
	v_and_b32_e32 v6, 0xffff, v6
	v_mov_b32_e32 v5, 0x7f800001
	s_mov_b32 s25, exec_lo
	s_delay_alu instid0(VALU_DEP_2) | instskip(NEXT) | instid1(VALU_DEP_1)
	v_and_b32_e32 v10, 0x7f, v6
	v_cmpx_ne_u32_e32 0x7f, v10
	s_cbranch_execz .LBB450_5111
; %bb.5108:                             ;   in Loop: Header=BB450_3110 Depth=1
	v_and_b32_e32 v12, 7, v6
	v_lshrrev_b32_e32 v5, 3, v10
	s_mov_b32 s26, exec_lo
	s_delay_alu instid0(VALU_DEP_2)
	v_dual_mov_b32 v6, v12 :: v_dual_mov_b32 v7, v13
	v_cmpx_gt_u32_e32 8, v10
; %bb.5109:                             ;   in Loop: Header=BB450_3110 Depth=1
	v_clz_i32_u32_e32 v5, v12
	s_delay_alu instid0(VALU_DEP_1) | instskip(NEXT) | instid1(VALU_DEP_1)
	v_min_u32_e32 v5, 32, v5
	v_subrev_nc_u32_e32 v6, 28, v5
	v_sub_nc_u32_e32 v5, 29, v5
	s_delay_alu instid0(VALU_DEP_2) | instskip(NEXT) | instid1(VALU_DEP_1)
	v_lshlrev_b64 v[6:7], v6, v[12:13]
	v_and_b32_e32 v6, 7, v6
; %bb.5110:                             ;   in Loop: Header=BB450_3110 Depth=1
	s_or_b32 exec_lo, exec_lo, s26
	v_lshlrev_b32_e32 v7, 16, v2
	s_delay_alu instid0(VALU_DEP_2) | instskip(SKIP_1) | instid1(VALU_DEP_3)
	v_lshlrev_b32_e32 v6, 20, v6
	v_lshl_add_u32 v5, v5, 23, 0x3c000000
	v_and_b32_e32 v7, 0x80000000, v7
	s_delay_alu instid0(VALU_DEP_1)
	v_or3_b32 v5, v6, v7, v5
.LBB450_5111:                           ;   in Loop: Header=BB450_3110 Depth=1
	s_or_b32 exec_lo, exec_lo, s25
.LBB450_5112:                           ;   in Loop: Header=BB450_3110 Depth=1
	s_delay_alu instid0(SALU_CYCLE_1)
	s_or_b32 exec_lo, exec_lo, s24
.LBB450_5113:                           ;   in Loop: Header=BB450_3110 Depth=1
	s_delay_alu instid0(SALU_CYCLE_1) | instskip(NEXT) | instid1(VALU_DEP_1)
	s_or_b32 exec_lo, exec_lo, s23
	v_mul_f32_e32 v6, v160, v5
	s_delay_alu instid0(VALU_DEP_1) | instskip(NEXT) | instid1(VALU_DEP_1)
	v_and_b32_e32 v5, 0x7f800000, v6
	v_cmp_ne_u32_e64 s9, 0x7f800000, v5
                                        ; implicit-def: $vgpr5
	s_delay_alu instid0(VALU_DEP_1) | instskip(NEXT) | instid1(SALU_CYCLE_1)
	s_and_saveexec_b32 s23, s9
	s_xor_b32 s9, exec_lo, s23
; %bb.5114:                             ;   in Loop: Header=BB450_3110 Depth=1
	v_bfe_u32 v5, v6, 16, 1
	s_delay_alu instid0(VALU_DEP_1)
	v_add3_u32 v5, v6, v5, 0x7fff
                                        ; implicit-def: $vgpr6
; %bb.5115:                             ;   in Loop: Header=BB450_3110 Depth=1
	s_and_not1_saveexec_b32 s23, s9
; %bb.5116:                             ;   in Loop: Header=BB450_3110 Depth=1
	v_and_b32_e32 v5, 0xffff, v6
	v_or_b32_e32 v7, 0x10000, v6
	s_delay_alu instid0(VALU_DEP_2) | instskip(NEXT) | instid1(VALU_DEP_1)
	v_cmp_eq_u32_e64 s9, 0, v5
	v_cndmask_b32_e64 v5, v7, v6, s9
; %bb.5117:                             ;   in Loop: Header=BB450_3110 Depth=1
	s_or_b32 exec_lo, exec_lo, s23
	v_lshrrev_b32_e32 v10, 16, v2
	s_mov_b32 s23, exec_lo
	s_delay_alu instid0(VALU_DEP_1) | instskip(NEXT) | instid1(VALU_DEP_1)
	v_dual_mov_b32 v6, 0 :: v_dual_and_b32 v7, 0xff, v10
	v_cmpx_ne_u16_e32 0, v7
	s_cbranch_execz .LBB450_5125
; %bb.5118:                             ;   in Loop: Header=BB450_3110 Depth=1
	v_bfrev_b32_e32 v6, 1
	s_mov_b32 s24, exec_lo
	v_cmpx_ne_u16_e32 0x80, v7
	s_cbranch_execz .LBB450_5124
; %bb.5119:                             ;   in Loop: Header=BB450_3110 Depth=1
	v_bfe_u32 v11, v2, 16, 7
	v_mov_b32_e32 v6, 0x7f800001
	s_mov_b32 s25, exec_lo
	s_delay_alu instid0(VALU_DEP_2)
	v_cmpx_ne_u32_e32 0x7f, v11
	s_cbranch_execz .LBB450_5123
; %bb.5120:                             ;   in Loop: Header=BB450_3110 Depth=1
	v_and_b32_e32 v12, 7, v10
	s_mov_b32 s26, exec_lo
	s_delay_alu instid0(VALU_DEP_1)
	v_dual_mov_b32 v6, v12 :: v_dual_mov_b32 v7, v13
	v_lshrrev_b32_e32 v7, 3, v11
	v_cmpx_gt_u32_e32 8, v11
; %bb.5121:                             ;   in Loop: Header=BB450_3110 Depth=1
	v_clz_i32_u32_e32 v6, v12
	s_delay_alu instid0(VALU_DEP_1) | instskip(NEXT) | instid1(VALU_DEP_1)
	v_min_u32_e32 v11, 32, v6
	v_subrev_nc_u32_e32 v6, 28, v11
	s_delay_alu instid0(VALU_DEP_1) | instskip(SKIP_1) | instid1(VALU_DEP_2)
	v_lshlrev_b64 v[6:7], v6, v[12:13]
	v_sub_nc_u32_e32 v7, 29, v11
	v_and_b32_e32 v6, 7, v6
; %bb.5122:                             ;   in Loop: Header=BB450_3110 Depth=1
	s_or_b32 exec_lo, exec_lo, s26
	v_lshlrev_b32_e32 v10, 24, v10
	s_delay_alu instid0(VALU_DEP_2) | instskip(SKIP_1) | instid1(VALU_DEP_3)
	v_lshlrev_b32_e32 v6, 20, v6
	v_lshl_add_u32 v7, v7, 23, 0x3c000000
	v_and_b32_e32 v10, 0x80000000, v10
	s_delay_alu instid0(VALU_DEP_1)
	v_or3_b32 v6, v6, v10, v7
.LBB450_5123:                           ;   in Loop: Header=BB450_3110 Depth=1
	s_or_b32 exec_lo, exec_lo, s25
.LBB450_5124:                           ;   in Loop: Header=BB450_3110 Depth=1
	s_delay_alu instid0(SALU_CYCLE_1)
	s_or_b32 exec_lo, exec_lo, s24
.LBB450_5125:                           ;   in Loop: Header=BB450_3110 Depth=1
	s_delay_alu instid0(SALU_CYCLE_1) | instskip(NEXT) | instid1(VALU_DEP_1)
	s_or_b32 exec_lo, exec_lo, s23
	v_mul_f32_e32 v6, v160, v6
                                        ; implicit-def: $vgpr10
	s_delay_alu instid0(VALU_DEP_1) | instskip(NEXT) | instid1(VALU_DEP_1)
	v_and_b32_e32 v7, 0x7f800000, v6
	v_cmp_ne_u32_e64 s9, 0x7f800000, v7
	s_delay_alu instid0(VALU_DEP_1) | instskip(NEXT) | instid1(SALU_CYCLE_1)
	s_and_saveexec_b32 s23, s9
	s_xor_b32 s9, exec_lo, s23
; %bb.5126:                             ;   in Loop: Header=BB450_3110 Depth=1
	v_bfe_u32 v7, v6, 16, 1
	s_delay_alu instid0(VALU_DEP_1)
	v_add3_u32 v10, v6, v7, 0x7fff
                                        ; implicit-def: $vgpr6
; %bb.5127:                             ;   in Loop: Header=BB450_3110 Depth=1
	s_and_not1_saveexec_b32 s23, s9
; %bb.5128:                             ;   in Loop: Header=BB450_3110 Depth=1
	v_and_b32_e32 v7, 0xffff, v6
	v_or_b32_e32 v10, 0x10000, v6
	s_delay_alu instid0(VALU_DEP_2) | instskip(NEXT) | instid1(VALU_DEP_1)
	v_cmp_eq_u32_e64 s9, 0, v7
	v_cndmask_b32_e64 v10, v10, v6, s9
; %bb.5129:                             ;   in Loop: Header=BB450_3110 Depth=1
	s_or_b32 exec_lo, exec_lo, s23
	v_mov_b32_e32 v6, 0
	s_mov_b32 s23, exec_lo
	v_cmpx_lt_u32_e32 0xffffff, v2
	s_cbranch_execz .LBB450_5137
; %bb.5130:                             ;   in Loop: Header=BB450_3110 Depth=1
	v_lshrrev_b32_e32 v11, 24, v2
	v_bfrev_b32_e32 v6, 1
	s_mov_b32 s24, exec_lo
	s_delay_alu instid0(VALU_DEP_2)
	v_cmpx_ne_u32_e32 0x80, v11
	s_cbranch_execz .LBB450_5136
; %bb.5131:                             ;   in Loop: Header=BB450_3110 Depth=1
	v_bfe_u32 v16, v2, 24, 7
	v_mov_b32_e32 v6, 0x7f800001
	s_mov_b32 s25, exec_lo
	s_delay_alu instid0(VALU_DEP_2)
	v_cmpx_ne_u32_e32 0x7f, v16
	s_cbranch_execz .LBB450_5135
; %bb.5132:                             ;   in Loop: Header=BB450_3110 Depth=1
	v_and_b32_e32 v12, 7, v11
	s_mov_b32 s26, exec_lo
	s_delay_alu instid0(VALU_DEP_1)
	v_dual_mov_b32 v6, v12 :: v_dual_mov_b32 v7, v13
	v_lshrrev_b32_e32 v7, 3, v16
	v_cmpx_gt_u32_e32 8, v16
; %bb.5133:                             ;   in Loop: Header=BB450_3110 Depth=1
	v_clz_i32_u32_e32 v6, v12
	s_delay_alu instid0(VALU_DEP_1) | instskip(NEXT) | instid1(VALU_DEP_1)
	v_min_u32_e32 v16, 32, v6
	v_subrev_nc_u32_e32 v6, 28, v16
	s_delay_alu instid0(VALU_DEP_1) | instskip(SKIP_1) | instid1(VALU_DEP_2)
	v_lshlrev_b64 v[6:7], v6, v[12:13]
	v_sub_nc_u32_e32 v7, 29, v16
	v_and_b32_e32 v6, 7, v6
; %bb.5134:                             ;   in Loop: Header=BB450_3110 Depth=1
	s_or_b32 exec_lo, exec_lo, s26
	v_lshlrev_b32_e32 v11, 24, v11
	s_delay_alu instid0(VALU_DEP_2) | instskip(SKIP_1) | instid1(VALU_DEP_3)
	v_lshlrev_b32_e32 v6, 20, v6
	v_lshl_add_u32 v7, v7, 23, 0x3c000000
	v_and_b32_e32 v11, 0x80000000, v11
	s_delay_alu instid0(VALU_DEP_1)
	v_or3_b32 v6, v6, v11, v7
.LBB450_5135:                           ;   in Loop: Header=BB450_3110 Depth=1
	s_or_b32 exec_lo, exec_lo, s25
.LBB450_5136:                           ;   in Loop: Header=BB450_3110 Depth=1
	s_delay_alu instid0(SALU_CYCLE_1)
	s_or_b32 exec_lo, exec_lo, s24
.LBB450_5137:                           ;   in Loop: Header=BB450_3110 Depth=1
	s_delay_alu instid0(SALU_CYCLE_1) | instskip(NEXT) | instid1(VALU_DEP_1)
	s_or_b32 exec_lo, exec_lo, s23
	v_mul_f32_e32 v6, v160, v6
                                        ; implicit-def: $vgpr11
	s_delay_alu instid0(VALU_DEP_1) | instskip(NEXT) | instid1(VALU_DEP_1)
	v_and_b32_e32 v7, 0x7f800000, v6
	v_cmp_ne_u32_e64 s9, 0x7f800000, v7
	s_delay_alu instid0(VALU_DEP_1) | instskip(NEXT) | instid1(SALU_CYCLE_1)
	s_and_saveexec_b32 s23, s9
	s_xor_b32 s9, exec_lo, s23
; %bb.5138:                             ;   in Loop: Header=BB450_3110 Depth=1
	v_bfe_u32 v7, v6, 16, 1
	s_delay_alu instid0(VALU_DEP_1)
	v_add3_u32 v11, v6, v7, 0x7fff
                                        ; implicit-def: $vgpr6
; %bb.5139:                             ;   in Loop: Header=BB450_3110 Depth=1
	s_and_not1_saveexec_b32 s23, s9
; %bb.5140:                             ;   in Loop: Header=BB450_3110 Depth=1
	v_and_b32_e32 v7, 0xffff, v6
	v_or_b32_e32 v11, 0x10000, v6
	s_delay_alu instid0(VALU_DEP_2) | instskip(NEXT) | instid1(VALU_DEP_1)
	v_cmp_eq_u32_e64 s9, 0, v7
	v_cndmask_b32_e64 v11, v11, v6, s9
; %bb.5141:                             ;   in Loop: Header=BB450_3110 Depth=1
	s_or_b32 exec_lo, exec_lo, s23
	v_dual_mov_b32 v12, v3 :: v_dual_and_b32 v7, 0xff, v3
	v_mov_b32_e32 v6, 0
	s_mov_b32 s23, exec_lo
	s_delay_alu instid0(VALU_DEP_2)
	v_cmpx_ne_u16_e32 0, v7
	s_cbranch_execz .LBB450_5149
; %bb.5142:                             ;   in Loop: Header=BB450_3110 Depth=1
	v_bfrev_b32_e32 v6, 1
	s_mov_b32 s24, exec_lo
	v_cmpx_ne_u16_e32 0x80, v7
	s_cbranch_execz .LBB450_5148
; %bb.5143:                             ;   in Loop: Header=BB450_3110 Depth=1
	v_and_b32_e32 v16, 0x7f, v3
	v_mov_b32_e32 v6, 0x7f800001
	s_mov_b32 s25, exec_lo
	s_delay_alu instid0(VALU_DEP_2)
	v_cmpx_ne_u32_e32 0x7f, v16
	s_cbranch_execz .LBB450_5147
; %bb.5144:                             ;   in Loop: Header=BB450_3110 Depth=1
	v_dual_mov_b32 v6, v12 :: v_dual_mov_b32 v7, v13
	v_lshrrev_b32_e32 v7, 3, v16
	s_mov_b32 s26, exec_lo
	v_cmpx_gt_u32_e32 8, v16
; %bb.5145:                             ;   in Loop: Header=BB450_3110 Depth=1
	v_and_b32_e32 v6, 7, v3
	s_delay_alu instid0(VALU_DEP_1) | instskip(NEXT) | instid1(VALU_DEP_1)
	v_clz_i32_u32_e32 v6, v6
	v_min_u32_e32 v16, 32, v6
	s_delay_alu instid0(VALU_DEP_1) | instskip(NEXT) | instid1(VALU_DEP_1)
	v_subrev_nc_u32_e32 v6, 28, v16
	v_lshlrev_b64 v[6:7], v6, v[12:13]
	v_sub_nc_u32_e32 v7, 29, v16
; %bb.5146:                             ;   in Loop: Header=BB450_3110 Depth=1
	s_or_b32 exec_lo, exec_lo, s26
	s_delay_alu instid0(VALU_DEP_2) | instskip(SKIP_1) | instid1(VALU_DEP_3)
	v_lshlrev_b32_e32 v6, 20, v6
	v_lshlrev_b32_e32 v16, 24, v12
	v_lshl_add_u32 v7, v7, 23, 0x3c000000
	s_delay_alu instid0(VALU_DEP_3) | instskip(NEXT) | instid1(VALU_DEP_3)
	v_and_b32_e32 v6, 0x700000, v6
	v_and_b32_e32 v16, 0x80000000, v16
	s_delay_alu instid0(VALU_DEP_1)
	v_or3_b32 v6, v6, v16, v7
.LBB450_5147:                           ;   in Loop: Header=BB450_3110 Depth=1
	s_or_b32 exec_lo, exec_lo, s25
.LBB450_5148:                           ;   in Loop: Header=BB450_3110 Depth=1
	s_delay_alu instid0(SALU_CYCLE_1)
	s_or_b32 exec_lo, exec_lo, s24
.LBB450_5149:                           ;   in Loop: Header=BB450_3110 Depth=1
	s_delay_alu instid0(SALU_CYCLE_1) | instskip(NEXT) | instid1(VALU_DEP_1)
	s_or_b32 exec_lo, exec_lo, s23
	v_mul_f32_e32 v6, v160, v6
                                        ; implicit-def: $vgpr16
	s_delay_alu instid0(VALU_DEP_1) | instskip(NEXT) | instid1(VALU_DEP_1)
	v_and_b32_e32 v7, 0x7f800000, v6
	v_cmp_ne_u32_e64 s9, 0x7f800000, v7
	s_delay_alu instid0(VALU_DEP_1) | instskip(NEXT) | instid1(SALU_CYCLE_1)
	s_and_saveexec_b32 s23, s9
	s_xor_b32 s9, exec_lo, s23
; %bb.5150:                             ;   in Loop: Header=BB450_3110 Depth=1
	v_bfe_u32 v7, v6, 16, 1
	s_delay_alu instid0(VALU_DEP_1)
	v_add3_u32 v16, v6, v7, 0x7fff
                                        ; implicit-def: $vgpr6
; %bb.5151:                             ;   in Loop: Header=BB450_3110 Depth=1
	s_and_not1_saveexec_b32 s23, s9
; %bb.5152:                             ;   in Loop: Header=BB450_3110 Depth=1
	v_and_b32_e32 v7, 0xffff, v6
	v_or_b32_e32 v16, 0x10000, v6
	s_delay_alu instid0(VALU_DEP_2) | instskip(NEXT) | instid1(VALU_DEP_1)
	v_cmp_eq_u32_e64 s9, 0, v7
	v_cndmask_b32_e64 v16, v16, v6, s9
; %bb.5153:                             ;   in Loop: Header=BB450_3110 Depth=1
	s_or_b32 exec_lo, exec_lo, s23
	v_lshrrev_b16 v7, 8, v12
	v_mov_b32_e32 v6, 0
	s_mov_b32 s23, exec_lo
	s_delay_alu instid0(VALU_DEP_2)
	v_cmpx_ne_u16_e32 0, v7
	s_cbranch_execz .LBB450_5161
; %bb.5154:                             ;   in Loop: Header=BB450_3110 Depth=1
	v_bfrev_b32_e32 v6, 1
	s_mov_b32 s24, exec_lo
	v_cmpx_ne_u16_e32 0x80, v7
	s_cbranch_execz .LBB450_5160
; %bb.5155:                             ;   in Loop: Header=BB450_3110 Depth=1
	v_and_b32_e32 v7, 0xffff, v7
	v_mov_b32_e32 v6, 0x7f800001
	s_mov_b32 s25, exec_lo
	s_delay_alu instid0(VALU_DEP_2) | instskip(NEXT) | instid1(VALU_DEP_1)
	v_and_b32_e32 v21, 0x7f, v7
	v_cmpx_ne_u32_e32 0x7f, v21
	s_cbranch_execz .LBB450_5159
; %bb.5156:                             ;   in Loop: Header=BB450_3110 Depth=1
	v_dual_mov_b32 v7, v13 :: v_dual_and_b32 v6, 7, v7
	v_lshrrev_b32_e32 v20, 3, v21
	s_mov_b32 s26, exec_lo
	v_cmpx_gt_u32_e32 8, v21
; %bb.5157:                             ;   in Loop: Header=BB450_3110 Depth=1
	s_delay_alu instid0(VALU_DEP_3) | instskip(NEXT) | instid1(VALU_DEP_1)
	v_clz_i32_u32_e32 v20, v6
	v_min_u32_e32 v20, 32, v20
	s_delay_alu instid0(VALU_DEP_1) | instskip(SKIP_1) | instid1(VALU_DEP_2)
	v_subrev_nc_u32_e32 v21, 28, v20
	v_sub_nc_u32_e32 v20, 29, v20
	v_lshlrev_b64 v[6:7], v21, v[6:7]
	s_delay_alu instid0(VALU_DEP_1)
	v_and_b32_e32 v6, 7, v6
; %bb.5158:                             ;   in Loop: Header=BB450_3110 Depth=1
	s_or_b32 exec_lo, exec_lo, s26
	v_lshlrev_b32_e32 v7, 16, v12
	s_delay_alu instid0(VALU_DEP_2) | instskip(SKIP_1) | instid1(VALU_DEP_3)
	v_lshlrev_b32_e32 v6, 20, v6
	v_lshl_add_u32 v12, v20, 23, 0x3c000000
	v_and_b32_e32 v7, 0x80000000, v7
	s_delay_alu instid0(VALU_DEP_1)
	v_or3_b32 v6, v6, v7, v12
.LBB450_5159:                           ;   in Loop: Header=BB450_3110 Depth=1
	s_or_b32 exec_lo, exec_lo, s25
.LBB450_5160:                           ;   in Loop: Header=BB450_3110 Depth=1
	s_delay_alu instid0(SALU_CYCLE_1)
	s_or_b32 exec_lo, exec_lo, s24
.LBB450_5161:                           ;   in Loop: Header=BB450_3110 Depth=1
	s_delay_alu instid0(SALU_CYCLE_1) | instskip(NEXT) | instid1(VALU_DEP_1)
	s_or_b32 exec_lo, exec_lo, s23
	v_mul_f32_e32 v6, v160, v6
                                        ; implicit-def: $vgpr20
	s_delay_alu instid0(VALU_DEP_1) | instskip(NEXT) | instid1(VALU_DEP_1)
	v_and_b32_e32 v7, 0x7f800000, v6
	v_cmp_ne_u32_e64 s9, 0x7f800000, v7
	s_delay_alu instid0(VALU_DEP_1) | instskip(NEXT) | instid1(SALU_CYCLE_1)
	s_and_saveexec_b32 s23, s9
	s_xor_b32 s9, exec_lo, s23
; %bb.5162:                             ;   in Loop: Header=BB450_3110 Depth=1
	v_bfe_u32 v7, v6, 16, 1
	s_delay_alu instid0(VALU_DEP_1)
	v_add3_u32 v20, v6, v7, 0x7fff
                                        ; implicit-def: $vgpr6
; %bb.5163:                             ;   in Loop: Header=BB450_3110 Depth=1
	s_and_not1_saveexec_b32 s23, s9
; %bb.5164:                             ;   in Loop: Header=BB450_3110 Depth=1
	v_and_b32_e32 v7, 0xffff, v6
	v_or_b32_e32 v12, 0x10000, v6
	s_delay_alu instid0(VALU_DEP_2) | instskip(NEXT) | instid1(VALU_DEP_1)
	v_cmp_eq_u32_e64 s9, 0, v7
	v_cndmask_b32_e64 v20, v12, v6, s9
; %bb.5165:                             ;   in Loop: Header=BB450_3110 Depth=1
	s_or_b32 exec_lo, exec_lo, s23
	v_lshrrev_b32_e32 v21, 16, v3
	s_mov_b32 s23, exec_lo
	s_delay_alu instid0(VALU_DEP_1) | instskip(NEXT) | instid1(VALU_DEP_1)
	v_dual_mov_b32 v6, 0 :: v_dual_and_b32 v7, 0xff, v21
	v_cmpx_ne_u16_e32 0, v7
	s_cbranch_execz .LBB450_5173
; %bb.5166:                             ;   in Loop: Header=BB450_3110 Depth=1
	v_bfrev_b32_e32 v6, 1
	s_mov_b32 s24, exec_lo
	v_cmpx_ne_u16_e32 0x80, v7
	s_cbranch_execz .LBB450_5172
; %bb.5167:                             ;   in Loop: Header=BB450_3110 Depth=1
	v_bfe_u32 v22, v3, 16, 7
	v_mov_b32_e32 v6, 0x7f800001
	s_mov_b32 s25, exec_lo
	s_delay_alu instid0(VALU_DEP_2)
	v_cmpx_ne_u32_e32 0x7f, v22
	s_cbranch_execz .LBB450_5171
; %bb.5168:                             ;   in Loop: Header=BB450_3110 Depth=1
	v_and_b32_e32 v12, 7, v21
	s_mov_b32 s26, exec_lo
	s_delay_alu instid0(VALU_DEP_1)
	v_dual_mov_b32 v6, v12 :: v_dual_mov_b32 v7, v13
	v_lshrrev_b32_e32 v7, 3, v22
	v_cmpx_gt_u32_e32 8, v22
; %bb.5169:                             ;   in Loop: Header=BB450_3110 Depth=1
	v_clz_i32_u32_e32 v6, v12
	s_delay_alu instid0(VALU_DEP_1) | instskip(NEXT) | instid1(VALU_DEP_1)
	v_min_u32_e32 v22, 32, v6
	v_subrev_nc_u32_e32 v6, 28, v22
	s_delay_alu instid0(VALU_DEP_1) | instskip(SKIP_1) | instid1(VALU_DEP_2)
	v_lshlrev_b64 v[6:7], v6, v[12:13]
	v_sub_nc_u32_e32 v7, 29, v22
	v_and_b32_e32 v6, 7, v6
; %bb.5170:                             ;   in Loop: Header=BB450_3110 Depth=1
	s_or_b32 exec_lo, exec_lo, s26
	v_lshlrev_b32_e32 v12, 24, v21
	s_delay_alu instid0(VALU_DEP_2) | instskip(SKIP_1) | instid1(VALU_DEP_3)
	v_lshlrev_b32_e32 v6, 20, v6
	v_lshl_add_u32 v7, v7, 23, 0x3c000000
	v_and_b32_e32 v12, 0x80000000, v12
	s_delay_alu instid0(VALU_DEP_1)
	v_or3_b32 v6, v6, v12, v7
.LBB450_5171:                           ;   in Loop: Header=BB450_3110 Depth=1
	s_or_b32 exec_lo, exec_lo, s25
.LBB450_5172:                           ;   in Loop: Header=BB450_3110 Depth=1
	s_delay_alu instid0(SALU_CYCLE_1)
	s_or_b32 exec_lo, exec_lo, s24
.LBB450_5173:                           ;   in Loop: Header=BB450_3110 Depth=1
	s_delay_alu instid0(SALU_CYCLE_1) | instskip(NEXT) | instid1(VALU_DEP_1)
	s_or_b32 exec_lo, exec_lo, s23
	v_mul_f32_e32 v6, v160, v6
                                        ; implicit-def: $vgpr21
	s_delay_alu instid0(VALU_DEP_1) | instskip(NEXT) | instid1(VALU_DEP_1)
	v_and_b32_e32 v7, 0x7f800000, v6
	v_cmp_ne_u32_e64 s9, 0x7f800000, v7
	s_delay_alu instid0(VALU_DEP_1) | instskip(NEXT) | instid1(SALU_CYCLE_1)
	s_and_saveexec_b32 s23, s9
	s_xor_b32 s9, exec_lo, s23
; %bb.5174:                             ;   in Loop: Header=BB450_3110 Depth=1
	v_bfe_u32 v7, v6, 16, 1
	s_delay_alu instid0(VALU_DEP_1)
	v_add3_u32 v21, v6, v7, 0x7fff
                                        ; implicit-def: $vgpr6
; %bb.5175:                             ;   in Loop: Header=BB450_3110 Depth=1
	s_and_not1_saveexec_b32 s23, s9
; %bb.5176:                             ;   in Loop: Header=BB450_3110 Depth=1
	v_and_b32_e32 v7, 0xffff, v6
	v_or_b32_e32 v12, 0x10000, v6
	s_delay_alu instid0(VALU_DEP_2) | instskip(NEXT) | instid1(VALU_DEP_1)
	v_cmp_eq_u32_e64 s9, 0, v7
	v_cndmask_b32_e64 v21, v12, v6, s9
; %bb.5177:                             ;   in Loop: Header=BB450_3110 Depth=1
	s_or_b32 exec_lo, exec_lo, s23
	v_cmp_lt_u64_e64 s9, s[18:19], v[2:3]
	v_mov_b32_e32 v2, 0
	s_delay_alu instid0(VALU_DEP_2)
	s_and_saveexec_b32 s23, s9
	s_cbranch_execz .LBB450_5185
; %bb.5178:                             ;   in Loop: Header=BB450_3110 Depth=1
	v_lshrrev_b32_e32 v6, 24, v3
	v_bfrev_b32_e32 v2, 1
	s_mov_b32 s24, exec_lo
	s_delay_alu instid0(VALU_DEP_2)
	v_cmpx_ne_u32_e32 0x80, v6
	s_cbranch_execz .LBB450_5184
; %bb.5179:                             ;   in Loop: Header=BB450_3110 Depth=1
	v_bfe_u32 v7, v3, 24, 7
	v_mov_b32_e32 v2, 0x7f800001
	s_mov_b32 s25, exec_lo
	s_delay_alu instid0(VALU_DEP_2)
	v_cmpx_ne_u32_e32 0x7f, v7
	s_cbranch_execz .LBB450_5183
; %bb.5180:                             ;   in Loop: Header=BB450_3110 Depth=1
	v_and_b32_e32 v12, 7, v6
	s_mov_b32 s26, exec_lo
	s_delay_alu instid0(VALU_DEP_1)
	v_dual_mov_b32 v2, v12 :: v_dual_mov_b32 v3, v13
	v_lshrrev_b32_e32 v3, 3, v7
	v_cmpx_gt_u32_e32 8, v7
; %bb.5181:                             ;   in Loop: Header=BB450_3110 Depth=1
	v_clz_i32_u32_e32 v2, v12
	s_delay_alu instid0(VALU_DEP_1) | instskip(NEXT) | instid1(VALU_DEP_1)
	v_min_u32_e32 v7, 32, v2
	v_subrev_nc_u32_e32 v2, 28, v7
	s_delay_alu instid0(VALU_DEP_1) | instskip(SKIP_1) | instid1(VALU_DEP_2)
	v_lshlrev_b64 v[2:3], v2, v[12:13]
	v_sub_nc_u32_e32 v3, 29, v7
	v_and_b32_e32 v2, 7, v2
; %bb.5182:                             ;   in Loop: Header=BB450_3110 Depth=1
	s_or_b32 exec_lo, exec_lo, s26
	v_lshlrev_b32_e32 v6, 24, v6
	s_delay_alu instid0(VALU_DEP_2) | instskip(SKIP_1) | instid1(VALU_DEP_3)
	v_lshlrev_b32_e32 v2, 20, v2
	v_lshl_add_u32 v3, v3, 23, 0x3c000000
	v_and_b32_e32 v6, 0x80000000, v6
	s_delay_alu instid0(VALU_DEP_1)
	v_or3_b32 v2, v2, v6, v3
.LBB450_5183:                           ;   in Loop: Header=BB450_3110 Depth=1
	s_or_b32 exec_lo, exec_lo, s25
.LBB450_5184:                           ;   in Loop: Header=BB450_3110 Depth=1
	s_delay_alu instid0(SALU_CYCLE_1)
	s_or_b32 exec_lo, exec_lo, s24
.LBB450_5185:                           ;   in Loop: Header=BB450_3110 Depth=1
	s_delay_alu instid0(SALU_CYCLE_1) | instskip(NEXT) | instid1(VALU_DEP_1)
	s_or_b32 exec_lo, exec_lo, s23
	v_mul_f32_e32 v3, v160, v2
	s_delay_alu instid0(VALU_DEP_1) | instskip(NEXT) | instid1(VALU_DEP_1)
	v_and_b32_e32 v2, 0x7f800000, v3
	v_cmp_ne_u32_e64 s9, 0x7f800000, v2
                                        ; implicit-def: $vgpr2
	s_delay_alu instid0(VALU_DEP_1) | instskip(NEXT) | instid1(SALU_CYCLE_1)
	s_and_saveexec_b32 s23, s9
	s_xor_b32 s9, exec_lo, s23
; %bb.5186:                             ;   in Loop: Header=BB450_3110 Depth=1
	v_bfe_u32 v2, v3, 16, 1
	s_delay_alu instid0(VALU_DEP_1)
	v_add3_u32 v2, v3, v2, 0x7fff
                                        ; implicit-def: $vgpr3
; %bb.5187:                             ;   in Loop: Header=BB450_3110 Depth=1
	s_and_not1_saveexec_b32 s23, s9
; %bb.5188:                             ;   in Loop: Header=BB450_3110 Depth=1
	v_and_b32_e32 v2, 0xffff, v3
	v_or_b32_e32 v6, 0x10000, v3
	s_delay_alu instid0(VALU_DEP_2) | instskip(NEXT) | instid1(VALU_DEP_1)
	v_cmp_eq_u32_e64 s9, 0, v2
	v_cndmask_b32_e64 v2, v6, v3, s9
; %bb.5189:                             ;   in Loop: Header=BB450_3110 Depth=1
	s_or_b32 exec_lo, exec_lo, s23
	v_lshrrev_b32_e32 v6, 16, v20
	v_lshrrev_b32_e32 v7, 16, v16
	;; [unrolled: 1-line block ×8, first 2 shown]
	s_and_saveexec_b32 s9, s1
; %bb.5190:                             ;   in Loop: Header=BB450_3110 Depth=1
	s_delay_alu instid0(VALU_DEP_3)
	v_cndmask_b32_e32 v4, 0, v4, vcc_lo
	v_cndmask_b32_e64 v5, 0, v5, s2
	v_cndmask_b32_e64 v10, 0, v10, s3
	;; [unrolled: 1-line block ×7, first 2 shown]
; %bb.5191:                             ;   in Loop: Header=BB450_3110 Depth=1
	s_or_b32 exec_lo, exec_lo, s9
	v_lshlrev_b32_e32 v4, 16, v4
                                        ; implicit-def: $vgpr133
	s_delay_alu instid0(VALU_DEP_1) | instskip(NEXT) | instid1(VALU_DEP_1)
	v_mul_f32_e32 v4, v161, v4
	v_and_b32_e32 v12, 0x7f800000, v4
	s_delay_alu instid0(VALU_DEP_1) | instskip(NEXT) | instid1(VALU_DEP_1)
	v_cmp_ne_u32_e64 s9, 0x7f800000, v12
	s_and_saveexec_b32 s23, s9
	s_delay_alu instid0(SALU_CYCLE_1)
	s_xor_b32 s9, exec_lo, s23
; %bb.5192:                             ;   in Loop: Header=BB450_3110 Depth=1
	v_bfe_u32 v12, v4, 16, 1
	s_delay_alu instid0(VALU_DEP_1)
	v_add3_u32 v133, v4, v12, 0x7fff
                                        ; implicit-def: $vgpr4
; %bb.5193:                             ;   in Loop: Header=BB450_3110 Depth=1
	s_and_not1_saveexec_b32 s23, s9
; %bb.5194:                             ;   in Loop: Header=BB450_3110 Depth=1
	v_and_b32_e32 v12, 0xffff, v4
	v_or_b32_e32 v16, 0x10000, v4
	s_delay_alu instid0(VALU_DEP_2) | instskip(NEXT) | instid1(VALU_DEP_1)
	v_cmp_eq_u32_e64 s9, 0, v12
	v_cndmask_b32_e64 v133, v16, v4, s9
; %bb.5195:                             ;   in Loop: Header=BB450_3110 Depth=1
	s_or_b32 exec_lo, exec_lo, s23
	v_lshlrev_b32_e32 v4, 16, v5
                                        ; implicit-def: $vgpr101
	s_delay_alu instid0(VALU_DEP_1) | instskip(NEXT) | instid1(VALU_DEP_1)
	v_mul_f32_e32 v4, v162, v4
	v_and_b32_e32 v5, 0x7f800000, v4
	s_delay_alu instid0(VALU_DEP_1) | instskip(NEXT) | instid1(VALU_DEP_1)
	v_cmp_ne_u32_e64 s9, 0x7f800000, v5
	s_and_saveexec_b32 s23, s9
	s_delay_alu instid0(SALU_CYCLE_1)
	s_xor_b32 s9, exec_lo, s23
; %bb.5196:                             ;   in Loop: Header=BB450_3110 Depth=1
	v_bfe_u32 v5, v4, 16, 1
	s_delay_alu instid0(VALU_DEP_1)
	v_add3_u32 v101, v4, v5, 0x7fff
                                        ; implicit-def: $vgpr4
; %bb.5197:                             ;   in Loop: Header=BB450_3110 Depth=1
	s_and_not1_saveexec_b32 s23, s9
; %bb.5198:                             ;   in Loop: Header=BB450_3110 Depth=1
	v_and_b32_e32 v5, 0xffff, v4
	v_or_b32_e32 v12, 0x10000, v4
	s_delay_alu instid0(VALU_DEP_2) | instskip(NEXT) | instid1(VALU_DEP_1)
	v_cmp_eq_u32_e64 s9, 0, v5
	v_cndmask_b32_e64 v101, v12, v4, s9
; %bb.5199:                             ;   in Loop: Header=BB450_3110 Depth=1
	s_or_b32 exec_lo, exec_lo, s23
	v_lshlrev_b32_e32 v4, 16, v10
                                        ; implicit-def: $vgpr134
	s_delay_alu instid0(VALU_DEP_1) | instskip(NEXT) | instid1(VALU_DEP_1)
	v_mul_f32_e32 v4, v163, v4
	v_and_b32_e32 v5, 0x7f800000, v4
	s_delay_alu instid0(VALU_DEP_1) | instskip(NEXT) | instid1(VALU_DEP_1)
	v_cmp_ne_u32_e64 s9, 0x7f800000, v5
	s_and_saveexec_b32 s23, s9
	s_delay_alu instid0(SALU_CYCLE_1)
	s_xor_b32 s9, exec_lo, s23
; %bb.5200:                             ;   in Loop: Header=BB450_3110 Depth=1
	v_bfe_u32 v5, v4, 16, 1
	s_delay_alu instid0(VALU_DEP_1)
	v_add3_u32 v134, v4, v5, 0x7fff
                                        ; implicit-def: $vgpr4
; %bb.5201:                             ;   in Loop: Header=BB450_3110 Depth=1
	s_and_not1_saveexec_b32 s23, s9
; %bb.5202:                             ;   in Loop: Header=BB450_3110 Depth=1
	v_and_b32_e32 v5, 0xffff, v4
	v_or_b32_e32 v10, 0x10000, v4
	s_delay_alu instid0(VALU_DEP_2) | instskip(NEXT) | instid1(VALU_DEP_1)
	v_cmp_eq_u32_e64 s9, 0, v5
	v_cndmask_b32_e64 v134, v10, v4, s9
; %bb.5203:                             ;   in Loop: Header=BB450_3110 Depth=1
	s_or_b32 exec_lo, exec_lo, s23
	v_lshlrev_b32_e32 v4, 16, v11
                                        ; implicit-def: $vgpr27
	s_delay_alu instid0(VALU_DEP_1) | instskip(NEXT) | instid1(VALU_DEP_1)
	v_mul_f32_e32 v4, v164, v4
	v_and_b32_e32 v5, 0x7f800000, v4
	s_delay_alu instid0(VALU_DEP_1) | instskip(NEXT) | instid1(VALU_DEP_1)
	v_cmp_ne_u32_e64 s9, 0x7f800000, v5
	s_and_saveexec_b32 s23, s9
	s_delay_alu instid0(SALU_CYCLE_1)
	s_xor_b32 s9, exec_lo, s23
; %bb.5204:                             ;   in Loop: Header=BB450_3110 Depth=1
	v_bfe_u32 v5, v4, 16, 1
	s_delay_alu instid0(VALU_DEP_1)
	v_add3_u32 v27, v4, v5, 0x7fff
                                        ; implicit-def: $vgpr4
; %bb.5205:                             ;   in Loop: Header=BB450_3110 Depth=1
	s_and_not1_saveexec_b32 s23, s9
; %bb.5206:                             ;   in Loop: Header=BB450_3110 Depth=1
	v_and_b32_e32 v5, 0xffff, v4
	v_or_b32_e32 v10, 0x10000, v4
	s_delay_alu instid0(VALU_DEP_2) | instskip(NEXT) | instid1(VALU_DEP_1)
	v_cmp_eq_u32_e64 s9, 0, v5
	v_cndmask_b32_e64 v27, v10, v4, s9
; %bb.5207:                             ;   in Loop: Header=BB450_3110 Depth=1
	s_or_b32 exec_lo, exec_lo, s23
	v_lshlrev_b32_e32 v4, 16, v7
                                        ; implicit-def: $vgpr26
	s_delay_alu instid0(VALU_DEP_1) | instskip(NEXT) | instid1(VALU_DEP_1)
	v_mul_f32_e32 v4, v165, v4
	v_and_b32_e32 v5, 0x7f800000, v4
	s_delay_alu instid0(VALU_DEP_1) | instskip(NEXT) | instid1(VALU_DEP_1)
	v_cmp_ne_u32_e64 s9, 0x7f800000, v5
	s_and_saveexec_b32 s23, s9
	s_delay_alu instid0(SALU_CYCLE_1)
	s_xor_b32 s9, exec_lo, s23
; %bb.5208:                             ;   in Loop: Header=BB450_3110 Depth=1
	v_bfe_u32 v5, v4, 16, 1
	s_delay_alu instid0(VALU_DEP_1)
	v_add3_u32 v26, v4, v5, 0x7fff
                                        ; implicit-def: $vgpr4
; %bb.5209:                             ;   in Loop: Header=BB450_3110 Depth=1
	s_and_not1_saveexec_b32 s23, s9
; %bb.5210:                             ;   in Loop: Header=BB450_3110 Depth=1
	v_and_b32_e32 v5, 0xffff, v4
	v_or_b32_e32 v7, 0x10000, v4
	s_delay_alu instid0(VALU_DEP_2) | instskip(NEXT) | instid1(VALU_DEP_1)
	v_cmp_eq_u32_e64 s9, 0, v5
	v_cndmask_b32_e64 v26, v7, v4, s9
; %bb.5211:                             ;   in Loop: Header=BB450_3110 Depth=1
	s_or_b32 exec_lo, exec_lo, s23
	v_lshlrev_b32_e32 v4, 16, v6
                                        ; implicit-def: $vgpr52
	s_delay_alu instid0(VALU_DEP_1) | instskip(NEXT) | instid1(VALU_DEP_1)
	v_mul_f32_e32 v4, v166, v4
	v_and_b32_e32 v5, 0x7f800000, v4
	s_delay_alu instid0(VALU_DEP_1) | instskip(NEXT) | instid1(VALU_DEP_1)
	v_cmp_ne_u32_e64 s9, 0x7f800000, v5
	s_and_saveexec_b32 s23, s9
	s_delay_alu instid0(SALU_CYCLE_1)
	s_xor_b32 s9, exec_lo, s23
; %bb.5212:                             ;   in Loop: Header=BB450_3110 Depth=1
	v_bfe_u32 v5, v4, 16, 1
	s_delay_alu instid0(VALU_DEP_1)
	v_add3_u32 v52, v4, v5, 0x7fff
                                        ; implicit-def: $vgpr4
; %bb.5213:                             ;   in Loop: Header=BB450_3110 Depth=1
	s_and_not1_saveexec_b32 s23, s9
; %bb.5214:                             ;   in Loop: Header=BB450_3110 Depth=1
	v_and_b32_e32 v5, 0xffff, v4
	v_or_b32_e32 v6, 0x10000, v4
	s_delay_alu instid0(VALU_DEP_2) | instskip(NEXT) | instid1(VALU_DEP_1)
	v_cmp_eq_u32_e64 s9, 0, v5
	v_cndmask_b32_e64 v52, v6, v4, s9
; %bb.5215:                             ;   in Loop: Header=BB450_3110 Depth=1
	s_or_b32 exec_lo, exec_lo, s23
	v_lshlrev_b32_e32 v3, 16, v3
                                        ; implicit-def: $vgpr10
	s_delay_alu instid0(VALU_DEP_1) | instskip(NEXT) | instid1(VALU_DEP_1)
	v_mul_f32_e32 v3, v167, v3
	v_and_b32_e32 v4, 0x7f800000, v3
	s_delay_alu instid0(VALU_DEP_1) | instskip(NEXT) | instid1(VALU_DEP_1)
	v_cmp_ne_u32_e64 s9, 0x7f800000, v4
	s_and_saveexec_b32 s23, s9
	s_delay_alu instid0(SALU_CYCLE_1)
	s_xor_b32 s9, exec_lo, s23
; %bb.5216:                             ;   in Loop: Header=BB450_3110 Depth=1
	v_bfe_u32 v4, v3, 16, 1
	s_delay_alu instid0(VALU_DEP_1)
	v_add3_u32 v10, v3, v4, 0x7fff
                                        ; implicit-def: $vgpr3
; %bb.5217:                             ;   in Loop: Header=BB450_3110 Depth=1
	s_and_not1_saveexec_b32 s23, s9
; %bb.5218:                             ;   in Loop: Header=BB450_3110 Depth=1
	v_and_b32_e32 v4, 0xffff, v3
	v_or_b32_e32 v5, 0x10000, v3
	s_delay_alu instid0(VALU_DEP_2) | instskip(NEXT) | instid1(VALU_DEP_1)
	v_cmp_eq_u32_e64 s9, 0, v4
	v_cndmask_b32_e64 v10, v5, v3, s9
; %bb.5219:                             ;   in Loop: Header=BB450_3110 Depth=1
	s_or_b32 exec_lo, exec_lo, s23
	v_lshlrev_b32_e32 v2, 16, v2
                                        ; implicit-def: $vgpr11
	s_delay_alu instid0(VALU_DEP_1) | instskip(NEXT) | instid1(VALU_DEP_1)
	v_mul_f32_e32 v2, v176, v2
	v_and_b32_e32 v3, 0x7f800000, v2
	s_delay_alu instid0(VALU_DEP_1) | instskip(NEXT) | instid1(VALU_DEP_1)
	v_cmp_ne_u32_e64 s9, 0x7f800000, v3
	s_and_saveexec_b32 s23, s9
	s_delay_alu instid0(SALU_CYCLE_1)
	s_xor_b32 s9, exec_lo, s23
; %bb.5220:                             ;   in Loop: Header=BB450_3110 Depth=1
	v_bfe_u32 v3, v2, 16, 1
	s_delay_alu instid0(VALU_DEP_1)
	v_add3_u32 v11, v2, v3, 0x7fff
                                        ; implicit-def: $vgpr2
; %bb.5221:                             ;   in Loop: Header=BB450_3110 Depth=1
	s_and_not1_saveexec_b32 s23, s9
; %bb.5222:                             ;   in Loop: Header=BB450_3110 Depth=1
	v_and_b32_e32 v3, 0xffff, v2
	v_or_b32_e32 v4, 0x10000, v2
	s_delay_alu instid0(VALU_DEP_2) | instskip(NEXT) | instid1(VALU_DEP_1)
	v_cmp_eq_u32_e64 s9, 0, v3
	v_cndmask_b32_e64 v11, v4, v2, s9
; %bb.5223:                             ;   in Loop: Header=BB450_3110 Depth=1
	s_or_b32 exec_lo, exec_lo, s23
	scratch_load_b32 v2, off, s32 offset:880 ; 4-byte Folded Reload
	s_mov_b32 s23, exec_lo
	v_mov_b32_e32 v4, 0
	s_waitcnt vmcnt(0)
	v_add_co_u32 v2, s9, v0, v2
	s_delay_alu instid0(VALU_DEP_1) | instskip(SKIP_3) | instid1(VALU_DEP_1)
	v_add_co_ci_u32_e64 v3, s9, 0, v1, s9
	flat_load_b64 v[2:3], v[2:3]
	s_waitcnt vmcnt(0) lgkmcnt(0)
	v_and_b32_e32 v5, 0xff, v2
	v_cmpx_ne_u16_e32 0, v5
	s_cbranch_execz .LBB450_5231
; %bb.5224:                             ;   in Loop: Header=BB450_3110 Depth=1
	v_bfrev_b32_e32 v4, 1
	s_mov_b32 s24, exec_lo
	v_cmpx_ne_u16_e32 0x80, v5
	s_cbranch_execz .LBB450_5230
; %bb.5225:                             ;   in Loop: Header=BB450_3110 Depth=1
	v_and_b32_e32 v5, 0x7f, v2
	v_mov_b32_e32 v4, 0x7f800001
	s_mov_b32 s25, exec_lo
	s_delay_alu instid0(VALU_DEP_2)
	v_cmpx_ne_u32_e32 0x7f, v5
	s_cbranch_execz .LBB450_5229
; %bb.5226:                             ;   in Loop: Header=BB450_3110 Depth=1
	v_lshrrev_b32_e32 v4, 3, v5
	v_dual_mov_b32 v7, v3 :: v_dual_mov_b32 v6, v2
	s_mov_b32 s26, exec_lo
	v_cmpx_gt_u32_e32 8, v5
; %bb.5227:                             ;   in Loop: Header=BB450_3110 Depth=1
	v_and_b32_e32 v4, 7, v2
	s_delay_alu instid0(VALU_DEP_1) | instskip(NEXT) | instid1(VALU_DEP_1)
	v_clz_i32_u32_e32 v4, v4
	v_min_u32_e32 v4, 32, v4
	s_delay_alu instid0(VALU_DEP_1) | instskip(SKIP_1) | instid1(VALU_DEP_2)
	v_subrev_nc_u32_e32 v5, 28, v4
	v_sub_nc_u32_e32 v4, 29, v4
	v_lshlrev_b64 v[6:7], v5, v[2:3]
; %bb.5228:                             ;   in Loop: Header=BB450_3110 Depth=1
	s_or_b32 exec_lo, exec_lo, s26
	s_delay_alu instid0(VALU_DEP_1) | instskip(SKIP_2) | instid1(VALU_DEP_3)
	v_lshlrev_b32_e32 v5, 20, v6
	v_lshlrev_b32_e32 v6, 24, v2
	v_lshl_add_u32 v4, v4, 23, 0x3c000000
	v_and_b32_e32 v5, 0x700000, v5
	s_delay_alu instid0(VALU_DEP_3) | instskip(NEXT) | instid1(VALU_DEP_1)
	v_and_b32_e32 v6, 0x80000000, v6
	v_or3_b32 v4, v5, v6, v4
.LBB450_5229:                           ;   in Loop: Header=BB450_3110 Depth=1
	s_or_b32 exec_lo, exec_lo, s25
.LBB450_5230:                           ;   in Loop: Header=BB450_3110 Depth=1
	s_delay_alu instid0(SALU_CYCLE_1)
	s_or_b32 exec_lo, exec_lo, s24
.LBB450_5231:                           ;   in Loop: Header=BB450_3110 Depth=1
	s_delay_alu instid0(SALU_CYCLE_1) | instskip(NEXT) | instid1(VALU_DEP_1)
	s_or_b32 exec_lo, exec_lo, s23
	v_mul_f32_e32 v5, v160, v4
	s_delay_alu instid0(VALU_DEP_1) | instskip(NEXT) | instid1(VALU_DEP_1)
	v_and_b32_e32 v4, 0x7f800000, v5
	v_cmp_ne_u32_e64 s9, 0x7f800000, v4
                                        ; implicit-def: $vgpr4
	s_delay_alu instid0(VALU_DEP_1) | instskip(NEXT) | instid1(SALU_CYCLE_1)
	s_and_saveexec_b32 s23, s9
	s_xor_b32 s9, exec_lo, s23
; %bb.5232:                             ;   in Loop: Header=BB450_3110 Depth=1
	v_bfe_u32 v4, v5, 16, 1
	s_delay_alu instid0(VALU_DEP_1)
	v_add3_u32 v4, v5, v4, 0x7fff
                                        ; implicit-def: $vgpr5
; %bb.5233:                             ;   in Loop: Header=BB450_3110 Depth=1
	s_and_not1_saveexec_b32 s23, s9
; %bb.5234:                             ;   in Loop: Header=BB450_3110 Depth=1
	v_and_b32_e32 v4, 0xffff, v5
	v_or_b32_e32 v6, 0x10000, v5
	s_delay_alu instid0(VALU_DEP_2) | instskip(NEXT) | instid1(VALU_DEP_1)
	v_cmp_eq_u32_e64 s9, 0, v4
	v_cndmask_b32_e64 v4, v6, v5, s9
; %bb.5235:                             ;   in Loop: Header=BB450_3110 Depth=1
	s_or_b32 exec_lo, exec_lo, s23
	v_lshrrev_b16 v6, 8, v2
	v_mov_b32_e32 v5, 0
	s_mov_b32 s23, exec_lo
	s_delay_alu instid0(VALU_DEP_2)
	v_cmpx_ne_u16_e32 0, v6
	s_cbranch_execz .LBB450_5243
; %bb.5236:                             ;   in Loop: Header=BB450_3110 Depth=1
	v_bfrev_b32_e32 v5, 1
	s_mov_b32 s24, exec_lo
	v_cmpx_ne_u16_e32 0x80, v6
	s_cbranch_execz .LBB450_5242
; %bb.5237:                             ;   in Loop: Header=BB450_3110 Depth=1
	v_and_b32_e32 v6, 0xffff, v6
	v_mov_b32_e32 v5, 0x7f800001
	s_mov_b32 s25, exec_lo
	s_delay_alu instid0(VALU_DEP_2) | instskip(NEXT) | instid1(VALU_DEP_1)
	v_and_b32_e32 v16, 0x7f, v6
	v_cmpx_ne_u32_e32 0x7f, v16
	s_cbranch_execz .LBB450_5241
; %bb.5238:                             ;   in Loop: Header=BB450_3110 Depth=1
	v_and_b32_e32 v12, 7, v6
	v_lshrrev_b32_e32 v5, 3, v16
	s_mov_b32 s26, exec_lo
	s_delay_alu instid0(VALU_DEP_2)
	v_dual_mov_b32 v6, v12 :: v_dual_mov_b32 v7, v13
	v_cmpx_gt_u32_e32 8, v16
; %bb.5239:                             ;   in Loop: Header=BB450_3110 Depth=1
	v_clz_i32_u32_e32 v5, v12
	s_delay_alu instid0(VALU_DEP_1) | instskip(NEXT) | instid1(VALU_DEP_1)
	v_min_u32_e32 v5, 32, v5
	v_subrev_nc_u32_e32 v6, 28, v5
	v_sub_nc_u32_e32 v5, 29, v5
	s_delay_alu instid0(VALU_DEP_2) | instskip(NEXT) | instid1(VALU_DEP_1)
	v_lshlrev_b64 v[6:7], v6, v[12:13]
	v_and_b32_e32 v6, 7, v6
; %bb.5240:                             ;   in Loop: Header=BB450_3110 Depth=1
	s_or_b32 exec_lo, exec_lo, s26
	v_lshlrev_b32_e32 v7, 16, v2
	s_delay_alu instid0(VALU_DEP_2) | instskip(SKIP_1) | instid1(VALU_DEP_3)
	v_lshlrev_b32_e32 v6, 20, v6
	v_lshl_add_u32 v5, v5, 23, 0x3c000000
	v_and_b32_e32 v7, 0x80000000, v7
	s_delay_alu instid0(VALU_DEP_1)
	v_or3_b32 v5, v6, v7, v5
.LBB450_5241:                           ;   in Loop: Header=BB450_3110 Depth=1
	s_or_b32 exec_lo, exec_lo, s25
.LBB450_5242:                           ;   in Loop: Header=BB450_3110 Depth=1
	s_delay_alu instid0(SALU_CYCLE_1)
	s_or_b32 exec_lo, exec_lo, s24
.LBB450_5243:                           ;   in Loop: Header=BB450_3110 Depth=1
	s_delay_alu instid0(SALU_CYCLE_1) | instskip(NEXT) | instid1(VALU_DEP_1)
	s_or_b32 exec_lo, exec_lo, s23
	v_mul_f32_e32 v6, v160, v5
	s_delay_alu instid0(VALU_DEP_1) | instskip(NEXT) | instid1(VALU_DEP_1)
	v_and_b32_e32 v5, 0x7f800000, v6
	v_cmp_ne_u32_e64 s9, 0x7f800000, v5
                                        ; implicit-def: $vgpr5
	s_delay_alu instid0(VALU_DEP_1) | instskip(NEXT) | instid1(SALU_CYCLE_1)
	s_and_saveexec_b32 s23, s9
	s_xor_b32 s9, exec_lo, s23
; %bb.5244:                             ;   in Loop: Header=BB450_3110 Depth=1
	v_bfe_u32 v5, v6, 16, 1
	s_delay_alu instid0(VALU_DEP_1)
	v_add3_u32 v5, v6, v5, 0x7fff
                                        ; implicit-def: $vgpr6
; %bb.5245:                             ;   in Loop: Header=BB450_3110 Depth=1
	s_and_not1_saveexec_b32 s23, s9
; %bb.5246:                             ;   in Loop: Header=BB450_3110 Depth=1
	v_and_b32_e32 v5, 0xffff, v6
	v_or_b32_e32 v7, 0x10000, v6
	s_delay_alu instid0(VALU_DEP_2) | instskip(NEXT) | instid1(VALU_DEP_1)
	v_cmp_eq_u32_e64 s9, 0, v5
	v_cndmask_b32_e64 v5, v7, v6, s9
; %bb.5247:                             ;   in Loop: Header=BB450_3110 Depth=1
	s_or_b32 exec_lo, exec_lo, s23
	v_lshrrev_b32_e32 v16, 16, v2
	s_mov_b32 s23, exec_lo
	s_delay_alu instid0(VALU_DEP_1) | instskip(NEXT) | instid1(VALU_DEP_1)
	v_dual_mov_b32 v6, 0 :: v_dual_and_b32 v7, 0xff, v16
	v_cmpx_ne_u16_e32 0, v7
	s_cbranch_execz .LBB450_5255
; %bb.5248:                             ;   in Loop: Header=BB450_3110 Depth=1
	v_bfrev_b32_e32 v6, 1
	s_mov_b32 s24, exec_lo
	v_cmpx_ne_u16_e32 0x80, v7
	s_cbranch_execz .LBB450_5254
; %bb.5249:                             ;   in Loop: Header=BB450_3110 Depth=1
	v_bfe_u32 v20, v2, 16, 7
	v_mov_b32_e32 v6, 0x7f800001
	s_mov_b32 s25, exec_lo
	s_delay_alu instid0(VALU_DEP_2)
	v_cmpx_ne_u32_e32 0x7f, v20
	s_cbranch_execz .LBB450_5253
; %bb.5250:                             ;   in Loop: Header=BB450_3110 Depth=1
	v_and_b32_e32 v12, 7, v16
	s_mov_b32 s26, exec_lo
	s_delay_alu instid0(VALU_DEP_1)
	v_dual_mov_b32 v6, v12 :: v_dual_mov_b32 v7, v13
	v_lshrrev_b32_e32 v7, 3, v20
	v_cmpx_gt_u32_e32 8, v20
; %bb.5251:                             ;   in Loop: Header=BB450_3110 Depth=1
	v_clz_i32_u32_e32 v6, v12
	s_delay_alu instid0(VALU_DEP_1) | instskip(NEXT) | instid1(VALU_DEP_1)
	v_min_u32_e32 v20, 32, v6
	v_subrev_nc_u32_e32 v6, 28, v20
	s_delay_alu instid0(VALU_DEP_1) | instskip(SKIP_1) | instid1(VALU_DEP_2)
	v_lshlrev_b64 v[6:7], v6, v[12:13]
	v_sub_nc_u32_e32 v7, 29, v20
	v_and_b32_e32 v6, 7, v6
; %bb.5252:                             ;   in Loop: Header=BB450_3110 Depth=1
	s_or_b32 exec_lo, exec_lo, s26
	v_lshlrev_b32_e32 v12, 24, v16
	s_delay_alu instid0(VALU_DEP_2) | instskip(SKIP_1) | instid1(VALU_DEP_3)
	v_lshlrev_b32_e32 v6, 20, v6
	v_lshl_add_u32 v7, v7, 23, 0x3c000000
	v_and_b32_e32 v12, 0x80000000, v12
	s_delay_alu instid0(VALU_DEP_1)
	v_or3_b32 v6, v6, v12, v7
.LBB450_5253:                           ;   in Loop: Header=BB450_3110 Depth=1
	s_or_b32 exec_lo, exec_lo, s25
.LBB450_5254:                           ;   in Loop: Header=BB450_3110 Depth=1
	s_delay_alu instid0(SALU_CYCLE_1)
	s_or_b32 exec_lo, exec_lo, s24
.LBB450_5255:                           ;   in Loop: Header=BB450_3110 Depth=1
	s_delay_alu instid0(SALU_CYCLE_1) | instskip(NEXT) | instid1(VALU_DEP_1)
	s_or_b32 exec_lo, exec_lo, s23
	v_mul_f32_e32 v6, v160, v6
                                        ; implicit-def: $vgpr16
	s_delay_alu instid0(VALU_DEP_1) | instskip(NEXT) | instid1(VALU_DEP_1)
	v_and_b32_e32 v7, 0x7f800000, v6
	v_cmp_ne_u32_e64 s9, 0x7f800000, v7
	s_delay_alu instid0(VALU_DEP_1) | instskip(NEXT) | instid1(SALU_CYCLE_1)
	s_and_saveexec_b32 s23, s9
	s_xor_b32 s9, exec_lo, s23
; %bb.5256:                             ;   in Loop: Header=BB450_3110 Depth=1
	v_bfe_u32 v7, v6, 16, 1
	s_delay_alu instid0(VALU_DEP_1)
	v_add3_u32 v16, v6, v7, 0x7fff
                                        ; implicit-def: $vgpr6
; %bb.5257:                             ;   in Loop: Header=BB450_3110 Depth=1
	s_and_not1_saveexec_b32 s23, s9
; %bb.5258:                             ;   in Loop: Header=BB450_3110 Depth=1
	v_and_b32_e32 v7, 0xffff, v6
	v_or_b32_e32 v12, 0x10000, v6
	s_delay_alu instid0(VALU_DEP_2) | instskip(NEXT) | instid1(VALU_DEP_1)
	v_cmp_eq_u32_e64 s9, 0, v7
	v_cndmask_b32_e64 v16, v12, v6, s9
; %bb.5259:                             ;   in Loop: Header=BB450_3110 Depth=1
	s_or_b32 exec_lo, exec_lo, s23
	v_mov_b32_e32 v6, 0
	s_mov_b32 s23, exec_lo
	v_cmpx_lt_u32_e32 0xffffff, v2
	s_cbranch_execz .LBB450_5267
; %bb.5260:                             ;   in Loop: Header=BB450_3110 Depth=1
	v_lshrrev_b32_e32 v20, 24, v2
	v_bfrev_b32_e32 v6, 1
	s_mov_b32 s24, exec_lo
	s_delay_alu instid0(VALU_DEP_2)
	v_cmpx_ne_u32_e32 0x80, v20
	s_cbranch_execz .LBB450_5266
; %bb.5261:                             ;   in Loop: Header=BB450_3110 Depth=1
	v_bfe_u32 v21, v2, 24, 7
	v_mov_b32_e32 v6, 0x7f800001
	s_mov_b32 s25, exec_lo
	s_delay_alu instid0(VALU_DEP_2)
	v_cmpx_ne_u32_e32 0x7f, v21
	s_cbranch_execz .LBB450_5265
; %bb.5262:                             ;   in Loop: Header=BB450_3110 Depth=1
	v_and_b32_e32 v12, 7, v20
	s_mov_b32 s26, exec_lo
	s_delay_alu instid0(VALU_DEP_1)
	v_dual_mov_b32 v6, v12 :: v_dual_mov_b32 v7, v13
	v_lshrrev_b32_e32 v7, 3, v21
	v_cmpx_gt_u32_e32 8, v21
; %bb.5263:                             ;   in Loop: Header=BB450_3110 Depth=1
	v_clz_i32_u32_e32 v6, v12
	s_delay_alu instid0(VALU_DEP_1) | instskip(NEXT) | instid1(VALU_DEP_1)
	v_min_u32_e32 v21, 32, v6
	v_subrev_nc_u32_e32 v6, 28, v21
	s_delay_alu instid0(VALU_DEP_1) | instskip(SKIP_1) | instid1(VALU_DEP_2)
	v_lshlrev_b64 v[6:7], v6, v[12:13]
	v_sub_nc_u32_e32 v7, 29, v21
	v_and_b32_e32 v6, 7, v6
; %bb.5264:                             ;   in Loop: Header=BB450_3110 Depth=1
	s_or_b32 exec_lo, exec_lo, s26
	v_lshlrev_b32_e32 v12, 24, v20
	s_delay_alu instid0(VALU_DEP_2) | instskip(SKIP_1) | instid1(VALU_DEP_3)
	v_lshlrev_b32_e32 v6, 20, v6
	v_lshl_add_u32 v7, v7, 23, 0x3c000000
	v_and_b32_e32 v12, 0x80000000, v12
	s_delay_alu instid0(VALU_DEP_1)
	v_or3_b32 v6, v6, v12, v7
.LBB450_5265:                           ;   in Loop: Header=BB450_3110 Depth=1
	s_or_b32 exec_lo, exec_lo, s25
.LBB450_5266:                           ;   in Loop: Header=BB450_3110 Depth=1
	s_delay_alu instid0(SALU_CYCLE_1)
	s_or_b32 exec_lo, exec_lo, s24
.LBB450_5267:                           ;   in Loop: Header=BB450_3110 Depth=1
	s_delay_alu instid0(SALU_CYCLE_1) | instskip(NEXT) | instid1(VALU_DEP_1)
	s_or_b32 exec_lo, exec_lo, s23
	v_mul_f32_e32 v6, v160, v6
                                        ; implicit-def: $vgpr20
	s_delay_alu instid0(VALU_DEP_1) | instskip(NEXT) | instid1(VALU_DEP_1)
	v_and_b32_e32 v7, 0x7f800000, v6
	v_cmp_ne_u32_e64 s9, 0x7f800000, v7
	s_delay_alu instid0(VALU_DEP_1) | instskip(NEXT) | instid1(SALU_CYCLE_1)
	s_and_saveexec_b32 s23, s9
	s_xor_b32 s9, exec_lo, s23
; %bb.5268:                             ;   in Loop: Header=BB450_3110 Depth=1
	v_bfe_u32 v7, v6, 16, 1
	s_delay_alu instid0(VALU_DEP_1)
	v_add3_u32 v20, v6, v7, 0x7fff
                                        ; implicit-def: $vgpr6
; %bb.5269:                             ;   in Loop: Header=BB450_3110 Depth=1
	s_and_not1_saveexec_b32 s23, s9
; %bb.5270:                             ;   in Loop: Header=BB450_3110 Depth=1
	v_and_b32_e32 v7, 0xffff, v6
	v_or_b32_e32 v12, 0x10000, v6
	s_delay_alu instid0(VALU_DEP_2) | instskip(NEXT) | instid1(VALU_DEP_1)
	v_cmp_eq_u32_e64 s9, 0, v7
	v_cndmask_b32_e64 v20, v12, v6, s9
; %bb.5271:                             ;   in Loop: Header=BB450_3110 Depth=1
	s_or_b32 exec_lo, exec_lo, s23
	v_dual_mov_b32 v12, v3 :: v_dual_and_b32 v7, 0xff, v3
	v_mov_b32_e32 v6, 0
	s_mov_b32 s23, exec_lo
	s_delay_alu instid0(VALU_DEP_2)
	v_cmpx_ne_u16_e32 0, v7
	s_cbranch_execz .LBB450_5279
; %bb.5272:                             ;   in Loop: Header=BB450_3110 Depth=1
	v_bfrev_b32_e32 v6, 1
	s_mov_b32 s24, exec_lo
	v_cmpx_ne_u16_e32 0x80, v7
	s_cbranch_execz .LBB450_5278
; %bb.5273:                             ;   in Loop: Header=BB450_3110 Depth=1
	v_and_b32_e32 v21, 0x7f, v3
	v_mov_b32_e32 v6, 0x7f800001
	s_mov_b32 s25, exec_lo
	s_delay_alu instid0(VALU_DEP_2)
	v_cmpx_ne_u32_e32 0x7f, v21
	s_cbranch_execz .LBB450_5277
; %bb.5274:                             ;   in Loop: Header=BB450_3110 Depth=1
	v_dual_mov_b32 v6, v12 :: v_dual_mov_b32 v7, v13
	v_lshrrev_b32_e32 v7, 3, v21
	s_mov_b32 s26, exec_lo
	v_cmpx_gt_u32_e32 8, v21
; %bb.5275:                             ;   in Loop: Header=BB450_3110 Depth=1
	v_and_b32_e32 v6, 7, v3
	s_delay_alu instid0(VALU_DEP_1) | instskip(NEXT) | instid1(VALU_DEP_1)
	v_clz_i32_u32_e32 v6, v6
	v_min_u32_e32 v21, 32, v6
	s_delay_alu instid0(VALU_DEP_1) | instskip(NEXT) | instid1(VALU_DEP_1)
	v_subrev_nc_u32_e32 v6, 28, v21
	v_lshlrev_b64 v[6:7], v6, v[12:13]
	v_sub_nc_u32_e32 v7, 29, v21
; %bb.5276:                             ;   in Loop: Header=BB450_3110 Depth=1
	s_or_b32 exec_lo, exec_lo, s26
	s_delay_alu instid0(VALU_DEP_2) | instskip(SKIP_1) | instid1(VALU_DEP_3)
	v_lshlrev_b32_e32 v6, 20, v6
	v_lshlrev_b32_e32 v21, 24, v12
	v_lshl_add_u32 v7, v7, 23, 0x3c000000
	s_delay_alu instid0(VALU_DEP_3) | instskip(NEXT) | instid1(VALU_DEP_3)
	v_and_b32_e32 v6, 0x700000, v6
	v_and_b32_e32 v21, 0x80000000, v21
	s_delay_alu instid0(VALU_DEP_1)
	v_or3_b32 v6, v6, v21, v7
.LBB450_5277:                           ;   in Loop: Header=BB450_3110 Depth=1
	s_or_b32 exec_lo, exec_lo, s25
.LBB450_5278:                           ;   in Loop: Header=BB450_3110 Depth=1
	s_delay_alu instid0(SALU_CYCLE_1)
	s_or_b32 exec_lo, exec_lo, s24
.LBB450_5279:                           ;   in Loop: Header=BB450_3110 Depth=1
	s_delay_alu instid0(SALU_CYCLE_1) | instskip(NEXT) | instid1(VALU_DEP_1)
	s_or_b32 exec_lo, exec_lo, s23
	v_mul_f32_e32 v6, v160, v6
                                        ; implicit-def: $vgpr21
	s_delay_alu instid0(VALU_DEP_1) | instskip(NEXT) | instid1(VALU_DEP_1)
	v_and_b32_e32 v7, 0x7f800000, v6
	v_cmp_ne_u32_e64 s9, 0x7f800000, v7
	s_delay_alu instid0(VALU_DEP_1) | instskip(NEXT) | instid1(SALU_CYCLE_1)
	s_and_saveexec_b32 s23, s9
	s_xor_b32 s9, exec_lo, s23
; %bb.5280:                             ;   in Loop: Header=BB450_3110 Depth=1
	v_bfe_u32 v7, v6, 16, 1
	s_delay_alu instid0(VALU_DEP_1)
	v_add3_u32 v21, v6, v7, 0x7fff
                                        ; implicit-def: $vgpr6
; %bb.5281:                             ;   in Loop: Header=BB450_3110 Depth=1
	s_and_not1_saveexec_b32 s23, s9
; %bb.5282:                             ;   in Loop: Header=BB450_3110 Depth=1
	v_and_b32_e32 v7, 0xffff, v6
	v_or_b32_e32 v21, 0x10000, v6
	s_delay_alu instid0(VALU_DEP_2) | instskip(NEXT) | instid1(VALU_DEP_1)
	v_cmp_eq_u32_e64 s9, 0, v7
	v_cndmask_b32_e64 v21, v21, v6, s9
; %bb.5283:                             ;   in Loop: Header=BB450_3110 Depth=1
	s_or_b32 exec_lo, exec_lo, s23
	v_lshrrev_b16 v7, 8, v12
	v_mov_b32_e32 v6, 0
	s_mov_b32 s23, exec_lo
	s_delay_alu instid0(VALU_DEP_2)
	v_cmpx_ne_u16_e32 0, v7
	s_cbranch_execz .LBB450_5291
; %bb.5284:                             ;   in Loop: Header=BB450_3110 Depth=1
	v_bfrev_b32_e32 v6, 1
	s_mov_b32 s24, exec_lo
	v_cmpx_ne_u16_e32 0x80, v7
	s_cbranch_execz .LBB450_5290
; %bb.5285:                             ;   in Loop: Header=BB450_3110 Depth=1
	v_and_b32_e32 v7, 0xffff, v7
	v_mov_b32_e32 v6, 0x7f800001
	s_mov_b32 s25, exec_lo
	s_delay_alu instid0(VALU_DEP_2) | instskip(NEXT) | instid1(VALU_DEP_1)
	v_and_b32_e32 v24, 0x7f, v7
	v_cmpx_ne_u32_e32 0x7f, v24
	s_cbranch_execz .LBB450_5289
; %bb.5286:                             ;   in Loop: Header=BB450_3110 Depth=1
	v_dual_mov_b32 v7, v13 :: v_dual_and_b32 v6, 7, v7
	v_lshrrev_b32_e32 v22, 3, v24
	s_mov_b32 s26, exec_lo
	v_cmpx_gt_u32_e32 8, v24
; %bb.5287:                             ;   in Loop: Header=BB450_3110 Depth=1
	s_delay_alu instid0(VALU_DEP_3) | instskip(NEXT) | instid1(VALU_DEP_1)
	v_clz_i32_u32_e32 v22, v6
	v_min_u32_e32 v22, 32, v22
	s_delay_alu instid0(VALU_DEP_1) | instskip(SKIP_1) | instid1(VALU_DEP_2)
	v_subrev_nc_u32_e32 v24, 28, v22
	v_sub_nc_u32_e32 v22, 29, v22
	v_lshlrev_b64 v[6:7], v24, v[6:7]
	s_delay_alu instid0(VALU_DEP_1)
	v_and_b32_e32 v6, 7, v6
; %bb.5288:                             ;   in Loop: Header=BB450_3110 Depth=1
	s_or_b32 exec_lo, exec_lo, s26
	v_lshlrev_b32_e32 v7, 16, v12
	s_delay_alu instid0(VALU_DEP_2) | instskip(SKIP_1) | instid1(VALU_DEP_3)
	v_lshlrev_b32_e32 v6, 20, v6
	v_lshl_add_u32 v12, v22, 23, 0x3c000000
	v_and_b32_e32 v7, 0x80000000, v7
	s_delay_alu instid0(VALU_DEP_1)
	v_or3_b32 v6, v6, v7, v12
.LBB450_5289:                           ;   in Loop: Header=BB450_3110 Depth=1
	s_or_b32 exec_lo, exec_lo, s25
.LBB450_5290:                           ;   in Loop: Header=BB450_3110 Depth=1
	s_delay_alu instid0(SALU_CYCLE_1)
	s_or_b32 exec_lo, exec_lo, s24
.LBB450_5291:                           ;   in Loop: Header=BB450_3110 Depth=1
	s_delay_alu instid0(SALU_CYCLE_1) | instskip(NEXT) | instid1(VALU_DEP_1)
	s_or_b32 exec_lo, exec_lo, s23
	v_mul_f32_e32 v6, v160, v6
                                        ; implicit-def: $vgpr22
	s_delay_alu instid0(VALU_DEP_1) | instskip(NEXT) | instid1(VALU_DEP_1)
	v_and_b32_e32 v7, 0x7f800000, v6
	v_cmp_ne_u32_e64 s9, 0x7f800000, v7
	s_delay_alu instid0(VALU_DEP_1) | instskip(NEXT) | instid1(SALU_CYCLE_1)
	s_and_saveexec_b32 s23, s9
	s_xor_b32 s9, exec_lo, s23
; %bb.5292:                             ;   in Loop: Header=BB450_3110 Depth=1
	v_bfe_u32 v7, v6, 16, 1
	s_delay_alu instid0(VALU_DEP_1)
	v_add3_u32 v22, v6, v7, 0x7fff
                                        ; implicit-def: $vgpr6
; %bb.5293:                             ;   in Loop: Header=BB450_3110 Depth=1
	s_and_not1_saveexec_b32 s23, s9
; %bb.5294:                             ;   in Loop: Header=BB450_3110 Depth=1
	v_and_b32_e32 v7, 0xffff, v6
	v_or_b32_e32 v12, 0x10000, v6
	s_delay_alu instid0(VALU_DEP_2) | instskip(NEXT) | instid1(VALU_DEP_1)
	v_cmp_eq_u32_e64 s9, 0, v7
	v_cndmask_b32_e64 v22, v12, v6, s9
; %bb.5295:                             ;   in Loop: Header=BB450_3110 Depth=1
	s_or_b32 exec_lo, exec_lo, s23
	v_lshrrev_b32_e32 v24, 16, v3
	s_mov_b32 s23, exec_lo
	s_delay_alu instid0(VALU_DEP_1) | instskip(NEXT) | instid1(VALU_DEP_1)
	v_dual_mov_b32 v6, 0 :: v_dual_and_b32 v7, 0xff, v24
	v_cmpx_ne_u16_e32 0, v7
	s_cbranch_execz .LBB450_5303
; %bb.5296:                             ;   in Loop: Header=BB450_3110 Depth=1
	v_bfrev_b32_e32 v6, 1
	s_mov_b32 s24, exec_lo
	v_cmpx_ne_u16_e32 0x80, v7
	s_cbranch_execz .LBB450_5302
; %bb.5297:                             ;   in Loop: Header=BB450_3110 Depth=1
	v_bfe_u32 v25, v3, 16, 7
	v_mov_b32_e32 v6, 0x7f800001
	s_mov_b32 s25, exec_lo
	s_delay_alu instid0(VALU_DEP_2)
	v_cmpx_ne_u32_e32 0x7f, v25
	s_cbranch_execz .LBB450_5301
; %bb.5298:                             ;   in Loop: Header=BB450_3110 Depth=1
	v_and_b32_e32 v12, 7, v24
	s_mov_b32 s26, exec_lo
	s_delay_alu instid0(VALU_DEP_1)
	v_dual_mov_b32 v6, v12 :: v_dual_mov_b32 v7, v13
	v_lshrrev_b32_e32 v7, 3, v25
	v_cmpx_gt_u32_e32 8, v25
; %bb.5299:                             ;   in Loop: Header=BB450_3110 Depth=1
	v_clz_i32_u32_e32 v6, v12
	s_delay_alu instid0(VALU_DEP_1) | instskip(NEXT) | instid1(VALU_DEP_1)
	v_min_u32_e32 v25, 32, v6
	v_subrev_nc_u32_e32 v6, 28, v25
	s_delay_alu instid0(VALU_DEP_1) | instskip(SKIP_1) | instid1(VALU_DEP_2)
	v_lshlrev_b64 v[6:7], v6, v[12:13]
	v_sub_nc_u32_e32 v7, 29, v25
	v_and_b32_e32 v6, 7, v6
; %bb.5300:                             ;   in Loop: Header=BB450_3110 Depth=1
	s_or_b32 exec_lo, exec_lo, s26
	v_lshlrev_b32_e32 v12, 24, v24
	s_delay_alu instid0(VALU_DEP_2) | instskip(SKIP_1) | instid1(VALU_DEP_3)
	v_lshlrev_b32_e32 v6, 20, v6
	v_lshl_add_u32 v7, v7, 23, 0x3c000000
	v_and_b32_e32 v12, 0x80000000, v12
	s_delay_alu instid0(VALU_DEP_1)
	v_or3_b32 v6, v6, v12, v7
.LBB450_5301:                           ;   in Loop: Header=BB450_3110 Depth=1
	s_or_b32 exec_lo, exec_lo, s25
.LBB450_5302:                           ;   in Loop: Header=BB450_3110 Depth=1
	s_delay_alu instid0(SALU_CYCLE_1)
	s_or_b32 exec_lo, exec_lo, s24
.LBB450_5303:                           ;   in Loop: Header=BB450_3110 Depth=1
	s_delay_alu instid0(SALU_CYCLE_1) | instskip(NEXT) | instid1(VALU_DEP_1)
	s_or_b32 exec_lo, exec_lo, s23
	v_mul_f32_e32 v6, v160, v6
                                        ; implicit-def: $vgpr24
	s_delay_alu instid0(VALU_DEP_1) | instskip(NEXT) | instid1(VALU_DEP_1)
	v_and_b32_e32 v7, 0x7f800000, v6
	v_cmp_ne_u32_e64 s9, 0x7f800000, v7
	s_delay_alu instid0(VALU_DEP_1) | instskip(NEXT) | instid1(SALU_CYCLE_1)
	s_and_saveexec_b32 s23, s9
	s_xor_b32 s9, exec_lo, s23
; %bb.5304:                             ;   in Loop: Header=BB450_3110 Depth=1
	v_bfe_u32 v7, v6, 16, 1
	s_delay_alu instid0(VALU_DEP_1)
	v_add3_u32 v24, v6, v7, 0x7fff
                                        ; implicit-def: $vgpr6
; %bb.5305:                             ;   in Loop: Header=BB450_3110 Depth=1
	s_and_not1_saveexec_b32 s23, s9
; %bb.5306:                             ;   in Loop: Header=BB450_3110 Depth=1
	v_and_b32_e32 v7, 0xffff, v6
	v_or_b32_e32 v12, 0x10000, v6
	s_delay_alu instid0(VALU_DEP_2) | instskip(NEXT) | instid1(VALU_DEP_1)
	v_cmp_eq_u32_e64 s9, 0, v7
	v_cndmask_b32_e64 v24, v12, v6, s9
; %bb.5307:                             ;   in Loop: Header=BB450_3110 Depth=1
	s_or_b32 exec_lo, exec_lo, s23
	v_cmp_lt_u64_e64 s9, s[18:19], v[2:3]
	v_mov_b32_e32 v2, 0
	s_delay_alu instid0(VALU_DEP_2)
	s_and_saveexec_b32 s23, s9
	s_cbranch_execz .LBB450_5315
; %bb.5308:                             ;   in Loop: Header=BB450_3110 Depth=1
	v_lshrrev_b32_e32 v6, 24, v3
	v_bfrev_b32_e32 v2, 1
	s_mov_b32 s24, exec_lo
	s_delay_alu instid0(VALU_DEP_2)
	v_cmpx_ne_u32_e32 0x80, v6
	s_cbranch_execz .LBB450_5314
; %bb.5309:                             ;   in Loop: Header=BB450_3110 Depth=1
	v_bfe_u32 v7, v3, 24, 7
	v_mov_b32_e32 v2, 0x7f800001
	s_mov_b32 s25, exec_lo
	s_delay_alu instid0(VALU_DEP_2)
	v_cmpx_ne_u32_e32 0x7f, v7
	s_cbranch_execz .LBB450_5313
; %bb.5310:                             ;   in Loop: Header=BB450_3110 Depth=1
	v_and_b32_e32 v12, 7, v6
	s_mov_b32 s26, exec_lo
	s_delay_alu instid0(VALU_DEP_1)
	v_dual_mov_b32 v2, v12 :: v_dual_mov_b32 v3, v13
	v_lshrrev_b32_e32 v3, 3, v7
	v_cmpx_gt_u32_e32 8, v7
; %bb.5311:                             ;   in Loop: Header=BB450_3110 Depth=1
	v_clz_i32_u32_e32 v2, v12
	s_delay_alu instid0(VALU_DEP_1) | instskip(NEXT) | instid1(VALU_DEP_1)
	v_min_u32_e32 v7, 32, v2
	v_subrev_nc_u32_e32 v2, 28, v7
	s_delay_alu instid0(VALU_DEP_1) | instskip(SKIP_1) | instid1(VALU_DEP_2)
	v_lshlrev_b64 v[2:3], v2, v[12:13]
	v_sub_nc_u32_e32 v3, 29, v7
	v_and_b32_e32 v2, 7, v2
; %bb.5312:                             ;   in Loop: Header=BB450_3110 Depth=1
	s_or_b32 exec_lo, exec_lo, s26
	v_lshlrev_b32_e32 v6, 24, v6
	s_delay_alu instid0(VALU_DEP_2) | instskip(SKIP_1) | instid1(VALU_DEP_3)
	v_lshlrev_b32_e32 v2, 20, v2
	v_lshl_add_u32 v3, v3, 23, 0x3c000000
	v_and_b32_e32 v6, 0x80000000, v6
	s_delay_alu instid0(VALU_DEP_1)
	v_or3_b32 v2, v2, v6, v3
.LBB450_5313:                           ;   in Loop: Header=BB450_3110 Depth=1
	s_or_b32 exec_lo, exec_lo, s25
.LBB450_5314:                           ;   in Loop: Header=BB450_3110 Depth=1
	s_delay_alu instid0(SALU_CYCLE_1)
	s_or_b32 exec_lo, exec_lo, s24
.LBB450_5315:                           ;   in Loop: Header=BB450_3110 Depth=1
	s_delay_alu instid0(SALU_CYCLE_1) | instskip(NEXT) | instid1(VALU_DEP_1)
	s_or_b32 exec_lo, exec_lo, s23
	v_mul_f32_e32 v3, v160, v2
	s_delay_alu instid0(VALU_DEP_1) | instskip(NEXT) | instid1(VALU_DEP_1)
	v_and_b32_e32 v2, 0x7f800000, v3
	v_cmp_ne_u32_e64 s9, 0x7f800000, v2
                                        ; implicit-def: $vgpr2
	s_delay_alu instid0(VALU_DEP_1) | instskip(NEXT) | instid1(SALU_CYCLE_1)
	s_and_saveexec_b32 s23, s9
	s_xor_b32 s9, exec_lo, s23
; %bb.5316:                             ;   in Loop: Header=BB450_3110 Depth=1
	v_bfe_u32 v2, v3, 16, 1
	s_delay_alu instid0(VALU_DEP_1)
	v_add3_u32 v2, v3, v2, 0x7fff
                                        ; implicit-def: $vgpr3
; %bb.5317:                             ;   in Loop: Header=BB450_3110 Depth=1
	s_and_not1_saveexec_b32 s23, s9
; %bb.5318:                             ;   in Loop: Header=BB450_3110 Depth=1
	v_and_b32_e32 v2, 0xffff, v3
	v_or_b32_e32 v6, 0x10000, v3
	s_delay_alu instid0(VALU_DEP_2) | instskip(NEXT) | instid1(VALU_DEP_1)
	v_cmp_eq_u32_e64 s9, 0, v2
	v_cndmask_b32_e64 v2, v6, v3, s9
; %bb.5319:                             ;   in Loop: Header=BB450_3110 Depth=1
	s_or_b32 exec_lo, exec_lo, s23
	v_lshrrev_b32_e32 v6, 16, v22
	v_lshrrev_b32_e32 v7, 16, v21
	;; [unrolled: 1-line block ×8, first 2 shown]
	s_and_saveexec_b32 s9, s1
; %bb.5320:                             ;   in Loop: Header=BB450_3110 Depth=1
	s_delay_alu instid0(VALU_DEP_3)
	v_cndmask_b32_e32 v4, 0, v4, vcc_lo
	v_cndmask_b32_e64 v5, 0, v5, s2
	v_cndmask_b32_e64 v16, 0, v16, s3
	;; [unrolled: 1-line block ×7, first 2 shown]
; %bb.5321:                             ;   in Loop: Header=BB450_3110 Depth=1
	s_or_b32 exec_lo, exec_lo, s9
	v_lshlrev_b32_e32 v4, 16, v4
                                        ; implicit-def: $vgpr49
	s_delay_alu instid0(VALU_DEP_1) | instskip(NEXT) | instid1(VALU_DEP_1)
	v_mul_f32_e32 v4, v161, v4
	v_and_b32_e32 v20, 0x7f800000, v4
	s_delay_alu instid0(VALU_DEP_1) | instskip(NEXT) | instid1(VALU_DEP_1)
	v_cmp_ne_u32_e64 s9, 0x7f800000, v20
	s_and_saveexec_b32 s23, s9
	s_delay_alu instid0(SALU_CYCLE_1)
	s_xor_b32 s9, exec_lo, s23
; %bb.5322:                             ;   in Loop: Header=BB450_3110 Depth=1
	v_bfe_u32 v20, v4, 16, 1
	s_delay_alu instid0(VALU_DEP_1)
	v_add3_u32 v49, v4, v20, 0x7fff
                                        ; implicit-def: $vgpr4
; %bb.5323:                             ;   in Loop: Header=BB450_3110 Depth=1
	s_and_not1_saveexec_b32 s23, s9
; %bb.5324:                             ;   in Loop: Header=BB450_3110 Depth=1
	v_and_b32_e32 v20, 0xffff, v4
	v_or_b32_e32 v21, 0x10000, v4
	s_delay_alu instid0(VALU_DEP_2) | instskip(NEXT) | instid1(VALU_DEP_1)
	v_cmp_eq_u32_e64 s9, 0, v20
	v_cndmask_b32_e64 v49, v21, v4, s9
; %bb.5325:                             ;   in Loop: Header=BB450_3110 Depth=1
	s_or_b32 exec_lo, exec_lo, s23
	v_lshlrev_b32_e32 v4, 16, v5
                                        ; implicit-def: $vgpr50
	s_delay_alu instid0(VALU_DEP_1) | instskip(NEXT) | instid1(VALU_DEP_1)
	v_mul_f32_e32 v4, v162, v4
	v_and_b32_e32 v5, 0x7f800000, v4
	s_delay_alu instid0(VALU_DEP_1) | instskip(NEXT) | instid1(VALU_DEP_1)
	v_cmp_ne_u32_e64 s9, 0x7f800000, v5
	s_and_saveexec_b32 s23, s9
	s_delay_alu instid0(SALU_CYCLE_1)
	s_xor_b32 s9, exec_lo, s23
; %bb.5326:                             ;   in Loop: Header=BB450_3110 Depth=1
	v_bfe_u32 v5, v4, 16, 1
	s_delay_alu instid0(VALU_DEP_1)
	v_add3_u32 v50, v4, v5, 0x7fff
                                        ; implicit-def: $vgpr4
; %bb.5327:                             ;   in Loop: Header=BB450_3110 Depth=1
	s_and_not1_saveexec_b32 s23, s9
; %bb.5328:                             ;   in Loop: Header=BB450_3110 Depth=1
	v_and_b32_e32 v5, 0xffff, v4
	v_or_b32_e32 v20, 0x10000, v4
	s_delay_alu instid0(VALU_DEP_2) | instskip(NEXT) | instid1(VALU_DEP_1)
	v_cmp_eq_u32_e64 s9, 0, v5
	v_cndmask_b32_e64 v50, v20, v4, s9
; %bb.5329:                             ;   in Loop: Header=BB450_3110 Depth=1
	s_or_b32 exec_lo, exec_lo, s23
	v_lshlrev_b32_e32 v4, 16, v16
                                        ; implicit-def: $vgpr51
	s_delay_alu instid0(VALU_DEP_1) | instskip(NEXT) | instid1(VALU_DEP_1)
	v_mul_f32_e32 v4, v163, v4
	v_and_b32_e32 v5, 0x7f800000, v4
	s_delay_alu instid0(VALU_DEP_1) | instskip(NEXT) | instid1(VALU_DEP_1)
	v_cmp_ne_u32_e64 s9, 0x7f800000, v5
	s_and_saveexec_b32 s23, s9
	s_delay_alu instid0(SALU_CYCLE_1)
	s_xor_b32 s9, exec_lo, s23
; %bb.5330:                             ;   in Loop: Header=BB450_3110 Depth=1
	v_bfe_u32 v5, v4, 16, 1
	s_delay_alu instid0(VALU_DEP_1)
	v_add3_u32 v51, v4, v5, 0x7fff
                                        ; implicit-def: $vgpr4
; %bb.5331:                             ;   in Loop: Header=BB450_3110 Depth=1
	s_and_not1_saveexec_b32 s23, s9
; %bb.5332:                             ;   in Loop: Header=BB450_3110 Depth=1
	v_and_b32_e32 v5, 0xffff, v4
	v_or_b32_e32 v16, 0x10000, v4
	s_delay_alu instid0(VALU_DEP_2) | instskip(NEXT) | instid1(VALU_DEP_1)
	v_cmp_eq_u32_e64 s9, 0, v5
	v_cndmask_b32_e64 v51, v16, v4, s9
; %bb.5333:                             ;   in Loop: Header=BB450_3110 Depth=1
	s_or_b32 exec_lo, exec_lo, s23
	v_lshlrev_b32_e32 v4, 16, v12
                                        ; implicit-def: $vgpr144
	s_delay_alu instid0(VALU_DEP_1) | instskip(NEXT) | instid1(VALU_DEP_1)
	v_mul_f32_e32 v4, v164, v4
	v_and_b32_e32 v5, 0x7f800000, v4
	s_delay_alu instid0(VALU_DEP_1) | instskip(NEXT) | instid1(VALU_DEP_1)
	v_cmp_ne_u32_e64 s9, 0x7f800000, v5
	s_and_saveexec_b32 s23, s9
	s_delay_alu instid0(SALU_CYCLE_1)
	s_xor_b32 s9, exec_lo, s23
; %bb.5334:                             ;   in Loop: Header=BB450_3110 Depth=1
	v_bfe_u32 v5, v4, 16, 1
	s_delay_alu instid0(VALU_DEP_1)
	v_add3_u32 v144, v4, v5, 0x7fff
                                        ; implicit-def: $vgpr4
; %bb.5335:                             ;   in Loop: Header=BB450_3110 Depth=1
	s_and_not1_saveexec_b32 s23, s9
; %bb.5336:                             ;   in Loop: Header=BB450_3110 Depth=1
	v_and_b32_e32 v5, 0xffff, v4
	v_or_b32_e32 v12, 0x10000, v4
	s_delay_alu instid0(VALU_DEP_2) | instskip(NEXT) | instid1(VALU_DEP_1)
	v_cmp_eq_u32_e64 s9, 0, v5
	v_cndmask_b32_e64 v144, v12, v4, s9
; %bb.5337:                             ;   in Loop: Header=BB450_3110 Depth=1
	s_or_b32 exec_lo, exec_lo, s23
	v_lshlrev_b32_e32 v4, 16, v7
                                        ; implicit-def: $vgpr22
	s_delay_alu instid0(VALU_DEP_1) | instskip(NEXT) | instid1(VALU_DEP_1)
	v_mul_f32_e32 v4, v165, v4
	v_and_b32_e32 v5, 0x7f800000, v4
	s_delay_alu instid0(VALU_DEP_1) | instskip(NEXT) | instid1(VALU_DEP_1)
	v_cmp_ne_u32_e64 s9, 0x7f800000, v5
	s_and_saveexec_b32 s23, s9
	s_delay_alu instid0(SALU_CYCLE_1)
	s_xor_b32 s9, exec_lo, s23
; %bb.5338:                             ;   in Loop: Header=BB450_3110 Depth=1
	v_bfe_u32 v5, v4, 16, 1
	s_delay_alu instid0(VALU_DEP_1)
	v_add3_u32 v22, v4, v5, 0x7fff
                                        ; implicit-def: $vgpr4
; %bb.5339:                             ;   in Loop: Header=BB450_3110 Depth=1
	s_and_not1_saveexec_b32 s23, s9
; %bb.5340:                             ;   in Loop: Header=BB450_3110 Depth=1
	v_and_b32_e32 v5, 0xffff, v4
	v_or_b32_e32 v7, 0x10000, v4
	s_delay_alu instid0(VALU_DEP_2) | instskip(NEXT) | instid1(VALU_DEP_1)
	v_cmp_eq_u32_e64 s9, 0, v5
	v_cndmask_b32_e64 v22, v7, v4, s9
; %bb.5341:                             ;   in Loop: Header=BB450_3110 Depth=1
	s_or_b32 exec_lo, exec_lo, s23
	v_lshlrev_b32_e32 v4, 16, v6
                                        ; implicit-def: $vgpr146
	s_delay_alu instid0(VALU_DEP_1) | instskip(NEXT) | instid1(VALU_DEP_1)
	v_mul_f32_e32 v4, v166, v4
	v_and_b32_e32 v5, 0x7f800000, v4
	s_delay_alu instid0(VALU_DEP_1) | instskip(NEXT) | instid1(VALU_DEP_1)
	v_cmp_ne_u32_e64 s9, 0x7f800000, v5
	s_and_saveexec_b32 s23, s9
	s_delay_alu instid0(SALU_CYCLE_1)
	s_xor_b32 s9, exec_lo, s23
; %bb.5342:                             ;   in Loop: Header=BB450_3110 Depth=1
	v_bfe_u32 v5, v4, 16, 1
	s_delay_alu instid0(VALU_DEP_1)
	v_add3_u32 v146, v4, v5, 0x7fff
                                        ; implicit-def: $vgpr4
; %bb.5343:                             ;   in Loop: Header=BB450_3110 Depth=1
	s_and_not1_saveexec_b32 s23, s9
; %bb.5344:                             ;   in Loop: Header=BB450_3110 Depth=1
	v_and_b32_e32 v5, 0xffff, v4
	v_or_b32_e32 v6, 0x10000, v4
	s_delay_alu instid0(VALU_DEP_2) | instskip(NEXT) | instid1(VALU_DEP_1)
	v_cmp_eq_u32_e64 s9, 0, v5
	v_cndmask_b32_e64 v146, v6, v4, s9
; %bb.5345:                             ;   in Loop: Header=BB450_3110 Depth=1
	s_or_b32 exec_lo, exec_lo, s23
	v_lshlrev_b32_e32 v3, 16, v3
                                        ; implicit-def: $vgpr145
	s_delay_alu instid0(VALU_DEP_1) | instskip(NEXT) | instid1(VALU_DEP_1)
	v_mul_f32_e32 v3, v167, v3
	v_and_b32_e32 v4, 0x7f800000, v3
	s_delay_alu instid0(VALU_DEP_1) | instskip(NEXT) | instid1(VALU_DEP_1)
	v_cmp_ne_u32_e64 s9, 0x7f800000, v4
	s_and_saveexec_b32 s23, s9
	s_delay_alu instid0(SALU_CYCLE_1)
	s_xor_b32 s9, exec_lo, s23
; %bb.5346:                             ;   in Loop: Header=BB450_3110 Depth=1
	v_bfe_u32 v4, v3, 16, 1
	s_delay_alu instid0(VALU_DEP_1)
	v_add3_u32 v145, v3, v4, 0x7fff
                                        ; implicit-def: $vgpr3
; %bb.5347:                             ;   in Loop: Header=BB450_3110 Depth=1
	s_and_not1_saveexec_b32 s23, s9
; %bb.5348:                             ;   in Loop: Header=BB450_3110 Depth=1
	v_and_b32_e32 v4, 0xffff, v3
	v_or_b32_e32 v5, 0x10000, v3
	s_delay_alu instid0(VALU_DEP_2) | instskip(NEXT) | instid1(VALU_DEP_1)
	v_cmp_eq_u32_e64 s9, 0, v4
	v_cndmask_b32_e64 v145, v5, v3, s9
; %bb.5349:                             ;   in Loop: Header=BB450_3110 Depth=1
	s_or_b32 exec_lo, exec_lo, s23
	v_lshlrev_b32_e32 v2, 16, v2
                                        ; implicit-def: $vgpr147
	s_delay_alu instid0(VALU_DEP_1) | instskip(NEXT) | instid1(VALU_DEP_1)
	v_mul_f32_e32 v2, v176, v2
	v_and_b32_e32 v3, 0x7f800000, v2
	s_delay_alu instid0(VALU_DEP_1) | instskip(NEXT) | instid1(VALU_DEP_1)
	v_cmp_ne_u32_e64 s9, 0x7f800000, v3
	s_and_saveexec_b32 s23, s9
	s_delay_alu instid0(SALU_CYCLE_1)
	s_xor_b32 s9, exec_lo, s23
; %bb.5350:                             ;   in Loop: Header=BB450_3110 Depth=1
	v_bfe_u32 v3, v2, 16, 1
	s_delay_alu instid0(VALU_DEP_1)
	v_add3_u32 v147, v2, v3, 0x7fff
                                        ; implicit-def: $vgpr2
; %bb.5351:                             ;   in Loop: Header=BB450_3110 Depth=1
	s_and_not1_saveexec_b32 s23, s9
; %bb.5352:                             ;   in Loop: Header=BB450_3110 Depth=1
	v_and_b32_e32 v3, 0xffff, v2
	v_or_b32_e32 v4, 0x10000, v2
	s_delay_alu instid0(VALU_DEP_2) | instskip(NEXT) | instid1(VALU_DEP_1)
	v_cmp_eq_u32_e64 s9, 0, v3
	v_cndmask_b32_e64 v147, v4, v2, s9
; %bb.5353:                             ;   in Loop: Header=BB450_3110 Depth=1
	s_or_b32 exec_lo, exec_lo, s23
	scratch_load_b32 v2, off, s32 offset:884 ; 4-byte Folded Reload
	s_mov_b32 s23, exec_lo
	v_mov_b32_e32 v4, 0
	s_waitcnt vmcnt(0)
	v_add_co_u32 v2, s9, v0, v2
	s_delay_alu instid0(VALU_DEP_1) | instskip(SKIP_3) | instid1(VALU_DEP_1)
	v_add_co_ci_u32_e64 v3, s9, 0, v1, s9
	flat_load_b64 v[2:3], v[2:3]
	s_waitcnt vmcnt(0) lgkmcnt(0)
	v_and_b32_e32 v5, 0xff, v2
	v_cmpx_ne_u16_e32 0, v5
	s_cbranch_execz .LBB450_5361
; %bb.5354:                             ;   in Loop: Header=BB450_3110 Depth=1
	v_bfrev_b32_e32 v4, 1
	s_mov_b32 s24, exec_lo
	v_cmpx_ne_u16_e32 0x80, v5
	s_cbranch_execz .LBB450_5360
; %bb.5355:                             ;   in Loop: Header=BB450_3110 Depth=1
	v_and_b32_e32 v5, 0x7f, v2
	v_mov_b32_e32 v4, 0x7f800001
	s_mov_b32 s25, exec_lo
	s_delay_alu instid0(VALU_DEP_2)
	v_cmpx_ne_u32_e32 0x7f, v5
	s_cbranch_execz .LBB450_5359
; %bb.5356:                             ;   in Loop: Header=BB450_3110 Depth=1
	v_lshrrev_b32_e32 v4, 3, v5
	v_dual_mov_b32 v7, v3 :: v_dual_mov_b32 v6, v2
	s_mov_b32 s26, exec_lo
	v_cmpx_gt_u32_e32 8, v5
; %bb.5357:                             ;   in Loop: Header=BB450_3110 Depth=1
	v_and_b32_e32 v4, 7, v2
	s_delay_alu instid0(VALU_DEP_1) | instskip(NEXT) | instid1(VALU_DEP_1)
	v_clz_i32_u32_e32 v4, v4
	v_min_u32_e32 v4, 32, v4
	s_delay_alu instid0(VALU_DEP_1) | instskip(SKIP_1) | instid1(VALU_DEP_2)
	v_subrev_nc_u32_e32 v5, 28, v4
	v_sub_nc_u32_e32 v4, 29, v4
	v_lshlrev_b64 v[6:7], v5, v[2:3]
; %bb.5358:                             ;   in Loop: Header=BB450_3110 Depth=1
	s_or_b32 exec_lo, exec_lo, s26
	s_delay_alu instid0(VALU_DEP_1) | instskip(SKIP_2) | instid1(VALU_DEP_3)
	v_lshlrev_b32_e32 v5, 20, v6
	v_lshlrev_b32_e32 v6, 24, v2
	v_lshl_add_u32 v4, v4, 23, 0x3c000000
	v_and_b32_e32 v5, 0x700000, v5
	s_delay_alu instid0(VALU_DEP_3) | instskip(NEXT) | instid1(VALU_DEP_1)
	v_and_b32_e32 v6, 0x80000000, v6
	v_or3_b32 v4, v5, v6, v4
.LBB450_5359:                           ;   in Loop: Header=BB450_3110 Depth=1
	s_or_b32 exec_lo, exec_lo, s25
.LBB450_5360:                           ;   in Loop: Header=BB450_3110 Depth=1
	s_delay_alu instid0(SALU_CYCLE_1)
	s_or_b32 exec_lo, exec_lo, s24
.LBB450_5361:                           ;   in Loop: Header=BB450_3110 Depth=1
	s_delay_alu instid0(SALU_CYCLE_1) | instskip(NEXT) | instid1(VALU_DEP_1)
	s_or_b32 exec_lo, exec_lo, s23
	v_mul_f32_e32 v5, v160, v4
	s_delay_alu instid0(VALU_DEP_1) | instskip(NEXT) | instid1(VALU_DEP_1)
	v_and_b32_e32 v4, 0x7f800000, v5
	v_cmp_ne_u32_e64 s9, 0x7f800000, v4
                                        ; implicit-def: $vgpr4
	s_delay_alu instid0(VALU_DEP_1) | instskip(NEXT) | instid1(SALU_CYCLE_1)
	s_and_saveexec_b32 s23, s9
	s_xor_b32 s9, exec_lo, s23
; %bb.5362:                             ;   in Loop: Header=BB450_3110 Depth=1
	v_bfe_u32 v4, v5, 16, 1
	s_delay_alu instid0(VALU_DEP_1)
	v_add3_u32 v4, v5, v4, 0x7fff
                                        ; implicit-def: $vgpr5
; %bb.5363:                             ;   in Loop: Header=BB450_3110 Depth=1
	s_and_not1_saveexec_b32 s23, s9
; %bb.5364:                             ;   in Loop: Header=BB450_3110 Depth=1
	v_and_b32_e32 v4, 0xffff, v5
	v_or_b32_e32 v6, 0x10000, v5
	s_delay_alu instid0(VALU_DEP_2) | instskip(NEXT) | instid1(VALU_DEP_1)
	v_cmp_eq_u32_e64 s9, 0, v4
	v_cndmask_b32_e64 v4, v6, v5, s9
; %bb.5365:                             ;   in Loop: Header=BB450_3110 Depth=1
	s_or_b32 exec_lo, exec_lo, s23
	v_lshrrev_b16 v6, 8, v2
	v_mov_b32_e32 v5, 0
	s_mov_b32 s23, exec_lo
	s_delay_alu instid0(VALU_DEP_2)
	v_cmpx_ne_u16_e32 0, v6
	s_cbranch_execz .LBB450_5373
; %bb.5366:                             ;   in Loop: Header=BB450_3110 Depth=1
	v_bfrev_b32_e32 v5, 1
	s_mov_b32 s24, exec_lo
	v_cmpx_ne_u16_e32 0x80, v6
	s_cbranch_execz .LBB450_5372
; %bb.5367:                             ;   in Loop: Header=BB450_3110 Depth=1
	v_and_b32_e32 v6, 0xffff, v6
	v_mov_b32_e32 v5, 0x7f800001
	s_mov_b32 s25, exec_lo
	s_delay_alu instid0(VALU_DEP_2) | instskip(NEXT) | instid1(VALU_DEP_1)
	v_and_b32_e32 v16, 0x7f, v6
	v_cmpx_ne_u32_e32 0x7f, v16
	s_cbranch_execz .LBB450_5371
; %bb.5368:                             ;   in Loop: Header=BB450_3110 Depth=1
	v_and_b32_e32 v12, 7, v6
	v_lshrrev_b32_e32 v5, 3, v16
	s_mov_b32 s26, exec_lo
	s_delay_alu instid0(VALU_DEP_2)
	v_dual_mov_b32 v6, v12 :: v_dual_mov_b32 v7, v13
	v_cmpx_gt_u32_e32 8, v16
; %bb.5369:                             ;   in Loop: Header=BB450_3110 Depth=1
	v_clz_i32_u32_e32 v5, v12
	s_delay_alu instid0(VALU_DEP_1) | instskip(NEXT) | instid1(VALU_DEP_1)
	v_min_u32_e32 v5, 32, v5
	v_subrev_nc_u32_e32 v6, 28, v5
	v_sub_nc_u32_e32 v5, 29, v5
	s_delay_alu instid0(VALU_DEP_2) | instskip(NEXT) | instid1(VALU_DEP_1)
	v_lshlrev_b64 v[6:7], v6, v[12:13]
	v_and_b32_e32 v6, 7, v6
; %bb.5370:                             ;   in Loop: Header=BB450_3110 Depth=1
	s_or_b32 exec_lo, exec_lo, s26
	v_lshlrev_b32_e32 v7, 16, v2
	s_delay_alu instid0(VALU_DEP_2) | instskip(SKIP_1) | instid1(VALU_DEP_3)
	v_lshlrev_b32_e32 v6, 20, v6
	v_lshl_add_u32 v5, v5, 23, 0x3c000000
	v_and_b32_e32 v7, 0x80000000, v7
	s_delay_alu instid0(VALU_DEP_1)
	v_or3_b32 v5, v6, v7, v5
.LBB450_5371:                           ;   in Loop: Header=BB450_3110 Depth=1
	s_or_b32 exec_lo, exec_lo, s25
.LBB450_5372:                           ;   in Loop: Header=BB450_3110 Depth=1
	s_delay_alu instid0(SALU_CYCLE_1)
	s_or_b32 exec_lo, exec_lo, s24
.LBB450_5373:                           ;   in Loop: Header=BB450_3110 Depth=1
	s_delay_alu instid0(SALU_CYCLE_1) | instskip(NEXT) | instid1(VALU_DEP_1)
	s_or_b32 exec_lo, exec_lo, s23
	v_mul_f32_e32 v6, v160, v5
	s_delay_alu instid0(VALU_DEP_1) | instskip(NEXT) | instid1(VALU_DEP_1)
	v_and_b32_e32 v5, 0x7f800000, v6
	v_cmp_ne_u32_e64 s9, 0x7f800000, v5
                                        ; implicit-def: $vgpr5
	s_delay_alu instid0(VALU_DEP_1) | instskip(NEXT) | instid1(SALU_CYCLE_1)
	s_and_saveexec_b32 s23, s9
	s_xor_b32 s9, exec_lo, s23
; %bb.5374:                             ;   in Loop: Header=BB450_3110 Depth=1
	v_bfe_u32 v5, v6, 16, 1
	s_delay_alu instid0(VALU_DEP_1)
	v_add3_u32 v5, v6, v5, 0x7fff
                                        ; implicit-def: $vgpr6
; %bb.5375:                             ;   in Loop: Header=BB450_3110 Depth=1
	s_and_not1_saveexec_b32 s23, s9
; %bb.5376:                             ;   in Loop: Header=BB450_3110 Depth=1
	v_and_b32_e32 v5, 0xffff, v6
	v_or_b32_e32 v7, 0x10000, v6
	s_delay_alu instid0(VALU_DEP_2) | instskip(NEXT) | instid1(VALU_DEP_1)
	v_cmp_eq_u32_e64 s9, 0, v5
	v_cndmask_b32_e64 v5, v7, v6, s9
; %bb.5377:                             ;   in Loop: Header=BB450_3110 Depth=1
	s_or_b32 exec_lo, exec_lo, s23
	v_lshrrev_b32_e32 v16, 16, v2
	s_mov_b32 s23, exec_lo
	s_delay_alu instid0(VALU_DEP_1) | instskip(NEXT) | instid1(VALU_DEP_1)
	v_dual_mov_b32 v6, 0 :: v_dual_and_b32 v7, 0xff, v16
	v_cmpx_ne_u16_e32 0, v7
	s_cbranch_execz .LBB450_5385
; %bb.5378:                             ;   in Loop: Header=BB450_3110 Depth=1
	v_bfrev_b32_e32 v6, 1
	s_mov_b32 s24, exec_lo
	v_cmpx_ne_u16_e32 0x80, v7
	s_cbranch_execz .LBB450_5384
; %bb.5379:                             ;   in Loop: Header=BB450_3110 Depth=1
	v_bfe_u32 v20, v2, 16, 7
	v_mov_b32_e32 v6, 0x7f800001
	s_mov_b32 s25, exec_lo
	s_delay_alu instid0(VALU_DEP_2)
	v_cmpx_ne_u32_e32 0x7f, v20
	s_cbranch_execz .LBB450_5383
; %bb.5380:                             ;   in Loop: Header=BB450_3110 Depth=1
	v_and_b32_e32 v12, 7, v16
	s_mov_b32 s26, exec_lo
	s_delay_alu instid0(VALU_DEP_1)
	v_dual_mov_b32 v6, v12 :: v_dual_mov_b32 v7, v13
	v_lshrrev_b32_e32 v7, 3, v20
	v_cmpx_gt_u32_e32 8, v20
; %bb.5381:                             ;   in Loop: Header=BB450_3110 Depth=1
	v_clz_i32_u32_e32 v6, v12
	s_delay_alu instid0(VALU_DEP_1) | instskip(NEXT) | instid1(VALU_DEP_1)
	v_min_u32_e32 v20, 32, v6
	v_subrev_nc_u32_e32 v6, 28, v20
	s_delay_alu instid0(VALU_DEP_1) | instskip(SKIP_1) | instid1(VALU_DEP_2)
	v_lshlrev_b64 v[6:7], v6, v[12:13]
	v_sub_nc_u32_e32 v7, 29, v20
	v_and_b32_e32 v6, 7, v6
; %bb.5382:                             ;   in Loop: Header=BB450_3110 Depth=1
	s_or_b32 exec_lo, exec_lo, s26
	v_lshlrev_b32_e32 v12, 24, v16
	s_delay_alu instid0(VALU_DEP_2) | instskip(SKIP_1) | instid1(VALU_DEP_3)
	v_lshlrev_b32_e32 v6, 20, v6
	v_lshl_add_u32 v7, v7, 23, 0x3c000000
	v_and_b32_e32 v12, 0x80000000, v12
	s_delay_alu instid0(VALU_DEP_1)
	v_or3_b32 v6, v6, v12, v7
.LBB450_5383:                           ;   in Loop: Header=BB450_3110 Depth=1
	s_or_b32 exec_lo, exec_lo, s25
.LBB450_5384:                           ;   in Loop: Header=BB450_3110 Depth=1
	s_delay_alu instid0(SALU_CYCLE_1)
	s_or_b32 exec_lo, exec_lo, s24
.LBB450_5385:                           ;   in Loop: Header=BB450_3110 Depth=1
	s_delay_alu instid0(SALU_CYCLE_1) | instskip(NEXT) | instid1(VALU_DEP_1)
	s_or_b32 exec_lo, exec_lo, s23
	v_mul_f32_e32 v6, v160, v6
                                        ; implicit-def: $vgpr16
	s_delay_alu instid0(VALU_DEP_1) | instskip(NEXT) | instid1(VALU_DEP_1)
	v_and_b32_e32 v7, 0x7f800000, v6
	v_cmp_ne_u32_e64 s9, 0x7f800000, v7
	s_delay_alu instid0(VALU_DEP_1) | instskip(NEXT) | instid1(SALU_CYCLE_1)
	s_and_saveexec_b32 s23, s9
	s_xor_b32 s9, exec_lo, s23
; %bb.5386:                             ;   in Loop: Header=BB450_3110 Depth=1
	v_bfe_u32 v7, v6, 16, 1
	s_delay_alu instid0(VALU_DEP_1)
	v_add3_u32 v16, v6, v7, 0x7fff
                                        ; implicit-def: $vgpr6
; %bb.5387:                             ;   in Loop: Header=BB450_3110 Depth=1
	s_and_not1_saveexec_b32 s23, s9
; %bb.5388:                             ;   in Loop: Header=BB450_3110 Depth=1
	v_and_b32_e32 v7, 0xffff, v6
	v_or_b32_e32 v12, 0x10000, v6
	s_delay_alu instid0(VALU_DEP_2) | instskip(NEXT) | instid1(VALU_DEP_1)
	v_cmp_eq_u32_e64 s9, 0, v7
	v_cndmask_b32_e64 v16, v12, v6, s9
; %bb.5389:                             ;   in Loop: Header=BB450_3110 Depth=1
	s_or_b32 exec_lo, exec_lo, s23
	v_mov_b32_e32 v6, 0
	s_mov_b32 s23, exec_lo
	v_cmpx_lt_u32_e32 0xffffff, v2
	s_cbranch_execz .LBB450_5397
; %bb.5390:                             ;   in Loop: Header=BB450_3110 Depth=1
	v_lshrrev_b32_e32 v20, 24, v2
	v_bfrev_b32_e32 v6, 1
	s_mov_b32 s24, exec_lo
	s_delay_alu instid0(VALU_DEP_2)
	v_cmpx_ne_u32_e32 0x80, v20
	s_cbranch_execz .LBB450_5396
; %bb.5391:                             ;   in Loop: Header=BB450_3110 Depth=1
	v_bfe_u32 v21, v2, 24, 7
	v_mov_b32_e32 v6, 0x7f800001
	s_mov_b32 s25, exec_lo
	s_delay_alu instid0(VALU_DEP_2)
	v_cmpx_ne_u32_e32 0x7f, v21
	s_cbranch_execz .LBB450_5395
; %bb.5392:                             ;   in Loop: Header=BB450_3110 Depth=1
	v_and_b32_e32 v12, 7, v20
	s_mov_b32 s26, exec_lo
	s_delay_alu instid0(VALU_DEP_1)
	v_dual_mov_b32 v6, v12 :: v_dual_mov_b32 v7, v13
	v_lshrrev_b32_e32 v7, 3, v21
	v_cmpx_gt_u32_e32 8, v21
; %bb.5393:                             ;   in Loop: Header=BB450_3110 Depth=1
	v_clz_i32_u32_e32 v6, v12
	s_delay_alu instid0(VALU_DEP_1) | instskip(NEXT) | instid1(VALU_DEP_1)
	v_min_u32_e32 v21, 32, v6
	v_subrev_nc_u32_e32 v6, 28, v21
	s_delay_alu instid0(VALU_DEP_1) | instskip(SKIP_1) | instid1(VALU_DEP_2)
	v_lshlrev_b64 v[6:7], v6, v[12:13]
	v_sub_nc_u32_e32 v7, 29, v21
	v_and_b32_e32 v6, 7, v6
; %bb.5394:                             ;   in Loop: Header=BB450_3110 Depth=1
	s_or_b32 exec_lo, exec_lo, s26
	v_lshlrev_b32_e32 v12, 24, v20
	s_delay_alu instid0(VALU_DEP_2) | instskip(SKIP_1) | instid1(VALU_DEP_3)
	v_lshlrev_b32_e32 v6, 20, v6
	v_lshl_add_u32 v7, v7, 23, 0x3c000000
	v_and_b32_e32 v12, 0x80000000, v12
	s_delay_alu instid0(VALU_DEP_1)
	v_or3_b32 v6, v6, v12, v7
.LBB450_5395:                           ;   in Loop: Header=BB450_3110 Depth=1
	s_or_b32 exec_lo, exec_lo, s25
.LBB450_5396:                           ;   in Loop: Header=BB450_3110 Depth=1
	s_delay_alu instid0(SALU_CYCLE_1)
	s_or_b32 exec_lo, exec_lo, s24
.LBB450_5397:                           ;   in Loop: Header=BB450_3110 Depth=1
	s_delay_alu instid0(SALU_CYCLE_1) | instskip(NEXT) | instid1(VALU_DEP_1)
	s_or_b32 exec_lo, exec_lo, s23
	v_mul_f32_e32 v6, v160, v6
                                        ; implicit-def: $vgpr20
	s_delay_alu instid0(VALU_DEP_1) | instskip(NEXT) | instid1(VALU_DEP_1)
	v_and_b32_e32 v7, 0x7f800000, v6
	v_cmp_ne_u32_e64 s9, 0x7f800000, v7
	s_delay_alu instid0(VALU_DEP_1) | instskip(NEXT) | instid1(SALU_CYCLE_1)
	s_and_saveexec_b32 s23, s9
	s_xor_b32 s9, exec_lo, s23
; %bb.5398:                             ;   in Loop: Header=BB450_3110 Depth=1
	v_bfe_u32 v7, v6, 16, 1
	s_delay_alu instid0(VALU_DEP_1)
	v_add3_u32 v20, v6, v7, 0x7fff
                                        ; implicit-def: $vgpr6
; %bb.5399:                             ;   in Loop: Header=BB450_3110 Depth=1
	s_and_not1_saveexec_b32 s23, s9
; %bb.5400:                             ;   in Loop: Header=BB450_3110 Depth=1
	v_and_b32_e32 v7, 0xffff, v6
	v_or_b32_e32 v12, 0x10000, v6
	s_delay_alu instid0(VALU_DEP_2) | instskip(NEXT) | instid1(VALU_DEP_1)
	v_cmp_eq_u32_e64 s9, 0, v7
	v_cndmask_b32_e64 v20, v12, v6, s9
; %bb.5401:                             ;   in Loop: Header=BB450_3110 Depth=1
	s_or_b32 exec_lo, exec_lo, s23
	v_dual_mov_b32 v12, v3 :: v_dual_and_b32 v7, 0xff, v3
	v_mov_b32_e32 v6, 0
	s_mov_b32 s23, exec_lo
	s_delay_alu instid0(VALU_DEP_2)
	v_cmpx_ne_u16_e32 0, v7
	s_cbranch_execz .LBB450_5409
; %bb.5402:                             ;   in Loop: Header=BB450_3110 Depth=1
	v_bfrev_b32_e32 v6, 1
	s_mov_b32 s24, exec_lo
	v_cmpx_ne_u16_e32 0x80, v7
	s_cbranch_execz .LBB450_5408
; %bb.5403:                             ;   in Loop: Header=BB450_3110 Depth=1
	v_and_b32_e32 v21, 0x7f, v3
	v_mov_b32_e32 v6, 0x7f800001
	s_mov_b32 s25, exec_lo
	s_delay_alu instid0(VALU_DEP_2)
	v_cmpx_ne_u32_e32 0x7f, v21
	s_cbranch_execz .LBB450_5407
; %bb.5404:                             ;   in Loop: Header=BB450_3110 Depth=1
	v_dual_mov_b32 v6, v12 :: v_dual_mov_b32 v7, v13
	v_lshrrev_b32_e32 v7, 3, v21
	s_mov_b32 s26, exec_lo
	v_cmpx_gt_u32_e32 8, v21
; %bb.5405:                             ;   in Loop: Header=BB450_3110 Depth=1
	v_and_b32_e32 v6, 7, v3
	s_delay_alu instid0(VALU_DEP_1) | instskip(NEXT) | instid1(VALU_DEP_1)
	v_clz_i32_u32_e32 v6, v6
	v_min_u32_e32 v21, 32, v6
	s_delay_alu instid0(VALU_DEP_1) | instskip(NEXT) | instid1(VALU_DEP_1)
	v_subrev_nc_u32_e32 v6, 28, v21
	v_lshlrev_b64 v[6:7], v6, v[12:13]
	v_sub_nc_u32_e32 v7, 29, v21
; %bb.5406:                             ;   in Loop: Header=BB450_3110 Depth=1
	s_or_b32 exec_lo, exec_lo, s26
	s_delay_alu instid0(VALU_DEP_2) | instskip(SKIP_1) | instid1(VALU_DEP_3)
	v_lshlrev_b32_e32 v6, 20, v6
	v_lshlrev_b32_e32 v21, 24, v12
	v_lshl_add_u32 v7, v7, 23, 0x3c000000
	s_delay_alu instid0(VALU_DEP_3) | instskip(NEXT) | instid1(VALU_DEP_3)
	v_and_b32_e32 v6, 0x700000, v6
	v_and_b32_e32 v21, 0x80000000, v21
	s_delay_alu instid0(VALU_DEP_1)
	v_or3_b32 v6, v6, v21, v7
.LBB450_5407:                           ;   in Loop: Header=BB450_3110 Depth=1
	s_or_b32 exec_lo, exec_lo, s25
.LBB450_5408:                           ;   in Loop: Header=BB450_3110 Depth=1
	s_delay_alu instid0(SALU_CYCLE_1)
	s_or_b32 exec_lo, exec_lo, s24
.LBB450_5409:                           ;   in Loop: Header=BB450_3110 Depth=1
	s_delay_alu instid0(SALU_CYCLE_1) | instskip(NEXT) | instid1(VALU_DEP_1)
	s_or_b32 exec_lo, exec_lo, s23
	v_mul_f32_e32 v6, v160, v6
                                        ; implicit-def: $vgpr21
	s_delay_alu instid0(VALU_DEP_1) | instskip(NEXT) | instid1(VALU_DEP_1)
	v_and_b32_e32 v7, 0x7f800000, v6
	v_cmp_ne_u32_e64 s9, 0x7f800000, v7
	s_delay_alu instid0(VALU_DEP_1) | instskip(NEXT) | instid1(SALU_CYCLE_1)
	s_and_saveexec_b32 s23, s9
	s_xor_b32 s9, exec_lo, s23
; %bb.5410:                             ;   in Loop: Header=BB450_3110 Depth=1
	v_bfe_u32 v7, v6, 16, 1
	s_delay_alu instid0(VALU_DEP_1)
	v_add3_u32 v21, v6, v7, 0x7fff
                                        ; implicit-def: $vgpr6
; %bb.5411:                             ;   in Loop: Header=BB450_3110 Depth=1
	s_and_not1_saveexec_b32 s23, s9
; %bb.5412:                             ;   in Loop: Header=BB450_3110 Depth=1
	v_and_b32_e32 v7, 0xffff, v6
	v_or_b32_e32 v21, 0x10000, v6
	s_delay_alu instid0(VALU_DEP_2) | instskip(NEXT) | instid1(VALU_DEP_1)
	v_cmp_eq_u32_e64 s9, 0, v7
	v_cndmask_b32_e64 v21, v21, v6, s9
; %bb.5413:                             ;   in Loop: Header=BB450_3110 Depth=1
	s_or_b32 exec_lo, exec_lo, s23
	v_lshrrev_b16 v7, 8, v12
	v_mov_b32_e32 v6, 0
	s_mov_b32 s23, exec_lo
	s_delay_alu instid0(VALU_DEP_2)
	v_cmpx_ne_u16_e32 0, v7
	s_cbranch_execz .LBB450_5421
; %bb.5414:                             ;   in Loop: Header=BB450_3110 Depth=1
	v_bfrev_b32_e32 v6, 1
	s_mov_b32 s24, exec_lo
	v_cmpx_ne_u16_e32 0x80, v7
	s_cbranch_execz .LBB450_5420
; %bb.5415:                             ;   in Loop: Header=BB450_3110 Depth=1
	v_and_b32_e32 v7, 0xffff, v7
	v_mov_b32_e32 v6, 0x7f800001
	s_mov_b32 s25, exec_lo
	s_delay_alu instid0(VALU_DEP_2) | instskip(NEXT) | instid1(VALU_DEP_1)
	v_and_b32_e32 v25, 0x7f, v7
	v_cmpx_ne_u32_e32 0x7f, v25
	s_cbranch_execz .LBB450_5419
; %bb.5416:                             ;   in Loop: Header=BB450_3110 Depth=1
	v_dual_mov_b32 v7, v13 :: v_dual_and_b32 v6, 7, v7
	v_lshrrev_b32_e32 v24, 3, v25
	s_mov_b32 s26, exec_lo
	v_cmpx_gt_u32_e32 8, v25
; %bb.5417:                             ;   in Loop: Header=BB450_3110 Depth=1
	s_delay_alu instid0(VALU_DEP_3) | instskip(NEXT) | instid1(VALU_DEP_1)
	v_clz_i32_u32_e32 v24, v6
	v_min_u32_e32 v24, 32, v24
	s_delay_alu instid0(VALU_DEP_1) | instskip(SKIP_1) | instid1(VALU_DEP_2)
	v_subrev_nc_u32_e32 v25, 28, v24
	v_sub_nc_u32_e32 v24, 29, v24
	v_lshlrev_b64 v[6:7], v25, v[6:7]
	s_delay_alu instid0(VALU_DEP_1)
	v_and_b32_e32 v6, 7, v6
; %bb.5418:                             ;   in Loop: Header=BB450_3110 Depth=1
	s_or_b32 exec_lo, exec_lo, s26
	v_lshlrev_b32_e32 v7, 16, v12
	s_delay_alu instid0(VALU_DEP_2) | instskip(SKIP_1) | instid1(VALU_DEP_3)
	v_lshlrev_b32_e32 v6, 20, v6
	v_lshl_add_u32 v12, v24, 23, 0x3c000000
	v_and_b32_e32 v7, 0x80000000, v7
	s_delay_alu instid0(VALU_DEP_1)
	v_or3_b32 v6, v6, v7, v12
.LBB450_5419:                           ;   in Loop: Header=BB450_3110 Depth=1
	s_or_b32 exec_lo, exec_lo, s25
.LBB450_5420:                           ;   in Loop: Header=BB450_3110 Depth=1
	s_delay_alu instid0(SALU_CYCLE_1)
	s_or_b32 exec_lo, exec_lo, s24
.LBB450_5421:                           ;   in Loop: Header=BB450_3110 Depth=1
	s_delay_alu instid0(SALU_CYCLE_1) | instskip(NEXT) | instid1(VALU_DEP_1)
	s_or_b32 exec_lo, exec_lo, s23
	v_mul_f32_e32 v6, v160, v6
                                        ; implicit-def: $vgpr24
	s_delay_alu instid0(VALU_DEP_1) | instskip(NEXT) | instid1(VALU_DEP_1)
	v_and_b32_e32 v7, 0x7f800000, v6
	v_cmp_ne_u32_e64 s9, 0x7f800000, v7
	s_delay_alu instid0(VALU_DEP_1) | instskip(NEXT) | instid1(SALU_CYCLE_1)
	s_and_saveexec_b32 s23, s9
	s_xor_b32 s9, exec_lo, s23
; %bb.5422:                             ;   in Loop: Header=BB450_3110 Depth=1
	v_bfe_u32 v7, v6, 16, 1
	s_delay_alu instid0(VALU_DEP_1)
	v_add3_u32 v24, v6, v7, 0x7fff
                                        ; implicit-def: $vgpr6
; %bb.5423:                             ;   in Loop: Header=BB450_3110 Depth=1
	s_and_not1_saveexec_b32 s23, s9
; %bb.5424:                             ;   in Loop: Header=BB450_3110 Depth=1
	v_and_b32_e32 v7, 0xffff, v6
	v_or_b32_e32 v12, 0x10000, v6
	s_delay_alu instid0(VALU_DEP_2) | instskip(NEXT) | instid1(VALU_DEP_1)
	v_cmp_eq_u32_e64 s9, 0, v7
	v_cndmask_b32_e64 v24, v12, v6, s9
; %bb.5425:                             ;   in Loop: Header=BB450_3110 Depth=1
	s_or_b32 exec_lo, exec_lo, s23
	v_lshrrev_b32_e32 v25, 16, v3
	s_mov_b32 s23, exec_lo
	s_delay_alu instid0(VALU_DEP_1) | instskip(NEXT) | instid1(VALU_DEP_1)
	v_dual_mov_b32 v6, 0 :: v_dual_and_b32 v7, 0xff, v25
	v_cmpx_ne_u16_e32 0, v7
	s_cbranch_execz .LBB450_5433
; %bb.5426:                             ;   in Loop: Header=BB450_3110 Depth=1
	v_bfrev_b32_e32 v6, 1
	s_mov_b32 s24, exec_lo
	v_cmpx_ne_u16_e32 0x80, v7
	s_cbranch_execz .LBB450_5432
; %bb.5427:                             ;   in Loop: Header=BB450_3110 Depth=1
	v_bfe_u32 v28, v3, 16, 7
	v_mov_b32_e32 v6, 0x7f800001
	s_mov_b32 s25, exec_lo
	s_delay_alu instid0(VALU_DEP_2)
	v_cmpx_ne_u32_e32 0x7f, v28
	s_cbranch_execz .LBB450_5431
; %bb.5428:                             ;   in Loop: Header=BB450_3110 Depth=1
	v_and_b32_e32 v12, 7, v25
	s_mov_b32 s26, exec_lo
	s_delay_alu instid0(VALU_DEP_1)
	v_dual_mov_b32 v6, v12 :: v_dual_mov_b32 v7, v13
	v_lshrrev_b32_e32 v7, 3, v28
	v_cmpx_gt_u32_e32 8, v28
; %bb.5429:                             ;   in Loop: Header=BB450_3110 Depth=1
	v_clz_i32_u32_e32 v6, v12
	s_delay_alu instid0(VALU_DEP_1) | instskip(NEXT) | instid1(VALU_DEP_1)
	v_min_u32_e32 v28, 32, v6
	v_subrev_nc_u32_e32 v6, 28, v28
	s_delay_alu instid0(VALU_DEP_1) | instskip(SKIP_1) | instid1(VALU_DEP_2)
	v_lshlrev_b64 v[6:7], v6, v[12:13]
	v_sub_nc_u32_e32 v7, 29, v28
	v_and_b32_e32 v6, 7, v6
; %bb.5430:                             ;   in Loop: Header=BB450_3110 Depth=1
	s_or_b32 exec_lo, exec_lo, s26
	v_lshlrev_b32_e32 v12, 24, v25
	s_delay_alu instid0(VALU_DEP_2) | instskip(SKIP_1) | instid1(VALU_DEP_3)
	v_lshlrev_b32_e32 v6, 20, v6
	v_lshl_add_u32 v7, v7, 23, 0x3c000000
	v_and_b32_e32 v12, 0x80000000, v12
	s_delay_alu instid0(VALU_DEP_1)
	v_or3_b32 v6, v6, v12, v7
.LBB450_5431:                           ;   in Loop: Header=BB450_3110 Depth=1
	s_or_b32 exec_lo, exec_lo, s25
.LBB450_5432:                           ;   in Loop: Header=BB450_3110 Depth=1
	s_delay_alu instid0(SALU_CYCLE_1)
	s_or_b32 exec_lo, exec_lo, s24
.LBB450_5433:                           ;   in Loop: Header=BB450_3110 Depth=1
	s_delay_alu instid0(SALU_CYCLE_1) | instskip(NEXT) | instid1(VALU_DEP_1)
	s_or_b32 exec_lo, exec_lo, s23
	v_mul_f32_e32 v6, v160, v6
                                        ; implicit-def: $vgpr25
	s_delay_alu instid0(VALU_DEP_1) | instskip(NEXT) | instid1(VALU_DEP_1)
	v_and_b32_e32 v7, 0x7f800000, v6
	v_cmp_ne_u32_e64 s9, 0x7f800000, v7
	s_delay_alu instid0(VALU_DEP_1) | instskip(NEXT) | instid1(SALU_CYCLE_1)
	s_and_saveexec_b32 s23, s9
	s_xor_b32 s9, exec_lo, s23
; %bb.5434:                             ;   in Loop: Header=BB450_3110 Depth=1
	v_bfe_u32 v7, v6, 16, 1
	s_delay_alu instid0(VALU_DEP_1)
	v_add3_u32 v25, v6, v7, 0x7fff
                                        ; implicit-def: $vgpr6
; %bb.5435:                             ;   in Loop: Header=BB450_3110 Depth=1
	s_and_not1_saveexec_b32 s23, s9
; %bb.5436:                             ;   in Loop: Header=BB450_3110 Depth=1
	v_and_b32_e32 v7, 0xffff, v6
	v_or_b32_e32 v12, 0x10000, v6
	s_delay_alu instid0(VALU_DEP_2) | instskip(NEXT) | instid1(VALU_DEP_1)
	v_cmp_eq_u32_e64 s9, 0, v7
	v_cndmask_b32_e64 v25, v12, v6, s9
; %bb.5437:                             ;   in Loop: Header=BB450_3110 Depth=1
	s_or_b32 exec_lo, exec_lo, s23
	v_cmp_lt_u64_e64 s9, s[18:19], v[2:3]
	v_mov_b32_e32 v2, 0
	s_delay_alu instid0(VALU_DEP_2)
	s_and_saveexec_b32 s23, s9
	s_cbranch_execz .LBB450_5445
; %bb.5438:                             ;   in Loop: Header=BB450_3110 Depth=1
	v_lshrrev_b32_e32 v6, 24, v3
	v_bfrev_b32_e32 v2, 1
	s_mov_b32 s24, exec_lo
	s_delay_alu instid0(VALU_DEP_2)
	v_cmpx_ne_u32_e32 0x80, v6
	s_cbranch_execz .LBB450_5444
; %bb.5439:                             ;   in Loop: Header=BB450_3110 Depth=1
	v_bfe_u32 v7, v3, 24, 7
	v_mov_b32_e32 v2, 0x7f800001
	s_mov_b32 s25, exec_lo
	s_delay_alu instid0(VALU_DEP_2)
	v_cmpx_ne_u32_e32 0x7f, v7
	s_cbranch_execz .LBB450_5443
; %bb.5440:                             ;   in Loop: Header=BB450_3110 Depth=1
	v_and_b32_e32 v12, 7, v6
	s_mov_b32 s26, exec_lo
	s_delay_alu instid0(VALU_DEP_1)
	v_dual_mov_b32 v2, v12 :: v_dual_mov_b32 v3, v13
	v_lshrrev_b32_e32 v3, 3, v7
	v_cmpx_gt_u32_e32 8, v7
; %bb.5441:                             ;   in Loop: Header=BB450_3110 Depth=1
	v_clz_i32_u32_e32 v2, v12
	s_delay_alu instid0(VALU_DEP_1) | instskip(NEXT) | instid1(VALU_DEP_1)
	v_min_u32_e32 v7, 32, v2
	v_subrev_nc_u32_e32 v2, 28, v7
	s_delay_alu instid0(VALU_DEP_1) | instskip(SKIP_1) | instid1(VALU_DEP_2)
	v_lshlrev_b64 v[2:3], v2, v[12:13]
	v_sub_nc_u32_e32 v3, 29, v7
	v_and_b32_e32 v2, 7, v2
; %bb.5442:                             ;   in Loop: Header=BB450_3110 Depth=1
	s_or_b32 exec_lo, exec_lo, s26
	v_lshlrev_b32_e32 v6, 24, v6
	s_delay_alu instid0(VALU_DEP_2) | instskip(SKIP_1) | instid1(VALU_DEP_3)
	v_lshlrev_b32_e32 v2, 20, v2
	v_lshl_add_u32 v3, v3, 23, 0x3c000000
	v_and_b32_e32 v6, 0x80000000, v6
	s_delay_alu instid0(VALU_DEP_1)
	v_or3_b32 v2, v2, v6, v3
.LBB450_5443:                           ;   in Loop: Header=BB450_3110 Depth=1
	s_or_b32 exec_lo, exec_lo, s25
.LBB450_5444:                           ;   in Loop: Header=BB450_3110 Depth=1
	s_delay_alu instid0(SALU_CYCLE_1)
	s_or_b32 exec_lo, exec_lo, s24
.LBB450_5445:                           ;   in Loop: Header=BB450_3110 Depth=1
	s_delay_alu instid0(SALU_CYCLE_1) | instskip(NEXT) | instid1(VALU_DEP_1)
	s_or_b32 exec_lo, exec_lo, s23
	v_mul_f32_e32 v3, v160, v2
	s_delay_alu instid0(VALU_DEP_1) | instskip(NEXT) | instid1(VALU_DEP_1)
	v_and_b32_e32 v2, 0x7f800000, v3
	v_cmp_ne_u32_e64 s9, 0x7f800000, v2
                                        ; implicit-def: $vgpr2
	s_delay_alu instid0(VALU_DEP_1) | instskip(NEXT) | instid1(SALU_CYCLE_1)
	s_and_saveexec_b32 s23, s9
	s_xor_b32 s9, exec_lo, s23
; %bb.5446:                             ;   in Loop: Header=BB450_3110 Depth=1
	v_bfe_u32 v2, v3, 16, 1
	s_delay_alu instid0(VALU_DEP_1)
	v_add3_u32 v2, v3, v2, 0x7fff
                                        ; implicit-def: $vgpr3
; %bb.5447:                             ;   in Loop: Header=BB450_3110 Depth=1
	s_and_not1_saveexec_b32 s23, s9
; %bb.5448:                             ;   in Loop: Header=BB450_3110 Depth=1
	v_and_b32_e32 v2, 0xffff, v3
	v_or_b32_e32 v6, 0x10000, v3
	s_delay_alu instid0(VALU_DEP_2) | instskip(NEXT) | instid1(VALU_DEP_1)
	v_cmp_eq_u32_e64 s9, 0, v2
	v_cndmask_b32_e64 v2, v6, v3, s9
; %bb.5449:                             ;   in Loop: Header=BB450_3110 Depth=1
	s_or_b32 exec_lo, exec_lo, s23
	v_lshrrev_b32_e32 v6, 16, v24
	v_lshrrev_b32_e32 v7, 16, v21
	;; [unrolled: 1-line block ×8, first 2 shown]
	s_and_saveexec_b32 s9, s1
; %bb.5450:                             ;   in Loop: Header=BB450_3110 Depth=1
	s_delay_alu instid0(VALU_DEP_3)
	v_cndmask_b32_e32 v4, 0, v4, vcc_lo
	v_cndmask_b32_e64 v5, 0, v5, s2
	v_cndmask_b32_e64 v16, 0, v16, s3
	;; [unrolled: 1-line block ×7, first 2 shown]
; %bb.5451:                             ;   in Loop: Header=BB450_3110 Depth=1
	s_or_b32 exec_lo, exec_lo, s9
	v_lshlrev_b32_e32 v4, 16, v4
                                        ; implicit-def: $vgpr148
	s_delay_alu instid0(VALU_DEP_1) | instskip(NEXT) | instid1(VALU_DEP_1)
	v_mul_f32_e32 v4, v161, v4
	v_and_b32_e32 v20, 0x7f800000, v4
	s_delay_alu instid0(VALU_DEP_1) | instskip(NEXT) | instid1(VALU_DEP_1)
	v_cmp_ne_u32_e64 s9, 0x7f800000, v20
	s_and_saveexec_b32 s23, s9
	s_delay_alu instid0(SALU_CYCLE_1)
	s_xor_b32 s9, exec_lo, s23
; %bb.5452:                             ;   in Loop: Header=BB450_3110 Depth=1
	v_bfe_u32 v20, v4, 16, 1
	s_delay_alu instid0(VALU_DEP_1)
	v_add3_u32 v148, v4, v20, 0x7fff
                                        ; implicit-def: $vgpr4
; %bb.5453:                             ;   in Loop: Header=BB450_3110 Depth=1
	s_and_not1_saveexec_b32 s23, s9
; %bb.5454:                             ;   in Loop: Header=BB450_3110 Depth=1
	v_and_b32_e32 v20, 0xffff, v4
	v_or_b32_e32 v21, 0x10000, v4
	s_delay_alu instid0(VALU_DEP_2) | instskip(NEXT) | instid1(VALU_DEP_1)
	v_cmp_eq_u32_e64 s9, 0, v20
	v_cndmask_b32_e64 v148, v21, v4, s9
; %bb.5455:                             ;   in Loop: Header=BB450_3110 Depth=1
	s_or_b32 exec_lo, exec_lo, s23
	v_lshlrev_b32_e32 v4, 16, v5
                                        ; implicit-def: $vgpr149
	s_delay_alu instid0(VALU_DEP_1) | instskip(NEXT) | instid1(VALU_DEP_1)
	v_mul_f32_e32 v4, v162, v4
	v_and_b32_e32 v5, 0x7f800000, v4
	s_delay_alu instid0(VALU_DEP_1) | instskip(NEXT) | instid1(VALU_DEP_1)
	v_cmp_ne_u32_e64 s9, 0x7f800000, v5
	s_and_saveexec_b32 s23, s9
	s_delay_alu instid0(SALU_CYCLE_1)
	s_xor_b32 s9, exec_lo, s23
; %bb.5456:                             ;   in Loop: Header=BB450_3110 Depth=1
	v_bfe_u32 v5, v4, 16, 1
	s_delay_alu instid0(VALU_DEP_1)
	v_add3_u32 v149, v4, v5, 0x7fff
                                        ; implicit-def: $vgpr4
; %bb.5457:                             ;   in Loop: Header=BB450_3110 Depth=1
	s_and_not1_saveexec_b32 s23, s9
; %bb.5458:                             ;   in Loop: Header=BB450_3110 Depth=1
	v_and_b32_e32 v5, 0xffff, v4
	v_or_b32_e32 v20, 0x10000, v4
	s_delay_alu instid0(VALU_DEP_2) | instskip(NEXT) | instid1(VALU_DEP_1)
	v_cmp_eq_u32_e64 s9, 0, v5
	v_cndmask_b32_e64 v149, v20, v4, s9
; %bb.5459:                             ;   in Loop: Header=BB450_3110 Depth=1
	s_or_b32 exec_lo, exec_lo, s23
	v_lshlrev_b32_e32 v4, 16, v16
                                        ; implicit-def: $vgpr150
	s_delay_alu instid0(VALU_DEP_1) | instskip(NEXT) | instid1(VALU_DEP_1)
	v_mul_f32_e32 v4, v163, v4
	v_and_b32_e32 v5, 0x7f800000, v4
	s_delay_alu instid0(VALU_DEP_1) | instskip(NEXT) | instid1(VALU_DEP_1)
	v_cmp_ne_u32_e64 s9, 0x7f800000, v5
	s_and_saveexec_b32 s23, s9
	s_delay_alu instid0(SALU_CYCLE_1)
	s_xor_b32 s9, exec_lo, s23
; %bb.5460:                             ;   in Loop: Header=BB450_3110 Depth=1
	v_bfe_u32 v5, v4, 16, 1
	s_delay_alu instid0(VALU_DEP_1)
	v_add3_u32 v150, v4, v5, 0x7fff
                                        ; implicit-def: $vgpr4
; %bb.5461:                             ;   in Loop: Header=BB450_3110 Depth=1
	s_and_not1_saveexec_b32 s23, s9
; %bb.5462:                             ;   in Loop: Header=BB450_3110 Depth=1
	v_and_b32_e32 v5, 0xffff, v4
	v_or_b32_e32 v16, 0x10000, v4
	s_delay_alu instid0(VALU_DEP_2) | instskip(NEXT) | instid1(VALU_DEP_1)
	v_cmp_eq_u32_e64 s9, 0, v5
	v_cndmask_b32_e64 v150, v16, v4, s9
; %bb.5463:                             ;   in Loop: Header=BB450_3110 Depth=1
	s_or_b32 exec_lo, exec_lo, s23
	v_lshlrev_b32_e32 v4, 16, v12
                                        ; implicit-def: $vgpr151
	s_delay_alu instid0(VALU_DEP_1) | instskip(NEXT) | instid1(VALU_DEP_1)
	v_mul_f32_e32 v4, v164, v4
	v_and_b32_e32 v5, 0x7f800000, v4
	s_delay_alu instid0(VALU_DEP_1) | instskip(NEXT) | instid1(VALU_DEP_1)
	v_cmp_ne_u32_e64 s9, 0x7f800000, v5
	s_and_saveexec_b32 s23, s9
	s_delay_alu instid0(SALU_CYCLE_1)
	s_xor_b32 s9, exec_lo, s23
; %bb.5464:                             ;   in Loop: Header=BB450_3110 Depth=1
	v_bfe_u32 v5, v4, 16, 1
	s_delay_alu instid0(VALU_DEP_1)
	v_add3_u32 v151, v4, v5, 0x7fff
                                        ; implicit-def: $vgpr4
; %bb.5465:                             ;   in Loop: Header=BB450_3110 Depth=1
	s_and_not1_saveexec_b32 s23, s9
; %bb.5466:                             ;   in Loop: Header=BB450_3110 Depth=1
	v_and_b32_e32 v5, 0xffff, v4
	v_or_b32_e32 v12, 0x10000, v4
	s_delay_alu instid0(VALU_DEP_2) | instskip(NEXT) | instid1(VALU_DEP_1)
	v_cmp_eq_u32_e64 s9, 0, v5
	v_cndmask_b32_e64 v151, v12, v4, s9
; %bb.5467:                             ;   in Loop: Header=BB450_3110 Depth=1
	s_or_b32 exec_lo, exec_lo, s23
	v_lshlrev_b32_e32 v4, 16, v7
                                        ; implicit-def: $vgpr177
	s_delay_alu instid0(VALU_DEP_1) | instskip(NEXT) | instid1(VALU_DEP_1)
	v_mul_f32_e32 v4, v165, v4
	v_and_b32_e32 v5, 0x7f800000, v4
	s_delay_alu instid0(VALU_DEP_1) | instskip(NEXT) | instid1(VALU_DEP_1)
	v_cmp_ne_u32_e64 s9, 0x7f800000, v5
	s_and_saveexec_b32 s23, s9
	s_delay_alu instid0(SALU_CYCLE_1)
	s_xor_b32 s9, exec_lo, s23
; %bb.5468:                             ;   in Loop: Header=BB450_3110 Depth=1
	v_bfe_u32 v5, v4, 16, 1
	s_delay_alu instid0(VALU_DEP_1)
	v_add3_u32 v177, v4, v5, 0x7fff
                                        ; implicit-def: $vgpr4
; %bb.5469:                             ;   in Loop: Header=BB450_3110 Depth=1
	s_and_not1_saveexec_b32 s23, s9
; %bb.5470:                             ;   in Loop: Header=BB450_3110 Depth=1
	v_and_b32_e32 v5, 0xffff, v4
	v_or_b32_e32 v7, 0x10000, v4
	s_delay_alu instid0(VALU_DEP_2) | instskip(NEXT) | instid1(VALU_DEP_1)
	v_cmp_eq_u32_e64 s9, 0, v5
	v_cndmask_b32_e64 v177, v7, v4, s9
; %bb.5471:                             ;   in Loop: Header=BB450_3110 Depth=1
	s_or_b32 exec_lo, exec_lo, s23
	v_lshlrev_b32_e32 v4, 16, v6
                                        ; implicit-def: $vgpr178
	s_delay_alu instid0(VALU_DEP_1) | instskip(NEXT) | instid1(VALU_DEP_1)
	v_mul_f32_e32 v4, v166, v4
	v_and_b32_e32 v5, 0x7f800000, v4
	s_delay_alu instid0(VALU_DEP_1) | instskip(NEXT) | instid1(VALU_DEP_1)
	v_cmp_ne_u32_e64 s9, 0x7f800000, v5
	s_and_saveexec_b32 s23, s9
	s_delay_alu instid0(SALU_CYCLE_1)
	s_xor_b32 s9, exec_lo, s23
; %bb.5472:                             ;   in Loop: Header=BB450_3110 Depth=1
	v_bfe_u32 v5, v4, 16, 1
	s_delay_alu instid0(VALU_DEP_1)
	v_add3_u32 v178, v4, v5, 0x7fff
                                        ; implicit-def: $vgpr4
; %bb.5473:                             ;   in Loop: Header=BB450_3110 Depth=1
	s_and_not1_saveexec_b32 s23, s9
; %bb.5474:                             ;   in Loop: Header=BB450_3110 Depth=1
	v_and_b32_e32 v5, 0xffff, v4
	v_or_b32_e32 v6, 0x10000, v4
	s_delay_alu instid0(VALU_DEP_2) | instskip(NEXT) | instid1(VALU_DEP_1)
	v_cmp_eq_u32_e64 s9, 0, v5
	v_cndmask_b32_e64 v178, v6, v4, s9
; %bb.5475:                             ;   in Loop: Header=BB450_3110 Depth=1
	s_or_b32 exec_lo, exec_lo, s23
	v_lshlrev_b32_e32 v3, 16, v3
                                        ; implicit-def: $vgpr179
	s_delay_alu instid0(VALU_DEP_1) | instskip(NEXT) | instid1(VALU_DEP_1)
	v_mul_f32_e32 v3, v167, v3
	v_and_b32_e32 v4, 0x7f800000, v3
	s_delay_alu instid0(VALU_DEP_1) | instskip(NEXT) | instid1(VALU_DEP_1)
	v_cmp_ne_u32_e64 s9, 0x7f800000, v4
	s_and_saveexec_b32 s23, s9
	s_delay_alu instid0(SALU_CYCLE_1)
	s_xor_b32 s9, exec_lo, s23
; %bb.5476:                             ;   in Loop: Header=BB450_3110 Depth=1
	v_bfe_u32 v4, v3, 16, 1
	s_delay_alu instid0(VALU_DEP_1)
	v_add3_u32 v179, v3, v4, 0x7fff
                                        ; implicit-def: $vgpr3
; %bb.5477:                             ;   in Loop: Header=BB450_3110 Depth=1
	s_and_not1_saveexec_b32 s23, s9
; %bb.5478:                             ;   in Loop: Header=BB450_3110 Depth=1
	v_and_b32_e32 v4, 0xffff, v3
	v_or_b32_e32 v5, 0x10000, v3
	s_delay_alu instid0(VALU_DEP_2) | instskip(NEXT) | instid1(VALU_DEP_1)
	v_cmp_eq_u32_e64 s9, 0, v4
	v_cndmask_b32_e64 v179, v5, v3, s9
; %bb.5479:                             ;   in Loop: Header=BB450_3110 Depth=1
	s_or_b32 exec_lo, exec_lo, s23
	v_lshlrev_b32_e32 v2, 16, v2
                                        ; implicit-def: $vgpr180
	s_delay_alu instid0(VALU_DEP_1) | instskip(NEXT) | instid1(VALU_DEP_1)
	v_mul_f32_e32 v2, v176, v2
	v_and_b32_e32 v3, 0x7f800000, v2
	s_delay_alu instid0(VALU_DEP_1) | instskip(NEXT) | instid1(VALU_DEP_1)
	v_cmp_ne_u32_e64 s9, 0x7f800000, v3
	s_and_saveexec_b32 s23, s9
	s_delay_alu instid0(SALU_CYCLE_1)
	s_xor_b32 s9, exec_lo, s23
; %bb.5480:                             ;   in Loop: Header=BB450_3110 Depth=1
	v_bfe_u32 v3, v2, 16, 1
	s_delay_alu instid0(VALU_DEP_1)
	v_add3_u32 v180, v2, v3, 0x7fff
                                        ; implicit-def: $vgpr2
; %bb.5481:                             ;   in Loop: Header=BB450_3110 Depth=1
	s_and_not1_saveexec_b32 s23, s9
; %bb.5482:                             ;   in Loop: Header=BB450_3110 Depth=1
	v_and_b32_e32 v3, 0xffff, v2
	v_or_b32_e32 v4, 0x10000, v2
	s_delay_alu instid0(VALU_DEP_2) | instskip(NEXT) | instid1(VALU_DEP_1)
	v_cmp_eq_u32_e64 s9, 0, v3
	v_cndmask_b32_e64 v180, v4, v2, s9
; %bb.5483:                             ;   in Loop: Header=BB450_3110 Depth=1
	s_or_b32 exec_lo, exec_lo, s23
	scratch_load_b32 v2, off, s32 offset:888 ; 4-byte Folded Reload
	s_mov_b32 s23, exec_lo
	v_mov_b32_e32 v4, 0
	s_waitcnt vmcnt(0)
	v_add_co_u32 v2, s9, v0, v2
	s_delay_alu instid0(VALU_DEP_1) | instskip(SKIP_3) | instid1(VALU_DEP_1)
	v_add_co_ci_u32_e64 v3, s9, 0, v1, s9
	flat_load_b64 v[2:3], v[2:3]
	s_waitcnt vmcnt(0) lgkmcnt(0)
	v_and_b32_e32 v5, 0xff, v2
	v_cmpx_ne_u16_e32 0, v5
	s_cbranch_execz .LBB450_5491
; %bb.5484:                             ;   in Loop: Header=BB450_3110 Depth=1
	v_bfrev_b32_e32 v4, 1
	s_mov_b32 s24, exec_lo
	v_cmpx_ne_u16_e32 0x80, v5
	s_cbranch_execz .LBB450_5490
; %bb.5485:                             ;   in Loop: Header=BB450_3110 Depth=1
	v_and_b32_e32 v5, 0x7f, v2
	v_mov_b32_e32 v4, 0x7f800001
	s_mov_b32 s25, exec_lo
	s_delay_alu instid0(VALU_DEP_2)
	v_cmpx_ne_u32_e32 0x7f, v5
	s_cbranch_execz .LBB450_5489
; %bb.5486:                             ;   in Loop: Header=BB450_3110 Depth=1
	v_lshrrev_b32_e32 v4, 3, v5
	v_dual_mov_b32 v7, v3 :: v_dual_mov_b32 v6, v2
	s_mov_b32 s26, exec_lo
	v_cmpx_gt_u32_e32 8, v5
; %bb.5487:                             ;   in Loop: Header=BB450_3110 Depth=1
	v_and_b32_e32 v4, 7, v2
	s_delay_alu instid0(VALU_DEP_1) | instskip(NEXT) | instid1(VALU_DEP_1)
	v_clz_i32_u32_e32 v4, v4
	v_min_u32_e32 v4, 32, v4
	s_delay_alu instid0(VALU_DEP_1) | instskip(SKIP_1) | instid1(VALU_DEP_2)
	v_subrev_nc_u32_e32 v5, 28, v4
	v_sub_nc_u32_e32 v4, 29, v4
	v_lshlrev_b64 v[6:7], v5, v[2:3]
; %bb.5488:                             ;   in Loop: Header=BB450_3110 Depth=1
	s_or_b32 exec_lo, exec_lo, s26
	s_delay_alu instid0(VALU_DEP_1) | instskip(SKIP_2) | instid1(VALU_DEP_3)
	v_lshlrev_b32_e32 v5, 20, v6
	v_lshlrev_b32_e32 v6, 24, v2
	v_lshl_add_u32 v4, v4, 23, 0x3c000000
	v_and_b32_e32 v5, 0x700000, v5
	s_delay_alu instid0(VALU_DEP_3) | instskip(NEXT) | instid1(VALU_DEP_1)
	v_and_b32_e32 v6, 0x80000000, v6
	v_or3_b32 v4, v5, v6, v4
.LBB450_5489:                           ;   in Loop: Header=BB450_3110 Depth=1
	s_or_b32 exec_lo, exec_lo, s25
.LBB450_5490:                           ;   in Loop: Header=BB450_3110 Depth=1
	s_delay_alu instid0(SALU_CYCLE_1)
	s_or_b32 exec_lo, exec_lo, s24
.LBB450_5491:                           ;   in Loop: Header=BB450_3110 Depth=1
	s_delay_alu instid0(SALU_CYCLE_1) | instskip(NEXT) | instid1(VALU_DEP_1)
	s_or_b32 exec_lo, exec_lo, s23
	v_mul_f32_e32 v5, v160, v4
	s_delay_alu instid0(VALU_DEP_1) | instskip(NEXT) | instid1(VALU_DEP_1)
	v_and_b32_e32 v4, 0x7f800000, v5
	v_cmp_ne_u32_e64 s9, 0x7f800000, v4
                                        ; implicit-def: $vgpr4
	s_delay_alu instid0(VALU_DEP_1) | instskip(NEXT) | instid1(SALU_CYCLE_1)
	s_and_saveexec_b32 s23, s9
	s_xor_b32 s9, exec_lo, s23
; %bb.5492:                             ;   in Loop: Header=BB450_3110 Depth=1
	v_bfe_u32 v4, v5, 16, 1
	s_delay_alu instid0(VALU_DEP_1)
	v_add3_u32 v4, v5, v4, 0x7fff
                                        ; implicit-def: $vgpr5
; %bb.5493:                             ;   in Loop: Header=BB450_3110 Depth=1
	s_and_not1_saveexec_b32 s23, s9
; %bb.5494:                             ;   in Loop: Header=BB450_3110 Depth=1
	v_and_b32_e32 v4, 0xffff, v5
	v_or_b32_e32 v6, 0x10000, v5
	s_delay_alu instid0(VALU_DEP_2) | instskip(NEXT) | instid1(VALU_DEP_1)
	v_cmp_eq_u32_e64 s9, 0, v4
	v_cndmask_b32_e64 v4, v6, v5, s9
; %bb.5495:                             ;   in Loop: Header=BB450_3110 Depth=1
	s_or_b32 exec_lo, exec_lo, s23
	v_lshrrev_b16 v6, 8, v2
	v_mov_b32_e32 v5, 0
	s_mov_b32 s23, exec_lo
	s_delay_alu instid0(VALU_DEP_2)
	v_cmpx_ne_u16_e32 0, v6
	s_cbranch_execz .LBB450_5503
; %bb.5496:                             ;   in Loop: Header=BB450_3110 Depth=1
	v_bfrev_b32_e32 v5, 1
	s_mov_b32 s24, exec_lo
	v_cmpx_ne_u16_e32 0x80, v6
	s_cbranch_execz .LBB450_5502
; %bb.5497:                             ;   in Loop: Header=BB450_3110 Depth=1
	v_and_b32_e32 v6, 0xffff, v6
	v_mov_b32_e32 v5, 0x7f800001
	s_mov_b32 s25, exec_lo
	s_delay_alu instid0(VALU_DEP_2) | instskip(NEXT) | instid1(VALU_DEP_1)
	v_and_b32_e32 v16, 0x7f, v6
	v_cmpx_ne_u32_e32 0x7f, v16
	s_cbranch_execz .LBB450_5501
; %bb.5498:                             ;   in Loop: Header=BB450_3110 Depth=1
	v_and_b32_e32 v12, 7, v6
	v_lshrrev_b32_e32 v5, 3, v16
	s_mov_b32 s26, exec_lo
	s_delay_alu instid0(VALU_DEP_2)
	v_dual_mov_b32 v6, v12 :: v_dual_mov_b32 v7, v13
	v_cmpx_gt_u32_e32 8, v16
; %bb.5499:                             ;   in Loop: Header=BB450_3110 Depth=1
	v_clz_i32_u32_e32 v5, v12
	s_delay_alu instid0(VALU_DEP_1) | instskip(NEXT) | instid1(VALU_DEP_1)
	v_min_u32_e32 v5, 32, v5
	v_subrev_nc_u32_e32 v6, 28, v5
	v_sub_nc_u32_e32 v5, 29, v5
	s_delay_alu instid0(VALU_DEP_2) | instskip(NEXT) | instid1(VALU_DEP_1)
	v_lshlrev_b64 v[6:7], v6, v[12:13]
	v_and_b32_e32 v6, 7, v6
; %bb.5500:                             ;   in Loop: Header=BB450_3110 Depth=1
	s_or_b32 exec_lo, exec_lo, s26
	v_lshlrev_b32_e32 v7, 16, v2
	s_delay_alu instid0(VALU_DEP_2) | instskip(SKIP_1) | instid1(VALU_DEP_3)
	v_lshlrev_b32_e32 v6, 20, v6
	v_lshl_add_u32 v5, v5, 23, 0x3c000000
	v_and_b32_e32 v7, 0x80000000, v7
	s_delay_alu instid0(VALU_DEP_1)
	v_or3_b32 v5, v6, v7, v5
.LBB450_5501:                           ;   in Loop: Header=BB450_3110 Depth=1
	s_or_b32 exec_lo, exec_lo, s25
.LBB450_5502:                           ;   in Loop: Header=BB450_3110 Depth=1
	s_delay_alu instid0(SALU_CYCLE_1)
	s_or_b32 exec_lo, exec_lo, s24
.LBB450_5503:                           ;   in Loop: Header=BB450_3110 Depth=1
	s_delay_alu instid0(SALU_CYCLE_1) | instskip(NEXT) | instid1(VALU_DEP_1)
	s_or_b32 exec_lo, exec_lo, s23
	v_mul_f32_e32 v6, v160, v5
	s_delay_alu instid0(VALU_DEP_1) | instskip(NEXT) | instid1(VALU_DEP_1)
	v_and_b32_e32 v5, 0x7f800000, v6
	v_cmp_ne_u32_e64 s9, 0x7f800000, v5
                                        ; implicit-def: $vgpr5
	s_delay_alu instid0(VALU_DEP_1) | instskip(NEXT) | instid1(SALU_CYCLE_1)
	s_and_saveexec_b32 s23, s9
	s_xor_b32 s9, exec_lo, s23
; %bb.5504:                             ;   in Loop: Header=BB450_3110 Depth=1
	v_bfe_u32 v5, v6, 16, 1
	s_delay_alu instid0(VALU_DEP_1)
	v_add3_u32 v5, v6, v5, 0x7fff
                                        ; implicit-def: $vgpr6
; %bb.5505:                             ;   in Loop: Header=BB450_3110 Depth=1
	s_and_not1_saveexec_b32 s23, s9
; %bb.5506:                             ;   in Loop: Header=BB450_3110 Depth=1
	v_and_b32_e32 v5, 0xffff, v6
	v_or_b32_e32 v7, 0x10000, v6
	s_delay_alu instid0(VALU_DEP_2) | instskip(NEXT) | instid1(VALU_DEP_1)
	v_cmp_eq_u32_e64 s9, 0, v5
	v_cndmask_b32_e64 v5, v7, v6, s9
; %bb.5507:                             ;   in Loop: Header=BB450_3110 Depth=1
	s_or_b32 exec_lo, exec_lo, s23
	v_lshrrev_b32_e32 v16, 16, v2
	s_mov_b32 s23, exec_lo
	s_delay_alu instid0(VALU_DEP_1) | instskip(NEXT) | instid1(VALU_DEP_1)
	v_dual_mov_b32 v6, 0 :: v_dual_and_b32 v7, 0xff, v16
	v_cmpx_ne_u16_e32 0, v7
	s_cbranch_execz .LBB450_5515
; %bb.5508:                             ;   in Loop: Header=BB450_3110 Depth=1
	v_bfrev_b32_e32 v6, 1
	s_mov_b32 s24, exec_lo
	v_cmpx_ne_u16_e32 0x80, v7
	s_cbranch_execz .LBB450_5514
; %bb.5509:                             ;   in Loop: Header=BB450_3110 Depth=1
	v_bfe_u32 v20, v2, 16, 7
	v_mov_b32_e32 v6, 0x7f800001
	s_mov_b32 s25, exec_lo
	s_delay_alu instid0(VALU_DEP_2)
	v_cmpx_ne_u32_e32 0x7f, v20
	s_cbranch_execz .LBB450_5513
; %bb.5510:                             ;   in Loop: Header=BB450_3110 Depth=1
	v_and_b32_e32 v12, 7, v16
	s_mov_b32 s26, exec_lo
	s_delay_alu instid0(VALU_DEP_1)
	v_dual_mov_b32 v6, v12 :: v_dual_mov_b32 v7, v13
	v_lshrrev_b32_e32 v7, 3, v20
	v_cmpx_gt_u32_e32 8, v20
; %bb.5511:                             ;   in Loop: Header=BB450_3110 Depth=1
	v_clz_i32_u32_e32 v6, v12
	s_delay_alu instid0(VALU_DEP_1) | instskip(NEXT) | instid1(VALU_DEP_1)
	v_min_u32_e32 v20, 32, v6
	v_subrev_nc_u32_e32 v6, 28, v20
	s_delay_alu instid0(VALU_DEP_1) | instskip(SKIP_1) | instid1(VALU_DEP_2)
	v_lshlrev_b64 v[6:7], v6, v[12:13]
	v_sub_nc_u32_e32 v7, 29, v20
	v_and_b32_e32 v6, 7, v6
; %bb.5512:                             ;   in Loop: Header=BB450_3110 Depth=1
	s_or_b32 exec_lo, exec_lo, s26
	v_lshlrev_b32_e32 v12, 24, v16
	s_delay_alu instid0(VALU_DEP_2) | instskip(SKIP_1) | instid1(VALU_DEP_3)
	v_lshlrev_b32_e32 v6, 20, v6
	v_lshl_add_u32 v7, v7, 23, 0x3c000000
	v_and_b32_e32 v12, 0x80000000, v12
	s_delay_alu instid0(VALU_DEP_1)
	v_or3_b32 v6, v6, v12, v7
.LBB450_5513:                           ;   in Loop: Header=BB450_3110 Depth=1
	s_or_b32 exec_lo, exec_lo, s25
.LBB450_5514:                           ;   in Loop: Header=BB450_3110 Depth=1
	s_delay_alu instid0(SALU_CYCLE_1)
	s_or_b32 exec_lo, exec_lo, s24
.LBB450_5515:                           ;   in Loop: Header=BB450_3110 Depth=1
	s_delay_alu instid0(SALU_CYCLE_1) | instskip(NEXT) | instid1(VALU_DEP_1)
	s_or_b32 exec_lo, exec_lo, s23
	v_mul_f32_e32 v6, v160, v6
                                        ; implicit-def: $vgpr16
	s_delay_alu instid0(VALU_DEP_1) | instskip(NEXT) | instid1(VALU_DEP_1)
	v_and_b32_e32 v7, 0x7f800000, v6
	v_cmp_ne_u32_e64 s9, 0x7f800000, v7
	s_delay_alu instid0(VALU_DEP_1) | instskip(NEXT) | instid1(SALU_CYCLE_1)
	s_and_saveexec_b32 s23, s9
	s_xor_b32 s9, exec_lo, s23
; %bb.5516:                             ;   in Loop: Header=BB450_3110 Depth=1
	v_bfe_u32 v7, v6, 16, 1
	s_delay_alu instid0(VALU_DEP_1)
	v_add3_u32 v16, v6, v7, 0x7fff
                                        ; implicit-def: $vgpr6
; %bb.5517:                             ;   in Loop: Header=BB450_3110 Depth=1
	s_and_not1_saveexec_b32 s23, s9
; %bb.5518:                             ;   in Loop: Header=BB450_3110 Depth=1
	v_and_b32_e32 v7, 0xffff, v6
	v_or_b32_e32 v12, 0x10000, v6
	s_delay_alu instid0(VALU_DEP_2) | instskip(NEXT) | instid1(VALU_DEP_1)
	v_cmp_eq_u32_e64 s9, 0, v7
	v_cndmask_b32_e64 v16, v12, v6, s9
; %bb.5519:                             ;   in Loop: Header=BB450_3110 Depth=1
	s_or_b32 exec_lo, exec_lo, s23
	v_mov_b32_e32 v6, 0
	s_mov_b32 s23, exec_lo
	v_cmpx_lt_u32_e32 0xffffff, v2
	s_cbranch_execz .LBB450_5527
; %bb.5520:                             ;   in Loop: Header=BB450_3110 Depth=1
	v_lshrrev_b32_e32 v20, 24, v2
	v_bfrev_b32_e32 v6, 1
	s_mov_b32 s24, exec_lo
	s_delay_alu instid0(VALU_DEP_2)
	v_cmpx_ne_u32_e32 0x80, v20
	s_cbranch_execz .LBB450_5526
; %bb.5521:                             ;   in Loop: Header=BB450_3110 Depth=1
	v_bfe_u32 v21, v2, 24, 7
	v_mov_b32_e32 v6, 0x7f800001
	s_mov_b32 s25, exec_lo
	s_delay_alu instid0(VALU_DEP_2)
	v_cmpx_ne_u32_e32 0x7f, v21
	s_cbranch_execz .LBB450_5525
; %bb.5522:                             ;   in Loop: Header=BB450_3110 Depth=1
	v_and_b32_e32 v12, 7, v20
	s_mov_b32 s26, exec_lo
	s_delay_alu instid0(VALU_DEP_1)
	v_dual_mov_b32 v6, v12 :: v_dual_mov_b32 v7, v13
	v_lshrrev_b32_e32 v7, 3, v21
	v_cmpx_gt_u32_e32 8, v21
; %bb.5523:                             ;   in Loop: Header=BB450_3110 Depth=1
	v_clz_i32_u32_e32 v6, v12
	s_delay_alu instid0(VALU_DEP_1) | instskip(NEXT) | instid1(VALU_DEP_1)
	v_min_u32_e32 v21, 32, v6
	v_subrev_nc_u32_e32 v6, 28, v21
	s_delay_alu instid0(VALU_DEP_1) | instskip(SKIP_1) | instid1(VALU_DEP_2)
	v_lshlrev_b64 v[6:7], v6, v[12:13]
	v_sub_nc_u32_e32 v7, 29, v21
	v_and_b32_e32 v6, 7, v6
; %bb.5524:                             ;   in Loop: Header=BB450_3110 Depth=1
	s_or_b32 exec_lo, exec_lo, s26
	v_lshlrev_b32_e32 v12, 24, v20
	s_delay_alu instid0(VALU_DEP_2) | instskip(SKIP_1) | instid1(VALU_DEP_3)
	v_lshlrev_b32_e32 v6, 20, v6
	v_lshl_add_u32 v7, v7, 23, 0x3c000000
	v_and_b32_e32 v12, 0x80000000, v12
	s_delay_alu instid0(VALU_DEP_1)
	v_or3_b32 v6, v6, v12, v7
.LBB450_5525:                           ;   in Loop: Header=BB450_3110 Depth=1
	s_or_b32 exec_lo, exec_lo, s25
.LBB450_5526:                           ;   in Loop: Header=BB450_3110 Depth=1
	s_delay_alu instid0(SALU_CYCLE_1)
	s_or_b32 exec_lo, exec_lo, s24
.LBB450_5527:                           ;   in Loop: Header=BB450_3110 Depth=1
	s_delay_alu instid0(SALU_CYCLE_1) | instskip(NEXT) | instid1(VALU_DEP_1)
	s_or_b32 exec_lo, exec_lo, s23
	v_mul_f32_e32 v6, v160, v6
                                        ; implicit-def: $vgpr20
	s_delay_alu instid0(VALU_DEP_1) | instskip(NEXT) | instid1(VALU_DEP_1)
	v_and_b32_e32 v7, 0x7f800000, v6
	v_cmp_ne_u32_e64 s9, 0x7f800000, v7
	s_delay_alu instid0(VALU_DEP_1) | instskip(NEXT) | instid1(SALU_CYCLE_1)
	s_and_saveexec_b32 s23, s9
	s_xor_b32 s9, exec_lo, s23
; %bb.5528:                             ;   in Loop: Header=BB450_3110 Depth=1
	v_bfe_u32 v7, v6, 16, 1
	s_delay_alu instid0(VALU_DEP_1)
	v_add3_u32 v20, v6, v7, 0x7fff
                                        ; implicit-def: $vgpr6
; %bb.5529:                             ;   in Loop: Header=BB450_3110 Depth=1
	s_and_not1_saveexec_b32 s23, s9
; %bb.5530:                             ;   in Loop: Header=BB450_3110 Depth=1
	v_and_b32_e32 v7, 0xffff, v6
	v_or_b32_e32 v12, 0x10000, v6
	s_delay_alu instid0(VALU_DEP_2) | instskip(NEXT) | instid1(VALU_DEP_1)
	v_cmp_eq_u32_e64 s9, 0, v7
	v_cndmask_b32_e64 v20, v12, v6, s9
; %bb.5531:                             ;   in Loop: Header=BB450_3110 Depth=1
	s_or_b32 exec_lo, exec_lo, s23
	v_dual_mov_b32 v12, v3 :: v_dual_and_b32 v7, 0xff, v3
	v_mov_b32_e32 v6, 0
	s_mov_b32 s23, exec_lo
	s_delay_alu instid0(VALU_DEP_2)
	v_cmpx_ne_u16_e32 0, v7
	s_cbranch_execz .LBB450_5539
; %bb.5532:                             ;   in Loop: Header=BB450_3110 Depth=1
	v_bfrev_b32_e32 v6, 1
	s_mov_b32 s24, exec_lo
	v_cmpx_ne_u16_e32 0x80, v7
	s_cbranch_execz .LBB450_5538
; %bb.5533:                             ;   in Loop: Header=BB450_3110 Depth=1
	v_and_b32_e32 v21, 0x7f, v3
	v_mov_b32_e32 v6, 0x7f800001
	s_mov_b32 s25, exec_lo
	s_delay_alu instid0(VALU_DEP_2)
	v_cmpx_ne_u32_e32 0x7f, v21
	s_cbranch_execz .LBB450_5537
; %bb.5534:                             ;   in Loop: Header=BB450_3110 Depth=1
	v_dual_mov_b32 v6, v12 :: v_dual_mov_b32 v7, v13
	v_lshrrev_b32_e32 v7, 3, v21
	s_mov_b32 s26, exec_lo
	v_cmpx_gt_u32_e32 8, v21
; %bb.5535:                             ;   in Loop: Header=BB450_3110 Depth=1
	v_and_b32_e32 v6, 7, v3
	s_delay_alu instid0(VALU_DEP_1) | instskip(NEXT) | instid1(VALU_DEP_1)
	v_clz_i32_u32_e32 v6, v6
	v_min_u32_e32 v21, 32, v6
	s_delay_alu instid0(VALU_DEP_1) | instskip(NEXT) | instid1(VALU_DEP_1)
	v_subrev_nc_u32_e32 v6, 28, v21
	v_lshlrev_b64 v[6:7], v6, v[12:13]
	v_sub_nc_u32_e32 v7, 29, v21
; %bb.5536:                             ;   in Loop: Header=BB450_3110 Depth=1
	s_or_b32 exec_lo, exec_lo, s26
	s_delay_alu instid0(VALU_DEP_2) | instskip(SKIP_1) | instid1(VALU_DEP_3)
	v_lshlrev_b32_e32 v6, 20, v6
	v_lshlrev_b32_e32 v21, 24, v12
	v_lshl_add_u32 v7, v7, 23, 0x3c000000
	s_delay_alu instid0(VALU_DEP_3) | instskip(NEXT) | instid1(VALU_DEP_3)
	v_and_b32_e32 v6, 0x700000, v6
	v_and_b32_e32 v21, 0x80000000, v21
	s_delay_alu instid0(VALU_DEP_1)
	v_or3_b32 v6, v6, v21, v7
.LBB450_5537:                           ;   in Loop: Header=BB450_3110 Depth=1
	s_or_b32 exec_lo, exec_lo, s25
.LBB450_5538:                           ;   in Loop: Header=BB450_3110 Depth=1
	s_delay_alu instid0(SALU_CYCLE_1)
	s_or_b32 exec_lo, exec_lo, s24
.LBB450_5539:                           ;   in Loop: Header=BB450_3110 Depth=1
	s_delay_alu instid0(SALU_CYCLE_1) | instskip(NEXT) | instid1(VALU_DEP_1)
	s_or_b32 exec_lo, exec_lo, s23
	v_mul_f32_e32 v6, v160, v6
                                        ; implicit-def: $vgpr21
	s_delay_alu instid0(VALU_DEP_1) | instskip(NEXT) | instid1(VALU_DEP_1)
	v_and_b32_e32 v7, 0x7f800000, v6
	v_cmp_ne_u32_e64 s9, 0x7f800000, v7
	s_delay_alu instid0(VALU_DEP_1) | instskip(NEXT) | instid1(SALU_CYCLE_1)
	s_and_saveexec_b32 s23, s9
	s_xor_b32 s9, exec_lo, s23
; %bb.5540:                             ;   in Loop: Header=BB450_3110 Depth=1
	v_bfe_u32 v7, v6, 16, 1
	s_delay_alu instid0(VALU_DEP_1)
	v_add3_u32 v21, v6, v7, 0x7fff
                                        ; implicit-def: $vgpr6
; %bb.5541:                             ;   in Loop: Header=BB450_3110 Depth=1
	s_and_not1_saveexec_b32 s23, s9
; %bb.5542:                             ;   in Loop: Header=BB450_3110 Depth=1
	v_and_b32_e32 v7, 0xffff, v6
	v_or_b32_e32 v21, 0x10000, v6
	s_delay_alu instid0(VALU_DEP_2) | instskip(NEXT) | instid1(VALU_DEP_1)
	v_cmp_eq_u32_e64 s9, 0, v7
	v_cndmask_b32_e64 v21, v21, v6, s9
; %bb.5543:                             ;   in Loop: Header=BB450_3110 Depth=1
	s_or_b32 exec_lo, exec_lo, s23
	v_lshrrev_b16 v7, 8, v12
	v_mov_b32_e32 v6, 0
	s_mov_b32 s23, exec_lo
	s_delay_alu instid0(VALU_DEP_2)
	v_cmpx_ne_u16_e32 0, v7
	s_cbranch_execz .LBB450_5551
; %bb.5544:                             ;   in Loop: Header=BB450_3110 Depth=1
	v_bfrev_b32_e32 v6, 1
	s_mov_b32 s24, exec_lo
	v_cmpx_ne_u16_e32 0x80, v7
	s_cbranch_execz .LBB450_5550
; %bb.5545:                             ;   in Loop: Header=BB450_3110 Depth=1
	v_and_b32_e32 v7, 0xffff, v7
	v_mov_b32_e32 v6, 0x7f800001
	s_mov_b32 s25, exec_lo
	s_delay_alu instid0(VALU_DEP_2) | instskip(NEXT) | instid1(VALU_DEP_1)
	v_and_b32_e32 v25, 0x7f, v7
	v_cmpx_ne_u32_e32 0x7f, v25
	s_cbranch_execz .LBB450_5549
; %bb.5546:                             ;   in Loop: Header=BB450_3110 Depth=1
	v_dual_mov_b32 v7, v13 :: v_dual_and_b32 v6, 7, v7
	v_lshrrev_b32_e32 v24, 3, v25
	s_mov_b32 s26, exec_lo
	v_cmpx_gt_u32_e32 8, v25
; %bb.5547:                             ;   in Loop: Header=BB450_3110 Depth=1
	s_delay_alu instid0(VALU_DEP_3) | instskip(NEXT) | instid1(VALU_DEP_1)
	v_clz_i32_u32_e32 v24, v6
	v_min_u32_e32 v24, 32, v24
	s_delay_alu instid0(VALU_DEP_1) | instskip(SKIP_1) | instid1(VALU_DEP_2)
	v_subrev_nc_u32_e32 v25, 28, v24
	v_sub_nc_u32_e32 v24, 29, v24
	v_lshlrev_b64 v[6:7], v25, v[6:7]
	s_delay_alu instid0(VALU_DEP_1)
	v_and_b32_e32 v6, 7, v6
; %bb.5548:                             ;   in Loop: Header=BB450_3110 Depth=1
	s_or_b32 exec_lo, exec_lo, s26
	v_lshlrev_b32_e32 v7, 16, v12
	s_delay_alu instid0(VALU_DEP_2) | instskip(SKIP_1) | instid1(VALU_DEP_3)
	v_lshlrev_b32_e32 v6, 20, v6
	v_lshl_add_u32 v12, v24, 23, 0x3c000000
	v_and_b32_e32 v7, 0x80000000, v7
	s_delay_alu instid0(VALU_DEP_1)
	v_or3_b32 v6, v6, v7, v12
.LBB450_5549:                           ;   in Loop: Header=BB450_3110 Depth=1
	s_or_b32 exec_lo, exec_lo, s25
.LBB450_5550:                           ;   in Loop: Header=BB450_3110 Depth=1
	s_delay_alu instid0(SALU_CYCLE_1)
	s_or_b32 exec_lo, exec_lo, s24
.LBB450_5551:                           ;   in Loop: Header=BB450_3110 Depth=1
	s_delay_alu instid0(SALU_CYCLE_1) | instskip(NEXT) | instid1(VALU_DEP_1)
	s_or_b32 exec_lo, exec_lo, s23
	v_mul_f32_e32 v6, v160, v6
                                        ; implicit-def: $vgpr24
	s_delay_alu instid0(VALU_DEP_1) | instskip(NEXT) | instid1(VALU_DEP_1)
	v_and_b32_e32 v7, 0x7f800000, v6
	v_cmp_ne_u32_e64 s9, 0x7f800000, v7
	s_delay_alu instid0(VALU_DEP_1) | instskip(NEXT) | instid1(SALU_CYCLE_1)
	s_and_saveexec_b32 s23, s9
	s_xor_b32 s9, exec_lo, s23
; %bb.5552:                             ;   in Loop: Header=BB450_3110 Depth=1
	v_bfe_u32 v7, v6, 16, 1
	s_delay_alu instid0(VALU_DEP_1)
	v_add3_u32 v24, v6, v7, 0x7fff
                                        ; implicit-def: $vgpr6
; %bb.5553:                             ;   in Loop: Header=BB450_3110 Depth=1
	s_and_not1_saveexec_b32 s23, s9
; %bb.5554:                             ;   in Loop: Header=BB450_3110 Depth=1
	v_and_b32_e32 v7, 0xffff, v6
	v_or_b32_e32 v12, 0x10000, v6
	s_delay_alu instid0(VALU_DEP_2) | instskip(NEXT) | instid1(VALU_DEP_1)
	v_cmp_eq_u32_e64 s9, 0, v7
	v_cndmask_b32_e64 v24, v12, v6, s9
; %bb.5555:                             ;   in Loop: Header=BB450_3110 Depth=1
	s_or_b32 exec_lo, exec_lo, s23
	v_lshrrev_b32_e32 v25, 16, v3
	s_mov_b32 s23, exec_lo
	s_delay_alu instid0(VALU_DEP_1) | instskip(NEXT) | instid1(VALU_DEP_1)
	v_dual_mov_b32 v6, 0 :: v_dual_and_b32 v7, 0xff, v25
	v_cmpx_ne_u16_e32 0, v7
	s_cbranch_execz .LBB450_5563
; %bb.5556:                             ;   in Loop: Header=BB450_3110 Depth=1
	v_bfrev_b32_e32 v6, 1
	s_mov_b32 s24, exec_lo
	v_cmpx_ne_u16_e32 0x80, v7
	s_cbranch_execz .LBB450_5562
; %bb.5557:                             ;   in Loop: Header=BB450_3110 Depth=1
	v_bfe_u32 v28, v3, 16, 7
	v_mov_b32_e32 v6, 0x7f800001
	s_mov_b32 s25, exec_lo
	s_delay_alu instid0(VALU_DEP_2)
	v_cmpx_ne_u32_e32 0x7f, v28
	s_cbranch_execz .LBB450_5561
; %bb.5558:                             ;   in Loop: Header=BB450_3110 Depth=1
	v_and_b32_e32 v12, 7, v25
	s_mov_b32 s26, exec_lo
	s_delay_alu instid0(VALU_DEP_1)
	v_dual_mov_b32 v6, v12 :: v_dual_mov_b32 v7, v13
	v_lshrrev_b32_e32 v7, 3, v28
	v_cmpx_gt_u32_e32 8, v28
; %bb.5559:                             ;   in Loop: Header=BB450_3110 Depth=1
	v_clz_i32_u32_e32 v6, v12
	s_delay_alu instid0(VALU_DEP_1) | instskip(NEXT) | instid1(VALU_DEP_1)
	v_min_u32_e32 v28, 32, v6
	v_subrev_nc_u32_e32 v6, 28, v28
	s_delay_alu instid0(VALU_DEP_1) | instskip(SKIP_1) | instid1(VALU_DEP_2)
	v_lshlrev_b64 v[6:7], v6, v[12:13]
	v_sub_nc_u32_e32 v7, 29, v28
	v_and_b32_e32 v6, 7, v6
; %bb.5560:                             ;   in Loop: Header=BB450_3110 Depth=1
	s_or_b32 exec_lo, exec_lo, s26
	v_lshlrev_b32_e32 v12, 24, v25
	s_delay_alu instid0(VALU_DEP_2) | instskip(SKIP_1) | instid1(VALU_DEP_3)
	v_lshlrev_b32_e32 v6, 20, v6
	v_lshl_add_u32 v7, v7, 23, 0x3c000000
	v_and_b32_e32 v12, 0x80000000, v12
	s_delay_alu instid0(VALU_DEP_1)
	v_or3_b32 v6, v6, v12, v7
.LBB450_5561:                           ;   in Loop: Header=BB450_3110 Depth=1
	s_or_b32 exec_lo, exec_lo, s25
.LBB450_5562:                           ;   in Loop: Header=BB450_3110 Depth=1
	s_delay_alu instid0(SALU_CYCLE_1)
	s_or_b32 exec_lo, exec_lo, s24
.LBB450_5563:                           ;   in Loop: Header=BB450_3110 Depth=1
	s_delay_alu instid0(SALU_CYCLE_1) | instskip(NEXT) | instid1(VALU_DEP_1)
	s_or_b32 exec_lo, exec_lo, s23
	v_mul_f32_e32 v6, v160, v6
                                        ; implicit-def: $vgpr25
	s_delay_alu instid0(VALU_DEP_1) | instskip(NEXT) | instid1(VALU_DEP_1)
	v_and_b32_e32 v7, 0x7f800000, v6
	v_cmp_ne_u32_e64 s9, 0x7f800000, v7
	s_delay_alu instid0(VALU_DEP_1) | instskip(NEXT) | instid1(SALU_CYCLE_1)
	s_and_saveexec_b32 s23, s9
	s_xor_b32 s9, exec_lo, s23
; %bb.5564:                             ;   in Loop: Header=BB450_3110 Depth=1
	v_bfe_u32 v7, v6, 16, 1
	s_delay_alu instid0(VALU_DEP_1)
	v_add3_u32 v25, v6, v7, 0x7fff
                                        ; implicit-def: $vgpr6
; %bb.5565:                             ;   in Loop: Header=BB450_3110 Depth=1
	s_and_not1_saveexec_b32 s23, s9
; %bb.5566:                             ;   in Loop: Header=BB450_3110 Depth=1
	v_and_b32_e32 v7, 0xffff, v6
	v_or_b32_e32 v12, 0x10000, v6
	s_delay_alu instid0(VALU_DEP_2) | instskip(NEXT) | instid1(VALU_DEP_1)
	v_cmp_eq_u32_e64 s9, 0, v7
	v_cndmask_b32_e64 v25, v12, v6, s9
; %bb.5567:                             ;   in Loop: Header=BB450_3110 Depth=1
	s_or_b32 exec_lo, exec_lo, s23
	v_cmp_lt_u64_e64 s9, s[18:19], v[2:3]
	v_mov_b32_e32 v2, 0
	s_delay_alu instid0(VALU_DEP_2)
	s_and_saveexec_b32 s23, s9
	s_cbranch_execz .LBB450_5575
; %bb.5568:                             ;   in Loop: Header=BB450_3110 Depth=1
	v_lshrrev_b32_e32 v6, 24, v3
	v_bfrev_b32_e32 v2, 1
	s_mov_b32 s24, exec_lo
	s_delay_alu instid0(VALU_DEP_2)
	v_cmpx_ne_u32_e32 0x80, v6
	s_cbranch_execz .LBB450_5574
; %bb.5569:                             ;   in Loop: Header=BB450_3110 Depth=1
	v_bfe_u32 v7, v3, 24, 7
	v_mov_b32_e32 v2, 0x7f800001
	s_mov_b32 s25, exec_lo
	s_delay_alu instid0(VALU_DEP_2)
	v_cmpx_ne_u32_e32 0x7f, v7
	s_cbranch_execz .LBB450_5573
; %bb.5570:                             ;   in Loop: Header=BB450_3110 Depth=1
	v_and_b32_e32 v12, 7, v6
	s_mov_b32 s26, exec_lo
	s_delay_alu instid0(VALU_DEP_1)
	v_dual_mov_b32 v2, v12 :: v_dual_mov_b32 v3, v13
	v_lshrrev_b32_e32 v3, 3, v7
	v_cmpx_gt_u32_e32 8, v7
; %bb.5571:                             ;   in Loop: Header=BB450_3110 Depth=1
	v_clz_i32_u32_e32 v2, v12
	s_delay_alu instid0(VALU_DEP_1) | instskip(NEXT) | instid1(VALU_DEP_1)
	v_min_u32_e32 v7, 32, v2
	v_subrev_nc_u32_e32 v2, 28, v7
	s_delay_alu instid0(VALU_DEP_1) | instskip(SKIP_1) | instid1(VALU_DEP_2)
	v_lshlrev_b64 v[2:3], v2, v[12:13]
	v_sub_nc_u32_e32 v3, 29, v7
	v_and_b32_e32 v2, 7, v2
; %bb.5572:                             ;   in Loop: Header=BB450_3110 Depth=1
	s_or_b32 exec_lo, exec_lo, s26
	v_lshlrev_b32_e32 v6, 24, v6
	s_delay_alu instid0(VALU_DEP_2) | instskip(SKIP_1) | instid1(VALU_DEP_3)
	v_lshlrev_b32_e32 v2, 20, v2
	v_lshl_add_u32 v3, v3, 23, 0x3c000000
	v_and_b32_e32 v6, 0x80000000, v6
	s_delay_alu instid0(VALU_DEP_1)
	v_or3_b32 v2, v2, v6, v3
.LBB450_5573:                           ;   in Loop: Header=BB450_3110 Depth=1
	s_or_b32 exec_lo, exec_lo, s25
.LBB450_5574:                           ;   in Loop: Header=BB450_3110 Depth=1
	s_delay_alu instid0(SALU_CYCLE_1)
	s_or_b32 exec_lo, exec_lo, s24
.LBB450_5575:                           ;   in Loop: Header=BB450_3110 Depth=1
	s_delay_alu instid0(SALU_CYCLE_1) | instskip(NEXT) | instid1(VALU_DEP_1)
	s_or_b32 exec_lo, exec_lo, s23
	v_mul_f32_e32 v3, v160, v2
	s_delay_alu instid0(VALU_DEP_1) | instskip(NEXT) | instid1(VALU_DEP_1)
	v_and_b32_e32 v2, 0x7f800000, v3
	v_cmp_ne_u32_e64 s9, 0x7f800000, v2
                                        ; implicit-def: $vgpr2
	s_delay_alu instid0(VALU_DEP_1) | instskip(NEXT) | instid1(SALU_CYCLE_1)
	s_and_saveexec_b32 s23, s9
	s_xor_b32 s9, exec_lo, s23
; %bb.5576:                             ;   in Loop: Header=BB450_3110 Depth=1
	v_bfe_u32 v2, v3, 16, 1
	s_delay_alu instid0(VALU_DEP_1)
	v_add3_u32 v2, v3, v2, 0x7fff
                                        ; implicit-def: $vgpr3
; %bb.5577:                             ;   in Loop: Header=BB450_3110 Depth=1
	s_and_not1_saveexec_b32 s23, s9
; %bb.5578:                             ;   in Loop: Header=BB450_3110 Depth=1
	v_and_b32_e32 v2, 0xffff, v3
	v_or_b32_e32 v6, 0x10000, v3
	s_delay_alu instid0(VALU_DEP_2) | instskip(NEXT) | instid1(VALU_DEP_1)
	v_cmp_eq_u32_e64 s9, 0, v2
	v_cndmask_b32_e64 v2, v6, v3, s9
; %bb.5579:                             ;   in Loop: Header=BB450_3110 Depth=1
	s_or_b32 exec_lo, exec_lo, s23
	v_lshrrev_b32_e32 v6, 16, v24
	v_lshrrev_b32_e32 v7, 16, v21
	;; [unrolled: 1-line block ×8, first 2 shown]
	s_and_saveexec_b32 s9, s1
; %bb.5580:                             ;   in Loop: Header=BB450_3110 Depth=1
	s_delay_alu instid0(VALU_DEP_3)
	v_cndmask_b32_e32 v4, 0, v4, vcc_lo
	v_cndmask_b32_e64 v5, 0, v5, s2
	v_cndmask_b32_e64 v16, 0, v16, s3
	;; [unrolled: 1-line block ×7, first 2 shown]
; %bb.5581:                             ;   in Loop: Header=BB450_3110 Depth=1
	s_or_b32 exec_lo, exec_lo, s9
	v_lshlrev_b32_e32 v4, 16, v4
                                        ; implicit-def: $vgpr181
	s_delay_alu instid0(VALU_DEP_1) | instskip(NEXT) | instid1(VALU_DEP_1)
	v_mul_f32_e32 v4, v161, v4
	v_and_b32_e32 v20, 0x7f800000, v4
	s_delay_alu instid0(VALU_DEP_1) | instskip(NEXT) | instid1(VALU_DEP_1)
	v_cmp_ne_u32_e64 s9, 0x7f800000, v20
	s_and_saveexec_b32 s23, s9
	s_delay_alu instid0(SALU_CYCLE_1)
	s_xor_b32 s9, exec_lo, s23
; %bb.5582:                             ;   in Loop: Header=BB450_3110 Depth=1
	v_bfe_u32 v20, v4, 16, 1
	s_delay_alu instid0(VALU_DEP_1)
	v_add3_u32 v181, v4, v20, 0x7fff
                                        ; implicit-def: $vgpr4
; %bb.5583:                             ;   in Loop: Header=BB450_3110 Depth=1
	s_and_not1_saveexec_b32 s23, s9
; %bb.5584:                             ;   in Loop: Header=BB450_3110 Depth=1
	v_and_b32_e32 v20, 0xffff, v4
	v_or_b32_e32 v21, 0x10000, v4
	s_delay_alu instid0(VALU_DEP_2) | instskip(NEXT) | instid1(VALU_DEP_1)
	v_cmp_eq_u32_e64 s9, 0, v20
	v_cndmask_b32_e64 v181, v21, v4, s9
; %bb.5585:                             ;   in Loop: Header=BB450_3110 Depth=1
	s_or_b32 exec_lo, exec_lo, s23
	v_lshlrev_b32_e32 v4, 16, v5
                                        ; implicit-def: $vgpr182
	s_delay_alu instid0(VALU_DEP_1) | instskip(NEXT) | instid1(VALU_DEP_1)
	v_mul_f32_e32 v4, v162, v4
	v_and_b32_e32 v5, 0x7f800000, v4
	s_delay_alu instid0(VALU_DEP_1) | instskip(NEXT) | instid1(VALU_DEP_1)
	v_cmp_ne_u32_e64 s9, 0x7f800000, v5
	s_and_saveexec_b32 s23, s9
	s_delay_alu instid0(SALU_CYCLE_1)
	s_xor_b32 s9, exec_lo, s23
; %bb.5586:                             ;   in Loop: Header=BB450_3110 Depth=1
	v_bfe_u32 v5, v4, 16, 1
	s_delay_alu instid0(VALU_DEP_1)
	v_add3_u32 v182, v4, v5, 0x7fff
                                        ; implicit-def: $vgpr4
; %bb.5587:                             ;   in Loop: Header=BB450_3110 Depth=1
	s_and_not1_saveexec_b32 s23, s9
; %bb.5588:                             ;   in Loop: Header=BB450_3110 Depth=1
	v_and_b32_e32 v5, 0xffff, v4
	v_or_b32_e32 v20, 0x10000, v4
	s_delay_alu instid0(VALU_DEP_2) | instskip(NEXT) | instid1(VALU_DEP_1)
	v_cmp_eq_u32_e64 s9, 0, v5
	v_cndmask_b32_e64 v182, v20, v4, s9
; %bb.5589:                             ;   in Loop: Header=BB450_3110 Depth=1
	s_or_b32 exec_lo, exec_lo, s23
	v_lshlrev_b32_e32 v4, 16, v16
                                        ; implicit-def: $vgpr183
	s_delay_alu instid0(VALU_DEP_1) | instskip(NEXT) | instid1(VALU_DEP_1)
	v_mul_f32_e32 v4, v163, v4
	v_and_b32_e32 v5, 0x7f800000, v4
	s_delay_alu instid0(VALU_DEP_1) | instskip(NEXT) | instid1(VALU_DEP_1)
	v_cmp_ne_u32_e64 s9, 0x7f800000, v5
	s_and_saveexec_b32 s23, s9
	s_delay_alu instid0(SALU_CYCLE_1)
	s_xor_b32 s9, exec_lo, s23
; %bb.5590:                             ;   in Loop: Header=BB450_3110 Depth=1
	v_bfe_u32 v5, v4, 16, 1
	s_delay_alu instid0(VALU_DEP_1)
	v_add3_u32 v183, v4, v5, 0x7fff
                                        ; implicit-def: $vgpr4
; %bb.5591:                             ;   in Loop: Header=BB450_3110 Depth=1
	s_and_not1_saveexec_b32 s23, s9
; %bb.5592:                             ;   in Loop: Header=BB450_3110 Depth=1
	v_and_b32_e32 v5, 0xffff, v4
	v_or_b32_e32 v16, 0x10000, v4
	s_delay_alu instid0(VALU_DEP_2) | instskip(NEXT) | instid1(VALU_DEP_1)
	v_cmp_eq_u32_e64 s9, 0, v5
	v_cndmask_b32_e64 v183, v16, v4, s9
; %bb.5593:                             ;   in Loop: Header=BB450_3110 Depth=1
	s_or_b32 exec_lo, exec_lo, s23
	v_lshlrev_b32_e32 v4, 16, v12
                                        ; implicit-def: $vgpr40
	s_delay_alu instid0(VALU_DEP_1) | instskip(NEXT) | instid1(VALU_DEP_1)
	v_mul_f32_e32 v4, v164, v4
	v_and_b32_e32 v5, 0x7f800000, v4
	s_delay_alu instid0(VALU_DEP_1) | instskip(NEXT) | instid1(VALU_DEP_1)
	v_cmp_ne_u32_e64 s9, 0x7f800000, v5
	s_and_saveexec_b32 s23, s9
	s_delay_alu instid0(SALU_CYCLE_1)
	s_xor_b32 s9, exec_lo, s23
; %bb.5594:                             ;   in Loop: Header=BB450_3110 Depth=1
	v_bfe_u32 v5, v4, 16, 1
	s_delay_alu instid0(VALU_DEP_1)
	v_add3_u32 v40, v4, v5, 0x7fff
                                        ; implicit-def: $vgpr4
; %bb.5595:                             ;   in Loop: Header=BB450_3110 Depth=1
	s_and_not1_saveexec_b32 s23, s9
; %bb.5596:                             ;   in Loop: Header=BB450_3110 Depth=1
	v_and_b32_e32 v5, 0xffff, v4
	v_or_b32_e32 v12, 0x10000, v4
	s_delay_alu instid0(VALU_DEP_2) | instskip(NEXT) | instid1(VALU_DEP_1)
	v_cmp_eq_u32_e64 s9, 0, v5
	v_cndmask_b32_e64 v40, v12, v4, s9
; %bb.5597:                             ;   in Loop: Header=BB450_3110 Depth=1
	s_or_b32 exec_lo, exec_lo, s23
	v_lshlrev_b32_e32 v4, 16, v7
                                        ; implicit-def: $vgpr41
	s_delay_alu instid0(VALU_DEP_1) | instskip(NEXT) | instid1(VALU_DEP_1)
	v_mul_f32_e32 v4, v165, v4
	v_and_b32_e32 v5, 0x7f800000, v4
	s_delay_alu instid0(VALU_DEP_1) | instskip(NEXT) | instid1(VALU_DEP_1)
	v_cmp_ne_u32_e64 s9, 0x7f800000, v5
	s_and_saveexec_b32 s23, s9
	s_delay_alu instid0(SALU_CYCLE_1)
	s_xor_b32 s9, exec_lo, s23
; %bb.5598:                             ;   in Loop: Header=BB450_3110 Depth=1
	v_bfe_u32 v5, v4, 16, 1
	s_delay_alu instid0(VALU_DEP_1)
	v_add3_u32 v41, v4, v5, 0x7fff
                                        ; implicit-def: $vgpr4
; %bb.5599:                             ;   in Loop: Header=BB450_3110 Depth=1
	s_and_not1_saveexec_b32 s23, s9
; %bb.5600:                             ;   in Loop: Header=BB450_3110 Depth=1
	v_and_b32_e32 v5, 0xffff, v4
	v_or_b32_e32 v7, 0x10000, v4
	s_delay_alu instid0(VALU_DEP_2) | instskip(NEXT) | instid1(VALU_DEP_1)
	v_cmp_eq_u32_e64 s9, 0, v5
	v_cndmask_b32_e64 v41, v7, v4, s9
; %bb.5601:                             ;   in Loop: Header=BB450_3110 Depth=1
	s_or_b32 exec_lo, exec_lo, s23
	v_lshlrev_b32_e32 v4, 16, v6
                                        ; implicit-def: $vgpr43
	s_delay_alu instid0(VALU_DEP_1) | instskip(NEXT) | instid1(VALU_DEP_1)
	v_mul_f32_e32 v4, v166, v4
	v_and_b32_e32 v5, 0x7f800000, v4
	s_delay_alu instid0(VALU_DEP_1) | instskip(NEXT) | instid1(VALU_DEP_1)
	v_cmp_ne_u32_e64 s9, 0x7f800000, v5
	s_and_saveexec_b32 s23, s9
	s_delay_alu instid0(SALU_CYCLE_1)
	s_xor_b32 s9, exec_lo, s23
; %bb.5602:                             ;   in Loop: Header=BB450_3110 Depth=1
	v_bfe_u32 v5, v4, 16, 1
	s_delay_alu instid0(VALU_DEP_1)
	v_add3_u32 v43, v4, v5, 0x7fff
                                        ; implicit-def: $vgpr4
; %bb.5603:                             ;   in Loop: Header=BB450_3110 Depth=1
	s_and_not1_saveexec_b32 s23, s9
; %bb.5604:                             ;   in Loop: Header=BB450_3110 Depth=1
	v_and_b32_e32 v5, 0xffff, v4
	v_or_b32_e32 v6, 0x10000, v4
	s_delay_alu instid0(VALU_DEP_2) | instskip(NEXT) | instid1(VALU_DEP_1)
	v_cmp_eq_u32_e64 s9, 0, v5
	v_cndmask_b32_e64 v43, v6, v4, s9
; %bb.5605:                             ;   in Loop: Header=BB450_3110 Depth=1
	s_or_b32 exec_lo, exec_lo, s23
	v_lshlrev_b32_e32 v3, 16, v3
                                        ; implicit-def: $vgpr42
	s_delay_alu instid0(VALU_DEP_1) | instskip(NEXT) | instid1(VALU_DEP_1)
	v_mul_f32_e32 v3, v167, v3
	v_and_b32_e32 v4, 0x7f800000, v3
	s_delay_alu instid0(VALU_DEP_1) | instskip(NEXT) | instid1(VALU_DEP_1)
	v_cmp_ne_u32_e64 s9, 0x7f800000, v4
	s_and_saveexec_b32 s23, s9
	s_delay_alu instid0(SALU_CYCLE_1)
	s_xor_b32 s9, exec_lo, s23
; %bb.5606:                             ;   in Loop: Header=BB450_3110 Depth=1
	v_bfe_u32 v4, v3, 16, 1
	s_delay_alu instid0(VALU_DEP_1)
	v_add3_u32 v42, v3, v4, 0x7fff
                                        ; implicit-def: $vgpr3
; %bb.5607:                             ;   in Loop: Header=BB450_3110 Depth=1
	s_and_not1_saveexec_b32 s23, s9
; %bb.5608:                             ;   in Loop: Header=BB450_3110 Depth=1
	v_and_b32_e32 v4, 0xffff, v3
	v_or_b32_e32 v5, 0x10000, v3
	s_delay_alu instid0(VALU_DEP_2) | instskip(NEXT) | instid1(VALU_DEP_1)
	v_cmp_eq_u32_e64 s9, 0, v4
	v_cndmask_b32_e64 v42, v5, v3, s9
; %bb.5609:                             ;   in Loop: Header=BB450_3110 Depth=1
	s_or_b32 exec_lo, exec_lo, s23
	v_lshlrev_b32_e32 v2, 16, v2
                                        ; implicit-def: $vgpr44
	s_delay_alu instid0(VALU_DEP_1) | instskip(NEXT) | instid1(VALU_DEP_1)
	v_mul_f32_e32 v2, v176, v2
	v_and_b32_e32 v3, 0x7f800000, v2
	s_delay_alu instid0(VALU_DEP_1) | instskip(NEXT) | instid1(VALU_DEP_1)
	v_cmp_ne_u32_e64 s9, 0x7f800000, v3
	s_and_saveexec_b32 s23, s9
	s_delay_alu instid0(SALU_CYCLE_1)
	s_xor_b32 s9, exec_lo, s23
; %bb.5610:                             ;   in Loop: Header=BB450_3110 Depth=1
	v_bfe_u32 v3, v2, 16, 1
	s_delay_alu instid0(VALU_DEP_1)
	v_add3_u32 v44, v2, v3, 0x7fff
                                        ; implicit-def: $vgpr2
; %bb.5611:                             ;   in Loop: Header=BB450_3110 Depth=1
	s_and_not1_saveexec_b32 s23, s9
; %bb.5612:                             ;   in Loop: Header=BB450_3110 Depth=1
	v_and_b32_e32 v3, 0xffff, v2
	v_or_b32_e32 v4, 0x10000, v2
	s_delay_alu instid0(VALU_DEP_2) | instskip(NEXT) | instid1(VALU_DEP_1)
	v_cmp_eq_u32_e64 s9, 0, v3
	v_cndmask_b32_e64 v44, v4, v2, s9
; %bb.5613:                             ;   in Loop: Header=BB450_3110 Depth=1
	s_or_b32 exec_lo, exec_lo, s23
	scratch_load_b32 v2, off, s32 offset:892 ; 4-byte Folded Reload
	s_mov_b32 s23, exec_lo
	v_mov_b32_e32 v4, 0
	s_waitcnt vmcnt(0)
	v_add_co_u32 v2, s9, v0, v2
	s_delay_alu instid0(VALU_DEP_1) | instskip(SKIP_3) | instid1(VALU_DEP_1)
	v_add_co_ci_u32_e64 v3, s9, 0, v1, s9
	flat_load_b64 v[2:3], v[2:3]
	s_waitcnt vmcnt(0) lgkmcnt(0)
	v_and_b32_e32 v5, 0xff, v2
	v_cmpx_ne_u16_e32 0, v5
	s_cbranch_execz .LBB450_5621
; %bb.5614:                             ;   in Loop: Header=BB450_3110 Depth=1
	v_bfrev_b32_e32 v4, 1
	s_mov_b32 s24, exec_lo
	v_cmpx_ne_u16_e32 0x80, v5
	s_cbranch_execz .LBB450_5620
; %bb.5615:                             ;   in Loop: Header=BB450_3110 Depth=1
	v_and_b32_e32 v5, 0x7f, v2
	v_mov_b32_e32 v4, 0x7f800001
	s_mov_b32 s25, exec_lo
	s_delay_alu instid0(VALU_DEP_2)
	v_cmpx_ne_u32_e32 0x7f, v5
	s_cbranch_execz .LBB450_5619
; %bb.5616:                             ;   in Loop: Header=BB450_3110 Depth=1
	v_lshrrev_b32_e32 v4, 3, v5
	v_dual_mov_b32 v7, v3 :: v_dual_mov_b32 v6, v2
	s_mov_b32 s26, exec_lo
	v_cmpx_gt_u32_e32 8, v5
; %bb.5617:                             ;   in Loop: Header=BB450_3110 Depth=1
	v_and_b32_e32 v4, 7, v2
	s_delay_alu instid0(VALU_DEP_1) | instskip(NEXT) | instid1(VALU_DEP_1)
	v_clz_i32_u32_e32 v4, v4
	v_min_u32_e32 v4, 32, v4
	s_delay_alu instid0(VALU_DEP_1) | instskip(SKIP_1) | instid1(VALU_DEP_2)
	v_subrev_nc_u32_e32 v5, 28, v4
	v_sub_nc_u32_e32 v4, 29, v4
	v_lshlrev_b64 v[6:7], v5, v[2:3]
; %bb.5618:                             ;   in Loop: Header=BB450_3110 Depth=1
	s_or_b32 exec_lo, exec_lo, s26
	s_delay_alu instid0(VALU_DEP_1) | instskip(SKIP_2) | instid1(VALU_DEP_3)
	v_lshlrev_b32_e32 v5, 20, v6
	v_lshlrev_b32_e32 v6, 24, v2
	v_lshl_add_u32 v4, v4, 23, 0x3c000000
	v_and_b32_e32 v5, 0x700000, v5
	s_delay_alu instid0(VALU_DEP_3) | instskip(NEXT) | instid1(VALU_DEP_1)
	v_and_b32_e32 v6, 0x80000000, v6
	v_or3_b32 v4, v5, v6, v4
.LBB450_5619:                           ;   in Loop: Header=BB450_3110 Depth=1
	s_or_b32 exec_lo, exec_lo, s25
.LBB450_5620:                           ;   in Loop: Header=BB450_3110 Depth=1
	s_delay_alu instid0(SALU_CYCLE_1)
	s_or_b32 exec_lo, exec_lo, s24
.LBB450_5621:                           ;   in Loop: Header=BB450_3110 Depth=1
	s_delay_alu instid0(SALU_CYCLE_1) | instskip(NEXT) | instid1(VALU_DEP_1)
	s_or_b32 exec_lo, exec_lo, s23
	v_mul_f32_e32 v5, v160, v4
	s_delay_alu instid0(VALU_DEP_1) | instskip(NEXT) | instid1(VALU_DEP_1)
	v_and_b32_e32 v4, 0x7f800000, v5
	v_cmp_ne_u32_e64 s9, 0x7f800000, v4
                                        ; implicit-def: $vgpr4
	s_delay_alu instid0(VALU_DEP_1) | instskip(NEXT) | instid1(SALU_CYCLE_1)
	s_and_saveexec_b32 s23, s9
	s_xor_b32 s9, exec_lo, s23
; %bb.5622:                             ;   in Loop: Header=BB450_3110 Depth=1
	v_bfe_u32 v4, v5, 16, 1
	s_delay_alu instid0(VALU_DEP_1)
	v_add3_u32 v4, v5, v4, 0x7fff
                                        ; implicit-def: $vgpr5
; %bb.5623:                             ;   in Loop: Header=BB450_3110 Depth=1
	s_and_not1_saveexec_b32 s23, s9
; %bb.5624:                             ;   in Loop: Header=BB450_3110 Depth=1
	v_and_b32_e32 v4, 0xffff, v5
	v_or_b32_e32 v6, 0x10000, v5
	s_delay_alu instid0(VALU_DEP_2) | instskip(NEXT) | instid1(VALU_DEP_1)
	v_cmp_eq_u32_e64 s9, 0, v4
	v_cndmask_b32_e64 v4, v6, v5, s9
; %bb.5625:                             ;   in Loop: Header=BB450_3110 Depth=1
	s_or_b32 exec_lo, exec_lo, s23
	v_lshrrev_b16 v6, 8, v2
	v_mov_b32_e32 v5, 0
	s_mov_b32 s23, exec_lo
	s_delay_alu instid0(VALU_DEP_2)
	v_cmpx_ne_u16_e32 0, v6
	s_cbranch_execz .LBB450_5633
; %bb.5626:                             ;   in Loop: Header=BB450_3110 Depth=1
	v_bfrev_b32_e32 v5, 1
	s_mov_b32 s24, exec_lo
	v_cmpx_ne_u16_e32 0x80, v6
	s_cbranch_execz .LBB450_5632
; %bb.5627:                             ;   in Loop: Header=BB450_3110 Depth=1
	v_and_b32_e32 v6, 0xffff, v6
	v_mov_b32_e32 v5, 0x7f800001
	s_mov_b32 s25, exec_lo
	s_delay_alu instid0(VALU_DEP_2) | instskip(NEXT) | instid1(VALU_DEP_1)
	v_and_b32_e32 v16, 0x7f, v6
	v_cmpx_ne_u32_e32 0x7f, v16
	s_cbranch_execz .LBB450_5631
; %bb.5628:                             ;   in Loop: Header=BB450_3110 Depth=1
	v_and_b32_e32 v12, 7, v6
	v_lshrrev_b32_e32 v5, 3, v16
	s_mov_b32 s26, exec_lo
	s_delay_alu instid0(VALU_DEP_2)
	v_dual_mov_b32 v6, v12 :: v_dual_mov_b32 v7, v13
	v_cmpx_gt_u32_e32 8, v16
; %bb.5629:                             ;   in Loop: Header=BB450_3110 Depth=1
	v_clz_i32_u32_e32 v5, v12
	s_delay_alu instid0(VALU_DEP_1) | instskip(NEXT) | instid1(VALU_DEP_1)
	v_min_u32_e32 v5, 32, v5
	v_subrev_nc_u32_e32 v6, 28, v5
	v_sub_nc_u32_e32 v5, 29, v5
	s_delay_alu instid0(VALU_DEP_2) | instskip(NEXT) | instid1(VALU_DEP_1)
	v_lshlrev_b64 v[6:7], v6, v[12:13]
	v_and_b32_e32 v6, 7, v6
; %bb.5630:                             ;   in Loop: Header=BB450_3110 Depth=1
	s_or_b32 exec_lo, exec_lo, s26
	v_lshlrev_b32_e32 v7, 16, v2
	s_delay_alu instid0(VALU_DEP_2) | instskip(SKIP_1) | instid1(VALU_DEP_3)
	v_lshlrev_b32_e32 v6, 20, v6
	v_lshl_add_u32 v5, v5, 23, 0x3c000000
	v_and_b32_e32 v7, 0x80000000, v7
	s_delay_alu instid0(VALU_DEP_1)
	v_or3_b32 v5, v6, v7, v5
.LBB450_5631:                           ;   in Loop: Header=BB450_3110 Depth=1
	s_or_b32 exec_lo, exec_lo, s25
.LBB450_5632:                           ;   in Loop: Header=BB450_3110 Depth=1
	s_delay_alu instid0(SALU_CYCLE_1)
	s_or_b32 exec_lo, exec_lo, s24
.LBB450_5633:                           ;   in Loop: Header=BB450_3110 Depth=1
	s_delay_alu instid0(SALU_CYCLE_1) | instskip(NEXT) | instid1(VALU_DEP_1)
	s_or_b32 exec_lo, exec_lo, s23
	v_mul_f32_e32 v6, v160, v5
	s_delay_alu instid0(VALU_DEP_1) | instskip(NEXT) | instid1(VALU_DEP_1)
	v_and_b32_e32 v5, 0x7f800000, v6
	v_cmp_ne_u32_e64 s9, 0x7f800000, v5
                                        ; implicit-def: $vgpr5
	s_delay_alu instid0(VALU_DEP_1) | instskip(NEXT) | instid1(SALU_CYCLE_1)
	s_and_saveexec_b32 s23, s9
	s_xor_b32 s9, exec_lo, s23
; %bb.5634:                             ;   in Loop: Header=BB450_3110 Depth=1
	v_bfe_u32 v5, v6, 16, 1
	s_delay_alu instid0(VALU_DEP_1)
	v_add3_u32 v5, v6, v5, 0x7fff
                                        ; implicit-def: $vgpr6
; %bb.5635:                             ;   in Loop: Header=BB450_3110 Depth=1
	s_and_not1_saveexec_b32 s23, s9
; %bb.5636:                             ;   in Loop: Header=BB450_3110 Depth=1
	v_and_b32_e32 v5, 0xffff, v6
	v_or_b32_e32 v7, 0x10000, v6
	s_delay_alu instid0(VALU_DEP_2) | instskip(NEXT) | instid1(VALU_DEP_1)
	v_cmp_eq_u32_e64 s9, 0, v5
	v_cndmask_b32_e64 v5, v7, v6, s9
; %bb.5637:                             ;   in Loop: Header=BB450_3110 Depth=1
	s_or_b32 exec_lo, exec_lo, s23
	v_lshrrev_b32_e32 v16, 16, v2
	s_mov_b32 s23, exec_lo
	s_delay_alu instid0(VALU_DEP_1) | instskip(NEXT) | instid1(VALU_DEP_1)
	v_dual_mov_b32 v6, 0 :: v_dual_and_b32 v7, 0xff, v16
	v_cmpx_ne_u16_e32 0, v7
	s_cbranch_execz .LBB450_5645
; %bb.5638:                             ;   in Loop: Header=BB450_3110 Depth=1
	v_bfrev_b32_e32 v6, 1
	s_mov_b32 s24, exec_lo
	v_cmpx_ne_u16_e32 0x80, v7
	s_cbranch_execz .LBB450_5644
; %bb.5639:                             ;   in Loop: Header=BB450_3110 Depth=1
	v_bfe_u32 v20, v2, 16, 7
	v_mov_b32_e32 v6, 0x7f800001
	s_mov_b32 s25, exec_lo
	s_delay_alu instid0(VALU_DEP_2)
	v_cmpx_ne_u32_e32 0x7f, v20
	s_cbranch_execz .LBB450_5643
; %bb.5640:                             ;   in Loop: Header=BB450_3110 Depth=1
	v_and_b32_e32 v12, 7, v16
	s_mov_b32 s26, exec_lo
	s_delay_alu instid0(VALU_DEP_1)
	v_dual_mov_b32 v6, v12 :: v_dual_mov_b32 v7, v13
	v_lshrrev_b32_e32 v7, 3, v20
	v_cmpx_gt_u32_e32 8, v20
; %bb.5641:                             ;   in Loop: Header=BB450_3110 Depth=1
	v_clz_i32_u32_e32 v6, v12
	s_delay_alu instid0(VALU_DEP_1) | instskip(NEXT) | instid1(VALU_DEP_1)
	v_min_u32_e32 v20, 32, v6
	v_subrev_nc_u32_e32 v6, 28, v20
	s_delay_alu instid0(VALU_DEP_1) | instskip(SKIP_1) | instid1(VALU_DEP_2)
	v_lshlrev_b64 v[6:7], v6, v[12:13]
	v_sub_nc_u32_e32 v7, 29, v20
	v_and_b32_e32 v6, 7, v6
; %bb.5642:                             ;   in Loop: Header=BB450_3110 Depth=1
	s_or_b32 exec_lo, exec_lo, s26
	v_lshlrev_b32_e32 v12, 24, v16
	s_delay_alu instid0(VALU_DEP_2) | instskip(SKIP_1) | instid1(VALU_DEP_3)
	v_lshlrev_b32_e32 v6, 20, v6
	v_lshl_add_u32 v7, v7, 23, 0x3c000000
	v_and_b32_e32 v12, 0x80000000, v12
	s_delay_alu instid0(VALU_DEP_1)
	v_or3_b32 v6, v6, v12, v7
.LBB450_5643:                           ;   in Loop: Header=BB450_3110 Depth=1
	s_or_b32 exec_lo, exec_lo, s25
.LBB450_5644:                           ;   in Loop: Header=BB450_3110 Depth=1
	s_delay_alu instid0(SALU_CYCLE_1)
	s_or_b32 exec_lo, exec_lo, s24
.LBB450_5645:                           ;   in Loop: Header=BB450_3110 Depth=1
	s_delay_alu instid0(SALU_CYCLE_1) | instskip(NEXT) | instid1(VALU_DEP_1)
	s_or_b32 exec_lo, exec_lo, s23
	v_mul_f32_e32 v6, v160, v6
                                        ; implicit-def: $vgpr16
	s_delay_alu instid0(VALU_DEP_1) | instskip(NEXT) | instid1(VALU_DEP_1)
	v_and_b32_e32 v7, 0x7f800000, v6
	v_cmp_ne_u32_e64 s9, 0x7f800000, v7
	s_delay_alu instid0(VALU_DEP_1) | instskip(NEXT) | instid1(SALU_CYCLE_1)
	s_and_saveexec_b32 s23, s9
	s_xor_b32 s9, exec_lo, s23
; %bb.5646:                             ;   in Loop: Header=BB450_3110 Depth=1
	v_bfe_u32 v7, v6, 16, 1
	s_delay_alu instid0(VALU_DEP_1)
	v_add3_u32 v16, v6, v7, 0x7fff
                                        ; implicit-def: $vgpr6
; %bb.5647:                             ;   in Loop: Header=BB450_3110 Depth=1
	s_and_not1_saveexec_b32 s23, s9
; %bb.5648:                             ;   in Loop: Header=BB450_3110 Depth=1
	v_and_b32_e32 v7, 0xffff, v6
	v_or_b32_e32 v12, 0x10000, v6
	s_delay_alu instid0(VALU_DEP_2) | instskip(NEXT) | instid1(VALU_DEP_1)
	v_cmp_eq_u32_e64 s9, 0, v7
	v_cndmask_b32_e64 v16, v12, v6, s9
; %bb.5649:                             ;   in Loop: Header=BB450_3110 Depth=1
	s_or_b32 exec_lo, exec_lo, s23
	v_mov_b32_e32 v6, 0
	s_mov_b32 s23, exec_lo
	v_cmpx_lt_u32_e32 0xffffff, v2
	s_cbranch_execz .LBB450_5657
; %bb.5650:                             ;   in Loop: Header=BB450_3110 Depth=1
	v_lshrrev_b32_e32 v20, 24, v2
	v_bfrev_b32_e32 v6, 1
	s_mov_b32 s24, exec_lo
	s_delay_alu instid0(VALU_DEP_2)
	v_cmpx_ne_u32_e32 0x80, v20
	s_cbranch_execz .LBB450_5656
; %bb.5651:                             ;   in Loop: Header=BB450_3110 Depth=1
	v_bfe_u32 v21, v2, 24, 7
	v_mov_b32_e32 v6, 0x7f800001
	s_mov_b32 s25, exec_lo
	s_delay_alu instid0(VALU_DEP_2)
	v_cmpx_ne_u32_e32 0x7f, v21
	s_cbranch_execz .LBB450_5655
; %bb.5652:                             ;   in Loop: Header=BB450_3110 Depth=1
	v_and_b32_e32 v12, 7, v20
	s_mov_b32 s26, exec_lo
	s_delay_alu instid0(VALU_DEP_1)
	v_dual_mov_b32 v6, v12 :: v_dual_mov_b32 v7, v13
	v_lshrrev_b32_e32 v7, 3, v21
	v_cmpx_gt_u32_e32 8, v21
; %bb.5653:                             ;   in Loop: Header=BB450_3110 Depth=1
	v_clz_i32_u32_e32 v6, v12
	s_delay_alu instid0(VALU_DEP_1) | instskip(NEXT) | instid1(VALU_DEP_1)
	v_min_u32_e32 v21, 32, v6
	v_subrev_nc_u32_e32 v6, 28, v21
	s_delay_alu instid0(VALU_DEP_1) | instskip(SKIP_1) | instid1(VALU_DEP_2)
	v_lshlrev_b64 v[6:7], v6, v[12:13]
	v_sub_nc_u32_e32 v7, 29, v21
	v_and_b32_e32 v6, 7, v6
; %bb.5654:                             ;   in Loop: Header=BB450_3110 Depth=1
	s_or_b32 exec_lo, exec_lo, s26
	v_lshlrev_b32_e32 v12, 24, v20
	s_delay_alu instid0(VALU_DEP_2) | instskip(SKIP_1) | instid1(VALU_DEP_3)
	v_lshlrev_b32_e32 v6, 20, v6
	v_lshl_add_u32 v7, v7, 23, 0x3c000000
	v_and_b32_e32 v12, 0x80000000, v12
	s_delay_alu instid0(VALU_DEP_1)
	v_or3_b32 v6, v6, v12, v7
.LBB450_5655:                           ;   in Loop: Header=BB450_3110 Depth=1
	s_or_b32 exec_lo, exec_lo, s25
.LBB450_5656:                           ;   in Loop: Header=BB450_3110 Depth=1
	s_delay_alu instid0(SALU_CYCLE_1)
	s_or_b32 exec_lo, exec_lo, s24
.LBB450_5657:                           ;   in Loop: Header=BB450_3110 Depth=1
	s_delay_alu instid0(SALU_CYCLE_1) | instskip(NEXT) | instid1(VALU_DEP_1)
	s_or_b32 exec_lo, exec_lo, s23
	v_mul_f32_e32 v6, v160, v6
                                        ; implicit-def: $vgpr20
	s_delay_alu instid0(VALU_DEP_1) | instskip(NEXT) | instid1(VALU_DEP_1)
	v_and_b32_e32 v7, 0x7f800000, v6
	v_cmp_ne_u32_e64 s9, 0x7f800000, v7
	s_delay_alu instid0(VALU_DEP_1) | instskip(NEXT) | instid1(SALU_CYCLE_1)
	s_and_saveexec_b32 s23, s9
	s_xor_b32 s9, exec_lo, s23
; %bb.5658:                             ;   in Loop: Header=BB450_3110 Depth=1
	v_bfe_u32 v7, v6, 16, 1
	s_delay_alu instid0(VALU_DEP_1)
	v_add3_u32 v20, v6, v7, 0x7fff
                                        ; implicit-def: $vgpr6
; %bb.5659:                             ;   in Loop: Header=BB450_3110 Depth=1
	s_and_not1_saveexec_b32 s23, s9
; %bb.5660:                             ;   in Loop: Header=BB450_3110 Depth=1
	v_and_b32_e32 v7, 0xffff, v6
	v_or_b32_e32 v12, 0x10000, v6
	s_delay_alu instid0(VALU_DEP_2) | instskip(NEXT) | instid1(VALU_DEP_1)
	v_cmp_eq_u32_e64 s9, 0, v7
	v_cndmask_b32_e64 v20, v12, v6, s9
; %bb.5661:                             ;   in Loop: Header=BB450_3110 Depth=1
	s_or_b32 exec_lo, exec_lo, s23
	v_dual_mov_b32 v12, v3 :: v_dual_and_b32 v7, 0xff, v3
	v_mov_b32_e32 v6, 0
	s_mov_b32 s23, exec_lo
	s_delay_alu instid0(VALU_DEP_2)
	v_cmpx_ne_u16_e32 0, v7
	s_cbranch_execz .LBB450_5669
; %bb.5662:                             ;   in Loop: Header=BB450_3110 Depth=1
	v_bfrev_b32_e32 v6, 1
	s_mov_b32 s24, exec_lo
	v_cmpx_ne_u16_e32 0x80, v7
	s_cbranch_execz .LBB450_5668
; %bb.5663:                             ;   in Loop: Header=BB450_3110 Depth=1
	v_and_b32_e32 v21, 0x7f, v3
	v_mov_b32_e32 v6, 0x7f800001
	s_mov_b32 s25, exec_lo
	s_delay_alu instid0(VALU_DEP_2)
	v_cmpx_ne_u32_e32 0x7f, v21
	s_cbranch_execz .LBB450_5667
; %bb.5664:                             ;   in Loop: Header=BB450_3110 Depth=1
	v_dual_mov_b32 v6, v12 :: v_dual_mov_b32 v7, v13
	v_lshrrev_b32_e32 v7, 3, v21
	s_mov_b32 s26, exec_lo
	v_cmpx_gt_u32_e32 8, v21
; %bb.5665:                             ;   in Loop: Header=BB450_3110 Depth=1
	v_and_b32_e32 v6, 7, v3
	s_delay_alu instid0(VALU_DEP_1) | instskip(NEXT) | instid1(VALU_DEP_1)
	v_clz_i32_u32_e32 v6, v6
	v_min_u32_e32 v21, 32, v6
	s_delay_alu instid0(VALU_DEP_1) | instskip(NEXT) | instid1(VALU_DEP_1)
	v_subrev_nc_u32_e32 v6, 28, v21
	v_lshlrev_b64 v[6:7], v6, v[12:13]
	v_sub_nc_u32_e32 v7, 29, v21
; %bb.5666:                             ;   in Loop: Header=BB450_3110 Depth=1
	s_or_b32 exec_lo, exec_lo, s26
	s_delay_alu instid0(VALU_DEP_2) | instskip(SKIP_1) | instid1(VALU_DEP_3)
	v_lshlrev_b32_e32 v6, 20, v6
	v_lshlrev_b32_e32 v21, 24, v12
	v_lshl_add_u32 v7, v7, 23, 0x3c000000
	s_delay_alu instid0(VALU_DEP_3) | instskip(NEXT) | instid1(VALU_DEP_3)
	v_and_b32_e32 v6, 0x700000, v6
	v_and_b32_e32 v21, 0x80000000, v21
	s_delay_alu instid0(VALU_DEP_1)
	v_or3_b32 v6, v6, v21, v7
.LBB450_5667:                           ;   in Loop: Header=BB450_3110 Depth=1
	s_or_b32 exec_lo, exec_lo, s25
.LBB450_5668:                           ;   in Loop: Header=BB450_3110 Depth=1
	s_delay_alu instid0(SALU_CYCLE_1)
	s_or_b32 exec_lo, exec_lo, s24
.LBB450_5669:                           ;   in Loop: Header=BB450_3110 Depth=1
	s_delay_alu instid0(SALU_CYCLE_1) | instskip(NEXT) | instid1(VALU_DEP_1)
	s_or_b32 exec_lo, exec_lo, s23
	v_mul_f32_e32 v6, v160, v6
                                        ; implicit-def: $vgpr21
	s_delay_alu instid0(VALU_DEP_1) | instskip(NEXT) | instid1(VALU_DEP_1)
	v_and_b32_e32 v7, 0x7f800000, v6
	v_cmp_ne_u32_e64 s9, 0x7f800000, v7
	s_delay_alu instid0(VALU_DEP_1) | instskip(NEXT) | instid1(SALU_CYCLE_1)
	s_and_saveexec_b32 s23, s9
	s_xor_b32 s9, exec_lo, s23
; %bb.5670:                             ;   in Loop: Header=BB450_3110 Depth=1
	v_bfe_u32 v7, v6, 16, 1
	s_delay_alu instid0(VALU_DEP_1)
	v_add3_u32 v21, v6, v7, 0x7fff
                                        ; implicit-def: $vgpr6
; %bb.5671:                             ;   in Loop: Header=BB450_3110 Depth=1
	s_and_not1_saveexec_b32 s23, s9
; %bb.5672:                             ;   in Loop: Header=BB450_3110 Depth=1
	v_and_b32_e32 v7, 0xffff, v6
	v_or_b32_e32 v21, 0x10000, v6
	s_delay_alu instid0(VALU_DEP_2) | instskip(NEXT) | instid1(VALU_DEP_1)
	v_cmp_eq_u32_e64 s9, 0, v7
	v_cndmask_b32_e64 v21, v21, v6, s9
; %bb.5673:                             ;   in Loop: Header=BB450_3110 Depth=1
	s_or_b32 exec_lo, exec_lo, s23
	v_lshrrev_b16 v7, 8, v12
	v_mov_b32_e32 v6, 0
	s_mov_b32 s23, exec_lo
	s_delay_alu instid0(VALU_DEP_2)
	v_cmpx_ne_u16_e32 0, v7
	s_cbranch_execz .LBB450_5681
; %bb.5674:                             ;   in Loop: Header=BB450_3110 Depth=1
	v_bfrev_b32_e32 v6, 1
	s_mov_b32 s24, exec_lo
	v_cmpx_ne_u16_e32 0x80, v7
	s_cbranch_execz .LBB450_5680
; %bb.5675:                             ;   in Loop: Header=BB450_3110 Depth=1
	v_and_b32_e32 v7, 0xffff, v7
	v_mov_b32_e32 v6, 0x7f800001
	s_mov_b32 s25, exec_lo
	s_delay_alu instid0(VALU_DEP_2) | instskip(NEXT) | instid1(VALU_DEP_1)
	v_and_b32_e32 v25, 0x7f, v7
	v_cmpx_ne_u32_e32 0x7f, v25
	s_cbranch_execz .LBB450_5679
; %bb.5676:                             ;   in Loop: Header=BB450_3110 Depth=1
	v_dual_mov_b32 v7, v13 :: v_dual_and_b32 v6, 7, v7
	v_lshrrev_b32_e32 v24, 3, v25
	s_mov_b32 s26, exec_lo
	v_cmpx_gt_u32_e32 8, v25
; %bb.5677:                             ;   in Loop: Header=BB450_3110 Depth=1
	s_delay_alu instid0(VALU_DEP_3) | instskip(NEXT) | instid1(VALU_DEP_1)
	v_clz_i32_u32_e32 v24, v6
	v_min_u32_e32 v24, 32, v24
	s_delay_alu instid0(VALU_DEP_1) | instskip(SKIP_1) | instid1(VALU_DEP_2)
	v_subrev_nc_u32_e32 v25, 28, v24
	v_sub_nc_u32_e32 v24, 29, v24
	v_lshlrev_b64 v[6:7], v25, v[6:7]
	s_delay_alu instid0(VALU_DEP_1)
	v_and_b32_e32 v6, 7, v6
; %bb.5678:                             ;   in Loop: Header=BB450_3110 Depth=1
	s_or_b32 exec_lo, exec_lo, s26
	v_lshlrev_b32_e32 v7, 16, v12
	s_delay_alu instid0(VALU_DEP_2) | instskip(SKIP_1) | instid1(VALU_DEP_3)
	v_lshlrev_b32_e32 v6, 20, v6
	v_lshl_add_u32 v12, v24, 23, 0x3c000000
	v_and_b32_e32 v7, 0x80000000, v7
	s_delay_alu instid0(VALU_DEP_1)
	v_or3_b32 v6, v6, v7, v12
.LBB450_5679:                           ;   in Loop: Header=BB450_3110 Depth=1
	s_or_b32 exec_lo, exec_lo, s25
.LBB450_5680:                           ;   in Loop: Header=BB450_3110 Depth=1
	s_delay_alu instid0(SALU_CYCLE_1)
	s_or_b32 exec_lo, exec_lo, s24
.LBB450_5681:                           ;   in Loop: Header=BB450_3110 Depth=1
	s_delay_alu instid0(SALU_CYCLE_1) | instskip(NEXT) | instid1(VALU_DEP_1)
	s_or_b32 exec_lo, exec_lo, s23
	v_mul_f32_e32 v6, v160, v6
                                        ; implicit-def: $vgpr24
	s_delay_alu instid0(VALU_DEP_1) | instskip(NEXT) | instid1(VALU_DEP_1)
	v_and_b32_e32 v7, 0x7f800000, v6
	v_cmp_ne_u32_e64 s9, 0x7f800000, v7
	s_delay_alu instid0(VALU_DEP_1) | instskip(NEXT) | instid1(SALU_CYCLE_1)
	s_and_saveexec_b32 s23, s9
	s_xor_b32 s9, exec_lo, s23
; %bb.5682:                             ;   in Loop: Header=BB450_3110 Depth=1
	v_bfe_u32 v7, v6, 16, 1
	s_delay_alu instid0(VALU_DEP_1)
	v_add3_u32 v24, v6, v7, 0x7fff
                                        ; implicit-def: $vgpr6
; %bb.5683:                             ;   in Loop: Header=BB450_3110 Depth=1
	s_and_not1_saveexec_b32 s23, s9
; %bb.5684:                             ;   in Loop: Header=BB450_3110 Depth=1
	v_and_b32_e32 v7, 0xffff, v6
	v_or_b32_e32 v12, 0x10000, v6
	s_delay_alu instid0(VALU_DEP_2) | instskip(NEXT) | instid1(VALU_DEP_1)
	v_cmp_eq_u32_e64 s9, 0, v7
	v_cndmask_b32_e64 v24, v12, v6, s9
; %bb.5685:                             ;   in Loop: Header=BB450_3110 Depth=1
	s_or_b32 exec_lo, exec_lo, s23
	v_lshrrev_b32_e32 v25, 16, v3
	s_mov_b32 s23, exec_lo
	s_delay_alu instid0(VALU_DEP_1) | instskip(NEXT) | instid1(VALU_DEP_1)
	v_dual_mov_b32 v6, 0 :: v_dual_and_b32 v7, 0xff, v25
	v_cmpx_ne_u16_e32 0, v7
	s_cbranch_execz .LBB450_5693
; %bb.5686:                             ;   in Loop: Header=BB450_3110 Depth=1
	v_bfrev_b32_e32 v6, 1
	s_mov_b32 s24, exec_lo
	v_cmpx_ne_u16_e32 0x80, v7
	s_cbranch_execz .LBB450_5692
; %bb.5687:                             ;   in Loop: Header=BB450_3110 Depth=1
	v_bfe_u32 v28, v3, 16, 7
	v_mov_b32_e32 v6, 0x7f800001
	s_mov_b32 s25, exec_lo
	s_delay_alu instid0(VALU_DEP_2)
	v_cmpx_ne_u32_e32 0x7f, v28
	s_cbranch_execz .LBB450_5691
; %bb.5688:                             ;   in Loop: Header=BB450_3110 Depth=1
	v_and_b32_e32 v12, 7, v25
	s_mov_b32 s26, exec_lo
	s_delay_alu instid0(VALU_DEP_1)
	v_dual_mov_b32 v6, v12 :: v_dual_mov_b32 v7, v13
	v_lshrrev_b32_e32 v7, 3, v28
	v_cmpx_gt_u32_e32 8, v28
; %bb.5689:                             ;   in Loop: Header=BB450_3110 Depth=1
	v_clz_i32_u32_e32 v6, v12
	s_delay_alu instid0(VALU_DEP_1) | instskip(NEXT) | instid1(VALU_DEP_1)
	v_min_u32_e32 v28, 32, v6
	v_subrev_nc_u32_e32 v6, 28, v28
	s_delay_alu instid0(VALU_DEP_1) | instskip(SKIP_1) | instid1(VALU_DEP_2)
	v_lshlrev_b64 v[6:7], v6, v[12:13]
	v_sub_nc_u32_e32 v7, 29, v28
	v_and_b32_e32 v6, 7, v6
; %bb.5690:                             ;   in Loop: Header=BB450_3110 Depth=1
	s_or_b32 exec_lo, exec_lo, s26
	v_lshlrev_b32_e32 v12, 24, v25
	s_delay_alu instid0(VALU_DEP_2) | instskip(SKIP_1) | instid1(VALU_DEP_3)
	v_lshlrev_b32_e32 v6, 20, v6
	v_lshl_add_u32 v7, v7, 23, 0x3c000000
	v_and_b32_e32 v12, 0x80000000, v12
	s_delay_alu instid0(VALU_DEP_1)
	v_or3_b32 v6, v6, v12, v7
.LBB450_5691:                           ;   in Loop: Header=BB450_3110 Depth=1
	s_or_b32 exec_lo, exec_lo, s25
.LBB450_5692:                           ;   in Loop: Header=BB450_3110 Depth=1
	s_delay_alu instid0(SALU_CYCLE_1)
	s_or_b32 exec_lo, exec_lo, s24
.LBB450_5693:                           ;   in Loop: Header=BB450_3110 Depth=1
	s_delay_alu instid0(SALU_CYCLE_1) | instskip(NEXT) | instid1(VALU_DEP_1)
	s_or_b32 exec_lo, exec_lo, s23
	v_mul_f32_e32 v6, v160, v6
                                        ; implicit-def: $vgpr25
	s_delay_alu instid0(VALU_DEP_1) | instskip(NEXT) | instid1(VALU_DEP_1)
	v_and_b32_e32 v7, 0x7f800000, v6
	v_cmp_ne_u32_e64 s9, 0x7f800000, v7
	s_delay_alu instid0(VALU_DEP_1) | instskip(NEXT) | instid1(SALU_CYCLE_1)
	s_and_saveexec_b32 s23, s9
	s_xor_b32 s9, exec_lo, s23
; %bb.5694:                             ;   in Loop: Header=BB450_3110 Depth=1
	v_bfe_u32 v7, v6, 16, 1
	s_delay_alu instid0(VALU_DEP_1)
	v_add3_u32 v25, v6, v7, 0x7fff
                                        ; implicit-def: $vgpr6
; %bb.5695:                             ;   in Loop: Header=BB450_3110 Depth=1
	s_and_not1_saveexec_b32 s23, s9
; %bb.5696:                             ;   in Loop: Header=BB450_3110 Depth=1
	v_and_b32_e32 v7, 0xffff, v6
	v_or_b32_e32 v12, 0x10000, v6
	s_delay_alu instid0(VALU_DEP_2) | instskip(NEXT) | instid1(VALU_DEP_1)
	v_cmp_eq_u32_e64 s9, 0, v7
	v_cndmask_b32_e64 v25, v12, v6, s9
; %bb.5697:                             ;   in Loop: Header=BB450_3110 Depth=1
	s_or_b32 exec_lo, exec_lo, s23
	v_cmp_lt_u64_e64 s9, s[18:19], v[2:3]
	v_mov_b32_e32 v2, 0
	s_delay_alu instid0(VALU_DEP_2)
	s_and_saveexec_b32 s23, s9
	s_cbranch_execz .LBB450_5705
; %bb.5698:                             ;   in Loop: Header=BB450_3110 Depth=1
	v_lshrrev_b32_e32 v6, 24, v3
	v_bfrev_b32_e32 v2, 1
	s_mov_b32 s24, exec_lo
	s_delay_alu instid0(VALU_DEP_2)
	v_cmpx_ne_u32_e32 0x80, v6
	s_cbranch_execz .LBB450_5704
; %bb.5699:                             ;   in Loop: Header=BB450_3110 Depth=1
	v_bfe_u32 v7, v3, 24, 7
	v_mov_b32_e32 v2, 0x7f800001
	s_mov_b32 s25, exec_lo
	s_delay_alu instid0(VALU_DEP_2)
	v_cmpx_ne_u32_e32 0x7f, v7
	s_cbranch_execz .LBB450_5703
; %bb.5700:                             ;   in Loop: Header=BB450_3110 Depth=1
	v_and_b32_e32 v12, 7, v6
	s_mov_b32 s26, exec_lo
	s_delay_alu instid0(VALU_DEP_1)
	v_dual_mov_b32 v2, v12 :: v_dual_mov_b32 v3, v13
	v_lshrrev_b32_e32 v3, 3, v7
	v_cmpx_gt_u32_e32 8, v7
; %bb.5701:                             ;   in Loop: Header=BB450_3110 Depth=1
	v_clz_i32_u32_e32 v2, v12
	s_delay_alu instid0(VALU_DEP_1) | instskip(NEXT) | instid1(VALU_DEP_1)
	v_min_u32_e32 v7, 32, v2
	v_subrev_nc_u32_e32 v2, 28, v7
	s_delay_alu instid0(VALU_DEP_1) | instskip(SKIP_1) | instid1(VALU_DEP_2)
	v_lshlrev_b64 v[2:3], v2, v[12:13]
	v_sub_nc_u32_e32 v3, 29, v7
	v_and_b32_e32 v2, 7, v2
; %bb.5702:                             ;   in Loop: Header=BB450_3110 Depth=1
	s_or_b32 exec_lo, exec_lo, s26
	v_lshlrev_b32_e32 v6, 24, v6
	s_delay_alu instid0(VALU_DEP_2) | instskip(SKIP_1) | instid1(VALU_DEP_3)
	v_lshlrev_b32_e32 v2, 20, v2
	v_lshl_add_u32 v3, v3, 23, 0x3c000000
	v_and_b32_e32 v6, 0x80000000, v6
	s_delay_alu instid0(VALU_DEP_1)
	v_or3_b32 v2, v2, v6, v3
.LBB450_5703:                           ;   in Loop: Header=BB450_3110 Depth=1
	s_or_b32 exec_lo, exec_lo, s25
.LBB450_5704:                           ;   in Loop: Header=BB450_3110 Depth=1
	s_delay_alu instid0(SALU_CYCLE_1)
	s_or_b32 exec_lo, exec_lo, s24
.LBB450_5705:                           ;   in Loop: Header=BB450_3110 Depth=1
	s_delay_alu instid0(SALU_CYCLE_1) | instskip(NEXT) | instid1(VALU_DEP_1)
	s_or_b32 exec_lo, exec_lo, s23
	v_mul_f32_e32 v3, v160, v2
	s_delay_alu instid0(VALU_DEP_1) | instskip(NEXT) | instid1(VALU_DEP_1)
	v_and_b32_e32 v2, 0x7f800000, v3
	v_cmp_ne_u32_e64 s9, 0x7f800000, v2
                                        ; implicit-def: $vgpr2
	s_delay_alu instid0(VALU_DEP_1) | instskip(NEXT) | instid1(SALU_CYCLE_1)
	s_and_saveexec_b32 s23, s9
	s_xor_b32 s9, exec_lo, s23
; %bb.5706:                             ;   in Loop: Header=BB450_3110 Depth=1
	v_bfe_u32 v2, v3, 16, 1
	s_delay_alu instid0(VALU_DEP_1)
	v_add3_u32 v2, v3, v2, 0x7fff
                                        ; implicit-def: $vgpr3
; %bb.5707:                             ;   in Loop: Header=BB450_3110 Depth=1
	s_and_not1_saveexec_b32 s23, s9
; %bb.5708:                             ;   in Loop: Header=BB450_3110 Depth=1
	v_and_b32_e32 v2, 0xffff, v3
	v_or_b32_e32 v6, 0x10000, v3
	s_delay_alu instid0(VALU_DEP_2) | instskip(NEXT) | instid1(VALU_DEP_1)
	v_cmp_eq_u32_e64 s9, 0, v2
	v_cndmask_b32_e64 v2, v6, v3, s9
; %bb.5709:                             ;   in Loop: Header=BB450_3110 Depth=1
	s_or_b32 exec_lo, exec_lo, s23
	v_lshrrev_b32_e32 v6, 16, v24
	v_lshrrev_b32_e32 v7, 16, v21
	v_lshrrev_b32_e32 v12, 16, v20
	v_lshrrev_b32_e32 v16, 16, v16
	v_lshrrev_b32_e32 v5, 16, v5
	v_lshrrev_b32_e32 v4, 16, v4
	v_lshrrev_b32_e32 v3, 16, v25
	v_lshrrev_b32_e32 v2, 16, v2
	s_and_saveexec_b32 s9, s1
; %bb.5710:                             ;   in Loop: Header=BB450_3110 Depth=1
	s_delay_alu instid0(VALU_DEP_3)
	v_cndmask_b32_e32 v4, 0, v4, vcc_lo
	v_cndmask_b32_e64 v5, 0, v5, s2
	v_cndmask_b32_e64 v16, 0, v16, s3
	;; [unrolled: 1-line block ×7, first 2 shown]
; %bb.5711:                             ;   in Loop: Header=BB450_3110 Depth=1
	s_or_b32 exec_lo, exec_lo, s9
	v_lshlrev_b32_e32 v4, 16, v4
                                        ; implicit-def: $vgpr45
	s_delay_alu instid0(VALU_DEP_1) | instskip(NEXT) | instid1(VALU_DEP_1)
	v_mul_f32_e32 v4, v161, v4
	v_and_b32_e32 v20, 0x7f800000, v4
	s_delay_alu instid0(VALU_DEP_1) | instskip(NEXT) | instid1(VALU_DEP_1)
	v_cmp_ne_u32_e64 s9, 0x7f800000, v20
	s_and_saveexec_b32 s23, s9
	s_delay_alu instid0(SALU_CYCLE_1)
	s_xor_b32 s9, exec_lo, s23
; %bb.5712:                             ;   in Loop: Header=BB450_3110 Depth=1
	v_bfe_u32 v20, v4, 16, 1
	s_delay_alu instid0(VALU_DEP_1)
	v_add3_u32 v45, v4, v20, 0x7fff
                                        ; implicit-def: $vgpr4
; %bb.5713:                             ;   in Loop: Header=BB450_3110 Depth=1
	s_and_not1_saveexec_b32 s23, s9
; %bb.5714:                             ;   in Loop: Header=BB450_3110 Depth=1
	v_and_b32_e32 v20, 0xffff, v4
	v_or_b32_e32 v21, 0x10000, v4
	s_delay_alu instid0(VALU_DEP_2) | instskip(NEXT) | instid1(VALU_DEP_1)
	v_cmp_eq_u32_e64 s9, 0, v20
	v_cndmask_b32_e64 v45, v21, v4, s9
; %bb.5715:                             ;   in Loop: Header=BB450_3110 Depth=1
	s_or_b32 exec_lo, exec_lo, s23
	v_lshlrev_b32_e32 v4, 16, v5
                                        ; implicit-def: $vgpr46
	s_delay_alu instid0(VALU_DEP_1) | instskip(NEXT) | instid1(VALU_DEP_1)
	v_mul_f32_e32 v4, v162, v4
	v_and_b32_e32 v5, 0x7f800000, v4
	s_delay_alu instid0(VALU_DEP_1) | instskip(NEXT) | instid1(VALU_DEP_1)
	v_cmp_ne_u32_e64 s9, 0x7f800000, v5
	s_and_saveexec_b32 s23, s9
	s_delay_alu instid0(SALU_CYCLE_1)
	s_xor_b32 s9, exec_lo, s23
; %bb.5716:                             ;   in Loop: Header=BB450_3110 Depth=1
	v_bfe_u32 v5, v4, 16, 1
	s_delay_alu instid0(VALU_DEP_1)
	v_add3_u32 v46, v4, v5, 0x7fff
                                        ; implicit-def: $vgpr4
; %bb.5717:                             ;   in Loop: Header=BB450_3110 Depth=1
	s_and_not1_saveexec_b32 s23, s9
; %bb.5718:                             ;   in Loop: Header=BB450_3110 Depth=1
	v_and_b32_e32 v5, 0xffff, v4
	v_or_b32_e32 v20, 0x10000, v4
	s_delay_alu instid0(VALU_DEP_2) | instskip(NEXT) | instid1(VALU_DEP_1)
	v_cmp_eq_u32_e64 s9, 0, v5
	v_cndmask_b32_e64 v46, v20, v4, s9
; %bb.5719:                             ;   in Loop: Header=BB450_3110 Depth=1
	s_or_b32 exec_lo, exec_lo, s23
	v_lshlrev_b32_e32 v4, 16, v16
                                        ; implicit-def: $vgpr47
	s_delay_alu instid0(VALU_DEP_1) | instskip(NEXT) | instid1(VALU_DEP_1)
	v_mul_f32_e32 v4, v163, v4
	v_and_b32_e32 v5, 0x7f800000, v4
	s_delay_alu instid0(VALU_DEP_1) | instskip(NEXT) | instid1(VALU_DEP_1)
	v_cmp_ne_u32_e64 s9, 0x7f800000, v5
	s_and_saveexec_b32 s23, s9
	s_delay_alu instid0(SALU_CYCLE_1)
	s_xor_b32 s9, exec_lo, s23
; %bb.5720:                             ;   in Loop: Header=BB450_3110 Depth=1
	v_bfe_u32 v5, v4, 16, 1
	s_delay_alu instid0(VALU_DEP_1)
	v_add3_u32 v47, v4, v5, 0x7fff
                                        ; implicit-def: $vgpr4
; %bb.5721:                             ;   in Loop: Header=BB450_3110 Depth=1
	s_and_not1_saveexec_b32 s23, s9
; %bb.5722:                             ;   in Loop: Header=BB450_3110 Depth=1
	v_and_b32_e32 v5, 0xffff, v4
	v_or_b32_e32 v16, 0x10000, v4
	s_delay_alu instid0(VALU_DEP_2) | instskip(NEXT) | instid1(VALU_DEP_1)
	v_cmp_eq_u32_e64 s9, 0, v5
	v_cndmask_b32_e64 v47, v16, v4, s9
; %bb.5723:                             ;   in Loop: Header=BB450_3110 Depth=1
	s_or_b32 exec_lo, exec_lo, s23
	v_lshlrev_b32_e32 v4, 16, v12
                                        ; implicit-def: $vgpr56
	s_delay_alu instid0(VALU_DEP_1) | instskip(NEXT) | instid1(VALU_DEP_1)
	v_mul_f32_e32 v4, v164, v4
	v_and_b32_e32 v5, 0x7f800000, v4
	s_delay_alu instid0(VALU_DEP_1) | instskip(NEXT) | instid1(VALU_DEP_1)
	v_cmp_ne_u32_e64 s9, 0x7f800000, v5
	s_and_saveexec_b32 s23, s9
	s_delay_alu instid0(SALU_CYCLE_1)
	s_xor_b32 s9, exec_lo, s23
; %bb.5724:                             ;   in Loop: Header=BB450_3110 Depth=1
	v_bfe_u32 v5, v4, 16, 1
	s_delay_alu instid0(VALU_DEP_1)
	v_add3_u32 v56, v4, v5, 0x7fff
                                        ; implicit-def: $vgpr4
; %bb.5725:                             ;   in Loop: Header=BB450_3110 Depth=1
	s_and_not1_saveexec_b32 s23, s9
; %bb.5726:                             ;   in Loop: Header=BB450_3110 Depth=1
	v_and_b32_e32 v5, 0xffff, v4
	v_or_b32_e32 v12, 0x10000, v4
	s_delay_alu instid0(VALU_DEP_2) | instskip(NEXT) | instid1(VALU_DEP_1)
	v_cmp_eq_u32_e64 s9, 0, v5
	v_cndmask_b32_e64 v56, v12, v4, s9
; %bb.5727:                             ;   in Loop: Header=BB450_3110 Depth=1
	s_or_b32 exec_lo, exec_lo, s23
	v_lshlrev_b32_e32 v4, 16, v7
                                        ; implicit-def: $vgpr20
	s_delay_alu instid0(VALU_DEP_1) | instskip(NEXT) | instid1(VALU_DEP_1)
	v_mul_f32_e32 v4, v165, v4
	v_and_b32_e32 v5, 0x7f800000, v4
	s_delay_alu instid0(VALU_DEP_1) | instskip(NEXT) | instid1(VALU_DEP_1)
	v_cmp_ne_u32_e64 s9, 0x7f800000, v5
	s_and_saveexec_b32 s23, s9
	s_delay_alu instid0(SALU_CYCLE_1)
	s_xor_b32 s9, exec_lo, s23
; %bb.5728:                             ;   in Loop: Header=BB450_3110 Depth=1
	v_bfe_u32 v5, v4, 16, 1
	s_delay_alu instid0(VALU_DEP_1)
	v_add3_u32 v20, v4, v5, 0x7fff
                                        ; implicit-def: $vgpr4
; %bb.5729:                             ;   in Loop: Header=BB450_3110 Depth=1
	s_and_not1_saveexec_b32 s23, s9
; %bb.5730:                             ;   in Loop: Header=BB450_3110 Depth=1
	v_and_b32_e32 v5, 0xffff, v4
	v_or_b32_e32 v7, 0x10000, v4
	s_delay_alu instid0(VALU_DEP_2) | instskip(NEXT) | instid1(VALU_DEP_1)
	v_cmp_eq_u32_e64 s9, 0, v5
	v_cndmask_b32_e64 v20, v7, v4, s9
; %bb.5731:                             ;   in Loop: Header=BB450_3110 Depth=1
	s_or_b32 exec_lo, exec_lo, s23
	v_lshlrev_b32_e32 v4, 16, v6
                                        ; implicit-def: $vgpr24
	s_delay_alu instid0(VALU_DEP_1) | instskip(NEXT) | instid1(VALU_DEP_1)
	v_mul_f32_e32 v4, v166, v4
	v_and_b32_e32 v5, 0x7f800000, v4
	s_delay_alu instid0(VALU_DEP_1) | instskip(NEXT) | instid1(VALU_DEP_1)
	v_cmp_ne_u32_e64 s9, 0x7f800000, v5
	s_and_saveexec_b32 s23, s9
	s_delay_alu instid0(SALU_CYCLE_1)
	s_xor_b32 s9, exec_lo, s23
; %bb.5732:                             ;   in Loop: Header=BB450_3110 Depth=1
	v_bfe_u32 v5, v4, 16, 1
	s_delay_alu instid0(VALU_DEP_1)
	v_add3_u32 v24, v4, v5, 0x7fff
                                        ; implicit-def: $vgpr4
; %bb.5733:                             ;   in Loop: Header=BB450_3110 Depth=1
	s_and_not1_saveexec_b32 s23, s9
; %bb.5734:                             ;   in Loop: Header=BB450_3110 Depth=1
	v_and_b32_e32 v5, 0xffff, v4
	v_or_b32_e32 v6, 0x10000, v4
	s_delay_alu instid0(VALU_DEP_2) | instskip(NEXT) | instid1(VALU_DEP_1)
	v_cmp_eq_u32_e64 s9, 0, v5
	v_cndmask_b32_e64 v24, v6, v4, s9
; %bb.5735:                             ;   in Loop: Header=BB450_3110 Depth=1
	s_or_b32 exec_lo, exec_lo, s23
	v_lshlrev_b32_e32 v3, 16, v3
                                        ; implicit-def: $vgpr57
	s_delay_alu instid0(VALU_DEP_1) | instskip(NEXT) | instid1(VALU_DEP_1)
	v_mul_f32_e32 v3, v167, v3
	v_and_b32_e32 v4, 0x7f800000, v3
	s_delay_alu instid0(VALU_DEP_1) | instskip(NEXT) | instid1(VALU_DEP_1)
	v_cmp_ne_u32_e64 s9, 0x7f800000, v4
	s_and_saveexec_b32 s23, s9
	s_delay_alu instid0(SALU_CYCLE_1)
	s_xor_b32 s9, exec_lo, s23
; %bb.5736:                             ;   in Loop: Header=BB450_3110 Depth=1
	v_bfe_u32 v4, v3, 16, 1
	s_delay_alu instid0(VALU_DEP_1)
	v_add3_u32 v57, v3, v4, 0x7fff
                                        ; implicit-def: $vgpr3
; %bb.5737:                             ;   in Loop: Header=BB450_3110 Depth=1
	s_and_not1_saveexec_b32 s23, s9
; %bb.5738:                             ;   in Loop: Header=BB450_3110 Depth=1
	v_and_b32_e32 v4, 0xffff, v3
	v_or_b32_e32 v5, 0x10000, v3
	s_delay_alu instid0(VALU_DEP_2) | instskip(NEXT) | instid1(VALU_DEP_1)
	v_cmp_eq_u32_e64 s9, 0, v4
	v_cndmask_b32_e64 v57, v5, v3, s9
; %bb.5739:                             ;   in Loop: Header=BB450_3110 Depth=1
	s_or_b32 exec_lo, exec_lo, s23
	v_lshlrev_b32_e32 v2, 16, v2
                                        ; implicit-def: $vgpr58
	s_delay_alu instid0(VALU_DEP_1) | instskip(NEXT) | instid1(VALU_DEP_1)
	v_mul_f32_e32 v2, v176, v2
	v_and_b32_e32 v3, 0x7f800000, v2
	s_delay_alu instid0(VALU_DEP_1) | instskip(NEXT) | instid1(VALU_DEP_1)
	v_cmp_ne_u32_e64 s9, 0x7f800000, v3
	s_and_saveexec_b32 s23, s9
	s_delay_alu instid0(SALU_CYCLE_1)
	s_xor_b32 s9, exec_lo, s23
; %bb.5740:                             ;   in Loop: Header=BB450_3110 Depth=1
	v_bfe_u32 v3, v2, 16, 1
	s_delay_alu instid0(VALU_DEP_1)
	v_add3_u32 v58, v2, v3, 0x7fff
                                        ; implicit-def: $vgpr2
; %bb.5741:                             ;   in Loop: Header=BB450_3110 Depth=1
	s_and_not1_saveexec_b32 s23, s9
; %bb.5742:                             ;   in Loop: Header=BB450_3110 Depth=1
	v_and_b32_e32 v3, 0xffff, v2
	v_or_b32_e32 v4, 0x10000, v2
	s_delay_alu instid0(VALU_DEP_2) | instskip(NEXT) | instid1(VALU_DEP_1)
	v_cmp_eq_u32_e64 s9, 0, v3
	v_cndmask_b32_e64 v58, v4, v2, s9
; %bb.5743:                             ;   in Loop: Header=BB450_3110 Depth=1
	s_or_b32 exec_lo, exec_lo, s23
	scratch_load_b32 v2, off, s32 offset:896 ; 4-byte Folded Reload
	s_mov_b32 s23, exec_lo
	v_mov_b32_e32 v4, 0
	s_waitcnt vmcnt(0)
	v_add_co_u32 v2, s9, v0, v2
	s_delay_alu instid0(VALU_DEP_1) | instskip(SKIP_3) | instid1(VALU_DEP_1)
	v_add_co_ci_u32_e64 v3, s9, 0, v1, s9
	flat_load_b64 v[2:3], v[2:3]
	s_waitcnt vmcnt(0) lgkmcnt(0)
	v_and_b32_e32 v5, 0xff, v2
	v_cmpx_ne_u16_e32 0, v5
	s_cbranch_execz .LBB450_5751
; %bb.5744:                             ;   in Loop: Header=BB450_3110 Depth=1
	v_bfrev_b32_e32 v4, 1
	s_mov_b32 s24, exec_lo
	v_cmpx_ne_u16_e32 0x80, v5
	s_cbranch_execz .LBB450_5750
; %bb.5745:                             ;   in Loop: Header=BB450_3110 Depth=1
	v_and_b32_e32 v5, 0x7f, v2
	v_mov_b32_e32 v4, 0x7f800001
	s_mov_b32 s25, exec_lo
	s_delay_alu instid0(VALU_DEP_2)
	v_cmpx_ne_u32_e32 0x7f, v5
	s_cbranch_execz .LBB450_5749
; %bb.5746:                             ;   in Loop: Header=BB450_3110 Depth=1
	v_lshrrev_b32_e32 v4, 3, v5
	v_dual_mov_b32 v7, v3 :: v_dual_mov_b32 v6, v2
	s_mov_b32 s26, exec_lo
	v_cmpx_gt_u32_e32 8, v5
; %bb.5747:                             ;   in Loop: Header=BB450_3110 Depth=1
	v_and_b32_e32 v4, 7, v2
	s_delay_alu instid0(VALU_DEP_1) | instskip(NEXT) | instid1(VALU_DEP_1)
	v_clz_i32_u32_e32 v4, v4
	v_min_u32_e32 v4, 32, v4
	s_delay_alu instid0(VALU_DEP_1) | instskip(SKIP_1) | instid1(VALU_DEP_2)
	v_subrev_nc_u32_e32 v5, 28, v4
	v_sub_nc_u32_e32 v4, 29, v4
	v_lshlrev_b64 v[6:7], v5, v[2:3]
; %bb.5748:                             ;   in Loop: Header=BB450_3110 Depth=1
	s_or_b32 exec_lo, exec_lo, s26
	s_delay_alu instid0(VALU_DEP_1) | instskip(SKIP_2) | instid1(VALU_DEP_3)
	v_lshlrev_b32_e32 v5, 20, v6
	v_lshlrev_b32_e32 v6, 24, v2
	v_lshl_add_u32 v4, v4, 23, 0x3c000000
	v_and_b32_e32 v5, 0x700000, v5
	s_delay_alu instid0(VALU_DEP_3) | instskip(NEXT) | instid1(VALU_DEP_1)
	v_and_b32_e32 v6, 0x80000000, v6
	v_or3_b32 v4, v5, v6, v4
.LBB450_5749:                           ;   in Loop: Header=BB450_3110 Depth=1
	s_or_b32 exec_lo, exec_lo, s25
.LBB450_5750:                           ;   in Loop: Header=BB450_3110 Depth=1
	s_delay_alu instid0(SALU_CYCLE_1)
	s_or_b32 exec_lo, exec_lo, s24
.LBB450_5751:                           ;   in Loop: Header=BB450_3110 Depth=1
	s_delay_alu instid0(SALU_CYCLE_1) | instskip(NEXT) | instid1(VALU_DEP_1)
	s_or_b32 exec_lo, exec_lo, s23
	v_mul_f32_e32 v5, v160, v4
	s_delay_alu instid0(VALU_DEP_1) | instskip(NEXT) | instid1(VALU_DEP_1)
	v_and_b32_e32 v4, 0x7f800000, v5
	v_cmp_ne_u32_e64 s9, 0x7f800000, v4
                                        ; implicit-def: $vgpr4
	s_delay_alu instid0(VALU_DEP_1) | instskip(NEXT) | instid1(SALU_CYCLE_1)
	s_and_saveexec_b32 s23, s9
	s_xor_b32 s9, exec_lo, s23
; %bb.5752:                             ;   in Loop: Header=BB450_3110 Depth=1
	v_bfe_u32 v4, v5, 16, 1
	s_delay_alu instid0(VALU_DEP_1)
	v_add3_u32 v4, v5, v4, 0x7fff
                                        ; implicit-def: $vgpr5
; %bb.5753:                             ;   in Loop: Header=BB450_3110 Depth=1
	s_and_not1_saveexec_b32 s23, s9
; %bb.5754:                             ;   in Loop: Header=BB450_3110 Depth=1
	v_and_b32_e32 v4, 0xffff, v5
	v_or_b32_e32 v6, 0x10000, v5
	s_delay_alu instid0(VALU_DEP_2) | instskip(NEXT) | instid1(VALU_DEP_1)
	v_cmp_eq_u32_e64 s9, 0, v4
	v_cndmask_b32_e64 v4, v6, v5, s9
; %bb.5755:                             ;   in Loop: Header=BB450_3110 Depth=1
	s_or_b32 exec_lo, exec_lo, s23
	v_lshrrev_b16 v6, 8, v2
	v_mov_b32_e32 v5, 0
	s_mov_b32 s23, exec_lo
	s_delay_alu instid0(VALU_DEP_2)
	v_cmpx_ne_u16_e32 0, v6
	s_cbranch_execz .LBB450_5763
; %bb.5756:                             ;   in Loop: Header=BB450_3110 Depth=1
	v_bfrev_b32_e32 v5, 1
	s_mov_b32 s24, exec_lo
	v_cmpx_ne_u16_e32 0x80, v6
	s_cbranch_execz .LBB450_5762
; %bb.5757:                             ;   in Loop: Header=BB450_3110 Depth=1
	v_and_b32_e32 v6, 0xffff, v6
	v_mov_b32_e32 v5, 0x7f800001
	s_mov_b32 s25, exec_lo
	s_delay_alu instid0(VALU_DEP_2) | instskip(NEXT) | instid1(VALU_DEP_1)
	v_and_b32_e32 v16, 0x7f, v6
	v_cmpx_ne_u32_e32 0x7f, v16
	s_cbranch_execz .LBB450_5761
; %bb.5758:                             ;   in Loop: Header=BB450_3110 Depth=1
	v_and_b32_e32 v12, 7, v6
	v_lshrrev_b32_e32 v5, 3, v16
	s_mov_b32 s26, exec_lo
	s_delay_alu instid0(VALU_DEP_2)
	v_dual_mov_b32 v6, v12 :: v_dual_mov_b32 v7, v13
	v_cmpx_gt_u32_e32 8, v16
; %bb.5759:                             ;   in Loop: Header=BB450_3110 Depth=1
	v_clz_i32_u32_e32 v5, v12
	s_delay_alu instid0(VALU_DEP_1) | instskip(NEXT) | instid1(VALU_DEP_1)
	v_min_u32_e32 v5, 32, v5
	v_subrev_nc_u32_e32 v6, 28, v5
	v_sub_nc_u32_e32 v5, 29, v5
	s_delay_alu instid0(VALU_DEP_2) | instskip(NEXT) | instid1(VALU_DEP_1)
	v_lshlrev_b64 v[6:7], v6, v[12:13]
	v_and_b32_e32 v6, 7, v6
; %bb.5760:                             ;   in Loop: Header=BB450_3110 Depth=1
	s_or_b32 exec_lo, exec_lo, s26
	v_lshlrev_b32_e32 v7, 16, v2
	s_delay_alu instid0(VALU_DEP_2) | instskip(SKIP_1) | instid1(VALU_DEP_3)
	v_lshlrev_b32_e32 v6, 20, v6
	v_lshl_add_u32 v5, v5, 23, 0x3c000000
	v_and_b32_e32 v7, 0x80000000, v7
	s_delay_alu instid0(VALU_DEP_1)
	v_or3_b32 v5, v6, v7, v5
.LBB450_5761:                           ;   in Loop: Header=BB450_3110 Depth=1
	s_or_b32 exec_lo, exec_lo, s25
.LBB450_5762:                           ;   in Loop: Header=BB450_3110 Depth=1
	s_delay_alu instid0(SALU_CYCLE_1)
	s_or_b32 exec_lo, exec_lo, s24
.LBB450_5763:                           ;   in Loop: Header=BB450_3110 Depth=1
	s_delay_alu instid0(SALU_CYCLE_1) | instskip(NEXT) | instid1(VALU_DEP_1)
	s_or_b32 exec_lo, exec_lo, s23
	v_mul_f32_e32 v6, v160, v5
	s_delay_alu instid0(VALU_DEP_1) | instskip(NEXT) | instid1(VALU_DEP_1)
	v_and_b32_e32 v5, 0x7f800000, v6
	v_cmp_ne_u32_e64 s9, 0x7f800000, v5
                                        ; implicit-def: $vgpr5
	s_delay_alu instid0(VALU_DEP_1) | instskip(NEXT) | instid1(SALU_CYCLE_1)
	s_and_saveexec_b32 s23, s9
	s_xor_b32 s9, exec_lo, s23
; %bb.5764:                             ;   in Loop: Header=BB450_3110 Depth=1
	v_bfe_u32 v5, v6, 16, 1
	s_delay_alu instid0(VALU_DEP_1)
	v_add3_u32 v5, v6, v5, 0x7fff
                                        ; implicit-def: $vgpr6
; %bb.5765:                             ;   in Loop: Header=BB450_3110 Depth=1
	s_and_not1_saveexec_b32 s23, s9
; %bb.5766:                             ;   in Loop: Header=BB450_3110 Depth=1
	v_and_b32_e32 v5, 0xffff, v6
	v_or_b32_e32 v7, 0x10000, v6
	s_delay_alu instid0(VALU_DEP_2) | instskip(NEXT) | instid1(VALU_DEP_1)
	v_cmp_eq_u32_e64 s9, 0, v5
	v_cndmask_b32_e64 v5, v7, v6, s9
; %bb.5767:                             ;   in Loop: Header=BB450_3110 Depth=1
	s_or_b32 exec_lo, exec_lo, s23
	v_lshrrev_b32_e32 v16, 16, v2
	s_mov_b32 s23, exec_lo
	s_delay_alu instid0(VALU_DEP_1) | instskip(NEXT) | instid1(VALU_DEP_1)
	v_dual_mov_b32 v6, 0 :: v_dual_and_b32 v7, 0xff, v16
	v_cmpx_ne_u16_e32 0, v7
	s_cbranch_execz .LBB450_5775
; %bb.5768:                             ;   in Loop: Header=BB450_3110 Depth=1
	v_bfrev_b32_e32 v6, 1
	s_mov_b32 s24, exec_lo
	v_cmpx_ne_u16_e32 0x80, v7
	s_cbranch_execz .LBB450_5774
; %bb.5769:                             ;   in Loop: Header=BB450_3110 Depth=1
	v_bfe_u32 v21, v2, 16, 7
	v_mov_b32_e32 v6, 0x7f800001
	s_mov_b32 s25, exec_lo
	s_delay_alu instid0(VALU_DEP_2)
	v_cmpx_ne_u32_e32 0x7f, v21
	s_cbranch_execz .LBB450_5773
; %bb.5770:                             ;   in Loop: Header=BB450_3110 Depth=1
	v_and_b32_e32 v12, 7, v16
	s_mov_b32 s26, exec_lo
	s_delay_alu instid0(VALU_DEP_1)
	v_dual_mov_b32 v6, v12 :: v_dual_mov_b32 v7, v13
	v_lshrrev_b32_e32 v7, 3, v21
	v_cmpx_gt_u32_e32 8, v21
; %bb.5771:                             ;   in Loop: Header=BB450_3110 Depth=1
	v_clz_i32_u32_e32 v6, v12
	s_delay_alu instid0(VALU_DEP_1) | instskip(NEXT) | instid1(VALU_DEP_1)
	v_min_u32_e32 v21, 32, v6
	v_subrev_nc_u32_e32 v6, 28, v21
	s_delay_alu instid0(VALU_DEP_1) | instskip(SKIP_1) | instid1(VALU_DEP_2)
	v_lshlrev_b64 v[6:7], v6, v[12:13]
	v_sub_nc_u32_e32 v7, 29, v21
	v_and_b32_e32 v6, 7, v6
; %bb.5772:                             ;   in Loop: Header=BB450_3110 Depth=1
	s_or_b32 exec_lo, exec_lo, s26
	v_lshlrev_b32_e32 v12, 24, v16
	s_delay_alu instid0(VALU_DEP_2) | instskip(SKIP_1) | instid1(VALU_DEP_3)
	v_lshlrev_b32_e32 v6, 20, v6
	v_lshl_add_u32 v7, v7, 23, 0x3c000000
	v_and_b32_e32 v12, 0x80000000, v12
	s_delay_alu instid0(VALU_DEP_1)
	v_or3_b32 v6, v6, v12, v7
.LBB450_5773:                           ;   in Loop: Header=BB450_3110 Depth=1
	s_or_b32 exec_lo, exec_lo, s25
.LBB450_5774:                           ;   in Loop: Header=BB450_3110 Depth=1
	s_delay_alu instid0(SALU_CYCLE_1)
	s_or_b32 exec_lo, exec_lo, s24
.LBB450_5775:                           ;   in Loop: Header=BB450_3110 Depth=1
	s_delay_alu instid0(SALU_CYCLE_1) | instskip(NEXT) | instid1(VALU_DEP_1)
	s_or_b32 exec_lo, exec_lo, s23
	v_mul_f32_e32 v6, v160, v6
                                        ; implicit-def: $vgpr16
	s_delay_alu instid0(VALU_DEP_1) | instskip(NEXT) | instid1(VALU_DEP_1)
	v_and_b32_e32 v7, 0x7f800000, v6
	v_cmp_ne_u32_e64 s9, 0x7f800000, v7
	s_delay_alu instid0(VALU_DEP_1) | instskip(NEXT) | instid1(SALU_CYCLE_1)
	s_and_saveexec_b32 s23, s9
	s_xor_b32 s9, exec_lo, s23
; %bb.5776:                             ;   in Loop: Header=BB450_3110 Depth=1
	v_bfe_u32 v7, v6, 16, 1
	s_delay_alu instid0(VALU_DEP_1)
	v_add3_u32 v16, v6, v7, 0x7fff
                                        ; implicit-def: $vgpr6
; %bb.5777:                             ;   in Loop: Header=BB450_3110 Depth=1
	s_and_not1_saveexec_b32 s23, s9
; %bb.5778:                             ;   in Loop: Header=BB450_3110 Depth=1
	v_and_b32_e32 v7, 0xffff, v6
	v_or_b32_e32 v12, 0x10000, v6
	s_delay_alu instid0(VALU_DEP_2) | instskip(NEXT) | instid1(VALU_DEP_1)
	v_cmp_eq_u32_e64 s9, 0, v7
	v_cndmask_b32_e64 v16, v12, v6, s9
; %bb.5779:                             ;   in Loop: Header=BB450_3110 Depth=1
	s_or_b32 exec_lo, exec_lo, s23
	v_mov_b32_e32 v6, 0
	s_mov_b32 s23, exec_lo
	v_cmpx_lt_u32_e32 0xffffff, v2
	s_cbranch_execz .LBB450_5787
; %bb.5780:                             ;   in Loop: Header=BB450_3110 Depth=1
	v_lshrrev_b32_e32 v21, 24, v2
	v_bfrev_b32_e32 v6, 1
	s_mov_b32 s24, exec_lo
	s_delay_alu instid0(VALU_DEP_2)
	v_cmpx_ne_u32_e32 0x80, v21
	s_cbranch_execz .LBB450_5786
; %bb.5781:                             ;   in Loop: Header=BB450_3110 Depth=1
	v_bfe_u32 v25, v2, 24, 7
	v_mov_b32_e32 v6, 0x7f800001
	s_mov_b32 s25, exec_lo
	s_delay_alu instid0(VALU_DEP_2)
	v_cmpx_ne_u32_e32 0x7f, v25
	s_cbranch_execz .LBB450_5785
; %bb.5782:                             ;   in Loop: Header=BB450_3110 Depth=1
	v_and_b32_e32 v12, 7, v21
	s_mov_b32 s26, exec_lo
	s_delay_alu instid0(VALU_DEP_1)
	v_dual_mov_b32 v6, v12 :: v_dual_mov_b32 v7, v13
	v_lshrrev_b32_e32 v7, 3, v25
	v_cmpx_gt_u32_e32 8, v25
; %bb.5783:                             ;   in Loop: Header=BB450_3110 Depth=1
	v_clz_i32_u32_e32 v6, v12
	s_delay_alu instid0(VALU_DEP_1) | instskip(NEXT) | instid1(VALU_DEP_1)
	v_min_u32_e32 v25, 32, v6
	v_subrev_nc_u32_e32 v6, 28, v25
	s_delay_alu instid0(VALU_DEP_1) | instskip(SKIP_1) | instid1(VALU_DEP_2)
	v_lshlrev_b64 v[6:7], v6, v[12:13]
	v_sub_nc_u32_e32 v7, 29, v25
	v_and_b32_e32 v6, 7, v6
; %bb.5784:                             ;   in Loop: Header=BB450_3110 Depth=1
	s_or_b32 exec_lo, exec_lo, s26
	v_lshlrev_b32_e32 v12, 24, v21
	s_delay_alu instid0(VALU_DEP_2) | instskip(SKIP_1) | instid1(VALU_DEP_3)
	v_lshlrev_b32_e32 v6, 20, v6
	v_lshl_add_u32 v7, v7, 23, 0x3c000000
	v_and_b32_e32 v12, 0x80000000, v12
	s_delay_alu instid0(VALU_DEP_1)
	v_or3_b32 v6, v6, v12, v7
.LBB450_5785:                           ;   in Loop: Header=BB450_3110 Depth=1
	s_or_b32 exec_lo, exec_lo, s25
.LBB450_5786:                           ;   in Loop: Header=BB450_3110 Depth=1
	s_delay_alu instid0(SALU_CYCLE_1)
	s_or_b32 exec_lo, exec_lo, s24
.LBB450_5787:                           ;   in Loop: Header=BB450_3110 Depth=1
	s_delay_alu instid0(SALU_CYCLE_1) | instskip(NEXT) | instid1(VALU_DEP_1)
	s_or_b32 exec_lo, exec_lo, s23
	v_mul_f32_e32 v6, v160, v6
                                        ; implicit-def: $vgpr21
	s_delay_alu instid0(VALU_DEP_1) | instskip(NEXT) | instid1(VALU_DEP_1)
	v_and_b32_e32 v7, 0x7f800000, v6
	v_cmp_ne_u32_e64 s9, 0x7f800000, v7
	s_delay_alu instid0(VALU_DEP_1) | instskip(NEXT) | instid1(SALU_CYCLE_1)
	s_and_saveexec_b32 s23, s9
	s_xor_b32 s9, exec_lo, s23
; %bb.5788:                             ;   in Loop: Header=BB450_3110 Depth=1
	v_bfe_u32 v7, v6, 16, 1
	s_delay_alu instid0(VALU_DEP_1)
	v_add3_u32 v21, v6, v7, 0x7fff
                                        ; implicit-def: $vgpr6
; %bb.5789:                             ;   in Loop: Header=BB450_3110 Depth=1
	s_and_not1_saveexec_b32 s23, s9
; %bb.5790:                             ;   in Loop: Header=BB450_3110 Depth=1
	v_and_b32_e32 v7, 0xffff, v6
	v_or_b32_e32 v12, 0x10000, v6
	s_delay_alu instid0(VALU_DEP_2) | instskip(NEXT) | instid1(VALU_DEP_1)
	v_cmp_eq_u32_e64 s9, 0, v7
	v_cndmask_b32_e64 v21, v12, v6, s9
; %bb.5791:                             ;   in Loop: Header=BB450_3110 Depth=1
	s_or_b32 exec_lo, exec_lo, s23
	v_dual_mov_b32 v12, v3 :: v_dual_and_b32 v7, 0xff, v3
	v_mov_b32_e32 v6, 0
	s_mov_b32 s23, exec_lo
	s_delay_alu instid0(VALU_DEP_2)
	v_cmpx_ne_u16_e32 0, v7
	s_cbranch_execz .LBB450_5799
; %bb.5792:                             ;   in Loop: Header=BB450_3110 Depth=1
	v_bfrev_b32_e32 v6, 1
	s_mov_b32 s24, exec_lo
	v_cmpx_ne_u16_e32 0x80, v7
	s_cbranch_execz .LBB450_5798
; %bb.5793:                             ;   in Loop: Header=BB450_3110 Depth=1
	v_and_b32_e32 v25, 0x7f, v3
	v_mov_b32_e32 v6, 0x7f800001
	s_mov_b32 s25, exec_lo
	s_delay_alu instid0(VALU_DEP_2)
	v_cmpx_ne_u32_e32 0x7f, v25
	s_cbranch_execz .LBB450_5797
; %bb.5794:                             ;   in Loop: Header=BB450_3110 Depth=1
	v_dual_mov_b32 v6, v12 :: v_dual_mov_b32 v7, v13
	v_lshrrev_b32_e32 v7, 3, v25
	s_mov_b32 s26, exec_lo
	v_cmpx_gt_u32_e32 8, v25
; %bb.5795:                             ;   in Loop: Header=BB450_3110 Depth=1
	v_and_b32_e32 v6, 7, v3
	s_delay_alu instid0(VALU_DEP_1) | instskip(NEXT) | instid1(VALU_DEP_1)
	v_clz_i32_u32_e32 v6, v6
	v_min_u32_e32 v25, 32, v6
	s_delay_alu instid0(VALU_DEP_1) | instskip(NEXT) | instid1(VALU_DEP_1)
	v_subrev_nc_u32_e32 v6, 28, v25
	v_lshlrev_b64 v[6:7], v6, v[12:13]
	v_sub_nc_u32_e32 v7, 29, v25
; %bb.5796:                             ;   in Loop: Header=BB450_3110 Depth=1
	s_or_b32 exec_lo, exec_lo, s26
	s_delay_alu instid0(VALU_DEP_2) | instskip(SKIP_1) | instid1(VALU_DEP_3)
	v_lshlrev_b32_e32 v6, 20, v6
	v_lshlrev_b32_e32 v25, 24, v12
	v_lshl_add_u32 v7, v7, 23, 0x3c000000
	s_delay_alu instid0(VALU_DEP_3) | instskip(NEXT) | instid1(VALU_DEP_3)
	v_and_b32_e32 v6, 0x700000, v6
	v_and_b32_e32 v25, 0x80000000, v25
	s_delay_alu instid0(VALU_DEP_1)
	v_or3_b32 v6, v6, v25, v7
.LBB450_5797:                           ;   in Loop: Header=BB450_3110 Depth=1
	s_or_b32 exec_lo, exec_lo, s25
.LBB450_5798:                           ;   in Loop: Header=BB450_3110 Depth=1
	s_delay_alu instid0(SALU_CYCLE_1)
	s_or_b32 exec_lo, exec_lo, s24
.LBB450_5799:                           ;   in Loop: Header=BB450_3110 Depth=1
	s_delay_alu instid0(SALU_CYCLE_1) | instskip(NEXT) | instid1(VALU_DEP_1)
	s_or_b32 exec_lo, exec_lo, s23
	v_mul_f32_e32 v6, v160, v6
                                        ; implicit-def: $vgpr25
	s_delay_alu instid0(VALU_DEP_1) | instskip(NEXT) | instid1(VALU_DEP_1)
	v_and_b32_e32 v7, 0x7f800000, v6
	v_cmp_ne_u32_e64 s9, 0x7f800000, v7
	s_delay_alu instid0(VALU_DEP_1) | instskip(NEXT) | instid1(SALU_CYCLE_1)
	s_and_saveexec_b32 s23, s9
	s_xor_b32 s9, exec_lo, s23
; %bb.5800:                             ;   in Loop: Header=BB450_3110 Depth=1
	v_bfe_u32 v7, v6, 16, 1
	s_delay_alu instid0(VALU_DEP_1)
	v_add3_u32 v25, v6, v7, 0x7fff
                                        ; implicit-def: $vgpr6
; %bb.5801:                             ;   in Loop: Header=BB450_3110 Depth=1
	s_and_not1_saveexec_b32 s23, s9
; %bb.5802:                             ;   in Loop: Header=BB450_3110 Depth=1
	v_and_b32_e32 v7, 0xffff, v6
	v_or_b32_e32 v25, 0x10000, v6
	s_delay_alu instid0(VALU_DEP_2) | instskip(NEXT) | instid1(VALU_DEP_1)
	v_cmp_eq_u32_e64 s9, 0, v7
	v_cndmask_b32_e64 v25, v25, v6, s9
; %bb.5803:                             ;   in Loop: Header=BB450_3110 Depth=1
	s_or_b32 exec_lo, exec_lo, s23
	v_lshrrev_b16 v7, 8, v12
	v_mov_b32_e32 v6, 0
	s_mov_b32 s23, exec_lo
	s_delay_alu instid0(VALU_DEP_2)
	v_cmpx_ne_u16_e32 0, v7
	s_cbranch_execz .LBB450_5811
; %bb.5804:                             ;   in Loop: Header=BB450_3110 Depth=1
	v_bfrev_b32_e32 v6, 1
	s_mov_b32 s24, exec_lo
	v_cmpx_ne_u16_e32 0x80, v7
	s_cbranch_execz .LBB450_5810
; %bb.5805:                             ;   in Loop: Header=BB450_3110 Depth=1
	v_and_b32_e32 v7, 0xffff, v7
	v_mov_b32_e32 v6, 0x7f800001
	s_mov_b32 s25, exec_lo
	s_delay_alu instid0(VALU_DEP_2) | instskip(NEXT) | instid1(VALU_DEP_1)
	v_and_b32_e32 v29, 0x7f, v7
	v_cmpx_ne_u32_e32 0x7f, v29
	s_cbranch_execz .LBB450_5809
; %bb.5806:                             ;   in Loop: Header=BB450_3110 Depth=1
	v_dual_mov_b32 v7, v13 :: v_dual_and_b32 v6, 7, v7
	v_lshrrev_b32_e32 v28, 3, v29
	s_mov_b32 s26, exec_lo
	v_cmpx_gt_u32_e32 8, v29
; %bb.5807:                             ;   in Loop: Header=BB450_3110 Depth=1
	s_delay_alu instid0(VALU_DEP_3) | instskip(NEXT) | instid1(VALU_DEP_1)
	v_clz_i32_u32_e32 v28, v6
	v_min_u32_e32 v28, 32, v28
	s_delay_alu instid0(VALU_DEP_1) | instskip(SKIP_1) | instid1(VALU_DEP_2)
	v_subrev_nc_u32_e32 v29, 28, v28
	v_sub_nc_u32_e32 v28, 29, v28
	v_lshlrev_b64 v[6:7], v29, v[6:7]
	s_delay_alu instid0(VALU_DEP_1)
	v_and_b32_e32 v6, 7, v6
; %bb.5808:                             ;   in Loop: Header=BB450_3110 Depth=1
	s_or_b32 exec_lo, exec_lo, s26
	v_lshlrev_b32_e32 v7, 16, v12
	s_delay_alu instid0(VALU_DEP_2) | instskip(SKIP_1) | instid1(VALU_DEP_3)
	v_lshlrev_b32_e32 v6, 20, v6
	v_lshl_add_u32 v12, v28, 23, 0x3c000000
	v_and_b32_e32 v7, 0x80000000, v7
	s_delay_alu instid0(VALU_DEP_1)
	v_or3_b32 v6, v6, v7, v12
.LBB450_5809:                           ;   in Loop: Header=BB450_3110 Depth=1
	s_or_b32 exec_lo, exec_lo, s25
.LBB450_5810:                           ;   in Loop: Header=BB450_3110 Depth=1
	s_delay_alu instid0(SALU_CYCLE_1)
	s_or_b32 exec_lo, exec_lo, s24
.LBB450_5811:                           ;   in Loop: Header=BB450_3110 Depth=1
	s_delay_alu instid0(SALU_CYCLE_1) | instskip(NEXT) | instid1(VALU_DEP_1)
	s_or_b32 exec_lo, exec_lo, s23
	v_mul_f32_e32 v6, v160, v6
                                        ; implicit-def: $vgpr28
	s_delay_alu instid0(VALU_DEP_1) | instskip(NEXT) | instid1(VALU_DEP_1)
	v_and_b32_e32 v7, 0x7f800000, v6
	v_cmp_ne_u32_e64 s9, 0x7f800000, v7
	s_delay_alu instid0(VALU_DEP_1) | instskip(NEXT) | instid1(SALU_CYCLE_1)
	s_and_saveexec_b32 s23, s9
	s_xor_b32 s9, exec_lo, s23
; %bb.5812:                             ;   in Loop: Header=BB450_3110 Depth=1
	v_bfe_u32 v7, v6, 16, 1
	s_delay_alu instid0(VALU_DEP_1)
	v_add3_u32 v28, v6, v7, 0x7fff
                                        ; implicit-def: $vgpr6
; %bb.5813:                             ;   in Loop: Header=BB450_3110 Depth=1
	s_and_not1_saveexec_b32 s23, s9
; %bb.5814:                             ;   in Loop: Header=BB450_3110 Depth=1
	v_and_b32_e32 v7, 0xffff, v6
	v_or_b32_e32 v12, 0x10000, v6
	s_delay_alu instid0(VALU_DEP_2) | instskip(NEXT) | instid1(VALU_DEP_1)
	v_cmp_eq_u32_e64 s9, 0, v7
	v_cndmask_b32_e64 v28, v12, v6, s9
; %bb.5815:                             ;   in Loop: Header=BB450_3110 Depth=1
	s_or_b32 exec_lo, exec_lo, s23
	v_lshrrev_b32_e32 v29, 16, v3
	s_mov_b32 s23, exec_lo
	s_delay_alu instid0(VALU_DEP_1) | instskip(NEXT) | instid1(VALU_DEP_1)
	v_dual_mov_b32 v6, 0 :: v_dual_and_b32 v7, 0xff, v29
	v_cmpx_ne_u16_e32 0, v7
	s_cbranch_execz .LBB450_5823
; %bb.5816:                             ;   in Loop: Header=BB450_3110 Depth=1
	v_bfrev_b32_e32 v6, 1
	s_mov_b32 s24, exec_lo
	v_cmpx_ne_u16_e32 0x80, v7
	s_cbranch_execz .LBB450_5822
; %bb.5817:                             ;   in Loop: Header=BB450_3110 Depth=1
	v_bfe_u32 v31, v3, 16, 7
	v_mov_b32_e32 v6, 0x7f800001
	s_mov_b32 s25, exec_lo
	s_delay_alu instid0(VALU_DEP_2)
	v_cmpx_ne_u32_e32 0x7f, v31
	s_cbranch_execz .LBB450_5821
; %bb.5818:                             ;   in Loop: Header=BB450_3110 Depth=1
	v_and_b32_e32 v12, 7, v29
	s_mov_b32 s26, exec_lo
	s_delay_alu instid0(VALU_DEP_1)
	v_dual_mov_b32 v6, v12 :: v_dual_mov_b32 v7, v13
	v_lshrrev_b32_e32 v7, 3, v31
	v_cmpx_gt_u32_e32 8, v31
; %bb.5819:                             ;   in Loop: Header=BB450_3110 Depth=1
	v_clz_i32_u32_e32 v6, v12
	s_delay_alu instid0(VALU_DEP_1) | instskip(NEXT) | instid1(VALU_DEP_1)
	v_min_u32_e32 v31, 32, v6
	v_subrev_nc_u32_e32 v6, 28, v31
	s_delay_alu instid0(VALU_DEP_1) | instskip(SKIP_1) | instid1(VALU_DEP_2)
	v_lshlrev_b64 v[6:7], v6, v[12:13]
	v_sub_nc_u32_e32 v7, 29, v31
	v_and_b32_e32 v6, 7, v6
; %bb.5820:                             ;   in Loop: Header=BB450_3110 Depth=1
	s_or_b32 exec_lo, exec_lo, s26
	v_lshlrev_b32_e32 v12, 24, v29
	s_delay_alu instid0(VALU_DEP_2) | instskip(SKIP_1) | instid1(VALU_DEP_3)
	v_lshlrev_b32_e32 v6, 20, v6
	v_lshl_add_u32 v7, v7, 23, 0x3c000000
	v_and_b32_e32 v12, 0x80000000, v12
	s_delay_alu instid0(VALU_DEP_1)
	v_or3_b32 v6, v6, v12, v7
.LBB450_5821:                           ;   in Loop: Header=BB450_3110 Depth=1
	s_or_b32 exec_lo, exec_lo, s25
.LBB450_5822:                           ;   in Loop: Header=BB450_3110 Depth=1
	s_delay_alu instid0(SALU_CYCLE_1)
	s_or_b32 exec_lo, exec_lo, s24
.LBB450_5823:                           ;   in Loop: Header=BB450_3110 Depth=1
	s_delay_alu instid0(SALU_CYCLE_1) | instskip(NEXT) | instid1(VALU_DEP_1)
	s_or_b32 exec_lo, exec_lo, s23
	v_mul_f32_e32 v6, v160, v6
                                        ; implicit-def: $vgpr29
	s_delay_alu instid0(VALU_DEP_1) | instskip(NEXT) | instid1(VALU_DEP_1)
	v_and_b32_e32 v7, 0x7f800000, v6
	v_cmp_ne_u32_e64 s9, 0x7f800000, v7
	s_delay_alu instid0(VALU_DEP_1) | instskip(NEXT) | instid1(SALU_CYCLE_1)
	s_and_saveexec_b32 s23, s9
	s_xor_b32 s9, exec_lo, s23
; %bb.5824:                             ;   in Loop: Header=BB450_3110 Depth=1
	v_bfe_u32 v7, v6, 16, 1
	s_delay_alu instid0(VALU_DEP_1)
	v_add3_u32 v29, v6, v7, 0x7fff
                                        ; implicit-def: $vgpr6
; %bb.5825:                             ;   in Loop: Header=BB450_3110 Depth=1
	s_and_not1_saveexec_b32 s23, s9
; %bb.5826:                             ;   in Loop: Header=BB450_3110 Depth=1
	v_and_b32_e32 v7, 0xffff, v6
	v_or_b32_e32 v12, 0x10000, v6
	s_delay_alu instid0(VALU_DEP_2) | instskip(NEXT) | instid1(VALU_DEP_1)
	v_cmp_eq_u32_e64 s9, 0, v7
	v_cndmask_b32_e64 v29, v12, v6, s9
; %bb.5827:                             ;   in Loop: Header=BB450_3110 Depth=1
	s_or_b32 exec_lo, exec_lo, s23
	v_cmp_lt_u64_e64 s9, s[18:19], v[2:3]
	v_mov_b32_e32 v2, 0
	s_delay_alu instid0(VALU_DEP_2)
	s_and_saveexec_b32 s23, s9
	s_cbranch_execz .LBB450_5835
; %bb.5828:                             ;   in Loop: Header=BB450_3110 Depth=1
	v_lshrrev_b32_e32 v6, 24, v3
	v_bfrev_b32_e32 v2, 1
	s_mov_b32 s24, exec_lo
	s_delay_alu instid0(VALU_DEP_2)
	v_cmpx_ne_u32_e32 0x80, v6
	s_cbranch_execz .LBB450_5834
; %bb.5829:                             ;   in Loop: Header=BB450_3110 Depth=1
	v_bfe_u32 v7, v3, 24, 7
	v_mov_b32_e32 v2, 0x7f800001
	s_mov_b32 s25, exec_lo
	s_delay_alu instid0(VALU_DEP_2)
	v_cmpx_ne_u32_e32 0x7f, v7
	s_cbranch_execz .LBB450_5833
; %bb.5830:                             ;   in Loop: Header=BB450_3110 Depth=1
	v_and_b32_e32 v12, 7, v6
	s_mov_b32 s26, exec_lo
	s_delay_alu instid0(VALU_DEP_1)
	v_dual_mov_b32 v2, v12 :: v_dual_mov_b32 v3, v13
	v_lshrrev_b32_e32 v3, 3, v7
	v_cmpx_gt_u32_e32 8, v7
; %bb.5831:                             ;   in Loop: Header=BB450_3110 Depth=1
	v_clz_i32_u32_e32 v2, v12
	s_delay_alu instid0(VALU_DEP_1) | instskip(NEXT) | instid1(VALU_DEP_1)
	v_min_u32_e32 v7, 32, v2
	v_subrev_nc_u32_e32 v2, 28, v7
	s_delay_alu instid0(VALU_DEP_1) | instskip(SKIP_1) | instid1(VALU_DEP_2)
	v_lshlrev_b64 v[2:3], v2, v[12:13]
	v_sub_nc_u32_e32 v3, 29, v7
	v_and_b32_e32 v2, 7, v2
; %bb.5832:                             ;   in Loop: Header=BB450_3110 Depth=1
	s_or_b32 exec_lo, exec_lo, s26
	v_lshlrev_b32_e32 v6, 24, v6
	s_delay_alu instid0(VALU_DEP_2) | instskip(SKIP_1) | instid1(VALU_DEP_3)
	v_lshlrev_b32_e32 v2, 20, v2
	v_lshl_add_u32 v3, v3, 23, 0x3c000000
	v_and_b32_e32 v6, 0x80000000, v6
	s_delay_alu instid0(VALU_DEP_1)
	v_or3_b32 v2, v2, v6, v3
.LBB450_5833:                           ;   in Loop: Header=BB450_3110 Depth=1
	s_or_b32 exec_lo, exec_lo, s25
.LBB450_5834:                           ;   in Loop: Header=BB450_3110 Depth=1
	s_delay_alu instid0(SALU_CYCLE_1)
	s_or_b32 exec_lo, exec_lo, s24
.LBB450_5835:                           ;   in Loop: Header=BB450_3110 Depth=1
	s_delay_alu instid0(SALU_CYCLE_1) | instskip(NEXT) | instid1(VALU_DEP_1)
	s_or_b32 exec_lo, exec_lo, s23
	v_mul_f32_e32 v3, v160, v2
	s_delay_alu instid0(VALU_DEP_1) | instskip(NEXT) | instid1(VALU_DEP_1)
	v_and_b32_e32 v2, 0x7f800000, v3
	v_cmp_ne_u32_e64 s9, 0x7f800000, v2
                                        ; implicit-def: $vgpr2
	s_delay_alu instid0(VALU_DEP_1) | instskip(NEXT) | instid1(SALU_CYCLE_1)
	s_and_saveexec_b32 s23, s9
	s_xor_b32 s9, exec_lo, s23
; %bb.5836:                             ;   in Loop: Header=BB450_3110 Depth=1
	v_bfe_u32 v2, v3, 16, 1
	s_delay_alu instid0(VALU_DEP_1)
	v_add3_u32 v2, v3, v2, 0x7fff
                                        ; implicit-def: $vgpr3
; %bb.5837:                             ;   in Loop: Header=BB450_3110 Depth=1
	s_and_not1_saveexec_b32 s23, s9
; %bb.5838:                             ;   in Loop: Header=BB450_3110 Depth=1
	v_and_b32_e32 v2, 0xffff, v3
	v_or_b32_e32 v6, 0x10000, v3
	s_delay_alu instid0(VALU_DEP_2) | instskip(NEXT) | instid1(VALU_DEP_1)
	v_cmp_eq_u32_e64 s9, 0, v2
	v_cndmask_b32_e64 v2, v6, v3, s9
; %bb.5839:                             ;   in Loop: Header=BB450_3110 Depth=1
	s_or_b32 exec_lo, exec_lo, s23
	v_lshrrev_b32_e32 v6, 16, v28
	v_lshrrev_b32_e32 v7, 16, v25
	;; [unrolled: 1-line block ×8, first 2 shown]
	s_and_saveexec_b32 s9, s1
; %bb.5840:                             ;   in Loop: Header=BB450_3110 Depth=1
	s_delay_alu instid0(VALU_DEP_3)
	v_cndmask_b32_e32 v4, 0, v4, vcc_lo
	v_cndmask_b32_e64 v5, 0, v5, s2
	v_cndmask_b32_e64 v16, 0, v16, s3
	;; [unrolled: 1-line block ×7, first 2 shown]
; %bb.5841:                             ;   in Loop: Header=BB450_3110 Depth=1
	s_or_b32 exec_lo, exec_lo, s9
	v_lshlrev_b32_e32 v4, 16, v4
                                        ; implicit-def: $vgpr59
	s_delay_alu instid0(VALU_DEP_1) | instskip(NEXT) | instid1(VALU_DEP_1)
	v_mul_f32_e32 v4, v161, v4
	v_and_b32_e32 v21, 0x7f800000, v4
	s_delay_alu instid0(VALU_DEP_1) | instskip(NEXT) | instid1(VALU_DEP_1)
	v_cmp_ne_u32_e64 s9, 0x7f800000, v21
	s_and_saveexec_b32 s23, s9
	s_delay_alu instid0(SALU_CYCLE_1)
	s_xor_b32 s9, exec_lo, s23
; %bb.5842:                             ;   in Loop: Header=BB450_3110 Depth=1
	v_bfe_u32 v21, v4, 16, 1
	s_delay_alu instid0(VALU_DEP_1)
	v_add3_u32 v59, v4, v21, 0x7fff
                                        ; implicit-def: $vgpr4
; %bb.5843:                             ;   in Loop: Header=BB450_3110 Depth=1
	s_and_not1_saveexec_b32 s23, s9
; %bb.5844:                             ;   in Loop: Header=BB450_3110 Depth=1
	v_and_b32_e32 v21, 0xffff, v4
	v_or_b32_e32 v25, 0x10000, v4
	s_delay_alu instid0(VALU_DEP_2) | instskip(NEXT) | instid1(VALU_DEP_1)
	v_cmp_eq_u32_e64 s9, 0, v21
	v_cndmask_b32_e64 v59, v25, v4, s9
; %bb.5845:                             ;   in Loop: Header=BB450_3110 Depth=1
	s_or_b32 exec_lo, exec_lo, s23
	v_lshlrev_b32_e32 v4, 16, v5
                                        ; implicit-def: $vgpr60
	s_delay_alu instid0(VALU_DEP_1) | instskip(NEXT) | instid1(VALU_DEP_1)
	v_mul_f32_e32 v4, v162, v4
	v_and_b32_e32 v5, 0x7f800000, v4
	s_delay_alu instid0(VALU_DEP_1) | instskip(NEXT) | instid1(VALU_DEP_1)
	v_cmp_ne_u32_e64 s9, 0x7f800000, v5
	s_and_saveexec_b32 s23, s9
	s_delay_alu instid0(SALU_CYCLE_1)
	s_xor_b32 s9, exec_lo, s23
; %bb.5846:                             ;   in Loop: Header=BB450_3110 Depth=1
	v_bfe_u32 v5, v4, 16, 1
	s_delay_alu instid0(VALU_DEP_1)
	v_add3_u32 v60, v4, v5, 0x7fff
                                        ; implicit-def: $vgpr4
; %bb.5847:                             ;   in Loop: Header=BB450_3110 Depth=1
	s_and_not1_saveexec_b32 s23, s9
; %bb.5848:                             ;   in Loop: Header=BB450_3110 Depth=1
	v_and_b32_e32 v5, 0xffff, v4
	v_or_b32_e32 v21, 0x10000, v4
	s_delay_alu instid0(VALU_DEP_2) | instskip(NEXT) | instid1(VALU_DEP_1)
	v_cmp_eq_u32_e64 s9, 0, v5
	v_cndmask_b32_e64 v60, v21, v4, s9
; %bb.5849:                             ;   in Loop: Header=BB450_3110 Depth=1
	s_or_b32 exec_lo, exec_lo, s23
	v_lshlrev_b32_e32 v4, 16, v16
                                        ; implicit-def: $vgpr61
	s_delay_alu instid0(VALU_DEP_1) | instskip(NEXT) | instid1(VALU_DEP_1)
	v_mul_f32_e32 v4, v163, v4
	v_and_b32_e32 v5, 0x7f800000, v4
	s_delay_alu instid0(VALU_DEP_1) | instskip(NEXT) | instid1(VALU_DEP_1)
	v_cmp_ne_u32_e64 s9, 0x7f800000, v5
	s_and_saveexec_b32 s23, s9
	s_delay_alu instid0(SALU_CYCLE_1)
	s_xor_b32 s9, exec_lo, s23
; %bb.5850:                             ;   in Loop: Header=BB450_3110 Depth=1
	v_bfe_u32 v5, v4, 16, 1
	s_delay_alu instid0(VALU_DEP_1)
	v_add3_u32 v61, v4, v5, 0x7fff
                                        ; implicit-def: $vgpr4
; %bb.5851:                             ;   in Loop: Header=BB450_3110 Depth=1
	s_and_not1_saveexec_b32 s23, s9
; %bb.5852:                             ;   in Loop: Header=BB450_3110 Depth=1
	v_and_b32_e32 v5, 0xffff, v4
	v_or_b32_e32 v16, 0x10000, v4
	s_delay_alu instid0(VALU_DEP_2) | instskip(NEXT) | instid1(VALU_DEP_1)
	v_cmp_eq_u32_e64 s9, 0, v5
	v_cndmask_b32_e64 v61, v16, v4, s9
; %bb.5853:                             ;   in Loop: Header=BB450_3110 Depth=1
	s_or_b32 exec_lo, exec_lo, s23
	v_lshlrev_b32_e32 v4, 16, v12
                                        ; implicit-def: $vgpr62
	s_delay_alu instid0(VALU_DEP_1) | instskip(NEXT) | instid1(VALU_DEP_1)
	v_mul_f32_e32 v4, v164, v4
	v_and_b32_e32 v5, 0x7f800000, v4
	s_delay_alu instid0(VALU_DEP_1) | instskip(NEXT) | instid1(VALU_DEP_1)
	v_cmp_ne_u32_e64 s9, 0x7f800000, v5
	s_and_saveexec_b32 s23, s9
	s_delay_alu instid0(SALU_CYCLE_1)
	s_xor_b32 s9, exec_lo, s23
; %bb.5854:                             ;   in Loop: Header=BB450_3110 Depth=1
	v_bfe_u32 v5, v4, 16, 1
	s_delay_alu instid0(VALU_DEP_1)
	v_add3_u32 v62, v4, v5, 0x7fff
                                        ; implicit-def: $vgpr4
; %bb.5855:                             ;   in Loop: Header=BB450_3110 Depth=1
	s_and_not1_saveexec_b32 s23, s9
; %bb.5856:                             ;   in Loop: Header=BB450_3110 Depth=1
	v_and_b32_e32 v5, 0xffff, v4
	v_or_b32_e32 v12, 0x10000, v4
	s_delay_alu instid0(VALU_DEP_2) | instskip(NEXT) | instid1(VALU_DEP_1)
	v_cmp_eq_u32_e64 s9, 0, v5
	v_cndmask_b32_e64 v62, v12, v4, s9
; %bb.5857:                             ;   in Loop: Header=BB450_3110 Depth=1
	s_or_b32 exec_lo, exec_lo, s23
	v_lshlrev_b32_e32 v4, 16, v7
                                        ; implicit-def: $vgpr63
	s_delay_alu instid0(VALU_DEP_1) | instskip(NEXT) | instid1(VALU_DEP_1)
	v_mul_f32_e32 v4, v165, v4
	v_and_b32_e32 v5, 0x7f800000, v4
	s_delay_alu instid0(VALU_DEP_1) | instskip(NEXT) | instid1(VALU_DEP_1)
	v_cmp_ne_u32_e64 s9, 0x7f800000, v5
	s_and_saveexec_b32 s23, s9
	s_delay_alu instid0(SALU_CYCLE_1)
	s_xor_b32 s9, exec_lo, s23
; %bb.5858:                             ;   in Loop: Header=BB450_3110 Depth=1
	v_bfe_u32 v5, v4, 16, 1
	s_delay_alu instid0(VALU_DEP_1)
	v_add3_u32 v63, v4, v5, 0x7fff
                                        ; implicit-def: $vgpr4
; %bb.5859:                             ;   in Loop: Header=BB450_3110 Depth=1
	s_and_not1_saveexec_b32 s23, s9
; %bb.5860:                             ;   in Loop: Header=BB450_3110 Depth=1
	v_and_b32_e32 v5, 0xffff, v4
	v_or_b32_e32 v7, 0x10000, v4
	s_delay_alu instid0(VALU_DEP_2) | instskip(NEXT) | instid1(VALU_DEP_1)
	v_cmp_eq_u32_e64 s9, 0, v5
	v_cndmask_b32_e64 v63, v7, v4, s9
; %bb.5861:                             ;   in Loop: Header=BB450_3110 Depth=1
	s_or_b32 exec_lo, exec_lo, s23
	v_lshlrev_b32_e32 v4, 16, v6
                                        ; implicit-def: $vgpr72
	s_delay_alu instid0(VALU_DEP_1) | instskip(NEXT) | instid1(VALU_DEP_1)
	v_mul_f32_e32 v4, v166, v4
	v_and_b32_e32 v5, 0x7f800000, v4
	s_delay_alu instid0(VALU_DEP_1) | instskip(NEXT) | instid1(VALU_DEP_1)
	v_cmp_ne_u32_e64 s9, 0x7f800000, v5
	s_and_saveexec_b32 s23, s9
	s_delay_alu instid0(SALU_CYCLE_1)
	s_xor_b32 s9, exec_lo, s23
; %bb.5862:                             ;   in Loop: Header=BB450_3110 Depth=1
	v_bfe_u32 v5, v4, 16, 1
	s_delay_alu instid0(VALU_DEP_1)
	v_add3_u32 v72, v4, v5, 0x7fff
                                        ; implicit-def: $vgpr4
; %bb.5863:                             ;   in Loop: Header=BB450_3110 Depth=1
	s_and_not1_saveexec_b32 s23, s9
; %bb.5864:                             ;   in Loop: Header=BB450_3110 Depth=1
	v_and_b32_e32 v5, 0xffff, v4
	v_or_b32_e32 v6, 0x10000, v4
	s_delay_alu instid0(VALU_DEP_2) | instskip(NEXT) | instid1(VALU_DEP_1)
	v_cmp_eq_u32_e64 s9, 0, v5
	v_cndmask_b32_e64 v72, v6, v4, s9
; %bb.5865:                             ;   in Loop: Header=BB450_3110 Depth=1
	s_or_b32 exec_lo, exec_lo, s23
	v_lshlrev_b32_e32 v3, 16, v3
                                        ; implicit-def: $vgpr16
	s_delay_alu instid0(VALU_DEP_1) | instskip(NEXT) | instid1(VALU_DEP_1)
	v_mul_f32_e32 v3, v167, v3
	v_and_b32_e32 v4, 0x7f800000, v3
	s_delay_alu instid0(VALU_DEP_1) | instskip(NEXT) | instid1(VALU_DEP_1)
	v_cmp_ne_u32_e64 s9, 0x7f800000, v4
	s_and_saveexec_b32 s23, s9
	s_delay_alu instid0(SALU_CYCLE_1)
	s_xor_b32 s9, exec_lo, s23
; %bb.5866:                             ;   in Loop: Header=BB450_3110 Depth=1
	v_bfe_u32 v4, v3, 16, 1
	s_delay_alu instid0(VALU_DEP_1)
	v_add3_u32 v16, v3, v4, 0x7fff
                                        ; implicit-def: $vgpr3
; %bb.5867:                             ;   in Loop: Header=BB450_3110 Depth=1
	s_and_not1_saveexec_b32 s23, s9
; %bb.5868:                             ;   in Loop: Header=BB450_3110 Depth=1
	v_and_b32_e32 v4, 0xffff, v3
	v_or_b32_e32 v5, 0x10000, v3
	s_delay_alu instid0(VALU_DEP_2) | instskip(NEXT) | instid1(VALU_DEP_1)
	v_cmp_eq_u32_e64 s9, 0, v4
	v_cndmask_b32_e64 v16, v5, v3, s9
; %bb.5869:                             ;   in Loop: Header=BB450_3110 Depth=1
	s_or_b32 exec_lo, exec_lo, s23
	v_lshlrev_b32_e32 v2, 16, v2
                                        ; implicit-def: $vgpr73
	s_delay_alu instid0(VALU_DEP_1) | instskip(NEXT) | instid1(VALU_DEP_1)
	v_mul_f32_e32 v2, v176, v2
	v_and_b32_e32 v3, 0x7f800000, v2
	s_delay_alu instid0(VALU_DEP_1) | instskip(NEXT) | instid1(VALU_DEP_1)
	v_cmp_ne_u32_e64 s9, 0x7f800000, v3
	s_and_saveexec_b32 s23, s9
	s_delay_alu instid0(SALU_CYCLE_1)
	s_xor_b32 s9, exec_lo, s23
; %bb.5870:                             ;   in Loop: Header=BB450_3110 Depth=1
	v_bfe_u32 v3, v2, 16, 1
	s_delay_alu instid0(VALU_DEP_1)
	v_add3_u32 v73, v2, v3, 0x7fff
                                        ; implicit-def: $vgpr2
; %bb.5871:                             ;   in Loop: Header=BB450_3110 Depth=1
	s_and_not1_saveexec_b32 s23, s9
; %bb.5872:                             ;   in Loop: Header=BB450_3110 Depth=1
	v_and_b32_e32 v3, 0xffff, v2
	v_or_b32_e32 v4, 0x10000, v2
	s_delay_alu instid0(VALU_DEP_2) | instskip(NEXT) | instid1(VALU_DEP_1)
	v_cmp_eq_u32_e64 s9, 0, v3
	v_cndmask_b32_e64 v73, v4, v2, s9
; %bb.5873:                             ;   in Loop: Header=BB450_3110 Depth=1
	s_or_b32 exec_lo, exec_lo, s23
	scratch_load_b32 v2, off, s32 offset:900 ; 4-byte Folded Reload
	s_mov_b32 s23, exec_lo
	v_mov_b32_e32 v4, 0
	s_waitcnt vmcnt(0)
	v_add_co_u32 v2, s9, v0, v2
	s_delay_alu instid0(VALU_DEP_1) | instskip(SKIP_3) | instid1(VALU_DEP_1)
	v_add_co_ci_u32_e64 v3, s9, 0, v1, s9
	flat_load_b64 v[2:3], v[2:3]
	s_waitcnt vmcnt(0) lgkmcnt(0)
	v_and_b32_e32 v5, 0xff, v2
	v_cmpx_ne_u16_e32 0, v5
	s_cbranch_execz .LBB450_5881
; %bb.5874:                             ;   in Loop: Header=BB450_3110 Depth=1
	v_bfrev_b32_e32 v4, 1
	s_mov_b32 s24, exec_lo
	v_cmpx_ne_u16_e32 0x80, v5
	s_cbranch_execz .LBB450_5880
; %bb.5875:                             ;   in Loop: Header=BB450_3110 Depth=1
	v_and_b32_e32 v5, 0x7f, v2
	v_mov_b32_e32 v4, 0x7f800001
	s_mov_b32 s25, exec_lo
	s_delay_alu instid0(VALU_DEP_2)
	v_cmpx_ne_u32_e32 0x7f, v5
	s_cbranch_execz .LBB450_5879
; %bb.5876:                             ;   in Loop: Header=BB450_3110 Depth=1
	v_lshrrev_b32_e32 v4, 3, v5
	v_dual_mov_b32 v7, v3 :: v_dual_mov_b32 v6, v2
	s_mov_b32 s26, exec_lo
	v_cmpx_gt_u32_e32 8, v5
; %bb.5877:                             ;   in Loop: Header=BB450_3110 Depth=1
	v_and_b32_e32 v4, 7, v2
	s_delay_alu instid0(VALU_DEP_1) | instskip(NEXT) | instid1(VALU_DEP_1)
	v_clz_i32_u32_e32 v4, v4
	v_min_u32_e32 v4, 32, v4
	s_delay_alu instid0(VALU_DEP_1) | instskip(SKIP_1) | instid1(VALU_DEP_2)
	v_subrev_nc_u32_e32 v5, 28, v4
	v_sub_nc_u32_e32 v4, 29, v4
	v_lshlrev_b64 v[6:7], v5, v[2:3]
; %bb.5878:                             ;   in Loop: Header=BB450_3110 Depth=1
	s_or_b32 exec_lo, exec_lo, s26
	s_delay_alu instid0(VALU_DEP_1) | instskip(SKIP_2) | instid1(VALU_DEP_3)
	v_lshlrev_b32_e32 v5, 20, v6
	v_lshlrev_b32_e32 v6, 24, v2
	v_lshl_add_u32 v4, v4, 23, 0x3c000000
	v_and_b32_e32 v5, 0x700000, v5
	s_delay_alu instid0(VALU_DEP_3) | instskip(NEXT) | instid1(VALU_DEP_1)
	v_and_b32_e32 v6, 0x80000000, v6
	v_or3_b32 v4, v5, v6, v4
.LBB450_5879:                           ;   in Loop: Header=BB450_3110 Depth=1
	s_or_b32 exec_lo, exec_lo, s25
.LBB450_5880:                           ;   in Loop: Header=BB450_3110 Depth=1
	s_delay_alu instid0(SALU_CYCLE_1)
	s_or_b32 exec_lo, exec_lo, s24
.LBB450_5881:                           ;   in Loop: Header=BB450_3110 Depth=1
	s_delay_alu instid0(SALU_CYCLE_1) | instskip(NEXT) | instid1(VALU_DEP_1)
	s_or_b32 exec_lo, exec_lo, s23
	v_mul_f32_e32 v5, v160, v4
	s_delay_alu instid0(VALU_DEP_1) | instskip(NEXT) | instid1(VALU_DEP_1)
	v_and_b32_e32 v4, 0x7f800000, v5
	v_cmp_ne_u32_e64 s9, 0x7f800000, v4
                                        ; implicit-def: $vgpr4
	s_delay_alu instid0(VALU_DEP_1) | instskip(NEXT) | instid1(SALU_CYCLE_1)
	s_and_saveexec_b32 s23, s9
	s_xor_b32 s9, exec_lo, s23
; %bb.5882:                             ;   in Loop: Header=BB450_3110 Depth=1
	v_bfe_u32 v4, v5, 16, 1
	s_delay_alu instid0(VALU_DEP_1)
	v_add3_u32 v4, v5, v4, 0x7fff
                                        ; implicit-def: $vgpr5
; %bb.5883:                             ;   in Loop: Header=BB450_3110 Depth=1
	s_and_not1_saveexec_b32 s23, s9
; %bb.5884:                             ;   in Loop: Header=BB450_3110 Depth=1
	v_and_b32_e32 v4, 0xffff, v5
	v_or_b32_e32 v6, 0x10000, v5
	s_delay_alu instid0(VALU_DEP_2) | instskip(NEXT) | instid1(VALU_DEP_1)
	v_cmp_eq_u32_e64 s9, 0, v4
	v_cndmask_b32_e64 v4, v6, v5, s9
; %bb.5885:                             ;   in Loop: Header=BB450_3110 Depth=1
	s_or_b32 exec_lo, exec_lo, s23
	v_lshrrev_b16 v6, 8, v2
	v_mov_b32_e32 v5, 0
	s_mov_b32 s23, exec_lo
	s_delay_alu instid0(VALU_DEP_2)
	v_cmpx_ne_u16_e32 0, v6
	s_cbranch_execz .LBB450_5893
; %bb.5886:                             ;   in Loop: Header=BB450_3110 Depth=1
	v_bfrev_b32_e32 v5, 1
	s_mov_b32 s24, exec_lo
	v_cmpx_ne_u16_e32 0x80, v6
	s_cbranch_execz .LBB450_5892
; %bb.5887:                             ;   in Loop: Header=BB450_3110 Depth=1
	v_and_b32_e32 v6, 0xffff, v6
	v_mov_b32_e32 v5, 0x7f800001
	s_mov_b32 s25, exec_lo
	s_delay_alu instid0(VALU_DEP_2) | instskip(NEXT) | instid1(VALU_DEP_1)
	v_and_b32_e32 v21, 0x7f, v6
	v_cmpx_ne_u32_e32 0x7f, v21
	s_cbranch_execz .LBB450_5891
; %bb.5888:                             ;   in Loop: Header=BB450_3110 Depth=1
	v_and_b32_e32 v12, 7, v6
	v_lshrrev_b32_e32 v5, 3, v21
	s_mov_b32 s26, exec_lo
	s_delay_alu instid0(VALU_DEP_2)
	v_dual_mov_b32 v6, v12 :: v_dual_mov_b32 v7, v13
	v_cmpx_gt_u32_e32 8, v21
; %bb.5889:                             ;   in Loop: Header=BB450_3110 Depth=1
	v_clz_i32_u32_e32 v5, v12
	s_delay_alu instid0(VALU_DEP_1) | instskip(NEXT) | instid1(VALU_DEP_1)
	v_min_u32_e32 v5, 32, v5
	v_subrev_nc_u32_e32 v6, 28, v5
	v_sub_nc_u32_e32 v5, 29, v5
	s_delay_alu instid0(VALU_DEP_2) | instskip(NEXT) | instid1(VALU_DEP_1)
	v_lshlrev_b64 v[6:7], v6, v[12:13]
	v_and_b32_e32 v6, 7, v6
; %bb.5890:                             ;   in Loop: Header=BB450_3110 Depth=1
	s_or_b32 exec_lo, exec_lo, s26
	v_lshlrev_b32_e32 v7, 16, v2
	s_delay_alu instid0(VALU_DEP_2) | instskip(SKIP_1) | instid1(VALU_DEP_3)
	v_lshlrev_b32_e32 v6, 20, v6
	v_lshl_add_u32 v5, v5, 23, 0x3c000000
	v_and_b32_e32 v7, 0x80000000, v7
	s_delay_alu instid0(VALU_DEP_1)
	v_or3_b32 v5, v6, v7, v5
.LBB450_5891:                           ;   in Loop: Header=BB450_3110 Depth=1
	s_or_b32 exec_lo, exec_lo, s25
.LBB450_5892:                           ;   in Loop: Header=BB450_3110 Depth=1
	s_delay_alu instid0(SALU_CYCLE_1)
	s_or_b32 exec_lo, exec_lo, s24
.LBB450_5893:                           ;   in Loop: Header=BB450_3110 Depth=1
	s_delay_alu instid0(SALU_CYCLE_1) | instskip(NEXT) | instid1(VALU_DEP_1)
	s_or_b32 exec_lo, exec_lo, s23
	v_mul_f32_e32 v6, v160, v5
	s_delay_alu instid0(VALU_DEP_1) | instskip(NEXT) | instid1(VALU_DEP_1)
	v_and_b32_e32 v5, 0x7f800000, v6
	v_cmp_ne_u32_e64 s9, 0x7f800000, v5
                                        ; implicit-def: $vgpr5
	s_delay_alu instid0(VALU_DEP_1) | instskip(NEXT) | instid1(SALU_CYCLE_1)
	s_and_saveexec_b32 s23, s9
	s_xor_b32 s9, exec_lo, s23
; %bb.5894:                             ;   in Loop: Header=BB450_3110 Depth=1
	v_bfe_u32 v5, v6, 16, 1
	s_delay_alu instid0(VALU_DEP_1)
	v_add3_u32 v5, v6, v5, 0x7fff
                                        ; implicit-def: $vgpr6
; %bb.5895:                             ;   in Loop: Header=BB450_3110 Depth=1
	s_and_not1_saveexec_b32 s23, s9
; %bb.5896:                             ;   in Loop: Header=BB450_3110 Depth=1
	v_and_b32_e32 v5, 0xffff, v6
	v_or_b32_e32 v7, 0x10000, v6
	s_delay_alu instid0(VALU_DEP_2) | instskip(NEXT) | instid1(VALU_DEP_1)
	v_cmp_eq_u32_e64 s9, 0, v5
	v_cndmask_b32_e64 v5, v7, v6, s9
; %bb.5897:                             ;   in Loop: Header=BB450_3110 Depth=1
	s_or_b32 exec_lo, exec_lo, s23
	v_lshrrev_b32_e32 v21, 16, v2
	s_mov_b32 s23, exec_lo
	s_delay_alu instid0(VALU_DEP_1) | instskip(NEXT) | instid1(VALU_DEP_1)
	v_dual_mov_b32 v6, 0 :: v_dual_and_b32 v7, 0xff, v21
	v_cmpx_ne_u16_e32 0, v7
	s_cbranch_execz .LBB450_5905
; %bb.5898:                             ;   in Loop: Header=BB450_3110 Depth=1
	v_bfrev_b32_e32 v6, 1
	s_mov_b32 s24, exec_lo
	v_cmpx_ne_u16_e32 0x80, v7
	s_cbranch_execz .LBB450_5904
; %bb.5899:                             ;   in Loop: Header=BB450_3110 Depth=1
	v_bfe_u32 v25, v2, 16, 7
	v_mov_b32_e32 v6, 0x7f800001
	s_mov_b32 s25, exec_lo
	s_delay_alu instid0(VALU_DEP_2)
	v_cmpx_ne_u32_e32 0x7f, v25
	s_cbranch_execz .LBB450_5903
; %bb.5900:                             ;   in Loop: Header=BB450_3110 Depth=1
	v_and_b32_e32 v12, 7, v21
	s_mov_b32 s26, exec_lo
	s_delay_alu instid0(VALU_DEP_1)
	v_dual_mov_b32 v6, v12 :: v_dual_mov_b32 v7, v13
	v_lshrrev_b32_e32 v7, 3, v25
	v_cmpx_gt_u32_e32 8, v25
; %bb.5901:                             ;   in Loop: Header=BB450_3110 Depth=1
	v_clz_i32_u32_e32 v6, v12
	s_delay_alu instid0(VALU_DEP_1) | instskip(NEXT) | instid1(VALU_DEP_1)
	v_min_u32_e32 v25, 32, v6
	v_subrev_nc_u32_e32 v6, 28, v25
	s_delay_alu instid0(VALU_DEP_1) | instskip(SKIP_1) | instid1(VALU_DEP_2)
	v_lshlrev_b64 v[6:7], v6, v[12:13]
	v_sub_nc_u32_e32 v7, 29, v25
	v_and_b32_e32 v6, 7, v6
; %bb.5902:                             ;   in Loop: Header=BB450_3110 Depth=1
	s_or_b32 exec_lo, exec_lo, s26
	v_lshlrev_b32_e32 v12, 24, v21
	s_delay_alu instid0(VALU_DEP_2) | instskip(SKIP_1) | instid1(VALU_DEP_3)
	v_lshlrev_b32_e32 v6, 20, v6
	v_lshl_add_u32 v7, v7, 23, 0x3c000000
	v_and_b32_e32 v12, 0x80000000, v12
	s_delay_alu instid0(VALU_DEP_1)
	v_or3_b32 v6, v6, v12, v7
.LBB450_5903:                           ;   in Loop: Header=BB450_3110 Depth=1
	s_or_b32 exec_lo, exec_lo, s25
.LBB450_5904:                           ;   in Loop: Header=BB450_3110 Depth=1
	s_delay_alu instid0(SALU_CYCLE_1)
	s_or_b32 exec_lo, exec_lo, s24
.LBB450_5905:                           ;   in Loop: Header=BB450_3110 Depth=1
	s_delay_alu instid0(SALU_CYCLE_1) | instskip(NEXT) | instid1(VALU_DEP_1)
	s_or_b32 exec_lo, exec_lo, s23
	v_mul_f32_e32 v6, v160, v6
                                        ; implicit-def: $vgpr21
	s_delay_alu instid0(VALU_DEP_1) | instskip(NEXT) | instid1(VALU_DEP_1)
	v_and_b32_e32 v7, 0x7f800000, v6
	v_cmp_ne_u32_e64 s9, 0x7f800000, v7
	s_delay_alu instid0(VALU_DEP_1) | instskip(NEXT) | instid1(SALU_CYCLE_1)
	s_and_saveexec_b32 s23, s9
	s_xor_b32 s9, exec_lo, s23
; %bb.5906:                             ;   in Loop: Header=BB450_3110 Depth=1
	v_bfe_u32 v7, v6, 16, 1
	s_delay_alu instid0(VALU_DEP_1)
	v_add3_u32 v21, v6, v7, 0x7fff
                                        ; implicit-def: $vgpr6
; %bb.5907:                             ;   in Loop: Header=BB450_3110 Depth=1
	s_and_not1_saveexec_b32 s23, s9
; %bb.5908:                             ;   in Loop: Header=BB450_3110 Depth=1
	v_and_b32_e32 v7, 0xffff, v6
	v_or_b32_e32 v12, 0x10000, v6
	s_delay_alu instid0(VALU_DEP_2) | instskip(NEXT) | instid1(VALU_DEP_1)
	v_cmp_eq_u32_e64 s9, 0, v7
	v_cndmask_b32_e64 v21, v12, v6, s9
; %bb.5909:                             ;   in Loop: Header=BB450_3110 Depth=1
	s_or_b32 exec_lo, exec_lo, s23
	v_mov_b32_e32 v6, 0
	s_mov_b32 s23, exec_lo
	v_cmpx_lt_u32_e32 0xffffff, v2
	s_cbranch_execz .LBB450_5917
; %bb.5910:                             ;   in Loop: Header=BB450_3110 Depth=1
	v_lshrrev_b32_e32 v25, 24, v2
	v_bfrev_b32_e32 v6, 1
	s_mov_b32 s24, exec_lo
	s_delay_alu instid0(VALU_DEP_2)
	v_cmpx_ne_u32_e32 0x80, v25
	s_cbranch_execz .LBB450_5916
; %bb.5911:                             ;   in Loop: Header=BB450_3110 Depth=1
	v_bfe_u32 v28, v2, 24, 7
	v_mov_b32_e32 v6, 0x7f800001
	s_mov_b32 s25, exec_lo
	s_delay_alu instid0(VALU_DEP_2)
	v_cmpx_ne_u32_e32 0x7f, v28
	s_cbranch_execz .LBB450_5915
; %bb.5912:                             ;   in Loop: Header=BB450_3110 Depth=1
	v_and_b32_e32 v12, 7, v25
	s_mov_b32 s26, exec_lo
	s_delay_alu instid0(VALU_DEP_1)
	v_dual_mov_b32 v6, v12 :: v_dual_mov_b32 v7, v13
	v_lshrrev_b32_e32 v7, 3, v28
	v_cmpx_gt_u32_e32 8, v28
; %bb.5913:                             ;   in Loop: Header=BB450_3110 Depth=1
	v_clz_i32_u32_e32 v6, v12
	s_delay_alu instid0(VALU_DEP_1) | instskip(NEXT) | instid1(VALU_DEP_1)
	v_min_u32_e32 v28, 32, v6
	v_subrev_nc_u32_e32 v6, 28, v28
	s_delay_alu instid0(VALU_DEP_1) | instskip(SKIP_1) | instid1(VALU_DEP_2)
	v_lshlrev_b64 v[6:7], v6, v[12:13]
	v_sub_nc_u32_e32 v7, 29, v28
	v_and_b32_e32 v6, 7, v6
; %bb.5914:                             ;   in Loop: Header=BB450_3110 Depth=1
	s_or_b32 exec_lo, exec_lo, s26
	v_lshlrev_b32_e32 v12, 24, v25
	s_delay_alu instid0(VALU_DEP_2) | instskip(SKIP_1) | instid1(VALU_DEP_3)
	v_lshlrev_b32_e32 v6, 20, v6
	v_lshl_add_u32 v7, v7, 23, 0x3c000000
	v_and_b32_e32 v12, 0x80000000, v12
	s_delay_alu instid0(VALU_DEP_1)
	v_or3_b32 v6, v6, v12, v7
.LBB450_5915:                           ;   in Loop: Header=BB450_3110 Depth=1
	s_or_b32 exec_lo, exec_lo, s25
.LBB450_5916:                           ;   in Loop: Header=BB450_3110 Depth=1
	s_delay_alu instid0(SALU_CYCLE_1)
	s_or_b32 exec_lo, exec_lo, s24
.LBB450_5917:                           ;   in Loop: Header=BB450_3110 Depth=1
	s_delay_alu instid0(SALU_CYCLE_1) | instskip(NEXT) | instid1(VALU_DEP_1)
	s_or_b32 exec_lo, exec_lo, s23
	v_mul_f32_e32 v6, v160, v6
                                        ; implicit-def: $vgpr25
	s_delay_alu instid0(VALU_DEP_1) | instskip(NEXT) | instid1(VALU_DEP_1)
	v_and_b32_e32 v7, 0x7f800000, v6
	v_cmp_ne_u32_e64 s9, 0x7f800000, v7
	s_delay_alu instid0(VALU_DEP_1) | instskip(NEXT) | instid1(SALU_CYCLE_1)
	s_and_saveexec_b32 s23, s9
	s_xor_b32 s9, exec_lo, s23
; %bb.5918:                             ;   in Loop: Header=BB450_3110 Depth=1
	v_bfe_u32 v7, v6, 16, 1
	s_delay_alu instid0(VALU_DEP_1)
	v_add3_u32 v25, v6, v7, 0x7fff
                                        ; implicit-def: $vgpr6
; %bb.5919:                             ;   in Loop: Header=BB450_3110 Depth=1
	s_and_not1_saveexec_b32 s23, s9
; %bb.5920:                             ;   in Loop: Header=BB450_3110 Depth=1
	v_and_b32_e32 v7, 0xffff, v6
	v_or_b32_e32 v12, 0x10000, v6
	s_delay_alu instid0(VALU_DEP_2) | instskip(NEXT) | instid1(VALU_DEP_1)
	v_cmp_eq_u32_e64 s9, 0, v7
	v_cndmask_b32_e64 v25, v12, v6, s9
; %bb.5921:                             ;   in Loop: Header=BB450_3110 Depth=1
	s_or_b32 exec_lo, exec_lo, s23
	v_dual_mov_b32 v12, v3 :: v_dual_and_b32 v7, 0xff, v3
	v_mov_b32_e32 v6, 0
	s_mov_b32 s23, exec_lo
	s_delay_alu instid0(VALU_DEP_2)
	v_cmpx_ne_u16_e32 0, v7
	s_cbranch_execz .LBB450_5929
; %bb.5922:                             ;   in Loop: Header=BB450_3110 Depth=1
	v_bfrev_b32_e32 v6, 1
	s_mov_b32 s24, exec_lo
	v_cmpx_ne_u16_e32 0x80, v7
	s_cbranch_execz .LBB450_5928
; %bb.5923:                             ;   in Loop: Header=BB450_3110 Depth=1
	v_and_b32_e32 v28, 0x7f, v3
	v_mov_b32_e32 v6, 0x7f800001
	s_mov_b32 s25, exec_lo
	s_delay_alu instid0(VALU_DEP_2)
	v_cmpx_ne_u32_e32 0x7f, v28
	s_cbranch_execz .LBB450_5927
; %bb.5924:                             ;   in Loop: Header=BB450_3110 Depth=1
	v_dual_mov_b32 v6, v12 :: v_dual_mov_b32 v7, v13
	v_lshrrev_b32_e32 v7, 3, v28
	s_mov_b32 s26, exec_lo
	v_cmpx_gt_u32_e32 8, v28
; %bb.5925:                             ;   in Loop: Header=BB450_3110 Depth=1
	v_and_b32_e32 v6, 7, v3
	s_delay_alu instid0(VALU_DEP_1) | instskip(NEXT) | instid1(VALU_DEP_1)
	v_clz_i32_u32_e32 v6, v6
	v_min_u32_e32 v28, 32, v6
	s_delay_alu instid0(VALU_DEP_1) | instskip(NEXT) | instid1(VALU_DEP_1)
	v_subrev_nc_u32_e32 v6, 28, v28
	v_lshlrev_b64 v[6:7], v6, v[12:13]
	v_sub_nc_u32_e32 v7, 29, v28
; %bb.5926:                             ;   in Loop: Header=BB450_3110 Depth=1
	s_or_b32 exec_lo, exec_lo, s26
	s_delay_alu instid0(VALU_DEP_2) | instskip(SKIP_1) | instid1(VALU_DEP_3)
	v_lshlrev_b32_e32 v6, 20, v6
	v_lshlrev_b32_e32 v28, 24, v12
	v_lshl_add_u32 v7, v7, 23, 0x3c000000
	s_delay_alu instid0(VALU_DEP_3) | instskip(NEXT) | instid1(VALU_DEP_3)
	v_and_b32_e32 v6, 0x700000, v6
	v_and_b32_e32 v28, 0x80000000, v28
	s_delay_alu instid0(VALU_DEP_1)
	v_or3_b32 v6, v6, v28, v7
.LBB450_5927:                           ;   in Loop: Header=BB450_3110 Depth=1
	s_or_b32 exec_lo, exec_lo, s25
.LBB450_5928:                           ;   in Loop: Header=BB450_3110 Depth=1
	s_delay_alu instid0(SALU_CYCLE_1)
	s_or_b32 exec_lo, exec_lo, s24
.LBB450_5929:                           ;   in Loop: Header=BB450_3110 Depth=1
	s_delay_alu instid0(SALU_CYCLE_1) | instskip(NEXT) | instid1(VALU_DEP_1)
	s_or_b32 exec_lo, exec_lo, s23
	v_mul_f32_e32 v6, v160, v6
                                        ; implicit-def: $vgpr28
	s_delay_alu instid0(VALU_DEP_1) | instskip(NEXT) | instid1(VALU_DEP_1)
	v_and_b32_e32 v7, 0x7f800000, v6
	v_cmp_ne_u32_e64 s9, 0x7f800000, v7
	s_delay_alu instid0(VALU_DEP_1) | instskip(NEXT) | instid1(SALU_CYCLE_1)
	s_and_saveexec_b32 s23, s9
	s_xor_b32 s9, exec_lo, s23
; %bb.5930:                             ;   in Loop: Header=BB450_3110 Depth=1
	v_bfe_u32 v7, v6, 16, 1
	s_delay_alu instid0(VALU_DEP_1)
	v_add3_u32 v28, v6, v7, 0x7fff
                                        ; implicit-def: $vgpr6
; %bb.5931:                             ;   in Loop: Header=BB450_3110 Depth=1
	s_and_not1_saveexec_b32 s23, s9
; %bb.5932:                             ;   in Loop: Header=BB450_3110 Depth=1
	v_and_b32_e32 v7, 0xffff, v6
	v_or_b32_e32 v28, 0x10000, v6
	s_delay_alu instid0(VALU_DEP_2) | instskip(NEXT) | instid1(VALU_DEP_1)
	v_cmp_eq_u32_e64 s9, 0, v7
	v_cndmask_b32_e64 v28, v28, v6, s9
; %bb.5933:                             ;   in Loop: Header=BB450_3110 Depth=1
	s_or_b32 exec_lo, exec_lo, s23
	v_lshrrev_b16 v7, 8, v12
	v_mov_b32_e32 v6, 0
	s_mov_b32 s23, exec_lo
	s_delay_alu instid0(VALU_DEP_2)
	v_cmpx_ne_u16_e32 0, v7
	s_cbranch_execz .LBB450_5941
; %bb.5934:                             ;   in Loop: Header=BB450_3110 Depth=1
	v_bfrev_b32_e32 v6, 1
	s_mov_b32 s24, exec_lo
	v_cmpx_ne_u16_e32 0x80, v7
	s_cbranch_execz .LBB450_5940
; %bb.5935:                             ;   in Loop: Header=BB450_3110 Depth=1
	v_and_b32_e32 v7, 0xffff, v7
	v_mov_b32_e32 v6, 0x7f800001
	s_mov_b32 s25, exec_lo
	s_delay_alu instid0(VALU_DEP_2) | instskip(NEXT) | instid1(VALU_DEP_1)
	v_and_b32_e32 v31, 0x7f, v7
	v_cmpx_ne_u32_e32 0x7f, v31
	s_cbranch_execz .LBB450_5939
; %bb.5936:                             ;   in Loop: Header=BB450_3110 Depth=1
	v_dual_mov_b32 v7, v13 :: v_dual_and_b32 v6, 7, v7
	v_lshrrev_b32_e32 v29, 3, v31
	s_mov_b32 s26, exec_lo
	v_cmpx_gt_u32_e32 8, v31
; %bb.5937:                             ;   in Loop: Header=BB450_3110 Depth=1
	s_delay_alu instid0(VALU_DEP_3) | instskip(NEXT) | instid1(VALU_DEP_1)
	v_clz_i32_u32_e32 v29, v6
	v_min_u32_e32 v29, 32, v29
	s_delay_alu instid0(VALU_DEP_1) | instskip(SKIP_1) | instid1(VALU_DEP_2)
	v_subrev_nc_u32_e32 v31, 28, v29
	v_sub_nc_u32_e32 v29, 29, v29
	v_lshlrev_b64 v[6:7], v31, v[6:7]
	s_delay_alu instid0(VALU_DEP_1)
	v_and_b32_e32 v6, 7, v6
; %bb.5938:                             ;   in Loop: Header=BB450_3110 Depth=1
	s_or_b32 exec_lo, exec_lo, s26
	v_lshlrev_b32_e32 v7, 16, v12
	s_delay_alu instid0(VALU_DEP_2) | instskip(SKIP_1) | instid1(VALU_DEP_3)
	v_lshlrev_b32_e32 v6, 20, v6
	v_lshl_add_u32 v12, v29, 23, 0x3c000000
	v_and_b32_e32 v7, 0x80000000, v7
	s_delay_alu instid0(VALU_DEP_1)
	v_or3_b32 v6, v6, v7, v12
.LBB450_5939:                           ;   in Loop: Header=BB450_3110 Depth=1
	s_or_b32 exec_lo, exec_lo, s25
.LBB450_5940:                           ;   in Loop: Header=BB450_3110 Depth=1
	s_delay_alu instid0(SALU_CYCLE_1)
	s_or_b32 exec_lo, exec_lo, s24
.LBB450_5941:                           ;   in Loop: Header=BB450_3110 Depth=1
	s_delay_alu instid0(SALU_CYCLE_1) | instskip(NEXT) | instid1(VALU_DEP_1)
	s_or_b32 exec_lo, exec_lo, s23
	v_mul_f32_e32 v6, v160, v6
                                        ; implicit-def: $vgpr29
	s_delay_alu instid0(VALU_DEP_1) | instskip(NEXT) | instid1(VALU_DEP_1)
	v_and_b32_e32 v7, 0x7f800000, v6
	v_cmp_ne_u32_e64 s9, 0x7f800000, v7
	s_delay_alu instid0(VALU_DEP_1) | instskip(NEXT) | instid1(SALU_CYCLE_1)
	s_and_saveexec_b32 s23, s9
	s_xor_b32 s9, exec_lo, s23
; %bb.5942:                             ;   in Loop: Header=BB450_3110 Depth=1
	v_bfe_u32 v7, v6, 16, 1
	s_delay_alu instid0(VALU_DEP_1)
	v_add3_u32 v29, v6, v7, 0x7fff
                                        ; implicit-def: $vgpr6
; %bb.5943:                             ;   in Loop: Header=BB450_3110 Depth=1
	s_and_not1_saveexec_b32 s23, s9
; %bb.5944:                             ;   in Loop: Header=BB450_3110 Depth=1
	v_and_b32_e32 v7, 0xffff, v6
	v_or_b32_e32 v12, 0x10000, v6
	s_delay_alu instid0(VALU_DEP_2) | instskip(NEXT) | instid1(VALU_DEP_1)
	v_cmp_eq_u32_e64 s9, 0, v7
	v_cndmask_b32_e64 v29, v12, v6, s9
; %bb.5945:                             ;   in Loop: Header=BB450_3110 Depth=1
	s_or_b32 exec_lo, exec_lo, s23
	v_lshrrev_b32_e32 v31, 16, v3
	s_mov_b32 s23, exec_lo
	s_delay_alu instid0(VALU_DEP_1) | instskip(NEXT) | instid1(VALU_DEP_1)
	v_dual_mov_b32 v6, 0 :: v_dual_and_b32 v7, 0xff, v31
	v_cmpx_ne_u16_e32 0, v7
	s_cbranch_execz .LBB450_5953
; %bb.5946:                             ;   in Loop: Header=BB450_3110 Depth=1
	v_bfrev_b32_e32 v6, 1
	s_mov_b32 s24, exec_lo
	v_cmpx_ne_u16_e32 0x80, v7
	s_cbranch_execz .LBB450_5952
; %bb.5947:                             ;   in Loop: Header=BB450_3110 Depth=1
	v_bfe_u32 v32, v3, 16, 7
	v_mov_b32_e32 v6, 0x7f800001
	s_mov_b32 s25, exec_lo
	s_delay_alu instid0(VALU_DEP_2)
	v_cmpx_ne_u32_e32 0x7f, v32
	s_cbranch_execz .LBB450_5951
; %bb.5948:                             ;   in Loop: Header=BB450_3110 Depth=1
	v_and_b32_e32 v12, 7, v31
	s_mov_b32 s26, exec_lo
	s_delay_alu instid0(VALU_DEP_1)
	v_dual_mov_b32 v6, v12 :: v_dual_mov_b32 v7, v13
	v_lshrrev_b32_e32 v7, 3, v32
	v_cmpx_gt_u32_e32 8, v32
; %bb.5949:                             ;   in Loop: Header=BB450_3110 Depth=1
	v_clz_i32_u32_e32 v6, v12
	s_delay_alu instid0(VALU_DEP_1) | instskip(NEXT) | instid1(VALU_DEP_1)
	v_min_u32_e32 v32, 32, v6
	v_subrev_nc_u32_e32 v6, 28, v32
	s_delay_alu instid0(VALU_DEP_1) | instskip(SKIP_1) | instid1(VALU_DEP_2)
	v_lshlrev_b64 v[6:7], v6, v[12:13]
	v_sub_nc_u32_e32 v7, 29, v32
	v_and_b32_e32 v6, 7, v6
; %bb.5950:                             ;   in Loop: Header=BB450_3110 Depth=1
	s_or_b32 exec_lo, exec_lo, s26
	v_lshlrev_b32_e32 v12, 24, v31
	s_delay_alu instid0(VALU_DEP_2) | instskip(SKIP_1) | instid1(VALU_DEP_3)
	v_lshlrev_b32_e32 v6, 20, v6
	v_lshl_add_u32 v7, v7, 23, 0x3c000000
	v_and_b32_e32 v12, 0x80000000, v12
	s_delay_alu instid0(VALU_DEP_1)
	v_or3_b32 v6, v6, v12, v7
.LBB450_5951:                           ;   in Loop: Header=BB450_3110 Depth=1
	s_or_b32 exec_lo, exec_lo, s25
.LBB450_5952:                           ;   in Loop: Header=BB450_3110 Depth=1
	s_delay_alu instid0(SALU_CYCLE_1)
	s_or_b32 exec_lo, exec_lo, s24
.LBB450_5953:                           ;   in Loop: Header=BB450_3110 Depth=1
	s_delay_alu instid0(SALU_CYCLE_1) | instskip(NEXT) | instid1(VALU_DEP_1)
	s_or_b32 exec_lo, exec_lo, s23
	v_mul_f32_e32 v6, v160, v6
                                        ; implicit-def: $vgpr31
	s_delay_alu instid0(VALU_DEP_1) | instskip(NEXT) | instid1(VALU_DEP_1)
	v_and_b32_e32 v7, 0x7f800000, v6
	v_cmp_ne_u32_e64 s9, 0x7f800000, v7
	s_delay_alu instid0(VALU_DEP_1) | instskip(NEXT) | instid1(SALU_CYCLE_1)
	s_and_saveexec_b32 s23, s9
	s_xor_b32 s9, exec_lo, s23
; %bb.5954:                             ;   in Loop: Header=BB450_3110 Depth=1
	v_bfe_u32 v7, v6, 16, 1
	s_delay_alu instid0(VALU_DEP_1)
	v_add3_u32 v31, v6, v7, 0x7fff
                                        ; implicit-def: $vgpr6
; %bb.5955:                             ;   in Loop: Header=BB450_3110 Depth=1
	s_and_not1_saveexec_b32 s23, s9
; %bb.5956:                             ;   in Loop: Header=BB450_3110 Depth=1
	v_and_b32_e32 v7, 0xffff, v6
	v_or_b32_e32 v12, 0x10000, v6
	s_delay_alu instid0(VALU_DEP_2) | instskip(NEXT) | instid1(VALU_DEP_1)
	v_cmp_eq_u32_e64 s9, 0, v7
	v_cndmask_b32_e64 v31, v12, v6, s9
; %bb.5957:                             ;   in Loop: Header=BB450_3110 Depth=1
	s_or_b32 exec_lo, exec_lo, s23
	v_cmp_lt_u64_e64 s9, s[18:19], v[2:3]
	v_mov_b32_e32 v2, 0
	s_delay_alu instid0(VALU_DEP_2)
	s_and_saveexec_b32 s23, s9
	s_cbranch_execz .LBB450_5965
; %bb.5958:                             ;   in Loop: Header=BB450_3110 Depth=1
	v_lshrrev_b32_e32 v6, 24, v3
	v_bfrev_b32_e32 v2, 1
	s_mov_b32 s24, exec_lo
	s_delay_alu instid0(VALU_DEP_2)
	v_cmpx_ne_u32_e32 0x80, v6
	s_cbranch_execz .LBB450_5964
; %bb.5959:                             ;   in Loop: Header=BB450_3110 Depth=1
	v_bfe_u32 v7, v3, 24, 7
	v_mov_b32_e32 v2, 0x7f800001
	s_mov_b32 s25, exec_lo
	s_delay_alu instid0(VALU_DEP_2)
	v_cmpx_ne_u32_e32 0x7f, v7
	s_cbranch_execz .LBB450_5963
; %bb.5960:                             ;   in Loop: Header=BB450_3110 Depth=1
	v_and_b32_e32 v12, 7, v6
	s_mov_b32 s26, exec_lo
	s_delay_alu instid0(VALU_DEP_1)
	v_dual_mov_b32 v2, v12 :: v_dual_mov_b32 v3, v13
	v_lshrrev_b32_e32 v3, 3, v7
	v_cmpx_gt_u32_e32 8, v7
; %bb.5961:                             ;   in Loop: Header=BB450_3110 Depth=1
	v_clz_i32_u32_e32 v2, v12
	s_delay_alu instid0(VALU_DEP_1) | instskip(NEXT) | instid1(VALU_DEP_1)
	v_min_u32_e32 v7, 32, v2
	v_subrev_nc_u32_e32 v2, 28, v7
	s_delay_alu instid0(VALU_DEP_1) | instskip(SKIP_1) | instid1(VALU_DEP_2)
	v_lshlrev_b64 v[2:3], v2, v[12:13]
	v_sub_nc_u32_e32 v3, 29, v7
	v_and_b32_e32 v2, 7, v2
; %bb.5962:                             ;   in Loop: Header=BB450_3110 Depth=1
	s_or_b32 exec_lo, exec_lo, s26
	v_lshlrev_b32_e32 v6, 24, v6
	s_delay_alu instid0(VALU_DEP_2) | instskip(SKIP_1) | instid1(VALU_DEP_3)
	v_lshlrev_b32_e32 v2, 20, v2
	v_lshl_add_u32 v3, v3, 23, 0x3c000000
	v_and_b32_e32 v6, 0x80000000, v6
	s_delay_alu instid0(VALU_DEP_1)
	v_or3_b32 v2, v2, v6, v3
.LBB450_5963:                           ;   in Loop: Header=BB450_3110 Depth=1
	s_or_b32 exec_lo, exec_lo, s25
.LBB450_5964:                           ;   in Loop: Header=BB450_3110 Depth=1
	s_delay_alu instid0(SALU_CYCLE_1)
	s_or_b32 exec_lo, exec_lo, s24
.LBB450_5965:                           ;   in Loop: Header=BB450_3110 Depth=1
	s_delay_alu instid0(SALU_CYCLE_1) | instskip(NEXT) | instid1(VALU_DEP_1)
	s_or_b32 exec_lo, exec_lo, s23
	v_mul_f32_e32 v3, v160, v2
	s_delay_alu instid0(VALU_DEP_1) | instskip(NEXT) | instid1(VALU_DEP_1)
	v_and_b32_e32 v2, 0x7f800000, v3
	v_cmp_ne_u32_e64 s9, 0x7f800000, v2
                                        ; implicit-def: $vgpr2
	s_delay_alu instid0(VALU_DEP_1) | instskip(NEXT) | instid1(SALU_CYCLE_1)
	s_and_saveexec_b32 s23, s9
	s_xor_b32 s9, exec_lo, s23
; %bb.5966:                             ;   in Loop: Header=BB450_3110 Depth=1
	v_bfe_u32 v2, v3, 16, 1
	s_delay_alu instid0(VALU_DEP_1)
	v_add3_u32 v2, v3, v2, 0x7fff
                                        ; implicit-def: $vgpr3
; %bb.5967:                             ;   in Loop: Header=BB450_3110 Depth=1
	s_and_not1_saveexec_b32 s23, s9
; %bb.5968:                             ;   in Loop: Header=BB450_3110 Depth=1
	v_and_b32_e32 v2, 0xffff, v3
	v_or_b32_e32 v6, 0x10000, v3
	s_delay_alu instid0(VALU_DEP_2) | instskip(NEXT) | instid1(VALU_DEP_1)
	v_cmp_eq_u32_e64 s9, 0, v2
	v_cndmask_b32_e64 v2, v6, v3, s9
; %bb.5969:                             ;   in Loop: Header=BB450_3110 Depth=1
	s_or_b32 exec_lo, exec_lo, s23
	v_lshrrev_b32_e32 v6, 16, v29
	v_lshrrev_b32_e32 v7, 16, v28
	;; [unrolled: 1-line block ×8, first 2 shown]
	s_and_saveexec_b32 s9, s1
; %bb.5970:                             ;   in Loop: Header=BB450_3110 Depth=1
	s_delay_alu instid0(VALU_DEP_3)
	v_cndmask_b32_e32 v4, 0, v4, vcc_lo
	v_cndmask_b32_e64 v5, 0, v5, s2
	v_cndmask_b32_e64 v21, 0, v21, s3
	;; [unrolled: 1-line block ×7, first 2 shown]
; %bb.5971:                             ;   in Loop: Header=BB450_3110 Depth=1
	s_or_b32 exec_lo, exec_lo, s9
	v_lshlrev_b32_e32 v4, 16, v4
                                        ; implicit-def: $vgpr74
	s_delay_alu instid0(VALU_DEP_1) | instskip(NEXT) | instid1(VALU_DEP_1)
	v_mul_f32_e32 v4, v161, v4
	v_and_b32_e32 v25, 0x7f800000, v4
	s_delay_alu instid0(VALU_DEP_1) | instskip(NEXT) | instid1(VALU_DEP_1)
	v_cmp_ne_u32_e64 s9, 0x7f800000, v25
	s_and_saveexec_b32 s23, s9
	s_delay_alu instid0(SALU_CYCLE_1)
	s_xor_b32 s9, exec_lo, s23
; %bb.5972:                             ;   in Loop: Header=BB450_3110 Depth=1
	v_bfe_u32 v25, v4, 16, 1
	s_delay_alu instid0(VALU_DEP_1)
	v_add3_u32 v74, v4, v25, 0x7fff
                                        ; implicit-def: $vgpr4
; %bb.5973:                             ;   in Loop: Header=BB450_3110 Depth=1
	s_and_not1_saveexec_b32 s23, s9
; %bb.5974:                             ;   in Loop: Header=BB450_3110 Depth=1
	v_and_b32_e32 v25, 0xffff, v4
	v_or_b32_e32 v28, 0x10000, v4
	s_delay_alu instid0(VALU_DEP_2) | instskip(NEXT) | instid1(VALU_DEP_1)
	v_cmp_eq_u32_e64 s9, 0, v25
	v_cndmask_b32_e64 v74, v28, v4, s9
; %bb.5975:                             ;   in Loop: Header=BB450_3110 Depth=1
	s_or_b32 exec_lo, exec_lo, s23
	v_lshlrev_b32_e32 v4, 16, v5
                                        ; implicit-def: $vgpr75
	s_delay_alu instid0(VALU_DEP_1) | instskip(NEXT) | instid1(VALU_DEP_1)
	v_mul_f32_e32 v4, v162, v4
	v_and_b32_e32 v5, 0x7f800000, v4
	s_delay_alu instid0(VALU_DEP_1) | instskip(NEXT) | instid1(VALU_DEP_1)
	v_cmp_ne_u32_e64 s9, 0x7f800000, v5
	s_and_saveexec_b32 s23, s9
	s_delay_alu instid0(SALU_CYCLE_1)
	s_xor_b32 s9, exec_lo, s23
; %bb.5976:                             ;   in Loop: Header=BB450_3110 Depth=1
	v_bfe_u32 v5, v4, 16, 1
	s_delay_alu instid0(VALU_DEP_1)
	v_add3_u32 v75, v4, v5, 0x7fff
                                        ; implicit-def: $vgpr4
; %bb.5977:                             ;   in Loop: Header=BB450_3110 Depth=1
	s_and_not1_saveexec_b32 s23, s9
; %bb.5978:                             ;   in Loop: Header=BB450_3110 Depth=1
	v_and_b32_e32 v5, 0xffff, v4
	v_or_b32_e32 v25, 0x10000, v4
	s_delay_alu instid0(VALU_DEP_2) | instskip(NEXT) | instid1(VALU_DEP_1)
	v_cmp_eq_u32_e64 s9, 0, v5
	v_cndmask_b32_e64 v75, v25, v4, s9
; %bb.5979:                             ;   in Loop: Header=BB450_3110 Depth=1
	s_or_b32 exec_lo, exec_lo, s23
	v_lshlrev_b32_e32 v4, 16, v21
                                        ; implicit-def: $vgpr76
	s_delay_alu instid0(VALU_DEP_1) | instskip(NEXT) | instid1(VALU_DEP_1)
	v_mul_f32_e32 v4, v163, v4
	v_and_b32_e32 v5, 0x7f800000, v4
	s_delay_alu instid0(VALU_DEP_1) | instskip(NEXT) | instid1(VALU_DEP_1)
	v_cmp_ne_u32_e64 s9, 0x7f800000, v5
	s_and_saveexec_b32 s23, s9
	s_delay_alu instid0(SALU_CYCLE_1)
	s_xor_b32 s9, exec_lo, s23
; %bb.5980:                             ;   in Loop: Header=BB450_3110 Depth=1
	v_bfe_u32 v5, v4, 16, 1
	s_delay_alu instid0(VALU_DEP_1)
	v_add3_u32 v76, v4, v5, 0x7fff
                                        ; implicit-def: $vgpr4
; %bb.5981:                             ;   in Loop: Header=BB450_3110 Depth=1
	s_and_not1_saveexec_b32 s23, s9
; %bb.5982:                             ;   in Loop: Header=BB450_3110 Depth=1
	v_and_b32_e32 v5, 0xffff, v4
	v_or_b32_e32 v21, 0x10000, v4
	s_delay_alu instid0(VALU_DEP_2) | instskip(NEXT) | instid1(VALU_DEP_1)
	v_cmp_eq_u32_e64 s9, 0, v5
	v_cndmask_b32_e64 v76, v21, v4, s9
; %bb.5983:                             ;   in Loop: Header=BB450_3110 Depth=1
	s_or_b32 exec_lo, exec_lo, s23
	v_lshlrev_b32_e32 v4, 16, v12
                                        ; implicit-def: $vgpr77
	s_delay_alu instid0(VALU_DEP_1) | instskip(NEXT) | instid1(VALU_DEP_1)
	v_mul_f32_e32 v4, v164, v4
	v_and_b32_e32 v5, 0x7f800000, v4
	s_delay_alu instid0(VALU_DEP_1) | instskip(NEXT) | instid1(VALU_DEP_1)
	v_cmp_ne_u32_e64 s9, 0x7f800000, v5
	s_and_saveexec_b32 s23, s9
	s_delay_alu instid0(SALU_CYCLE_1)
	s_xor_b32 s9, exec_lo, s23
; %bb.5984:                             ;   in Loop: Header=BB450_3110 Depth=1
	v_bfe_u32 v5, v4, 16, 1
	s_delay_alu instid0(VALU_DEP_1)
	v_add3_u32 v77, v4, v5, 0x7fff
                                        ; implicit-def: $vgpr4
; %bb.5985:                             ;   in Loop: Header=BB450_3110 Depth=1
	s_and_not1_saveexec_b32 s23, s9
; %bb.5986:                             ;   in Loop: Header=BB450_3110 Depth=1
	v_and_b32_e32 v5, 0xffff, v4
	v_or_b32_e32 v12, 0x10000, v4
	s_delay_alu instid0(VALU_DEP_2) | instskip(NEXT) | instid1(VALU_DEP_1)
	v_cmp_eq_u32_e64 s9, 0, v5
	v_cndmask_b32_e64 v77, v12, v4, s9
; %bb.5987:                             ;   in Loop: Header=BB450_3110 Depth=1
	s_or_b32 exec_lo, exec_lo, s23
	v_lshlrev_b32_e32 v4, 16, v7
                                        ; implicit-def: $vgpr78
	s_delay_alu instid0(VALU_DEP_1) | instskip(NEXT) | instid1(VALU_DEP_1)
	v_mul_f32_e32 v4, v165, v4
	v_and_b32_e32 v5, 0x7f800000, v4
	s_delay_alu instid0(VALU_DEP_1) | instskip(NEXT) | instid1(VALU_DEP_1)
	v_cmp_ne_u32_e64 s9, 0x7f800000, v5
	s_and_saveexec_b32 s23, s9
	s_delay_alu instid0(SALU_CYCLE_1)
	s_xor_b32 s9, exec_lo, s23
; %bb.5988:                             ;   in Loop: Header=BB450_3110 Depth=1
	v_bfe_u32 v5, v4, 16, 1
	s_delay_alu instid0(VALU_DEP_1)
	v_add3_u32 v78, v4, v5, 0x7fff
                                        ; implicit-def: $vgpr4
; %bb.5989:                             ;   in Loop: Header=BB450_3110 Depth=1
	s_and_not1_saveexec_b32 s23, s9
; %bb.5990:                             ;   in Loop: Header=BB450_3110 Depth=1
	v_and_b32_e32 v5, 0xffff, v4
	v_or_b32_e32 v7, 0x10000, v4
	s_delay_alu instid0(VALU_DEP_2) | instskip(NEXT) | instid1(VALU_DEP_1)
	v_cmp_eq_u32_e64 s9, 0, v5
	v_cndmask_b32_e64 v78, v7, v4, s9
; %bb.5991:                             ;   in Loop: Header=BB450_3110 Depth=1
	s_or_b32 exec_lo, exec_lo, s23
	v_lshlrev_b32_e32 v4, 16, v6
                                        ; implicit-def: $vgpr79
	s_delay_alu instid0(VALU_DEP_1) | instskip(NEXT) | instid1(VALU_DEP_1)
	v_mul_f32_e32 v4, v166, v4
	v_and_b32_e32 v5, 0x7f800000, v4
	s_delay_alu instid0(VALU_DEP_1) | instskip(NEXT) | instid1(VALU_DEP_1)
	v_cmp_ne_u32_e64 s9, 0x7f800000, v5
	s_and_saveexec_b32 s23, s9
	s_delay_alu instid0(SALU_CYCLE_1)
	s_xor_b32 s9, exec_lo, s23
; %bb.5992:                             ;   in Loop: Header=BB450_3110 Depth=1
	v_bfe_u32 v5, v4, 16, 1
	s_delay_alu instid0(VALU_DEP_1)
	v_add3_u32 v79, v4, v5, 0x7fff
                                        ; implicit-def: $vgpr4
; %bb.5993:                             ;   in Loop: Header=BB450_3110 Depth=1
	s_and_not1_saveexec_b32 s23, s9
; %bb.5994:                             ;   in Loop: Header=BB450_3110 Depth=1
	v_and_b32_e32 v5, 0xffff, v4
	v_or_b32_e32 v6, 0x10000, v4
	s_delay_alu instid0(VALU_DEP_2) | instskip(NEXT) | instid1(VALU_DEP_1)
	v_cmp_eq_u32_e64 s9, 0, v5
	v_cndmask_b32_e64 v79, v6, v4, s9
; %bb.5995:                             ;   in Loop: Header=BB450_3110 Depth=1
	s_or_b32 exec_lo, exec_lo, s23
	v_lshlrev_b32_e32 v3, 16, v3
                                        ; implicit-def: $vgpr88
	s_delay_alu instid0(VALU_DEP_1) | instskip(NEXT) | instid1(VALU_DEP_1)
	v_mul_f32_e32 v3, v167, v3
	v_and_b32_e32 v4, 0x7f800000, v3
	s_delay_alu instid0(VALU_DEP_1) | instskip(NEXT) | instid1(VALU_DEP_1)
	v_cmp_ne_u32_e64 s9, 0x7f800000, v4
	s_and_saveexec_b32 s23, s9
	s_delay_alu instid0(SALU_CYCLE_1)
	s_xor_b32 s9, exec_lo, s23
; %bb.5996:                             ;   in Loop: Header=BB450_3110 Depth=1
	v_bfe_u32 v4, v3, 16, 1
	s_delay_alu instid0(VALU_DEP_1)
	v_add3_u32 v88, v3, v4, 0x7fff
                                        ; implicit-def: $vgpr3
; %bb.5997:                             ;   in Loop: Header=BB450_3110 Depth=1
	s_and_not1_saveexec_b32 s23, s9
; %bb.5998:                             ;   in Loop: Header=BB450_3110 Depth=1
	v_and_b32_e32 v4, 0xffff, v3
	v_or_b32_e32 v5, 0x10000, v3
	s_delay_alu instid0(VALU_DEP_2) | instskip(NEXT) | instid1(VALU_DEP_1)
	v_cmp_eq_u32_e64 s9, 0, v4
	v_cndmask_b32_e64 v88, v5, v3, s9
; %bb.5999:                             ;   in Loop: Header=BB450_3110 Depth=1
	s_or_b32 exec_lo, exec_lo, s23
	v_lshlrev_b32_e32 v2, 16, v2
                                        ; implicit-def: $vgpr25
	s_delay_alu instid0(VALU_DEP_1) | instskip(NEXT) | instid1(VALU_DEP_1)
	v_mul_f32_e32 v2, v176, v2
	v_and_b32_e32 v3, 0x7f800000, v2
	s_delay_alu instid0(VALU_DEP_1) | instskip(NEXT) | instid1(VALU_DEP_1)
	v_cmp_ne_u32_e64 s9, 0x7f800000, v3
	s_and_saveexec_b32 s23, s9
	s_delay_alu instid0(SALU_CYCLE_1)
	s_xor_b32 s9, exec_lo, s23
; %bb.6000:                             ;   in Loop: Header=BB450_3110 Depth=1
	v_bfe_u32 v3, v2, 16, 1
	s_delay_alu instid0(VALU_DEP_1)
	v_add3_u32 v25, v2, v3, 0x7fff
                                        ; implicit-def: $vgpr2
; %bb.6001:                             ;   in Loop: Header=BB450_3110 Depth=1
	s_and_not1_saveexec_b32 s23, s9
; %bb.6002:                             ;   in Loop: Header=BB450_3110 Depth=1
	v_and_b32_e32 v3, 0xffff, v2
	v_or_b32_e32 v4, 0x10000, v2
	s_delay_alu instid0(VALU_DEP_2) | instskip(NEXT) | instid1(VALU_DEP_1)
	v_cmp_eq_u32_e64 s9, 0, v3
	v_cndmask_b32_e64 v25, v4, v2, s9
; %bb.6003:                             ;   in Loop: Header=BB450_3110 Depth=1
	s_or_b32 exec_lo, exec_lo, s23
	scratch_load_b32 v2, off, s32 offset:904 ; 4-byte Folded Reload
	s_mov_b32 s23, exec_lo
	v_mov_b32_e32 v4, 0
	s_waitcnt vmcnt(0)
	v_add_co_u32 v2, s9, v0, v2
	s_delay_alu instid0(VALU_DEP_1) | instskip(SKIP_3) | instid1(VALU_DEP_1)
	v_add_co_ci_u32_e64 v3, s9, 0, v1, s9
	flat_load_b64 v[2:3], v[2:3]
	s_waitcnt vmcnt(0) lgkmcnt(0)
	v_and_b32_e32 v5, 0xff, v2
	v_cmpx_ne_u16_e32 0, v5
	s_cbranch_execz .LBB450_6011
; %bb.6004:                             ;   in Loop: Header=BB450_3110 Depth=1
	v_bfrev_b32_e32 v4, 1
	s_mov_b32 s24, exec_lo
	v_cmpx_ne_u16_e32 0x80, v5
	s_cbranch_execz .LBB450_6010
; %bb.6005:                             ;   in Loop: Header=BB450_3110 Depth=1
	v_and_b32_e32 v5, 0x7f, v2
	v_mov_b32_e32 v4, 0x7f800001
	s_mov_b32 s25, exec_lo
	s_delay_alu instid0(VALU_DEP_2)
	v_cmpx_ne_u32_e32 0x7f, v5
	s_cbranch_execz .LBB450_6009
; %bb.6006:                             ;   in Loop: Header=BB450_3110 Depth=1
	v_lshrrev_b32_e32 v4, 3, v5
	v_dual_mov_b32 v7, v3 :: v_dual_mov_b32 v6, v2
	s_mov_b32 s26, exec_lo
	v_cmpx_gt_u32_e32 8, v5
; %bb.6007:                             ;   in Loop: Header=BB450_3110 Depth=1
	v_and_b32_e32 v4, 7, v2
	s_delay_alu instid0(VALU_DEP_1) | instskip(NEXT) | instid1(VALU_DEP_1)
	v_clz_i32_u32_e32 v4, v4
	v_min_u32_e32 v4, 32, v4
	s_delay_alu instid0(VALU_DEP_1) | instskip(SKIP_1) | instid1(VALU_DEP_2)
	v_subrev_nc_u32_e32 v5, 28, v4
	v_sub_nc_u32_e32 v4, 29, v4
	v_lshlrev_b64 v[6:7], v5, v[2:3]
; %bb.6008:                             ;   in Loop: Header=BB450_3110 Depth=1
	s_or_b32 exec_lo, exec_lo, s26
	s_delay_alu instid0(VALU_DEP_1) | instskip(SKIP_2) | instid1(VALU_DEP_3)
	v_lshlrev_b32_e32 v5, 20, v6
	v_lshlrev_b32_e32 v6, 24, v2
	v_lshl_add_u32 v4, v4, 23, 0x3c000000
	v_and_b32_e32 v5, 0x700000, v5
	s_delay_alu instid0(VALU_DEP_3) | instskip(NEXT) | instid1(VALU_DEP_1)
	v_and_b32_e32 v6, 0x80000000, v6
	v_or3_b32 v4, v5, v6, v4
.LBB450_6009:                           ;   in Loop: Header=BB450_3110 Depth=1
	s_or_b32 exec_lo, exec_lo, s25
.LBB450_6010:                           ;   in Loop: Header=BB450_3110 Depth=1
	s_delay_alu instid0(SALU_CYCLE_1)
	s_or_b32 exec_lo, exec_lo, s24
.LBB450_6011:                           ;   in Loop: Header=BB450_3110 Depth=1
	s_delay_alu instid0(SALU_CYCLE_1) | instskip(NEXT) | instid1(VALU_DEP_1)
	s_or_b32 exec_lo, exec_lo, s23
	v_mul_f32_e32 v5, v160, v4
	s_delay_alu instid0(VALU_DEP_1) | instskip(NEXT) | instid1(VALU_DEP_1)
	v_and_b32_e32 v4, 0x7f800000, v5
	v_cmp_ne_u32_e64 s9, 0x7f800000, v4
                                        ; implicit-def: $vgpr4
	s_delay_alu instid0(VALU_DEP_1) | instskip(NEXT) | instid1(SALU_CYCLE_1)
	s_and_saveexec_b32 s23, s9
	s_xor_b32 s9, exec_lo, s23
; %bb.6012:                             ;   in Loop: Header=BB450_3110 Depth=1
	v_bfe_u32 v4, v5, 16, 1
	s_delay_alu instid0(VALU_DEP_1)
	v_add3_u32 v4, v5, v4, 0x7fff
                                        ; implicit-def: $vgpr5
; %bb.6013:                             ;   in Loop: Header=BB450_3110 Depth=1
	s_and_not1_saveexec_b32 s23, s9
; %bb.6014:                             ;   in Loop: Header=BB450_3110 Depth=1
	v_and_b32_e32 v4, 0xffff, v5
	v_or_b32_e32 v6, 0x10000, v5
	s_delay_alu instid0(VALU_DEP_2) | instskip(NEXT) | instid1(VALU_DEP_1)
	v_cmp_eq_u32_e64 s9, 0, v4
	v_cndmask_b32_e64 v4, v6, v5, s9
; %bb.6015:                             ;   in Loop: Header=BB450_3110 Depth=1
	s_or_b32 exec_lo, exec_lo, s23
	v_lshrrev_b16 v6, 8, v2
	v_mov_b32_e32 v5, 0
	s_mov_b32 s23, exec_lo
	s_delay_alu instid0(VALU_DEP_2)
	v_cmpx_ne_u16_e32 0, v6
	s_cbranch_execz .LBB450_6023
; %bb.6016:                             ;   in Loop: Header=BB450_3110 Depth=1
	v_bfrev_b32_e32 v5, 1
	s_mov_b32 s24, exec_lo
	v_cmpx_ne_u16_e32 0x80, v6
	s_cbranch_execz .LBB450_6022
; %bb.6017:                             ;   in Loop: Header=BB450_3110 Depth=1
	v_and_b32_e32 v6, 0xffff, v6
	v_mov_b32_e32 v5, 0x7f800001
	s_mov_b32 s25, exec_lo
	s_delay_alu instid0(VALU_DEP_2) | instskip(NEXT) | instid1(VALU_DEP_1)
	v_and_b32_e32 v21, 0x7f, v6
	v_cmpx_ne_u32_e32 0x7f, v21
	s_cbranch_execz .LBB450_6021
; %bb.6018:                             ;   in Loop: Header=BB450_3110 Depth=1
	v_and_b32_e32 v12, 7, v6
	v_lshrrev_b32_e32 v5, 3, v21
	s_mov_b32 s26, exec_lo
	s_delay_alu instid0(VALU_DEP_2)
	v_dual_mov_b32 v6, v12 :: v_dual_mov_b32 v7, v13
	v_cmpx_gt_u32_e32 8, v21
; %bb.6019:                             ;   in Loop: Header=BB450_3110 Depth=1
	v_clz_i32_u32_e32 v5, v12
	s_delay_alu instid0(VALU_DEP_1) | instskip(NEXT) | instid1(VALU_DEP_1)
	v_min_u32_e32 v5, 32, v5
	v_subrev_nc_u32_e32 v6, 28, v5
	v_sub_nc_u32_e32 v5, 29, v5
	s_delay_alu instid0(VALU_DEP_2) | instskip(NEXT) | instid1(VALU_DEP_1)
	v_lshlrev_b64 v[6:7], v6, v[12:13]
	v_and_b32_e32 v6, 7, v6
; %bb.6020:                             ;   in Loop: Header=BB450_3110 Depth=1
	s_or_b32 exec_lo, exec_lo, s26
	v_lshlrev_b32_e32 v7, 16, v2
	s_delay_alu instid0(VALU_DEP_2) | instskip(SKIP_1) | instid1(VALU_DEP_3)
	v_lshlrev_b32_e32 v6, 20, v6
	v_lshl_add_u32 v5, v5, 23, 0x3c000000
	v_and_b32_e32 v7, 0x80000000, v7
	s_delay_alu instid0(VALU_DEP_1)
	v_or3_b32 v5, v6, v7, v5
.LBB450_6021:                           ;   in Loop: Header=BB450_3110 Depth=1
	s_or_b32 exec_lo, exec_lo, s25
.LBB450_6022:                           ;   in Loop: Header=BB450_3110 Depth=1
	s_delay_alu instid0(SALU_CYCLE_1)
	s_or_b32 exec_lo, exec_lo, s24
.LBB450_6023:                           ;   in Loop: Header=BB450_3110 Depth=1
	s_delay_alu instid0(SALU_CYCLE_1) | instskip(NEXT) | instid1(VALU_DEP_1)
	s_or_b32 exec_lo, exec_lo, s23
	v_mul_f32_e32 v6, v160, v5
	s_delay_alu instid0(VALU_DEP_1) | instskip(NEXT) | instid1(VALU_DEP_1)
	v_and_b32_e32 v5, 0x7f800000, v6
	v_cmp_ne_u32_e64 s9, 0x7f800000, v5
                                        ; implicit-def: $vgpr5
	s_delay_alu instid0(VALU_DEP_1) | instskip(NEXT) | instid1(SALU_CYCLE_1)
	s_and_saveexec_b32 s23, s9
	s_xor_b32 s9, exec_lo, s23
; %bb.6024:                             ;   in Loop: Header=BB450_3110 Depth=1
	v_bfe_u32 v5, v6, 16, 1
	s_delay_alu instid0(VALU_DEP_1)
	v_add3_u32 v5, v6, v5, 0x7fff
                                        ; implicit-def: $vgpr6
; %bb.6025:                             ;   in Loop: Header=BB450_3110 Depth=1
	s_and_not1_saveexec_b32 s23, s9
; %bb.6026:                             ;   in Loop: Header=BB450_3110 Depth=1
	v_and_b32_e32 v5, 0xffff, v6
	v_or_b32_e32 v7, 0x10000, v6
	s_delay_alu instid0(VALU_DEP_2) | instskip(NEXT) | instid1(VALU_DEP_1)
	v_cmp_eq_u32_e64 s9, 0, v5
	v_cndmask_b32_e64 v5, v7, v6, s9
; %bb.6027:                             ;   in Loop: Header=BB450_3110 Depth=1
	s_or_b32 exec_lo, exec_lo, s23
	v_lshrrev_b32_e32 v21, 16, v2
	s_mov_b32 s23, exec_lo
	s_delay_alu instid0(VALU_DEP_1) | instskip(NEXT) | instid1(VALU_DEP_1)
	v_dual_mov_b32 v6, 0 :: v_dual_and_b32 v7, 0xff, v21
	v_cmpx_ne_u16_e32 0, v7
	s_cbranch_execz .LBB450_6035
; %bb.6028:                             ;   in Loop: Header=BB450_3110 Depth=1
	v_bfrev_b32_e32 v6, 1
	s_mov_b32 s24, exec_lo
	v_cmpx_ne_u16_e32 0x80, v7
	s_cbranch_execz .LBB450_6034
; %bb.6029:                             ;   in Loop: Header=BB450_3110 Depth=1
	v_bfe_u32 v28, v2, 16, 7
	v_mov_b32_e32 v6, 0x7f800001
	s_mov_b32 s25, exec_lo
	s_delay_alu instid0(VALU_DEP_2)
	v_cmpx_ne_u32_e32 0x7f, v28
	s_cbranch_execz .LBB450_6033
; %bb.6030:                             ;   in Loop: Header=BB450_3110 Depth=1
	v_and_b32_e32 v12, 7, v21
	s_mov_b32 s26, exec_lo
	s_delay_alu instid0(VALU_DEP_1)
	v_dual_mov_b32 v6, v12 :: v_dual_mov_b32 v7, v13
	v_lshrrev_b32_e32 v7, 3, v28
	v_cmpx_gt_u32_e32 8, v28
; %bb.6031:                             ;   in Loop: Header=BB450_3110 Depth=1
	v_clz_i32_u32_e32 v6, v12
	s_delay_alu instid0(VALU_DEP_1) | instskip(NEXT) | instid1(VALU_DEP_1)
	v_min_u32_e32 v28, 32, v6
	v_subrev_nc_u32_e32 v6, 28, v28
	s_delay_alu instid0(VALU_DEP_1) | instskip(SKIP_1) | instid1(VALU_DEP_2)
	v_lshlrev_b64 v[6:7], v6, v[12:13]
	v_sub_nc_u32_e32 v7, 29, v28
	v_and_b32_e32 v6, 7, v6
; %bb.6032:                             ;   in Loop: Header=BB450_3110 Depth=1
	s_or_b32 exec_lo, exec_lo, s26
	v_lshlrev_b32_e32 v12, 24, v21
	s_delay_alu instid0(VALU_DEP_2) | instskip(SKIP_1) | instid1(VALU_DEP_3)
	v_lshlrev_b32_e32 v6, 20, v6
	v_lshl_add_u32 v7, v7, 23, 0x3c000000
	v_and_b32_e32 v12, 0x80000000, v12
	s_delay_alu instid0(VALU_DEP_1)
	v_or3_b32 v6, v6, v12, v7
.LBB450_6033:                           ;   in Loop: Header=BB450_3110 Depth=1
	s_or_b32 exec_lo, exec_lo, s25
.LBB450_6034:                           ;   in Loop: Header=BB450_3110 Depth=1
	s_delay_alu instid0(SALU_CYCLE_1)
	s_or_b32 exec_lo, exec_lo, s24
.LBB450_6035:                           ;   in Loop: Header=BB450_3110 Depth=1
	s_delay_alu instid0(SALU_CYCLE_1) | instskip(NEXT) | instid1(VALU_DEP_1)
	s_or_b32 exec_lo, exec_lo, s23
	v_mul_f32_e32 v6, v160, v6
                                        ; implicit-def: $vgpr21
	s_delay_alu instid0(VALU_DEP_1) | instskip(NEXT) | instid1(VALU_DEP_1)
	v_and_b32_e32 v7, 0x7f800000, v6
	v_cmp_ne_u32_e64 s9, 0x7f800000, v7
	s_delay_alu instid0(VALU_DEP_1) | instskip(NEXT) | instid1(SALU_CYCLE_1)
	s_and_saveexec_b32 s23, s9
	s_xor_b32 s9, exec_lo, s23
; %bb.6036:                             ;   in Loop: Header=BB450_3110 Depth=1
	v_bfe_u32 v7, v6, 16, 1
	s_delay_alu instid0(VALU_DEP_1)
	v_add3_u32 v21, v6, v7, 0x7fff
                                        ; implicit-def: $vgpr6
; %bb.6037:                             ;   in Loop: Header=BB450_3110 Depth=1
	s_and_not1_saveexec_b32 s23, s9
; %bb.6038:                             ;   in Loop: Header=BB450_3110 Depth=1
	v_and_b32_e32 v7, 0xffff, v6
	v_or_b32_e32 v12, 0x10000, v6
	s_delay_alu instid0(VALU_DEP_2) | instskip(NEXT) | instid1(VALU_DEP_1)
	v_cmp_eq_u32_e64 s9, 0, v7
	v_cndmask_b32_e64 v21, v12, v6, s9
; %bb.6039:                             ;   in Loop: Header=BB450_3110 Depth=1
	s_or_b32 exec_lo, exec_lo, s23
	v_mov_b32_e32 v6, 0
	s_mov_b32 s23, exec_lo
	v_cmpx_lt_u32_e32 0xffffff, v2
	s_cbranch_execz .LBB450_6047
; %bb.6040:                             ;   in Loop: Header=BB450_3110 Depth=1
	v_lshrrev_b32_e32 v28, 24, v2
	v_bfrev_b32_e32 v6, 1
	s_mov_b32 s24, exec_lo
	s_delay_alu instid0(VALU_DEP_2)
	v_cmpx_ne_u32_e32 0x80, v28
	s_cbranch_execz .LBB450_6046
; %bb.6041:                             ;   in Loop: Header=BB450_3110 Depth=1
	v_bfe_u32 v29, v2, 24, 7
	v_mov_b32_e32 v6, 0x7f800001
	s_mov_b32 s25, exec_lo
	s_delay_alu instid0(VALU_DEP_2)
	v_cmpx_ne_u32_e32 0x7f, v29
	s_cbranch_execz .LBB450_6045
; %bb.6042:                             ;   in Loop: Header=BB450_3110 Depth=1
	v_and_b32_e32 v12, 7, v28
	s_mov_b32 s26, exec_lo
	s_delay_alu instid0(VALU_DEP_1)
	v_dual_mov_b32 v6, v12 :: v_dual_mov_b32 v7, v13
	v_lshrrev_b32_e32 v7, 3, v29
	v_cmpx_gt_u32_e32 8, v29
; %bb.6043:                             ;   in Loop: Header=BB450_3110 Depth=1
	v_clz_i32_u32_e32 v6, v12
	s_delay_alu instid0(VALU_DEP_1) | instskip(NEXT) | instid1(VALU_DEP_1)
	v_min_u32_e32 v29, 32, v6
	v_subrev_nc_u32_e32 v6, 28, v29
	s_delay_alu instid0(VALU_DEP_1) | instskip(SKIP_1) | instid1(VALU_DEP_2)
	v_lshlrev_b64 v[6:7], v6, v[12:13]
	v_sub_nc_u32_e32 v7, 29, v29
	v_and_b32_e32 v6, 7, v6
; %bb.6044:                             ;   in Loop: Header=BB450_3110 Depth=1
	s_or_b32 exec_lo, exec_lo, s26
	v_lshlrev_b32_e32 v12, 24, v28
	s_delay_alu instid0(VALU_DEP_2) | instskip(SKIP_1) | instid1(VALU_DEP_3)
	v_lshlrev_b32_e32 v6, 20, v6
	v_lshl_add_u32 v7, v7, 23, 0x3c000000
	v_and_b32_e32 v12, 0x80000000, v12
	s_delay_alu instid0(VALU_DEP_1)
	v_or3_b32 v6, v6, v12, v7
.LBB450_6045:                           ;   in Loop: Header=BB450_3110 Depth=1
	s_or_b32 exec_lo, exec_lo, s25
.LBB450_6046:                           ;   in Loop: Header=BB450_3110 Depth=1
	s_delay_alu instid0(SALU_CYCLE_1)
	s_or_b32 exec_lo, exec_lo, s24
.LBB450_6047:                           ;   in Loop: Header=BB450_3110 Depth=1
	s_delay_alu instid0(SALU_CYCLE_1) | instskip(NEXT) | instid1(VALU_DEP_1)
	s_or_b32 exec_lo, exec_lo, s23
	v_mul_f32_e32 v6, v160, v6
                                        ; implicit-def: $vgpr28
	s_delay_alu instid0(VALU_DEP_1) | instskip(NEXT) | instid1(VALU_DEP_1)
	v_and_b32_e32 v7, 0x7f800000, v6
	v_cmp_ne_u32_e64 s9, 0x7f800000, v7
	s_delay_alu instid0(VALU_DEP_1) | instskip(NEXT) | instid1(SALU_CYCLE_1)
	s_and_saveexec_b32 s23, s9
	s_xor_b32 s9, exec_lo, s23
; %bb.6048:                             ;   in Loop: Header=BB450_3110 Depth=1
	v_bfe_u32 v7, v6, 16, 1
	s_delay_alu instid0(VALU_DEP_1)
	v_add3_u32 v28, v6, v7, 0x7fff
                                        ; implicit-def: $vgpr6
; %bb.6049:                             ;   in Loop: Header=BB450_3110 Depth=1
	s_and_not1_saveexec_b32 s23, s9
; %bb.6050:                             ;   in Loop: Header=BB450_3110 Depth=1
	v_and_b32_e32 v7, 0xffff, v6
	v_or_b32_e32 v12, 0x10000, v6
	s_delay_alu instid0(VALU_DEP_2) | instskip(NEXT) | instid1(VALU_DEP_1)
	v_cmp_eq_u32_e64 s9, 0, v7
	v_cndmask_b32_e64 v28, v12, v6, s9
; %bb.6051:                             ;   in Loop: Header=BB450_3110 Depth=1
	s_or_b32 exec_lo, exec_lo, s23
	v_dual_mov_b32 v12, v3 :: v_dual_and_b32 v7, 0xff, v3
	v_mov_b32_e32 v6, 0
	s_mov_b32 s23, exec_lo
	s_delay_alu instid0(VALU_DEP_2)
	v_cmpx_ne_u16_e32 0, v7
	s_cbranch_execz .LBB450_6059
; %bb.6052:                             ;   in Loop: Header=BB450_3110 Depth=1
	v_bfrev_b32_e32 v6, 1
	s_mov_b32 s24, exec_lo
	v_cmpx_ne_u16_e32 0x80, v7
	s_cbranch_execz .LBB450_6058
; %bb.6053:                             ;   in Loop: Header=BB450_3110 Depth=1
	v_and_b32_e32 v29, 0x7f, v3
	v_mov_b32_e32 v6, 0x7f800001
	s_mov_b32 s25, exec_lo
	s_delay_alu instid0(VALU_DEP_2)
	v_cmpx_ne_u32_e32 0x7f, v29
	s_cbranch_execz .LBB450_6057
; %bb.6054:                             ;   in Loop: Header=BB450_3110 Depth=1
	v_dual_mov_b32 v6, v12 :: v_dual_mov_b32 v7, v13
	v_lshrrev_b32_e32 v7, 3, v29
	s_mov_b32 s26, exec_lo
	v_cmpx_gt_u32_e32 8, v29
; %bb.6055:                             ;   in Loop: Header=BB450_3110 Depth=1
	v_and_b32_e32 v6, 7, v3
	s_delay_alu instid0(VALU_DEP_1) | instskip(NEXT) | instid1(VALU_DEP_1)
	v_clz_i32_u32_e32 v6, v6
	v_min_u32_e32 v29, 32, v6
	s_delay_alu instid0(VALU_DEP_1) | instskip(NEXT) | instid1(VALU_DEP_1)
	v_subrev_nc_u32_e32 v6, 28, v29
	v_lshlrev_b64 v[6:7], v6, v[12:13]
	v_sub_nc_u32_e32 v7, 29, v29
; %bb.6056:                             ;   in Loop: Header=BB450_3110 Depth=1
	s_or_b32 exec_lo, exec_lo, s26
	s_delay_alu instid0(VALU_DEP_2) | instskip(SKIP_1) | instid1(VALU_DEP_3)
	v_lshlrev_b32_e32 v6, 20, v6
	v_lshlrev_b32_e32 v29, 24, v12
	v_lshl_add_u32 v7, v7, 23, 0x3c000000
	s_delay_alu instid0(VALU_DEP_3) | instskip(NEXT) | instid1(VALU_DEP_3)
	v_and_b32_e32 v6, 0x700000, v6
	v_and_b32_e32 v29, 0x80000000, v29
	s_delay_alu instid0(VALU_DEP_1)
	v_or3_b32 v6, v6, v29, v7
.LBB450_6057:                           ;   in Loop: Header=BB450_3110 Depth=1
	s_or_b32 exec_lo, exec_lo, s25
.LBB450_6058:                           ;   in Loop: Header=BB450_3110 Depth=1
	s_delay_alu instid0(SALU_CYCLE_1)
	s_or_b32 exec_lo, exec_lo, s24
.LBB450_6059:                           ;   in Loop: Header=BB450_3110 Depth=1
	s_delay_alu instid0(SALU_CYCLE_1) | instskip(NEXT) | instid1(VALU_DEP_1)
	s_or_b32 exec_lo, exec_lo, s23
	v_mul_f32_e32 v6, v160, v6
                                        ; implicit-def: $vgpr29
	s_delay_alu instid0(VALU_DEP_1) | instskip(NEXT) | instid1(VALU_DEP_1)
	v_and_b32_e32 v7, 0x7f800000, v6
	v_cmp_ne_u32_e64 s9, 0x7f800000, v7
	s_delay_alu instid0(VALU_DEP_1) | instskip(NEXT) | instid1(SALU_CYCLE_1)
	s_and_saveexec_b32 s23, s9
	s_xor_b32 s9, exec_lo, s23
; %bb.6060:                             ;   in Loop: Header=BB450_3110 Depth=1
	v_bfe_u32 v7, v6, 16, 1
	s_delay_alu instid0(VALU_DEP_1)
	v_add3_u32 v29, v6, v7, 0x7fff
                                        ; implicit-def: $vgpr6
; %bb.6061:                             ;   in Loop: Header=BB450_3110 Depth=1
	s_and_not1_saveexec_b32 s23, s9
; %bb.6062:                             ;   in Loop: Header=BB450_3110 Depth=1
	v_and_b32_e32 v7, 0xffff, v6
	v_or_b32_e32 v29, 0x10000, v6
	s_delay_alu instid0(VALU_DEP_2) | instskip(NEXT) | instid1(VALU_DEP_1)
	v_cmp_eq_u32_e64 s9, 0, v7
	v_cndmask_b32_e64 v29, v29, v6, s9
; %bb.6063:                             ;   in Loop: Header=BB450_3110 Depth=1
	s_or_b32 exec_lo, exec_lo, s23
	v_lshrrev_b16 v7, 8, v12
	v_mov_b32_e32 v6, 0
	s_mov_b32 s23, exec_lo
	s_delay_alu instid0(VALU_DEP_2)
	v_cmpx_ne_u16_e32 0, v7
	s_cbranch_execz .LBB450_6071
; %bb.6064:                             ;   in Loop: Header=BB450_3110 Depth=1
	v_bfrev_b32_e32 v6, 1
	s_mov_b32 s24, exec_lo
	v_cmpx_ne_u16_e32 0x80, v7
	s_cbranch_execz .LBB450_6070
; %bb.6065:                             ;   in Loop: Header=BB450_3110 Depth=1
	v_and_b32_e32 v7, 0xffff, v7
	v_mov_b32_e32 v6, 0x7f800001
	s_mov_b32 s25, exec_lo
	s_delay_alu instid0(VALU_DEP_2) | instskip(NEXT) | instid1(VALU_DEP_1)
	v_and_b32_e32 v32, 0x7f, v7
	v_cmpx_ne_u32_e32 0x7f, v32
	s_cbranch_execz .LBB450_6069
; %bb.6066:                             ;   in Loop: Header=BB450_3110 Depth=1
	v_dual_mov_b32 v7, v13 :: v_dual_and_b32 v6, 7, v7
	v_lshrrev_b32_e32 v31, 3, v32
	s_mov_b32 s26, exec_lo
	v_cmpx_gt_u32_e32 8, v32
; %bb.6067:                             ;   in Loop: Header=BB450_3110 Depth=1
	s_delay_alu instid0(VALU_DEP_3) | instskip(NEXT) | instid1(VALU_DEP_1)
	v_clz_i32_u32_e32 v31, v6
	v_min_u32_e32 v31, 32, v31
	s_delay_alu instid0(VALU_DEP_1) | instskip(SKIP_1) | instid1(VALU_DEP_2)
	v_subrev_nc_u32_e32 v32, 28, v31
	v_sub_nc_u32_e32 v31, 29, v31
	v_lshlrev_b64 v[6:7], v32, v[6:7]
	s_delay_alu instid0(VALU_DEP_1)
	v_and_b32_e32 v6, 7, v6
; %bb.6068:                             ;   in Loop: Header=BB450_3110 Depth=1
	s_or_b32 exec_lo, exec_lo, s26
	v_lshlrev_b32_e32 v7, 16, v12
	s_delay_alu instid0(VALU_DEP_2) | instskip(SKIP_1) | instid1(VALU_DEP_3)
	v_lshlrev_b32_e32 v6, 20, v6
	v_lshl_add_u32 v12, v31, 23, 0x3c000000
	v_and_b32_e32 v7, 0x80000000, v7
	s_delay_alu instid0(VALU_DEP_1)
	v_or3_b32 v6, v6, v7, v12
.LBB450_6069:                           ;   in Loop: Header=BB450_3110 Depth=1
	s_or_b32 exec_lo, exec_lo, s25
.LBB450_6070:                           ;   in Loop: Header=BB450_3110 Depth=1
	s_delay_alu instid0(SALU_CYCLE_1)
	s_or_b32 exec_lo, exec_lo, s24
.LBB450_6071:                           ;   in Loop: Header=BB450_3110 Depth=1
	s_delay_alu instid0(SALU_CYCLE_1) | instskip(NEXT) | instid1(VALU_DEP_1)
	s_or_b32 exec_lo, exec_lo, s23
	v_mul_f32_e32 v6, v160, v6
                                        ; implicit-def: $vgpr31
	s_delay_alu instid0(VALU_DEP_1) | instskip(NEXT) | instid1(VALU_DEP_1)
	v_and_b32_e32 v7, 0x7f800000, v6
	v_cmp_ne_u32_e64 s9, 0x7f800000, v7
	s_delay_alu instid0(VALU_DEP_1) | instskip(NEXT) | instid1(SALU_CYCLE_1)
	s_and_saveexec_b32 s23, s9
	s_xor_b32 s9, exec_lo, s23
; %bb.6072:                             ;   in Loop: Header=BB450_3110 Depth=1
	v_bfe_u32 v7, v6, 16, 1
	s_delay_alu instid0(VALU_DEP_1)
	v_add3_u32 v31, v6, v7, 0x7fff
                                        ; implicit-def: $vgpr6
; %bb.6073:                             ;   in Loop: Header=BB450_3110 Depth=1
	s_and_not1_saveexec_b32 s23, s9
; %bb.6074:                             ;   in Loop: Header=BB450_3110 Depth=1
	v_and_b32_e32 v7, 0xffff, v6
	v_or_b32_e32 v12, 0x10000, v6
	s_delay_alu instid0(VALU_DEP_2) | instskip(NEXT) | instid1(VALU_DEP_1)
	v_cmp_eq_u32_e64 s9, 0, v7
	v_cndmask_b32_e64 v31, v12, v6, s9
; %bb.6075:                             ;   in Loop: Header=BB450_3110 Depth=1
	s_or_b32 exec_lo, exec_lo, s23
	v_lshrrev_b32_e32 v32, 16, v3
	s_mov_b32 s23, exec_lo
	s_delay_alu instid0(VALU_DEP_1) | instskip(NEXT) | instid1(VALU_DEP_1)
	v_dual_mov_b32 v6, 0 :: v_dual_and_b32 v7, 0xff, v32
	v_cmpx_ne_u16_e32 0, v7
	s_cbranch_execz .LBB450_6083
; %bb.6076:                             ;   in Loop: Header=BB450_3110 Depth=1
	v_bfrev_b32_e32 v6, 1
	s_mov_b32 s24, exec_lo
	v_cmpx_ne_u16_e32 0x80, v7
	s_cbranch_execz .LBB450_6082
; %bb.6077:                             ;   in Loop: Header=BB450_3110 Depth=1
	v_bfe_u32 v33, v3, 16, 7
	v_mov_b32_e32 v6, 0x7f800001
	s_mov_b32 s25, exec_lo
	s_delay_alu instid0(VALU_DEP_2)
	v_cmpx_ne_u32_e32 0x7f, v33
	s_cbranch_execz .LBB450_6081
; %bb.6078:                             ;   in Loop: Header=BB450_3110 Depth=1
	v_and_b32_e32 v12, 7, v32
	s_mov_b32 s26, exec_lo
	s_delay_alu instid0(VALU_DEP_1)
	v_dual_mov_b32 v6, v12 :: v_dual_mov_b32 v7, v13
	v_lshrrev_b32_e32 v7, 3, v33
	v_cmpx_gt_u32_e32 8, v33
; %bb.6079:                             ;   in Loop: Header=BB450_3110 Depth=1
	v_clz_i32_u32_e32 v6, v12
	s_delay_alu instid0(VALU_DEP_1) | instskip(NEXT) | instid1(VALU_DEP_1)
	v_min_u32_e32 v33, 32, v6
	v_subrev_nc_u32_e32 v6, 28, v33
	s_delay_alu instid0(VALU_DEP_1) | instskip(SKIP_1) | instid1(VALU_DEP_2)
	v_lshlrev_b64 v[6:7], v6, v[12:13]
	v_sub_nc_u32_e32 v7, 29, v33
	v_and_b32_e32 v6, 7, v6
; %bb.6080:                             ;   in Loop: Header=BB450_3110 Depth=1
	s_or_b32 exec_lo, exec_lo, s26
	v_lshlrev_b32_e32 v12, 24, v32
	s_delay_alu instid0(VALU_DEP_2) | instskip(SKIP_1) | instid1(VALU_DEP_3)
	v_lshlrev_b32_e32 v6, 20, v6
	v_lshl_add_u32 v7, v7, 23, 0x3c000000
	v_and_b32_e32 v12, 0x80000000, v12
	s_delay_alu instid0(VALU_DEP_1)
	v_or3_b32 v6, v6, v12, v7
.LBB450_6081:                           ;   in Loop: Header=BB450_3110 Depth=1
	s_or_b32 exec_lo, exec_lo, s25
.LBB450_6082:                           ;   in Loop: Header=BB450_3110 Depth=1
	s_delay_alu instid0(SALU_CYCLE_1)
	s_or_b32 exec_lo, exec_lo, s24
.LBB450_6083:                           ;   in Loop: Header=BB450_3110 Depth=1
	s_delay_alu instid0(SALU_CYCLE_1) | instskip(NEXT) | instid1(VALU_DEP_1)
	s_or_b32 exec_lo, exec_lo, s23
	v_mul_f32_e32 v6, v160, v6
                                        ; implicit-def: $vgpr32
	s_delay_alu instid0(VALU_DEP_1) | instskip(NEXT) | instid1(VALU_DEP_1)
	v_and_b32_e32 v7, 0x7f800000, v6
	v_cmp_ne_u32_e64 s9, 0x7f800000, v7
	s_delay_alu instid0(VALU_DEP_1) | instskip(NEXT) | instid1(SALU_CYCLE_1)
	s_and_saveexec_b32 s23, s9
	s_xor_b32 s9, exec_lo, s23
; %bb.6084:                             ;   in Loop: Header=BB450_3110 Depth=1
	v_bfe_u32 v7, v6, 16, 1
	s_delay_alu instid0(VALU_DEP_1)
	v_add3_u32 v32, v6, v7, 0x7fff
                                        ; implicit-def: $vgpr6
; %bb.6085:                             ;   in Loop: Header=BB450_3110 Depth=1
	s_and_not1_saveexec_b32 s23, s9
; %bb.6086:                             ;   in Loop: Header=BB450_3110 Depth=1
	v_and_b32_e32 v7, 0xffff, v6
	v_or_b32_e32 v12, 0x10000, v6
	s_delay_alu instid0(VALU_DEP_2) | instskip(NEXT) | instid1(VALU_DEP_1)
	v_cmp_eq_u32_e64 s9, 0, v7
	v_cndmask_b32_e64 v32, v12, v6, s9
; %bb.6087:                             ;   in Loop: Header=BB450_3110 Depth=1
	s_or_b32 exec_lo, exec_lo, s23
	v_cmp_lt_u64_e64 s9, s[18:19], v[2:3]
	v_mov_b32_e32 v2, 0
	s_delay_alu instid0(VALU_DEP_2)
	s_and_saveexec_b32 s23, s9
	s_cbranch_execz .LBB450_6095
; %bb.6088:                             ;   in Loop: Header=BB450_3110 Depth=1
	v_lshrrev_b32_e32 v6, 24, v3
	v_bfrev_b32_e32 v2, 1
	s_mov_b32 s24, exec_lo
	s_delay_alu instid0(VALU_DEP_2)
	v_cmpx_ne_u32_e32 0x80, v6
	s_cbranch_execz .LBB450_6094
; %bb.6089:                             ;   in Loop: Header=BB450_3110 Depth=1
	v_bfe_u32 v7, v3, 24, 7
	v_mov_b32_e32 v2, 0x7f800001
	s_mov_b32 s25, exec_lo
	s_delay_alu instid0(VALU_DEP_2)
	v_cmpx_ne_u32_e32 0x7f, v7
	s_cbranch_execz .LBB450_6093
; %bb.6090:                             ;   in Loop: Header=BB450_3110 Depth=1
	v_and_b32_e32 v12, 7, v6
	s_mov_b32 s26, exec_lo
	s_delay_alu instid0(VALU_DEP_1)
	v_dual_mov_b32 v2, v12 :: v_dual_mov_b32 v3, v13
	v_lshrrev_b32_e32 v3, 3, v7
	v_cmpx_gt_u32_e32 8, v7
; %bb.6091:                             ;   in Loop: Header=BB450_3110 Depth=1
	v_clz_i32_u32_e32 v2, v12
	s_delay_alu instid0(VALU_DEP_1) | instskip(NEXT) | instid1(VALU_DEP_1)
	v_min_u32_e32 v7, 32, v2
	v_subrev_nc_u32_e32 v2, 28, v7
	s_delay_alu instid0(VALU_DEP_1) | instskip(SKIP_1) | instid1(VALU_DEP_2)
	v_lshlrev_b64 v[2:3], v2, v[12:13]
	v_sub_nc_u32_e32 v3, 29, v7
	v_and_b32_e32 v2, 7, v2
; %bb.6092:                             ;   in Loop: Header=BB450_3110 Depth=1
	s_or_b32 exec_lo, exec_lo, s26
	v_lshlrev_b32_e32 v6, 24, v6
	s_delay_alu instid0(VALU_DEP_2) | instskip(SKIP_1) | instid1(VALU_DEP_3)
	v_lshlrev_b32_e32 v2, 20, v2
	v_lshl_add_u32 v3, v3, 23, 0x3c000000
	v_and_b32_e32 v6, 0x80000000, v6
	s_delay_alu instid0(VALU_DEP_1)
	v_or3_b32 v2, v2, v6, v3
.LBB450_6093:                           ;   in Loop: Header=BB450_3110 Depth=1
	s_or_b32 exec_lo, exec_lo, s25
.LBB450_6094:                           ;   in Loop: Header=BB450_3110 Depth=1
	s_delay_alu instid0(SALU_CYCLE_1)
	s_or_b32 exec_lo, exec_lo, s24
.LBB450_6095:                           ;   in Loop: Header=BB450_3110 Depth=1
	s_delay_alu instid0(SALU_CYCLE_1) | instskip(NEXT) | instid1(VALU_DEP_1)
	s_or_b32 exec_lo, exec_lo, s23
	v_mul_f32_e32 v3, v160, v2
	s_delay_alu instid0(VALU_DEP_1) | instskip(NEXT) | instid1(VALU_DEP_1)
	v_and_b32_e32 v2, 0x7f800000, v3
	v_cmp_ne_u32_e64 s9, 0x7f800000, v2
                                        ; implicit-def: $vgpr2
	s_delay_alu instid0(VALU_DEP_1) | instskip(NEXT) | instid1(SALU_CYCLE_1)
	s_and_saveexec_b32 s23, s9
	s_xor_b32 s9, exec_lo, s23
; %bb.6096:                             ;   in Loop: Header=BB450_3110 Depth=1
	v_bfe_u32 v2, v3, 16, 1
	s_delay_alu instid0(VALU_DEP_1)
	v_add3_u32 v2, v3, v2, 0x7fff
                                        ; implicit-def: $vgpr3
; %bb.6097:                             ;   in Loop: Header=BB450_3110 Depth=1
	s_and_not1_saveexec_b32 s23, s9
; %bb.6098:                             ;   in Loop: Header=BB450_3110 Depth=1
	v_and_b32_e32 v2, 0xffff, v3
	v_or_b32_e32 v6, 0x10000, v3
	s_delay_alu instid0(VALU_DEP_2) | instskip(NEXT) | instid1(VALU_DEP_1)
	v_cmp_eq_u32_e64 s9, 0, v2
	v_cndmask_b32_e64 v2, v6, v3, s9
; %bb.6099:                             ;   in Loop: Header=BB450_3110 Depth=1
	s_or_b32 exec_lo, exec_lo, s23
	v_lshrrev_b32_e32 v6, 16, v31
	v_lshrrev_b32_e32 v7, 16, v29
	;; [unrolled: 1-line block ×8, first 2 shown]
	s_and_saveexec_b32 s9, s1
; %bb.6100:                             ;   in Loop: Header=BB450_3110 Depth=1
	s_delay_alu instid0(VALU_DEP_3)
	v_cndmask_b32_e32 v4, 0, v4, vcc_lo
	v_cndmask_b32_e64 v5, 0, v5, s2
	v_cndmask_b32_e64 v21, 0, v21, s3
	v_cndmask_b32_e64 v12, 0, v12, s4
	v_cndmask_b32_e64 v7, 0, v7, s5
	v_cndmask_b32_e64 v6, 0, v6, s6
	v_cndmask_b32_e64 v3, 0, v3, s7
	v_cndmask_b32_e64 v2, 0, v2, s8
; %bb.6101:                             ;   in Loop: Header=BB450_3110 Depth=1
	s_or_b32 exec_lo, exec_lo, s9
	v_lshlrev_b32_e32 v4, 16, v4
	s_delay_alu instid0(VALU_DEP_1) | instskip(NEXT) | instid1(VALU_DEP_1)
	v_mul_f32_e32 v4, v161, v4
	v_and_b32_e32 v28, 0x7f800000, v4
	s_delay_alu instid0(VALU_DEP_1) | instskip(NEXT) | instid1(VALU_DEP_1)
	v_cmp_ne_u32_e64 s9, 0x7f800000, v28
                                        ; implicit-def: $vgpr28
	s_and_saveexec_b32 s23, s9
	s_delay_alu instid0(SALU_CYCLE_1)
	s_xor_b32 s9, exec_lo, s23
; %bb.6102:                             ;   in Loop: Header=BB450_3110 Depth=1
	v_bfe_u32 v28, v4, 16, 1
	s_delay_alu instid0(VALU_DEP_1)
	v_add3_u32 v28, v4, v28, 0x7fff
                                        ; implicit-def: $vgpr4
; %bb.6103:                             ;   in Loop: Header=BB450_3110 Depth=1
	s_and_not1_saveexec_b32 s23, s9
; %bb.6104:                             ;   in Loop: Header=BB450_3110 Depth=1
	v_and_b32_e32 v28, 0xffff, v4
	v_or_b32_e32 v29, 0x10000, v4
	s_delay_alu instid0(VALU_DEP_2) | instskip(NEXT) | instid1(VALU_DEP_1)
	v_cmp_eq_u32_e64 s9, 0, v28
	v_cndmask_b32_e64 v28, v29, v4, s9
; %bb.6105:                             ;   in Loop: Header=BB450_3110 Depth=1
	s_or_b32 exec_lo, exec_lo, s23
	v_lshlrev_b32_e32 v4, 16, v5
                                        ; implicit-def: $vgpr29
	s_delay_alu instid0(VALU_DEP_1) | instskip(NEXT) | instid1(VALU_DEP_1)
	v_mul_f32_e32 v4, v162, v4
	v_and_b32_e32 v5, 0x7f800000, v4
	s_delay_alu instid0(VALU_DEP_1) | instskip(NEXT) | instid1(VALU_DEP_1)
	v_cmp_ne_u32_e64 s9, 0x7f800000, v5
	s_and_saveexec_b32 s23, s9
	s_delay_alu instid0(SALU_CYCLE_1)
	s_xor_b32 s9, exec_lo, s23
; %bb.6106:                             ;   in Loop: Header=BB450_3110 Depth=1
	v_bfe_u32 v5, v4, 16, 1
	s_delay_alu instid0(VALU_DEP_1)
	v_add3_u32 v29, v4, v5, 0x7fff
                                        ; implicit-def: $vgpr4
; %bb.6107:                             ;   in Loop: Header=BB450_3110 Depth=1
	s_and_not1_saveexec_b32 s23, s9
; %bb.6108:                             ;   in Loop: Header=BB450_3110 Depth=1
	v_and_b32_e32 v5, 0xffff, v4
	v_or_b32_e32 v29, 0x10000, v4
	s_delay_alu instid0(VALU_DEP_2) | instskip(NEXT) | instid1(VALU_DEP_1)
	v_cmp_eq_u32_e64 s9, 0, v5
	v_cndmask_b32_e64 v29, v29, v4, s9
; %bb.6109:                             ;   in Loop: Header=BB450_3110 Depth=1
	s_or_b32 exec_lo, exec_lo, s23
	v_lshlrev_b32_e32 v4, 16, v21
                                        ; implicit-def: $vgpr31
	s_delay_alu instid0(VALU_DEP_1) | instskip(NEXT) | instid1(VALU_DEP_1)
	v_mul_f32_e32 v4, v163, v4
	v_and_b32_e32 v5, 0x7f800000, v4
	s_delay_alu instid0(VALU_DEP_1) | instskip(NEXT) | instid1(VALU_DEP_1)
	v_cmp_ne_u32_e64 s9, 0x7f800000, v5
	s_and_saveexec_b32 s23, s9
	s_delay_alu instid0(SALU_CYCLE_1)
	s_xor_b32 s9, exec_lo, s23
; %bb.6110:                             ;   in Loop: Header=BB450_3110 Depth=1
	v_bfe_u32 v5, v4, 16, 1
	s_delay_alu instid0(VALU_DEP_1)
	v_add3_u32 v31, v4, v5, 0x7fff
                                        ; implicit-def: $vgpr4
; %bb.6111:                             ;   in Loop: Header=BB450_3110 Depth=1
	s_and_not1_saveexec_b32 s23, s9
; %bb.6112:                             ;   in Loop: Header=BB450_3110 Depth=1
	v_and_b32_e32 v5, 0xffff, v4
	v_or_b32_e32 v21, 0x10000, v4
	s_delay_alu instid0(VALU_DEP_2) | instskip(NEXT) | instid1(VALU_DEP_1)
	v_cmp_eq_u32_e64 s9, 0, v5
	v_cndmask_b32_e64 v31, v21, v4, s9
; %bb.6113:                             ;   in Loop: Header=BB450_3110 Depth=1
	s_or_b32 exec_lo, exec_lo, s23
	v_lshlrev_b32_e32 v4, 16, v12
                                        ; implicit-def: $vgpr32
	s_delay_alu instid0(VALU_DEP_1) | instskip(NEXT) | instid1(VALU_DEP_1)
	v_mul_f32_e32 v4, v164, v4
	v_and_b32_e32 v5, 0x7f800000, v4
	s_delay_alu instid0(VALU_DEP_1) | instskip(NEXT) | instid1(VALU_DEP_1)
	v_cmp_ne_u32_e64 s9, 0x7f800000, v5
	s_and_saveexec_b32 s23, s9
	s_delay_alu instid0(SALU_CYCLE_1)
	s_xor_b32 s9, exec_lo, s23
; %bb.6114:                             ;   in Loop: Header=BB450_3110 Depth=1
	v_bfe_u32 v5, v4, 16, 1
	s_delay_alu instid0(VALU_DEP_1)
	v_add3_u32 v32, v4, v5, 0x7fff
                                        ; implicit-def: $vgpr4
; %bb.6115:                             ;   in Loop: Header=BB450_3110 Depth=1
	s_and_not1_saveexec_b32 s23, s9
; %bb.6116:                             ;   in Loop: Header=BB450_3110 Depth=1
	v_and_b32_e32 v5, 0xffff, v4
	v_or_b32_e32 v12, 0x10000, v4
	s_delay_alu instid0(VALU_DEP_2) | instskip(NEXT) | instid1(VALU_DEP_1)
	v_cmp_eq_u32_e64 s9, 0, v5
	v_cndmask_b32_e64 v32, v12, v4, s9
; %bb.6117:                             ;   in Loop: Header=BB450_3110 Depth=1
	s_or_b32 exec_lo, exec_lo, s23
	v_lshlrev_b32_e32 v4, 16, v7
                                        ; implicit-def: $vgpr33
	s_delay_alu instid0(VALU_DEP_1) | instskip(NEXT) | instid1(VALU_DEP_1)
	v_mul_f32_e32 v4, v165, v4
	v_and_b32_e32 v5, 0x7f800000, v4
	s_delay_alu instid0(VALU_DEP_1) | instskip(NEXT) | instid1(VALU_DEP_1)
	v_cmp_ne_u32_e64 s9, 0x7f800000, v5
	s_and_saveexec_b32 s23, s9
	s_delay_alu instid0(SALU_CYCLE_1)
	s_xor_b32 s9, exec_lo, s23
; %bb.6118:                             ;   in Loop: Header=BB450_3110 Depth=1
	v_bfe_u32 v5, v4, 16, 1
	s_delay_alu instid0(VALU_DEP_1)
	v_add3_u32 v33, v4, v5, 0x7fff
                                        ; implicit-def: $vgpr4
; %bb.6119:                             ;   in Loop: Header=BB450_3110 Depth=1
	s_and_not1_saveexec_b32 s23, s9
; %bb.6120:                             ;   in Loop: Header=BB450_3110 Depth=1
	v_and_b32_e32 v5, 0xffff, v4
	v_or_b32_e32 v7, 0x10000, v4
	s_delay_alu instid0(VALU_DEP_2) | instskip(NEXT) | instid1(VALU_DEP_1)
	v_cmp_eq_u32_e64 s9, 0, v5
	v_cndmask_b32_e64 v33, v7, v4, s9
; %bb.6121:                             ;   in Loop: Header=BB450_3110 Depth=1
	s_or_b32 exec_lo, exec_lo, s23
	v_lshlrev_b32_e32 v4, 16, v6
                                        ; implicit-def: $vgpr35
	s_delay_alu instid0(VALU_DEP_1) | instskip(NEXT) | instid1(VALU_DEP_1)
	v_mul_f32_e32 v4, v166, v4
	v_and_b32_e32 v5, 0x7f800000, v4
	s_delay_alu instid0(VALU_DEP_1) | instskip(NEXT) | instid1(VALU_DEP_1)
	v_cmp_ne_u32_e64 s9, 0x7f800000, v5
	s_and_saveexec_b32 s23, s9
	s_delay_alu instid0(SALU_CYCLE_1)
	s_xor_b32 s9, exec_lo, s23
; %bb.6122:                             ;   in Loop: Header=BB450_3110 Depth=1
	v_bfe_u32 v5, v4, 16, 1
	s_delay_alu instid0(VALU_DEP_1)
	v_add3_u32 v35, v4, v5, 0x7fff
                                        ; implicit-def: $vgpr4
; %bb.6123:                             ;   in Loop: Header=BB450_3110 Depth=1
	s_and_not1_saveexec_b32 s23, s9
; %bb.6124:                             ;   in Loop: Header=BB450_3110 Depth=1
	v_and_b32_e32 v5, 0xffff, v4
	v_or_b32_e32 v6, 0x10000, v4
	s_delay_alu instid0(VALU_DEP_2) | instskip(NEXT) | instid1(VALU_DEP_1)
	v_cmp_eq_u32_e64 s9, 0, v5
	v_cndmask_b32_e64 v35, v6, v4, s9
; %bb.6125:                             ;   in Loop: Header=BB450_3110 Depth=1
	s_or_b32 exec_lo, exec_lo, s23
	v_lshlrev_b32_e32 v3, 16, v3
                                        ; implicit-def: $vgpr34
	s_delay_alu instid0(VALU_DEP_1) | instskip(NEXT) | instid1(VALU_DEP_1)
	v_mul_f32_e32 v3, v167, v3
	v_and_b32_e32 v4, 0x7f800000, v3
	s_delay_alu instid0(VALU_DEP_1) | instskip(NEXT) | instid1(VALU_DEP_1)
	v_cmp_ne_u32_e64 s9, 0x7f800000, v4
	s_and_saveexec_b32 s23, s9
	s_delay_alu instid0(SALU_CYCLE_1)
	s_xor_b32 s9, exec_lo, s23
; %bb.6126:                             ;   in Loop: Header=BB450_3110 Depth=1
	v_bfe_u32 v4, v3, 16, 1
	s_delay_alu instid0(VALU_DEP_1)
	v_add3_u32 v34, v3, v4, 0x7fff
                                        ; implicit-def: $vgpr3
; %bb.6127:                             ;   in Loop: Header=BB450_3110 Depth=1
	s_and_not1_saveexec_b32 s23, s9
; %bb.6128:                             ;   in Loop: Header=BB450_3110 Depth=1
	v_and_b32_e32 v4, 0xffff, v3
	v_or_b32_e32 v5, 0x10000, v3
	s_delay_alu instid0(VALU_DEP_2) | instskip(NEXT) | instid1(VALU_DEP_1)
	v_cmp_eq_u32_e64 s9, 0, v4
	v_cndmask_b32_e64 v34, v5, v3, s9
; %bb.6129:                             ;   in Loop: Header=BB450_3110 Depth=1
	s_or_b32 exec_lo, exec_lo, s23
	v_lshlrev_b32_e32 v2, 16, v2
                                        ; implicit-def: $vgpr36
	s_delay_alu instid0(VALU_DEP_1) | instskip(NEXT) | instid1(VALU_DEP_1)
	v_mul_f32_e32 v2, v176, v2
	v_and_b32_e32 v3, 0x7f800000, v2
	s_delay_alu instid0(VALU_DEP_1) | instskip(NEXT) | instid1(VALU_DEP_1)
	v_cmp_ne_u32_e64 s9, 0x7f800000, v3
	s_and_saveexec_b32 s23, s9
	s_delay_alu instid0(SALU_CYCLE_1)
	s_xor_b32 s9, exec_lo, s23
; %bb.6130:                             ;   in Loop: Header=BB450_3110 Depth=1
	v_bfe_u32 v3, v2, 16, 1
	s_delay_alu instid0(VALU_DEP_1)
	v_add3_u32 v36, v2, v3, 0x7fff
                                        ; implicit-def: $vgpr2
; %bb.6131:                             ;   in Loop: Header=BB450_3110 Depth=1
	s_and_not1_saveexec_b32 s23, s9
; %bb.6132:                             ;   in Loop: Header=BB450_3110 Depth=1
	v_and_b32_e32 v3, 0xffff, v2
	v_or_b32_e32 v4, 0x10000, v2
	s_delay_alu instid0(VALU_DEP_2) | instskip(NEXT) | instid1(VALU_DEP_1)
	v_cmp_eq_u32_e64 s9, 0, v3
	v_cndmask_b32_e64 v36, v4, v2, s9
; %bb.6133:                             ;   in Loop: Header=BB450_3110 Depth=1
	s_or_b32 exec_lo, exec_lo, s23
	scratch_load_b32 v2, off, s32 offset:908 ; 4-byte Folded Reload
	s_mov_b32 s23, exec_lo
	v_mov_b32_e32 v4, 0
	s_waitcnt vmcnt(0)
	v_add_co_u32 v2, s9, v0, v2
	s_delay_alu instid0(VALU_DEP_1) | instskip(SKIP_3) | instid1(VALU_DEP_1)
	v_add_co_ci_u32_e64 v3, s9, 0, v1, s9
	flat_load_b64 v[2:3], v[2:3]
	s_waitcnt vmcnt(0) lgkmcnt(0)
	v_and_b32_e32 v5, 0xff, v2
	v_cmpx_ne_u16_e32 0, v5
	s_cbranch_execz .LBB450_6141
; %bb.6134:                             ;   in Loop: Header=BB450_3110 Depth=1
	v_bfrev_b32_e32 v4, 1
	s_mov_b32 s24, exec_lo
	v_cmpx_ne_u16_e32 0x80, v5
	s_cbranch_execz .LBB450_6140
; %bb.6135:                             ;   in Loop: Header=BB450_3110 Depth=1
	v_and_b32_e32 v5, 0x7f, v2
	v_mov_b32_e32 v4, 0x7f800001
	s_mov_b32 s25, exec_lo
	s_delay_alu instid0(VALU_DEP_2)
	v_cmpx_ne_u32_e32 0x7f, v5
	s_cbranch_execz .LBB450_6139
; %bb.6136:                             ;   in Loop: Header=BB450_3110 Depth=1
	v_lshrrev_b32_e32 v4, 3, v5
	v_dual_mov_b32 v7, v3 :: v_dual_mov_b32 v6, v2
	s_mov_b32 s26, exec_lo
	v_cmpx_gt_u32_e32 8, v5
; %bb.6137:                             ;   in Loop: Header=BB450_3110 Depth=1
	v_and_b32_e32 v4, 7, v2
	s_delay_alu instid0(VALU_DEP_1) | instskip(NEXT) | instid1(VALU_DEP_1)
	v_clz_i32_u32_e32 v4, v4
	v_min_u32_e32 v4, 32, v4
	s_delay_alu instid0(VALU_DEP_1) | instskip(SKIP_1) | instid1(VALU_DEP_2)
	v_subrev_nc_u32_e32 v5, 28, v4
	v_sub_nc_u32_e32 v4, 29, v4
	v_lshlrev_b64 v[6:7], v5, v[2:3]
; %bb.6138:                             ;   in Loop: Header=BB450_3110 Depth=1
	s_or_b32 exec_lo, exec_lo, s26
	s_delay_alu instid0(VALU_DEP_1) | instskip(SKIP_2) | instid1(VALU_DEP_3)
	v_lshlrev_b32_e32 v5, 20, v6
	v_lshlrev_b32_e32 v6, 24, v2
	v_lshl_add_u32 v4, v4, 23, 0x3c000000
	v_and_b32_e32 v5, 0x700000, v5
	s_delay_alu instid0(VALU_DEP_3) | instskip(NEXT) | instid1(VALU_DEP_1)
	v_and_b32_e32 v6, 0x80000000, v6
	v_or3_b32 v4, v5, v6, v4
.LBB450_6139:                           ;   in Loop: Header=BB450_3110 Depth=1
	s_or_b32 exec_lo, exec_lo, s25
.LBB450_6140:                           ;   in Loop: Header=BB450_3110 Depth=1
	s_delay_alu instid0(SALU_CYCLE_1)
	s_or_b32 exec_lo, exec_lo, s24
.LBB450_6141:                           ;   in Loop: Header=BB450_3110 Depth=1
	s_delay_alu instid0(SALU_CYCLE_1) | instskip(NEXT) | instid1(VALU_DEP_1)
	s_or_b32 exec_lo, exec_lo, s23
	v_mul_f32_e32 v5, v160, v4
	s_delay_alu instid0(VALU_DEP_1) | instskip(NEXT) | instid1(VALU_DEP_1)
	v_and_b32_e32 v4, 0x7f800000, v5
	v_cmp_ne_u32_e64 s9, 0x7f800000, v4
                                        ; implicit-def: $vgpr4
	s_delay_alu instid0(VALU_DEP_1) | instskip(NEXT) | instid1(SALU_CYCLE_1)
	s_and_saveexec_b32 s23, s9
	s_xor_b32 s9, exec_lo, s23
; %bb.6142:                             ;   in Loop: Header=BB450_3110 Depth=1
	v_bfe_u32 v4, v5, 16, 1
	s_delay_alu instid0(VALU_DEP_1)
	v_add3_u32 v4, v5, v4, 0x7fff
                                        ; implicit-def: $vgpr5
; %bb.6143:                             ;   in Loop: Header=BB450_3110 Depth=1
	s_and_not1_saveexec_b32 s23, s9
; %bb.6144:                             ;   in Loop: Header=BB450_3110 Depth=1
	v_and_b32_e32 v4, 0xffff, v5
	v_or_b32_e32 v6, 0x10000, v5
	s_delay_alu instid0(VALU_DEP_2) | instskip(NEXT) | instid1(VALU_DEP_1)
	v_cmp_eq_u32_e64 s9, 0, v4
	v_cndmask_b32_e64 v4, v6, v5, s9
; %bb.6145:                             ;   in Loop: Header=BB450_3110 Depth=1
	s_or_b32 exec_lo, exec_lo, s23
	v_lshrrev_b16 v6, 8, v2
	v_mov_b32_e32 v5, 0
	s_mov_b32 s23, exec_lo
	s_delay_alu instid0(VALU_DEP_2)
	v_cmpx_ne_u16_e32 0, v6
	s_cbranch_execz .LBB450_6153
; %bb.6146:                             ;   in Loop: Header=BB450_3110 Depth=1
	v_bfrev_b32_e32 v5, 1
	s_mov_b32 s24, exec_lo
	v_cmpx_ne_u16_e32 0x80, v6
	s_cbranch_execz .LBB450_6152
; %bb.6147:                             ;   in Loop: Header=BB450_3110 Depth=1
	v_and_b32_e32 v6, 0xffff, v6
	v_mov_b32_e32 v5, 0x7f800001
	s_mov_b32 s25, exec_lo
	s_delay_alu instid0(VALU_DEP_2) | instskip(NEXT) | instid1(VALU_DEP_1)
	v_and_b32_e32 v21, 0x7f, v6
	v_cmpx_ne_u32_e32 0x7f, v21
	s_cbranch_execz .LBB450_6151
; %bb.6148:                             ;   in Loop: Header=BB450_3110 Depth=1
	v_and_b32_e32 v12, 7, v6
	v_lshrrev_b32_e32 v5, 3, v21
	s_mov_b32 s26, exec_lo
	s_delay_alu instid0(VALU_DEP_2)
	v_dual_mov_b32 v6, v12 :: v_dual_mov_b32 v7, v13
	v_cmpx_gt_u32_e32 8, v21
; %bb.6149:                             ;   in Loop: Header=BB450_3110 Depth=1
	v_clz_i32_u32_e32 v5, v12
	s_delay_alu instid0(VALU_DEP_1) | instskip(NEXT) | instid1(VALU_DEP_1)
	v_min_u32_e32 v5, 32, v5
	v_subrev_nc_u32_e32 v6, 28, v5
	v_sub_nc_u32_e32 v5, 29, v5
	s_delay_alu instid0(VALU_DEP_2) | instskip(NEXT) | instid1(VALU_DEP_1)
	v_lshlrev_b64 v[6:7], v6, v[12:13]
	v_and_b32_e32 v6, 7, v6
; %bb.6150:                             ;   in Loop: Header=BB450_3110 Depth=1
	s_or_b32 exec_lo, exec_lo, s26
	v_lshlrev_b32_e32 v7, 16, v2
	s_delay_alu instid0(VALU_DEP_2) | instskip(SKIP_1) | instid1(VALU_DEP_3)
	v_lshlrev_b32_e32 v6, 20, v6
	v_lshl_add_u32 v5, v5, 23, 0x3c000000
	v_and_b32_e32 v7, 0x80000000, v7
	s_delay_alu instid0(VALU_DEP_1)
	v_or3_b32 v5, v6, v7, v5
.LBB450_6151:                           ;   in Loop: Header=BB450_3110 Depth=1
	s_or_b32 exec_lo, exec_lo, s25
.LBB450_6152:                           ;   in Loop: Header=BB450_3110 Depth=1
	s_delay_alu instid0(SALU_CYCLE_1)
	s_or_b32 exec_lo, exec_lo, s24
.LBB450_6153:                           ;   in Loop: Header=BB450_3110 Depth=1
	s_delay_alu instid0(SALU_CYCLE_1) | instskip(NEXT) | instid1(VALU_DEP_1)
	s_or_b32 exec_lo, exec_lo, s23
	v_mul_f32_e32 v6, v160, v5
	s_delay_alu instid0(VALU_DEP_1) | instskip(NEXT) | instid1(VALU_DEP_1)
	v_and_b32_e32 v5, 0x7f800000, v6
	v_cmp_ne_u32_e64 s9, 0x7f800000, v5
                                        ; implicit-def: $vgpr5
	s_delay_alu instid0(VALU_DEP_1) | instskip(NEXT) | instid1(SALU_CYCLE_1)
	s_and_saveexec_b32 s23, s9
	s_xor_b32 s9, exec_lo, s23
; %bb.6154:                             ;   in Loop: Header=BB450_3110 Depth=1
	v_bfe_u32 v5, v6, 16, 1
	s_delay_alu instid0(VALU_DEP_1)
	v_add3_u32 v5, v6, v5, 0x7fff
                                        ; implicit-def: $vgpr6
; %bb.6155:                             ;   in Loop: Header=BB450_3110 Depth=1
	s_and_not1_saveexec_b32 s23, s9
; %bb.6156:                             ;   in Loop: Header=BB450_3110 Depth=1
	v_and_b32_e32 v5, 0xffff, v6
	v_or_b32_e32 v7, 0x10000, v6
	s_delay_alu instid0(VALU_DEP_2) | instskip(NEXT) | instid1(VALU_DEP_1)
	v_cmp_eq_u32_e64 s9, 0, v5
	v_cndmask_b32_e64 v5, v7, v6, s9
; %bb.6157:                             ;   in Loop: Header=BB450_3110 Depth=1
	s_or_b32 exec_lo, exec_lo, s23
	v_lshrrev_b32_e32 v21, 16, v2
	s_mov_b32 s23, exec_lo
	s_delay_alu instid0(VALU_DEP_1) | instskip(NEXT) | instid1(VALU_DEP_1)
	v_dual_mov_b32 v6, 0 :: v_dual_and_b32 v7, 0xff, v21
	v_cmpx_ne_u16_e32 0, v7
	s_cbranch_execz .LBB450_6165
; %bb.6158:                             ;   in Loop: Header=BB450_3110 Depth=1
	v_bfrev_b32_e32 v6, 1
	s_mov_b32 s24, exec_lo
	v_cmpx_ne_u16_e32 0x80, v7
	s_cbranch_execz .LBB450_6164
; %bb.6159:                             ;   in Loop: Header=BB450_3110 Depth=1
	v_bfe_u32 v37, v2, 16, 7
	v_mov_b32_e32 v6, 0x7f800001
	s_mov_b32 s25, exec_lo
	s_delay_alu instid0(VALU_DEP_2)
	v_cmpx_ne_u32_e32 0x7f, v37
	s_cbranch_execz .LBB450_6163
; %bb.6160:                             ;   in Loop: Header=BB450_3110 Depth=1
	v_and_b32_e32 v12, 7, v21
	s_mov_b32 s26, exec_lo
	s_delay_alu instid0(VALU_DEP_1)
	v_dual_mov_b32 v6, v12 :: v_dual_mov_b32 v7, v13
	v_lshrrev_b32_e32 v7, 3, v37
	v_cmpx_gt_u32_e32 8, v37
; %bb.6161:                             ;   in Loop: Header=BB450_3110 Depth=1
	v_clz_i32_u32_e32 v6, v12
	s_delay_alu instid0(VALU_DEP_1) | instskip(NEXT) | instid1(VALU_DEP_1)
	v_min_u32_e32 v37, 32, v6
	v_subrev_nc_u32_e32 v6, 28, v37
	s_delay_alu instid0(VALU_DEP_1) | instskip(SKIP_1) | instid1(VALU_DEP_2)
	v_lshlrev_b64 v[6:7], v6, v[12:13]
	v_sub_nc_u32_e32 v7, 29, v37
	v_and_b32_e32 v6, 7, v6
; %bb.6162:                             ;   in Loop: Header=BB450_3110 Depth=1
	s_or_b32 exec_lo, exec_lo, s26
	v_lshlrev_b32_e32 v12, 24, v21
	s_delay_alu instid0(VALU_DEP_2) | instskip(SKIP_1) | instid1(VALU_DEP_3)
	v_lshlrev_b32_e32 v6, 20, v6
	v_lshl_add_u32 v7, v7, 23, 0x3c000000
	v_and_b32_e32 v12, 0x80000000, v12
	s_delay_alu instid0(VALU_DEP_1)
	v_or3_b32 v6, v6, v12, v7
.LBB450_6163:                           ;   in Loop: Header=BB450_3110 Depth=1
	s_or_b32 exec_lo, exec_lo, s25
.LBB450_6164:                           ;   in Loop: Header=BB450_3110 Depth=1
	s_delay_alu instid0(SALU_CYCLE_1)
	s_or_b32 exec_lo, exec_lo, s24
.LBB450_6165:                           ;   in Loop: Header=BB450_3110 Depth=1
	s_delay_alu instid0(SALU_CYCLE_1) | instskip(NEXT) | instid1(VALU_DEP_1)
	s_or_b32 exec_lo, exec_lo, s23
	v_mul_f32_e32 v6, v160, v6
                                        ; implicit-def: $vgpr21
	s_delay_alu instid0(VALU_DEP_1) | instskip(NEXT) | instid1(VALU_DEP_1)
	v_and_b32_e32 v7, 0x7f800000, v6
	v_cmp_ne_u32_e64 s9, 0x7f800000, v7
	s_delay_alu instid0(VALU_DEP_1) | instskip(NEXT) | instid1(SALU_CYCLE_1)
	s_and_saveexec_b32 s23, s9
	s_xor_b32 s9, exec_lo, s23
; %bb.6166:                             ;   in Loop: Header=BB450_3110 Depth=1
	v_bfe_u32 v7, v6, 16, 1
	s_delay_alu instid0(VALU_DEP_1)
	v_add3_u32 v21, v6, v7, 0x7fff
                                        ; implicit-def: $vgpr6
; %bb.6167:                             ;   in Loop: Header=BB450_3110 Depth=1
	s_and_not1_saveexec_b32 s23, s9
; %bb.6168:                             ;   in Loop: Header=BB450_3110 Depth=1
	v_and_b32_e32 v7, 0xffff, v6
	v_or_b32_e32 v12, 0x10000, v6
	s_delay_alu instid0(VALU_DEP_2) | instskip(NEXT) | instid1(VALU_DEP_1)
	v_cmp_eq_u32_e64 s9, 0, v7
	v_cndmask_b32_e64 v21, v12, v6, s9
; %bb.6169:                             ;   in Loop: Header=BB450_3110 Depth=1
	s_or_b32 exec_lo, exec_lo, s23
	v_mov_b32_e32 v6, 0
	s_mov_b32 s23, exec_lo
	v_cmpx_lt_u32_e32 0xffffff, v2
	s_cbranch_execz .LBB450_6177
; %bb.6170:                             ;   in Loop: Header=BB450_3110 Depth=1
	v_lshrrev_b32_e32 v37, 24, v2
	v_bfrev_b32_e32 v6, 1
	s_mov_b32 s24, exec_lo
	s_delay_alu instid0(VALU_DEP_2)
	v_cmpx_ne_u32_e32 0x80, v37
	s_cbranch_execz .LBB450_6176
; %bb.6171:                             ;   in Loop: Header=BB450_3110 Depth=1
	v_bfe_u32 v38, v2, 24, 7
	v_mov_b32_e32 v6, 0x7f800001
	s_mov_b32 s25, exec_lo
	s_delay_alu instid0(VALU_DEP_2)
	v_cmpx_ne_u32_e32 0x7f, v38
	s_cbranch_execz .LBB450_6175
; %bb.6172:                             ;   in Loop: Header=BB450_3110 Depth=1
	v_and_b32_e32 v12, 7, v37
	s_mov_b32 s26, exec_lo
	s_delay_alu instid0(VALU_DEP_1)
	v_dual_mov_b32 v6, v12 :: v_dual_mov_b32 v7, v13
	v_lshrrev_b32_e32 v7, 3, v38
	v_cmpx_gt_u32_e32 8, v38
; %bb.6173:                             ;   in Loop: Header=BB450_3110 Depth=1
	v_clz_i32_u32_e32 v6, v12
	s_delay_alu instid0(VALU_DEP_1) | instskip(NEXT) | instid1(VALU_DEP_1)
	v_min_u32_e32 v38, 32, v6
	v_subrev_nc_u32_e32 v6, 28, v38
	s_delay_alu instid0(VALU_DEP_1) | instskip(SKIP_1) | instid1(VALU_DEP_2)
	v_lshlrev_b64 v[6:7], v6, v[12:13]
	v_sub_nc_u32_e32 v7, 29, v38
	v_and_b32_e32 v6, 7, v6
; %bb.6174:                             ;   in Loop: Header=BB450_3110 Depth=1
	s_or_b32 exec_lo, exec_lo, s26
	v_lshlrev_b32_e32 v12, 24, v37
	s_delay_alu instid0(VALU_DEP_2) | instskip(SKIP_1) | instid1(VALU_DEP_3)
	v_lshlrev_b32_e32 v6, 20, v6
	v_lshl_add_u32 v7, v7, 23, 0x3c000000
	v_and_b32_e32 v12, 0x80000000, v12
	s_delay_alu instid0(VALU_DEP_1)
	v_or3_b32 v6, v6, v12, v7
.LBB450_6175:                           ;   in Loop: Header=BB450_3110 Depth=1
	s_or_b32 exec_lo, exec_lo, s25
.LBB450_6176:                           ;   in Loop: Header=BB450_3110 Depth=1
	s_delay_alu instid0(SALU_CYCLE_1)
	s_or_b32 exec_lo, exec_lo, s24
.LBB450_6177:                           ;   in Loop: Header=BB450_3110 Depth=1
	s_delay_alu instid0(SALU_CYCLE_1) | instskip(NEXT) | instid1(VALU_DEP_1)
	s_or_b32 exec_lo, exec_lo, s23
	v_mul_f32_e32 v6, v160, v6
                                        ; implicit-def: $vgpr37
	s_delay_alu instid0(VALU_DEP_1) | instskip(NEXT) | instid1(VALU_DEP_1)
	v_and_b32_e32 v7, 0x7f800000, v6
	v_cmp_ne_u32_e64 s9, 0x7f800000, v7
	s_delay_alu instid0(VALU_DEP_1) | instskip(NEXT) | instid1(SALU_CYCLE_1)
	s_and_saveexec_b32 s23, s9
	s_xor_b32 s9, exec_lo, s23
; %bb.6178:                             ;   in Loop: Header=BB450_3110 Depth=1
	v_bfe_u32 v7, v6, 16, 1
	s_delay_alu instid0(VALU_DEP_1)
	v_add3_u32 v37, v6, v7, 0x7fff
                                        ; implicit-def: $vgpr6
; %bb.6179:                             ;   in Loop: Header=BB450_3110 Depth=1
	s_and_not1_saveexec_b32 s23, s9
; %bb.6180:                             ;   in Loop: Header=BB450_3110 Depth=1
	v_and_b32_e32 v7, 0xffff, v6
	v_or_b32_e32 v12, 0x10000, v6
	s_delay_alu instid0(VALU_DEP_2) | instskip(NEXT) | instid1(VALU_DEP_1)
	v_cmp_eq_u32_e64 s9, 0, v7
	v_cndmask_b32_e64 v37, v12, v6, s9
; %bb.6181:                             ;   in Loop: Header=BB450_3110 Depth=1
	s_or_b32 exec_lo, exec_lo, s23
	v_dual_mov_b32 v12, v3 :: v_dual_and_b32 v7, 0xff, v3
	v_mov_b32_e32 v6, 0
	s_mov_b32 s23, exec_lo
	s_delay_alu instid0(VALU_DEP_2)
	v_cmpx_ne_u16_e32 0, v7
	s_cbranch_execz .LBB450_6189
; %bb.6182:                             ;   in Loop: Header=BB450_3110 Depth=1
	v_bfrev_b32_e32 v6, 1
	s_mov_b32 s24, exec_lo
	v_cmpx_ne_u16_e32 0x80, v7
	s_cbranch_execz .LBB450_6188
; %bb.6183:                             ;   in Loop: Header=BB450_3110 Depth=1
	v_and_b32_e32 v38, 0x7f, v3
	v_mov_b32_e32 v6, 0x7f800001
	s_mov_b32 s25, exec_lo
	s_delay_alu instid0(VALU_DEP_2)
	v_cmpx_ne_u32_e32 0x7f, v38
	s_cbranch_execz .LBB450_6187
; %bb.6184:                             ;   in Loop: Header=BB450_3110 Depth=1
	v_dual_mov_b32 v6, v12 :: v_dual_mov_b32 v7, v13
	v_lshrrev_b32_e32 v7, 3, v38
	s_mov_b32 s26, exec_lo
	v_cmpx_gt_u32_e32 8, v38
; %bb.6185:                             ;   in Loop: Header=BB450_3110 Depth=1
	v_and_b32_e32 v6, 7, v3
	s_delay_alu instid0(VALU_DEP_1) | instskip(NEXT) | instid1(VALU_DEP_1)
	v_clz_i32_u32_e32 v6, v6
	v_min_u32_e32 v38, 32, v6
	s_delay_alu instid0(VALU_DEP_1) | instskip(NEXT) | instid1(VALU_DEP_1)
	v_subrev_nc_u32_e32 v6, 28, v38
	v_lshlrev_b64 v[6:7], v6, v[12:13]
	v_sub_nc_u32_e32 v7, 29, v38
; %bb.6186:                             ;   in Loop: Header=BB450_3110 Depth=1
	s_or_b32 exec_lo, exec_lo, s26
	s_delay_alu instid0(VALU_DEP_2) | instskip(SKIP_1) | instid1(VALU_DEP_3)
	v_lshlrev_b32_e32 v6, 20, v6
	v_lshlrev_b32_e32 v38, 24, v12
	v_lshl_add_u32 v7, v7, 23, 0x3c000000
	s_delay_alu instid0(VALU_DEP_3) | instskip(NEXT) | instid1(VALU_DEP_3)
	v_and_b32_e32 v6, 0x700000, v6
	v_and_b32_e32 v38, 0x80000000, v38
	s_delay_alu instid0(VALU_DEP_1)
	v_or3_b32 v6, v6, v38, v7
.LBB450_6187:                           ;   in Loop: Header=BB450_3110 Depth=1
	s_or_b32 exec_lo, exec_lo, s25
.LBB450_6188:                           ;   in Loop: Header=BB450_3110 Depth=1
	s_delay_alu instid0(SALU_CYCLE_1)
	s_or_b32 exec_lo, exec_lo, s24
.LBB450_6189:                           ;   in Loop: Header=BB450_3110 Depth=1
	s_delay_alu instid0(SALU_CYCLE_1) | instskip(NEXT) | instid1(VALU_DEP_1)
	s_or_b32 exec_lo, exec_lo, s23
	v_mul_f32_e32 v6, v160, v6
                                        ; implicit-def: $vgpr38
	s_delay_alu instid0(VALU_DEP_1) | instskip(NEXT) | instid1(VALU_DEP_1)
	v_and_b32_e32 v7, 0x7f800000, v6
	v_cmp_ne_u32_e64 s9, 0x7f800000, v7
	s_delay_alu instid0(VALU_DEP_1) | instskip(NEXT) | instid1(SALU_CYCLE_1)
	s_and_saveexec_b32 s23, s9
	s_xor_b32 s9, exec_lo, s23
; %bb.6190:                             ;   in Loop: Header=BB450_3110 Depth=1
	v_bfe_u32 v7, v6, 16, 1
	s_delay_alu instid0(VALU_DEP_1)
	v_add3_u32 v38, v6, v7, 0x7fff
                                        ; implicit-def: $vgpr6
; %bb.6191:                             ;   in Loop: Header=BB450_3110 Depth=1
	s_and_not1_saveexec_b32 s23, s9
; %bb.6192:                             ;   in Loop: Header=BB450_3110 Depth=1
	v_and_b32_e32 v7, 0xffff, v6
	v_or_b32_e32 v38, 0x10000, v6
	s_delay_alu instid0(VALU_DEP_2) | instskip(NEXT) | instid1(VALU_DEP_1)
	v_cmp_eq_u32_e64 s9, 0, v7
	v_cndmask_b32_e64 v38, v38, v6, s9
; %bb.6193:                             ;   in Loop: Header=BB450_3110 Depth=1
	s_or_b32 exec_lo, exec_lo, s23
	v_lshrrev_b16 v7, 8, v12
	v_mov_b32_e32 v6, 0
	s_mov_b32 s23, exec_lo
	s_delay_alu instid0(VALU_DEP_2)
	v_cmpx_ne_u16_e32 0, v7
	s_cbranch_execz .LBB450_6201
; %bb.6194:                             ;   in Loop: Header=BB450_3110 Depth=1
	v_bfrev_b32_e32 v6, 1
	s_mov_b32 s24, exec_lo
	v_cmpx_ne_u16_e32 0x80, v7
	s_cbranch_execz .LBB450_6200
; %bb.6195:                             ;   in Loop: Header=BB450_3110 Depth=1
	v_and_b32_e32 v7, 0xffff, v7
	v_mov_b32_e32 v6, 0x7f800001
	s_mov_b32 s25, exec_lo
	s_delay_alu instid0(VALU_DEP_2) | instskip(NEXT) | instid1(VALU_DEP_1)
	v_and_b32_e32 v54, 0x7f, v7
	v_cmpx_ne_u32_e32 0x7f, v54
	s_cbranch_execz .LBB450_6199
; %bb.6196:                             ;   in Loop: Header=BB450_3110 Depth=1
	v_dual_mov_b32 v7, v13 :: v_dual_and_b32 v6, 7, v7
	v_lshrrev_b32_e32 v53, 3, v54
	s_mov_b32 s26, exec_lo
	v_cmpx_gt_u32_e32 8, v54
; %bb.6197:                             ;   in Loop: Header=BB450_3110 Depth=1
	s_delay_alu instid0(VALU_DEP_3) | instskip(NEXT) | instid1(VALU_DEP_1)
	v_clz_i32_u32_e32 v53, v6
	v_min_u32_e32 v53, 32, v53
	s_delay_alu instid0(VALU_DEP_1) | instskip(SKIP_1) | instid1(VALU_DEP_2)
	v_subrev_nc_u32_e32 v54, 28, v53
	v_sub_nc_u32_e32 v53, 29, v53
	v_lshlrev_b64 v[6:7], v54, v[6:7]
	s_delay_alu instid0(VALU_DEP_1)
	v_and_b32_e32 v6, 7, v6
; %bb.6198:                             ;   in Loop: Header=BB450_3110 Depth=1
	s_or_b32 exec_lo, exec_lo, s26
	v_lshlrev_b32_e32 v7, 16, v12
	s_delay_alu instid0(VALU_DEP_2) | instskip(SKIP_1) | instid1(VALU_DEP_3)
	v_lshlrev_b32_e32 v6, 20, v6
	v_lshl_add_u32 v12, v53, 23, 0x3c000000
	v_and_b32_e32 v7, 0x80000000, v7
	s_delay_alu instid0(VALU_DEP_1)
	v_or3_b32 v6, v6, v7, v12
.LBB450_6199:                           ;   in Loop: Header=BB450_3110 Depth=1
	s_or_b32 exec_lo, exec_lo, s25
.LBB450_6200:                           ;   in Loop: Header=BB450_3110 Depth=1
	s_delay_alu instid0(SALU_CYCLE_1)
	s_or_b32 exec_lo, exec_lo, s24
.LBB450_6201:                           ;   in Loop: Header=BB450_3110 Depth=1
	s_delay_alu instid0(SALU_CYCLE_1) | instskip(NEXT) | instid1(VALU_DEP_1)
	s_or_b32 exec_lo, exec_lo, s23
	v_mul_f32_e32 v6, v160, v6
                                        ; implicit-def: $vgpr53
	s_delay_alu instid0(VALU_DEP_1) | instskip(NEXT) | instid1(VALU_DEP_1)
	v_and_b32_e32 v7, 0x7f800000, v6
	v_cmp_ne_u32_e64 s9, 0x7f800000, v7
	s_delay_alu instid0(VALU_DEP_1) | instskip(NEXT) | instid1(SALU_CYCLE_1)
	s_and_saveexec_b32 s23, s9
	s_xor_b32 s9, exec_lo, s23
; %bb.6202:                             ;   in Loop: Header=BB450_3110 Depth=1
	v_bfe_u32 v7, v6, 16, 1
	s_delay_alu instid0(VALU_DEP_1)
	v_add3_u32 v53, v6, v7, 0x7fff
                                        ; implicit-def: $vgpr6
; %bb.6203:                             ;   in Loop: Header=BB450_3110 Depth=1
	s_and_not1_saveexec_b32 s23, s9
; %bb.6204:                             ;   in Loop: Header=BB450_3110 Depth=1
	v_and_b32_e32 v7, 0xffff, v6
	v_or_b32_e32 v12, 0x10000, v6
	s_delay_alu instid0(VALU_DEP_2) | instskip(NEXT) | instid1(VALU_DEP_1)
	v_cmp_eq_u32_e64 s9, 0, v7
	v_cndmask_b32_e64 v53, v12, v6, s9
; %bb.6205:                             ;   in Loop: Header=BB450_3110 Depth=1
	s_or_b32 exec_lo, exec_lo, s23
	v_lshrrev_b32_e32 v54, 16, v3
	s_mov_b32 s23, exec_lo
	s_delay_alu instid0(VALU_DEP_1) | instskip(NEXT) | instid1(VALU_DEP_1)
	v_dual_mov_b32 v6, 0 :: v_dual_and_b32 v7, 0xff, v54
	v_cmpx_ne_u16_e32 0, v7
	s_cbranch_execz .LBB450_6213
; %bb.6206:                             ;   in Loop: Header=BB450_3110 Depth=1
	v_bfrev_b32_e32 v6, 1
	s_mov_b32 s24, exec_lo
	v_cmpx_ne_u16_e32 0x80, v7
	s_cbranch_execz .LBB450_6212
; %bb.6207:                             ;   in Loop: Header=BB450_3110 Depth=1
	v_bfe_u32 v55, v3, 16, 7
	v_mov_b32_e32 v6, 0x7f800001
	s_mov_b32 s25, exec_lo
	s_delay_alu instid0(VALU_DEP_2)
	v_cmpx_ne_u32_e32 0x7f, v55
	s_cbranch_execz .LBB450_6211
; %bb.6208:                             ;   in Loop: Header=BB450_3110 Depth=1
	v_and_b32_e32 v12, 7, v54
	s_mov_b32 s26, exec_lo
	s_delay_alu instid0(VALU_DEP_1)
	v_dual_mov_b32 v6, v12 :: v_dual_mov_b32 v7, v13
	v_lshrrev_b32_e32 v7, 3, v55
	v_cmpx_gt_u32_e32 8, v55
; %bb.6209:                             ;   in Loop: Header=BB450_3110 Depth=1
	v_clz_i32_u32_e32 v6, v12
	s_delay_alu instid0(VALU_DEP_1) | instskip(NEXT) | instid1(VALU_DEP_1)
	v_min_u32_e32 v55, 32, v6
	v_subrev_nc_u32_e32 v6, 28, v55
	s_delay_alu instid0(VALU_DEP_1) | instskip(SKIP_1) | instid1(VALU_DEP_2)
	v_lshlrev_b64 v[6:7], v6, v[12:13]
	v_sub_nc_u32_e32 v7, 29, v55
	v_and_b32_e32 v6, 7, v6
; %bb.6210:                             ;   in Loop: Header=BB450_3110 Depth=1
	s_or_b32 exec_lo, exec_lo, s26
	v_lshlrev_b32_e32 v12, 24, v54
	s_delay_alu instid0(VALU_DEP_2) | instskip(SKIP_1) | instid1(VALU_DEP_3)
	v_lshlrev_b32_e32 v6, 20, v6
	v_lshl_add_u32 v7, v7, 23, 0x3c000000
	v_and_b32_e32 v12, 0x80000000, v12
	s_delay_alu instid0(VALU_DEP_1)
	v_or3_b32 v6, v6, v12, v7
.LBB450_6211:                           ;   in Loop: Header=BB450_3110 Depth=1
	s_or_b32 exec_lo, exec_lo, s25
.LBB450_6212:                           ;   in Loop: Header=BB450_3110 Depth=1
	s_delay_alu instid0(SALU_CYCLE_1)
	s_or_b32 exec_lo, exec_lo, s24
.LBB450_6213:                           ;   in Loop: Header=BB450_3110 Depth=1
	s_delay_alu instid0(SALU_CYCLE_1) | instskip(NEXT) | instid1(VALU_DEP_1)
	s_or_b32 exec_lo, exec_lo, s23
	v_mul_f32_e32 v6, v160, v6
                                        ; implicit-def: $vgpr54
	s_delay_alu instid0(VALU_DEP_1) | instskip(NEXT) | instid1(VALU_DEP_1)
	v_and_b32_e32 v7, 0x7f800000, v6
	v_cmp_ne_u32_e64 s9, 0x7f800000, v7
	s_delay_alu instid0(VALU_DEP_1) | instskip(NEXT) | instid1(SALU_CYCLE_1)
	s_and_saveexec_b32 s23, s9
	s_xor_b32 s9, exec_lo, s23
; %bb.6214:                             ;   in Loop: Header=BB450_3110 Depth=1
	v_bfe_u32 v7, v6, 16, 1
	s_delay_alu instid0(VALU_DEP_1)
	v_add3_u32 v54, v6, v7, 0x7fff
                                        ; implicit-def: $vgpr6
; %bb.6215:                             ;   in Loop: Header=BB450_3110 Depth=1
	s_and_not1_saveexec_b32 s23, s9
; %bb.6216:                             ;   in Loop: Header=BB450_3110 Depth=1
	v_and_b32_e32 v7, 0xffff, v6
	v_or_b32_e32 v12, 0x10000, v6
	s_delay_alu instid0(VALU_DEP_2) | instskip(NEXT) | instid1(VALU_DEP_1)
	v_cmp_eq_u32_e64 s9, 0, v7
	v_cndmask_b32_e64 v54, v12, v6, s9
; %bb.6217:                             ;   in Loop: Header=BB450_3110 Depth=1
	s_or_b32 exec_lo, exec_lo, s23
	v_cmp_lt_u64_e64 s9, s[18:19], v[2:3]
	v_mov_b32_e32 v2, 0
	s_delay_alu instid0(VALU_DEP_2)
	s_and_saveexec_b32 s23, s9
	s_cbranch_execz .LBB450_6225
; %bb.6218:                             ;   in Loop: Header=BB450_3110 Depth=1
	v_lshrrev_b32_e32 v6, 24, v3
	v_bfrev_b32_e32 v2, 1
	s_mov_b32 s24, exec_lo
	s_delay_alu instid0(VALU_DEP_2)
	v_cmpx_ne_u32_e32 0x80, v6
	s_cbranch_execz .LBB450_6224
; %bb.6219:                             ;   in Loop: Header=BB450_3110 Depth=1
	v_bfe_u32 v7, v3, 24, 7
	v_mov_b32_e32 v2, 0x7f800001
	s_mov_b32 s25, exec_lo
	s_delay_alu instid0(VALU_DEP_2)
	v_cmpx_ne_u32_e32 0x7f, v7
	s_cbranch_execz .LBB450_6223
; %bb.6220:                             ;   in Loop: Header=BB450_3110 Depth=1
	v_and_b32_e32 v12, 7, v6
	s_mov_b32 s26, exec_lo
	s_delay_alu instid0(VALU_DEP_1)
	v_dual_mov_b32 v2, v12 :: v_dual_mov_b32 v3, v13
	v_lshrrev_b32_e32 v3, 3, v7
	v_cmpx_gt_u32_e32 8, v7
; %bb.6221:                             ;   in Loop: Header=BB450_3110 Depth=1
	v_clz_i32_u32_e32 v2, v12
	s_delay_alu instid0(VALU_DEP_1) | instskip(NEXT) | instid1(VALU_DEP_1)
	v_min_u32_e32 v7, 32, v2
	v_subrev_nc_u32_e32 v2, 28, v7
	s_delay_alu instid0(VALU_DEP_1) | instskip(SKIP_1) | instid1(VALU_DEP_2)
	v_lshlrev_b64 v[2:3], v2, v[12:13]
	v_sub_nc_u32_e32 v3, 29, v7
	v_and_b32_e32 v2, 7, v2
; %bb.6222:                             ;   in Loop: Header=BB450_3110 Depth=1
	s_or_b32 exec_lo, exec_lo, s26
	v_lshlrev_b32_e32 v6, 24, v6
	s_delay_alu instid0(VALU_DEP_2) | instskip(SKIP_1) | instid1(VALU_DEP_3)
	v_lshlrev_b32_e32 v2, 20, v2
	v_lshl_add_u32 v3, v3, 23, 0x3c000000
	v_and_b32_e32 v6, 0x80000000, v6
	s_delay_alu instid0(VALU_DEP_1)
	v_or3_b32 v2, v2, v6, v3
.LBB450_6223:                           ;   in Loop: Header=BB450_3110 Depth=1
	s_or_b32 exec_lo, exec_lo, s25
.LBB450_6224:                           ;   in Loop: Header=BB450_3110 Depth=1
	s_delay_alu instid0(SALU_CYCLE_1)
	s_or_b32 exec_lo, exec_lo, s24
.LBB450_6225:                           ;   in Loop: Header=BB450_3110 Depth=1
	s_delay_alu instid0(SALU_CYCLE_1) | instskip(NEXT) | instid1(VALU_DEP_1)
	s_or_b32 exec_lo, exec_lo, s23
	v_mul_f32_e32 v3, v160, v2
	s_delay_alu instid0(VALU_DEP_1) | instskip(NEXT) | instid1(VALU_DEP_1)
	v_and_b32_e32 v2, 0x7f800000, v3
	v_cmp_ne_u32_e64 s9, 0x7f800000, v2
                                        ; implicit-def: $vgpr2
	s_delay_alu instid0(VALU_DEP_1) | instskip(NEXT) | instid1(SALU_CYCLE_1)
	s_and_saveexec_b32 s23, s9
	s_xor_b32 s9, exec_lo, s23
; %bb.6226:                             ;   in Loop: Header=BB450_3110 Depth=1
	v_bfe_u32 v2, v3, 16, 1
	s_delay_alu instid0(VALU_DEP_1)
	v_add3_u32 v2, v3, v2, 0x7fff
                                        ; implicit-def: $vgpr3
; %bb.6227:                             ;   in Loop: Header=BB450_3110 Depth=1
	s_and_not1_saveexec_b32 s23, s9
; %bb.6228:                             ;   in Loop: Header=BB450_3110 Depth=1
	v_and_b32_e32 v2, 0xffff, v3
	v_or_b32_e32 v6, 0x10000, v3
	s_delay_alu instid0(VALU_DEP_2) | instskip(NEXT) | instid1(VALU_DEP_1)
	v_cmp_eq_u32_e64 s9, 0, v2
	v_cndmask_b32_e64 v2, v6, v3, s9
; %bb.6229:                             ;   in Loop: Header=BB450_3110 Depth=1
	s_or_b32 exec_lo, exec_lo, s23
	v_lshrrev_b32_e32 v6, 16, v53
	v_lshrrev_b32_e32 v7, 16, v38
	;; [unrolled: 1-line block ×8, first 2 shown]
	s_and_saveexec_b32 s9, s1
; %bb.6230:                             ;   in Loop: Header=BB450_3110 Depth=1
	s_delay_alu instid0(VALU_DEP_3)
	v_cndmask_b32_e32 v4, 0, v4, vcc_lo
	v_cndmask_b32_e64 v5, 0, v5, s2
	v_cndmask_b32_e64 v21, 0, v21, s3
	;; [unrolled: 1-line block ×7, first 2 shown]
; %bb.6231:                             ;   in Loop: Header=BB450_3110 Depth=1
	s_or_b32 exec_lo, exec_lo, s9
	v_lshlrev_b32_e32 v4, 16, v4
                                        ; implicit-def: $vgpr53
	s_delay_alu instid0(VALU_DEP_1) | instskip(NEXT) | instid1(VALU_DEP_1)
	v_mul_f32_e32 v4, v161, v4
	v_and_b32_e32 v37, 0x7f800000, v4
	s_delay_alu instid0(VALU_DEP_1) | instskip(NEXT) | instid1(VALU_DEP_1)
	v_cmp_ne_u32_e64 s9, 0x7f800000, v37
	s_and_saveexec_b32 s23, s9
	s_delay_alu instid0(SALU_CYCLE_1)
	s_xor_b32 s9, exec_lo, s23
; %bb.6232:                             ;   in Loop: Header=BB450_3110 Depth=1
	v_bfe_u32 v37, v4, 16, 1
	s_delay_alu instid0(VALU_DEP_1)
	v_add3_u32 v53, v4, v37, 0x7fff
                                        ; implicit-def: $vgpr4
; %bb.6233:                             ;   in Loop: Header=BB450_3110 Depth=1
	s_and_not1_saveexec_b32 s23, s9
; %bb.6234:                             ;   in Loop: Header=BB450_3110 Depth=1
	v_and_b32_e32 v37, 0xffff, v4
	v_or_b32_e32 v38, 0x10000, v4
	s_delay_alu instid0(VALU_DEP_2) | instskip(NEXT) | instid1(VALU_DEP_1)
	v_cmp_eq_u32_e64 s9, 0, v37
	v_cndmask_b32_e64 v53, v38, v4, s9
; %bb.6235:                             ;   in Loop: Header=BB450_3110 Depth=1
	s_or_b32 exec_lo, exec_lo, s23
	v_lshlrev_b32_e32 v4, 16, v5
                                        ; implicit-def: $vgpr54
	s_delay_alu instid0(VALU_DEP_1) | instskip(NEXT) | instid1(VALU_DEP_1)
	v_mul_f32_e32 v4, v162, v4
	v_and_b32_e32 v5, 0x7f800000, v4
	s_delay_alu instid0(VALU_DEP_1) | instskip(NEXT) | instid1(VALU_DEP_1)
	v_cmp_ne_u32_e64 s9, 0x7f800000, v5
	s_and_saveexec_b32 s23, s9
	s_delay_alu instid0(SALU_CYCLE_1)
	s_xor_b32 s9, exec_lo, s23
; %bb.6236:                             ;   in Loop: Header=BB450_3110 Depth=1
	v_bfe_u32 v5, v4, 16, 1
	s_delay_alu instid0(VALU_DEP_1)
	v_add3_u32 v54, v4, v5, 0x7fff
                                        ; implicit-def: $vgpr4
; %bb.6237:                             ;   in Loop: Header=BB450_3110 Depth=1
	s_and_not1_saveexec_b32 s23, s9
; %bb.6238:                             ;   in Loop: Header=BB450_3110 Depth=1
	v_and_b32_e32 v5, 0xffff, v4
	v_or_b32_e32 v37, 0x10000, v4
	s_delay_alu instid0(VALU_DEP_2) | instskip(NEXT) | instid1(VALU_DEP_1)
	v_cmp_eq_u32_e64 s9, 0, v5
	v_cndmask_b32_e64 v54, v37, v4, s9
; %bb.6239:                             ;   in Loop: Header=BB450_3110 Depth=1
	s_or_b32 exec_lo, exec_lo, s23
	v_lshlrev_b32_e32 v4, 16, v21
                                        ; implicit-def: $vgpr55
	s_delay_alu instid0(VALU_DEP_1) | instskip(NEXT) | instid1(VALU_DEP_1)
	v_mul_f32_e32 v4, v163, v4
	v_and_b32_e32 v5, 0x7f800000, v4
	s_delay_alu instid0(VALU_DEP_1) | instskip(NEXT) | instid1(VALU_DEP_1)
	v_cmp_ne_u32_e64 s9, 0x7f800000, v5
	s_and_saveexec_b32 s23, s9
	s_delay_alu instid0(SALU_CYCLE_1)
	s_xor_b32 s9, exec_lo, s23
; %bb.6240:                             ;   in Loop: Header=BB450_3110 Depth=1
	v_bfe_u32 v5, v4, 16, 1
	s_delay_alu instid0(VALU_DEP_1)
	v_add3_u32 v55, v4, v5, 0x7fff
                                        ; implicit-def: $vgpr4
; %bb.6241:                             ;   in Loop: Header=BB450_3110 Depth=1
	s_and_not1_saveexec_b32 s23, s9
; %bb.6242:                             ;   in Loop: Header=BB450_3110 Depth=1
	v_and_b32_e32 v5, 0xffff, v4
	v_or_b32_e32 v21, 0x10000, v4
	s_delay_alu instid0(VALU_DEP_2) | instskip(NEXT) | instid1(VALU_DEP_1)
	v_cmp_eq_u32_e64 s9, 0, v5
	v_cndmask_b32_e64 v55, v21, v4, s9
; %bb.6243:                             ;   in Loop: Header=BB450_3110 Depth=1
	s_or_b32 exec_lo, exec_lo, s23
	v_lshlrev_b32_e32 v4, 16, v12
                                        ; implicit-def: $vgpr64
	s_delay_alu instid0(VALU_DEP_1) | instskip(NEXT) | instid1(VALU_DEP_1)
	v_mul_f32_e32 v4, v164, v4
	v_and_b32_e32 v5, 0x7f800000, v4
	s_delay_alu instid0(VALU_DEP_1) | instskip(NEXT) | instid1(VALU_DEP_1)
	v_cmp_ne_u32_e64 s9, 0x7f800000, v5
	s_and_saveexec_b32 s23, s9
	s_delay_alu instid0(SALU_CYCLE_1)
	s_xor_b32 s9, exec_lo, s23
; %bb.6244:                             ;   in Loop: Header=BB450_3110 Depth=1
	v_bfe_u32 v5, v4, 16, 1
	s_delay_alu instid0(VALU_DEP_1)
	v_add3_u32 v64, v4, v5, 0x7fff
                                        ; implicit-def: $vgpr4
; %bb.6245:                             ;   in Loop: Header=BB450_3110 Depth=1
	s_and_not1_saveexec_b32 s23, s9
; %bb.6246:                             ;   in Loop: Header=BB450_3110 Depth=1
	v_and_b32_e32 v5, 0xffff, v4
	v_or_b32_e32 v12, 0x10000, v4
	s_delay_alu instid0(VALU_DEP_2) | instskip(NEXT) | instid1(VALU_DEP_1)
	v_cmp_eq_u32_e64 s9, 0, v5
	v_cndmask_b32_e64 v64, v12, v4, s9
; %bb.6247:                             ;   in Loop: Header=BB450_3110 Depth=1
	s_or_b32 exec_lo, exec_lo, s23
	v_lshlrev_b32_e32 v4, 16, v7
                                        ; implicit-def: $vgpr65
	s_delay_alu instid0(VALU_DEP_1) | instskip(NEXT) | instid1(VALU_DEP_1)
	v_mul_f32_e32 v4, v165, v4
	v_and_b32_e32 v5, 0x7f800000, v4
	s_delay_alu instid0(VALU_DEP_1) | instskip(NEXT) | instid1(VALU_DEP_1)
	v_cmp_ne_u32_e64 s9, 0x7f800000, v5
	s_and_saveexec_b32 s23, s9
	s_delay_alu instid0(SALU_CYCLE_1)
	s_xor_b32 s9, exec_lo, s23
; %bb.6248:                             ;   in Loop: Header=BB450_3110 Depth=1
	v_bfe_u32 v5, v4, 16, 1
	s_delay_alu instid0(VALU_DEP_1)
	v_add3_u32 v65, v4, v5, 0x7fff
                                        ; implicit-def: $vgpr4
; %bb.6249:                             ;   in Loop: Header=BB450_3110 Depth=1
	s_and_not1_saveexec_b32 s23, s9
; %bb.6250:                             ;   in Loop: Header=BB450_3110 Depth=1
	v_and_b32_e32 v5, 0xffff, v4
	v_or_b32_e32 v7, 0x10000, v4
	s_delay_alu instid0(VALU_DEP_2) | instskip(NEXT) | instid1(VALU_DEP_1)
	v_cmp_eq_u32_e64 s9, 0, v5
	v_cndmask_b32_e64 v65, v7, v4, s9
; %bb.6251:                             ;   in Loop: Header=BB450_3110 Depth=1
	s_or_b32 exec_lo, exec_lo, s23
	v_lshlrev_b32_e32 v4, 16, v6
                                        ; implicit-def: $vgpr66
	s_delay_alu instid0(VALU_DEP_1) | instskip(NEXT) | instid1(VALU_DEP_1)
	v_mul_f32_e32 v4, v166, v4
	v_and_b32_e32 v5, 0x7f800000, v4
	s_delay_alu instid0(VALU_DEP_1) | instskip(NEXT) | instid1(VALU_DEP_1)
	v_cmp_ne_u32_e64 s9, 0x7f800000, v5
	s_and_saveexec_b32 s23, s9
	s_delay_alu instid0(SALU_CYCLE_1)
	s_xor_b32 s9, exec_lo, s23
; %bb.6252:                             ;   in Loop: Header=BB450_3110 Depth=1
	v_bfe_u32 v5, v4, 16, 1
	s_delay_alu instid0(VALU_DEP_1)
	v_add3_u32 v66, v4, v5, 0x7fff
                                        ; implicit-def: $vgpr4
; %bb.6253:                             ;   in Loop: Header=BB450_3110 Depth=1
	s_and_not1_saveexec_b32 s23, s9
; %bb.6254:                             ;   in Loop: Header=BB450_3110 Depth=1
	v_and_b32_e32 v5, 0xffff, v4
	v_or_b32_e32 v6, 0x10000, v4
	s_delay_alu instid0(VALU_DEP_2) | instskip(NEXT) | instid1(VALU_DEP_1)
	v_cmp_eq_u32_e64 s9, 0, v5
	v_cndmask_b32_e64 v66, v6, v4, s9
; %bb.6255:                             ;   in Loop: Header=BB450_3110 Depth=1
	s_or_b32 exec_lo, exec_lo, s23
	v_lshlrev_b32_e32 v3, 16, v3
                                        ; implicit-def: $vgpr67
	s_delay_alu instid0(VALU_DEP_1) | instskip(NEXT) | instid1(VALU_DEP_1)
	v_mul_f32_e32 v3, v167, v3
	v_and_b32_e32 v4, 0x7f800000, v3
	s_delay_alu instid0(VALU_DEP_1) | instskip(NEXT) | instid1(VALU_DEP_1)
	v_cmp_ne_u32_e64 s9, 0x7f800000, v4
	s_and_saveexec_b32 s23, s9
	s_delay_alu instid0(SALU_CYCLE_1)
	s_xor_b32 s9, exec_lo, s23
; %bb.6256:                             ;   in Loop: Header=BB450_3110 Depth=1
	v_bfe_u32 v4, v3, 16, 1
	s_delay_alu instid0(VALU_DEP_1)
	v_add3_u32 v67, v3, v4, 0x7fff
                                        ; implicit-def: $vgpr3
; %bb.6257:                             ;   in Loop: Header=BB450_3110 Depth=1
	s_and_not1_saveexec_b32 s23, s9
; %bb.6258:                             ;   in Loop: Header=BB450_3110 Depth=1
	v_and_b32_e32 v4, 0xffff, v3
	v_or_b32_e32 v5, 0x10000, v3
	s_delay_alu instid0(VALU_DEP_2) | instskip(NEXT) | instid1(VALU_DEP_1)
	v_cmp_eq_u32_e64 s9, 0, v4
	v_cndmask_b32_e64 v67, v5, v3, s9
; %bb.6259:                             ;   in Loop: Header=BB450_3110 Depth=1
	s_or_b32 exec_lo, exec_lo, s23
	v_lshlrev_b32_e32 v2, 16, v2
                                        ; implicit-def: $vgpr68
	s_delay_alu instid0(VALU_DEP_1) | instskip(NEXT) | instid1(VALU_DEP_1)
	v_mul_f32_e32 v2, v176, v2
	v_and_b32_e32 v3, 0x7f800000, v2
	s_delay_alu instid0(VALU_DEP_1) | instskip(NEXT) | instid1(VALU_DEP_1)
	v_cmp_ne_u32_e64 s9, 0x7f800000, v3
	s_and_saveexec_b32 s23, s9
	s_delay_alu instid0(SALU_CYCLE_1)
	s_xor_b32 s9, exec_lo, s23
; %bb.6260:                             ;   in Loop: Header=BB450_3110 Depth=1
	v_bfe_u32 v3, v2, 16, 1
	s_delay_alu instid0(VALU_DEP_1)
	v_add3_u32 v68, v2, v3, 0x7fff
                                        ; implicit-def: $vgpr2
; %bb.6261:                             ;   in Loop: Header=BB450_3110 Depth=1
	s_and_not1_saveexec_b32 s23, s9
; %bb.6262:                             ;   in Loop: Header=BB450_3110 Depth=1
	v_and_b32_e32 v3, 0xffff, v2
	v_or_b32_e32 v4, 0x10000, v2
	s_delay_alu instid0(VALU_DEP_2) | instskip(NEXT) | instid1(VALU_DEP_1)
	v_cmp_eq_u32_e64 s9, 0, v3
	v_cndmask_b32_e64 v68, v4, v2, s9
; %bb.6263:                             ;   in Loop: Header=BB450_3110 Depth=1
	s_or_b32 exec_lo, exec_lo, s23
	scratch_load_b32 v2, off, s32 offset:912 ; 4-byte Folded Reload
	s_mov_b32 s23, exec_lo
	v_mov_b32_e32 v4, 0
	s_waitcnt vmcnt(0)
	v_add_co_u32 v2, s9, v0, v2
	s_delay_alu instid0(VALU_DEP_1) | instskip(SKIP_3) | instid1(VALU_DEP_1)
	v_add_co_ci_u32_e64 v3, s9, 0, v1, s9
	flat_load_b64 v[2:3], v[2:3]
	s_waitcnt vmcnt(0) lgkmcnt(0)
	v_and_b32_e32 v5, 0xff, v2
	v_cmpx_ne_u16_e32 0, v5
	s_cbranch_execz .LBB450_6271
; %bb.6264:                             ;   in Loop: Header=BB450_3110 Depth=1
	v_bfrev_b32_e32 v4, 1
	s_mov_b32 s24, exec_lo
	v_cmpx_ne_u16_e32 0x80, v5
	s_cbranch_execz .LBB450_6270
; %bb.6265:                             ;   in Loop: Header=BB450_3110 Depth=1
	v_and_b32_e32 v5, 0x7f, v2
	v_mov_b32_e32 v4, 0x7f800001
	s_mov_b32 s25, exec_lo
	s_delay_alu instid0(VALU_DEP_2)
	v_cmpx_ne_u32_e32 0x7f, v5
	s_cbranch_execz .LBB450_6269
; %bb.6266:                             ;   in Loop: Header=BB450_3110 Depth=1
	v_lshrrev_b32_e32 v4, 3, v5
	v_dual_mov_b32 v7, v3 :: v_dual_mov_b32 v6, v2
	s_mov_b32 s26, exec_lo
	v_cmpx_gt_u32_e32 8, v5
; %bb.6267:                             ;   in Loop: Header=BB450_3110 Depth=1
	v_and_b32_e32 v4, 7, v2
	s_delay_alu instid0(VALU_DEP_1) | instskip(NEXT) | instid1(VALU_DEP_1)
	v_clz_i32_u32_e32 v4, v4
	v_min_u32_e32 v4, 32, v4
	s_delay_alu instid0(VALU_DEP_1) | instskip(SKIP_1) | instid1(VALU_DEP_2)
	v_subrev_nc_u32_e32 v5, 28, v4
	v_sub_nc_u32_e32 v4, 29, v4
	v_lshlrev_b64 v[6:7], v5, v[2:3]
; %bb.6268:                             ;   in Loop: Header=BB450_3110 Depth=1
	s_or_b32 exec_lo, exec_lo, s26
	s_delay_alu instid0(VALU_DEP_1) | instskip(SKIP_2) | instid1(VALU_DEP_3)
	v_lshlrev_b32_e32 v5, 20, v6
	v_lshlrev_b32_e32 v6, 24, v2
	v_lshl_add_u32 v4, v4, 23, 0x3c000000
	v_and_b32_e32 v5, 0x700000, v5
	s_delay_alu instid0(VALU_DEP_3) | instskip(NEXT) | instid1(VALU_DEP_1)
	v_and_b32_e32 v6, 0x80000000, v6
	v_or3_b32 v4, v5, v6, v4
.LBB450_6269:                           ;   in Loop: Header=BB450_3110 Depth=1
	s_or_b32 exec_lo, exec_lo, s25
.LBB450_6270:                           ;   in Loop: Header=BB450_3110 Depth=1
	s_delay_alu instid0(SALU_CYCLE_1)
	s_or_b32 exec_lo, exec_lo, s24
.LBB450_6271:                           ;   in Loop: Header=BB450_3110 Depth=1
	s_delay_alu instid0(SALU_CYCLE_1) | instskip(NEXT) | instid1(VALU_DEP_1)
	s_or_b32 exec_lo, exec_lo, s23
	v_mul_f32_e32 v5, v160, v4
	s_delay_alu instid0(VALU_DEP_1) | instskip(NEXT) | instid1(VALU_DEP_1)
	v_and_b32_e32 v4, 0x7f800000, v5
	v_cmp_ne_u32_e64 s9, 0x7f800000, v4
                                        ; implicit-def: $vgpr4
	s_delay_alu instid0(VALU_DEP_1) | instskip(NEXT) | instid1(SALU_CYCLE_1)
	s_and_saveexec_b32 s23, s9
	s_xor_b32 s9, exec_lo, s23
; %bb.6272:                             ;   in Loop: Header=BB450_3110 Depth=1
	v_bfe_u32 v4, v5, 16, 1
	s_delay_alu instid0(VALU_DEP_1)
	v_add3_u32 v4, v5, v4, 0x7fff
                                        ; implicit-def: $vgpr5
; %bb.6273:                             ;   in Loop: Header=BB450_3110 Depth=1
	s_and_not1_saveexec_b32 s23, s9
; %bb.6274:                             ;   in Loop: Header=BB450_3110 Depth=1
	v_and_b32_e32 v4, 0xffff, v5
	v_or_b32_e32 v6, 0x10000, v5
	s_delay_alu instid0(VALU_DEP_2) | instskip(NEXT) | instid1(VALU_DEP_1)
	v_cmp_eq_u32_e64 s9, 0, v4
	v_cndmask_b32_e64 v4, v6, v5, s9
; %bb.6275:                             ;   in Loop: Header=BB450_3110 Depth=1
	s_or_b32 exec_lo, exec_lo, s23
	v_lshrrev_b16 v6, 8, v2
	v_mov_b32_e32 v5, 0
	s_mov_b32 s23, exec_lo
	s_delay_alu instid0(VALU_DEP_2)
	v_cmpx_ne_u16_e32 0, v6
	s_cbranch_execz .LBB450_6283
; %bb.6276:                             ;   in Loop: Header=BB450_3110 Depth=1
	v_bfrev_b32_e32 v5, 1
	s_mov_b32 s24, exec_lo
	v_cmpx_ne_u16_e32 0x80, v6
	s_cbranch_execz .LBB450_6282
; %bb.6277:                             ;   in Loop: Header=BB450_3110 Depth=1
	v_and_b32_e32 v6, 0xffff, v6
	v_mov_b32_e32 v5, 0x7f800001
	s_mov_b32 s25, exec_lo
	s_delay_alu instid0(VALU_DEP_2) | instskip(NEXT) | instid1(VALU_DEP_1)
	v_and_b32_e32 v21, 0x7f, v6
	v_cmpx_ne_u32_e32 0x7f, v21
	s_cbranch_execz .LBB450_6281
; %bb.6278:                             ;   in Loop: Header=BB450_3110 Depth=1
	v_and_b32_e32 v12, 7, v6
	v_lshrrev_b32_e32 v5, 3, v21
	s_mov_b32 s26, exec_lo
	s_delay_alu instid0(VALU_DEP_2)
	v_dual_mov_b32 v6, v12 :: v_dual_mov_b32 v7, v13
	v_cmpx_gt_u32_e32 8, v21
; %bb.6279:                             ;   in Loop: Header=BB450_3110 Depth=1
	v_clz_i32_u32_e32 v5, v12
	s_delay_alu instid0(VALU_DEP_1) | instskip(NEXT) | instid1(VALU_DEP_1)
	v_min_u32_e32 v5, 32, v5
	v_subrev_nc_u32_e32 v6, 28, v5
	v_sub_nc_u32_e32 v5, 29, v5
	s_delay_alu instid0(VALU_DEP_2) | instskip(NEXT) | instid1(VALU_DEP_1)
	v_lshlrev_b64 v[6:7], v6, v[12:13]
	v_and_b32_e32 v6, 7, v6
; %bb.6280:                             ;   in Loop: Header=BB450_3110 Depth=1
	s_or_b32 exec_lo, exec_lo, s26
	v_lshlrev_b32_e32 v7, 16, v2
	s_delay_alu instid0(VALU_DEP_2) | instskip(SKIP_1) | instid1(VALU_DEP_3)
	v_lshlrev_b32_e32 v6, 20, v6
	v_lshl_add_u32 v5, v5, 23, 0x3c000000
	v_and_b32_e32 v7, 0x80000000, v7
	s_delay_alu instid0(VALU_DEP_1)
	v_or3_b32 v5, v6, v7, v5
.LBB450_6281:                           ;   in Loop: Header=BB450_3110 Depth=1
	s_or_b32 exec_lo, exec_lo, s25
.LBB450_6282:                           ;   in Loop: Header=BB450_3110 Depth=1
	s_delay_alu instid0(SALU_CYCLE_1)
	s_or_b32 exec_lo, exec_lo, s24
.LBB450_6283:                           ;   in Loop: Header=BB450_3110 Depth=1
	s_delay_alu instid0(SALU_CYCLE_1) | instskip(NEXT) | instid1(VALU_DEP_1)
	s_or_b32 exec_lo, exec_lo, s23
	v_mul_f32_e32 v6, v160, v5
	s_delay_alu instid0(VALU_DEP_1) | instskip(NEXT) | instid1(VALU_DEP_1)
	v_and_b32_e32 v5, 0x7f800000, v6
	v_cmp_ne_u32_e64 s9, 0x7f800000, v5
                                        ; implicit-def: $vgpr5
	s_delay_alu instid0(VALU_DEP_1) | instskip(NEXT) | instid1(SALU_CYCLE_1)
	s_and_saveexec_b32 s23, s9
	s_xor_b32 s9, exec_lo, s23
; %bb.6284:                             ;   in Loop: Header=BB450_3110 Depth=1
	v_bfe_u32 v5, v6, 16, 1
	s_delay_alu instid0(VALU_DEP_1)
	v_add3_u32 v5, v6, v5, 0x7fff
                                        ; implicit-def: $vgpr6
; %bb.6285:                             ;   in Loop: Header=BB450_3110 Depth=1
	s_and_not1_saveexec_b32 s23, s9
; %bb.6286:                             ;   in Loop: Header=BB450_3110 Depth=1
	v_and_b32_e32 v5, 0xffff, v6
	v_or_b32_e32 v7, 0x10000, v6
	s_delay_alu instid0(VALU_DEP_2) | instskip(NEXT) | instid1(VALU_DEP_1)
	v_cmp_eq_u32_e64 s9, 0, v5
	v_cndmask_b32_e64 v5, v7, v6, s9
; %bb.6287:                             ;   in Loop: Header=BB450_3110 Depth=1
	s_or_b32 exec_lo, exec_lo, s23
	v_lshrrev_b32_e32 v21, 16, v2
	s_mov_b32 s23, exec_lo
	s_delay_alu instid0(VALU_DEP_1) | instskip(NEXT) | instid1(VALU_DEP_1)
	v_dual_mov_b32 v6, 0 :: v_dual_and_b32 v7, 0xff, v21
	v_cmpx_ne_u16_e32 0, v7
	s_cbranch_execz .LBB450_6295
; %bb.6288:                             ;   in Loop: Header=BB450_3110 Depth=1
	v_bfrev_b32_e32 v6, 1
	s_mov_b32 s24, exec_lo
	v_cmpx_ne_u16_e32 0x80, v7
	s_cbranch_execz .LBB450_6294
; %bb.6289:                             ;   in Loop: Header=BB450_3110 Depth=1
	v_bfe_u32 v37, v2, 16, 7
	v_mov_b32_e32 v6, 0x7f800001
	s_mov_b32 s25, exec_lo
	s_delay_alu instid0(VALU_DEP_2)
	v_cmpx_ne_u32_e32 0x7f, v37
	s_cbranch_execz .LBB450_6293
; %bb.6290:                             ;   in Loop: Header=BB450_3110 Depth=1
	v_and_b32_e32 v12, 7, v21
	s_mov_b32 s26, exec_lo
	s_delay_alu instid0(VALU_DEP_1)
	v_dual_mov_b32 v6, v12 :: v_dual_mov_b32 v7, v13
	v_lshrrev_b32_e32 v7, 3, v37
	v_cmpx_gt_u32_e32 8, v37
; %bb.6291:                             ;   in Loop: Header=BB450_3110 Depth=1
	v_clz_i32_u32_e32 v6, v12
	s_delay_alu instid0(VALU_DEP_1) | instskip(NEXT) | instid1(VALU_DEP_1)
	v_min_u32_e32 v37, 32, v6
	v_subrev_nc_u32_e32 v6, 28, v37
	s_delay_alu instid0(VALU_DEP_1) | instskip(SKIP_1) | instid1(VALU_DEP_2)
	v_lshlrev_b64 v[6:7], v6, v[12:13]
	v_sub_nc_u32_e32 v7, 29, v37
	v_and_b32_e32 v6, 7, v6
; %bb.6292:                             ;   in Loop: Header=BB450_3110 Depth=1
	s_or_b32 exec_lo, exec_lo, s26
	v_lshlrev_b32_e32 v12, 24, v21
	s_delay_alu instid0(VALU_DEP_2) | instskip(SKIP_1) | instid1(VALU_DEP_3)
	v_lshlrev_b32_e32 v6, 20, v6
	v_lshl_add_u32 v7, v7, 23, 0x3c000000
	v_and_b32_e32 v12, 0x80000000, v12
	s_delay_alu instid0(VALU_DEP_1)
	v_or3_b32 v6, v6, v12, v7
.LBB450_6293:                           ;   in Loop: Header=BB450_3110 Depth=1
	s_or_b32 exec_lo, exec_lo, s25
.LBB450_6294:                           ;   in Loop: Header=BB450_3110 Depth=1
	s_delay_alu instid0(SALU_CYCLE_1)
	s_or_b32 exec_lo, exec_lo, s24
.LBB450_6295:                           ;   in Loop: Header=BB450_3110 Depth=1
	s_delay_alu instid0(SALU_CYCLE_1) | instskip(NEXT) | instid1(VALU_DEP_1)
	s_or_b32 exec_lo, exec_lo, s23
	v_mul_f32_e32 v6, v160, v6
                                        ; implicit-def: $vgpr21
	s_delay_alu instid0(VALU_DEP_1) | instskip(NEXT) | instid1(VALU_DEP_1)
	v_and_b32_e32 v7, 0x7f800000, v6
	v_cmp_ne_u32_e64 s9, 0x7f800000, v7
	s_delay_alu instid0(VALU_DEP_1) | instskip(NEXT) | instid1(SALU_CYCLE_1)
	s_and_saveexec_b32 s23, s9
	s_xor_b32 s9, exec_lo, s23
; %bb.6296:                             ;   in Loop: Header=BB450_3110 Depth=1
	v_bfe_u32 v7, v6, 16, 1
	s_delay_alu instid0(VALU_DEP_1)
	v_add3_u32 v21, v6, v7, 0x7fff
                                        ; implicit-def: $vgpr6
; %bb.6297:                             ;   in Loop: Header=BB450_3110 Depth=1
	s_and_not1_saveexec_b32 s23, s9
; %bb.6298:                             ;   in Loop: Header=BB450_3110 Depth=1
	v_and_b32_e32 v7, 0xffff, v6
	v_or_b32_e32 v12, 0x10000, v6
	s_delay_alu instid0(VALU_DEP_2) | instskip(NEXT) | instid1(VALU_DEP_1)
	v_cmp_eq_u32_e64 s9, 0, v7
	v_cndmask_b32_e64 v21, v12, v6, s9
; %bb.6299:                             ;   in Loop: Header=BB450_3110 Depth=1
	s_or_b32 exec_lo, exec_lo, s23
	v_mov_b32_e32 v6, 0
	s_mov_b32 s23, exec_lo
	v_cmpx_lt_u32_e32 0xffffff, v2
	s_cbranch_execz .LBB450_6307
; %bb.6300:                             ;   in Loop: Header=BB450_3110 Depth=1
	v_lshrrev_b32_e32 v37, 24, v2
	v_bfrev_b32_e32 v6, 1
	s_mov_b32 s24, exec_lo
	s_delay_alu instid0(VALU_DEP_2)
	v_cmpx_ne_u32_e32 0x80, v37
	s_cbranch_execz .LBB450_6306
; %bb.6301:                             ;   in Loop: Header=BB450_3110 Depth=1
	v_bfe_u32 v38, v2, 24, 7
	v_mov_b32_e32 v6, 0x7f800001
	s_mov_b32 s25, exec_lo
	s_delay_alu instid0(VALU_DEP_2)
	v_cmpx_ne_u32_e32 0x7f, v38
	s_cbranch_execz .LBB450_6305
; %bb.6302:                             ;   in Loop: Header=BB450_3110 Depth=1
	v_and_b32_e32 v12, 7, v37
	s_mov_b32 s26, exec_lo
	s_delay_alu instid0(VALU_DEP_1)
	v_dual_mov_b32 v6, v12 :: v_dual_mov_b32 v7, v13
	v_lshrrev_b32_e32 v7, 3, v38
	v_cmpx_gt_u32_e32 8, v38
; %bb.6303:                             ;   in Loop: Header=BB450_3110 Depth=1
	v_clz_i32_u32_e32 v6, v12
	s_delay_alu instid0(VALU_DEP_1) | instskip(NEXT) | instid1(VALU_DEP_1)
	v_min_u32_e32 v38, 32, v6
	v_subrev_nc_u32_e32 v6, 28, v38
	s_delay_alu instid0(VALU_DEP_1) | instskip(SKIP_1) | instid1(VALU_DEP_2)
	v_lshlrev_b64 v[6:7], v6, v[12:13]
	v_sub_nc_u32_e32 v7, 29, v38
	v_and_b32_e32 v6, 7, v6
; %bb.6304:                             ;   in Loop: Header=BB450_3110 Depth=1
	s_or_b32 exec_lo, exec_lo, s26
	v_lshlrev_b32_e32 v12, 24, v37
	s_delay_alu instid0(VALU_DEP_2) | instskip(SKIP_1) | instid1(VALU_DEP_3)
	v_lshlrev_b32_e32 v6, 20, v6
	v_lshl_add_u32 v7, v7, 23, 0x3c000000
	v_and_b32_e32 v12, 0x80000000, v12
	s_delay_alu instid0(VALU_DEP_1)
	v_or3_b32 v6, v6, v12, v7
.LBB450_6305:                           ;   in Loop: Header=BB450_3110 Depth=1
	s_or_b32 exec_lo, exec_lo, s25
.LBB450_6306:                           ;   in Loop: Header=BB450_3110 Depth=1
	s_delay_alu instid0(SALU_CYCLE_1)
	s_or_b32 exec_lo, exec_lo, s24
.LBB450_6307:                           ;   in Loop: Header=BB450_3110 Depth=1
	s_delay_alu instid0(SALU_CYCLE_1) | instskip(NEXT) | instid1(VALU_DEP_1)
	s_or_b32 exec_lo, exec_lo, s23
	v_mul_f32_e32 v6, v160, v6
                                        ; implicit-def: $vgpr37
	s_delay_alu instid0(VALU_DEP_1) | instskip(NEXT) | instid1(VALU_DEP_1)
	v_and_b32_e32 v7, 0x7f800000, v6
	v_cmp_ne_u32_e64 s9, 0x7f800000, v7
	s_delay_alu instid0(VALU_DEP_1) | instskip(NEXT) | instid1(SALU_CYCLE_1)
	s_and_saveexec_b32 s23, s9
	s_xor_b32 s9, exec_lo, s23
; %bb.6308:                             ;   in Loop: Header=BB450_3110 Depth=1
	v_bfe_u32 v7, v6, 16, 1
	s_delay_alu instid0(VALU_DEP_1)
	v_add3_u32 v37, v6, v7, 0x7fff
                                        ; implicit-def: $vgpr6
; %bb.6309:                             ;   in Loop: Header=BB450_3110 Depth=1
	s_and_not1_saveexec_b32 s23, s9
; %bb.6310:                             ;   in Loop: Header=BB450_3110 Depth=1
	v_and_b32_e32 v7, 0xffff, v6
	v_or_b32_e32 v12, 0x10000, v6
	s_delay_alu instid0(VALU_DEP_2) | instskip(NEXT) | instid1(VALU_DEP_1)
	v_cmp_eq_u32_e64 s9, 0, v7
	v_cndmask_b32_e64 v37, v12, v6, s9
; %bb.6311:                             ;   in Loop: Header=BB450_3110 Depth=1
	s_or_b32 exec_lo, exec_lo, s23
	v_dual_mov_b32 v12, v3 :: v_dual_and_b32 v7, 0xff, v3
	v_mov_b32_e32 v6, 0
	s_mov_b32 s23, exec_lo
	s_delay_alu instid0(VALU_DEP_2)
	v_cmpx_ne_u16_e32 0, v7
	s_cbranch_execz .LBB450_6319
; %bb.6312:                             ;   in Loop: Header=BB450_3110 Depth=1
	v_bfrev_b32_e32 v6, 1
	s_mov_b32 s24, exec_lo
	v_cmpx_ne_u16_e32 0x80, v7
	s_cbranch_execz .LBB450_6318
; %bb.6313:                             ;   in Loop: Header=BB450_3110 Depth=1
	v_and_b32_e32 v38, 0x7f, v3
	v_mov_b32_e32 v6, 0x7f800001
	s_mov_b32 s25, exec_lo
	s_delay_alu instid0(VALU_DEP_2)
	v_cmpx_ne_u32_e32 0x7f, v38
	s_cbranch_execz .LBB450_6317
; %bb.6314:                             ;   in Loop: Header=BB450_3110 Depth=1
	v_dual_mov_b32 v6, v12 :: v_dual_mov_b32 v7, v13
	v_lshrrev_b32_e32 v7, 3, v38
	s_mov_b32 s26, exec_lo
	v_cmpx_gt_u32_e32 8, v38
; %bb.6315:                             ;   in Loop: Header=BB450_3110 Depth=1
	v_and_b32_e32 v6, 7, v3
	s_delay_alu instid0(VALU_DEP_1) | instskip(NEXT) | instid1(VALU_DEP_1)
	v_clz_i32_u32_e32 v6, v6
	v_min_u32_e32 v38, 32, v6
	s_delay_alu instid0(VALU_DEP_1) | instskip(NEXT) | instid1(VALU_DEP_1)
	v_subrev_nc_u32_e32 v6, 28, v38
	v_lshlrev_b64 v[6:7], v6, v[12:13]
	v_sub_nc_u32_e32 v7, 29, v38
; %bb.6316:                             ;   in Loop: Header=BB450_3110 Depth=1
	s_or_b32 exec_lo, exec_lo, s26
	s_delay_alu instid0(VALU_DEP_2) | instskip(SKIP_1) | instid1(VALU_DEP_3)
	v_lshlrev_b32_e32 v6, 20, v6
	v_lshlrev_b32_e32 v38, 24, v12
	v_lshl_add_u32 v7, v7, 23, 0x3c000000
	s_delay_alu instid0(VALU_DEP_3) | instskip(NEXT) | instid1(VALU_DEP_3)
	v_and_b32_e32 v6, 0x700000, v6
	v_and_b32_e32 v38, 0x80000000, v38
	s_delay_alu instid0(VALU_DEP_1)
	v_or3_b32 v6, v6, v38, v7
.LBB450_6317:                           ;   in Loop: Header=BB450_3110 Depth=1
	s_or_b32 exec_lo, exec_lo, s25
.LBB450_6318:                           ;   in Loop: Header=BB450_3110 Depth=1
	s_delay_alu instid0(SALU_CYCLE_1)
	s_or_b32 exec_lo, exec_lo, s24
.LBB450_6319:                           ;   in Loop: Header=BB450_3110 Depth=1
	s_delay_alu instid0(SALU_CYCLE_1) | instskip(NEXT) | instid1(VALU_DEP_1)
	s_or_b32 exec_lo, exec_lo, s23
	v_mul_f32_e32 v6, v160, v6
                                        ; implicit-def: $vgpr38
	s_delay_alu instid0(VALU_DEP_1) | instskip(NEXT) | instid1(VALU_DEP_1)
	v_and_b32_e32 v7, 0x7f800000, v6
	v_cmp_ne_u32_e64 s9, 0x7f800000, v7
	s_delay_alu instid0(VALU_DEP_1) | instskip(NEXT) | instid1(SALU_CYCLE_1)
	s_and_saveexec_b32 s23, s9
	s_xor_b32 s9, exec_lo, s23
; %bb.6320:                             ;   in Loop: Header=BB450_3110 Depth=1
	v_bfe_u32 v7, v6, 16, 1
	s_delay_alu instid0(VALU_DEP_1)
	v_add3_u32 v38, v6, v7, 0x7fff
                                        ; implicit-def: $vgpr6
; %bb.6321:                             ;   in Loop: Header=BB450_3110 Depth=1
	s_and_not1_saveexec_b32 s23, s9
; %bb.6322:                             ;   in Loop: Header=BB450_3110 Depth=1
	v_and_b32_e32 v7, 0xffff, v6
	v_or_b32_e32 v38, 0x10000, v6
	s_delay_alu instid0(VALU_DEP_2) | instskip(NEXT) | instid1(VALU_DEP_1)
	v_cmp_eq_u32_e64 s9, 0, v7
	v_cndmask_b32_e64 v38, v38, v6, s9
; %bb.6323:                             ;   in Loop: Header=BB450_3110 Depth=1
	s_or_b32 exec_lo, exec_lo, s23
	v_lshrrev_b16 v7, 8, v12
	v_mov_b32_e32 v6, 0
	s_mov_b32 s23, exec_lo
	s_delay_alu instid0(VALU_DEP_2)
	v_cmpx_ne_u16_e32 0, v7
	s_cbranch_execz .LBB450_6331
; %bb.6324:                             ;   in Loop: Header=BB450_3110 Depth=1
	v_bfrev_b32_e32 v6, 1
	s_mov_b32 s24, exec_lo
	v_cmpx_ne_u16_e32 0x80, v7
	s_cbranch_execz .LBB450_6330
; %bb.6325:                             ;   in Loop: Header=BB450_3110 Depth=1
	v_and_b32_e32 v7, 0xffff, v7
	v_mov_b32_e32 v6, 0x7f800001
	s_mov_b32 s25, exec_lo
	s_delay_alu instid0(VALU_DEP_2) | instskip(NEXT) | instid1(VALU_DEP_1)
	v_and_b32_e32 v70, 0x7f, v7
	v_cmpx_ne_u32_e32 0x7f, v70
	s_cbranch_execz .LBB450_6329
; %bb.6326:                             ;   in Loop: Header=BB450_3110 Depth=1
	v_dual_mov_b32 v7, v13 :: v_dual_and_b32 v6, 7, v7
	v_lshrrev_b32_e32 v69, 3, v70
	s_mov_b32 s26, exec_lo
	v_cmpx_gt_u32_e32 8, v70
; %bb.6327:                             ;   in Loop: Header=BB450_3110 Depth=1
	s_delay_alu instid0(VALU_DEP_3) | instskip(NEXT) | instid1(VALU_DEP_1)
	v_clz_i32_u32_e32 v69, v6
	v_min_u32_e32 v69, 32, v69
	s_delay_alu instid0(VALU_DEP_1) | instskip(SKIP_1) | instid1(VALU_DEP_2)
	v_subrev_nc_u32_e32 v70, 28, v69
	v_sub_nc_u32_e32 v69, 29, v69
	v_lshlrev_b64 v[6:7], v70, v[6:7]
	s_delay_alu instid0(VALU_DEP_1)
	v_and_b32_e32 v6, 7, v6
; %bb.6328:                             ;   in Loop: Header=BB450_3110 Depth=1
	s_or_b32 exec_lo, exec_lo, s26
	v_lshlrev_b32_e32 v7, 16, v12
	s_delay_alu instid0(VALU_DEP_2) | instskip(SKIP_1) | instid1(VALU_DEP_3)
	v_lshlrev_b32_e32 v6, 20, v6
	v_lshl_add_u32 v12, v69, 23, 0x3c000000
	v_and_b32_e32 v7, 0x80000000, v7
	s_delay_alu instid0(VALU_DEP_1)
	v_or3_b32 v6, v6, v7, v12
.LBB450_6329:                           ;   in Loop: Header=BB450_3110 Depth=1
	s_or_b32 exec_lo, exec_lo, s25
.LBB450_6330:                           ;   in Loop: Header=BB450_3110 Depth=1
	s_delay_alu instid0(SALU_CYCLE_1)
	s_or_b32 exec_lo, exec_lo, s24
.LBB450_6331:                           ;   in Loop: Header=BB450_3110 Depth=1
	s_delay_alu instid0(SALU_CYCLE_1) | instskip(NEXT) | instid1(VALU_DEP_1)
	s_or_b32 exec_lo, exec_lo, s23
	v_mul_f32_e32 v6, v160, v6
                                        ; implicit-def: $vgpr69
	s_delay_alu instid0(VALU_DEP_1) | instskip(NEXT) | instid1(VALU_DEP_1)
	v_and_b32_e32 v7, 0x7f800000, v6
	v_cmp_ne_u32_e64 s9, 0x7f800000, v7
	s_delay_alu instid0(VALU_DEP_1) | instskip(NEXT) | instid1(SALU_CYCLE_1)
	s_and_saveexec_b32 s23, s9
	s_xor_b32 s9, exec_lo, s23
; %bb.6332:                             ;   in Loop: Header=BB450_3110 Depth=1
	v_bfe_u32 v7, v6, 16, 1
	s_delay_alu instid0(VALU_DEP_1)
	v_add3_u32 v69, v6, v7, 0x7fff
                                        ; implicit-def: $vgpr6
; %bb.6333:                             ;   in Loop: Header=BB450_3110 Depth=1
	s_and_not1_saveexec_b32 s23, s9
; %bb.6334:                             ;   in Loop: Header=BB450_3110 Depth=1
	v_and_b32_e32 v7, 0xffff, v6
	v_or_b32_e32 v12, 0x10000, v6
	s_delay_alu instid0(VALU_DEP_2) | instskip(NEXT) | instid1(VALU_DEP_1)
	v_cmp_eq_u32_e64 s9, 0, v7
	v_cndmask_b32_e64 v69, v12, v6, s9
; %bb.6335:                             ;   in Loop: Header=BB450_3110 Depth=1
	s_or_b32 exec_lo, exec_lo, s23
	v_lshrrev_b32_e32 v70, 16, v3
	s_mov_b32 s23, exec_lo
	s_delay_alu instid0(VALU_DEP_1) | instskip(NEXT) | instid1(VALU_DEP_1)
	v_dual_mov_b32 v6, 0 :: v_dual_and_b32 v7, 0xff, v70
	v_cmpx_ne_u16_e32 0, v7
	s_cbranch_execz .LBB450_6343
; %bb.6336:                             ;   in Loop: Header=BB450_3110 Depth=1
	v_bfrev_b32_e32 v6, 1
	s_mov_b32 s24, exec_lo
	v_cmpx_ne_u16_e32 0x80, v7
	s_cbranch_execz .LBB450_6342
; %bb.6337:                             ;   in Loop: Header=BB450_3110 Depth=1
	v_bfe_u32 v71, v3, 16, 7
	v_mov_b32_e32 v6, 0x7f800001
	s_mov_b32 s25, exec_lo
	s_delay_alu instid0(VALU_DEP_2)
	v_cmpx_ne_u32_e32 0x7f, v71
	s_cbranch_execz .LBB450_6341
; %bb.6338:                             ;   in Loop: Header=BB450_3110 Depth=1
	v_and_b32_e32 v12, 7, v70
	s_mov_b32 s26, exec_lo
	s_delay_alu instid0(VALU_DEP_1)
	v_dual_mov_b32 v6, v12 :: v_dual_mov_b32 v7, v13
	v_lshrrev_b32_e32 v7, 3, v71
	v_cmpx_gt_u32_e32 8, v71
; %bb.6339:                             ;   in Loop: Header=BB450_3110 Depth=1
	v_clz_i32_u32_e32 v6, v12
	s_delay_alu instid0(VALU_DEP_1) | instskip(NEXT) | instid1(VALU_DEP_1)
	v_min_u32_e32 v71, 32, v6
	v_subrev_nc_u32_e32 v6, 28, v71
	s_delay_alu instid0(VALU_DEP_1) | instskip(SKIP_1) | instid1(VALU_DEP_2)
	v_lshlrev_b64 v[6:7], v6, v[12:13]
	v_sub_nc_u32_e32 v7, 29, v71
	v_and_b32_e32 v6, 7, v6
; %bb.6340:                             ;   in Loop: Header=BB450_3110 Depth=1
	s_or_b32 exec_lo, exec_lo, s26
	v_lshlrev_b32_e32 v12, 24, v70
	s_delay_alu instid0(VALU_DEP_2) | instskip(SKIP_1) | instid1(VALU_DEP_3)
	v_lshlrev_b32_e32 v6, 20, v6
	v_lshl_add_u32 v7, v7, 23, 0x3c000000
	v_and_b32_e32 v12, 0x80000000, v12
	s_delay_alu instid0(VALU_DEP_1)
	v_or3_b32 v6, v6, v12, v7
.LBB450_6341:                           ;   in Loop: Header=BB450_3110 Depth=1
	s_or_b32 exec_lo, exec_lo, s25
.LBB450_6342:                           ;   in Loop: Header=BB450_3110 Depth=1
	s_delay_alu instid0(SALU_CYCLE_1)
	s_or_b32 exec_lo, exec_lo, s24
.LBB450_6343:                           ;   in Loop: Header=BB450_3110 Depth=1
	s_delay_alu instid0(SALU_CYCLE_1) | instskip(NEXT) | instid1(VALU_DEP_1)
	s_or_b32 exec_lo, exec_lo, s23
	v_mul_f32_e32 v6, v160, v6
                                        ; implicit-def: $vgpr70
	s_delay_alu instid0(VALU_DEP_1) | instskip(NEXT) | instid1(VALU_DEP_1)
	v_and_b32_e32 v7, 0x7f800000, v6
	v_cmp_ne_u32_e64 s9, 0x7f800000, v7
	s_delay_alu instid0(VALU_DEP_1) | instskip(NEXT) | instid1(SALU_CYCLE_1)
	s_and_saveexec_b32 s23, s9
	s_xor_b32 s9, exec_lo, s23
; %bb.6344:                             ;   in Loop: Header=BB450_3110 Depth=1
	v_bfe_u32 v7, v6, 16, 1
	s_delay_alu instid0(VALU_DEP_1)
	v_add3_u32 v70, v6, v7, 0x7fff
                                        ; implicit-def: $vgpr6
; %bb.6345:                             ;   in Loop: Header=BB450_3110 Depth=1
	s_and_not1_saveexec_b32 s23, s9
; %bb.6346:                             ;   in Loop: Header=BB450_3110 Depth=1
	v_and_b32_e32 v7, 0xffff, v6
	v_or_b32_e32 v12, 0x10000, v6
	s_delay_alu instid0(VALU_DEP_2) | instskip(NEXT) | instid1(VALU_DEP_1)
	v_cmp_eq_u32_e64 s9, 0, v7
	v_cndmask_b32_e64 v70, v12, v6, s9
; %bb.6347:                             ;   in Loop: Header=BB450_3110 Depth=1
	s_or_b32 exec_lo, exec_lo, s23
	v_cmp_lt_u64_e64 s9, s[18:19], v[2:3]
	v_mov_b32_e32 v2, 0
	s_delay_alu instid0(VALU_DEP_2)
	s_and_saveexec_b32 s23, s9
	s_cbranch_execz .LBB450_6355
; %bb.6348:                             ;   in Loop: Header=BB450_3110 Depth=1
	v_lshrrev_b32_e32 v6, 24, v3
	v_bfrev_b32_e32 v2, 1
	s_mov_b32 s24, exec_lo
	s_delay_alu instid0(VALU_DEP_2)
	v_cmpx_ne_u32_e32 0x80, v6
	s_cbranch_execz .LBB450_6354
; %bb.6349:                             ;   in Loop: Header=BB450_3110 Depth=1
	v_bfe_u32 v7, v3, 24, 7
	v_mov_b32_e32 v2, 0x7f800001
	s_mov_b32 s25, exec_lo
	s_delay_alu instid0(VALU_DEP_2)
	v_cmpx_ne_u32_e32 0x7f, v7
	s_cbranch_execz .LBB450_6353
; %bb.6350:                             ;   in Loop: Header=BB450_3110 Depth=1
	v_and_b32_e32 v12, 7, v6
	s_mov_b32 s26, exec_lo
	s_delay_alu instid0(VALU_DEP_1)
	v_dual_mov_b32 v2, v12 :: v_dual_mov_b32 v3, v13
	v_lshrrev_b32_e32 v3, 3, v7
	v_cmpx_gt_u32_e32 8, v7
; %bb.6351:                             ;   in Loop: Header=BB450_3110 Depth=1
	v_clz_i32_u32_e32 v2, v12
	s_delay_alu instid0(VALU_DEP_1) | instskip(NEXT) | instid1(VALU_DEP_1)
	v_min_u32_e32 v7, 32, v2
	v_subrev_nc_u32_e32 v2, 28, v7
	s_delay_alu instid0(VALU_DEP_1) | instskip(SKIP_1) | instid1(VALU_DEP_2)
	v_lshlrev_b64 v[2:3], v2, v[12:13]
	v_sub_nc_u32_e32 v3, 29, v7
	v_and_b32_e32 v2, 7, v2
; %bb.6352:                             ;   in Loop: Header=BB450_3110 Depth=1
	s_or_b32 exec_lo, exec_lo, s26
	v_lshlrev_b32_e32 v6, 24, v6
	s_delay_alu instid0(VALU_DEP_2) | instskip(SKIP_1) | instid1(VALU_DEP_3)
	v_lshlrev_b32_e32 v2, 20, v2
	v_lshl_add_u32 v3, v3, 23, 0x3c000000
	v_and_b32_e32 v6, 0x80000000, v6
	s_delay_alu instid0(VALU_DEP_1)
	v_or3_b32 v2, v2, v6, v3
.LBB450_6353:                           ;   in Loop: Header=BB450_3110 Depth=1
	s_or_b32 exec_lo, exec_lo, s25
.LBB450_6354:                           ;   in Loop: Header=BB450_3110 Depth=1
	s_delay_alu instid0(SALU_CYCLE_1)
	s_or_b32 exec_lo, exec_lo, s24
.LBB450_6355:                           ;   in Loop: Header=BB450_3110 Depth=1
	s_delay_alu instid0(SALU_CYCLE_1) | instskip(NEXT) | instid1(VALU_DEP_1)
	s_or_b32 exec_lo, exec_lo, s23
	v_mul_f32_e32 v3, v160, v2
	s_delay_alu instid0(VALU_DEP_1) | instskip(NEXT) | instid1(VALU_DEP_1)
	v_and_b32_e32 v2, 0x7f800000, v3
	v_cmp_ne_u32_e64 s9, 0x7f800000, v2
                                        ; implicit-def: $vgpr2
	s_delay_alu instid0(VALU_DEP_1) | instskip(NEXT) | instid1(SALU_CYCLE_1)
	s_and_saveexec_b32 s23, s9
	s_xor_b32 s9, exec_lo, s23
; %bb.6356:                             ;   in Loop: Header=BB450_3110 Depth=1
	v_bfe_u32 v2, v3, 16, 1
	s_delay_alu instid0(VALU_DEP_1)
	v_add3_u32 v2, v3, v2, 0x7fff
                                        ; implicit-def: $vgpr3
; %bb.6357:                             ;   in Loop: Header=BB450_3110 Depth=1
	s_and_not1_saveexec_b32 s23, s9
; %bb.6358:                             ;   in Loop: Header=BB450_3110 Depth=1
	v_and_b32_e32 v2, 0xffff, v3
	v_or_b32_e32 v6, 0x10000, v3
	s_delay_alu instid0(VALU_DEP_2) | instskip(NEXT) | instid1(VALU_DEP_1)
	v_cmp_eq_u32_e64 s9, 0, v2
	v_cndmask_b32_e64 v2, v6, v3, s9
; %bb.6359:                             ;   in Loop: Header=BB450_3110 Depth=1
	s_or_b32 exec_lo, exec_lo, s23
	v_lshrrev_b32_e32 v6, 16, v69
	v_lshrrev_b32_e32 v7, 16, v38
	;; [unrolled: 1-line block ×8, first 2 shown]
	s_and_saveexec_b32 s9, s1
; %bb.6360:                             ;   in Loop: Header=BB450_3110 Depth=1
	s_delay_alu instid0(VALU_DEP_3)
	v_cndmask_b32_e32 v4, 0, v4, vcc_lo
	v_cndmask_b32_e64 v5, 0, v5, s2
	v_cndmask_b32_e64 v21, 0, v21, s3
	v_cndmask_b32_e64 v12, 0, v12, s4
	v_cndmask_b32_e64 v7, 0, v7, s5
	v_cndmask_b32_e64 v6, 0, v6, s6
	v_cndmask_b32_e64 v3, 0, v3, s7
	v_cndmask_b32_e64 v2, 0, v2, s8
; %bb.6361:                             ;   in Loop: Header=BB450_3110 Depth=1
	s_or_b32 exec_lo, exec_lo, s9
	v_lshlrev_b32_e32 v4, 16, v4
                                        ; implicit-def: $vgpr69
	s_delay_alu instid0(VALU_DEP_1) | instskip(NEXT) | instid1(VALU_DEP_1)
	v_mul_f32_e32 v4, v161, v4
	v_and_b32_e32 v37, 0x7f800000, v4
	s_delay_alu instid0(VALU_DEP_1) | instskip(NEXT) | instid1(VALU_DEP_1)
	v_cmp_ne_u32_e64 s9, 0x7f800000, v37
	s_and_saveexec_b32 s23, s9
	s_delay_alu instid0(SALU_CYCLE_1)
	s_xor_b32 s9, exec_lo, s23
; %bb.6362:                             ;   in Loop: Header=BB450_3110 Depth=1
	v_bfe_u32 v37, v4, 16, 1
	s_delay_alu instid0(VALU_DEP_1)
	v_add3_u32 v69, v4, v37, 0x7fff
                                        ; implicit-def: $vgpr4
; %bb.6363:                             ;   in Loop: Header=BB450_3110 Depth=1
	s_and_not1_saveexec_b32 s23, s9
; %bb.6364:                             ;   in Loop: Header=BB450_3110 Depth=1
	v_and_b32_e32 v37, 0xffff, v4
	v_or_b32_e32 v38, 0x10000, v4
	s_delay_alu instid0(VALU_DEP_2) | instskip(NEXT) | instid1(VALU_DEP_1)
	v_cmp_eq_u32_e64 s9, 0, v37
	v_cndmask_b32_e64 v69, v38, v4, s9
; %bb.6365:                             ;   in Loop: Header=BB450_3110 Depth=1
	s_or_b32 exec_lo, exec_lo, s23
	v_lshlrev_b32_e32 v4, 16, v5
                                        ; implicit-def: $vgpr70
	s_delay_alu instid0(VALU_DEP_1) | instskip(NEXT) | instid1(VALU_DEP_1)
	v_mul_f32_e32 v4, v162, v4
	v_and_b32_e32 v5, 0x7f800000, v4
	s_delay_alu instid0(VALU_DEP_1) | instskip(NEXT) | instid1(VALU_DEP_1)
	v_cmp_ne_u32_e64 s9, 0x7f800000, v5
	s_and_saveexec_b32 s23, s9
	s_delay_alu instid0(SALU_CYCLE_1)
	s_xor_b32 s9, exec_lo, s23
; %bb.6366:                             ;   in Loop: Header=BB450_3110 Depth=1
	v_bfe_u32 v5, v4, 16, 1
	s_delay_alu instid0(VALU_DEP_1)
	v_add3_u32 v70, v4, v5, 0x7fff
                                        ; implicit-def: $vgpr4
; %bb.6367:                             ;   in Loop: Header=BB450_3110 Depth=1
	s_and_not1_saveexec_b32 s23, s9
; %bb.6368:                             ;   in Loop: Header=BB450_3110 Depth=1
	v_and_b32_e32 v5, 0xffff, v4
	v_or_b32_e32 v37, 0x10000, v4
	s_delay_alu instid0(VALU_DEP_2) | instskip(NEXT) | instid1(VALU_DEP_1)
	v_cmp_eq_u32_e64 s9, 0, v5
	v_cndmask_b32_e64 v70, v37, v4, s9
; %bb.6369:                             ;   in Loop: Header=BB450_3110 Depth=1
	s_or_b32 exec_lo, exec_lo, s23
	v_lshlrev_b32_e32 v4, 16, v21
                                        ; implicit-def: $vgpr71
	s_delay_alu instid0(VALU_DEP_1) | instskip(NEXT) | instid1(VALU_DEP_1)
	v_mul_f32_e32 v4, v163, v4
	v_and_b32_e32 v5, 0x7f800000, v4
	s_delay_alu instid0(VALU_DEP_1) | instskip(NEXT) | instid1(VALU_DEP_1)
	v_cmp_ne_u32_e64 s9, 0x7f800000, v5
	s_and_saveexec_b32 s23, s9
	s_delay_alu instid0(SALU_CYCLE_1)
	s_xor_b32 s9, exec_lo, s23
; %bb.6370:                             ;   in Loop: Header=BB450_3110 Depth=1
	v_bfe_u32 v5, v4, 16, 1
	s_delay_alu instid0(VALU_DEP_1)
	v_add3_u32 v71, v4, v5, 0x7fff
                                        ; implicit-def: $vgpr4
; %bb.6371:                             ;   in Loop: Header=BB450_3110 Depth=1
	s_and_not1_saveexec_b32 s23, s9
; %bb.6372:                             ;   in Loop: Header=BB450_3110 Depth=1
	v_and_b32_e32 v5, 0xffff, v4
	v_or_b32_e32 v21, 0x10000, v4
	s_delay_alu instid0(VALU_DEP_2) | instskip(NEXT) | instid1(VALU_DEP_1)
	v_cmp_eq_u32_e64 s9, 0, v5
	v_cndmask_b32_e64 v71, v21, v4, s9
; %bb.6373:                             ;   in Loop: Header=BB450_3110 Depth=1
	s_or_b32 exec_lo, exec_lo, s23
	v_lshlrev_b32_e32 v4, 16, v12
                                        ; implicit-def: $vgpr80
	s_delay_alu instid0(VALU_DEP_1) | instskip(NEXT) | instid1(VALU_DEP_1)
	v_mul_f32_e32 v4, v164, v4
	v_and_b32_e32 v5, 0x7f800000, v4
	s_delay_alu instid0(VALU_DEP_1) | instskip(NEXT) | instid1(VALU_DEP_1)
	v_cmp_ne_u32_e64 s9, 0x7f800000, v5
	s_and_saveexec_b32 s23, s9
	s_delay_alu instid0(SALU_CYCLE_1)
	s_xor_b32 s9, exec_lo, s23
; %bb.6374:                             ;   in Loop: Header=BB450_3110 Depth=1
	v_bfe_u32 v5, v4, 16, 1
	s_delay_alu instid0(VALU_DEP_1)
	v_add3_u32 v80, v4, v5, 0x7fff
                                        ; implicit-def: $vgpr4
; %bb.6375:                             ;   in Loop: Header=BB450_3110 Depth=1
	s_and_not1_saveexec_b32 s23, s9
; %bb.6376:                             ;   in Loop: Header=BB450_3110 Depth=1
	v_and_b32_e32 v5, 0xffff, v4
	v_or_b32_e32 v12, 0x10000, v4
	s_delay_alu instid0(VALU_DEP_2) | instskip(NEXT) | instid1(VALU_DEP_1)
	v_cmp_eq_u32_e64 s9, 0, v5
	v_cndmask_b32_e64 v80, v12, v4, s9
; %bb.6377:                             ;   in Loop: Header=BB450_3110 Depth=1
	s_or_b32 exec_lo, exec_lo, s23
	v_lshlrev_b32_e32 v4, 16, v7
                                        ; implicit-def: $vgpr81
	s_delay_alu instid0(VALU_DEP_1) | instskip(NEXT) | instid1(VALU_DEP_1)
	v_mul_f32_e32 v4, v165, v4
	v_and_b32_e32 v5, 0x7f800000, v4
	s_delay_alu instid0(VALU_DEP_1) | instskip(NEXT) | instid1(VALU_DEP_1)
	v_cmp_ne_u32_e64 s9, 0x7f800000, v5
	s_and_saveexec_b32 s23, s9
	s_delay_alu instid0(SALU_CYCLE_1)
	s_xor_b32 s9, exec_lo, s23
; %bb.6378:                             ;   in Loop: Header=BB450_3110 Depth=1
	v_bfe_u32 v5, v4, 16, 1
	s_delay_alu instid0(VALU_DEP_1)
	v_add3_u32 v81, v4, v5, 0x7fff
                                        ; implicit-def: $vgpr4
; %bb.6379:                             ;   in Loop: Header=BB450_3110 Depth=1
	s_and_not1_saveexec_b32 s23, s9
; %bb.6380:                             ;   in Loop: Header=BB450_3110 Depth=1
	v_and_b32_e32 v5, 0xffff, v4
	v_or_b32_e32 v7, 0x10000, v4
	s_delay_alu instid0(VALU_DEP_2) | instskip(NEXT) | instid1(VALU_DEP_1)
	v_cmp_eq_u32_e64 s9, 0, v5
	v_cndmask_b32_e64 v81, v7, v4, s9
; %bb.6381:                             ;   in Loop: Header=BB450_3110 Depth=1
	s_or_b32 exec_lo, exec_lo, s23
	v_lshlrev_b32_e32 v4, 16, v6
                                        ; implicit-def: $vgpr82
	s_delay_alu instid0(VALU_DEP_1) | instskip(NEXT) | instid1(VALU_DEP_1)
	v_mul_f32_e32 v4, v166, v4
	v_and_b32_e32 v5, 0x7f800000, v4
	s_delay_alu instid0(VALU_DEP_1) | instskip(NEXT) | instid1(VALU_DEP_1)
	v_cmp_ne_u32_e64 s9, 0x7f800000, v5
	s_and_saveexec_b32 s23, s9
	s_delay_alu instid0(SALU_CYCLE_1)
	s_xor_b32 s9, exec_lo, s23
; %bb.6382:                             ;   in Loop: Header=BB450_3110 Depth=1
	v_bfe_u32 v5, v4, 16, 1
	s_delay_alu instid0(VALU_DEP_1)
	v_add3_u32 v82, v4, v5, 0x7fff
                                        ; implicit-def: $vgpr4
; %bb.6383:                             ;   in Loop: Header=BB450_3110 Depth=1
	s_and_not1_saveexec_b32 s23, s9
; %bb.6384:                             ;   in Loop: Header=BB450_3110 Depth=1
	v_and_b32_e32 v5, 0xffff, v4
	v_or_b32_e32 v6, 0x10000, v4
	s_delay_alu instid0(VALU_DEP_2) | instskip(NEXT) | instid1(VALU_DEP_1)
	v_cmp_eq_u32_e64 s9, 0, v5
	v_cndmask_b32_e64 v82, v6, v4, s9
; %bb.6385:                             ;   in Loop: Header=BB450_3110 Depth=1
	s_or_b32 exec_lo, exec_lo, s23
	v_lshlrev_b32_e32 v3, 16, v3
                                        ; implicit-def: $vgpr83
	s_delay_alu instid0(VALU_DEP_1) | instskip(NEXT) | instid1(VALU_DEP_1)
	v_mul_f32_e32 v3, v167, v3
	v_and_b32_e32 v4, 0x7f800000, v3
	s_delay_alu instid0(VALU_DEP_1) | instskip(NEXT) | instid1(VALU_DEP_1)
	v_cmp_ne_u32_e64 s9, 0x7f800000, v4
	s_and_saveexec_b32 s23, s9
	s_delay_alu instid0(SALU_CYCLE_1)
	s_xor_b32 s9, exec_lo, s23
; %bb.6386:                             ;   in Loop: Header=BB450_3110 Depth=1
	v_bfe_u32 v4, v3, 16, 1
	s_delay_alu instid0(VALU_DEP_1)
	v_add3_u32 v83, v3, v4, 0x7fff
                                        ; implicit-def: $vgpr3
; %bb.6387:                             ;   in Loop: Header=BB450_3110 Depth=1
	s_and_not1_saveexec_b32 s23, s9
; %bb.6388:                             ;   in Loop: Header=BB450_3110 Depth=1
	v_and_b32_e32 v4, 0xffff, v3
	v_or_b32_e32 v5, 0x10000, v3
	s_delay_alu instid0(VALU_DEP_2) | instskip(NEXT) | instid1(VALU_DEP_1)
	v_cmp_eq_u32_e64 s9, 0, v4
	v_cndmask_b32_e64 v83, v5, v3, s9
; %bb.6389:                             ;   in Loop: Header=BB450_3110 Depth=1
	s_or_b32 exec_lo, exec_lo, s23
	v_lshlrev_b32_e32 v2, 16, v2
                                        ; implicit-def: $vgpr84
	s_delay_alu instid0(VALU_DEP_1) | instskip(NEXT) | instid1(VALU_DEP_1)
	v_mul_f32_e32 v2, v176, v2
	v_and_b32_e32 v3, 0x7f800000, v2
	s_delay_alu instid0(VALU_DEP_1) | instskip(NEXT) | instid1(VALU_DEP_1)
	v_cmp_ne_u32_e64 s9, 0x7f800000, v3
	s_and_saveexec_b32 s23, s9
	s_delay_alu instid0(SALU_CYCLE_1)
	s_xor_b32 s9, exec_lo, s23
; %bb.6390:                             ;   in Loop: Header=BB450_3110 Depth=1
	v_bfe_u32 v3, v2, 16, 1
	s_delay_alu instid0(VALU_DEP_1)
	v_add3_u32 v84, v2, v3, 0x7fff
                                        ; implicit-def: $vgpr2
; %bb.6391:                             ;   in Loop: Header=BB450_3110 Depth=1
	s_and_not1_saveexec_b32 s23, s9
; %bb.6392:                             ;   in Loop: Header=BB450_3110 Depth=1
	v_and_b32_e32 v3, 0xffff, v2
	v_or_b32_e32 v4, 0x10000, v2
	s_delay_alu instid0(VALU_DEP_2) | instskip(NEXT) | instid1(VALU_DEP_1)
	v_cmp_eq_u32_e64 s9, 0, v3
	v_cndmask_b32_e64 v84, v4, v2, s9
; %bb.6393:                             ;   in Loop: Header=BB450_3110 Depth=1
	s_or_b32 exec_lo, exec_lo, s23
	scratch_load_b32 v2, off, s32 offset:916 ; 4-byte Folded Reload
	s_mov_b32 s23, exec_lo
	v_mov_b32_e32 v4, 0
	s_waitcnt vmcnt(0)
	v_add_co_u32 v2, s9, v0, v2
	s_delay_alu instid0(VALU_DEP_1) | instskip(SKIP_3) | instid1(VALU_DEP_1)
	v_add_co_ci_u32_e64 v3, s9, 0, v1, s9
	flat_load_b64 v[2:3], v[2:3]
	s_waitcnt vmcnt(0) lgkmcnt(0)
	v_and_b32_e32 v5, 0xff, v2
	v_cmpx_ne_u16_e32 0, v5
	s_cbranch_execz .LBB450_6401
; %bb.6394:                             ;   in Loop: Header=BB450_3110 Depth=1
	v_bfrev_b32_e32 v4, 1
	s_mov_b32 s24, exec_lo
	v_cmpx_ne_u16_e32 0x80, v5
	s_cbranch_execz .LBB450_6400
; %bb.6395:                             ;   in Loop: Header=BB450_3110 Depth=1
	v_and_b32_e32 v5, 0x7f, v2
	v_mov_b32_e32 v4, 0x7f800001
	s_mov_b32 s25, exec_lo
	s_delay_alu instid0(VALU_DEP_2)
	v_cmpx_ne_u32_e32 0x7f, v5
	s_cbranch_execz .LBB450_6399
; %bb.6396:                             ;   in Loop: Header=BB450_3110 Depth=1
	v_lshrrev_b32_e32 v4, 3, v5
	v_dual_mov_b32 v7, v3 :: v_dual_mov_b32 v6, v2
	s_mov_b32 s26, exec_lo
	v_cmpx_gt_u32_e32 8, v5
; %bb.6397:                             ;   in Loop: Header=BB450_3110 Depth=1
	v_and_b32_e32 v4, 7, v2
	s_delay_alu instid0(VALU_DEP_1) | instskip(NEXT) | instid1(VALU_DEP_1)
	v_clz_i32_u32_e32 v4, v4
	v_min_u32_e32 v4, 32, v4
	s_delay_alu instid0(VALU_DEP_1) | instskip(SKIP_1) | instid1(VALU_DEP_2)
	v_subrev_nc_u32_e32 v5, 28, v4
	v_sub_nc_u32_e32 v4, 29, v4
	v_lshlrev_b64 v[6:7], v5, v[2:3]
; %bb.6398:                             ;   in Loop: Header=BB450_3110 Depth=1
	s_or_b32 exec_lo, exec_lo, s26
	s_delay_alu instid0(VALU_DEP_1) | instskip(SKIP_2) | instid1(VALU_DEP_3)
	v_lshlrev_b32_e32 v5, 20, v6
	v_lshlrev_b32_e32 v6, 24, v2
	v_lshl_add_u32 v4, v4, 23, 0x3c000000
	v_and_b32_e32 v5, 0x700000, v5
	s_delay_alu instid0(VALU_DEP_3) | instskip(NEXT) | instid1(VALU_DEP_1)
	v_and_b32_e32 v6, 0x80000000, v6
	v_or3_b32 v4, v5, v6, v4
.LBB450_6399:                           ;   in Loop: Header=BB450_3110 Depth=1
	s_or_b32 exec_lo, exec_lo, s25
.LBB450_6400:                           ;   in Loop: Header=BB450_3110 Depth=1
	s_delay_alu instid0(SALU_CYCLE_1)
	s_or_b32 exec_lo, exec_lo, s24
.LBB450_6401:                           ;   in Loop: Header=BB450_3110 Depth=1
	s_delay_alu instid0(SALU_CYCLE_1) | instskip(NEXT) | instid1(VALU_DEP_1)
	s_or_b32 exec_lo, exec_lo, s23
	v_mul_f32_e32 v5, v160, v4
	s_delay_alu instid0(VALU_DEP_1) | instskip(NEXT) | instid1(VALU_DEP_1)
	v_and_b32_e32 v4, 0x7f800000, v5
	v_cmp_ne_u32_e64 s9, 0x7f800000, v4
                                        ; implicit-def: $vgpr4
	s_delay_alu instid0(VALU_DEP_1) | instskip(NEXT) | instid1(SALU_CYCLE_1)
	s_and_saveexec_b32 s23, s9
	s_xor_b32 s9, exec_lo, s23
; %bb.6402:                             ;   in Loop: Header=BB450_3110 Depth=1
	v_bfe_u32 v4, v5, 16, 1
	s_delay_alu instid0(VALU_DEP_1)
	v_add3_u32 v4, v5, v4, 0x7fff
                                        ; implicit-def: $vgpr5
; %bb.6403:                             ;   in Loop: Header=BB450_3110 Depth=1
	s_and_not1_saveexec_b32 s23, s9
; %bb.6404:                             ;   in Loop: Header=BB450_3110 Depth=1
	v_and_b32_e32 v4, 0xffff, v5
	v_or_b32_e32 v6, 0x10000, v5
	s_delay_alu instid0(VALU_DEP_2) | instskip(NEXT) | instid1(VALU_DEP_1)
	v_cmp_eq_u32_e64 s9, 0, v4
	v_cndmask_b32_e64 v4, v6, v5, s9
; %bb.6405:                             ;   in Loop: Header=BB450_3110 Depth=1
	s_or_b32 exec_lo, exec_lo, s23
	v_lshrrev_b16 v6, 8, v2
	v_mov_b32_e32 v5, 0
	s_mov_b32 s23, exec_lo
	s_delay_alu instid0(VALU_DEP_2)
	v_cmpx_ne_u16_e32 0, v6
	s_cbranch_execz .LBB450_6413
; %bb.6406:                             ;   in Loop: Header=BB450_3110 Depth=1
	v_bfrev_b32_e32 v5, 1
	s_mov_b32 s24, exec_lo
	v_cmpx_ne_u16_e32 0x80, v6
	s_cbranch_execz .LBB450_6412
; %bb.6407:                             ;   in Loop: Header=BB450_3110 Depth=1
	v_and_b32_e32 v6, 0xffff, v6
	v_mov_b32_e32 v5, 0x7f800001
	s_mov_b32 s25, exec_lo
	s_delay_alu instid0(VALU_DEP_2) | instskip(NEXT) | instid1(VALU_DEP_1)
	v_and_b32_e32 v21, 0x7f, v6
	v_cmpx_ne_u32_e32 0x7f, v21
	s_cbranch_execz .LBB450_6411
; %bb.6408:                             ;   in Loop: Header=BB450_3110 Depth=1
	v_and_b32_e32 v12, 7, v6
	v_lshrrev_b32_e32 v5, 3, v21
	s_mov_b32 s26, exec_lo
	s_delay_alu instid0(VALU_DEP_2)
	v_dual_mov_b32 v6, v12 :: v_dual_mov_b32 v7, v13
	v_cmpx_gt_u32_e32 8, v21
; %bb.6409:                             ;   in Loop: Header=BB450_3110 Depth=1
	v_clz_i32_u32_e32 v5, v12
	s_delay_alu instid0(VALU_DEP_1) | instskip(NEXT) | instid1(VALU_DEP_1)
	v_min_u32_e32 v5, 32, v5
	v_subrev_nc_u32_e32 v6, 28, v5
	v_sub_nc_u32_e32 v5, 29, v5
	s_delay_alu instid0(VALU_DEP_2) | instskip(NEXT) | instid1(VALU_DEP_1)
	v_lshlrev_b64 v[6:7], v6, v[12:13]
	v_and_b32_e32 v6, 7, v6
; %bb.6410:                             ;   in Loop: Header=BB450_3110 Depth=1
	s_or_b32 exec_lo, exec_lo, s26
	v_lshlrev_b32_e32 v7, 16, v2
	s_delay_alu instid0(VALU_DEP_2) | instskip(SKIP_1) | instid1(VALU_DEP_3)
	v_lshlrev_b32_e32 v6, 20, v6
	v_lshl_add_u32 v5, v5, 23, 0x3c000000
	v_and_b32_e32 v7, 0x80000000, v7
	s_delay_alu instid0(VALU_DEP_1)
	v_or3_b32 v5, v6, v7, v5
.LBB450_6411:                           ;   in Loop: Header=BB450_3110 Depth=1
	s_or_b32 exec_lo, exec_lo, s25
.LBB450_6412:                           ;   in Loop: Header=BB450_3110 Depth=1
	s_delay_alu instid0(SALU_CYCLE_1)
	s_or_b32 exec_lo, exec_lo, s24
.LBB450_6413:                           ;   in Loop: Header=BB450_3110 Depth=1
	s_delay_alu instid0(SALU_CYCLE_1) | instskip(NEXT) | instid1(VALU_DEP_1)
	s_or_b32 exec_lo, exec_lo, s23
	v_mul_f32_e32 v6, v160, v5
	s_delay_alu instid0(VALU_DEP_1) | instskip(NEXT) | instid1(VALU_DEP_1)
	v_and_b32_e32 v5, 0x7f800000, v6
	v_cmp_ne_u32_e64 s9, 0x7f800000, v5
                                        ; implicit-def: $vgpr5
	s_delay_alu instid0(VALU_DEP_1) | instskip(NEXT) | instid1(SALU_CYCLE_1)
	s_and_saveexec_b32 s23, s9
	s_xor_b32 s9, exec_lo, s23
; %bb.6414:                             ;   in Loop: Header=BB450_3110 Depth=1
	v_bfe_u32 v5, v6, 16, 1
	s_delay_alu instid0(VALU_DEP_1)
	v_add3_u32 v5, v6, v5, 0x7fff
                                        ; implicit-def: $vgpr6
; %bb.6415:                             ;   in Loop: Header=BB450_3110 Depth=1
	s_and_not1_saveexec_b32 s23, s9
; %bb.6416:                             ;   in Loop: Header=BB450_3110 Depth=1
	v_and_b32_e32 v5, 0xffff, v6
	v_or_b32_e32 v7, 0x10000, v6
	s_delay_alu instid0(VALU_DEP_2) | instskip(NEXT) | instid1(VALU_DEP_1)
	v_cmp_eq_u32_e64 s9, 0, v5
	v_cndmask_b32_e64 v5, v7, v6, s9
; %bb.6417:                             ;   in Loop: Header=BB450_3110 Depth=1
	s_or_b32 exec_lo, exec_lo, s23
	v_lshrrev_b32_e32 v21, 16, v2
	s_mov_b32 s23, exec_lo
	s_delay_alu instid0(VALU_DEP_1) | instskip(NEXT) | instid1(VALU_DEP_1)
	v_dual_mov_b32 v6, 0 :: v_dual_and_b32 v7, 0xff, v21
	v_cmpx_ne_u16_e32 0, v7
	s_cbranch_execz .LBB450_6425
; %bb.6418:                             ;   in Loop: Header=BB450_3110 Depth=1
	v_bfrev_b32_e32 v6, 1
	s_mov_b32 s24, exec_lo
	v_cmpx_ne_u16_e32 0x80, v7
	s_cbranch_execz .LBB450_6424
; %bb.6419:                             ;   in Loop: Header=BB450_3110 Depth=1
	v_bfe_u32 v37, v2, 16, 7
	v_mov_b32_e32 v6, 0x7f800001
	s_mov_b32 s25, exec_lo
	s_delay_alu instid0(VALU_DEP_2)
	v_cmpx_ne_u32_e32 0x7f, v37
	s_cbranch_execz .LBB450_6423
; %bb.6420:                             ;   in Loop: Header=BB450_3110 Depth=1
	v_and_b32_e32 v12, 7, v21
	s_mov_b32 s26, exec_lo
	s_delay_alu instid0(VALU_DEP_1)
	v_dual_mov_b32 v6, v12 :: v_dual_mov_b32 v7, v13
	v_lshrrev_b32_e32 v7, 3, v37
	v_cmpx_gt_u32_e32 8, v37
; %bb.6421:                             ;   in Loop: Header=BB450_3110 Depth=1
	v_clz_i32_u32_e32 v6, v12
	s_delay_alu instid0(VALU_DEP_1) | instskip(NEXT) | instid1(VALU_DEP_1)
	v_min_u32_e32 v37, 32, v6
	v_subrev_nc_u32_e32 v6, 28, v37
	s_delay_alu instid0(VALU_DEP_1) | instskip(SKIP_1) | instid1(VALU_DEP_2)
	v_lshlrev_b64 v[6:7], v6, v[12:13]
	v_sub_nc_u32_e32 v7, 29, v37
	v_and_b32_e32 v6, 7, v6
; %bb.6422:                             ;   in Loop: Header=BB450_3110 Depth=1
	s_or_b32 exec_lo, exec_lo, s26
	v_lshlrev_b32_e32 v12, 24, v21
	s_delay_alu instid0(VALU_DEP_2) | instskip(SKIP_1) | instid1(VALU_DEP_3)
	v_lshlrev_b32_e32 v6, 20, v6
	v_lshl_add_u32 v7, v7, 23, 0x3c000000
	v_and_b32_e32 v12, 0x80000000, v12
	s_delay_alu instid0(VALU_DEP_1)
	v_or3_b32 v6, v6, v12, v7
.LBB450_6423:                           ;   in Loop: Header=BB450_3110 Depth=1
	s_or_b32 exec_lo, exec_lo, s25
.LBB450_6424:                           ;   in Loop: Header=BB450_3110 Depth=1
	s_delay_alu instid0(SALU_CYCLE_1)
	s_or_b32 exec_lo, exec_lo, s24
.LBB450_6425:                           ;   in Loop: Header=BB450_3110 Depth=1
	s_delay_alu instid0(SALU_CYCLE_1) | instskip(NEXT) | instid1(VALU_DEP_1)
	s_or_b32 exec_lo, exec_lo, s23
	v_mul_f32_e32 v6, v160, v6
                                        ; implicit-def: $vgpr21
	s_delay_alu instid0(VALU_DEP_1) | instskip(NEXT) | instid1(VALU_DEP_1)
	v_and_b32_e32 v7, 0x7f800000, v6
	v_cmp_ne_u32_e64 s9, 0x7f800000, v7
	s_delay_alu instid0(VALU_DEP_1) | instskip(NEXT) | instid1(SALU_CYCLE_1)
	s_and_saveexec_b32 s23, s9
	s_xor_b32 s9, exec_lo, s23
; %bb.6426:                             ;   in Loop: Header=BB450_3110 Depth=1
	v_bfe_u32 v7, v6, 16, 1
	s_delay_alu instid0(VALU_DEP_1)
	v_add3_u32 v21, v6, v7, 0x7fff
                                        ; implicit-def: $vgpr6
; %bb.6427:                             ;   in Loop: Header=BB450_3110 Depth=1
	s_and_not1_saveexec_b32 s23, s9
; %bb.6428:                             ;   in Loop: Header=BB450_3110 Depth=1
	v_and_b32_e32 v7, 0xffff, v6
	v_or_b32_e32 v12, 0x10000, v6
	s_delay_alu instid0(VALU_DEP_2) | instskip(NEXT) | instid1(VALU_DEP_1)
	v_cmp_eq_u32_e64 s9, 0, v7
	v_cndmask_b32_e64 v21, v12, v6, s9
; %bb.6429:                             ;   in Loop: Header=BB450_3110 Depth=1
	s_or_b32 exec_lo, exec_lo, s23
	v_mov_b32_e32 v6, 0
	s_mov_b32 s23, exec_lo
	v_cmpx_lt_u32_e32 0xffffff, v2
	s_cbranch_execz .LBB450_6437
; %bb.6430:                             ;   in Loop: Header=BB450_3110 Depth=1
	v_lshrrev_b32_e32 v37, 24, v2
	v_bfrev_b32_e32 v6, 1
	s_mov_b32 s24, exec_lo
	s_delay_alu instid0(VALU_DEP_2)
	v_cmpx_ne_u32_e32 0x80, v37
	s_cbranch_execz .LBB450_6436
; %bb.6431:                             ;   in Loop: Header=BB450_3110 Depth=1
	v_bfe_u32 v38, v2, 24, 7
	v_mov_b32_e32 v6, 0x7f800001
	s_mov_b32 s25, exec_lo
	s_delay_alu instid0(VALU_DEP_2)
	v_cmpx_ne_u32_e32 0x7f, v38
	s_cbranch_execz .LBB450_6435
; %bb.6432:                             ;   in Loop: Header=BB450_3110 Depth=1
	v_and_b32_e32 v12, 7, v37
	s_mov_b32 s26, exec_lo
	s_delay_alu instid0(VALU_DEP_1)
	v_dual_mov_b32 v6, v12 :: v_dual_mov_b32 v7, v13
	v_lshrrev_b32_e32 v7, 3, v38
	v_cmpx_gt_u32_e32 8, v38
; %bb.6433:                             ;   in Loop: Header=BB450_3110 Depth=1
	v_clz_i32_u32_e32 v6, v12
	s_delay_alu instid0(VALU_DEP_1) | instskip(NEXT) | instid1(VALU_DEP_1)
	v_min_u32_e32 v38, 32, v6
	v_subrev_nc_u32_e32 v6, 28, v38
	s_delay_alu instid0(VALU_DEP_1) | instskip(SKIP_1) | instid1(VALU_DEP_2)
	v_lshlrev_b64 v[6:7], v6, v[12:13]
	v_sub_nc_u32_e32 v7, 29, v38
	v_and_b32_e32 v6, 7, v6
; %bb.6434:                             ;   in Loop: Header=BB450_3110 Depth=1
	s_or_b32 exec_lo, exec_lo, s26
	v_lshlrev_b32_e32 v12, 24, v37
	s_delay_alu instid0(VALU_DEP_2) | instskip(SKIP_1) | instid1(VALU_DEP_3)
	v_lshlrev_b32_e32 v6, 20, v6
	v_lshl_add_u32 v7, v7, 23, 0x3c000000
	v_and_b32_e32 v12, 0x80000000, v12
	s_delay_alu instid0(VALU_DEP_1)
	v_or3_b32 v6, v6, v12, v7
.LBB450_6435:                           ;   in Loop: Header=BB450_3110 Depth=1
	s_or_b32 exec_lo, exec_lo, s25
.LBB450_6436:                           ;   in Loop: Header=BB450_3110 Depth=1
	s_delay_alu instid0(SALU_CYCLE_1)
	s_or_b32 exec_lo, exec_lo, s24
.LBB450_6437:                           ;   in Loop: Header=BB450_3110 Depth=1
	s_delay_alu instid0(SALU_CYCLE_1) | instskip(NEXT) | instid1(VALU_DEP_1)
	s_or_b32 exec_lo, exec_lo, s23
	v_mul_f32_e32 v6, v160, v6
                                        ; implicit-def: $vgpr37
	s_delay_alu instid0(VALU_DEP_1) | instskip(NEXT) | instid1(VALU_DEP_1)
	v_and_b32_e32 v7, 0x7f800000, v6
	v_cmp_ne_u32_e64 s9, 0x7f800000, v7
	s_delay_alu instid0(VALU_DEP_1) | instskip(NEXT) | instid1(SALU_CYCLE_1)
	s_and_saveexec_b32 s23, s9
	s_xor_b32 s9, exec_lo, s23
; %bb.6438:                             ;   in Loop: Header=BB450_3110 Depth=1
	v_bfe_u32 v7, v6, 16, 1
	s_delay_alu instid0(VALU_DEP_1)
	v_add3_u32 v37, v6, v7, 0x7fff
                                        ; implicit-def: $vgpr6
; %bb.6439:                             ;   in Loop: Header=BB450_3110 Depth=1
	s_and_not1_saveexec_b32 s23, s9
; %bb.6440:                             ;   in Loop: Header=BB450_3110 Depth=1
	v_and_b32_e32 v7, 0xffff, v6
	v_or_b32_e32 v12, 0x10000, v6
	s_delay_alu instid0(VALU_DEP_2) | instskip(NEXT) | instid1(VALU_DEP_1)
	v_cmp_eq_u32_e64 s9, 0, v7
	v_cndmask_b32_e64 v37, v12, v6, s9
; %bb.6441:                             ;   in Loop: Header=BB450_3110 Depth=1
	s_or_b32 exec_lo, exec_lo, s23
	v_dual_mov_b32 v12, v3 :: v_dual_and_b32 v7, 0xff, v3
	v_mov_b32_e32 v6, 0
	s_mov_b32 s23, exec_lo
	s_delay_alu instid0(VALU_DEP_2)
	v_cmpx_ne_u16_e32 0, v7
	s_cbranch_execz .LBB450_6449
; %bb.6442:                             ;   in Loop: Header=BB450_3110 Depth=1
	v_bfrev_b32_e32 v6, 1
	s_mov_b32 s24, exec_lo
	v_cmpx_ne_u16_e32 0x80, v7
	s_cbranch_execz .LBB450_6448
; %bb.6443:                             ;   in Loop: Header=BB450_3110 Depth=1
	v_and_b32_e32 v38, 0x7f, v3
	v_mov_b32_e32 v6, 0x7f800001
	s_mov_b32 s25, exec_lo
	s_delay_alu instid0(VALU_DEP_2)
	v_cmpx_ne_u32_e32 0x7f, v38
	s_cbranch_execz .LBB450_6447
; %bb.6444:                             ;   in Loop: Header=BB450_3110 Depth=1
	v_dual_mov_b32 v6, v12 :: v_dual_mov_b32 v7, v13
	v_lshrrev_b32_e32 v7, 3, v38
	s_mov_b32 s26, exec_lo
	v_cmpx_gt_u32_e32 8, v38
; %bb.6445:                             ;   in Loop: Header=BB450_3110 Depth=1
	v_and_b32_e32 v6, 7, v3
	s_delay_alu instid0(VALU_DEP_1) | instskip(NEXT) | instid1(VALU_DEP_1)
	v_clz_i32_u32_e32 v6, v6
	v_min_u32_e32 v38, 32, v6
	s_delay_alu instid0(VALU_DEP_1) | instskip(NEXT) | instid1(VALU_DEP_1)
	v_subrev_nc_u32_e32 v6, 28, v38
	v_lshlrev_b64 v[6:7], v6, v[12:13]
	v_sub_nc_u32_e32 v7, 29, v38
; %bb.6446:                             ;   in Loop: Header=BB450_3110 Depth=1
	s_or_b32 exec_lo, exec_lo, s26
	s_delay_alu instid0(VALU_DEP_2) | instskip(SKIP_1) | instid1(VALU_DEP_3)
	v_lshlrev_b32_e32 v6, 20, v6
	v_lshlrev_b32_e32 v38, 24, v12
	v_lshl_add_u32 v7, v7, 23, 0x3c000000
	s_delay_alu instid0(VALU_DEP_3) | instskip(NEXT) | instid1(VALU_DEP_3)
	v_and_b32_e32 v6, 0x700000, v6
	v_and_b32_e32 v38, 0x80000000, v38
	s_delay_alu instid0(VALU_DEP_1)
	v_or3_b32 v6, v6, v38, v7
.LBB450_6447:                           ;   in Loop: Header=BB450_3110 Depth=1
	s_or_b32 exec_lo, exec_lo, s25
.LBB450_6448:                           ;   in Loop: Header=BB450_3110 Depth=1
	s_delay_alu instid0(SALU_CYCLE_1)
	s_or_b32 exec_lo, exec_lo, s24
.LBB450_6449:                           ;   in Loop: Header=BB450_3110 Depth=1
	s_delay_alu instid0(SALU_CYCLE_1) | instskip(NEXT) | instid1(VALU_DEP_1)
	s_or_b32 exec_lo, exec_lo, s23
	v_mul_f32_e32 v6, v160, v6
                                        ; implicit-def: $vgpr38
	s_delay_alu instid0(VALU_DEP_1) | instskip(NEXT) | instid1(VALU_DEP_1)
	v_and_b32_e32 v7, 0x7f800000, v6
	v_cmp_ne_u32_e64 s9, 0x7f800000, v7
	s_delay_alu instid0(VALU_DEP_1) | instskip(NEXT) | instid1(SALU_CYCLE_1)
	s_and_saveexec_b32 s23, s9
	s_xor_b32 s9, exec_lo, s23
; %bb.6450:                             ;   in Loop: Header=BB450_3110 Depth=1
	v_bfe_u32 v7, v6, 16, 1
	s_delay_alu instid0(VALU_DEP_1)
	v_add3_u32 v38, v6, v7, 0x7fff
                                        ; implicit-def: $vgpr6
; %bb.6451:                             ;   in Loop: Header=BB450_3110 Depth=1
	s_and_not1_saveexec_b32 s23, s9
; %bb.6452:                             ;   in Loop: Header=BB450_3110 Depth=1
	v_and_b32_e32 v7, 0xffff, v6
	v_or_b32_e32 v38, 0x10000, v6
	s_delay_alu instid0(VALU_DEP_2) | instskip(NEXT) | instid1(VALU_DEP_1)
	v_cmp_eq_u32_e64 s9, 0, v7
	v_cndmask_b32_e64 v38, v38, v6, s9
; %bb.6453:                             ;   in Loop: Header=BB450_3110 Depth=1
	s_or_b32 exec_lo, exec_lo, s23
	v_lshrrev_b16 v7, 8, v12
	v_mov_b32_e32 v6, 0
	s_mov_b32 s23, exec_lo
	s_delay_alu instid0(VALU_DEP_2)
	v_cmpx_ne_u16_e32 0, v7
	s_cbranch_execz .LBB450_6461
; %bb.6454:                             ;   in Loop: Header=BB450_3110 Depth=1
	v_bfrev_b32_e32 v6, 1
	s_mov_b32 s24, exec_lo
	v_cmpx_ne_u16_e32 0x80, v7
	s_cbranch_execz .LBB450_6460
; %bb.6455:                             ;   in Loop: Header=BB450_3110 Depth=1
	v_and_b32_e32 v7, 0xffff, v7
	v_mov_b32_e32 v6, 0x7f800001
	s_mov_b32 s25, exec_lo
	s_delay_alu instid0(VALU_DEP_2) | instskip(NEXT) | instid1(VALU_DEP_1)
	v_and_b32_e32 v86, 0x7f, v7
	v_cmpx_ne_u32_e32 0x7f, v86
	s_cbranch_execz .LBB450_6459
; %bb.6456:                             ;   in Loop: Header=BB450_3110 Depth=1
	v_dual_mov_b32 v7, v13 :: v_dual_and_b32 v6, 7, v7
	v_lshrrev_b32_e32 v85, 3, v86
	s_mov_b32 s26, exec_lo
	v_cmpx_gt_u32_e32 8, v86
; %bb.6457:                             ;   in Loop: Header=BB450_3110 Depth=1
	s_delay_alu instid0(VALU_DEP_3) | instskip(NEXT) | instid1(VALU_DEP_1)
	v_clz_i32_u32_e32 v85, v6
	v_min_u32_e32 v85, 32, v85
	s_delay_alu instid0(VALU_DEP_1) | instskip(SKIP_1) | instid1(VALU_DEP_2)
	v_subrev_nc_u32_e32 v86, 28, v85
	v_sub_nc_u32_e32 v85, 29, v85
	v_lshlrev_b64 v[6:7], v86, v[6:7]
	s_delay_alu instid0(VALU_DEP_1)
	v_and_b32_e32 v6, 7, v6
; %bb.6458:                             ;   in Loop: Header=BB450_3110 Depth=1
	s_or_b32 exec_lo, exec_lo, s26
	v_lshlrev_b32_e32 v7, 16, v12
	s_delay_alu instid0(VALU_DEP_2) | instskip(SKIP_1) | instid1(VALU_DEP_3)
	v_lshlrev_b32_e32 v6, 20, v6
	v_lshl_add_u32 v12, v85, 23, 0x3c000000
	v_and_b32_e32 v7, 0x80000000, v7
	s_delay_alu instid0(VALU_DEP_1)
	v_or3_b32 v6, v6, v7, v12
.LBB450_6459:                           ;   in Loop: Header=BB450_3110 Depth=1
	s_or_b32 exec_lo, exec_lo, s25
.LBB450_6460:                           ;   in Loop: Header=BB450_3110 Depth=1
	s_delay_alu instid0(SALU_CYCLE_1)
	s_or_b32 exec_lo, exec_lo, s24
.LBB450_6461:                           ;   in Loop: Header=BB450_3110 Depth=1
	s_delay_alu instid0(SALU_CYCLE_1) | instskip(NEXT) | instid1(VALU_DEP_1)
	s_or_b32 exec_lo, exec_lo, s23
	v_mul_f32_e32 v6, v160, v6
                                        ; implicit-def: $vgpr85
	s_delay_alu instid0(VALU_DEP_1) | instskip(NEXT) | instid1(VALU_DEP_1)
	v_and_b32_e32 v7, 0x7f800000, v6
	v_cmp_ne_u32_e64 s9, 0x7f800000, v7
	s_delay_alu instid0(VALU_DEP_1) | instskip(NEXT) | instid1(SALU_CYCLE_1)
	s_and_saveexec_b32 s23, s9
	s_xor_b32 s9, exec_lo, s23
; %bb.6462:                             ;   in Loop: Header=BB450_3110 Depth=1
	v_bfe_u32 v7, v6, 16, 1
	s_delay_alu instid0(VALU_DEP_1)
	v_add3_u32 v85, v6, v7, 0x7fff
                                        ; implicit-def: $vgpr6
; %bb.6463:                             ;   in Loop: Header=BB450_3110 Depth=1
	s_and_not1_saveexec_b32 s23, s9
; %bb.6464:                             ;   in Loop: Header=BB450_3110 Depth=1
	v_and_b32_e32 v7, 0xffff, v6
	v_or_b32_e32 v12, 0x10000, v6
	s_delay_alu instid0(VALU_DEP_2) | instskip(NEXT) | instid1(VALU_DEP_1)
	v_cmp_eq_u32_e64 s9, 0, v7
	v_cndmask_b32_e64 v85, v12, v6, s9
; %bb.6465:                             ;   in Loop: Header=BB450_3110 Depth=1
	s_or_b32 exec_lo, exec_lo, s23
	v_lshrrev_b32_e32 v86, 16, v3
	s_mov_b32 s23, exec_lo
	s_delay_alu instid0(VALU_DEP_1) | instskip(NEXT) | instid1(VALU_DEP_1)
	v_dual_mov_b32 v6, 0 :: v_dual_and_b32 v7, 0xff, v86
	v_cmpx_ne_u16_e32 0, v7
	s_cbranch_execz .LBB450_6473
; %bb.6466:                             ;   in Loop: Header=BB450_3110 Depth=1
	v_bfrev_b32_e32 v6, 1
	s_mov_b32 s24, exec_lo
	v_cmpx_ne_u16_e32 0x80, v7
	s_cbranch_execz .LBB450_6472
; %bb.6467:                             ;   in Loop: Header=BB450_3110 Depth=1
	v_bfe_u32 v87, v3, 16, 7
	v_mov_b32_e32 v6, 0x7f800001
	s_mov_b32 s25, exec_lo
	s_delay_alu instid0(VALU_DEP_2)
	v_cmpx_ne_u32_e32 0x7f, v87
	s_cbranch_execz .LBB450_6471
; %bb.6468:                             ;   in Loop: Header=BB450_3110 Depth=1
	v_and_b32_e32 v12, 7, v86
	s_mov_b32 s26, exec_lo
	s_delay_alu instid0(VALU_DEP_1)
	v_dual_mov_b32 v6, v12 :: v_dual_mov_b32 v7, v13
	v_lshrrev_b32_e32 v7, 3, v87
	v_cmpx_gt_u32_e32 8, v87
; %bb.6469:                             ;   in Loop: Header=BB450_3110 Depth=1
	v_clz_i32_u32_e32 v6, v12
	s_delay_alu instid0(VALU_DEP_1) | instskip(NEXT) | instid1(VALU_DEP_1)
	v_min_u32_e32 v87, 32, v6
	v_subrev_nc_u32_e32 v6, 28, v87
	s_delay_alu instid0(VALU_DEP_1) | instskip(SKIP_1) | instid1(VALU_DEP_2)
	v_lshlrev_b64 v[6:7], v6, v[12:13]
	v_sub_nc_u32_e32 v7, 29, v87
	v_and_b32_e32 v6, 7, v6
; %bb.6470:                             ;   in Loop: Header=BB450_3110 Depth=1
	s_or_b32 exec_lo, exec_lo, s26
	v_lshlrev_b32_e32 v12, 24, v86
	s_delay_alu instid0(VALU_DEP_2) | instskip(SKIP_1) | instid1(VALU_DEP_3)
	v_lshlrev_b32_e32 v6, 20, v6
	v_lshl_add_u32 v7, v7, 23, 0x3c000000
	v_and_b32_e32 v12, 0x80000000, v12
	s_delay_alu instid0(VALU_DEP_1)
	v_or3_b32 v6, v6, v12, v7
.LBB450_6471:                           ;   in Loop: Header=BB450_3110 Depth=1
	s_or_b32 exec_lo, exec_lo, s25
.LBB450_6472:                           ;   in Loop: Header=BB450_3110 Depth=1
	s_delay_alu instid0(SALU_CYCLE_1)
	s_or_b32 exec_lo, exec_lo, s24
.LBB450_6473:                           ;   in Loop: Header=BB450_3110 Depth=1
	s_delay_alu instid0(SALU_CYCLE_1) | instskip(NEXT) | instid1(VALU_DEP_1)
	s_or_b32 exec_lo, exec_lo, s23
	v_mul_f32_e32 v6, v160, v6
                                        ; implicit-def: $vgpr86
	s_delay_alu instid0(VALU_DEP_1) | instskip(NEXT) | instid1(VALU_DEP_1)
	v_and_b32_e32 v7, 0x7f800000, v6
	v_cmp_ne_u32_e64 s9, 0x7f800000, v7
	s_delay_alu instid0(VALU_DEP_1) | instskip(NEXT) | instid1(SALU_CYCLE_1)
	s_and_saveexec_b32 s23, s9
	s_xor_b32 s9, exec_lo, s23
; %bb.6474:                             ;   in Loop: Header=BB450_3110 Depth=1
	v_bfe_u32 v7, v6, 16, 1
	s_delay_alu instid0(VALU_DEP_1)
	v_add3_u32 v86, v6, v7, 0x7fff
                                        ; implicit-def: $vgpr6
; %bb.6475:                             ;   in Loop: Header=BB450_3110 Depth=1
	s_and_not1_saveexec_b32 s23, s9
; %bb.6476:                             ;   in Loop: Header=BB450_3110 Depth=1
	v_and_b32_e32 v7, 0xffff, v6
	v_or_b32_e32 v12, 0x10000, v6
	s_delay_alu instid0(VALU_DEP_2) | instskip(NEXT) | instid1(VALU_DEP_1)
	v_cmp_eq_u32_e64 s9, 0, v7
	v_cndmask_b32_e64 v86, v12, v6, s9
; %bb.6477:                             ;   in Loop: Header=BB450_3110 Depth=1
	s_or_b32 exec_lo, exec_lo, s23
	v_cmp_lt_u64_e64 s9, s[18:19], v[2:3]
	v_mov_b32_e32 v2, 0
	s_delay_alu instid0(VALU_DEP_2)
	s_and_saveexec_b32 s23, s9
	s_cbranch_execz .LBB450_6485
; %bb.6478:                             ;   in Loop: Header=BB450_3110 Depth=1
	v_lshrrev_b32_e32 v6, 24, v3
	v_bfrev_b32_e32 v2, 1
	s_mov_b32 s24, exec_lo
	s_delay_alu instid0(VALU_DEP_2)
	v_cmpx_ne_u32_e32 0x80, v6
	s_cbranch_execz .LBB450_6484
; %bb.6479:                             ;   in Loop: Header=BB450_3110 Depth=1
	v_bfe_u32 v7, v3, 24, 7
	v_mov_b32_e32 v2, 0x7f800001
	s_mov_b32 s25, exec_lo
	s_delay_alu instid0(VALU_DEP_2)
	v_cmpx_ne_u32_e32 0x7f, v7
	s_cbranch_execz .LBB450_6483
; %bb.6480:                             ;   in Loop: Header=BB450_3110 Depth=1
	v_and_b32_e32 v12, 7, v6
	s_mov_b32 s26, exec_lo
	s_delay_alu instid0(VALU_DEP_1)
	v_dual_mov_b32 v2, v12 :: v_dual_mov_b32 v3, v13
	v_lshrrev_b32_e32 v3, 3, v7
	v_cmpx_gt_u32_e32 8, v7
; %bb.6481:                             ;   in Loop: Header=BB450_3110 Depth=1
	v_clz_i32_u32_e32 v2, v12
	s_delay_alu instid0(VALU_DEP_1) | instskip(NEXT) | instid1(VALU_DEP_1)
	v_min_u32_e32 v7, 32, v2
	v_subrev_nc_u32_e32 v2, 28, v7
	s_delay_alu instid0(VALU_DEP_1) | instskip(SKIP_1) | instid1(VALU_DEP_2)
	v_lshlrev_b64 v[2:3], v2, v[12:13]
	v_sub_nc_u32_e32 v3, 29, v7
	v_and_b32_e32 v2, 7, v2
; %bb.6482:                             ;   in Loop: Header=BB450_3110 Depth=1
	s_or_b32 exec_lo, exec_lo, s26
	v_lshlrev_b32_e32 v6, 24, v6
	s_delay_alu instid0(VALU_DEP_2) | instskip(SKIP_1) | instid1(VALU_DEP_3)
	v_lshlrev_b32_e32 v2, 20, v2
	v_lshl_add_u32 v3, v3, 23, 0x3c000000
	v_and_b32_e32 v6, 0x80000000, v6
	s_delay_alu instid0(VALU_DEP_1)
	v_or3_b32 v2, v2, v6, v3
.LBB450_6483:                           ;   in Loop: Header=BB450_3110 Depth=1
	s_or_b32 exec_lo, exec_lo, s25
.LBB450_6484:                           ;   in Loop: Header=BB450_3110 Depth=1
	s_delay_alu instid0(SALU_CYCLE_1)
	s_or_b32 exec_lo, exec_lo, s24
.LBB450_6485:                           ;   in Loop: Header=BB450_3110 Depth=1
	s_delay_alu instid0(SALU_CYCLE_1) | instskip(NEXT) | instid1(VALU_DEP_1)
	s_or_b32 exec_lo, exec_lo, s23
	v_mul_f32_e32 v3, v160, v2
	s_delay_alu instid0(VALU_DEP_1) | instskip(NEXT) | instid1(VALU_DEP_1)
	v_and_b32_e32 v2, 0x7f800000, v3
	v_cmp_ne_u32_e64 s9, 0x7f800000, v2
                                        ; implicit-def: $vgpr2
	s_delay_alu instid0(VALU_DEP_1) | instskip(NEXT) | instid1(SALU_CYCLE_1)
	s_and_saveexec_b32 s23, s9
	s_xor_b32 s9, exec_lo, s23
; %bb.6486:                             ;   in Loop: Header=BB450_3110 Depth=1
	v_bfe_u32 v2, v3, 16, 1
	s_delay_alu instid0(VALU_DEP_1)
	v_add3_u32 v2, v3, v2, 0x7fff
                                        ; implicit-def: $vgpr3
; %bb.6487:                             ;   in Loop: Header=BB450_3110 Depth=1
	s_and_not1_saveexec_b32 s23, s9
; %bb.6488:                             ;   in Loop: Header=BB450_3110 Depth=1
	v_and_b32_e32 v2, 0xffff, v3
	v_or_b32_e32 v6, 0x10000, v3
	s_delay_alu instid0(VALU_DEP_2) | instskip(NEXT) | instid1(VALU_DEP_1)
	v_cmp_eq_u32_e64 s9, 0, v2
	v_cndmask_b32_e64 v2, v6, v3, s9
; %bb.6489:                             ;   in Loop: Header=BB450_3110 Depth=1
	s_or_b32 exec_lo, exec_lo, s23
	v_lshrrev_b32_e32 v6, 16, v85
	v_lshrrev_b32_e32 v7, 16, v38
	;; [unrolled: 1-line block ×8, first 2 shown]
	s_and_saveexec_b32 s9, s1
; %bb.6490:                             ;   in Loop: Header=BB450_3110 Depth=1
	s_delay_alu instid0(VALU_DEP_3)
	v_cndmask_b32_e32 v4, 0, v4, vcc_lo
	v_cndmask_b32_e64 v5, 0, v5, s2
	v_cndmask_b32_e64 v21, 0, v21, s3
	;; [unrolled: 1-line block ×7, first 2 shown]
; %bb.6491:                             ;   in Loop: Header=BB450_3110 Depth=1
	s_or_b32 exec_lo, exec_lo, s9
	v_lshlrev_b32_e32 v4, 16, v4
                                        ; implicit-def: $vgpr85
	s_delay_alu instid0(VALU_DEP_1) | instskip(NEXT) | instid1(VALU_DEP_1)
	v_mul_f32_e32 v4, v161, v4
	v_and_b32_e32 v37, 0x7f800000, v4
	s_delay_alu instid0(VALU_DEP_1) | instskip(NEXT) | instid1(VALU_DEP_1)
	v_cmp_ne_u32_e64 s9, 0x7f800000, v37
	s_and_saveexec_b32 s23, s9
	s_delay_alu instid0(SALU_CYCLE_1)
	s_xor_b32 s9, exec_lo, s23
; %bb.6492:                             ;   in Loop: Header=BB450_3110 Depth=1
	v_bfe_u32 v37, v4, 16, 1
	s_delay_alu instid0(VALU_DEP_1)
	v_add3_u32 v85, v4, v37, 0x7fff
                                        ; implicit-def: $vgpr4
; %bb.6493:                             ;   in Loop: Header=BB450_3110 Depth=1
	s_and_not1_saveexec_b32 s23, s9
; %bb.6494:                             ;   in Loop: Header=BB450_3110 Depth=1
	v_and_b32_e32 v37, 0xffff, v4
	v_or_b32_e32 v38, 0x10000, v4
	s_delay_alu instid0(VALU_DEP_2) | instskip(NEXT) | instid1(VALU_DEP_1)
	v_cmp_eq_u32_e64 s9, 0, v37
	v_cndmask_b32_e64 v85, v38, v4, s9
; %bb.6495:                             ;   in Loop: Header=BB450_3110 Depth=1
	s_or_b32 exec_lo, exec_lo, s23
	v_lshlrev_b32_e32 v4, 16, v5
                                        ; implicit-def: $vgpr86
	s_delay_alu instid0(VALU_DEP_1) | instskip(NEXT) | instid1(VALU_DEP_1)
	v_mul_f32_e32 v4, v162, v4
	v_and_b32_e32 v5, 0x7f800000, v4
	s_delay_alu instid0(VALU_DEP_1) | instskip(NEXT) | instid1(VALU_DEP_1)
	v_cmp_ne_u32_e64 s9, 0x7f800000, v5
	s_and_saveexec_b32 s23, s9
	s_delay_alu instid0(SALU_CYCLE_1)
	s_xor_b32 s9, exec_lo, s23
; %bb.6496:                             ;   in Loop: Header=BB450_3110 Depth=1
	v_bfe_u32 v5, v4, 16, 1
	s_delay_alu instid0(VALU_DEP_1)
	v_add3_u32 v86, v4, v5, 0x7fff
                                        ; implicit-def: $vgpr4
; %bb.6497:                             ;   in Loop: Header=BB450_3110 Depth=1
	s_and_not1_saveexec_b32 s23, s9
; %bb.6498:                             ;   in Loop: Header=BB450_3110 Depth=1
	v_and_b32_e32 v5, 0xffff, v4
	v_or_b32_e32 v37, 0x10000, v4
	s_delay_alu instid0(VALU_DEP_2) | instskip(NEXT) | instid1(VALU_DEP_1)
	v_cmp_eq_u32_e64 s9, 0, v5
	v_cndmask_b32_e64 v86, v37, v4, s9
; %bb.6499:                             ;   in Loop: Header=BB450_3110 Depth=1
	s_or_b32 exec_lo, exec_lo, s23
	v_lshlrev_b32_e32 v4, 16, v21
                                        ; implicit-def: $vgpr87
	s_delay_alu instid0(VALU_DEP_1) | instskip(NEXT) | instid1(VALU_DEP_1)
	v_mul_f32_e32 v4, v163, v4
	v_and_b32_e32 v5, 0x7f800000, v4
	s_delay_alu instid0(VALU_DEP_1) | instskip(NEXT) | instid1(VALU_DEP_1)
	v_cmp_ne_u32_e64 s9, 0x7f800000, v5
	s_and_saveexec_b32 s23, s9
	s_delay_alu instid0(SALU_CYCLE_1)
	s_xor_b32 s9, exec_lo, s23
; %bb.6500:                             ;   in Loop: Header=BB450_3110 Depth=1
	v_bfe_u32 v5, v4, 16, 1
	s_delay_alu instid0(VALU_DEP_1)
	v_add3_u32 v87, v4, v5, 0x7fff
                                        ; implicit-def: $vgpr4
; %bb.6501:                             ;   in Loop: Header=BB450_3110 Depth=1
	s_and_not1_saveexec_b32 s23, s9
; %bb.6502:                             ;   in Loop: Header=BB450_3110 Depth=1
	v_and_b32_e32 v5, 0xffff, v4
	v_or_b32_e32 v21, 0x10000, v4
	s_delay_alu instid0(VALU_DEP_2) | instskip(NEXT) | instid1(VALU_DEP_1)
	v_cmp_eq_u32_e64 s9, 0, v5
	v_cndmask_b32_e64 v87, v21, v4, s9
; %bb.6503:                             ;   in Loop: Header=BB450_3110 Depth=1
	s_or_b32 exec_lo, exec_lo, s23
	v_lshlrev_b32_e32 v4, 16, v12
                                        ; implicit-def: $vgpr96
	s_delay_alu instid0(VALU_DEP_1) | instskip(NEXT) | instid1(VALU_DEP_1)
	v_mul_f32_e32 v4, v164, v4
	v_and_b32_e32 v5, 0x7f800000, v4
	s_delay_alu instid0(VALU_DEP_1) | instskip(NEXT) | instid1(VALU_DEP_1)
	v_cmp_ne_u32_e64 s9, 0x7f800000, v5
	s_and_saveexec_b32 s23, s9
	s_delay_alu instid0(SALU_CYCLE_1)
	s_xor_b32 s9, exec_lo, s23
; %bb.6504:                             ;   in Loop: Header=BB450_3110 Depth=1
	v_bfe_u32 v5, v4, 16, 1
	s_delay_alu instid0(VALU_DEP_1)
	v_add3_u32 v96, v4, v5, 0x7fff
                                        ; implicit-def: $vgpr4
; %bb.6505:                             ;   in Loop: Header=BB450_3110 Depth=1
	s_and_not1_saveexec_b32 s23, s9
; %bb.6506:                             ;   in Loop: Header=BB450_3110 Depth=1
	v_and_b32_e32 v5, 0xffff, v4
	v_or_b32_e32 v12, 0x10000, v4
	s_delay_alu instid0(VALU_DEP_2) | instskip(NEXT) | instid1(VALU_DEP_1)
	v_cmp_eq_u32_e64 s9, 0, v5
	v_cndmask_b32_e64 v96, v12, v4, s9
; %bb.6507:                             ;   in Loop: Header=BB450_3110 Depth=1
	s_or_b32 exec_lo, exec_lo, s23
	v_lshlrev_b32_e32 v4, 16, v7
                                        ; implicit-def: $vgpr97
	s_delay_alu instid0(VALU_DEP_1) | instskip(NEXT) | instid1(VALU_DEP_1)
	v_mul_f32_e32 v4, v165, v4
	v_and_b32_e32 v5, 0x7f800000, v4
	s_delay_alu instid0(VALU_DEP_1) | instskip(NEXT) | instid1(VALU_DEP_1)
	v_cmp_ne_u32_e64 s9, 0x7f800000, v5
	s_and_saveexec_b32 s23, s9
	s_delay_alu instid0(SALU_CYCLE_1)
	s_xor_b32 s9, exec_lo, s23
; %bb.6508:                             ;   in Loop: Header=BB450_3110 Depth=1
	v_bfe_u32 v5, v4, 16, 1
	s_delay_alu instid0(VALU_DEP_1)
	v_add3_u32 v97, v4, v5, 0x7fff
                                        ; implicit-def: $vgpr4
; %bb.6509:                             ;   in Loop: Header=BB450_3110 Depth=1
	s_and_not1_saveexec_b32 s23, s9
; %bb.6510:                             ;   in Loop: Header=BB450_3110 Depth=1
	v_and_b32_e32 v5, 0xffff, v4
	v_or_b32_e32 v7, 0x10000, v4
	s_delay_alu instid0(VALU_DEP_2) | instskip(NEXT) | instid1(VALU_DEP_1)
	v_cmp_eq_u32_e64 s9, 0, v5
	v_cndmask_b32_e64 v97, v7, v4, s9
; %bb.6511:                             ;   in Loop: Header=BB450_3110 Depth=1
	s_or_b32 exec_lo, exec_lo, s23
	v_lshlrev_b32_e32 v4, 16, v6
                                        ; implicit-def: $vgpr99
	s_delay_alu instid0(VALU_DEP_1) | instskip(NEXT) | instid1(VALU_DEP_1)
	v_mul_f32_e32 v4, v166, v4
	v_and_b32_e32 v5, 0x7f800000, v4
	s_delay_alu instid0(VALU_DEP_1) | instskip(NEXT) | instid1(VALU_DEP_1)
	v_cmp_ne_u32_e64 s9, 0x7f800000, v5
	s_and_saveexec_b32 s23, s9
	s_delay_alu instid0(SALU_CYCLE_1)
	s_xor_b32 s9, exec_lo, s23
; %bb.6512:                             ;   in Loop: Header=BB450_3110 Depth=1
	v_bfe_u32 v5, v4, 16, 1
	s_delay_alu instid0(VALU_DEP_1)
	v_add3_u32 v99, v4, v5, 0x7fff
                                        ; implicit-def: $vgpr4
; %bb.6513:                             ;   in Loop: Header=BB450_3110 Depth=1
	s_and_not1_saveexec_b32 s23, s9
; %bb.6514:                             ;   in Loop: Header=BB450_3110 Depth=1
	v_and_b32_e32 v5, 0xffff, v4
	v_or_b32_e32 v6, 0x10000, v4
	s_delay_alu instid0(VALU_DEP_2) | instskip(NEXT) | instid1(VALU_DEP_1)
	v_cmp_eq_u32_e64 s9, 0, v5
	v_cndmask_b32_e64 v99, v6, v4, s9
; %bb.6515:                             ;   in Loop: Header=BB450_3110 Depth=1
	s_or_b32 exec_lo, exec_lo, s23
	v_lshlrev_b32_e32 v3, 16, v3
                                        ; implicit-def: $vgpr98
	s_delay_alu instid0(VALU_DEP_1) | instskip(NEXT) | instid1(VALU_DEP_1)
	v_mul_f32_e32 v3, v167, v3
	v_and_b32_e32 v4, 0x7f800000, v3
	s_delay_alu instid0(VALU_DEP_1) | instskip(NEXT) | instid1(VALU_DEP_1)
	v_cmp_ne_u32_e64 s9, 0x7f800000, v4
	s_and_saveexec_b32 s23, s9
	s_delay_alu instid0(SALU_CYCLE_1)
	s_xor_b32 s9, exec_lo, s23
; %bb.6516:                             ;   in Loop: Header=BB450_3110 Depth=1
	v_bfe_u32 v4, v3, 16, 1
	s_delay_alu instid0(VALU_DEP_1)
	v_add3_u32 v98, v3, v4, 0x7fff
                                        ; implicit-def: $vgpr3
; %bb.6517:                             ;   in Loop: Header=BB450_3110 Depth=1
	s_and_not1_saveexec_b32 s23, s9
; %bb.6518:                             ;   in Loop: Header=BB450_3110 Depth=1
	v_and_b32_e32 v4, 0xffff, v3
	v_or_b32_e32 v5, 0x10000, v3
	s_delay_alu instid0(VALU_DEP_2) | instskip(NEXT) | instid1(VALU_DEP_1)
	v_cmp_eq_u32_e64 s9, 0, v4
	v_cndmask_b32_e64 v98, v5, v3, s9
; %bb.6519:                             ;   in Loop: Header=BB450_3110 Depth=1
	s_or_b32 exec_lo, exec_lo, s23
	v_lshlrev_b32_e32 v2, 16, v2
                                        ; implicit-def: $vgpr89
	s_delay_alu instid0(VALU_DEP_1) | instskip(NEXT) | instid1(VALU_DEP_1)
	v_mul_f32_e32 v2, v176, v2
	v_and_b32_e32 v3, 0x7f800000, v2
	s_delay_alu instid0(VALU_DEP_1) | instskip(NEXT) | instid1(VALU_DEP_1)
	v_cmp_ne_u32_e64 s9, 0x7f800000, v3
	s_and_saveexec_b32 s23, s9
	s_delay_alu instid0(SALU_CYCLE_1)
	s_xor_b32 s9, exec_lo, s23
; %bb.6520:                             ;   in Loop: Header=BB450_3110 Depth=1
	v_bfe_u32 v3, v2, 16, 1
	s_delay_alu instid0(VALU_DEP_1)
	v_add3_u32 v89, v2, v3, 0x7fff
                                        ; implicit-def: $vgpr2
; %bb.6521:                             ;   in Loop: Header=BB450_3110 Depth=1
	s_and_not1_saveexec_b32 s23, s9
; %bb.6522:                             ;   in Loop: Header=BB450_3110 Depth=1
	v_and_b32_e32 v3, 0xffff, v2
	v_or_b32_e32 v4, 0x10000, v2
	s_delay_alu instid0(VALU_DEP_2) | instskip(NEXT) | instid1(VALU_DEP_1)
	v_cmp_eq_u32_e64 s9, 0, v3
	v_cndmask_b32_e64 v89, v4, v2, s9
; %bb.6523:                             ;   in Loop: Header=BB450_3110 Depth=1
	s_or_b32 exec_lo, exec_lo, s23
	scratch_load_b32 v2, off, s32 offset:920 ; 4-byte Folded Reload
	s_mov_b32 s23, exec_lo
	v_mov_b32_e32 v4, 0
	s_waitcnt vmcnt(0)
	v_add_co_u32 v2, s9, v0, v2
	s_delay_alu instid0(VALU_DEP_1) | instskip(SKIP_3) | instid1(VALU_DEP_1)
	v_add_co_ci_u32_e64 v3, s9, 0, v1, s9
	flat_load_b64 v[2:3], v[2:3]
	s_waitcnt vmcnt(0) lgkmcnt(0)
	v_and_b32_e32 v5, 0xff, v2
	v_cmpx_ne_u16_e32 0, v5
	s_cbranch_execz .LBB450_6531
; %bb.6524:                             ;   in Loop: Header=BB450_3110 Depth=1
	v_bfrev_b32_e32 v4, 1
	s_mov_b32 s24, exec_lo
	v_cmpx_ne_u16_e32 0x80, v5
	s_cbranch_execz .LBB450_6530
; %bb.6525:                             ;   in Loop: Header=BB450_3110 Depth=1
	v_and_b32_e32 v5, 0x7f, v2
	v_mov_b32_e32 v4, 0x7f800001
	s_mov_b32 s25, exec_lo
	s_delay_alu instid0(VALU_DEP_2)
	v_cmpx_ne_u32_e32 0x7f, v5
	s_cbranch_execz .LBB450_6529
; %bb.6526:                             ;   in Loop: Header=BB450_3110 Depth=1
	v_lshrrev_b32_e32 v4, 3, v5
	v_dual_mov_b32 v7, v3 :: v_dual_mov_b32 v6, v2
	s_mov_b32 s26, exec_lo
	v_cmpx_gt_u32_e32 8, v5
; %bb.6527:                             ;   in Loop: Header=BB450_3110 Depth=1
	v_and_b32_e32 v4, 7, v2
	s_delay_alu instid0(VALU_DEP_1) | instskip(NEXT) | instid1(VALU_DEP_1)
	v_clz_i32_u32_e32 v4, v4
	v_min_u32_e32 v4, 32, v4
	s_delay_alu instid0(VALU_DEP_1) | instskip(SKIP_1) | instid1(VALU_DEP_2)
	v_subrev_nc_u32_e32 v5, 28, v4
	v_sub_nc_u32_e32 v4, 29, v4
	v_lshlrev_b64 v[6:7], v5, v[2:3]
; %bb.6528:                             ;   in Loop: Header=BB450_3110 Depth=1
	s_or_b32 exec_lo, exec_lo, s26
	s_delay_alu instid0(VALU_DEP_1) | instskip(SKIP_2) | instid1(VALU_DEP_3)
	v_lshlrev_b32_e32 v5, 20, v6
	v_lshlrev_b32_e32 v6, 24, v2
	v_lshl_add_u32 v4, v4, 23, 0x3c000000
	v_and_b32_e32 v5, 0x700000, v5
	s_delay_alu instid0(VALU_DEP_3) | instskip(NEXT) | instid1(VALU_DEP_1)
	v_and_b32_e32 v6, 0x80000000, v6
	v_or3_b32 v4, v5, v6, v4
.LBB450_6529:                           ;   in Loop: Header=BB450_3110 Depth=1
	s_or_b32 exec_lo, exec_lo, s25
.LBB450_6530:                           ;   in Loop: Header=BB450_3110 Depth=1
	s_delay_alu instid0(SALU_CYCLE_1)
	s_or_b32 exec_lo, exec_lo, s24
.LBB450_6531:                           ;   in Loop: Header=BB450_3110 Depth=1
	s_delay_alu instid0(SALU_CYCLE_1) | instskip(NEXT) | instid1(VALU_DEP_1)
	s_or_b32 exec_lo, exec_lo, s23
	v_mul_f32_e32 v5, v160, v4
	s_delay_alu instid0(VALU_DEP_1) | instskip(NEXT) | instid1(VALU_DEP_1)
	v_and_b32_e32 v4, 0x7f800000, v5
	v_cmp_ne_u32_e64 s9, 0x7f800000, v4
                                        ; implicit-def: $vgpr4
	s_delay_alu instid0(VALU_DEP_1) | instskip(NEXT) | instid1(SALU_CYCLE_1)
	s_and_saveexec_b32 s23, s9
	s_xor_b32 s9, exec_lo, s23
; %bb.6532:                             ;   in Loop: Header=BB450_3110 Depth=1
	v_bfe_u32 v4, v5, 16, 1
	s_delay_alu instid0(VALU_DEP_1)
	v_add3_u32 v4, v5, v4, 0x7fff
                                        ; implicit-def: $vgpr5
; %bb.6533:                             ;   in Loop: Header=BB450_3110 Depth=1
	s_and_not1_saveexec_b32 s23, s9
; %bb.6534:                             ;   in Loop: Header=BB450_3110 Depth=1
	v_and_b32_e32 v4, 0xffff, v5
	v_or_b32_e32 v6, 0x10000, v5
	s_delay_alu instid0(VALU_DEP_2) | instskip(NEXT) | instid1(VALU_DEP_1)
	v_cmp_eq_u32_e64 s9, 0, v4
	v_cndmask_b32_e64 v4, v6, v5, s9
; %bb.6535:                             ;   in Loop: Header=BB450_3110 Depth=1
	s_or_b32 exec_lo, exec_lo, s23
	v_lshrrev_b16 v6, 8, v2
	v_mov_b32_e32 v5, 0
	s_mov_b32 s23, exec_lo
	s_delay_alu instid0(VALU_DEP_2)
	v_cmpx_ne_u16_e32 0, v6
	s_cbranch_execz .LBB450_6543
; %bb.6536:                             ;   in Loop: Header=BB450_3110 Depth=1
	v_bfrev_b32_e32 v5, 1
	s_mov_b32 s24, exec_lo
	v_cmpx_ne_u16_e32 0x80, v6
	s_cbranch_execz .LBB450_6542
; %bb.6537:                             ;   in Loop: Header=BB450_3110 Depth=1
	v_and_b32_e32 v6, 0xffff, v6
	v_mov_b32_e32 v5, 0x7f800001
	s_mov_b32 s25, exec_lo
	s_delay_alu instid0(VALU_DEP_2) | instskip(NEXT) | instid1(VALU_DEP_1)
	v_and_b32_e32 v21, 0x7f, v6
	v_cmpx_ne_u32_e32 0x7f, v21
	s_cbranch_execz .LBB450_6541
; %bb.6538:                             ;   in Loop: Header=BB450_3110 Depth=1
	v_and_b32_e32 v12, 7, v6
	v_lshrrev_b32_e32 v5, 3, v21
	s_mov_b32 s26, exec_lo
	s_delay_alu instid0(VALU_DEP_2)
	v_dual_mov_b32 v6, v12 :: v_dual_mov_b32 v7, v13
	v_cmpx_gt_u32_e32 8, v21
; %bb.6539:                             ;   in Loop: Header=BB450_3110 Depth=1
	v_clz_i32_u32_e32 v5, v12
	s_delay_alu instid0(VALU_DEP_1) | instskip(NEXT) | instid1(VALU_DEP_1)
	v_min_u32_e32 v5, 32, v5
	v_subrev_nc_u32_e32 v6, 28, v5
	v_sub_nc_u32_e32 v5, 29, v5
	s_delay_alu instid0(VALU_DEP_2) | instskip(NEXT) | instid1(VALU_DEP_1)
	v_lshlrev_b64 v[6:7], v6, v[12:13]
	v_and_b32_e32 v6, 7, v6
; %bb.6540:                             ;   in Loop: Header=BB450_3110 Depth=1
	s_or_b32 exec_lo, exec_lo, s26
	v_lshlrev_b32_e32 v7, 16, v2
	s_delay_alu instid0(VALU_DEP_2) | instskip(SKIP_1) | instid1(VALU_DEP_3)
	v_lshlrev_b32_e32 v6, 20, v6
	v_lshl_add_u32 v5, v5, 23, 0x3c000000
	v_and_b32_e32 v7, 0x80000000, v7
	s_delay_alu instid0(VALU_DEP_1)
	v_or3_b32 v5, v6, v7, v5
.LBB450_6541:                           ;   in Loop: Header=BB450_3110 Depth=1
	s_or_b32 exec_lo, exec_lo, s25
.LBB450_6542:                           ;   in Loop: Header=BB450_3110 Depth=1
	s_delay_alu instid0(SALU_CYCLE_1)
	s_or_b32 exec_lo, exec_lo, s24
.LBB450_6543:                           ;   in Loop: Header=BB450_3110 Depth=1
	s_delay_alu instid0(SALU_CYCLE_1) | instskip(NEXT) | instid1(VALU_DEP_1)
	s_or_b32 exec_lo, exec_lo, s23
	v_mul_f32_e32 v6, v160, v5
	s_delay_alu instid0(VALU_DEP_1) | instskip(NEXT) | instid1(VALU_DEP_1)
	v_and_b32_e32 v5, 0x7f800000, v6
	v_cmp_ne_u32_e64 s9, 0x7f800000, v5
                                        ; implicit-def: $vgpr5
	s_delay_alu instid0(VALU_DEP_1) | instskip(NEXT) | instid1(SALU_CYCLE_1)
	s_and_saveexec_b32 s23, s9
	s_xor_b32 s9, exec_lo, s23
; %bb.6544:                             ;   in Loop: Header=BB450_3110 Depth=1
	v_bfe_u32 v5, v6, 16, 1
	s_delay_alu instid0(VALU_DEP_1)
	v_add3_u32 v5, v6, v5, 0x7fff
                                        ; implicit-def: $vgpr6
; %bb.6545:                             ;   in Loop: Header=BB450_3110 Depth=1
	s_and_not1_saveexec_b32 s23, s9
; %bb.6546:                             ;   in Loop: Header=BB450_3110 Depth=1
	v_and_b32_e32 v5, 0xffff, v6
	v_or_b32_e32 v7, 0x10000, v6
	s_delay_alu instid0(VALU_DEP_2) | instskip(NEXT) | instid1(VALU_DEP_1)
	v_cmp_eq_u32_e64 s9, 0, v5
	v_cndmask_b32_e64 v5, v7, v6, s9
; %bb.6547:                             ;   in Loop: Header=BB450_3110 Depth=1
	s_or_b32 exec_lo, exec_lo, s23
	v_lshrrev_b32_e32 v21, 16, v2
	s_mov_b32 s23, exec_lo
	s_delay_alu instid0(VALU_DEP_1) | instskip(NEXT) | instid1(VALU_DEP_1)
	v_dual_mov_b32 v6, 0 :: v_dual_and_b32 v7, 0xff, v21
	v_cmpx_ne_u16_e32 0, v7
	s_cbranch_execz .LBB450_6555
; %bb.6548:                             ;   in Loop: Header=BB450_3110 Depth=1
	v_bfrev_b32_e32 v6, 1
	s_mov_b32 s24, exec_lo
	v_cmpx_ne_u16_e32 0x80, v7
	s_cbranch_execz .LBB450_6554
; %bb.6549:                             ;   in Loop: Header=BB450_3110 Depth=1
	v_bfe_u32 v37, v2, 16, 7
	v_mov_b32_e32 v6, 0x7f800001
	s_mov_b32 s25, exec_lo
	s_delay_alu instid0(VALU_DEP_2)
	v_cmpx_ne_u32_e32 0x7f, v37
	s_cbranch_execz .LBB450_6553
; %bb.6550:                             ;   in Loop: Header=BB450_3110 Depth=1
	v_and_b32_e32 v12, 7, v21
	s_mov_b32 s26, exec_lo
	s_delay_alu instid0(VALU_DEP_1)
	v_dual_mov_b32 v6, v12 :: v_dual_mov_b32 v7, v13
	v_lshrrev_b32_e32 v7, 3, v37
	v_cmpx_gt_u32_e32 8, v37
; %bb.6551:                             ;   in Loop: Header=BB450_3110 Depth=1
	v_clz_i32_u32_e32 v6, v12
	s_delay_alu instid0(VALU_DEP_1) | instskip(NEXT) | instid1(VALU_DEP_1)
	v_min_u32_e32 v37, 32, v6
	v_subrev_nc_u32_e32 v6, 28, v37
	s_delay_alu instid0(VALU_DEP_1) | instskip(SKIP_1) | instid1(VALU_DEP_2)
	v_lshlrev_b64 v[6:7], v6, v[12:13]
	v_sub_nc_u32_e32 v7, 29, v37
	v_and_b32_e32 v6, 7, v6
; %bb.6552:                             ;   in Loop: Header=BB450_3110 Depth=1
	s_or_b32 exec_lo, exec_lo, s26
	v_lshlrev_b32_e32 v12, 24, v21
	s_delay_alu instid0(VALU_DEP_2) | instskip(SKIP_1) | instid1(VALU_DEP_3)
	v_lshlrev_b32_e32 v6, 20, v6
	v_lshl_add_u32 v7, v7, 23, 0x3c000000
	v_and_b32_e32 v12, 0x80000000, v12
	s_delay_alu instid0(VALU_DEP_1)
	v_or3_b32 v6, v6, v12, v7
.LBB450_6553:                           ;   in Loop: Header=BB450_3110 Depth=1
	s_or_b32 exec_lo, exec_lo, s25
.LBB450_6554:                           ;   in Loop: Header=BB450_3110 Depth=1
	s_delay_alu instid0(SALU_CYCLE_1)
	s_or_b32 exec_lo, exec_lo, s24
.LBB450_6555:                           ;   in Loop: Header=BB450_3110 Depth=1
	s_delay_alu instid0(SALU_CYCLE_1) | instskip(NEXT) | instid1(VALU_DEP_1)
	s_or_b32 exec_lo, exec_lo, s23
	v_mul_f32_e32 v6, v160, v6
                                        ; implicit-def: $vgpr21
	s_delay_alu instid0(VALU_DEP_1) | instskip(NEXT) | instid1(VALU_DEP_1)
	v_and_b32_e32 v7, 0x7f800000, v6
	v_cmp_ne_u32_e64 s9, 0x7f800000, v7
	s_delay_alu instid0(VALU_DEP_1) | instskip(NEXT) | instid1(SALU_CYCLE_1)
	s_and_saveexec_b32 s23, s9
	s_xor_b32 s9, exec_lo, s23
; %bb.6556:                             ;   in Loop: Header=BB450_3110 Depth=1
	v_bfe_u32 v7, v6, 16, 1
	s_delay_alu instid0(VALU_DEP_1)
	v_add3_u32 v21, v6, v7, 0x7fff
                                        ; implicit-def: $vgpr6
; %bb.6557:                             ;   in Loop: Header=BB450_3110 Depth=1
	s_and_not1_saveexec_b32 s23, s9
; %bb.6558:                             ;   in Loop: Header=BB450_3110 Depth=1
	v_and_b32_e32 v7, 0xffff, v6
	v_or_b32_e32 v12, 0x10000, v6
	s_delay_alu instid0(VALU_DEP_2) | instskip(NEXT) | instid1(VALU_DEP_1)
	v_cmp_eq_u32_e64 s9, 0, v7
	v_cndmask_b32_e64 v21, v12, v6, s9
; %bb.6559:                             ;   in Loop: Header=BB450_3110 Depth=1
	s_or_b32 exec_lo, exec_lo, s23
	v_mov_b32_e32 v6, 0
	s_mov_b32 s23, exec_lo
	v_cmpx_lt_u32_e32 0xffffff, v2
	s_cbranch_execz .LBB450_6567
; %bb.6560:                             ;   in Loop: Header=BB450_3110 Depth=1
	v_lshrrev_b32_e32 v37, 24, v2
	v_bfrev_b32_e32 v6, 1
	s_mov_b32 s24, exec_lo
	s_delay_alu instid0(VALU_DEP_2)
	v_cmpx_ne_u32_e32 0x80, v37
	s_cbranch_execz .LBB450_6566
; %bb.6561:                             ;   in Loop: Header=BB450_3110 Depth=1
	v_bfe_u32 v38, v2, 24, 7
	v_mov_b32_e32 v6, 0x7f800001
	s_mov_b32 s25, exec_lo
	s_delay_alu instid0(VALU_DEP_2)
	v_cmpx_ne_u32_e32 0x7f, v38
	s_cbranch_execz .LBB450_6565
; %bb.6562:                             ;   in Loop: Header=BB450_3110 Depth=1
	v_and_b32_e32 v12, 7, v37
	s_mov_b32 s26, exec_lo
	s_delay_alu instid0(VALU_DEP_1)
	v_dual_mov_b32 v6, v12 :: v_dual_mov_b32 v7, v13
	v_lshrrev_b32_e32 v7, 3, v38
	v_cmpx_gt_u32_e32 8, v38
; %bb.6563:                             ;   in Loop: Header=BB450_3110 Depth=1
	v_clz_i32_u32_e32 v6, v12
	s_delay_alu instid0(VALU_DEP_1) | instskip(NEXT) | instid1(VALU_DEP_1)
	v_min_u32_e32 v38, 32, v6
	v_subrev_nc_u32_e32 v6, 28, v38
	s_delay_alu instid0(VALU_DEP_1) | instskip(SKIP_1) | instid1(VALU_DEP_2)
	v_lshlrev_b64 v[6:7], v6, v[12:13]
	v_sub_nc_u32_e32 v7, 29, v38
	v_and_b32_e32 v6, 7, v6
; %bb.6564:                             ;   in Loop: Header=BB450_3110 Depth=1
	s_or_b32 exec_lo, exec_lo, s26
	v_lshlrev_b32_e32 v12, 24, v37
	s_delay_alu instid0(VALU_DEP_2) | instskip(SKIP_1) | instid1(VALU_DEP_3)
	v_lshlrev_b32_e32 v6, 20, v6
	v_lshl_add_u32 v7, v7, 23, 0x3c000000
	v_and_b32_e32 v12, 0x80000000, v12
	s_delay_alu instid0(VALU_DEP_1)
	v_or3_b32 v6, v6, v12, v7
.LBB450_6565:                           ;   in Loop: Header=BB450_3110 Depth=1
	s_or_b32 exec_lo, exec_lo, s25
.LBB450_6566:                           ;   in Loop: Header=BB450_3110 Depth=1
	s_delay_alu instid0(SALU_CYCLE_1)
	s_or_b32 exec_lo, exec_lo, s24
.LBB450_6567:                           ;   in Loop: Header=BB450_3110 Depth=1
	s_delay_alu instid0(SALU_CYCLE_1) | instskip(NEXT) | instid1(VALU_DEP_1)
	s_or_b32 exec_lo, exec_lo, s23
	v_mul_f32_e32 v6, v160, v6
                                        ; implicit-def: $vgpr37
	s_delay_alu instid0(VALU_DEP_1) | instskip(NEXT) | instid1(VALU_DEP_1)
	v_and_b32_e32 v7, 0x7f800000, v6
	v_cmp_ne_u32_e64 s9, 0x7f800000, v7
	s_delay_alu instid0(VALU_DEP_1) | instskip(NEXT) | instid1(SALU_CYCLE_1)
	s_and_saveexec_b32 s23, s9
	s_xor_b32 s9, exec_lo, s23
; %bb.6568:                             ;   in Loop: Header=BB450_3110 Depth=1
	v_bfe_u32 v7, v6, 16, 1
	s_delay_alu instid0(VALU_DEP_1)
	v_add3_u32 v37, v6, v7, 0x7fff
                                        ; implicit-def: $vgpr6
; %bb.6569:                             ;   in Loop: Header=BB450_3110 Depth=1
	s_and_not1_saveexec_b32 s23, s9
; %bb.6570:                             ;   in Loop: Header=BB450_3110 Depth=1
	v_and_b32_e32 v7, 0xffff, v6
	v_or_b32_e32 v12, 0x10000, v6
	s_delay_alu instid0(VALU_DEP_2) | instskip(NEXT) | instid1(VALU_DEP_1)
	v_cmp_eq_u32_e64 s9, 0, v7
	v_cndmask_b32_e64 v37, v12, v6, s9
; %bb.6571:                             ;   in Loop: Header=BB450_3110 Depth=1
	s_or_b32 exec_lo, exec_lo, s23
	v_dual_mov_b32 v12, v3 :: v_dual_and_b32 v7, 0xff, v3
	v_mov_b32_e32 v6, 0
	s_mov_b32 s23, exec_lo
	s_delay_alu instid0(VALU_DEP_2)
	v_cmpx_ne_u16_e32 0, v7
	s_cbranch_execz .LBB450_6579
; %bb.6572:                             ;   in Loop: Header=BB450_3110 Depth=1
	v_bfrev_b32_e32 v6, 1
	s_mov_b32 s24, exec_lo
	v_cmpx_ne_u16_e32 0x80, v7
	s_cbranch_execz .LBB450_6578
; %bb.6573:                             ;   in Loop: Header=BB450_3110 Depth=1
	v_and_b32_e32 v38, 0x7f, v3
	v_mov_b32_e32 v6, 0x7f800001
	s_mov_b32 s25, exec_lo
	s_delay_alu instid0(VALU_DEP_2)
	v_cmpx_ne_u32_e32 0x7f, v38
	s_cbranch_execz .LBB450_6577
; %bb.6574:                             ;   in Loop: Header=BB450_3110 Depth=1
	v_dual_mov_b32 v6, v12 :: v_dual_mov_b32 v7, v13
	v_lshrrev_b32_e32 v7, 3, v38
	s_mov_b32 s26, exec_lo
	v_cmpx_gt_u32_e32 8, v38
; %bb.6575:                             ;   in Loop: Header=BB450_3110 Depth=1
	v_and_b32_e32 v6, 7, v3
	s_delay_alu instid0(VALU_DEP_1) | instskip(NEXT) | instid1(VALU_DEP_1)
	v_clz_i32_u32_e32 v6, v6
	v_min_u32_e32 v38, 32, v6
	s_delay_alu instid0(VALU_DEP_1) | instskip(NEXT) | instid1(VALU_DEP_1)
	v_subrev_nc_u32_e32 v6, 28, v38
	v_lshlrev_b64 v[6:7], v6, v[12:13]
	v_sub_nc_u32_e32 v7, 29, v38
; %bb.6576:                             ;   in Loop: Header=BB450_3110 Depth=1
	s_or_b32 exec_lo, exec_lo, s26
	s_delay_alu instid0(VALU_DEP_2) | instskip(SKIP_1) | instid1(VALU_DEP_3)
	v_lshlrev_b32_e32 v6, 20, v6
	v_lshlrev_b32_e32 v38, 24, v12
	v_lshl_add_u32 v7, v7, 23, 0x3c000000
	s_delay_alu instid0(VALU_DEP_3) | instskip(NEXT) | instid1(VALU_DEP_3)
	v_and_b32_e32 v6, 0x700000, v6
	v_and_b32_e32 v38, 0x80000000, v38
	s_delay_alu instid0(VALU_DEP_1)
	v_or3_b32 v6, v6, v38, v7
.LBB450_6577:                           ;   in Loop: Header=BB450_3110 Depth=1
	s_or_b32 exec_lo, exec_lo, s25
.LBB450_6578:                           ;   in Loop: Header=BB450_3110 Depth=1
	s_delay_alu instid0(SALU_CYCLE_1)
	s_or_b32 exec_lo, exec_lo, s24
.LBB450_6579:                           ;   in Loop: Header=BB450_3110 Depth=1
	s_delay_alu instid0(SALU_CYCLE_1) | instskip(NEXT) | instid1(VALU_DEP_1)
	s_or_b32 exec_lo, exec_lo, s23
	v_mul_f32_e32 v6, v160, v6
                                        ; implicit-def: $vgpr38
	s_delay_alu instid0(VALU_DEP_1) | instskip(NEXT) | instid1(VALU_DEP_1)
	v_and_b32_e32 v7, 0x7f800000, v6
	v_cmp_ne_u32_e64 s9, 0x7f800000, v7
	s_delay_alu instid0(VALU_DEP_1) | instskip(NEXT) | instid1(SALU_CYCLE_1)
	s_and_saveexec_b32 s23, s9
	s_xor_b32 s9, exec_lo, s23
; %bb.6580:                             ;   in Loop: Header=BB450_3110 Depth=1
	v_bfe_u32 v7, v6, 16, 1
	s_delay_alu instid0(VALU_DEP_1)
	v_add3_u32 v38, v6, v7, 0x7fff
                                        ; implicit-def: $vgpr6
; %bb.6581:                             ;   in Loop: Header=BB450_3110 Depth=1
	s_and_not1_saveexec_b32 s23, s9
; %bb.6582:                             ;   in Loop: Header=BB450_3110 Depth=1
	v_and_b32_e32 v7, 0xffff, v6
	v_or_b32_e32 v38, 0x10000, v6
	s_delay_alu instid0(VALU_DEP_2) | instskip(NEXT) | instid1(VALU_DEP_1)
	v_cmp_eq_u32_e64 s9, 0, v7
	v_cndmask_b32_e64 v38, v38, v6, s9
; %bb.6583:                             ;   in Loop: Header=BB450_3110 Depth=1
	s_or_b32 exec_lo, exec_lo, s23
	v_lshrrev_b16 v7, 8, v12
	v_mov_b32_e32 v6, 0
	s_mov_b32 s23, exec_lo
	s_delay_alu instid0(VALU_DEP_2)
	v_cmpx_ne_u16_e32 0, v7
	s_cbranch_execz .LBB450_6591
; %bb.6584:                             ;   in Loop: Header=BB450_3110 Depth=1
	v_bfrev_b32_e32 v6, 1
	s_mov_b32 s24, exec_lo
	v_cmpx_ne_u16_e32 0x80, v7
	s_cbranch_execz .LBB450_6590
; %bb.6585:                             ;   in Loop: Header=BB450_3110 Depth=1
	v_and_b32_e32 v7, 0xffff, v7
	v_mov_b32_e32 v6, 0x7f800001
	s_mov_b32 s25, exec_lo
	s_delay_alu instid0(VALU_DEP_2) | instskip(NEXT) | instid1(VALU_DEP_1)
	v_and_b32_e32 v91, 0x7f, v7
	v_cmpx_ne_u32_e32 0x7f, v91
	s_cbranch_execz .LBB450_6589
; %bb.6586:                             ;   in Loop: Header=BB450_3110 Depth=1
	v_dual_mov_b32 v7, v13 :: v_dual_and_b32 v6, 7, v7
	v_lshrrev_b32_e32 v90, 3, v91
	s_mov_b32 s26, exec_lo
	v_cmpx_gt_u32_e32 8, v91
; %bb.6587:                             ;   in Loop: Header=BB450_3110 Depth=1
	s_delay_alu instid0(VALU_DEP_3) | instskip(NEXT) | instid1(VALU_DEP_1)
	v_clz_i32_u32_e32 v90, v6
	v_min_u32_e32 v90, 32, v90
	s_delay_alu instid0(VALU_DEP_1) | instskip(SKIP_1) | instid1(VALU_DEP_2)
	v_subrev_nc_u32_e32 v91, 28, v90
	v_sub_nc_u32_e32 v90, 29, v90
	v_lshlrev_b64 v[6:7], v91, v[6:7]
	s_delay_alu instid0(VALU_DEP_1)
	v_and_b32_e32 v6, 7, v6
; %bb.6588:                             ;   in Loop: Header=BB450_3110 Depth=1
	s_or_b32 exec_lo, exec_lo, s26
	v_lshlrev_b32_e32 v7, 16, v12
	s_delay_alu instid0(VALU_DEP_2) | instskip(SKIP_1) | instid1(VALU_DEP_3)
	v_lshlrev_b32_e32 v6, 20, v6
	v_lshl_add_u32 v12, v90, 23, 0x3c000000
	v_and_b32_e32 v7, 0x80000000, v7
	s_delay_alu instid0(VALU_DEP_1)
	v_or3_b32 v6, v6, v7, v12
.LBB450_6589:                           ;   in Loop: Header=BB450_3110 Depth=1
	s_or_b32 exec_lo, exec_lo, s25
.LBB450_6590:                           ;   in Loop: Header=BB450_3110 Depth=1
	s_delay_alu instid0(SALU_CYCLE_1)
	s_or_b32 exec_lo, exec_lo, s24
.LBB450_6591:                           ;   in Loop: Header=BB450_3110 Depth=1
	s_delay_alu instid0(SALU_CYCLE_1) | instskip(NEXT) | instid1(VALU_DEP_1)
	s_or_b32 exec_lo, exec_lo, s23
	v_mul_f32_e32 v6, v160, v6
                                        ; implicit-def: $vgpr90
	s_delay_alu instid0(VALU_DEP_1) | instskip(NEXT) | instid1(VALU_DEP_1)
	v_and_b32_e32 v7, 0x7f800000, v6
	v_cmp_ne_u32_e64 s9, 0x7f800000, v7
	s_delay_alu instid0(VALU_DEP_1) | instskip(NEXT) | instid1(SALU_CYCLE_1)
	s_and_saveexec_b32 s23, s9
	s_xor_b32 s9, exec_lo, s23
; %bb.6592:                             ;   in Loop: Header=BB450_3110 Depth=1
	v_bfe_u32 v7, v6, 16, 1
	s_delay_alu instid0(VALU_DEP_1)
	v_add3_u32 v90, v6, v7, 0x7fff
                                        ; implicit-def: $vgpr6
; %bb.6593:                             ;   in Loop: Header=BB450_3110 Depth=1
	s_and_not1_saveexec_b32 s23, s9
; %bb.6594:                             ;   in Loop: Header=BB450_3110 Depth=1
	v_and_b32_e32 v7, 0xffff, v6
	v_or_b32_e32 v12, 0x10000, v6
	s_delay_alu instid0(VALU_DEP_2) | instskip(NEXT) | instid1(VALU_DEP_1)
	v_cmp_eq_u32_e64 s9, 0, v7
	v_cndmask_b32_e64 v90, v12, v6, s9
; %bb.6595:                             ;   in Loop: Header=BB450_3110 Depth=1
	s_or_b32 exec_lo, exec_lo, s23
	v_lshrrev_b32_e32 v91, 16, v3
	s_mov_b32 s23, exec_lo
	s_delay_alu instid0(VALU_DEP_1) | instskip(NEXT) | instid1(VALU_DEP_1)
	v_dual_mov_b32 v6, 0 :: v_dual_and_b32 v7, 0xff, v91
	v_cmpx_ne_u16_e32 0, v7
	s_cbranch_execz .LBB450_6603
; %bb.6596:                             ;   in Loop: Header=BB450_3110 Depth=1
	v_bfrev_b32_e32 v6, 1
	s_mov_b32 s24, exec_lo
	v_cmpx_ne_u16_e32 0x80, v7
	s_cbranch_execz .LBB450_6602
; %bb.6597:                             ;   in Loop: Header=BB450_3110 Depth=1
	v_bfe_u32 v92, v3, 16, 7
	v_mov_b32_e32 v6, 0x7f800001
	s_mov_b32 s25, exec_lo
	s_delay_alu instid0(VALU_DEP_2)
	v_cmpx_ne_u32_e32 0x7f, v92
	s_cbranch_execz .LBB450_6601
; %bb.6598:                             ;   in Loop: Header=BB450_3110 Depth=1
	v_and_b32_e32 v12, 7, v91
	s_mov_b32 s26, exec_lo
	s_delay_alu instid0(VALU_DEP_1)
	v_dual_mov_b32 v6, v12 :: v_dual_mov_b32 v7, v13
	v_lshrrev_b32_e32 v7, 3, v92
	v_cmpx_gt_u32_e32 8, v92
; %bb.6599:                             ;   in Loop: Header=BB450_3110 Depth=1
	v_clz_i32_u32_e32 v6, v12
	s_delay_alu instid0(VALU_DEP_1) | instskip(NEXT) | instid1(VALU_DEP_1)
	v_min_u32_e32 v92, 32, v6
	v_subrev_nc_u32_e32 v6, 28, v92
	s_delay_alu instid0(VALU_DEP_1) | instskip(SKIP_1) | instid1(VALU_DEP_2)
	v_lshlrev_b64 v[6:7], v6, v[12:13]
	v_sub_nc_u32_e32 v7, 29, v92
	v_and_b32_e32 v6, 7, v6
; %bb.6600:                             ;   in Loop: Header=BB450_3110 Depth=1
	s_or_b32 exec_lo, exec_lo, s26
	v_lshlrev_b32_e32 v12, 24, v91
	s_delay_alu instid0(VALU_DEP_2) | instskip(SKIP_1) | instid1(VALU_DEP_3)
	v_lshlrev_b32_e32 v6, 20, v6
	v_lshl_add_u32 v7, v7, 23, 0x3c000000
	v_and_b32_e32 v12, 0x80000000, v12
	s_delay_alu instid0(VALU_DEP_1)
	v_or3_b32 v6, v6, v12, v7
.LBB450_6601:                           ;   in Loop: Header=BB450_3110 Depth=1
	s_or_b32 exec_lo, exec_lo, s25
.LBB450_6602:                           ;   in Loop: Header=BB450_3110 Depth=1
	s_delay_alu instid0(SALU_CYCLE_1)
	s_or_b32 exec_lo, exec_lo, s24
.LBB450_6603:                           ;   in Loop: Header=BB450_3110 Depth=1
	s_delay_alu instid0(SALU_CYCLE_1) | instskip(NEXT) | instid1(VALU_DEP_1)
	s_or_b32 exec_lo, exec_lo, s23
	v_mul_f32_e32 v6, v160, v6
                                        ; implicit-def: $vgpr91
	s_delay_alu instid0(VALU_DEP_1) | instskip(NEXT) | instid1(VALU_DEP_1)
	v_and_b32_e32 v7, 0x7f800000, v6
	v_cmp_ne_u32_e64 s9, 0x7f800000, v7
	s_delay_alu instid0(VALU_DEP_1) | instskip(NEXT) | instid1(SALU_CYCLE_1)
	s_and_saveexec_b32 s23, s9
	s_xor_b32 s9, exec_lo, s23
; %bb.6604:                             ;   in Loop: Header=BB450_3110 Depth=1
	v_bfe_u32 v7, v6, 16, 1
	s_delay_alu instid0(VALU_DEP_1)
	v_add3_u32 v91, v6, v7, 0x7fff
                                        ; implicit-def: $vgpr6
; %bb.6605:                             ;   in Loop: Header=BB450_3110 Depth=1
	s_and_not1_saveexec_b32 s23, s9
; %bb.6606:                             ;   in Loop: Header=BB450_3110 Depth=1
	v_and_b32_e32 v7, 0xffff, v6
	v_or_b32_e32 v12, 0x10000, v6
	s_delay_alu instid0(VALU_DEP_2) | instskip(NEXT) | instid1(VALU_DEP_1)
	v_cmp_eq_u32_e64 s9, 0, v7
	v_cndmask_b32_e64 v91, v12, v6, s9
; %bb.6607:                             ;   in Loop: Header=BB450_3110 Depth=1
	s_or_b32 exec_lo, exec_lo, s23
	v_cmp_lt_u64_e64 s9, s[18:19], v[2:3]
	v_mov_b32_e32 v2, 0
	s_delay_alu instid0(VALU_DEP_2)
	s_and_saveexec_b32 s23, s9
	s_cbranch_execz .LBB450_6615
; %bb.6608:                             ;   in Loop: Header=BB450_3110 Depth=1
	v_lshrrev_b32_e32 v6, 24, v3
	v_bfrev_b32_e32 v2, 1
	s_mov_b32 s24, exec_lo
	s_delay_alu instid0(VALU_DEP_2)
	v_cmpx_ne_u32_e32 0x80, v6
	s_cbranch_execz .LBB450_6614
; %bb.6609:                             ;   in Loop: Header=BB450_3110 Depth=1
	v_bfe_u32 v7, v3, 24, 7
	v_mov_b32_e32 v2, 0x7f800001
	s_mov_b32 s25, exec_lo
	s_delay_alu instid0(VALU_DEP_2)
	v_cmpx_ne_u32_e32 0x7f, v7
	s_cbranch_execz .LBB450_6613
; %bb.6610:                             ;   in Loop: Header=BB450_3110 Depth=1
	v_and_b32_e32 v12, 7, v6
	s_mov_b32 s26, exec_lo
	s_delay_alu instid0(VALU_DEP_1)
	v_dual_mov_b32 v2, v12 :: v_dual_mov_b32 v3, v13
	v_lshrrev_b32_e32 v3, 3, v7
	v_cmpx_gt_u32_e32 8, v7
; %bb.6611:                             ;   in Loop: Header=BB450_3110 Depth=1
	v_clz_i32_u32_e32 v2, v12
	s_delay_alu instid0(VALU_DEP_1) | instskip(NEXT) | instid1(VALU_DEP_1)
	v_min_u32_e32 v7, 32, v2
	v_subrev_nc_u32_e32 v2, 28, v7
	s_delay_alu instid0(VALU_DEP_1) | instskip(SKIP_1) | instid1(VALU_DEP_2)
	v_lshlrev_b64 v[2:3], v2, v[12:13]
	v_sub_nc_u32_e32 v3, 29, v7
	v_and_b32_e32 v2, 7, v2
; %bb.6612:                             ;   in Loop: Header=BB450_3110 Depth=1
	s_or_b32 exec_lo, exec_lo, s26
	v_lshlrev_b32_e32 v6, 24, v6
	s_delay_alu instid0(VALU_DEP_2) | instskip(SKIP_1) | instid1(VALU_DEP_3)
	v_lshlrev_b32_e32 v2, 20, v2
	v_lshl_add_u32 v3, v3, 23, 0x3c000000
	v_and_b32_e32 v6, 0x80000000, v6
	s_delay_alu instid0(VALU_DEP_1)
	v_or3_b32 v2, v2, v6, v3
.LBB450_6613:                           ;   in Loop: Header=BB450_3110 Depth=1
	s_or_b32 exec_lo, exec_lo, s25
.LBB450_6614:                           ;   in Loop: Header=BB450_3110 Depth=1
	s_delay_alu instid0(SALU_CYCLE_1)
	s_or_b32 exec_lo, exec_lo, s24
.LBB450_6615:                           ;   in Loop: Header=BB450_3110 Depth=1
	s_delay_alu instid0(SALU_CYCLE_1) | instskip(NEXT) | instid1(VALU_DEP_1)
	s_or_b32 exec_lo, exec_lo, s23
	v_mul_f32_e32 v3, v160, v2
	s_delay_alu instid0(VALU_DEP_1) | instskip(NEXT) | instid1(VALU_DEP_1)
	v_and_b32_e32 v2, 0x7f800000, v3
	v_cmp_ne_u32_e64 s9, 0x7f800000, v2
                                        ; implicit-def: $vgpr2
	s_delay_alu instid0(VALU_DEP_1) | instskip(NEXT) | instid1(SALU_CYCLE_1)
	s_and_saveexec_b32 s23, s9
	s_xor_b32 s9, exec_lo, s23
; %bb.6616:                             ;   in Loop: Header=BB450_3110 Depth=1
	v_bfe_u32 v2, v3, 16, 1
	s_delay_alu instid0(VALU_DEP_1)
	v_add3_u32 v2, v3, v2, 0x7fff
                                        ; implicit-def: $vgpr3
; %bb.6617:                             ;   in Loop: Header=BB450_3110 Depth=1
	s_and_not1_saveexec_b32 s23, s9
; %bb.6618:                             ;   in Loop: Header=BB450_3110 Depth=1
	v_and_b32_e32 v2, 0xffff, v3
	v_or_b32_e32 v6, 0x10000, v3
	s_delay_alu instid0(VALU_DEP_2) | instskip(NEXT) | instid1(VALU_DEP_1)
	v_cmp_eq_u32_e64 s9, 0, v2
	v_cndmask_b32_e64 v2, v6, v3, s9
; %bb.6619:                             ;   in Loop: Header=BB450_3110 Depth=1
	s_or_b32 exec_lo, exec_lo, s23
	v_lshrrev_b32_e32 v6, 16, v90
	v_lshrrev_b32_e32 v7, 16, v38
	;; [unrolled: 1-line block ×8, first 2 shown]
	s_and_saveexec_b32 s9, s1
; %bb.6620:                             ;   in Loop: Header=BB450_3110 Depth=1
	s_delay_alu instid0(VALU_DEP_3)
	v_cndmask_b32_e32 v4, 0, v4, vcc_lo
	v_cndmask_b32_e64 v5, 0, v5, s2
	v_cndmask_b32_e64 v21, 0, v21, s3
	;; [unrolled: 1-line block ×7, first 2 shown]
; %bb.6621:                             ;   in Loop: Header=BB450_3110 Depth=1
	s_or_b32 exec_lo, exec_lo, s9
	v_lshlrev_b32_e32 v4, 16, v4
                                        ; implicit-def: $vgpr90
	s_delay_alu instid0(VALU_DEP_1) | instskip(NEXT) | instid1(VALU_DEP_1)
	v_mul_f32_e32 v4, v161, v4
	v_and_b32_e32 v37, 0x7f800000, v4
	s_delay_alu instid0(VALU_DEP_1) | instskip(NEXT) | instid1(VALU_DEP_1)
	v_cmp_ne_u32_e64 s9, 0x7f800000, v37
	s_and_saveexec_b32 s23, s9
	s_delay_alu instid0(SALU_CYCLE_1)
	s_xor_b32 s9, exec_lo, s23
; %bb.6622:                             ;   in Loop: Header=BB450_3110 Depth=1
	v_bfe_u32 v37, v4, 16, 1
	s_delay_alu instid0(VALU_DEP_1)
	v_add3_u32 v90, v4, v37, 0x7fff
                                        ; implicit-def: $vgpr4
; %bb.6623:                             ;   in Loop: Header=BB450_3110 Depth=1
	s_and_not1_saveexec_b32 s23, s9
; %bb.6624:                             ;   in Loop: Header=BB450_3110 Depth=1
	v_and_b32_e32 v37, 0xffff, v4
	v_or_b32_e32 v38, 0x10000, v4
	s_delay_alu instid0(VALU_DEP_2) | instskip(NEXT) | instid1(VALU_DEP_1)
	v_cmp_eq_u32_e64 s9, 0, v37
	v_cndmask_b32_e64 v90, v38, v4, s9
; %bb.6625:                             ;   in Loop: Header=BB450_3110 Depth=1
	s_or_b32 exec_lo, exec_lo, s23
	v_lshlrev_b32_e32 v4, 16, v5
                                        ; implicit-def: $vgpr91
	s_delay_alu instid0(VALU_DEP_1) | instskip(NEXT) | instid1(VALU_DEP_1)
	v_mul_f32_e32 v4, v162, v4
	v_and_b32_e32 v5, 0x7f800000, v4
	s_delay_alu instid0(VALU_DEP_1) | instskip(NEXT) | instid1(VALU_DEP_1)
	v_cmp_ne_u32_e64 s9, 0x7f800000, v5
	s_and_saveexec_b32 s23, s9
	s_delay_alu instid0(SALU_CYCLE_1)
	s_xor_b32 s9, exec_lo, s23
; %bb.6626:                             ;   in Loop: Header=BB450_3110 Depth=1
	v_bfe_u32 v5, v4, 16, 1
	s_delay_alu instid0(VALU_DEP_1)
	v_add3_u32 v91, v4, v5, 0x7fff
                                        ; implicit-def: $vgpr4
; %bb.6627:                             ;   in Loop: Header=BB450_3110 Depth=1
	s_and_not1_saveexec_b32 s23, s9
; %bb.6628:                             ;   in Loop: Header=BB450_3110 Depth=1
	v_and_b32_e32 v5, 0xffff, v4
	v_or_b32_e32 v37, 0x10000, v4
	s_delay_alu instid0(VALU_DEP_2) | instskip(NEXT) | instid1(VALU_DEP_1)
	v_cmp_eq_u32_e64 s9, 0, v5
	v_cndmask_b32_e64 v91, v37, v4, s9
; %bb.6629:                             ;   in Loop: Header=BB450_3110 Depth=1
	s_or_b32 exec_lo, exec_lo, s23
	v_lshlrev_b32_e32 v4, 16, v21
                                        ; implicit-def: $vgpr92
	s_delay_alu instid0(VALU_DEP_1) | instskip(NEXT) | instid1(VALU_DEP_1)
	v_mul_f32_e32 v4, v163, v4
	v_and_b32_e32 v5, 0x7f800000, v4
	s_delay_alu instid0(VALU_DEP_1) | instskip(NEXT) | instid1(VALU_DEP_1)
	v_cmp_ne_u32_e64 s9, 0x7f800000, v5
	s_and_saveexec_b32 s23, s9
	s_delay_alu instid0(SALU_CYCLE_1)
	s_xor_b32 s9, exec_lo, s23
; %bb.6630:                             ;   in Loop: Header=BB450_3110 Depth=1
	v_bfe_u32 v5, v4, 16, 1
	s_delay_alu instid0(VALU_DEP_1)
	v_add3_u32 v92, v4, v5, 0x7fff
                                        ; implicit-def: $vgpr4
; %bb.6631:                             ;   in Loop: Header=BB450_3110 Depth=1
	s_and_not1_saveexec_b32 s23, s9
; %bb.6632:                             ;   in Loop: Header=BB450_3110 Depth=1
	v_and_b32_e32 v5, 0xffff, v4
	v_or_b32_e32 v21, 0x10000, v4
	s_delay_alu instid0(VALU_DEP_2) | instskip(NEXT) | instid1(VALU_DEP_1)
	v_cmp_eq_u32_e64 s9, 0, v5
	v_cndmask_b32_e64 v92, v21, v4, s9
; %bb.6633:                             ;   in Loop: Header=BB450_3110 Depth=1
	s_or_b32 exec_lo, exec_lo, s23
	v_lshlrev_b32_e32 v4, 16, v12
                                        ; implicit-def: $vgpr93
	s_delay_alu instid0(VALU_DEP_1) | instskip(NEXT) | instid1(VALU_DEP_1)
	v_mul_f32_e32 v4, v164, v4
	v_and_b32_e32 v5, 0x7f800000, v4
	s_delay_alu instid0(VALU_DEP_1) | instskip(NEXT) | instid1(VALU_DEP_1)
	v_cmp_ne_u32_e64 s9, 0x7f800000, v5
	s_and_saveexec_b32 s23, s9
	s_delay_alu instid0(SALU_CYCLE_1)
	s_xor_b32 s9, exec_lo, s23
; %bb.6634:                             ;   in Loop: Header=BB450_3110 Depth=1
	v_bfe_u32 v5, v4, 16, 1
	s_delay_alu instid0(VALU_DEP_1)
	v_add3_u32 v93, v4, v5, 0x7fff
                                        ; implicit-def: $vgpr4
; %bb.6635:                             ;   in Loop: Header=BB450_3110 Depth=1
	s_and_not1_saveexec_b32 s23, s9
; %bb.6636:                             ;   in Loop: Header=BB450_3110 Depth=1
	v_and_b32_e32 v5, 0xffff, v4
	v_or_b32_e32 v12, 0x10000, v4
	s_delay_alu instid0(VALU_DEP_2) | instskip(NEXT) | instid1(VALU_DEP_1)
	v_cmp_eq_u32_e64 s9, 0, v5
	v_cndmask_b32_e64 v93, v12, v4, s9
; %bb.6637:                             ;   in Loop: Header=BB450_3110 Depth=1
	s_or_b32 exec_lo, exec_lo, s23
	v_lshlrev_b32_e32 v4, 16, v7
                                        ; implicit-def: $vgpr94
	s_delay_alu instid0(VALU_DEP_1) | instskip(NEXT) | instid1(VALU_DEP_1)
	v_mul_f32_e32 v4, v165, v4
	v_and_b32_e32 v5, 0x7f800000, v4
	s_delay_alu instid0(VALU_DEP_1) | instskip(NEXT) | instid1(VALU_DEP_1)
	v_cmp_ne_u32_e64 s9, 0x7f800000, v5
	s_and_saveexec_b32 s23, s9
	s_delay_alu instid0(SALU_CYCLE_1)
	s_xor_b32 s9, exec_lo, s23
; %bb.6638:                             ;   in Loop: Header=BB450_3110 Depth=1
	v_bfe_u32 v5, v4, 16, 1
	s_delay_alu instid0(VALU_DEP_1)
	v_add3_u32 v94, v4, v5, 0x7fff
                                        ; implicit-def: $vgpr4
; %bb.6639:                             ;   in Loop: Header=BB450_3110 Depth=1
	s_and_not1_saveexec_b32 s23, s9
; %bb.6640:                             ;   in Loop: Header=BB450_3110 Depth=1
	v_and_b32_e32 v5, 0xffff, v4
	v_or_b32_e32 v7, 0x10000, v4
	s_delay_alu instid0(VALU_DEP_2) | instskip(NEXT) | instid1(VALU_DEP_1)
	v_cmp_eq_u32_e64 s9, 0, v5
	v_cndmask_b32_e64 v94, v7, v4, s9
; %bb.6641:                             ;   in Loop: Header=BB450_3110 Depth=1
	s_or_b32 exec_lo, exec_lo, s23
	v_lshlrev_b32_e32 v4, 16, v6
                                        ; implicit-def: $vgpr95
	s_delay_alu instid0(VALU_DEP_1) | instskip(NEXT) | instid1(VALU_DEP_1)
	v_mul_f32_e32 v4, v166, v4
	v_and_b32_e32 v5, 0x7f800000, v4
	s_delay_alu instid0(VALU_DEP_1) | instskip(NEXT) | instid1(VALU_DEP_1)
	v_cmp_ne_u32_e64 s9, 0x7f800000, v5
	s_and_saveexec_b32 s23, s9
	s_delay_alu instid0(SALU_CYCLE_1)
	s_xor_b32 s9, exec_lo, s23
; %bb.6642:                             ;   in Loop: Header=BB450_3110 Depth=1
	v_bfe_u32 v5, v4, 16, 1
	s_delay_alu instid0(VALU_DEP_1)
	v_add3_u32 v95, v4, v5, 0x7fff
                                        ; implicit-def: $vgpr4
; %bb.6643:                             ;   in Loop: Header=BB450_3110 Depth=1
	s_and_not1_saveexec_b32 s23, s9
; %bb.6644:                             ;   in Loop: Header=BB450_3110 Depth=1
	v_and_b32_e32 v5, 0xffff, v4
	v_or_b32_e32 v6, 0x10000, v4
	s_delay_alu instid0(VALU_DEP_2) | instskip(NEXT) | instid1(VALU_DEP_1)
	v_cmp_eq_u32_e64 s9, 0, v5
	v_cndmask_b32_e64 v95, v6, v4, s9
; %bb.6645:                             ;   in Loop: Header=BB450_3110 Depth=1
	s_or_b32 exec_lo, exec_lo, s23
	v_lshlrev_b32_e32 v3, 16, v3
                                        ; implicit-def: $vgpr104
	s_delay_alu instid0(VALU_DEP_1) | instskip(NEXT) | instid1(VALU_DEP_1)
	v_mul_f32_e32 v3, v167, v3
	v_and_b32_e32 v4, 0x7f800000, v3
	s_delay_alu instid0(VALU_DEP_1) | instskip(NEXT) | instid1(VALU_DEP_1)
	v_cmp_ne_u32_e64 s9, 0x7f800000, v4
	s_and_saveexec_b32 s23, s9
	s_delay_alu instid0(SALU_CYCLE_1)
	s_xor_b32 s9, exec_lo, s23
; %bb.6646:                             ;   in Loop: Header=BB450_3110 Depth=1
	v_bfe_u32 v4, v3, 16, 1
	s_delay_alu instid0(VALU_DEP_1)
	v_add3_u32 v104, v3, v4, 0x7fff
                                        ; implicit-def: $vgpr3
; %bb.6647:                             ;   in Loop: Header=BB450_3110 Depth=1
	s_and_not1_saveexec_b32 s23, s9
; %bb.6648:                             ;   in Loop: Header=BB450_3110 Depth=1
	v_and_b32_e32 v4, 0xffff, v3
	v_or_b32_e32 v5, 0x10000, v3
	s_delay_alu instid0(VALU_DEP_2) | instskip(NEXT) | instid1(VALU_DEP_1)
	v_cmp_eq_u32_e64 s9, 0, v4
	v_cndmask_b32_e64 v104, v5, v3, s9
; %bb.6649:                             ;   in Loop: Header=BB450_3110 Depth=1
	s_or_b32 exec_lo, exec_lo, s23
	v_lshlrev_b32_e32 v2, 16, v2
                                        ; implicit-def: $vgpr105
	s_delay_alu instid0(VALU_DEP_1) | instskip(NEXT) | instid1(VALU_DEP_1)
	v_mul_f32_e32 v2, v176, v2
	v_and_b32_e32 v3, 0x7f800000, v2
	s_delay_alu instid0(VALU_DEP_1) | instskip(NEXT) | instid1(VALU_DEP_1)
	v_cmp_ne_u32_e64 s9, 0x7f800000, v3
	s_and_saveexec_b32 s23, s9
	s_delay_alu instid0(SALU_CYCLE_1)
	s_xor_b32 s9, exec_lo, s23
; %bb.6650:                             ;   in Loop: Header=BB450_3110 Depth=1
	v_bfe_u32 v3, v2, 16, 1
	s_delay_alu instid0(VALU_DEP_1)
	v_add3_u32 v105, v2, v3, 0x7fff
                                        ; implicit-def: $vgpr2
; %bb.6651:                             ;   in Loop: Header=BB450_3110 Depth=1
	s_and_not1_saveexec_b32 s23, s9
; %bb.6652:                             ;   in Loop: Header=BB450_3110 Depth=1
	v_and_b32_e32 v3, 0xffff, v2
	v_or_b32_e32 v4, 0x10000, v2
	s_delay_alu instid0(VALU_DEP_2) | instskip(NEXT) | instid1(VALU_DEP_1)
	v_cmp_eq_u32_e64 s9, 0, v3
	v_cndmask_b32_e64 v105, v4, v2, s9
; %bb.6653:                             ;   in Loop: Header=BB450_3110 Depth=1
	s_or_b32 exec_lo, exec_lo, s23
	scratch_load_b32 v2, off, s32 offset:924 ; 4-byte Folded Reload
	s_mov_b32 s23, exec_lo
	v_mov_b32_e32 v4, 0
	s_waitcnt vmcnt(0)
	v_add_co_u32 v2, s9, v0, v2
	s_delay_alu instid0(VALU_DEP_1) | instskip(SKIP_3) | instid1(VALU_DEP_1)
	v_add_co_ci_u32_e64 v3, s9, 0, v1, s9
	flat_load_b64 v[2:3], v[2:3]
	s_waitcnt vmcnt(0) lgkmcnt(0)
	v_and_b32_e32 v5, 0xff, v2
	v_cmpx_ne_u16_e32 0, v5
	s_cbranch_execz .LBB450_6661
; %bb.6654:                             ;   in Loop: Header=BB450_3110 Depth=1
	v_bfrev_b32_e32 v4, 1
	s_mov_b32 s24, exec_lo
	v_cmpx_ne_u16_e32 0x80, v5
	s_cbranch_execz .LBB450_6660
; %bb.6655:                             ;   in Loop: Header=BB450_3110 Depth=1
	v_and_b32_e32 v5, 0x7f, v2
	v_mov_b32_e32 v4, 0x7f800001
	s_mov_b32 s25, exec_lo
	s_delay_alu instid0(VALU_DEP_2)
	v_cmpx_ne_u32_e32 0x7f, v5
	s_cbranch_execz .LBB450_6659
; %bb.6656:                             ;   in Loop: Header=BB450_3110 Depth=1
	v_lshrrev_b32_e32 v4, 3, v5
	v_dual_mov_b32 v7, v3 :: v_dual_mov_b32 v6, v2
	s_mov_b32 s26, exec_lo
	v_cmpx_gt_u32_e32 8, v5
; %bb.6657:                             ;   in Loop: Header=BB450_3110 Depth=1
	v_and_b32_e32 v4, 7, v2
	s_delay_alu instid0(VALU_DEP_1) | instskip(NEXT) | instid1(VALU_DEP_1)
	v_clz_i32_u32_e32 v4, v4
	v_min_u32_e32 v4, 32, v4
	s_delay_alu instid0(VALU_DEP_1) | instskip(SKIP_1) | instid1(VALU_DEP_2)
	v_subrev_nc_u32_e32 v5, 28, v4
	v_sub_nc_u32_e32 v4, 29, v4
	v_lshlrev_b64 v[6:7], v5, v[2:3]
; %bb.6658:                             ;   in Loop: Header=BB450_3110 Depth=1
	s_or_b32 exec_lo, exec_lo, s26
	s_delay_alu instid0(VALU_DEP_1) | instskip(SKIP_2) | instid1(VALU_DEP_3)
	v_lshlrev_b32_e32 v5, 20, v6
	v_lshlrev_b32_e32 v6, 24, v2
	v_lshl_add_u32 v4, v4, 23, 0x3c000000
	v_and_b32_e32 v5, 0x700000, v5
	s_delay_alu instid0(VALU_DEP_3) | instskip(NEXT) | instid1(VALU_DEP_1)
	v_and_b32_e32 v6, 0x80000000, v6
	v_or3_b32 v4, v5, v6, v4
.LBB450_6659:                           ;   in Loop: Header=BB450_3110 Depth=1
	s_or_b32 exec_lo, exec_lo, s25
.LBB450_6660:                           ;   in Loop: Header=BB450_3110 Depth=1
	s_delay_alu instid0(SALU_CYCLE_1)
	s_or_b32 exec_lo, exec_lo, s24
.LBB450_6661:                           ;   in Loop: Header=BB450_3110 Depth=1
	s_delay_alu instid0(SALU_CYCLE_1) | instskip(NEXT) | instid1(VALU_DEP_1)
	s_or_b32 exec_lo, exec_lo, s23
	v_mul_f32_e32 v5, v160, v4
	s_delay_alu instid0(VALU_DEP_1) | instskip(NEXT) | instid1(VALU_DEP_1)
	v_and_b32_e32 v4, 0x7f800000, v5
	v_cmp_ne_u32_e64 s9, 0x7f800000, v4
                                        ; implicit-def: $vgpr4
	s_delay_alu instid0(VALU_DEP_1) | instskip(NEXT) | instid1(SALU_CYCLE_1)
	s_and_saveexec_b32 s23, s9
	s_xor_b32 s9, exec_lo, s23
; %bb.6662:                             ;   in Loop: Header=BB450_3110 Depth=1
	v_bfe_u32 v4, v5, 16, 1
	s_delay_alu instid0(VALU_DEP_1)
	v_add3_u32 v4, v5, v4, 0x7fff
                                        ; implicit-def: $vgpr5
; %bb.6663:                             ;   in Loop: Header=BB450_3110 Depth=1
	s_and_not1_saveexec_b32 s23, s9
; %bb.6664:                             ;   in Loop: Header=BB450_3110 Depth=1
	v_and_b32_e32 v4, 0xffff, v5
	v_or_b32_e32 v6, 0x10000, v5
	s_delay_alu instid0(VALU_DEP_2) | instskip(NEXT) | instid1(VALU_DEP_1)
	v_cmp_eq_u32_e64 s9, 0, v4
	v_cndmask_b32_e64 v4, v6, v5, s9
; %bb.6665:                             ;   in Loop: Header=BB450_3110 Depth=1
	s_or_b32 exec_lo, exec_lo, s23
	v_lshrrev_b16 v6, 8, v2
	v_mov_b32_e32 v5, 0
	s_mov_b32 s23, exec_lo
	s_delay_alu instid0(VALU_DEP_2)
	v_cmpx_ne_u16_e32 0, v6
	s_cbranch_execz .LBB450_6673
; %bb.6666:                             ;   in Loop: Header=BB450_3110 Depth=1
	v_bfrev_b32_e32 v5, 1
	s_mov_b32 s24, exec_lo
	v_cmpx_ne_u16_e32 0x80, v6
	s_cbranch_execz .LBB450_6672
; %bb.6667:                             ;   in Loop: Header=BB450_3110 Depth=1
	v_and_b32_e32 v6, 0xffff, v6
	v_mov_b32_e32 v5, 0x7f800001
	s_mov_b32 s25, exec_lo
	s_delay_alu instid0(VALU_DEP_2) | instskip(NEXT) | instid1(VALU_DEP_1)
	v_and_b32_e32 v21, 0x7f, v6
	v_cmpx_ne_u32_e32 0x7f, v21
	s_cbranch_execz .LBB450_6671
; %bb.6668:                             ;   in Loop: Header=BB450_3110 Depth=1
	v_and_b32_e32 v12, 7, v6
	v_lshrrev_b32_e32 v5, 3, v21
	s_mov_b32 s26, exec_lo
	s_delay_alu instid0(VALU_DEP_2)
	v_dual_mov_b32 v6, v12 :: v_dual_mov_b32 v7, v13
	v_cmpx_gt_u32_e32 8, v21
; %bb.6669:                             ;   in Loop: Header=BB450_3110 Depth=1
	v_clz_i32_u32_e32 v5, v12
	s_delay_alu instid0(VALU_DEP_1) | instskip(NEXT) | instid1(VALU_DEP_1)
	v_min_u32_e32 v5, 32, v5
	v_subrev_nc_u32_e32 v6, 28, v5
	v_sub_nc_u32_e32 v5, 29, v5
	s_delay_alu instid0(VALU_DEP_2) | instskip(NEXT) | instid1(VALU_DEP_1)
	v_lshlrev_b64 v[6:7], v6, v[12:13]
	v_and_b32_e32 v6, 7, v6
; %bb.6670:                             ;   in Loop: Header=BB450_3110 Depth=1
	s_or_b32 exec_lo, exec_lo, s26
	v_lshlrev_b32_e32 v7, 16, v2
	s_delay_alu instid0(VALU_DEP_2) | instskip(SKIP_1) | instid1(VALU_DEP_3)
	v_lshlrev_b32_e32 v6, 20, v6
	v_lshl_add_u32 v5, v5, 23, 0x3c000000
	v_and_b32_e32 v7, 0x80000000, v7
	s_delay_alu instid0(VALU_DEP_1)
	v_or3_b32 v5, v6, v7, v5
.LBB450_6671:                           ;   in Loop: Header=BB450_3110 Depth=1
	s_or_b32 exec_lo, exec_lo, s25
.LBB450_6672:                           ;   in Loop: Header=BB450_3110 Depth=1
	s_delay_alu instid0(SALU_CYCLE_1)
	s_or_b32 exec_lo, exec_lo, s24
.LBB450_6673:                           ;   in Loop: Header=BB450_3110 Depth=1
	s_delay_alu instid0(SALU_CYCLE_1) | instskip(NEXT) | instid1(VALU_DEP_1)
	s_or_b32 exec_lo, exec_lo, s23
	v_mul_f32_e32 v6, v160, v5
	s_delay_alu instid0(VALU_DEP_1) | instskip(NEXT) | instid1(VALU_DEP_1)
	v_and_b32_e32 v5, 0x7f800000, v6
	v_cmp_ne_u32_e64 s9, 0x7f800000, v5
                                        ; implicit-def: $vgpr5
	s_delay_alu instid0(VALU_DEP_1) | instskip(NEXT) | instid1(SALU_CYCLE_1)
	s_and_saveexec_b32 s23, s9
	s_xor_b32 s9, exec_lo, s23
; %bb.6674:                             ;   in Loop: Header=BB450_3110 Depth=1
	v_bfe_u32 v5, v6, 16, 1
	s_delay_alu instid0(VALU_DEP_1)
	v_add3_u32 v5, v6, v5, 0x7fff
                                        ; implicit-def: $vgpr6
; %bb.6675:                             ;   in Loop: Header=BB450_3110 Depth=1
	s_and_not1_saveexec_b32 s23, s9
; %bb.6676:                             ;   in Loop: Header=BB450_3110 Depth=1
	v_and_b32_e32 v5, 0xffff, v6
	v_or_b32_e32 v7, 0x10000, v6
	s_delay_alu instid0(VALU_DEP_2) | instskip(NEXT) | instid1(VALU_DEP_1)
	v_cmp_eq_u32_e64 s9, 0, v5
	v_cndmask_b32_e64 v5, v7, v6, s9
; %bb.6677:                             ;   in Loop: Header=BB450_3110 Depth=1
	s_or_b32 exec_lo, exec_lo, s23
	v_lshrrev_b32_e32 v21, 16, v2
	s_mov_b32 s23, exec_lo
	s_delay_alu instid0(VALU_DEP_1) | instskip(NEXT) | instid1(VALU_DEP_1)
	v_dual_mov_b32 v6, 0 :: v_dual_and_b32 v7, 0xff, v21
	v_cmpx_ne_u16_e32 0, v7
	s_cbranch_execz .LBB450_6685
; %bb.6678:                             ;   in Loop: Header=BB450_3110 Depth=1
	v_bfrev_b32_e32 v6, 1
	s_mov_b32 s24, exec_lo
	v_cmpx_ne_u16_e32 0x80, v7
	s_cbranch_execz .LBB450_6684
; %bb.6679:                             ;   in Loop: Header=BB450_3110 Depth=1
	v_bfe_u32 v37, v2, 16, 7
	v_mov_b32_e32 v6, 0x7f800001
	s_mov_b32 s25, exec_lo
	s_delay_alu instid0(VALU_DEP_2)
	v_cmpx_ne_u32_e32 0x7f, v37
	s_cbranch_execz .LBB450_6683
; %bb.6680:                             ;   in Loop: Header=BB450_3110 Depth=1
	v_and_b32_e32 v12, 7, v21
	s_mov_b32 s26, exec_lo
	s_delay_alu instid0(VALU_DEP_1)
	v_dual_mov_b32 v6, v12 :: v_dual_mov_b32 v7, v13
	v_lshrrev_b32_e32 v7, 3, v37
	v_cmpx_gt_u32_e32 8, v37
; %bb.6681:                             ;   in Loop: Header=BB450_3110 Depth=1
	v_clz_i32_u32_e32 v6, v12
	s_delay_alu instid0(VALU_DEP_1) | instskip(NEXT) | instid1(VALU_DEP_1)
	v_min_u32_e32 v37, 32, v6
	v_subrev_nc_u32_e32 v6, 28, v37
	s_delay_alu instid0(VALU_DEP_1) | instskip(SKIP_1) | instid1(VALU_DEP_2)
	v_lshlrev_b64 v[6:7], v6, v[12:13]
	v_sub_nc_u32_e32 v7, 29, v37
	v_and_b32_e32 v6, 7, v6
; %bb.6682:                             ;   in Loop: Header=BB450_3110 Depth=1
	s_or_b32 exec_lo, exec_lo, s26
	v_lshlrev_b32_e32 v12, 24, v21
	s_delay_alu instid0(VALU_DEP_2) | instskip(SKIP_1) | instid1(VALU_DEP_3)
	v_lshlrev_b32_e32 v6, 20, v6
	v_lshl_add_u32 v7, v7, 23, 0x3c000000
	v_and_b32_e32 v12, 0x80000000, v12
	s_delay_alu instid0(VALU_DEP_1)
	v_or3_b32 v6, v6, v12, v7
.LBB450_6683:                           ;   in Loop: Header=BB450_3110 Depth=1
	s_or_b32 exec_lo, exec_lo, s25
.LBB450_6684:                           ;   in Loop: Header=BB450_3110 Depth=1
	s_delay_alu instid0(SALU_CYCLE_1)
	s_or_b32 exec_lo, exec_lo, s24
.LBB450_6685:                           ;   in Loop: Header=BB450_3110 Depth=1
	s_delay_alu instid0(SALU_CYCLE_1) | instskip(NEXT) | instid1(VALU_DEP_1)
	s_or_b32 exec_lo, exec_lo, s23
	v_mul_f32_e32 v6, v160, v6
                                        ; implicit-def: $vgpr21
	s_delay_alu instid0(VALU_DEP_1) | instskip(NEXT) | instid1(VALU_DEP_1)
	v_and_b32_e32 v7, 0x7f800000, v6
	v_cmp_ne_u32_e64 s9, 0x7f800000, v7
	s_delay_alu instid0(VALU_DEP_1) | instskip(NEXT) | instid1(SALU_CYCLE_1)
	s_and_saveexec_b32 s23, s9
	s_xor_b32 s9, exec_lo, s23
; %bb.6686:                             ;   in Loop: Header=BB450_3110 Depth=1
	v_bfe_u32 v7, v6, 16, 1
	s_delay_alu instid0(VALU_DEP_1)
	v_add3_u32 v21, v6, v7, 0x7fff
                                        ; implicit-def: $vgpr6
; %bb.6687:                             ;   in Loop: Header=BB450_3110 Depth=1
	s_and_not1_saveexec_b32 s23, s9
; %bb.6688:                             ;   in Loop: Header=BB450_3110 Depth=1
	v_and_b32_e32 v7, 0xffff, v6
	v_or_b32_e32 v12, 0x10000, v6
	s_delay_alu instid0(VALU_DEP_2) | instskip(NEXT) | instid1(VALU_DEP_1)
	v_cmp_eq_u32_e64 s9, 0, v7
	v_cndmask_b32_e64 v21, v12, v6, s9
; %bb.6689:                             ;   in Loop: Header=BB450_3110 Depth=1
	s_or_b32 exec_lo, exec_lo, s23
	v_mov_b32_e32 v6, 0
	s_mov_b32 s23, exec_lo
	v_cmpx_lt_u32_e32 0xffffff, v2
	s_cbranch_execz .LBB450_6697
; %bb.6690:                             ;   in Loop: Header=BB450_3110 Depth=1
	v_lshrrev_b32_e32 v37, 24, v2
	v_bfrev_b32_e32 v6, 1
	s_mov_b32 s24, exec_lo
	s_delay_alu instid0(VALU_DEP_2)
	v_cmpx_ne_u32_e32 0x80, v37
	s_cbranch_execz .LBB450_6696
; %bb.6691:                             ;   in Loop: Header=BB450_3110 Depth=1
	v_bfe_u32 v38, v2, 24, 7
	v_mov_b32_e32 v6, 0x7f800001
	s_mov_b32 s25, exec_lo
	s_delay_alu instid0(VALU_DEP_2)
	v_cmpx_ne_u32_e32 0x7f, v38
	s_cbranch_execz .LBB450_6695
; %bb.6692:                             ;   in Loop: Header=BB450_3110 Depth=1
	v_and_b32_e32 v12, 7, v37
	s_mov_b32 s26, exec_lo
	s_delay_alu instid0(VALU_DEP_1)
	v_dual_mov_b32 v6, v12 :: v_dual_mov_b32 v7, v13
	v_lshrrev_b32_e32 v7, 3, v38
	v_cmpx_gt_u32_e32 8, v38
; %bb.6693:                             ;   in Loop: Header=BB450_3110 Depth=1
	v_clz_i32_u32_e32 v6, v12
	s_delay_alu instid0(VALU_DEP_1) | instskip(NEXT) | instid1(VALU_DEP_1)
	v_min_u32_e32 v38, 32, v6
	v_subrev_nc_u32_e32 v6, 28, v38
	s_delay_alu instid0(VALU_DEP_1) | instskip(SKIP_1) | instid1(VALU_DEP_2)
	v_lshlrev_b64 v[6:7], v6, v[12:13]
	v_sub_nc_u32_e32 v7, 29, v38
	v_and_b32_e32 v6, 7, v6
; %bb.6694:                             ;   in Loop: Header=BB450_3110 Depth=1
	s_or_b32 exec_lo, exec_lo, s26
	v_lshlrev_b32_e32 v12, 24, v37
	s_delay_alu instid0(VALU_DEP_2) | instskip(SKIP_1) | instid1(VALU_DEP_3)
	v_lshlrev_b32_e32 v6, 20, v6
	v_lshl_add_u32 v7, v7, 23, 0x3c000000
	v_and_b32_e32 v12, 0x80000000, v12
	s_delay_alu instid0(VALU_DEP_1)
	v_or3_b32 v6, v6, v12, v7
.LBB450_6695:                           ;   in Loop: Header=BB450_3110 Depth=1
	s_or_b32 exec_lo, exec_lo, s25
.LBB450_6696:                           ;   in Loop: Header=BB450_3110 Depth=1
	s_delay_alu instid0(SALU_CYCLE_1)
	s_or_b32 exec_lo, exec_lo, s24
.LBB450_6697:                           ;   in Loop: Header=BB450_3110 Depth=1
	s_delay_alu instid0(SALU_CYCLE_1) | instskip(NEXT) | instid1(VALU_DEP_1)
	s_or_b32 exec_lo, exec_lo, s23
	v_mul_f32_e32 v6, v160, v6
                                        ; implicit-def: $vgpr37
	s_delay_alu instid0(VALU_DEP_1) | instskip(NEXT) | instid1(VALU_DEP_1)
	v_and_b32_e32 v7, 0x7f800000, v6
	v_cmp_ne_u32_e64 s9, 0x7f800000, v7
	s_delay_alu instid0(VALU_DEP_1) | instskip(NEXT) | instid1(SALU_CYCLE_1)
	s_and_saveexec_b32 s23, s9
	s_xor_b32 s9, exec_lo, s23
; %bb.6698:                             ;   in Loop: Header=BB450_3110 Depth=1
	v_bfe_u32 v7, v6, 16, 1
	s_delay_alu instid0(VALU_DEP_1)
	v_add3_u32 v37, v6, v7, 0x7fff
                                        ; implicit-def: $vgpr6
; %bb.6699:                             ;   in Loop: Header=BB450_3110 Depth=1
	s_and_not1_saveexec_b32 s23, s9
; %bb.6700:                             ;   in Loop: Header=BB450_3110 Depth=1
	v_and_b32_e32 v7, 0xffff, v6
	v_or_b32_e32 v12, 0x10000, v6
	s_delay_alu instid0(VALU_DEP_2) | instskip(NEXT) | instid1(VALU_DEP_1)
	v_cmp_eq_u32_e64 s9, 0, v7
	v_cndmask_b32_e64 v37, v12, v6, s9
; %bb.6701:                             ;   in Loop: Header=BB450_3110 Depth=1
	s_or_b32 exec_lo, exec_lo, s23
	v_dual_mov_b32 v12, v3 :: v_dual_and_b32 v7, 0xff, v3
	v_mov_b32_e32 v6, 0
	s_mov_b32 s23, exec_lo
	s_delay_alu instid0(VALU_DEP_2)
	v_cmpx_ne_u16_e32 0, v7
	s_cbranch_execz .LBB450_6709
; %bb.6702:                             ;   in Loop: Header=BB450_3110 Depth=1
	v_bfrev_b32_e32 v6, 1
	s_mov_b32 s24, exec_lo
	v_cmpx_ne_u16_e32 0x80, v7
	s_cbranch_execz .LBB450_6708
; %bb.6703:                             ;   in Loop: Header=BB450_3110 Depth=1
	v_and_b32_e32 v38, 0x7f, v3
	v_mov_b32_e32 v6, 0x7f800001
	s_mov_b32 s25, exec_lo
	s_delay_alu instid0(VALU_DEP_2)
	v_cmpx_ne_u32_e32 0x7f, v38
	s_cbranch_execz .LBB450_6707
; %bb.6704:                             ;   in Loop: Header=BB450_3110 Depth=1
	v_dual_mov_b32 v6, v12 :: v_dual_mov_b32 v7, v13
	v_lshrrev_b32_e32 v7, 3, v38
	s_mov_b32 s26, exec_lo
	v_cmpx_gt_u32_e32 8, v38
; %bb.6705:                             ;   in Loop: Header=BB450_3110 Depth=1
	v_and_b32_e32 v6, 7, v3
	s_delay_alu instid0(VALU_DEP_1) | instskip(NEXT) | instid1(VALU_DEP_1)
	v_clz_i32_u32_e32 v6, v6
	v_min_u32_e32 v38, 32, v6
	s_delay_alu instid0(VALU_DEP_1) | instskip(NEXT) | instid1(VALU_DEP_1)
	v_subrev_nc_u32_e32 v6, 28, v38
	v_lshlrev_b64 v[6:7], v6, v[12:13]
	v_sub_nc_u32_e32 v7, 29, v38
; %bb.6706:                             ;   in Loop: Header=BB450_3110 Depth=1
	s_or_b32 exec_lo, exec_lo, s26
	s_delay_alu instid0(VALU_DEP_2) | instskip(SKIP_1) | instid1(VALU_DEP_3)
	v_lshlrev_b32_e32 v6, 20, v6
	v_lshlrev_b32_e32 v38, 24, v12
	v_lshl_add_u32 v7, v7, 23, 0x3c000000
	s_delay_alu instid0(VALU_DEP_3) | instskip(NEXT) | instid1(VALU_DEP_3)
	v_and_b32_e32 v6, 0x700000, v6
	v_and_b32_e32 v38, 0x80000000, v38
	s_delay_alu instid0(VALU_DEP_1)
	v_or3_b32 v6, v6, v38, v7
.LBB450_6707:                           ;   in Loop: Header=BB450_3110 Depth=1
	s_or_b32 exec_lo, exec_lo, s25
.LBB450_6708:                           ;   in Loop: Header=BB450_3110 Depth=1
	s_delay_alu instid0(SALU_CYCLE_1)
	s_or_b32 exec_lo, exec_lo, s24
.LBB450_6709:                           ;   in Loop: Header=BB450_3110 Depth=1
	s_delay_alu instid0(SALU_CYCLE_1) | instskip(NEXT) | instid1(VALU_DEP_1)
	s_or_b32 exec_lo, exec_lo, s23
	v_mul_f32_e32 v6, v160, v6
                                        ; implicit-def: $vgpr38
	s_delay_alu instid0(VALU_DEP_1) | instskip(NEXT) | instid1(VALU_DEP_1)
	v_and_b32_e32 v7, 0x7f800000, v6
	v_cmp_ne_u32_e64 s9, 0x7f800000, v7
	s_delay_alu instid0(VALU_DEP_1) | instskip(NEXT) | instid1(SALU_CYCLE_1)
	s_and_saveexec_b32 s23, s9
	s_xor_b32 s9, exec_lo, s23
; %bb.6710:                             ;   in Loop: Header=BB450_3110 Depth=1
	v_bfe_u32 v7, v6, 16, 1
	s_delay_alu instid0(VALU_DEP_1)
	v_add3_u32 v38, v6, v7, 0x7fff
                                        ; implicit-def: $vgpr6
; %bb.6711:                             ;   in Loop: Header=BB450_3110 Depth=1
	s_and_not1_saveexec_b32 s23, s9
; %bb.6712:                             ;   in Loop: Header=BB450_3110 Depth=1
	v_and_b32_e32 v7, 0xffff, v6
	v_or_b32_e32 v38, 0x10000, v6
	s_delay_alu instid0(VALU_DEP_2) | instskip(NEXT) | instid1(VALU_DEP_1)
	v_cmp_eq_u32_e64 s9, 0, v7
	v_cndmask_b32_e64 v38, v38, v6, s9
; %bb.6713:                             ;   in Loop: Header=BB450_3110 Depth=1
	s_or_b32 exec_lo, exec_lo, s23
	v_lshrrev_b16 v7, 8, v12
	v_mov_b32_e32 v6, 0
	s_mov_b32 s23, exec_lo
	s_delay_alu instid0(VALU_DEP_2)
	v_cmpx_ne_u16_e32 0, v7
	s_cbranch_execz .LBB450_6721
; %bb.6714:                             ;   in Loop: Header=BB450_3110 Depth=1
	v_bfrev_b32_e32 v6, 1
	s_mov_b32 s24, exec_lo
	v_cmpx_ne_u16_e32 0x80, v7
	s_cbranch_execz .LBB450_6720
; %bb.6715:                             ;   in Loop: Header=BB450_3110 Depth=1
	v_and_b32_e32 v7, 0xffff, v7
	v_mov_b32_e32 v6, 0x7f800001
	s_mov_b32 s25, exec_lo
	s_delay_alu instid0(VALU_DEP_2) | instskip(NEXT) | instid1(VALU_DEP_1)
	v_and_b32_e32 v107, 0x7f, v7
	v_cmpx_ne_u32_e32 0x7f, v107
	s_cbranch_execz .LBB450_6719
; %bb.6716:                             ;   in Loop: Header=BB450_3110 Depth=1
	v_dual_mov_b32 v7, v13 :: v_dual_and_b32 v6, 7, v7
	v_lshrrev_b32_e32 v106, 3, v107
	s_mov_b32 s26, exec_lo
	v_cmpx_gt_u32_e32 8, v107
; %bb.6717:                             ;   in Loop: Header=BB450_3110 Depth=1
	s_delay_alu instid0(VALU_DEP_3) | instskip(NEXT) | instid1(VALU_DEP_1)
	v_clz_i32_u32_e32 v106, v6
	v_min_u32_e32 v106, 32, v106
	s_delay_alu instid0(VALU_DEP_1) | instskip(SKIP_1) | instid1(VALU_DEP_2)
	v_subrev_nc_u32_e32 v107, 28, v106
	v_sub_nc_u32_e32 v106, 29, v106
	v_lshlrev_b64 v[6:7], v107, v[6:7]
	s_delay_alu instid0(VALU_DEP_1)
	v_and_b32_e32 v6, 7, v6
; %bb.6718:                             ;   in Loop: Header=BB450_3110 Depth=1
	s_or_b32 exec_lo, exec_lo, s26
	v_lshlrev_b32_e32 v7, 16, v12
	s_delay_alu instid0(VALU_DEP_2) | instskip(SKIP_1) | instid1(VALU_DEP_3)
	v_lshlrev_b32_e32 v6, 20, v6
	v_lshl_add_u32 v12, v106, 23, 0x3c000000
	v_and_b32_e32 v7, 0x80000000, v7
	s_delay_alu instid0(VALU_DEP_1)
	v_or3_b32 v6, v6, v7, v12
.LBB450_6719:                           ;   in Loop: Header=BB450_3110 Depth=1
	s_or_b32 exec_lo, exec_lo, s25
.LBB450_6720:                           ;   in Loop: Header=BB450_3110 Depth=1
	s_delay_alu instid0(SALU_CYCLE_1)
	s_or_b32 exec_lo, exec_lo, s24
.LBB450_6721:                           ;   in Loop: Header=BB450_3110 Depth=1
	s_delay_alu instid0(SALU_CYCLE_1) | instskip(NEXT) | instid1(VALU_DEP_1)
	s_or_b32 exec_lo, exec_lo, s23
	v_mul_f32_e32 v6, v160, v6
                                        ; implicit-def: $vgpr106
	s_delay_alu instid0(VALU_DEP_1) | instskip(NEXT) | instid1(VALU_DEP_1)
	v_and_b32_e32 v7, 0x7f800000, v6
	v_cmp_ne_u32_e64 s9, 0x7f800000, v7
	s_delay_alu instid0(VALU_DEP_1) | instskip(NEXT) | instid1(SALU_CYCLE_1)
	s_and_saveexec_b32 s23, s9
	s_xor_b32 s9, exec_lo, s23
; %bb.6722:                             ;   in Loop: Header=BB450_3110 Depth=1
	v_bfe_u32 v7, v6, 16, 1
	s_delay_alu instid0(VALU_DEP_1)
	v_add3_u32 v106, v6, v7, 0x7fff
                                        ; implicit-def: $vgpr6
; %bb.6723:                             ;   in Loop: Header=BB450_3110 Depth=1
	s_and_not1_saveexec_b32 s23, s9
; %bb.6724:                             ;   in Loop: Header=BB450_3110 Depth=1
	v_and_b32_e32 v7, 0xffff, v6
	v_or_b32_e32 v12, 0x10000, v6
	s_delay_alu instid0(VALU_DEP_2) | instskip(NEXT) | instid1(VALU_DEP_1)
	v_cmp_eq_u32_e64 s9, 0, v7
	v_cndmask_b32_e64 v106, v12, v6, s9
; %bb.6725:                             ;   in Loop: Header=BB450_3110 Depth=1
	s_or_b32 exec_lo, exec_lo, s23
	v_lshrrev_b32_e32 v107, 16, v3
	s_mov_b32 s23, exec_lo
	s_delay_alu instid0(VALU_DEP_1) | instskip(NEXT) | instid1(VALU_DEP_1)
	v_dual_mov_b32 v6, 0 :: v_dual_and_b32 v7, 0xff, v107
	v_cmpx_ne_u16_e32 0, v7
	s_cbranch_execz .LBB450_6733
; %bb.6726:                             ;   in Loop: Header=BB450_3110 Depth=1
	v_bfrev_b32_e32 v6, 1
	s_mov_b32 s24, exec_lo
	v_cmpx_ne_u16_e32 0x80, v7
	s_cbranch_execz .LBB450_6732
; %bb.6727:                             ;   in Loop: Header=BB450_3110 Depth=1
	v_bfe_u32 v108, v3, 16, 7
	v_mov_b32_e32 v6, 0x7f800001
	s_mov_b32 s25, exec_lo
	s_delay_alu instid0(VALU_DEP_2)
	v_cmpx_ne_u32_e32 0x7f, v108
	s_cbranch_execz .LBB450_6731
; %bb.6728:                             ;   in Loop: Header=BB450_3110 Depth=1
	v_and_b32_e32 v12, 7, v107
	s_mov_b32 s26, exec_lo
	s_delay_alu instid0(VALU_DEP_1)
	v_dual_mov_b32 v6, v12 :: v_dual_mov_b32 v7, v13
	v_lshrrev_b32_e32 v7, 3, v108
	v_cmpx_gt_u32_e32 8, v108
; %bb.6729:                             ;   in Loop: Header=BB450_3110 Depth=1
	v_clz_i32_u32_e32 v6, v12
	s_delay_alu instid0(VALU_DEP_1) | instskip(NEXT) | instid1(VALU_DEP_1)
	v_min_u32_e32 v108, 32, v6
	v_subrev_nc_u32_e32 v6, 28, v108
	s_delay_alu instid0(VALU_DEP_1) | instskip(SKIP_1) | instid1(VALU_DEP_2)
	v_lshlrev_b64 v[6:7], v6, v[12:13]
	v_sub_nc_u32_e32 v7, 29, v108
	v_and_b32_e32 v6, 7, v6
; %bb.6730:                             ;   in Loop: Header=BB450_3110 Depth=1
	s_or_b32 exec_lo, exec_lo, s26
	v_lshlrev_b32_e32 v12, 24, v107
	s_delay_alu instid0(VALU_DEP_2) | instskip(SKIP_1) | instid1(VALU_DEP_3)
	v_lshlrev_b32_e32 v6, 20, v6
	v_lshl_add_u32 v7, v7, 23, 0x3c000000
	v_and_b32_e32 v12, 0x80000000, v12
	s_delay_alu instid0(VALU_DEP_1)
	v_or3_b32 v6, v6, v12, v7
.LBB450_6731:                           ;   in Loop: Header=BB450_3110 Depth=1
	s_or_b32 exec_lo, exec_lo, s25
.LBB450_6732:                           ;   in Loop: Header=BB450_3110 Depth=1
	s_delay_alu instid0(SALU_CYCLE_1)
	s_or_b32 exec_lo, exec_lo, s24
.LBB450_6733:                           ;   in Loop: Header=BB450_3110 Depth=1
	s_delay_alu instid0(SALU_CYCLE_1) | instskip(NEXT) | instid1(VALU_DEP_1)
	s_or_b32 exec_lo, exec_lo, s23
	v_mul_f32_e32 v6, v160, v6
                                        ; implicit-def: $vgpr107
	s_delay_alu instid0(VALU_DEP_1) | instskip(NEXT) | instid1(VALU_DEP_1)
	v_and_b32_e32 v7, 0x7f800000, v6
	v_cmp_ne_u32_e64 s9, 0x7f800000, v7
	s_delay_alu instid0(VALU_DEP_1) | instskip(NEXT) | instid1(SALU_CYCLE_1)
	s_and_saveexec_b32 s23, s9
	s_xor_b32 s9, exec_lo, s23
; %bb.6734:                             ;   in Loop: Header=BB450_3110 Depth=1
	v_bfe_u32 v7, v6, 16, 1
	s_delay_alu instid0(VALU_DEP_1)
	v_add3_u32 v107, v6, v7, 0x7fff
                                        ; implicit-def: $vgpr6
; %bb.6735:                             ;   in Loop: Header=BB450_3110 Depth=1
	s_and_not1_saveexec_b32 s23, s9
; %bb.6736:                             ;   in Loop: Header=BB450_3110 Depth=1
	v_and_b32_e32 v7, 0xffff, v6
	v_or_b32_e32 v12, 0x10000, v6
	s_delay_alu instid0(VALU_DEP_2) | instskip(NEXT) | instid1(VALU_DEP_1)
	v_cmp_eq_u32_e64 s9, 0, v7
	v_cndmask_b32_e64 v107, v12, v6, s9
; %bb.6737:                             ;   in Loop: Header=BB450_3110 Depth=1
	s_or_b32 exec_lo, exec_lo, s23
	v_cmp_lt_u64_e64 s9, s[18:19], v[2:3]
	v_mov_b32_e32 v2, 0
	s_delay_alu instid0(VALU_DEP_2)
	s_and_saveexec_b32 s23, s9
	s_cbranch_execz .LBB450_6745
; %bb.6738:                             ;   in Loop: Header=BB450_3110 Depth=1
	v_lshrrev_b32_e32 v6, 24, v3
	v_bfrev_b32_e32 v2, 1
	s_mov_b32 s24, exec_lo
	s_delay_alu instid0(VALU_DEP_2)
	v_cmpx_ne_u32_e32 0x80, v6
	s_cbranch_execz .LBB450_6744
; %bb.6739:                             ;   in Loop: Header=BB450_3110 Depth=1
	v_bfe_u32 v7, v3, 24, 7
	v_mov_b32_e32 v2, 0x7f800001
	s_mov_b32 s25, exec_lo
	s_delay_alu instid0(VALU_DEP_2)
	v_cmpx_ne_u32_e32 0x7f, v7
	s_cbranch_execz .LBB450_6743
; %bb.6740:                             ;   in Loop: Header=BB450_3110 Depth=1
	v_and_b32_e32 v12, 7, v6
	s_mov_b32 s26, exec_lo
	s_delay_alu instid0(VALU_DEP_1)
	v_dual_mov_b32 v2, v12 :: v_dual_mov_b32 v3, v13
	v_lshrrev_b32_e32 v3, 3, v7
	v_cmpx_gt_u32_e32 8, v7
; %bb.6741:                             ;   in Loop: Header=BB450_3110 Depth=1
	v_clz_i32_u32_e32 v2, v12
	s_delay_alu instid0(VALU_DEP_1) | instskip(NEXT) | instid1(VALU_DEP_1)
	v_min_u32_e32 v7, 32, v2
	v_subrev_nc_u32_e32 v2, 28, v7
	s_delay_alu instid0(VALU_DEP_1) | instskip(SKIP_1) | instid1(VALU_DEP_2)
	v_lshlrev_b64 v[2:3], v2, v[12:13]
	v_sub_nc_u32_e32 v3, 29, v7
	v_and_b32_e32 v2, 7, v2
; %bb.6742:                             ;   in Loop: Header=BB450_3110 Depth=1
	s_or_b32 exec_lo, exec_lo, s26
	v_lshlrev_b32_e32 v6, 24, v6
	s_delay_alu instid0(VALU_DEP_2) | instskip(SKIP_1) | instid1(VALU_DEP_3)
	v_lshlrev_b32_e32 v2, 20, v2
	v_lshl_add_u32 v3, v3, 23, 0x3c000000
	v_and_b32_e32 v6, 0x80000000, v6
	s_delay_alu instid0(VALU_DEP_1)
	v_or3_b32 v2, v2, v6, v3
.LBB450_6743:                           ;   in Loop: Header=BB450_3110 Depth=1
	s_or_b32 exec_lo, exec_lo, s25
.LBB450_6744:                           ;   in Loop: Header=BB450_3110 Depth=1
	s_delay_alu instid0(SALU_CYCLE_1)
	s_or_b32 exec_lo, exec_lo, s24
.LBB450_6745:                           ;   in Loop: Header=BB450_3110 Depth=1
	s_delay_alu instid0(SALU_CYCLE_1) | instskip(NEXT) | instid1(VALU_DEP_1)
	s_or_b32 exec_lo, exec_lo, s23
	v_mul_f32_e32 v3, v160, v2
	s_delay_alu instid0(VALU_DEP_1) | instskip(NEXT) | instid1(VALU_DEP_1)
	v_and_b32_e32 v2, 0x7f800000, v3
	v_cmp_ne_u32_e64 s9, 0x7f800000, v2
                                        ; implicit-def: $vgpr2
	s_delay_alu instid0(VALU_DEP_1) | instskip(NEXT) | instid1(SALU_CYCLE_1)
	s_and_saveexec_b32 s23, s9
	s_xor_b32 s9, exec_lo, s23
; %bb.6746:                             ;   in Loop: Header=BB450_3110 Depth=1
	v_bfe_u32 v2, v3, 16, 1
	s_delay_alu instid0(VALU_DEP_1)
	v_add3_u32 v2, v3, v2, 0x7fff
                                        ; implicit-def: $vgpr3
; %bb.6747:                             ;   in Loop: Header=BB450_3110 Depth=1
	s_and_not1_saveexec_b32 s23, s9
; %bb.6748:                             ;   in Loop: Header=BB450_3110 Depth=1
	v_and_b32_e32 v2, 0xffff, v3
	v_or_b32_e32 v6, 0x10000, v3
	s_delay_alu instid0(VALU_DEP_2) | instskip(NEXT) | instid1(VALU_DEP_1)
	v_cmp_eq_u32_e64 s9, 0, v2
	v_cndmask_b32_e64 v2, v6, v3, s9
; %bb.6749:                             ;   in Loop: Header=BB450_3110 Depth=1
	s_or_b32 exec_lo, exec_lo, s23
	v_lshrrev_b32_e32 v6, 16, v106
	v_lshrrev_b32_e32 v7, 16, v38
	;; [unrolled: 1-line block ×8, first 2 shown]
	s_and_saveexec_b32 s9, s1
; %bb.6750:                             ;   in Loop: Header=BB450_3110 Depth=1
	s_delay_alu instid0(VALU_DEP_3)
	v_cndmask_b32_e32 v4, 0, v4, vcc_lo
	v_cndmask_b32_e64 v5, 0, v5, s2
	v_cndmask_b32_e64 v21, 0, v21, s3
	;; [unrolled: 1-line block ×7, first 2 shown]
; %bb.6751:                             ;   in Loop: Header=BB450_3110 Depth=1
	s_or_b32 exec_lo, exec_lo, s9
	v_lshlrev_b32_e32 v4, 16, v4
                                        ; implicit-def: $vgpr106
	s_delay_alu instid0(VALU_DEP_1) | instskip(NEXT) | instid1(VALU_DEP_1)
	v_mul_f32_e32 v4, v161, v4
	v_and_b32_e32 v37, 0x7f800000, v4
	s_delay_alu instid0(VALU_DEP_1) | instskip(NEXT) | instid1(VALU_DEP_1)
	v_cmp_ne_u32_e64 s9, 0x7f800000, v37
	s_and_saveexec_b32 s23, s9
	s_delay_alu instid0(SALU_CYCLE_1)
	s_xor_b32 s9, exec_lo, s23
; %bb.6752:                             ;   in Loop: Header=BB450_3110 Depth=1
	v_bfe_u32 v37, v4, 16, 1
	s_delay_alu instid0(VALU_DEP_1)
	v_add3_u32 v106, v4, v37, 0x7fff
                                        ; implicit-def: $vgpr4
; %bb.6753:                             ;   in Loop: Header=BB450_3110 Depth=1
	s_and_not1_saveexec_b32 s23, s9
; %bb.6754:                             ;   in Loop: Header=BB450_3110 Depth=1
	v_and_b32_e32 v37, 0xffff, v4
	v_or_b32_e32 v38, 0x10000, v4
	s_delay_alu instid0(VALU_DEP_2) | instskip(NEXT) | instid1(VALU_DEP_1)
	v_cmp_eq_u32_e64 s9, 0, v37
	v_cndmask_b32_e64 v106, v38, v4, s9
; %bb.6755:                             ;   in Loop: Header=BB450_3110 Depth=1
	s_or_b32 exec_lo, exec_lo, s23
	v_lshlrev_b32_e32 v4, 16, v5
                                        ; implicit-def: $vgpr107
	s_delay_alu instid0(VALU_DEP_1) | instskip(NEXT) | instid1(VALU_DEP_1)
	v_mul_f32_e32 v4, v162, v4
	v_and_b32_e32 v5, 0x7f800000, v4
	s_delay_alu instid0(VALU_DEP_1) | instskip(NEXT) | instid1(VALU_DEP_1)
	v_cmp_ne_u32_e64 s9, 0x7f800000, v5
	s_and_saveexec_b32 s23, s9
	s_delay_alu instid0(SALU_CYCLE_1)
	s_xor_b32 s9, exec_lo, s23
; %bb.6756:                             ;   in Loop: Header=BB450_3110 Depth=1
	v_bfe_u32 v5, v4, 16, 1
	s_delay_alu instid0(VALU_DEP_1)
	v_add3_u32 v107, v4, v5, 0x7fff
                                        ; implicit-def: $vgpr4
; %bb.6757:                             ;   in Loop: Header=BB450_3110 Depth=1
	s_and_not1_saveexec_b32 s23, s9
; %bb.6758:                             ;   in Loop: Header=BB450_3110 Depth=1
	v_and_b32_e32 v5, 0xffff, v4
	v_or_b32_e32 v37, 0x10000, v4
	s_delay_alu instid0(VALU_DEP_2) | instskip(NEXT) | instid1(VALU_DEP_1)
	v_cmp_eq_u32_e64 s9, 0, v5
	v_cndmask_b32_e64 v107, v37, v4, s9
; %bb.6759:                             ;   in Loop: Header=BB450_3110 Depth=1
	s_or_b32 exec_lo, exec_lo, s23
	v_lshlrev_b32_e32 v4, 16, v21
                                        ; implicit-def: $vgpr108
	s_delay_alu instid0(VALU_DEP_1) | instskip(NEXT) | instid1(VALU_DEP_1)
	v_mul_f32_e32 v4, v163, v4
	v_and_b32_e32 v5, 0x7f800000, v4
	s_delay_alu instid0(VALU_DEP_1) | instskip(NEXT) | instid1(VALU_DEP_1)
	v_cmp_ne_u32_e64 s9, 0x7f800000, v5
	s_and_saveexec_b32 s23, s9
	s_delay_alu instid0(SALU_CYCLE_1)
	s_xor_b32 s9, exec_lo, s23
; %bb.6760:                             ;   in Loop: Header=BB450_3110 Depth=1
	v_bfe_u32 v5, v4, 16, 1
	s_delay_alu instid0(VALU_DEP_1)
	v_add3_u32 v108, v4, v5, 0x7fff
                                        ; implicit-def: $vgpr4
; %bb.6761:                             ;   in Loop: Header=BB450_3110 Depth=1
	s_and_not1_saveexec_b32 s23, s9
; %bb.6762:                             ;   in Loop: Header=BB450_3110 Depth=1
	v_and_b32_e32 v5, 0xffff, v4
	v_or_b32_e32 v21, 0x10000, v4
	s_delay_alu instid0(VALU_DEP_2) | instskip(NEXT) | instid1(VALU_DEP_1)
	v_cmp_eq_u32_e64 s9, 0, v5
	v_cndmask_b32_e64 v108, v21, v4, s9
; %bb.6763:                             ;   in Loop: Header=BB450_3110 Depth=1
	s_or_b32 exec_lo, exec_lo, s23
	v_lshlrev_b32_e32 v4, 16, v12
                                        ; implicit-def: $vgpr109
	s_delay_alu instid0(VALU_DEP_1) | instskip(NEXT) | instid1(VALU_DEP_1)
	v_mul_f32_e32 v4, v164, v4
	v_and_b32_e32 v5, 0x7f800000, v4
	s_delay_alu instid0(VALU_DEP_1) | instskip(NEXT) | instid1(VALU_DEP_1)
	v_cmp_ne_u32_e64 s9, 0x7f800000, v5
	s_and_saveexec_b32 s23, s9
	s_delay_alu instid0(SALU_CYCLE_1)
	s_xor_b32 s9, exec_lo, s23
; %bb.6764:                             ;   in Loop: Header=BB450_3110 Depth=1
	v_bfe_u32 v5, v4, 16, 1
	s_delay_alu instid0(VALU_DEP_1)
	v_add3_u32 v109, v4, v5, 0x7fff
                                        ; implicit-def: $vgpr4
; %bb.6765:                             ;   in Loop: Header=BB450_3110 Depth=1
	s_and_not1_saveexec_b32 s23, s9
; %bb.6766:                             ;   in Loop: Header=BB450_3110 Depth=1
	v_and_b32_e32 v5, 0xffff, v4
	v_or_b32_e32 v12, 0x10000, v4
	s_delay_alu instid0(VALU_DEP_2) | instskip(NEXT) | instid1(VALU_DEP_1)
	v_cmp_eq_u32_e64 s9, 0, v5
	v_cndmask_b32_e64 v109, v12, v4, s9
; %bb.6767:                             ;   in Loop: Header=BB450_3110 Depth=1
	s_or_b32 exec_lo, exec_lo, s23
	v_lshlrev_b32_e32 v4, 16, v7
                                        ; implicit-def: $vgpr110
	s_delay_alu instid0(VALU_DEP_1) | instskip(NEXT) | instid1(VALU_DEP_1)
	v_mul_f32_e32 v4, v165, v4
	v_and_b32_e32 v5, 0x7f800000, v4
	s_delay_alu instid0(VALU_DEP_1) | instskip(NEXT) | instid1(VALU_DEP_1)
	v_cmp_ne_u32_e64 s9, 0x7f800000, v5
	s_and_saveexec_b32 s23, s9
	s_delay_alu instid0(SALU_CYCLE_1)
	s_xor_b32 s9, exec_lo, s23
; %bb.6768:                             ;   in Loop: Header=BB450_3110 Depth=1
	v_bfe_u32 v5, v4, 16, 1
	s_delay_alu instid0(VALU_DEP_1)
	v_add3_u32 v110, v4, v5, 0x7fff
                                        ; implicit-def: $vgpr4
; %bb.6769:                             ;   in Loop: Header=BB450_3110 Depth=1
	s_and_not1_saveexec_b32 s23, s9
; %bb.6770:                             ;   in Loop: Header=BB450_3110 Depth=1
	v_and_b32_e32 v5, 0xffff, v4
	v_or_b32_e32 v7, 0x10000, v4
	s_delay_alu instid0(VALU_DEP_2) | instskip(NEXT) | instid1(VALU_DEP_1)
	v_cmp_eq_u32_e64 s9, 0, v5
	v_cndmask_b32_e64 v110, v7, v4, s9
; %bb.6771:                             ;   in Loop: Header=BB450_3110 Depth=1
	s_or_b32 exec_lo, exec_lo, s23
	v_lshlrev_b32_e32 v4, 16, v6
                                        ; implicit-def: $vgpr111
	s_delay_alu instid0(VALU_DEP_1) | instskip(NEXT) | instid1(VALU_DEP_1)
	v_mul_f32_e32 v4, v166, v4
	v_and_b32_e32 v5, 0x7f800000, v4
	s_delay_alu instid0(VALU_DEP_1) | instskip(NEXT) | instid1(VALU_DEP_1)
	v_cmp_ne_u32_e64 s9, 0x7f800000, v5
	s_and_saveexec_b32 s23, s9
	s_delay_alu instid0(SALU_CYCLE_1)
	s_xor_b32 s9, exec_lo, s23
; %bb.6772:                             ;   in Loop: Header=BB450_3110 Depth=1
	v_bfe_u32 v5, v4, 16, 1
	s_delay_alu instid0(VALU_DEP_1)
	v_add3_u32 v111, v4, v5, 0x7fff
                                        ; implicit-def: $vgpr4
; %bb.6773:                             ;   in Loop: Header=BB450_3110 Depth=1
	s_and_not1_saveexec_b32 s23, s9
; %bb.6774:                             ;   in Loop: Header=BB450_3110 Depth=1
	v_and_b32_e32 v5, 0xffff, v4
	v_or_b32_e32 v6, 0x10000, v4
	s_delay_alu instid0(VALU_DEP_2) | instskip(NEXT) | instid1(VALU_DEP_1)
	v_cmp_eq_u32_e64 s9, 0, v5
	v_cndmask_b32_e64 v111, v6, v4, s9
; %bb.6775:                             ;   in Loop: Header=BB450_3110 Depth=1
	s_or_b32 exec_lo, exec_lo, s23
	v_lshlrev_b32_e32 v3, 16, v3
                                        ; implicit-def: $vgpr120
	s_delay_alu instid0(VALU_DEP_1) | instskip(NEXT) | instid1(VALU_DEP_1)
	v_mul_f32_e32 v3, v167, v3
	v_and_b32_e32 v4, 0x7f800000, v3
	s_delay_alu instid0(VALU_DEP_1) | instskip(NEXT) | instid1(VALU_DEP_1)
	v_cmp_ne_u32_e64 s9, 0x7f800000, v4
	s_and_saveexec_b32 s23, s9
	s_delay_alu instid0(SALU_CYCLE_1)
	s_xor_b32 s9, exec_lo, s23
; %bb.6776:                             ;   in Loop: Header=BB450_3110 Depth=1
	v_bfe_u32 v4, v3, 16, 1
	s_delay_alu instid0(VALU_DEP_1)
	v_add3_u32 v120, v3, v4, 0x7fff
                                        ; implicit-def: $vgpr3
; %bb.6777:                             ;   in Loop: Header=BB450_3110 Depth=1
	s_and_not1_saveexec_b32 s23, s9
; %bb.6778:                             ;   in Loop: Header=BB450_3110 Depth=1
	v_and_b32_e32 v4, 0xffff, v3
	v_or_b32_e32 v5, 0x10000, v3
	s_delay_alu instid0(VALU_DEP_2) | instskip(NEXT) | instid1(VALU_DEP_1)
	v_cmp_eq_u32_e64 s9, 0, v4
	v_cndmask_b32_e64 v120, v5, v3, s9
; %bb.6779:                             ;   in Loop: Header=BB450_3110 Depth=1
	s_or_b32 exec_lo, exec_lo, s23
	v_lshlrev_b32_e32 v2, 16, v2
                                        ; implicit-def: $vgpr121
	s_delay_alu instid0(VALU_DEP_1) | instskip(NEXT) | instid1(VALU_DEP_1)
	v_mul_f32_e32 v2, v176, v2
	v_and_b32_e32 v3, 0x7f800000, v2
	s_delay_alu instid0(VALU_DEP_1) | instskip(NEXT) | instid1(VALU_DEP_1)
	v_cmp_ne_u32_e64 s9, 0x7f800000, v3
	s_and_saveexec_b32 s23, s9
	s_delay_alu instid0(SALU_CYCLE_1)
	s_xor_b32 s9, exec_lo, s23
; %bb.6780:                             ;   in Loop: Header=BB450_3110 Depth=1
	v_bfe_u32 v3, v2, 16, 1
	s_delay_alu instid0(VALU_DEP_1)
	v_add3_u32 v121, v2, v3, 0x7fff
                                        ; implicit-def: $vgpr2
; %bb.6781:                             ;   in Loop: Header=BB450_3110 Depth=1
	s_and_not1_saveexec_b32 s23, s9
; %bb.6782:                             ;   in Loop: Header=BB450_3110 Depth=1
	v_and_b32_e32 v3, 0xffff, v2
	v_or_b32_e32 v4, 0x10000, v2
	s_delay_alu instid0(VALU_DEP_2) | instskip(NEXT) | instid1(VALU_DEP_1)
	v_cmp_eq_u32_e64 s9, 0, v3
	v_cndmask_b32_e64 v121, v4, v2, s9
; %bb.6783:                             ;   in Loop: Header=BB450_3110 Depth=1
	s_or_b32 exec_lo, exec_lo, s23
	scratch_load_b32 v2, off, s32 offset:928 ; 4-byte Folded Reload
	s_mov_b32 s23, exec_lo
	v_mov_b32_e32 v4, 0
	s_waitcnt vmcnt(0)
	v_add_co_u32 v2, s9, v0, v2
	s_delay_alu instid0(VALU_DEP_1) | instskip(SKIP_3) | instid1(VALU_DEP_1)
	v_add_co_ci_u32_e64 v3, s9, 0, v1, s9
	flat_load_b64 v[2:3], v[2:3]
	s_waitcnt vmcnt(0) lgkmcnt(0)
	v_and_b32_e32 v5, 0xff, v2
	v_cmpx_ne_u16_e32 0, v5
	s_cbranch_execz .LBB450_6791
; %bb.6784:                             ;   in Loop: Header=BB450_3110 Depth=1
	v_bfrev_b32_e32 v4, 1
	s_mov_b32 s24, exec_lo
	v_cmpx_ne_u16_e32 0x80, v5
	s_cbranch_execz .LBB450_6790
; %bb.6785:                             ;   in Loop: Header=BB450_3110 Depth=1
	v_and_b32_e32 v5, 0x7f, v2
	v_mov_b32_e32 v4, 0x7f800001
	s_mov_b32 s25, exec_lo
	s_delay_alu instid0(VALU_DEP_2)
	v_cmpx_ne_u32_e32 0x7f, v5
	s_cbranch_execz .LBB450_6789
; %bb.6786:                             ;   in Loop: Header=BB450_3110 Depth=1
	v_lshrrev_b32_e32 v4, 3, v5
	v_dual_mov_b32 v7, v3 :: v_dual_mov_b32 v6, v2
	s_mov_b32 s26, exec_lo
	v_cmpx_gt_u32_e32 8, v5
; %bb.6787:                             ;   in Loop: Header=BB450_3110 Depth=1
	v_and_b32_e32 v4, 7, v2
	s_delay_alu instid0(VALU_DEP_1) | instskip(NEXT) | instid1(VALU_DEP_1)
	v_clz_i32_u32_e32 v4, v4
	v_min_u32_e32 v4, 32, v4
	s_delay_alu instid0(VALU_DEP_1) | instskip(SKIP_1) | instid1(VALU_DEP_2)
	v_subrev_nc_u32_e32 v5, 28, v4
	v_sub_nc_u32_e32 v4, 29, v4
	v_lshlrev_b64 v[6:7], v5, v[2:3]
; %bb.6788:                             ;   in Loop: Header=BB450_3110 Depth=1
	s_or_b32 exec_lo, exec_lo, s26
	s_delay_alu instid0(VALU_DEP_1) | instskip(SKIP_2) | instid1(VALU_DEP_3)
	v_lshlrev_b32_e32 v5, 20, v6
	v_lshlrev_b32_e32 v6, 24, v2
	v_lshl_add_u32 v4, v4, 23, 0x3c000000
	v_and_b32_e32 v5, 0x700000, v5
	s_delay_alu instid0(VALU_DEP_3) | instskip(NEXT) | instid1(VALU_DEP_1)
	v_and_b32_e32 v6, 0x80000000, v6
	v_or3_b32 v4, v5, v6, v4
.LBB450_6789:                           ;   in Loop: Header=BB450_3110 Depth=1
	s_or_b32 exec_lo, exec_lo, s25
.LBB450_6790:                           ;   in Loop: Header=BB450_3110 Depth=1
	s_delay_alu instid0(SALU_CYCLE_1)
	s_or_b32 exec_lo, exec_lo, s24
.LBB450_6791:                           ;   in Loop: Header=BB450_3110 Depth=1
	s_delay_alu instid0(SALU_CYCLE_1) | instskip(NEXT) | instid1(VALU_DEP_1)
	s_or_b32 exec_lo, exec_lo, s23
	v_mul_f32_e32 v5, v160, v4
	s_delay_alu instid0(VALU_DEP_1) | instskip(NEXT) | instid1(VALU_DEP_1)
	v_and_b32_e32 v4, 0x7f800000, v5
	v_cmp_ne_u32_e64 s9, 0x7f800000, v4
                                        ; implicit-def: $vgpr4
	s_delay_alu instid0(VALU_DEP_1) | instskip(NEXT) | instid1(SALU_CYCLE_1)
	s_and_saveexec_b32 s23, s9
	s_xor_b32 s9, exec_lo, s23
; %bb.6792:                             ;   in Loop: Header=BB450_3110 Depth=1
	v_bfe_u32 v4, v5, 16, 1
	s_delay_alu instid0(VALU_DEP_1)
	v_add3_u32 v4, v5, v4, 0x7fff
                                        ; implicit-def: $vgpr5
; %bb.6793:                             ;   in Loop: Header=BB450_3110 Depth=1
	s_and_not1_saveexec_b32 s23, s9
; %bb.6794:                             ;   in Loop: Header=BB450_3110 Depth=1
	v_and_b32_e32 v4, 0xffff, v5
	v_or_b32_e32 v6, 0x10000, v5
	s_delay_alu instid0(VALU_DEP_2) | instskip(NEXT) | instid1(VALU_DEP_1)
	v_cmp_eq_u32_e64 s9, 0, v4
	v_cndmask_b32_e64 v4, v6, v5, s9
; %bb.6795:                             ;   in Loop: Header=BB450_3110 Depth=1
	s_or_b32 exec_lo, exec_lo, s23
	v_lshrrev_b16 v6, 8, v2
	v_mov_b32_e32 v5, 0
	s_mov_b32 s23, exec_lo
	s_delay_alu instid0(VALU_DEP_2)
	v_cmpx_ne_u16_e32 0, v6
	s_cbranch_execz .LBB450_6803
; %bb.6796:                             ;   in Loop: Header=BB450_3110 Depth=1
	v_bfrev_b32_e32 v5, 1
	s_mov_b32 s24, exec_lo
	v_cmpx_ne_u16_e32 0x80, v6
	s_cbranch_execz .LBB450_6802
; %bb.6797:                             ;   in Loop: Header=BB450_3110 Depth=1
	v_and_b32_e32 v6, 0xffff, v6
	v_mov_b32_e32 v5, 0x7f800001
	s_mov_b32 s25, exec_lo
	s_delay_alu instid0(VALU_DEP_2) | instskip(NEXT) | instid1(VALU_DEP_1)
	v_and_b32_e32 v21, 0x7f, v6
	v_cmpx_ne_u32_e32 0x7f, v21
	s_cbranch_execz .LBB450_6801
; %bb.6798:                             ;   in Loop: Header=BB450_3110 Depth=1
	v_and_b32_e32 v12, 7, v6
	v_lshrrev_b32_e32 v5, 3, v21
	s_mov_b32 s26, exec_lo
	s_delay_alu instid0(VALU_DEP_2)
	v_dual_mov_b32 v6, v12 :: v_dual_mov_b32 v7, v13
	v_cmpx_gt_u32_e32 8, v21
; %bb.6799:                             ;   in Loop: Header=BB450_3110 Depth=1
	v_clz_i32_u32_e32 v5, v12
	s_delay_alu instid0(VALU_DEP_1) | instskip(NEXT) | instid1(VALU_DEP_1)
	v_min_u32_e32 v5, 32, v5
	v_subrev_nc_u32_e32 v6, 28, v5
	v_sub_nc_u32_e32 v5, 29, v5
	s_delay_alu instid0(VALU_DEP_2) | instskip(NEXT) | instid1(VALU_DEP_1)
	v_lshlrev_b64 v[6:7], v6, v[12:13]
	v_and_b32_e32 v6, 7, v6
; %bb.6800:                             ;   in Loop: Header=BB450_3110 Depth=1
	s_or_b32 exec_lo, exec_lo, s26
	v_lshlrev_b32_e32 v7, 16, v2
	s_delay_alu instid0(VALU_DEP_2) | instskip(SKIP_1) | instid1(VALU_DEP_3)
	v_lshlrev_b32_e32 v6, 20, v6
	v_lshl_add_u32 v5, v5, 23, 0x3c000000
	v_and_b32_e32 v7, 0x80000000, v7
	s_delay_alu instid0(VALU_DEP_1)
	v_or3_b32 v5, v6, v7, v5
.LBB450_6801:                           ;   in Loop: Header=BB450_3110 Depth=1
	s_or_b32 exec_lo, exec_lo, s25
.LBB450_6802:                           ;   in Loop: Header=BB450_3110 Depth=1
	s_delay_alu instid0(SALU_CYCLE_1)
	s_or_b32 exec_lo, exec_lo, s24
.LBB450_6803:                           ;   in Loop: Header=BB450_3110 Depth=1
	s_delay_alu instid0(SALU_CYCLE_1) | instskip(NEXT) | instid1(VALU_DEP_1)
	s_or_b32 exec_lo, exec_lo, s23
	v_mul_f32_e32 v6, v160, v5
	s_delay_alu instid0(VALU_DEP_1) | instskip(NEXT) | instid1(VALU_DEP_1)
	v_and_b32_e32 v5, 0x7f800000, v6
	v_cmp_ne_u32_e64 s9, 0x7f800000, v5
                                        ; implicit-def: $vgpr5
	s_delay_alu instid0(VALU_DEP_1) | instskip(NEXT) | instid1(SALU_CYCLE_1)
	s_and_saveexec_b32 s23, s9
	s_xor_b32 s9, exec_lo, s23
; %bb.6804:                             ;   in Loop: Header=BB450_3110 Depth=1
	v_bfe_u32 v5, v6, 16, 1
	s_delay_alu instid0(VALU_DEP_1)
	v_add3_u32 v5, v6, v5, 0x7fff
                                        ; implicit-def: $vgpr6
; %bb.6805:                             ;   in Loop: Header=BB450_3110 Depth=1
	s_and_not1_saveexec_b32 s23, s9
; %bb.6806:                             ;   in Loop: Header=BB450_3110 Depth=1
	v_and_b32_e32 v5, 0xffff, v6
	v_or_b32_e32 v7, 0x10000, v6
	s_delay_alu instid0(VALU_DEP_2) | instskip(NEXT) | instid1(VALU_DEP_1)
	v_cmp_eq_u32_e64 s9, 0, v5
	v_cndmask_b32_e64 v5, v7, v6, s9
; %bb.6807:                             ;   in Loop: Header=BB450_3110 Depth=1
	s_or_b32 exec_lo, exec_lo, s23
	v_lshrrev_b32_e32 v21, 16, v2
	s_mov_b32 s23, exec_lo
	s_delay_alu instid0(VALU_DEP_1) | instskip(NEXT) | instid1(VALU_DEP_1)
	v_dual_mov_b32 v6, 0 :: v_dual_and_b32 v7, 0xff, v21
	v_cmpx_ne_u16_e32 0, v7
	s_cbranch_execz .LBB450_6815
; %bb.6808:                             ;   in Loop: Header=BB450_3110 Depth=1
	v_bfrev_b32_e32 v6, 1
	s_mov_b32 s24, exec_lo
	v_cmpx_ne_u16_e32 0x80, v7
	s_cbranch_execz .LBB450_6814
; %bb.6809:                             ;   in Loop: Header=BB450_3110 Depth=1
	v_bfe_u32 v37, v2, 16, 7
	v_mov_b32_e32 v6, 0x7f800001
	s_mov_b32 s25, exec_lo
	s_delay_alu instid0(VALU_DEP_2)
	v_cmpx_ne_u32_e32 0x7f, v37
	s_cbranch_execz .LBB450_6813
; %bb.6810:                             ;   in Loop: Header=BB450_3110 Depth=1
	v_and_b32_e32 v12, 7, v21
	s_mov_b32 s26, exec_lo
	s_delay_alu instid0(VALU_DEP_1)
	v_dual_mov_b32 v6, v12 :: v_dual_mov_b32 v7, v13
	v_lshrrev_b32_e32 v7, 3, v37
	v_cmpx_gt_u32_e32 8, v37
; %bb.6811:                             ;   in Loop: Header=BB450_3110 Depth=1
	v_clz_i32_u32_e32 v6, v12
	s_delay_alu instid0(VALU_DEP_1) | instskip(NEXT) | instid1(VALU_DEP_1)
	v_min_u32_e32 v37, 32, v6
	v_subrev_nc_u32_e32 v6, 28, v37
	s_delay_alu instid0(VALU_DEP_1) | instskip(SKIP_1) | instid1(VALU_DEP_2)
	v_lshlrev_b64 v[6:7], v6, v[12:13]
	v_sub_nc_u32_e32 v7, 29, v37
	v_and_b32_e32 v6, 7, v6
; %bb.6812:                             ;   in Loop: Header=BB450_3110 Depth=1
	s_or_b32 exec_lo, exec_lo, s26
	v_lshlrev_b32_e32 v12, 24, v21
	s_delay_alu instid0(VALU_DEP_2) | instskip(SKIP_1) | instid1(VALU_DEP_3)
	v_lshlrev_b32_e32 v6, 20, v6
	v_lshl_add_u32 v7, v7, 23, 0x3c000000
	v_and_b32_e32 v12, 0x80000000, v12
	s_delay_alu instid0(VALU_DEP_1)
	v_or3_b32 v6, v6, v12, v7
.LBB450_6813:                           ;   in Loop: Header=BB450_3110 Depth=1
	s_or_b32 exec_lo, exec_lo, s25
.LBB450_6814:                           ;   in Loop: Header=BB450_3110 Depth=1
	s_delay_alu instid0(SALU_CYCLE_1)
	s_or_b32 exec_lo, exec_lo, s24
.LBB450_6815:                           ;   in Loop: Header=BB450_3110 Depth=1
	s_delay_alu instid0(SALU_CYCLE_1) | instskip(NEXT) | instid1(VALU_DEP_1)
	s_or_b32 exec_lo, exec_lo, s23
	v_mul_f32_e32 v6, v160, v6
                                        ; implicit-def: $vgpr21
	s_delay_alu instid0(VALU_DEP_1) | instskip(NEXT) | instid1(VALU_DEP_1)
	v_and_b32_e32 v7, 0x7f800000, v6
	v_cmp_ne_u32_e64 s9, 0x7f800000, v7
	s_delay_alu instid0(VALU_DEP_1) | instskip(NEXT) | instid1(SALU_CYCLE_1)
	s_and_saveexec_b32 s23, s9
	s_xor_b32 s9, exec_lo, s23
; %bb.6816:                             ;   in Loop: Header=BB450_3110 Depth=1
	v_bfe_u32 v7, v6, 16, 1
	s_delay_alu instid0(VALU_DEP_1)
	v_add3_u32 v21, v6, v7, 0x7fff
                                        ; implicit-def: $vgpr6
; %bb.6817:                             ;   in Loop: Header=BB450_3110 Depth=1
	s_and_not1_saveexec_b32 s23, s9
; %bb.6818:                             ;   in Loop: Header=BB450_3110 Depth=1
	v_and_b32_e32 v7, 0xffff, v6
	v_or_b32_e32 v12, 0x10000, v6
	s_delay_alu instid0(VALU_DEP_2) | instskip(NEXT) | instid1(VALU_DEP_1)
	v_cmp_eq_u32_e64 s9, 0, v7
	v_cndmask_b32_e64 v21, v12, v6, s9
; %bb.6819:                             ;   in Loop: Header=BB450_3110 Depth=1
	s_or_b32 exec_lo, exec_lo, s23
	v_mov_b32_e32 v6, 0
	s_mov_b32 s23, exec_lo
	v_cmpx_lt_u32_e32 0xffffff, v2
	s_cbranch_execz .LBB450_6827
; %bb.6820:                             ;   in Loop: Header=BB450_3110 Depth=1
	v_lshrrev_b32_e32 v37, 24, v2
	v_bfrev_b32_e32 v6, 1
	s_mov_b32 s24, exec_lo
	s_delay_alu instid0(VALU_DEP_2)
	v_cmpx_ne_u32_e32 0x80, v37
	s_cbranch_execz .LBB450_6826
; %bb.6821:                             ;   in Loop: Header=BB450_3110 Depth=1
	v_bfe_u32 v38, v2, 24, 7
	v_mov_b32_e32 v6, 0x7f800001
	s_mov_b32 s25, exec_lo
	s_delay_alu instid0(VALU_DEP_2)
	v_cmpx_ne_u32_e32 0x7f, v38
	s_cbranch_execz .LBB450_6825
; %bb.6822:                             ;   in Loop: Header=BB450_3110 Depth=1
	v_and_b32_e32 v12, 7, v37
	s_mov_b32 s26, exec_lo
	s_delay_alu instid0(VALU_DEP_1)
	v_dual_mov_b32 v6, v12 :: v_dual_mov_b32 v7, v13
	v_lshrrev_b32_e32 v7, 3, v38
	v_cmpx_gt_u32_e32 8, v38
; %bb.6823:                             ;   in Loop: Header=BB450_3110 Depth=1
	v_clz_i32_u32_e32 v6, v12
	s_delay_alu instid0(VALU_DEP_1) | instskip(NEXT) | instid1(VALU_DEP_1)
	v_min_u32_e32 v38, 32, v6
	v_subrev_nc_u32_e32 v6, 28, v38
	s_delay_alu instid0(VALU_DEP_1) | instskip(SKIP_1) | instid1(VALU_DEP_2)
	v_lshlrev_b64 v[6:7], v6, v[12:13]
	v_sub_nc_u32_e32 v7, 29, v38
	v_and_b32_e32 v6, 7, v6
; %bb.6824:                             ;   in Loop: Header=BB450_3110 Depth=1
	s_or_b32 exec_lo, exec_lo, s26
	v_lshlrev_b32_e32 v12, 24, v37
	s_delay_alu instid0(VALU_DEP_2) | instskip(SKIP_1) | instid1(VALU_DEP_3)
	v_lshlrev_b32_e32 v6, 20, v6
	v_lshl_add_u32 v7, v7, 23, 0x3c000000
	v_and_b32_e32 v12, 0x80000000, v12
	s_delay_alu instid0(VALU_DEP_1)
	v_or3_b32 v6, v6, v12, v7
.LBB450_6825:                           ;   in Loop: Header=BB450_3110 Depth=1
	s_or_b32 exec_lo, exec_lo, s25
.LBB450_6826:                           ;   in Loop: Header=BB450_3110 Depth=1
	s_delay_alu instid0(SALU_CYCLE_1)
	s_or_b32 exec_lo, exec_lo, s24
.LBB450_6827:                           ;   in Loop: Header=BB450_3110 Depth=1
	s_delay_alu instid0(SALU_CYCLE_1) | instskip(NEXT) | instid1(VALU_DEP_1)
	s_or_b32 exec_lo, exec_lo, s23
	v_mul_f32_e32 v6, v160, v6
                                        ; implicit-def: $vgpr37
	s_delay_alu instid0(VALU_DEP_1) | instskip(NEXT) | instid1(VALU_DEP_1)
	v_and_b32_e32 v7, 0x7f800000, v6
	v_cmp_ne_u32_e64 s9, 0x7f800000, v7
	s_delay_alu instid0(VALU_DEP_1) | instskip(NEXT) | instid1(SALU_CYCLE_1)
	s_and_saveexec_b32 s23, s9
	s_xor_b32 s9, exec_lo, s23
; %bb.6828:                             ;   in Loop: Header=BB450_3110 Depth=1
	v_bfe_u32 v7, v6, 16, 1
	s_delay_alu instid0(VALU_DEP_1)
	v_add3_u32 v37, v6, v7, 0x7fff
                                        ; implicit-def: $vgpr6
; %bb.6829:                             ;   in Loop: Header=BB450_3110 Depth=1
	s_and_not1_saveexec_b32 s23, s9
; %bb.6830:                             ;   in Loop: Header=BB450_3110 Depth=1
	v_and_b32_e32 v7, 0xffff, v6
	v_or_b32_e32 v12, 0x10000, v6
	s_delay_alu instid0(VALU_DEP_2) | instskip(NEXT) | instid1(VALU_DEP_1)
	v_cmp_eq_u32_e64 s9, 0, v7
	v_cndmask_b32_e64 v37, v12, v6, s9
; %bb.6831:                             ;   in Loop: Header=BB450_3110 Depth=1
	s_or_b32 exec_lo, exec_lo, s23
	v_dual_mov_b32 v12, v3 :: v_dual_and_b32 v7, 0xff, v3
	v_mov_b32_e32 v6, 0
	s_mov_b32 s23, exec_lo
	s_delay_alu instid0(VALU_DEP_2)
	v_cmpx_ne_u16_e32 0, v7
	s_cbranch_execz .LBB450_6839
; %bb.6832:                             ;   in Loop: Header=BB450_3110 Depth=1
	v_bfrev_b32_e32 v6, 1
	s_mov_b32 s24, exec_lo
	v_cmpx_ne_u16_e32 0x80, v7
	s_cbranch_execz .LBB450_6838
; %bb.6833:                             ;   in Loop: Header=BB450_3110 Depth=1
	v_and_b32_e32 v38, 0x7f, v3
	v_mov_b32_e32 v6, 0x7f800001
	s_mov_b32 s25, exec_lo
	s_delay_alu instid0(VALU_DEP_2)
	v_cmpx_ne_u32_e32 0x7f, v38
	s_cbranch_execz .LBB450_6837
; %bb.6834:                             ;   in Loop: Header=BB450_3110 Depth=1
	v_dual_mov_b32 v6, v12 :: v_dual_mov_b32 v7, v13
	v_lshrrev_b32_e32 v7, 3, v38
	s_mov_b32 s26, exec_lo
	v_cmpx_gt_u32_e32 8, v38
; %bb.6835:                             ;   in Loop: Header=BB450_3110 Depth=1
	v_and_b32_e32 v6, 7, v3
	s_delay_alu instid0(VALU_DEP_1) | instskip(NEXT) | instid1(VALU_DEP_1)
	v_clz_i32_u32_e32 v6, v6
	v_min_u32_e32 v38, 32, v6
	s_delay_alu instid0(VALU_DEP_1) | instskip(NEXT) | instid1(VALU_DEP_1)
	v_subrev_nc_u32_e32 v6, 28, v38
	v_lshlrev_b64 v[6:7], v6, v[12:13]
	v_sub_nc_u32_e32 v7, 29, v38
; %bb.6836:                             ;   in Loop: Header=BB450_3110 Depth=1
	s_or_b32 exec_lo, exec_lo, s26
	s_delay_alu instid0(VALU_DEP_2) | instskip(SKIP_1) | instid1(VALU_DEP_3)
	v_lshlrev_b32_e32 v6, 20, v6
	v_lshlrev_b32_e32 v38, 24, v12
	v_lshl_add_u32 v7, v7, 23, 0x3c000000
	s_delay_alu instid0(VALU_DEP_3) | instskip(NEXT) | instid1(VALU_DEP_3)
	v_and_b32_e32 v6, 0x700000, v6
	v_and_b32_e32 v38, 0x80000000, v38
	s_delay_alu instid0(VALU_DEP_1)
	v_or3_b32 v6, v6, v38, v7
.LBB450_6837:                           ;   in Loop: Header=BB450_3110 Depth=1
	s_or_b32 exec_lo, exec_lo, s25
.LBB450_6838:                           ;   in Loop: Header=BB450_3110 Depth=1
	s_delay_alu instid0(SALU_CYCLE_1)
	s_or_b32 exec_lo, exec_lo, s24
.LBB450_6839:                           ;   in Loop: Header=BB450_3110 Depth=1
	s_delay_alu instid0(SALU_CYCLE_1) | instskip(NEXT) | instid1(VALU_DEP_1)
	s_or_b32 exec_lo, exec_lo, s23
	v_mul_f32_e32 v6, v160, v6
                                        ; implicit-def: $vgpr38
	s_delay_alu instid0(VALU_DEP_1) | instskip(NEXT) | instid1(VALU_DEP_1)
	v_and_b32_e32 v7, 0x7f800000, v6
	v_cmp_ne_u32_e64 s9, 0x7f800000, v7
	s_delay_alu instid0(VALU_DEP_1) | instskip(NEXT) | instid1(SALU_CYCLE_1)
	s_and_saveexec_b32 s23, s9
	s_xor_b32 s9, exec_lo, s23
; %bb.6840:                             ;   in Loop: Header=BB450_3110 Depth=1
	v_bfe_u32 v7, v6, 16, 1
	s_delay_alu instid0(VALU_DEP_1)
	v_add3_u32 v38, v6, v7, 0x7fff
                                        ; implicit-def: $vgpr6
; %bb.6841:                             ;   in Loop: Header=BB450_3110 Depth=1
	s_and_not1_saveexec_b32 s23, s9
; %bb.6842:                             ;   in Loop: Header=BB450_3110 Depth=1
	v_and_b32_e32 v7, 0xffff, v6
	v_or_b32_e32 v38, 0x10000, v6
	s_delay_alu instid0(VALU_DEP_2) | instskip(NEXT) | instid1(VALU_DEP_1)
	v_cmp_eq_u32_e64 s9, 0, v7
	v_cndmask_b32_e64 v38, v38, v6, s9
; %bb.6843:                             ;   in Loop: Header=BB450_3110 Depth=1
	s_or_b32 exec_lo, exec_lo, s23
	v_lshrrev_b16 v7, 8, v12
	v_mov_b32_e32 v6, 0
	s_mov_b32 s23, exec_lo
	s_delay_alu instid0(VALU_DEP_2)
	v_cmpx_ne_u16_e32 0, v7
	s_cbranch_execz .LBB450_6851
; %bb.6844:                             ;   in Loop: Header=BB450_3110 Depth=1
	v_bfrev_b32_e32 v6, 1
	s_mov_b32 s24, exec_lo
	v_cmpx_ne_u16_e32 0x80, v7
	s_cbranch_execz .LBB450_6850
; %bb.6845:                             ;   in Loop: Header=BB450_3110 Depth=1
	v_and_b32_e32 v7, 0xffff, v7
	v_mov_b32_e32 v6, 0x7f800001
	s_mov_b32 s25, exec_lo
	s_delay_alu instid0(VALU_DEP_2) | instskip(NEXT) | instid1(VALU_DEP_1)
	v_and_b32_e32 v123, 0x7f, v7
	v_cmpx_ne_u32_e32 0x7f, v123
	s_cbranch_execz .LBB450_6849
; %bb.6846:                             ;   in Loop: Header=BB450_3110 Depth=1
	v_dual_mov_b32 v7, v13 :: v_dual_and_b32 v6, 7, v7
	v_lshrrev_b32_e32 v122, 3, v123
	s_mov_b32 s26, exec_lo
	v_cmpx_gt_u32_e32 8, v123
; %bb.6847:                             ;   in Loop: Header=BB450_3110 Depth=1
	s_delay_alu instid0(VALU_DEP_3) | instskip(NEXT) | instid1(VALU_DEP_1)
	v_clz_i32_u32_e32 v122, v6
	v_min_u32_e32 v122, 32, v122
	s_delay_alu instid0(VALU_DEP_1) | instskip(SKIP_1) | instid1(VALU_DEP_2)
	v_subrev_nc_u32_e32 v123, 28, v122
	v_sub_nc_u32_e32 v122, 29, v122
	v_lshlrev_b64 v[6:7], v123, v[6:7]
	s_delay_alu instid0(VALU_DEP_1)
	v_and_b32_e32 v6, 7, v6
; %bb.6848:                             ;   in Loop: Header=BB450_3110 Depth=1
	s_or_b32 exec_lo, exec_lo, s26
	v_lshlrev_b32_e32 v7, 16, v12
	s_delay_alu instid0(VALU_DEP_2) | instskip(SKIP_1) | instid1(VALU_DEP_3)
	v_lshlrev_b32_e32 v6, 20, v6
	v_lshl_add_u32 v12, v122, 23, 0x3c000000
	v_and_b32_e32 v7, 0x80000000, v7
	s_delay_alu instid0(VALU_DEP_1)
	v_or3_b32 v6, v6, v7, v12
.LBB450_6849:                           ;   in Loop: Header=BB450_3110 Depth=1
	s_or_b32 exec_lo, exec_lo, s25
.LBB450_6850:                           ;   in Loop: Header=BB450_3110 Depth=1
	s_delay_alu instid0(SALU_CYCLE_1)
	s_or_b32 exec_lo, exec_lo, s24
.LBB450_6851:                           ;   in Loop: Header=BB450_3110 Depth=1
	s_delay_alu instid0(SALU_CYCLE_1) | instskip(NEXT) | instid1(VALU_DEP_1)
	s_or_b32 exec_lo, exec_lo, s23
	v_mul_f32_e32 v6, v160, v6
                                        ; implicit-def: $vgpr122
	s_delay_alu instid0(VALU_DEP_1) | instskip(NEXT) | instid1(VALU_DEP_1)
	v_and_b32_e32 v7, 0x7f800000, v6
	v_cmp_ne_u32_e64 s9, 0x7f800000, v7
	s_delay_alu instid0(VALU_DEP_1) | instskip(NEXT) | instid1(SALU_CYCLE_1)
	s_and_saveexec_b32 s23, s9
	s_xor_b32 s9, exec_lo, s23
; %bb.6852:                             ;   in Loop: Header=BB450_3110 Depth=1
	v_bfe_u32 v7, v6, 16, 1
	s_delay_alu instid0(VALU_DEP_1)
	v_add3_u32 v122, v6, v7, 0x7fff
                                        ; implicit-def: $vgpr6
; %bb.6853:                             ;   in Loop: Header=BB450_3110 Depth=1
	s_and_not1_saveexec_b32 s23, s9
; %bb.6854:                             ;   in Loop: Header=BB450_3110 Depth=1
	v_and_b32_e32 v7, 0xffff, v6
	v_or_b32_e32 v12, 0x10000, v6
	s_delay_alu instid0(VALU_DEP_2) | instskip(NEXT) | instid1(VALU_DEP_1)
	v_cmp_eq_u32_e64 s9, 0, v7
	v_cndmask_b32_e64 v122, v12, v6, s9
; %bb.6855:                             ;   in Loop: Header=BB450_3110 Depth=1
	s_or_b32 exec_lo, exec_lo, s23
	v_lshrrev_b32_e32 v123, 16, v3
	s_mov_b32 s23, exec_lo
	s_delay_alu instid0(VALU_DEP_1) | instskip(NEXT) | instid1(VALU_DEP_1)
	v_dual_mov_b32 v6, 0 :: v_dual_and_b32 v7, 0xff, v123
	v_cmpx_ne_u16_e32 0, v7
	s_cbranch_execz .LBB450_6863
; %bb.6856:                             ;   in Loop: Header=BB450_3110 Depth=1
	v_bfrev_b32_e32 v6, 1
	s_mov_b32 s24, exec_lo
	v_cmpx_ne_u16_e32 0x80, v7
	s_cbranch_execz .LBB450_6862
; %bb.6857:                             ;   in Loop: Header=BB450_3110 Depth=1
	v_bfe_u32 v124, v3, 16, 7
	v_mov_b32_e32 v6, 0x7f800001
	s_mov_b32 s25, exec_lo
	s_delay_alu instid0(VALU_DEP_2)
	v_cmpx_ne_u32_e32 0x7f, v124
	s_cbranch_execz .LBB450_6861
; %bb.6858:                             ;   in Loop: Header=BB450_3110 Depth=1
	v_and_b32_e32 v12, 7, v123
	s_mov_b32 s26, exec_lo
	s_delay_alu instid0(VALU_DEP_1)
	v_dual_mov_b32 v6, v12 :: v_dual_mov_b32 v7, v13
	v_lshrrev_b32_e32 v7, 3, v124
	v_cmpx_gt_u32_e32 8, v124
; %bb.6859:                             ;   in Loop: Header=BB450_3110 Depth=1
	v_clz_i32_u32_e32 v6, v12
	s_delay_alu instid0(VALU_DEP_1) | instskip(NEXT) | instid1(VALU_DEP_1)
	v_min_u32_e32 v124, 32, v6
	v_subrev_nc_u32_e32 v6, 28, v124
	s_delay_alu instid0(VALU_DEP_1) | instskip(SKIP_1) | instid1(VALU_DEP_2)
	v_lshlrev_b64 v[6:7], v6, v[12:13]
	v_sub_nc_u32_e32 v7, 29, v124
	v_and_b32_e32 v6, 7, v6
; %bb.6860:                             ;   in Loop: Header=BB450_3110 Depth=1
	s_or_b32 exec_lo, exec_lo, s26
	v_lshlrev_b32_e32 v12, 24, v123
	s_delay_alu instid0(VALU_DEP_2) | instskip(SKIP_1) | instid1(VALU_DEP_3)
	v_lshlrev_b32_e32 v6, 20, v6
	v_lshl_add_u32 v7, v7, 23, 0x3c000000
	v_and_b32_e32 v12, 0x80000000, v12
	s_delay_alu instid0(VALU_DEP_1)
	v_or3_b32 v6, v6, v12, v7
.LBB450_6861:                           ;   in Loop: Header=BB450_3110 Depth=1
	s_or_b32 exec_lo, exec_lo, s25
.LBB450_6862:                           ;   in Loop: Header=BB450_3110 Depth=1
	s_delay_alu instid0(SALU_CYCLE_1)
	s_or_b32 exec_lo, exec_lo, s24
.LBB450_6863:                           ;   in Loop: Header=BB450_3110 Depth=1
	s_delay_alu instid0(SALU_CYCLE_1) | instskip(NEXT) | instid1(VALU_DEP_1)
	s_or_b32 exec_lo, exec_lo, s23
	v_mul_f32_e32 v6, v160, v6
                                        ; implicit-def: $vgpr123
	s_delay_alu instid0(VALU_DEP_1) | instskip(NEXT) | instid1(VALU_DEP_1)
	v_and_b32_e32 v7, 0x7f800000, v6
	v_cmp_ne_u32_e64 s9, 0x7f800000, v7
	s_delay_alu instid0(VALU_DEP_1) | instskip(NEXT) | instid1(SALU_CYCLE_1)
	s_and_saveexec_b32 s23, s9
	s_xor_b32 s9, exec_lo, s23
; %bb.6864:                             ;   in Loop: Header=BB450_3110 Depth=1
	v_bfe_u32 v7, v6, 16, 1
	s_delay_alu instid0(VALU_DEP_1)
	v_add3_u32 v123, v6, v7, 0x7fff
                                        ; implicit-def: $vgpr6
; %bb.6865:                             ;   in Loop: Header=BB450_3110 Depth=1
	s_and_not1_saveexec_b32 s23, s9
; %bb.6866:                             ;   in Loop: Header=BB450_3110 Depth=1
	v_and_b32_e32 v7, 0xffff, v6
	v_or_b32_e32 v12, 0x10000, v6
	s_delay_alu instid0(VALU_DEP_2) | instskip(NEXT) | instid1(VALU_DEP_1)
	v_cmp_eq_u32_e64 s9, 0, v7
	v_cndmask_b32_e64 v123, v12, v6, s9
; %bb.6867:                             ;   in Loop: Header=BB450_3110 Depth=1
	s_or_b32 exec_lo, exec_lo, s23
	v_cmp_lt_u64_e64 s9, s[18:19], v[2:3]
	v_mov_b32_e32 v2, 0
	s_delay_alu instid0(VALU_DEP_2)
	s_and_saveexec_b32 s23, s9
	s_cbranch_execz .LBB450_6875
; %bb.6868:                             ;   in Loop: Header=BB450_3110 Depth=1
	v_lshrrev_b32_e32 v6, 24, v3
	v_bfrev_b32_e32 v2, 1
	s_mov_b32 s24, exec_lo
	s_delay_alu instid0(VALU_DEP_2)
	v_cmpx_ne_u32_e32 0x80, v6
	s_cbranch_execz .LBB450_6874
; %bb.6869:                             ;   in Loop: Header=BB450_3110 Depth=1
	v_bfe_u32 v7, v3, 24, 7
	v_mov_b32_e32 v2, 0x7f800001
	s_mov_b32 s25, exec_lo
	s_delay_alu instid0(VALU_DEP_2)
	v_cmpx_ne_u32_e32 0x7f, v7
	s_cbranch_execz .LBB450_6873
; %bb.6870:                             ;   in Loop: Header=BB450_3110 Depth=1
	v_and_b32_e32 v12, 7, v6
	s_mov_b32 s26, exec_lo
	s_delay_alu instid0(VALU_DEP_1)
	v_dual_mov_b32 v2, v12 :: v_dual_mov_b32 v3, v13
	v_lshrrev_b32_e32 v3, 3, v7
	v_cmpx_gt_u32_e32 8, v7
; %bb.6871:                             ;   in Loop: Header=BB450_3110 Depth=1
	v_clz_i32_u32_e32 v2, v12
	s_delay_alu instid0(VALU_DEP_1) | instskip(NEXT) | instid1(VALU_DEP_1)
	v_min_u32_e32 v7, 32, v2
	v_subrev_nc_u32_e32 v2, 28, v7
	s_delay_alu instid0(VALU_DEP_1) | instskip(SKIP_1) | instid1(VALU_DEP_2)
	v_lshlrev_b64 v[2:3], v2, v[12:13]
	v_sub_nc_u32_e32 v3, 29, v7
	v_and_b32_e32 v2, 7, v2
; %bb.6872:                             ;   in Loop: Header=BB450_3110 Depth=1
	s_or_b32 exec_lo, exec_lo, s26
	v_lshlrev_b32_e32 v6, 24, v6
	s_delay_alu instid0(VALU_DEP_2) | instskip(SKIP_1) | instid1(VALU_DEP_3)
	v_lshlrev_b32_e32 v2, 20, v2
	v_lshl_add_u32 v3, v3, 23, 0x3c000000
	v_and_b32_e32 v6, 0x80000000, v6
	s_delay_alu instid0(VALU_DEP_1)
	v_or3_b32 v2, v2, v6, v3
.LBB450_6873:                           ;   in Loop: Header=BB450_3110 Depth=1
	s_or_b32 exec_lo, exec_lo, s25
.LBB450_6874:                           ;   in Loop: Header=BB450_3110 Depth=1
	s_delay_alu instid0(SALU_CYCLE_1)
	s_or_b32 exec_lo, exec_lo, s24
.LBB450_6875:                           ;   in Loop: Header=BB450_3110 Depth=1
	s_delay_alu instid0(SALU_CYCLE_1) | instskip(NEXT) | instid1(VALU_DEP_1)
	s_or_b32 exec_lo, exec_lo, s23
	v_mul_f32_e32 v3, v160, v2
	s_delay_alu instid0(VALU_DEP_1) | instskip(NEXT) | instid1(VALU_DEP_1)
	v_and_b32_e32 v2, 0x7f800000, v3
	v_cmp_ne_u32_e64 s9, 0x7f800000, v2
                                        ; implicit-def: $vgpr2
	s_delay_alu instid0(VALU_DEP_1) | instskip(NEXT) | instid1(SALU_CYCLE_1)
	s_and_saveexec_b32 s23, s9
	s_xor_b32 s9, exec_lo, s23
; %bb.6876:                             ;   in Loop: Header=BB450_3110 Depth=1
	v_bfe_u32 v2, v3, 16, 1
	s_delay_alu instid0(VALU_DEP_1)
	v_add3_u32 v2, v3, v2, 0x7fff
                                        ; implicit-def: $vgpr3
; %bb.6877:                             ;   in Loop: Header=BB450_3110 Depth=1
	s_and_not1_saveexec_b32 s23, s9
; %bb.6878:                             ;   in Loop: Header=BB450_3110 Depth=1
	v_and_b32_e32 v2, 0xffff, v3
	v_or_b32_e32 v6, 0x10000, v3
	s_delay_alu instid0(VALU_DEP_2) | instskip(NEXT) | instid1(VALU_DEP_1)
	v_cmp_eq_u32_e64 s9, 0, v2
	v_cndmask_b32_e64 v2, v6, v3, s9
; %bb.6879:                             ;   in Loop: Header=BB450_3110 Depth=1
	s_or_b32 exec_lo, exec_lo, s23
	v_lshrrev_b32_e32 v6, 16, v122
	v_lshrrev_b32_e32 v7, 16, v38
	;; [unrolled: 1-line block ×8, first 2 shown]
	s_and_saveexec_b32 s9, s1
; %bb.6880:                             ;   in Loop: Header=BB450_3110 Depth=1
	s_delay_alu instid0(VALU_DEP_3)
	v_cndmask_b32_e32 v4, 0, v4, vcc_lo
	v_cndmask_b32_e64 v5, 0, v5, s2
	v_cndmask_b32_e64 v21, 0, v21, s3
	;; [unrolled: 1-line block ×7, first 2 shown]
; %bb.6881:                             ;   in Loop: Header=BB450_3110 Depth=1
	s_or_b32 exec_lo, exec_lo, s9
	v_lshlrev_b32_e32 v4, 16, v4
                                        ; implicit-def: $vgpr122
	s_delay_alu instid0(VALU_DEP_1) | instskip(NEXT) | instid1(VALU_DEP_1)
	v_mul_f32_e32 v4, v161, v4
	v_and_b32_e32 v37, 0x7f800000, v4
	s_delay_alu instid0(VALU_DEP_1) | instskip(NEXT) | instid1(VALU_DEP_1)
	v_cmp_ne_u32_e64 s9, 0x7f800000, v37
	s_and_saveexec_b32 s23, s9
	s_delay_alu instid0(SALU_CYCLE_1)
	s_xor_b32 s9, exec_lo, s23
; %bb.6882:                             ;   in Loop: Header=BB450_3110 Depth=1
	v_bfe_u32 v37, v4, 16, 1
	s_delay_alu instid0(VALU_DEP_1)
	v_add3_u32 v122, v4, v37, 0x7fff
                                        ; implicit-def: $vgpr4
; %bb.6883:                             ;   in Loop: Header=BB450_3110 Depth=1
	s_and_not1_saveexec_b32 s23, s9
; %bb.6884:                             ;   in Loop: Header=BB450_3110 Depth=1
	v_and_b32_e32 v37, 0xffff, v4
	v_or_b32_e32 v38, 0x10000, v4
	s_delay_alu instid0(VALU_DEP_2) | instskip(NEXT) | instid1(VALU_DEP_1)
	v_cmp_eq_u32_e64 s9, 0, v37
	v_cndmask_b32_e64 v122, v38, v4, s9
; %bb.6885:                             ;   in Loop: Header=BB450_3110 Depth=1
	s_or_b32 exec_lo, exec_lo, s23
	v_lshlrev_b32_e32 v4, 16, v5
                                        ; implicit-def: $vgpr123
	s_delay_alu instid0(VALU_DEP_1) | instskip(NEXT) | instid1(VALU_DEP_1)
	v_mul_f32_e32 v4, v162, v4
	v_and_b32_e32 v5, 0x7f800000, v4
	s_delay_alu instid0(VALU_DEP_1) | instskip(NEXT) | instid1(VALU_DEP_1)
	v_cmp_ne_u32_e64 s9, 0x7f800000, v5
	s_and_saveexec_b32 s23, s9
	s_delay_alu instid0(SALU_CYCLE_1)
	s_xor_b32 s9, exec_lo, s23
; %bb.6886:                             ;   in Loop: Header=BB450_3110 Depth=1
	v_bfe_u32 v5, v4, 16, 1
	s_delay_alu instid0(VALU_DEP_1)
	v_add3_u32 v123, v4, v5, 0x7fff
                                        ; implicit-def: $vgpr4
; %bb.6887:                             ;   in Loop: Header=BB450_3110 Depth=1
	s_and_not1_saveexec_b32 s23, s9
; %bb.6888:                             ;   in Loop: Header=BB450_3110 Depth=1
	v_and_b32_e32 v5, 0xffff, v4
	v_or_b32_e32 v37, 0x10000, v4
	s_delay_alu instid0(VALU_DEP_2) | instskip(NEXT) | instid1(VALU_DEP_1)
	v_cmp_eq_u32_e64 s9, 0, v5
	v_cndmask_b32_e64 v123, v37, v4, s9
; %bb.6889:                             ;   in Loop: Header=BB450_3110 Depth=1
	s_or_b32 exec_lo, exec_lo, s23
	v_lshlrev_b32_e32 v4, 16, v21
                                        ; implicit-def: $vgpr124
	s_delay_alu instid0(VALU_DEP_1) | instskip(NEXT) | instid1(VALU_DEP_1)
	v_mul_f32_e32 v4, v163, v4
	v_and_b32_e32 v5, 0x7f800000, v4
	s_delay_alu instid0(VALU_DEP_1) | instskip(NEXT) | instid1(VALU_DEP_1)
	v_cmp_ne_u32_e64 s9, 0x7f800000, v5
	s_and_saveexec_b32 s23, s9
	s_delay_alu instid0(SALU_CYCLE_1)
	s_xor_b32 s9, exec_lo, s23
; %bb.6890:                             ;   in Loop: Header=BB450_3110 Depth=1
	v_bfe_u32 v5, v4, 16, 1
	s_delay_alu instid0(VALU_DEP_1)
	v_add3_u32 v124, v4, v5, 0x7fff
                                        ; implicit-def: $vgpr4
; %bb.6891:                             ;   in Loop: Header=BB450_3110 Depth=1
	s_and_not1_saveexec_b32 s23, s9
; %bb.6892:                             ;   in Loop: Header=BB450_3110 Depth=1
	v_and_b32_e32 v5, 0xffff, v4
	v_or_b32_e32 v21, 0x10000, v4
	s_delay_alu instid0(VALU_DEP_2) | instskip(NEXT) | instid1(VALU_DEP_1)
	v_cmp_eq_u32_e64 s9, 0, v5
	v_cndmask_b32_e64 v124, v21, v4, s9
; %bb.6893:                             ;   in Loop: Header=BB450_3110 Depth=1
	s_or_b32 exec_lo, exec_lo, s23
	v_lshlrev_b32_e32 v4, 16, v12
                                        ; implicit-def: $vgpr125
	s_delay_alu instid0(VALU_DEP_1) | instskip(NEXT) | instid1(VALU_DEP_1)
	v_mul_f32_e32 v4, v164, v4
	v_and_b32_e32 v5, 0x7f800000, v4
	s_delay_alu instid0(VALU_DEP_1) | instskip(NEXT) | instid1(VALU_DEP_1)
	v_cmp_ne_u32_e64 s9, 0x7f800000, v5
	s_and_saveexec_b32 s23, s9
	s_delay_alu instid0(SALU_CYCLE_1)
	s_xor_b32 s9, exec_lo, s23
; %bb.6894:                             ;   in Loop: Header=BB450_3110 Depth=1
	v_bfe_u32 v5, v4, 16, 1
	s_delay_alu instid0(VALU_DEP_1)
	v_add3_u32 v125, v4, v5, 0x7fff
                                        ; implicit-def: $vgpr4
; %bb.6895:                             ;   in Loop: Header=BB450_3110 Depth=1
	s_and_not1_saveexec_b32 s23, s9
; %bb.6896:                             ;   in Loop: Header=BB450_3110 Depth=1
	v_and_b32_e32 v5, 0xffff, v4
	v_or_b32_e32 v12, 0x10000, v4
	s_delay_alu instid0(VALU_DEP_2) | instskip(NEXT) | instid1(VALU_DEP_1)
	v_cmp_eq_u32_e64 s9, 0, v5
	v_cndmask_b32_e64 v125, v12, v4, s9
; %bb.6897:                             ;   in Loop: Header=BB450_3110 Depth=1
	s_or_b32 exec_lo, exec_lo, s23
	v_lshlrev_b32_e32 v4, 16, v7
                                        ; implicit-def: $vgpr126
	s_delay_alu instid0(VALU_DEP_1) | instskip(NEXT) | instid1(VALU_DEP_1)
	v_mul_f32_e32 v4, v165, v4
	v_and_b32_e32 v5, 0x7f800000, v4
	s_delay_alu instid0(VALU_DEP_1) | instskip(NEXT) | instid1(VALU_DEP_1)
	v_cmp_ne_u32_e64 s9, 0x7f800000, v5
	s_and_saveexec_b32 s23, s9
	s_delay_alu instid0(SALU_CYCLE_1)
	s_xor_b32 s9, exec_lo, s23
; %bb.6898:                             ;   in Loop: Header=BB450_3110 Depth=1
	v_bfe_u32 v5, v4, 16, 1
	s_delay_alu instid0(VALU_DEP_1)
	v_add3_u32 v126, v4, v5, 0x7fff
                                        ; implicit-def: $vgpr4
; %bb.6899:                             ;   in Loop: Header=BB450_3110 Depth=1
	s_and_not1_saveexec_b32 s23, s9
; %bb.6900:                             ;   in Loop: Header=BB450_3110 Depth=1
	v_and_b32_e32 v5, 0xffff, v4
	v_or_b32_e32 v7, 0x10000, v4
	s_delay_alu instid0(VALU_DEP_2) | instskip(NEXT) | instid1(VALU_DEP_1)
	v_cmp_eq_u32_e64 s9, 0, v5
	v_cndmask_b32_e64 v126, v7, v4, s9
; %bb.6901:                             ;   in Loop: Header=BB450_3110 Depth=1
	s_or_b32 exec_lo, exec_lo, s23
	v_lshlrev_b32_e32 v4, 16, v6
                                        ; implicit-def: $vgpr127
	s_delay_alu instid0(VALU_DEP_1) | instskip(NEXT) | instid1(VALU_DEP_1)
	v_mul_f32_e32 v4, v166, v4
	v_and_b32_e32 v5, 0x7f800000, v4
	s_delay_alu instid0(VALU_DEP_1) | instskip(NEXT) | instid1(VALU_DEP_1)
	v_cmp_ne_u32_e64 s9, 0x7f800000, v5
	s_and_saveexec_b32 s23, s9
	s_delay_alu instid0(SALU_CYCLE_1)
	s_xor_b32 s9, exec_lo, s23
; %bb.6902:                             ;   in Loop: Header=BB450_3110 Depth=1
	v_bfe_u32 v5, v4, 16, 1
	s_delay_alu instid0(VALU_DEP_1)
	v_add3_u32 v127, v4, v5, 0x7fff
                                        ; implicit-def: $vgpr4
; %bb.6903:                             ;   in Loop: Header=BB450_3110 Depth=1
	s_and_not1_saveexec_b32 s23, s9
; %bb.6904:                             ;   in Loop: Header=BB450_3110 Depth=1
	v_and_b32_e32 v5, 0xffff, v4
	v_or_b32_e32 v6, 0x10000, v4
	s_delay_alu instid0(VALU_DEP_2) | instskip(NEXT) | instid1(VALU_DEP_1)
	v_cmp_eq_u32_e64 s9, 0, v5
	v_cndmask_b32_e64 v127, v6, v4, s9
; %bb.6905:                             ;   in Loop: Header=BB450_3110 Depth=1
	s_or_b32 exec_lo, exec_lo, s23
	v_lshlrev_b32_e32 v3, 16, v3
                                        ; implicit-def: $vgpr136
	s_delay_alu instid0(VALU_DEP_1) | instskip(NEXT) | instid1(VALU_DEP_1)
	v_mul_f32_e32 v3, v167, v3
	v_and_b32_e32 v4, 0x7f800000, v3
	s_delay_alu instid0(VALU_DEP_1) | instskip(NEXT) | instid1(VALU_DEP_1)
	v_cmp_ne_u32_e64 s9, 0x7f800000, v4
	s_and_saveexec_b32 s23, s9
	s_delay_alu instid0(SALU_CYCLE_1)
	s_xor_b32 s9, exec_lo, s23
; %bb.6906:                             ;   in Loop: Header=BB450_3110 Depth=1
	v_bfe_u32 v4, v3, 16, 1
	s_delay_alu instid0(VALU_DEP_1)
	v_add3_u32 v136, v3, v4, 0x7fff
                                        ; implicit-def: $vgpr3
; %bb.6907:                             ;   in Loop: Header=BB450_3110 Depth=1
	s_and_not1_saveexec_b32 s23, s9
; %bb.6908:                             ;   in Loop: Header=BB450_3110 Depth=1
	v_and_b32_e32 v4, 0xffff, v3
	v_or_b32_e32 v5, 0x10000, v3
	s_delay_alu instid0(VALU_DEP_2) | instskip(NEXT) | instid1(VALU_DEP_1)
	v_cmp_eq_u32_e64 s9, 0, v4
	v_cndmask_b32_e64 v136, v5, v3, s9
; %bb.6909:                             ;   in Loop: Header=BB450_3110 Depth=1
	s_or_b32 exec_lo, exec_lo, s23
	v_lshlrev_b32_e32 v2, 16, v2
                                        ; implicit-def: $vgpr4
	s_delay_alu instid0(VALU_DEP_1) | instskip(NEXT) | instid1(VALU_DEP_1)
	v_mul_f32_e32 v2, v176, v2
	v_and_b32_e32 v3, 0x7f800000, v2
	s_delay_alu instid0(VALU_DEP_1) | instskip(NEXT) | instid1(VALU_DEP_1)
	v_cmp_ne_u32_e64 s9, 0x7f800000, v3
	s_and_saveexec_b32 s23, s9
	s_delay_alu instid0(SALU_CYCLE_1)
	s_xor_b32 s9, exec_lo, s23
; %bb.6910:                             ;   in Loop: Header=BB450_3110 Depth=1
	v_bfe_u32 v3, v2, 16, 1
	s_delay_alu instid0(VALU_DEP_1)
	v_add3_u32 v4, v2, v3, 0x7fff
                                        ; implicit-def: $vgpr2
; %bb.6911:                             ;   in Loop: Header=BB450_3110 Depth=1
	s_and_not1_saveexec_b32 s23, s9
; %bb.6912:                             ;   in Loop: Header=BB450_3110 Depth=1
	v_and_b32_e32 v3, 0xffff, v2
	v_or_b32_e32 v4, 0x10000, v2
	s_delay_alu instid0(VALU_DEP_2) | instskip(NEXT) | instid1(VALU_DEP_1)
	v_cmp_eq_u32_e64 s9, 0, v3
	v_cndmask_b32_e64 v4, v4, v2, s9
; %bb.6913:                             ;   in Loop: Header=BB450_3110 Depth=1
	s_or_b32 exec_lo, exec_lo, s23
	scratch_load_b32 v2, off, s32 offset:932 ; 4-byte Folded Reload
	s_mov_b32 s23, exec_lo
	v_mov_b32_e32 v5, 0
	s_waitcnt vmcnt(0)
	v_add_co_u32 v2, s9, v0, v2
	s_delay_alu instid0(VALU_DEP_1) | instskip(SKIP_3) | instid1(VALU_DEP_1)
	v_add_co_ci_u32_e64 v3, s9, 0, v1, s9
	flat_load_b64 v[2:3], v[2:3]
	s_waitcnt vmcnt(0) lgkmcnt(0)
	v_and_b32_e32 v6, 0xff, v2
	v_cmpx_ne_u16_e32 0, v6
	s_cbranch_execz .LBB450_6921
; %bb.6914:                             ;   in Loop: Header=BB450_3110 Depth=1
	v_bfrev_b32_e32 v5, 1
	s_mov_b32 s24, exec_lo
	v_cmpx_ne_u16_e32 0x80, v6
	s_cbranch_execz .LBB450_6920
; %bb.6915:                             ;   in Loop: Header=BB450_3110 Depth=1
	v_and_b32_e32 v6, 0x7f, v2
	v_mov_b32_e32 v5, 0x7f800001
	s_mov_b32 s25, exec_lo
	s_delay_alu instid0(VALU_DEP_2)
	v_cmpx_ne_u32_e32 0x7f, v6
	s_cbranch_execz .LBB450_6919
; %bb.6916:                             ;   in Loop: Header=BB450_3110 Depth=1
	v_lshrrev_b32_e32 v5, 3, v6
	v_cmp_gt_u32_e64 s9, 8, v6
	v_dual_mov_b32 v7, v3 :: v_dual_mov_b32 v6, v2
	s_delay_alu instid0(VALU_DEP_2)
	s_and_saveexec_b32 s26, s9
; %bb.6917:                             ;   in Loop: Header=BB450_3110 Depth=1
	v_and_b32_e32 v5, 7, v2
	s_delay_alu instid0(VALU_DEP_1) | instskip(NEXT) | instid1(VALU_DEP_1)
	v_clz_i32_u32_e32 v5, v5
	v_min_u32_e32 v5, 32, v5
	s_delay_alu instid0(VALU_DEP_1) | instskip(SKIP_1) | instid1(VALU_DEP_2)
	v_subrev_nc_u32_e32 v6, 28, v5
	v_sub_nc_u32_e32 v5, 29, v5
	v_lshlrev_b64 v[6:7], v6, v[2:3]
; %bb.6918:                             ;   in Loop: Header=BB450_3110 Depth=1
	s_or_b32 exec_lo, exec_lo, s26
	s_delay_alu instid0(VALU_DEP_1) | instskip(SKIP_2) | instid1(VALU_DEP_3)
	v_lshlrev_b32_e32 v6, 20, v6
	v_lshlrev_b32_e32 v7, 24, v2
	v_lshl_add_u32 v5, v5, 23, 0x3c000000
	v_and_b32_e32 v6, 0x700000, v6
	s_delay_alu instid0(VALU_DEP_3) | instskip(NEXT) | instid1(VALU_DEP_1)
	v_and_b32_e32 v7, 0x80000000, v7
	v_or3_b32 v5, v6, v7, v5
.LBB450_6919:                           ;   in Loop: Header=BB450_3110 Depth=1
	s_or_b32 exec_lo, exec_lo, s25
.LBB450_6920:                           ;   in Loop: Header=BB450_3110 Depth=1
	s_delay_alu instid0(SALU_CYCLE_1)
	s_or_b32 exec_lo, exec_lo, s24
.LBB450_6921:                           ;   in Loop: Header=BB450_3110 Depth=1
	s_delay_alu instid0(SALU_CYCLE_1) | instskip(NEXT) | instid1(VALU_DEP_1)
	s_or_b32 exec_lo, exec_lo, s23
	v_mul_f32_e32 v6, v160, v5
	s_delay_alu instid0(VALU_DEP_1) | instskip(NEXT) | instid1(VALU_DEP_1)
	v_and_b32_e32 v5, 0x7f800000, v6
	v_cmp_ne_u32_e64 s9, 0x7f800000, v5
                                        ; implicit-def: $vgpr5
	s_delay_alu instid0(VALU_DEP_1) | instskip(NEXT) | instid1(SALU_CYCLE_1)
	s_and_saveexec_b32 s23, s9
	s_xor_b32 s9, exec_lo, s23
; %bb.6922:                             ;   in Loop: Header=BB450_3110 Depth=1
	v_bfe_u32 v5, v6, 16, 1
	s_delay_alu instid0(VALU_DEP_1)
	v_add3_u32 v5, v6, v5, 0x7fff
                                        ; implicit-def: $vgpr6
; %bb.6923:                             ;   in Loop: Header=BB450_3110 Depth=1
	s_and_not1_saveexec_b32 s23, s9
; %bb.6924:                             ;   in Loop: Header=BB450_3110 Depth=1
	v_and_b32_e32 v5, 0xffff, v6
	v_or_b32_e32 v7, 0x10000, v6
	s_delay_alu instid0(VALU_DEP_2) | instskip(NEXT) | instid1(VALU_DEP_1)
	v_cmp_eq_u32_e64 s9, 0, v5
	v_cndmask_b32_e64 v5, v7, v6, s9
; %bb.6925:                             ;   in Loop: Header=BB450_3110 Depth=1
	s_or_b32 exec_lo, exec_lo, s23
	v_lshrrev_b16 v7, 8, v2
	v_mov_b32_e32 v6, 0
	s_mov_b32 s23, exec_lo
	s_delay_alu instid0(VALU_DEP_2)
	v_cmpx_ne_u16_e32 0, v7
	s_cbranch_execz .LBB450_6933
; %bb.6926:                             ;   in Loop: Header=BB450_3110 Depth=1
	v_bfrev_b32_e32 v6, 1
	s_mov_b32 s24, exec_lo
	v_cmpx_ne_u16_e32 0x80, v7
	s_cbranch_execz .LBB450_6932
; %bb.6927:                             ;   in Loop: Header=BB450_3110 Depth=1
	v_and_b32_e32 v7, 0xffff, v7
	v_mov_b32_e32 v6, 0x7f800001
	s_mov_b32 s25, exec_lo
	s_delay_alu instid0(VALU_DEP_2) | instskip(NEXT) | instid1(VALU_DEP_1)
	v_and_b32_e32 v21, 0x7f, v7
	v_cmpx_ne_u32_e32 0x7f, v21
	s_cbranch_execz .LBB450_6931
; %bb.6928:                             ;   in Loop: Header=BB450_3110 Depth=1
	v_and_b32_e32 v12, 7, v7
	s_mov_b32 s26, exec_lo
	s_delay_alu instid0(VALU_DEP_1)
	v_dual_mov_b32 v6, v12 :: v_dual_mov_b32 v7, v13
	v_lshrrev_b32_e32 v7, 3, v21
	v_cmpx_gt_u32_e32 8, v21
; %bb.6929:                             ;   in Loop: Header=BB450_3110 Depth=1
	v_clz_i32_u32_e32 v6, v12
	s_delay_alu instid0(VALU_DEP_1) | instskip(NEXT) | instid1(VALU_DEP_1)
	v_min_u32_e32 v21, 32, v6
	v_subrev_nc_u32_e32 v6, 28, v21
	s_delay_alu instid0(VALU_DEP_1) | instskip(SKIP_1) | instid1(VALU_DEP_2)
	v_lshlrev_b64 v[6:7], v6, v[12:13]
	v_sub_nc_u32_e32 v7, 29, v21
	v_and_b32_e32 v6, 7, v6
; %bb.6930:                             ;   in Loop: Header=BB450_3110 Depth=1
	s_or_b32 exec_lo, exec_lo, s26
	v_lshlrev_b32_e32 v12, 16, v2
	s_delay_alu instid0(VALU_DEP_2) | instskip(SKIP_1) | instid1(VALU_DEP_3)
	v_lshlrev_b32_e32 v6, 20, v6
	v_lshl_add_u32 v7, v7, 23, 0x3c000000
	v_and_b32_e32 v12, 0x80000000, v12
	s_delay_alu instid0(VALU_DEP_1)
	v_or3_b32 v6, v6, v12, v7
.LBB450_6931:                           ;   in Loop: Header=BB450_3110 Depth=1
	s_or_b32 exec_lo, exec_lo, s25
.LBB450_6932:                           ;   in Loop: Header=BB450_3110 Depth=1
	s_delay_alu instid0(SALU_CYCLE_1)
	s_or_b32 exec_lo, exec_lo, s24
.LBB450_6933:                           ;   in Loop: Header=BB450_3110 Depth=1
	s_delay_alu instid0(SALU_CYCLE_1) | instskip(NEXT) | instid1(VALU_DEP_1)
	s_or_b32 exec_lo, exec_lo, s23
	v_mul_f32_e32 v6, v160, v6
                                        ; implicit-def: $vgpr21
	s_delay_alu instid0(VALU_DEP_1) | instskip(NEXT) | instid1(VALU_DEP_1)
	v_and_b32_e32 v7, 0x7f800000, v6
	v_cmp_ne_u32_e64 s9, 0x7f800000, v7
	s_delay_alu instid0(VALU_DEP_1) | instskip(NEXT) | instid1(SALU_CYCLE_1)
	s_and_saveexec_b32 s23, s9
	s_xor_b32 s9, exec_lo, s23
; %bb.6934:                             ;   in Loop: Header=BB450_3110 Depth=1
	v_bfe_u32 v7, v6, 16, 1
	s_delay_alu instid0(VALU_DEP_1)
	v_add3_u32 v21, v6, v7, 0x7fff
                                        ; implicit-def: $vgpr6
; %bb.6935:                             ;   in Loop: Header=BB450_3110 Depth=1
	s_and_not1_saveexec_b32 s23, s9
; %bb.6936:                             ;   in Loop: Header=BB450_3110 Depth=1
	v_and_b32_e32 v7, 0xffff, v6
	v_or_b32_e32 v12, 0x10000, v6
	s_delay_alu instid0(VALU_DEP_2) | instskip(NEXT) | instid1(VALU_DEP_1)
	v_cmp_eq_u32_e64 s9, 0, v7
	v_cndmask_b32_e64 v21, v12, v6, s9
; %bb.6937:                             ;   in Loop: Header=BB450_3110 Depth=1
	s_or_b32 exec_lo, exec_lo, s23
	v_lshrrev_b32_e32 v37, 16, v2
	s_mov_b32 s23, exec_lo
	s_delay_alu instid0(VALU_DEP_1) | instskip(NEXT) | instid1(VALU_DEP_1)
	v_dual_mov_b32 v6, 0 :: v_dual_and_b32 v7, 0xff, v37
	v_cmpx_ne_u16_e32 0, v7
	s_cbranch_execz .LBB450_6945
; %bb.6938:                             ;   in Loop: Header=BB450_3110 Depth=1
	v_bfrev_b32_e32 v6, 1
	s_mov_b32 s24, exec_lo
	v_cmpx_ne_u16_e32 0x80, v7
	s_cbranch_execz .LBB450_6944
; %bb.6939:                             ;   in Loop: Header=BB450_3110 Depth=1
	v_bfe_u32 v38, v2, 16, 7
	v_mov_b32_e32 v6, 0x7f800001
	s_mov_b32 s25, exec_lo
	s_delay_alu instid0(VALU_DEP_2)
	v_cmpx_ne_u32_e32 0x7f, v38
	s_cbranch_execz .LBB450_6943
; %bb.6940:                             ;   in Loop: Header=BB450_3110 Depth=1
	v_and_b32_e32 v12, 7, v37
	s_mov_b32 s26, exec_lo
	s_delay_alu instid0(VALU_DEP_1)
	v_dual_mov_b32 v6, v12 :: v_dual_mov_b32 v7, v13
	v_lshrrev_b32_e32 v7, 3, v38
	v_cmpx_gt_u32_e32 8, v38
; %bb.6941:                             ;   in Loop: Header=BB450_3110 Depth=1
	v_clz_i32_u32_e32 v6, v12
	s_delay_alu instid0(VALU_DEP_1) | instskip(NEXT) | instid1(VALU_DEP_1)
	v_min_u32_e32 v38, 32, v6
	v_subrev_nc_u32_e32 v6, 28, v38
	s_delay_alu instid0(VALU_DEP_1) | instskip(SKIP_1) | instid1(VALU_DEP_2)
	v_lshlrev_b64 v[6:7], v6, v[12:13]
	v_sub_nc_u32_e32 v7, 29, v38
	v_and_b32_e32 v6, 7, v6
; %bb.6942:                             ;   in Loop: Header=BB450_3110 Depth=1
	s_or_b32 exec_lo, exec_lo, s26
	v_lshlrev_b32_e32 v12, 24, v37
	s_delay_alu instid0(VALU_DEP_2) | instskip(SKIP_1) | instid1(VALU_DEP_3)
	v_lshlrev_b32_e32 v6, 20, v6
	v_lshl_add_u32 v7, v7, 23, 0x3c000000
	v_and_b32_e32 v12, 0x80000000, v12
	s_delay_alu instid0(VALU_DEP_1)
	v_or3_b32 v6, v6, v12, v7
.LBB450_6943:                           ;   in Loop: Header=BB450_3110 Depth=1
	s_or_b32 exec_lo, exec_lo, s25
.LBB450_6944:                           ;   in Loop: Header=BB450_3110 Depth=1
	s_delay_alu instid0(SALU_CYCLE_1)
	s_or_b32 exec_lo, exec_lo, s24
.LBB450_6945:                           ;   in Loop: Header=BB450_3110 Depth=1
	s_delay_alu instid0(SALU_CYCLE_1) | instskip(NEXT) | instid1(VALU_DEP_1)
	s_or_b32 exec_lo, exec_lo, s23
	v_mul_f32_e32 v6, v160, v6
                                        ; implicit-def: $vgpr37
	s_delay_alu instid0(VALU_DEP_1) | instskip(NEXT) | instid1(VALU_DEP_1)
	v_and_b32_e32 v7, 0x7f800000, v6
	v_cmp_ne_u32_e64 s9, 0x7f800000, v7
	s_delay_alu instid0(VALU_DEP_1) | instskip(NEXT) | instid1(SALU_CYCLE_1)
	s_and_saveexec_b32 s23, s9
	s_xor_b32 s9, exec_lo, s23
; %bb.6946:                             ;   in Loop: Header=BB450_3110 Depth=1
	v_bfe_u32 v7, v6, 16, 1
	s_delay_alu instid0(VALU_DEP_1)
	v_add3_u32 v37, v6, v7, 0x7fff
                                        ; implicit-def: $vgpr6
; %bb.6947:                             ;   in Loop: Header=BB450_3110 Depth=1
	s_and_not1_saveexec_b32 s23, s9
; %bb.6948:                             ;   in Loop: Header=BB450_3110 Depth=1
	v_and_b32_e32 v7, 0xffff, v6
	v_or_b32_e32 v12, 0x10000, v6
	s_delay_alu instid0(VALU_DEP_2) | instskip(NEXT) | instid1(VALU_DEP_1)
	v_cmp_eq_u32_e64 s9, 0, v7
	v_cndmask_b32_e64 v37, v12, v6, s9
; %bb.6949:                             ;   in Loop: Header=BB450_3110 Depth=1
	s_or_b32 exec_lo, exec_lo, s23
	v_mov_b32_e32 v6, 0
	s_mov_b32 s23, exec_lo
	v_cmpx_lt_u32_e32 0xffffff, v2
	s_cbranch_execz .LBB450_6957
; %bb.6950:                             ;   in Loop: Header=BB450_3110 Depth=1
	v_lshrrev_b32_e32 v38, 24, v2
	v_bfrev_b32_e32 v6, 1
	s_mov_b32 s24, exec_lo
	s_delay_alu instid0(VALU_DEP_2)
	v_cmpx_ne_u32_e32 0x80, v38
	s_cbranch_execz .LBB450_6956
; %bb.6951:                             ;   in Loop: Header=BB450_3110 Depth=1
	v_bfe_u32 v137, v2, 24, 7
	v_mov_b32_e32 v6, 0x7f800001
	s_mov_b32 s25, exec_lo
	s_delay_alu instid0(VALU_DEP_2)
	v_cmpx_ne_u32_e32 0x7f, v137
	s_cbranch_execz .LBB450_6955
; %bb.6952:                             ;   in Loop: Header=BB450_3110 Depth=1
	v_and_b32_e32 v12, 7, v38
	s_mov_b32 s26, exec_lo
	s_delay_alu instid0(VALU_DEP_1)
	v_dual_mov_b32 v6, v12 :: v_dual_mov_b32 v7, v13
	v_lshrrev_b32_e32 v7, 3, v137
	v_cmpx_gt_u32_e32 8, v137
; %bb.6953:                             ;   in Loop: Header=BB450_3110 Depth=1
	v_clz_i32_u32_e32 v6, v12
	s_delay_alu instid0(VALU_DEP_1) | instskip(NEXT) | instid1(VALU_DEP_1)
	v_min_u32_e32 v137, 32, v6
	v_subrev_nc_u32_e32 v6, 28, v137
	s_delay_alu instid0(VALU_DEP_1) | instskip(SKIP_1) | instid1(VALU_DEP_2)
	v_lshlrev_b64 v[6:7], v6, v[12:13]
	v_sub_nc_u32_e32 v7, 29, v137
	v_and_b32_e32 v6, 7, v6
; %bb.6954:                             ;   in Loop: Header=BB450_3110 Depth=1
	s_or_b32 exec_lo, exec_lo, s26
	v_lshlrev_b32_e32 v12, 24, v38
	s_delay_alu instid0(VALU_DEP_2) | instskip(SKIP_1) | instid1(VALU_DEP_3)
	v_lshlrev_b32_e32 v6, 20, v6
	v_lshl_add_u32 v7, v7, 23, 0x3c000000
	v_and_b32_e32 v12, 0x80000000, v12
	s_delay_alu instid0(VALU_DEP_1)
	v_or3_b32 v6, v6, v12, v7
.LBB450_6955:                           ;   in Loop: Header=BB450_3110 Depth=1
	s_or_b32 exec_lo, exec_lo, s25
.LBB450_6956:                           ;   in Loop: Header=BB450_3110 Depth=1
	s_delay_alu instid0(SALU_CYCLE_1)
	s_or_b32 exec_lo, exec_lo, s24
.LBB450_6957:                           ;   in Loop: Header=BB450_3110 Depth=1
	s_delay_alu instid0(SALU_CYCLE_1) | instskip(NEXT) | instid1(VALU_DEP_1)
	s_or_b32 exec_lo, exec_lo, s23
	v_mul_f32_e32 v6, v160, v6
                                        ; implicit-def: $vgpr38
	s_delay_alu instid0(VALU_DEP_1) | instskip(NEXT) | instid1(VALU_DEP_1)
	v_and_b32_e32 v7, 0x7f800000, v6
	v_cmp_ne_u32_e64 s9, 0x7f800000, v7
	s_delay_alu instid0(VALU_DEP_1) | instskip(NEXT) | instid1(SALU_CYCLE_1)
	s_and_saveexec_b32 s23, s9
	s_xor_b32 s9, exec_lo, s23
; %bb.6958:                             ;   in Loop: Header=BB450_3110 Depth=1
	v_bfe_u32 v7, v6, 16, 1
	s_delay_alu instid0(VALU_DEP_1)
	v_add3_u32 v38, v6, v7, 0x7fff
                                        ; implicit-def: $vgpr6
; %bb.6959:                             ;   in Loop: Header=BB450_3110 Depth=1
	s_and_not1_saveexec_b32 s23, s9
; %bb.6960:                             ;   in Loop: Header=BB450_3110 Depth=1
	v_and_b32_e32 v7, 0xffff, v6
	v_or_b32_e32 v12, 0x10000, v6
	s_delay_alu instid0(VALU_DEP_2) | instskip(NEXT) | instid1(VALU_DEP_1)
	v_cmp_eq_u32_e64 s9, 0, v7
	v_cndmask_b32_e64 v38, v12, v6, s9
; %bb.6961:                             ;   in Loop: Header=BB450_3110 Depth=1
	s_or_b32 exec_lo, exec_lo, s23
	v_dual_mov_b32 v12, v3 :: v_dual_and_b32 v7, 0xff, v3
	v_mov_b32_e32 v6, 0
	s_mov_b32 s23, exec_lo
	s_delay_alu instid0(VALU_DEP_2)
	v_cmpx_ne_u16_e32 0, v7
	s_cbranch_execz .LBB450_6969
; %bb.6962:                             ;   in Loop: Header=BB450_3110 Depth=1
	v_bfrev_b32_e32 v6, 1
	s_mov_b32 s24, exec_lo
	v_cmpx_ne_u16_e32 0x80, v7
	s_cbranch_execz .LBB450_6968
; %bb.6963:                             ;   in Loop: Header=BB450_3110 Depth=1
	v_and_b32_e32 v137, 0x7f, v3
	v_mov_b32_e32 v6, 0x7f800001
	s_mov_b32 s25, exec_lo
	s_delay_alu instid0(VALU_DEP_2)
	v_cmpx_ne_u32_e32 0x7f, v137
	s_cbranch_execz .LBB450_6967
; %bb.6964:                             ;   in Loop: Header=BB450_3110 Depth=1
	v_dual_mov_b32 v6, v12 :: v_dual_mov_b32 v7, v13
	v_lshrrev_b32_e32 v7, 3, v137
	s_mov_b32 s26, exec_lo
	v_cmpx_gt_u32_e32 8, v137
; %bb.6965:                             ;   in Loop: Header=BB450_3110 Depth=1
	v_and_b32_e32 v6, 7, v3
	s_delay_alu instid0(VALU_DEP_1) | instskip(NEXT) | instid1(VALU_DEP_1)
	v_clz_i32_u32_e32 v6, v6
	v_min_u32_e32 v137, 32, v6
	s_delay_alu instid0(VALU_DEP_1) | instskip(NEXT) | instid1(VALU_DEP_1)
	v_subrev_nc_u32_e32 v6, 28, v137
	v_lshlrev_b64 v[6:7], v6, v[12:13]
	v_sub_nc_u32_e32 v7, 29, v137
; %bb.6966:                             ;   in Loop: Header=BB450_3110 Depth=1
	s_or_b32 exec_lo, exec_lo, s26
	s_delay_alu instid0(VALU_DEP_2) | instskip(SKIP_1) | instid1(VALU_DEP_3)
	v_lshlrev_b32_e32 v6, 20, v6
	v_lshlrev_b32_e32 v137, 24, v12
	v_lshl_add_u32 v7, v7, 23, 0x3c000000
	s_delay_alu instid0(VALU_DEP_3) | instskip(NEXT) | instid1(VALU_DEP_3)
	v_and_b32_e32 v6, 0x700000, v6
	v_and_b32_e32 v137, 0x80000000, v137
	s_delay_alu instid0(VALU_DEP_1)
	v_or3_b32 v6, v6, v137, v7
.LBB450_6967:                           ;   in Loop: Header=BB450_3110 Depth=1
	s_or_b32 exec_lo, exec_lo, s25
.LBB450_6968:                           ;   in Loop: Header=BB450_3110 Depth=1
	s_delay_alu instid0(SALU_CYCLE_1)
	s_or_b32 exec_lo, exec_lo, s24
.LBB450_6969:                           ;   in Loop: Header=BB450_3110 Depth=1
	s_delay_alu instid0(SALU_CYCLE_1) | instskip(NEXT) | instid1(VALU_DEP_1)
	s_or_b32 exec_lo, exec_lo, s23
	v_mul_f32_e32 v6, v160, v6
                                        ; implicit-def: $vgpr137
	s_delay_alu instid0(VALU_DEP_1) | instskip(NEXT) | instid1(VALU_DEP_1)
	v_and_b32_e32 v7, 0x7f800000, v6
	v_cmp_ne_u32_e64 s9, 0x7f800000, v7
	s_delay_alu instid0(VALU_DEP_1) | instskip(NEXT) | instid1(SALU_CYCLE_1)
	s_and_saveexec_b32 s23, s9
	s_xor_b32 s9, exec_lo, s23
; %bb.6970:                             ;   in Loop: Header=BB450_3110 Depth=1
	v_bfe_u32 v7, v6, 16, 1
	s_delay_alu instid0(VALU_DEP_1)
	v_add3_u32 v137, v6, v7, 0x7fff
                                        ; implicit-def: $vgpr6
; %bb.6971:                             ;   in Loop: Header=BB450_3110 Depth=1
	s_and_not1_saveexec_b32 s23, s9
; %bb.6972:                             ;   in Loop: Header=BB450_3110 Depth=1
	v_and_b32_e32 v7, 0xffff, v6
	v_or_b32_e32 v137, 0x10000, v6
	s_delay_alu instid0(VALU_DEP_2) | instskip(NEXT) | instid1(VALU_DEP_1)
	v_cmp_eq_u32_e64 s9, 0, v7
	v_cndmask_b32_e64 v137, v137, v6, s9
; %bb.6973:                             ;   in Loop: Header=BB450_3110 Depth=1
	s_or_b32 exec_lo, exec_lo, s23
	v_lshrrev_b16 v7, 8, v12
	v_mov_b32_e32 v6, 0
	s_mov_b32 s23, exec_lo
	s_delay_alu instid0(VALU_DEP_2)
	v_cmpx_ne_u16_e32 0, v7
	s_cbranch_execz .LBB450_6981
; %bb.6974:                             ;   in Loop: Header=BB450_3110 Depth=1
	v_bfrev_b32_e32 v6, 1
	s_mov_b32 s24, exec_lo
	v_cmpx_ne_u16_e32 0x80, v7
	s_cbranch_execz .LBB450_6980
; %bb.6975:                             ;   in Loop: Header=BB450_3110 Depth=1
	v_and_b32_e32 v7, 0xffff, v7
	v_mov_b32_e32 v6, 0x7f800001
	s_mov_b32 s25, exec_lo
	s_delay_alu instid0(VALU_DEP_2) | instskip(NEXT) | instid1(VALU_DEP_1)
	v_and_b32_e32 v139, 0x7f, v7
	v_cmpx_ne_u32_e32 0x7f, v139
	s_cbranch_execz .LBB450_6979
; %bb.6976:                             ;   in Loop: Header=BB450_3110 Depth=1
	v_dual_mov_b32 v7, v13 :: v_dual_and_b32 v6, 7, v7
	v_lshrrev_b32_e32 v138, 3, v139
	s_mov_b32 s26, exec_lo
	v_cmpx_gt_u32_e32 8, v139
; %bb.6977:                             ;   in Loop: Header=BB450_3110 Depth=1
	s_delay_alu instid0(VALU_DEP_3) | instskip(NEXT) | instid1(VALU_DEP_1)
	v_clz_i32_u32_e32 v138, v6
	v_min_u32_e32 v138, 32, v138
	s_delay_alu instid0(VALU_DEP_1) | instskip(SKIP_1) | instid1(VALU_DEP_2)
	v_subrev_nc_u32_e32 v139, 28, v138
	v_sub_nc_u32_e32 v138, 29, v138
	v_lshlrev_b64 v[6:7], v139, v[6:7]
	s_delay_alu instid0(VALU_DEP_1)
	v_and_b32_e32 v6, 7, v6
; %bb.6978:                             ;   in Loop: Header=BB450_3110 Depth=1
	s_or_b32 exec_lo, exec_lo, s26
	v_lshlrev_b32_e32 v7, 16, v12
	s_delay_alu instid0(VALU_DEP_2) | instskip(SKIP_1) | instid1(VALU_DEP_3)
	v_lshlrev_b32_e32 v6, 20, v6
	v_lshl_add_u32 v12, v138, 23, 0x3c000000
	v_and_b32_e32 v7, 0x80000000, v7
	s_delay_alu instid0(VALU_DEP_1)
	v_or3_b32 v6, v6, v7, v12
.LBB450_6979:                           ;   in Loop: Header=BB450_3110 Depth=1
	s_or_b32 exec_lo, exec_lo, s25
.LBB450_6980:                           ;   in Loop: Header=BB450_3110 Depth=1
	s_delay_alu instid0(SALU_CYCLE_1)
	s_or_b32 exec_lo, exec_lo, s24
.LBB450_6981:                           ;   in Loop: Header=BB450_3110 Depth=1
	s_delay_alu instid0(SALU_CYCLE_1) | instskip(NEXT) | instid1(VALU_DEP_1)
	s_or_b32 exec_lo, exec_lo, s23
	v_mul_f32_e32 v6, v160, v6
                                        ; implicit-def: $vgpr138
	s_delay_alu instid0(VALU_DEP_1) | instskip(NEXT) | instid1(VALU_DEP_1)
	v_and_b32_e32 v7, 0x7f800000, v6
	v_cmp_ne_u32_e64 s9, 0x7f800000, v7
	s_delay_alu instid0(VALU_DEP_1) | instskip(NEXT) | instid1(SALU_CYCLE_1)
	s_and_saveexec_b32 s23, s9
	s_xor_b32 s9, exec_lo, s23
; %bb.6982:                             ;   in Loop: Header=BB450_3110 Depth=1
	v_bfe_u32 v7, v6, 16, 1
	s_delay_alu instid0(VALU_DEP_1)
	v_add3_u32 v138, v6, v7, 0x7fff
                                        ; implicit-def: $vgpr6
; %bb.6983:                             ;   in Loop: Header=BB450_3110 Depth=1
	s_and_not1_saveexec_b32 s23, s9
; %bb.6984:                             ;   in Loop: Header=BB450_3110 Depth=1
	v_and_b32_e32 v7, 0xffff, v6
	v_or_b32_e32 v12, 0x10000, v6
	s_delay_alu instid0(VALU_DEP_2) | instskip(NEXT) | instid1(VALU_DEP_1)
	v_cmp_eq_u32_e64 s9, 0, v7
	v_cndmask_b32_e64 v138, v12, v6, s9
; %bb.6985:                             ;   in Loop: Header=BB450_3110 Depth=1
	s_or_b32 exec_lo, exec_lo, s23
	v_lshrrev_b32_e32 v139, 16, v3
	s_mov_b32 s23, exec_lo
	s_delay_alu instid0(VALU_DEP_1) | instskip(NEXT) | instid1(VALU_DEP_1)
	v_dual_mov_b32 v6, 0 :: v_dual_and_b32 v7, 0xff, v139
	v_cmpx_ne_u16_e32 0, v7
	s_cbranch_execz .LBB450_6993
; %bb.6986:                             ;   in Loop: Header=BB450_3110 Depth=1
	v_bfrev_b32_e32 v6, 1
	s_mov_b32 s24, exec_lo
	v_cmpx_ne_u16_e32 0x80, v7
	s_cbranch_execz .LBB450_6992
; %bb.6987:                             ;   in Loop: Header=BB450_3110 Depth=1
	v_bfe_u32 v140, v3, 16, 7
	v_mov_b32_e32 v6, 0x7f800001
	s_mov_b32 s25, exec_lo
	s_delay_alu instid0(VALU_DEP_2)
	v_cmpx_ne_u32_e32 0x7f, v140
	s_cbranch_execz .LBB450_6991
; %bb.6988:                             ;   in Loop: Header=BB450_3110 Depth=1
	v_and_b32_e32 v12, 7, v139
	s_mov_b32 s26, exec_lo
	s_delay_alu instid0(VALU_DEP_1)
	v_dual_mov_b32 v6, v12 :: v_dual_mov_b32 v7, v13
	v_lshrrev_b32_e32 v7, 3, v140
	v_cmpx_gt_u32_e32 8, v140
; %bb.6989:                             ;   in Loop: Header=BB450_3110 Depth=1
	v_clz_i32_u32_e32 v6, v12
	s_delay_alu instid0(VALU_DEP_1) | instskip(NEXT) | instid1(VALU_DEP_1)
	v_min_u32_e32 v140, 32, v6
	v_subrev_nc_u32_e32 v6, 28, v140
	s_delay_alu instid0(VALU_DEP_1) | instskip(SKIP_1) | instid1(VALU_DEP_2)
	v_lshlrev_b64 v[6:7], v6, v[12:13]
	v_sub_nc_u32_e32 v7, 29, v140
	v_and_b32_e32 v6, 7, v6
; %bb.6990:                             ;   in Loop: Header=BB450_3110 Depth=1
	s_or_b32 exec_lo, exec_lo, s26
	v_lshlrev_b32_e32 v12, 24, v139
	s_delay_alu instid0(VALU_DEP_2) | instskip(SKIP_1) | instid1(VALU_DEP_3)
	v_lshlrev_b32_e32 v6, 20, v6
	v_lshl_add_u32 v7, v7, 23, 0x3c000000
	v_and_b32_e32 v12, 0x80000000, v12
	s_delay_alu instid0(VALU_DEP_1)
	v_or3_b32 v6, v6, v12, v7
.LBB450_6991:                           ;   in Loop: Header=BB450_3110 Depth=1
	s_or_b32 exec_lo, exec_lo, s25
.LBB450_6992:                           ;   in Loop: Header=BB450_3110 Depth=1
	s_delay_alu instid0(SALU_CYCLE_1)
	s_or_b32 exec_lo, exec_lo, s24
.LBB450_6993:                           ;   in Loop: Header=BB450_3110 Depth=1
	s_delay_alu instid0(SALU_CYCLE_1) | instskip(NEXT) | instid1(VALU_DEP_1)
	s_or_b32 exec_lo, exec_lo, s23
	v_mul_f32_e32 v6, v160, v6
                                        ; implicit-def: $vgpr139
	s_delay_alu instid0(VALU_DEP_1) | instskip(NEXT) | instid1(VALU_DEP_1)
	v_and_b32_e32 v7, 0x7f800000, v6
	v_cmp_ne_u32_e64 s9, 0x7f800000, v7
	s_delay_alu instid0(VALU_DEP_1) | instskip(NEXT) | instid1(SALU_CYCLE_1)
	s_and_saveexec_b32 s23, s9
	s_xor_b32 s9, exec_lo, s23
; %bb.6994:                             ;   in Loop: Header=BB450_3110 Depth=1
	v_bfe_u32 v7, v6, 16, 1
	s_delay_alu instid0(VALU_DEP_1)
	v_add3_u32 v139, v6, v7, 0x7fff
                                        ; implicit-def: $vgpr6
; %bb.6995:                             ;   in Loop: Header=BB450_3110 Depth=1
	s_and_not1_saveexec_b32 s23, s9
; %bb.6996:                             ;   in Loop: Header=BB450_3110 Depth=1
	v_and_b32_e32 v7, 0xffff, v6
	v_or_b32_e32 v12, 0x10000, v6
	s_delay_alu instid0(VALU_DEP_2) | instskip(NEXT) | instid1(VALU_DEP_1)
	v_cmp_eq_u32_e64 s9, 0, v7
	v_cndmask_b32_e64 v139, v12, v6, s9
; %bb.6997:                             ;   in Loop: Header=BB450_3110 Depth=1
	s_or_b32 exec_lo, exec_lo, s23
	v_cmp_lt_u64_e64 s9, s[18:19], v[2:3]
	v_mov_b32_e32 v2, 0
	s_delay_alu instid0(VALU_DEP_2)
	s_and_saveexec_b32 s23, s9
	s_cbranch_execz .LBB450_7005
; %bb.6998:                             ;   in Loop: Header=BB450_3110 Depth=1
	v_lshrrev_b32_e32 v6, 24, v3
	v_bfrev_b32_e32 v2, 1
	s_mov_b32 s24, exec_lo
	s_delay_alu instid0(VALU_DEP_2)
	v_cmpx_ne_u32_e32 0x80, v6
	s_cbranch_execz .LBB450_7004
; %bb.6999:                             ;   in Loop: Header=BB450_3110 Depth=1
	v_bfe_u32 v7, v3, 24, 7
	v_mov_b32_e32 v2, 0x7f800001
	s_mov_b32 s25, exec_lo
	s_delay_alu instid0(VALU_DEP_2)
	v_cmpx_ne_u32_e32 0x7f, v7
	s_cbranch_execz .LBB450_7003
; %bb.7000:                             ;   in Loop: Header=BB450_3110 Depth=1
	v_and_b32_e32 v12, 7, v6
	s_mov_b32 s26, exec_lo
	s_delay_alu instid0(VALU_DEP_1)
	v_dual_mov_b32 v2, v12 :: v_dual_mov_b32 v3, v13
	v_lshrrev_b32_e32 v3, 3, v7
	v_cmpx_gt_u32_e32 8, v7
; %bb.7001:                             ;   in Loop: Header=BB450_3110 Depth=1
	v_clz_i32_u32_e32 v2, v12
	s_delay_alu instid0(VALU_DEP_1) | instskip(NEXT) | instid1(VALU_DEP_1)
	v_min_u32_e32 v7, 32, v2
	v_subrev_nc_u32_e32 v2, 28, v7
	s_delay_alu instid0(VALU_DEP_1) | instskip(SKIP_1) | instid1(VALU_DEP_2)
	v_lshlrev_b64 v[2:3], v2, v[12:13]
	v_sub_nc_u32_e32 v3, 29, v7
	v_and_b32_e32 v2, 7, v2
; %bb.7002:                             ;   in Loop: Header=BB450_3110 Depth=1
	s_or_b32 exec_lo, exec_lo, s26
	v_lshlrev_b32_e32 v6, 24, v6
	s_delay_alu instid0(VALU_DEP_2) | instskip(SKIP_1) | instid1(VALU_DEP_3)
	v_lshlrev_b32_e32 v2, 20, v2
	v_lshl_add_u32 v3, v3, 23, 0x3c000000
	v_and_b32_e32 v6, 0x80000000, v6
	s_delay_alu instid0(VALU_DEP_1)
	v_or3_b32 v2, v2, v6, v3
.LBB450_7003:                           ;   in Loop: Header=BB450_3110 Depth=1
	s_or_b32 exec_lo, exec_lo, s25
.LBB450_7004:                           ;   in Loop: Header=BB450_3110 Depth=1
	s_delay_alu instid0(SALU_CYCLE_1)
	s_or_b32 exec_lo, exec_lo, s24
.LBB450_7005:                           ;   in Loop: Header=BB450_3110 Depth=1
	s_delay_alu instid0(SALU_CYCLE_1) | instskip(NEXT) | instid1(VALU_DEP_1)
	s_or_b32 exec_lo, exec_lo, s23
	v_mul_f32_e32 v3, v160, v2
	s_delay_alu instid0(VALU_DEP_1) | instskip(NEXT) | instid1(VALU_DEP_1)
	v_and_b32_e32 v2, 0x7f800000, v3
	v_cmp_ne_u32_e64 s9, 0x7f800000, v2
                                        ; implicit-def: $vgpr2
	s_delay_alu instid0(VALU_DEP_1) | instskip(NEXT) | instid1(SALU_CYCLE_1)
	s_and_saveexec_b32 s23, s9
	s_xor_b32 s9, exec_lo, s23
; %bb.7006:                             ;   in Loop: Header=BB450_3110 Depth=1
	v_bfe_u32 v2, v3, 16, 1
	s_delay_alu instid0(VALU_DEP_1)
	v_add3_u32 v2, v3, v2, 0x7fff
                                        ; implicit-def: $vgpr3
; %bb.7007:                             ;   in Loop: Header=BB450_3110 Depth=1
	s_and_not1_saveexec_b32 s23, s9
; %bb.7008:                             ;   in Loop: Header=BB450_3110 Depth=1
	v_and_b32_e32 v2, 0xffff, v3
	v_or_b32_e32 v6, 0x10000, v3
	s_delay_alu instid0(VALU_DEP_2) | instskip(NEXT) | instid1(VALU_DEP_1)
	v_cmp_eq_u32_e64 s9, 0, v2
	v_cndmask_b32_e64 v2, v6, v3, s9
; %bb.7009:                             ;   in Loop: Header=BB450_3110 Depth=1
	s_or_b32 exec_lo, exec_lo, s23
	v_lshrrev_b32_e32 v6, 16, v138
	v_lshrrev_b32_e32 v7, 16, v137
	;; [unrolled: 1-line block ×8, first 2 shown]
	s_and_saveexec_b32 s9, s1
; %bb.7010:                             ;   in Loop: Header=BB450_3110 Depth=1
	s_delay_alu instid0(VALU_DEP_3)
	v_cndmask_b32_e32 v5, 0, v5, vcc_lo
	v_cndmask_b32_e64 v21, 0, v21, s2
	v_cndmask_b32_e64 v37, 0, v37, s3
	;; [unrolled: 1-line block ×7, first 2 shown]
; %bb.7011:                             ;   in Loop: Header=BB450_3110 Depth=1
	s_or_b32 exec_lo, exec_lo, s9
	v_lshlrev_b32_e32 v5, 16, v5
	s_delay_alu instid0(VALU_DEP_1) | instskip(NEXT) | instid1(VALU_DEP_1)
	v_mul_f32_e32 v38, v161, v5
	v_and_b32_e32 v5, 0x7f800000, v38
	s_delay_alu instid0(VALU_DEP_1) | instskip(NEXT) | instid1(VALU_DEP_1)
	v_cmp_ne_u32_e64 s9, 0x7f800000, v5
                                        ; implicit-def: $vgpr5
	s_and_saveexec_b32 s23, s9
	s_delay_alu instid0(SALU_CYCLE_1)
	s_xor_b32 s9, exec_lo, s23
; %bb.7012:                             ;   in Loop: Header=BB450_3110 Depth=1
	v_bfe_u32 v5, v38, 16, 1
	s_delay_alu instid0(VALU_DEP_1)
	v_add3_u32 v5, v38, v5, 0x7fff
                                        ; implicit-def: $vgpr38
; %bb.7013:                             ;   in Loop: Header=BB450_3110 Depth=1
	s_and_not1_saveexec_b32 s23, s9
; %bb.7014:                             ;   in Loop: Header=BB450_3110 Depth=1
	v_and_b32_e32 v5, 0xffff, v38
	v_or_b32_e32 v137, 0x10000, v38
	s_delay_alu instid0(VALU_DEP_2) | instskip(NEXT) | instid1(VALU_DEP_1)
	v_cmp_eq_u32_e64 s9, 0, v5
	v_cndmask_b32_e64 v5, v137, v38, s9
; %bb.7015:                             ;   in Loop: Header=BB450_3110 Depth=1
	s_or_b32 exec_lo, exec_lo, s23
	v_lshlrev_b32_e32 v21, 16, v21
	s_delay_alu instid0(VALU_DEP_1) | instskip(NEXT) | instid1(VALU_DEP_1)
	v_mul_f32_e32 v38, v162, v21
	v_and_b32_e32 v21, 0x7f800000, v38
	s_delay_alu instid0(VALU_DEP_1) | instskip(NEXT) | instid1(VALU_DEP_1)
	v_cmp_ne_u32_e64 s9, 0x7f800000, v21
                                        ; implicit-def: $vgpr21
	s_and_saveexec_b32 s23, s9
	s_delay_alu instid0(SALU_CYCLE_1)
	s_xor_b32 s9, exec_lo, s23
; %bb.7016:                             ;   in Loop: Header=BB450_3110 Depth=1
	v_bfe_u32 v21, v38, 16, 1
	s_delay_alu instid0(VALU_DEP_1)
	v_add3_u32 v21, v38, v21, 0x7fff
                                        ; implicit-def: $vgpr38
; %bb.7017:                             ;   in Loop: Header=BB450_3110 Depth=1
	s_and_not1_saveexec_b32 s23, s9
; %bb.7018:                             ;   in Loop: Header=BB450_3110 Depth=1
	v_and_b32_e32 v21, 0xffff, v38
	v_or_b32_e32 v137, 0x10000, v38
	s_delay_alu instid0(VALU_DEP_2) | instskip(NEXT) | instid1(VALU_DEP_1)
	v_cmp_eq_u32_e64 s9, 0, v21
	v_cndmask_b32_e64 v21, v137, v38, s9
; %bb.7019:                             ;   in Loop: Header=BB450_3110 Depth=1
	s_or_b32 exec_lo, exec_lo, s23
	v_lshlrev_b32_e32 v37, 16, v37
	s_delay_alu instid0(VALU_DEP_1) | instskip(NEXT) | instid1(VALU_DEP_1)
	v_mul_f32_e32 v38, v163, v37
	v_and_b32_e32 v37, 0x7f800000, v38
	s_delay_alu instid0(VALU_DEP_1) | instskip(NEXT) | instid1(VALU_DEP_1)
	v_cmp_ne_u32_e64 s9, 0x7f800000, v37
                                        ; implicit-def: $vgpr37
	s_and_saveexec_b32 s23, s9
	s_delay_alu instid0(SALU_CYCLE_1)
	s_xor_b32 s9, exec_lo, s23
; %bb.7020:                             ;   in Loop: Header=BB450_3110 Depth=1
	v_bfe_u32 v37, v38, 16, 1
	s_delay_alu instid0(VALU_DEP_1)
	v_add3_u32 v37, v38, v37, 0x7fff
                                        ; implicit-def: $vgpr38
; %bb.7021:                             ;   in Loop: Header=BB450_3110 Depth=1
	s_and_not1_saveexec_b32 s23, s9
; %bb.7022:                             ;   in Loop: Header=BB450_3110 Depth=1
	v_and_b32_e32 v37, 0xffff, v38
	v_or_b32_e32 v137, 0x10000, v38
	s_delay_alu instid0(VALU_DEP_2) | instskip(NEXT) | instid1(VALU_DEP_1)
	v_cmp_eq_u32_e64 s9, 0, v37
	v_cndmask_b32_e64 v37, v137, v38, s9
; %bb.7023:                             ;   in Loop: Header=BB450_3110 Depth=1
	s_or_b32 exec_lo, exec_lo, s23
	v_lshlrev_b32_e32 v12, 16, v12
	s_delay_alu instid0(VALU_DEP_1) | instskip(NEXT) | instid1(VALU_DEP_1)
	v_mul_f32_e32 v12, v164, v12
	v_and_b32_e32 v38, 0x7f800000, v12
	s_delay_alu instid0(VALU_DEP_1) | instskip(NEXT) | instid1(VALU_DEP_1)
	v_cmp_ne_u32_e64 s9, 0x7f800000, v38
                                        ; implicit-def: $vgpr38
	s_and_saveexec_b32 s23, s9
	s_delay_alu instid0(SALU_CYCLE_1)
	s_xor_b32 s9, exec_lo, s23
; %bb.7024:                             ;   in Loop: Header=BB450_3110 Depth=1
	v_bfe_u32 v38, v12, 16, 1
	s_delay_alu instid0(VALU_DEP_1)
	v_add3_u32 v38, v12, v38, 0x7fff
                                        ; implicit-def: $vgpr12
; %bb.7025:                             ;   in Loop: Header=BB450_3110 Depth=1
	s_and_not1_saveexec_b32 s23, s9
; %bb.7026:                             ;   in Loop: Header=BB450_3110 Depth=1
	v_and_b32_e32 v38, 0xffff, v12
	v_or_b32_e32 v137, 0x10000, v12
	s_delay_alu instid0(VALU_DEP_2) | instskip(NEXT) | instid1(VALU_DEP_1)
	v_cmp_eq_u32_e64 s9, 0, v38
	v_cndmask_b32_e64 v38, v137, v12, s9
; %bb.7027:                             ;   in Loop: Header=BB450_3110 Depth=1
	s_or_b32 exec_lo, exec_lo, s23
	v_lshlrev_b32_e32 v7, 16, v7
                                        ; implicit-def: $vgpr137
	s_delay_alu instid0(VALU_DEP_1) | instskip(NEXT) | instid1(VALU_DEP_1)
	v_mul_f32_e32 v7, v165, v7
	v_and_b32_e32 v12, 0x7f800000, v7
	s_delay_alu instid0(VALU_DEP_1) | instskip(NEXT) | instid1(VALU_DEP_1)
	v_cmp_ne_u32_e64 s9, 0x7f800000, v12
	s_and_saveexec_b32 s23, s9
	s_delay_alu instid0(SALU_CYCLE_1)
	s_xor_b32 s9, exec_lo, s23
; %bb.7028:                             ;   in Loop: Header=BB450_3110 Depth=1
	v_bfe_u32 v12, v7, 16, 1
	s_delay_alu instid0(VALU_DEP_1)
	v_add3_u32 v137, v7, v12, 0x7fff
                                        ; implicit-def: $vgpr7
; %bb.7029:                             ;   in Loop: Header=BB450_3110 Depth=1
	s_and_not1_saveexec_b32 s23, s9
; %bb.7030:                             ;   in Loop: Header=BB450_3110 Depth=1
	v_and_b32_e32 v12, 0xffff, v7
	v_or_b32_e32 v137, 0x10000, v7
	s_delay_alu instid0(VALU_DEP_2) | instskip(NEXT) | instid1(VALU_DEP_1)
	v_cmp_eq_u32_e64 s9, 0, v12
	v_cndmask_b32_e64 v137, v137, v7, s9
; %bb.7031:                             ;   in Loop: Header=BB450_3110 Depth=1
	s_or_b32 exec_lo, exec_lo, s23
	v_lshlrev_b32_e32 v6, 16, v6
                                        ; implicit-def: $vgpr138
	s_delay_alu instid0(VALU_DEP_1) | instskip(NEXT) | instid1(VALU_DEP_1)
	v_mul_f32_e32 v6, v166, v6
	v_and_b32_e32 v7, 0x7f800000, v6
	s_delay_alu instid0(VALU_DEP_1) | instskip(NEXT) | instid1(VALU_DEP_1)
	v_cmp_ne_u32_e64 s9, 0x7f800000, v7
	s_and_saveexec_b32 s23, s9
	s_delay_alu instid0(SALU_CYCLE_1)
	s_xor_b32 s9, exec_lo, s23
; %bb.7032:                             ;   in Loop: Header=BB450_3110 Depth=1
	v_bfe_u32 v7, v6, 16, 1
	s_delay_alu instid0(VALU_DEP_1)
	v_add3_u32 v138, v6, v7, 0x7fff
                                        ; implicit-def: $vgpr6
; %bb.7033:                             ;   in Loop: Header=BB450_3110 Depth=1
	s_and_not1_saveexec_b32 s23, s9
; %bb.7034:                             ;   in Loop: Header=BB450_3110 Depth=1
	v_and_b32_e32 v7, 0xffff, v6
	v_or_b32_e32 v12, 0x10000, v6
	s_delay_alu instid0(VALU_DEP_2) | instskip(NEXT) | instid1(VALU_DEP_1)
	v_cmp_eq_u32_e64 s9, 0, v7
	v_cndmask_b32_e64 v138, v12, v6, s9
; %bb.7035:                             ;   in Loop: Header=BB450_3110 Depth=1
	s_or_b32 exec_lo, exec_lo, s23
	v_lshlrev_b32_e32 v3, 16, v3
                                        ; implicit-def: $vgpr139
	s_delay_alu instid0(VALU_DEP_1) | instskip(NEXT) | instid1(VALU_DEP_1)
	v_mul_f32_e32 v3, v167, v3
	v_and_b32_e32 v6, 0x7f800000, v3
	s_delay_alu instid0(VALU_DEP_1) | instskip(NEXT) | instid1(VALU_DEP_1)
	v_cmp_ne_u32_e64 s9, 0x7f800000, v6
	s_and_saveexec_b32 s23, s9
	s_delay_alu instid0(SALU_CYCLE_1)
	s_xor_b32 s9, exec_lo, s23
; %bb.7036:                             ;   in Loop: Header=BB450_3110 Depth=1
	v_bfe_u32 v6, v3, 16, 1
	s_delay_alu instid0(VALU_DEP_1)
	v_add3_u32 v139, v3, v6, 0x7fff
                                        ; implicit-def: $vgpr3
; %bb.7037:                             ;   in Loop: Header=BB450_3110 Depth=1
	s_and_not1_saveexec_b32 s23, s9
; %bb.7038:                             ;   in Loop: Header=BB450_3110 Depth=1
	v_and_b32_e32 v6, 0xffff, v3
	v_or_b32_e32 v7, 0x10000, v3
	s_delay_alu instid0(VALU_DEP_2) | instskip(NEXT) | instid1(VALU_DEP_1)
	v_cmp_eq_u32_e64 s9, 0, v6
	v_cndmask_b32_e64 v139, v7, v3, s9
; %bb.7039:                             ;   in Loop: Header=BB450_3110 Depth=1
	s_or_b32 exec_lo, exec_lo, s23
	v_lshlrev_b32_e32 v2, 16, v2
                                        ; implicit-def: $vgpr140
	s_delay_alu instid0(VALU_DEP_1) | instskip(NEXT) | instid1(VALU_DEP_1)
	v_mul_f32_e32 v2, v176, v2
	v_and_b32_e32 v3, 0x7f800000, v2
	s_delay_alu instid0(VALU_DEP_1) | instskip(NEXT) | instid1(VALU_DEP_1)
	v_cmp_ne_u32_e64 s9, 0x7f800000, v3
	s_and_saveexec_b32 s23, s9
	s_delay_alu instid0(SALU_CYCLE_1)
	s_xor_b32 s9, exec_lo, s23
; %bb.7040:                             ;   in Loop: Header=BB450_3110 Depth=1
	v_bfe_u32 v3, v2, 16, 1
	s_delay_alu instid0(VALU_DEP_1)
	v_add3_u32 v140, v2, v3, 0x7fff
                                        ; implicit-def: $vgpr2
; %bb.7041:                             ;   in Loop: Header=BB450_3110 Depth=1
	s_and_not1_saveexec_b32 s23, s9
; %bb.7042:                             ;   in Loop: Header=BB450_3110 Depth=1
	v_and_b32_e32 v3, 0xffff, v2
	v_or_b32_e32 v6, 0x10000, v2
	s_delay_alu instid0(VALU_DEP_2) | instskip(NEXT) | instid1(VALU_DEP_1)
	v_cmp_eq_u32_e64 s9, 0, v3
	v_cndmask_b32_e64 v140, v6, v2, s9
; %bb.7043:                             ;   in Loop: Header=BB450_3110 Depth=1
	s_or_b32 exec_lo, exec_lo, s23
	scratch_load_b32 v2, off, s32 offset:936 ; 4-byte Folded Reload
	s_mov_b32 s23, exec_lo
	v_mov_b32_e32 v6, 0
	s_waitcnt vmcnt(0)
	v_add_co_u32 v2, s9, v0, v2
	s_delay_alu instid0(VALU_DEP_1) | instskip(SKIP_3) | instid1(VALU_DEP_1)
	v_add_co_ci_u32_e64 v3, s9, 0, v1, s9
	flat_load_b64 v[2:3], v[2:3]
	s_waitcnt vmcnt(0) lgkmcnt(0)
	v_and_b32_e32 v7, 0xff, v2
	v_cmpx_ne_u16_e32 0, v7
	s_cbranch_execz .LBB450_7051
; %bb.7044:                             ;   in Loop: Header=BB450_3110 Depth=1
	v_bfrev_b32_e32 v6, 1
	s_mov_b32 s24, exec_lo
	v_cmpx_ne_u16_e32 0x80, v7
	s_cbranch_execz .LBB450_7050
; %bb.7045:                             ;   in Loop: Header=BB450_3110 Depth=1
	v_and_b32_e32 v7, 0x7f, v2
	v_mov_b32_e32 v6, 0x7f800001
	s_mov_b32 s25, exec_lo
	s_delay_alu instid0(VALU_DEP_2)
	v_cmpx_ne_u32_e32 0x7f, v7
	s_cbranch_execz .LBB450_7049
; %bb.7046:                             ;   in Loop: Header=BB450_3110 Depth=1
	v_lshrrev_b32_e32 v12, 3, v7
	v_cmp_gt_u32_e64 s9, 8, v7
	v_dual_mov_b32 v7, v3 :: v_dual_mov_b32 v6, v2
	s_delay_alu instid0(VALU_DEP_2)
	s_and_saveexec_b32 s26, s9
; %bb.7047:                             ;   in Loop: Header=BB450_3110 Depth=1
	v_and_b32_e32 v6, 7, v2
	s_delay_alu instid0(VALU_DEP_1) | instskip(NEXT) | instid1(VALU_DEP_1)
	v_clz_i32_u32_e32 v6, v6
	v_min_u32_e32 v12, 32, v6
	s_delay_alu instid0(VALU_DEP_1) | instskip(SKIP_1) | instid1(VALU_DEP_2)
	v_subrev_nc_u32_e32 v6, 28, v12
	v_sub_nc_u32_e32 v12, 29, v12
	v_lshlrev_b64 v[6:7], v6, v[2:3]
; %bb.7048:                             ;   in Loop: Header=BB450_3110 Depth=1
	s_or_b32 exec_lo, exec_lo, s26
	s_delay_alu instid0(VALU_DEP_1) | instskip(SKIP_2) | instid1(VALU_DEP_3)
	v_lshlrev_b32_e32 v6, 20, v6
	v_lshlrev_b32_e32 v7, 24, v2
	v_lshl_add_u32 v12, v12, 23, 0x3c000000
	v_and_b32_e32 v6, 0x700000, v6
	s_delay_alu instid0(VALU_DEP_3) | instskip(NEXT) | instid1(VALU_DEP_1)
	v_and_b32_e32 v7, 0x80000000, v7
	v_or3_b32 v6, v6, v7, v12
.LBB450_7049:                           ;   in Loop: Header=BB450_3110 Depth=1
	s_or_b32 exec_lo, exec_lo, s25
.LBB450_7050:                           ;   in Loop: Header=BB450_3110 Depth=1
	s_delay_alu instid0(SALU_CYCLE_1)
	s_or_b32 exec_lo, exec_lo, s24
.LBB450_7051:                           ;   in Loop: Header=BB450_3110 Depth=1
	s_delay_alu instid0(SALU_CYCLE_1) | instskip(NEXT) | instid1(VALU_DEP_1)
	s_or_b32 exec_lo, exec_lo, s23
	v_mul_f32_e32 v6, v160, v6
                                        ; implicit-def: $vgpr141
	s_delay_alu instid0(VALU_DEP_1) | instskip(NEXT) | instid1(VALU_DEP_1)
	v_and_b32_e32 v7, 0x7f800000, v6
	v_cmp_ne_u32_e64 s9, 0x7f800000, v7
	s_delay_alu instid0(VALU_DEP_1) | instskip(NEXT) | instid1(SALU_CYCLE_1)
	s_and_saveexec_b32 s23, s9
	s_xor_b32 s9, exec_lo, s23
; %bb.7052:                             ;   in Loop: Header=BB450_3110 Depth=1
	v_bfe_u32 v7, v6, 16, 1
	s_delay_alu instid0(VALU_DEP_1)
	v_add3_u32 v141, v6, v7, 0x7fff
                                        ; implicit-def: $vgpr6
; %bb.7053:                             ;   in Loop: Header=BB450_3110 Depth=1
	s_and_not1_saveexec_b32 s23, s9
; %bb.7054:                             ;   in Loop: Header=BB450_3110 Depth=1
	v_and_b32_e32 v7, 0xffff, v6
	v_or_b32_e32 v12, 0x10000, v6
	s_delay_alu instid0(VALU_DEP_2) | instskip(NEXT) | instid1(VALU_DEP_1)
	v_cmp_eq_u32_e64 s9, 0, v7
	v_cndmask_b32_e64 v141, v12, v6, s9
; %bb.7055:                             ;   in Loop: Header=BB450_3110 Depth=1
	s_or_b32 exec_lo, exec_lo, s23
	v_lshrrev_b16 v7, 8, v2
	v_mov_b32_e32 v6, 0
	s_mov_b32 s23, exec_lo
	s_delay_alu instid0(VALU_DEP_2)
	v_cmpx_ne_u16_e32 0, v7
	s_cbranch_execz .LBB450_7063
; %bb.7056:                             ;   in Loop: Header=BB450_3110 Depth=1
	v_bfrev_b32_e32 v6, 1
	s_mov_b32 s24, exec_lo
	v_cmpx_ne_u16_e32 0x80, v7
	s_cbranch_execz .LBB450_7062
; %bb.7057:                             ;   in Loop: Header=BB450_3110 Depth=1
	v_and_b32_e32 v7, 0xffff, v7
	v_mov_b32_e32 v6, 0x7f800001
	s_mov_b32 s25, exec_lo
	s_delay_alu instid0(VALU_DEP_2) | instskip(NEXT) | instid1(VALU_DEP_1)
	v_and_b32_e32 v142, 0x7f, v7
	v_cmpx_ne_u32_e32 0x7f, v142
	s_cbranch_execz .LBB450_7061
; %bb.7058:                             ;   in Loop: Header=BB450_3110 Depth=1
	v_and_b32_e32 v12, 7, v7
	s_mov_b32 s26, exec_lo
	s_delay_alu instid0(VALU_DEP_1)
	v_dual_mov_b32 v6, v12 :: v_dual_mov_b32 v7, v13
	v_lshrrev_b32_e32 v7, 3, v142
	v_cmpx_gt_u32_e32 8, v142
; %bb.7059:                             ;   in Loop: Header=BB450_3110 Depth=1
	v_clz_i32_u32_e32 v6, v12
	s_delay_alu instid0(VALU_DEP_1) | instskip(NEXT) | instid1(VALU_DEP_1)
	v_min_u32_e32 v142, 32, v6
	v_subrev_nc_u32_e32 v6, 28, v142
	s_delay_alu instid0(VALU_DEP_1) | instskip(SKIP_1) | instid1(VALU_DEP_2)
	v_lshlrev_b64 v[6:7], v6, v[12:13]
	v_sub_nc_u32_e32 v7, 29, v142
	v_and_b32_e32 v6, 7, v6
; %bb.7060:                             ;   in Loop: Header=BB450_3110 Depth=1
	s_or_b32 exec_lo, exec_lo, s26
	v_lshlrev_b32_e32 v12, 16, v2
	s_delay_alu instid0(VALU_DEP_2) | instskip(SKIP_1) | instid1(VALU_DEP_3)
	v_lshlrev_b32_e32 v6, 20, v6
	v_lshl_add_u32 v7, v7, 23, 0x3c000000
	v_and_b32_e32 v12, 0x80000000, v12
	s_delay_alu instid0(VALU_DEP_1)
	v_or3_b32 v6, v6, v12, v7
.LBB450_7061:                           ;   in Loop: Header=BB450_3110 Depth=1
	s_or_b32 exec_lo, exec_lo, s25
.LBB450_7062:                           ;   in Loop: Header=BB450_3110 Depth=1
	s_delay_alu instid0(SALU_CYCLE_1)
	s_or_b32 exec_lo, exec_lo, s24
.LBB450_7063:                           ;   in Loop: Header=BB450_3110 Depth=1
	s_delay_alu instid0(SALU_CYCLE_1) | instskip(NEXT) | instid1(VALU_DEP_1)
	s_or_b32 exec_lo, exec_lo, s23
	v_mul_f32_e32 v6, v160, v6
                                        ; implicit-def: $vgpr142
	s_delay_alu instid0(VALU_DEP_1) | instskip(NEXT) | instid1(VALU_DEP_1)
	v_and_b32_e32 v7, 0x7f800000, v6
	v_cmp_ne_u32_e64 s9, 0x7f800000, v7
	s_delay_alu instid0(VALU_DEP_1) | instskip(NEXT) | instid1(SALU_CYCLE_1)
	s_and_saveexec_b32 s23, s9
	s_xor_b32 s9, exec_lo, s23
; %bb.7064:                             ;   in Loop: Header=BB450_3110 Depth=1
	v_bfe_u32 v7, v6, 16, 1
	s_delay_alu instid0(VALU_DEP_1)
	v_add3_u32 v142, v6, v7, 0x7fff
                                        ; implicit-def: $vgpr6
; %bb.7065:                             ;   in Loop: Header=BB450_3110 Depth=1
	s_and_not1_saveexec_b32 s23, s9
; %bb.7066:                             ;   in Loop: Header=BB450_3110 Depth=1
	v_and_b32_e32 v7, 0xffff, v6
	v_or_b32_e32 v12, 0x10000, v6
	s_delay_alu instid0(VALU_DEP_2) | instskip(NEXT) | instid1(VALU_DEP_1)
	v_cmp_eq_u32_e64 s9, 0, v7
	v_cndmask_b32_e64 v142, v12, v6, s9
; %bb.7067:                             ;   in Loop: Header=BB450_3110 Depth=1
	s_or_b32 exec_lo, exec_lo, s23
	v_lshrrev_b32_e32 v143, 16, v2
	s_mov_b32 s23, exec_lo
	s_delay_alu instid0(VALU_DEP_1) | instskip(NEXT) | instid1(VALU_DEP_1)
	v_dual_mov_b32 v6, 0 :: v_dual_and_b32 v7, 0xff, v143
	v_cmpx_ne_u16_e32 0, v7
	s_cbranch_execz .LBB450_7075
; %bb.7068:                             ;   in Loop: Header=BB450_3110 Depth=1
	v_bfrev_b32_e32 v6, 1
	s_mov_b32 s24, exec_lo
	v_cmpx_ne_u16_e32 0x80, v7
	s_cbranch_execz .LBB450_7074
; %bb.7069:                             ;   in Loop: Header=BB450_3110 Depth=1
	v_bfe_u32 v152, v2, 16, 7
	v_mov_b32_e32 v6, 0x7f800001
	s_mov_b32 s25, exec_lo
	s_delay_alu instid0(VALU_DEP_2)
	v_cmpx_ne_u32_e32 0x7f, v152
	s_cbranch_execz .LBB450_7073
; %bb.7070:                             ;   in Loop: Header=BB450_3110 Depth=1
	v_and_b32_e32 v12, 7, v143
	s_mov_b32 s26, exec_lo
	s_delay_alu instid0(VALU_DEP_1)
	v_dual_mov_b32 v6, v12 :: v_dual_mov_b32 v7, v13
	v_lshrrev_b32_e32 v7, 3, v152
	v_cmpx_gt_u32_e32 8, v152
; %bb.7071:                             ;   in Loop: Header=BB450_3110 Depth=1
	v_clz_i32_u32_e32 v6, v12
	s_delay_alu instid0(VALU_DEP_1) | instskip(NEXT) | instid1(VALU_DEP_1)
	v_min_u32_e32 v152, 32, v6
	v_subrev_nc_u32_e32 v6, 28, v152
	s_delay_alu instid0(VALU_DEP_1) | instskip(SKIP_1) | instid1(VALU_DEP_2)
	v_lshlrev_b64 v[6:7], v6, v[12:13]
	v_sub_nc_u32_e32 v7, 29, v152
	v_and_b32_e32 v6, 7, v6
; %bb.7072:                             ;   in Loop: Header=BB450_3110 Depth=1
	s_or_b32 exec_lo, exec_lo, s26
	v_lshlrev_b32_e32 v12, 24, v143
	s_delay_alu instid0(VALU_DEP_2) | instskip(SKIP_1) | instid1(VALU_DEP_3)
	v_lshlrev_b32_e32 v6, 20, v6
	v_lshl_add_u32 v7, v7, 23, 0x3c000000
	v_and_b32_e32 v12, 0x80000000, v12
	s_delay_alu instid0(VALU_DEP_1)
	v_or3_b32 v6, v6, v12, v7
.LBB450_7073:                           ;   in Loop: Header=BB450_3110 Depth=1
	s_or_b32 exec_lo, exec_lo, s25
.LBB450_7074:                           ;   in Loop: Header=BB450_3110 Depth=1
	s_delay_alu instid0(SALU_CYCLE_1)
	s_or_b32 exec_lo, exec_lo, s24
.LBB450_7075:                           ;   in Loop: Header=BB450_3110 Depth=1
	s_delay_alu instid0(SALU_CYCLE_1) | instskip(NEXT) | instid1(VALU_DEP_1)
	s_or_b32 exec_lo, exec_lo, s23
	v_mul_f32_e32 v6, v160, v6
                                        ; implicit-def: $vgpr143
	s_delay_alu instid0(VALU_DEP_1) | instskip(NEXT) | instid1(VALU_DEP_1)
	v_and_b32_e32 v7, 0x7f800000, v6
	v_cmp_ne_u32_e64 s9, 0x7f800000, v7
	s_delay_alu instid0(VALU_DEP_1) | instskip(NEXT) | instid1(SALU_CYCLE_1)
	s_and_saveexec_b32 s23, s9
	s_xor_b32 s9, exec_lo, s23
; %bb.7076:                             ;   in Loop: Header=BB450_3110 Depth=1
	v_bfe_u32 v7, v6, 16, 1
	s_delay_alu instid0(VALU_DEP_1)
	v_add3_u32 v143, v6, v7, 0x7fff
                                        ; implicit-def: $vgpr6
; %bb.7077:                             ;   in Loop: Header=BB450_3110 Depth=1
	s_and_not1_saveexec_b32 s23, s9
; %bb.7078:                             ;   in Loop: Header=BB450_3110 Depth=1
	v_and_b32_e32 v7, 0xffff, v6
	v_or_b32_e32 v12, 0x10000, v6
	s_delay_alu instid0(VALU_DEP_2) | instskip(NEXT) | instid1(VALU_DEP_1)
	v_cmp_eq_u32_e64 s9, 0, v7
	v_cndmask_b32_e64 v143, v12, v6, s9
; %bb.7079:                             ;   in Loop: Header=BB450_3110 Depth=1
	s_or_b32 exec_lo, exec_lo, s23
	v_mov_b32_e32 v6, 0
	s_mov_b32 s23, exec_lo
	v_cmpx_lt_u32_e32 0xffffff, v2
	s_cbranch_execz .LBB450_7087
; %bb.7080:                             ;   in Loop: Header=BB450_3110 Depth=1
	v_lshrrev_b32_e32 v152, 24, v2
	v_bfrev_b32_e32 v6, 1
	s_mov_b32 s24, exec_lo
	s_delay_alu instid0(VALU_DEP_2)
	v_cmpx_ne_u32_e32 0x80, v152
	s_cbranch_execz .LBB450_7086
; %bb.7081:                             ;   in Loop: Header=BB450_3110 Depth=1
	v_bfe_u32 v153, v2, 24, 7
	v_mov_b32_e32 v6, 0x7f800001
	s_mov_b32 s25, exec_lo
	s_delay_alu instid0(VALU_DEP_2)
	v_cmpx_ne_u32_e32 0x7f, v153
	s_cbranch_execz .LBB450_7085
; %bb.7082:                             ;   in Loop: Header=BB450_3110 Depth=1
	v_and_b32_e32 v12, 7, v152
	s_mov_b32 s26, exec_lo
	s_delay_alu instid0(VALU_DEP_1)
	v_dual_mov_b32 v6, v12 :: v_dual_mov_b32 v7, v13
	v_lshrrev_b32_e32 v7, 3, v153
	v_cmpx_gt_u32_e32 8, v153
; %bb.7083:                             ;   in Loop: Header=BB450_3110 Depth=1
	v_clz_i32_u32_e32 v6, v12
	s_delay_alu instid0(VALU_DEP_1) | instskip(NEXT) | instid1(VALU_DEP_1)
	v_min_u32_e32 v153, 32, v6
	v_subrev_nc_u32_e32 v6, 28, v153
	s_delay_alu instid0(VALU_DEP_1) | instskip(SKIP_1) | instid1(VALU_DEP_2)
	v_lshlrev_b64 v[6:7], v6, v[12:13]
	v_sub_nc_u32_e32 v7, 29, v153
	v_and_b32_e32 v6, 7, v6
; %bb.7084:                             ;   in Loop: Header=BB450_3110 Depth=1
	s_or_b32 exec_lo, exec_lo, s26
	v_lshlrev_b32_e32 v12, 24, v152
	s_delay_alu instid0(VALU_DEP_2) | instskip(SKIP_1) | instid1(VALU_DEP_3)
	v_lshlrev_b32_e32 v6, 20, v6
	v_lshl_add_u32 v7, v7, 23, 0x3c000000
	v_and_b32_e32 v12, 0x80000000, v12
	s_delay_alu instid0(VALU_DEP_1)
	v_or3_b32 v6, v6, v12, v7
.LBB450_7085:                           ;   in Loop: Header=BB450_3110 Depth=1
	s_or_b32 exec_lo, exec_lo, s25
.LBB450_7086:                           ;   in Loop: Header=BB450_3110 Depth=1
	s_delay_alu instid0(SALU_CYCLE_1)
	s_or_b32 exec_lo, exec_lo, s24
.LBB450_7087:                           ;   in Loop: Header=BB450_3110 Depth=1
	s_delay_alu instid0(SALU_CYCLE_1) | instskip(NEXT) | instid1(VALU_DEP_1)
	s_or_b32 exec_lo, exec_lo, s23
	v_mul_f32_e32 v6, v160, v6
                                        ; implicit-def: $vgpr152
	s_delay_alu instid0(VALU_DEP_1) | instskip(NEXT) | instid1(VALU_DEP_1)
	v_and_b32_e32 v7, 0x7f800000, v6
	v_cmp_ne_u32_e64 s9, 0x7f800000, v7
	s_delay_alu instid0(VALU_DEP_1) | instskip(NEXT) | instid1(SALU_CYCLE_1)
	s_and_saveexec_b32 s23, s9
	s_xor_b32 s9, exec_lo, s23
; %bb.7088:                             ;   in Loop: Header=BB450_3110 Depth=1
	v_bfe_u32 v7, v6, 16, 1
	s_delay_alu instid0(VALU_DEP_1)
	v_add3_u32 v152, v6, v7, 0x7fff
                                        ; implicit-def: $vgpr6
; %bb.7089:                             ;   in Loop: Header=BB450_3110 Depth=1
	s_and_not1_saveexec_b32 s23, s9
; %bb.7090:                             ;   in Loop: Header=BB450_3110 Depth=1
	v_and_b32_e32 v7, 0xffff, v6
	v_or_b32_e32 v12, 0x10000, v6
	s_delay_alu instid0(VALU_DEP_2) | instskip(NEXT) | instid1(VALU_DEP_1)
	v_cmp_eq_u32_e64 s9, 0, v7
	v_cndmask_b32_e64 v152, v12, v6, s9
; %bb.7091:                             ;   in Loop: Header=BB450_3110 Depth=1
	s_or_b32 exec_lo, exec_lo, s23
	v_dual_mov_b32 v12, v3 :: v_dual_and_b32 v7, 0xff, v3
	v_mov_b32_e32 v6, 0
	s_mov_b32 s23, exec_lo
	s_delay_alu instid0(VALU_DEP_2)
	v_cmpx_ne_u16_e32 0, v7
	s_cbranch_execz .LBB450_7099
; %bb.7092:                             ;   in Loop: Header=BB450_3110 Depth=1
	v_bfrev_b32_e32 v6, 1
	s_mov_b32 s24, exec_lo
	v_cmpx_ne_u16_e32 0x80, v7
	s_cbranch_execz .LBB450_7098
; %bb.7093:                             ;   in Loop: Header=BB450_3110 Depth=1
	v_and_b32_e32 v153, 0x7f, v3
	v_mov_b32_e32 v6, 0x7f800001
	s_mov_b32 s25, exec_lo
	s_delay_alu instid0(VALU_DEP_2)
	v_cmpx_ne_u32_e32 0x7f, v153
	s_cbranch_execz .LBB450_7097
; %bb.7094:                             ;   in Loop: Header=BB450_3110 Depth=1
	v_dual_mov_b32 v6, v12 :: v_dual_mov_b32 v7, v13
	v_lshrrev_b32_e32 v7, 3, v153
	s_mov_b32 s26, exec_lo
	v_cmpx_gt_u32_e32 8, v153
; %bb.7095:                             ;   in Loop: Header=BB450_3110 Depth=1
	v_and_b32_e32 v6, 7, v3
	s_delay_alu instid0(VALU_DEP_1) | instskip(NEXT) | instid1(VALU_DEP_1)
	v_clz_i32_u32_e32 v6, v6
	v_min_u32_e32 v153, 32, v6
	s_delay_alu instid0(VALU_DEP_1) | instskip(NEXT) | instid1(VALU_DEP_1)
	v_subrev_nc_u32_e32 v6, 28, v153
	v_lshlrev_b64 v[6:7], v6, v[12:13]
	v_sub_nc_u32_e32 v7, 29, v153
; %bb.7096:                             ;   in Loop: Header=BB450_3110 Depth=1
	s_or_b32 exec_lo, exec_lo, s26
	s_delay_alu instid0(VALU_DEP_2) | instskip(SKIP_1) | instid1(VALU_DEP_3)
	v_lshlrev_b32_e32 v6, 20, v6
	v_lshlrev_b32_e32 v153, 24, v12
	v_lshl_add_u32 v7, v7, 23, 0x3c000000
	s_delay_alu instid0(VALU_DEP_3) | instskip(NEXT) | instid1(VALU_DEP_3)
	v_and_b32_e32 v6, 0x700000, v6
	v_and_b32_e32 v153, 0x80000000, v153
	s_delay_alu instid0(VALU_DEP_1)
	v_or3_b32 v6, v6, v153, v7
.LBB450_7097:                           ;   in Loop: Header=BB450_3110 Depth=1
	s_or_b32 exec_lo, exec_lo, s25
.LBB450_7098:                           ;   in Loop: Header=BB450_3110 Depth=1
	s_delay_alu instid0(SALU_CYCLE_1)
	s_or_b32 exec_lo, exec_lo, s24
.LBB450_7099:                           ;   in Loop: Header=BB450_3110 Depth=1
	s_delay_alu instid0(SALU_CYCLE_1) | instskip(NEXT) | instid1(VALU_DEP_1)
	s_or_b32 exec_lo, exec_lo, s23
	v_mul_f32_e32 v6, v160, v6
                                        ; implicit-def: $vgpr153
	s_delay_alu instid0(VALU_DEP_1) | instskip(NEXT) | instid1(VALU_DEP_1)
	v_and_b32_e32 v7, 0x7f800000, v6
	v_cmp_ne_u32_e64 s9, 0x7f800000, v7
	s_delay_alu instid0(VALU_DEP_1) | instskip(NEXT) | instid1(SALU_CYCLE_1)
	s_and_saveexec_b32 s23, s9
	s_xor_b32 s9, exec_lo, s23
; %bb.7100:                             ;   in Loop: Header=BB450_3110 Depth=1
	v_bfe_u32 v7, v6, 16, 1
	s_delay_alu instid0(VALU_DEP_1)
	v_add3_u32 v153, v6, v7, 0x7fff
                                        ; implicit-def: $vgpr6
; %bb.7101:                             ;   in Loop: Header=BB450_3110 Depth=1
	s_and_not1_saveexec_b32 s23, s9
; %bb.7102:                             ;   in Loop: Header=BB450_3110 Depth=1
	v_and_b32_e32 v7, 0xffff, v6
	v_or_b32_e32 v153, 0x10000, v6
	s_delay_alu instid0(VALU_DEP_2) | instskip(NEXT) | instid1(VALU_DEP_1)
	v_cmp_eq_u32_e64 s9, 0, v7
	v_cndmask_b32_e64 v153, v153, v6, s9
; %bb.7103:                             ;   in Loop: Header=BB450_3110 Depth=1
	s_or_b32 exec_lo, exec_lo, s23
	v_lshrrev_b16 v7, 8, v12
	v_mov_b32_e32 v6, 0
	s_mov_b32 s23, exec_lo
	s_delay_alu instid0(VALU_DEP_2)
	v_cmpx_ne_u16_e32 0, v7
	s_cbranch_execz .LBB450_7111
; %bb.7104:                             ;   in Loop: Header=BB450_3110 Depth=1
	v_bfrev_b32_e32 v6, 1
	s_mov_b32 s24, exec_lo
	v_cmpx_ne_u16_e32 0x80, v7
	s_cbranch_execz .LBB450_7110
; %bb.7105:                             ;   in Loop: Header=BB450_3110 Depth=1
	v_and_b32_e32 v7, 0xffff, v7
	v_mov_b32_e32 v6, 0x7f800001
	s_mov_b32 s25, exec_lo
	s_delay_alu instid0(VALU_DEP_2) | instskip(NEXT) | instid1(VALU_DEP_1)
	v_and_b32_e32 v155, 0x7f, v7
	v_cmpx_ne_u32_e32 0x7f, v155
	s_cbranch_execz .LBB450_7109
; %bb.7106:                             ;   in Loop: Header=BB450_3110 Depth=1
	v_dual_mov_b32 v7, v13 :: v_dual_and_b32 v6, 7, v7
	v_lshrrev_b32_e32 v154, 3, v155
	s_mov_b32 s26, exec_lo
	v_cmpx_gt_u32_e32 8, v155
; %bb.7107:                             ;   in Loop: Header=BB450_3110 Depth=1
	s_delay_alu instid0(VALU_DEP_3) | instskip(NEXT) | instid1(VALU_DEP_1)
	v_clz_i32_u32_e32 v154, v6
	v_min_u32_e32 v154, 32, v154
	s_delay_alu instid0(VALU_DEP_1) | instskip(SKIP_1) | instid1(VALU_DEP_2)
	v_subrev_nc_u32_e32 v155, 28, v154
	v_sub_nc_u32_e32 v154, 29, v154
	v_lshlrev_b64 v[6:7], v155, v[6:7]
	s_delay_alu instid0(VALU_DEP_1)
	v_and_b32_e32 v6, 7, v6
; %bb.7108:                             ;   in Loop: Header=BB450_3110 Depth=1
	s_or_b32 exec_lo, exec_lo, s26
	v_lshlrev_b32_e32 v7, 16, v12
	s_delay_alu instid0(VALU_DEP_2) | instskip(SKIP_1) | instid1(VALU_DEP_3)
	v_lshlrev_b32_e32 v6, 20, v6
	v_lshl_add_u32 v12, v154, 23, 0x3c000000
	v_and_b32_e32 v7, 0x80000000, v7
	s_delay_alu instid0(VALU_DEP_1)
	v_or3_b32 v6, v6, v7, v12
.LBB450_7109:                           ;   in Loop: Header=BB450_3110 Depth=1
	s_or_b32 exec_lo, exec_lo, s25
.LBB450_7110:                           ;   in Loop: Header=BB450_3110 Depth=1
	s_delay_alu instid0(SALU_CYCLE_1)
	s_or_b32 exec_lo, exec_lo, s24
.LBB450_7111:                           ;   in Loop: Header=BB450_3110 Depth=1
	s_delay_alu instid0(SALU_CYCLE_1) | instskip(NEXT) | instid1(VALU_DEP_1)
	s_or_b32 exec_lo, exec_lo, s23
	v_mul_f32_e32 v6, v160, v6
                                        ; implicit-def: $vgpr154
	s_delay_alu instid0(VALU_DEP_1) | instskip(NEXT) | instid1(VALU_DEP_1)
	v_and_b32_e32 v7, 0x7f800000, v6
	v_cmp_ne_u32_e64 s9, 0x7f800000, v7
	s_delay_alu instid0(VALU_DEP_1) | instskip(NEXT) | instid1(SALU_CYCLE_1)
	s_and_saveexec_b32 s23, s9
	s_xor_b32 s9, exec_lo, s23
; %bb.7112:                             ;   in Loop: Header=BB450_3110 Depth=1
	v_bfe_u32 v7, v6, 16, 1
	s_delay_alu instid0(VALU_DEP_1)
	v_add3_u32 v154, v6, v7, 0x7fff
                                        ; implicit-def: $vgpr6
; %bb.7113:                             ;   in Loop: Header=BB450_3110 Depth=1
	s_and_not1_saveexec_b32 s23, s9
; %bb.7114:                             ;   in Loop: Header=BB450_3110 Depth=1
	v_and_b32_e32 v7, 0xffff, v6
	v_or_b32_e32 v12, 0x10000, v6
	s_delay_alu instid0(VALU_DEP_2) | instskip(NEXT) | instid1(VALU_DEP_1)
	v_cmp_eq_u32_e64 s9, 0, v7
	v_cndmask_b32_e64 v154, v12, v6, s9
; %bb.7115:                             ;   in Loop: Header=BB450_3110 Depth=1
	s_or_b32 exec_lo, exec_lo, s23
	v_lshrrev_b32_e32 v155, 16, v3
	s_mov_b32 s23, exec_lo
	s_delay_alu instid0(VALU_DEP_1) | instskip(NEXT) | instid1(VALU_DEP_1)
	v_dual_mov_b32 v6, 0 :: v_dual_and_b32 v7, 0xff, v155
	v_cmpx_ne_u16_e32 0, v7
	s_cbranch_execz .LBB450_7123
; %bb.7116:                             ;   in Loop: Header=BB450_3110 Depth=1
	v_bfrev_b32_e32 v6, 1
	s_mov_b32 s24, exec_lo
	v_cmpx_ne_u16_e32 0x80, v7
	s_cbranch_execz .LBB450_7122
; %bb.7117:                             ;   in Loop: Header=BB450_3110 Depth=1
	v_bfe_u32 v156, v3, 16, 7
	v_mov_b32_e32 v6, 0x7f800001
	s_mov_b32 s25, exec_lo
	s_delay_alu instid0(VALU_DEP_2)
	v_cmpx_ne_u32_e32 0x7f, v156
	s_cbranch_execz .LBB450_7121
; %bb.7118:                             ;   in Loop: Header=BB450_3110 Depth=1
	v_and_b32_e32 v12, 7, v155
	s_mov_b32 s26, exec_lo
	s_delay_alu instid0(VALU_DEP_1)
	v_dual_mov_b32 v6, v12 :: v_dual_mov_b32 v7, v13
	v_lshrrev_b32_e32 v7, 3, v156
	v_cmpx_gt_u32_e32 8, v156
; %bb.7119:                             ;   in Loop: Header=BB450_3110 Depth=1
	v_clz_i32_u32_e32 v6, v12
	s_delay_alu instid0(VALU_DEP_1) | instskip(NEXT) | instid1(VALU_DEP_1)
	v_min_u32_e32 v156, 32, v6
	v_subrev_nc_u32_e32 v6, 28, v156
	s_delay_alu instid0(VALU_DEP_1) | instskip(SKIP_1) | instid1(VALU_DEP_2)
	v_lshlrev_b64 v[6:7], v6, v[12:13]
	v_sub_nc_u32_e32 v7, 29, v156
	v_and_b32_e32 v6, 7, v6
; %bb.7120:                             ;   in Loop: Header=BB450_3110 Depth=1
	s_or_b32 exec_lo, exec_lo, s26
	v_lshlrev_b32_e32 v12, 24, v155
	s_delay_alu instid0(VALU_DEP_2) | instskip(SKIP_1) | instid1(VALU_DEP_3)
	v_lshlrev_b32_e32 v6, 20, v6
	v_lshl_add_u32 v7, v7, 23, 0x3c000000
	v_and_b32_e32 v12, 0x80000000, v12
	s_delay_alu instid0(VALU_DEP_1)
	v_or3_b32 v6, v6, v12, v7
.LBB450_7121:                           ;   in Loop: Header=BB450_3110 Depth=1
	s_or_b32 exec_lo, exec_lo, s25
.LBB450_7122:                           ;   in Loop: Header=BB450_3110 Depth=1
	s_delay_alu instid0(SALU_CYCLE_1)
	s_or_b32 exec_lo, exec_lo, s24
.LBB450_7123:                           ;   in Loop: Header=BB450_3110 Depth=1
	s_delay_alu instid0(SALU_CYCLE_1) | instskip(NEXT) | instid1(VALU_DEP_1)
	s_or_b32 exec_lo, exec_lo, s23
	v_mul_f32_e32 v7, v160, v6
	s_delay_alu instid0(VALU_DEP_1) | instskip(NEXT) | instid1(VALU_DEP_1)
	v_and_b32_e32 v6, 0x7f800000, v7
	v_cmp_ne_u32_e64 s9, 0x7f800000, v6
                                        ; implicit-def: $vgpr6
	s_delay_alu instid0(VALU_DEP_1) | instskip(NEXT) | instid1(SALU_CYCLE_1)
	s_and_saveexec_b32 s23, s9
	s_xor_b32 s9, exec_lo, s23
; %bb.7124:                             ;   in Loop: Header=BB450_3110 Depth=1
	v_bfe_u32 v6, v7, 16, 1
	s_delay_alu instid0(VALU_DEP_1)
	v_add3_u32 v6, v7, v6, 0x7fff
                                        ; implicit-def: $vgpr7
; %bb.7125:                             ;   in Loop: Header=BB450_3110 Depth=1
	s_and_not1_saveexec_b32 s23, s9
; %bb.7126:                             ;   in Loop: Header=BB450_3110 Depth=1
	v_and_b32_e32 v6, 0xffff, v7
	v_or_b32_e32 v12, 0x10000, v7
	s_delay_alu instid0(VALU_DEP_2) | instskip(NEXT) | instid1(VALU_DEP_1)
	v_cmp_eq_u32_e64 s9, 0, v6
	v_cndmask_b32_e64 v6, v12, v7, s9
; %bb.7127:                             ;   in Loop: Header=BB450_3110 Depth=1
	s_or_b32 exec_lo, exec_lo, s23
	v_cmp_lt_u64_e64 s9, s[18:19], v[2:3]
	v_mov_b32_e32 v2, 0
	s_delay_alu instid0(VALU_DEP_2)
	s_and_saveexec_b32 s23, s9
	s_cbranch_execz .LBB450_7135
; %bb.7128:                             ;   in Loop: Header=BB450_3110 Depth=1
	v_lshrrev_b32_e32 v7, 24, v3
	v_bfrev_b32_e32 v2, 1
	s_mov_b32 s24, exec_lo
	s_delay_alu instid0(VALU_DEP_2)
	v_cmpx_ne_u32_e32 0x80, v7
	s_cbranch_execz .LBB450_7134
; %bb.7129:                             ;   in Loop: Header=BB450_3110 Depth=1
	v_bfe_u32 v155, v3, 24, 7
	v_mov_b32_e32 v2, 0x7f800001
	s_mov_b32 s25, exec_lo
	s_delay_alu instid0(VALU_DEP_2)
	v_cmpx_ne_u32_e32 0x7f, v155
	s_cbranch_execz .LBB450_7133
; %bb.7130:                             ;   in Loop: Header=BB450_3110 Depth=1
	v_and_b32_e32 v12, 7, v7
	s_mov_b32 s26, exec_lo
	s_delay_alu instid0(VALU_DEP_1)
	v_dual_mov_b32 v2, v12 :: v_dual_mov_b32 v3, v13
	v_lshrrev_b32_e32 v3, 3, v155
	v_cmpx_gt_u32_e32 8, v155
; %bb.7131:                             ;   in Loop: Header=BB450_3110 Depth=1
	v_clz_i32_u32_e32 v2, v12
	s_delay_alu instid0(VALU_DEP_1) | instskip(NEXT) | instid1(VALU_DEP_1)
	v_min_u32_e32 v155, 32, v2
	v_subrev_nc_u32_e32 v2, 28, v155
	s_delay_alu instid0(VALU_DEP_1) | instskip(SKIP_1) | instid1(VALU_DEP_2)
	v_lshlrev_b64 v[2:3], v2, v[12:13]
	v_sub_nc_u32_e32 v3, 29, v155
	v_and_b32_e32 v2, 7, v2
; %bb.7132:                             ;   in Loop: Header=BB450_3110 Depth=1
	s_or_b32 exec_lo, exec_lo, s26
	v_lshlrev_b32_e32 v7, 24, v7
	s_delay_alu instid0(VALU_DEP_2) | instskip(SKIP_1) | instid1(VALU_DEP_3)
	v_lshlrev_b32_e32 v2, 20, v2
	v_lshl_add_u32 v3, v3, 23, 0x3c000000
	v_and_b32_e32 v7, 0x80000000, v7
	s_delay_alu instid0(VALU_DEP_1)
	v_or3_b32 v2, v2, v7, v3
.LBB450_7133:                           ;   in Loop: Header=BB450_3110 Depth=1
	s_or_b32 exec_lo, exec_lo, s25
.LBB450_7134:                           ;   in Loop: Header=BB450_3110 Depth=1
	s_delay_alu instid0(SALU_CYCLE_1)
	s_or_b32 exec_lo, exec_lo, s24
.LBB450_7135:                           ;   in Loop: Header=BB450_3110 Depth=1
	s_delay_alu instid0(SALU_CYCLE_1) | instskip(NEXT) | instid1(VALU_DEP_1)
	s_or_b32 exec_lo, exec_lo, s23
	v_mul_f32_e32 v3, v160, v2
	s_delay_alu instid0(VALU_DEP_1) | instskip(NEXT) | instid1(VALU_DEP_1)
	v_and_b32_e32 v2, 0x7f800000, v3
	v_cmp_ne_u32_e64 s9, 0x7f800000, v2
                                        ; implicit-def: $vgpr2
	s_delay_alu instid0(VALU_DEP_1) | instskip(NEXT) | instid1(SALU_CYCLE_1)
	s_and_saveexec_b32 s23, s9
	s_xor_b32 s9, exec_lo, s23
; %bb.7136:                             ;   in Loop: Header=BB450_3110 Depth=1
	v_bfe_u32 v2, v3, 16, 1
	s_delay_alu instid0(VALU_DEP_1)
	v_add3_u32 v2, v3, v2, 0x7fff
                                        ; implicit-def: $vgpr3
; %bb.7137:                             ;   in Loop: Header=BB450_3110 Depth=1
	s_and_not1_saveexec_b32 s23, s9
; %bb.7138:                             ;   in Loop: Header=BB450_3110 Depth=1
	v_and_b32_e32 v2, 0xffff, v3
	v_or_b32_e32 v7, 0x10000, v3
	s_delay_alu instid0(VALU_DEP_2) | instskip(NEXT) | instid1(VALU_DEP_1)
	v_cmp_eq_u32_e64 s9, 0, v2
	v_cndmask_b32_e64 v2, v7, v3, s9
; %bb.7139:                             ;   in Loop: Header=BB450_3110 Depth=1
	s_or_b32 exec_lo, exec_lo, s23
	v_lshrrev_b32_e32 v12, 16, v154
	v_lshrrev_b32_e32 v153, 16, v153
	;; [unrolled: 1-line block ×8, first 2 shown]
	s_and_saveexec_b32 s9, s1
; %bb.7140:                             ;   in Loop: Header=BB450_3110 Depth=1
	s_delay_alu instid0(VALU_DEP_3)
	v_cndmask_b32_e32 v141, 0, v141, vcc_lo
	v_cndmask_b32_e64 v7, 0, v7, s2
	v_cndmask_b32_e64 v143, 0, v143, s3
	;; [unrolled: 1-line block ×7, first 2 shown]
; %bb.7141:                             ;   in Loop: Header=BB450_3110 Depth=1
	s_or_b32 exec_lo, exec_lo, s9
	v_lshlrev_b32_e32 v6, 16, v141
	s_delay_alu instid0(VALU_DEP_1) | instskip(NEXT) | instid1(VALU_DEP_1)
	v_mul_f32_e32 v141, v161, v6
	v_and_b32_e32 v6, 0x7f800000, v141
	s_delay_alu instid0(VALU_DEP_1) | instskip(NEXT) | instid1(VALU_DEP_1)
	v_cmp_ne_u32_e64 s9, 0x7f800000, v6
                                        ; implicit-def: $vgpr6
	s_and_saveexec_b32 s23, s9
	s_delay_alu instid0(SALU_CYCLE_1)
	s_xor_b32 s9, exec_lo, s23
; %bb.7142:                             ;   in Loop: Header=BB450_3110 Depth=1
	v_bfe_u32 v6, v141, 16, 1
	s_delay_alu instid0(VALU_DEP_1)
	v_add3_u32 v6, v141, v6, 0x7fff
                                        ; implicit-def: $vgpr141
; %bb.7143:                             ;   in Loop: Header=BB450_3110 Depth=1
	s_and_not1_saveexec_b32 s23, s9
; %bb.7144:                             ;   in Loop: Header=BB450_3110 Depth=1
	v_and_b32_e32 v6, 0xffff, v141
	v_or_b32_e32 v142, 0x10000, v141
	s_delay_alu instid0(VALU_DEP_2) | instskip(NEXT) | instid1(VALU_DEP_1)
	v_cmp_eq_u32_e64 s9, 0, v6
	v_cndmask_b32_e64 v6, v142, v141, s9
; %bb.7145:                             ;   in Loop: Header=BB450_3110 Depth=1
	s_or_b32 exec_lo, exec_lo, s23
	v_lshlrev_b32_e32 v7, 16, v7
	s_delay_alu instid0(VALU_DEP_1) | instskip(NEXT) | instid1(VALU_DEP_1)
	v_mul_f32_e32 v141, v162, v7
	v_and_b32_e32 v7, 0x7f800000, v141
	s_delay_alu instid0(VALU_DEP_1) | instskip(NEXT) | instid1(VALU_DEP_1)
	v_cmp_ne_u32_e64 s9, 0x7f800000, v7
                                        ; implicit-def: $vgpr7
	s_and_saveexec_b32 s23, s9
	s_delay_alu instid0(SALU_CYCLE_1)
	s_xor_b32 s9, exec_lo, s23
; %bb.7146:                             ;   in Loop: Header=BB450_3110 Depth=1
	v_bfe_u32 v7, v141, 16, 1
	s_delay_alu instid0(VALU_DEP_1)
	v_add3_u32 v7, v141, v7, 0x7fff
                                        ; implicit-def: $vgpr141
; %bb.7147:                             ;   in Loop: Header=BB450_3110 Depth=1
	s_and_not1_saveexec_b32 s23, s9
; %bb.7148:                             ;   in Loop: Header=BB450_3110 Depth=1
	v_and_b32_e32 v7, 0xffff, v141
	v_or_b32_e32 v142, 0x10000, v141
	s_delay_alu instid0(VALU_DEP_2) | instskip(NEXT) | instid1(VALU_DEP_1)
	v_cmp_eq_u32_e64 s9, 0, v7
	v_cndmask_b32_e64 v7, v142, v141, s9
; %bb.7149:                             ;   in Loop: Header=BB450_3110 Depth=1
	s_or_b32 exec_lo, exec_lo, s23
	v_lshlrev_b32_e32 v141, 16, v143
	s_delay_alu instid0(VALU_DEP_1) | instskip(NEXT) | instid1(VALU_DEP_1)
	v_mul_f32_e32 v142, v163, v141
	v_and_b32_e32 v141, 0x7f800000, v142
	s_delay_alu instid0(VALU_DEP_1) | instskip(NEXT) | instid1(VALU_DEP_1)
	v_cmp_ne_u32_e64 s9, 0x7f800000, v141
                                        ; implicit-def: $vgpr141
	s_and_saveexec_b32 s23, s9
	s_delay_alu instid0(SALU_CYCLE_1)
	s_xor_b32 s9, exec_lo, s23
; %bb.7150:                             ;   in Loop: Header=BB450_3110 Depth=1
	v_bfe_u32 v141, v142, 16, 1
	s_delay_alu instid0(VALU_DEP_1)
	v_add3_u32 v141, v142, v141, 0x7fff
                                        ; implicit-def: $vgpr142
; %bb.7151:                             ;   in Loop: Header=BB450_3110 Depth=1
	s_and_not1_saveexec_b32 s23, s9
; %bb.7152:                             ;   in Loop: Header=BB450_3110 Depth=1
	v_and_b32_e32 v141, 0xffff, v142
	v_or_b32_e32 v143, 0x10000, v142
	s_delay_alu instid0(VALU_DEP_2) | instskip(NEXT) | instid1(VALU_DEP_1)
	v_cmp_eq_u32_e64 s9, 0, v141
	v_cndmask_b32_e64 v141, v143, v142, s9
; %bb.7153:                             ;   in Loop: Header=BB450_3110 Depth=1
	s_or_b32 exec_lo, exec_lo, s23
	v_lshlrev_b32_e32 v142, 16, v152
	s_delay_alu instid0(VALU_DEP_1) | instskip(NEXT) | instid1(VALU_DEP_1)
	v_mul_f32_e32 v143, v164, v142
	v_and_b32_e32 v142, 0x7f800000, v143
	s_delay_alu instid0(VALU_DEP_1) | instskip(NEXT) | instid1(VALU_DEP_1)
	v_cmp_ne_u32_e64 s9, 0x7f800000, v142
                                        ; implicit-def: $vgpr142
	s_and_saveexec_b32 s23, s9
	s_delay_alu instid0(SALU_CYCLE_1)
	s_xor_b32 s9, exec_lo, s23
; %bb.7154:                             ;   in Loop: Header=BB450_3110 Depth=1
	v_bfe_u32 v142, v143, 16, 1
	s_delay_alu instid0(VALU_DEP_1)
	v_add3_u32 v142, v143, v142, 0x7fff
                                        ; implicit-def: $vgpr143
; %bb.7155:                             ;   in Loop: Header=BB450_3110 Depth=1
	s_and_not1_saveexec_b32 s23, s9
; %bb.7156:                             ;   in Loop: Header=BB450_3110 Depth=1
	v_and_b32_e32 v142, 0xffff, v143
	v_or_b32_e32 v152, 0x10000, v143
	s_delay_alu instid0(VALU_DEP_2) | instskip(NEXT) | instid1(VALU_DEP_1)
	v_cmp_eq_u32_e64 s9, 0, v142
	v_cndmask_b32_e64 v142, v152, v143, s9
; %bb.7157:                             ;   in Loop: Header=BB450_3110 Depth=1
	s_or_b32 exec_lo, exec_lo, s23
	v_lshlrev_b32_e32 v143, 16, v153
	s_delay_alu instid0(VALU_DEP_1) | instskip(NEXT) | instid1(VALU_DEP_1)
	v_mul_f32_e32 v152, v165, v143
	v_and_b32_e32 v143, 0x7f800000, v152
	s_delay_alu instid0(VALU_DEP_1) | instskip(NEXT) | instid1(VALU_DEP_1)
	v_cmp_ne_u32_e64 s9, 0x7f800000, v143
                                        ; implicit-def: $vgpr143
	s_and_saveexec_b32 s23, s9
	s_delay_alu instid0(SALU_CYCLE_1)
	s_xor_b32 s9, exec_lo, s23
; %bb.7158:                             ;   in Loop: Header=BB450_3110 Depth=1
	v_bfe_u32 v143, v152, 16, 1
	s_delay_alu instid0(VALU_DEP_1)
	v_add3_u32 v143, v152, v143, 0x7fff
                                        ; implicit-def: $vgpr152
; %bb.7159:                             ;   in Loop: Header=BB450_3110 Depth=1
	s_and_not1_saveexec_b32 s23, s9
; %bb.7160:                             ;   in Loop: Header=BB450_3110 Depth=1
	v_and_b32_e32 v143, 0xffff, v152
	v_or_b32_e32 v153, 0x10000, v152
	s_delay_alu instid0(VALU_DEP_2) | instskip(NEXT) | instid1(VALU_DEP_1)
	v_cmp_eq_u32_e64 s9, 0, v143
	v_cndmask_b32_e64 v143, v153, v152, s9
; %bb.7161:                             ;   in Loop: Header=BB450_3110 Depth=1
	s_or_b32 exec_lo, exec_lo, s23
	v_lshlrev_b32_e32 v12, 16, v12
	s_delay_alu instid0(VALU_DEP_1) | instskip(NEXT) | instid1(VALU_DEP_1)
	v_mul_f32_e32 v12, v166, v12
	v_and_b32_e32 v152, 0x7f800000, v12
	s_delay_alu instid0(VALU_DEP_1) | instskip(NEXT) | instid1(VALU_DEP_1)
	v_cmp_ne_u32_e64 s9, 0x7f800000, v152
                                        ; implicit-def: $vgpr152
	s_and_saveexec_b32 s23, s9
	s_delay_alu instid0(SALU_CYCLE_1)
	s_xor_b32 s9, exec_lo, s23
; %bb.7162:                             ;   in Loop: Header=BB450_3110 Depth=1
	v_bfe_u32 v152, v12, 16, 1
	s_delay_alu instid0(VALU_DEP_1)
	v_add3_u32 v152, v12, v152, 0x7fff
                                        ; implicit-def: $vgpr12
; %bb.7163:                             ;   in Loop: Header=BB450_3110 Depth=1
	s_and_not1_saveexec_b32 s23, s9
; %bb.7164:                             ;   in Loop: Header=BB450_3110 Depth=1
	v_and_b32_e32 v152, 0xffff, v12
	v_or_b32_e32 v153, 0x10000, v12
	s_delay_alu instid0(VALU_DEP_2) | instskip(NEXT) | instid1(VALU_DEP_1)
	v_cmp_eq_u32_e64 s9, 0, v152
	v_cndmask_b32_e64 v152, v153, v12, s9
; %bb.7165:                             ;   in Loop: Header=BB450_3110 Depth=1
	s_or_b32 exec_lo, exec_lo, s23
	v_lshlrev_b32_e32 v3, 16, v3
                                        ; implicit-def: $vgpr153
	s_delay_alu instid0(VALU_DEP_1) | instskip(NEXT) | instid1(VALU_DEP_1)
	v_mul_f32_e32 v3, v167, v3
	v_and_b32_e32 v12, 0x7f800000, v3
	s_delay_alu instid0(VALU_DEP_1) | instskip(NEXT) | instid1(VALU_DEP_1)
	v_cmp_ne_u32_e64 s9, 0x7f800000, v12
	s_and_saveexec_b32 s23, s9
	s_delay_alu instid0(SALU_CYCLE_1)
	s_xor_b32 s9, exec_lo, s23
; %bb.7166:                             ;   in Loop: Header=BB450_3110 Depth=1
	v_bfe_u32 v12, v3, 16, 1
	s_delay_alu instid0(VALU_DEP_1)
	v_add3_u32 v153, v3, v12, 0x7fff
                                        ; implicit-def: $vgpr3
; %bb.7167:                             ;   in Loop: Header=BB450_3110 Depth=1
	s_and_not1_saveexec_b32 s23, s9
; %bb.7168:                             ;   in Loop: Header=BB450_3110 Depth=1
	v_and_b32_e32 v12, 0xffff, v3
	v_or_b32_e32 v153, 0x10000, v3
	s_delay_alu instid0(VALU_DEP_2) | instskip(NEXT) | instid1(VALU_DEP_1)
	v_cmp_eq_u32_e64 s9, 0, v12
	v_cndmask_b32_e64 v153, v153, v3, s9
; %bb.7169:                             ;   in Loop: Header=BB450_3110 Depth=1
	s_or_b32 exec_lo, exec_lo, s23
	v_lshlrev_b32_e32 v2, 16, v2
                                        ; implicit-def: $vgpr154
	s_delay_alu instid0(VALU_DEP_1) | instskip(NEXT) | instid1(VALU_DEP_1)
	v_mul_f32_e32 v2, v176, v2
	v_and_b32_e32 v3, 0x7f800000, v2
	s_delay_alu instid0(VALU_DEP_1) | instskip(NEXT) | instid1(VALU_DEP_1)
	v_cmp_ne_u32_e64 s9, 0x7f800000, v3
	s_and_saveexec_b32 s23, s9
	s_delay_alu instid0(SALU_CYCLE_1)
	s_xor_b32 s9, exec_lo, s23
; %bb.7170:                             ;   in Loop: Header=BB450_3110 Depth=1
	v_bfe_u32 v3, v2, 16, 1
	s_delay_alu instid0(VALU_DEP_1)
	v_add3_u32 v154, v2, v3, 0x7fff
                                        ; implicit-def: $vgpr2
; %bb.7171:                             ;   in Loop: Header=BB450_3110 Depth=1
	s_and_not1_saveexec_b32 s23, s9
; %bb.7172:                             ;   in Loop: Header=BB450_3110 Depth=1
	v_and_b32_e32 v3, 0xffff, v2
	v_or_b32_e32 v12, 0x10000, v2
	s_delay_alu instid0(VALU_DEP_2) | instskip(NEXT) | instid1(VALU_DEP_1)
	v_cmp_eq_u32_e64 s9, 0, v3
	v_cndmask_b32_e64 v154, v12, v2, s9
; %bb.7173:                             ;   in Loop: Header=BB450_3110 Depth=1
	s_or_b32 exec_lo, exec_lo, s23
	scratch_load_b32 v2, off, s32 offset:876 ; 4-byte Folded Reload
	s_mov_b32 s23, exec_lo
	s_waitcnt vmcnt(0)
	v_add_co_u32 v0, s9, v0, v2
	s_delay_alu instid0(VALU_DEP_1) | instskip(SKIP_4) | instid1(VALU_DEP_1)
	v_add_co_ci_u32_e64 v1, s9, 0, v1, s9
	v_mov_b32_e32 v2, 0
	flat_load_b64 v[0:1], v[0:1]
	s_waitcnt vmcnt(0) lgkmcnt(0)
	v_and_b32_e32 v3, 0xff, v0
	v_cmpx_ne_u16_e32 0, v3
	s_cbranch_execz .LBB450_7181
; %bb.7174:                             ;   in Loop: Header=BB450_3110 Depth=1
	v_bfrev_b32_e32 v2, 1
	s_mov_b32 s24, exec_lo
	v_cmpx_ne_u16_e32 0x80, v3
	s_cbranch_execz .LBB450_7180
; %bb.7175:                             ;   in Loop: Header=BB450_3110 Depth=1
	v_and_b32_e32 v3, 0x7f, v0
	v_mov_b32_e32 v2, 0x7f800001
	s_mov_b32 s25, exec_lo
	s_delay_alu instid0(VALU_DEP_2)
	v_cmpx_ne_u32_e32 0x7f, v3
	s_cbranch_execz .LBB450_7179
; %bb.7176:                             ;   in Loop: Header=BB450_3110 Depth=1
	v_lshrrev_b32_e32 v12, 3, v3
	v_cmp_gt_u32_e64 s9, 8, v3
	v_dual_mov_b32 v3, v1 :: v_dual_mov_b32 v2, v0
	s_delay_alu instid0(VALU_DEP_2)
	s_and_saveexec_b32 s26, s9
; %bb.7177:                             ;   in Loop: Header=BB450_3110 Depth=1
	v_and_b32_e32 v2, 7, v0
	s_delay_alu instid0(VALU_DEP_1) | instskip(NEXT) | instid1(VALU_DEP_1)
	v_clz_i32_u32_e32 v2, v2
	v_min_u32_e32 v12, 32, v2
	s_delay_alu instid0(VALU_DEP_1) | instskip(SKIP_1) | instid1(VALU_DEP_2)
	v_subrev_nc_u32_e32 v2, 28, v12
	v_sub_nc_u32_e32 v12, 29, v12
	v_lshlrev_b64 v[2:3], v2, v[0:1]
; %bb.7178:                             ;   in Loop: Header=BB450_3110 Depth=1
	s_or_b32 exec_lo, exec_lo, s26
	s_delay_alu instid0(VALU_DEP_1) | instskip(SKIP_2) | instid1(VALU_DEP_3)
	v_lshlrev_b32_e32 v2, 20, v2
	v_lshlrev_b32_e32 v3, 24, v0
	v_lshl_add_u32 v12, v12, 23, 0x3c000000
	v_and_b32_e32 v2, 0x700000, v2
	s_delay_alu instid0(VALU_DEP_3) | instskip(NEXT) | instid1(VALU_DEP_1)
	v_and_b32_e32 v3, 0x80000000, v3
	v_or3_b32 v2, v2, v3, v12
.LBB450_7179:                           ;   in Loop: Header=BB450_3110 Depth=1
	s_or_b32 exec_lo, exec_lo, s25
.LBB450_7180:                           ;   in Loop: Header=BB450_3110 Depth=1
	s_delay_alu instid0(SALU_CYCLE_1)
	s_or_b32 exec_lo, exec_lo, s24
.LBB450_7181:                           ;   in Loop: Header=BB450_3110 Depth=1
	s_delay_alu instid0(SALU_CYCLE_1) | instskip(NEXT) | instid1(VALU_DEP_1)
	s_or_b32 exec_lo, exec_lo, s23
	v_mul_f32_e32 v2, v160, v2
                                        ; implicit-def: $vgpr155
	s_delay_alu instid0(VALU_DEP_1) | instskip(NEXT) | instid1(VALU_DEP_1)
	v_and_b32_e32 v3, 0x7f800000, v2
	v_cmp_ne_u32_e64 s9, 0x7f800000, v3
	s_delay_alu instid0(VALU_DEP_1) | instskip(NEXT) | instid1(SALU_CYCLE_1)
	s_and_saveexec_b32 s23, s9
	s_xor_b32 s9, exec_lo, s23
; %bb.7182:                             ;   in Loop: Header=BB450_3110 Depth=1
	v_bfe_u32 v3, v2, 16, 1
	s_delay_alu instid0(VALU_DEP_1)
	v_add3_u32 v155, v2, v3, 0x7fff
                                        ; implicit-def: $vgpr2
; %bb.7183:                             ;   in Loop: Header=BB450_3110 Depth=1
	s_and_not1_saveexec_b32 s23, s9
; %bb.7184:                             ;   in Loop: Header=BB450_3110 Depth=1
	v_and_b32_e32 v3, 0xffff, v2
	v_or_b32_e32 v12, 0x10000, v2
	s_delay_alu instid0(VALU_DEP_2) | instskip(NEXT) | instid1(VALU_DEP_1)
	v_cmp_eq_u32_e64 s9, 0, v3
	v_cndmask_b32_e64 v155, v12, v2, s9
; %bb.7185:                             ;   in Loop: Header=BB450_3110 Depth=1
	s_or_b32 exec_lo, exec_lo, s23
	v_lshrrev_b16 v3, 8, v0
	v_mov_b32_e32 v2, 0
	s_mov_b32 s23, exec_lo
	s_delay_alu instid0(VALU_DEP_2)
	v_cmpx_ne_u16_e32 0, v3
	s_cbranch_execz .LBB450_7193
; %bb.7186:                             ;   in Loop: Header=BB450_3110 Depth=1
	v_bfrev_b32_e32 v2, 1
	s_mov_b32 s24, exec_lo
	v_cmpx_ne_u16_e32 0x80, v3
	s_cbranch_execz .LBB450_7192
; %bb.7187:                             ;   in Loop: Header=BB450_3110 Depth=1
	v_and_b32_e32 v3, 0xffff, v3
	v_mov_b32_e32 v2, 0x7f800001
	s_mov_b32 s25, exec_lo
	s_delay_alu instid0(VALU_DEP_2) | instskip(NEXT) | instid1(VALU_DEP_1)
	v_and_b32_e32 v156, 0x7f, v3
	v_cmpx_ne_u32_e32 0x7f, v156
	s_cbranch_execz .LBB450_7191
; %bb.7188:                             ;   in Loop: Header=BB450_3110 Depth=1
	v_and_b32_e32 v12, 7, v3
	s_mov_b32 s26, exec_lo
	s_delay_alu instid0(VALU_DEP_1)
	v_dual_mov_b32 v2, v12 :: v_dual_mov_b32 v3, v13
	v_lshrrev_b32_e32 v3, 3, v156
	v_cmpx_gt_u32_e32 8, v156
; %bb.7189:                             ;   in Loop: Header=BB450_3110 Depth=1
	v_clz_i32_u32_e32 v2, v12
	s_delay_alu instid0(VALU_DEP_1) | instskip(NEXT) | instid1(VALU_DEP_1)
	v_min_u32_e32 v156, 32, v2
	v_subrev_nc_u32_e32 v2, 28, v156
	s_delay_alu instid0(VALU_DEP_1) | instskip(SKIP_1) | instid1(VALU_DEP_2)
	v_lshlrev_b64 v[2:3], v2, v[12:13]
	v_sub_nc_u32_e32 v3, 29, v156
	v_and_b32_e32 v2, 7, v2
; %bb.7190:                             ;   in Loop: Header=BB450_3110 Depth=1
	s_or_b32 exec_lo, exec_lo, s26
	v_lshlrev_b32_e32 v12, 16, v0
	s_delay_alu instid0(VALU_DEP_2) | instskip(SKIP_1) | instid1(VALU_DEP_3)
	v_lshlrev_b32_e32 v2, 20, v2
	v_lshl_add_u32 v3, v3, 23, 0x3c000000
	v_and_b32_e32 v12, 0x80000000, v12
	s_delay_alu instid0(VALU_DEP_1)
	v_or3_b32 v2, v2, v12, v3
.LBB450_7191:                           ;   in Loop: Header=BB450_3110 Depth=1
	s_or_b32 exec_lo, exec_lo, s25
.LBB450_7192:                           ;   in Loop: Header=BB450_3110 Depth=1
	s_delay_alu instid0(SALU_CYCLE_1)
	s_or_b32 exec_lo, exec_lo, s24
.LBB450_7193:                           ;   in Loop: Header=BB450_3110 Depth=1
	s_delay_alu instid0(SALU_CYCLE_1) | instskip(NEXT) | instid1(VALU_DEP_1)
	s_or_b32 exec_lo, exec_lo, s23
	v_mul_f32_e32 v2, v160, v2
                                        ; implicit-def: $vgpr156
	s_delay_alu instid0(VALU_DEP_1) | instskip(NEXT) | instid1(VALU_DEP_1)
	v_and_b32_e32 v3, 0x7f800000, v2
	v_cmp_ne_u32_e64 s9, 0x7f800000, v3
	s_delay_alu instid0(VALU_DEP_1) | instskip(NEXT) | instid1(SALU_CYCLE_1)
	s_and_saveexec_b32 s23, s9
	s_xor_b32 s9, exec_lo, s23
; %bb.7194:                             ;   in Loop: Header=BB450_3110 Depth=1
	v_bfe_u32 v3, v2, 16, 1
	s_delay_alu instid0(VALU_DEP_1)
	v_add3_u32 v156, v2, v3, 0x7fff
                                        ; implicit-def: $vgpr2
; %bb.7195:                             ;   in Loop: Header=BB450_3110 Depth=1
	s_and_not1_saveexec_b32 s23, s9
; %bb.7196:                             ;   in Loop: Header=BB450_3110 Depth=1
	v_and_b32_e32 v3, 0xffff, v2
	v_or_b32_e32 v12, 0x10000, v2
	s_delay_alu instid0(VALU_DEP_2) | instskip(NEXT) | instid1(VALU_DEP_1)
	v_cmp_eq_u32_e64 s9, 0, v3
	v_cndmask_b32_e64 v156, v12, v2, s9
; %bb.7197:                             ;   in Loop: Header=BB450_3110 Depth=1
	s_or_b32 exec_lo, exec_lo, s23
	v_lshrrev_b32_e32 v157, 16, v0
	s_mov_b32 s23, exec_lo
	s_delay_alu instid0(VALU_DEP_1) | instskip(NEXT) | instid1(VALU_DEP_1)
	v_dual_mov_b32 v2, 0 :: v_dual_and_b32 v3, 0xff, v157
	v_cmpx_ne_u16_e32 0, v3
	s_cbranch_execz .LBB450_7205
; %bb.7198:                             ;   in Loop: Header=BB450_3110 Depth=1
	v_bfrev_b32_e32 v2, 1
	s_mov_b32 s24, exec_lo
	v_cmpx_ne_u16_e32 0x80, v3
	s_cbranch_execz .LBB450_7204
; %bb.7199:                             ;   in Loop: Header=BB450_3110 Depth=1
	v_bfe_u32 v158, v0, 16, 7
	v_mov_b32_e32 v2, 0x7f800001
	s_mov_b32 s25, exec_lo
	s_delay_alu instid0(VALU_DEP_2)
	v_cmpx_ne_u32_e32 0x7f, v158
	s_cbranch_execz .LBB450_7203
; %bb.7200:                             ;   in Loop: Header=BB450_3110 Depth=1
	v_and_b32_e32 v12, 7, v157
	s_mov_b32 s26, exec_lo
	s_delay_alu instid0(VALU_DEP_1)
	v_dual_mov_b32 v2, v12 :: v_dual_mov_b32 v3, v13
	v_lshrrev_b32_e32 v3, 3, v158
	v_cmpx_gt_u32_e32 8, v158
; %bb.7201:                             ;   in Loop: Header=BB450_3110 Depth=1
	v_clz_i32_u32_e32 v2, v12
	s_delay_alu instid0(VALU_DEP_1) | instskip(NEXT) | instid1(VALU_DEP_1)
	v_min_u32_e32 v158, 32, v2
	v_subrev_nc_u32_e32 v2, 28, v158
	s_delay_alu instid0(VALU_DEP_1) | instskip(SKIP_1) | instid1(VALU_DEP_2)
	v_lshlrev_b64 v[2:3], v2, v[12:13]
	v_sub_nc_u32_e32 v3, 29, v158
	v_and_b32_e32 v2, 7, v2
; %bb.7202:                             ;   in Loop: Header=BB450_3110 Depth=1
	s_or_b32 exec_lo, exec_lo, s26
	v_lshlrev_b32_e32 v12, 24, v157
	s_delay_alu instid0(VALU_DEP_2) | instskip(SKIP_1) | instid1(VALU_DEP_3)
	v_lshlrev_b32_e32 v2, 20, v2
	v_lshl_add_u32 v3, v3, 23, 0x3c000000
	v_and_b32_e32 v12, 0x80000000, v12
	s_delay_alu instid0(VALU_DEP_1)
	v_or3_b32 v2, v2, v12, v3
.LBB450_7203:                           ;   in Loop: Header=BB450_3110 Depth=1
	s_or_b32 exec_lo, exec_lo, s25
.LBB450_7204:                           ;   in Loop: Header=BB450_3110 Depth=1
	s_delay_alu instid0(SALU_CYCLE_1)
	s_or_b32 exec_lo, exec_lo, s24
.LBB450_7205:                           ;   in Loop: Header=BB450_3110 Depth=1
	s_delay_alu instid0(SALU_CYCLE_1) | instskip(NEXT) | instid1(VALU_DEP_1)
	s_or_b32 exec_lo, exec_lo, s23
	v_mul_f32_e32 v2, v160, v2
                                        ; implicit-def: $vgpr157
	s_delay_alu instid0(VALU_DEP_1) | instskip(NEXT) | instid1(VALU_DEP_1)
	v_and_b32_e32 v3, 0x7f800000, v2
	v_cmp_ne_u32_e64 s9, 0x7f800000, v3
	s_delay_alu instid0(VALU_DEP_1) | instskip(NEXT) | instid1(SALU_CYCLE_1)
	s_and_saveexec_b32 s23, s9
	s_xor_b32 s9, exec_lo, s23
; %bb.7206:                             ;   in Loop: Header=BB450_3110 Depth=1
	v_bfe_u32 v3, v2, 16, 1
	s_delay_alu instid0(VALU_DEP_1)
	v_add3_u32 v157, v2, v3, 0x7fff
                                        ; implicit-def: $vgpr2
; %bb.7207:                             ;   in Loop: Header=BB450_3110 Depth=1
	s_and_not1_saveexec_b32 s23, s9
; %bb.7208:                             ;   in Loop: Header=BB450_3110 Depth=1
	v_and_b32_e32 v3, 0xffff, v2
	v_or_b32_e32 v12, 0x10000, v2
	s_delay_alu instid0(VALU_DEP_2) | instskip(NEXT) | instid1(VALU_DEP_1)
	v_cmp_eq_u32_e64 s9, 0, v3
	v_cndmask_b32_e64 v157, v12, v2, s9
; %bb.7209:                             ;   in Loop: Header=BB450_3110 Depth=1
	s_or_b32 exec_lo, exec_lo, s23
	v_mov_b32_e32 v2, 0
	s_mov_b32 s23, exec_lo
	v_cmpx_lt_u32_e32 0xffffff, v0
	s_cbranch_execz .LBB450_7217
; %bb.7210:                             ;   in Loop: Header=BB450_3110 Depth=1
	v_lshrrev_b32_e32 v158, 24, v0
	v_bfrev_b32_e32 v2, 1
	s_mov_b32 s24, exec_lo
	s_delay_alu instid0(VALU_DEP_2)
	v_cmpx_ne_u32_e32 0x80, v158
	s_cbranch_execz .LBB450_7216
; %bb.7211:                             ;   in Loop: Header=BB450_3110 Depth=1
	v_bfe_u32 v159, v0, 24, 7
	v_mov_b32_e32 v2, 0x7f800001
	s_mov_b32 s25, exec_lo
	s_delay_alu instid0(VALU_DEP_2)
	v_cmpx_ne_u32_e32 0x7f, v159
	s_cbranch_execz .LBB450_7215
; %bb.7212:                             ;   in Loop: Header=BB450_3110 Depth=1
	v_and_b32_e32 v12, 7, v158
	s_mov_b32 s26, exec_lo
	s_delay_alu instid0(VALU_DEP_1)
	v_dual_mov_b32 v2, v12 :: v_dual_mov_b32 v3, v13
	v_lshrrev_b32_e32 v3, 3, v159
	v_cmpx_gt_u32_e32 8, v159
; %bb.7213:                             ;   in Loop: Header=BB450_3110 Depth=1
	v_clz_i32_u32_e32 v2, v12
	s_delay_alu instid0(VALU_DEP_1) | instskip(NEXT) | instid1(VALU_DEP_1)
	v_min_u32_e32 v159, 32, v2
	v_subrev_nc_u32_e32 v2, 28, v159
	s_delay_alu instid0(VALU_DEP_1) | instskip(SKIP_1) | instid1(VALU_DEP_2)
	v_lshlrev_b64 v[2:3], v2, v[12:13]
	v_sub_nc_u32_e32 v3, 29, v159
	v_and_b32_e32 v2, 7, v2
; %bb.7214:                             ;   in Loop: Header=BB450_3110 Depth=1
	s_or_b32 exec_lo, exec_lo, s26
	v_lshlrev_b32_e32 v12, 24, v158
	s_delay_alu instid0(VALU_DEP_2) | instskip(SKIP_1) | instid1(VALU_DEP_3)
	v_lshlrev_b32_e32 v2, 20, v2
	v_lshl_add_u32 v3, v3, 23, 0x3c000000
	v_and_b32_e32 v12, 0x80000000, v12
	s_delay_alu instid0(VALU_DEP_1)
	v_or3_b32 v2, v2, v12, v3
.LBB450_7215:                           ;   in Loop: Header=BB450_3110 Depth=1
	s_or_b32 exec_lo, exec_lo, s25
.LBB450_7216:                           ;   in Loop: Header=BB450_3110 Depth=1
	s_delay_alu instid0(SALU_CYCLE_1)
	s_or_b32 exec_lo, exec_lo, s24
.LBB450_7217:                           ;   in Loop: Header=BB450_3110 Depth=1
	s_delay_alu instid0(SALU_CYCLE_1) | instskip(NEXT) | instid1(VALU_DEP_1)
	s_or_b32 exec_lo, exec_lo, s23
	v_mul_f32_e32 v2, v160, v2
                                        ; implicit-def: $vgpr158
	s_delay_alu instid0(VALU_DEP_1) | instskip(NEXT) | instid1(VALU_DEP_1)
	v_and_b32_e32 v3, 0x7f800000, v2
	v_cmp_ne_u32_e64 s9, 0x7f800000, v3
	s_delay_alu instid0(VALU_DEP_1) | instskip(NEXT) | instid1(SALU_CYCLE_1)
	s_and_saveexec_b32 s23, s9
	s_xor_b32 s9, exec_lo, s23
; %bb.7218:                             ;   in Loop: Header=BB450_3110 Depth=1
	v_bfe_u32 v3, v2, 16, 1
	s_delay_alu instid0(VALU_DEP_1)
	v_add3_u32 v158, v2, v3, 0x7fff
                                        ; implicit-def: $vgpr2
; %bb.7219:                             ;   in Loop: Header=BB450_3110 Depth=1
	s_and_not1_saveexec_b32 s23, s9
; %bb.7220:                             ;   in Loop: Header=BB450_3110 Depth=1
	v_and_b32_e32 v3, 0xffff, v2
	v_or_b32_e32 v12, 0x10000, v2
	s_delay_alu instid0(VALU_DEP_2) | instskip(NEXT) | instid1(VALU_DEP_1)
	v_cmp_eq_u32_e64 s9, 0, v3
	v_cndmask_b32_e64 v158, v12, v2, s9
; %bb.7221:                             ;   in Loop: Header=BB450_3110 Depth=1
	s_or_b32 exec_lo, exec_lo, s23
	v_dual_mov_b32 v12, v1 :: v_dual_and_b32 v3, 0xff, v1
	v_mov_b32_e32 v2, 0
	s_mov_b32 s23, exec_lo
	s_delay_alu instid0(VALU_DEP_2)
	v_cmpx_ne_u16_e32 0, v3
	s_cbranch_execz .LBB450_7229
; %bb.7222:                             ;   in Loop: Header=BB450_3110 Depth=1
	v_bfrev_b32_e32 v2, 1
	s_mov_b32 s24, exec_lo
	v_cmpx_ne_u16_e32 0x80, v3
	s_cbranch_execz .LBB450_7228
; %bb.7223:                             ;   in Loop: Header=BB450_3110 Depth=1
	v_and_b32_e32 v159, 0x7f, v1
	v_mov_b32_e32 v2, 0x7f800001
	s_mov_b32 s25, exec_lo
	s_delay_alu instid0(VALU_DEP_2)
	v_cmpx_ne_u32_e32 0x7f, v159
	s_cbranch_execz .LBB450_7227
; %bb.7224:                             ;   in Loop: Header=BB450_3110 Depth=1
	v_dual_mov_b32 v2, v12 :: v_dual_mov_b32 v3, v13
	v_lshrrev_b32_e32 v3, 3, v159
	s_mov_b32 s26, exec_lo
	v_cmpx_gt_u32_e32 8, v159
; %bb.7225:                             ;   in Loop: Header=BB450_3110 Depth=1
	v_and_b32_e32 v2, 7, v1
	s_delay_alu instid0(VALU_DEP_1) | instskip(NEXT) | instid1(VALU_DEP_1)
	v_clz_i32_u32_e32 v2, v2
	v_min_u32_e32 v159, 32, v2
	s_delay_alu instid0(VALU_DEP_1) | instskip(NEXT) | instid1(VALU_DEP_1)
	v_subrev_nc_u32_e32 v2, 28, v159
	v_lshlrev_b64 v[2:3], v2, v[12:13]
	v_sub_nc_u32_e32 v3, 29, v159
; %bb.7226:                             ;   in Loop: Header=BB450_3110 Depth=1
	s_or_b32 exec_lo, exec_lo, s26
	s_delay_alu instid0(VALU_DEP_2) | instskip(SKIP_1) | instid1(VALU_DEP_3)
	v_lshlrev_b32_e32 v2, 20, v2
	v_lshlrev_b32_e32 v159, 24, v12
	v_lshl_add_u32 v3, v3, 23, 0x3c000000
	s_delay_alu instid0(VALU_DEP_3) | instskip(NEXT) | instid1(VALU_DEP_3)
	v_and_b32_e32 v2, 0x700000, v2
	v_and_b32_e32 v159, 0x80000000, v159
	s_delay_alu instid0(VALU_DEP_1)
	v_or3_b32 v2, v2, v159, v3
.LBB450_7227:                           ;   in Loop: Header=BB450_3110 Depth=1
	s_or_b32 exec_lo, exec_lo, s25
.LBB450_7228:                           ;   in Loop: Header=BB450_3110 Depth=1
	s_delay_alu instid0(SALU_CYCLE_1)
	s_or_b32 exec_lo, exec_lo, s24
.LBB450_7229:                           ;   in Loop: Header=BB450_3110 Depth=1
	s_delay_alu instid0(SALU_CYCLE_1) | instskip(NEXT) | instid1(VALU_DEP_1)
	s_or_b32 exec_lo, exec_lo, s23
	v_mul_f32_e32 v2, v160, v2
                                        ; implicit-def: $vgpr159
	s_delay_alu instid0(VALU_DEP_1) | instskip(NEXT) | instid1(VALU_DEP_1)
	v_and_b32_e32 v3, 0x7f800000, v2
	v_cmp_ne_u32_e64 s9, 0x7f800000, v3
	s_delay_alu instid0(VALU_DEP_1) | instskip(NEXT) | instid1(SALU_CYCLE_1)
	s_and_saveexec_b32 s23, s9
	s_xor_b32 s9, exec_lo, s23
; %bb.7230:                             ;   in Loop: Header=BB450_3110 Depth=1
	v_bfe_u32 v3, v2, 16, 1
	s_delay_alu instid0(VALU_DEP_1)
	v_add3_u32 v159, v2, v3, 0x7fff
                                        ; implicit-def: $vgpr2
; %bb.7231:                             ;   in Loop: Header=BB450_3110 Depth=1
	s_and_not1_saveexec_b32 s23, s9
; %bb.7232:                             ;   in Loop: Header=BB450_3110 Depth=1
	v_and_b32_e32 v3, 0xffff, v2
	v_or_b32_e32 v159, 0x10000, v2
	s_delay_alu instid0(VALU_DEP_2) | instskip(NEXT) | instid1(VALU_DEP_1)
	v_cmp_eq_u32_e64 s9, 0, v3
	v_cndmask_b32_e64 v159, v159, v2, s9
; %bb.7233:                             ;   in Loop: Header=BB450_3110 Depth=1
	s_or_b32 exec_lo, exec_lo, s23
	v_lshrrev_b16 v3, 8, v12
	v_mov_b32_e32 v2, 0
	s_mov_b32 s23, exec_lo
	s_delay_alu instid0(VALU_DEP_2)
	v_cmpx_ne_u16_e32 0, v3
	s_cbranch_execz .LBB450_7241
; %bb.7234:                             ;   in Loop: Header=BB450_3110 Depth=1
	v_bfrev_b32_e32 v2, 1
	s_mov_b32 s24, exec_lo
	v_cmpx_ne_u16_e32 0x80, v3
	s_cbranch_execz .LBB450_7240
; %bb.7235:                             ;   in Loop: Header=BB450_3110 Depth=1
	v_and_b32_e32 v3, 0xffff, v3
	v_mov_b32_e32 v2, 0x7f800001
	s_mov_b32 s25, exec_lo
	s_delay_alu instid0(VALU_DEP_2) | instskip(NEXT) | instid1(VALU_DEP_1)
	v_and_b32_e32 v169, 0x7f, v3
	v_cmpx_ne_u32_e32 0x7f, v169
	s_cbranch_execz .LBB450_7239
; %bb.7236:                             ;   in Loop: Header=BB450_3110 Depth=1
	v_dual_mov_b32 v3, v13 :: v_dual_and_b32 v2, 7, v3
	v_lshrrev_b32_e32 v168, 3, v169
	s_mov_b32 s26, exec_lo
	v_cmpx_gt_u32_e32 8, v169
; %bb.7237:                             ;   in Loop: Header=BB450_3110 Depth=1
	s_delay_alu instid0(VALU_DEP_3) | instskip(NEXT) | instid1(VALU_DEP_1)
	v_clz_i32_u32_e32 v168, v2
	v_min_u32_e32 v168, 32, v168
	s_delay_alu instid0(VALU_DEP_1) | instskip(SKIP_1) | instid1(VALU_DEP_2)
	v_subrev_nc_u32_e32 v169, 28, v168
	v_sub_nc_u32_e32 v168, 29, v168
	v_lshlrev_b64 v[2:3], v169, v[2:3]
	s_delay_alu instid0(VALU_DEP_1)
	v_and_b32_e32 v2, 7, v2
; %bb.7238:                             ;   in Loop: Header=BB450_3110 Depth=1
	s_or_b32 exec_lo, exec_lo, s26
	v_lshlrev_b32_e32 v3, 16, v12
	s_delay_alu instid0(VALU_DEP_2) | instskip(SKIP_1) | instid1(VALU_DEP_3)
	v_lshlrev_b32_e32 v2, 20, v2
	v_lshl_add_u32 v12, v168, 23, 0x3c000000
	v_and_b32_e32 v3, 0x80000000, v3
	s_delay_alu instid0(VALU_DEP_1)
	v_or3_b32 v2, v2, v3, v12
.LBB450_7239:                           ;   in Loop: Header=BB450_3110 Depth=1
	s_or_b32 exec_lo, exec_lo, s25
.LBB450_7240:                           ;   in Loop: Header=BB450_3110 Depth=1
	s_delay_alu instid0(SALU_CYCLE_1)
	s_or_b32 exec_lo, exec_lo, s24
.LBB450_7241:                           ;   in Loop: Header=BB450_3110 Depth=1
	s_delay_alu instid0(SALU_CYCLE_1) | instskip(NEXT) | instid1(VALU_DEP_1)
	s_or_b32 exec_lo, exec_lo, s23
	v_mul_f32_e32 v2, v160, v2
                                        ; implicit-def: $vgpr168
	s_delay_alu instid0(VALU_DEP_1) | instskip(NEXT) | instid1(VALU_DEP_1)
	v_and_b32_e32 v3, 0x7f800000, v2
	v_cmp_ne_u32_e64 s9, 0x7f800000, v3
	s_delay_alu instid0(VALU_DEP_1) | instskip(NEXT) | instid1(SALU_CYCLE_1)
	s_and_saveexec_b32 s23, s9
	s_xor_b32 s9, exec_lo, s23
; %bb.7242:                             ;   in Loop: Header=BB450_3110 Depth=1
	v_bfe_u32 v3, v2, 16, 1
	s_delay_alu instid0(VALU_DEP_1)
	v_add3_u32 v168, v2, v3, 0x7fff
                                        ; implicit-def: $vgpr2
; %bb.7243:                             ;   in Loop: Header=BB450_3110 Depth=1
	s_and_not1_saveexec_b32 s23, s9
; %bb.7244:                             ;   in Loop: Header=BB450_3110 Depth=1
	v_and_b32_e32 v3, 0xffff, v2
	v_or_b32_e32 v12, 0x10000, v2
	s_delay_alu instid0(VALU_DEP_2) | instskip(NEXT) | instid1(VALU_DEP_1)
	v_cmp_eq_u32_e64 s9, 0, v3
	v_cndmask_b32_e64 v168, v12, v2, s9
; %bb.7245:                             ;   in Loop: Header=BB450_3110 Depth=1
	s_or_b32 exec_lo, exec_lo, s23
	v_lshrrev_b32_e32 v169, 16, v1
	s_mov_b32 s23, exec_lo
	s_delay_alu instid0(VALU_DEP_1) | instskip(NEXT) | instid1(VALU_DEP_1)
	v_dual_mov_b32 v2, 0 :: v_dual_and_b32 v3, 0xff, v169
	v_cmpx_ne_u16_e32 0, v3
	s_cbranch_execz .LBB450_7253
; %bb.7246:                             ;   in Loop: Header=BB450_3110 Depth=1
	v_bfrev_b32_e32 v2, 1
	s_mov_b32 s24, exec_lo
	v_cmpx_ne_u16_e32 0x80, v3
	s_cbranch_execz .LBB450_7252
; %bb.7247:                             ;   in Loop: Header=BB450_3110 Depth=1
	v_bfe_u32 v170, v1, 16, 7
	v_mov_b32_e32 v2, 0x7f800001
	s_mov_b32 s25, exec_lo
	s_delay_alu instid0(VALU_DEP_2)
	v_cmpx_ne_u32_e32 0x7f, v170
	s_cbranch_execz .LBB450_7251
; %bb.7248:                             ;   in Loop: Header=BB450_3110 Depth=1
	v_and_b32_e32 v12, 7, v169
	s_mov_b32 s26, exec_lo
	s_delay_alu instid0(VALU_DEP_1)
	v_dual_mov_b32 v2, v12 :: v_dual_mov_b32 v3, v13
	v_lshrrev_b32_e32 v3, 3, v170
	v_cmpx_gt_u32_e32 8, v170
; %bb.7249:                             ;   in Loop: Header=BB450_3110 Depth=1
	v_clz_i32_u32_e32 v2, v12
	s_delay_alu instid0(VALU_DEP_1) | instskip(NEXT) | instid1(VALU_DEP_1)
	v_min_u32_e32 v170, 32, v2
	v_subrev_nc_u32_e32 v2, 28, v170
	s_delay_alu instid0(VALU_DEP_1) | instskip(SKIP_1) | instid1(VALU_DEP_2)
	v_lshlrev_b64 v[2:3], v2, v[12:13]
	v_sub_nc_u32_e32 v3, 29, v170
	v_and_b32_e32 v2, 7, v2
; %bb.7250:                             ;   in Loop: Header=BB450_3110 Depth=1
	s_or_b32 exec_lo, exec_lo, s26
	v_lshlrev_b32_e32 v12, 24, v169
	s_delay_alu instid0(VALU_DEP_2) | instskip(SKIP_1) | instid1(VALU_DEP_3)
	v_lshlrev_b32_e32 v2, 20, v2
	v_lshl_add_u32 v3, v3, 23, 0x3c000000
	v_and_b32_e32 v12, 0x80000000, v12
	s_delay_alu instid0(VALU_DEP_1)
	v_or3_b32 v2, v2, v12, v3
.LBB450_7251:                           ;   in Loop: Header=BB450_3110 Depth=1
	s_or_b32 exec_lo, exec_lo, s25
.LBB450_7252:                           ;   in Loop: Header=BB450_3110 Depth=1
	s_delay_alu instid0(SALU_CYCLE_1)
	s_or_b32 exec_lo, exec_lo, s24
.LBB450_7253:                           ;   in Loop: Header=BB450_3110 Depth=1
	s_delay_alu instid0(SALU_CYCLE_1) | instskip(NEXT) | instid1(VALU_DEP_1)
	s_or_b32 exec_lo, exec_lo, s23
	v_mul_f32_e32 v3, v160, v2
	s_delay_alu instid0(VALU_DEP_1) | instskip(NEXT) | instid1(VALU_DEP_1)
	v_and_b32_e32 v2, 0x7f800000, v3
	v_cmp_ne_u32_e64 s9, 0x7f800000, v2
                                        ; implicit-def: $vgpr2
	s_delay_alu instid0(VALU_DEP_1) | instskip(NEXT) | instid1(SALU_CYCLE_1)
	s_and_saveexec_b32 s23, s9
	s_xor_b32 s9, exec_lo, s23
; %bb.7254:                             ;   in Loop: Header=BB450_3110 Depth=1
	v_bfe_u32 v2, v3, 16, 1
	s_delay_alu instid0(VALU_DEP_1)
	v_add3_u32 v2, v3, v2, 0x7fff
                                        ; implicit-def: $vgpr3
; %bb.7255:                             ;   in Loop: Header=BB450_3110 Depth=1
	s_and_not1_saveexec_b32 s23, s9
; %bb.7256:                             ;   in Loop: Header=BB450_3110 Depth=1
	v_and_b32_e32 v2, 0xffff, v3
	v_or_b32_e32 v12, 0x10000, v3
	s_delay_alu instid0(VALU_DEP_2) | instskip(NEXT) | instid1(VALU_DEP_1)
	v_cmp_eq_u32_e64 s9, 0, v2
	v_cndmask_b32_e64 v2, v12, v3, s9
; %bb.7257:                             ;   in Loop: Header=BB450_3110 Depth=1
	s_or_b32 exec_lo, exec_lo, s23
	v_cmp_lt_u64_e64 s9, s[18:19], v[0:1]
	v_mov_b32_e32 v0, 0
	s_delay_alu instid0(VALU_DEP_2)
	s_and_saveexec_b32 s23, s9
	s_cbranch_execz .LBB450_7265
; %bb.7258:                             ;   in Loop: Header=BB450_3110 Depth=1
	v_lshrrev_b32_e32 v3, 24, v1
	v_bfrev_b32_e32 v0, 1
	s_mov_b32 s24, exec_lo
	s_delay_alu instid0(VALU_DEP_2)
	v_cmpx_ne_u32_e32 0x80, v3
	s_cbranch_execz .LBB450_7264
; %bb.7259:                             ;   in Loop: Header=BB450_3110 Depth=1
	v_bfe_u32 v169, v1, 24, 7
	v_mov_b32_e32 v0, 0x7f800001
	s_mov_b32 s25, exec_lo
	s_delay_alu instid0(VALU_DEP_2)
	v_cmpx_ne_u32_e32 0x7f, v169
	s_cbranch_execz .LBB450_7263
; %bb.7260:                             ;   in Loop: Header=BB450_3110 Depth=1
	v_and_b32_e32 v12, 7, v3
	s_mov_b32 s26, exec_lo
	s_delay_alu instid0(VALU_DEP_1)
	v_dual_mov_b32 v0, v12 :: v_dual_mov_b32 v1, v13
	v_lshrrev_b32_e32 v1, 3, v169
	v_cmpx_gt_u32_e32 8, v169
; %bb.7261:                             ;   in Loop: Header=BB450_3110 Depth=1
	v_clz_i32_u32_e32 v0, v12
	s_delay_alu instid0(VALU_DEP_1) | instskip(NEXT) | instid1(VALU_DEP_1)
	v_min_u32_e32 v169, 32, v0
	v_subrev_nc_u32_e32 v0, 28, v169
	s_delay_alu instid0(VALU_DEP_1) | instskip(SKIP_1) | instid1(VALU_DEP_2)
	v_lshlrev_b64 v[0:1], v0, v[12:13]
	v_sub_nc_u32_e32 v1, 29, v169
	v_and_b32_e32 v0, 7, v0
; %bb.7262:                             ;   in Loop: Header=BB450_3110 Depth=1
	s_or_b32 exec_lo, exec_lo, s26
	v_lshlrev_b32_e32 v3, 24, v3
	s_delay_alu instid0(VALU_DEP_2) | instskip(SKIP_1) | instid1(VALU_DEP_3)
	v_lshlrev_b32_e32 v0, 20, v0
	v_lshl_add_u32 v1, v1, 23, 0x3c000000
	v_and_b32_e32 v3, 0x80000000, v3
	s_delay_alu instid0(VALU_DEP_1)
	v_or3_b32 v0, v0, v3, v1
.LBB450_7263:                           ;   in Loop: Header=BB450_3110 Depth=1
	s_or_b32 exec_lo, exec_lo, s25
.LBB450_7264:                           ;   in Loop: Header=BB450_3110 Depth=1
	s_delay_alu instid0(SALU_CYCLE_1)
	s_or_b32 exec_lo, exec_lo, s24
.LBB450_7265:                           ;   in Loop: Header=BB450_3110 Depth=1
	s_delay_alu instid0(SALU_CYCLE_1) | instskip(NEXT) | instid1(VALU_DEP_1)
	s_or_b32 exec_lo, exec_lo, s23
	v_mul_f32_e32 v0, v160, v0
                                        ; implicit-def: $vgpr169
	s_delay_alu instid0(VALU_DEP_1) | instskip(NEXT) | instid1(VALU_DEP_1)
	v_and_b32_e32 v1, 0x7f800000, v0
	v_cmp_ne_u32_e64 s9, 0x7f800000, v1
	s_delay_alu instid0(VALU_DEP_1) | instskip(NEXT) | instid1(SALU_CYCLE_1)
	s_and_saveexec_b32 s23, s9
	s_xor_b32 s9, exec_lo, s23
; %bb.7266:                             ;   in Loop: Header=BB450_3110 Depth=1
	v_bfe_u32 v1, v0, 16, 1
	s_delay_alu instid0(VALU_DEP_1)
	v_add3_u32 v169, v0, v1, 0x7fff
                                        ; implicit-def: $vgpr0
; %bb.7267:                             ;   in Loop: Header=BB450_3110 Depth=1
	s_and_not1_saveexec_b32 s23, s9
; %bb.7268:                             ;   in Loop: Header=BB450_3110 Depth=1
	v_and_b32_e32 v1, 0xffff, v0
	v_or_b32_e32 v3, 0x10000, v0
	s_delay_alu instid0(VALU_DEP_2) | instskip(NEXT) | instid1(VALU_DEP_1)
	v_cmp_eq_u32_e64 s9, 0, v1
	v_cndmask_b32_e64 v169, v3, v0, s9
; %bb.7269:                             ;   in Loop: Header=BB450_3110 Depth=1
	s_or_b32 exec_lo, exec_lo, s23
	v_lshrrev_b32_e32 v160, 16, v168
	v_lshrrev_b32_e32 v12, 16, v159
	;; [unrolled: 1-line block ×8, first 2 shown]
	s_and_saveexec_b32 s9, s1
; %bb.7270:                             ;   in Loop: Header=BB450_3110 Depth=1
	s_delay_alu instid0(VALU_DEP_3)
	v_cndmask_b32_e32 v0, 0, v0, vcc_lo
	v_cndmask_b32_e64 v1, 0, v1, s2
	v_cndmask_b32_e64 v157, 0, v157, s3
	;; [unrolled: 1-line block ×7, first 2 shown]
; %bb.7271:                             ;   in Loop: Header=BB450_3110 Depth=1
	s_or_b32 exec_lo, exec_lo, s9
	v_lshlrev_b32_e32 v0, 16, v0
	s_delay_alu instid0(VALU_DEP_1) | instskip(NEXT) | instid1(VALU_DEP_1)
	v_mul_f32_e32 v2, v161, v0
	v_and_b32_e32 v0, 0x7f800000, v2
	s_delay_alu instid0(VALU_DEP_1) | instskip(SKIP_1) | instid1(SALU_CYCLE_1)
	v_cmp_ne_u32_e32 vcc_lo, 0x7f800000, v0
                                        ; implicit-def: $vgpr0
	s_and_saveexec_b32 s1, vcc_lo
	s_xor_b32 s1, exec_lo, s1
; %bb.7272:                             ;   in Loop: Header=BB450_3110 Depth=1
	v_bfe_u32 v0, v2, 16, 1
	s_delay_alu instid0(VALU_DEP_1)
	v_add3_u32 v0, v2, v0, 0x7fff
                                        ; implicit-def: $vgpr2
; %bb.7273:                             ;   in Loop: Header=BB450_3110 Depth=1
	s_and_not1_saveexec_b32 s1, s1
; %bb.7274:                             ;   in Loop: Header=BB450_3110 Depth=1
	v_and_b32_e32 v0, 0xffff, v2
	v_or_b32_e32 v161, 0x10000, v2
	s_delay_alu instid0(VALU_DEP_2) | instskip(NEXT) | instid1(VALU_DEP_2)
	v_cmp_eq_u32_e32 vcc_lo, 0, v0
	v_cndmask_b32_e32 v0, v161, v2, vcc_lo
; %bb.7275:                             ;   in Loop: Header=BB450_3110 Depth=1
	s_or_b32 exec_lo, exec_lo, s1
	v_lshlrev_b32_e32 v1, 16, v1
	s_delay_alu instid0(VALU_DEP_1) | instskip(NEXT) | instid1(VALU_DEP_1)
	v_mul_f32_e32 v2, v162, v1
	v_and_b32_e32 v1, 0x7f800000, v2
	s_delay_alu instid0(VALU_DEP_1) | instskip(SKIP_1) | instid1(SALU_CYCLE_1)
	v_cmp_ne_u32_e32 vcc_lo, 0x7f800000, v1
                                        ; implicit-def: $vgpr1
	s_and_saveexec_b32 s1, vcc_lo
	s_xor_b32 s1, exec_lo, s1
; %bb.7276:                             ;   in Loop: Header=BB450_3110 Depth=1
	v_bfe_u32 v1, v2, 16, 1
	s_delay_alu instid0(VALU_DEP_1)
	v_add3_u32 v1, v2, v1, 0x7fff
                                        ; implicit-def: $vgpr2
; %bb.7277:                             ;   in Loop: Header=BB450_3110 Depth=1
	s_and_not1_saveexec_b32 s1, s1
; %bb.7278:                             ;   in Loop: Header=BB450_3110 Depth=1
	v_and_b32_e32 v1, 0xffff, v2
	v_or_b32_e32 v161, 0x10000, v2
	s_delay_alu instid0(VALU_DEP_2) | instskip(NEXT) | instid1(VALU_DEP_2)
	v_cmp_eq_u32_e32 vcc_lo, 0, v1
	v_cndmask_b32_e32 v1, v161, v2, vcc_lo
; %bb.7279:                             ;   in Loop: Header=BB450_3110 Depth=1
	s_or_b32 exec_lo, exec_lo, s1
	v_lshlrev_b32_e32 v2, 16, v157
	s_delay_alu instid0(VALU_DEP_1) | instskip(NEXT) | instid1(VALU_DEP_1)
	v_mul_f32_e32 v161, v163, v2
	v_and_b32_e32 v2, 0x7f800000, v161
	s_delay_alu instid0(VALU_DEP_1) | instskip(SKIP_1) | instid1(SALU_CYCLE_1)
	v_cmp_ne_u32_e32 vcc_lo, 0x7f800000, v2
                                        ; implicit-def: $vgpr2
	s_and_saveexec_b32 s1, vcc_lo
	s_xor_b32 s1, exec_lo, s1
; %bb.7280:                             ;   in Loop: Header=BB450_3110 Depth=1
	v_bfe_u32 v2, v161, 16, 1
	s_delay_alu instid0(VALU_DEP_1)
	v_add3_u32 v2, v161, v2, 0x7fff
                                        ; implicit-def: $vgpr161
; %bb.7281:                             ;   in Loop: Header=BB450_3110 Depth=1
	s_and_not1_saveexec_b32 s1, s1
; %bb.7282:                             ;   in Loop: Header=BB450_3110 Depth=1
	v_and_b32_e32 v2, 0xffff, v161
	v_or_b32_e32 v162, 0x10000, v161
	s_delay_alu instid0(VALU_DEP_2) | instskip(NEXT) | instid1(VALU_DEP_2)
	v_cmp_eq_u32_e32 vcc_lo, 0, v2
	v_cndmask_b32_e32 v2, v162, v161, vcc_lo
; %bb.7283:                             ;   in Loop: Header=BB450_3110 Depth=1
	s_or_b32 exec_lo, exec_lo, s1
	v_lshlrev_b32_e32 v3, 16, v3
	s_delay_alu instid0(VALU_DEP_1) | instskip(NEXT) | instid1(VALU_DEP_1)
	v_mul_f32_e32 v161, v164, v3
	v_and_b32_e32 v3, 0x7f800000, v161
	s_delay_alu instid0(VALU_DEP_1) | instskip(SKIP_1) | instid1(SALU_CYCLE_1)
	v_cmp_ne_u32_e32 vcc_lo, 0x7f800000, v3
                                        ; implicit-def: $vgpr3
	s_and_saveexec_b32 s1, vcc_lo
	s_xor_b32 s1, exec_lo, s1
; %bb.7284:                             ;   in Loop: Header=BB450_3110 Depth=1
	v_bfe_u32 v3, v161, 16, 1
	s_delay_alu instid0(VALU_DEP_1)
	v_add3_u32 v3, v161, v3, 0x7fff
                                        ; implicit-def: $vgpr161
; %bb.7285:                             ;   in Loop: Header=BB450_3110 Depth=1
	s_and_not1_saveexec_b32 s1, s1
; %bb.7286:                             ;   in Loop: Header=BB450_3110 Depth=1
	v_and_b32_e32 v3, 0xffff, v161
	v_or_b32_e32 v162, 0x10000, v161
	s_delay_alu instid0(VALU_DEP_2) | instskip(NEXT) | instid1(VALU_DEP_2)
	v_cmp_eq_u32_e32 vcc_lo, 0, v3
	v_cndmask_b32_e32 v3, v162, v161, vcc_lo
; %bb.7287:                             ;   in Loop: Header=BB450_3110 Depth=1
	s_or_b32 exec_lo, exec_lo, s1
	v_lshlrev_b32_e32 v12, 16, v12
	s_delay_alu instid0(VALU_DEP_1) | instskip(NEXT) | instid1(VALU_DEP_1)
	v_mul_f32_e32 v161, v165, v12
	v_and_b32_e32 v12, 0x7f800000, v161
	s_delay_alu instid0(VALU_DEP_1) | instskip(SKIP_1) | instid1(SALU_CYCLE_1)
	v_cmp_ne_u32_e32 vcc_lo, 0x7f800000, v12
                                        ; implicit-def: $vgpr12
	s_and_saveexec_b32 s1, vcc_lo
	s_xor_b32 s1, exec_lo, s1
; %bb.7288:                             ;   in Loop: Header=BB450_3110 Depth=1
	v_bfe_u32 v12, v161, 16, 1
	s_delay_alu instid0(VALU_DEP_1)
	v_add3_u32 v12, v161, v12, 0x7fff
                                        ; implicit-def: $vgpr161
; %bb.7289:                             ;   in Loop: Header=BB450_3110 Depth=1
	s_and_not1_saveexec_b32 s1, s1
; %bb.7290:                             ;   in Loop: Header=BB450_3110 Depth=1
	v_and_b32_e32 v12, 0xffff, v161
	v_or_b32_e32 v162, 0x10000, v161
	s_delay_alu instid0(VALU_DEP_2) | instskip(NEXT) | instid1(VALU_DEP_2)
	v_cmp_eq_u32_e32 vcc_lo, 0, v12
	v_cndmask_b32_e32 v12, v162, v161, vcc_lo
; %bb.7291:                             ;   in Loop: Header=BB450_3110 Depth=1
	s_or_b32 exec_lo, exec_lo, s1
	v_lshlrev_b32_e32 v160, 16, v160
	s_delay_alu instid0(VALU_DEP_1) | instskip(NEXT) | instid1(VALU_DEP_1)
	v_mul_f32_e32 v161, v166, v160
	v_and_b32_e32 v160, 0x7f800000, v161
	s_delay_alu instid0(VALU_DEP_1) | instskip(SKIP_1) | instid1(SALU_CYCLE_1)
	v_cmp_ne_u32_e32 vcc_lo, 0x7f800000, v160
                                        ; implicit-def: $vgpr160
	s_and_saveexec_b32 s1, vcc_lo
	s_xor_b32 s1, exec_lo, s1
; %bb.7292:                             ;   in Loop: Header=BB450_3110 Depth=1
	v_bfe_u32 v160, v161, 16, 1
	s_delay_alu instid0(VALU_DEP_1)
	v_add3_u32 v160, v161, v160, 0x7fff
                                        ; implicit-def: $vgpr161
; %bb.7293:                             ;   in Loop: Header=BB450_3110 Depth=1
	s_and_not1_saveexec_b32 s1, s1
; %bb.7294:                             ;   in Loop: Header=BB450_3110 Depth=1
	v_and_b32_e32 v160, 0xffff, v161
	v_or_b32_e32 v162, 0x10000, v161
	s_delay_alu instid0(VALU_DEP_2) | instskip(NEXT) | instid1(VALU_DEP_2)
	v_cmp_eq_u32_e32 vcc_lo, 0, v160
	v_cndmask_b32_e32 v160, v162, v161, vcc_lo
; %bb.7295:                             ;   in Loop: Header=BB450_3110 Depth=1
	s_or_b32 exec_lo, exec_lo, s1
	v_lshlrev_b32_e32 v161, 16, v156
	s_delay_alu instid0(VALU_DEP_1) | instskip(NEXT) | instid1(VALU_DEP_1)
	v_mul_f32_e32 v162, v167, v161
	v_and_b32_e32 v161, 0x7f800000, v162
	s_delay_alu instid0(VALU_DEP_1) | instskip(SKIP_1) | instid1(SALU_CYCLE_1)
	v_cmp_ne_u32_e32 vcc_lo, 0x7f800000, v161
                                        ; implicit-def: $vgpr161
	s_and_saveexec_b32 s1, vcc_lo
	s_xor_b32 s1, exec_lo, s1
; %bb.7296:                             ;   in Loop: Header=BB450_3110 Depth=1
	v_bfe_u32 v161, v162, 16, 1
	s_delay_alu instid0(VALU_DEP_1)
	v_add3_u32 v161, v162, v161, 0x7fff
                                        ; implicit-def: $vgpr162
; %bb.7297:                             ;   in Loop: Header=BB450_3110 Depth=1
	s_and_not1_saveexec_b32 s1, s1
; %bb.7298:                             ;   in Loop: Header=BB450_3110 Depth=1
	v_and_b32_e32 v161, 0xffff, v162
	v_or_b32_e32 v163, 0x10000, v162
	s_delay_alu instid0(VALU_DEP_2) | instskip(NEXT) | instid1(VALU_DEP_2)
	v_cmp_eq_u32_e32 vcc_lo, 0, v161
	v_cndmask_b32_e32 v161, v163, v162, vcc_lo
; %bb.7299:                             ;   in Loop: Header=BB450_3110 Depth=1
	s_or_b32 exec_lo, exec_lo, s1
	v_lshlrev_b32_e32 v162, 16, v155
	s_delay_alu instid0(VALU_DEP_1) | instskip(NEXT) | instid1(VALU_DEP_1)
	v_mul_f32_e32 v163, v176, v162
	v_and_b32_e32 v162, 0x7f800000, v163
	s_delay_alu instid0(VALU_DEP_1) | instskip(SKIP_1) | instid1(SALU_CYCLE_1)
	v_cmp_ne_u32_e32 vcc_lo, 0x7f800000, v162
                                        ; implicit-def: $vgpr162
	s_and_saveexec_b32 s1, vcc_lo
	s_xor_b32 s1, exec_lo, s1
; %bb.7300:                             ;   in Loop: Header=BB450_3110 Depth=1
	v_bfe_u32 v162, v163, 16, 1
	s_delay_alu instid0(VALU_DEP_1)
	v_add3_u32 v162, v163, v162, 0x7fff
                                        ; implicit-def: $vgpr163
; %bb.7301:                             ;   in Loop: Header=BB450_3110 Depth=1
	s_and_not1_saveexec_b32 s1, s1
	s_cbranch_execz .LBB450_3108
; %bb.7302:                             ;   in Loop: Header=BB450_3110 Depth=1
	v_and_b32_e32 v162, 0xffff, v163
	v_or_b32_e32 v164, 0x10000, v163
	s_delay_alu instid0(VALU_DEP_2) | instskip(NEXT) | instid1(VALU_DEP_2)
	v_cmp_eq_u32_e32 vcc_lo, 0, v162
	v_cndmask_b32_e32 v162, v164, v163, vcc_lo
	s_branch .LBB450_3108
.LBB450_7303:
	s_or_b32 exec_lo, exec_lo, s21
	s_clause 0x1d
	scratch_load_b32 v84, off, s32 offset:940
	scratch_load_b32 v71, off, s32 offset:944
	;; [unrolled: 1-line block ×30, first 2 shown]
.LBB450_7304:
	s_or_b32 exec_lo, exec_lo, s15
	s_waitcnt vmcnt(27)
	ds_bpermute_b32 v2, v36, v7
	ds_bpermute_b32 v0, v36, v8
	;; [unrolled: 1-line block ×3, first 2 shown]
	v_dual_mov_b32 v17, v6 :: v_dual_mov_b32 v18, v7
	ds_bpermute_b32 v3, v36, v6
	s_waitcnt vmcnt(0)
	ds_bpermute_b32 v4, v36, v25
	v_mov_b32_e32 v23, v8
	ds_bpermute_b32 v5, v36, v24
	ds_bpermute_b32 v6, v36, v22
	;; [unrolled: 1-line block ×11, first 2 shown]
	s_waitcnt lgkmcnt(0)
	s_waitcnt_vscnt null, 0x0
	v_dual_add_f32 v2, v18, v2 :: v_dual_mov_b32 v31, v9
	v_add_f32_e32 v0, v23, v0
	ds_bpermute_b32 v9, v36, v19
	s_waitcnt lgkmcnt(0)
	s_barrier
	v_add_f32_e32 v3, v17, v3
	v_dual_add_f32 v1, v31, v1 :: v_dual_add_f32 v4, v25, v4
	ds_bpermute_b32 v17, v71, v0
	v_dual_add_f32 v5, v24, v5 :: v_dual_add_f32 v6, v22, v6
	ds_bpermute_b32 v18, v71, v1
	v_dual_add_f32 v7, v21, v7 :: v_dual_add_f32 v8, v20, v8
	v_dual_add_f32 v11, v29, v11 :: v_dual_add_f32 v12, v28, v12
	;; [unrolled: 1-line block ×3, first 2 shown]
	ds_bpermute_b32 v20, v71, v3
	ds_bpermute_b32 v21, v71, v4
	v_add_f32_e32 v10, v32, v10
	ds_bpermute_b32 v22, v71, v5
	ds_bpermute_b32 v23, v71, v6
	v_add_f32_e32 v9, v19, v9
	ds_bpermute_b32 v19, v71, v2
	ds_bpermute_b32 v24, v71, v7
	;; [unrolled: 1-line block ×6, first 2 shown]
	s_waitcnt lgkmcnt(11)
	v_add_f32_e32 v0, v0, v17
	s_waitcnt lgkmcnt(10)
	v_add_f32_e32 v32, v1, v18
	ds_bpermute_b32 v1, v71, v12
	ds_bpermute_b32 v17, v71, v13
	;; [unrolled: 1-line block ×3, first 2 shown]
	s_waitcnt lgkmcnt(0)
	buffer_gl0_inv
	s_load_b32 s1, s[12:13], 0x0
	s_mov_b32 s2, exec_lo
	v_dual_add_f32 v30, v3, v20 :: v_dual_add_f32 v29, v4, v21
	ds_bpermute_b32 v3, v36, v67
	v_dual_add_f32 v28, v5, v22 :: v_dual_add_f32 v27, v6, v23
	ds_bpermute_b32 v4, v36, v54
	v_add_f32_e32 v31, v2, v19
	ds_bpermute_b32 v2, v36, v68
	v_dual_add_f32 v26, v7, v24 :: v_dual_add_f32 v25, v8, v25
	ds_bpermute_b32 v5, v36, v38
	ds_bpermute_b32 v6, v36, v37
	v_dual_add_f32 v24, v9, v33 :: v_dual_add_f32 v23, v10, v34
	v_dual_add_f32 v22, v11, v35 :: v_dual_add_f32 v21, v12, v1
	;; [unrolled: 1-line block ×3, first 2 shown]
	v_add_f32_e32 v19, v13, v17
	ds_bpermute_b32 v10, v36, v53
	ds_bpermute_b32 v11, v36, v52
	ds_bpermute_b32 v12, v36, v51
	v_add_f32_e32 v17, v14, v18
	ds_bpermute_b32 v13, v36, v49
	ds_bpermute_b32 v14, v36, v50
	ds_bpermute_b32 v15, v36, v55
	ds_bpermute_b32 v16, v36, v64
	s_waitcnt lgkmcnt(0)
	v_add_f32_e32 v2, v68, v2
	ds_bpermute_b32 v18, v36, v65
	ds_bpermute_b32 v20, v36, v66
	;; [unrolled: 1-line block ×3, first 2 shown]
	v_dual_add_f32 v3, v67, v3 :: v_dual_add_f32 v4, v54, v4
	ds_bpermute_b32 v34, v71, v2
	v_dual_add_f32 v5, v38, v5 :: v_dual_add_f32 v6, v37, v6
	ds_bpermute_b32 v1, v71, v7
	ds_bpermute_b32 v9, v71, v8
	;; [unrolled: 1-line block ×3, first 2 shown]
	v_dual_add_f32 v10, v53, v10 :: v_dual_add_f32 v39, v52, v11
	v_add_f32_e32 v48, v51, v12
	ds_bpermute_b32 v36, v71, v4
	v_dual_add_f32 v49, v49, v13 :: v_dual_add_f32 v50, v50, v14
	v_dual_add_f32 v55, v55, v15 :: v_dual_add_f32 v64, v64, v16
	ds_bpermute_b32 v37, v71, v5
	s_waitcnt lgkmcnt(7)
	v_dual_add_f32 v65, v65, v18 :: v_dual_add_f32 v66, v66, v20
	s_waitcnt lgkmcnt(6)
	v_add_f32_e32 v33, v171, v33
	ds_bpermute_b32 v38, v71, v6
	ds_bpermute_b32 v11, v71, v10
	s_waitcnt lgkmcnt(7)
	v_add_f32_e32 v16, v2, v34
	ds_bpermute_b32 v51, v71, v39
	ds_bpermute_b32 v52, v71, v48
	;; [unrolled: 1-line block ×9, first 2 shown]
	s_waitcnt lgkmcnt(15)
	v_add_f32_e32 v20, v7, v1
	s_clause 0x1
	scratch_load_b32 v1, off, s32 offset:852
	scratch_load_b32 v34, off, s32 offset:1764
	s_waitcnt lgkmcnt(13)
	v_dual_add_f32 v18, v8, v9 :: v_dual_add_f32 v15, v3, v35
	s_waitcnt lgkmcnt(11)
	v_dual_add_f32 v14, v4, v36 :: v_dual_add_f32 v13, v5, v37
	s_waitcnt lgkmcnt(10)
	v_add_f32_e32 v12, v6, v38
	s_waitcnt lgkmcnt(9)
	v_add_f32_e32 v11, v10, v11
	s_waitcnt lgkmcnt(7)
	v_dual_add_f32 v10, v39, v51 :: v_dual_add_f32 v9, v48, v52
	s_waitcnt lgkmcnt(5)
	v_dual_add_f32 v8, v49, v53 :: v_dual_add_f32 v7, v50, v54
	s_waitcnt lgkmcnt(2)
	v_dual_add_f32 v5, v64, v68 :: v_dual_add_f32 v4, v65, v69
	s_waitcnt lgkmcnt(0)
	v_dual_add_f32 v3, v66, v70 :: v_dual_add_f32 v2, v33, v71
	scratch_load_b32 v33, off, s32 offset:840 ; 4-byte Folded Reload
	s_waitcnt vmcnt(2)
	v_dual_add_f32 v6, v55, v67 :: v_dual_and_b32 v1, 0x3c3, v1
	s_waitcnt vmcnt(1)
	v_lshl_add_u32 v34, v34, 10, s1
	s_waitcnt vmcnt(0)
	v_lshrrev_b32_e32 v33, 2, v33
	v_cmpx_eq_u32_e32 64, v1
	s_cbranch_execz .LBB450_7306
; %bb.7305:
	s_delay_alu instid0(VALU_DEP_2) | instskip(NEXT) | instid1(VALU_DEP_1)
	v_lshlrev_b32_e32 v35, 2, v33
	v_add3_u32 v35, v34, v35, 0xfffff800
	ds_store_2addr_b32 v35, v0, v32 offset1:8
	ds_store_2addr_b32 v35, v31, v30 offset0:16 offset1:24
	ds_store_2addr_b32 v35, v29, v28 offset0:32 offset1:40
	;; [unrolled: 1-line block ×15, first 2 shown]
.LBB450_7306:
	s_or_b32 exec_lo, exec_lo, s2
	v_cmp_eq_u32_e32 vcc_lo, 0, v1
	v_lshl_add_u32 v1, v33, 2, v34
	s_waitcnt lgkmcnt(0)
	s_barrier
	buffer_gl0_inv
	s_and_saveexec_b32 s2, vcc_lo
	s_cbranch_execz .LBB450_7308
; %bb.7307:
	ds_load_2addr_b32 v[34:35], v1 offset1:8
	ds_load_2addr_b32 v[36:37], v1 offset0:16 offset1:24
	ds_load_2addr_b32 v[38:39], v1 offset0:32 offset1:40
	;; [unrolled: 1-line block ×12, first 2 shown]
	s_waitcnt lgkmcnt(11)
	v_dual_add_f32 v0, v34, v0 :: v_dual_add_f32 v31, v36, v31
	s_waitcnt lgkmcnt(10)
	v_dual_add_f32 v32, v35, v32 :: v_dual_add_f32 v29, v38, v29
	;; [unrolled: 2-line block ×4, first 2 shown]
	ds_load_2addr_b32 v[34:35], v1 offset0:208 offset1:216
	ds_load_2addr_b32 v[36:37], v1 offset0:224 offset1:232
	ds_load_2addr_b32 v[38:39], v1 offset0:240 offset1:248
	s_waitcnt lgkmcnt(10)
	v_dual_add_f32 v26, v49, v26 :: v_dual_add_f32 v23, v52, v23
	s_waitcnt lgkmcnt(9)
	v_dual_add_f32 v24, v51, v24 :: v_dual_add_f32 v21, v54, v21
	v_dual_add_f32 v22, v53, v22 :: v_dual_add_f32 v19, v55, v19
	s_waitcnt lgkmcnt(8)
	v_dual_add_f32 v17, v64, v17 :: v_dual_add_f32 v20, v65, v20
	s_waitcnt lgkmcnt(6)
	;; [unrolled: 2-line block ×8, first 2 shown]
	v_dual_add_f32 v6, v35, v6 :: v_dual_add_f32 v3, v38, v3
	v_add_f32_e32 v4, v37, v4
	v_add_f32_e32 v2, v39, v2
.LBB450_7308:
	s_or_b32 exec_lo, exec_lo, s2
	scratch_load_b32 v34, off, s32 offset:852 ; 4-byte Folded Reload
	s_mov_b32 s2, exec_lo
	s_waitcnt vmcnt(0)
	s_barrier
	buffer_gl0_inv
	v_and_b32_e32 v34, 0x3e3, v34
	s_delay_alu instid0(VALU_DEP_1)
	v_cmpx_eq_u32_e32 32, v34
	s_cbranch_execz .LBB450_7310
; %bb.7309:
	v_lshl_add_u32 v33, v33, 2, s1
	ds_store_2addr_b32 v33, v0, v32 offset1:8
	ds_store_2addr_b32 v33, v31, v30 offset0:16 offset1:24
	ds_store_2addr_b32 v33, v29, v28 offset0:32 offset1:40
	;; [unrolled: 1-line block ×15, first 2 shown]
.LBB450_7310:
	s_or_b32 exec_lo, exec_lo, s2
	s_delay_alu instid0(SALU_CYCLE_1)
	s_mov_b32 s1, exec_lo
	s_waitcnt lgkmcnt(0)
	s_barrier
	buffer_gl0_inv
	v_cmpx_eq_u32_e32 0, v34
	s_cbranch_execz .LBB450_7312
; %bb.7311:
	ds_load_2addr_b32 v[33:34], v1 offset1:8
	ds_load_2addr_b32 v[35:36], v1 offset0:16 offset1:24
	ds_load_2addr_b32 v[37:38], v1 offset0:32 offset1:40
	;; [unrolled: 1-line block ×12, first 2 shown]
	s_waitcnt lgkmcnt(11)
	v_dual_add_f32 v0, v33, v0 :: v_dual_add_f32 v31, v35, v31
	s_waitcnt lgkmcnt(10)
	v_dual_add_f32 v32, v34, v32 :: v_dual_add_f32 v29, v37, v29
	;; [unrolled: 2-line block ×3, first 2 shown]
	v_dual_add_f32 v28, v38, v28 :: v_dual_add_f32 v27, v48, v27
	ds_load_2addr_b32 v[33:34], v1 offset0:208 offset1:216
	ds_load_2addr_b32 v[35:36], v1 offset0:224 offset1:232
	;; [unrolled: 1-line block ×3, first 2 shown]
	s_waitcnt lgkmcnt(10)
	v_dual_add_f32 v26, v49, v26 :: v_dual_add_f32 v23, v52, v23
	s_waitcnt lgkmcnt(9)
	v_dual_add_f32 v24, v51, v24 :: v_dual_add_f32 v21, v54, v21
	v_dual_add_f32 v22, v53, v22 :: v_dual_add_f32 v19, v55, v19
	s_waitcnt lgkmcnt(8)
	v_dual_add_f32 v17, v64, v17 :: v_dual_add_f32 v20, v65, v20
	s_waitcnt lgkmcnt(6)
	;; [unrolled: 2-line block ×5, first 2 shown]
	v_dual_add_f32 v12, v71, v12 :: v_dual_add_f32 v9, v82, v9
	v_add_f32_e32 v10, v81, v10
	s_waitcnt lgkmcnt(2)
	v_dual_add_f32 v8, v83, v8 :: v_dual_add_f32 v7, v33, v7
	s_waitcnt lgkmcnt(0)
	v_dual_add_f32 v6, v34, v6 :: v_dual_add_f32 v3, v37, v3
	v_dual_add_f32 v5, v35, v5 :: v_dual_add_f32 v4, v36, v4
	v_add_f32_e32 v2, v38, v2
.LBB450_7312:
	s_or_b32 exec_lo, exec_lo, s1
	s_barrier
	buffer_gl0_inv
	s_and_b32 exec_lo, exec_lo, s0
	s_cbranch_execz .LBB450_7443
; %bb.7313:
	v_cmp_eq_u32_e32 vcc_lo, 0, v84
	s_and_b32 exec_lo, exec_lo, vcc_lo
	s_cbranch_execz .LBB450_7443
; %bb.7314:
	v_and_b32_e32 v1, 0x7f800000, v0
	s_mov_b32 s0, exec_lo
                                        ; implicit-def: $vgpr33
	s_delay_alu instid0(VALU_DEP_1)
	v_cmpx_ne_u32_e32 0x7f800000, v1
	s_xor_b32 s0, exec_lo, s0
; %bb.7315:
	v_bfe_u32 v1, v0, 16, 1
	s_delay_alu instid0(VALU_DEP_1)
	v_add3_u32 v33, v0, v1, 0x7fff
                                        ; implicit-def: $vgpr0
; %bb.7316:
	s_and_not1_saveexec_b32 s0, s0
; %bb.7317:
	v_and_b32_e32 v1, 0xffff, v0
	v_or_b32_e32 v33, 0x10000, v0
	s_delay_alu instid0(VALU_DEP_2) | instskip(NEXT) | instid1(VALU_DEP_2)
	v_cmp_eq_u32_e32 vcc_lo, 0, v1
	v_cndmask_b32_e32 v33, v33, v0, vcc_lo
; %bb.7318:
	s_or_b32 exec_lo, exec_lo, s0
	s_clause 0x2
	scratch_load_b32 v0, off, s32 offset:852
	scratch_load_b32 v34, off, s32 offset:1768
	;; [unrolled: 1-line block ×3, first 2 shown]
	s_mul_i32 s1, s17, s10
	s_mul_i32 s0, s16, s17
	;; [unrolled: 1-line block ×3, first 2 shown]
	s_lshl_b32 s2, s14, 8
	s_lshl_b32 s4, s1, 8
	s_ashr_i32 s1, s0, 31
	s_ashr_i32 s3, s2, 31
	;; [unrolled: 1-line block ×3, first 2 shown]
	s_lshl_b64 s[0:1], s[0:1], 1
	s_lshl_b64 s[2:3], s[2:3], 1
	;; [unrolled: 1-line block ×3, first 2 shown]
	s_add_u32 s0, s2, s0
	s_addc_u32 s1, s3, s1
	s_add_u32 s0, s0, s4
	s_addc_u32 s1, s1, s5
	v_and_b32_e32 v35, 0x7f800000, v32
	s_waitcnt vmcnt(2)
	v_lshrrev_b32_e32 v0, 1, v0
	s_waitcnt vmcnt(0)
	v_add_co_u32 v1, vcc_lo, s0, v1
	v_add_co_ci_u32_e32 v34, vcc_lo, s1, v34, vcc_lo
	s_delay_alu instid0(VALU_DEP_3) | instskip(SKIP_1) | instid1(VALU_DEP_1)
	v_and_b32_e32 v0, 0x1fe, v0
	s_mov_b32 s0, exec_lo
	v_add_co_u32 v0, vcc_lo, v1, v0
	s_delay_alu instid0(VALU_DEP_3)
	v_add_co_ci_u32_e32 v1, vcc_lo, 0, v34, vcc_lo
	flat_store_d16_hi_b16 v[0:1], v33
                                        ; implicit-def: $vgpr33
	v_cmpx_ne_u32_e32 0x7f800000, v35
	s_xor_b32 s0, exec_lo, s0
; %bb.7319:
	v_bfe_u32 v33, v32, 16, 1
	s_delay_alu instid0(VALU_DEP_1)
	v_add3_u32 v33, v32, v33, 0x7fff
                                        ; implicit-def: $vgpr32
; %bb.7320:
	s_and_not1_saveexec_b32 s0, s0
; %bb.7321:
	v_and_b32_e32 v33, 0xffff, v32
	v_or_b32_e32 v34, 0x10000, v32
	s_delay_alu instid0(VALU_DEP_2) | instskip(NEXT) | instid1(VALU_DEP_2)
	v_cmp_eq_u32_e32 vcc_lo, 0, v33
	v_cndmask_b32_e32 v33, v34, v32, vcc_lo
; %bb.7322:
	s_or_b32 exec_lo, exec_lo, s0
	v_and_b32_e32 v32, 0x7f800000, v31
	flat_store_d16_hi_b16 v[0:1], v33 offset:16
	v_cmp_ne_u32_e32 vcc_lo, 0x7f800000, v32
                                        ; implicit-def: $vgpr32
	s_and_saveexec_b32 s0, vcc_lo
	s_delay_alu instid0(SALU_CYCLE_1)
	s_xor_b32 s0, exec_lo, s0
; %bb.7323:
	v_bfe_u32 v32, v31, 16, 1
	s_delay_alu instid0(VALU_DEP_1)
	v_add3_u32 v32, v31, v32, 0x7fff
                                        ; implicit-def: $vgpr31
; %bb.7324:
	s_and_not1_saveexec_b32 s0, s0
; %bb.7325:
	v_and_b32_e32 v32, 0xffff, v31
	v_or_b32_e32 v33, 0x10000, v31
	s_delay_alu instid0(VALU_DEP_2) | instskip(NEXT) | instid1(VALU_DEP_2)
	v_cmp_eq_u32_e32 vcc_lo, 0, v32
	v_cndmask_b32_e32 v32, v33, v31, vcc_lo
; %bb.7326:
	s_or_b32 exec_lo, exec_lo, s0
	v_and_b32_e32 v31, 0x7f800000, v30
	flat_store_d16_hi_b16 v[0:1], v32 offset:32
	v_cmp_ne_u32_e32 vcc_lo, 0x7f800000, v31
                                        ; implicit-def: $vgpr31
	s_and_saveexec_b32 s0, vcc_lo
	s_delay_alu instid0(SALU_CYCLE_1)
	s_xor_b32 s0, exec_lo, s0
; %bb.7327:
	v_bfe_u32 v31, v30, 16, 1
	s_delay_alu instid0(VALU_DEP_1)
	v_add3_u32 v31, v30, v31, 0x7fff
                                        ; implicit-def: $vgpr30
; %bb.7328:
	s_and_not1_saveexec_b32 s0, s0
; %bb.7329:
	v_and_b32_e32 v31, 0xffff, v30
	v_or_b32_e32 v32, 0x10000, v30
	s_delay_alu instid0(VALU_DEP_2) | instskip(NEXT) | instid1(VALU_DEP_2)
	v_cmp_eq_u32_e32 vcc_lo, 0, v31
	v_cndmask_b32_e32 v31, v32, v30, vcc_lo
; %bb.7330:
	s_or_b32 exec_lo, exec_lo, s0
	v_and_b32_e32 v30, 0x7f800000, v29
	flat_store_d16_hi_b16 v[0:1], v31 offset:48
	v_cmp_ne_u32_e32 vcc_lo, 0x7f800000, v30
                                        ; implicit-def: $vgpr30
	s_and_saveexec_b32 s0, vcc_lo
	s_delay_alu instid0(SALU_CYCLE_1)
	s_xor_b32 s0, exec_lo, s0
; %bb.7331:
	v_bfe_u32 v30, v29, 16, 1
	s_delay_alu instid0(VALU_DEP_1)
	v_add3_u32 v30, v29, v30, 0x7fff
                                        ; implicit-def: $vgpr29
; %bb.7332:
	s_and_not1_saveexec_b32 s0, s0
; %bb.7333:
	v_and_b32_e32 v30, 0xffff, v29
	v_or_b32_e32 v31, 0x10000, v29
	s_delay_alu instid0(VALU_DEP_2) | instskip(NEXT) | instid1(VALU_DEP_2)
	v_cmp_eq_u32_e32 vcc_lo, 0, v30
	v_cndmask_b32_e32 v30, v31, v29, vcc_lo
; %bb.7334:
	s_or_b32 exec_lo, exec_lo, s0
	v_and_b32_e32 v29, 0x7f800000, v28
	flat_store_d16_hi_b16 v[0:1], v30 offset:64
	v_cmp_ne_u32_e32 vcc_lo, 0x7f800000, v29
                                        ; implicit-def: $vgpr29
	s_and_saveexec_b32 s0, vcc_lo
	s_delay_alu instid0(SALU_CYCLE_1)
	s_xor_b32 s0, exec_lo, s0
; %bb.7335:
	v_bfe_u32 v29, v28, 16, 1
	s_delay_alu instid0(VALU_DEP_1)
	v_add3_u32 v29, v28, v29, 0x7fff
                                        ; implicit-def: $vgpr28
; %bb.7336:
	s_and_not1_saveexec_b32 s0, s0
; %bb.7337:
	v_and_b32_e32 v29, 0xffff, v28
	v_or_b32_e32 v30, 0x10000, v28
	s_delay_alu instid0(VALU_DEP_2) | instskip(NEXT) | instid1(VALU_DEP_2)
	v_cmp_eq_u32_e32 vcc_lo, 0, v29
	v_cndmask_b32_e32 v29, v30, v28, vcc_lo
; %bb.7338:
	s_or_b32 exec_lo, exec_lo, s0
	v_and_b32_e32 v28, 0x7f800000, v27
	flat_store_d16_hi_b16 v[0:1], v29 offset:80
	v_cmp_ne_u32_e32 vcc_lo, 0x7f800000, v28
                                        ; implicit-def: $vgpr28
	s_and_saveexec_b32 s0, vcc_lo
	s_delay_alu instid0(SALU_CYCLE_1)
	s_xor_b32 s0, exec_lo, s0
; %bb.7339:
	v_bfe_u32 v28, v27, 16, 1
	s_delay_alu instid0(VALU_DEP_1)
	v_add3_u32 v28, v27, v28, 0x7fff
                                        ; implicit-def: $vgpr27
; %bb.7340:
	s_and_not1_saveexec_b32 s0, s0
; %bb.7341:
	v_and_b32_e32 v28, 0xffff, v27
	v_or_b32_e32 v29, 0x10000, v27
	s_delay_alu instid0(VALU_DEP_2) | instskip(NEXT) | instid1(VALU_DEP_2)
	v_cmp_eq_u32_e32 vcc_lo, 0, v28
	v_cndmask_b32_e32 v28, v29, v27, vcc_lo
; %bb.7342:
	s_or_b32 exec_lo, exec_lo, s0
	v_and_b32_e32 v27, 0x7f800000, v26
	flat_store_d16_hi_b16 v[0:1], v28 offset:96
	v_cmp_ne_u32_e32 vcc_lo, 0x7f800000, v27
                                        ; implicit-def: $vgpr27
	s_and_saveexec_b32 s0, vcc_lo
	s_delay_alu instid0(SALU_CYCLE_1)
	s_xor_b32 s0, exec_lo, s0
; %bb.7343:
	v_bfe_u32 v27, v26, 16, 1
	s_delay_alu instid0(VALU_DEP_1)
	v_add3_u32 v27, v26, v27, 0x7fff
                                        ; implicit-def: $vgpr26
; %bb.7344:
	s_and_not1_saveexec_b32 s0, s0
; %bb.7345:
	v_and_b32_e32 v27, 0xffff, v26
	v_or_b32_e32 v28, 0x10000, v26
	s_delay_alu instid0(VALU_DEP_2) | instskip(NEXT) | instid1(VALU_DEP_2)
	v_cmp_eq_u32_e32 vcc_lo, 0, v27
	v_cndmask_b32_e32 v27, v28, v26, vcc_lo
; %bb.7346:
	s_or_b32 exec_lo, exec_lo, s0
	v_and_b32_e32 v26, 0x7f800000, v25
	flat_store_d16_hi_b16 v[0:1], v27 offset:112
	v_cmp_ne_u32_e32 vcc_lo, 0x7f800000, v26
                                        ; implicit-def: $vgpr26
	s_and_saveexec_b32 s0, vcc_lo
	s_delay_alu instid0(SALU_CYCLE_1)
	s_xor_b32 s0, exec_lo, s0
; %bb.7347:
	v_bfe_u32 v26, v25, 16, 1
	s_delay_alu instid0(VALU_DEP_1)
	v_add3_u32 v26, v25, v26, 0x7fff
                                        ; implicit-def: $vgpr25
; %bb.7348:
	s_and_not1_saveexec_b32 s0, s0
; %bb.7349:
	v_and_b32_e32 v26, 0xffff, v25
	v_or_b32_e32 v27, 0x10000, v25
	s_delay_alu instid0(VALU_DEP_2) | instskip(NEXT) | instid1(VALU_DEP_2)
	v_cmp_eq_u32_e32 vcc_lo, 0, v26
	v_cndmask_b32_e32 v26, v27, v25, vcc_lo
; %bb.7350:
	s_or_b32 exec_lo, exec_lo, s0
	v_and_b32_e32 v25, 0x7f800000, v24
	flat_store_d16_hi_b16 v[0:1], v26 offset:128
	v_cmp_ne_u32_e32 vcc_lo, 0x7f800000, v25
                                        ; implicit-def: $vgpr25
	s_and_saveexec_b32 s0, vcc_lo
	s_delay_alu instid0(SALU_CYCLE_1)
	s_xor_b32 s0, exec_lo, s0
; %bb.7351:
	v_bfe_u32 v25, v24, 16, 1
	s_delay_alu instid0(VALU_DEP_1)
	v_add3_u32 v25, v24, v25, 0x7fff
                                        ; implicit-def: $vgpr24
; %bb.7352:
	s_and_not1_saveexec_b32 s0, s0
; %bb.7353:
	v_and_b32_e32 v25, 0xffff, v24
	v_or_b32_e32 v26, 0x10000, v24
	s_delay_alu instid0(VALU_DEP_2) | instskip(NEXT) | instid1(VALU_DEP_2)
	v_cmp_eq_u32_e32 vcc_lo, 0, v25
	v_cndmask_b32_e32 v25, v26, v24, vcc_lo
; %bb.7354:
	s_or_b32 exec_lo, exec_lo, s0
	v_and_b32_e32 v24, 0x7f800000, v23
	flat_store_d16_hi_b16 v[0:1], v25 offset:144
	v_cmp_ne_u32_e32 vcc_lo, 0x7f800000, v24
                                        ; implicit-def: $vgpr24
	s_and_saveexec_b32 s0, vcc_lo
	s_delay_alu instid0(SALU_CYCLE_1)
	s_xor_b32 s0, exec_lo, s0
; %bb.7355:
	v_bfe_u32 v24, v23, 16, 1
	s_delay_alu instid0(VALU_DEP_1)
	v_add3_u32 v24, v23, v24, 0x7fff
                                        ; implicit-def: $vgpr23
; %bb.7356:
	s_and_not1_saveexec_b32 s0, s0
; %bb.7357:
	v_and_b32_e32 v24, 0xffff, v23
	v_or_b32_e32 v25, 0x10000, v23
	s_delay_alu instid0(VALU_DEP_2) | instskip(NEXT) | instid1(VALU_DEP_2)
	v_cmp_eq_u32_e32 vcc_lo, 0, v24
	v_cndmask_b32_e32 v24, v25, v23, vcc_lo
; %bb.7358:
	s_or_b32 exec_lo, exec_lo, s0
	v_and_b32_e32 v23, 0x7f800000, v22
	flat_store_d16_hi_b16 v[0:1], v24 offset:160
	v_cmp_ne_u32_e32 vcc_lo, 0x7f800000, v23
                                        ; implicit-def: $vgpr23
	s_and_saveexec_b32 s0, vcc_lo
	s_delay_alu instid0(SALU_CYCLE_1)
	s_xor_b32 s0, exec_lo, s0
; %bb.7359:
	v_bfe_u32 v23, v22, 16, 1
	s_delay_alu instid0(VALU_DEP_1)
	v_add3_u32 v23, v22, v23, 0x7fff
                                        ; implicit-def: $vgpr22
; %bb.7360:
	s_and_not1_saveexec_b32 s0, s0
; %bb.7361:
	v_and_b32_e32 v23, 0xffff, v22
	v_or_b32_e32 v24, 0x10000, v22
	s_delay_alu instid0(VALU_DEP_2) | instskip(NEXT) | instid1(VALU_DEP_2)
	v_cmp_eq_u32_e32 vcc_lo, 0, v23
	v_cndmask_b32_e32 v23, v24, v22, vcc_lo
; %bb.7362:
	s_or_b32 exec_lo, exec_lo, s0
	v_and_b32_e32 v22, 0x7f800000, v21
	flat_store_d16_hi_b16 v[0:1], v23 offset:176
	v_cmp_ne_u32_e32 vcc_lo, 0x7f800000, v22
                                        ; implicit-def: $vgpr22
	s_and_saveexec_b32 s0, vcc_lo
	s_delay_alu instid0(SALU_CYCLE_1)
	s_xor_b32 s0, exec_lo, s0
; %bb.7363:
	v_bfe_u32 v22, v21, 16, 1
	s_delay_alu instid0(VALU_DEP_1)
	v_add3_u32 v22, v21, v22, 0x7fff
                                        ; implicit-def: $vgpr21
; %bb.7364:
	s_and_not1_saveexec_b32 s0, s0
; %bb.7365:
	v_and_b32_e32 v22, 0xffff, v21
	v_or_b32_e32 v23, 0x10000, v21
	s_delay_alu instid0(VALU_DEP_2) | instskip(NEXT) | instid1(VALU_DEP_2)
	v_cmp_eq_u32_e32 vcc_lo, 0, v22
	v_cndmask_b32_e32 v22, v23, v21, vcc_lo
; %bb.7366:
	s_or_b32 exec_lo, exec_lo, s0
	v_and_b32_e32 v21, 0x7f800000, v19
	flat_store_d16_hi_b16 v[0:1], v22 offset:192
	v_cmp_ne_u32_e32 vcc_lo, 0x7f800000, v21
                                        ; implicit-def: $vgpr21
	s_and_saveexec_b32 s0, vcc_lo
	s_delay_alu instid0(SALU_CYCLE_1)
	s_xor_b32 s0, exec_lo, s0
; %bb.7367:
	v_bfe_u32 v21, v19, 16, 1
	s_delay_alu instid0(VALU_DEP_1)
	v_add3_u32 v21, v19, v21, 0x7fff
                                        ; implicit-def: $vgpr19
; %bb.7368:
	s_and_not1_saveexec_b32 s0, s0
; %bb.7369:
	v_and_b32_e32 v21, 0xffff, v19
	v_or_b32_e32 v22, 0x10000, v19
	s_delay_alu instid0(VALU_DEP_2) | instskip(NEXT) | instid1(VALU_DEP_2)
	v_cmp_eq_u32_e32 vcc_lo, 0, v21
	v_cndmask_b32_e32 v21, v22, v19, vcc_lo
; %bb.7370:
	s_or_b32 exec_lo, exec_lo, s0
	v_and_b32_e32 v19, 0x7f800000, v17
	flat_store_d16_hi_b16 v[0:1], v21 offset:208
	v_cmp_ne_u32_e32 vcc_lo, 0x7f800000, v19
                                        ; implicit-def: $vgpr19
	s_and_saveexec_b32 s0, vcc_lo
	s_delay_alu instid0(SALU_CYCLE_1)
	s_xor_b32 s0, exec_lo, s0
; %bb.7371:
	v_bfe_u32 v19, v17, 16, 1
	s_delay_alu instid0(VALU_DEP_1)
	v_add3_u32 v19, v17, v19, 0x7fff
                                        ; implicit-def: $vgpr17
; %bb.7372:
	s_and_not1_saveexec_b32 s0, s0
; %bb.7373:
	v_and_b32_e32 v19, 0xffff, v17
	v_or_b32_e32 v21, 0x10000, v17
	s_delay_alu instid0(VALU_DEP_2) | instskip(NEXT) | instid1(VALU_DEP_2)
	v_cmp_eq_u32_e32 vcc_lo, 0, v19
	v_cndmask_b32_e32 v19, v21, v17, vcc_lo
; %bb.7374:
	s_or_b32 exec_lo, exec_lo, s0
	v_and_b32_e32 v17, 0x7f800000, v20
	flat_store_d16_hi_b16 v[0:1], v19 offset:224
	v_cmp_ne_u32_e32 vcc_lo, 0x7f800000, v17
                                        ; implicit-def: $vgpr17
	s_and_saveexec_b32 s0, vcc_lo
	s_delay_alu instid0(SALU_CYCLE_1)
	s_xor_b32 s0, exec_lo, s0
; %bb.7375:
	v_bfe_u32 v17, v20, 16, 1
	s_delay_alu instid0(VALU_DEP_1)
	v_add3_u32 v17, v20, v17, 0x7fff
                                        ; implicit-def: $vgpr20
; %bb.7376:
	s_and_not1_saveexec_b32 s0, s0
; %bb.7377:
	v_and_b32_e32 v17, 0xffff, v20
	v_or_b32_e32 v19, 0x10000, v20
	s_delay_alu instid0(VALU_DEP_2) | instskip(NEXT) | instid1(VALU_DEP_2)
	v_cmp_eq_u32_e32 vcc_lo, 0, v17
	v_cndmask_b32_e32 v17, v19, v20, vcc_lo
; %bb.7378:
	s_or_b32 exec_lo, exec_lo, s0
	v_and_b32_e32 v19, 0x7f800000, v18
	s_mov_b32 s0, exec_lo
	flat_store_d16_hi_b16 v[0:1], v17 offset:240
                                        ; implicit-def: $vgpr17
	v_cmpx_ne_u32_e32 0x7f800000, v19
	s_xor_b32 s0, exec_lo, s0
; %bb.7379:
	v_bfe_u32 v17, v18, 16, 1
	s_delay_alu instid0(VALU_DEP_1)
	v_add3_u32 v17, v18, v17, 0x7fff
                                        ; implicit-def: $vgpr18
; %bb.7380:
	s_and_not1_saveexec_b32 s0, s0
; %bb.7381:
	v_and_b32_e32 v17, 0xffff, v18
	v_or_b32_e32 v19, 0x10000, v18
	s_delay_alu instid0(VALU_DEP_2) | instskip(NEXT) | instid1(VALU_DEP_2)
	v_cmp_eq_u32_e32 vcc_lo, 0, v17
	v_cndmask_b32_e32 v17, v19, v18, vcc_lo
; %bb.7382:
	s_or_b32 exec_lo, exec_lo, s0
	v_and_b32_e32 v18, 0x7f800000, v16
	s_mov_b32 s0, exec_lo
	flat_store_d16_hi_b16 v[0:1], v17 offset:256
                                        ; implicit-def: $vgpr17
	v_cmpx_ne_u32_e32 0x7f800000, v18
	s_xor_b32 s0, exec_lo, s0
; %bb.7383:
	v_bfe_u32 v17, v16, 16, 1
	s_delay_alu instid0(VALU_DEP_1)
	v_add3_u32 v17, v16, v17, 0x7fff
                                        ; implicit-def: $vgpr16
; %bb.7384:
	s_and_not1_saveexec_b32 s0, s0
; %bb.7385:
	v_and_b32_e32 v17, 0xffff, v16
	v_or_b32_e32 v18, 0x10000, v16
	s_delay_alu instid0(VALU_DEP_2) | instskip(NEXT) | instid1(VALU_DEP_2)
	v_cmp_eq_u32_e32 vcc_lo, 0, v17
	v_cndmask_b32_e32 v17, v18, v16, vcc_lo
; %bb.7386:
	s_or_b32 exec_lo, exec_lo, s0
	v_and_b32_e32 v16, 0x7f800000, v15
	flat_store_d16_hi_b16 v[0:1], v17 offset:272
	v_cmp_ne_u32_e32 vcc_lo, 0x7f800000, v16
                                        ; implicit-def: $vgpr16
	s_and_saveexec_b32 s0, vcc_lo
	s_delay_alu instid0(SALU_CYCLE_1)
	s_xor_b32 s0, exec_lo, s0
; %bb.7387:
	v_bfe_u32 v16, v15, 16, 1
	s_delay_alu instid0(VALU_DEP_1)
	v_add3_u32 v16, v15, v16, 0x7fff
                                        ; implicit-def: $vgpr15
; %bb.7388:
	s_and_not1_saveexec_b32 s0, s0
; %bb.7389:
	v_and_b32_e32 v16, 0xffff, v15
	v_or_b32_e32 v17, 0x10000, v15
	s_delay_alu instid0(VALU_DEP_2) | instskip(NEXT) | instid1(VALU_DEP_2)
	v_cmp_eq_u32_e32 vcc_lo, 0, v16
	v_cndmask_b32_e32 v16, v17, v15, vcc_lo
; %bb.7390:
	s_or_b32 exec_lo, exec_lo, s0
	v_and_b32_e32 v15, 0x7f800000, v14
	flat_store_d16_hi_b16 v[0:1], v16 offset:288
	v_cmp_ne_u32_e32 vcc_lo, 0x7f800000, v15
                                        ; implicit-def: $vgpr15
	s_and_saveexec_b32 s0, vcc_lo
	s_delay_alu instid0(SALU_CYCLE_1)
	s_xor_b32 s0, exec_lo, s0
; %bb.7391:
	v_bfe_u32 v15, v14, 16, 1
	s_delay_alu instid0(VALU_DEP_1)
	v_add3_u32 v15, v14, v15, 0x7fff
                                        ; implicit-def: $vgpr14
; %bb.7392:
	s_and_not1_saveexec_b32 s0, s0
; %bb.7393:
	v_and_b32_e32 v15, 0xffff, v14
	v_or_b32_e32 v16, 0x10000, v14
	s_delay_alu instid0(VALU_DEP_2) | instskip(NEXT) | instid1(VALU_DEP_2)
	v_cmp_eq_u32_e32 vcc_lo, 0, v15
	v_cndmask_b32_e32 v15, v16, v14, vcc_lo
; %bb.7394:
	s_or_b32 exec_lo, exec_lo, s0
	v_and_b32_e32 v14, 0x7f800000, v13
	flat_store_d16_hi_b16 v[0:1], v15 offset:304
	v_cmp_ne_u32_e32 vcc_lo, 0x7f800000, v14
                                        ; implicit-def: $vgpr14
	s_and_saveexec_b32 s0, vcc_lo
	s_delay_alu instid0(SALU_CYCLE_1)
	s_xor_b32 s0, exec_lo, s0
; %bb.7395:
	v_bfe_u32 v14, v13, 16, 1
	s_delay_alu instid0(VALU_DEP_1)
	v_add3_u32 v14, v13, v14, 0x7fff
                                        ; implicit-def: $vgpr13
; %bb.7396:
	s_and_not1_saveexec_b32 s0, s0
; %bb.7397:
	v_and_b32_e32 v14, 0xffff, v13
	v_or_b32_e32 v15, 0x10000, v13
	s_delay_alu instid0(VALU_DEP_2) | instskip(NEXT) | instid1(VALU_DEP_2)
	v_cmp_eq_u32_e32 vcc_lo, 0, v14
	v_cndmask_b32_e32 v14, v15, v13, vcc_lo
; %bb.7398:
	s_or_b32 exec_lo, exec_lo, s0
	v_and_b32_e32 v13, 0x7f800000, v12
	flat_store_d16_hi_b16 v[0:1], v14 offset:320
	v_cmp_ne_u32_e32 vcc_lo, 0x7f800000, v13
                                        ; implicit-def: $vgpr13
	s_and_saveexec_b32 s0, vcc_lo
	s_delay_alu instid0(SALU_CYCLE_1)
	s_xor_b32 s0, exec_lo, s0
; %bb.7399:
	v_bfe_u32 v13, v12, 16, 1
	s_delay_alu instid0(VALU_DEP_1)
	v_add3_u32 v13, v12, v13, 0x7fff
                                        ; implicit-def: $vgpr12
; %bb.7400:
	s_and_not1_saveexec_b32 s0, s0
; %bb.7401:
	v_and_b32_e32 v13, 0xffff, v12
	v_or_b32_e32 v14, 0x10000, v12
	s_delay_alu instid0(VALU_DEP_2) | instskip(NEXT) | instid1(VALU_DEP_2)
	v_cmp_eq_u32_e32 vcc_lo, 0, v13
	v_cndmask_b32_e32 v13, v14, v12, vcc_lo
; %bb.7402:
	s_or_b32 exec_lo, exec_lo, s0
	v_and_b32_e32 v12, 0x7f800000, v11
	flat_store_d16_hi_b16 v[0:1], v13 offset:336
	v_cmp_ne_u32_e32 vcc_lo, 0x7f800000, v12
                                        ; implicit-def: $vgpr12
	s_and_saveexec_b32 s0, vcc_lo
	s_delay_alu instid0(SALU_CYCLE_1)
	s_xor_b32 s0, exec_lo, s0
; %bb.7403:
	v_bfe_u32 v12, v11, 16, 1
	s_delay_alu instid0(VALU_DEP_1)
	v_add3_u32 v12, v11, v12, 0x7fff
                                        ; implicit-def: $vgpr11
; %bb.7404:
	s_and_not1_saveexec_b32 s0, s0
; %bb.7405:
	v_and_b32_e32 v12, 0xffff, v11
	v_or_b32_e32 v13, 0x10000, v11
	s_delay_alu instid0(VALU_DEP_2) | instskip(NEXT) | instid1(VALU_DEP_2)
	v_cmp_eq_u32_e32 vcc_lo, 0, v12
	v_cndmask_b32_e32 v12, v13, v11, vcc_lo
; %bb.7406:
	s_or_b32 exec_lo, exec_lo, s0
	v_and_b32_e32 v11, 0x7f800000, v10
	flat_store_d16_hi_b16 v[0:1], v12 offset:352
	v_cmp_ne_u32_e32 vcc_lo, 0x7f800000, v11
                                        ; implicit-def: $vgpr11
	s_and_saveexec_b32 s0, vcc_lo
	s_delay_alu instid0(SALU_CYCLE_1)
	s_xor_b32 s0, exec_lo, s0
; %bb.7407:
	v_bfe_u32 v11, v10, 16, 1
	s_delay_alu instid0(VALU_DEP_1)
	v_add3_u32 v11, v10, v11, 0x7fff
                                        ; implicit-def: $vgpr10
; %bb.7408:
	s_and_not1_saveexec_b32 s0, s0
; %bb.7409:
	v_and_b32_e32 v11, 0xffff, v10
	v_or_b32_e32 v12, 0x10000, v10
	s_delay_alu instid0(VALU_DEP_2) | instskip(NEXT) | instid1(VALU_DEP_2)
	v_cmp_eq_u32_e32 vcc_lo, 0, v11
	v_cndmask_b32_e32 v11, v12, v10, vcc_lo
; %bb.7410:
	s_or_b32 exec_lo, exec_lo, s0
	v_and_b32_e32 v10, 0x7f800000, v9
	flat_store_d16_hi_b16 v[0:1], v11 offset:368
	v_cmp_ne_u32_e32 vcc_lo, 0x7f800000, v10
                                        ; implicit-def: $vgpr10
	s_and_saveexec_b32 s0, vcc_lo
	s_delay_alu instid0(SALU_CYCLE_1)
	s_xor_b32 s0, exec_lo, s0
; %bb.7411:
	v_bfe_u32 v10, v9, 16, 1
	s_delay_alu instid0(VALU_DEP_1)
	v_add3_u32 v10, v9, v10, 0x7fff
                                        ; implicit-def: $vgpr9
; %bb.7412:
	s_and_not1_saveexec_b32 s0, s0
; %bb.7413:
	v_and_b32_e32 v10, 0xffff, v9
	v_or_b32_e32 v11, 0x10000, v9
	s_delay_alu instid0(VALU_DEP_2) | instskip(NEXT) | instid1(VALU_DEP_2)
	v_cmp_eq_u32_e32 vcc_lo, 0, v10
	v_cndmask_b32_e32 v10, v11, v9, vcc_lo
; %bb.7414:
	s_or_b32 exec_lo, exec_lo, s0
	v_and_b32_e32 v9, 0x7f800000, v8
	flat_store_d16_hi_b16 v[0:1], v10 offset:384
	v_cmp_ne_u32_e32 vcc_lo, 0x7f800000, v9
                                        ; implicit-def: $vgpr9
	s_and_saveexec_b32 s0, vcc_lo
	s_delay_alu instid0(SALU_CYCLE_1)
	s_xor_b32 s0, exec_lo, s0
; %bb.7415:
	v_bfe_u32 v9, v8, 16, 1
	s_delay_alu instid0(VALU_DEP_1)
	v_add3_u32 v9, v8, v9, 0x7fff
                                        ; implicit-def: $vgpr8
; %bb.7416:
	s_and_not1_saveexec_b32 s0, s0
; %bb.7417:
	v_and_b32_e32 v9, 0xffff, v8
	v_or_b32_e32 v10, 0x10000, v8
	s_delay_alu instid0(VALU_DEP_2) | instskip(NEXT) | instid1(VALU_DEP_2)
	v_cmp_eq_u32_e32 vcc_lo, 0, v9
	v_cndmask_b32_e32 v9, v10, v8, vcc_lo
; %bb.7418:
	s_or_b32 exec_lo, exec_lo, s0
	v_and_b32_e32 v8, 0x7f800000, v7
	flat_store_d16_hi_b16 v[0:1], v9 offset:400
	v_cmp_ne_u32_e32 vcc_lo, 0x7f800000, v8
                                        ; implicit-def: $vgpr8
	s_and_saveexec_b32 s0, vcc_lo
	s_delay_alu instid0(SALU_CYCLE_1)
	s_xor_b32 s0, exec_lo, s0
; %bb.7419:
	v_bfe_u32 v8, v7, 16, 1
	s_delay_alu instid0(VALU_DEP_1)
	v_add3_u32 v8, v7, v8, 0x7fff
                                        ; implicit-def: $vgpr7
; %bb.7420:
	s_and_not1_saveexec_b32 s0, s0
; %bb.7421:
	v_and_b32_e32 v8, 0xffff, v7
	v_or_b32_e32 v9, 0x10000, v7
	s_delay_alu instid0(VALU_DEP_2) | instskip(NEXT) | instid1(VALU_DEP_2)
	v_cmp_eq_u32_e32 vcc_lo, 0, v8
	v_cndmask_b32_e32 v8, v9, v7, vcc_lo
; %bb.7422:
	s_or_b32 exec_lo, exec_lo, s0
	v_and_b32_e32 v7, 0x7f800000, v6
	flat_store_d16_hi_b16 v[0:1], v8 offset:416
	v_cmp_ne_u32_e32 vcc_lo, 0x7f800000, v7
                                        ; implicit-def: $vgpr7
	s_and_saveexec_b32 s0, vcc_lo
	s_delay_alu instid0(SALU_CYCLE_1)
	s_xor_b32 s0, exec_lo, s0
; %bb.7423:
	v_bfe_u32 v7, v6, 16, 1
	s_delay_alu instid0(VALU_DEP_1)
	v_add3_u32 v7, v6, v7, 0x7fff
                                        ; implicit-def: $vgpr6
; %bb.7424:
	s_and_not1_saveexec_b32 s0, s0
; %bb.7425:
	v_and_b32_e32 v7, 0xffff, v6
	v_or_b32_e32 v8, 0x10000, v6
	s_delay_alu instid0(VALU_DEP_2) | instskip(NEXT) | instid1(VALU_DEP_2)
	v_cmp_eq_u32_e32 vcc_lo, 0, v7
	v_cndmask_b32_e32 v7, v8, v6, vcc_lo
; %bb.7426:
	s_or_b32 exec_lo, exec_lo, s0
	v_and_b32_e32 v6, 0x7f800000, v5
	flat_store_d16_hi_b16 v[0:1], v7 offset:432
	v_cmp_ne_u32_e32 vcc_lo, 0x7f800000, v6
                                        ; implicit-def: $vgpr6
	s_and_saveexec_b32 s0, vcc_lo
	s_delay_alu instid0(SALU_CYCLE_1)
	s_xor_b32 s0, exec_lo, s0
; %bb.7427:
	v_bfe_u32 v6, v5, 16, 1
	s_delay_alu instid0(VALU_DEP_1)
	v_add3_u32 v6, v5, v6, 0x7fff
                                        ; implicit-def: $vgpr5
; %bb.7428:
	s_and_not1_saveexec_b32 s0, s0
; %bb.7429:
	v_and_b32_e32 v6, 0xffff, v5
	v_or_b32_e32 v7, 0x10000, v5
	s_delay_alu instid0(VALU_DEP_2) | instskip(NEXT) | instid1(VALU_DEP_2)
	v_cmp_eq_u32_e32 vcc_lo, 0, v6
	v_cndmask_b32_e32 v6, v7, v5, vcc_lo
; %bb.7430:
	s_or_b32 exec_lo, exec_lo, s0
	v_and_b32_e32 v5, 0x7f800000, v4
	flat_store_d16_hi_b16 v[0:1], v6 offset:448
	v_cmp_ne_u32_e32 vcc_lo, 0x7f800000, v5
                                        ; implicit-def: $vgpr5
	s_and_saveexec_b32 s0, vcc_lo
	s_delay_alu instid0(SALU_CYCLE_1)
	s_xor_b32 s0, exec_lo, s0
; %bb.7431:
	v_bfe_u32 v5, v4, 16, 1
	s_delay_alu instid0(VALU_DEP_1)
	v_add3_u32 v5, v4, v5, 0x7fff
                                        ; implicit-def: $vgpr4
; %bb.7432:
	s_and_not1_saveexec_b32 s0, s0
; %bb.7433:
	v_and_b32_e32 v5, 0xffff, v4
	v_or_b32_e32 v6, 0x10000, v4
	s_delay_alu instid0(VALU_DEP_2) | instskip(NEXT) | instid1(VALU_DEP_2)
	v_cmp_eq_u32_e32 vcc_lo, 0, v5
	v_cndmask_b32_e32 v5, v6, v4, vcc_lo
; %bb.7434:
	s_or_b32 exec_lo, exec_lo, s0
	v_and_b32_e32 v4, 0x7f800000, v3
	flat_store_d16_hi_b16 v[0:1], v5 offset:464
	v_cmp_ne_u32_e32 vcc_lo, 0x7f800000, v4
                                        ; implicit-def: $vgpr4
	s_and_saveexec_b32 s0, vcc_lo
	s_delay_alu instid0(SALU_CYCLE_1)
	s_xor_b32 s0, exec_lo, s0
; %bb.7435:
	v_bfe_u32 v4, v3, 16, 1
	s_delay_alu instid0(VALU_DEP_1)
	v_add3_u32 v4, v3, v4, 0x7fff
                                        ; implicit-def: $vgpr3
; %bb.7436:
	s_and_not1_saveexec_b32 s0, s0
; %bb.7437:
	v_and_b32_e32 v4, 0xffff, v3
	v_or_b32_e32 v5, 0x10000, v3
	s_delay_alu instid0(VALU_DEP_2) | instskip(NEXT) | instid1(VALU_DEP_2)
	v_cmp_eq_u32_e32 vcc_lo, 0, v4
	v_cndmask_b32_e32 v4, v5, v3, vcc_lo
; %bb.7438:
	s_or_b32 exec_lo, exec_lo, s0
	v_and_b32_e32 v3, 0x7f800000, v2
	flat_store_d16_hi_b16 v[0:1], v4 offset:480
	v_cmp_ne_u32_e32 vcc_lo, 0x7f800000, v3
                                        ; implicit-def: $vgpr3
	s_and_saveexec_b32 s0, vcc_lo
	s_delay_alu instid0(SALU_CYCLE_1)
	s_xor_b32 s0, exec_lo, s0
; %bb.7439:
	v_bfe_u32 v3, v2, 16, 1
	s_delay_alu instid0(VALU_DEP_1)
	v_add3_u32 v3, v2, v3, 0x7fff
                                        ; implicit-def: $vgpr2
; %bb.7440:
	s_and_not1_saveexec_b32 s0, s0
; %bb.7441:
	v_and_b32_e32 v3, 0xffff, v2
	v_or_b32_e32 v4, 0x10000, v2
	s_delay_alu instid0(VALU_DEP_2) | instskip(NEXT) | instid1(VALU_DEP_2)
	v_cmp_eq_u32_e32 vcc_lo, 0, v3
	v_cndmask_b32_e32 v3, v4, v2, vcc_lo
; %bb.7442:
	s_or_b32 exec_lo, exec_lo, s0
	flat_store_d16_hi_b16 v[0:1], v3 offset:496
.LBB450_7443:
	s_or_b32 exec_lo, exec_lo, s11
	s_clause 0x1f
	scratch_load_b32 v191, off, s32 offset:8
	scratch_load_b32 v190, off, s32 offset:12
	;; [unrolled: 1-line block ×32, first 2 shown]
	s_clause 0x1f
	scratch_load_b32 v127, off, s32 offset:136
	scratch_load_b32 v126, off, s32 offset:140
	;; [unrolled: 1-line block ×32, first 2 shown]
	s_clause 0xf
	scratch_load_b32 v63, off, s32 offset:264
	scratch_load_b32 v62, off, s32 offset:268
	;; [unrolled: 1-line block ×16, first 2 shown]
	s_waitcnt vmcnt(0) lgkmcnt(0)
	s_setpc_b64 s[30:31]
.Lfunc_end450:
	.size	_ZN4vllm22paged_attention_kernelI14__hip_bfloat16hLi256ELi32ELi128ELNS_18Fp8KVCacheDataTypeE1ELb1ELi512EEEvPfS3_PT_PKS4_PKT0_SA_ifPKiSC_iPKfiiiSE_SE_iiiii, .Lfunc_end450-_ZN4vllm22paged_attention_kernelI14__hip_bfloat16hLi256ELi32ELi128ELNS_18Fp8KVCacheDataTypeE1ELb1ELi512EEEvPfS3_PT_PKS4_PKT0_SA_ifPKiSC_iPKfiiiSE_SE_iiiii
                                        ; -- End function
	.section	.AMDGPU.csdata,"",@progbits
; Function info:
; codeLenInByte = 236588
; NumSgprs: 35
; NumVgprs: 192
; ScratchSize: 1844
; MemoryBound: 0
	.section	.text._ZN4vllm25paged_attention_v2_kernelI14__hip_bfloat16hLi256ELi32ELi128ELNS_18Fp8KVCacheDataTypeE1ELb1ELi512EEEvPfS3_PT_PKS4_PKT0_SA_ifPKiSC_iPKfiiiSE_SE_iiiii,"axG",@progbits,_ZN4vllm25paged_attention_v2_kernelI14__hip_bfloat16hLi256ELi32ELi128ELNS_18Fp8KVCacheDataTypeE1ELb1ELi512EEEvPfS3_PT_PKS4_PKT0_SA_ifPKiSC_iPKfiiiSE_SE_iiiii,comdat
	.protected	_ZN4vllm25paged_attention_v2_kernelI14__hip_bfloat16hLi256ELi32ELi128ELNS_18Fp8KVCacheDataTypeE1ELb1ELi512EEEvPfS3_PT_PKS4_PKT0_SA_ifPKiSC_iPKfiiiSE_SE_iiiii ; -- Begin function _ZN4vllm25paged_attention_v2_kernelI14__hip_bfloat16hLi256ELi32ELi128ELNS_18Fp8KVCacheDataTypeE1ELb1ELi512EEEvPfS3_PT_PKS4_PKT0_SA_ifPKiSC_iPKfiiiSE_SE_iiiii
	.globl	_ZN4vllm25paged_attention_v2_kernelI14__hip_bfloat16hLi256ELi32ELi128ELNS_18Fp8KVCacheDataTypeE1ELb1ELi512EEEvPfS3_PT_PKS4_PKT0_SA_ifPKiSC_iPKfiiiSE_SE_iiiii
	.p2align	8
	.type	_ZN4vllm25paged_attention_v2_kernelI14__hip_bfloat16hLi256ELi32ELi128ELNS_18Fp8KVCacheDataTypeE1ELb1ELi512EEEvPfS3_PT_PKS4_PKT0_SA_ifPKiSC_iPKfiiiSE_SE_iiiii,@function
_ZN4vllm25paged_attention_v2_kernelI14__hip_bfloat16hLi256ELi32ELi128ELNS_18Fp8KVCacheDataTypeE1ELb1ELi512EEEvPfS3_PT_PKS4_PKT0_SA_ifPKiSC_iPKfiiiSE_SE_iiiii: ; @_ZN4vllm25paged_attention_v2_kernelI14__hip_bfloat16hLi256ELi32ELi128ELNS_18Fp8KVCacheDataTypeE1ELb1ELi512EEEvPfS3_PT_PKS4_PKT0_SA_ifPKiSC_iPKfiiiSE_SE_iiiii
; %bb.0:
	s_mov_b32 s12, s13
	s_clause 0x7
	s_load_b128 s[4:7], s[0:1], 0x78
	s_load_b32 s8, s[0:1], 0x88
	s_load_b256 s[24:31], s[0:1], 0x0
	s_load_b256 s[36:43], s[0:1], 0x20
	s_load_b64 s[2:3], s[0:1], 0x40
	s_load_b64 s[10:11], s[0:1], 0x50
	s_load_b32 s13, s[0:1], 0x48
	s_load_b256 s[16:23], s[0:1], 0x58
	s_mov_b32 s32, 0
	v_mov_b32_e32 v31, v0
	s_waitcnt lgkmcnt(0)
	v_dual_mov_b32 v1, s7 :: v_dual_mov_b32 v2, s8
	v_dual_mov_b32 v0, s24 :: v_dual_mov_b32 v3, s27
	;; [unrolled: 1-line block ×3, first 2 shown]
	v_mov_b32_e32 v6, s30
	scratch_store_b64 off, v[1:2], s32
	v_dual_mov_b32 v1, s25 :: v_dual_mov_b32 v2, s26
	v_dual_mov_b32 v7, s31 :: v_dual_mov_b32 v8, s36
	;; [unrolled: 1-line block ×13, first 2 shown]
	s_add_u32 s8, s0, 0x90
	s_addc_u32 s9, s1, 0
	s_mov_b32 s13, s14
	s_mov_b32 s14, s15
	;; [unrolled: 1-line block ×3, first 2 shown]
	s_getpc_b64 s[0:1]
	s_add_u32 s0, s0, _ZN4vllm22paged_attention_kernelI14__hip_bfloat16hLi256ELi32ELi128ELNS_18Fp8KVCacheDataTypeE1ELb1ELi512EEEvPfS3_PT_PKS4_PKT0_SA_ifPKiSC_iPKfiiiSE_SE_iiiii@rel32@lo+4
	s_addc_u32 s1, s1, _ZN4vllm22paged_attention_kernelI14__hip_bfloat16hLi256ELi32ELi128ELNS_18Fp8KVCacheDataTypeE1ELb1ELi512EEEvPfS3_PT_PKS4_PKT0_SA_ifPKiSC_iPKfiiiSE_SE_iiiii@rel32@hi+12
	s_delay_alu instid0(SALU_CYCLE_1)
	s_swappc_b64 s[30:31], s[0:1]
	s_endpgm
	.section	.rodata,"a",@progbits
	.p2align	6, 0x0
	.amdhsa_kernel _ZN4vllm25paged_attention_v2_kernelI14__hip_bfloat16hLi256ELi32ELi128ELNS_18Fp8KVCacheDataTypeE1ELb1ELi512EEEvPfS3_PT_PKS4_PKT0_SA_ifPKiSC_iPKfiiiSE_SE_iiiii
		.amdhsa_group_segment_fixed_size 544
		.amdhsa_private_segment_fixed_size 1844
		.amdhsa_kernarg_size 400
		.amdhsa_user_sgpr_count 13
		.amdhsa_user_sgpr_dispatch_ptr 0
		.amdhsa_user_sgpr_queue_ptr 0
		.amdhsa_user_sgpr_kernarg_segment_ptr 1
		.amdhsa_user_sgpr_dispatch_id 0
		.amdhsa_user_sgpr_private_segment_size 0
		.amdhsa_wavefront_size32 1
		.amdhsa_uses_dynamic_stack 0
		.amdhsa_enable_private_segment 1
		.amdhsa_system_sgpr_workgroup_id_x 1
		.amdhsa_system_sgpr_workgroup_id_y 1
		.amdhsa_system_sgpr_workgroup_id_z 1
		.amdhsa_system_sgpr_workgroup_info 0
		.amdhsa_system_vgpr_workitem_id 0
		.amdhsa_next_free_vgpr 192
		.amdhsa_next_free_sgpr 44
		.amdhsa_reserve_vcc 1
		.amdhsa_float_round_mode_32 0
		.amdhsa_float_round_mode_16_64 0
		.amdhsa_float_denorm_mode_32 3
		.amdhsa_float_denorm_mode_16_64 3
		.amdhsa_dx10_clamp 1
		.amdhsa_ieee_mode 1
		.amdhsa_fp16_overflow 0
		.amdhsa_workgroup_processor_mode 1
		.amdhsa_memory_ordered 1
		.amdhsa_forward_progress 0
		.amdhsa_shared_vgpr_count 0
		.amdhsa_exception_fp_ieee_invalid_op 0
		.amdhsa_exception_fp_denorm_src 0
		.amdhsa_exception_fp_ieee_div_zero 0
		.amdhsa_exception_fp_ieee_overflow 0
		.amdhsa_exception_fp_ieee_underflow 0
		.amdhsa_exception_fp_ieee_inexact 0
		.amdhsa_exception_int_div_zero 0
	.end_amdhsa_kernel
	.section	.text._ZN4vllm25paged_attention_v2_kernelI14__hip_bfloat16hLi256ELi32ELi128ELNS_18Fp8KVCacheDataTypeE1ELb1ELi512EEEvPfS3_PT_PKS4_PKT0_SA_ifPKiSC_iPKfiiiSE_SE_iiiii,"axG",@progbits,_ZN4vllm25paged_attention_v2_kernelI14__hip_bfloat16hLi256ELi32ELi128ELNS_18Fp8KVCacheDataTypeE1ELb1ELi512EEEvPfS3_PT_PKS4_PKT0_SA_ifPKiSC_iPKfiiiSE_SE_iiiii,comdat
.Lfunc_end451:
	.size	_ZN4vllm25paged_attention_v2_kernelI14__hip_bfloat16hLi256ELi32ELi128ELNS_18Fp8KVCacheDataTypeE1ELb1ELi512EEEvPfS3_PT_PKS4_PKT0_SA_ifPKiSC_iPKfiiiSE_SE_iiiii, .Lfunc_end451-_ZN4vllm25paged_attention_v2_kernelI14__hip_bfloat16hLi256ELi32ELi128ELNS_18Fp8KVCacheDataTypeE1ELb1ELi512EEEvPfS3_PT_PKS4_PKT0_SA_ifPKiSC_iPKfiiiSE_SE_iiiii
                                        ; -- End function
	.section	.AMDGPU.csdata,"",@progbits
; Kernel info:
; codeLenInByte = 280
; NumSgprs: 46
; NumVgprs: 192
; ScratchSize: 1844
; MemoryBound: 0
; FloatMode: 240
; IeeeMode: 1
; LDSByteSize: 544 bytes/workgroup (compile time only)
; SGPRBlocks: 5
; VGPRBlocks: 23
; NumSGPRsForWavesPerEU: 46
; NumVGPRsForWavesPerEU: 192
; Occupancy: 8
; WaveLimiterHint : 1
; COMPUTE_PGM_RSRC2:SCRATCH_EN: 1
; COMPUTE_PGM_RSRC2:USER_SGPR: 13
; COMPUTE_PGM_RSRC2:TRAP_HANDLER: 0
; COMPUTE_PGM_RSRC2:TGID_X_EN: 1
; COMPUTE_PGM_RSRC2:TGID_Y_EN: 1
; COMPUTE_PGM_RSRC2:TGID_Z_EN: 1
; COMPUTE_PGM_RSRC2:TIDIG_COMP_CNT: 0
	.text
	.p2align	2                               ; -- Begin function _ZN4vllm22paged_attention_kernelI14__hip_bfloat16hLi32ELi32ELi128ELNS_18Fp8KVCacheDataTypeE1ELb0ELi512EEEvPfS3_PT_PKS4_PKT0_SA_ifPKiSC_iPKfiiiSE_SE_iiiii
	.type	_ZN4vllm22paged_attention_kernelI14__hip_bfloat16hLi32ELi32ELi128ELNS_18Fp8KVCacheDataTypeE1ELb0ELi512EEEvPfS3_PT_PKS4_PKT0_SA_ifPKiSC_iPKfiiiSE_SE_iiiii,@function
_ZN4vllm22paged_attention_kernelI14__hip_bfloat16hLi32ELi32ELi128ELNS_18Fp8KVCacheDataTypeE1ELb0ELi512EEEvPfS3_PT_PKS4_PKT0_SA_ifPKiSC_iPKfiiiSE_SE_iiiii: ; @_ZN4vllm22paged_attention_kernelI14__hip_bfloat16hLi32ELi32ELi128ELNS_18Fp8KVCacheDataTypeE1ELb0ELi512EEEvPfS3_PT_PKS4_PKT0_SA_ifPKiSC_iPKfiiiSE_SE_iiiii
; %bb.0:
	s_waitcnt vmcnt(0) expcnt(0) lgkmcnt(0)
	s_mov_b32 s4, s13
	s_ashr_i32 s5, s13, 31
	s_lshl_b32 s17, s14, 9
	s_lshl_b64 s[0:1], s[4:5], 2
	s_mov_b32 s5, exec_lo
	v_add_co_u32 v16, vcc_lo, v16, s0
	v_add_co_ci_u32_e32 v17, vcc_lo, s1, v17, vcc_lo
	flat_load_b32 v35, v[16:17]
	s_waitcnt vmcnt(0) lgkmcnt(0)
	v_cmpx_lt_i32_e64 s17, v35
	s_cbranch_execz .LBB452_1005
; %bb.1:
	v_sub_nc_u32_e32 v16, 0, v12
	s_clause 0x1
	s_load_b32 s0, s[8:9], 0x10
	s_load_b32 s1, s[8:9], 0x0
	s_mov_b32 s10, s15
	v_mov_b32_e32 v49, 0
	v_max_i32_e32 v16, v12, v16
	s_delay_alu instid0(VALU_DEP_1) | instskip(SKIP_1) | instid1(VALU_DEP_2)
	v_cvt_f32_u32_e32 v17, v16
	v_sub_nc_u32_e32 v28, 0, v16
	v_rcp_iflag_f32_e32 v17, v17
	s_waitcnt lgkmcnt(0)
	s_lshr_b32 s0, s0, 16
	s_delay_alu instid0(SALU_CYCLE_1) | instskip(SKIP_3) | instid1(SALU_CYCLE_1)
	s_cmp_lg_u32 s0, 0
	s_waitcnt_depctr 0xfff
	v_mul_f32_e32 v17, 0x4f7ffffe, v17
	s_cselect_b32 s0, -1, 0
	s_cmp_lg_u32 s0, 0
	s_delay_alu instid0(VALU_DEP_1)
	v_cvt_u32_f32_e32 v17, v17
	s_addc_u32 s16, s1, 0
	s_mov_b32 s1, exec_lo
	s_abs_i32 s0, s16
	v_xor_b32_e32 v12, s16, v12
	v_mul_lo_u32 v28, v28, v17
	s_delay_alu instid0(VALU_DEP_2) | instskip(NEXT) | instid1(VALU_DEP_2)
	v_ashrrev_i32_e32 v12, 31, v12
	v_mul_hi_u32 v28, v17, v28
	s_delay_alu instid0(VALU_DEP_1) | instskip(NEXT) | instid1(VALU_DEP_1)
	v_add_nc_u32_e32 v17, v17, v28
	v_mul_hi_u32 v17, s0, v17
	s_delay_alu instid0(VALU_DEP_1) | instskip(SKIP_1) | instid1(VALU_DEP_2)
	v_mul_lo_u32 v28, v17, v16
	v_add_nc_u32_e32 v29, 1, v17
	v_sub_nc_u32_e32 v28, s0, v28
	s_abs_i32 s0, s12
	s_delay_alu instid0(VALU_DEP_1) | instskip(SKIP_1) | instid1(VALU_DEP_2)
	v_sub_nc_u32_e32 v30, v28, v16
	v_cmp_ge_u32_e32 vcc_lo, v28, v16
	v_dual_cndmask_b32 v17, v17, v29 :: v_dual_cndmask_b32 v28, v28, v30
	s_delay_alu instid0(VALU_DEP_1) | instskip(NEXT) | instid1(VALU_DEP_2)
	v_add_nc_u32_e32 v29, 1, v17
	v_cmp_ge_u32_e32 vcc_lo, v28, v16
	s_delay_alu instid0(VALU_DEP_2) | instskip(NEXT) | instid1(VALU_DEP_1)
	v_cndmask_b32_e32 v16, v17, v29, vcc_lo
	v_xor_b32_e32 v16, v16, v12
	s_delay_alu instid0(VALU_DEP_1) | instskip(NEXT) | instid1(VALU_DEP_1)
	v_sub_nc_u32_e32 v28, v16, v12
	v_sub_nc_u32_e32 v12, 0, v28
	s_delay_alu instid0(VALU_DEP_1) | instskip(NEXT) | instid1(VALU_DEP_1)
	v_max_i32_e32 v12, v28, v12
	v_cvt_f32_u32_e32 v16, v12
	v_sub_nc_u32_e32 v17, 0, v12
	s_delay_alu instid0(VALU_DEP_2) | instskip(SKIP_2) | instid1(VALU_DEP_1)
	v_rcp_iflag_f32_e32 v16, v16
	s_waitcnt_depctr 0xfff
	v_mul_f32_e32 v16, 0x4f7ffffe, v16
	v_cvt_u32_f32_e32 v16, v16
	s_delay_alu instid0(VALU_DEP_1) | instskip(NEXT) | instid1(VALU_DEP_1)
	v_mul_lo_u32 v17, v17, v16
	v_mul_hi_u32 v17, v16, v17
	s_delay_alu instid0(VALU_DEP_1) | instskip(NEXT) | instid1(VALU_DEP_1)
	v_add_nc_u32_e32 v29, v16, v17
	v_mad_u64_u32 v[16:17], null, s0, v29, 0
	v_cmpx_ne_u64_e32 0, v[19:20]
	s_cbranch_execz .LBB452_3
; %bb.2:
	s_ashr_i32 s13, s12, 31
	s_delay_alu instid0(SALU_CYCLE_1) | instskip(NEXT) | instid1(SALU_CYCLE_1)
	s_lshl_b64 s[2:3], s[12:13], 2
	v_add_co_u32 v19, vcc_lo, v19, s2
	v_add_co_ci_u32_e32 v20, vcc_lo, s3, v20, vcc_lo
	flat_load_b32 v49, v[19:20]
.LBB452_3:
	s_or_b32 exec_lo, exec_lo, s1
	v_and_b32_e32 v34, 0x3ff, v31
	v_ashrrev_i32_e32 v16, 31, v28
	s_ashr_i32 s1, s12, 31
	s_lshl_b32 s6, s12, 5
	s_mov_b32 s2, exec_lo
	v_cmpx_gt_u32_e32 4, v34
	s_cbranch_execz .LBB452_5
; %bb.4:
	v_mul_lo_u32 v19, s4, v21
	s_ashr_i32 s7, s6, 31
	v_lshlrev_b32_e32 v21, 4, v34
	s_lshl_b64 s[18:19], s[6:7], 1
	s_delay_alu instid0(VALU_DEP_2) | instskip(NEXT) | instid1(VALU_DEP_1)
	v_ashrrev_i32_e32 v20, 31, v19
	v_lshlrev_b64 v[19:20], 1, v[19:20]
	s_delay_alu instid0(VALU_DEP_1) | instskip(NEXT) | instid1(VALU_DEP_2)
	v_add_co_u32 v6, vcc_lo, v6, v19
	v_add_co_ci_u32_e32 v7, vcc_lo, v7, v20, vcc_lo
	s_delay_alu instid0(VALU_DEP_2) | instskip(NEXT) | instid1(VALU_DEP_2)
	v_add_co_u32 v6, vcc_lo, v6, s18
	v_add_co_ci_u32_e32 v7, vcc_lo, s19, v7, vcc_lo
	s_delay_alu instid0(VALU_DEP_2) | instskip(NEXT) | instid1(VALU_DEP_2)
	v_add_co_u32 v6, vcc_lo, v6, v21
	v_add_co_ci_u32_e32 v7, vcc_lo, 0, v7, vcc_lo
	flat_load_b128 v[28:31], v[6:7]
	s_waitcnt vmcnt(0) lgkmcnt(0)
	ds_store_b128 v21, v[28:31]
.LBB452_5:
	s_or_b32 exec_lo, exec_lo, s2
	v_mul_lo_u32 v6, v17, v12
	v_dual_mov_b32 v98, 0xff7fffff :: v_dual_add_nc_u32 v19, 31, v35
	v_xor_b32_e32 v16, s1, v16
	s_clause 0x1
	s_load_b32 s13, s[8:9], 0x14
	s_load_b32 s7, s[8:9], 0x8
	v_lshrrev_b32_e32 v36, 5, v34
	s_lshl_b32 s3, s14, 4
	s_mov_b32 s15, exec_lo
	v_sub_nc_u32_e32 v6, s0, v6
	s_add_i32 s0, s3, 16
	s_waitcnt vmcnt(0) lgkmcnt(0)
	s_waitcnt_vscnt null, 0x0
	s_barrier
	buffer_gl0_inv
	v_sub_nc_u32_e32 v20, v6, v12
	v_cmp_ge_u32_e32 vcc_lo, v6, v12
	s_delay_alu instid0(VALU_DEP_2) | instskip(NEXT) | instid1(VALU_DEP_1)
	v_dual_cndmask_b32 v6, v6, v20 :: v_dual_add_nc_u32 v7, 1, v17
	v_cndmask_b32_e32 v7, v17, v7, vcc_lo
	v_ashrrev_i32_e32 v17, 31, v19
	s_delay_alu instid0(VALU_DEP_3) | instskip(SKIP_1) | instid1(VALU_DEP_3)
	v_cmp_ge_u32_e32 vcc_lo, v6, v12
	v_mul_lo_u32 v6, s4, v18
	v_lshrrev_b32_e32 v17, 27, v17
	s_delay_alu instid0(VALU_DEP_1) | instskip(SKIP_1) | instid1(VALU_DEP_2)
	v_add_nc_u32_e32 v12, v19, v17
	v_add_nc_u32_e32 v20, 1, v7
	v_ashrrev_i32_e32 v12, 5, v12
	s_delay_alu instid0(VALU_DEP_2) | instskip(NEXT) | instid1(VALU_DEP_2)
	v_cndmask_b32_e32 v7, v7, v20, vcc_lo
	v_min_i32_e32 v37, s0, v12
	s_delay_alu instid0(VALU_DEP_2) | instskip(NEXT) | instid1(VALU_DEP_1)
	v_xor_b32_e32 v7, v7, v16
	v_sub_nc_u32_e32 v17, v7, v16
	v_ashrrev_i32_e32 v7, 31, v6
	v_add_nc_u32_e32 v16, s3, v36
	s_delay_alu instid0(VALU_DEP_3) | instskip(SKIP_1) | instid1(VALU_DEP_4)
	v_mul_lo_u32 v38, v17, v23
	v_and_b32_e32 v23, 31, v34
	v_lshlrev_b64 v[6:7], 2, v[6:7]
	s_delay_alu instid0(VALU_DEP_4) | instskip(SKIP_1) | instid1(VALU_DEP_4)
	v_ashrrev_i32_e32 v17, 31, v16
	v_cmp_ge_i32_e64 s0, v16, v37
	v_lshlrev_b32_e32 v48, 2, v23
	v_ashrrev_i32_e32 v39, 31, v38
	v_cmpx_lt_i32_e64 v16, v37
	s_cbranch_execz .LBB452_393
; %bb.6:
	v_dual_mov_b32 v19, 0 :: v_dual_lshlrev_b32 v18, 4, v23
	s_getpc_b64 s[8:9]
	s_add_u32 s8, s8, llvm.amdgcn.dynlds.offset.table@rel32@lo+4
	s_addc_u32 s9, s9, llvm.amdgcn.dynlds.offset.table@rel32@hi+12
	s_ashr_i32 s11, s10, 31
	v_lshlrev_b64 v[20:21], 2, v[16:17]
	s_lshl_b64 s[18:19], s[10:11], 2
	ds_load_b128 v[28:31], v19
	ds_load_b128 v[80:83], v19 offset:16
	s_add_u32 s8, s18, s8
	s_addc_u32 s9, s19, s9
	ds_load_b128 v[96:99], v19 offset:32
	ds_load_b128 v[112:115], v19 offset:48
	s_load_b32 s2, s[8:9], 0x0
	v_add_co_u32 v8, vcc_lo, v8, v38
	v_add_co_ci_u32_e32 v9, vcc_lo, v9, v39, vcc_lo
	s_mov_b32 s8, -1
	s_delay_alu instid0(VALU_DEP_2) | instskip(SKIP_1) | instid1(VALU_DEP_1)
	v_add_co_u32 v8, vcc_lo, v8, v18
	v_add_co_u32 v18, s1, v6, v20
	v_add_co_ci_u32_e64 v21, s1, v7, v21, s1
	v_add_co_ci_u32_e32 v9, vcc_lo, 0, v9, vcc_lo
	s_waitcnt lgkmcnt(0)
	v_lshlrev_b32_e32 v50, 16, v28
	v_dual_mov_b32 v118, v16 :: v_dual_and_b32 v51, 0xffff0000, v28
	v_lshlrev_b32_e32 v52, 16, v29
	v_and_b32_e32 v53, 0xffff0000, v29
	v_lshlrev_b32_e32 v28, 5, v36
	v_lshl_or_b32 v29, v36, 7, v48
	v_add_co_u32 v20, s1, v14, v18
	v_lshlrev_b32_e32 v54, 16, v30
	v_and_b32_e32 v55, 0xffff0000, v30
	v_lshlrev_b32_e32 v64, 16, v31
	v_and_b32_e32 v65, 0xffff0000, v31
	;; [unrolled: 2-line block ×10, first 2 shown]
	v_dual_mov_b32 v98, 0xff7fffff :: v_dual_lshlrev_b32 v99, 16, v112
	v_and_b32_e32 v100, 0xffff0000, v112
	v_lshlrev_b32_e32 v101, 16, v113
	v_and_b32_e32 v102, 0xffff0000, v113
	v_lshlrev_b32_e32 v103, 16, v114
	;; [unrolled: 2-line block ×3, first 2 shown]
	v_and_b32_e32 v114, 0xffff0000, v115
	v_cmp_neq_f32_e32 vcc_lo, 0, v49
	v_add_co_ci_u32_e64 v21, s1, v15, v21, s1
	v_sub_nc_u32_e32 v115, 1, v35
	v_add3_u32 v116, s17, v28, v23
	v_add_nc_u32_e32 v117, s2, v29
	s_mov_b32 s9, 0xffffff
	s_mov_b32 s11, 0
	s_branch .LBB452_8
.LBB452_7:                              ;   in Loop: Header=BB452_8 Depth=1
	s_or_b32 exec_lo, exec_lo, s2
	v_and_b32_e32 v144, 0xffff0000, v144
	v_and_b32_e32 v119, 0xffff0000, v162
	;; [unrolled: 1-line block ×4, first 2 shown]
	s_delay_alu instid0(VALU_DEP_4) | instskip(SKIP_4) | instid1(VALU_DEP_4)
	v_dual_mul_f32 v144, v66, v144 :: v_dual_and_b32 v167, 0xffff0000, v167
	v_and_b32_e32 v145, 0xffff0000, v145
	v_and_b32_e32 v28, 0xffff0000, v32
	;; [unrolled: 1-line block ×4, first 2 shown]
	v_dual_fmac_f32 v144, v50, v128 :: v_dual_mul_f32 v145, v67, v145
	v_and_b32_e32 v32, 0xffff0000, v163
	v_and_b32_e32 v30, 0xffff0000, v30
	v_and_b32_e32 v128, 0xffff0000, v166
	s_delay_alu instid0(VALU_DEP_4)
	v_dual_fmac_f32 v145, v51, v129 :: v_dual_and_b32 v18, 0xffff0000, v18
	v_and_b32_e32 v148, 0xffff0000, v148
	v_cmp_lt_i32_e64 s1, v116, v35
	v_add_nc_u32_e32 v118, 4, v118
	v_add_co_u32 v20, s2, v20, 16
	v_dual_fmac_f32 v145, v83, v161 :: v_dual_and_b32 v146, 0xffff0000, v146
	v_and_b32_e32 v147, 0xffff0000, v147
	v_add_co_ci_u32_e64 v21, s2, 0, v21, s2
	s_delay_alu instid0(VALU_DEP_3) | instskip(NEXT) | instid1(VALU_DEP_4)
	v_fmac_f32_e32 v145, v100, v167
	v_dual_mul_f32 v146, v68, v146 :: v_dual_and_b32 v29, 0xffff0000, v164
	v_and_b32_e32 v33, 0xffff0000, v33
	v_and_b32_e32 v164, 0xffff0000, v178
	s_delay_alu instid0(VALU_DEP_3) | instskip(SKIP_2) | instid1(VALU_DEP_3)
	v_fmac_f32_e32 v146, v52, v130
	v_mul_f32_e32 v130, v70, v148
	v_dual_mul_f32 v129, v69, v147 :: v_dual_and_b32 v160, 0xffff0000, v160
	v_dual_fmac_f32 v146, v84, v119 :: v_dual_and_b32 v149, 0xffff0000, v149
	s_delay_alu instid0(VALU_DEP_2) | instskip(NEXT) | instid1(VALU_DEP_2)
	v_dual_fmac_f32 v144, v82, v160 :: v_dual_and_b32 v151, 0xffff0000, v151
	v_dual_mul_f32 v119, v71, v149 :: v_dual_and_b32 v132, 0xffff0000, v132
	s_delay_alu instid0(VALU_DEP_2) | instskip(NEXT) | instid1(VALU_DEP_2)
	v_dual_fmac_f32 v144, v99, v128 :: v_dual_and_b32 v133, 0xffff0000, v133
	v_dual_fmac_f32 v130, v54, v132 :: v_dual_and_b32 v135, 0xffff0000, v135
	s_delay_alu instid0(VALU_DEP_2) | instskip(SKIP_2) | instid1(VALU_DEP_3)
	v_dual_fmac_f32 v119, v55, v133 :: v_dual_and_b32 v134, 0xffff0000, v134
	v_add_nc_u32_e32 v163, v115, v116
	v_add_nc_u32_e32 v116, 0x80, v116
	v_dual_fmac_f32 v130, v86, v29 :: v_dual_fmac_f32 v119, v87, v28
	v_and_b32_e32 v176, 0xffff0000, v176
	s_delay_alu instid0(VALU_DEP_2) | instskip(NEXT) | instid1(VALU_DEP_2)
	v_dual_fmac_f32 v130, v103, v164 :: v_dual_fmac_f32 v119, v112, v30
	v_dual_fmac_f32 v146, v101, v176 :: v_dual_and_b32 v131, 0xffff0000, v131
	v_and_b32_e32 v162, 0xffff0000, v165
	v_cvt_f32_i32_e32 v30, v163
	s_delay_alu instid0(VALU_DEP_3) | instskip(NEXT) | instid1(VALU_DEP_1)
	v_dual_fmac_f32 v129, v53, v131 :: v_dual_and_b32 v150, 0xffff0000, v150
	v_dual_fmac_f32 v129, v85, v32 :: v_dual_add_f32 v32, v144, v145
	s_delay_alu instid0(VALU_DEP_2) | instskip(NEXT) | instid1(VALU_DEP_2)
	v_dual_mul_f32 v128, v80, v150 :: v_dual_and_b32 v165, 0xffff0000, v177
	v_add_f32_e32 v29, v32, v146
	s_delay_alu instid0(VALU_DEP_2) | instskip(SKIP_1) | instid1(VALU_DEP_2)
	v_dual_fmac_f32 v128, v64, v134 :: v_dual_fmac_f32 v129, v102, v165
	v_mul_f32_e32 v32, v81, v151
	v_fmac_f32_e32 v128, v96, v33
	s_delay_alu instid0(VALU_DEP_3) | instskip(NEXT) | instid1(VALU_DEP_3)
	v_dual_add_f32 v28, v129, v29 :: v_dual_and_b32 v29, 0xffff0000, v31
	v_fmac_f32_e32 v32, v65, v135
	s_delay_alu instid0(VALU_DEP_2) | instskip(NEXT) | instid1(VALU_DEP_3)
	v_add_f32_e32 v28, v130, v28
	v_fmac_f32_e32 v128, v113, v29
	s_delay_alu instid0(VALU_DEP_3) | instskip(NEXT) | instid1(VALU_DEP_3)
	v_fmac_f32_e32 v32, v97, v162
	v_dual_mul_f32 v29, v49, v30 :: v_dual_add_f32 v28, v119, v28
	s_delay_alu instid0(VALU_DEP_2) | instskip(NEXT) | instid1(VALU_DEP_2)
	v_fmac_f32_e32 v32, v114, v18
	v_add_f32_e32 v18, v128, v28
	s_delay_alu instid0(VALU_DEP_3) | instskip(NEXT) | instid1(VALU_DEP_2)
	v_cndmask_b32_e32 v28, 0, v29, vcc_lo
	v_add_f32_e32 v18, v32, v18
	s_delay_alu instid0(VALU_DEP_1) | instskip(SKIP_1) | instid1(VALU_DEP_2)
	v_fmac_f32_e32 v28, v18, v13
	v_max_f32_e32 v18, v98, v98
	v_cndmask_b32_e64 v29, 0, v28, s1
	s_delay_alu instid0(VALU_DEP_2) | instskip(SKIP_4) | instid1(VALU_DEP_2)
	v_max_f32_e32 v18, v18, v28
	ds_store_b32 v117, v29
	v_cndmask_b32_e64 v98, v98, v18, s1
	v_cmp_ge_i32_e64 s1, v118, v37
	v_add_nc_u32_e32 v117, 0x200, v117
	s_or_b32 s11, s1, s11
	s_delay_alu instid0(SALU_CYCLE_1)
	s_and_not1_b32 exec_lo, exec_lo, s11
	s_cbranch_execz .LBB452_392
.LBB452_8:                              ; =>This Inner Loop Header: Depth=1
	flat_load_b32 v18, v[20:21]
	s_mov_b32 s2, exec_lo
	s_waitcnt vmcnt(0) lgkmcnt(0)
	v_mad_i64_i32 v[28:29], null, v18, v22, v[8:9]
	v_mov_b32_e32 v18, 0
	flat_load_b64 v[30:31], v[28:29]
	flat_load_b32 v119, v[24:25]
	s_waitcnt vmcnt(1) lgkmcnt(1)
	v_and_b32_e32 v32, 0xff, v30
	s_delay_alu instid0(VALU_DEP_1)
	v_cmpx_ne_u16_e32 0, v32
	s_cbranch_execz .LBB452_16
; %bb.9:                                ;   in Loop: Header=BB452_8 Depth=1
	v_bfrev_b32_e32 v18, 1
	s_mov_b32 s18, exec_lo
	v_cmpx_ne_u16_e32 0x80, v32
	s_cbranch_execz .LBB452_15
; %bb.10:                               ;   in Loop: Header=BB452_8 Depth=1
	v_and_b32_e32 v32, 0x7f, v30
	v_mov_b32_e32 v18, 0x7f800001
	s_mov_b32 s19, exec_lo
	s_delay_alu instid0(VALU_DEP_2)
	v_cmpx_ne_u32_e32 0x7f, v32
	s_cbranch_execz .LBB452_14
; %bb.11:                               ;   in Loop: Header=BB452_8 Depth=1
	v_lshrrev_b32_e32 v18, 3, v32
	v_cmp_gt_u32_e64 s1, 8, v32
	v_dual_mov_b32 v33, v31 :: v_dual_mov_b32 v32, v30
	s_delay_alu instid0(VALU_DEP_2)
	s_and_saveexec_b32 s20, s1
; %bb.12:                               ;   in Loop: Header=BB452_8 Depth=1
	v_and_b32_e32 v18, 7, v30
	s_delay_alu instid0(VALU_DEP_1) | instskip(NEXT) | instid1(VALU_DEP_1)
	v_clz_i32_u32_e32 v18, v18
	v_min_u32_e32 v18, 32, v18
	s_delay_alu instid0(VALU_DEP_1) | instskip(SKIP_1) | instid1(VALU_DEP_2)
	v_subrev_nc_u32_e32 v32, 28, v18
	v_sub_nc_u32_e32 v18, 29, v18
	v_lshlrev_b64 v[32:33], v32, v[30:31]
; %bb.13:                               ;   in Loop: Header=BB452_8 Depth=1
	s_or_b32 exec_lo, exec_lo, s20
	s_delay_alu instid0(VALU_DEP_1) | instskip(SKIP_2) | instid1(VALU_DEP_3)
	v_lshlrev_b32_e32 v32, 20, v32
	v_lshlrev_b32_e32 v33, 24, v30
	v_lshl_add_u32 v18, v18, 23, 0x3c000000
	v_and_b32_e32 v32, 0x700000, v32
	s_delay_alu instid0(VALU_DEP_3) | instskip(NEXT) | instid1(VALU_DEP_1)
	v_and_b32_e32 v33, 0x80000000, v33
	v_or3_b32 v18, v32, v33, v18
.LBB452_14:                             ;   in Loop: Header=BB452_8 Depth=1
	s_or_b32 exec_lo, exec_lo, s19
.LBB452_15:                             ;   in Loop: Header=BB452_8 Depth=1
	s_delay_alu instid0(SALU_CYCLE_1)
	s_or_b32 exec_lo, exec_lo, s18
.LBB452_16:                             ;   in Loop: Header=BB452_8 Depth=1
	s_delay_alu instid0(SALU_CYCLE_1) | instskip(SKIP_2) | instid1(VALU_DEP_1)
	s_or_b32 exec_lo, exec_lo, s2
	s_waitcnt vmcnt(0) lgkmcnt(0)
	v_mul_f32_e32 v18, v119, v18
                                        ; implicit-def: $vgpr128
	v_and_b32_e32 v32, 0x7f800000, v18
	s_delay_alu instid0(VALU_DEP_1) | instskip(NEXT) | instid1(VALU_DEP_1)
	v_cmp_ne_u32_e64 s1, 0x7f800000, v32
	s_and_saveexec_b32 s2, s1
	s_delay_alu instid0(SALU_CYCLE_1)
	s_xor_b32 s1, exec_lo, s2
; %bb.17:                               ;   in Loop: Header=BB452_8 Depth=1
	v_bfe_u32 v32, v18, 16, 1
	s_delay_alu instid0(VALU_DEP_1)
	v_add3_u32 v128, v18, v32, 0x7fff
                                        ; implicit-def: $vgpr18
; %bb.18:                               ;   in Loop: Header=BB452_8 Depth=1
	s_and_not1_saveexec_b32 s2, s1
; %bb.19:                               ;   in Loop: Header=BB452_8 Depth=1
	v_and_b32_e32 v32, 0xffff, v18
	v_or_b32_e32 v33, 0x10000, v18
	s_delay_alu instid0(VALU_DEP_2) | instskip(NEXT) | instid1(VALU_DEP_1)
	v_cmp_eq_u32_e64 s1, 0, v32
	v_cndmask_b32_e64 v128, v33, v18, s1
; %bb.20:                               ;   in Loop: Header=BB452_8 Depth=1
	s_or_b32 exec_lo, exec_lo, s2
	v_lshrrev_b16 v32, 8, v30
	v_mov_b32_e32 v18, 0
	s_mov_b32 s2, exec_lo
	s_delay_alu instid0(VALU_DEP_2)
	v_cmpx_ne_u16_e32 0, v32
	s_cbranch_execz .LBB452_28
; %bb.21:                               ;   in Loop: Header=BB452_8 Depth=1
	v_bfrev_b32_e32 v18, 1
	s_mov_b32 s18, exec_lo
	v_cmpx_ne_u16_e32 0x80, v32
	s_cbranch_execz .LBB452_27
; %bb.22:                               ;   in Loop: Header=BB452_8 Depth=1
	v_and_b32_e32 v32, 0xffff, v32
	v_mov_b32_e32 v18, 0x7f800001
	s_mov_b32 s19, exec_lo
	s_delay_alu instid0(VALU_DEP_2) | instskip(NEXT) | instid1(VALU_DEP_1)
	v_and_b32_e32 v33, 0x7f, v32
	v_cmpx_ne_u32_e32 0x7f, v33
	s_cbranch_execz .LBB452_26
; %bb.23:                               ;   in Loop: Header=BB452_8 Depth=1
	v_and_b32_e32 v18, 7, v32
	v_lshrrev_b32_e32 v32, 3, v33
	s_mov_b32 s20, exec_lo
	v_cmpx_gt_u32_e32 8, v33
; %bb.24:                               ;   in Loop: Header=BB452_8 Depth=1
	s_delay_alu instid0(VALU_DEP_3) | instskip(NEXT) | instid1(VALU_DEP_1)
	v_clz_i32_u32_e32 v32, v18
	v_min_u32_e32 v32, 32, v32
	s_delay_alu instid0(VALU_DEP_1) | instskip(SKIP_1) | instid1(VALU_DEP_2)
	v_subrev_nc_u32_e32 v33, 28, v32
	v_sub_nc_u32_e32 v32, 29, v32
	v_lshlrev_b64 v[129:130], v33, v[18:19]
	s_delay_alu instid0(VALU_DEP_1)
	v_and_b32_e32 v18, 7, v129
; %bb.25:                               ;   in Loop: Header=BB452_8 Depth=1
	s_or_b32 exec_lo, exec_lo, s20
	v_lshlrev_b32_e32 v33, 16, v30
	s_delay_alu instid0(VALU_DEP_2) | instskip(SKIP_1) | instid1(VALU_DEP_3)
	v_lshlrev_b32_e32 v18, 20, v18
	v_lshl_add_u32 v32, v32, 23, 0x3c000000
	v_and_b32_e32 v33, 0x80000000, v33
	s_delay_alu instid0(VALU_DEP_1)
	v_or3_b32 v18, v18, v33, v32
.LBB452_26:                             ;   in Loop: Header=BB452_8 Depth=1
	s_or_b32 exec_lo, exec_lo, s19
.LBB452_27:                             ;   in Loop: Header=BB452_8 Depth=1
	s_delay_alu instid0(SALU_CYCLE_1)
	s_or_b32 exec_lo, exec_lo, s18
.LBB452_28:                             ;   in Loop: Header=BB452_8 Depth=1
	s_delay_alu instid0(SALU_CYCLE_1) | instskip(NEXT) | instid1(VALU_DEP_1)
	s_or_b32 exec_lo, exec_lo, s2
	v_mul_f32_e32 v18, v119, v18
                                        ; implicit-def: $vgpr129
	s_delay_alu instid0(VALU_DEP_1) | instskip(NEXT) | instid1(VALU_DEP_1)
	v_and_b32_e32 v32, 0x7f800000, v18
	v_cmp_ne_u32_e64 s1, 0x7f800000, v32
	s_delay_alu instid0(VALU_DEP_1) | instskip(NEXT) | instid1(SALU_CYCLE_1)
	s_and_saveexec_b32 s2, s1
	s_xor_b32 s1, exec_lo, s2
; %bb.29:                               ;   in Loop: Header=BB452_8 Depth=1
	v_bfe_u32 v32, v18, 16, 1
	s_delay_alu instid0(VALU_DEP_1)
	v_add3_u32 v129, v18, v32, 0x7fff
                                        ; implicit-def: $vgpr18
; %bb.30:                               ;   in Loop: Header=BB452_8 Depth=1
	s_and_not1_saveexec_b32 s2, s1
; %bb.31:                               ;   in Loop: Header=BB452_8 Depth=1
	v_and_b32_e32 v32, 0xffff, v18
	v_or_b32_e32 v33, 0x10000, v18
	s_delay_alu instid0(VALU_DEP_2) | instskip(NEXT) | instid1(VALU_DEP_1)
	v_cmp_eq_u32_e64 s1, 0, v32
	v_cndmask_b32_e64 v129, v33, v18, s1
; %bb.32:                               ;   in Loop: Header=BB452_8 Depth=1
	s_or_b32 exec_lo, exec_lo, s2
	v_lshrrev_b32_e32 v32, 16, v30
	s_mov_b32 s2, exec_lo
	s_delay_alu instid0(VALU_DEP_1) | instskip(NEXT) | instid1(VALU_DEP_1)
	v_dual_mov_b32 v18, 0 :: v_dual_and_b32 v33, 0xff, v32
	v_cmpx_ne_u16_e32 0, v33
	s_cbranch_execz .LBB452_40
; %bb.33:                               ;   in Loop: Header=BB452_8 Depth=1
	v_bfrev_b32_e32 v18, 1
	s_mov_b32 s18, exec_lo
	v_cmpx_ne_u16_e32 0x80, v33
	s_cbranch_execz .LBB452_39
; %bb.34:                               ;   in Loop: Header=BB452_8 Depth=1
	v_bfe_u32 v130, v30, 16, 7
	v_mov_b32_e32 v18, 0x7f800001
	s_mov_b32 s19, exec_lo
	s_delay_alu instid0(VALU_DEP_2)
	v_cmpx_ne_u32_e32 0x7f, v130
	s_cbranch_execz .LBB452_38
; %bb.35:                               ;   in Loop: Header=BB452_8 Depth=1
	v_and_b32_e32 v18, 7, v32
	v_lshrrev_b32_e32 v33, 3, v130
	s_mov_b32 s20, exec_lo
	v_cmpx_gt_u32_e32 8, v130
; %bb.36:                               ;   in Loop: Header=BB452_8 Depth=1
	s_delay_alu instid0(VALU_DEP_3) | instskip(NEXT) | instid1(VALU_DEP_1)
	v_clz_i32_u32_e32 v33, v18
	v_min_u32_e32 v33, 32, v33
	s_delay_alu instid0(VALU_DEP_1) | instskip(SKIP_1) | instid1(VALU_DEP_2)
	v_subrev_nc_u32_e32 v130, 28, v33
	v_sub_nc_u32_e32 v33, 29, v33
	v_lshlrev_b64 v[130:131], v130, v[18:19]
	s_delay_alu instid0(VALU_DEP_1)
	v_and_b32_e32 v18, 7, v130
; %bb.37:                               ;   in Loop: Header=BB452_8 Depth=1
	s_or_b32 exec_lo, exec_lo, s20
	v_lshlrev_b32_e32 v32, 24, v32
	s_delay_alu instid0(VALU_DEP_2) | instskip(SKIP_1) | instid1(VALU_DEP_3)
	v_lshlrev_b32_e32 v18, 20, v18
	v_lshl_add_u32 v33, v33, 23, 0x3c000000
	v_and_b32_e32 v32, 0x80000000, v32
	s_delay_alu instid0(VALU_DEP_1)
	v_or3_b32 v18, v18, v32, v33
.LBB452_38:                             ;   in Loop: Header=BB452_8 Depth=1
	s_or_b32 exec_lo, exec_lo, s19
.LBB452_39:                             ;   in Loop: Header=BB452_8 Depth=1
	s_delay_alu instid0(SALU_CYCLE_1)
	s_or_b32 exec_lo, exec_lo, s18
.LBB452_40:                             ;   in Loop: Header=BB452_8 Depth=1
	s_delay_alu instid0(SALU_CYCLE_1) | instskip(NEXT) | instid1(VALU_DEP_1)
	s_or_b32 exec_lo, exec_lo, s2
	v_mul_f32_e32 v18, v119, v18
                                        ; implicit-def: $vgpr130
	s_delay_alu instid0(VALU_DEP_1) | instskip(NEXT) | instid1(VALU_DEP_1)
	v_and_b32_e32 v32, 0x7f800000, v18
	v_cmp_ne_u32_e64 s1, 0x7f800000, v32
	s_delay_alu instid0(VALU_DEP_1) | instskip(NEXT) | instid1(SALU_CYCLE_1)
	s_and_saveexec_b32 s2, s1
	s_xor_b32 s1, exec_lo, s2
; %bb.41:                               ;   in Loop: Header=BB452_8 Depth=1
	v_bfe_u32 v32, v18, 16, 1
	s_delay_alu instid0(VALU_DEP_1)
	v_add3_u32 v130, v18, v32, 0x7fff
                                        ; implicit-def: $vgpr18
; %bb.42:                               ;   in Loop: Header=BB452_8 Depth=1
	s_and_not1_saveexec_b32 s2, s1
; %bb.43:                               ;   in Loop: Header=BB452_8 Depth=1
	v_and_b32_e32 v32, 0xffff, v18
	v_or_b32_e32 v33, 0x10000, v18
	s_delay_alu instid0(VALU_DEP_2) | instskip(NEXT) | instid1(VALU_DEP_1)
	v_cmp_eq_u32_e64 s1, 0, v32
	v_cndmask_b32_e64 v130, v33, v18, s1
; %bb.44:                               ;   in Loop: Header=BB452_8 Depth=1
	s_or_b32 exec_lo, exec_lo, s2
	v_mov_b32_e32 v18, 0
	s_mov_b32 s2, exec_lo
	v_cmpx_lt_u32_e32 0xffffff, v30
	s_cbranch_execz .LBB452_52
; %bb.45:                               ;   in Loop: Header=BB452_8 Depth=1
	v_lshrrev_b32_e32 v32, 24, v30
	v_bfrev_b32_e32 v18, 1
	s_mov_b32 s18, exec_lo
	s_delay_alu instid0(VALU_DEP_2)
	v_cmpx_ne_u32_e32 0x80, v32
	s_cbranch_execz .LBB452_51
; %bb.46:                               ;   in Loop: Header=BB452_8 Depth=1
	v_bfe_u32 v131, v30, 24, 7
	v_mov_b32_e32 v18, 0x7f800001
	s_mov_b32 s19, exec_lo
	s_delay_alu instid0(VALU_DEP_2)
	v_cmpx_ne_u32_e32 0x7f, v131
	s_cbranch_execz .LBB452_50
; %bb.47:                               ;   in Loop: Header=BB452_8 Depth=1
	v_and_b32_e32 v18, 7, v32
	v_lshrrev_b32_e32 v33, 3, v131
	s_mov_b32 s20, exec_lo
	v_cmpx_gt_u32_e32 8, v131
; %bb.48:                               ;   in Loop: Header=BB452_8 Depth=1
	s_delay_alu instid0(VALU_DEP_3) | instskip(NEXT) | instid1(VALU_DEP_1)
	v_clz_i32_u32_e32 v33, v18
	v_min_u32_e32 v33, 32, v33
	s_delay_alu instid0(VALU_DEP_1) | instskip(SKIP_1) | instid1(VALU_DEP_2)
	v_subrev_nc_u32_e32 v131, 28, v33
	v_sub_nc_u32_e32 v33, 29, v33
	v_lshlrev_b64 v[131:132], v131, v[18:19]
	s_delay_alu instid0(VALU_DEP_1)
	v_and_b32_e32 v18, 7, v131
; %bb.49:                               ;   in Loop: Header=BB452_8 Depth=1
	s_or_b32 exec_lo, exec_lo, s20
	v_lshlrev_b32_e32 v32, 24, v32
	s_delay_alu instid0(VALU_DEP_2) | instskip(SKIP_1) | instid1(VALU_DEP_3)
	v_lshlrev_b32_e32 v18, 20, v18
	v_lshl_add_u32 v33, v33, 23, 0x3c000000
	v_and_b32_e32 v32, 0x80000000, v32
	s_delay_alu instid0(VALU_DEP_1)
	v_or3_b32 v18, v18, v32, v33
.LBB452_50:                             ;   in Loop: Header=BB452_8 Depth=1
	s_or_b32 exec_lo, exec_lo, s19
.LBB452_51:                             ;   in Loop: Header=BB452_8 Depth=1
	s_delay_alu instid0(SALU_CYCLE_1)
	s_or_b32 exec_lo, exec_lo, s18
.LBB452_52:                             ;   in Loop: Header=BB452_8 Depth=1
	s_delay_alu instid0(SALU_CYCLE_1) | instskip(NEXT) | instid1(VALU_DEP_1)
	s_or_b32 exec_lo, exec_lo, s2
	v_mul_f32_e32 v18, v119, v18
                                        ; implicit-def: $vgpr131
	s_delay_alu instid0(VALU_DEP_1) | instskip(NEXT) | instid1(VALU_DEP_1)
	v_and_b32_e32 v32, 0x7f800000, v18
	v_cmp_ne_u32_e64 s1, 0x7f800000, v32
	s_delay_alu instid0(VALU_DEP_1) | instskip(NEXT) | instid1(SALU_CYCLE_1)
	s_and_saveexec_b32 s2, s1
	s_xor_b32 s1, exec_lo, s2
; %bb.53:                               ;   in Loop: Header=BB452_8 Depth=1
	v_bfe_u32 v32, v18, 16, 1
	s_delay_alu instid0(VALU_DEP_1)
	v_add3_u32 v131, v18, v32, 0x7fff
                                        ; implicit-def: $vgpr18
; %bb.54:                               ;   in Loop: Header=BB452_8 Depth=1
	s_and_not1_saveexec_b32 s2, s1
; %bb.55:                               ;   in Loop: Header=BB452_8 Depth=1
	v_and_b32_e32 v32, 0xffff, v18
	v_or_b32_e32 v33, 0x10000, v18
	s_delay_alu instid0(VALU_DEP_2) | instskip(NEXT) | instid1(VALU_DEP_1)
	v_cmp_eq_u32_e64 s1, 0, v32
	v_cndmask_b32_e64 v131, v33, v18, s1
; %bb.56:                               ;   in Loop: Header=BB452_8 Depth=1
	s_or_b32 exec_lo, exec_lo, s2
	v_dual_mov_b32 v18, v31 :: v_dual_and_b32 v33, 0xff, v31
	v_mov_b32_e32 v32, 0
	s_mov_b32 s2, exec_lo
	s_delay_alu instid0(VALU_DEP_2)
	v_cmpx_ne_u16_e32 0, v33
	s_cbranch_execz .LBB452_64
; %bb.57:                               ;   in Loop: Header=BB452_8 Depth=1
	v_bfrev_b32_e32 v32, 1
	s_mov_b32 s18, exec_lo
	v_cmpx_ne_u16_e32 0x80, v33
	s_cbranch_execz .LBB452_63
; %bb.58:                               ;   in Loop: Header=BB452_8 Depth=1
	v_and_b32_e32 v33, 0x7f, v31
	v_mov_b32_e32 v32, 0x7f800001
	s_mov_b32 s19, exec_lo
	s_delay_alu instid0(VALU_DEP_2)
	v_cmpx_ne_u32_e32 0x7f, v33
	s_cbranch_execz .LBB452_62
; %bb.59:                               ;   in Loop: Header=BB452_8 Depth=1
	v_lshrrev_b32_e32 v132, 3, v33
	v_cmp_gt_u32_e64 s1, 8, v33
	v_dual_mov_b32 v33, v19 :: v_dual_mov_b32 v32, v18
	s_delay_alu instid0(VALU_DEP_2)
	s_and_saveexec_b32 s20, s1
; %bb.60:                               ;   in Loop: Header=BB452_8 Depth=1
	v_and_b32_e32 v32, 7, v31
	s_delay_alu instid0(VALU_DEP_1) | instskip(NEXT) | instid1(VALU_DEP_1)
	v_clz_i32_u32_e32 v32, v32
	v_min_u32_e32 v132, 32, v32
	s_delay_alu instid0(VALU_DEP_1) | instskip(SKIP_1) | instid1(VALU_DEP_2)
	v_subrev_nc_u32_e32 v32, 28, v132
	v_sub_nc_u32_e32 v132, 29, v132
	v_lshlrev_b64 v[32:33], v32, v[18:19]
; %bb.61:                               ;   in Loop: Header=BB452_8 Depth=1
	s_or_b32 exec_lo, exec_lo, s20
	s_delay_alu instid0(VALU_DEP_1) | instskip(SKIP_2) | instid1(VALU_DEP_3)
	v_lshlrev_b32_e32 v32, 20, v32
	v_lshlrev_b32_e32 v33, 24, v18
	v_lshl_add_u32 v132, v132, 23, 0x3c000000
	v_and_b32_e32 v32, 0x700000, v32
	s_delay_alu instid0(VALU_DEP_3) | instskip(NEXT) | instid1(VALU_DEP_1)
	v_and_b32_e32 v33, 0x80000000, v33
	v_or3_b32 v32, v32, v33, v132
.LBB452_62:                             ;   in Loop: Header=BB452_8 Depth=1
	s_or_b32 exec_lo, exec_lo, s19
.LBB452_63:                             ;   in Loop: Header=BB452_8 Depth=1
	s_delay_alu instid0(SALU_CYCLE_1)
	s_or_b32 exec_lo, exec_lo, s18
.LBB452_64:                             ;   in Loop: Header=BB452_8 Depth=1
	s_delay_alu instid0(SALU_CYCLE_1) | instskip(NEXT) | instid1(VALU_DEP_1)
	s_or_b32 exec_lo, exec_lo, s2
	v_mul_f32_e32 v32, v119, v32
                                        ; implicit-def: $vgpr132
	s_delay_alu instid0(VALU_DEP_1) | instskip(NEXT) | instid1(VALU_DEP_1)
	v_and_b32_e32 v33, 0x7f800000, v32
	v_cmp_ne_u32_e64 s1, 0x7f800000, v33
	s_delay_alu instid0(VALU_DEP_1) | instskip(NEXT) | instid1(SALU_CYCLE_1)
	s_and_saveexec_b32 s2, s1
	s_xor_b32 s1, exec_lo, s2
; %bb.65:                               ;   in Loop: Header=BB452_8 Depth=1
	v_bfe_u32 v33, v32, 16, 1
	s_delay_alu instid0(VALU_DEP_1)
	v_add3_u32 v132, v32, v33, 0x7fff
                                        ; implicit-def: $vgpr32
; %bb.66:                               ;   in Loop: Header=BB452_8 Depth=1
	s_and_not1_saveexec_b32 s2, s1
; %bb.67:                               ;   in Loop: Header=BB452_8 Depth=1
	v_and_b32_e32 v33, 0xffff, v32
	v_or_b32_e32 v132, 0x10000, v32
	s_delay_alu instid0(VALU_DEP_2) | instskip(NEXT) | instid1(VALU_DEP_1)
	v_cmp_eq_u32_e64 s1, 0, v33
	v_cndmask_b32_e64 v132, v132, v32, s1
; %bb.68:                               ;   in Loop: Header=BB452_8 Depth=1
	s_or_b32 exec_lo, exec_lo, s2
	v_lshrrev_b16 v33, 8, v18
	v_mov_b32_e32 v32, 0
	s_mov_b32 s2, exec_lo
	s_delay_alu instid0(VALU_DEP_2)
	v_cmpx_ne_u16_e32 0, v33
	s_cbranch_execz .LBB452_76
; %bb.69:                               ;   in Loop: Header=BB452_8 Depth=1
	v_bfrev_b32_e32 v32, 1
	s_mov_b32 s18, exec_lo
	v_cmpx_ne_u16_e32 0x80, v33
	s_cbranch_execz .LBB452_75
; %bb.70:                               ;   in Loop: Header=BB452_8 Depth=1
	v_and_b32_e32 v33, 0xffff, v33
	v_mov_b32_e32 v32, 0x7f800001
	s_mov_b32 s19, exec_lo
	s_delay_alu instid0(VALU_DEP_2) | instskip(NEXT) | instid1(VALU_DEP_1)
	v_and_b32_e32 v134, 0x7f, v33
	v_cmpx_ne_u32_e32 0x7f, v134
	s_cbranch_execz .LBB452_74
; %bb.71:                               ;   in Loop: Header=BB452_8 Depth=1
	v_dual_mov_b32 v33, v19 :: v_dual_and_b32 v32, 7, v33
	v_lshrrev_b32_e32 v133, 3, v134
	s_mov_b32 s20, exec_lo
	v_cmpx_gt_u32_e32 8, v134
; %bb.72:                               ;   in Loop: Header=BB452_8 Depth=1
	s_delay_alu instid0(VALU_DEP_3) | instskip(NEXT) | instid1(VALU_DEP_1)
	v_clz_i32_u32_e32 v133, v32
	v_min_u32_e32 v133, 32, v133
	s_delay_alu instid0(VALU_DEP_1) | instskip(SKIP_1) | instid1(VALU_DEP_2)
	v_subrev_nc_u32_e32 v134, 28, v133
	v_sub_nc_u32_e32 v133, 29, v133
	v_lshlrev_b64 v[32:33], v134, v[32:33]
	s_delay_alu instid0(VALU_DEP_1)
	v_and_b32_e32 v32, 7, v32
; %bb.73:                               ;   in Loop: Header=BB452_8 Depth=1
	s_or_b32 exec_lo, exec_lo, s20
	v_lshlrev_b32_e32 v18, 16, v18
	s_delay_alu instid0(VALU_DEP_2) | instskip(SKIP_1) | instid1(VALU_DEP_3)
	v_lshlrev_b32_e32 v32, 20, v32
	v_lshl_add_u32 v33, v133, 23, 0x3c000000
	v_and_b32_e32 v18, 0x80000000, v18
	s_delay_alu instid0(VALU_DEP_1)
	v_or3_b32 v32, v32, v18, v33
.LBB452_74:                             ;   in Loop: Header=BB452_8 Depth=1
	s_or_b32 exec_lo, exec_lo, s19
.LBB452_75:                             ;   in Loop: Header=BB452_8 Depth=1
	s_delay_alu instid0(SALU_CYCLE_1)
	s_or_b32 exec_lo, exec_lo, s18
.LBB452_76:                             ;   in Loop: Header=BB452_8 Depth=1
	s_delay_alu instid0(SALU_CYCLE_1) | instskip(NEXT) | instid1(VALU_DEP_1)
	s_or_b32 exec_lo, exec_lo, s2
	v_mul_f32_e32 v18, v119, v32
                                        ; implicit-def: $vgpr133
	s_delay_alu instid0(VALU_DEP_1) | instskip(NEXT) | instid1(VALU_DEP_1)
	v_and_b32_e32 v32, 0x7f800000, v18
	v_cmp_ne_u32_e64 s1, 0x7f800000, v32
	s_delay_alu instid0(VALU_DEP_1) | instskip(NEXT) | instid1(SALU_CYCLE_1)
	s_and_saveexec_b32 s2, s1
	s_xor_b32 s1, exec_lo, s2
; %bb.77:                               ;   in Loop: Header=BB452_8 Depth=1
	v_bfe_u32 v32, v18, 16, 1
	s_delay_alu instid0(VALU_DEP_1)
	v_add3_u32 v133, v18, v32, 0x7fff
                                        ; implicit-def: $vgpr18
; %bb.78:                               ;   in Loop: Header=BB452_8 Depth=1
	s_and_not1_saveexec_b32 s2, s1
; %bb.79:                               ;   in Loop: Header=BB452_8 Depth=1
	v_and_b32_e32 v32, 0xffff, v18
	v_or_b32_e32 v33, 0x10000, v18
	s_delay_alu instid0(VALU_DEP_2) | instskip(NEXT) | instid1(VALU_DEP_1)
	v_cmp_eq_u32_e64 s1, 0, v32
	v_cndmask_b32_e64 v133, v33, v18, s1
; %bb.80:                               ;   in Loop: Header=BB452_8 Depth=1
	s_or_b32 exec_lo, exec_lo, s2
	v_lshrrev_b32_e32 v32, 16, v31
	s_mov_b32 s2, exec_lo
	s_delay_alu instid0(VALU_DEP_1) | instskip(NEXT) | instid1(VALU_DEP_1)
	v_dual_mov_b32 v18, 0 :: v_dual_and_b32 v33, 0xff, v32
	v_cmpx_ne_u16_e32 0, v33
	s_cbranch_execz .LBB452_88
; %bb.81:                               ;   in Loop: Header=BB452_8 Depth=1
	v_bfrev_b32_e32 v18, 1
	s_mov_b32 s18, exec_lo
	v_cmpx_ne_u16_e32 0x80, v33
	s_cbranch_execz .LBB452_87
; %bb.82:                               ;   in Loop: Header=BB452_8 Depth=1
	v_bfe_u32 v134, v31, 16, 7
	v_mov_b32_e32 v18, 0x7f800001
	s_mov_b32 s19, exec_lo
	s_delay_alu instid0(VALU_DEP_2)
	v_cmpx_ne_u32_e32 0x7f, v134
	s_cbranch_execz .LBB452_86
; %bb.83:                               ;   in Loop: Header=BB452_8 Depth=1
	v_and_b32_e32 v18, 7, v32
	v_lshrrev_b32_e32 v33, 3, v134
	s_mov_b32 s20, exec_lo
	v_cmpx_gt_u32_e32 8, v134
; %bb.84:                               ;   in Loop: Header=BB452_8 Depth=1
	s_delay_alu instid0(VALU_DEP_3) | instskip(NEXT) | instid1(VALU_DEP_1)
	v_clz_i32_u32_e32 v33, v18
	v_min_u32_e32 v33, 32, v33
	s_delay_alu instid0(VALU_DEP_1) | instskip(SKIP_1) | instid1(VALU_DEP_2)
	v_subrev_nc_u32_e32 v134, 28, v33
	v_sub_nc_u32_e32 v33, 29, v33
	v_lshlrev_b64 v[134:135], v134, v[18:19]
	s_delay_alu instid0(VALU_DEP_1)
	v_and_b32_e32 v18, 7, v134
; %bb.85:                               ;   in Loop: Header=BB452_8 Depth=1
	s_or_b32 exec_lo, exec_lo, s20
	v_lshlrev_b32_e32 v32, 24, v32
	s_delay_alu instid0(VALU_DEP_2) | instskip(SKIP_1) | instid1(VALU_DEP_3)
	v_lshlrev_b32_e32 v18, 20, v18
	v_lshl_add_u32 v33, v33, 23, 0x3c000000
	v_and_b32_e32 v32, 0x80000000, v32
	s_delay_alu instid0(VALU_DEP_1)
	v_or3_b32 v18, v18, v32, v33
.LBB452_86:                             ;   in Loop: Header=BB452_8 Depth=1
	s_or_b32 exec_lo, exec_lo, s19
.LBB452_87:                             ;   in Loop: Header=BB452_8 Depth=1
	s_delay_alu instid0(SALU_CYCLE_1)
	s_or_b32 exec_lo, exec_lo, s18
.LBB452_88:                             ;   in Loop: Header=BB452_8 Depth=1
	s_delay_alu instid0(SALU_CYCLE_1) | instskip(NEXT) | instid1(VALU_DEP_1)
	s_or_b32 exec_lo, exec_lo, s2
	v_mul_f32_e32 v18, v119, v18
                                        ; implicit-def: $vgpr134
	s_delay_alu instid0(VALU_DEP_1) | instskip(NEXT) | instid1(VALU_DEP_1)
	v_and_b32_e32 v32, 0x7f800000, v18
	v_cmp_ne_u32_e64 s1, 0x7f800000, v32
	s_delay_alu instid0(VALU_DEP_1) | instskip(NEXT) | instid1(SALU_CYCLE_1)
	s_and_saveexec_b32 s2, s1
	s_xor_b32 s1, exec_lo, s2
; %bb.89:                               ;   in Loop: Header=BB452_8 Depth=1
	v_bfe_u32 v32, v18, 16, 1
	s_delay_alu instid0(VALU_DEP_1)
	v_add3_u32 v134, v18, v32, 0x7fff
                                        ; implicit-def: $vgpr18
; %bb.90:                               ;   in Loop: Header=BB452_8 Depth=1
	s_and_not1_saveexec_b32 s2, s1
; %bb.91:                               ;   in Loop: Header=BB452_8 Depth=1
	v_and_b32_e32 v32, 0xffff, v18
	v_or_b32_e32 v33, 0x10000, v18
	s_delay_alu instid0(VALU_DEP_2) | instskip(NEXT) | instid1(VALU_DEP_1)
	v_cmp_eq_u32_e64 s1, 0, v32
	v_cndmask_b32_e64 v134, v33, v18, s1
; %bb.92:                               ;   in Loop: Header=BB452_8 Depth=1
	s_or_b32 exec_lo, exec_lo, s2
	v_mov_b32_e32 v18, 0
	s_mov_b32 s2, exec_lo
	v_cmpx_lt_u64_e64 s[8:9], v[30:31]
	s_cbranch_execz .LBB452_100
; %bb.93:                               ;   in Loop: Header=BB452_8 Depth=1
	v_lshrrev_b32_e32 v30, 24, v31
	v_bfrev_b32_e32 v18, 1
	s_mov_b32 s18, exec_lo
	s_delay_alu instid0(VALU_DEP_2)
	v_cmpx_ne_u32_e32 0x80, v30
	s_cbranch_execz .LBB452_99
; %bb.94:                               ;   in Loop: Header=BB452_8 Depth=1
	v_bfe_u32 v32, v31, 24, 7
	v_mov_b32_e32 v18, 0x7f800001
	s_mov_b32 s19, exec_lo
	s_delay_alu instid0(VALU_DEP_2)
	v_cmpx_ne_u32_e32 0x7f, v32
	s_cbranch_execz .LBB452_98
; %bb.95:                               ;   in Loop: Header=BB452_8 Depth=1
	v_and_b32_e32 v18, 7, v30
	v_lshrrev_b32_e32 v31, 3, v32
	s_mov_b32 s20, exec_lo
	v_cmpx_gt_u32_e32 8, v32
; %bb.96:                               ;   in Loop: Header=BB452_8 Depth=1
	s_delay_alu instid0(VALU_DEP_3) | instskip(NEXT) | instid1(VALU_DEP_1)
	v_clz_i32_u32_e32 v31, v18
	v_min_u32_e32 v31, 32, v31
	s_delay_alu instid0(VALU_DEP_1) | instskip(SKIP_1) | instid1(VALU_DEP_2)
	v_subrev_nc_u32_e32 v32, 28, v31
	v_sub_nc_u32_e32 v31, 29, v31
	v_lshlrev_b64 v[32:33], v32, v[18:19]
	s_delay_alu instid0(VALU_DEP_1)
	v_and_b32_e32 v18, 7, v32
; %bb.97:                               ;   in Loop: Header=BB452_8 Depth=1
	s_or_b32 exec_lo, exec_lo, s20
	v_lshlrev_b32_e32 v30, 24, v30
	s_delay_alu instid0(VALU_DEP_2) | instskip(SKIP_1) | instid1(VALU_DEP_3)
	v_lshlrev_b32_e32 v18, 20, v18
	v_lshl_add_u32 v31, v31, 23, 0x3c000000
	v_and_b32_e32 v30, 0x80000000, v30
	s_delay_alu instid0(VALU_DEP_1)
	v_or3_b32 v18, v18, v30, v31
.LBB452_98:                             ;   in Loop: Header=BB452_8 Depth=1
	s_or_b32 exec_lo, exec_lo, s19
.LBB452_99:                             ;   in Loop: Header=BB452_8 Depth=1
	s_delay_alu instid0(SALU_CYCLE_1)
	s_or_b32 exec_lo, exec_lo, s18
.LBB452_100:                            ;   in Loop: Header=BB452_8 Depth=1
	s_delay_alu instid0(SALU_CYCLE_1) | instskip(NEXT) | instid1(VALU_DEP_1)
	s_or_b32 exec_lo, exec_lo, s2
	v_mul_f32_e32 v18, v119, v18
                                        ; implicit-def: $vgpr135
	s_delay_alu instid0(VALU_DEP_1) | instskip(NEXT) | instid1(VALU_DEP_1)
	v_and_b32_e32 v30, 0x7f800000, v18
	v_cmp_ne_u32_e64 s1, 0x7f800000, v30
	s_delay_alu instid0(VALU_DEP_1) | instskip(NEXT) | instid1(SALU_CYCLE_1)
	s_and_saveexec_b32 s2, s1
	s_xor_b32 s1, exec_lo, s2
; %bb.101:                              ;   in Loop: Header=BB452_8 Depth=1
	v_bfe_u32 v30, v18, 16, 1
	s_delay_alu instid0(VALU_DEP_1)
	v_add3_u32 v135, v18, v30, 0x7fff
                                        ; implicit-def: $vgpr18
; %bb.102:                              ;   in Loop: Header=BB452_8 Depth=1
	s_and_not1_saveexec_b32 s2, s1
; %bb.103:                              ;   in Loop: Header=BB452_8 Depth=1
	v_and_b32_e32 v30, 0xffff, v18
	v_or_b32_e32 v31, 0x10000, v18
	s_delay_alu instid0(VALU_DEP_2) | instskip(NEXT) | instid1(VALU_DEP_1)
	v_cmp_eq_u32_e64 s1, 0, v30
	v_cndmask_b32_e64 v135, v31, v18, s1
; %bb.104:                              ;   in Loop: Header=BB452_8 Depth=1
	s_or_b32 exec_lo, exec_lo, s2
	flat_load_b64 v[30:31], v[28:29] offset:8
	v_mov_b32_e32 v18, 0
	s_mov_b32 s2, exec_lo
	s_waitcnt vmcnt(0) lgkmcnt(0)
	v_and_b32_e32 v32, 0xff, v30
	s_delay_alu instid0(VALU_DEP_1)
	v_cmpx_ne_u16_e32 0, v32
	s_cbranch_execz .LBB452_112
; %bb.105:                              ;   in Loop: Header=BB452_8 Depth=1
	v_bfrev_b32_e32 v18, 1
	s_mov_b32 s18, exec_lo
	v_cmpx_ne_u16_e32 0x80, v32
	s_cbranch_execz .LBB452_111
; %bb.106:                              ;   in Loop: Header=BB452_8 Depth=1
	v_and_b32_e32 v32, 0x7f, v30
	v_mov_b32_e32 v18, 0x7f800001
	s_mov_b32 s19, exec_lo
	s_delay_alu instid0(VALU_DEP_2)
	v_cmpx_ne_u32_e32 0x7f, v32
	s_cbranch_execz .LBB452_110
; %bb.107:                              ;   in Loop: Header=BB452_8 Depth=1
	v_lshrrev_b32_e32 v18, 3, v32
	v_cmp_gt_u32_e64 s1, 8, v32
	v_dual_mov_b32 v33, v31 :: v_dual_mov_b32 v32, v30
	s_delay_alu instid0(VALU_DEP_2)
	s_and_saveexec_b32 s20, s1
; %bb.108:                              ;   in Loop: Header=BB452_8 Depth=1
	v_and_b32_e32 v18, 7, v30
	s_delay_alu instid0(VALU_DEP_1) | instskip(NEXT) | instid1(VALU_DEP_1)
	v_clz_i32_u32_e32 v18, v18
	v_min_u32_e32 v18, 32, v18
	s_delay_alu instid0(VALU_DEP_1) | instskip(SKIP_1) | instid1(VALU_DEP_2)
	v_subrev_nc_u32_e32 v32, 28, v18
	v_sub_nc_u32_e32 v18, 29, v18
	v_lshlrev_b64 v[32:33], v32, v[30:31]
; %bb.109:                              ;   in Loop: Header=BB452_8 Depth=1
	s_or_b32 exec_lo, exec_lo, s20
	s_delay_alu instid0(VALU_DEP_1) | instskip(SKIP_2) | instid1(VALU_DEP_3)
	v_lshlrev_b32_e32 v32, 20, v32
	v_lshlrev_b32_e32 v33, 24, v30
	v_lshl_add_u32 v18, v18, 23, 0x3c000000
	v_and_b32_e32 v32, 0x700000, v32
	s_delay_alu instid0(VALU_DEP_3) | instskip(NEXT) | instid1(VALU_DEP_1)
	v_and_b32_e32 v33, 0x80000000, v33
	v_or3_b32 v18, v32, v33, v18
.LBB452_110:                            ;   in Loop: Header=BB452_8 Depth=1
	s_or_b32 exec_lo, exec_lo, s19
.LBB452_111:                            ;   in Loop: Header=BB452_8 Depth=1
	s_delay_alu instid0(SALU_CYCLE_1)
	s_or_b32 exec_lo, exec_lo, s18
.LBB452_112:                            ;   in Loop: Header=BB452_8 Depth=1
	s_delay_alu instid0(SALU_CYCLE_1) | instskip(NEXT) | instid1(VALU_DEP_1)
	s_or_b32 exec_lo, exec_lo, s2
	v_mul_f32_e32 v18, v119, v18
                                        ; implicit-def: $vgpr144
	s_delay_alu instid0(VALU_DEP_1) | instskip(NEXT) | instid1(VALU_DEP_1)
	v_and_b32_e32 v32, 0x7f800000, v18
	v_cmp_ne_u32_e64 s1, 0x7f800000, v32
	s_delay_alu instid0(VALU_DEP_1) | instskip(NEXT) | instid1(SALU_CYCLE_1)
	s_and_saveexec_b32 s2, s1
	s_xor_b32 s1, exec_lo, s2
; %bb.113:                              ;   in Loop: Header=BB452_8 Depth=1
	v_bfe_u32 v32, v18, 16, 1
	s_delay_alu instid0(VALU_DEP_1)
	v_add3_u32 v144, v18, v32, 0x7fff
                                        ; implicit-def: $vgpr18
; %bb.114:                              ;   in Loop: Header=BB452_8 Depth=1
	s_and_not1_saveexec_b32 s2, s1
; %bb.115:                              ;   in Loop: Header=BB452_8 Depth=1
	v_and_b32_e32 v32, 0xffff, v18
	v_or_b32_e32 v33, 0x10000, v18
	s_delay_alu instid0(VALU_DEP_2) | instskip(NEXT) | instid1(VALU_DEP_1)
	v_cmp_eq_u32_e64 s1, 0, v32
	v_cndmask_b32_e64 v144, v33, v18, s1
; %bb.116:                              ;   in Loop: Header=BB452_8 Depth=1
	s_or_b32 exec_lo, exec_lo, s2
	v_lshrrev_b16 v32, 8, v30
	v_mov_b32_e32 v18, 0
	s_mov_b32 s2, exec_lo
	s_delay_alu instid0(VALU_DEP_2)
	v_cmpx_ne_u16_e32 0, v32
	s_cbranch_execz .LBB452_124
; %bb.117:                              ;   in Loop: Header=BB452_8 Depth=1
	v_bfrev_b32_e32 v18, 1
	s_mov_b32 s18, exec_lo
	v_cmpx_ne_u16_e32 0x80, v32
	s_cbranch_execz .LBB452_123
; %bb.118:                              ;   in Loop: Header=BB452_8 Depth=1
	v_and_b32_e32 v32, 0xffff, v32
	v_mov_b32_e32 v18, 0x7f800001
	s_mov_b32 s19, exec_lo
	s_delay_alu instid0(VALU_DEP_2) | instskip(NEXT) | instid1(VALU_DEP_1)
	v_and_b32_e32 v33, 0x7f, v32
	v_cmpx_ne_u32_e32 0x7f, v33
	s_cbranch_execz .LBB452_122
; %bb.119:                              ;   in Loop: Header=BB452_8 Depth=1
	v_and_b32_e32 v18, 7, v32
	v_lshrrev_b32_e32 v32, 3, v33
	s_mov_b32 s20, exec_lo
	v_cmpx_gt_u32_e32 8, v33
; %bb.120:                              ;   in Loop: Header=BB452_8 Depth=1
	s_delay_alu instid0(VALU_DEP_3) | instskip(NEXT) | instid1(VALU_DEP_1)
	v_clz_i32_u32_e32 v32, v18
	v_min_u32_e32 v32, 32, v32
	s_delay_alu instid0(VALU_DEP_1) | instskip(SKIP_1) | instid1(VALU_DEP_2)
	v_subrev_nc_u32_e32 v33, 28, v32
	v_sub_nc_u32_e32 v32, 29, v32
	v_lshlrev_b64 v[145:146], v33, v[18:19]
	s_delay_alu instid0(VALU_DEP_1)
	v_and_b32_e32 v18, 7, v145
; %bb.121:                              ;   in Loop: Header=BB452_8 Depth=1
	s_or_b32 exec_lo, exec_lo, s20
	v_lshlrev_b32_e32 v33, 16, v30
	s_delay_alu instid0(VALU_DEP_2) | instskip(SKIP_1) | instid1(VALU_DEP_3)
	v_lshlrev_b32_e32 v18, 20, v18
	v_lshl_add_u32 v32, v32, 23, 0x3c000000
	v_and_b32_e32 v33, 0x80000000, v33
	s_delay_alu instid0(VALU_DEP_1)
	v_or3_b32 v18, v18, v33, v32
.LBB452_122:                            ;   in Loop: Header=BB452_8 Depth=1
	s_or_b32 exec_lo, exec_lo, s19
.LBB452_123:                            ;   in Loop: Header=BB452_8 Depth=1
	s_delay_alu instid0(SALU_CYCLE_1)
	s_or_b32 exec_lo, exec_lo, s18
.LBB452_124:                            ;   in Loop: Header=BB452_8 Depth=1
	s_delay_alu instid0(SALU_CYCLE_1) | instskip(NEXT) | instid1(VALU_DEP_1)
	s_or_b32 exec_lo, exec_lo, s2
	v_mul_f32_e32 v18, v119, v18
                                        ; implicit-def: $vgpr145
	s_delay_alu instid0(VALU_DEP_1) | instskip(NEXT) | instid1(VALU_DEP_1)
	v_and_b32_e32 v32, 0x7f800000, v18
	v_cmp_ne_u32_e64 s1, 0x7f800000, v32
	s_delay_alu instid0(VALU_DEP_1) | instskip(NEXT) | instid1(SALU_CYCLE_1)
	s_and_saveexec_b32 s2, s1
	s_xor_b32 s1, exec_lo, s2
; %bb.125:                              ;   in Loop: Header=BB452_8 Depth=1
	v_bfe_u32 v32, v18, 16, 1
	s_delay_alu instid0(VALU_DEP_1)
	v_add3_u32 v145, v18, v32, 0x7fff
                                        ; implicit-def: $vgpr18
; %bb.126:                              ;   in Loop: Header=BB452_8 Depth=1
	s_and_not1_saveexec_b32 s2, s1
; %bb.127:                              ;   in Loop: Header=BB452_8 Depth=1
	v_and_b32_e32 v32, 0xffff, v18
	v_or_b32_e32 v33, 0x10000, v18
	s_delay_alu instid0(VALU_DEP_2) | instskip(NEXT) | instid1(VALU_DEP_1)
	v_cmp_eq_u32_e64 s1, 0, v32
	v_cndmask_b32_e64 v145, v33, v18, s1
; %bb.128:                              ;   in Loop: Header=BB452_8 Depth=1
	s_or_b32 exec_lo, exec_lo, s2
	v_lshrrev_b32_e32 v32, 16, v30
	s_mov_b32 s2, exec_lo
	s_delay_alu instid0(VALU_DEP_1) | instskip(NEXT) | instid1(VALU_DEP_1)
	v_dual_mov_b32 v18, 0 :: v_dual_and_b32 v33, 0xff, v32
	v_cmpx_ne_u16_e32 0, v33
	s_cbranch_execz .LBB452_136
; %bb.129:                              ;   in Loop: Header=BB452_8 Depth=1
	v_bfrev_b32_e32 v18, 1
	s_mov_b32 s18, exec_lo
	v_cmpx_ne_u16_e32 0x80, v33
	s_cbranch_execz .LBB452_135
; %bb.130:                              ;   in Loop: Header=BB452_8 Depth=1
	v_bfe_u32 v146, v30, 16, 7
	v_mov_b32_e32 v18, 0x7f800001
	s_mov_b32 s19, exec_lo
	s_delay_alu instid0(VALU_DEP_2)
	v_cmpx_ne_u32_e32 0x7f, v146
	s_cbranch_execz .LBB452_134
; %bb.131:                              ;   in Loop: Header=BB452_8 Depth=1
	v_and_b32_e32 v18, 7, v32
	v_lshrrev_b32_e32 v33, 3, v146
	s_mov_b32 s20, exec_lo
	v_cmpx_gt_u32_e32 8, v146
; %bb.132:                              ;   in Loop: Header=BB452_8 Depth=1
	s_delay_alu instid0(VALU_DEP_3) | instskip(NEXT) | instid1(VALU_DEP_1)
	v_clz_i32_u32_e32 v33, v18
	v_min_u32_e32 v33, 32, v33
	s_delay_alu instid0(VALU_DEP_1) | instskip(SKIP_1) | instid1(VALU_DEP_2)
	v_subrev_nc_u32_e32 v146, 28, v33
	v_sub_nc_u32_e32 v33, 29, v33
	v_lshlrev_b64 v[146:147], v146, v[18:19]
	s_delay_alu instid0(VALU_DEP_1)
	v_and_b32_e32 v18, 7, v146
; %bb.133:                              ;   in Loop: Header=BB452_8 Depth=1
	s_or_b32 exec_lo, exec_lo, s20
	v_lshlrev_b32_e32 v32, 24, v32
	s_delay_alu instid0(VALU_DEP_2) | instskip(SKIP_1) | instid1(VALU_DEP_3)
	v_lshlrev_b32_e32 v18, 20, v18
	v_lshl_add_u32 v33, v33, 23, 0x3c000000
	v_and_b32_e32 v32, 0x80000000, v32
	s_delay_alu instid0(VALU_DEP_1)
	v_or3_b32 v18, v18, v32, v33
.LBB452_134:                            ;   in Loop: Header=BB452_8 Depth=1
	s_or_b32 exec_lo, exec_lo, s19
.LBB452_135:                            ;   in Loop: Header=BB452_8 Depth=1
	s_delay_alu instid0(SALU_CYCLE_1)
	s_or_b32 exec_lo, exec_lo, s18
.LBB452_136:                            ;   in Loop: Header=BB452_8 Depth=1
	s_delay_alu instid0(SALU_CYCLE_1) | instskip(NEXT) | instid1(VALU_DEP_1)
	s_or_b32 exec_lo, exec_lo, s2
	v_mul_f32_e32 v18, v119, v18
                                        ; implicit-def: $vgpr146
	s_delay_alu instid0(VALU_DEP_1) | instskip(NEXT) | instid1(VALU_DEP_1)
	v_and_b32_e32 v32, 0x7f800000, v18
	v_cmp_ne_u32_e64 s1, 0x7f800000, v32
	s_delay_alu instid0(VALU_DEP_1) | instskip(NEXT) | instid1(SALU_CYCLE_1)
	s_and_saveexec_b32 s2, s1
	s_xor_b32 s1, exec_lo, s2
; %bb.137:                              ;   in Loop: Header=BB452_8 Depth=1
	v_bfe_u32 v32, v18, 16, 1
	s_delay_alu instid0(VALU_DEP_1)
	v_add3_u32 v146, v18, v32, 0x7fff
                                        ; implicit-def: $vgpr18
; %bb.138:                              ;   in Loop: Header=BB452_8 Depth=1
	s_and_not1_saveexec_b32 s2, s1
; %bb.139:                              ;   in Loop: Header=BB452_8 Depth=1
	v_and_b32_e32 v32, 0xffff, v18
	v_or_b32_e32 v33, 0x10000, v18
	s_delay_alu instid0(VALU_DEP_2) | instskip(NEXT) | instid1(VALU_DEP_1)
	v_cmp_eq_u32_e64 s1, 0, v32
	v_cndmask_b32_e64 v146, v33, v18, s1
; %bb.140:                              ;   in Loop: Header=BB452_8 Depth=1
	s_or_b32 exec_lo, exec_lo, s2
	v_mov_b32_e32 v18, 0
	s_mov_b32 s2, exec_lo
	v_cmpx_lt_u32_e32 0xffffff, v30
	s_cbranch_execz .LBB452_148
; %bb.141:                              ;   in Loop: Header=BB452_8 Depth=1
	v_lshrrev_b32_e32 v32, 24, v30
	v_bfrev_b32_e32 v18, 1
	s_mov_b32 s18, exec_lo
	s_delay_alu instid0(VALU_DEP_2)
	v_cmpx_ne_u32_e32 0x80, v32
	s_cbranch_execz .LBB452_147
; %bb.142:                              ;   in Loop: Header=BB452_8 Depth=1
	v_bfe_u32 v147, v30, 24, 7
	v_mov_b32_e32 v18, 0x7f800001
	s_mov_b32 s19, exec_lo
	s_delay_alu instid0(VALU_DEP_2)
	v_cmpx_ne_u32_e32 0x7f, v147
	s_cbranch_execz .LBB452_146
; %bb.143:                              ;   in Loop: Header=BB452_8 Depth=1
	v_and_b32_e32 v18, 7, v32
	v_lshrrev_b32_e32 v33, 3, v147
	s_mov_b32 s20, exec_lo
	v_cmpx_gt_u32_e32 8, v147
; %bb.144:                              ;   in Loop: Header=BB452_8 Depth=1
	s_delay_alu instid0(VALU_DEP_3) | instskip(NEXT) | instid1(VALU_DEP_1)
	v_clz_i32_u32_e32 v33, v18
	v_min_u32_e32 v33, 32, v33
	s_delay_alu instid0(VALU_DEP_1) | instskip(SKIP_1) | instid1(VALU_DEP_2)
	v_subrev_nc_u32_e32 v147, 28, v33
	v_sub_nc_u32_e32 v33, 29, v33
	v_lshlrev_b64 v[147:148], v147, v[18:19]
	s_delay_alu instid0(VALU_DEP_1)
	v_and_b32_e32 v18, 7, v147
; %bb.145:                              ;   in Loop: Header=BB452_8 Depth=1
	s_or_b32 exec_lo, exec_lo, s20
	v_lshlrev_b32_e32 v32, 24, v32
	s_delay_alu instid0(VALU_DEP_2) | instskip(SKIP_1) | instid1(VALU_DEP_3)
	v_lshlrev_b32_e32 v18, 20, v18
	v_lshl_add_u32 v33, v33, 23, 0x3c000000
	v_and_b32_e32 v32, 0x80000000, v32
	s_delay_alu instid0(VALU_DEP_1)
	v_or3_b32 v18, v18, v32, v33
.LBB452_146:                            ;   in Loop: Header=BB452_8 Depth=1
	s_or_b32 exec_lo, exec_lo, s19
.LBB452_147:                            ;   in Loop: Header=BB452_8 Depth=1
	s_delay_alu instid0(SALU_CYCLE_1)
	s_or_b32 exec_lo, exec_lo, s18
.LBB452_148:                            ;   in Loop: Header=BB452_8 Depth=1
	s_delay_alu instid0(SALU_CYCLE_1) | instskip(NEXT) | instid1(VALU_DEP_1)
	s_or_b32 exec_lo, exec_lo, s2
	v_mul_f32_e32 v18, v119, v18
                                        ; implicit-def: $vgpr147
	s_delay_alu instid0(VALU_DEP_1) | instskip(NEXT) | instid1(VALU_DEP_1)
	v_and_b32_e32 v32, 0x7f800000, v18
	v_cmp_ne_u32_e64 s1, 0x7f800000, v32
	s_delay_alu instid0(VALU_DEP_1) | instskip(NEXT) | instid1(SALU_CYCLE_1)
	s_and_saveexec_b32 s2, s1
	s_xor_b32 s1, exec_lo, s2
; %bb.149:                              ;   in Loop: Header=BB452_8 Depth=1
	v_bfe_u32 v32, v18, 16, 1
	s_delay_alu instid0(VALU_DEP_1)
	v_add3_u32 v147, v18, v32, 0x7fff
                                        ; implicit-def: $vgpr18
; %bb.150:                              ;   in Loop: Header=BB452_8 Depth=1
	s_and_not1_saveexec_b32 s2, s1
; %bb.151:                              ;   in Loop: Header=BB452_8 Depth=1
	v_and_b32_e32 v32, 0xffff, v18
	v_or_b32_e32 v33, 0x10000, v18
	s_delay_alu instid0(VALU_DEP_2) | instskip(NEXT) | instid1(VALU_DEP_1)
	v_cmp_eq_u32_e64 s1, 0, v32
	v_cndmask_b32_e64 v147, v33, v18, s1
; %bb.152:                              ;   in Loop: Header=BB452_8 Depth=1
	s_or_b32 exec_lo, exec_lo, s2
	v_dual_mov_b32 v18, v31 :: v_dual_and_b32 v33, 0xff, v31
	v_mov_b32_e32 v32, 0
	s_mov_b32 s2, exec_lo
	s_delay_alu instid0(VALU_DEP_2)
	v_cmpx_ne_u16_e32 0, v33
	s_cbranch_execz .LBB452_160
; %bb.153:                              ;   in Loop: Header=BB452_8 Depth=1
	v_bfrev_b32_e32 v32, 1
	s_mov_b32 s18, exec_lo
	v_cmpx_ne_u16_e32 0x80, v33
	s_cbranch_execz .LBB452_159
; %bb.154:                              ;   in Loop: Header=BB452_8 Depth=1
	v_and_b32_e32 v33, 0x7f, v31
	v_mov_b32_e32 v32, 0x7f800001
	s_mov_b32 s19, exec_lo
	s_delay_alu instid0(VALU_DEP_2)
	v_cmpx_ne_u32_e32 0x7f, v33
	s_cbranch_execz .LBB452_158
; %bb.155:                              ;   in Loop: Header=BB452_8 Depth=1
	v_lshrrev_b32_e32 v148, 3, v33
	v_cmp_gt_u32_e64 s1, 8, v33
	v_dual_mov_b32 v33, v19 :: v_dual_mov_b32 v32, v18
	s_delay_alu instid0(VALU_DEP_2)
	s_and_saveexec_b32 s20, s1
; %bb.156:                              ;   in Loop: Header=BB452_8 Depth=1
	v_and_b32_e32 v32, 7, v31
	s_delay_alu instid0(VALU_DEP_1) | instskip(NEXT) | instid1(VALU_DEP_1)
	v_clz_i32_u32_e32 v32, v32
	v_min_u32_e32 v148, 32, v32
	s_delay_alu instid0(VALU_DEP_1) | instskip(SKIP_1) | instid1(VALU_DEP_2)
	v_subrev_nc_u32_e32 v32, 28, v148
	v_sub_nc_u32_e32 v148, 29, v148
	v_lshlrev_b64 v[32:33], v32, v[18:19]
; %bb.157:                              ;   in Loop: Header=BB452_8 Depth=1
	s_or_b32 exec_lo, exec_lo, s20
	s_delay_alu instid0(VALU_DEP_1) | instskip(SKIP_2) | instid1(VALU_DEP_3)
	v_lshlrev_b32_e32 v32, 20, v32
	v_lshlrev_b32_e32 v33, 24, v18
	v_lshl_add_u32 v148, v148, 23, 0x3c000000
	v_and_b32_e32 v32, 0x700000, v32
	s_delay_alu instid0(VALU_DEP_3) | instskip(NEXT) | instid1(VALU_DEP_1)
	v_and_b32_e32 v33, 0x80000000, v33
	v_or3_b32 v32, v32, v33, v148
.LBB452_158:                            ;   in Loop: Header=BB452_8 Depth=1
	s_or_b32 exec_lo, exec_lo, s19
.LBB452_159:                            ;   in Loop: Header=BB452_8 Depth=1
	s_delay_alu instid0(SALU_CYCLE_1)
	s_or_b32 exec_lo, exec_lo, s18
.LBB452_160:                            ;   in Loop: Header=BB452_8 Depth=1
	s_delay_alu instid0(SALU_CYCLE_1) | instskip(NEXT) | instid1(VALU_DEP_1)
	s_or_b32 exec_lo, exec_lo, s2
	v_mul_f32_e32 v32, v119, v32
                                        ; implicit-def: $vgpr148
	s_delay_alu instid0(VALU_DEP_1) | instskip(NEXT) | instid1(VALU_DEP_1)
	v_and_b32_e32 v33, 0x7f800000, v32
	v_cmp_ne_u32_e64 s1, 0x7f800000, v33
	s_delay_alu instid0(VALU_DEP_1) | instskip(NEXT) | instid1(SALU_CYCLE_1)
	s_and_saveexec_b32 s2, s1
	s_xor_b32 s1, exec_lo, s2
; %bb.161:                              ;   in Loop: Header=BB452_8 Depth=1
	v_bfe_u32 v33, v32, 16, 1
	s_delay_alu instid0(VALU_DEP_1)
	v_add3_u32 v148, v32, v33, 0x7fff
                                        ; implicit-def: $vgpr32
; %bb.162:                              ;   in Loop: Header=BB452_8 Depth=1
	s_and_not1_saveexec_b32 s2, s1
; %bb.163:                              ;   in Loop: Header=BB452_8 Depth=1
	v_and_b32_e32 v33, 0xffff, v32
	v_or_b32_e32 v148, 0x10000, v32
	s_delay_alu instid0(VALU_DEP_2) | instskip(NEXT) | instid1(VALU_DEP_1)
	v_cmp_eq_u32_e64 s1, 0, v33
	v_cndmask_b32_e64 v148, v148, v32, s1
; %bb.164:                              ;   in Loop: Header=BB452_8 Depth=1
	s_or_b32 exec_lo, exec_lo, s2
	v_lshrrev_b16 v33, 8, v18
	v_mov_b32_e32 v32, 0
	s_mov_b32 s2, exec_lo
	s_delay_alu instid0(VALU_DEP_2)
	v_cmpx_ne_u16_e32 0, v33
	s_cbranch_execz .LBB452_172
; %bb.165:                              ;   in Loop: Header=BB452_8 Depth=1
	v_bfrev_b32_e32 v32, 1
	s_mov_b32 s18, exec_lo
	v_cmpx_ne_u16_e32 0x80, v33
	s_cbranch_execz .LBB452_171
; %bb.166:                              ;   in Loop: Header=BB452_8 Depth=1
	v_and_b32_e32 v33, 0xffff, v33
	v_mov_b32_e32 v32, 0x7f800001
	s_mov_b32 s19, exec_lo
	s_delay_alu instid0(VALU_DEP_2) | instskip(NEXT) | instid1(VALU_DEP_1)
	v_and_b32_e32 v150, 0x7f, v33
	v_cmpx_ne_u32_e32 0x7f, v150
	s_cbranch_execz .LBB452_170
; %bb.167:                              ;   in Loop: Header=BB452_8 Depth=1
	v_dual_mov_b32 v33, v19 :: v_dual_and_b32 v32, 7, v33
	v_lshrrev_b32_e32 v149, 3, v150
	s_mov_b32 s20, exec_lo
	v_cmpx_gt_u32_e32 8, v150
; %bb.168:                              ;   in Loop: Header=BB452_8 Depth=1
	s_delay_alu instid0(VALU_DEP_3) | instskip(NEXT) | instid1(VALU_DEP_1)
	v_clz_i32_u32_e32 v149, v32
	v_min_u32_e32 v149, 32, v149
	s_delay_alu instid0(VALU_DEP_1) | instskip(SKIP_1) | instid1(VALU_DEP_2)
	v_subrev_nc_u32_e32 v150, 28, v149
	v_sub_nc_u32_e32 v149, 29, v149
	v_lshlrev_b64 v[32:33], v150, v[32:33]
	s_delay_alu instid0(VALU_DEP_1)
	v_and_b32_e32 v32, 7, v32
; %bb.169:                              ;   in Loop: Header=BB452_8 Depth=1
	s_or_b32 exec_lo, exec_lo, s20
	v_lshlrev_b32_e32 v18, 16, v18
	s_delay_alu instid0(VALU_DEP_2) | instskip(SKIP_1) | instid1(VALU_DEP_3)
	v_lshlrev_b32_e32 v32, 20, v32
	v_lshl_add_u32 v33, v149, 23, 0x3c000000
	v_and_b32_e32 v18, 0x80000000, v18
	s_delay_alu instid0(VALU_DEP_1)
	v_or3_b32 v32, v32, v18, v33
.LBB452_170:                            ;   in Loop: Header=BB452_8 Depth=1
	s_or_b32 exec_lo, exec_lo, s19
.LBB452_171:                            ;   in Loop: Header=BB452_8 Depth=1
	s_delay_alu instid0(SALU_CYCLE_1)
	s_or_b32 exec_lo, exec_lo, s18
.LBB452_172:                            ;   in Loop: Header=BB452_8 Depth=1
	s_delay_alu instid0(SALU_CYCLE_1) | instskip(NEXT) | instid1(VALU_DEP_1)
	s_or_b32 exec_lo, exec_lo, s2
	v_mul_f32_e32 v18, v119, v32
                                        ; implicit-def: $vgpr149
	s_delay_alu instid0(VALU_DEP_1) | instskip(NEXT) | instid1(VALU_DEP_1)
	v_and_b32_e32 v32, 0x7f800000, v18
	v_cmp_ne_u32_e64 s1, 0x7f800000, v32
	s_delay_alu instid0(VALU_DEP_1) | instskip(NEXT) | instid1(SALU_CYCLE_1)
	s_and_saveexec_b32 s2, s1
	s_xor_b32 s1, exec_lo, s2
; %bb.173:                              ;   in Loop: Header=BB452_8 Depth=1
	v_bfe_u32 v32, v18, 16, 1
	s_delay_alu instid0(VALU_DEP_1)
	v_add3_u32 v149, v18, v32, 0x7fff
                                        ; implicit-def: $vgpr18
; %bb.174:                              ;   in Loop: Header=BB452_8 Depth=1
	s_and_not1_saveexec_b32 s2, s1
; %bb.175:                              ;   in Loop: Header=BB452_8 Depth=1
	v_and_b32_e32 v32, 0xffff, v18
	v_or_b32_e32 v33, 0x10000, v18
	s_delay_alu instid0(VALU_DEP_2) | instskip(NEXT) | instid1(VALU_DEP_1)
	v_cmp_eq_u32_e64 s1, 0, v32
	v_cndmask_b32_e64 v149, v33, v18, s1
; %bb.176:                              ;   in Loop: Header=BB452_8 Depth=1
	s_or_b32 exec_lo, exec_lo, s2
	v_lshrrev_b32_e32 v32, 16, v31
	s_mov_b32 s2, exec_lo
	s_delay_alu instid0(VALU_DEP_1) | instskip(NEXT) | instid1(VALU_DEP_1)
	v_dual_mov_b32 v18, 0 :: v_dual_and_b32 v33, 0xff, v32
	v_cmpx_ne_u16_e32 0, v33
	s_cbranch_execz .LBB452_184
; %bb.177:                              ;   in Loop: Header=BB452_8 Depth=1
	v_bfrev_b32_e32 v18, 1
	s_mov_b32 s18, exec_lo
	v_cmpx_ne_u16_e32 0x80, v33
	s_cbranch_execz .LBB452_183
; %bb.178:                              ;   in Loop: Header=BB452_8 Depth=1
	v_bfe_u32 v150, v31, 16, 7
	v_mov_b32_e32 v18, 0x7f800001
	s_mov_b32 s19, exec_lo
	s_delay_alu instid0(VALU_DEP_2)
	v_cmpx_ne_u32_e32 0x7f, v150
	s_cbranch_execz .LBB452_182
; %bb.179:                              ;   in Loop: Header=BB452_8 Depth=1
	v_and_b32_e32 v18, 7, v32
	v_lshrrev_b32_e32 v33, 3, v150
	s_mov_b32 s20, exec_lo
	v_cmpx_gt_u32_e32 8, v150
; %bb.180:                              ;   in Loop: Header=BB452_8 Depth=1
	s_delay_alu instid0(VALU_DEP_3) | instskip(NEXT) | instid1(VALU_DEP_1)
	v_clz_i32_u32_e32 v33, v18
	v_min_u32_e32 v33, 32, v33
	s_delay_alu instid0(VALU_DEP_1) | instskip(SKIP_1) | instid1(VALU_DEP_2)
	v_subrev_nc_u32_e32 v150, 28, v33
	v_sub_nc_u32_e32 v33, 29, v33
	v_lshlrev_b64 v[150:151], v150, v[18:19]
	s_delay_alu instid0(VALU_DEP_1)
	v_and_b32_e32 v18, 7, v150
; %bb.181:                              ;   in Loop: Header=BB452_8 Depth=1
	s_or_b32 exec_lo, exec_lo, s20
	v_lshlrev_b32_e32 v32, 24, v32
	s_delay_alu instid0(VALU_DEP_2) | instskip(SKIP_1) | instid1(VALU_DEP_3)
	v_lshlrev_b32_e32 v18, 20, v18
	v_lshl_add_u32 v33, v33, 23, 0x3c000000
	v_and_b32_e32 v32, 0x80000000, v32
	s_delay_alu instid0(VALU_DEP_1)
	v_or3_b32 v18, v18, v32, v33
.LBB452_182:                            ;   in Loop: Header=BB452_8 Depth=1
	s_or_b32 exec_lo, exec_lo, s19
.LBB452_183:                            ;   in Loop: Header=BB452_8 Depth=1
	s_delay_alu instid0(SALU_CYCLE_1)
	s_or_b32 exec_lo, exec_lo, s18
.LBB452_184:                            ;   in Loop: Header=BB452_8 Depth=1
	s_delay_alu instid0(SALU_CYCLE_1) | instskip(NEXT) | instid1(VALU_DEP_1)
	s_or_b32 exec_lo, exec_lo, s2
	v_mul_f32_e32 v18, v119, v18
                                        ; implicit-def: $vgpr150
	s_delay_alu instid0(VALU_DEP_1) | instskip(NEXT) | instid1(VALU_DEP_1)
	v_and_b32_e32 v32, 0x7f800000, v18
	v_cmp_ne_u32_e64 s1, 0x7f800000, v32
	s_delay_alu instid0(VALU_DEP_1) | instskip(NEXT) | instid1(SALU_CYCLE_1)
	s_and_saveexec_b32 s2, s1
	s_xor_b32 s1, exec_lo, s2
; %bb.185:                              ;   in Loop: Header=BB452_8 Depth=1
	v_bfe_u32 v32, v18, 16, 1
	s_delay_alu instid0(VALU_DEP_1)
	v_add3_u32 v150, v18, v32, 0x7fff
                                        ; implicit-def: $vgpr18
; %bb.186:                              ;   in Loop: Header=BB452_8 Depth=1
	s_and_not1_saveexec_b32 s2, s1
; %bb.187:                              ;   in Loop: Header=BB452_8 Depth=1
	v_and_b32_e32 v32, 0xffff, v18
	v_or_b32_e32 v33, 0x10000, v18
	s_delay_alu instid0(VALU_DEP_2) | instskip(NEXT) | instid1(VALU_DEP_1)
	v_cmp_eq_u32_e64 s1, 0, v32
	v_cndmask_b32_e64 v150, v33, v18, s1
; %bb.188:                              ;   in Loop: Header=BB452_8 Depth=1
	s_or_b32 exec_lo, exec_lo, s2
	v_mov_b32_e32 v18, 0
	s_mov_b32 s2, exec_lo
	v_cmpx_lt_u64_e64 s[8:9], v[30:31]
	s_cbranch_execz .LBB452_196
; %bb.189:                              ;   in Loop: Header=BB452_8 Depth=1
	v_lshrrev_b32_e32 v30, 24, v31
	v_bfrev_b32_e32 v18, 1
	s_mov_b32 s18, exec_lo
	s_delay_alu instid0(VALU_DEP_2)
	v_cmpx_ne_u32_e32 0x80, v30
	s_cbranch_execz .LBB452_195
; %bb.190:                              ;   in Loop: Header=BB452_8 Depth=1
	v_bfe_u32 v32, v31, 24, 7
	v_mov_b32_e32 v18, 0x7f800001
	s_mov_b32 s19, exec_lo
	s_delay_alu instid0(VALU_DEP_2)
	v_cmpx_ne_u32_e32 0x7f, v32
	s_cbranch_execz .LBB452_194
; %bb.191:                              ;   in Loop: Header=BB452_8 Depth=1
	v_and_b32_e32 v18, 7, v30
	v_lshrrev_b32_e32 v31, 3, v32
	s_mov_b32 s20, exec_lo
	v_cmpx_gt_u32_e32 8, v32
; %bb.192:                              ;   in Loop: Header=BB452_8 Depth=1
	s_delay_alu instid0(VALU_DEP_3) | instskip(NEXT) | instid1(VALU_DEP_1)
	v_clz_i32_u32_e32 v31, v18
	v_min_u32_e32 v31, 32, v31
	s_delay_alu instid0(VALU_DEP_1) | instskip(SKIP_1) | instid1(VALU_DEP_2)
	v_subrev_nc_u32_e32 v32, 28, v31
	v_sub_nc_u32_e32 v31, 29, v31
	v_lshlrev_b64 v[32:33], v32, v[18:19]
	s_delay_alu instid0(VALU_DEP_1)
	v_and_b32_e32 v18, 7, v32
; %bb.193:                              ;   in Loop: Header=BB452_8 Depth=1
	s_or_b32 exec_lo, exec_lo, s20
	v_lshlrev_b32_e32 v30, 24, v30
	s_delay_alu instid0(VALU_DEP_2) | instskip(SKIP_1) | instid1(VALU_DEP_3)
	v_lshlrev_b32_e32 v18, 20, v18
	v_lshl_add_u32 v31, v31, 23, 0x3c000000
	v_and_b32_e32 v30, 0x80000000, v30
	s_delay_alu instid0(VALU_DEP_1)
	v_or3_b32 v18, v18, v30, v31
.LBB452_194:                            ;   in Loop: Header=BB452_8 Depth=1
	s_or_b32 exec_lo, exec_lo, s19
.LBB452_195:                            ;   in Loop: Header=BB452_8 Depth=1
	s_delay_alu instid0(SALU_CYCLE_1)
	s_or_b32 exec_lo, exec_lo, s18
.LBB452_196:                            ;   in Loop: Header=BB452_8 Depth=1
	s_delay_alu instid0(SALU_CYCLE_1) | instskip(NEXT) | instid1(VALU_DEP_1)
	s_or_b32 exec_lo, exec_lo, s2
	v_mul_f32_e32 v18, v119, v18
                                        ; implicit-def: $vgpr151
	s_delay_alu instid0(VALU_DEP_1) | instskip(NEXT) | instid1(VALU_DEP_1)
	v_and_b32_e32 v30, 0x7f800000, v18
	v_cmp_ne_u32_e64 s1, 0x7f800000, v30
	s_delay_alu instid0(VALU_DEP_1) | instskip(NEXT) | instid1(SALU_CYCLE_1)
	s_and_saveexec_b32 s2, s1
	s_xor_b32 s1, exec_lo, s2
; %bb.197:                              ;   in Loop: Header=BB452_8 Depth=1
	v_bfe_u32 v30, v18, 16, 1
	s_delay_alu instid0(VALU_DEP_1)
	v_add3_u32 v151, v18, v30, 0x7fff
                                        ; implicit-def: $vgpr18
; %bb.198:                              ;   in Loop: Header=BB452_8 Depth=1
	s_and_not1_saveexec_b32 s2, s1
; %bb.199:                              ;   in Loop: Header=BB452_8 Depth=1
	v_and_b32_e32 v30, 0xffff, v18
	v_or_b32_e32 v31, 0x10000, v18
	s_delay_alu instid0(VALU_DEP_2) | instskip(NEXT) | instid1(VALU_DEP_1)
	v_cmp_eq_u32_e64 s1, 0, v30
	v_cndmask_b32_e64 v151, v31, v18, s1
; %bb.200:                              ;   in Loop: Header=BB452_8 Depth=1
	s_or_b32 exec_lo, exec_lo, s2
	flat_load_b64 v[30:31], v[28:29] offset:512
	v_mov_b32_e32 v18, 0
	s_mov_b32 s2, exec_lo
	s_waitcnt vmcnt(0) lgkmcnt(0)
	v_and_b32_e32 v32, 0xff, v30
	s_delay_alu instid0(VALU_DEP_1)
	v_cmpx_ne_u16_e32 0, v32
	s_cbranch_execz .LBB452_208
; %bb.201:                              ;   in Loop: Header=BB452_8 Depth=1
	v_bfrev_b32_e32 v18, 1
	s_mov_b32 s18, exec_lo
	v_cmpx_ne_u16_e32 0x80, v32
	s_cbranch_execz .LBB452_207
; %bb.202:                              ;   in Loop: Header=BB452_8 Depth=1
	v_and_b32_e32 v32, 0x7f, v30
	v_mov_b32_e32 v18, 0x7f800001
	s_mov_b32 s19, exec_lo
	s_delay_alu instid0(VALU_DEP_2)
	v_cmpx_ne_u32_e32 0x7f, v32
	s_cbranch_execz .LBB452_206
; %bb.203:                              ;   in Loop: Header=BB452_8 Depth=1
	v_lshrrev_b32_e32 v18, 3, v32
	v_cmp_gt_u32_e64 s1, 8, v32
	v_dual_mov_b32 v33, v31 :: v_dual_mov_b32 v32, v30
	s_delay_alu instid0(VALU_DEP_2)
	s_and_saveexec_b32 s20, s1
; %bb.204:                              ;   in Loop: Header=BB452_8 Depth=1
	v_and_b32_e32 v18, 7, v30
	s_delay_alu instid0(VALU_DEP_1) | instskip(NEXT) | instid1(VALU_DEP_1)
	v_clz_i32_u32_e32 v18, v18
	v_min_u32_e32 v18, 32, v18
	s_delay_alu instid0(VALU_DEP_1) | instskip(SKIP_1) | instid1(VALU_DEP_2)
	v_subrev_nc_u32_e32 v32, 28, v18
	v_sub_nc_u32_e32 v18, 29, v18
	v_lshlrev_b64 v[32:33], v32, v[30:31]
; %bb.205:                              ;   in Loop: Header=BB452_8 Depth=1
	s_or_b32 exec_lo, exec_lo, s20
	s_delay_alu instid0(VALU_DEP_1) | instskip(SKIP_2) | instid1(VALU_DEP_3)
	v_lshlrev_b32_e32 v32, 20, v32
	v_lshlrev_b32_e32 v33, 24, v30
	v_lshl_add_u32 v18, v18, 23, 0x3c000000
	v_and_b32_e32 v32, 0x700000, v32
	s_delay_alu instid0(VALU_DEP_3) | instskip(NEXT) | instid1(VALU_DEP_1)
	v_and_b32_e32 v33, 0x80000000, v33
	v_or3_b32 v18, v32, v33, v18
.LBB452_206:                            ;   in Loop: Header=BB452_8 Depth=1
	s_or_b32 exec_lo, exec_lo, s19
.LBB452_207:                            ;   in Loop: Header=BB452_8 Depth=1
	s_delay_alu instid0(SALU_CYCLE_1)
	s_or_b32 exec_lo, exec_lo, s18
.LBB452_208:                            ;   in Loop: Header=BB452_8 Depth=1
	s_delay_alu instid0(SALU_CYCLE_1) | instskip(NEXT) | instid1(VALU_DEP_1)
	s_or_b32 exec_lo, exec_lo, s2
	v_mul_f32_e32 v18, v119, v18
                                        ; implicit-def: $vgpr160
	s_delay_alu instid0(VALU_DEP_1) | instskip(NEXT) | instid1(VALU_DEP_1)
	v_and_b32_e32 v32, 0x7f800000, v18
	v_cmp_ne_u32_e64 s1, 0x7f800000, v32
	s_delay_alu instid0(VALU_DEP_1) | instskip(NEXT) | instid1(SALU_CYCLE_1)
	s_and_saveexec_b32 s2, s1
	s_xor_b32 s1, exec_lo, s2
; %bb.209:                              ;   in Loop: Header=BB452_8 Depth=1
	v_bfe_u32 v32, v18, 16, 1
	s_delay_alu instid0(VALU_DEP_1)
	v_add3_u32 v160, v18, v32, 0x7fff
                                        ; implicit-def: $vgpr18
; %bb.210:                              ;   in Loop: Header=BB452_8 Depth=1
	s_and_not1_saveexec_b32 s2, s1
; %bb.211:                              ;   in Loop: Header=BB452_8 Depth=1
	v_and_b32_e32 v32, 0xffff, v18
	v_or_b32_e32 v33, 0x10000, v18
	s_delay_alu instid0(VALU_DEP_2) | instskip(NEXT) | instid1(VALU_DEP_1)
	v_cmp_eq_u32_e64 s1, 0, v32
	v_cndmask_b32_e64 v160, v33, v18, s1
; %bb.212:                              ;   in Loop: Header=BB452_8 Depth=1
	s_or_b32 exec_lo, exec_lo, s2
	v_lshrrev_b16 v32, 8, v30
	v_mov_b32_e32 v18, 0
	s_mov_b32 s2, exec_lo
	s_delay_alu instid0(VALU_DEP_2)
	v_cmpx_ne_u16_e32 0, v32
	s_cbranch_execz .LBB452_220
; %bb.213:                              ;   in Loop: Header=BB452_8 Depth=1
	v_bfrev_b32_e32 v18, 1
	s_mov_b32 s18, exec_lo
	v_cmpx_ne_u16_e32 0x80, v32
	s_cbranch_execz .LBB452_219
; %bb.214:                              ;   in Loop: Header=BB452_8 Depth=1
	v_and_b32_e32 v32, 0xffff, v32
	v_mov_b32_e32 v18, 0x7f800001
	s_mov_b32 s19, exec_lo
	s_delay_alu instid0(VALU_DEP_2) | instskip(NEXT) | instid1(VALU_DEP_1)
	v_and_b32_e32 v33, 0x7f, v32
	v_cmpx_ne_u32_e32 0x7f, v33
	s_cbranch_execz .LBB452_218
; %bb.215:                              ;   in Loop: Header=BB452_8 Depth=1
	v_and_b32_e32 v18, 7, v32
	v_lshrrev_b32_e32 v32, 3, v33
	s_mov_b32 s20, exec_lo
	v_cmpx_gt_u32_e32 8, v33
; %bb.216:                              ;   in Loop: Header=BB452_8 Depth=1
	s_delay_alu instid0(VALU_DEP_3) | instskip(NEXT) | instid1(VALU_DEP_1)
	v_clz_i32_u32_e32 v32, v18
	v_min_u32_e32 v32, 32, v32
	s_delay_alu instid0(VALU_DEP_1) | instskip(SKIP_1) | instid1(VALU_DEP_2)
	v_subrev_nc_u32_e32 v33, 28, v32
	v_sub_nc_u32_e32 v32, 29, v32
	v_lshlrev_b64 v[161:162], v33, v[18:19]
	s_delay_alu instid0(VALU_DEP_1)
	v_and_b32_e32 v18, 7, v161
; %bb.217:                              ;   in Loop: Header=BB452_8 Depth=1
	s_or_b32 exec_lo, exec_lo, s20
	v_lshlrev_b32_e32 v33, 16, v30
	s_delay_alu instid0(VALU_DEP_2) | instskip(SKIP_1) | instid1(VALU_DEP_3)
	v_lshlrev_b32_e32 v18, 20, v18
	v_lshl_add_u32 v32, v32, 23, 0x3c000000
	v_and_b32_e32 v33, 0x80000000, v33
	s_delay_alu instid0(VALU_DEP_1)
	v_or3_b32 v18, v18, v33, v32
.LBB452_218:                            ;   in Loop: Header=BB452_8 Depth=1
	s_or_b32 exec_lo, exec_lo, s19
.LBB452_219:                            ;   in Loop: Header=BB452_8 Depth=1
	s_delay_alu instid0(SALU_CYCLE_1)
	s_or_b32 exec_lo, exec_lo, s18
.LBB452_220:                            ;   in Loop: Header=BB452_8 Depth=1
	s_delay_alu instid0(SALU_CYCLE_1) | instskip(NEXT) | instid1(VALU_DEP_1)
	s_or_b32 exec_lo, exec_lo, s2
	v_mul_f32_e32 v18, v119, v18
                                        ; implicit-def: $vgpr161
	s_delay_alu instid0(VALU_DEP_1) | instskip(NEXT) | instid1(VALU_DEP_1)
	v_and_b32_e32 v32, 0x7f800000, v18
	v_cmp_ne_u32_e64 s1, 0x7f800000, v32
	s_delay_alu instid0(VALU_DEP_1) | instskip(NEXT) | instid1(SALU_CYCLE_1)
	s_and_saveexec_b32 s2, s1
	s_xor_b32 s1, exec_lo, s2
; %bb.221:                              ;   in Loop: Header=BB452_8 Depth=1
	v_bfe_u32 v32, v18, 16, 1
	s_delay_alu instid0(VALU_DEP_1)
	v_add3_u32 v161, v18, v32, 0x7fff
                                        ; implicit-def: $vgpr18
; %bb.222:                              ;   in Loop: Header=BB452_8 Depth=1
	s_and_not1_saveexec_b32 s2, s1
; %bb.223:                              ;   in Loop: Header=BB452_8 Depth=1
	v_and_b32_e32 v32, 0xffff, v18
	v_or_b32_e32 v33, 0x10000, v18
	s_delay_alu instid0(VALU_DEP_2) | instskip(NEXT) | instid1(VALU_DEP_1)
	v_cmp_eq_u32_e64 s1, 0, v32
	v_cndmask_b32_e64 v161, v33, v18, s1
; %bb.224:                              ;   in Loop: Header=BB452_8 Depth=1
	s_or_b32 exec_lo, exec_lo, s2
	v_lshrrev_b32_e32 v32, 16, v30
	s_mov_b32 s2, exec_lo
	s_delay_alu instid0(VALU_DEP_1) | instskip(NEXT) | instid1(VALU_DEP_1)
	v_dual_mov_b32 v18, 0 :: v_dual_and_b32 v33, 0xff, v32
	v_cmpx_ne_u16_e32 0, v33
	s_cbranch_execz .LBB452_232
; %bb.225:                              ;   in Loop: Header=BB452_8 Depth=1
	v_bfrev_b32_e32 v18, 1
	s_mov_b32 s18, exec_lo
	v_cmpx_ne_u16_e32 0x80, v33
	s_cbranch_execz .LBB452_231
; %bb.226:                              ;   in Loop: Header=BB452_8 Depth=1
	v_bfe_u32 v162, v30, 16, 7
	v_mov_b32_e32 v18, 0x7f800001
	s_mov_b32 s19, exec_lo
	s_delay_alu instid0(VALU_DEP_2)
	v_cmpx_ne_u32_e32 0x7f, v162
	s_cbranch_execz .LBB452_230
; %bb.227:                              ;   in Loop: Header=BB452_8 Depth=1
	v_and_b32_e32 v18, 7, v32
	v_lshrrev_b32_e32 v33, 3, v162
	s_mov_b32 s20, exec_lo
	v_cmpx_gt_u32_e32 8, v162
; %bb.228:                              ;   in Loop: Header=BB452_8 Depth=1
	s_delay_alu instid0(VALU_DEP_3) | instskip(NEXT) | instid1(VALU_DEP_1)
	v_clz_i32_u32_e32 v33, v18
	v_min_u32_e32 v33, 32, v33
	s_delay_alu instid0(VALU_DEP_1) | instskip(SKIP_1) | instid1(VALU_DEP_2)
	v_subrev_nc_u32_e32 v162, 28, v33
	v_sub_nc_u32_e32 v33, 29, v33
	v_lshlrev_b64 v[162:163], v162, v[18:19]
	s_delay_alu instid0(VALU_DEP_1)
	v_and_b32_e32 v18, 7, v162
; %bb.229:                              ;   in Loop: Header=BB452_8 Depth=1
	s_or_b32 exec_lo, exec_lo, s20
	v_lshlrev_b32_e32 v32, 24, v32
	s_delay_alu instid0(VALU_DEP_2) | instskip(SKIP_1) | instid1(VALU_DEP_3)
	v_lshlrev_b32_e32 v18, 20, v18
	v_lshl_add_u32 v33, v33, 23, 0x3c000000
	v_and_b32_e32 v32, 0x80000000, v32
	s_delay_alu instid0(VALU_DEP_1)
	v_or3_b32 v18, v18, v32, v33
.LBB452_230:                            ;   in Loop: Header=BB452_8 Depth=1
	s_or_b32 exec_lo, exec_lo, s19
.LBB452_231:                            ;   in Loop: Header=BB452_8 Depth=1
	s_delay_alu instid0(SALU_CYCLE_1)
	s_or_b32 exec_lo, exec_lo, s18
.LBB452_232:                            ;   in Loop: Header=BB452_8 Depth=1
	s_delay_alu instid0(SALU_CYCLE_1) | instskip(NEXT) | instid1(VALU_DEP_1)
	s_or_b32 exec_lo, exec_lo, s2
	v_mul_f32_e32 v18, v119, v18
                                        ; implicit-def: $vgpr162
	s_delay_alu instid0(VALU_DEP_1) | instskip(NEXT) | instid1(VALU_DEP_1)
	v_and_b32_e32 v32, 0x7f800000, v18
	v_cmp_ne_u32_e64 s1, 0x7f800000, v32
	s_delay_alu instid0(VALU_DEP_1) | instskip(NEXT) | instid1(SALU_CYCLE_1)
	s_and_saveexec_b32 s2, s1
	s_xor_b32 s1, exec_lo, s2
; %bb.233:                              ;   in Loop: Header=BB452_8 Depth=1
	v_bfe_u32 v32, v18, 16, 1
	s_delay_alu instid0(VALU_DEP_1)
	v_add3_u32 v162, v18, v32, 0x7fff
                                        ; implicit-def: $vgpr18
; %bb.234:                              ;   in Loop: Header=BB452_8 Depth=1
	s_and_not1_saveexec_b32 s2, s1
; %bb.235:                              ;   in Loop: Header=BB452_8 Depth=1
	v_and_b32_e32 v32, 0xffff, v18
	v_or_b32_e32 v33, 0x10000, v18
	s_delay_alu instid0(VALU_DEP_2) | instskip(NEXT) | instid1(VALU_DEP_1)
	v_cmp_eq_u32_e64 s1, 0, v32
	v_cndmask_b32_e64 v162, v33, v18, s1
; %bb.236:                              ;   in Loop: Header=BB452_8 Depth=1
	s_or_b32 exec_lo, exec_lo, s2
	v_mov_b32_e32 v18, 0
	s_mov_b32 s2, exec_lo
	v_cmpx_lt_u32_e32 0xffffff, v30
	s_cbranch_execz .LBB452_244
; %bb.237:                              ;   in Loop: Header=BB452_8 Depth=1
	v_lshrrev_b32_e32 v32, 24, v30
	v_bfrev_b32_e32 v18, 1
	s_mov_b32 s18, exec_lo
	s_delay_alu instid0(VALU_DEP_2)
	v_cmpx_ne_u32_e32 0x80, v32
	s_cbranch_execz .LBB452_243
; %bb.238:                              ;   in Loop: Header=BB452_8 Depth=1
	v_bfe_u32 v163, v30, 24, 7
	v_mov_b32_e32 v18, 0x7f800001
	s_mov_b32 s19, exec_lo
	s_delay_alu instid0(VALU_DEP_2)
	v_cmpx_ne_u32_e32 0x7f, v163
	s_cbranch_execz .LBB452_242
; %bb.239:                              ;   in Loop: Header=BB452_8 Depth=1
	v_and_b32_e32 v18, 7, v32
	v_lshrrev_b32_e32 v33, 3, v163
	s_mov_b32 s20, exec_lo
	v_cmpx_gt_u32_e32 8, v163
; %bb.240:                              ;   in Loop: Header=BB452_8 Depth=1
	s_delay_alu instid0(VALU_DEP_3) | instskip(NEXT) | instid1(VALU_DEP_1)
	v_clz_i32_u32_e32 v33, v18
	v_min_u32_e32 v33, 32, v33
	s_delay_alu instid0(VALU_DEP_1) | instskip(SKIP_1) | instid1(VALU_DEP_2)
	v_subrev_nc_u32_e32 v163, 28, v33
	v_sub_nc_u32_e32 v33, 29, v33
	v_lshlrev_b64 v[163:164], v163, v[18:19]
	s_delay_alu instid0(VALU_DEP_1)
	v_and_b32_e32 v18, 7, v163
; %bb.241:                              ;   in Loop: Header=BB452_8 Depth=1
	s_or_b32 exec_lo, exec_lo, s20
	v_lshlrev_b32_e32 v32, 24, v32
	s_delay_alu instid0(VALU_DEP_2) | instskip(SKIP_1) | instid1(VALU_DEP_3)
	v_lshlrev_b32_e32 v18, 20, v18
	v_lshl_add_u32 v33, v33, 23, 0x3c000000
	v_and_b32_e32 v32, 0x80000000, v32
	s_delay_alu instid0(VALU_DEP_1)
	v_or3_b32 v18, v18, v32, v33
.LBB452_242:                            ;   in Loop: Header=BB452_8 Depth=1
	s_or_b32 exec_lo, exec_lo, s19
.LBB452_243:                            ;   in Loop: Header=BB452_8 Depth=1
	s_delay_alu instid0(SALU_CYCLE_1)
	s_or_b32 exec_lo, exec_lo, s18
.LBB452_244:                            ;   in Loop: Header=BB452_8 Depth=1
	s_delay_alu instid0(SALU_CYCLE_1) | instskip(NEXT) | instid1(VALU_DEP_1)
	s_or_b32 exec_lo, exec_lo, s2
	v_mul_f32_e32 v18, v119, v18
                                        ; implicit-def: $vgpr163
	s_delay_alu instid0(VALU_DEP_1) | instskip(NEXT) | instid1(VALU_DEP_1)
	v_and_b32_e32 v32, 0x7f800000, v18
	v_cmp_ne_u32_e64 s1, 0x7f800000, v32
	s_delay_alu instid0(VALU_DEP_1) | instskip(NEXT) | instid1(SALU_CYCLE_1)
	s_and_saveexec_b32 s2, s1
	s_xor_b32 s1, exec_lo, s2
; %bb.245:                              ;   in Loop: Header=BB452_8 Depth=1
	v_bfe_u32 v32, v18, 16, 1
	s_delay_alu instid0(VALU_DEP_1)
	v_add3_u32 v163, v18, v32, 0x7fff
                                        ; implicit-def: $vgpr18
; %bb.246:                              ;   in Loop: Header=BB452_8 Depth=1
	s_and_not1_saveexec_b32 s2, s1
; %bb.247:                              ;   in Loop: Header=BB452_8 Depth=1
	v_and_b32_e32 v32, 0xffff, v18
	v_or_b32_e32 v33, 0x10000, v18
	s_delay_alu instid0(VALU_DEP_2) | instskip(NEXT) | instid1(VALU_DEP_1)
	v_cmp_eq_u32_e64 s1, 0, v32
	v_cndmask_b32_e64 v163, v33, v18, s1
; %bb.248:                              ;   in Loop: Header=BB452_8 Depth=1
	s_or_b32 exec_lo, exec_lo, s2
	v_dual_mov_b32 v18, v31 :: v_dual_and_b32 v33, 0xff, v31
	v_mov_b32_e32 v32, 0
	s_mov_b32 s2, exec_lo
	s_delay_alu instid0(VALU_DEP_2)
	v_cmpx_ne_u16_e32 0, v33
	s_cbranch_execz .LBB452_256
; %bb.249:                              ;   in Loop: Header=BB452_8 Depth=1
	v_bfrev_b32_e32 v32, 1
	s_mov_b32 s18, exec_lo
	v_cmpx_ne_u16_e32 0x80, v33
	s_cbranch_execz .LBB452_255
; %bb.250:                              ;   in Loop: Header=BB452_8 Depth=1
	v_and_b32_e32 v33, 0x7f, v31
	v_mov_b32_e32 v32, 0x7f800001
	s_mov_b32 s19, exec_lo
	s_delay_alu instid0(VALU_DEP_2)
	v_cmpx_ne_u32_e32 0x7f, v33
	s_cbranch_execz .LBB452_254
; %bb.251:                              ;   in Loop: Header=BB452_8 Depth=1
	v_lshrrev_b32_e32 v164, 3, v33
	v_cmp_gt_u32_e64 s1, 8, v33
	v_dual_mov_b32 v33, v19 :: v_dual_mov_b32 v32, v18
	s_delay_alu instid0(VALU_DEP_2)
	s_and_saveexec_b32 s20, s1
; %bb.252:                              ;   in Loop: Header=BB452_8 Depth=1
	v_and_b32_e32 v32, 7, v31
	s_delay_alu instid0(VALU_DEP_1) | instskip(NEXT) | instid1(VALU_DEP_1)
	v_clz_i32_u32_e32 v32, v32
	v_min_u32_e32 v164, 32, v32
	s_delay_alu instid0(VALU_DEP_1) | instskip(SKIP_1) | instid1(VALU_DEP_2)
	v_subrev_nc_u32_e32 v32, 28, v164
	v_sub_nc_u32_e32 v164, 29, v164
	v_lshlrev_b64 v[32:33], v32, v[18:19]
; %bb.253:                              ;   in Loop: Header=BB452_8 Depth=1
	s_or_b32 exec_lo, exec_lo, s20
	s_delay_alu instid0(VALU_DEP_1) | instskip(SKIP_2) | instid1(VALU_DEP_3)
	v_lshlrev_b32_e32 v32, 20, v32
	v_lshlrev_b32_e32 v33, 24, v18
	v_lshl_add_u32 v164, v164, 23, 0x3c000000
	v_and_b32_e32 v32, 0x700000, v32
	s_delay_alu instid0(VALU_DEP_3) | instskip(NEXT) | instid1(VALU_DEP_1)
	v_and_b32_e32 v33, 0x80000000, v33
	v_or3_b32 v32, v32, v33, v164
.LBB452_254:                            ;   in Loop: Header=BB452_8 Depth=1
	s_or_b32 exec_lo, exec_lo, s19
.LBB452_255:                            ;   in Loop: Header=BB452_8 Depth=1
	s_delay_alu instid0(SALU_CYCLE_1)
	s_or_b32 exec_lo, exec_lo, s18
.LBB452_256:                            ;   in Loop: Header=BB452_8 Depth=1
	s_delay_alu instid0(SALU_CYCLE_1) | instskip(NEXT) | instid1(VALU_DEP_1)
	s_or_b32 exec_lo, exec_lo, s2
	v_mul_f32_e32 v32, v119, v32
                                        ; implicit-def: $vgpr164
	s_delay_alu instid0(VALU_DEP_1) | instskip(NEXT) | instid1(VALU_DEP_1)
	v_and_b32_e32 v33, 0x7f800000, v32
	v_cmp_ne_u32_e64 s1, 0x7f800000, v33
	s_delay_alu instid0(VALU_DEP_1) | instskip(NEXT) | instid1(SALU_CYCLE_1)
	s_and_saveexec_b32 s2, s1
	s_xor_b32 s1, exec_lo, s2
; %bb.257:                              ;   in Loop: Header=BB452_8 Depth=1
	v_bfe_u32 v33, v32, 16, 1
	s_delay_alu instid0(VALU_DEP_1)
	v_add3_u32 v164, v32, v33, 0x7fff
                                        ; implicit-def: $vgpr32
; %bb.258:                              ;   in Loop: Header=BB452_8 Depth=1
	s_and_not1_saveexec_b32 s2, s1
; %bb.259:                              ;   in Loop: Header=BB452_8 Depth=1
	v_and_b32_e32 v33, 0xffff, v32
	v_or_b32_e32 v164, 0x10000, v32
	s_delay_alu instid0(VALU_DEP_2) | instskip(NEXT) | instid1(VALU_DEP_1)
	v_cmp_eq_u32_e64 s1, 0, v33
	v_cndmask_b32_e64 v164, v164, v32, s1
; %bb.260:                              ;   in Loop: Header=BB452_8 Depth=1
	s_or_b32 exec_lo, exec_lo, s2
	v_lshrrev_b16 v33, 8, v18
	v_mov_b32_e32 v32, 0
	s_mov_b32 s2, exec_lo
	s_delay_alu instid0(VALU_DEP_2)
	v_cmpx_ne_u16_e32 0, v33
	s_cbranch_execz .LBB452_268
; %bb.261:                              ;   in Loop: Header=BB452_8 Depth=1
	v_bfrev_b32_e32 v32, 1
	s_mov_b32 s18, exec_lo
	v_cmpx_ne_u16_e32 0x80, v33
	s_cbranch_execz .LBB452_267
; %bb.262:                              ;   in Loop: Header=BB452_8 Depth=1
	v_and_b32_e32 v33, 0xffff, v33
	v_mov_b32_e32 v32, 0x7f800001
	s_mov_b32 s19, exec_lo
	s_delay_alu instid0(VALU_DEP_2) | instskip(NEXT) | instid1(VALU_DEP_1)
	v_and_b32_e32 v166, 0x7f, v33
	v_cmpx_ne_u32_e32 0x7f, v166
	s_cbranch_execz .LBB452_266
; %bb.263:                              ;   in Loop: Header=BB452_8 Depth=1
	v_dual_mov_b32 v33, v19 :: v_dual_and_b32 v32, 7, v33
	v_lshrrev_b32_e32 v165, 3, v166
	s_mov_b32 s20, exec_lo
	v_cmpx_gt_u32_e32 8, v166
; %bb.264:                              ;   in Loop: Header=BB452_8 Depth=1
	s_delay_alu instid0(VALU_DEP_3) | instskip(NEXT) | instid1(VALU_DEP_1)
	v_clz_i32_u32_e32 v165, v32
	v_min_u32_e32 v165, 32, v165
	s_delay_alu instid0(VALU_DEP_1) | instskip(SKIP_1) | instid1(VALU_DEP_2)
	v_subrev_nc_u32_e32 v166, 28, v165
	v_sub_nc_u32_e32 v165, 29, v165
	v_lshlrev_b64 v[32:33], v166, v[32:33]
	s_delay_alu instid0(VALU_DEP_1)
	v_and_b32_e32 v32, 7, v32
; %bb.265:                              ;   in Loop: Header=BB452_8 Depth=1
	s_or_b32 exec_lo, exec_lo, s20
	v_lshlrev_b32_e32 v18, 16, v18
	s_delay_alu instid0(VALU_DEP_2) | instskip(SKIP_1) | instid1(VALU_DEP_3)
	v_lshlrev_b32_e32 v32, 20, v32
	v_lshl_add_u32 v33, v165, 23, 0x3c000000
	v_and_b32_e32 v18, 0x80000000, v18
	s_delay_alu instid0(VALU_DEP_1)
	v_or3_b32 v32, v32, v18, v33
.LBB452_266:                            ;   in Loop: Header=BB452_8 Depth=1
	s_or_b32 exec_lo, exec_lo, s19
.LBB452_267:                            ;   in Loop: Header=BB452_8 Depth=1
	s_delay_alu instid0(SALU_CYCLE_1)
	s_or_b32 exec_lo, exec_lo, s18
.LBB452_268:                            ;   in Loop: Header=BB452_8 Depth=1
	s_delay_alu instid0(SALU_CYCLE_1) | instskip(NEXT) | instid1(VALU_DEP_1)
	s_or_b32 exec_lo, exec_lo, s2
	v_mul_f32_e32 v18, v119, v32
	s_delay_alu instid0(VALU_DEP_1) | instskip(NEXT) | instid1(VALU_DEP_1)
	v_and_b32_e32 v32, 0x7f800000, v18
	v_cmp_ne_u32_e64 s1, 0x7f800000, v32
                                        ; implicit-def: $vgpr32
	s_delay_alu instid0(VALU_DEP_1) | instskip(NEXT) | instid1(SALU_CYCLE_1)
	s_and_saveexec_b32 s2, s1
	s_xor_b32 s1, exec_lo, s2
; %bb.269:                              ;   in Loop: Header=BB452_8 Depth=1
	v_bfe_u32 v32, v18, 16, 1
	s_delay_alu instid0(VALU_DEP_1)
	v_add3_u32 v32, v18, v32, 0x7fff
                                        ; implicit-def: $vgpr18
; %bb.270:                              ;   in Loop: Header=BB452_8 Depth=1
	s_and_not1_saveexec_b32 s2, s1
; %bb.271:                              ;   in Loop: Header=BB452_8 Depth=1
	v_and_b32_e32 v32, 0xffff, v18
	v_or_b32_e32 v33, 0x10000, v18
	s_delay_alu instid0(VALU_DEP_2) | instskip(NEXT) | instid1(VALU_DEP_1)
	v_cmp_eq_u32_e64 s1, 0, v32
	v_cndmask_b32_e64 v32, v33, v18, s1
; %bb.272:                              ;   in Loop: Header=BB452_8 Depth=1
	s_or_b32 exec_lo, exec_lo, s2
	v_lshrrev_b32_e32 v33, 16, v31
	s_mov_b32 s2, exec_lo
	s_delay_alu instid0(VALU_DEP_1) | instskip(NEXT) | instid1(VALU_DEP_1)
	v_dual_mov_b32 v18, 0 :: v_dual_and_b32 v165, 0xff, v33
	v_cmpx_ne_u16_e64 0, v165
	s_cbranch_execz .LBB452_280
; %bb.273:                              ;   in Loop: Header=BB452_8 Depth=1
	v_bfrev_b32_e32 v18, 1
	s_mov_b32 s18, exec_lo
	v_cmpx_ne_u16_e64 0x80, v165
	s_cbranch_execz .LBB452_279
; %bb.274:                              ;   in Loop: Header=BB452_8 Depth=1
	v_bfe_u32 v166, v31, 16, 7
	v_mov_b32_e32 v18, 0x7f800001
	s_mov_b32 s19, exec_lo
	s_delay_alu instid0(VALU_DEP_2)
	v_cmpx_ne_u32_e32 0x7f, v166
	s_cbranch_execz .LBB452_278
; %bb.275:                              ;   in Loop: Header=BB452_8 Depth=1
	v_and_b32_e32 v18, 7, v33
	v_lshrrev_b32_e32 v165, 3, v166
	s_mov_b32 s20, exec_lo
	v_cmpx_gt_u32_e32 8, v166
; %bb.276:                              ;   in Loop: Header=BB452_8 Depth=1
	s_delay_alu instid0(VALU_DEP_3) | instskip(NEXT) | instid1(VALU_DEP_1)
	v_clz_i32_u32_e32 v165, v18
	v_min_u32_e32 v165, 32, v165
	s_delay_alu instid0(VALU_DEP_1) | instskip(SKIP_1) | instid1(VALU_DEP_2)
	v_subrev_nc_u32_e32 v166, 28, v165
	v_sub_nc_u32_e32 v165, 29, v165
	v_lshlrev_b64 v[166:167], v166, v[18:19]
	s_delay_alu instid0(VALU_DEP_1)
	v_and_b32_e32 v18, 7, v166
; %bb.277:                              ;   in Loop: Header=BB452_8 Depth=1
	s_or_b32 exec_lo, exec_lo, s20
	v_lshlrev_b32_e32 v33, 24, v33
	s_delay_alu instid0(VALU_DEP_2) | instskip(SKIP_1) | instid1(VALU_DEP_3)
	v_lshlrev_b32_e32 v18, 20, v18
	v_lshl_add_u32 v165, v165, 23, 0x3c000000
	v_and_b32_e32 v33, 0x80000000, v33
	s_delay_alu instid0(VALU_DEP_1)
	v_or3_b32 v18, v18, v33, v165
.LBB452_278:                            ;   in Loop: Header=BB452_8 Depth=1
	s_or_b32 exec_lo, exec_lo, s19
.LBB452_279:                            ;   in Loop: Header=BB452_8 Depth=1
	s_delay_alu instid0(SALU_CYCLE_1)
	s_or_b32 exec_lo, exec_lo, s18
.LBB452_280:                            ;   in Loop: Header=BB452_8 Depth=1
	s_delay_alu instid0(SALU_CYCLE_1) | instskip(NEXT) | instid1(VALU_DEP_1)
	s_or_b32 exec_lo, exec_lo, s2
	v_mul_f32_e32 v18, v119, v18
	s_delay_alu instid0(VALU_DEP_1) | instskip(NEXT) | instid1(VALU_DEP_1)
	v_and_b32_e32 v33, 0x7f800000, v18
	v_cmp_ne_u32_e64 s1, 0x7f800000, v33
                                        ; implicit-def: $vgpr33
	s_delay_alu instid0(VALU_DEP_1) | instskip(NEXT) | instid1(SALU_CYCLE_1)
	s_and_saveexec_b32 s2, s1
	s_xor_b32 s1, exec_lo, s2
; %bb.281:                              ;   in Loop: Header=BB452_8 Depth=1
	v_bfe_u32 v33, v18, 16, 1
	s_delay_alu instid0(VALU_DEP_1)
	v_add3_u32 v33, v18, v33, 0x7fff
                                        ; implicit-def: $vgpr18
; %bb.282:                              ;   in Loop: Header=BB452_8 Depth=1
	s_and_not1_saveexec_b32 s2, s1
; %bb.283:                              ;   in Loop: Header=BB452_8 Depth=1
	v_and_b32_e32 v33, 0xffff, v18
	v_or_b32_e32 v165, 0x10000, v18
	s_delay_alu instid0(VALU_DEP_2) | instskip(NEXT) | instid1(VALU_DEP_1)
	v_cmp_eq_u32_e64 s1, 0, v33
	v_cndmask_b32_e64 v33, v165, v18, s1
; %bb.284:                              ;   in Loop: Header=BB452_8 Depth=1
	s_or_b32 exec_lo, exec_lo, s2
	v_mov_b32_e32 v18, 0
	s_mov_b32 s2, exec_lo
	v_cmpx_lt_u64_e64 s[8:9], v[30:31]
	s_cbranch_execz .LBB452_292
; %bb.285:                              ;   in Loop: Header=BB452_8 Depth=1
	v_lshrrev_b32_e32 v30, 24, v31
	v_bfrev_b32_e32 v18, 1
	s_mov_b32 s18, exec_lo
	s_delay_alu instid0(VALU_DEP_2)
	v_cmpx_ne_u32_e32 0x80, v30
	s_cbranch_execz .LBB452_291
; %bb.286:                              ;   in Loop: Header=BB452_8 Depth=1
	v_bfe_u32 v165, v31, 24, 7
	v_mov_b32_e32 v18, 0x7f800001
	s_mov_b32 s19, exec_lo
	s_delay_alu instid0(VALU_DEP_2)
	v_cmpx_ne_u32_e32 0x7f, v165
	s_cbranch_execz .LBB452_290
; %bb.287:                              ;   in Loop: Header=BB452_8 Depth=1
	v_and_b32_e32 v18, 7, v30
	v_lshrrev_b32_e32 v31, 3, v165
	s_mov_b32 s20, exec_lo
	v_cmpx_gt_u32_e32 8, v165
; %bb.288:                              ;   in Loop: Header=BB452_8 Depth=1
	s_delay_alu instid0(VALU_DEP_3) | instskip(NEXT) | instid1(VALU_DEP_1)
	v_clz_i32_u32_e32 v31, v18
	v_min_u32_e32 v31, 32, v31
	s_delay_alu instid0(VALU_DEP_1) | instskip(SKIP_1) | instid1(VALU_DEP_2)
	v_subrev_nc_u32_e32 v165, 28, v31
	v_sub_nc_u32_e32 v31, 29, v31
	v_lshlrev_b64 v[165:166], v165, v[18:19]
	s_delay_alu instid0(VALU_DEP_1)
	v_and_b32_e32 v18, 7, v165
; %bb.289:                              ;   in Loop: Header=BB452_8 Depth=1
	s_or_b32 exec_lo, exec_lo, s20
	v_lshlrev_b32_e32 v30, 24, v30
	s_delay_alu instid0(VALU_DEP_2) | instskip(SKIP_1) | instid1(VALU_DEP_3)
	v_lshlrev_b32_e32 v18, 20, v18
	v_lshl_add_u32 v31, v31, 23, 0x3c000000
	v_and_b32_e32 v30, 0x80000000, v30
	s_delay_alu instid0(VALU_DEP_1)
	v_or3_b32 v18, v18, v30, v31
.LBB452_290:                            ;   in Loop: Header=BB452_8 Depth=1
	s_or_b32 exec_lo, exec_lo, s19
.LBB452_291:                            ;   in Loop: Header=BB452_8 Depth=1
	s_delay_alu instid0(SALU_CYCLE_1)
	s_or_b32 exec_lo, exec_lo, s18
.LBB452_292:                            ;   in Loop: Header=BB452_8 Depth=1
	s_delay_alu instid0(SALU_CYCLE_1) | instskip(NEXT) | instid1(VALU_DEP_1)
	s_or_b32 exec_lo, exec_lo, s2
	v_mul_f32_e32 v18, v119, v18
                                        ; implicit-def: $vgpr165
	s_delay_alu instid0(VALU_DEP_1) | instskip(NEXT) | instid1(VALU_DEP_1)
	v_and_b32_e32 v30, 0x7f800000, v18
	v_cmp_ne_u32_e64 s1, 0x7f800000, v30
	s_delay_alu instid0(VALU_DEP_1) | instskip(NEXT) | instid1(SALU_CYCLE_1)
	s_and_saveexec_b32 s2, s1
	s_xor_b32 s1, exec_lo, s2
; %bb.293:                              ;   in Loop: Header=BB452_8 Depth=1
	v_bfe_u32 v30, v18, 16, 1
	s_delay_alu instid0(VALU_DEP_1)
	v_add3_u32 v165, v18, v30, 0x7fff
                                        ; implicit-def: $vgpr18
; %bb.294:                              ;   in Loop: Header=BB452_8 Depth=1
	s_and_not1_saveexec_b32 s2, s1
; %bb.295:                              ;   in Loop: Header=BB452_8 Depth=1
	v_and_b32_e32 v30, 0xffff, v18
	v_or_b32_e32 v31, 0x10000, v18
	s_delay_alu instid0(VALU_DEP_2) | instskip(NEXT) | instid1(VALU_DEP_1)
	v_cmp_eq_u32_e64 s1, 0, v30
	v_cndmask_b32_e64 v165, v31, v18, s1
; %bb.296:                              ;   in Loop: Header=BB452_8 Depth=1
	s_or_b32 exec_lo, exec_lo, s2
	flat_load_b64 v[28:29], v[28:29] offset:520
	v_mov_b32_e32 v18, 0
	s_mov_b32 s2, exec_lo
	s_waitcnt vmcnt(0) lgkmcnt(0)
	v_and_b32_e32 v30, 0xff, v28
	s_delay_alu instid0(VALU_DEP_1)
	v_cmpx_ne_u16_e32 0, v30
	s_cbranch_execz .LBB452_304
; %bb.297:                              ;   in Loop: Header=BB452_8 Depth=1
	v_bfrev_b32_e32 v18, 1
	s_mov_b32 s18, exec_lo
	v_cmpx_ne_u16_e32 0x80, v30
	s_cbranch_execz .LBB452_303
; %bb.298:                              ;   in Loop: Header=BB452_8 Depth=1
	v_and_b32_e32 v30, 0x7f, v28
	v_mov_b32_e32 v18, 0x7f800001
	s_mov_b32 s19, exec_lo
	s_delay_alu instid0(VALU_DEP_2)
	v_cmpx_ne_u32_e32 0x7f, v30
	s_cbranch_execz .LBB452_302
; %bb.299:                              ;   in Loop: Header=BB452_8 Depth=1
	v_lshrrev_b32_e32 v18, 3, v30
	v_cmp_gt_u32_e64 s1, 8, v30
	v_dual_mov_b32 v31, v29 :: v_dual_mov_b32 v30, v28
	s_delay_alu instid0(VALU_DEP_2)
	s_and_saveexec_b32 s20, s1
; %bb.300:                              ;   in Loop: Header=BB452_8 Depth=1
	v_and_b32_e32 v18, 7, v28
	s_delay_alu instid0(VALU_DEP_1) | instskip(NEXT) | instid1(VALU_DEP_1)
	v_clz_i32_u32_e32 v18, v18
	v_min_u32_e32 v18, 32, v18
	s_delay_alu instid0(VALU_DEP_1) | instskip(SKIP_1) | instid1(VALU_DEP_2)
	v_subrev_nc_u32_e32 v30, 28, v18
	v_sub_nc_u32_e32 v18, 29, v18
	v_lshlrev_b64 v[30:31], v30, v[28:29]
; %bb.301:                              ;   in Loop: Header=BB452_8 Depth=1
	s_or_b32 exec_lo, exec_lo, s20
	s_delay_alu instid0(VALU_DEP_1) | instskip(SKIP_2) | instid1(VALU_DEP_3)
	v_lshlrev_b32_e32 v30, 20, v30
	v_lshlrev_b32_e32 v31, 24, v28
	v_lshl_add_u32 v18, v18, 23, 0x3c000000
	v_and_b32_e32 v30, 0x700000, v30
	s_delay_alu instid0(VALU_DEP_3) | instskip(NEXT) | instid1(VALU_DEP_1)
	v_and_b32_e32 v31, 0x80000000, v31
	v_or3_b32 v18, v30, v31, v18
.LBB452_302:                            ;   in Loop: Header=BB452_8 Depth=1
	s_or_b32 exec_lo, exec_lo, s19
.LBB452_303:                            ;   in Loop: Header=BB452_8 Depth=1
	s_delay_alu instid0(SALU_CYCLE_1)
	s_or_b32 exec_lo, exec_lo, s18
.LBB452_304:                            ;   in Loop: Header=BB452_8 Depth=1
	s_delay_alu instid0(SALU_CYCLE_1) | instskip(NEXT) | instid1(VALU_DEP_1)
	s_or_b32 exec_lo, exec_lo, s2
	v_mul_f32_e32 v18, v119, v18
                                        ; implicit-def: $vgpr166
	s_delay_alu instid0(VALU_DEP_1) | instskip(NEXT) | instid1(VALU_DEP_1)
	v_and_b32_e32 v30, 0x7f800000, v18
	v_cmp_ne_u32_e64 s1, 0x7f800000, v30
	s_delay_alu instid0(VALU_DEP_1) | instskip(NEXT) | instid1(SALU_CYCLE_1)
	s_and_saveexec_b32 s2, s1
	s_xor_b32 s1, exec_lo, s2
; %bb.305:                              ;   in Loop: Header=BB452_8 Depth=1
	v_bfe_u32 v30, v18, 16, 1
	s_delay_alu instid0(VALU_DEP_1)
	v_add3_u32 v166, v18, v30, 0x7fff
                                        ; implicit-def: $vgpr18
; %bb.306:                              ;   in Loop: Header=BB452_8 Depth=1
	s_and_not1_saveexec_b32 s2, s1
; %bb.307:                              ;   in Loop: Header=BB452_8 Depth=1
	v_and_b32_e32 v30, 0xffff, v18
	v_or_b32_e32 v31, 0x10000, v18
	s_delay_alu instid0(VALU_DEP_2) | instskip(NEXT) | instid1(VALU_DEP_1)
	v_cmp_eq_u32_e64 s1, 0, v30
	v_cndmask_b32_e64 v166, v31, v18, s1
; %bb.308:                              ;   in Loop: Header=BB452_8 Depth=1
	s_or_b32 exec_lo, exec_lo, s2
	v_lshrrev_b16 v30, 8, v28
	v_mov_b32_e32 v18, 0
	s_mov_b32 s2, exec_lo
	s_delay_alu instid0(VALU_DEP_2)
	v_cmpx_ne_u16_e32 0, v30
	s_cbranch_execz .LBB452_316
; %bb.309:                              ;   in Loop: Header=BB452_8 Depth=1
	v_bfrev_b32_e32 v18, 1
	s_mov_b32 s18, exec_lo
	v_cmpx_ne_u16_e32 0x80, v30
	s_cbranch_execz .LBB452_315
; %bb.310:                              ;   in Loop: Header=BB452_8 Depth=1
	v_and_b32_e32 v30, 0xffff, v30
	v_mov_b32_e32 v18, 0x7f800001
	s_mov_b32 s19, exec_lo
	s_delay_alu instid0(VALU_DEP_2) | instskip(NEXT) | instid1(VALU_DEP_1)
	v_and_b32_e32 v31, 0x7f, v30
	v_cmpx_ne_u32_e32 0x7f, v31
	s_cbranch_execz .LBB452_314
; %bb.311:                              ;   in Loop: Header=BB452_8 Depth=1
	v_and_b32_e32 v18, 7, v30
	v_lshrrev_b32_e32 v30, 3, v31
	s_mov_b32 s20, exec_lo
	v_cmpx_gt_u32_e32 8, v31
; %bb.312:                              ;   in Loop: Header=BB452_8 Depth=1
	s_delay_alu instid0(VALU_DEP_3) | instskip(NEXT) | instid1(VALU_DEP_1)
	v_clz_i32_u32_e32 v30, v18
	v_min_u32_e32 v30, 32, v30
	s_delay_alu instid0(VALU_DEP_1) | instskip(SKIP_1) | instid1(VALU_DEP_2)
	v_subrev_nc_u32_e32 v31, 28, v30
	v_sub_nc_u32_e32 v30, 29, v30
	v_lshlrev_b64 v[176:177], v31, v[18:19]
	s_delay_alu instid0(VALU_DEP_1)
	v_and_b32_e32 v18, 7, v176
; %bb.313:                              ;   in Loop: Header=BB452_8 Depth=1
	s_or_b32 exec_lo, exec_lo, s20
	v_lshlrev_b32_e32 v31, 16, v28
	s_delay_alu instid0(VALU_DEP_2) | instskip(SKIP_1) | instid1(VALU_DEP_3)
	v_lshlrev_b32_e32 v18, 20, v18
	v_lshl_add_u32 v30, v30, 23, 0x3c000000
	v_and_b32_e32 v31, 0x80000000, v31
	s_delay_alu instid0(VALU_DEP_1)
	v_or3_b32 v18, v18, v31, v30
.LBB452_314:                            ;   in Loop: Header=BB452_8 Depth=1
	s_or_b32 exec_lo, exec_lo, s19
.LBB452_315:                            ;   in Loop: Header=BB452_8 Depth=1
	s_delay_alu instid0(SALU_CYCLE_1)
	s_or_b32 exec_lo, exec_lo, s18
.LBB452_316:                            ;   in Loop: Header=BB452_8 Depth=1
	s_delay_alu instid0(SALU_CYCLE_1) | instskip(NEXT) | instid1(VALU_DEP_1)
	s_or_b32 exec_lo, exec_lo, s2
	v_mul_f32_e32 v18, v119, v18
                                        ; implicit-def: $vgpr167
	s_delay_alu instid0(VALU_DEP_1) | instskip(NEXT) | instid1(VALU_DEP_1)
	v_and_b32_e32 v30, 0x7f800000, v18
	v_cmp_ne_u32_e64 s1, 0x7f800000, v30
	s_delay_alu instid0(VALU_DEP_1) | instskip(NEXT) | instid1(SALU_CYCLE_1)
	s_and_saveexec_b32 s2, s1
	s_xor_b32 s1, exec_lo, s2
; %bb.317:                              ;   in Loop: Header=BB452_8 Depth=1
	v_bfe_u32 v30, v18, 16, 1
	s_delay_alu instid0(VALU_DEP_1)
	v_add3_u32 v167, v18, v30, 0x7fff
                                        ; implicit-def: $vgpr18
; %bb.318:                              ;   in Loop: Header=BB452_8 Depth=1
	s_and_not1_saveexec_b32 s2, s1
; %bb.319:                              ;   in Loop: Header=BB452_8 Depth=1
	v_and_b32_e32 v30, 0xffff, v18
	v_or_b32_e32 v31, 0x10000, v18
	s_delay_alu instid0(VALU_DEP_2) | instskip(NEXT) | instid1(VALU_DEP_1)
	v_cmp_eq_u32_e64 s1, 0, v30
	v_cndmask_b32_e64 v167, v31, v18, s1
; %bb.320:                              ;   in Loop: Header=BB452_8 Depth=1
	s_or_b32 exec_lo, exec_lo, s2
	v_lshrrev_b32_e32 v30, 16, v28
	s_mov_b32 s2, exec_lo
	s_delay_alu instid0(VALU_DEP_1) | instskip(NEXT) | instid1(VALU_DEP_1)
	v_dual_mov_b32 v18, 0 :: v_dual_and_b32 v31, 0xff, v30
	v_cmpx_ne_u16_e32 0, v31
	s_cbranch_execz .LBB452_328
; %bb.321:                              ;   in Loop: Header=BB452_8 Depth=1
	v_bfrev_b32_e32 v18, 1
	s_mov_b32 s18, exec_lo
	v_cmpx_ne_u16_e32 0x80, v31
	s_cbranch_execz .LBB452_327
; %bb.322:                              ;   in Loop: Header=BB452_8 Depth=1
	v_bfe_u32 v176, v28, 16, 7
	v_mov_b32_e32 v18, 0x7f800001
	s_mov_b32 s19, exec_lo
	s_delay_alu instid0(VALU_DEP_2)
	v_cmpx_ne_u32_e32 0x7f, v176
	s_cbranch_execz .LBB452_326
; %bb.323:                              ;   in Loop: Header=BB452_8 Depth=1
	v_and_b32_e32 v18, 7, v30
	v_lshrrev_b32_e32 v31, 3, v176
	s_mov_b32 s20, exec_lo
	v_cmpx_gt_u32_e32 8, v176
; %bb.324:                              ;   in Loop: Header=BB452_8 Depth=1
	s_delay_alu instid0(VALU_DEP_3) | instskip(NEXT) | instid1(VALU_DEP_1)
	v_clz_i32_u32_e32 v31, v18
	v_min_u32_e32 v31, 32, v31
	s_delay_alu instid0(VALU_DEP_1) | instskip(SKIP_1) | instid1(VALU_DEP_2)
	v_subrev_nc_u32_e32 v176, 28, v31
	v_sub_nc_u32_e32 v31, 29, v31
	v_lshlrev_b64 v[176:177], v176, v[18:19]
	s_delay_alu instid0(VALU_DEP_1)
	v_and_b32_e32 v18, 7, v176
; %bb.325:                              ;   in Loop: Header=BB452_8 Depth=1
	s_or_b32 exec_lo, exec_lo, s20
	v_lshlrev_b32_e32 v30, 24, v30
	s_delay_alu instid0(VALU_DEP_2) | instskip(SKIP_1) | instid1(VALU_DEP_3)
	v_lshlrev_b32_e32 v18, 20, v18
	v_lshl_add_u32 v31, v31, 23, 0x3c000000
	v_and_b32_e32 v30, 0x80000000, v30
	s_delay_alu instid0(VALU_DEP_1)
	v_or3_b32 v18, v18, v30, v31
.LBB452_326:                            ;   in Loop: Header=BB452_8 Depth=1
	s_or_b32 exec_lo, exec_lo, s19
.LBB452_327:                            ;   in Loop: Header=BB452_8 Depth=1
	s_delay_alu instid0(SALU_CYCLE_1)
	s_or_b32 exec_lo, exec_lo, s18
.LBB452_328:                            ;   in Loop: Header=BB452_8 Depth=1
	s_delay_alu instid0(SALU_CYCLE_1) | instskip(NEXT) | instid1(VALU_DEP_1)
	s_or_b32 exec_lo, exec_lo, s2
	v_mul_f32_e32 v18, v119, v18
                                        ; implicit-def: $vgpr176
	s_delay_alu instid0(VALU_DEP_1) | instskip(NEXT) | instid1(VALU_DEP_1)
	v_and_b32_e32 v30, 0x7f800000, v18
	v_cmp_ne_u32_e64 s1, 0x7f800000, v30
	s_delay_alu instid0(VALU_DEP_1) | instskip(NEXT) | instid1(SALU_CYCLE_1)
	s_and_saveexec_b32 s2, s1
	s_xor_b32 s1, exec_lo, s2
; %bb.329:                              ;   in Loop: Header=BB452_8 Depth=1
	v_bfe_u32 v30, v18, 16, 1
	s_delay_alu instid0(VALU_DEP_1)
	v_add3_u32 v176, v18, v30, 0x7fff
                                        ; implicit-def: $vgpr18
; %bb.330:                              ;   in Loop: Header=BB452_8 Depth=1
	s_and_not1_saveexec_b32 s2, s1
; %bb.331:                              ;   in Loop: Header=BB452_8 Depth=1
	v_and_b32_e32 v30, 0xffff, v18
	v_or_b32_e32 v31, 0x10000, v18
	s_delay_alu instid0(VALU_DEP_2) | instskip(NEXT) | instid1(VALU_DEP_1)
	v_cmp_eq_u32_e64 s1, 0, v30
	v_cndmask_b32_e64 v176, v31, v18, s1
; %bb.332:                              ;   in Loop: Header=BB452_8 Depth=1
	s_or_b32 exec_lo, exec_lo, s2
	v_mov_b32_e32 v18, 0
	s_mov_b32 s2, exec_lo
	v_cmpx_lt_u32_e32 0xffffff, v28
	s_cbranch_execz .LBB452_340
; %bb.333:                              ;   in Loop: Header=BB452_8 Depth=1
	v_lshrrev_b32_e32 v30, 24, v28
	v_bfrev_b32_e32 v18, 1
	s_mov_b32 s18, exec_lo
	s_delay_alu instid0(VALU_DEP_2)
	v_cmpx_ne_u32_e32 0x80, v30
	s_cbranch_execz .LBB452_339
; %bb.334:                              ;   in Loop: Header=BB452_8 Depth=1
	v_bfe_u32 v177, v28, 24, 7
	v_mov_b32_e32 v18, 0x7f800001
	s_mov_b32 s19, exec_lo
	s_delay_alu instid0(VALU_DEP_2)
	v_cmpx_ne_u32_e32 0x7f, v177
	s_cbranch_execz .LBB452_338
; %bb.335:                              ;   in Loop: Header=BB452_8 Depth=1
	v_and_b32_e32 v18, 7, v30
	v_lshrrev_b32_e32 v31, 3, v177
	s_mov_b32 s20, exec_lo
	v_cmpx_gt_u32_e32 8, v177
; %bb.336:                              ;   in Loop: Header=BB452_8 Depth=1
	s_delay_alu instid0(VALU_DEP_3) | instskip(NEXT) | instid1(VALU_DEP_1)
	v_clz_i32_u32_e32 v31, v18
	v_min_u32_e32 v31, 32, v31
	s_delay_alu instid0(VALU_DEP_1) | instskip(SKIP_1) | instid1(VALU_DEP_2)
	v_subrev_nc_u32_e32 v177, 28, v31
	v_sub_nc_u32_e32 v31, 29, v31
	v_lshlrev_b64 v[177:178], v177, v[18:19]
	s_delay_alu instid0(VALU_DEP_1)
	v_and_b32_e32 v18, 7, v177
; %bb.337:                              ;   in Loop: Header=BB452_8 Depth=1
	s_or_b32 exec_lo, exec_lo, s20
	v_lshlrev_b32_e32 v30, 24, v30
	s_delay_alu instid0(VALU_DEP_2) | instskip(SKIP_1) | instid1(VALU_DEP_3)
	v_lshlrev_b32_e32 v18, 20, v18
	v_lshl_add_u32 v31, v31, 23, 0x3c000000
	v_and_b32_e32 v30, 0x80000000, v30
	s_delay_alu instid0(VALU_DEP_1)
	v_or3_b32 v18, v18, v30, v31
.LBB452_338:                            ;   in Loop: Header=BB452_8 Depth=1
	s_or_b32 exec_lo, exec_lo, s19
.LBB452_339:                            ;   in Loop: Header=BB452_8 Depth=1
	s_delay_alu instid0(SALU_CYCLE_1)
	s_or_b32 exec_lo, exec_lo, s18
.LBB452_340:                            ;   in Loop: Header=BB452_8 Depth=1
	s_delay_alu instid0(SALU_CYCLE_1) | instskip(NEXT) | instid1(VALU_DEP_1)
	s_or_b32 exec_lo, exec_lo, s2
	v_mul_f32_e32 v18, v119, v18
                                        ; implicit-def: $vgpr177
	s_delay_alu instid0(VALU_DEP_1) | instskip(NEXT) | instid1(VALU_DEP_1)
	v_and_b32_e32 v30, 0x7f800000, v18
	v_cmp_ne_u32_e64 s1, 0x7f800000, v30
	s_delay_alu instid0(VALU_DEP_1) | instskip(NEXT) | instid1(SALU_CYCLE_1)
	s_and_saveexec_b32 s2, s1
	s_xor_b32 s1, exec_lo, s2
; %bb.341:                              ;   in Loop: Header=BB452_8 Depth=1
	v_bfe_u32 v30, v18, 16, 1
	s_delay_alu instid0(VALU_DEP_1)
	v_add3_u32 v177, v18, v30, 0x7fff
                                        ; implicit-def: $vgpr18
; %bb.342:                              ;   in Loop: Header=BB452_8 Depth=1
	s_and_not1_saveexec_b32 s2, s1
; %bb.343:                              ;   in Loop: Header=BB452_8 Depth=1
	v_and_b32_e32 v30, 0xffff, v18
	v_or_b32_e32 v31, 0x10000, v18
	s_delay_alu instid0(VALU_DEP_2) | instskip(NEXT) | instid1(VALU_DEP_1)
	v_cmp_eq_u32_e64 s1, 0, v30
	v_cndmask_b32_e64 v177, v31, v18, s1
; %bb.344:                              ;   in Loop: Header=BB452_8 Depth=1
	s_or_b32 exec_lo, exec_lo, s2
	v_dual_mov_b32 v18, v29 :: v_dual_and_b32 v31, 0xff, v29
	v_mov_b32_e32 v30, 0
	s_mov_b32 s2, exec_lo
	s_delay_alu instid0(VALU_DEP_2)
	v_cmpx_ne_u16_e32 0, v31
	s_cbranch_execz .LBB452_352
; %bb.345:                              ;   in Loop: Header=BB452_8 Depth=1
	v_bfrev_b32_e32 v30, 1
	s_mov_b32 s18, exec_lo
	v_cmpx_ne_u16_e32 0x80, v31
	s_cbranch_execz .LBB452_351
; %bb.346:                              ;   in Loop: Header=BB452_8 Depth=1
	v_and_b32_e32 v31, 0x7f, v29
	v_mov_b32_e32 v30, 0x7f800001
	s_mov_b32 s19, exec_lo
	s_delay_alu instid0(VALU_DEP_2)
	v_cmpx_ne_u32_e32 0x7f, v31
	s_cbranch_execz .LBB452_350
; %bb.347:                              ;   in Loop: Header=BB452_8 Depth=1
	v_lshrrev_b32_e32 v178, 3, v31
	v_cmp_gt_u32_e64 s1, 8, v31
	v_dual_mov_b32 v31, v19 :: v_dual_mov_b32 v30, v18
	s_delay_alu instid0(VALU_DEP_2)
	s_and_saveexec_b32 s20, s1
; %bb.348:                              ;   in Loop: Header=BB452_8 Depth=1
	v_and_b32_e32 v30, 7, v29
	s_delay_alu instid0(VALU_DEP_1) | instskip(NEXT) | instid1(VALU_DEP_1)
	v_clz_i32_u32_e32 v30, v30
	v_min_u32_e32 v178, 32, v30
	s_delay_alu instid0(VALU_DEP_1) | instskip(SKIP_1) | instid1(VALU_DEP_2)
	v_subrev_nc_u32_e32 v30, 28, v178
	v_sub_nc_u32_e32 v178, 29, v178
	v_lshlrev_b64 v[30:31], v30, v[18:19]
; %bb.349:                              ;   in Loop: Header=BB452_8 Depth=1
	s_or_b32 exec_lo, exec_lo, s20
	s_delay_alu instid0(VALU_DEP_1) | instskip(SKIP_2) | instid1(VALU_DEP_3)
	v_lshlrev_b32_e32 v30, 20, v30
	v_lshlrev_b32_e32 v31, 24, v18
	v_lshl_add_u32 v178, v178, 23, 0x3c000000
	v_and_b32_e32 v30, 0x700000, v30
	s_delay_alu instid0(VALU_DEP_3) | instskip(NEXT) | instid1(VALU_DEP_1)
	v_and_b32_e32 v31, 0x80000000, v31
	v_or3_b32 v30, v30, v31, v178
.LBB452_350:                            ;   in Loop: Header=BB452_8 Depth=1
	s_or_b32 exec_lo, exec_lo, s19
.LBB452_351:                            ;   in Loop: Header=BB452_8 Depth=1
	s_delay_alu instid0(SALU_CYCLE_1)
	s_or_b32 exec_lo, exec_lo, s18
.LBB452_352:                            ;   in Loop: Header=BB452_8 Depth=1
	s_delay_alu instid0(SALU_CYCLE_1) | instskip(NEXT) | instid1(VALU_DEP_1)
	s_or_b32 exec_lo, exec_lo, s2
	v_mul_f32_e32 v30, v119, v30
                                        ; implicit-def: $vgpr178
	s_delay_alu instid0(VALU_DEP_1) | instskip(NEXT) | instid1(VALU_DEP_1)
	v_and_b32_e32 v31, 0x7f800000, v30
	v_cmp_ne_u32_e64 s1, 0x7f800000, v31
	s_delay_alu instid0(VALU_DEP_1) | instskip(NEXT) | instid1(SALU_CYCLE_1)
	s_and_saveexec_b32 s2, s1
	s_xor_b32 s1, exec_lo, s2
; %bb.353:                              ;   in Loop: Header=BB452_8 Depth=1
	v_bfe_u32 v31, v30, 16, 1
	s_delay_alu instid0(VALU_DEP_1)
	v_add3_u32 v178, v30, v31, 0x7fff
                                        ; implicit-def: $vgpr30
; %bb.354:                              ;   in Loop: Header=BB452_8 Depth=1
	s_and_not1_saveexec_b32 s2, s1
; %bb.355:                              ;   in Loop: Header=BB452_8 Depth=1
	v_and_b32_e32 v31, 0xffff, v30
	v_or_b32_e32 v178, 0x10000, v30
	s_delay_alu instid0(VALU_DEP_2) | instskip(NEXT) | instid1(VALU_DEP_1)
	v_cmp_eq_u32_e64 s1, 0, v31
	v_cndmask_b32_e64 v178, v178, v30, s1
; %bb.356:                              ;   in Loop: Header=BB452_8 Depth=1
	s_or_b32 exec_lo, exec_lo, s2
	v_lshrrev_b16 v31, 8, v18
	v_mov_b32_e32 v30, 0
	s_mov_b32 s2, exec_lo
	s_delay_alu instid0(VALU_DEP_2)
	v_cmpx_ne_u16_e32 0, v31
	s_cbranch_execz .LBB452_364
; %bb.357:                              ;   in Loop: Header=BB452_8 Depth=1
	v_bfrev_b32_e32 v30, 1
	s_mov_b32 s18, exec_lo
	v_cmpx_ne_u16_e32 0x80, v31
	s_cbranch_execz .LBB452_363
; %bb.358:                              ;   in Loop: Header=BB452_8 Depth=1
	v_and_b32_e32 v31, 0xffff, v31
	v_mov_b32_e32 v30, 0x7f800001
	s_mov_b32 s19, exec_lo
	s_delay_alu instid0(VALU_DEP_2) | instskip(NEXT) | instid1(VALU_DEP_1)
	v_and_b32_e32 v180, 0x7f, v31
	v_cmpx_ne_u32_e32 0x7f, v180
	s_cbranch_execz .LBB452_362
; %bb.359:                              ;   in Loop: Header=BB452_8 Depth=1
	v_dual_mov_b32 v31, v19 :: v_dual_and_b32 v30, 7, v31
	v_lshrrev_b32_e32 v179, 3, v180
	s_mov_b32 s20, exec_lo
	v_cmpx_gt_u32_e32 8, v180
; %bb.360:                              ;   in Loop: Header=BB452_8 Depth=1
	s_delay_alu instid0(VALU_DEP_3) | instskip(NEXT) | instid1(VALU_DEP_1)
	v_clz_i32_u32_e32 v179, v30
	v_min_u32_e32 v179, 32, v179
	s_delay_alu instid0(VALU_DEP_1) | instskip(SKIP_1) | instid1(VALU_DEP_2)
	v_subrev_nc_u32_e32 v180, 28, v179
	v_sub_nc_u32_e32 v179, 29, v179
	v_lshlrev_b64 v[30:31], v180, v[30:31]
	s_delay_alu instid0(VALU_DEP_1)
	v_and_b32_e32 v30, 7, v30
; %bb.361:                              ;   in Loop: Header=BB452_8 Depth=1
	s_or_b32 exec_lo, exec_lo, s20
	v_lshlrev_b32_e32 v18, 16, v18
	s_delay_alu instid0(VALU_DEP_2) | instskip(SKIP_1) | instid1(VALU_DEP_3)
	v_lshlrev_b32_e32 v30, 20, v30
	v_lshl_add_u32 v31, v179, 23, 0x3c000000
	v_and_b32_e32 v18, 0x80000000, v18
	s_delay_alu instid0(VALU_DEP_1)
	v_or3_b32 v30, v30, v18, v31
.LBB452_362:                            ;   in Loop: Header=BB452_8 Depth=1
	s_or_b32 exec_lo, exec_lo, s19
.LBB452_363:                            ;   in Loop: Header=BB452_8 Depth=1
	s_delay_alu instid0(SALU_CYCLE_1)
	s_or_b32 exec_lo, exec_lo, s18
.LBB452_364:                            ;   in Loop: Header=BB452_8 Depth=1
	s_delay_alu instid0(SALU_CYCLE_1) | instskip(NEXT) | instid1(VALU_DEP_1)
	s_or_b32 exec_lo, exec_lo, s2
	v_mul_f32_e32 v18, v119, v30
	s_delay_alu instid0(VALU_DEP_1) | instskip(NEXT) | instid1(VALU_DEP_1)
	v_and_b32_e32 v30, 0x7f800000, v18
	v_cmp_ne_u32_e64 s1, 0x7f800000, v30
                                        ; implicit-def: $vgpr30
	s_delay_alu instid0(VALU_DEP_1) | instskip(NEXT) | instid1(SALU_CYCLE_1)
	s_and_saveexec_b32 s2, s1
	s_xor_b32 s1, exec_lo, s2
; %bb.365:                              ;   in Loop: Header=BB452_8 Depth=1
	v_bfe_u32 v30, v18, 16, 1
	s_delay_alu instid0(VALU_DEP_1)
	v_add3_u32 v30, v18, v30, 0x7fff
                                        ; implicit-def: $vgpr18
; %bb.366:                              ;   in Loop: Header=BB452_8 Depth=1
	s_and_not1_saveexec_b32 s2, s1
; %bb.367:                              ;   in Loop: Header=BB452_8 Depth=1
	v_and_b32_e32 v30, 0xffff, v18
	v_or_b32_e32 v31, 0x10000, v18
	s_delay_alu instid0(VALU_DEP_2) | instskip(NEXT) | instid1(VALU_DEP_1)
	v_cmp_eq_u32_e64 s1, 0, v30
	v_cndmask_b32_e64 v30, v31, v18, s1
; %bb.368:                              ;   in Loop: Header=BB452_8 Depth=1
	s_or_b32 exec_lo, exec_lo, s2
	v_lshrrev_b32_e32 v31, 16, v29
	s_mov_b32 s2, exec_lo
	s_delay_alu instid0(VALU_DEP_1) | instskip(NEXT) | instid1(VALU_DEP_1)
	v_dual_mov_b32 v18, 0 :: v_dual_and_b32 v179, 0xff, v31
	v_cmpx_ne_u16_e64 0, v179
	s_cbranch_execz .LBB452_376
; %bb.369:                              ;   in Loop: Header=BB452_8 Depth=1
	v_bfrev_b32_e32 v18, 1
	s_mov_b32 s18, exec_lo
	v_cmpx_ne_u16_e64 0x80, v179
	s_cbranch_execz .LBB452_375
; %bb.370:                              ;   in Loop: Header=BB452_8 Depth=1
	v_bfe_u32 v180, v29, 16, 7
	v_mov_b32_e32 v18, 0x7f800001
	s_mov_b32 s19, exec_lo
	s_delay_alu instid0(VALU_DEP_2)
	v_cmpx_ne_u32_e32 0x7f, v180
	s_cbranch_execz .LBB452_374
; %bb.371:                              ;   in Loop: Header=BB452_8 Depth=1
	v_and_b32_e32 v18, 7, v31
	v_lshrrev_b32_e32 v179, 3, v180
	s_mov_b32 s20, exec_lo
	v_cmpx_gt_u32_e32 8, v180
; %bb.372:                              ;   in Loop: Header=BB452_8 Depth=1
	s_delay_alu instid0(VALU_DEP_3) | instskip(NEXT) | instid1(VALU_DEP_1)
	v_clz_i32_u32_e32 v179, v18
	v_min_u32_e32 v179, 32, v179
	s_delay_alu instid0(VALU_DEP_1) | instskip(SKIP_1) | instid1(VALU_DEP_2)
	v_subrev_nc_u32_e32 v180, 28, v179
	v_sub_nc_u32_e32 v179, 29, v179
	v_lshlrev_b64 v[180:181], v180, v[18:19]
	s_delay_alu instid0(VALU_DEP_1)
	v_and_b32_e32 v18, 7, v180
; %bb.373:                              ;   in Loop: Header=BB452_8 Depth=1
	s_or_b32 exec_lo, exec_lo, s20
	v_lshlrev_b32_e32 v31, 24, v31
	s_delay_alu instid0(VALU_DEP_2) | instskip(SKIP_1) | instid1(VALU_DEP_3)
	v_lshlrev_b32_e32 v18, 20, v18
	v_lshl_add_u32 v179, v179, 23, 0x3c000000
	v_and_b32_e32 v31, 0x80000000, v31
	s_delay_alu instid0(VALU_DEP_1)
	v_or3_b32 v18, v18, v31, v179
.LBB452_374:                            ;   in Loop: Header=BB452_8 Depth=1
	s_or_b32 exec_lo, exec_lo, s19
.LBB452_375:                            ;   in Loop: Header=BB452_8 Depth=1
	s_delay_alu instid0(SALU_CYCLE_1)
	s_or_b32 exec_lo, exec_lo, s18
.LBB452_376:                            ;   in Loop: Header=BB452_8 Depth=1
	s_delay_alu instid0(SALU_CYCLE_1) | instskip(NEXT) | instid1(VALU_DEP_1)
	s_or_b32 exec_lo, exec_lo, s2
	v_mul_f32_e32 v18, v119, v18
	s_delay_alu instid0(VALU_DEP_1) | instskip(NEXT) | instid1(VALU_DEP_1)
	v_and_b32_e32 v31, 0x7f800000, v18
	v_cmp_ne_u32_e64 s1, 0x7f800000, v31
                                        ; implicit-def: $vgpr31
	s_delay_alu instid0(VALU_DEP_1) | instskip(NEXT) | instid1(SALU_CYCLE_1)
	s_and_saveexec_b32 s2, s1
	s_xor_b32 s1, exec_lo, s2
; %bb.377:                              ;   in Loop: Header=BB452_8 Depth=1
	v_bfe_u32 v31, v18, 16, 1
	s_delay_alu instid0(VALU_DEP_1)
	v_add3_u32 v31, v18, v31, 0x7fff
                                        ; implicit-def: $vgpr18
; %bb.378:                              ;   in Loop: Header=BB452_8 Depth=1
	s_and_not1_saveexec_b32 s2, s1
; %bb.379:                              ;   in Loop: Header=BB452_8 Depth=1
	v_and_b32_e32 v31, 0xffff, v18
	v_or_b32_e32 v179, 0x10000, v18
	s_delay_alu instid0(VALU_DEP_2) | instskip(NEXT) | instid1(VALU_DEP_1)
	v_cmp_eq_u32_e64 s1, 0, v31
	v_cndmask_b32_e64 v31, v179, v18, s1
; %bb.380:                              ;   in Loop: Header=BB452_8 Depth=1
	s_or_b32 exec_lo, exec_lo, s2
	v_mov_b32_e32 v18, 0
	s_mov_b32 s2, exec_lo
	v_cmpx_lt_u64_e64 s[8:9], v[28:29]
	s_cbranch_execz .LBB452_388
; %bb.381:                              ;   in Loop: Header=BB452_8 Depth=1
	v_lshrrev_b32_e32 v28, 24, v29
	v_bfrev_b32_e32 v18, 1
	s_mov_b32 s18, exec_lo
	s_delay_alu instid0(VALU_DEP_2)
	v_cmpx_ne_u32_e32 0x80, v28
	s_cbranch_execz .LBB452_387
; %bb.382:                              ;   in Loop: Header=BB452_8 Depth=1
	v_bfe_u32 v179, v29, 24, 7
	v_mov_b32_e32 v18, 0x7f800001
	s_mov_b32 s19, exec_lo
	s_delay_alu instid0(VALU_DEP_2)
	v_cmpx_ne_u32_e32 0x7f, v179
	s_cbranch_execz .LBB452_386
; %bb.383:                              ;   in Loop: Header=BB452_8 Depth=1
	v_and_b32_e32 v18, 7, v28
	v_lshrrev_b32_e32 v29, 3, v179
	s_mov_b32 s20, exec_lo
	v_cmpx_gt_u32_e32 8, v179
; %bb.384:                              ;   in Loop: Header=BB452_8 Depth=1
	s_delay_alu instid0(VALU_DEP_3) | instskip(NEXT) | instid1(VALU_DEP_1)
	v_clz_i32_u32_e32 v29, v18
	v_min_u32_e32 v29, 32, v29
	s_delay_alu instid0(VALU_DEP_1) | instskip(SKIP_1) | instid1(VALU_DEP_2)
	v_subrev_nc_u32_e32 v179, 28, v29
	v_sub_nc_u32_e32 v29, 29, v29
	v_lshlrev_b64 v[179:180], v179, v[18:19]
	s_delay_alu instid0(VALU_DEP_1)
	v_and_b32_e32 v18, 7, v179
; %bb.385:                              ;   in Loop: Header=BB452_8 Depth=1
	s_or_b32 exec_lo, exec_lo, s20
	v_lshlrev_b32_e32 v28, 24, v28
	s_delay_alu instid0(VALU_DEP_2) | instskip(SKIP_1) | instid1(VALU_DEP_3)
	v_lshlrev_b32_e32 v18, 20, v18
	v_lshl_add_u32 v29, v29, 23, 0x3c000000
	v_and_b32_e32 v28, 0x80000000, v28
	s_delay_alu instid0(VALU_DEP_1)
	v_or3_b32 v18, v18, v28, v29
.LBB452_386:                            ;   in Loop: Header=BB452_8 Depth=1
	s_or_b32 exec_lo, exec_lo, s19
.LBB452_387:                            ;   in Loop: Header=BB452_8 Depth=1
	s_delay_alu instid0(SALU_CYCLE_1)
	s_or_b32 exec_lo, exec_lo, s18
.LBB452_388:                            ;   in Loop: Header=BB452_8 Depth=1
	s_delay_alu instid0(SALU_CYCLE_1) | instskip(NEXT) | instid1(VALU_DEP_1)
	s_or_b32 exec_lo, exec_lo, s2
	v_mul_f32_e32 v28, v119, v18
	s_delay_alu instid0(VALU_DEP_1) | instskip(NEXT) | instid1(VALU_DEP_1)
	v_and_b32_e32 v18, 0x7f800000, v28
	v_cmp_ne_u32_e64 s1, 0x7f800000, v18
                                        ; implicit-def: $vgpr18
	s_delay_alu instid0(VALU_DEP_1) | instskip(NEXT) | instid1(SALU_CYCLE_1)
	s_and_saveexec_b32 s2, s1
	s_xor_b32 s1, exec_lo, s2
; %bb.389:                              ;   in Loop: Header=BB452_8 Depth=1
	v_bfe_u32 v18, v28, 16, 1
	s_delay_alu instid0(VALU_DEP_1)
	v_add3_u32 v18, v28, v18, 0x7fff
                                        ; implicit-def: $vgpr28
; %bb.390:                              ;   in Loop: Header=BB452_8 Depth=1
	s_and_not1_saveexec_b32 s2, s1
	s_cbranch_execz .LBB452_7
; %bb.391:                              ;   in Loop: Header=BB452_8 Depth=1
	v_and_b32_e32 v18, 0xffff, v28
	v_or_b32_e32 v29, 0x10000, v28
	s_delay_alu instid0(VALU_DEP_2) | instskip(NEXT) | instid1(VALU_DEP_1)
	v_cmp_eq_u32_e64 s1, 0, v18
	v_cndmask_b32_e64 v18, v29, v28, s1
	s_branch .LBB452_7
.LBB452_392:
	s_or_b32 exec_lo, exec_lo, s11
.LBB452_393:
	s_delay_alu instid0(SALU_CYCLE_1) | instskip(SKIP_3) | instid1(VALU_DEP_2)
	s_or_b32 exec_lo, exec_lo, s15
	v_mbcnt_lo_u32_b32 v8, -1, 0
	v_max_f32_e32 v19, v98, v98
	s_lshr_b32 s8, s13, 16
	v_xor_b32_e32 v9, 16, v8
	v_xor_b32_e32 v18, 8, v8
	s_delay_alu instid0(VALU_DEP_2) | instskip(SKIP_1) | instid1(VALU_DEP_3)
	v_cmp_gt_i32_e32 vcc_lo, 32, v9
	v_cndmask_b32_e32 v9, v8, v9, vcc_lo
	v_cmp_gt_i32_e32 vcc_lo, 32, v18
	v_cndmask_b32_e32 v18, v8, v18, vcc_lo
	s_delay_alu instid0(VALU_DEP_1) | instskip(NEXT) | instid1(VALU_DEP_4)
	v_lshlrev_b32_e32 v20, 2, v18
	v_lshlrev_b32_e32 v13, 2, v9
	ds_bpermute_b32 v9, v13, v98
	s_waitcnt lgkmcnt(0)
	v_max_f32_e32 v9, v9, v9
	s_delay_alu instid0(VALU_DEP_1) | instskip(SKIP_4) | instid1(VALU_DEP_1)
	v_max_f32_e32 v9, v19, v9
	v_xor_b32_e32 v19, 4, v8
	ds_bpermute_b32 v18, v20, v9
	v_cmp_gt_i32_e32 vcc_lo, 32, v19
	v_cndmask_b32_e32 v19, v8, v19, vcc_lo
	v_lshlrev_b32_e32 v21, 2, v19
	v_xor_b32_e32 v19, 2, v8
	s_delay_alu instid0(VALU_DEP_1) | instskip(SKIP_2) | instid1(VALU_DEP_1)
	v_cmp_gt_i32_e32 vcc_lo, 32, v19
	s_waitcnt lgkmcnt(0)
	v_dual_max_f32 v18, v18, v18 :: v_dual_cndmask_b32 v19, v8, v19
	v_max_f32_e32 v9, v9, v18
	ds_bpermute_b32 v18, v21, v9
	s_waitcnt lgkmcnt(0)
	v_max_f32_e32 v24, v18, v18
	s_delay_alu instid0(VALU_DEP_1)
	v_dual_max_f32 v9, v9, v24 :: v_dual_lshlrev_b32 v18, 2, v19
	v_xor_b32_e32 v24, 1, v8
	ds_bpermute_b32 v19, v18, v9
	v_cmp_gt_i32_e32 vcc_lo, 32, v24
	v_cndmask_b32_e32 v24, v8, v24, vcc_lo
	v_cmp_eq_u32_e32 vcc_lo, 0, v23
	s_waitcnt lgkmcnt(0)
	v_max_f32_e32 v19, v19, v19
	s_delay_alu instid0(VALU_DEP_1)
	v_dual_max_f32 v8, v9, v19 :: v_dual_lshlrev_b32 v19, 2, v24
	v_lshlrev_b32_e32 v24, 2, v36
	ds_bpermute_b32 v9, v19, v8
	s_and_saveexec_b32 s1, vcc_lo
	s_cbranch_execz .LBB452_395
; %bb.394:
	s_waitcnt lgkmcnt(0)
	v_dual_max_f32 v9, v9, v9 :: v_dual_max_f32 v8, v8, v8
	s_delay_alu instid0(VALU_DEP_1)
	v_max_f32_e32 v8, v8, v9
	ds_store_b32 v24, v8 offset:64
.LBB452_395:
	s_or_b32 exec_lo, exec_lo, s1
	v_cmp_gt_u32_e64 s1, 4, v23
	v_mov_b32_e32 v8, 0xff7fffff
	s_waitcnt lgkmcnt(0)
	s_barrier
	buffer_gl0_inv
	s_and_saveexec_b32 s2, s1
	s_cbranch_execz .LBB452_397
; %bb.396:
	ds_load_b32 v8, v48 offset:64
.LBB452_397:
	s_or_b32 exec_lo, exec_lo, s2
	s_waitcnt lgkmcnt(0)
	ds_bpermute_b32 v9, v18, v8
	v_max_f32_e32 v8, v8, v8
	v_subrev_nc_u32_e32 v28, s3, v37
	v_mov_b32_e32 v25, 0
	s_waitcnt lgkmcnt(0)
	v_max_f32_e32 v9, v9, v9
	s_delay_alu instid0(VALU_DEP_1) | instskip(SKIP_3) | instid1(VALU_DEP_1)
	v_max_f32_e32 v8, v8, v9
	ds_bpermute_b32 v9, v19, v8
	s_waitcnt lgkmcnt(0)
	v_max_f32_e32 v9, v9, v9
	v_max_f32_e32 v8, v8, v9
	v_lshl_add_u32 v9, v28, 5, s17
	ds_bpermute_b32 v8, v25, v8
	v_min_i32_e32 v9, v9, v35
	s_delay_alu instid0(VALU_DEP_1) | instskip(NEXT) | instid1(VALU_DEP_1)
	v_subrev_nc_u32_e32 v9, s17, v9
	v_cmp_lt_i32_e64 s2, v34, v9
	s_delay_alu instid0(VALU_DEP_1)
	s_and_saveexec_b32 s9, s2
	s_cbranch_execz .LBB452_401
; %bb.398:
	s_getpc_b64 s[18:19]
	s_add_u32 s18, s18, llvm.amdgcn.dynlds.offset.table@rel32@lo+4
	s_addc_u32 s19, s19, llvm.amdgcn.dynlds.offset.table@rel32@hi+12
	s_ashr_i32 s11, s10, 31
	v_mov_b32_e32 v25, 0
	s_lshl_b64 s[20:21], s[10:11], 2
	v_mov_b32_e32 v29, v34
	s_add_u32 s18, s20, s18
	s_addc_u32 s19, s21, s19
	s_mov_b32 s11, 0
	s_load_b32 s3, s[18:19], 0x0
	s_waitcnt lgkmcnt(0)
	v_lshl_add_u32 v28, v34, 2, s3
	.p2align	6
.LBB452_399:                            ; =>This Inner Loop Header: Depth=1
	ds_load_b32 v30, v28
	v_add_nc_u32_e32 v29, 0x80, v29
	s_delay_alu instid0(VALU_DEP_1) | instskip(NEXT) | instid1(VALU_DEP_1)
	v_cmp_ge_i32_e64 s3, v29, v9
	s_or_b32 s11, s3, s11
	s_waitcnt lgkmcnt(0)
	v_sub_f32_e32 v30, v30, v8
	s_delay_alu instid0(VALU_DEP_1) | instskip(NEXT) | instid1(VALU_DEP_1)
	v_mul_f32_e32 v30, 0x3fb8aa3b, v30
	v_exp_f32_e32 v30, v30
	ds_store_b32 v28, v30
	v_dual_add_f32 v25, v25, v30 :: v_dual_add_nc_u32 v28, 0x200, v28
	s_and_not1_b32 exec_lo, exec_lo, s11
	s_cbranch_execnz .LBB452_399
; %bb.400:
	s_or_b32 exec_lo, exec_lo, s11
.LBB452_401:
	s_delay_alu instid0(SALU_CYCLE_1)
	s_or_b32 exec_lo, exec_lo, s9
	ds_bpermute_b32 v13, v13, v25
	s_waitcnt lgkmcnt(0)
	v_add_f32_e32 v13, v25, v13
	ds_bpermute_b32 v20, v20, v13
	s_waitcnt lgkmcnt(0)
	v_add_f32_e32 v13, v13, v20
	;; [unrolled: 3-line block ×5, first 2 shown]
	s_and_saveexec_b32 s3, vcc_lo
	s_cbranch_execz .LBB452_403
; %bb.402:
	ds_store_b32 v24, v13 offset:80
.LBB452_403:
	s_or_b32 exec_lo, exec_lo, s3
	s_waitcnt lgkmcnt(0)
	s_barrier
	buffer_gl0_inv
	s_and_saveexec_b32 s3, s1
	s_cbranch_execz .LBB452_405
; %bb.404:
	ds_load_b32 v13, v48 offset:80
.LBB452_405:
	s_or_b32 exec_lo, exec_lo, s3
	s_waitcnt lgkmcnt(0)
	ds_bpermute_b32 v20, v18, v13
	s_waitcnt lgkmcnt(0)
	v_add_f32_e32 v13, v13, v20
	ds_bpermute_b32 v20, v19, v13
	s_waitcnt lgkmcnt(0)
	v_dual_add_f32 v13, v13, v20 :: v_dual_mov_b32 v20, 0
	ds_bpermute_b32 v13, v20, v13
	s_and_saveexec_b32 s1, s2
	s_cbranch_execz .LBB452_408
; %bb.406:
	s_waitcnt lgkmcnt(0)
	v_add_f32_e32 v21, 0x358637bd, v13
	s_getpc_b64 s[2:3]
	s_add_u32 s2, s2, llvm.amdgcn.dynlds.offset.table@rel32@lo+4
	s_addc_u32 s3, s3, llvm.amdgcn.dynlds.offset.table@rel32@hi+12
	s_ashr_i32 s11, s10, 31
	s_delay_alu instid0(SALU_CYCLE_1) | instskip(SKIP_4) | instid1(VALU_DEP_1)
	s_lshl_b64 s[18:19], s[10:11], 2
	v_div_scale_f32 v20, null, v21, v21, 1.0
	s_add_u32 s2, s18, s2
	s_addc_u32 s3, s19, s3
	s_load_b32 s2, s[2:3], 0x0
	v_rcp_f32_e32 v24, v20
	s_waitcnt_depctr 0xfff
	v_fma_f32 v25, -v20, v24, 1.0
	s_delay_alu instid0(VALU_DEP_1) | instskip(SKIP_1) | instid1(VALU_DEP_1)
	v_fmac_f32_e32 v24, v25, v24
	v_div_scale_f32 v28, vcc_lo, 1.0, v21, 1.0
	v_mul_f32_e32 v25, v28, v24
	s_delay_alu instid0(VALU_DEP_1) | instskip(NEXT) | instid1(VALU_DEP_1)
	v_fma_f32 v29, -v20, v25, v28
	v_fmac_f32_e32 v25, v29, v24
	s_delay_alu instid0(VALU_DEP_1) | instskip(NEXT) | instid1(VALU_DEP_1)
	v_fma_f32 v20, -v20, v25, v28
	v_div_fmas_f32 v24, v20, v24, v25
	s_waitcnt lgkmcnt(0)
	v_lshl_add_u32 v20, v34, 2, s2
	s_mov_b32 s2, 0
	s_delay_alu instid0(VALU_DEP_2)
	v_div_fixup_f32 v21, v24, v21, 1.0
	v_mov_b32_e32 v24, v34
.LBB452_407:                            ; =>This Inner Loop Header: Depth=1
	ds_load_b32 v25, v20
	s_waitcnt lgkmcnt(0)
	v_dual_mul_f32 v25, v21, v25 :: v_dual_add_nc_u32 v24, 0x80, v24
	s_delay_alu instid0(VALU_DEP_1) | instskip(SKIP_3) | instid1(SALU_CYCLE_1)
	v_cmp_ge_i32_e32 vcc_lo, v24, v9
	ds_store_b32 v20, v25
	v_add_nc_u32_e32 v20, 0x200, v20
	s_or_b32 s2, vcc_lo, s2
	s_and_not1_b32 exec_lo, exec_lo, s2
	s_cbranch_execnz .LBB452_407
.LBB452_408:
	s_or_b32 exec_lo, exec_lo, s1
	v_cmp_ne_u16_e64 s1, s8, 0
	s_mov_b32 s2, exec_lo
	s_waitcnt lgkmcnt(0)
	s_barrier
	buffer_gl0_inv
	s_cmp_lg_u32 s1, 0
	s_addc_u32 s1, s7, 0
	v_cmpx_eq_u32_e32 0, v34
	s_cbranch_execz .LBB452_410
; %bb.409:
	s_mul_i32 s3, s1, s4
	s_mul_i32 s8, s1, s12
	;; [unrolled: 1-line block ×3, first 2 shown]
	s_ashr_i32 s9, s8, 31
	s_ashr_i32 s15, s14, 31
	;; [unrolled: 1-line block ×3, first 2 shown]
	s_lshl_b64 s[8:9], s[8:9], 2
	s_lshl_b64 s[18:19], s[14:15], 2
	;; [unrolled: 1-line block ×3, first 2 shown]
	s_add_u32 s3, s18, s8
	s_addc_u32 s7, s19, s9
	s_add_u32 s3, s3, s12
	s_addc_u32 s7, s7, s13
	v_add_co_u32 v2, vcc_lo, s3, v2
	v_add_co_ci_u32_e32 v3, vcc_lo, s7, v3, vcc_lo
	v_add_co_u32 v0, vcc_lo, s3, v0
	v_add_co_ci_u32_e32 v1, vcc_lo, s7, v1, vcc_lo
	flat_store_b32 v[2:3], v8
	flat_store_b32 v[0:1], v13
.LBB452_410:
	s_or_b32 exec_lo, exec_lo, s2
                                        ; implicit-def: $sgpr2
	s_and_saveexec_b32 s3, s0
	s_delay_alu instid0(SALU_CYCLE_1)
	s_xor_b32 s0, exec_lo, s3
; %bb.411:
	s_ashr_i32 s11, s10, 31
	s_mov_b32 s2, 0
                                        ; implicit-def: $vgpr35
                                        ; implicit-def: $vgpr12
                                        ; implicit-def: $vgpr37
                                        ; implicit-def: $vgpr16
                                        ; implicit-def: $vgpr10
                                        ; implicit-def: $vgpr11
                                        ; implicit-def: $vgpr14
                                        ; implicit-def: $vgpr15
                                        ; implicit-def: $vgpr22
                                        ; implicit-def: $vgpr26_vgpr27
                                        ; implicit-def: $vgpr38
                                        ; implicit-def: $vgpr39
                                        ; implicit-def: $vgpr6_vgpr7
; %bb.412:
	s_or_saveexec_b32 s7, s0
	v_dual_mov_b32 v21, s2 :: v_dual_mov_b32 v0, s10
	v_dual_mov_b32 v1, s11 :: v_dual_and_b32 v20, 3, v34
	v_dual_mov_b32 v24, s2 :: v_dual_mov_b32 v25, s2
	v_mov_b32_e32 v28, s2
	s_xor_b32 exec_lo, exec_lo, s7
	s_cbranch_execz .LBB452_968
; %bb.413:
	flat_load_b32 v26, v[26:27]
	s_getpc_b64 s[2:3]
	s_add_u32 s2, s2, llvm.amdgcn.dynlds.offset.table@rel32@lo+4
	s_addc_u32 s3, s3, llvm.amdgcn.dynlds.offset.table@rel32@hi+12
	s_ashr_i32 s11, s10, 31
	v_dual_mov_b32 v25, 0 :: v_dual_lshlrev_b32 v0, 3, v34
	s_lshl_b64 s[8:9], s[10:11], 2
	v_add_co_u32 v3, vcc_lo, v10, v38
	s_add_u32 s2, s8, s2
	s_addc_u32 s3, s9, s3
	v_dual_mov_b32 v10, 0 :: v_dual_and_b32 v9, 0xf8, v0
	s_load_b32 s0, s[2:3], 0x0
	v_dual_mov_b32 v21, 0 :: v_dual_and_b32 v2, 24, v0
	v_add_co_ci_u32_e32 v8, vcc_lo, v11, v39, vcc_lo
	v_lshlrev_b64 v[0:1], 2, v[16:17]
	v_add_co_u32 v11, vcc_lo, v3, v9
	v_dual_mov_b32 v24, 0 :: v_dual_lshlrev_b32 v3, 5, v20
	v_dual_mov_b32 v28, 0 :: v_dual_add_nc_u32 v27, -1, v12
	v_add_co_ci_u32_e32 v12, vcc_lo, 0, v8, vcc_lo
	v_add_co_u32 v0, vcc_lo, v6, v0
	v_add_co_ci_u32_e32 v1, vcc_lo, v7, v1, vcc_lo
	v_lshl_add_u32 v6, v36, 5, s17
	v_lshl_or_b32 v3, v36, 7, v3
	s_delay_alu instid0(VALU_DEP_4) | instskip(NEXT) | instid1(VALU_DEP_4)
	v_add_co_u32 v13, vcc_lo, v14, v0
	v_add_co_ci_u32_e32 v14, vcc_lo, v15, v1, vcc_lo
	s_delay_alu instid0(VALU_DEP_4)
	v_add3_u32 v15, v6, v2, 7
	s_waitcnt lgkmcnt(0)
	v_add_nc_u32_e32 v17, s0, v3
	s_mov_b32 s2, -1
	s_mov_b32 s3, 0xffffff
	s_mov_b32 s8, 0
	s_branch .LBB452_415
.LBB452_414:                            ;   in Loop: Header=BB452_415 Depth=1
	s_or_b32 exec_lo, exec_lo, s0
	v_and_b32_e32 v51, 0xffff0000, v71
	v_and_b32_e32 v30, 0xffff0000, v30
	v_and_b32_e32 v8, 0xffff0000, v8
	v_and_b32_e32 v52, 0xffff0000, v81
	v_and_b32_e32 v29, 0xffff0000, v29
	v_and_b32_e32 v31, 0xffff0000, v31
	v_and_b32_e32 v7, 0xffff0000, v7
	v_and_b32_e32 v6, 0xffff0000, v6
	v_and_b32_e32 v48, 0xffff0000, v48
	s_delay_alu instid0(VALU_DEP_4) | instskip(NEXT) | instid1(VALU_DEP_3)
	v_dual_add_f32 v8, v8, v29 :: v_dual_add_f32 v29, v30, v31
	v_dual_add_f32 v6, v6, v7 :: v_dual_and_b32 v31, 0xffff0000, v80
	v_and_b32_e32 v3, 0xffff0000, v3
	v_and_b32_e32 v9, 0xffff0000, v9
	s_delay_alu instid0(VALU_DEP_4) | instskip(NEXT) | instid1(VALU_DEP_4)
	v_dual_add_f32 v8, v8, v29 :: v_dual_and_b32 v29, 0xffff0000, v84
	v_add_f32_e32 v31, v51, v31
	v_and_b32_e32 v51, 0xffff0000, v83
	v_and_b32_e32 v32, 0xffff0000, v32
	v_add_nc_u32_e32 v16, 4, v16
	v_add_co_u32 v13, s0, v13, 16
	s_delay_alu instid0(VALU_DEP_4) | instskip(SKIP_1) | instid1(VALU_DEP_4)
	v_dual_add_f32 v29, v51, v29 :: v_dual_and_b32 v38, 0xffff0000, v38
	v_and_b32_e32 v30, 0xffff0000, v82
	v_cmp_ge_i32_e32 vcc_lo, v16, v37
	v_add_co_ci_u32_e64 v14, s0, 0, v14, s0
	s_delay_alu instid0(VALU_DEP_3) | instskip(SKIP_3) | instid1(VALU_DEP_3)
	v_dual_add_f32 v30, v52, v30 :: v_dual_add_nc_u32 v15, 0x80, v15
	v_and_b32_e32 v33, 0xffff0000, v33
	v_add_nc_u32_e32 v17, 0x200, v17
	s_or_b32 s8, vcc_lo, s8
	v_add_f32_e32 v30, v31, v30
	s_delay_alu instid0(VALU_DEP_3) | instskip(NEXT) | instid1(VALU_DEP_1)
	v_add_f32_e32 v32, v32, v33
	v_dual_add_f32 v29, v30, v29 :: v_dual_add_f32 v8, v8, v32
	v_and_b32_e32 v1, 0xffff0000, v1
	v_and_b32_e32 v0, 0xffff0000, v0
	;; [unrolled: 1-line block ×4, first 2 shown]
	s_delay_alu instid0(VALU_DEP_3) | instskip(SKIP_1) | instid1(VALU_DEP_4)
	v_dual_add_f32 v0, v0, v1 :: v_dual_add_f32 v1, v3, v48
	v_and_b32_e32 v39, 0xffff0000, v96
	v_add_f32_e32 v31, v38, v33
	v_and_b32_e32 v3, 0xffff0000, v49
	s_delay_alu instid0(VALU_DEP_4) | instskip(NEXT) | instid1(VALU_DEP_1)
	v_dual_add_f32 v0, v0, v1 :: v_dual_and_b32 v51, 0xffff0000, v87
	v_add_f32_e32 v7, v51, v39
	v_and_b32_e32 v33, 0xffff0000, v86
	v_and_b32_e32 v39, 0xffff0000, v50
	;; [unrolled: 1-line block ×3, first 2 shown]
	s_delay_alu instid0(VALU_DEP_4) | instskip(NEXT) | instid1(VALU_DEP_3)
	v_add_f32_e32 v6, v6, v7
	v_add_f32_e32 v1, v3, v39
	;; [unrolled: 1-line block ×3, first 2 shown]
	s_delay_alu instid0(VALU_DEP_1) | instskip(NEXT) | instid1(VALU_DEP_1)
	v_dual_add_f32 v0, v0, v1 :: v_dual_add_f32 v3, v29, v3
	v_dual_add_f32 v25, v25, v3 :: v_dual_and_b32 v2, 0xffff0000, v2
	s_delay_alu instid0(VALU_DEP_1) | instskip(SKIP_1) | instid1(VALU_DEP_2)
	v_dual_add_f32 v1, v9, v2 :: v_dual_and_b32 v38, 0xffff0000, v97
	v_and_b32_e32 v52, 0xffff0000, v99
	v_dual_add_f32 v2, v8, v31 :: v_dual_add_f32 v7, v38, v30
	s_delay_alu instid0(VALU_DEP_3) | instskip(NEXT) | instid1(VALU_DEP_2)
	v_dual_add_f32 v0, v0, v1 :: v_dual_and_b32 v53, 0xffff0000, v100
	v_add_f32_e32 v28, v28, v2
	s_delay_alu instid0(VALU_DEP_2) | instskip(NEXT) | instid1(VALU_DEP_1)
	v_dual_add_f32 v6, v6, v7 :: v_dual_add_f32 v7, v52, v53
	v_dual_add_f32 v21, v21, v0 :: v_dual_add_f32 v6, v6, v7
	s_delay_alu instid0(VALU_DEP_1)
	v_add_f32_e32 v24, v24, v6
	s_and_not1_b32 exec_lo, exec_lo, s8
	s_cbranch_execz .LBB452_967
.LBB452_415:                            ; =>This Inner Loop Header: Depth=1
	flat_load_b32 v48, v[13:14]
	ds_load_2addr_b64 v[6:9], v17 offset1:1
	ds_load_2addr_b64 v[0:3], v17 offset0:2 offset1:3
	s_mov_b32 s0, exec_lo
                                        ; implicit-def: $vgpr55
	s_waitcnt lgkmcnt(1)
	v_and_b32_e32 v29, 0x7f800000, v6
	s_delay_alu instid0(VALU_DEP_1)
	v_cmpx_ne_u32_e32 0x7f800000, v29
	s_xor_b32 s0, exec_lo, s0
; %bb.416:                              ;   in Loop: Header=BB452_415 Depth=1
	v_bfe_u32 v29, v6, 16, 1
	s_delay_alu instid0(VALU_DEP_1)
	v_add3_u32 v55, v6, v29, 0x7fff
; %bb.417:                              ;   in Loop: Header=BB452_415 Depth=1
	s_and_not1_saveexec_b32 s0, s0
; %bb.418:                              ;   in Loop: Header=BB452_415 Depth=1
	v_and_b32_e32 v29, 0xffff, v6
	v_or_b32_e32 v30, 0x10000, v6
	s_delay_alu instid0(VALU_DEP_2) | instskip(NEXT) | instid1(VALU_DEP_2)
	v_cmp_eq_u32_e32 vcc_lo, 0, v29
	v_cndmask_b32_e32 v55, v30, v6, vcc_lo
; %bb.419:                              ;   in Loop: Header=BB452_415 Depth=1
	s_or_b32 exec_lo, exec_lo, s0
	v_and_b32_e32 v6, 0x7f800000, v7
	s_mov_b32 s0, exec_lo
                                        ; implicit-def: $vgpr29
	s_delay_alu instid0(VALU_DEP_1)
	v_cmpx_ne_u32_e32 0x7f800000, v6
	s_xor_b32 s0, exec_lo, s0
; %bb.420:                              ;   in Loop: Header=BB452_415 Depth=1
	v_bfe_u32 v6, v7, 16, 1
	s_delay_alu instid0(VALU_DEP_1)
	v_add3_u32 v29, v7, v6, 0x7fff
; %bb.421:                              ;   in Loop: Header=BB452_415 Depth=1
	s_and_not1_saveexec_b32 s0, s0
; %bb.422:                              ;   in Loop: Header=BB452_415 Depth=1
	v_and_b32_e32 v6, 0xffff, v7
	v_or_b32_e32 v29, 0x10000, v7
	s_delay_alu instid0(VALU_DEP_2) | instskip(NEXT) | instid1(VALU_DEP_2)
	v_cmp_eq_u32_e32 vcc_lo, 0, v6
	v_cndmask_b32_e32 v29, v29, v7, vcc_lo
; %bb.423:                              ;   in Loop: Header=BB452_415 Depth=1
	s_or_b32 exec_lo, exec_lo, s0
	v_and_b32_e32 v6, 0x7f800000, v8
	s_mov_b32 s0, exec_lo
                                        ; implicit-def: $vgpr30
	s_delay_alu instid0(VALU_DEP_1)
	v_cmpx_ne_u32_e32 0x7f800000, v6
	s_xor_b32 s0, exec_lo, s0
; %bb.424:                              ;   in Loop: Header=BB452_415 Depth=1
	v_bfe_u32 v6, v8, 16, 1
	s_delay_alu instid0(VALU_DEP_1)
	v_add3_u32 v30, v8, v6, 0x7fff
; %bb.425:                              ;   in Loop: Header=BB452_415 Depth=1
	s_and_not1_saveexec_b32 s0, s0
; %bb.426:                              ;   in Loop: Header=BB452_415 Depth=1
	v_and_b32_e32 v6, 0xffff, v8
	v_or_b32_e32 v7, 0x10000, v8
	s_delay_alu instid0(VALU_DEP_2) | instskip(NEXT) | instid1(VALU_DEP_2)
	v_cmp_eq_u32_e32 vcc_lo, 0, v6
	v_cndmask_b32_e32 v30, v7, v8, vcc_lo
; %bb.427:                              ;   in Loop: Header=BB452_415 Depth=1
	s_or_b32 exec_lo, exec_lo, s0
	v_and_b32_e32 v6, 0x7f800000, v9
	s_mov_b32 s0, exec_lo
                                        ; implicit-def: $vgpr31
	s_delay_alu instid0(VALU_DEP_1)
	v_cmpx_ne_u32_e32 0x7f800000, v6
	s_xor_b32 s0, exec_lo, s0
; %bb.428:                              ;   in Loop: Header=BB452_415 Depth=1
	v_bfe_u32 v6, v9, 16, 1
	s_delay_alu instid0(VALU_DEP_1)
	v_add3_u32 v31, v9, v6, 0x7fff
                                        ; implicit-def: $vgpr6_vgpr7_vgpr8_vgpr9
; %bb.429:                              ;   in Loop: Header=BB452_415 Depth=1
	s_and_not1_saveexec_b32 s0, s0
; %bb.430:                              ;   in Loop: Header=BB452_415 Depth=1
	v_and_b32_e32 v6, 0xffff, v9
	v_or_b32_e32 v7, 0x10000, v9
	s_delay_alu instid0(VALU_DEP_2) | instskip(NEXT) | instid1(VALU_DEP_2)
	v_cmp_eq_u32_e32 vcc_lo, 0, v6
	v_cndmask_b32_e32 v31, v7, v9, vcc_lo
; %bb.431:                              ;   in Loop: Header=BB452_415 Depth=1
	s_or_b32 exec_lo, exec_lo, s0
	s_waitcnt lgkmcnt(0)
	v_and_b32_e32 v6, 0x7f800000, v0
	s_mov_b32 s0, exec_lo
                                        ; implicit-def: $vgpr32
	s_delay_alu instid0(VALU_DEP_1)
	v_cmpx_ne_u32_e32 0x7f800000, v6
	s_xor_b32 s0, exec_lo, s0
; %bb.432:                              ;   in Loop: Header=BB452_415 Depth=1
	v_bfe_u32 v6, v0, 16, 1
	s_delay_alu instid0(VALU_DEP_1)
	v_add3_u32 v32, v0, v6, 0x7fff
; %bb.433:                              ;   in Loop: Header=BB452_415 Depth=1
	s_and_not1_saveexec_b32 s0, s0
; %bb.434:                              ;   in Loop: Header=BB452_415 Depth=1
	v_and_b32_e32 v6, 0xffff, v0
	v_or_b32_e32 v7, 0x10000, v0
	s_delay_alu instid0(VALU_DEP_2) | instskip(NEXT) | instid1(VALU_DEP_2)
	v_cmp_eq_u32_e32 vcc_lo, 0, v6
	v_cndmask_b32_e32 v32, v7, v0, vcc_lo
; %bb.435:                              ;   in Loop: Header=BB452_415 Depth=1
	s_or_b32 exec_lo, exec_lo, s0
	v_and_b32_e32 v0, 0x7f800000, v1
	s_mov_b32 s0, exec_lo
                                        ; implicit-def: $vgpr33
	s_delay_alu instid0(VALU_DEP_1)
	v_cmpx_ne_u32_e32 0x7f800000, v0
	s_xor_b32 s0, exec_lo, s0
; %bb.436:                              ;   in Loop: Header=BB452_415 Depth=1
	v_bfe_u32 v0, v1, 16, 1
	s_delay_alu instid0(VALU_DEP_1)
	v_add3_u32 v33, v1, v0, 0x7fff
; %bb.437:                              ;   in Loop: Header=BB452_415 Depth=1
	s_and_not1_saveexec_b32 s0, s0
; %bb.438:                              ;   in Loop: Header=BB452_415 Depth=1
	v_and_b32_e32 v0, 0xffff, v1
	v_or_b32_e32 v6, 0x10000, v1
	s_delay_alu instid0(VALU_DEP_2) | instskip(NEXT) | instid1(VALU_DEP_2)
	v_cmp_eq_u32_e32 vcc_lo, 0, v0
	v_cndmask_b32_e32 v33, v6, v1, vcc_lo
; %bb.439:                              ;   in Loop: Header=BB452_415 Depth=1
	s_or_b32 exec_lo, exec_lo, s0
	v_and_b32_e32 v0, 0x7f800000, v2
	s_mov_b32 s0, exec_lo
                                        ; implicit-def: $vgpr38
	s_delay_alu instid0(VALU_DEP_1)
	v_cmpx_ne_u32_e32 0x7f800000, v0
	s_xor_b32 s0, exec_lo, s0
; %bb.440:                              ;   in Loop: Header=BB452_415 Depth=1
	v_bfe_u32 v0, v2, 16, 1
	s_delay_alu instid0(VALU_DEP_1)
	v_add3_u32 v38, v2, v0, 0x7fff
; %bb.441:                              ;   in Loop: Header=BB452_415 Depth=1
	s_and_not1_saveexec_b32 s0, s0
; %bb.442:                              ;   in Loop: Header=BB452_415 Depth=1
	v_and_b32_e32 v0, 0xffff, v2
	v_or_b32_e32 v1, 0x10000, v2
	s_delay_alu instid0(VALU_DEP_2) | instskip(NEXT) | instid1(VALU_DEP_2)
	v_cmp_eq_u32_e32 vcc_lo, 0, v0
	v_cndmask_b32_e32 v38, v1, v2, vcc_lo
; %bb.443:                              ;   in Loop: Header=BB452_415 Depth=1
	s_or_b32 exec_lo, exec_lo, s0
	v_and_b32_e32 v0, 0x7f800000, v3
	s_mov_b32 s0, exec_lo
                                        ; implicit-def: $vgpr39
	s_delay_alu instid0(VALU_DEP_1)
	v_cmpx_ne_u32_e32 0x7f800000, v0
	s_xor_b32 s0, exec_lo, s0
; %bb.444:                              ;   in Loop: Header=BB452_415 Depth=1
	v_bfe_u32 v0, v3, 16, 1
	s_delay_alu instid0(VALU_DEP_1)
	v_add3_u32 v39, v3, v0, 0x7fff
                                        ; implicit-def: $vgpr0_vgpr1_vgpr2_vgpr3
; %bb.445:                              ;   in Loop: Header=BB452_415 Depth=1
	s_and_not1_saveexec_b32 s0, s0
; %bb.446:                              ;   in Loop: Header=BB452_415 Depth=1
	v_and_b32_e32 v0, 0xffff, v3
	v_or_b32_e32 v1, 0x10000, v3
	s_delay_alu instid0(VALU_DEP_2) | instskip(NEXT) | instid1(VALU_DEP_2)
	v_cmp_eq_u32_e32 vcc_lo, 0, v0
	v_cndmask_b32_e32 v39, v1, v3, vcc_lo
; %bb.447:                              ;   in Loop: Header=BB452_415 Depth=1
	s_or_b32 exec_lo, exec_lo, s0
	s_waitcnt vmcnt(0)
	v_mad_i64_i32 v[0:1], null, v48, v22, v[11:12]
	s_mov_b32 s0, exec_lo
	v_mov_b32_e32 v6, 0
	flat_load_b64 v[2:3], v[0:1]
	s_waitcnt vmcnt(0) lgkmcnt(0)
	v_and_b32_e32 v7, 0xff, v2
	s_delay_alu instid0(VALU_DEP_1)
	v_cmpx_ne_u16_e32 0, v7
	s_cbranch_execz .LBB452_455
; %bb.448:                              ;   in Loop: Header=BB452_415 Depth=1
	v_bfrev_b32_e32 v6, 1
	s_mov_b32 s9, exec_lo
	v_cmpx_ne_u16_e32 0x80, v7
	s_cbranch_execz .LBB452_454
; %bb.449:                              ;   in Loop: Header=BB452_415 Depth=1
	v_and_b32_e32 v7, 0x7f, v2
	v_mov_b32_e32 v6, 0x7f800001
	s_mov_b32 s12, exec_lo
	s_delay_alu instid0(VALU_DEP_2)
	v_cmpx_ne_u32_e32 0x7f, v7
	s_cbranch_execz .LBB452_453
; %bb.450:                              ;   in Loop: Header=BB452_415 Depth=1
	v_lshrrev_b32_e32 v8, 3, v7
	v_cmp_gt_u32_e32 vcc_lo, 8, v7
	v_dual_mov_b32 v7, v3 :: v_dual_mov_b32 v6, v2
	s_and_saveexec_b32 s13, vcc_lo
; %bb.451:                              ;   in Loop: Header=BB452_415 Depth=1
	v_and_b32_e32 v6, 7, v2
	s_delay_alu instid0(VALU_DEP_1) | instskip(NEXT) | instid1(VALU_DEP_1)
	v_clz_i32_u32_e32 v6, v6
	v_min_u32_e32 v8, 32, v6
	s_delay_alu instid0(VALU_DEP_1) | instskip(SKIP_1) | instid1(VALU_DEP_2)
	v_subrev_nc_u32_e32 v6, 28, v8
	v_sub_nc_u32_e32 v8, 29, v8
	v_lshlrev_b64 v[6:7], v6, v[2:3]
; %bb.452:                              ;   in Loop: Header=BB452_415 Depth=1
	s_or_b32 exec_lo, exec_lo, s13
	s_delay_alu instid0(VALU_DEP_1) | instskip(SKIP_2) | instid1(VALU_DEP_3)
	v_lshlrev_b32_e32 v6, 20, v6
	v_lshlrev_b32_e32 v7, 24, v2
	v_lshl_add_u32 v8, v8, 23, 0x3c000000
	v_and_b32_e32 v6, 0x700000, v6
	s_delay_alu instid0(VALU_DEP_3) | instskip(NEXT) | instid1(VALU_DEP_1)
	v_and_b32_e32 v7, 0x80000000, v7
	v_or3_b32 v6, v6, v7, v8
.LBB452_453:                            ;   in Loop: Header=BB452_415 Depth=1
	s_or_b32 exec_lo, exec_lo, s12
.LBB452_454:                            ;   in Loop: Header=BB452_415 Depth=1
	s_delay_alu instid0(SALU_CYCLE_1)
	s_or_b32 exec_lo, exec_lo, s9
.LBB452_455:                            ;   in Loop: Header=BB452_415 Depth=1
	s_delay_alu instid0(SALU_CYCLE_1) | instskip(NEXT) | instid1(VALU_DEP_1)
	s_or_b32 exec_lo, exec_lo, s0
	v_mul_f32_e32 v6, v26, v6
	s_mov_b32 s0, exec_lo
                                        ; implicit-def: $vgpr8
	s_delay_alu instid0(VALU_DEP_1) | instskip(NEXT) | instid1(VALU_DEP_1)
	v_and_b32_e32 v7, 0x7f800000, v6
	v_cmpx_ne_u32_e32 0x7f800000, v7
	s_xor_b32 s0, exec_lo, s0
; %bb.456:                              ;   in Loop: Header=BB452_415 Depth=1
	v_bfe_u32 v7, v6, 16, 1
	s_delay_alu instid0(VALU_DEP_1)
	v_add3_u32 v8, v6, v7, 0x7fff
                                        ; implicit-def: $vgpr6
; %bb.457:                              ;   in Loop: Header=BB452_415 Depth=1
	s_and_not1_saveexec_b32 s0, s0
; %bb.458:                              ;   in Loop: Header=BB452_415 Depth=1
	v_and_b32_e32 v7, 0xffff, v6
	v_or_b32_e32 v8, 0x10000, v6
	s_delay_alu instid0(VALU_DEP_2) | instskip(NEXT) | instid1(VALU_DEP_2)
	v_cmp_eq_u32_e32 vcc_lo, 0, v7
	v_cndmask_b32_e32 v8, v8, v6, vcc_lo
; %bb.459:                              ;   in Loop: Header=BB452_415 Depth=1
	s_or_b32 exec_lo, exec_lo, s0
	v_lshrrev_b16 v7, 8, v2
	v_mov_b32_e32 v6, 0
	s_mov_b32 s0, exec_lo
	s_delay_alu instid0(VALU_DEP_2)
	v_cmpx_ne_u16_e32 0, v7
	s_cbranch_execz .LBB452_467
; %bb.460:                              ;   in Loop: Header=BB452_415 Depth=1
	v_bfrev_b32_e32 v6, 1
	s_mov_b32 s9, exec_lo
	v_cmpx_ne_u16_e32 0x80, v7
	s_cbranch_execz .LBB452_466
; %bb.461:                              ;   in Loop: Header=BB452_415 Depth=1
	v_and_b32_e32 v9, 0xffff, v7
	v_mov_b32_e32 v6, 0x7f800001
	s_mov_b32 s12, exec_lo
	s_delay_alu instid0(VALU_DEP_2) | instskip(NEXT) | instid1(VALU_DEP_1)
	v_and_b32_e32 v7, 0x7f, v9
	v_cmpx_ne_u32_e32 0x7f, v7
	s_cbranch_execz .LBB452_465
; %bb.462:                              ;   in Loop: Header=BB452_415 Depth=1
	v_and_b32_e32 v9, 7, v9
	v_lshrrev_b32_e32 v6, 3, v7
	s_mov_b32 s13, exec_lo
	v_cmpx_gt_u32_e32 8, v7
; %bb.463:                              ;   in Loop: Header=BB452_415 Depth=1
	s_delay_alu instid0(VALU_DEP_3) | instskip(NEXT) | instid1(VALU_DEP_1)
	v_clz_i32_u32_e32 v6, v9
	v_min_u32_e32 v6, 32, v6
	s_delay_alu instid0(VALU_DEP_1) | instskip(SKIP_1) | instid1(VALU_DEP_2)
	v_subrev_nc_u32_e32 v7, 28, v6
	v_sub_nc_u32_e32 v6, 29, v6
	v_lshlrev_b64 v[48:49], v7, v[9:10]
	s_delay_alu instid0(VALU_DEP_1)
	v_and_b32_e32 v9, 7, v48
; %bb.464:                              ;   in Loop: Header=BB452_415 Depth=1
	s_or_b32 exec_lo, exec_lo, s13
	v_lshlrev_b32_e32 v7, 16, v2
	s_delay_alu instid0(VALU_DEP_2) | instskip(SKIP_1) | instid1(VALU_DEP_3)
	v_lshlrev_b32_e32 v9, 20, v9
	v_lshl_add_u32 v6, v6, 23, 0x3c000000
	v_and_b32_e32 v7, 0x80000000, v7
	s_delay_alu instid0(VALU_DEP_1)
	v_or3_b32 v6, v9, v7, v6
.LBB452_465:                            ;   in Loop: Header=BB452_415 Depth=1
	s_or_b32 exec_lo, exec_lo, s12
.LBB452_466:                            ;   in Loop: Header=BB452_415 Depth=1
	s_delay_alu instid0(SALU_CYCLE_1)
	s_or_b32 exec_lo, exec_lo, s9
.LBB452_467:                            ;   in Loop: Header=BB452_415 Depth=1
	s_delay_alu instid0(SALU_CYCLE_1) | instskip(NEXT) | instid1(VALU_DEP_1)
	s_or_b32 exec_lo, exec_lo, s0
	v_mul_f32_e32 v6, v26, v6
	s_mov_b32 s0, exec_lo
                                        ; implicit-def: $vgpr49
	s_delay_alu instid0(VALU_DEP_1) | instskip(NEXT) | instid1(VALU_DEP_1)
	v_and_b32_e32 v7, 0x7f800000, v6
	v_cmpx_ne_u32_e32 0x7f800000, v7
	s_xor_b32 s0, exec_lo, s0
; %bb.468:                              ;   in Loop: Header=BB452_415 Depth=1
	v_bfe_u32 v7, v6, 16, 1
	s_delay_alu instid0(VALU_DEP_1)
	v_add3_u32 v49, v6, v7, 0x7fff
                                        ; implicit-def: $vgpr6
; %bb.469:                              ;   in Loop: Header=BB452_415 Depth=1
	s_and_not1_saveexec_b32 s0, s0
; %bb.470:                              ;   in Loop: Header=BB452_415 Depth=1
	v_and_b32_e32 v7, 0xffff, v6
	v_or_b32_e32 v9, 0x10000, v6
	s_delay_alu instid0(VALU_DEP_2) | instskip(NEXT) | instid1(VALU_DEP_2)
	v_cmp_eq_u32_e32 vcc_lo, 0, v7
	v_cndmask_b32_e32 v49, v9, v6, vcc_lo
; %bb.471:                              ;   in Loop: Header=BB452_415 Depth=1
	s_or_b32 exec_lo, exec_lo, s0
	v_lshrrev_b32_e32 v6, 16, v2
	v_mov_b32_e32 v7, 0
	s_mov_b32 s0, exec_lo
	s_delay_alu instid0(VALU_DEP_2) | instskip(NEXT) | instid1(VALU_DEP_1)
	v_and_b32_e32 v9, 0xff, v6
	v_cmpx_ne_u16_e32 0, v9
	s_cbranch_execz .LBB452_479
; %bb.472:                              ;   in Loop: Header=BB452_415 Depth=1
	v_bfrev_b32_e32 v7, 1
	s_mov_b32 s9, exec_lo
	v_cmpx_ne_u16_e32 0x80, v9
	s_cbranch_execz .LBB452_478
; %bb.473:                              ;   in Loop: Header=BB452_415 Depth=1
	v_bfe_u32 v48, v2, 16, 7
	v_mov_b32_e32 v7, 0x7f800001
	s_mov_b32 s12, exec_lo
	s_delay_alu instid0(VALU_DEP_2)
	v_cmpx_ne_u32_e32 0x7f, v48
	s_cbranch_execz .LBB452_477
; %bb.474:                              ;   in Loop: Header=BB452_415 Depth=1
	v_and_b32_e32 v9, 7, v6
	v_lshrrev_b32_e32 v7, 3, v48
	s_mov_b32 s13, exec_lo
	v_cmpx_gt_u32_e32 8, v48
; %bb.475:                              ;   in Loop: Header=BB452_415 Depth=1
	s_delay_alu instid0(VALU_DEP_3) | instskip(NEXT) | instid1(VALU_DEP_1)
	v_clz_i32_u32_e32 v7, v9
	v_min_u32_e32 v7, 32, v7
	s_delay_alu instid0(VALU_DEP_1) | instskip(SKIP_1) | instid1(VALU_DEP_2)
	v_subrev_nc_u32_e32 v48, 28, v7
	v_sub_nc_u32_e32 v7, 29, v7
	v_lshlrev_b64 v[50:51], v48, v[9:10]
	s_delay_alu instid0(VALU_DEP_1)
	v_and_b32_e32 v9, 7, v50
; %bb.476:                              ;   in Loop: Header=BB452_415 Depth=1
	s_or_b32 exec_lo, exec_lo, s13
	v_lshlrev_b32_e32 v6, 24, v6
	s_delay_alu instid0(VALU_DEP_2) | instskip(SKIP_1) | instid1(VALU_DEP_3)
	v_lshlrev_b32_e32 v9, 20, v9
	v_lshl_add_u32 v7, v7, 23, 0x3c000000
	v_and_b32_e32 v6, 0x80000000, v6
	s_delay_alu instid0(VALU_DEP_1)
	v_or3_b32 v7, v9, v6, v7
.LBB452_477:                            ;   in Loop: Header=BB452_415 Depth=1
	s_or_b32 exec_lo, exec_lo, s12
.LBB452_478:                            ;   in Loop: Header=BB452_415 Depth=1
	s_delay_alu instid0(SALU_CYCLE_1)
	s_or_b32 exec_lo, exec_lo, s9
.LBB452_479:                            ;   in Loop: Header=BB452_415 Depth=1
	s_delay_alu instid0(SALU_CYCLE_1) | instskip(NEXT) | instid1(VALU_DEP_1)
	s_or_b32 exec_lo, exec_lo, s0
	v_mul_f32_e32 v6, v26, v7
	s_mov_b32 s0, exec_lo
                                        ; implicit-def: $vgpr50
	s_delay_alu instid0(VALU_DEP_1) | instskip(NEXT) | instid1(VALU_DEP_1)
	v_and_b32_e32 v7, 0x7f800000, v6
	v_cmpx_ne_u32_e32 0x7f800000, v7
	s_xor_b32 s0, exec_lo, s0
; %bb.480:                              ;   in Loop: Header=BB452_415 Depth=1
	v_bfe_u32 v7, v6, 16, 1
	s_delay_alu instid0(VALU_DEP_1)
	v_add3_u32 v50, v6, v7, 0x7fff
                                        ; implicit-def: $vgpr6
; %bb.481:                              ;   in Loop: Header=BB452_415 Depth=1
	s_and_not1_saveexec_b32 s0, s0
; %bb.482:                              ;   in Loop: Header=BB452_415 Depth=1
	v_and_b32_e32 v7, 0xffff, v6
	v_or_b32_e32 v9, 0x10000, v6
	s_delay_alu instid0(VALU_DEP_2) | instskip(NEXT) | instid1(VALU_DEP_2)
	v_cmp_eq_u32_e32 vcc_lo, 0, v7
	v_cndmask_b32_e32 v50, v9, v6, vcc_lo
; %bb.483:                              ;   in Loop: Header=BB452_415 Depth=1
	s_or_b32 exec_lo, exec_lo, s0
	v_mov_b32_e32 v7, 0
	s_mov_b32 s0, exec_lo
	v_cmpx_lt_u32_e32 0xffffff, v2
	s_cbranch_execz .LBB452_491
; %bb.484:                              ;   in Loop: Header=BB452_415 Depth=1
	v_lshrrev_b32_e32 v6, 24, v2
	v_bfrev_b32_e32 v7, 1
	s_mov_b32 s9, exec_lo
	s_delay_alu instid0(VALU_DEP_2)
	v_cmpx_ne_u32_e32 0x80, v6
	s_cbranch_execz .LBB452_490
; %bb.485:                              ;   in Loop: Header=BB452_415 Depth=1
	v_bfe_u32 v48, v2, 24, 7
	v_mov_b32_e32 v7, 0x7f800001
	s_mov_b32 s12, exec_lo
	s_delay_alu instid0(VALU_DEP_2)
	v_cmpx_ne_u32_e32 0x7f, v48
	s_cbranch_execz .LBB452_489
; %bb.486:                              ;   in Loop: Header=BB452_415 Depth=1
	v_and_b32_e32 v9, 7, v6
	v_lshrrev_b32_e32 v7, 3, v48
	s_mov_b32 s13, exec_lo
	v_cmpx_gt_u32_e32 8, v48
; %bb.487:                              ;   in Loop: Header=BB452_415 Depth=1
	s_delay_alu instid0(VALU_DEP_3) | instskip(NEXT) | instid1(VALU_DEP_1)
	v_clz_i32_u32_e32 v7, v9
	v_min_u32_e32 v7, 32, v7
	s_delay_alu instid0(VALU_DEP_1) | instskip(SKIP_1) | instid1(VALU_DEP_2)
	v_subrev_nc_u32_e32 v48, 28, v7
	v_sub_nc_u32_e32 v7, 29, v7
	v_lshlrev_b64 v[51:52], v48, v[9:10]
	s_delay_alu instid0(VALU_DEP_1)
	v_and_b32_e32 v9, 7, v51
; %bb.488:                              ;   in Loop: Header=BB452_415 Depth=1
	s_or_b32 exec_lo, exec_lo, s13
	v_lshlrev_b32_e32 v6, 24, v6
	s_delay_alu instid0(VALU_DEP_2) | instskip(SKIP_1) | instid1(VALU_DEP_3)
	v_lshlrev_b32_e32 v9, 20, v9
	v_lshl_add_u32 v7, v7, 23, 0x3c000000
	v_and_b32_e32 v6, 0x80000000, v6
	s_delay_alu instid0(VALU_DEP_1)
	v_or3_b32 v7, v9, v6, v7
.LBB452_489:                            ;   in Loop: Header=BB452_415 Depth=1
	s_or_b32 exec_lo, exec_lo, s12
.LBB452_490:                            ;   in Loop: Header=BB452_415 Depth=1
	s_delay_alu instid0(SALU_CYCLE_1)
	s_or_b32 exec_lo, exec_lo, s9
.LBB452_491:                            ;   in Loop: Header=BB452_415 Depth=1
	s_delay_alu instid0(SALU_CYCLE_1) | instskip(NEXT) | instid1(VALU_DEP_1)
	s_or_b32 exec_lo, exec_lo, s0
	v_mul_f32_e32 v6, v26, v7
	s_mov_b32 s0, exec_lo
                                        ; implicit-def: $vgpr51
	s_delay_alu instid0(VALU_DEP_1) | instskip(NEXT) | instid1(VALU_DEP_1)
	v_and_b32_e32 v7, 0x7f800000, v6
	v_cmpx_ne_u32_e32 0x7f800000, v7
	s_xor_b32 s0, exec_lo, s0
; %bb.492:                              ;   in Loop: Header=BB452_415 Depth=1
	v_bfe_u32 v7, v6, 16, 1
	s_delay_alu instid0(VALU_DEP_1)
	v_add3_u32 v51, v6, v7, 0x7fff
                                        ; implicit-def: $vgpr6
; %bb.493:                              ;   in Loop: Header=BB452_415 Depth=1
	s_and_not1_saveexec_b32 s0, s0
; %bb.494:                              ;   in Loop: Header=BB452_415 Depth=1
	v_and_b32_e32 v7, 0xffff, v6
	v_or_b32_e32 v9, 0x10000, v6
	s_delay_alu instid0(VALU_DEP_2) | instskip(NEXT) | instid1(VALU_DEP_2)
	v_cmp_eq_u32_e32 vcc_lo, 0, v7
	v_cndmask_b32_e32 v51, v9, v6, vcc_lo
; %bb.495:                              ;   in Loop: Header=BB452_415 Depth=1
	s_or_b32 exec_lo, exec_lo, s0
	v_dual_mov_b32 v6, 0 :: v_dual_and_b32 v7, 0xff, v3
	v_mov_b32_e32 v9, v3
	s_mov_b32 s0, exec_lo
	s_delay_alu instid0(VALU_DEP_2)
	v_cmpx_ne_u16_e32 0, v7
	s_cbranch_execz .LBB452_503
; %bb.496:                              ;   in Loop: Header=BB452_415 Depth=1
	v_bfrev_b32_e32 v6, 1
	s_mov_b32 s9, exec_lo
	v_cmpx_ne_u16_e32 0x80, v7
	s_cbranch_execz .LBB452_502
; %bb.497:                              ;   in Loop: Header=BB452_415 Depth=1
	v_and_b32_e32 v7, 0x7f, v3
	v_mov_b32_e32 v6, 0x7f800001
	s_mov_b32 s12, exec_lo
	s_delay_alu instid0(VALU_DEP_2)
	v_cmpx_ne_u32_e32 0x7f, v7
	s_cbranch_execz .LBB452_501
; %bb.498:                              ;   in Loop: Header=BB452_415 Depth=1
	v_lshrrev_b32_e32 v48, 3, v7
	v_cmp_gt_u32_e32 vcc_lo, 8, v7
	v_dual_mov_b32 v6, v9 :: v_dual_mov_b32 v7, v10
	s_and_saveexec_b32 s13, vcc_lo
; %bb.499:                              ;   in Loop: Header=BB452_415 Depth=1
	v_and_b32_e32 v6, 7, v3
	s_delay_alu instid0(VALU_DEP_1) | instskip(NEXT) | instid1(VALU_DEP_1)
	v_clz_i32_u32_e32 v6, v6
	v_min_u32_e32 v48, 32, v6
	s_delay_alu instid0(VALU_DEP_1) | instskip(SKIP_1) | instid1(VALU_DEP_2)
	v_subrev_nc_u32_e32 v6, 28, v48
	v_sub_nc_u32_e32 v48, 29, v48
	v_lshlrev_b64 v[6:7], v6, v[9:10]
; %bb.500:                              ;   in Loop: Header=BB452_415 Depth=1
	s_or_b32 exec_lo, exec_lo, s13
	s_delay_alu instid0(VALU_DEP_1) | instskip(SKIP_2) | instid1(VALU_DEP_3)
	v_lshlrev_b32_e32 v6, 20, v6
	v_lshlrev_b32_e32 v7, 24, v9
	v_lshl_add_u32 v48, v48, 23, 0x3c000000
	v_and_b32_e32 v6, 0x700000, v6
	s_delay_alu instid0(VALU_DEP_3) | instskip(NEXT) | instid1(VALU_DEP_1)
	v_and_b32_e32 v7, 0x80000000, v7
	v_or3_b32 v6, v6, v7, v48
.LBB452_501:                            ;   in Loop: Header=BB452_415 Depth=1
	s_or_b32 exec_lo, exec_lo, s12
.LBB452_502:                            ;   in Loop: Header=BB452_415 Depth=1
	s_delay_alu instid0(SALU_CYCLE_1)
	s_or_b32 exec_lo, exec_lo, s9
.LBB452_503:                            ;   in Loop: Header=BB452_415 Depth=1
	s_delay_alu instid0(SALU_CYCLE_1) | instskip(NEXT) | instid1(VALU_DEP_1)
	s_or_b32 exec_lo, exec_lo, s0
	v_mul_f32_e32 v6, v26, v6
	s_mov_b32 s0, exec_lo
                                        ; implicit-def: $vgpr52
	s_delay_alu instid0(VALU_DEP_1) | instskip(NEXT) | instid1(VALU_DEP_1)
	v_and_b32_e32 v7, 0x7f800000, v6
	v_cmpx_ne_u32_e32 0x7f800000, v7
	s_xor_b32 s0, exec_lo, s0
; %bb.504:                              ;   in Loop: Header=BB452_415 Depth=1
	v_bfe_u32 v7, v6, 16, 1
	s_delay_alu instid0(VALU_DEP_1)
	v_add3_u32 v52, v6, v7, 0x7fff
                                        ; implicit-def: $vgpr6
; %bb.505:                              ;   in Loop: Header=BB452_415 Depth=1
	s_and_not1_saveexec_b32 s0, s0
; %bb.506:                              ;   in Loop: Header=BB452_415 Depth=1
	v_and_b32_e32 v7, 0xffff, v6
	v_or_b32_e32 v48, 0x10000, v6
	s_delay_alu instid0(VALU_DEP_2) | instskip(NEXT) | instid1(VALU_DEP_2)
	v_cmp_eq_u32_e32 vcc_lo, 0, v7
	v_cndmask_b32_e32 v52, v48, v6, vcc_lo
; %bb.507:                              ;   in Loop: Header=BB452_415 Depth=1
	s_or_b32 exec_lo, exec_lo, s0
	v_lshrrev_b16 v7, 8, v9
	v_mov_b32_e32 v6, 0
	s_mov_b32 s0, exec_lo
	s_delay_alu instid0(VALU_DEP_2)
	v_cmpx_ne_u16_e32 0, v7
	s_cbranch_execz .LBB452_515
; %bb.508:                              ;   in Loop: Header=BB452_415 Depth=1
	v_bfrev_b32_e32 v6, 1
	s_mov_b32 s9, exec_lo
	v_cmpx_ne_u16_e32 0x80, v7
	s_cbranch_execz .LBB452_514
; %bb.509:                              ;   in Loop: Header=BB452_415 Depth=1
	v_and_b32_e32 v7, 0xffff, v7
	v_mov_b32_e32 v6, 0x7f800001
	s_mov_b32 s12, exec_lo
	s_delay_alu instid0(VALU_DEP_2) | instskip(NEXT) | instid1(VALU_DEP_1)
	v_and_b32_e32 v53, 0x7f, v7
	v_cmpx_ne_u32_e32 0x7f, v53
	s_cbranch_execz .LBB452_513
; %bb.510:                              ;   in Loop: Header=BB452_415 Depth=1
	v_dual_mov_b32 v7, v10 :: v_dual_and_b32 v6, 7, v7
	v_lshrrev_b32_e32 v48, 3, v53
	s_mov_b32 s13, exec_lo
	v_cmpx_gt_u32_e32 8, v53
; %bb.511:                              ;   in Loop: Header=BB452_415 Depth=1
	s_delay_alu instid0(VALU_DEP_3) | instskip(NEXT) | instid1(VALU_DEP_1)
	v_clz_i32_u32_e32 v48, v6
	v_min_u32_e32 v48, 32, v48
	s_delay_alu instid0(VALU_DEP_1) | instskip(SKIP_1) | instid1(VALU_DEP_2)
	v_subrev_nc_u32_e32 v53, 28, v48
	v_sub_nc_u32_e32 v48, 29, v48
	v_lshlrev_b64 v[6:7], v53, v[6:7]
	s_delay_alu instid0(VALU_DEP_1)
	v_and_b32_e32 v6, 7, v6
; %bb.512:                              ;   in Loop: Header=BB452_415 Depth=1
	s_or_b32 exec_lo, exec_lo, s13
	v_lshlrev_b32_e32 v7, 16, v9
	s_delay_alu instid0(VALU_DEP_2) | instskip(SKIP_1) | instid1(VALU_DEP_3)
	v_lshlrev_b32_e32 v6, 20, v6
	v_lshl_add_u32 v9, v48, 23, 0x3c000000
	v_and_b32_e32 v7, 0x80000000, v7
	s_delay_alu instid0(VALU_DEP_1)
	v_or3_b32 v6, v6, v7, v9
.LBB452_513:                            ;   in Loop: Header=BB452_415 Depth=1
	s_or_b32 exec_lo, exec_lo, s12
.LBB452_514:                            ;   in Loop: Header=BB452_415 Depth=1
	s_delay_alu instid0(SALU_CYCLE_1)
	s_or_b32 exec_lo, exec_lo, s9
.LBB452_515:                            ;   in Loop: Header=BB452_415 Depth=1
	s_delay_alu instid0(SALU_CYCLE_1) | instskip(NEXT) | instid1(VALU_DEP_1)
	s_or_b32 exec_lo, exec_lo, s0
	v_mul_f32_e32 v7, v26, v6
	s_delay_alu instid0(VALU_DEP_1) | instskip(NEXT) | instid1(VALU_DEP_1)
	v_and_b32_e32 v6, 0x7f800000, v7
	v_cmp_ne_u32_e32 vcc_lo, 0x7f800000, v6
                                        ; implicit-def: $vgpr6
	s_and_saveexec_b32 s0, vcc_lo
	s_delay_alu instid0(SALU_CYCLE_1)
	s_xor_b32 s0, exec_lo, s0
; %bb.516:                              ;   in Loop: Header=BB452_415 Depth=1
	v_bfe_u32 v6, v7, 16, 1
	s_delay_alu instid0(VALU_DEP_1)
	v_add3_u32 v6, v7, v6, 0x7fff
                                        ; implicit-def: $vgpr7
; %bb.517:                              ;   in Loop: Header=BB452_415 Depth=1
	s_and_not1_saveexec_b32 s0, s0
; %bb.518:                              ;   in Loop: Header=BB452_415 Depth=1
	v_and_b32_e32 v6, 0xffff, v7
	v_or_b32_e32 v9, 0x10000, v7
	s_delay_alu instid0(VALU_DEP_2) | instskip(NEXT) | instid1(VALU_DEP_2)
	v_cmp_eq_u32_e32 vcc_lo, 0, v6
	v_cndmask_b32_e32 v6, v9, v7, vcc_lo
; %bb.519:                              ;   in Loop: Header=BB452_415 Depth=1
	s_or_b32 exec_lo, exec_lo, s0
	v_lshrrev_b32_e32 v7, 16, v3
	s_mov_b32 s0, exec_lo
	s_delay_alu instid0(VALU_DEP_1) | instskip(NEXT) | instid1(VALU_DEP_1)
	v_dual_mov_b32 v9, 0 :: v_dual_and_b32 v48, 0xff, v7
	v_cmpx_ne_u16_e32 0, v48
	s_cbranch_execz .LBB452_527
; %bb.520:                              ;   in Loop: Header=BB452_415 Depth=1
	v_bfrev_b32_e32 v9, 1
	s_mov_b32 s9, exec_lo
	v_cmpx_ne_u16_e32 0x80, v48
	s_cbranch_execz .LBB452_526
; %bb.521:                              ;   in Loop: Header=BB452_415 Depth=1
	v_bfe_u32 v53, v3, 16, 7
	v_mov_b32_e32 v9, 0x7f800001
	s_mov_b32 s12, exec_lo
	s_delay_alu instid0(VALU_DEP_2)
	v_cmpx_ne_u32_e32 0x7f, v53
	s_cbranch_execz .LBB452_525
; %bb.522:                              ;   in Loop: Header=BB452_415 Depth=1
	v_and_b32_e32 v9, 7, v7
	v_lshrrev_b32_e32 v48, 3, v53
	s_mov_b32 s13, exec_lo
	v_cmpx_gt_u32_e32 8, v53
; %bb.523:                              ;   in Loop: Header=BB452_415 Depth=1
	s_delay_alu instid0(VALU_DEP_3) | instskip(NEXT) | instid1(VALU_DEP_1)
	v_clz_i32_u32_e32 v48, v9
	v_min_u32_e32 v48, 32, v48
	s_delay_alu instid0(VALU_DEP_1) | instskip(SKIP_1) | instid1(VALU_DEP_2)
	v_subrev_nc_u32_e32 v53, 28, v48
	v_sub_nc_u32_e32 v48, 29, v48
	v_lshlrev_b64 v[53:54], v53, v[9:10]
	s_delay_alu instid0(VALU_DEP_1)
	v_and_b32_e32 v9, 7, v53
; %bb.524:                              ;   in Loop: Header=BB452_415 Depth=1
	s_or_b32 exec_lo, exec_lo, s13
	v_lshlrev_b32_e32 v7, 24, v7
	s_delay_alu instid0(VALU_DEP_2) | instskip(SKIP_1) | instid1(VALU_DEP_3)
	v_lshlrev_b32_e32 v9, 20, v9
	v_lshl_add_u32 v48, v48, 23, 0x3c000000
	v_and_b32_e32 v7, 0x80000000, v7
	s_delay_alu instid0(VALU_DEP_1)
	v_or3_b32 v9, v9, v7, v48
.LBB452_525:                            ;   in Loop: Header=BB452_415 Depth=1
	s_or_b32 exec_lo, exec_lo, s12
.LBB452_526:                            ;   in Loop: Header=BB452_415 Depth=1
	s_delay_alu instid0(SALU_CYCLE_1)
	s_or_b32 exec_lo, exec_lo, s9
.LBB452_527:                            ;   in Loop: Header=BB452_415 Depth=1
	s_delay_alu instid0(SALU_CYCLE_1) | instskip(NEXT) | instid1(VALU_DEP_1)
	s_or_b32 exec_lo, exec_lo, s0
	v_mul_f32_e32 v7, v26, v9
	s_mov_b32 s0, exec_lo
                                        ; implicit-def: $vgpr53
	s_delay_alu instid0(VALU_DEP_1) | instskip(NEXT) | instid1(VALU_DEP_1)
	v_and_b32_e32 v9, 0x7f800000, v7
	v_cmpx_ne_u32_e32 0x7f800000, v9
	s_xor_b32 s0, exec_lo, s0
; %bb.528:                              ;   in Loop: Header=BB452_415 Depth=1
	v_bfe_u32 v9, v7, 16, 1
	s_delay_alu instid0(VALU_DEP_1)
	v_add3_u32 v53, v7, v9, 0x7fff
                                        ; implicit-def: $vgpr7
; %bb.529:                              ;   in Loop: Header=BB452_415 Depth=1
	s_and_not1_saveexec_b32 s0, s0
; %bb.530:                              ;   in Loop: Header=BB452_415 Depth=1
	v_and_b32_e32 v9, 0xffff, v7
	v_or_b32_e32 v48, 0x10000, v7
	s_delay_alu instid0(VALU_DEP_2) | instskip(NEXT) | instid1(VALU_DEP_2)
	v_cmp_eq_u32_e32 vcc_lo, 0, v9
	v_cndmask_b32_e32 v53, v48, v7, vcc_lo
; %bb.531:                              ;   in Loop: Header=BB452_415 Depth=1
	s_or_b32 exec_lo, exec_lo, s0
	v_mov_b32_e32 v7, 0
	s_mov_b32 s0, exec_lo
	v_cmpx_lt_u64_e64 s[2:3], v[2:3]
	s_cbranch_execz .LBB452_539
; %bb.532:                              ;   in Loop: Header=BB452_415 Depth=1
	v_lshrrev_b32_e32 v2, 24, v3
	v_bfrev_b32_e32 v7, 1
	s_mov_b32 s9, exec_lo
	s_delay_alu instid0(VALU_DEP_2)
	v_cmpx_ne_u32_e32 0x80, v2
	s_cbranch_execz .LBB452_538
; %bb.533:                              ;   in Loop: Header=BB452_415 Depth=1
	v_bfe_u32 v48, v3, 24, 7
	v_mov_b32_e32 v7, 0x7f800001
	s_mov_b32 s12, exec_lo
	s_delay_alu instid0(VALU_DEP_2)
	v_cmpx_ne_u32_e32 0x7f, v48
	s_cbranch_execz .LBB452_537
; %bb.534:                              ;   in Loop: Header=BB452_415 Depth=1
	v_and_b32_e32 v9, 7, v2
	v_lshrrev_b32_e32 v3, 3, v48
	s_mov_b32 s13, exec_lo
	v_cmpx_gt_u32_e32 8, v48
; %bb.535:                              ;   in Loop: Header=BB452_415 Depth=1
	s_delay_alu instid0(VALU_DEP_3) | instskip(NEXT) | instid1(VALU_DEP_1)
	v_clz_i32_u32_e32 v3, v9
	v_min_u32_e32 v3, 32, v3
	s_delay_alu instid0(VALU_DEP_1) | instskip(SKIP_1) | instid1(VALU_DEP_2)
	v_subrev_nc_u32_e32 v7, 28, v3
	v_sub_nc_u32_e32 v3, 29, v3
	v_lshlrev_b64 v[64:65], v7, v[9:10]
	s_delay_alu instid0(VALU_DEP_1)
	v_and_b32_e32 v9, 7, v64
; %bb.536:                              ;   in Loop: Header=BB452_415 Depth=1
	s_or_b32 exec_lo, exec_lo, s13
	v_lshlrev_b32_e32 v2, 24, v2
	s_delay_alu instid0(VALU_DEP_2) | instskip(SKIP_1) | instid1(VALU_DEP_3)
	v_lshlrev_b32_e32 v7, 20, v9
	v_lshl_add_u32 v3, v3, 23, 0x3c000000
	v_and_b32_e32 v2, 0x80000000, v2
	s_delay_alu instid0(VALU_DEP_1)
	v_or3_b32 v7, v7, v2, v3
.LBB452_537:                            ;   in Loop: Header=BB452_415 Depth=1
	s_or_b32 exec_lo, exec_lo, s12
.LBB452_538:                            ;   in Loop: Header=BB452_415 Depth=1
	s_delay_alu instid0(SALU_CYCLE_1)
	s_or_b32 exec_lo, exec_lo, s9
.LBB452_539:                            ;   in Loop: Header=BB452_415 Depth=1
	s_delay_alu instid0(SALU_CYCLE_1) | instskip(NEXT) | instid1(VALU_DEP_1)
	s_or_b32 exec_lo, exec_lo, s0
	v_mul_f32_e32 v3, v26, v7
	s_delay_alu instid0(VALU_DEP_1) | instskip(NEXT) | instid1(VALU_DEP_1)
	v_and_b32_e32 v2, 0x7f800000, v3
	v_cmp_ne_u32_e32 vcc_lo, 0x7f800000, v2
                                        ; implicit-def: $vgpr2
	s_and_saveexec_b32 s0, vcc_lo
	s_delay_alu instid0(SALU_CYCLE_1)
	s_xor_b32 s0, exec_lo, s0
; %bb.540:                              ;   in Loop: Header=BB452_415 Depth=1
	v_bfe_u32 v2, v3, 16, 1
	s_delay_alu instid0(VALU_DEP_1)
	v_add3_u32 v2, v3, v2, 0x7fff
                                        ; implicit-def: $vgpr3
; %bb.541:                              ;   in Loop: Header=BB452_415 Depth=1
	s_and_not1_saveexec_b32 s0, s0
; %bb.542:                              ;   in Loop: Header=BB452_415 Depth=1
	v_and_b32_e32 v2, 0xffff, v3
	v_or_b32_e32 v7, 0x10000, v3
	s_delay_alu instid0(VALU_DEP_2) | instskip(NEXT) | instid1(VALU_DEP_2)
	v_cmp_eq_u32_e32 vcc_lo, 0, v2
	v_cndmask_b32_e32 v2, v7, v3, vcc_lo
; %bb.543:                              ;   in Loop: Header=BB452_415 Depth=1
	s_or_b32 exec_lo, exec_lo, s0
	v_cmp_eq_u32_e32 vcc_lo, v27, v16
	v_add_nc_u32_e32 v48, -7, v15
	v_lshrrev_b32_e32 v6, 16, v6
	v_lshrrev_b32_e32 v7, 16, v52
	;; [unrolled: 1-line block ×8, first 2 shown]
	v_add_nc_u32_e32 v54, -6, v15
	v_add_nc_u32_e32 v53, -5, v15
	;; [unrolled: 1-line block ×6, first 2 shown]
	s_and_saveexec_b32 s9, vcc_lo
	s_cbranch_execz .LBB452_545
; %bb.544:                              ;   in Loop: Header=BB452_415 Depth=1
	v_cmp_lt_i32_e64 s0, v48, v35
	s_delay_alu instid0(VALU_DEP_1) | instskip(SKIP_1) | instid1(VALU_DEP_1)
	v_cndmask_b32_e64 v8, 0, v8, s0
	v_cmp_lt_i32_e64 s0, v54, v35
	v_cndmask_b32_e64 v65, 0, v65, s0
	v_cmp_lt_i32_e64 s0, v53, v35
	s_delay_alu instid0(VALU_DEP_1) | instskip(SKIP_1) | instid1(VALU_DEP_1)
	v_cndmask_b32_e64 v66, 0, v66, s0
	v_cmp_lt_i32_e64 s0, v52, v35
	v_cndmask_b32_e64 v9, 0, v9, s0
	;; [unrolled: 5-line block ×4, first 2 shown]
.LBB452_545:                            ;   in Loop: Header=BB452_415 Depth=1
	s_or_b32 exec_lo, exec_lo, s9
	v_and_b32_e32 v55, 0xffff0000, v55
	v_lshlrev_b32_e32 v8, 16, v8
	s_delay_alu instid0(VALU_DEP_1) | instskip(NEXT) | instid1(VALU_DEP_1)
	v_mul_f32_e32 v64, v55, v8
	v_and_b32_e32 v8, 0x7f800000, v64
	s_delay_alu instid0(VALU_DEP_1) | instskip(NEXT) | instid1(VALU_DEP_1)
	v_cmp_ne_u32_e64 s0, 0x7f800000, v8
                                        ; implicit-def: $vgpr8
	s_and_saveexec_b32 s9, s0
	s_delay_alu instid0(SALU_CYCLE_1)
	s_xor_b32 s0, exec_lo, s9
; %bb.546:                              ;   in Loop: Header=BB452_415 Depth=1
	v_bfe_u32 v8, v64, 16, 1
	s_delay_alu instid0(VALU_DEP_1)
	v_add3_u32 v8, v64, v8, 0x7fff
                                        ; implicit-def: $vgpr64
; %bb.547:                              ;   in Loop: Header=BB452_415 Depth=1
	s_and_not1_saveexec_b32 s9, s0
; %bb.548:                              ;   in Loop: Header=BB452_415 Depth=1
	v_and_b32_e32 v8, 0xffff, v64
	v_or_b32_e32 v67, 0x10000, v64
	s_delay_alu instid0(VALU_DEP_2) | instskip(NEXT) | instid1(VALU_DEP_1)
	v_cmp_eq_u32_e64 s0, 0, v8
	v_cndmask_b32_e64 v8, v67, v64, s0
; %bb.549:                              ;   in Loop: Header=BB452_415 Depth=1
	s_or_b32 exec_lo, exec_lo, s9
	v_and_b32_e32 v64, 0xffff0000, v29
	v_lshlrev_b32_e32 v29, 16, v65
	s_delay_alu instid0(VALU_DEP_1) | instskip(NEXT) | instid1(VALU_DEP_1)
	v_mul_f32_e32 v65, v64, v29
	v_and_b32_e32 v29, 0x7f800000, v65
	s_delay_alu instid0(VALU_DEP_1) | instskip(NEXT) | instid1(VALU_DEP_1)
	v_cmp_ne_u32_e64 s0, 0x7f800000, v29
                                        ; implicit-def: $vgpr29
	s_and_saveexec_b32 s9, s0
	s_delay_alu instid0(SALU_CYCLE_1)
	s_xor_b32 s0, exec_lo, s9
; %bb.550:                              ;   in Loop: Header=BB452_415 Depth=1
	v_bfe_u32 v29, v65, 16, 1
	s_delay_alu instid0(VALU_DEP_1)
	v_add3_u32 v29, v65, v29, 0x7fff
                                        ; implicit-def: $vgpr65
; %bb.551:                              ;   in Loop: Header=BB452_415 Depth=1
	s_and_not1_saveexec_b32 s9, s0
; %bb.552:                              ;   in Loop: Header=BB452_415 Depth=1
	v_and_b32_e32 v29, 0xffff, v65
	v_or_b32_e32 v67, 0x10000, v65
	s_delay_alu instid0(VALU_DEP_2) | instskip(NEXT) | instid1(VALU_DEP_1)
	v_cmp_eq_u32_e64 s0, 0, v29
	v_cndmask_b32_e64 v29, v67, v65, s0
; %bb.553:                              ;   in Loop: Header=BB452_415 Depth=1
	s_or_b32 exec_lo, exec_lo, s9
	v_and_b32_e32 v65, 0xffff0000, v30
	v_lshlrev_b32_e32 v30, 16, v66
	s_delay_alu instid0(VALU_DEP_1) | instskip(NEXT) | instid1(VALU_DEP_1)
	v_mul_f32_e32 v66, v65, v30
	v_and_b32_e32 v30, 0x7f800000, v66
	s_delay_alu instid0(VALU_DEP_1) | instskip(NEXT) | instid1(VALU_DEP_1)
	v_cmp_ne_u32_e64 s0, 0x7f800000, v30
                                        ; implicit-def: $vgpr30
	s_and_saveexec_b32 s9, s0
	s_delay_alu instid0(SALU_CYCLE_1)
	s_xor_b32 s0, exec_lo, s9
; %bb.554:                              ;   in Loop: Header=BB452_415 Depth=1
	v_bfe_u32 v30, v66, 16, 1
	s_delay_alu instid0(VALU_DEP_1)
	v_add3_u32 v30, v66, v30, 0x7fff
                                        ; implicit-def: $vgpr66
; %bb.555:                              ;   in Loop: Header=BB452_415 Depth=1
	s_and_not1_saveexec_b32 s9, s0
; %bb.556:                              ;   in Loop: Header=BB452_415 Depth=1
	v_and_b32_e32 v30, 0xffff, v66
	v_or_b32_e32 v67, 0x10000, v66
	s_delay_alu instid0(VALU_DEP_2) | instskip(NEXT) | instid1(VALU_DEP_1)
	v_cmp_eq_u32_e64 s0, 0, v30
	v_cndmask_b32_e64 v30, v67, v66, s0
; %bb.557:                              ;   in Loop: Header=BB452_415 Depth=1
	s_or_b32 exec_lo, exec_lo, s9
	v_and_b32_e32 v66, 0xffff0000, v31
	v_lshlrev_b32_e32 v9, 16, v9
	s_delay_alu instid0(VALU_DEP_1) | instskip(NEXT) | instid1(VALU_DEP_1)
	v_mul_f32_e32 v9, v66, v9
	v_and_b32_e32 v31, 0x7f800000, v9
	s_delay_alu instid0(VALU_DEP_1) | instskip(NEXT) | instid1(VALU_DEP_1)
	v_cmp_ne_u32_e64 s0, 0x7f800000, v31
                                        ; implicit-def: $vgpr31
	s_and_saveexec_b32 s9, s0
	s_delay_alu instid0(SALU_CYCLE_1)
	s_xor_b32 s0, exec_lo, s9
; %bb.558:                              ;   in Loop: Header=BB452_415 Depth=1
	v_bfe_u32 v31, v9, 16, 1
	s_delay_alu instid0(VALU_DEP_1)
	v_add3_u32 v31, v9, v31, 0x7fff
                                        ; implicit-def: $vgpr9
; %bb.559:                              ;   in Loop: Header=BB452_415 Depth=1
	s_and_not1_saveexec_b32 s9, s0
; %bb.560:                              ;   in Loop: Header=BB452_415 Depth=1
	v_and_b32_e32 v31, 0xffff, v9
	v_or_b32_e32 v67, 0x10000, v9
	s_delay_alu instid0(VALU_DEP_2) | instskip(NEXT) | instid1(VALU_DEP_1)
	v_cmp_eq_u32_e64 s0, 0, v31
	v_cndmask_b32_e64 v31, v67, v9, s0
; %bb.561:                              ;   in Loop: Header=BB452_415 Depth=1
	s_or_b32 exec_lo, exec_lo, s9
	v_and_b32_e32 v67, 0xffff0000, v32
	v_lshlrev_b32_e32 v7, 16, v7
                                        ; implicit-def: $vgpr32
	s_delay_alu instid0(VALU_DEP_1) | instskip(NEXT) | instid1(VALU_DEP_1)
	v_mul_f32_e32 v7, v67, v7
	v_and_b32_e32 v9, 0x7f800000, v7
	s_delay_alu instid0(VALU_DEP_1) | instskip(NEXT) | instid1(VALU_DEP_1)
	v_cmp_ne_u32_e64 s0, 0x7f800000, v9
	s_and_saveexec_b32 s9, s0
	s_delay_alu instid0(SALU_CYCLE_1)
	s_xor_b32 s0, exec_lo, s9
; %bb.562:                              ;   in Loop: Header=BB452_415 Depth=1
	v_bfe_u32 v9, v7, 16, 1
	s_delay_alu instid0(VALU_DEP_1)
	v_add3_u32 v32, v7, v9, 0x7fff
                                        ; implicit-def: $vgpr7
; %bb.563:                              ;   in Loop: Header=BB452_415 Depth=1
	s_and_not1_saveexec_b32 s9, s0
; %bb.564:                              ;   in Loop: Header=BB452_415 Depth=1
	v_and_b32_e32 v9, 0xffff, v7
	v_or_b32_e32 v32, 0x10000, v7
	s_delay_alu instid0(VALU_DEP_2) | instskip(NEXT) | instid1(VALU_DEP_1)
	v_cmp_eq_u32_e64 s0, 0, v9
	v_cndmask_b32_e64 v32, v32, v7, s0
; %bb.565:                              ;   in Loop: Header=BB452_415 Depth=1
	s_or_b32 exec_lo, exec_lo, s9
	v_and_b32_e32 v68, 0xffff0000, v33
	v_lshlrev_b32_e32 v6, 16, v6
                                        ; implicit-def: $vgpr33
	s_delay_alu instid0(VALU_DEP_1) | instskip(NEXT) | instid1(VALU_DEP_1)
	v_mul_f32_e32 v6, v68, v6
	v_and_b32_e32 v7, 0x7f800000, v6
	s_delay_alu instid0(VALU_DEP_1) | instskip(NEXT) | instid1(VALU_DEP_1)
	v_cmp_ne_u32_e64 s0, 0x7f800000, v7
	s_and_saveexec_b32 s9, s0
	s_delay_alu instid0(SALU_CYCLE_1)
	s_xor_b32 s0, exec_lo, s9
; %bb.566:                              ;   in Loop: Header=BB452_415 Depth=1
	v_bfe_u32 v7, v6, 16, 1
	s_delay_alu instid0(VALU_DEP_1)
	v_add3_u32 v33, v6, v7, 0x7fff
                                        ; implicit-def: $vgpr6
; %bb.567:                              ;   in Loop: Header=BB452_415 Depth=1
	s_and_not1_saveexec_b32 s9, s0
; %bb.568:                              ;   in Loop: Header=BB452_415 Depth=1
	v_and_b32_e32 v7, 0xffff, v6
	v_or_b32_e32 v9, 0x10000, v6
	s_delay_alu instid0(VALU_DEP_2) | instskip(NEXT) | instid1(VALU_DEP_1)
	v_cmp_eq_u32_e64 s0, 0, v7
	v_cndmask_b32_e64 v33, v9, v6, s0
; %bb.569:                              ;   in Loop: Header=BB452_415 Depth=1
	s_or_b32 exec_lo, exec_lo, s9
	v_and_b32_e32 v69, 0xffff0000, v38
	v_lshlrev_b32_e32 v3, 16, v3
                                        ; implicit-def: $vgpr38
	s_delay_alu instid0(VALU_DEP_1) | instskip(NEXT) | instid1(VALU_DEP_1)
	v_mul_f32_e32 v3, v69, v3
	v_and_b32_e32 v6, 0x7f800000, v3
	s_delay_alu instid0(VALU_DEP_1) | instskip(NEXT) | instid1(VALU_DEP_1)
	v_cmp_ne_u32_e64 s0, 0x7f800000, v6
	s_and_saveexec_b32 s9, s0
	s_delay_alu instid0(SALU_CYCLE_1)
	s_xor_b32 s0, exec_lo, s9
; %bb.570:                              ;   in Loop: Header=BB452_415 Depth=1
	v_bfe_u32 v6, v3, 16, 1
	s_delay_alu instid0(VALU_DEP_1)
	v_add3_u32 v38, v3, v6, 0x7fff
                                        ; implicit-def: $vgpr3
; %bb.571:                              ;   in Loop: Header=BB452_415 Depth=1
	s_and_not1_saveexec_b32 s9, s0
; %bb.572:                              ;   in Loop: Header=BB452_415 Depth=1
	v_and_b32_e32 v6, 0xffff, v3
	v_or_b32_e32 v7, 0x10000, v3
	s_delay_alu instid0(VALU_DEP_2) | instskip(NEXT) | instid1(VALU_DEP_1)
	v_cmp_eq_u32_e64 s0, 0, v6
	v_cndmask_b32_e64 v38, v7, v3, s0
; %bb.573:                              ;   in Loop: Header=BB452_415 Depth=1
	s_or_b32 exec_lo, exec_lo, s9
	v_and_b32_e32 v70, 0xffff0000, v39
	v_lshlrev_b32_e32 v2, 16, v2
                                        ; implicit-def: $vgpr39
	s_delay_alu instid0(VALU_DEP_1) | instskip(NEXT) | instid1(VALU_DEP_1)
	v_mul_f32_e32 v2, v70, v2
	v_and_b32_e32 v3, 0x7f800000, v2
	s_delay_alu instid0(VALU_DEP_1) | instskip(NEXT) | instid1(VALU_DEP_1)
	v_cmp_ne_u32_e64 s0, 0x7f800000, v3
	s_and_saveexec_b32 s9, s0
	s_delay_alu instid0(SALU_CYCLE_1)
	s_xor_b32 s0, exec_lo, s9
; %bb.574:                              ;   in Loop: Header=BB452_415 Depth=1
	v_bfe_u32 v3, v2, 16, 1
	s_delay_alu instid0(VALU_DEP_1)
	v_add3_u32 v39, v2, v3, 0x7fff
                                        ; implicit-def: $vgpr2
; %bb.575:                              ;   in Loop: Header=BB452_415 Depth=1
	s_and_not1_saveexec_b32 s9, s0
; %bb.576:                              ;   in Loop: Header=BB452_415 Depth=1
	v_and_b32_e32 v3, 0xffff, v2
	v_or_b32_e32 v6, 0x10000, v2
	s_delay_alu instid0(VALU_DEP_2) | instskip(NEXT) | instid1(VALU_DEP_1)
	v_cmp_eq_u32_e64 s0, 0, v3
	v_cndmask_b32_e64 v39, v6, v2, s0
; %bb.577:                              ;   in Loop: Header=BB452_415 Depth=1
	s_or_b32 exec_lo, exec_lo, s9
	flat_load_b64 v[2:3], v[0:1] offset:256
	s_mov_b32 s9, exec_lo
	s_waitcnt vmcnt(0) lgkmcnt(0)
	v_dual_mov_b32 v6, 0 :: v_dual_and_b32 v7, 0xff, v2
	s_delay_alu instid0(VALU_DEP_1)
	v_cmpx_ne_u16_e32 0, v7
	s_cbranch_execz .LBB452_585
; %bb.578:                              ;   in Loop: Header=BB452_415 Depth=1
	v_bfrev_b32_e32 v6, 1
	s_mov_b32 s12, exec_lo
	v_cmpx_ne_u16_e32 0x80, v7
	s_cbranch_execz .LBB452_584
; %bb.579:                              ;   in Loop: Header=BB452_415 Depth=1
	v_and_b32_e32 v7, 0x7f, v2
	v_mov_b32_e32 v6, 0x7f800001
	s_mov_b32 s13, exec_lo
	s_delay_alu instid0(VALU_DEP_2)
	v_cmpx_ne_u32_e32 0x7f, v7
	s_cbranch_execz .LBB452_583
; %bb.580:                              ;   in Loop: Header=BB452_415 Depth=1
	v_lshrrev_b32_e32 v9, 3, v7
	v_cmp_gt_u32_e64 s0, 8, v7
	v_dual_mov_b32 v7, v3 :: v_dual_mov_b32 v6, v2
	s_delay_alu instid0(VALU_DEP_2)
	s_and_saveexec_b32 s15, s0
; %bb.581:                              ;   in Loop: Header=BB452_415 Depth=1
	v_and_b32_e32 v6, 7, v2
	s_delay_alu instid0(VALU_DEP_1) | instskip(NEXT) | instid1(VALU_DEP_1)
	v_clz_i32_u32_e32 v6, v6
	v_min_u32_e32 v9, 32, v6
	s_delay_alu instid0(VALU_DEP_1) | instskip(SKIP_1) | instid1(VALU_DEP_2)
	v_subrev_nc_u32_e32 v6, 28, v9
	v_sub_nc_u32_e32 v9, 29, v9
	v_lshlrev_b64 v[6:7], v6, v[2:3]
; %bb.582:                              ;   in Loop: Header=BB452_415 Depth=1
	s_or_b32 exec_lo, exec_lo, s15
	s_delay_alu instid0(VALU_DEP_1) | instskip(SKIP_2) | instid1(VALU_DEP_3)
	v_lshlrev_b32_e32 v6, 20, v6
	v_lshlrev_b32_e32 v7, 24, v2
	v_lshl_add_u32 v9, v9, 23, 0x3c000000
	v_and_b32_e32 v6, 0x700000, v6
	s_delay_alu instid0(VALU_DEP_3) | instskip(NEXT) | instid1(VALU_DEP_1)
	v_and_b32_e32 v7, 0x80000000, v7
	v_or3_b32 v6, v6, v7, v9
.LBB452_583:                            ;   in Loop: Header=BB452_415 Depth=1
	s_or_b32 exec_lo, exec_lo, s13
.LBB452_584:                            ;   in Loop: Header=BB452_415 Depth=1
	s_delay_alu instid0(SALU_CYCLE_1)
	s_or_b32 exec_lo, exec_lo, s12
.LBB452_585:                            ;   in Loop: Header=BB452_415 Depth=1
	s_delay_alu instid0(SALU_CYCLE_1) | instskip(NEXT) | instid1(VALU_DEP_1)
	s_or_b32 exec_lo, exec_lo, s9
	v_mul_f32_e32 v6, v26, v6
                                        ; implicit-def: $vgpr71
	s_delay_alu instid0(VALU_DEP_1) | instskip(NEXT) | instid1(VALU_DEP_1)
	v_and_b32_e32 v7, 0x7f800000, v6
	v_cmp_ne_u32_e64 s0, 0x7f800000, v7
	s_delay_alu instid0(VALU_DEP_1) | instskip(NEXT) | instid1(SALU_CYCLE_1)
	s_and_saveexec_b32 s9, s0
	s_xor_b32 s0, exec_lo, s9
; %bb.586:                              ;   in Loop: Header=BB452_415 Depth=1
	v_bfe_u32 v7, v6, 16, 1
	s_delay_alu instid0(VALU_DEP_1)
	v_add3_u32 v71, v6, v7, 0x7fff
                                        ; implicit-def: $vgpr6
; %bb.587:                              ;   in Loop: Header=BB452_415 Depth=1
	s_and_not1_saveexec_b32 s9, s0
; %bb.588:                              ;   in Loop: Header=BB452_415 Depth=1
	v_and_b32_e32 v7, 0xffff, v6
	v_or_b32_e32 v9, 0x10000, v6
	s_delay_alu instid0(VALU_DEP_2) | instskip(NEXT) | instid1(VALU_DEP_1)
	v_cmp_eq_u32_e64 s0, 0, v7
	v_cndmask_b32_e64 v71, v9, v6, s0
; %bb.589:                              ;   in Loop: Header=BB452_415 Depth=1
	s_or_b32 exec_lo, exec_lo, s9
	v_lshrrev_b16 v7, 8, v2
	v_mov_b32_e32 v6, 0
	s_mov_b32 s9, exec_lo
	s_delay_alu instid0(VALU_DEP_2)
	v_cmpx_ne_u16_e32 0, v7
	s_cbranch_execz .LBB452_597
; %bb.590:                              ;   in Loop: Header=BB452_415 Depth=1
	v_bfrev_b32_e32 v6, 1
	s_mov_b32 s12, exec_lo
	v_cmpx_ne_u16_e32 0x80, v7
	s_cbranch_execz .LBB452_596
; %bb.591:                              ;   in Loop: Header=BB452_415 Depth=1
	v_and_b32_e32 v9, 0xffff, v7
	v_mov_b32_e32 v6, 0x7f800001
	s_mov_b32 s13, exec_lo
	s_delay_alu instid0(VALU_DEP_2) | instskip(NEXT) | instid1(VALU_DEP_1)
	v_and_b32_e32 v7, 0x7f, v9
	v_cmpx_ne_u32_e32 0x7f, v7
	s_cbranch_execz .LBB452_595
; %bb.592:                              ;   in Loop: Header=BB452_415 Depth=1
	v_and_b32_e32 v9, 7, v9
	v_lshrrev_b32_e32 v6, 3, v7
	s_mov_b32 s15, exec_lo
	v_cmpx_gt_u32_e32 8, v7
; %bb.593:                              ;   in Loop: Header=BB452_415 Depth=1
	s_delay_alu instid0(VALU_DEP_3) | instskip(NEXT) | instid1(VALU_DEP_1)
	v_clz_i32_u32_e32 v6, v9
	v_min_u32_e32 v6, 32, v6
	s_delay_alu instid0(VALU_DEP_1) | instskip(SKIP_1) | instid1(VALU_DEP_2)
	v_subrev_nc_u32_e32 v7, 28, v6
	v_sub_nc_u32_e32 v6, 29, v6
	v_lshlrev_b64 v[80:81], v7, v[9:10]
	s_delay_alu instid0(VALU_DEP_1)
	v_and_b32_e32 v9, 7, v80
; %bb.594:                              ;   in Loop: Header=BB452_415 Depth=1
	s_or_b32 exec_lo, exec_lo, s15
	v_lshlrev_b32_e32 v7, 16, v2
	s_delay_alu instid0(VALU_DEP_2) | instskip(SKIP_1) | instid1(VALU_DEP_3)
	v_lshlrev_b32_e32 v9, 20, v9
	v_lshl_add_u32 v6, v6, 23, 0x3c000000
	v_and_b32_e32 v7, 0x80000000, v7
	s_delay_alu instid0(VALU_DEP_1)
	v_or3_b32 v6, v9, v7, v6
.LBB452_595:                            ;   in Loop: Header=BB452_415 Depth=1
	s_or_b32 exec_lo, exec_lo, s13
.LBB452_596:                            ;   in Loop: Header=BB452_415 Depth=1
	s_delay_alu instid0(SALU_CYCLE_1)
	s_or_b32 exec_lo, exec_lo, s12
.LBB452_597:                            ;   in Loop: Header=BB452_415 Depth=1
	s_delay_alu instid0(SALU_CYCLE_1) | instskip(NEXT) | instid1(VALU_DEP_1)
	s_or_b32 exec_lo, exec_lo, s9
	v_mul_f32_e32 v6, v26, v6
                                        ; implicit-def: $vgpr80
	s_delay_alu instid0(VALU_DEP_1) | instskip(NEXT) | instid1(VALU_DEP_1)
	v_and_b32_e32 v7, 0x7f800000, v6
	v_cmp_ne_u32_e64 s0, 0x7f800000, v7
	s_delay_alu instid0(VALU_DEP_1) | instskip(NEXT) | instid1(SALU_CYCLE_1)
	s_and_saveexec_b32 s9, s0
	s_xor_b32 s0, exec_lo, s9
; %bb.598:                              ;   in Loop: Header=BB452_415 Depth=1
	v_bfe_u32 v7, v6, 16, 1
	s_delay_alu instid0(VALU_DEP_1)
	v_add3_u32 v80, v6, v7, 0x7fff
                                        ; implicit-def: $vgpr6
; %bb.599:                              ;   in Loop: Header=BB452_415 Depth=1
	s_and_not1_saveexec_b32 s9, s0
; %bb.600:                              ;   in Loop: Header=BB452_415 Depth=1
	v_and_b32_e32 v7, 0xffff, v6
	v_or_b32_e32 v9, 0x10000, v6
	s_delay_alu instid0(VALU_DEP_2) | instskip(NEXT) | instid1(VALU_DEP_1)
	v_cmp_eq_u32_e64 s0, 0, v7
	v_cndmask_b32_e64 v80, v9, v6, s0
; %bb.601:                              ;   in Loop: Header=BB452_415 Depth=1
	s_or_b32 exec_lo, exec_lo, s9
	v_lshrrev_b32_e32 v6, 16, v2
	v_mov_b32_e32 v7, 0
	s_mov_b32 s9, exec_lo
	s_delay_alu instid0(VALU_DEP_2) | instskip(NEXT) | instid1(VALU_DEP_1)
	v_and_b32_e32 v9, 0xff, v6
	v_cmpx_ne_u16_e32 0, v9
	s_cbranch_execz .LBB452_609
; %bb.602:                              ;   in Loop: Header=BB452_415 Depth=1
	v_bfrev_b32_e32 v7, 1
	s_mov_b32 s12, exec_lo
	v_cmpx_ne_u16_e32 0x80, v9
	s_cbranch_execz .LBB452_608
; %bb.603:                              ;   in Loop: Header=BB452_415 Depth=1
	v_bfe_u32 v81, v2, 16, 7
	v_mov_b32_e32 v7, 0x7f800001
	s_mov_b32 s13, exec_lo
	s_delay_alu instid0(VALU_DEP_2)
	v_cmpx_ne_u32_e32 0x7f, v81
	s_cbranch_execz .LBB452_607
; %bb.604:                              ;   in Loop: Header=BB452_415 Depth=1
	v_and_b32_e32 v9, 7, v6
	v_lshrrev_b32_e32 v7, 3, v81
	s_mov_b32 s15, exec_lo
	v_cmpx_gt_u32_e32 8, v81
; %bb.605:                              ;   in Loop: Header=BB452_415 Depth=1
	s_delay_alu instid0(VALU_DEP_3) | instskip(NEXT) | instid1(VALU_DEP_1)
	v_clz_i32_u32_e32 v7, v9
	v_min_u32_e32 v7, 32, v7
	s_delay_alu instid0(VALU_DEP_1) | instskip(SKIP_1) | instid1(VALU_DEP_2)
	v_subrev_nc_u32_e32 v81, 28, v7
	v_sub_nc_u32_e32 v7, 29, v7
	v_lshlrev_b64 v[81:82], v81, v[9:10]
	s_delay_alu instid0(VALU_DEP_1)
	v_and_b32_e32 v9, 7, v81
; %bb.606:                              ;   in Loop: Header=BB452_415 Depth=1
	s_or_b32 exec_lo, exec_lo, s15
	v_lshlrev_b32_e32 v6, 24, v6
	s_delay_alu instid0(VALU_DEP_2) | instskip(SKIP_1) | instid1(VALU_DEP_3)
	v_lshlrev_b32_e32 v9, 20, v9
	v_lshl_add_u32 v7, v7, 23, 0x3c000000
	v_and_b32_e32 v6, 0x80000000, v6
	s_delay_alu instid0(VALU_DEP_1)
	v_or3_b32 v7, v9, v6, v7
.LBB452_607:                            ;   in Loop: Header=BB452_415 Depth=1
	s_or_b32 exec_lo, exec_lo, s13
.LBB452_608:                            ;   in Loop: Header=BB452_415 Depth=1
	s_delay_alu instid0(SALU_CYCLE_1)
	s_or_b32 exec_lo, exec_lo, s12
.LBB452_609:                            ;   in Loop: Header=BB452_415 Depth=1
	s_delay_alu instid0(SALU_CYCLE_1) | instskip(NEXT) | instid1(VALU_DEP_1)
	s_or_b32 exec_lo, exec_lo, s9
	v_mul_f32_e32 v6, v26, v7
                                        ; implicit-def: $vgpr81
	s_delay_alu instid0(VALU_DEP_1) | instskip(NEXT) | instid1(VALU_DEP_1)
	v_and_b32_e32 v7, 0x7f800000, v6
	v_cmp_ne_u32_e64 s0, 0x7f800000, v7
	s_delay_alu instid0(VALU_DEP_1) | instskip(NEXT) | instid1(SALU_CYCLE_1)
	s_and_saveexec_b32 s9, s0
	s_xor_b32 s0, exec_lo, s9
; %bb.610:                              ;   in Loop: Header=BB452_415 Depth=1
	v_bfe_u32 v7, v6, 16, 1
	s_delay_alu instid0(VALU_DEP_1)
	v_add3_u32 v81, v6, v7, 0x7fff
                                        ; implicit-def: $vgpr6
; %bb.611:                              ;   in Loop: Header=BB452_415 Depth=1
	s_and_not1_saveexec_b32 s9, s0
; %bb.612:                              ;   in Loop: Header=BB452_415 Depth=1
	v_and_b32_e32 v7, 0xffff, v6
	v_or_b32_e32 v9, 0x10000, v6
	s_delay_alu instid0(VALU_DEP_2) | instskip(NEXT) | instid1(VALU_DEP_1)
	v_cmp_eq_u32_e64 s0, 0, v7
	v_cndmask_b32_e64 v81, v9, v6, s0
; %bb.613:                              ;   in Loop: Header=BB452_415 Depth=1
	s_or_b32 exec_lo, exec_lo, s9
	v_mov_b32_e32 v7, 0
	s_mov_b32 s9, exec_lo
	v_cmpx_lt_u32_e32 0xffffff, v2
	s_cbranch_execz .LBB452_621
; %bb.614:                              ;   in Loop: Header=BB452_415 Depth=1
	v_lshrrev_b32_e32 v6, 24, v2
	v_bfrev_b32_e32 v7, 1
	s_mov_b32 s12, exec_lo
	s_delay_alu instid0(VALU_DEP_2)
	v_cmpx_ne_u32_e32 0x80, v6
	s_cbranch_execz .LBB452_620
; %bb.615:                              ;   in Loop: Header=BB452_415 Depth=1
	v_bfe_u32 v82, v2, 24, 7
	v_mov_b32_e32 v7, 0x7f800001
	s_mov_b32 s13, exec_lo
	s_delay_alu instid0(VALU_DEP_2)
	v_cmpx_ne_u32_e32 0x7f, v82
	s_cbranch_execz .LBB452_619
; %bb.616:                              ;   in Loop: Header=BB452_415 Depth=1
	v_and_b32_e32 v9, 7, v6
	v_lshrrev_b32_e32 v7, 3, v82
	s_mov_b32 s15, exec_lo
	v_cmpx_gt_u32_e32 8, v82
; %bb.617:                              ;   in Loop: Header=BB452_415 Depth=1
	s_delay_alu instid0(VALU_DEP_3) | instskip(NEXT) | instid1(VALU_DEP_1)
	v_clz_i32_u32_e32 v7, v9
	v_min_u32_e32 v7, 32, v7
	s_delay_alu instid0(VALU_DEP_1) | instskip(SKIP_1) | instid1(VALU_DEP_2)
	v_subrev_nc_u32_e32 v82, 28, v7
	v_sub_nc_u32_e32 v7, 29, v7
	v_lshlrev_b64 v[82:83], v82, v[9:10]
	s_delay_alu instid0(VALU_DEP_1)
	v_and_b32_e32 v9, 7, v82
; %bb.618:                              ;   in Loop: Header=BB452_415 Depth=1
	s_or_b32 exec_lo, exec_lo, s15
	v_lshlrev_b32_e32 v6, 24, v6
	s_delay_alu instid0(VALU_DEP_2) | instskip(SKIP_1) | instid1(VALU_DEP_3)
	v_lshlrev_b32_e32 v9, 20, v9
	v_lshl_add_u32 v7, v7, 23, 0x3c000000
	v_and_b32_e32 v6, 0x80000000, v6
	s_delay_alu instid0(VALU_DEP_1)
	v_or3_b32 v7, v9, v6, v7
.LBB452_619:                            ;   in Loop: Header=BB452_415 Depth=1
	s_or_b32 exec_lo, exec_lo, s13
.LBB452_620:                            ;   in Loop: Header=BB452_415 Depth=1
	s_delay_alu instid0(SALU_CYCLE_1)
	s_or_b32 exec_lo, exec_lo, s12
.LBB452_621:                            ;   in Loop: Header=BB452_415 Depth=1
	s_delay_alu instid0(SALU_CYCLE_1) | instskip(NEXT) | instid1(VALU_DEP_1)
	s_or_b32 exec_lo, exec_lo, s9
	v_mul_f32_e32 v6, v26, v7
                                        ; implicit-def: $vgpr82
	s_delay_alu instid0(VALU_DEP_1) | instskip(NEXT) | instid1(VALU_DEP_1)
	v_and_b32_e32 v7, 0x7f800000, v6
	v_cmp_ne_u32_e64 s0, 0x7f800000, v7
	s_delay_alu instid0(VALU_DEP_1) | instskip(NEXT) | instid1(SALU_CYCLE_1)
	s_and_saveexec_b32 s9, s0
	s_xor_b32 s0, exec_lo, s9
; %bb.622:                              ;   in Loop: Header=BB452_415 Depth=1
	v_bfe_u32 v7, v6, 16, 1
	s_delay_alu instid0(VALU_DEP_1)
	v_add3_u32 v82, v6, v7, 0x7fff
                                        ; implicit-def: $vgpr6
; %bb.623:                              ;   in Loop: Header=BB452_415 Depth=1
	s_and_not1_saveexec_b32 s9, s0
; %bb.624:                              ;   in Loop: Header=BB452_415 Depth=1
	v_and_b32_e32 v7, 0xffff, v6
	v_or_b32_e32 v9, 0x10000, v6
	s_delay_alu instid0(VALU_DEP_2) | instskip(NEXT) | instid1(VALU_DEP_1)
	v_cmp_eq_u32_e64 s0, 0, v7
	v_cndmask_b32_e64 v82, v9, v6, s0
; %bb.625:                              ;   in Loop: Header=BB452_415 Depth=1
	s_or_b32 exec_lo, exec_lo, s9
	v_dual_mov_b32 v6, 0 :: v_dual_and_b32 v7, 0xff, v3
	v_mov_b32_e32 v9, v3
	s_mov_b32 s9, exec_lo
	s_delay_alu instid0(VALU_DEP_2)
	v_cmpx_ne_u16_e32 0, v7
	s_cbranch_execz .LBB452_633
; %bb.626:                              ;   in Loop: Header=BB452_415 Depth=1
	v_bfrev_b32_e32 v6, 1
	s_mov_b32 s12, exec_lo
	v_cmpx_ne_u16_e32 0x80, v7
	s_cbranch_execz .LBB452_632
; %bb.627:                              ;   in Loop: Header=BB452_415 Depth=1
	v_and_b32_e32 v7, 0x7f, v3
	v_mov_b32_e32 v6, 0x7f800001
	s_mov_b32 s13, exec_lo
	s_delay_alu instid0(VALU_DEP_2)
	v_cmpx_ne_u32_e32 0x7f, v7
	s_cbranch_execz .LBB452_631
; %bb.628:                              ;   in Loop: Header=BB452_415 Depth=1
	v_lshrrev_b32_e32 v83, 3, v7
	v_cmp_gt_u32_e64 s0, 8, v7
	v_dual_mov_b32 v6, v9 :: v_dual_mov_b32 v7, v10
	s_delay_alu instid0(VALU_DEP_2)
	s_and_saveexec_b32 s15, s0
; %bb.629:                              ;   in Loop: Header=BB452_415 Depth=1
	v_and_b32_e32 v6, 7, v3
	s_delay_alu instid0(VALU_DEP_1) | instskip(NEXT) | instid1(VALU_DEP_1)
	v_clz_i32_u32_e32 v6, v6
	v_min_u32_e32 v83, 32, v6
	s_delay_alu instid0(VALU_DEP_1) | instskip(SKIP_1) | instid1(VALU_DEP_2)
	v_subrev_nc_u32_e32 v6, 28, v83
	v_sub_nc_u32_e32 v83, 29, v83
	v_lshlrev_b64 v[6:7], v6, v[9:10]
; %bb.630:                              ;   in Loop: Header=BB452_415 Depth=1
	s_or_b32 exec_lo, exec_lo, s15
	s_delay_alu instid0(VALU_DEP_1) | instskip(SKIP_2) | instid1(VALU_DEP_3)
	v_lshlrev_b32_e32 v6, 20, v6
	v_lshlrev_b32_e32 v7, 24, v9
	v_lshl_add_u32 v83, v83, 23, 0x3c000000
	v_and_b32_e32 v6, 0x700000, v6
	s_delay_alu instid0(VALU_DEP_3) | instskip(NEXT) | instid1(VALU_DEP_1)
	v_and_b32_e32 v7, 0x80000000, v7
	v_or3_b32 v6, v6, v7, v83
.LBB452_631:                            ;   in Loop: Header=BB452_415 Depth=1
	s_or_b32 exec_lo, exec_lo, s13
.LBB452_632:                            ;   in Loop: Header=BB452_415 Depth=1
	s_delay_alu instid0(SALU_CYCLE_1)
	s_or_b32 exec_lo, exec_lo, s12
.LBB452_633:                            ;   in Loop: Header=BB452_415 Depth=1
	s_delay_alu instid0(SALU_CYCLE_1) | instskip(NEXT) | instid1(VALU_DEP_1)
	s_or_b32 exec_lo, exec_lo, s9
	v_mul_f32_e32 v6, v26, v6
                                        ; implicit-def: $vgpr83
	s_delay_alu instid0(VALU_DEP_1) | instskip(NEXT) | instid1(VALU_DEP_1)
	v_and_b32_e32 v7, 0x7f800000, v6
	v_cmp_ne_u32_e64 s0, 0x7f800000, v7
	s_delay_alu instid0(VALU_DEP_1) | instskip(NEXT) | instid1(SALU_CYCLE_1)
	s_and_saveexec_b32 s9, s0
	s_xor_b32 s0, exec_lo, s9
; %bb.634:                              ;   in Loop: Header=BB452_415 Depth=1
	v_bfe_u32 v7, v6, 16, 1
	s_delay_alu instid0(VALU_DEP_1)
	v_add3_u32 v83, v6, v7, 0x7fff
                                        ; implicit-def: $vgpr6
; %bb.635:                              ;   in Loop: Header=BB452_415 Depth=1
	s_and_not1_saveexec_b32 s9, s0
; %bb.636:                              ;   in Loop: Header=BB452_415 Depth=1
	v_and_b32_e32 v7, 0xffff, v6
	v_or_b32_e32 v83, 0x10000, v6
	s_delay_alu instid0(VALU_DEP_2) | instskip(NEXT) | instid1(VALU_DEP_1)
	v_cmp_eq_u32_e64 s0, 0, v7
	v_cndmask_b32_e64 v83, v83, v6, s0
; %bb.637:                              ;   in Loop: Header=BB452_415 Depth=1
	s_or_b32 exec_lo, exec_lo, s9
	v_lshrrev_b16 v7, 8, v9
	v_mov_b32_e32 v6, 0
	s_mov_b32 s9, exec_lo
	s_delay_alu instid0(VALU_DEP_2)
	v_cmpx_ne_u16_e32 0, v7
	s_cbranch_execz .LBB452_645
; %bb.638:                              ;   in Loop: Header=BB452_415 Depth=1
	v_bfrev_b32_e32 v6, 1
	s_mov_b32 s12, exec_lo
	v_cmpx_ne_u16_e32 0x80, v7
	s_cbranch_execz .LBB452_644
; %bb.639:                              ;   in Loop: Header=BB452_415 Depth=1
	v_and_b32_e32 v7, 0xffff, v7
	v_mov_b32_e32 v6, 0x7f800001
	s_mov_b32 s13, exec_lo
	s_delay_alu instid0(VALU_DEP_2) | instskip(NEXT) | instid1(VALU_DEP_1)
	v_and_b32_e32 v85, 0x7f, v7
	v_cmpx_ne_u32_e32 0x7f, v85
	s_cbranch_execz .LBB452_643
; %bb.640:                              ;   in Loop: Header=BB452_415 Depth=1
	v_dual_mov_b32 v7, v10 :: v_dual_and_b32 v6, 7, v7
	v_lshrrev_b32_e32 v84, 3, v85
	s_mov_b32 s15, exec_lo
	v_cmpx_gt_u32_e32 8, v85
; %bb.641:                              ;   in Loop: Header=BB452_415 Depth=1
	s_delay_alu instid0(VALU_DEP_3) | instskip(NEXT) | instid1(VALU_DEP_1)
	v_clz_i32_u32_e32 v84, v6
	v_min_u32_e32 v84, 32, v84
	s_delay_alu instid0(VALU_DEP_1) | instskip(SKIP_1) | instid1(VALU_DEP_2)
	v_subrev_nc_u32_e32 v85, 28, v84
	v_sub_nc_u32_e32 v84, 29, v84
	v_lshlrev_b64 v[6:7], v85, v[6:7]
	s_delay_alu instid0(VALU_DEP_1)
	v_and_b32_e32 v6, 7, v6
; %bb.642:                              ;   in Loop: Header=BB452_415 Depth=1
	s_or_b32 exec_lo, exec_lo, s15
	v_lshlrev_b32_e32 v7, 16, v9
	s_delay_alu instid0(VALU_DEP_2) | instskip(SKIP_1) | instid1(VALU_DEP_3)
	v_lshlrev_b32_e32 v6, 20, v6
	v_lshl_add_u32 v9, v84, 23, 0x3c000000
	v_and_b32_e32 v7, 0x80000000, v7
	s_delay_alu instid0(VALU_DEP_1)
	v_or3_b32 v6, v6, v7, v9
.LBB452_643:                            ;   in Loop: Header=BB452_415 Depth=1
	s_or_b32 exec_lo, exec_lo, s13
.LBB452_644:                            ;   in Loop: Header=BB452_415 Depth=1
	s_delay_alu instid0(SALU_CYCLE_1)
	s_or_b32 exec_lo, exec_lo, s12
.LBB452_645:                            ;   in Loop: Header=BB452_415 Depth=1
	s_delay_alu instid0(SALU_CYCLE_1) | instskip(NEXT) | instid1(VALU_DEP_1)
	s_or_b32 exec_lo, exec_lo, s9
	v_mul_f32_e32 v7, v26, v6
	s_delay_alu instid0(VALU_DEP_1) | instskip(NEXT) | instid1(VALU_DEP_1)
	v_and_b32_e32 v6, 0x7f800000, v7
	v_cmp_ne_u32_e64 s0, 0x7f800000, v6
                                        ; implicit-def: $vgpr6
	s_delay_alu instid0(VALU_DEP_1) | instskip(NEXT) | instid1(SALU_CYCLE_1)
	s_and_saveexec_b32 s9, s0
	s_xor_b32 s0, exec_lo, s9
; %bb.646:                              ;   in Loop: Header=BB452_415 Depth=1
	v_bfe_u32 v6, v7, 16, 1
	s_delay_alu instid0(VALU_DEP_1)
	v_add3_u32 v6, v7, v6, 0x7fff
                                        ; implicit-def: $vgpr7
; %bb.647:                              ;   in Loop: Header=BB452_415 Depth=1
	s_and_not1_saveexec_b32 s9, s0
; %bb.648:                              ;   in Loop: Header=BB452_415 Depth=1
	v_and_b32_e32 v6, 0xffff, v7
	v_or_b32_e32 v9, 0x10000, v7
	s_delay_alu instid0(VALU_DEP_2) | instskip(NEXT) | instid1(VALU_DEP_1)
	v_cmp_eq_u32_e64 s0, 0, v6
	v_cndmask_b32_e64 v6, v9, v7, s0
; %bb.649:                              ;   in Loop: Header=BB452_415 Depth=1
	s_or_b32 exec_lo, exec_lo, s9
	v_lshrrev_b32_e32 v7, 16, v3
	s_mov_b32 s9, exec_lo
	s_delay_alu instid0(VALU_DEP_1) | instskip(NEXT) | instid1(VALU_DEP_1)
	v_dual_mov_b32 v9, 0 :: v_dual_and_b32 v84, 0xff, v7
	v_cmpx_ne_u16_e32 0, v84
	s_cbranch_execz .LBB452_657
; %bb.650:                              ;   in Loop: Header=BB452_415 Depth=1
	v_bfrev_b32_e32 v9, 1
	s_mov_b32 s12, exec_lo
	v_cmpx_ne_u16_e32 0x80, v84
	s_cbranch_execz .LBB452_656
; %bb.651:                              ;   in Loop: Header=BB452_415 Depth=1
	v_bfe_u32 v85, v3, 16, 7
	v_mov_b32_e32 v9, 0x7f800001
	s_mov_b32 s13, exec_lo
	s_delay_alu instid0(VALU_DEP_2)
	v_cmpx_ne_u32_e32 0x7f, v85
	s_cbranch_execz .LBB452_655
; %bb.652:                              ;   in Loop: Header=BB452_415 Depth=1
	v_and_b32_e32 v9, 7, v7
	v_lshrrev_b32_e32 v84, 3, v85
	s_mov_b32 s15, exec_lo
	v_cmpx_gt_u32_e32 8, v85
; %bb.653:                              ;   in Loop: Header=BB452_415 Depth=1
	s_delay_alu instid0(VALU_DEP_3) | instskip(NEXT) | instid1(VALU_DEP_1)
	v_clz_i32_u32_e32 v84, v9
	v_min_u32_e32 v84, 32, v84
	s_delay_alu instid0(VALU_DEP_1) | instskip(SKIP_1) | instid1(VALU_DEP_2)
	v_subrev_nc_u32_e32 v85, 28, v84
	v_sub_nc_u32_e32 v84, 29, v84
	v_lshlrev_b64 v[85:86], v85, v[9:10]
	s_delay_alu instid0(VALU_DEP_1)
	v_and_b32_e32 v9, 7, v85
; %bb.654:                              ;   in Loop: Header=BB452_415 Depth=1
	s_or_b32 exec_lo, exec_lo, s15
	v_lshlrev_b32_e32 v7, 24, v7
	s_delay_alu instid0(VALU_DEP_2) | instskip(SKIP_1) | instid1(VALU_DEP_3)
	v_lshlrev_b32_e32 v9, 20, v9
	v_lshl_add_u32 v84, v84, 23, 0x3c000000
	v_and_b32_e32 v7, 0x80000000, v7
	s_delay_alu instid0(VALU_DEP_1)
	v_or3_b32 v9, v9, v7, v84
.LBB452_655:                            ;   in Loop: Header=BB452_415 Depth=1
	s_or_b32 exec_lo, exec_lo, s13
.LBB452_656:                            ;   in Loop: Header=BB452_415 Depth=1
	s_delay_alu instid0(SALU_CYCLE_1)
	s_or_b32 exec_lo, exec_lo, s12
.LBB452_657:                            ;   in Loop: Header=BB452_415 Depth=1
	s_delay_alu instid0(SALU_CYCLE_1) | instskip(NEXT) | instid1(VALU_DEP_1)
	s_or_b32 exec_lo, exec_lo, s9
	v_mul_f32_e32 v7, v26, v9
                                        ; implicit-def: $vgpr84
	s_delay_alu instid0(VALU_DEP_1) | instskip(NEXT) | instid1(VALU_DEP_1)
	v_and_b32_e32 v9, 0x7f800000, v7
	v_cmp_ne_u32_e64 s0, 0x7f800000, v9
	s_delay_alu instid0(VALU_DEP_1) | instskip(NEXT) | instid1(SALU_CYCLE_1)
	s_and_saveexec_b32 s9, s0
	s_xor_b32 s0, exec_lo, s9
; %bb.658:                              ;   in Loop: Header=BB452_415 Depth=1
	v_bfe_u32 v9, v7, 16, 1
	s_delay_alu instid0(VALU_DEP_1)
	v_add3_u32 v84, v7, v9, 0x7fff
                                        ; implicit-def: $vgpr7
; %bb.659:                              ;   in Loop: Header=BB452_415 Depth=1
	s_and_not1_saveexec_b32 s9, s0
; %bb.660:                              ;   in Loop: Header=BB452_415 Depth=1
	v_and_b32_e32 v9, 0xffff, v7
	v_or_b32_e32 v84, 0x10000, v7
	s_delay_alu instid0(VALU_DEP_2) | instskip(NEXT) | instid1(VALU_DEP_1)
	v_cmp_eq_u32_e64 s0, 0, v9
	v_cndmask_b32_e64 v84, v84, v7, s0
; %bb.661:                              ;   in Loop: Header=BB452_415 Depth=1
	s_or_b32 exec_lo, exec_lo, s9
	v_mov_b32_e32 v7, 0
	s_mov_b32 s9, exec_lo
	v_cmpx_lt_u64_e64 s[2:3], v[2:3]
	s_cbranch_execz .LBB452_669
; %bb.662:                              ;   in Loop: Header=BB452_415 Depth=1
	v_lshrrev_b32_e32 v2, 24, v3
	v_bfrev_b32_e32 v7, 1
	s_mov_b32 s12, exec_lo
	s_delay_alu instid0(VALU_DEP_2)
	v_cmpx_ne_u32_e32 0x80, v2
	s_cbranch_execz .LBB452_668
; %bb.663:                              ;   in Loop: Header=BB452_415 Depth=1
	v_bfe_u32 v85, v3, 24, 7
	v_mov_b32_e32 v7, 0x7f800001
	s_mov_b32 s13, exec_lo
	s_delay_alu instid0(VALU_DEP_2)
	v_cmpx_ne_u32_e32 0x7f, v85
	s_cbranch_execz .LBB452_667
; %bb.664:                              ;   in Loop: Header=BB452_415 Depth=1
	v_and_b32_e32 v9, 7, v2
	v_lshrrev_b32_e32 v3, 3, v85
	s_mov_b32 s15, exec_lo
	v_cmpx_gt_u32_e32 8, v85
; %bb.665:                              ;   in Loop: Header=BB452_415 Depth=1
	s_delay_alu instid0(VALU_DEP_3) | instskip(NEXT) | instid1(VALU_DEP_1)
	v_clz_i32_u32_e32 v3, v9
	v_min_u32_e32 v3, 32, v3
	s_delay_alu instid0(VALU_DEP_1) | instskip(SKIP_1) | instid1(VALU_DEP_2)
	v_subrev_nc_u32_e32 v7, 28, v3
	v_sub_nc_u32_e32 v3, 29, v3
	v_lshlrev_b64 v[85:86], v7, v[9:10]
	s_delay_alu instid0(VALU_DEP_1)
	v_and_b32_e32 v9, 7, v85
; %bb.666:                              ;   in Loop: Header=BB452_415 Depth=1
	s_or_b32 exec_lo, exec_lo, s15
	v_lshlrev_b32_e32 v2, 24, v2
	s_delay_alu instid0(VALU_DEP_2) | instskip(SKIP_1) | instid1(VALU_DEP_3)
	v_lshlrev_b32_e32 v7, 20, v9
	v_lshl_add_u32 v3, v3, 23, 0x3c000000
	v_and_b32_e32 v2, 0x80000000, v2
	s_delay_alu instid0(VALU_DEP_1)
	v_or3_b32 v7, v7, v2, v3
.LBB452_667:                            ;   in Loop: Header=BB452_415 Depth=1
	s_or_b32 exec_lo, exec_lo, s13
.LBB452_668:                            ;   in Loop: Header=BB452_415 Depth=1
	s_delay_alu instid0(SALU_CYCLE_1)
	s_or_b32 exec_lo, exec_lo, s12
.LBB452_669:                            ;   in Loop: Header=BB452_415 Depth=1
	s_delay_alu instid0(SALU_CYCLE_1) | instskip(NEXT) | instid1(VALU_DEP_1)
	s_or_b32 exec_lo, exec_lo, s9
	v_mul_f32_e32 v3, v26, v7
	s_delay_alu instid0(VALU_DEP_1) | instskip(NEXT) | instid1(VALU_DEP_1)
	v_and_b32_e32 v2, 0x7f800000, v3
	v_cmp_ne_u32_e64 s0, 0x7f800000, v2
                                        ; implicit-def: $vgpr2
	s_delay_alu instid0(VALU_DEP_1) | instskip(NEXT) | instid1(SALU_CYCLE_1)
	s_and_saveexec_b32 s9, s0
	s_xor_b32 s0, exec_lo, s9
; %bb.670:                              ;   in Loop: Header=BB452_415 Depth=1
	v_bfe_u32 v2, v3, 16, 1
	s_delay_alu instid0(VALU_DEP_1)
	v_add3_u32 v2, v3, v2, 0x7fff
                                        ; implicit-def: $vgpr3
; %bb.671:                              ;   in Loop: Header=BB452_415 Depth=1
	s_and_not1_saveexec_b32 s9, s0
; %bb.672:                              ;   in Loop: Header=BB452_415 Depth=1
	v_and_b32_e32 v2, 0xffff, v3
	v_or_b32_e32 v7, 0x10000, v3
	s_delay_alu instid0(VALU_DEP_2) | instskip(NEXT) | instid1(VALU_DEP_1)
	v_cmp_eq_u32_e64 s0, 0, v2
	v_cndmask_b32_e64 v2, v7, v3, s0
; %bb.673:                              ;   in Loop: Header=BB452_415 Depth=1
	s_or_b32 exec_lo, exec_lo, s9
	v_lshrrev_b32_e32 v6, 16, v6
	v_lshrrev_b32_e32 v7, 16, v83
	v_lshrrev_b32_e32 v9, 16, v82
	v_lshrrev_b32_e32 v81, 16, v81
	v_lshrrev_b32_e32 v80, 16, v80
	v_lshrrev_b32_e32 v71, 16, v71
	v_lshrrev_b32_e32 v3, 16, v84
	v_lshrrev_b32_e32 v2, 16, v2
	s_and_saveexec_b32 s9, vcc_lo
	s_cbranch_execz .LBB452_675
; %bb.674:                              ;   in Loop: Header=BB452_415 Depth=1
	v_cmp_lt_i32_e64 s0, v48, v35
	s_delay_alu instid0(VALU_DEP_1) | instskip(SKIP_1) | instid1(VALU_DEP_1)
	v_cndmask_b32_e64 v71, 0, v71, s0
	v_cmp_lt_i32_e64 s0, v54, v35
	v_cndmask_b32_e64 v80, 0, v80, s0
	v_cmp_lt_i32_e64 s0, v53, v35
	s_delay_alu instid0(VALU_DEP_1) | instskip(SKIP_1) | instid1(VALU_DEP_1)
	v_cndmask_b32_e64 v81, 0, v81, s0
	v_cmp_lt_i32_e64 s0, v52, v35
	v_cndmask_b32_e64 v9, 0, v9, s0
	;; [unrolled: 5-line block ×4, first 2 shown]
.LBB452_675:                            ;   in Loop: Header=BB452_415 Depth=1
	s_or_b32 exec_lo, exec_lo, s9
	v_lshlrev_b32_e32 v71, 16, v71
	s_delay_alu instid0(VALU_DEP_1) | instskip(NEXT) | instid1(VALU_DEP_1)
	v_mul_f32_e32 v82, v55, v71
	v_and_b32_e32 v71, 0x7f800000, v82
	s_delay_alu instid0(VALU_DEP_1) | instskip(NEXT) | instid1(VALU_DEP_1)
	v_cmp_ne_u32_e64 s0, 0x7f800000, v71
                                        ; implicit-def: $vgpr71
	s_and_saveexec_b32 s9, s0
	s_delay_alu instid0(SALU_CYCLE_1)
	s_xor_b32 s0, exec_lo, s9
; %bb.676:                              ;   in Loop: Header=BB452_415 Depth=1
	v_bfe_u32 v71, v82, 16, 1
	s_delay_alu instid0(VALU_DEP_1)
	v_add3_u32 v71, v82, v71, 0x7fff
                                        ; implicit-def: $vgpr82
; %bb.677:                              ;   in Loop: Header=BB452_415 Depth=1
	s_and_not1_saveexec_b32 s9, s0
; %bb.678:                              ;   in Loop: Header=BB452_415 Depth=1
	v_and_b32_e32 v71, 0xffff, v82
	v_or_b32_e32 v83, 0x10000, v82
	s_delay_alu instid0(VALU_DEP_2) | instskip(NEXT) | instid1(VALU_DEP_1)
	v_cmp_eq_u32_e64 s0, 0, v71
	v_cndmask_b32_e64 v71, v83, v82, s0
; %bb.679:                              ;   in Loop: Header=BB452_415 Depth=1
	s_or_b32 exec_lo, exec_lo, s9
	v_lshlrev_b32_e32 v80, 16, v80
	s_delay_alu instid0(VALU_DEP_1) | instskip(NEXT) | instid1(VALU_DEP_1)
	v_mul_f32_e32 v82, v64, v80
	v_and_b32_e32 v80, 0x7f800000, v82
	s_delay_alu instid0(VALU_DEP_1) | instskip(NEXT) | instid1(VALU_DEP_1)
	v_cmp_ne_u32_e64 s0, 0x7f800000, v80
                                        ; implicit-def: $vgpr80
	s_and_saveexec_b32 s9, s0
	s_delay_alu instid0(SALU_CYCLE_1)
	s_xor_b32 s0, exec_lo, s9
; %bb.680:                              ;   in Loop: Header=BB452_415 Depth=1
	v_bfe_u32 v80, v82, 16, 1
	s_delay_alu instid0(VALU_DEP_1)
	v_add3_u32 v80, v82, v80, 0x7fff
                                        ; implicit-def: $vgpr82
; %bb.681:                              ;   in Loop: Header=BB452_415 Depth=1
	s_and_not1_saveexec_b32 s9, s0
; %bb.682:                              ;   in Loop: Header=BB452_415 Depth=1
	v_and_b32_e32 v80, 0xffff, v82
	v_or_b32_e32 v83, 0x10000, v82
	s_delay_alu instid0(VALU_DEP_2) | instskip(NEXT) | instid1(VALU_DEP_1)
	v_cmp_eq_u32_e64 s0, 0, v80
	v_cndmask_b32_e64 v80, v83, v82, s0
; %bb.683:                              ;   in Loop: Header=BB452_415 Depth=1
	s_or_b32 exec_lo, exec_lo, s9
	v_lshlrev_b32_e32 v81, 16, v81
	s_delay_alu instid0(VALU_DEP_1) | instskip(NEXT) | instid1(VALU_DEP_1)
	v_mul_f32_e32 v82, v65, v81
	v_and_b32_e32 v81, 0x7f800000, v82
	s_delay_alu instid0(VALU_DEP_1) | instskip(NEXT) | instid1(VALU_DEP_1)
	v_cmp_ne_u32_e64 s0, 0x7f800000, v81
                                        ; implicit-def: $vgpr81
	s_and_saveexec_b32 s9, s0
	s_delay_alu instid0(SALU_CYCLE_1)
	s_xor_b32 s0, exec_lo, s9
; %bb.684:                              ;   in Loop: Header=BB452_415 Depth=1
	v_bfe_u32 v81, v82, 16, 1
	s_delay_alu instid0(VALU_DEP_1)
	v_add3_u32 v81, v82, v81, 0x7fff
                                        ; implicit-def: $vgpr82
; %bb.685:                              ;   in Loop: Header=BB452_415 Depth=1
	s_and_not1_saveexec_b32 s9, s0
; %bb.686:                              ;   in Loop: Header=BB452_415 Depth=1
	v_and_b32_e32 v81, 0xffff, v82
	v_or_b32_e32 v83, 0x10000, v82
	s_delay_alu instid0(VALU_DEP_2) | instskip(NEXT) | instid1(VALU_DEP_1)
	v_cmp_eq_u32_e64 s0, 0, v81
	v_cndmask_b32_e64 v81, v83, v82, s0
; %bb.687:                              ;   in Loop: Header=BB452_415 Depth=1
	s_or_b32 exec_lo, exec_lo, s9
	v_lshlrev_b32_e32 v9, 16, v9
	s_delay_alu instid0(VALU_DEP_1) | instskip(NEXT) | instid1(VALU_DEP_1)
	v_mul_f32_e32 v9, v66, v9
	v_and_b32_e32 v82, 0x7f800000, v9
	s_delay_alu instid0(VALU_DEP_1) | instskip(NEXT) | instid1(VALU_DEP_1)
	v_cmp_ne_u32_e64 s0, 0x7f800000, v82
                                        ; implicit-def: $vgpr82
	s_and_saveexec_b32 s9, s0
	s_delay_alu instid0(SALU_CYCLE_1)
	s_xor_b32 s0, exec_lo, s9
; %bb.688:                              ;   in Loop: Header=BB452_415 Depth=1
	v_bfe_u32 v82, v9, 16, 1
	s_delay_alu instid0(VALU_DEP_1)
	v_add3_u32 v82, v9, v82, 0x7fff
                                        ; implicit-def: $vgpr9
; %bb.689:                              ;   in Loop: Header=BB452_415 Depth=1
	s_and_not1_saveexec_b32 s9, s0
; %bb.690:                              ;   in Loop: Header=BB452_415 Depth=1
	v_and_b32_e32 v82, 0xffff, v9
	v_or_b32_e32 v83, 0x10000, v9
	s_delay_alu instid0(VALU_DEP_2) | instskip(NEXT) | instid1(VALU_DEP_1)
	v_cmp_eq_u32_e64 s0, 0, v82
	v_cndmask_b32_e64 v82, v83, v9, s0
; %bb.691:                              ;   in Loop: Header=BB452_415 Depth=1
	s_or_b32 exec_lo, exec_lo, s9
	v_lshlrev_b32_e32 v7, 16, v7
                                        ; implicit-def: $vgpr83
	s_delay_alu instid0(VALU_DEP_1) | instskip(NEXT) | instid1(VALU_DEP_1)
	v_mul_f32_e32 v7, v67, v7
	v_and_b32_e32 v9, 0x7f800000, v7
	s_delay_alu instid0(VALU_DEP_1) | instskip(NEXT) | instid1(VALU_DEP_1)
	v_cmp_ne_u32_e64 s0, 0x7f800000, v9
	s_and_saveexec_b32 s9, s0
	s_delay_alu instid0(SALU_CYCLE_1)
	s_xor_b32 s0, exec_lo, s9
; %bb.692:                              ;   in Loop: Header=BB452_415 Depth=1
	v_bfe_u32 v9, v7, 16, 1
	s_delay_alu instid0(VALU_DEP_1)
	v_add3_u32 v83, v7, v9, 0x7fff
                                        ; implicit-def: $vgpr7
; %bb.693:                              ;   in Loop: Header=BB452_415 Depth=1
	s_and_not1_saveexec_b32 s9, s0
; %bb.694:                              ;   in Loop: Header=BB452_415 Depth=1
	v_and_b32_e32 v9, 0xffff, v7
	v_or_b32_e32 v83, 0x10000, v7
	s_delay_alu instid0(VALU_DEP_2) | instskip(NEXT) | instid1(VALU_DEP_1)
	v_cmp_eq_u32_e64 s0, 0, v9
	v_cndmask_b32_e64 v83, v83, v7, s0
; %bb.695:                              ;   in Loop: Header=BB452_415 Depth=1
	s_or_b32 exec_lo, exec_lo, s9
	v_lshlrev_b32_e32 v6, 16, v6
                                        ; implicit-def: $vgpr84
	s_delay_alu instid0(VALU_DEP_1) | instskip(NEXT) | instid1(VALU_DEP_1)
	v_mul_f32_e32 v6, v68, v6
	v_and_b32_e32 v7, 0x7f800000, v6
	s_delay_alu instid0(VALU_DEP_1) | instskip(NEXT) | instid1(VALU_DEP_1)
	v_cmp_ne_u32_e64 s0, 0x7f800000, v7
	s_and_saveexec_b32 s9, s0
	s_delay_alu instid0(SALU_CYCLE_1)
	s_xor_b32 s0, exec_lo, s9
; %bb.696:                              ;   in Loop: Header=BB452_415 Depth=1
	v_bfe_u32 v7, v6, 16, 1
	s_delay_alu instid0(VALU_DEP_1)
	v_add3_u32 v84, v6, v7, 0x7fff
                                        ; implicit-def: $vgpr6
; %bb.697:                              ;   in Loop: Header=BB452_415 Depth=1
	s_and_not1_saveexec_b32 s9, s0
; %bb.698:                              ;   in Loop: Header=BB452_415 Depth=1
	v_and_b32_e32 v7, 0xffff, v6
	v_or_b32_e32 v9, 0x10000, v6
	s_delay_alu instid0(VALU_DEP_2) | instskip(NEXT) | instid1(VALU_DEP_1)
	v_cmp_eq_u32_e64 s0, 0, v7
	v_cndmask_b32_e64 v84, v9, v6, s0
; %bb.699:                              ;   in Loop: Header=BB452_415 Depth=1
	s_or_b32 exec_lo, exec_lo, s9
	v_lshlrev_b32_e32 v3, 16, v3
                                        ; implicit-def: $vgpr85
	s_delay_alu instid0(VALU_DEP_1) | instskip(NEXT) | instid1(VALU_DEP_1)
	v_mul_f32_e32 v3, v69, v3
	v_and_b32_e32 v6, 0x7f800000, v3
	s_delay_alu instid0(VALU_DEP_1) | instskip(NEXT) | instid1(VALU_DEP_1)
	v_cmp_ne_u32_e64 s0, 0x7f800000, v6
	s_and_saveexec_b32 s9, s0
	s_delay_alu instid0(SALU_CYCLE_1)
	s_xor_b32 s0, exec_lo, s9
; %bb.700:                              ;   in Loop: Header=BB452_415 Depth=1
	v_bfe_u32 v6, v3, 16, 1
	s_delay_alu instid0(VALU_DEP_1)
	v_add3_u32 v85, v3, v6, 0x7fff
                                        ; implicit-def: $vgpr3
; %bb.701:                              ;   in Loop: Header=BB452_415 Depth=1
	s_and_not1_saveexec_b32 s9, s0
; %bb.702:                              ;   in Loop: Header=BB452_415 Depth=1
	v_and_b32_e32 v6, 0xffff, v3
	v_or_b32_e32 v7, 0x10000, v3
	s_delay_alu instid0(VALU_DEP_2) | instskip(NEXT) | instid1(VALU_DEP_1)
	v_cmp_eq_u32_e64 s0, 0, v6
	v_cndmask_b32_e64 v85, v7, v3, s0
; %bb.703:                              ;   in Loop: Header=BB452_415 Depth=1
	s_or_b32 exec_lo, exec_lo, s9
	v_lshlrev_b32_e32 v2, 16, v2
                                        ; implicit-def: $vgpr86
	s_delay_alu instid0(VALU_DEP_1) | instskip(NEXT) | instid1(VALU_DEP_1)
	v_mul_f32_e32 v2, v70, v2
	v_and_b32_e32 v3, 0x7f800000, v2
	s_delay_alu instid0(VALU_DEP_1) | instskip(NEXT) | instid1(VALU_DEP_1)
	v_cmp_ne_u32_e64 s0, 0x7f800000, v3
	s_and_saveexec_b32 s9, s0
	s_delay_alu instid0(SALU_CYCLE_1)
	s_xor_b32 s0, exec_lo, s9
; %bb.704:                              ;   in Loop: Header=BB452_415 Depth=1
	v_bfe_u32 v3, v2, 16, 1
	s_delay_alu instid0(VALU_DEP_1)
	v_add3_u32 v86, v2, v3, 0x7fff
                                        ; implicit-def: $vgpr2
; %bb.705:                              ;   in Loop: Header=BB452_415 Depth=1
	s_and_not1_saveexec_b32 s9, s0
; %bb.706:                              ;   in Loop: Header=BB452_415 Depth=1
	v_and_b32_e32 v3, 0xffff, v2
	v_or_b32_e32 v6, 0x10000, v2
	s_delay_alu instid0(VALU_DEP_2) | instskip(NEXT) | instid1(VALU_DEP_1)
	v_cmp_eq_u32_e64 s0, 0, v3
	v_cndmask_b32_e64 v86, v6, v2, s0
; %bb.707:                              ;   in Loop: Header=BB452_415 Depth=1
	s_or_b32 exec_lo, exec_lo, s9
	flat_load_b64 v[2:3], v[0:1] offset:512
	s_mov_b32 s9, exec_lo
	s_waitcnt vmcnt(0) lgkmcnt(0)
	v_dual_mov_b32 v6, 0 :: v_dual_and_b32 v7, 0xff, v2
	s_delay_alu instid0(VALU_DEP_1)
	v_cmpx_ne_u16_e32 0, v7
	s_cbranch_execz .LBB452_715
; %bb.708:                              ;   in Loop: Header=BB452_415 Depth=1
	v_bfrev_b32_e32 v6, 1
	s_mov_b32 s12, exec_lo
	v_cmpx_ne_u16_e32 0x80, v7
	s_cbranch_execz .LBB452_714
; %bb.709:                              ;   in Loop: Header=BB452_415 Depth=1
	v_and_b32_e32 v7, 0x7f, v2
	v_mov_b32_e32 v6, 0x7f800001
	s_mov_b32 s13, exec_lo
	s_delay_alu instid0(VALU_DEP_2)
	v_cmpx_ne_u32_e32 0x7f, v7
	s_cbranch_execz .LBB452_713
; %bb.710:                              ;   in Loop: Header=BB452_415 Depth=1
	v_lshrrev_b32_e32 v9, 3, v7
	v_cmp_gt_u32_e64 s0, 8, v7
	v_dual_mov_b32 v7, v3 :: v_dual_mov_b32 v6, v2
	s_delay_alu instid0(VALU_DEP_2)
	s_and_saveexec_b32 s15, s0
; %bb.711:                              ;   in Loop: Header=BB452_415 Depth=1
	v_and_b32_e32 v6, 7, v2
	s_delay_alu instid0(VALU_DEP_1) | instskip(NEXT) | instid1(VALU_DEP_1)
	v_clz_i32_u32_e32 v6, v6
	v_min_u32_e32 v9, 32, v6
	s_delay_alu instid0(VALU_DEP_1) | instskip(SKIP_1) | instid1(VALU_DEP_2)
	v_subrev_nc_u32_e32 v6, 28, v9
	v_sub_nc_u32_e32 v9, 29, v9
	v_lshlrev_b64 v[6:7], v6, v[2:3]
; %bb.712:                              ;   in Loop: Header=BB452_415 Depth=1
	s_or_b32 exec_lo, exec_lo, s15
	s_delay_alu instid0(VALU_DEP_1) | instskip(SKIP_2) | instid1(VALU_DEP_3)
	v_lshlrev_b32_e32 v6, 20, v6
	v_lshlrev_b32_e32 v7, 24, v2
	v_lshl_add_u32 v9, v9, 23, 0x3c000000
	v_and_b32_e32 v6, 0x700000, v6
	s_delay_alu instid0(VALU_DEP_3) | instskip(NEXT) | instid1(VALU_DEP_1)
	v_and_b32_e32 v7, 0x80000000, v7
	v_or3_b32 v6, v6, v7, v9
.LBB452_713:                            ;   in Loop: Header=BB452_415 Depth=1
	s_or_b32 exec_lo, exec_lo, s13
.LBB452_714:                            ;   in Loop: Header=BB452_415 Depth=1
	s_delay_alu instid0(SALU_CYCLE_1)
	s_or_b32 exec_lo, exec_lo, s12
.LBB452_715:                            ;   in Loop: Header=BB452_415 Depth=1
	s_delay_alu instid0(SALU_CYCLE_1) | instskip(NEXT) | instid1(VALU_DEP_1)
	s_or_b32 exec_lo, exec_lo, s9
	v_mul_f32_e32 v6, v26, v6
                                        ; implicit-def: $vgpr87
	s_delay_alu instid0(VALU_DEP_1) | instskip(NEXT) | instid1(VALU_DEP_1)
	v_and_b32_e32 v7, 0x7f800000, v6
	v_cmp_ne_u32_e64 s0, 0x7f800000, v7
	s_delay_alu instid0(VALU_DEP_1) | instskip(NEXT) | instid1(SALU_CYCLE_1)
	s_and_saveexec_b32 s9, s0
	s_xor_b32 s0, exec_lo, s9
; %bb.716:                              ;   in Loop: Header=BB452_415 Depth=1
	v_bfe_u32 v7, v6, 16, 1
	s_delay_alu instid0(VALU_DEP_1)
	v_add3_u32 v87, v6, v7, 0x7fff
                                        ; implicit-def: $vgpr6
; %bb.717:                              ;   in Loop: Header=BB452_415 Depth=1
	s_and_not1_saveexec_b32 s9, s0
; %bb.718:                              ;   in Loop: Header=BB452_415 Depth=1
	v_and_b32_e32 v7, 0xffff, v6
	v_or_b32_e32 v9, 0x10000, v6
	s_delay_alu instid0(VALU_DEP_2) | instskip(NEXT) | instid1(VALU_DEP_1)
	v_cmp_eq_u32_e64 s0, 0, v7
	v_cndmask_b32_e64 v87, v9, v6, s0
; %bb.719:                              ;   in Loop: Header=BB452_415 Depth=1
	s_or_b32 exec_lo, exec_lo, s9
	v_lshrrev_b16 v7, 8, v2
	v_mov_b32_e32 v6, 0
	s_mov_b32 s9, exec_lo
	s_delay_alu instid0(VALU_DEP_2)
	v_cmpx_ne_u16_e32 0, v7
	s_cbranch_execz .LBB452_727
; %bb.720:                              ;   in Loop: Header=BB452_415 Depth=1
	v_bfrev_b32_e32 v6, 1
	s_mov_b32 s12, exec_lo
	v_cmpx_ne_u16_e32 0x80, v7
	s_cbranch_execz .LBB452_726
; %bb.721:                              ;   in Loop: Header=BB452_415 Depth=1
	v_and_b32_e32 v9, 0xffff, v7
	v_mov_b32_e32 v6, 0x7f800001
	s_mov_b32 s13, exec_lo
	s_delay_alu instid0(VALU_DEP_2) | instskip(NEXT) | instid1(VALU_DEP_1)
	v_and_b32_e32 v7, 0x7f, v9
	v_cmpx_ne_u32_e32 0x7f, v7
	s_cbranch_execz .LBB452_725
; %bb.722:                              ;   in Loop: Header=BB452_415 Depth=1
	v_and_b32_e32 v9, 7, v9
	v_lshrrev_b32_e32 v6, 3, v7
	s_mov_b32 s15, exec_lo
	v_cmpx_gt_u32_e32 8, v7
; %bb.723:                              ;   in Loop: Header=BB452_415 Depth=1
	s_delay_alu instid0(VALU_DEP_3) | instskip(NEXT) | instid1(VALU_DEP_1)
	v_clz_i32_u32_e32 v6, v9
	v_min_u32_e32 v6, 32, v6
	s_delay_alu instid0(VALU_DEP_1) | instskip(SKIP_1) | instid1(VALU_DEP_2)
	v_subrev_nc_u32_e32 v7, 28, v6
	v_sub_nc_u32_e32 v6, 29, v6
	v_lshlrev_b64 v[96:97], v7, v[9:10]
	s_delay_alu instid0(VALU_DEP_1)
	v_and_b32_e32 v9, 7, v96
; %bb.724:                              ;   in Loop: Header=BB452_415 Depth=1
	s_or_b32 exec_lo, exec_lo, s15
	v_lshlrev_b32_e32 v7, 16, v2
	s_delay_alu instid0(VALU_DEP_2) | instskip(SKIP_1) | instid1(VALU_DEP_3)
	v_lshlrev_b32_e32 v9, 20, v9
	v_lshl_add_u32 v6, v6, 23, 0x3c000000
	v_and_b32_e32 v7, 0x80000000, v7
	s_delay_alu instid0(VALU_DEP_1)
	v_or3_b32 v6, v9, v7, v6
.LBB452_725:                            ;   in Loop: Header=BB452_415 Depth=1
	s_or_b32 exec_lo, exec_lo, s13
.LBB452_726:                            ;   in Loop: Header=BB452_415 Depth=1
	s_delay_alu instid0(SALU_CYCLE_1)
	s_or_b32 exec_lo, exec_lo, s12
.LBB452_727:                            ;   in Loop: Header=BB452_415 Depth=1
	s_delay_alu instid0(SALU_CYCLE_1) | instskip(NEXT) | instid1(VALU_DEP_1)
	s_or_b32 exec_lo, exec_lo, s9
	v_mul_f32_e32 v6, v26, v6
                                        ; implicit-def: $vgpr96
	s_delay_alu instid0(VALU_DEP_1) | instskip(NEXT) | instid1(VALU_DEP_1)
	v_and_b32_e32 v7, 0x7f800000, v6
	v_cmp_ne_u32_e64 s0, 0x7f800000, v7
	s_delay_alu instid0(VALU_DEP_1) | instskip(NEXT) | instid1(SALU_CYCLE_1)
	s_and_saveexec_b32 s9, s0
	s_xor_b32 s0, exec_lo, s9
; %bb.728:                              ;   in Loop: Header=BB452_415 Depth=1
	v_bfe_u32 v7, v6, 16, 1
	s_delay_alu instid0(VALU_DEP_1)
	v_add3_u32 v96, v6, v7, 0x7fff
                                        ; implicit-def: $vgpr6
; %bb.729:                              ;   in Loop: Header=BB452_415 Depth=1
	s_and_not1_saveexec_b32 s9, s0
; %bb.730:                              ;   in Loop: Header=BB452_415 Depth=1
	v_and_b32_e32 v7, 0xffff, v6
	v_or_b32_e32 v9, 0x10000, v6
	s_delay_alu instid0(VALU_DEP_2) | instskip(NEXT) | instid1(VALU_DEP_1)
	v_cmp_eq_u32_e64 s0, 0, v7
	v_cndmask_b32_e64 v96, v9, v6, s0
; %bb.731:                              ;   in Loop: Header=BB452_415 Depth=1
	s_or_b32 exec_lo, exec_lo, s9
	v_lshrrev_b32_e32 v6, 16, v2
	v_mov_b32_e32 v7, 0
	s_mov_b32 s9, exec_lo
	s_delay_alu instid0(VALU_DEP_2) | instskip(NEXT) | instid1(VALU_DEP_1)
	v_and_b32_e32 v9, 0xff, v6
	v_cmpx_ne_u16_e32 0, v9
	s_cbranch_execz .LBB452_739
; %bb.732:                              ;   in Loop: Header=BB452_415 Depth=1
	v_bfrev_b32_e32 v7, 1
	s_mov_b32 s12, exec_lo
	v_cmpx_ne_u16_e32 0x80, v9
	s_cbranch_execz .LBB452_738
; %bb.733:                              ;   in Loop: Header=BB452_415 Depth=1
	v_bfe_u32 v97, v2, 16, 7
	v_mov_b32_e32 v7, 0x7f800001
	s_mov_b32 s13, exec_lo
	s_delay_alu instid0(VALU_DEP_2)
	v_cmpx_ne_u32_e32 0x7f, v97
	s_cbranch_execz .LBB452_737
; %bb.734:                              ;   in Loop: Header=BB452_415 Depth=1
	v_and_b32_e32 v9, 7, v6
	v_lshrrev_b32_e32 v7, 3, v97
	s_mov_b32 s15, exec_lo
	v_cmpx_gt_u32_e32 8, v97
; %bb.735:                              ;   in Loop: Header=BB452_415 Depth=1
	s_delay_alu instid0(VALU_DEP_3) | instskip(NEXT) | instid1(VALU_DEP_1)
	v_clz_i32_u32_e32 v7, v9
	v_min_u32_e32 v7, 32, v7
	s_delay_alu instid0(VALU_DEP_1) | instskip(SKIP_1) | instid1(VALU_DEP_2)
	v_subrev_nc_u32_e32 v97, 28, v7
	v_sub_nc_u32_e32 v7, 29, v7
	v_lshlrev_b64 v[97:98], v97, v[9:10]
	s_delay_alu instid0(VALU_DEP_1)
	v_and_b32_e32 v9, 7, v97
; %bb.736:                              ;   in Loop: Header=BB452_415 Depth=1
	s_or_b32 exec_lo, exec_lo, s15
	v_lshlrev_b32_e32 v6, 24, v6
	s_delay_alu instid0(VALU_DEP_2) | instskip(SKIP_1) | instid1(VALU_DEP_3)
	v_lshlrev_b32_e32 v9, 20, v9
	v_lshl_add_u32 v7, v7, 23, 0x3c000000
	v_and_b32_e32 v6, 0x80000000, v6
	s_delay_alu instid0(VALU_DEP_1)
	v_or3_b32 v7, v9, v6, v7
.LBB452_737:                            ;   in Loop: Header=BB452_415 Depth=1
	s_or_b32 exec_lo, exec_lo, s13
.LBB452_738:                            ;   in Loop: Header=BB452_415 Depth=1
	s_delay_alu instid0(SALU_CYCLE_1)
	s_or_b32 exec_lo, exec_lo, s12
.LBB452_739:                            ;   in Loop: Header=BB452_415 Depth=1
	s_delay_alu instid0(SALU_CYCLE_1) | instskip(NEXT) | instid1(VALU_DEP_1)
	s_or_b32 exec_lo, exec_lo, s9
	v_mul_f32_e32 v6, v26, v7
                                        ; implicit-def: $vgpr97
	s_delay_alu instid0(VALU_DEP_1) | instskip(NEXT) | instid1(VALU_DEP_1)
	v_and_b32_e32 v7, 0x7f800000, v6
	v_cmp_ne_u32_e64 s0, 0x7f800000, v7
	s_delay_alu instid0(VALU_DEP_1) | instskip(NEXT) | instid1(SALU_CYCLE_1)
	s_and_saveexec_b32 s9, s0
	s_xor_b32 s0, exec_lo, s9
; %bb.740:                              ;   in Loop: Header=BB452_415 Depth=1
	v_bfe_u32 v7, v6, 16, 1
	s_delay_alu instid0(VALU_DEP_1)
	v_add3_u32 v97, v6, v7, 0x7fff
                                        ; implicit-def: $vgpr6
; %bb.741:                              ;   in Loop: Header=BB452_415 Depth=1
	s_and_not1_saveexec_b32 s9, s0
; %bb.742:                              ;   in Loop: Header=BB452_415 Depth=1
	v_and_b32_e32 v7, 0xffff, v6
	v_or_b32_e32 v9, 0x10000, v6
	s_delay_alu instid0(VALU_DEP_2) | instskip(NEXT) | instid1(VALU_DEP_1)
	v_cmp_eq_u32_e64 s0, 0, v7
	v_cndmask_b32_e64 v97, v9, v6, s0
; %bb.743:                              ;   in Loop: Header=BB452_415 Depth=1
	s_or_b32 exec_lo, exec_lo, s9
	v_mov_b32_e32 v7, 0
	s_mov_b32 s9, exec_lo
	v_cmpx_lt_u32_e32 0xffffff, v2
	s_cbranch_execz .LBB452_751
; %bb.744:                              ;   in Loop: Header=BB452_415 Depth=1
	v_lshrrev_b32_e32 v6, 24, v2
	v_bfrev_b32_e32 v7, 1
	s_mov_b32 s12, exec_lo
	s_delay_alu instid0(VALU_DEP_2)
	v_cmpx_ne_u32_e32 0x80, v6
	s_cbranch_execz .LBB452_750
; %bb.745:                              ;   in Loop: Header=BB452_415 Depth=1
	v_bfe_u32 v98, v2, 24, 7
	v_mov_b32_e32 v7, 0x7f800001
	s_mov_b32 s13, exec_lo
	s_delay_alu instid0(VALU_DEP_2)
	v_cmpx_ne_u32_e32 0x7f, v98
	s_cbranch_execz .LBB452_749
; %bb.746:                              ;   in Loop: Header=BB452_415 Depth=1
	v_and_b32_e32 v9, 7, v6
	v_lshrrev_b32_e32 v7, 3, v98
	s_mov_b32 s15, exec_lo
	v_cmpx_gt_u32_e32 8, v98
; %bb.747:                              ;   in Loop: Header=BB452_415 Depth=1
	s_delay_alu instid0(VALU_DEP_3) | instskip(NEXT) | instid1(VALU_DEP_1)
	v_clz_i32_u32_e32 v7, v9
	v_min_u32_e32 v7, 32, v7
	s_delay_alu instid0(VALU_DEP_1) | instskip(SKIP_1) | instid1(VALU_DEP_2)
	v_subrev_nc_u32_e32 v98, 28, v7
	v_sub_nc_u32_e32 v7, 29, v7
	v_lshlrev_b64 v[98:99], v98, v[9:10]
	s_delay_alu instid0(VALU_DEP_1)
	v_and_b32_e32 v9, 7, v98
; %bb.748:                              ;   in Loop: Header=BB452_415 Depth=1
	s_or_b32 exec_lo, exec_lo, s15
	v_lshlrev_b32_e32 v6, 24, v6
	s_delay_alu instid0(VALU_DEP_2) | instskip(SKIP_1) | instid1(VALU_DEP_3)
	v_lshlrev_b32_e32 v9, 20, v9
	v_lshl_add_u32 v7, v7, 23, 0x3c000000
	v_and_b32_e32 v6, 0x80000000, v6
	s_delay_alu instid0(VALU_DEP_1)
	v_or3_b32 v7, v9, v6, v7
.LBB452_749:                            ;   in Loop: Header=BB452_415 Depth=1
	s_or_b32 exec_lo, exec_lo, s13
.LBB452_750:                            ;   in Loop: Header=BB452_415 Depth=1
	s_delay_alu instid0(SALU_CYCLE_1)
	s_or_b32 exec_lo, exec_lo, s12
.LBB452_751:                            ;   in Loop: Header=BB452_415 Depth=1
	s_delay_alu instid0(SALU_CYCLE_1) | instskip(NEXT) | instid1(VALU_DEP_1)
	s_or_b32 exec_lo, exec_lo, s9
	v_mul_f32_e32 v6, v26, v7
                                        ; implicit-def: $vgpr98
	s_delay_alu instid0(VALU_DEP_1) | instskip(NEXT) | instid1(VALU_DEP_1)
	v_and_b32_e32 v7, 0x7f800000, v6
	v_cmp_ne_u32_e64 s0, 0x7f800000, v7
	s_delay_alu instid0(VALU_DEP_1) | instskip(NEXT) | instid1(SALU_CYCLE_1)
	s_and_saveexec_b32 s9, s0
	s_xor_b32 s0, exec_lo, s9
; %bb.752:                              ;   in Loop: Header=BB452_415 Depth=1
	v_bfe_u32 v7, v6, 16, 1
	s_delay_alu instid0(VALU_DEP_1)
	v_add3_u32 v98, v6, v7, 0x7fff
                                        ; implicit-def: $vgpr6
; %bb.753:                              ;   in Loop: Header=BB452_415 Depth=1
	s_and_not1_saveexec_b32 s9, s0
; %bb.754:                              ;   in Loop: Header=BB452_415 Depth=1
	v_and_b32_e32 v7, 0xffff, v6
	v_or_b32_e32 v9, 0x10000, v6
	s_delay_alu instid0(VALU_DEP_2) | instskip(NEXT) | instid1(VALU_DEP_1)
	v_cmp_eq_u32_e64 s0, 0, v7
	v_cndmask_b32_e64 v98, v9, v6, s0
; %bb.755:                              ;   in Loop: Header=BB452_415 Depth=1
	s_or_b32 exec_lo, exec_lo, s9
	v_dual_mov_b32 v6, 0 :: v_dual_and_b32 v7, 0xff, v3
	v_mov_b32_e32 v9, v3
	s_mov_b32 s9, exec_lo
	s_delay_alu instid0(VALU_DEP_2)
	v_cmpx_ne_u16_e32 0, v7
	s_cbranch_execz .LBB452_763
; %bb.756:                              ;   in Loop: Header=BB452_415 Depth=1
	v_bfrev_b32_e32 v6, 1
	s_mov_b32 s12, exec_lo
	v_cmpx_ne_u16_e32 0x80, v7
	s_cbranch_execz .LBB452_762
; %bb.757:                              ;   in Loop: Header=BB452_415 Depth=1
	v_and_b32_e32 v7, 0x7f, v3
	v_mov_b32_e32 v6, 0x7f800001
	s_mov_b32 s13, exec_lo
	s_delay_alu instid0(VALU_DEP_2)
	v_cmpx_ne_u32_e32 0x7f, v7
	s_cbranch_execz .LBB452_761
; %bb.758:                              ;   in Loop: Header=BB452_415 Depth=1
	v_lshrrev_b32_e32 v99, 3, v7
	v_cmp_gt_u32_e64 s0, 8, v7
	v_dual_mov_b32 v6, v9 :: v_dual_mov_b32 v7, v10
	s_delay_alu instid0(VALU_DEP_2)
	s_and_saveexec_b32 s15, s0
; %bb.759:                              ;   in Loop: Header=BB452_415 Depth=1
	v_and_b32_e32 v6, 7, v3
	s_delay_alu instid0(VALU_DEP_1) | instskip(NEXT) | instid1(VALU_DEP_1)
	v_clz_i32_u32_e32 v6, v6
	v_min_u32_e32 v99, 32, v6
	s_delay_alu instid0(VALU_DEP_1) | instskip(SKIP_1) | instid1(VALU_DEP_2)
	v_subrev_nc_u32_e32 v6, 28, v99
	v_sub_nc_u32_e32 v99, 29, v99
	v_lshlrev_b64 v[6:7], v6, v[9:10]
; %bb.760:                              ;   in Loop: Header=BB452_415 Depth=1
	s_or_b32 exec_lo, exec_lo, s15
	s_delay_alu instid0(VALU_DEP_1) | instskip(SKIP_2) | instid1(VALU_DEP_3)
	v_lshlrev_b32_e32 v6, 20, v6
	v_lshlrev_b32_e32 v7, 24, v9
	v_lshl_add_u32 v99, v99, 23, 0x3c000000
	v_and_b32_e32 v6, 0x700000, v6
	s_delay_alu instid0(VALU_DEP_3) | instskip(NEXT) | instid1(VALU_DEP_1)
	v_and_b32_e32 v7, 0x80000000, v7
	v_or3_b32 v6, v6, v7, v99
.LBB452_761:                            ;   in Loop: Header=BB452_415 Depth=1
	s_or_b32 exec_lo, exec_lo, s13
.LBB452_762:                            ;   in Loop: Header=BB452_415 Depth=1
	s_delay_alu instid0(SALU_CYCLE_1)
	s_or_b32 exec_lo, exec_lo, s12
.LBB452_763:                            ;   in Loop: Header=BB452_415 Depth=1
	s_delay_alu instid0(SALU_CYCLE_1) | instskip(NEXT) | instid1(VALU_DEP_1)
	s_or_b32 exec_lo, exec_lo, s9
	v_mul_f32_e32 v6, v26, v6
                                        ; implicit-def: $vgpr99
	s_delay_alu instid0(VALU_DEP_1) | instskip(NEXT) | instid1(VALU_DEP_1)
	v_and_b32_e32 v7, 0x7f800000, v6
	v_cmp_ne_u32_e64 s0, 0x7f800000, v7
	s_delay_alu instid0(VALU_DEP_1) | instskip(NEXT) | instid1(SALU_CYCLE_1)
	s_and_saveexec_b32 s9, s0
	s_xor_b32 s0, exec_lo, s9
; %bb.764:                              ;   in Loop: Header=BB452_415 Depth=1
	v_bfe_u32 v7, v6, 16, 1
	s_delay_alu instid0(VALU_DEP_1)
	v_add3_u32 v99, v6, v7, 0x7fff
                                        ; implicit-def: $vgpr6
; %bb.765:                              ;   in Loop: Header=BB452_415 Depth=1
	s_and_not1_saveexec_b32 s9, s0
; %bb.766:                              ;   in Loop: Header=BB452_415 Depth=1
	v_and_b32_e32 v7, 0xffff, v6
	v_or_b32_e32 v99, 0x10000, v6
	s_delay_alu instid0(VALU_DEP_2) | instskip(NEXT) | instid1(VALU_DEP_1)
	v_cmp_eq_u32_e64 s0, 0, v7
	v_cndmask_b32_e64 v99, v99, v6, s0
; %bb.767:                              ;   in Loop: Header=BB452_415 Depth=1
	s_or_b32 exec_lo, exec_lo, s9
	v_lshrrev_b16 v7, 8, v9
	v_mov_b32_e32 v6, 0
	s_mov_b32 s9, exec_lo
	s_delay_alu instid0(VALU_DEP_2)
	v_cmpx_ne_u16_e32 0, v7
	s_cbranch_execz .LBB452_775
; %bb.768:                              ;   in Loop: Header=BB452_415 Depth=1
	v_bfrev_b32_e32 v6, 1
	s_mov_b32 s12, exec_lo
	v_cmpx_ne_u16_e32 0x80, v7
	s_cbranch_execz .LBB452_774
; %bb.769:                              ;   in Loop: Header=BB452_415 Depth=1
	v_and_b32_e32 v7, 0xffff, v7
	v_mov_b32_e32 v6, 0x7f800001
	s_mov_b32 s13, exec_lo
	s_delay_alu instid0(VALU_DEP_2) | instskip(NEXT) | instid1(VALU_DEP_1)
	v_and_b32_e32 v101, 0x7f, v7
	v_cmpx_ne_u32_e32 0x7f, v101
	s_cbranch_execz .LBB452_773
; %bb.770:                              ;   in Loop: Header=BB452_415 Depth=1
	v_dual_mov_b32 v7, v10 :: v_dual_and_b32 v6, 7, v7
	v_lshrrev_b32_e32 v100, 3, v101
	s_mov_b32 s15, exec_lo
	v_cmpx_gt_u32_e32 8, v101
; %bb.771:                              ;   in Loop: Header=BB452_415 Depth=1
	s_delay_alu instid0(VALU_DEP_3) | instskip(NEXT) | instid1(VALU_DEP_1)
	v_clz_i32_u32_e32 v100, v6
	v_min_u32_e32 v100, 32, v100
	s_delay_alu instid0(VALU_DEP_1) | instskip(SKIP_1) | instid1(VALU_DEP_2)
	v_subrev_nc_u32_e32 v101, 28, v100
	v_sub_nc_u32_e32 v100, 29, v100
	v_lshlrev_b64 v[6:7], v101, v[6:7]
	s_delay_alu instid0(VALU_DEP_1)
	v_and_b32_e32 v6, 7, v6
; %bb.772:                              ;   in Loop: Header=BB452_415 Depth=1
	s_or_b32 exec_lo, exec_lo, s15
	v_lshlrev_b32_e32 v7, 16, v9
	s_delay_alu instid0(VALU_DEP_2) | instskip(SKIP_1) | instid1(VALU_DEP_3)
	v_lshlrev_b32_e32 v6, 20, v6
	v_lshl_add_u32 v9, v100, 23, 0x3c000000
	v_and_b32_e32 v7, 0x80000000, v7
	s_delay_alu instid0(VALU_DEP_1)
	v_or3_b32 v6, v6, v7, v9
.LBB452_773:                            ;   in Loop: Header=BB452_415 Depth=1
	s_or_b32 exec_lo, exec_lo, s13
.LBB452_774:                            ;   in Loop: Header=BB452_415 Depth=1
	s_delay_alu instid0(SALU_CYCLE_1)
	s_or_b32 exec_lo, exec_lo, s12
.LBB452_775:                            ;   in Loop: Header=BB452_415 Depth=1
	s_delay_alu instid0(SALU_CYCLE_1) | instskip(NEXT) | instid1(VALU_DEP_1)
	s_or_b32 exec_lo, exec_lo, s9
	v_mul_f32_e32 v7, v26, v6
	s_delay_alu instid0(VALU_DEP_1) | instskip(NEXT) | instid1(VALU_DEP_1)
	v_and_b32_e32 v6, 0x7f800000, v7
	v_cmp_ne_u32_e64 s0, 0x7f800000, v6
                                        ; implicit-def: $vgpr6
	s_delay_alu instid0(VALU_DEP_1) | instskip(NEXT) | instid1(SALU_CYCLE_1)
	s_and_saveexec_b32 s9, s0
	s_xor_b32 s0, exec_lo, s9
; %bb.776:                              ;   in Loop: Header=BB452_415 Depth=1
	v_bfe_u32 v6, v7, 16, 1
	s_delay_alu instid0(VALU_DEP_1)
	v_add3_u32 v6, v7, v6, 0x7fff
                                        ; implicit-def: $vgpr7
; %bb.777:                              ;   in Loop: Header=BB452_415 Depth=1
	s_and_not1_saveexec_b32 s9, s0
; %bb.778:                              ;   in Loop: Header=BB452_415 Depth=1
	v_and_b32_e32 v6, 0xffff, v7
	v_or_b32_e32 v9, 0x10000, v7
	s_delay_alu instid0(VALU_DEP_2) | instskip(NEXT) | instid1(VALU_DEP_1)
	v_cmp_eq_u32_e64 s0, 0, v6
	v_cndmask_b32_e64 v6, v9, v7, s0
; %bb.779:                              ;   in Loop: Header=BB452_415 Depth=1
	s_or_b32 exec_lo, exec_lo, s9
	v_lshrrev_b32_e32 v7, 16, v3
	s_mov_b32 s9, exec_lo
	s_delay_alu instid0(VALU_DEP_1) | instskip(NEXT) | instid1(VALU_DEP_1)
	v_dual_mov_b32 v9, 0 :: v_dual_and_b32 v100, 0xff, v7
	v_cmpx_ne_u16_e32 0, v100
	s_cbranch_execz .LBB452_787
; %bb.780:                              ;   in Loop: Header=BB452_415 Depth=1
	v_bfrev_b32_e32 v9, 1
	s_mov_b32 s12, exec_lo
	v_cmpx_ne_u16_e32 0x80, v100
	s_cbranch_execz .LBB452_786
; %bb.781:                              ;   in Loop: Header=BB452_415 Depth=1
	v_bfe_u32 v101, v3, 16, 7
	v_mov_b32_e32 v9, 0x7f800001
	s_mov_b32 s13, exec_lo
	s_delay_alu instid0(VALU_DEP_2)
	v_cmpx_ne_u32_e32 0x7f, v101
	s_cbranch_execz .LBB452_785
; %bb.782:                              ;   in Loop: Header=BB452_415 Depth=1
	v_and_b32_e32 v9, 7, v7
	v_lshrrev_b32_e32 v100, 3, v101
	s_mov_b32 s15, exec_lo
	v_cmpx_gt_u32_e32 8, v101
; %bb.783:                              ;   in Loop: Header=BB452_415 Depth=1
	s_delay_alu instid0(VALU_DEP_3) | instskip(NEXT) | instid1(VALU_DEP_1)
	v_clz_i32_u32_e32 v100, v9
	v_min_u32_e32 v100, 32, v100
	s_delay_alu instid0(VALU_DEP_1) | instskip(SKIP_1) | instid1(VALU_DEP_2)
	v_subrev_nc_u32_e32 v101, 28, v100
	v_sub_nc_u32_e32 v100, 29, v100
	v_lshlrev_b64 v[101:102], v101, v[9:10]
	s_delay_alu instid0(VALU_DEP_1)
	v_and_b32_e32 v9, 7, v101
; %bb.784:                              ;   in Loop: Header=BB452_415 Depth=1
	s_or_b32 exec_lo, exec_lo, s15
	v_lshlrev_b32_e32 v7, 24, v7
	s_delay_alu instid0(VALU_DEP_2) | instskip(SKIP_1) | instid1(VALU_DEP_3)
	v_lshlrev_b32_e32 v9, 20, v9
	v_lshl_add_u32 v100, v100, 23, 0x3c000000
	v_and_b32_e32 v7, 0x80000000, v7
	s_delay_alu instid0(VALU_DEP_1)
	v_or3_b32 v9, v9, v7, v100
.LBB452_785:                            ;   in Loop: Header=BB452_415 Depth=1
	s_or_b32 exec_lo, exec_lo, s13
.LBB452_786:                            ;   in Loop: Header=BB452_415 Depth=1
	s_delay_alu instid0(SALU_CYCLE_1)
	s_or_b32 exec_lo, exec_lo, s12
.LBB452_787:                            ;   in Loop: Header=BB452_415 Depth=1
	s_delay_alu instid0(SALU_CYCLE_1) | instskip(NEXT) | instid1(VALU_DEP_1)
	s_or_b32 exec_lo, exec_lo, s9
	v_mul_f32_e32 v9, v26, v9
	s_delay_alu instid0(VALU_DEP_1) | instskip(NEXT) | instid1(VALU_DEP_1)
	v_and_b32_e32 v7, 0x7f800000, v9
	v_cmp_ne_u32_e64 s0, 0x7f800000, v7
                                        ; implicit-def: $vgpr7
	s_delay_alu instid0(VALU_DEP_1) | instskip(NEXT) | instid1(SALU_CYCLE_1)
	s_and_saveexec_b32 s9, s0
	s_xor_b32 s0, exec_lo, s9
; %bb.788:                              ;   in Loop: Header=BB452_415 Depth=1
	v_bfe_u32 v7, v9, 16, 1
	s_delay_alu instid0(VALU_DEP_1)
	v_add3_u32 v7, v9, v7, 0x7fff
                                        ; implicit-def: $vgpr9
; %bb.789:                              ;   in Loop: Header=BB452_415 Depth=1
	s_and_not1_saveexec_b32 s9, s0
; %bb.790:                              ;   in Loop: Header=BB452_415 Depth=1
	v_and_b32_e32 v7, 0xffff, v9
	v_or_b32_e32 v100, 0x10000, v9
	s_delay_alu instid0(VALU_DEP_2) | instskip(NEXT) | instid1(VALU_DEP_1)
	v_cmp_eq_u32_e64 s0, 0, v7
	v_cndmask_b32_e64 v7, v100, v9, s0
; %bb.791:                              ;   in Loop: Header=BB452_415 Depth=1
	s_or_b32 exec_lo, exec_lo, s9
	v_mov_b32_e32 v9, 0
	s_mov_b32 s9, exec_lo
	v_cmpx_lt_u64_e64 s[2:3], v[2:3]
	s_cbranch_execz .LBB452_799
; %bb.792:                              ;   in Loop: Header=BB452_415 Depth=1
	v_lshrrev_b32_e32 v2, 24, v3
	v_bfrev_b32_e32 v9, 1
	s_mov_b32 s12, exec_lo
	s_delay_alu instid0(VALU_DEP_2)
	v_cmpx_ne_u32_e32 0x80, v2
	s_cbranch_execz .LBB452_798
; %bb.793:                              ;   in Loop: Header=BB452_415 Depth=1
	v_bfe_u32 v100, v3, 24, 7
	v_mov_b32_e32 v9, 0x7f800001
	s_mov_b32 s13, exec_lo
	s_delay_alu instid0(VALU_DEP_2)
	v_cmpx_ne_u32_e32 0x7f, v100
	s_cbranch_execz .LBB452_797
; %bb.794:                              ;   in Loop: Header=BB452_415 Depth=1
	v_and_b32_e32 v9, 7, v2
	v_lshrrev_b32_e32 v3, 3, v100
	s_mov_b32 s15, exec_lo
	v_cmpx_gt_u32_e32 8, v100
; %bb.795:                              ;   in Loop: Header=BB452_415 Depth=1
	s_delay_alu instid0(VALU_DEP_3) | instskip(NEXT) | instid1(VALU_DEP_1)
	v_clz_i32_u32_e32 v3, v9
	v_min_u32_e32 v3, 32, v3
	s_delay_alu instid0(VALU_DEP_1) | instskip(SKIP_1) | instid1(VALU_DEP_2)
	v_subrev_nc_u32_e32 v100, 28, v3
	v_sub_nc_u32_e32 v3, 29, v3
	v_lshlrev_b64 v[100:101], v100, v[9:10]
	s_delay_alu instid0(VALU_DEP_1)
	v_and_b32_e32 v9, 7, v100
; %bb.796:                              ;   in Loop: Header=BB452_415 Depth=1
	s_or_b32 exec_lo, exec_lo, s15
	v_lshlrev_b32_e32 v2, 24, v2
	s_delay_alu instid0(VALU_DEP_2) | instskip(SKIP_1) | instid1(VALU_DEP_3)
	v_lshlrev_b32_e32 v9, 20, v9
	v_lshl_add_u32 v3, v3, 23, 0x3c000000
	v_and_b32_e32 v2, 0x80000000, v2
	s_delay_alu instid0(VALU_DEP_1)
	v_or3_b32 v9, v9, v2, v3
.LBB452_797:                            ;   in Loop: Header=BB452_415 Depth=1
	s_or_b32 exec_lo, exec_lo, s13
.LBB452_798:                            ;   in Loop: Header=BB452_415 Depth=1
	s_delay_alu instid0(SALU_CYCLE_1)
	s_or_b32 exec_lo, exec_lo, s12
.LBB452_799:                            ;   in Loop: Header=BB452_415 Depth=1
	s_delay_alu instid0(SALU_CYCLE_1) | instskip(NEXT) | instid1(VALU_DEP_1)
	s_or_b32 exec_lo, exec_lo, s9
	v_mul_f32_e32 v3, v26, v9
	s_delay_alu instid0(VALU_DEP_1) | instskip(NEXT) | instid1(VALU_DEP_1)
	v_and_b32_e32 v2, 0x7f800000, v3
	v_cmp_ne_u32_e64 s0, 0x7f800000, v2
                                        ; implicit-def: $vgpr2
	s_delay_alu instid0(VALU_DEP_1) | instskip(NEXT) | instid1(SALU_CYCLE_1)
	s_and_saveexec_b32 s9, s0
	s_xor_b32 s0, exec_lo, s9
; %bb.800:                              ;   in Loop: Header=BB452_415 Depth=1
	v_bfe_u32 v2, v3, 16, 1
	s_delay_alu instid0(VALU_DEP_1)
	v_add3_u32 v2, v3, v2, 0x7fff
                                        ; implicit-def: $vgpr3
; %bb.801:                              ;   in Loop: Header=BB452_415 Depth=1
	s_and_not1_saveexec_b32 s9, s0
; %bb.802:                              ;   in Loop: Header=BB452_415 Depth=1
	v_and_b32_e32 v2, 0xffff, v3
	v_or_b32_e32 v9, 0x10000, v3
	s_delay_alu instid0(VALU_DEP_2) | instskip(NEXT) | instid1(VALU_DEP_1)
	v_cmp_eq_u32_e64 s0, 0, v2
	v_cndmask_b32_e64 v2, v9, v3, s0
; %bb.803:                              ;   in Loop: Header=BB452_415 Depth=1
	s_or_b32 exec_lo, exec_lo, s9
	v_lshrrev_b32_e32 v9, 16, v6
	v_lshrrev_b32_e32 v99, 16, v99
	;; [unrolled: 1-line block ×8, first 2 shown]
	s_and_saveexec_b32 s9, vcc_lo
	s_cbranch_execz .LBB452_805
; %bb.804:                              ;   in Loop: Header=BB452_415 Depth=1
	v_cmp_lt_i32_e64 s0, v48, v35
	s_delay_alu instid0(VALU_DEP_1) | instskip(SKIP_1) | instid1(VALU_DEP_1)
	v_cndmask_b32_e64 v6, 0, v6, s0
	v_cmp_lt_i32_e64 s0, v54, v35
	v_cndmask_b32_e64 v96, 0, v96, s0
	v_cmp_lt_i32_e64 s0, v53, v35
	s_delay_alu instid0(VALU_DEP_1) | instskip(SKIP_1) | instid1(VALU_DEP_1)
	v_cndmask_b32_e64 v97, 0, v97, s0
	v_cmp_lt_i32_e64 s0, v52, v35
	v_cndmask_b32_e64 v98, 0, v98, s0
	;; [unrolled: 5-line block ×4, first 2 shown]
.LBB452_805:                            ;   in Loop: Header=BB452_415 Depth=1
	s_or_b32 exec_lo, exec_lo, s9
	v_lshlrev_b32_e32 v6, 16, v6
	s_delay_alu instid0(VALU_DEP_1) | instskip(NEXT) | instid1(VALU_DEP_1)
	v_mul_f32_e32 v7, v55, v6
	v_and_b32_e32 v6, 0x7f800000, v7
	s_delay_alu instid0(VALU_DEP_1) | instskip(NEXT) | instid1(VALU_DEP_1)
	v_cmp_ne_u32_e64 s0, 0x7f800000, v6
                                        ; implicit-def: $vgpr6
	s_and_saveexec_b32 s9, s0
	s_delay_alu instid0(SALU_CYCLE_1)
	s_xor_b32 s0, exec_lo, s9
; %bb.806:                              ;   in Loop: Header=BB452_415 Depth=1
	v_bfe_u32 v6, v7, 16, 1
	s_delay_alu instid0(VALU_DEP_1)
	v_add3_u32 v6, v7, v6, 0x7fff
                                        ; implicit-def: $vgpr7
; %bb.807:                              ;   in Loop: Header=BB452_415 Depth=1
	s_and_not1_saveexec_b32 s9, s0
; %bb.808:                              ;   in Loop: Header=BB452_415 Depth=1
	v_and_b32_e32 v6, 0xffff, v7
	v_or_b32_e32 v87, 0x10000, v7
	s_delay_alu instid0(VALU_DEP_2) | instskip(NEXT) | instid1(VALU_DEP_1)
	v_cmp_eq_u32_e64 s0, 0, v6
	v_cndmask_b32_e64 v6, v87, v7, s0
; %bb.809:                              ;   in Loop: Header=BB452_415 Depth=1
	s_or_b32 exec_lo, exec_lo, s9
	v_lshlrev_b32_e32 v7, 16, v96
	s_delay_alu instid0(VALU_DEP_1) | instskip(NEXT) | instid1(VALU_DEP_1)
	v_mul_f32_e32 v87, v64, v7
	v_and_b32_e32 v7, 0x7f800000, v87
	s_delay_alu instid0(VALU_DEP_1) | instskip(NEXT) | instid1(VALU_DEP_1)
	v_cmp_ne_u32_e64 s0, 0x7f800000, v7
                                        ; implicit-def: $vgpr7
	s_and_saveexec_b32 s9, s0
	s_delay_alu instid0(SALU_CYCLE_1)
	s_xor_b32 s0, exec_lo, s9
; %bb.810:                              ;   in Loop: Header=BB452_415 Depth=1
	v_bfe_u32 v7, v87, 16, 1
	s_delay_alu instid0(VALU_DEP_1)
	v_add3_u32 v7, v87, v7, 0x7fff
                                        ; implicit-def: $vgpr87
; %bb.811:                              ;   in Loop: Header=BB452_415 Depth=1
	s_and_not1_saveexec_b32 s9, s0
; %bb.812:                              ;   in Loop: Header=BB452_415 Depth=1
	v_and_b32_e32 v7, 0xffff, v87
	v_or_b32_e32 v96, 0x10000, v87
	s_delay_alu instid0(VALU_DEP_2) | instskip(NEXT) | instid1(VALU_DEP_1)
	v_cmp_eq_u32_e64 s0, 0, v7
	v_cndmask_b32_e64 v7, v96, v87, s0
; %bb.813:                              ;   in Loop: Header=BB452_415 Depth=1
	s_or_b32 exec_lo, exec_lo, s9
	v_lshlrev_b32_e32 v87, 16, v97
	s_delay_alu instid0(VALU_DEP_1) | instskip(NEXT) | instid1(VALU_DEP_1)
	v_mul_f32_e32 v96, v65, v87
	v_and_b32_e32 v87, 0x7f800000, v96
	s_delay_alu instid0(VALU_DEP_1) | instskip(NEXT) | instid1(VALU_DEP_1)
	v_cmp_ne_u32_e64 s0, 0x7f800000, v87
                                        ; implicit-def: $vgpr87
	s_and_saveexec_b32 s9, s0
	s_delay_alu instid0(SALU_CYCLE_1)
	s_xor_b32 s0, exec_lo, s9
; %bb.814:                              ;   in Loop: Header=BB452_415 Depth=1
	v_bfe_u32 v87, v96, 16, 1
	s_delay_alu instid0(VALU_DEP_1)
	v_add3_u32 v87, v96, v87, 0x7fff
                                        ; implicit-def: $vgpr96
; %bb.815:                              ;   in Loop: Header=BB452_415 Depth=1
	s_and_not1_saveexec_b32 s9, s0
; %bb.816:                              ;   in Loop: Header=BB452_415 Depth=1
	v_and_b32_e32 v87, 0xffff, v96
	v_or_b32_e32 v97, 0x10000, v96
	s_delay_alu instid0(VALU_DEP_2) | instskip(NEXT) | instid1(VALU_DEP_1)
	v_cmp_eq_u32_e64 s0, 0, v87
	v_cndmask_b32_e64 v87, v97, v96, s0
; %bb.817:                              ;   in Loop: Header=BB452_415 Depth=1
	s_or_b32 exec_lo, exec_lo, s9
	v_lshlrev_b32_e32 v96, 16, v98
	s_delay_alu instid0(VALU_DEP_1) | instskip(NEXT) | instid1(VALU_DEP_1)
	v_mul_f32_e32 v97, v66, v96
	v_and_b32_e32 v96, 0x7f800000, v97
	s_delay_alu instid0(VALU_DEP_1) | instskip(NEXT) | instid1(VALU_DEP_1)
	v_cmp_ne_u32_e64 s0, 0x7f800000, v96
                                        ; implicit-def: $vgpr96
	s_and_saveexec_b32 s9, s0
	s_delay_alu instid0(SALU_CYCLE_1)
	s_xor_b32 s0, exec_lo, s9
; %bb.818:                              ;   in Loop: Header=BB452_415 Depth=1
	v_bfe_u32 v96, v97, 16, 1
	s_delay_alu instid0(VALU_DEP_1)
	v_add3_u32 v96, v97, v96, 0x7fff
                                        ; implicit-def: $vgpr97
; %bb.819:                              ;   in Loop: Header=BB452_415 Depth=1
	s_and_not1_saveexec_b32 s9, s0
; %bb.820:                              ;   in Loop: Header=BB452_415 Depth=1
	v_and_b32_e32 v96, 0xffff, v97
	v_or_b32_e32 v98, 0x10000, v97
	s_delay_alu instid0(VALU_DEP_2) | instskip(NEXT) | instid1(VALU_DEP_1)
	v_cmp_eq_u32_e64 s0, 0, v96
	v_cndmask_b32_e64 v96, v98, v97, s0
; %bb.821:                              ;   in Loop: Header=BB452_415 Depth=1
	s_or_b32 exec_lo, exec_lo, s9
	v_lshlrev_b32_e32 v97, 16, v99
	s_delay_alu instid0(VALU_DEP_1) | instskip(NEXT) | instid1(VALU_DEP_1)
	v_mul_f32_e32 v98, v67, v97
	v_and_b32_e32 v97, 0x7f800000, v98
	s_delay_alu instid0(VALU_DEP_1) | instskip(NEXT) | instid1(VALU_DEP_1)
	v_cmp_ne_u32_e64 s0, 0x7f800000, v97
                                        ; implicit-def: $vgpr97
	s_and_saveexec_b32 s9, s0
	s_delay_alu instid0(SALU_CYCLE_1)
	s_xor_b32 s0, exec_lo, s9
; %bb.822:                              ;   in Loop: Header=BB452_415 Depth=1
	v_bfe_u32 v97, v98, 16, 1
	s_delay_alu instid0(VALU_DEP_1)
	v_add3_u32 v97, v98, v97, 0x7fff
                                        ; implicit-def: $vgpr98
; %bb.823:                              ;   in Loop: Header=BB452_415 Depth=1
	s_and_not1_saveexec_b32 s9, s0
; %bb.824:                              ;   in Loop: Header=BB452_415 Depth=1
	v_and_b32_e32 v97, 0xffff, v98
	v_or_b32_e32 v99, 0x10000, v98
	s_delay_alu instid0(VALU_DEP_2) | instskip(NEXT) | instid1(VALU_DEP_1)
	v_cmp_eq_u32_e64 s0, 0, v97
	v_cndmask_b32_e64 v97, v99, v98, s0
; %bb.825:                              ;   in Loop: Header=BB452_415 Depth=1
	s_or_b32 exec_lo, exec_lo, s9
	v_lshlrev_b32_e32 v9, 16, v9
	s_delay_alu instid0(VALU_DEP_1) | instskip(NEXT) | instid1(VALU_DEP_1)
	v_mul_f32_e32 v9, v68, v9
	v_and_b32_e32 v98, 0x7f800000, v9
	s_delay_alu instid0(VALU_DEP_1) | instskip(NEXT) | instid1(VALU_DEP_1)
	v_cmp_ne_u32_e64 s0, 0x7f800000, v98
                                        ; implicit-def: $vgpr98
	s_and_saveexec_b32 s9, s0
	s_delay_alu instid0(SALU_CYCLE_1)
	s_xor_b32 s0, exec_lo, s9
; %bb.826:                              ;   in Loop: Header=BB452_415 Depth=1
	v_bfe_u32 v98, v9, 16, 1
	s_delay_alu instid0(VALU_DEP_1)
	v_add3_u32 v98, v9, v98, 0x7fff
                                        ; implicit-def: $vgpr9
; %bb.827:                              ;   in Loop: Header=BB452_415 Depth=1
	s_and_not1_saveexec_b32 s9, s0
; %bb.828:                              ;   in Loop: Header=BB452_415 Depth=1
	v_and_b32_e32 v98, 0xffff, v9
	v_or_b32_e32 v99, 0x10000, v9
	s_delay_alu instid0(VALU_DEP_2) | instskip(NEXT) | instid1(VALU_DEP_1)
	v_cmp_eq_u32_e64 s0, 0, v98
	v_cndmask_b32_e64 v98, v99, v9, s0
; %bb.829:                              ;   in Loop: Header=BB452_415 Depth=1
	s_or_b32 exec_lo, exec_lo, s9
	v_lshlrev_b32_e32 v3, 16, v3
                                        ; implicit-def: $vgpr99
	s_delay_alu instid0(VALU_DEP_1) | instskip(NEXT) | instid1(VALU_DEP_1)
	v_mul_f32_e32 v3, v69, v3
	v_and_b32_e32 v9, 0x7f800000, v3
	s_delay_alu instid0(VALU_DEP_1) | instskip(NEXT) | instid1(VALU_DEP_1)
	v_cmp_ne_u32_e64 s0, 0x7f800000, v9
	s_and_saveexec_b32 s9, s0
	s_delay_alu instid0(SALU_CYCLE_1)
	s_xor_b32 s0, exec_lo, s9
; %bb.830:                              ;   in Loop: Header=BB452_415 Depth=1
	v_bfe_u32 v9, v3, 16, 1
	s_delay_alu instid0(VALU_DEP_1)
	v_add3_u32 v99, v3, v9, 0x7fff
                                        ; implicit-def: $vgpr3
; %bb.831:                              ;   in Loop: Header=BB452_415 Depth=1
	s_and_not1_saveexec_b32 s9, s0
; %bb.832:                              ;   in Loop: Header=BB452_415 Depth=1
	v_and_b32_e32 v9, 0xffff, v3
	v_or_b32_e32 v99, 0x10000, v3
	s_delay_alu instid0(VALU_DEP_2) | instskip(NEXT) | instid1(VALU_DEP_1)
	v_cmp_eq_u32_e64 s0, 0, v9
	v_cndmask_b32_e64 v99, v99, v3, s0
; %bb.833:                              ;   in Loop: Header=BB452_415 Depth=1
	s_or_b32 exec_lo, exec_lo, s9
	v_lshlrev_b32_e32 v2, 16, v2
                                        ; implicit-def: $vgpr100
	s_delay_alu instid0(VALU_DEP_1) | instskip(NEXT) | instid1(VALU_DEP_1)
	v_mul_f32_e32 v2, v70, v2
	v_and_b32_e32 v3, 0x7f800000, v2
	s_delay_alu instid0(VALU_DEP_1) | instskip(NEXT) | instid1(VALU_DEP_1)
	v_cmp_ne_u32_e64 s0, 0x7f800000, v3
	s_and_saveexec_b32 s9, s0
	s_delay_alu instid0(SALU_CYCLE_1)
	s_xor_b32 s0, exec_lo, s9
; %bb.834:                              ;   in Loop: Header=BB452_415 Depth=1
	v_bfe_u32 v3, v2, 16, 1
	s_delay_alu instid0(VALU_DEP_1)
	v_add3_u32 v100, v2, v3, 0x7fff
                                        ; implicit-def: $vgpr2
; %bb.835:                              ;   in Loop: Header=BB452_415 Depth=1
	s_and_not1_saveexec_b32 s9, s0
; %bb.836:                              ;   in Loop: Header=BB452_415 Depth=1
	v_and_b32_e32 v3, 0xffff, v2
	v_or_b32_e32 v9, 0x10000, v2
	s_delay_alu instid0(VALU_DEP_2) | instskip(NEXT) | instid1(VALU_DEP_1)
	v_cmp_eq_u32_e64 s0, 0, v3
	v_cndmask_b32_e64 v100, v9, v2, s0
; %bb.837:                              ;   in Loop: Header=BB452_415 Depth=1
	s_or_b32 exec_lo, exec_lo, s9
	flat_load_b64 v[0:1], v[0:1] offset:768
	s_mov_b32 s9, exec_lo
	s_waitcnt vmcnt(0) lgkmcnt(0)
	v_dual_mov_b32 v2, 0 :: v_dual_and_b32 v3, 0xff, v0
	s_delay_alu instid0(VALU_DEP_1)
	v_cmpx_ne_u16_e32 0, v3
	s_cbranch_execz .LBB452_845
; %bb.838:                              ;   in Loop: Header=BB452_415 Depth=1
	v_bfrev_b32_e32 v2, 1
	s_mov_b32 s12, exec_lo
	v_cmpx_ne_u16_e32 0x80, v3
	s_cbranch_execz .LBB452_844
; %bb.839:                              ;   in Loop: Header=BB452_415 Depth=1
	v_and_b32_e32 v3, 0x7f, v0
	v_mov_b32_e32 v2, 0x7f800001
	s_mov_b32 s13, exec_lo
	s_delay_alu instid0(VALU_DEP_2)
	v_cmpx_ne_u32_e32 0x7f, v3
	s_cbranch_execz .LBB452_843
; %bb.840:                              ;   in Loop: Header=BB452_415 Depth=1
	v_lshrrev_b32_e32 v9, 3, v3
	v_cmp_gt_u32_e64 s0, 8, v3
	v_dual_mov_b32 v3, v1 :: v_dual_mov_b32 v2, v0
	s_delay_alu instid0(VALU_DEP_2)
	s_and_saveexec_b32 s15, s0
; %bb.841:                              ;   in Loop: Header=BB452_415 Depth=1
	v_and_b32_e32 v2, 7, v0
	s_delay_alu instid0(VALU_DEP_1) | instskip(NEXT) | instid1(VALU_DEP_1)
	v_clz_i32_u32_e32 v2, v2
	v_min_u32_e32 v9, 32, v2
	s_delay_alu instid0(VALU_DEP_1) | instskip(SKIP_1) | instid1(VALU_DEP_2)
	v_subrev_nc_u32_e32 v2, 28, v9
	v_sub_nc_u32_e32 v9, 29, v9
	v_lshlrev_b64 v[2:3], v2, v[0:1]
; %bb.842:                              ;   in Loop: Header=BB452_415 Depth=1
	s_or_b32 exec_lo, exec_lo, s15
	s_delay_alu instid0(VALU_DEP_1) | instskip(SKIP_2) | instid1(VALU_DEP_3)
	v_lshlrev_b32_e32 v2, 20, v2
	v_lshlrev_b32_e32 v3, 24, v0
	v_lshl_add_u32 v9, v9, 23, 0x3c000000
	v_and_b32_e32 v2, 0x700000, v2
	s_delay_alu instid0(VALU_DEP_3) | instskip(NEXT) | instid1(VALU_DEP_1)
	v_and_b32_e32 v3, 0x80000000, v3
	v_or3_b32 v2, v2, v3, v9
.LBB452_843:                            ;   in Loop: Header=BB452_415 Depth=1
	s_or_b32 exec_lo, exec_lo, s13
.LBB452_844:                            ;   in Loop: Header=BB452_415 Depth=1
	s_delay_alu instid0(SALU_CYCLE_1)
	s_or_b32 exec_lo, exec_lo, s12
.LBB452_845:                            ;   in Loop: Header=BB452_415 Depth=1
	s_delay_alu instid0(SALU_CYCLE_1) | instskip(NEXT) | instid1(VALU_DEP_1)
	s_or_b32 exec_lo, exec_lo, s9
	v_mul_f32_e32 v2, v26, v2
                                        ; implicit-def: $vgpr101
	s_delay_alu instid0(VALU_DEP_1) | instskip(NEXT) | instid1(VALU_DEP_1)
	v_and_b32_e32 v3, 0x7f800000, v2
	v_cmp_ne_u32_e64 s0, 0x7f800000, v3
	s_delay_alu instid0(VALU_DEP_1) | instskip(NEXT) | instid1(SALU_CYCLE_1)
	s_and_saveexec_b32 s9, s0
	s_xor_b32 s0, exec_lo, s9
; %bb.846:                              ;   in Loop: Header=BB452_415 Depth=1
	v_bfe_u32 v3, v2, 16, 1
	s_delay_alu instid0(VALU_DEP_1)
	v_add3_u32 v101, v2, v3, 0x7fff
                                        ; implicit-def: $vgpr2
; %bb.847:                              ;   in Loop: Header=BB452_415 Depth=1
	s_and_not1_saveexec_b32 s9, s0
; %bb.848:                              ;   in Loop: Header=BB452_415 Depth=1
	v_and_b32_e32 v3, 0xffff, v2
	v_or_b32_e32 v9, 0x10000, v2
	s_delay_alu instid0(VALU_DEP_2) | instskip(NEXT) | instid1(VALU_DEP_1)
	v_cmp_eq_u32_e64 s0, 0, v3
	v_cndmask_b32_e64 v101, v9, v2, s0
; %bb.849:                              ;   in Loop: Header=BB452_415 Depth=1
	s_or_b32 exec_lo, exec_lo, s9
	v_lshrrev_b16 v3, 8, v0
	v_mov_b32_e32 v2, 0
	s_mov_b32 s9, exec_lo
	s_delay_alu instid0(VALU_DEP_2)
	v_cmpx_ne_u16_e32 0, v3
	s_cbranch_execz .LBB452_857
; %bb.850:                              ;   in Loop: Header=BB452_415 Depth=1
	v_bfrev_b32_e32 v2, 1
	s_mov_b32 s12, exec_lo
	v_cmpx_ne_u16_e32 0x80, v3
	s_cbranch_execz .LBB452_856
; %bb.851:                              ;   in Loop: Header=BB452_415 Depth=1
	v_and_b32_e32 v9, 0xffff, v3
	v_mov_b32_e32 v2, 0x7f800001
	s_mov_b32 s13, exec_lo
	s_delay_alu instid0(VALU_DEP_2) | instskip(NEXT) | instid1(VALU_DEP_1)
	v_and_b32_e32 v3, 0x7f, v9
	v_cmpx_ne_u32_e32 0x7f, v3
	s_cbranch_execz .LBB452_855
; %bb.852:                              ;   in Loop: Header=BB452_415 Depth=1
	v_and_b32_e32 v9, 7, v9
	v_lshrrev_b32_e32 v2, 3, v3
	s_mov_b32 s15, exec_lo
	v_cmpx_gt_u32_e32 8, v3
; %bb.853:                              ;   in Loop: Header=BB452_415 Depth=1
	s_delay_alu instid0(VALU_DEP_3) | instskip(NEXT) | instid1(VALU_DEP_1)
	v_clz_i32_u32_e32 v2, v9
	v_min_u32_e32 v2, 32, v2
	s_delay_alu instid0(VALU_DEP_1) | instskip(SKIP_1) | instid1(VALU_DEP_2)
	v_subrev_nc_u32_e32 v3, 28, v2
	v_sub_nc_u32_e32 v2, 29, v2
	v_lshlrev_b64 v[102:103], v3, v[9:10]
	s_delay_alu instid0(VALU_DEP_1)
	v_and_b32_e32 v9, 7, v102
; %bb.854:                              ;   in Loop: Header=BB452_415 Depth=1
	s_or_b32 exec_lo, exec_lo, s15
	v_lshlrev_b32_e32 v3, 16, v0
	s_delay_alu instid0(VALU_DEP_2) | instskip(SKIP_1) | instid1(VALU_DEP_3)
	v_lshlrev_b32_e32 v9, 20, v9
	v_lshl_add_u32 v2, v2, 23, 0x3c000000
	v_and_b32_e32 v3, 0x80000000, v3
	s_delay_alu instid0(VALU_DEP_1)
	v_or3_b32 v2, v9, v3, v2
.LBB452_855:                            ;   in Loop: Header=BB452_415 Depth=1
	s_or_b32 exec_lo, exec_lo, s13
.LBB452_856:                            ;   in Loop: Header=BB452_415 Depth=1
	s_delay_alu instid0(SALU_CYCLE_1)
	s_or_b32 exec_lo, exec_lo, s12
.LBB452_857:                            ;   in Loop: Header=BB452_415 Depth=1
	s_delay_alu instid0(SALU_CYCLE_1) | instskip(NEXT) | instid1(VALU_DEP_1)
	s_or_b32 exec_lo, exec_lo, s9
	v_mul_f32_e32 v2, v26, v2
                                        ; implicit-def: $vgpr102
	s_delay_alu instid0(VALU_DEP_1) | instskip(NEXT) | instid1(VALU_DEP_1)
	v_and_b32_e32 v3, 0x7f800000, v2
	v_cmp_ne_u32_e64 s0, 0x7f800000, v3
	s_delay_alu instid0(VALU_DEP_1) | instskip(NEXT) | instid1(SALU_CYCLE_1)
	s_and_saveexec_b32 s9, s0
	s_xor_b32 s0, exec_lo, s9
; %bb.858:                              ;   in Loop: Header=BB452_415 Depth=1
	v_bfe_u32 v3, v2, 16, 1
	s_delay_alu instid0(VALU_DEP_1)
	v_add3_u32 v102, v2, v3, 0x7fff
                                        ; implicit-def: $vgpr2
; %bb.859:                              ;   in Loop: Header=BB452_415 Depth=1
	s_and_not1_saveexec_b32 s9, s0
; %bb.860:                              ;   in Loop: Header=BB452_415 Depth=1
	v_and_b32_e32 v3, 0xffff, v2
	v_or_b32_e32 v9, 0x10000, v2
	s_delay_alu instid0(VALU_DEP_2) | instskip(NEXT) | instid1(VALU_DEP_1)
	v_cmp_eq_u32_e64 s0, 0, v3
	v_cndmask_b32_e64 v102, v9, v2, s0
; %bb.861:                              ;   in Loop: Header=BB452_415 Depth=1
	s_or_b32 exec_lo, exec_lo, s9
	v_lshrrev_b32_e32 v2, 16, v0
	v_mov_b32_e32 v3, 0
	s_mov_b32 s9, exec_lo
	s_delay_alu instid0(VALU_DEP_2) | instskip(NEXT) | instid1(VALU_DEP_1)
	v_and_b32_e32 v9, 0xff, v2
	v_cmpx_ne_u16_e32 0, v9
	s_cbranch_execz .LBB452_869
; %bb.862:                              ;   in Loop: Header=BB452_415 Depth=1
	v_bfrev_b32_e32 v3, 1
	s_mov_b32 s12, exec_lo
	v_cmpx_ne_u16_e32 0x80, v9
	s_cbranch_execz .LBB452_868
; %bb.863:                              ;   in Loop: Header=BB452_415 Depth=1
	v_bfe_u32 v103, v0, 16, 7
	v_mov_b32_e32 v3, 0x7f800001
	s_mov_b32 s13, exec_lo
	s_delay_alu instid0(VALU_DEP_2)
	v_cmpx_ne_u32_e32 0x7f, v103
	s_cbranch_execz .LBB452_867
; %bb.864:                              ;   in Loop: Header=BB452_415 Depth=1
	v_and_b32_e32 v9, 7, v2
	v_lshrrev_b32_e32 v3, 3, v103
	s_mov_b32 s15, exec_lo
	v_cmpx_gt_u32_e32 8, v103
; %bb.865:                              ;   in Loop: Header=BB452_415 Depth=1
	s_delay_alu instid0(VALU_DEP_3) | instskip(NEXT) | instid1(VALU_DEP_1)
	v_clz_i32_u32_e32 v3, v9
	v_min_u32_e32 v3, 32, v3
	s_delay_alu instid0(VALU_DEP_1) | instskip(SKIP_1) | instid1(VALU_DEP_2)
	v_subrev_nc_u32_e32 v103, 28, v3
	v_sub_nc_u32_e32 v3, 29, v3
	v_lshlrev_b64 v[112:113], v103, v[9:10]
	s_delay_alu instid0(VALU_DEP_1)
	v_and_b32_e32 v9, 7, v112
; %bb.866:                              ;   in Loop: Header=BB452_415 Depth=1
	s_or_b32 exec_lo, exec_lo, s15
	v_lshlrev_b32_e32 v2, 24, v2
	s_delay_alu instid0(VALU_DEP_2) | instskip(SKIP_1) | instid1(VALU_DEP_3)
	v_lshlrev_b32_e32 v9, 20, v9
	v_lshl_add_u32 v3, v3, 23, 0x3c000000
	v_and_b32_e32 v2, 0x80000000, v2
	s_delay_alu instid0(VALU_DEP_1)
	v_or3_b32 v3, v9, v2, v3
.LBB452_867:                            ;   in Loop: Header=BB452_415 Depth=1
	s_or_b32 exec_lo, exec_lo, s13
.LBB452_868:                            ;   in Loop: Header=BB452_415 Depth=1
	s_delay_alu instid0(SALU_CYCLE_1)
	s_or_b32 exec_lo, exec_lo, s12
.LBB452_869:                            ;   in Loop: Header=BB452_415 Depth=1
	s_delay_alu instid0(SALU_CYCLE_1) | instskip(NEXT) | instid1(VALU_DEP_1)
	s_or_b32 exec_lo, exec_lo, s9
	v_mul_f32_e32 v2, v26, v3
                                        ; implicit-def: $vgpr103
	s_delay_alu instid0(VALU_DEP_1) | instskip(NEXT) | instid1(VALU_DEP_1)
	v_and_b32_e32 v3, 0x7f800000, v2
	v_cmp_ne_u32_e64 s0, 0x7f800000, v3
	s_delay_alu instid0(VALU_DEP_1) | instskip(NEXT) | instid1(SALU_CYCLE_1)
	s_and_saveexec_b32 s9, s0
	s_xor_b32 s0, exec_lo, s9
; %bb.870:                              ;   in Loop: Header=BB452_415 Depth=1
	v_bfe_u32 v3, v2, 16, 1
	s_delay_alu instid0(VALU_DEP_1)
	v_add3_u32 v103, v2, v3, 0x7fff
                                        ; implicit-def: $vgpr2
; %bb.871:                              ;   in Loop: Header=BB452_415 Depth=1
	s_and_not1_saveexec_b32 s9, s0
; %bb.872:                              ;   in Loop: Header=BB452_415 Depth=1
	v_and_b32_e32 v3, 0xffff, v2
	v_or_b32_e32 v9, 0x10000, v2
	s_delay_alu instid0(VALU_DEP_2) | instskip(NEXT) | instid1(VALU_DEP_1)
	v_cmp_eq_u32_e64 s0, 0, v3
	v_cndmask_b32_e64 v103, v9, v2, s0
; %bb.873:                              ;   in Loop: Header=BB452_415 Depth=1
	s_or_b32 exec_lo, exec_lo, s9
	v_mov_b32_e32 v3, 0
	s_mov_b32 s9, exec_lo
	v_cmpx_lt_u32_e32 0xffffff, v0
	s_cbranch_execz .LBB452_881
; %bb.874:                              ;   in Loop: Header=BB452_415 Depth=1
	v_lshrrev_b32_e32 v2, 24, v0
	v_bfrev_b32_e32 v3, 1
	s_mov_b32 s12, exec_lo
	s_delay_alu instid0(VALU_DEP_2)
	v_cmpx_ne_u32_e32 0x80, v2
	s_cbranch_execz .LBB452_880
; %bb.875:                              ;   in Loop: Header=BB452_415 Depth=1
	v_bfe_u32 v112, v0, 24, 7
	v_mov_b32_e32 v3, 0x7f800001
	s_mov_b32 s13, exec_lo
	s_delay_alu instid0(VALU_DEP_2)
	v_cmpx_ne_u32_e32 0x7f, v112
	s_cbranch_execz .LBB452_879
; %bb.876:                              ;   in Loop: Header=BB452_415 Depth=1
	v_and_b32_e32 v9, 7, v2
	v_lshrrev_b32_e32 v3, 3, v112
	s_mov_b32 s15, exec_lo
	v_cmpx_gt_u32_e32 8, v112
; %bb.877:                              ;   in Loop: Header=BB452_415 Depth=1
	s_delay_alu instid0(VALU_DEP_3) | instskip(NEXT) | instid1(VALU_DEP_1)
	v_clz_i32_u32_e32 v3, v9
	v_min_u32_e32 v3, 32, v3
	s_delay_alu instid0(VALU_DEP_1) | instskip(SKIP_1) | instid1(VALU_DEP_2)
	v_subrev_nc_u32_e32 v112, 28, v3
	v_sub_nc_u32_e32 v3, 29, v3
	v_lshlrev_b64 v[112:113], v112, v[9:10]
	s_delay_alu instid0(VALU_DEP_1)
	v_and_b32_e32 v9, 7, v112
; %bb.878:                              ;   in Loop: Header=BB452_415 Depth=1
	s_or_b32 exec_lo, exec_lo, s15
	v_lshlrev_b32_e32 v2, 24, v2
	s_delay_alu instid0(VALU_DEP_2) | instskip(SKIP_1) | instid1(VALU_DEP_3)
	v_lshlrev_b32_e32 v9, 20, v9
	v_lshl_add_u32 v3, v3, 23, 0x3c000000
	v_and_b32_e32 v2, 0x80000000, v2
	s_delay_alu instid0(VALU_DEP_1)
	v_or3_b32 v3, v9, v2, v3
.LBB452_879:                            ;   in Loop: Header=BB452_415 Depth=1
	s_or_b32 exec_lo, exec_lo, s13
.LBB452_880:                            ;   in Loop: Header=BB452_415 Depth=1
	s_delay_alu instid0(SALU_CYCLE_1)
	s_or_b32 exec_lo, exec_lo, s12
.LBB452_881:                            ;   in Loop: Header=BB452_415 Depth=1
	s_delay_alu instid0(SALU_CYCLE_1) | instskip(NEXT) | instid1(VALU_DEP_1)
	s_or_b32 exec_lo, exec_lo, s9
	v_mul_f32_e32 v2, v26, v3
                                        ; implicit-def: $vgpr112
	s_delay_alu instid0(VALU_DEP_1) | instskip(NEXT) | instid1(VALU_DEP_1)
	v_and_b32_e32 v3, 0x7f800000, v2
	v_cmp_ne_u32_e64 s0, 0x7f800000, v3
	s_delay_alu instid0(VALU_DEP_1) | instskip(NEXT) | instid1(SALU_CYCLE_1)
	s_and_saveexec_b32 s9, s0
	s_xor_b32 s0, exec_lo, s9
; %bb.882:                              ;   in Loop: Header=BB452_415 Depth=1
	v_bfe_u32 v3, v2, 16, 1
	s_delay_alu instid0(VALU_DEP_1)
	v_add3_u32 v112, v2, v3, 0x7fff
                                        ; implicit-def: $vgpr2
; %bb.883:                              ;   in Loop: Header=BB452_415 Depth=1
	s_and_not1_saveexec_b32 s9, s0
; %bb.884:                              ;   in Loop: Header=BB452_415 Depth=1
	v_and_b32_e32 v3, 0xffff, v2
	v_or_b32_e32 v9, 0x10000, v2
	s_delay_alu instid0(VALU_DEP_2) | instskip(NEXT) | instid1(VALU_DEP_1)
	v_cmp_eq_u32_e64 s0, 0, v3
	v_cndmask_b32_e64 v112, v9, v2, s0
; %bb.885:                              ;   in Loop: Header=BB452_415 Depth=1
	s_or_b32 exec_lo, exec_lo, s9
	v_dual_mov_b32 v2, 0 :: v_dual_and_b32 v3, 0xff, v1
	v_mov_b32_e32 v9, v1
	s_mov_b32 s9, exec_lo
	s_delay_alu instid0(VALU_DEP_2)
	v_cmpx_ne_u16_e32 0, v3
	s_cbranch_execz .LBB452_893
; %bb.886:                              ;   in Loop: Header=BB452_415 Depth=1
	v_bfrev_b32_e32 v2, 1
	s_mov_b32 s12, exec_lo
	v_cmpx_ne_u16_e32 0x80, v3
	s_cbranch_execz .LBB452_892
; %bb.887:                              ;   in Loop: Header=BB452_415 Depth=1
	v_and_b32_e32 v3, 0x7f, v1
	v_mov_b32_e32 v2, 0x7f800001
	s_mov_b32 s13, exec_lo
	s_delay_alu instid0(VALU_DEP_2)
	v_cmpx_ne_u32_e32 0x7f, v3
	s_cbranch_execz .LBB452_891
; %bb.888:                              ;   in Loop: Header=BB452_415 Depth=1
	v_lshrrev_b32_e32 v113, 3, v3
	v_cmp_gt_u32_e64 s0, 8, v3
	v_dual_mov_b32 v2, v9 :: v_dual_mov_b32 v3, v10
	s_delay_alu instid0(VALU_DEP_2)
	s_and_saveexec_b32 s15, s0
; %bb.889:                              ;   in Loop: Header=BB452_415 Depth=1
	v_and_b32_e32 v2, 7, v1
	s_delay_alu instid0(VALU_DEP_1) | instskip(NEXT) | instid1(VALU_DEP_1)
	v_clz_i32_u32_e32 v2, v2
	v_min_u32_e32 v113, 32, v2
	s_delay_alu instid0(VALU_DEP_1) | instskip(SKIP_1) | instid1(VALU_DEP_2)
	v_subrev_nc_u32_e32 v2, 28, v113
	v_sub_nc_u32_e32 v113, 29, v113
	v_lshlrev_b64 v[2:3], v2, v[9:10]
; %bb.890:                              ;   in Loop: Header=BB452_415 Depth=1
	s_or_b32 exec_lo, exec_lo, s15
	s_delay_alu instid0(VALU_DEP_1) | instskip(SKIP_2) | instid1(VALU_DEP_3)
	v_lshlrev_b32_e32 v2, 20, v2
	v_lshlrev_b32_e32 v3, 24, v9
	v_lshl_add_u32 v113, v113, 23, 0x3c000000
	v_and_b32_e32 v2, 0x700000, v2
	s_delay_alu instid0(VALU_DEP_3) | instskip(NEXT) | instid1(VALU_DEP_1)
	v_and_b32_e32 v3, 0x80000000, v3
	v_or3_b32 v2, v2, v3, v113
.LBB452_891:                            ;   in Loop: Header=BB452_415 Depth=1
	s_or_b32 exec_lo, exec_lo, s13
.LBB452_892:                            ;   in Loop: Header=BB452_415 Depth=1
	s_delay_alu instid0(SALU_CYCLE_1)
	s_or_b32 exec_lo, exec_lo, s12
.LBB452_893:                            ;   in Loop: Header=BB452_415 Depth=1
	s_delay_alu instid0(SALU_CYCLE_1) | instskip(NEXT) | instid1(VALU_DEP_1)
	s_or_b32 exec_lo, exec_lo, s9
	v_mul_f32_e32 v2, v26, v2
                                        ; implicit-def: $vgpr113
	s_delay_alu instid0(VALU_DEP_1) | instskip(NEXT) | instid1(VALU_DEP_1)
	v_and_b32_e32 v3, 0x7f800000, v2
	v_cmp_ne_u32_e64 s0, 0x7f800000, v3
	s_delay_alu instid0(VALU_DEP_1) | instskip(NEXT) | instid1(SALU_CYCLE_1)
	s_and_saveexec_b32 s9, s0
	s_xor_b32 s0, exec_lo, s9
; %bb.894:                              ;   in Loop: Header=BB452_415 Depth=1
	v_bfe_u32 v3, v2, 16, 1
	s_delay_alu instid0(VALU_DEP_1)
	v_add3_u32 v113, v2, v3, 0x7fff
                                        ; implicit-def: $vgpr2
; %bb.895:                              ;   in Loop: Header=BB452_415 Depth=1
	s_and_not1_saveexec_b32 s9, s0
; %bb.896:                              ;   in Loop: Header=BB452_415 Depth=1
	v_and_b32_e32 v3, 0xffff, v2
	v_or_b32_e32 v113, 0x10000, v2
	s_delay_alu instid0(VALU_DEP_2) | instskip(NEXT) | instid1(VALU_DEP_1)
	v_cmp_eq_u32_e64 s0, 0, v3
	v_cndmask_b32_e64 v113, v113, v2, s0
; %bb.897:                              ;   in Loop: Header=BB452_415 Depth=1
	s_or_b32 exec_lo, exec_lo, s9
	v_lshrrev_b16 v3, 8, v9
	v_mov_b32_e32 v2, 0
	s_mov_b32 s9, exec_lo
	s_delay_alu instid0(VALU_DEP_2)
	v_cmpx_ne_u16_e32 0, v3
	s_cbranch_execz .LBB452_905
; %bb.898:                              ;   in Loop: Header=BB452_415 Depth=1
	v_bfrev_b32_e32 v2, 1
	s_mov_b32 s12, exec_lo
	v_cmpx_ne_u16_e32 0x80, v3
	s_cbranch_execz .LBB452_904
; %bb.899:                              ;   in Loop: Header=BB452_415 Depth=1
	v_and_b32_e32 v3, 0xffff, v3
	v_mov_b32_e32 v2, 0x7f800001
	s_mov_b32 s13, exec_lo
	s_delay_alu instid0(VALU_DEP_2) | instskip(NEXT) | instid1(VALU_DEP_1)
	v_and_b32_e32 v115, 0x7f, v3
	v_cmpx_ne_u32_e32 0x7f, v115
	s_cbranch_execz .LBB452_903
; %bb.900:                              ;   in Loop: Header=BB452_415 Depth=1
	v_dual_mov_b32 v3, v10 :: v_dual_and_b32 v2, 7, v3
	v_lshrrev_b32_e32 v114, 3, v115
	s_mov_b32 s15, exec_lo
	v_cmpx_gt_u32_e32 8, v115
; %bb.901:                              ;   in Loop: Header=BB452_415 Depth=1
	s_delay_alu instid0(VALU_DEP_3) | instskip(NEXT) | instid1(VALU_DEP_1)
	v_clz_i32_u32_e32 v114, v2
	v_min_u32_e32 v114, 32, v114
	s_delay_alu instid0(VALU_DEP_1) | instskip(SKIP_1) | instid1(VALU_DEP_2)
	v_subrev_nc_u32_e32 v115, 28, v114
	v_sub_nc_u32_e32 v114, 29, v114
	v_lshlrev_b64 v[2:3], v115, v[2:3]
	s_delay_alu instid0(VALU_DEP_1)
	v_and_b32_e32 v2, 7, v2
; %bb.902:                              ;   in Loop: Header=BB452_415 Depth=1
	s_or_b32 exec_lo, exec_lo, s15
	v_lshlrev_b32_e32 v3, 16, v9
	s_delay_alu instid0(VALU_DEP_2) | instskip(SKIP_1) | instid1(VALU_DEP_3)
	v_lshlrev_b32_e32 v2, 20, v2
	v_lshl_add_u32 v9, v114, 23, 0x3c000000
	v_and_b32_e32 v3, 0x80000000, v3
	s_delay_alu instid0(VALU_DEP_1)
	v_or3_b32 v2, v2, v3, v9
.LBB452_903:                            ;   in Loop: Header=BB452_415 Depth=1
	s_or_b32 exec_lo, exec_lo, s13
.LBB452_904:                            ;   in Loop: Header=BB452_415 Depth=1
	s_delay_alu instid0(SALU_CYCLE_1)
	s_or_b32 exec_lo, exec_lo, s12
.LBB452_905:                            ;   in Loop: Header=BB452_415 Depth=1
	s_delay_alu instid0(SALU_CYCLE_1) | instskip(NEXT) | instid1(VALU_DEP_1)
	s_or_b32 exec_lo, exec_lo, s9
	v_mul_f32_e32 v3, v26, v2
	s_delay_alu instid0(VALU_DEP_1) | instskip(NEXT) | instid1(VALU_DEP_1)
	v_and_b32_e32 v2, 0x7f800000, v3
	v_cmp_ne_u32_e64 s0, 0x7f800000, v2
                                        ; implicit-def: $vgpr2
	s_delay_alu instid0(VALU_DEP_1) | instskip(NEXT) | instid1(SALU_CYCLE_1)
	s_and_saveexec_b32 s9, s0
	s_xor_b32 s0, exec_lo, s9
; %bb.906:                              ;   in Loop: Header=BB452_415 Depth=1
	v_bfe_u32 v2, v3, 16, 1
	s_delay_alu instid0(VALU_DEP_1)
	v_add3_u32 v2, v3, v2, 0x7fff
                                        ; implicit-def: $vgpr3
; %bb.907:                              ;   in Loop: Header=BB452_415 Depth=1
	s_and_not1_saveexec_b32 s9, s0
; %bb.908:                              ;   in Loop: Header=BB452_415 Depth=1
	v_and_b32_e32 v2, 0xffff, v3
	v_or_b32_e32 v9, 0x10000, v3
	s_delay_alu instid0(VALU_DEP_2) | instskip(NEXT) | instid1(VALU_DEP_1)
	v_cmp_eq_u32_e64 s0, 0, v2
	v_cndmask_b32_e64 v2, v9, v3, s0
; %bb.909:                              ;   in Loop: Header=BB452_415 Depth=1
	s_or_b32 exec_lo, exec_lo, s9
	v_lshrrev_b32_e32 v3, 16, v1
	s_mov_b32 s9, exec_lo
	s_delay_alu instid0(VALU_DEP_1) | instskip(NEXT) | instid1(VALU_DEP_1)
	v_dual_mov_b32 v9, 0 :: v_dual_and_b32 v114, 0xff, v3
	v_cmpx_ne_u16_e32 0, v114
	s_cbranch_execz .LBB452_917
; %bb.910:                              ;   in Loop: Header=BB452_415 Depth=1
	v_bfrev_b32_e32 v9, 1
	s_mov_b32 s12, exec_lo
	v_cmpx_ne_u16_e32 0x80, v114
	s_cbranch_execz .LBB452_916
; %bb.911:                              ;   in Loop: Header=BB452_415 Depth=1
	v_bfe_u32 v115, v1, 16, 7
	v_mov_b32_e32 v9, 0x7f800001
	s_mov_b32 s13, exec_lo
	s_delay_alu instid0(VALU_DEP_2)
	v_cmpx_ne_u32_e32 0x7f, v115
	s_cbranch_execz .LBB452_915
; %bb.912:                              ;   in Loop: Header=BB452_415 Depth=1
	v_and_b32_e32 v9, 7, v3
	v_lshrrev_b32_e32 v114, 3, v115
	s_mov_b32 s15, exec_lo
	v_cmpx_gt_u32_e32 8, v115
; %bb.913:                              ;   in Loop: Header=BB452_415 Depth=1
	s_delay_alu instid0(VALU_DEP_3) | instskip(NEXT) | instid1(VALU_DEP_1)
	v_clz_i32_u32_e32 v114, v9
	v_min_u32_e32 v114, 32, v114
	s_delay_alu instid0(VALU_DEP_1) | instskip(SKIP_1) | instid1(VALU_DEP_2)
	v_subrev_nc_u32_e32 v115, 28, v114
	v_sub_nc_u32_e32 v114, 29, v114
	v_lshlrev_b64 v[115:116], v115, v[9:10]
	s_delay_alu instid0(VALU_DEP_1)
	v_and_b32_e32 v9, 7, v115
; %bb.914:                              ;   in Loop: Header=BB452_415 Depth=1
	s_or_b32 exec_lo, exec_lo, s15
	v_lshlrev_b32_e32 v3, 24, v3
	s_delay_alu instid0(VALU_DEP_2) | instskip(SKIP_1) | instid1(VALU_DEP_3)
	v_lshlrev_b32_e32 v9, 20, v9
	v_lshl_add_u32 v114, v114, 23, 0x3c000000
	v_and_b32_e32 v3, 0x80000000, v3
	s_delay_alu instid0(VALU_DEP_1)
	v_or3_b32 v9, v9, v3, v114
.LBB452_915:                            ;   in Loop: Header=BB452_415 Depth=1
	s_or_b32 exec_lo, exec_lo, s13
.LBB452_916:                            ;   in Loop: Header=BB452_415 Depth=1
	s_delay_alu instid0(SALU_CYCLE_1)
	s_or_b32 exec_lo, exec_lo, s12
.LBB452_917:                            ;   in Loop: Header=BB452_415 Depth=1
	s_delay_alu instid0(SALU_CYCLE_1) | instskip(NEXT) | instid1(VALU_DEP_1)
	s_or_b32 exec_lo, exec_lo, s9
	v_mul_f32_e32 v9, v26, v9
	s_delay_alu instid0(VALU_DEP_1) | instskip(NEXT) | instid1(VALU_DEP_1)
	v_and_b32_e32 v3, 0x7f800000, v9
	v_cmp_ne_u32_e64 s0, 0x7f800000, v3
                                        ; implicit-def: $vgpr3
	s_delay_alu instid0(VALU_DEP_1) | instskip(NEXT) | instid1(SALU_CYCLE_1)
	s_and_saveexec_b32 s9, s0
	s_xor_b32 s0, exec_lo, s9
; %bb.918:                              ;   in Loop: Header=BB452_415 Depth=1
	v_bfe_u32 v3, v9, 16, 1
	s_delay_alu instid0(VALU_DEP_1)
	v_add3_u32 v3, v9, v3, 0x7fff
                                        ; implicit-def: $vgpr9
; %bb.919:                              ;   in Loop: Header=BB452_415 Depth=1
	s_and_not1_saveexec_b32 s9, s0
; %bb.920:                              ;   in Loop: Header=BB452_415 Depth=1
	v_and_b32_e32 v3, 0xffff, v9
	v_or_b32_e32 v114, 0x10000, v9
	s_delay_alu instid0(VALU_DEP_2) | instskip(NEXT) | instid1(VALU_DEP_1)
	v_cmp_eq_u32_e64 s0, 0, v3
	v_cndmask_b32_e64 v3, v114, v9, s0
; %bb.921:                              ;   in Loop: Header=BB452_415 Depth=1
	s_or_b32 exec_lo, exec_lo, s9
	v_mov_b32_e32 v9, 0
	s_mov_b32 s9, exec_lo
	v_cmpx_lt_u64_e64 s[2:3], v[0:1]
	s_cbranch_execz .LBB452_929
; %bb.922:                              ;   in Loop: Header=BB452_415 Depth=1
	v_lshrrev_b32_e32 v0, 24, v1
	v_bfrev_b32_e32 v9, 1
	s_mov_b32 s12, exec_lo
	s_delay_alu instid0(VALU_DEP_2)
	v_cmpx_ne_u32_e32 0x80, v0
	s_cbranch_execz .LBB452_928
; %bb.923:                              ;   in Loop: Header=BB452_415 Depth=1
	v_bfe_u32 v114, v1, 24, 7
	v_mov_b32_e32 v9, 0x7f800001
	s_mov_b32 s13, exec_lo
	s_delay_alu instid0(VALU_DEP_2)
	v_cmpx_ne_u32_e32 0x7f, v114
	s_cbranch_execz .LBB452_927
; %bb.924:                              ;   in Loop: Header=BB452_415 Depth=1
	v_and_b32_e32 v9, 7, v0
	v_lshrrev_b32_e32 v1, 3, v114
	s_mov_b32 s15, exec_lo
	v_cmpx_gt_u32_e32 8, v114
; %bb.925:                              ;   in Loop: Header=BB452_415 Depth=1
	s_delay_alu instid0(VALU_DEP_3) | instskip(NEXT) | instid1(VALU_DEP_1)
	v_clz_i32_u32_e32 v1, v9
	v_min_u32_e32 v1, 32, v1
	s_delay_alu instid0(VALU_DEP_1) | instskip(SKIP_1) | instid1(VALU_DEP_2)
	v_subrev_nc_u32_e32 v114, 28, v1
	v_sub_nc_u32_e32 v1, 29, v1
	v_lshlrev_b64 v[114:115], v114, v[9:10]
	s_delay_alu instid0(VALU_DEP_1)
	v_and_b32_e32 v9, 7, v114
; %bb.926:                              ;   in Loop: Header=BB452_415 Depth=1
	s_or_b32 exec_lo, exec_lo, s15
	v_lshlrev_b32_e32 v0, 24, v0
	s_delay_alu instid0(VALU_DEP_2) | instskip(SKIP_1) | instid1(VALU_DEP_3)
	v_lshlrev_b32_e32 v9, 20, v9
	v_lshl_add_u32 v1, v1, 23, 0x3c000000
	v_and_b32_e32 v0, 0x80000000, v0
	s_delay_alu instid0(VALU_DEP_1)
	v_or3_b32 v9, v9, v0, v1
.LBB452_927:                            ;   in Loop: Header=BB452_415 Depth=1
	s_or_b32 exec_lo, exec_lo, s13
.LBB452_928:                            ;   in Loop: Header=BB452_415 Depth=1
	s_delay_alu instid0(SALU_CYCLE_1)
	s_or_b32 exec_lo, exec_lo, s12
.LBB452_929:                            ;   in Loop: Header=BB452_415 Depth=1
	s_delay_alu instid0(SALU_CYCLE_1) | instskip(NEXT) | instid1(VALU_DEP_1)
	s_or_b32 exec_lo, exec_lo, s9
	v_mul_f32_e32 v0, v26, v9
                                        ; implicit-def: $vgpr115
	s_delay_alu instid0(VALU_DEP_1) | instskip(NEXT) | instid1(VALU_DEP_1)
	v_and_b32_e32 v1, 0x7f800000, v0
	v_cmp_ne_u32_e64 s0, 0x7f800000, v1
	s_delay_alu instid0(VALU_DEP_1) | instskip(NEXT) | instid1(SALU_CYCLE_1)
	s_and_saveexec_b32 s9, s0
	s_xor_b32 s0, exec_lo, s9
; %bb.930:                              ;   in Loop: Header=BB452_415 Depth=1
	v_bfe_u32 v1, v0, 16, 1
	s_delay_alu instid0(VALU_DEP_1)
	v_add3_u32 v115, v0, v1, 0x7fff
                                        ; implicit-def: $vgpr0
; %bb.931:                              ;   in Loop: Header=BB452_415 Depth=1
	s_and_not1_saveexec_b32 s9, s0
; %bb.932:                              ;   in Loop: Header=BB452_415 Depth=1
	v_and_b32_e32 v1, 0xffff, v0
	v_or_b32_e32 v9, 0x10000, v0
	s_delay_alu instid0(VALU_DEP_2) | instskip(NEXT) | instid1(VALU_DEP_1)
	v_cmp_eq_u32_e64 s0, 0, v1
	v_cndmask_b32_e64 v115, v9, v0, s0
; %bb.933:                              ;   in Loop: Header=BB452_415 Depth=1
	s_or_b32 exec_lo, exec_lo, s9
	v_lshrrev_b32_e32 v114, 16, v2
	v_lshrrev_b32_e32 v113, 16, v113
	;; [unrolled: 1-line block ×8, first 2 shown]
	s_and_saveexec_b32 s0, vcc_lo
	s_cbranch_execz .LBB452_935
; %bb.934:                              ;   in Loop: Header=BB452_415 Depth=1
	v_cmp_lt_i32_e32 vcc_lo, v48, v35
	v_cndmask_b32_e32 v0, 0, v0, vcc_lo
	v_cmp_lt_i32_e32 vcc_lo, v54, v35
	v_cndmask_b32_e32 v1, 0, v1, vcc_lo
	;; [unrolled: 2-line block ×8, first 2 shown]
.LBB452_935:                            ;   in Loop: Header=BB452_415 Depth=1
	s_or_b32 exec_lo, exec_lo, s0
	v_lshlrev_b32_e32 v0, 16, v0
	s_delay_alu instid0(VALU_DEP_1) | instskip(NEXT) | instid1(VALU_DEP_1)
	v_mul_f32_e32 v3, v55, v0
	v_and_b32_e32 v0, 0x7f800000, v3
	s_delay_alu instid0(VALU_DEP_1) | instskip(SKIP_1) | instid1(SALU_CYCLE_1)
	v_cmp_ne_u32_e32 vcc_lo, 0x7f800000, v0
                                        ; implicit-def: $vgpr0
	s_and_saveexec_b32 s0, vcc_lo
	s_xor_b32 s0, exec_lo, s0
; %bb.936:                              ;   in Loop: Header=BB452_415 Depth=1
	v_bfe_u32 v0, v3, 16, 1
	s_delay_alu instid0(VALU_DEP_1)
	v_add3_u32 v0, v3, v0, 0x7fff
                                        ; implicit-def: $vgpr3
; %bb.937:                              ;   in Loop: Header=BB452_415 Depth=1
	s_and_not1_saveexec_b32 s0, s0
; %bb.938:                              ;   in Loop: Header=BB452_415 Depth=1
	v_and_b32_e32 v0, 0xffff, v3
	v_or_b32_e32 v48, 0x10000, v3
	s_delay_alu instid0(VALU_DEP_2) | instskip(NEXT) | instid1(VALU_DEP_2)
	v_cmp_eq_u32_e32 vcc_lo, 0, v0
	v_cndmask_b32_e32 v0, v48, v3, vcc_lo
; %bb.939:                              ;   in Loop: Header=BB452_415 Depth=1
	s_or_b32 exec_lo, exec_lo, s0
	v_lshlrev_b32_e32 v1, 16, v1
	s_delay_alu instid0(VALU_DEP_1) | instskip(NEXT) | instid1(VALU_DEP_1)
	v_mul_f32_e32 v3, v64, v1
	v_and_b32_e32 v1, 0x7f800000, v3
	s_delay_alu instid0(VALU_DEP_1) | instskip(SKIP_1) | instid1(SALU_CYCLE_1)
	v_cmp_ne_u32_e32 vcc_lo, 0x7f800000, v1
                                        ; implicit-def: $vgpr1
	s_and_saveexec_b32 s0, vcc_lo
	s_xor_b32 s0, exec_lo, s0
; %bb.940:                              ;   in Loop: Header=BB452_415 Depth=1
	v_bfe_u32 v1, v3, 16, 1
	s_delay_alu instid0(VALU_DEP_1)
	v_add3_u32 v1, v3, v1, 0x7fff
                                        ; implicit-def: $vgpr3
; %bb.941:                              ;   in Loop: Header=BB452_415 Depth=1
	s_and_not1_saveexec_b32 s0, s0
; %bb.942:                              ;   in Loop: Header=BB452_415 Depth=1
	v_and_b32_e32 v1, 0xffff, v3
	v_or_b32_e32 v48, 0x10000, v3
	s_delay_alu instid0(VALU_DEP_2) | instskip(NEXT) | instid1(VALU_DEP_2)
	v_cmp_eq_u32_e32 vcc_lo, 0, v1
	v_cndmask_b32_e32 v1, v48, v3, vcc_lo
; %bb.943:                              ;   in Loop: Header=BB452_415 Depth=1
	s_or_b32 exec_lo, exec_lo, s0
	v_lshlrev_b32_e32 v3, 16, v103
	s_delay_alu instid0(VALU_DEP_1) | instskip(NEXT) | instid1(VALU_DEP_1)
	v_mul_f32_e32 v48, v65, v3
	v_and_b32_e32 v3, 0x7f800000, v48
	s_delay_alu instid0(VALU_DEP_1) | instskip(SKIP_1) | instid1(SALU_CYCLE_1)
	v_cmp_ne_u32_e32 vcc_lo, 0x7f800000, v3
                                        ; implicit-def: $vgpr3
	s_and_saveexec_b32 s0, vcc_lo
	s_xor_b32 s0, exec_lo, s0
; %bb.944:                              ;   in Loop: Header=BB452_415 Depth=1
	v_bfe_u32 v3, v48, 16, 1
	s_delay_alu instid0(VALU_DEP_1)
	v_add3_u32 v3, v48, v3, 0x7fff
                                        ; implicit-def: $vgpr48
; %bb.945:                              ;   in Loop: Header=BB452_415 Depth=1
	s_and_not1_saveexec_b32 s0, s0
; %bb.946:                              ;   in Loop: Header=BB452_415 Depth=1
	v_and_b32_e32 v3, 0xffff, v48
	v_or_b32_e32 v49, 0x10000, v48
	s_delay_alu instid0(VALU_DEP_2) | instskip(NEXT) | instid1(VALU_DEP_2)
	v_cmp_eq_u32_e32 vcc_lo, 0, v3
	v_cndmask_b32_e32 v3, v49, v48, vcc_lo
; %bb.947:                              ;   in Loop: Header=BB452_415 Depth=1
	s_or_b32 exec_lo, exec_lo, s0
	v_lshlrev_b32_e32 v48, 16, v112
	s_delay_alu instid0(VALU_DEP_1) | instskip(NEXT) | instid1(VALU_DEP_1)
	v_mul_f32_e32 v49, v66, v48
	v_and_b32_e32 v48, 0x7f800000, v49
	s_delay_alu instid0(VALU_DEP_1) | instskip(SKIP_1) | instid1(SALU_CYCLE_1)
	v_cmp_ne_u32_e32 vcc_lo, 0x7f800000, v48
                                        ; implicit-def: $vgpr48
	s_and_saveexec_b32 s0, vcc_lo
	s_xor_b32 s0, exec_lo, s0
; %bb.948:                              ;   in Loop: Header=BB452_415 Depth=1
	v_bfe_u32 v48, v49, 16, 1
	s_delay_alu instid0(VALU_DEP_1)
	v_add3_u32 v48, v49, v48, 0x7fff
                                        ; implicit-def: $vgpr49
; %bb.949:                              ;   in Loop: Header=BB452_415 Depth=1
	s_and_not1_saveexec_b32 s0, s0
; %bb.950:                              ;   in Loop: Header=BB452_415 Depth=1
	v_and_b32_e32 v48, 0xffff, v49
	v_or_b32_e32 v50, 0x10000, v49
	s_delay_alu instid0(VALU_DEP_2) | instskip(NEXT) | instid1(VALU_DEP_2)
	v_cmp_eq_u32_e32 vcc_lo, 0, v48
	v_cndmask_b32_e32 v48, v50, v49, vcc_lo
; %bb.951:                              ;   in Loop: Header=BB452_415 Depth=1
	s_or_b32 exec_lo, exec_lo, s0
	v_lshlrev_b32_e32 v49, 16, v113
	s_delay_alu instid0(VALU_DEP_1) | instskip(NEXT) | instid1(VALU_DEP_1)
	v_mul_f32_e32 v50, v67, v49
	v_and_b32_e32 v49, 0x7f800000, v50
	s_delay_alu instid0(VALU_DEP_1) | instskip(SKIP_1) | instid1(SALU_CYCLE_1)
	v_cmp_ne_u32_e32 vcc_lo, 0x7f800000, v49
                                        ; implicit-def: $vgpr49
	s_and_saveexec_b32 s0, vcc_lo
	s_xor_b32 s0, exec_lo, s0
; %bb.952:                              ;   in Loop: Header=BB452_415 Depth=1
	v_bfe_u32 v49, v50, 16, 1
	s_delay_alu instid0(VALU_DEP_1)
	v_add3_u32 v49, v50, v49, 0x7fff
                                        ; implicit-def: $vgpr50
; %bb.953:                              ;   in Loop: Header=BB452_415 Depth=1
	s_and_not1_saveexec_b32 s0, s0
; %bb.954:                              ;   in Loop: Header=BB452_415 Depth=1
	v_and_b32_e32 v49, 0xffff, v50
	v_or_b32_e32 v51, 0x10000, v50
	s_delay_alu instid0(VALU_DEP_2) | instskip(NEXT) | instid1(VALU_DEP_2)
	v_cmp_eq_u32_e32 vcc_lo, 0, v49
	v_cndmask_b32_e32 v49, v51, v50, vcc_lo
; %bb.955:                              ;   in Loop: Header=BB452_415 Depth=1
	s_or_b32 exec_lo, exec_lo, s0
	v_lshlrev_b32_e32 v50, 16, v114
	s_delay_alu instid0(VALU_DEP_1) | instskip(NEXT) | instid1(VALU_DEP_1)
	v_mul_f32_e32 v51, v68, v50
	v_and_b32_e32 v50, 0x7f800000, v51
	s_delay_alu instid0(VALU_DEP_1) | instskip(SKIP_1) | instid1(SALU_CYCLE_1)
	v_cmp_ne_u32_e32 vcc_lo, 0x7f800000, v50
                                        ; implicit-def: $vgpr50
	s_and_saveexec_b32 s0, vcc_lo
	s_xor_b32 s0, exec_lo, s0
; %bb.956:                              ;   in Loop: Header=BB452_415 Depth=1
	v_bfe_u32 v50, v51, 16, 1
	s_delay_alu instid0(VALU_DEP_1)
	v_add3_u32 v50, v51, v50, 0x7fff
                                        ; implicit-def: $vgpr51
; %bb.957:                              ;   in Loop: Header=BB452_415 Depth=1
	s_and_not1_saveexec_b32 s0, s0
; %bb.958:                              ;   in Loop: Header=BB452_415 Depth=1
	v_and_b32_e32 v50, 0xffff, v51
	v_or_b32_e32 v52, 0x10000, v51
	s_delay_alu instid0(VALU_DEP_2) | instskip(NEXT) | instid1(VALU_DEP_2)
	v_cmp_eq_u32_e32 vcc_lo, 0, v50
	v_cndmask_b32_e32 v50, v52, v51, vcc_lo
; %bb.959:                              ;   in Loop: Header=BB452_415 Depth=1
	s_or_b32 exec_lo, exec_lo, s0
	v_lshlrev_b32_e32 v9, 16, v9
	s_delay_alu instid0(VALU_DEP_1) | instskip(NEXT) | instid1(VALU_DEP_1)
	v_mul_f32_e32 v51, v69, v9
	v_and_b32_e32 v9, 0x7f800000, v51
	s_delay_alu instid0(VALU_DEP_1) | instskip(SKIP_1) | instid1(SALU_CYCLE_1)
	v_cmp_ne_u32_e32 vcc_lo, 0x7f800000, v9
                                        ; implicit-def: $vgpr9
	s_and_saveexec_b32 s0, vcc_lo
	s_xor_b32 s0, exec_lo, s0
; %bb.960:                              ;   in Loop: Header=BB452_415 Depth=1
	v_bfe_u32 v9, v51, 16, 1
	s_delay_alu instid0(VALU_DEP_1)
	v_add3_u32 v9, v51, v9, 0x7fff
                                        ; implicit-def: $vgpr51
; %bb.961:                              ;   in Loop: Header=BB452_415 Depth=1
	s_and_not1_saveexec_b32 s0, s0
; %bb.962:                              ;   in Loop: Header=BB452_415 Depth=1
	v_and_b32_e32 v9, 0xffff, v51
	v_or_b32_e32 v52, 0x10000, v51
	s_delay_alu instid0(VALU_DEP_2) | instskip(NEXT) | instid1(VALU_DEP_2)
	v_cmp_eq_u32_e32 vcc_lo, 0, v9
	v_cndmask_b32_e32 v9, v52, v51, vcc_lo
; %bb.963:                              ;   in Loop: Header=BB452_415 Depth=1
	s_or_b32 exec_lo, exec_lo, s0
	v_lshlrev_b32_e32 v2, 16, v2
	s_delay_alu instid0(VALU_DEP_1) | instskip(NEXT) | instid1(VALU_DEP_1)
	v_mul_f32_e32 v51, v70, v2
	v_and_b32_e32 v2, 0x7f800000, v51
	s_delay_alu instid0(VALU_DEP_1) | instskip(SKIP_1) | instid1(SALU_CYCLE_1)
	v_cmp_ne_u32_e32 vcc_lo, 0x7f800000, v2
                                        ; implicit-def: $vgpr2
	s_and_saveexec_b32 s0, vcc_lo
	s_xor_b32 s0, exec_lo, s0
; %bb.964:                              ;   in Loop: Header=BB452_415 Depth=1
	v_bfe_u32 v2, v51, 16, 1
	s_delay_alu instid0(VALU_DEP_1)
	v_add3_u32 v2, v51, v2, 0x7fff
                                        ; implicit-def: $vgpr51
; %bb.965:                              ;   in Loop: Header=BB452_415 Depth=1
	s_and_not1_saveexec_b32 s0, s0
	s_cbranch_execz .LBB452_414
; %bb.966:                              ;   in Loop: Header=BB452_415 Depth=1
	v_and_b32_e32 v2, 0xffff, v51
	v_or_b32_e32 v52, 0x10000, v51
	s_delay_alu instid0(VALU_DEP_2) | instskip(NEXT) | instid1(VALU_DEP_2)
	v_cmp_eq_u32_e32 vcc_lo, 0, v2
	v_cndmask_b32_e32 v2, v52, v51, vcc_lo
	s_branch .LBB452_414
.LBB452_967:
	s_or_b32 exec_lo, exec_lo, s8
	v_dual_mov_b32 v0, s10 :: v_dual_mov_b32 v1, s11
.LBB452_968:
	s_or_b32 exec_lo, exec_lo, s7
	s_delay_alu instid0(VALU_DEP_1)
	v_lshlrev_b64 v[0:1], 2, v[0:1]
	s_getpc_b64 s[2:3]
	s_add_u32 s2, s2, llvm.amdgcn.dynlds.offset.table@rel32@lo+4
	s_addc_u32 s3, s3, llvm.amdgcn.dynlds.offset.table@rel32@hi+12
	s_waitcnt lgkmcnt(0)
	s_waitcnt_vscnt null, 0x0
	s_barrier
	buffer_gl0_inv
	ds_bpermute_b32 v2, v18, v24
	v_add_co_u32 v0, vcc_lo, v0, s2
	v_add_co_ci_u32_e32 v1, vcc_lo, s3, v1, vcc_lo
	ds_bpermute_b32 v3, v18, v21
	s_mov_b32 s0, exec_lo
	global_load_b32 v7, v[0:1], off
	ds_bpermute_b32 v0, v18, v28
	ds_bpermute_b32 v1, v18, v25
	s_waitcnt lgkmcnt(2)
	v_dual_add_f32 v6, v24, v2 :: v_dual_add_f32 v3, v21, v3
	ds_bpermute_b32 v9, v19, v6
	s_waitcnt lgkmcnt(2)
	v_dual_add_f32 v0, v28, v0 :: v_dual_and_b32 v11, 0x3c3, v34
	s_waitcnt lgkmcnt(1)
	v_add_f32_e32 v1, v25, v1
	ds_bpermute_b32 v10, v19, v3
	ds_bpermute_b32 v2, v19, v0
	;; [unrolled: 1-line block ×3, first 2 shown]
	s_waitcnt lgkmcnt(2)
	v_add_f32_e32 v3, v3, v10
	s_waitcnt lgkmcnt(0)
	v_dual_add_f32 v2, v0, v2 :: v_dual_add_f32 v1, v1, v8
	v_add_f32_e32 v0, v6, v9
	v_lshrrev_b32_e32 v6, 2, v23
	v_cmpx_eq_u32_e32 64, v11
	s_cbranch_execz .LBB452_970
; %bb.969:
	s_waitcnt vmcnt(0)
	v_lshl_add_u32 v8, v36, 7, v7
	v_lshlrev_b32_e32 v9, 2, v6
	s_delay_alu instid0(VALU_DEP_1)
	v_add3_u32 v8, v8, v9, 0xffffff00
	ds_store_2addr_b32 v8, v2, v1 offset1:8
	ds_store_2addr_b32 v8, v0, v3 offset0:16 offset1:24
.LBB452_970:
	s_or_b32 exec_lo, exec_lo, s0
	v_and_b32_e32 v8, 0x3e0, v34
	v_cmp_eq_u32_e32 vcc_lo, 0, v20
	s_mov_b32 s2, exec_lo
	s_waitcnt vmcnt(0) lgkmcnt(0)
	s_barrier
	v_lshl_add_u32 v8, v8, 2, v7
	buffer_gl0_inv
	v_cmpx_gt_u32_e32 64, v34
	s_cbranch_execz .LBB452_977
; %bb.971:
	s_and_saveexec_b32 s0, vcc_lo
	s_cbranch_execnz .LBB452_1006
; %bb.972:
	s_or_b32 exec_lo, exec_lo, s0
	s_and_saveexec_b32 s0, vcc_lo
	s_cbranch_execnz .LBB452_1007
.LBB452_973:
	s_or_b32 exec_lo, exec_lo, s0
	s_and_saveexec_b32 s0, vcc_lo
	s_cbranch_execnz .LBB452_1008
.LBB452_974:
	s_or_b32 exec_lo, exec_lo, s0
	s_and_saveexec_b32 s0, vcc_lo
	s_cbranch_execz .LBB452_976
.LBB452_975:
	v_lshl_add_u32 v9, v6, 2, v8
	ds_load_b32 v9, v9 offset:96
	s_waitcnt lgkmcnt(0)
	v_add_f32_e32 v3, v3, v9
.LBB452_976:
	s_or_b32 exec_lo, exec_lo, s0
.LBB452_977:
	s_delay_alu instid0(SALU_CYCLE_1)
	s_or_b32 exec_lo, exec_lo, s2
	v_and_b32_e32 v9, 0x3e3, v34
	s_mov_b32 s2, exec_lo
	s_barrier
	buffer_gl0_inv
	v_cmpx_eq_u32_e32 32, v9
	s_cbranch_execz .LBB452_979
; %bb.978:
	v_lshl_add_u32 v7, v6, 2, v7
	ds_store_2addr_b32 v7, v2, v1 offset1:8
	ds_store_2addr_b32 v7, v0, v3 offset0:16 offset1:24
.LBB452_979:
	s_or_b32 exec_lo, exec_lo, s2
	v_cmp_gt_u32_e64 s0, 32, v34
	s_waitcnt lgkmcnt(0)
	s_barrier
	buffer_gl0_inv
	s_and_saveexec_b32 s2, s0
	s_cbranch_execz .LBB452_986
; %bb.980:
	v_lshl_add_u32 v6, v6, 2, v8
	s_and_saveexec_b32 s3, vcc_lo
	s_cbranch_execnz .LBB452_1009
; %bb.981:
	s_or_b32 exec_lo, exec_lo, s3
	s_and_saveexec_b32 s3, vcc_lo
	s_cbranch_execnz .LBB452_1010
.LBB452_982:
	s_or_b32 exec_lo, exec_lo, s3
	s_and_saveexec_b32 s3, vcc_lo
	s_cbranch_execnz .LBB452_1011
.LBB452_983:
	s_or_b32 exec_lo, exec_lo, s3
	s_and_saveexec_b32 s3, vcc_lo
	s_cbranch_execz .LBB452_985
.LBB452_984:
	ds_load_b32 v6, v6 offset:96
	s_waitcnt lgkmcnt(0)
	v_add_f32_e32 v3, v3, v6
.LBB452_985:
	s_or_b32 exec_lo, exec_lo, s3
.LBB452_986:
	s_delay_alu instid0(SALU_CYCLE_1)
	s_or_b32 exec_lo, exec_lo, s2
	s_barrier
	buffer_gl0_inv
	s_and_b32 exec_lo, exec_lo, s0
	s_cbranch_execz .LBB452_1005
; %bb.987:
	s_and_b32 exec_lo, exec_lo, vcc_lo
	s_cbranch_execz .LBB452_1005
; %bb.988:
	v_and_b32_e32 v6, 0x7f800000, v2
	s_delay_alu instid0(VALU_DEP_1) | instskip(SKIP_1) | instid1(SALU_CYCLE_1)
	v_cmp_ne_u32_e32 vcc_lo, 0x7f800000, v6
                                        ; implicit-def: $vgpr6
	s_and_saveexec_b32 s0, vcc_lo
	s_xor_b32 s0, exec_lo, s0
; %bb.989:
	v_bfe_u32 v6, v2, 16, 1
	s_delay_alu instid0(VALU_DEP_1)
	v_add3_u32 v6, v2, v6, 0x7fff
; %bb.990:
	s_and_not1_saveexec_b32 s0, s0
; %bb.991:
	v_and_b32_e32 v6, 0xffff, v2
	v_or_b32_e32 v7, 0x10000, v2
	s_delay_alu instid0(VALU_DEP_2) | instskip(NEXT) | instid1(VALU_DEP_2)
	v_cmp_eq_u32_e32 vcc_lo, 0, v6
	v_cndmask_b32_e32 v6, v7, v2, vcc_lo
; %bb.992:
	s_or_b32 exec_lo, exec_lo, s0
	s_mul_i32 s2, s1, s4
	s_mul_i32 s0, s6, s1
	;; [unrolled: 1-line block ×3, first 2 shown]
	s_lshl_b32 s2, s14, 5
	s_lshl_b32 s6, s1, 5
	s_ashr_i32 s1, s0, 31
	s_ashr_i32 s3, s2, 31
	;; [unrolled: 1-line block ×3, first 2 shown]
	s_lshl_b64 s[0:1], s[0:1], 1
	s_lshl_b64 s[2:3], s[2:3], 1
	;; [unrolled: 1-line block ×3, first 2 shown]
	v_lshrrev_b32_e32 v2, 1, v34
	s_add_u32 s0, s2, s0
	s_addc_u32 s1, s3, s1
	s_add_u32 s0, s0, s6
	s_addc_u32 s1, s1, s7
	v_and_b32_e32 v2, 0x1fe, v2
	v_add_co_u32 v4, vcc_lo, s0, v4
	v_add_co_ci_u32_e32 v5, vcc_lo, s1, v5, vcc_lo
	v_and_b32_e32 v7, 0x7f800000, v1
	s_delay_alu instid0(VALU_DEP_3) | instskip(NEXT) | instid1(VALU_DEP_3)
	v_add_co_u32 v4, vcc_lo, v4, v2
	v_add_co_ci_u32_e32 v5, vcc_lo, 0, v5, vcc_lo
	s_mov_b32 s0, exec_lo
                                        ; implicit-def: $vgpr2
	flat_store_d16_hi_b16 v[4:5], v6
	v_cmpx_ne_u32_e32 0x7f800000, v7
	s_xor_b32 s0, exec_lo, s0
; %bb.993:
	v_bfe_u32 v2, v1, 16, 1
	s_delay_alu instid0(VALU_DEP_1)
	v_add3_u32 v2, v1, v2, 0x7fff
; %bb.994:
	s_and_not1_saveexec_b32 s0, s0
; %bb.995:
	v_and_b32_e32 v2, 0xffff, v1
	v_or_b32_e32 v6, 0x10000, v1
	s_delay_alu instid0(VALU_DEP_2) | instskip(NEXT) | instid1(VALU_DEP_2)
	v_cmp_eq_u32_e32 vcc_lo, 0, v2
	v_cndmask_b32_e32 v2, v6, v1, vcc_lo
; %bb.996:
	s_or_b32 exec_lo, exec_lo, s0
	v_and_b32_e32 v1, 0x7f800000, v0
	flat_store_d16_hi_b16 v[4:5], v2 offset:16
	v_cmp_ne_u32_e32 vcc_lo, 0x7f800000, v1
                                        ; implicit-def: $vgpr1
	s_and_saveexec_b32 s0, vcc_lo
	s_delay_alu instid0(SALU_CYCLE_1)
	s_xor_b32 s0, exec_lo, s0
; %bb.997:
	v_bfe_u32 v1, v0, 16, 1
	s_delay_alu instid0(VALU_DEP_1)
	v_add3_u32 v1, v0, v1, 0x7fff
; %bb.998:
	s_and_not1_saveexec_b32 s0, s0
; %bb.999:
	v_and_b32_e32 v1, 0xffff, v0
	v_or_b32_e32 v2, 0x10000, v0
	s_delay_alu instid0(VALU_DEP_2) | instskip(NEXT) | instid1(VALU_DEP_2)
	v_cmp_eq_u32_e32 vcc_lo, 0, v1
	v_cndmask_b32_e32 v1, v2, v0, vcc_lo
; %bb.1000:
	s_or_b32 exec_lo, exec_lo, s0
	v_and_b32_e32 v0, 0x7f800000, v3
	s_mov_b32 s0, exec_lo
	flat_store_d16_hi_b16 v[4:5], v1 offset:32
                                        ; implicit-def: $vgpr6
	v_cmpx_ne_u32_e32 0x7f800000, v0
	s_xor_b32 s0, exec_lo, s0
; %bb.1001:
	v_bfe_u32 v0, v3, 16, 1
	s_delay_alu instid0(VALU_DEP_1)
	v_add3_u32 v6, v3, v0, 0x7fff
                                        ; implicit-def: $vgpr0_vgpr1_vgpr2_vgpr3
; %bb.1002:
	s_and_not1_saveexec_b32 s0, s0
; %bb.1003:
	v_and_b32_e32 v0, 0xffff, v3
	v_or_b32_e32 v1, 0x10000, v3
	s_delay_alu instid0(VALU_DEP_2) | instskip(NEXT) | instid1(VALU_DEP_2)
	v_cmp_eq_u32_e32 vcc_lo, 0, v0
	v_cndmask_b32_e32 v6, v1, v3, vcc_lo
; %bb.1004:
	s_or_b32 exec_lo, exec_lo, s0
	flat_store_d16_hi_b16 v[4:5], v6 offset:48
.LBB452_1005:
	s_or_b32 exec_lo, exec_lo, s5
	s_waitcnt lgkmcnt(0)
	s_setpc_b64 s[30:31]
.LBB452_1006:
	v_lshl_add_u32 v9, v6, 2, v8
	ds_load_b32 v9, v9
	s_waitcnt lgkmcnt(0)
	v_add_f32_e32 v2, v2, v9
	s_or_b32 exec_lo, exec_lo, s0
	s_and_saveexec_b32 s0, vcc_lo
	s_cbranch_execz .LBB452_973
.LBB452_1007:
	v_lshl_add_u32 v9, v6, 2, v8
	ds_load_b32 v9, v9 offset:32
	s_waitcnt lgkmcnt(0)
	v_add_f32_e32 v1, v1, v9
	s_or_b32 exec_lo, exec_lo, s0
	s_and_saveexec_b32 s0, vcc_lo
	s_cbranch_execz .LBB452_974
.LBB452_1008:
	v_lshl_add_u32 v9, v6, 2, v8
	ds_load_b32 v9, v9 offset:64
	s_waitcnt lgkmcnt(0)
	v_add_f32_e32 v0, v0, v9
	s_or_b32 exec_lo, exec_lo, s0
	s_and_saveexec_b32 s0, vcc_lo
	s_cbranch_execnz .LBB452_975
	s_branch .LBB452_976
.LBB452_1009:
	ds_load_b32 v7, v6
	s_waitcnt lgkmcnt(0)
	v_add_f32_e32 v2, v2, v7
	s_or_b32 exec_lo, exec_lo, s3
	s_and_saveexec_b32 s3, vcc_lo
	s_cbranch_execz .LBB452_982
.LBB452_1010:
	ds_load_b32 v7, v6 offset:32
	s_waitcnt lgkmcnt(0)
	v_add_f32_e32 v1, v1, v7
	s_or_b32 exec_lo, exec_lo, s3
	s_and_saveexec_b32 s3, vcc_lo
	s_cbranch_execz .LBB452_983
.LBB452_1011:
	ds_load_b32 v7, v6 offset:64
	s_waitcnt lgkmcnt(0)
	v_add_f32_e32 v0, v0, v7
	s_or_b32 exec_lo, exec_lo, s3
	s_and_saveexec_b32 s3, vcc_lo
	s_cbranch_execnz .LBB452_984
	s_branch .LBB452_985
.Lfunc_end452:
	.size	_ZN4vllm22paged_attention_kernelI14__hip_bfloat16hLi32ELi32ELi128ELNS_18Fp8KVCacheDataTypeE1ELb0ELi512EEEvPfS3_PT_PKS4_PKT0_SA_ifPKiSC_iPKfiiiSE_SE_iiiii, .Lfunc_end452-_ZN4vllm22paged_attention_kernelI14__hip_bfloat16hLi32ELi32ELi128ELNS_18Fp8KVCacheDataTypeE1ELb0ELi512EEEvPfS3_PT_PKS4_PKT0_SA_ifPKiSC_iPKfiiiSE_SE_iiiii
                                        ; -- End function
	.section	.AMDGPU.csdata,"",@progbits
; Function info:
; codeLenInByte = 30884
; NumSgprs: 34
; NumVgprs: 182
; ScratchSize: 0
; MemoryBound: 0
	.section	.text._ZN4vllm25paged_attention_v2_kernelI14__hip_bfloat16hLi32ELi32ELi128ELNS_18Fp8KVCacheDataTypeE1ELb0ELi512EEEvPfS3_PT_PKS4_PKT0_SA_ifPKiSC_iPKfiiiSE_SE_iiiii,"axG",@progbits,_ZN4vllm25paged_attention_v2_kernelI14__hip_bfloat16hLi32ELi32ELi128ELNS_18Fp8KVCacheDataTypeE1ELb0ELi512EEEvPfS3_PT_PKS4_PKT0_SA_ifPKiSC_iPKfiiiSE_SE_iiiii,comdat
	.protected	_ZN4vllm25paged_attention_v2_kernelI14__hip_bfloat16hLi32ELi32ELi128ELNS_18Fp8KVCacheDataTypeE1ELb0ELi512EEEvPfS3_PT_PKS4_PKT0_SA_ifPKiSC_iPKfiiiSE_SE_iiiii ; -- Begin function _ZN4vllm25paged_attention_v2_kernelI14__hip_bfloat16hLi32ELi32ELi128ELNS_18Fp8KVCacheDataTypeE1ELb0ELi512EEEvPfS3_PT_PKS4_PKT0_SA_ifPKiSC_iPKfiiiSE_SE_iiiii
	.globl	_ZN4vllm25paged_attention_v2_kernelI14__hip_bfloat16hLi32ELi32ELi128ELNS_18Fp8KVCacheDataTypeE1ELb0ELi512EEEvPfS3_PT_PKS4_PKT0_SA_ifPKiSC_iPKfiiiSE_SE_iiiii
	.p2align	8
	.type	_ZN4vllm25paged_attention_v2_kernelI14__hip_bfloat16hLi32ELi32ELi128ELNS_18Fp8KVCacheDataTypeE1ELb0ELi512EEEvPfS3_PT_PKS4_PKT0_SA_ifPKiSC_iPKfiiiSE_SE_iiiii,@function
_ZN4vllm25paged_attention_v2_kernelI14__hip_bfloat16hLi32ELi32ELi128ELNS_18Fp8KVCacheDataTypeE1ELb0ELi512EEEvPfS3_PT_PKS4_PKT0_SA_ifPKiSC_iPKfiiiSE_SE_iiiii: ; @_ZN4vllm25paged_attention_v2_kernelI14__hip_bfloat16hLi32ELi32ELi128ELNS_18Fp8KVCacheDataTypeE1ELb0ELi512EEEvPfS3_PT_PKS4_PKT0_SA_ifPKiSC_iPKfiiiSE_SE_iiiii
; %bb.0:
	s_clause 0x5
	s_load_b256 s[24:31], s[0:1], 0x0
	s_load_b256 s[16:23], s[0:1], 0x20
	s_load_b64 s[2:3], s[0:1], 0x40
	s_load_b64 s[4:5], s[0:1], 0x50
	s_load_b32 s6, s[0:1], 0x48
	s_load_b256 s[36:43], s[0:1], 0x58
	v_mov_b32_e32 v31, v0
	s_add_u32 s8, s0, 0x90
	s_mov_b32 s12, s13
	s_addc_u32 s9, s1, 0
	s_mov_b32 s13, s14
	s_mov_b32 s14, s15
	;; [unrolled: 1-line block ×4, first 2 shown]
	s_getpc_b64 s[0:1]
	s_add_u32 s0, s0, _ZN4vllm22paged_attention_kernelI14__hip_bfloat16hLi32ELi32ELi128ELNS_18Fp8KVCacheDataTypeE1ELb0ELi512EEEvPfS3_PT_PKS4_PKT0_SA_ifPKiSC_iPKfiiiSE_SE_iiiii@rel32@lo+4
	s_addc_u32 s1, s1, _ZN4vllm22paged_attention_kernelI14__hip_bfloat16hLi32ELi32ELi128ELNS_18Fp8KVCacheDataTypeE1ELb0ELi512EEEvPfS3_PT_PKS4_PKT0_SA_ifPKiSC_iPKfiiiSE_SE_iiiii@rel32@hi+12
	s_waitcnt lgkmcnt(0)
	v_dual_mov_b32 v0, s24 :: v_dual_mov_b32 v1, s25
	v_dual_mov_b32 v2, s26 :: v_dual_mov_b32 v3, s27
	;; [unrolled: 1-line block ×14, first 2 shown]
	s_swappc_b64 s[30:31], s[0:1]
	s_endpgm
	.section	.rodata,"a",@progbits
	.p2align	6, 0x0
	.amdhsa_kernel _ZN4vllm25paged_attention_v2_kernelI14__hip_bfloat16hLi32ELi32ELi128ELNS_18Fp8KVCacheDataTypeE1ELb0ELi512EEEvPfS3_PT_PKS4_PKT0_SA_ifPKiSC_iPKfiiiSE_SE_iiiii
		.amdhsa_group_segment_fixed_size 96
		.amdhsa_private_segment_fixed_size 0
		.amdhsa_kernarg_size 400
		.amdhsa_user_sgpr_count 13
		.amdhsa_user_sgpr_dispatch_ptr 0
		.amdhsa_user_sgpr_queue_ptr 0
		.amdhsa_user_sgpr_kernarg_segment_ptr 1
		.amdhsa_user_sgpr_dispatch_id 0
		.amdhsa_user_sgpr_private_segment_size 0
		.amdhsa_wavefront_size32 1
		.amdhsa_uses_dynamic_stack 0
		.amdhsa_enable_private_segment 0
		.amdhsa_system_sgpr_workgroup_id_x 1
		.amdhsa_system_sgpr_workgroup_id_y 1
		.amdhsa_system_sgpr_workgroup_id_z 1
		.amdhsa_system_sgpr_workgroup_info 0
		.amdhsa_system_vgpr_workitem_id 0
		.amdhsa_next_free_vgpr 182
		.amdhsa_next_free_sgpr 44
		.amdhsa_reserve_vcc 1
		.amdhsa_float_round_mode_32 0
		.amdhsa_float_round_mode_16_64 0
		.amdhsa_float_denorm_mode_32 3
		.amdhsa_float_denorm_mode_16_64 3
		.amdhsa_dx10_clamp 1
		.amdhsa_ieee_mode 1
		.amdhsa_fp16_overflow 0
		.amdhsa_workgroup_processor_mode 1
		.amdhsa_memory_ordered 1
		.amdhsa_forward_progress 0
		.amdhsa_shared_vgpr_count 0
		.amdhsa_exception_fp_ieee_invalid_op 0
		.amdhsa_exception_fp_denorm_src 0
		.amdhsa_exception_fp_ieee_div_zero 0
		.amdhsa_exception_fp_ieee_overflow 0
		.amdhsa_exception_fp_ieee_underflow 0
		.amdhsa_exception_fp_ieee_inexact 0
		.amdhsa_exception_int_div_zero 0
	.end_amdhsa_kernel
	.section	.text._ZN4vllm25paged_attention_v2_kernelI14__hip_bfloat16hLi32ELi32ELi128ELNS_18Fp8KVCacheDataTypeE1ELb0ELi512EEEvPfS3_PT_PKS4_PKT0_SA_ifPKiSC_iPKfiiiSE_SE_iiiii,"axG",@progbits,_ZN4vllm25paged_attention_v2_kernelI14__hip_bfloat16hLi32ELi32ELi128ELNS_18Fp8KVCacheDataTypeE1ELb0ELi512EEEvPfS3_PT_PKS4_PKT0_SA_ifPKiSC_iPKfiiiSE_SE_iiiii,comdat
.Lfunc_end453:
	.size	_ZN4vllm25paged_attention_v2_kernelI14__hip_bfloat16hLi32ELi32ELi128ELNS_18Fp8KVCacheDataTypeE1ELb0ELi512EEEvPfS3_PT_PKS4_PKT0_SA_ifPKiSC_iPKfiiiSE_SE_iiiii, .Lfunc_end453-_ZN4vllm25paged_attention_v2_kernelI14__hip_bfloat16hLi32ELi32ELi128ELNS_18Fp8KVCacheDataTypeE1ELb0ELi512EEEvPfS3_PT_PKS4_PKT0_SA_ifPKiSC_iPKfiiiSE_SE_iiiii
                                        ; -- End function
	.section	.AMDGPU.csdata,"",@progbits
; Kernel info:
; codeLenInByte = 232
; NumSgprs: 46
; NumVgprs: 182
; ScratchSize: 0
; MemoryBound: 0
; FloatMode: 240
; IeeeMode: 1
; LDSByteSize: 96 bytes/workgroup (compile time only)
; SGPRBlocks: 5
; VGPRBlocks: 22
; NumSGPRsForWavesPerEU: 46
; NumVGPRsForWavesPerEU: 182
; Occupancy: 8
; WaveLimiterHint : 1
; COMPUTE_PGM_RSRC2:SCRATCH_EN: 0
; COMPUTE_PGM_RSRC2:USER_SGPR: 13
; COMPUTE_PGM_RSRC2:TRAP_HANDLER: 0
; COMPUTE_PGM_RSRC2:TGID_X_EN: 1
; COMPUTE_PGM_RSRC2:TGID_Y_EN: 1
; COMPUTE_PGM_RSRC2:TGID_Z_EN: 1
; COMPUTE_PGM_RSRC2:TIDIG_COMP_CNT: 0
	.text
	.p2align	2                               ; -- Begin function _ZN4vllm22paged_attention_kernelI14__hip_bfloat16hLi64ELi32ELi128ELNS_18Fp8KVCacheDataTypeE1ELb0ELi512EEEvPfS3_PT_PKS4_PKT0_SA_ifPKiSC_iPKfiiiSE_SE_iiiii
	.type	_ZN4vllm22paged_attention_kernelI14__hip_bfloat16hLi64ELi32ELi128ELNS_18Fp8KVCacheDataTypeE1ELb0ELi512EEEvPfS3_PT_PKS4_PKT0_SA_ifPKiSC_iPKfiiiSE_SE_iiiii,@function
_ZN4vllm22paged_attention_kernelI14__hip_bfloat16hLi64ELi32ELi128ELNS_18Fp8KVCacheDataTypeE1ELb0ELi512EEEvPfS3_PT_PKS4_PKT0_SA_ifPKiSC_iPKfiiiSE_SE_iiiii: ; @_ZN4vllm22paged_attention_kernelI14__hip_bfloat16hLi64ELi32ELi128ELNS_18Fp8KVCacheDataTypeE1ELb0ELi512EEEvPfS3_PT_PKS4_PKT0_SA_ifPKiSC_iPKfiiiSE_SE_iiiii
; %bb.0:
	s_waitcnt vmcnt(0) expcnt(0) lgkmcnt(0)
	s_clause 0x1f
	scratch_store_b32 off, v40, s32 offset:244
	; meta instruction
	scratch_store_b32 off, v41, s32 offset:240
	; meta instruction
	;; [unrolled: 2-line block ×31, first 2 shown]
	scratch_store_b32 off, v95, s32 offset:120
	s_clause 0x1d
	scratch_store_b32 off, v104, s32 offset:116
	; meta instruction
	scratch_store_b32 off, v105, s32 offset:112
	; meta instruction
	;; [unrolled: 2-line block ×29, first 2 shown]
	scratch_store_b32 off, v157, s32
	s_mov_b32 s4, s13
	s_ashr_i32 s5, s13, 31
	s_lshl_b32 s17, s14, 9
	s_lshl_b64 s[0:1], s[4:5], 2
	s_mov_b32 s5, exec_lo
	v_add_co_u32 v16, vcc_lo, v16, s0
	v_add_co_ci_u32_e32 v17, vcc_lo, s1, v17, vcc_lo
	flat_load_b32 v35, v[16:17]
	s_waitcnt vmcnt(0) lgkmcnt(0)
	v_cmpx_lt_i32_e64 s17, v35
	s_cbranch_execz .LBB454_1933
; %bb.1:
	v_sub_nc_u32_e32 v16, 0, v12
	s_clause 0x1
	s_load_b32 s0, s[8:9], 0x10
	s_load_b32 s1, s[8:9], 0x0
	s_mov_b32 s10, s15
	v_mov_b32_e32 v49, 0
	v_max_i32_e32 v16, v12, v16
	s_delay_alu instid0(VALU_DEP_1) | instskip(SKIP_1) | instid1(VALU_DEP_2)
	v_cvt_f32_u32_e32 v17, v16
	v_sub_nc_u32_e32 v28, 0, v16
	v_rcp_iflag_f32_e32 v17, v17
	s_waitcnt lgkmcnt(0)
	s_lshr_b32 s0, s0, 16
	s_delay_alu instid0(SALU_CYCLE_1) | instskip(SKIP_3) | instid1(SALU_CYCLE_1)
	s_cmp_lg_u32 s0, 0
	s_waitcnt_depctr 0xfff
	v_mul_f32_e32 v17, 0x4f7ffffe, v17
	s_cselect_b32 s0, -1, 0
	s_cmp_lg_u32 s0, 0
	s_delay_alu instid0(VALU_DEP_1)
	v_cvt_u32_f32_e32 v17, v17
	s_addc_u32 s16, s1, 0
	s_mov_b32 s1, exec_lo
	s_abs_i32 s0, s16
	v_xor_b32_e32 v12, s16, v12
	v_mul_lo_u32 v28, v28, v17
	s_delay_alu instid0(VALU_DEP_2) | instskip(NEXT) | instid1(VALU_DEP_2)
	v_ashrrev_i32_e32 v12, 31, v12
	v_mul_hi_u32 v28, v17, v28
	s_delay_alu instid0(VALU_DEP_1) | instskip(NEXT) | instid1(VALU_DEP_1)
	v_add_nc_u32_e32 v17, v17, v28
	v_mul_hi_u32 v17, s0, v17
	s_delay_alu instid0(VALU_DEP_1) | instskip(SKIP_1) | instid1(VALU_DEP_2)
	v_mul_lo_u32 v28, v17, v16
	v_add_nc_u32_e32 v29, 1, v17
	v_sub_nc_u32_e32 v28, s0, v28
	s_abs_i32 s0, s12
	s_delay_alu instid0(VALU_DEP_1) | instskip(SKIP_1) | instid1(VALU_DEP_2)
	v_sub_nc_u32_e32 v30, v28, v16
	v_cmp_ge_u32_e32 vcc_lo, v28, v16
	v_dual_cndmask_b32 v17, v17, v29 :: v_dual_cndmask_b32 v28, v28, v30
	s_delay_alu instid0(VALU_DEP_1) | instskip(NEXT) | instid1(VALU_DEP_2)
	v_add_nc_u32_e32 v29, 1, v17
	v_cmp_ge_u32_e32 vcc_lo, v28, v16
	s_delay_alu instid0(VALU_DEP_2) | instskip(NEXT) | instid1(VALU_DEP_1)
	v_cndmask_b32_e32 v16, v17, v29, vcc_lo
	v_xor_b32_e32 v16, v16, v12
	s_delay_alu instid0(VALU_DEP_1) | instskip(NEXT) | instid1(VALU_DEP_1)
	v_sub_nc_u32_e32 v28, v16, v12
	v_sub_nc_u32_e32 v12, 0, v28
	s_delay_alu instid0(VALU_DEP_1) | instskip(NEXT) | instid1(VALU_DEP_1)
	v_max_i32_e32 v12, v28, v12
	v_cvt_f32_u32_e32 v16, v12
	v_sub_nc_u32_e32 v17, 0, v12
	s_delay_alu instid0(VALU_DEP_2) | instskip(SKIP_2) | instid1(VALU_DEP_1)
	v_rcp_iflag_f32_e32 v16, v16
	s_waitcnt_depctr 0xfff
	v_mul_f32_e32 v16, 0x4f7ffffe, v16
	v_cvt_u32_f32_e32 v16, v16
	s_delay_alu instid0(VALU_DEP_1) | instskip(NEXT) | instid1(VALU_DEP_1)
	v_mul_lo_u32 v17, v17, v16
	v_mul_hi_u32 v17, v16, v17
	s_delay_alu instid0(VALU_DEP_1) | instskip(NEXT) | instid1(VALU_DEP_1)
	v_add_nc_u32_e32 v29, v16, v17
	v_mad_u64_u32 v[16:17], null, s0, v29, 0
	v_cmpx_ne_u64_e32 0, v[19:20]
	s_cbranch_execz .LBB454_3
; %bb.2:
	s_ashr_i32 s13, s12, 31
	s_delay_alu instid0(SALU_CYCLE_1) | instskip(NEXT) | instid1(SALU_CYCLE_1)
	s_lshl_b64 s[2:3], s[12:13], 2
	v_add_co_u32 v19, vcc_lo, v19, s2
	v_add_co_ci_u32_e32 v20, vcc_lo, s3, v20, vcc_lo
	flat_load_b32 v49, v[19:20]
.LBB454_3:
	s_or_b32 exec_lo, exec_lo, s1
	v_and_b32_e32 v34, 0x3ff, v31
	v_ashrrev_i32_e32 v16, 31, v28
	s_ashr_i32 s1, s12, 31
	s_lshl_b32 s6, s12, 6
	s_mov_b32 s2, exec_lo
	v_cmpx_gt_u32_e32 8, v34
	s_cbranch_execz .LBB454_5
; %bb.4:
	v_mul_lo_u32 v19, s4, v21
	s_ashr_i32 s7, s6, 31
	v_lshlrev_b32_e32 v21, 4, v34
	s_lshl_b64 s[18:19], s[6:7], 1
	s_delay_alu instid0(VALU_DEP_2) | instskip(NEXT) | instid1(VALU_DEP_1)
	v_ashrrev_i32_e32 v20, 31, v19
	v_lshlrev_b64 v[19:20], 1, v[19:20]
	s_delay_alu instid0(VALU_DEP_1) | instskip(NEXT) | instid1(VALU_DEP_2)
	v_add_co_u32 v6, vcc_lo, v6, v19
	v_add_co_ci_u32_e32 v7, vcc_lo, v7, v20, vcc_lo
	s_delay_alu instid0(VALU_DEP_2) | instskip(NEXT) | instid1(VALU_DEP_2)
	v_add_co_u32 v6, vcc_lo, v6, s18
	v_add_co_ci_u32_e32 v7, vcc_lo, s19, v7, vcc_lo
	s_delay_alu instid0(VALU_DEP_2) | instskip(NEXT) | instid1(VALU_DEP_2)
	v_add_co_u32 v6, vcc_lo, v6, v21
	v_add_co_ci_u32_e32 v7, vcc_lo, 0, v7, vcc_lo
	flat_load_b128 v[28:31], v[6:7]
	s_waitcnt vmcnt(0) lgkmcnt(0)
	ds_store_b128 v21, v[28:31]
.LBB454_5:
	s_or_b32 exec_lo, exec_lo, s2
	v_mul_lo_u32 v6, v17, v12
	v_dual_mov_b32 v162, 0xff7fffff :: v_dual_add_nc_u32 v19, 31, v35
	v_xor_b32_e32 v16, s1, v16
	s_clause 0x1
	s_load_b32 s13, s[8:9], 0x14
	s_load_b32 s7, s[8:9], 0x8
	v_lshrrev_b32_e32 v36, 5, v34
	s_lshl_b32 s3, s14, 4
	s_mov_b32 s15, exec_lo
	v_sub_nc_u32_e32 v6, s0, v6
	s_add_i32 s0, s3, 16
	s_waitcnt vmcnt(0) lgkmcnt(0)
	s_waitcnt_vscnt null, 0x0
	s_barrier
	buffer_gl0_inv
	v_sub_nc_u32_e32 v20, v6, v12
	v_cmp_ge_u32_e32 vcc_lo, v6, v12
	s_delay_alu instid0(VALU_DEP_2) | instskip(NEXT) | instid1(VALU_DEP_1)
	v_dual_cndmask_b32 v6, v6, v20 :: v_dual_add_nc_u32 v7, 1, v17
	v_cndmask_b32_e32 v7, v17, v7, vcc_lo
	v_ashrrev_i32_e32 v17, 31, v19
	s_delay_alu instid0(VALU_DEP_3) | instskip(SKIP_1) | instid1(VALU_DEP_3)
	v_cmp_ge_u32_e32 vcc_lo, v6, v12
	v_mul_lo_u32 v6, s4, v18
	v_lshrrev_b32_e32 v17, 27, v17
	s_delay_alu instid0(VALU_DEP_1) | instskip(SKIP_1) | instid1(VALU_DEP_2)
	v_add_nc_u32_e32 v12, v19, v17
	v_add_nc_u32_e32 v20, 1, v7
	v_ashrrev_i32_e32 v12, 5, v12
	s_delay_alu instid0(VALU_DEP_2) | instskip(NEXT) | instid1(VALU_DEP_2)
	v_cndmask_b32_e32 v7, v7, v20, vcc_lo
	v_min_i32_e32 v37, s0, v12
	s_delay_alu instid0(VALU_DEP_2) | instskip(NEXT) | instid1(VALU_DEP_1)
	v_xor_b32_e32 v7, v7, v16
	v_sub_nc_u32_e32 v17, v7, v16
	v_ashrrev_i32_e32 v7, 31, v6
	v_add_nc_u32_e32 v16, s3, v36
	s_delay_alu instid0(VALU_DEP_3) | instskip(SKIP_1) | instid1(VALU_DEP_4)
	v_mul_lo_u32 v38, v17, v23
	v_and_b32_e32 v23, 31, v34
	v_lshlrev_b64 v[6:7], 2, v[6:7]
	s_delay_alu instid0(VALU_DEP_4) | instskip(SKIP_1) | instid1(VALU_DEP_4)
	v_ashrrev_i32_e32 v17, 31, v16
	v_cmp_ge_i32_e64 s0, v16, v37
	v_lshlrev_b32_e32 v48, 2, v23
	v_ashrrev_i32_e32 v39, 31, v38
	v_cmpx_lt_i32_e64 v16, v37
	s_cbranch_execz .LBB454_777
; %bb.6:
	v_dual_mov_b32 v19, 0 :: v_dual_lshlrev_b32 v18, 4, v23
	s_getpc_b64 s[8:9]
	s_add_u32 s8, s8, llvm.amdgcn.dynlds.offset.table@rel32@lo+4
	s_addc_u32 s9, s9, llvm.amdgcn.dynlds.offset.table@rel32@hi+12
	s_ashr_i32 s11, s10, 31
	v_lshlrev_b64 v[20:21], 2, v[16:17]
	ds_load_b128 v[28:31], v19
	ds_load_b128 v[80:83], v19 offset:16
	ds_load_b128 v[96:99], v19 offset:32
	;; [unrolled: 1-line block ×3, first 2 shown]
	s_lshl_b64 s[18:19], s[10:11], 2
	ds_load_b128 v[160:163], v19 offset:96
	ds_load_b128 v[176:179], v19 offset:112
	s_add_u32 s8, s18, s8
	s_addc_u32 s9, s19, s9
	v_add_co_u32 v8, vcc_lo, v8, v38
	s_load_b32 s2, s[8:9], 0x0
	v_add_co_ci_u32_e32 v9, vcc_lo, v9, v39, vcc_lo
	s_delay_alu instid0(VALU_DEP_2) | instskip(SKIP_1) | instid1(VALU_DEP_1)
	v_add_co_u32 v8, vcc_lo, v8, v18
	v_add_co_u32 v18, s1, v6, v20
	v_add_co_ci_u32_e64 v21, s1, v7, v21, s1
	s_waitcnt lgkmcnt(0)
	v_lshlrev_b32_e32 v50, 16, v28
	v_dual_mov_b32 v182, v16 :: v_dual_and_b32 v51, 0xffff0000, v28
	v_lshlrev_b32_e32 v52, 16, v29
	v_and_b32_e32 v53, 0xffff0000, v29
	v_lshlrev_b32_e32 v54, 16, v30
	v_and_b32_e32 v55, 0xffff0000, v30
	;; [unrolled: 2-line block ×3, first 2 shown]
	ds_load_b128 v[28:31], v19 offset:64
	ds_load_b128 v[144:147], v19 offset:80
	v_lshlrev_b32_e32 v66, 16, v80
	v_and_b32_e32 v67, 0xffff0000, v80
	v_lshlrev_b32_e32 v68, 16, v81
	v_and_b32_e32 v69, 0xffff0000, v81
	;; [unrolled: 2-line block ×12, first 2 shown]
	s_waitcnt lgkmcnt(1)
	v_lshlrev_b32_e32 v114, 16, v28
	v_and_b32_e32 v115, 0xffff0000, v28
	v_lshlrev_b32_e32 v116, 16, v29
	v_and_b32_e32 v117, 0xffff0000, v29
	v_lshlrev_b32_e32 v28, 5, v36
	v_lshl_or_b32 v29, v36, 7, v48
	v_add_co_u32 v20, s1, v14, v18
	v_add_co_ci_u32_e32 v9, vcc_lo, 0, v9, vcc_lo
	v_lshlrev_b32_e32 v118, 16, v30
	v_and_b32_e32 v119, 0xffff0000, v30
	v_lshlrev_b32_e32 v128, 16, v31
	v_and_b32_e32 v129, 0xffff0000, v31
	s_waitcnt lgkmcnt(0)
	v_lshlrev_b32_e32 v130, 16, v144
	v_and_b32_e32 v131, 0xffff0000, v144
	v_lshlrev_b32_e32 v132, 16, v145
	v_and_b32_e32 v133, 0xffff0000, v145
	;; [unrolled: 2-line block ×8, first 2 shown]
	v_dual_mov_b32 v162, 0xff7fffff :: v_dual_lshlrev_b32 v163, 16, v176
	v_and_b32_e32 v164, 0xffff0000, v176
	v_lshlrev_b32_e32 v165, 16, v177
	v_and_b32_e32 v166, 0xffff0000, v177
	v_lshlrev_b32_e32 v167, 16, v178
	;; [unrolled: 2-line block ×3, first 2 shown]
	v_and_b32_e32 v178, 0xffff0000, v179
	v_cmp_neq_f32_e32 vcc_lo, 0, v49
	v_add_co_ci_u32_e64 v21, s1, v15, v21, s1
	v_sub_nc_u32_e32 v179, 1, v35
	v_add3_u32 v180, s17, v28, v23
	v_add_nc_u32_e32 v181, s2, v29
	s_mov_b32 s8, -1
	s_mov_b32 s9, 0xffffff
	s_mov_b32 s11, 0
	s_branch .LBB454_8
.LBB454_7:                              ;   in Loop: Header=BB454_8 Depth=1
	s_or_b32 exec_lo, exec_lo, s2
	v_and_b32_e32 v56, 0xffff0000, v56
	v_and_b32_e32 v137, 0xffff0000, v137
	;; [unrolled: 1-line block ×5, first 2 shown]
	v_dual_mul_f32 v56, v66, v56 :: v_dual_and_b32 v183, 0xffff0000, v183
	v_and_b32_e32 v40, 0xffff0000, v138
	v_and_b32_e32 v33, 0xffff0000, v33
	;; [unrolled: 1-line block ×4, first 2 shown]
	v_fmac_f32_e32 v56, v50, v183
	v_mul_f32_e32 v183, v69, v59
	v_and_b32_e32 v57, 0xffff0000, v57
	v_and_b32_e32 v28, 0xffff0000, v32
	;; [unrolled: 1-line block ×4, first 2 shown]
	s_delay_alu instid0(VALU_DEP_4) | instskip(SKIP_1) | instid1(VALU_DEP_4)
	v_dual_mul_f32 v57, v67, v57 :: v_dual_and_b32 v60, 0xffff0000, v60
	v_and_b32_e32 v32, 0xffff0000, v139
	v_mul_f32_e32 v58, v68, v58
	v_and_b32_e32 v142, 0xffff0000, v142
	v_and_b32_e32 v63, 0xffff0000, v63
	v_dual_fmac_f32 v57, v51, v41 :: v_dual_and_b32 v42, 0xffff0000, v42
	v_dual_mul_f32 v41, v70, v60 :: v_dual_and_b32 v138, 0xffff0000, v141
	v_and_b32_e32 v125, 0xffff0000, v125
	s_delay_alu instid0(VALU_DEP_4)
	v_dual_mul_f32 v60, v81, v63 :: v_dual_and_b32 v121, 0xffff0000, v121
	v_and_b32_e32 v44, 0xffff0000, v44
	v_dual_fmac_f32 v58, v52, v42 :: v_dual_and_b32 v47, 0xffff0000, v47
	v_and_b32_e32 v122, 0xffff0000, v122
	v_and_b32_e32 v109, 0xffff0000, v109
	;; [unrolled: 1-line block ×3, first 2 shown]
	v_fmac_f32_e32 v41, v54, v44
	v_and_b32_e32 v79, 0xffff0000, v79
	v_fmac_f32_e32 v60, v65, v47
	v_and_b32_e32 v43, 0xffff0000, v43
	v_and_b32_e32 v124, 0xffff0000, v124
	v_dual_fmac_f32 v56, v82, v72 :: v_dual_and_b32 v107, 0xffff0000, v107
	s_delay_alu instid0(VALU_DEP_4)
	v_dual_fmac_f32 v60, v97, v79 :: v_dual_and_b32 v93, 0xffff0000, v93
	v_and_b32_e32 v75, 0xffff0000, v75
	v_and_b32_e32 v74, 0xffff0000, v74
	v_and_b32_e32 v141, 0xffff0000, v153
	v_and_b32_e32 v46, 0xffff0000, v46
	v_mul_f32_e32 v59, v80, v62
	v_dual_fmac_f32 v183, v53, v43 :: v_dual_and_b32 v120, 0xffff0000, v120
	v_and_b32_e32 v108, 0xffff0000, v108
	v_dual_fmac_f32 v58, v84, v74 :: v_dual_and_b32 v105, 0xffff0000, v105
	s_delay_alu instid0(VALU_DEP_4) | instskip(NEXT) | instid1(VALU_DEP_4)
	v_dual_fmac_f32 v59, v64, v46 :: v_dual_and_b32 v88, 0xffff0000, v88
	v_dual_fmac_f32 v183, v85, v75 :: v_dual_and_b32 v78, 0xffff0000, v78
	v_and_b32_e32 v104, 0xffff0000, v104
	s_delay_alu instid0(VALU_DEP_3) | instskip(NEXT) | instid1(VALU_DEP_3)
	v_dual_fmac_f32 v56, v98, v88 :: v_dual_and_b32 v91, 0xffff0000, v91
	v_dual_fmac_f32 v59, v96, v78 :: v_dual_and_b32 v92, 0xffff0000, v92
	v_and_b32_e32 v76, 0xffff0000, v76
	v_and_b32_e32 v106, 0xffff0000, v106
	s_delay_alu instid0(VALU_DEP_4) | instskip(SKIP_1) | instid1(VALU_DEP_4)
	v_dual_fmac_f32 v56, v114, v104 :: v_dual_and_b32 v95, 0xffff0000, v95
	v_and_b32_e32 v73, 0xffff0000, v73
	v_fmac_f32_e32 v41, v86, v76
	v_dual_fmac_f32 v183, v101, v91 :: v_dual_and_b32 v90, 0xffff0000, v90
	s_delay_alu instid0(VALU_DEP_4) | instskip(NEXT) | instid1(VALU_DEP_4)
	v_fmac_f32_e32 v56, v130, v120
	v_dual_fmac_f32 v57, v83, v73 :: v_dual_and_b32 v126, 0xffff0000, v126
	s_delay_alu instid0(VALU_DEP_4) | instskip(NEXT) | instid1(VALU_DEP_4)
	v_fmac_f32_e32 v41, v102, v92
	v_dual_fmac_f32 v58, v100, v90 :: v_dual_and_b32 v89, 0xffff0000, v89
	v_and_b32_e32 v110, 0xffff0000, v110
	v_and_b32_e32 v77, 0xffff0000, v77
	s_delay_alu instid0(VALU_DEP_4) | instskip(NEXT) | instid1(VALU_DEP_4)
	v_fmac_f32_e32 v41, v118, v108
	v_dual_fmac_f32 v57, v99, v89 :: v_dual_fmac_f32 v58, v116, v106
	v_dual_fmac_f32 v60, v113, v95 :: v_dual_and_b32 v61, 0xffff0000, v61
	s_delay_alu instid0(VALU_DEP_3) | instskip(NEXT) | instid1(VALU_DEP_3)
	v_fmac_f32_e32 v41, v134, v124
	v_dual_fmac_f32 v57, v115, v105 :: v_dual_and_b32 v94, 0xffff0000, v94
	s_delay_alu instid0(VALU_DEP_3) | instskip(SKIP_1) | instid1(VALU_DEP_3)
	v_dual_mul_f32 v42, v71, v61 :: v_dual_and_b32 v123, 0xffff0000, v123
	v_fmac_f32_e32 v183, v117, v107
	v_fmac_f32_e32 v57, v131, v121
	s_delay_alu instid0(VALU_DEP_4) | instskip(SKIP_1) | instid1(VALU_DEP_3)
	v_dual_fmac_f32 v59, v112, v94 :: v_dual_fmac_f32 v56, v146, v136
	v_dual_fmac_f32 v41, v150, v29 :: v_dual_fmac_f32 v58, v132, v122
	v_fmac_f32_e32 v57, v147, v137
	s_delay_alu instid0(VALU_DEP_3)
	v_fmac_f32_e32 v59, v128, v110
	v_fmac_f32_e32 v183, v133, v123
	v_cmp_lt_i32_e64 s1, v180, v35
	v_fmac_f32_e32 v58, v148, v40
	v_fmac_f32_e32 v57, v164, v143
	;; [unrolled: 1-line block ×3, first 2 shown]
	v_dual_fmac_f32 v183, v149, v32 :: v_dual_and_b32 v140, 0xffff0000, v154
	v_add_nc_u32_e32 v182, 4, v182
	v_add_co_u32 v20, s2, v20, 16
	s_delay_alu instid0(VALU_DEP_4) | instskip(NEXT) | instid1(VALU_DEP_4)
	v_fmac_f32_e32 v59, v160, v33
	v_fmac_f32_e32 v41, v167, v140
	;; [unrolled: 1-line block ×3, first 2 shown]
	v_add_co_ci_u32_e64 v21, s2, 0, v21, s2
	s_delay_alu instid0(VALU_DEP_2) | instskip(SKIP_1) | instid1(VALU_DEP_1)
	v_add_f32_e32 v32, v56, v57
	v_and_b32_e32 v152, 0xffff0000, v152
	v_dual_fmac_f32 v58, v165, v152 :: v_dual_and_b32 v45, 0xffff0000, v45
	s_delay_alu instid0(VALU_DEP_1) | instskip(SKIP_1) | instid1(VALU_DEP_2)
	v_dual_fmac_f32 v42, v55, v45 :: v_dual_and_b32 v127, 0xffff0000, v127
	v_and_b32_e32 v111, 0xffff0000, v111
	v_dual_add_f32 v29, v32, v58 :: v_dual_fmac_f32 v42, v87, v77
	s_delay_alu instid0(VALU_DEP_2) | instskip(SKIP_1) | instid1(VALU_DEP_3)
	v_dual_fmac_f32 v60, v129, v111 :: v_dual_add_nc_u32 v139, v179, v180
	v_add_nc_u32_e32 v180, 0x80, v180
	v_fmac_f32_e32 v42, v103, v93
	s_delay_alu instid0(VALU_DEP_3) | instskip(NEXT) | instid1(VALU_DEP_2)
	v_fmac_f32_e32 v60, v145, v127
	v_fmac_f32_e32 v42, v119, v109
	s_delay_alu instid0(VALU_DEP_2) | instskip(NEXT) | instid1(VALU_DEP_2)
	v_fmac_f32_e32 v60, v161, v138
	v_dual_fmac_f32 v42, v135, v125 :: v_dual_and_b32 v31, 0xffff0000, v31
	s_delay_alu instid0(VALU_DEP_1) | instskip(NEXT) | instid1(VALU_DEP_1)
	v_fmac_f32_e32 v42, v151, v28
	v_dual_fmac_f32 v42, v176, v31 :: v_dual_fmac_f32 v183, v166, v141
	s_delay_alu instid0(VALU_DEP_1) | instskip(NEXT) | instid1(VALU_DEP_1)
	v_add_f32_e32 v28, v183, v29
	v_dual_add_f32 v28, v41, v28 :: v_dual_and_b32 v29, 0xffff0000, v30
	v_cvt_f32_i32_e32 v30, v139
	s_delay_alu instid0(VALU_DEP_2) | instskip(NEXT) | instid1(VALU_DEP_3)
	v_add_f32_e32 v28, v42, v28
	v_dual_fmac_f32 v59, v177, v29 :: v_dual_and_b32 v18, 0xffff0000, v18
	s_delay_alu instid0(VALU_DEP_3) | instskip(NEXT) | instid1(VALU_DEP_2)
	v_mul_f32_e32 v29, v49, v30
	v_fmac_f32_e32 v60, v178, v18
	s_delay_alu instid0(VALU_DEP_3) | instskip(NEXT) | instid1(VALU_DEP_3)
	v_add_f32_e32 v18, v59, v28
	v_cndmask_b32_e32 v28, 0, v29, vcc_lo
	s_delay_alu instid0(VALU_DEP_2) | instskip(NEXT) | instid1(VALU_DEP_1)
	v_add_f32_e32 v18, v60, v18
	v_fmac_f32_e32 v28, v18, v13
	v_max_f32_e32 v18, v162, v162
	s_delay_alu instid0(VALU_DEP_2) | instskip(NEXT) | instid1(VALU_DEP_2)
	v_cndmask_b32_e64 v29, 0, v28, s1
	v_max_f32_e32 v18, v18, v28
	ds_store_b32 v181, v29
	v_cndmask_b32_e64 v162, v162, v18, s1
	v_cmp_ge_i32_e64 s1, v182, v37
	v_add_nc_u32_e32 v181, 0x200, v181
	s_delay_alu instid0(VALU_DEP_2) | instskip(NEXT) | instid1(SALU_CYCLE_1)
	s_or_b32 s11, s1, s11
	s_and_not1_b32 exec_lo, exec_lo, s11
	s_cbranch_execz .LBB454_776
.LBB454_8:                              ; =>This Inner Loop Header: Depth=1
	flat_load_b32 v18, v[20:21]
	s_mov_b32 s2, exec_lo
	s_waitcnt vmcnt(0) lgkmcnt(0)
	v_mad_i64_i32 v[28:29], null, v18, v22, v[8:9]
	v_mov_b32_e32 v18, 0
	flat_load_b64 v[30:31], v[28:29]
	flat_load_b32 v40, v[24:25]
	s_waitcnt vmcnt(1) lgkmcnt(1)
	v_and_b32_e32 v32, 0xff, v30
	s_delay_alu instid0(VALU_DEP_1)
	v_cmpx_ne_u16_e32 0, v32
	s_cbranch_execz .LBB454_16
; %bb.9:                                ;   in Loop: Header=BB454_8 Depth=1
	v_bfrev_b32_e32 v18, 1
	s_mov_b32 s18, exec_lo
	v_cmpx_ne_u16_e32 0x80, v32
	s_cbranch_execz .LBB454_15
; %bb.10:                               ;   in Loop: Header=BB454_8 Depth=1
	v_and_b32_e32 v32, 0x7f, v30
	v_mov_b32_e32 v18, 0x7f800001
	s_mov_b32 s19, exec_lo
	s_delay_alu instid0(VALU_DEP_2)
	v_cmpx_ne_u32_e32 0x7f, v32
	s_cbranch_execz .LBB454_14
; %bb.11:                               ;   in Loop: Header=BB454_8 Depth=1
	v_lshrrev_b32_e32 v18, 3, v32
	v_cmp_gt_u32_e64 s1, 8, v32
	v_dual_mov_b32 v33, v31 :: v_dual_mov_b32 v32, v30
	s_delay_alu instid0(VALU_DEP_2)
	s_and_saveexec_b32 s20, s1
; %bb.12:                               ;   in Loop: Header=BB454_8 Depth=1
	v_and_b32_e32 v18, 7, v30
	s_delay_alu instid0(VALU_DEP_1) | instskip(NEXT) | instid1(VALU_DEP_1)
	v_clz_i32_u32_e32 v18, v18
	v_min_u32_e32 v18, 32, v18
	s_delay_alu instid0(VALU_DEP_1) | instskip(SKIP_1) | instid1(VALU_DEP_2)
	v_subrev_nc_u32_e32 v32, 28, v18
	v_sub_nc_u32_e32 v18, 29, v18
	v_lshlrev_b64 v[32:33], v32, v[30:31]
; %bb.13:                               ;   in Loop: Header=BB454_8 Depth=1
	s_or_b32 exec_lo, exec_lo, s20
	s_delay_alu instid0(VALU_DEP_1) | instskip(SKIP_2) | instid1(VALU_DEP_3)
	v_lshlrev_b32_e32 v32, 20, v32
	v_lshlrev_b32_e32 v33, 24, v30
	v_lshl_add_u32 v18, v18, 23, 0x3c000000
	v_and_b32_e32 v32, 0x700000, v32
	s_delay_alu instid0(VALU_DEP_3) | instskip(NEXT) | instid1(VALU_DEP_1)
	v_and_b32_e32 v33, 0x80000000, v33
	v_or3_b32 v18, v32, v33, v18
.LBB454_14:                             ;   in Loop: Header=BB454_8 Depth=1
	s_or_b32 exec_lo, exec_lo, s19
.LBB454_15:                             ;   in Loop: Header=BB454_8 Depth=1
	s_delay_alu instid0(SALU_CYCLE_1)
	s_or_b32 exec_lo, exec_lo, s18
.LBB454_16:                             ;   in Loop: Header=BB454_8 Depth=1
	s_delay_alu instid0(SALU_CYCLE_1) | instskip(SKIP_2) | instid1(VALU_DEP_1)
	s_or_b32 exec_lo, exec_lo, s2
	s_waitcnt vmcnt(0) lgkmcnt(0)
	v_mul_f32_e32 v18, v40, v18
                                        ; implicit-def: $vgpr183
	v_and_b32_e32 v32, 0x7f800000, v18
	s_delay_alu instid0(VALU_DEP_1) | instskip(NEXT) | instid1(VALU_DEP_1)
	v_cmp_ne_u32_e64 s1, 0x7f800000, v32
	s_and_saveexec_b32 s2, s1
	s_delay_alu instid0(SALU_CYCLE_1)
	s_xor_b32 s1, exec_lo, s2
; %bb.17:                               ;   in Loop: Header=BB454_8 Depth=1
	v_bfe_u32 v32, v18, 16, 1
	s_delay_alu instid0(VALU_DEP_1)
	v_add3_u32 v183, v18, v32, 0x7fff
                                        ; implicit-def: $vgpr18
; %bb.18:                               ;   in Loop: Header=BB454_8 Depth=1
	s_and_not1_saveexec_b32 s2, s1
; %bb.19:                               ;   in Loop: Header=BB454_8 Depth=1
	v_and_b32_e32 v32, 0xffff, v18
	v_or_b32_e32 v33, 0x10000, v18
	s_delay_alu instid0(VALU_DEP_2) | instskip(NEXT) | instid1(VALU_DEP_1)
	v_cmp_eq_u32_e64 s1, 0, v32
	v_cndmask_b32_e64 v183, v33, v18, s1
; %bb.20:                               ;   in Loop: Header=BB454_8 Depth=1
	s_or_b32 exec_lo, exec_lo, s2
	v_lshrrev_b16 v32, 8, v30
	v_mov_b32_e32 v18, 0
	s_mov_b32 s2, exec_lo
	s_delay_alu instid0(VALU_DEP_2)
	v_cmpx_ne_u16_e32 0, v32
	s_cbranch_execz .LBB454_28
; %bb.21:                               ;   in Loop: Header=BB454_8 Depth=1
	v_bfrev_b32_e32 v18, 1
	s_mov_b32 s18, exec_lo
	v_cmpx_ne_u16_e32 0x80, v32
	s_cbranch_execz .LBB454_27
; %bb.22:                               ;   in Loop: Header=BB454_8 Depth=1
	v_and_b32_e32 v32, 0xffff, v32
	v_mov_b32_e32 v18, 0x7f800001
	s_mov_b32 s19, exec_lo
	s_delay_alu instid0(VALU_DEP_2) | instskip(NEXT) | instid1(VALU_DEP_1)
	v_and_b32_e32 v33, 0x7f, v32
	v_cmpx_ne_u32_e32 0x7f, v33
	s_cbranch_execz .LBB454_26
; %bb.23:                               ;   in Loop: Header=BB454_8 Depth=1
	v_and_b32_e32 v18, 7, v32
	v_lshrrev_b32_e32 v32, 3, v33
	s_mov_b32 s20, exec_lo
	v_cmpx_gt_u32_e32 8, v33
; %bb.24:                               ;   in Loop: Header=BB454_8 Depth=1
	s_delay_alu instid0(VALU_DEP_3) | instskip(NEXT) | instid1(VALU_DEP_1)
	v_clz_i32_u32_e32 v32, v18
	v_min_u32_e32 v32, 32, v32
	s_delay_alu instid0(VALU_DEP_1) | instskip(SKIP_1) | instid1(VALU_DEP_2)
	v_subrev_nc_u32_e32 v33, 28, v32
	v_sub_nc_u32_e32 v32, 29, v32
	v_lshlrev_b64 v[41:42], v33, v[18:19]
	s_delay_alu instid0(VALU_DEP_1)
	v_and_b32_e32 v18, 7, v41
; %bb.25:                               ;   in Loop: Header=BB454_8 Depth=1
	s_or_b32 exec_lo, exec_lo, s20
	v_lshlrev_b32_e32 v33, 16, v30
	s_delay_alu instid0(VALU_DEP_2) | instskip(SKIP_1) | instid1(VALU_DEP_3)
	v_lshlrev_b32_e32 v18, 20, v18
	v_lshl_add_u32 v32, v32, 23, 0x3c000000
	v_and_b32_e32 v33, 0x80000000, v33
	s_delay_alu instid0(VALU_DEP_1)
	v_or3_b32 v18, v18, v33, v32
.LBB454_26:                             ;   in Loop: Header=BB454_8 Depth=1
	s_or_b32 exec_lo, exec_lo, s19
.LBB454_27:                             ;   in Loop: Header=BB454_8 Depth=1
	s_delay_alu instid0(SALU_CYCLE_1)
	s_or_b32 exec_lo, exec_lo, s18
.LBB454_28:                             ;   in Loop: Header=BB454_8 Depth=1
	s_delay_alu instid0(SALU_CYCLE_1) | instskip(NEXT) | instid1(VALU_DEP_1)
	s_or_b32 exec_lo, exec_lo, s2
	v_mul_f32_e32 v18, v40, v18
                                        ; implicit-def: $vgpr41
	s_delay_alu instid0(VALU_DEP_1) | instskip(NEXT) | instid1(VALU_DEP_1)
	v_and_b32_e32 v32, 0x7f800000, v18
	v_cmp_ne_u32_e64 s1, 0x7f800000, v32
	s_delay_alu instid0(VALU_DEP_1) | instskip(NEXT) | instid1(SALU_CYCLE_1)
	s_and_saveexec_b32 s2, s1
	s_xor_b32 s1, exec_lo, s2
; %bb.29:                               ;   in Loop: Header=BB454_8 Depth=1
	v_bfe_u32 v32, v18, 16, 1
	s_delay_alu instid0(VALU_DEP_1)
	v_add3_u32 v41, v18, v32, 0x7fff
                                        ; implicit-def: $vgpr18
; %bb.30:                               ;   in Loop: Header=BB454_8 Depth=1
	s_and_not1_saveexec_b32 s2, s1
; %bb.31:                               ;   in Loop: Header=BB454_8 Depth=1
	v_and_b32_e32 v32, 0xffff, v18
	v_or_b32_e32 v33, 0x10000, v18
	s_delay_alu instid0(VALU_DEP_2) | instskip(NEXT) | instid1(VALU_DEP_1)
	v_cmp_eq_u32_e64 s1, 0, v32
	v_cndmask_b32_e64 v41, v33, v18, s1
; %bb.32:                               ;   in Loop: Header=BB454_8 Depth=1
	s_or_b32 exec_lo, exec_lo, s2
	v_lshrrev_b32_e32 v32, 16, v30
	s_mov_b32 s2, exec_lo
	s_delay_alu instid0(VALU_DEP_1) | instskip(NEXT) | instid1(VALU_DEP_1)
	v_dual_mov_b32 v18, 0 :: v_dual_and_b32 v33, 0xff, v32
	v_cmpx_ne_u16_e32 0, v33
	s_cbranch_execz .LBB454_40
; %bb.33:                               ;   in Loop: Header=BB454_8 Depth=1
	v_bfrev_b32_e32 v18, 1
	s_mov_b32 s18, exec_lo
	v_cmpx_ne_u16_e32 0x80, v33
	s_cbranch_execz .LBB454_39
; %bb.34:                               ;   in Loop: Header=BB454_8 Depth=1
	v_bfe_u32 v42, v30, 16, 7
	v_mov_b32_e32 v18, 0x7f800001
	s_mov_b32 s19, exec_lo
	s_delay_alu instid0(VALU_DEP_2)
	v_cmpx_ne_u32_e32 0x7f, v42
	s_cbranch_execz .LBB454_38
; %bb.35:                               ;   in Loop: Header=BB454_8 Depth=1
	v_and_b32_e32 v18, 7, v32
	v_lshrrev_b32_e32 v33, 3, v42
	s_mov_b32 s20, exec_lo
	v_cmpx_gt_u32_e32 8, v42
; %bb.36:                               ;   in Loop: Header=BB454_8 Depth=1
	s_delay_alu instid0(VALU_DEP_3) | instskip(NEXT) | instid1(VALU_DEP_1)
	v_clz_i32_u32_e32 v33, v18
	v_min_u32_e32 v33, 32, v33
	s_delay_alu instid0(VALU_DEP_1) | instskip(SKIP_1) | instid1(VALU_DEP_2)
	v_subrev_nc_u32_e32 v42, 28, v33
	v_sub_nc_u32_e32 v33, 29, v33
	v_lshlrev_b64 v[42:43], v42, v[18:19]
	s_delay_alu instid0(VALU_DEP_1)
	v_and_b32_e32 v18, 7, v42
; %bb.37:                               ;   in Loop: Header=BB454_8 Depth=1
	s_or_b32 exec_lo, exec_lo, s20
	v_lshlrev_b32_e32 v32, 24, v32
	s_delay_alu instid0(VALU_DEP_2) | instskip(SKIP_1) | instid1(VALU_DEP_3)
	v_lshlrev_b32_e32 v18, 20, v18
	v_lshl_add_u32 v33, v33, 23, 0x3c000000
	v_and_b32_e32 v32, 0x80000000, v32
	s_delay_alu instid0(VALU_DEP_1)
	v_or3_b32 v18, v18, v32, v33
.LBB454_38:                             ;   in Loop: Header=BB454_8 Depth=1
	s_or_b32 exec_lo, exec_lo, s19
.LBB454_39:                             ;   in Loop: Header=BB454_8 Depth=1
	s_delay_alu instid0(SALU_CYCLE_1)
	s_or_b32 exec_lo, exec_lo, s18
.LBB454_40:                             ;   in Loop: Header=BB454_8 Depth=1
	s_delay_alu instid0(SALU_CYCLE_1) | instskip(NEXT) | instid1(VALU_DEP_1)
	s_or_b32 exec_lo, exec_lo, s2
	v_mul_f32_e32 v18, v40, v18
                                        ; implicit-def: $vgpr42
	s_delay_alu instid0(VALU_DEP_1) | instskip(NEXT) | instid1(VALU_DEP_1)
	v_and_b32_e32 v32, 0x7f800000, v18
	v_cmp_ne_u32_e64 s1, 0x7f800000, v32
	s_delay_alu instid0(VALU_DEP_1) | instskip(NEXT) | instid1(SALU_CYCLE_1)
	s_and_saveexec_b32 s2, s1
	s_xor_b32 s1, exec_lo, s2
; %bb.41:                               ;   in Loop: Header=BB454_8 Depth=1
	v_bfe_u32 v32, v18, 16, 1
	s_delay_alu instid0(VALU_DEP_1)
	v_add3_u32 v42, v18, v32, 0x7fff
                                        ; implicit-def: $vgpr18
; %bb.42:                               ;   in Loop: Header=BB454_8 Depth=1
	s_and_not1_saveexec_b32 s2, s1
; %bb.43:                               ;   in Loop: Header=BB454_8 Depth=1
	v_and_b32_e32 v32, 0xffff, v18
	v_or_b32_e32 v33, 0x10000, v18
	s_delay_alu instid0(VALU_DEP_2) | instskip(NEXT) | instid1(VALU_DEP_1)
	v_cmp_eq_u32_e64 s1, 0, v32
	v_cndmask_b32_e64 v42, v33, v18, s1
; %bb.44:                               ;   in Loop: Header=BB454_8 Depth=1
	s_or_b32 exec_lo, exec_lo, s2
	v_mov_b32_e32 v18, 0
	s_mov_b32 s2, exec_lo
	v_cmpx_lt_u32_e32 0xffffff, v30
	s_cbranch_execz .LBB454_52
; %bb.45:                               ;   in Loop: Header=BB454_8 Depth=1
	v_lshrrev_b32_e32 v32, 24, v30
	v_bfrev_b32_e32 v18, 1
	s_mov_b32 s18, exec_lo
	s_delay_alu instid0(VALU_DEP_2)
	v_cmpx_ne_u32_e32 0x80, v32
	s_cbranch_execz .LBB454_51
; %bb.46:                               ;   in Loop: Header=BB454_8 Depth=1
	v_bfe_u32 v43, v30, 24, 7
	v_mov_b32_e32 v18, 0x7f800001
	s_mov_b32 s19, exec_lo
	s_delay_alu instid0(VALU_DEP_2)
	v_cmpx_ne_u32_e32 0x7f, v43
	s_cbranch_execz .LBB454_50
; %bb.47:                               ;   in Loop: Header=BB454_8 Depth=1
	v_and_b32_e32 v18, 7, v32
	v_lshrrev_b32_e32 v33, 3, v43
	s_mov_b32 s20, exec_lo
	v_cmpx_gt_u32_e32 8, v43
; %bb.48:                               ;   in Loop: Header=BB454_8 Depth=1
	s_delay_alu instid0(VALU_DEP_3) | instskip(NEXT) | instid1(VALU_DEP_1)
	v_clz_i32_u32_e32 v33, v18
	v_min_u32_e32 v33, 32, v33
	s_delay_alu instid0(VALU_DEP_1) | instskip(SKIP_1) | instid1(VALU_DEP_2)
	v_subrev_nc_u32_e32 v43, 28, v33
	v_sub_nc_u32_e32 v33, 29, v33
	v_lshlrev_b64 v[43:44], v43, v[18:19]
	s_delay_alu instid0(VALU_DEP_1)
	v_and_b32_e32 v18, 7, v43
; %bb.49:                               ;   in Loop: Header=BB454_8 Depth=1
	s_or_b32 exec_lo, exec_lo, s20
	v_lshlrev_b32_e32 v32, 24, v32
	s_delay_alu instid0(VALU_DEP_2) | instskip(SKIP_1) | instid1(VALU_DEP_3)
	v_lshlrev_b32_e32 v18, 20, v18
	v_lshl_add_u32 v33, v33, 23, 0x3c000000
	v_and_b32_e32 v32, 0x80000000, v32
	s_delay_alu instid0(VALU_DEP_1)
	v_or3_b32 v18, v18, v32, v33
.LBB454_50:                             ;   in Loop: Header=BB454_8 Depth=1
	s_or_b32 exec_lo, exec_lo, s19
.LBB454_51:                             ;   in Loop: Header=BB454_8 Depth=1
	s_delay_alu instid0(SALU_CYCLE_1)
	s_or_b32 exec_lo, exec_lo, s18
.LBB454_52:                             ;   in Loop: Header=BB454_8 Depth=1
	s_delay_alu instid0(SALU_CYCLE_1) | instskip(NEXT) | instid1(VALU_DEP_1)
	s_or_b32 exec_lo, exec_lo, s2
	v_mul_f32_e32 v18, v40, v18
                                        ; implicit-def: $vgpr43
	s_delay_alu instid0(VALU_DEP_1) | instskip(NEXT) | instid1(VALU_DEP_1)
	v_and_b32_e32 v32, 0x7f800000, v18
	v_cmp_ne_u32_e64 s1, 0x7f800000, v32
	s_delay_alu instid0(VALU_DEP_1) | instskip(NEXT) | instid1(SALU_CYCLE_1)
	s_and_saveexec_b32 s2, s1
	s_xor_b32 s1, exec_lo, s2
; %bb.53:                               ;   in Loop: Header=BB454_8 Depth=1
	v_bfe_u32 v32, v18, 16, 1
	s_delay_alu instid0(VALU_DEP_1)
	v_add3_u32 v43, v18, v32, 0x7fff
                                        ; implicit-def: $vgpr18
; %bb.54:                               ;   in Loop: Header=BB454_8 Depth=1
	s_and_not1_saveexec_b32 s2, s1
; %bb.55:                               ;   in Loop: Header=BB454_8 Depth=1
	v_and_b32_e32 v32, 0xffff, v18
	v_or_b32_e32 v33, 0x10000, v18
	s_delay_alu instid0(VALU_DEP_2) | instskip(NEXT) | instid1(VALU_DEP_1)
	v_cmp_eq_u32_e64 s1, 0, v32
	v_cndmask_b32_e64 v43, v33, v18, s1
; %bb.56:                               ;   in Loop: Header=BB454_8 Depth=1
	s_or_b32 exec_lo, exec_lo, s2
	v_dual_mov_b32 v18, v31 :: v_dual_and_b32 v33, 0xff, v31
	v_mov_b32_e32 v32, 0
	s_mov_b32 s2, exec_lo
	s_delay_alu instid0(VALU_DEP_2)
	v_cmpx_ne_u16_e32 0, v33
	s_cbranch_execz .LBB454_64
; %bb.57:                               ;   in Loop: Header=BB454_8 Depth=1
	v_bfrev_b32_e32 v32, 1
	s_mov_b32 s18, exec_lo
	v_cmpx_ne_u16_e32 0x80, v33
	s_cbranch_execz .LBB454_63
; %bb.58:                               ;   in Loop: Header=BB454_8 Depth=1
	v_and_b32_e32 v33, 0x7f, v31
	v_mov_b32_e32 v32, 0x7f800001
	s_mov_b32 s19, exec_lo
	s_delay_alu instid0(VALU_DEP_2)
	v_cmpx_ne_u32_e32 0x7f, v33
	s_cbranch_execz .LBB454_62
; %bb.59:                               ;   in Loop: Header=BB454_8 Depth=1
	v_lshrrev_b32_e32 v44, 3, v33
	v_cmp_gt_u32_e64 s1, 8, v33
	v_dual_mov_b32 v33, v19 :: v_dual_mov_b32 v32, v18
	s_delay_alu instid0(VALU_DEP_2)
	s_and_saveexec_b32 s20, s1
; %bb.60:                               ;   in Loop: Header=BB454_8 Depth=1
	v_and_b32_e32 v32, 7, v31
	s_delay_alu instid0(VALU_DEP_1) | instskip(NEXT) | instid1(VALU_DEP_1)
	v_clz_i32_u32_e32 v32, v32
	v_min_u32_e32 v44, 32, v32
	s_delay_alu instid0(VALU_DEP_1) | instskip(SKIP_1) | instid1(VALU_DEP_2)
	v_subrev_nc_u32_e32 v32, 28, v44
	v_sub_nc_u32_e32 v44, 29, v44
	v_lshlrev_b64 v[32:33], v32, v[18:19]
; %bb.61:                               ;   in Loop: Header=BB454_8 Depth=1
	s_or_b32 exec_lo, exec_lo, s20
	s_delay_alu instid0(VALU_DEP_1) | instskip(SKIP_2) | instid1(VALU_DEP_3)
	v_lshlrev_b32_e32 v32, 20, v32
	v_lshlrev_b32_e32 v33, 24, v18
	v_lshl_add_u32 v44, v44, 23, 0x3c000000
	v_and_b32_e32 v32, 0x700000, v32
	s_delay_alu instid0(VALU_DEP_3) | instskip(NEXT) | instid1(VALU_DEP_1)
	v_and_b32_e32 v33, 0x80000000, v33
	v_or3_b32 v32, v32, v33, v44
.LBB454_62:                             ;   in Loop: Header=BB454_8 Depth=1
	s_or_b32 exec_lo, exec_lo, s19
.LBB454_63:                             ;   in Loop: Header=BB454_8 Depth=1
	s_delay_alu instid0(SALU_CYCLE_1)
	s_or_b32 exec_lo, exec_lo, s18
.LBB454_64:                             ;   in Loop: Header=BB454_8 Depth=1
	s_delay_alu instid0(SALU_CYCLE_1) | instskip(NEXT) | instid1(VALU_DEP_1)
	s_or_b32 exec_lo, exec_lo, s2
	v_mul_f32_e32 v32, v40, v32
                                        ; implicit-def: $vgpr44
	s_delay_alu instid0(VALU_DEP_1) | instskip(NEXT) | instid1(VALU_DEP_1)
	v_and_b32_e32 v33, 0x7f800000, v32
	v_cmp_ne_u32_e64 s1, 0x7f800000, v33
	s_delay_alu instid0(VALU_DEP_1) | instskip(NEXT) | instid1(SALU_CYCLE_1)
	s_and_saveexec_b32 s2, s1
	s_xor_b32 s1, exec_lo, s2
; %bb.65:                               ;   in Loop: Header=BB454_8 Depth=1
	v_bfe_u32 v33, v32, 16, 1
	s_delay_alu instid0(VALU_DEP_1)
	v_add3_u32 v44, v32, v33, 0x7fff
                                        ; implicit-def: $vgpr32
; %bb.66:                               ;   in Loop: Header=BB454_8 Depth=1
	s_and_not1_saveexec_b32 s2, s1
; %bb.67:                               ;   in Loop: Header=BB454_8 Depth=1
	v_and_b32_e32 v33, 0xffff, v32
	v_or_b32_e32 v44, 0x10000, v32
	s_delay_alu instid0(VALU_DEP_2) | instskip(NEXT) | instid1(VALU_DEP_1)
	v_cmp_eq_u32_e64 s1, 0, v33
	v_cndmask_b32_e64 v44, v44, v32, s1
; %bb.68:                               ;   in Loop: Header=BB454_8 Depth=1
	s_or_b32 exec_lo, exec_lo, s2
	v_lshrrev_b16 v33, 8, v18
	v_mov_b32_e32 v32, 0
	s_mov_b32 s2, exec_lo
	s_delay_alu instid0(VALU_DEP_2)
	v_cmpx_ne_u16_e32 0, v33
	s_cbranch_execz .LBB454_76
; %bb.69:                               ;   in Loop: Header=BB454_8 Depth=1
	v_bfrev_b32_e32 v32, 1
	s_mov_b32 s18, exec_lo
	v_cmpx_ne_u16_e32 0x80, v33
	s_cbranch_execz .LBB454_75
; %bb.70:                               ;   in Loop: Header=BB454_8 Depth=1
	v_and_b32_e32 v33, 0xffff, v33
	v_mov_b32_e32 v32, 0x7f800001
	s_mov_b32 s19, exec_lo
	s_delay_alu instid0(VALU_DEP_2) | instskip(NEXT) | instid1(VALU_DEP_1)
	v_and_b32_e32 v46, 0x7f, v33
	v_cmpx_ne_u32_e32 0x7f, v46
	s_cbranch_execz .LBB454_74
; %bb.71:                               ;   in Loop: Header=BB454_8 Depth=1
	v_dual_mov_b32 v33, v19 :: v_dual_and_b32 v32, 7, v33
	v_lshrrev_b32_e32 v45, 3, v46
	s_mov_b32 s20, exec_lo
	v_cmpx_gt_u32_e32 8, v46
; %bb.72:                               ;   in Loop: Header=BB454_8 Depth=1
	s_delay_alu instid0(VALU_DEP_3) | instskip(NEXT) | instid1(VALU_DEP_1)
	v_clz_i32_u32_e32 v45, v32
	v_min_u32_e32 v45, 32, v45
	s_delay_alu instid0(VALU_DEP_1) | instskip(SKIP_1) | instid1(VALU_DEP_2)
	v_subrev_nc_u32_e32 v46, 28, v45
	v_sub_nc_u32_e32 v45, 29, v45
	v_lshlrev_b64 v[32:33], v46, v[32:33]
	s_delay_alu instid0(VALU_DEP_1)
	v_and_b32_e32 v32, 7, v32
; %bb.73:                               ;   in Loop: Header=BB454_8 Depth=1
	s_or_b32 exec_lo, exec_lo, s20
	v_lshlrev_b32_e32 v18, 16, v18
	s_delay_alu instid0(VALU_DEP_2) | instskip(SKIP_1) | instid1(VALU_DEP_3)
	v_lshlrev_b32_e32 v32, 20, v32
	v_lshl_add_u32 v33, v45, 23, 0x3c000000
	v_and_b32_e32 v18, 0x80000000, v18
	s_delay_alu instid0(VALU_DEP_1)
	v_or3_b32 v32, v32, v18, v33
.LBB454_74:                             ;   in Loop: Header=BB454_8 Depth=1
	s_or_b32 exec_lo, exec_lo, s19
.LBB454_75:                             ;   in Loop: Header=BB454_8 Depth=1
	s_delay_alu instid0(SALU_CYCLE_1)
	s_or_b32 exec_lo, exec_lo, s18
.LBB454_76:                             ;   in Loop: Header=BB454_8 Depth=1
	s_delay_alu instid0(SALU_CYCLE_1) | instskip(NEXT) | instid1(VALU_DEP_1)
	s_or_b32 exec_lo, exec_lo, s2
	v_mul_f32_e32 v18, v40, v32
                                        ; implicit-def: $vgpr45
	s_delay_alu instid0(VALU_DEP_1) | instskip(NEXT) | instid1(VALU_DEP_1)
	v_and_b32_e32 v32, 0x7f800000, v18
	v_cmp_ne_u32_e64 s1, 0x7f800000, v32
	s_delay_alu instid0(VALU_DEP_1) | instskip(NEXT) | instid1(SALU_CYCLE_1)
	s_and_saveexec_b32 s2, s1
	s_xor_b32 s1, exec_lo, s2
; %bb.77:                               ;   in Loop: Header=BB454_8 Depth=1
	v_bfe_u32 v32, v18, 16, 1
	s_delay_alu instid0(VALU_DEP_1)
	v_add3_u32 v45, v18, v32, 0x7fff
                                        ; implicit-def: $vgpr18
; %bb.78:                               ;   in Loop: Header=BB454_8 Depth=1
	s_and_not1_saveexec_b32 s2, s1
; %bb.79:                               ;   in Loop: Header=BB454_8 Depth=1
	v_and_b32_e32 v32, 0xffff, v18
	v_or_b32_e32 v33, 0x10000, v18
	s_delay_alu instid0(VALU_DEP_2) | instskip(NEXT) | instid1(VALU_DEP_1)
	v_cmp_eq_u32_e64 s1, 0, v32
	v_cndmask_b32_e64 v45, v33, v18, s1
; %bb.80:                               ;   in Loop: Header=BB454_8 Depth=1
	s_or_b32 exec_lo, exec_lo, s2
	v_lshrrev_b32_e32 v32, 16, v31
	s_mov_b32 s2, exec_lo
	s_delay_alu instid0(VALU_DEP_1) | instskip(NEXT) | instid1(VALU_DEP_1)
	v_dual_mov_b32 v18, 0 :: v_dual_and_b32 v33, 0xff, v32
	v_cmpx_ne_u16_e32 0, v33
	s_cbranch_execz .LBB454_88
; %bb.81:                               ;   in Loop: Header=BB454_8 Depth=1
	v_bfrev_b32_e32 v18, 1
	s_mov_b32 s18, exec_lo
	v_cmpx_ne_u16_e32 0x80, v33
	s_cbranch_execz .LBB454_87
; %bb.82:                               ;   in Loop: Header=BB454_8 Depth=1
	v_bfe_u32 v46, v31, 16, 7
	v_mov_b32_e32 v18, 0x7f800001
	s_mov_b32 s19, exec_lo
	s_delay_alu instid0(VALU_DEP_2)
	v_cmpx_ne_u32_e32 0x7f, v46
	s_cbranch_execz .LBB454_86
; %bb.83:                               ;   in Loop: Header=BB454_8 Depth=1
	v_and_b32_e32 v18, 7, v32
	v_lshrrev_b32_e32 v33, 3, v46
	s_mov_b32 s20, exec_lo
	v_cmpx_gt_u32_e32 8, v46
; %bb.84:                               ;   in Loop: Header=BB454_8 Depth=1
	s_delay_alu instid0(VALU_DEP_3) | instskip(NEXT) | instid1(VALU_DEP_1)
	v_clz_i32_u32_e32 v33, v18
	v_min_u32_e32 v33, 32, v33
	s_delay_alu instid0(VALU_DEP_1) | instskip(SKIP_1) | instid1(VALU_DEP_2)
	v_subrev_nc_u32_e32 v46, 28, v33
	v_sub_nc_u32_e32 v33, 29, v33
	v_lshlrev_b64 v[46:47], v46, v[18:19]
	s_delay_alu instid0(VALU_DEP_1)
	v_and_b32_e32 v18, 7, v46
; %bb.85:                               ;   in Loop: Header=BB454_8 Depth=1
	s_or_b32 exec_lo, exec_lo, s20
	v_lshlrev_b32_e32 v32, 24, v32
	s_delay_alu instid0(VALU_DEP_2) | instskip(SKIP_1) | instid1(VALU_DEP_3)
	v_lshlrev_b32_e32 v18, 20, v18
	v_lshl_add_u32 v33, v33, 23, 0x3c000000
	v_and_b32_e32 v32, 0x80000000, v32
	s_delay_alu instid0(VALU_DEP_1)
	v_or3_b32 v18, v18, v32, v33
.LBB454_86:                             ;   in Loop: Header=BB454_8 Depth=1
	s_or_b32 exec_lo, exec_lo, s19
.LBB454_87:                             ;   in Loop: Header=BB454_8 Depth=1
	s_delay_alu instid0(SALU_CYCLE_1)
	s_or_b32 exec_lo, exec_lo, s18
.LBB454_88:                             ;   in Loop: Header=BB454_8 Depth=1
	s_delay_alu instid0(SALU_CYCLE_1) | instskip(NEXT) | instid1(VALU_DEP_1)
	s_or_b32 exec_lo, exec_lo, s2
	v_mul_f32_e32 v18, v40, v18
                                        ; implicit-def: $vgpr46
	s_delay_alu instid0(VALU_DEP_1) | instskip(NEXT) | instid1(VALU_DEP_1)
	v_and_b32_e32 v32, 0x7f800000, v18
	v_cmp_ne_u32_e64 s1, 0x7f800000, v32
	s_delay_alu instid0(VALU_DEP_1) | instskip(NEXT) | instid1(SALU_CYCLE_1)
	s_and_saveexec_b32 s2, s1
	s_xor_b32 s1, exec_lo, s2
; %bb.89:                               ;   in Loop: Header=BB454_8 Depth=1
	v_bfe_u32 v32, v18, 16, 1
	s_delay_alu instid0(VALU_DEP_1)
	v_add3_u32 v46, v18, v32, 0x7fff
                                        ; implicit-def: $vgpr18
; %bb.90:                               ;   in Loop: Header=BB454_8 Depth=1
	s_and_not1_saveexec_b32 s2, s1
; %bb.91:                               ;   in Loop: Header=BB454_8 Depth=1
	v_and_b32_e32 v32, 0xffff, v18
	v_or_b32_e32 v33, 0x10000, v18
	s_delay_alu instid0(VALU_DEP_2) | instskip(NEXT) | instid1(VALU_DEP_1)
	v_cmp_eq_u32_e64 s1, 0, v32
	v_cndmask_b32_e64 v46, v33, v18, s1
; %bb.92:                               ;   in Loop: Header=BB454_8 Depth=1
	s_or_b32 exec_lo, exec_lo, s2
	v_mov_b32_e32 v18, 0
	s_mov_b32 s2, exec_lo
	v_cmpx_lt_u64_e64 s[8:9], v[30:31]
	s_cbranch_execz .LBB454_100
; %bb.93:                               ;   in Loop: Header=BB454_8 Depth=1
	v_lshrrev_b32_e32 v30, 24, v31
	v_bfrev_b32_e32 v18, 1
	s_mov_b32 s18, exec_lo
	s_delay_alu instid0(VALU_DEP_2)
	v_cmpx_ne_u32_e32 0x80, v30
	s_cbranch_execz .LBB454_99
; %bb.94:                               ;   in Loop: Header=BB454_8 Depth=1
	v_bfe_u32 v32, v31, 24, 7
	v_mov_b32_e32 v18, 0x7f800001
	s_mov_b32 s19, exec_lo
	s_delay_alu instid0(VALU_DEP_2)
	v_cmpx_ne_u32_e32 0x7f, v32
	s_cbranch_execz .LBB454_98
; %bb.95:                               ;   in Loop: Header=BB454_8 Depth=1
	v_and_b32_e32 v18, 7, v30
	v_lshrrev_b32_e32 v31, 3, v32
	s_mov_b32 s20, exec_lo
	v_cmpx_gt_u32_e32 8, v32
; %bb.96:                               ;   in Loop: Header=BB454_8 Depth=1
	s_delay_alu instid0(VALU_DEP_3) | instskip(NEXT) | instid1(VALU_DEP_1)
	v_clz_i32_u32_e32 v31, v18
	v_min_u32_e32 v31, 32, v31
	s_delay_alu instid0(VALU_DEP_1) | instskip(SKIP_1) | instid1(VALU_DEP_2)
	v_subrev_nc_u32_e32 v32, 28, v31
	v_sub_nc_u32_e32 v31, 29, v31
	v_lshlrev_b64 v[32:33], v32, v[18:19]
	s_delay_alu instid0(VALU_DEP_1)
	v_and_b32_e32 v18, 7, v32
; %bb.97:                               ;   in Loop: Header=BB454_8 Depth=1
	s_or_b32 exec_lo, exec_lo, s20
	v_lshlrev_b32_e32 v30, 24, v30
	s_delay_alu instid0(VALU_DEP_2) | instskip(SKIP_1) | instid1(VALU_DEP_3)
	v_lshlrev_b32_e32 v18, 20, v18
	v_lshl_add_u32 v31, v31, 23, 0x3c000000
	v_and_b32_e32 v30, 0x80000000, v30
	s_delay_alu instid0(VALU_DEP_1)
	v_or3_b32 v18, v18, v30, v31
.LBB454_98:                             ;   in Loop: Header=BB454_8 Depth=1
	s_or_b32 exec_lo, exec_lo, s19
.LBB454_99:                             ;   in Loop: Header=BB454_8 Depth=1
	s_delay_alu instid0(SALU_CYCLE_1)
	s_or_b32 exec_lo, exec_lo, s18
.LBB454_100:                            ;   in Loop: Header=BB454_8 Depth=1
	s_delay_alu instid0(SALU_CYCLE_1) | instskip(NEXT) | instid1(VALU_DEP_1)
	s_or_b32 exec_lo, exec_lo, s2
	v_mul_f32_e32 v18, v40, v18
                                        ; implicit-def: $vgpr47
	s_delay_alu instid0(VALU_DEP_1) | instskip(NEXT) | instid1(VALU_DEP_1)
	v_and_b32_e32 v30, 0x7f800000, v18
	v_cmp_ne_u32_e64 s1, 0x7f800000, v30
	s_delay_alu instid0(VALU_DEP_1) | instskip(NEXT) | instid1(SALU_CYCLE_1)
	s_and_saveexec_b32 s2, s1
	s_xor_b32 s1, exec_lo, s2
; %bb.101:                              ;   in Loop: Header=BB454_8 Depth=1
	v_bfe_u32 v30, v18, 16, 1
	s_delay_alu instid0(VALU_DEP_1)
	v_add3_u32 v47, v18, v30, 0x7fff
                                        ; implicit-def: $vgpr18
; %bb.102:                              ;   in Loop: Header=BB454_8 Depth=1
	s_and_not1_saveexec_b32 s2, s1
; %bb.103:                              ;   in Loop: Header=BB454_8 Depth=1
	v_and_b32_e32 v30, 0xffff, v18
	v_or_b32_e32 v31, 0x10000, v18
	s_delay_alu instid0(VALU_DEP_2) | instskip(NEXT) | instid1(VALU_DEP_1)
	v_cmp_eq_u32_e64 s1, 0, v30
	v_cndmask_b32_e64 v47, v31, v18, s1
; %bb.104:                              ;   in Loop: Header=BB454_8 Depth=1
	s_or_b32 exec_lo, exec_lo, s2
	flat_load_b64 v[30:31], v[28:29] offset:8
	v_mov_b32_e32 v18, 0
	s_mov_b32 s2, exec_lo
	s_waitcnt vmcnt(0) lgkmcnt(0)
	v_and_b32_e32 v32, 0xff, v30
	s_delay_alu instid0(VALU_DEP_1)
	v_cmpx_ne_u16_e32 0, v32
	s_cbranch_execz .LBB454_112
; %bb.105:                              ;   in Loop: Header=BB454_8 Depth=1
	v_bfrev_b32_e32 v18, 1
	s_mov_b32 s18, exec_lo
	v_cmpx_ne_u16_e32 0x80, v32
	s_cbranch_execz .LBB454_111
; %bb.106:                              ;   in Loop: Header=BB454_8 Depth=1
	v_and_b32_e32 v32, 0x7f, v30
	v_mov_b32_e32 v18, 0x7f800001
	s_mov_b32 s19, exec_lo
	s_delay_alu instid0(VALU_DEP_2)
	v_cmpx_ne_u32_e32 0x7f, v32
	s_cbranch_execz .LBB454_110
; %bb.107:                              ;   in Loop: Header=BB454_8 Depth=1
	v_lshrrev_b32_e32 v18, 3, v32
	v_cmp_gt_u32_e64 s1, 8, v32
	v_dual_mov_b32 v33, v31 :: v_dual_mov_b32 v32, v30
	s_delay_alu instid0(VALU_DEP_2)
	s_and_saveexec_b32 s20, s1
; %bb.108:                              ;   in Loop: Header=BB454_8 Depth=1
	v_and_b32_e32 v18, 7, v30
	s_delay_alu instid0(VALU_DEP_1) | instskip(NEXT) | instid1(VALU_DEP_1)
	v_clz_i32_u32_e32 v18, v18
	v_min_u32_e32 v18, 32, v18
	s_delay_alu instid0(VALU_DEP_1) | instskip(SKIP_1) | instid1(VALU_DEP_2)
	v_subrev_nc_u32_e32 v32, 28, v18
	v_sub_nc_u32_e32 v18, 29, v18
	v_lshlrev_b64 v[32:33], v32, v[30:31]
; %bb.109:                              ;   in Loop: Header=BB454_8 Depth=1
	s_or_b32 exec_lo, exec_lo, s20
	s_delay_alu instid0(VALU_DEP_1) | instskip(SKIP_2) | instid1(VALU_DEP_3)
	v_lshlrev_b32_e32 v32, 20, v32
	v_lshlrev_b32_e32 v33, 24, v30
	v_lshl_add_u32 v18, v18, 23, 0x3c000000
	v_and_b32_e32 v32, 0x700000, v32
	s_delay_alu instid0(VALU_DEP_3) | instskip(NEXT) | instid1(VALU_DEP_1)
	v_and_b32_e32 v33, 0x80000000, v33
	v_or3_b32 v18, v32, v33, v18
.LBB454_110:                            ;   in Loop: Header=BB454_8 Depth=1
	s_or_b32 exec_lo, exec_lo, s19
.LBB454_111:                            ;   in Loop: Header=BB454_8 Depth=1
	s_delay_alu instid0(SALU_CYCLE_1)
	s_or_b32 exec_lo, exec_lo, s18
.LBB454_112:                            ;   in Loop: Header=BB454_8 Depth=1
	s_delay_alu instid0(SALU_CYCLE_1) | instskip(NEXT) | instid1(VALU_DEP_1)
	s_or_b32 exec_lo, exec_lo, s2
	v_mul_f32_e32 v18, v40, v18
                                        ; implicit-def: $vgpr56
	s_delay_alu instid0(VALU_DEP_1) | instskip(NEXT) | instid1(VALU_DEP_1)
	v_and_b32_e32 v32, 0x7f800000, v18
	v_cmp_ne_u32_e64 s1, 0x7f800000, v32
	s_delay_alu instid0(VALU_DEP_1) | instskip(NEXT) | instid1(SALU_CYCLE_1)
	s_and_saveexec_b32 s2, s1
	s_xor_b32 s1, exec_lo, s2
; %bb.113:                              ;   in Loop: Header=BB454_8 Depth=1
	v_bfe_u32 v32, v18, 16, 1
	s_delay_alu instid0(VALU_DEP_1)
	v_add3_u32 v56, v18, v32, 0x7fff
                                        ; implicit-def: $vgpr18
; %bb.114:                              ;   in Loop: Header=BB454_8 Depth=1
	s_and_not1_saveexec_b32 s2, s1
; %bb.115:                              ;   in Loop: Header=BB454_8 Depth=1
	v_and_b32_e32 v32, 0xffff, v18
	v_or_b32_e32 v33, 0x10000, v18
	s_delay_alu instid0(VALU_DEP_2) | instskip(NEXT) | instid1(VALU_DEP_1)
	v_cmp_eq_u32_e64 s1, 0, v32
	v_cndmask_b32_e64 v56, v33, v18, s1
; %bb.116:                              ;   in Loop: Header=BB454_8 Depth=1
	s_or_b32 exec_lo, exec_lo, s2
	v_lshrrev_b16 v32, 8, v30
	v_mov_b32_e32 v18, 0
	s_mov_b32 s2, exec_lo
	s_delay_alu instid0(VALU_DEP_2)
	v_cmpx_ne_u16_e32 0, v32
	s_cbranch_execz .LBB454_124
; %bb.117:                              ;   in Loop: Header=BB454_8 Depth=1
	v_bfrev_b32_e32 v18, 1
	s_mov_b32 s18, exec_lo
	v_cmpx_ne_u16_e32 0x80, v32
	s_cbranch_execz .LBB454_123
; %bb.118:                              ;   in Loop: Header=BB454_8 Depth=1
	v_and_b32_e32 v32, 0xffff, v32
	v_mov_b32_e32 v18, 0x7f800001
	s_mov_b32 s19, exec_lo
	s_delay_alu instid0(VALU_DEP_2) | instskip(NEXT) | instid1(VALU_DEP_1)
	v_and_b32_e32 v33, 0x7f, v32
	v_cmpx_ne_u32_e32 0x7f, v33
	s_cbranch_execz .LBB454_122
; %bb.119:                              ;   in Loop: Header=BB454_8 Depth=1
	v_and_b32_e32 v18, 7, v32
	v_lshrrev_b32_e32 v32, 3, v33
	s_mov_b32 s20, exec_lo
	v_cmpx_gt_u32_e32 8, v33
; %bb.120:                              ;   in Loop: Header=BB454_8 Depth=1
	s_delay_alu instid0(VALU_DEP_3) | instskip(NEXT) | instid1(VALU_DEP_1)
	v_clz_i32_u32_e32 v32, v18
	v_min_u32_e32 v32, 32, v32
	s_delay_alu instid0(VALU_DEP_1) | instskip(SKIP_1) | instid1(VALU_DEP_2)
	v_subrev_nc_u32_e32 v33, 28, v32
	v_sub_nc_u32_e32 v32, 29, v32
	v_lshlrev_b64 v[57:58], v33, v[18:19]
	s_delay_alu instid0(VALU_DEP_1)
	v_and_b32_e32 v18, 7, v57
; %bb.121:                              ;   in Loop: Header=BB454_8 Depth=1
	s_or_b32 exec_lo, exec_lo, s20
	v_lshlrev_b32_e32 v33, 16, v30
	s_delay_alu instid0(VALU_DEP_2) | instskip(SKIP_1) | instid1(VALU_DEP_3)
	v_lshlrev_b32_e32 v18, 20, v18
	v_lshl_add_u32 v32, v32, 23, 0x3c000000
	v_and_b32_e32 v33, 0x80000000, v33
	s_delay_alu instid0(VALU_DEP_1)
	v_or3_b32 v18, v18, v33, v32
.LBB454_122:                            ;   in Loop: Header=BB454_8 Depth=1
	s_or_b32 exec_lo, exec_lo, s19
.LBB454_123:                            ;   in Loop: Header=BB454_8 Depth=1
	s_delay_alu instid0(SALU_CYCLE_1)
	s_or_b32 exec_lo, exec_lo, s18
.LBB454_124:                            ;   in Loop: Header=BB454_8 Depth=1
	s_delay_alu instid0(SALU_CYCLE_1) | instskip(NEXT) | instid1(VALU_DEP_1)
	s_or_b32 exec_lo, exec_lo, s2
	v_mul_f32_e32 v18, v40, v18
                                        ; implicit-def: $vgpr57
	s_delay_alu instid0(VALU_DEP_1) | instskip(NEXT) | instid1(VALU_DEP_1)
	v_and_b32_e32 v32, 0x7f800000, v18
	v_cmp_ne_u32_e64 s1, 0x7f800000, v32
	s_delay_alu instid0(VALU_DEP_1) | instskip(NEXT) | instid1(SALU_CYCLE_1)
	s_and_saveexec_b32 s2, s1
	s_xor_b32 s1, exec_lo, s2
; %bb.125:                              ;   in Loop: Header=BB454_8 Depth=1
	v_bfe_u32 v32, v18, 16, 1
	s_delay_alu instid0(VALU_DEP_1)
	v_add3_u32 v57, v18, v32, 0x7fff
                                        ; implicit-def: $vgpr18
; %bb.126:                              ;   in Loop: Header=BB454_8 Depth=1
	s_and_not1_saveexec_b32 s2, s1
; %bb.127:                              ;   in Loop: Header=BB454_8 Depth=1
	v_and_b32_e32 v32, 0xffff, v18
	v_or_b32_e32 v33, 0x10000, v18
	s_delay_alu instid0(VALU_DEP_2) | instskip(NEXT) | instid1(VALU_DEP_1)
	v_cmp_eq_u32_e64 s1, 0, v32
	v_cndmask_b32_e64 v57, v33, v18, s1
; %bb.128:                              ;   in Loop: Header=BB454_8 Depth=1
	s_or_b32 exec_lo, exec_lo, s2
	v_lshrrev_b32_e32 v32, 16, v30
	s_mov_b32 s2, exec_lo
	s_delay_alu instid0(VALU_DEP_1) | instskip(NEXT) | instid1(VALU_DEP_1)
	v_dual_mov_b32 v18, 0 :: v_dual_and_b32 v33, 0xff, v32
	v_cmpx_ne_u16_e32 0, v33
	s_cbranch_execz .LBB454_136
; %bb.129:                              ;   in Loop: Header=BB454_8 Depth=1
	v_bfrev_b32_e32 v18, 1
	s_mov_b32 s18, exec_lo
	v_cmpx_ne_u16_e32 0x80, v33
	s_cbranch_execz .LBB454_135
; %bb.130:                              ;   in Loop: Header=BB454_8 Depth=1
	v_bfe_u32 v58, v30, 16, 7
	v_mov_b32_e32 v18, 0x7f800001
	s_mov_b32 s19, exec_lo
	s_delay_alu instid0(VALU_DEP_2)
	v_cmpx_ne_u32_e32 0x7f, v58
	s_cbranch_execz .LBB454_134
; %bb.131:                              ;   in Loop: Header=BB454_8 Depth=1
	v_and_b32_e32 v18, 7, v32
	v_lshrrev_b32_e32 v33, 3, v58
	s_mov_b32 s20, exec_lo
	v_cmpx_gt_u32_e32 8, v58
; %bb.132:                              ;   in Loop: Header=BB454_8 Depth=1
	s_delay_alu instid0(VALU_DEP_3) | instskip(NEXT) | instid1(VALU_DEP_1)
	v_clz_i32_u32_e32 v33, v18
	v_min_u32_e32 v33, 32, v33
	s_delay_alu instid0(VALU_DEP_1) | instskip(SKIP_1) | instid1(VALU_DEP_2)
	v_subrev_nc_u32_e32 v58, 28, v33
	v_sub_nc_u32_e32 v33, 29, v33
	v_lshlrev_b64 v[58:59], v58, v[18:19]
	s_delay_alu instid0(VALU_DEP_1)
	v_and_b32_e32 v18, 7, v58
; %bb.133:                              ;   in Loop: Header=BB454_8 Depth=1
	s_or_b32 exec_lo, exec_lo, s20
	v_lshlrev_b32_e32 v32, 24, v32
	s_delay_alu instid0(VALU_DEP_2) | instskip(SKIP_1) | instid1(VALU_DEP_3)
	v_lshlrev_b32_e32 v18, 20, v18
	v_lshl_add_u32 v33, v33, 23, 0x3c000000
	v_and_b32_e32 v32, 0x80000000, v32
	s_delay_alu instid0(VALU_DEP_1)
	v_or3_b32 v18, v18, v32, v33
.LBB454_134:                            ;   in Loop: Header=BB454_8 Depth=1
	s_or_b32 exec_lo, exec_lo, s19
.LBB454_135:                            ;   in Loop: Header=BB454_8 Depth=1
	s_delay_alu instid0(SALU_CYCLE_1)
	s_or_b32 exec_lo, exec_lo, s18
.LBB454_136:                            ;   in Loop: Header=BB454_8 Depth=1
	s_delay_alu instid0(SALU_CYCLE_1) | instskip(NEXT) | instid1(VALU_DEP_1)
	s_or_b32 exec_lo, exec_lo, s2
	v_mul_f32_e32 v18, v40, v18
                                        ; implicit-def: $vgpr58
	s_delay_alu instid0(VALU_DEP_1) | instskip(NEXT) | instid1(VALU_DEP_1)
	v_and_b32_e32 v32, 0x7f800000, v18
	v_cmp_ne_u32_e64 s1, 0x7f800000, v32
	s_delay_alu instid0(VALU_DEP_1) | instskip(NEXT) | instid1(SALU_CYCLE_1)
	s_and_saveexec_b32 s2, s1
	s_xor_b32 s1, exec_lo, s2
; %bb.137:                              ;   in Loop: Header=BB454_8 Depth=1
	v_bfe_u32 v32, v18, 16, 1
	s_delay_alu instid0(VALU_DEP_1)
	v_add3_u32 v58, v18, v32, 0x7fff
                                        ; implicit-def: $vgpr18
; %bb.138:                              ;   in Loop: Header=BB454_8 Depth=1
	s_and_not1_saveexec_b32 s2, s1
; %bb.139:                              ;   in Loop: Header=BB454_8 Depth=1
	v_and_b32_e32 v32, 0xffff, v18
	v_or_b32_e32 v33, 0x10000, v18
	s_delay_alu instid0(VALU_DEP_2) | instskip(NEXT) | instid1(VALU_DEP_1)
	v_cmp_eq_u32_e64 s1, 0, v32
	v_cndmask_b32_e64 v58, v33, v18, s1
; %bb.140:                              ;   in Loop: Header=BB454_8 Depth=1
	s_or_b32 exec_lo, exec_lo, s2
	v_mov_b32_e32 v18, 0
	s_mov_b32 s2, exec_lo
	v_cmpx_lt_u32_e32 0xffffff, v30
	s_cbranch_execz .LBB454_148
; %bb.141:                              ;   in Loop: Header=BB454_8 Depth=1
	v_lshrrev_b32_e32 v32, 24, v30
	v_bfrev_b32_e32 v18, 1
	s_mov_b32 s18, exec_lo
	s_delay_alu instid0(VALU_DEP_2)
	v_cmpx_ne_u32_e32 0x80, v32
	s_cbranch_execz .LBB454_147
; %bb.142:                              ;   in Loop: Header=BB454_8 Depth=1
	v_bfe_u32 v59, v30, 24, 7
	v_mov_b32_e32 v18, 0x7f800001
	s_mov_b32 s19, exec_lo
	s_delay_alu instid0(VALU_DEP_2)
	v_cmpx_ne_u32_e32 0x7f, v59
	s_cbranch_execz .LBB454_146
; %bb.143:                              ;   in Loop: Header=BB454_8 Depth=1
	v_and_b32_e32 v18, 7, v32
	v_lshrrev_b32_e32 v33, 3, v59
	s_mov_b32 s20, exec_lo
	v_cmpx_gt_u32_e32 8, v59
; %bb.144:                              ;   in Loop: Header=BB454_8 Depth=1
	s_delay_alu instid0(VALU_DEP_3) | instskip(NEXT) | instid1(VALU_DEP_1)
	v_clz_i32_u32_e32 v33, v18
	v_min_u32_e32 v33, 32, v33
	s_delay_alu instid0(VALU_DEP_1) | instskip(SKIP_1) | instid1(VALU_DEP_2)
	v_subrev_nc_u32_e32 v59, 28, v33
	v_sub_nc_u32_e32 v33, 29, v33
	v_lshlrev_b64 v[59:60], v59, v[18:19]
	s_delay_alu instid0(VALU_DEP_1)
	v_and_b32_e32 v18, 7, v59
; %bb.145:                              ;   in Loop: Header=BB454_8 Depth=1
	s_or_b32 exec_lo, exec_lo, s20
	v_lshlrev_b32_e32 v32, 24, v32
	s_delay_alu instid0(VALU_DEP_2) | instskip(SKIP_1) | instid1(VALU_DEP_3)
	v_lshlrev_b32_e32 v18, 20, v18
	v_lshl_add_u32 v33, v33, 23, 0x3c000000
	v_and_b32_e32 v32, 0x80000000, v32
	s_delay_alu instid0(VALU_DEP_1)
	v_or3_b32 v18, v18, v32, v33
.LBB454_146:                            ;   in Loop: Header=BB454_8 Depth=1
	s_or_b32 exec_lo, exec_lo, s19
.LBB454_147:                            ;   in Loop: Header=BB454_8 Depth=1
	s_delay_alu instid0(SALU_CYCLE_1)
	s_or_b32 exec_lo, exec_lo, s18
.LBB454_148:                            ;   in Loop: Header=BB454_8 Depth=1
	s_delay_alu instid0(SALU_CYCLE_1) | instskip(NEXT) | instid1(VALU_DEP_1)
	s_or_b32 exec_lo, exec_lo, s2
	v_mul_f32_e32 v18, v40, v18
                                        ; implicit-def: $vgpr59
	s_delay_alu instid0(VALU_DEP_1) | instskip(NEXT) | instid1(VALU_DEP_1)
	v_and_b32_e32 v32, 0x7f800000, v18
	v_cmp_ne_u32_e64 s1, 0x7f800000, v32
	s_delay_alu instid0(VALU_DEP_1) | instskip(NEXT) | instid1(SALU_CYCLE_1)
	s_and_saveexec_b32 s2, s1
	s_xor_b32 s1, exec_lo, s2
; %bb.149:                              ;   in Loop: Header=BB454_8 Depth=1
	v_bfe_u32 v32, v18, 16, 1
	s_delay_alu instid0(VALU_DEP_1)
	v_add3_u32 v59, v18, v32, 0x7fff
                                        ; implicit-def: $vgpr18
; %bb.150:                              ;   in Loop: Header=BB454_8 Depth=1
	s_and_not1_saveexec_b32 s2, s1
; %bb.151:                              ;   in Loop: Header=BB454_8 Depth=1
	v_and_b32_e32 v32, 0xffff, v18
	v_or_b32_e32 v33, 0x10000, v18
	s_delay_alu instid0(VALU_DEP_2) | instskip(NEXT) | instid1(VALU_DEP_1)
	v_cmp_eq_u32_e64 s1, 0, v32
	v_cndmask_b32_e64 v59, v33, v18, s1
; %bb.152:                              ;   in Loop: Header=BB454_8 Depth=1
	s_or_b32 exec_lo, exec_lo, s2
	v_dual_mov_b32 v18, v31 :: v_dual_and_b32 v33, 0xff, v31
	v_mov_b32_e32 v32, 0
	s_mov_b32 s2, exec_lo
	s_delay_alu instid0(VALU_DEP_2)
	v_cmpx_ne_u16_e32 0, v33
	s_cbranch_execz .LBB454_160
; %bb.153:                              ;   in Loop: Header=BB454_8 Depth=1
	v_bfrev_b32_e32 v32, 1
	s_mov_b32 s18, exec_lo
	v_cmpx_ne_u16_e32 0x80, v33
	s_cbranch_execz .LBB454_159
; %bb.154:                              ;   in Loop: Header=BB454_8 Depth=1
	v_and_b32_e32 v33, 0x7f, v31
	v_mov_b32_e32 v32, 0x7f800001
	s_mov_b32 s19, exec_lo
	s_delay_alu instid0(VALU_DEP_2)
	v_cmpx_ne_u32_e32 0x7f, v33
	s_cbranch_execz .LBB454_158
; %bb.155:                              ;   in Loop: Header=BB454_8 Depth=1
	v_lshrrev_b32_e32 v60, 3, v33
	v_cmp_gt_u32_e64 s1, 8, v33
	v_dual_mov_b32 v33, v19 :: v_dual_mov_b32 v32, v18
	s_delay_alu instid0(VALU_DEP_2)
	s_and_saveexec_b32 s20, s1
; %bb.156:                              ;   in Loop: Header=BB454_8 Depth=1
	v_and_b32_e32 v32, 7, v31
	s_delay_alu instid0(VALU_DEP_1) | instskip(NEXT) | instid1(VALU_DEP_1)
	v_clz_i32_u32_e32 v32, v32
	v_min_u32_e32 v60, 32, v32
	s_delay_alu instid0(VALU_DEP_1) | instskip(SKIP_1) | instid1(VALU_DEP_2)
	v_subrev_nc_u32_e32 v32, 28, v60
	v_sub_nc_u32_e32 v60, 29, v60
	v_lshlrev_b64 v[32:33], v32, v[18:19]
; %bb.157:                              ;   in Loop: Header=BB454_8 Depth=1
	s_or_b32 exec_lo, exec_lo, s20
	s_delay_alu instid0(VALU_DEP_1) | instskip(SKIP_2) | instid1(VALU_DEP_3)
	v_lshlrev_b32_e32 v32, 20, v32
	v_lshlrev_b32_e32 v33, 24, v18
	v_lshl_add_u32 v60, v60, 23, 0x3c000000
	v_and_b32_e32 v32, 0x700000, v32
	s_delay_alu instid0(VALU_DEP_3) | instskip(NEXT) | instid1(VALU_DEP_1)
	v_and_b32_e32 v33, 0x80000000, v33
	v_or3_b32 v32, v32, v33, v60
.LBB454_158:                            ;   in Loop: Header=BB454_8 Depth=1
	s_or_b32 exec_lo, exec_lo, s19
.LBB454_159:                            ;   in Loop: Header=BB454_8 Depth=1
	s_delay_alu instid0(SALU_CYCLE_1)
	s_or_b32 exec_lo, exec_lo, s18
.LBB454_160:                            ;   in Loop: Header=BB454_8 Depth=1
	s_delay_alu instid0(SALU_CYCLE_1) | instskip(NEXT) | instid1(VALU_DEP_1)
	s_or_b32 exec_lo, exec_lo, s2
	v_mul_f32_e32 v32, v40, v32
                                        ; implicit-def: $vgpr60
	s_delay_alu instid0(VALU_DEP_1) | instskip(NEXT) | instid1(VALU_DEP_1)
	v_and_b32_e32 v33, 0x7f800000, v32
	v_cmp_ne_u32_e64 s1, 0x7f800000, v33
	s_delay_alu instid0(VALU_DEP_1) | instskip(NEXT) | instid1(SALU_CYCLE_1)
	s_and_saveexec_b32 s2, s1
	s_xor_b32 s1, exec_lo, s2
; %bb.161:                              ;   in Loop: Header=BB454_8 Depth=1
	v_bfe_u32 v33, v32, 16, 1
	s_delay_alu instid0(VALU_DEP_1)
	v_add3_u32 v60, v32, v33, 0x7fff
                                        ; implicit-def: $vgpr32
; %bb.162:                              ;   in Loop: Header=BB454_8 Depth=1
	s_and_not1_saveexec_b32 s2, s1
; %bb.163:                              ;   in Loop: Header=BB454_8 Depth=1
	v_and_b32_e32 v33, 0xffff, v32
	v_or_b32_e32 v60, 0x10000, v32
	s_delay_alu instid0(VALU_DEP_2) | instskip(NEXT) | instid1(VALU_DEP_1)
	v_cmp_eq_u32_e64 s1, 0, v33
	v_cndmask_b32_e64 v60, v60, v32, s1
; %bb.164:                              ;   in Loop: Header=BB454_8 Depth=1
	s_or_b32 exec_lo, exec_lo, s2
	v_lshrrev_b16 v33, 8, v18
	v_mov_b32_e32 v32, 0
	s_mov_b32 s2, exec_lo
	s_delay_alu instid0(VALU_DEP_2)
	v_cmpx_ne_u16_e32 0, v33
	s_cbranch_execz .LBB454_172
; %bb.165:                              ;   in Loop: Header=BB454_8 Depth=1
	v_bfrev_b32_e32 v32, 1
	s_mov_b32 s18, exec_lo
	v_cmpx_ne_u16_e32 0x80, v33
	s_cbranch_execz .LBB454_171
; %bb.166:                              ;   in Loop: Header=BB454_8 Depth=1
	v_and_b32_e32 v33, 0xffff, v33
	v_mov_b32_e32 v32, 0x7f800001
	s_mov_b32 s19, exec_lo
	s_delay_alu instid0(VALU_DEP_2) | instskip(NEXT) | instid1(VALU_DEP_1)
	v_and_b32_e32 v62, 0x7f, v33
	v_cmpx_ne_u32_e32 0x7f, v62
	s_cbranch_execz .LBB454_170
; %bb.167:                              ;   in Loop: Header=BB454_8 Depth=1
	v_dual_mov_b32 v33, v19 :: v_dual_and_b32 v32, 7, v33
	v_lshrrev_b32_e32 v61, 3, v62
	s_mov_b32 s20, exec_lo
	v_cmpx_gt_u32_e32 8, v62
; %bb.168:                              ;   in Loop: Header=BB454_8 Depth=1
	s_delay_alu instid0(VALU_DEP_3) | instskip(NEXT) | instid1(VALU_DEP_1)
	v_clz_i32_u32_e32 v61, v32
	v_min_u32_e32 v61, 32, v61
	s_delay_alu instid0(VALU_DEP_1) | instskip(SKIP_1) | instid1(VALU_DEP_2)
	v_subrev_nc_u32_e32 v62, 28, v61
	v_sub_nc_u32_e32 v61, 29, v61
	v_lshlrev_b64 v[32:33], v62, v[32:33]
	s_delay_alu instid0(VALU_DEP_1)
	v_and_b32_e32 v32, 7, v32
; %bb.169:                              ;   in Loop: Header=BB454_8 Depth=1
	s_or_b32 exec_lo, exec_lo, s20
	v_lshlrev_b32_e32 v18, 16, v18
	s_delay_alu instid0(VALU_DEP_2) | instskip(SKIP_1) | instid1(VALU_DEP_3)
	v_lshlrev_b32_e32 v32, 20, v32
	v_lshl_add_u32 v33, v61, 23, 0x3c000000
	v_and_b32_e32 v18, 0x80000000, v18
	s_delay_alu instid0(VALU_DEP_1)
	v_or3_b32 v32, v32, v18, v33
.LBB454_170:                            ;   in Loop: Header=BB454_8 Depth=1
	s_or_b32 exec_lo, exec_lo, s19
.LBB454_171:                            ;   in Loop: Header=BB454_8 Depth=1
	s_delay_alu instid0(SALU_CYCLE_1)
	s_or_b32 exec_lo, exec_lo, s18
.LBB454_172:                            ;   in Loop: Header=BB454_8 Depth=1
	s_delay_alu instid0(SALU_CYCLE_1) | instskip(NEXT) | instid1(VALU_DEP_1)
	s_or_b32 exec_lo, exec_lo, s2
	v_mul_f32_e32 v18, v40, v32
                                        ; implicit-def: $vgpr61
	s_delay_alu instid0(VALU_DEP_1) | instskip(NEXT) | instid1(VALU_DEP_1)
	v_and_b32_e32 v32, 0x7f800000, v18
	v_cmp_ne_u32_e64 s1, 0x7f800000, v32
	s_delay_alu instid0(VALU_DEP_1) | instskip(NEXT) | instid1(SALU_CYCLE_1)
	s_and_saveexec_b32 s2, s1
	s_xor_b32 s1, exec_lo, s2
; %bb.173:                              ;   in Loop: Header=BB454_8 Depth=1
	v_bfe_u32 v32, v18, 16, 1
	s_delay_alu instid0(VALU_DEP_1)
	v_add3_u32 v61, v18, v32, 0x7fff
                                        ; implicit-def: $vgpr18
; %bb.174:                              ;   in Loop: Header=BB454_8 Depth=1
	s_and_not1_saveexec_b32 s2, s1
; %bb.175:                              ;   in Loop: Header=BB454_8 Depth=1
	v_and_b32_e32 v32, 0xffff, v18
	v_or_b32_e32 v33, 0x10000, v18
	s_delay_alu instid0(VALU_DEP_2) | instskip(NEXT) | instid1(VALU_DEP_1)
	v_cmp_eq_u32_e64 s1, 0, v32
	v_cndmask_b32_e64 v61, v33, v18, s1
; %bb.176:                              ;   in Loop: Header=BB454_8 Depth=1
	s_or_b32 exec_lo, exec_lo, s2
	v_lshrrev_b32_e32 v32, 16, v31
	s_mov_b32 s2, exec_lo
	s_delay_alu instid0(VALU_DEP_1) | instskip(NEXT) | instid1(VALU_DEP_1)
	v_dual_mov_b32 v18, 0 :: v_dual_and_b32 v33, 0xff, v32
	v_cmpx_ne_u16_e32 0, v33
	s_cbranch_execz .LBB454_184
; %bb.177:                              ;   in Loop: Header=BB454_8 Depth=1
	v_bfrev_b32_e32 v18, 1
	s_mov_b32 s18, exec_lo
	v_cmpx_ne_u16_e32 0x80, v33
	s_cbranch_execz .LBB454_183
; %bb.178:                              ;   in Loop: Header=BB454_8 Depth=1
	v_bfe_u32 v62, v31, 16, 7
	v_mov_b32_e32 v18, 0x7f800001
	s_mov_b32 s19, exec_lo
	s_delay_alu instid0(VALU_DEP_2)
	v_cmpx_ne_u32_e32 0x7f, v62
	s_cbranch_execz .LBB454_182
; %bb.179:                              ;   in Loop: Header=BB454_8 Depth=1
	v_and_b32_e32 v18, 7, v32
	v_lshrrev_b32_e32 v33, 3, v62
	s_mov_b32 s20, exec_lo
	v_cmpx_gt_u32_e32 8, v62
; %bb.180:                              ;   in Loop: Header=BB454_8 Depth=1
	s_delay_alu instid0(VALU_DEP_3) | instskip(NEXT) | instid1(VALU_DEP_1)
	v_clz_i32_u32_e32 v33, v18
	v_min_u32_e32 v33, 32, v33
	s_delay_alu instid0(VALU_DEP_1) | instskip(SKIP_1) | instid1(VALU_DEP_2)
	v_subrev_nc_u32_e32 v62, 28, v33
	v_sub_nc_u32_e32 v33, 29, v33
	v_lshlrev_b64 v[62:63], v62, v[18:19]
	s_delay_alu instid0(VALU_DEP_1)
	v_and_b32_e32 v18, 7, v62
; %bb.181:                              ;   in Loop: Header=BB454_8 Depth=1
	s_or_b32 exec_lo, exec_lo, s20
	v_lshlrev_b32_e32 v32, 24, v32
	s_delay_alu instid0(VALU_DEP_2) | instskip(SKIP_1) | instid1(VALU_DEP_3)
	v_lshlrev_b32_e32 v18, 20, v18
	v_lshl_add_u32 v33, v33, 23, 0x3c000000
	v_and_b32_e32 v32, 0x80000000, v32
	s_delay_alu instid0(VALU_DEP_1)
	v_or3_b32 v18, v18, v32, v33
.LBB454_182:                            ;   in Loop: Header=BB454_8 Depth=1
	s_or_b32 exec_lo, exec_lo, s19
.LBB454_183:                            ;   in Loop: Header=BB454_8 Depth=1
	s_delay_alu instid0(SALU_CYCLE_1)
	s_or_b32 exec_lo, exec_lo, s18
.LBB454_184:                            ;   in Loop: Header=BB454_8 Depth=1
	s_delay_alu instid0(SALU_CYCLE_1) | instskip(NEXT) | instid1(VALU_DEP_1)
	s_or_b32 exec_lo, exec_lo, s2
	v_mul_f32_e32 v18, v40, v18
                                        ; implicit-def: $vgpr62
	s_delay_alu instid0(VALU_DEP_1) | instskip(NEXT) | instid1(VALU_DEP_1)
	v_and_b32_e32 v32, 0x7f800000, v18
	v_cmp_ne_u32_e64 s1, 0x7f800000, v32
	s_delay_alu instid0(VALU_DEP_1) | instskip(NEXT) | instid1(SALU_CYCLE_1)
	s_and_saveexec_b32 s2, s1
	s_xor_b32 s1, exec_lo, s2
; %bb.185:                              ;   in Loop: Header=BB454_8 Depth=1
	v_bfe_u32 v32, v18, 16, 1
	s_delay_alu instid0(VALU_DEP_1)
	v_add3_u32 v62, v18, v32, 0x7fff
                                        ; implicit-def: $vgpr18
; %bb.186:                              ;   in Loop: Header=BB454_8 Depth=1
	s_and_not1_saveexec_b32 s2, s1
; %bb.187:                              ;   in Loop: Header=BB454_8 Depth=1
	v_and_b32_e32 v32, 0xffff, v18
	v_or_b32_e32 v33, 0x10000, v18
	s_delay_alu instid0(VALU_DEP_2) | instskip(NEXT) | instid1(VALU_DEP_1)
	v_cmp_eq_u32_e64 s1, 0, v32
	v_cndmask_b32_e64 v62, v33, v18, s1
; %bb.188:                              ;   in Loop: Header=BB454_8 Depth=1
	s_or_b32 exec_lo, exec_lo, s2
	v_mov_b32_e32 v18, 0
	s_mov_b32 s2, exec_lo
	v_cmpx_lt_u64_e64 s[8:9], v[30:31]
	s_cbranch_execz .LBB454_196
; %bb.189:                              ;   in Loop: Header=BB454_8 Depth=1
	v_lshrrev_b32_e32 v30, 24, v31
	v_bfrev_b32_e32 v18, 1
	s_mov_b32 s18, exec_lo
	s_delay_alu instid0(VALU_DEP_2)
	v_cmpx_ne_u32_e32 0x80, v30
	s_cbranch_execz .LBB454_195
; %bb.190:                              ;   in Loop: Header=BB454_8 Depth=1
	v_bfe_u32 v32, v31, 24, 7
	v_mov_b32_e32 v18, 0x7f800001
	s_mov_b32 s19, exec_lo
	s_delay_alu instid0(VALU_DEP_2)
	v_cmpx_ne_u32_e32 0x7f, v32
	s_cbranch_execz .LBB454_194
; %bb.191:                              ;   in Loop: Header=BB454_8 Depth=1
	v_and_b32_e32 v18, 7, v30
	v_lshrrev_b32_e32 v31, 3, v32
	s_mov_b32 s20, exec_lo
	v_cmpx_gt_u32_e32 8, v32
; %bb.192:                              ;   in Loop: Header=BB454_8 Depth=1
	s_delay_alu instid0(VALU_DEP_3) | instskip(NEXT) | instid1(VALU_DEP_1)
	v_clz_i32_u32_e32 v31, v18
	v_min_u32_e32 v31, 32, v31
	s_delay_alu instid0(VALU_DEP_1) | instskip(SKIP_1) | instid1(VALU_DEP_2)
	v_subrev_nc_u32_e32 v32, 28, v31
	v_sub_nc_u32_e32 v31, 29, v31
	v_lshlrev_b64 v[32:33], v32, v[18:19]
	s_delay_alu instid0(VALU_DEP_1)
	v_and_b32_e32 v18, 7, v32
; %bb.193:                              ;   in Loop: Header=BB454_8 Depth=1
	s_or_b32 exec_lo, exec_lo, s20
	v_lshlrev_b32_e32 v30, 24, v30
	s_delay_alu instid0(VALU_DEP_2) | instskip(SKIP_1) | instid1(VALU_DEP_3)
	v_lshlrev_b32_e32 v18, 20, v18
	v_lshl_add_u32 v31, v31, 23, 0x3c000000
	v_and_b32_e32 v30, 0x80000000, v30
	s_delay_alu instid0(VALU_DEP_1)
	v_or3_b32 v18, v18, v30, v31
.LBB454_194:                            ;   in Loop: Header=BB454_8 Depth=1
	s_or_b32 exec_lo, exec_lo, s19
.LBB454_195:                            ;   in Loop: Header=BB454_8 Depth=1
	s_delay_alu instid0(SALU_CYCLE_1)
	s_or_b32 exec_lo, exec_lo, s18
.LBB454_196:                            ;   in Loop: Header=BB454_8 Depth=1
	s_delay_alu instid0(SALU_CYCLE_1) | instskip(NEXT) | instid1(VALU_DEP_1)
	s_or_b32 exec_lo, exec_lo, s2
	v_mul_f32_e32 v18, v40, v18
                                        ; implicit-def: $vgpr63
	s_delay_alu instid0(VALU_DEP_1) | instskip(NEXT) | instid1(VALU_DEP_1)
	v_and_b32_e32 v30, 0x7f800000, v18
	v_cmp_ne_u32_e64 s1, 0x7f800000, v30
	s_delay_alu instid0(VALU_DEP_1) | instskip(NEXT) | instid1(SALU_CYCLE_1)
	s_and_saveexec_b32 s2, s1
	s_xor_b32 s1, exec_lo, s2
; %bb.197:                              ;   in Loop: Header=BB454_8 Depth=1
	v_bfe_u32 v30, v18, 16, 1
	s_delay_alu instid0(VALU_DEP_1)
	v_add3_u32 v63, v18, v30, 0x7fff
                                        ; implicit-def: $vgpr18
; %bb.198:                              ;   in Loop: Header=BB454_8 Depth=1
	s_and_not1_saveexec_b32 s2, s1
; %bb.199:                              ;   in Loop: Header=BB454_8 Depth=1
	v_and_b32_e32 v30, 0xffff, v18
	v_or_b32_e32 v31, 0x10000, v18
	s_delay_alu instid0(VALU_DEP_2) | instskip(NEXT) | instid1(VALU_DEP_1)
	v_cmp_eq_u32_e64 s1, 0, v30
	v_cndmask_b32_e64 v63, v31, v18, s1
; %bb.200:                              ;   in Loop: Header=BB454_8 Depth=1
	s_or_b32 exec_lo, exec_lo, s2
	flat_load_b64 v[30:31], v[28:29] offset:512
	v_mov_b32_e32 v18, 0
	s_mov_b32 s2, exec_lo
	s_waitcnt vmcnt(0) lgkmcnt(0)
	v_and_b32_e32 v32, 0xff, v30
	s_delay_alu instid0(VALU_DEP_1)
	v_cmpx_ne_u16_e32 0, v32
	s_cbranch_execz .LBB454_208
; %bb.201:                              ;   in Loop: Header=BB454_8 Depth=1
	v_bfrev_b32_e32 v18, 1
	s_mov_b32 s18, exec_lo
	v_cmpx_ne_u16_e32 0x80, v32
	s_cbranch_execz .LBB454_207
; %bb.202:                              ;   in Loop: Header=BB454_8 Depth=1
	v_and_b32_e32 v32, 0x7f, v30
	v_mov_b32_e32 v18, 0x7f800001
	s_mov_b32 s19, exec_lo
	s_delay_alu instid0(VALU_DEP_2)
	v_cmpx_ne_u32_e32 0x7f, v32
	s_cbranch_execz .LBB454_206
; %bb.203:                              ;   in Loop: Header=BB454_8 Depth=1
	v_lshrrev_b32_e32 v18, 3, v32
	v_cmp_gt_u32_e64 s1, 8, v32
	v_dual_mov_b32 v33, v31 :: v_dual_mov_b32 v32, v30
	s_delay_alu instid0(VALU_DEP_2)
	s_and_saveexec_b32 s20, s1
; %bb.204:                              ;   in Loop: Header=BB454_8 Depth=1
	v_and_b32_e32 v18, 7, v30
	s_delay_alu instid0(VALU_DEP_1) | instskip(NEXT) | instid1(VALU_DEP_1)
	v_clz_i32_u32_e32 v18, v18
	v_min_u32_e32 v18, 32, v18
	s_delay_alu instid0(VALU_DEP_1) | instskip(SKIP_1) | instid1(VALU_DEP_2)
	v_subrev_nc_u32_e32 v32, 28, v18
	v_sub_nc_u32_e32 v18, 29, v18
	v_lshlrev_b64 v[32:33], v32, v[30:31]
; %bb.205:                              ;   in Loop: Header=BB454_8 Depth=1
	s_or_b32 exec_lo, exec_lo, s20
	s_delay_alu instid0(VALU_DEP_1) | instskip(SKIP_2) | instid1(VALU_DEP_3)
	v_lshlrev_b32_e32 v32, 20, v32
	v_lshlrev_b32_e32 v33, 24, v30
	v_lshl_add_u32 v18, v18, 23, 0x3c000000
	v_and_b32_e32 v32, 0x700000, v32
	s_delay_alu instid0(VALU_DEP_3) | instskip(NEXT) | instid1(VALU_DEP_1)
	v_and_b32_e32 v33, 0x80000000, v33
	v_or3_b32 v18, v32, v33, v18
.LBB454_206:                            ;   in Loop: Header=BB454_8 Depth=1
	s_or_b32 exec_lo, exec_lo, s19
.LBB454_207:                            ;   in Loop: Header=BB454_8 Depth=1
	s_delay_alu instid0(SALU_CYCLE_1)
	s_or_b32 exec_lo, exec_lo, s18
.LBB454_208:                            ;   in Loop: Header=BB454_8 Depth=1
	s_delay_alu instid0(SALU_CYCLE_1) | instskip(NEXT) | instid1(VALU_DEP_1)
	s_or_b32 exec_lo, exec_lo, s2
	v_mul_f32_e32 v18, v40, v18
                                        ; implicit-def: $vgpr72
	s_delay_alu instid0(VALU_DEP_1) | instskip(NEXT) | instid1(VALU_DEP_1)
	v_and_b32_e32 v32, 0x7f800000, v18
	v_cmp_ne_u32_e64 s1, 0x7f800000, v32
	s_delay_alu instid0(VALU_DEP_1) | instskip(NEXT) | instid1(SALU_CYCLE_1)
	s_and_saveexec_b32 s2, s1
	s_xor_b32 s1, exec_lo, s2
; %bb.209:                              ;   in Loop: Header=BB454_8 Depth=1
	v_bfe_u32 v32, v18, 16, 1
	s_delay_alu instid0(VALU_DEP_1)
	v_add3_u32 v72, v18, v32, 0x7fff
                                        ; implicit-def: $vgpr18
; %bb.210:                              ;   in Loop: Header=BB454_8 Depth=1
	s_and_not1_saveexec_b32 s2, s1
; %bb.211:                              ;   in Loop: Header=BB454_8 Depth=1
	v_and_b32_e32 v32, 0xffff, v18
	v_or_b32_e32 v33, 0x10000, v18
	s_delay_alu instid0(VALU_DEP_2) | instskip(NEXT) | instid1(VALU_DEP_1)
	v_cmp_eq_u32_e64 s1, 0, v32
	v_cndmask_b32_e64 v72, v33, v18, s1
; %bb.212:                              ;   in Loop: Header=BB454_8 Depth=1
	s_or_b32 exec_lo, exec_lo, s2
	v_lshrrev_b16 v32, 8, v30
	v_mov_b32_e32 v18, 0
	s_mov_b32 s2, exec_lo
	s_delay_alu instid0(VALU_DEP_2)
	v_cmpx_ne_u16_e32 0, v32
	s_cbranch_execz .LBB454_220
; %bb.213:                              ;   in Loop: Header=BB454_8 Depth=1
	v_bfrev_b32_e32 v18, 1
	s_mov_b32 s18, exec_lo
	v_cmpx_ne_u16_e32 0x80, v32
	s_cbranch_execz .LBB454_219
; %bb.214:                              ;   in Loop: Header=BB454_8 Depth=1
	v_and_b32_e32 v32, 0xffff, v32
	v_mov_b32_e32 v18, 0x7f800001
	s_mov_b32 s19, exec_lo
	s_delay_alu instid0(VALU_DEP_2) | instskip(NEXT) | instid1(VALU_DEP_1)
	v_and_b32_e32 v33, 0x7f, v32
	v_cmpx_ne_u32_e32 0x7f, v33
	s_cbranch_execz .LBB454_218
; %bb.215:                              ;   in Loop: Header=BB454_8 Depth=1
	v_and_b32_e32 v18, 7, v32
	v_lshrrev_b32_e32 v32, 3, v33
	s_mov_b32 s20, exec_lo
	v_cmpx_gt_u32_e32 8, v33
; %bb.216:                              ;   in Loop: Header=BB454_8 Depth=1
	s_delay_alu instid0(VALU_DEP_3) | instskip(NEXT) | instid1(VALU_DEP_1)
	v_clz_i32_u32_e32 v32, v18
	v_min_u32_e32 v32, 32, v32
	s_delay_alu instid0(VALU_DEP_1) | instskip(SKIP_1) | instid1(VALU_DEP_2)
	v_subrev_nc_u32_e32 v33, 28, v32
	v_sub_nc_u32_e32 v32, 29, v32
	v_lshlrev_b64 v[73:74], v33, v[18:19]
	s_delay_alu instid0(VALU_DEP_1)
	v_and_b32_e32 v18, 7, v73
; %bb.217:                              ;   in Loop: Header=BB454_8 Depth=1
	s_or_b32 exec_lo, exec_lo, s20
	v_lshlrev_b32_e32 v33, 16, v30
	s_delay_alu instid0(VALU_DEP_2) | instskip(SKIP_1) | instid1(VALU_DEP_3)
	v_lshlrev_b32_e32 v18, 20, v18
	v_lshl_add_u32 v32, v32, 23, 0x3c000000
	v_and_b32_e32 v33, 0x80000000, v33
	s_delay_alu instid0(VALU_DEP_1)
	v_or3_b32 v18, v18, v33, v32
.LBB454_218:                            ;   in Loop: Header=BB454_8 Depth=1
	s_or_b32 exec_lo, exec_lo, s19
.LBB454_219:                            ;   in Loop: Header=BB454_8 Depth=1
	s_delay_alu instid0(SALU_CYCLE_1)
	s_or_b32 exec_lo, exec_lo, s18
.LBB454_220:                            ;   in Loop: Header=BB454_8 Depth=1
	s_delay_alu instid0(SALU_CYCLE_1) | instskip(NEXT) | instid1(VALU_DEP_1)
	s_or_b32 exec_lo, exec_lo, s2
	v_mul_f32_e32 v18, v40, v18
                                        ; implicit-def: $vgpr73
	s_delay_alu instid0(VALU_DEP_1) | instskip(NEXT) | instid1(VALU_DEP_1)
	v_and_b32_e32 v32, 0x7f800000, v18
	v_cmp_ne_u32_e64 s1, 0x7f800000, v32
	s_delay_alu instid0(VALU_DEP_1) | instskip(NEXT) | instid1(SALU_CYCLE_1)
	s_and_saveexec_b32 s2, s1
	s_xor_b32 s1, exec_lo, s2
; %bb.221:                              ;   in Loop: Header=BB454_8 Depth=1
	v_bfe_u32 v32, v18, 16, 1
	s_delay_alu instid0(VALU_DEP_1)
	v_add3_u32 v73, v18, v32, 0x7fff
                                        ; implicit-def: $vgpr18
; %bb.222:                              ;   in Loop: Header=BB454_8 Depth=1
	s_and_not1_saveexec_b32 s2, s1
; %bb.223:                              ;   in Loop: Header=BB454_8 Depth=1
	v_and_b32_e32 v32, 0xffff, v18
	v_or_b32_e32 v33, 0x10000, v18
	s_delay_alu instid0(VALU_DEP_2) | instskip(NEXT) | instid1(VALU_DEP_1)
	v_cmp_eq_u32_e64 s1, 0, v32
	v_cndmask_b32_e64 v73, v33, v18, s1
; %bb.224:                              ;   in Loop: Header=BB454_8 Depth=1
	s_or_b32 exec_lo, exec_lo, s2
	v_lshrrev_b32_e32 v32, 16, v30
	s_mov_b32 s2, exec_lo
	s_delay_alu instid0(VALU_DEP_1) | instskip(NEXT) | instid1(VALU_DEP_1)
	v_dual_mov_b32 v18, 0 :: v_dual_and_b32 v33, 0xff, v32
	v_cmpx_ne_u16_e32 0, v33
	s_cbranch_execz .LBB454_232
; %bb.225:                              ;   in Loop: Header=BB454_8 Depth=1
	v_bfrev_b32_e32 v18, 1
	s_mov_b32 s18, exec_lo
	v_cmpx_ne_u16_e32 0x80, v33
	s_cbranch_execz .LBB454_231
; %bb.226:                              ;   in Loop: Header=BB454_8 Depth=1
	v_bfe_u32 v74, v30, 16, 7
	v_mov_b32_e32 v18, 0x7f800001
	s_mov_b32 s19, exec_lo
	s_delay_alu instid0(VALU_DEP_2)
	v_cmpx_ne_u32_e32 0x7f, v74
	s_cbranch_execz .LBB454_230
; %bb.227:                              ;   in Loop: Header=BB454_8 Depth=1
	v_and_b32_e32 v18, 7, v32
	v_lshrrev_b32_e32 v33, 3, v74
	s_mov_b32 s20, exec_lo
	v_cmpx_gt_u32_e32 8, v74
; %bb.228:                              ;   in Loop: Header=BB454_8 Depth=1
	s_delay_alu instid0(VALU_DEP_3) | instskip(NEXT) | instid1(VALU_DEP_1)
	v_clz_i32_u32_e32 v33, v18
	v_min_u32_e32 v33, 32, v33
	s_delay_alu instid0(VALU_DEP_1) | instskip(SKIP_1) | instid1(VALU_DEP_2)
	v_subrev_nc_u32_e32 v74, 28, v33
	v_sub_nc_u32_e32 v33, 29, v33
	v_lshlrev_b64 v[74:75], v74, v[18:19]
	s_delay_alu instid0(VALU_DEP_1)
	v_and_b32_e32 v18, 7, v74
; %bb.229:                              ;   in Loop: Header=BB454_8 Depth=1
	s_or_b32 exec_lo, exec_lo, s20
	v_lshlrev_b32_e32 v32, 24, v32
	s_delay_alu instid0(VALU_DEP_2) | instskip(SKIP_1) | instid1(VALU_DEP_3)
	v_lshlrev_b32_e32 v18, 20, v18
	v_lshl_add_u32 v33, v33, 23, 0x3c000000
	v_and_b32_e32 v32, 0x80000000, v32
	s_delay_alu instid0(VALU_DEP_1)
	v_or3_b32 v18, v18, v32, v33
.LBB454_230:                            ;   in Loop: Header=BB454_8 Depth=1
	s_or_b32 exec_lo, exec_lo, s19
.LBB454_231:                            ;   in Loop: Header=BB454_8 Depth=1
	s_delay_alu instid0(SALU_CYCLE_1)
	s_or_b32 exec_lo, exec_lo, s18
.LBB454_232:                            ;   in Loop: Header=BB454_8 Depth=1
	s_delay_alu instid0(SALU_CYCLE_1) | instskip(NEXT) | instid1(VALU_DEP_1)
	s_or_b32 exec_lo, exec_lo, s2
	v_mul_f32_e32 v18, v40, v18
                                        ; implicit-def: $vgpr74
	s_delay_alu instid0(VALU_DEP_1) | instskip(NEXT) | instid1(VALU_DEP_1)
	v_and_b32_e32 v32, 0x7f800000, v18
	v_cmp_ne_u32_e64 s1, 0x7f800000, v32
	s_delay_alu instid0(VALU_DEP_1) | instskip(NEXT) | instid1(SALU_CYCLE_1)
	s_and_saveexec_b32 s2, s1
	s_xor_b32 s1, exec_lo, s2
; %bb.233:                              ;   in Loop: Header=BB454_8 Depth=1
	v_bfe_u32 v32, v18, 16, 1
	s_delay_alu instid0(VALU_DEP_1)
	v_add3_u32 v74, v18, v32, 0x7fff
                                        ; implicit-def: $vgpr18
; %bb.234:                              ;   in Loop: Header=BB454_8 Depth=1
	s_and_not1_saveexec_b32 s2, s1
; %bb.235:                              ;   in Loop: Header=BB454_8 Depth=1
	v_and_b32_e32 v32, 0xffff, v18
	v_or_b32_e32 v33, 0x10000, v18
	s_delay_alu instid0(VALU_DEP_2) | instskip(NEXT) | instid1(VALU_DEP_1)
	v_cmp_eq_u32_e64 s1, 0, v32
	v_cndmask_b32_e64 v74, v33, v18, s1
; %bb.236:                              ;   in Loop: Header=BB454_8 Depth=1
	s_or_b32 exec_lo, exec_lo, s2
	v_mov_b32_e32 v18, 0
	s_mov_b32 s2, exec_lo
	v_cmpx_lt_u32_e32 0xffffff, v30
	s_cbranch_execz .LBB454_244
; %bb.237:                              ;   in Loop: Header=BB454_8 Depth=1
	v_lshrrev_b32_e32 v32, 24, v30
	v_bfrev_b32_e32 v18, 1
	s_mov_b32 s18, exec_lo
	s_delay_alu instid0(VALU_DEP_2)
	v_cmpx_ne_u32_e32 0x80, v32
	s_cbranch_execz .LBB454_243
; %bb.238:                              ;   in Loop: Header=BB454_8 Depth=1
	v_bfe_u32 v75, v30, 24, 7
	v_mov_b32_e32 v18, 0x7f800001
	s_mov_b32 s19, exec_lo
	s_delay_alu instid0(VALU_DEP_2)
	v_cmpx_ne_u32_e32 0x7f, v75
	s_cbranch_execz .LBB454_242
; %bb.239:                              ;   in Loop: Header=BB454_8 Depth=1
	v_and_b32_e32 v18, 7, v32
	v_lshrrev_b32_e32 v33, 3, v75
	s_mov_b32 s20, exec_lo
	v_cmpx_gt_u32_e32 8, v75
; %bb.240:                              ;   in Loop: Header=BB454_8 Depth=1
	s_delay_alu instid0(VALU_DEP_3) | instskip(NEXT) | instid1(VALU_DEP_1)
	v_clz_i32_u32_e32 v33, v18
	v_min_u32_e32 v33, 32, v33
	s_delay_alu instid0(VALU_DEP_1) | instskip(SKIP_1) | instid1(VALU_DEP_2)
	v_subrev_nc_u32_e32 v75, 28, v33
	v_sub_nc_u32_e32 v33, 29, v33
	v_lshlrev_b64 v[75:76], v75, v[18:19]
	s_delay_alu instid0(VALU_DEP_1)
	v_and_b32_e32 v18, 7, v75
; %bb.241:                              ;   in Loop: Header=BB454_8 Depth=1
	s_or_b32 exec_lo, exec_lo, s20
	v_lshlrev_b32_e32 v32, 24, v32
	s_delay_alu instid0(VALU_DEP_2) | instskip(SKIP_1) | instid1(VALU_DEP_3)
	v_lshlrev_b32_e32 v18, 20, v18
	v_lshl_add_u32 v33, v33, 23, 0x3c000000
	v_and_b32_e32 v32, 0x80000000, v32
	s_delay_alu instid0(VALU_DEP_1)
	v_or3_b32 v18, v18, v32, v33
.LBB454_242:                            ;   in Loop: Header=BB454_8 Depth=1
	s_or_b32 exec_lo, exec_lo, s19
.LBB454_243:                            ;   in Loop: Header=BB454_8 Depth=1
	s_delay_alu instid0(SALU_CYCLE_1)
	s_or_b32 exec_lo, exec_lo, s18
.LBB454_244:                            ;   in Loop: Header=BB454_8 Depth=1
	s_delay_alu instid0(SALU_CYCLE_1) | instskip(NEXT) | instid1(VALU_DEP_1)
	s_or_b32 exec_lo, exec_lo, s2
	v_mul_f32_e32 v18, v40, v18
                                        ; implicit-def: $vgpr75
	s_delay_alu instid0(VALU_DEP_1) | instskip(NEXT) | instid1(VALU_DEP_1)
	v_and_b32_e32 v32, 0x7f800000, v18
	v_cmp_ne_u32_e64 s1, 0x7f800000, v32
	s_delay_alu instid0(VALU_DEP_1) | instskip(NEXT) | instid1(SALU_CYCLE_1)
	s_and_saveexec_b32 s2, s1
	s_xor_b32 s1, exec_lo, s2
; %bb.245:                              ;   in Loop: Header=BB454_8 Depth=1
	v_bfe_u32 v32, v18, 16, 1
	s_delay_alu instid0(VALU_DEP_1)
	v_add3_u32 v75, v18, v32, 0x7fff
                                        ; implicit-def: $vgpr18
; %bb.246:                              ;   in Loop: Header=BB454_8 Depth=1
	s_and_not1_saveexec_b32 s2, s1
; %bb.247:                              ;   in Loop: Header=BB454_8 Depth=1
	v_and_b32_e32 v32, 0xffff, v18
	v_or_b32_e32 v33, 0x10000, v18
	s_delay_alu instid0(VALU_DEP_2) | instskip(NEXT) | instid1(VALU_DEP_1)
	v_cmp_eq_u32_e64 s1, 0, v32
	v_cndmask_b32_e64 v75, v33, v18, s1
; %bb.248:                              ;   in Loop: Header=BB454_8 Depth=1
	s_or_b32 exec_lo, exec_lo, s2
	v_dual_mov_b32 v18, v31 :: v_dual_and_b32 v33, 0xff, v31
	v_mov_b32_e32 v32, 0
	s_mov_b32 s2, exec_lo
	s_delay_alu instid0(VALU_DEP_2)
	v_cmpx_ne_u16_e32 0, v33
	s_cbranch_execz .LBB454_256
; %bb.249:                              ;   in Loop: Header=BB454_8 Depth=1
	v_bfrev_b32_e32 v32, 1
	s_mov_b32 s18, exec_lo
	v_cmpx_ne_u16_e32 0x80, v33
	s_cbranch_execz .LBB454_255
; %bb.250:                              ;   in Loop: Header=BB454_8 Depth=1
	v_and_b32_e32 v33, 0x7f, v31
	v_mov_b32_e32 v32, 0x7f800001
	s_mov_b32 s19, exec_lo
	s_delay_alu instid0(VALU_DEP_2)
	v_cmpx_ne_u32_e32 0x7f, v33
	s_cbranch_execz .LBB454_254
; %bb.251:                              ;   in Loop: Header=BB454_8 Depth=1
	v_lshrrev_b32_e32 v76, 3, v33
	v_cmp_gt_u32_e64 s1, 8, v33
	v_dual_mov_b32 v33, v19 :: v_dual_mov_b32 v32, v18
	s_delay_alu instid0(VALU_DEP_2)
	s_and_saveexec_b32 s20, s1
; %bb.252:                              ;   in Loop: Header=BB454_8 Depth=1
	v_and_b32_e32 v32, 7, v31
	s_delay_alu instid0(VALU_DEP_1) | instskip(NEXT) | instid1(VALU_DEP_1)
	v_clz_i32_u32_e32 v32, v32
	v_min_u32_e32 v76, 32, v32
	s_delay_alu instid0(VALU_DEP_1) | instskip(SKIP_1) | instid1(VALU_DEP_2)
	v_subrev_nc_u32_e32 v32, 28, v76
	v_sub_nc_u32_e32 v76, 29, v76
	v_lshlrev_b64 v[32:33], v32, v[18:19]
; %bb.253:                              ;   in Loop: Header=BB454_8 Depth=1
	s_or_b32 exec_lo, exec_lo, s20
	s_delay_alu instid0(VALU_DEP_1) | instskip(SKIP_2) | instid1(VALU_DEP_3)
	v_lshlrev_b32_e32 v32, 20, v32
	v_lshlrev_b32_e32 v33, 24, v18
	v_lshl_add_u32 v76, v76, 23, 0x3c000000
	v_and_b32_e32 v32, 0x700000, v32
	s_delay_alu instid0(VALU_DEP_3) | instskip(NEXT) | instid1(VALU_DEP_1)
	v_and_b32_e32 v33, 0x80000000, v33
	v_or3_b32 v32, v32, v33, v76
.LBB454_254:                            ;   in Loop: Header=BB454_8 Depth=1
	s_or_b32 exec_lo, exec_lo, s19
.LBB454_255:                            ;   in Loop: Header=BB454_8 Depth=1
	s_delay_alu instid0(SALU_CYCLE_1)
	s_or_b32 exec_lo, exec_lo, s18
.LBB454_256:                            ;   in Loop: Header=BB454_8 Depth=1
	s_delay_alu instid0(SALU_CYCLE_1) | instskip(NEXT) | instid1(VALU_DEP_1)
	s_or_b32 exec_lo, exec_lo, s2
	v_mul_f32_e32 v32, v40, v32
                                        ; implicit-def: $vgpr76
	s_delay_alu instid0(VALU_DEP_1) | instskip(NEXT) | instid1(VALU_DEP_1)
	v_and_b32_e32 v33, 0x7f800000, v32
	v_cmp_ne_u32_e64 s1, 0x7f800000, v33
	s_delay_alu instid0(VALU_DEP_1) | instskip(NEXT) | instid1(SALU_CYCLE_1)
	s_and_saveexec_b32 s2, s1
	s_xor_b32 s1, exec_lo, s2
; %bb.257:                              ;   in Loop: Header=BB454_8 Depth=1
	v_bfe_u32 v33, v32, 16, 1
	s_delay_alu instid0(VALU_DEP_1)
	v_add3_u32 v76, v32, v33, 0x7fff
                                        ; implicit-def: $vgpr32
; %bb.258:                              ;   in Loop: Header=BB454_8 Depth=1
	s_and_not1_saveexec_b32 s2, s1
; %bb.259:                              ;   in Loop: Header=BB454_8 Depth=1
	v_and_b32_e32 v33, 0xffff, v32
	v_or_b32_e32 v76, 0x10000, v32
	s_delay_alu instid0(VALU_DEP_2) | instskip(NEXT) | instid1(VALU_DEP_1)
	v_cmp_eq_u32_e64 s1, 0, v33
	v_cndmask_b32_e64 v76, v76, v32, s1
; %bb.260:                              ;   in Loop: Header=BB454_8 Depth=1
	s_or_b32 exec_lo, exec_lo, s2
	v_lshrrev_b16 v33, 8, v18
	v_mov_b32_e32 v32, 0
	s_mov_b32 s2, exec_lo
	s_delay_alu instid0(VALU_DEP_2)
	v_cmpx_ne_u16_e32 0, v33
	s_cbranch_execz .LBB454_268
; %bb.261:                              ;   in Loop: Header=BB454_8 Depth=1
	v_bfrev_b32_e32 v32, 1
	s_mov_b32 s18, exec_lo
	v_cmpx_ne_u16_e32 0x80, v33
	s_cbranch_execz .LBB454_267
; %bb.262:                              ;   in Loop: Header=BB454_8 Depth=1
	v_and_b32_e32 v33, 0xffff, v33
	v_mov_b32_e32 v32, 0x7f800001
	s_mov_b32 s19, exec_lo
	s_delay_alu instid0(VALU_DEP_2) | instskip(NEXT) | instid1(VALU_DEP_1)
	v_and_b32_e32 v78, 0x7f, v33
	v_cmpx_ne_u32_e32 0x7f, v78
	s_cbranch_execz .LBB454_266
; %bb.263:                              ;   in Loop: Header=BB454_8 Depth=1
	v_dual_mov_b32 v33, v19 :: v_dual_and_b32 v32, 7, v33
	v_lshrrev_b32_e32 v77, 3, v78
	s_mov_b32 s20, exec_lo
	v_cmpx_gt_u32_e32 8, v78
; %bb.264:                              ;   in Loop: Header=BB454_8 Depth=1
	s_delay_alu instid0(VALU_DEP_3) | instskip(NEXT) | instid1(VALU_DEP_1)
	v_clz_i32_u32_e32 v77, v32
	v_min_u32_e32 v77, 32, v77
	s_delay_alu instid0(VALU_DEP_1) | instskip(SKIP_1) | instid1(VALU_DEP_2)
	v_subrev_nc_u32_e32 v78, 28, v77
	v_sub_nc_u32_e32 v77, 29, v77
	v_lshlrev_b64 v[32:33], v78, v[32:33]
	s_delay_alu instid0(VALU_DEP_1)
	v_and_b32_e32 v32, 7, v32
; %bb.265:                              ;   in Loop: Header=BB454_8 Depth=1
	s_or_b32 exec_lo, exec_lo, s20
	v_lshlrev_b32_e32 v18, 16, v18
	s_delay_alu instid0(VALU_DEP_2) | instskip(SKIP_1) | instid1(VALU_DEP_3)
	v_lshlrev_b32_e32 v32, 20, v32
	v_lshl_add_u32 v33, v77, 23, 0x3c000000
	v_and_b32_e32 v18, 0x80000000, v18
	s_delay_alu instid0(VALU_DEP_1)
	v_or3_b32 v32, v32, v18, v33
.LBB454_266:                            ;   in Loop: Header=BB454_8 Depth=1
	s_or_b32 exec_lo, exec_lo, s19
.LBB454_267:                            ;   in Loop: Header=BB454_8 Depth=1
	s_delay_alu instid0(SALU_CYCLE_1)
	s_or_b32 exec_lo, exec_lo, s18
.LBB454_268:                            ;   in Loop: Header=BB454_8 Depth=1
	s_delay_alu instid0(SALU_CYCLE_1) | instskip(NEXT) | instid1(VALU_DEP_1)
	s_or_b32 exec_lo, exec_lo, s2
	v_mul_f32_e32 v18, v40, v32
                                        ; implicit-def: $vgpr77
	s_delay_alu instid0(VALU_DEP_1) | instskip(NEXT) | instid1(VALU_DEP_1)
	v_and_b32_e32 v32, 0x7f800000, v18
	v_cmp_ne_u32_e64 s1, 0x7f800000, v32
	s_delay_alu instid0(VALU_DEP_1) | instskip(NEXT) | instid1(SALU_CYCLE_1)
	s_and_saveexec_b32 s2, s1
	s_xor_b32 s1, exec_lo, s2
; %bb.269:                              ;   in Loop: Header=BB454_8 Depth=1
	v_bfe_u32 v32, v18, 16, 1
	s_delay_alu instid0(VALU_DEP_1)
	v_add3_u32 v77, v18, v32, 0x7fff
                                        ; implicit-def: $vgpr18
; %bb.270:                              ;   in Loop: Header=BB454_8 Depth=1
	s_and_not1_saveexec_b32 s2, s1
; %bb.271:                              ;   in Loop: Header=BB454_8 Depth=1
	v_and_b32_e32 v32, 0xffff, v18
	v_or_b32_e32 v33, 0x10000, v18
	s_delay_alu instid0(VALU_DEP_2) | instskip(NEXT) | instid1(VALU_DEP_1)
	v_cmp_eq_u32_e64 s1, 0, v32
	v_cndmask_b32_e64 v77, v33, v18, s1
; %bb.272:                              ;   in Loop: Header=BB454_8 Depth=1
	s_or_b32 exec_lo, exec_lo, s2
	v_lshrrev_b32_e32 v32, 16, v31
	s_mov_b32 s2, exec_lo
	s_delay_alu instid0(VALU_DEP_1) | instskip(NEXT) | instid1(VALU_DEP_1)
	v_dual_mov_b32 v18, 0 :: v_dual_and_b32 v33, 0xff, v32
	v_cmpx_ne_u16_e32 0, v33
	s_cbranch_execz .LBB454_280
; %bb.273:                              ;   in Loop: Header=BB454_8 Depth=1
	v_bfrev_b32_e32 v18, 1
	s_mov_b32 s18, exec_lo
	v_cmpx_ne_u16_e32 0x80, v33
	s_cbranch_execz .LBB454_279
; %bb.274:                              ;   in Loop: Header=BB454_8 Depth=1
	v_bfe_u32 v78, v31, 16, 7
	v_mov_b32_e32 v18, 0x7f800001
	s_mov_b32 s19, exec_lo
	s_delay_alu instid0(VALU_DEP_2)
	v_cmpx_ne_u32_e32 0x7f, v78
	s_cbranch_execz .LBB454_278
; %bb.275:                              ;   in Loop: Header=BB454_8 Depth=1
	v_and_b32_e32 v18, 7, v32
	v_lshrrev_b32_e32 v33, 3, v78
	s_mov_b32 s20, exec_lo
	v_cmpx_gt_u32_e32 8, v78
; %bb.276:                              ;   in Loop: Header=BB454_8 Depth=1
	s_delay_alu instid0(VALU_DEP_3) | instskip(NEXT) | instid1(VALU_DEP_1)
	v_clz_i32_u32_e32 v33, v18
	v_min_u32_e32 v33, 32, v33
	s_delay_alu instid0(VALU_DEP_1) | instskip(SKIP_1) | instid1(VALU_DEP_2)
	v_subrev_nc_u32_e32 v78, 28, v33
	v_sub_nc_u32_e32 v33, 29, v33
	v_lshlrev_b64 v[78:79], v78, v[18:19]
	s_delay_alu instid0(VALU_DEP_1)
	v_and_b32_e32 v18, 7, v78
; %bb.277:                              ;   in Loop: Header=BB454_8 Depth=1
	s_or_b32 exec_lo, exec_lo, s20
	v_lshlrev_b32_e32 v32, 24, v32
	s_delay_alu instid0(VALU_DEP_2) | instskip(SKIP_1) | instid1(VALU_DEP_3)
	v_lshlrev_b32_e32 v18, 20, v18
	v_lshl_add_u32 v33, v33, 23, 0x3c000000
	v_and_b32_e32 v32, 0x80000000, v32
	s_delay_alu instid0(VALU_DEP_1)
	v_or3_b32 v18, v18, v32, v33
.LBB454_278:                            ;   in Loop: Header=BB454_8 Depth=1
	s_or_b32 exec_lo, exec_lo, s19
.LBB454_279:                            ;   in Loop: Header=BB454_8 Depth=1
	s_delay_alu instid0(SALU_CYCLE_1)
	s_or_b32 exec_lo, exec_lo, s18
.LBB454_280:                            ;   in Loop: Header=BB454_8 Depth=1
	s_delay_alu instid0(SALU_CYCLE_1) | instskip(NEXT) | instid1(VALU_DEP_1)
	s_or_b32 exec_lo, exec_lo, s2
	v_mul_f32_e32 v18, v40, v18
                                        ; implicit-def: $vgpr78
	s_delay_alu instid0(VALU_DEP_1) | instskip(NEXT) | instid1(VALU_DEP_1)
	v_and_b32_e32 v32, 0x7f800000, v18
	v_cmp_ne_u32_e64 s1, 0x7f800000, v32
	s_delay_alu instid0(VALU_DEP_1) | instskip(NEXT) | instid1(SALU_CYCLE_1)
	s_and_saveexec_b32 s2, s1
	s_xor_b32 s1, exec_lo, s2
; %bb.281:                              ;   in Loop: Header=BB454_8 Depth=1
	v_bfe_u32 v32, v18, 16, 1
	s_delay_alu instid0(VALU_DEP_1)
	v_add3_u32 v78, v18, v32, 0x7fff
                                        ; implicit-def: $vgpr18
; %bb.282:                              ;   in Loop: Header=BB454_8 Depth=1
	s_and_not1_saveexec_b32 s2, s1
; %bb.283:                              ;   in Loop: Header=BB454_8 Depth=1
	v_and_b32_e32 v32, 0xffff, v18
	v_or_b32_e32 v33, 0x10000, v18
	s_delay_alu instid0(VALU_DEP_2) | instskip(NEXT) | instid1(VALU_DEP_1)
	v_cmp_eq_u32_e64 s1, 0, v32
	v_cndmask_b32_e64 v78, v33, v18, s1
; %bb.284:                              ;   in Loop: Header=BB454_8 Depth=1
	s_or_b32 exec_lo, exec_lo, s2
	v_mov_b32_e32 v18, 0
	s_mov_b32 s2, exec_lo
	v_cmpx_lt_u64_e64 s[8:9], v[30:31]
	s_cbranch_execz .LBB454_292
; %bb.285:                              ;   in Loop: Header=BB454_8 Depth=1
	v_lshrrev_b32_e32 v30, 24, v31
	v_bfrev_b32_e32 v18, 1
	s_mov_b32 s18, exec_lo
	s_delay_alu instid0(VALU_DEP_2)
	v_cmpx_ne_u32_e32 0x80, v30
	s_cbranch_execz .LBB454_291
; %bb.286:                              ;   in Loop: Header=BB454_8 Depth=1
	v_bfe_u32 v32, v31, 24, 7
	v_mov_b32_e32 v18, 0x7f800001
	s_mov_b32 s19, exec_lo
	s_delay_alu instid0(VALU_DEP_2)
	v_cmpx_ne_u32_e32 0x7f, v32
	s_cbranch_execz .LBB454_290
; %bb.287:                              ;   in Loop: Header=BB454_8 Depth=1
	v_and_b32_e32 v18, 7, v30
	v_lshrrev_b32_e32 v31, 3, v32
	s_mov_b32 s20, exec_lo
	v_cmpx_gt_u32_e32 8, v32
; %bb.288:                              ;   in Loop: Header=BB454_8 Depth=1
	s_delay_alu instid0(VALU_DEP_3) | instskip(NEXT) | instid1(VALU_DEP_1)
	v_clz_i32_u32_e32 v31, v18
	v_min_u32_e32 v31, 32, v31
	s_delay_alu instid0(VALU_DEP_1) | instskip(SKIP_1) | instid1(VALU_DEP_2)
	v_subrev_nc_u32_e32 v32, 28, v31
	v_sub_nc_u32_e32 v31, 29, v31
	v_lshlrev_b64 v[32:33], v32, v[18:19]
	s_delay_alu instid0(VALU_DEP_1)
	v_and_b32_e32 v18, 7, v32
; %bb.289:                              ;   in Loop: Header=BB454_8 Depth=1
	s_or_b32 exec_lo, exec_lo, s20
	v_lshlrev_b32_e32 v30, 24, v30
	s_delay_alu instid0(VALU_DEP_2) | instskip(SKIP_1) | instid1(VALU_DEP_3)
	v_lshlrev_b32_e32 v18, 20, v18
	v_lshl_add_u32 v31, v31, 23, 0x3c000000
	v_and_b32_e32 v30, 0x80000000, v30
	s_delay_alu instid0(VALU_DEP_1)
	v_or3_b32 v18, v18, v30, v31
.LBB454_290:                            ;   in Loop: Header=BB454_8 Depth=1
	s_or_b32 exec_lo, exec_lo, s19
.LBB454_291:                            ;   in Loop: Header=BB454_8 Depth=1
	s_delay_alu instid0(SALU_CYCLE_1)
	s_or_b32 exec_lo, exec_lo, s18
.LBB454_292:                            ;   in Loop: Header=BB454_8 Depth=1
	s_delay_alu instid0(SALU_CYCLE_1) | instskip(NEXT) | instid1(VALU_DEP_1)
	s_or_b32 exec_lo, exec_lo, s2
	v_mul_f32_e32 v18, v40, v18
                                        ; implicit-def: $vgpr79
	s_delay_alu instid0(VALU_DEP_1) | instskip(NEXT) | instid1(VALU_DEP_1)
	v_and_b32_e32 v30, 0x7f800000, v18
	v_cmp_ne_u32_e64 s1, 0x7f800000, v30
	s_delay_alu instid0(VALU_DEP_1) | instskip(NEXT) | instid1(SALU_CYCLE_1)
	s_and_saveexec_b32 s2, s1
	s_xor_b32 s1, exec_lo, s2
; %bb.293:                              ;   in Loop: Header=BB454_8 Depth=1
	v_bfe_u32 v30, v18, 16, 1
	s_delay_alu instid0(VALU_DEP_1)
	v_add3_u32 v79, v18, v30, 0x7fff
                                        ; implicit-def: $vgpr18
; %bb.294:                              ;   in Loop: Header=BB454_8 Depth=1
	s_and_not1_saveexec_b32 s2, s1
; %bb.295:                              ;   in Loop: Header=BB454_8 Depth=1
	v_and_b32_e32 v30, 0xffff, v18
	v_or_b32_e32 v31, 0x10000, v18
	s_delay_alu instid0(VALU_DEP_2) | instskip(NEXT) | instid1(VALU_DEP_1)
	v_cmp_eq_u32_e64 s1, 0, v30
	v_cndmask_b32_e64 v79, v31, v18, s1
; %bb.296:                              ;   in Loop: Header=BB454_8 Depth=1
	s_or_b32 exec_lo, exec_lo, s2
	flat_load_b64 v[30:31], v[28:29] offset:520
	v_mov_b32_e32 v18, 0
	s_mov_b32 s2, exec_lo
	s_waitcnt vmcnt(0) lgkmcnt(0)
	v_and_b32_e32 v32, 0xff, v30
	s_delay_alu instid0(VALU_DEP_1)
	v_cmpx_ne_u16_e32 0, v32
	s_cbranch_execz .LBB454_304
; %bb.297:                              ;   in Loop: Header=BB454_8 Depth=1
	v_bfrev_b32_e32 v18, 1
	s_mov_b32 s18, exec_lo
	v_cmpx_ne_u16_e32 0x80, v32
	s_cbranch_execz .LBB454_303
; %bb.298:                              ;   in Loop: Header=BB454_8 Depth=1
	v_and_b32_e32 v32, 0x7f, v30
	v_mov_b32_e32 v18, 0x7f800001
	s_mov_b32 s19, exec_lo
	s_delay_alu instid0(VALU_DEP_2)
	v_cmpx_ne_u32_e32 0x7f, v32
	s_cbranch_execz .LBB454_302
; %bb.299:                              ;   in Loop: Header=BB454_8 Depth=1
	v_lshrrev_b32_e32 v18, 3, v32
	v_cmp_gt_u32_e64 s1, 8, v32
	v_dual_mov_b32 v33, v31 :: v_dual_mov_b32 v32, v30
	s_delay_alu instid0(VALU_DEP_2)
	s_and_saveexec_b32 s20, s1
; %bb.300:                              ;   in Loop: Header=BB454_8 Depth=1
	v_and_b32_e32 v18, 7, v30
	s_delay_alu instid0(VALU_DEP_1) | instskip(NEXT) | instid1(VALU_DEP_1)
	v_clz_i32_u32_e32 v18, v18
	v_min_u32_e32 v18, 32, v18
	s_delay_alu instid0(VALU_DEP_1) | instskip(SKIP_1) | instid1(VALU_DEP_2)
	v_subrev_nc_u32_e32 v32, 28, v18
	v_sub_nc_u32_e32 v18, 29, v18
	v_lshlrev_b64 v[32:33], v32, v[30:31]
; %bb.301:                              ;   in Loop: Header=BB454_8 Depth=1
	s_or_b32 exec_lo, exec_lo, s20
	s_delay_alu instid0(VALU_DEP_1) | instskip(SKIP_2) | instid1(VALU_DEP_3)
	v_lshlrev_b32_e32 v32, 20, v32
	v_lshlrev_b32_e32 v33, 24, v30
	v_lshl_add_u32 v18, v18, 23, 0x3c000000
	v_and_b32_e32 v32, 0x700000, v32
	s_delay_alu instid0(VALU_DEP_3) | instskip(NEXT) | instid1(VALU_DEP_1)
	v_and_b32_e32 v33, 0x80000000, v33
	v_or3_b32 v18, v32, v33, v18
.LBB454_302:                            ;   in Loop: Header=BB454_8 Depth=1
	s_or_b32 exec_lo, exec_lo, s19
.LBB454_303:                            ;   in Loop: Header=BB454_8 Depth=1
	s_delay_alu instid0(SALU_CYCLE_1)
	s_or_b32 exec_lo, exec_lo, s18
.LBB454_304:                            ;   in Loop: Header=BB454_8 Depth=1
	s_delay_alu instid0(SALU_CYCLE_1) | instskip(NEXT) | instid1(VALU_DEP_1)
	s_or_b32 exec_lo, exec_lo, s2
	v_mul_f32_e32 v18, v40, v18
                                        ; implicit-def: $vgpr88
	s_delay_alu instid0(VALU_DEP_1) | instskip(NEXT) | instid1(VALU_DEP_1)
	v_and_b32_e32 v32, 0x7f800000, v18
	v_cmp_ne_u32_e64 s1, 0x7f800000, v32
	s_delay_alu instid0(VALU_DEP_1) | instskip(NEXT) | instid1(SALU_CYCLE_1)
	s_and_saveexec_b32 s2, s1
	s_xor_b32 s1, exec_lo, s2
; %bb.305:                              ;   in Loop: Header=BB454_8 Depth=1
	v_bfe_u32 v32, v18, 16, 1
	s_delay_alu instid0(VALU_DEP_1)
	v_add3_u32 v88, v18, v32, 0x7fff
                                        ; implicit-def: $vgpr18
; %bb.306:                              ;   in Loop: Header=BB454_8 Depth=1
	s_and_not1_saveexec_b32 s2, s1
; %bb.307:                              ;   in Loop: Header=BB454_8 Depth=1
	v_and_b32_e32 v32, 0xffff, v18
	v_or_b32_e32 v33, 0x10000, v18
	s_delay_alu instid0(VALU_DEP_2) | instskip(NEXT) | instid1(VALU_DEP_1)
	v_cmp_eq_u32_e64 s1, 0, v32
	v_cndmask_b32_e64 v88, v33, v18, s1
; %bb.308:                              ;   in Loop: Header=BB454_8 Depth=1
	s_or_b32 exec_lo, exec_lo, s2
	v_lshrrev_b16 v32, 8, v30
	v_mov_b32_e32 v18, 0
	s_mov_b32 s2, exec_lo
	s_delay_alu instid0(VALU_DEP_2)
	v_cmpx_ne_u16_e32 0, v32
	s_cbranch_execz .LBB454_316
; %bb.309:                              ;   in Loop: Header=BB454_8 Depth=1
	v_bfrev_b32_e32 v18, 1
	s_mov_b32 s18, exec_lo
	v_cmpx_ne_u16_e32 0x80, v32
	s_cbranch_execz .LBB454_315
; %bb.310:                              ;   in Loop: Header=BB454_8 Depth=1
	v_and_b32_e32 v32, 0xffff, v32
	v_mov_b32_e32 v18, 0x7f800001
	s_mov_b32 s19, exec_lo
	s_delay_alu instid0(VALU_DEP_2) | instskip(NEXT) | instid1(VALU_DEP_1)
	v_and_b32_e32 v33, 0x7f, v32
	v_cmpx_ne_u32_e32 0x7f, v33
	s_cbranch_execz .LBB454_314
; %bb.311:                              ;   in Loop: Header=BB454_8 Depth=1
	v_and_b32_e32 v18, 7, v32
	v_lshrrev_b32_e32 v32, 3, v33
	s_mov_b32 s20, exec_lo
	v_cmpx_gt_u32_e32 8, v33
; %bb.312:                              ;   in Loop: Header=BB454_8 Depth=1
	s_delay_alu instid0(VALU_DEP_3) | instskip(NEXT) | instid1(VALU_DEP_1)
	v_clz_i32_u32_e32 v32, v18
	v_min_u32_e32 v32, 32, v32
	s_delay_alu instid0(VALU_DEP_1) | instskip(SKIP_1) | instid1(VALU_DEP_2)
	v_subrev_nc_u32_e32 v33, 28, v32
	v_sub_nc_u32_e32 v32, 29, v32
	v_lshlrev_b64 v[89:90], v33, v[18:19]
	s_delay_alu instid0(VALU_DEP_1)
	v_and_b32_e32 v18, 7, v89
; %bb.313:                              ;   in Loop: Header=BB454_8 Depth=1
	s_or_b32 exec_lo, exec_lo, s20
	v_lshlrev_b32_e32 v33, 16, v30
	s_delay_alu instid0(VALU_DEP_2) | instskip(SKIP_1) | instid1(VALU_DEP_3)
	v_lshlrev_b32_e32 v18, 20, v18
	v_lshl_add_u32 v32, v32, 23, 0x3c000000
	v_and_b32_e32 v33, 0x80000000, v33
	s_delay_alu instid0(VALU_DEP_1)
	v_or3_b32 v18, v18, v33, v32
.LBB454_314:                            ;   in Loop: Header=BB454_8 Depth=1
	s_or_b32 exec_lo, exec_lo, s19
.LBB454_315:                            ;   in Loop: Header=BB454_8 Depth=1
	s_delay_alu instid0(SALU_CYCLE_1)
	s_or_b32 exec_lo, exec_lo, s18
.LBB454_316:                            ;   in Loop: Header=BB454_8 Depth=1
	s_delay_alu instid0(SALU_CYCLE_1) | instskip(NEXT) | instid1(VALU_DEP_1)
	s_or_b32 exec_lo, exec_lo, s2
	v_mul_f32_e32 v18, v40, v18
                                        ; implicit-def: $vgpr89
	s_delay_alu instid0(VALU_DEP_1) | instskip(NEXT) | instid1(VALU_DEP_1)
	v_and_b32_e32 v32, 0x7f800000, v18
	v_cmp_ne_u32_e64 s1, 0x7f800000, v32
	s_delay_alu instid0(VALU_DEP_1) | instskip(NEXT) | instid1(SALU_CYCLE_1)
	s_and_saveexec_b32 s2, s1
	s_xor_b32 s1, exec_lo, s2
; %bb.317:                              ;   in Loop: Header=BB454_8 Depth=1
	v_bfe_u32 v32, v18, 16, 1
	s_delay_alu instid0(VALU_DEP_1)
	v_add3_u32 v89, v18, v32, 0x7fff
                                        ; implicit-def: $vgpr18
; %bb.318:                              ;   in Loop: Header=BB454_8 Depth=1
	s_and_not1_saveexec_b32 s2, s1
; %bb.319:                              ;   in Loop: Header=BB454_8 Depth=1
	v_and_b32_e32 v32, 0xffff, v18
	v_or_b32_e32 v33, 0x10000, v18
	s_delay_alu instid0(VALU_DEP_2) | instskip(NEXT) | instid1(VALU_DEP_1)
	v_cmp_eq_u32_e64 s1, 0, v32
	v_cndmask_b32_e64 v89, v33, v18, s1
; %bb.320:                              ;   in Loop: Header=BB454_8 Depth=1
	s_or_b32 exec_lo, exec_lo, s2
	v_lshrrev_b32_e32 v32, 16, v30
	s_mov_b32 s2, exec_lo
	s_delay_alu instid0(VALU_DEP_1) | instskip(NEXT) | instid1(VALU_DEP_1)
	v_dual_mov_b32 v18, 0 :: v_dual_and_b32 v33, 0xff, v32
	v_cmpx_ne_u16_e32 0, v33
	s_cbranch_execz .LBB454_328
; %bb.321:                              ;   in Loop: Header=BB454_8 Depth=1
	v_bfrev_b32_e32 v18, 1
	s_mov_b32 s18, exec_lo
	v_cmpx_ne_u16_e32 0x80, v33
	s_cbranch_execz .LBB454_327
; %bb.322:                              ;   in Loop: Header=BB454_8 Depth=1
	v_bfe_u32 v90, v30, 16, 7
	v_mov_b32_e32 v18, 0x7f800001
	s_mov_b32 s19, exec_lo
	s_delay_alu instid0(VALU_DEP_2)
	v_cmpx_ne_u32_e32 0x7f, v90
	s_cbranch_execz .LBB454_326
; %bb.323:                              ;   in Loop: Header=BB454_8 Depth=1
	v_and_b32_e32 v18, 7, v32
	v_lshrrev_b32_e32 v33, 3, v90
	s_mov_b32 s20, exec_lo
	v_cmpx_gt_u32_e32 8, v90
; %bb.324:                              ;   in Loop: Header=BB454_8 Depth=1
	s_delay_alu instid0(VALU_DEP_3) | instskip(NEXT) | instid1(VALU_DEP_1)
	v_clz_i32_u32_e32 v33, v18
	v_min_u32_e32 v33, 32, v33
	s_delay_alu instid0(VALU_DEP_1) | instskip(SKIP_1) | instid1(VALU_DEP_2)
	v_subrev_nc_u32_e32 v90, 28, v33
	v_sub_nc_u32_e32 v33, 29, v33
	v_lshlrev_b64 v[90:91], v90, v[18:19]
	s_delay_alu instid0(VALU_DEP_1)
	v_and_b32_e32 v18, 7, v90
; %bb.325:                              ;   in Loop: Header=BB454_8 Depth=1
	s_or_b32 exec_lo, exec_lo, s20
	v_lshlrev_b32_e32 v32, 24, v32
	s_delay_alu instid0(VALU_DEP_2) | instskip(SKIP_1) | instid1(VALU_DEP_3)
	v_lshlrev_b32_e32 v18, 20, v18
	v_lshl_add_u32 v33, v33, 23, 0x3c000000
	v_and_b32_e32 v32, 0x80000000, v32
	s_delay_alu instid0(VALU_DEP_1)
	v_or3_b32 v18, v18, v32, v33
.LBB454_326:                            ;   in Loop: Header=BB454_8 Depth=1
	s_or_b32 exec_lo, exec_lo, s19
.LBB454_327:                            ;   in Loop: Header=BB454_8 Depth=1
	s_delay_alu instid0(SALU_CYCLE_1)
	s_or_b32 exec_lo, exec_lo, s18
.LBB454_328:                            ;   in Loop: Header=BB454_8 Depth=1
	s_delay_alu instid0(SALU_CYCLE_1) | instskip(NEXT) | instid1(VALU_DEP_1)
	s_or_b32 exec_lo, exec_lo, s2
	v_mul_f32_e32 v18, v40, v18
                                        ; implicit-def: $vgpr90
	s_delay_alu instid0(VALU_DEP_1) | instskip(NEXT) | instid1(VALU_DEP_1)
	v_and_b32_e32 v32, 0x7f800000, v18
	v_cmp_ne_u32_e64 s1, 0x7f800000, v32
	s_delay_alu instid0(VALU_DEP_1) | instskip(NEXT) | instid1(SALU_CYCLE_1)
	s_and_saveexec_b32 s2, s1
	s_xor_b32 s1, exec_lo, s2
; %bb.329:                              ;   in Loop: Header=BB454_8 Depth=1
	v_bfe_u32 v32, v18, 16, 1
	s_delay_alu instid0(VALU_DEP_1)
	v_add3_u32 v90, v18, v32, 0x7fff
                                        ; implicit-def: $vgpr18
; %bb.330:                              ;   in Loop: Header=BB454_8 Depth=1
	s_and_not1_saveexec_b32 s2, s1
; %bb.331:                              ;   in Loop: Header=BB454_8 Depth=1
	v_and_b32_e32 v32, 0xffff, v18
	v_or_b32_e32 v33, 0x10000, v18
	s_delay_alu instid0(VALU_DEP_2) | instskip(NEXT) | instid1(VALU_DEP_1)
	v_cmp_eq_u32_e64 s1, 0, v32
	v_cndmask_b32_e64 v90, v33, v18, s1
; %bb.332:                              ;   in Loop: Header=BB454_8 Depth=1
	s_or_b32 exec_lo, exec_lo, s2
	v_mov_b32_e32 v18, 0
	s_mov_b32 s2, exec_lo
	v_cmpx_lt_u32_e32 0xffffff, v30
	s_cbranch_execz .LBB454_340
; %bb.333:                              ;   in Loop: Header=BB454_8 Depth=1
	v_lshrrev_b32_e32 v32, 24, v30
	v_bfrev_b32_e32 v18, 1
	s_mov_b32 s18, exec_lo
	s_delay_alu instid0(VALU_DEP_2)
	v_cmpx_ne_u32_e32 0x80, v32
	s_cbranch_execz .LBB454_339
; %bb.334:                              ;   in Loop: Header=BB454_8 Depth=1
	v_bfe_u32 v91, v30, 24, 7
	v_mov_b32_e32 v18, 0x7f800001
	s_mov_b32 s19, exec_lo
	s_delay_alu instid0(VALU_DEP_2)
	v_cmpx_ne_u32_e32 0x7f, v91
	s_cbranch_execz .LBB454_338
; %bb.335:                              ;   in Loop: Header=BB454_8 Depth=1
	v_and_b32_e32 v18, 7, v32
	v_lshrrev_b32_e32 v33, 3, v91
	s_mov_b32 s20, exec_lo
	v_cmpx_gt_u32_e32 8, v91
; %bb.336:                              ;   in Loop: Header=BB454_8 Depth=1
	s_delay_alu instid0(VALU_DEP_3) | instskip(NEXT) | instid1(VALU_DEP_1)
	v_clz_i32_u32_e32 v33, v18
	v_min_u32_e32 v33, 32, v33
	s_delay_alu instid0(VALU_DEP_1) | instskip(SKIP_1) | instid1(VALU_DEP_2)
	v_subrev_nc_u32_e32 v91, 28, v33
	v_sub_nc_u32_e32 v33, 29, v33
	v_lshlrev_b64 v[91:92], v91, v[18:19]
	s_delay_alu instid0(VALU_DEP_1)
	v_and_b32_e32 v18, 7, v91
; %bb.337:                              ;   in Loop: Header=BB454_8 Depth=1
	s_or_b32 exec_lo, exec_lo, s20
	v_lshlrev_b32_e32 v32, 24, v32
	s_delay_alu instid0(VALU_DEP_2) | instskip(SKIP_1) | instid1(VALU_DEP_3)
	v_lshlrev_b32_e32 v18, 20, v18
	v_lshl_add_u32 v33, v33, 23, 0x3c000000
	v_and_b32_e32 v32, 0x80000000, v32
	s_delay_alu instid0(VALU_DEP_1)
	v_or3_b32 v18, v18, v32, v33
.LBB454_338:                            ;   in Loop: Header=BB454_8 Depth=1
	s_or_b32 exec_lo, exec_lo, s19
.LBB454_339:                            ;   in Loop: Header=BB454_8 Depth=1
	s_delay_alu instid0(SALU_CYCLE_1)
	s_or_b32 exec_lo, exec_lo, s18
.LBB454_340:                            ;   in Loop: Header=BB454_8 Depth=1
	s_delay_alu instid0(SALU_CYCLE_1) | instskip(NEXT) | instid1(VALU_DEP_1)
	s_or_b32 exec_lo, exec_lo, s2
	v_mul_f32_e32 v18, v40, v18
                                        ; implicit-def: $vgpr91
	s_delay_alu instid0(VALU_DEP_1) | instskip(NEXT) | instid1(VALU_DEP_1)
	v_and_b32_e32 v32, 0x7f800000, v18
	v_cmp_ne_u32_e64 s1, 0x7f800000, v32
	s_delay_alu instid0(VALU_DEP_1) | instskip(NEXT) | instid1(SALU_CYCLE_1)
	s_and_saveexec_b32 s2, s1
	s_xor_b32 s1, exec_lo, s2
; %bb.341:                              ;   in Loop: Header=BB454_8 Depth=1
	v_bfe_u32 v32, v18, 16, 1
	s_delay_alu instid0(VALU_DEP_1)
	v_add3_u32 v91, v18, v32, 0x7fff
                                        ; implicit-def: $vgpr18
; %bb.342:                              ;   in Loop: Header=BB454_8 Depth=1
	s_and_not1_saveexec_b32 s2, s1
; %bb.343:                              ;   in Loop: Header=BB454_8 Depth=1
	v_and_b32_e32 v32, 0xffff, v18
	v_or_b32_e32 v33, 0x10000, v18
	s_delay_alu instid0(VALU_DEP_2) | instskip(NEXT) | instid1(VALU_DEP_1)
	v_cmp_eq_u32_e64 s1, 0, v32
	v_cndmask_b32_e64 v91, v33, v18, s1
; %bb.344:                              ;   in Loop: Header=BB454_8 Depth=1
	s_or_b32 exec_lo, exec_lo, s2
	v_dual_mov_b32 v18, v31 :: v_dual_and_b32 v33, 0xff, v31
	v_mov_b32_e32 v32, 0
	s_mov_b32 s2, exec_lo
	s_delay_alu instid0(VALU_DEP_2)
	v_cmpx_ne_u16_e32 0, v33
	s_cbranch_execz .LBB454_352
; %bb.345:                              ;   in Loop: Header=BB454_8 Depth=1
	v_bfrev_b32_e32 v32, 1
	s_mov_b32 s18, exec_lo
	v_cmpx_ne_u16_e32 0x80, v33
	s_cbranch_execz .LBB454_351
; %bb.346:                              ;   in Loop: Header=BB454_8 Depth=1
	v_and_b32_e32 v33, 0x7f, v31
	v_mov_b32_e32 v32, 0x7f800001
	s_mov_b32 s19, exec_lo
	s_delay_alu instid0(VALU_DEP_2)
	v_cmpx_ne_u32_e32 0x7f, v33
	s_cbranch_execz .LBB454_350
; %bb.347:                              ;   in Loop: Header=BB454_8 Depth=1
	v_lshrrev_b32_e32 v92, 3, v33
	v_cmp_gt_u32_e64 s1, 8, v33
	v_dual_mov_b32 v33, v19 :: v_dual_mov_b32 v32, v18
	s_delay_alu instid0(VALU_DEP_2)
	s_and_saveexec_b32 s20, s1
; %bb.348:                              ;   in Loop: Header=BB454_8 Depth=1
	v_and_b32_e32 v32, 7, v31
	s_delay_alu instid0(VALU_DEP_1) | instskip(NEXT) | instid1(VALU_DEP_1)
	v_clz_i32_u32_e32 v32, v32
	v_min_u32_e32 v92, 32, v32
	s_delay_alu instid0(VALU_DEP_1) | instskip(SKIP_1) | instid1(VALU_DEP_2)
	v_subrev_nc_u32_e32 v32, 28, v92
	v_sub_nc_u32_e32 v92, 29, v92
	v_lshlrev_b64 v[32:33], v32, v[18:19]
; %bb.349:                              ;   in Loop: Header=BB454_8 Depth=1
	s_or_b32 exec_lo, exec_lo, s20
	s_delay_alu instid0(VALU_DEP_1) | instskip(SKIP_2) | instid1(VALU_DEP_3)
	v_lshlrev_b32_e32 v32, 20, v32
	v_lshlrev_b32_e32 v33, 24, v18
	v_lshl_add_u32 v92, v92, 23, 0x3c000000
	v_and_b32_e32 v32, 0x700000, v32
	s_delay_alu instid0(VALU_DEP_3) | instskip(NEXT) | instid1(VALU_DEP_1)
	v_and_b32_e32 v33, 0x80000000, v33
	v_or3_b32 v32, v32, v33, v92
.LBB454_350:                            ;   in Loop: Header=BB454_8 Depth=1
	s_or_b32 exec_lo, exec_lo, s19
.LBB454_351:                            ;   in Loop: Header=BB454_8 Depth=1
	s_delay_alu instid0(SALU_CYCLE_1)
	s_or_b32 exec_lo, exec_lo, s18
.LBB454_352:                            ;   in Loop: Header=BB454_8 Depth=1
	s_delay_alu instid0(SALU_CYCLE_1) | instskip(NEXT) | instid1(VALU_DEP_1)
	s_or_b32 exec_lo, exec_lo, s2
	v_mul_f32_e32 v32, v40, v32
                                        ; implicit-def: $vgpr92
	s_delay_alu instid0(VALU_DEP_1) | instskip(NEXT) | instid1(VALU_DEP_1)
	v_and_b32_e32 v33, 0x7f800000, v32
	v_cmp_ne_u32_e64 s1, 0x7f800000, v33
	s_delay_alu instid0(VALU_DEP_1) | instskip(NEXT) | instid1(SALU_CYCLE_1)
	s_and_saveexec_b32 s2, s1
	s_xor_b32 s1, exec_lo, s2
; %bb.353:                              ;   in Loop: Header=BB454_8 Depth=1
	v_bfe_u32 v33, v32, 16, 1
	s_delay_alu instid0(VALU_DEP_1)
	v_add3_u32 v92, v32, v33, 0x7fff
                                        ; implicit-def: $vgpr32
; %bb.354:                              ;   in Loop: Header=BB454_8 Depth=1
	s_and_not1_saveexec_b32 s2, s1
; %bb.355:                              ;   in Loop: Header=BB454_8 Depth=1
	v_and_b32_e32 v33, 0xffff, v32
	v_or_b32_e32 v92, 0x10000, v32
	s_delay_alu instid0(VALU_DEP_2) | instskip(NEXT) | instid1(VALU_DEP_1)
	v_cmp_eq_u32_e64 s1, 0, v33
	v_cndmask_b32_e64 v92, v92, v32, s1
; %bb.356:                              ;   in Loop: Header=BB454_8 Depth=1
	s_or_b32 exec_lo, exec_lo, s2
	v_lshrrev_b16 v33, 8, v18
	v_mov_b32_e32 v32, 0
	s_mov_b32 s2, exec_lo
	s_delay_alu instid0(VALU_DEP_2)
	v_cmpx_ne_u16_e32 0, v33
	s_cbranch_execz .LBB454_364
; %bb.357:                              ;   in Loop: Header=BB454_8 Depth=1
	v_bfrev_b32_e32 v32, 1
	s_mov_b32 s18, exec_lo
	v_cmpx_ne_u16_e32 0x80, v33
	s_cbranch_execz .LBB454_363
; %bb.358:                              ;   in Loop: Header=BB454_8 Depth=1
	v_and_b32_e32 v33, 0xffff, v33
	v_mov_b32_e32 v32, 0x7f800001
	s_mov_b32 s19, exec_lo
	s_delay_alu instid0(VALU_DEP_2) | instskip(NEXT) | instid1(VALU_DEP_1)
	v_and_b32_e32 v94, 0x7f, v33
	v_cmpx_ne_u32_e32 0x7f, v94
	s_cbranch_execz .LBB454_362
; %bb.359:                              ;   in Loop: Header=BB454_8 Depth=1
	v_dual_mov_b32 v33, v19 :: v_dual_and_b32 v32, 7, v33
	v_lshrrev_b32_e32 v93, 3, v94
	s_mov_b32 s20, exec_lo
	v_cmpx_gt_u32_e32 8, v94
; %bb.360:                              ;   in Loop: Header=BB454_8 Depth=1
	s_delay_alu instid0(VALU_DEP_3) | instskip(NEXT) | instid1(VALU_DEP_1)
	v_clz_i32_u32_e32 v93, v32
	v_min_u32_e32 v93, 32, v93
	s_delay_alu instid0(VALU_DEP_1) | instskip(SKIP_1) | instid1(VALU_DEP_2)
	v_subrev_nc_u32_e32 v94, 28, v93
	v_sub_nc_u32_e32 v93, 29, v93
	v_lshlrev_b64 v[32:33], v94, v[32:33]
	s_delay_alu instid0(VALU_DEP_1)
	v_and_b32_e32 v32, 7, v32
; %bb.361:                              ;   in Loop: Header=BB454_8 Depth=1
	s_or_b32 exec_lo, exec_lo, s20
	v_lshlrev_b32_e32 v18, 16, v18
	s_delay_alu instid0(VALU_DEP_2) | instskip(SKIP_1) | instid1(VALU_DEP_3)
	v_lshlrev_b32_e32 v32, 20, v32
	v_lshl_add_u32 v33, v93, 23, 0x3c000000
	v_and_b32_e32 v18, 0x80000000, v18
	s_delay_alu instid0(VALU_DEP_1)
	v_or3_b32 v32, v32, v18, v33
.LBB454_362:                            ;   in Loop: Header=BB454_8 Depth=1
	s_or_b32 exec_lo, exec_lo, s19
.LBB454_363:                            ;   in Loop: Header=BB454_8 Depth=1
	s_delay_alu instid0(SALU_CYCLE_1)
	s_or_b32 exec_lo, exec_lo, s18
.LBB454_364:                            ;   in Loop: Header=BB454_8 Depth=1
	s_delay_alu instid0(SALU_CYCLE_1) | instskip(NEXT) | instid1(VALU_DEP_1)
	s_or_b32 exec_lo, exec_lo, s2
	v_mul_f32_e32 v18, v40, v32
                                        ; implicit-def: $vgpr93
	s_delay_alu instid0(VALU_DEP_1) | instskip(NEXT) | instid1(VALU_DEP_1)
	v_and_b32_e32 v32, 0x7f800000, v18
	v_cmp_ne_u32_e64 s1, 0x7f800000, v32
	s_delay_alu instid0(VALU_DEP_1) | instskip(NEXT) | instid1(SALU_CYCLE_1)
	s_and_saveexec_b32 s2, s1
	s_xor_b32 s1, exec_lo, s2
; %bb.365:                              ;   in Loop: Header=BB454_8 Depth=1
	v_bfe_u32 v32, v18, 16, 1
	s_delay_alu instid0(VALU_DEP_1)
	v_add3_u32 v93, v18, v32, 0x7fff
                                        ; implicit-def: $vgpr18
; %bb.366:                              ;   in Loop: Header=BB454_8 Depth=1
	s_and_not1_saveexec_b32 s2, s1
; %bb.367:                              ;   in Loop: Header=BB454_8 Depth=1
	v_and_b32_e32 v32, 0xffff, v18
	v_or_b32_e32 v33, 0x10000, v18
	s_delay_alu instid0(VALU_DEP_2) | instskip(NEXT) | instid1(VALU_DEP_1)
	v_cmp_eq_u32_e64 s1, 0, v32
	v_cndmask_b32_e64 v93, v33, v18, s1
; %bb.368:                              ;   in Loop: Header=BB454_8 Depth=1
	s_or_b32 exec_lo, exec_lo, s2
	v_lshrrev_b32_e32 v32, 16, v31
	s_mov_b32 s2, exec_lo
	s_delay_alu instid0(VALU_DEP_1) | instskip(NEXT) | instid1(VALU_DEP_1)
	v_dual_mov_b32 v18, 0 :: v_dual_and_b32 v33, 0xff, v32
	v_cmpx_ne_u16_e32 0, v33
	s_cbranch_execz .LBB454_376
; %bb.369:                              ;   in Loop: Header=BB454_8 Depth=1
	v_bfrev_b32_e32 v18, 1
	s_mov_b32 s18, exec_lo
	v_cmpx_ne_u16_e32 0x80, v33
	s_cbranch_execz .LBB454_375
; %bb.370:                              ;   in Loop: Header=BB454_8 Depth=1
	v_bfe_u32 v94, v31, 16, 7
	v_mov_b32_e32 v18, 0x7f800001
	s_mov_b32 s19, exec_lo
	s_delay_alu instid0(VALU_DEP_2)
	v_cmpx_ne_u32_e32 0x7f, v94
	s_cbranch_execz .LBB454_374
; %bb.371:                              ;   in Loop: Header=BB454_8 Depth=1
	v_and_b32_e32 v18, 7, v32
	v_lshrrev_b32_e32 v33, 3, v94
	s_mov_b32 s20, exec_lo
	v_cmpx_gt_u32_e32 8, v94
; %bb.372:                              ;   in Loop: Header=BB454_8 Depth=1
	s_delay_alu instid0(VALU_DEP_3) | instskip(NEXT) | instid1(VALU_DEP_1)
	v_clz_i32_u32_e32 v33, v18
	v_min_u32_e32 v33, 32, v33
	s_delay_alu instid0(VALU_DEP_1) | instskip(SKIP_1) | instid1(VALU_DEP_2)
	v_subrev_nc_u32_e32 v94, 28, v33
	v_sub_nc_u32_e32 v33, 29, v33
	v_lshlrev_b64 v[94:95], v94, v[18:19]
	s_delay_alu instid0(VALU_DEP_1)
	v_and_b32_e32 v18, 7, v94
; %bb.373:                              ;   in Loop: Header=BB454_8 Depth=1
	s_or_b32 exec_lo, exec_lo, s20
	v_lshlrev_b32_e32 v32, 24, v32
	s_delay_alu instid0(VALU_DEP_2) | instskip(SKIP_1) | instid1(VALU_DEP_3)
	v_lshlrev_b32_e32 v18, 20, v18
	v_lshl_add_u32 v33, v33, 23, 0x3c000000
	v_and_b32_e32 v32, 0x80000000, v32
	s_delay_alu instid0(VALU_DEP_1)
	v_or3_b32 v18, v18, v32, v33
.LBB454_374:                            ;   in Loop: Header=BB454_8 Depth=1
	s_or_b32 exec_lo, exec_lo, s19
.LBB454_375:                            ;   in Loop: Header=BB454_8 Depth=1
	s_delay_alu instid0(SALU_CYCLE_1)
	s_or_b32 exec_lo, exec_lo, s18
.LBB454_376:                            ;   in Loop: Header=BB454_8 Depth=1
	s_delay_alu instid0(SALU_CYCLE_1) | instskip(NEXT) | instid1(VALU_DEP_1)
	s_or_b32 exec_lo, exec_lo, s2
	v_mul_f32_e32 v18, v40, v18
                                        ; implicit-def: $vgpr94
	s_delay_alu instid0(VALU_DEP_1) | instskip(NEXT) | instid1(VALU_DEP_1)
	v_and_b32_e32 v32, 0x7f800000, v18
	v_cmp_ne_u32_e64 s1, 0x7f800000, v32
	s_delay_alu instid0(VALU_DEP_1) | instskip(NEXT) | instid1(SALU_CYCLE_1)
	s_and_saveexec_b32 s2, s1
	s_xor_b32 s1, exec_lo, s2
; %bb.377:                              ;   in Loop: Header=BB454_8 Depth=1
	v_bfe_u32 v32, v18, 16, 1
	s_delay_alu instid0(VALU_DEP_1)
	v_add3_u32 v94, v18, v32, 0x7fff
                                        ; implicit-def: $vgpr18
; %bb.378:                              ;   in Loop: Header=BB454_8 Depth=1
	s_and_not1_saveexec_b32 s2, s1
; %bb.379:                              ;   in Loop: Header=BB454_8 Depth=1
	v_and_b32_e32 v32, 0xffff, v18
	v_or_b32_e32 v33, 0x10000, v18
	s_delay_alu instid0(VALU_DEP_2) | instskip(NEXT) | instid1(VALU_DEP_1)
	v_cmp_eq_u32_e64 s1, 0, v32
	v_cndmask_b32_e64 v94, v33, v18, s1
; %bb.380:                              ;   in Loop: Header=BB454_8 Depth=1
	s_or_b32 exec_lo, exec_lo, s2
	v_mov_b32_e32 v18, 0
	s_mov_b32 s2, exec_lo
	v_cmpx_lt_u64_e64 s[8:9], v[30:31]
	s_cbranch_execz .LBB454_388
; %bb.381:                              ;   in Loop: Header=BB454_8 Depth=1
	v_lshrrev_b32_e32 v30, 24, v31
	v_bfrev_b32_e32 v18, 1
	s_mov_b32 s18, exec_lo
	s_delay_alu instid0(VALU_DEP_2)
	v_cmpx_ne_u32_e32 0x80, v30
	s_cbranch_execz .LBB454_387
; %bb.382:                              ;   in Loop: Header=BB454_8 Depth=1
	v_bfe_u32 v32, v31, 24, 7
	v_mov_b32_e32 v18, 0x7f800001
	s_mov_b32 s19, exec_lo
	s_delay_alu instid0(VALU_DEP_2)
	v_cmpx_ne_u32_e32 0x7f, v32
	s_cbranch_execz .LBB454_386
; %bb.383:                              ;   in Loop: Header=BB454_8 Depth=1
	v_and_b32_e32 v18, 7, v30
	v_lshrrev_b32_e32 v31, 3, v32
	s_mov_b32 s20, exec_lo
	v_cmpx_gt_u32_e32 8, v32
; %bb.384:                              ;   in Loop: Header=BB454_8 Depth=1
	s_delay_alu instid0(VALU_DEP_3) | instskip(NEXT) | instid1(VALU_DEP_1)
	v_clz_i32_u32_e32 v31, v18
	v_min_u32_e32 v31, 32, v31
	s_delay_alu instid0(VALU_DEP_1) | instskip(SKIP_1) | instid1(VALU_DEP_2)
	v_subrev_nc_u32_e32 v32, 28, v31
	v_sub_nc_u32_e32 v31, 29, v31
	v_lshlrev_b64 v[32:33], v32, v[18:19]
	s_delay_alu instid0(VALU_DEP_1)
	v_and_b32_e32 v18, 7, v32
; %bb.385:                              ;   in Loop: Header=BB454_8 Depth=1
	s_or_b32 exec_lo, exec_lo, s20
	v_lshlrev_b32_e32 v30, 24, v30
	s_delay_alu instid0(VALU_DEP_2) | instskip(SKIP_1) | instid1(VALU_DEP_3)
	v_lshlrev_b32_e32 v18, 20, v18
	v_lshl_add_u32 v31, v31, 23, 0x3c000000
	v_and_b32_e32 v30, 0x80000000, v30
	s_delay_alu instid0(VALU_DEP_1)
	v_or3_b32 v18, v18, v30, v31
.LBB454_386:                            ;   in Loop: Header=BB454_8 Depth=1
	s_or_b32 exec_lo, exec_lo, s19
.LBB454_387:                            ;   in Loop: Header=BB454_8 Depth=1
	s_delay_alu instid0(SALU_CYCLE_1)
	s_or_b32 exec_lo, exec_lo, s18
.LBB454_388:                            ;   in Loop: Header=BB454_8 Depth=1
	s_delay_alu instid0(SALU_CYCLE_1) | instskip(NEXT) | instid1(VALU_DEP_1)
	s_or_b32 exec_lo, exec_lo, s2
	v_mul_f32_e32 v18, v40, v18
                                        ; implicit-def: $vgpr95
	s_delay_alu instid0(VALU_DEP_1) | instskip(NEXT) | instid1(VALU_DEP_1)
	v_and_b32_e32 v30, 0x7f800000, v18
	v_cmp_ne_u32_e64 s1, 0x7f800000, v30
	s_delay_alu instid0(VALU_DEP_1) | instskip(NEXT) | instid1(SALU_CYCLE_1)
	s_and_saveexec_b32 s2, s1
	s_xor_b32 s1, exec_lo, s2
; %bb.389:                              ;   in Loop: Header=BB454_8 Depth=1
	v_bfe_u32 v30, v18, 16, 1
	s_delay_alu instid0(VALU_DEP_1)
	v_add3_u32 v95, v18, v30, 0x7fff
                                        ; implicit-def: $vgpr18
; %bb.390:                              ;   in Loop: Header=BB454_8 Depth=1
	s_and_not1_saveexec_b32 s2, s1
; %bb.391:                              ;   in Loop: Header=BB454_8 Depth=1
	v_and_b32_e32 v30, 0xffff, v18
	v_or_b32_e32 v31, 0x10000, v18
	s_delay_alu instid0(VALU_DEP_2) | instskip(NEXT) | instid1(VALU_DEP_1)
	v_cmp_eq_u32_e64 s1, 0, v30
	v_cndmask_b32_e64 v95, v31, v18, s1
; %bb.392:                              ;   in Loop: Header=BB454_8 Depth=1
	s_or_b32 exec_lo, exec_lo, s2
	flat_load_b64 v[30:31], v[28:29] offset:1024
	v_mov_b32_e32 v18, 0
	s_mov_b32 s2, exec_lo
	s_waitcnt vmcnt(0) lgkmcnt(0)
	v_and_b32_e32 v32, 0xff, v30
	s_delay_alu instid0(VALU_DEP_1)
	v_cmpx_ne_u16_e32 0, v32
	s_cbranch_execz .LBB454_400
; %bb.393:                              ;   in Loop: Header=BB454_8 Depth=1
	v_bfrev_b32_e32 v18, 1
	s_mov_b32 s18, exec_lo
	v_cmpx_ne_u16_e32 0x80, v32
	s_cbranch_execz .LBB454_399
; %bb.394:                              ;   in Loop: Header=BB454_8 Depth=1
	v_and_b32_e32 v32, 0x7f, v30
	v_mov_b32_e32 v18, 0x7f800001
	s_mov_b32 s19, exec_lo
	s_delay_alu instid0(VALU_DEP_2)
	v_cmpx_ne_u32_e32 0x7f, v32
	s_cbranch_execz .LBB454_398
; %bb.395:                              ;   in Loop: Header=BB454_8 Depth=1
	v_lshrrev_b32_e32 v18, 3, v32
	v_cmp_gt_u32_e64 s1, 8, v32
	v_dual_mov_b32 v33, v31 :: v_dual_mov_b32 v32, v30
	s_delay_alu instid0(VALU_DEP_2)
	s_and_saveexec_b32 s20, s1
; %bb.396:                              ;   in Loop: Header=BB454_8 Depth=1
	v_and_b32_e32 v18, 7, v30
	s_delay_alu instid0(VALU_DEP_1) | instskip(NEXT) | instid1(VALU_DEP_1)
	v_clz_i32_u32_e32 v18, v18
	v_min_u32_e32 v18, 32, v18
	s_delay_alu instid0(VALU_DEP_1) | instskip(SKIP_1) | instid1(VALU_DEP_2)
	v_subrev_nc_u32_e32 v32, 28, v18
	v_sub_nc_u32_e32 v18, 29, v18
	v_lshlrev_b64 v[32:33], v32, v[30:31]
; %bb.397:                              ;   in Loop: Header=BB454_8 Depth=1
	s_or_b32 exec_lo, exec_lo, s20
	s_delay_alu instid0(VALU_DEP_1) | instskip(SKIP_2) | instid1(VALU_DEP_3)
	v_lshlrev_b32_e32 v32, 20, v32
	v_lshlrev_b32_e32 v33, 24, v30
	v_lshl_add_u32 v18, v18, 23, 0x3c000000
	v_and_b32_e32 v32, 0x700000, v32
	s_delay_alu instid0(VALU_DEP_3) | instskip(NEXT) | instid1(VALU_DEP_1)
	v_and_b32_e32 v33, 0x80000000, v33
	v_or3_b32 v18, v32, v33, v18
.LBB454_398:                            ;   in Loop: Header=BB454_8 Depth=1
	s_or_b32 exec_lo, exec_lo, s19
.LBB454_399:                            ;   in Loop: Header=BB454_8 Depth=1
	s_delay_alu instid0(SALU_CYCLE_1)
	s_or_b32 exec_lo, exec_lo, s18
.LBB454_400:                            ;   in Loop: Header=BB454_8 Depth=1
	s_delay_alu instid0(SALU_CYCLE_1) | instskip(NEXT) | instid1(VALU_DEP_1)
	s_or_b32 exec_lo, exec_lo, s2
	v_mul_f32_e32 v18, v40, v18
                                        ; implicit-def: $vgpr104
	s_delay_alu instid0(VALU_DEP_1) | instskip(NEXT) | instid1(VALU_DEP_1)
	v_and_b32_e32 v32, 0x7f800000, v18
	v_cmp_ne_u32_e64 s1, 0x7f800000, v32
	s_delay_alu instid0(VALU_DEP_1) | instskip(NEXT) | instid1(SALU_CYCLE_1)
	s_and_saveexec_b32 s2, s1
	s_xor_b32 s1, exec_lo, s2
; %bb.401:                              ;   in Loop: Header=BB454_8 Depth=1
	v_bfe_u32 v32, v18, 16, 1
	s_delay_alu instid0(VALU_DEP_1)
	v_add3_u32 v104, v18, v32, 0x7fff
                                        ; implicit-def: $vgpr18
; %bb.402:                              ;   in Loop: Header=BB454_8 Depth=1
	s_and_not1_saveexec_b32 s2, s1
; %bb.403:                              ;   in Loop: Header=BB454_8 Depth=1
	v_and_b32_e32 v32, 0xffff, v18
	v_or_b32_e32 v33, 0x10000, v18
	s_delay_alu instid0(VALU_DEP_2) | instskip(NEXT) | instid1(VALU_DEP_1)
	v_cmp_eq_u32_e64 s1, 0, v32
	v_cndmask_b32_e64 v104, v33, v18, s1
; %bb.404:                              ;   in Loop: Header=BB454_8 Depth=1
	s_or_b32 exec_lo, exec_lo, s2
	v_lshrrev_b16 v32, 8, v30
	v_mov_b32_e32 v18, 0
	s_mov_b32 s2, exec_lo
	s_delay_alu instid0(VALU_DEP_2)
	v_cmpx_ne_u16_e32 0, v32
	s_cbranch_execz .LBB454_412
; %bb.405:                              ;   in Loop: Header=BB454_8 Depth=1
	v_bfrev_b32_e32 v18, 1
	s_mov_b32 s18, exec_lo
	v_cmpx_ne_u16_e32 0x80, v32
	s_cbranch_execz .LBB454_411
; %bb.406:                              ;   in Loop: Header=BB454_8 Depth=1
	v_and_b32_e32 v32, 0xffff, v32
	v_mov_b32_e32 v18, 0x7f800001
	s_mov_b32 s19, exec_lo
	s_delay_alu instid0(VALU_DEP_2) | instskip(NEXT) | instid1(VALU_DEP_1)
	v_and_b32_e32 v33, 0x7f, v32
	v_cmpx_ne_u32_e32 0x7f, v33
	s_cbranch_execz .LBB454_410
; %bb.407:                              ;   in Loop: Header=BB454_8 Depth=1
	v_and_b32_e32 v18, 7, v32
	v_lshrrev_b32_e32 v32, 3, v33
	s_mov_b32 s20, exec_lo
	v_cmpx_gt_u32_e32 8, v33
; %bb.408:                              ;   in Loop: Header=BB454_8 Depth=1
	s_delay_alu instid0(VALU_DEP_3) | instskip(NEXT) | instid1(VALU_DEP_1)
	v_clz_i32_u32_e32 v32, v18
	v_min_u32_e32 v32, 32, v32
	s_delay_alu instid0(VALU_DEP_1) | instskip(SKIP_1) | instid1(VALU_DEP_2)
	v_subrev_nc_u32_e32 v33, 28, v32
	v_sub_nc_u32_e32 v32, 29, v32
	v_lshlrev_b64 v[105:106], v33, v[18:19]
	s_delay_alu instid0(VALU_DEP_1)
	v_and_b32_e32 v18, 7, v105
; %bb.409:                              ;   in Loop: Header=BB454_8 Depth=1
	s_or_b32 exec_lo, exec_lo, s20
	v_lshlrev_b32_e32 v33, 16, v30
	s_delay_alu instid0(VALU_DEP_2) | instskip(SKIP_1) | instid1(VALU_DEP_3)
	v_lshlrev_b32_e32 v18, 20, v18
	v_lshl_add_u32 v32, v32, 23, 0x3c000000
	v_and_b32_e32 v33, 0x80000000, v33
	s_delay_alu instid0(VALU_DEP_1)
	v_or3_b32 v18, v18, v33, v32
.LBB454_410:                            ;   in Loop: Header=BB454_8 Depth=1
	s_or_b32 exec_lo, exec_lo, s19
.LBB454_411:                            ;   in Loop: Header=BB454_8 Depth=1
	s_delay_alu instid0(SALU_CYCLE_1)
	s_or_b32 exec_lo, exec_lo, s18
.LBB454_412:                            ;   in Loop: Header=BB454_8 Depth=1
	s_delay_alu instid0(SALU_CYCLE_1) | instskip(NEXT) | instid1(VALU_DEP_1)
	s_or_b32 exec_lo, exec_lo, s2
	v_mul_f32_e32 v18, v40, v18
                                        ; implicit-def: $vgpr105
	s_delay_alu instid0(VALU_DEP_1) | instskip(NEXT) | instid1(VALU_DEP_1)
	v_and_b32_e32 v32, 0x7f800000, v18
	v_cmp_ne_u32_e64 s1, 0x7f800000, v32
	s_delay_alu instid0(VALU_DEP_1) | instskip(NEXT) | instid1(SALU_CYCLE_1)
	s_and_saveexec_b32 s2, s1
	s_xor_b32 s1, exec_lo, s2
; %bb.413:                              ;   in Loop: Header=BB454_8 Depth=1
	v_bfe_u32 v32, v18, 16, 1
	s_delay_alu instid0(VALU_DEP_1)
	v_add3_u32 v105, v18, v32, 0x7fff
                                        ; implicit-def: $vgpr18
; %bb.414:                              ;   in Loop: Header=BB454_8 Depth=1
	s_and_not1_saveexec_b32 s2, s1
; %bb.415:                              ;   in Loop: Header=BB454_8 Depth=1
	v_and_b32_e32 v32, 0xffff, v18
	v_or_b32_e32 v33, 0x10000, v18
	s_delay_alu instid0(VALU_DEP_2) | instskip(NEXT) | instid1(VALU_DEP_1)
	v_cmp_eq_u32_e64 s1, 0, v32
	v_cndmask_b32_e64 v105, v33, v18, s1
; %bb.416:                              ;   in Loop: Header=BB454_8 Depth=1
	s_or_b32 exec_lo, exec_lo, s2
	v_lshrrev_b32_e32 v32, 16, v30
	s_mov_b32 s2, exec_lo
	s_delay_alu instid0(VALU_DEP_1) | instskip(NEXT) | instid1(VALU_DEP_1)
	v_dual_mov_b32 v18, 0 :: v_dual_and_b32 v33, 0xff, v32
	v_cmpx_ne_u16_e32 0, v33
	s_cbranch_execz .LBB454_424
; %bb.417:                              ;   in Loop: Header=BB454_8 Depth=1
	v_bfrev_b32_e32 v18, 1
	s_mov_b32 s18, exec_lo
	v_cmpx_ne_u16_e32 0x80, v33
	s_cbranch_execz .LBB454_423
; %bb.418:                              ;   in Loop: Header=BB454_8 Depth=1
	v_bfe_u32 v106, v30, 16, 7
	v_mov_b32_e32 v18, 0x7f800001
	s_mov_b32 s19, exec_lo
	s_delay_alu instid0(VALU_DEP_2)
	v_cmpx_ne_u32_e32 0x7f, v106
	s_cbranch_execz .LBB454_422
; %bb.419:                              ;   in Loop: Header=BB454_8 Depth=1
	v_and_b32_e32 v18, 7, v32
	v_lshrrev_b32_e32 v33, 3, v106
	s_mov_b32 s20, exec_lo
	v_cmpx_gt_u32_e32 8, v106
; %bb.420:                              ;   in Loop: Header=BB454_8 Depth=1
	s_delay_alu instid0(VALU_DEP_3) | instskip(NEXT) | instid1(VALU_DEP_1)
	v_clz_i32_u32_e32 v33, v18
	v_min_u32_e32 v33, 32, v33
	s_delay_alu instid0(VALU_DEP_1) | instskip(SKIP_1) | instid1(VALU_DEP_2)
	v_subrev_nc_u32_e32 v106, 28, v33
	v_sub_nc_u32_e32 v33, 29, v33
	v_lshlrev_b64 v[106:107], v106, v[18:19]
	s_delay_alu instid0(VALU_DEP_1)
	v_and_b32_e32 v18, 7, v106
; %bb.421:                              ;   in Loop: Header=BB454_8 Depth=1
	s_or_b32 exec_lo, exec_lo, s20
	v_lshlrev_b32_e32 v32, 24, v32
	s_delay_alu instid0(VALU_DEP_2) | instskip(SKIP_1) | instid1(VALU_DEP_3)
	v_lshlrev_b32_e32 v18, 20, v18
	v_lshl_add_u32 v33, v33, 23, 0x3c000000
	v_and_b32_e32 v32, 0x80000000, v32
	s_delay_alu instid0(VALU_DEP_1)
	v_or3_b32 v18, v18, v32, v33
.LBB454_422:                            ;   in Loop: Header=BB454_8 Depth=1
	s_or_b32 exec_lo, exec_lo, s19
.LBB454_423:                            ;   in Loop: Header=BB454_8 Depth=1
	s_delay_alu instid0(SALU_CYCLE_1)
	s_or_b32 exec_lo, exec_lo, s18
.LBB454_424:                            ;   in Loop: Header=BB454_8 Depth=1
	s_delay_alu instid0(SALU_CYCLE_1) | instskip(NEXT) | instid1(VALU_DEP_1)
	s_or_b32 exec_lo, exec_lo, s2
	v_mul_f32_e32 v18, v40, v18
                                        ; implicit-def: $vgpr106
	s_delay_alu instid0(VALU_DEP_1) | instskip(NEXT) | instid1(VALU_DEP_1)
	v_and_b32_e32 v32, 0x7f800000, v18
	v_cmp_ne_u32_e64 s1, 0x7f800000, v32
	s_delay_alu instid0(VALU_DEP_1) | instskip(NEXT) | instid1(SALU_CYCLE_1)
	s_and_saveexec_b32 s2, s1
	s_xor_b32 s1, exec_lo, s2
; %bb.425:                              ;   in Loop: Header=BB454_8 Depth=1
	v_bfe_u32 v32, v18, 16, 1
	s_delay_alu instid0(VALU_DEP_1)
	v_add3_u32 v106, v18, v32, 0x7fff
                                        ; implicit-def: $vgpr18
; %bb.426:                              ;   in Loop: Header=BB454_8 Depth=1
	s_and_not1_saveexec_b32 s2, s1
; %bb.427:                              ;   in Loop: Header=BB454_8 Depth=1
	v_and_b32_e32 v32, 0xffff, v18
	v_or_b32_e32 v33, 0x10000, v18
	s_delay_alu instid0(VALU_DEP_2) | instskip(NEXT) | instid1(VALU_DEP_1)
	v_cmp_eq_u32_e64 s1, 0, v32
	v_cndmask_b32_e64 v106, v33, v18, s1
; %bb.428:                              ;   in Loop: Header=BB454_8 Depth=1
	s_or_b32 exec_lo, exec_lo, s2
	v_mov_b32_e32 v18, 0
	s_mov_b32 s2, exec_lo
	v_cmpx_lt_u32_e32 0xffffff, v30
	s_cbranch_execz .LBB454_436
; %bb.429:                              ;   in Loop: Header=BB454_8 Depth=1
	v_lshrrev_b32_e32 v32, 24, v30
	v_bfrev_b32_e32 v18, 1
	s_mov_b32 s18, exec_lo
	s_delay_alu instid0(VALU_DEP_2)
	v_cmpx_ne_u32_e32 0x80, v32
	s_cbranch_execz .LBB454_435
; %bb.430:                              ;   in Loop: Header=BB454_8 Depth=1
	v_bfe_u32 v107, v30, 24, 7
	v_mov_b32_e32 v18, 0x7f800001
	s_mov_b32 s19, exec_lo
	s_delay_alu instid0(VALU_DEP_2)
	v_cmpx_ne_u32_e32 0x7f, v107
	s_cbranch_execz .LBB454_434
; %bb.431:                              ;   in Loop: Header=BB454_8 Depth=1
	v_and_b32_e32 v18, 7, v32
	v_lshrrev_b32_e32 v33, 3, v107
	s_mov_b32 s20, exec_lo
	v_cmpx_gt_u32_e32 8, v107
; %bb.432:                              ;   in Loop: Header=BB454_8 Depth=1
	s_delay_alu instid0(VALU_DEP_3) | instskip(NEXT) | instid1(VALU_DEP_1)
	v_clz_i32_u32_e32 v33, v18
	v_min_u32_e32 v33, 32, v33
	s_delay_alu instid0(VALU_DEP_1) | instskip(SKIP_1) | instid1(VALU_DEP_2)
	v_subrev_nc_u32_e32 v107, 28, v33
	v_sub_nc_u32_e32 v33, 29, v33
	v_lshlrev_b64 v[107:108], v107, v[18:19]
	s_delay_alu instid0(VALU_DEP_1)
	v_and_b32_e32 v18, 7, v107
; %bb.433:                              ;   in Loop: Header=BB454_8 Depth=1
	s_or_b32 exec_lo, exec_lo, s20
	v_lshlrev_b32_e32 v32, 24, v32
	s_delay_alu instid0(VALU_DEP_2) | instskip(SKIP_1) | instid1(VALU_DEP_3)
	v_lshlrev_b32_e32 v18, 20, v18
	v_lshl_add_u32 v33, v33, 23, 0x3c000000
	v_and_b32_e32 v32, 0x80000000, v32
	s_delay_alu instid0(VALU_DEP_1)
	v_or3_b32 v18, v18, v32, v33
.LBB454_434:                            ;   in Loop: Header=BB454_8 Depth=1
	s_or_b32 exec_lo, exec_lo, s19
.LBB454_435:                            ;   in Loop: Header=BB454_8 Depth=1
	s_delay_alu instid0(SALU_CYCLE_1)
	s_or_b32 exec_lo, exec_lo, s18
.LBB454_436:                            ;   in Loop: Header=BB454_8 Depth=1
	s_delay_alu instid0(SALU_CYCLE_1) | instskip(NEXT) | instid1(VALU_DEP_1)
	s_or_b32 exec_lo, exec_lo, s2
	v_mul_f32_e32 v18, v40, v18
                                        ; implicit-def: $vgpr107
	s_delay_alu instid0(VALU_DEP_1) | instskip(NEXT) | instid1(VALU_DEP_1)
	v_and_b32_e32 v32, 0x7f800000, v18
	v_cmp_ne_u32_e64 s1, 0x7f800000, v32
	s_delay_alu instid0(VALU_DEP_1) | instskip(NEXT) | instid1(SALU_CYCLE_1)
	s_and_saveexec_b32 s2, s1
	s_xor_b32 s1, exec_lo, s2
; %bb.437:                              ;   in Loop: Header=BB454_8 Depth=1
	v_bfe_u32 v32, v18, 16, 1
	s_delay_alu instid0(VALU_DEP_1)
	v_add3_u32 v107, v18, v32, 0x7fff
                                        ; implicit-def: $vgpr18
; %bb.438:                              ;   in Loop: Header=BB454_8 Depth=1
	s_and_not1_saveexec_b32 s2, s1
; %bb.439:                              ;   in Loop: Header=BB454_8 Depth=1
	v_and_b32_e32 v32, 0xffff, v18
	v_or_b32_e32 v33, 0x10000, v18
	s_delay_alu instid0(VALU_DEP_2) | instskip(NEXT) | instid1(VALU_DEP_1)
	v_cmp_eq_u32_e64 s1, 0, v32
	v_cndmask_b32_e64 v107, v33, v18, s1
; %bb.440:                              ;   in Loop: Header=BB454_8 Depth=1
	s_or_b32 exec_lo, exec_lo, s2
	v_dual_mov_b32 v18, v31 :: v_dual_and_b32 v33, 0xff, v31
	v_mov_b32_e32 v32, 0
	s_mov_b32 s2, exec_lo
	s_delay_alu instid0(VALU_DEP_2)
	v_cmpx_ne_u16_e32 0, v33
	s_cbranch_execz .LBB454_448
; %bb.441:                              ;   in Loop: Header=BB454_8 Depth=1
	v_bfrev_b32_e32 v32, 1
	s_mov_b32 s18, exec_lo
	v_cmpx_ne_u16_e32 0x80, v33
	s_cbranch_execz .LBB454_447
; %bb.442:                              ;   in Loop: Header=BB454_8 Depth=1
	v_and_b32_e32 v33, 0x7f, v31
	v_mov_b32_e32 v32, 0x7f800001
	s_mov_b32 s19, exec_lo
	s_delay_alu instid0(VALU_DEP_2)
	v_cmpx_ne_u32_e32 0x7f, v33
	s_cbranch_execz .LBB454_446
; %bb.443:                              ;   in Loop: Header=BB454_8 Depth=1
	v_lshrrev_b32_e32 v108, 3, v33
	v_cmp_gt_u32_e64 s1, 8, v33
	v_dual_mov_b32 v33, v19 :: v_dual_mov_b32 v32, v18
	s_delay_alu instid0(VALU_DEP_2)
	s_and_saveexec_b32 s20, s1
; %bb.444:                              ;   in Loop: Header=BB454_8 Depth=1
	v_and_b32_e32 v32, 7, v31
	s_delay_alu instid0(VALU_DEP_1) | instskip(NEXT) | instid1(VALU_DEP_1)
	v_clz_i32_u32_e32 v32, v32
	v_min_u32_e32 v108, 32, v32
	s_delay_alu instid0(VALU_DEP_1) | instskip(SKIP_1) | instid1(VALU_DEP_2)
	v_subrev_nc_u32_e32 v32, 28, v108
	v_sub_nc_u32_e32 v108, 29, v108
	v_lshlrev_b64 v[32:33], v32, v[18:19]
; %bb.445:                              ;   in Loop: Header=BB454_8 Depth=1
	s_or_b32 exec_lo, exec_lo, s20
	s_delay_alu instid0(VALU_DEP_1) | instskip(SKIP_2) | instid1(VALU_DEP_3)
	v_lshlrev_b32_e32 v32, 20, v32
	v_lshlrev_b32_e32 v33, 24, v18
	v_lshl_add_u32 v108, v108, 23, 0x3c000000
	v_and_b32_e32 v32, 0x700000, v32
	s_delay_alu instid0(VALU_DEP_3) | instskip(NEXT) | instid1(VALU_DEP_1)
	v_and_b32_e32 v33, 0x80000000, v33
	v_or3_b32 v32, v32, v33, v108
.LBB454_446:                            ;   in Loop: Header=BB454_8 Depth=1
	s_or_b32 exec_lo, exec_lo, s19
.LBB454_447:                            ;   in Loop: Header=BB454_8 Depth=1
	s_delay_alu instid0(SALU_CYCLE_1)
	s_or_b32 exec_lo, exec_lo, s18
.LBB454_448:                            ;   in Loop: Header=BB454_8 Depth=1
	s_delay_alu instid0(SALU_CYCLE_1) | instskip(NEXT) | instid1(VALU_DEP_1)
	s_or_b32 exec_lo, exec_lo, s2
	v_mul_f32_e32 v32, v40, v32
                                        ; implicit-def: $vgpr108
	s_delay_alu instid0(VALU_DEP_1) | instskip(NEXT) | instid1(VALU_DEP_1)
	v_and_b32_e32 v33, 0x7f800000, v32
	v_cmp_ne_u32_e64 s1, 0x7f800000, v33
	s_delay_alu instid0(VALU_DEP_1) | instskip(NEXT) | instid1(SALU_CYCLE_1)
	s_and_saveexec_b32 s2, s1
	s_xor_b32 s1, exec_lo, s2
; %bb.449:                              ;   in Loop: Header=BB454_8 Depth=1
	v_bfe_u32 v33, v32, 16, 1
	s_delay_alu instid0(VALU_DEP_1)
	v_add3_u32 v108, v32, v33, 0x7fff
                                        ; implicit-def: $vgpr32
; %bb.450:                              ;   in Loop: Header=BB454_8 Depth=1
	s_and_not1_saveexec_b32 s2, s1
; %bb.451:                              ;   in Loop: Header=BB454_8 Depth=1
	v_and_b32_e32 v33, 0xffff, v32
	v_or_b32_e32 v108, 0x10000, v32
	s_delay_alu instid0(VALU_DEP_2) | instskip(NEXT) | instid1(VALU_DEP_1)
	v_cmp_eq_u32_e64 s1, 0, v33
	v_cndmask_b32_e64 v108, v108, v32, s1
; %bb.452:                              ;   in Loop: Header=BB454_8 Depth=1
	s_or_b32 exec_lo, exec_lo, s2
	v_lshrrev_b16 v33, 8, v18
	v_mov_b32_e32 v32, 0
	s_mov_b32 s2, exec_lo
	s_delay_alu instid0(VALU_DEP_2)
	v_cmpx_ne_u16_e32 0, v33
	s_cbranch_execz .LBB454_460
; %bb.453:                              ;   in Loop: Header=BB454_8 Depth=1
	v_bfrev_b32_e32 v32, 1
	s_mov_b32 s18, exec_lo
	v_cmpx_ne_u16_e32 0x80, v33
	s_cbranch_execz .LBB454_459
; %bb.454:                              ;   in Loop: Header=BB454_8 Depth=1
	v_and_b32_e32 v33, 0xffff, v33
	v_mov_b32_e32 v32, 0x7f800001
	s_mov_b32 s19, exec_lo
	s_delay_alu instid0(VALU_DEP_2) | instskip(NEXT) | instid1(VALU_DEP_1)
	v_and_b32_e32 v110, 0x7f, v33
	v_cmpx_ne_u32_e32 0x7f, v110
	s_cbranch_execz .LBB454_458
; %bb.455:                              ;   in Loop: Header=BB454_8 Depth=1
	v_dual_mov_b32 v33, v19 :: v_dual_and_b32 v32, 7, v33
	v_lshrrev_b32_e32 v109, 3, v110
	s_mov_b32 s20, exec_lo
	v_cmpx_gt_u32_e32 8, v110
; %bb.456:                              ;   in Loop: Header=BB454_8 Depth=1
	s_delay_alu instid0(VALU_DEP_3) | instskip(NEXT) | instid1(VALU_DEP_1)
	v_clz_i32_u32_e32 v109, v32
	v_min_u32_e32 v109, 32, v109
	s_delay_alu instid0(VALU_DEP_1) | instskip(SKIP_1) | instid1(VALU_DEP_2)
	v_subrev_nc_u32_e32 v110, 28, v109
	v_sub_nc_u32_e32 v109, 29, v109
	v_lshlrev_b64 v[32:33], v110, v[32:33]
	s_delay_alu instid0(VALU_DEP_1)
	v_and_b32_e32 v32, 7, v32
; %bb.457:                              ;   in Loop: Header=BB454_8 Depth=1
	s_or_b32 exec_lo, exec_lo, s20
	v_lshlrev_b32_e32 v18, 16, v18
	s_delay_alu instid0(VALU_DEP_2) | instskip(SKIP_1) | instid1(VALU_DEP_3)
	v_lshlrev_b32_e32 v32, 20, v32
	v_lshl_add_u32 v33, v109, 23, 0x3c000000
	v_and_b32_e32 v18, 0x80000000, v18
	s_delay_alu instid0(VALU_DEP_1)
	v_or3_b32 v32, v32, v18, v33
.LBB454_458:                            ;   in Loop: Header=BB454_8 Depth=1
	s_or_b32 exec_lo, exec_lo, s19
.LBB454_459:                            ;   in Loop: Header=BB454_8 Depth=1
	s_delay_alu instid0(SALU_CYCLE_1)
	s_or_b32 exec_lo, exec_lo, s18
.LBB454_460:                            ;   in Loop: Header=BB454_8 Depth=1
	s_delay_alu instid0(SALU_CYCLE_1) | instskip(NEXT) | instid1(VALU_DEP_1)
	s_or_b32 exec_lo, exec_lo, s2
	v_mul_f32_e32 v18, v40, v32
                                        ; implicit-def: $vgpr109
	s_delay_alu instid0(VALU_DEP_1) | instskip(NEXT) | instid1(VALU_DEP_1)
	v_and_b32_e32 v32, 0x7f800000, v18
	v_cmp_ne_u32_e64 s1, 0x7f800000, v32
	s_delay_alu instid0(VALU_DEP_1) | instskip(NEXT) | instid1(SALU_CYCLE_1)
	s_and_saveexec_b32 s2, s1
	s_xor_b32 s1, exec_lo, s2
; %bb.461:                              ;   in Loop: Header=BB454_8 Depth=1
	v_bfe_u32 v32, v18, 16, 1
	s_delay_alu instid0(VALU_DEP_1)
	v_add3_u32 v109, v18, v32, 0x7fff
                                        ; implicit-def: $vgpr18
; %bb.462:                              ;   in Loop: Header=BB454_8 Depth=1
	s_and_not1_saveexec_b32 s2, s1
; %bb.463:                              ;   in Loop: Header=BB454_8 Depth=1
	v_and_b32_e32 v32, 0xffff, v18
	v_or_b32_e32 v33, 0x10000, v18
	s_delay_alu instid0(VALU_DEP_2) | instskip(NEXT) | instid1(VALU_DEP_1)
	v_cmp_eq_u32_e64 s1, 0, v32
	v_cndmask_b32_e64 v109, v33, v18, s1
; %bb.464:                              ;   in Loop: Header=BB454_8 Depth=1
	s_or_b32 exec_lo, exec_lo, s2
	v_lshrrev_b32_e32 v32, 16, v31
	s_mov_b32 s2, exec_lo
	s_delay_alu instid0(VALU_DEP_1) | instskip(NEXT) | instid1(VALU_DEP_1)
	v_dual_mov_b32 v18, 0 :: v_dual_and_b32 v33, 0xff, v32
	v_cmpx_ne_u16_e32 0, v33
	s_cbranch_execz .LBB454_472
; %bb.465:                              ;   in Loop: Header=BB454_8 Depth=1
	v_bfrev_b32_e32 v18, 1
	s_mov_b32 s18, exec_lo
	v_cmpx_ne_u16_e32 0x80, v33
	s_cbranch_execz .LBB454_471
; %bb.466:                              ;   in Loop: Header=BB454_8 Depth=1
	v_bfe_u32 v110, v31, 16, 7
	v_mov_b32_e32 v18, 0x7f800001
	s_mov_b32 s19, exec_lo
	s_delay_alu instid0(VALU_DEP_2)
	v_cmpx_ne_u32_e32 0x7f, v110
	s_cbranch_execz .LBB454_470
; %bb.467:                              ;   in Loop: Header=BB454_8 Depth=1
	v_and_b32_e32 v18, 7, v32
	v_lshrrev_b32_e32 v33, 3, v110
	s_mov_b32 s20, exec_lo
	v_cmpx_gt_u32_e32 8, v110
; %bb.468:                              ;   in Loop: Header=BB454_8 Depth=1
	s_delay_alu instid0(VALU_DEP_3) | instskip(NEXT) | instid1(VALU_DEP_1)
	v_clz_i32_u32_e32 v33, v18
	v_min_u32_e32 v33, 32, v33
	s_delay_alu instid0(VALU_DEP_1) | instskip(SKIP_1) | instid1(VALU_DEP_2)
	v_subrev_nc_u32_e32 v110, 28, v33
	v_sub_nc_u32_e32 v33, 29, v33
	v_lshlrev_b64 v[110:111], v110, v[18:19]
	s_delay_alu instid0(VALU_DEP_1)
	v_and_b32_e32 v18, 7, v110
; %bb.469:                              ;   in Loop: Header=BB454_8 Depth=1
	s_or_b32 exec_lo, exec_lo, s20
	v_lshlrev_b32_e32 v32, 24, v32
	s_delay_alu instid0(VALU_DEP_2) | instskip(SKIP_1) | instid1(VALU_DEP_3)
	v_lshlrev_b32_e32 v18, 20, v18
	v_lshl_add_u32 v33, v33, 23, 0x3c000000
	v_and_b32_e32 v32, 0x80000000, v32
	s_delay_alu instid0(VALU_DEP_1)
	v_or3_b32 v18, v18, v32, v33
.LBB454_470:                            ;   in Loop: Header=BB454_8 Depth=1
	s_or_b32 exec_lo, exec_lo, s19
.LBB454_471:                            ;   in Loop: Header=BB454_8 Depth=1
	s_delay_alu instid0(SALU_CYCLE_1)
	s_or_b32 exec_lo, exec_lo, s18
.LBB454_472:                            ;   in Loop: Header=BB454_8 Depth=1
	s_delay_alu instid0(SALU_CYCLE_1) | instskip(NEXT) | instid1(VALU_DEP_1)
	s_or_b32 exec_lo, exec_lo, s2
	v_mul_f32_e32 v18, v40, v18
                                        ; implicit-def: $vgpr110
	s_delay_alu instid0(VALU_DEP_1) | instskip(NEXT) | instid1(VALU_DEP_1)
	v_and_b32_e32 v32, 0x7f800000, v18
	v_cmp_ne_u32_e64 s1, 0x7f800000, v32
	s_delay_alu instid0(VALU_DEP_1) | instskip(NEXT) | instid1(SALU_CYCLE_1)
	s_and_saveexec_b32 s2, s1
	s_xor_b32 s1, exec_lo, s2
; %bb.473:                              ;   in Loop: Header=BB454_8 Depth=1
	v_bfe_u32 v32, v18, 16, 1
	s_delay_alu instid0(VALU_DEP_1)
	v_add3_u32 v110, v18, v32, 0x7fff
                                        ; implicit-def: $vgpr18
; %bb.474:                              ;   in Loop: Header=BB454_8 Depth=1
	s_and_not1_saveexec_b32 s2, s1
; %bb.475:                              ;   in Loop: Header=BB454_8 Depth=1
	v_and_b32_e32 v32, 0xffff, v18
	v_or_b32_e32 v33, 0x10000, v18
	s_delay_alu instid0(VALU_DEP_2) | instskip(NEXT) | instid1(VALU_DEP_1)
	v_cmp_eq_u32_e64 s1, 0, v32
	v_cndmask_b32_e64 v110, v33, v18, s1
; %bb.476:                              ;   in Loop: Header=BB454_8 Depth=1
	s_or_b32 exec_lo, exec_lo, s2
	v_mov_b32_e32 v18, 0
	s_mov_b32 s2, exec_lo
	v_cmpx_lt_u64_e64 s[8:9], v[30:31]
	s_cbranch_execz .LBB454_484
; %bb.477:                              ;   in Loop: Header=BB454_8 Depth=1
	v_lshrrev_b32_e32 v30, 24, v31
	v_bfrev_b32_e32 v18, 1
	s_mov_b32 s18, exec_lo
	s_delay_alu instid0(VALU_DEP_2)
	v_cmpx_ne_u32_e32 0x80, v30
	s_cbranch_execz .LBB454_483
; %bb.478:                              ;   in Loop: Header=BB454_8 Depth=1
	v_bfe_u32 v32, v31, 24, 7
	v_mov_b32_e32 v18, 0x7f800001
	s_mov_b32 s19, exec_lo
	s_delay_alu instid0(VALU_DEP_2)
	v_cmpx_ne_u32_e32 0x7f, v32
	s_cbranch_execz .LBB454_482
; %bb.479:                              ;   in Loop: Header=BB454_8 Depth=1
	v_and_b32_e32 v18, 7, v30
	v_lshrrev_b32_e32 v31, 3, v32
	s_mov_b32 s20, exec_lo
	v_cmpx_gt_u32_e32 8, v32
; %bb.480:                              ;   in Loop: Header=BB454_8 Depth=1
	s_delay_alu instid0(VALU_DEP_3) | instskip(NEXT) | instid1(VALU_DEP_1)
	v_clz_i32_u32_e32 v31, v18
	v_min_u32_e32 v31, 32, v31
	s_delay_alu instid0(VALU_DEP_1) | instskip(SKIP_1) | instid1(VALU_DEP_2)
	v_subrev_nc_u32_e32 v32, 28, v31
	v_sub_nc_u32_e32 v31, 29, v31
	v_lshlrev_b64 v[32:33], v32, v[18:19]
	s_delay_alu instid0(VALU_DEP_1)
	v_and_b32_e32 v18, 7, v32
; %bb.481:                              ;   in Loop: Header=BB454_8 Depth=1
	s_or_b32 exec_lo, exec_lo, s20
	v_lshlrev_b32_e32 v30, 24, v30
	s_delay_alu instid0(VALU_DEP_2) | instskip(SKIP_1) | instid1(VALU_DEP_3)
	v_lshlrev_b32_e32 v18, 20, v18
	v_lshl_add_u32 v31, v31, 23, 0x3c000000
	v_and_b32_e32 v30, 0x80000000, v30
	s_delay_alu instid0(VALU_DEP_1)
	v_or3_b32 v18, v18, v30, v31
.LBB454_482:                            ;   in Loop: Header=BB454_8 Depth=1
	s_or_b32 exec_lo, exec_lo, s19
.LBB454_483:                            ;   in Loop: Header=BB454_8 Depth=1
	s_delay_alu instid0(SALU_CYCLE_1)
	s_or_b32 exec_lo, exec_lo, s18
.LBB454_484:                            ;   in Loop: Header=BB454_8 Depth=1
	s_delay_alu instid0(SALU_CYCLE_1) | instskip(NEXT) | instid1(VALU_DEP_1)
	s_or_b32 exec_lo, exec_lo, s2
	v_mul_f32_e32 v18, v40, v18
                                        ; implicit-def: $vgpr111
	s_delay_alu instid0(VALU_DEP_1) | instskip(NEXT) | instid1(VALU_DEP_1)
	v_and_b32_e32 v30, 0x7f800000, v18
	v_cmp_ne_u32_e64 s1, 0x7f800000, v30
	s_delay_alu instid0(VALU_DEP_1) | instskip(NEXT) | instid1(SALU_CYCLE_1)
	s_and_saveexec_b32 s2, s1
	s_xor_b32 s1, exec_lo, s2
; %bb.485:                              ;   in Loop: Header=BB454_8 Depth=1
	v_bfe_u32 v30, v18, 16, 1
	s_delay_alu instid0(VALU_DEP_1)
	v_add3_u32 v111, v18, v30, 0x7fff
                                        ; implicit-def: $vgpr18
; %bb.486:                              ;   in Loop: Header=BB454_8 Depth=1
	s_and_not1_saveexec_b32 s2, s1
; %bb.487:                              ;   in Loop: Header=BB454_8 Depth=1
	v_and_b32_e32 v30, 0xffff, v18
	v_or_b32_e32 v31, 0x10000, v18
	s_delay_alu instid0(VALU_DEP_2) | instskip(NEXT) | instid1(VALU_DEP_1)
	v_cmp_eq_u32_e64 s1, 0, v30
	v_cndmask_b32_e64 v111, v31, v18, s1
; %bb.488:                              ;   in Loop: Header=BB454_8 Depth=1
	s_or_b32 exec_lo, exec_lo, s2
	flat_load_b64 v[30:31], v[28:29] offset:1032
	v_mov_b32_e32 v18, 0
	s_mov_b32 s2, exec_lo
	s_waitcnt vmcnt(0) lgkmcnt(0)
	v_and_b32_e32 v32, 0xff, v30
	s_delay_alu instid0(VALU_DEP_1)
	v_cmpx_ne_u16_e32 0, v32
	s_cbranch_execz .LBB454_496
; %bb.489:                              ;   in Loop: Header=BB454_8 Depth=1
	v_bfrev_b32_e32 v18, 1
	s_mov_b32 s18, exec_lo
	v_cmpx_ne_u16_e32 0x80, v32
	s_cbranch_execz .LBB454_495
; %bb.490:                              ;   in Loop: Header=BB454_8 Depth=1
	v_and_b32_e32 v32, 0x7f, v30
	v_mov_b32_e32 v18, 0x7f800001
	s_mov_b32 s19, exec_lo
	s_delay_alu instid0(VALU_DEP_2)
	v_cmpx_ne_u32_e32 0x7f, v32
	s_cbranch_execz .LBB454_494
; %bb.491:                              ;   in Loop: Header=BB454_8 Depth=1
	v_lshrrev_b32_e32 v18, 3, v32
	v_cmp_gt_u32_e64 s1, 8, v32
	v_dual_mov_b32 v33, v31 :: v_dual_mov_b32 v32, v30
	s_delay_alu instid0(VALU_DEP_2)
	s_and_saveexec_b32 s20, s1
; %bb.492:                              ;   in Loop: Header=BB454_8 Depth=1
	v_and_b32_e32 v18, 7, v30
	s_delay_alu instid0(VALU_DEP_1) | instskip(NEXT) | instid1(VALU_DEP_1)
	v_clz_i32_u32_e32 v18, v18
	v_min_u32_e32 v18, 32, v18
	s_delay_alu instid0(VALU_DEP_1) | instskip(SKIP_1) | instid1(VALU_DEP_2)
	v_subrev_nc_u32_e32 v32, 28, v18
	v_sub_nc_u32_e32 v18, 29, v18
	v_lshlrev_b64 v[32:33], v32, v[30:31]
; %bb.493:                              ;   in Loop: Header=BB454_8 Depth=1
	s_or_b32 exec_lo, exec_lo, s20
	s_delay_alu instid0(VALU_DEP_1) | instskip(SKIP_2) | instid1(VALU_DEP_3)
	v_lshlrev_b32_e32 v32, 20, v32
	v_lshlrev_b32_e32 v33, 24, v30
	v_lshl_add_u32 v18, v18, 23, 0x3c000000
	v_and_b32_e32 v32, 0x700000, v32
	s_delay_alu instid0(VALU_DEP_3) | instskip(NEXT) | instid1(VALU_DEP_1)
	v_and_b32_e32 v33, 0x80000000, v33
	v_or3_b32 v18, v32, v33, v18
.LBB454_494:                            ;   in Loop: Header=BB454_8 Depth=1
	s_or_b32 exec_lo, exec_lo, s19
.LBB454_495:                            ;   in Loop: Header=BB454_8 Depth=1
	s_delay_alu instid0(SALU_CYCLE_1)
	s_or_b32 exec_lo, exec_lo, s18
.LBB454_496:                            ;   in Loop: Header=BB454_8 Depth=1
	s_delay_alu instid0(SALU_CYCLE_1) | instskip(NEXT) | instid1(VALU_DEP_1)
	s_or_b32 exec_lo, exec_lo, s2
	v_mul_f32_e32 v18, v40, v18
                                        ; implicit-def: $vgpr120
	s_delay_alu instid0(VALU_DEP_1) | instskip(NEXT) | instid1(VALU_DEP_1)
	v_and_b32_e32 v32, 0x7f800000, v18
	v_cmp_ne_u32_e64 s1, 0x7f800000, v32
	s_delay_alu instid0(VALU_DEP_1) | instskip(NEXT) | instid1(SALU_CYCLE_1)
	s_and_saveexec_b32 s2, s1
	s_xor_b32 s1, exec_lo, s2
; %bb.497:                              ;   in Loop: Header=BB454_8 Depth=1
	v_bfe_u32 v32, v18, 16, 1
	s_delay_alu instid0(VALU_DEP_1)
	v_add3_u32 v120, v18, v32, 0x7fff
                                        ; implicit-def: $vgpr18
; %bb.498:                              ;   in Loop: Header=BB454_8 Depth=1
	s_and_not1_saveexec_b32 s2, s1
; %bb.499:                              ;   in Loop: Header=BB454_8 Depth=1
	v_and_b32_e32 v32, 0xffff, v18
	v_or_b32_e32 v33, 0x10000, v18
	s_delay_alu instid0(VALU_DEP_2) | instskip(NEXT) | instid1(VALU_DEP_1)
	v_cmp_eq_u32_e64 s1, 0, v32
	v_cndmask_b32_e64 v120, v33, v18, s1
; %bb.500:                              ;   in Loop: Header=BB454_8 Depth=1
	s_or_b32 exec_lo, exec_lo, s2
	v_lshrrev_b16 v32, 8, v30
	v_mov_b32_e32 v18, 0
	s_mov_b32 s2, exec_lo
	s_delay_alu instid0(VALU_DEP_2)
	v_cmpx_ne_u16_e32 0, v32
	s_cbranch_execz .LBB454_508
; %bb.501:                              ;   in Loop: Header=BB454_8 Depth=1
	v_bfrev_b32_e32 v18, 1
	s_mov_b32 s18, exec_lo
	v_cmpx_ne_u16_e32 0x80, v32
	s_cbranch_execz .LBB454_507
; %bb.502:                              ;   in Loop: Header=BB454_8 Depth=1
	v_and_b32_e32 v32, 0xffff, v32
	v_mov_b32_e32 v18, 0x7f800001
	s_mov_b32 s19, exec_lo
	s_delay_alu instid0(VALU_DEP_2) | instskip(NEXT) | instid1(VALU_DEP_1)
	v_and_b32_e32 v33, 0x7f, v32
	v_cmpx_ne_u32_e32 0x7f, v33
	s_cbranch_execz .LBB454_506
; %bb.503:                              ;   in Loop: Header=BB454_8 Depth=1
	v_and_b32_e32 v18, 7, v32
	v_lshrrev_b32_e32 v32, 3, v33
	s_mov_b32 s20, exec_lo
	v_cmpx_gt_u32_e32 8, v33
; %bb.504:                              ;   in Loop: Header=BB454_8 Depth=1
	s_delay_alu instid0(VALU_DEP_3) | instskip(NEXT) | instid1(VALU_DEP_1)
	v_clz_i32_u32_e32 v32, v18
	v_min_u32_e32 v32, 32, v32
	s_delay_alu instid0(VALU_DEP_1) | instskip(SKIP_1) | instid1(VALU_DEP_2)
	v_subrev_nc_u32_e32 v33, 28, v32
	v_sub_nc_u32_e32 v32, 29, v32
	v_lshlrev_b64 v[121:122], v33, v[18:19]
	s_delay_alu instid0(VALU_DEP_1)
	v_and_b32_e32 v18, 7, v121
; %bb.505:                              ;   in Loop: Header=BB454_8 Depth=1
	s_or_b32 exec_lo, exec_lo, s20
	v_lshlrev_b32_e32 v33, 16, v30
	s_delay_alu instid0(VALU_DEP_2) | instskip(SKIP_1) | instid1(VALU_DEP_3)
	v_lshlrev_b32_e32 v18, 20, v18
	v_lshl_add_u32 v32, v32, 23, 0x3c000000
	v_and_b32_e32 v33, 0x80000000, v33
	s_delay_alu instid0(VALU_DEP_1)
	v_or3_b32 v18, v18, v33, v32
.LBB454_506:                            ;   in Loop: Header=BB454_8 Depth=1
	s_or_b32 exec_lo, exec_lo, s19
.LBB454_507:                            ;   in Loop: Header=BB454_8 Depth=1
	s_delay_alu instid0(SALU_CYCLE_1)
	s_or_b32 exec_lo, exec_lo, s18
.LBB454_508:                            ;   in Loop: Header=BB454_8 Depth=1
	s_delay_alu instid0(SALU_CYCLE_1) | instskip(NEXT) | instid1(VALU_DEP_1)
	s_or_b32 exec_lo, exec_lo, s2
	v_mul_f32_e32 v18, v40, v18
                                        ; implicit-def: $vgpr121
	s_delay_alu instid0(VALU_DEP_1) | instskip(NEXT) | instid1(VALU_DEP_1)
	v_and_b32_e32 v32, 0x7f800000, v18
	v_cmp_ne_u32_e64 s1, 0x7f800000, v32
	s_delay_alu instid0(VALU_DEP_1) | instskip(NEXT) | instid1(SALU_CYCLE_1)
	s_and_saveexec_b32 s2, s1
	s_xor_b32 s1, exec_lo, s2
; %bb.509:                              ;   in Loop: Header=BB454_8 Depth=1
	v_bfe_u32 v32, v18, 16, 1
	s_delay_alu instid0(VALU_DEP_1)
	v_add3_u32 v121, v18, v32, 0x7fff
                                        ; implicit-def: $vgpr18
; %bb.510:                              ;   in Loop: Header=BB454_8 Depth=1
	s_and_not1_saveexec_b32 s2, s1
; %bb.511:                              ;   in Loop: Header=BB454_8 Depth=1
	v_and_b32_e32 v32, 0xffff, v18
	v_or_b32_e32 v33, 0x10000, v18
	s_delay_alu instid0(VALU_DEP_2) | instskip(NEXT) | instid1(VALU_DEP_1)
	v_cmp_eq_u32_e64 s1, 0, v32
	v_cndmask_b32_e64 v121, v33, v18, s1
; %bb.512:                              ;   in Loop: Header=BB454_8 Depth=1
	s_or_b32 exec_lo, exec_lo, s2
	v_lshrrev_b32_e32 v32, 16, v30
	s_mov_b32 s2, exec_lo
	s_delay_alu instid0(VALU_DEP_1) | instskip(NEXT) | instid1(VALU_DEP_1)
	v_dual_mov_b32 v18, 0 :: v_dual_and_b32 v33, 0xff, v32
	v_cmpx_ne_u16_e32 0, v33
	s_cbranch_execz .LBB454_520
; %bb.513:                              ;   in Loop: Header=BB454_8 Depth=1
	v_bfrev_b32_e32 v18, 1
	s_mov_b32 s18, exec_lo
	v_cmpx_ne_u16_e32 0x80, v33
	s_cbranch_execz .LBB454_519
; %bb.514:                              ;   in Loop: Header=BB454_8 Depth=1
	v_bfe_u32 v122, v30, 16, 7
	v_mov_b32_e32 v18, 0x7f800001
	s_mov_b32 s19, exec_lo
	s_delay_alu instid0(VALU_DEP_2)
	v_cmpx_ne_u32_e32 0x7f, v122
	s_cbranch_execz .LBB454_518
; %bb.515:                              ;   in Loop: Header=BB454_8 Depth=1
	v_and_b32_e32 v18, 7, v32
	v_lshrrev_b32_e32 v33, 3, v122
	s_mov_b32 s20, exec_lo
	v_cmpx_gt_u32_e32 8, v122
; %bb.516:                              ;   in Loop: Header=BB454_8 Depth=1
	s_delay_alu instid0(VALU_DEP_3) | instskip(NEXT) | instid1(VALU_DEP_1)
	v_clz_i32_u32_e32 v33, v18
	v_min_u32_e32 v33, 32, v33
	s_delay_alu instid0(VALU_DEP_1) | instskip(SKIP_1) | instid1(VALU_DEP_2)
	v_subrev_nc_u32_e32 v122, 28, v33
	v_sub_nc_u32_e32 v33, 29, v33
	v_lshlrev_b64 v[122:123], v122, v[18:19]
	s_delay_alu instid0(VALU_DEP_1)
	v_and_b32_e32 v18, 7, v122
; %bb.517:                              ;   in Loop: Header=BB454_8 Depth=1
	s_or_b32 exec_lo, exec_lo, s20
	v_lshlrev_b32_e32 v32, 24, v32
	s_delay_alu instid0(VALU_DEP_2) | instskip(SKIP_1) | instid1(VALU_DEP_3)
	v_lshlrev_b32_e32 v18, 20, v18
	v_lshl_add_u32 v33, v33, 23, 0x3c000000
	v_and_b32_e32 v32, 0x80000000, v32
	s_delay_alu instid0(VALU_DEP_1)
	v_or3_b32 v18, v18, v32, v33
.LBB454_518:                            ;   in Loop: Header=BB454_8 Depth=1
	s_or_b32 exec_lo, exec_lo, s19
.LBB454_519:                            ;   in Loop: Header=BB454_8 Depth=1
	s_delay_alu instid0(SALU_CYCLE_1)
	s_or_b32 exec_lo, exec_lo, s18
.LBB454_520:                            ;   in Loop: Header=BB454_8 Depth=1
	s_delay_alu instid0(SALU_CYCLE_1) | instskip(NEXT) | instid1(VALU_DEP_1)
	s_or_b32 exec_lo, exec_lo, s2
	v_mul_f32_e32 v18, v40, v18
                                        ; implicit-def: $vgpr122
	s_delay_alu instid0(VALU_DEP_1) | instskip(NEXT) | instid1(VALU_DEP_1)
	v_and_b32_e32 v32, 0x7f800000, v18
	v_cmp_ne_u32_e64 s1, 0x7f800000, v32
	s_delay_alu instid0(VALU_DEP_1) | instskip(NEXT) | instid1(SALU_CYCLE_1)
	s_and_saveexec_b32 s2, s1
	s_xor_b32 s1, exec_lo, s2
; %bb.521:                              ;   in Loop: Header=BB454_8 Depth=1
	v_bfe_u32 v32, v18, 16, 1
	s_delay_alu instid0(VALU_DEP_1)
	v_add3_u32 v122, v18, v32, 0x7fff
                                        ; implicit-def: $vgpr18
; %bb.522:                              ;   in Loop: Header=BB454_8 Depth=1
	s_and_not1_saveexec_b32 s2, s1
; %bb.523:                              ;   in Loop: Header=BB454_8 Depth=1
	v_and_b32_e32 v32, 0xffff, v18
	v_or_b32_e32 v33, 0x10000, v18
	s_delay_alu instid0(VALU_DEP_2) | instskip(NEXT) | instid1(VALU_DEP_1)
	v_cmp_eq_u32_e64 s1, 0, v32
	v_cndmask_b32_e64 v122, v33, v18, s1
; %bb.524:                              ;   in Loop: Header=BB454_8 Depth=1
	s_or_b32 exec_lo, exec_lo, s2
	v_mov_b32_e32 v18, 0
	s_mov_b32 s2, exec_lo
	v_cmpx_lt_u32_e32 0xffffff, v30
	s_cbranch_execz .LBB454_532
; %bb.525:                              ;   in Loop: Header=BB454_8 Depth=1
	v_lshrrev_b32_e32 v32, 24, v30
	v_bfrev_b32_e32 v18, 1
	s_mov_b32 s18, exec_lo
	s_delay_alu instid0(VALU_DEP_2)
	v_cmpx_ne_u32_e32 0x80, v32
	s_cbranch_execz .LBB454_531
; %bb.526:                              ;   in Loop: Header=BB454_8 Depth=1
	v_bfe_u32 v123, v30, 24, 7
	v_mov_b32_e32 v18, 0x7f800001
	s_mov_b32 s19, exec_lo
	s_delay_alu instid0(VALU_DEP_2)
	v_cmpx_ne_u32_e32 0x7f, v123
	s_cbranch_execz .LBB454_530
; %bb.527:                              ;   in Loop: Header=BB454_8 Depth=1
	v_and_b32_e32 v18, 7, v32
	v_lshrrev_b32_e32 v33, 3, v123
	s_mov_b32 s20, exec_lo
	v_cmpx_gt_u32_e32 8, v123
; %bb.528:                              ;   in Loop: Header=BB454_8 Depth=1
	s_delay_alu instid0(VALU_DEP_3) | instskip(NEXT) | instid1(VALU_DEP_1)
	v_clz_i32_u32_e32 v33, v18
	v_min_u32_e32 v33, 32, v33
	s_delay_alu instid0(VALU_DEP_1) | instskip(SKIP_1) | instid1(VALU_DEP_2)
	v_subrev_nc_u32_e32 v123, 28, v33
	v_sub_nc_u32_e32 v33, 29, v33
	v_lshlrev_b64 v[123:124], v123, v[18:19]
	s_delay_alu instid0(VALU_DEP_1)
	v_and_b32_e32 v18, 7, v123
; %bb.529:                              ;   in Loop: Header=BB454_8 Depth=1
	s_or_b32 exec_lo, exec_lo, s20
	v_lshlrev_b32_e32 v32, 24, v32
	s_delay_alu instid0(VALU_DEP_2) | instskip(SKIP_1) | instid1(VALU_DEP_3)
	v_lshlrev_b32_e32 v18, 20, v18
	v_lshl_add_u32 v33, v33, 23, 0x3c000000
	v_and_b32_e32 v32, 0x80000000, v32
	s_delay_alu instid0(VALU_DEP_1)
	v_or3_b32 v18, v18, v32, v33
.LBB454_530:                            ;   in Loop: Header=BB454_8 Depth=1
	s_or_b32 exec_lo, exec_lo, s19
.LBB454_531:                            ;   in Loop: Header=BB454_8 Depth=1
	s_delay_alu instid0(SALU_CYCLE_1)
	s_or_b32 exec_lo, exec_lo, s18
.LBB454_532:                            ;   in Loop: Header=BB454_8 Depth=1
	s_delay_alu instid0(SALU_CYCLE_1) | instskip(NEXT) | instid1(VALU_DEP_1)
	s_or_b32 exec_lo, exec_lo, s2
	v_mul_f32_e32 v18, v40, v18
                                        ; implicit-def: $vgpr123
	s_delay_alu instid0(VALU_DEP_1) | instskip(NEXT) | instid1(VALU_DEP_1)
	v_and_b32_e32 v32, 0x7f800000, v18
	v_cmp_ne_u32_e64 s1, 0x7f800000, v32
	s_delay_alu instid0(VALU_DEP_1) | instskip(NEXT) | instid1(SALU_CYCLE_1)
	s_and_saveexec_b32 s2, s1
	s_xor_b32 s1, exec_lo, s2
; %bb.533:                              ;   in Loop: Header=BB454_8 Depth=1
	v_bfe_u32 v32, v18, 16, 1
	s_delay_alu instid0(VALU_DEP_1)
	v_add3_u32 v123, v18, v32, 0x7fff
                                        ; implicit-def: $vgpr18
; %bb.534:                              ;   in Loop: Header=BB454_8 Depth=1
	s_and_not1_saveexec_b32 s2, s1
; %bb.535:                              ;   in Loop: Header=BB454_8 Depth=1
	v_and_b32_e32 v32, 0xffff, v18
	v_or_b32_e32 v33, 0x10000, v18
	s_delay_alu instid0(VALU_DEP_2) | instskip(NEXT) | instid1(VALU_DEP_1)
	v_cmp_eq_u32_e64 s1, 0, v32
	v_cndmask_b32_e64 v123, v33, v18, s1
; %bb.536:                              ;   in Loop: Header=BB454_8 Depth=1
	s_or_b32 exec_lo, exec_lo, s2
	v_dual_mov_b32 v18, v31 :: v_dual_and_b32 v33, 0xff, v31
	v_mov_b32_e32 v32, 0
	s_mov_b32 s2, exec_lo
	s_delay_alu instid0(VALU_DEP_2)
	v_cmpx_ne_u16_e32 0, v33
	s_cbranch_execz .LBB454_544
; %bb.537:                              ;   in Loop: Header=BB454_8 Depth=1
	v_bfrev_b32_e32 v32, 1
	s_mov_b32 s18, exec_lo
	v_cmpx_ne_u16_e32 0x80, v33
	s_cbranch_execz .LBB454_543
; %bb.538:                              ;   in Loop: Header=BB454_8 Depth=1
	v_and_b32_e32 v33, 0x7f, v31
	v_mov_b32_e32 v32, 0x7f800001
	s_mov_b32 s19, exec_lo
	s_delay_alu instid0(VALU_DEP_2)
	v_cmpx_ne_u32_e32 0x7f, v33
	s_cbranch_execz .LBB454_542
; %bb.539:                              ;   in Loop: Header=BB454_8 Depth=1
	v_lshrrev_b32_e32 v124, 3, v33
	v_cmp_gt_u32_e64 s1, 8, v33
	v_dual_mov_b32 v33, v19 :: v_dual_mov_b32 v32, v18
	s_delay_alu instid0(VALU_DEP_2)
	s_and_saveexec_b32 s20, s1
; %bb.540:                              ;   in Loop: Header=BB454_8 Depth=1
	v_and_b32_e32 v32, 7, v31
	s_delay_alu instid0(VALU_DEP_1) | instskip(NEXT) | instid1(VALU_DEP_1)
	v_clz_i32_u32_e32 v32, v32
	v_min_u32_e32 v124, 32, v32
	s_delay_alu instid0(VALU_DEP_1) | instskip(SKIP_1) | instid1(VALU_DEP_2)
	v_subrev_nc_u32_e32 v32, 28, v124
	v_sub_nc_u32_e32 v124, 29, v124
	v_lshlrev_b64 v[32:33], v32, v[18:19]
; %bb.541:                              ;   in Loop: Header=BB454_8 Depth=1
	s_or_b32 exec_lo, exec_lo, s20
	s_delay_alu instid0(VALU_DEP_1) | instskip(SKIP_2) | instid1(VALU_DEP_3)
	v_lshlrev_b32_e32 v32, 20, v32
	v_lshlrev_b32_e32 v33, 24, v18
	v_lshl_add_u32 v124, v124, 23, 0x3c000000
	v_and_b32_e32 v32, 0x700000, v32
	s_delay_alu instid0(VALU_DEP_3) | instskip(NEXT) | instid1(VALU_DEP_1)
	v_and_b32_e32 v33, 0x80000000, v33
	v_or3_b32 v32, v32, v33, v124
.LBB454_542:                            ;   in Loop: Header=BB454_8 Depth=1
	s_or_b32 exec_lo, exec_lo, s19
.LBB454_543:                            ;   in Loop: Header=BB454_8 Depth=1
	s_delay_alu instid0(SALU_CYCLE_1)
	s_or_b32 exec_lo, exec_lo, s18
.LBB454_544:                            ;   in Loop: Header=BB454_8 Depth=1
	s_delay_alu instid0(SALU_CYCLE_1) | instskip(NEXT) | instid1(VALU_DEP_1)
	s_or_b32 exec_lo, exec_lo, s2
	v_mul_f32_e32 v32, v40, v32
                                        ; implicit-def: $vgpr124
	s_delay_alu instid0(VALU_DEP_1) | instskip(NEXT) | instid1(VALU_DEP_1)
	v_and_b32_e32 v33, 0x7f800000, v32
	v_cmp_ne_u32_e64 s1, 0x7f800000, v33
	s_delay_alu instid0(VALU_DEP_1) | instskip(NEXT) | instid1(SALU_CYCLE_1)
	s_and_saveexec_b32 s2, s1
	s_xor_b32 s1, exec_lo, s2
; %bb.545:                              ;   in Loop: Header=BB454_8 Depth=1
	v_bfe_u32 v33, v32, 16, 1
	s_delay_alu instid0(VALU_DEP_1)
	v_add3_u32 v124, v32, v33, 0x7fff
                                        ; implicit-def: $vgpr32
; %bb.546:                              ;   in Loop: Header=BB454_8 Depth=1
	s_and_not1_saveexec_b32 s2, s1
; %bb.547:                              ;   in Loop: Header=BB454_8 Depth=1
	v_and_b32_e32 v33, 0xffff, v32
	v_or_b32_e32 v124, 0x10000, v32
	s_delay_alu instid0(VALU_DEP_2) | instskip(NEXT) | instid1(VALU_DEP_1)
	v_cmp_eq_u32_e64 s1, 0, v33
	v_cndmask_b32_e64 v124, v124, v32, s1
; %bb.548:                              ;   in Loop: Header=BB454_8 Depth=1
	s_or_b32 exec_lo, exec_lo, s2
	v_lshrrev_b16 v33, 8, v18
	v_mov_b32_e32 v32, 0
	s_mov_b32 s2, exec_lo
	s_delay_alu instid0(VALU_DEP_2)
	v_cmpx_ne_u16_e32 0, v33
	s_cbranch_execz .LBB454_556
; %bb.549:                              ;   in Loop: Header=BB454_8 Depth=1
	v_bfrev_b32_e32 v32, 1
	s_mov_b32 s18, exec_lo
	v_cmpx_ne_u16_e32 0x80, v33
	s_cbranch_execz .LBB454_555
; %bb.550:                              ;   in Loop: Header=BB454_8 Depth=1
	v_and_b32_e32 v33, 0xffff, v33
	v_mov_b32_e32 v32, 0x7f800001
	s_mov_b32 s19, exec_lo
	s_delay_alu instid0(VALU_DEP_2) | instskip(NEXT) | instid1(VALU_DEP_1)
	v_and_b32_e32 v126, 0x7f, v33
	v_cmpx_ne_u32_e32 0x7f, v126
	s_cbranch_execz .LBB454_554
; %bb.551:                              ;   in Loop: Header=BB454_8 Depth=1
	v_dual_mov_b32 v33, v19 :: v_dual_and_b32 v32, 7, v33
	v_lshrrev_b32_e32 v125, 3, v126
	s_mov_b32 s20, exec_lo
	v_cmpx_gt_u32_e32 8, v126
; %bb.552:                              ;   in Loop: Header=BB454_8 Depth=1
	s_delay_alu instid0(VALU_DEP_3) | instskip(NEXT) | instid1(VALU_DEP_1)
	v_clz_i32_u32_e32 v125, v32
	v_min_u32_e32 v125, 32, v125
	s_delay_alu instid0(VALU_DEP_1) | instskip(SKIP_1) | instid1(VALU_DEP_2)
	v_subrev_nc_u32_e32 v126, 28, v125
	v_sub_nc_u32_e32 v125, 29, v125
	v_lshlrev_b64 v[32:33], v126, v[32:33]
	s_delay_alu instid0(VALU_DEP_1)
	v_and_b32_e32 v32, 7, v32
; %bb.553:                              ;   in Loop: Header=BB454_8 Depth=1
	s_or_b32 exec_lo, exec_lo, s20
	v_lshlrev_b32_e32 v18, 16, v18
	s_delay_alu instid0(VALU_DEP_2) | instskip(SKIP_1) | instid1(VALU_DEP_3)
	v_lshlrev_b32_e32 v32, 20, v32
	v_lshl_add_u32 v33, v125, 23, 0x3c000000
	v_and_b32_e32 v18, 0x80000000, v18
	s_delay_alu instid0(VALU_DEP_1)
	v_or3_b32 v32, v32, v18, v33
.LBB454_554:                            ;   in Loop: Header=BB454_8 Depth=1
	s_or_b32 exec_lo, exec_lo, s19
.LBB454_555:                            ;   in Loop: Header=BB454_8 Depth=1
	s_delay_alu instid0(SALU_CYCLE_1)
	s_or_b32 exec_lo, exec_lo, s18
.LBB454_556:                            ;   in Loop: Header=BB454_8 Depth=1
	s_delay_alu instid0(SALU_CYCLE_1) | instskip(NEXT) | instid1(VALU_DEP_1)
	s_or_b32 exec_lo, exec_lo, s2
	v_mul_f32_e32 v18, v40, v32
                                        ; implicit-def: $vgpr125
	s_delay_alu instid0(VALU_DEP_1) | instskip(NEXT) | instid1(VALU_DEP_1)
	v_and_b32_e32 v32, 0x7f800000, v18
	v_cmp_ne_u32_e64 s1, 0x7f800000, v32
	s_delay_alu instid0(VALU_DEP_1) | instskip(NEXT) | instid1(SALU_CYCLE_1)
	s_and_saveexec_b32 s2, s1
	s_xor_b32 s1, exec_lo, s2
; %bb.557:                              ;   in Loop: Header=BB454_8 Depth=1
	v_bfe_u32 v32, v18, 16, 1
	s_delay_alu instid0(VALU_DEP_1)
	v_add3_u32 v125, v18, v32, 0x7fff
                                        ; implicit-def: $vgpr18
; %bb.558:                              ;   in Loop: Header=BB454_8 Depth=1
	s_and_not1_saveexec_b32 s2, s1
; %bb.559:                              ;   in Loop: Header=BB454_8 Depth=1
	v_and_b32_e32 v32, 0xffff, v18
	v_or_b32_e32 v33, 0x10000, v18
	s_delay_alu instid0(VALU_DEP_2) | instskip(NEXT) | instid1(VALU_DEP_1)
	v_cmp_eq_u32_e64 s1, 0, v32
	v_cndmask_b32_e64 v125, v33, v18, s1
; %bb.560:                              ;   in Loop: Header=BB454_8 Depth=1
	s_or_b32 exec_lo, exec_lo, s2
	v_lshrrev_b32_e32 v32, 16, v31
	s_mov_b32 s2, exec_lo
	s_delay_alu instid0(VALU_DEP_1) | instskip(NEXT) | instid1(VALU_DEP_1)
	v_dual_mov_b32 v18, 0 :: v_dual_and_b32 v33, 0xff, v32
	v_cmpx_ne_u16_e32 0, v33
	s_cbranch_execz .LBB454_568
; %bb.561:                              ;   in Loop: Header=BB454_8 Depth=1
	v_bfrev_b32_e32 v18, 1
	s_mov_b32 s18, exec_lo
	v_cmpx_ne_u16_e32 0x80, v33
	s_cbranch_execz .LBB454_567
; %bb.562:                              ;   in Loop: Header=BB454_8 Depth=1
	v_bfe_u32 v126, v31, 16, 7
	v_mov_b32_e32 v18, 0x7f800001
	s_mov_b32 s19, exec_lo
	s_delay_alu instid0(VALU_DEP_2)
	v_cmpx_ne_u32_e32 0x7f, v126
	s_cbranch_execz .LBB454_566
; %bb.563:                              ;   in Loop: Header=BB454_8 Depth=1
	v_and_b32_e32 v18, 7, v32
	v_lshrrev_b32_e32 v33, 3, v126
	s_mov_b32 s20, exec_lo
	v_cmpx_gt_u32_e32 8, v126
; %bb.564:                              ;   in Loop: Header=BB454_8 Depth=1
	s_delay_alu instid0(VALU_DEP_3) | instskip(NEXT) | instid1(VALU_DEP_1)
	v_clz_i32_u32_e32 v33, v18
	v_min_u32_e32 v33, 32, v33
	s_delay_alu instid0(VALU_DEP_1) | instskip(SKIP_1) | instid1(VALU_DEP_2)
	v_subrev_nc_u32_e32 v126, 28, v33
	v_sub_nc_u32_e32 v33, 29, v33
	v_lshlrev_b64 v[126:127], v126, v[18:19]
	s_delay_alu instid0(VALU_DEP_1)
	v_and_b32_e32 v18, 7, v126
; %bb.565:                              ;   in Loop: Header=BB454_8 Depth=1
	s_or_b32 exec_lo, exec_lo, s20
	v_lshlrev_b32_e32 v32, 24, v32
	s_delay_alu instid0(VALU_DEP_2) | instskip(SKIP_1) | instid1(VALU_DEP_3)
	v_lshlrev_b32_e32 v18, 20, v18
	v_lshl_add_u32 v33, v33, 23, 0x3c000000
	v_and_b32_e32 v32, 0x80000000, v32
	s_delay_alu instid0(VALU_DEP_1)
	v_or3_b32 v18, v18, v32, v33
.LBB454_566:                            ;   in Loop: Header=BB454_8 Depth=1
	s_or_b32 exec_lo, exec_lo, s19
.LBB454_567:                            ;   in Loop: Header=BB454_8 Depth=1
	s_delay_alu instid0(SALU_CYCLE_1)
	s_or_b32 exec_lo, exec_lo, s18
.LBB454_568:                            ;   in Loop: Header=BB454_8 Depth=1
	s_delay_alu instid0(SALU_CYCLE_1) | instskip(NEXT) | instid1(VALU_DEP_1)
	s_or_b32 exec_lo, exec_lo, s2
	v_mul_f32_e32 v18, v40, v18
                                        ; implicit-def: $vgpr126
	s_delay_alu instid0(VALU_DEP_1) | instskip(NEXT) | instid1(VALU_DEP_1)
	v_and_b32_e32 v32, 0x7f800000, v18
	v_cmp_ne_u32_e64 s1, 0x7f800000, v32
	s_delay_alu instid0(VALU_DEP_1) | instskip(NEXT) | instid1(SALU_CYCLE_1)
	s_and_saveexec_b32 s2, s1
	s_xor_b32 s1, exec_lo, s2
; %bb.569:                              ;   in Loop: Header=BB454_8 Depth=1
	v_bfe_u32 v32, v18, 16, 1
	s_delay_alu instid0(VALU_DEP_1)
	v_add3_u32 v126, v18, v32, 0x7fff
                                        ; implicit-def: $vgpr18
; %bb.570:                              ;   in Loop: Header=BB454_8 Depth=1
	s_and_not1_saveexec_b32 s2, s1
; %bb.571:                              ;   in Loop: Header=BB454_8 Depth=1
	v_and_b32_e32 v32, 0xffff, v18
	v_or_b32_e32 v33, 0x10000, v18
	s_delay_alu instid0(VALU_DEP_2) | instskip(NEXT) | instid1(VALU_DEP_1)
	v_cmp_eq_u32_e64 s1, 0, v32
	v_cndmask_b32_e64 v126, v33, v18, s1
; %bb.572:                              ;   in Loop: Header=BB454_8 Depth=1
	s_or_b32 exec_lo, exec_lo, s2
	v_mov_b32_e32 v18, 0
	s_mov_b32 s2, exec_lo
	v_cmpx_lt_u64_e64 s[8:9], v[30:31]
	s_cbranch_execz .LBB454_580
; %bb.573:                              ;   in Loop: Header=BB454_8 Depth=1
	v_lshrrev_b32_e32 v30, 24, v31
	v_bfrev_b32_e32 v18, 1
	s_mov_b32 s18, exec_lo
	s_delay_alu instid0(VALU_DEP_2)
	v_cmpx_ne_u32_e32 0x80, v30
	s_cbranch_execz .LBB454_579
; %bb.574:                              ;   in Loop: Header=BB454_8 Depth=1
	v_bfe_u32 v32, v31, 24, 7
	v_mov_b32_e32 v18, 0x7f800001
	s_mov_b32 s19, exec_lo
	s_delay_alu instid0(VALU_DEP_2)
	v_cmpx_ne_u32_e32 0x7f, v32
	s_cbranch_execz .LBB454_578
; %bb.575:                              ;   in Loop: Header=BB454_8 Depth=1
	v_and_b32_e32 v18, 7, v30
	v_lshrrev_b32_e32 v31, 3, v32
	s_mov_b32 s20, exec_lo
	v_cmpx_gt_u32_e32 8, v32
; %bb.576:                              ;   in Loop: Header=BB454_8 Depth=1
	s_delay_alu instid0(VALU_DEP_3) | instskip(NEXT) | instid1(VALU_DEP_1)
	v_clz_i32_u32_e32 v31, v18
	v_min_u32_e32 v31, 32, v31
	s_delay_alu instid0(VALU_DEP_1) | instskip(SKIP_1) | instid1(VALU_DEP_2)
	v_subrev_nc_u32_e32 v32, 28, v31
	v_sub_nc_u32_e32 v31, 29, v31
	v_lshlrev_b64 v[32:33], v32, v[18:19]
	s_delay_alu instid0(VALU_DEP_1)
	v_and_b32_e32 v18, 7, v32
; %bb.577:                              ;   in Loop: Header=BB454_8 Depth=1
	s_or_b32 exec_lo, exec_lo, s20
	v_lshlrev_b32_e32 v30, 24, v30
	s_delay_alu instid0(VALU_DEP_2) | instskip(SKIP_1) | instid1(VALU_DEP_3)
	v_lshlrev_b32_e32 v18, 20, v18
	v_lshl_add_u32 v31, v31, 23, 0x3c000000
	v_and_b32_e32 v30, 0x80000000, v30
	s_delay_alu instid0(VALU_DEP_1)
	v_or3_b32 v18, v18, v30, v31
.LBB454_578:                            ;   in Loop: Header=BB454_8 Depth=1
	s_or_b32 exec_lo, exec_lo, s19
.LBB454_579:                            ;   in Loop: Header=BB454_8 Depth=1
	s_delay_alu instid0(SALU_CYCLE_1)
	s_or_b32 exec_lo, exec_lo, s18
.LBB454_580:                            ;   in Loop: Header=BB454_8 Depth=1
	s_delay_alu instid0(SALU_CYCLE_1) | instskip(NEXT) | instid1(VALU_DEP_1)
	s_or_b32 exec_lo, exec_lo, s2
	v_mul_f32_e32 v18, v40, v18
                                        ; implicit-def: $vgpr127
	s_delay_alu instid0(VALU_DEP_1) | instskip(NEXT) | instid1(VALU_DEP_1)
	v_and_b32_e32 v30, 0x7f800000, v18
	v_cmp_ne_u32_e64 s1, 0x7f800000, v30
	s_delay_alu instid0(VALU_DEP_1) | instskip(NEXT) | instid1(SALU_CYCLE_1)
	s_and_saveexec_b32 s2, s1
	s_xor_b32 s1, exec_lo, s2
; %bb.581:                              ;   in Loop: Header=BB454_8 Depth=1
	v_bfe_u32 v30, v18, 16, 1
	s_delay_alu instid0(VALU_DEP_1)
	v_add3_u32 v127, v18, v30, 0x7fff
                                        ; implicit-def: $vgpr18
; %bb.582:                              ;   in Loop: Header=BB454_8 Depth=1
	s_and_not1_saveexec_b32 s2, s1
; %bb.583:                              ;   in Loop: Header=BB454_8 Depth=1
	v_and_b32_e32 v30, 0xffff, v18
	v_or_b32_e32 v31, 0x10000, v18
	s_delay_alu instid0(VALU_DEP_2) | instskip(NEXT) | instid1(VALU_DEP_1)
	v_cmp_eq_u32_e64 s1, 0, v30
	v_cndmask_b32_e64 v127, v31, v18, s1
; %bb.584:                              ;   in Loop: Header=BB454_8 Depth=1
	s_or_b32 exec_lo, exec_lo, s2
	flat_load_b64 v[30:31], v[28:29] offset:1536
	v_mov_b32_e32 v18, 0
	s_mov_b32 s2, exec_lo
	s_waitcnt vmcnt(0) lgkmcnt(0)
	v_and_b32_e32 v32, 0xff, v30
	s_delay_alu instid0(VALU_DEP_1)
	v_cmpx_ne_u16_e32 0, v32
	s_cbranch_execz .LBB454_592
; %bb.585:                              ;   in Loop: Header=BB454_8 Depth=1
	v_bfrev_b32_e32 v18, 1
	s_mov_b32 s18, exec_lo
	v_cmpx_ne_u16_e32 0x80, v32
	s_cbranch_execz .LBB454_591
; %bb.586:                              ;   in Loop: Header=BB454_8 Depth=1
	v_and_b32_e32 v32, 0x7f, v30
	v_mov_b32_e32 v18, 0x7f800001
	s_mov_b32 s19, exec_lo
	s_delay_alu instid0(VALU_DEP_2)
	v_cmpx_ne_u32_e32 0x7f, v32
	s_cbranch_execz .LBB454_590
; %bb.587:                              ;   in Loop: Header=BB454_8 Depth=1
	v_lshrrev_b32_e32 v18, 3, v32
	v_cmp_gt_u32_e64 s1, 8, v32
	v_dual_mov_b32 v33, v31 :: v_dual_mov_b32 v32, v30
	s_delay_alu instid0(VALU_DEP_2)
	s_and_saveexec_b32 s20, s1
; %bb.588:                              ;   in Loop: Header=BB454_8 Depth=1
	v_and_b32_e32 v18, 7, v30
	s_delay_alu instid0(VALU_DEP_1) | instskip(NEXT) | instid1(VALU_DEP_1)
	v_clz_i32_u32_e32 v18, v18
	v_min_u32_e32 v18, 32, v18
	s_delay_alu instid0(VALU_DEP_1) | instskip(SKIP_1) | instid1(VALU_DEP_2)
	v_subrev_nc_u32_e32 v32, 28, v18
	v_sub_nc_u32_e32 v18, 29, v18
	v_lshlrev_b64 v[32:33], v32, v[30:31]
; %bb.589:                              ;   in Loop: Header=BB454_8 Depth=1
	s_or_b32 exec_lo, exec_lo, s20
	s_delay_alu instid0(VALU_DEP_1) | instskip(SKIP_2) | instid1(VALU_DEP_3)
	v_lshlrev_b32_e32 v32, 20, v32
	v_lshlrev_b32_e32 v33, 24, v30
	v_lshl_add_u32 v18, v18, 23, 0x3c000000
	v_and_b32_e32 v32, 0x700000, v32
	s_delay_alu instid0(VALU_DEP_3) | instskip(NEXT) | instid1(VALU_DEP_1)
	v_and_b32_e32 v33, 0x80000000, v33
	v_or3_b32 v18, v32, v33, v18
.LBB454_590:                            ;   in Loop: Header=BB454_8 Depth=1
	s_or_b32 exec_lo, exec_lo, s19
.LBB454_591:                            ;   in Loop: Header=BB454_8 Depth=1
	s_delay_alu instid0(SALU_CYCLE_1)
	s_or_b32 exec_lo, exec_lo, s18
.LBB454_592:                            ;   in Loop: Header=BB454_8 Depth=1
	s_delay_alu instid0(SALU_CYCLE_1) | instskip(NEXT) | instid1(VALU_DEP_1)
	s_or_b32 exec_lo, exec_lo, s2
	v_mul_f32_e32 v18, v40, v18
                                        ; implicit-def: $vgpr136
	s_delay_alu instid0(VALU_DEP_1) | instskip(NEXT) | instid1(VALU_DEP_1)
	v_and_b32_e32 v32, 0x7f800000, v18
	v_cmp_ne_u32_e64 s1, 0x7f800000, v32
	s_delay_alu instid0(VALU_DEP_1) | instskip(NEXT) | instid1(SALU_CYCLE_1)
	s_and_saveexec_b32 s2, s1
	s_xor_b32 s1, exec_lo, s2
; %bb.593:                              ;   in Loop: Header=BB454_8 Depth=1
	v_bfe_u32 v32, v18, 16, 1
	s_delay_alu instid0(VALU_DEP_1)
	v_add3_u32 v136, v18, v32, 0x7fff
                                        ; implicit-def: $vgpr18
; %bb.594:                              ;   in Loop: Header=BB454_8 Depth=1
	s_and_not1_saveexec_b32 s2, s1
; %bb.595:                              ;   in Loop: Header=BB454_8 Depth=1
	v_and_b32_e32 v32, 0xffff, v18
	v_or_b32_e32 v33, 0x10000, v18
	s_delay_alu instid0(VALU_DEP_2) | instskip(NEXT) | instid1(VALU_DEP_1)
	v_cmp_eq_u32_e64 s1, 0, v32
	v_cndmask_b32_e64 v136, v33, v18, s1
; %bb.596:                              ;   in Loop: Header=BB454_8 Depth=1
	s_or_b32 exec_lo, exec_lo, s2
	v_lshrrev_b16 v32, 8, v30
	v_mov_b32_e32 v18, 0
	s_mov_b32 s2, exec_lo
	s_delay_alu instid0(VALU_DEP_2)
	v_cmpx_ne_u16_e32 0, v32
	s_cbranch_execz .LBB454_604
; %bb.597:                              ;   in Loop: Header=BB454_8 Depth=1
	v_bfrev_b32_e32 v18, 1
	s_mov_b32 s18, exec_lo
	v_cmpx_ne_u16_e32 0x80, v32
	s_cbranch_execz .LBB454_603
; %bb.598:                              ;   in Loop: Header=BB454_8 Depth=1
	v_and_b32_e32 v32, 0xffff, v32
	v_mov_b32_e32 v18, 0x7f800001
	s_mov_b32 s19, exec_lo
	s_delay_alu instid0(VALU_DEP_2) | instskip(NEXT) | instid1(VALU_DEP_1)
	v_and_b32_e32 v33, 0x7f, v32
	v_cmpx_ne_u32_e32 0x7f, v33
	s_cbranch_execz .LBB454_602
; %bb.599:                              ;   in Loop: Header=BB454_8 Depth=1
	v_and_b32_e32 v18, 7, v32
	v_lshrrev_b32_e32 v32, 3, v33
	s_mov_b32 s20, exec_lo
	v_cmpx_gt_u32_e32 8, v33
; %bb.600:                              ;   in Loop: Header=BB454_8 Depth=1
	s_delay_alu instid0(VALU_DEP_3) | instskip(NEXT) | instid1(VALU_DEP_1)
	v_clz_i32_u32_e32 v32, v18
	v_min_u32_e32 v32, 32, v32
	s_delay_alu instid0(VALU_DEP_1) | instskip(SKIP_1) | instid1(VALU_DEP_2)
	v_subrev_nc_u32_e32 v33, 28, v32
	v_sub_nc_u32_e32 v32, 29, v32
	v_lshlrev_b64 v[137:138], v33, v[18:19]
	s_delay_alu instid0(VALU_DEP_1)
	v_and_b32_e32 v18, 7, v137
; %bb.601:                              ;   in Loop: Header=BB454_8 Depth=1
	s_or_b32 exec_lo, exec_lo, s20
	v_lshlrev_b32_e32 v33, 16, v30
	s_delay_alu instid0(VALU_DEP_2) | instskip(SKIP_1) | instid1(VALU_DEP_3)
	v_lshlrev_b32_e32 v18, 20, v18
	v_lshl_add_u32 v32, v32, 23, 0x3c000000
	v_and_b32_e32 v33, 0x80000000, v33
	s_delay_alu instid0(VALU_DEP_1)
	v_or3_b32 v18, v18, v33, v32
.LBB454_602:                            ;   in Loop: Header=BB454_8 Depth=1
	s_or_b32 exec_lo, exec_lo, s19
.LBB454_603:                            ;   in Loop: Header=BB454_8 Depth=1
	s_delay_alu instid0(SALU_CYCLE_1)
	s_or_b32 exec_lo, exec_lo, s18
.LBB454_604:                            ;   in Loop: Header=BB454_8 Depth=1
	s_delay_alu instid0(SALU_CYCLE_1) | instskip(NEXT) | instid1(VALU_DEP_1)
	s_or_b32 exec_lo, exec_lo, s2
	v_mul_f32_e32 v18, v40, v18
                                        ; implicit-def: $vgpr137
	s_delay_alu instid0(VALU_DEP_1) | instskip(NEXT) | instid1(VALU_DEP_1)
	v_and_b32_e32 v32, 0x7f800000, v18
	v_cmp_ne_u32_e64 s1, 0x7f800000, v32
	s_delay_alu instid0(VALU_DEP_1) | instskip(NEXT) | instid1(SALU_CYCLE_1)
	s_and_saveexec_b32 s2, s1
	s_xor_b32 s1, exec_lo, s2
; %bb.605:                              ;   in Loop: Header=BB454_8 Depth=1
	v_bfe_u32 v32, v18, 16, 1
	s_delay_alu instid0(VALU_DEP_1)
	v_add3_u32 v137, v18, v32, 0x7fff
                                        ; implicit-def: $vgpr18
; %bb.606:                              ;   in Loop: Header=BB454_8 Depth=1
	s_and_not1_saveexec_b32 s2, s1
; %bb.607:                              ;   in Loop: Header=BB454_8 Depth=1
	v_and_b32_e32 v32, 0xffff, v18
	v_or_b32_e32 v33, 0x10000, v18
	s_delay_alu instid0(VALU_DEP_2) | instskip(NEXT) | instid1(VALU_DEP_1)
	v_cmp_eq_u32_e64 s1, 0, v32
	v_cndmask_b32_e64 v137, v33, v18, s1
; %bb.608:                              ;   in Loop: Header=BB454_8 Depth=1
	s_or_b32 exec_lo, exec_lo, s2
	v_lshrrev_b32_e32 v32, 16, v30
	s_mov_b32 s2, exec_lo
	s_delay_alu instid0(VALU_DEP_1) | instskip(NEXT) | instid1(VALU_DEP_1)
	v_dual_mov_b32 v18, 0 :: v_dual_and_b32 v33, 0xff, v32
	v_cmpx_ne_u16_e32 0, v33
	s_cbranch_execz .LBB454_616
; %bb.609:                              ;   in Loop: Header=BB454_8 Depth=1
	v_bfrev_b32_e32 v18, 1
	s_mov_b32 s18, exec_lo
	v_cmpx_ne_u16_e32 0x80, v33
	s_cbranch_execz .LBB454_615
; %bb.610:                              ;   in Loop: Header=BB454_8 Depth=1
	v_bfe_u32 v138, v30, 16, 7
	v_mov_b32_e32 v18, 0x7f800001
	s_mov_b32 s19, exec_lo
	s_delay_alu instid0(VALU_DEP_2)
	v_cmpx_ne_u32_e32 0x7f, v138
	s_cbranch_execz .LBB454_614
; %bb.611:                              ;   in Loop: Header=BB454_8 Depth=1
	v_and_b32_e32 v18, 7, v32
	v_lshrrev_b32_e32 v33, 3, v138
	s_mov_b32 s20, exec_lo
	v_cmpx_gt_u32_e32 8, v138
; %bb.612:                              ;   in Loop: Header=BB454_8 Depth=1
	s_delay_alu instid0(VALU_DEP_3) | instskip(NEXT) | instid1(VALU_DEP_1)
	v_clz_i32_u32_e32 v33, v18
	v_min_u32_e32 v33, 32, v33
	s_delay_alu instid0(VALU_DEP_1) | instskip(SKIP_1) | instid1(VALU_DEP_2)
	v_subrev_nc_u32_e32 v138, 28, v33
	v_sub_nc_u32_e32 v33, 29, v33
	v_lshlrev_b64 v[138:139], v138, v[18:19]
	s_delay_alu instid0(VALU_DEP_1)
	v_and_b32_e32 v18, 7, v138
; %bb.613:                              ;   in Loop: Header=BB454_8 Depth=1
	s_or_b32 exec_lo, exec_lo, s20
	v_lshlrev_b32_e32 v32, 24, v32
	s_delay_alu instid0(VALU_DEP_2) | instskip(SKIP_1) | instid1(VALU_DEP_3)
	v_lshlrev_b32_e32 v18, 20, v18
	v_lshl_add_u32 v33, v33, 23, 0x3c000000
	v_and_b32_e32 v32, 0x80000000, v32
	s_delay_alu instid0(VALU_DEP_1)
	v_or3_b32 v18, v18, v32, v33
.LBB454_614:                            ;   in Loop: Header=BB454_8 Depth=1
	s_or_b32 exec_lo, exec_lo, s19
.LBB454_615:                            ;   in Loop: Header=BB454_8 Depth=1
	s_delay_alu instid0(SALU_CYCLE_1)
	s_or_b32 exec_lo, exec_lo, s18
.LBB454_616:                            ;   in Loop: Header=BB454_8 Depth=1
	s_delay_alu instid0(SALU_CYCLE_1) | instskip(NEXT) | instid1(VALU_DEP_1)
	s_or_b32 exec_lo, exec_lo, s2
	v_mul_f32_e32 v18, v40, v18
                                        ; implicit-def: $vgpr138
	s_delay_alu instid0(VALU_DEP_1) | instskip(NEXT) | instid1(VALU_DEP_1)
	v_and_b32_e32 v32, 0x7f800000, v18
	v_cmp_ne_u32_e64 s1, 0x7f800000, v32
	s_delay_alu instid0(VALU_DEP_1) | instskip(NEXT) | instid1(SALU_CYCLE_1)
	s_and_saveexec_b32 s2, s1
	s_xor_b32 s1, exec_lo, s2
; %bb.617:                              ;   in Loop: Header=BB454_8 Depth=1
	v_bfe_u32 v32, v18, 16, 1
	s_delay_alu instid0(VALU_DEP_1)
	v_add3_u32 v138, v18, v32, 0x7fff
                                        ; implicit-def: $vgpr18
; %bb.618:                              ;   in Loop: Header=BB454_8 Depth=1
	s_and_not1_saveexec_b32 s2, s1
; %bb.619:                              ;   in Loop: Header=BB454_8 Depth=1
	v_and_b32_e32 v32, 0xffff, v18
	v_or_b32_e32 v33, 0x10000, v18
	s_delay_alu instid0(VALU_DEP_2) | instskip(NEXT) | instid1(VALU_DEP_1)
	v_cmp_eq_u32_e64 s1, 0, v32
	v_cndmask_b32_e64 v138, v33, v18, s1
; %bb.620:                              ;   in Loop: Header=BB454_8 Depth=1
	s_or_b32 exec_lo, exec_lo, s2
	v_mov_b32_e32 v18, 0
	s_mov_b32 s2, exec_lo
	v_cmpx_lt_u32_e32 0xffffff, v30
	s_cbranch_execz .LBB454_628
; %bb.621:                              ;   in Loop: Header=BB454_8 Depth=1
	v_lshrrev_b32_e32 v32, 24, v30
	v_bfrev_b32_e32 v18, 1
	s_mov_b32 s18, exec_lo
	s_delay_alu instid0(VALU_DEP_2)
	v_cmpx_ne_u32_e32 0x80, v32
	s_cbranch_execz .LBB454_627
; %bb.622:                              ;   in Loop: Header=BB454_8 Depth=1
	v_bfe_u32 v139, v30, 24, 7
	v_mov_b32_e32 v18, 0x7f800001
	s_mov_b32 s19, exec_lo
	s_delay_alu instid0(VALU_DEP_2)
	v_cmpx_ne_u32_e32 0x7f, v139
	s_cbranch_execz .LBB454_626
; %bb.623:                              ;   in Loop: Header=BB454_8 Depth=1
	v_and_b32_e32 v18, 7, v32
	v_lshrrev_b32_e32 v33, 3, v139
	s_mov_b32 s20, exec_lo
	v_cmpx_gt_u32_e32 8, v139
; %bb.624:                              ;   in Loop: Header=BB454_8 Depth=1
	s_delay_alu instid0(VALU_DEP_3) | instskip(NEXT) | instid1(VALU_DEP_1)
	v_clz_i32_u32_e32 v33, v18
	v_min_u32_e32 v33, 32, v33
	s_delay_alu instid0(VALU_DEP_1) | instskip(SKIP_1) | instid1(VALU_DEP_2)
	v_subrev_nc_u32_e32 v139, 28, v33
	v_sub_nc_u32_e32 v33, 29, v33
	v_lshlrev_b64 v[139:140], v139, v[18:19]
	s_delay_alu instid0(VALU_DEP_1)
	v_and_b32_e32 v18, 7, v139
; %bb.625:                              ;   in Loop: Header=BB454_8 Depth=1
	s_or_b32 exec_lo, exec_lo, s20
	v_lshlrev_b32_e32 v32, 24, v32
	s_delay_alu instid0(VALU_DEP_2) | instskip(SKIP_1) | instid1(VALU_DEP_3)
	v_lshlrev_b32_e32 v18, 20, v18
	v_lshl_add_u32 v33, v33, 23, 0x3c000000
	v_and_b32_e32 v32, 0x80000000, v32
	s_delay_alu instid0(VALU_DEP_1)
	v_or3_b32 v18, v18, v32, v33
.LBB454_626:                            ;   in Loop: Header=BB454_8 Depth=1
	s_or_b32 exec_lo, exec_lo, s19
.LBB454_627:                            ;   in Loop: Header=BB454_8 Depth=1
	s_delay_alu instid0(SALU_CYCLE_1)
	s_or_b32 exec_lo, exec_lo, s18
.LBB454_628:                            ;   in Loop: Header=BB454_8 Depth=1
	s_delay_alu instid0(SALU_CYCLE_1) | instskip(NEXT) | instid1(VALU_DEP_1)
	s_or_b32 exec_lo, exec_lo, s2
	v_mul_f32_e32 v18, v40, v18
                                        ; implicit-def: $vgpr139
	s_delay_alu instid0(VALU_DEP_1) | instskip(NEXT) | instid1(VALU_DEP_1)
	v_and_b32_e32 v32, 0x7f800000, v18
	v_cmp_ne_u32_e64 s1, 0x7f800000, v32
	s_delay_alu instid0(VALU_DEP_1) | instskip(NEXT) | instid1(SALU_CYCLE_1)
	s_and_saveexec_b32 s2, s1
	s_xor_b32 s1, exec_lo, s2
; %bb.629:                              ;   in Loop: Header=BB454_8 Depth=1
	v_bfe_u32 v32, v18, 16, 1
	s_delay_alu instid0(VALU_DEP_1)
	v_add3_u32 v139, v18, v32, 0x7fff
                                        ; implicit-def: $vgpr18
; %bb.630:                              ;   in Loop: Header=BB454_8 Depth=1
	s_and_not1_saveexec_b32 s2, s1
; %bb.631:                              ;   in Loop: Header=BB454_8 Depth=1
	v_and_b32_e32 v32, 0xffff, v18
	v_or_b32_e32 v33, 0x10000, v18
	s_delay_alu instid0(VALU_DEP_2) | instskip(NEXT) | instid1(VALU_DEP_1)
	v_cmp_eq_u32_e64 s1, 0, v32
	v_cndmask_b32_e64 v139, v33, v18, s1
; %bb.632:                              ;   in Loop: Header=BB454_8 Depth=1
	s_or_b32 exec_lo, exec_lo, s2
	v_dual_mov_b32 v18, v31 :: v_dual_and_b32 v33, 0xff, v31
	v_mov_b32_e32 v32, 0
	s_mov_b32 s2, exec_lo
	s_delay_alu instid0(VALU_DEP_2)
	v_cmpx_ne_u16_e32 0, v33
	s_cbranch_execz .LBB454_640
; %bb.633:                              ;   in Loop: Header=BB454_8 Depth=1
	v_bfrev_b32_e32 v32, 1
	s_mov_b32 s18, exec_lo
	v_cmpx_ne_u16_e32 0x80, v33
	s_cbranch_execz .LBB454_639
; %bb.634:                              ;   in Loop: Header=BB454_8 Depth=1
	v_and_b32_e32 v33, 0x7f, v31
	v_mov_b32_e32 v32, 0x7f800001
	s_mov_b32 s19, exec_lo
	s_delay_alu instid0(VALU_DEP_2)
	v_cmpx_ne_u32_e32 0x7f, v33
	s_cbranch_execz .LBB454_638
; %bb.635:                              ;   in Loop: Header=BB454_8 Depth=1
	v_lshrrev_b32_e32 v140, 3, v33
	v_cmp_gt_u32_e64 s1, 8, v33
	v_dual_mov_b32 v33, v19 :: v_dual_mov_b32 v32, v18
	s_delay_alu instid0(VALU_DEP_2)
	s_and_saveexec_b32 s20, s1
; %bb.636:                              ;   in Loop: Header=BB454_8 Depth=1
	v_and_b32_e32 v32, 7, v31
	s_delay_alu instid0(VALU_DEP_1) | instskip(NEXT) | instid1(VALU_DEP_1)
	v_clz_i32_u32_e32 v32, v32
	v_min_u32_e32 v140, 32, v32
	s_delay_alu instid0(VALU_DEP_1) | instskip(SKIP_1) | instid1(VALU_DEP_2)
	v_subrev_nc_u32_e32 v32, 28, v140
	v_sub_nc_u32_e32 v140, 29, v140
	v_lshlrev_b64 v[32:33], v32, v[18:19]
; %bb.637:                              ;   in Loop: Header=BB454_8 Depth=1
	s_or_b32 exec_lo, exec_lo, s20
	s_delay_alu instid0(VALU_DEP_1) | instskip(SKIP_2) | instid1(VALU_DEP_3)
	v_lshlrev_b32_e32 v32, 20, v32
	v_lshlrev_b32_e32 v33, 24, v18
	v_lshl_add_u32 v140, v140, 23, 0x3c000000
	v_and_b32_e32 v32, 0x700000, v32
	s_delay_alu instid0(VALU_DEP_3) | instskip(NEXT) | instid1(VALU_DEP_1)
	v_and_b32_e32 v33, 0x80000000, v33
	v_or3_b32 v32, v32, v33, v140
.LBB454_638:                            ;   in Loop: Header=BB454_8 Depth=1
	s_or_b32 exec_lo, exec_lo, s19
.LBB454_639:                            ;   in Loop: Header=BB454_8 Depth=1
	s_delay_alu instid0(SALU_CYCLE_1)
	s_or_b32 exec_lo, exec_lo, s18
.LBB454_640:                            ;   in Loop: Header=BB454_8 Depth=1
	s_delay_alu instid0(SALU_CYCLE_1) | instskip(NEXT) | instid1(VALU_DEP_1)
	s_or_b32 exec_lo, exec_lo, s2
	v_mul_f32_e32 v32, v40, v32
                                        ; implicit-def: $vgpr140
	s_delay_alu instid0(VALU_DEP_1) | instskip(NEXT) | instid1(VALU_DEP_1)
	v_and_b32_e32 v33, 0x7f800000, v32
	v_cmp_ne_u32_e64 s1, 0x7f800000, v33
	s_delay_alu instid0(VALU_DEP_1) | instskip(NEXT) | instid1(SALU_CYCLE_1)
	s_and_saveexec_b32 s2, s1
	s_xor_b32 s1, exec_lo, s2
; %bb.641:                              ;   in Loop: Header=BB454_8 Depth=1
	v_bfe_u32 v33, v32, 16, 1
	s_delay_alu instid0(VALU_DEP_1)
	v_add3_u32 v140, v32, v33, 0x7fff
                                        ; implicit-def: $vgpr32
; %bb.642:                              ;   in Loop: Header=BB454_8 Depth=1
	s_and_not1_saveexec_b32 s2, s1
; %bb.643:                              ;   in Loop: Header=BB454_8 Depth=1
	v_and_b32_e32 v33, 0xffff, v32
	v_or_b32_e32 v140, 0x10000, v32
	s_delay_alu instid0(VALU_DEP_2) | instskip(NEXT) | instid1(VALU_DEP_1)
	v_cmp_eq_u32_e64 s1, 0, v33
	v_cndmask_b32_e64 v140, v140, v32, s1
; %bb.644:                              ;   in Loop: Header=BB454_8 Depth=1
	s_or_b32 exec_lo, exec_lo, s2
	v_lshrrev_b16 v33, 8, v18
	v_mov_b32_e32 v32, 0
	s_mov_b32 s2, exec_lo
	s_delay_alu instid0(VALU_DEP_2)
	v_cmpx_ne_u16_e32 0, v33
	s_cbranch_execz .LBB454_652
; %bb.645:                              ;   in Loop: Header=BB454_8 Depth=1
	v_bfrev_b32_e32 v32, 1
	s_mov_b32 s18, exec_lo
	v_cmpx_ne_u16_e32 0x80, v33
	s_cbranch_execz .LBB454_651
; %bb.646:                              ;   in Loop: Header=BB454_8 Depth=1
	v_and_b32_e32 v33, 0xffff, v33
	v_mov_b32_e32 v32, 0x7f800001
	s_mov_b32 s19, exec_lo
	s_delay_alu instid0(VALU_DEP_2) | instskip(NEXT) | instid1(VALU_DEP_1)
	v_and_b32_e32 v142, 0x7f, v33
	v_cmpx_ne_u32_e32 0x7f, v142
	s_cbranch_execz .LBB454_650
; %bb.647:                              ;   in Loop: Header=BB454_8 Depth=1
	v_dual_mov_b32 v33, v19 :: v_dual_and_b32 v32, 7, v33
	v_lshrrev_b32_e32 v141, 3, v142
	s_mov_b32 s20, exec_lo
	v_cmpx_gt_u32_e32 8, v142
; %bb.648:                              ;   in Loop: Header=BB454_8 Depth=1
	s_delay_alu instid0(VALU_DEP_3) | instskip(NEXT) | instid1(VALU_DEP_1)
	v_clz_i32_u32_e32 v141, v32
	v_min_u32_e32 v141, 32, v141
	s_delay_alu instid0(VALU_DEP_1) | instskip(SKIP_1) | instid1(VALU_DEP_2)
	v_subrev_nc_u32_e32 v142, 28, v141
	v_sub_nc_u32_e32 v141, 29, v141
	v_lshlrev_b64 v[32:33], v142, v[32:33]
	s_delay_alu instid0(VALU_DEP_1)
	v_and_b32_e32 v32, 7, v32
; %bb.649:                              ;   in Loop: Header=BB454_8 Depth=1
	s_or_b32 exec_lo, exec_lo, s20
	v_lshlrev_b32_e32 v18, 16, v18
	s_delay_alu instid0(VALU_DEP_2) | instskip(SKIP_1) | instid1(VALU_DEP_3)
	v_lshlrev_b32_e32 v32, 20, v32
	v_lshl_add_u32 v33, v141, 23, 0x3c000000
	v_and_b32_e32 v18, 0x80000000, v18
	s_delay_alu instid0(VALU_DEP_1)
	v_or3_b32 v32, v32, v18, v33
.LBB454_650:                            ;   in Loop: Header=BB454_8 Depth=1
	s_or_b32 exec_lo, exec_lo, s19
.LBB454_651:                            ;   in Loop: Header=BB454_8 Depth=1
	s_delay_alu instid0(SALU_CYCLE_1)
	s_or_b32 exec_lo, exec_lo, s18
.LBB454_652:                            ;   in Loop: Header=BB454_8 Depth=1
	s_delay_alu instid0(SALU_CYCLE_1) | instskip(NEXT) | instid1(VALU_DEP_1)
	s_or_b32 exec_lo, exec_lo, s2
	v_mul_f32_e32 v18, v40, v32
	s_delay_alu instid0(VALU_DEP_1) | instskip(NEXT) | instid1(VALU_DEP_1)
	v_and_b32_e32 v32, 0x7f800000, v18
	v_cmp_ne_u32_e64 s1, 0x7f800000, v32
                                        ; implicit-def: $vgpr32
	s_delay_alu instid0(VALU_DEP_1) | instskip(NEXT) | instid1(SALU_CYCLE_1)
	s_and_saveexec_b32 s2, s1
	s_xor_b32 s1, exec_lo, s2
; %bb.653:                              ;   in Loop: Header=BB454_8 Depth=1
	v_bfe_u32 v32, v18, 16, 1
	s_delay_alu instid0(VALU_DEP_1)
	v_add3_u32 v32, v18, v32, 0x7fff
                                        ; implicit-def: $vgpr18
; %bb.654:                              ;   in Loop: Header=BB454_8 Depth=1
	s_and_not1_saveexec_b32 s2, s1
; %bb.655:                              ;   in Loop: Header=BB454_8 Depth=1
	v_and_b32_e32 v32, 0xffff, v18
	v_or_b32_e32 v33, 0x10000, v18
	s_delay_alu instid0(VALU_DEP_2) | instskip(NEXT) | instid1(VALU_DEP_1)
	v_cmp_eq_u32_e64 s1, 0, v32
	v_cndmask_b32_e64 v32, v33, v18, s1
; %bb.656:                              ;   in Loop: Header=BB454_8 Depth=1
	s_or_b32 exec_lo, exec_lo, s2
	v_lshrrev_b32_e32 v33, 16, v31
	s_mov_b32 s2, exec_lo
	s_delay_alu instid0(VALU_DEP_1) | instskip(NEXT) | instid1(VALU_DEP_1)
	v_dual_mov_b32 v18, 0 :: v_dual_and_b32 v141, 0xff, v33
	v_cmpx_ne_u16_e64 0, v141
	s_cbranch_execz .LBB454_664
; %bb.657:                              ;   in Loop: Header=BB454_8 Depth=1
	v_bfrev_b32_e32 v18, 1
	s_mov_b32 s18, exec_lo
	v_cmpx_ne_u16_e64 0x80, v141
	s_cbranch_execz .LBB454_663
; %bb.658:                              ;   in Loop: Header=BB454_8 Depth=1
	v_bfe_u32 v142, v31, 16, 7
	v_mov_b32_e32 v18, 0x7f800001
	s_mov_b32 s19, exec_lo
	s_delay_alu instid0(VALU_DEP_2)
	v_cmpx_ne_u32_e32 0x7f, v142
	s_cbranch_execz .LBB454_662
; %bb.659:                              ;   in Loop: Header=BB454_8 Depth=1
	v_and_b32_e32 v18, 7, v33
	v_lshrrev_b32_e32 v141, 3, v142
	s_mov_b32 s20, exec_lo
	v_cmpx_gt_u32_e32 8, v142
; %bb.660:                              ;   in Loop: Header=BB454_8 Depth=1
	s_delay_alu instid0(VALU_DEP_3) | instskip(NEXT) | instid1(VALU_DEP_1)
	v_clz_i32_u32_e32 v141, v18
	v_min_u32_e32 v141, 32, v141
	s_delay_alu instid0(VALU_DEP_1) | instskip(SKIP_1) | instid1(VALU_DEP_2)
	v_subrev_nc_u32_e32 v142, 28, v141
	v_sub_nc_u32_e32 v141, 29, v141
	v_lshlrev_b64 v[142:143], v142, v[18:19]
	s_delay_alu instid0(VALU_DEP_1)
	v_and_b32_e32 v18, 7, v142
; %bb.661:                              ;   in Loop: Header=BB454_8 Depth=1
	s_or_b32 exec_lo, exec_lo, s20
	v_lshlrev_b32_e32 v33, 24, v33
	s_delay_alu instid0(VALU_DEP_2) | instskip(SKIP_1) | instid1(VALU_DEP_3)
	v_lshlrev_b32_e32 v18, 20, v18
	v_lshl_add_u32 v141, v141, 23, 0x3c000000
	v_and_b32_e32 v33, 0x80000000, v33
	s_delay_alu instid0(VALU_DEP_1)
	v_or3_b32 v18, v18, v33, v141
.LBB454_662:                            ;   in Loop: Header=BB454_8 Depth=1
	s_or_b32 exec_lo, exec_lo, s19
.LBB454_663:                            ;   in Loop: Header=BB454_8 Depth=1
	s_delay_alu instid0(SALU_CYCLE_1)
	s_or_b32 exec_lo, exec_lo, s18
.LBB454_664:                            ;   in Loop: Header=BB454_8 Depth=1
	s_delay_alu instid0(SALU_CYCLE_1) | instskip(NEXT) | instid1(VALU_DEP_1)
	s_or_b32 exec_lo, exec_lo, s2
	v_mul_f32_e32 v18, v40, v18
	s_delay_alu instid0(VALU_DEP_1) | instskip(NEXT) | instid1(VALU_DEP_1)
	v_and_b32_e32 v33, 0x7f800000, v18
	v_cmp_ne_u32_e64 s1, 0x7f800000, v33
                                        ; implicit-def: $vgpr33
	s_delay_alu instid0(VALU_DEP_1) | instskip(NEXT) | instid1(SALU_CYCLE_1)
	s_and_saveexec_b32 s2, s1
	s_xor_b32 s1, exec_lo, s2
; %bb.665:                              ;   in Loop: Header=BB454_8 Depth=1
	v_bfe_u32 v33, v18, 16, 1
	s_delay_alu instid0(VALU_DEP_1)
	v_add3_u32 v33, v18, v33, 0x7fff
                                        ; implicit-def: $vgpr18
; %bb.666:                              ;   in Loop: Header=BB454_8 Depth=1
	s_and_not1_saveexec_b32 s2, s1
; %bb.667:                              ;   in Loop: Header=BB454_8 Depth=1
	v_and_b32_e32 v33, 0xffff, v18
	v_or_b32_e32 v141, 0x10000, v18
	s_delay_alu instid0(VALU_DEP_2) | instskip(NEXT) | instid1(VALU_DEP_1)
	v_cmp_eq_u32_e64 s1, 0, v33
	v_cndmask_b32_e64 v33, v141, v18, s1
; %bb.668:                              ;   in Loop: Header=BB454_8 Depth=1
	s_or_b32 exec_lo, exec_lo, s2
	v_mov_b32_e32 v18, 0
	s_mov_b32 s2, exec_lo
	v_cmpx_lt_u64_e64 s[8:9], v[30:31]
	s_cbranch_execz .LBB454_676
; %bb.669:                              ;   in Loop: Header=BB454_8 Depth=1
	v_lshrrev_b32_e32 v30, 24, v31
	v_bfrev_b32_e32 v18, 1
	s_mov_b32 s18, exec_lo
	s_delay_alu instid0(VALU_DEP_2)
	v_cmpx_ne_u32_e32 0x80, v30
	s_cbranch_execz .LBB454_675
; %bb.670:                              ;   in Loop: Header=BB454_8 Depth=1
	v_bfe_u32 v141, v31, 24, 7
	v_mov_b32_e32 v18, 0x7f800001
	s_mov_b32 s19, exec_lo
	s_delay_alu instid0(VALU_DEP_2)
	v_cmpx_ne_u32_e32 0x7f, v141
	s_cbranch_execz .LBB454_674
; %bb.671:                              ;   in Loop: Header=BB454_8 Depth=1
	v_and_b32_e32 v18, 7, v30
	v_lshrrev_b32_e32 v31, 3, v141
	s_mov_b32 s20, exec_lo
	v_cmpx_gt_u32_e32 8, v141
; %bb.672:                              ;   in Loop: Header=BB454_8 Depth=1
	s_delay_alu instid0(VALU_DEP_3) | instskip(NEXT) | instid1(VALU_DEP_1)
	v_clz_i32_u32_e32 v31, v18
	v_min_u32_e32 v31, 32, v31
	s_delay_alu instid0(VALU_DEP_1) | instskip(SKIP_1) | instid1(VALU_DEP_2)
	v_subrev_nc_u32_e32 v141, 28, v31
	v_sub_nc_u32_e32 v31, 29, v31
	v_lshlrev_b64 v[141:142], v141, v[18:19]
	s_delay_alu instid0(VALU_DEP_1)
	v_and_b32_e32 v18, 7, v141
; %bb.673:                              ;   in Loop: Header=BB454_8 Depth=1
	s_or_b32 exec_lo, exec_lo, s20
	v_lshlrev_b32_e32 v30, 24, v30
	s_delay_alu instid0(VALU_DEP_2) | instskip(SKIP_1) | instid1(VALU_DEP_3)
	v_lshlrev_b32_e32 v18, 20, v18
	v_lshl_add_u32 v31, v31, 23, 0x3c000000
	v_and_b32_e32 v30, 0x80000000, v30
	s_delay_alu instid0(VALU_DEP_1)
	v_or3_b32 v18, v18, v30, v31
.LBB454_674:                            ;   in Loop: Header=BB454_8 Depth=1
	s_or_b32 exec_lo, exec_lo, s19
.LBB454_675:                            ;   in Loop: Header=BB454_8 Depth=1
	s_delay_alu instid0(SALU_CYCLE_1)
	s_or_b32 exec_lo, exec_lo, s18
.LBB454_676:                            ;   in Loop: Header=BB454_8 Depth=1
	s_delay_alu instid0(SALU_CYCLE_1) | instskip(NEXT) | instid1(VALU_DEP_1)
	s_or_b32 exec_lo, exec_lo, s2
	v_mul_f32_e32 v18, v40, v18
                                        ; implicit-def: $vgpr141
	s_delay_alu instid0(VALU_DEP_1) | instskip(NEXT) | instid1(VALU_DEP_1)
	v_and_b32_e32 v30, 0x7f800000, v18
	v_cmp_ne_u32_e64 s1, 0x7f800000, v30
	s_delay_alu instid0(VALU_DEP_1) | instskip(NEXT) | instid1(SALU_CYCLE_1)
	s_and_saveexec_b32 s2, s1
	s_xor_b32 s1, exec_lo, s2
; %bb.677:                              ;   in Loop: Header=BB454_8 Depth=1
	v_bfe_u32 v30, v18, 16, 1
	s_delay_alu instid0(VALU_DEP_1)
	v_add3_u32 v141, v18, v30, 0x7fff
                                        ; implicit-def: $vgpr18
; %bb.678:                              ;   in Loop: Header=BB454_8 Depth=1
	s_and_not1_saveexec_b32 s2, s1
; %bb.679:                              ;   in Loop: Header=BB454_8 Depth=1
	v_and_b32_e32 v30, 0xffff, v18
	v_or_b32_e32 v31, 0x10000, v18
	s_delay_alu instid0(VALU_DEP_2) | instskip(NEXT) | instid1(VALU_DEP_1)
	v_cmp_eq_u32_e64 s1, 0, v30
	v_cndmask_b32_e64 v141, v31, v18, s1
; %bb.680:                              ;   in Loop: Header=BB454_8 Depth=1
	s_or_b32 exec_lo, exec_lo, s2
	flat_load_b64 v[28:29], v[28:29] offset:1544
	v_mov_b32_e32 v18, 0
	s_mov_b32 s2, exec_lo
	s_waitcnt vmcnt(0) lgkmcnt(0)
	v_and_b32_e32 v30, 0xff, v28
	s_delay_alu instid0(VALU_DEP_1)
	v_cmpx_ne_u16_e32 0, v30
	s_cbranch_execz .LBB454_688
; %bb.681:                              ;   in Loop: Header=BB454_8 Depth=1
	v_bfrev_b32_e32 v18, 1
	s_mov_b32 s18, exec_lo
	v_cmpx_ne_u16_e32 0x80, v30
	s_cbranch_execz .LBB454_687
; %bb.682:                              ;   in Loop: Header=BB454_8 Depth=1
	v_and_b32_e32 v30, 0x7f, v28
	v_mov_b32_e32 v18, 0x7f800001
	s_mov_b32 s19, exec_lo
	s_delay_alu instid0(VALU_DEP_2)
	v_cmpx_ne_u32_e32 0x7f, v30
	s_cbranch_execz .LBB454_686
; %bb.683:                              ;   in Loop: Header=BB454_8 Depth=1
	v_lshrrev_b32_e32 v18, 3, v30
	v_cmp_gt_u32_e64 s1, 8, v30
	v_dual_mov_b32 v31, v29 :: v_dual_mov_b32 v30, v28
	s_delay_alu instid0(VALU_DEP_2)
	s_and_saveexec_b32 s20, s1
; %bb.684:                              ;   in Loop: Header=BB454_8 Depth=1
	v_and_b32_e32 v18, 7, v28
	s_delay_alu instid0(VALU_DEP_1) | instskip(NEXT) | instid1(VALU_DEP_1)
	v_clz_i32_u32_e32 v18, v18
	v_min_u32_e32 v18, 32, v18
	s_delay_alu instid0(VALU_DEP_1) | instskip(SKIP_1) | instid1(VALU_DEP_2)
	v_subrev_nc_u32_e32 v30, 28, v18
	v_sub_nc_u32_e32 v18, 29, v18
	v_lshlrev_b64 v[30:31], v30, v[28:29]
; %bb.685:                              ;   in Loop: Header=BB454_8 Depth=1
	s_or_b32 exec_lo, exec_lo, s20
	s_delay_alu instid0(VALU_DEP_1) | instskip(SKIP_2) | instid1(VALU_DEP_3)
	v_lshlrev_b32_e32 v30, 20, v30
	v_lshlrev_b32_e32 v31, 24, v28
	v_lshl_add_u32 v18, v18, 23, 0x3c000000
	v_and_b32_e32 v30, 0x700000, v30
	s_delay_alu instid0(VALU_DEP_3) | instskip(NEXT) | instid1(VALU_DEP_1)
	v_and_b32_e32 v31, 0x80000000, v31
	v_or3_b32 v18, v30, v31, v18
.LBB454_686:                            ;   in Loop: Header=BB454_8 Depth=1
	s_or_b32 exec_lo, exec_lo, s19
.LBB454_687:                            ;   in Loop: Header=BB454_8 Depth=1
	s_delay_alu instid0(SALU_CYCLE_1)
	s_or_b32 exec_lo, exec_lo, s18
.LBB454_688:                            ;   in Loop: Header=BB454_8 Depth=1
	s_delay_alu instid0(SALU_CYCLE_1) | instskip(NEXT) | instid1(VALU_DEP_1)
	s_or_b32 exec_lo, exec_lo, s2
	v_mul_f32_e32 v18, v40, v18
                                        ; implicit-def: $vgpr142
	s_delay_alu instid0(VALU_DEP_1) | instskip(NEXT) | instid1(VALU_DEP_1)
	v_and_b32_e32 v30, 0x7f800000, v18
	v_cmp_ne_u32_e64 s1, 0x7f800000, v30
	s_delay_alu instid0(VALU_DEP_1) | instskip(NEXT) | instid1(SALU_CYCLE_1)
	s_and_saveexec_b32 s2, s1
	s_xor_b32 s1, exec_lo, s2
; %bb.689:                              ;   in Loop: Header=BB454_8 Depth=1
	v_bfe_u32 v30, v18, 16, 1
	s_delay_alu instid0(VALU_DEP_1)
	v_add3_u32 v142, v18, v30, 0x7fff
                                        ; implicit-def: $vgpr18
; %bb.690:                              ;   in Loop: Header=BB454_8 Depth=1
	s_and_not1_saveexec_b32 s2, s1
; %bb.691:                              ;   in Loop: Header=BB454_8 Depth=1
	v_and_b32_e32 v30, 0xffff, v18
	v_or_b32_e32 v31, 0x10000, v18
	s_delay_alu instid0(VALU_DEP_2) | instskip(NEXT) | instid1(VALU_DEP_1)
	v_cmp_eq_u32_e64 s1, 0, v30
	v_cndmask_b32_e64 v142, v31, v18, s1
; %bb.692:                              ;   in Loop: Header=BB454_8 Depth=1
	s_or_b32 exec_lo, exec_lo, s2
	v_lshrrev_b16 v30, 8, v28
	v_mov_b32_e32 v18, 0
	s_mov_b32 s2, exec_lo
	s_delay_alu instid0(VALU_DEP_2)
	v_cmpx_ne_u16_e32 0, v30
	s_cbranch_execz .LBB454_700
; %bb.693:                              ;   in Loop: Header=BB454_8 Depth=1
	v_bfrev_b32_e32 v18, 1
	s_mov_b32 s18, exec_lo
	v_cmpx_ne_u16_e32 0x80, v30
	s_cbranch_execz .LBB454_699
; %bb.694:                              ;   in Loop: Header=BB454_8 Depth=1
	v_and_b32_e32 v30, 0xffff, v30
	v_mov_b32_e32 v18, 0x7f800001
	s_mov_b32 s19, exec_lo
	s_delay_alu instid0(VALU_DEP_2) | instskip(NEXT) | instid1(VALU_DEP_1)
	v_and_b32_e32 v31, 0x7f, v30
	v_cmpx_ne_u32_e32 0x7f, v31
	s_cbranch_execz .LBB454_698
; %bb.695:                              ;   in Loop: Header=BB454_8 Depth=1
	v_and_b32_e32 v18, 7, v30
	v_lshrrev_b32_e32 v30, 3, v31
	s_mov_b32 s20, exec_lo
	v_cmpx_gt_u32_e32 8, v31
; %bb.696:                              ;   in Loop: Header=BB454_8 Depth=1
	s_delay_alu instid0(VALU_DEP_3) | instskip(NEXT) | instid1(VALU_DEP_1)
	v_clz_i32_u32_e32 v30, v18
	v_min_u32_e32 v30, 32, v30
	s_delay_alu instid0(VALU_DEP_1) | instskip(SKIP_1) | instid1(VALU_DEP_2)
	v_subrev_nc_u32_e32 v31, 28, v30
	v_sub_nc_u32_e32 v30, 29, v30
	v_lshlrev_b64 v[152:153], v31, v[18:19]
	s_delay_alu instid0(VALU_DEP_1)
	v_and_b32_e32 v18, 7, v152
; %bb.697:                              ;   in Loop: Header=BB454_8 Depth=1
	s_or_b32 exec_lo, exec_lo, s20
	v_lshlrev_b32_e32 v31, 16, v28
	s_delay_alu instid0(VALU_DEP_2) | instskip(SKIP_1) | instid1(VALU_DEP_3)
	v_lshlrev_b32_e32 v18, 20, v18
	v_lshl_add_u32 v30, v30, 23, 0x3c000000
	v_and_b32_e32 v31, 0x80000000, v31
	s_delay_alu instid0(VALU_DEP_1)
	v_or3_b32 v18, v18, v31, v30
.LBB454_698:                            ;   in Loop: Header=BB454_8 Depth=1
	s_or_b32 exec_lo, exec_lo, s19
.LBB454_699:                            ;   in Loop: Header=BB454_8 Depth=1
	s_delay_alu instid0(SALU_CYCLE_1)
	s_or_b32 exec_lo, exec_lo, s18
.LBB454_700:                            ;   in Loop: Header=BB454_8 Depth=1
	s_delay_alu instid0(SALU_CYCLE_1) | instskip(NEXT) | instid1(VALU_DEP_1)
	s_or_b32 exec_lo, exec_lo, s2
	v_mul_f32_e32 v18, v40, v18
                                        ; implicit-def: $vgpr143
	s_delay_alu instid0(VALU_DEP_1) | instskip(NEXT) | instid1(VALU_DEP_1)
	v_and_b32_e32 v30, 0x7f800000, v18
	v_cmp_ne_u32_e64 s1, 0x7f800000, v30
	s_delay_alu instid0(VALU_DEP_1) | instskip(NEXT) | instid1(SALU_CYCLE_1)
	s_and_saveexec_b32 s2, s1
	s_xor_b32 s1, exec_lo, s2
; %bb.701:                              ;   in Loop: Header=BB454_8 Depth=1
	v_bfe_u32 v30, v18, 16, 1
	s_delay_alu instid0(VALU_DEP_1)
	v_add3_u32 v143, v18, v30, 0x7fff
                                        ; implicit-def: $vgpr18
; %bb.702:                              ;   in Loop: Header=BB454_8 Depth=1
	s_and_not1_saveexec_b32 s2, s1
; %bb.703:                              ;   in Loop: Header=BB454_8 Depth=1
	v_and_b32_e32 v30, 0xffff, v18
	v_or_b32_e32 v31, 0x10000, v18
	s_delay_alu instid0(VALU_DEP_2) | instskip(NEXT) | instid1(VALU_DEP_1)
	v_cmp_eq_u32_e64 s1, 0, v30
	v_cndmask_b32_e64 v143, v31, v18, s1
; %bb.704:                              ;   in Loop: Header=BB454_8 Depth=1
	s_or_b32 exec_lo, exec_lo, s2
	v_lshrrev_b32_e32 v30, 16, v28
	s_mov_b32 s2, exec_lo
	s_delay_alu instid0(VALU_DEP_1) | instskip(NEXT) | instid1(VALU_DEP_1)
	v_dual_mov_b32 v18, 0 :: v_dual_and_b32 v31, 0xff, v30
	v_cmpx_ne_u16_e32 0, v31
	s_cbranch_execz .LBB454_712
; %bb.705:                              ;   in Loop: Header=BB454_8 Depth=1
	v_bfrev_b32_e32 v18, 1
	s_mov_b32 s18, exec_lo
	v_cmpx_ne_u16_e32 0x80, v31
	s_cbranch_execz .LBB454_711
; %bb.706:                              ;   in Loop: Header=BB454_8 Depth=1
	v_bfe_u32 v152, v28, 16, 7
	v_mov_b32_e32 v18, 0x7f800001
	s_mov_b32 s19, exec_lo
	s_delay_alu instid0(VALU_DEP_2)
	v_cmpx_ne_u32_e32 0x7f, v152
	s_cbranch_execz .LBB454_710
; %bb.707:                              ;   in Loop: Header=BB454_8 Depth=1
	v_and_b32_e32 v18, 7, v30
	v_lshrrev_b32_e32 v31, 3, v152
	s_mov_b32 s20, exec_lo
	v_cmpx_gt_u32_e32 8, v152
; %bb.708:                              ;   in Loop: Header=BB454_8 Depth=1
	s_delay_alu instid0(VALU_DEP_3) | instskip(NEXT) | instid1(VALU_DEP_1)
	v_clz_i32_u32_e32 v31, v18
	v_min_u32_e32 v31, 32, v31
	s_delay_alu instid0(VALU_DEP_1) | instskip(SKIP_1) | instid1(VALU_DEP_2)
	v_subrev_nc_u32_e32 v152, 28, v31
	v_sub_nc_u32_e32 v31, 29, v31
	v_lshlrev_b64 v[152:153], v152, v[18:19]
	s_delay_alu instid0(VALU_DEP_1)
	v_and_b32_e32 v18, 7, v152
; %bb.709:                              ;   in Loop: Header=BB454_8 Depth=1
	s_or_b32 exec_lo, exec_lo, s20
	v_lshlrev_b32_e32 v30, 24, v30
	s_delay_alu instid0(VALU_DEP_2) | instskip(SKIP_1) | instid1(VALU_DEP_3)
	v_lshlrev_b32_e32 v18, 20, v18
	v_lshl_add_u32 v31, v31, 23, 0x3c000000
	v_and_b32_e32 v30, 0x80000000, v30
	s_delay_alu instid0(VALU_DEP_1)
	v_or3_b32 v18, v18, v30, v31
.LBB454_710:                            ;   in Loop: Header=BB454_8 Depth=1
	s_or_b32 exec_lo, exec_lo, s19
.LBB454_711:                            ;   in Loop: Header=BB454_8 Depth=1
	s_delay_alu instid0(SALU_CYCLE_1)
	s_or_b32 exec_lo, exec_lo, s18
.LBB454_712:                            ;   in Loop: Header=BB454_8 Depth=1
	s_delay_alu instid0(SALU_CYCLE_1) | instskip(NEXT) | instid1(VALU_DEP_1)
	s_or_b32 exec_lo, exec_lo, s2
	v_mul_f32_e32 v18, v40, v18
                                        ; implicit-def: $vgpr152
	s_delay_alu instid0(VALU_DEP_1) | instskip(NEXT) | instid1(VALU_DEP_1)
	v_and_b32_e32 v30, 0x7f800000, v18
	v_cmp_ne_u32_e64 s1, 0x7f800000, v30
	s_delay_alu instid0(VALU_DEP_1) | instskip(NEXT) | instid1(SALU_CYCLE_1)
	s_and_saveexec_b32 s2, s1
	s_xor_b32 s1, exec_lo, s2
; %bb.713:                              ;   in Loop: Header=BB454_8 Depth=1
	v_bfe_u32 v30, v18, 16, 1
	s_delay_alu instid0(VALU_DEP_1)
	v_add3_u32 v152, v18, v30, 0x7fff
                                        ; implicit-def: $vgpr18
; %bb.714:                              ;   in Loop: Header=BB454_8 Depth=1
	s_and_not1_saveexec_b32 s2, s1
; %bb.715:                              ;   in Loop: Header=BB454_8 Depth=1
	v_and_b32_e32 v30, 0xffff, v18
	v_or_b32_e32 v31, 0x10000, v18
	s_delay_alu instid0(VALU_DEP_2) | instskip(NEXT) | instid1(VALU_DEP_1)
	v_cmp_eq_u32_e64 s1, 0, v30
	v_cndmask_b32_e64 v152, v31, v18, s1
; %bb.716:                              ;   in Loop: Header=BB454_8 Depth=1
	s_or_b32 exec_lo, exec_lo, s2
	v_mov_b32_e32 v18, 0
	s_mov_b32 s2, exec_lo
	v_cmpx_lt_u32_e32 0xffffff, v28
	s_cbranch_execz .LBB454_724
; %bb.717:                              ;   in Loop: Header=BB454_8 Depth=1
	v_lshrrev_b32_e32 v30, 24, v28
	v_bfrev_b32_e32 v18, 1
	s_mov_b32 s18, exec_lo
	s_delay_alu instid0(VALU_DEP_2)
	v_cmpx_ne_u32_e32 0x80, v30
	s_cbranch_execz .LBB454_723
; %bb.718:                              ;   in Loop: Header=BB454_8 Depth=1
	v_bfe_u32 v153, v28, 24, 7
	v_mov_b32_e32 v18, 0x7f800001
	s_mov_b32 s19, exec_lo
	s_delay_alu instid0(VALU_DEP_2)
	v_cmpx_ne_u32_e32 0x7f, v153
	s_cbranch_execz .LBB454_722
; %bb.719:                              ;   in Loop: Header=BB454_8 Depth=1
	v_and_b32_e32 v18, 7, v30
	v_lshrrev_b32_e32 v31, 3, v153
	s_mov_b32 s20, exec_lo
	v_cmpx_gt_u32_e32 8, v153
; %bb.720:                              ;   in Loop: Header=BB454_8 Depth=1
	s_delay_alu instid0(VALU_DEP_3) | instskip(NEXT) | instid1(VALU_DEP_1)
	v_clz_i32_u32_e32 v31, v18
	v_min_u32_e32 v31, 32, v31
	s_delay_alu instid0(VALU_DEP_1) | instskip(SKIP_1) | instid1(VALU_DEP_2)
	v_subrev_nc_u32_e32 v153, 28, v31
	v_sub_nc_u32_e32 v31, 29, v31
	v_lshlrev_b64 v[153:154], v153, v[18:19]
	s_delay_alu instid0(VALU_DEP_1)
	v_and_b32_e32 v18, 7, v153
; %bb.721:                              ;   in Loop: Header=BB454_8 Depth=1
	s_or_b32 exec_lo, exec_lo, s20
	v_lshlrev_b32_e32 v30, 24, v30
	s_delay_alu instid0(VALU_DEP_2) | instskip(SKIP_1) | instid1(VALU_DEP_3)
	v_lshlrev_b32_e32 v18, 20, v18
	v_lshl_add_u32 v31, v31, 23, 0x3c000000
	v_and_b32_e32 v30, 0x80000000, v30
	s_delay_alu instid0(VALU_DEP_1)
	v_or3_b32 v18, v18, v30, v31
.LBB454_722:                            ;   in Loop: Header=BB454_8 Depth=1
	s_or_b32 exec_lo, exec_lo, s19
.LBB454_723:                            ;   in Loop: Header=BB454_8 Depth=1
	s_delay_alu instid0(SALU_CYCLE_1)
	s_or_b32 exec_lo, exec_lo, s18
.LBB454_724:                            ;   in Loop: Header=BB454_8 Depth=1
	s_delay_alu instid0(SALU_CYCLE_1) | instskip(NEXT) | instid1(VALU_DEP_1)
	s_or_b32 exec_lo, exec_lo, s2
	v_mul_f32_e32 v18, v40, v18
                                        ; implicit-def: $vgpr153
	s_delay_alu instid0(VALU_DEP_1) | instskip(NEXT) | instid1(VALU_DEP_1)
	v_and_b32_e32 v30, 0x7f800000, v18
	v_cmp_ne_u32_e64 s1, 0x7f800000, v30
	s_delay_alu instid0(VALU_DEP_1) | instskip(NEXT) | instid1(SALU_CYCLE_1)
	s_and_saveexec_b32 s2, s1
	s_xor_b32 s1, exec_lo, s2
; %bb.725:                              ;   in Loop: Header=BB454_8 Depth=1
	v_bfe_u32 v30, v18, 16, 1
	s_delay_alu instid0(VALU_DEP_1)
	v_add3_u32 v153, v18, v30, 0x7fff
                                        ; implicit-def: $vgpr18
; %bb.726:                              ;   in Loop: Header=BB454_8 Depth=1
	s_and_not1_saveexec_b32 s2, s1
; %bb.727:                              ;   in Loop: Header=BB454_8 Depth=1
	v_and_b32_e32 v30, 0xffff, v18
	v_or_b32_e32 v31, 0x10000, v18
	s_delay_alu instid0(VALU_DEP_2) | instskip(NEXT) | instid1(VALU_DEP_1)
	v_cmp_eq_u32_e64 s1, 0, v30
	v_cndmask_b32_e64 v153, v31, v18, s1
; %bb.728:                              ;   in Loop: Header=BB454_8 Depth=1
	s_or_b32 exec_lo, exec_lo, s2
	v_dual_mov_b32 v18, v29 :: v_dual_and_b32 v31, 0xff, v29
	v_mov_b32_e32 v30, 0
	s_mov_b32 s2, exec_lo
	s_delay_alu instid0(VALU_DEP_2)
	v_cmpx_ne_u16_e32 0, v31
	s_cbranch_execz .LBB454_736
; %bb.729:                              ;   in Loop: Header=BB454_8 Depth=1
	v_bfrev_b32_e32 v30, 1
	s_mov_b32 s18, exec_lo
	v_cmpx_ne_u16_e32 0x80, v31
	s_cbranch_execz .LBB454_735
; %bb.730:                              ;   in Loop: Header=BB454_8 Depth=1
	v_and_b32_e32 v31, 0x7f, v29
	v_mov_b32_e32 v30, 0x7f800001
	s_mov_b32 s19, exec_lo
	s_delay_alu instid0(VALU_DEP_2)
	v_cmpx_ne_u32_e32 0x7f, v31
	s_cbranch_execz .LBB454_734
; %bb.731:                              ;   in Loop: Header=BB454_8 Depth=1
	v_lshrrev_b32_e32 v154, 3, v31
	v_cmp_gt_u32_e64 s1, 8, v31
	v_dual_mov_b32 v31, v19 :: v_dual_mov_b32 v30, v18
	s_delay_alu instid0(VALU_DEP_2)
	s_and_saveexec_b32 s20, s1
; %bb.732:                              ;   in Loop: Header=BB454_8 Depth=1
	v_and_b32_e32 v30, 7, v29
	s_delay_alu instid0(VALU_DEP_1) | instskip(NEXT) | instid1(VALU_DEP_1)
	v_clz_i32_u32_e32 v30, v30
	v_min_u32_e32 v154, 32, v30
	s_delay_alu instid0(VALU_DEP_1) | instskip(SKIP_1) | instid1(VALU_DEP_2)
	v_subrev_nc_u32_e32 v30, 28, v154
	v_sub_nc_u32_e32 v154, 29, v154
	v_lshlrev_b64 v[30:31], v30, v[18:19]
; %bb.733:                              ;   in Loop: Header=BB454_8 Depth=1
	s_or_b32 exec_lo, exec_lo, s20
	s_delay_alu instid0(VALU_DEP_1) | instskip(SKIP_2) | instid1(VALU_DEP_3)
	v_lshlrev_b32_e32 v30, 20, v30
	v_lshlrev_b32_e32 v31, 24, v18
	v_lshl_add_u32 v154, v154, 23, 0x3c000000
	v_and_b32_e32 v30, 0x700000, v30
	s_delay_alu instid0(VALU_DEP_3) | instskip(NEXT) | instid1(VALU_DEP_1)
	v_and_b32_e32 v31, 0x80000000, v31
	v_or3_b32 v30, v30, v31, v154
.LBB454_734:                            ;   in Loop: Header=BB454_8 Depth=1
	s_or_b32 exec_lo, exec_lo, s19
.LBB454_735:                            ;   in Loop: Header=BB454_8 Depth=1
	s_delay_alu instid0(SALU_CYCLE_1)
	s_or_b32 exec_lo, exec_lo, s18
.LBB454_736:                            ;   in Loop: Header=BB454_8 Depth=1
	s_delay_alu instid0(SALU_CYCLE_1) | instskip(NEXT) | instid1(VALU_DEP_1)
	s_or_b32 exec_lo, exec_lo, s2
	v_mul_f32_e32 v30, v40, v30
                                        ; implicit-def: $vgpr154
	s_delay_alu instid0(VALU_DEP_1) | instskip(NEXT) | instid1(VALU_DEP_1)
	v_and_b32_e32 v31, 0x7f800000, v30
	v_cmp_ne_u32_e64 s1, 0x7f800000, v31
	s_delay_alu instid0(VALU_DEP_1) | instskip(NEXT) | instid1(SALU_CYCLE_1)
	s_and_saveexec_b32 s2, s1
	s_xor_b32 s1, exec_lo, s2
; %bb.737:                              ;   in Loop: Header=BB454_8 Depth=1
	v_bfe_u32 v31, v30, 16, 1
	s_delay_alu instid0(VALU_DEP_1)
	v_add3_u32 v154, v30, v31, 0x7fff
                                        ; implicit-def: $vgpr30
; %bb.738:                              ;   in Loop: Header=BB454_8 Depth=1
	s_and_not1_saveexec_b32 s2, s1
; %bb.739:                              ;   in Loop: Header=BB454_8 Depth=1
	v_and_b32_e32 v31, 0xffff, v30
	v_or_b32_e32 v154, 0x10000, v30
	s_delay_alu instid0(VALU_DEP_2) | instskip(NEXT) | instid1(VALU_DEP_1)
	v_cmp_eq_u32_e64 s1, 0, v31
	v_cndmask_b32_e64 v154, v154, v30, s1
; %bb.740:                              ;   in Loop: Header=BB454_8 Depth=1
	s_or_b32 exec_lo, exec_lo, s2
	v_lshrrev_b16 v31, 8, v18
	v_mov_b32_e32 v30, 0
	s_mov_b32 s2, exec_lo
	s_delay_alu instid0(VALU_DEP_2)
	v_cmpx_ne_u16_e32 0, v31
	s_cbranch_execz .LBB454_748
; %bb.741:                              ;   in Loop: Header=BB454_8 Depth=1
	v_bfrev_b32_e32 v30, 1
	s_mov_b32 s18, exec_lo
	v_cmpx_ne_u16_e32 0x80, v31
	s_cbranch_execz .LBB454_747
; %bb.742:                              ;   in Loop: Header=BB454_8 Depth=1
	v_and_b32_e32 v31, 0xffff, v31
	v_mov_b32_e32 v30, 0x7f800001
	s_mov_b32 s19, exec_lo
	s_delay_alu instid0(VALU_DEP_2) | instskip(NEXT) | instid1(VALU_DEP_1)
	v_and_b32_e32 v156, 0x7f, v31
	v_cmpx_ne_u32_e32 0x7f, v156
	s_cbranch_execz .LBB454_746
; %bb.743:                              ;   in Loop: Header=BB454_8 Depth=1
	v_dual_mov_b32 v31, v19 :: v_dual_and_b32 v30, 7, v31
	v_lshrrev_b32_e32 v155, 3, v156
	s_mov_b32 s20, exec_lo
	v_cmpx_gt_u32_e32 8, v156
; %bb.744:                              ;   in Loop: Header=BB454_8 Depth=1
	s_delay_alu instid0(VALU_DEP_3) | instskip(NEXT) | instid1(VALU_DEP_1)
	v_clz_i32_u32_e32 v155, v30
	v_min_u32_e32 v155, 32, v155
	s_delay_alu instid0(VALU_DEP_1) | instskip(SKIP_1) | instid1(VALU_DEP_2)
	v_subrev_nc_u32_e32 v156, 28, v155
	v_sub_nc_u32_e32 v155, 29, v155
	v_lshlrev_b64 v[30:31], v156, v[30:31]
	s_delay_alu instid0(VALU_DEP_1)
	v_and_b32_e32 v30, 7, v30
; %bb.745:                              ;   in Loop: Header=BB454_8 Depth=1
	s_or_b32 exec_lo, exec_lo, s20
	v_lshlrev_b32_e32 v18, 16, v18
	s_delay_alu instid0(VALU_DEP_2) | instskip(SKIP_1) | instid1(VALU_DEP_3)
	v_lshlrev_b32_e32 v30, 20, v30
	v_lshl_add_u32 v31, v155, 23, 0x3c000000
	v_and_b32_e32 v18, 0x80000000, v18
	s_delay_alu instid0(VALU_DEP_1)
	v_or3_b32 v30, v30, v18, v31
.LBB454_746:                            ;   in Loop: Header=BB454_8 Depth=1
	s_or_b32 exec_lo, exec_lo, s19
.LBB454_747:                            ;   in Loop: Header=BB454_8 Depth=1
	s_delay_alu instid0(SALU_CYCLE_1)
	s_or_b32 exec_lo, exec_lo, s18
.LBB454_748:                            ;   in Loop: Header=BB454_8 Depth=1
	s_delay_alu instid0(SALU_CYCLE_1) | instskip(NEXT) | instid1(VALU_DEP_1)
	s_or_b32 exec_lo, exec_lo, s2
	v_mul_f32_e32 v18, v40, v30
                                        ; implicit-def: $vgpr31
	s_delay_alu instid0(VALU_DEP_1) | instskip(NEXT) | instid1(VALU_DEP_1)
	v_and_b32_e32 v30, 0x7f800000, v18
	v_cmp_ne_u32_e64 s1, 0x7f800000, v30
	s_delay_alu instid0(VALU_DEP_1) | instskip(NEXT) | instid1(SALU_CYCLE_1)
	s_and_saveexec_b32 s2, s1
	s_xor_b32 s1, exec_lo, s2
; %bb.749:                              ;   in Loop: Header=BB454_8 Depth=1
	v_bfe_u32 v30, v18, 16, 1
	s_delay_alu instid0(VALU_DEP_1)
	v_add3_u32 v31, v18, v30, 0x7fff
                                        ; implicit-def: $vgpr18
; %bb.750:                              ;   in Loop: Header=BB454_8 Depth=1
	s_and_not1_saveexec_b32 s2, s1
; %bb.751:                              ;   in Loop: Header=BB454_8 Depth=1
	v_and_b32_e32 v30, 0xffff, v18
	v_or_b32_e32 v31, 0x10000, v18
	s_delay_alu instid0(VALU_DEP_2) | instskip(NEXT) | instid1(VALU_DEP_1)
	v_cmp_eq_u32_e64 s1, 0, v30
	v_cndmask_b32_e64 v31, v31, v18, s1
; %bb.752:                              ;   in Loop: Header=BB454_8 Depth=1
	s_or_b32 exec_lo, exec_lo, s2
	v_lshrrev_b32_e32 v30, 16, v29
	s_mov_b32 s2, exec_lo
	s_delay_alu instid0(VALU_DEP_1) | instskip(NEXT) | instid1(VALU_DEP_1)
	v_dual_mov_b32 v18, 0 :: v_dual_and_b32 v155, 0xff, v30
	v_cmpx_ne_u16_e64 0, v155
	s_cbranch_execz .LBB454_760
; %bb.753:                              ;   in Loop: Header=BB454_8 Depth=1
	v_bfrev_b32_e32 v18, 1
	s_mov_b32 s18, exec_lo
	v_cmpx_ne_u16_e64 0x80, v155
	s_cbranch_execz .LBB454_759
; %bb.754:                              ;   in Loop: Header=BB454_8 Depth=1
	v_bfe_u32 v156, v29, 16, 7
	v_mov_b32_e32 v18, 0x7f800001
	s_mov_b32 s19, exec_lo
	s_delay_alu instid0(VALU_DEP_2)
	v_cmpx_ne_u32_e32 0x7f, v156
	s_cbranch_execz .LBB454_758
; %bb.755:                              ;   in Loop: Header=BB454_8 Depth=1
	v_and_b32_e32 v18, 7, v30
	v_lshrrev_b32_e32 v155, 3, v156
	s_mov_b32 s20, exec_lo
	v_cmpx_gt_u32_e32 8, v156
; %bb.756:                              ;   in Loop: Header=BB454_8 Depth=1
	s_delay_alu instid0(VALU_DEP_3) | instskip(NEXT) | instid1(VALU_DEP_1)
	v_clz_i32_u32_e32 v155, v18
	v_min_u32_e32 v155, 32, v155
	s_delay_alu instid0(VALU_DEP_1) | instskip(SKIP_1) | instid1(VALU_DEP_2)
	v_subrev_nc_u32_e32 v156, 28, v155
	v_sub_nc_u32_e32 v155, 29, v155
	v_lshlrev_b64 v[156:157], v156, v[18:19]
	s_delay_alu instid0(VALU_DEP_1)
	v_and_b32_e32 v18, 7, v156
; %bb.757:                              ;   in Loop: Header=BB454_8 Depth=1
	s_or_b32 exec_lo, exec_lo, s20
	v_lshlrev_b32_e32 v30, 24, v30
	s_delay_alu instid0(VALU_DEP_2) | instskip(SKIP_1) | instid1(VALU_DEP_3)
	v_lshlrev_b32_e32 v18, 20, v18
	v_lshl_add_u32 v155, v155, 23, 0x3c000000
	v_and_b32_e32 v30, 0x80000000, v30
	s_delay_alu instid0(VALU_DEP_1)
	v_or3_b32 v18, v18, v30, v155
.LBB454_758:                            ;   in Loop: Header=BB454_8 Depth=1
	s_or_b32 exec_lo, exec_lo, s19
.LBB454_759:                            ;   in Loop: Header=BB454_8 Depth=1
	s_delay_alu instid0(SALU_CYCLE_1)
	s_or_b32 exec_lo, exec_lo, s18
.LBB454_760:                            ;   in Loop: Header=BB454_8 Depth=1
	s_delay_alu instid0(SALU_CYCLE_1) | instskip(NEXT) | instid1(VALU_DEP_1)
	s_or_b32 exec_lo, exec_lo, s2
	v_mul_f32_e32 v18, v40, v18
	s_delay_alu instid0(VALU_DEP_1) | instskip(NEXT) | instid1(VALU_DEP_1)
	v_and_b32_e32 v30, 0x7f800000, v18
	v_cmp_ne_u32_e64 s1, 0x7f800000, v30
                                        ; implicit-def: $vgpr30
	s_delay_alu instid0(VALU_DEP_1) | instskip(NEXT) | instid1(SALU_CYCLE_1)
	s_and_saveexec_b32 s2, s1
	s_xor_b32 s1, exec_lo, s2
; %bb.761:                              ;   in Loop: Header=BB454_8 Depth=1
	v_bfe_u32 v30, v18, 16, 1
	s_delay_alu instid0(VALU_DEP_1)
	v_add3_u32 v30, v18, v30, 0x7fff
                                        ; implicit-def: $vgpr18
; %bb.762:                              ;   in Loop: Header=BB454_8 Depth=1
	s_and_not1_saveexec_b32 s2, s1
; %bb.763:                              ;   in Loop: Header=BB454_8 Depth=1
	v_and_b32_e32 v30, 0xffff, v18
	v_or_b32_e32 v155, 0x10000, v18
	s_delay_alu instid0(VALU_DEP_2) | instskip(NEXT) | instid1(VALU_DEP_1)
	v_cmp_eq_u32_e64 s1, 0, v30
	v_cndmask_b32_e64 v30, v155, v18, s1
; %bb.764:                              ;   in Loop: Header=BB454_8 Depth=1
	s_or_b32 exec_lo, exec_lo, s2
	v_mov_b32_e32 v18, 0
	s_mov_b32 s2, exec_lo
	v_cmpx_lt_u64_e64 s[8:9], v[28:29]
	s_cbranch_execz .LBB454_772
; %bb.765:                              ;   in Loop: Header=BB454_8 Depth=1
	v_lshrrev_b32_e32 v28, 24, v29
	v_bfrev_b32_e32 v18, 1
	s_mov_b32 s18, exec_lo
	s_delay_alu instid0(VALU_DEP_2)
	v_cmpx_ne_u32_e32 0x80, v28
	s_cbranch_execz .LBB454_771
; %bb.766:                              ;   in Loop: Header=BB454_8 Depth=1
	v_bfe_u32 v155, v29, 24, 7
	v_mov_b32_e32 v18, 0x7f800001
	s_mov_b32 s19, exec_lo
	s_delay_alu instid0(VALU_DEP_2)
	v_cmpx_ne_u32_e32 0x7f, v155
	s_cbranch_execz .LBB454_770
; %bb.767:                              ;   in Loop: Header=BB454_8 Depth=1
	v_and_b32_e32 v18, 7, v28
	v_lshrrev_b32_e32 v29, 3, v155
	s_mov_b32 s20, exec_lo
	v_cmpx_gt_u32_e32 8, v155
; %bb.768:                              ;   in Loop: Header=BB454_8 Depth=1
	s_delay_alu instid0(VALU_DEP_3) | instskip(NEXT) | instid1(VALU_DEP_1)
	v_clz_i32_u32_e32 v29, v18
	v_min_u32_e32 v29, 32, v29
	s_delay_alu instid0(VALU_DEP_1) | instskip(SKIP_1) | instid1(VALU_DEP_2)
	v_subrev_nc_u32_e32 v155, 28, v29
	v_sub_nc_u32_e32 v29, 29, v29
	v_lshlrev_b64 v[155:156], v155, v[18:19]
	s_delay_alu instid0(VALU_DEP_1)
	v_and_b32_e32 v18, 7, v155
; %bb.769:                              ;   in Loop: Header=BB454_8 Depth=1
	s_or_b32 exec_lo, exec_lo, s20
	v_lshlrev_b32_e32 v28, 24, v28
	s_delay_alu instid0(VALU_DEP_2) | instskip(SKIP_1) | instid1(VALU_DEP_3)
	v_lshlrev_b32_e32 v18, 20, v18
	v_lshl_add_u32 v29, v29, 23, 0x3c000000
	v_and_b32_e32 v28, 0x80000000, v28
	s_delay_alu instid0(VALU_DEP_1)
	v_or3_b32 v18, v18, v28, v29
.LBB454_770:                            ;   in Loop: Header=BB454_8 Depth=1
	s_or_b32 exec_lo, exec_lo, s19
.LBB454_771:                            ;   in Loop: Header=BB454_8 Depth=1
	s_delay_alu instid0(SALU_CYCLE_1)
	s_or_b32 exec_lo, exec_lo, s18
.LBB454_772:                            ;   in Loop: Header=BB454_8 Depth=1
	s_delay_alu instid0(SALU_CYCLE_1) | instskip(NEXT) | instid1(VALU_DEP_1)
	s_or_b32 exec_lo, exec_lo, s2
	v_mul_f32_e32 v28, v40, v18
	s_delay_alu instid0(VALU_DEP_1) | instskip(NEXT) | instid1(VALU_DEP_1)
	v_and_b32_e32 v18, 0x7f800000, v28
	v_cmp_ne_u32_e64 s1, 0x7f800000, v18
                                        ; implicit-def: $vgpr18
	s_delay_alu instid0(VALU_DEP_1) | instskip(NEXT) | instid1(SALU_CYCLE_1)
	s_and_saveexec_b32 s2, s1
	s_xor_b32 s1, exec_lo, s2
; %bb.773:                              ;   in Loop: Header=BB454_8 Depth=1
	v_bfe_u32 v18, v28, 16, 1
	s_delay_alu instid0(VALU_DEP_1)
	v_add3_u32 v18, v28, v18, 0x7fff
                                        ; implicit-def: $vgpr28
; %bb.774:                              ;   in Loop: Header=BB454_8 Depth=1
	s_and_not1_saveexec_b32 s2, s1
	s_cbranch_execz .LBB454_7
; %bb.775:                              ;   in Loop: Header=BB454_8 Depth=1
	v_and_b32_e32 v18, 0xffff, v28
	v_or_b32_e32 v29, 0x10000, v28
	s_delay_alu instid0(VALU_DEP_2) | instskip(NEXT) | instid1(VALU_DEP_1)
	v_cmp_eq_u32_e64 s1, 0, v18
	v_cndmask_b32_e64 v18, v29, v28, s1
	s_branch .LBB454_7
.LBB454_776:
	s_or_b32 exec_lo, exec_lo, s11
.LBB454_777:
	s_delay_alu instid0(SALU_CYCLE_1) | instskip(SKIP_2) | instid1(VALU_DEP_1)
	s_or_b32 exec_lo, exec_lo, s15
	v_mbcnt_lo_u32_b32 v8, -1, 0
	s_lshr_b32 s8, s13, 16
	v_xor_b32_e32 v9, 16, v8
	v_xor_b32_e32 v18, 8, v8
	v_xor_b32_e32 v24, 1, v8
	v_max_f32_e32 v19, v162, v162
	s_delay_alu instid0(VALU_DEP_4) | instskip(SKIP_3) | instid1(VALU_DEP_1)
	v_cmp_gt_i32_e32 vcc_lo, 32, v9
	v_cndmask_b32_e32 v9, v8, v9, vcc_lo
	v_cmp_gt_i32_e32 vcc_lo, 32, v18
	v_cndmask_b32_e32 v18, v8, v18, vcc_lo
	v_lshlrev_b32_e32 v20, 2, v18
	s_delay_alu instid0(VALU_DEP_4) | instskip(SKIP_3) | instid1(VALU_DEP_1)
	v_lshlrev_b32_e32 v13, 2, v9
	ds_bpermute_b32 v9, v13, v162
	s_waitcnt lgkmcnt(0)
	v_max_f32_e32 v9, v9, v9
	v_max_f32_e32 v9, v19, v9
	v_xor_b32_e32 v19, 4, v8
	ds_bpermute_b32 v18, v20, v9
	v_cmp_gt_i32_e32 vcc_lo, 32, v19
	v_cndmask_b32_e32 v19, v8, v19, vcc_lo
	s_delay_alu instid0(VALU_DEP_1) | instskip(SKIP_1) | instid1(VALU_DEP_1)
	v_lshlrev_b32_e32 v21, 2, v19
	v_xor_b32_e32 v19, 2, v8
	v_cmp_gt_i32_e32 vcc_lo, 32, v19
	s_waitcnt lgkmcnt(0)
	v_dual_max_f32 v18, v18, v18 :: v_dual_cndmask_b32 v19, v8, v19
	v_cmp_gt_i32_e32 vcc_lo, 32, v24
	s_delay_alu instid0(VALU_DEP_2) | instskip(NEXT) | instid1(VALU_DEP_3)
	v_dual_cndmask_b32 v24, v8, v24 :: v_dual_lshlrev_b32 v19, 2, v19
	v_max_f32_e32 v9, v9, v18
	v_cmp_eq_u32_e32 vcc_lo, 0, v23
	ds_bpermute_b32 v18, v21, v9
	s_waitcnt lgkmcnt(0)
	v_max_f32_e32 v18, v18, v18
	s_delay_alu instid0(VALU_DEP_1) | instskip(SKIP_3) | instid1(VALU_DEP_1)
	v_max_f32_e32 v9, v9, v18
	ds_bpermute_b32 v18, v19, v9
	s_waitcnt lgkmcnt(0)
	v_max_f32_e32 v18, v18, v18
	v_max_f32_e32 v8, v9, v18
	v_lshlrev_b32_e32 v18, 2, v24
	v_lshlrev_b32_e32 v24, 2, v36
	ds_bpermute_b32 v9, v18, v8
	s_and_saveexec_b32 s1, vcc_lo
	s_cbranch_execz .LBB454_779
; %bb.778:
	s_waitcnt lgkmcnt(0)
	v_dual_max_f32 v9, v9, v9 :: v_dual_max_f32 v8, v8, v8
	s_delay_alu instid0(VALU_DEP_1)
	v_max_f32_e32 v8, v8, v9
	ds_store_b32 v24, v8 offset:128
.LBB454_779:
	s_or_b32 exec_lo, exec_lo, s1
	v_cmp_gt_u32_e64 s1, 4, v23
	v_mov_b32_e32 v8, 0xff7fffff
	s_waitcnt lgkmcnt(0)
	s_barrier
	buffer_gl0_inv
	s_and_saveexec_b32 s2, s1
	s_cbranch_execz .LBB454_781
; %bb.780:
	ds_load_b32 v8, v48 offset:128
.LBB454_781:
	s_or_b32 exec_lo, exec_lo, s2
	s_waitcnt lgkmcnt(0)
	ds_bpermute_b32 v9, v19, v8
	v_max_f32_e32 v8, v8, v8
	v_subrev_nc_u32_e32 v28, s3, v37
	v_mov_b32_e32 v25, 0
	s_waitcnt lgkmcnt(0)
	v_max_f32_e32 v9, v9, v9
	s_delay_alu instid0(VALU_DEP_1) | instskip(SKIP_3) | instid1(VALU_DEP_1)
	v_max_f32_e32 v8, v8, v9
	ds_bpermute_b32 v9, v18, v8
	s_waitcnt lgkmcnt(0)
	v_max_f32_e32 v9, v9, v9
	v_max_f32_e32 v8, v8, v9
	v_lshl_add_u32 v9, v28, 5, s17
	ds_bpermute_b32 v8, v25, v8
	v_min_i32_e32 v9, v9, v35
	s_delay_alu instid0(VALU_DEP_1) | instskip(NEXT) | instid1(VALU_DEP_1)
	v_subrev_nc_u32_e32 v9, s17, v9
	v_cmp_lt_i32_e64 s2, v34, v9
	s_delay_alu instid0(VALU_DEP_1)
	s_and_saveexec_b32 s9, s2
	s_cbranch_execz .LBB454_785
; %bb.782:
	s_getpc_b64 s[18:19]
	s_add_u32 s18, s18, llvm.amdgcn.dynlds.offset.table@rel32@lo+4
	s_addc_u32 s19, s19, llvm.amdgcn.dynlds.offset.table@rel32@hi+12
	s_ashr_i32 s11, s10, 31
	v_mov_b32_e32 v25, 0
	s_lshl_b64 s[20:21], s[10:11], 2
	v_mov_b32_e32 v29, v34
	s_add_u32 s18, s20, s18
	s_addc_u32 s19, s21, s19
	s_mov_b32 s11, 0
	s_load_b32 s3, s[18:19], 0x0
	s_waitcnt lgkmcnt(0)
	v_lshl_add_u32 v28, v34, 2, s3
	.p2align	6
.LBB454_783:                            ; =>This Inner Loop Header: Depth=1
	ds_load_b32 v30, v28
	v_add_nc_u32_e32 v29, 0x80, v29
	s_delay_alu instid0(VALU_DEP_1) | instskip(NEXT) | instid1(VALU_DEP_1)
	v_cmp_ge_i32_e64 s3, v29, v9
	s_or_b32 s11, s3, s11
	s_waitcnt lgkmcnt(0)
	v_sub_f32_e32 v30, v30, v8
	s_delay_alu instid0(VALU_DEP_1) | instskip(NEXT) | instid1(VALU_DEP_1)
	v_mul_f32_e32 v30, 0x3fb8aa3b, v30
	v_exp_f32_e32 v30, v30
	ds_store_b32 v28, v30
	v_dual_add_f32 v25, v25, v30 :: v_dual_add_nc_u32 v28, 0x200, v28
	s_and_not1_b32 exec_lo, exec_lo, s11
	s_cbranch_execnz .LBB454_783
; %bb.784:
	s_or_b32 exec_lo, exec_lo, s11
.LBB454_785:
	s_delay_alu instid0(SALU_CYCLE_1)
	s_or_b32 exec_lo, exec_lo, s9
	ds_bpermute_b32 v13, v13, v25
	s_waitcnt lgkmcnt(0)
	v_add_f32_e32 v13, v25, v13
	ds_bpermute_b32 v20, v20, v13
	s_waitcnt lgkmcnt(0)
	v_add_f32_e32 v13, v13, v20
	ds_bpermute_b32 v20, v21, v13
	s_waitcnt lgkmcnt(0)
	v_add_f32_e32 v13, v13, v20
	ds_bpermute_b32 v20, v19, v13
	s_waitcnt lgkmcnt(0)
	v_add_f32_e32 v13, v13, v20
	ds_bpermute_b32 v20, v18, v13
	s_waitcnt lgkmcnt(0)
	v_add_f32_e32 v13, v13, v20
	s_and_saveexec_b32 s3, vcc_lo
	s_cbranch_execz .LBB454_787
; %bb.786:
	ds_store_b32 v24, v13 offset:144
.LBB454_787:
	s_or_b32 exec_lo, exec_lo, s3
	s_waitcnt lgkmcnt(0)
	s_barrier
	buffer_gl0_inv
	s_and_saveexec_b32 s3, s1
	s_cbranch_execz .LBB454_789
; %bb.788:
	ds_load_b32 v13, v48 offset:144
.LBB454_789:
	s_or_b32 exec_lo, exec_lo, s3
	s_waitcnt lgkmcnt(0)
	ds_bpermute_b32 v20, v19, v13
	s_waitcnt lgkmcnt(0)
	v_add_f32_e32 v13, v13, v20
	ds_bpermute_b32 v20, v18, v13
	s_waitcnt lgkmcnt(0)
	v_dual_add_f32 v13, v13, v20 :: v_dual_mov_b32 v20, 0
	ds_bpermute_b32 v13, v20, v13
	s_and_saveexec_b32 s1, s2
	s_cbranch_execz .LBB454_792
; %bb.790:
	s_waitcnt lgkmcnt(0)
	v_add_f32_e32 v21, 0x358637bd, v13
	s_getpc_b64 s[2:3]
	s_add_u32 s2, s2, llvm.amdgcn.dynlds.offset.table@rel32@lo+4
	s_addc_u32 s3, s3, llvm.amdgcn.dynlds.offset.table@rel32@hi+12
	s_ashr_i32 s11, s10, 31
	s_delay_alu instid0(SALU_CYCLE_1) | instskip(SKIP_4) | instid1(VALU_DEP_1)
	s_lshl_b64 s[18:19], s[10:11], 2
	v_div_scale_f32 v20, null, v21, v21, 1.0
	s_add_u32 s2, s18, s2
	s_addc_u32 s3, s19, s3
	s_load_b32 s2, s[2:3], 0x0
	v_rcp_f32_e32 v24, v20
	s_waitcnt_depctr 0xfff
	v_fma_f32 v25, -v20, v24, 1.0
	s_delay_alu instid0(VALU_DEP_1) | instskip(SKIP_1) | instid1(VALU_DEP_1)
	v_fmac_f32_e32 v24, v25, v24
	v_div_scale_f32 v28, vcc_lo, 1.0, v21, 1.0
	v_mul_f32_e32 v25, v28, v24
	s_delay_alu instid0(VALU_DEP_1) | instskip(NEXT) | instid1(VALU_DEP_1)
	v_fma_f32 v29, -v20, v25, v28
	v_fmac_f32_e32 v25, v29, v24
	s_delay_alu instid0(VALU_DEP_1) | instskip(NEXT) | instid1(VALU_DEP_1)
	v_fma_f32 v20, -v20, v25, v28
	v_div_fmas_f32 v24, v20, v24, v25
	s_waitcnt lgkmcnt(0)
	v_lshl_add_u32 v20, v34, 2, s2
	s_mov_b32 s2, 0
	s_delay_alu instid0(VALU_DEP_2)
	v_div_fixup_f32 v21, v24, v21, 1.0
	v_mov_b32_e32 v24, v34
.LBB454_791:                            ; =>This Inner Loop Header: Depth=1
	ds_load_b32 v25, v20
	s_waitcnt lgkmcnt(0)
	v_dual_mul_f32 v25, v21, v25 :: v_dual_add_nc_u32 v24, 0x80, v24
	s_delay_alu instid0(VALU_DEP_1) | instskip(SKIP_3) | instid1(SALU_CYCLE_1)
	v_cmp_ge_i32_e32 vcc_lo, v24, v9
	ds_store_b32 v20, v25
	v_add_nc_u32_e32 v20, 0x200, v20
	s_or_b32 s2, vcc_lo, s2
	s_and_not1_b32 exec_lo, exec_lo, s2
	s_cbranch_execnz .LBB454_791
.LBB454_792:
	s_or_b32 exec_lo, exec_lo, s1
	v_cmp_ne_u16_e64 s1, s8, 0
	s_mov_b32 s2, exec_lo
	s_waitcnt lgkmcnt(0)
	s_barrier
	buffer_gl0_inv
	s_cmp_lg_u32 s1, 0
	s_addc_u32 s1, s7, 0
	v_cmpx_eq_u32_e32 0, v34
	s_cbranch_execz .LBB454_794
; %bb.793:
	s_mul_i32 s3, s1, s4
	s_mul_i32 s8, s1, s12
	;; [unrolled: 1-line block ×3, first 2 shown]
	s_ashr_i32 s9, s8, 31
	s_ashr_i32 s15, s14, 31
	;; [unrolled: 1-line block ×3, first 2 shown]
	s_lshl_b64 s[8:9], s[8:9], 2
	s_lshl_b64 s[18:19], s[14:15], 2
	;; [unrolled: 1-line block ×3, first 2 shown]
	s_add_u32 s3, s18, s8
	s_addc_u32 s7, s19, s9
	s_add_u32 s3, s3, s12
	s_addc_u32 s7, s7, s13
	v_add_co_u32 v2, vcc_lo, s3, v2
	v_add_co_ci_u32_e32 v3, vcc_lo, s7, v3, vcc_lo
	v_add_co_u32 v0, vcc_lo, s3, v0
	v_add_co_ci_u32_e32 v1, vcc_lo, s7, v1, vcc_lo
	flat_store_b32 v[2:3], v8
	flat_store_b32 v[0:1], v13
.LBB454_794:
	s_or_b32 exec_lo, exec_lo, s2
                                        ; implicit-def: $sgpr2
	s_and_saveexec_b32 s3, s0
	s_delay_alu instid0(SALU_CYCLE_1)
	s_xor_b32 s0, exec_lo, s3
; %bb.795:
	s_ashr_i32 s11, s10, 31
	s_mov_b32 s2, 0
                                        ; implicit-def: $vgpr35
                                        ; implicit-def: $vgpr12
                                        ; implicit-def: $vgpr37
                                        ; implicit-def: $vgpr16
                                        ; implicit-def: $vgpr10
                                        ; implicit-def: $vgpr11
                                        ; implicit-def: $vgpr14
                                        ; implicit-def: $vgpr15
                                        ; implicit-def: $vgpr22
                                        ; implicit-def: $vgpr26_vgpr27
                                        ; implicit-def: $vgpr38
                                        ; implicit-def: $vgpr39
                                        ; implicit-def: $vgpr6_vgpr7
; %bb.796:
	s_or_saveexec_b32 s7, s0
	v_dual_mov_b32 v21, s2 :: v_dual_mov_b32 v0, s10
	v_dual_mov_b32 v1, s11 :: v_dual_and_b32 v20, 3, v34
	v_dual_mov_b32 v24, s2 :: v_dual_mov_b32 v25, s2
	v_dual_mov_b32 v28, s2 :: v_dual_mov_b32 v29, s2
	;; [unrolled: 1-line block ×3, first 2 shown]
	v_mov_b32_e32 v32, s2
	s_xor_b32 exec_lo, exec_lo, s7
	s_cbranch_execz .LBB454_1872
; %bb.797:
	flat_load_b32 v26, v[26:27]
	s_getpc_b64 s[2:3]
	s_add_u32 s2, s2, llvm.amdgcn.dynlds.offset.table@rel32@lo+4
	s_addc_u32 s3, s3, llvm.amdgcn.dynlds.offset.table@rel32@hi+12
	s_ashr_i32 s11, s10, 31
	v_dual_mov_b32 v31, 0 :: v_dual_lshlrev_b32 v0, 3, v34
	s_lshl_b64 s[8:9], s[10:11], 2
	v_add_co_u32 v3, vcc_lo, v10, v38
	s_add_u32 s2, s8, s2
	s_addc_u32 s3, s9, s3
	v_dual_mov_b32 v10, 0 :: v_dual_and_b32 v9, 0xf8, v0
	s_load_b32 s0, s[2:3], 0x0
	v_dual_mov_b32 v29, 0 :: v_dual_and_b32 v2, 24, v0
	v_add_co_ci_u32_e32 v8, vcc_lo, v11, v39, vcc_lo
	v_lshlrev_b64 v[0:1], 2, v[16:17]
	v_add_co_u32 v11, vcc_lo, v3, v9
	v_dual_mov_b32 v30, 0 :: v_dual_lshlrev_b32 v3, 5, v20
	v_dual_mov_b32 v32, 0 :: v_dual_add_nc_u32 v27, -1, v12
	v_add_co_ci_u32_e32 v12, vcc_lo, 0, v8, vcc_lo
	v_add_co_u32 v0, vcc_lo, v6, v0
	v_add_co_ci_u32_e32 v1, vcc_lo, v7, v1, vcc_lo
	v_lshl_add_u32 v6, v36, 5, s17
	v_lshl_or_b32 v3, v36, 7, v3
	s_delay_alu instid0(VALU_DEP_4) | instskip(NEXT) | instid1(VALU_DEP_4)
	v_add_co_u32 v13, vcc_lo, v14, v0
	v_add_co_ci_u32_e32 v14, vcc_lo, v15, v1, vcc_lo
	s_delay_alu instid0(VALU_DEP_4)
	v_add3_u32 v15, v6, v2, 7
	s_waitcnt lgkmcnt(0)
	v_dual_mov_b32 v28, 0 :: v_dual_add_nc_u32 v17, s0, v3
	v_dual_mov_b32 v25, 0 :: v_dual_mov_b32 v24, 0
	v_mov_b32_e32 v21, 0
	s_mov_b32 s2, -1
	s_mov_b32 s3, 0xffffff
	s_mov_b32 s8, 0
	s_branch .LBB454_799
.LBB454_798:                            ;   in Loop: Header=BB454_799 Depth=1
	s_or_b32 exec_lo, exec_lo, s0
	v_and_b32_e32 v33, 0xffff0000, v33
	v_and_b32_e32 v38, 0xffff0000, v38
	;; [unrolled: 1-line block ×6, first 2 shown]
	s_delay_alu instid0(VALU_DEP_4) | instskip(NEXT) | instid1(VALU_DEP_4)
	v_dual_add_f32 v8, v8, v33 :: v_dual_and_b32 v55, 0xffff0000, v98
	v_dual_add_f32 v33, v38, v39 :: v_dual_and_b32 v38, 0xffff0000, v48
	v_and_b32_e32 v39, 0xffff0000, v50
	v_and_b32_e32 v48, 0xffff0000, v51
	;; [unrolled: 1-line block ×3, first 2 shown]
	s_delay_alu instid0(VALU_DEP_4)
	v_add_f32_e32 v8, v8, v33
	v_add_f32_e32 v33, v38, v49
	v_and_b32_e32 v49, 0xffff0000, v84
	v_and_b32_e32 v7, 0xffff0000, v7
	;; [unrolled: 1-line block ×4, first 2 shown]
	v_dual_add_f32 v8, v8, v33 :: v_dual_add_f32 v33, v39, v48
	v_dual_add_f32 v48, v50, v49 :: v_dual_and_b32 v39, 0xffff0000, v96
	v_and_b32_e32 v49, 0xffff0000, v87
	v_and_b32_e32 v50, 0xffff0000, v99
	s_delay_alu instid0(VALU_DEP_4) | instskip(SKIP_1) | instid1(VALU_DEP_4)
	v_add_f32_e32 v8, v8, v33
	v_and_b32_e32 v0, 0xffff0000, v0
	v_dual_add_f32 v39, v49, v39 :: v_dual_and_b32 v52, 0xffff0000, v52
	v_and_b32_e32 v51, 0xffff0000, v85
	v_and_b32_e32 v49, 0xffff0000, v100
	;; [unrolled: 1-line block ×3, first 2 shown]
	v_add_co_u32 v13, s0, v13, 16
	s_delay_alu instid0(VALU_DEP_1) | instskip(NEXT) | instid1(VALU_DEP_3)
	v_add_co_ci_u32_e64 v14, s0, 0, v14, s0
	v_dual_add_f32 v49, v50, v49 :: v_dual_add_f32 v38, v51, v38
	v_dual_add_f32 v32, v32, v8 :: v_dual_and_b32 v51, 0xffff0000, v101
	v_add_nc_u32_e32 v15, 0x80, v15
	s_delay_alu instid0(VALU_DEP_3)
	v_dual_add_f32 v38, v48, v38 :: v_dual_add_nc_u32 v17, 0x200, v17
	v_and_b32_e32 v48, 0xffff0000, v102
	v_and_b32_e32 v33, 0xffff0000, v97
	v_add_f32_e32 v0, v0, v1
	v_add_nc_u32_e32 v16, 4, v16
	v_add_f32_e32 v38, v38, v39
	s_delay_alu instid0(VALU_DEP_4) | instskip(SKIP_1) | instid1(VALU_DEP_4)
	v_dual_add_f32 v48, v51, v48 :: v_dual_add_f32 v33, v33, v55
	v_and_b32_e32 v51, 0xffff0000, v113
	v_cmp_ge_i32_e32 vcc_lo, v16, v37
	s_delay_alu instid0(VALU_DEP_3) | instskip(SKIP_3) | instid1(VALU_DEP_3)
	v_dual_add_f32 v48, v49, v48 :: v_dual_add_f32 v33, v38, v33
	v_and_b32_e32 v50, 0xffff0000, v103
	v_and_b32_e32 v49, 0xffff0000, v118
	s_or_b32 s8, vcc_lo, s8
	v_add_f32_e32 v31, v31, v33
	v_and_b32_e32 v33, 0xffff0000, v129
	v_and_b32_e32 v64, 0xffff0000, v115
	;; [unrolled: 1-line block ×3, first 2 shown]
	v_add_f32_e32 v49, v65, v49
	v_and_b32_e32 v65, 0xffff0000, v145
	s_delay_alu instid0(VALU_DEP_3) | instskip(NEXT) | instid1(VALU_DEP_1)
	v_dual_add_f32 v39, v50, v39 :: v_dual_and_b32 v50, 0xffff0000, v116
	v_add_f32_e32 v39, v48, v39
	s_delay_alu instid0(VALU_DEP_2) | instskip(NEXT) | instid1(VALU_DEP_1)
	v_add_f32_e32 v50, v64, v50
	v_dual_add_f32 v8, v50, v49 :: v_dual_and_b32 v55, 0xffff0000, v114
	s_delay_alu instid0(VALU_DEP_1) | instskip(SKIP_2) | instid1(VALU_DEP_3)
	v_dual_add_f32 v48, v51, v55 :: v_dual_and_b32 v51, 0xffff0000, v128
	v_and_b32_e32 v49, 0xffff0000, v131
	v_and_b32_e32 v50, 0xffff0000, v133
	v_add_f32_e32 v38, v39, v48
	v_and_b32_e32 v48, 0xffff0000, v132
	s_delay_alu instid0(VALU_DEP_2) | instskip(NEXT) | instid1(VALU_DEP_1)
	v_dual_add_f32 v30, v30, v38 :: v_dual_and_b32 v55, 0xffff0000, v119
	v_dual_add_f32 v48, v49, v48 :: v_dual_add_f32 v39, v55, v51
	v_and_b32_e32 v38, 0xffff0000, v130
	v_and_b32_e32 v55, 0xffff0000, v147
	s_delay_alu instid0(VALU_DEP_2) | instskip(NEXT) | instid1(VALU_DEP_1)
	v_dual_add_f32 v8, v8, v39 :: v_dual_add_f32 v33, v33, v38
	v_dual_add_f32 v8, v8, v33 :: v_dual_and_b32 v39, 0xffff0000, v134
	s_delay_alu instid0(VALU_DEP_1) | instskip(NEXT) | instid1(VALU_DEP_2)
	v_dual_add_f32 v39, v50, v39 :: v_dual_and_b32 v38, 0xffff0000, v144
	v_dual_add_f32 v29, v29, v8 :: v_dual_and_b32 v2, 0xffff0000, v2
	s_delay_alu instid0(VALU_DEP_2) | instskip(SKIP_1) | instid1(VALU_DEP_3)
	v_add_f32_e32 v39, v48, v39
	v_and_b32_e32 v51, 0xffff0000, v135
	v_dual_add_f32 v1, v2, v3 :: v_dual_and_b32 v6, 0xffff0000, v6
	v_and_b32_e32 v49, 0xffff0000, v150
	v_and_b32_e32 v2, 0xffff0000, v9
	s_delay_alu instid0(VALU_DEP_4) | instskip(SKIP_4) | instid1(VALU_DEP_4)
	v_add_f32_e32 v38, v51, v38
	v_and_b32_e32 v51, 0xffff0000, v146
	v_and_b32_e32 v64, 0xffff0000, v149
	v_add_f32_e32 v6, v6, v7
	v_add_f32_e32 v0, v0, v1
	v_dual_add_f32 v38, v39, v38 :: v_dual_add_f32 v39, v65, v51
	s_delay_alu instid0(VALU_DEP_4) | instskip(SKIP_1) | instid1(VALU_DEP_2)
	v_dual_add_f32 v49, v64, v49 :: v_dual_and_b32 v50, 0xffff0000, v148
	v_dual_add_f32 v1, v2, v52 :: v_dual_and_b32 v64, 0xffff0000, v163
	;; [unrolled: 1-line block ×3, first 2 shown]
	v_and_b32_e32 v48, 0xffff0000, v160
	s_delay_alu instid0(VALU_DEP_3) | instskip(SKIP_1) | instid1(VALU_DEP_2)
	v_dual_add_f32 v0, v0, v1 :: v_dual_and_b32 v55, 0xffff0000, v151
	v_and_b32_e32 v65, 0xffff0000, v167
	v_dual_add_f32 v33, v50, v49 :: v_dual_add_f32 v48, v55, v48
	v_and_b32_e32 v55, 0xffff0000, v164
	s_delay_alu instid0(VALU_DEP_2) | instskip(NEXT) | instid1(VALU_DEP_2)
	v_dual_add_f32 v33, v33, v48 :: v_dual_and_b32 v50, 0xffff0000, v162
	v_dual_add_f32 v7, v64, v55 :: v_dual_and_b32 v48, 0xffff0000, v166
	v_and_b32_e32 v66, 0xffff0000, v176
	s_delay_alu instid0(VALU_DEP_2) | instskip(SKIP_2) | instid1(VALU_DEP_2)
	v_dual_add_f32 v3, v6, v7 :: v_dual_and_b32 v2, 0xffff0000, v54
	v_and_b32_e32 v7, 0xffff0000, v53
	v_and_b32_e32 v49, 0xffff0000, v161
	v_dual_add_f32 v1, v7, v2 :: v_dual_add_f32 v2, v38, v39
	v_add_f32_e32 v6, v51, v48
	s_delay_alu instid0(VALU_DEP_2) | instskip(NEXT) | instid1(VALU_DEP_3)
	v_add_f32_e32 v0, v0, v1
	v_add_f32_e32 v28, v28, v2
	s_delay_alu instid0(VALU_DEP_3) | instskip(SKIP_3) | instid1(VALU_DEP_3)
	v_add_f32_e32 v3, v3, v6
	v_add_f32_e32 v6, v65, v66
	v_add_f32_e32 v9, v49, v50
	v_add_f32_e32 v21, v21, v0
	v_add_f32_e32 v3, v3, v6
	s_delay_alu instid0(VALU_DEP_1) | instskip(NEXT) | instid1(VALU_DEP_1)
	v_dual_add_f32 v7, v33, v9 :: v_dual_add_f32 v24, v24, v3
	v_add_f32_e32 v25, v25, v7
	s_and_not1_b32 exec_lo, exec_lo, s8
	s_cbranch_execz .LBB454_1871
.LBB454_799:                            ; =>This Inner Loop Header: Depth=1
	flat_load_b32 v52, v[13:14]
	ds_load_2addr_b64 v[6:9], v17 offset1:1
	ds_load_2addr_b64 v[0:3], v17 offset0:2 offset1:3
	s_mov_b32 s0, exec_lo
                                        ; implicit-def: $vgpr67
	s_waitcnt lgkmcnt(1)
	v_and_b32_e32 v33, 0x7f800000, v6
	s_delay_alu instid0(VALU_DEP_1)
	v_cmpx_ne_u32_e32 0x7f800000, v33
	s_xor_b32 s0, exec_lo, s0
; %bb.800:                              ;   in Loop: Header=BB454_799 Depth=1
	v_bfe_u32 v33, v6, 16, 1
	s_delay_alu instid0(VALU_DEP_1)
	v_add3_u32 v67, v6, v33, 0x7fff
; %bb.801:                              ;   in Loop: Header=BB454_799 Depth=1
	s_and_not1_saveexec_b32 s0, s0
; %bb.802:                              ;   in Loop: Header=BB454_799 Depth=1
	v_and_b32_e32 v33, 0xffff, v6
	v_or_b32_e32 v38, 0x10000, v6
	s_delay_alu instid0(VALU_DEP_2) | instskip(NEXT) | instid1(VALU_DEP_2)
	v_cmp_eq_u32_e32 vcc_lo, 0, v33
	v_cndmask_b32_e32 v67, v38, v6, vcc_lo
; %bb.803:                              ;   in Loop: Header=BB454_799 Depth=1
	s_or_b32 exec_lo, exec_lo, s0
	v_and_b32_e32 v6, 0x7f800000, v7
	s_mov_b32 s0, exec_lo
                                        ; implicit-def: $vgpr33
	s_delay_alu instid0(VALU_DEP_1)
	v_cmpx_ne_u32_e32 0x7f800000, v6
	s_xor_b32 s0, exec_lo, s0
; %bb.804:                              ;   in Loop: Header=BB454_799 Depth=1
	v_bfe_u32 v6, v7, 16, 1
	s_delay_alu instid0(VALU_DEP_1)
	v_add3_u32 v33, v7, v6, 0x7fff
; %bb.805:                              ;   in Loop: Header=BB454_799 Depth=1
	s_and_not1_saveexec_b32 s0, s0
; %bb.806:                              ;   in Loop: Header=BB454_799 Depth=1
	v_and_b32_e32 v6, 0xffff, v7
	v_or_b32_e32 v33, 0x10000, v7
	s_delay_alu instid0(VALU_DEP_2) | instskip(NEXT) | instid1(VALU_DEP_2)
	v_cmp_eq_u32_e32 vcc_lo, 0, v6
	v_cndmask_b32_e32 v33, v33, v7, vcc_lo
; %bb.807:                              ;   in Loop: Header=BB454_799 Depth=1
	s_or_b32 exec_lo, exec_lo, s0
	v_and_b32_e32 v6, 0x7f800000, v8
	s_mov_b32 s0, exec_lo
                                        ; implicit-def: $vgpr38
	s_delay_alu instid0(VALU_DEP_1)
	v_cmpx_ne_u32_e32 0x7f800000, v6
	s_xor_b32 s0, exec_lo, s0
; %bb.808:                              ;   in Loop: Header=BB454_799 Depth=1
	v_bfe_u32 v6, v8, 16, 1
	s_delay_alu instid0(VALU_DEP_1)
	v_add3_u32 v38, v8, v6, 0x7fff
; %bb.809:                              ;   in Loop: Header=BB454_799 Depth=1
	s_and_not1_saveexec_b32 s0, s0
; %bb.810:                              ;   in Loop: Header=BB454_799 Depth=1
	v_and_b32_e32 v6, 0xffff, v8
	v_or_b32_e32 v7, 0x10000, v8
	s_delay_alu instid0(VALU_DEP_2) | instskip(NEXT) | instid1(VALU_DEP_2)
	v_cmp_eq_u32_e32 vcc_lo, 0, v6
	v_cndmask_b32_e32 v38, v7, v8, vcc_lo
; %bb.811:                              ;   in Loop: Header=BB454_799 Depth=1
	s_or_b32 exec_lo, exec_lo, s0
	v_and_b32_e32 v6, 0x7f800000, v9
	s_mov_b32 s0, exec_lo
                                        ; implicit-def: $vgpr39
	s_delay_alu instid0(VALU_DEP_1)
	v_cmpx_ne_u32_e32 0x7f800000, v6
	s_xor_b32 s0, exec_lo, s0
; %bb.812:                              ;   in Loop: Header=BB454_799 Depth=1
	v_bfe_u32 v6, v9, 16, 1
	s_delay_alu instid0(VALU_DEP_1)
	v_add3_u32 v39, v9, v6, 0x7fff
                                        ; implicit-def: $vgpr6_vgpr7_vgpr8_vgpr9
; %bb.813:                              ;   in Loop: Header=BB454_799 Depth=1
	s_and_not1_saveexec_b32 s0, s0
; %bb.814:                              ;   in Loop: Header=BB454_799 Depth=1
	v_and_b32_e32 v6, 0xffff, v9
	v_or_b32_e32 v7, 0x10000, v9
	s_delay_alu instid0(VALU_DEP_2) | instskip(NEXT) | instid1(VALU_DEP_2)
	v_cmp_eq_u32_e32 vcc_lo, 0, v6
	v_cndmask_b32_e32 v39, v7, v9, vcc_lo
; %bb.815:                              ;   in Loop: Header=BB454_799 Depth=1
	s_or_b32 exec_lo, exec_lo, s0
	s_waitcnt lgkmcnt(0)
	v_and_b32_e32 v6, 0x7f800000, v0
	s_mov_b32 s0, exec_lo
                                        ; implicit-def: $vgpr48
	s_delay_alu instid0(VALU_DEP_1)
	v_cmpx_ne_u32_e32 0x7f800000, v6
	s_xor_b32 s0, exec_lo, s0
; %bb.816:                              ;   in Loop: Header=BB454_799 Depth=1
	v_bfe_u32 v6, v0, 16, 1
	s_delay_alu instid0(VALU_DEP_1)
	v_add3_u32 v48, v0, v6, 0x7fff
; %bb.817:                              ;   in Loop: Header=BB454_799 Depth=1
	s_and_not1_saveexec_b32 s0, s0
; %bb.818:                              ;   in Loop: Header=BB454_799 Depth=1
	v_and_b32_e32 v6, 0xffff, v0
	v_or_b32_e32 v7, 0x10000, v0
	s_delay_alu instid0(VALU_DEP_2) | instskip(NEXT) | instid1(VALU_DEP_2)
	v_cmp_eq_u32_e32 vcc_lo, 0, v6
	v_cndmask_b32_e32 v48, v7, v0, vcc_lo
; %bb.819:                              ;   in Loop: Header=BB454_799 Depth=1
	s_or_b32 exec_lo, exec_lo, s0
	v_and_b32_e32 v0, 0x7f800000, v1
	s_mov_b32 s0, exec_lo
                                        ; implicit-def: $vgpr49
	s_delay_alu instid0(VALU_DEP_1)
	v_cmpx_ne_u32_e32 0x7f800000, v0
	s_xor_b32 s0, exec_lo, s0
; %bb.820:                              ;   in Loop: Header=BB454_799 Depth=1
	v_bfe_u32 v0, v1, 16, 1
	s_delay_alu instid0(VALU_DEP_1)
	v_add3_u32 v49, v1, v0, 0x7fff
; %bb.821:                              ;   in Loop: Header=BB454_799 Depth=1
	s_and_not1_saveexec_b32 s0, s0
; %bb.822:                              ;   in Loop: Header=BB454_799 Depth=1
	v_and_b32_e32 v0, 0xffff, v1
	v_or_b32_e32 v6, 0x10000, v1
	s_delay_alu instid0(VALU_DEP_2) | instskip(NEXT) | instid1(VALU_DEP_2)
	v_cmp_eq_u32_e32 vcc_lo, 0, v0
	v_cndmask_b32_e32 v49, v6, v1, vcc_lo
; %bb.823:                              ;   in Loop: Header=BB454_799 Depth=1
	s_or_b32 exec_lo, exec_lo, s0
	v_and_b32_e32 v0, 0x7f800000, v2
	s_mov_b32 s0, exec_lo
                                        ; implicit-def: $vgpr50
	s_delay_alu instid0(VALU_DEP_1)
	v_cmpx_ne_u32_e32 0x7f800000, v0
	s_xor_b32 s0, exec_lo, s0
; %bb.824:                              ;   in Loop: Header=BB454_799 Depth=1
	v_bfe_u32 v0, v2, 16, 1
	s_delay_alu instid0(VALU_DEP_1)
	v_add3_u32 v50, v2, v0, 0x7fff
; %bb.825:                              ;   in Loop: Header=BB454_799 Depth=1
	s_and_not1_saveexec_b32 s0, s0
; %bb.826:                              ;   in Loop: Header=BB454_799 Depth=1
	v_and_b32_e32 v0, 0xffff, v2
	v_or_b32_e32 v1, 0x10000, v2
	s_delay_alu instid0(VALU_DEP_2) | instskip(NEXT) | instid1(VALU_DEP_2)
	v_cmp_eq_u32_e32 vcc_lo, 0, v0
	v_cndmask_b32_e32 v50, v1, v2, vcc_lo
; %bb.827:                              ;   in Loop: Header=BB454_799 Depth=1
	s_or_b32 exec_lo, exec_lo, s0
	v_and_b32_e32 v0, 0x7f800000, v3
	s_mov_b32 s0, exec_lo
                                        ; implicit-def: $vgpr51
	s_delay_alu instid0(VALU_DEP_1)
	v_cmpx_ne_u32_e32 0x7f800000, v0
	s_xor_b32 s0, exec_lo, s0
; %bb.828:                              ;   in Loop: Header=BB454_799 Depth=1
	v_bfe_u32 v0, v3, 16, 1
	s_delay_alu instid0(VALU_DEP_1)
	v_add3_u32 v51, v3, v0, 0x7fff
                                        ; implicit-def: $vgpr0_vgpr1_vgpr2_vgpr3
; %bb.829:                              ;   in Loop: Header=BB454_799 Depth=1
	s_and_not1_saveexec_b32 s0, s0
; %bb.830:                              ;   in Loop: Header=BB454_799 Depth=1
	v_and_b32_e32 v0, 0xffff, v3
	v_or_b32_e32 v1, 0x10000, v3
	s_delay_alu instid0(VALU_DEP_2) | instskip(NEXT) | instid1(VALU_DEP_2)
	v_cmp_eq_u32_e32 vcc_lo, 0, v0
	v_cndmask_b32_e32 v51, v1, v3, vcc_lo
; %bb.831:                              ;   in Loop: Header=BB454_799 Depth=1
	s_or_b32 exec_lo, exec_lo, s0
	s_waitcnt vmcnt(0)
	v_mad_i64_i32 v[0:1], null, v52, v22, v[11:12]
	s_mov_b32 s0, exec_lo
	v_mov_b32_e32 v6, 0
	flat_load_b64 v[2:3], v[0:1]
	s_waitcnt vmcnt(0) lgkmcnt(0)
	v_and_b32_e32 v7, 0xff, v2
	s_delay_alu instid0(VALU_DEP_1)
	v_cmpx_ne_u16_e32 0, v7
	s_cbranch_execz .LBB454_839
; %bb.832:                              ;   in Loop: Header=BB454_799 Depth=1
	v_bfrev_b32_e32 v6, 1
	s_mov_b32 s9, exec_lo
	v_cmpx_ne_u16_e32 0x80, v7
	s_cbranch_execz .LBB454_838
; %bb.833:                              ;   in Loop: Header=BB454_799 Depth=1
	v_and_b32_e32 v7, 0x7f, v2
	v_mov_b32_e32 v6, 0x7f800001
	s_mov_b32 s12, exec_lo
	s_delay_alu instid0(VALU_DEP_2)
	v_cmpx_ne_u32_e32 0x7f, v7
	s_cbranch_execz .LBB454_837
; %bb.834:                              ;   in Loop: Header=BB454_799 Depth=1
	v_lshrrev_b32_e32 v8, 3, v7
	v_cmp_gt_u32_e32 vcc_lo, 8, v7
	v_dual_mov_b32 v7, v3 :: v_dual_mov_b32 v6, v2
	s_and_saveexec_b32 s13, vcc_lo
; %bb.835:                              ;   in Loop: Header=BB454_799 Depth=1
	v_and_b32_e32 v6, 7, v2
	s_delay_alu instid0(VALU_DEP_1) | instskip(NEXT) | instid1(VALU_DEP_1)
	v_clz_i32_u32_e32 v6, v6
	v_min_u32_e32 v8, 32, v6
	s_delay_alu instid0(VALU_DEP_1) | instskip(SKIP_1) | instid1(VALU_DEP_2)
	v_subrev_nc_u32_e32 v6, 28, v8
	v_sub_nc_u32_e32 v8, 29, v8
	v_lshlrev_b64 v[6:7], v6, v[2:3]
; %bb.836:                              ;   in Loop: Header=BB454_799 Depth=1
	s_or_b32 exec_lo, exec_lo, s13
	s_delay_alu instid0(VALU_DEP_1) | instskip(SKIP_2) | instid1(VALU_DEP_3)
	v_lshlrev_b32_e32 v6, 20, v6
	v_lshlrev_b32_e32 v7, 24, v2
	v_lshl_add_u32 v8, v8, 23, 0x3c000000
	v_and_b32_e32 v6, 0x700000, v6
	s_delay_alu instid0(VALU_DEP_3) | instskip(NEXT) | instid1(VALU_DEP_1)
	v_and_b32_e32 v7, 0x80000000, v7
	v_or3_b32 v6, v6, v7, v8
.LBB454_837:                            ;   in Loop: Header=BB454_799 Depth=1
	s_or_b32 exec_lo, exec_lo, s12
.LBB454_838:                            ;   in Loop: Header=BB454_799 Depth=1
	s_delay_alu instid0(SALU_CYCLE_1)
	s_or_b32 exec_lo, exec_lo, s9
.LBB454_839:                            ;   in Loop: Header=BB454_799 Depth=1
	s_delay_alu instid0(SALU_CYCLE_1) | instskip(NEXT) | instid1(VALU_DEP_1)
	s_or_b32 exec_lo, exec_lo, s0
	v_mul_f32_e32 v6, v26, v6
	s_mov_b32 s0, exec_lo
                                        ; implicit-def: $vgpr8
	s_delay_alu instid0(VALU_DEP_1) | instskip(NEXT) | instid1(VALU_DEP_1)
	v_and_b32_e32 v7, 0x7f800000, v6
	v_cmpx_ne_u32_e32 0x7f800000, v7
	s_xor_b32 s0, exec_lo, s0
; %bb.840:                              ;   in Loop: Header=BB454_799 Depth=1
	v_bfe_u32 v7, v6, 16, 1
	s_delay_alu instid0(VALU_DEP_1)
	v_add3_u32 v8, v6, v7, 0x7fff
                                        ; implicit-def: $vgpr6
; %bb.841:                              ;   in Loop: Header=BB454_799 Depth=1
	s_and_not1_saveexec_b32 s0, s0
; %bb.842:                              ;   in Loop: Header=BB454_799 Depth=1
	v_and_b32_e32 v7, 0xffff, v6
	v_or_b32_e32 v8, 0x10000, v6
	s_delay_alu instid0(VALU_DEP_2) | instskip(NEXT) | instid1(VALU_DEP_2)
	v_cmp_eq_u32_e32 vcc_lo, 0, v7
	v_cndmask_b32_e32 v8, v8, v6, vcc_lo
; %bb.843:                              ;   in Loop: Header=BB454_799 Depth=1
	s_or_b32 exec_lo, exec_lo, s0
	v_lshrrev_b16 v7, 8, v2
	v_mov_b32_e32 v6, 0
	s_mov_b32 s0, exec_lo
	s_delay_alu instid0(VALU_DEP_2)
	v_cmpx_ne_u16_e32 0, v7
	s_cbranch_execz .LBB454_851
; %bb.844:                              ;   in Loop: Header=BB454_799 Depth=1
	v_bfrev_b32_e32 v6, 1
	s_mov_b32 s9, exec_lo
	v_cmpx_ne_u16_e32 0x80, v7
	s_cbranch_execz .LBB454_850
; %bb.845:                              ;   in Loop: Header=BB454_799 Depth=1
	v_and_b32_e32 v9, 0xffff, v7
	v_mov_b32_e32 v6, 0x7f800001
	s_mov_b32 s12, exec_lo
	s_delay_alu instid0(VALU_DEP_2) | instskip(NEXT) | instid1(VALU_DEP_1)
	v_and_b32_e32 v7, 0x7f, v9
	v_cmpx_ne_u32_e32 0x7f, v7
	s_cbranch_execz .LBB454_849
; %bb.846:                              ;   in Loop: Header=BB454_799 Depth=1
	v_and_b32_e32 v9, 7, v9
	v_lshrrev_b32_e32 v6, 3, v7
	s_mov_b32 s13, exec_lo
	v_cmpx_gt_u32_e32 8, v7
; %bb.847:                              ;   in Loop: Header=BB454_799 Depth=1
	s_delay_alu instid0(VALU_DEP_3) | instskip(NEXT) | instid1(VALU_DEP_1)
	v_clz_i32_u32_e32 v6, v9
	v_min_u32_e32 v6, 32, v6
	s_delay_alu instid0(VALU_DEP_1) | instskip(SKIP_1) | instid1(VALU_DEP_2)
	v_subrev_nc_u32_e32 v7, 28, v6
	v_sub_nc_u32_e32 v6, 29, v6
	v_lshlrev_b64 v[52:53], v7, v[9:10]
	s_delay_alu instid0(VALU_DEP_1)
	v_and_b32_e32 v9, 7, v52
; %bb.848:                              ;   in Loop: Header=BB454_799 Depth=1
	s_or_b32 exec_lo, exec_lo, s13
	v_lshlrev_b32_e32 v7, 16, v2
	s_delay_alu instid0(VALU_DEP_2) | instskip(SKIP_1) | instid1(VALU_DEP_3)
	v_lshlrev_b32_e32 v9, 20, v9
	v_lshl_add_u32 v6, v6, 23, 0x3c000000
	v_and_b32_e32 v7, 0x80000000, v7
	s_delay_alu instid0(VALU_DEP_1)
	v_or3_b32 v6, v9, v7, v6
.LBB454_849:                            ;   in Loop: Header=BB454_799 Depth=1
	s_or_b32 exec_lo, exec_lo, s12
.LBB454_850:                            ;   in Loop: Header=BB454_799 Depth=1
	s_delay_alu instid0(SALU_CYCLE_1)
	s_or_b32 exec_lo, exec_lo, s9
.LBB454_851:                            ;   in Loop: Header=BB454_799 Depth=1
	s_delay_alu instid0(SALU_CYCLE_1) | instskip(NEXT) | instid1(VALU_DEP_1)
	s_or_b32 exec_lo, exec_lo, s0
	v_mul_f32_e32 v6, v26, v6
	s_mov_b32 s0, exec_lo
                                        ; implicit-def: $vgpr53
	s_delay_alu instid0(VALU_DEP_1) | instskip(NEXT) | instid1(VALU_DEP_1)
	v_and_b32_e32 v7, 0x7f800000, v6
	v_cmpx_ne_u32_e32 0x7f800000, v7
	s_xor_b32 s0, exec_lo, s0
; %bb.852:                              ;   in Loop: Header=BB454_799 Depth=1
	v_bfe_u32 v7, v6, 16, 1
	s_delay_alu instid0(VALU_DEP_1)
	v_add3_u32 v53, v6, v7, 0x7fff
                                        ; implicit-def: $vgpr6
; %bb.853:                              ;   in Loop: Header=BB454_799 Depth=1
	s_and_not1_saveexec_b32 s0, s0
; %bb.854:                              ;   in Loop: Header=BB454_799 Depth=1
	v_and_b32_e32 v7, 0xffff, v6
	v_or_b32_e32 v9, 0x10000, v6
	s_delay_alu instid0(VALU_DEP_2) | instskip(NEXT) | instid1(VALU_DEP_2)
	v_cmp_eq_u32_e32 vcc_lo, 0, v7
	v_cndmask_b32_e32 v53, v9, v6, vcc_lo
; %bb.855:                              ;   in Loop: Header=BB454_799 Depth=1
	s_or_b32 exec_lo, exec_lo, s0
	v_lshrrev_b32_e32 v6, 16, v2
	v_mov_b32_e32 v7, 0
	s_mov_b32 s0, exec_lo
	s_delay_alu instid0(VALU_DEP_2) | instskip(NEXT) | instid1(VALU_DEP_1)
	v_and_b32_e32 v9, 0xff, v6
	v_cmpx_ne_u16_e32 0, v9
	s_cbranch_execz .LBB454_863
; %bb.856:                              ;   in Loop: Header=BB454_799 Depth=1
	v_bfrev_b32_e32 v7, 1
	s_mov_b32 s9, exec_lo
	v_cmpx_ne_u16_e32 0x80, v9
	s_cbranch_execz .LBB454_862
; %bb.857:                              ;   in Loop: Header=BB454_799 Depth=1
	v_bfe_u32 v52, v2, 16, 7
	v_mov_b32_e32 v7, 0x7f800001
	s_mov_b32 s12, exec_lo
	s_delay_alu instid0(VALU_DEP_2)
	v_cmpx_ne_u32_e32 0x7f, v52
	s_cbranch_execz .LBB454_861
; %bb.858:                              ;   in Loop: Header=BB454_799 Depth=1
	v_and_b32_e32 v9, 7, v6
	v_lshrrev_b32_e32 v7, 3, v52
	s_mov_b32 s13, exec_lo
	v_cmpx_gt_u32_e32 8, v52
; %bb.859:                              ;   in Loop: Header=BB454_799 Depth=1
	s_delay_alu instid0(VALU_DEP_3) | instskip(NEXT) | instid1(VALU_DEP_1)
	v_clz_i32_u32_e32 v7, v9
	v_min_u32_e32 v7, 32, v7
	s_delay_alu instid0(VALU_DEP_1) | instskip(SKIP_1) | instid1(VALU_DEP_2)
	v_subrev_nc_u32_e32 v52, 28, v7
	v_sub_nc_u32_e32 v7, 29, v7
	v_lshlrev_b64 v[54:55], v52, v[9:10]
	s_delay_alu instid0(VALU_DEP_1)
	v_and_b32_e32 v9, 7, v54
; %bb.860:                              ;   in Loop: Header=BB454_799 Depth=1
	s_or_b32 exec_lo, exec_lo, s13
	v_lshlrev_b32_e32 v6, 24, v6
	s_delay_alu instid0(VALU_DEP_2) | instskip(SKIP_1) | instid1(VALU_DEP_3)
	v_lshlrev_b32_e32 v9, 20, v9
	v_lshl_add_u32 v7, v7, 23, 0x3c000000
	v_and_b32_e32 v6, 0x80000000, v6
	s_delay_alu instid0(VALU_DEP_1)
	v_or3_b32 v7, v9, v6, v7
.LBB454_861:                            ;   in Loop: Header=BB454_799 Depth=1
	s_or_b32 exec_lo, exec_lo, s12
.LBB454_862:                            ;   in Loop: Header=BB454_799 Depth=1
	s_delay_alu instid0(SALU_CYCLE_1)
	s_or_b32 exec_lo, exec_lo, s9
.LBB454_863:                            ;   in Loop: Header=BB454_799 Depth=1
	s_delay_alu instid0(SALU_CYCLE_1) | instskip(NEXT) | instid1(VALU_DEP_1)
	s_or_b32 exec_lo, exec_lo, s0
	v_mul_f32_e32 v6, v26, v7
	s_mov_b32 s0, exec_lo
                                        ; implicit-def: $vgpr54
	s_delay_alu instid0(VALU_DEP_1) | instskip(NEXT) | instid1(VALU_DEP_1)
	v_and_b32_e32 v7, 0x7f800000, v6
	v_cmpx_ne_u32_e32 0x7f800000, v7
	s_xor_b32 s0, exec_lo, s0
; %bb.864:                              ;   in Loop: Header=BB454_799 Depth=1
	v_bfe_u32 v7, v6, 16, 1
	s_delay_alu instid0(VALU_DEP_1)
	v_add3_u32 v54, v6, v7, 0x7fff
                                        ; implicit-def: $vgpr6
; %bb.865:                              ;   in Loop: Header=BB454_799 Depth=1
	s_and_not1_saveexec_b32 s0, s0
; %bb.866:                              ;   in Loop: Header=BB454_799 Depth=1
	v_and_b32_e32 v7, 0xffff, v6
	v_or_b32_e32 v9, 0x10000, v6
	s_delay_alu instid0(VALU_DEP_2) | instskip(NEXT) | instid1(VALU_DEP_2)
	v_cmp_eq_u32_e32 vcc_lo, 0, v7
	v_cndmask_b32_e32 v54, v9, v6, vcc_lo
; %bb.867:                              ;   in Loop: Header=BB454_799 Depth=1
	s_or_b32 exec_lo, exec_lo, s0
	v_mov_b32_e32 v7, 0
	s_mov_b32 s0, exec_lo
	v_cmpx_lt_u32_e32 0xffffff, v2
	s_cbranch_execz .LBB454_875
; %bb.868:                              ;   in Loop: Header=BB454_799 Depth=1
	v_lshrrev_b32_e32 v6, 24, v2
	v_bfrev_b32_e32 v7, 1
	s_mov_b32 s9, exec_lo
	s_delay_alu instid0(VALU_DEP_2)
	v_cmpx_ne_u32_e32 0x80, v6
	s_cbranch_execz .LBB454_874
; %bb.869:                              ;   in Loop: Header=BB454_799 Depth=1
	v_bfe_u32 v52, v2, 24, 7
	v_mov_b32_e32 v7, 0x7f800001
	s_mov_b32 s12, exec_lo
	s_delay_alu instid0(VALU_DEP_2)
	v_cmpx_ne_u32_e32 0x7f, v52
	s_cbranch_execz .LBB454_873
; %bb.870:                              ;   in Loop: Header=BB454_799 Depth=1
	v_and_b32_e32 v9, 7, v6
	v_lshrrev_b32_e32 v7, 3, v52
	s_mov_b32 s13, exec_lo
	v_cmpx_gt_u32_e32 8, v52
; %bb.871:                              ;   in Loop: Header=BB454_799 Depth=1
	s_delay_alu instid0(VALU_DEP_3) | instskip(NEXT) | instid1(VALU_DEP_1)
	v_clz_i32_u32_e32 v7, v9
	v_min_u32_e32 v7, 32, v7
	s_delay_alu instid0(VALU_DEP_1) | instskip(SKIP_1) | instid1(VALU_DEP_2)
	v_subrev_nc_u32_e32 v52, 28, v7
	v_sub_nc_u32_e32 v7, 29, v7
	v_lshlrev_b64 v[64:65], v52, v[9:10]
	s_delay_alu instid0(VALU_DEP_1)
	v_and_b32_e32 v9, 7, v64
; %bb.872:                              ;   in Loop: Header=BB454_799 Depth=1
	s_or_b32 exec_lo, exec_lo, s13
	v_lshlrev_b32_e32 v6, 24, v6
	s_delay_alu instid0(VALU_DEP_2) | instskip(SKIP_1) | instid1(VALU_DEP_3)
	v_lshlrev_b32_e32 v9, 20, v9
	v_lshl_add_u32 v7, v7, 23, 0x3c000000
	v_and_b32_e32 v6, 0x80000000, v6
	s_delay_alu instid0(VALU_DEP_1)
	v_or3_b32 v7, v9, v6, v7
.LBB454_873:                            ;   in Loop: Header=BB454_799 Depth=1
	s_or_b32 exec_lo, exec_lo, s12
.LBB454_874:                            ;   in Loop: Header=BB454_799 Depth=1
	s_delay_alu instid0(SALU_CYCLE_1)
	s_or_b32 exec_lo, exec_lo, s9
.LBB454_875:                            ;   in Loop: Header=BB454_799 Depth=1
	s_delay_alu instid0(SALU_CYCLE_1) | instskip(NEXT) | instid1(VALU_DEP_1)
	s_or_b32 exec_lo, exec_lo, s0
	v_mul_f32_e32 v6, v26, v7
	s_mov_b32 s0, exec_lo
                                        ; implicit-def: $vgpr55
	s_delay_alu instid0(VALU_DEP_1) | instskip(NEXT) | instid1(VALU_DEP_1)
	v_and_b32_e32 v7, 0x7f800000, v6
	v_cmpx_ne_u32_e32 0x7f800000, v7
	s_xor_b32 s0, exec_lo, s0
; %bb.876:                              ;   in Loop: Header=BB454_799 Depth=1
	v_bfe_u32 v7, v6, 16, 1
	s_delay_alu instid0(VALU_DEP_1)
	v_add3_u32 v55, v6, v7, 0x7fff
                                        ; implicit-def: $vgpr6
; %bb.877:                              ;   in Loop: Header=BB454_799 Depth=1
	s_and_not1_saveexec_b32 s0, s0
; %bb.878:                              ;   in Loop: Header=BB454_799 Depth=1
	v_and_b32_e32 v7, 0xffff, v6
	v_or_b32_e32 v9, 0x10000, v6
	s_delay_alu instid0(VALU_DEP_2) | instskip(NEXT) | instid1(VALU_DEP_2)
	v_cmp_eq_u32_e32 vcc_lo, 0, v7
	v_cndmask_b32_e32 v55, v9, v6, vcc_lo
; %bb.879:                              ;   in Loop: Header=BB454_799 Depth=1
	s_or_b32 exec_lo, exec_lo, s0
	v_dual_mov_b32 v6, 0 :: v_dual_and_b32 v7, 0xff, v3
	v_mov_b32_e32 v9, v3
	s_mov_b32 s0, exec_lo
	s_delay_alu instid0(VALU_DEP_2)
	v_cmpx_ne_u16_e32 0, v7
	s_cbranch_execz .LBB454_887
; %bb.880:                              ;   in Loop: Header=BB454_799 Depth=1
	v_bfrev_b32_e32 v6, 1
	s_mov_b32 s9, exec_lo
	v_cmpx_ne_u16_e32 0x80, v7
	s_cbranch_execz .LBB454_886
; %bb.881:                              ;   in Loop: Header=BB454_799 Depth=1
	v_and_b32_e32 v7, 0x7f, v3
	v_mov_b32_e32 v6, 0x7f800001
	s_mov_b32 s12, exec_lo
	s_delay_alu instid0(VALU_DEP_2)
	v_cmpx_ne_u32_e32 0x7f, v7
	s_cbranch_execz .LBB454_885
; %bb.882:                              ;   in Loop: Header=BB454_799 Depth=1
	v_lshrrev_b32_e32 v52, 3, v7
	v_cmp_gt_u32_e32 vcc_lo, 8, v7
	v_dual_mov_b32 v6, v9 :: v_dual_mov_b32 v7, v10
	s_and_saveexec_b32 s13, vcc_lo
; %bb.883:                              ;   in Loop: Header=BB454_799 Depth=1
	v_and_b32_e32 v6, 7, v3
	s_delay_alu instid0(VALU_DEP_1) | instskip(NEXT) | instid1(VALU_DEP_1)
	v_clz_i32_u32_e32 v6, v6
	v_min_u32_e32 v52, 32, v6
	s_delay_alu instid0(VALU_DEP_1) | instskip(SKIP_1) | instid1(VALU_DEP_2)
	v_subrev_nc_u32_e32 v6, 28, v52
	v_sub_nc_u32_e32 v52, 29, v52
	v_lshlrev_b64 v[6:7], v6, v[9:10]
; %bb.884:                              ;   in Loop: Header=BB454_799 Depth=1
	s_or_b32 exec_lo, exec_lo, s13
	s_delay_alu instid0(VALU_DEP_1) | instskip(SKIP_2) | instid1(VALU_DEP_3)
	v_lshlrev_b32_e32 v6, 20, v6
	v_lshlrev_b32_e32 v7, 24, v9
	v_lshl_add_u32 v52, v52, 23, 0x3c000000
	v_and_b32_e32 v6, 0x700000, v6
	s_delay_alu instid0(VALU_DEP_3) | instskip(NEXT) | instid1(VALU_DEP_1)
	v_and_b32_e32 v7, 0x80000000, v7
	v_or3_b32 v6, v6, v7, v52
.LBB454_885:                            ;   in Loop: Header=BB454_799 Depth=1
	s_or_b32 exec_lo, exec_lo, s12
.LBB454_886:                            ;   in Loop: Header=BB454_799 Depth=1
	s_delay_alu instid0(SALU_CYCLE_1)
	s_or_b32 exec_lo, exec_lo, s9
.LBB454_887:                            ;   in Loop: Header=BB454_799 Depth=1
	s_delay_alu instid0(SALU_CYCLE_1) | instskip(NEXT) | instid1(VALU_DEP_1)
	s_or_b32 exec_lo, exec_lo, s0
	v_mul_f32_e32 v6, v26, v6
	s_mov_b32 s0, exec_lo
                                        ; implicit-def: $vgpr64
	s_delay_alu instid0(VALU_DEP_1) | instskip(NEXT) | instid1(VALU_DEP_1)
	v_and_b32_e32 v7, 0x7f800000, v6
	v_cmpx_ne_u32_e32 0x7f800000, v7
	s_xor_b32 s0, exec_lo, s0
; %bb.888:                              ;   in Loop: Header=BB454_799 Depth=1
	v_bfe_u32 v7, v6, 16, 1
	s_delay_alu instid0(VALU_DEP_1)
	v_add3_u32 v64, v6, v7, 0x7fff
                                        ; implicit-def: $vgpr6
; %bb.889:                              ;   in Loop: Header=BB454_799 Depth=1
	s_and_not1_saveexec_b32 s0, s0
; %bb.890:                              ;   in Loop: Header=BB454_799 Depth=1
	v_and_b32_e32 v7, 0xffff, v6
	v_or_b32_e32 v52, 0x10000, v6
	s_delay_alu instid0(VALU_DEP_2) | instskip(NEXT) | instid1(VALU_DEP_2)
	v_cmp_eq_u32_e32 vcc_lo, 0, v7
	v_cndmask_b32_e32 v64, v52, v6, vcc_lo
; %bb.891:                              ;   in Loop: Header=BB454_799 Depth=1
	s_or_b32 exec_lo, exec_lo, s0
	v_lshrrev_b16 v7, 8, v9
	v_mov_b32_e32 v6, 0
	s_mov_b32 s0, exec_lo
	s_delay_alu instid0(VALU_DEP_2)
	v_cmpx_ne_u16_e32 0, v7
	s_cbranch_execz .LBB454_899
; %bb.892:                              ;   in Loop: Header=BB454_799 Depth=1
	v_bfrev_b32_e32 v6, 1
	s_mov_b32 s9, exec_lo
	v_cmpx_ne_u16_e32 0x80, v7
	s_cbranch_execz .LBB454_898
; %bb.893:                              ;   in Loop: Header=BB454_799 Depth=1
	v_and_b32_e32 v7, 0xffff, v7
	v_mov_b32_e32 v6, 0x7f800001
	s_mov_b32 s12, exec_lo
	s_delay_alu instid0(VALU_DEP_2) | instskip(NEXT) | instid1(VALU_DEP_1)
	v_and_b32_e32 v65, 0x7f, v7
	v_cmpx_ne_u32_e32 0x7f, v65
	s_cbranch_execz .LBB454_897
; %bb.894:                              ;   in Loop: Header=BB454_799 Depth=1
	v_dual_mov_b32 v7, v10 :: v_dual_and_b32 v6, 7, v7
	v_lshrrev_b32_e32 v52, 3, v65
	s_mov_b32 s13, exec_lo
	v_cmpx_gt_u32_e32 8, v65
; %bb.895:                              ;   in Loop: Header=BB454_799 Depth=1
	s_delay_alu instid0(VALU_DEP_3) | instskip(NEXT) | instid1(VALU_DEP_1)
	v_clz_i32_u32_e32 v52, v6
	v_min_u32_e32 v52, 32, v52
	s_delay_alu instid0(VALU_DEP_1) | instskip(SKIP_1) | instid1(VALU_DEP_2)
	v_subrev_nc_u32_e32 v65, 28, v52
	v_sub_nc_u32_e32 v52, 29, v52
	v_lshlrev_b64 v[6:7], v65, v[6:7]
	s_delay_alu instid0(VALU_DEP_1)
	v_and_b32_e32 v6, 7, v6
; %bb.896:                              ;   in Loop: Header=BB454_799 Depth=1
	s_or_b32 exec_lo, exec_lo, s13
	v_lshlrev_b32_e32 v7, 16, v9
	s_delay_alu instid0(VALU_DEP_2) | instskip(SKIP_1) | instid1(VALU_DEP_3)
	v_lshlrev_b32_e32 v6, 20, v6
	v_lshl_add_u32 v9, v52, 23, 0x3c000000
	v_and_b32_e32 v7, 0x80000000, v7
	s_delay_alu instid0(VALU_DEP_1)
	v_or3_b32 v6, v6, v7, v9
.LBB454_897:                            ;   in Loop: Header=BB454_799 Depth=1
	s_or_b32 exec_lo, exec_lo, s12
.LBB454_898:                            ;   in Loop: Header=BB454_799 Depth=1
	s_delay_alu instid0(SALU_CYCLE_1)
	s_or_b32 exec_lo, exec_lo, s9
.LBB454_899:                            ;   in Loop: Header=BB454_799 Depth=1
	s_delay_alu instid0(SALU_CYCLE_1) | instskip(NEXT) | instid1(VALU_DEP_1)
	s_or_b32 exec_lo, exec_lo, s0
	v_mul_f32_e32 v7, v26, v6
	s_delay_alu instid0(VALU_DEP_1) | instskip(NEXT) | instid1(VALU_DEP_1)
	v_and_b32_e32 v6, 0x7f800000, v7
	v_cmp_ne_u32_e32 vcc_lo, 0x7f800000, v6
                                        ; implicit-def: $vgpr6
	s_and_saveexec_b32 s0, vcc_lo
	s_delay_alu instid0(SALU_CYCLE_1)
	s_xor_b32 s0, exec_lo, s0
; %bb.900:                              ;   in Loop: Header=BB454_799 Depth=1
	v_bfe_u32 v6, v7, 16, 1
	s_delay_alu instid0(VALU_DEP_1)
	v_add3_u32 v6, v7, v6, 0x7fff
                                        ; implicit-def: $vgpr7
; %bb.901:                              ;   in Loop: Header=BB454_799 Depth=1
	s_and_not1_saveexec_b32 s0, s0
; %bb.902:                              ;   in Loop: Header=BB454_799 Depth=1
	v_and_b32_e32 v6, 0xffff, v7
	v_or_b32_e32 v9, 0x10000, v7
	s_delay_alu instid0(VALU_DEP_2) | instskip(NEXT) | instid1(VALU_DEP_2)
	v_cmp_eq_u32_e32 vcc_lo, 0, v6
	v_cndmask_b32_e32 v6, v9, v7, vcc_lo
; %bb.903:                              ;   in Loop: Header=BB454_799 Depth=1
	s_or_b32 exec_lo, exec_lo, s0
	v_lshrrev_b32_e32 v7, 16, v3
	s_mov_b32 s0, exec_lo
	s_delay_alu instid0(VALU_DEP_1) | instskip(NEXT) | instid1(VALU_DEP_1)
	v_dual_mov_b32 v9, 0 :: v_dual_and_b32 v52, 0xff, v7
	v_cmpx_ne_u16_e32 0, v52
	s_cbranch_execz .LBB454_911
; %bb.904:                              ;   in Loop: Header=BB454_799 Depth=1
	v_bfrev_b32_e32 v9, 1
	s_mov_b32 s9, exec_lo
	v_cmpx_ne_u16_e32 0x80, v52
	s_cbranch_execz .LBB454_910
; %bb.905:                              ;   in Loop: Header=BB454_799 Depth=1
	v_bfe_u32 v65, v3, 16, 7
	v_mov_b32_e32 v9, 0x7f800001
	s_mov_b32 s12, exec_lo
	s_delay_alu instid0(VALU_DEP_2)
	v_cmpx_ne_u32_e32 0x7f, v65
	s_cbranch_execz .LBB454_909
; %bb.906:                              ;   in Loop: Header=BB454_799 Depth=1
	v_and_b32_e32 v9, 7, v7
	v_lshrrev_b32_e32 v52, 3, v65
	s_mov_b32 s13, exec_lo
	v_cmpx_gt_u32_e32 8, v65
; %bb.907:                              ;   in Loop: Header=BB454_799 Depth=1
	s_delay_alu instid0(VALU_DEP_3) | instskip(NEXT) | instid1(VALU_DEP_1)
	v_clz_i32_u32_e32 v52, v9
	v_min_u32_e32 v52, 32, v52
	s_delay_alu instid0(VALU_DEP_1) | instskip(SKIP_1) | instid1(VALU_DEP_2)
	v_subrev_nc_u32_e32 v65, 28, v52
	v_sub_nc_u32_e32 v52, 29, v52
	v_lshlrev_b64 v[65:66], v65, v[9:10]
	s_delay_alu instid0(VALU_DEP_1)
	v_and_b32_e32 v9, 7, v65
; %bb.908:                              ;   in Loop: Header=BB454_799 Depth=1
	s_or_b32 exec_lo, exec_lo, s13
	v_lshlrev_b32_e32 v7, 24, v7
	s_delay_alu instid0(VALU_DEP_2) | instskip(SKIP_1) | instid1(VALU_DEP_3)
	v_lshlrev_b32_e32 v9, 20, v9
	v_lshl_add_u32 v52, v52, 23, 0x3c000000
	v_and_b32_e32 v7, 0x80000000, v7
	s_delay_alu instid0(VALU_DEP_1)
	v_or3_b32 v9, v9, v7, v52
.LBB454_909:                            ;   in Loop: Header=BB454_799 Depth=1
	s_or_b32 exec_lo, exec_lo, s12
.LBB454_910:                            ;   in Loop: Header=BB454_799 Depth=1
	s_delay_alu instid0(SALU_CYCLE_1)
	s_or_b32 exec_lo, exec_lo, s9
.LBB454_911:                            ;   in Loop: Header=BB454_799 Depth=1
	s_delay_alu instid0(SALU_CYCLE_1) | instskip(NEXT) | instid1(VALU_DEP_1)
	s_or_b32 exec_lo, exec_lo, s0
	v_mul_f32_e32 v7, v26, v9
	s_mov_b32 s0, exec_lo
                                        ; implicit-def: $vgpr65
	s_delay_alu instid0(VALU_DEP_1) | instskip(NEXT) | instid1(VALU_DEP_1)
	v_and_b32_e32 v9, 0x7f800000, v7
	v_cmpx_ne_u32_e32 0x7f800000, v9
	s_xor_b32 s0, exec_lo, s0
; %bb.912:                              ;   in Loop: Header=BB454_799 Depth=1
	v_bfe_u32 v9, v7, 16, 1
	s_delay_alu instid0(VALU_DEP_1)
	v_add3_u32 v65, v7, v9, 0x7fff
                                        ; implicit-def: $vgpr7
; %bb.913:                              ;   in Loop: Header=BB454_799 Depth=1
	s_and_not1_saveexec_b32 s0, s0
; %bb.914:                              ;   in Loop: Header=BB454_799 Depth=1
	v_and_b32_e32 v9, 0xffff, v7
	v_or_b32_e32 v52, 0x10000, v7
	s_delay_alu instid0(VALU_DEP_2) | instskip(NEXT) | instid1(VALU_DEP_2)
	v_cmp_eq_u32_e32 vcc_lo, 0, v9
	v_cndmask_b32_e32 v65, v52, v7, vcc_lo
; %bb.915:                              ;   in Loop: Header=BB454_799 Depth=1
	s_or_b32 exec_lo, exec_lo, s0
	v_mov_b32_e32 v7, 0
	s_mov_b32 s0, exec_lo
	v_cmpx_lt_u64_e64 s[2:3], v[2:3]
	s_cbranch_execz .LBB454_923
; %bb.916:                              ;   in Loop: Header=BB454_799 Depth=1
	v_lshrrev_b32_e32 v2, 24, v3
	v_bfrev_b32_e32 v7, 1
	s_mov_b32 s9, exec_lo
	s_delay_alu instid0(VALU_DEP_2)
	v_cmpx_ne_u32_e32 0x80, v2
	s_cbranch_execz .LBB454_922
; %bb.917:                              ;   in Loop: Header=BB454_799 Depth=1
	v_bfe_u32 v52, v3, 24, 7
	v_mov_b32_e32 v7, 0x7f800001
	s_mov_b32 s12, exec_lo
	s_delay_alu instid0(VALU_DEP_2)
	v_cmpx_ne_u32_e32 0x7f, v52
	s_cbranch_execz .LBB454_921
; %bb.918:                              ;   in Loop: Header=BB454_799 Depth=1
	v_and_b32_e32 v9, 7, v2
	v_lshrrev_b32_e32 v3, 3, v52
	s_mov_b32 s13, exec_lo
	v_cmpx_gt_u32_e32 8, v52
; %bb.919:                              ;   in Loop: Header=BB454_799 Depth=1
	s_delay_alu instid0(VALU_DEP_3) | instskip(NEXT) | instid1(VALU_DEP_1)
	v_clz_i32_u32_e32 v3, v9
	v_min_u32_e32 v3, 32, v3
	s_delay_alu instid0(VALU_DEP_1) | instskip(SKIP_1) | instid1(VALU_DEP_2)
	v_subrev_nc_u32_e32 v7, 28, v3
	v_sub_nc_u32_e32 v3, 29, v3
	v_lshlrev_b64 v[68:69], v7, v[9:10]
	s_delay_alu instid0(VALU_DEP_1)
	v_and_b32_e32 v9, 7, v68
; %bb.920:                              ;   in Loop: Header=BB454_799 Depth=1
	s_or_b32 exec_lo, exec_lo, s13
	v_lshlrev_b32_e32 v2, 24, v2
	s_delay_alu instid0(VALU_DEP_2) | instskip(SKIP_1) | instid1(VALU_DEP_3)
	v_lshlrev_b32_e32 v7, 20, v9
	v_lshl_add_u32 v3, v3, 23, 0x3c000000
	v_and_b32_e32 v2, 0x80000000, v2
	s_delay_alu instid0(VALU_DEP_1)
	v_or3_b32 v7, v7, v2, v3
.LBB454_921:                            ;   in Loop: Header=BB454_799 Depth=1
	s_or_b32 exec_lo, exec_lo, s12
.LBB454_922:                            ;   in Loop: Header=BB454_799 Depth=1
	s_delay_alu instid0(SALU_CYCLE_1)
	s_or_b32 exec_lo, exec_lo, s9
.LBB454_923:                            ;   in Loop: Header=BB454_799 Depth=1
	s_delay_alu instid0(SALU_CYCLE_1) | instskip(NEXT) | instid1(VALU_DEP_1)
	s_or_b32 exec_lo, exec_lo, s0
	v_mul_f32_e32 v3, v26, v7
	s_delay_alu instid0(VALU_DEP_1) | instskip(NEXT) | instid1(VALU_DEP_1)
	v_and_b32_e32 v2, 0x7f800000, v3
	v_cmp_ne_u32_e32 vcc_lo, 0x7f800000, v2
                                        ; implicit-def: $vgpr2
	s_and_saveexec_b32 s0, vcc_lo
	s_delay_alu instid0(SALU_CYCLE_1)
	s_xor_b32 s0, exec_lo, s0
; %bb.924:                              ;   in Loop: Header=BB454_799 Depth=1
	v_bfe_u32 v2, v3, 16, 1
	s_delay_alu instid0(VALU_DEP_1)
	v_add3_u32 v2, v3, v2, 0x7fff
                                        ; implicit-def: $vgpr3
; %bb.925:                              ;   in Loop: Header=BB454_799 Depth=1
	s_and_not1_saveexec_b32 s0, s0
; %bb.926:                              ;   in Loop: Header=BB454_799 Depth=1
	v_and_b32_e32 v2, 0xffff, v3
	v_or_b32_e32 v7, 0x10000, v3
	s_delay_alu instid0(VALU_DEP_2) | instskip(NEXT) | instid1(VALU_DEP_2)
	v_cmp_eq_u32_e32 vcc_lo, 0, v2
	v_cndmask_b32_e32 v2, v7, v3, vcc_lo
; %bb.927:                              ;   in Loop: Header=BB454_799 Depth=1
	s_or_b32 exec_lo, exec_lo, s0
	v_cmp_eq_u32_e32 vcc_lo, v27, v16
	v_add_nc_u32_e32 v52, -7, v15
	v_lshrrev_b32_e32 v6, 16, v6
	v_lshrrev_b32_e32 v7, 16, v64
	;; [unrolled: 1-line block ×8, first 2 shown]
	v_add_nc_u32_e32 v66, -6, v15
	v_add_nc_u32_e32 v65, -5, v15
	;; [unrolled: 1-line block ×6, first 2 shown]
	s_and_saveexec_b32 s9, vcc_lo
	s_cbranch_execz .LBB454_929
; %bb.928:                              ;   in Loop: Header=BB454_799 Depth=1
	v_cmp_lt_i32_e64 s0, v52, v35
	s_delay_alu instid0(VALU_DEP_1) | instskip(SKIP_1) | instid1(VALU_DEP_1)
	v_cndmask_b32_e64 v8, 0, v8, s0
	v_cmp_lt_i32_e64 s0, v66, v35
	v_cndmask_b32_e64 v69, 0, v69, s0
	v_cmp_lt_i32_e64 s0, v65, v35
	s_delay_alu instid0(VALU_DEP_1) | instskip(SKIP_1) | instid1(VALU_DEP_1)
	v_cndmask_b32_e64 v70, 0, v70, s0
	v_cmp_lt_i32_e64 s0, v64, v35
	v_cndmask_b32_e64 v9, 0, v9, s0
	;; [unrolled: 5-line block ×4, first 2 shown]
.LBB454_929:                            ;   in Loop: Header=BB454_799 Depth=1
	s_or_b32 exec_lo, exec_lo, s9
	v_and_b32_e32 v67, 0xffff0000, v67
	v_lshlrev_b32_e32 v8, 16, v8
	s_delay_alu instid0(VALU_DEP_1) | instskip(NEXT) | instid1(VALU_DEP_1)
	v_mul_f32_e32 v68, v67, v8
	v_and_b32_e32 v8, 0x7f800000, v68
	s_delay_alu instid0(VALU_DEP_1) | instskip(NEXT) | instid1(VALU_DEP_1)
	v_cmp_ne_u32_e64 s0, 0x7f800000, v8
                                        ; implicit-def: $vgpr8
	s_and_saveexec_b32 s9, s0
	s_delay_alu instid0(SALU_CYCLE_1)
	s_xor_b32 s0, exec_lo, s9
; %bb.930:                              ;   in Loop: Header=BB454_799 Depth=1
	v_bfe_u32 v8, v68, 16, 1
	s_delay_alu instid0(VALU_DEP_1)
	v_add3_u32 v8, v68, v8, 0x7fff
                                        ; implicit-def: $vgpr68
; %bb.931:                              ;   in Loop: Header=BB454_799 Depth=1
	s_and_not1_saveexec_b32 s9, s0
; %bb.932:                              ;   in Loop: Header=BB454_799 Depth=1
	v_and_b32_e32 v8, 0xffff, v68
	v_or_b32_e32 v71, 0x10000, v68
	s_delay_alu instid0(VALU_DEP_2) | instskip(NEXT) | instid1(VALU_DEP_1)
	v_cmp_eq_u32_e64 s0, 0, v8
	v_cndmask_b32_e64 v8, v71, v68, s0
; %bb.933:                              ;   in Loop: Header=BB454_799 Depth=1
	s_or_b32 exec_lo, exec_lo, s9
	v_and_b32_e32 v68, 0xffff0000, v33
	v_lshlrev_b32_e32 v33, 16, v69
	s_delay_alu instid0(VALU_DEP_1) | instskip(NEXT) | instid1(VALU_DEP_1)
	v_mul_f32_e32 v69, v68, v33
	v_and_b32_e32 v33, 0x7f800000, v69
	s_delay_alu instid0(VALU_DEP_1) | instskip(NEXT) | instid1(VALU_DEP_1)
	v_cmp_ne_u32_e64 s0, 0x7f800000, v33
                                        ; implicit-def: $vgpr33
	s_and_saveexec_b32 s9, s0
	s_delay_alu instid0(SALU_CYCLE_1)
	s_xor_b32 s0, exec_lo, s9
; %bb.934:                              ;   in Loop: Header=BB454_799 Depth=1
	v_bfe_u32 v33, v69, 16, 1
	s_delay_alu instid0(VALU_DEP_1)
	v_add3_u32 v33, v69, v33, 0x7fff
                                        ; implicit-def: $vgpr69
; %bb.935:                              ;   in Loop: Header=BB454_799 Depth=1
	s_and_not1_saveexec_b32 s9, s0
; %bb.936:                              ;   in Loop: Header=BB454_799 Depth=1
	v_and_b32_e32 v33, 0xffff, v69
	v_or_b32_e32 v71, 0x10000, v69
	s_delay_alu instid0(VALU_DEP_2) | instskip(NEXT) | instid1(VALU_DEP_1)
	v_cmp_eq_u32_e64 s0, 0, v33
	v_cndmask_b32_e64 v33, v71, v69, s0
; %bb.937:                              ;   in Loop: Header=BB454_799 Depth=1
	s_or_b32 exec_lo, exec_lo, s9
	v_and_b32_e32 v69, 0xffff0000, v38
	v_lshlrev_b32_e32 v38, 16, v70
	s_delay_alu instid0(VALU_DEP_1) | instskip(NEXT) | instid1(VALU_DEP_1)
	v_mul_f32_e32 v70, v69, v38
	v_and_b32_e32 v38, 0x7f800000, v70
	s_delay_alu instid0(VALU_DEP_1) | instskip(NEXT) | instid1(VALU_DEP_1)
	v_cmp_ne_u32_e64 s0, 0x7f800000, v38
                                        ; implicit-def: $vgpr38
	s_and_saveexec_b32 s9, s0
	s_delay_alu instid0(SALU_CYCLE_1)
	s_xor_b32 s0, exec_lo, s9
; %bb.938:                              ;   in Loop: Header=BB454_799 Depth=1
	v_bfe_u32 v38, v70, 16, 1
	s_delay_alu instid0(VALU_DEP_1)
	v_add3_u32 v38, v70, v38, 0x7fff
                                        ; implicit-def: $vgpr70
; %bb.939:                              ;   in Loop: Header=BB454_799 Depth=1
	s_and_not1_saveexec_b32 s9, s0
; %bb.940:                              ;   in Loop: Header=BB454_799 Depth=1
	v_and_b32_e32 v38, 0xffff, v70
	v_or_b32_e32 v71, 0x10000, v70
	s_delay_alu instid0(VALU_DEP_2) | instskip(NEXT) | instid1(VALU_DEP_1)
	v_cmp_eq_u32_e64 s0, 0, v38
	v_cndmask_b32_e64 v38, v71, v70, s0
; %bb.941:                              ;   in Loop: Header=BB454_799 Depth=1
	s_or_b32 exec_lo, exec_lo, s9
	v_and_b32_e32 v70, 0xffff0000, v39
	v_lshlrev_b32_e32 v9, 16, v9
	s_delay_alu instid0(VALU_DEP_1) | instskip(NEXT) | instid1(VALU_DEP_1)
	v_mul_f32_e32 v9, v70, v9
	v_and_b32_e32 v39, 0x7f800000, v9
	s_delay_alu instid0(VALU_DEP_1) | instskip(NEXT) | instid1(VALU_DEP_1)
	v_cmp_ne_u32_e64 s0, 0x7f800000, v39
                                        ; implicit-def: $vgpr39
	s_and_saveexec_b32 s9, s0
	s_delay_alu instid0(SALU_CYCLE_1)
	s_xor_b32 s0, exec_lo, s9
; %bb.942:                              ;   in Loop: Header=BB454_799 Depth=1
	v_bfe_u32 v39, v9, 16, 1
	s_delay_alu instid0(VALU_DEP_1)
	v_add3_u32 v39, v9, v39, 0x7fff
                                        ; implicit-def: $vgpr9
; %bb.943:                              ;   in Loop: Header=BB454_799 Depth=1
	s_and_not1_saveexec_b32 s9, s0
; %bb.944:                              ;   in Loop: Header=BB454_799 Depth=1
	v_and_b32_e32 v39, 0xffff, v9
	v_or_b32_e32 v71, 0x10000, v9
	s_delay_alu instid0(VALU_DEP_2) | instskip(NEXT) | instid1(VALU_DEP_1)
	v_cmp_eq_u32_e64 s0, 0, v39
	v_cndmask_b32_e64 v39, v71, v9, s0
; %bb.945:                              ;   in Loop: Header=BB454_799 Depth=1
	s_or_b32 exec_lo, exec_lo, s9
	v_and_b32_e32 v71, 0xffff0000, v48
	v_lshlrev_b32_e32 v7, 16, v7
                                        ; implicit-def: $vgpr48
	s_delay_alu instid0(VALU_DEP_1) | instskip(NEXT) | instid1(VALU_DEP_1)
	v_mul_f32_e32 v7, v71, v7
	v_and_b32_e32 v9, 0x7f800000, v7
	s_delay_alu instid0(VALU_DEP_1) | instskip(NEXT) | instid1(VALU_DEP_1)
	v_cmp_ne_u32_e64 s0, 0x7f800000, v9
	s_and_saveexec_b32 s9, s0
	s_delay_alu instid0(SALU_CYCLE_1)
	s_xor_b32 s0, exec_lo, s9
; %bb.946:                              ;   in Loop: Header=BB454_799 Depth=1
	v_bfe_u32 v9, v7, 16, 1
	s_delay_alu instid0(VALU_DEP_1)
	v_add3_u32 v48, v7, v9, 0x7fff
                                        ; implicit-def: $vgpr7
; %bb.947:                              ;   in Loop: Header=BB454_799 Depth=1
	s_and_not1_saveexec_b32 s9, s0
; %bb.948:                              ;   in Loop: Header=BB454_799 Depth=1
	v_and_b32_e32 v9, 0xffff, v7
	v_or_b32_e32 v48, 0x10000, v7
	s_delay_alu instid0(VALU_DEP_2) | instskip(NEXT) | instid1(VALU_DEP_1)
	v_cmp_eq_u32_e64 s0, 0, v9
	v_cndmask_b32_e64 v48, v48, v7, s0
; %bb.949:                              ;   in Loop: Header=BB454_799 Depth=1
	s_or_b32 exec_lo, exec_lo, s9
	v_and_b32_e32 v80, 0xffff0000, v49
	v_lshlrev_b32_e32 v6, 16, v6
                                        ; implicit-def: $vgpr49
	s_delay_alu instid0(VALU_DEP_1) | instskip(NEXT) | instid1(VALU_DEP_1)
	v_mul_f32_e32 v6, v80, v6
	v_and_b32_e32 v7, 0x7f800000, v6
	s_delay_alu instid0(VALU_DEP_1) | instskip(NEXT) | instid1(VALU_DEP_1)
	v_cmp_ne_u32_e64 s0, 0x7f800000, v7
	s_and_saveexec_b32 s9, s0
	s_delay_alu instid0(SALU_CYCLE_1)
	s_xor_b32 s0, exec_lo, s9
; %bb.950:                              ;   in Loop: Header=BB454_799 Depth=1
	v_bfe_u32 v7, v6, 16, 1
	s_delay_alu instid0(VALU_DEP_1)
	v_add3_u32 v49, v6, v7, 0x7fff
                                        ; implicit-def: $vgpr6
; %bb.951:                              ;   in Loop: Header=BB454_799 Depth=1
	s_and_not1_saveexec_b32 s9, s0
; %bb.952:                              ;   in Loop: Header=BB454_799 Depth=1
	v_and_b32_e32 v7, 0xffff, v6
	v_or_b32_e32 v9, 0x10000, v6
	s_delay_alu instid0(VALU_DEP_2) | instskip(NEXT) | instid1(VALU_DEP_1)
	v_cmp_eq_u32_e64 s0, 0, v7
	v_cndmask_b32_e64 v49, v9, v6, s0
; %bb.953:                              ;   in Loop: Header=BB454_799 Depth=1
	s_or_b32 exec_lo, exec_lo, s9
	v_and_b32_e32 v81, 0xffff0000, v50
	v_lshlrev_b32_e32 v3, 16, v3
                                        ; implicit-def: $vgpr50
	s_delay_alu instid0(VALU_DEP_1) | instskip(NEXT) | instid1(VALU_DEP_1)
	v_mul_f32_e32 v3, v81, v3
	v_and_b32_e32 v6, 0x7f800000, v3
	s_delay_alu instid0(VALU_DEP_1) | instskip(NEXT) | instid1(VALU_DEP_1)
	v_cmp_ne_u32_e64 s0, 0x7f800000, v6
	s_and_saveexec_b32 s9, s0
	s_delay_alu instid0(SALU_CYCLE_1)
	s_xor_b32 s0, exec_lo, s9
; %bb.954:                              ;   in Loop: Header=BB454_799 Depth=1
	v_bfe_u32 v6, v3, 16, 1
	s_delay_alu instid0(VALU_DEP_1)
	v_add3_u32 v50, v3, v6, 0x7fff
                                        ; implicit-def: $vgpr3
; %bb.955:                              ;   in Loop: Header=BB454_799 Depth=1
	s_and_not1_saveexec_b32 s9, s0
; %bb.956:                              ;   in Loop: Header=BB454_799 Depth=1
	v_and_b32_e32 v6, 0xffff, v3
	v_or_b32_e32 v7, 0x10000, v3
	s_delay_alu instid0(VALU_DEP_2) | instskip(NEXT) | instid1(VALU_DEP_1)
	v_cmp_eq_u32_e64 s0, 0, v6
	v_cndmask_b32_e64 v50, v7, v3, s0
; %bb.957:                              ;   in Loop: Header=BB454_799 Depth=1
	s_or_b32 exec_lo, exec_lo, s9
	v_and_b32_e32 v82, 0xffff0000, v51
	v_lshlrev_b32_e32 v2, 16, v2
                                        ; implicit-def: $vgpr51
	s_delay_alu instid0(VALU_DEP_1) | instskip(NEXT) | instid1(VALU_DEP_1)
	v_mul_f32_e32 v2, v82, v2
	v_and_b32_e32 v3, 0x7f800000, v2
	s_delay_alu instid0(VALU_DEP_1) | instskip(NEXT) | instid1(VALU_DEP_1)
	v_cmp_ne_u32_e64 s0, 0x7f800000, v3
	s_and_saveexec_b32 s9, s0
	s_delay_alu instid0(SALU_CYCLE_1)
	s_xor_b32 s0, exec_lo, s9
; %bb.958:                              ;   in Loop: Header=BB454_799 Depth=1
	v_bfe_u32 v3, v2, 16, 1
	s_delay_alu instid0(VALU_DEP_1)
	v_add3_u32 v51, v2, v3, 0x7fff
                                        ; implicit-def: $vgpr2
; %bb.959:                              ;   in Loop: Header=BB454_799 Depth=1
	s_and_not1_saveexec_b32 s9, s0
; %bb.960:                              ;   in Loop: Header=BB454_799 Depth=1
	v_and_b32_e32 v3, 0xffff, v2
	v_or_b32_e32 v6, 0x10000, v2
	s_delay_alu instid0(VALU_DEP_2) | instskip(NEXT) | instid1(VALU_DEP_1)
	v_cmp_eq_u32_e64 s0, 0, v3
	v_cndmask_b32_e64 v51, v6, v2, s0
; %bb.961:                              ;   in Loop: Header=BB454_799 Depth=1
	s_or_b32 exec_lo, exec_lo, s9
	flat_load_b64 v[2:3], v[0:1] offset:256
	s_mov_b32 s9, exec_lo
	s_waitcnt vmcnt(0) lgkmcnt(0)
	v_dual_mov_b32 v6, 0 :: v_dual_and_b32 v7, 0xff, v2
	s_delay_alu instid0(VALU_DEP_1)
	v_cmpx_ne_u16_e32 0, v7
	s_cbranch_execz .LBB454_969
; %bb.962:                              ;   in Loop: Header=BB454_799 Depth=1
	v_bfrev_b32_e32 v6, 1
	s_mov_b32 s12, exec_lo
	v_cmpx_ne_u16_e32 0x80, v7
	s_cbranch_execz .LBB454_968
; %bb.963:                              ;   in Loop: Header=BB454_799 Depth=1
	v_and_b32_e32 v7, 0x7f, v2
	v_mov_b32_e32 v6, 0x7f800001
	s_mov_b32 s13, exec_lo
	s_delay_alu instid0(VALU_DEP_2)
	v_cmpx_ne_u32_e32 0x7f, v7
	s_cbranch_execz .LBB454_967
; %bb.964:                              ;   in Loop: Header=BB454_799 Depth=1
	v_lshrrev_b32_e32 v9, 3, v7
	v_cmp_gt_u32_e64 s0, 8, v7
	v_dual_mov_b32 v7, v3 :: v_dual_mov_b32 v6, v2
	s_delay_alu instid0(VALU_DEP_2)
	s_and_saveexec_b32 s15, s0
; %bb.965:                              ;   in Loop: Header=BB454_799 Depth=1
	v_and_b32_e32 v6, 7, v2
	s_delay_alu instid0(VALU_DEP_1) | instskip(NEXT) | instid1(VALU_DEP_1)
	v_clz_i32_u32_e32 v6, v6
	v_min_u32_e32 v9, 32, v6
	s_delay_alu instid0(VALU_DEP_1) | instskip(SKIP_1) | instid1(VALU_DEP_2)
	v_subrev_nc_u32_e32 v6, 28, v9
	v_sub_nc_u32_e32 v9, 29, v9
	v_lshlrev_b64 v[6:7], v6, v[2:3]
; %bb.966:                              ;   in Loop: Header=BB454_799 Depth=1
	s_or_b32 exec_lo, exec_lo, s15
	s_delay_alu instid0(VALU_DEP_1) | instskip(SKIP_2) | instid1(VALU_DEP_3)
	v_lshlrev_b32_e32 v6, 20, v6
	v_lshlrev_b32_e32 v7, 24, v2
	v_lshl_add_u32 v9, v9, 23, 0x3c000000
	v_and_b32_e32 v6, 0x700000, v6
	s_delay_alu instid0(VALU_DEP_3) | instskip(NEXT) | instid1(VALU_DEP_1)
	v_and_b32_e32 v7, 0x80000000, v7
	v_or3_b32 v6, v6, v7, v9
.LBB454_967:                            ;   in Loop: Header=BB454_799 Depth=1
	s_or_b32 exec_lo, exec_lo, s13
.LBB454_968:                            ;   in Loop: Header=BB454_799 Depth=1
	s_delay_alu instid0(SALU_CYCLE_1)
	s_or_b32 exec_lo, exec_lo, s12
.LBB454_969:                            ;   in Loop: Header=BB454_799 Depth=1
	s_delay_alu instid0(SALU_CYCLE_1) | instskip(NEXT) | instid1(VALU_DEP_1)
	s_or_b32 exec_lo, exec_lo, s9
	v_mul_f32_e32 v6, v26, v6
                                        ; implicit-def: $vgpr83
	s_delay_alu instid0(VALU_DEP_1) | instskip(NEXT) | instid1(VALU_DEP_1)
	v_and_b32_e32 v7, 0x7f800000, v6
	v_cmp_ne_u32_e64 s0, 0x7f800000, v7
	s_delay_alu instid0(VALU_DEP_1) | instskip(NEXT) | instid1(SALU_CYCLE_1)
	s_and_saveexec_b32 s9, s0
	s_xor_b32 s0, exec_lo, s9
; %bb.970:                              ;   in Loop: Header=BB454_799 Depth=1
	v_bfe_u32 v7, v6, 16, 1
	s_delay_alu instid0(VALU_DEP_1)
	v_add3_u32 v83, v6, v7, 0x7fff
                                        ; implicit-def: $vgpr6
; %bb.971:                              ;   in Loop: Header=BB454_799 Depth=1
	s_and_not1_saveexec_b32 s9, s0
; %bb.972:                              ;   in Loop: Header=BB454_799 Depth=1
	v_and_b32_e32 v7, 0xffff, v6
	v_or_b32_e32 v9, 0x10000, v6
	s_delay_alu instid0(VALU_DEP_2) | instskip(NEXT) | instid1(VALU_DEP_1)
	v_cmp_eq_u32_e64 s0, 0, v7
	v_cndmask_b32_e64 v83, v9, v6, s0
; %bb.973:                              ;   in Loop: Header=BB454_799 Depth=1
	s_or_b32 exec_lo, exec_lo, s9
	v_lshrrev_b16 v7, 8, v2
	v_mov_b32_e32 v6, 0
	s_mov_b32 s9, exec_lo
	s_delay_alu instid0(VALU_DEP_2)
	v_cmpx_ne_u16_e32 0, v7
	s_cbranch_execz .LBB454_981
; %bb.974:                              ;   in Loop: Header=BB454_799 Depth=1
	v_bfrev_b32_e32 v6, 1
	s_mov_b32 s12, exec_lo
	v_cmpx_ne_u16_e32 0x80, v7
	s_cbranch_execz .LBB454_980
; %bb.975:                              ;   in Loop: Header=BB454_799 Depth=1
	v_and_b32_e32 v9, 0xffff, v7
	v_mov_b32_e32 v6, 0x7f800001
	s_mov_b32 s13, exec_lo
	s_delay_alu instid0(VALU_DEP_2) | instskip(NEXT) | instid1(VALU_DEP_1)
	v_and_b32_e32 v7, 0x7f, v9
	v_cmpx_ne_u32_e32 0x7f, v7
	s_cbranch_execz .LBB454_979
; %bb.976:                              ;   in Loop: Header=BB454_799 Depth=1
	v_and_b32_e32 v9, 7, v9
	v_lshrrev_b32_e32 v6, 3, v7
	s_mov_b32 s15, exec_lo
	v_cmpx_gt_u32_e32 8, v7
; %bb.977:                              ;   in Loop: Header=BB454_799 Depth=1
	s_delay_alu instid0(VALU_DEP_3) | instskip(NEXT) | instid1(VALU_DEP_1)
	v_clz_i32_u32_e32 v6, v9
	v_min_u32_e32 v6, 32, v6
	s_delay_alu instid0(VALU_DEP_1) | instskip(SKIP_1) | instid1(VALU_DEP_2)
	v_subrev_nc_u32_e32 v7, 28, v6
	v_sub_nc_u32_e32 v6, 29, v6
	v_lshlrev_b64 v[84:85], v7, v[9:10]
	s_delay_alu instid0(VALU_DEP_1)
	v_and_b32_e32 v9, 7, v84
; %bb.978:                              ;   in Loop: Header=BB454_799 Depth=1
	s_or_b32 exec_lo, exec_lo, s15
	v_lshlrev_b32_e32 v7, 16, v2
	s_delay_alu instid0(VALU_DEP_2) | instskip(SKIP_1) | instid1(VALU_DEP_3)
	v_lshlrev_b32_e32 v9, 20, v9
	v_lshl_add_u32 v6, v6, 23, 0x3c000000
	v_and_b32_e32 v7, 0x80000000, v7
	s_delay_alu instid0(VALU_DEP_1)
	v_or3_b32 v6, v9, v7, v6
.LBB454_979:                            ;   in Loop: Header=BB454_799 Depth=1
	s_or_b32 exec_lo, exec_lo, s13
.LBB454_980:                            ;   in Loop: Header=BB454_799 Depth=1
	s_delay_alu instid0(SALU_CYCLE_1)
	s_or_b32 exec_lo, exec_lo, s12
.LBB454_981:                            ;   in Loop: Header=BB454_799 Depth=1
	s_delay_alu instid0(SALU_CYCLE_1) | instskip(NEXT) | instid1(VALU_DEP_1)
	s_or_b32 exec_lo, exec_lo, s9
	v_mul_f32_e32 v6, v26, v6
                                        ; implicit-def: $vgpr84
	s_delay_alu instid0(VALU_DEP_1) | instskip(NEXT) | instid1(VALU_DEP_1)
	v_and_b32_e32 v7, 0x7f800000, v6
	v_cmp_ne_u32_e64 s0, 0x7f800000, v7
	s_delay_alu instid0(VALU_DEP_1) | instskip(NEXT) | instid1(SALU_CYCLE_1)
	s_and_saveexec_b32 s9, s0
	s_xor_b32 s0, exec_lo, s9
; %bb.982:                              ;   in Loop: Header=BB454_799 Depth=1
	v_bfe_u32 v7, v6, 16, 1
	s_delay_alu instid0(VALU_DEP_1)
	v_add3_u32 v84, v6, v7, 0x7fff
                                        ; implicit-def: $vgpr6
; %bb.983:                              ;   in Loop: Header=BB454_799 Depth=1
	s_and_not1_saveexec_b32 s9, s0
; %bb.984:                              ;   in Loop: Header=BB454_799 Depth=1
	v_and_b32_e32 v7, 0xffff, v6
	v_or_b32_e32 v9, 0x10000, v6
	s_delay_alu instid0(VALU_DEP_2) | instskip(NEXT) | instid1(VALU_DEP_1)
	v_cmp_eq_u32_e64 s0, 0, v7
	v_cndmask_b32_e64 v84, v9, v6, s0
; %bb.985:                              ;   in Loop: Header=BB454_799 Depth=1
	s_or_b32 exec_lo, exec_lo, s9
	v_lshrrev_b32_e32 v6, 16, v2
	v_mov_b32_e32 v7, 0
	s_mov_b32 s9, exec_lo
	s_delay_alu instid0(VALU_DEP_2) | instskip(NEXT) | instid1(VALU_DEP_1)
	v_and_b32_e32 v9, 0xff, v6
	v_cmpx_ne_u16_e32 0, v9
	s_cbranch_execz .LBB454_993
; %bb.986:                              ;   in Loop: Header=BB454_799 Depth=1
	v_bfrev_b32_e32 v7, 1
	s_mov_b32 s12, exec_lo
	v_cmpx_ne_u16_e32 0x80, v9
	s_cbranch_execz .LBB454_992
; %bb.987:                              ;   in Loop: Header=BB454_799 Depth=1
	v_bfe_u32 v85, v2, 16, 7
	v_mov_b32_e32 v7, 0x7f800001
	s_mov_b32 s13, exec_lo
	s_delay_alu instid0(VALU_DEP_2)
	v_cmpx_ne_u32_e32 0x7f, v85
	s_cbranch_execz .LBB454_991
; %bb.988:                              ;   in Loop: Header=BB454_799 Depth=1
	v_and_b32_e32 v9, 7, v6
	v_lshrrev_b32_e32 v7, 3, v85
	s_mov_b32 s15, exec_lo
	v_cmpx_gt_u32_e32 8, v85
; %bb.989:                              ;   in Loop: Header=BB454_799 Depth=1
	s_delay_alu instid0(VALU_DEP_3) | instskip(NEXT) | instid1(VALU_DEP_1)
	v_clz_i32_u32_e32 v7, v9
	v_min_u32_e32 v7, 32, v7
	s_delay_alu instid0(VALU_DEP_1) | instskip(SKIP_1) | instid1(VALU_DEP_2)
	v_subrev_nc_u32_e32 v85, 28, v7
	v_sub_nc_u32_e32 v7, 29, v7
	v_lshlrev_b64 v[85:86], v85, v[9:10]
	s_delay_alu instid0(VALU_DEP_1)
	v_and_b32_e32 v9, 7, v85
; %bb.990:                              ;   in Loop: Header=BB454_799 Depth=1
	s_or_b32 exec_lo, exec_lo, s15
	v_lshlrev_b32_e32 v6, 24, v6
	s_delay_alu instid0(VALU_DEP_2) | instskip(SKIP_1) | instid1(VALU_DEP_3)
	v_lshlrev_b32_e32 v9, 20, v9
	v_lshl_add_u32 v7, v7, 23, 0x3c000000
	v_and_b32_e32 v6, 0x80000000, v6
	s_delay_alu instid0(VALU_DEP_1)
	v_or3_b32 v7, v9, v6, v7
.LBB454_991:                            ;   in Loop: Header=BB454_799 Depth=1
	s_or_b32 exec_lo, exec_lo, s13
.LBB454_992:                            ;   in Loop: Header=BB454_799 Depth=1
	s_delay_alu instid0(SALU_CYCLE_1)
	s_or_b32 exec_lo, exec_lo, s12
.LBB454_993:                            ;   in Loop: Header=BB454_799 Depth=1
	s_delay_alu instid0(SALU_CYCLE_1) | instskip(NEXT) | instid1(VALU_DEP_1)
	s_or_b32 exec_lo, exec_lo, s9
	v_mul_f32_e32 v6, v26, v7
                                        ; implicit-def: $vgpr85
	s_delay_alu instid0(VALU_DEP_1) | instskip(NEXT) | instid1(VALU_DEP_1)
	v_and_b32_e32 v7, 0x7f800000, v6
	v_cmp_ne_u32_e64 s0, 0x7f800000, v7
	s_delay_alu instid0(VALU_DEP_1) | instskip(NEXT) | instid1(SALU_CYCLE_1)
	s_and_saveexec_b32 s9, s0
	s_xor_b32 s0, exec_lo, s9
; %bb.994:                              ;   in Loop: Header=BB454_799 Depth=1
	v_bfe_u32 v7, v6, 16, 1
	s_delay_alu instid0(VALU_DEP_1)
	v_add3_u32 v85, v6, v7, 0x7fff
                                        ; implicit-def: $vgpr6
; %bb.995:                              ;   in Loop: Header=BB454_799 Depth=1
	s_and_not1_saveexec_b32 s9, s0
; %bb.996:                              ;   in Loop: Header=BB454_799 Depth=1
	v_and_b32_e32 v7, 0xffff, v6
	v_or_b32_e32 v9, 0x10000, v6
	s_delay_alu instid0(VALU_DEP_2) | instskip(NEXT) | instid1(VALU_DEP_1)
	v_cmp_eq_u32_e64 s0, 0, v7
	v_cndmask_b32_e64 v85, v9, v6, s0
; %bb.997:                              ;   in Loop: Header=BB454_799 Depth=1
	s_or_b32 exec_lo, exec_lo, s9
	v_mov_b32_e32 v7, 0
	s_mov_b32 s9, exec_lo
	v_cmpx_lt_u32_e32 0xffffff, v2
	s_cbranch_execz .LBB454_1005
; %bb.998:                              ;   in Loop: Header=BB454_799 Depth=1
	v_lshrrev_b32_e32 v6, 24, v2
	v_bfrev_b32_e32 v7, 1
	s_mov_b32 s12, exec_lo
	s_delay_alu instid0(VALU_DEP_2)
	v_cmpx_ne_u32_e32 0x80, v6
	s_cbranch_execz .LBB454_1004
; %bb.999:                              ;   in Loop: Header=BB454_799 Depth=1
	v_bfe_u32 v86, v2, 24, 7
	v_mov_b32_e32 v7, 0x7f800001
	s_mov_b32 s13, exec_lo
	s_delay_alu instid0(VALU_DEP_2)
	v_cmpx_ne_u32_e32 0x7f, v86
	s_cbranch_execz .LBB454_1003
; %bb.1000:                             ;   in Loop: Header=BB454_799 Depth=1
	v_and_b32_e32 v9, 7, v6
	v_lshrrev_b32_e32 v7, 3, v86
	s_mov_b32 s15, exec_lo
	v_cmpx_gt_u32_e32 8, v86
; %bb.1001:                             ;   in Loop: Header=BB454_799 Depth=1
	s_delay_alu instid0(VALU_DEP_3) | instskip(NEXT) | instid1(VALU_DEP_1)
	v_clz_i32_u32_e32 v7, v9
	v_min_u32_e32 v7, 32, v7
	s_delay_alu instid0(VALU_DEP_1) | instskip(SKIP_1) | instid1(VALU_DEP_2)
	v_subrev_nc_u32_e32 v86, 28, v7
	v_sub_nc_u32_e32 v7, 29, v7
	v_lshlrev_b64 v[86:87], v86, v[9:10]
	s_delay_alu instid0(VALU_DEP_1)
	v_and_b32_e32 v9, 7, v86
; %bb.1002:                             ;   in Loop: Header=BB454_799 Depth=1
	s_or_b32 exec_lo, exec_lo, s15
	v_lshlrev_b32_e32 v6, 24, v6
	s_delay_alu instid0(VALU_DEP_2) | instskip(SKIP_1) | instid1(VALU_DEP_3)
	v_lshlrev_b32_e32 v9, 20, v9
	v_lshl_add_u32 v7, v7, 23, 0x3c000000
	v_and_b32_e32 v6, 0x80000000, v6
	s_delay_alu instid0(VALU_DEP_1)
	v_or3_b32 v7, v9, v6, v7
.LBB454_1003:                           ;   in Loop: Header=BB454_799 Depth=1
	s_or_b32 exec_lo, exec_lo, s13
.LBB454_1004:                           ;   in Loop: Header=BB454_799 Depth=1
	s_delay_alu instid0(SALU_CYCLE_1)
	s_or_b32 exec_lo, exec_lo, s12
.LBB454_1005:                           ;   in Loop: Header=BB454_799 Depth=1
	s_delay_alu instid0(SALU_CYCLE_1) | instskip(NEXT) | instid1(VALU_DEP_1)
	s_or_b32 exec_lo, exec_lo, s9
	v_mul_f32_e32 v6, v26, v7
                                        ; implicit-def: $vgpr86
	s_delay_alu instid0(VALU_DEP_1) | instskip(NEXT) | instid1(VALU_DEP_1)
	v_and_b32_e32 v7, 0x7f800000, v6
	v_cmp_ne_u32_e64 s0, 0x7f800000, v7
	s_delay_alu instid0(VALU_DEP_1) | instskip(NEXT) | instid1(SALU_CYCLE_1)
	s_and_saveexec_b32 s9, s0
	s_xor_b32 s0, exec_lo, s9
; %bb.1006:                             ;   in Loop: Header=BB454_799 Depth=1
	v_bfe_u32 v7, v6, 16, 1
	s_delay_alu instid0(VALU_DEP_1)
	v_add3_u32 v86, v6, v7, 0x7fff
                                        ; implicit-def: $vgpr6
; %bb.1007:                             ;   in Loop: Header=BB454_799 Depth=1
	s_and_not1_saveexec_b32 s9, s0
; %bb.1008:                             ;   in Loop: Header=BB454_799 Depth=1
	v_and_b32_e32 v7, 0xffff, v6
	v_or_b32_e32 v9, 0x10000, v6
	s_delay_alu instid0(VALU_DEP_2) | instskip(NEXT) | instid1(VALU_DEP_1)
	v_cmp_eq_u32_e64 s0, 0, v7
	v_cndmask_b32_e64 v86, v9, v6, s0
; %bb.1009:                             ;   in Loop: Header=BB454_799 Depth=1
	s_or_b32 exec_lo, exec_lo, s9
	v_dual_mov_b32 v6, 0 :: v_dual_and_b32 v7, 0xff, v3
	v_mov_b32_e32 v9, v3
	s_mov_b32 s9, exec_lo
	s_delay_alu instid0(VALU_DEP_2)
	v_cmpx_ne_u16_e32 0, v7
	s_cbranch_execz .LBB454_1017
; %bb.1010:                             ;   in Loop: Header=BB454_799 Depth=1
	v_bfrev_b32_e32 v6, 1
	s_mov_b32 s12, exec_lo
	v_cmpx_ne_u16_e32 0x80, v7
	s_cbranch_execz .LBB454_1016
; %bb.1011:                             ;   in Loop: Header=BB454_799 Depth=1
	v_and_b32_e32 v7, 0x7f, v3
	v_mov_b32_e32 v6, 0x7f800001
	s_mov_b32 s13, exec_lo
	s_delay_alu instid0(VALU_DEP_2)
	v_cmpx_ne_u32_e32 0x7f, v7
	s_cbranch_execz .LBB454_1015
; %bb.1012:                             ;   in Loop: Header=BB454_799 Depth=1
	v_lshrrev_b32_e32 v87, 3, v7
	v_cmp_gt_u32_e64 s0, 8, v7
	v_dual_mov_b32 v6, v9 :: v_dual_mov_b32 v7, v10
	s_delay_alu instid0(VALU_DEP_2)
	s_and_saveexec_b32 s15, s0
; %bb.1013:                             ;   in Loop: Header=BB454_799 Depth=1
	v_and_b32_e32 v6, 7, v3
	s_delay_alu instid0(VALU_DEP_1) | instskip(NEXT) | instid1(VALU_DEP_1)
	v_clz_i32_u32_e32 v6, v6
	v_min_u32_e32 v87, 32, v6
	s_delay_alu instid0(VALU_DEP_1) | instskip(SKIP_1) | instid1(VALU_DEP_2)
	v_subrev_nc_u32_e32 v6, 28, v87
	v_sub_nc_u32_e32 v87, 29, v87
	v_lshlrev_b64 v[6:7], v6, v[9:10]
; %bb.1014:                             ;   in Loop: Header=BB454_799 Depth=1
	s_or_b32 exec_lo, exec_lo, s15
	s_delay_alu instid0(VALU_DEP_1) | instskip(SKIP_2) | instid1(VALU_DEP_3)
	v_lshlrev_b32_e32 v6, 20, v6
	v_lshlrev_b32_e32 v7, 24, v9
	v_lshl_add_u32 v87, v87, 23, 0x3c000000
	v_and_b32_e32 v6, 0x700000, v6
	s_delay_alu instid0(VALU_DEP_3) | instskip(NEXT) | instid1(VALU_DEP_1)
	v_and_b32_e32 v7, 0x80000000, v7
	v_or3_b32 v6, v6, v7, v87
.LBB454_1015:                           ;   in Loop: Header=BB454_799 Depth=1
	s_or_b32 exec_lo, exec_lo, s13
.LBB454_1016:                           ;   in Loop: Header=BB454_799 Depth=1
	s_delay_alu instid0(SALU_CYCLE_1)
	s_or_b32 exec_lo, exec_lo, s12
.LBB454_1017:                           ;   in Loop: Header=BB454_799 Depth=1
	s_delay_alu instid0(SALU_CYCLE_1) | instskip(NEXT) | instid1(VALU_DEP_1)
	s_or_b32 exec_lo, exec_lo, s9
	v_mul_f32_e32 v6, v26, v6
                                        ; implicit-def: $vgpr87
	s_delay_alu instid0(VALU_DEP_1) | instskip(NEXT) | instid1(VALU_DEP_1)
	v_and_b32_e32 v7, 0x7f800000, v6
	v_cmp_ne_u32_e64 s0, 0x7f800000, v7
	s_delay_alu instid0(VALU_DEP_1) | instskip(NEXT) | instid1(SALU_CYCLE_1)
	s_and_saveexec_b32 s9, s0
	s_xor_b32 s0, exec_lo, s9
; %bb.1018:                             ;   in Loop: Header=BB454_799 Depth=1
	v_bfe_u32 v7, v6, 16, 1
	s_delay_alu instid0(VALU_DEP_1)
	v_add3_u32 v87, v6, v7, 0x7fff
                                        ; implicit-def: $vgpr6
; %bb.1019:                             ;   in Loop: Header=BB454_799 Depth=1
	s_and_not1_saveexec_b32 s9, s0
; %bb.1020:                             ;   in Loop: Header=BB454_799 Depth=1
	v_and_b32_e32 v7, 0xffff, v6
	v_or_b32_e32 v87, 0x10000, v6
	s_delay_alu instid0(VALU_DEP_2) | instskip(NEXT) | instid1(VALU_DEP_1)
	v_cmp_eq_u32_e64 s0, 0, v7
	v_cndmask_b32_e64 v87, v87, v6, s0
; %bb.1021:                             ;   in Loop: Header=BB454_799 Depth=1
	s_or_b32 exec_lo, exec_lo, s9
	v_lshrrev_b16 v7, 8, v9
	v_mov_b32_e32 v6, 0
	s_mov_b32 s9, exec_lo
	s_delay_alu instid0(VALU_DEP_2)
	v_cmpx_ne_u16_e32 0, v7
	s_cbranch_execz .LBB454_1029
; %bb.1022:                             ;   in Loop: Header=BB454_799 Depth=1
	v_bfrev_b32_e32 v6, 1
	s_mov_b32 s12, exec_lo
	v_cmpx_ne_u16_e32 0x80, v7
	s_cbranch_execz .LBB454_1028
; %bb.1023:                             ;   in Loop: Header=BB454_799 Depth=1
	v_and_b32_e32 v7, 0xffff, v7
	v_mov_b32_e32 v6, 0x7f800001
	s_mov_b32 s13, exec_lo
	s_delay_alu instid0(VALU_DEP_2) | instskip(NEXT) | instid1(VALU_DEP_1)
	v_and_b32_e32 v97, 0x7f, v7
	v_cmpx_ne_u32_e32 0x7f, v97
	s_cbranch_execz .LBB454_1027
; %bb.1024:                             ;   in Loop: Header=BB454_799 Depth=1
	v_dual_mov_b32 v7, v10 :: v_dual_and_b32 v6, 7, v7
	v_lshrrev_b32_e32 v96, 3, v97
	s_mov_b32 s15, exec_lo
	v_cmpx_gt_u32_e32 8, v97
; %bb.1025:                             ;   in Loop: Header=BB454_799 Depth=1
	s_delay_alu instid0(VALU_DEP_3) | instskip(NEXT) | instid1(VALU_DEP_1)
	v_clz_i32_u32_e32 v96, v6
	v_min_u32_e32 v96, 32, v96
	s_delay_alu instid0(VALU_DEP_1) | instskip(SKIP_1) | instid1(VALU_DEP_2)
	v_subrev_nc_u32_e32 v97, 28, v96
	v_sub_nc_u32_e32 v96, 29, v96
	v_lshlrev_b64 v[6:7], v97, v[6:7]
	s_delay_alu instid0(VALU_DEP_1)
	v_and_b32_e32 v6, 7, v6
; %bb.1026:                             ;   in Loop: Header=BB454_799 Depth=1
	s_or_b32 exec_lo, exec_lo, s15
	v_lshlrev_b32_e32 v7, 16, v9
	s_delay_alu instid0(VALU_DEP_2) | instskip(SKIP_1) | instid1(VALU_DEP_3)
	v_lshlrev_b32_e32 v6, 20, v6
	v_lshl_add_u32 v9, v96, 23, 0x3c000000
	v_and_b32_e32 v7, 0x80000000, v7
	s_delay_alu instid0(VALU_DEP_1)
	v_or3_b32 v6, v6, v7, v9
.LBB454_1027:                           ;   in Loop: Header=BB454_799 Depth=1
	s_or_b32 exec_lo, exec_lo, s13
.LBB454_1028:                           ;   in Loop: Header=BB454_799 Depth=1
	s_delay_alu instid0(SALU_CYCLE_1)
	s_or_b32 exec_lo, exec_lo, s12
.LBB454_1029:                           ;   in Loop: Header=BB454_799 Depth=1
	s_delay_alu instid0(SALU_CYCLE_1) | instskip(NEXT) | instid1(VALU_DEP_1)
	s_or_b32 exec_lo, exec_lo, s9
	v_mul_f32_e32 v7, v26, v6
	s_delay_alu instid0(VALU_DEP_1) | instskip(NEXT) | instid1(VALU_DEP_1)
	v_and_b32_e32 v6, 0x7f800000, v7
	v_cmp_ne_u32_e64 s0, 0x7f800000, v6
                                        ; implicit-def: $vgpr6
	s_delay_alu instid0(VALU_DEP_1) | instskip(NEXT) | instid1(SALU_CYCLE_1)
	s_and_saveexec_b32 s9, s0
	s_xor_b32 s0, exec_lo, s9
; %bb.1030:                             ;   in Loop: Header=BB454_799 Depth=1
	v_bfe_u32 v6, v7, 16, 1
	s_delay_alu instid0(VALU_DEP_1)
	v_add3_u32 v6, v7, v6, 0x7fff
                                        ; implicit-def: $vgpr7
; %bb.1031:                             ;   in Loop: Header=BB454_799 Depth=1
	s_and_not1_saveexec_b32 s9, s0
; %bb.1032:                             ;   in Loop: Header=BB454_799 Depth=1
	v_and_b32_e32 v6, 0xffff, v7
	v_or_b32_e32 v9, 0x10000, v7
	s_delay_alu instid0(VALU_DEP_2) | instskip(NEXT) | instid1(VALU_DEP_1)
	v_cmp_eq_u32_e64 s0, 0, v6
	v_cndmask_b32_e64 v6, v9, v7, s0
; %bb.1033:                             ;   in Loop: Header=BB454_799 Depth=1
	s_or_b32 exec_lo, exec_lo, s9
	v_lshrrev_b32_e32 v7, 16, v3
	s_mov_b32 s9, exec_lo
	s_delay_alu instid0(VALU_DEP_1) | instskip(NEXT) | instid1(VALU_DEP_1)
	v_dual_mov_b32 v9, 0 :: v_dual_and_b32 v96, 0xff, v7
	v_cmpx_ne_u16_e32 0, v96
	s_cbranch_execz .LBB454_1041
; %bb.1034:                             ;   in Loop: Header=BB454_799 Depth=1
	v_bfrev_b32_e32 v9, 1
	s_mov_b32 s12, exec_lo
	v_cmpx_ne_u16_e32 0x80, v96
	s_cbranch_execz .LBB454_1040
; %bb.1035:                             ;   in Loop: Header=BB454_799 Depth=1
	v_bfe_u32 v97, v3, 16, 7
	v_mov_b32_e32 v9, 0x7f800001
	s_mov_b32 s13, exec_lo
	s_delay_alu instid0(VALU_DEP_2)
	v_cmpx_ne_u32_e32 0x7f, v97
	s_cbranch_execz .LBB454_1039
; %bb.1036:                             ;   in Loop: Header=BB454_799 Depth=1
	v_and_b32_e32 v9, 7, v7
	v_lshrrev_b32_e32 v96, 3, v97
	s_mov_b32 s15, exec_lo
	v_cmpx_gt_u32_e32 8, v97
; %bb.1037:                             ;   in Loop: Header=BB454_799 Depth=1
	s_delay_alu instid0(VALU_DEP_3) | instskip(NEXT) | instid1(VALU_DEP_1)
	v_clz_i32_u32_e32 v96, v9
	v_min_u32_e32 v96, 32, v96
	s_delay_alu instid0(VALU_DEP_1) | instskip(SKIP_1) | instid1(VALU_DEP_2)
	v_subrev_nc_u32_e32 v97, 28, v96
	v_sub_nc_u32_e32 v96, 29, v96
	v_lshlrev_b64 v[97:98], v97, v[9:10]
	s_delay_alu instid0(VALU_DEP_1)
	v_and_b32_e32 v9, 7, v97
; %bb.1038:                             ;   in Loop: Header=BB454_799 Depth=1
	s_or_b32 exec_lo, exec_lo, s15
	v_lshlrev_b32_e32 v7, 24, v7
	s_delay_alu instid0(VALU_DEP_2) | instskip(SKIP_1) | instid1(VALU_DEP_3)
	v_lshlrev_b32_e32 v9, 20, v9
	v_lshl_add_u32 v96, v96, 23, 0x3c000000
	v_and_b32_e32 v7, 0x80000000, v7
	s_delay_alu instid0(VALU_DEP_1)
	v_or3_b32 v9, v9, v7, v96
.LBB454_1039:                           ;   in Loop: Header=BB454_799 Depth=1
	s_or_b32 exec_lo, exec_lo, s13
.LBB454_1040:                           ;   in Loop: Header=BB454_799 Depth=1
	s_delay_alu instid0(SALU_CYCLE_1)
	s_or_b32 exec_lo, exec_lo, s12
.LBB454_1041:                           ;   in Loop: Header=BB454_799 Depth=1
	s_delay_alu instid0(SALU_CYCLE_1) | instskip(NEXT) | instid1(VALU_DEP_1)
	s_or_b32 exec_lo, exec_lo, s9
	v_mul_f32_e32 v7, v26, v9
                                        ; implicit-def: $vgpr96
	s_delay_alu instid0(VALU_DEP_1) | instskip(NEXT) | instid1(VALU_DEP_1)
	v_and_b32_e32 v9, 0x7f800000, v7
	v_cmp_ne_u32_e64 s0, 0x7f800000, v9
	s_delay_alu instid0(VALU_DEP_1) | instskip(NEXT) | instid1(SALU_CYCLE_1)
	s_and_saveexec_b32 s9, s0
	s_xor_b32 s0, exec_lo, s9
; %bb.1042:                             ;   in Loop: Header=BB454_799 Depth=1
	v_bfe_u32 v9, v7, 16, 1
	s_delay_alu instid0(VALU_DEP_1)
	v_add3_u32 v96, v7, v9, 0x7fff
                                        ; implicit-def: $vgpr7
; %bb.1043:                             ;   in Loop: Header=BB454_799 Depth=1
	s_and_not1_saveexec_b32 s9, s0
; %bb.1044:                             ;   in Loop: Header=BB454_799 Depth=1
	v_and_b32_e32 v9, 0xffff, v7
	v_or_b32_e32 v96, 0x10000, v7
	s_delay_alu instid0(VALU_DEP_2) | instskip(NEXT) | instid1(VALU_DEP_1)
	v_cmp_eq_u32_e64 s0, 0, v9
	v_cndmask_b32_e64 v96, v96, v7, s0
; %bb.1045:                             ;   in Loop: Header=BB454_799 Depth=1
	s_or_b32 exec_lo, exec_lo, s9
	v_mov_b32_e32 v7, 0
	s_mov_b32 s9, exec_lo
	v_cmpx_lt_u64_e64 s[2:3], v[2:3]
	s_cbranch_execz .LBB454_1053
; %bb.1046:                             ;   in Loop: Header=BB454_799 Depth=1
	v_lshrrev_b32_e32 v2, 24, v3
	v_bfrev_b32_e32 v7, 1
	s_mov_b32 s12, exec_lo
	s_delay_alu instid0(VALU_DEP_2)
	v_cmpx_ne_u32_e32 0x80, v2
	s_cbranch_execz .LBB454_1052
; %bb.1047:                             ;   in Loop: Header=BB454_799 Depth=1
	v_bfe_u32 v97, v3, 24, 7
	v_mov_b32_e32 v7, 0x7f800001
	s_mov_b32 s13, exec_lo
	s_delay_alu instid0(VALU_DEP_2)
	v_cmpx_ne_u32_e32 0x7f, v97
	s_cbranch_execz .LBB454_1051
; %bb.1048:                             ;   in Loop: Header=BB454_799 Depth=1
	v_and_b32_e32 v9, 7, v2
	v_lshrrev_b32_e32 v3, 3, v97
	s_mov_b32 s15, exec_lo
	v_cmpx_gt_u32_e32 8, v97
; %bb.1049:                             ;   in Loop: Header=BB454_799 Depth=1
	s_delay_alu instid0(VALU_DEP_3) | instskip(NEXT) | instid1(VALU_DEP_1)
	v_clz_i32_u32_e32 v3, v9
	v_min_u32_e32 v3, 32, v3
	s_delay_alu instid0(VALU_DEP_1) | instskip(SKIP_1) | instid1(VALU_DEP_2)
	v_subrev_nc_u32_e32 v7, 28, v3
	v_sub_nc_u32_e32 v3, 29, v3
	v_lshlrev_b64 v[97:98], v7, v[9:10]
	s_delay_alu instid0(VALU_DEP_1)
	v_and_b32_e32 v9, 7, v97
; %bb.1050:                             ;   in Loop: Header=BB454_799 Depth=1
	s_or_b32 exec_lo, exec_lo, s15
	v_lshlrev_b32_e32 v2, 24, v2
	s_delay_alu instid0(VALU_DEP_2) | instskip(SKIP_1) | instid1(VALU_DEP_3)
	v_lshlrev_b32_e32 v7, 20, v9
	v_lshl_add_u32 v3, v3, 23, 0x3c000000
	v_and_b32_e32 v2, 0x80000000, v2
	s_delay_alu instid0(VALU_DEP_1)
	v_or3_b32 v7, v7, v2, v3
.LBB454_1051:                           ;   in Loop: Header=BB454_799 Depth=1
	s_or_b32 exec_lo, exec_lo, s13
.LBB454_1052:                           ;   in Loop: Header=BB454_799 Depth=1
	s_delay_alu instid0(SALU_CYCLE_1)
	s_or_b32 exec_lo, exec_lo, s12
.LBB454_1053:                           ;   in Loop: Header=BB454_799 Depth=1
	s_delay_alu instid0(SALU_CYCLE_1) | instskip(NEXT) | instid1(VALU_DEP_1)
	s_or_b32 exec_lo, exec_lo, s9
	v_mul_f32_e32 v3, v26, v7
	s_delay_alu instid0(VALU_DEP_1) | instskip(NEXT) | instid1(VALU_DEP_1)
	v_and_b32_e32 v2, 0x7f800000, v3
	v_cmp_ne_u32_e64 s0, 0x7f800000, v2
                                        ; implicit-def: $vgpr2
	s_delay_alu instid0(VALU_DEP_1) | instskip(NEXT) | instid1(SALU_CYCLE_1)
	s_and_saveexec_b32 s9, s0
	s_xor_b32 s0, exec_lo, s9
; %bb.1054:                             ;   in Loop: Header=BB454_799 Depth=1
	v_bfe_u32 v2, v3, 16, 1
	s_delay_alu instid0(VALU_DEP_1)
	v_add3_u32 v2, v3, v2, 0x7fff
                                        ; implicit-def: $vgpr3
; %bb.1055:                             ;   in Loop: Header=BB454_799 Depth=1
	s_and_not1_saveexec_b32 s9, s0
; %bb.1056:                             ;   in Loop: Header=BB454_799 Depth=1
	v_and_b32_e32 v2, 0xffff, v3
	v_or_b32_e32 v7, 0x10000, v3
	s_delay_alu instid0(VALU_DEP_2) | instskip(NEXT) | instid1(VALU_DEP_1)
	v_cmp_eq_u32_e64 s0, 0, v2
	v_cndmask_b32_e64 v2, v7, v3, s0
; %bb.1057:                             ;   in Loop: Header=BB454_799 Depth=1
	s_or_b32 exec_lo, exec_lo, s9
	v_lshrrev_b32_e32 v6, 16, v6
	v_lshrrev_b32_e32 v7, 16, v87
	;; [unrolled: 1-line block ×8, first 2 shown]
	s_and_saveexec_b32 s9, vcc_lo
	s_cbranch_execz .LBB454_1059
; %bb.1058:                             ;   in Loop: Header=BB454_799 Depth=1
	v_cmp_lt_i32_e64 s0, v52, v35
	s_delay_alu instid0(VALU_DEP_1) | instskip(SKIP_1) | instid1(VALU_DEP_1)
	v_cndmask_b32_e64 v83, 0, v83, s0
	v_cmp_lt_i32_e64 s0, v66, v35
	v_cndmask_b32_e64 v84, 0, v84, s0
	v_cmp_lt_i32_e64 s0, v65, v35
	s_delay_alu instid0(VALU_DEP_1) | instskip(SKIP_1) | instid1(VALU_DEP_1)
	v_cndmask_b32_e64 v85, 0, v85, s0
	v_cmp_lt_i32_e64 s0, v64, v35
	v_cndmask_b32_e64 v9, 0, v9, s0
	;; [unrolled: 5-line block ×4, first 2 shown]
.LBB454_1059:                           ;   in Loop: Header=BB454_799 Depth=1
	s_or_b32 exec_lo, exec_lo, s9
	v_lshlrev_b32_e32 v83, 16, v83
	s_delay_alu instid0(VALU_DEP_1) | instskip(NEXT) | instid1(VALU_DEP_1)
	v_mul_f32_e32 v86, v67, v83
	v_and_b32_e32 v83, 0x7f800000, v86
	s_delay_alu instid0(VALU_DEP_1) | instskip(NEXT) | instid1(VALU_DEP_1)
	v_cmp_ne_u32_e64 s0, 0x7f800000, v83
                                        ; implicit-def: $vgpr83
	s_and_saveexec_b32 s9, s0
	s_delay_alu instid0(SALU_CYCLE_1)
	s_xor_b32 s0, exec_lo, s9
; %bb.1060:                             ;   in Loop: Header=BB454_799 Depth=1
	v_bfe_u32 v83, v86, 16, 1
	s_delay_alu instid0(VALU_DEP_1)
	v_add3_u32 v83, v86, v83, 0x7fff
                                        ; implicit-def: $vgpr86
; %bb.1061:                             ;   in Loop: Header=BB454_799 Depth=1
	s_and_not1_saveexec_b32 s9, s0
; %bb.1062:                             ;   in Loop: Header=BB454_799 Depth=1
	v_and_b32_e32 v83, 0xffff, v86
	v_or_b32_e32 v87, 0x10000, v86
	s_delay_alu instid0(VALU_DEP_2) | instskip(NEXT) | instid1(VALU_DEP_1)
	v_cmp_eq_u32_e64 s0, 0, v83
	v_cndmask_b32_e64 v83, v87, v86, s0
; %bb.1063:                             ;   in Loop: Header=BB454_799 Depth=1
	s_or_b32 exec_lo, exec_lo, s9
	v_lshlrev_b32_e32 v84, 16, v84
	s_delay_alu instid0(VALU_DEP_1) | instskip(NEXT) | instid1(VALU_DEP_1)
	v_mul_f32_e32 v86, v68, v84
	v_and_b32_e32 v84, 0x7f800000, v86
	s_delay_alu instid0(VALU_DEP_1) | instskip(NEXT) | instid1(VALU_DEP_1)
	v_cmp_ne_u32_e64 s0, 0x7f800000, v84
                                        ; implicit-def: $vgpr84
	s_and_saveexec_b32 s9, s0
	s_delay_alu instid0(SALU_CYCLE_1)
	s_xor_b32 s0, exec_lo, s9
; %bb.1064:                             ;   in Loop: Header=BB454_799 Depth=1
	v_bfe_u32 v84, v86, 16, 1
	s_delay_alu instid0(VALU_DEP_1)
	v_add3_u32 v84, v86, v84, 0x7fff
                                        ; implicit-def: $vgpr86
; %bb.1065:                             ;   in Loop: Header=BB454_799 Depth=1
	s_and_not1_saveexec_b32 s9, s0
; %bb.1066:                             ;   in Loop: Header=BB454_799 Depth=1
	v_and_b32_e32 v84, 0xffff, v86
	v_or_b32_e32 v87, 0x10000, v86
	s_delay_alu instid0(VALU_DEP_2) | instskip(NEXT) | instid1(VALU_DEP_1)
	v_cmp_eq_u32_e64 s0, 0, v84
	v_cndmask_b32_e64 v84, v87, v86, s0
; %bb.1067:                             ;   in Loop: Header=BB454_799 Depth=1
	s_or_b32 exec_lo, exec_lo, s9
	v_lshlrev_b32_e32 v85, 16, v85
	s_delay_alu instid0(VALU_DEP_1) | instskip(NEXT) | instid1(VALU_DEP_1)
	v_mul_f32_e32 v86, v69, v85
	v_and_b32_e32 v85, 0x7f800000, v86
	s_delay_alu instid0(VALU_DEP_1) | instskip(NEXT) | instid1(VALU_DEP_1)
	v_cmp_ne_u32_e64 s0, 0x7f800000, v85
                                        ; implicit-def: $vgpr85
	s_and_saveexec_b32 s9, s0
	s_delay_alu instid0(SALU_CYCLE_1)
	s_xor_b32 s0, exec_lo, s9
; %bb.1068:                             ;   in Loop: Header=BB454_799 Depth=1
	v_bfe_u32 v85, v86, 16, 1
	s_delay_alu instid0(VALU_DEP_1)
	v_add3_u32 v85, v86, v85, 0x7fff
                                        ; implicit-def: $vgpr86
; %bb.1069:                             ;   in Loop: Header=BB454_799 Depth=1
	s_and_not1_saveexec_b32 s9, s0
; %bb.1070:                             ;   in Loop: Header=BB454_799 Depth=1
	v_and_b32_e32 v85, 0xffff, v86
	v_or_b32_e32 v87, 0x10000, v86
	s_delay_alu instid0(VALU_DEP_2) | instskip(NEXT) | instid1(VALU_DEP_1)
	v_cmp_eq_u32_e64 s0, 0, v85
	v_cndmask_b32_e64 v85, v87, v86, s0
; %bb.1071:                             ;   in Loop: Header=BB454_799 Depth=1
	s_or_b32 exec_lo, exec_lo, s9
	v_lshlrev_b32_e32 v9, 16, v9
	s_delay_alu instid0(VALU_DEP_1) | instskip(NEXT) | instid1(VALU_DEP_1)
	v_mul_f32_e32 v9, v70, v9
	v_and_b32_e32 v86, 0x7f800000, v9
	s_delay_alu instid0(VALU_DEP_1) | instskip(NEXT) | instid1(VALU_DEP_1)
	v_cmp_ne_u32_e64 s0, 0x7f800000, v86
                                        ; implicit-def: $vgpr86
	s_and_saveexec_b32 s9, s0
	s_delay_alu instid0(SALU_CYCLE_1)
	s_xor_b32 s0, exec_lo, s9
; %bb.1072:                             ;   in Loop: Header=BB454_799 Depth=1
	v_bfe_u32 v86, v9, 16, 1
	s_delay_alu instid0(VALU_DEP_1)
	v_add3_u32 v86, v9, v86, 0x7fff
                                        ; implicit-def: $vgpr9
; %bb.1073:                             ;   in Loop: Header=BB454_799 Depth=1
	s_and_not1_saveexec_b32 s9, s0
; %bb.1074:                             ;   in Loop: Header=BB454_799 Depth=1
	v_and_b32_e32 v86, 0xffff, v9
	v_or_b32_e32 v87, 0x10000, v9
	s_delay_alu instid0(VALU_DEP_2) | instskip(NEXT) | instid1(VALU_DEP_1)
	v_cmp_eq_u32_e64 s0, 0, v86
	v_cndmask_b32_e64 v86, v87, v9, s0
; %bb.1075:                             ;   in Loop: Header=BB454_799 Depth=1
	s_or_b32 exec_lo, exec_lo, s9
	v_lshlrev_b32_e32 v7, 16, v7
                                        ; implicit-def: $vgpr87
	s_delay_alu instid0(VALU_DEP_1) | instskip(NEXT) | instid1(VALU_DEP_1)
	v_mul_f32_e32 v7, v71, v7
	v_and_b32_e32 v9, 0x7f800000, v7
	s_delay_alu instid0(VALU_DEP_1) | instskip(NEXT) | instid1(VALU_DEP_1)
	v_cmp_ne_u32_e64 s0, 0x7f800000, v9
	s_and_saveexec_b32 s9, s0
	s_delay_alu instid0(SALU_CYCLE_1)
	s_xor_b32 s0, exec_lo, s9
; %bb.1076:                             ;   in Loop: Header=BB454_799 Depth=1
	v_bfe_u32 v9, v7, 16, 1
	s_delay_alu instid0(VALU_DEP_1)
	v_add3_u32 v87, v7, v9, 0x7fff
                                        ; implicit-def: $vgpr7
; %bb.1077:                             ;   in Loop: Header=BB454_799 Depth=1
	s_and_not1_saveexec_b32 s9, s0
; %bb.1078:                             ;   in Loop: Header=BB454_799 Depth=1
	v_and_b32_e32 v9, 0xffff, v7
	v_or_b32_e32 v87, 0x10000, v7
	s_delay_alu instid0(VALU_DEP_2) | instskip(NEXT) | instid1(VALU_DEP_1)
	v_cmp_eq_u32_e64 s0, 0, v9
	v_cndmask_b32_e64 v87, v87, v7, s0
; %bb.1079:                             ;   in Loop: Header=BB454_799 Depth=1
	s_or_b32 exec_lo, exec_lo, s9
	v_lshlrev_b32_e32 v6, 16, v6
                                        ; implicit-def: $vgpr96
	s_delay_alu instid0(VALU_DEP_1) | instskip(NEXT) | instid1(VALU_DEP_1)
	v_mul_f32_e32 v6, v80, v6
	v_and_b32_e32 v7, 0x7f800000, v6
	s_delay_alu instid0(VALU_DEP_1) | instskip(NEXT) | instid1(VALU_DEP_1)
	v_cmp_ne_u32_e64 s0, 0x7f800000, v7
	s_and_saveexec_b32 s9, s0
	s_delay_alu instid0(SALU_CYCLE_1)
	s_xor_b32 s0, exec_lo, s9
; %bb.1080:                             ;   in Loop: Header=BB454_799 Depth=1
	v_bfe_u32 v7, v6, 16, 1
	s_delay_alu instid0(VALU_DEP_1)
	v_add3_u32 v96, v6, v7, 0x7fff
                                        ; implicit-def: $vgpr6
; %bb.1081:                             ;   in Loop: Header=BB454_799 Depth=1
	s_and_not1_saveexec_b32 s9, s0
; %bb.1082:                             ;   in Loop: Header=BB454_799 Depth=1
	v_and_b32_e32 v7, 0xffff, v6
	v_or_b32_e32 v9, 0x10000, v6
	s_delay_alu instid0(VALU_DEP_2) | instskip(NEXT) | instid1(VALU_DEP_1)
	v_cmp_eq_u32_e64 s0, 0, v7
	v_cndmask_b32_e64 v96, v9, v6, s0
; %bb.1083:                             ;   in Loop: Header=BB454_799 Depth=1
	s_or_b32 exec_lo, exec_lo, s9
	v_lshlrev_b32_e32 v3, 16, v3
                                        ; implicit-def: $vgpr97
	s_delay_alu instid0(VALU_DEP_1) | instskip(NEXT) | instid1(VALU_DEP_1)
	v_mul_f32_e32 v3, v81, v3
	v_and_b32_e32 v6, 0x7f800000, v3
	s_delay_alu instid0(VALU_DEP_1) | instskip(NEXT) | instid1(VALU_DEP_1)
	v_cmp_ne_u32_e64 s0, 0x7f800000, v6
	s_and_saveexec_b32 s9, s0
	s_delay_alu instid0(SALU_CYCLE_1)
	s_xor_b32 s0, exec_lo, s9
; %bb.1084:                             ;   in Loop: Header=BB454_799 Depth=1
	v_bfe_u32 v6, v3, 16, 1
	s_delay_alu instid0(VALU_DEP_1)
	v_add3_u32 v97, v3, v6, 0x7fff
                                        ; implicit-def: $vgpr3
; %bb.1085:                             ;   in Loop: Header=BB454_799 Depth=1
	s_and_not1_saveexec_b32 s9, s0
; %bb.1086:                             ;   in Loop: Header=BB454_799 Depth=1
	v_and_b32_e32 v6, 0xffff, v3
	v_or_b32_e32 v7, 0x10000, v3
	s_delay_alu instid0(VALU_DEP_2) | instskip(NEXT) | instid1(VALU_DEP_1)
	v_cmp_eq_u32_e64 s0, 0, v6
	v_cndmask_b32_e64 v97, v7, v3, s0
; %bb.1087:                             ;   in Loop: Header=BB454_799 Depth=1
	s_or_b32 exec_lo, exec_lo, s9
	v_lshlrev_b32_e32 v2, 16, v2
                                        ; implicit-def: $vgpr98
	s_delay_alu instid0(VALU_DEP_1) | instskip(NEXT) | instid1(VALU_DEP_1)
	v_mul_f32_e32 v2, v82, v2
	v_and_b32_e32 v3, 0x7f800000, v2
	s_delay_alu instid0(VALU_DEP_1) | instskip(NEXT) | instid1(VALU_DEP_1)
	v_cmp_ne_u32_e64 s0, 0x7f800000, v3
	s_and_saveexec_b32 s9, s0
	s_delay_alu instid0(SALU_CYCLE_1)
	s_xor_b32 s0, exec_lo, s9
; %bb.1088:                             ;   in Loop: Header=BB454_799 Depth=1
	v_bfe_u32 v3, v2, 16, 1
	s_delay_alu instid0(VALU_DEP_1)
	v_add3_u32 v98, v2, v3, 0x7fff
                                        ; implicit-def: $vgpr2
; %bb.1089:                             ;   in Loop: Header=BB454_799 Depth=1
	s_and_not1_saveexec_b32 s9, s0
; %bb.1090:                             ;   in Loop: Header=BB454_799 Depth=1
	v_and_b32_e32 v3, 0xffff, v2
	v_or_b32_e32 v6, 0x10000, v2
	s_delay_alu instid0(VALU_DEP_2) | instskip(NEXT) | instid1(VALU_DEP_1)
	v_cmp_eq_u32_e64 s0, 0, v3
	v_cndmask_b32_e64 v98, v6, v2, s0
; %bb.1091:                             ;   in Loop: Header=BB454_799 Depth=1
	s_or_b32 exec_lo, exec_lo, s9
	flat_load_b64 v[2:3], v[0:1] offset:512
	s_mov_b32 s9, exec_lo
	s_waitcnt vmcnt(0) lgkmcnt(0)
	v_dual_mov_b32 v6, 0 :: v_dual_and_b32 v7, 0xff, v2
	s_delay_alu instid0(VALU_DEP_1)
	v_cmpx_ne_u16_e32 0, v7
	s_cbranch_execz .LBB454_1099
; %bb.1092:                             ;   in Loop: Header=BB454_799 Depth=1
	v_bfrev_b32_e32 v6, 1
	s_mov_b32 s12, exec_lo
	v_cmpx_ne_u16_e32 0x80, v7
	s_cbranch_execz .LBB454_1098
; %bb.1093:                             ;   in Loop: Header=BB454_799 Depth=1
	v_and_b32_e32 v7, 0x7f, v2
	v_mov_b32_e32 v6, 0x7f800001
	s_mov_b32 s13, exec_lo
	s_delay_alu instid0(VALU_DEP_2)
	v_cmpx_ne_u32_e32 0x7f, v7
	s_cbranch_execz .LBB454_1097
; %bb.1094:                             ;   in Loop: Header=BB454_799 Depth=1
	v_lshrrev_b32_e32 v9, 3, v7
	v_cmp_gt_u32_e64 s0, 8, v7
	v_dual_mov_b32 v7, v3 :: v_dual_mov_b32 v6, v2
	s_delay_alu instid0(VALU_DEP_2)
	s_and_saveexec_b32 s15, s0
; %bb.1095:                             ;   in Loop: Header=BB454_799 Depth=1
	v_and_b32_e32 v6, 7, v2
	s_delay_alu instid0(VALU_DEP_1) | instskip(NEXT) | instid1(VALU_DEP_1)
	v_clz_i32_u32_e32 v6, v6
	v_min_u32_e32 v9, 32, v6
	s_delay_alu instid0(VALU_DEP_1) | instskip(SKIP_1) | instid1(VALU_DEP_2)
	v_subrev_nc_u32_e32 v6, 28, v9
	v_sub_nc_u32_e32 v9, 29, v9
	v_lshlrev_b64 v[6:7], v6, v[2:3]
; %bb.1096:                             ;   in Loop: Header=BB454_799 Depth=1
	s_or_b32 exec_lo, exec_lo, s15
	s_delay_alu instid0(VALU_DEP_1) | instskip(SKIP_2) | instid1(VALU_DEP_3)
	v_lshlrev_b32_e32 v6, 20, v6
	v_lshlrev_b32_e32 v7, 24, v2
	v_lshl_add_u32 v9, v9, 23, 0x3c000000
	v_and_b32_e32 v6, 0x700000, v6
	s_delay_alu instid0(VALU_DEP_3) | instskip(NEXT) | instid1(VALU_DEP_1)
	v_and_b32_e32 v7, 0x80000000, v7
	v_or3_b32 v6, v6, v7, v9
.LBB454_1097:                           ;   in Loop: Header=BB454_799 Depth=1
	s_or_b32 exec_lo, exec_lo, s13
.LBB454_1098:                           ;   in Loop: Header=BB454_799 Depth=1
	s_delay_alu instid0(SALU_CYCLE_1)
	s_or_b32 exec_lo, exec_lo, s12
.LBB454_1099:                           ;   in Loop: Header=BB454_799 Depth=1
	s_delay_alu instid0(SALU_CYCLE_1) | instskip(NEXT) | instid1(VALU_DEP_1)
	s_or_b32 exec_lo, exec_lo, s9
	v_mul_f32_e32 v6, v26, v6
                                        ; implicit-def: $vgpr99
	s_delay_alu instid0(VALU_DEP_1) | instskip(NEXT) | instid1(VALU_DEP_1)
	v_and_b32_e32 v7, 0x7f800000, v6
	v_cmp_ne_u32_e64 s0, 0x7f800000, v7
	s_delay_alu instid0(VALU_DEP_1) | instskip(NEXT) | instid1(SALU_CYCLE_1)
	s_and_saveexec_b32 s9, s0
	s_xor_b32 s0, exec_lo, s9
; %bb.1100:                             ;   in Loop: Header=BB454_799 Depth=1
	v_bfe_u32 v7, v6, 16, 1
	s_delay_alu instid0(VALU_DEP_1)
	v_add3_u32 v99, v6, v7, 0x7fff
                                        ; implicit-def: $vgpr6
; %bb.1101:                             ;   in Loop: Header=BB454_799 Depth=1
	s_and_not1_saveexec_b32 s9, s0
; %bb.1102:                             ;   in Loop: Header=BB454_799 Depth=1
	v_and_b32_e32 v7, 0xffff, v6
	v_or_b32_e32 v9, 0x10000, v6
	s_delay_alu instid0(VALU_DEP_2) | instskip(NEXT) | instid1(VALU_DEP_1)
	v_cmp_eq_u32_e64 s0, 0, v7
	v_cndmask_b32_e64 v99, v9, v6, s0
; %bb.1103:                             ;   in Loop: Header=BB454_799 Depth=1
	s_or_b32 exec_lo, exec_lo, s9
	v_lshrrev_b16 v7, 8, v2
	v_mov_b32_e32 v6, 0
	s_mov_b32 s9, exec_lo
	s_delay_alu instid0(VALU_DEP_2)
	v_cmpx_ne_u16_e32 0, v7
	s_cbranch_execz .LBB454_1111
; %bb.1104:                             ;   in Loop: Header=BB454_799 Depth=1
	v_bfrev_b32_e32 v6, 1
	s_mov_b32 s12, exec_lo
	v_cmpx_ne_u16_e32 0x80, v7
	s_cbranch_execz .LBB454_1110
; %bb.1105:                             ;   in Loop: Header=BB454_799 Depth=1
	v_and_b32_e32 v9, 0xffff, v7
	v_mov_b32_e32 v6, 0x7f800001
	s_mov_b32 s13, exec_lo
	s_delay_alu instid0(VALU_DEP_2) | instskip(NEXT) | instid1(VALU_DEP_1)
	v_and_b32_e32 v7, 0x7f, v9
	v_cmpx_ne_u32_e32 0x7f, v7
	s_cbranch_execz .LBB454_1109
; %bb.1106:                             ;   in Loop: Header=BB454_799 Depth=1
	v_and_b32_e32 v9, 7, v9
	v_lshrrev_b32_e32 v6, 3, v7
	s_mov_b32 s15, exec_lo
	v_cmpx_gt_u32_e32 8, v7
; %bb.1107:                             ;   in Loop: Header=BB454_799 Depth=1
	s_delay_alu instid0(VALU_DEP_3) | instskip(NEXT) | instid1(VALU_DEP_1)
	v_clz_i32_u32_e32 v6, v9
	v_min_u32_e32 v6, 32, v6
	s_delay_alu instid0(VALU_DEP_1) | instskip(SKIP_1) | instid1(VALU_DEP_2)
	v_subrev_nc_u32_e32 v7, 28, v6
	v_sub_nc_u32_e32 v6, 29, v6
	v_lshlrev_b64 v[100:101], v7, v[9:10]
	s_delay_alu instid0(VALU_DEP_1)
	v_and_b32_e32 v9, 7, v100
; %bb.1108:                             ;   in Loop: Header=BB454_799 Depth=1
	s_or_b32 exec_lo, exec_lo, s15
	v_lshlrev_b32_e32 v7, 16, v2
	s_delay_alu instid0(VALU_DEP_2) | instskip(SKIP_1) | instid1(VALU_DEP_3)
	v_lshlrev_b32_e32 v9, 20, v9
	v_lshl_add_u32 v6, v6, 23, 0x3c000000
	v_and_b32_e32 v7, 0x80000000, v7
	s_delay_alu instid0(VALU_DEP_1)
	v_or3_b32 v6, v9, v7, v6
.LBB454_1109:                           ;   in Loop: Header=BB454_799 Depth=1
	s_or_b32 exec_lo, exec_lo, s13
.LBB454_1110:                           ;   in Loop: Header=BB454_799 Depth=1
	s_delay_alu instid0(SALU_CYCLE_1)
	s_or_b32 exec_lo, exec_lo, s12
.LBB454_1111:                           ;   in Loop: Header=BB454_799 Depth=1
	s_delay_alu instid0(SALU_CYCLE_1) | instskip(NEXT) | instid1(VALU_DEP_1)
	s_or_b32 exec_lo, exec_lo, s9
	v_mul_f32_e32 v6, v26, v6
                                        ; implicit-def: $vgpr100
	s_delay_alu instid0(VALU_DEP_1) | instskip(NEXT) | instid1(VALU_DEP_1)
	v_and_b32_e32 v7, 0x7f800000, v6
	v_cmp_ne_u32_e64 s0, 0x7f800000, v7
	s_delay_alu instid0(VALU_DEP_1) | instskip(NEXT) | instid1(SALU_CYCLE_1)
	s_and_saveexec_b32 s9, s0
	s_xor_b32 s0, exec_lo, s9
; %bb.1112:                             ;   in Loop: Header=BB454_799 Depth=1
	v_bfe_u32 v7, v6, 16, 1
	s_delay_alu instid0(VALU_DEP_1)
	v_add3_u32 v100, v6, v7, 0x7fff
                                        ; implicit-def: $vgpr6
; %bb.1113:                             ;   in Loop: Header=BB454_799 Depth=1
	s_and_not1_saveexec_b32 s9, s0
; %bb.1114:                             ;   in Loop: Header=BB454_799 Depth=1
	v_and_b32_e32 v7, 0xffff, v6
	v_or_b32_e32 v9, 0x10000, v6
	s_delay_alu instid0(VALU_DEP_2) | instskip(NEXT) | instid1(VALU_DEP_1)
	v_cmp_eq_u32_e64 s0, 0, v7
	v_cndmask_b32_e64 v100, v9, v6, s0
; %bb.1115:                             ;   in Loop: Header=BB454_799 Depth=1
	s_or_b32 exec_lo, exec_lo, s9
	v_lshrrev_b32_e32 v6, 16, v2
	v_mov_b32_e32 v7, 0
	s_mov_b32 s9, exec_lo
	s_delay_alu instid0(VALU_DEP_2) | instskip(NEXT) | instid1(VALU_DEP_1)
	v_and_b32_e32 v9, 0xff, v6
	v_cmpx_ne_u16_e32 0, v9
	s_cbranch_execz .LBB454_1123
; %bb.1116:                             ;   in Loop: Header=BB454_799 Depth=1
	v_bfrev_b32_e32 v7, 1
	s_mov_b32 s12, exec_lo
	v_cmpx_ne_u16_e32 0x80, v9
	s_cbranch_execz .LBB454_1122
; %bb.1117:                             ;   in Loop: Header=BB454_799 Depth=1
	v_bfe_u32 v101, v2, 16, 7
	v_mov_b32_e32 v7, 0x7f800001
	s_mov_b32 s13, exec_lo
	s_delay_alu instid0(VALU_DEP_2)
	v_cmpx_ne_u32_e32 0x7f, v101
	s_cbranch_execz .LBB454_1121
; %bb.1118:                             ;   in Loop: Header=BB454_799 Depth=1
	v_and_b32_e32 v9, 7, v6
	v_lshrrev_b32_e32 v7, 3, v101
	s_mov_b32 s15, exec_lo
	v_cmpx_gt_u32_e32 8, v101
; %bb.1119:                             ;   in Loop: Header=BB454_799 Depth=1
	s_delay_alu instid0(VALU_DEP_3) | instskip(NEXT) | instid1(VALU_DEP_1)
	v_clz_i32_u32_e32 v7, v9
	v_min_u32_e32 v7, 32, v7
	s_delay_alu instid0(VALU_DEP_1) | instskip(SKIP_1) | instid1(VALU_DEP_2)
	v_subrev_nc_u32_e32 v101, 28, v7
	v_sub_nc_u32_e32 v7, 29, v7
	v_lshlrev_b64 v[101:102], v101, v[9:10]
	s_delay_alu instid0(VALU_DEP_1)
	v_and_b32_e32 v9, 7, v101
; %bb.1120:                             ;   in Loop: Header=BB454_799 Depth=1
	s_or_b32 exec_lo, exec_lo, s15
	v_lshlrev_b32_e32 v6, 24, v6
	s_delay_alu instid0(VALU_DEP_2) | instskip(SKIP_1) | instid1(VALU_DEP_3)
	v_lshlrev_b32_e32 v9, 20, v9
	v_lshl_add_u32 v7, v7, 23, 0x3c000000
	v_and_b32_e32 v6, 0x80000000, v6
	s_delay_alu instid0(VALU_DEP_1)
	v_or3_b32 v7, v9, v6, v7
.LBB454_1121:                           ;   in Loop: Header=BB454_799 Depth=1
	s_or_b32 exec_lo, exec_lo, s13
.LBB454_1122:                           ;   in Loop: Header=BB454_799 Depth=1
	s_delay_alu instid0(SALU_CYCLE_1)
	s_or_b32 exec_lo, exec_lo, s12
.LBB454_1123:                           ;   in Loop: Header=BB454_799 Depth=1
	s_delay_alu instid0(SALU_CYCLE_1) | instskip(NEXT) | instid1(VALU_DEP_1)
	s_or_b32 exec_lo, exec_lo, s9
	v_mul_f32_e32 v6, v26, v7
                                        ; implicit-def: $vgpr101
	s_delay_alu instid0(VALU_DEP_1) | instskip(NEXT) | instid1(VALU_DEP_1)
	v_and_b32_e32 v7, 0x7f800000, v6
	v_cmp_ne_u32_e64 s0, 0x7f800000, v7
	s_delay_alu instid0(VALU_DEP_1) | instskip(NEXT) | instid1(SALU_CYCLE_1)
	s_and_saveexec_b32 s9, s0
	s_xor_b32 s0, exec_lo, s9
; %bb.1124:                             ;   in Loop: Header=BB454_799 Depth=1
	v_bfe_u32 v7, v6, 16, 1
	s_delay_alu instid0(VALU_DEP_1)
	v_add3_u32 v101, v6, v7, 0x7fff
                                        ; implicit-def: $vgpr6
; %bb.1125:                             ;   in Loop: Header=BB454_799 Depth=1
	s_and_not1_saveexec_b32 s9, s0
; %bb.1126:                             ;   in Loop: Header=BB454_799 Depth=1
	v_and_b32_e32 v7, 0xffff, v6
	v_or_b32_e32 v9, 0x10000, v6
	s_delay_alu instid0(VALU_DEP_2) | instskip(NEXT) | instid1(VALU_DEP_1)
	v_cmp_eq_u32_e64 s0, 0, v7
	v_cndmask_b32_e64 v101, v9, v6, s0
; %bb.1127:                             ;   in Loop: Header=BB454_799 Depth=1
	s_or_b32 exec_lo, exec_lo, s9
	v_mov_b32_e32 v7, 0
	s_mov_b32 s9, exec_lo
	v_cmpx_lt_u32_e32 0xffffff, v2
	s_cbranch_execz .LBB454_1135
; %bb.1128:                             ;   in Loop: Header=BB454_799 Depth=1
	v_lshrrev_b32_e32 v6, 24, v2
	v_bfrev_b32_e32 v7, 1
	s_mov_b32 s12, exec_lo
	s_delay_alu instid0(VALU_DEP_2)
	v_cmpx_ne_u32_e32 0x80, v6
	s_cbranch_execz .LBB454_1134
; %bb.1129:                             ;   in Loop: Header=BB454_799 Depth=1
	v_bfe_u32 v102, v2, 24, 7
	v_mov_b32_e32 v7, 0x7f800001
	s_mov_b32 s13, exec_lo
	s_delay_alu instid0(VALU_DEP_2)
	v_cmpx_ne_u32_e32 0x7f, v102
	s_cbranch_execz .LBB454_1133
; %bb.1130:                             ;   in Loop: Header=BB454_799 Depth=1
	v_and_b32_e32 v9, 7, v6
	v_lshrrev_b32_e32 v7, 3, v102
	s_mov_b32 s15, exec_lo
	v_cmpx_gt_u32_e32 8, v102
; %bb.1131:                             ;   in Loop: Header=BB454_799 Depth=1
	s_delay_alu instid0(VALU_DEP_3) | instskip(NEXT) | instid1(VALU_DEP_1)
	v_clz_i32_u32_e32 v7, v9
	v_min_u32_e32 v7, 32, v7
	s_delay_alu instid0(VALU_DEP_1) | instskip(SKIP_1) | instid1(VALU_DEP_2)
	v_subrev_nc_u32_e32 v102, 28, v7
	v_sub_nc_u32_e32 v7, 29, v7
	v_lshlrev_b64 v[102:103], v102, v[9:10]
	s_delay_alu instid0(VALU_DEP_1)
	v_and_b32_e32 v9, 7, v102
; %bb.1132:                             ;   in Loop: Header=BB454_799 Depth=1
	s_or_b32 exec_lo, exec_lo, s15
	v_lshlrev_b32_e32 v6, 24, v6
	s_delay_alu instid0(VALU_DEP_2) | instskip(SKIP_1) | instid1(VALU_DEP_3)
	v_lshlrev_b32_e32 v9, 20, v9
	v_lshl_add_u32 v7, v7, 23, 0x3c000000
	v_and_b32_e32 v6, 0x80000000, v6
	s_delay_alu instid0(VALU_DEP_1)
	v_or3_b32 v7, v9, v6, v7
.LBB454_1133:                           ;   in Loop: Header=BB454_799 Depth=1
	s_or_b32 exec_lo, exec_lo, s13
.LBB454_1134:                           ;   in Loop: Header=BB454_799 Depth=1
	s_delay_alu instid0(SALU_CYCLE_1)
	s_or_b32 exec_lo, exec_lo, s12
.LBB454_1135:                           ;   in Loop: Header=BB454_799 Depth=1
	s_delay_alu instid0(SALU_CYCLE_1) | instskip(NEXT) | instid1(VALU_DEP_1)
	s_or_b32 exec_lo, exec_lo, s9
	v_mul_f32_e32 v6, v26, v7
                                        ; implicit-def: $vgpr102
	s_delay_alu instid0(VALU_DEP_1) | instskip(NEXT) | instid1(VALU_DEP_1)
	v_and_b32_e32 v7, 0x7f800000, v6
	v_cmp_ne_u32_e64 s0, 0x7f800000, v7
	s_delay_alu instid0(VALU_DEP_1) | instskip(NEXT) | instid1(SALU_CYCLE_1)
	s_and_saveexec_b32 s9, s0
	s_xor_b32 s0, exec_lo, s9
; %bb.1136:                             ;   in Loop: Header=BB454_799 Depth=1
	v_bfe_u32 v7, v6, 16, 1
	s_delay_alu instid0(VALU_DEP_1)
	v_add3_u32 v102, v6, v7, 0x7fff
                                        ; implicit-def: $vgpr6
; %bb.1137:                             ;   in Loop: Header=BB454_799 Depth=1
	s_and_not1_saveexec_b32 s9, s0
; %bb.1138:                             ;   in Loop: Header=BB454_799 Depth=1
	v_and_b32_e32 v7, 0xffff, v6
	v_or_b32_e32 v9, 0x10000, v6
	s_delay_alu instid0(VALU_DEP_2) | instskip(NEXT) | instid1(VALU_DEP_1)
	v_cmp_eq_u32_e64 s0, 0, v7
	v_cndmask_b32_e64 v102, v9, v6, s0
; %bb.1139:                             ;   in Loop: Header=BB454_799 Depth=1
	s_or_b32 exec_lo, exec_lo, s9
	v_dual_mov_b32 v6, 0 :: v_dual_and_b32 v7, 0xff, v3
	v_mov_b32_e32 v9, v3
	s_mov_b32 s9, exec_lo
	s_delay_alu instid0(VALU_DEP_2)
	v_cmpx_ne_u16_e32 0, v7
	s_cbranch_execz .LBB454_1147
; %bb.1140:                             ;   in Loop: Header=BB454_799 Depth=1
	v_bfrev_b32_e32 v6, 1
	s_mov_b32 s12, exec_lo
	v_cmpx_ne_u16_e32 0x80, v7
	s_cbranch_execz .LBB454_1146
; %bb.1141:                             ;   in Loop: Header=BB454_799 Depth=1
	v_and_b32_e32 v7, 0x7f, v3
	v_mov_b32_e32 v6, 0x7f800001
	s_mov_b32 s13, exec_lo
	s_delay_alu instid0(VALU_DEP_2)
	v_cmpx_ne_u32_e32 0x7f, v7
	s_cbranch_execz .LBB454_1145
; %bb.1142:                             ;   in Loop: Header=BB454_799 Depth=1
	v_lshrrev_b32_e32 v103, 3, v7
	v_cmp_gt_u32_e64 s0, 8, v7
	v_dual_mov_b32 v6, v9 :: v_dual_mov_b32 v7, v10
	s_delay_alu instid0(VALU_DEP_2)
	s_and_saveexec_b32 s15, s0
; %bb.1143:                             ;   in Loop: Header=BB454_799 Depth=1
	v_and_b32_e32 v6, 7, v3
	s_delay_alu instid0(VALU_DEP_1) | instskip(NEXT) | instid1(VALU_DEP_1)
	v_clz_i32_u32_e32 v6, v6
	v_min_u32_e32 v103, 32, v6
	s_delay_alu instid0(VALU_DEP_1) | instskip(SKIP_1) | instid1(VALU_DEP_2)
	v_subrev_nc_u32_e32 v6, 28, v103
	v_sub_nc_u32_e32 v103, 29, v103
	v_lshlrev_b64 v[6:7], v6, v[9:10]
; %bb.1144:                             ;   in Loop: Header=BB454_799 Depth=1
	s_or_b32 exec_lo, exec_lo, s15
	s_delay_alu instid0(VALU_DEP_1) | instskip(SKIP_2) | instid1(VALU_DEP_3)
	v_lshlrev_b32_e32 v6, 20, v6
	v_lshlrev_b32_e32 v7, 24, v9
	v_lshl_add_u32 v103, v103, 23, 0x3c000000
	v_and_b32_e32 v6, 0x700000, v6
	s_delay_alu instid0(VALU_DEP_3) | instskip(NEXT) | instid1(VALU_DEP_1)
	v_and_b32_e32 v7, 0x80000000, v7
	v_or3_b32 v6, v6, v7, v103
.LBB454_1145:                           ;   in Loop: Header=BB454_799 Depth=1
	s_or_b32 exec_lo, exec_lo, s13
.LBB454_1146:                           ;   in Loop: Header=BB454_799 Depth=1
	s_delay_alu instid0(SALU_CYCLE_1)
	s_or_b32 exec_lo, exec_lo, s12
.LBB454_1147:                           ;   in Loop: Header=BB454_799 Depth=1
	s_delay_alu instid0(SALU_CYCLE_1) | instskip(NEXT) | instid1(VALU_DEP_1)
	s_or_b32 exec_lo, exec_lo, s9
	v_mul_f32_e32 v6, v26, v6
                                        ; implicit-def: $vgpr103
	s_delay_alu instid0(VALU_DEP_1) | instskip(NEXT) | instid1(VALU_DEP_1)
	v_and_b32_e32 v7, 0x7f800000, v6
	v_cmp_ne_u32_e64 s0, 0x7f800000, v7
	s_delay_alu instid0(VALU_DEP_1) | instskip(NEXT) | instid1(SALU_CYCLE_1)
	s_and_saveexec_b32 s9, s0
	s_xor_b32 s0, exec_lo, s9
; %bb.1148:                             ;   in Loop: Header=BB454_799 Depth=1
	v_bfe_u32 v7, v6, 16, 1
	s_delay_alu instid0(VALU_DEP_1)
	v_add3_u32 v103, v6, v7, 0x7fff
                                        ; implicit-def: $vgpr6
; %bb.1149:                             ;   in Loop: Header=BB454_799 Depth=1
	s_and_not1_saveexec_b32 s9, s0
; %bb.1150:                             ;   in Loop: Header=BB454_799 Depth=1
	v_and_b32_e32 v7, 0xffff, v6
	v_or_b32_e32 v103, 0x10000, v6
	s_delay_alu instid0(VALU_DEP_2) | instskip(NEXT) | instid1(VALU_DEP_1)
	v_cmp_eq_u32_e64 s0, 0, v7
	v_cndmask_b32_e64 v103, v103, v6, s0
; %bb.1151:                             ;   in Loop: Header=BB454_799 Depth=1
	s_or_b32 exec_lo, exec_lo, s9
	v_lshrrev_b16 v7, 8, v9
	v_mov_b32_e32 v6, 0
	s_mov_b32 s9, exec_lo
	s_delay_alu instid0(VALU_DEP_2)
	v_cmpx_ne_u16_e32 0, v7
	s_cbranch_execz .LBB454_1159
; %bb.1152:                             ;   in Loop: Header=BB454_799 Depth=1
	v_bfrev_b32_e32 v6, 1
	s_mov_b32 s12, exec_lo
	v_cmpx_ne_u16_e32 0x80, v7
	s_cbranch_execz .LBB454_1158
; %bb.1153:                             ;   in Loop: Header=BB454_799 Depth=1
	v_and_b32_e32 v7, 0xffff, v7
	v_mov_b32_e32 v6, 0x7f800001
	s_mov_b32 s13, exec_lo
	s_delay_alu instid0(VALU_DEP_2) | instskip(NEXT) | instid1(VALU_DEP_1)
	v_and_b32_e32 v113, 0x7f, v7
	v_cmpx_ne_u32_e32 0x7f, v113
	s_cbranch_execz .LBB454_1157
; %bb.1154:                             ;   in Loop: Header=BB454_799 Depth=1
	v_dual_mov_b32 v7, v10 :: v_dual_and_b32 v6, 7, v7
	v_lshrrev_b32_e32 v112, 3, v113
	s_mov_b32 s15, exec_lo
	v_cmpx_gt_u32_e32 8, v113
; %bb.1155:                             ;   in Loop: Header=BB454_799 Depth=1
	s_delay_alu instid0(VALU_DEP_3) | instskip(NEXT) | instid1(VALU_DEP_1)
	v_clz_i32_u32_e32 v112, v6
	v_min_u32_e32 v112, 32, v112
	s_delay_alu instid0(VALU_DEP_1) | instskip(SKIP_1) | instid1(VALU_DEP_2)
	v_subrev_nc_u32_e32 v113, 28, v112
	v_sub_nc_u32_e32 v112, 29, v112
	v_lshlrev_b64 v[6:7], v113, v[6:7]
	s_delay_alu instid0(VALU_DEP_1)
	v_and_b32_e32 v6, 7, v6
; %bb.1156:                             ;   in Loop: Header=BB454_799 Depth=1
	s_or_b32 exec_lo, exec_lo, s15
	v_lshlrev_b32_e32 v7, 16, v9
	s_delay_alu instid0(VALU_DEP_2) | instskip(SKIP_1) | instid1(VALU_DEP_3)
	v_lshlrev_b32_e32 v6, 20, v6
	v_lshl_add_u32 v9, v112, 23, 0x3c000000
	v_and_b32_e32 v7, 0x80000000, v7
	s_delay_alu instid0(VALU_DEP_1)
	v_or3_b32 v6, v6, v7, v9
.LBB454_1157:                           ;   in Loop: Header=BB454_799 Depth=1
	s_or_b32 exec_lo, exec_lo, s13
.LBB454_1158:                           ;   in Loop: Header=BB454_799 Depth=1
	s_delay_alu instid0(SALU_CYCLE_1)
	s_or_b32 exec_lo, exec_lo, s12
.LBB454_1159:                           ;   in Loop: Header=BB454_799 Depth=1
	s_delay_alu instid0(SALU_CYCLE_1) | instskip(NEXT) | instid1(VALU_DEP_1)
	s_or_b32 exec_lo, exec_lo, s9
	v_mul_f32_e32 v7, v26, v6
	s_delay_alu instid0(VALU_DEP_1) | instskip(NEXT) | instid1(VALU_DEP_1)
	v_and_b32_e32 v6, 0x7f800000, v7
	v_cmp_ne_u32_e64 s0, 0x7f800000, v6
                                        ; implicit-def: $vgpr6
	s_delay_alu instid0(VALU_DEP_1) | instskip(NEXT) | instid1(SALU_CYCLE_1)
	s_and_saveexec_b32 s9, s0
	s_xor_b32 s0, exec_lo, s9
; %bb.1160:                             ;   in Loop: Header=BB454_799 Depth=1
	v_bfe_u32 v6, v7, 16, 1
	s_delay_alu instid0(VALU_DEP_1)
	v_add3_u32 v6, v7, v6, 0x7fff
                                        ; implicit-def: $vgpr7
; %bb.1161:                             ;   in Loop: Header=BB454_799 Depth=1
	s_and_not1_saveexec_b32 s9, s0
; %bb.1162:                             ;   in Loop: Header=BB454_799 Depth=1
	v_and_b32_e32 v6, 0xffff, v7
	v_or_b32_e32 v9, 0x10000, v7
	s_delay_alu instid0(VALU_DEP_2) | instskip(NEXT) | instid1(VALU_DEP_1)
	v_cmp_eq_u32_e64 s0, 0, v6
	v_cndmask_b32_e64 v6, v9, v7, s0
; %bb.1163:                             ;   in Loop: Header=BB454_799 Depth=1
	s_or_b32 exec_lo, exec_lo, s9
	v_lshrrev_b32_e32 v7, 16, v3
	s_mov_b32 s9, exec_lo
	s_delay_alu instid0(VALU_DEP_1) | instskip(NEXT) | instid1(VALU_DEP_1)
	v_dual_mov_b32 v9, 0 :: v_dual_and_b32 v112, 0xff, v7
	v_cmpx_ne_u16_e32 0, v112
	s_cbranch_execz .LBB454_1171
; %bb.1164:                             ;   in Loop: Header=BB454_799 Depth=1
	v_bfrev_b32_e32 v9, 1
	s_mov_b32 s12, exec_lo
	v_cmpx_ne_u16_e32 0x80, v112
	s_cbranch_execz .LBB454_1170
; %bb.1165:                             ;   in Loop: Header=BB454_799 Depth=1
	v_bfe_u32 v113, v3, 16, 7
	v_mov_b32_e32 v9, 0x7f800001
	s_mov_b32 s13, exec_lo
	s_delay_alu instid0(VALU_DEP_2)
	v_cmpx_ne_u32_e32 0x7f, v113
	s_cbranch_execz .LBB454_1169
; %bb.1166:                             ;   in Loop: Header=BB454_799 Depth=1
	v_and_b32_e32 v9, 7, v7
	v_lshrrev_b32_e32 v112, 3, v113
	s_mov_b32 s15, exec_lo
	v_cmpx_gt_u32_e32 8, v113
; %bb.1167:                             ;   in Loop: Header=BB454_799 Depth=1
	s_delay_alu instid0(VALU_DEP_3) | instskip(NEXT) | instid1(VALU_DEP_1)
	v_clz_i32_u32_e32 v112, v9
	v_min_u32_e32 v112, 32, v112
	s_delay_alu instid0(VALU_DEP_1) | instskip(SKIP_1) | instid1(VALU_DEP_2)
	v_subrev_nc_u32_e32 v113, 28, v112
	v_sub_nc_u32_e32 v112, 29, v112
	v_lshlrev_b64 v[113:114], v113, v[9:10]
	s_delay_alu instid0(VALU_DEP_1)
	v_and_b32_e32 v9, 7, v113
; %bb.1168:                             ;   in Loop: Header=BB454_799 Depth=1
	s_or_b32 exec_lo, exec_lo, s15
	v_lshlrev_b32_e32 v7, 24, v7
	s_delay_alu instid0(VALU_DEP_2) | instskip(SKIP_1) | instid1(VALU_DEP_3)
	v_lshlrev_b32_e32 v9, 20, v9
	v_lshl_add_u32 v112, v112, 23, 0x3c000000
	v_and_b32_e32 v7, 0x80000000, v7
	s_delay_alu instid0(VALU_DEP_1)
	v_or3_b32 v9, v9, v7, v112
.LBB454_1169:                           ;   in Loop: Header=BB454_799 Depth=1
	s_or_b32 exec_lo, exec_lo, s13
.LBB454_1170:                           ;   in Loop: Header=BB454_799 Depth=1
	s_delay_alu instid0(SALU_CYCLE_1)
	s_or_b32 exec_lo, exec_lo, s12
.LBB454_1171:                           ;   in Loop: Header=BB454_799 Depth=1
	s_delay_alu instid0(SALU_CYCLE_1) | instskip(NEXT) | instid1(VALU_DEP_1)
	s_or_b32 exec_lo, exec_lo, s9
	v_mul_f32_e32 v7, v26, v9
                                        ; implicit-def: $vgpr112
	s_delay_alu instid0(VALU_DEP_1) | instskip(NEXT) | instid1(VALU_DEP_1)
	v_and_b32_e32 v9, 0x7f800000, v7
	v_cmp_ne_u32_e64 s0, 0x7f800000, v9
	s_delay_alu instid0(VALU_DEP_1) | instskip(NEXT) | instid1(SALU_CYCLE_1)
	s_and_saveexec_b32 s9, s0
	s_xor_b32 s0, exec_lo, s9
; %bb.1172:                             ;   in Loop: Header=BB454_799 Depth=1
	v_bfe_u32 v9, v7, 16, 1
	s_delay_alu instid0(VALU_DEP_1)
	v_add3_u32 v112, v7, v9, 0x7fff
                                        ; implicit-def: $vgpr7
; %bb.1173:                             ;   in Loop: Header=BB454_799 Depth=1
	s_and_not1_saveexec_b32 s9, s0
; %bb.1174:                             ;   in Loop: Header=BB454_799 Depth=1
	v_and_b32_e32 v9, 0xffff, v7
	v_or_b32_e32 v112, 0x10000, v7
	s_delay_alu instid0(VALU_DEP_2) | instskip(NEXT) | instid1(VALU_DEP_1)
	v_cmp_eq_u32_e64 s0, 0, v9
	v_cndmask_b32_e64 v112, v112, v7, s0
; %bb.1175:                             ;   in Loop: Header=BB454_799 Depth=1
	s_or_b32 exec_lo, exec_lo, s9
	v_mov_b32_e32 v7, 0
	s_mov_b32 s9, exec_lo
	v_cmpx_lt_u64_e64 s[2:3], v[2:3]
	s_cbranch_execz .LBB454_1183
; %bb.1176:                             ;   in Loop: Header=BB454_799 Depth=1
	v_lshrrev_b32_e32 v2, 24, v3
	v_bfrev_b32_e32 v7, 1
	s_mov_b32 s12, exec_lo
	s_delay_alu instid0(VALU_DEP_2)
	v_cmpx_ne_u32_e32 0x80, v2
	s_cbranch_execz .LBB454_1182
; %bb.1177:                             ;   in Loop: Header=BB454_799 Depth=1
	v_bfe_u32 v113, v3, 24, 7
	v_mov_b32_e32 v7, 0x7f800001
	s_mov_b32 s13, exec_lo
	s_delay_alu instid0(VALU_DEP_2)
	v_cmpx_ne_u32_e32 0x7f, v113
	s_cbranch_execz .LBB454_1181
; %bb.1178:                             ;   in Loop: Header=BB454_799 Depth=1
	v_and_b32_e32 v9, 7, v2
	v_lshrrev_b32_e32 v3, 3, v113
	s_mov_b32 s15, exec_lo
	v_cmpx_gt_u32_e32 8, v113
; %bb.1179:                             ;   in Loop: Header=BB454_799 Depth=1
	s_delay_alu instid0(VALU_DEP_3) | instskip(NEXT) | instid1(VALU_DEP_1)
	v_clz_i32_u32_e32 v3, v9
	v_min_u32_e32 v3, 32, v3
	s_delay_alu instid0(VALU_DEP_1) | instskip(SKIP_1) | instid1(VALU_DEP_2)
	v_subrev_nc_u32_e32 v7, 28, v3
	v_sub_nc_u32_e32 v3, 29, v3
	v_lshlrev_b64 v[113:114], v7, v[9:10]
	s_delay_alu instid0(VALU_DEP_1)
	v_and_b32_e32 v9, 7, v113
; %bb.1180:                             ;   in Loop: Header=BB454_799 Depth=1
	s_or_b32 exec_lo, exec_lo, s15
	v_lshlrev_b32_e32 v2, 24, v2
	s_delay_alu instid0(VALU_DEP_2) | instskip(SKIP_1) | instid1(VALU_DEP_3)
	v_lshlrev_b32_e32 v7, 20, v9
	v_lshl_add_u32 v3, v3, 23, 0x3c000000
	v_and_b32_e32 v2, 0x80000000, v2
	s_delay_alu instid0(VALU_DEP_1)
	v_or3_b32 v7, v7, v2, v3
.LBB454_1181:                           ;   in Loop: Header=BB454_799 Depth=1
	s_or_b32 exec_lo, exec_lo, s13
.LBB454_1182:                           ;   in Loop: Header=BB454_799 Depth=1
	s_delay_alu instid0(SALU_CYCLE_1)
	s_or_b32 exec_lo, exec_lo, s12
.LBB454_1183:                           ;   in Loop: Header=BB454_799 Depth=1
	s_delay_alu instid0(SALU_CYCLE_1) | instskip(NEXT) | instid1(VALU_DEP_1)
	s_or_b32 exec_lo, exec_lo, s9
	v_mul_f32_e32 v3, v26, v7
	s_delay_alu instid0(VALU_DEP_1) | instskip(NEXT) | instid1(VALU_DEP_1)
	v_and_b32_e32 v2, 0x7f800000, v3
	v_cmp_ne_u32_e64 s0, 0x7f800000, v2
                                        ; implicit-def: $vgpr2
	s_delay_alu instid0(VALU_DEP_1) | instskip(NEXT) | instid1(SALU_CYCLE_1)
	s_and_saveexec_b32 s9, s0
	s_xor_b32 s0, exec_lo, s9
; %bb.1184:                             ;   in Loop: Header=BB454_799 Depth=1
	v_bfe_u32 v2, v3, 16, 1
	s_delay_alu instid0(VALU_DEP_1)
	v_add3_u32 v2, v3, v2, 0x7fff
                                        ; implicit-def: $vgpr3
; %bb.1185:                             ;   in Loop: Header=BB454_799 Depth=1
	s_and_not1_saveexec_b32 s9, s0
; %bb.1186:                             ;   in Loop: Header=BB454_799 Depth=1
	v_and_b32_e32 v2, 0xffff, v3
	v_or_b32_e32 v7, 0x10000, v3
	s_delay_alu instid0(VALU_DEP_2) | instskip(NEXT) | instid1(VALU_DEP_1)
	v_cmp_eq_u32_e64 s0, 0, v2
	v_cndmask_b32_e64 v2, v7, v3, s0
; %bb.1187:                             ;   in Loop: Header=BB454_799 Depth=1
	s_or_b32 exec_lo, exec_lo, s9
	v_lshrrev_b32_e32 v6, 16, v6
	v_lshrrev_b32_e32 v7, 16, v103
	v_lshrrev_b32_e32 v9, 16, v102
	v_lshrrev_b32_e32 v101, 16, v101
	v_lshrrev_b32_e32 v100, 16, v100
	v_lshrrev_b32_e32 v99, 16, v99
	v_lshrrev_b32_e32 v3, 16, v112
	v_lshrrev_b32_e32 v2, 16, v2
	s_and_saveexec_b32 s9, vcc_lo
	s_cbranch_execz .LBB454_1189
; %bb.1188:                             ;   in Loop: Header=BB454_799 Depth=1
	v_cmp_lt_i32_e64 s0, v52, v35
	s_delay_alu instid0(VALU_DEP_1) | instskip(SKIP_1) | instid1(VALU_DEP_1)
	v_cndmask_b32_e64 v99, 0, v99, s0
	v_cmp_lt_i32_e64 s0, v66, v35
	v_cndmask_b32_e64 v100, 0, v100, s0
	v_cmp_lt_i32_e64 s0, v65, v35
	s_delay_alu instid0(VALU_DEP_1) | instskip(SKIP_1) | instid1(VALU_DEP_1)
	v_cndmask_b32_e64 v101, 0, v101, s0
	v_cmp_lt_i32_e64 s0, v64, v35
	v_cndmask_b32_e64 v9, 0, v9, s0
	;; [unrolled: 5-line block ×4, first 2 shown]
.LBB454_1189:                           ;   in Loop: Header=BB454_799 Depth=1
	s_or_b32 exec_lo, exec_lo, s9
	v_lshlrev_b32_e32 v99, 16, v99
	s_delay_alu instid0(VALU_DEP_1) | instskip(NEXT) | instid1(VALU_DEP_1)
	v_mul_f32_e32 v102, v67, v99
	v_and_b32_e32 v99, 0x7f800000, v102
	s_delay_alu instid0(VALU_DEP_1) | instskip(NEXT) | instid1(VALU_DEP_1)
	v_cmp_ne_u32_e64 s0, 0x7f800000, v99
                                        ; implicit-def: $vgpr99
	s_and_saveexec_b32 s9, s0
	s_delay_alu instid0(SALU_CYCLE_1)
	s_xor_b32 s0, exec_lo, s9
; %bb.1190:                             ;   in Loop: Header=BB454_799 Depth=1
	v_bfe_u32 v99, v102, 16, 1
	s_delay_alu instid0(VALU_DEP_1)
	v_add3_u32 v99, v102, v99, 0x7fff
                                        ; implicit-def: $vgpr102
; %bb.1191:                             ;   in Loop: Header=BB454_799 Depth=1
	s_and_not1_saveexec_b32 s9, s0
; %bb.1192:                             ;   in Loop: Header=BB454_799 Depth=1
	v_and_b32_e32 v99, 0xffff, v102
	v_or_b32_e32 v103, 0x10000, v102
	s_delay_alu instid0(VALU_DEP_2) | instskip(NEXT) | instid1(VALU_DEP_1)
	v_cmp_eq_u32_e64 s0, 0, v99
	v_cndmask_b32_e64 v99, v103, v102, s0
; %bb.1193:                             ;   in Loop: Header=BB454_799 Depth=1
	s_or_b32 exec_lo, exec_lo, s9
	v_lshlrev_b32_e32 v100, 16, v100
	s_delay_alu instid0(VALU_DEP_1) | instskip(NEXT) | instid1(VALU_DEP_1)
	v_mul_f32_e32 v102, v68, v100
	v_and_b32_e32 v100, 0x7f800000, v102
	s_delay_alu instid0(VALU_DEP_1) | instskip(NEXT) | instid1(VALU_DEP_1)
	v_cmp_ne_u32_e64 s0, 0x7f800000, v100
                                        ; implicit-def: $vgpr100
	s_and_saveexec_b32 s9, s0
	s_delay_alu instid0(SALU_CYCLE_1)
	s_xor_b32 s0, exec_lo, s9
; %bb.1194:                             ;   in Loop: Header=BB454_799 Depth=1
	v_bfe_u32 v100, v102, 16, 1
	s_delay_alu instid0(VALU_DEP_1)
	v_add3_u32 v100, v102, v100, 0x7fff
                                        ; implicit-def: $vgpr102
; %bb.1195:                             ;   in Loop: Header=BB454_799 Depth=1
	s_and_not1_saveexec_b32 s9, s0
; %bb.1196:                             ;   in Loop: Header=BB454_799 Depth=1
	v_and_b32_e32 v100, 0xffff, v102
	v_or_b32_e32 v103, 0x10000, v102
	s_delay_alu instid0(VALU_DEP_2) | instskip(NEXT) | instid1(VALU_DEP_1)
	v_cmp_eq_u32_e64 s0, 0, v100
	v_cndmask_b32_e64 v100, v103, v102, s0
; %bb.1197:                             ;   in Loop: Header=BB454_799 Depth=1
	s_or_b32 exec_lo, exec_lo, s9
	v_lshlrev_b32_e32 v101, 16, v101
	s_delay_alu instid0(VALU_DEP_1) | instskip(NEXT) | instid1(VALU_DEP_1)
	v_mul_f32_e32 v102, v69, v101
	v_and_b32_e32 v101, 0x7f800000, v102
	s_delay_alu instid0(VALU_DEP_1) | instskip(NEXT) | instid1(VALU_DEP_1)
	v_cmp_ne_u32_e64 s0, 0x7f800000, v101
                                        ; implicit-def: $vgpr101
	s_and_saveexec_b32 s9, s0
	s_delay_alu instid0(SALU_CYCLE_1)
	s_xor_b32 s0, exec_lo, s9
; %bb.1198:                             ;   in Loop: Header=BB454_799 Depth=1
	v_bfe_u32 v101, v102, 16, 1
	s_delay_alu instid0(VALU_DEP_1)
	v_add3_u32 v101, v102, v101, 0x7fff
                                        ; implicit-def: $vgpr102
; %bb.1199:                             ;   in Loop: Header=BB454_799 Depth=1
	s_and_not1_saveexec_b32 s9, s0
; %bb.1200:                             ;   in Loop: Header=BB454_799 Depth=1
	v_and_b32_e32 v101, 0xffff, v102
	v_or_b32_e32 v103, 0x10000, v102
	s_delay_alu instid0(VALU_DEP_2) | instskip(NEXT) | instid1(VALU_DEP_1)
	v_cmp_eq_u32_e64 s0, 0, v101
	v_cndmask_b32_e64 v101, v103, v102, s0
; %bb.1201:                             ;   in Loop: Header=BB454_799 Depth=1
	s_or_b32 exec_lo, exec_lo, s9
	v_lshlrev_b32_e32 v9, 16, v9
	s_delay_alu instid0(VALU_DEP_1) | instskip(NEXT) | instid1(VALU_DEP_1)
	v_mul_f32_e32 v9, v70, v9
	v_and_b32_e32 v102, 0x7f800000, v9
	s_delay_alu instid0(VALU_DEP_1) | instskip(NEXT) | instid1(VALU_DEP_1)
	v_cmp_ne_u32_e64 s0, 0x7f800000, v102
                                        ; implicit-def: $vgpr102
	s_and_saveexec_b32 s9, s0
	s_delay_alu instid0(SALU_CYCLE_1)
	s_xor_b32 s0, exec_lo, s9
; %bb.1202:                             ;   in Loop: Header=BB454_799 Depth=1
	v_bfe_u32 v102, v9, 16, 1
	s_delay_alu instid0(VALU_DEP_1)
	v_add3_u32 v102, v9, v102, 0x7fff
                                        ; implicit-def: $vgpr9
; %bb.1203:                             ;   in Loop: Header=BB454_799 Depth=1
	s_and_not1_saveexec_b32 s9, s0
; %bb.1204:                             ;   in Loop: Header=BB454_799 Depth=1
	v_and_b32_e32 v102, 0xffff, v9
	v_or_b32_e32 v103, 0x10000, v9
	s_delay_alu instid0(VALU_DEP_2) | instskip(NEXT) | instid1(VALU_DEP_1)
	v_cmp_eq_u32_e64 s0, 0, v102
	v_cndmask_b32_e64 v102, v103, v9, s0
; %bb.1205:                             ;   in Loop: Header=BB454_799 Depth=1
	s_or_b32 exec_lo, exec_lo, s9
	v_lshlrev_b32_e32 v7, 16, v7
                                        ; implicit-def: $vgpr103
	s_delay_alu instid0(VALU_DEP_1) | instskip(NEXT) | instid1(VALU_DEP_1)
	v_mul_f32_e32 v7, v71, v7
	v_and_b32_e32 v9, 0x7f800000, v7
	s_delay_alu instid0(VALU_DEP_1) | instskip(NEXT) | instid1(VALU_DEP_1)
	v_cmp_ne_u32_e64 s0, 0x7f800000, v9
	s_and_saveexec_b32 s9, s0
	s_delay_alu instid0(SALU_CYCLE_1)
	s_xor_b32 s0, exec_lo, s9
; %bb.1206:                             ;   in Loop: Header=BB454_799 Depth=1
	v_bfe_u32 v9, v7, 16, 1
	s_delay_alu instid0(VALU_DEP_1)
	v_add3_u32 v103, v7, v9, 0x7fff
                                        ; implicit-def: $vgpr7
; %bb.1207:                             ;   in Loop: Header=BB454_799 Depth=1
	s_and_not1_saveexec_b32 s9, s0
; %bb.1208:                             ;   in Loop: Header=BB454_799 Depth=1
	v_and_b32_e32 v9, 0xffff, v7
	v_or_b32_e32 v103, 0x10000, v7
	s_delay_alu instid0(VALU_DEP_2) | instskip(NEXT) | instid1(VALU_DEP_1)
	v_cmp_eq_u32_e64 s0, 0, v9
	v_cndmask_b32_e64 v103, v103, v7, s0
; %bb.1209:                             ;   in Loop: Header=BB454_799 Depth=1
	s_or_b32 exec_lo, exec_lo, s9
	v_lshlrev_b32_e32 v6, 16, v6
                                        ; implicit-def: $vgpr112
	s_delay_alu instid0(VALU_DEP_1) | instskip(NEXT) | instid1(VALU_DEP_1)
	v_mul_f32_e32 v6, v80, v6
	v_and_b32_e32 v7, 0x7f800000, v6
	s_delay_alu instid0(VALU_DEP_1) | instskip(NEXT) | instid1(VALU_DEP_1)
	v_cmp_ne_u32_e64 s0, 0x7f800000, v7
	s_and_saveexec_b32 s9, s0
	s_delay_alu instid0(SALU_CYCLE_1)
	s_xor_b32 s0, exec_lo, s9
; %bb.1210:                             ;   in Loop: Header=BB454_799 Depth=1
	v_bfe_u32 v7, v6, 16, 1
	s_delay_alu instid0(VALU_DEP_1)
	v_add3_u32 v112, v6, v7, 0x7fff
                                        ; implicit-def: $vgpr6
; %bb.1211:                             ;   in Loop: Header=BB454_799 Depth=1
	s_and_not1_saveexec_b32 s9, s0
; %bb.1212:                             ;   in Loop: Header=BB454_799 Depth=1
	v_and_b32_e32 v7, 0xffff, v6
	v_or_b32_e32 v9, 0x10000, v6
	s_delay_alu instid0(VALU_DEP_2) | instskip(NEXT) | instid1(VALU_DEP_1)
	v_cmp_eq_u32_e64 s0, 0, v7
	v_cndmask_b32_e64 v112, v9, v6, s0
; %bb.1213:                             ;   in Loop: Header=BB454_799 Depth=1
	s_or_b32 exec_lo, exec_lo, s9
	v_lshlrev_b32_e32 v3, 16, v3
                                        ; implicit-def: $vgpr113
	s_delay_alu instid0(VALU_DEP_1) | instskip(NEXT) | instid1(VALU_DEP_1)
	v_mul_f32_e32 v3, v81, v3
	v_and_b32_e32 v6, 0x7f800000, v3
	s_delay_alu instid0(VALU_DEP_1) | instskip(NEXT) | instid1(VALU_DEP_1)
	v_cmp_ne_u32_e64 s0, 0x7f800000, v6
	s_and_saveexec_b32 s9, s0
	s_delay_alu instid0(SALU_CYCLE_1)
	s_xor_b32 s0, exec_lo, s9
; %bb.1214:                             ;   in Loop: Header=BB454_799 Depth=1
	v_bfe_u32 v6, v3, 16, 1
	s_delay_alu instid0(VALU_DEP_1)
	v_add3_u32 v113, v3, v6, 0x7fff
                                        ; implicit-def: $vgpr3
; %bb.1215:                             ;   in Loop: Header=BB454_799 Depth=1
	s_and_not1_saveexec_b32 s9, s0
; %bb.1216:                             ;   in Loop: Header=BB454_799 Depth=1
	v_and_b32_e32 v6, 0xffff, v3
	v_or_b32_e32 v7, 0x10000, v3
	s_delay_alu instid0(VALU_DEP_2) | instskip(NEXT) | instid1(VALU_DEP_1)
	v_cmp_eq_u32_e64 s0, 0, v6
	v_cndmask_b32_e64 v113, v7, v3, s0
; %bb.1217:                             ;   in Loop: Header=BB454_799 Depth=1
	s_or_b32 exec_lo, exec_lo, s9
	v_lshlrev_b32_e32 v2, 16, v2
                                        ; implicit-def: $vgpr114
	s_delay_alu instid0(VALU_DEP_1) | instskip(NEXT) | instid1(VALU_DEP_1)
	v_mul_f32_e32 v2, v82, v2
	v_and_b32_e32 v3, 0x7f800000, v2
	s_delay_alu instid0(VALU_DEP_1) | instskip(NEXT) | instid1(VALU_DEP_1)
	v_cmp_ne_u32_e64 s0, 0x7f800000, v3
	s_and_saveexec_b32 s9, s0
	s_delay_alu instid0(SALU_CYCLE_1)
	s_xor_b32 s0, exec_lo, s9
; %bb.1218:                             ;   in Loop: Header=BB454_799 Depth=1
	v_bfe_u32 v3, v2, 16, 1
	s_delay_alu instid0(VALU_DEP_1)
	v_add3_u32 v114, v2, v3, 0x7fff
                                        ; implicit-def: $vgpr2
; %bb.1219:                             ;   in Loop: Header=BB454_799 Depth=1
	s_and_not1_saveexec_b32 s9, s0
; %bb.1220:                             ;   in Loop: Header=BB454_799 Depth=1
	v_and_b32_e32 v3, 0xffff, v2
	v_or_b32_e32 v6, 0x10000, v2
	s_delay_alu instid0(VALU_DEP_2) | instskip(NEXT) | instid1(VALU_DEP_1)
	v_cmp_eq_u32_e64 s0, 0, v3
	v_cndmask_b32_e64 v114, v6, v2, s0
; %bb.1221:                             ;   in Loop: Header=BB454_799 Depth=1
	s_or_b32 exec_lo, exec_lo, s9
	flat_load_b64 v[2:3], v[0:1] offset:768
	s_mov_b32 s9, exec_lo
	s_waitcnt vmcnt(0) lgkmcnt(0)
	v_dual_mov_b32 v6, 0 :: v_dual_and_b32 v7, 0xff, v2
	s_delay_alu instid0(VALU_DEP_1)
	v_cmpx_ne_u16_e32 0, v7
	s_cbranch_execz .LBB454_1229
; %bb.1222:                             ;   in Loop: Header=BB454_799 Depth=1
	v_bfrev_b32_e32 v6, 1
	s_mov_b32 s12, exec_lo
	v_cmpx_ne_u16_e32 0x80, v7
	s_cbranch_execz .LBB454_1228
; %bb.1223:                             ;   in Loop: Header=BB454_799 Depth=1
	v_and_b32_e32 v7, 0x7f, v2
	v_mov_b32_e32 v6, 0x7f800001
	s_mov_b32 s13, exec_lo
	s_delay_alu instid0(VALU_DEP_2)
	v_cmpx_ne_u32_e32 0x7f, v7
	s_cbranch_execz .LBB454_1227
; %bb.1224:                             ;   in Loop: Header=BB454_799 Depth=1
	v_lshrrev_b32_e32 v9, 3, v7
	v_cmp_gt_u32_e64 s0, 8, v7
	v_dual_mov_b32 v7, v3 :: v_dual_mov_b32 v6, v2
	s_delay_alu instid0(VALU_DEP_2)
	s_and_saveexec_b32 s15, s0
; %bb.1225:                             ;   in Loop: Header=BB454_799 Depth=1
	v_and_b32_e32 v6, 7, v2
	s_delay_alu instid0(VALU_DEP_1) | instskip(NEXT) | instid1(VALU_DEP_1)
	v_clz_i32_u32_e32 v6, v6
	v_min_u32_e32 v9, 32, v6
	s_delay_alu instid0(VALU_DEP_1) | instskip(SKIP_1) | instid1(VALU_DEP_2)
	v_subrev_nc_u32_e32 v6, 28, v9
	v_sub_nc_u32_e32 v9, 29, v9
	v_lshlrev_b64 v[6:7], v6, v[2:3]
; %bb.1226:                             ;   in Loop: Header=BB454_799 Depth=1
	s_or_b32 exec_lo, exec_lo, s15
	s_delay_alu instid0(VALU_DEP_1) | instskip(SKIP_2) | instid1(VALU_DEP_3)
	v_lshlrev_b32_e32 v6, 20, v6
	v_lshlrev_b32_e32 v7, 24, v2
	v_lshl_add_u32 v9, v9, 23, 0x3c000000
	v_and_b32_e32 v6, 0x700000, v6
	s_delay_alu instid0(VALU_DEP_3) | instskip(NEXT) | instid1(VALU_DEP_1)
	v_and_b32_e32 v7, 0x80000000, v7
	v_or3_b32 v6, v6, v7, v9
.LBB454_1227:                           ;   in Loop: Header=BB454_799 Depth=1
	s_or_b32 exec_lo, exec_lo, s13
.LBB454_1228:                           ;   in Loop: Header=BB454_799 Depth=1
	s_delay_alu instid0(SALU_CYCLE_1)
	s_or_b32 exec_lo, exec_lo, s12
.LBB454_1229:                           ;   in Loop: Header=BB454_799 Depth=1
	s_delay_alu instid0(SALU_CYCLE_1) | instskip(NEXT) | instid1(VALU_DEP_1)
	s_or_b32 exec_lo, exec_lo, s9
	v_mul_f32_e32 v6, v26, v6
                                        ; implicit-def: $vgpr115
	s_delay_alu instid0(VALU_DEP_1) | instskip(NEXT) | instid1(VALU_DEP_1)
	v_and_b32_e32 v7, 0x7f800000, v6
	v_cmp_ne_u32_e64 s0, 0x7f800000, v7
	s_delay_alu instid0(VALU_DEP_1) | instskip(NEXT) | instid1(SALU_CYCLE_1)
	s_and_saveexec_b32 s9, s0
	s_xor_b32 s0, exec_lo, s9
; %bb.1230:                             ;   in Loop: Header=BB454_799 Depth=1
	v_bfe_u32 v7, v6, 16, 1
	s_delay_alu instid0(VALU_DEP_1)
	v_add3_u32 v115, v6, v7, 0x7fff
                                        ; implicit-def: $vgpr6
; %bb.1231:                             ;   in Loop: Header=BB454_799 Depth=1
	s_and_not1_saveexec_b32 s9, s0
; %bb.1232:                             ;   in Loop: Header=BB454_799 Depth=1
	v_and_b32_e32 v7, 0xffff, v6
	v_or_b32_e32 v9, 0x10000, v6
	s_delay_alu instid0(VALU_DEP_2) | instskip(NEXT) | instid1(VALU_DEP_1)
	v_cmp_eq_u32_e64 s0, 0, v7
	v_cndmask_b32_e64 v115, v9, v6, s0
; %bb.1233:                             ;   in Loop: Header=BB454_799 Depth=1
	s_or_b32 exec_lo, exec_lo, s9
	v_lshrrev_b16 v7, 8, v2
	v_mov_b32_e32 v6, 0
	s_mov_b32 s9, exec_lo
	s_delay_alu instid0(VALU_DEP_2)
	v_cmpx_ne_u16_e32 0, v7
	s_cbranch_execz .LBB454_1241
; %bb.1234:                             ;   in Loop: Header=BB454_799 Depth=1
	v_bfrev_b32_e32 v6, 1
	s_mov_b32 s12, exec_lo
	v_cmpx_ne_u16_e32 0x80, v7
	s_cbranch_execz .LBB454_1240
; %bb.1235:                             ;   in Loop: Header=BB454_799 Depth=1
	v_and_b32_e32 v9, 0xffff, v7
	v_mov_b32_e32 v6, 0x7f800001
	s_mov_b32 s13, exec_lo
	s_delay_alu instid0(VALU_DEP_2) | instskip(NEXT) | instid1(VALU_DEP_1)
	v_and_b32_e32 v7, 0x7f, v9
	v_cmpx_ne_u32_e32 0x7f, v7
	s_cbranch_execz .LBB454_1239
; %bb.1236:                             ;   in Loop: Header=BB454_799 Depth=1
	v_and_b32_e32 v9, 7, v9
	v_lshrrev_b32_e32 v6, 3, v7
	s_mov_b32 s15, exec_lo
	v_cmpx_gt_u32_e32 8, v7
; %bb.1237:                             ;   in Loop: Header=BB454_799 Depth=1
	s_delay_alu instid0(VALU_DEP_3) | instskip(NEXT) | instid1(VALU_DEP_1)
	v_clz_i32_u32_e32 v6, v9
	v_min_u32_e32 v6, 32, v6
	s_delay_alu instid0(VALU_DEP_1) | instskip(SKIP_1) | instid1(VALU_DEP_2)
	v_subrev_nc_u32_e32 v7, 28, v6
	v_sub_nc_u32_e32 v6, 29, v6
	v_lshlrev_b64 v[116:117], v7, v[9:10]
	s_delay_alu instid0(VALU_DEP_1)
	v_and_b32_e32 v9, 7, v116
; %bb.1238:                             ;   in Loop: Header=BB454_799 Depth=1
	s_or_b32 exec_lo, exec_lo, s15
	v_lshlrev_b32_e32 v7, 16, v2
	s_delay_alu instid0(VALU_DEP_2) | instskip(SKIP_1) | instid1(VALU_DEP_3)
	v_lshlrev_b32_e32 v9, 20, v9
	v_lshl_add_u32 v6, v6, 23, 0x3c000000
	v_and_b32_e32 v7, 0x80000000, v7
	s_delay_alu instid0(VALU_DEP_1)
	v_or3_b32 v6, v9, v7, v6
.LBB454_1239:                           ;   in Loop: Header=BB454_799 Depth=1
	s_or_b32 exec_lo, exec_lo, s13
.LBB454_1240:                           ;   in Loop: Header=BB454_799 Depth=1
	s_delay_alu instid0(SALU_CYCLE_1)
	s_or_b32 exec_lo, exec_lo, s12
.LBB454_1241:                           ;   in Loop: Header=BB454_799 Depth=1
	s_delay_alu instid0(SALU_CYCLE_1) | instskip(NEXT) | instid1(VALU_DEP_1)
	s_or_b32 exec_lo, exec_lo, s9
	v_mul_f32_e32 v6, v26, v6
                                        ; implicit-def: $vgpr116
	s_delay_alu instid0(VALU_DEP_1) | instskip(NEXT) | instid1(VALU_DEP_1)
	v_and_b32_e32 v7, 0x7f800000, v6
	v_cmp_ne_u32_e64 s0, 0x7f800000, v7
	s_delay_alu instid0(VALU_DEP_1) | instskip(NEXT) | instid1(SALU_CYCLE_1)
	s_and_saveexec_b32 s9, s0
	s_xor_b32 s0, exec_lo, s9
; %bb.1242:                             ;   in Loop: Header=BB454_799 Depth=1
	v_bfe_u32 v7, v6, 16, 1
	s_delay_alu instid0(VALU_DEP_1)
	v_add3_u32 v116, v6, v7, 0x7fff
                                        ; implicit-def: $vgpr6
; %bb.1243:                             ;   in Loop: Header=BB454_799 Depth=1
	s_and_not1_saveexec_b32 s9, s0
; %bb.1244:                             ;   in Loop: Header=BB454_799 Depth=1
	v_and_b32_e32 v7, 0xffff, v6
	v_or_b32_e32 v9, 0x10000, v6
	s_delay_alu instid0(VALU_DEP_2) | instskip(NEXT) | instid1(VALU_DEP_1)
	v_cmp_eq_u32_e64 s0, 0, v7
	v_cndmask_b32_e64 v116, v9, v6, s0
; %bb.1245:                             ;   in Loop: Header=BB454_799 Depth=1
	s_or_b32 exec_lo, exec_lo, s9
	v_lshrrev_b32_e32 v6, 16, v2
	v_mov_b32_e32 v7, 0
	s_mov_b32 s9, exec_lo
	s_delay_alu instid0(VALU_DEP_2) | instskip(NEXT) | instid1(VALU_DEP_1)
	v_and_b32_e32 v9, 0xff, v6
	v_cmpx_ne_u16_e32 0, v9
	s_cbranch_execz .LBB454_1253
; %bb.1246:                             ;   in Loop: Header=BB454_799 Depth=1
	v_bfrev_b32_e32 v7, 1
	s_mov_b32 s12, exec_lo
	v_cmpx_ne_u16_e32 0x80, v9
	s_cbranch_execz .LBB454_1252
; %bb.1247:                             ;   in Loop: Header=BB454_799 Depth=1
	v_bfe_u32 v117, v2, 16, 7
	v_mov_b32_e32 v7, 0x7f800001
	s_mov_b32 s13, exec_lo
	s_delay_alu instid0(VALU_DEP_2)
	v_cmpx_ne_u32_e32 0x7f, v117
	s_cbranch_execz .LBB454_1251
; %bb.1248:                             ;   in Loop: Header=BB454_799 Depth=1
	v_and_b32_e32 v9, 7, v6
	v_lshrrev_b32_e32 v7, 3, v117
	s_mov_b32 s15, exec_lo
	v_cmpx_gt_u32_e32 8, v117
; %bb.1249:                             ;   in Loop: Header=BB454_799 Depth=1
	s_delay_alu instid0(VALU_DEP_3) | instskip(NEXT) | instid1(VALU_DEP_1)
	v_clz_i32_u32_e32 v7, v9
	v_min_u32_e32 v7, 32, v7
	s_delay_alu instid0(VALU_DEP_1) | instskip(SKIP_1) | instid1(VALU_DEP_2)
	v_subrev_nc_u32_e32 v117, 28, v7
	v_sub_nc_u32_e32 v7, 29, v7
	v_lshlrev_b64 v[117:118], v117, v[9:10]
	s_delay_alu instid0(VALU_DEP_1)
	v_and_b32_e32 v9, 7, v117
; %bb.1250:                             ;   in Loop: Header=BB454_799 Depth=1
	s_or_b32 exec_lo, exec_lo, s15
	v_lshlrev_b32_e32 v6, 24, v6
	s_delay_alu instid0(VALU_DEP_2) | instskip(SKIP_1) | instid1(VALU_DEP_3)
	v_lshlrev_b32_e32 v9, 20, v9
	v_lshl_add_u32 v7, v7, 23, 0x3c000000
	v_and_b32_e32 v6, 0x80000000, v6
	s_delay_alu instid0(VALU_DEP_1)
	v_or3_b32 v7, v9, v6, v7
.LBB454_1251:                           ;   in Loop: Header=BB454_799 Depth=1
	s_or_b32 exec_lo, exec_lo, s13
.LBB454_1252:                           ;   in Loop: Header=BB454_799 Depth=1
	s_delay_alu instid0(SALU_CYCLE_1)
	s_or_b32 exec_lo, exec_lo, s12
.LBB454_1253:                           ;   in Loop: Header=BB454_799 Depth=1
	s_delay_alu instid0(SALU_CYCLE_1) | instskip(NEXT) | instid1(VALU_DEP_1)
	s_or_b32 exec_lo, exec_lo, s9
	v_mul_f32_e32 v6, v26, v7
                                        ; implicit-def: $vgpr117
	s_delay_alu instid0(VALU_DEP_1) | instskip(NEXT) | instid1(VALU_DEP_1)
	v_and_b32_e32 v7, 0x7f800000, v6
	v_cmp_ne_u32_e64 s0, 0x7f800000, v7
	s_delay_alu instid0(VALU_DEP_1) | instskip(NEXT) | instid1(SALU_CYCLE_1)
	s_and_saveexec_b32 s9, s0
	s_xor_b32 s0, exec_lo, s9
; %bb.1254:                             ;   in Loop: Header=BB454_799 Depth=1
	v_bfe_u32 v7, v6, 16, 1
	s_delay_alu instid0(VALU_DEP_1)
	v_add3_u32 v117, v6, v7, 0x7fff
                                        ; implicit-def: $vgpr6
; %bb.1255:                             ;   in Loop: Header=BB454_799 Depth=1
	s_and_not1_saveexec_b32 s9, s0
; %bb.1256:                             ;   in Loop: Header=BB454_799 Depth=1
	v_and_b32_e32 v7, 0xffff, v6
	v_or_b32_e32 v9, 0x10000, v6
	s_delay_alu instid0(VALU_DEP_2) | instskip(NEXT) | instid1(VALU_DEP_1)
	v_cmp_eq_u32_e64 s0, 0, v7
	v_cndmask_b32_e64 v117, v9, v6, s0
; %bb.1257:                             ;   in Loop: Header=BB454_799 Depth=1
	s_or_b32 exec_lo, exec_lo, s9
	v_mov_b32_e32 v7, 0
	s_mov_b32 s9, exec_lo
	v_cmpx_lt_u32_e32 0xffffff, v2
	s_cbranch_execz .LBB454_1265
; %bb.1258:                             ;   in Loop: Header=BB454_799 Depth=1
	v_lshrrev_b32_e32 v6, 24, v2
	v_bfrev_b32_e32 v7, 1
	s_mov_b32 s12, exec_lo
	s_delay_alu instid0(VALU_DEP_2)
	v_cmpx_ne_u32_e32 0x80, v6
	s_cbranch_execz .LBB454_1264
; %bb.1259:                             ;   in Loop: Header=BB454_799 Depth=1
	v_bfe_u32 v118, v2, 24, 7
	v_mov_b32_e32 v7, 0x7f800001
	s_mov_b32 s13, exec_lo
	s_delay_alu instid0(VALU_DEP_2)
	v_cmpx_ne_u32_e32 0x7f, v118
	s_cbranch_execz .LBB454_1263
; %bb.1260:                             ;   in Loop: Header=BB454_799 Depth=1
	v_and_b32_e32 v9, 7, v6
	v_lshrrev_b32_e32 v7, 3, v118
	s_mov_b32 s15, exec_lo
	v_cmpx_gt_u32_e32 8, v118
; %bb.1261:                             ;   in Loop: Header=BB454_799 Depth=1
	s_delay_alu instid0(VALU_DEP_3) | instskip(NEXT) | instid1(VALU_DEP_1)
	v_clz_i32_u32_e32 v7, v9
	v_min_u32_e32 v7, 32, v7
	s_delay_alu instid0(VALU_DEP_1) | instskip(SKIP_1) | instid1(VALU_DEP_2)
	v_subrev_nc_u32_e32 v118, 28, v7
	v_sub_nc_u32_e32 v7, 29, v7
	v_lshlrev_b64 v[118:119], v118, v[9:10]
	s_delay_alu instid0(VALU_DEP_1)
	v_and_b32_e32 v9, 7, v118
; %bb.1262:                             ;   in Loop: Header=BB454_799 Depth=1
	s_or_b32 exec_lo, exec_lo, s15
	v_lshlrev_b32_e32 v6, 24, v6
	s_delay_alu instid0(VALU_DEP_2) | instskip(SKIP_1) | instid1(VALU_DEP_3)
	v_lshlrev_b32_e32 v9, 20, v9
	v_lshl_add_u32 v7, v7, 23, 0x3c000000
	v_and_b32_e32 v6, 0x80000000, v6
	s_delay_alu instid0(VALU_DEP_1)
	v_or3_b32 v7, v9, v6, v7
.LBB454_1263:                           ;   in Loop: Header=BB454_799 Depth=1
	s_or_b32 exec_lo, exec_lo, s13
.LBB454_1264:                           ;   in Loop: Header=BB454_799 Depth=1
	s_delay_alu instid0(SALU_CYCLE_1)
	s_or_b32 exec_lo, exec_lo, s12
.LBB454_1265:                           ;   in Loop: Header=BB454_799 Depth=1
	s_delay_alu instid0(SALU_CYCLE_1) | instskip(NEXT) | instid1(VALU_DEP_1)
	s_or_b32 exec_lo, exec_lo, s9
	v_mul_f32_e32 v6, v26, v7
                                        ; implicit-def: $vgpr118
	s_delay_alu instid0(VALU_DEP_1) | instskip(NEXT) | instid1(VALU_DEP_1)
	v_and_b32_e32 v7, 0x7f800000, v6
	v_cmp_ne_u32_e64 s0, 0x7f800000, v7
	s_delay_alu instid0(VALU_DEP_1) | instskip(NEXT) | instid1(SALU_CYCLE_1)
	s_and_saveexec_b32 s9, s0
	s_xor_b32 s0, exec_lo, s9
; %bb.1266:                             ;   in Loop: Header=BB454_799 Depth=1
	v_bfe_u32 v7, v6, 16, 1
	s_delay_alu instid0(VALU_DEP_1)
	v_add3_u32 v118, v6, v7, 0x7fff
                                        ; implicit-def: $vgpr6
; %bb.1267:                             ;   in Loop: Header=BB454_799 Depth=1
	s_and_not1_saveexec_b32 s9, s0
; %bb.1268:                             ;   in Loop: Header=BB454_799 Depth=1
	v_and_b32_e32 v7, 0xffff, v6
	v_or_b32_e32 v9, 0x10000, v6
	s_delay_alu instid0(VALU_DEP_2) | instskip(NEXT) | instid1(VALU_DEP_1)
	v_cmp_eq_u32_e64 s0, 0, v7
	v_cndmask_b32_e64 v118, v9, v6, s0
; %bb.1269:                             ;   in Loop: Header=BB454_799 Depth=1
	s_or_b32 exec_lo, exec_lo, s9
	v_dual_mov_b32 v6, 0 :: v_dual_and_b32 v7, 0xff, v3
	v_mov_b32_e32 v9, v3
	s_mov_b32 s9, exec_lo
	s_delay_alu instid0(VALU_DEP_2)
	v_cmpx_ne_u16_e32 0, v7
	s_cbranch_execz .LBB454_1277
; %bb.1270:                             ;   in Loop: Header=BB454_799 Depth=1
	v_bfrev_b32_e32 v6, 1
	s_mov_b32 s12, exec_lo
	v_cmpx_ne_u16_e32 0x80, v7
	s_cbranch_execz .LBB454_1276
; %bb.1271:                             ;   in Loop: Header=BB454_799 Depth=1
	v_and_b32_e32 v7, 0x7f, v3
	v_mov_b32_e32 v6, 0x7f800001
	s_mov_b32 s13, exec_lo
	s_delay_alu instid0(VALU_DEP_2)
	v_cmpx_ne_u32_e32 0x7f, v7
	s_cbranch_execz .LBB454_1275
; %bb.1272:                             ;   in Loop: Header=BB454_799 Depth=1
	v_lshrrev_b32_e32 v119, 3, v7
	v_cmp_gt_u32_e64 s0, 8, v7
	v_dual_mov_b32 v6, v9 :: v_dual_mov_b32 v7, v10
	s_delay_alu instid0(VALU_DEP_2)
	s_and_saveexec_b32 s15, s0
; %bb.1273:                             ;   in Loop: Header=BB454_799 Depth=1
	v_and_b32_e32 v6, 7, v3
	s_delay_alu instid0(VALU_DEP_1) | instskip(NEXT) | instid1(VALU_DEP_1)
	v_clz_i32_u32_e32 v6, v6
	v_min_u32_e32 v119, 32, v6
	s_delay_alu instid0(VALU_DEP_1) | instskip(SKIP_1) | instid1(VALU_DEP_2)
	v_subrev_nc_u32_e32 v6, 28, v119
	v_sub_nc_u32_e32 v119, 29, v119
	v_lshlrev_b64 v[6:7], v6, v[9:10]
; %bb.1274:                             ;   in Loop: Header=BB454_799 Depth=1
	s_or_b32 exec_lo, exec_lo, s15
	s_delay_alu instid0(VALU_DEP_1) | instskip(SKIP_2) | instid1(VALU_DEP_3)
	v_lshlrev_b32_e32 v6, 20, v6
	v_lshlrev_b32_e32 v7, 24, v9
	v_lshl_add_u32 v119, v119, 23, 0x3c000000
	v_and_b32_e32 v6, 0x700000, v6
	s_delay_alu instid0(VALU_DEP_3) | instskip(NEXT) | instid1(VALU_DEP_1)
	v_and_b32_e32 v7, 0x80000000, v7
	v_or3_b32 v6, v6, v7, v119
.LBB454_1275:                           ;   in Loop: Header=BB454_799 Depth=1
	s_or_b32 exec_lo, exec_lo, s13
.LBB454_1276:                           ;   in Loop: Header=BB454_799 Depth=1
	s_delay_alu instid0(SALU_CYCLE_1)
	s_or_b32 exec_lo, exec_lo, s12
.LBB454_1277:                           ;   in Loop: Header=BB454_799 Depth=1
	s_delay_alu instid0(SALU_CYCLE_1) | instskip(NEXT) | instid1(VALU_DEP_1)
	s_or_b32 exec_lo, exec_lo, s9
	v_mul_f32_e32 v6, v26, v6
                                        ; implicit-def: $vgpr119
	s_delay_alu instid0(VALU_DEP_1) | instskip(NEXT) | instid1(VALU_DEP_1)
	v_and_b32_e32 v7, 0x7f800000, v6
	v_cmp_ne_u32_e64 s0, 0x7f800000, v7
	s_delay_alu instid0(VALU_DEP_1) | instskip(NEXT) | instid1(SALU_CYCLE_1)
	s_and_saveexec_b32 s9, s0
	s_xor_b32 s0, exec_lo, s9
; %bb.1278:                             ;   in Loop: Header=BB454_799 Depth=1
	v_bfe_u32 v7, v6, 16, 1
	s_delay_alu instid0(VALU_DEP_1)
	v_add3_u32 v119, v6, v7, 0x7fff
                                        ; implicit-def: $vgpr6
; %bb.1279:                             ;   in Loop: Header=BB454_799 Depth=1
	s_and_not1_saveexec_b32 s9, s0
; %bb.1280:                             ;   in Loop: Header=BB454_799 Depth=1
	v_and_b32_e32 v7, 0xffff, v6
	v_or_b32_e32 v119, 0x10000, v6
	s_delay_alu instid0(VALU_DEP_2) | instskip(NEXT) | instid1(VALU_DEP_1)
	v_cmp_eq_u32_e64 s0, 0, v7
	v_cndmask_b32_e64 v119, v119, v6, s0
; %bb.1281:                             ;   in Loop: Header=BB454_799 Depth=1
	s_or_b32 exec_lo, exec_lo, s9
	v_lshrrev_b16 v7, 8, v9
	v_mov_b32_e32 v6, 0
	s_mov_b32 s9, exec_lo
	s_delay_alu instid0(VALU_DEP_2)
	v_cmpx_ne_u16_e32 0, v7
	s_cbranch_execz .LBB454_1289
; %bb.1282:                             ;   in Loop: Header=BB454_799 Depth=1
	v_bfrev_b32_e32 v6, 1
	s_mov_b32 s12, exec_lo
	v_cmpx_ne_u16_e32 0x80, v7
	s_cbranch_execz .LBB454_1288
; %bb.1283:                             ;   in Loop: Header=BB454_799 Depth=1
	v_and_b32_e32 v7, 0xffff, v7
	v_mov_b32_e32 v6, 0x7f800001
	s_mov_b32 s13, exec_lo
	s_delay_alu instid0(VALU_DEP_2) | instskip(NEXT) | instid1(VALU_DEP_1)
	v_and_b32_e32 v129, 0x7f, v7
	v_cmpx_ne_u32_e32 0x7f, v129
	s_cbranch_execz .LBB454_1287
; %bb.1284:                             ;   in Loop: Header=BB454_799 Depth=1
	v_dual_mov_b32 v7, v10 :: v_dual_and_b32 v6, 7, v7
	v_lshrrev_b32_e32 v128, 3, v129
	s_mov_b32 s15, exec_lo
	v_cmpx_gt_u32_e32 8, v129
; %bb.1285:                             ;   in Loop: Header=BB454_799 Depth=1
	s_delay_alu instid0(VALU_DEP_3) | instskip(NEXT) | instid1(VALU_DEP_1)
	v_clz_i32_u32_e32 v128, v6
	v_min_u32_e32 v128, 32, v128
	s_delay_alu instid0(VALU_DEP_1) | instskip(SKIP_1) | instid1(VALU_DEP_2)
	v_subrev_nc_u32_e32 v129, 28, v128
	v_sub_nc_u32_e32 v128, 29, v128
	v_lshlrev_b64 v[6:7], v129, v[6:7]
	s_delay_alu instid0(VALU_DEP_1)
	v_and_b32_e32 v6, 7, v6
; %bb.1286:                             ;   in Loop: Header=BB454_799 Depth=1
	s_or_b32 exec_lo, exec_lo, s15
	v_lshlrev_b32_e32 v7, 16, v9
	s_delay_alu instid0(VALU_DEP_2) | instskip(SKIP_1) | instid1(VALU_DEP_3)
	v_lshlrev_b32_e32 v6, 20, v6
	v_lshl_add_u32 v9, v128, 23, 0x3c000000
	v_and_b32_e32 v7, 0x80000000, v7
	s_delay_alu instid0(VALU_DEP_1)
	v_or3_b32 v6, v6, v7, v9
.LBB454_1287:                           ;   in Loop: Header=BB454_799 Depth=1
	s_or_b32 exec_lo, exec_lo, s13
.LBB454_1288:                           ;   in Loop: Header=BB454_799 Depth=1
	s_delay_alu instid0(SALU_CYCLE_1)
	s_or_b32 exec_lo, exec_lo, s12
.LBB454_1289:                           ;   in Loop: Header=BB454_799 Depth=1
	s_delay_alu instid0(SALU_CYCLE_1) | instskip(NEXT) | instid1(VALU_DEP_1)
	s_or_b32 exec_lo, exec_lo, s9
	v_mul_f32_e32 v7, v26, v6
	s_delay_alu instid0(VALU_DEP_1) | instskip(NEXT) | instid1(VALU_DEP_1)
	v_and_b32_e32 v6, 0x7f800000, v7
	v_cmp_ne_u32_e64 s0, 0x7f800000, v6
                                        ; implicit-def: $vgpr6
	s_delay_alu instid0(VALU_DEP_1) | instskip(NEXT) | instid1(SALU_CYCLE_1)
	s_and_saveexec_b32 s9, s0
	s_xor_b32 s0, exec_lo, s9
; %bb.1290:                             ;   in Loop: Header=BB454_799 Depth=1
	v_bfe_u32 v6, v7, 16, 1
	s_delay_alu instid0(VALU_DEP_1)
	v_add3_u32 v6, v7, v6, 0x7fff
                                        ; implicit-def: $vgpr7
; %bb.1291:                             ;   in Loop: Header=BB454_799 Depth=1
	s_and_not1_saveexec_b32 s9, s0
; %bb.1292:                             ;   in Loop: Header=BB454_799 Depth=1
	v_and_b32_e32 v6, 0xffff, v7
	v_or_b32_e32 v9, 0x10000, v7
	s_delay_alu instid0(VALU_DEP_2) | instskip(NEXT) | instid1(VALU_DEP_1)
	v_cmp_eq_u32_e64 s0, 0, v6
	v_cndmask_b32_e64 v6, v9, v7, s0
; %bb.1293:                             ;   in Loop: Header=BB454_799 Depth=1
	s_or_b32 exec_lo, exec_lo, s9
	v_lshrrev_b32_e32 v7, 16, v3
	s_mov_b32 s9, exec_lo
	s_delay_alu instid0(VALU_DEP_1) | instskip(NEXT) | instid1(VALU_DEP_1)
	v_dual_mov_b32 v9, 0 :: v_dual_and_b32 v128, 0xff, v7
	v_cmpx_ne_u16_e64 0, v128
	s_cbranch_execz .LBB454_1301
; %bb.1294:                             ;   in Loop: Header=BB454_799 Depth=1
	v_bfrev_b32_e32 v9, 1
	s_mov_b32 s12, exec_lo
	v_cmpx_ne_u16_e64 0x80, v128
	s_cbranch_execz .LBB454_1300
; %bb.1295:                             ;   in Loop: Header=BB454_799 Depth=1
	v_bfe_u32 v129, v3, 16, 7
	v_mov_b32_e32 v9, 0x7f800001
	s_mov_b32 s13, exec_lo
	s_delay_alu instid0(VALU_DEP_2)
	v_cmpx_ne_u32_e32 0x7f, v129
	s_cbranch_execz .LBB454_1299
; %bb.1296:                             ;   in Loop: Header=BB454_799 Depth=1
	v_and_b32_e32 v9, 7, v7
	v_lshrrev_b32_e32 v128, 3, v129
	s_mov_b32 s15, exec_lo
	v_cmpx_gt_u32_e32 8, v129
; %bb.1297:                             ;   in Loop: Header=BB454_799 Depth=1
	s_delay_alu instid0(VALU_DEP_3) | instskip(NEXT) | instid1(VALU_DEP_1)
	v_clz_i32_u32_e32 v128, v9
	v_min_u32_e32 v128, 32, v128
	s_delay_alu instid0(VALU_DEP_1) | instskip(SKIP_1) | instid1(VALU_DEP_2)
	v_subrev_nc_u32_e32 v129, 28, v128
	v_sub_nc_u32_e32 v128, 29, v128
	v_lshlrev_b64 v[129:130], v129, v[9:10]
	s_delay_alu instid0(VALU_DEP_1)
	v_and_b32_e32 v9, 7, v129
; %bb.1298:                             ;   in Loop: Header=BB454_799 Depth=1
	s_or_b32 exec_lo, exec_lo, s15
	v_lshlrev_b32_e32 v7, 24, v7
	s_delay_alu instid0(VALU_DEP_2) | instskip(SKIP_1) | instid1(VALU_DEP_3)
	v_lshlrev_b32_e32 v9, 20, v9
	v_lshl_add_u32 v128, v128, 23, 0x3c000000
	v_and_b32_e32 v7, 0x80000000, v7
	s_delay_alu instid0(VALU_DEP_1)
	v_or3_b32 v9, v9, v7, v128
.LBB454_1299:                           ;   in Loop: Header=BB454_799 Depth=1
	s_or_b32 exec_lo, exec_lo, s13
.LBB454_1300:                           ;   in Loop: Header=BB454_799 Depth=1
	s_delay_alu instid0(SALU_CYCLE_1)
	s_or_b32 exec_lo, exec_lo, s12
.LBB454_1301:                           ;   in Loop: Header=BB454_799 Depth=1
	s_delay_alu instid0(SALU_CYCLE_1) | instskip(NEXT) | instid1(VALU_DEP_1)
	s_or_b32 exec_lo, exec_lo, s9
	v_mul_f32_e32 v7, v26, v9
                                        ; implicit-def: $vgpr128
	s_delay_alu instid0(VALU_DEP_1) | instskip(NEXT) | instid1(VALU_DEP_1)
	v_and_b32_e32 v9, 0x7f800000, v7
	v_cmp_ne_u32_e64 s0, 0x7f800000, v9
	s_delay_alu instid0(VALU_DEP_1) | instskip(NEXT) | instid1(SALU_CYCLE_1)
	s_and_saveexec_b32 s9, s0
	s_xor_b32 s0, exec_lo, s9
; %bb.1302:                             ;   in Loop: Header=BB454_799 Depth=1
	v_bfe_u32 v9, v7, 16, 1
	s_delay_alu instid0(VALU_DEP_1)
	v_add3_u32 v128, v7, v9, 0x7fff
                                        ; implicit-def: $vgpr7
; %bb.1303:                             ;   in Loop: Header=BB454_799 Depth=1
	s_and_not1_saveexec_b32 s9, s0
; %bb.1304:                             ;   in Loop: Header=BB454_799 Depth=1
	v_and_b32_e32 v9, 0xffff, v7
	v_or_b32_e32 v128, 0x10000, v7
	s_delay_alu instid0(VALU_DEP_2) | instskip(NEXT) | instid1(VALU_DEP_1)
	v_cmp_eq_u32_e64 s0, 0, v9
	v_cndmask_b32_e64 v128, v128, v7, s0
; %bb.1305:                             ;   in Loop: Header=BB454_799 Depth=1
	s_or_b32 exec_lo, exec_lo, s9
	v_mov_b32_e32 v7, 0
	s_mov_b32 s9, exec_lo
	v_cmpx_lt_u64_e64 s[2:3], v[2:3]
	s_cbranch_execz .LBB454_1313
; %bb.1306:                             ;   in Loop: Header=BB454_799 Depth=1
	v_lshrrev_b32_e32 v2, 24, v3
	v_bfrev_b32_e32 v7, 1
	s_mov_b32 s12, exec_lo
	s_delay_alu instid0(VALU_DEP_2)
	v_cmpx_ne_u32_e32 0x80, v2
	s_cbranch_execz .LBB454_1312
; %bb.1307:                             ;   in Loop: Header=BB454_799 Depth=1
	v_bfe_u32 v129, v3, 24, 7
	v_mov_b32_e32 v7, 0x7f800001
	s_mov_b32 s13, exec_lo
	s_delay_alu instid0(VALU_DEP_2)
	v_cmpx_ne_u32_e32 0x7f, v129
	s_cbranch_execz .LBB454_1311
; %bb.1308:                             ;   in Loop: Header=BB454_799 Depth=1
	v_and_b32_e32 v9, 7, v2
	v_lshrrev_b32_e32 v3, 3, v129
	s_mov_b32 s15, exec_lo
	v_cmpx_gt_u32_e32 8, v129
; %bb.1309:                             ;   in Loop: Header=BB454_799 Depth=1
	s_delay_alu instid0(VALU_DEP_3) | instskip(NEXT) | instid1(VALU_DEP_1)
	v_clz_i32_u32_e32 v3, v9
	v_min_u32_e32 v3, 32, v3
	s_delay_alu instid0(VALU_DEP_1) | instskip(SKIP_1) | instid1(VALU_DEP_2)
	v_subrev_nc_u32_e32 v7, 28, v3
	v_sub_nc_u32_e32 v3, 29, v3
	v_lshlrev_b64 v[129:130], v7, v[9:10]
	s_delay_alu instid0(VALU_DEP_1)
	v_and_b32_e32 v9, 7, v129
; %bb.1310:                             ;   in Loop: Header=BB454_799 Depth=1
	s_or_b32 exec_lo, exec_lo, s15
	v_lshlrev_b32_e32 v2, 24, v2
	s_delay_alu instid0(VALU_DEP_2) | instskip(SKIP_1) | instid1(VALU_DEP_3)
	v_lshlrev_b32_e32 v7, 20, v9
	v_lshl_add_u32 v3, v3, 23, 0x3c000000
	v_and_b32_e32 v2, 0x80000000, v2
	s_delay_alu instid0(VALU_DEP_1)
	v_or3_b32 v7, v7, v2, v3
.LBB454_1311:                           ;   in Loop: Header=BB454_799 Depth=1
	s_or_b32 exec_lo, exec_lo, s13
.LBB454_1312:                           ;   in Loop: Header=BB454_799 Depth=1
	s_delay_alu instid0(SALU_CYCLE_1)
	s_or_b32 exec_lo, exec_lo, s12
.LBB454_1313:                           ;   in Loop: Header=BB454_799 Depth=1
	s_delay_alu instid0(SALU_CYCLE_1) | instskip(NEXT) | instid1(VALU_DEP_1)
	s_or_b32 exec_lo, exec_lo, s9
	v_mul_f32_e32 v3, v26, v7
	s_delay_alu instid0(VALU_DEP_1) | instskip(NEXT) | instid1(VALU_DEP_1)
	v_and_b32_e32 v2, 0x7f800000, v3
	v_cmp_ne_u32_e64 s0, 0x7f800000, v2
                                        ; implicit-def: $vgpr2
	s_delay_alu instid0(VALU_DEP_1) | instskip(NEXT) | instid1(SALU_CYCLE_1)
	s_and_saveexec_b32 s9, s0
	s_xor_b32 s0, exec_lo, s9
; %bb.1314:                             ;   in Loop: Header=BB454_799 Depth=1
	v_bfe_u32 v2, v3, 16, 1
	s_delay_alu instid0(VALU_DEP_1)
	v_add3_u32 v2, v3, v2, 0x7fff
                                        ; implicit-def: $vgpr3
; %bb.1315:                             ;   in Loop: Header=BB454_799 Depth=1
	s_and_not1_saveexec_b32 s9, s0
; %bb.1316:                             ;   in Loop: Header=BB454_799 Depth=1
	v_and_b32_e32 v2, 0xffff, v3
	v_or_b32_e32 v7, 0x10000, v3
	s_delay_alu instid0(VALU_DEP_2) | instskip(NEXT) | instid1(VALU_DEP_1)
	v_cmp_eq_u32_e64 s0, 0, v2
	v_cndmask_b32_e64 v2, v7, v3, s0
; %bb.1317:                             ;   in Loop: Header=BB454_799 Depth=1
	s_or_b32 exec_lo, exec_lo, s9
	v_lshrrev_b32_e32 v6, 16, v6
	v_lshrrev_b32_e32 v7, 16, v119
	;; [unrolled: 1-line block ×8, first 2 shown]
	s_and_saveexec_b32 s9, vcc_lo
	s_cbranch_execz .LBB454_1319
; %bb.1318:                             ;   in Loop: Header=BB454_799 Depth=1
	v_cmp_lt_i32_e64 s0, v52, v35
	s_delay_alu instid0(VALU_DEP_1) | instskip(SKIP_1) | instid1(VALU_DEP_1)
	v_cndmask_b32_e64 v115, 0, v115, s0
	v_cmp_lt_i32_e64 s0, v66, v35
	v_cndmask_b32_e64 v116, 0, v116, s0
	v_cmp_lt_i32_e64 s0, v65, v35
	s_delay_alu instid0(VALU_DEP_1) | instskip(SKIP_1) | instid1(VALU_DEP_1)
	v_cndmask_b32_e64 v117, 0, v117, s0
	v_cmp_lt_i32_e64 s0, v64, v35
	v_cndmask_b32_e64 v9, 0, v9, s0
	;; [unrolled: 5-line block ×4, first 2 shown]
.LBB454_1319:                           ;   in Loop: Header=BB454_799 Depth=1
	s_or_b32 exec_lo, exec_lo, s9
	v_lshlrev_b32_e32 v115, 16, v115
	s_delay_alu instid0(VALU_DEP_1) | instskip(NEXT) | instid1(VALU_DEP_1)
	v_mul_f32_e32 v118, v67, v115
	v_and_b32_e32 v115, 0x7f800000, v118
	s_delay_alu instid0(VALU_DEP_1) | instskip(NEXT) | instid1(VALU_DEP_1)
	v_cmp_ne_u32_e64 s0, 0x7f800000, v115
                                        ; implicit-def: $vgpr115
	s_and_saveexec_b32 s9, s0
	s_delay_alu instid0(SALU_CYCLE_1)
	s_xor_b32 s0, exec_lo, s9
; %bb.1320:                             ;   in Loop: Header=BB454_799 Depth=1
	v_bfe_u32 v115, v118, 16, 1
	s_delay_alu instid0(VALU_DEP_1)
	v_add3_u32 v115, v118, v115, 0x7fff
                                        ; implicit-def: $vgpr118
; %bb.1321:                             ;   in Loop: Header=BB454_799 Depth=1
	s_and_not1_saveexec_b32 s9, s0
; %bb.1322:                             ;   in Loop: Header=BB454_799 Depth=1
	v_and_b32_e32 v115, 0xffff, v118
	v_or_b32_e32 v119, 0x10000, v118
	s_delay_alu instid0(VALU_DEP_2) | instskip(NEXT) | instid1(VALU_DEP_1)
	v_cmp_eq_u32_e64 s0, 0, v115
	v_cndmask_b32_e64 v115, v119, v118, s0
; %bb.1323:                             ;   in Loop: Header=BB454_799 Depth=1
	s_or_b32 exec_lo, exec_lo, s9
	v_lshlrev_b32_e32 v116, 16, v116
	s_delay_alu instid0(VALU_DEP_1) | instskip(NEXT) | instid1(VALU_DEP_1)
	v_mul_f32_e32 v118, v68, v116
	v_and_b32_e32 v116, 0x7f800000, v118
	s_delay_alu instid0(VALU_DEP_1) | instskip(NEXT) | instid1(VALU_DEP_1)
	v_cmp_ne_u32_e64 s0, 0x7f800000, v116
                                        ; implicit-def: $vgpr116
	s_and_saveexec_b32 s9, s0
	s_delay_alu instid0(SALU_CYCLE_1)
	s_xor_b32 s0, exec_lo, s9
; %bb.1324:                             ;   in Loop: Header=BB454_799 Depth=1
	v_bfe_u32 v116, v118, 16, 1
	s_delay_alu instid0(VALU_DEP_1)
	v_add3_u32 v116, v118, v116, 0x7fff
                                        ; implicit-def: $vgpr118
; %bb.1325:                             ;   in Loop: Header=BB454_799 Depth=1
	s_and_not1_saveexec_b32 s9, s0
; %bb.1326:                             ;   in Loop: Header=BB454_799 Depth=1
	v_and_b32_e32 v116, 0xffff, v118
	v_or_b32_e32 v119, 0x10000, v118
	s_delay_alu instid0(VALU_DEP_2) | instskip(NEXT) | instid1(VALU_DEP_1)
	v_cmp_eq_u32_e64 s0, 0, v116
	v_cndmask_b32_e64 v116, v119, v118, s0
; %bb.1327:                             ;   in Loop: Header=BB454_799 Depth=1
	s_or_b32 exec_lo, exec_lo, s9
	v_lshlrev_b32_e32 v117, 16, v117
	s_delay_alu instid0(VALU_DEP_1) | instskip(NEXT) | instid1(VALU_DEP_1)
	v_mul_f32_e32 v118, v69, v117
	v_and_b32_e32 v117, 0x7f800000, v118
	s_delay_alu instid0(VALU_DEP_1) | instskip(NEXT) | instid1(VALU_DEP_1)
	v_cmp_ne_u32_e64 s0, 0x7f800000, v117
                                        ; implicit-def: $vgpr117
	s_and_saveexec_b32 s9, s0
	s_delay_alu instid0(SALU_CYCLE_1)
	s_xor_b32 s0, exec_lo, s9
; %bb.1328:                             ;   in Loop: Header=BB454_799 Depth=1
	v_bfe_u32 v117, v118, 16, 1
	s_delay_alu instid0(VALU_DEP_1)
	v_add3_u32 v117, v118, v117, 0x7fff
                                        ; implicit-def: $vgpr118
; %bb.1329:                             ;   in Loop: Header=BB454_799 Depth=1
	s_and_not1_saveexec_b32 s9, s0
; %bb.1330:                             ;   in Loop: Header=BB454_799 Depth=1
	v_and_b32_e32 v117, 0xffff, v118
	v_or_b32_e32 v119, 0x10000, v118
	s_delay_alu instid0(VALU_DEP_2) | instskip(NEXT) | instid1(VALU_DEP_1)
	v_cmp_eq_u32_e64 s0, 0, v117
	v_cndmask_b32_e64 v117, v119, v118, s0
; %bb.1331:                             ;   in Loop: Header=BB454_799 Depth=1
	s_or_b32 exec_lo, exec_lo, s9
	v_lshlrev_b32_e32 v9, 16, v9
	s_delay_alu instid0(VALU_DEP_1) | instskip(NEXT) | instid1(VALU_DEP_1)
	v_mul_f32_e32 v9, v70, v9
	v_and_b32_e32 v118, 0x7f800000, v9
	s_delay_alu instid0(VALU_DEP_1) | instskip(NEXT) | instid1(VALU_DEP_1)
	v_cmp_ne_u32_e64 s0, 0x7f800000, v118
                                        ; implicit-def: $vgpr118
	s_and_saveexec_b32 s9, s0
	s_delay_alu instid0(SALU_CYCLE_1)
	s_xor_b32 s0, exec_lo, s9
; %bb.1332:                             ;   in Loop: Header=BB454_799 Depth=1
	v_bfe_u32 v118, v9, 16, 1
	s_delay_alu instid0(VALU_DEP_1)
	v_add3_u32 v118, v9, v118, 0x7fff
                                        ; implicit-def: $vgpr9
; %bb.1333:                             ;   in Loop: Header=BB454_799 Depth=1
	s_and_not1_saveexec_b32 s9, s0
; %bb.1334:                             ;   in Loop: Header=BB454_799 Depth=1
	v_and_b32_e32 v118, 0xffff, v9
	v_or_b32_e32 v119, 0x10000, v9
	s_delay_alu instid0(VALU_DEP_2) | instskip(NEXT) | instid1(VALU_DEP_1)
	v_cmp_eq_u32_e64 s0, 0, v118
	v_cndmask_b32_e64 v118, v119, v9, s0
; %bb.1335:                             ;   in Loop: Header=BB454_799 Depth=1
	s_or_b32 exec_lo, exec_lo, s9
	v_lshlrev_b32_e32 v7, 16, v7
                                        ; implicit-def: $vgpr119
	s_delay_alu instid0(VALU_DEP_1) | instskip(NEXT) | instid1(VALU_DEP_1)
	v_mul_f32_e32 v7, v71, v7
	v_and_b32_e32 v9, 0x7f800000, v7
	s_delay_alu instid0(VALU_DEP_1) | instskip(NEXT) | instid1(VALU_DEP_1)
	v_cmp_ne_u32_e64 s0, 0x7f800000, v9
	s_and_saveexec_b32 s9, s0
	s_delay_alu instid0(SALU_CYCLE_1)
	s_xor_b32 s0, exec_lo, s9
; %bb.1336:                             ;   in Loop: Header=BB454_799 Depth=1
	v_bfe_u32 v9, v7, 16, 1
	s_delay_alu instid0(VALU_DEP_1)
	v_add3_u32 v119, v7, v9, 0x7fff
                                        ; implicit-def: $vgpr7
; %bb.1337:                             ;   in Loop: Header=BB454_799 Depth=1
	s_and_not1_saveexec_b32 s9, s0
; %bb.1338:                             ;   in Loop: Header=BB454_799 Depth=1
	v_and_b32_e32 v9, 0xffff, v7
	v_or_b32_e32 v119, 0x10000, v7
	s_delay_alu instid0(VALU_DEP_2) | instskip(NEXT) | instid1(VALU_DEP_1)
	v_cmp_eq_u32_e64 s0, 0, v9
	v_cndmask_b32_e64 v119, v119, v7, s0
; %bb.1339:                             ;   in Loop: Header=BB454_799 Depth=1
	s_or_b32 exec_lo, exec_lo, s9
	v_lshlrev_b32_e32 v6, 16, v6
                                        ; implicit-def: $vgpr128
	s_delay_alu instid0(VALU_DEP_1) | instskip(NEXT) | instid1(VALU_DEP_1)
	v_mul_f32_e32 v6, v80, v6
	v_and_b32_e32 v7, 0x7f800000, v6
	s_delay_alu instid0(VALU_DEP_1) | instskip(NEXT) | instid1(VALU_DEP_1)
	v_cmp_ne_u32_e64 s0, 0x7f800000, v7
	s_and_saveexec_b32 s9, s0
	s_delay_alu instid0(SALU_CYCLE_1)
	s_xor_b32 s0, exec_lo, s9
; %bb.1340:                             ;   in Loop: Header=BB454_799 Depth=1
	v_bfe_u32 v7, v6, 16, 1
	s_delay_alu instid0(VALU_DEP_1)
	v_add3_u32 v128, v6, v7, 0x7fff
                                        ; implicit-def: $vgpr6
; %bb.1341:                             ;   in Loop: Header=BB454_799 Depth=1
	s_and_not1_saveexec_b32 s9, s0
; %bb.1342:                             ;   in Loop: Header=BB454_799 Depth=1
	v_and_b32_e32 v7, 0xffff, v6
	v_or_b32_e32 v9, 0x10000, v6
	s_delay_alu instid0(VALU_DEP_2) | instskip(NEXT) | instid1(VALU_DEP_1)
	v_cmp_eq_u32_e64 s0, 0, v7
	v_cndmask_b32_e64 v128, v9, v6, s0
; %bb.1343:                             ;   in Loop: Header=BB454_799 Depth=1
	s_or_b32 exec_lo, exec_lo, s9
	v_lshlrev_b32_e32 v3, 16, v3
                                        ; implicit-def: $vgpr129
	s_delay_alu instid0(VALU_DEP_1) | instskip(NEXT) | instid1(VALU_DEP_1)
	v_mul_f32_e32 v3, v81, v3
	v_and_b32_e32 v6, 0x7f800000, v3
	s_delay_alu instid0(VALU_DEP_1) | instskip(NEXT) | instid1(VALU_DEP_1)
	v_cmp_ne_u32_e64 s0, 0x7f800000, v6
	s_and_saveexec_b32 s9, s0
	s_delay_alu instid0(SALU_CYCLE_1)
	s_xor_b32 s0, exec_lo, s9
; %bb.1344:                             ;   in Loop: Header=BB454_799 Depth=1
	v_bfe_u32 v6, v3, 16, 1
	s_delay_alu instid0(VALU_DEP_1)
	v_add3_u32 v129, v3, v6, 0x7fff
                                        ; implicit-def: $vgpr3
; %bb.1345:                             ;   in Loop: Header=BB454_799 Depth=1
	s_and_not1_saveexec_b32 s9, s0
; %bb.1346:                             ;   in Loop: Header=BB454_799 Depth=1
	v_and_b32_e32 v6, 0xffff, v3
	v_or_b32_e32 v7, 0x10000, v3
	s_delay_alu instid0(VALU_DEP_2) | instskip(NEXT) | instid1(VALU_DEP_1)
	v_cmp_eq_u32_e64 s0, 0, v6
	v_cndmask_b32_e64 v129, v7, v3, s0
; %bb.1347:                             ;   in Loop: Header=BB454_799 Depth=1
	s_or_b32 exec_lo, exec_lo, s9
	v_lshlrev_b32_e32 v2, 16, v2
                                        ; implicit-def: $vgpr130
	s_delay_alu instid0(VALU_DEP_1) | instskip(NEXT) | instid1(VALU_DEP_1)
	v_mul_f32_e32 v2, v82, v2
	v_and_b32_e32 v3, 0x7f800000, v2
	s_delay_alu instid0(VALU_DEP_1) | instskip(NEXT) | instid1(VALU_DEP_1)
	v_cmp_ne_u32_e64 s0, 0x7f800000, v3
	s_and_saveexec_b32 s9, s0
	s_delay_alu instid0(SALU_CYCLE_1)
	s_xor_b32 s0, exec_lo, s9
; %bb.1348:                             ;   in Loop: Header=BB454_799 Depth=1
	v_bfe_u32 v3, v2, 16, 1
	s_delay_alu instid0(VALU_DEP_1)
	v_add3_u32 v130, v2, v3, 0x7fff
                                        ; implicit-def: $vgpr2
; %bb.1349:                             ;   in Loop: Header=BB454_799 Depth=1
	s_and_not1_saveexec_b32 s9, s0
; %bb.1350:                             ;   in Loop: Header=BB454_799 Depth=1
	v_and_b32_e32 v3, 0xffff, v2
	v_or_b32_e32 v6, 0x10000, v2
	s_delay_alu instid0(VALU_DEP_2) | instskip(NEXT) | instid1(VALU_DEP_1)
	v_cmp_eq_u32_e64 s0, 0, v3
	v_cndmask_b32_e64 v130, v6, v2, s0
; %bb.1351:                             ;   in Loop: Header=BB454_799 Depth=1
	s_or_b32 exec_lo, exec_lo, s9
	flat_load_b64 v[2:3], v[0:1] offset:1024
	s_mov_b32 s9, exec_lo
	s_waitcnt vmcnt(0) lgkmcnt(0)
	v_dual_mov_b32 v6, 0 :: v_dual_and_b32 v7, 0xff, v2
	s_delay_alu instid0(VALU_DEP_1)
	v_cmpx_ne_u16_e32 0, v7
	s_cbranch_execz .LBB454_1359
; %bb.1352:                             ;   in Loop: Header=BB454_799 Depth=1
	v_bfrev_b32_e32 v6, 1
	s_mov_b32 s12, exec_lo
	v_cmpx_ne_u16_e32 0x80, v7
	s_cbranch_execz .LBB454_1358
; %bb.1353:                             ;   in Loop: Header=BB454_799 Depth=1
	v_and_b32_e32 v7, 0x7f, v2
	v_mov_b32_e32 v6, 0x7f800001
	s_mov_b32 s13, exec_lo
	s_delay_alu instid0(VALU_DEP_2)
	v_cmpx_ne_u32_e32 0x7f, v7
	s_cbranch_execz .LBB454_1357
; %bb.1354:                             ;   in Loop: Header=BB454_799 Depth=1
	v_lshrrev_b32_e32 v9, 3, v7
	v_cmp_gt_u32_e64 s0, 8, v7
	v_dual_mov_b32 v7, v3 :: v_dual_mov_b32 v6, v2
	s_delay_alu instid0(VALU_DEP_2)
	s_and_saveexec_b32 s15, s0
; %bb.1355:                             ;   in Loop: Header=BB454_799 Depth=1
	v_and_b32_e32 v6, 7, v2
	s_delay_alu instid0(VALU_DEP_1) | instskip(NEXT) | instid1(VALU_DEP_1)
	v_clz_i32_u32_e32 v6, v6
	v_min_u32_e32 v9, 32, v6
	s_delay_alu instid0(VALU_DEP_1) | instskip(SKIP_1) | instid1(VALU_DEP_2)
	v_subrev_nc_u32_e32 v6, 28, v9
	v_sub_nc_u32_e32 v9, 29, v9
	v_lshlrev_b64 v[6:7], v6, v[2:3]
; %bb.1356:                             ;   in Loop: Header=BB454_799 Depth=1
	s_or_b32 exec_lo, exec_lo, s15
	s_delay_alu instid0(VALU_DEP_1) | instskip(SKIP_2) | instid1(VALU_DEP_3)
	v_lshlrev_b32_e32 v6, 20, v6
	v_lshlrev_b32_e32 v7, 24, v2
	v_lshl_add_u32 v9, v9, 23, 0x3c000000
	v_and_b32_e32 v6, 0x700000, v6
	s_delay_alu instid0(VALU_DEP_3) | instskip(NEXT) | instid1(VALU_DEP_1)
	v_and_b32_e32 v7, 0x80000000, v7
	v_or3_b32 v6, v6, v7, v9
.LBB454_1357:                           ;   in Loop: Header=BB454_799 Depth=1
	s_or_b32 exec_lo, exec_lo, s13
.LBB454_1358:                           ;   in Loop: Header=BB454_799 Depth=1
	s_delay_alu instid0(SALU_CYCLE_1)
	s_or_b32 exec_lo, exec_lo, s12
.LBB454_1359:                           ;   in Loop: Header=BB454_799 Depth=1
	s_delay_alu instid0(SALU_CYCLE_1) | instskip(NEXT) | instid1(VALU_DEP_1)
	s_or_b32 exec_lo, exec_lo, s9
	v_mul_f32_e32 v6, v26, v6
                                        ; implicit-def: $vgpr131
	s_delay_alu instid0(VALU_DEP_1) | instskip(NEXT) | instid1(VALU_DEP_1)
	v_and_b32_e32 v7, 0x7f800000, v6
	v_cmp_ne_u32_e64 s0, 0x7f800000, v7
	s_delay_alu instid0(VALU_DEP_1) | instskip(NEXT) | instid1(SALU_CYCLE_1)
	s_and_saveexec_b32 s9, s0
	s_xor_b32 s0, exec_lo, s9
; %bb.1360:                             ;   in Loop: Header=BB454_799 Depth=1
	v_bfe_u32 v7, v6, 16, 1
	s_delay_alu instid0(VALU_DEP_1)
	v_add3_u32 v131, v6, v7, 0x7fff
                                        ; implicit-def: $vgpr6
; %bb.1361:                             ;   in Loop: Header=BB454_799 Depth=1
	s_and_not1_saveexec_b32 s9, s0
; %bb.1362:                             ;   in Loop: Header=BB454_799 Depth=1
	v_and_b32_e32 v7, 0xffff, v6
	v_or_b32_e32 v9, 0x10000, v6
	s_delay_alu instid0(VALU_DEP_2) | instskip(NEXT) | instid1(VALU_DEP_1)
	v_cmp_eq_u32_e64 s0, 0, v7
	v_cndmask_b32_e64 v131, v9, v6, s0
; %bb.1363:                             ;   in Loop: Header=BB454_799 Depth=1
	s_or_b32 exec_lo, exec_lo, s9
	v_lshrrev_b16 v7, 8, v2
	v_mov_b32_e32 v6, 0
	s_mov_b32 s9, exec_lo
	s_delay_alu instid0(VALU_DEP_2)
	v_cmpx_ne_u16_e32 0, v7
	s_cbranch_execz .LBB454_1371
; %bb.1364:                             ;   in Loop: Header=BB454_799 Depth=1
	v_bfrev_b32_e32 v6, 1
	s_mov_b32 s12, exec_lo
	v_cmpx_ne_u16_e32 0x80, v7
	s_cbranch_execz .LBB454_1370
; %bb.1365:                             ;   in Loop: Header=BB454_799 Depth=1
	v_and_b32_e32 v9, 0xffff, v7
	v_mov_b32_e32 v6, 0x7f800001
	s_mov_b32 s13, exec_lo
	s_delay_alu instid0(VALU_DEP_2) | instskip(NEXT) | instid1(VALU_DEP_1)
	v_and_b32_e32 v7, 0x7f, v9
	v_cmpx_ne_u32_e32 0x7f, v7
	s_cbranch_execz .LBB454_1369
; %bb.1366:                             ;   in Loop: Header=BB454_799 Depth=1
	v_and_b32_e32 v9, 7, v9
	v_lshrrev_b32_e32 v6, 3, v7
	s_mov_b32 s15, exec_lo
	v_cmpx_gt_u32_e32 8, v7
; %bb.1367:                             ;   in Loop: Header=BB454_799 Depth=1
	s_delay_alu instid0(VALU_DEP_3) | instskip(NEXT) | instid1(VALU_DEP_1)
	v_clz_i32_u32_e32 v6, v9
	v_min_u32_e32 v6, 32, v6
	s_delay_alu instid0(VALU_DEP_1) | instskip(SKIP_1) | instid1(VALU_DEP_2)
	v_subrev_nc_u32_e32 v7, 28, v6
	v_sub_nc_u32_e32 v6, 29, v6
	v_lshlrev_b64 v[132:133], v7, v[9:10]
	s_delay_alu instid0(VALU_DEP_1)
	v_and_b32_e32 v9, 7, v132
; %bb.1368:                             ;   in Loop: Header=BB454_799 Depth=1
	s_or_b32 exec_lo, exec_lo, s15
	v_lshlrev_b32_e32 v7, 16, v2
	s_delay_alu instid0(VALU_DEP_2) | instskip(SKIP_1) | instid1(VALU_DEP_3)
	v_lshlrev_b32_e32 v9, 20, v9
	v_lshl_add_u32 v6, v6, 23, 0x3c000000
	v_and_b32_e32 v7, 0x80000000, v7
	s_delay_alu instid0(VALU_DEP_1)
	v_or3_b32 v6, v9, v7, v6
.LBB454_1369:                           ;   in Loop: Header=BB454_799 Depth=1
	s_or_b32 exec_lo, exec_lo, s13
.LBB454_1370:                           ;   in Loop: Header=BB454_799 Depth=1
	s_delay_alu instid0(SALU_CYCLE_1)
	s_or_b32 exec_lo, exec_lo, s12
.LBB454_1371:                           ;   in Loop: Header=BB454_799 Depth=1
	s_delay_alu instid0(SALU_CYCLE_1) | instskip(NEXT) | instid1(VALU_DEP_1)
	s_or_b32 exec_lo, exec_lo, s9
	v_mul_f32_e32 v6, v26, v6
                                        ; implicit-def: $vgpr132
	s_delay_alu instid0(VALU_DEP_1) | instskip(NEXT) | instid1(VALU_DEP_1)
	v_and_b32_e32 v7, 0x7f800000, v6
	v_cmp_ne_u32_e64 s0, 0x7f800000, v7
	s_delay_alu instid0(VALU_DEP_1) | instskip(NEXT) | instid1(SALU_CYCLE_1)
	s_and_saveexec_b32 s9, s0
	s_xor_b32 s0, exec_lo, s9
; %bb.1372:                             ;   in Loop: Header=BB454_799 Depth=1
	v_bfe_u32 v7, v6, 16, 1
	s_delay_alu instid0(VALU_DEP_1)
	v_add3_u32 v132, v6, v7, 0x7fff
                                        ; implicit-def: $vgpr6
; %bb.1373:                             ;   in Loop: Header=BB454_799 Depth=1
	s_and_not1_saveexec_b32 s9, s0
; %bb.1374:                             ;   in Loop: Header=BB454_799 Depth=1
	v_and_b32_e32 v7, 0xffff, v6
	v_or_b32_e32 v9, 0x10000, v6
	s_delay_alu instid0(VALU_DEP_2) | instskip(NEXT) | instid1(VALU_DEP_1)
	v_cmp_eq_u32_e64 s0, 0, v7
	v_cndmask_b32_e64 v132, v9, v6, s0
; %bb.1375:                             ;   in Loop: Header=BB454_799 Depth=1
	s_or_b32 exec_lo, exec_lo, s9
	v_lshrrev_b32_e32 v6, 16, v2
	v_mov_b32_e32 v7, 0
	s_mov_b32 s9, exec_lo
	s_delay_alu instid0(VALU_DEP_2) | instskip(NEXT) | instid1(VALU_DEP_1)
	v_and_b32_e32 v9, 0xff, v6
	v_cmpx_ne_u16_e32 0, v9
	s_cbranch_execz .LBB454_1383
; %bb.1376:                             ;   in Loop: Header=BB454_799 Depth=1
	v_bfrev_b32_e32 v7, 1
	s_mov_b32 s12, exec_lo
	v_cmpx_ne_u16_e32 0x80, v9
	s_cbranch_execz .LBB454_1382
; %bb.1377:                             ;   in Loop: Header=BB454_799 Depth=1
	v_bfe_u32 v133, v2, 16, 7
	v_mov_b32_e32 v7, 0x7f800001
	s_mov_b32 s13, exec_lo
	s_delay_alu instid0(VALU_DEP_2)
	v_cmpx_ne_u32_e32 0x7f, v133
	s_cbranch_execz .LBB454_1381
; %bb.1378:                             ;   in Loop: Header=BB454_799 Depth=1
	v_and_b32_e32 v9, 7, v6
	v_lshrrev_b32_e32 v7, 3, v133
	s_mov_b32 s15, exec_lo
	v_cmpx_gt_u32_e32 8, v133
; %bb.1379:                             ;   in Loop: Header=BB454_799 Depth=1
	s_delay_alu instid0(VALU_DEP_3) | instskip(NEXT) | instid1(VALU_DEP_1)
	v_clz_i32_u32_e32 v7, v9
	v_min_u32_e32 v7, 32, v7
	s_delay_alu instid0(VALU_DEP_1) | instskip(SKIP_1) | instid1(VALU_DEP_2)
	v_subrev_nc_u32_e32 v133, 28, v7
	v_sub_nc_u32_e32 v7, 29, v7
	v_lshlrev_b64 v[133:134], v133, v[9:10]
	s_delay_alu instid0(VALU_DEP_1)
	v_and_b32_e32 v9, 7, v133
; %bb.1380:                             ;   in Loop: Header=BB454_799 Depth=1
	s_or_b32 exec_lo, exec_lo, s15
	v_lshlrev_b32_e32 v6, 24, v6
	s_delay_alu instid0(VALU_DEP_2) | instskip(SKIP_1) | instid1(VALU_DEP_3)
	v_lshlrev_b32_e32 v9, 20, v9
	v_lshl_add_u32 v7, v7, 23, 0x3c000000
	v_and_b32_e32 v6, 0x80000000, v6
	s_delay_alu instid0(VALU_DEP_1)
	v_or3_b32 v7, v9, v6, v7
.LBB454_1381:                           ;   in Loop: Header=BB454_799 Depth=1
	s_or_b32 exec_lo, exec_lo, s13
.LBB454_1382:                           ;   in Loop: Header=BB454_799 Depth=1
	s_delay_alu instid0(SALU_CYCLE_1)
	s_or_b32 exec_lo, exec_lo, s12
.LBB454_1383:                           ;   in Loop: Header=BB454_799 Depth=1
	s_delay_alu instid0(SALU_CYCLE_1) | instskip(NEXT) | instid1(VALU_DEP_1)
	s_or_b32 exec_lo, exec_lo, s9
	v_mul_f32_e32 v6, v26, v7
                                        ; implicit-def: $vgpr133
	s_delay_alu instid0(VALU_DEP_1) | instskip(NEXT) | instid1(VALU_DEP_1)
	v_and_b32_e32 v7, 0x7f800000, v6
	v_cmp_ne_u32_e64 s0, 0x7f800000, v7
	s_delay_alu instid0(VALU_DEP_1) | instskip(NEXT) | instid1(SALU_CYCLE_1)
	s_and_saveexec_b32 s9, s0
	s_xor_b32 s0, exec_lo, s9
; %bb.1384:                             ;   in Loop: Header=BB454_799 Depth=1
	v_bfe_u32 v7, v6, 16, 1
	s_delay_alu instid0(VALU_DEP_1)
	v_add3_u32 v133, v6, v7, 0x7fff
                                        ; implicit-def: $vgpr6
; %bb.1385:                             ;   in Loop: Header=BB454_799 Depth=1
	s_and_not1_saveexec_b32 s9, s0
; %bb.1386:                             ;   in Loop: Header=BB454_799 Depth=1
	v_and_b32_e32 v7, 0xffff, v6
	v_or_b32_e32 v9, 0x10000, v6
	s_delay_alu instid0(VALU_DEP_2) | instskip(NEXT) | instid1(VALU_DEP_1)
	v_cmp_eq_u32_e64 s0, 0, v7
	v_cndmask_b32_e64 v133, v9, v6, s0
; %bb.1387:                             ;   in Loop: Header=BB454_799 Depth=1
	s_or_b32 exec_lo, exec_lo, s9
	v_mov_b32_e32 v7, 0
	s_mov_b32 s9, exec_lo
	v_cmpx_lt_u32_e32 0xffffff, v2
	s_cbranch_execz .LBB454_1395
; %bb.1388:                             ;   in Loop: Header=BB454_799 Depth=1
	v_lshrrev_b32_e32 v6, 24, v2
	v_bfrev_b32_e32 v7, 1
	s_mov_b32 s12, exec_lo
	s_delay_alu instid0(VALU_DEP_2)
	v_cmpx_ne_u32_e32 0x80, v6
	s_cbranch_execz .LBB454_1394
; %bb.1389:                             ;   in Loop: Header=BB454_799 Depth=1
	v_bfe_u32 v134, v2, 24, 7
	v_mov_b32_e32 v7, 0x7f800001
	s_mov_b32 s13, exec_lo
	s_delay_alu instid0(VALU_DEP_2)
	v_cmpx_ne_u32_e32 0x7f, v134
	s_cbranch_execz .LBB454_1393
; %bb.1390:                             ;   in Loop: Header=BB454_799 Depth=1
	v_and_b32_e32 v9, 7, v6
	v_lshrrev_b32_e32 v7, 3, v134
	s_mov_b32 s15, exec_lo
	v_cmpx_gt_u32_e32 8, v134
; %bb.1391:                             ;   in Loop: Header=BB454_799 Depth=1
	s_delay_alu instid0(VALU_DEP_3) | instskip(NEXT) | instid1(VALU_DEP_1)
	v_clz_i32_u32_e32 v7, v9
	v_min_u32_e32 v7, 32, v7
	s_delay_alu instid0(VALU_DEP_1) | instskip(SKIP_1) | instid1(VALU_DEP_2)
	v_subrev_nc_u32_e32 v134, 28, v7
	v_sub_nc_u32_e32 v7, 29, v7
	v_lshlrev_b64 v[134:135], v134, v[9:10]
	s_delay_alu instid0(VALU_DEP_1)
	v_and_b32_e32 v9, 7, v134
; %bb.1392:                             ;   in Loop: Header=BB454_799 Depth=1
	s_or_b32 exec_lo, exec_lo, s15
	v_lshlrev_b32_e32 v6, 24, v6
	s_delay_alu instid0(VALU_DEP_2) | instskip(SKIP_1) | instid1(VALU_DEP_3)
	v_lshlrev_b32_e32 v9, 20, v9
	v_lshl_add_u32 v7, v7, 23, 0x3c000000
	v_and_b32_e32 v6, 0x80000000, v6
	s_delay_alu instid0(VALU_DEP_1)
	v_or3_b32 v7, v9, v6, v7
.LBB454_1393:                           ;   in Loop: Header=BB454_799 Depth=1
	s_or_b32 exec_lo, exec_lo, s13
.LBB454_1394:                           ;   in Loop: Header=BB454_799 Depth=1
	s_delay_alu instid0(SALU_CYCLE_1)
	s_or_b32 exec_lo, exec_lo, s12
.LBB454_1395:                           ;   in Loop: Header=BB454_799 Depth=1
	s_delay_alu instid0(SALU_CYCLE_1) | instskip(NEXT) | instid1(VALU_DEP_1)
	s_or_b32 exec_lo, exec_lo, s9
	v_mul_f32_e32 v6, v26, v7
                                        ; implicit-def: $vgpr134
	s_delay_alu instid0(VALU_DEP_1) | instskip(NEXT) | instid1(VALU_DEP_1)
	v_and_b32_e32 v7, 0x7f800000, v6
	v_cmp_ne_u32_e64 s0, 0x7f800000, v7
	s_delay_alu instid0(VALU_DEP_1) | instskip(NEXT) | instid1(SALU_CYCLE_1)
	s_and_saveexec_b32 s9, s0
	s_xor_b32 s0, exec_lo, s9
; %bb.1396:                             ;   in Loop: Header=BB454_799 Depth=1
	v_bfe_u32 v7, v6, 16, 1
	s_delay_alu instid0(VALU_DEP_1)
	v_add3_u32 v134, v6, v7, 0x7fff
                                        ; implicit-def: $vgpr6
; %bb.1397:                             ;   in Loop: Header=BB454_799 Depth=1
	s_and_not1_saveexec_b32 s9, s0
; %bb.1398:                             ;   in Loop: Header=BB454_799 Depth=1
	v_and_b32_e32 v7, 0xffff, v6
	v_or_b32_e32 v9, 0x10000, v6
	s_delay_alu instid0(VALU_DEP_2) | instskip(NEXT) | instid1(VALU_DEP_1)
	v_cmp_eq_u32_e64 s0, 0, v7
	v_cndmask_b32_e64 v134, v9, v6, s0
; %bb.1399:                             ;   in Loop: Header=BB454_799 Depth=1
	s_or_b32 exec_lo, exec_lo, s9
	v_dual_mov_b32 v6, 0 :: v_dual_and_b32 v7, 0xff, v3
	v_mov_b32_e32 v9, v3
	s_mov_b32 s9, exec_lo
	s_delay_alu instid0(VALU_DEP_2)
	v_cmpx_ne_u16_e32 0, v7
	s_cbranch_execz .LBB454_1407
; %bb.1400:                             ;   in Loop: Header=BB454_799 Depth=1
	v_bfrev_b32_e32 v6, 1
	s_mov_b32 s12, exec_lo
	v_cmpx_ne_u16_e32 0x80, v7
	s_cbranch_execz .LBB454_1406
; %bb.1401:                             ;   in Loop: Header=BB454_799 Depth=1
	v_and_b32_e32 v7, 0x7f, v3
	v_mov_b32_e32 v6, 0x7f800001
	s_mov_b32 s13, exec_lo
	s_delay_alu instid0(VALU_DEP_2)
	v_cmpx_ne_u32_e32 0x7f, v7
	s_cbranch_execz .LBB454_1405
; %bb.1402:                             ;   in Loop: Header=BB454_799 Depth=1
	v_lshrrev_b32_e32 v135, 3, v7
	v_cmp_gt_u32_e64 s0, 8, v7
	v_dual_mov_b32 v6, v9 :: v_dual_mov_b32 v7, v10
	s_delay_alu instid0(VALU_DEP_2)
	s_and_saveexec_b32 s15, s0
; %bb.1403:                             ;   in Loop: Header=BB454_799 Depth=1
	v_and_b32_e32 v6, 7, v3
	s_delay_alu instid0(VALU_DEP_1) | instskip(NEXT) | instid1(VALU_DEP_1)
	v_clz_i32_u32_e32 v6, v6
	v_min_u32_e32 v135, 32, v6
	s_delay_alu instid0(VALU_DEP_1) | instskip(SKIP_1) | instid1(VALU_DEP_2)
	v_subrev_nc_u32_e32 v6, 28, v135
	v_sub_nc_u32_e32 v135, 29, v135
	v_lshlrev_b64 v[6:7], v6, v[9:10]
; %bb.1404:                             ;   in Loop: Header=BB454_799 Depth=1
	s_or_b32 exec_lo, exec_lo, s15
	s_delay_alu instid0(VALU_DEP_1) | instskip(SKIP_2) | instid1(VALU_DEP_3)
	v_lshlrev_b32_e32 v6, 20, v6
	v_lshlrev_b32_e32 v7, 24, v9
	v_lshl_add_u32 v135, v135, 23, 0x3c000000
	v_and_b32_e32 v6, 0x700000, v6
	s_delay_alu instid0(VALU_DEP_3) | instskip(NEXT) | instid1(VALU_DEP_1)
	v_and_b32_e32 v7, 0x80000000, v7
	v_or3_b32 v6, v6, v7, v135
.LBB454_1405:                           ;   in Loop: Header=BB454_799 Depth=1
	s_or_b32 exec_lo, exec_lo, s13
.LBB454_1406:                           ;   in Loop: Header=BB454_799 Depth=1
	s_delay_alu instid0(SALU_CYCLE_1)
	s_or_b32 exec_lo, exec_lo, s12
.LBB454_1407:                           ;   in Loop: Header=BB454_799 Depth=1
	s_delay_alu instid0(SALU_CYCLE_1) | instskip(NEXT) | instid1(VALU_DEP_1)
	s_or_b32 exec_lo, exec_lo, s9
	v_mul_f32_e32 v6, v26, v6
                                        ; implicit-def: $vgpr135
	s_delay_alu instid0(VALU_DEP_1) | instskip(NEXT) | instid1(VALU_DEP_1)
	v_and_b32_e32 v7, 0x7f800000, v6
	v_cmp_ne_u32_e64 s0, 0x7f800000, v7
	s_delay_alu instid0(VALU_DEP_1) | instskip(NEXT) | instid1(SALU_CYCLE_1)
	s_and_saveexec_b32 s9, s0
	s_xor_b32 s0, exec_lo, s9
; %bb.1408:                             ;   in Loop: Header=BB454_799 Depth=1
	v_bfe_u32 v7, v6, 16, 1
	s_delay_alu instid0(VALU_DEP_1)
	v_add3_u32 v135, v6, v7, 0x7fff
                                        ; implicit-def: $vgpr6
; %bb.1409:                             ;   in Loop: Header=BB454_799 Depth=1
	s_and_not1_saveexec_b32 s9, s0
; %bb.1410:                             ;   in Loop: Header=BB454_799 Depth=1
	v_and_b32_e32 v7, 0xffff, v6
	v_or_b32_e32 v135, 0x10000, v6
	s_delay_alu instid0(VALU_DEP_2) | instskip(NEXT) | instid1(VALU_DEP_1)
	v_cmp_eq_u32_e64 s0, 0, v7
	v_cndmask_b32_e64 v135, v135, v6, s0
; %bb.1411:                             ;   in Loop: Header=BB454_799 Depth=1
	s_or_b32 exec_lo, exec_lo, s9
	v_lshrrev_b16 v7, 8, v9
	v_mov_b32_e32 v6, 0
	s_mov_b32 s9, exec_lo
	s_delay_alu instid0(VALU_DEP_2)
	v_cmpx_ne_u16_e32 0, v7
	s_cbranch_execz .LBB454_1419
; %bb.1412:                             ;   in Loop: Header=BB454_799 Depth=1
	v_bfrev_b32_e32 v6, 1
	s_mov_b32 s12, exec_lo
	v_cmpx_ne_u16_e32 0x80, v7
	s_cbranch_execz .LBB454_1418
; %bb.1413:                             ;   in Loop: Header=BB454_799 Depth=1
	v_and_b32_e32 v7, 0xffff, v7
	v_mov_b32_e32 v6, 0x7f800001
	s_mov_b32 s13, exec_lo
	s_delay_alu instid0(VALU_DEP_2) | instskip(NEXT) | instid1(VALU_DEP_1)
	v_and_b32_e32 v145, 0x7f, v7
	v_cmpx_ne_u32_e32 0x7f, v145
	s_cbranch_execz .LBB454_1417
; %bb.1414:                             ;   in Loop: Header=BB454_799 Depth=1
	v_dual_mov_b32 v7, v10 :: v_dual_and_b32 v6, 7, v7
	v_lshrrev_b32_e32 v144, 3, v145
	s_mov_b32 s15, exec_lo
	v_cmpx_gt_u32_e32 8, v145
; %bb.1415:                             ;   in Loop: Header=BB454_799 Depth=1
	s_delay_alu instid0(VALU_DEP_3) | instskip(NEXT) | instid1(VALU_DEP_1)
	v_clz_i32_u32_e32 v144, v6
	v_min_u32_e32 v144, 32, v144
	s_delay_alu instid0(VALU_DEP_1) | instskip(SKIP_1) | instid1(VALU_DEP_2)
	v_subrev_nc_u32_e32 v145, 28, v144
	v_sub_nc_u32_e32 v144, 29, v144
	v_lshlrev_b64 v[6:7], v145, v[6:7]
	s_delay_alu instid0(VALU_DEP_1)
	v_and_b32_e32 v6, 7, v6
; %bb.1416:                             ;   in Loop: Header=BB454_799 Depth=1
	s_or_b32 exec_lo, exec_lo, s15
	v_lshlrev_b32_e32 v7, 16, v9
	s_delay_alu instid0(VALU_DEP_2) | instskip(SKIP_1) | instid1(VALU_DEP_3)
	v_lshlrev_b32_e32 v6, 20, v6
	v_lshl_add_u32 v9, v144, 23, 0x3c000000
	v_and_b32_e32 v7, 0x80000000, v7
	s_delay_alu instid0(VALU_DEP_1)
	v_or3_b32 v6, v6, v7, v9
.LBB454_1417:                           ;   in Loop: Header=BB454_799 Depth=1
	s_or_b32 exec_lo, exec_lo, s13
.LBB454_1418:                           ;   in Loop: Header=BB454_799 Depth=1
	s_delay_alu instid0(SALU_CYCLE_1)
	s_or_b32 exec_lo, exec_lo, s12
.LBB454_1419:                           ;   in Loop: Header=BB454_799 Depth=1
	s_delay_alu instid0(SALU_CYCLE_1) | instskip(NEXT) | instid1(VALU_DEP_1)
	s_or_b32 exec_lo, exec_lo, s9
	v_mul_f32_e32 v7, v26, v6
	s_delay_alu instid0(VALU_DEP_1) | instskip(NEXT) | instid1(VALU_DEP_1)
	v_and_b32_e32 v6, 0x7f800000, v7
	v_cmp_ne_u32_e64 s0, 0x7f800000, v6
                                        ; implicit-def: $vgpr6
	s_delay_alu instid0(VALU_DEP_1) | instskip(NEXT) | instid1(SALU_CYCLE_1)
	s_and_saveexec_b32 s9, s0
	s_xor_b32 s0, exec_lo, s9
; %bb.1420:                             ;   in Loop: Header=BB454_799 Depth=1
	v_bfe_u32 v6, v7, 16, 1
	s_delay_alu instid0(VALU_DEP_1)
	v_add3_u32 v6, v7, v6, 0x7fff
                                        ; implicit-def: $vgpr7
; %bb.1421:                             ;   in Loop: Header=BB454_799 Depth=1
	s_and_not1_saveexec_b32 s9, s0
; %bb.1422:                             ;   in Loop: Header=BB454_799 Depth=1
	v_and_b32_e32 v6, 0xffff, v7
	v_or_b32_e32 v9, 0x10000, v7
	s_delay_alu instid0(VALU_DEP_2) | instskip(NEXT) | instid1(VALU_DEP_1)
	v_cmp_eq_u32_e64 s0, 0, v6
	v_cndmask_b32_e64 v6, v9, v7, s0
; %bb.1423:                             ;   in Loop: Header=BB454_799 Depth=1
	s_or_b32 exec_lo, exec_lo, s9
	v_lshrrev_b32_e32 v7, 16, v3
	s_mov_b32 s9, exec_lo
	s_delay_alu instid0(VALU_DEP_1) | instskip(NEXT) | instid1(VALU_DEP_1)
	v_dual_mov_b32 v9, 0 :: v_dual_and_b32 v144, 0xff, v7
	v_cmpx_ne_u16_e64 0, v144
	s_cbranch_execz .LBB454_1431
; %bb.1424:                             ;   in Loop: Header=BB454_799 Depth=1
	v_bfrev_b32_e32 v9, 1
	s_mov_b32 s12, exec_lo
	v_cmpx_ne_u16_e64 0x80, v144
	s_cbranch_execz .LBB454_1430
; %bb.1425:                             ;   in Loop: Header=BB454_799 Depth=1
	v_bfe_u32 v145, v3, 16, 7
	v_mov_b32_e32 v9, 0x7f800001
	s_mov_b32 s13, exec_lo
	s_delay_alu instid0(VALU_DEP_2)
	v_cmpx_ne_u32_e32 0x7f, v145
	s_cbranch_execz .LBB454_1429
; %bb.1426:                             ;   in Loop: Header=BB454_799 Depth=1
	v_and_b32_e32 v9, 7, v7
	v_lshrrev_b32_e32 v144, 3, v145
	s_mov_b32 s15, exec_lo
	v_cmpx_gt_u32_e32 8, v145
; %bb.1427:                             ;   in Loop: Header=BB454_799 Depth=1
	s_delay_alu instid0(VALU_DEP_3) | instskip(NEXT) | instid1(VALU_DEP_1)
	v_clz_i32_u32_e32 v144, v9
	v_min_u32_e32 v144, 32, v144
	s_delay_alu instid0(VALU_DEP_1) | instskip(SKIP_1) | instid1(VALU_DEP_2)
	v_subrev_nc_u32_e32 v145, 28, v144
	v_sub_nc_u32_e32 v144, 29, v144
	v_lshlrev_b64 v[145:146], v145, v[9:10]
	s_delay_alu instid0(VALU_DEP_1)
	v_and_b32_e32 v9, 7, v145
; %bb.1428:                             ;   in Loop: Header=BB454_799 Depth=1
	s_or_b32 exec_lo, exec_lo, s15
	v_lshlrev_b32_e32 v7, 24, v7
	s_delay_alu instid0(VALU_DEP_2) | instskip(SKIP_1) | instid1(VALU_DEP_3)
	v_lshlrev_b32_e32 v9, 20, v9
	v_lshl_add_u32 v144, v144, 23, 0x3c000000
	v_and_b32_e32 v7, 0x80000000, v7
	s_delay_alu instid0(VALU_DEP_1)
	v_or3_b32 v9, v9, v7, v144
.LBB454_1429:                           ;   in Loop: Header=BB454_799 Depth=1
	s_or_b32 exec_lo, exec_lo, s13
.LBB454_1430:                           ;   in Loop: Header=BB454_799 Depth=1
	s_delay_alu instid0(SALU_CYCLE_1)
	s_or_b32 exec_lo, exec_lo, s12
.LBB454_1431:                           ;   in Loop: Header=BB454_799 Depth=1
	s_delay_alu instid0(SALU_CYCLE_1) | instskip(NEXT) | instid1(VALU_DEP_1)
	s_or_b32 exec_lo, exec_lo, s9
	v_mul_f32_e32 v7, v26, v9
                                        ; implicit-def: $vgpr144
	s_delay_alu instid0(VALU_DEP_1) | instskip(NEXT) | instid1(VALU_DEP_1)
	v_and_b32_e32 v9, 0x7f800000, v7
	v_cmp_ne_u32_e64 s0, 0x7f800000, v9
	s_delay_alu instid0(VALU_DEP_1) | instskip(NEXT) | instid1(SALU_CYCLE_1)
	s_and_saveexec_b32 s9, s0
	s_xor_b32 s0, exec_lo, s9
; %bb.1432:                             ;   in Loop: Header=BB454_799 Depth=1
	v_bfe_u32 v9, v7, 16, 1
	s_delay_alu instid0(VALU_DEP_1)
	v_add3_u32 v144, v7, v9, 0x7fff
                                        ; implicit-def: $vgpr7
; %bb.1433:                             ;   in Loop: Header=BB454_799 Depth=1
	s_and_not1_saveexec_b32 s9, s0
; %bb.1434:                             ;   in Loop: Header=BB454_799 Depth=1
	v_and_b32_e32 v9, 0xffff, v7
	v_or_b32_e32 v144, 0x10000, v7
	s_delay_alu instid0(VALU_DEP_2) | instskip(NEXT) | instid1(VALU_DEP_1)
	v_cmp_eq_u32_e64 s0, 0, v9
	v_cndmask_b32_e64 v144, v144, v7, s0
; %bb.1435:                             ;   in Loop: Header=BB454_799 Depth=1
	s_or_b32 exec_lo, exec_lo, s9
	v_mov_b32_e32 v7, 0
	s_mov_b32 s9, exec_lo
	v_cmpx_lt_u64_e64 s[2:3], v[2:3]
	s_cbranch_execz .LBB454_1443
; %bb.1436:                             ;   in Loop: Header=BB454_799 Depth=1
	v_lshrrev_b32_e32 v2, 24, v3
	v_bfrev_b32_e32 v7, 1
	s_mov_b32 s12, exec_lo
	s_delay_alu instid0(VALU_DEP_2)
	v_cmpx_ne_u32_e32 0x80, v2
	s_cbranch_execz .LBB454_1442
; %bb.1437:                             ;   in Loop: Header=BB454_799 Depth=1
	v_bfe_u32 v145, v3, 24, 7
	v_mov_b32_e32 v7, 0x7f800001
	s_mov_b32 s13, exec_lo
	s_delay_alu instid0(VALU_DEP_2)
	v_cmpx_ne_u32_e32 0x7f, v145
	s_cbranch_execz .LBB454_1441
; %bb.1438:                             ;   in Loop: Header=BB454_799 Depth=1
	v_and_b32_e32 v9, 7, v2
	v_lshrrev_b32_e32 v3, 3, v145
	s_mov_b32 s15, exec_lo
	v_cmpx_gt_u32_e32 8, v145
; %bb.1439:                             ;   in Loop: Header=BB454_799 Depth=1
	s_delay_alu instid0(VALU_DEP_3) | instskip(NEXT) | instid1(VALU_DEP_1)
	v_clz_i32_u32_e32 v3, v9
	v_min_u32_e32 v3, 32, v3
	s_delay_alu instid0(VALU_DEP_1) | instskip(SKIP_1) | instid1(VALU_DEP_2)
	v_subrev_nc_u32_e32 v7, 28, v3
	v_sub_nc_u32_e32 v3, 29, v3
	v_lshlrev_b64 v[145:146], v7, v[9:10]
	s_delay_alu instid0(VALU_DEP_1)
	v_and_b32_e32 v9, 7, v145
; %bb.1440:                             ;   in Loop: Header=BB454_799 Depth=1
	s_or_b32 exec_lo, exec_lo, s15
	v_lshlrev_b32_e32 v2, 24, v2
	s_delay_alu instid0(VALU_DEP_2) | instskip(SKIP_1) | instid1(VALU_DEP_3)
	v_lshlrev_b32_e32 v7, 20, v9
	v_lshl_add_u32 v3, v3, 23, 0x3c000000
	v_and_b32_e32 v2, 0x80000000, v2
	s_delay_alu instid0(VALU_DEP_1)
	v_or3_b32 v7, v7, v2, v3
.LBB454_1441:                           ;   in Loop: Header=BB454_799 Depth=1
	s_or_b32 exec_lo, exec_lo, s13
.LBB454_1442:                           ;   in Loop: Header=BB454_799 Depth=1
	s_delay_alu instid0(SALU_CYCLE_1)
	s_or_b32 exec_lo, exec_lo, s12
.LBB454_1443:                           ;   in Loop: Header=BB454_799 Depth=1
	s_delay_alu instid0(SALU_CYCLE_1) | instskip(NEXT) | instid1(VALU_DEP_1)
	s_or_b32 exec_lo, exec_lo, s9
	v_mul_f32_e32 v3, v26, v7
	s_delay_alu instid0(VALU_DEP_1) | instskip(NEXT) | instid1(VALU_DEP_1)
	v_and_b32_e32 v2, 0x7f800000, v3
	v_cmp_ne_u32_e64 s0, 0x7f800000, v2
                                        ; implicit-def: $vgpr2
	s_delay_alu instid0(VALU_DEP_1) | instskip(NEXT) | instid1(SALU_CYCLE_1)
	s_and_saveexec_b32 s9, s0
	s_xor_b32 s0, exec_lo, s9
; %bb.1444:                             ;   in Loop: Header=BB454_799 Depth=1
	v_bfe_u32 v2, v3, 16, 1
	s_delay_alu instid0(VALU_DEP_1)
	v_add3_u32 v2, v3, v2, 0x7fff
                                        ; implicit-def: $vgpr3
; %bb.1445:                             ;   in Loop: Header=BB454_799 Depth=1
	s_and_not1_saveexec_b32 s9, s0
; %bb.1446:                             ;   in Loop: Header=BB454_799 Depth=1
	v_and_b32_e32 v2, 0xffff, v3
	v_or_b32_e32 v7, 0x10000, v3
	s_delay_alu instid0(VALU_DEP_2) | instskip(NEXT) | instid1(VALU_DEP_1)
	v_cmp_eq_u32_e64 s0, 0, v2
	v_cndmask_b32_e64 v2, v7, v3, s0
; %bb.1447:                             ;   in Loop: Header=BB454_799 Depth=1
	s_or_b32 exec_lo, exec_lo, s9
	v_lshrrev_b32_e32 v6, 16, v6
	v_lshrrev_b32_e32 v7, 16, v135
	;; [unrolled: 1-line block ×8, first 2 shown]
	s_and_saveexec_b32 s9, vcc_lo
	s_cbranch_execz .LBB454_1449
; %bb.1448:                             ;   in Loop: Header=BB454_799 Depth=1
	v_cmp_lt_i32_e64 s0, v52, v35
	s_delay_alu instid0(VALU_DEP_1) | instskip(SKIP_1) | instid1(VALU_DEP_1)
	v_cndmask_b32_e64 v131, 0, v131, s0
	v_cmp_lt_i32_e64 s0, v66, v35
	v_cndmask_b32_e64 v132, 0, v132, s0
	v_cmp_lt_i32_e64 s0, v65, v35
	s_delay_alu instid0(VALU_DEP_1) | instskip(SKIP_1) | instid1(VALU_DEP_1)
	v_cndmask_b32_e64 v133, 0, v133, s0
	v_cmp_lt_i32_e64 s0, v64, v35
	v_cndmask_b32_e64 v9, 0, v9, s0
	;; [unrolled: 5-line block ×4, first 2 shown]
.LBB454_1449:                           ;   in Loop: Header=BB454_799 Depth=1
	s_or_b32 exec_lo, exec_lo, s9
	v_lshlrev_b32_e32 v131, 16, v131
	s_delay_alu instid0(VALU_DEP_1) | instskip(NEXT) | instid1(VALU_DEP_1)
	v_mul_f32_e32 v134, v67, v131
	v_and_b32_e32 v131, 0x7f800000, v134
	s_delay_alu instid0(VALU_DEP_1) | instskip(NEXT) | instid1(VALU_DEP_1)
	v_cmp_ne_u32_e64 s0, 0x7f800000, v131
                                        ; implicit-def: $vgpr131
	s_and_saveexec_b32 s9, s0
	s_delay_alu instid0(SALU_CYCLE_1)
	s_xor_b32 s0, exec_lo, s9
; %bb.1450:                             ;   in Loop: Header=BB454_799 Depth=1
	v_bfe_u32 v131, v134, 16, 1
	s_delay_alu instid0(VALU_DEP_1)
	v_add3_u32 v131, v134, v131, 0x7fff
                                        ; implicit-def: $vgpr134
; %bb.1451:                             ;   in Loop: Header=BB454_799 Depth=1
	s_and_not1_saveexec_b32 s9, s0
; %bb.1452:                             ;   in Loop: Header=BB454_799 Depth=1
	v_and_b32_e32 v131, 0xffff, v134
	v_or_b32_e32 v135, 0x10000, v134
	s_delay_alu instid0(VALU_DEP_2) | instskip(NEXT) | instid1(VALU_DEP_1)
	v_cmp_eq_u32_e64 s0, 0, v131
	v_cndmask_b32_e64 v131, v135, v134, s0
; %bb.1453:                             ;   in Loop: Header=BB454_799 Depth=1
	s_or_b32 exec_lo, exec_lo, s9
	v_lshlrev_b32_e32 v132, 16, v132
	s_delay_alu instid0(VALU_DEP_1) | instskip(NEXT) | instid1(VALU_DEP_1)
	v_mul_f32_e32 v134, v68, v132
	v_and_b32_e32 v132, 0x7f800000, v134
	s_delay_alu instid0(VALU_DEP_1) | instskip(NEXT) | instid1(VALU_DEP_1)
	v_cmp_ne_u32_e64 s0, 0x7f800000, v132
                                        ; implicit-def: $vgpr132
	s_and_saveexec_b32 s9, s0
	s_delay_alu instid0(SALU_CYCLE_1)
	s_xor_b32 s0, exec_lo, s9
; %bb.1454:                             ;   in Loop: Header=BB454_799 Depth=1
	v_bfe_u32 v132, v134, 16, 1
	s_delay_alu instid0(VALU_DEP_1)
	v_add3_u32 v132, v134, v132, 0x7fff
                                        ; implicit-def: $vgpr134
; %bb.1455:                             ;   in Loop: Header=BB454_799 Depth=1
	s_and_not1_saveexec_b32 s9, s0
; %bb.1456:                             ;   in Loop: Header=BB454_799 Depth=1
	v_and_b32_e32 v132, 0xffff, v134
	v_or_b32_e32 v135, 0x10000, v134
	s_delay_alu instid0(VALU_DEP_2) | instskip(NEXT) | instid1(VALU_DEP_1)
	v_cmp_eq_u32_e64 s0, 0, v132
	v_cndmask_b32_e64 v132, v135, v134, s0
; %bb.1457:                             ;   in Loop: Header=BB454_799 Depth=1
	s_or_b32 exec_lo, exec_lo, s9
	v_lshlrev_b32_e32 v133, 16, v133
	s_delay_alu instid0(VALU_DEP_1) | instskip(NEXT) | instid1(VALU_DEP_1)
	v_mul_f32_e32 v134, v69, v133
	v_and_b32_e32 v133, 0x7f800000, v134
	s_delay_alu instid0(VALU_DEP_1) | instskip(NEXT) | instid1(VALU_DEP_1)
	v_cmp_ne_u32_e64 s0, 0x7f800000, v133
                                        ; implicit-def: $vgpr133
	s_and_saveexec_b32 s9, s0
	s_delay_alu instid0(SALU_CYCLE_1)
	s_xor_b32 s0, exec_lo, s9
; %bb.1458:                             ;   in Loop: Header=BB454_799 Depth=1
	v_bfe_u32 v133, v134, 16, 1
	s_delay_alu instid0(VALU_DEP_1)
	v_add3_u32 v133, v134, v133, 0x7fff
                                        ; implicit-def: $vgpr134
; %bb.1459:                             ;   in Loop: Header=BB454_799 Depth=1
	s_and_not1_saveexec_b32 s9, s0
; %bb.1460:                             ;   in Loop: Header=BB454_799 Depth=1
	v_and_b32_e32 v133, 0xffff, v134
	v_or_b32_e32 v135, 0x10000, v134
	s_delay_alu instid0(VALU_DEP_2) | instskip(NEXT) | instid1(VALU_DEP_1)
	v_cmp_eq_u32_e64 s0, 0, v133
	v_cndmask_b32_e64 v133, v135, v134, s0
; %bb.1461:                             ;   in Loop: Header=BB454_799 Depth=1
	s_or_b32 exec_lo, exec_lo, s9
	v_lshlrev_b32_e32 v9, 16, v9
	s_delay_alu instid0(VALU_DEP_1) | instskip(NEXT) | instid1(VALU_DEP_1)
	v_mul_f32_e32 v9, v70, v9
	v_and_b32_e32 v134, 0x7f800000, v9
	s_delay_alu instid0(VALU_DEP_1) | instskip(NEXT) | instid1(VALU_DEP_1)
	v_cmp_ne_u32_e64 s0, 0x7f800000, v134
                                        ; implicit-def: $vgpr134
	s_and_saveexec_b32 s9, s0
	s_delay_alu instid0(SALU_CYCLE_1)
	s_xor_b32 s0, exec_lo, s9
; %bb.1462:                             ;   in Loop: Header=BB454_799 Depth=1
	v_bfe_u32 v134, v9, 16, 1
	s_delay_alu instid0(VALU_DEP_1)
	v_add3_u32 v134, v9, v134, 0x7fff
                                        ; implicit-def: $vgpr9
; %bb.1463:                             ;   in Loop: Header=BB454_799 Depth=1
	s_and_not1_saveexec_b32 s9, s0
; %bb.1464:                             ;   in Loop: Header=BB454_799 Depth=1
	v_and_b32_e32 v134, 0xffff, v9
	v_or_b32_e32 v135, 0x10000, v9
	s_delay_alu instid0(VALU_DEP_2) | instskip(NEXT) | instid1(VALU_DEP_1)
	v_cmp_eq_u32_e64 s0, 0, v134
	v_cndmask_b32_e64 v134, v135, v9, s0
; %bb.1465:                             ;   in Loop: Header=BB454_799 Depth=1
	s_or_b32 exec_lo, exec_lo, s9
	v_lshlrev_b32_e32 v7, 16, v7
                                        ; implicit-def: $vgpr135
	s_delay_alu instid0(VALU_DEP_1) | instskip(NEXT) | instid1(VALU_DEP_1)
	v_mul_f32_e32 v7, v71, v7
	v_and_b32_e32 v9, 0x7f800000, v7
	s_delay_alu instid0(VALU_DEP_1) | instskip(NEXT) | instid1(VALU_DEP_1)
	v_cmp_ne_u32_e64 s0, 0x7f800000, v9
	s_and_saveexec_b32 s9, s0
	s_delay_alu instid0(SALU_CYCLE_1)
	s_xor_b32 s0, exec_lo, s9
; %bb.1466:                             ;   in Loop: Header=BB454_799 Depth=1
	v_bfe_u32 v9, v7, 16, 1
	s_delay_alu instid0(VALU_DEP_1)
	v_add3_u32 v135, v7, v9, 0x7fff
                                        ; implicit-def: $vgpr7
; %bb.1467:                             ;   in Loop: Header=BB454_799 Depth=1
	s_and_not1_saveexec_b32 s9, s0
; %bb.1468:                             ;   in Loop: Header=BB454_799 Depth=1
	v_and_b32_e32 v9, 0xffff, v7
	v_or_b32_e32 v135, 0x10000, v7
	s_delay_alu instid0(VALU_DEP_2) | instskip(NEXT) | instid1(VALU_DEP_1)
	v_cmp_eq_u32_e64 s0, 0, v9
	v_cndmask_b32_e64 v135, v135, v7, s0
; %bb.1469:                             ;   in Loop: Header=BB454_799 Depth=1
	s_or_b32 exec_lo, exec_lo, s9
	v_lshlrev_b32_e32 v6, 16, v6
                                        ; implicit-def: $vgpr144
	s_delay_alu instid0(VALU_DEP_1) | instskip(NEXT) | instid1(VALU_DEP_1)
	v_mul_f32_e32 v6, v80, v6
	v_and_b32_e32 v7, 0x7f800000, v6
	s_delay_alu instid0(VALU_DEP_1) | instskip(NEXT) | instid1(VALU_DEP_1)
	v_cmp_ne_u32_e64 s0, 0x7f800000, v7
	s_and_saveexec_b32 s9, s0
	s_delay_alu instid0(SALU_CYCLE_1)
	s_xor_b32 s0, exec_lo, s9
; %bb.1470:                             ;   in Loop: Header=BB454_799 Depth=1
	v_bfe_u32 v7, v6, 16, 1
	s_delay_alu instid0(VALU_DEP_1)
	v_add3_u32 v144, v6, v7, 0x7fff
                                        ; implicit-def: $vgpr6
; %bb.1471:                             ;   in Loop: Header=BB454_799 Depth=1
	s_and_not1_saveexec_b32 s9, s0
; %bb.1472:                             ;   in Loop: Header=BB454_799 Depth=1
	v_and_b32_e32 v7, 0xffff, v6
	v_or_b32_e32 v9, 0x10000, v6
	s_delay_alu instid0(VALU_DEP_2) | instskip(NEXT) | instid1(VALU_DEP_1)
	v_cmp_eq_u32_e64 s0, 0, v7
	v_cndmask_b32_e64 v144, v9, v6, s0
; %bb.1473:                             ;   in Loop: Header=BB454_799 Depth=1
	s_or_b32 exec_lo, exec_lo, s9
	v_lshlrev_b32_e32 v3, 16, v3
                                        ; implicit-def: $vgpr145
	s_delay_alu instid0(VALU_DEP_1) | instskip(NEXT) | instid1(VALU_DEP_1)
	v_mul_f32_e32 v3, v81, v3
	v_and_b32_e32 v6, 0x7f800000, v3
	s_delay_alu instid0(VALU_DEP_1) | instskip(NEXT) | instid1(VALU_DEP_1)
	v_cmp_ne_u32_e64 s0, 0x7f800000, v6
	s_and_saveexec_b32 s9, s0
	s_delay_alu instid0(SALU_CYCLE_1)
	s_xor_b32 s0, exec_lo, s9
; %bb.1474:                             ;   in Loop: Header=BB454_799 Depth=1
	v_bfe_u32 v6, v3, 16, 1
	s_delay_alu instid0(VALU_DEP_1)
	v_add3_u32 v145, v3, v6, 0x7fff
                                        ; implicit-def: $vgpr3
; %bb.1475:                             ;   in Loop: Header=BB454_799 Depth=1
	s_and_not1_saveexec_b32 s9, s0
; %bb.1476:                             ;   in Loop: Header=BB454_799 Depth=1
	v_and_b32_e32 v6, 0xffff, v3
	v_or_b32_e32 v7, 0x10000, v3
	s_delay_alu instid0(VALU_DEP_2) | instskip(NEXT) | instid1(VALU_DEP_1)
	v_cmp_eq_u32_e64 s0, 0, v6
	v_cndmask_b32_e64 v145, v7, v3, s0
; %bb.1477:                             ;   in Loop: Header=BB454_799 Depth=1
	s_or_b32 exec_lo, exec_lo, s9
	v_lshlrev_b32_e32 v2, 16, v2
                                        ; implicit-def: $vgpr146
	s_delay_alu instid0(VALU_DEP_1) | instskip(NEXT) | instid1(VALU_DEP_1)
	v_mul_f32_e32 v2, v82, v2
	v_and_b32_e32 v3, 0x7f800000, v2
	s_delay_alu instid0(VALU_DEP_1) | instskip(NEXT) | instid1(VALU_DEP_1)
	v_cmp_ne_u32_e64 s0, 0x7f800000, v3
	s_and_saveexec_b32 s9, s0
	s_delay_alu instid0(SALU_CYCLE_1)
	s_xor_b32 s0, exec_lo, s9
; %bb.1478:                             ;   in Loop: Header=BB454_799 Depth=1
	v_bfe_u32 v3, v2, 16, 1
	s_delay_alu instid0(VALU_DEP_1)
	v_add3_u32 v146, v2, v3, 0x7fff
                                        ; implicit-def: $vgpr2
; %bb.1479:                             ;   in Loop: Header=BB454_799 Depth=1
	s_and_not1_saveexec_b32 s9, s0
; %bb.1480:                             ;   in Loop: Header=BB454_799 Depth=1
	v_and_b32_e32 v3, 0xffff, v2
	v_or_b32_e32 v6, 0x10000, v2
	s_delay_alu instid0(VALU_DEP_2) | instskip(NEXT) | instid1(VALU_DEP_1)
	v_cmp_eq_u32_e64 s0, 0, v3
	v_cndmask_b32_e64 v146, v6, v2, s0
; %bb.1481:                             ;   in Loop: Header=BB454_799 Depth=1
	s_or_b32 exec_lo, exec_lo, s9
	flat_load_b64 v[2:3], v[0:1] offset:1280
	s_mov_b32 s9, exec_lo
	s_waitcnt vmcnt(0) lgkmcnt(0)
	v_dual_mov_b32 v6, 0 :: v_dual_and_b32 v7, 0xff, v2
	s_delay_alu instid0(VALU_DEP_1)
	v_cmpx_ne_u16_e32 0, v7
	s_cbranch_execz .LBB454_1489
; %bb.1482:                             ;   in Loop: Header=BB454_799 Depth=1
	v_bfrev_b32_e32 v6, 1
	s_mov_b32 s12, exec_lo
	v_cmpx_ne_u16_e32 0x80, v7
	s_cbranch_execz .LBB454_1488
; %bb.1483:                             ;   in Loop: Header=BB454_799 Depth=1
	v_and_b32_e32 v7, 0x7f, v2
	v_mov_b32_e32 v6, 0x7f800001
	s_mov_b32 s13, exec_lo
	s_delay_alu instid0(VALU_DEP_2)
	v_cmpx_ne_u32_e32 0x7f, v7
	s_cbranch_execz .LBB454_1487
; %bb.1484:                             ;   in Loop: Header=BB454_799 Depth=1
	v_lshrrev_b32_e32 v9, 3, v7
	v_cmp_gt_u32_e64 s0, 8, v7
	v_dual_mov_b32 v7, v3 :: v_dual_mov_b32 v6, v2
	s_delay_alu instid0(VALU_DEP_2)
	s_and_saveexec_b32 s15, s0
; %bb.1485:                             ;   in Loop: Header=BB454_799 Depth=1
	v_and_b32_e32 v6, 7, v2
	s_delay_alu instid0(VALU_DEP_1) | instskip(NEXT) | instid1(VALU_DEP_1)
	v_clz_i32_u32_e32 v6, v6
	v_min_u32_e32 v9, 32, v6
	s_delay_alu instid0(VALU_DEP_1) | instskip(SKIP_1) | instid1(VALU_DEP_2)
	v_subrev_nc_u32_e32 v6, 28, v9
	v_sub_nc_u32_e32 v9, 29, v9
	v_lshlrev_b64 v[6:7], v6, v[2:3]
; %bb.1486:                             ;   in Loop: Header=BB454_799 Depth=1
	s_or_b32 exec_lo, exec_lo, s15
	s_delay_alu instid0(VALU_DEP_1) | instskip(SKIP_2) | instid1(VALU_DEP_3)
	v_lshlrev_b32_e32 v6, 20, v6
	v_lshlrev_b32_e32 v7, 24, v2
	v_lshl_add_u32 v9, v9, 23, 0x3c000000
	v_and_b32_e32 v6, 0x700000, v6
	s_delay_alu instid0(VALU_DEP_3) | instskip(NEXT) | instid1(VALU_DEP_1)
	v_and_b32_e32 v7, 0x80000000, v7
	v_or3_b32 v6, v6, v7, v9
.LBB454_1487:                           ;   in Loop: Header=BB454_799 Depth=1
	s_or_b32 exec_lo, exec_lo, s13
.LBB454_1488:                           ;   in Loop: Header=BB454_799 Depth=1
	s_delay_alu instid0(SALU_CYCLE_1)
	s_or_b32 exec_lo, exec_lo, s12
.LBB454_1489:                           ;   in Loop: Header=BB454_799 Depth=1
	s_delay_alu instid0(SALU_CYCLE_1) | instskip(NEXT) | instid1(VALU_DEP_1)
	s_or_b32 exec_lo, exec_lo, s9
	v_mul_f32_e32 v6, v26, v6
                                        ; implicit-def: $vgpr147
	s_delay_alu instid0(VALU_DEP_1) | instskip(NEXT) | instid1(VALU_DEP_1)
	v_and_b32_e32 v7, 0x7f800000, v6
	v_cmp_ne_u32_e64 s0, 0x7f800000, v7
	s_delay_alu instid0(VALU_DEP_1) | instskip(NEXT) | instid1(SALU_CYCLE_1)
	s_and_saveexec_b32 s9, s0
	s_xor_b32 s0, exec_lo, s9
; %bb.1490:                             ;   in Loop: Header=BB454_799 Depth=1
	v_bfe_u32 v7, v6, 16, 1
	s_delay_alu instid0(VALU_DEP_1)
	v_add3_u32 v147, v6, v7, 0x7fff
                                        ; implicit-def: $vgpr6
; %bb.1491:                             ;   in Loop: Header=BB454_799 Depth=1
	s_and_not1_saveexec_b32 s9, s0
; %bb.1492:                             ;   in Loop: Header=BB454_799 Depth=1
	v_and_b32_e32 v7, 0xffff, v6
	v_or_b32_e32 v9, 0x10000, v6
	s_delay_alu instid0(VALU_DEP_2) | instskip(NEXT) | instid1(VALU_DEP_1)
	v_cmp_eq_u32_e64 s0, 0, v7
	v_cndmask_b32_e64 v147, v9, v6, s0
; %bb.1493:                             ;   in Loop: Header=BB454_799 Depth=1
	s_or_b32 exec_lo, exec_lo, s9
	v_lshrrev_b16 v7, 8, v2
	v_mov_b32_e32 v6, 0
	s_mov_b32 s9, exec_lo
	s_delay_alu instid0(VALU_DEP_2)
	v_cmpx_ne_u16_e32 0, v7
	s_cbranch_execz .LBB454_1501
; %bb.1494:                             ;   in Loop: Header=BB454_799 Depth=1
	v_bfrev_b32_e32 v6, 1
	s_mov_b32 s12, exec_lo
	v_cmpx_ne_u16_e32 0x80, v7
	s_cbranch_execz .LBB454_1500
; %bb.1495:                             ;   in Loop: Header=BB454_799 Depth=1
	v_and_b32_e32 v9, 0xffff, v7
	v_mov_b32_e32 v6, 0x7f800001
	s_mov_b32 s13, exec_lo
	s_delay_alu instid0(VALU_DEP_2) | instskip(NEXT) | instid1(VALU_DEP_1)
	v_and_b32_e32 v7, 0x7f, v9
	v_cmpx_ne_u32_e32 0x7f, v7
	s_cbranch_execz .LBB454_1499
; %bb.1496:                             ;   in Loop: Header=BB454_799 Depth=1
	v_and_b32_e32 v9, 7, v9
	v_lshrrev_b32_e32 v6, 3, v7
	s_mov_b32 s15, exec_lo
	v_cmpx_gt_u32_e32 8, v7
; %bb.1497:                             ;   in Loop: Header=BB454_799 Depth=1
	s_delay_alu instid0(VALU_DEP_3) | instskip(NEXT) | instid1(VALU_DEP_1)
	v_clz_i32_u32_e32 v6, v9
	v_min_u32_e32 v6, 32, v6
	s_delay_alu instid0(VALU_DEP_1) | instskip(SKIP_1) | instid1(VALU_DEP_2)
	v_subrev_nc_u32_e32 v7, 28, v6
	v_sub_nc_u32_e32 v6, 29, v6
	v_lshlrev_b64 v[148:149], v7, v[9:10]
	s_delay_alu instid0(VALU_DEP_1)
	v_and_b32_e32 v9, 7, v148
; %bb.1498:                             ;   in Loop: Header=BB454_799 Depth=1
	s_or_b32 exec_lo, exec_lo, s15
	v_lshlrev_b32_e32 v7, 16, v2
	s_delay_alu instid0(VALU_DEP_2) | instskip(SKIP_1) | instid1(VALU_DEP_3)
	v_lshlrev_b32_e32 v9, 20, v9
	v_lshl_add_u32 v6, v6, 23, 0x3c000000
	v_and_b32_e32 v7, 0x80000000, v7
	s_delay_alu instid0(VALU_DEP_1)
	v_or3_b32 v6, v9, v7, v6
.LBB454_1499:                           ;   in Loop: Header=BB454_799 Depth=1
	s_or_b32 exec_lo, exec_lo, s13
.LBB454_1500:                           ;   in Loop: Header=BB454_799 Depth=1
	s_delay_alu instid0(SALU_CYCLE_1)
	s_or_b32 exec_lo, exec_lo, s12
.LBB454_1501:                           ;   in Loop: Header=BB454_799 Depth=1
	s_delay_alu instid0(SALU_CYCLE_1) | instskip(NEXT) | instid1(VALU_DEP_1)
	s_or_b32 exec_lo, exec_lo, s9
	v_mul_f32_e32 v6, v26, v6
                                        ; implicit-def: $vgpr148
	s_delay_alu instid0(VALU_DEP_1) | instskip(NEXT) | instid1(VALU_DEP_1)
	v_and_b32_e32 v7, 0x7f800000, v6
	v_cmp_ne_u32_e64 s0, 0x7f800000, v7
	s_delay_alu instid0(VALU_DEP_1) | instskip(NEXT) | instid1(SALU_CYCLE_1)
	s_and_saveexec_b32 s9, s0
	s_xor_b32 s0, exec_lo, s9
; %bb.1502:                             ;   in Loop: Header=BB454_799 Depth=1
	v_bfe_u32 v7, v6, 16, 1
	s_delay_alu instid0(VALU_DEP_1)
	v_add3_u32 v148, v6, v7, 0x7fff
                                        ; implicit-def: $vgpr6
; %bb.1503:                             ;   in Loop: Header=BB454_799 Depth=1
	s_and_not1_saveexec_b32 s9, s0
; %bb.1504:                             ;   in Loop: Header=BB454_799 Depth=1
	v_and_b32_e32 v7, 0xffff, v6
	v_or_b32_e32 v9, 0x10000, v6
	s_delay_alu instid0(VALU_DEP_2) | instskip(NEXT) | instid1(VALU_DEP_1)
	v_cmp_eq_u32_e64 s0, 0, v7
	v_cndmask_b32_e64 v148, v9, v6, s0
; %bb.1505:                             ;   in Loop: Header=BB454_799 Depth=1
	s_or_b32 exec_lo, exec_lo, s9
	v_lshrrev_b32_e32 v6, 16, v2
	v_mov_b32_e32 v7, 0
	s_mov_b32 s9, exec_lo
	s_delay_alu instid0(VALU_DEP_2) | instskip(NEXT) | instid1(VALU_DEP_1)
	v_and_b32_e32 v9, 0xff, v6
	v_cmpx_ne_u16_e32 0, v9
	s_cbranch_execz .LBB454_1513
; %bb.1506:                             ;   in Loop: Header=BB454_799 Depth=1
	v_bfrev_b32_e32 v7, 1
	s_mov_b32 s12, exec_lo
	v_cmpx_ne_u16_e32 0x80, v9
	s_cbranch_execz .LBB454_1512
; %bb.1507:                             ;   in Loop: Header=BB454_799 Depth=1
	v_bfe_u32 v149, v2, 16, 7
	v_mov_b32_e32 v7, 0x7f800001
	s_mov_b32 s13, exec_lo
	s_delay_alu instid0(VALU_DEP_2)
	v_cmpx_ne_u32_e32 0x7f, v149
	s_cbranch_execz .LBB454_1511
; %bb.1508:                             ;   in Loop: Header=BB454_799 Depth=1
	v_and_b32_e32 v9, 7, v6
	v_lshrrev_b32_e32 v7, 3, v149
	s_mov_b32 s15, exec_lo
	v_cmpx_gt_u32_e32 8, v149
; %bb.1509:                             ;   in Loop: Header=BB454_799 Depth=1
	s_delay_alu instid0(VALU_DEP_3) | instskip(NEXT) | instid1(VALU_DEP_1)
	v_clz_i32_u32_e32 v7, v9
	v_min_u32_e32 v7, 32, v7
	s_delay_alu instid0(VALU_DEP_1) | instskip(SKIP_1) | instid1(VALU_DEP_2)
	v_subrev_nc_u32_e32 v149, 28, v7
	v_sub_nc_u32_e32 v7, 29, v7
	v_lshlrev_b64 v[149:150], v149, v[9:10]
	s_delay_alu instid0(VALU_DEP_1)
	v_and_b32_e32 v9, 7, v149
; %bb.1510:                             ;   in Loop: Header=BB454_799 Depth=1
	s_or_b32 exec_lo, exec_lo, s15
	v_lshlrev_b32_e32 v6, 24, v6
	s_delay_alu instid0(VALU_DEP_2) | instskip(SKIP_1) | instid1(VALU_DEP_3)
	v_lshlrev_b32_e32 v9, 20, v9
	v_lshl_add_u32 v7, v7, 23, 0x3c000000
	v_and_b32_e32 v6, 0x80000000, v6
	s_delay_alu instid0(VALU_DEP_1)
	v_or3_b32 v7, v9, v6, v7
.LBB454_1511:                           ;   in Loop: Header=BB454_799 Depth=1
	s_or_b32 exec_lo, exec_lo, s13
.LBB454_1512:                           ;   in Loop: Header=BB454_799 Depth=1
	s_delay_alu instid0(SALU_CYCLE_1)
	s_or_b32 exec_lo, exec_lo, s12
.LBB454_1513:                           ;   in Loop: Header=BB454_799 Depth=1
	s_delay_alu instid0(SALU_CYCLE_1) | instskip(NEXT) | instid1(VALU_DEP_1)
	s_or_b32 exec_lo, exec_lo, s9
	v_mul_f32_e32 v6, v26, v7
                                        ; implicit-def: $vgpr149
	s_delay_alu instid0(VALU_DEP_1) | instskip(NEXT) | instid1(VALU_DEP_1)
	v_and_b32_e32 v7, 0x7f800000, v6
	v_cmp_ne_u32_e64 s0, 0x7f800000, v7
	s_delay_alu instid0(VALU_DEP_1) | instskip(NEXT) | instid1(SALU_CYCLE_1)
	s_and_saveexec_b32 s9, s0
	s_xor_b32 s0, exec_lo, s9
; %bb.1514:                             ;   in Loop: Header=BB454_799 Depth=1
	v_bfe_u32 v7, v6, 16, 1
	s_delay_alu instid0(VALU_DEP_1)
	v_add3_u32 v149, v6, v7, 0x7fff
                                        ; implicit-def: $vgpr6
; %bb.1515:                             ;   in Loop: Header=BB454_799 Depth=1
	s_and_not1_saveexec_b32 s9, s0
; %bb.1516:                             ;   in Loop: Header=BB454_799 Depth=1
	v_and_b32_e32 v7, 0xffff, v6
	v_or_b32_e32 v9, 0x10000, v6
	s_delay_alu instid0(VALU_DEP_2) | instskip(NEXT) | instid1(VALU_DEP_1)
	v_cmp_eq_u32_e64 s0, 0, v7
	v_cndmask_b32_e64 v149, v9, v6, s0
; %bb.1517:                             ;   in Loop: Header=BB454_799 Depth=1
	s_or_b32 exec_lo, exec_lo, s9
	v_mov_b32_e32 v7, 0
	s_mov_b32 s9, exec_lo
	v_cmpx_lt_u32_e32 0xffffff, v2
	s_cbranch_execz .LBB454_1525
; %bb.1518:                             ;   in Loop: Header=BB454_799 Depth=1
	v_lshrrev_b32_e32 v6, 24, v2
	v_bfrev_b32_e32 v7, 1
	s_mov_b32 s12, exec_lo
	s_delay_alu instid0(VALU_DEP_2)
	v_cmpx_ne_u32_e32 0x80, v6
	s_cbranch_execz .LBB454_1524
; %bb.1519:                             ;   in Loop: Header=BB454_799 Depth=1
	v_bfe_u32 v150, v2, 24, 7
	v_mov_b32_e32 v7, 0x7f800001
	s_mov_b32 s13, exec_lo
	s_delay_alu instid0(VALU_DEP_2)
	v_cmpx_ne_u32_e32 0x7f, v150
	s_cbranch_execz .LBB454_1523
; %bb.1520:                             ;   in Loop: Header=BB454_799 Depth=1
	v_and_b32_e32 v9, 7, v6
	v_lshrrev_b32_e32 v7, 3, v150
	s_mov_b32 s15, exec_lo
	v_cmpx_gt_u32_e32 8, v150
; %bb.1521:                             ;   in Loop: Header=BB454_799 Depth=1
	s_delay_alu instid0(VALU_DEP_3) | instskip(NEXT) | instid1(VALU_DEP_1)
	v_clz_i32_u32_e32 v7, v9
	v_min_u32_e32 v7, 32, v7
	s_delay_alu instid0(VALU_DEP_1) | instskip(SKIP_1) | instid1(VALU_DEP_2)
	v_subrev_nc_u32_e32 v150, 28, v7
	v_sub_nc_u32_e32 v7, 29, v7
	v_lshlrev_b64 v[150:151], v150, v[9:10]
	s_delay_alu instid0(VALU_DEP_1)
	v_and_b32_e32 v9, 7, v150
; %bb.1522:                             ;   in Loop: Header=BB454_799 Depth=1
	s_or_b32 exec_lo, exec_lo, s15
	v_lshlrev_b32_e32 v6, 24, v6
	s_delay_alu instid0(VALU_DEP_2) | instskip(SKIP_1) | instid1(VALU_DEP_3)
	v_lshlrev_b32_e32 v9, 20, v9
	v_lshl_add_u32 v7, v7, 23, 0x3c000000
	v_and_b32_e32 v6, 0x80000000, v6
	s_delay_alu instid0(VALU_DEP_1)
	v_or3_b32 v7, v9, v6, v7
.LBB454_1523:                           ;   in Loop: Header=BB454_799 Depth=1
	s_or_b32 exec_lo, exec_lo, s13
.LBB454_1524:                           ;   in Loop: Header=BB454_799 Depth=1
	s_delay_alu instid0(SALU_CYCLE_1)
	s_or_b32 exec_lo, exec_lo, s12
.LBB454_1525:                           ;   in Loop: Header=BB454_799 Depth=1
	s_delay_alu instid0(SALU_CYCLE_1) | instskip(NEXT) | instid1(VALU_DEP_1)
	s_or_b32 exec_lo, exec_lo, s9
	v_mul_f32_e32 v6, v26, v7
                                        ; implicit-def: $vgpr150
	s_delay_alu instid0(VALU_DEP_1) | instskip(NEXT) | instid1(VALU_DEP_1)
	v_and_b32_e32 v7, 0x7f800000, v6
	v_cmp_ne_u32_e64 s0, 0x7f800000, v7
	s_delay_alu instid0(VALU_DEP_1) | instskip(NEXT) | instid1(SALU_CYCLE_1)
	s_and_saveexec_b32 s9, s0
	s_xor_b32 s0, exec_lo, s9
; %bb.1526:                             ;   in Loop: Header=BB454_799 Depth=1
	v_bfe_u32 v7, v6, 16, 1
	s_delay_alu instid0(VALU_DEP_1)
	v_add3_u32 v150, v6, v7, 0x7fff
                                        ; implicit-def: $vgpr6
; %bb.1527:                             ;   in Loop: Header=BB454_799 Depth=1
	s_and_not1_saveexec_b32 s9, s0
; %bb.1528:                             ;   in Loop: Header=BB454_799 Depth=1
	v_and_b32_e32 v7, 0xffff, v6
	v_or_b32_e32 v9, 0x10000, v6
	s_delay_alu instid0(VALU_DEP_2) | instskip(NEXT) | instid1(VALU_DEP_1)
	v_cmp_eq_u32_e64 s0, 0, v7
	v_cndmask_b32_e64 v150, v9, v6, s0
; %bb.1529:                             ;   in Loop: Header=BB454_799 Depth=1
	s_or_b32 exec_lo, exec_lo, s9
	v_dual_mov_b32 v6, 0 :: v_dual_and_b32 v7, 0xff, v3
	v_mov_b32_e32 v9, v3
	s_mov_b32 s9, exec_lo
	s_delay_alu instid0(VALU_DEP_2)
	v_cmpx_ne_u16_e32 0, v7
	s_cbranch_execz .LBB454_1537
; %bb.1530:                             ;   in Loop: Header=BB454_799 Depth=1
	v_bfrev_b32_e32 v6, 1
	s_mov_b32 s12, exec_lo
	v_cmpx_ne_u16_e32 0x80, v7
	s_cbranch_execz .LBB454_1536
; %bb.1531:                             ;   in Loop: Header=BB454_799 Depth=1
	v_and_b32_e32 v7, 0x7f, v3
	v_mov_b32_e32 v6, 0x7f800001
	s_mov_b32 s13, exec_lo
	s_delay_alu instid0(VALU_DEP_2)
	v_cmpx_ne_u32_e32 0x7f, v7
	s_cbranch_execz .LBB454_1535
; %bb.1532:                             ;   in Loop: Header=BB454_799 Depth=1
	v_lshrrev_b32_e32 v151, 3, v7
	v_cmp_gt_u32_e64 s0, 8, v7
	v_dual_mov_b32 v6, v9 :: v_dual_mov_b32 v7, v10
	s_delay_alu instid0(VALU_DEP_2)
	s_and_saveexec_b32 s15, s0
; %bb.1533:                             ;   in Loop: Header=BB454_799 Depth=1
	v_and_b32_e32 v6, 7, v3
	s_delay_alu instid0(VALU_DEP_1) | instskip(NEXT) | instid1(VALU_DEP_1)
	v_clz_i32_u32_e32 v6, v6
	v_min_u32_e32 v151, 32, v6
	s_delay_alu instid0(VALU_DEP_1) | instskip(SKIP_1) | instid1(VALU_DEP_2)
	v_subrev_nc_u32_e32 v6, 28, v151
	v_sub_nc_u32_e32 v151, 29, v151
	v_lshlrev_b64 v[6:7], v6, v[9:10]
; %bb.1534:                             ;   in Loop: Header=BB454_799 Depth=1
	s_or_b32 exec_lo, exec_lo, s15
	s_delay_alu instid0(VALU_DEP_1) | instskip(SKIP_2) | instid1(VALU_DEP_3)
	v_lshlrev_b32_e32 v6, 20, v6
	v_lshlrev_b32_e32 v7, 24, v9
	v_lshl_add_u32 v151, v151, 23, 0x3c000000
	v_and_b32_e32 v6, 0x700000, v6
	s_delay_alu instid0(VALU_DEP_3) | instskip(NEXT) | instid1(VALU_DEP_1)
	v_and_b32_e32 v7, 0x80000000, v7
	v_or3_b32 v6, v6, v7, v151
.LBB454_1535:                           ;   in Loop: Header=BB454_799 Depth=1
	s_or_b32 exec_lo, exec_lo, s13
.LBB454_1536:                           ;   in Loop: Header=BB454_799 Depth=1
	s_delay_alu instid0(SALU_CYCLE_1)
	s_or_b32 exec_lo, exec_lo, s12
.LBB454_1537:                           ;   in Loop: Header=BB454_799 Depth=1
	s_delay_alu instid0(SALU_CYCLE_1) | instskip(NEXT) | instid1(VALU_DEP_1)
	s_or_b32 exec_lo, exec_lo, s9
	v_mul_f32_e32 v6, v26, v6
                                        ; implicit-def: $vgpr151
	s_delay_alu instid0(VALU_DEP_1) | instskip(NEXT) | instid1(VALU_DEP_1)
	v_and_b32_e32 v7, 0x7f800000, v6
	v_cmp_ne_u32_e64 s0, 0x7f800000, v7
	s_delay_alu instid0(VALU_DEP_1) | instskip(NEXT) | instid1(SALU_CYCLE_1)
	s_and_saveexec_b32 s9, s0
	s_xor_b32 s0, exec_lo, s9
; %bb.1538:                             ;   in Loop: Header=BB454_799 Depth=1
	v_bfe_u32 v7, v6, 16, 1
	s_delay_alu instid0(VALU_DEP_1)
	v_add3_u32 v151, v6, v7, 0x7fff
                                        ; implicit-def: $vgpr6
; %bb.1539:                             ;   in Loop: Header=BB454_799 Depth=1
	s_and_not1_saveexec_b32 s9, s0
; %bb.1540:                             ;   in Loop: Header=BB454_799 Depth=1
	v_and_b32_e32 v7, 0xffff, v6
	v_or_b32_e32 v151, 0x10000, v6
	s_delay_alu instid0(VALU_DEP_2) | instskip(NEXT) | instid1(VALU_DEP_1)
	v_cmp_eq_u32_e64 s0, 0, v7
	v_cndmask_b32_e64 v151, v151, v6, s0
; %bb.1541:                             ;   in Loop: Header=BB454_799 Depth=1
	s_or_b32 exec_lo, exec_lo, s9
	v_lshrrev_b16 v7, 8, v9
	v_mov_b32_e32 v6, 0
	s_mov_b32 s9, exec_lo
	s_delay_alu instid0(VALU_DEP_2)
	v_cmpx_ne_u16_e32 0, v7
	s_cbranch_execz .LBB454_1549
; %bb.1542:                             ;   in Loop: Header=BB454_799 Depth=1
	v_bfrev_b32_e32 v6, 1
	s_mov_b32 s12, exec_lo
	v_cmpx_ne_u16_e32 0x80, v7
	s_cbranch_execz .LBB454_1548
; %bb.1543:                             ;   in Loop: Header=BB454_799 Depth=1
	v_and_b32_e32 v7, 0xffff, v7
	v_mov_b32_e32 v6, 0x7f800001
	s_mov_b32 s13, exec_lo
	s_delay_alu instid0(VALU_DEP_2) | instskip(NEXT) | instid1(VALU_DEP_1)
	v_and_b32_e32 v161, 0x7f, v7
	v_cmpx_ne_u32_e32 0x7f, v161
	s_cbranch_execz .LBB454_1547
; %bb.1544:                             ;   in Loop: Header=BB454_799 Depth=1
	v_dual_mov_b32 v7, v10 :: v_dual_and_b32 v6, 7, v7
	v_lshrrev_b32_e32 v160, 3, v161
	s_mov_b32 s15, exec_lo
	v_cmpx_gt_u32_e32 8, v161
; %bb.1545:                             ;   in Loop: Header=BB454_799 Depth=1
	s_delay_alu instid0(VALU_DEP_3) | instskip(NEXT) | instid1(VALU_DEP_1)
	v_clz_i32_u32_e32 v160, v6
	v_min_u32_e32 v160, 32, v160
	s_delay_alu instid0(VALU_DEP_1) | instskip(SKIP_1) | instid1(VALU_DEP_2)
	v_subrev_nc_u32_e32 v161, 28, v160
	v_sub_nc_u32_e32 v160, 29, v160
	v_lshlrev_b64 v[6:7], v161, v[6:7]
	s_delay_alu instid0(VALU_DEP_1)
	v_and_b32_e32 v6, 7, v6
; %bb.1546:                             ;   in Loop: Header=BB454_799 Depth=1
	s_or_b32 exec_lo, exec_lo, s15
	v_lshlrev_b32_e32 v7, 16, v9
	s_delay_alu instid0(VALU_DEP_2) | instskip(SKIP_1) | instid1(VALU_DEP_3)
	v_lshlrev_b32_e32 v6, 20, v6
	v_lshl_add_u32 v9, v160, 23, 0x3c000000
	v_and_b32_e32 v7, 0x80000000, v7
	s_delay_alu instid0(VALU_DEP_1)
	v_or3_b32 v6, v6, v7, v9
.LBB454_1547:                           ;   in Loop: Header=BB454_799 Depth=1
	s_or_b32 exec_lo, exec_lo, s13
.LBB454_1548:                           ;   in Loop: Header=BB454_799 Depth=1
	s_delay_alu instid0(SALU_CYCLE_1)
	s_or_b32 exec_lo, exec_lo, s12
.LBB454_1549:                           ;   in Loop: Header=BB454_799 Depth=1
	s_delay_alu instid0(SALU_CYCLE_1) | instskip(NEXT) | instid1(VALU_DEP_1)
	s_or_b32 exec_lo, exec_lo, s9
	v_mul_f32_e32 v7, v26, v6
	s_delay_alu instid0(VALU_DEP_1) | instskip(NEXT) | instid1(VALU_DEP_1)
	v_and_b32_e32 v6, 0x7f800000, v7
	v_cmp_ne_u32_e64 s0, 0x7f800000, v6
                                        ; implicit-def: $vgpr6
	s_delay_alu instid0(VALU_DEP_1) | instskip(NEXT) | instid1(SALU_CYCLE_1)
	s_and_saveexec_b32 s9, s0
	s_xor_b32 s0, exec_lo, s9
; %bb.1550:                             ;   in Loop: Header=BB454_799 Depth=1
	v_bfe_u32 v6, v7, 16, 1
	s_delay_alu instid0(VALU_DEP_1)
	v_add3_u32 v6, v7, v6, 0x7fff
                                        ; implicit-def: $vgpr7
; %bb.1551:                             ;   in Loop: Header=BB454_799 Depth=1
	s_and_not1_saveexec_b32 s9, s0
; %bb.1552:                             ;   in Loop: Header=BB454_799 Depth=1
	v_and_b32_e32 v6, 0xffff, v7
	v_or_b32_e32 v9, 0x10000, v7
	s_delay_alu instid0(VALU_DEP_2) | instskip(NEXT) | instid1(VALU_DEP_1)
	v_cmp_eq_u32_e64 s0, 0, v6
	v_cndmask_b32_e64 v6, v9, v7, s0
; %bb.1553:                             ;   in Loop: Header=BB454_799 Depth=1
	s_or_b32 exec_lo, exec_lo, s9
	v_lshrrev_b32_e32 v7, 16, v3
	s_mov_b32 s9, exec_lo
	s_delay_alu instid0(VALU_DEP_1) | instskip(NEXT) | instid1(VALU_DEP_1)
	v_dual_mov_b32 v9, 0 :: v_dual_and_b32 v160, 0xff, v7
	v_cmpx_ne_u16_e64 0, v160
	s_cbranch_execz .LBB454_1561
; %bb.1554:                             ;   in Loop: Header=BB454_799 Depth=1
	v_bfrev_b32_e32 v9, 1
	s_mov_b32 s12, exec_lo
	v_cmpx_ne_u16_e64 0x80, v160
	s_cbranch_execz .LBB454_1560
; %bb.1555:                             ;   in Loop: Header=BB454_799 Depth=1
	v_bfe_u32 v161, v3, 16, 7
	v_mov_b32_e32 v9, 0x7f800001
	s_mov_b32 s13, exec_lo
	s_delay_alu instid0(VALU_DEP_2)
	v_cmpx_ne_u32_e32 0x7f, v161
	s_cbranch_execz .LBB454_1559
; %bb.1556:                             ;   in Loop: Header=BB454_799 Depth=1
	v_and_b32_e32 v9, 7, v7
	v_lshrrev_b32_e32 v160, 3, v161
	s_mov_b32 s15, exec_lo
	v_cmpx_gt_u32_e32 8, v161
; %bb.1557:                             ;   in Loop: Header=BB454_799 Depth=1
	s_delay_alu instid0(VALU_DEP_3) | instskip(NEXT) | instid1(VALU_DEP_1)
	v_clz_i32_u32_e32 v160, v9
	v_min_u32_e32 v160, 32, v160
	s_delay_alu instid0(VALU_DEP_1) | instskip(SKIP_1) | instid1(VALU_DEP_2)
	v_subrev_nc_u32_e32 v161, 28, v160
	v_sub_nc_u32_e32 v160, 29, v160
	v_lshlrev_b64 v[161:162], v161, v[9:10]
	s_delay_alu instid0(VALU_DEP_1)
	v_and_b32_e32 v9, 7, v161
; %bb.1558:                             ;   in Loop: Header=BB454_799 Depth=1
	s_or_b32 exec_lo, exec_lo, s15
	v_lshlrev_b32_e32 v7, 24, v7
	s_delay_alu instid0(VALU_DEP_2) | instskip(SKIP_1) | instid1(VALU_DEP_3)
	v_lshlrev_b32_e32 v9, 20, v9
	v_lshl_add_u32 v160, v160, 23, 0x3c000000
	v_and_b32_e32 v7, 0x80000000, v7
	s_delay_alu instid0(VALU_DEP_1)
	v_or3_b32 v9, v9, v7, v160
.LBB454_1559:                           ;   in Loop: Header=BB454_799 Depth=1
	s_or_b32 exec_lo, exec_lo, s13
.LBB454_1560:                           ;   in Loop: Header=BB454_799 Depth=1
	s_delay_alu instid0(SALU_CYCLE_1)
	s_or_b32 exec_lo, exec_lo, s12
.LBB454_1561:                           ;   in Loop: Header=BB454_799 Depth=1
	s_delay_alu instid0(SALU_CYCLE_1) | instskip(NEXT) | instid1(VALU_DEP_1)
	s_or_b32 exec_lo, exec_lo, s9
	v_mul_f32_e32 v7, v26, v9
                                        ; implicit-def: $vgpr160
	s_delay_alu instid0(VALU_DEP_1) | instskip(NEXT) | instid1(VALU_DEP_1)
	v_and_b32_e32 v9, 0x7f800000, v7
	v_cmp_ne_u32_e64 s0, 0x7f800000, v9
	s_delay_alu instid0(VALU_DEP_1) | instskip(NEXT) | instid1(SALU_CYCLE_1)
	s_and_saveexec_b32 s9, s0
	s_xor_b32 s0, exec_lo, s9
; %bb.1562:                             ;   in Loop: Header=BB454_799 Depth=1
	v_bfe_u32 v9, v7, 16, 1
	s_delay_alu instid0(VALU_DEP_1)
	v_add3_u32 v160, v7, v9, 0x7fff
                                        ; implicit-def: $vgpr7
; %bb.1563:                             ;   in Loop: Header=BB454_799 Depth=1
	s_and_not1_saveexec_b32 s9, s0
; %bb.1564:                             ;   in Loop: Header=BB454_799 Depth=1
	v_and_b32_e32 v9, 0xffff, v7
	v_or_b32_e32 v160, 0x10000, v7
	s_delay_alu instid0(VALU_DEP_2) | instskip(NEXT) | instid1(VALU_DEP_1)
	v_cmp_eq_u32_e64 s0, 0, v9
	v_cndmask_b32_e64 v160, v160, v7, s0
; %bb.1565:                             ;   in Loop: Header=BB454_799 Depth=1
	s_or_b32 exec_lo, exec_lo, s9
	v_mov_b32_e32 v7, 0
	s_mov_b32 s9, exec_lo
	v_cmpx_lt_u64_e64 s[2:3], v[2:3]
	s_cbranch_execz .LBB454_1573
; %bb.1566:                             ;   in Loop: Header=BB454_799 Depth=1
	v_lshrrev_b32_e32 v2, 24, v3
	v_bfrev_b32_e32 v7, 1
	s_mov_b32 s12, exec_lo
	s_delay_alu instid0(VALU_DEP_2)
	v_cmpx_ne_u32_e32 0x80, v2
	s_cbranch_execz .LBB454_1572
; %bb.1567:                             ;   in Loop: Header=BB454_799 Depth=1
	v_bfe_u32 v161, v3, 24, 7
	v_mov_b32_e32 v7, 0x7f800001
	s_mov_b32 s13, exec_lo
	s_delay_alu instid0(VALU_DEP_2)
	v_cmpx_ne_u32_e32 0x7f, v161
	s_cbranch_execz .LBB454_1571
; %bb.1568:                             ;   in Loop: Header=BB454_799 Depth=1
	v_and_b32_e32 v9, 7, v2
	v_lshrrev_b32_e32 v3, 3, v161
	s_mov_b32 s15, exec_lo
	v_cmpx_gt_u32_e32 8, v161
; %bb.1569:                             ;   in Loop: Header=BB454_799 Depth=1
	s_delay_alu instid0(VALU_DEP_3) | instskip(NEXT) | instid1(VALU_DEP_1)
	v_clz_i32_u32_e32 v3, v9
	v_min_u32_e32 v3, 32, v3
	s_delay_alu instid0(VALU_DEP_1) | instskip(SKIP_1) | instid1(VALU_DEP_2)
	v_subrev_nc_u32_e32 v7, 28, v3
	v_sub_nc_u32_e32 v3, 29, v3
	v_lshlrev_b64 v[161:162], v7, v[9:10]
	s_delay_alu instid0(VALU_DEP_1)
	v_and_b32_e32 v9, 7, v161
; %bb.1570:                             ;   in Loop: Header=BB454_799 Depth=1
	s_or_b32 exec_lo, exec_lo, s15
	v_lshlrev_b32_e32 v2, 24, v2
	s_delay_alu instid0(VALU_DEP_2) | instskip(SKIP_1) | instid1(VALU_DEP_3)
	v_lshlrev_b32_e32 v7, 20, v9
	v_lshl_add_u32 v3, v3, 23, 0x3c000000
	v_and_b32_e32 v2, 0x80000000, v2
	s_delay_alu instid0(VALU_DEP_1)
	v_or3_b32 v7, v7, v2, v3
.LBB454_1571:                           ;   in Loop: Header=BB454_799 Depth=1
	s_or_b32 exec_lo, exec_lo, s13
.LBB454_1572:                           ;   in Loop: Header=BB454_799 Depth=1
	s_delay_alu instid0(SALU_CYCLE_1)
	s_or_b32 exec_lo, exec_lo, s12
.LBB454_1573:                           ;   in Loop: Header=BB454_799 Depth=1
	s_delay_alu instid0(SALU_CYCLE_1) | instskip(NEXT) | instid1(VALU_DEP_1)
	s_or_b32 exec_lo, exec_lo, s9
	v_mul_f32_e32 v3, v26, v7
	s_delay_alu instid0(VALU_DEP_1) | instskip(NEXT) | instid1(VALU_DEP_1)
	v_and_b32_e32 v2, 0x7f800000, v3
	v_cmp_ne_u32_e64 s0, 0x7f800000, v2
                                        ; implicit-def: $vgpr2
	s_delay_alu instid0(VALU_DEP_1) | instskip(NEXT) | instid1(SALU_CYCLE_1)
	s_and_saveexec_b32 s9, s0
	s_xor_b32 s0, exec_lo, s9
; %bb.1574:                             ;   in Loop: Header=BB454_799 Depth=1
	v_bfe_u32 v2, v3, 16, 1
	s_delay_alu instid0(VALU_DEP_1)
	v_add3_u32 v2, v3, v2, 0x7fff
                                        ; implicit-def: $vgpr3
; %bb.1575:                             ;   in Loop: Header=BB454_799 Depth=1
	s_and_not1_saveexec_b32 s9, s0
; %bb.1576:                             ;   in Loop: Header=BB454_799 Depth=1
	v_and_b32_e32 v2, 0xffff, v3
	v_or_b32_e32 v7, 0x10000, v3
	s_delay_alu instid0(VALU_DEP_2) | instskip(NEXT) | instid1(VALU_DEP_1)
	v_cmp_eq_u32_e64 s0, 0, v2
	v_cndmask_b32_e64 v2, v7, v3, s0
; %bb.1577:                             ;   in Loop: Header=BB454_799 Depth=1
	s_or_b32 exec_lo, exec_lo, s9
	v_lshrrev_b32_e32 v6, 16, v6
	v_lshrrev_b32_e32 v7, 16, v151
	;; [unrolled: 1-line block ×8, first 2 shown]
	s_and_saveexec_b32 s9, vcc_lo
	s_cbranch_execz .LBB454_1579
; %bb.1578:                             ;   in Loop: Header=BB454_799 Depth=1
	v_cmp_lt_i32_e64 s0, v52, v35
	s_delay_alu instid0(VALU_DEP_1) | instskip(SKIP_1) | instid1(VALU_DEP_1)
	v_cndmask_b32_e64 v147, 0, v147, s0
	v_cmp_lt_i32_e64 s0, v66, v35
	v_cndmask_b32_e64 v148, 0, v148, s0
	v_cmp_lt_i32_e64 s0, v65, v35
	s_delay_alu instid0(VALU_DEP_1) | instskip(SKIP_1) | instid1(VALU_DEP_1)
	v_cndmask_b32_e64 v149, 0, v149, s0
	v_cmp_lt_i32_e64 s0, v64, v35
	v_cndmask_b32_e64 v9, 0, v9, s0
	;; [unrolled: 5-line block ×4, first 2 shown]
.LBB454_1579:                           ;   in Loop: Header=BB454_799 Depth=1
	s_or_b32 exec_lo, exec_lo, s9
	v_lshlrev_b32_e32 v147, 16, v147
	s_delay_alu instid0(VALU_DEP_1) | instskip(NEXT) | instid1(VALU_DEP_1)
	v_mul_f32_e32 v150, v67, v147
	v_and_b32_e32 v147, 0x7f800000, v150
	s_delay_alu instid0(VALU_DEP_1) | instskip(NEXT) | instid1(VALU_DEP_1)
	v_cmp_ne_u32_e64 s0, 0x7f800000, v147
                                        ; implicit-def: $vgpr147
	s_and_saveexec_b32 s9, s0
	s_delay_alu instid0(SALU_CYCLE_1)
	s_xor_b32 s0, exec_lo, s9
; %bb.1580:                             ;   in Loop: Header=BB454_799 Depth=1
	v_bfe_u32 v147, v150, 16, 1
	s_delay_alu instid0(VALU_DEP_1)
	v_add3_u32 v147, v150, v147, 0x7fff
                                        ; implicit-def: $vgpr150
; %bb.1581:                             ;   in Loop: Header=BB454_799 Depth=1
	s_and_not1_saveexec_b32 s9, s0
; %bb.1582:                             ;   in Loop: Header=BB454_799 Depth=1
	v_and_b32_e32 v147, 0xffff, v150
	v_or_b32_e32 v151, 0x10000, v150
	s_delay_alu instid0(VALU_DEP_2) | instskip(NEXT) | instid1(VALU_DEP_1)
	v_cmp_eq_u32_e64 s0, 0, v147
	v_cndmask_b32_e64 v147, v151, v150, s0
; %bb.1583:                             ;   in Loop: Header=BB454_799 Depth=1
	s_or_b32 exec_lo, exec_lo, s9
	v_lshlrev_b32_e32 v148, 16, v148
	s_delay_alu instid0(VALU_DEP_1) | instskip(NEXT) | instid1(VALU_DEP_1)
	v_mul_f32_e32 v150, v68, v148
	v_and_b32_e32 v148, 0x7f800000, v150
	s_delay_alu instid0(VALU_DEP_1) | instskip(NEXT) | instid1(VALU_DEP_1)
	v_cmp_ne_u32_e64 s0, 0x7f800000, v148
                                        ; implicit-def: $vgpr148
	s_and_saveexec_b32 s9, s0
	s_delay_alu instid0(SALU_CYCLE_1)
	s_xor_b32 s0, exec_lo, s9
; %bb.1584:                             ;   in Loop: Header=BB454_799 Depth=1
	v_bfe_u32 v148, v150, 16, 1
	s_delay_alu instid0(VALU_DEP_1)
	v_add3_u32 v148, v150, v148, 0x7fff
                                        ; implicit-def: $vgpr150
; %bb.1585:                             ;   in Loop: Header=BB454_799 Depth=1
	s_and_not1_saveexec_b32 s9, s0
; %bb.1586:                             ;   in Loop: Header=BB454_799 Depth=1
	v_and_b32_e32 v148, 0xffff, v150
	v_or_b32_e32 v151, 0x10000, v150
	s_delay_alu instid0(VALU_DEP_2) | instskip(NEXT) | instid1(VALU_DEP_1)
	v_cmp_eq_u32_e64 s0, 0, v148
	v_cndmask_b32_e64 v148, v151, v150, s0
; %bb.1587:                             ;   in Loop: Header=BB454_799 Depth=1
	s_or_b32 exec_lo, exec_lo, s9
	v_lshlrev_b32_e32 v149, 16, v149
	s_delay_alu instid0(VALU_DEP_1) | instskip(NEXT) | instid1(VALU_DEP_1)
	v_mul_f32_e32 v150, v69, v149
	v_and_b32_e32 v149, 0x7f800000, v150
	s_delay_alu instid0(VALU_DEP_1) | instskip(NEXT) | instid1(VALU_DEP_1)
	v_cmp_ne_u32_e64 s0, 0x7f800000, v149
                                        ; implicit-def: $vgpr149
	s_and_saveexec_b32 s9, s0
	s_delay_alu instid0(SALU_CYCLE_1)
	s_xor_b32 s0, exec_lo, s9
; %bb.1588:                             ;   in Loop: Header=BB454_799 Depth=1
	v_bfe_u32 v149, v150, 16, 1
	s_delay_alu instid0(VALU_DEP_1)
	v_add3_u32 v149, v150, v149, 0x7fff
                                        ; implicit-def: $vgpr150
; %bb.1589:                             ;   in Loop: Header=BB454_799 Depth=1
	s_and_not1_saveexec_b32 s9, s0
; %bb.1590:                             ;   in Loop: Header=BB454_799 Depth=1
	v_and_b32_e32 v149, 0xffff, v150
	v_or_b32_e32 v151, 0x10000, v150
	s_delay_alu instid0(VALU_DEP_2) | instskip(NEXT) | instid1(VALU_DEP_1)
	v_cmp_eq_u32_e64 s0, 0, v149
	v_cndmask_b32_e64 v149, v151, v150, s0
; %bb.1591:                             ;   in Loop: Header=BB454_799 Depth=1
	s_or_b32 exec_lo, exec_lo, s9
	v_lshlrev_b32_e32 v9, 16, v9
	s_delay_alu instid0(VALU_DEP_1) | instskip(NEXT) | instid1(VALU_DEP_1)
	v_mul_f32_e32 v9, v70, v9
	v_and_b32_e32 v150, 0x7f800000, v9
	s_delay_alu instid0(VALU_DEP_1) | instskip(NEXT) | instid1(VALU_DEP_1)
	v_cmp_ne_u32_e64 s0, 0x7f800000, v150
                                        ; implicit-def: $vgpr150
	s_and_saveexec_b32 s9, s0
	s_delay_alu instid0(SALU_CYCLE_1)
	s_xor_b32 s0, exec_lo, s9
; %bb.1592:                             ;   in Loop: Header=BB454_799 Depth=1
	v_bfe_u32 v150, v9, 16, 1
	s_delay_alu instid0(VALU_DEP_1)
	v_add3_u32 v150, v9, v150, 0x7fff
                                        ; implicit-def: $vgpr9
; %bb.1593:                             ;   in Loop: Header=BB454_799 Depth=1
	s_and_not1_saveexec_b32 s9, s0
; %bb.1594:                             ;   in Loop: Header=BB454_799 Depth=1
	v_and_b32_e32 v150, 0xffff, v9
	v_or_b32_e32 v151, 0x10000, v9
	s_delay_alu instid0(VALU_DEP_2) | instskip(NEXT) | instid1(VALU_DEP_1)
	v_cmp_eq_u32_e64 s0, 0, v150
	v_cndmask_b32_e64 v150, v151, v9, s0
; %bb.1595:                             ;   in Loop: Header=BB454_799 Depth=1
	s_or_b32 exec_lo, exec_lo, s9
	v_lshlrev_b32_e32 v7, 16, v7
                                        ; implicit-def: $vgpr151
	s_delay_alu instid0(VALU_DEP_1) | instskip(NEXT) | instid1(VALU_DEP_1)
	v_mul_f32_e32 v7, v71, v7
	v_and_b32_e32 v9, 0x7f800000, v7
	s_delay_alu instid0(VALU_DEP_1) | instskip(NEXT) | instid1(VALU_DEP_1)
	v_cmp_ne_u32_e64 s0, 0x7f800000, v9
	s_and_saveexec_b32 s9, s0
	s_delay_alu instid0(SALU_CYCLE_1)
	s_xor_b32 s0, exec_lo, s9
; %bb.1596:                             ;   in Loop: Header=BB454_799 Depth=1
	v_bfe_u32 v9, v7, 16, 1
	s_delay_alu instid0(VALU_DEP_1)
	v_add3_u32 v151, v7, v9, 0x7fff
                                        ; implicit-def: $vgpr7
; %bb.1597:                             ;   in Loop: Header=BB454_799 Depth=1
	s_and_not1_saveexec_b32 s9, s0
; %bb.1598:                             ;   in Loop: Header=BB454_799 Depth=1
	v_and_b32_e32 v9, 0xffff, v7
	v_or_b32_e32 v151, 0x10000, v7
	s_delay_alu instid0(VALU_DEP_2) | instskip(NEXT) | instid1(VALU_DEP_1)
	v_cmp_eq_u32_e64 s0, 0, v9
	v_cndmask_b32_e64 v151, v151, v7, s0
; %bb.1599:                             ;   in Loop: Header=BB454_799 Depth=1
	s_or_b32 exec_lo, exec_lo, s9
	v_lshlrev_b32_e32 v6, 16, v6
                                        ; implicit-def: $vgpr160
	s_delay_alu instid0(VALU_DEP_1) | instskip(NEXT) | instid1(VALU_DEP_1)
	v_mul_f32_e32 v6, v80, v6
	v_and_b32_e32 v7, 0x7f800000, v6
	s_delay_alu instid0(VALU_DEP_1) | instskip(NEXT) | instid1(VALU_DEP_1)
	v_cmp_ne_u32_e64 s0, 0x7f800000, v7
	s_and_saveexec_b32 s9, s0
	s_delay_alu instid0(SALU_CYCLE_1)
	s_xor_b32 s0, exec_lo, s9
; %bb.1600:                             ;   in Loop: Header=BB454_799 Depth=1
	v_bfe_u32 v7, v6, 16, 1
	s_delay_alu instid0(VALU_DEP_1)
	v_add3_u32 v160, v6, v7, 0x7fff
                                        ; implicit-def: $vgpr6
; %bb.1601:                             ;   in Loop: Header=BB454_799 Depth=1
	s_and_not1_saveexec_b32 s9, s0
; %bb.1602:                             ;   in Loop: Header=BB454_799 Depth=1
	v_and_b32_e32 v7, 0xffff, v6
	v_or_b32_e32 v9, 0x10000, v6
	s_delay_alu instid0(VALU_DEP_2) | instskip(NEXT) | instid1(VALU_DEP_1)
	v_cmp_eq_u32_e64 s0, 0, v7
	v_cndmask_b32_e64 v160, v9, v6, s0
; %bb.1603:                             ;   in Loop: Header=BB454_799 Depth=1
	s_or_b32 exec_lo, exec_lo, s9
	v_lshlrev_b32_e32 v3, 16, v3
                                        ; implicit-def: $vgpr161
	s_delay_alu instid0(VALU_DEP_1) | instskip(NEXT) | instid1(VALU_DEP_1)
	v_mul_f32_e32 v3, v81, v3
	v_and_b32_e32 v6, 0x7f800000, v3
	s_delay_alu instid0(VALU_DEP_1) | instskip(NEXT) | instid1(VALU_DEP_1)
	v_cmp_ne_u32_e64 s0, 0x7f800000, v6
	s_and_saveexec_b32 s9, s0
	s_delay_alu instid0(SALU_CYCLE_1)
	s_xor_b32 s0, exec_lo, s9
; %bb.1604:                             ;   in Loop: Header=BB454_799 Depth=1
	v_bfe_u32 v6, v3, 16, 1
	s_delay_alu instid0(VALU_DEP_1)
	v_add3_u32 v161, v3, v6, 0x7fff
                                        ; implicit-def: $vgpr3
; %bb.1605:                             ;   in Loop: Header=BB454_799 Depth=1
	s_and_not1_saveexec_b32 s9, s0
; %bb.1606:                             ;   in Loop: Header=BB454_799 Depth=1
	v_and_b32_e32 v6, 0xffff, v3
	v_or_b32_e32 v7, 0x10000, v3
	s_delay_alu instid0(VALU_DEP_2) | instskip(NEXT) | instid1(VALU_DEP_1)
	v_cmp_eq_u32_e64 s0, 0, v6
	v_cndmask_b32_e64 v161, v7, v3, s0
; %bb.1607:                             ;   in Loop: Header=BB454_799 Depth=1
	s_or_b32 exec_lo, exec_lo, s9
	v_lshlrev_b32_e32 v2, 16, v2
                                        ; implicit-def: $vgpr162
	s_delay_alu instid0(VALU_DEP_1) | instskip(NEXT) | instid1(VALU_DEP_1)
	v_mul_f32_e32 v2, v82, v2
	v_and_b32_e32 v3, 0x7f800000, v2
	s_delay_alu instid0(VALU_DEP_1) | instskip(NEXT) | instid1(VALU_DEP_1)
	v_cmp_ne_u32_e64 s0, 0x7f800000, v3
	s_and_saveexec_b32 s9, s0
	s_delay_alu instid0(SALU_CYCLE_1)
	s_xor_b32 s0, exec_lo, s9
; %bb.1608:                             ;   in Loop: Header=BB454_799 Depth=1
	v_bfe_u32 v3, v2, 16, 1
	s_delay_alu instid0(VALU_DEP_1)
	v_add3_u32 v162, v2, v3, 0x7fff
                                        ; implicit-def: $vgpr2
; %bb.1609:                             ;   in Loop: Header=BB454_799 Depth=1
	s_and_not1_saveexec_b32 s9, s0
; %bb.1610:                             ;   in Loop: Header=BB454_799 Depth=1
	v_and_b32_e32 v3, 0xffff, v2
	v_or_b32_e32 v6, 0x10000, v2
	s_delay_alu instid0(VALU_DEP_2) | instskip(NEXT) | instid1(VALU_DEP_1)
	v_cmp_eq_u32_e64 s0, 0, v3
	v_cndmask_b32_e64 v162, v6, v2, s0
; %bb.1611:                             ;   in Loop: Header=BB454_799 Depth=1
	s_or_b32 exec_lo, exec_lo, s9
	flat_load_b64 v[2:3], v[0:1] offset:1536
	s_mov_b32 s9, exec_lo
	s_waitcnt vmcnt(0) lgkmcnt(0)
	v_dual_mov_b32 v6, 0 :: v_dual_and_b32 v7, 0xff, v2
	s_delay_alu instid0(VALU_DEP_1)
	v_cmpx_ne_u16_e32 0, v7
	s_cbranch_execz .LBB454_1619
; %bb.1612:                             ;   in Loop: Header=BB454_799 Depth=1
	v_bfrev_b32_e32 v6, 1
	s_mov_b32 s12, exec_lo
	v_cmpx_ne_u16_e32 0x80, v7
	s_cbranch_execz .LBB454_1618
; %bb.1613:                             ;   in Loop: Header=BB454_799 Depth=1
	v_and_b32_e32 v7, 0x7f, v2
	v_mov_b32_e32 v6, 0x7f800001
	s_mov_b32 s13, exec_lo
	s_delay_alu instid0(VALU_DEP_2)
	v_cmpx_ne_u32_e32 0x7f, v7
	s_cbranch_execz .LBB454_1617
; %bb.1614:                             ;   in Loop: Header=BB454_799 Depth=1
	v_lshrrev_b32_e32 v9, 3, v7
	v_cmp_gt_u32_e64 s0, 8, v7
	v_dual_mov_b32 v7, v3 :: v_dual_mov_b32 v6, v2
	s_delay_alu instid0(VALU_DEP_2)
	s_and_saveexec_b32 s15, s0
; %bb.1615:                             ;   in Loop: Header=BB454_799 Depth=1
	v_and_b32_e32 v6, 7, v2
	s_delay_alu instid0(VALU_DEP_1) | instskip(NEXT) | instid1(VALU_DEP_1)
	v_clz_i32_u32_e32 v6, v6
	v_min_u32_e32 v9, 32, v6
	s_delay_alu instid0(VALU_DEP_1) | instskip(SKIP_1) | instid1(VALU_DEP_2)
	v_subrev_nc_u32_e32 v6, 28, v9
	v_sub_nc_u32_e32 v9, 29, v9
	v_lshlrev_b64 v[6:7], v6, v[2:3]
; %bb.1616:                             ;   in Loop: Header=BB454_799 Depth=1
	s_or_b32 exec_lo, exec_lo, s15
	s_delay_alu instid0(VALU_DEP_1) | instskip(SKIP_2) | instid1(VALU_DEP_3)
	v_lshlrev_b32_e32 v6, 20, v6
	v_lshlrev_b32_e32 v7, 24, v2
	v_lshl_add_u32 v9, v9, 23, 0x3c000000
	v_and_b32_e32 v6, 0x700000, v6
	s_delay_alu instid0(VALU_DEP_3) | instskip(NEXT) | instid1(VALU_DEP_1)
	v_and_b32_e32 v7, 0x80000000, v7
	v_or3_b32 v6, v6, v7, v9
.LBB454_1617:                           ;   in Loop: Header=BB454_799 Depth=1
	s_or_b32 exec_lo, exec_lo, s13
.LBB454_1618:                           ;   in Loop: Header=BB454_799 Depth=1
	s_delay_alu instid0(SALU_CYCLE_1)
	s_or_b32 exec_lo, exec_lo, s12
.LBB454_1619:                           ;   in Loop: Header=BB454_799 Depth=1
	s_delay_alu instid0(SALU_CYCLE_1) | instskip(NEXT) | instid1(VALU_DEP_1)
	s_or_b32 exec_lo, exec_lo, s9
	v_mul_f32_e32 v6, v26, v6
                                        ; implicit-def: $vgpr163
	s_delay_alu instid0(VALU_DEP_1) | instskip(NEXT) | instid1(VALU_DEP_1)
	v_and_b32_e32 v7, 0x7f800000, v6
	v_cmp_ne_u32_e64 s0, 0x7f800000, v7
	s_delay_alu instid0(VALU_DEP_1) | instskip(NEXT) | instid1(SALU_CYCLE_1)
	s_and_saveexec_b32 s9, s0
	s_xor_b32 s0, exec_lo, s9
; %bb.1620:                             ;   in Loop: Header=BB454_799 Depth=1
	v_bfe_u32 v7, v6, 16, 1
	s_delay_alu instid0(VALU_DEP_1)
	v_add3_u32 v163, v6, v7, 0x7fff
                                        ; implicit-def: $vgpr6
; %bb.1621:                             ;   in Loop: Header=BB454_799 Depth=1
	s_and_not1_saveexec_b32 s9, s0
; %bb.1622:                             ;   in Loop: Header=BB454_799 Depth=1
	v_and_b32_e32 v7, 0xffff, v6
	v_or_b32_e32 v9, 0x10000, v6
	s_delay_alu instid0(VALU_DEP_2) | instskip(NEXT) | instid1(VALU_DEP_1)
	v_cmp_eq_u32_e64 s0, 0, v7
	v_cndmask_b32_e64 v163, v9, v6, s0
; %bb.1623:                             ;   in Loop: Header=BB454_799 Depth=1
	s_or_b32 exec_lo, exec_lo, s9
	v_lshrrev_b16 v7, 8, v2
	v_mov_b32_e32 v6, 0
	s_mov_b32 s9, exec_lo
	s_delay_alu instid0(VALU_DEP_2)
	v_cmpx_ne_u16_e32 0, v7
	s_cbranch_execz .LBB454_1631
; %bb.1624:                             ;   in Loop: Header=BB454_799 Depth=1
	v_bfrev_b32_e32 v6, 1
	s_mov_b32 s12, exec_lo
	v_cmpx_ne_u16_e32 0x80, v7
	s_cbranch_execz .LBB454_1630
; %bb.1625:                             ;   in Loop: Header=BB454_799 Depth=1
	v_and_b32_e32 v9, 0xffff, v7
	v_mov_b32_e32 v6, 0x7f800001
	s_mov_b32 s13, exec_lo
	s_delay_alu instid0(VALU_DEP_2) | instskip(NEXT) | instid1(VALU_DEP_1)
	v_and_b32_e32 v7, 0x7f, v9
	v_cmpx_ne_u32_e32 0x7f, v7
	s_cbranch_execz .LBB454_1629
; %bb.1626:                             ;   in Loop: Header=BB454_799 Depth=1
	v_and_b32_e32 v9, 7, v9
	v_lshrrev_b32_e32 v6, 3, v7
	s_mov_b32 s15, exec_lo
	v_cmpx_gt_u32_e32 8, v7
; %bb.1627:                             ;   in Loop: Header=BB454_799 Depth=1
	s_delay_alu instid0(VALU_DEP_3) | instskip(NEXT) | instid1(VALU_DEP_1)
	v_clz_i32_u32_e32 v6, v9
	v_min_u32_e32 v6, 32, v6
	s_delay_alu instid0(VALU_DEP_1) | instskip(SKIP_1) | instid1(VALU_DEP_2)
	v_subrev_nc_u32_e32 v7, 28, v6
	v_sub_nc_u32_e32 v6, 29, v6
	v_lshlrev_b64 v[164:165], v7, v[9:10]
	s_delay_alu instid0(VALU_DEP_1)
	v_and_b32_e32 v9, 7, v164
; %bb.1628:                             ;   in Loop: Header=BB454_799 Depth=1
	s_or_b32 exec_lo, exec_lo, s15
	v_lshlrev_b32_e32 v7, 16, v2
	s_delay_alu instid0(VALU_DEP_2) | instskip(SKIP_1) | instid1(VALU_DEP_3)
	v_lshlrev_b32_e32 v9, 20, v9
	v_lshl_add_u32 v6, v6, 23, 0x3c000000
	v_and_b32_e32 v7, 0x80000000, v7
	s_delay_alu instid0(VALU_DEP_1)
	v_or3_b32 v6, v9, v7, v6
.LBB454_1629:                           ;   in Loop: Header=BB454_799 Depth=1
	s_or_b32 exec_lo, exec_lo, s13
.LBB454_1630:                           ;   in Loop: Header=BB454_799 Depth=1
	s_delay_alu instid0(SALU_CYCLE_1)
	s_or_b32 exec_lo, exec_lo, s12
.LBB454_1631:                           ;   in Loop: Header=BB454_799 Depth=1
	s_delay_alu instid0(SALU_CYCLE_1) | instskip(NEXT) | instid1(VALU_DEP_1)
	s_or_b32 exec_lo, exec_lo, s9
	v_mul_f32_e32 v6, v26, v6
                                        ; implicit-def: $vgpr164
	s_delay_alu instid0(VALU_DEP_1) | instskip(NEXT) | instid1(VALU_DEP_1)
	v_and_b32_e32 v7, 0x7f800000, v6
	v_cmp_ne_u32_e64 s0, 0x7f800000, v7
	s_delay_alu instid0(VALU_DEP_1) | instskip(NEXT) | instid1(SALU_CYCLE_1)
	s_and_saveexec_b32 s9, s0
	s_xor_b32 s0, exec_lo, s9
; %bb.1632:                             ;   in Loop: Header=BB454_799 Depth=1
	v_bfe_u32 v7, v6, 16, 1
	s_delay_alu instid0(VALU_DEP_1)
	v_add3_u32 v164, v6, v7, 0x7fff
                                        ; implicit-def: $vgpr6
; %bb.1633:                             ;   in Loop: Header=BB454_799 Depth=1
	s_and_not1_saveexec_b32 s9, s0
; %bb.1634:                             ;   in Loop: Header=BB454_799 Depth=1
	v_and_b32_e32 v7, 0xffff, v6
	v_or_b32_e32 v9, 0x10000, v6
	s_delay_alu instid0(VALU_DEP_2) | instskip(NEXT) | instid1(VALU_DEP_1)
	v_cmp_eq_u32_e64 s0, 0, v7
	v_cndmask_b32_e64 v164, v9, v6, s0
; %bb.1635:                             ;   in Loop: Header=BB454_799 Depth=1
	s_or_b32 exec_lo, exec_lo, s9
	v_lshrrev_b32_e32 v6, 16, v2
	v_mov_b32_e32 v7, 0
	s_mov_b32 s9, exec_lo
	s_delay_alu instid0(VALU_DEP_2) | instskip(NEXT) | instid1(VALU_DEP_1)
	v_and_b32_e32 v9, 0xff, v6
	v_cmpx_ne_u16_e32 0, v9
	s_cbranch_execz .LBB454_1643
; %bb.1636:                             ;   in Loop: Header=BB454_799 Depth=1
	v_bfrev_b32_e32 v7, 1
	s_mov_b32 s12, exec_lo
	v_cmpx_ne_u16_e32 0x80, v9
	s_cbranch_execz .LBB454_1642
; %bb.1637:                             ;   in Loop: Header=BB454_799 Depth=1
	v_bfe_u32 v165, v2, 16, 7
	v_mov_b32_e32 v7, 0x7f800001
	s_mov_b32 s13, exec_lo
	s_delay_alu instid0(VALU_DEP_2)
	v_cmpx_ne_u32_e32 0x7f, v165
	s_cbranch_execz .LBB454_1641
; %bb.1638:                             ;   in Loop: Header=BB454_799 Depth=1
	v_and_b32_e32 v9, 7, v6
	v_lshrrev_b32_e32 v7, 3, v165
	s_mov_b32 s15, exec_lo
	v_cmpx_gt_u32_e32 8, v165
; %bb.1639:                             ;   in Loop: Header=BB454_799 Depth=1
	s_delay_alu instid0(VALU_DEP_3) | instskip(NEXT) | instid1(VALU_DEP_1)
	v_clz_i32_u32_e32 v7, v9
	v_min_u32_e32 v7, 32, v7
	s_delay_alu instid0(VALU_DEP_1) | instskip(SKIP_1) | instid1(VALU_DEP_2)
	v_subrev_nc_u32_e32 v165, 28, v7
	v_sub_nc_u32_e32 v7, 29, v7
	v_lshlrev_b64 v[165:166], v165, v[9:10]
	s_delay_alu instid0(VALU_DEP_1)
	v_and_b32_e32 v9, 7, v165
; %bb.1640:                             ;   in Loop: Header=BB454_799 Depth=1
	s_or_b32 exec_lo, exec_lo, s15
	v_lshlrev_b32_e32 v6, 24, v6
	s_delay_alu instid0(VALU_DEP_2) | instskip(SKIP_1) | instid1(VALU_DEP_3)
	v_lshlrev_b32_e32 v9, 20, v9
	v_lshl_add_u32 v7, v7, 23, 0x3c000000
	v_and_b32_e32 v6, 0x80000000, v6
	s_delay_alu instid0(VALU_DEP_1)
	v_or3_b32 v7, v9, v6, v7
.LBB454_1641:                           ;   in Loop: Header=BB454_799 Depth=1
	s_or_b32 exec_lo, exec_lo, s13
.LBB454_1642:                           ;   in Loop: Header=BB454_799 Depth=1
	s_delay_alu instid0(SALU_CYCLE_1)
	s_or_b32 exec_lo, exec_lo, s12
.LBB454_1643:                           ;   in Loop: Header=BB454_799 Depth=1
	s_delay_alu instid0(SALU_CYCLE_1) | instskip(NEXT) | instid1(VALU_DEP_1)
	s_or_b32 exec_lo, exec_lo, s9
	v_mul_f32_e32 v6, v26, v7
                                        ; implicit-def: $vgpr165
	s_delay_alu instid0(VALU_DEP_1) | instskip(NEXT) | instid1(VALU_DEP_1)
	v_and_b32_e32 v7, 0x7f800000, v6
	v_cmp_ne_u32_e64 s0, 0x7f800000, v7
	s_delay_alu instid0(VALU_DEP_1) | instskip(NEXT) | instid1(SALU_CYCLE_1)
	s_and_saveexec_b32 s9, s0
	s_xor_b32 s0, exec_lo, s9
; %bb.1644:                             ;   in Loop: Header=BB454_799 Depth=1
	v_bfe_u32 v7, v6, 16, 1
	s_delay_alu instid0(VALU_DEP_1)
	v_add3_u32 v165, v6, v7, 0x7fff
                                        ; implicit-def: $vgpr6
; %bb.1645:                             ;   in Loop: Header=BB454_799 Depth=1
	s_and_not1_saveexec_b32 s9, s0
; %bb.1646:                             ;   in Loop: Header=BB454_799 Depth=1
	v_and_b32_e32 v7, 0xffff, v6
	v_or_b32_e32 v9, 0x10000, v6
	s_delay_alu instid0(VALU_DEP_2) | instskip(NEXT) | instid1(VALU_DEP_1)
	v_cmp_eq_u32_e64 s0, 0, v7
	v_cndmask_b32_e64 v165, v9, v6, s0
; %bb.1647:                             ;   in Loop: Header=BB454_799 Depth=1
	s_or_b32 exec_lo, exec_lo, s9
	v_mov_b32_e32 v7, 0
	s_mov_b32 s9, exec_lo
	v_cmpx_lt_u32_e32 0xffffff, v2
	s_cbranch_execz .LBB454_1655
; %bb.1648:                             ;   in Loop: Header=BB454_799 Depth=1
	v_lshrrev_b32_e32 v6, 24, v2
	v_bfrev_b32_e32 v7, 1
	s_mov_b32 s12, exec_lo
	s_delay_alu instid0(VALU_DEP_2)
	v_cmpx_ne_u32_e32 0x80, v6
	s_cbranch_execz .LBB454_1654
; %bb.1649:                             ;   in Loop: Header=BB454_799 Depth=1
	v_bfe_u32 v166, v2, 24, 7
	v_mov_b32_e32 v7, 0x7f800001
	s_mov_b32 s13, exec_lo
	s_delay_alu instid0(VALU_DEP_2)
	v_cmpx_ne_u32_e32 0x7f, v166
	s_cbranch_execz .LBB454_1653
; %bb.1650:                             ;   in Loop: Header=BB454_799 Depth=1
	v_and_b32_e32 v9, 7, v6
	v_lshrrev_b32_e32 v7, 3, v166
	s_mov_b32 s15, exec_lo
	v_cmpx_gt_u32_e32 8, v166
; %bb.1651:                             ;   in Loop: Header=BB454_799 Depth=1
	s_delay_alu instid0(VALU_DEP_3) | instskip(NEXT) | instid1(VALU_DEP_1)
	v_clz_i32_u32_e32 v7, v9
	v_min_u32_e32 v7, 32, v7
	s_delay_alu instid0(VALU_DEP_1) | instskip(SKIP_1) | instid1(VALU_DEP_2)
	v_subrev_nc_u32_e32 v166, 28, v7
	v_sub_nc_u32_e32 v7, 29, v7
	v_lshlrev_b64 v[166:167], v166, v[9:10]
	s_delay_alu instid0(VALU_DEP_1)
	v_and_b32_e32 v9, 7, v166
; %bb.1652:                             ;   in Loop: Header=BB454_799 Depth=1
	s_or_b32 exec_lo, exec_lo, s15
	v_lshlrev_b32_e32 v6, 24, v6
	s_delay_alu instid0(VALU_DEP_2) | instskip(SKIP_1) | instid1(VALU_DEP_3)
	v_lshlrev_b32_e32 v9, 20, v9
	v_lshl_add_u32 v7, v7, 23, 0x3c000000
	v_and_b32_e32 v6, 0x80000000, v6
	s_delay_alu instid0(VALU_DEP_1)
	v_or3_b32 v7, v9, v6, v7
.LBB454_1653:                           ;   in Loop: Header=BB454_799 Depth=1
	s_or_b32 exec_lo, exec_lo, s13
.LBB454_1654:                           ;   in Loop: Header=BB454_799 Depth=1
	s_delay_alu instid0(SALU_CYCLE_1)
	s_or_b32 exec_lo, exec_lo, s12
.LBB454_1655:                           ;   in Loop: Header=BB454_799 Depth=1
	s_delay_alu instid0(SALU_CYCLE_1) | instskip(NEXT) | instid1(VALU_DEP_1)
	s_or_b32 exec_lo, exec_lo, s9
	v_mul_f32_e32 v6, v26, v7
                                        ; implicit-def: $vgpr166
	s_delay_alu instid0(VALU_DEP_1) | instskip(NEXT) | instid1(VALU_DEP_1)
	v_and_b32_e32 v7, 0x7f800000, v6
	v_cmp_ne_u32_e64 s0, 0x7f800000, v7
	s_delay_alu instid0(VALU_DEP_1) | instskip(NEXT) | instid1(SALU_CYCLE_1)
	s_and_saveexec_b32 s9, s0
	s_xor_b32 s0, exec_lo, s9
; %bb.1656:                             ;   in Loop: Header=BB454_799 Depth=1
	v_bfe_u32 v7, v6, 16, 1
	s_delay_alu instid0(VALU_DEP_1)
	v_add3_u32 v166, v6, v7, 0x7fff
                                        ; implicit-def: $vgpr6
; %bb.1657:                             ;   in Loop: Header=BB454_799 Depth=1
	s_and_not1_saveexec_b32 s9, s0
; %bb.1658:                             ;   in Loop: Header=BB454_799 Depth=1
	v_and_b32_e32 v7, 0xffff, v6
	v_or_b32_e32 v9, 0x10000, v6
	s_delay_alu instid0(VALU_DEP_2) | instskip(NEXT) | instid1(VALU_DEP_1)
	v_cmp_eq_u32_e64 s0, 0, v7
	v_cndmask_b32_e64 v166, v9, v6, s0
; %bb.1659:                             ;   in Loop: Header=BB454_799 Depth=1
	s_or_b32 exec_lo, exec_lo, s9
	v_dual_mov_b32 v6, 0 :: v_dual_and_b32 v7, 0xff, v3
	v_mov_b32_e32 v9, v3
	s_mov_b32 s9, exec_lo
	s_delay_alu instid0(VALU_DEP_2)
	v_cmpx_ne_u16_e32 0, v7
	s_cbranch_execz .LBB454_1667
; %bb.1660:                             ;   in Loop: Header=BB454_799 Depth=1
	v_bfrev_b32_e32 v6, 1
	s_mov_b32 s12, exec_lo
	v_cmpx_ne_u16_e32 0x80, v7
	s_cbranch_execz .LBB454_1666
; %bb.1661:                             ;   in Loop: Header=BB454_799 Depth=1
	v_and_b32_e32 v7, 0x7f, v3
	v_mov_b32_e32 v6, 0x7f800001
	s_mov_b32 s13, exec_lo
	s_delay_alu instid0(VALU_DEP_2)
	v_cmpx_ne_u32_e32 0x7f, v7
	s_cbranch_execz .LBB454_1665
; %bb.1662:                             ;   in Loop: Header=BB454_799 Depth=1
	v_lshrrev_b32_e32 v167, 3, v7
	v_cmp_gt_u32_e64 s0, 8, v7
	v_dual_mov_b32 v6, v9 :: v_dual_mov_b32 v7, v10
	s_delay_alu instid0(VALU_DEP_2)
	s_and_saveexec_b32 s15, s0
; %bb.1663:                             ;   in Loop: Header=BB454_799 Depth=1
	v_and_b32_e32 v6, 7, v3
	s_delay_alu instid0(VALU_DEP_1) | instskip(NEXT) | instid1(VALU_DEP_1)
	v_clz_i32_u32_e32 v6, v6
	v_min_u32_e32 v167, 32, v6
	s_delay_alu instid0(VALU_DEP_1) | instskip(SKIP_1) | instid1(VALU_DEP_2)
	v_subrev_nc_u32_e32 v6, 28, v167
	v_sub_nc_u32_e32 v167, 29, v167
	v_lshlrev_b64 v[6:7], v6, v[9:10]
; %bb.1664:                             ;   in Loop: Header=BB454_799 Depth=1
	s_or_b32 exec_lo, exec_lo, s15
	s_delay_alu instid0(VALU_DEP_1) | instskip(SKIP_2) | instid1(VALU_DEP_3)
	v_lshlrev_b32_e32 v6, 20, v6
	v_lshlrev_b32_e32 v7, 24, v9
	v_lshl_add_u32 v167, v167, 23, 0x3c000000
	v_and_b32_e32 v6, 0x700000, v6
	s_delay_alu instid0(VALU_DEP_3) | instskip(NEXT) | instid1(VALU_DEP_1)
	v_and_b32_e32 v7, 0x80000000, v7
	v_or3_b32 v6, v6, v7, v167
.LBB454_1665:                           ;   in Loop: Header=BB454_799 Depth=1
	s_or_b32 exec_lo, exec_lo, s13
.LBB454_1666:                           ;   in Loop: Header=BB454_799 Depth=1
	s_delay_alu instid0(SALU_CYCLE_1)
	s_or_b32 exec_lo, exec_lo, s12
.LBB454_1667:                           ;   in Loop: Header=BB454_799 Depth=1
	s_delay_alu instid0(SALU_CYCLE_1) | instskip(NEXT) | instid1(VALU_DEP_1)
	s_or_b32 exec_lo, exec_lo, s9
	v_mul_f32_e32 v6, v26, v6
                                        ; implicit-def: $vgpr167
	s_delay_alu instid0(VALU_DEP_1) | instskip(NEXT) | instid1(VALU_DEP_1)
	v_and_b32_e32 v7, 0x7f800000, v6
	v_cmp_ne_u32_e64 s0, 0x7f800000, v7
	s_delay_alu instid0(VALU_DEP_1) | instskip(NEXT) | instid1(SALU_CYCLE_1)
	s_and_saveexec_b32 s9, s0
	s_xor_b32 s0, exec_lo, s9
; %bb.1668:                             ;   in Loop: Header=BB454_799 Depth=1
	v_bfe_u32 v7, v6, 16, 1
	s_delay_alu instid0(VALU_DEP_1)
	v_add3_u32 v167, v6, v7, 0x7fff
                                        ; implicit-def: $vgpr6
; %bb.1669:                             ;   in Loop: Header=BB454_799 Depth=1
	s_and_not1_saveexec_b32 s9, s0
; %bb.1670:                             ;   in Loop: Header=BB454_799 Depth=1
	v_and_b32_e32 v7, 0xffff, v6
	v_or_b32_e32 v167, 0x10000, v6
	s_delay_alu instid0(VALU_DEP_2) | instskip(NEXT) | instid1(VALU_DEP_1)
	v_cmp_eq_u32_e64 s0, 0, v7
	v_cndmask_b32_e64 v167, v167, v6, s0
; %bb.1671:                             ;   in Loop: Header=BB454_799 Depth=1
	s_or_b32 exec_lo, exec_lo, s9
	v_lshrrev_b16 v7, 8, v9
	v_mov_b32_e32 v6, 0
	s_mov_b32 s9, exec_lo
	s_delay_alu instid0(VALU_DEP_2)
	v_cmpx_ne_u16_e32 0, v7
	s_cbranch_execz .LBB454_1679
; %bb.1672:                             ;   in Loop: Header=BB454_799 Depth=1
	v_bfrev_b32_e32 v6, 1
	s_mov_b32 s12, exec_lo
	v_cmpx_ne_u16_e32 0x80, v7
	s_cbranch_execz .LBB454_1678
; %bb.1673:                             ;   in Loop: Header=BB454_799 Depth=1
	v_and_b32_e32 v7, 0xffff, v7
	v_mov_b32_e32 v6, 0x7f800001
	s_mov_b32 s13, exec_lo
	s_delay_alu instid0(VALU_DEP_2) | instskip(NEXT) | instid1(VALU_DEP_1)
	v_and_b32_e32 v177, 0x7f, v7
	v_cmpx_ne_u32_e32 0x7f, v177
	s_cbranch_execz .LBB454_1677
; %bb.1674:                             ;   in Loop: Header=BB454_799 Depth=1
	v_dual_mov_b32 v7, v10 :: v_dual_and_b32 v6, 7, v7
	v_lshrrev_b32_e32 v176, 3, v177
	s_mov_b32 s15, exec_lo
	v_cmpx_gt_u32_e32 8, v177
; %bb.1675:                             ;   in Loop: Header=BB454_799 Depth=1
	s_delay_alu instid0(VALU_DEP_3) | instskip(NEXT) | instid1(VALU_DEP_1)
	v_clz_i32_u32_e32 v176, v6
	v_min_u32_e32 v176, 32, v176
	s_delay_alu instid0(VALU_DEP_1) | instskip(SKIP_1) | instid1(VALU_DEP_2)
	v_subrev_nc_u32_e32 v177, 28, v176
	v_sub_nc_u32_e32 v176, 29, v176
	v_lshlrev_b64 v[6:7], v177, v[6:7]
	s_delay_alu instid0(VALU_DEP_1)
	v_and_b32_e32 v6, 7, v6
; %bb.1676:                             ;   in Loop: Header=BB454_799 Depth=1
	s_or_b32 exec_lo, exec_lo, s15
	v_lshlrev_b32_e32 v7, 16, v9
	s_delay_alu instid0(VALU_DEP_2) | instskip(SKIP_1) | instid1(VALU_DEP_3)
	v_lshlrev_b32_e32 v6, 20, v6
	v_lshl_add_u32 v9, v176, 23, 0x3c000000
	v_and_b32_e32 v7, 0x80000000, v7
	s_delay_alu instid0(VALU_DEP_1)
	v_or3_b32 v6, v6, v7, v9
.LBB454_1677:                           ;   in Loop: Header=BB454_799 Depth=1
	s_or_b32 exec_lo, exec_lo, s13
.LBB454_1678:                           ;   in Loop: Header=BB454_799 Depth=1
	s_delay_alu instid0(SALU_CYCLE_1)
	s_or_b32 exec_lo, exec_lo, s12
.LBB454_1679:                           ;   in Loop: Header=BB454_799 Depth=1
	s_delay_alu instid0(SALU_CYCLE_1) | instskip(NEXT) | instid1(VALU_DEP_1)
	s_or_b32 exec_lo, exec_lo, s9
	v_mul_f32_e32 v7, v26, v6
	s_delay_alu instid0(VALU_DEP_1) | instskip(NEXT) | instid1(VALU_DEP_1)
	v_and_b32_e32 v6, 0x7f800000, v7
	v_cmp_ne_u32_e64 s0, 0x7f800000, v6
                                        ; implicit-def: $vgpr6
	s_delay_alu instid0(VALU_DEP_1) | instskip(NEXT) | instid1(SALU_CYCLE_1)
	s_and_saveexec_b32 s9, s0
	s_xor_b32 s0, exec_lo, s9
; %bb.1680:                             ;   in Loop: Header=BB454_799 Depth=1
	v_bfe_u32 v6, v7, 16, 1
	s_delay_alu instid0(VALU_DEP_1)
	v_add3_u32 v6, v7, v6, 0x7fff
                                        ; implicit-def: $vgpr7
; %bb.1681:                             ;   in Loop: Header=BB454_799 Depth=1
	s_and_not1_saveexec_b32 s9, s0
; %bb.1682:                             ;   in Loop: Header=BB454_799 Depth=1
	v_and_b32_e32 v6, 0xffff, v7
	v_or_b32_e32 v9, 0x10000, v7
	s_delay_alu instid0(VALU_DEP_2) | instskip(NEXT) | instid1(VALU_DEP_1)
	v_cmp_eq_u32_e64 s0, 0, v6
	v_cndmask_b32_e64 v6, v9, v7, s0
; %bb.1683:                             ;   in Loop: Header=BB454_799 Depth=1
	s_or_b32 exec_lo, exec_lo, s9
	v_lshrrev_b32_e32 v7, 16, v3
	s_mov_b32 s9, exec_lo
	s_delay_alu instid0(VALU_DEP_1) | instskip(NEXT) | instid1(VALU_DEP_1)
	v_dual_mov_b32 v9, 0 :: v_dual_and_b32 v176, 0xff, v7
	v_cmpx_ne_u16_e64 0, v176
	s_cbranch_execz .LBB454_1691
; %bb.1684:                             ;   in Loop: Header=BB454_799 Depth=1
	v_bfrev_b32_e32 v9, 1
	s_mov_b32 s12, exec_lo
	v_cmpx_ne_u16_e64 0x80, v176
	s_cbranch_execz .LBB454_1690
; %bb.1685:                             ;   in Loop: Header=BB454_799 Depth=1
	v_bfe_u32 v177, v3, 16, 7
	v_mov_b32_e32 v9, 0x7f800001
	s_mov_b32 s13, exec_lo
	s_delay_alu instid0(VALU_DEP_2)
	v_cmpx_ne_u32_e32 0x7f, v177
	s_cbranch_execz .LBB454_1689
; %bb.1686:                             ;   in Loop: Header=BB454_799 Depth=1
	v_and_b32_e32 v9, 7, v7
	v_lshrrev_b32_e32 v176, 3, v177
	s_mov_b32 s15, exec_lo
	v_cmpx_gt_u32_e32 8, v177
; %bb.1687:                             ;   in Loop: Header=BB454_799 Depth=1
	s_delay_alu instid0(VALU_DEP_3) | instskip(NEXT) | instid1(VALU_DEP_1)
	v_clz_i32_u32_e32 v176, v9
	v_min_u32_e32 v176, 32, v176
	s_delay_alu instid0(VALU_DEP_1) | instskip(SKIP_1) | instid1(VALU_DEP_2)
	v_subrev_nc_u32_e32 v177, 28, v176
	v_sub_nc_u32_e32 v176, 29, v176
	v_lshlrev_b64 v[177:178], v177, v[9:10]
	s_delay_alu instid0(VALU_DEP_1)
	v_and_b32_e32 v9, 7, v177
; %bb.1688:                             ;   in Loop: Header=BB454_799 Depth=1
	s_or_b32 exec_lo, exec_lo, s15
	v_lshlrev_b32_e32 v7, 24, v7
	s_delay_alu instid0(VALU_DEP_2) | instskip(SKIP_1) | instid1(VALU_DEP_3)
	v_lshlrev_b32_e32 v9, 20, v9
	v_lshl_add_u32 v176, v176, 23, 0x3c000000
	v_and_b32_e32 v7, 0x80000000, v7
	s_delay_alu instid0(VALU_DEP_1)
	v_or3_b32 v9, v9, v7, v176
.LBB454_1689:                           ;   in Loop: Header=BB454_799 Depth=1
	s_or_b32 exec_lo, exec_lo, s13
.LBB454_1690:                           ;   in Loop: Header=BB454_799 Depth=1
	s_delay_alu instid0(SALU_CYCLE_1)
	s_or_b32 exec_lo, exec_lo, s12
.LBB454_1691:                           ;   in Loop: Header=BB454_799 Depth=1
	s_delay_alu instid0(SALU_CYCLE_1) | instskip(NEXT) | instid1(VALU_DEP_1)
	s_or_b32 exec_lo, exec_lo, s9
	v_mul_f32_e32 v9, v26, v9
	s_delay_alu instid0(VALU_DEP_1) | instskip(NEXT) | instid1(VALU_DEP_1)
	v_and_b32_e32 v7, 0x7f800000, v9
	v_cmp_ne_u32_e64 s0, 0x7f800000, v7
                                        ; implicit-def: $vgpr7
	s_delay_alu instid0(VALU_DEP_1) | instskip(NEXT) | instid1(SALU_CYCLE_1)
	s_and_saveexec_b32 s9, s0
	s_xor_b32 s0, exec_lo, s9
; %bb.1692:                             ;   in Loop: Header=BB454_799 Depth=1
	v_bfe_u32 v7, v9, 16, 1
	s_delay_alu instid0(VALU_DEP_1)
	v_add3_u32 v7, v9, v7, 0x7fff
                                        ; implicit-def: $vgpr9
; %bb.1693:                             ;   in Loop: Header=BB454_799 Depth=1
	s_and_not1_saveexec_b32 s9, s0
; %bb.1694:                             ;   in Loop: Header=BB454_799 Depth=1
	v_and_b32_e32 v7, 0xffff, v9
	v_or_b32_e32 v176, 0x10000, v9
	s_delay_alu instid0(VALU_DEP_2) | instskip(NEXT) | instid1(VALU_DEP_1)
	v_cmp_eq_u32_e64 s0, 0, v7
	v_cndmask_b32_e64 v7, v176, v9, s0
; %bb.1695:                             ;   in Loop: Header=BB454_799 Depth=1
	s_or_b32 exec_lo, exec_lo, s9
	v_mov_b32_e32 v9, 0
	s_mov_b32 s9, exec_lo
	v_cmpx_lt_u64_e64 s[2:3], v[2:3]
	s_cbranch_execz .LBB454_1703
; %bb.1696:                             ;   in Loop: Header=BB454_799 Depth=1
	v_lshrrev_b32_e32 v2, 24, v3
	v_bfrev_b32_e32 v9, 1
	s_mov_b32 s12, exec_lo
	s_delay_alu instid0(VALU_DEP_2)
	v_cmpx_ne_u32_e32 0x80, v2
	s_cbranch_execz .LBB454_1702
; %bb.1697:                             ;   in Loop: Header=BB454_799 Depth=1
	v_bfe_u32 v176, v3, 24, 7
	v_mov_b32_e32 v9, 0x7f800001
	s_mov_b32 s13, exec_lo
	s_delay_alu instid0(VALU_DEP_2)
	v_cmpx_ne_u32_e32 0x7f, v176
	s_cbranch_execz .LBB454_1701
; %bb.1698:                             ;   in Loop: Header=BB454_799 Depth=1
	v_and_b32_e32 v9, 7, v2
	v_lshrrev_b32_e32 v3, 3, v176
	s_mov_b32 s15, exec_lo
	v_cmpx_gt_u32_e32 8, v176
; %bb.1699:                             ;   in Loop: Header=BB454_799 Depth=1
	s_delay_alu instid0(VALU_DEP_3) | instskip(NEXT) | instid1(VALU_DEP_1)
	v_clz_i32_u32_e32 v3, v9
	v_min_u32_e32 v3, 32, v3
	s_delay_alu instid0(VALU_DEP_1) | instskip(SKIP_1) | instid1(VALU_DEP_2)
	v_subrev_nc_u32_e32 v176, 28, v3
	v_sub_nc_u32_e32 v3, 29, v3
	v_lshlrev_b64 v[176:177], v176, v[9:10]
	s_delay_alu instid0(VALU_DEP_1)
	v_and_b32_e32 v9, 7, v176
; %bb.1700:                             ;   in Loop: Header=BB454_799 Depth=1
	s_or_b32 exec_lo, exec_lo, s15
	v_lshlrev_b32_e32 v2, 24, v2
	s_delay_alu instid0(VALU_DEP_2) | instskip(SKIP_1) | instid1(VALU_DEP_3)
	v_lshlrev_b32_e32 v9, 20, v9
	v_lshl_add_u32 v3, v3, 23, 0x3c000000
	v_and_b32_e32 v2, 0x80000000, v2
	s_delay_alu instid0(VALU_DEP_1)
	v_or3_b32 v9, v9, v2, v3
.LBB454_1701:                           ;   in Loop: Header=BB454_799 Depth=1
	s_or_b32 exec_lo, exec_lo, s13
.LBB454_1702:                           ;   in Loop: Header=BB454_799 Depth=1
	s_delay_alu instid0(SALU_CYCLE_1)
	s_or_b32 exec_lo, exec_lo, s12
.LBB454_1703:                           ;   in Loop: Header=BB454_799 Depth=1
	s_delay_alu instid0(SALU_CYCLE_1) | instskip(NEXT) | instid1(VALU_DEP_1)
	s_or_b32 exec_lo, exec_lo, s9
	v_mul_f32_e32 v3, v26, v9
	s_delay_alu instid0(VALU_DEP_1) | instskip(NEXT) | instid1(VALU_DEP_1)
	v_and_b32_e32 v2, 0x7f800000, v3
	v_cmp_ne_u32_e64 s0, 0x7f800000, v2
                                        ; implicit-def: $vgpr2
	s_delay_alu instid0(VALU_DEP_1) | instskip(NEXT) | instid1(SALU_CYCLE_1)
	s_and_saveexec_b32 s9, s0
	s_xor_b32 s0, exec_lo, s9
; %bb.1704:                             ;   in Loop: Header=BB454_799 Depth=1
	v_bfe_u32 v2, v3, 16, 1
	s_delay_alu instid0(VALU_DEP_1)
	v_add3_u32 v2, v3, v2, 0x7fff
                                        ; implicit-def: $vgpr3
; %bb.1705:                             ;   in Loop: Header=BB454_799 Depth=1
	s_and_not1_saveexec_b32 s9, s0
; %bb.1706:                             ;   in Loop: Header=BB454_799 Depth=1
	v_and_b32_e32 v2, 0xffff, v3
	v_or_b32_e32 v9, 0x10000, v3
	s_delay_alu instid0(VALU_DEP_2) | instskip(NEXT) | instid1(VALU_DEP_1)
	v_cmp_eq_u32_e64 s0, 0, v2
	v_cndmask_b32_e64 v2, v9, v3, s0
; %bb.1707:                             ;   in Loop: Header=BB454_799 Depth=1
	s_or_b32 exec_lo, exec_lo, s9
	v_lshrrev_b32_e32 v9, 16, v6
	v_lshrrev_b32_e32 v167, 16, v167
	;; [unrolled: 1-line block ×8, first 2 shown]
	s_and_saveexec_b32 s9, vcc_lo
	s_cbranch_execz .LBB454_1709
; %bb.1708:                             ;   in Loop: Header=BB454_799 Depth=1
	v_cmp_lt_i32_e64 s0, v52, v35
	s_delay_alu instid0(VALU_DEP_1) | instskip(SKIP_1) | instid1(VALU_DEP_1)
	v_cndmask_b32_e64 v6, 0, v6, s0
	v_cmp_lt_i32_e64 s0, v66, v35
	v_cndmask_b32_e64 v164, 0, v164, s0
	v_cmp_lt_i32_e64 s0, v65, v35
	s_delay_alu instid0(VALU_DEP_1) | instskip(SKIP_1) | instid1(VALU_DEP_1)
	v_cndmask_b32_e64 v165, 0, v165, s0
	v_cmp_lt_i32_e64 s0, v64, v35
	v_cndmask_b32_e64 v166, 0, v166, s0
	;; [unrolled: 5-line block ×4, first 2 shown]
.LBB454_1709:                           ;   in Loop: Header=BB454_799 Depth=1
	s_or_b32 exec_lo, exec_lo, s9
	v_lshlrev_b32_e32 v6, 16, v6
	s_delay_alu instid0(VALU_DEP_1) | instskip(NEXT) | instid1(VALU_DEP_1)
	v_mul_f32_e32 v7, v67, v6
	v_and_b32_e32 v6, 0x7f800000, v7
	s_delay_alu instid0(VALU_DEP_1) | instskip(NEXT) | instid1(VALU_DEP_1)
	v_cmp_ne_u32_e64 s0, 0x7f800000, v6
                                        ; implicit-def: $vgpr6
	s_and_saveexec_b32 s9, s0
	s_delay_alu instid0(SALU_CYCLE_1)
	s_xor_b32 s0, exec_lo, s9
; %bb.1710:                             ;   in Loop: Header=BB454_799 Depth=1
	v_bfe_u32 v6, v7, 16, 1
	s_delay_alu instid0(VALU_DEP_1)
	v_add3_u32 v6, v7, v6, 0x7fff
                                        ; implicit-def: $vgpr7
; %bb.1711:                             ;   in Loop: Header=BB454_799 Depth=1
	s_and_not1_saveexec_b32 s9, s0
; %bb.1712:                             ;   in Loop: Header=BB454_799 Depth=1
	v_and_b32_e32 v6, 0xffff, v7
	v_or_b32_e32 v163, 0x10000, v7
	s_delay_alu instid0(VALU_DEP_2) | instskip(NEXT) | instid1(VALU_DEP_1)
	v_cmp_eq_u32_e64 s0, 0, v6
	v_cndmask_b32_e64 v6, v163, v7, s0
; %bb.1713:                             ;   in Loop: Header=BB454_799 Depth=1
	s_or_b32 exec_lo, exec_lo, s9
	v_lshlrev_b32_e32 v7, 16, v164
	s_delay_alu instid0(VALU_DEP_1) | instskip(NEXT) | instid1(VALU_DEP_1)
	v_mul_f32_e32 v163, v68, v7
	v_and_b32_e32 v7, 0x7f800000, v163
	s_delay_alu instid0(VALU_DEP_1) | instskip(NEXT) | instid1(VALU_DEP_1)
	v_cmp_ne_u32_e64 s0, 0x7f800000, v7
                                        ; implicit-def: $vgpr7
	s_and_saveexec_b32 s9, s0
	s_delay_alu instid0(SALU_CYCLE_1)
	s_xor_b32 s0, exec_lo, s9
; %bb.1714:                             ;   in Loop: Header=BB454_799 Depth=1
	v_bfe_u32 v7, v163, 16, 1
	s_delay_alu instid0(VALU_DEP_1)
	v_add3_u32 v7, v163, v7, 0x7fff
                                        ; implicit-def: $vgpr163
; %bb.1715:                             ;   in Loop: Header=BB454_799 Depth=1
	s_and_not1_saveexec_b32 s9, s0
; %bb.1716:                             ;   in Loop: Header=BB454_799 Depth=1
	v_and_b32_e32 v7, 0xffff, v163
	v_or_b32_e32 v164, 0x10000, v163
	s_delay_alu instid0(VALU_DEP_2) | instskip(NEXT) | instid1(VALU_DEP_1)
	v_cmp_eq_u32_e64 s0, 0, v7
	v_cndmask_b32_e64 v7, v164, v163, s0
; %bb.1717:                             ;   in Loop: Header=BB454_799 Depth=1
	s_or_b32 exec_lo, exec_lo, s9
	v_lshlrev_b32_e32 v163, 16, v165
	s_delay_alu instid0(VALU_DEP_1) | instskip(NEXT) | instid1(VALU_DEP_1)
	v_mul_f32_e32 v164, v69, v163
	v_and_b32_e32 v163, 0x7f800000, v164
	s_delay_alu instid0(VALU_DEP_1) | instskip(NEXT) | instid1(VALU_DEP_1)
	v_cmp_ne_u32_e64 s0, 0x7f800000, v163
                                        ; implicit-def: $vgpr163
	s_and_saveexec_b32 s9, s0
	s_delay_alu instid0(SALU_CYCLE_1)
	s_xor_b32 s0, exec_lo, s9
; %bb.1718:                             ;   in Loop: Header=BB454_799 Depth=1
	v_bfe_u32 v163, v164, 16, 1
	s_delay_alu instid0(VALU_DEP_1)
	v_add3_u32 v163, v164, v163, 0x7fff
                                        ; implicit-def: $vgpr164
; %bb.1719:                             ;   in Loop: Header=BB454_799 Depth=1
	s_and_not1_saveexec_b32 s9, s0
; %bb.1720:                             ;   in Loop: Header=BB454_799 Depth=1
	v_and_b32_e32 v163, 0xffff, v164
	v_or_b32_e32 v165, 0x10000, v164
	s_delay_alu instid0(VALU_DEP_2) | instskip(NEXT) | instid1(VALU_DEP_1)
	v_cmp_eq_u32_e64 s0, 0, v163
	v_cndmask_b32_e64 v163, v165, v164, s0
; %bb.1721:                             ;   in Loop: Header=BB454_799 Depth=1
	s_or_b32 exec_lo, exec_lo, s9
	v_lshlrev_b32_e32 v164, 16, v166
	s_delay_alu instid0(VALU_DEP_1) | instskip(NEXT) | instid1(VALU_DEP_1)
	v_mul_f32_e32 v165, v70, v164
	v_and_b32_e32 v164, 0x7f800000, v165
	s_delay_alu instid0(VALU_DEP_1) | instskip(NEXT) | instid1(VALU_DEP_1)
	v_cmp_ne_u32_e64 s0, 0x7f800000, v164
                                        ; implicit-def: $vgpr164
	s_and_saveexec_b32 s9, s0
	s_delay_alu instid0(SALU_CYCLE_1)
	s_xor_b32 s0, exec_lo, s9
; %bb.1722:                             ;   in Loop: Header=BB454_799 Depth=1
	v_bfe_u32 v164, v165, 16, 1
	s_delay_alu instid0(VALU_DEP_1)
	v_add3_u32 v164, v165, v164, 0x7fff
                                        ; implicit-def: $vgpr165
; %bb.1723:                             ;   in Loop: Header=BB454_799 Depth=1
	s_and_not1_saveexec_b32 s9, s0
; %bb.1724:                             ;   in Loop: Header=BB454_799 Depth=1
	v_and_b32_e32 v164, 0xffff, v165
	v_or_b32_e32 v166, 0x10000, v165
	s_delay_alu instid0(VALU_DEP_2) | instskip(NEXT) | instid1(VALU_DEP_1)
	v_cmp_eq_u32_e64 s0, 0, v164
	v_cndmask_b32_e64 v164, v166, v165, s0
; %bb.1725:                             ;   in Loop: Header=BB454_799 Depth=1
	s_or_b32 exec_lo, exec_lo, s9
	v_lshlrev_b32_e32 v165, 16, v167
	s_delay_alu instid0(VALU_DEP_1) | instskip(NEXT) | instid1(VALU_DEP_1)
	v_mul_f32_e32 v166, v71, v165
	v_and_b32_e32 v165, 0x7f800000, v166
	s_delay_alu instid0(VALU_DEP_1) | instskip(NEXT) | instid1(VALU_DEP_1)
	v_cmp_ne_u32_e64 s0, 0x7f800000, v165
                                        ; implicit-def: $vgpr165
	s_and_saveexec_b32 s9, s0
	s_delay_alu instid0(SALU_CYCLE_1)
	s_xor_b32 s0, exec_lo, s9
; %bb.1726:                             ;   in Loop: Header=BB454_799 Depth=1
	v_bfe_u32 v165, v166, 16, 1
	s_delay_alu instid0(VALU_DEP_1)
	v_add3_u32 v165, v166, v165, 0x7fff
                                        ; implicit-def: $vgpr166
; %bb.1727:                             ;   in Loop: Header=BB454_799 Depth=1
	s_and_not1_saveexec_b32 s9, s0
; %bb.1728:                             ;   in Loop: Header=BB454_799 Depth=1
	v_and_b32_e32 v165, 0xffff, v166
	v_or_b32_e32 v167, 0x10000, v166
	s_delay_alu instid0(VALU_DEP_2) | instskip(NEXT) | instid1(VALU_DEP_1)
	v_cmp_eq_u32_e64 s0, 0, v165
	v_cndmask_b32_e64 v165, v167, v166, s0
; %bb.1729:                             ;   in Loop: Header=BB454_799 Depth=1
	s_or_b32 exec_lo, exec_lo, s9
	v_lshlrev_b32_e32 v9, 16, v9
	s_delay_alu instid0(VALU_DEP_1) | instskip(NEXT) | instid1(VALU_DEP_1)
	v_mul_f32_e32 v9, v80, v9
	v_and_b32_e32 v166, 0x7f800000, v9
	s_delay_alu instid0(VALU_DEP_1) | instskip(NEXT) | instid1(VALU_DEP_1)
	v_cmp_ne_u32_e64 s0, 0x7f800000, v166
                                        ; implicit-def: $vgpr166
	s_and_saveexec_b32 s9, s0
	s_delay_alu instid0(SALU_CYCLE_1)
	s_xor_b32 s0, exec_lo, s9
; %bb.1730:                             ;   in Loop: Header=BB454_799 Depth=1
	v_bfe_u32 v166, v9, 16, 1
	s_delay_alu instid0(VALU_DEP_1)
	v_add3_u32 v166, v9, v166, 0x7fff
                                        ; implicit-def: $vgpr9
; %bb.1731:                             ;   in Loop: Header=BB454_799 Depth=1
	s_and_not1_saveexec_b32 s9, s0
; %bb.1732:                             ;   in Loop: Header=BB454_799 Depth=1
	v_and_b32_e32 v166, 0xffff, v9
	v_or_b32_e32 v167, 0x10000, v9
	s_delay_alu instid0(VALU_DEP_2) | instskip(NEXT) | instid1(VALU_DEP_1)
	v_cmp_eq_u32_e64 s0, 0, v166
	v_cndmask_b32_e64 v166, v167, v9, s0
; %bb.1733:                             ;   in Loop: Header=BB454_799 Depth=1
	s_or_b32 exec_lo, exec_lo, s9
	v_lshlrev_b32_e32 v3, 16, v3
                                        ; implicit-def: $vgpr167
	s_delay_alu instid0(VALU_DEP_1) | instskip(NEXT) | instid1(VALU_DEP_1)
	v_mul_f32_e32 v3, v81, v3
	v_and_b32_e32 v9, 0x7f800000, v3
	s_delay_alu instid0(VALU_DEP_1) | instskip(NEXT) | instid1(VALU_DEP_1)
	v_cmp_ne_u32_e64 s0, 0x7f800000, v9
	s_and_saveexec_b32 s9, s0
	s_delay_alu instid0(SALU_CYCLE_1)
	s_xor_b32 s0, exec_lo, s9
; %bb.1734:                             ;   in Loop: Header=BB454_799 Depth=1
	v_bfe_u32 v9, v3, 16, 1
	s_delay_alu instid0(VALU_DEP_1)
	v_add3_u32 v167, v3, v9, 0x7fff
                                        ; implicit-def: $vgpr3
; %bb.1735:                             ;   in Loop: Header=BB454_799 Depth=1
	s_and_not1_saveexec_b32 s9, s0
; %bb.1736:                             ;   in Loop: Header=BB454_799 Depth=1
	v_and_b32_e32 v9, 0xffff, v3
	v_or_b32_e32 v167, 0x10000, v3
	s_delay_alu instid0(VALU_DEP_2) | instskip(NEXT) | instid1(VALU_DEP_1)
	v_cmp_eq_u32_e64 s0, 0, v9
	v_cndmask_b32_e64 v167, v167, v3, s0
; %bb.1737:                             ;   in Loop: Header=BB454_799 Depth=1
	s_or_b32 exec_lo, exec_lo, s9
	v_lshlrev_b32_e32 v2, 16, v2
                                        ; implicit-def: $vgpr176
	s_delay_alu instid0(VALU_DEP_1) | instskip(NEXT) | instid1(VALU_DEP_1)
	v_mul_f32_e32 v2, v82, v2
	v_and_b32_e32 v3, 0x7f800000, v2
	s_delay_alu instid0(VALU_DEP_1) | instskip(NEXT) | instid1(VALU_DEP_1)
	v_cmp_ne_u32_e64 s0, 0x7f800000, v3
	s_and_saveexec_b32 s9, s0
	s_delay_alu instid0(SALU_CYCLE_1)
	s_xor_b32 s0, exec_lo, s9
; %bb.1738:                             ;   in Loop: Header=BB454_799 Depth=1
	v_bfe_u32 v3, v2, 16, 1
	s_delay_alu instid0(VALU_DEP_1)
	v_add3_u32 v176, v2, v3, 0x7fff
                                        ; implicit-def: $vgpr2
; %bb.1739:                             ;   in Loop: Header=BB454_799 Depth=1
	s_and_not1_saveexec_b32 s9, s0
; %bb.1740:                             ;   in Loop: Header=BB454_799 Depth=1
	v_and_b32_e32 v3, 0xffff, v2
	v_or_b32_e32 v9, 0x10000, v2
	s_delay_alu instid0(VALU_DEP_2) | instskip(NEXT) | instid1(VALU_DEP_1)
	v_cmp_eq_u32_e64 s0, 0, v3
	v_cndmask_b32_e64 v176, v9, v2, s0
; %bb.1741:                             ;   in Loop: Header=BB454_799 Depth=1
	s_or_b32 exec_lo, exec_lo, s9
	flat_load_b64 v[0:1], v[0:1] offset:1792
	s_mov_b32 s9, exec_lo
	s_waitcnt vmcnt(0) lgkmcnt(0)
	v_dual_mov_b32 v2, 0 :: v_dual_and_b32 v3, 0xff, v0
	s_delay_alu instid0(VALU_DEP_1)
	v_cmpx_ne_u16_e32 0, v3
	s_cbranch_execz .LBB454_1749
; %bb.1742:                             ;   in Loop: Header=BB454_799 Depth=1
	v_bfrev_b32_e32 v2, 1
	s_mov_b32 s12, exec_lo
	v_cmpx_ne_u16_e32 0x80, v3
	s_cbranch_execz .LBB454_1748
; %bb.1743:                             ;   in Loop: Header=BB454_799 Depth=1
	v_and_b32_e32 v3, 0x7f, v0
	v_mov_b32_e32 v2, 0x7f800001
	s_mov_b32 s13, exec_lo
	s_delay_alu instid0(VALU_DEP_2)
	v_cmpx_ne_u32_e32 0x7f, v3
	s_cbranch_execz .LBB454_1747
; %bb.1744:                             ;   in Loop: Header=BB454_799 Depth=1
	v_lshrrev_b32_e32 v9, 3, v3
	v_cmp_gt_u32_e64 s0, 8, v3
	v_dual_mov_b32 v3, v1 :: v_dual_mov_b32 v2, v0
	s_delay_alu instid0(VALU_DEP_2)
	s_and_saveexec_b32 s15, s0
; %bb.1745:                             ;   in Loop: Header=BB454_799 Depth=1
	v_and_b32_e32 v2, 7, v0
	s_delay_alu instid0(VALU_DEP_1) | instskip(NEXT) | instid1(VALU_DEP_1)
	v_clz_i32_u32_e32 v2, v2
	v_min_u32_e32 v9, 32, v2
	s_delay_alu instid0(VALU_DEP_1) | instskip(SKIP_1) | instid1(VALU_DEP_2)
	v_subrev_nc_u32_e32 v2, 28, v9
	v_sub_nc_u32_e32 v9, 29, v9
	v_lshlrev_b64 v[2:3], v2, v[0:1]
; %bb.1746:                             ;   in Loop: Header=BB454_799 Depth=1
	s_or_b32 exec_lo, exec_lo, s15
	s_delay_alu instid0(VALU_DEP_1) | instskip(SKIP_2) | instid1(VALU_DEP_3)
	v_lshlrev_b32_e32 v2, 20, v2
	v_lshlrev_b32_e32 v3, 24, v0
	v_lshl_add_u32 v9, v9, 23, 0x3c000000
	v_and_b32_e32 v2, 0x700000, v2
	s_delay_alu instid0(VALU_DEP_3) | instskip(NEXT) | instid1(VALU_DEP_1)
	v_and_b32_e32 v3, 0x80000000, v3
	v_or3_b32 v2, v2, v3, v9
.LBB454_1747:                           ;   in Loop: Header=BB454_799 Depth=1
	s_or_b32 exec_lo, exec_lo, s13
.LBB454_1748:                           ;   in Loop: Header=BB454_799 Depth=1
	s_delay_alu instid0(SALU_CYCLE_1)
	s_or_b32 exec_lo, exec_lo, s12
.LBB454_1749:                           ;   in Loop: Header=BB454_799 Depth=1
	s_delay_alu instid0(SALU_CYCLE_1) | instskip(NEXT) | instid1(VALU_DEP_1)
	s_or_b32 exec_lo, exec_lo, s9
	v_mul_f32_e32 v2, v26, v2
                                        ; implicit-def: $vgpr177
	s_delay_alu instid0(VALU_DEP_1) | instskip(NEXT) | instid1(VALU_DEP_1)
	v_and_b32_e32 v3, 0x7f800000, v2
	v_cmp_ne_u32_e64 s0, 0x7f800000, v3
	s_delay_alu instid0(VALU_DEP_1) | instskip(NEXT) | instid1(SALU_CYCLE_1)
	s_and_saveexec_b32 s9, s0
	s_xor_b32 s0, exec_lo, s9
; %bb.1750:                             ;   in Loop: Header=BB454_799 Depth=1
	v_bfe_u32 v3, v2, 16, 1
	s_delay_alu instid0(VALU_DEP_1)
	v_add3_u32 v177, v2, v3, 0x7fff
                                        ; implicit-def: $vgpr2
; %bb.1751:                             ;   in Loop: Header=BB454_799 Depth=1
	s_and_not1_saveexec_b32 s9, s0
; %bb.1752:                             ;   in Loop: Header=BB454_799 Depth=1
	v_and_b32_e32 v3, 0xffff, v2
	v_or_b32_e32 v9, 0x10000, v2
	s_delay_alu instid0(VALU_DEP_2) | instskip(NEXT) | instid1(VALU_DEP_1)
	v_cmp_eq_u32_e64 s0, 0, v3
	v_cndmask_b32_e64 v177, v9, v2, s0
; %bb.1753:                             ;   in Loop: Header=BB454_799 Depth=1
	s_or_b32 exec_lo, exec_lo, s9
	v_lshrrev_b16 v3, 8, v0
	v_mov_b32_e32 v2, 0
	s_mov_b32 s9, exec_lo
	s_delay_alu instid0(VALU_DEP_2)
	v_cmpx_ne_u16_e32 0, v3
	s_cbranch_execz .LBB454_1761
; %bb.1754:                             ;   in Loop: Header=BB454_799 Depth=1
	v_bfrev_b32_e32 v2, 1
	s_mov_b32 s12, exec_lo
	v_cmpx_ne_u16_e32 0x80, v3
	s_cbranch_execz .LBB454_1760
; %bb.1755:                             ;   in Loop: Header=BB454_799 Depth=1
	v_and_b32_e32 v9, 0xffff, v3
	v_mov_b32_e32 v2, 0x7f800001
	s_mov_b32 s13, exec_lo
	s_delay_alu instid0(VALU_DEP_2) | instskip(NEXT) | instid1(VALU_DEP_1)
	v_and_b32_e32 v3, 0x7f, v9
	v_cmpx_ne_u32_e32 0x7f, v3
	s_cbranch_execz .LBB454_1759
; %bb.1756:                             ;   in Loop: Header=BB454_799 Depth=1
	v_and_b32_e32 v9, 7, v9
	v_lshrrev_b32_e32 v2, 3, v3
	s_mov_b32 s15, exec_lo
	v_cmpx_gt_u32_e32 8, v3
; %bb.1757:                             ;   in Loop: Header=BB454_799 Depth=1
	s_delay_alu instid0(VALU_DEP_3) | instskip(NEXT) | instid1(VALU_DEP_1)
	v_clz_i32_u32_e32 v2, v9
	v_min_u32_e32 v2, 32, v2
	s_delay_alu instid0(VALU_DEP_1) | instskip(SKIP_1) | instid1(VALU_DEP_2)
	v_subrev_nc_u32_e32 v3, 28, v2
	v_sub_nc_u32_e32 v2, 29, v2
	v_lshlrev_b64 v[178:179], v3, v[9:10]
	s_delay_alu instid0(VALU_DEP_1)
	v_and_b32_e32 v9, 7, v178
; %bb.1758:                             ;   in Loop: Header=BB454_799 Depth=1
	s_or_b32 exec_lo, exec_lo, s15
	v_lshlrev_b32_e32 v3, 16, v0
	s_delay_alu instid0(VALU_DEP_2) | instskip(SKIP_1) | instid1(VALU_DEP_3)
	v_lshlrev_b32_e32 v9, 20, v9
	v_lshl_add_u32 v2, v2, 23, 0x3c000000
	v_and_b32_e32 v3, 0x80000000, v3
	s_delay_alu instid0(VALU_DEP_1)
	v_or3_b32 v2, v9, v3, v2
.LBB454_1759:                           ;   in Loop: Header=BB454_799 Depth=1
	s_or_b32 exec_lo, exec_lo, s13
.LBB454_1760:                           ;   in Loop: Header=BB454_799 Depth=1
	s_delay_alu instid0(SALU_CYCLE_1)
	s_or_b32 exec_lo, exec_lo, s12
.LBB454_1761:                           ;   in Loop: Header=BB454_799 Depth=1
	s_delay_alu instid0(SALU_CYCLE_1) | instskip(NEXT) | instid1(VALU_DEP_1)
	s_or_b32 exec_lo, exec_lo, s9
	v_mul_f32_e32 v2, v26, v2
                                        ; implicit-def: $vgpr178
	s_delay_alu instid0(VALU_DEP_1) | instskip(NEXT) | instid1(VALU_DEP_1)
	v_and_b32_e32 v3, 0x7f800000, v2
	v_cmp_ne_u32_e64 s0, 0x7f800000, v3
	s_delay_alu instid0(VALU_DEP_1) | instskip(NEXT) | instid1(SALU_CYCLE_1)
	s_and_saveexec_b32 s9, s0
	s_xor_b32 s0, exec_lo, s9
; %bb.1762:                             ;   in Loop: Header=BB454_799 Depth=1
	v_bfe_u32 v3, v2, 16, 1
	s_delay_alu instid0(VALU_DEP_1)
	v_add3_u32 v178, v2, v3, 0x7fff
                                        ; implicit-def: $vgpr2
; %bb.1763:                             ;   in Loop: Header=BB454_799 Depth=1
	s_and_not1_saveexec_b32 s9, s0
; %bb.1764:                             ;   in Loop: Header=BB454_799 Depth=1
	v_and_b32_e32 v3, 0xffff, v2
	v_or_b32_e32 v9, 0x10000, v2
	s_delay_alu instid0(VALU_DEP_2) | instskip(NEXT) | instid1(VALU_DEP_1)
	v_cmp_eq_u32_e64 s0, 0, v3
	v_cndmask_b32_e64 v178, v9, v2, s0
; %bb.1765:                             ;   in Loop: Header=BB454_799 Depth=1
	s_or_b32 exec_lo, exec_lo, s9
	v_lshrrev_b32_e32 v2, 16, v0
	v_mov_b32_e32 v3, 0
	s_mov_b32 s9, exec_lo
	s_delay_alu instid0(VALU_DEP_2) | instskip(NEXT) | instid1(VALU_DEP_1)
	v_and_b32_e32 v9, 0xff, v2
	v_cmpx_ne_u16_e32 0, v9
	s_cbranch_execz .LBB454_1773
; %bb.1766:                             ;   in Loop: Header=BB454_799 Depth=1
	v_bfrev_b32_e32 v3, 1
	s_mov_b32 s12, exec_lo
	v_cmpx_ne_u16_e32 0x80, v9
	s_cbranch_execz .LBB454_1772
; %bb.1767:                             ;   in Loop: Header=BB454_799 Depth=1
	v_bfe_u32 v179, v0, 16, 7
	v_mov_b32_e32 v3, 0x7f800001
	s_mov_b32 s13, exec_lo
	s_delay_alu instid0(VALU_DEP_2)
	v_cmpx_ne_u32_e32 0x7f, v179
	s_cbranch_execz .LBB454_1771
; %bb.1768:                             ;   in Loop: Header=BB454_799 Depth=1
	v_and_b32_e32 v9, 7, v2
	v_lshrrev_b32_e32 v3, 3, v179
	s_mov_b32 s15, exec_lo
	v_cmpx_gt_u32_e32 8, v179
; %bb.1769:                             ;   in Loop: Header=BB454_799 Depth=1
	s_delay_alu instid0(VALU_DEP_3) | instskip(NEXT) | instid1(VALU_DEP_1)
	v_clz_i32_u32_e32 v3, v9
	v_min_u32_e32 v3, 32, v3
	s_delay_alu instid0(VALU_DEP_1) | instskip(SKIP_1) | instid1(VALU_DEP_2)
	v_subrev_nc_u32_e32 v179, 28, v3
	v_sub_nc_u32_e32 v3, 29, v3
	v_lshlrev_b64 v[179:180], v179, v[9:10]
	s_delay_alu instid0(VALU_DEP_1)
	v_and_b32_e32 v9, 7, v179
; %bb.1770:                             ;   in Loop: Header=BB454_799 Depth=1
	s_or_b32 exec_lo, exec_lo, s15
	v_lshlrev_b32_e32 v2, 24, v2
	s_delay_alu instid0(VALU_DEP_2) | instskip(SKIP_1) | instid1(VALU_DEP_3)
	v_lshlrev_b32_e32 v9, 20, v9
	v_lshl_add_u32 v3, v3, 23, 0x3c000000
	v_and_b32_e32 v2, 0x80000000, v2
	s_delay_alu instid0(VALU_DEP_1)
	v_or3_b32 v3, v9, v2, v3
.LBB454_1771:                           ;   in Loop: Header=BB454_799 Depth=1
	s_or_b32 exec_lo, exec_lo, s13
.LBB454_1772:                           ;   in Loop: Header=BB454_799 Depth=1
	s_delay_alu instid0(SALU_CYCLE_1)
	s_or_b32 exec_lo, exec_lo, s12
.LBB454_1773:                           ;   in Loop: Header=BB454_799 Depth=1
	s_delay_alu instid0(SALU_CYCLE_1) | instskip(NEXT) | instid1(VALU_DEP_1)
	s_or_b32 exec_lo, exec_lo, s9
	v_mul_f32_e32 v2, v26, v3
                                        ; implicit-def: $vgpr179
	s_delay_alu instid0(VALU_DEP_1) | instskip(NEXT) | instid1(VALU_DEP_1)
	v_and_b32_e32 v3, 0x7f800000, v2
	v_cmp_ne_u32_e64 s0, 0x7f800000, v3
	s_delay_alu instid0(VALU_DEP_1) | instskip(NEXT) | instid1(SALU_CYCLE_1)
	s_and_saveexec_b32 s9, s0
	s_xor_b32 s0, exec_lo, s9
; %bb.1774:                             ;   in Loop: Header=BB454_799 Depth=1
	v_bfe_u32 v3, v2, 16, 1
	s_delay_alu instid0(VALU_DEP_1)
	v_add3_u32 v179, v2, v3, 0x7fff
                                        ; implicit-def: $vgpr2
; %bb.1775:                             ;   in Loop: Header=BB454_799 Depth=1
	s_and_not1_saveexec_b32 s9, s0
; %bb.1776:                             ;   in Loop: Header=BB454_799 Depth=1
	v_and_b32_e32 v3, 0xffff, v2
	v_or_b32_e32 v9, 0x10000, v2
	s_delay_alu instid0(VALU_DEP_2) | instskip(NEXT) | instid1(VALU_DEP_1)
	v_cmp_eq_u32_e64 s0, 0, v3
	v_cndmask_b32_e64 v179, v9, v2, s0
; %bb.1777:                             ;   in Loop: Header=BB454_799 Depth=1
	s_or_b32 exec_lo, exec_lo, s9
	v_mov_b32_e32 v3, 0
	s_mov_b32 s9, exec_lo
	v_cmpx_lt_u32_e32 0xffffff, v0
	s_cbranch_execz .LBB454_1785
; %bb.1778:                             ;   in Loop: Header=BB454_799 Depth=1
	v_lshrrev_b32_e32 v2, 24, v0
	v_bfrev_b32_e32 v3, 1
	s_mov_b32 s12, exec_lo
	s_delay_alu instid0(VALU_DEP_2)
	v_cmpx_ne_u32_e32 0x80, v2
	s_cbranch_execz .LBB454_1784
; %bb.1779:                             ;   in Loop: Header=BB454_799 Depth=1
	v_bfe_u32 v180, v0, 24, 7
	v_mov_b32_e32 v3, 0x7f800001
	s_mov_b32 s13, exec_lo
	s_delay_alu instid0(VALU_DEP_2)
	v_cmpx_ne_u32_e32 0x7f, v180
	s_cbranch_execz .LBB454_1783
; %bb.1780:                             ;   in Loop: Header=BB454_799 Depth=1
	v_and_b32_e32 v9, 7, v2
	v_lshrrev_b32_e32 v3, 3, v180
	s_mov_b32 s15, exec_lo
	v_cmpx_gt_u32_e32 8, v180
; %bb.1781:                             ;   in Loop: Header=BB454_799 Depth=1
	s_delay_alu instid0(VALU_DEP_3) | instskip(NEXT) | instid1(VALU_DEP_1)
	v_clz_i32_u32_e32 v3, v9
	v_min_u32_e32 v3, 32, v3
	s_delay_alu instid0(VALU_DEP_1) | instskip(SKIP_1) | instid1(VALU_DEP_2)
	v_subrev_nc_u32_e32 v180, 28, v3
	v_sub_nc_u32_e32 v3, 29, v3
	v_lshlrev_b64 v[180:181], v180, v[9:10]
	s_delay_alu instid0(VALU_DEP_1)
	v_and_b32_e32 v9, 7, v180
; %bb.1782:                             ;   in Loop: Header=BB454_799 Depth=1
	s_or_b32 exec_lo, exec_lo, s15
	v_lshlrev_b32_e32 v2, 24, v2
	s_delay_alu instid0(VALU_DEP_2) | instskip(SKIP_1) | instid1(VALU_DEP_3)
	v_lshlrev_b32_e32 v9, 20, v9
	v_lshl_add_u32 v3, v3, 23, 0x3c000000
	v_and_b32_e32 v2, 0x80000000, v2
	s_delay_alu instid0(VALU_DEP_1)
	v_or3_b32 v3, v9, v2, v3
.LBB454_1783:                           ;   in Loop: Header=BB454_799 Depth=1
	s_or_b32 exec_lo, exec_lo, s13
.LBB454_1784:                           ;   in Loop: Header=BB454_799 Depth=1
	s_delay_alu instid0(SALU_CYCLE_1)
	s_or_b32 exec_lo, exec_lo, s12
.LBB454_1785:                           ;   in Loop: Header=BB454_799 Depth=1
	s_delay_alu instid0(SALU_CYCLE_1) | instskip(NEXT) | instid1(VALU_DEP_1)
	s_or_b32 exec_lo, exec_lo, s9
	v_mul_f32_e32 v2, v26, v3
                                        ; implicit-def: $vgpr180
	s_delay_alu instid0(VALU_DEP_1) | instskip(NEXT) | instid1(VALU_DEP_1)
	v_and_b32_e32 v3, 0x7f800000, v2
	v_cmp_ne_u32_e64 s0, 0x7f800000, v3
	s_delay_alu instid0(VALU_DEP_1) | instskip(NEXT) | instid1(SALU_CYCLE_1)
	s_and_saveexec_b32 s9, s0
	s_xor_b32 s0, exec_lo, s9
; %bb.1786:                             ;   in Loop: Header=BB454_799 Depth=1
	v_bfe_u32 v3, v2, 16, 1
	s_delay_alu instid0(VALU_DEP_1)
	v_add3_u32 v180, v2, v3, 0x7fff
                                        ; implicit-def: $vgpr2
; %bb.1787:                             ;   in Loop: Header=BB454_799 Depth=1
	s_and_not1_saveexec_b32 s9, s0
; %bb.1788:                             ;   in Loop: Header=BB454_799 Depth=1
	v_and_b32_e32 v3, 0xffff, v2
	v_or_b32_e32 v9, 0x10000, v2
	s_delay_alu instid0(VALU_DEP_2) | instskip(NEXT) | instid1(VALU_DEP_1)
	v_cmp_eq_u32_e64 s0, 0, v3
	v_cndmask_b32_e64 v180, v9, v2, s0
; %bb.1789:                             ;   in Loop: Header=BB454_799 Depth=1
	s_or_b32 exec_lo, exec_lo, s9
	v_dual_mov_b32 v2, 0 :: v_dual_and_b32 v3, 0xff, v1
	v_mov_b32_e32 v9, v1
	s_mov_b32 s9, exec_lo
	s_delay_alu instid0(VALU_DEP_2)
	v_cmpx_ne_u16_e32 0, v3
	s_cbranch_execz .LBB454_1797
; %bb.1790:                             ;   in Loop: Header=BB454_799 Depth=1
	v_bfrev_b32_e32 v2, 1
	s_mov_b32 s12, exec_lo
	v_cmpx_ne_u16_e32 0x80, v3
	s_cbranch_execz .LBB454_1796
; %bb.1791:                             ;   in Loop: Header=BB454_799 Depth=1
	v_and_b32_e32 v3, 0x7f, v1
	v_mov_b32_e32 v2, 0x7f800001
	s_mov_b32 s13, exec_lo
	s_delay_alu instid0(VALU_DEP_2)
	v_cmpx_ne_u32_e32 0x7f, v3
	s_cbranch_execz .LBB454_1795
; %bb.1792:                             ;   in Loop: Header=BB454_799 Depth=1
	v_lshrrev_b32_e32 v181, 3, v3
	v_cmp_gt_u32_e64 s0, 8, v3
	v_dual_mov_b32 v2, v9 :: v_dual_mov_b32 v3, v10
	s_delay_alu instid0(VALU_DEP_2)
	s_and_saveexec_b32 s15, s0
; %bb.1793:                             ;   in Loop: Header=BB454_799 Depth=1
	v_and_b32_e32 v2, 7, v1
	s_delay_alu instid0(VALU_DEP_1) | instskip(NEXT) | instid1(VALU_DEP_1)
	v_clz_i32_u32_e32 v2, v2
	v_min_u32_e32 v181, 32, v2
	s_delay_alu instid0(VALU_DEP_1) | instskip(SKIP_1) | instid1(VALU_DEP_2)
	v_subrev_nc_u32_e32 v2, 28, v181
	v_sub_nc_u32_e32 v181, 29, v181
	v_lshlrev_b64 v[2:3], v2, v[9:10]
; %bb.1794:                             ;   in Loop: Header=BB454_799 Depth=1
	s_or_b32 exec_lo, exec_lo, s15
	s_delay_alu instid0(VALU_DEP_1) | instskip(SKIP_2) | instid1(VALU_DEP_3)
	v_lshlrev_b32_e32 v2, 20, v2
	v_lshlrev_b32_e32 v3, 24, v9
	v_lshl_add_u32 v181, v181, 23, 0x3c000000
	v_and_b32_e32 v2, 0x700000, v2
	s_delay_alu instid0(VALU_DEP_3) | instskip(NEXT) | instid1(VALU_DEP_1)
	v_and_b32_e32 v3, 0x80000000, v3
	v_or3_b32 v2, v2, v3, v181
.LBB454_1795:                           ;   in Loop: Header=BB454_799 Depth=1
	s_or_b32 exec_lo, exec_lo, s13
.LBB454_1796:                           ;   in Loop: Header=BB454_799 Depth=1
	s_delay_alu instid0(SALU_CYCLE_1)
	s_or_b32 exec_lo, exec_lo, s12
.LBB454_1797:                           ;   in Loop: Header=BB454_799 Depth=1
	s_delay_alu instid0(SALU_CYCLE_1) | instskip(NEXT) | instid1(VALU_DEP_1)
	s_or_b32 exec_lo, exec_lo, s9
	v_mul_f32_e32 v2, v26, v2
                                        ; implicit-def: $vgpr181
	s_delay_alu instid0(VALU_DEP_1) | instskip(NEXT) | instid1(VALU_DEP_1)
	v_and_b32_e32 v3, 0x7f800000, v2
	v_cmp_ne_u32_e64 s0, 0x7f800000, v3
	s_delay_alu instid0(VALU_DEP_1) | instskip(NEXT) | instid1(SALU_CYCLE_1)
	s_and_saveexec_b32 s9, s0
	s_xor_b32 s0, exec_lo, s9
; %bb.1798:                             ;   in Loop: Header=BB454_799 Depth=1
	v_bfe_u32 v3, v2, 16, 1
	s_delay_alu instid0(VALU_DEP_1)
	v_add3_u32 v181, v2, v3, 0x7fff
                                        ; implicit-def: $vgpr2
; %bb.1799:                             ;   in Loop: Header=BB454_799 Depth=1
	s_and_not1_saveexec_b32 s9, s0
; %bb.1800:                             ;   in Loop: Header=BB454_799 Depth=1
	v_and_b32_e32 v3, 0xffff, v2
	v_or_b32_e32 v181, 0x10000, v2
	s_delay_alu instid0(VALU_DEP_2) | instskip(NEXT) | instid1(VALU_DEP_1)
	v_cmp_eq_u32_e64 s0, 0, v3
	v_cndmask_b32_e64 v181, v181, v2, s0
; %bb.1801:                             ;   in Loop: Header=BB454_799 Depth=1
	s_or_b32 exec_lo, exec_lo, s9
	v_lshrrev_b16 v3, 8, v9
	v_mov_b32_e32 v2, 0
	s_mov_b32 s9, exec_lo
	s_delay_alu instid0(VALU_DEP_2)
	v_cmpx_ne_u16_e32 0, v3
	s_cbranch_execz .LBB454_1809
; %bb.1802:                             ;   in Loop: Header=BB454_799 Depth=1
	v_bfrev_b32_e32 v2, 1
	s_mov_b32 s12, exec_lo
	v_cmpx_ne_u16_e32 0x80, v3
	s_cbranch_execz .LBB454_1808
; %bb.1803:                             ;   in Loop: Header=BB454_799 Depth=1
	v_and_b32_e32 v3, 0xffff, v3
	v_mov_b32_e32 v2, 0x7f800001
	s_mov_b32 s13, exec_lo
	s_delay_alu instid0(VALU_DEP_2) | instskip(NEXT) | instid1(VALU_DEP_1)
	v_and_b32_e32 v183, 0x7f, v3
	v_cmpx_ne_u32_e32 0x7f, v183
	s_cbranch_execz .LBB454_1807
; %bb.1804:                             ;   in Loop: Header=BB454_799 Depth=1
	v_dual_mov_b32 v3, v10 :: v_dual_and_b32 v2, 7, v3
	v_lshrrev_b32_e32 v182, 3, v183
	s_mov_b32 s15, exec_lo
	v_cmpx_gt_u32_e32 8, v183
; %bb.1805:                             ;   in Loop: Header=BB454_799 Depth=1
	s_delay_alu instid0(VALU_DEP_3) | instskip(NEXT) | instid1(VALU_DEP_1)
	v_clz_i32_u32_e32 v182, v2
	v_min_u32_e32 v182, 32, v182
	s_delay_alu instid0(VALU_DEP_1) | instskip(SKIP_1) | instid1(VALU_DEP_2)
	v_subrev_nc_u32_e32 v183, 28, v182
	v_sub_nc_u32_e32 v182, 29, v182
	v_lshlrev_b64 v[2:3], v183, v[2:3]
	s_delay_alu instid0(VALU_DEP_1)
	v_and_b32_e32 v2, 7, v2
; %bb.1806:                             ;   in Loop: Header=BB454_799 Depth=1
	s_or_b32 exec_lo, exec_lo, s15
	v_lshlrev_b32_e32 v3, 16, v9
	s_delay_alu instid0(VALU_DEP_2) | instskip(SKIP_1) | instid1(VALU_DEP_3)
	v_lshlrev_b32_e32 v2, 20, v2
	v_lshl_add_u32 v9, v182, 23, 0x3c000000
	v_and_b32_e32 v3, 0x80000000, v3
	s_delay_alu instid0(VALU_DEP_1)
	v_or3_b32 v2, v2, v3, v9
.LBB454_1807:                           ;   in Loop: Header=BB454_799 Depth=1
	s_or_b32 exec_lo, exec_lo, s13
.LBB454_1808:                           ;   in Loop: Header=BB454_799 Depth=1
	s_delay_alu instid0(SALU_CYCLE_1)
	s_or_b32 exec_lo, exec_lo, s12
.LBB454_1809:                           ;   in Loop: Header=BB454_799 Depth=1
	s_delay_alu instid0(SALU_CYCLE_1) | instskip(NEXT) | instid1(VALU_DEP_1)
	s_or_b32 exec_lo, exec_lo, s9
	v_mul_f32_e32 v3, v26, v2
	s_delay_alu instid0(VALU_DEP_1) | instskip(NEXT) | instid1(VALU_DEP_1)
	v_and_b32_e32 v2, 0x7f800000, v3
	v_cmp_ne_u32_e64 s0, 0x7f800000, v2
                                        ; implicit-def: $vgpr2
	s_delay_alu instid0(VALU_DEP_1) | instskip(NEXT) | instid1(SALU_CYCLE_1)
	s_and_saveexec_b32 s9, s0
	s_xor_b32 s0, exec_lo, s9
; %bb.1810:                             ;   in Loop: Header=BB454_799 Depth=1
	v_bfe_u32 v2, v3, 16, 1
	s_delay_alu instid0(VALU_DEP_1)
	v_add3_u32 v2, v3, v2, 0x7fff
                                        ; implicit-def: $vgpr3
; %bb.1811:                             ;   in Loop: Header=BB454_799 Depth=1
	s_and_not1_saveexec_b32 s9, s0
; %bb.1812:                             ;   in Loop: Header=BB454_799 Depth=1
	v_and_b32_e32 v2, 0xffff, v3
	v_or_b32_e32 v9, 0x10000, v3
	s_delay_alu instid0(VALU_DEP_2) | instskip(NEXT) | instid1(VALU_DEP_1)
	v_cmp_eq_u32_e64 s0, 0, v2
	v_cndmask_b32_e64 v2, v9, v3, s0
; %bb.1813:                             ;   in Loop: Header=BB454_799 Depth=1
	s_or_b32 exec_lo, exec_lo, s9
	v_lshrrev_b32_e32 v3, 16, v1
	s_mov_b32 s9, exec_lo
	s_delay_alu instid0(VALU_DEP_1) | instskip(NEXT) | instid1(VALU_DEP_1)
	v_dual_mov_b32 v9, 0 :: v_dual_and_b32 v182, 0xff, v3
	v_cmpx_ne_u16_e64 0, v182
	s_cbranch_execz .LBB454_1821
; %bb.1814:                             ;   in Loop: Header=BB454_799 Depth=1
	v_bfrev_b32_e32 v9, 1
	s_mov_b32 s12, exec_lo
	v_cmpx_ne_u16_e64 0x80, v182
	s_cbranch_execz .LBB454_1820
; %bb.1815:                             ;   in Loop: Header=BB454_799 Depth=1
	v_bfe_u32 v183, v1, 16, 7
	v_mov_b32_e32 v9, 0x7f800001
	s_mov_b32 s13, exec_lo
	s_delay_alu instid0(VALU_DEP_2)
	v_cmpx_ne_u32_e32 0x7f, v183
	s_cbranch_execz .LBB454_1819
; %bb.1816:                             ;   in Loop: Header=BB454_799 Depth=1
	v_and_b32_e32 v9, 7, v3
	v_lshrrev_b32_e32 v182, 3, v183
	s_mov_b32 s15, exec_lo
	v_cmpx_gt_u32_e32 8, v183
; %bb.1817:                             ;   in Loop: Header=BB454_799 Depth=1
	s_delay_alu instid0(VALU_DEP_3) | instskip(NEXT) | instid1(VALU_DEP_1)
	v_clz_i32_u32_e32 v182, v9
	v_min_u32_e32 v182, 32, v182
	s_delay_alu instid0(VALU_DEP_1) | instskip(SKIP_1) | instid1(VALU_DEP_2)
	v_subrev_nc_u32_e32 v183, 28, v182
	v_sub_nc_u32_e32 v182, 29, v182
	v_lshlrev_b64 v[40:41], v183, v[9:10]
	s_delay_alu instid0(VALU_DEP_1)
	v_and_b32_e32 v9, 7, v40
; %bb.1818:                             ;   in Loop: Header=BB454_799 Depth=1
	s_or_b32 exec_lo, exec_lo, s15
	v_lshlrev_b32_e32 v3, 24, v3
	s_delay_alu instid0(VALU_DEP_2) | instskip(SKIP_1) | instid1(VALU_DEP_3)
	v_lshlrev_b32_e32 v9, 20, v9
	v_lshl_add_u32 v182, v182, 23, 0x3c000000
	v_and_b32_e32 v3, 0x80000000, v3
	s_delay_alu instid0(VALU_DEP_1)
	v_or3_b32 v9, v9, v3, v182
.LBB454_1819:                           ;   in Loop: Header=BB454_799 Depth=1
	s_or_b32 exec_lo, exec_lo, s13
.LBB454_1820:                           ;   in Loop: Header=BB454_799 Depth=1
	s_delay_alu instid0(SALU_CYCLE_1)
	s_or_b32 exec_lo, exec_lo, s12
.LBB454_1821:                           ;   in Loop: Header=BB454_799 Depth=1
	s_delay_alu instid0(SALU_CYCLE_1) | instskip(NEXT) | instid1(VALU_DEP_1)
	s_or_b32 exec_lo, exec_lo, s9
	v_mul_f32_e32 v3, v26, v9
                                        ; implicit-def: $vgpr183
	s_delay_alu instid0(VALU_DEP_1) | instskip(NEXT) | instid1(VALU_DEP_1)
	v_and_b32_e32 v9, 0x7f800000, v3
	v_cmp_ne_u32_e64 s0, 0x7f800000, v9
	s_delay_alu instid0(VALU_DEP_1) | instskip(NEXT) | instid1(SALU_CYCLE_1)
	s_and_saveexec_b32 s9, s0
	s_xor_b32 s0, exec_lo, s9
; %bb.1822:                             ;   in Loop: Header=BB454_799 Depth=1
	v_bfe_u32 v9, v3, 16, 1
	s_delay_alu instid0(VALU_DEP_1)
	v_add3_u32 v183, v3, v9, 0x7fff
                                        ; implicit-def: $vgpr3
; %bb.1823:                             ;   in Loop: Header=BB454_799 Depth=1
	s_and_not1_saveexec_b32 s9, s0
; %bb.1824:                             ;   in Loop: Header=BB454_799 Depth=1
	v_and_b32_e32 v9, 0xffff, v3
	v_or_b32_e32 v182, 0x10000, v3
	s_delay_alu instid0(VALU_DEP_2) | instskip(NEXT) | instid1(VALU_DEP_1)
	v_cmp_eq_u32_e64 s0, 0, v9
	v_cndmask_b32_e64 v183, v182, v3, s0
; %bb.1825:                             ;   in Loop: Header=BB454_799 Depth=1
	s_or_b32 exec_lo, exec_lo, s9
	v_mov_b32_e32 v3, 0
	s_mov_b32 s9, exec_lo
	v_cmpx_lt_u64_e64 s[2:3], v[0:1]
	s_cbranch_execz .LBB454_1833
; %bb.1826:                             ;   in Loop: Header=BB454_799 Depth=1
	v_lshrrev_b32_e32 v0, 24, v1
	v_bfrev_b32_e32 v3, 1
	s_mov_b32 s12, exec_lo
	s_delay_alu instid0(VALU_DEP_2)
	v_cmpx_ne_u32_e32 0x80, v0
	s_cbranch_execz .LBB454_1832
; %bb.1827:                             ;   in Loop: Header=BB454_799 Depth=1
	v_bfe_u32 v182, v1, 24, 7
	v_mov_b32_e32 v3, 0x7f800001
	s_mov_b32 s13, exec_lo
	s_delay_alu instid0(VALU_DEP_2)
	v_cmpx_ne_u32_e32 0x7f, v182
	s_cbranch_execz .LBB454_1831
; %bb.1828:                             ;   in Loop: Header=BB454_799 Depth=1
	v_and_b32_e32 v9, 7, v0
	v_lshrrev_b32_e32 v1, 3, v182
	s_mov_b32 s15, exec_lo
	v_cmpx_gt_u32_e32 8, v182
; %bb.1829:                             ;   in Loop: Header=BB454_799 Depth=1
	s_delay_alu instid0(VALU_DEP_3) | instskip(NEXT) | instid1(VALU_DEP_1)
	v_clz_i32_u32_e32 v1, v9
	v_min_u32_e32 v1, 32, v1
	s_delay_alu instid0(VALU_DEP_1) | instskip(SKIP_1) | instid1(VALU_DEP_2)
	v_subrev_nc_u32_e32 v3, 28, v1
	v_sub_nc_u32_e32 v1, 29, v1
	v_lshlrev_b64 v[40:41], v3, v[9:10]
	s_delay_alu instid0(VALU_DEP_1)
	v_and_b32_e32 v9, 7, v40
; %bb.1830:                             ;   in Loop: Header=BB454_799 Depth=1
	s_or_b32 exec_lo, exec_lo, s15
	v_lshlrev_b32_e32 v0, 24, v0
	s_delay_alu instid0(VALU_DEP_2) | instskip(SKIP_1) | instid1(VALU_DEP_3)
	v_lshlrev_b32_e32 v3, 20, v9
	v_lshl_add_u32 v1, v1, 23, 0x3c000000
	v_and_b32_e32 v0, 0x80000000, v0
	s_delay_alu instid0(VALU_DEP_1)
	v_or3_b32 v3, v3, v0, v1
.LBB454_1831:                           ;   in Loop: Header=BB454_799 Depth=1
	s_or_b32 exec_lo, exec_lo, s13
.LBB454_1832:                           ;   in Loop: Header=BB454_799 Depth=1
	s_delay_alu instid0(SALU_CYCLE_1)
	s_or_b32 exec_lo, exec_lo, s12
.LBB454_1833:                           ;   in Loop: Header=BB454_799 Depth=1
	s_delay_alu instid0(SALU_CYCLE_1) | instskip(NEXT) | instid1(VALU_DEP_1)
	s_or_b32 exec_lo, exec_lo, s9
	v_mul_f32_e32 v0, v26, v3
                                        ; implicit-def: $vgpr40
	s_delay_alu instid0(VALU_DEP_1) | instskip(NEXT) | instid1(VALU_DEP_1)
	v_and_b32_e32 v1, 0x7f800000, v0
	v_cmp_ne_u32_e64 s0, 0x7f800000, v1
	s_delay_alu instid0(VALU_DEP_1) | instskip(NEXT) | instid1(SALU_CYCLE_1)
	s_and_saveexec_b32 s9, s0
	s_xor_b32 s0, exec_lo, s9
; %bb.1834:                             ;   in Loop: Header=BB454_799 Depth=1
	v_bfe_u32 v1, v0, 16, 1
	s_delay_alu instid0(VALU_DEP_1)
	v_add3_u32 v40, v0, v1, 0x7fff
                                        ; implicit-def: $vgpr0
; %bb.1835:                             ;   in Loop: Header=BB454_799 Depth=1
	s_and_not1_saveexec_b32 s9, s0
; %bb.1836:                             ;   in Loop: Header=BB454_799 Depth=1
	v_and_b32_e32 v1, 0xffff, v0
	v_or_b32_e32 v3, 0x10000, v0
	s_delay_alu instid0(VALU_DEP_2) | instskip(NEXT) | instid1(VALU_DEP_1)
	v_cmp_eq_u32_e64 s0, 0, v1
	v_cndmask_b32_e64 v40, v3, v0, s0
; %bb.1837:                             ;   in Loop: Header=BB454_799 Depth=1
	s_or_b32 exec_lo, exec_lo, s9
	v_lshrrev_b32_e32 v182, 16, v2
	v_lshrrev_b32_e32 v9, 16, v181
	;; [unrolled: 1-line block ×8, first 2 shown]
	s_and_saveexec_b32 s0, vcc_lo
	s_cbranch_execz .LBB454_1839
; %bb.1838:                             ;   in Loop: Header=BB454_799 Depth=1
	v_cmp_lt_i32_e32 vcc_lo, v52, v35
	v_cndmask_b32_e32 v0, 0, v0, vcc_lo
	v_cmp_lt_i32_e32 vcc_lo, v66, v35
	v_cndmask_b32_e32 v1, 0, v1, vcc_lo
	;; [unrolled: 2-line block ×8, first 2 shown]
.LBB454_1839:                           ;   in Loop: Header=BB454_799 Depth=1
	s_or_b32 exec_lo, exec_lo, s0
	v_lshlrev_b32_e32 v0, 16, v0
	s_delay_alu instid0(VALU_DEP_1) | instskip(NEXT) | instid1(VALU_DEP_1)
	v_mul_f32_e32 v52, v67, v0
	v_and_b32_e32 v0, 0x7f800000, v52
	s_delay_alu instid0(VALU_DEP_1) | instskip(SKIP_1) | instid1(SALU_CYCLE_1)
	v_cmp_ne_u32_e32 vcc_lo, 0x7f800000, v0
                                        ; implicit-def: $vgpr0
	s_and_saveexec_b32 s0, vcc_lo
	s_xor_b32 s0, exec_lo, s0
; %bb.1840:                             ;   in Loop: Header=BB454_799 Depth=1
	v_bfe_u32 v0, v52, 16, 1
	s_delay_alu instid0(VALU_DEP_1)
	v_add3_u32 v0, v52, v0, 0x7fff
                                        ; implicit-def: $vgpr52
; %bb.1841:                             ;   in Loop: Header=BB454_799 Depth=1
	s_and_not1_saveexec_b32 s0, s0
; %bb.1842:                             ;   in Loop: Header=BB454_799 Depth=1
	v_and_b32_e32 v0, 0xffff, v52
	v_or_b32_e32 v53, 0x10000, v52
	s_delay_alu instid0(VALU_DEP_2) | instskip(NEXT) | instid1(VALU_DEP_2)
	v_cmp_eq_u32_e32 vcc_lo, 0, v0
	v_cndmask_b32_e32 v0, v53, v52, vcc_lo
; %bb.1843:                             ;   in Loop: Header=BB454_799 Depth=1
	s_or_b32 exec_lo, exec_lo, s0
	v_lshlrev_b32_e32 v1, 16, v1
	s_delay_alu instid0(VALU_DEP_1) | instskip(NEXT) | instid1(VALU_DEP_1)
	v_mul_f32_e32 v52, v68, v1
	v_and_b32_e32 v1, 0x7f800000, v52
	s_delay_alu instid0(VALU_DEP_1) | instskip(SKIP_1) | instid1(SALU_CYCLE_1)
	v_cmp_ne_u32_e32 vcc_lo, 0x7f800000, v1
                                        ; implicit-def: $vgpr1
	s_and_saveexec_b32 s0, vcc_lo
	s_xor_b32 s0, exec_lo, s0
; %bb.1844:                             ;   in Loop: Header=BB454_799 Depth=1
	v_bfe_u32 v1, v52, 16, 1
	s_delay_alu instid0(VALU_DEP_1)
	v_add3_u32 v1, v52, v1, 0x7fff
                                        ; implicit-def: $vgpr52
; %bb.1845:                             ;   in Loop: Header=BB454_799 Depth=1
	s_and_not1_saveexec_b32 s0, s0
; %bb.1846:                             ;   in Loop: Header=BB454_799 Depth=1
	v_and_b32_e32 v1, 0xffff, v52
	v_or_b32_e32 v53, 0x10000, v52
	s_delay_alu instid0(VALU_DEP_2) | instskip(NEXT) | instid1(VALU_DEP_2)
	v_cmp_eq_u32_e32 vcc_lo, 0, v1
	v_cndmask_b32_e32 v1, v53, v52, vcc_lo
; %bb.1847:                             ;   in Loop: Header=BB454_799 Depth=1
	s_or_b32 exec_lo, exec_lo, s0
	v_lshlrev_b32_e32 v2, 16, v2
	s_delay_alu instid0(VALU_DEP_1) | instskip(NEXT) | instid1(VALU_DEP_1)
	v_mul_f32_e32 v52, v69, v2
	v_and_b32_e32 v2, 0x7f800000, v52
	s_delay_alu instid0(VALU_DEP_1) | instskip(SKIP_1) | instid1(SALU_CYCLE_1)
	v_cmp_ne_u32_e32 vcc_lo, 0x7f800000, v2
                                        ; implicit-def: $vgpr2
	s_and_saveexec_b32 s0, vcc_lo
	s_xor_b32 s0, exec_lo, s0
; %bb.1848:                             ;   in Loop: Header=BB454_799 Depth=1
	v_bfe_u32 v2, v52, 16, 1
	s_delay_alu instid0(VALU_DEP_1)
	v_add3_u32 v2, v52, v2, 0x7fff
                                        ; implicit-def: $vgpr52
; %bb.1849:                             ;   in Loop: Header=BB454_799 Depth=1
	s_and_not1_saveexec_b32 s0, s0
; %bb.1850:                             ;   in Loop: Header=BB454_799 Depth=1
	v_and_b32_e32 v2, 0xffff, v52
	v_or_b32_e32 v53, 0x10000, v52
	s_delay_alu instid0(VALU_DEP_2) | instskip(NEXT) | instid1(VALU_DEP_2)
	v_cmp_eq_u32_e32 vcc_lo, 0, v2
	v_cndmask_b32_e32 v2, v53, v52, vcc_lo
; %bb.1851:                             ;   in Loop: Header=BB454_799 Depth=1
	s_or_b32 exec_lo, exec_lo, s0
	v_lshlrev_b32_e32 v3, 16, v3
	s_delay_alu instid0(VALU_DEP_1) | instskip(NEXT) | instid1(VALU_DEP_1)
	v_mul_f32_e32 v52, v70, v3
	v_and_b32_e32 v3, 0x7f800000, v52
	s_delay_alu instid0(VALU_DEP_1) | instskip(SKIP_1) | instid1(SALU_CYCLE_1)
	v_cmp_ne_u32_e32 vcc_lo, 0x7f800000, v3
                                        ; implicit-def: $vgpr3
	s_and_saveexec_b32 s0, vcc_lo
	s_xor_b32 s0, exec_lo, s0
; %bb.1852:                             ;   in Loop: Header=BB454_799 Depth=1
	v_bfe_u32 v3, v52, 16, 1
	s_delay_alu instid0(VALU_DEP_1)
	v_add3_u32 v3, v52, v3, 0x7fff
                                        ; implicit-def: $vgpr52
; %bb.1853:                             ;   in Loop: Header=BB454_799 Depth=1
	s_and_not1_saveexec_b32 s0, s0
; %bb.1854:                             ;   in Loop: Header=BB454_799 Depth=1
	v_and_b32_e32 v3, 0xffff, v52
	v_or_b32_e32 v53, 0x10000, v52
	s_delay_alu instid0(VALU_DEP_2) | instskip(NEXT) | instid1(VALU_DEP_2)
	v_cmp_eq_u32_e32 vcc_lo, 0, v3
	v_cndmask_b32_e32 v3, v53, v52, vcc_lo
; %bb.1855:                             ;   in Loop: Header=BB454_799 Depth=1
	s_or_b32 exec_lo, exec_lo, s0
	v_lshlrev_b32_e32 v9, 16, v9
	s_delay_alu instid0(VALU_DEP_1) | instskip(NEXT) | instid1(VALU_DEP_1)
	v_mul_f32_e32 v52, v71, v9
	v_and_b32_e32 v9, 0x7f800000, v52
	s_delay_alu instid0(VALU_DEP_1) | instskip(SKIP_1) | instid1(SALU_CYCLE_1)
	v_cmp_ne_u32_e32 vcc_lo, 0x7f800000, v9
                                        ; implicit-def: $vgpr9
	s_and_saveexec_b32 s0, vcc_lo
	s_xor_b32 s0, exec_lo, s0
; %bb.1856:                             ;   in Loop: Header=BB454_799 Depth=1
	v_bfe_u32 v9, v52, 16, 1
	s_delay_alu instid0(VALU_DEP_1)
	v_add3_u32 v9, v52, v9, 0x7fff
                                        ; implicit-def: $vgpr52
; %bb.1857:                             ;   in Loop: Header=BB454_799 Depth=1
	s_and_not1_saveexec_b32 s0, s0
; %bb.1858:                             ;   in Loop: Header=BB454_799 Depth=1
	v_and_b32_e32 v9, 0xffff, v52
	v_or_b32_e32 v53, 0x10000, v52
	s_delay_alu instid0(VALU_DEP_2) | instskip(NEXT) | instid1(VALU_DEP_2)
	v_cmp_eq_u32_e32 vcc_lo, 0, v9
	v_cndmask_b32_e32 v9, v53, v52, vcc_lo
; %bb.1859:                             ;   in Loop: Header=BB454_799 Depth=1
	s_or_b32 exec_lo, exec_lo, s0
	v_lshlrev_b32_e32 v52, 16, v182
	s_delay_alu instid0(VALU_DEP_1) | instskip(NEXT) | instid1(VALU_DEP_1)
	v_mul_f32_e32 v53, v80, v52
	v_and_b32_e32 v52, 0x7f800000, v53
	s_delay_alu instid0(VALU_DEP_1) | instskip(SKIP_1) | instid1(SALU_CYCLE_1)
	v_cmp_ne_u32_e32 vcc_lo, 0x7f800000, v52
                                        ; implicit-def: $vgpr52
	s_and_saveexec_b32 s0, vcc_lo
	s_xor_b32 s0, exec_lo, s0
; %bb.1860:                             ;   in Loop: Header=BB454_799 Depth=1
	v_bfe_u32 v52, v53, 16, 1
	s_delay_alu instid0(VALU_DEP_1)
	v_add3_u32 v52, v53, v52, 0x7fff
                                        ; implicit-def: $vgpr53
; %bb.1861:                             ;   in Loop: Header=BB454_799 Depth=1
	s_and_not1_saveexec_b32 s0, s0
; %bb.1862:                             ;   in Loop: Header=BB454_799 Depth=1
	v_and_b32_e32 v52, 0xffff, v53
	v_or_b32_e32 v54, 0x10000, v53
	s_delay_alu instid0(VALU_DEP_2) | instskip(NEXT) | instid1(VALU_DEP_2)
	v_cmp_eq_u32_e32 vcc_lo, 0, v52
	v_cndmask_b32_e32 v52, v54, v53, vcc_lo
; %bb.1863:                             ;   in Loop: Header=BB454_799 Depth=1
	s_or_b32 exec_lo, exec_lo, s0
	v_lshlrev_b32_e32 v53, 16, v178
	s_delay_alu instid0(VALU_DEP_1) | instskip(NEXT) | instid1(VALU_DEP_1)
	v_mul_f32_e32 v54, v81, v53
	v_and_b32_e32 v53, 0x7f800000, v54
	s_delay_alu instid0(VALU_DEP_1) | instskip(SKIP_1) | instid1(SALU_CYCLE_1)
	v_cmp_ne_u32_e32 vcc_lo, 0x7f800000, v53
                                        ; implicit-def: $vgpr53
	s_and_saveexec_b32 s0, vcc_lo
	s_xor_b32 s0, exec_lo, s0
; %bb.1864:                             ;   in Loop: Header=BB454_799 Depth=1
	v_bfe_u32 v53, v54, 16, 1
	s_delay_alu instid0(VALU_DEP_1)
	v_add3_u32 v53, v54, v53, 0x7fff
                                        ; implicit-def: $vgpr54
; %bb.1865:                             ;   in Loop: Header=BB454_799 Depth=1
	s_and_not1_saveexec_b32 s0, s0
; %bb.1866:                             ;   in Loop: Header=BB454_799 Depth=1
	v_and_b32_e32 v53, 0xffff, v54
	v_or_b32_e32 v55, 0x10000, v54
	s_delay_alu instid0(VALU_DEP_2) | instskip(NEXT) | instid1(VALU_DEP_2)
	v_cmp_eq_u32_e32 vcc_lo, 0, v53
	v_cndmask_b32_e32 v53, v55, v54, vcc_lo
; %bb.1867:                             ;   in Loop: Header=BB454_799 Depth=1
	s_or_b32 exec_lo, exec_lo, s0
	v_lshlrev_b32_e32 v54, 16, v177
	s_delay_alu instid0(VALU_DEP_1) | instskip(NEXT) | instid1(VALU_DEP_1)
	v_mul_f32_e32 v55, v82, v54
	v_and_b32_e32 v54, 0x7f800000, v55
	s_delay_alu instid0(VALU_DEP_1) | instskip(SKIP_1) | instid1(SALU_CYCLE_1)
	v_cmp_ne_u32_e32 vcc_lo, 0x7f800000, v54
                                        ; implicit-def: $vgpr54
	s_and_saveexec_b32 s0, vcc_lo
	s_xor_b32 s0, exec_lo, s0
; %bb.1868:                             ;   in Loop: Header=BB454_799 Depth=1
	v_bfe_u32 v54, v55, 16, 1
	s_delay_alu instid0(VALU_DEP_1)
	v_add3_u32 v54, v55, v54, 0x7fff
                                        ; implicit-def: $vgpr55
; %bb.1869:                             ;   in Loop: Header=BB454_799 Depth=1
	s_and_not1_saveexec_b32 s0, s0
	s_cbranch_execz .LBB454_798
; %bb.1870:                             ;   in Loop: Header=BB454_799 Depth=1
	v_and_b32_e32 v54, 0xffff, v55
	v_or_b32_e32 v64, 0x10000, v55
	s_delay_alu instid0(VALU_DEP_2) | instskip(NEXT) | instid1(VALU_DEP_2)
	v_cmp_eq_u32_e32 vcc_lo, 0, v54
	v_cndmask_b32_e32 v54, v64, v55, vcc_lo
	s_branch .LBB454_798
.LBB454_1871:
	s_or_b32 exec_lo, exec_lo, s8
	v_dual_mov_b32 v0, s10 :: v_dual_mov_b32 v1, s11
.LBB454_1872:
	s_or_b32 exec_lo, exec_lo, s7
	s_delay_alu instid0(VALU_DEP_1)
	v_lshlrev_b64 v[0:1], 2, v[0:1]
	s_getpc_b64 s[2:3]
	s_add_u32 s2, s2, llvm.amdgcn.dynlds.offset.table@rel32@lo+4
	s_addc_u32 s3, s3, llvm.amdgcn.dynlds.offset.table@rel32@hi+12
	s_waitcnt lgkmcnt(0)
	s_waitcnt_vscnt null, 0x0
	s_barrier
	buffer_gl0_inv
	ds_bpermute_b32 v2, v19, v30
	v_add_co_u32 v0, vcc_lo, v0, s2
	v_add_co_ci_u32_e32 v1, vcc_lo, s3, v1, vcc_lo
	ds_bpermute_b32 v3, v19, v29
	ds_bpermute_b32 v6, v19, v28
	ds_bpermute_b32 v7, v19, v25
	global_load_b32 v9, v[0:1], off
	ds_bpermute_b32 v0, v19, v32
	ds_bpermute_b32 v1, v19, v31
	;; [unrolled: 1-line block ×4, first 2 shown]
	v_lshrrev_b32_e32 v11, 2, v23
	s_mov_b32 s0, exec_lo
	s_waitcnt lgkmcnt(6)
	v_dual_add_f32 v2, v30, v2 :: v_dual_add_f32 v3, v29, v3
	s_waitcnt lgkmcnt(4)
	v_dual_add_f32 v12, v28, v6 :: v_dual_add_f32 v7, v25, v7
	ds_bpermute_b32 v15, v18, v2
	s_waitcnt lgkmcnt(3)
	v_dual_add_f32 v0, v32, v0 :: v_dual_add_f32 v1, v31, v1
	s_waitcnt lgkmcnt(1)
	v_dual_add_f32 v13, v24, v8 :: v_dual_add_f32 v14, v21, v10
	ds_bpermute_b32 v16, v18, v3
	ds_bpermute_b32 v6, v18, v0
	;; [unrolled: 1-line block ×7, first 2 shown]
	s_waitcnt lgkmcnt(6)
	v_dual_add_f32 v3, v3, v16 :: v_dual_and_b32 v22, 0x3c3, v34
	s_waitcnt lgkmcnt(5)
	v_add_f32_e32 v8, v0, v6
	s_waitcnt lgkmcnt(4)
	v_add_f32_e32 v10, v1, v10
	v_add_f32_e32 v6, v2, v15
	s_waitcnt lgkmcnt(2)
	v_dual_add_f32 v1, v7, v19 :: v_dual_add_f32 v2, v12, v17
	s_waitcnt lgkmcnt(0)
	v_dual_add_f32 v7, v14, v18 :: v_dual_add_f32 v0, v13, v21
	s_waitcnt vmcnt(0)
	v_lshl_add_u32 v12, v36, 8, v9
	v_cmpx_eq_u32_e32 64, v22
	s_cbranch_execz .LBB454_1874
; %bb.1873:
	v_lshlrev_b32_e32 v13, 2, v11
	s_delay_alu instid0(VALU_DEP_1)
	v_add3_u32 v13, v12, v13, 0xfffffe00
	ds_store_2addr_b32 v13, v8, v10 offset1:8
	ds_store_2addr_b32 v13, v6, v3 offset0:16 offset1:24
	ds_store_2addr_b32 v13, v2, v1 offset0:32 offset1:40
	;; [unrolled: 1-line block ×3, first 2 shown]
.LBB454_1874:
	s_or_b32 exec_lo, exec_lo, s0
	v_cmp_eq_u32_e32 vcc_lo, 0, v20
	s_mov_b32 s2, exec_lo
	s_waitcnt lgkmcnt(0)
	s_barrier
	buffer_gl0_inv
	v_cmpx_gt_u32_e32 64, v34
	s_cbranch_execz .LBB454_1885
; %bb.1875:
	s_and_saveexec_b32 s0, vcc_lo
	s_cbranch_execnz .LBB454_1934
; %bb.1876:
	s_or_b32 exec_lo, exec_lo, s0
	s_and_saveexec_b32 s0, vcc_lo
	s_cbranch_execnz .LBB454_1935
.LBB454_1877:
	s_or_b32 exec_lo, exec_lo, s0
	s_and_saveexec_b32 s0, vcc_lo
	s_cbranch_execnz .LBB454_1936
.LBB454_1878:
	s_or_b32 exec_lo, exec_lo, s0
	s_and_saveexec_b32 s0, vcc_lo
	s_cbranch_execnz .LBB454_1937
.LBB454_1879:
	s_or_b32 exec_lo, exec_lo, s0
	s_and_saveexec_b32 s0, vcc_lo
	s_cbranch_execnz .LBB454_1938
.LBB454_1880:
	s_or_b32 exec_lo, exec_lo, s0
	s_and_saveexec_b32 s0, vcc_lo
	s_cbranch_execnz .LBB454_1939
.LBB454_1881:
	s_or_b32 exec_lo, exec_lo, s0
	s_and_saveexec_b32 s0, vcc_lo
	s_cbranch_execnz .LBB454_1940
.LBB454_1882:
	s_or_b32 exec_lo, exec_lo, s0
	s_and_saveexec_b32 s0, vcc_lo
	s_cbranch_execz .LBB454_1884
.LBB454_1883:
	v_lshl_add_u32 v13, v11, 2, v12
	ds_load_b32 v13, v13 offset:224
	s_waitcnt lgkmcnt(0)
	v_add_f32_e32 v7, v7, v13
.LBB454_1884:
	s_or_b32 exec_lo, exec_lo, s0
.LBB454_1885:
	s_delay_alu instid0(SALU_CYCLE_1)
	s_or_b32 exec_lo, exec_lo, s2
	v_and_b32_e32 v13, 0x3e3, v34
	s_mov_b32 s2, exec_lo
	s_barrier
	buffer_gl0_inv
	v_cmpx_eq_u32_e32 32, v13
	s_cbranch_execz .LBB454_1887
; %bb.1886:
	v_lshl_add_u32 v9, v11, 2, v9
	ds_store_2addr_b32 v9, v8, v10 offset1:8
	ds_store_2addr_b32 v9, v6, v3 offset0:16 offset1:24
	ds_store_2addr_b32 v9, v2, v1 offset0:32 offset1:40
	;; [unrolled: 1-line block ×3, first 2 shown]
.LBB454_1887:
	s_or_b32 exec_lo, exec_lo, s2
	v_cmp_gt_u32_e64 s0, 32, v34
	s_waitcnt lgkmcnt(0)
	s_barrier
	buffer_gl0_inv
	s_and_saveexec_b32 s2, s0
	s_cbranch_execz .LBB454_1898
; %bb.1888:
	v_lshl_add_u32 v9, v11, 2, v12
	s_and_saveexec_b32 s3, vcc_lo
	s_cbranch_execnz .LBB454_1941
; %bb.1889:
	s_or_b32 exec_lo, exec_lo, s3
	s_and_saveexec_b32 s3, vcc_lo
	s_cbranch_execnz .LBB454_1942
.LBB454_1890:
	s_or_b32 exec_lo, exec_lo, s3
	s_and_saveexec_b32 s3, vcc_lo
	s_cbranch_execnz .LBB454_1943
.LBB454_1891:
	s_or_b32 exec_lo, exec_lo, s3
	s_and_saveexec_b32 s3, vcc_lo
	s_cbranch_execnz .LBB454_1944
.LBB454_1892:
	s_or_b32 exec_lo, exec_lo, s3
	s_and_saveexec_b32 s3, vcc_lo
	s_cbranch_execnz .LBB454_1945
.LBB454_1893:
	s_or_b32 exec_lo, exec_lo, s3
	s_and_saveexec_b32 s3, vcc_lo
	s_cbranch_execnz .LBB454_1946
.LBB454_1894:
	s_or_b32 exec_lo, exec_lo, s3
	s_and_saveexec_b32 s3, vcc_lo
	s_cbranch_execnz .LBB454_1947
.LBB454_1895:
	s_or_b32 exec_lo, exec_lo, s3
	s_and_saveexec_b32 s3, vcc_lo
	s_cbranch_execz .LBB454_1897
.LBB454_1896:
	ds_load_b32 v9, v9 offset:224
	s_waitcnt lgkmcnt(0)
	v_add_f32_e32 v7, v7, v9
.LBB454_1897:
	s_or_b32 exec_lo, exec_lo, s3
.LBB454_1898:
	s_delay_alu instid0(SALU_CYCLE_1)
	s_or_b32 exec_lo, exec_lo, s2
	s_barrier
	buffer_gl0_inv
	s_and_b32 exec_lo, exec_lo, s0
	s_cbranch_execz .LBB454_1933
; %bb.1899:
	s_and_b32 exec_lo, exec_lo, vcc_lo
	s_cbranch_execz .LBB454_1933
; %bb.1900:
	v_and_b32_e32 v9, 0x7f800000, v8
	s_mov_b32 s0, exec_lo
                                        ; implicit-def: $vgpr11
	s_delay_alu instid0(VALU_DEP_1)
	v_cmpx_ne_u32_e32 0x7f800000, v9
	s_xor_b32 s0, exec_lo, s0
; %bb.1901:
	v_bfe_u32 v9, v8, 16, 1
	s_delay_alu instid0(VALU_DEP_1)
	v_add3_u32 v11, v8, v9, 0x7fff
; %bb.1902:
	s_and_not1_saveexec_b32 s0, s0
; %bb.1903:
	v_and_b32_e32 v9, 0xffff, v8
	v_or_b32_e32 v11, 0x10000, v8
	s_delay_alu instid0(VALU_DEP_2) | instskip(NEXT) | instid1(VALU_DEP_2)
	v_cmp_eq_u32_e32 vcc_lo, 0, v9
	v_cndmask_b32_e32 v11, v11, v8, vcc_lo
; %bb.1904:
	s_or_b32 exec_lo, exec_lo, s0
	s_mul_i32 s2, s1, s4
	s_mul_i32 s0, s6, s1
	;; [unrolled: 1-line block ×3, first 2 shown]
	s_lshl_b32 s2, s14, 6
	s_lshl_b32 s6, s1, 6
	s_ashr_i32 s1, s0, 31
	s_ashr_i32 s3, s2, 31
	;; [unrolled: 1-line block ×3, first 2 shown]
	s_lshl_b64 s[0:1], s[0:1], 1
	s_lshl_b64 s[2:3], s[2:3], 1
	;; [unrolled: 1-line block ×3, first 2 shown]
	v_lshrrev_b32_e32 v8, 1, v34
	s_add_u32 s0, s2, s0
	s_addc_u32 s1, s3, s1
	s_add_u32 s0, s0, s6
	s_addc_u32 s1, s1, s7
	v_and_b32_e32 v8, 0x1fe, v8
	v_add_co_u32 v4, vcc_lo, s0, v4
	v_add_co_ci_u32_e32 v5, vcc_lo, s1, v5, vcc_lo
	v_and_b32_e32 v12, 0x7f800000, v10
	s_delay_alu instid0(VALU_DEP_3) | instskip(NEXT) | instid1(VALU_DEP_3)
	v_add_co_u32 v8, vcc_lo, v4, v8
	v_add_co_ci_u32_e32 v9, vcc_lo, 0, v5, vcc_lo
	s_mov_b32 s0, exec_lo
                                        ; implicit-def: $vgpr4
	flat_store_d16_hi_b16 v[8:9], v11
	v_cmpx_ne_u32_e32 0x7f800000, v12
	s_xor_b32 s0, exec_lo, s0
; %bb.1905:
	v_bfe_u32 v4, v10, 16, 1
	s_delay_alu instid0(VALU_DEP_1)
	v_add3_u32 v4, v10, v4, 0x7fff
; %bb.1906:
	s_and_not1_saveexec_b32 s0, s0
; %bb.1907:
	v_and_b32_e32 v4, 0xffff, v10
	v_or_b32_e32 v5, 0x10000, v10
	s_delay_alu instid0(VALU_DEP_2) | instskip(NEXT) | instid1(VALU_DEP_2)
	v_cmp_eq_u32_e32 vcc_lo, 0, v4
	v_cndmask_b32_e32 v4, v5, v10, vcc_lo
; %bb.1908:
	s_or_b32 exec_lo, exec_lo, s0
	v_and_b32_e32 v5, 0x7f800000, v6
	s_mov_b32 s0, exec_lo
	flat_store_d16_hi_b16 v[8:9], v4 offset:16
                                        ; implicit-def: $vgpr4
	v_cmpx_ne_u32_e32 0x7f800000, v5
	s_xor_b32 s0, exec_lo, s0
; %bb.1909:
	v_bfe_u32 v4, v6, 16, 1
	s_delay_alu instid0(VALU_DEP_1)
	v_add3_u32 v4, v6, v4, 0x7fff
; %bb.1910:
	s_and_not1_saveexec_b32 s0, s0
; %bb.1911:
	v_and_b32_e32 v4, 0xffff, v6
	v_or_b32_e32 v5, 0x10000, v6
	s_delay_alu instid0(VALU_DEP_2) | instskip(NEXT) | instid1(VALU_DEP_2)
	v_cmp_eq_u32_e32 vcc_lo, 0, v4
	v_cndmask_b32_e32 v4, v5, v6, vcc_lo
; %bb.1912:
	s_or_b32 exec_lo, exec_lo, s0
	v_and_b32_e32 v5, 0x7f800000, v3
	s_mov_b32 s0, exec_lo
	flat_store_d16_hi_b16 v[8:9], v4 offset:32
                                        ; implicit-def: $vgpr4
	v_cmpx_ne_u32_e32 0x7f800000, v5
	s_xor_b32 s0, exec_lo, s0
; %bb.1913:
	v_bfe_u32 v4, v3, 16, 1
	s_delay_alu instid0(VALU_DEP_1)
	v_add3_u32 v4, v3, v4, 0x7fff
; %bb.1914:
	s_and_not1_saveexec_b32 s0, s0
; %bb.1915:
	v_and_b32_e32 v4, 0xffff, v3
	v_or_b32_e32 v5, 0x10000, v3
	s_delay_alu instid0(VALU_DEP_2) | instskip(NEXT) | instid1(VALU_DEP_2)
	v_cmp_eq_u32_e32 vcc_lo, 0, v4
	v_cndmask_b32_e32 v4, v5, v3, vcc_lo
; %bb.1916:
	s_or_b32 exec_lo, exec_lo, s0
	v_and_b32_e32 v3, 0x7f800000, v2
	flat_store_d16_hi_b16 v[8:9], v4 offset:48
	v_cmp_ne_u32_e32 vcc_lo, 0x7f800000, v3
                                        ; implicit-def: $vgpr3
	s_and_saveexec_b32 s0, vcc_lo
	s_delay_alu instid0(SALU_CYCLE_1)
	s_xor_b32 s0, exec_lo, s0
; %bb.1917:
	v_bfe_u32 v3, v2, 16, 1
	s_delay_alu instid0(VALU_DEP_1)
	v_add3_u32 v3, v2, v3, 0x7fff
; %bb.1918:
	s_and_not1_saveexec_b32 s0, s0
; %bb.1919:
	v_and_b32_e32 v3, 0xffff, v2
	v_or_b32_e32 v4, 0x10000, v2
	s_delay_alu instid0(VALU_DEP_2) | instskip(NEXT) | instid1(VALU_DEP_2)
	v_cmp_eq_u32_e32 vcc_lo, 0, v3
	v_cndmask_b32_e32 v3, v4, v2, vcc_lo
; %bb.1920:
	s_or_b32 exec_lo, exec_lo, s0
	v_and_b32_e32 v2, 0x7f800000, v1
	flat_store_d16_hi_b16 v[8:9], v3 offset:64
	v_cmp_ne_u32_e32 vcc_lo, 0x7f800000, v2
                                        ; implicit-def: $vgpr2
	s_and_saveexec_b32 s0, vcc_lo
	s_delay_alu instid0(SALU_CYCLE_1)
	s_xor_b32 s0, exec_lo, s0
; %bb.1921:
	v_bfe_u32 v2, v1, 16, 1
	s_delay_alu instid0(VALU_DEP_1)
	v_add3_u32 v2, v1, v2, 0x7fff
; %bb.1922:
	s_and_not1_saveexec_b32 s0, s0
; %bb.1923:
	v_and_b32_e32 v2, 0xffff, v1
	v_or_b32_e32 v3, 0x10000, v1
	s_delay_alu instid0(VALU_DEP_2) | instskip(NEXT) | instid1(VALU_DEP_2)
	v_cmp_eq_u32_e32 vcc_lo, 0, v2
	v_cndmask_b32_e32 v2, v3, v1, vcc_lo
; %bb.1924:
	s_or_b32 exec_lo, exec_lo, s0
	v_and_b32_e32 v1, 0x7f800000, v0
	flat_store_d16_hi_b16 v[8:9], v2 offset:80
	v_cmp_ne_u32_e32 vcc_lo, 0x7f800000, v1
                                        ; implicit-def: $vgpr1
	s_and_saveexec_b32 s0, vcc_lo
	s_delay_alu instid0(SALU_CYCLE_1)
	s_xor_b32 s0, exec_lo, s0
; %bb.1925:
	v_bfe_u32 v1, v0, 16, 1
	s_delay_alu instid0(VALU_DEP_1)
	v_add3_u32 v1, v0, v1, 0x7fff
; %bb.1926:
	s_and_not1_saveexec_b32 s0, s0
; %bb.1927:
	v_and_b32_e32 v1, 0xffff, v0
	v_or_b32_e32 v2, 0x10000, v0
	s_delay_alu instid0(VALU_DEP_2) | instskip(NEXT) | instid1(VALU_DEP_2)
	v_cmp_eq_u32_e32 vcc_lo, 0, v1
	v_cndmask_b32_e32 v1, v2, v0, vcc_lo
; %bb.1928:
	s_or_b32 exec_lo, exec_lo, s0
	v_and_b32_e32 v0, 0x7f800000, v7
	s_mov_b32 s0, exec_lo
	flat_store_d16_hi_b16 v[8:9], v1 offset:96
                                        ; implicit-def: $vgpr10
	v_cmpx_ne_u32_e32 0x7f800000, v0
	s_xor_b32 s0, exec_lo, s0
; %bb.1929:
	v_bfe_u32 v0, v7, 16, 1
	s_delay_alu instid0(VALU_DEP_1)
	v_add3_u32 v10, v7, v0, 0x7fff
                                        ; implicit-def: $vgpr0_vgpr1_vgpr2_vgpr3_vgpr4_vgpr5_vgpr6_vgpr7
; %bb.1930:
	s_and_not1_saveexec_b32 s0, s0
; %bb.1931:
	v_and_b32_e32 v0, 0xffff, v7
	v_or_b32_e32 v1, 0x10000, v7
	s_delay_alu instid0(VALU_DEP_2) | instskip(NEXT) | instid1(VALU_DEP_2)
	v_cmp_eq_u32_e32 vcc_lo, 0, v0
	v_cndmask_b32_e32 v10, v1, v7, vcc_lo
; %bb.1932:
	s_or_b32 exec_lo, exec_lo, s0
	flat_store_d16_hi_b16 v[8:9], v10 offset:112
.LBB454_1933:
	s_or_b32 exec_lo, exec_lo, s5
	s_clause 0x1f
	scratch_load_b32 v157, off, s32
	scratch_load_b32 v156, off, s32 offset:4
	scratch_load_b32 v155, off, s32 offset:8
	scratch_load_b32 v154, off, s32 offset:12
	scratch_load_b32 v153, off, s32 offset:16
	scratch_load_b32 v152, off, s32 offset:20
	scratch_load_b32 v143, off, s32 offset:24
	scratch_load_b32 v142, off, s32 offset:28
	scratch_load_b32 v141, off, s32 offset:32
	scratch_load_b32 v140, off, s32 offset:36
	scratch_load_b32 v139, off, s32 offset:40
	scratch_load_b32 v138, off, s32 offset:44
	scratch_load_b32 v137, off, s32 offset:48
	scratch_load_b32 v136, off, s32 offset:52
	scratch_load_b32 v127, off, s32 offset:56
	scratch_load_b32 v126, off, s32 offset:60
	scratch_load_b32 v125, off, s32 offset:64
	scratch_load_b32 v124, off, s32 offset:68
	scratch_load_b32 v123, off, s32 offset:72
	scratch_load_b32 v122, off, s32 offset:76
	scratch_load_b32 v121, off, s32 offset:80
	scratch_load_b32 v120, off, s32 offset:84
	scratch_load_b32 v111, off, s32 offset:88
	scratch_load_b32 v110, off, s32 offset:92
	scratch_load_b32 v109, off, s32 offset:96
	scratch_load_b32 v108, off, s32 offset:100
	scratch_load_b32 v107, off, s32 offset:104
	scratch_load_b32 v106, off, s32 offset:108
	scratch_load_b32 v105, off, s32 offset:112
	scratch_load_b32 v104, off, s32 offset:116
	scratch_load_b32 v95, off, s32 offset:120
	scratch_load_b32 v94, off, s32 offset:124
	s_clause 0x1d
	scratch_load_b32 v93, off, s32 offset:128
	scratch_load_b32 v92, off, s32 offset:132
	;; [unrolled: 1-line block ×30, first 2 shown]
	s_waitcnt vmcnt(0) lgkmcnt(0)
	s_setpc_b64 s[30:31]
.LBB454_1934:
	v_lshl_add_u32 v13, v11, 2, v12
	ds_load_b32 v13, v13
	s_waitcnt lgkmcnt(0)
	v_add_f32_e32 v8, v8, v13
	s_or_b32 exec_lo, exec_lo, s0
	s_and_saveexec_b32 s0, vcc_lo
	s_cbranch_execz .LBB454_1877
.LBB454_1935:
	v_lshl_add_u32 v13, v11, 2, v12
	ds_load_b32 v13, v13 offset:32
	s_waitcnt lgkmcnt(0)
	v_add_f32_e32 v10, v10, v13
	s_or_b32 exec_lo, exec_lo, s0
	s_and_saveexec_b32 s0, vcc_lo
	s_cbranch_execz .LBB454_1878
.LBB454_1936:
	v_lshl_add_u32 v13, v11, 2, v12
	ds_load_b32 v13, v13 offset:64
	s_waitcnt lgkmcnt(0)
	v_add_f32_e32 v6, v6, v13
	s_or_b32 exec_lo, exec_lo, s0
	s_and_saveexec_b32 s0, vcc_lo
	s_cbranch_execz .LBB454_1879
.LBB454_1937:
	v_lshl_add_u32 v13, v11, 2, v12
	ds_load_b32 v13, v13 offset:96
	s_waitcnt lgkmcnt(0)
	v_add_f32_e32 v3, v3, v13
	s_or_b32 exec_lo, exec_lo, s0
	s_and_saveexec_b32 s0, vcc_lo
	s_cbranch_execz .LBB454_1880
.LBB454_1938:
	v_lshl_add_u32 v13, v11, 2, v12
	ds_load_b32 v13, v13 offset:128
	s_waitcnt lgkmcnt(0)
	v_add_f32_e32 v2, v2, v13
	s_or_b32 exec_lo, exec_lo, s0
	s_and_saveexec_b32 s0, vcc_lo
	s_cbranch_execz .LBB454_1881
.LBB454_1939:
	v_lshl_add_u32 v13, v11, 2, v12
	ds_load_b32 v13, v13 offset:160
	s_waitcnt lgkmcnt(0)
	v_add_f32_e32 v1, v1, v13
	s_or_b32 exec_lo, exec_lo, s0
	s_and_saveexec_b32 s0, vcc_lo
	s_cbranch_execz .LBB454_1882
.LBB454_1940:
	v_lshl_add_u32 v13, v11, 2, v12
	ds_load_b32 v13, v13 offset:192
	s_waitcnt lgkmcnt(0)
	v_add_f32_e32 v0, v0, v13
	s_or_b32 exec_lo, exec_lo, s0
	s_and_saveexec_b32 s0, vcc_lo
	s_cbranch_execnz .LBB454_1883
	s_branch .LBB454_1884
.LBB454_1941:
	ds_load_b32 v11, v9
	s_waitcnt lgkmcnt(0)
	v_add_f32_e32 v8, v8, v11
	s_or_b32 exec_lo, exec_lo, s3
	s_and_saveexec_b32 s3, vcc_lo
	s_cbranch_execz .LBB454_1890
.LBB454_1942:
	ds_load_b32 v11, v9 offset:32
	s_waitcnt lgkmcnt(0)
	v_add_f32_e32 v10, v10, v11
	s_or_b32 exec_lo, exec_lo, s3
	s_and_saveexec_b32 s3, vcc_lo
	s_cbranch_execz .LBB454_1891
.LBB454_1943:
	ds_load_b32 v11, v9 offset:64
	s_waitcnt lgkmcnt(0)
	v_add_f32_e32 v6, v6, v11
	s_or_b32 exec_lo, exec_lo, s3
	s_and_saveexec_b32 s3, vcc_lo
	s_cbranch_execz .LBB454_1892
.LBB454_1944:
	ds_load_b32 v11, v9 offset:96
	s_waitcnt lgkmcnt(0)
	v_add_f32_e32 v3, v3, v11
	s_or_b32 exec_lo, exec_lo, s3
	s_and_saveexec_b32 s3, vcc_lo
	s_cbranch_execz .LBB454_1893
.LBB454_1945:
	ds_load_b32 v11, v9 offset:128
	s_waitcnt lgkmcnt(0)
	v_add_f32_e32 v2, v2, v11
	s_or_b32 exec_lo, exec_lo, s3
	s_and_saveexec_b32 s3, vcc_lo
	s_cbranch_execz .LBB454_1894
.LBB454_1946:
	ds_load_b32 v11, v9 offset:160
	s_waitcnt lgkmcnt(0)
	v_add_f32_e32 v1, v1, v11
	s_or_b32 exec_lo, exec_lo, s3
	s_and_saveexec_b32 s3, vcc_lo
	s_cbranch_execz .LBB454_1895
.LBB454_1947:
	ds_load_b32 v11, v9 offset:192
	s_waitcnt lgkmcnt(0)
	v_add_f32_e32 v0, v0, v11
	s_or_b32 exec_lo, exec_lo, s3
	s_and_saveexec_b32 s3, vcc_lo
	s_cbranch_execnz .LBB454_1896
	s_branch .LBB454_1897
.Lfunc_end454:
	.size	_ZN4vllm22paged_attention_kernelI14__hip_bfloat16hLi64ELi32ELi128ELNS_18Fp8KVCacheDataTypeE1ELb0ELi512EEEvPfS3_PT_PKS4_PKT0_SA_ifPKiSC_iPKfiiiSE_SE_iiiii, .Lfunc_end454-_ZN4vllm22paged_attention_kernelI14__hip_bfloat16hLi64ELi32ELi128ELNS_18Fp8KVCacheDataTypeE1ELb0ELi512EEEvPfS3_PT_PKS4_PKT0_SA_ifPKiSC_iPKfiiiSE_SE_iiiii
                                        ; -- End function
	.section	.AMDGPU.csdata,"",@progbits
; Function info:
; codeLenInByte = 59180
; NumSgprs: 35
; NumVgprs: 184
; ScratchSize: 252
; MemoryBound: 0
	.section	.text._ZN4vllm25paged_attention_v2_kernelI14__hip_bfloat16hLi64ELi32ELi128ELNS_18Fp8KVCacheDataTypeE1ELb0ELi512EEEvPfS3_PT_PKS4_PKT0_SA_ifPKiSC_iPKfiiiSE_SE_iiiii,"axG",@progbits,_ZN4vllm25paged_attention_v2_kernelI14__hip_bfloat16hLi64ELi32ELi128ELNS_18Fp8KVCacheDataTypeE1ELb0ELi512EEEvPfS3_PT_PKS4_PKT0_SA_ifPKiSC_iPKfiiiSE_SE_iiiii,comdat
	.protected	_ZN4vllm25paged_attention_v2_kernelI14__hip_bfloat16hLi64ELi32ELi128ELNS_18Fp8KVCacheDataTypeE1ELb0ELi512EEEvPfS3_PT_PKS4_PKT0_SA_ifPKiSC_iPKfiiiSE_SE_iiiii ; -- Begin function _ZN4vllm25paged_attention_v2_kernelI14__hip_bfloat16hLi64ELi32ELi128ELNS_18Fp8KVCacheDataTypeE1ELb0ELi512EEEvPfS3_PT_PKS4_PKT0_SA_ifPKiSC_iPKfiiiSE_SE_iiiii
	.globl	_ZN4vllm25paged_attention_v2_kernelI14__hip_bfloat16hLi64ELi32ELi128ELNS_18Fp8KVCacheDataTypeE1ELb0ELi512EEEvPfS3_PT_PKS4_PKT0_SA_ifPKiSC_iPKfiiiSE_SE_iiiii
	.p2align	8
	.type	_ZN4vllm25paged_attention_v2_kernelI14__hip_bfloat16hLi64ELi32ELi128ELNS_18Fp8KVCacheDataTypeE1ELb0ELi512EEEvPfS3_PT_PKS4_PKT0_SA_ifPKiSC_iPKfiiiSE_SE_iiiii,@function
_ZN4vllm25paged_attention_v2_kernelI14__hip_bfloat16hLi64ELi32ELi128ELNS_18Fp8KVCacheDataTypeE1ELb0ELi512EEEvPfS3_PT_PKS4_PKT0_SA_ifPKiSC_iPKfiiiSE_SE_iiiii: ; @_ZN4vllm25paged_attention_v2_kernelI14__hip_bfloat16hLi64ELi32ELi128ELNS_18Fp8KVCacheDataTypeE1ELb0ELi512EEEvPfS3_PT_PKS4_PKT0_SA_ifPKiSC_iPKfiiiSE_SE_iiiii
; %bb.0:
	s_clause 0x5
	s_load_b256 s[24:31], s[0:1], 0x0
	s_load_b256 s[16:23], s[0:1], 0x20
	s_load_b64 s[2:3], s[0:1], 0x40
	s_load_b64 s[4:5], s[0:1], 0x50
	s_load_b32 s6, s[0:1], 0x48
	s_load_b256 s[36:43], s[0:1], 0x58
	v_mov_b32_e32 v31, v0
	s_add_u32 s8, s0, 0x90
	s_mov_b32 s12, s13
	s_addc_u32 s9, s1, 0
	s_mov_b32 s13, s14
	s_mov_b32 s14, s15
	;; [unrolled: 1-line block ×4, first 2 shown]
	s_getpc_b64 s[0:1]
	s_add_u32 s0, s0, _ZN4vllm22paged_attention_kernelI14__hip_bfloat16hLi64ELi32ELi128ELNS_18Fp8KVCacheDataTypeE1ELb0ELi512EEEvPfS3_PT_PKS4_PKT0_SA_ifPKiSC_iPKfiiiSE_SE_iiiii@rel32@lo+4
	s_addc_u32 s1, s1, _ZN4vllm22paged_attention_kernelI14__hip_bfloat16hLi64ELi32ELi128ELNS_18Fp8KVCacheDataTypeE1ELb0ELi512EEEvPfS3_PT_PKS4_PKT0_SA_ifPKiSC_iPKfiiiSE_SE_iiiii@rel32@hi+12
	s_waitcnt lgkmcnt(0)
	v_dual_mov_b32 v0, s24 :: v_dual_mov_b32 v1, s25
	v_dual_mov_b32 v2, s26 :: v_dual_mov_b32 v3, s27
	;; [unrolled: 1-line block ×14, first 2 shown]
	s_swappc_b64 s[30:31], s[0:1]
	s_endpgm
	.section	.rodata,"a",@progbits
	.p2align	6, 0x0
	.amdhsa_kernel _ZN4vllm25paged_attention_v2_kernelI14__hip_bfloat16hLi64ELi32ELi128ELNS_18Fp8KVCacheDataTypeE1ELb0ELi512EEEvPfS3_PT_PKS4_PKT0_SA_ifPKiSC_iPKfiiiSE_SE_iiiii
		.amdhsa_group_segment_fixed_size 160
		.amdhsa_private_segment_fixed_size 252
		.amdhsa_kernarg_size 400
		.amdhsa_user_sgpr_count 13
		.amdhsa_user_sgpr_dispatch_ptr 0
		.amdhsa_user_sgpr_queue_ptr 0
		.amdhsa_user_sgpr_kernarg_segment_ptr 1
		.amdhsa_user_sgpr_dispatch_id 0
		.amdhsa_user_sgpr_private_segment_size 0
		.amdhsa_wavefront_size32 1
		.amdhsa_uses_dynamic_stack 0
		.amdhsa_enable_private_segment 1
		.amdhsa_system_sgpr_workgroup_id_x 1
		.amdhsa_system_sgpr_workgroup_id_y 1
		.amdhsa_system_sgpr_workgroup_id_z 1
		.amdhsa_system_sgpr_workgroup_info 0
		.amdhsa_system_vgpr_workitem_id 0
		.amdhsa_next_free_vgpr 184
		.amdhsa_next_free_sgpr 44
		.amdhsa_reserve_vcc 1
		.amdhsa_float_round_mode_32 0
		.amdhsa_float_round_mode_16_64 0
		.amdhsa_float_denorm_mode_32 3
		.amdhsa_float_denorm_mode_16_64 3
		.amdhsa_dx10_clamp 1
		.amdhsa_ieee_mode 1
		.amdhsa_fp16_overflow 0
		.amdhsa_workgroup_processor_mode 1
		.amdhsa_memory_ordered 1
		.amdhsa_forward_progress 0
		.amdhsa_shared_vgpr_count 0
		.amdhsa_exception_fp_ieee_invalid_op 0
		.amdhsa_exception_fp_denorm_src 0
		.amdhsa_exception_fp_ieee_div_zero 0
		.amdhsa_exception_fp_ieee_overflow 0
		.amdhsa_exception_fp_ieee_underflow 0
		.amdhsa_exception_fp_ieee_inexact 0
		.amdhsa_exception_int_div_zero 0
	.end_amdhsa_kernel
	.section	.text._ZN4vllm25paged_attention_v2_kernelI14__hip_bfloat16hLi64ELi32ELi128ELNS_18Fp8KVCacheDataTypeE1ELb0ELi512EEEvPfS3_PT_PKS4_PKT0_SA_ifPKiSC_iPKfiiiSE_SE_iiiii,"axG",@progbits,_ZN4vllm25paged_attention_v2_kernelI14__hip_bfloat16hLi64ELi32ELi128ELNS_18Fp8KVCacheDataTypeE1ELb0ELi512EEEvPfS3_PT_PKS4_PKT0_SA_ifPKiSC_iPKfiiiSE_SE_iiiii,comdat
.Lfunc_end455:
	.size	_ZN4vllm25paged_attention_v2_kernelI14__hip_bfloat16hLi64ELi32ELi128ELNS_18Fp8KVCacheDataTypeE1ELb0ELi512EEEvPfS3_PT_PKS4_PKT0_SA_ifPKiSC_iPKfiiiSE_SE_iiiii, .Lfunc_end455-_ZN4vllm25paged_attention_v2_kernelI14__hip_bfloat16hLi64ELi32ELi128ELNS_18Fp8KVCacheDataTypeE1ELb0ELi512EEEvPfS3_PT_PKS4_PKT0_SA_ifPKiSC_iPKfiiiSE_SE_iiiii
                                        ; -- End function
	.section	.AMDGPU.csdata,"",@progbits
; Kernel info:
; codeLenInByte = 232
; NumSgprs: 46
; NumVgprs: 184
; ScratchSize: 252
; MemoryBound: 0
; FloatMode: 240
; IeeeMode: 1
; LDSByteSize: 160 bytes/workgroup (compile time only)
; SGPRBlocks: 5
; VGPRBlocks: 22
; NumSGPRsForWavesPerEU: 46
; NumVGPRsForWavesPerEU: 184
; Occupancy: 8
; WaveLimiterHint : 1
; COMPUTE_PGM_RSRC2:SCRATCH_EN: 1
; COMPUTE_PGM_RSRC2:USER_SGPR: 13
; COMPUTE_PGM_RSRC2:TRAP_HANDLER: 0
; COMPUTE_PGM_RSRC2:TGID_X_EN: 1
; COMPUTE_PGM_RSRC2:TGID_Y_EN: 1
; COMPUTE_PGM_RSRC2:TGID_Z_EN: 1
; COMPUTE_PGM_RSRC2:TIDIG_COMP_CNT: 0
	.text
	.p2align	2                               ; -- Begin function _ZN4vllm22paged_attention_kernelI14__hip_bfloat16hLi80ELi32ELi128ELNS_18Fp8KVCacheDataTypeE1ELb0ELi512EEEvPfS3_PT_PKS4_PKT0_SA_ifPKiSC_iPKfiiiSE_SE_iiiii
	.type	_ZN4vllm22paged_attention_kernelI14__hip_bfloat16hLi80ELi32ELi128ELNS_18Fp8KVCacheDataTypeE1ELb0ELi512EEEvPfS3_PT_PKS4_PKT0_SA_ifPKiSC_iPKfiiiSE_SE_iiiii,@function
_ZN4vllm22paged_attention_kernelI14__hip_bfloat16hLi80ELi32ELi128ELNS_18Fp8KVCacheDataTypeE1ELb0ELi512EEEvPfS3_PT_PKS4_PKT0_SA_ifPKiSC_iPKfiiiSE_SE_iiiii: ; @_ZN4vllm22paged_attention_kernelI14__hip_bfloat16hLi80ELi32ELi128ELNS_18Fp8KVCacheDataTypeE1ELb0ELi512EEEvPfS3_PT_PKS4_PKT0_SA_ifPKiSC_iPKfiiiSE_SE_iiiii
; %bb.0:
	s_waitcnt vmcnt(0) expcnt(0) lgkmcnt(0)
	s_clause 0x1f
	scratch_store_b32 off, v40, s32 offset:316
	; meta instruction
	scratch_store_b32 off, v41, s32 offset:312
	; meta instruction
	;; [unrolled: 2-line block ×31, first 2 shown]
	scratch_store_b32 off, v95, s32 offset:192
	s_clause 0x1f
	scratch_store_b32 off, v104, s32 offset:188
	; meta instruction
	scratch_store_b32 off, v105, s32 offset:184
	; meta instruction
	;; [unrolled: 2-line block ×31, first 2 shown]
	scratch_store_b32 off, v159, s32 offset:64
	s_clause 0xf
	scratch_store_b32 off, v168, s32 offset:60
	; meta instruction
	scratch_store_b32 off, v169, s32 offset:56
	; meta instruction
	;; [unrolled: 2-line block ×15, first 2 shown]
	scratch_store_b32 off, v191, s32
	s_mov_b32 s4, s13
	s_ashr_i32 s5, s13, 31
	v_dual_mov_b32 v28, v3 :: v_dual_mov_b32 v29, v2
	s_lshl_b64 s[0:1], s[4:5], 2
	s_clause 0x1
	scratch_store_b32 off, v5, s32 offset:320
	scratch_store_b32 off, v4, s32 offset:324
	v_add_co_u32 v2, vcc_lo, v16, s0
	v_add_co_ci_u32_e32 v3, vcc_lo, s1, v17, vcc_lo
	s_lshl_b32 s17, s14, 9
	s_mov_b32 s5, exec_lo
	flat_load_b32 v35, v[2:3]
	s_waitcnt vmcnt(0) lgkmcnt(0)
	v_cmpx_lt_i32_e64 s17, v35
	s_cbranch_execz .LBB456_2397
; %bb.1:
	v_sub_nc_u32_e32 v2, 0, v12
	s_clause 0x1
	s_load_b32 s0, s[8:9], 0x10
	s_load_b32 s1, s[8:9], 0x0
	s_mov_b32 s10, s15
	v_mov_b32_e32 v49, 0
	v_max_i32_e32 v2, v12, v2
	s_delay_alu instid0(VALU_DEP_1) | instskip(SKIP_1) | instid1(VALU_DEP_2)
	v_cvt_f32_u32_e32 v3, v2
	v_sub_nc_u32_e32 v4, 0, v2
	v_rcp_iflag_f32_e32 v3, v3
	s_waitcnt lgkmcnt(0)
	s_lshr_b32 s0, s0, 16
	s_delay_alu instid0(SALU_CYCLE_1) | instskip(SKIP_3) | instid1(SALU_CYCLE_1)
	s_cmp_lg_u32 s0, 0
	s_waitcnt_depctr 0xfff
	v_mul_f32_e32 v3, 0x4f7ffffe, v3
	s_cselect_b32 s0, -1, 0
	s_cmp_lg_u32 s0, 0
	s_delay_alu instid0(VALU_DEP_1) | instskip(SKIP_3) | instid1(VALU_DEP_1)
	v_cvt_u32_f32_e32 v3, v3
	s_addc_u32 s16, s1, 0
	s_mov_b32 s1, exec_lo
	s_abs_i32 s0, s16
	v_mul_lo_u32 v4, v4, v3
	s_delay_alu instid0(VALU_DEP_1) | instskip(NEXT) | instid1(VALU_DEP_1)
	v_mul_hi_u32 v4, v3, v4
	v_add_nc_u32_e32 v3, v3, v4
	s_delay_alu instid0(VALU_DEP_1) | instskip(NEXT) | instid1(VALU_DEP_1)
	v_mul_hi_u32 v3, s0, v3
	v_mul_lo_u32 v4, v3, v2
	v_add_nc_u32_e32 v5, 1, v3
	s_delay_alu instid0(VALU_DEP_2) | instskip(SKIP_1) | instid1(VALU_DEP_1)
	v_sub_nc_u32_e32 v4, s0, v4
	s_abs_i32 s0, s12
	v_sub_nc_u32_e32 v16, v4, v2
	v_cmp_ge_u32_e32 vcc_lo, v4, v2
	s_delay_alu instid0(VALU_DEP_2) | instskip(SKIP_1) | instid1(VALU_DEP_2)
	v_dual_cndmask_b32 v3, v3, v5 :: v_dual_cndmask_b32 v4, v4, v16
	v_xor_b32_e32 v5, s16, v12
	v_add_nc_u32_e32 v12, 1, v3
	s_delay_alu instid0(VALU_DEP_3) | instskip(NEXT) | instid1(VALU_DEP_3)
	v_cmp_ge_u32_e32 vcc_lo, v4, v2
	v_ashrrev_i32_e32 v5, 31, v5
	s_delay_alu instid0(VALU_DEP_3) | instskip(NEXT) | instid1(VALU_DEP_1)
	v_cndmask_b32_e32 v2, v3, v12, vcc_lo
	v_xor_b32_e32 v2, v2, v5
	s_delay_alu instid0(VALU_DEP_1) | instskip(NEXT) | instid1(VALU_DEP_1)
	v_sub_nc_u32_e32 v3, v2, v5
	v_sub_nc_u32_e32 v2, 0, v3
	s_delay_alu instid0(VALU_DEP_1) | instskip(NEXT) | instid1(VALU_DEP_1)
	v_max_i32_e32 v2, v3, v2
	v_cvt_f32_u32_e32 v4, v2
	v_sub_nc_u32_e32 v5, 0, v2
	s_delay_alu instid0(VALU_DEP_2) | instskip(SKIP_2) | instid1(VALU_DEP_1)
	v_rcp_iflag_f32_e32 v4, v4
	s_waitcnt_depctr 0xfff
	v_mul_f32_e32 v4, 0x4f7ffffe, v4
	v_cvt_u32_f32_e32 v4, v4
	s_delay_alu instid0(VALU_DEP_1) | instskip(NEXT) | instid1(VALU_DEP_1)
	v_mul_lo_u32 v5, v5, v4
	v_mul_hi_u32 v5, v4, v5
	s_delay_alu instid0(VALU_DEP_1) | instskip(NEXT) | instid1(VALU_DEP_1)
	v_add_nc_u32_e32 v4, v4, v5
	v_mad_u64_u32 v[16:17], null, s0, v4, 0
	v_cmpx_ne_u64_e32 0, v[19:20]
	s_cbranch_execz .LBB456_3
; %bb.2:
	s_ashr_i32 s13, s12, 31
	s_delay_alu instid0(SALU_CYCLE_1) | instskip(NEXT) | instid1(SALU_CYCLE_1)
	s_lshl_b64 s[2:3], s[12:13], 2
	v_add_co_u32 v4, vcc_lo, v19, s2
	v_add_co_ci_u32_e32 v5, vcc_lo, s3, v20, vcc_lo
	flat_load_b32 v49, v[4:5]
.LBB456_3:
	s_or_b32 exec_lo, exec_lo, s1
	v_and_b32_e32 v34, 0x3ff, v31
	v_ashrrev_i32_e32 v3, 31, v3
	s_ashr_i32 s1, s12, 31
	s_mul_i32 s6, s12, 0x50
	s_mov_b32 s2, exec_lo
	v_cmpx_gt_u32_e32 10, v34
	s_cbranch_execz .LBB456_5
; %bb.4:
	v_mul_lo_u32 v4, s4, v21
	s_ashr_i32 s7, s6, 31
	v_lshlrev_b32_e32 v12, 4, v34
	s_lshl_b64 s[18:19], s[6:7], 1
	s_delay_alu instid0(VALU_DEP_2) | instskip(NEXT) | instid1(VALU_DEP_1)
	v_ashrrev_i32_e32 v5, 31, v4
	v_lshlrev_b64 v[4:5], 1, v[4:5]
	s_delay_alu instid0(VALU_DEP_1) | instskip(NEXT) | instid1(VALU_DEP_2)
	v_add_co_u32 v4, vcc_lo, v6, v4
	v_add_co_ci_u32_e32 v5, vcc_lo, v7, v5, vcc_lo
	s_delay_alu instid0(VALU_DEP_2) | instskip(NEXT) | instid1(VALU_DEP_2)
	v_add_co_u32 v4, vcc_lo, v4, s18
	v_add_co_ci_u32_e32 v5, vcc_lo, s19, v5, vcc_lo
	s_delay_alu instid0(VALU_DEP_2) | instskip(NEXT) | instid1(VALU_DEP_2)
	v_add_co_u32 v4, vcc_lo, v4, v12
	v_add_co_ci_u32_e32 v5, vcc_lo, 0, v5, vcc_lo
	flat_load_b128 v[4:7], v[4:5]
	s_waitcnt vmcnt(0) lgkmcnt(0)
	ds_store_b128 v12, v[4:7]
.LBB456_5:
	s_or_b32 exec_lo, exec_lo, s2
	v_mul_lo_u32 v4, v17, v2
	v_xor_b32_e32 v3, s1, v3
	s_clause 0x1
	s_load_b32 s13, s[8:9], 0x14
	s_load_b32 s7, s[8:9], 0x8
	s_lshl_b32 s3, s14, 4
	s_mov_b32 s15, exec_lo
	s_waitcnt vmcnt(0) lgkmcnt(0)
	s_waitcnt_vscnt null, 0x0
	s_barrier
	buffer_gl0_inv
	v_sub_nc_u32_e32 v4, s0, v4
	s_add_i32 s0, s3, 16
	v_mov_b32_e32 v56, 0xff7fffff
	s_delay_alu instid0(VALU_DEP_2) | instskip(SKIP_1) | instid1(VALU_DEP_2)
	v_sub_nc_u32_e32 v7, v4, v2
	v_cmp_ge_u32_e32 vcc_lo, v4, v2
	v_dual_cndmask_b32 v4, v4, v7 :: v_dual_add_nc_u32 v5, 1, v17
	s_delay_alu instid0(VALU_DEP_1) | instskip(NEXT) | instid1(VALU_DEP_2)
	v_dual_cndmask_b32 v5, v17, v5 :: v_dual_add_nc_u32 v6, 31, v35
	v_cmp_ge_u32_e32 vcc_lo, v4, v2
	s_delay_alu instid0(VALU_DEP_2) | instskip(NEXT) | instid1(VALU_DEP_3)
	v_ashrrev_i32_e32 v12, 31, v6
	v_add_nc_u32_e32 v7, 1, v5
	v_mul_lo_u32 v2, s4, v18
	s_delay_alu instid0(VALU_DEP_3) | instskip(NEXT) | instid1(VALU_DEP_1)
	v_lshrrev_b32_e32 v12, 27, v12
	v_dual_cndmask_b32 v4, v5, v7 :: v_dual_add_nc_u32 v5, v6, v12
	s_delay_alu instid0(VALU_DEP_1) | instskip(SKIP_1) | instid1(VALU_DEP_3)
	v_xor_b32_e32 v4, v4, v3
	v_lshrrev_b32_e32 v6, 5, v34
	v_ashrrev_i32_e32 v36, 5, v5
	s_delay_alu instid0(VALU_DEP_3) | instskip(SKIP_1) | instid1(VALU_DEP_4)
	v_sub_nc_u32_e32 v4, v4, v3
	v_ashrrev_i32_e32 v3, 31, v2
	v_add_nc_u32_e32 v16, s3, v6
	s_delay_alu instid0(VALU_DEP_4) | instskip(NEXT) | instid1(VALU_DEP_4)
	v_min_i32_e32 v37, s0, v36
	v_mul_lo_u32 v39, v4, v23
	v_and_b32_e32 v4, 31, v34
	v_lshlrev_b64 v[59:60], 2, v[2:3]
	v_ashrrev_i32_e32 v17, 31, v16
	v_cmp_ge_i32_e64 s0, v16, v37
	s_delay_alu instid0(VALU_DEP_4)
	v_lshlrev_b32_e32 v20, 2, v4
	v_ashrrev_i32_e32 v23, 31, v39
	v_cmpx_lt_i32_e64 v16, v37
	s_cbranch_execz .LBB456_969
; %bb.6:
	v_mov_b32_e32 v19, 0
	s_clause 0x4
	scratch_store_b32 off, v36, s32 offset:352
	scratch_store_b32 off, v29, s32 offset:348
	scratch_store_b32 off, v28, s32 offset:344
	scratch_store_b32 off, v10, s32 offset:340
	scratch_store_b32 off, v11, s32 offset:336
	s_getpc_b64 s[8:9]
	s_add_u32 s8, s8, llvm.amdgcn.dynlds.offset.table@rel32@lo+4
	s_addc_u32 s9, s9, llvm.amdgcn.dynlds.offset.table@rel32@hi+12
	s_ashr_i32 s11, s10, 31
	v_and_b32_e32 v7, 31, v34
	ds_load_b128 v[2:5], v19
	ds_load_b128 v[28:31], v19 offset:16
	ds_load_b128 v[96:99], v19 offset:32
	;; [unrolled: 1-line block ×3, first 2 shown]
	s_lshl_b64 s[18:19], s[10:11], 2
	s_clause 0x1
	scratch_store_b64 off, v[59:60], s32 offset:356
	scratch_store_b32 off, v20, s32 offset:364
	s_add_u32 s8, s18, s8
	s_addc_u32 s9, s19, s9
	v_lshlrev_b32_e32 v6, 4, v7
	s_load_b32 s1, s[8:9], 0x0
	v_sub_nc_u32_e32 v61, 1, v35
	s_mov_b32 s8, -1
	s_mov_b32 s9, 0xffffff
	s_mov_b32 s11, 0
	s_clause 0x1
	scratch_store_b32 off, v14, s32 offset:332
	scratch_store_b32 off, v15, s32 offset:328
	v_mov_b32_e32 v62, v16
	v_mov_b32_e32 v56, 0xff7fffff
	s_waitcnt lgkmcnt(0)
	v_lshlrev_b32_e32 v50, 16, v2
	v_and_b32_e32 v51, 0xffff0000, v2
	v_lshlrev_b32_e32 v52, 16, v3
	v_and_b32_e32 v53, 0xffff0000, v3
	;; [unrolled: 2-line block ×4, first 2 shown]
	ds_load_b128 v[2:5], v19 offset:64
	v_lshlrev_b32_e32 v66, 16, v28
	v_and_b32_e32 v67, 0xffff0000, v28
	v_lshlrev_b32_e32 v68, 16, v29
	v_and_b32_e32 v69, 0xffff0000, v29
	;; [unrolled: 2-line block ×4, first 2 shown]
	ds_load_b128 v[28:31], v19 offset:80
	v_lshlrev_b32_e32 v82, 16, v96
	v_and_b32_e32 v83, 0xffff0000, v96
	v_lshlrev_b32_e32 v84, 16, v97
	v_and_b32_e32 v85, 0xffff0000, v97
	;; [unrolled: 2-line block ×7, first 2 shown]
	v_lshlrev_b32_e32 v112, 16, v115
	ds_load_b128 v[160:163], v19 offset:96
	ds_load_b128 v[176:179], v19 offset:112
	v_and_b32_e32 v113, 0xffff0000, v115
	s_waitcnt lgkmcnt(3)
	v_lshlrev_b32_e32 v114, 16, v2
	v_and_b32_e32 v115, 0xffff0000, v2
	v_lshlrev_b32_e32 v116, 16, v3
	v_and_b32_e32 v117, 0xffff0000, v3
	;; [unrolled: 2-line block ×4, first 2 shown]
	ds_load_b128 v[2:5], v19 offset:128
	s_waitcnt lgkmcnt(3)
	v_lshlrev_b32_e32 v130, 16, v28
	v_and_b32_e32 v131, 0xffff0000, v28
	v_lshlrev_b32_e32 v132, 16, v29
	v_and_b32_e32 v133, 0xffff0000, v29
	;; [unrolled: 2-line block ×4, first 2 shown]
	ds_load_b128 v[28:31], v19 offset:144
	s_waitcnt lgkmcnt(3)
	v_lshlrev_b32_e32 v146, 16, v160
	v_and_b32_e32 v147, 0xffff0000, v160
	v_lshlrev_b32_e32 v148, 16, v161
	v_and_b32_e32 v149, 0xffff0000, v161
	;; [unrolled: 2-line block ×4, first 2 shown]
	s_waitcnt lgkmcnt(2)
	v_lshlrev_b32_e32 v162, 16, v176
	v_and_b32_e32 v163, 0xffff0000, v176
	v_lshlrev_b32_e32 v164, 16, v177
	v_and_b32_e32 v165, 0xffff0000, v177
	;; [unrolled: 2-line block ×4, first 2 shown]
	s_waitcnt lgkmcnt(1)
	v_lshlrev_b32_e32 v178, 16, v2
	v_and_b32_e32 v179, 0xffff0000, v2
	v_lshlrev_b32_e32 v180, 16, v3
	v_and_b32_e32 v181, 0xffff0000, v3
	v_lshlrev_b64 v[2:3], 2, v[16:17]
	v_lshlrev_b32_e32 v182, 16, v4
	v_and_b32_e32 v183, 0xffff0000, v4
	v_add_co_u32 v4, vcc_lo, v8, v39
	v_lshlrev_b32_e32 v40, 16, v5
	v_and_b32_e32 v41, 0xffff0000, v5
	v_add_co_ci_u32_e32 v5, vcc_lo, v9, v23, vcc_lo
	v_add_co_u32 v2, vcc_lo, v59, v2
	v_add_co_ci_u32_e32 v3, vcc_lo, v60, v3, vcc_lo
	v_add_co_u32 v8, vcc_lo, v4, v6
	s_delay_alu instid0(VALU_DEP_4)
	v_add_co_ci_u32_e32 v9, vcc_lo, 0, v5, vcc_lo
	v_lshrrev_b32_e32 v5, 5, v34
	s_waitcnt lgkmcnt(0)
	v_lshlrev_b32_e32 v42, 16, v28
	v_and_b32_e32 v43, 0xffff0000, v28
	v_lshlrev_b32_e32 v44, 16, v29
	v_and_b32_e32 v45, 0xffff0000, v29
	v_lshlrev_b32_e32 v4, 5, v5
	v_lshl_or_b32 v5, v5, 7, v20
	v_add_co_u32 v20, vcc_lo, v14, v2
	v_add_co_ci_u32_e32 v21, vcc_lo, v15, v3, vcc_lo
	v_lshlrev_b32_e32 v46, 16, v30
	v_and_b32_e32 v47, 0xffff0000, v30
	v_lshlrev_b32_e32 v57, 16, v31
	v_and_b32_e32 v58, 0xffff0000, v31
	v_cmp_neq_f32_e32 vcc_lo, 0, v49
	v_add3_u32 v59, s17, v4, v7
	v_add_nc_u32_e32 v60, s1, v5
	s_branch .LBB456_8
.LBB456_7:                              ;   in Loop: Header=BB456_8 Depth=1
	s_or_b32 exec_lo, exec_lo, s2
	v_and_b32_e32 v2, 0xffff0000, v88
	v_and_b32_e32 v3, 0xffff0000, v63
	;; [unrolled: 1-line block ×5, first 2 shown]
	v_dual_mul_f32 v2, v66, v2 :: v_dual_and_b32 v5, 0xffff0000, v5
	v_and_b32_e32 v38, 0xffff0000, v38
	v_and_b32_e32 v63, 0xffff0000, v77
	;; [unrolled: 1-line block ×3, first 2 shown]
	s_delay_alu instid0(VALU_DEP_4)
	v_dual_fmac_f32 v2, v50, v3 :: v_dual_and_b32 v3, 0xffff0000, v89
	v_and_b32_e32 v73, 0xffff0000, v79
	v_and_b32_e32 v29, 0xffff0000, v76
	v_cmp_lt_i32_e64 s1, v59, v35
	v_add_co_u32 v20, s2, v20, 16
	v_mul_f32_e32 v3, v67, v3
	v_add_co_ci_u32_e64 v21, s2, 0, v21, s2
	v_add_nc_u32_e32 v62, 4, v62
	s_delay_alu instid0(VALU_DEP_3) | instskip(SKIP_1) | instid1(VALU_DEP_1)
	v_fmac_f32_e32 v3, v51, v14
	v_and_b32_e32 v14, 0xffff0000, v90
	v_mul_f32_e32 v14, v68, v14
	s_delay_alu instid0(VALU_DEP_1) | instskip(SKIP_1) | instid1(VALU_DEP_1)
	v_fmac_f32_e32 v14, v52, v15
	v_and_b32_e32 v15, 0xffff0000, v91
	v_mul_f32_e32 v15, v69, v15
	s_delay_alu instid0(VALU_DEP_1) | instskip(SKIP_1) | instid1(VALU_DEP_1)
	;; [unrolled: 4-line block ×4, first 2 shown]
	v_fmac_f32_e32 v29, v55, v63
	v_and_b32_e32 v63, 0xffff0000, v94
	v_dual_mul_f32 v63, v80, v63 :: v_dual_and_b32 v72, 0xffff0000, v78
	s_delay_alu instid0(VALU_DEP_1) | instskip(NEXT) | instid1(VALU_DEP_1)
	v_dual_fmac_f32 v63, v64, v72 :: v_dual_and_b32 v72, 0xffff0000, v95
	v_mul_f32_e32 v72, v81, v72
	s_delay_alu instid0(VALU_DEP_1) | instskip(NEXT) | instid1(VALU_DEP_1)
	v_dual_fmac_f32 v72, v65, v73 :: v_dual_and_b32 v73, 0xffff0000, v104
	v_fmac_f32_e32 v2, v82, v73
	v_and_b32_e32 v73, 0xffff0000, v105
	s_delay_alu instid0(VALU_DEP_1) | instskip(SKIP_1) | instid1(VALU_DEP_1)
	v_fmac_f32_e32 v3, v83, v73
	v_and_b32_e32 v73, 0xffff0000, v106
	v_dual_fmac_f32 v14, v84, v73 :: v_dual_and_b32 v73, 0xffff0000, v107
	s_delay_alu instid0(VALU_DEP_1) | instskip(SKIP_1) | instid1(VALU_DEP_1)
	v_fmac_f32_e32 v15, v85, v73
	v_and_b32_e32 v73, 0xffff0000, v108
	v_fmac_f32_e32 v28, v86, v73
	v_and_b32_e32 v73, 0xffff0000, v109
	s_delay_alu instid0(VALU_DEP_1) | instskip(SKIP_1) | instid1(VALU_DEP_1)
	v_fmac_f32_e32 v29, v87, v73
	v_and_b32_e32 v73, 0xffff0000, v110
	v_fmac_f32_e32 v63, v96, v73
	v_and_b32_e32 v73, 0xffff0000, v111
	s_delay_alu instid0(VALU_DEP_1) | instskip(NEXT) | instid1(VALU_DEP_1)
	v_dual_fmac_f32 v72, v97, v73 :: v_dual_and_b32 v73, 0xffff0000, v120
	v_fmac_f32_e32 v2, v98, v73
	v_and_b32_e32 v73, 0xffff0000, v121
	s_delay_alu instid0(VALU_DEP_1) | instskip(SKIP_1) | instid1(VALU_DEP_1)
	v_fmac_f32_e32 v3, v99, v73
	v_and_b32_e32 v73, 0xffff0000, v122
	v_dual_fmac_f32 v14, v100, v73 :: v_dual_and_b32 v73, 0xffff0000, v123
	s_delay_alu instid0(VALU_DEP_1) | instskip(SKIP_1) | instid1(VALU_DEP_1)
	v_fmac_f32_e32 v15, v101, v73
	v_and_b32_e32 v73, 0xffff0000, v124
	v_fmac_f32_e32 v28, v102, v73
	v_and_b32_e32 v73, 0xffff0000, v125
	s_delay_alu instid0(VALU_DEP_1) | instskip(SKIP_1) | instid1(VALU_DEP_1)
	v_fmac_f32_e32 v29, v103, v73
	v_and_b32_e32 v73, 0xffff0000, v126
	v_fmac_f32_e32 v63, v112, v73
	v_and_b32_e32 v73, 0xffff0000, v127
	;; [unrolled: 18-line block ×5, first 2 shown]
	s_delay_alu instid0(VALU_DEP_1) | instskip(NEXT) | instid1(VALU_DEP_1)
	v_dual_fmac_f32 v72, v161, v73 :: v_dual_and_b32 v73, 0xffff0000, v184
	v_fmac_f32_e32 v2, v162, v73
	v_and_b32_e32 v73, 0xffff0000, v185
	s_delay_alu instid0(VALU_DEP_1) | instskip(SKIP_1) | instid1(VALU_DEP_2)
	v_fmac_f32_e32 v3, v163, v73
	v_and_b32_e32 v73, 0xffff0000, v186
	v_fmac_f32_e32 v3, v179, v5
	s_delay_alu instid0(VALU_DEP_2) | instskip(SKIP_1) | instid1(VALU_DEP_2)
	v_dual_fmac_f32 v14, v164, v73 :: v_dual_and_b32 v73, 0xffff0000, v187
	v_fmac_f32_e32 v2, v178, v38
	v_dual_fmac_f32 v14, v180, v4 :: v_dual_fmac_f32 v15, v165, v73
	v_and_b32_e32 v73, 0xffff0000, v188
	v_and_b32_e32 v4, 0xffff0000, v36
	s_delay_alu instid0(VALU_DEP_2) | instskip(SKIP_1) | instid1(VALU_DEP_3)
	v_fmac_f32_e32 v28, v166, v73
	v_and_b32_e32 v73, 0xffff0000, v189
	v_dual_fmac_f32 v15, v181, v4 :: v_dual_and_b32 v4, 0xffff0000, v23
	s_delay_alu instid0(VALU_DEP_2) | instskip(NEXT) | instid1(VALU_DEP_2)
	v_fmac_f32_e32 v29, v167, v73
	v_dual_fmac_f32 v28, v182, v4 :: v_dual_and_b32 v73, 0xffff0000, v190
	s_delay_alu instid0(VALU_DEP_1) | instskip(SKIP_1) | instid1(VALU_DEP_2)
	v_dual_fmac_f32 v63, v176, v73 :: v_dual_and_b32 v4, 0xffff0000, v32
	v_and_b32_e32 v73, 0xffff0000, v191
	v_dual_fmac_f32 v29, v183, v4 :: v_dual_and_b32 v4, 0xffff0000, v33
	s_delay_alu instid0(VALU_DEP_1) | instskip(SKIP_1) | instid1(VALU_DEP_1)
	v_dual_fmac_f32 v72, v177, v73 :: v_dual_fmac_f32 v63, v40, v4
	v_and_b32_e32 v4, 0xffff0000, v48
	v_fmac_f32_e32 v72, v41, v4
	v_and_b32_e32 v4, 0xffff0000, v12
	s_delay_alu instid0(VALU_DEP_1) | instskip(SKIP_1) | instid1(VALU_DEP_1)
	v_fmac_f32_e32 v2, v42, v4
	v_and_b32_e32 v4, 0xffff0000, v11
	v_dual_fmac_f32 v3, v43, v4 :: v_dual_and_b32 v4, 0xffff0000, v10
	s_delay_alu instid0(VALU_DEP_1) | instskip(NEXT) | instid1(VALU_DEP_1)
	v_dual_add_f32 v2, v2, v3 :: v_dual_and_b32 v3, 0xffff0000, v6
	v_dual_fmac_f32 v14, v44, v4 :: v_dual_fmac_f32 v15, v45, v3
	s_delay_alu instid0(VALU_DEP_1) | instskip(NEXT) | instid1(VALU_DEP_1)
	v_dual_add_f32 v2, v2, v14 :: v_dual_and_b32 v3, 0xffff0000, v7
	v_dual_fmac_f32 v28, v46, v3 :: v_dual_and_b32 v3, 0xffff0000, v30
	s_delay_alu instid0(VALU_DEP_2) | instskip(NEXT) | instid1(VALU_DEP_2)
	v_add_f32_e32 v2, v15, v2
	v_fmac_f32_e32 v29, v47, v3
	s_delay_alu instid0(VALU_DEP_2) | instskip(NEXT) | instid1(VALU_DEP_1)
	v_dual_add_f32 v2, v28, v2 :: v_dual_and_b32 v3, 0xffff0000, v31
	v_fmac_f32_e32 v63, v57, v3
	v_and_b32_e32 v3, 0xffff0000, v18
	s_delay_alu instid0(VALU_DEP_3) | instskip(NEXT) | instid1(VALU_DEP_2)
	v_add_f32_e32 v2, v29, v2
	v_fmac_f32_e32 v72, v58, v3
	s_delay_alu instid0(VALU_DEP_2) | instskip(SKIP_1) | instid1(VALU_DEP_2)
	v_dual_add_f32 v2, v63, v2 :: v_dual_add_nc_u32 v3, v61, v59
	v_add_nc_u32_e32 v59, 0x80, v59
	v_cvt_f32_i32_e32 v3, v3
	s_delay_alu instid0(VALU_DEP_1) | instskip(NEXT) | instid1(VALU_DEP_1)
	v_dual_add_f32 v2, v72, v2 :: v_dual_mul_f32 v3, v49, v3
	v_cndmask_b32_e32 v3, 0, v3, vcc_lo
	s_delay_alu instid0(VALU_DEP_1) | instskip(NEXT) | instid1(VALU_DEP_1)
	v_dual_fmac_f32 v3, v2, v13 :: v_dual_max_f32 v2, v56, v56
	v_max_f32_e32 v2, v2, v3
	v_cndmask_b32_e64 v3, 0, v3, s1
	s_delay_alu instid0(VALU_DEP_2) | instskip(SKIP_4) | instid1(SALU_CYCLE_1)
	v_cndmask_b32_e64 v56, v56, v2, s1
	v_cmp_ge_i32_e64 s1, v62, v37
	ds_store_b32 v60, v3
	v_add_nc_u32_e32 v60, 0x200, v60
	s_or_b32 s11, s1, s11
	s_and_not1_b32 exec_lo, exec_lo, s11
	s_cbranch_execz .LBB456_968
.LBB456_8:                              ; =>This Inner Loop Header: Depth=1
	flat_load_b32 v2, v[20:21]
	v_mov_b32_e32 v4, 0
	s_mov_b32 s2, exec_lo
	s_waitcnt vmcnt(0) lgkmcnt(0)
	v_mad_i64_i32 v[28:29], null, v2, v22, v[8:9]
	flat_load_b64 v[30:31], v[28:29]
	flat_load_b32 v72, v[24:25]
	s_waitcnt vmcnt(1) lgkmcnt(1)
	v_and_b32_e32 v2, 0xff, v30
	s_delay_alu instid0(VALU_DEP_1)
	v_cmpx_ne_u16_e32 0, v2
	s_cbranch_execz .LBB456_16
; %bb.9:                                ;   in Loop: Header=BB456_8 Depth=1
	v_bfrev_b32_e32 v4, 1
	s_mov_b32 s18, exec_lo
	v_cmpx_ne_u16_e32 0x80, v2
	s_cbranch_execz .LBB456_15
; %bb.10:                               ;   in Loop: Header=BB456_8 Depth=1
	v_and_b32_e32 v3, 0x7f, v30
	v_mov_b32_e32 v4, 0x7f800001
	s_mov_b32 s19, exec_lo
	s_delay_alu instid0(VALU_DEP_2)
	v_cmpx_ne_u32_e32 0x7f, v3
	s_cbranch_execz .LBB456_14
; %bb.11:                               ;   in Loop: Header=BB456_8 Depth=1
	v_lshrrev_b32_e32 v2, 3, v3
	v_dual_mov_b32 v33, v31 :: v_dual_mov_b32 v32, v30
	s_mov_b32 s20, exec_lo
	v_cmpx_gt_u32_e32 8, v3
; %bb.12:                               ;   in Loop: Header=BB456_8 Depth=1
	v_and_b32_e32 v2, 7, v30
	s_delay_alu instid0(VALU_DEP_1) | instskip(NEXT) | instid1(VALU_DEP_1)
	v_clz_i32_u32_e32 v2, v2
	v_min_u32_e32 v2, 32, v2
	s_delay_alu instid0(VALU_DEP_1) | instskip(SKIP_1) | instid1(VALU_DEP_2)
	v_subrev_nc_u32_e32 v3, 28, v2
	v_sub_nc_u32_e32 v2, 29, v2
	v_lshlrev_b64 v[32:33], v3, v[30:31]
; %bb.13:                               ;   in Loop: Header=BB456_8 Depth=1
	s_or_b32 exec_lo, exec_lo, s20
	s_delay_alu instid0(VALU_DEP_1) | instskip(SKIP_2) | instid1(VALU_DEP_3)
	v_lshlrev_b32_e32 v3, 20, v32
	v_lshlrev_b32_e32 v4, 24, v30
	v_lshl_add_u32 v2, v2, 23, 0x3c000000
	v_and_b32_e32 v3, 0x700000, v3
	s_delay_alu instid0(VALU_DEP_3) | instskip(NEXT) | instid1(VALU_DEP_1)
	v_and_b32_e32 v4, 0x80000000, v4
	v_or3_b32 v4, v3, v4, v2
.LBB456_14:                             ;   in Loop: Header=BB456_8 Depth=1
	s_or_b32 exec_lo, exec_lo, s19
.LBB456_15:                             ;   in Loop: Header=BB456_8 Depth=1
	s_delay_alu instid0(SALU_CYCLE_1)
	s_or_b32 exec_lo, exec_lo, s18
.LBB456_16:                             ;   in Loop: Header=BB456_8 Depth=1
	s_delay_alu instid0(SALU_CYCLE_1) | instskip(SKIP_2) | instid1(VALU_DEP_1)
	s_or_b32 exec_lo, exec_lo, s2
	s_waitcnt vmcnt(0) lgkmcnt(0)
	v_mul_f32_e32 v4, v72, v4
                                        ; implicit-def: $vgpr63
	v_and_b32_e32 v2, 0x7f800000, v4
	s_delay_alu instid0(VALU_DEP_1) | instskip(NEXT) | instid1(VALU_DEP_1)
	v_cmp_ne_u32_e64 s1, 0x7f800000, v2
	s_and_saveexec_b32 s2, s1
	s_delay_alu instid0(SALU_CYCLE_1)
	s_xor_b32 s1, exec_lo, s2
; %bb.17:                               ;   in Loop: Header=BB456_8 Depth=1
	v_bfe_u32 v2, v4, 16, 1
	s_delay_alu instid0(VALU_DEP_1)
	v_add3_u32 v63, v4, v2, 0x7fff
                                        ; implicit-def: $vgpr4
; %bb.18:                               ;   in Loop: Header=BB456_8 Depth=1
	s_and_not1_saveexec_b32 s2, s1
; %bb.19:                               ;   in Loop: Header=BB456_8 Depth=1
	v_and_b32_e32 v2, 0xffff, v4
	v_or_b32_e32 v3, 0x10000, v4
	s_delay_alu instid0(VALU_DEP_2) | instskip(NEXT) | instid1(VALU_DEP_1)
	v_cmp_eq_u32_e64 s1, 0, v2
	v_cndmask_b32_e64 v63, v3, v4, s1
; %bb.20:                               ;   in Loop: Header=BB456_8 Depth=1
	s_or_b32 exec_lo, exec_lo, s2
	v_lshrrev_b16 v2, 8, v30
	v_mov_b32_e32 v4, 0
	s_mov_b32 s2, exec_lo
	s_delay_alu instid0(VALU_DEP_2)
	v_cmpx_ne_u16_e32 0, v2
	s_cbranch_execz .LBB456_28
; %bb.21:                               ;   in Loop: Header=BB456_8 Depth=1
	v_bfrev_b32_e32 v4, 1
	s_mov_b32 s18, exec_lo
	v_cmpx_ne_u16_e32 0x80, v2
	s_cbranch_execz .LBB456_27
; %bb.22:                               ;   in Loop: Header=BB456_8 Depth=1
	v_and_b32_e32 v3, 0xffff, v2
	v_mov_b32_e32 v4, 0x7f800001
	s_mov_b32 s19, exec_lo
	s_delay_alu instid0(VALU_DEP_2) | instskip(NEXT) | instid1(VALU_DEP_1)
	v_and_b32_e32 v2, 0x7f, v3
	v_cmpx_ne_u32_e32 0x7f, v2
	s_cbranch_execz .LBB456_26
; %bb.23:                               ;   in Loop: Header=BB456_8 Depth=1
	v_and_b32_e32 v18, 7, v3
	v_lshrrev_b32_e32 v4, 3, v2
	s_mov_b32 s20, exec_lo
	v_cmpx_gt_u32_e32 8, v2
; %bb.24:                               ;   in Loop: Header=BB456_8 Depth=1
	s_delay_alu instid0(VALU_DEP_3) | instskip(NEXT) | instid1(VALU_DEP_1)
	v_clz_i32_u32_e32 v2, v18
	v_min_u32_e32 v4, 32, v2
	s_delay_alu instid0(VALU_DEP_1) | instskip(SKIP_1) | instid1(VALU_DEP_2)
	v_subrev_nc_u32_e32 v2, 28, v4
	v_sub_nc_u32_e32 v4, 29, v4
	v_lshlrev_b64 v[2:3], v2, v[18:19]
	s_delay_alu instid0(VALU_DEP_1)
	v_and_b32_e32 v18, 7, v2
; %bb.25:                               ;   in Loop: Header=BB456_8 Depth=1
	s_or_b32 exec_lo, exec_lo, s20
	v_lshlrev_b32_e32 v2, 16, v30
	s_delay_alu instid0(VALU_DEP_2) | instskip(SKIP_1) | instid1(VALU_DEP_3)
	v_lshlrev_b32_e32 v3, 20, v18
	v_lshl_add_u32 v4, v4, 23, 0x3c000000
	v_and_b32_e32 v2, 0x80000000, v2
	s_delay_alu instid0(VALU_DEP_1)
	v_or3_b32 v4, v3, v2, v4
.LBB456_26:                             ;   in Loop: Header=BB456_8 Depth=1
	s_or_b32 exec_lo, exec_lo, s19
.LBB456_27:                             ;   in Loop: Header=BB456_8 Depth=1
	s_delay_alu instid0(SALU_CYCLE_1)
	s_or_b32 exec_lo, exec_lo, s18
.LBB456_28:                             ;   in Loop: Header=BB456_8 Depth=1
	s_delay_alu instid0(SALU_CYCLE_1) | instskip(NEXT) | instid1(VALU_DEP_1)
	s_or_b32 exec_lo, exec_lo, s2
	v_mul_f32_e32 v4, v72, v4
                                        ; implicit-def: $vgpr73
	s_delay_alu instid0(VALU_DEP_1) | instskip(NEXT) | instid1(VALU_DEP_1)
	v_and_b32_e32 v2, 0x7f800000, v4
	v_cmp_ne_u32_e64 s1, 0x7f800000, v2
	s_delay_alu instid0(VALU_DEP_1) | instskip(NEXT) | instid1(SALU_CYCLE_1)
	s_and_saveexec_b32 s2, s1
	s_xor_b32 s1, exec_lo, s2
; %bb.29:                               ;   in Loop: Header=BB456_8 Depth=1
	v_bfe_u32 v2, v4, 16, 1
	s_delay_alu instid0(VALU_DEP_1)
	v_add3_u32 v73, v4, v2, 0x7fff
                                        ; implicit-def: $vgpr4
; %bb.30:                               ;   in Loop: Header=BB456_8 Depth=1
	s_and_not1_saveexec_b32 s2, s1
; %bb.31:                               ;   in Loop: Header=BB456_8 Depth=1
	v_and_b32_e32 v2, 0xffff, v4
	v_or_b32_e32 v3, 0x10000, v4
	s_delay_alu instid0(VALU_DEP_2) | instskip(NEXT) | instid1(VALU_DEP_1)
	v_cmp_eq_u32_e64 s1, 0, v2
	v_cndmask_b32_e64 v73, v3, v4, s1
; %bb.32:                               ;   in Loop: Header=BB456_8 Depth=1
	s_or_b32 exec_lo, exec_lo, s2
	v_lshrrev_b32_e32 v4, 16, v30
	s_mov_b32 s2, exec_lo
	s_delay_alu instid0(VALU_DEP_1) | instskip(NEXT) | instid1(VALU_DEP_1)
	v_dual_mov_b32 v5, 0 :: v_dual_and_b32 v2, 0xff, v4
	v_cmpx_ne_u16_e32 0, v2
	s_cbranch_execz .LBB456_40
; %bb.33:                               ;   in Loop: Header=BB456_8 Depth=1
	v_bfrev_b32_e32 v5, 1
	s_mov_b32 s18, exec_lo
	v_cmpx_ne_u16_e32 0x80, v2
	s_cbranch_execz .LBB456_39
; %bb.34:                               ;   in Loop: Header=BB456_8 Depth=1
	v_bfe_u32 v2, v30, 16, 7
	v_mov_b32_e32 v5, 0x7f800001
	s_mov_b32 s19, exec_lo
	s_delay_alu instid0(VALU_DEP_2)
	v_cmpx_ne_u32_e32 0x7f, v2
	s_cbranch_execz .LBB456_38
; %bb.35:                               ;   in Loop: Header=BB456_8 Depth=1
	v_and_b32_e32 v18, 7, v4
	v_lshrrev_b32_e32 v5, 3, v2
	s_mov_b32 s20, exec_lo
	v_cmpx_gt_u32_e32 8, v2
; %bb.36:                               ;   in Loop: Header=BB456_8 Depth=1
	s_delay_alu instid0(VALU_DEP_3) | instskip(NEXT) | instid1(VALU_DEP_1)
	v_clz_i32_u32_e32 v2, v18
	v_min_u32_e32 v5, 32, v2
	s_delay_alu instid0(VALU_DEP_1) | instskip(SKIP_1) | instid1(VALU_DEP_2)
	v_subrev_nc_u32_e32 v2, 28, v5
	v_sub_nc_u32_e32 v5, 29, v5
	v_lshlrev_b64 v[2:3], v2, v[18:19]
	s_delay_alu instid0(VALU_DEP_1)
	v_and_b32_e32 v18, 7, v2
; %bb.37:                               ;   in Loop: Header=BB456_8 Depth=1
	s_or_b32 exec_lo, exec_lo, s20
	v_lshlrev_b32_e32 v2, 24, v4
	s_delay_alu instid0(VALU_DEP_2) | instskip(SKIP_1) | instid1(VALU_DEP_3)
	v_lshlrev_b32_e32 v3, 20, v18
	v_lshl_add_u32 v4, v5, 23, 0x3c000000
	v_and_b32_e32 v2, 0x80000000, v2
	s_delay_alu instid0(VALU_DEP_1)
	v_or3_b32 v5, v3, v2, v4
.LBB456_38:                             ;   in Loop: Header=BB456_8 Depth=1
	s_or_b32 exec_lo, exec_lo, s19
.LBB456_39:                             ;   in Loop: Header=BB456_8 Depth=1
	s_delay_alu instid0(SALU_CYCLE_1)
	s_or_b32 exec_lo, exec_lo, s18
.LBB456_40:                             ;   in Loop: Header=BB456_8 Depth=1
	s_delay_alu instid0(SALU_CYCLE_1) | instskip(NEXT) | instid1(VALU_DEP_1)
	s_or_b32 exec_lo, exec_lo, s2
	v_mul_f32_e32 v4, v72, v5
                                        ; implicit-def: $vgpr74
	s_delay_alu instid0(VALU_DEP_1) | instskip(NEXT) | instid1(VALU_DEP_1)
	v_and_b32_e32 v2, 0x7f800000, v4
	v_cmp_ne_u32_e64 s1, 0x7f800000, v2
	s_delay_alu instid0(VALU_DEP_1) | instskip(NEXT) | instid1(SALU_CYCLE_1)
	s_and_saveexec_b32 s2, s1
	s_xor_b32 s1, exec_lo, s2
; %bb.41:                               ;   in Loop: Header=BB456_8 Depth=1
	v_bfe_u32 v2, v4, 16, 1
	s_delay_alu instid0(VALU_DEP_1)
	v_add3_u32 v74, v4, v2, 0x7fff
                                        ; implicit-def: $vgpr4
; %bb.42:                               ;   in Loop: Header=BB456_8 Depth=1
	s_and_not1_saveexec_b32 s2, s1
; %bb.43:                               ;   in Loop: Header=BB456_8 Depth=1
	v_and_b32_e32 v2, 0xffff, v4
	v_or_b32_e32 v3, 0x10000, v4
	s_delay_alu instid0(VALU_DEP_2) | instskip(NEXT) | instid1(VALU_DEP_1)
	v_cmp_eq_u32_e64 s1, 0, v2
	v_cndmask_b32_e64 v74, v3, v4, s1
; %bb.44:                               ;   in Loop: Header=BB456_8 Depth=1
	s_or_b32 exec_lo, exec_lo, s2
	v_mov_b32_e32 v5, 0
	s_mov_b32 s2, exec_lo
	v_cmpx_lt_u32_e32 0xffffff, v30
	s_cbranch_execz .LBB456_52
; %bb.45:                               ;   in Loop: Header=BB456_8 Depth=1
	v_lshrrev_b32_e32 v4, 24, v30
	v_bfrev_b32_e32 v5, 1
	s_mov_b32 s18, exec_lo
	s_delay_alu instid0(VALU_DEP_2)
	v_cmpx_ne_u32_e32 0x80, v4
	s_cbranch_execz .LBB456_51
; %bb.46:                               ;   in Loop: Header=BB456_8 Depth=1
	v_bfe_u32 v2, v30, 24, 7
	v_mov_b32_e32 v5, 0x7f800001
	s_mov_b32 s19, exec_lo
	s_delay_alu instid0(VALU_DEP_2)
	v_cmpx_ne_u32_e32 0x7f, v2
	s_cbranch_execz .LBB456_50
; %bb.47:                               ;   in Loop: Header=BB456_8 Depth=1
	v_and_b32_e32 v18, 7, v4
	v_lshrrev_b32_e32 v5, 3, v2
	s_mov_b32 s20, exec_lo
	v_cmpx_gt_u32_e32 8, v2
; %bb.48:                               ;   in Loop: Header=BB456_8 Depth=1
	s_delay_alu instid0(VALU_DEP_3) | instskip(NEXT) | instid1(VALU_DEP_1)
	v_clz_i32_u32_e32 v2, v18
	v_min_u32_e32 v5, 32, v2
	s_delay_alu instid0(VALU_DEP_1) | instskip(SKIP_1) | instid1(VALU_DEP_2)
	v_subrev_nc_u32_e32 v2, 28, v5
	v_sub_nc_u32_e32 v5, 29, v5
	v_lshlrev_b64 v[2:3], v2, v[18:19]
	s_delay_alu instid0(VALU_DEP_1)
	v_and_b32_e32 v18, 7, v2
; %bb.49:                               ;   in Loop: Header=BB456_8 Depth=1
	s_or_b32 exec_lo, exec_lo, s20
	v_lshlrev_b32_e32 v2, 24, v4
	s_delay_alu instid0(VALU_DEP_2) | instskip(SKIP_1) | instid1(VALU_DEP_3)
	v_lshlrev_b32_e32 v3, 20, v18
	v_lshl_add_u32 v4, v5, 23, 0x3c000000
	v_and_b32_e32 v2, 0x80000000, v2
	s_delay_alu instid0(VALU_DEP_1)
	v_or3_b32 v5, v3, v2, v4
.LBB456_50:                             ;   in Loop: Header=BB456_8 Depth=1
	s_or_b32 exec_lo, exec_lo, s19
.LBB456_51:                             ;   in Loop: Header=BB456_8 Depth=1
	s_delay_alu instid0(SALU_CYCLE_1)
	s_or_b32 exec_lo, exec_lo, s18
.LBB456_52:                             ;   in Loop: Header=BB456_8 Depth=1
	s_delay_alu instid0(SALU_CYCLE_1) | instskip(NEXT) | instid1(VALU_DEP_1)
	s_or_b32 exec_lo, exec_lo, s2
	v_mul_f32_e32 v4, v72, v5
                                        ; implicit-def: $vgpr75
	s_delay_alu instid0(VALU_DEP_1) | instskip(NEXT) | instid1(VALU_DEP_1)
	v_and_b32_e32 v2, 0x7f800000, v4
	v_cmp_ne_u32_e64 s1, 0x7f800000, v2
	s_delay_alu instid0(VALU_DEP_1) | instskip(NEXT) | instid1(SALU_CYCLE_1)
	s_and_saveexec_b32 s2, s1
	s_xor_b32 s1, exec_lo, s2
; %bb.53:                               ;   in Loop: Header=BB456_8 Depth=1
	v_bfe_u32 v2, v4, 16, 1
	s_delay_alu instid0(VALU_DEP_1)
	v_add3_u32 v75, v4, v2, 0x7fff
                                        ; implicit-def: $vgpr4
; %bb.54:                               ;   in Loop: Header=BB456_8 Depth=1
	s_and_not1_saveexec_b32 s2, s1
; %bb.55:                               ;   in Loop: Header=BB456_8 Depth=1
	v_and_b32_e32 v2, 0xffff, v4
	v_or_b32_e32 v3, 0x10000, v4
	s_delay_alu instid0(VALU_DEP_2) | instskip(NEXT) | instid1(VALU_DEP_1)
	v_cmp_eq_u32_e64 s1, 0, v2
	v_cndmask_b32_e64 v75, v3, v4, s1
; %bb.56:                               ;   in Loop: Header=BB456_8 Depth=1
	s_or_b32 exec_lo, exec_lo, s2
	v_and_b32_e32 v2, 0xff, v31
	v_mov_b32_e32 v18, v31
	v_mov_b32_e32 v4, 0
	s_mov_b32 s2, exec_lo
	s_delay_alu instid0(VALU_DEP_3)
	v_cmpx_ne_u16_e32 0, v2
	s_cbranch_execz .LBB456_64
; %bb.57:                               ;   in Loop: Header=BB456_8 Depth=1
	v_bfrev_b32_e32 v4, 1
	s_mov_b32 s18, exec_lo
	v_cmpx_ne_u16_e32 0x80, v2
	s_cbranch_execz .LBB456_63
; %bb.58:                               ;   in Loop: Header=BB456_8 Depth=1
	v_and_b32_e32 v3, 0x7f, v31
	v_mov_b32_e32 v4, 0x7f800001
	s_mov_b32 s19, exec_lo
	s_delay_alu instid0(VALU_DEP_2)
	v_cmpx_ne_u32_e32 0x7f, v3
	s_cbranch_execz .LBB456_62
; %bb.59:                               ;   in Loop: Header=BB456_8 Depth=1
	v_lshrrev_b32_e32 v2, 3, v3
	v_dual_mov_b32 v33, v19 :: v_dual_mov_b32 v32, v18
	s_mov_b32 s20, exec_lo
	v_cmpx_gt_u32_e32 8, v3
; %bb.60:                               ;   in Loop: Header=BB456_8 Depth=1
	v_and_b32_e32 v2, 7, v31
	s_delay_alu instid0(VALU_DEP_1) | instskip(NEXT) | instid1(VALU_DEP_1)
	v_clz_i32_u32_e32 v2, v2
	v_min_u32_e32 v2, 32, v2
	s_delay_alu instid0(VALU_DEP_1) | instskip(SKIP_1) | instid1(VALU_DEP_2)
	v_subrev_nc_u32_e32 v3, 28, v2
	v_sub_nc_u32_e32 v2, 29, v2
	v_lshlrev_b64 v[32:33], v3, v[18:19]
; %bb.61:                               ;   in Loop: Header=BB456_8 Depth=1
	s_or_b32 exec_lo, exec_lo, s20
	s_delay_alu instid0(VALU_DEP_1) | instskip(SKIP_2) | instid1(VALU_DEP_3)
	v_lshlrev_b32_e32 v3, 20, v32
	v_lshlrev_b32_e32 v4, 24, v18
	v_lshl_add_u32 v2, v2, 23, 0x3c000000
	v_and_b32_e32 v3, 0x700000, v3
	s_delay_alu instid0(VALU_DEP_3) | instskip(NEXT) | instid1(VALU_DEP_1)
	v_and_b32_e32 v4, 0x80000000, v4
	v_or3_b32 v4, v3, v4, v2
.LBB456_62:                             ;   in Loop: Header=BB456_8 Depth=1
	s_or_b32 exec_lo, exec_lo, s19
.LBB456_63:                             ;   in Loop: Header=BB456_8 Depth=1
	s_delay_alu instid0(SALU_CYCLE_1)
	s_or_b32 exec_lo, exec_lo, s18
.LBB456_64:                             ;   in Loop: Header=BB456_8 Depth=1
	s_delay_alu instid0(SALU_CYCLE_1) | instskip(NEXT) | instid1(VALU_DEP_1)
	s_or_b32 exec_lo, exec_lo, s2
	v_mul_f32_e32 v4, v72, v4
                                        ; implicit-def: $vgpr76
	s_delay_alu instid0(VALU_DEP_1) | instskip(NEXT) | instid1(VALU_DEP_1)
	v_and_b32_e32 v2, 0x7f800000, v4
	v_cmp_ne_u32_e64 s1, 0x7f800000, v2
	s_delay_alu instid0(VALU_DEP_1) | instskip(NEXT) | instid1(SALU_CYCLE_1)
	s_and_saveexec_b32 s2, s1
	s_xor_b32 s1, exec_lo, s2
; %bb.65:                               ;   in Loop: Header=BB456_8 Depth=1
	v_bfe_u32 v2, v4, 16, 1
	s_delay_alu instid0(VALU_DEP_1)
	v_add3_u32 v76, v4, v2, 0x7fff
                                        ; implicit-def: $vgpr4
; %bb.66:                               ;   in Loop: Header=BB456_8 Depth=1
	s_and_not1_saveexec_b32 s2, s1
; %bb.67:                               ;   in Loop: Header=BB456_8 Depth=1
	v_and_b32_e32 v2, 0xffff, v4
	v_or_b32_e32 v3, 0x10000, v4
	s_delay_alu instid0(VALU_DEP_2) | instskip(NEXT) | instid1(VALU_DEP_1)
	v_cmp_eq_u32_e64 s1, 0, v2
	v_cndmask_b32_e64 v76, v3, v4, s1
; %bb.68:                               ;   in Loop: Header=BB456_8 Depth=1
	s_or_b32 exec_lo, exec_lo, s2
	v_lshrrev_b16 v2, 8, v18
	v_mov_b32_e32 v4, 0
	s_mov_b32 s2, exec_lo
	s_delay_alu instid0(VALU_DEP_2)
	v_cmpx_ne_u16_e32 0, v2
	s_cbranch_execz .LBB456_76
; %bb.69:                               ;   in Loop: Header=BB456_8 Depth=1
	v_bfrev_b32_e32 v4, 1
	s_mov_b32 s18, exec_lo
	v_cmpx_ne_u16_e32 0x80, v2
	s_cbranch_execz .LBB456_75
; %bb.70:                               ;   in Loop: Header=BB456_8 Depth=1
	v_and_b32_e32 v3, 0xffff, v2
	v_mov_b32_e32 v4, 0x7f800001
	s_mov_b32 s19, exec_lo
	s_delay_alu instid0(VALU_DEP_2) | instskip(NEXT) | instid1(VALU_DEP_1)
	v_and_b32_e32 v2, 0x7f, v3
	v_cmpx_ne_u32_e32 0x7f, v2
	s_cbranch_execz .LBB456_74
; %bb.71:                               ;   in Loop: Header=BB456_8 Depth=1
	v_dual_mov_b32 v33, v19 :: v_dual_and_b32 v32, 7, v3
	v_lshrrev_b32_e32 v4, 3, v2
	s_mov_b32 s20, exec_lo
	v_cmpx_gt_u32_e32 8, v2
; %bb.72:                               ;   in Loop: Header=BB456_8 Depth=1
	s_delay_alu instid0(VALU_DEP_3) | instskip(NEXT) | instid1(VALU_DEP_1)
	v_clz_i32_u32_e32 v2, v32
	v_min_u32_e32 v4, 32, v2
	s_delay_alu instid0(VALU_DEP_1) | instskip(SKIP_1) | instid1(VALU_DEP_2)
	v_subrev_nc_u32_e32 v2, 28, v4
	v_sub_nc_u32_e32 v4, 29, v4
	v_lshlrev_b64 v[2:3], v2, v[32:33]
	s_delay_alu instid0(VALU_DEP_1)
	v_and_b32_e32 v32, 7, v2
; %bb.73:                               ;   in Loop: Header=BB456_8 Depth=1
	s_or_b32 exec_lo, exec_lo, s20
	v_lshlrev_b32_e32 v2, 16, v18
	s_delay_alu instid0(VALU_DEP_2) | instskip(SKIP_1) | instid1(VALU_DEP_3)
	v_lshlrev_b32_e32 v3, 20, v32
	v_lshl_add_u32 v4, v4, 23, 0x3c000000
	v_and_b32_e32 v2, 0x80000000, v2
	s_delay_alu instid0(VALU_DEP_1)
	v_or3_b32 v4, v3, v2, v4
.LBB456_74:                             ;   in Loop: Header=BB456_8 Depth=1
	s_or_b32 exec_lo, exec_lo, s19
.LBB456_75:                             ;   in Loop: Header=BB456_8 Depth=1
	s_delay_alu instid0(SALU_CYCLE_1)
	s_or_b32 exec_lo, exec_lo, s18
.LBB456_76:                             ;   in Loop: Header=BB456_8 Depth=1
	s_delay_alu instid0(SALU_CYCLE_1) | instskip(NEXT) | instid1(VALU_DEP_1)
	s_or_b32 exec_lo, exec_lo, s2
	v_mul_f32_e32 v4, v72, v4
                                        ; implicit-def: $vgpr77
	s_delay_alu instid0(VALU_DEP_1) | instskip(NEXT) | instid1(VALU_DEP_1)
	v_and_b32_e32 v2, 0x7f800000, v4
	v_cmp_ne_u32_e64 s1, 0x7f800000, v2
	s_delay_alu instid0(VALU_DEP_1) | instskip(NEXT) | instid1(SALU_CYCLE_1)
	s_and_saveexec_b32 s2, s1
	s_xor_b32 s1, exec_lo, s2
; %bb.77:                               ;   in Loop: Header=BB456_8 Depth=1
	v_bfe_u32 v2, v4, 16, 1
	s_delay_alu instid0(VALU_DEP_1)
	v_add3_u32 v77, v4, v2, 0x7fff
                                        ; implicit-def: $vgpr4
; %bb.78:                               ;   in Loop: Header=BB456_8 Depth=1
	s_and_not1_saveexec_b32 s2, s1
; %bb.79:                               ;   in Loop: Header=BB456_8 Depth=1
	v_and_b32_e32 v2, 0xffff, v4
	v_or_b32_e32 v3, 0x10000, v4
	s_delay_alu instid0(VALU_DEP_2) | instskip(NEXT) | instid1(VALU_DEP_1)
	v_cmp_eq_u32_e64 s1, 0, v2
	v_cndmask_b32_e64 v77, v3, v4, s1
; %bb.80:                               ;   in Loop: Header=BB456_8 Depth=1
	s_or_b32 exec_lo, exec_lo, s2
	v_lshrrev_b32_e32 v4, 16, v31
	s_mov_b32 s2, exec_lo
	s_delay_alu instid0(VALU_DEP_1) | instskip(NEXT) | instid1(VALU_DEP_1)
	v_dual_mov_b32 v5, 0 :: v_dual_and_b32 v2, 0xff, v4
	v_cmpx_ne_u16_e32 0, v2
	s_cbranch_execz .LBB456_88
; %bb.81:                               ;   in Loop: Header=BB456_8 Depth=1
	v_bfrev_b32_e32 v5, 1
	s_mov_b32 s18, exec_lo
	v_cmpx_ne_u16_e32 0x80, v2
	s_cbranch_execz .LBB456_87
; %bb.82:                               ;   in Loop: Header=BB456_8 Depth=1
	v_bfe_u32 v2, v31, 16, 7
	v_mov_b32_e32 v5, 0x7f800001
	s_mov_b32 s19, exec_lo
	s_delay_alu instid0(VALU_DEP_2)
	v_cmpx_ne_u32_e32 0x7f, v2
	s_cbranch_execz .LBB456_86
; %bb.83:                               ;   in Loop: Header=BB456_8 Depth=1
	v_and_b32_e32 v18, 7, v4
	v_lshrrev_b32_e32 v5, 3, v2
	s_mov_b32 s20, exec_lo
	v_cmpx_gt_u32_e32 8, v2
; %bb.84:                               ;   in Loop: Header=BB456_8 Depth=1
	s_delay_alu instid0(VALU_DEP_3) | instskip(NEXT) | instid1(VALU_DEP_1)
	v_clz_i32_u32_e32 v2, v18
	v_min_u32_e32 v5, 32, v2
	s_delay_alu instid0(VALU_DEP_1) | instskip(SKIP_1) | instid1(VALU_DEP_2)
	v_subrev_nc_u32_e32 v2, 28, v5
	v_sub_nc_u32_e32 v5, 29, v5
	v_lshlrev_b64 v[2:3], v2, v[18:19]
	s_delay_alu instid0(VALU_DEP_1)
	v_and_b32_e32 v18, 7, v2
; %bb.85:                               ;   in Loop: Header=BB456_8 Depth=1
	s_or_b32 exec_lo, exec_lo, s20
	v_lshlrev_b32_e32 v2, 24, v4
	s_delay_alu instid0(VALU_DEP_2) | instskip(SKIP_1) | instid1(VALU_DEP_3)
	v_lshlrev_b32_e32 v3, 20, v18
	v_lshl_add_u32 v4, v5, 23, 0x3c000000
	v_and_b32_e32 v2, 0x80000000, v2
	s_delay_alu instid0(VALU_DEP_1)
	v_or3_b32 v5, v3, v2, v4
.LBB456_86:                             ;   in Loop: Header=BB456_8 Depth=1
	s_or_b32 exec_lo, exec_lo, s19
.LBB456_87:                             ;   in Loop: Header=BB456_8 Depth=1
	s_delay_alu instid0(SALU_CYCLE_1)
	s_or_b32 exec_lo, exec_lo, s18
.LBB456_88:                             ;   in Loop: Header=BB456_8 Depth=1
	s_delay_alu instid0(SALU_CYCLE_1) | instskip(NEXT) | instid1(VALU_DEP_1)
	s_or_b32 exec_lo, exec_lo, s2
	v_mul_f32_e32 v4, v72, v5
                                        ; implicit-def: $vgpr78
	s_delay_alu instid0(VALU_DEP_1) | instskip(NEXT) | instid1(VALU_DEP_1)
	v_and_b32_e32 v2, 0x7f800000, v4
	v_cmp_ne_u32_e64 s1, 0x7f800000, v2
	s_delay_alu instid0(VALU_DEP_1) | instskip(NEXT) | instid1(SALU_CYCLE_1)
	s_and_saveexec_b32 s2, s1
	s_xor_b32 s1, exec_lo, s2
; %bb.89:                               ;   in Loop: Header=BB456_8 Depth=1
	v_bfe_u32 v2, v4, 16, 1
	s_delay_alu instid0(VALU_DEP_1)
	v_add3_u32 v78, v4, v2, 0x7fff
                                        ; implicit-def: $vgpr4
; %bb.90:                               ;   in Loop: Header=BB456_8 Depth=1
	s_and_not1_saveexec_b32 s2, s1
; %bb.91:                               ;   in Loop: Header=BB456_8 Depth=1
	v_and_b32_e32 v2, 0xffff, v4
	v_or_b32_e32 v3, 0x10000, v4
	s_delay_alu instid0(VALU_DEP_2) | instskip(NEXT) | instid1(VALU_DEP_1)
	v_cmp_eq_u32_e64 s1, 0, v2
	v_cndmask_b32_e64 v78, v3, v4, s1
; %bb.92:                               ;   in Loop: Header=BB456_8 Depth=1
	s_or_b32 exec_lo, exec_lo, s2
	v_mov_b32_e32 v5, 0
	s_mov_b32 s2, exec_lo
	v_cmpx_lt_u64_e64 s[8:9], v[30:31]
	s_cbranch_execz .LBB456_100
; %bb.93:                               ;   in Loop: Header=BB456_8 Depth=1
	v_lshrrev_b32_e32 v4, 24, v31
	v_bfrev_b32_e32 v5, 1
	s_mov_b32 s18, exec_lo
	s_delay_alu instid0(VALU_DEP_2)
	v_cmpx_ne_u32_e32 0x80, v4
	s_cbranch_execz .LBB456_99
; %bb.94:                               ;   in Loop: Header=BB456_8 Depth=1
	v_bfe_u32 v2, v31, 24, 7
	v_mov_b32_e32 v5, 0x7f800001
	s_mov_b32 s19, exec_lo
	s_delay_alu instid0(VALU_DEP_2)
	v_cmpx_ne_u32_e32 0x7f, v2
	s_cbranch_execz .LBB456_98
; %bb.95:                               ;   in Loop: Header=BB456_8 Depth=1
	v_and_b32_e32 v18, 7, v4
	v_lshrrev_b32_e32 v5, 3, v2
	s_mov_b32 s20, exec_lo
	v_cmpx_gt_u32_e32 8, v2
; %bb.96:                               ;   in Loop: Header=BB456_8 Depth=1
	s_delay_alu instid0(VALU_DEP_3) | instskip(NEXT) | instid1(VALU_DEP_1)
	v_clz_i32_u32_e32 v2, v18
	v_min_u32_e32 v5, 32, v2
	s_delay_alu instid0(VALU_DEP_1) | instskip(SKIP_1) | instid1(VALU_DEP_2)
	v_subrev_nc_u32_e32 v2, 28, v5
	v_sub_nc_u32_e32 v5, 29, v5
	v_lshlrev_b64 v[2:3], v2, v[18:19]
	s_delay_alu instid0(VALU_DEP_1)
	v_and_b32_e32 v18, 7, v2
; %bb.97:                               ;   in Loop: Header=BB456_8 Depth=1
	s_or_b32 exec_lo, exec_lo, s20
	v_lshlrev_b32_e32 v2, 24, v4
	s_delay_alu instid0(VALU_DEP_2) | instskip(SKIP_1) | instid1(VALU_DEP_3)
	v_lshlrev_b32_e32 v3, 20, v18
	v_lshl_add_u32 v4, v5, 23, 0x3c000000
	v_and_b32_e32 v2, 0x80000000, v2
	s_delay_alu instid0(VALU_DEP_1)
	v_or3_b32 v5, v3, v2, v4
.LBB456_98:                             ;   in Loop: Header=BB456_8 Depth=1
	s_or_b32 exec_lo, exec_lo, s19
.LBB456_99:                             ;   in Loop: Header=BB456_8 Depth=1
	s_delay_alu instid0(SALU_CYCLE_1)
	s_or_b32 exec_lo, exec_lo, s18
.LBB456_100:                            ;   in Loop: Header=BB456_8 Depth=1
	s_delay_alu instid0(SALU_CYCLE_1) | instskip(NEXT) | instid1(VALU_DEP_1)
	s_or_b32 exec_lo, exec_lo, s2
	v_mul_f32_e32 v4, v72, v5
                                        ; implicit-def: $vgpr79
	s_delay_alu instid0(VALU_DEP_1) | instskip(NEXT) | instid1(VALU_DEP_1)
	v_and_b32_e32 v2, 0x7f800000, v4
	v_cmp_ne_u32_e64 s1, 0x7f800000, v2
	s_delay_alu instid0(VALU_DEP_1) | instskip(NEXT) | instid1(SALU_CYCLE_1)
	s_and_saveexec_b32 s2, s1
	s_xor_b32 s1, exec_lo, s2
; %bb.101:                              ;   in Loop: Header=BB456_8 Depth=1
	v_bfe_u32 v2, v4, 16, 1
	s_delay_alu instid0(VALU_DEP_1)
	v_add3_u32 v79, v4, v2, 0x7fff
                                        ; implicit-def: $vgpr4
; %bb.102:                              ;   in Loop: Header=BB456_8 Depth=1
	s_and_not1_saveexec_b32 s2, s1
; %bb.103:                              ;   in Loop: Header=BB456_8 Depth=1
	v_and_b32_e32 v2, 0xffff, v4
	v_or_b32_e32 v3, 0x10000, v4
	s_delay_alu instid0(VALU_DEP_2) | instskip(NEXT) | instid1(VALU_DEP_1)
	v_cmp_eq_u32_e64 s1, 0, v2
	v_cndmask_b32_e64 v79, v3, v4, s1
; %bb.104:                              ;   in Loop: Header=BB456_8 Depth=1
	s_or_b32 exec_lo, exec_lo, s2
	flat_load_b64 v[30:31], v[28:29] offset:8
	v_mov_b32_e32 v4, 0
	s_mov_b32 s2, exec_lo
	s_waitcnt vmcnt(0) lgkmcnt(0)
	v_and_b32_e32 v2, 0xff, v30
	s_delay_alu instid0(VALU_DEP_1)
	v_cmpx_ne_u16_e32 0, v2
	s_cbranch_execz .LBB456_112
; %bb.105:                              ;   in Loop: Header=BB456_8 Depth=1
	v_bfrev_b32_e32 v4, 1
	s_mov_b32 s18, exec_lo
	v_cmpx_ne_u16_e32 0x80, v2
	s_cbranch_execz .LBB456_111
; %bb.106:                              ;   in Loop: Header=BB456_8 Depth=1
	v_and_b32_e32 v3, 0x7f, v30
	v_mov_b32_e32 v4, 0x7f800001
	s_mov_b32 s19, exec_lo
	s_delay_alu instid0(VALU_DEP_2)
	v_cmpx_ne_u32_e32 0x7f, v3
	s_cbranch_execz .LBB456_110
; %bb.107:                              ;   in Loop: Header=BB456_8 Depth=1
	v_lshrrev_b32_e32 v2, 3, v3
	v_dual_mov_b32 v33, v31 :: v_dual_mov_b32 v32, v30
	s_mov_b32 s20, exec_lo
	v_cmpx_gt_u32_e32 8, v3
; %bb.108:                              ;   in Loop: Header=BB456_8 Depth=1
	v_and_b32_e32 v2, 7, v30
	s_delay_alu instid0(VALU_DEP_1) | instskip(NEXT) | instid1(VALU_DEP_1)
	v_clz_i32_u32_e32 v2, v2
	v_min_u32_e32 v2, 32, v2
	s_delay_alu instid0(VALU_DEP_1) | instskip(SKIP_1) | instid1(VALU_DEP_2)
	v_subrev_nc_u32_e32 v3, 28, v2
	v_sub_nc_u32_e32 v2, 29, v2
	v_lshlrev_b64 v[32:33], v3, v[30:31]
; %bb.109:                              ;   in Loop: Header=BB456_8 Depth=1
	s_or_b32 exec_lo, exec_lo, s20
	s_delay_alu instid0(VALU_DEP_1) | instskip(SKIP_2) | instid1(VALU_DEP_3)
	v_lshlrev_b32_e32 v3, 20, v32
	v_lshlrev_b32_e32 v4, 24, v30
	v_lshl_add_u32 v2, v2, 23, 0x3c000000
	v_and_b32_e32 v3, 0x700000, v3
	s_delay_alu instid0(VALU_DEP_3) | instskip(NEXT) | instid1(VALU_DEP_1)
	v_and_b32_e32 v4, 0x80000000, v4
	v_or3_b32 v4, v3, v4, v2
.LBB456_110:                            ;   in Loop: Header=BB456_8 Depth=1
	s_or_b32 exec_lo, exec_lo, s19
.LBB456_111:                            ;   in Loop: Header=BB456_8 Depth=1
	s_delay_alu instid0(SALU_CYCLE_1)
	s_or_b32 exec_lo, exec_lo, s18
.LBB456_112:                            ;   in Loop: Header=BB456_8 Depth=1
	s_delay_alu instid0(SALU_CYCLE_1) | instskip(NEXT) | instid1(VALU_DEP_1)
	s_or_b32 exec_lo, exec_lo, s2
	v_mul_f32_e32 v4, v72, v4
                                        ; implicit-def: $vgpr88
	s_delay_alu instid0(VALU_DEP_1) | instskip(NEXT) | instid1(VALU_DEP_1)
	v_and_b32_e32 v2, 0x7f800000, v4
	v_cmp_ne_u32_e64 s1, 0x7f800000, v2
	s_delay_alu instid0(VALU_DEP_1) | instskip(NEXT) | instid1(SALU_CYCLE_1)
	s_and_saveexec_b32 s2, s1
	s_xor_b32 s1, exec_lo, s2
; %bb.113:                              ;   in Loop: Header=BB456_8 Depth=1
	v_bfe_u32 v2, v4, 16, 1
	s_delay_alu instid0(VALU_DEP_1)
	v_add3_u32 v88, v4, v2, 0x7fff
                                        ; implicit-def: $vgpr4
; %bb.114:                              ;   in Loop: Header=BB456_8 Depth=1
	s_and_not1_saveexec_b32 s2, s1
; %bb.115:                              ;   in Loop: Header=BB456_8 Depth=1
	v_and_b32_e32 v2, 0xffff, v4
	v_or_b32_e32 v3, 0x10000, v4
	s_delay_alu instid0(VALU_DEP_2) | instskip(NEXT) | instid1(VALU_DEP_1)
	v_cmp_eq_u32_e64 s1, 0, v2
	v_cndmask_b32_e64 v88, v3, v4, s1
; %bb.116:                              ;   in Loop: Header=BB456_8 Depth=1
	s_or_b32 exec_lo, exec_lo, s2
	v_lshrrev_b16 v2, 8, v30
	v_mov_b32_e32 v4, 0
	s_mov_b32 s2, exec_lo
	s_delay_alu instid0(VALU_DEP_2)
	v_cmpx_ne_u16_e32 0, v2
	s_cbranch_execz .LBB456_124
; %bb.117:                              ;   in Loop: Header=BB456_8 Depth=1
	v_bfrev_b32_e32 v4, 1
	s_mov_b32 s18, exec_lo
	v_cmpx_ne_u16_e32 0x80, v2
	s_cbranch_execz .LBB456_123
; %bb.118:                              ;   in Loop: Header=BB456_8 Depth=1
	v_and_b32_e32 v3, 0xffff, v2
	v_mov_b32_e32 v4, 0x7f800001
	s_mov_b32 s19, exec_lo
	s_delay_alu instid0(VALU_DEP_2) | instskip(NEXT) | instid1(VALU_DEP_1)
	v_and_b32_e32 v2, 0x7f, v3
	v_cmpx_ne_u32_e32 0x7f, v2
	s_cbranch_execz .LBB456_122
; %bb.119:                              ;   in Loop: Header=BB456_8 Depth=1
	v_and_b32_e32 v18, 7, v3
	v_lshrrev_b32_e32 v4, 3, v2
	s_mov_b32 s20, exec_lo
	v_cmpx_gt_u32_e32 8, v2
; %bb.120:                              ;   in Loop: Header=BB456_8 Depth=1
	s_delay_alu instid0(VALU_DEP_3) | instskip(NEXT) | instid1(VALU_DEP_1)
	v_clz_i32_u32_e32 v2, v18
	v_min_u32_e32 v4, 32, v2
	s_delay_alu instid0(VALU_DEP_1) | instskip(SKIP_1) | instid1(VALU_DEP_2)
	v_subrev_nc_u32_e32 v2, 28, v4
	v_sub_nc_u32_e32 v4, 29, v4
	v_lshlrev_b64 v[2:3], v2, v[18:19]
	s_delay_alu instid0(VALU_DEP_1)
	v_and_b32_e32 v18, 7, v2
; %bb.121:                              ;   in Loop: Header=BB456_8 Depth=1
	s_or_b32 exec_lo, exec_lo, s20
	v_lshlrev_b32_e32 v2, 16, v30
	s_delay_alu instid0(VALU_DEP_2) | instskip(SKIP_1) | instid1(VALU_DEP_3)
	v_lshlrev_b32_e32 v3, 20, v18
	v_lshl_add_u32 v4, v4, 23, 0x3c000000
	v_and_b32_e32 v2, 0x80000000, v2
	s_delay_alu instid0(VALU_DEP_1)
	v_or3_b32 v4, v3, v2, v4
.LBB456_122:                            ;   in Loop: Header=BB456_8 Depth=1
	s_or_b32 exec_lo, exec_lo, s19
.LBB456_123:                            ;   in Loop: Header=BB456_8 Depth=1
	s_delay_alu instid0(SALU_CYCLE_1)
	s_or_b32 exec_lo, exec_lo, s18
.LBB456_124:                            ;   in Loop: Header=BB456_8 Depth=1
	s_delay_alu instid0(SALU_CYCLE_1) | instskip(NEXT) | instid1(VALU_DEP_1)
	s_or_b32 exec_lo, exec_lo, s2
	v_mul_f32_e32 v4, v72, v4
                                        ; implicit-def: $vgpr89
	s_delay_alu instid0(VALU_DEP_1) | instskip(NEXT) | instid1(VALU_DEP_1)
	v_and_b32_e32 v2, 0x7f800000, v4
	v_cmp_ne_u32_e64 s1, 0x7f800000, v2
	s_delay_alu instid0(VALU_DEP_1) | instskip(NEXT) | instid1(SALU_CYCLE_1)
	s_and_saveexec_b32 s2, s1
	s_xor_b32 s1, exec_lo, s2
; %bb.125:                              ;   in Loop: Header=BB456_8 Depth=1
	v_bfe_u32 v2, v4, 16, 1
	s_delay_alu instid0(VALU_DEP_1)
	v_add3_u32 v89, v4, v2, 0x7fff
                                        ; implicit-def: $vgpr4
; %bb.126:                              ;   in Loop: Header=BB456_8 Depth=1
	s_and_not1_saveexec_b32 s2, s1
; %bb.127:                              ;   in Loop: Header=BB456_8 Depth=1
	v_and_b32_e32 v2, 0xffff, v4
	v_or_b32_e32 v3, 0x10000, v4
	s_delay_alu instid0(VALU_DEP_2) | instskip(NEXT) | instid1(VALU_DEP_1)
	v_cmp_eq_u32_e64 s1, 0, v2
	v_cndmask_b32_e64 v89, v3, v4, s1
; %bb.128:                              ;   in Loop: Header=BB456_8 Depth=1
	s_or_b32 exec_lo, exec_lo, s2
	v_lshrrev_b32_e32 v4, 16, v30
	s_mov_b32 s2, exec_lo
	s_delay_alu instid0(VALU_DEP_1) | instskip(NEXT) | instid1(VALU_DEP_1)
	v_dual_mov_b32 v5, 0 :: v_dual_and_b32 v2, 0xff, v4
	v_cmpx_ne_u16_e32 0, v2
	s_cbranch_execz .LBB456_136
; %bb.129:                              ;   in Loop: Header=BB456_8 Depth=1
	v_bfrev_b32_e32 v5, 1
	s_mov_b32 s18, exec_lo
	v_cmpx_ne_u16_e32 0x80, v2
	s_cbranch_execz .LBB456_135
; %bb.130:                              ;   in Loop: Header=BB456_8 Depth=1
	v_bfe_u32 v2, v30, 16, 7
	v_mov_b32_e32 v5, 0x7f800001
	s_mov_b32 s19, exec_lo
	s_delay_alu instid0(VALU_DEP_2)
	v_cmpx_ne_u32_e32 0x7f, v2
	s_cbranch_execz .LBB456_134
; %bb.131:                              ;   in Loop: Header=BB456_8 Depth=1
	v_and_b32_e32 v18, 7, v4
	v_lshrrev_b32_e32 v5, 3, v2
	s_mov_b32 s20, exec_lo
	v_cmpx_gt_u32_e32 8, v2
; %bb.132:                              ;   in Loop: Header=BB456_8 Depth=1
	s_delay_alu instid0(VALU_DEP_3) | instskip(NEXT) | instid1(VALU_DEP_1)
	v_clz_i32_u32_e32 v2, v18
	v_min_u32_e32 v5, 32, v2
	s_delay_alu instid0(VALU_DEP_1) | instskip(SKIP_1) | instid1(VALU_DEP_2)
	v_subrev_nc_u32_e32 v2, 28, v5
	v_sub_nc_u32_e32 v5, 29, v5
	v_lshlrev_b64 v[2:3], v2, v[18:19]
	s_delay_alu instid0(VALU_DEP_1)
	v_and_b32_e32 v18, 7, v2
; %bb.133:                              ;   in Loop: Header=BB456_8 Depth=1
	s_or_b32 exec_lo, exec_lo, s20
	v_lshlrev_b32_e32 v2, 24, v4
	s_delay_alu instid0(VALU_DEP_2) | instskip(SKIP_1) | instid1(VALU_DEP_3)
	v_lshlrev_b32_e32 v3, 20, v18
	v_lshl_add_u32 v4, v5, 23, 0x3c000000
	v_and_b32_e32 v2, 0x80000000, v2
	s_delay_alu instid0(VALU_DEP_1)
	v_or3_b32 v5, v3, v2, v4
.LBB456_134:                            ;   in Loop: Header=BB456_8 Depth=1
	s_or_b32 exec_lo, exec_lo, s19
.LBB456_135:                            ;   in Loop: Header=BB456_8 Depth=1
	s_delay_alu instid0(SALU_CYCLE_1)
	s_or_b32 exec_lo, exec_lo, s18
.LBB456_136:                            ;   in Loop: Header=BB456_8 Depth=1
	s_delay_alu instid0(SALU_CYCLE_1) | instskip(NEXT) | instid1(VALU_DEP_1)
	s_or_b32 exec_lo, exec_lo, s2
	v_mul_f32_e32 v4, v72, v5
                                        ; implicit-def: $vgpr90
	s_delay_alu instid0(VALU_DEP_1) | instskip(NEXT) | instid1(VALU_DEP_1)
	v_and_b32_e32 v2, 0x7f800000, v4
	v_cmp_ne_u32_e64 s1, 0x7f800000, v2
	s_delay_alu instid0(VALU_DEP_1) | instskip(NEXT) | instid1(SALU_CYCLE_1)
	s_and_saveexec_b32 s2, s1
	s_xor_b32 s1, exec_lo, s2
; %bb.137:                              ;   in Loop: Header=BB456_8 Depth=1
	v_bfe_u32 v2, v4, 16, 1
	s_delay_alu instid0(VALU_DEP_1)
	v_add3_u32 v90, v4, v2, 0x7fff
                                        ; implicit-def: $vgpr4
; %bb.138:                              ;   in Loop: Header=BB456_8 Depth=1
	s_and_not1_saveexec_b32 s2, s1
; %bb.139:                              ;   in Loop: Header=BB456_8 Depth=1
	v_and_b32_e32 v2, 0xffff, v4
	v_or_b32_e32 v3, 0x10000, v4
	s_delay_alu instid0(VALU_DEP_2) | instskip(NEXT) | instid1(VALU_DEP_1)
	v_cmp_eq_u32_e64 s1, 0, v2
	v_cndmask_b32_e64 v90, v3, v4, s1
; %bb.140:                              ;   in Loop: Header=BB456_8 Depth=1
	s_or_b32 exec_lo, exec_lo, s2
	v_mov_b32_e32 v5, 0
	s_mov_b32 s2, exec_lo
	v_cmpx_lt_u32_e32 0xffffff, v30
	s_cbranch_execz .LBB456_148
; %bb.141:                              ;   in Loop: Header=BB456_8 Depth=1
	v_lshrrev_b32_e32 v4, 24, v30
	v_bfrev_b32_e32 v5, 1
	s_mov_b32 s18, exec_lo
	s_delay_alu instid0(VALU_DEP_2)
	v_cmpx_ne_u32_e32 0x80, v4
	s_cbranch_execz .LBB456_147
; %bb.142:                              ;   in Loop: Header=BB456_8 Depth=1
	v_bfe_u32 v2, v30, 24, 7
	v_mov_b32_e32 v5, 0x7f800001
	s_mov_b32 s19, exec_lo
	s_delay_alu instid0(VALU_DEP_2)
	v_cmpx_ne_u32_e32 0x7f, v2
	s_cbranch_execz .LBB456_146
; %bb.143:                              ;   in Loop: Header=BB456_8 Depth=1
	v_and_b32_e32 v18, 7, v4
	v_lshrrev_b32_e32 v5, 3, v2
	s_mov_b32 s20, exec_lo
	v_cmpx_gt_u32_e32 8, v2
; %bb.144:                              ;   in Loop: Header=BB456_8 Depth=1
	s_delay_alu instid0(VALU_DEP_3) | instskip(NEXT) | instid1(VALU_DEP_1)
	v_clz_i32_u32_e32 v2, v18
	v_min_u32_e32 v5, 32, v2
	s_delay_alu instid0(VALU_DEP_1) | instskip(SKIP_1) | instid1(VALU_DEP_2)
	v_subrev_nc_u32_e32 v2, 28, v5
	v_sub_nc_u32_e32 v5, 29, v5
	v_lshlrev_b64 v[2:3], v2, v[18:19]
	s_delay_alu instid0(VALU_DEP_1)
	v_and_b32_e32 v18, 7, v2
; %bb.145:                              ;   in Loop: Header=BB456_8 Depth=1
	s_or_b32 exec_lo, exec_lo, s20
	v_lshlrev_b32_e32 v2, 24, v4
	s_delay_alu instid0(VALU_DEP_2) | instskip(SKIP_1) | instid1(VALU_DEP_3)
	v_lshlrev_b32_e32 v3, 20, v18
	v_lshl_add_u32 v4, v5, 23, 0x3c000000
	v_and_b32_e32 v2, 0x80000000, v2
	s_delay_alu instid0(VALU_DEP_1)
	v_or3_b32 v5, v3, v2, v4
.LBB456_146:                            ;   in Loop: Header=BB456_8 Depth=1
	s_or_b32 exec_lo, exec_lo, s19
.LBB456_147:                            ;   in Loop: Header=BB456_8 Depth=1
	s_delay_alu instid0(SALU_CYCLE_1)
	s_or_b32 exec_lo, exec_lo, s18
.LBB456_148:                            ;   in Loop: Header=BB456_8 Depth=1
	s_delay_alu instid0(SALU_CYCLE_1) | instskip(NEXT) | instid1(VALU_DEP_1)
	s_or_b32 exec_lo, exec_lo, s2
	v_mul_f32_e32 v4, v72, v5
                                        ; implicit-def: $vgpr91
	s_delay_alu instid0(VALU_DEP_1) | instskip(NEXT) | instid1(VALU_DEP_1)
	v_and_b32_e32 v2, 0x7f800000, v4
	v_cmp_ne_u32_e64 s1, 0x7f800000, v2
	s_delay_alu instid0(VALU_DEP_1) | instskip(NEXT) | instid1(SALU_CYCLE_1)
	s_and_saveexec_b32 s2, s1
	s_xor_b32 s1, exec_lo, s2
; %bb.149:                              ;   in Loop: Header=BB456_8 Depth=1
	v_bfe_u32 v2, v4, 16, 1
	s_delay_alu instid0(VALU_DEP_1)
	v_add3_u32 v91, v4, v2, 0x7fff
                                        ; implicit-def: $vgpr4
; %bb.150:                              ;   in Loop: Header=BB456_8 Depth=1
	s_and_not1_saveexec_b32 s2, s1
; %bb.151:                              ;   in Loop: Header=BB456_8 Depth=1
	v_and_b32_e32 v2, 0xffff, v4
	v_or_b32_e32 v3, 0x10000, v4
	s_delay_alu instid0(VALU_DEP_2) | instskip(NEXT) | instid1(VALU_DEP_1)
	v_cmp_eq_u32_e64 s1, 0, v2
	v_cndmask_b32_e64 v91, v3, v4, s1
; %bb.152:                              ;   in Loop: Header=BB456_8 Depth=1
	s_or_b32 exec_lo, exec_lo, s2
	v_and_b32_e32 v2, 0xff, v31
	v_mov_b32_e32 v18, v31
	v_mov_b32_e32 v4, 0
	s_mov_b32 s2, exec_lo
	s_delay_alu instid0(VALU_DEP_3)
	v_cmpx_ne_u16_e32 0, v2
	s_cbranch_execz .LBB456_160
; %bb.153:                              ;   in Loop: Header=BB456_8 Depth=1
	v_bfrev_b32_e32 v4, 1
	s_mov_b32 s18, exec_lo
	v_cmpx_ne_u16_e32 0x80, v2
	s_cbranch_execz .LBB456_159
; %bb.154:                              ;   in Loop: Header=BB456_8 Depth=1
	v_and_b32_e32 v3, 0x7f, v31
	v_mov_b32_e32 v4, 0x7f800001
	s_mov_b32 s19, exec_lo
	s_delay_alu instid0(VALU_DEP_2)
	v_cmpx_ne_u32_e32 0x7f, v3
	s_cbranch_execz .LBB456_158
; %bb.155:                              ;   in Loop: Header=BB456_8 Depth=1
	v_lshrrev_b32_e32 v2, 3, v3
	v_dual_mov_b32 v33, v19 :: v_dual_mov_b32 v32, v18
	s_mov_b32 s20, exec_lo
	v_cmpx_gt_u32_e32 8, v3
; %bb.156:                              ;   in Loop: Header=BB456_8 Depth=1
	v_and_b32_e32 v2, 7, v31
	s_delay_alu instid0(VALU_DEP_1) | instskip(NEXT) | instid1(VALU_DEP_1)
	v_clz_i32_u32_e32 v2, v2
	v_min_u32_e32 v2, 32, v2
	s_delay_alu instid0(VALU_DEP_1) | instskip(SKIP_1) | instid1(VALU_DEP_2)
	v_subrev_nc_u32_e32 v3, 28, v2
	v_sub_nc_u32_e32 v2, 29, v2
	v_lshlrev_b64 v[32:33], v3, v[18:19]
; %bb.157:                              ;   in Loop: Header=BB456_8 Depth=1
	s_or_b32 exec_lo, exec_lo, s20
	s_delay_alu instid0(VALU_DEP_1) | instskip(SKIP_2) | instid1(VALU_DEP_3)
	v_lshlrev_b32_e32 v3, 20, v32
	v_lshlrev_b32_e32 v4, 24, v18
	v_lshl_add_u32 v2, v2, 23, 0x3c000000
	v_and_b32_e32 v3, 0x700000, v3
	s_delay_alu instid0(VALU_DEP_3) | instskip(NEXT) | instid1(VALU_DEP_1)
	v_and_b32_e32 v4, 0x80000000, v4
	v_or3_b32 v4, v3, v4, v2
.LBB456_158:                            ;   in Loop: Header=BB456_8 Depth=1
	s_or_b32 exec_lo, exec_lo, s19
.LBB456_159:                            ;   in Loop: Header=BB456_8 Depth=1
	s_delay_alu instid0(SALU_CYCLE_1)
	s_or_b32 exec_lo, exec_lo, s18
.LBB456_160:                            ;   in Loop: Header=BB456_8 Depth=1
	s_delay_alu instid0(SALU_CYCLE_1) | instskip(NEXT) | instid1(VALU_DEP_1)
	s_or_b32 exec_lo, exec_lo, s2
	v_mul_f32_e32 v4, v72, v4
                                        ; implicit-def: $vgpr92
	s_delay_alu instid0(VALU_DEP_1) | instskip(NEXT) | instid1(VALU_DEP_1)
	v_and_b32_e32 v2, 0x7f800000, v4
	v_cmp_ne_u32_e64 s1, 0x7f800000, v2
	s_delay_alu instid0(VALU_DEP_1) | instskip(NEXT) | instid1(SALU_CYCLE_1)
	s_and_saveexec_b32 s2, s1
	s_xor_b32 s1, exec_lo, s2
; %bb.161:                              ;   in Loop: Header=BB456_8 Depth=1
	v_bfe_u32 v2, v4, 16, 1
	s_delay_alu instid0(VALU_DEP_1)
	v_add3_u32 v92, v4, v2, 0x7fff
                                        ; implicit-def: $vgpr4
; %bb.162:                              ;   in Loop: Header=BB456_8 Depth=1
	s_and_not1_saveexec_b32 s2, s1
; %bb.163:                              ;   in Loop: Header=BB456_8 Depth=1
	v_and_b32_e32 v2, 0xffff, v4
	v_or_b32_e32 v3, 0x10000, v4
	s_delay_alu instid0(VALU_DEP_2) | instskip(NEXT) | instid1(VALU_DEP_1)
	v_cmp_eq_u32_e64 s1, 0, v2
	v_cndmask_b32_e64 v92, v3, v4, s1
; %bb.164:                              ;   in Loop: Header=BB456_8 Depth=1
	s_or_b32 exec_lo, exec_lo, s2
	v_lshrrev_b16 v2, 8, v18
	v_mov_b32_e32 v4, 0
	s_mov_b32 s2, exec_lo
	s_delay_alu instid0(VALU_DEP_2)
	v_cmpx_ne_u16_e32 0, v2
	s_cbranch_execz .LBB456_172
; %bb.165:                              ;   in Loop: Header=BB456_8 Depth=1
	v_bfrev_b32_e32 v4, 1
	s_mov_b32 s18, exec_lo
	v_cmpx_ne_u16_e32 0x80, v2
	s_cbranch_execz .LBB456_171
; %bb.166:                              ;   in Loop: Header=BB456_8 Depth=1
	v_and_b32_e32 v3, 0xffff, v2
	v_mov_b32_e32 v4, 0x7f800001
	s_mov_b32 s19, exec_lo
	s_delay_alu instid0(VALU_DEP_2) | instskip(NEXT) | instid1(VALU_DEP_1)
	v_and_b32_e32 v2, 0x7f, v3
	v_cmpx_ne_u32_e32 0x7f, v2
	s_cbranch_execz .LBB456_170
; %bb.167:                              ;   in Loop: Header=BB456_8 Depth=1
	v_dual_mov_b32 v33, v19 :: v_dual_and_b32 v32, 7, v3
	v_lshrrev_b32_e32 v4, 3, v2
	s_mov_b32 s20, exec_lo
	v_cmpx_gt_u32_e32 8, v2
; %bb.168:                              ;   in Loop: Header=BB456_8 Depth=1
	s_delay_alu instid0(VALU_DEP_3) | instskip(NEXT) | instid1(VALU_DEP_1)
	v_clz_i32_u32_e32 v2, v32
	v_min_u32_e32 v4, 32, v2
	s_delay_alu instid0(VALU_DEP_1) | instskip(SKIP_1) | instid1(VALU_DEP_2)
	v_subrev_nc_u32_e32 v2, 28, v4
	v_sub_nc_u32_e32 v4, 29, v4
	v_lshlrev_b64 v[2:3], v2, v[32:33]
	s_delay_alu instid0(VALU_DEP_1)
	v_and_b32_e32 v32, 7, v2
; %bb.169:                              ;   in Loop: Header=BB456_8 Depth=1
	s_or_b32 exec_lo, exec_lo, s20
	v_lshlrev_b32_e32 v2, 16, v18
	s_delay_alu instid0(VALU_DEP_2) | instskip(SKIP_1) | instid1(VALU_DEP_3)
	v_lshlrev_b32_e32 v3, 20, v32
	v_lshl_add_u32 v4, v4, 23, 0x3c000000
	v_and_b32_e32 v2, 0x80000000, v2
	s_delay_alu instid0(VALU_DEP_1)
	v_or3_b32 v4, v3, v2, v4
.LBB456_170:                            ;   in Loop: Header=BB456_8 Depth=1
	s_or_b32 exec_lo, exec_lo, s19
.LBB456_171:                            ;   in Loop: Header=BB456_8 Depth=1
	s_delay_alu instid0(SALU_CYCLE_1)
	s_or_b32 exec_lo, exec_lo, s18
.LBB456_172:                            ;   in Loop: Header=BB456_8 Depth=1
	s_delay_alu instid0(SALU_CYCLE_1) | instskip(NEXT) | instid1(VALU_DEP_1)
	s_or_b32 exec_lo, exec_lo, s2
	v_mul_f32_e32 v4, v72, v4
                                        ; implicit-def: $vgpr93
	s_delay_alu instid0(VALU_DEP_1) | instskip(NEXT) | instid1(VALU_DEP_1)
	v_and_b32_e32 v2, 0x7f800000, v4
	v_cmp_ne_u32_e64 s1, 0x7f800000, v2
	s_delay_alu instid0(VALU_DEP_1) | instskip(NEXT) | instid1(SALU_CYCLE_1)
	s_and_saveexec_b32 s2, s1
	s_xor_b32 s1, exec_lo, s2
; %bb.173:                              ;   in Loop: Header=BB456_8 Depth=1
	v_bfe_u32 v2, v4, 16, 1
	s_delay_alu instid0(VALU_DEP_1)
	v_add3_u32 v93, v4, v2, 0x7fff
                                        ; implicit-def: $vgpr4
; %bb.174:                              ;   in Loop: Header=BB456_8 Depth=1
	s_and_not1_saveexec_b32 s2, s1
; %bb.175:                              ;   in Loop: Header=BB456_8 Depth=1
	v_and_b32_e32 v2, 0xffff, v4
	v_or_b32_e32 v3, 0x10000, v4
	s_delay_alu instid0(VALU_DEP_2) | instskip(NEXT) | instid1(VALU_DEP_1)
	v_cmp_eq_u32_e64 s1, 0, v2
	v_cndmask_b32_e64 v93, v3, v4, s1
; %bb.176:                              ;   in Loop: Header=BB456_8 Depth=1
	s_or_b32 exec_lo, exec_lo, s2
	v_lshrrev_b32_e32 v4, 16, v31
	s_mov_b32 s2, exec_lo
	s_delay_alu instid0(VALU_DEP_1) | instskip(NEXT) | instid1(VALU_DEP_1)
	v_dual_mov_b32 v5, 0 :: v_dual_and_b32 v2, 0xff, v4
	v_cmpx_ne_u16_e32 0, v2
	s_cbranch_execz .LBB456_184
; %bb.177:                              ;   in Loop: Header=BB456_8 Depth=1
	v_bfrev_b32_e32 v5, 1
	s_mov_b32 s18, exec_lo
	v_cmpx_ne_u16_e32 0x80, v2
	s_cbranch_execz .LBB456_183
; %bb.178:                              ;   in Loop: Header=BB456_8 Depth=1
	v_bfe_u32 v2, v31, 16, 7
	v_mov_b32_e32 v5, 0x7f800001
	s_mov_b32 s19, exec_lo
	s_delay_alu instid0(VALU_DEP_2)
	v_cmpx_ne_u32_e32 0x7f, v2
	s_cbranch_execz .LBB456_182
; %bb.179:                              ;   in Loop: Header=BB456_8 Depth=1
	v_and_b32_e32 v18, 7, v4
	v_lshrrev_b32_e32 v5, 3, v2
	s_mov_b32 s20, exec_lo
	v_cmpx_gt_u32_e32 8, v2
; %bb.180:                              ;   in Loop: Header=BB456_8 Depth=1
	s_delay_alu instid0(VALU_DEP_3) | instskip(NEXT) | instid1(VALU_DEP_1)
	v_clz_i32_u32_e32 v2, v18
	v_min_u32_e32 v5, 32, v2
	s_delay_alu instid0(VALU_DEP_1) | instskip(SKIP_1) | instid1(VALU_DEP_2)
	v_subrev_nc_u32_e32 v2, 28, v5
	v_sub_nc_u32_e32 v5, 29, v5
	v_lshlrev_b64 v[2:3], v2, v[18:19]
	s_delay_alu instid0(VALU_DEP_1)
	v_and_b32_e32 v18, 7, v2
; %bb.181:                              ;   in Loop: Header=BB456_8 Depth=1
	s_or_b32 exec_lo, exec_lo, s20
	v_lshlrev_b32_e32 v2, 24, v4
	s_delay_alu instid0(VALU_DEP_2) | instskip(SKIP_1) | instid1(VALU_DEP_3)
	v_lshlrev_b32_e32 v3, 20, v18
	v_lshl_add_u32 v4, v5, 23, 0x3c000000
	v_and_b32_e32 v2, 0x80000000, v2
	s_delay_alu instid0(VALU_DEP_1)
	v_or3_b32 v5, v3, v2, v4
.LBB456_182:                            ;   in Loop: Header=BB456_8 Depth=1
	s_or_b32 exec_lo, exec_lo, s19
.LBB456_183:                            ;   in Loop: Header=BB456_8 Depth=1
	s_delay_alu instid0(SALU_CYCLE_1)
	s_or_b32 exec_lo, exec_lo, s18
.LBB456_184:                            ;   in Loop: Header=BB456_8 Depth=1
	s_delay_alu instid0(SALU_CYCLE_1) | instskip(NEXT) | instid1(VALU_DEP_1)
	s_or_b32 exec_lo, exec_lo, s2
	v_mul_f32_e32 v4, v72, v5
                                        ; implicit-def: $vgpr94
	s_delay_alu instid0(VALU_DEP_1) | instskip(NEXT) | instid1(VALU_DEP_1)
	v_and_b32_e32 v2, 0x7f800000, v4
	v_cmp_ne_u32_e64 s1, 0x7f800000, v2
	s_delay_alu instid0(VALU_DEP_1) | instskip(NEXT) | instid1(SALU_CYCLE_1)
	s_and_saveexec_b32 s2, s1
	s_xor_b32 s1, exec_lo, s2
; %bb.185:                              ;   in Loop: Header=BB456_8 Depth=1
	v_bfe_u32 v2, v4, 16, 1
	s_delay_alu instid0(VALU_DEP_1)
	v_add3_u32 v94, v4, v2, 0x7fff
                                        ; implicit-def: $vgpr4
; %bb.186:                              ;   in Loop: Header=BB456_8 Depth=1
	s_and_not1_saveexec_b32 s2, s1
; %bb.187:                              ;   in Loop: Header=BB456_8 Depth=1
	v_and_b32_e32 v2, 0xffff, v4
	v_or_b32_e32 v3, 0x10000, v4
	s_delay_alu instid0(VALU_DEP_2) | instskip(NEXT) | instid1(VALU_DEP_1)
	v_cmp_eq_u32_e64 s1, 0, v2
	v_cndmask_b32_e64 v94, v3, v4, s1
; %bb.188:                              ;   in Loop: Header=BB456_8 Depth=1
	s_or_b32 exec_lo, exec_lo, s2
	v_mov_b32_e32 v5, 0
	s_mov_b32 s2, exec_lo
	v_cmpx_lt_u64_e64 s[8:9], v[30:31]
	s_cbranch_execz .LBB456_196
; %bb.189:                              ;   in Loop: Header=BB456_8 Depth=1
	v_lshrrev_b32_e32 v4, 24, v31
	v_bfrev_b32_e32 v5, 1
	s_mov_b32 s18, exec_lo
	s_delay_alu instid0(VALU_DEP_2)
	v_cmpx_ne_u32_e32 0x80, v4
	s_cbranch_execz .LBB456_195
; %bb.190:                              ;   in Loop: Header=BB456_8 Depth=1
	v_bfe_u32 v2, v31, 24, 7
	v_mov_b32_e32 v5, 0x7f800001
	s_mov_b32 s19, exec_lo
	s_delay_alu instid0(VALU_DEP_2)
	v_cmpx_ne_u32_e32 0x7f, v2
	s_cbranch_execz .LBB456_194
; %bb.191:                              ;   in Loop: Header=BB456_8 Depth=1
	v_and_b32_e32 v18, 7, v4
	v_lshrrev_b32_e32 v5, 3, v2
	s_mov_b32 s20, exec_lo
	v_cmpx_gt_u32_e32 8, v2
; %bb.192:                              ;   in Loop: Header=BB456_8 Depth=1
	s_delay_alu instid0(VALU_DEP_3) | instskip(NEXT) | instid1(VALU_DEP_1)
	v_clz_i32_u32_e32 v2, v18
	v_min_u32_e32 v5, 32, v2
	s_delay_alu instid0(VALU_DEP_1) | instskip(SKIP_1) | instid1(VALU_DEP_2)
	v_subrev_nc_u32_e32 v2, 28, v5
	v_sub_nc_u32_e32 v5, 29, v5
	v_lshlrev_b64 v[2:3], v2, v[18:19]
	s_delay_alu instid0(VALU_DEP_1)
	v_and_b32_e32 v18, 7, v2
; %bb.193:                              ;   in Loop: Header=BB456_8 Depth=1
	s_or_b32 exec_lo, exec_lo, s20
	v_lshlrev_b32_e32 v2, 24, v4
	s_delay_alu instid0(VALU_DEP_2) | instskip(SKIP_1) | instid1(VALU_DEP_3)
	v_lshlrev_b32_e32 v3, 20, v18
	v_lshl_add_u32 v4, v5, 23, 0x3c000000
	v_and_b32_e32 v2, 0x80000000, v2
	s_delay_alu instid0(VALU_DEP_1)
	v_or3_b32 v5, v3, v2, v4
.LBB456_194:                            ;   in Loop: Header=BB456_8 Depth=1
	s_or_b32 exec_lo, exec_lo, s19
.LBB456_195:                            ;   in Loop: Header=BB456_8 Depth=1
	s_delay_alu instid0(SALU_CYCLE_1)
	s_or_b32 exec_lo, exec_lo, s18
.LBB456_196:                            ;   in Loop: Header=BB456_8 Depth=1
	s_delay_alu instid0(SALU_CYCLE_1) | instskip(NEXT) | instid1(VALU_DEP_1)
	s_or_b32 exec_lo, exec_lo, s2
	v_mul_f32_e32 v4, v72, v5
                                        ; implicit-def: $vgpr95
	s_delay_alu instid0(VALU_DEP_1) | instskip(NEXT) | instid1(VALU_DEP_1)
	v_and_b32_e32 v2, 0x7f800000, v4
	v_cmp_ne_u32_e64 s1, 0x7f800000, v2
	s_delay_alu instid0(VALU_DEP_1) | instskip(NEXT) | instid1(SALU_CYCLE_1)
	s_and_saveexec_b32 s2, s1
	s_xor_b32 s1, exec_lo, s2
; %bb.197:                              ;   in Loop: Header=BB456_8 Depth=1
	v_bfe_u32 v2, v4, 16, 1
	s_delay_alu instid0(VALU_DEP_1)
	v_add3_u32 v95, v4, v2, 0x7fff
                                        ; implicit-def: $vgpr4
; %bb.198:                              ;   in Loop: Header=BB456_8 Depth=1
	s_and_not1_saveexec_b32 s2, s1
; %bb.199:                              ;   in Loop: Header=BB456_8 Depth=1
	v_and_b32_e32 v2, 0xffff, v4
	v_or_b32_e32 v3, 0x10000, v4
	s_delay_alu instid0(VALU_DEP_2) | instskip(NEXT) | instid1(VALU_DEP_1)
	v_cmp_eq_u32_e64 s1, 0, v2
	v_cndmask_b32_e64 v95, v3, v4, s1
; %bb.200:                              ;   in Loop: Header=BB456_8 Depth=1
	s_or_b32 exec_lo, exec_lo, s2
	flat_load_b64 v[30:31], v[28:29] offset:512
	v_mov_b32_e32 v4, 0
	s_mov_b32 s2, exec_lo
	s_waitcnt vmcnt(0) lgkmcnt(0)
	v_and_b32_e32 v2, 0xff, v30
	s_delay_alu instid0(VALU_DEP_1)
	v_cmpx_ne_u16_e32 0, v2
	s_cbranch_execz .LBB456_208
; %bb.201:                              ;   in Loop: Header=BB456_8 Depth=1
	v_bfrev_b32_e32 v4, 1
	s_mov_b32 s18, exec_lo
	v_cmpx_ne_u16_e32 0x80, v2
	s_cbranch_execz .LBB456_207
; %bb.202:                              ;   in Loop: Header=BB456_8 Depth=1
	v_and_b32_e32 v3, 0x7f, v30
	v_mov_b32_e32 v4, 0x7f800001
	s_mov_b32 s19, exec_lo
	s_delay_alu instid0(VALU_DEP_2)
	v_cmpx_ne_u32_e32 0x7f, v3
	s_cbranch_execz .LBB456_206
; %bb.203:                              ;   in Loop: Header=BB456_8 Depth=1
	v_lshrrev_b32_e32 v2, 3, v3
	v_dual_mov_b32 v33, v31 :: v_dual_mov_b32 v32, v30
	s_mov_b32 s20, exec_lo
	v_cmpx_gt_u32_e32 8, v3
; %bb.204:                              ;   in Loop: Header=BB456_8 Depth=1
	v_and_b32_e32 v2, 7, v30
	s_delay_alu instid0(VALU_DEP_1) | instskip(NEXT) | instid1(VALU_DEP_1)
	v_clz_i32_u32_e32 v2, v2
	v_min_u32_e32 v2, 32, v2
	s_delay_alu instid0(VALU_DEP_1) | instskip(SKIP_1) | instid1(VALU_DEP_2)
	v_subrev_nc_u32_e32 v3, 28, v2
	v_sub_nc_u32_e32 v2, 29, v2
	v_lshlrev_b64 v[32:33], v3, v[30:31]
; %bb.205:                              ;   in Loop: Header=BB456_8 Depth=1
	s_or_b32 exec_lo, exec_lo, s20
	s_delay_alu instid0(VALU_DEP_1) | instskip(SKIP_2) | instid1(VALU_DEP_3)
	v_lshlrev_b32_e32 v3, 20, v32
	v_lshlrev_b32_e32 v4, 24, v30
	v_lshl_add_u32 v2, v2, 23, 0x3c000000
	v_and_b32_e32 v3, 0x700000, v3
	s_delay_alu instid0(VALU_DEP_3) | instskip(NEXT) | instid1(VALU_DEP_1)
	v_and_b32_e32 v4, 0x80000000, v4
	v_or3_b32 v4, v3, v4, v2
.LBB456_206:                            ;   in Loop: Header=BB456_8 Depth=1
	s_or_b32 exec_lo, exec_lo, s19
.LBB456_207:                            ;   in Loop: Header=BB456_8 Depth=1
	s_delay_alu instid0(SALU_CYCLE_1)
	s_or_b32 exec_lo, exec_lo, s18
.LBB456_208:                            ;   in Loop: Header=BB456_8 Depth=1
	s_delay_alu instid0(SALU_CYCLE_1) | instskip(NEXT) | instid1(VALU_DEP_1)
	s_or_b32 exec_lo, exec_lo, s2
	v_mul_f32_e32 v4, v72, v4
                                        ; implicit-def: $vgpr104
	s_delay_alu instid0(VALU_DEP_1) | instskip(NEXT) | instid1(VALU_DEP_1)
	v_and_b32_e32 v2, 0x7f800000, v4
	v_cmp_ne_u32_e64 s1, 0x7f800000, v2
	s_delay_alu instid0(VALU_DEP_1) | instskip(NEXT) | instid1(SALU_CYCLE_1)
	s_and_saveexec_b32 s2, s1
	s_xor_b32 s1, exec_lo, s2
; %bb.209:                              ;   in Loop: Header=BB456_8 Depth=1
	v_bfe_u32 v2, v4, 16, 1
	s_delay_alu instid0(VALU_DEP_1)
	v_add3_u32 v104, v4, v2, 0x7fff
                                        ; implicit-def: $vgpr4
; %bb.210:                              ;   in Loop: Header=BB456_8 Depth=1
	s_and_not1_saveexec_b32 s2, s1
; %bb.211:                              ;   in Loop: Header=BB456_8 Depth=1
	v_and_b32_e32 v2, 0xffff, v4
	v_or_b32_e32 v3, 0x10000, v4
	s_delay_alu instid0(VALU_DEP_2) | instskip(NEXT) | instid1(VALU_DEP_1)
	v_cmp_eq_u32_e64 s1, 0, v2
	v_cndmask_b32_e64 v104, v3, v4, s1
; %bb.212:                              ;   in Loop: Header=BB456_8 Depth=1
	s_or_b32 exec_lo, exec_lo, s2
	v_lshrrev_b16 v2, 8, v30
	v_mov_b32_e32 v4, 0
	s_mov_b32 s2, exec_lo
	s_delay_alu instid0(VALU_DEP_2)
	v_cmpx_ne_u16_e32 0, v2
	s_cbranch_execz .LBB456_220
; %bb.213:                              ;   in Loop: Header=BB456_8 Depth=1
	v_bfrev_b32_e32 v4, 1
	s_mov_b32 s18, exec_lo
	v_cmpx_ne_u16_e32 0x80, v2
	s_cbranch_execz .LBB456_219
; %bb.214:                              ;   in Loop: Header=BB456_8 Depth=1
	v_and_b32_e32 v3, 0xffff, v2
	v_mov_b32_e32 v4, 0x7f800001
	s_mov_b32 s19, exec_lo
	s_delay_alu instid0(VALU_DEP_2) | instskip(NEXT) | instid1(VALU_DEP_1)
	v_and_b32_e32 v2, 0x7f, v3
	v_cmpx_ne_u32_e32 0x7f, v2
	s_cbranch_execz .LBB456_218
; %bb.215:                              ;   in Loop: Header=BB456_8 Depth=1
	v_and_b32_e32 v18, 7, v3
	v_lshrrev_b32_e32 v4, 3, v2
	s_mov_b32 s20, exec_lo
	v_cmpx_gt_u32_e32 8, v2
; %bb.216:                              ;   in Loop: Header=BB456_8 Depth=1
	s_delay_alu instid0(VALU_DEP_3) | instskip(NEXT) | instid1(VALU_DEP_1)
	v_clz_i32_u32_e32 v2, v18
	v_min_u32_e32 v4, 32, v2
	s_delay_alu instid0(VALU_DEP_1) | instskip(SKIP_1) | instid1(VALU_DEP_2)
	v_subrev_nc_u32_e32 v2, 28, v4
	v_sub_nc_u32_e32 v4, 29, v4
	v_lshlrev_b64 v[2:3], v2, v[18:19]
	s_delay_alu instid0(VALU_DEP_1)
	v_and_b32_e32 v18, 7, v2
; %bb.217:                              ;   in Loop: Header=BB456_8 Depth=1
	s_or_b32 exec_lo, exec_lo, s20
	v_lshlrev_b32_e32 v2, 16, v30
	s_delay_alu instid0(VALU_DEP_2) | instskip(SKIP_1) | instid1(VALU_DEP_3)
	v_lshlrev_b32_e32 v3, 20, v18
	v_lshl_add_u32 v4, v4, 23, 0x3c000000
	v_and_b32_e32 v2, 0x80000000, v2
	s_delay_alu instid0(VALU_DEP_1)
	v_or3_b32 v4, v3, v2, v4
.LBB456_218:                            ;   in Loop: Header=BB456_8 Depth=1
	s_or_b32 exec_lo, exec_lo, s19
.LBB456_219:                            ;   in Loop: Header=BB456_8 Depth=1
	s_delay_alu instid0(SALU_CYCLE_1)
	s_or_b32 exec_lo, exec_lo, s18
.LBB456_220:                            ;   in Loop: Header=BB456_8 Depth=1
	s_delay_alu instid0(SALU_CYCLE_1) | instskip(NEXT) | instid1(VALU_DEP_1)
	s_or_b32 exec_lo, exec_lo, s2
	v_mul_f32_e32 v4, v72, v4
                                        ; implicit-def: $vgpr105
	s_delay_alu instid0(VALU_DEP_1) | instskip(NEXT) | instid1(VALU_DEP_1)
	v_and_b32_e32 v2, 0x7f800000, v4
	v_cmp_ne_u32_e64 s1, 0x7f800000, v2
	s_delay_alu instid0(VALU_DEP_1) | instskip(NEXT) | instid1(SALU_CYCLE_1)
	s_and_saveexec_b32 s2, s1
	s_xor_b32 s1, exec_lo, s2
; %bb.221:                              ;   in Loop: Header=BB456_8 Depth=1
	v_bfe_u32 v2, v4, 16, 1
	s_delay_alu instid0(VALU_DEP_1)
	v_add3_u32 v105, v4, v2, 0x7fff
                                        ; implicit-def: $vgpr4
; %bb.222:                              ;   in Loop: Header=BB456_8 Depth=1
	s_and_not1_saveexec_b32 s2, s1
; %bb.223:                              ;   in Loop: Header=BB456_8 Depth=1
	v_and_b32_e32 v2, 0xffff, v4
	v_or_b32_e32 v3, 0x10000, v4
	s_delay_alu instid0(VALU_DEP_2) | instskip(NEXT) | instid1(VALU_DEP_1)
	v_cmp_eq_u32_e64 s1, 0, v2
	v_cndmask_b32_e64 v105, v3, v4, s1
; %bb.224:                              ;   in Loop: Header=BB456_8 Depth=1
	s_or_b32 exec_lo, exec_lo, s2
	v_lshrrev_b32_e32 v4, 16, v30
	s_mov_b32 s2, exec_lo
	s_delay_alu instid0(VALU_DEP_1) | instskip(NEXT) | instid1(VALU_DEP_1)
	v_dual_mov_b32 v5, 0 :: v_dual_and_b32 v2, 0xff, v4
	v_cmpx_ne_u16_e32 0, v2
	s_cbranch_execz .LBB456_232
; %bb.225:                              ;   in Loop: Header=BB456_8 Depth=1
	v_bfrev_b32_e32 v5, 1
	s_mov_b32 s18, exec_lo
	v_cmpx_ne_u16_e32 0x80, v2
	s_cbranch_execz .LBB456_231
; %bb.226:                              ;   in Loop: Header=BB456_8 Depth=1
	v_bfe_u32 v2, v30, 16, 7
	v_mov_b32_e32 v5, 0x7f800001
	s_mov_b32 s19, exec_lo
	s_delay_alu instid0(VALU_DEP_2)
	v_cmpx_ne_u32_e32 0x7f, v2
	s_cbranch_execz .LBB456_230
; %bb.227:                              ;   in Loop: Header=BB456_8 Depth=1
	v_and_b32_e32 v18, 7, v4
	v_lshrrev_b32_e32 v5, 3, v2
	s_mov_b32 s20, exec_lo
	v_cmpx_gt_u32_e32 8, v2
; %bb.228:                              ;   in Loop: Header=BB456_8 Depth=1
	s_delay_alu instid0(VALU_DEP_3) | instskip(NEXT) | instid1(VALU_DEP_1)
	v_clz_i32_u32_e32 v2, v18
	v_min_u32_e32 v5, 32, v2
	s_delay_alu instid0(VALU_DEP_1) | instskip(SKIP_1) | instid1(VALU_DEP_2)
	v_subrev_nc_u32_e32 v2, 28, v5
	v_sub_nc_u32_e32 v5, 29, v5
	v_lshlrev_b64 v[2:3], v2, v[18:19]
	s_delay_alu instid0(VALU_DEP_1)
	v_and_b32_e32 v18, 7, v2
; %bb.229:                              ;   in Loop: Header=BB456_8 Depth=1
	s_or_b32 exec_lo, exec_lo, s20
	v_lshlrev_b32_e32 v2, 24, v4
	s_delay_alu instid0(VALU_DEP_2) | instskip(SKIP_1) | instid1(VALU_DEP_3)
	v_lshlrev_b32_e32 v3, 20, v18
	v_lshl_add_u32 v4, v5, 23, 0x3c000000
	v_and_b32_e32 v2, 0x80000000, v2
	s_delay_alu instid0(VALU_DEP_1)
	v_or3_b32 v5, v3, v2, v4
.LBB456_230:                            ;   in Loop: Header=BB456_8 Depth=1
	s_or_b32 exec_lo, exec_lo, s19
.LBB456_231:                            ;   in Loop: Header=BB456_8 Depth=1
	s_delay_alu instid0(SALU_CYCLE_1)
	s_or_b32 exec_lo, exec_lo, s18
.LBB456_232:                            ;   in Loop: Header=BB456_8 Depth=1
	s_delay_alu instid0(SALU_CYCLE_1) | instskip(NEXT) | instid1(VALU_DEP_1)
	s_or_b32 exec_lo, exec_lo, s2
	v_mul_f32_e32 v4, v72, v5
                                        ; implicit-def: $vgpr106
	s_delay_alu instid0(VALU_DEP_1) | instskip(NEXT) | instid1(VALU_DEP_1)
	v_and_b32_e32 v2, 0x7f800000, v4
	v_cmp_ne_u32_e64 s1, 0x7f800000, v2
	s_delay_alu instid0(VALU_DEP_1) | instskip(NEXT) | instid1(SALU_CYCLE_1)
	s_and_saveexec_b32 s2, s1
	s_xor_b32 s1, exec_lo, s2
; %bb.233:                              ;   in Loop: Header=BB456_8 Depth=1
	v_bfe_u32 v2, v4, 16, 1
	s_delay_alu instid0(VALU_DEP_1)
	v_add3_u32 v106, v4, v2, 0x7fff
                                        ; implicit-def: $vgpr4
; %bb.234:                              ;   in Loop: Header=BB456_8 Depth=1
	s_and_not1_saveexec_b32 s2, s1
; %bb.235:                              ;   in Loop: Header=BB456_8 Depth=1
	v_and_b32_e32 v2, 0xffff, v4
	v_or_b32_e32 v3, 0x10000, v4
	s_delay_alu instid0(VALU_DEP_2) | instskip(NEXT) | instid1(VALU_DEP_1)
	v_cmp_eq_u32_e64 s1, 0, v2
	v_cndmask_b32_e64 v106, v3, v4, s1
; %bb.236:                              ;   in Loop: Header=BB456_8 Depth=1
	s_or_b32 exec_lo, exec_lo, s2
	v_mov_b32_e32 v5, 0
	s_mov_b32 s2, exec_lo
	v_cmpx_lt_u32_e32 0xffffff, v30
	s_cbranch_execz .LBB456_244
; %bb.237:                              ;   in Loop: Header=BB456_8 Depth=1
	v_lshrrev_b32_e32 v4, 24, v30
	v_bfrev_b32_e32 v5, 1
	s_mov_b32 s18, exec_lo
	s_delay_alu instid0(VALU_DEP_2)
	v_cmpx_ne_u32_e32 0x80, v4
	s_cbranch_execz .LBB456_243
; %bb.238:                              ;   in Loop: Header=BB456_8 Depth=1
	v_bfe_u32 v2, v30, 24, 7
	v_mov_b32_e32 v5, 0x7f800001
	s_mov_b32 s19, exec_lo
	s_delay_alu instid0(VALU_DEP_2)
	v_cmpx_ne_u32_e32 0x7f, v2
	s_cbranch_execz .LBB456_242
; %bb.239:                              ;   in Loop: Header=BB456_8 Depth=1
	v_and_b32_e32 v18, 7, v4
	v_lshrrev_b32_e32 v5, 3, v2
	s_mov_b32 s20, exec_lo
	v_cmpx_gt_u32_e32 8, v2
; %bb.240:                              ;   in Loop: Header=BB456_8 Depth=1
	s_delay_alu instid0(VALU_DEP_3) | instskip(NEXT) | instid1(VALU_DEP_1)
	v_clz_i32_u32_e32 v2, v18
	v_min_u32_e32 v5, 32, v2
	s_delay_alu instid0(VALU_DEP_1) | instskip(SKIP_1) | instid1(VALU_DEP_2)
	v_subrev_nc_u32_e32 v2, 28, v5
	v_sub_nc_u32_e32 v5, 29, v5
	v_lshlrev_b64 v[2:3], v2, v[18:19]
	s_delay_alu instid0(VALU_DEP_1)
	v_and_b32_e32 v18, 7, v2
; %bb.241:                              ;   in Loop: Header=BB456_8 Depth=1
	s_or_b32 exec_lo, exec_lo, s20
	v_lshlrev_b32_e32 v2, 24, v4
	s_delay_alu instid0(VALU_DEP_2) | instskip(SKIP_1) | instid1(VALU_DEP_3)
	v_lshlrev_b32_e32 v3, 20, v18
	v_lshl_add_u32 v4, v5, 23, 0x3c000000
	v_and_b32_e32 v2, 0x80000000, v2
	s_delay_alu instid0(VALU_DEP_1)
	v_or3_b32 v5, v3, v2, v4
.LBB456_242:                            ;   in Loop: Header=BB456_8 Depth=1
	s_or_b32 exec_lo, exec_lo, s19
.LBB456_243:                            ;   in Loop: Header=BB456_8 Depth=1
	s_delay_alu instid0(SALU_CYCLE_1)
	s_or_b32 exec_lo, exec_lo, s18
.LBB456_244:                            ;   in Loop: Header=BB456_8 Depth=1
	s_delay_alu instid0(SALU_CYCLE_1) | instskip(NEXT) | instid1(VALU_DEP_1)
	s_or_b32 exec_lo, exec_lo, s2
	v_mul_f32_e32 v4, v72, v5
                                        ; implicit-def: $vgpr107
	s_delay_alu instid0(VALU_DEP_1) | instskip(NEXT) | instid1(VALU_DEP_1)
	v_and_b32_e32 v2, 0x7f800000, v4
	v_cmp_ne_u32_e64 s1, 0x7f800000, v2
	s_delay_alu instid0(VALU_DEP_1) | instskip(NEXT) | instid1(SALU_CYCLE_1)
	s_and_saveexec_b32 s2, s1
	s_xor_b32 s1, exec_lo, s2
; %bb.245:                              ;   in Loop: Header=BB456_8 Depth=1
	v_bfe_u32 v2, v4, 16, 1
	s_delay_alu instid0(VALU_DEP_1)
	v_add3_u32 v107, v4, v2, 0x7fff
                                        ; implicit-def: $vgpr4
; %bb.246:                              ;   in Loop: Header=BB456_8 Depth=1
	s_and_not1_saveexec_b32 s2, s1
; %bb.247:                              ;   in Loop: Header=BB456_8 Depth=1
	v_and_b32_e32 v2, 0xffff, v4
	v_or_b32_e32 v3, 0x10000, v4
	s_delay_alu instid0(VALU_DEP_2) | instskip(NEXT) | instid1(VALU_DEP_1)
	v_cmp_eq_u32_e64 s1, 0, v2
	v_cndmask_b32_e64 v107, v3, v4, s1
; %bb.248:                              ;   in Loop: Header=BB456_8 Depth=1
	s_or_b32 exec_lo, exec_lo, s2
	v_and_b32_e32 v2, 0xff, v31
	v_mov_b32_e32 v18, v31
	v_mov_b32_e32 v4, 0
	s_mov_b32 s2, exec_lo
	s_delay_alu instid0(VALU_DEP_3)
	v_cmpx_ne_u16_e32 0, v2
	s_cbranch_execz .LBB456_256
; %bb.249:                              ;   in Loop: Header=BB456_8 Depth=1
	v_bfrev_b32_e32 v4, 1
	s_mov_b32 s18, exec_lo
	v_cmpx_ne_u16_e32 0x80, v2
	s_cbranch_execz .LBB456_255
; %bb.250:                              ;   in Loop: Header=BB456_8 Depth=1
	v_and_b32_e32 v3, 0x7f, v31
	v_mov_b32_e32 v4, 0x7f800001
	s_mov_b32 s19, exec_lo
	s_delay_alu instid0(VALU_DEP_2)
	v_cmpx_ne_u32_e32 0x7f, v3
	s_cbranch_execz .LBB456_254
; %bb.251:                              ;   in Loop: Header=BB456_8 Depth=1
	v_lshrrev_b32_e32 v2, 3, v3
	v_dual_mov_b32 v33, v19 :: v_dual_mov_b32 v32, v18
	s_mov_b32 s20, exec_lo
	v_cmpx_gt_u32_e32 8, v3
; %bb.252:                              ;   in Loop: Header=BB456_8 Depth=1
	v_and_b32_e32 v2, 7, v31
	s_delay_alu instid0(VALU_DEP_1) | instskip(NEXT) | instid1(VALU_DEP_1)
	v_clz_i32_u32_e32 v2, v2
	v_min_u32_e32 v2, 32, v2
	s_delay_alu instid0(VALU_DEP_1) | instskip(SKIP_1) | instid1(VALU_DEP_2)
	v_subrev_nc_u32_e32 v3, 28, v2
	v_sub_nc_u32_e32 v2, 29, v2
	v_lshlrev_b64 v[32:33], v3, v[18:19]
; %bb.253:                              ;   in Loop: Header=BB456_8 Depth=1
	s_or_b32 exec_lo, exec_lo, s20
	s_delay_alu instid0(VALU_DEP_1) | instskip(SKIP_2) | instid1(VALU_DEP_3)
	v_lshlrev_b32_e32 v3, 20, v32
	v_lshlrev_b32_e32 v4, 24, v18
	v_lshl_add_u32 v2, v2, 23, 0x3c000000
	v_and_b32_e32 v3, 0x700000, v3
	s_delay_alu instid0(VALU_DEP_3) | instskip(NEXT) | instid1(VALU_DEP_1)
	v_and_b32_e32 v4, 0x80000000, v4
	v_or3_b32 v4, v3, v4, v2
.LBB456_254:                            ;   in Loop: Header=BB456_8 Depth=1
	s_or_b32 exec_lo, exec_lo, s19
.LBB456_255:                            ;   in Loop: Header=BB456_8 Depth=1
	s_delay_alu instid0(SALU_CYCLE_1)
	s_or_b32 exec_lo, exec_lo, s18
.LBB456_256:                            ;   in Loop: Header=BB456_8 Depth=1
	s_delay_alu instid0(SALU_CYCLE_1) | instskip(NEXT) | instid1(VALU_DEP_1)
	s_or_b32 exec_lo, exec_lo, s2
	v_mul_f32_e32 v4, v72, v4
                                        ; implicit-def: $vgpr108
	s_delay_alu instid0(VALU_DEP_1) | instskip(NEXT) | instid1(VALU_DEP_1)
	v_and_b32_e32 v2, 0x7f800000, v4
	v_cmp_ne_u32_e64 s1, 0x7f800000, v2
	s_delay_alu instid0(VALU_DEP_1) | instskip(NEXT) | instid1(SALU_CYCLE_1)
	s_and_saveexec_b32 s2, s1
	s_xor_b32 s1, exec_lo, s2
; %bb.257:                              ;   in Loop: Header=BB456_8 Depth=1
	v_bfe_u32 v2, v4, 16, 1
	s_delay_alu instid0(VALU_DEP_1)
	v_add3_u32 v108, v4, v2, 0x7fff
                                        ; implicit-def: $vgpr4
; %bb.258:                              ;   in Loop: Header=BB456_8 Depth=1
	s_and_not1_saveexec_b32 s2, s1
; %bb.259:                              ;   in Loop: Header=BB456_8 Depth=1
	v_and_b32_e32 v2, 0xffff, v4
	v_or_b32_e32 v3, 0x10000, v4
	s_delay_alu instid0(VALU_DEP_2) | instskip(NEXT) | instid1(VALU_DEP_1)
	v_cmp_eq_u32_e64 s1, 0, v2
	v_cndmask_b32_e64 v108, v3, v4, s1
; %bb.260:                              ;   in Loop: Header=BB456_8 Depth=1
	s_or_b32 exec_lo, exec_lo, s2
	v_lshrrev_b16 v2, 8, v18
	v_mov_b32_e32 v4, 0
	s_mov_b32 s2, exec_lo
	s_delay_alu instid0(VALU_DEP_2)
	v_cmpx_ne_u16_e32 0, v2
	s_cbranch_execz .LBB456_268
; %bb.261:                              ;   in Loop: Header=BB456_8 Depth=1
	v_bfrev_b32_e32 v4, 1
	s_mov_b32 s18, exec_lo
	v_cmpx_ne_u16_e32 0x80, v2
	s_cbranch_execz .LBB456_267
; %bb.262:                              ;   in Loop: Header=BB456_8 Depth=1
	v_and_b32_e32 v3, 0xffff, v2
	v_mov_b32_e32 v4, 0x7f800001
	s_mov_b32 s19, exec_lo
	s_delay_alu instid0(VALU_DEP_2) | instskip(NEXT) | instid1(VALU_DEP_1)
	v_and_b32_e32 v2, 0x7f, v3
	v_cmpx_ne_u32_e32 0x7f, v2
	s_cbranch_execz .LBB456_266
; %bb.263:                              ;   in Loop: Header=BB456_8 Depth=1
	v_dual_mov_b32 v33, v19 :: v_dual_and_b32 v32, 7, v3
	v_lshrrev_b32_e32 v4, 3, v2
	s_mov_b32 s20, exec_lo
	v_cmpx_gt_u32_e32 8, v2
; %bb.264:                              ;   in Loop: Header=BB456_8 Depth=1
	s_delay_alu instid0(VALU_DEP_3) | instskip(NEXT) | instid1(VALU_DEP_1)
	v_clz_i32_u32_e32 v2, v32
	v_min_u32_e32 v4, 32, v2
	s_delay_alu instid0(VALU_DEP_1) | instskip(SKIP_1) | instid1(VALU_DEP_2)
	v_subrev_nc_u32_e32 v2, 28, v4
	v_sub_nc_u32_e32 v4, 29, v4
	v_lshlrev_b64 v[2:3], v2, v[32:33]
	s_delay_alu instid0(VALU_DEP_1)
	v_and_b32_e32 v32, 7, v2
; %bb.265:                              ;   in Loop: Header=BB456_8 Depth=1
	s_or_b32 exec_lo, exec_lo, s20
	v_lshlrev_b32_e32 v2, 16, v18
	s_delay_alu instid0(VALU_DEP_2) | instskip(SKIP_1) | instid1(VALU_DEP_3)
	v_lshlrev_b32_e32 v3, 20, v32
	v_lshl_add_u32 v4, v4, 23, 0x3c000000
	v_and_b32_e32 v2, 0x80000000, v2
	s_delay_alu instid0(VALU_DEP_1)
	v_or3_b32 v4, v3, v2, v4
.LBB456_266:                            ;   in Loop: Header=BB456_8 Depth=1
	s_or_b32 exec_lo, exec_lo, s19
.LBB456_267:                            ;   in Loop: Header=BB456_8 Depth=1
	s_delay_alu instid0(SALU_CYCLE_1)
	s_or_b32 exec_lo, exec_lo, s18
.LBB456_268:                            ;   in Loop: Header=BB456_8 Depth=1
	s_delay_alu instid0(SALU_CYCLE_1) | instskip(NEXT) | instid1(VALU_DEP_1)
	s_or_b32 exec_lo, exec_lo, s2
	v_mul_f32_e32 v4, v72, v4
                                        ; implicit-def: $vgpr109
	s_delay_alu instid0(VALU_DEP_1) | instskip(NEXT) | instid1(VALU_DEP_1)
	v_and_b32_e32 v2, 0x7f800000, v4
	v_cmp_ne_u32_e64 s1, 0x7f800000, v2
	s_delay_alu instid0(VALU_DEP_1) | instskip(NEXT) | instid1(SALU_CYCLE_1)
	s_and_saveexec_b32 s2, s1
	s_xor_b32 s1, exec_lo, s2
; %bb.269:                              ;   in Loop: Header=BB456_8 Depth=1
	v_bfe_u32 v2, v4, 16, 1
	s_delay_alu instid0(VALU_DEP_1)
	v_add3_u32 v109, v4, v2, 0x7fff
                                        ; implicit-def: $vgpr4
; %bb.270:                              ;   in Loop: Header=BB456_8 Depth=1
	s_and_not1_saveexec_b32 s2, s1
; %bb.271:                              ;   in Loop: Header=BB456_8 Depth=1
	v_and_b32_e32 v2, 0xffff, v4
	v_or_b32_e32 v3, 0x10000, v4
	s_delay_alu instid0(VALU_DEP_2) | instskip(NEXT) | instid1(VALU_DEP_1)
	v_cmp_eq_u32_e64 s1, 0, v2
	v_cndmask_b32_e64 v109, v3, v4, s1
; %bb.272:                              ;   in Loop: Header=BB456_8 Depth=1
	s_or_b32 exec_lo, exec_lo, s2
	v_lshrrev_b32_e32 v4, 16, v31
	s_mov_b32 s2, exec_lo
	s_delay_alu instid0(VALU_DEP_1) | instskip(NEXT) | instid1(VALU_DEP_1)
	v_dual_mov_b32 v5, 0 :: v_dual_and_b32 v2, 0xff, v4
	v_cmpx_ne_u16_e32 0, v2
	s_cbranch_execz .LBB456_280
; %bb.273:                              ;   in Loop: Header=BB456_8 Depth=1
	v_bfrev_b32_e32 v5, 1
	s_mov_b32 s18, exec_lo
	v_cmpx_ne_u16_e32 0x80, v2
	s_cbranch_execz .LBB456_279
; %bb.274:                              ;   in Loop: Header=BB456_8 Depth=1
	v_bfe_u32 v2, v31, 16, 7
	v_mov_b32_e32 v5, 0x7f800001
	s_mov_b32 s19, exec_lo
	s_delay_alu instid0(VALU_DEP_2)
	v_cmpx_ne_u32_e32 0x7f, v2
	s_cbranch_execz .LBB456_278
; %bb.275:                              ;   in Loop: Header=BB456_8 Depth=1
	v_and_b32_e32 v18, 7, v4
	v_lshrrev_b32_e32 v5, 3, v2
	s_mov_b32 s20, exec_lo
	v_cmpx_gt_u32_e32 8, v2
; %bb.276:                              ;   in Loop: Header=BB456_8 Depth=1
	s_delay_alu instid0(VALU_DEP_3) | instskip(NEXT) | instid1(VALU_DEP_1)
	v_clz_i32_u32_e32 v2, v18
	v_min_u32_e32 v5, 32, v2
	s_delay_alu instid0(VALU_DEP_1) | instskip(SKIP_1) | instid1(VALU_DEP_2)
	v_subrev_nc_u32_e32 v2, 28, v5
	v_sub_nc_u32_e32 v5, 29, v5
	v_lshlrev_b64 v[2:3], v2, v[18:19]
	s_delay_alu instid0(VALU_DEP_1)
	v_and_b32_e32 v18, 7, v2
; %bb.277:                              ;   in Loop: Header=BB456_8 Depth=1
	s_or_b32 exec_lo, exec_lo, s20
	v_lshlrev_b32_e32 v2, 24, v4
	s_delay_alu instid0(VALU_DEP_2) | instskip(SKIP_1) | instid1(VALU_DEP_3)
	v_lshlrev_b32_e32 v3, 20, v18
	v_lshl_add_u32 v4, v5, 23, 0x3c000000
	v_and_b32_e32 v2, 0x80000000, v2
	s_delay_alu instid0(VALU_DEP_1)
	v_or3_b32 v5, v3, v2, v4
.LBB456_278:                            ;   in Loop: Header=BB456_8 Depth=1
	s_or_b32 exec_lo, exec_lo, s19
.LBB456_279:                            ;   in Loop: Header=BB456_8 Depth=1
	s_delay_alu instid0(SALU_CYCLE_1)
	s_or_b32 exec_lo, exec_lo, s18
.LBB456_280:                            ;   in Loop: Header=BB456_8 Depth=1
	s_delay_alu instid0(SALU_CYCLE_1) | instskip(NEXT) | instid1(VALU_DEP_1)
	s_or_b32 exec_lo, exec_lo, s2
	v_mul_f32_e32 v4, v72, v5
                                        ; implicit-def: $vgpr110
	s_delay_alu instid0(VALU_DEP_1) | instskip(NEXT) | instid1(VALU_DEP_1)
	v_and_b32_e32 v2, 0x7f800000, v4
	v_cmp_ne_u32_e64 s1, 0x7f800000, v2
	s_delay_alu instid0(VALU_DEP_1) | instskip(NEXT) | instid1(SALU_CYCLE_1)
	s_and_saveexec_b32 s2, s1
	s_xor_b32 s1, exec_lo, s2
; %bb.281:                              ;   in Loop: Header=BB456_8 Depth=1
	v_bfe_u32 v2, v4, 16, 1
	s_delay_alu instid0(VALU_DEP_1)
	v_add3_u32 v110, v4, v2, 0x7fff
                                        ; implicit-def: $vgpr4
; %bb.282:                              ;   in Loop: Header=BB456_8 Depth=1
	s_and_not1_saveexec_b32 s2, s1
; %bb.283:                              ;   in Loop: Header=BB456_8 Depth=1
	v_and_b32_e32 v2, 0xffff, v4
	v_or_b32_e32 v3, 0x10000, v4
	s_delay_alu instid0(VALU_DEP_2) | instskip(NEXT) | instid1(VALU_DEP_1)
	v_cmp_eq_u32_e64 s1, 0, v2
	v_cndmask_b32_e64 v110, v3, v4, s1
; %bb.284:                              ;   in Loop: Header=BB456_8 Depth=1
	s_or_b32 exec_lo, exec_lo, s2
	v_mov_b32_e32 v5, 0
	s_mov_b32 s2, exec_lo
	v_cmpx_lt_u64_e64 s[8:9], v[30:31]
	s_cbranch_execz .LBB456_292
; %bb.285:                              ;   in Loop: Header=BB456_8 Depth=1
	v_lshrrev_b32_e32 v4, 24, v31
	v_bfrev_b32_e32 v5, 1
	s_mov_b32 s18, exec_lo
	s_delay_alu instid0(VALU_DEP_2)
	v_cmpx_ne_u32_e32 0x80, v4
	s_cbranch_execz .LBB456_291
; %bb.286:                              ;   in Loop: Header=BB456_8 Depth=1
	v_bfe_u32 v2, v31, 24, 7
	v_mov_b32_e32 v5, 0x7f800001
	s_mov_b32 s19, exec_lo
	s_delay_alu instid0(VALU_DEP_2)
	v_cmpx_ne_u32_e32 0x7f, v2
	s_cbranch_execz .LBB456_290
; %bb.287:                              ;   in Loop: Header=BB456_8 Depth=1
	v_and_b32_e32 v18, 7, v4
	v_lshrrev_b32_e32 v5, 3, v2
	s_mov_b32 s20, exec_lo
	v_cmpx_gt_u32_e32 8, v2
; %bb.288:                              ;   in Loop: Header=BB456_8 Depth=1
	s_delay_alu instid0(VALU_DEP_3) | instskip(NEXT) | instid1(VALU_DEP_1)
	v_clz_i32_u32_e32 v2, v18
	v_min_u32_e32 v5, 32, v2
	s_delay_alu instid0(VALU_DEP_1) | instskip(SKIP_1) | instid1(VALU_DEP_2)
	v_subrev_nc_u32_e32 v2, 28, v5
	v_sub_nc_u32_e32 v5, 29, v5
	v_lshlrev_b64 v[2:3], v2, v[18:19]
	s_delay_alu instid0(VALU_DEP_1)
	v_and_b32_e32 v18, 7, v2
; %bb.289:                              ;   in Loop: Header=BB456_8 Depth=1
	s_or_b32 exec_lo, exec_lo, s20
	v_lshlrev_b32_e32 v2, 24, v4
	s_delay_alu instid0(VALU_DEP_2) | instskip(SKIP_1) | instid1(VALU_DEP_3)
	v_lshlrev_b32_e32 v3, 20, v18
	v_lshl_add_u32 v4, v5, 23, 0x3c000000
	v_and_b32_e32 v2, 0x80000000, v2
	s_delay_alu instid0(VALU_DEP_1)
	v_or3_b32 v5, v3, v2, v4
.LBB456_290:                            ;   in Loop: Header=BB456_8 Depth=1
	s_or_b32 exec_lo, exec_lo, s19
.LBB456_291:                            ;   in Loop: Header=BB456_8 Depth=1
	s_delay_alu instid0(SALU_CYCLE_1)
	s_or_b32 exec_lo, exec_lo, s18
.LBB456_292:                            ;   in Loop: Header=BB456_8 Depth=1
	s_delay_alu instid0(SALU_CYCLE_1) | instskip(NEXT) | instid1(VALU_DEP_1)
	s_or_b32 exec_lo, exec_lo, s2
	v_mul_f32_e32 v4, v72, v5
                                        ; implicit-def: $vgpr111
	s_delay_alu instid0(VALU_DEP_1) | instskip(NEXT) | instid1(VALU_DEP_1)
	v_and_b32_e32 v2, 0x7f800000, v4
	v_cmp_ne_u32_e64 s1, 0x7f800000, v2
	s_delay_alu instid0(VALU_DEP_1) | instskip(NEXT) | instid1(SALU_CYCLE_1)
	s_and_saveexec_b32 s2, s1
	s_xor_b32 s1, exec_lo, s2
; %bb.293:                              ;   in Loop: Header=BB456_8 Depth=1
	v_bfe_u32 v2, v4, 16, 1
	s_delay_alu instid0(VALU_DEP_1)
	v_add3_u32 v111, v4, v2, 0x7fff
                                        ; implicit-def: $vgpr4
; %bb.294:                              ;   in Loop: Header=BB456_8 Depth=1
	s_and_not1_saveexec_b32 s2, s1
; %bb.295:                              ;   in Loop: Header=BB456_8 Depth=1
	v_and_b32_e32 v2, 0xffff, v4
	v_or_b32_e32 v3, 0x10000, v4
	s_delay_alu instid0(VALU_DEP_2) | instskip(NEXT) | instid1(VALU_DEP_1)
	v_cmp_eq_u32_e64 s1, 0, v2
	v_cndmask_b32_e64 v111, v3, v4, s1
; %bb.296:                              ;   in Loop: Header=BB456_8 Depth=1
	s_or_b32 exec_lo, exec_lo, s2
	flat_load_b64 v[30:31], v[28:29] offset:520
	v_mov_b32_e32 v4, 0
	s_mov_b32 s2, exec_lo
	s_waitcnt vmcnt(0) lgkmcnt(0)
	v_and_b32_e32 v2, 0xff, v30
	s_delay_alu instid0(VALU_DEP_1)
	v_cmpx_ne_u16_e32 0, v2
	s_cbranch_execz .LBB456_304
; %bb.297:                              ;   in Loop: Header=BB456_8 Depth=1
	v_bfrev_b32_e32 v4, 1
	s_mov_b32 s18, exec_lo
	v_cmpx_ne_u16_e32 0x80, v2
	s_cbranch_execz .LBB456_303
; %bb.298:                              ;   in Loop: Header=BB456_8 Depth=1
	v_and_b32_e32 v3, 0x7f, v30
	v_mov_b32_e32 v4, 0x7f800001
	s_mov_b32 s19, exec_lo
	s_delay_alu instid0(VALU_DEP_2)
	v_cmpx_ne_u32_e32 0x7f, v3
	s_cbranch_execz .LBB456_302
; %bb.299:                              ;   in Loop: Header=BB456_8 Depth=1
	v_lshrrev_b32_e32 v2, 3, v3
	v_dual_mov_b32 v33, v31 :: v_dual_mov_b32 v32, v30
	s_mov_b32 s20, exec_lo
	v_cmpx_gt_u32_e32 8, v3
; %bb.300:                              ;   in Loop: Header=BB456_8 Depth=1
	v_and_b32_e32 v2, 7, v30
	s_delay_alu instid0(VALU_DEP_1) | instskip(NEXT) | instid1(VALU_DEP_1)
	v_clz_i32_u32_e32 v2, v2
	v_min_u32_e32 v2, 32, v2
	s_delay_alu instid0(VALU_DEP_1) | instskip(SKIP_1) | instid1(VALU_DEP_2)
	v_subrev_nc_u32_e32 v3, 28, v2
	v_sub_nc_u32_e32 v2, 29, v2
	v_lshlrev_b64 v[32:33], v3, v[30:31]
; %bb.301:                              ;   in Loop: Header=BB456_8 Depth=1
	s_or_b32 exec_lo, exec_lo, s20
	s_delay_alu instid0(VALU_DEP_1) | instskip(SKIP_2) | instid1(VALU_DEP_3)
	v_lshlrev_b32_e32 v3, 20, v32
	v_lshlrev_b32_e32 v4, 24, v30
	v_lshl_add_u32 v2, v2, 23, 0x3c000000
	v_and_b32_e32 v3, 0x700000, v3
	s_delay_alu instid0(VALU_DEP_3) | instskip(NEXT) | instid1(VALU_DEP_1)
	v_and_b32_e32 v4, 0x80000000, v4
	v_or3_b32 v4, v3, v4, v2
.LBB456_302:                            ;   in Loop: Header=BB456_8 Depth=1
	s_or_b32 exec_lo, exec_lo, s19
.LBB456_303:                            ;   in Loop: Header=BB456_8 Depth=1
	s_delay_alu instid0(SALU_CYCLE_1)
	s_or_b32 exec_lo, exec_lo, s18
.LBB456_304:                            ;   in Loop: Header=BB456_8 Depth=1
	s_delay_alu instid0(SALU_CYCLE_1) | instskip(NEXT) | instid1(VALU_DEP_1)
	s_or_b32 exec_lo, exec_lo, s2
	v_mul_f32_e32 v4, v72, v4
                                        ; implicit-def: $vgpr120
	s_delay_alu instid0(VALU_DEP_1) | instskip(NEXT) | instid1(VALU_DEP_1)
	v_and_b32_e32 v2, 0x7f800000, v4
	v_cmp_ne_u32_e64 s1, 0x7f800000, v2
	s_delay_alu instid0(VALU_DEP_1) | instskip(NEXT) | instid1(SALU_CYCLE_1)
	s_and_saveexec_b32 s2, s1
	s_xor_b32 s1, exec_lo, s2
; %bb.305:                              ;   in Loop: Header=BB456_8 Depth=1
	v_bfe_u32 v2, v4, 16, 1
	s_delay_alu instid0(VALU_DEP_1)
	v_add3_u32 v120, v4, v2, 0x7fff
                                        ; implicit-def: $vgpr4
; %bb.306:                              ;   in Loop: Header=BB456_8 Depth=1
	s_and_not1_saveexec_b32 s2, s1
; %bb.307:                              ;   in Loop: Header=BB456_8 Depth=1
	v_and_b32_e32 v2, 0xffff, v4
	v_or_b32_e32 v3, 0x10000, v4
	s_delay_alu instid0(VALU_DEP_2) | instskip(NEXT) | instid1(VALU_DEP_1)
	v_cmp_eq_u32_e64 s1, 0, v2
	v_cndmask_b32_e64 v120, v3, v4, s1
; %bb.308:                              ;   in Loop: Header=BB456_8 Depth=1
	s_or_b32 exec_lo, exec_lo, s2
	v_lshrrev_b16 v2, 8, v30
	v_mov_b32_e32 v4, 0
	s_mov_b32 s2, exec_lo
	s_delay_alu instid0(VALU_DEP_2)
	v_cmpx_ne_u16_e32 0, v2
	s_cbranch_execz .LBB456_316
; %bb.309:                              ;   in Loop: Header=BB456_8 Depth=1
	v_bfrev_b32_e32 v4, 1
	s_mov_b32 s18, exec_lo
	v_cmpx_ne_u16_e32 0x80, v2
	s_cbranch_execz .LBB456_315
; %bb.310:                              ;   in Loop: Header=BB456_8 Depth=1
	v_and_b32_e32 v3, 0xffff, v2
	v_mov_b32_e32 v4, 0x7f800001
	s_mov_b32 s19, exec_lo
	s_delay_alu instid0(VALU_DEP_2) | instskip(NEXT) | instid1(VALU_DEP_1)
	v_and_b32_e32 v2, 0x7f, v3
	v_cmpx_ne_u32_e32 0x7f, v2
	s_cbranch_execz .LBB456_314
; %bb.311:                              ;   in Loop: Header=BB456_8 Depth=1
	v_and_b32_e32 v18, 7, v3
	v_lshrrev_b32_e32 v4, 3, v2
	s_mov_b32 s20, exec_lo
	v_cmpx_gt_u32_e32 8, v2
; %bb.312:                              ;   in Loop: Header=BB456_8 Depth=1
	s_delay_alu instid0(VALU_DEP_3) | instskip(NEXT) | instid1(VALU_DEP_1)
	v_clz_i32_u32_e32 v2, v18
	v_min_u32_e32 v4, 32, v2
	s_delay_alu instid0(VALU_DEP_1) | instskip(SKIP_1) | instid1(VALU_DEP_2)
	v_subrev_nc_u32_e32 v2, 28, v4
	v_sub_nc_u32_e32 v4, 29, v4
	v_lshlrev_b64 v[2:3], v2, v[18:19]
	s_delay_alu instid0(VALU_DEP_1)
	v_and_b32_e32 v18, 7, v2
; %bb.313:                              ;   in Loop: Header=BB456_8 Depth=1
	s_or_b32 exec_lo, exec_lo, s20
	v_lshlrev_b32_e32 v2, 16, v30
	s_delay_alu instid0(VALU_DEP_2) | instskip(SKIP_1) | instid1(VALU_DEP_3)
	v_lshlrev_b32_e32 v3, 20, v18
	v_lshl_add_u32 v4, v4, 23, 0x3c000000
	v_and_b32_e32 v2, 0x80000000, v2
	s_delay_alu instid0(VALU_DEP_1)
	v_or3_b32 v4, v3, v2, v4
.LBB456_314:                            ;   in Loop: Header=BB456_8 Depth=1
	s_or_b32 exec_lo, exec_lo, s19
.LBB456_315:                            ;   in Loop: Header=BB456_8 Depth=1
	s_delay_alu instid0(SALU_CYCLE_1)
	s_or_b32 exec_lo, exec_lo, s18
.LBB456_316:                            ;   in Loop: Header=BB456_8 Depth=1
	s_delay_alu instid0(SALU_CYCLE_1) | instskip(NEXT) | instid1(VALU_DEP_1)
	s_or_b32 exec_lo, exec_lo, s2
	v_mul_f32_e32 v4, v72, v4
                                        ; implicit-def: $vgpr121
	s_delay_alu instid0(VALU_DEP_1) | instskip(NEXT) | instid1(VALU_DEP_1)
	v_and_b32_e32 v2, 0x7f800000, v4
	v_cmp_ne_u32_e64 s1, 0x7f800000, v2
	s_delay_alu instid0(VALU_DEP_1) | instskip(NEXT) | instid1(SALU_CYCLE_1)
	s_and_saveexec_b32 s2, s1
	s_xor_b32 s1, exec_lo, s2
; %bb.317:                              ;   in Loop: Header=BB456_8 Depth=1
	v_bfe_u32 v2, v4, 16, 1
	s_delay_alu instid0(VALU_DEP_1)
	v_add3_u32 v121, v4, v2, 0x7fff
                                        ; implicit-def: $vgpr4
; %bb.318:                              ;   in Loop: Header=BB456_8 Depth=1
	s_and_not1_saveexec_b32 s2, s1
; %bb.319:                              ;   in Loop: Header=BB456_8 Depth=1
	v_and_b32_e32 v2, 0xffff, v4
	v_or_b32_e32 v3, 0x10000, v4
	s_delay_alu instid0(VALU_DEP_2) | instskip(NEXT) | instid1(VALU_DEP_1)
	v_cmp_eq_u32_e64 s1, 0, v2
	v_cndmask_b32_e64 v121, v3, v4, s1
; %bb.320:                              ;   in Loop: Header=BB456_8 Depth=1
	s_or_b32 exec_lo, exec_lo, s2
	v_lshrrev_b32_e32 v4, 16, v30
	s_mov_b32 s2, exec_lo
	s_delay_alu instid0(VALU_DEP_1) | instskip(NEXT) | instid1(VALU_DEP_1)
	v_dual_mov_b32 v5, 0 :: v_dual_and_b32 v2, 0xff, v4
	v_cmpx_ne_u16_e32 0, v2
	s_cbranch_execz .LBB456_328
; %bb.321:                              ;   in Loop: Header=BB456_8 Depth=1
	v_bfrev_b32_e32 v5, 1
	s_mov_b32 s18, exec_lo
	v_cmpx_ne_u16_e32 0x80, v2
	s_cbranch_execz .LBB456_327
; %bb.322:                              ;   in Loop: Header=BB456_8 Depth=1
	v_bfe_u32 v2, v30, 16, 7
	v_mov_b32_e32 v5, 0x7f800001
	s_mov_b32 s19, exec_lo
	s_delay_alu instid0(VALU_DEP_2)
	v_cmpx_ne_u32_e32 0x7f, v2
	s_cbranch_execz .LBB456_326
; %bb.323:                              ;   in Loop: Header=BB456_8 Depth=1
	v_and_b32_e32 v18, 7, v4
	v_lshrrev_b32_e32 v5, 3, v2
	s_mov_b32 s20, exec_lo
	v_cmpx_gt_u32_e32 8, v2
; %bb.324:                              ;   in Loop: Header=BB456_8 Depth=1
	s_delay_alu instid0(VALU_DEP_3) | instskip(NEXT) | instid1(VALU_DEP_1)
	v_clz_i32_u32_e32 v2, v18
	v_min_u32_e32 v5, 32, v2
	s_delay_alu instid0(VALU_DEP_1) | instskip(SKIP_1) | instid1(VALU_DEP_2)
	v_subrev_nc_u32_e32 v2, 28, v5
	v_sub_nc_u32_e32 v5, 29, v5
	v_lshlrev_b64 v[2:3], v2, v[18:19]
	s_delay_alu instid0(VALU_DEP_1)
	v_and_b32_e32 v18, 7, v2
; %bb.325:                              ;   in Loop: Header=BB456_8 Depth=1
	s_or_b32 exec_lo, exec_lo, s20
	v_lshlrev_b32_e32 v2, 24, v4
	s_delay_alu instid0(VALU_DEP_2) | instskip(SKIP_1) | instid1(VALU_DEP_3)
	v_lshlrev_b32_e32 v3, 20, v18
	v_lshl_add_u32 v4, v5, 23, 0x3c000000
	v_and_b32_e32 v2, 0x80000000, v2
	s_delay_alu instid0(VALU_DEP_1)
	v_or3_b32 v5, v3, v2, v4
.LBB456_326:                            ;   in Loop: Header=BB456_8 Depth=1
	s_or_b32 exec_lo, exec_lo, s19
.LBB456_327:                            ;   in Loop: Header=BB456_8 Depth=1
	s_delay_alu instid0(SALU_CYCLE_1)
	s_or_b32 exec_lo, exec_lo, s18
.LBB456_328:                            ;   in Loop: Header=BB456_8 Depth=1
	s_delay_alu instid0(SALU_CYCLE_1) | instskip(NEXT) | instid1(VALU_DEP_1)
	s_or_b32 exec_lo, exec_lo, s2
	v_mul_f32_e32 v4, v72, v5
                                        ; implicit-def: $vgpr122
	s_delay_alu instid0(VALU_DEP_1) | instskip(NEXT) | instid1(VALU_DEP_1)
	v_and_b32_e32 v2, 0x7f800000, v4
	v_cmp_ne_u32_e64 s1, 0x7f800000, v2
	s_delay_alu instid0(VALU_DEP_1) | instskip(NEXT) | instid1(SALU_CYCLE_1)
	s_and_saveexec_b32 s2, s1
	s_xor_b32 s1, exec_lo, s2
; %bb.329:                              ;   in Loop: Header=BB456_8 Depth=1
	v_bfe_u32 v2, v4, 16, 1
	s_delay_alu instid0(VALU_DEP_1)
	v_add3_u32 v122, v4, v2, 0x7fff
                                        ; implicit-def: $vgpr4
; %bb.330:                              ;   in Loop: Header=BB456_8 Depth=1
	s_and_not1_saveexec_b32 s2, s1
; %bb.331:                              ;   in Loop: Header=BB456_8 Depth=1
	v_and_b32_e32 v2, 0xffff, v4
	v_or_b32_e32 v3, 0x10000, v4
	s_delay_alu instid0(VALU_DEP_2) | instskip(NEXT) | instid1(VALU_DEP_1)
	v_cmp_eq_u32_e64 s1, 0, v2
	v_cndmask_b32_e64 v122, v3, v4, s1
; %bb.332:                              ;   in Loop: Header=BB456_8 Depth=1
	s_or_b32 exec_lo, exec_lo, s2
	v_mov_b32_e32 v5, 0
	s_mov_b32 s2, exec_lo
	v_cmpx_lt_u32_e32 0xffffff, v30
	s_cbranch_execz .LBB456_340
; %bb.333:                              ;   in Loop: Header=BB456_8 Depth=1
	v_lshrrev_b32_e32 v4, 24, v30
	v_bfrev_b32_e32 v5, 1
	s_mov_b32 s18, exec_lo
	s_delay_alu instid0(VALU_DEP_2)
	v_cmpx_ne_u32_e32 0x80, v4
	s_cbranch_execz .LBB456_339
; %bb.334:                              ;   in Loop: Header=BB456_8 Depth=1
	v_bfe_u32 v2, v30, 24, 7
	v_mov_b32_e32 v5, 0x7f800001
	s_mov_b32 s19, exec_lo
	s_delay_alu instid0(VALU_DEP_2)
	v_cmpx_ne_u32_e32 0x7f, v2
	s_cbranch_execz .LBB456_338
; %bb.335:                              ;   in Loop: Header=BB456_8 Depth=1
	v_and_b32_e32 v18, 7, v4
	v_lshrrev_b32_e32 v5, 3, v2
	s_mov_b32 s20, exec_lo
	v_cmpx_gt_u32_e32 8, v2
; %bb.336:                              ;   in Loop: Header=BB456_8 Depth=1
	s_delay_alu instid0(VALU_DEP_3) | instskip(NEXT) | instid1(VALU_DEP_1)
	v_clz_i32_u32_e32 v2, v18
	v_min_u32_e32 v5, 32, v2
	s_delay_alu instid0(VALU_DEP_1) | instskip(SKIP_1) | instid1(VALU_DEP_2)
	v_subrev_nc_u32_e32 v2, 28, v5
	v_sub_nc_u32_e32 v5, 29, v5
	v_lshlrev_b64 v[2:3], v2, v[18:19]
	s_delay_alu instid0(VALU_DEP_1)
	v_and_b32_e32 v18, 7, v2
; %bb.337:                              ;   in Loop: Header=BB456_8 Depth=1
	s_or_b32 exec_lo, exec_lo, s20
	v_lshlrev_b32_e32 v2, 24, v4
	s_delay_alu instid0(VALU_DEP_2) | instskip(SKIP_1) | instid1(VALU_DEP_3)
	v_lshlrev_b32_e32 v3, 20, v18
	v_lshl_add_u32 v4, v5, 23, 0x3c000000
	v_and_b32_e32 v2, 0x80000000, v2
	s_delay_alu instid0(VALU_DEP_1)
	v_or3_b32 v5, v3, v2, v4
.LBB456_338:                            ;   in Loop: Header=BB456_8 Depth=1
	s_or_b32 exec_lo, exec_lo, s19
.LBB456_339:                            ;   in Loop: Header=BB456_8 Depth=1
	s_delay_alu instid0(SALU_CYCLE_1)
	s_or_b32 exec_lo, exec_lo, s18
.LBB456_340:                            ;   in Loop: Header=BB456_8 Depth=1
	s_delay_alu instid0(SALU_CYCLE_1) | instskip(NEXT) | instid1(VALU_DEP_1)
	s_or_b32 exec_lo, exec_lo, s2
	v_mul_f32_e32 v4, v72, v5
                                        ; implicit-def: $vgpr123
	s_delay_alu instid0(VALU_DEP_1) | instskip(NEXT) | instid1(VALU_DEP_1)
	v_and_b32_e32 v2, 0x7f800000, v4
	v_cmp_ne_u32_e64 s1, 0x7f800000, v2
	s_delay_alu instid0(VALU_DEP_1) | instskip(NEXT) | instid1(SALU_CYCLE_1)
	s_and_saveexec_b32 s2, s1
	s_xor_b32 s1, exec_lo, s2
; %bb.341:                              ;   in Loop: Header=BB456_8 Depth=1
	v_bfe_u32 v2, v4, 16, 1
	s_delay_alu instid0(VALU_DEP_1)
	v_add3_u32 v123, v4, v2, 0x7fff
                                        ; implicit-def: $vgpr4
; %bb.342:                              ;   in Loop: Header=BB456_8 Depth=1
	s_and_not1_saveexec_b32 s2, s1
; %bb.343:                              ;   in Loop: Header=BB456_8 Depth=1
	v_and_b32_e32 v2, 0xffff, v4
	v_or_b32_e32 v3, 0x10000, v4
	s_delay_alu instid0(VALU_DEP_2) | instskip(NEXT) | instid1(VALU_DEP_1)
	v_cmp_eq_u32_e64 s1, 0, v2
	v_cndmask_b32_e64 v123, v3, v4, s1
; %bb.344:                              ;   in Loop: Header=BB456_8 Depth=1
	s_or_b32 exec_lo, exec_lo, s2
	v_and_b32_e32 v2, 0xff, v31
	v_mov_b32_e32 v18, v31
	v_mov_b32_e32 v4, 0
	s_mov_b32 s2, exec_lo
	s_delay_alu instid0(VALU_DEP_3)
	v_cmpx_ne_u16_e32 0, v2
	s_cbranch_execz .LBB456_352
; %bb.345:                              ;   in Loop: Header=BB456_8 Depth=1
	v_bfrev_b32_e32 v4, 1
	s_mov_b32 s18, exec_lo
	v_cmpx_ne_u16_e32 0x80, v2
	s_cbranch_execz .LBB456_351
; %bb.346:                              ;   in Loop: Header=BB456_8 Depth=1
	v_and_b32_e32 v3, 0x7f, v31
	v_mov_b32_e32 v4, 0x7f800001
	s_mov_b32 s19, exec_lo
	s_delay_alu instid0(VALU_DEP_2)
	v_cmpx_ne_u32_e32 0x7f, v3
	s_cbranch_execz .LBB456_350
; %bb.347:                              ;   in Loop: Header=BB456_8 Depth=1
	v_lshrrev_b32_e32 v2, 3, v3
	v_dual_mov_b32 v33, v19 :: v_dual_mov_b32 v32, v18
	s_mov_b32 s20, exec_lo
	v_cmpx_gt_u32_e32 8, v3
; %bb.348:                              ;   in Loop: Header=BB456_8 Depth=1
	v_and_b32_e32 v2, 7, v31
	s_delay_alu instid0(VALU_DEP_1) | instskip(NEXT) | instid1(VALU_DEP_1)
	v_clz_i32_u32_e32 v2, v2
	v_min_u32_e32 v2, 32, v2
	s_delay_alu instid0(VALU_DEP_1) | instskip(SKIP_1) | instid1(VALU_DEP_2)
	v_subrev_nc_u32_e32 v3, 28, v2
	v_sub_nc_u32_e32 v2, 29, v2
	v_lshlrev_b64 v[32:33], v3, v[18:19]
; %bb.349:                              ;   in Loop: Header=BB456_8 Depth=1
	s_or_b32 exec_lo, exec_lo, s20
	s_delay_alu instid0(VALU_DEP_1) | instskip(SKIP_2) | instid1(VALU_DEP_3)
	v_lshlrev_b32_e32 v3, 20, v32
	v_lshlrev_b32_e32 v4, 24, v18
	v_lshl_add_u32 v2, v2, 23, 0x3c000000
	v_and_b32_e32 v3, 0x700000, v3
	s_delay_alu instid0(VALU_DEP_3) | instskip(NEXT) | instid1(VALU_DEP_1)
	v_and_b32_e32 v4, 0x80000000, v4
	v_or3_b32 v4, v3, v4, v2
.LBB456_350:                            ;   in Loop: Header=BB456_8 Depth=1
	s_or_b32 exec_lo, exec_lo, s19
.LBB456_351:                            ;   in Loop: Header=BB456_8 Depth=1
	s_delay_alu instid0(SALU_CYCLE_1)
	s_or_b32 exec_lo, exec_lo, s18
.LBB456_352:                            ;   in Loop: Header=BB456_8 Depth=1
	s_delay_alu instid0(SALU_CYCLE_1) | instskip(NEXT) | instid1(VALU_DEP_1)
	s_or_b32 exec_lo, exec_lo, s2
	v_mul_f32_e32 v4, v72, v4
                                        ; implicit-def: $vgpr124
	s_delay_alu instid0(VALU_DEP_1) | instskip(NEXT) | instid1(VALU_DEP_1)
	v_and_b32_e32 v2, 0x7f800000, v4
	v_cmp_ne_u32_e64 s1, 0x7f800000, v2
	s_delay_alu instid0(VALU_DEP_1) | instskip(NEXT) | instid1(SALU_CYCLE_1)
	s_and_saveexec_b32 s2, s1
	s_xor_b32 s1, exec_lo, s2
; %bb.353:                              ;   in Loop: Header=BB456_8 Depth=1
	v_bfe_u32 v2, v4, 16, 1
	s_delay_alu instid0(VALU_DEP_1)
	v_add3_u32 v124, v4, v2, 0x7fff
                                        ; implicit-def: $vgpr4
; %bb.354:                              ;   in Loop: Header=BB456_8 Depth=1
	s_and_not1_saveexec_b32 s2, s1
; %bb.355:                              ;   in Loop: Header=BB456_8 Depth=1
	v_and_b32_e32 v2, 0xffff, v4
	v_or_b32_e32 v3, 0x10000, v4
	s_delay_alu instid0(VALU_DEP_2) | instskip(NEXT) | instid1(VALU_DEP_1)
	v_cmp_eq_u32_e64 s1, 0, v2
	v_cndmask_b32_e64 v124, v3, v4, s1
; %bb.356:                              ;   in Loop: Header=BB456_8 Depth=1
	s_or_b32 exec_lo, exec_lo, s2
	v_lshrrev_b16 v2, 8, v18
	v_mov_b32_e32 v4, 0
	s_mov_b32 s2, exec_lo
	s_delay_alu instid0(VALU_DEP_2)
	v_cmpx_ne_u16_e32 0, v2
	s_cbranch_execz .LBB456_364
; %bb.357:                              ;   in Loop: Header=BB456_8 Depth=1
	v_bfrev_b32_e32 v4, 1
	s_mov_b32 s18, exec_lo
	v_cmpx_ne_u16_e32 0x80, v2
	s_cbranch_execz .LBB456_363
; %bb.358:                              ;   in Loop: Header=BB456_8 Depth=1
	v_and_b32_e32 v3, 0xffff, v2
	v_mov_b32_e32 v4, 0x7f800001
	s_mov_b32 s19, exec_lo
	s_delay_alu instid0(VALU_DEP_2) | instskip(NEXT) | instid1(VALU_DEP_1)
	v_and_b32_e32 v2, 0x7f, v3
	v_cmpx_ne_u32_e32 0x7f, v2
	s_cbranch_execz .LBB456_362
; %bb.359:                              ;   in Loop: Header=BB456_8 Depth=1
	v_dual_mov_b32 v33, v19 :: v_dual_and_b32 v32, 7, v3
	v_lshrrev_b32_e32 v4, 3, v2
	s_mov_b32 s20, exec_lo
	v_cmpx_gt_u32_e32 8, v2
; %bb.360:                              ;   in Loop: Header=BB456_8 Depth=1
	s_delay_alu instid0(VALU_DEP_3) | instskip(NEXT) | instid1(VALU_DEP_1)
	v_clz_i32_u32_e32 v2, v32
	v_min_u32_e32 v4, 32, v2
	s_delay_alu instid0(VALU_DEP_1) | instskip(SKIP_1) | instid1(VALU_DEP_2)
	v_subrev_nc_u32_e32 v2, 28, v4
	v_sub_nc_u32_e32 v4, 29, v4
	v_lshlrev_b64 v[2:3], v2, v[32:33]
	s_delay_alu instid0(VALU_DEP_1)
	v_and_b32_e32 v32, 7, v2
; %bb.361:                              ;   in Loop: Header=BB456_8 Depth=1
	s_or_b32 exec_lo, exec_lo, s20
	v_lshlrev_b32_e32 v2, 16, v18
	s_delay_alu instid0(VALU_DEP_2) | instskip(SKIP_1) | instid1(VALU_DEP_3)
	v_lshlrev_b32_e32 v3, 20, v32
	v_lshl_add_u32 v4, v4, 23, 0x3c000000
	v_and_b32_e32 v2, 0x80000000, v2
	s_delay_alu instid0(VALU_DEP_1)
	v_or3_b32 v4, v3, v2, v4
.LBB456_362:                            ;   in Loop: Header=BB456_8 Depth=1
	s_or_b32 exec_lo, exec_lo, s19
.LBB456_363:                            ;   in Loop: Header=BB456_8 Depth=1
	s_delay_alu instid0(SALU_CYCLE_1)
	s_or_b32 exec_lo, exec_lo, s18
.LBB456_364:                            ;   in Loop: Header=BB456_8 Depth=1
	s_delay_alu instid0(SALU_CYCLE_1) | instskip(NEXT) | instid1(VALU_DEP_1)
	s_or_b32 exec_lo, exec_lo, s2
	v_mul_f32_e32 v4, v72, v4
                                        ; implicit-def: $vgpr125
	s_delay_alu instid0(VALU_DEP_1) | instskip(NEXT) | instid1(VALU_DEP_1)
	v_and_b32_e32 v2, 0x7f800000, v4
	v_cmp_ne_u32_e64 s1, 0x7f800000, v2
	s_delay_alu instid0(VALU_DEP_1) | instskip(NEXT) | instid1(SALU_CYCLE_1)
	s_and_saveexec_b32 s2, s1
	s_xor_b32 s1, exec_lo, s2
; %bb.365:                              ;   in Loop: Header=BB456_8 Depth=1
	v_bfe_u32 v2, v4, 16, 1
	s_delay_alu instid0(VALU_DEP_1)
	v_add3_u32 v125, v4, v2, 0x7fff
                                        ; implicit-def: $vgpr4
; %bb.366:                              ;   in Loop: Header=BB456_8 Depth=1
	s_and_not1_saveexec_b32 s2, s1
; %bb.367:                              ;   in Loop: Header=BB456_8 Depth=1
	v_and_b32_e32 v2, 0xffff, v4
	v_or_b32_e32 v3, 0x10000, v4
	s_delay_alu instid0(VALU_DEP_2) | instskip(NEXT) | instid1(VALU_DEP_1)
	v_cmp_eq_u32_e64 s1, 0, v2
	v_cndmask_b32_e64 v125, v3, v4, s1
; %bb.368:                              ;   in Loop: Header=BB456_8 Depth=1
	s_or_b32 exec_lo, exec_lo, s2
	v_lshrrev_b32_e32 v4, 16, v31
	s_mov_b32 s2, exec_lo
	s_delay_alu instid0(VALU_DEP_1) | instskip(NEXT) | instid1(VALU_DEP_1)
	v_dual_mov_b32 v5, 0 :: v_dual_and_b32 v2, 0xff, v4
	v_cmpx_ne_u16_e32 0, v2
	s_cbranch_execz .LBB456_376
; %bb.369:                              ;   in Loop: Header=BB456_8 Depth=1
	v_bfrev_b32_e32 v5, 1
	s_mov_b32 s18, exec_lo
	v_cmpx_ne_u16_e32 0x80, v2
	s_cbranch_execz .LBB456_375
; %bb.370:                              ;   in Loop: Header=BB456_8 Depth=1
	v_bfe_u32 v2, v31, 16, 7
	v_mov_b32_e32 v5, 0x7f800001
	s_mov_b32 s19, exec_lo
	s_delay_alu instid0(VALU_DEP_2)
	v_cmpx_ne_u32_e32 0x7f, v2
	s_cbranch_execz .LBB456_374
; %bb.371:                              ;   in Loop: Header=BB456_8 Depth=1
	v_and_b32_e32 v18, 7, v4
	v_lshrrev_b32_e32 v5, 3, v2
	s_mov_b32 s20, exec_lo
	v_cmpx_gt_u32_e32 8, v2
; %bb.372:                              ;   in Loop: Header=BB456_8 Depth=1
	s_delay_alu instid0(VALU_DEP_3) | instskip(NEXT) | instid1(VALU_DEP_1)
	v_clz_i32_u32_e32 v2, v18
	v_min_u32_e32 v5, 32, v2
	s_delay_alu instid0(VALU_DEP_1) | instskip(SKIP_1) | instid1(VALU_DEP_2)
	v_subrev_nc_u32_e32 v2, 28, v5
	v_sub_nc_u32_e32 v5, 29, v5
	v_lshlrev_b64 v[2:3], v2, v[18:19]
	s_delay_alu instid0(VALU_DEP_1)
	v_and_b32_e32 v18, 7, v2
; %bb.373:                              ;   in Loop: Header=BB456_8 Depth=1
	s_or_b32 exec_lo, exec_lo, s20
	v_lshlrev_b32_e32 v2, 24, v4
	s_delay_alu instid0(VALU_DEP_2) | instskip(SKIP_1) | instid1(VALU_DEP_3)
	v_lshlrev_b32_e32 v3, 20, v18
	v_lshl_add_u32 v4, v5, 23, 0x3c000000
	v_and_b32_e32 v2, 0x80000000, v2
	s_delay_alu instid0(VALU_DEP_1)
	v_or3_b32 v5, v3, v2, v4
.LBB456_374:                            ;   in Loop: Header=BB456_8 Depth=1
	s_or_b32 exec_lo, exec_lo, s19
.LBB456_375:                            ;   in Loop: Header=BB456_8 Depth=1
	s_delay_alu instid0(SALU_CYCLE_1)
	s_or_b32 exec_lo, exec_lo, s18
.LBB456_376:                            ;   in Loop: Header=BB456_8 Depth=1
	s_delay_alu instid0(SALU_CYCLE_1) | instskip(NEXT) | instid1(VALU_DEP_1)
	s_or_b32 exec_lo, exec_lo, s2
	v_mul_f32_e32 v4, v72, v5
                                        ; implicit-def: $vgpr126
	s_delay_alu instid0(VALU_DEP_1) | instskip(NEXT) | instid1(VALU_DEP_1)
	v_and_b32_e32 v2, 0x7f800000, v4
	v_cmp_ne_u32_e64 s1, 0x7f800000, v2
	s_delay_alu instid0(VALU_DEP_1) | instskip(NEXT) | instid1(SALU_CYCLE_1)
	s_and_saveexec_b32 s2, s1
	s_xor_b32 s1, exec_lo, s2
; %bb.377:                              ;   in Loop: Header=BB456_8 Depth=1
	v_bfe_u32 v2, v4, 16, 1
	s_delay_alu instid0(VALU_DEP_1)
	v_add3_u32 v126, v4, v2, 0x7fff
                                        ; implicit-def: $vgpr4
; %bb.378:                              ;   in Loop: Header=BB456_8 Depth=1
	s_and_not1_saveexec_b32 s2, s1
; %bb.379:                              ;   in Loop: Header=BB456_8 Depth=1
	v_and_b32_e32 v2, 0xffff, v4
	v_or_b32_e32 v3, 0x10000, v4
	s_delay_alu instid0(VALU_DEP_2) | instskip(NEXT) | instid1(VALU_DEP_1)
	v_cmp_eq_u32_e64 s1, 0, v2
	v_cndmask_b32_e64 v126, v3, v4, s1
; %bb.380:                              ;   in Loop: Header=BB456_8 Depth=1
	s_or_b32 exec_lo, exec_lo, s2
	v_mov_b32_e32 v5, 0
	s_mov_b32 s2, exec_lo
	v_cmpx_lt_u64_e64 s[8:9], v[30:31]
	s_cbranch_execz .LBB456_388
; %bb.381:                              ;   in Loop: Header=BB456_8 Depth=1
	v_lshrrev_b32_e32 v4, 24, v31
	v_bfrev_b32_e32 v5, 1
	s_mov_b32 s18, exec_lo
	s_delay_alu instid0(VALU_DEP_2)
	v_cmpx_ne_u32_e32 0x80, v4
	s_cbranch_execz .LBB456_387
; %bb.382:                              ;   in Loop: Header=BB456_8 Depth=1
	v_bfe_u32 v2, v31, 24, 7
	v_mov_b32_e32 v5, 0x7f800001
	s_mov_b32 s19, exec_lo
	s_delay_alu instid0(VALU_DEP_2)
	v_cmpx_ne_u32_e32 0x7f, v2
	s_cbranch_execz .LBB456_386
; %bb.383:                              ;   in Loop: Header=BB456_8 Depth=1
	v_and_b32_e32 v18, 7, v4
	v_lshrrev_b32_e32 v5, 3, v2
	s_mov_b32 s20, exec_lo
	v_cmpx_gt_u32_e32 8, v2
; %bb.384:                              ;   in Loop: Header=BB456_8 Depth=1
	s_delay_alu instid0(VALU_DEP_3) | instskip(NEXT) | instid1(VALU_DEP_1)
	v_clz_i32_u32_e32 v2, v18
	v_min_u32_e32 v5, 32, v2
	s_delay_alu instid0(VALU_DEP_1) | instskip(SKIP_1) | instid1(VALU_DEP_2)
	v_subrev_nc_u32_e32 v2, 28, v5
	v_sub_nc_u32_e32 v5, 29, v5
	v_lshlrev_b64 v[2:3], v2, v[18:19]
	s_delay_alu instid0(VALU_DEP_1)
	v_and_b32_e32 v18, 7, v2
; %bb.385:                              ;   in Loop: Header=BB456_8 Depth=1
	s_or_b32 exec_lo, exec_lo, s20
	v_lshlrev_b32_e32 v2, 24, v4
	s_delay_alu instid0(VALU_DEP_2) | instskip(SKIP_1) | instid1(VALU_DEP_3)
	v_lshlrev_b32_e32 v3, 20, v18
	v_lshl_add_u32 v4, v5, 23, 0x3c000000
	v_and_b32_e32 v2, 0x80000000, v2
	s_delay_alu instid0(VALU_DEP_1)
	v_or3_b32 v5, v3, v2, v4
.LBB456_386:                            ;   in Loop: Header=BB456_8 Depth=1
	s_or_b32 exec_lo, exec_lo, s19
.LBB456_387:                            ;   in Loop: Header=BB456_8 Depth=1
	s_delay_alu instid0(SALU_CYCLE_1)
	s_or_b32 exec_lo, exec_lo, s18
.LBB456_388:                            ;   in Loop: Header=BB456_8 Depth=1
	s_delay_alu instid0(SALU_CYCLE_1) | instskip(NEXT) | instid1(VALU_DEP_1)
	s_or_b32 exec_lo, exec_lo, s2
	v_mul_f32_e32 v4, v72, v5
                                        ; implicit-def: $vgpr127
	s_delay_alu instid0(VALU_DEP_1) | instskip(NEXT) | instid1(VALU_DEP_1)
	v_and_b32_e32 v2, 0x7f800000, v4
	v_cmp_ne_u32_e64 s1, 0x7f800000, v2
	s_delay_alu instid0(VALU_DEP_1) | instskip(NEXT) | instid1(SALU_CYCLE_1)
	s_and_saveexec_b32 s2, s1
	s_xor_b32 s1, exec_lo, s2
; %bb.389:                              ;   in Loop: Header=BB456_8 Depth=1
	v_bfe_u32 v2, v4, 16, 1
	s_delay_alu instid0(VALU_DEP_1)
	v_add3_u32 v127, v4, v2, 0x7fff
                                        ; implicit-def: $vgpr4
; %bb.390:                              ;   in Loop: Header=BB456_8 Depth=1
	s_and_not1_saveexec_b32 s2, s1
; %bb.391:                              ;   in Loop: Header=BB456_8 Depth=1
	v_and_b32_e32 v2, 0xffff, v4
	v_or_b32_e32 v3, 0x10000, v4
	s_delay_alu instid0(VALU_DEP_2) | instskip(NEXT) | instid1(VALU_DEP_1)
	v_cmp_eq_u32_e64 s1, 0, v2
	v_cndmask_b32_e64 v127, v3, v4, s1
; %bb.392:                              ;   in Loop: Header=BB456_8 Depth=1
	s_or_b32 exec_lo, exec_lo, s2
	flat_load_b64 v[30:31], v[28:29] offset:1024
	v_mov_b32_e32 v4, 0
	s_mov_b32 s2, exec_lo
	s_waitcnt vmcnt(0) lgkmcnt(0)
	v_and_b32_e32 v2, 0xff, v30
	s_delay_alu instid0(VALU_DEP_1)
	v_cmpx_ne_u16_e32 0, v2
	s_cbranch_execz .LBB456_400
; %bb.393:                              ;   in Loop: Header=BB456_8 Depth=1
	v_bfrev_b32_e32 v4, 1
	s_mov_b32 s18, exec_lo
	v_cmpx_ne_u16_e32 0x80, v2
	s_cbranch_execz .LBB456_399
; %bb.394:                              ;   in Loop: Header=BB456_8 Depth=1
	v_and_b32_e32 v3, 0x7f, v30
	v_mov_b32_e32 v4, 0x7f800001
	s_mov_b32 s19, exec_lo
	s_delay_alu instid0(VALU_DEP_2)
	v_cmpx_ne_u32_e32 0x7f, v3
	s_cbranch_execz .LBB456_398
; %bb.395:                              ;   in Loop: Header=BB456_8 Depth=1
	v_lshrrev_b32_e32 v2, 3, v3
	v_dual_mov_b32 v33, v31 :: v_dual_mov_b32 v32, v30
	s_mov_b32 s20, exec_lo
	v_cmpx_gt_u32_e32 8, v3
; %bb.396:                              ;   in Loop: Header=BB456_8 Depth=1
	v_and_b32_e32 v2, 7, v30
	s_delay_alu instid0(VALU_DEP_1) | instskip(NEXT) | instid1(VALU_DEP_1)
	v_clz_i32_u32_e32 v2, v2
	v_min_u32_e32 v2, 32, v2
	s_delay_alu instid0(VALU_DEP_1) | instskip(SKIP_1) | instid1(VALU_DEP_2)
	v_subrev_nc_u32_e32 v3, 28, v2
	v_sub_nc_u32_e32 v2, 29, v2
	v_lshlrev_b64 v[32:33], v3, v[30:31]
; %bb.397:                              ;   in Loop: Header=BB456_8 Depth=1
	s_or_b32 exec_lo, exec_lo, s20
	s_delay_alu instid0(VALU_DEP_1) | instskip(SKIP_2) | instid1(VALU_DEP_3)
	v_lshlrev_b32_e32 v3, 20, v32
	v_lshlrev_b32_e32 v4, 24, v30
	v_lshl_add_u32 v2, v2, 23, 0x3c000000
	v_and_b32_e32 v3, 0x700000, v3
	s_delay_alu instid0(VALU_DEP_3) | instskip(NEXT) | instid1(VALU_DEP_1)
	v_and_b32_e32 v4, 0x80000000, v4
	v_or3_b32 v4, v3, v4, v2
.LBB456_398:                            ;   in Loop: Header=BB456_8 Depth=1
	s_or_b32 exec_lo, exec_lo, s19
.LBB456_399:                            ;   in Loop: Header=BB456_8 Depth=1
	s_delay_alu instid0(SALU_CYCLE_1)
	s_or_b32 exec_lo, exec_lo, s18
.LBB456_400:                            ;   in Loop: Header=BB456_8 Depth=1
	s_delay_alu instid0(SALU_CYCLE_1) | instskip(NEXT) | instid1(VALU_DEP_1)
	s_or_b32 exec_lo, exec_lo, s2
	v_mul_f32_e32 v4, v72, v4
                                        ; implicit-def: $vgpr136
	s_delay_alu instid0(VALU_DEP_1) | instskip(NEXT) | instid1(VALU_DEP_1)
	v_and_b32_e32 v2, 0x7f800000, v4
	v_cmp_ne_u32_e64 s1, 0x7f800000, v2
	s_delay_alu instid0(VALU_DEP_1) | instskip(NEXT) | instid1(SALU_CYCLE_1)
	s_and_saveexec_b32 s2, s1
	s_xor_b32 s1, exec_lo, s2
; %bb.401:                              ;   in Loop: Header=BB456_8 Depth=1
	v_bfe_u32 v2, v4, 16, 1
	s_delay_alu instid0(VALU_DEP_1)
	v_add3_u32 v136, v4, v2, 0x7fff
                                        ; implicit-def: $vgpr4
; %bb.402:                              ;   in Loop: Header=BB456_8 Depth=1
	s_and_not1_saveexec_b32 s2, s1
; %bb.403:                              ;   in Loop: Header=BB456_8 Depth=1
	v_and_b32_e32 v2, 0xffff, v4
	v_or_b32_e32 v3, 0x10000, v4
	s_delay_alu instid0(VALU_DEP_2) | instskip(NEXT) | instid1(VALU_DEP_1)
	v_cmp_eq_u32_e64 s1, 0, v2
	v_cndmask_b32_e64 v136, v3, v4, s1
; %bb.404:                              ;   in Loop: Header=BB456_8 Depth=1
	s_or_b32 exec_lo, exec_lo, s2
	v_lshrrev_b16 v2, 8, v30
	v_mov_b32_e32 v4, 0
	s_mov_b32 s2, exec_lo
	s_delay_alu instid0(VALU_DEP_2)
	v_cmpx_ne_u16_e32 0, v2
	s_cbranch_execz .LBB456_412
; %bb.405:                              ;   in Loop: Header=BB456_8 Depth=1
	v_bfrev_b32_e32 v4, 1
	s_mov_b32 s18, exec_lo
	v_cmpx_ne_u16_e32 0x80, v2
	s_cbranch_execz .LBB456_411
; %bb.406:                              ;   in Loop: Header=BB456_8 Depth=1
	v_and_b32_e32 v3, 0xffff, v2
	v_mov_b32_e32 v4, 0x7f800001
	s_mov_b32 s19, exec_lo
	s_delay_alu instid0(VALU_DEP_2) | instskip(NEXT) | instid1(VALU_DEP_1)
	v_and_b32_e32 v2, 0x7f, v3
	v_cmpx_ne_u32_e32 0x7f, v2
	s_cbranch_execz .LBB456_410
; %bb.407:                              ;   in Loop: Header=BB456_8 Depth=1
	v_and_b32_e32 v18, 7, v3
	v_lshrrev_b32_e32 v4, 3, v2
	s_mov_b32 s20, exec_lo
	v_cmpx_gt_u32_e32 8, v2
; %bb.408:                              ;   in Loop: Header=BB456_8 Depth=1
	s_delay_alu instid0(VALU_DEP_3) | instskip(NEXT) | instid1(VALU_DEP_1)
	v_clz_i32_u32_e32 v2, v18
	v_min_u32_e32 v4, 32, v2
	s_delay_alu instid0(VALU_DEP_1) | instskip(SKIP_1) | instid1(VALU_DEP_2)
	v_subrev_nc_u32_e32 v2, 28, v4
	v_sub_nc_u32_e32 v4, 29, v4
	v_lshlrev_b64 v[2:3], v2, v[18:19]
	s_delay_alu instid0(VALU_DEP_1)
	v_and_b32_e32 v18, 7, v2
; %bb.409:                              ;   in Loop: Header=BB456_8 Depth=1
	s_or_b32 exec_lo, exec_lo, s20
	v_lshlrev_b32_e32 v2, 16, v30
	s_delay_alu instid0(VALU_DEP_2) | instskip(SKIP_1) | instid1(VALU_DEP_3)
	v_lshlrev_b32_e32 v3, 20, v18
	v_lshl_add_u32 v4, v4, 23, 0x3c000000
	v_and_b32_e32 v2, 0x80000000, v2
	s_delay_alu instid0(VALU_DEP_1)
	v_or3_b32 v4, v3, v2, v4
.LBB456_410:                            ;   in Loop: Header=BB456_8 Depth=1
	s_or_b32 exec_lo, exec_lo, s19
.LBB456_411:                            ;   in Loop: Header=BB456_8 Depth=1
	s_delay_alu instid0(SALU_CYCLE_1)
	s_or_b32 exec_lo, exec_lo, s18
.LBB456_412:                            ;   in Loop: Header=BB456_8 Depth=1
	s_delay_alu instid0(SALU_CYCLE_1) | instskip(NEXT) | instid1(VALU_DEP_1)
	s_or_b32 exec_lo, exec_lo, s2
	v_mul_f32_e32 v4, v72, v4
                                        ; implicit-def: $vgpr137
	s_delay_alu instid0(VALU_DEP_1) | instskip(NEXT) | instid1(VALU_DEP_1)
	v_and_b32_e32 v2, 0x7f800000, v4
	v_cmp_ne_u32_e64 s1, 0x7f800000, v2
	s_delay_alu instid0(VALU_DEP_1) | instskip(NEXT) | instid1(SALU_CYCLE_1)
	s_and_saveexec_b32 s2, s1
	s_xor_b32 s1, exec_lo, s2
; %bb.413:                              ;   in Loop: Header=BB456_8 Depth=1
	v_bfe_u32 v2, v4, 16, 1
	s_delay_alu instid0(VALU_DEP_1)
	v_add3_u32 v137, v4, v2, 0x7fff
                                        ; implicit-def: $vgpr4
; %bb.414:                              ;   in Loop: Header=BB456_8 Depth=1
	s_and_not1_saveexec_b32 s2, s1
; %bb.415:                              ;   in Loop: Header=BB456_8 Depth=1
	v_and_b32_e32 v2, 0xffff, v4
	v_or_b32_e32 v3, 0x10000, v4
	s_delay_alu instid0(VALU_DEP_2) | instskip(NEXT) | instid1(VALU_DEP_1)
	v_cmp_eq_u32_e64 s1, 0, v2
	v_cndmask_b32_e64 v137, v3, v4, s1
; %bb.416:                              ;   in Loop: Header=BB456_8 Depth=1
	s_or_b32 exec_lo, exec_lo, s2
	v_lshrrev_b32_e32 v4, 16, v30
	s_mov_b32 s2, exec_lo
	s_delay_alu instid0(VALU_DEP_1) | instskip(NEXT) | instid1(VALU_DEP_1)
	v_dual_mov_b32 v5, 0 :: v_dual_and_b32 v2, 0xff, v4
	v_cmpx_ne_u16_e32 0, v2
	s_cbranch_execz .LBB456_424
; %bb.417:                              ;   in Loop: Header=BB456_8 Depth=1
	v_bfrev_b32_e32 v5, 1
	s_mov_b32 s18, exec_lo
	v_cmpx_ne_u16_e32 0x80, v2
	s_cbranch_execz .LBB456_423
; %bb.418:                              ;   in Loop: Header=BB456_8 Depth=1
	v_bfe_u32 v2, v30, 16, 7
	v_mov_b32_e32 v5, 0x7f800001
	s_mov_b32 s19, exec_lo
	s_delay_alu instid0(VALU_DEP_2)
	v_cmpx_ne_u32_e32 0x7f, v2
	s_cbranch_execz .LBB456_422
; %bb.419:                              ;   in Loop: Header=BB456_8 Depth=1
	v_and_b32_e32 v18, 7, v4
	v_lshrrev_b32_e32 v5, 3, v2
	s_mov_b32 s20, exec_lo
	v_cmpx_gt_u32_e32 8, v2
; %bb.420:                              ;   in Loop: Header=BB456_8 Depth=1
	s_delay_alu instid0(VALU_DEP_3) | instskip(NEXT) | instid1(VALU_DEP_1)
	v_clz_i32_u32_e32 v2, v18
	v_min_u32_e32 v5, 32, v2
	s_delay_alu instid0(VALU_DEP_1) | instskip(SKIP_1) | instid1(VALU_DEP_2)
	v_subrev_nc_u32_e32 v2, 28, v5
	v_sub_nc_u32_e32 v5, 29, v5
	v_lshlrev_b64 v[2:3], v2, v[18:19]
	s_delay_alu instid0(VALU_DEP_1)
	v_and_b32_e32 v18, 7, v2
; %bb.421:                              ;   in Loop: Header=BB456_8 Depth=1
	s_or_b32 exec_lo, exec_lo, s20
	v_lshlrev_b32_e32 v2, 24, v4
	s_delay_alu instid0(VALU_DEP_2) | instskip(SKIP_1) | instid1(VALU_DEP_3)
	v_lshlrev_b32_e32 v3, 20, v18
	v_lshl_add_u32 v4, v5, 23, 0x3c000000
	v_and_b32_e32 v2, 0x80000000, v2
	s_delay_alu instid0(VALU_DEP_1)
	v_or3_b32 v5, v3, v2, v4
.LBB456_422:                            ;   in Loop: Header=BB456_8 Depth=1
	s_or_b32 exec_lo, exec_lo, s19
.LBB456_423:                            ;   in Loop: Header=BB456_8 Depth=1
	s_delay_alu instid0(SALU_CYCLE_1)
	s_or_b32 exec_lo, exec_lo, s18
.LBB456_424:                            ;   in Loop: Header=BB456_8 Depth=1
	s_delay_alu instid0(SALU_CYCLE_1) | instskip(NEXT) | instid1(VALU_DEP_1)
	s_or_b32 exec_lo, exec_lo, s2
	v_mul_f32_e32 v4, v72, v5
                                        ; implicit-def: $vgpr138
	s_delay_alu instid0(VALU_DEP_1) | instskip(NEXT) | instid1(VALU_DEP_1)
	v_and_b32_e32 v2, 0x7f800000, v4
	v_cmp_ne_u32_e64 s1, 0x7f800000, v2
	s_delay_alu instid0(VALU_DEP_1) | instskip(NEXT) | instid1(SALU_CYCLE_1)
	s_and_saveexec_b32 s2, s1
	s_xor_b32 s1, exec_lo, s2
; %bb.425:                              ;   in Loop: Header=BB456_8 Depth=1
	v_bfe_u32 v2, v4, 16, 1
	s_delay_alu instid0(VALU_DEP_1)
	v_add3_u32 v138, v4, v2, 0x7fff
                                        ; implicit-def: $vgpr4
; %bb.426:                              ;   in Loop: Header=BB456_8 Depth=1
	s_and_not1_saveexec_b32 s2, s1
; %bb.427:                              ;   in Loop: Header=BB456_8 Depth=1
	v_and_b32_e32 v2, 0xffff, v4
	v_or_b32_e32 v3, 0x10000, v4
	s_delay_alu instid0(VALU_DEP_2) | instskip(NEXT) | instid1(VALU_DEP_1)
	v_cmp_eq_u32_e64 s1, 0, v2
	v_cndmask_b32_e64 v138, v3, v4, s1
; %bb.428:                              ;   in Loop: Header=BB456_8 Depth=1
	s_or_b32 exec_lo, exec_lo, s2
	v_mov_b32_e32 v5, 0
	s_mov_b32 s2, exec_lo
	v_cmpx_lt_u32_e32 0xffffff, v30
	s_cbranch_execz .LBB456_436
; %bb.429:                              ;   in Loop: Header=BB456_8 Depth=1
	v_lshrrev_b32_e32 v4, 24, v30
	v_bfrev_b32_e32 v5, 1
	s_mov_b32 s18, exec_lo
	s_delay_alu instid0(VALU_DEP_2)
	v_cmpx_ne_u32_e32 0x80, v4
	s_cbranch_execz .LBB456_435
; %bb.430:                              ;   in Loop: Header=BB456_8 Depth=1
	v_bfe_u32 v2, v30, 24, 7
	v_mov_b32_e32 v5, 0x7f800001
	s_mov_b32 s19, exec_lo
	s_delay_alu instid0(VALU_DEP_2)
	v_cmpx_ne_u32_e32 0x7f, v2
	s_cbranch_execz .LBB456_434
; %bb.431:                              ;   in Loop: Header=BB456_8 Depth=1
	v_and_b32_e32 v18, 7, v4
	v_lshrrev_b32_e32 v5, 3, v2
	s_mov_b32 s20, exec_lo
	v_cmpx_gt_u32_e32 8, v2
; %bb.432:                              ;   in Loop: Header=BB456_8 Depth=1
	s_delay_alu instid0(VALU_DEP_3) | instskip(NEXT) | instid1(VALU_DEP_1)
	v_clz_i32_u32_e32 v2, v18
	v_min_u32_e32 v5, 32, v2
	s_delay_alu instid0(VALU_DEP_1) | instskip(SKIP_1) | instid1(VALU_DEP_2)
	v_subrev_nc_u32_e32 v2, 28, v5
	v_sub_nc_u32_e32 v5, 29, v5
	v_lshlrev_b64 v[2:3], v2, v[18:19]
	s_delay_alu instid0(VALU_DEP_1)
	v_and_b32_e32 v18, 7, v2
; %bb.433:                              ;   in Loop: Header=BB456_8 Depth=1
	s_or_b32 exec_lo, exec_lo, s20
	v_lshlrev_b32_e32 v2, 24, v4
	s_delay_alu instid0(VALU_DEP_2) | instskip(SKIP_1) | instid1(VALU_DEP_3)
	v_lshlrev_b32_e32 v3, 20, v18
	v_lshl_add_u32 v4, v5, 23, 0x3c000000
	v_and_b32_e32 v2, 0x80000000, v2
	s_delay_alu instid0(VALU_DEP_1)
	v_or3_b32 v5, v3, v2, v4
.LBB456_434:                            ;   in Loop: Header=BB456_8 Depth=1
	s_or_b32 exec_lo, exec_lo, s19
.LBB456_435:                            ;   in Loop: Header=BB456_8 Depth=1
	s_delay_alu instid0(SALU_CYCLE_1)
	s_or_b32 exec_lo, exec_lo, s18
.LBB456_436:                            ;   in Loop: Header=BB456_8 Depth=1
	s_delay_alu instid0(SALU_CYCLE_1) | instskip(NEXT) | instid1(VALU_DEP_1)
	s_or_b32 exec_lo, exec_lo, s2
	v_mul_f32_e32 v4, v72, v5
                                        ; implicit-def: $vgpr139
	s_delay_alu instid0(VALU_DEP_1) | instskip(NEXT) | instid1(VALU_DEP_1)
	v_and_b32_e32 v2, 0x7f800000, v4
	v_cmp_ne_u32_e64 s1, 0x7f800000, v2
	s_delay_alu instid0(VALU_DEP_1) | instskip(NEXT) | instid1(SALU_CYCLE_1)
	s_and_saveexec_b32 s2, s1
	s_xor_b32 s1, exec_lo, s2
; %bb.437:                              ;   in Loop: Header=BB456_8 Depth=1
	v_bfe_u32 v2, v4, 16, 1
	s_delay_alu instid0(VALU_DEP_1)
	v_add3_u32 v139, v4, v2, 0x7fff
                                        ; implicit-def: $vgpr4
; %bb.438:                              ;   in Loop: Header=BB456_8 Depth=1
	s_and_not1_saveexec_b32 s2, s1
; %bb.439:                              ;   in Loop: Header=BB456_8 Depth=1
	v_and_b32_e32 v2, 0xffff, v4
	v_or_b32_e32 v3, 0x10000, v4
	s_delay_alu instid0(VALU_DEP_2) | instskip(NEXT) | instid1(VALU_DEP_1)
	v_cmp_eq_u32_e64 s1, 0, v2
	v_cndmask_b32_e64 v139, v3, v4, s1
; %bb.440:                              ;   in Loop: Header=BB456_8 Depth=1
	s_or_b32 exec_lo, exec_lo, s2
	v_and_b32_e32 v2, 0xff, v31
	v_mov_b32_e32 v18, v31
	v_mov_b32_e32 v4, 0
	s_mov_b32 s2, exec_lo
	s_delay_alu instid0(VALU_DEP_3)
	v_cmpx_ne_u16_e32 0, v2
	s_cbranch_execz .LBB456_448
; %bb.441:                              ;   in Loop: Header=BB456_8 Depth=1
	v_bfrev_b32_e32 v4, 1
	s_mov_b32 s18, exec_lo
	v_cmpx_ne_u16_e32 0x80, v2
	s_cbranch_execz .LBB456_447
; %bb.442:                              ;   in Loop: Header=BB456_8 Depth=1
	v_and_b32_e32 v3, 0x7f, v31
	v_mov_b32_e32 v4, 0x7f800001
	s_mov_b32 s19, exec_lo
	s_delay_alu instid0(VALU_DEP_2)
	v_cmpx_ne_u32_e32 0x7f, v3
	s_cbranch_execz .LBB456_446
; %bb.443:                              ;   in Loop: Header=BB456_8 Depth=1
	v_lshrrev_b32_e32 v2, 3, v3
	v_dual_mov_b32 v33, v19 :: v_dual_mov_b32 v32, v18
	s_mov_b32 s20, exec_lo
	v_cmpx_gt_u32_e32 8, v3
; %bb.444:                              ;   in Loop: Header=BB456_8 Depth=1
	v_and_b32_e32 v2, 7, v31
	s_delay_alu instid0(VALU_DEP_1) | instskip(NEXT) | instid1(VALU_DEP_1)
	v_clz_i32_u32_e32 v2, v2
	v_min_u32_e32 v2, 32, v2
	s_delay_alu instid0(VALU_DEP_1) | instskip(SKIP_1) | instid1(VALU_DEP_2)
	v_subrev_nc_u32_e32 v3, 28, v2
	v_sub_nc_u32_e32 v2, 29, v2
	v_lshlrev_b64 v[32:33], v3, v[18:19]
; %bb.445:                              ;   in Loop: Header=BB456_8 Depth=1
	s_or_b32 exec_lo, exec_lo, s20
	s_delay_alu instid0(VALU_DEP_1) | instskip(SKIP_2) | instid1(VALU_DEP_3)
	v_lshlrev_b32_e32 v3, 20, v32
	v_lshlrev_b32_e32 v4, 24, v18
	v_lshl_add_u32 v2, v2, 23, 0x3c000000
	v_and_b32_e32 v3, 0x700000, v3
	s_delay_alu instid0(VALU_DEP_3) | instskip(NEXT) | instid1(VALU_DEP_1)
	v_and_b32_e32 v4, 0x80000000, v4
	v_or3_b32 v4, v3, v4, v2
.LBB456_446:                            ;   in Loop: Header=BB456_8 Depth=1
	s_or_b32 exec_lo, exec_lo, s19
.LBB456_447:                            ;   in Loop: Header=BB456_8 Depth=1
	s_delay_alu instid0(SALU_CYCLE_1)
	s_or_b32 exec_lo, exec_lo, s18
.LBB456_448:                            ;   in Loop: Header=BB456_8 Depth=1
	s_delay_alu instid0(SALU_CYCLE_1) | instskip(NEXT) | instid1(VALU_DEP_1)
	s_or_b32 exec_lo, exec_lo, s2
	v_mul_f32_e32 v4, v72, v4
                                        ; implicit-def: $vgpr140
	s_delay_alu instid0(VALU_DEP_1) | instskip(NEXT) | instid1(VALU_DEP_1)
	v_and_b32_e32 v2, 0x7f800000, v4
	v_cmp_ne_u32_e64 s1, 0x7f800000, v2
	s_delay_alu instid0(VALU_DEP_1) | instskip(NEXT) | instid1(SALU_CYCLE_1)
	s_and_saveexec_b32 s2, s1
	s_xor_b32 s1, exec_lo, s2
; %bb.449:                              ;   in Loop: Header=BB456_8 Depth=1
	v_bfe_u32 v2, v4, 16, 1
	s_delay_alu instid0(VALU_DEP_1)
	v_add3_u32 v140, v4, v2, 0x7fff
                                        ; implicit-def: $vgpr4
; %bb.450:                              ;   in Loop: Header=BB456_8 Depth=1
	s_and_not1_saveexec_b32 s2, s1
; %bb.451:                              ;   in Loop: Header=BB456_8 Depth=1
	v_and_b32_e32 v2, 0xffff, v4
	v_or_b32_e32 v3, 0x10000, v4
	s_delay_alu instid0(VALU_DEP_2) | instskip(NEXT) | instid1(VALU_DEP_1)
	v_cmp_eq_u32_e64 s1, 0, v2
	v_cndmask_b32_e64 v140, v3, v4, s1
; %bb.452:                              ;   in Loop: Header=BB456_8 Depth=1
	s_or_b32 exec_lo, exec_lo, s2
	v_lshrrev_b16 v2, 8, v18
	v_mov_b32_e32 v4, 0
	s_mov_b32 s2, exec_lo
	s_delay_alu instid0(VALU_DEP_2)
	v_cmpx_ne_u16_e32 0, v2
	s_cbranch_execz .LBB456_460
; %bb.453:                              ;   in Loop: Header=BB456_8 Depth=1
	v_bfrev_b32_e32 v4, 1
	s_mov_b32 s18, exec_lo
	v_cmpx_ne_u16_e32 0x80, v2
	s_cbranch_execz .LBB456_459
; %bb.454:                              ;   in Loop: Header=BB456_8 Depth=1
	v_and_b32_e32 v3, 0xffff, v2
	v_mov_b32_e32 v4, 0x7f800001
	s_mov_b32 s19, exec_lo
	s_delay_alu instid0(VALU_DEP_2) | instskip(NEXT) | instid1(VALU_DEP_1)
	v_and_b32_e32 v2, 0x7f, v3
	v_cmpx_ne_u32_e32 0x7f, v2
	s_cbranch_execz .LBB456_458
; %bb.455:                              ;   in Loop: Header=BB456_8 Depth=1
	v_dual_mov_b32 v33, v19 :: v_dual_and_b32 v32, 7, v3
	v_lshrrev_b32_e32 v4, 3, v2
	s_mov_b32 s20, exec_lo
	v_cmpx_gt_u32_e32 8, v2
; %bb.456:                              ;   in Loop: Header=BB456_8 Depth=1
	s_delay_alu instid0(VALU_DEP_3) | instskip(NEXT) | instid1(VALU_DEP_1)
	v_clz_i32_u32_e32 v2, v32
	v_min_u32_e32 v4, 32, v2
	s_delay_alu instid0(VALU_DEP_1) | instskip(SKIP_1) | instid1(VALU_DEP_2)
	v_subrev_nc_u32_e32 v2, 28, v4
	v_sub_nc_u32_e32 v4, 29, v4
	v_lshlrev_b64 v[2:3], v2, v[32:33]
	s_delay_alu instid0(VALU_DEP_1)
	v_and_b32_e32 v32, 7, v2
; %bb.457:                              ;   in Loop: Header=BB456_8 Depth=1
	s_or_b32 exec_lo, exec_lo, s20
	v_lshlrev_b32_e32 v2, 16, v18
	s_delay_alu instid0(VALU_DEP_2) | instskip(SKIP_1) | instid1(VALU_DEP_3)
	v_lshlrev_b32_e32 v3, 20, v32
	v_lshl_add_u32 v4, v4, 23, 0x3c000000
	v_and_b32_e32 v2, 0x80000000, v2
	s_delay_alu instid0(VALU_DEP_1)
	v_or3_b32 v4, v3, v2, v4
.LBB456_458:                            ;   in Loop: Header=BB456_8 Depth=1
	s_or_b32 exec_lo, exec_lo, s19
.LBB456_459:                            ;   in Loop: Header=BB456_8 Depth=1
	s_delay_alu instid0(SALU_CYCLE_1)
	s_or_b32 exec_lo, exec_lo, s18
.LBB456_460:                            ;   in Loop: Header=BB456_8 Depth=1
	s_delay_alu instid0(SALU_CYCLE_1) | instskip(NEXT) | instid1(VALU_DEP_1)
	s_or_b32 exec_lo, exec_lo, s2
	v_mul_f32_e32 v4, v72, v4
                                        ; implicit-def: $vgpr141
	s_delay_alu instid0(VALU_DEP_1) | instskip(NEXT) | instid1(VALU_DEP_1)
	v_and_b32_e32 v2, 0x7f800000, v4
	v_cmp_ne_u32_e64 s1, 0x7f800000, v2
	s_delay_alu instid0(VALU_DEP_1) | instskip(NEXT) | instid1(SALU_CYCLE_1)
	s_and_saveexec_b32 s2, s1
	s_xor_b32 s1, exec_lo, s2
; %bb.461:                              ;   in Loop: Header=BB456_8 Depth=1
	v_bfe_u32 v2, v4, 16, 1
	s_delay_alu instid0(VALU_DEP_1)
	v_add3_u32 v141, v4, v2, 0x7fff
                                        ; implicit-def: $vgpr4
; %bb.462:                              ;   in Loop: Header=BB456_8 Depth=1
	s_and_not1_saveexec_b32 s2, s1
; %bb.463:                              ;   in Loop: Header=BB456_8 Depth=1
	v_and_b32_e32 v2, 0xffff, v4
	v_or_b32_e32 v3, 0x10000, v4
	s_delay_alu instid0(VALU_DEP_2) | instskip(NEXT) | instid1(VALU_DEP_1)
	v_cmp_eq_u32_e64 s1, 0, v2
	v_cndmask_b32_e64 v141, v3, v4, s1
; %bb.464:                              ;   in Loop: Header=BB456_8 Depth=1
	s_or_b32 exec_lo, exec_lo, s2
	v_lshrrev_b32_e32 v4, 16, v31
	s_mov_b32 s2, exec_lo
	s_delay_alu instid0(VALU_DEP_1) | instskip(NEXT) | instid1(VALU_DEP_1)
	v_dual_mov_b32 v5, 0 :: v_dual_and_b32 v2, 0xff, v4
	v_cmpx_ne_u16_e32 0, v2
	s_cbranch_execz .LBB456_472
; %bb.465:                              ;   in Loop: Header=BB456_8 Depth=1
	v_bfrev_b32_e32 v5, 1
	s_mov_b32 s18, exec_lo
	v_cmpx_ne_u16_e32 0x80, v2
	s_cbranch_execz .LBB456_471
; %bb.466:                              ;   in Loop: Header=BB456_8 Depth=1
	v_bfe_u32 v2, v31, 16, 7
	v_mov_b32_e32 v5, 0x7f800001
	s_mov_b32 s19, exec_lo
	s_delay_alu instid0(VALU_DEP_2)
	v_cmpx_ne_u32_e32 0x7f, v2
	s_cbranch_execz .LBB456_470
; %bb.467:                              ;   in Loop: Header=BB456_8 Depth=1
	v_and_b32_e32 v18, 7, v4
	v_lshrrev_b32_e32 v5, 3, v2
	s_mov_b32 s20, exec_lo
	v_cmpx_gt_u32_e32 8, v2
; %bb.468:                              ;   in Loop: Header=BB456_8 Depth=1
	s_delay_alu instid0(VALU_DEP_3) | instskip(NEXT) | instid1(VALU_DEP_1)
	v_clz_i32_u32_e32 v2, v18
	v_min_u32_e32 v5, 32, v2
	s_delay_alu instid0(VALU_DEP_1) | instskip(SKIP_1) | instid1(VALU_DEP_2)
	v_subrev_nc_u32_e32 v2, 28, v5
	v_sub_nc_u32_e32 v5, 29, v5
	v_lshlrev_b64 v[2:3], v2, v[18:19]
	s_delay_alu instid0(VALU_DEP_1)
	v_and_b32_e32 v18, 7, v2
; %bb.469:                              ;   in Loop: Header=BB456_8 Depth=1
	s_or_b32 exec_lo, exec_lo, s20
	v_lshlrev_b32_e32 v2, 24, v4
	s_delay_alu instid0(VALU_DEP_2) | instskip(SKIP_1) | instid1(VALU_DEP_3)
	v_lshlrev_b32_e32 v3, 20, v18
	v_lshl_add_u32 v4, v5, 23, 0x3c000000
	v_and_b32_e32 v2, 0x80000000, v2
	s_delay_alu instid0(VALU_DEP_1)
	v_or3_b32 v5, v3, v2, v4
.LBB456_470:                            ;   in Loop: Header=BB456_8 Depth=1
	s_or_b32 exec_lo, exec_lo, s19
.LBB456_471:                            ;   in Loop: Header=BB456_8 Depth=1
	s_delay_alu instid0(SALU_CYCLE_1)
	s_or_b32 exec_lo, exec_lo, s18
.LBB456_472:                            ;   in Loop: Header=BB456_8 Depth=1
	s_delay_alu instid0(SALU_CYCLE_1) | instskip(NEXT) | instid1(VALU_DEP_1)
	s_or_b32 exec_lo, exec_lo, s2
	v_mul_f32_e32 v4, v72, v5
                                        ; implicit-def: $vgpr142
	s_delay_alu instid0(VALU_DEP_1) | instskip(NEXT) | instid1(VALU_DEP_1)
	v_and_b32_e32 v2, 0x7f800000, v4
	v_cmp_ne_u32_e64 s1, 0x7f800000, v2
	s_delay_alu instid0(VALU_DEP_1) | instskip(NEXT) | instid1(SALU_CYCLE_1)
	s_and_saveexec_b32 s2, s1
	s_xor_b32 s1, exec_lo, s2
; %bb.473:                              ;   in Loop: Header=BB456_8 Depth=1
	v_bfe_u32 v2, v4, 16, 1
	s_delay_alu instid0(VALU_DEP_1)
	v_add3_u32 v142, v4, v2, 0x7fff
                                        ; implicit-def: $vgpr4
; %bb.474:                              ;   in Loop: Header=BB456_8 Depth=1
	s_and_not1_saveexec_b32 s2, s1
; %bb.475:                              ;   in Loop: Header=BB456_8 Depth=1
	v_and_b32_e32 v2, 0xffff, v4
	v_or_b32_e32 v3, 0x10000, v4
	s_delay_alu instid0(VALU_DEP_2) | instskip(NEXT) | instid1(VALU_DEP_1)
	v_cmp_eq_u32_e64 s1, 0, v2
	v_cndmask_b32_e64 v142, v3, v4, s1
; %bb.476:                              ;   in Loop: Header=BB456_8 Depth=1
	s_or_b32 exec_lo, exec_lo, s2
	v_mov_b32_e32 v5, 0
	s_mov_b32 s2, exec_lo
	v_cmpx_lt_u64_e64 s[8:9], v[30:31]
	s_cbranch_execz .LBB456_484
; %bb.477:                              ;   in Loop: Header=BB456_8 Depth=1
	v_lshrrev_b32_e32 v4, 24, v31
	v_bfrev_b32_e32 v5, 1
	s_mov_b32 s18, exec_lo
	s_delay_alu instid0(VALU_DEP_2)
	v_cmpx_ne_u32_e32 0x80, v4
	s_cbranch_execz .LBB456_483
; %bb.478:                              ;   in Loop: Header=BB456_8 Depth=1
	v_bfe_u32 v2, v31, 24, 7
	v_mov_b32_e32 v5, 0x7f800001
	s_mov_b32 s19, exec_lo
	s_delay_alu instid0(VALU_DEP_2)
	v_cmpx_ne_u32_e32 0x7f, v2
	s_cbranch_execz .LBB456_482
; %bb.479:                              ;   in Loop: Header=BB456_8 Depth=1
	v_and_b32_e32 v18, 7, v4
	v_lshrrev_b32_e32 v5, 3, v2
	s_mov_b32 s20, exec_lo
	v_cmpx_gt_u32_e32 8, v2
; %bb.480:                              ;   in Loop: Header=BB456_8 Depth=1
	s_delay_alu instid0(VALU_DEP_3) | instskip(NEXT) | instid1(VALU_DEP_1)
	v_clz_i32_u32_e32 v2, v18
	v_min_u32_e32 v5, 32, v2
	s_delay_alu instid0(VALU_DEP_1) | instskip(SKIP_1) | instid1(VALU_DEP_2)
	v_subrev_nc_u32_e32 v2, 28, v5
	v_sub_nc_u32_e32 v5, 29, v5
	v_lshlrev_b64 v[2:3], v2, v[18:19]
	s_delay_alu instid0(VALU_DEP_1)
	v_and_b32_e32 v18, 7, v2
; %bb.481:                              ;   in Loop: Header=BB456_8 Depth=1
	s_or_b32 exec_lo, exec_lo, s20
	v_lshlrev_b32_e32 v2, 24, v4
	s_delay_alu instid0(VALU_DEP_2) | instskip(SKIP_1) | instid1(VALU_DEP_3)
	v_lshlrev_b32_e32 v3, 20, v18
	v_lshl_add_u32 v4, v5, 23, 0x3c000000
	v_and_b32_e32 v2, 0x80000000, v2
	s_delay_alu instid0(VALU_DEP_1)
	v_or3_b32 v5, v3, v2, v4
.LBB456_482:                            ;   in Loop: Header=BB456_8 Depth=1
	s_or_b32 exec_lo, exec_lo, s19
.LBB456_483:                            ;   in Loop: Header=BB456_8 Depth=1
	s_delay_alu instid0(SALU_CYCLE_1)
	s_or_b32 exec_lo, exec_lo, s18
.LBB456_484:                            ;   in Loop: Header=BB456_8 Depth=1
	s_delay_alu instid0(SALU_CYCLE_1) | instskip(NEXT) | instid1(VALU_DEP_1)
	s_or_b32 exec_lo, exec_lo, s2
	v_mul_f32_e32 v4, v72, v5
                                        ; implicit-def: $vgpr143
	s_delay_alu instid0(VALU_DEP_1) | instskip(NEXT) | instid1(VALU_DEP_1)
	v_and_b32_e32 v2, 0x7f800000, v4
	v_cmp_ne_u32_e64 s1, 0x7f800000, v2
	s_delay_alu instid0(VALU_DEP_1) | instskip(NEXT) | instid1(SALU_CYCLE_1)
	s_and_saveexec_b32 s2, s1
	s_xor_b32 s1, exec_lo, s2
; %bb.485:                              ;   in Loop: Header=BB456_8 Depth=1
	v_bfe_u32 v2, v4, 16, 1
	s_delay_alu instid0(VALU_DEP_1)
	v_add3_u32 v143, v4, v2, 0x7fff
                                        ; implicit-def: $vgpr4
; %bb.486:                              ;   in Loop: Header=BB456_8 Depth=1
	s_and_not1_saveexec_b32 s2, s1
; %bb.487:                              ;   in Loop: Header=BB456_8 Depth=1
	v_and_b32_e32 v2, 0xffff, v4
	v_or_b32_e32 v3, 0x10000, v4
	s_delay_alu instid0(VALU_DEP_2) | instskip(NEXT) | instid1(VALU_DEP_1)
	v_cmp_eq_u32_e64 s1, 0, v2
	v_cndmask_b32_e64 v143, v3, v4, s1
; %bb.488:                              ;   in Loop: Header=BB456_8 Depth=1
	s_or_b32 exec_lo, exec_lo, s2
	flat_load_b64 v[30:31], v[28:29] offset:1032
	v_mov_b32_e32 v4, 0
	s_mov_b32 s2, exec_lo
	s_waitcnt vmcnt(0) lgkmcnt(0)
	v_and_b32_e32 v2, 0xff, v30
	s_delay_alu instid0(VALU_DEP_1)
	v_cmpx_ne_u16_e32 0, v2
	s_cbranch_execz .LBB456_496
; %bb.489:                              ;   in Loop: Header=BB456_8 Depth=1
	v_bfrev_b32_e32 v4, 1
	s_mov_b32 s18, exec_lo
	v_cmpx_ne_u16_e32 0x80, v2
	s_cbranch_execz .LBB456_495
; %bb.490:                              ;   in Loop: Header=BB456_8 Depth=1
	v_and_b32_e32 v3, 0x7f, v30
	v_mov_b32_e32 v4, 0x7f800001
	s_mov_b32 s19, exec_lo
	s_delay_alu instid0(VALU_DEP_2)
	v_cmpx_ne_u32_e32 0x7f, v3
	s_cbranch_execz .LBB456_494
; %bb.491:                              ;   in Loop: Header=BB456_8 Depth=1
	v_lshrrev_b32_e32 v2, 3, v3
	v_dual_mov_b32 v33, v31 :: v_dual_mov_b32 v32, v30
	s_mov_b32 s20, exec_lo
	v_cmpx_gt_u32_e32 8, v3
; %bb.492:                              ;   in Loop: Header=BB456_8 Depth=1
	v_and_b32_e32 v2, 7, v30
	s_delay_alu instid0(VALU_DEP_1) | instskip(NEXT) | instid1(VALU_DEP_1)
	v_clz_i32_u32_e32 v2, v2
	v_min_u32_e32 v2, 32, v2
	s_delay_alu instid0(VALU_DEP_1) | instskip(SKIP_1) | instid1(VALU_DEP_2)
	v_subrev_nc_u32_e32 v3, 28, v2
	v_sub_nc_u32_e32 v2, 29, v2
	v_lshlrev_b64 v[32:33], v3, v[30:31]
; %bb.493:                              ;   in Loop: Header=BB456_8 Depth=1
	s_or_b32 exec_lo, exec_lo, s20
	s_delay_alu instid0(VALU_DEP_1) | instskip(SKIP_2) | instid1(VALU_DEP_3)
	v_lshlrev_b32_e32 v3, 20, v32
	v_lshlrev_b32_e32 v4, 24, v30
	v_lshl_add_u32 v2, v2, 23, 0x3c000000
	v_and_b32_e32 v3, 0x700000, v3
	s_delay_alu instid0(VALU_DEP_3) | instskip(NEXT) | instid1(VALU_DEP_1)
	v_and_b32_e32 v4, 0x80000000, v4
	v_or3_b32 v4, v3, v4, v2
.LBB456_494:                            ;   in Loop: Header=BB456_8 Depth=1
	s_or_b32 exec_lo, exec_lo, s19
.LBB456_495:                            ;   in Loop: Header=BB456_8 Depth=1
	s_delay_alu instid0(SALU_CYCLE_1)
	s_or_b32 exec_lo, exec_lo, s18
.LBB456_496:                            ;   in Loop: Header=BB456_8 Depth=1
	s_delay_alu instid0(SALU_CYCLE_1) | instskip(NEXT) | instid1(VALU_DEP_1)
	s_or_b32 exec_lo, exec_lo, s2
	v_mul_f32_e32 v4, v72, v4
                                        ; implicit-def: $vgpr152
	s_delay_alu instid0(VALU_DEP_1) | instskip(NEXT) | instid1(VALU_DEP_1)
	v_and_b32_e32 v2, 0x7f800000, v4
	v_cmp_ne_u32_e64 s1, 0x7f800000, v2
	s_delay_alu instid0(VALU_DEP_1) | instskip(NEXT) | instid1(SALU_CYCLE_1)
	s_and_saveexec_b32 s2, s1
	s_xor_b32 s1, exec_lo, s2
; %bb.497:                              ;   in Loop: Header=BB456_8 Depth=1
	v_bfe_u32 v2, v4, 16, 1
	s_delay_alu instid0(VALU_DEP_1)
	v_add3_u32 v152, v4, v2, 0x7fff
                                        ; implicit-def: $vgpr4
; %bb.498:                              ;   in Loop: Header=BB456_8 Depth=1
	s_and_not1_saveexec_b32 s2, s1
; %bb.499:                              ;   in Loop: Header=BB456_8 Depth=1
	v_and_b32_e32 v2, 0xffff, v4
	v_or_b32_e32 v3, 0x10000, v4
	s_delay_alu instid0(VALU_DEP_2) | instskip(NEXT) | instid1(VALU_DEP_1)
	v_cmp_eq_u32_e64 s1, 0, v2
	v_cndmask_b32_e64 v152, v3, v4, s1
; %bb.500:                              ;   in Loop: Header=BB456_8 Depth=1
	s_or_b32 exec_lo, exec_lo, s2
	v_lshrrev_b16 v2, 8, v30
	v_mov_b32_e32 v4, 0
	s_mov_b32 s2, exec_lo
	s_delay_alu instid0(VALU_DEP_2)
	v_cmpx_ne_u16_e32 0, v2
	s_cbranch_execz .LBB456_508
; %bb.501:                              ;   in Loop: Header=BB456_8 Depth=1
	v_bfrev_b32_e32 v4, 1
	s_mov_b32 s18, exec_lo
	v_cmpx_ne_u16_e32 0x80, v2
	s_cbranch_execz .LBB456_507
; %bb.502:                              ;   in Loop: Header=BB456_8 Depth=1
	v_and_b32_e32 v3, 0xffff, v2
	v_mov_b32_e32 v4, 0x7f800001
	s_mov_b32 s19, exec_lo
	s_delay_alu instid0(VALU_DEP_2) | instskip(NEXT) | instid1(VALU_DEP_1)
	v_and_b32_e32 v2, 0x7f, v3
	v_cmpx_ne_u32_e32 0x7f, v2
	s_cbranch_execz .LBB456_506
; %bb.503:                              ;   in Loop: Header=BB456_8 Depth=1
	v_and_b32_e32 v18, 7, v3
	v_lshrrev_b32_e32 v4, 3, v2
	s_mov_b32 s20, exec_lo
	v_cmpx_gt_u32_e32 8, v2
; %bb.504:                              ;   in Loop: Header=BB456_8 Depth=1
	s_delay_alu instid0(VALU_DEP_3) | instskip(NEXT) | instid1(VALU_DEP_1)
	v_clz_i32_u32_e32 v2, v18
	v_min_u32_e32 v4, 32, v2
	s_delay_alu instid0(VALU_DEP_1) | instskip(SKIP_1) | instid1(VALU_DEP_2)
	v_subrev_nc_u32_e32 v2, 28, v4
	v_sub_nc_u32_e32 v4, 29, v4
	v_lshlrev_b64 v[2:3], v2, v[18:19]
	s_delay_alu instid0(VALU_DEP_1)
	v_and_b32_e32 v18, 7, v2
; %bb.505:                              ;   in Loop: Header=BB456_8 Depth=1
	s_or_b32 exec_lo, exec_lo, s20
	v_lshlrev_b32_e32 v2, 16, v30
	s_delay_alu instid0(VALU_DEP_2) | instskip(SKIP_1) | instid1(VALU_DEP_3)
	v_lshlrev_b32_e32 v3, 20, v18
	v_lshl_add_u32 v4, v4, 23, 0x3c000000
	v_and_b32_e32 v2, 0x80000000, v2
	s_delay_alu instid0(VALU_DEP_1)
	v_or3_b32 v4, v3, v2, v4
.LBB456_506:                            ;   in Loop: Header=BB456_8 Depth=1
	s_or_b32 exec_lo, exec_lo, s19
.LBB456_507:                            ;   in Loop: Header=BB456_8 Depth=1
	s_delay_alu instid0(SALU_CYCLE_1)
	s_or_b32 exec_lo, exec_lo, s18
.LBB456_508:                            ;   in Loop: Header=BB456_8 Depth=1
	s_delay_alu instid0(SALU_CYCLE_1) | instskip(NEXT) | instid1(VALU_DEP_1)
	s_or_b32 exec_lo, exec_lo, s2
	v_mul_f32_e32 v4, v72, v4
                                        ; implicit-def: $vgpr153
	s_delay_alu instid0(VALU_DEP_1) | instskip(NEXT) | instid1(VALU_DEP_1)
	v_and_b32_e32 v2, 0x7f800000, v4
	v_cmp_ne_u32_e64 s1, 0x7f800000, v2
	s_delay_alu instid0(VALU_DEP_1) | instskip(NEXT) | instid1(SALU_CYCLE_1)
	s_and_saveexec_b32 s2, s1
	s_xor_b32 s1, exec_lo, s2
; %bb.509:                              ;   in Loop: Header=BB456_8 Depth=1
	v_bfe_u32 v2, v4, 16, 1
	s_delay_alu instid0(VALU_DEP_1)
	v_add3_u32 v153, v4, v2, 0x7fff
                                        ; implicit-def: $vgpr4
; %bb.510:                              ;   in Loop: Header=BB456_8 Depth=1
	s_and_not1_saveexec_b32 s2, s1
; %bb.511:                              ;   in Loop: Header=BB456_8 Depth=1
	v_and_b32_e32 v2, 0xffff, v4
	v_or_b32_e32 v3, 0x10000, v4
	s_delay_alu instid0(VALU_DEP_2) | instskip(NEXT) | instid1(VALU_DEP_1)
	v_cmp_eq_u32_e64 s1, 0, v2
	v_cndmask_b32_e64 v153, v3, v4, s1
; %bb.512:                              ;   in Loop: Header=BB456_8 Depth=1
	s_or_b32 exec_lo, exec_lo, s2
	v_lshrrev_b32_e32 v4, 16, v30
	s_mov_b32 s2, exec_lo
	s_delay_alu instid0(VALU_DEP_1) | instskip(NEXT) | instid1(VALU_DEP_1)
	v_dual_mov_b32 v5, 0 :: v_dual_and_b32 v2, 0xff, v4
	v_cmpx_ne_u16_e32 0, v2
	s_cbranch_execz .LBB456_520
; %bb.513:                              ;   in Loop: Header=BB456_8 Depth=1
	v_bfrev_b32_e32 v5, 1
	s_mov_b32 s18, exec_lo
	v_cmpx_ne_u16_e32 0x80, v2
	s_cbranch_execz .LBB456_519
; %bb.514:                              ;   in Loop: Header=BB456_8 Depth=1
	v_bfe_u32 v2, v30, 16, 7
	v_mov_b32_e32 v5, 0x7f800001
	s_mov_b32 s19, exec_lo
	s_delay_alu instid0(VALU_DEP_2)
	v_cmpx_ne_u32_e32 0x7f, v2
	s_cbranch_execz .LBB456_518
; %bb.515:                              ;   in Loop: Header=BB456_8 Depth=1
	v_and_b32_e32 v18, 7, v4
	v_lshrrev_b32_e32 v5, 3, v2
	s_mov_b32 s20, exec_lo
	v_cmpx_gt_u32_e32 8, v2
; %bb.516:                              ;   in Loop: Header=BB456_8 Depth=1
	s_delay_alu instid0(VALU_DEP_3) | instskip(NEXT) | instid1(VALU_DEP_1)
	v_clz_i32_u32_e32 v2, v18
	v_min_u32_e32 v5, 32, v2
	s_delay_alu instid0(VALU_DEP_1) | instskip(SKIP_1) | instid1(VALU_DEP_2)
	v_subrev_nc_u32_e32 v2, 28, v5
	v_sub_nc_u32_e32 v5, 29, v5
	v_lshlrev_b64 v[2:3], v2, v[18:19]
	s_delay_alu instid0(VALU_DEP_1)
	v_and_b32_e32 v18, 7, v2
; %bb.517:                              ;   in Loop: Header=BB456_8 Depth=1
	s_or_b32 exec_lo, exec_lo, s20
	v_lshlrev_b32_e32 v2, 24, v4
	s_delay_alu instid0(VALU_DEP_2) | instskip(SKIP_1) | instid1(VALU_DEP_3)
	v_lshlrev_b32_e32 v3, 20, v18
	v_lshl_add_u32 v4, v5, 23, 0x3c000000
	v_and_b32_e32 v2, 0x80000000, v2
	s_delay_alu instid0(VALU_DEP_1)
	v_or3_b32 v5, v3, v2, v4
.LBB456_518:                            ;   in Loop: Header=BB456_8 Depth=1
	s_or_b32 exec_lo, exec_lo, s19
.LBB456_519:                            ;   in Loop: Header=BB456_8 Depth=1
	s_delay_alu instid0(SALU_CYCLE_1)
	s_or_b32 exec_lo, exec_lo, s18
.LBB456_520:                            ;   in Loop: Header=BB456_8 Depth=1
	s_delay_alu instid0(SALU_CYCLE_1) | instskip(NEXT) | instid1(VALU_DEP_1)
	s_or_b32 exec_lo, exec_lo, s2
	v_mul_f32_e32 v4, v72, v5
                                        ; implicit-def: $vgpr154
	s_delay_alu instid0(VALU_DEP_1) | instskip(NEXT) | instid1(VALU_DEP_1)
	v_and_b32_e32 v2, 0x7f800000, v4
	v_cmp_ne_u32_e64 s1, 0x7f800000, v2
	s_delay_alu instid0(VALU_DEP_1) | instskip(NEXT) | instid1(SALU_CYCLE_1)
	s_and_saveexec_b32 s2, s1
	s_xor_b32 s1, exec_lo, s2
; %bb.521:                              ;   in Loop: Header=BB456_8 Depth=1
	v_bfe_u32 v2, v4, 16, 1
	s_delay_alu instid0(VALU_DEP_1)
	v_add3_u32 v154, v4, v2, 0x7fff
                                        ; implicit-def: $vgpr4
; %bb.522:                              ;   in Loop: Header=BB456_8 Depth=1
	s_and_not1_saveexec_b32 s2, s1
; %bb.523:                              ;   in Loop: Header=BB456_8 Depth=1
	v_and_b32_e32 v2, 0xffff, v4
	v_or_b32_e32 v3, 0x10000, v4
	s_delay_alu instid0(VALU_DEP_2) | instskip(NEXT) | instid1(VALU_DEP_1)
	v_cmp_eq_u32_e64 s1, 0, v2
	v_cndmask_b32_e64 v154, v3, v4, s1
; %bb.524:                              ;   in Loop: Header=BB456_8 Depth=1
	s_or_b32 exec_lo, exec_lo, s2
	v_mov_b32_e32 v5, 0
	s_mov_b32 s2, exec_lo
	v_cmpx_lt_u32_e32 0xffffff, v30
	s_cbranch_execz .LBB456_532
; %bb.525:                              ;   in Loop: Header=BB456_8 Depth=1
	v_lshrrev_b32_e32 v4, 24, v30
	v_bfrev_b32_e32 v5, 1
	s_mov_b32 s18, exec_lo
	s_delay_alu instid0(VALU_DEP_2)
	v_cmpx_ne_u32_e32 0x80, v4
	s_cbranch_execz .LBB456_531
; %bb.526:                              ;   in Loop: Header=BB456_8 Depth=1
	v_bfe_u32 v2, v30, 24, 7
	v_mov_b32_e32 v5, 0x7f800001
	s_mov_b32 s19, exec_lo
	s_delay_alu instid0(VALU_DEP_2)
	v_cmpx_ne_u32_e32 0x7f, v2
	s_cbranch_execz .LBB456_530
; %bb.527:                              ;   in Loop: Header=BB456_8 Depth=1
	v_and_b32_e32 v18, 7, v4
	v_lshrrev_b32_e32 v5, 3, v2
	s_mov_b32 s20, exec_lo
	v_cmpx_gt_u32_e32 8, v2
; %bb.528:                              ;   in Loop: Header=BB456_8 Depth=1
	s_delay_alu instid0(VALU_DEP_3) | instskip(NEXT) | instid1(VALU_DEP_1)
	v_clz_i32_u32_e32 v2, v18
	v_min_u32_e32 v5, 32, v2
	s_delay_alu instid0(VALU_DEP_1) | instskip(SKIP_1) | instid1(VALU_DEP_2)
	v_subrev_nc_u32_e32 v2, 28, v5
	v_sub_nc_u32_e32 v5, 29, v5
	v_lshlrev_b64 v[2:3], v2, v[18:19]
	s_delay_alu instid0(VALU_DEP_1)
	v_and_b32_e32 v18, 7, v2
; %bb.529:                              ;   in Loop: Header=BB456_8 Depth=1
	s_or_b32 exec_lo, exec_lo, s20
	v_lshlrev_b32_e32 v2, 24, v4
	s_delay_alu instid0(VALU_DEP_2) | instskip(SKIP_1) | instid1(VALU_DEP_3)
	v_lshlrev_b32_e32 v3, 20, v18
	v_lshl_add_u32 v4, v5, 23, 0x3c000000
	v_and_b32_e32 v2, 0x80000000, v2
	s_delay_alu instid0(VALU_DEP_1)
	v_or3_b32 v5, v3, v2, v4
.LBB456_530:                            ;   in Loop: Header=BB456_8 Depth=1
	s_or_b32 exec_lo, exec_lo, s19
.LBB456_531:                            ;   in Loop: Header=BB456_8 Depth=1
	s_delay_alu instid0(SALU_CYCLE_1)
	s_or_b32 exec_lo, exec_lo, s18
.LBB456_532:                            ;   in Loop: Header=BB456_8 Depth=1
	s_delay_alu instid0(SALU_CYCLE_1) | instskip(NEXT) | instid1(VALU_DEP_1)
	s_or_b32 exec_lo, exec_lo, s2
	v_mul_f32_e32 v4, v72, v5
                                        ; implicit-def: $vgpr155
	s_delay_alu instid0(VALU_DEP_1) | instskip(NEXT) | instid1(VALU_DEP_1)
	v_and_b32_e32 v2, 0x7f800000, v4
	v_cmp_ne_u32_e64 s1, 0x7f800000, v2
	s_delay_alu instid0(VALU_DEP_1) | instskip(NEXT) | instid1(SALU_CYCLE_1)
	s_and_saveexec_b32 s2, s1
	s_xor_b32 s1, exec_lo, s2
; %bb.533:                              ;   in Loop: Header=BB456_8 Depth=1
	v_bfe_u32 v2, v4, 16, 1
	s_delay_alu instid0(VALU_DEP_1)
	v_add3_u32 v155, v4, v2, 0x7fff
                                        ; implicit-def: $vgpr4
; %bb.534:                              ;   in Loop: Header=BB456_8 Depth=1
	s_and_not1_saveexec_b32 s2, s1
; %bb.535:                              ;   in Loop: Header=BB456_8 Depth=1
	v_and_b32_e32 v2, 0xffff, v4
	v_or_b32_e32 v3, 0x10000, v4
	s_delay_alu instid0(VALU_DEP_2) | instskip(NEXT) | instid1(VALU_DEP_1)
	v_cmp_eq_u32_e64 s1, 0, v2
	v_cndmask_b32_e64 v155, v3, v4, s1
; %bb.536:                              ;   in Loop: Header=BB456_8 Depth=1
	s_or_b32 exec_lo, exec_lo, s2
	v_and_b32_e32 v2, 0xff, v31
	v_mov_b32_e32 v18, v31
	v_mov_b32_e32 v4, 0
	s_mov_b32 s2, exec_lo
	s_delay_alu instid0(VALU_DEP_3)
	v_cmpx_ne_u16_e32 0, v2
	s_cbranch_execz .LBB456_544
; %bb.537:                              ;   in Loop: Header=BB456_8 Depth=1
	v_bfrev_b32_e32 v4, 1
	s_mov_b32 s18, exec_lo
	v_cmpx_ne_u16_e32 0x80, v2
	s_cbranch_execz .LBB456_543
; %bb.538:                              ;   in Loop: Header=BB456_8 Depth=1
	v_and_b32_e32 v3, 0x7f, v31
	v_mov_b32_e32 v4, 0x7f800001
	s_mov_b32 s19, exec_lo
	s_delay_alu instid0(VALU_DEP_2)
	v_cmpx_ne_u32_e32 0x7f, v3
	s_cbranch_execz .LBB456_542
; %bb.539:                              ;   in Loop: Header=BB456_8 Depth=1
	v_lshrrev_b32_e32 v2, 3, v3
	v_dual_mov_b32 v33, v19 :: v_dual_mov_b32 v32, v18
	s_mov_b32 s20, exec_lo
	v_cmpx_gt_u32_e32 8, v3
; %bb.540:                              ;   in Loop: Header=BB456_8 Depth=1
	v_and_b32_e32 v2, 7, v31
	s_delay_alu instid0(VALU_DEP_1) | instskip(NEXT) | instid1(VALU_DEP_1)
	v_clz_i32_u32_e32 v2, v2
	v_min_u32_e32 v2, 32, v2
	s_delay_alu instid0(VALU_DEP_1) | instskip(SKIP_1) | instid1(VALU_DEP_2)
	v_subrev_nc_u32_e32 v3, 28, v2
	v_sub_nc_u32_e32 v2, 29, v2
	v_lshlrev_b64 v[32:33], v3, v[18:19]
; %bb.541:                              ;   in Loop: Header=BB456_8 Depth=1
	s_or_b32 exec_lo, exec_lo, s20
	s_delay_alu instid0(VALU_DEP_1) | instskip(SKIP_2) | instid1(VALU_DEP_3)
	v_lshlrev_b32_e32 v3, 20, v32
	v_lshlrev_b32_e32 v4, 24, v18
	v_lshl_add_u32 v2, v2, 23, 0x3c000000
	v_and_b32_e32 v3, 0x700000, v3
	s_delay_alu instid0(VALU_DEP_3) | instskip(NEXT) | instid1(VALU_DEP_1)
	v_and_b32_e32 v4, 0x80000000, v4
	v_or3_b32 v4, v3, v4, v2
.LBB456_542:                            ;   in Loop: Header=BB456_8 Depth=1
	s_or_b32 exec_lo, exec_lo, s19
.LBB456_543:                            ;   in Loop: Header=BB456_8 Depth=1
	s_delay_alu instid0(SALU_CYCLE_1)
	s_or_b32 exec_lo, exec_lo, s18
.LBB456_544:                            ;   in Loop: Header=BB456_8 Depth=1
	s_delay_alu instid0(SALU_CYCLE_1) | instskip(NEXT) | instid1(VALU_DEP_1)
	s_or_b32 exec_lo, exec_lo, s2
	v_mul_f32_e32 v4, v72, v4
                                        ; implicit-def: $vgpr156
	s_delay_alu instid0(VALU_DEP_1) | instskip(NEXT) | instid1(VALU_DEP_1)
	v_and_b32_e32 v2, 0x7f800000, v4
	v_cmp_ne_u32_e64 s1, 0x7f800000, v2
	s_delay_alu instid0(VALU_DEP_1) | instskip(NEXT) | instid1(SALU_CYCLE_1)
	s_and_saveexec_b32 s2, s1
	s_xor_b32 s1, exec_lo, s2
; %bb.545:                              ;   in Loop: Header=BB456_8 Depth=1
	v_bfe_u32 v2, v4, 16, 1
	s_delay_alu instid0(VALU_DEP_1)
	v_add3_u32 v156, v4, v2, 0x7fff
                                        ; implicit-def: $vgpr4
; %bb.546:                              ;   in Loop: Header=BB456_8 Depth=1
	s_and_not1_saveexec_b32 s2, s1
; %bb.547:                              ;   in Loop: Header=BB456_8 Depth=1
	v_and_b32_e32 v2, 0xffff, v4
	v_or_b32_e32 v3, 0x10000, v4
	s_delay_alu instid0(VALU_DEP_2) | instskip(NEXT) | instid1(VALU_DEP_1)
	v_cmp_eq_u32_e64 s1, 0, v2
	v_cndmask_b32_e64 v156, v3, v4, s1
; %bb.548:                              ;   in Loop: Header=BB456_8 Depth=1
	s_or_b32 exec_lo, exec_lo, s2
	v_lshrrev_b16 v2, 8, v18
	v_mov_b32_e32 v4, 0
	s_mov_b32 s2, exec_lo
	s_delay_alu instid0(VALU_DEP_2)
	v_cmpx_ne_u16_e32 0, v2
	s_cbranch_execz .LBB456_556
; %bb.549:                              ;   in Loop: Header=BB456_8 Depth=1
	v_bfrev_b32_e32 v4, 1
	s_mov_b32 s18, exec_lo
	v_cmpx_ne_u16_e32 0x80, v2
	s_cbranch_execz .LBB456_555
; %bb.550:                              ;   in Loop: Header=BB456_8 Depth=1
	v_and_b32_e32 v3, 0xffff, v2
	v_mov_b32_e32 v4, 0x7f800001
	s_mov_b32 s19, exec_lo
	s_delay_alu instid0(VALU_DEP_2) | instskip(NEXT) | instid1(VALU_DEP_1)
	v_and_b32_e32 v2, 0x7f, v3
	v_cmpx_ne_u32_e32 0x7f, v2
	s_cbranch_execz .LBB456_554
; %bb.551:                              ;   in Loop: Header=BB456_8 Depth=1
	v_dual_mov_b32 v33, v19 :: v_dual_and_b32 v32, 7, v3
	v_lshrrev_b32_e32 v4, 3, v2
	s_mov_b32 s20, exec_lo
	v_cmpx_gt_u32_e32 8, v2
; %bb.552:                              ;   in Loop: Header=BB456_8 Depth=1
	s_delay_alu instid0(VALU_DEP_3) | instskip(NEXT) | instid1(VALU_DEP_1)
	v_clz_i32_u32_e32 v2, v32
	v_min_u32_e32 v4, 32, v2
	s_delay_alu instid0(VALU_DEP_1) | instskip(SKIP_1) | instid1(VALU_DEP_2)
	v_subrev_nc_u32_e32 v2, 28, v4
	v_sub_nc_u32_e32 v4, 29, v4
	v_lshlrev_b64 v[2:3], v2, v[32:33]
	s_delay_alu instid0(VALU_DEP_1)
	v_and_b32_e32 v32, 7, v2
; %bb.553:                              ;   in Loop: Header=BB456_8 Depth=1
	s_or_b32 exec_lo, exec_lo, s20
	v_lshlrev_b32_e32 v2, 16, v18
	s_delay_alu instid0(VALU_DEP_2) | instskip(SKIP_1) | instid1(VALU_DEP_3)
	v_lshlrev_b32_e32 v3, 20, v32
	v_lshl_add_u32 v4, v4, 23, 0x3c000000
	v_and_b32_e32 v2, 0x80000000, v2
	s_delay_alu instid0(VALU_DEP_1)
	v_or3_b32 v4, v3, v2, v4
.LBB456_554:                            ;   in Loop: Header=BB456_8 Depth=1
	s_or_b32 exec_lo, exec_lo, s19
.LBB456_555:                            ;   in Loop: Header=BB456_8 Depth=1
	s_delay_alu instid0(SALU_CYCLE_1)
	s_or_b32 exec_lo, exec_lo, s18
.LBB456_556:                            ;   in Loop: Header=BB456_8 Depth=1
	s_delay_alu instid0(SALU_CYCLE_1) | instskip(NEXT) | instid1(VALU_DEP_1)
	s_or_b32 exec_lo, exec_lo, s2
	v_mul_f32_e32 v4, v72, v4
                                        ; implicit-def: $vgpr157
	s_delay_alu instid0(VALU_DEP_1) | instskip(NEXT) | instid1(VALU_DEP_1)
	v_and_b32_e32 v2, 0x7f800000, v4
	v_cmp_ne_u32_e64 s1, 0x7f800000, v2
	s_delay_alu instid0(VALU_DEP_1) | instskip(NEXT) | instid1(SALU_CYCLE_1)
	s_and_saveexec_b32 s2, s1
	s_xor_b32 s1, exec_lo, s2
; %bb.557:                              ;   in Loop: Header=BB456_8 Depth=1
	v_bfe_u32 v2, v4, 16, 1
	s_delay_alu instid0(VALU_DEP_1)
	v_add3_u32 v157, v4, v2, 0x7fff
                                        ; implicit-def: $vgpr4
; %bb.558:                              ;   in Loop: Header=BB456_8 Depth=1
	s_and_not1_saveexec_b32 s2, s1
; %bb.559:                              ;   in Loop: Header=BB456_8 Depth=1
	v_and_b32_e32 v2, 0xffff, v4
	v_or_b32_e32 v3, 0x10000, v4
	s_delay_alu instid0(VALU_DEP_2) | instskip(NEXT) | instid1(VALU_DEP_1)
	v_cmp_eq_u32_e64 s1, 0, v2
	v_cndmask_b32_e64 v157, v3, v4, s1
; %bb.560:                              ;   in Loop: Header=BB456_8 Depth=1
	s_or_b32 exec_lo, exec_lo, s2
	v_lshrrev_b32_e32 v4, 16, v31
	s_mov_b32 s2, exec_lo
	s_delay_alu instid0(VALU_DEP_1) | instskip(NEXT) | instid1(VALU_DEP_1)
	v_dual_mov_b32 v5, 0 :: v_dual_and_b32 v2, 0xff, v4
	v_cmpx_ne_u16_e32 0, v2
	s_cbranch_execz .LBB456_568
; %bb.561:                              ;   in Loop: Header=BB456_8 Depth=1
	v_bfrev_b32_e32 v5, 1
	s_mov_b32 s18, exec_lo
	v_cmpx_ne_u16_e32 0x80, v2
	s_cbranch_execz .LBB456_567
; %bb.562:                              ;   in Loop: Header=BB456_8 Depth=1
	v_bfe_u32 v2, v31, 16, 7
	v_mov_b32_e32 v5, 0x7f800001
	s_mov_b32 s19, exec_lo
	s_delay_alu instid0(VALU_DEP_2)
	v_cmpx_ne_u32_e32 0x7f, v2
	s_cbranch_execz .LBB456_566
; %bb.563:                              ;   in Loop: Header=BB456_8 Depth=1
	v_and_b32_e32 v18, 7, v4
	v_lshrrev_b32_e32 v5, 3, v2
	s_mov_b32 s20, exec_lo
	v_cmpx_gt_u32_e32 8, v2
; %bb.564:                              ;   in Loop: Header=BB456_8 Depth=1
	s_delay_alu instid0(VALU_DEP_3) | instskip(NEXT) | instid1(VALU_DEP_1)
	v_clz_i32_u32_e32 v2, v18
	v_min_u32_e32 v5, 32, v2
	s_delay_alu instid0(VALU_DEP_1) | instskip(SKIP_1) | instid1(VALU_DEP_2)
	v_subrev_nc_u32_e32 v2, 28, v5
	v_sub_nc_u32_e32 v5, 29, v5
	v_lshlrev_b64 v[2:3], v2, v[18:19]
	s_delay_alu instid0(VALU_DEP_1)
	v_and_b32_e32 v18, 7, v2
; %bb.565:                              ;   in Loop: Header=BB456_8 Depth=1
	s_or_b32 exec_lo, exec_lo, s20
	v_lshlrev_b32_e32 v2, 24, v4
	s_delay_alu instid0(VALU_DEP_2) | instskip(SKIP_1) | instid1(VALU_DEP_3)
	v_lshlrev_b32_e32 v3, 20, v18
	v_lshl_add_u32 v4, v5, 23, 0x3c000000
	v_and_b32_e32 v2, 0x80000000, v2
	s_delay_alu instid0(VALU_DEP_1)
	v_or3_b32 v5, v3, v2, v4
.LBB456_566:                            ;   in Loop: Header=BB456_8 Depth=1
	s_or_b32 exec_lo, exec_lo, s19
.LBB456_567:                            ;   in Loop: Header=BB456_8 Depth=1
	s_delay_alu instid0(SALU_CYCLE_1)
	s_or_b32 exec_lo, exec_lo, s18
.LBB456_568:                            ;   in Loop: Header=BB456_8 Depth=1
	s_delay_alu instid0(SALU_CYCLE_1) | instskip(NEXT) | instid1(VALU_DEP_1)
	s_or_b32 exec_lo, exec_lo, s2
	v_mul_f32_e32 v4, v72, v5
                                        ; implicit-def: $vgpr158
	s_delay_alu instid0(VALU_DEP_1) | instskip(NEXT) | instid1(VALU_DEP_1)
	v_and_b32_e32 v2, 0x7f800000, v4
	v_cmp_ne_u32_e64 s1, 0x7f800000, v2
	s_delay_alu instid0(VALU_DEP_1) | instskip(NEXT) | instid1(SALU_CYCLE_1)
	s_and_saveexec_b32 s2, s1
	s_xor_b32 s1, exec_lo, s2
; %bb.569:                              ;   in Loop: Header=BB456_8 Depth=1
	v_bfe_u32 v2, v4, 16, 1
	s_delay_alu instid0(VALU_DEP_1)
	v_add3_u32 v158, v4, v2, 0x7fff
                                        ; implicit-def: $vgpr4
; %bb.570:                              ;   in Loop: Header=BB456_8 Depth=1
	s_and_not1_saveexec_b32 s2, s1
; %bb.571:                              ;   in Loop: Header=BB456_8 Depth=1
	v_and_b32_e32 v2, 0xffff, v4
	v_or_b32_e32 v3, 0x10000, v4
	s_delay_alu instid0(VALU_DEP_2) | instskip(NEXT) | instid1(VALU_DEP_1)
	v_cmp_eq_u32_e64 s1, 0, v2
	v_cndmask_b32_e64 v158, v3, v4, s1
; %bb.572:                              ;   in Loop: Header=BB456_8 Depth=1
	s_or_b32 exec_lo, exec_lo, s2
	v_mov_b32_e32 v5, 0
	s_mov_b32 s2, exec_lo
	v_cmpx_lt_u64_e64 s[8:9], v[30:31]
	s_cbranch_execz .LBB456_580
; %bb.573:                              ;   in Loop: Header=BB456_8 Depth=1
	v_lshrrev_b32_e32 v4, 24, v31
	v_bfrev_b32_e32 v5, 1
	s_mov_b32 s18, exec_lo
	s_delay_alu instid0(VALU_DEP_2)
	v_cmpx_ne_u32_e32 0x80, v4
	s_cbranch_execz .LBB456_579
; %bb.574:                              ;   in Loop: Header=BB456_8 Depth=1
	v_bfe_u32 v2, v31, 24, 7
	v_mov_b32_e32 v5, 0x7f800001
	s_mov_b32 s19, exec_lo
	s_delay_alu instid0(VALU_DEP_2)
	v_cmpx_ne_u32_e32 0x7f, v2
	s_cbranch_execz .LBB456_578
; %bb.575:                              ;   in Loop: Header=BB456_8 Depth=1
	v_and_b32_e32 v18, 7, v4
	v_lshrrev_b32_e32 v5, 3, v2
	s_mov_b32 s20, exec_lo
	v_cmpx_gt_u32_e32 8, v2
; %bb.576:                              ;   in Loop: Header=BB456_8 Depth=1
	s_delay_alu instid0(VALU_DEP_3) | instskip(NEXT) | instid1(VALU_DEP_1)
	v_clz_i32_u32_e32 v2, v18
	v_min_u32_e32 v5, 32, v2
	s_delay_alu instid0(VALU_DEP_1) | instskip(SKIP_1) | instid1(VALU_DEP_2)
	v_subrev_nc_u32_e32 v2, 28, v5
	v_sub_nc_u32_e32 v5, 29, v5
	v_lshlrev_b64 v[2:3], v2, v[18:19]
	s_delay_alu instid0(VALU_DEP_1)
	v_and_b32_e32 v18, 7, v2
; %bb.577:                              ;   in Loop: Header=BB456_8 Depth=1
	s_or_b32 exec_lo, exec_lo, s20
	v_lshlrev_b32_e32 v2, 24, v4
	s_delay_alu instid0(VALU_DEP_2) | instskip(SKIP_1) | instid1(VALU_DEP_3)
	v_lshlrev_b32_e32 v3, 20, v18
	v_lshl_add_u32 v4, v5, 23, 0x3c000000
	v_and_b32_e32 v2, 0x80000000, v2
	s_delay_alu instid0(VALU_DEP_1)
	v_or3_b32 v5, v3, v2, v4
.LBB456_578:                            ;   in Loop: Header=BB456_8 Depth=1
	s_or_b32 exec_lo, exec_lo, s19
.LBB456_579:                            ;   in Loop: Header=BB456_8 Depth=1
	s_delay_alu instid0(SALU_CYCLE_1)
	s_or_b32 exec_lo, exec_lo, s18
.LBB456_580:                            ;   in Loop: Header=BB456_8 Depth=1
	s_delay_alu instid0(SALU_CYCLE_1) | instskip(NEXT) | instid1(VALU_DEP_1)
	s_or_b32 exec_lo, exec_lo, s2
	v_mul_f32_e32 v4, v72, v5
                                        ; implicit-def: $vgpr159
	s_delay_alu instid0(VALU_DEP_1) | instskip(NEXT) | instid1(VALU_DEP_1)
	v_and_b32_e32 v2, 0x7f800000, v4
	v_cmp_ne_u32_e64 s1, 0x7f800000, v2
	s_delay_alu instid0(VALU_DEP_1) | instskip(NEXT) | instid1(SALU_CYCLE_1)
	s_and_saveexec_b32 s2, s1
	s_xor_b32 s1, exec_lo, s2
; %bb.581:                              ;   in Loop: Header=BB456_8 Depth=1
	v_bfe_u32 v2, v4, 16, 1
	s_delay_alu instid0(VALU_DEP_1)
	v_add3_u32 v159, v4, v2, 0x7fff
                                        ; implicit-def: $vgpr4
; %bb.582:                              ;   in Loop: Header=BB456_8 Depth=1
	s_and_not1_saveexec_b32 s2, s1
; %bb.583:                              ;   in Loop: Header=BB456_8 Depth=1
	v_and_b32_e32 v2, 0xffff, v4
	v_or_b32_e32 v3, 0x10000, v4
	s_delay_alu instid0(VALU_DEP_2) | instskip(NEXT) | instid1(VALU_DEP_1)
	v_cmp_eq_u32_e64 s1, 0, v2
	v_cndmask_b32_e64 v159, v3, v4, s1
; %bb.584:                              ;   in Loop: Header=BB456_8 Depth=1
	s_or_b32 exec_lo, exec_lo, s2
	flat_load_b64 v[30:31], v[28:29] offset:1536
	v_mov_b32_e32 v4, 0
	s_mov_b32 s2, exec_lo
	s_waitcnt vmcnt(0) lgkmcnt(0)
	v_and_b32_e32 v2, 0xff, v30
	s_delay_alu instid0(VALU_DEP_1)
	v_cmpx_ne_u16_e32 0, v2
	s_cbranch_execz .LBB456_592
; %bb.585:                              ;   in Loop: Header=BB456_8 Depth=1
	v_bfrev_b32_e32 v4, 1
	s_mov_b32 s18, exec_lo
	v_cmpx_ne_u16_e32 0x80, v2
	s_cbranch_execz .LBB456_591
; %bb.586:                              ;   in Loop: Header=BB456_8 Depth=1
	v_and_b32_e32 v3, 0x7f, v30
	v_mov_b32_e32 v4, 0x7f800001
	s_mov_b32 s19, exec_lo
	s_delay_alu instid0(VALU_DEP_2)
	v_cmpx_ne_u32_e32 0x7f, v3
	s_cbranch_execz .LBB456_590
; %bb.587:                              ;   in Loop: Header=BB456_8 Depth=1
	v_lshrrev_b32_e32 v2, 3, v3
	v_dual_mov_b32 v33, v31 :: v_dual_mov_b32 v32, v30
	s_mov_b32 s20, exec_lo
	v_cmpx_gt_u32_e32 8, v3
; %bb.588:                              ;   in Loop: Header=BB456_8 Depth=1
	v_and_b32_e32 v2, 7, v30
	s_delay_alu instid0(VALU_DEP_1) | instskip(NEXT) | instid1(VALU_DEP_1)
	v_clz_i32_u32_e32 v2, v2
	v_min_u32_e32 v2, 32, v2
	s_delay_alu instid0(VALU_DEP_1) | instskip(SKIP_1) | instid1(VALU_DEP_2)
	v_subrev_nc_u32_e32 v3, 28, v2
	v_sub_nc_u32_e32 v2, 29, v2
	v_lshlrev_b64 v[32:33], v3, v[30:31]
; %bb.589:                              ;   in Loop: Header=BB456_8 Depth=1
	s_or_b32 exec_lo, exec_lo, s20
	s_delay_alu instid0(VALU_DEP_1) | instskip(SKIP_2) | instid1(VALU_DEP_3)
	v_lshlrev_b32_e32 v3, 20, v32
	v_lshlrev_b32_e32 v4, 24, v30
	v_lshl_add_u32 v2, v2, 23, 0x3c000000
	v_and_b32_e32 v3, 0x700000, v3
	s_delay_alu instid0(VALU_DEP_3) | instskip(NEXT) | instid1(VALU_DEP_1)
	v_and_b32_e32 v4, 0x80000000, v4
	v_or3_b32 v4, v3, v4, v2
.LBB456_590:                            ;   in Loop: Header=BB456_8 Depth=1
	s_or_b32 exec_lo, exec_lo, s19
.LBB456_591:                            ;   in Loop: Header=BB456_8 Depth=1
	s_delay_alu instid0(SALU_CYCLE_1)
	s_or_b32 exec_lo, exec_lo, s18
.LBB456_592:                            ;   in Loop: Header=BB456_8 Depth=1
	s_delay_alu instid0(SALU_CYCLE_1) | instskip(NEXT) | instid1(VALU_DEP_1)
	s_or_b32 exec_lo, exec_lo, s2
	v_mul_f32_e32 v4, v72, v4
                                        ; implicit-def: $vgpr168
	s_delay_alu instid0(VALU_DEP_1) | instskip(NEXT) | instid1(VALU_DEP_1)
	v_and_b32_e32 v2, 0x7f800000, v4
	v_cmp_ne_u32_e64 s1, 0x7f800000, v2
	s_delay_alu instid0(VALU_DEP_1) | instskip(NEXT) | instid1(SALU_CYCLE_1)
	s_and_saveexec_b32 s2, s1
	s_xor_b32 s1, exec_lo, s2
; %bb.593:                              ;   in Loop: Header=BB456_8 Depth=1
	v_bfe_u32 v2, v4, 16, 1
	s_delay_alu instid0(VALU_DEP_1)
	v_add3_u32 v168, v4, v2, 0x7fff
                                        ; implicit-def: $vgpr4
; %bb.594:                              ;   in Loop: Header=BB456_8 Depth=1
	s_and_not1_saveexec_b32 s2, s1
; %bb.595:                              ;   in Loop: Header=BB456_8 Depth=1
	v_and_b32_e32 v2, 0xffff, v4
	v_or_b32_e32 v3, 0x10000, v4
	s_delay_alu instid0(VALU_DEP_2) | instskip(NEXT) | instid1(VALU_DEP_1)
	v_cmp_eq_u32_e64 s1, 0, v2
	v_cndmask_b32_e64 v168, v3, v4, s1
; %bb.596:                              ;   in Loop: Header=BB456_8 Depth=1
	s_or_b32 exec_lo, exec_lo, s2
	v_lshrrev_b16 v2, 8, v30
	v_mov_b32_e32 v4, 0
	s_mov_b32 s2, exec_lo
	s_delay_alu instid0(VALU_DEP_2)
	v_cmpx_ne_u16_e32 0, v2
	s_cbranch_execz .LBB456_604
; %bb.597:                              ;   in Loop: Header=BB456_8 Depth=1
	v_bfrev_b32_e32 v4, 1
	s_mov_b32 s18, exec_lo
	v_cmpx_ne_u16_e32 0x80, v2
	s_cbranch_execz .LBB456_603
; %bb.598:                              ;   in Loop: Header=BB456_8 Depth=1
	v_and_b32_e32 v3, 0xffff, v2
	v_mov_b32_e32 v4, 0x7f800001
	s_mov_b32 s19, exec_lo
	s_delay_alu instid0(VALU_DEP_2) | instskip(NEXT) | instid1(VALU_DEP_1)
	v_and_b32_e32 v2, 0x7f, v3
	v_cmpx_ne_u32_e32 0x7f, v2
	s_cbranch_execz .LBB456_602
; %bb.599:                              ;   in Loop: Header=BB456_8 Depth=1
	v_and_b32_e32 v18, 7, v3
	v_lshrrev_b32_e32 v4, 3, v2
	s_mov_b32 s20, exec_lo
	v_cmpx_gt_u32_e32 8, v2
; %bb.600:                              ;   in Loop: Header=BB456_8 Depth=1
	s_delay_alu instid0(VALU_DEP_3) | instskip(NEXT) | instid1(VALU_DEP_1)
	v_clz_i32_u32_e32 v2, v18
	v_min_u32_e32 v4, 32, v2
	s_delay_alu instid0(VALU_DEP_1) | instskip(SKIP_1) | instid1(VALU_DEP_2)
	v_subrev_nc_u32_e32 v2, 28, v4
	v_sub_nc_u32_e32 v4, 29, v4
	v_lshlrev_b64 v[2:3], v2, v[18:19]
	s_delay_alu instid0(VALU_DEP_1)
	v_and_b32_e32 v18, 7, v2
; %bb.601:                              ;   in Loop: Header=BB456_8 Depth=1
	s_or_b32 exec_lo, exec_lo, s20
	v_lshlrev_b32_e32 v2, 16, v30
	s_delay_alu instid0(VALU_DEP_2) | instskip(SKIP_1) | instid1(VALU_DEP_3)
	v_lshlrev_b32_e32 v3, 20, v18
	v_lshl_add_u32 v4, v4, 23, 0x3c000000
	v_and_b32_e32 v2, 0x80000000, v2
	s_delay_alu instid0(VALU_DEP_1)
	v_or3_b32 v4, v3, v2, v4
.LBB456_602:                            ;   in Loop: Header=BB456_8 Depth=1
	s_or_b32 exec_lo, exec_lo, s19
.LBB456_603:                            ;   in Loop: Header=BB456_8 Depth=1
	s_delay_alu instid0(SALU_CYCLE_1)
	s_or_b32 exec_lo, exec_lo, s18
.LBB456_604:                            ;   in Loop: Header=BB456_8 Depth=1
	s_delay_alu instid0(SALU_CYCLE_1) | instskip(NEXT) | instid1(VALU_DEP_1)
	s_or_b32 exec_lo, exec_lo, s2
	v_mul_f32_e32 v4, v72, v4
                                        ; implicit-def: $vgpr169
	s_delay_alu instid0(VALU_DEP_1) | instskip(NEXT) | instid1(VALU_DEP_1)
	v_and_b32_e32 v2, 0x7f800000, v4
	v_cmp_ne_u32_e64 s1, 0x7f800000, v2
	s_delay_alu instid0(VALU_DEP_1) | instskip(NEXT) | instid1(SALU_CYCLE_1)
	s_and_saveexec_b32 s2, s1
	s_xor_b32 s1, exec_lo, s2
; %bb.605:                              ;   in Loop: Header=BB456_8 Depth=1
	v_bfe_u32 v2, v4, 16, 1
	s_delay_alu instid0(VALU_DEP_1)
	v_add3_u32 v169, v4, v2, 0x7fff
                                        ; implicit-def: $vgpr4
; %bb.606:                              ;   in Loop: Header=BB456_8 Depth=1
	s_and_not1_saveexec_b32 s2, s1
; %bb.607:                              ;   in Loop: Header=BB456_8 Depth=1
	v_and_b32_e32 v2, 0xffff, v4
	v_or_b32_e32 v3, 0x10000, v4
	s_delay_alu instid0(VALU_DEP_2) | instskip(NEXT) | instid1(VALU_DEP_1)
	v_cmp_eq_u32_e64 s1, 0, v2
	v_cndmask_b32_e64 v169, v3, v4, s1
; %bb.608:                              ;   in Loop: Header=BB456_8 Depth=1
	s_or_b32 exec_lo, exec_lo, s2
	v_lshrrev_b32_e32 v4, 16, v30
	s_mov_b32 s2, exec_lo
	s_delay_alu instid0(VALU_DEP_1) | instskip(NEXT) | instid1(VALU_DEP_1)
	v_dual_mov_b32 v5, 0 :: v_dual_and_b32 v2, 0xff, v4
	v_cmpx_ne_u16_e32 0, v2
	s_cbranch_execz .LBB456_616
; %bb.609:                              ;   in Loop: Header=BB456_8 Depth=1
	v_bfrev_b32_e32 v5, 1
	s_mov_b32 s18, exec_lo
	v_cmpx_ne_u16_e32 0x80, v2
	s_cbranch_execz .LBB456_615
; %bb.610:                              ;   in Loop: Header=BB456_8 Depth=1
	v_bfe_u32 v2, v30, 16, 7
	v_mov_b32_e32 v5, 0x7f800001
	s_mov_b32 s19, exec_lo
	s_delay_alu instid0(VALU_DEP_2)
	v_cmpx_ne_u32_e32 0x7f, v2
	s_cbranch_execz .LBB456_614
; %bb.611:                              ;   in Loop: Header=BB456_8 Depth=1
	v_and_b32_e32 v18, 7, v4
	v_lshrrev_b32_e32 v5, 3, v2
	s_mov_b32 s20, exec_lo
	v_cmpx_gt_u32_e32 8, v2
; %bb.612:                              ;   in Loop: Header=BB456_8 Depth=1
	s_delay_alu instid0(VALU_DEP_3) | instskip(NEXT) | instid1(VALU_DEP_1)
	v_clz_i32_u32_e32 v2, v18
	v_min_u32_e32 v5, 32, v2
	s_delay_alu instid0(VALU_DEP_1) | instskip(SKIP_1) | instid1(VALU_DEP_2)
	v_subrev_nc_u32_e32 v2, 28, v5
	v_sub_nc_u32_e32 v5, 29, v5
	v_lshlrev_b64 v[2:3], v2, v[18:19]
	s_delay_alu instid0(VALU_DEP_1)
	v_and_b32_e32 v18, 7, v2
; %bb.613:                              ;   in Loop: Header=BB456_8 Depth=1
	s_or_b32 exec_lo, exec_lo, s20
	v_lshlrev_b32_e32 v2, 24, v4
	s_delay_alu instid0(VALU_DEP_2) | instskip(SKIP_1) | instid1(VALU_DEP_3)
	v_lshlrev_b32_e32 v3, 20, v18
	v_lshl_add_u32 v4, v5, 23, 0x3c000000
	v_and_b32_e32 v2, 0x80000000, v2
	s_delay_alu instid0(VALU_DEP_1)
	v_or3_b32 v5, v3, v2, v4
.LBB456_614:                            ;   in Loop: Header=BB456_8 Depth=1
	s_or_b32 exec_lo, exec_lo, s19
.LBB456_615:                            ;   in Loop: Header=BB456_8 Depth=1
	s_delay_alu instid0(SALU_CYCLE_1)
	s_or_b32 exec_lo, exec_lo, s18
.LBB456_616:                            ;   in Loop: Header=BB456_8 Depth=1
	s_delay_alu instid0(SALU_CYCLE_1) | instskip(NEXT) | instid1(VALU_DEP_1)
	s_or_b32 exec_lo, exec_lo, s2
	v_mul_f32_e32 v4, v72, v5
                                        ; implicit-def: $vgpr170
	s_delay_alu instid0(VALU_DEP_1) | instskip(NEXT) | instid1(VALU_DEP_1)
	v_and_b32_e32 v2, 0x7f800000, v4
	v_cmp_ne_u32_e64 s1, 0x7f800000, v2
	s_delay_alu instid0(VALU_DEP_1) | instskip(NEXT) | instid1(SALU_CYCLE_1)
	s_and_saveexec_b32 s2, s1
	s_xor_b32 s1, exec_lo, s2
; %bb.617:                              ;   in Loop: Header=BB456_8 Depth=1
	v_bfe_u32 v2, v4, 16, 1
	s_delay_alu instid0(VALU_DEP_1)
	v_add3_u32 v170, v4, v2, 0x7fff
                                        ; implicit-def: $vgpr4
; %bb.618:                              ;   in Loop: Header=BB456_8 Depth=1
	s_and_not1_saveexec_b32 s2, s1
; %bb.619:                              ;   in Loop: Header=BB456_8 Depth=1
	v_and_b32_e32 v2, 0xffff, v4
	v_or_b32_e32 v3, 0x10000, v4
	s_delay_alu instid0(VALU_DEP_2) | instskip(NEXT) | instid1(VALU_DEP_1)
	v_cmp_eq_u32_e64 s1, 0, v2
	v_cndmask_b32_e64 v170, v3, v4, s1
; %bb.620:                              ;   in Loop: Header=BB456_8 Depth=1
	s_or_b32 exec_lo, exec_lo, s2
	v_mov_b32_e32 v5, 0
	s_mov_b32 s2, exec_lo
	v_cmpx_lt_u32_e32 0xffffff, v30
	s_cbranch_execz .LBB456_628
; %bb.621:                              ;   in Loop: Header=BB456_8 Depth=1
	v_lshrrev_b32_e32 v4, 24, v30
	v_bfrev_b32_e32 v5, 1
	s_mov_b32 s18, exec_lo
	s_delay_alu instid0(VALU_DEP_2)
	v_cmpx_ne_u32_e32 0x80, v4
	s_cbranch_execz .LBB456_627
; %bb.622:                              ;   in Loop: Header=BB456_8 Depth=1
	v_bfe_u32 v2, v30, 24, 7
	v_mov_b32_e32 v5, 0x7f800001
	s_mov_b32 s19, exec_lo
	s_delay_alu instid0(VALU_DEP_2)
	v_cmpx_ne_u32_e32 0x7f, v2
	s_cbranch_execz .LBB456_626
; %bb.623:                              ;   in Loop: Header=BB456_8 Depth=1
	v_and_b32_e32 v18, 7, v4
	v_lshrrev_b32_e32 v5, 3, v2
	s_mov_b32 s20, exec_lo
	v_cmpx_gt_u32_e32 8, v2
; %bb.624:                              ;   in Loop: Header=BB456_8 Depth=1
	s_delay_alu instid0(VALU_DEP_3) | instskip(NEXT) | instid1(VALU_DEP_1)
	v_clz_i32_u32_e32 v2, v18
	v_min_u32_e32 v5, 32, v2
	s_delay_alu instid0(VALU_DEP_1) | instskip(SKIP_1) | instid1(VALU_DEP_2)
	v_subrev_nc_u32_e32 v2, 28, v5
	v_sub_nc_u32_e32 v5, 29, v5
	v_lshlrev_b64 v[2:3], v2, v[18:19]
	s_delay_alu instid0(VALU_DEP_1)
	v_and_b32_e32 v18, 7, v2
; %bb.625:                              ;   in Loop: Header=BB456_8 Depth=1
	s_or_b32 exec_lo, exec_lo, s20
	v_lshlrev_b32_e32 v2, 24, v4
	s_delay_alu instid0(VALU_DEP_2) | instskip(SKIP_1) | instid1(VALU_DEP_3)
	v_lshlrev_b32_e32 v3, 20, v18
	v_lshl_add_u32 v4, v5, 23, 0x3c000000
	v_and_b32_e32 v2, 0x80000000, v2
	s_delay_alu instid0(VALU_DEP_1)
	v_or3_b32 v5, v3, v2, v4
.LBB456_626:                            ;   in Loop: Header=BB456_8 Depth=1
	s_or_b32 exec_lo, exec_lo, s19
.LBB456_627:                            ;   in Loop: Header=BB456_8 Depth=1
	s_delay_alu instid0(SALU_CYCLE_1)
	s_or_b32 exec_lo, exec_lo, s18
.LBB456_628:                            ;   in Loop: Header=BB456_8 Depth=1
	s_delay_alu instid0(SALU_CYCLE_1) | instskip(NEXT) | instid1(VALU_DEP_1)
	s_or_b32 exec_lo, exec_lo, s2
	v_mul_f32_e32 v4, v72, v5
                                        ; implicit-def: $vgpr171
	s_delay_alu instid0(VALU_DEP_1) | instskip(NEXT) | instid1(VALU_DEP_1)
	v_and_b32_e32 v2, 0x7f800000, v4
	v_cmp_ne_u32_e64 s1, 0x7f800000, v2
	s_delay_alu instid0(VALU_DEP_1) | instskip(NEXT) | instid1(SALU_CYCLE_1)
	s_and_saveexec_b32 s2, s1
	s_xor_b32 s1, exec_lo, s2
; %bb.629:                              ;   in Loop: Header=BB456_8 Depth=1
	v_bfe_u32 v2, v4, 16, 1
	s_delay_alu instid0(VALU_DEP_1)
	v_add3_u32 v171, v4, v2, 0x7fff
                                        ; implicit-def: $vgpr4
; %bb.630:                              ;   in Loop: Header=BB456_8 Depth=1
	s_and_not1_saveexec_b32 s2, s1
; %bb.631:                              ;   in Loop: Header=BB456_8 Depth=1
	v_and_b32_e32 v2, 0xffff, v4
	v_or_b32_e32 v3, 0x10000, v4
	s_delay_alu instid0(VALU_DEP_2) | instskip(NEXT) | instid1(VALU_DEP_1)
	v_cmp_eq_u32_e64 s1, 0, v2
	v_cndmask_b32_e64 v171, v3, v4, s1
; %bb.632:                              ;   in Loop: Header=BB456_8 Depth=1
	s_or_b32 exec_lo, exec_lo, s2
	v_and_b32_e32 v2, 0xff, v31
	v_mov_b32_e32 v18, v31
	v_mov_b32_e32 v4, 0
	s_mov_b32 s2, exec_lo
	s_delay_alu instid0(VALU_DEP_3)
	v_cmpx_ne_u16_e32 0, v2
	s_cbranch_execz .LBB456_640
; %bb.633:                              ;   in Loop: Header=BB456_8 Depth=1
	v_bfrev_b32_e32 v4, 1
	s_mov_b32 s18, exec_lo
	v_cmpx_ne_u16_e32 0x80, v2
	s_cbranch_execz .LBB456_639
; %bb.634:                              ;   in Loop: Header=BB456_8 Depth=1
	v_and_b32_e32 v3, 0x7f, v31
	v_mov_b32_e32 v4, 0x7f800001
	s_mov_b32 s19, exec_lo
	s_delay_alu instid0(VALU_DEP_2)
	v_cmpx_ne_u32_e32 0x7f, v3
	s_cbranch_execz .LBB456_638
; %bb.635:                              ;   in Loop: Header=BB456_8 Depth=1
	v_lshrrev_b32_e32 v2, 3, v3
	v_dual_mov_b32 v33, v19 :: v_dual_mov_b32 v32, v18
	s_mov_b32 s20, exec_lo
	v_cmpx_gt_u32_e32 8, v3
; %bb.636:                              ;   in Loop: Header=BB456_8 Depth=1
	v_and_b32_e32 v2, 7, v31
	s_delay_alu instid0(VALU_DEP_1) | instskip(NEXT) | instid1(VALU_DEP_1)
	v_clz_i32_u32_e32 v2, v2
	v_min_u32_e32 v2, 32, v2
	s_delay_alu instid0(VALU_DEP_1) | instskip(SKIP_1) | instid1(VALU_DEP_2)
	v_subrev_nc_u32_e32 v3, 28, v2
	v_sub_nc_u32_e32 v2, 29, v2
	v_lshlrev_b64 v[32:33], v3, v[18:19]
; %bb.637:                              ;   in Loop: Header=BB456_8 Depth=1
	s_or_b32 exec_lo, exec_lo, s20
	s_delay_alu instid0(VALU_DEP_1) | instskip(SKIP_2) | instid1(VALU_DEP_3)
	v_lshlrev_b32_e32 v3, 20, v32
	v_lshlrev_b32_e32 v4, 24, v18
	v_lshl_add_u32 v2, v2, 23, 0x3c000000
	v_and_b32_e32 v3, 0x700000, v3
	s_delay_alu instid0(VALU_DEP_3) | instskip(NEXT) | instid1(VALU_DEP_1)
	v_and_b32_e32 v4, 0x80000000, v4
	v_or3_b32 v4, v3, v4, v2
.LBB456_638:                            ;   in Loop: Header=BB456_8 Depth=1
	s_or_b32 exec_lo, exec_lo, s19
.LBB456_639:                            ;   in Loop: Header=BB456_8 Depth=1
	s_delay_alu instid0(SALU_CYCLE_1)
	s_or_b32 exec_lo, exec_lo, s18
.LBB456_640:                            ;   in Loop: Header=BB456_8 Depth=1
	s_delay_alu instid0(SALU_CYCLE_1) | instskip(NEXT) | instid1(VALU_DEP_1)
	s_or_b32 exec_lo, exec_lo, s2
	v_mul_f32_e32 v4, v72, v4
                                        ; implicit-def: $vgpr172
	s_delay_alu instid0(VALU_DEP_1) | instskip(NEXT) | instid1(VALU_DEP_1)
	v_and_b32_e32 v2, 0x7f800000, v4
	v_cmp_ne_u32_e64 s1, 0x7f800000, v2
	s_delay_alu instid0(VALU_DEP_1) | instskip(NEXT) | instid1(SALU_CYCLE_1)
	s_and_saveexec_b32 s2, s1
	s_xor_b32 s1, exec_lo, s2
; %bb.641:                              ;   in Loop: Header=BB456_8 Depth=1
	v_bfe_u32 v2, v4, 16, 1
	s_delay_alu instid0(VALU_DEP_1)
	v_add3_u32 v172, v4, v2, 0x7fff
                                        ; implicit-def: $vgpr4
; %bb.642:                              ;   in Loop: Header=BB456_8 Depth=1
	s_and_not1_saveexec_b32 s2, s1
; %bb.643:                              ;   in Loop: Header=BB456_8 Depth=1
	v_and_b32_e32 v2, 0xffff, v4
	v_or_b32_e32 v3, 0x10000, v4
	s_delay_alu instid0(VALU_DEP_2) | instskip(NEXT) | instid1(VALU_DEP_1)
	v_cmp_eq_u32_e64 s1, 0, v2
	v_cndmask_b32_e64 v172, v3, v4, s1
; %bb.644:                              ;   in Loop: Header=BB456_8 Depth=1
	s_or_b32 exec_lo, exec_lo, s2
	v_lshrrev_b16 v2, 8, v18
	v_mov_b32_e32 v4, 0
	s_mov_b32 s2, exec_lo
	s_delay_alu instid0(VALU_DEP_2)
	v_cmpx_ne_u16_e32 0, v2
	s_cbranch_execz .LBB456_652
; %bb.645:                              ;   in Loop: Header=BB456_8 Depth=1
	v_bfrev_b32_e32 v4, 1
	s_mov_b32 s18, exec_lo
	v_cmpx_ne_u16_e32 0x80, v2
	s_cbranch_execz .LBB456_651
; %bb.646:                              ;   in Loop: Header=BB456_8 Depth=1
	v_and_b32_e32 v3, 0xffff, v2
	v_mov_b32_e32 v4, 0x7f800001
	s_mov_b32 s19, exec_lo
	s_delay_alu instid0(VALU_DEP_2) | instskip(NEXT) | instid1(VALU_DEP_1)
	v_and_b32_e32 v2, 0x7f, v3
	v_cmpx_ne_u32_e32 0x7f, v2
	s_cbranch_execz .LBB456_650
; %bb.647:                              ;   in Loop: Header=BB456_8 Depth=1
	v_dual_mov_b32 v33, v19 :: v_dual_and_b32 v32, 7, v3
	v_lshrrev_b32_e32 v4, 3, v2
	s_mov_b32 s20, exec_lo
	v_cmpx_gt_u32_e32 8, v2
; %bb.648:                              ;   in Loop: Header=BB456_8 Depth=1
	s_delay_alu instid0(VALU_DEP_3) | instskip(NEXT) | instid1(VALU_DEP_1)
	v_clz_i32_u32_e32 v2, v32
	v_min_u32_e32 v4, 32, v2
	s_delay_alu instid0(VALU_DEP_1) | instskip(SKIP_1) | instid1(VALU_DEP_2)
	v_subrev_nc_u32_e32 v2, 28, v4
	v_sub_nc_u32_e32 v4, 29, v4
	v_lshlrev_b64 v[2:3], v2, v[32:33]
	s_delay_alu instid0(VALU_DEP_1)
	v_and_b32_e32 v32, 7, v2
; %bb.649:                              ;   in Loop: Header=BB456_8 Depth=1
	s_or_b32 exec_lo, exec_lo, s20
	v_lshlrev_b32_e32 v2, 16, v18
	s_delay_alu instid0(VALU_DEP_2) | instskip(SKIP_1) | instid1(VALU_DEP_3)
	v_lshlrev_b32_e32 v3, 20, v32
	v_lshl_add_u32 v4, v4, 23, 0x3c000000
	v_and_b32_e32 v2, 0x80000000, v2
	s_delay_alu instid0(VALU_DEP_1)
	v_or3_b32 v4, v3, v2, v4
.LBB456_650:                            ;   in Loop: Header=BB456_8 Depth=1
	s_or_b32 exec_lo, exec_lo, s19
.LBB456_651:                            ;   in Loop: Header=BB456_8 Depth=1
	s_delay_alu instid0(SALU_CYCLE_1)
	s_or_b32 exec_lo, exec_lo, s18
.LBB456_652:                            ;   in Loop: Header=BB456_8 Depth=1
	s_delay_alu instid0(SALU_CYCLE_1) | instskip(NEXT) | instid1(VALU_DEP_1)
	s_or_b32 exec_lo, exec_lo, s2
	v_mul_f32_e32 v4, v72, v4
                                        ; implicit-def: $vgpr173
	s_delay_alu instid0(VALU_DEP_1) | instskip(NEXT) | instid1(VALU_DEP_1)
	v_and_b32_e32 v2, 0x7f800000, v4
	v_cmp_ne_u32_e64 s1, 0x7f800000, v2
	s_delay_alu instid0(VALU_DEP_1) | instskip(NEXT) | instid1(SALU_CYCLE_1)
	s_and_saveexec_b32 s2, s1
	s_xor_b32 s1, exec_lo, s2
; %bb.653:                              ;   in Loop: Header=BB456_8 Depth=1
	v_bfe_u32 v2, v4, 16, 1
	s_delay_alu instid0(VALU_DEP_1)
	v_add3_u32 v173, v4, v2, 0x7fff
                                        ; implicit-def: $vgpr4
; %bb.654:                              ;   in Loop: Header=BB456_8 Depth=1
	s_and_not1_saveexec_b32 s2, s1
; %bb.655:                              ;   in Loop: Header=BB456_8 Depth=1
	v_and_b32_e32 v2, 0xffff, v4
	v_or_b32_e32 v3, 0x10000, v4
	s_delay_alu instid0(VALU_DEP_2) | instskip(NEXT) | instid1(VALU_DEP_1)
	v_cmp_eq_u32_e64 s1, 0, v2
	v_cndmask_b32_e64 v173, v3, v4, s1
; %bb.656:                              ;   in Loop: Header=BB456_8 Depth=1
	s_or_b32 exec_lo, exec_lo, s2
	v_lshrrev_b32_e32 v4, 16, v31
	s_mov_b32 s2, exec_lo
	s_delay_alu instid0(VALU_DEP_1) | instskip(NEXT) | instid1(VALU_DEP_1)
	v_dual_mov_b32 v5, 0 :: v_dual_and_b32 v2, 0xff, v4
	v_cmpx_ne_u16_e32 0, v2
	s_cbranch_execz .LBB456_664
; %bb.657:                              ;   in Loop: Header=BB456_8 Depth=1
	v_bfrev_b32_e32 v5, 1
	s_mov_b32 s18, exec_lo
	v_cmpx_ne_u16_e32 0x80, v2
	s_cbranch_execz .LBB456_663
; %bb.658:                              ;   in Loop: Header=BB456_8 Depth=1
	v_bfe_u32 v2, v31, 16, 7
	v_mov_b32_e32 v5, 0x7f800001
	s_mov_b32 s19, exec_lo
	s_delay_alu instid0(VALU_DEP_2)
	v_cmpx_ne_u32_e32 0x7f, v2
	s_cbranch_execz .LBB456_662
; %bb.659:                              ;   in Loop: Header=BB456_8 Depth=1
	v_and_b32_e32 v18, 7, v4
	v_lshrrev_b32_e32 v5, 3, v2
	s_mov_b32 s20, exec_lo
	v_cmpx_gt_u32_e32 8, v2
; %bb.660:                              ;   in Loop: Header=BB456_8 Depth=1
	s_delay_alu instid0(VALU_DEP_3) | instskip(NEXT) | instid1(VALU_DEP_1)
	v_clz_i32_u32_e32 v2, v18
	v_min_u32_e32 v5, 32, v2
	s_delay_alu instid0(VALU_DEP_1) | instskip(SKIP_1) | instid1(VALU_DEP_2)
	v_subrev_nc_u32_e32 v2, 28, v5
	v_sub_nc_u32_e32 v5, 29, v5
	v_lshlrev_b64 v[2:3], v2, v[18:19]
	s_delay_alu instid0(VALU_DEP_1)
	v_and_b32_e32 v18, 7, v2
; %bb.661:                              ;   in Loop: Header=BB456_8 Depth=1
	s_or_b32 exec_lo, exec_lo, s20
	v_lshlrev_b32_e32 v2, 24, v4
	s_delay_alu instid0(VALU_DEP_2) | instskip(SKIP_1) | instid1(VALU_DEP_3)
	v_lshlrev_b32_e32 v3, 20, v18
	v_lshl_add_u32 v4, v5, 23, 0x3c000000
	v_and_b32_e32 v2, 0x80000000, v2
	s_delay_alu instid0(VALU_DEP_1)
	v_or3_b32 v5, v3, v2, v4
.LBB456_662:                            ;   in Loop: Header=BB456_8 Depth=1
	s_or_b32 exec_lo, exec_lo, s19
.LBB456_663:                            ;   in Loop: Header=BB456_8 Depth=1
	s_delay_alu instid0(SALU_CYCLE_1)
	s_or_b32 exec_lo, exec_lo, s18
.LBB456_664:                            ;   in Loop: Header=BB456_8 Depth=1
	s_delay_alu instid0(SALU_CYCLE_1) | instskip(NEXT) | instid1(VALU_DEP_1)
	s_or_b32 exec_lo, exec_lo, s2
	v_mul_f32_e32 v4, v72, v5
                                        ; implicit-def: $vgpr174
	s_delay_alu instid0(VALU_DEP_1) | instskip(NEXT) | instid1(VALU_DEP_1)
	v_and_b32_e32 v2, 0x7f800000, v4
	v_cmp_ne_u32_e64 s1, 0x7f800000, v2
	s_delay_alu instid0(VALU_DEP_1) | instskip(NEXT) | instid1(SALU_CYCLE_1)
	s_and_saveexec_b32 s2, s1
	s_xor_b32 s1, exec_lo, s2
; %bb.665:                              ;   in Loop: Header=BB456_8 Depth=1
	v_bfe_u32 v2, v4, 16, 1
	s_delay_alu instid0(VALU_DEP_1)
	v_add3_u32 v174, v4, v2, 0x7fff
                                        ; implicit-def: $vgpr4
; %bb.666:                              ;   in Loop: Header=BB456_8 Depth=1
	s_and_not1_saveexec_b32 s2, s1
; %bb.667:                              ;   in Loop: Header=BB456_8 Depth=1
	v_and_b32_e32 v2, 0xffff, v4
	v_or_b32_e32 v3, 0x10000, v4
	s_delay_alu instid0(VALU_DEP_2) | instskip(NEXT) | instid1(VALU_DEP_1)
	v_cmp_eq_u32_e64 s1, 0, v2
	v_cndmask_b32_e64 v174, v3, v4, s1
; %bb.668:                              ;   in Loop: Header=BB456_8 Depth=1
	s_or_b32 exec_lo, exec_lo, s2
	v_mov_b32_e32 v5, 0
	s_mov_b32 s2, exec_lo
	v_cmpx_lt_u64_e64 s[8:9], v[30:31]
	s_cbranch_execz .LBB456_676
; %bb.669:                              ;   in Loop: Header=BB456_8 Depth=1
	v_lshrrev_b32_e32 v4, 24, v31
	v_bfrev_b32_e32 v5, 1
	s_mov_b32 s18, exec_lo
	s_delay_alu instid0(VALU_DEP_2)
	v_cmpx_ne_u32_e32 0x80, v4
	s_cbranch_execz .LBB456_675
; %bb.670:                              ;   in Loop: Header=BB456_8 Depth=1
	v_bfe_u32 v2, v31, 24, 7
	v_mov_b32_e32 v5, 0x7f800001
	s_mov_b32 s19, exec_lo
	s_delay_alu instid0(VALU_DEP_2)
	v_cmpx_ne_u32_e32 0x7f, v2
	s_cbranch_execz .LBB456_674
; %bb.671:                              ;   in Loop: Header=BB456_8 Depth=1
	v_and_b32_e32 v18, 7, v4
	v_lshrrev_b32_e32 v5, 3, v2
	s_mov_b32 s20, exec_lo
	v_cmpx_gt_u32_e32 8, v2
; %bb.672:                              ;   in Loop: Header=BB456_8 Depth=1
	s_delay_alu instid0(VALU_DEP_3) | instskip(NEXT) | instid1(VALU_DEP_1)
	v_clz_i32_u32_e32 v2, v18
	v_min_u32_e32 v5, 32, v2
	s_delay_alu instid0(VALU_DEP_1) | instskip(SKIP_1) | instid1(VALU_DEP_2)
	v_subrev_nc_u32_e32 v2, 28, v5
	v_sub_nc_u32_e32 v5, 29, v5
	v_lshlrev_b64 v[2:3], v2, v[18:19]
	s_delay_alu instid0(VALU_DEP_1)
	v_and_b32_e32 v18, 7, v2
; %bb.673:                              ;   in Loop: Header=BB456_8 Depth=1
	s_or_b32 exec_lo, exec_lo, s20
	v_lshlrev_b32_e32 v2, 24, v4
	s_delay_alu instid0(VALU_DEP_2) | instskip(SKIP_1) | instid1(VALU_DEP_3)
	v_lshlrev_b32_e32 v3, 20, v18
	v_lshl_add_u32 v4, v5, 23, 0x3c000000
	v_and_b32_e32 v2, 0x80000000, v2
	s_delay_alu instid0(VALU_DEP_1)
	v_or3_b32 v5, v3, v2, v4
.LBB456_674:                            ;   in Loop: Header=BB456_8 Depth=1
	s_or_b32 exec_lo, exec_lo, s19
.LBB456_675:                            ;   in Loop: Header=BB456_8 Depth=1
	s_delay_alu instid0(SALU_CYCLE_1)
	s_or_b32 exec_lo, exec_lo, s18
.LBB456_676:                            ;   in Loop: Header=BB456_8 Depth=1
	s_delay_alu instid0(SALU_CYCLE_1) | instskip(NEXT) | instid1(VALU_DEP_1)
	s_or_b32 exec_lo, exec_lo, s2
	v_mul_f32_e32 v4, v72, v5
                                        ; implicit-def: $vgpr175
	s_delay_alu instid0(VALU_DEP_1) | instskip(NEXT) | instid1(VALU_DEP_1)
	v_and_b32_e32 v2, 0x7f800000, v4
	v_cmp_ne_u32_e64 s1, 0x7f800000, v2
	s_delay_alu instid0(VALU_DEP_1) | instskip(NEXT) | instid1(SALU_CYCLE_1)
	s_and_saveexec_b32 s2, s1
	s_xor_b32 s1, exec_lo, s2
; %bb.677:                              ;   in Loop: Header=BB456_8 Depth=1
	v_bfe_u32 v2, v4, 16, 1
	s_delay_alu instid0(VALU_DEP_1)
	v_add3_u32 v175, v4, v2, 0x7fff
                                        ; implicit-def: $vgpr4
; %bb.678:                              ;   in Loop: Header=BB456_8 Depth=1
	s_and_not1_saveexec_b32 s2, s1
; %bb.679:                              ;   in Loop: Header=BB456_8 Depth=1
	v_and_b32_e32 v2, 0xffff, v4
	v_or_b32_e32 v3, 0x10000, v4
	s_delay_alu instid0(VALU_DEP_2) | instskip(NEXT) | instid1(VALU_DEP_1)
	v_cmp_eq_u32_e64 s1, 0, v2
	v_cndmask_b32_e64 v175, v3, v4, s1
; %bb.680:                              ;   in Loop: Header=BB456_8 Depth=1
	s_or_b32 exec_lo, exec_lo, s2
	flat_load_b64 v[30:31], v[28:29] offset:1544
	v_mov_b32_e32 v4, 0
	s_mov_b32 s2, exec_lo
	s_waitcnt vmcnt(0) lgkmcnt(0)
	v_and_b32_e32 v2, 0xff, v30
	s_delay_alu instid0(VALU_DEP_1)
	v_cmpx_ne_u16_e32 0, v2
	s_cbranch_execz .LBB456_688
; %bb.681:                              ;   in Loop: Header=BB456_8 Depth=1
	v_bfrev_b32_e32 v4, 1
	s_mov_b32 s18, exec_lo
	v_cmpx_ne_u16_e32 0x80, v2
	s_cbranch_execz .LBB456_687
; %bb.682:                              ;   in Loop: Header=BB456_8 Depth=1
	v_and_b32_e32 v3, 0x7f, v30
	v_mov_b32_e32 v4, 0x7f800001
	s_mov_b32 s19, exec_lo
	s_delay_alu instid0(VALU_DEP_2)
	v_cmpx_ne_u32_e32 0x7f, v3
	s_cbranch_execz .LBB456_686
; %bb.683:                              ;   in Loop: Header=BB456_8 Depth=1
	v_lshrrev_b32_e32 v2, 3, v3
	v_dual_mov_b32 v33, v31 :: v_dual_mov_b32 v32, v30
	s_mov_b32 s20, exec_lo
	v_cmpx_gt_u32_e32 8, v3
; %bb.684:                              ;   in Loop: Header=BB456_8 Depth=1
	v_and_b32_e32 v2, 7, v30
	s_delay_alu instid0(VALU_DEP_1) | instskip(NEXT) | instid1(VALU_DEP_1)
	v_clz_i32_u32_e32 v2, v2
	v_min_u32_e32 v2, 32, v2
	s_delay_alu instid0(VALU_DEP_1) | instskip(SKIP_1) | instid1(VALU_DEP_2)
	v_subrev_nc_u32_e32 v3, 28, v2
	v_sub_nc_u32_e32 v2, 29, v2
	v_lshlrev_b64 v[32:33], v3, v[30:31]
; %bb.685:                              ;   in Loop: Header=BB456_8 Depth=1
	s_or_b32 exec_lo, exec_lo, s20
	s_delay_alu instid0(VALU_DEP_1) | instskip(SKIP_2) | instid1(VALU_DEP_3)
	v_lshlrev_b32_e32 v3, 20, v32
	v_lshlrev_b32_e32 v4, 24, v30
	v_lshl_add_u32 v2, v2, 23, 0x3c000000
	v_and_b32_e32 v3, 0x700000, v3
	s_delay_alu instid0(VALU_DEP_3) | instskip(NEXT) | instid1(VALU_DEP_1)
	v_and_b32_e32 v4, 0x80000000, v4
	v_or3_b32 v4, v3, v4, v2
.LBB456_686:                            ;   in Loop: Header=BB456_8 Depth=1
	s_or_b32 exec_lo, exec_lo, s19
.LBB456_687:                            ;   in Loop: Header=BB456_8 Depth=1
	s_delay_alu instid0(SALU_CYCLE_1)
	s_or_b32 exec_lo, exec_lo, s18
.LBB456_688:                            ;   in Loop: Header=BB456_8 Depth=1
	s_delay_alu instid0(SALU_CYCLE_1) | instskip(NEXT) | instid1(VALU_DEP_1)
	s_or_b32 exec_lo, exec_lo, s2
	v_mul_f32_e32 v4, v72, v4
                                        ; implicit-def: $vgpr184
	s_delay_alu instid0(VALU_DEP_1) | instskip(NEXT) | instid1(VALU_DEP_1)
	v_and_b32_e32 v2, 0x7f800000, v4
	v_cmp_ne_u32_e64 s1, 0x7f800000, v2
	s_delay_alu instid0(VALU_DEP_1) | instskip(NEXT) | instid1(SALU_CYCLE_1)
	s_and_saveexec_b32 s2, s1
	s_xor_b32 s1, exec_lo, s2
; %bb.689:                              ;   in Loop: Header=BB456_8 Depth=1
	v_bfe_u32 v2, v4, 16, 1
	s_delay_alu instid0(VALU_DEP_1)
	v_add3_u32 v184, v4, v2, 0x7fff
                                        ; implicit-def: $vgpr4
; %bb.690:                              ;   in Loop: Header=BB456_8 Depth=1
	s_and_not1_saveexec_b32 s2, s1
; %bb.691:                              ;   in Loop: Header=BB456_8 Depth=1
	v_and_b32_e32 v2, 0xffff, v4
	v_or_b32_e32 v3, 0x10000, v4
	s_delay_alu instid0(VALU_DEP_2) | instskip(NEXT) | instid1(VALU_DEP_1)
	v_cmp_eq_u32_e64 s1, 0, v2
	v_cndmask_b32_e64 v184, v3, v4, s1
; %bb.692:                              ;   in Loop: Header=BB456_8 Depth=1
	s_or_b32 exec_lo, exec_lo, s2
	v_lshrrev_b16 v2, 8, v30
	v_mov_b32_e32 v4, 0
	s_mov_b32 s2, exec_lo
	s_delay_alu instid0(VALU_DEP_2)
	v_cmpx_ne_u16_e32 0, v2
	s_cbranch_execz .LBB456_700
; %bb.693:                              ;   in Loop: Header=BB456_8 Depth=1
	v_bfrev_b32_e32 v4, 1
	s_mov_b32 s18, exec_lo
	v_cmpx_ne_u16_e32 0x80, v2
	s_cbranch_execz .LBB456_699
; %bb.694:                              ;   in Loop: Header=BB456_8 Depth=1
	v_and_b32_e32 v3, 0xffff, v2
	v_mov_b32_e32 v4, 0x7f800001
	s_mov_b32 s19, exec_lo
	s_delay_alu instid0(VALU_DEP_2) | instskip(NEXT) | instid1(VALU_DEP_1)
	v_and_b32_e32 v2, 0x7f, v3
	v_cmpx_ne_u32_e32 0x7f, v2
	s_cbranch_execz .LBB456_698
; %bb.695:                              ;   in Loop: Header=BB456_8 Depth=1
	v_and_b32_e32 v18, 7, v3
	v_lshrrev_b32_e32 v4, 3, v2
	s_mov_b32 s20, exec_lo
	v_cmpx_gt_u32_e32 8, v2
; %bb.696:                              ;   in Loop: Header=BB456_8 Depth=1
	s_delay_alu instid0(VALU_DEP_3) | instskip(NEXT) | instid1(VALU_DEP_1)
	v_clz_i32_u32_e32 v2, v18
	v_min_u32_e32 v4, 32, v2
	s_delay_alu instid0(VALU_DEP_1) | instskip(SKIP_1) | instid1(VALU_DEP_2)
	v_subrev_nc_u32_e32 v2, 28, v4
	v_sub_nc_u32_e32 v4, 29, v4
	v_lshlrev_b64 v[2:3], v2, v[18:19]
	s_delay_alu instid0(VALU_DEP_1)
	v_and_b32_e32 v18, 7, v2
; %bb.697:                              ;   in Loop: Header=BB456_8 Depth=1
	s_or_b32 exec_lo, exec_lo, s20
	v_lshlrev_b32_e32 v2, 16, v30
	s_delay_alu instid0(VALU_DEP_2) | instskip(SKIP_1) | instid1(VALU_DEP_3)
	v_lshlrev_b32_e32 v3, 20, v18
	v_lshl_add_u32 v4, v4, 23, 0x3c000000
	v_and_b32_e32 v2, 0x80000000, v2
	s_delay_alu instid0(VALU_DEP_1)
	v_or3_b32 v4, v3, v2, v4
.LBB456_698:                            ;   in Loop: Header=BB456_8 Depth=1
	s_or_b32 exec_lo, exec_lo, s19
.LBB456_699:                            ;   in Loop: Header=BB456_8 Depth=1
	s_delay_alu instid0(SALU_CYCLE_1)
	s_or_b32 exec_lo, exec_lo, s18
.LBB456_700:                            ;   in Loop: Header=BB456_8 Depth=1
	s_delay_alu instid0(SALU_CYCLE_1) | instskip(NEXT) | instid1(VALU_DEP_1)
	s_or_b32 exec_lo, exec_lo, s2
	v_mul_f32_e32 v4, v72, v4
                                        ; implicit-def: $vgpr185
	s_delay_alu instid0(VALU_DEP_1) | instskip(NEXT) | instid1(VALU_DEP_1)
	v_and_b32_e32 v2, 0x7f800000, v4
	v_cmp_ne_u32_e64 s1, 0x7f800000, v2
	s_delay_alu instid0(VALU_DEP_1) | instskip(NEXT) | instid1(SALU_CYCLE_1)
	s_and_saveexec_b32 s2, s1
	s_xor_b32 s1, exec_lo, s2
; %bb.701:                              ;   in Loop: Header=BB456_8 Depth=1
	v_bfe_u32 v2, v4, 16, 1
	s_delay_alu instid0(VALU_DEP_1)
	v_add3_u32 v185, v4, v2, 0x7fff
                                        ; implicit-def: $vgpr4
; %bb.702:                              ;   in Loop: Header=BB456_8 Depth=1
	s_and_not1_saveexec_b32 s2, s1
; %bb.703:                              ;   in Loop: Header=BB456_8 Depth=1
	v_and_b32_e32 v2, 0xffff, v4
	v_or_b32_e32 v3, 0x10000, v4
	s_delay_alu instid0(VALU_DEP_2) | instskip(NEXT) | instid1(VALU_DEP_1)
	v_cmp_eq_u32_e64 s1, 0, v2
	v_cndmask_b32_e64 v185, v3, v4, s1
; %bb.704:                              ;   in Loop: Header=BB456_8 Depth=1
	s_or_b32 exec_lo, exec_lo, s2
	v_lshrrev_b32_e32 v4, 16, v30
	s_mov_b32 s2, exec_lo
	s_delay_alu instid0(VALU_DEP_1) | instskip(NEXT) | instid1(VALU_DEP_1)
	v_dual_mov_b32 v5, 0 :: v_dual_and_b32 v2, 0xff, v4
	v_cmpx_ne_u16_e32 0, v2
	s_cbranch_execz .LBB456_712
; %bb.705:                              ;   in Loop: Header=BB456_8 Depth=1
	v_bfrev_b32_e32 v5, 1
	s_mov_b32 s18, exec_lo
	v_cmpx_ne_u16_e32 0x80, v2
	s_cbranch_execz .LBB456_711
; %bb.706:                              ;   in Loop: Header=BB456_8 Depth=1
	v_bfe_u32 v2, v30, 16, 7
	v_mov_b32_e32 v5, 0x7f800001
	s_mov_b32 s19, exec_lo
	s_delay_alu instid0(VALU_DEP_2)
	v_cmpx_ne_u32_e32 0x7f, v2
	s_cbranch_execz .LBB456_710
; %bb.707:                              ;   in Loop: Header=BB456_8 Depth=1
	v_and_b32_e32 v18, 7, v4
	v_lshrrev_b32_e32 v5, 3, v2
	s_mov_b32 s20, exec_lo
	v_cmpx_gt_u32_e32 8, v2
; %bb.708:                              ;   in Loop: Header=BB456_8 Depth=1
	s_delay_alu instid0(VALU_DEP_3) | instskip(NEXT) | instid1(VALU_DEP_1)
	v_clz_i32_u32_e32 v2, v18
	v_min_u32_e32 v5, 32, v2
	s_delay_alu instid0(VALU_DEP_1) | instskip(SKIP_1) | instid1(VALU_DEP_2)
	v_subrev_nc_u32_e32 v2, 28, v5
	v_sub_nc_u32_e32 v5, 29, v5
	v_lshlrev_b64 v[2:3], v2, v[18:19]
	s_delay_alu instid0(VALU_DEP_1)
	v_and_b32_e32 v18, 7, v2
; %bb.709:                              ;   in Loop: Header=BB456_8 Depth=1
	s_or_b32 exec_lo, exec_lo, s20
	v_lshlrev_b32_e32 v2, 24, v4
	s_delay_alu instid0(VALU_DEP_2) | instskip(SKIP_1) | instid1(VALU_DEP_3)
	v_lshlrev_b32_e32 v3, 20, v18
	v_lshl_add_u32 v4, v5, 23, 0x3c000000
	v_and_b32_e32 v2, 0x80000000, v2
	s_delay_alu instid0(VALU_DEP_1)
	v_or3_b32 v5, v3, v2, v4
.LBB456_710:                            ;   in Loop: Header=BB456_8 Depth=1
	s_or_b32 exec_lo, exec_lo, s19
.LBB456_711:                            ;   in Loop: Header=BB456_8 Depth=1
	s_delay_alu instid0(SALU_CYCLE_1)
	s_or_b32 exec_lo, exec_lo, s18
.LBB456_712:                            ;   in Loop: Header=BB456_8 Depth=1
	s_delay_alu instid0(SALU_CYCLE_1) | instskip(NEXT) | instid1(VALU_DEP_1)
	s_or_b32 exec_lo, exec_lo, s2
	v_mul_f32_e32 v4, v72, v5
                                        ; implicit-def: $vgpr186
	s_delay_alu instid0(VALU_DEP_1) | instskip(NEXT) | instid1(VALU_DEP_1)
	v_and_b32_e32 v2, 0x7f800000, v4
	v_cmp_ne_u32_e64 s1, 0x7f800000, v2
	s_delay_alu instid0(VALU_DEP_1) | instskip(NEXT) | instid1(SALU_CYCLE_1)
	s_and_saveexec_b32 s2, s1
	s_xor_b32 s1, exec_lo, s2
; %bb.713:                              ;   in Loop: Header=BB456_8 Depth=1
	v_bfe_u32 v2, v4, 16, 1
	s_delay_alu instid0(VALU_DEP_1)
	v_add3_u32 v186, v4, v2, 0x7fff
                                        ; implicit-def: $vgpr4
; %bb.714:                              ;   in Loop: Header=BB456_8 Depth=1
	s_and_not1_saveexec_b32 s2, s1
; %bb.715:                              ;   in Loop: Header=BB456_8 Depth=1
	v_and_b32_e32 v2, 0xffff, v4
	v_or_b32_e32 v3, 0x10000, v4
	s_delay_alu instid0(VALU_DEP_2) | instskip(NEXT) | instid1(VALU_DEP_1)
	v_cmp_eq_u32_e64 s1, 0, v2
	v_cndmask_b32_e64 v186, v3, v4, s1
; %bb.716:                              ;   in Loop: Header=BB456_8 Depth=1
	s_or_b32 exec_lo, exec_lo, s2
	v_mov_b32_e32 v5, 0
	s_mov_b32 s2, exec_lo
	v_cmpx_lt_u32_e32 0xffffff, v30
	s_cbranch_execz .LBB456_724
; %bb.717:                              ;   in Loop: Header=BB456_8 Depth=1
	v_lshrrev_b32_e32 v4, 24, v30
	v_bfrev_b32_e32 v5, 1
	s_mov_b32 s18, exec_lo
	s_delay_alu instid0(VALU_DEP_2)
	v_cmpx_ne_u32_e32 0x80, v4
	s_cbranch_execz .LBB456_723
; %bb.718:                              ;   in Loop: Header=BB456_8 Depth=1
	v_bfe_u32 v2, v30, 24, 7
	v_mov_b32_e32 v5, 0x7f800001
	s_mov_b32 s19, exec_lo
	s_delay_alu instid0(VALU_DEP_2)
	v_cmpx_ne_u32_e32 0x7f, v2
	s_cbranch_execz .LBB456_722
; %bb.719:                              ;   in Loop: Header=BB456_8 Depth=1
	v_and_b32_e32 v18, 7, v4
	v_lshrrev_b32_e32 v5, 3, v2
	s_mov_b32 s20, exec_lo
	v_cmpx_gt_u32_e32 8, v2
; %bb.720:                              ;   in Loop: Header=BB456_8 Depth=1
	s_delay_alu instid0(VALU_DEP_3) | instskip(NEXT) | instid1(VALU_DEP_1)
	v_clz_i32_u32_e32 v2, v18
	v_min_u32_e32 v5, 32, v2
	s_delay_alu instid0(VALU_DEP_1) | instskip(SKIP_1) | instid1(VALU_DEP_2)
	v_subrev_nc_u32_e32 v2, 28, v5
	v_sub_nc_u32_e32 v5, 29, v5
	v_lshlrev_b64 v[2:3], v2, v[18:19]
	s_delay_alu instid0(VALU_DEP_1)
	v_and_b32_e32 v18, 7, v2
; %bb.721:                              ;   in Loop: Header=BB456_8 Depth=1
	s_or_b32 exec_lo, exec_lo, s20
	v_lshlrev_b32_e32 v2, 24, v4
	s_delay_alu instid0(VALU_DEP_2) | instskip(SKIP_1) | instid1(VALU_DEP_3)
	v_lshlrev_b32_e32 v3, 20, v18
	v_lshl_add_u32 v4, v5, 23, 0x3c000000
	v_and_b32_e32 v2, 0x80000000, v2
	s_delay_alu instid0(VALU_DEP_1)
	v_or3_b32 v5, v3, v2, v4
.LBB456_722:                            ;   in Loop: Header=BB456_8 Depth=1
	s_or_b32 exec_lo, exec_lo, s19
.LBB456_723:                            ;   in Loop: Header=BB456_8 Depth=1
	s_delay_alu instid0(SALU_CYCLE_1)
	s_or_b32 exec_lo, exec_lo, s18
.LBB456_724:                            ;   in Loop: Header=BB456_8 Depth=1
	s_delay_alu instid0(SALU_CYCLE_1) | instskip(NEXT) | instid1(VALU_DEP_1)
	s_or_b32 exec_lo, exec_lo, s2
	v_mul_f32_e32 v4, v72, v5
                                        ; implicit-def: $vgpr187
	s_delay_alu instid0(VALU_DEP_1) | instskip(NEXT) | instid1(VALU_DEP_1)
	v_and_b32_e32 v2, 0x7f800000, v4
	v_cmp_ne_u32_e64 s1, 0x7f800000, v2
	s_delay_alu instid0(VALU_DEP_1) | instskip(NEXT) | instid1(SALU_CYCLE_1)
	s_and_saveexec_b32 s2, s1
	s_xor_b32 s1, exec_lo, s2
; %bb.725:                              ;   in Loop: Header=BB456_8 Depth=1
	v_bfe_u32 v2, v4, 16, 1
	s_delay_alu instid0(VALU_DEP_1)
	v_add3_u32 v187, v4, v2, 0x7fff
                                        ; implicit-def: $vgpr4
; %bb.726:                              ;   in Loop: Header=BB456_8 Depth=1
	s_and_not1_saveexec_b32 s2, s1
; %bb.727:                              ;   in Loop: Header=BB456_8 Depth=1
	v_and_b32_e32 v2, 0xffff, v4
	v_or_b32_e32 v3, 0x10000, v4
	s_delay_alu instid0(VALU_DEP_2) | instskip(NEXT) | instid1(VALU_DEP_1)
	v_cmp_eq_u32_e64 s1, 0, v2
	v_cndmask_b32_e64 v187, v3, v4, s1
; %bb.728:                              ;   in Loop: Header=BB456_8 Depth=1
	s_or_b32 exec_lo, exec_lo, s2
	v_and_b32_e32 v2, 0xff, v31
	v_mov_b32_e32 v18, v31
	v_mov_b32_e32 v4, 0
	s_mov_b32 s2, exec_lo
	s_delay_alu instid0(VALU_DEP_3)
	v_cmpx_ne_u16_e32 0, v2
	s_cbranch_execz .LBB456_736
; %bb.729:                              ;   in Loop: Header=BB456_8 Depth=1
	v_bfrev_b32_e32 v4, 1
	s_mov_b32 s18, exec_lo
	v_cmpx_ne_u16_e32 0x80, v2
	s_cbranch_execz .LBB456_735
; %bb.730:                              ;   in Loop: Header=BB456_8 Depth=1
	v_and_b32_e32 v3, 0x7f, v31
	v_mov_b32_e32 v4, 0x7f800001
	s_mov_b32 s19, exec_lo
	s_delay_alu instid0(VALU_DEP_2)
	v_cmpx_ne_u32_e32 0x7f, v3
	s_cbranch_execz .LBB456_734
; %bb.731:                              ;   in Loop: Header=BB456_8 Depth=1
	v_lshrrev_b32_e32 v2, 3, v3
	v_dual_mov_b32 v33, v19 :: v_dual_mov_b32 v32, v18
	s_mov_b32 s20, exec_lo
	v_cmpx_gt_u32_e32 8, v3
; %bb.732:                              ;   in Loop: Header=BB456_8 Depth=1
	v_and_b32_e32 v2, 7, v31
	s_delay_alu instid0(VALU_DEP_1) | instskip(NEXT) | instid1(VALU_DEP_1)
	v_clz_i32_u32_e32 v2, v2
	v_min_u32_e32 v2, 32, v2
	s_delay_alu instid0(VALU_DEP_1) | instskip(SKIP_1) | instid1(VALU_DEP_2)
	v_subrev_nc_u32_e32 v3, 28, v2
	v_sub_nc_u32_e32 v2, 29, v2
	v_lshlrev_b64 v[32:33], v3, v[18:19]
; %bb.733:                              ;   in Loop: Header=BB456_8 Depth=1
	s_or_b32 exec_lo, exec_lo, s20
	s_delay_alu instid0(VALU_DEP_1) | instskip(SKIP_2) | instid1(VALU_DEP_3)
	v_lshlrev_b32_e32 v3, 20, v32
	v_lshlrev_b32_e32 v4, 24, v18
	v_lshl_add_u32 v2, v2, 23, 0x3c000000
	v_and_b32_e32 v3, 0x700000, v3
	s_delay_alu instid0(VALU_DEP_3) | instskip(NEXT) | instid1(VALU_DEP_1)
	v_and_b32_e32 v4, 0x80000000, v4
	v_or3_b32 v4, v3, v4, v2
.LBB456_734:                            ;   in Loop: Header=BB456_8 Depth=1
	s_or_b32 exec_lo, exec_lo, s19
.LBB456_735:                            ;   in Loop: Header=BB456_8 Depth=1
	s_delay_alu instid0(SALU_CYCLE_1)
	s_or_b32 exec_lo, exec_lo, s18
.LBB456_736:                            ;   in Loop: Header=BB456_8 Depth=1
	s_delay_alu instid0(SALU_CYCLE_1) | instskip(NEXT) | instid1(VALU_DEP_1)
	s_or_b32 exec_lo, exec_lo, s2
	v_mul_f32_e32 v4, v72, v4
                                        ; implicit-def: $vgpr188
	s_delay_alu instid0(VALU_DEP_1) | instskip(NEXT) | instid1(VALU_DEP_1)
	v_and_b32_e32 v2, 0x7f800000, v4
	v_cmp_ne_u32_e64 s1, 0x7f800000, v2
	s_delay_alu instid0(VALU_DEP_1) | instskip(NEXT) | instid1(SALU_CYCLE_1)
	s_and_saveexec_b32 s2, s1
	s_xor_b32 s1, exec_lo, s2
; %bb.737:                              ;   in Loop: Header=BB456_8 Depth=1
	v_bfe_u32 v2, v4, 16, 1
	s_delay_alu instid0(VALU_DEP_1)
	v_add3_u32 v188, v4, v2, 0x7fff
                                        ; implicit-def: $vgpr4
; %bb.738:                              ;   in Loop: Header=BB456_8 Depth=1
	s_and_not1_saveexec_b32 s2, s1
; %bb.739:                              ;   in Loop: Header=BB456_8 Depth=1
	v_and_b32_e32 v2, 0xffff, v4
	v_or_b32_e32 v3, 0x10000, v4
	s_delay_alu instid0(VALU_DEP_2) | instskip(NEXT) | instid1(VALU_DEP_1)
	v_cmp_eq_u32_e64 s1, 0, v2
	v_cndmask_b32_e64 v188, v3, v4, s1
; %bb.740:                              ;   in Loop: Header=BB456_8 Depth=1
	s_or_b32 exec_lo, exec_lo, s2
	v_lshrrev_b16 v2, 8, v18
	v_mov_b32_e32 v4, 0
	s_mov_b32 s2, exec_lo
	s_delay_alu instid0(VALU_DEP_2)
	v_cmpx_ne_u16_e32 0, v2
	s_cbranch_execz .LBB456_748
; %bb.741:                              ;   in Loop: Header=BB456_8 Depth=1
	v_bfrev_b32_e32 v4, 1
	s_mov_b32 s18, exec_lo
	v_cmpx_ne_u16_e32 0x80, v2
	s_cbranch_execz .LBB456_747
; %bb.742:                              ;   in Loop: Header=BB456_8 Depth=1
	v_and_b32_e32 v3, 0xffff, v2
	v_mov_b32_e32 v4, 0x7f800001
	s_mov_b32 s19, exec_lo
	s_delay_alu instid0(VALU_DEP_2) | instskip(NEXT) | instid1(VALU_DEP_1)
	v_and_b32_e32 v2, 0x7f, v3
	v_cmpx_ne_u32_e32 0x7f, v2
	s_cbranch_execz .LBB456_746
; %bb.743:                              ;   in Loop: Header=BB456_8 Depth=1
	v_dual_mov_b32 v33, v19 :: v_dual_and_b32 v32, 7, v3
	v_lshrrev_b32_e32 v4, 3, v2
	s_mov_b32 s20, exec_lo
	v_cmpx_gt_u32_e32 8, v2
; %bb.744:                              ;   in Loop: Header=BB456_8 Depth=1
	s_delay_alu instid0(VALU_DEP_3) | instskip(NEXT) | instid1(VALU_DEP_1)
	v_clz_i32_u32_e32 v2, v32
	v_min_u32_e32 v4, 32, v2
	s_delay_alu instid0(VALU_DEP_1) | instskip(SKIP_1) | instid1(VALU_DEP_2)
	v_subrev_nc_u32_e32 v2, 28, v4
	v_sub_nc_u32_e32 v4, 29, v4
	v_lshlrev_b64 v[2:3], v2, v[32:33]
	s_delay_alu instid0(VALU_DEP_1)
	v_and_b32_e32 v32, 7, v2
; %bb.745:                              ;   in Loop: Header=BB456_8 Depth=1
	s_or_b32 exec_lo, exec_lo, s20
	v_lshlrev_b32_e32 v2, 16, v18
	s_delay_alu instid0(VALU_DEP_2) | instskip(SKIP_1) | instid1(VALU_DEP_3)
	v_lshlrev_b32_e32 v3, 20, v32
	v_lshl_add_u32 v4, v4, 23, 0x3c000000
	v_and_b32_e32 v2, 0x80000000, v2
	s_delay_alu instid0(VALU_DEP_1)
	v_or3_b32 v4, v3, v2, v4
.LBB456_746:                            ;   in Loop: Header=BB456_8 Depth=1
	s_or_b32 exec_lo, exec_lo, s19
.LBB456_747:                            ;   in Loop: Header=BB456_8 Depth=1
	s_delay_alu instid0(SALU_CYCLE_1)
	s_or_b32 exec_lo, exec_lo, s18
.LBB456_748:                            ;   in Loop: Header=BB456_8 Depth=1
	s_delay_alu instid0(SALU_CYCLE_1) | instskip(NEXT) | instid1(VALU_DEP_1)
	s_or_b32 exec_lo, exec_lo, s2
	v_mul_f32_e32 v4, v72, v4
                                        ; implicit-def: $vgpr189
	s_delay_alu instid0(VALU_DEP_1) | instskip(NEXT) | instid1(VALU_DEP_1)
	v_and_b32_e32 v2, 0x7f800000, v4
	v_cmp_ne_u32_e64 s1, 0x7f800000, v2
	s_delay_alu instid0(VALU_DEP_1) | instskip(NEXT) | instid1(SALU_CYCLE_1)
	s_and_saveexec_b32 s2, s1
	s_xor_b32 s1, exec_lo, s2
; %bb.749:                              ;   in Loop: Header=BB456_8 Depth=1
	v_bfe_u32 v2, v4, 16, 1
	s_delay_alu instid0(VALU_DEP_1)
	v_add3_u32 v189, v4, v2, 0x7fff
                                        ; implicit-def: $vgpr4
; %bb.750:                              ;   in Loop: Header=BB456_8 Depth=1
	s_and_not1_saveexec_b32 s2, s1
; %bb.751:                              ;   in Loop: Header=BB456_8 Depth=1
	v_and_b32_e32 v2, 0xffff, v4
	v_or_b32_e32 v3, 0x10000, v4
	s_delay_alu instid0(VALU_DEP_2) | instskip(NEXT) | instid1(VALU_DEP_1)
	v_cmp_eq_u32_e64 s1, 0, v2
	v_cndmask_b32_e64 v189, v3, v4, s1
; %bb.752:                              ;   in Loop: Header=BB456_8 Depth=1
	s_or_b32 exec_lo, exec_lo, s2
	v_lshrrev_b32_e32 v4, 16, v31
	s_mov_b32 s2, exec_lo
	s_delay_alu instid0(VALU_DEP_1) | instskip(NEXT) | instid1(VALU_DEP_1)
	v_dual_mov_b32 v5, 0 :: v_dual_and_b32 v2, 0xff, v4
	v_cmpx_ne_u16_e32 0, v2
	s_cbranch_execz .LBB456_760
; %bb.753:                              ;   in Loop: Header=BB456_8 Depth=1
	v_bfrev_b32_e32 v5, 1
	s_mov_b32 s18, exec_lo
	v_cmpx_ne_u16_e32 0x80, v2
	s_cbranch_execz .LBB456_759
; %bb.754:                              ;   in Loop: Header=BB456_8 Depth=1
	v_bfe_u32 v2, v31, 16, 7
	v_mov_b32_e32 v5, 0x7f800001
	s_mov_b32 s19, exec_lo
	s_delay_alu instid0(VALU_DEP_2)
	v_cmpx_ne_u32_e32 0x7f, v2
	s_cbranch_execz .LBB456_758
; %bb.755:                              ;   in Loop: Header=BB456_8 Depth=1
	v_and_b32_e32 v18, 7, v4
	v_lshrrev_b32_e32 v5, 3, v2
	s_mov_b32 s20, exec_lo
	v_cmpx_gt_u32_e32 8, v2
; %bb.756:                              ;   in Loop: Header=BB456_8 Depth=1
	s_delay_alu instid0(VALU_DEP_3) | instskip(NEXT) | instid1(VALU_DEP_1)
	v_clz_i32_u32_e32 v2, v18
	v_min_u32_e32 v5, 32, v2
	s_delay_alu instid0(VALU_DEP_1) | instskip(SKIP_1) | instid1(VALU_DEP_2)
	v_subrev_nc_u32_e32 v2, 28, v5
	v_sub_nc_u32_e32 v5, 29, v5
	v_lshlrev_b64 v[2:3], v2, v[18:19]
	s_delay_alu instid0(VALU_DEP_1)
	v_and_b32_e32 v18, 7, v2
; %bb.757:                              ;   in Loop: Header=BB456_8 Depth=1
	s_or_b32 exec_lo, exec_lo, s20
	v_lshlrev_b32_e32 v2, 24, v4
	s_delay_alu instid0(VALU_DEP_2) | instskip(SKIP_1) | instid1(VALU_DEP_3)
	v_lshlrev_b32_e32 v3, 20, v18
	v_lshl_add_u32 v4, v5, 23, 0x3c000000
	v_and_b32_e32 v2, 0x80000000, v2
	s_delay_alu instid0(VALU_DEP_1)
	v_or3_b32 v5, v3, v2, v4
.LBB456_758:                            ;   in Loop: Header=BB456_8 Depth=1
	s_or_b32 exec_lo, exec_lo, s19
.LBB456_759:                            ;   in Loop: Header=BB456_8 Depth=1
	s_delay_alu instid0(SALU_CYCLE_1)
	s_or_b32 exec_lo, exec_lo, s18
.LBB456_760:                            ;   in Loop: Header=BB456_8 Depth=1
	s_delay_alu instid0(SALU_CYCLE_1) | instskip(NEXT) | instid1(VALU_DEP_1)
	s_or_b32 exec_lo, exec_lo, s2
	v_mul_f32_e32 v4, v72, v5
                                        ; implicit-def: $vgpr190
	s_delay_alu instid0(VALU_DEP_1) | instskip(NEXT) | instid1(VALU_DEP_1)
	v_and_b32_e32 v2, 0x7f800000, v4
	v_cmp_ne_u32_e64 s1, 0x7f800000, v2
	s_delay_alu instid0(VALU_DEP_1) | instskip(NEXT) | instid1(SALU_CYCLE_1)
	s_and_saveexec_b32 s2, s1
	s_xor_b32 s1, exec_lo, s2
; %bb.761:                              ;   in Loop: Header=BB456_8 Depth=1
	v_bfe_u32 v2, v4, 16, 1
	s_delay_alu instid0(VALU_DEP_1)
	v_add3_u32 v190, v4, v2, 0x7fff
                                        ; implicit-def: $vgpr4
; %bb.762:                              ;   in Loop: Header=BB456_8 Depth=1
	s_and_not1_saveexec_b32 s2, s1
; %bb.763:                              ;   in Loop: Header=BB456_8 Depth=1
	v_and_b32_e32 v2, 0xffff, v4
	v_or_b32_e32 v3, 0x10000, v4
	s_delay_alu instid0(VALU_DEP_2) | instskip(NEXT) | instid1(VALU_DEP_1)
	v_cmp_eq_u32_e64 s1, 0, v2
	v_cndmask_b32_e64 v190, v3, v4, s1
; %bb.764:                              ;   in Loop: Header=BB456_8 Depth=1
	s_or_b32 exec_lo, exec_lo, s2
	v_mov_b32_e32 v5, 0
	s_mov_b32 s2, exec_lo
	v_cmpx_lt_u64_e64 s[8:9], v[30:31]
	s_cbranch_execz .LBB456_772
; %bb.765:                              ;   in Loop: Header=BB456_8 Depth=1
	v_lshrrev_b32_e32 v4, 24, v31
	v_bfrev_b32_e32 v5, 1
	s_mov_b32 s18, exec_lo
	s_delay_alu instid0(VALU_DEP_2)
	v_cmpx_ne_u32_e32 0x80, v4
	s_cbranch_execz .LBB456_771
; %bb.766:                              ;   in Loop: Header=BB456_8 Depth=1
	v_bfe_u32 v2, v31, 24, 7
	v_mov_b32_e32 v5, 0x7f800001
	s_mov_b32 s19, exec_lo
	s_delay_alu instid0(VALU_DEP_2)
	v_cmpx_ne_u32_e32 0x7f, v2
	s_cbranch_execz .LBB456_770
; %bb.767:                              ;   in Loop: Header=BB456_8 Depth=1
	v_and_b32_e32 v18, 7, v4
	v_lshrrev_b32_e32 v5, 3, v2
	s_mov_b32 s20, exec_lo
	v_cmpx_gt_u32_e32 8, v2
; %bb.768:                              ;   in Loop: Header=BB456_8 Depth=1
	s_delay_alu instid0(VALU_DEP_3) | instskip(NEXT) | instid1(VALU_DEP_1)
	v_clz_i32_u32_e32 v2, v18
	v_min_u32_e32 v5, 32, v2
	s_delay_alu instid0(VALU_DEP_1) | instskip(SKIP_1) | instid1(VALU_DEP_2)
	v_subrev_nc_u32_e32 v2, 28, v5
	v_sub_nc_u32_e32 v5, 29, v5
	v_lshlrev_b64 v[2:3], v2, v[18:19]
	s_delay_alu instid0(VALU_DEP_1)
	v_and_b32_e32 v18, 7, v2
; %bb.769:                              ;   in Loop: Header=BB456_8 Depth=1
	s_or_b32 exec_lo, exec_lo, s20
	v_lshlrev_b32_e32 v2, 24, v4
	s_delay_alu instid0(VALU_DEP_2) | instskip(SKIP_1) | instid1(VALU_DEP_3)
	v_lshlrev_b32_e32 v3, 20, v18
	v_lshl_add_u32 v4, v5, 23, 0x3c000000
	v_and_b32_e32 v2, 0x80000000, v2
	s_delay_alu instid0(VALU_DEP_1)
	v_or3_b32 v5, v3, v2, v4
.LBB456_770:                            ;   in Loop: Header=BB456_8 Depth=1
	s_or_b32 exec_lo, exec_lo, s19
.LBB456_771:                            ;   in Loop: Header=BB456_8 Depth=1
	s_delay_alu instid0(SALU_CYCLE_1)
	s_or_b32 exec_lo, exec_lo, s18
.LBB456_772:                            ;   in Loop: Header=BB456_8 Depth=1
	s_delay_alu instid0(SALU_CYCLE_1) | instskip(NEXT) | instid1(VALU_DEP_1)
	s_or_b32 exec_lo, exec_lo, s2
	v_mul_f32_e32 v4, v72, v5
                                        ; implicit-def: $vgpr191
	s_delay_alu instid0(VALU_DEP_1) | instskip(NEXT) | instid1(VALU_DEP_1)
	v_and_b32_e32 v2, 0x7f800000, v4
	v_cmp_ne_u32_e64 s1, 0x7f800000, v2
	s_delay_alu instid0(VALU_DEP_1) | instskip(NEXT) | instid1(SALU_CYCLE_1)
	s_and_saveexec_b32 s2, s1
	s_xor_b32 s1, exec_lo, s2
; %bb.773:                              ;   in Loop: Header=BB456_8 Depth=1
	v_bfe_u32 v2, v4, 16, 1
	s_delay_alu instid0(VALU_DEP_1)
	v_add3_u32 v191, v4, v2, 0x7fff
                                        ; implicit-def: $vgpr4
; %bb.774:                              ;   in Loop: Header=BB456_8 Depth=1
	s_and_not1_saveexec_b32 s2, s1
; %bb.775:                              ;   in Loop: Header=BB456_8 Depth=1
	v_and_b32_e32 v2, 0xffff, v4
	v_or_b32_e32 v3, 0x10000, v4
	s_delay_alu instid0(VALU_DEP_2) | instskip(NEXT) | instid1(VALU_DEP_1)
	v_cmp_eq_u32_e64 s1, 0, v2
	v_cndmask_b32_e64 v191, v3, v4, s1
; %bb.776:                              ;   in Loop: Header=BB456_8 Depth=1
	s_or_b32 exec_lo, exec_lo, s2
	flat_load_b64 v[30:31], v[28:29] offset:2048
	v_mov_b32_e32 v4, 0
	s_mov_b32 s2, exec_lo
	s_waitcnt vmcnt(0) lgkmcnt(0)
	v_and_b32_e32 v2, 0xff, v30
	s_delay_alu instid0(VALU_DEP_1)
	v_cmpx_ne_u16_e32 0, v2
	s_cbranch_execz .LBB456_784
; %bb.777:                              ;   in Loop: Header=BB456_8 Depth=1
	v_bfrev_b32_e32 v4, 1
	s_mov_b32 s18, exec_lo
	v_cmpx_ne_u16_e32 0x80, v2
	s_cbranch_execz .LBB456_783
; %bb.778:                              ;   in Loop: Header=BB456_8 Depth=1
	v_and_b32_e32 v3, 0x7f, v30
	v_mov_b32_e32 v4, 0x7f800001
	s_mov_b32 s19, exec_lo
	s_delay_alu instid0(VALU_DEP_2)
	v_cmpx_ne_u32_e32 0x7f, v3
	s_cbranch_execz .LBB456_782
; %bb.779:                              ;   in Loop: Header=BB456_8 Depth=1
	v_lshrrev_b32_e32 v2, 3, v3
	v_dual_mov_b32 v33, v31 :: v_dual_mov_b32 v32, v30
	s_mov_b32 s20, exec_lo
	v_cmpx_gt_u32_e32 8, v3
; %bb.780:                              ;   in Loop: Header=BB456_8 Depth=1
	v_and_b32_e32 v2, 7, v30
	s_delay_alu instid0(VALU_DEP_1) | instskip(NEXT) | instid1(VALU_DEP_1)
	v_clz_i32_u32_e32 v2, v2
	v_min_u32_e32 v2, 32, v2
	s_delay_alu instid0(VALU_DEP_1) | instskip(SKIP_1) | instid1(VALU_DEP_2)
	v_subrev_nc_u32_e32 v3, 28, v2
	v_sub_nc_u32_e32 v2, 29, v2
	v_lshlrev_b64 v[32:33], v3, v[30:31]
; %bb.781:                              ;   in Loop: Header=BB456_8 Depth=1
	s_or_b32 exec_lo, exec_lo, s20
	s_delay_alu instid0(VALU_DEP_1) | instskip(SKIP_2) | instid1(VALU_DEP_3)
	v_lshlrev_b32_e32 v3, 20, v32
	v_lshlrev_b32_e32 v4, 24, v30
	v_lshl_add_u32 v2, v2, 23, 0x3c000000
	v_and_b32_e32 v3, 0x700000, v3
	s_delay_alu instid0(VALU_DEP_3) | instskip(NEXT) | instid1(VALU_DEP_1)
	v_and_b32_e32 v4, 0x80000000, v4
	v_or3_b32 v4, v3, v4, v2
.LBB456_782:                            ;   in Loop: Header=BB456_8 Depth=1
	s_or_b32 exec_lo, exec_lo, s19
.LBB456_783:                            ;   in Loop: Header=BB456_8 Depth=1
	s_delay_alu instid0(SALU_CYCLE_1)
	s_or_b32 exec_lo, exec_lo, s18
.LBB456_784:                            ;   in Loop: Header=BB456_8 Depth=1
	s_delay_alu instid0(SALU_CYCLE_1) | instskip(NEXT) | instid1(VALU_DEP_1)
	s_or_b32 exec_lo, exec_lo, s2
	v_mul_f32_e32 v4, v72, v4
                                        ; implicit-def: $vgpr38
	s_delay_alu instid0(VALU_DEP_1) | instskip(NEXT) | instid1(VALU_DEP_1)
	v_and_b32_e32 v2, 0x7f800000, v4
	v_cmp_ne_u32_e64 s1, 0x7f800000, v2
	s_delay_alu instid0(VALU_DEP_1) | instskip(NEXT) | instid1(SALU_CYCLE_1)
	s_and_saveexec_b32 s2, s1
	s_xor_b32 s1, exec_lo, s2
; %bb.785:                              ;   in Loop: Header=BB456_8 Depth=1
	v_bfe_u32 v2, v4, 16, 1
	s_delay_alu instid0(VALU_DEP_1)
	v_add3_u32 v38, v4, v2, 0x7fff
                                        ; implicit-def: $vgpr4
; %bb.786:                              ;   in Loop: Header=BB456_8 Depth=1
	s_and_not1_saveexec_b32 s2, s1
; %bb.787:                              ;   in Loop: Header=BB456_8 Depth=1
	v_and_b32_e32 v2, 0xffff, v4
	v_or_b32_e32 v3, 0x10000, v4
	s_delay_alu instid0(VALU_DEP_2) | instskip(NEXT) | instid1(VALU_DEP_1)
	v_cmp_eq_u32_e64 s1, 0, v2
	v_cndmask_b32_e64 v38, v3, v4, s1
; %bb.788:                              ;   in Loop: Header=BB456_8 Depth=1
	s_or_b32 exec_lo, exec_lo, s2
	v_lshrrev_b16 v2, 8, v30
	v_mov_b32_e32 v4, 0
	s_mov_b32 s2, exec_lo
	s_delay_alu instid0(VALU_DEP_2)
	v_cmpx_ne_u16_e32 0, v2
	s_cbranch_execz .LBB456_796
; %bb.789:                              ;   in Loop: Header=BB456_8 Depth=1
	v_bfrev_b32_e32 v4, 1
	s_mov_b32 s18, exec_lo
	v_cmpx_ne_u16_e32 0x80, v2
	s_cbranch_execz .LBB456_795
; %bb.790:                              ;   in Loop: Header=BB456_8 Depth=1
	v_and_b32_e32 v3, 0xffff, v2
	v_mov_b32_e32 v4, 0x7f800001
	s_mov_b32 s19, exec_lo
	s_delay_alu instid0(VALU_DEP_2) | instskip(NEXT) | instid1(VALU_DEP_1)
	v_and_b32_e32 v2, 0x7f, v3
	v_cmpx_ne_u32_e32 0x7f, v2
	s_cbranch_execz .LBB456_794
; %bb.791:                              ;   in Loop: Header=BB456_8 Depth=1
	v_and_b32_e32 v18, 7, v3
	v_lshrrev_b32_e32 v4, 3, v2
	s_mov_b32 s20, exec_lo
	v_cmpx_gt_u32_e32 8, v2
; %bb.792:                              ;   in Loop: Header=BB456_8 Depth=1
	s_delay_alu instid0(VALU_DEP_3) | instskip(NEXT) | instid1(VALU_DEP_1)
	v_clz_i32_u32_e32 v2, v18
	v_min_u32_e32 v4, 32, v2
	s_delay_alu instid0(VALU_DEP_1) | instskip(SKIP_1) | instid1(VALU_DEP_2)
	v_subrev_nc_u32_e32 v2, 28, v4
	v_sub_nc_u32_e32 v4, 29, v4
	v_lshlrev_b64 v[2:3], v2, v[18:19]
	s_delay_alu instid0(VALU_DEP_1)
	v_and_b32_e32 v18, 7, v2
; %bb.793:                              ;   in Loop: Header=BB456_8 Depth=1
	s_or_b32 exec_lo, exec_lo, s20
	v_lshlrev_b32_e32 v2, 16, v30
	s_delay_alu instid0(VALU_DEP_2) | instskip(SKIP_1) | instid1(VALU_DEP_3)
	v_lshlrev_b32_e32 v3, 20, v18
	v_lshl_add_u32 v4, v4, 23, 0x3c000000
	v_and_b32_e32 v2, 0x80000000, v2
	s_delay_alu instid0(VALU_DEP_1)
	v_or3_b32 v4, v3, v2, v4
.LBB456_794:                            ;   in Loop: Header=BB456_8 Depth=1
	s_or_b32 exec_lo, exec_lo, s19
.LBB456_795:                            ;   in Loop: Header=BB456_8 Depth=1
	s_delay_alu instid0(SALU_CYCLE_1)
	s_or_b32 exec_lo, exec_lo, s18
.LBB456_796:                            ;   in Loop: Header=BB456_8 Depth=1
	s_delay_alu instid0(SALU_CYCLE_1) | instskip(NEXT) | instid1(VALU_DEP_1)
	s_or_b32 exec_lo, exec_lo, s2
	v_mul_f32_e32 v4, v72, v4
                                        ; implicit-def: $vgpr5
	s_delay_alu instid0(VALU_DEP_1) | instskip(NEXT) | instid1(VALU_DEP_1)
	v_and_b32_e32 v2, 0x7f800000, v4
	v_cmp_ne_u32_e64 s1, 0x7f800000, v2
	s_delay_alu instid0(VALU_DEP_1) | instskip(NEXT) | instid1(SALU_CYCLE_1)
	s_and_saveexec_b32 s2, s1
	s_xor_b32 s1, exec_lo, s2
; %bb.797:                              ;   in Loop: Header=BB456_8 Depth=1
	v_bfe_u32 v2, v4, 16, 1
	s_delay_alu instid0(VALU_DEP_1)
	v_add3_u32 v5, v4, v2, 0x7fff
                                        ; implicit-def: $vgpr4
; %bb.798:                              ;   in Loop: Header=BB456_8 Depth=1
	s_and_not1_saveexec_b32 s2, s1
; %bb.799:                              ;   in Loop: Header=BB456_8 Depth=1
	v_and_b32_e32 v2, 0xffff, v4
	v_or_b32_e32 v3, 0x10000, v4
	s_delay_alu instid0(VALU_DEP_2) | instskip(NEXT) | instid1(VALU_DEP_1)
	v_cmp_eq_u32_e64 s1, 0, v2
	v_cndmask_b32_e64 v5, v3, v4, s1
; %bb.800:                              ;   in Loop: Header=BB456_8 Depth=1
	s_or_b32 exec_lo, exec_lo, s2
	v_lshrrev_b32_e32 v4, 16, v30
	v_mov_b32_e32 v6, 0
	s_mov_b32 s2, exec_lo
	s_delay_alu instid0(VALU_DEP_2) | instskip(NEXT) | instid1(VALU_DEP_1)
	v_and_b32_e32 v2, 0xff, v4
	v_cmpx_ne_u16_e32 0, v2
	s_cbranch_execz .LBB456_808
; %bb.801:                              ;   in Loop: Header=BB456_8 Depth=1
	v_bfrev_b32_e32 v6, 1
	s_mov_b32 s18, exec_lo
	v_cmpx_ne_u16_e32 0x80, v2
	s_cbranch_execz .LBB456_807
; %bb.802:                              ;   in Loop: Header=BB456_8 Depth=1
	v_bfe_u32 v2, v30, 16, 7
	v_mov_b32_e32 v6, 0x7f800001
	s_mov_b32 s19, exec_lo
	s_delay_alu instid0(VALU_DEP_2)
	v_cmpx_ne_u32_e32 0x7f, v2
	s_cbranch_execz .LBB456_806
; %bb.803:                              ;   in Loop: Header=BB456_8 Depth=1
	v_and_b32_e32 v18, 7, v4
	v_lshrrev_b32_e32 v6, 3, v2
	s_mov_b32 s20, exec_lo
	v_cmpx_gt_u32_e32 8, v2
; %bb.804:                              ;   in Loop: Header=BB456_8 Depth=1
	s_delay_alu instid0(VALU_DEP_3) | instskip(NEXT) | instid1(VALU_DEP_1)
	v_clz_i32_u32_e32 v2, v18
	v_min_u32_e32 v6, 32, v2
	s_delay_alu instid0(VALU_DEP_1) | instskip(SKIP_1) | instid1(VALU_DEP_2)
	v_subrev_nc_u32_e32 v2, 28, v6
	v_sub_nc_u32_e32 v6, 29, v6
	v_lshlrev_b64 v[2:3], v2, v[18:19]
	s_delay_alu instid0(VALU_DEP_1)
	v_and_b32_e32 v18, 7, v2
; %bb.805:                              ;   in Loop: Header=BB456_8 Depth=1
	s_or_b32 exec_lo, exec_lo, s20
	v_lshlrev_b32_e32 v2, 24, v4
	s_delay_alu instid0(VALU_DEP_2) | instskip(SKIP_1) | instid1(VALU_DEP_3)
	v_lshlrev_b32_e32 v3, 20, v18
	v_lshl_add_u32 v4, v6, 23, 0x3c000000
	v_and_b32_e32 v2, 0x80000000, v2
	s_delay_alu instid0(VALU_DEP_1)
	v_or3_b32 v6, v3, v2, v4
.LBB456_806:                            ;   in Loop: Header=BB456_8 Depth=1
	s_or_b32 exec_lo, exec_lo, s19
.LBB456_807:                            ;   in Loop: Header=BB456_8 Depth=1
	s_delay_alu instid0(SALU_CYCLE_1)
	s_or_b32 exec_lo, exec_lo, s18
.LBB456_808:                            ;   in Loop: Header=BB456_8 Depth=1
	s_delay_alu instid0(SALU_CYCLE_1) | instskip(NEXT) | instid1(VALU_DEP_1)
	s_or_b32 exec_lo, exec_lo, s2
	v_mul_f32_e32 v6, v72, v6
                                        ; implicit-def: $vgpr4
	s_delay_alu instid0(VALU_DEP_1) | instskip(NEXT) | instid1(VALU_DEP_1)
	v_and_b32_e32 v2, 0x7f800000, v6
	v_cmp_ne_u32_e64 s1, 0x7f800000, v2
	s_delay_alu instid0(VALU_DEP_1) | instskip(NEXT) | instid1(SALU_CYCLE_1)
	s_and_saveexec_b32 s2, s1
	s_xor_b32 s1, exec_lo, s2
; %bb.809:                              ;   in Loop: Header=BB456_8 Depth=1
	v_bfe_u32 v2, v6, 16, 1
	s_delay_alu instid0(VALU_DEP_1)
	v_add3_u32 v4, v6, v2, 0x7fff
                                        ; implicit-def: $vgpr6
; %bb.810:                              ;   in Loop: Header=BB456_8 Depth=1
	s_and_not1_saveexec_b32 s2, s1
; %bb.811:                              ;   in Loop: Header=BB456_8 Depth=1
	v_and_b32_e32 v2, 0xffff, v6
	v_or_b32_e32 v3, 0x10000, v6
	s_delay_alu instid0(VALU_DEP_2) | instskip(NEXT) | instid1(VALU_DEP_1)
	v_cmp_eq_u32_e64 s1, 0, v2
	v_cndmask_b32_e64 v4, v3, v6, s1
; %bb.812:                              ;   in Loop: Header=BB456_8 Depth=1
	s_or_b32 exec_lo, exec_lo, s2
	v_mov_b32_e32 v7, 0
	s_mov_b32 s2, exec_lo
	v_cmpx_lt_u32_e32 0xffffff, v30
	s_cbranch_execz .LBB456_820
; %bb.813:                              ;   in Loop: Header=BB456_8 Depth=1
	v_lshrrev_b32_e32 v6, 24, v30
	v_bfrev_b32_e32 v7, 1
	s_mov_b32 s18, exec_lo
	s_delay_alu instid0(VALU_DEP_2)
	v_cmpx_ne_u32_e32 0x80, v6
	s_cbranch_execz .LBB456_819
; %bb.814:                              ;   in Loop: Header=BB456_8 Depth=1
	v_bfe_u32 v2, v30, 24, 7
	v_mov_b32_e32 v7, 0x7f800001
	s_mov_b32 s19, exec_lo
	s_delay_alu instid0(VALU_DEP_2)
	v_cmpx_ne_u32_e32 0x7f, v2
	s_cbranch_execz .LBB456_818
; %bb.815:                              ;   in Loop: Header=BB456_8 Depth=1
	v_and_b32_e32 v18, 7, v6
	v_lshrrev_b32_e32 v7, 3, v2
	s_mov_b32 s20, exec_lo
	v_cmpx_gt_u32_e32 8, v2
; %bb.816:                              ;   in Loop: Header=BB456_8 Depth=1
	s_delay_alu instid0(VALU_DEP_3) | instskip(NEXT) | instid1(VALU_DEP_1)
	v_clz_i32_u32_e32 v2, v18
	v_min_u32_e32 v7, 32, v2
	s_delay_alu instid0(VALU_DEP_1) | instskip(SKIP_1) | instid1(VALU_DEP_2)
	v_subrev_nc_u32_e32 v2, 28, v7
	v_sub_nc_u32_e32 v7, 29, v7
	v_lshlrev_b64 v[2:3], v2, v[18:19]
	s_delay_alu instid0(VALU_DEP_1)
	v_and_b32_e32 v18, 7, v2
; %bb.817:                              ;   in Loop: Header=BB456_8 Depth=1
	s_or_b32 exec_lo, exec_lo, s20
	v_lshlrev_b32_e32 v2, 24, v6
	s_delay_alu instid0(VALU_DEP_2) | instskip(SKIP_1) | instid1(VALU_DEP_3)
	v_lshlrev_b32_e32 v3, 20, v18
	v_lshl_add_u32 v6, v7, 23, 0x3c000000
	v_and_b32_e32 v2, 0x80000000, v2
	s_delay_alu instid0(VALU_DEP_1)
	v_or3_b32 v7, v3, v2, v6
.LBB456_818:                            ;   in Loop: Header=BB456_8 Depth=1
	s_or_b32 exec_lo, exec_lo, s19
.LBB456_819:                            ;   in Loop: Header=BB456_8 Depth=1
	s_delay_alu instid0(SALU_CYCLE_1)
	s_or_b32 exec_lo, exec_lo, s18
.LBB456_820:                            ;   in Loop: Header=BB456_8 Depth=1
	s_delay_alu instid0(SALU_CYCLE_1) | instskip(NEXT) | instid1(VALU_DEP_1)
	s_or_b32 exec_lo, exec_lo, s2
	v_mul_f32_e32 v6, v72, v7
                                        ; implicit-def: $vgpr36
	s_delay_alu instid0(VALU_DEP_1) | instskip(NEXT) | instid1(VALU_DEP_1)
	v_and_b32_e32 v2, 0x7f800000, v6
	v_cmp_ne_u32_e64 s1, 0x7f800000, v2
	s_delay_alu instid0(VALU_DEP_1) | instskip(NEXT) | instid1(SALU_CYCLE_1)
	s_and_saveexec_b32 s2, s1
	s_xor_b32 s1, exec_lo, s2
; %bb.821:                              ;   in Loop: Header=BB456_8 Depth=1
	v_bfe_u32 v2, v6, 16, 1
	s_delay_alu instid0(VALU_DEP_1)
	v_add3_u32 v36, v6, v2, 0x7fff
                                        ; implicit-def: $vgpr6
; %bb.822:                              ;   in Loop: Header=BB456_8 Depth=1
	s_and_not1_saveexec_b32 s2, s1
; %bb.823:                              ;   in Loop: Header=BB456_8 Depth=1
	v_and_b32_e32 v2, 0xffff, v6
	v_or_b32_e32 v3, 0x10000, v6
	s_delay_alu instid0(VALU_DEP_2) | instskip(NEXT) | instid1(VALU_DEP_1)
	v_cmp_eq_u32_e64 s1, 0, v2
	v_cndmask_b32_e64 v36, v3, v6, s1
; %bb.824:                              ;   in Loop: Header=BB456_8 Depth=1
	s_or_b32 exec_lo, exec_lo, s2
	v_and_b32_e32 v2, 0xff, v31
	v_mov_b32_e32 v18, v31
	v_mov_b32_e32 v6, 0
	s_mov_b32 s2, exec_lo
	s_delay_alu instid0(VALU_DEP_3)
	v_cmpx_ne_u16_e32 0, v2
	s_cbranch_execz .LBB456_832
; %bb.825:                              ;   in Loop: Header=BB456_8 Depth=1
	v_bfrev_b32_e32 v6, 1
	s_mov_b32 s18, exec_lo
	v_cmpx_ne_u16_e32 0x80, v2
	s_cbranch_execz .LBB456_831
; %bb.826:                              ;   in Loop: Header=BB456_8 Depth=1
	v_and_b32_e32 v3, 0x7f, v31
	v_mov_b32_e32 v6, 0x7f800001
	s_mov_b32 s19, exec_lo
	s_delay_alu instid0(VALU_DEP_2)
	v_cmpx_ne_u32_e32 0x7f, v3
	s_cbranch_execz .LBB456_830
; %bb.827:                              ;   in Loop: Header=BB456_8 Depth=1
	v_lshrrev_b32_e32 v2, 3, v3
	v_dual_mov_b32 v33, v19 :: v_dual_mov_b32 v32, v18
	s_mov_b32 s20, exec_lo
	v_cmpx_gt_u32_e32 8, v3
; %bb.828:                              ;   in Loop: Header=BB456_8 Depth=1
	v_and_b32_e32 v2, 7, v31
	s_delay_alu instid0(VALU_DEP_1) | instskip(NEXT) | instid1(VALU_DEP_1)
	v_clz_i32_u32_e32 v2, v2
	v_min_u32_e32 v2, 32, v2
	s_delay_alu instid0(VALU_DEP_1) | instskip(SKIP_1) | instid1(VALU_DEP_2)
	v_subrev_nc_u32_e32 v3, 28, v2
	v_sub_nc_u32_e32 v2, 29, v2
	v_lshlrev_b64 v[32:33], v3, v[18:19]
; %bb.829:                              ;   in Loop: Header=BB456_8 Depth=1
	s_or_b32 exec_lo, exec_lo, s20
	s_delay_alu instid0(VALU_DEP_1) | instskip(SKIP_2) | instid1(VALU_DEP_3)
	v_lshlrev_b32_e32 v3, 20, v32
	v_lshlrev_b32_e32 v6, 24, v18
	v_lshl_add_u32 v2, v2, 23, 0x3c000000
	v_and_b32_e32 v3, 0x700000, v3
	s_delay_alu instid0(VALU_DEP_3) | instskip(NEXT) | instid1(VALU_DEP_1)
	v_and_b32_e32 v6, 0x80000000, v6
	v_or3_b32 v6, v3, v6, v2
.LBB456_830:                            ;   in Loop: Header=BB456_8 Depth=1
	s_or_b32 exec_lo, exec_lo, s19
.LBB456_831:                            ;   in Loop: Header=BB456_8 Depth=1
	s_delay_alu instid0(SALU_CYCLE_1)
	s_or_b32 exec_lo, exec_lo, s18
.LBB456_832:                            ;   in Loop: Header=BB456_8 Depth=1
	s_delay_alu instid0(SALU_CYCLE_1) | instskip(NEXT) | instid1(VALU_DEP_1)
	s_or_b32 exec_lo, exec_lo, s2
	v_mul_f32_e32 v6, v72, v6
                                        ; implicit-def: $vgpr23
	s_delay_alu instid0(VALU_DEP_1) | instskip(NEXT) | instid1(VALU_DEP_1)
	v_and_b32_e32 v2, 0x7f800000, v6
	v_cmp_ne_u32_e64 s1, 0x7f800000, v2
	s_delay_alu instid0(VALU_DEP_1) | instskip(NEXT) | instid1(SALU_CYCLE_1)
	s_and_saveexec_b32 s2, s1
	s_xor_b32 s1, exec_lo, s2
; %bb.833:                              ;   in Loop: Header=BB456_8 Depth=1
	v_bfe_u32 v2, v6, 16, 1
	s_delay_alu instid0(VALU_DEP_1)
	v_add3_u32 v23, v6, v2, 0x7fff
                                        ; implicit-def: $vgpr6
; %bb.834:                              ;   in Loop: Header=BB456_8 Depth=1
	s_and_not1_saveexec_b32 s2, s1
; %bb.835:                              ;   in Loop: Header=BB456_8 Depth=1
	v_and_b32_e32 v2, 0xffff, v6
	v_or_b32_e32 v3, 0x10000, v6
	s_delay_alu instid0(VALU_DEP_2) | instskip(NEXT) | instid1(VALU_DEP_1)
	v_cmp_eq_u32_e64 s1, 0, v2
	v_cndmask_b32_e64 v23, v3, v6, s1
; %bb.836:                              ;   in Loop: Header=BB456_8 Depth=1
	s_or_b32 exec_lo, exec_lo, s2
	v_lshrrev_b16 v2, 8, v18
	v_mov_b32_e32 v6, 0
	s_mov_b32 s2, exec_lo
	s_delay_alu instid0(VALU_DEP_2)
	v_cmpx_ne_u16_e32 0, v2
	s_cbranch_execz .LBB456_844
; %bb.837:                              ;   in Loop: Header=BB456_8 Depth=1
	v_bfrev_b32_e32 v6, 1
	s_mov_b32 s18, exec_lo
	v_cmpx_ne_u16_e32 0x80, v2
	s_cbranch_execz .LBB456_843
; %bb.838:                              ;   in Loop: Header=BB456_8 Depth=1
	v_and_b32_e32 v3, 0xffff, v2
	v_mov_b32_e32 v6, 0x7f800001
	s_mov_b32 s19, exec_lo
	s_delay_alu instid0(VALU_DEP_2) | instskip(NEXT) | instid1(VALU_DEP_1)
	v_and_b32_e32 v2, 0x7f, v3
	v_cmpx_ne_u32_e32 0x7f, v2
	s_cbranch_execz .LBB456_842
; %bb.839:                              ;   in Loop: Header=BB456_8 Depth=1
	v_dual_mov_b32 v33, v19 :: v_dual_and_b32 v32, 7, v3
	v_lshrrev_b32_e32 v6, 3, v2
	s_mov_b32 s20, exec_lo
	v_cmpx_gt_u32_e32 8, v2
; %bb.840:                              ;   in Loop: Header=BB456_8 Depth=1
	s_delay_alu instid0(VALU_DEP_3) | instskip(NEXT) | instid1(VALU_DEP_1)
	v_clz_i32_u32_e32 v2, v32
	v_min_u32_e32 v6, 32, v2
	s_delay_alu instid0(VALU_DEP_1) | instskip(SKIP_1) | instid1(VALU_DEP_2)
	v_subrev_nc_u32_e32 v2, 28, v6
	v_sub_nc_u32_e32 v6, 29, v6
	v_lshlrev_b64 v[2:3], v2, v[32:33]
	s_delay_alu instid0(VALU_DEP_1)
	v_and_b32_e32 v32, 7, v2
; %bb.841:                              ;   in Loop: Header=BB456_8 Depth=1
	s_or_b32 exec_lo, exec_lo, s20
	v_lshlrev_b32_e32 v2, 16, v18
	s_delay_alu instid0(VALU_DEP_2) | instskip(SKIP_1) | instid1(VALU_DEP_3)
	v_lshlrev_b32_e32 v3, 20, v32
	v_lshl_add_u32 v6, v6, 23, 0x3c000000
	v_and_b32_e32 v2, 0x80000000, v2
	s_delay_alu instid0(VALU_DEP_1)
	v_or3_b32 v6, v3, v2, v6
.LBB456_842:                            ;   in Loop: Header=BB456_8 Depth=1
	s_or_b32 exec_lo, exec_lo, s19
.LBB456_843:                            ;   in Loop: Header=BB456_8 Depth=1
	s_delay_alu instid0(SALU_CYCLE_1)
	s_or_b32 exec_lo, exec_lo, s18
.LBB456_844:                            ;   in Loop: Header=BB456_8 Depth=1
	s_delay_alu instid0(SALU_CYCLE_1) | instskip(NEXT) | instid1(VALU_DEP_1)
	s_or_b32 exec_lo, exec_lo, s2
	v_mul_f32_e32 v6, v72, v6
                                        ; implicit-def: $vgpr32
	s_delay_alu instid0(VALU_DEP_1) | instskip(NEXT) | instid1(VALU_DEP_1)
	v_and_b32_e32 v2, 0x7f800000, v6
	v_cmp_ne_u32_e64 s1, 0x7f800000, v2
	s_delay_alu instid0(VALU_DEP_1) | instskip(NEXT) | instid1(SALU_CYCLE_1)
	s_and_saveexec_b32 s2, s1
	s_xor_b32 s1, exec_lo, s2
; %bb.845:                              ;   in Loop: Header=BB456_8 Depth=1
	v_bfe_u32 v2, v6, 16, 1
	s_delay_alu instid0(VALU_DEP_1)
	v_add3_u32 v32, v6, v2, 0x7fff
                                        ; implicit-def: $vgpr6
; %bb.846:                              ;   in Loop: Header=BB456_8 Depth=1
	s_and_not1_saveexec_b32 s2, s1
; %bb.847:                              ;   in Loop: Header=BB456_8 Depth=1
	v_and_b32_e32 v2, 0xffff, v6
	v_or_b32_e32 v3, 0x10000, v6
	s_delay_alu instid0(VALU_DEP_2) | instskip(NEXT) | instid1(VALU_DEP_1)
	v_cmp_eq_u32_e64 s1, 0, v2
	v_cndmask_b32_e64 v32, v3, v6, s1
; %bb.848:                              ;   in Loop: Header=BB456_8 Depth=1
	s_or_b32 exec_lo, exec_lo, s2
	v_lshrrev_b32_e32 v6, 16, v31
	s_mov_b32 s2, exec_lo
	s_delay_alu instid0(VALU_DEP_1) | instskip(NEXT) | instid1(VALU_DEP_1)
	v_dual_mov_b32 v7, 0 :: v_dual_and_b32 v2, 0xff, v6
	v_cmpx_ne_u16_e32 0, v2
	s_cbranch_execz .LBB456_856
; %bb.849:                              ;   in Loop: Header=BB456_8 Depth=1
	v_bfrev_b32_e32 v7, 1
	s_mov_b32 s18, exec_lo
	v_cmpx_ne_u16_e32 0x80, v2
	s_cbranch_execz .LBB456_855
; %bb.850:                              ;   in Loop: Header=BB456_8 Depth=1
	v_bfe_u32 v2, v31, 16, 7
	v_mov_b32_e32 v7, 0x7f800001
	s_mov_b32 s19, exec_lo
	s_delay_alu instid0(VALU_DEP_2)
	v_cmpx_ne_u32_e32 0x7f, v2
	s_cbranch_execz .LBB456_854
; %bb.851:                              ;   in Loop: Header=BB456_8 Depth=1
	v_and_b32_e32 v18, 7, v6
	v_lshrrev_b32_e32 v7, 3, v2
	s_mov_b32 s20, exec_lo
	v_cmpx_gt_u32_e32 8, v2
; %bb.852:                              ;   in Loop: Header=BB456_8 Depth=1
	s_delay_alu instid0(VALU_DEP_3) | instskip(NEXT) | instid1(VALU_DEP_1)
	v_clz_i32_u32_e32 v2, v18
	v_min_u32_e32 v7, 32, v2
	s_delay_alu instid0(VALU_DEP_1) | instskip(SKIP_1) | instid1(VALU_DEP_2)
	v_subrev_nc_u32_e32 v2, 28, v7
	v_sub_nc_u32_e32 v7, 29, v7
	v_lshlrev_b64 v[2:3], v2, v[18:19]
	s_delay_alu instid0(VALU_DEP_1)
	v_and_b32_e32 v18, 7, v2
; %bb.853:                              ;   in Loop: Header=BB456_8 Depth=1
	s_or_b32 exec_lo, exec_lo, s20
	v_lshlrev_b32_e32 v2, 24, v6
	s_delay_alu instid0(VALU_DEP_2) | instskip(SKIP_1) | instid1(VALU_DEP_3)
	v_lshlrev_b32_e32 v3, 20, v18
	v_lshl_add_u32 v6, v7, 23, 0x3c000000
	v_and_b32_e32 v2, 0x80000000, v2
	s_delay_alu instid0(VALU_DEP_1)
	v_or3_b32 v7, v3, v2, v6
.LBB456_854:                            ;   in Loop: Header=BB456_8 Depth=1
	s_or_b32 exec_lo, exec_lo, s19
.LBB456_855:                            ;   in Loop: Header=BB456_8 Depth=1
	s_delay_alu instid0(SALU_CYCLE_1)
	s_or_b32 exec_lo, exec_lo, s18
.LBB456_856:                            ;   in Loop: Header=BB456_8 Depth=1
	s_delay_alu instid0(SALU_CYCLE_1) | instskip(NEXT) | instid1(VALU_DEP_1)
	s_or_b32 exec_lo, exec_lo, s2
	v_mul_f32_e32 v6, v72, v7
                                        ; implicit-def: $vgpr33
	s_delay_alu instid0(VALU_DEP_1) | instskip(NEXT) | instid1(VALU_DEP_1)
	v_and_b32_e32 v2, 0x7f800000, v6
	v_cmp_ne_u32_e64 s1, 0x7f800000, v2
	s_delay_alu instid0(VALU_DEP_1) | instskip(NEXT) | instid1(SALU_CYCLE_1)
	s_and_saveexec_b32 s2, s1
	s_xor_b32 s1, exec_lo, s2
; %bb.857:                              ;   in Loop: Header=BB456_8 Depth=1
	v_bfe_u32 v2, v6, 16, 1
	s_delay_alu instid0(VALU_DEP_1)
	v_add3_u32 v33, v6, v2, 0x7fff
                                        ; implicit-def: $vgpr6
; %bb.858:                              ;   in Loop: Header=BB456_8 Depth=1
	s_and_not1_saveexec_b32 s2, s1
; %bb.859:                              ;   in Loop: Header=BB456_8 Depth=1
	v_and_b32_e32 v2, 0xffff, v6
	v_or_b32_e32 v3, 0x10000, v6
	s_delay_alu instid0(VALU_DEP_2) | instskip(NEXT) | instid1(VALU_DEP_1)
	v_cmp_eq_u32_e64 s1, 0, v2
	v_cndmask_b32_e64 v33, v3, v6, s1
; %bb.860:                              ;   in Loop: Header=BB456_8 Depth=1
	s_or_b32 exec_lo, exec_lo, s2
	v_mov_b32_e32 v7, 0
	s_mov_b32 s2, exec_lo
	v_cmpx_lt_u64_e64 s[8:9], v[30:31]
	s_cbranch_execz .LBB456_868
; %bb.861:                              ;   in Loop: Header=BB456_8 Depth=1
	v_lshrrev_b32_e32 v6, 24, v31
	v_bfrev_b32_e32 v7, 1
	s_mov_b32 s18, exec_lo
	s_delay_alu instid0(VALU_DEP_2)
	v_cmpx_ne_u32_e32 0x80, v6
	s_cbranch_execz .LBB456_867
; %bb.862:                              ;   in Loop: Header=BB456_8 Depth=1
	v_bfe_u32 v2, v31, 24, 7
	v_mov_b32_e32 v7, 0x7f800001
	s_mov_b32 s19, exec_lo
	s_delay_alu instid0(VALU_DEP_2)
	v_cmpx_ne_u32_e32 0x7f, v2
	s_cbranch_execz .LBB456_866
; %bb.863:                              ;   in Loop: Header=BB456_8 Depth=1
	v_and_b32_e32 v18, 7, v6
	v_lshrrev_b32_e32 v7, 3, v2
	s_mov_b32 s20, exec_lo
	v_cmpx_gt_u32_e32 8, v2
; %bb.864:                              ;   in Loop: Header=BB456_8 Depth=1
	s_delay_alu instid0(VALU_DEP_3) | instskip(NEXT) | instid1(VALU_DEP_1)
	v_clz_i32_u32_e32 v2, v18
	v_min_u32_e32 v7, 32, v2
	s_delay_alu instid0(VALU_DEP_1) | instskip(SKIP_1) | instid1(VALU_DEP_2)
	v_subrev_nc_u32_e32 v2, 28, v7
	v_sub_nc_u32_e32 v7, 29, v7
	v_lshlrev_b64 v[2:3], v2, v[18:19]
	s_delay_alu instid0(VALU_DEP_1)
	v_and_b32_e32 v18, 7, v2
; %bb.865:                              ;   in Loop: Header=BB456_8 Depth=1
	s_or_b32 exec_lo, exec_lo, s20
	v_lshlrev_b32_e32 v2, 24, v6
	s_delay_alu instid0(VALU_DEP_2) | instskip(SKIP_1) | instid1(VALU_DEP_3)
	v_lshlrev_b32_e32 v3, 20, v18
	v_lshl_add_u32 v6, v7, 23, 0x3c000000
	v_and_b32_e32 v2, 0x80000000, v2
	s_delay_alu instid0(VALU_DEP_1)
	v_or3_b32 v7, v3, v2, v6
.LBB456_866:                            ;   in Loop: Header=BB456_8 Depth=1
	s_or_b32 exec_lo, exec_lo, s19
.LBB456_867:                            ;   in Loop: Header=BB456_8 Depth=1
	s_delay_alu instid0(SALU_CYCLE_1)
	s_or_b32 exec_lo, exec_lo, s18
.LBB456_868:                            ;   in Loop: Header=BB456_8 Depth=1
	s_delay_alu instid0(SALU_CYCLE_1) | instskip(NEXT) | instid1(VALU_DEP_1)
	s_or_b32 exec_lo, exec_lo, s2
	v_mul_f32_e32 v6, v72, v7
                                        ; implicit-def: $vgpr48
	s_delay_alu instid0(VALU_DEP_1) | instskip(NEXT) | instid1(VALU_DEP_1)
	v_and_b32_e32 v2, 0x7f800000, v6
	v_cmp_ne_u32_e64 s1, 0x7f800000, v2
	s_delay_alu instid0(VALU_DEP_1) | instskip(NEXT) | instid1(SALU_CYCLE_1)
	s_and_saveexec_b32 s2, s1
	s_xor_b32 s1, exec_lo, s2
; %bb.869:                              ;   in Loop: Header=BB456_8 Depth=1
	v_bfe_u32 v2, v6, 16, 1
	s_delay_alu instid0(VALU_DEP_1)
	v_add3_u32 v48, v6, v2, 0x7fff
                                        ; implicit-def: $vgpr6
; %bb.870:                              ;   in Loop: Header=BB456_8 Depth=1
	s_and_not1_saveexec_b32 s2, s1
; %bb.871:                              ;   in Loop: Header=BB456_8 Depth=1
	v_and_b32_e32 v2, 0xffff, v6
	v_or_b32_e32 v3, 0x10000, v6
	s_delay_alu instid0(VALU_DEP_2) | instskip(NEXT) | instid1(VALU_DEP_1)
	v_cmp_eq_u32_e64 s1, 0, v2
	v_cndmask_b32_e64 v48, v3, v6, s1
; %bb.872:                              ;   in Loop: Header=BB456_8 Depth=1
	s_or_b32 exec_lo, exec_lo, s2
	flat_load_b64 v[28:29], v[28:29] offset:2056
	v_mov_b32_e32 v6, 0
	s_mov_b32 s2, exec_lo
	s_waitcnt vmcnt(0) lgkmcnt(0)
	v_and_b32_e32 v2, 0xff, v28
	s_delay_alu instid0(VALU_DEP_1)
	v_cmpx_ne_u16_e32 0, v2
	s_cbranch_execz .LBB456_880
; %bb.873:                              ;   in Loop: Header=BB456_8 Depth=1
	v_bfrev_b32_e32 v6, 1
	s_mov_b32 s18, exec_lo
	v_cmpx_ne_u16_e32 0x80, v2
	s_cbranch_execz .LBB456_879
; %bb.874:                              ;   in Loop: Header=BB456_8 Depth=1
	v_and_b32_e32 v3, 0x7f, v28
	v_mov_b32_e32 v6, 0x7f800001
	s_mov_b32 s19, exec_lo
	s_delay_alu instid0(VALU_DEP_2)
	v_cmpx_ne_u32_e32 0x7f, v3
	s_cbranch_execz .LBB456_878
; %bb.875:                              ;   in Loop: Header=BB456_8 Depth=1
	v_lshrrev_b32_e32 v2, 3, v3
	v_dual_mov_b32 v31, v29 :: v_dual_mov_b32 v30, v28
	s_mov_b32 s20, exec_lo
	v_cmpx_gt_u32_e32 8, v3
; %bb.876:                              ;   in Loop: Header=BB456_8 Depth=1
	v_and_b32_e32 v2, 7, v28
	s_delay_alu instid0(VALU_DEP_1) | instskip(NEXT) | instid1(VALU_DEP_1)
	v_clz_i32_u32_e32 v2, v2
	v_min_u32_e32 v2, 32, v2
	s_delay_alu instid0(VALU_DEP_1) | instskip(SKIP_1) | instid1(VALU_DEP_2)
	v_subrev_nc_u32_e32 v3, 28, v2
	v_sub_nc_u32_e32 v2, 29, v2
	v_lshlrev_b64 v[30:31], v3, v[28:29]
; %bb.877:                              ;   in Loop: Header=BB456_8 Depth=1
	s_or_b32 exec_lo, exec_lo, s20
	s_delay_alu instid0(VALU_DEP_1) | instskip(SKIP_2) | instid1(VALU_DEP_3)
	v_lshlrev_b32_e32 v3, 20, v30
	v_lshlrev_b32_e32 v6, 24, v28
	v_lshl_add_u32 v2, v2, 23, 0x3c000000
	v_and_b32_e32 v3, 0x700000, v3
	s_delay_alu instid0(VALU_DEP_3) | instskip(NEXT) | instid1(VALU_DEP_1)
	v_and_b32_e32 v6, 0x80000000, v6
	v_or3_b32 v6, v3, v6, v2
.LBB456_878:                            ;   in Loop: Header=BB456_8 Depth=1
	s_or_b32 exec_lo, exec_lo, s19
.LBB456_879:                            ;   in Loop: Header=BB456_8 Depth=1
	s_delay_alu instid0(SALU_CYCLE_1)
	s_or_b32 exec_lo, exec_lo, s18
.LBB456_880:                            ;   in Loop: Header=BB456_8 Depth=1
	s_delay_alu instid0(SALU_CYCLE_1) | instskip(NEXT) | instid1(VALU_DEP_1)
	s_or_b32 exec_lo, exec_lo, s2
	v_mul_f32_e32 v6, v72, v6
                                        ; implicit-def: $vgpr12
	s_delay_alu instid0(VALU_DEP_1) | instskip(NEXT) | instid1(VALU_DEP_1)
	v_and_b32_e32 v2, 0x7f800000, v6
	v_cmp_ne_u32_e64 s1, 0x7f800000, v2
	s_delay_alu instid0(VALU_DEP_1) | instskip(NEXT) | instid1(SALU_CYCLE_1)
	s_and_saveexec_b32 s2, s1
	s_xor_b32 s1, exec_lo, s2
; %bb.881:                              ;   in Loop: Header=BB456_8 Depth=1
	v_bfe_u32 v2, v6, 16, 1
	s_delay_alu instid0(VALU_DEP_1)
	v_add3_u32 v12, v6, v2, 0x7fff
                                        ; implicit-def: $vgpr6
; %bb.882:                              ;   in Loop: Header=BB456_8 Depth=1
	s_and_not1_saveexec_b32 s2, s1
; %bb.883:                              ;   in Loop: Header=BB456_8 Depth=1
	v_and_b32_e32 v2, 0xffff, v6
	v_or_b32_e32 v3, 0x10000, v6
	s_delay_alu instid0(VALU_DEP_2) | instskip(NEXT) | instid1(VALU_DEP_1)
	v_cmp_eq_u32_e64 s1, 0, v2
	v_cndmask_b32_e64 v12, v3, v6, s1
; %bb.884:                              ;   in Loop: Header=BB456_8 Depth=1
	s_or_b32 exec_lo, exec_lo, s2
	v_lshrrev_b16 v2, 8, v28
	v_mov_b32_e32 v6, 0
	s_mov_b32 s2, exec_lo
	s_delay_alu instid0(VALU_DEP_2)
	v_cmpx_ne_u16_e32 0, v2
	s_cbranch_execz .LBB456_892
; %bb.885:                              ;   in Loop: Header=BB456_8 Depth=1
	v_bfrev_b32_e32 v6, 1
	s_mov_b32 s18, exec_lo
	v_cmpx_ne_u16_e32 0x80, v2
	s_cbranch_execz .LBB456_891
; %bb.886:                              ;   in Loop: Header=BB456_8 Depth=1
	v_and_b32_e32 v3, 0xffff, v2
	v_mov_b32_e32 v6, 0x7f800001
	s_mov_b32 s19, exec_lo
	s_delay_alu instid0(VALU_DEP_2) | instskip(NEXT) | instid1(VALU_DEP_1)
	v_and_b32_e32 v2, 0x7f, v3
	v_cmpx_ne_u32_e32 0x7f, v2
	s_cbranch_execz .LBB456_890
; %bb.887:                              ;   in Loop: Header=BB456_8 Depth=1
	v_and_b32_e32 v18, 7, v3
	v_lshrrev_b32_e32 v6, 3, v2
	s_mov_b32 s20, exec_lo
	v_cmpx_gt_u32_e32 8, v2
; %bb.888:                              ;   in Loop: Header=BB456_8 Depth=1
	s_delay_alu instid0(VALU_DEP_3) | instskip(NEXT) | instid1(VALU_DEP_1)
	v_clz_i32_u32_e32 v2, v18
	v_min_u32_e32 v6, 32, v2
	s_delay_alu instid0(VALU_DEP_1) | instskip(SKIP_1) | instid1(VALU_DEP_2)
	v_subrev_nc_u32_e32 v2, 28, v6
	v_sub_nc_u32_e32 v6, 29, v6
	v_lshlrev_b64 v[2:3], v2, v[18:19]
	s_delay_alu instid0(VALU_DEP_1)
	v_and_b32_e32 v18, 7, v2
; %bb.889:                              ;   in Loop: Header=BB456_8 Depth=1
	s_or_b32 exec_lo, exec_lo, s20
	v_lshlrev_b32_e32 v2, 16, v28
	s_delay_alu instid0(VALU_DEP_2) | instskip(SKIP_1) | instid1(VALU_DEP_3)
	v_lshlrev_b32_e32 v3, 20, v18
	v_lshl_add_u32 v6, v6, 23, 0x3c000000
	v_and_b32_e32 v2, 0x80000000, v2
	s_delay_alu instid0(VALU_DEP_1)
	v_or3_b32 v6, v3, v2, v6
.LBB456_890:                            ;   in Loop: Header=BB456_8 Depth=1
	s_or_b32 exec_lo, exec_lo, s19
.LBB456_891:                            ;   in Loop: Header=BB456_8 Depth=1
	s_delay_alu instid0(SALU_CYCLE_1)
	s_or_b32 exec_lo, exec_lo, s18
.LBB456_892:                            ;   in Loop: Header=BB456_8 Depth=1
	s_delay_alu instid0(SALU_CYCLE_1) | instskip(NEXT) | instid1(VALU_DEP_1)
	s_or_b32 exec_lo, exec_lo, s2
	v_mul_f32_e32 v6, v72, v6
                                        ; implicit-def: $vgpr11
	s_delay_alu instid0(VALU_DEP_1) | instskip(NEXT) | instid1(VALU_DEP_1)
	v_and_b32_e32 v2, 0x7f800000, v6
	v_cmp_ne_u32_e64 s1, 0x7f800000, v2
	s_delay_alu instid0(VALU_DEP_1) | instskip(NEXT) | instid1(SALU_CYCLE_1)
	s_and_saveexec_b32 s2, s1
	s_xor_b32 s1, exec_lo, s2
; %bb.893:                              ;   in Loop: Header=BB456_8 Depth=1
	v_bfe_u32 v2, v6, 16, 1
	s_delay_alu instid0(VALU_DEP_1)
	v_add3_u32 v11, v6, v2, 0x7fff
                                        ; implicit-def: $vgpr6
; %bb.894:                              ;   in Loop: Header=BB456_8 Depth=1
	s_and_not1_saveexec_b32 s2, s1
; %bb.895:                              ;   in Loop: Header=BB456_8 Depth=1
	v_and_b32_e32 v2, 0xffff, v6
	v_or_b32_e32 v3, 0x10000, v6
	s_delay_alu instid0(VALU_DEP_2) | instskip(NEXT) | instid1(VALU_DEP_1)
	v_cmp_eq_u32_e64 s1, 0, v2
	v_cndmask_b32_e64 v11, v3, v6, s1
; %bb.896:                              ;   in Loop: Header=BB456_8 Depth=1
	s_or_b32 exec_lo, exec_lo, s2
	v_lshrrev_b32_e32 v6, 16, v28
	s_mov_b32 s2, exec_lo
	s_delay_alu instid0(VALU_DEP_1) | instskip(NEXT) | instid1(VALU_DEP_1)
	v_dual_mov_b32 v7, 0 :: v_dual_and_b32 v2, 0xff, v6
	v_cmpx_ne_u16_e32 0, v2
	s_cbranch_execz .LBB456_904
; %bb.897:                              ;   in Loop: Header=BB456_8 Depth=1
	v_bfrev_b32_e32 v7, 1
	s_mov_b32 s18, exec_lo
	v_cmpx_ne_u16_e32 0x80, v2
	s_cbranch_execz .LBB456_903
; %bb.898:                              ;   in Loop: Header=BB456_8 Depth=1
	v_bfe_u32 v2, v28, 16, 7
	v_mov_b32_e32 v7, 0x7f800001
	s_mov_b32 s19, exec_lo
	s_delay_alu instid0(VALU_DEP_2)
	v_cmpx_ne_u32_e32 0x7f, v2
	s_cbranch_execz .LBB456_902
; %bb.899:                              ;   in Loop: Header=BB456_8 Depth=1
	v_and_b32_e32 v18, 7, v6
	v_lshrrev_b32_e32 v7, 3, v2
	s_mov_b32 s20, exec_lo
	v_cmpx_gt_u32_e32 8, v2
; %bb.900:                              ;   in Loop: Header=BB456_8 Depth=1
	s_delay_alu instid0(VALU_DEP_3) | instskip(NEXT) | instid1(VALU_DEP_1)
	v_clz_i32_u32_e32 v2, v18
	v_min_u32_e32 v7, 32, v2
	s_delay_alu instid0(VALU_DEP_1) | instskip(SKIP_1) | instid1(VALU_DEP_2)
	v_subrev_nc_u32_e32 v2, 28, v7
	v_sub_nc_u32_e32 v7, 29, v7
	v_lshlrev_b64 v[2:3], v2, v[18:19]
	s_delay_alu instid0(VALU_DEP_1)
	v_and_b32_e32 v18, 7, v2
; %bb.901:                              ;   in Loop: Header=BB456_8 Depth=1
	s_or_b32 exec_lo, exec_lo, s20
	v_lshlrev_b32_e32 v2, 24, v6
	s_delay_alu instid0(VALU_DEP_2) | instskip(SKIP_1) | instid1(VALU_DEP_3)
	v_lshlrev_b32_e32 v3, 20, v18
	v_lshl_add_u32 v6, v7, 23, 0x3c000000
	v_and_b32_e32 v2, 0x80000000, v2
	s_delay_alu instid0(VALU_DEP_1)
	v_or3_b32 v7, v3, v2, v6
.LBB456_902:                            ;   in Loop: Header=BB456_8 Depth=1
	s_or_b32 exec_lo, exec_lo, s19
.LBB456_903:                            ;   in Loop: Header=BB456_8 Depth=1
	s_delay_alu instid0(SALU_CYCLE_1)
	s_or_b32 exec_lo, exec_lo, s18
.LBB456_904:                            ;   in Loop: Header=BB456_8 Depth=1
	s_delay_alu instid0(SALU_CYCLE_1) | instskip(NEXT) | instid1(VALU_DEP_1)
	s_or_b32 exec_lo, exec_lo, s2
	v_mul_f32_e32 v6, v72, v7
                                        ; implicit-def: $vgpr10
	s_delay_alu instid0(VALU_DEP_1) | instskip(NEXT) | instid1(VALU_DEP_1)
	v_and_b32_e32 v2, 0x7f800000, v6
	v_cmp_ne_u32_e64 s1, 0x7f800000, v2
	s_delay_alu instid0(VALU_DEP_1) | instskip(NEXT) | instid1(SALU_CYCLE_1)
	s_and_saveexec_b32 s2, s1
	s_xor_b32 s1, exec_lo, s2
; %bb.905:                              ;   in Loop: Header=BB456_8 Depth=1
	v_bfe_u32 v2, v6, 16, 1
	s_delay_alu instid0(VALU_DEP_1)
	v_add3_u32 v10, v6, v2, 0x7fff
                                        ; implicit-def: $vgpr6
; %bb.906:                              ;   in Loop: Header=BB456_8 Depth=1
	s_and_not1_saveexec_b32 s2, s1
; %bb.907:                              ;   in Loop: Header=BB456_8 Depth=1
	v_and_b32_e32 v2, 0xffff, v6
	v_or_b32_e32 v3, 0x10000, v6
	s_delay_alu instid0(VALU_DEP_2) | instskip(NEXT) | instid1(VALU_DEP_1)
	v_cmp_eq_u32_e64 s1, 0, v2
	v_cndmask_b32_e64 v10, v3, v6, s1
; %bb.908:                              ;   in Loop: Header=BB456_8 Depth=1
	s_or_b32 exec_lo, exec_lo, s2
	v_mov_b32_e32 v7, 0
	s_mov_b32 s2, exec_lo
	v_cmpx_lt_u32_e32 0xffffff, v28
	s_cbranch_execz .LBB456_916
; %bb.909:                              ;   in Loop: Header=BB456_8 Depth=1
	v_lshrrev_b32_e32 v6, 24, v28
	v_bfrev_b32_e32 v7, 1
	s_mov_b32 s18, exec_lo
	s_delay_alu instid0(VALU_DEP_2)
	v_cmpx_ne_u32_e32 0x80, v6
	s_cbranch_execz .LBB456_915
; %bb.910:                              ;   in Loop: Header=BB456_8 Depth=1
	v_bfe_u32 v2, v28, 24, 7
	v_mov_b32_e32 v7, 0x7f800001
	s_mov_b32 s19, exec_lo
	s_delay_alu instid0(VALU_DEP_2)
	v_cmpx_ne_u32_e32 0x7f, v2
	s_cbranch_execz .LBB456_914
; %bb.911:                              ;   in Loop: Header=BB456_8 Depth=1
	v_and_b32_e32 v18, 7, v6
	v_lshrrev_b32_e32 v7, 3, v2
	s_mov_b32 s20, exec_lo
	v_cmpx_gt_u32_e32 8, v2
; %bb.912:                              ;   in Loop: Header=BB456_8 Depth=1
	s_delay_alu instid0(VALU_DEP_3) | instskip(NEXT) | instid1(VALU_DEP_1)
	v_clz_i32_u32_e32 v2, v18
	v_min_u32_e32 v7, 32, v2
	s_delay_alu instid0(VALU_DEP_1) | instskip(SKIP_1) | instid1(VALU_DEP_2)
	v_subrev_nc_u32_e32 v2, 28, v7
	v_sub_nc_u32_e32 v7, 29, v7
	v_lshlrev_b64 v[2:3], v2, v[18:19]
	s_delay_alu instid0(VALU_DEP_1)
	v_and_b32_e32 v18, 7, v2
; %bb.913:                              ;   in Loop: Header=BB456_8 Depth=1
	s_or_b32 exec_lo, exec_lo, s20
	v_lshlrev_b32_e32 v2, 24, v6
	s_delay_alu instid0(VALU_DEP_2) | instskip(SKIP_1) | instid1(VALU_DEP_3)
	v_lshlrev_b32_e32 v3, 20, v18
	v_lshl_add_u32 v6, v7, 23, 0x3c000000
	v_and_b32_e32 v2, 0x80000000, v2
	s_delay_alu instid0(VALU_DEP_1)
	v_or3_b32 v7, v3, v2, v6
.LBB456_914:                            ;   in Loop: Header=BB456_8 Depth=1
	s_or_b32 exec_lo, exec_lo, s19
.LBB456_915:                            ;   in Loop: Header=BB456_8 Depth=1
	s_delay_alu instid0(SALU_CYCLE_1)
	s_or_b32 exec_lo, exec_lo, s18
.LBB456_916:                            ;   in Loop: Header=BB456_8 Depth=1
	s_delay_alu instid0(SALU_CYCLE_1) | instskip(NEXT) | instid1(VALU_DEP_1)
	s_or_b32 exec_lo, exec_lo, s2
	v_mul_f32_e32 v7, v72, v7
                                        ; implicit-def: $vgpr6
	s_delay_alu instid0(VALU_DEP_1) | instskip(NEXT) | instid1(VALU_DEP_1)
	v_and_b32_e32 v2, 0x7f800000, v7
	v_cmp_ne_u32_e64 s1, 0x7f800000, v2
	s_delay_alu instid0(VALU_DEP_1) | instskip(NEXT) | instid1(SALU_CYCLE_1)
	s_and_saveexec_b32 s2, s1
	s_xor_b32 s1, exec_lo, s2
; %bb.917:                              ;   in Loop: Header=BB456_8 Depth=1
	v_bfe_u32 v2, v7, 16, 1
	s_delay_alu instid0(VALU_DEP_1)
	v_add3_u32 v6, v7, v2, 0x7fff
                                        ; implicit-def: $vgpr7
; %bb.918:                              ;   in Loop: Header=BB456_8 Depth=1
	s_and_not1_saveexec_b32 s2, s1
; %bb.919:                              ;   in Loop: Header=BB456_8 Depth=1
	v_and_b32_e32 v2, 0xffff, v7
	v_or_b32_e32 v3, 0x10000, v7
	s_delay_alu instid0(VALU_DEP_2) | instskip(NEXT) | instid1(VALU_DEP_1)
	v_cmp_eq_u32_e64 s1, 0, v2
	v_cndmask_b32_e64 v6, v3, v7, s1
; %bb.920:                              ;   in Loop: Header=BB456_8 Depth=1
	s_or_b32 exec_lo, exec_lo, s2
	v_dual_mov_b32 v7, 0 :: v_dual_and_b32 v2, 0xff, v29
	v_mov_b32_e32 v18, v29
	s_mov_b32 s2, exec_lo
	s_delay_alu instid0(VALU_DEP_2)
	v_cmpx_ne_u16_e32 0, v2
	s_cbranch_execz .LBB456_928
; %bb.921:                              ;   in Loop: Header=BB456_8 Depth=1
	v_bfrev_b32_e32 v7, 1
	s_mov_b32 s18, exec_lo
	v_cmpx_ne_u16_e32 0x80, v2
	s_cbranch_execz .LBB456_927
; %bb.922:                              ;   in Loop: Header=BB456_8 Depth=1
	v_and_b32_e32 v3, 0x7f, v29
	v_mov_b32_e32 v7, 0x7f800001
	s_mov_b32 s19, exec_lo
	s_delay_alu instid0(VALU_DEP_2)
	v_cmpx_ne_u32_e32 0x7f, v3
	s_cbranch_execz .LBB456_926
; %bb.923:                              ;   in Loop: Header=BB456_8 Depth=1
	v_lshrrev_b32_e32 v2, 3, v3
	v_dual_mov_b32 v31, v19 :: v_dual_mov_b32 v30, v18
	s_mov_b32 s20, exec_lo
	v_cmpx_gt_u32_e32 8, v3
; %bb.924:                              ;   in Loop: Header=BB456_8 Depth=1
	v_and_b32_e32 v2, 7, v29
	s_delay_alu instid0(VALU_DEP_1) | instskip(NEXT) | instid1(VALU_DEP_1)
	v_clz_i32_u32_e32 v2, v2
	v_min_u32_e32 v2, 32, v2
	s_delay_alu instid0(VALU_DEP_1) | instskip(SKIP_1) | instid1(VALU_DEP_2)
	v_subrev_nc_u32_e32 v3, 28, v2
	v_sub_nc_u32_e32 v2, 29, v2
	v_lshlrev_b64 v[30:31], v3, v[18:19]
; %bb.925:                              ;   in Loop: Header=BB456_8 Depth=1
	s_or_b32 exec_lo, exec_lo, s20
	s_delay_alu instid0(VALU_DEP_1) | instskip(SKIP_2) | instid1(VALU_DEP_3)
	v_lshlrev_b32_e32 v3, 20, v30
	v_lshlrev_b32_e32 v7, 24, v18
	v_lshl_add_u32 v2, v2, 23, 0x3c000000
	v_and_b32_e32 v3, 0x700000, v3
	s_delay_alu instid0(VALU_DEP_3) | instskip(NEXT) | instid1(VALU_DEP_1)
	v_and_b32_e32 v7, 0x80000000, v7
	v_or3_b32 v7, v3, v7, v2
.LBB456_926:                            ;   in Loop: Header=BB456_8 Depth=1
	s_or_b32 exec_lo, exec_lo, s19
.LBB456_927:                            ;   in Loop: Header=BB456_8 Depth=1
	s_delay_alu instid0(SALU_CYCLE_1)
	s_or_b32 exec_lo, exec_lo, s18
.LBB456_928:                            ;   in Loop: Header=BB456_8 Depth=1
	s_delay_alu instid0(SALU_CYCLE_1) | instskip(NEXT) | instid1(VALU_DEP_1)
	s_or_b32 exec_lo, exec_lo, s2
	v_mul_f32_e32 v30, v72, v7
                                        ; implicit-def: $vgpr7
	s_delay_alu instid0(VALU_DEP_1) | instskip(NEXT) | instid1(VALU_DEP_1)
	v_and_b32_e32 v2, 0x7f800000, v30
	v_cmp_ne_u32_e64 s1, 0x7f800000, v2
	s_delay_alu instid0(VALU_DEP_1) | instskip(NEXT) | instid1(SALU_CYCLE_1)
	s_and_saveexec_b32 s2, s1
	s_xor_b32 s1, exec_lo, s2
; %bb.929:                              ;   in Loop: Header=BB456_8 Depth=1
	v_bfe_u32 v2, v30, 16, 1
	s_delay_alu instid0(VALU_DEP_1)
	v_add3_u32 v7, v30, v2, 0x7fff
                                        ; implicit-def: $vgpr30
; %bb.930:                              ;   in Loop: Header=BB456_8 Depth=1
	s_and_not1_saveexec_b32 s2, s1
; %bb.931:                              ;   in Loop: Header=BB456_8 Depth=1
	v_and_b32_e32 v2, 0xffff, v30
	v_or_b32_e32 v3, 0x10000, v30
	s_delay_alu instid0(VALU_DEP_2) | instskip(NEXT) | instid1(VALU_DEP_1)
	v_cmp_eq_u32_e64 s1, 0, v2
	v_cndmask_b32_e64 v7, v3, v30, s1
; %bb.932:                              ;   in Loop: Header=BB456_8 Depth=1
	s_or_b32 exec_lo, exec_lo, s2
	v_lshrrev_b16 v2, 8, v18
	v_mov_b32_e32 v30, 0
	s_mov_b32 s2, exec_lo
	s_delay_alu instid0(VALU_DEP_2)
	v_cmpx_ne_u16_e32 0, v2
	s_cbranch_execz .LBB456_940
; %bb.933:                              ;   in Loop: Header=BB456_8 Depth=1
	v_bfrev_b32_e32 v30, 1
	s_mov_b32 s18, exec_lo
	v_cmpx_ne_u16_e32 0x80, v2
	s_cbranch_execz .LBB456_939
; %bb.934:                              ;   in Loop: Header=BB456_8 Depth=1
	v_and_b32_e32 v2, 0xffff, v2
	v_mov_b32_e32 v30, 0x7f800001
	s_mov_b32 s19, exec_lo
	s_delay_alu instid0(VALU_DEP_2) | instskip(NEXT) | instid1(VALU_DEP_1)
	v_and_b32_e32 v3, 0x7f, v2
	v_cmpx_ne_u32_e32 0x7f, v3
	s_cbranch_execz .LBB456_938
; %bb.935:                              ;   in Loop: Header=BB456_8 Depth=1
	v_dual_mov_b32 v31, v19 :: v_dual_and_b32 v30, 7, v2
	v_lshrrev_b32_e32 v2, 3, v3
	s_mov_b32 s20, exec_lo
	v_cmpx_gt_u32_e32 8, v3
; %bb.936:                              ;   in Loop: Header=BB456_8 Depth=1
	s_delay_alu instid0(VALU_DEP_3) | instskip(NEXT) | instid1(VALU_DEP_1)
	v_clz_i32_u32_e32 v2, v30
	v_min_u32_e32 v2, 32, v2
	s_delay_alu instid0(VALU_DEP_1) | instskip(SKIP_1) | instid1(VALU_DEP_2)
	v_subrev_nc_u32_e32 v3, 28, v2
	v_sub_nc_u32_e32 v2, 29, v2
	v_lshlrev_b64 v[30:31], v3, v[30:31]
	s_delay_alu instid0(VALU_DEP_1)
	v_and_b32_e32 v30, 7, v30
; %bb.937:                              ;   in Loop: Header=BB456_8 Depth=1
	s_or_b32 exec_lo, exec_lo, s20
	v_lshlrev_b32_e32 v3, 16, v18
	s_delay_alu instid0(VALU_DEP_2) | instskip(SKIP_1) | instid1(VALU_DEP_3)
	v_lshlrev_b32_e32 v14, 20, v30
	v_lshl_add_u32 v2, v2, 23, 0x3c000000
	v_and_b32_e32 v3, 0x80000000, v3
	s_delay_alu instid0(VALU_DEP_1)
	v_or3_b32 v30, v14, v3, v2
.LBB456_938:                            ;   in Loop: Header=BB456_8 Depth=1
	s_or_b32 exec_lo, exec_lo, s19
.LBB456_939:                            ;   in Loop: Header=BB456_8 Depth=1
	s_delay_alu instid0(SALU_CYCLE_1)
	s_or_b32 exec_lo, exec_lo, s18
.LBB456_940:                            ;   in Loop: Header=BB456_8 Depth=1
	s_delay_alu instid0(SALU_CYCLE_1) | instskip(NEXT) | instid1(VALU_DEP_1)
	s_or_b32 exec_lo, exec_lo, s2
	v_mul_f32_e32 v18, v72, v30
                                        ; implicit-def: $vgpr30
	s_delay_alu instid0(VALU_DEP_1) | instskip(NEXT) | instid1(VALU_DEP_1)
	v_and_b32_e32 v2, 0x7f800000, v18
	v_cmp_ne_u32_e64 s1, 0x7f800000, v2
	s_delay_alu instid0(VALU_DEP_1) | instskip(NEXT) | instid1(SALU_CYCLE_1)
	s_and_saveexec_b32 s2, s1
	s_xor_b32 s1, exec_lo, s2
; %bb.941:                              ;   in Loop: Header=BB456_8 Depth=1
	v_bfe_u32 v2, v18, 16, 1
	s_delay_alu instid0(VALU_DEP_1)
	v_add3_u32 v30, v18, v2, 0x7fff
                                        ; implicit-def: $vgpr18
; %bb.942:                              ;   in Loop: Header=BB456_8 Depth=1
	s_and_not1_saveexec_b32 s2, s1
; %bb.943:                              ;   in Loop: Header=BB456_8 Depth=1
	v_and_b32_e32 v2, 0xffff, v18
	v_or_b32_e32 v3, 0x10000, v18
	s_delay_alu instid0(VALU_DEP_2) | instskip(NEXT) | instid1(VALU_DEP_1)
	v_cmp_eq_u32_e64 s1, 0, v2
	v_cndmask_b32_e64 v30, v3, v18, s1
; %bb.944:                              ;   in Loop: Header=BB456_8 Depth=1
	s_or_b32 exec_lo, exec_lo, s2
	v_lshrrev_b32_e32 v31, 16, v29
	v_mov_b32_e32 v18, 0
	s_mov_b32 s2, exec_lo
	s_delay_alu instid0(VALU_DEP_2) | instskip(NEXT) | instid1(VALU_DEP_1)
	v_and_b32_e32 v2, 0xff, v31
	v_cmpx_ne_u16_e32 0, v2
	s_cbranch_execz .LBB456_952
; %bb.945:                              ;   in Loop: Header=BB456_8 Depth=1
	v_bfrev_b32_e32 v18, 1
	s_mov_b32 s18, exec_lo
	v_cmpx_ne_u16_e32 0x80, v2
	s_cbranch_execz .LBB456_951
; %bb.946:                              ;   in Loop: Header=BB456_8 Depth=1
	v_bfe_u32 v3, v29, 16, 7
	v_mov_b32_e32 v18, 0x7f800001
	s_mov_b32 s19, exec_lo
	s_delay_alu instid0(VALU_DEP_2)
	v_cmpx_ne_u32_e32 0x7f, v3
	s_cbranch_execz .LBB456_950
; %bb.947:                              ;   in Loop: Header=BB456_8 Depth=1
	v_and_b32_e32 v18, 7, v31
	v_lshrrev_b32_e32 v2, 3, v3
	s_mov_b32 s20, exec_lo
	v_cmpx_gt_u32_e32 8, v3
; %bb.948:                              ;   in Loop: Header=BB456_8 Depth=1
	s_delay_alu instid0(VALU_DEP_3) | instskip(NEXT) | instid1(VALU_DEP_1)
	v_clz_i32_u32_e32 v2, v18
	v_min_u32_e32 v2, 32, v2
	s_delay_alu instid0(VALU_DEP_1) | instskip(SKIP_1) | instid1(VALU_DEP_2)
	v_subrev_nc_u32_e32 v3, 28, v2
	v_sub_nc_u32_e32 v2, 29, v2
	v_lshlrev_b64 v[14:15], v3, v[18:19]
	s_delay_alu instid0(VALU_DEP_1)
	v_and_b32_e32 v18, 7, v14
; %bb.949:                              ;   in Loop: Header=BB456_8 Depth=1
	s_or_b32 exec_lo, exec_lo, s20
	v_lshlrev_b32_e32 v3, 24, v31
	s_delay_alu instid0(VALU_DEP_2) | instskip(SKIP_1) | instid1(VALU_DEP_3)
	v_lshlrev_b32_e32 v14, 20, v18
	v_lshl_add_u32 v2, v2, 23, 0x3c000000
	v_and_b32_e32 v3, 0x80000000, v3
	s_delay_alu instid0(VALU_DEP_1)
	v_or3_b32 v18, v14, v3, v2
.LBB456_950:                            ;   in Loop: Header=BB456_8 Depth=1
	s_or_b32 exec_lo, exec_lo, s19
.LBB456_951:                            ;   in Loop: Header=BB456_8 Depth=1
	s_delay_alu instid0(SALU_CYCLE_1)
	s_or_b32 exec_lo, exec_lo, s18
.LBB456_952:                            ;   in Loop: Header=BB456_8 Depth=1
	s_delay_alu instid0(SALU_CYCLE_1) | instskip(NEXT) | instid1(VALU_DEP_1)
	s_or_b32 exec_lo, exec_lo, s2
	v_mul_f32_e32 v18, v72, v18
                                        ; implicit-def: $vgpr31
	s_delay_alu instid0(VALU_DEP_1) | instskip(NEXT) | instid1(VALU_DEP_1)
	v_and_b32_e32 v2, 0x7f800000, v18
	v_cmp_ne_u32_e64 s1, 0x7f800000, v2
	s_delay_alu instid0(VALU_DEP_1) | instskip(NEXT) | instid1(SALU_CYCLE_1)
	s_and_saveexec_b32 s2, s1
	s_xor_b32 s1, exec_lo, s2
; %bb.953:                              ;   in Loop: Header=BB456_8 Depth=1
	v_bfe_u32 v2, v18, 16, 1
	s_delay_alu instid0(VALU_DEP_1)
	v_add3_u32 v31, v18, v2, 0x7fff
                                        ; implicit-def: $vgpr18
; %bb.954:                              ;   in Loop: Header=BB456_8 Depth=1
	s_and_not1_saveexec_b32 s2, s1
; %bb.955:                              ;   in Loop: Header=BB456_8 Depth=1
	v_and_b32_e32 v2, 0xffff, v18
	v_or_b32_e32 v3, 0x10000, v18
	s_delay_alu instid0(VALU_DEP_2) | instskip(NEXT) | instid1(VALU_DEP_1)
	v_cmp_eq_u32_e64 s1, 0, v2
	v_cndmask_b32_e64 v31, v3, v18, s1
; %bb.956:                              ;   in Loop: Header=BB456_8 Depth=1
	s_or_b32 exec_lo, exec_lo, s2
	v_mov_b32_e32 v18, 0
	s_mov_b32 s2, exec_lo
	v_cmpx_lt_u64_e64 s[8:9], v[28:29]
	s_cbranch_execz .LBB456_964
; %bb.957:                              ;   in Loop: Header=BB456_8 Depth=1
	v_lshrrev_b32_e32 v28, 24, v29
	v_bfrev_b32_e32 v18, 1
	s_mov_b32 s18, exec_lo
	s_delay_alu instid0(VALU_DEP_2)
	v_cmpx_ne_u32_e32 0x80, v28
	s_cbranch_execz .LBB456_963
; %bb.958:                              ;   in Loop: Header=BB456_8 Depth=1
	v_bfe_u32 v3, v29, 24, 7
	v_mov_b32_e32 v18, 0x7f800001
	s_mov_b32 s19, exec_lo
	s_delay_alu instid0(VALU_DEP_2)
	v_cmpx_ne_u32_e32 0x7f, v3
	s_cbranch_execz .LBB456_962
; %bb.959:                              ;   in Loop: Header=BB456_8 Depth=1
	v_and_b32_e32 v18, 7, v28
	v_lshrrev_b32_e32 v2, 3, v3
	s_mov_b32 s20, exec_lo
	v_cmpx_gt_u32_e32 8, v3
; %bb.960:                              ;   in Loop: Header=BB456_8 Depth=1
	s_delay_alu instid0(VALU_DEP_3) | instskip(NEXT) | instid1(VALU_DEP_1)
	v_clz_i32_u32_e32 v2, v18
	v_min_u32_e32 v2, 32, v2
	s_delay_alu instid0(VALU_DEP_1) | instskip(SKIP_1) | instid1(VALU_DEP_2)
	v_subrev_nc_u32_e32 v3, 28, v2
	v_sub_nc_u32_e32 v2, 29, v2
	v_lshlrev_b64 v[14:15], v3, v[18:19]
	s_delay_alu instid0(VALU_DEP_1)
	v_and_b32_e32 v18, 7, v14
; %bb.961:                              ;   in Loop: Header=BB456_8 Depth=1
	s_or_b32 exec_lo, exec_lo, s20
	v_lshlrev_b32_e32 v3, 24, v28
	s_delay_alu instid0(VALU_DEP_2) | instskip(SKIP_1) | instid1(VALU_DEP_3)
	v_lshlrev_b32_e32 v14, 20, v18
	v_lshl_add_u32 v2, v2, 23, 0x3c000000
	v_and_b32_e32 v3, 0x80000000, v3
	s_delay_alu instid0(VALU_DEP_1)
	v_or3_b32 v18, v14, v3, v2
.LBB456_962:                            ;   in Loop: Header=BB456_8 Depth=1
	s_or_b32 exec_lo, exec_lo, s19
.LBB456_963:                            ;   in Loop: Header=BB456_8 Depth=1
	s_delay_alu instid0(SALU_CYCLE_1)
	s_or_b32 exec_lo, exec_lo, s18
.LBB456_964:                            ;   in Loop: Header=BB456_8 Depth=1
	s_delay_alu instid0(SALU_CYCLE_1) | instskip(NEXT) | instid1(VALU_DEP_1)
	s_or_b32 exec_lo, exec_lo, s2
	v_mul_f32_e32 v28, v72, v18
                                        ; implicit-def: $vgpr18
	s_delay_alu instid0(VALU_DEP_1) | instskip(NEXT) | instid1(VALU_DEP_1)
	v_and_b32_e32 v2, 0x7f800000, v28
	v_cmp_ne_u32_e64 s1, 0x7f800000, v2
	s_delay_alu instid0(VALU_DEP_1) | instskip(NEXT) | instid1(SALU_CYCLE_1)
	s_and_saveexec_b32 s2, s1
	s_xor_b32 s1, exec_lo, s2
; %bb.965:                              ;   in Loop: Header=BB456_8 Depth=1
	v_bfe_u32 v2, v28, 16, 1
	s_delay_alu instid0(VALU_DEP_1)
	v_add3_u32 v18, v28, v2, 0x7fff
                                        ; implicit-def: $vgpr28
; %bb.966:                              ;   in Loop: Header=BB456_8 Depth=1
	s_and_not1_saveexec_b32 s2, s1
	s_cbranch_execz .LBB456_7
; %bb.967:                              ;   in Loop: Header=BB456_8 Depth=1
	v_and_b32_e32 v2, 0xffff, v28
	v_or_b32_e32 v3, 0x10000, v28
	s_delay_alu instid0(VALU_DEP_2) | instskip(NEXT) | instid1(VALU_DEP_1)
	v_cmp_eq_u32_e64 s1, 0, v2
	v_cndmask_b32_e64 v18, v3, v28, s1
	s_branch .LBB456_7
.LBB456_968:
	s_or_b32 exec_lo, exec_lo, s11
	s_clause 0x8
	scratch_load_b32 v15, off, s32 offset:328
	scratch_load_b32 v14, off, s32 offset:332
	;; [unrolled: 1-line block ×7, first 2 shown]
	scratch_load_b64 v[59:60], off, s32 offset:356
	scratch_load_b32 v20, off, s32 offset:364
	v_ashrrev_i32_e32 v23, 31, v39
.LBB456_969:
	s_or_b32 exec_lo, exec_lo, s15
	v_mbcnt_lo_u32_b32 v2, -1, 0
	s_lshr_b32 s8, s13, 16
	v_max_f32_e32 v5, v56, v56
	s_delay_alu instid0(VALU_DEP_2) | instskip(SKIP_1) | instid1(VALU_DEP_2)
	v_xor_b32_e32 v3, 16, v2
	v_xor_b32_e32 v4, 8, v2
	v_cmp_gt_i32_e32 vcc_lo, 32, v3
	v_cndmask_b32_e32 v3, v2, v3, vcc_lo
	s_delay_alu instid0(VALU_DEP_3) | instskip(NEXT) | instid1(VALU_DEP_2)
	v_cmp_gt_i32_e32 vcc_lo, 32, v4
	v_lshlrev_b32_e32 v6, 2, v3
	ds_bpermute_b32 v3, v6, v56
	s_waitcnt lgkmcnt(0)
	v_dual_cndmask_b32 v4, v2, v4 :: v_dual_max_f32 v3, v3, v3
	s_delay_alu instid0(VALU_DEP_1) | instskip(NEXT) | instid1(VALU_DEP_2)
	v_lshlrev_b32_e32 v7, 2, v4
	v_max_f32_e32 v3, v5, v3
	v_xor_b32_e32 v5, 4, v2
	s_delay_alu instid0(VALU_DEP_1) | instskip(SKIP_1) | instid1(VALU_DEP_1)
	v_cmp_gt_i32_e32 vcc_lo, 32, v5
	v_cndmask_b32_e32 v5, v2, v5, vcc_lo
	v_lshlrev_b32_e32 v8, 2, v5
	ds_bpermute_b32 v4, v7, v3
	v_xor_b32_e32 v5, 2, v2
	s_delay_alu instid0(VALU_DEP_1) | instskip(SKIP_1) | instid1(VALU_DEP_1)
	v_cmp_gt_i32_e32 vcc_lo, 32, v5
	v_cndmask_b32_e32 v5, v2, v5, vcc_lo
	v_lshlrev_b32_e32 v19, 2, v5
	v_xor_b32_e32 v5, 1, v2
	s_waitcnt lgkmcnt(0)
	v_max_f32_e32 v4, v4, v4
	s_delay_alu instid0(VALU_DEP_2) | instskip(SKIP_1) | instid1(VALU_DEP_1)
	v_cmp_gt_i32_e32 vcc_lo, 32, v5
	v_cndmask_b32_e32 v5, v2, v5, vcc_lo
	v_dual_max_f32 v3, v3, v4 :: v_dual_lshlrev_b32 v18, 2, v5
	ds_bpermute_b32 v4, v8, v3
	s_waitcnt lgkmcnt(0)
	v_max_f32_e32 v4, v4, v4
	s_delay_alu instid0(VALU_DEP_1) | instskip(SKIP_3) | instid1(VALU_DEP_1)
	v_max_f32_e32 v3, v3, v4
	ds_bpermute_b32 v4, v19, v3
	s_waitcnt lgkmcnt(0)
	v_max_f32_e32 v4, v4, v4
	v_max_f32_e32 v2, v3, v4
	v_and_b32_e32 v4, 31, v34
	ds_bpermute_b32 v3, v18, v2
	v_cmp_eq_u32_e32 vcc_lo, 0, v4
	v_lshrrev_b32_e32 v4, 5, v34
	s_delay_alu instid0(VALU_DEP_1)
	v_lshlrev_b32_e32 v9, 2, v4
	s_and_saveexec_b32 s1, vcc_lo
	s_cbranch_execz .LBB456_971
; %bb.970:
	s_waitcnt lgkmcnt(0)
	v_dual_max_f32 v3, v3, v3 :: v_dual_max_f32 v2, v2, v2
	s_delay_alu instid0(VALU_DEP_1)
	v_max_f32_e32 v2, v2, v3
	ds_store_b32 v9, v2 offset:160
.LBB456_971:
	s_or_b32 exec_lo, exec_lo, s1
	v_and_b32_e32 v2, 31, v34
	s_waitcnt vmcnt(0) lgkmcnt(0)
	s_waitcnt_vscnt null, 0x0
	s_barrier
	buffer_gl0_inv
	v_cmp_gt_u32_e64 s1, 4, v2
	v_mov_b32_e32 v2, 0xff7fffff
	s_delay_alu instid0(VALU_DEP_2)
	s_and_saveexec_b32 s2, s1
	s_cbranch_execz .LBB456_973
; %bb.972:
	ds_load_b32 v2, v20 offset:160
.LBB456_973:
	s_or_b32 exec_lo, exec_lo, s2
	s_waitcnt lgkmcnt(0)
	ds_bpermute_b32 v3, v19, v2
	v_max_f32_e32 v2, v2, v2
	v_subrev_nc_u32_e32 v4, s3, v37
	v_mov_b32_e32 v13, 0
	s_waitcnt lgkmcnt(0)
	v_max_f32_e32 v3, v3, v3
	s_delay_alu instid0(VALU_DEP_1) | instskip(SKIP_3) | instid1(VALU_DEP_1)
	v_max_f32_e32 v2, v2, v3
	ds_bpermute_b32 v3, v18, v2
	s_waitcnt lgkmcnt(0)
	v_max_f32_e32 v3, v3, v3
	v_max_f32_e32 v2, v2, v3
	v_lshl_add_u32 v3, v4, 5, s17
	ds_bpermute_b32 v4, v13, v2
	v_min_i32_e32 v2, v3, v35
	s_delay_alu instid0(VALU_DEP_1) | instskip(NEXT) | instid1(VALU_DEP_1)
	v_subrev_nc_u32_e32 v5, s17, v2
	v_cmp_lt_i32_e64 s2, v34, v5
	s_delay_alu instid0(VALU_DEP_1)
	s_and_saveexec_b32 s9, s2
	s_cbranch_execz .LBB456_977
; %bb.974:
	s_getpc_b64 s[18:19]
	s_add_u32 s18, s18, llvm.amdgcn.dynlds.offset.table@rel32@lo+4
	s_addc_u32 s19, s19, llvm.amdgcn.dynlds.offset.table@rel32@hi+12
	s_ashr_i32 s11, s10, 31
	v_dual_mov_b32 v13, 0 :: v_dual_mov_b32 v12, v34
	s_lshl_b64 s[20:21], s[10:11], 2
	s_mov_b32 s11, 0
	s_add_u32 s18, s20, s18
	s_addc_u32 s19, s21, s19
	s_load_b32 s3, s[18:19], 0x0
	s_waitcnt lgkmcnt(0)
	v_lshl_add_u32 v3, v34, 2, s3
	.p2align	6
.LBB456_975:                            ; =>This Inner Loop Header: Depth=1
	ds_load_b32 v2, v3
	s_waitcnt lgkmcnt(0)
	v_sub_f32_e32 v2, v2, v4
	s_delay_alu instid0(VALU_DEP_1) | instskip(NEXT) | instid1(VALU_DEP_1)
	v_mul_f32_e32 v2, 0x3fb8aa3b, v2
	v_exp_f32_e32 v2, v2
	s_waitcnt_depctr 0xfff
	v_dual_add_f32 v13, v13, v2 :: v_dual_add_nc_u32 v12, 0x80, v12
	s_delay_alu instid0(VALU_DEP_1) | instskip(SKIP_3) | instid1(SALU_CYCLE_1)
	v_cmp_ge_i32_e64 s3, v12, v5
	ds_store_b32 v3, v2
	v_add_nc_u32_e32 v3, 0x200, v3
	s_or_b32 s11, s3, s11
	s_and_not1_b32 exec_lo, exec_lo, s11
	s_cbranch_execnz .LBB456_975
; %bb.976:
	s_or_b32 exec_lo, exec_lo, s11
.LBB456_977:
	s_delay_alu instid0(SALU_CYCLE_1)
	s_or_b32 exec_lo, exec_lo, s9
	ds_bpermute_b32 v2, v6, v13
	s_waitcnt lgkmcnt(0)
	v_add_f32_e32 v2, v13, v2
	ds_bpermute_b32 v3, v7, v2
	s_waitcnt lgkmcnt(0)
	v_add_f32_e32 v2, v2, v3
	;; [unrolled: 3-line block ×5, first 2 shown]
	s_and_saveexec_b32 s3, vcc_lo
	s_cbranch_execz .LBB456_979
; %bb.978:
	ds_store_b32 v9, v6 offset:176
.LBB456_979:
	s_or_b32 exec_lo, exec_lo, s3
	s_waitcnt lgkmcnt(0)
	s_barrier
	buffer_gl0_inv
	s_and_saveexec_b32 s3, s1
	s_cbranch_execz .LBB456_981
; %bb.980:
	ds_load_b32 v6, v20 offset:176
.LBB456_981:
	s_or_b32 exec_lo, exec_lo, s3
	s_waitcnt lgkmcnt(0)
	ds_bpermute_b32 v2, v19, v6
	s_waitcnt lgkmcnt(0)
	v_add_f32_e32 v2, v6, v2
	ds_bpermute_b32 v3, v18, v2
	s_waitcnt lgkmcnt(0)
	v_dual_add_f32 v2, v2, v3 :: v_dual_mov_b32 v3, 0
	ds_bpermute_b32 v6, v3, v2
	s_and_saveexec_b32 s1, s2
	s_cbranch_execz .LBB456_984
; %bb.982:
	s_waitcnt lgkmcnt(0)
	v_add_f32_e32 v2, 0x358637bd, v6
	s_getpc_b64 s[2:3]
	s_add_u32 s2, s2, llvm.amdgcn.dynlds.offset.table@rel32@lo+4
	s_addc_u32 s3, s3, llvm.amdgcn.dynlds.offset.table@rel32@hi+12
	s_ashr_i32 s11, s10, 31
	s_delay_alu instid0(SALU_CYCLE_1) | instskip(SKIP_4) | instid1(VALU_DEP_1)
	s_lshl_b64 s[18:19], s[10:11], 2
	v_div_scale_f32 v3, null, v2, v2, 1.0
	s_add_u32 s2, s18, s2
	s_addc_u32 s3, s19, s3
	s_load_b32 s2, s[2:3], 0x0
	v_rcp_f32_e32 v7, v3
	s_waitcnt_depctr 0xfff
	v_fma_f32 v8, -v3, v7, 1.0
	s_delay_alu instid0(VALU_DEP_1) | instskip(SKIP_1) | instid1(VALU_DEP_1)
	v_fmac_f32_e32 v7, v8, v7
	v_div_scale_f32 v9, vcc_lo, 1.0, v2, 1.0
	v_mul_f32_e32 v8, v9, v7
	s_delay_alu instid0(VALU_DEP_1) | instskip(NEXT) | instid1(VALU_DEP_1)
	v_fma_f32 v12, -v3, v8, v9
	v_fmac_f32_e32 v8, v12, v7
	s_delay_alu instid0(VALU_DEP_1) | instskip(NEXT) | instid1(VALU_DEP_1)
	v_fma_f32 v3, -v3, v8, v9
	v_div_fmas_f32 v3, v3, v7, v8
	s_waitcnt lgkmcnt(0)
	v_lshl_add_u32 v7, v34, 2, s2
	s_mov_b32 s2, 0
	s_delay_alu instid0(VALU_DEP_2)
	v_div_fixup_f32 v8, v3, v2, 1.0
	v_mov_b32_e32 v2, v34
.LBB456_983:                            ; =>This Inner Loop Header: Depth=1
	ds_load_b32 v3, v7
	s_waitcnt lgkmcnt(0)
	v_dual_mul_f32 v3, v8, v3 :: v_dual_add_nc_u32 v2, 0x80, v2
	s_delay_alu instid0(VALU_DEP_1) | instskip(SKIP_3) | instid1(SALU_CYCLE_1)
	v_cmp_ge_i32_e32 vcc_lo, v2, v5
	ds_store_b32 v7, v3
	v_add_nc_u32_e32 v7, 0x200, v7
	s_or_b32 s2, vcc_lo, s2
	s_and_not1_b32 exec_lo, exec_lo, s2
	s_cbranch_execnz .LBB456_983
.LBB456_984:
	s_or_b32 exec_lo, exec_lo, s1
	v_cmp_ne_u16_e64 s1, s8, 0
	s_mov_b32 s2, exec_lo
	s_waitcnt lgkmcnt(0)
	s_barrier
	buffer_gl0_inv
	s_cmp_lg_u32 s1, 0
	s_addc_u32 s1, s7, 0
	v_cmpx_eq_u32_e32 0, v34
	s_cbranch_execz .LBB456_986
; %bb.985:
	s_mul_i32 s3, s1, s4
	s_mul_i32 s8, s1, s12
	;; [unrolled: 1-line block ×3, first 2 shown]
	s_ashr_i32 s9, s8, 31
	s_ashr_i32 s15, s14, 31
	;; [unrolled: 1-line block ×3, first 2 shown]
	s_lshl_b64 s[8:9], s[8:9], 2
	s_lshl_b64 s[18:19], s[14:15], 2
	;; [unrolled: 1-line block ×3, first 2 shown]
	s_add_u32 s3, s18, s8
	s_addc_u32 s7, s19, s9
	s_add_u32 s3, s3, s12
	s_addc_u32 s7, s7, s13
	v_add_co_u32 v2, vcc_lo, s3, v29
	v_add_co_ci_u32_e32 v3, vcc_lo, s7, v28, vcc_lo
	v_add_co_u32 v0, vcc_lo, s3, v0
	v_add_co_ci_u32_e32 v1, vcc_lo, s7, v1, vcc_lo
	flat_store_b32 v[2:3], v4
	flat_store_b32 v[0:1], v6
.LBB456_986:
	s_or_b32 exec_lo, exec_lo, s2
                                        ; implicit-def: $sgpr2
	s_and_saveexec_b32 s3, s0
	s_delay_alu instid0(SALU_CYCLE_1)
	s_xor_b32 s0, exec_lo, s3
; %bb.987:
	s_ashr_i32 s11, s10, 31
	s_mov_b32 s2, 0
                                        ; implicit-def: $vgpr35
                                        ; implicit-def: $vgpr36
                                        ; implicit-def: $vgpr37
                                        ; implicit-def: $vgpr16
                                        ; implicit-def: $vgpr10
                                        ; implicit-def: $vgpr11
                                        ; implicit-def: $vgpr14
                                        ; implicit-def: $vgpr15
                                        ; implicit-def: $vgpr22
                                        ; implicit-def: $vgpr26_vgpr27
                                        ; implicit-def: $vgpr39
                                        ; implicit-def: $vgpr23
                                        ; implicit-def: $vgpr59_vgpr60
; %bb.988:
	s_or_saveexec_b32 s7, s0
	v_dual_mov_b32 v31, s2 :: v_dual_mov_b32 v0, s10
	v_dual_mov_b32 v1, s11 :: v_dual_and_b32 v20, 3, v34
	v_dual_mov_b32 v38, s2 :: v_dual_mov_b32 v33, s2
	v_dual_mov_b32 v32, s2 :: v_dual_mov_b32 v29, s2
	;; [unrolled: 1-line block ×4, first 2 shown]
	v_mov_b32_e32 v24, s2
	s_xor_b32 exec_lo, exec_lo, s7
	s_cbranch_execz .LBB456_2324
; %bb.989:
	flat_load_b32 v26, v[26:27]
	s_getpc_b64 s[2:3]
	s_add_u32 s2, s2, llvm.amdgcn.dynlds.offset.table@rel32@lo+4
	s_addc_u32 s3, s3, llvm.amdgcn.dynlds.offset.table@rel32@hi+12
	s_ashr_i32 s11, s10, 31
	v_dual_mov_b32 v21, 0 :: v_dual_lshlrev_b32 v0, 3, v34
	s_lshl_b64 s[8:9], s[10:11], 2
	v_add_co_u32 v3, vcc_lo, v10, v39
	s_add_u32 s2, s8, s2
	s_addc_u32 s3, s9, s3
	v_dual_mov_b32 v10, 0 :: v_dual_and_b32 v5, 0xf8, v0
	s_load_b32 s0, s[2:3], 0x0
	v_dual_mov_b32 v25, 0 :: v_dual_and_b32 v2, 24, v0
	v_add_co_ci_u32_e32 v4, vcc_lo, v11, v23, vcc_lo
	v_lshlrev_b64 v[0:1], 2, v[16:17]
	v_add_co_u32 v11, vcc_lo, v3, v5
	v_dual_mov_b32 v28, 0 :: v_dual_lshlrev_b32 v3, 5, v20
	v_lshrrev_b32_e32 v5, 5, v34
	v_add_co_ci_u32_e32 v12, vcc_lo, 0, v4, vcc_lo
	v_add_co_u32 v0, vcc_lo, v59, v0
	v_add_co_ci_u32_e32 v1, vcc_lo, v60, v1, vcc_lo
	s_delay_alu instid0(VALU_DEP_4) | instskip(SKIP_1) | instid1(VALU_DEP_4)
	v_lshl_add_u32 v4, v5, 5, s17
	v_lshl_or_b32 v3, v5, 7, v3
	v_add_co_u32 v13, vcc_lo, v14, v0
	v_dual_mov_b32 v24, 0 :: v_dual_add_nc_u32 v27, -1, v36
	v_add_co_ci_u32_e32 v14, vcc_lo, v15, v1, vcc_lo
	v_add3_u32 v15, v4, v2, 7
	s_waitcnt lgkmcnt(0)
	v_dual_mov_b32 v30, 0 :: v_dual_add_nc_u32 v17, s0, v3
	v_dual_mov_b32 v29, 0 :: v_dual_mov_b32 v32, 0
	v_dual_mov_b32 v33, 0 :: v_dual_mov_b32 v38, 0
	v_mov_b32_e32 v31, 0
	s_mov_b32 s2, -1
	s_mov_b32 s3, 0xffffff
	s_mov_b32 s8, 0
	s_branch .LBB456_991
.LBB456_990:                            ;   in Loop: Header=BB456_991 Depth=1
	s_or_b32 exec_lo, exec_lo, s0
	v_and_b32_e32 v23, 0xffff0000, v23
	v_and_b32_e32 v65, 0xffff0000, v42
	;; [unrolled: 1-line block ×7, first 2 shown]
	v_add_f32_e32 v23, v23, v36
	v_and_b32_e32 v4, 0xffff0000, v4
	v_and_b32_e32 v7, 0xffff0000, v7
	;; [unrolled: 1-line block ×5, first 2 shown]
	s_delay_alu instid0(VALU_DEP_4)
	v_dual_add_f32 v4, v4, v5 :: v_dual_add_f32 v5, v6, v7
	v_and_b32_e32 v3, 0xffff0000, v3
	v_and_b32_e32 v1, 0xffff0000, v1
	v_and_b32_e32 v0, 0xffff0000, v0
	v_and_b32_e32 v2, 0xffff0000, v2
	v_dual_add_f32 v4, v4, v5 :: v_dual_and_b32 v7, 0xffff0000, v46
	v_and_b32_e32 v39, 0xffff0000, v39
	v_and_b32_e32 v8, 0xffff0000, v8
	s_delay_alu instid0(VALU_DEP_3) | instskip(SKIP_4) | instid1(VALU_DEP_1)
	v_dual_add_f32 v4, v4, v23 :: v_dual_and_b32 v49, 0xffff0000, v49
	v_and_b32_e32 v23, 0xffff0000, v183
	v_and_b32_e32 v5, 0xffff0000, v182
	;; [unrolled: 1-line block ×3, first 2 shown]
	v_add_co_u32 v13, s0, v13, 16
	v_add_co_ci_u32_e64 v14, s0, 0, v14, s0
	s_delay_alu instid0(VALU_DEP_4) | instskip(SKIP_4) | instid1(VALU_DEP_4)
	v_dual_add_f32 v5, v36, v5 :: v_dual_and_b32 v36, 0xffff0000, v44
	v_and_b32_e32 v6, 0xffff0000, v45
	v_add_nc_u32_e32 v15, 0x80, v15
	v_add_nc_u32_e32 v17, 0x200, v17
	v_dual_add_f32 v0, v0, v1 :: v_dual_add_f32 v1, v2, v3
	v_dual_add_f32 v6, v6, v7 :: v_dual_and_b32 v7, 0xffff0000, v40
	v_add_f32_e32 v8, v8, v39
	v_and_b32_e32 v2, 0xffff0000, v9
	s_delay_alu instid0(VALU_DEP_3) | instskip(SKIP_3) | instid1(VALU_DEP_4)
	v_dual_add_f32 v4, v4, v6 :: v_dual_and_b32 v9, 0xffff0000, v55
	v_add_f32_e32 v0, v0, v1
	v_and_b32_e32 v48, 0xffff0000, v48
	v_add_nc_u32_e32 v16, 4, v16
	v_add_f32_e32 v24, v24, v4
	v_dual_add_f32 v6, v23, v7 :: v_dual_and_b32 v7, 0xffff0000, v41
	s_delay_alu instid0(VALU_DEP_4) | instskip(NEXT) | instid1(VALU_DEP_4)
	v_add_f32_e32 v39, v48, v49
	v_cmp_ge_i32_e32 vcc_lo, v16, v37
	s_delay_alu instid0(VALU_DEP_3) | instskip(SKIP_3) | instid1(VALU_DEP_4)
	v_dual_add_f32 v4, v5, v6 :: v_dual_add_f32 v5, v7, v65
	v_and_b32_e32 v6, 0xffff0000, v176
	v_and_b32_e32 v23, 0xffff0000, v43
	v_dual_add_f32 v3, v8, v39 :: v_dual_and_b32 v48, 0xffff0000, v54
	v_add_f32_e32 v4, v4, v5
	s_delay_alu instid0(VALU_DEP_4) | instskip(NEXT) | instid1(VALU_DEP_4)
	v_dual_add_f32 v6, v66, v6 :: v_dual_and_b32 v65, 0xffff0000, v165
	v_add_f32_e32 v5, v23, v36
	v_and_b32_e32 v7, 0xffff0000, v166
	v_dual_add_f32 v1, v2, v48 :: v_dual_and_b32 v36, 0xffff0000, v177
	v_and_b32_e32 v2, 0xffff0000, v64
	s_delay_alu instid0(VALU_DEP_3) | instskip(SKIP_1) | instid1(VALU_DEP_2)
	v_dual_add_f32 v4, v4, v5 :: v_dual_add_f32 v7, v65, v7
	s_or_b32 s8, vcc_lo, s8
	v_dual_add_f32 v0, v0, v1 :: v_dual_add_f32 v1, v9, v2
	s_delay_alu instid0(VALU_DEP_2) | instskip(NEXT) | instid1(VALU_DEP_2)
	v_dual_add_f32 v25, v25, v4 :: v_dual_add_f32 v6, v7, v6
	v_dual_add_f32 v0, v0, v1 :: v_dual_and_b32 v23, 0xffff0000, v178
	s_delay_alu instid0(VALU_DEP_1) | instskip(NEXT) | instid1(VALU_DEP_1)
	v_dual_add_f32 v7, v36, v23 :: v_dual_and_b32 v36, 0xffff0000, v150
	v_dual_add_f32 v21, v21, v0 :: v_dual_add_f32 v6, v6, v7
	v_and_b32_e32 v65, 0xffff0000, v180
	v_and_b32_e32 v7, 0xffff0000, v162
	v_and_b32_e32 v66, 0xffff0000, v149
	s_delay_alu instid0(VALU_DEP_1) | instskip(NEXT) | instid1(VALU_DEP_1)
	v_dual_add_f32 v36, v66, v36 :: v_dual_and_b32 v5, 0xffff0000, v179
	v_add_f32_e32 v5, v5, v65
	v_and_b32_e32 v65, 0xffff0000, v161
	v_and_b32_e32 v66, 0xffff0000, v135
	s_delay_alu instid0(VALU_DEP_2) | instskip(SKIP_2) | instid1(VALU_DEP_3)
	v_dual_add_f32 v4, v6, v5 :: v_dual_add_f32 v7, v65, v7
	v_and_b32_e32 v23, 0xffff0000, v160
	v_and_b32_e32 v65, 0xffff0000, v133
	v_dual_add_f32 v28, v28, v4 :: v_dual_and_b32 v5, 0xffff0000, v163
	s_delay_alu instid0(VALU_DEP_3) | instskip(NEXT) | instid1(VALU_DEP_1)
	v_add_f32_e32 v23, v67, v23
	v_dual_add_f32 v6, v36, v23 :: v_dual_and_b32 v23, 0xffff0000, v144
	v_and_b32_e32 v36, 0xffff0000, v134
	s_delay_alu instid0(VALU_DEP_2) | instskip(NEXT) | instid1(VALU_DEP_2)
	v_add_f32_e32 v6, v6, v7
	v_dual_add_f32 v23, v66, v23 :: v_dual_add_f32 v36, v65, v36
	v_and_b32_e32 v65, 0xffff0000, v145
	s_delay_alu instid0(VALU_DEP_2) | instskip(NEXT) | instid1(VALU_DEP_1)
	v_dual_add_f32 v23, v36, v23 :: v_dual_and_b32 v36, 0xffff0000, v128
	v_dual_add_f32 v36, v69, v36 :: v_dual_and_b32 v7, 0xffff0000, v146
	v_and_b32_e32 v69, 0xffff0000, v115
	s_delay_alu instid0(VALU_DEP_2) | instskip(SKIP_1) | instid1(VALU_DEP_2)
	v_add_f32_e32 v7, v65, v7
	v_and_b32_e32 v65, 0xffff0000, v118
	v_add_f32_e32 v7, v23, v7
	s_delay_alu instid0(VALU_DEP_2) | instskip(NEXT) | instid1(VALU_DEP_1)
	v_add_f32_e32 v65, v68, v65
	v_add_f32_e32 v4, v65, v36
	v_and_b32_e32 v67, 0xffff0000, v164
	v_and_b32_e32 v36, 0xffff0000, v101
	;; [unrolled: 1-line block ×3, first 2 shown]
	s_delay_alu instid0(VALU_DEP_3) | instskip(SKIP_2) | instid1(VALU_DEP_1)
	v_add_f32_e32 v5, v5, v67
	v_and_b32_e32 v66, 0xffff0000, v147
	v_and_b32_e32 v67, 0xffff0000, v148
	v_dual_add_f32 v23, v66, v67 :: v_dual_and_b32 v66, 0xffff0000, v130
	s_delay_alu instid0(VALU_DEP_4) | instskip(NEXT) | instid1(VALU_DEP_2)
	v_add_f32_e32 v5, v6, v5
	v_dual_add_f32 v6, v7, v23 :: v_dual_and_b32 v67, 0xffff0000, v129
	v_and_b32_e32 v23, 0xffff0000, v102
	s_delay_alu instid0(VALU_DEP_3) | instskip(SKIP_1) | instid1(VALU_DEP_4)
	v_add_f32_e32 v29, v29, v5
	v_and_b32_e32 v5, 0xffff0000, v131
	v_dual_add_f32 v7, v67, v66 :: v_dual_and_b32 v66, 0xffff0000, v113
	v_add_f32_e32 v30, v30, v6
	v_dual_add_f32 v23, v36, v23 :: v_dual_and_b32 v6, 0xffff0000, v132
	s_delay_alu instid0(VALU_DEP_3) | instskip(NEXT) | instid1(VALU_DEP_2)
	v_dual_add_f32 v4, v4, v7 :: v_dual_and_b32 v7, 0xffff0000, v112
	v_dual_add_f32 v5, v5, v6 :: v_dual_and_b32 v36, 0xffff0000, v96
	s_delay_alu instid0(VALU_DEP_2) | instskip(NEXT) | instid1(VALU_DEP_2)
	v_dual_add_f32 v7, v65, v7 :: v_dual_and_b32 v6, 0xffff0000, v114
	v_dual_add_f32 v4, v4, v5 :: v_dual_and_b32 v65, 0xffff0000, v86
	s_delay_alu instid0(VALU_DEP_2) | instskip(NEXT) | instid1(VALU_DEP_3)
	v_dual_add_f32 v6, v66, v6 :: v_dual_and_b32 v67, 0xffff0000, v85
	v_dual_add_f32 v7, v23, v7 :: v_dual_and_b32 v66, 0xffff0000, v116
	s_delay_alu instid0(VALU_DEP_3) | instskip(NEXT) | instid1(VALU_DEP_3)
	v_add_f32_e32 v32, v32, v4
	v_dual_add_f32 v65, v67, v65 :: v_dual_and_b32 v68, 0xffff0000, v87
	v_and_b32_e32 v23, 0xffff0000, v98
	s_delay_alu instid0(VALU_DEP_2) | instskip(NEXT) | instid1(VALU_DEP_1)
	v_dual_add_f32 v36, v68, v36 :: v_dual_and_b32 v67, 0xffff0000, v97
	v_add_f32_e32 v23, v67, v23
	s_delay_alu instid0(VALU_DEP_2) | instskip(SKIP_1) | instid1(VALU_DEP_2)
	v_dual_add_f32 v5, v65, v36 :: v_dual_and_b32 v36, 0xffff0000, v99
	v_and_b32_e32 v65, 0xffff0000, v100
	v_add_f32_e32 v5, v5, v23
	v_and_b32_e32 v23, 0xffff0000, v51
	v_and_b32_e32 v51, 0xffff0000, v52
	;; [unrolled: 1-line block ×3, first 2 shown]
	v_add_f32_e32 v6, v7, v6
	s_delay_alu instid0(VALU_DEP_4) | instskip(NEXT) | instid1(VALU_DEP_1)
	v_dual_add_f32 v7, v69, v66 :: v_dual_add_f32 v8, v50, v23
	v_dual_add_f32 v23, v36, v65 :: v_dual_add_f32 v2, v6, v7
	s_delay_alu instid0(VALU_DEP_2) | instskip(SKIP_1) | instid1(VALU_DEP_3)
	v_add_f32_e32 v3, v3, v8
	v_add_f32_e32 v8, v51, v52
	;; [unrolled: 1-line block ×3, first 2 shown]
	s_delay_alu instid0(VALU_DEP_4) | instskip(NEXT) | instid1(VALU_DEP_3)
	v_add_f32_e32 v33, v33, v2
	v_add_f32_e32 v3, v3, v8
	s_delay_alu instid0(VALU_DEP_1)
	v_dual_add_f32 v38, v38, v4 :: v_dual_add_f32 v31, v31, v3
	s_and_not1_b32 exec_lo, exec_lo, s8
	s_cbranch_execz .LBB456_2323
.LBB456_991:                            ; =>This Inner Loop Header: Depth=1
	flat_load_b32 v51, v[13:14]
	ds_load_2addr_b64 v[6:9], v17 offset1:1
	ds_load_2addr_b64 v[0:3], v17 offset0:2 offset1:3
	s_mov_b32 s0, exec_lo
                                        ; implicit-def: $vgpr50
	s_waitcnt lgkmcnt(1)
	v_and_b32_e32 v4, 0x7f800000, v6
	s_delay_alu instid0(VALU_DEP_1)
	v_cmpx_ne_u32_e32 0x7f800000, v4
	s_xor_b32 s0, exec_lo, s0
; %bb.992:                              ;   in Loop: Header=BB456_991 Depth=1
	v_bfe_u32 v4, v6, 16, 1
	s_delay_alu instid0(VALU_DEP_1)
	v_add3_u32 v50, v6, v4, 0x7fff
; %bb.993:                              ;   in Loop: Header=BB456_991 Depth=1
	s_and_not1_saveexec_b32 s0, s0
; %bb.994:                              ;   in Loop: Header=BB456_991 Depth=1
	v_and_b32_e32 v4, 0xffff, v6
	v_or_b32_e32 v5, 0x10000, v6
	s_delay_alu instid0(VALU_DEP_2) | instskip(NEXT) | instid1(VALU_DEP_2)
	v_cmp_eq_u32_e32 vcc_lo, 0, v4
	v_cndmask_b32_e32 v50, v5, v6, vcc_lo
; %bb.995:                              ;   in Loop: Header=BB456_991 Depth=1
	s_or_b32 exec_lo, exec_lo, s0
	v_and_b32_e32 v4, 0x7f800000, v7
	s_mov_b32 s0, exec_lo
                                        ; implicit-def: $vgpr39
	s_delay_alu instid0(VALU_DEP_1)
	v_cmpx_ne_u32_e32 0x7f800000, v4
	s_xor_b32 s0, exec_lo, s0
; %bb.996:                              ;   in Loop: Header=BB456_991 Depth=1
	v_bfe_u32 v4, v7, 16, 1
	s_delay_alu instid0(VALU_DEP_1)
	v_add3_u32 v39, v7, v4, 0x7fff
; %bb.997:                              ;   in Loop: Header=BB456_991 Depth=1
	s_and_not1_saveexec_b32 s0, s0
; %bb.998:                              ;   in Loop: Header=BB456_991 Depth=1
	v_and_b32_e32 v4, 0xffff, v7
	v_or_b32_e32 v5, 0x10000, v7
	s_delay_alu instid0(VALU_DEP_2) | instskip(NEXT) | instid1(VALU_DEP_2)
	v_cmp_eq_u32_e32 vcc_lo, 0, v4
	v_cndmask_b32_e32 v39, v5, v7, vcc_lo
; %bb.999:                              ;   in Loop: Header=BB456_991 Depth=1
	s_or_b32 exec_lo, exec_lo, s0
	v_and_b32_e32 v4, 0x7f800000, v8
	s_mov_b32 s0, exec_lo
                                        ; implicit-def: $vgpr48
	s_delay_alu instid0(VALU_DEP_1)
	v_cmpx_ne_u32_e32 0x7f800000, v4
	s_xor_b32 s0, exec_lo, s0
; %bb.1000:                             ;   in Loop: Header=BB456_991 Depth=1
	v_bfe_u32 v4, v8, 16, 1
	s_delay_alu instid0(VALU_DEP_1)
	v_add3_u32 v48, v8, v4, 0x7fff
; %bb.1001:                             ;   in Loop: Header=BB456_991 Depth=1
	s_and_not1_saveexec_b32 s0, s0
; %bb.1002:                             ;   in Loop: Header=BB456_991 Depth=1
	v_and_b32_e32 v4, 0xffff, v8
	v_or_b32_e32 v5, 0x10000, v8
	s_delay_alu instid0(VALU_DEP_2) | instskip(NEXT) | instid1(VALU_DEP_2)
	v_cmp_eq_u32_e32 vcc_lo, 0, v4
	v_cndmask_b32_e32 v48, v5, v8, vcc_lo
; %bb.1003:                             ;   in Loop: Header=BB456_991 Depth=1
	s_or_b32 exec_lo, exec_lo, s0
	v_and_b32_e32 v4, 0x7f800000, v9
	s_mov_b32 s0, exec_lo
                                        ; implicit-def: $vgpr49
	s_delay_alu instid0(VALU_DEP_1)
	v_cmpx_ne_u32_e32 0x7f800000, v4
	s_xor_b32 s0, exec_lo, s0
; %bb.1004:                             ;   in Loop: Header=BB456_991 Depth=1
	v_bfe_u32 v4, v9, 16, 1
	s_delay_alu instid0(VALU_DEP_1)
	v_add3_u32 v49, v9, v4, 0x7fff
                                        ; implicit-def: $vgpr6_vgpr7_vgpr8_vgpr9
; %bb.1005:                             ;   in Loop: Header=BB456_991 Depth=1
	s_and_not1_saveexec_b32 s0, s0
; %bb.1006:                             ;   in Loop: Header=BB456_991 Depth=1
	v_and_b32_e32 v4, 0xffff, v9
	v_or_b32_e32 v5, 0x10000, v9
	s_delay_alu instid0(VALU_DEP_2) | instskip(NEXT) | instid1(VALU_DEP_2)
	v_cmp_eq_u32_e32 vcc_lo, 0, v4
	v_cndmask_b32_e32 v49, v5, v9, vcc_lo
; %bb.1007:                             ;   in Loop: Header=BB456_991 Depth=1
	s_or_b32 exec_lo, exec_lo, s0
	s_waitcnt lgkmcnt(0)
	v_and_b32_e32 v4, 0x7f800000, v0
	s_mov_b32 s0, exec_lo
                                        ; implicit-def: $vgpr36
	s_delay_alu instid0(VALU_DEP_1)
	v_cmpx_ne_u32_e32 0x7f800000, v4
	s_xor_b32 s0, exec_lo, s0
; %bb.1008:                             ;   in Loop: Header=BB456_991 Depth=1
	v_bfe_u32 v4, v0, 16, 1
	s_delay_alu instid0(VALU_DEP_1)
	v_add3_u32 v36, v0, v4, 0x7fff
; %bb.1009:                             ;   in Loop: Header=BB456_991 Depth=1
	s_and_not1_saveexec_b32 s0, s0
; %bb.1010:                             ;   in Loop: Header=BB456_991 Depth=1
	v_and_b32_e32 v4, 0xffff, v0
	v_or_b32_e32 v5, 0x10000, v0
	s_delay_alu instid0(VALU_DEP_2) | instskip(NEXT) | instid1(VALU_DEP_2)
	v_cmp_eq_u32_e32 vcc_lo, 0, v4
	v_cndmask_b32_e32 v36, v5, v0, vcc_lo
; %bb.1011:                             ;   in Loop: Header=BB456_991 Depth=1
	s_or_b32 exec_lo, exec_lo, s0
	v_and_b32_e32 v0, 0x7f800000, v1
	s_mov_b32 s0, exec_lo
                                        ; implicit-def: $vgpr23
	s_delay_alu instid0(VALU_DEP_1)
	v_cmpx_ne_u32_e32 0x7f800000, v0
	s_xor_b32 s0, exec_lo, s0
; %bb.1012:                             ;   in Loop: Header=BB456_991 Depth=1
	v_bfe_u32 v0, v1, 16, 1
	s_delay_alu instid0(VALU_DEP_1)
	v_add3_u32 v23, v1, v0, 0x7fff
; %bb.1013:                             ;   in Loop: Header=BB456_991 Depth=1
	s_and_not1_saveexec_b32 s0, s0
; %bb.1014:                             ;   in Loop: Header=BB456_991 Depth=1
	v_and_b32_e32 v0, 0xffff, v1
	v_or_b32_e32 v4, 0x10000, v1
	s_delay_alu instid0(VALU_DEP_2) | instskip(NEXT) | instid1(VALU_DEP_2)
	v_cmp_eq_u32_e32 vcc_lo, 0, v0
	v_cndmask_b32_e32 v23, v4, v1, vcc_lo
; %bb.1015:                             ;   in Loop: Header=BB456_991 Depth=1
	s_or_b32 exec_lo, exec_lo, s0
	v_and_b32_e32 v0, 0x7f800000, v2
	s_mov_b32 s0, exec_lo
                                        ; implicit-def: $vgpr5
	s_delay_alu instid0(VALU_DEP_1)
	v_cmpx_ne_u32_e32 0x7f800000, v0
	s_xor_b32 s0, exec_lo, s0
; %bb.1016:                             ;   in Loop: Header=BB456_991 Depth=1
	v_bfe_u32 v0, v2, 16, 1
	s_delay_alu instid0(VALU_DEP_1)
	v_add3_u32 v5, v2, v0, 0x7fff
; %bb.1017:                             ;   in Loop: Header=BB456_991 Depth=1
	s_and_not1_saveexec_b32 s0, s0
; %bb.1018:                             ;   in Loop: Header=BB456_991 Depth=1
	v_and_b32_e32 v0, 0xffff, v2
	v_or_b32_e32 v1, 0x10000, v2
	s_delay_alu instid0(VALU_DEP_2) | instskip(NEXT) | instid1(VALU_DEP_2)
	v_cmp_eq_u32_e32 vcc_lo, 0, v0
	v_cndmask_b32_e32 v5, v1, v2, vcc_lo
; %bb.1019:                             ;   in Loop: Header=BB456_991 Depth=1
	s_or_b32 exec_lo, exec_lo, s0
	v_and_b32_e32 v0, 0x7f800000, v3
	s_mov_b32 s0, exec_lo
                                        ; implicit-def: $vgpr4
	s_delay_alu instid0(VALU_DEP_1)
	v_cmpx_ne_u32_e32 0x7f800000, v0
	s_xor_b32 s0, exec_lo, s0
; %bb.1020:                             ;   in Loop: Header=BB456_991 Depth=1
	v_bfe_u32 v0, v3, 16, 1
	s_delay_alu instid0(VALU_DEP_1)
	v_add3_u32 v4, v3, v0, 0x7fff
                                        ; implicit-def: $vgpr0_vgpr1_vgpr2_vgpr3
; %bb.1021:                             ;   in Loop: Header=BB456_991 Depth=1
	s_and_not1_saveexec_b32 s0, s0
; %bb.1022:                             ;   in Loop: Header=BB456_991 Depth=1
	v_and_b32_e32 v0, 0xffff, v3
	v_or_b32_e32 v1, 0x10000, v3
	s_delay_alu instid0(VALU_DEP_2) | instskip(NEXT) | instid1(VALU_DEP_2)
	v_cmp_eq_u32_e32 vcc_lo, 0, v0
	v_cndmask_b32_e32 v4, v1, v3, vcc_lo
; %bb.1023:                             ;   in Loop: Header=BB456_991 Depth=1
	s_or_b32 exec_lo, exec_lo, s0
	s_waitcnt vmcnt(0)
	v_mad_i64_i32 v[0:1], null, v51, v22, v[11:12]
	s_mov_b32 s0, exec_lo
	v_mov_b32_e32 v6, 0
	flat_load_b64 v[2:3], v[0:1]
	s_waitcnt vmcnt(0) lgkmcnt(0)
	v_and_b32_e32 v7, 0xff, v2
	s_delay_alu instid0(VALU_DEP_1)
	v_cmpx_ne_u16_e32 0, v7
	s_cbranch_execz .LBB456_1031
; %bb.1024:                             ;   in Loop: Header=BB456_991 Depth=1
	v_bfrev_b32_e32 v6, 1
	s_mov_b32 s9, exec_lo
	v_cmpx_ne_u16_e32 0x80, v7
	s_cbranch_execz .LBB456_1030
; %bb.1025:                             ;   in Loop: Header=BB456_991 Depth=1
	v_and_b32_e32 v7, 0x7f, v2
	v_mov_b32_e32 v6, 0x7f800001
	s_mov_b32 s12, exec_lo
	s_delay_alu instid0(VALU_DEP_2)
	v_cmpx_ne_u32_e32 0x7f, v7
	s_cbranch_execz .LBB456_1029
; %bb.1026:                             ;   in Loop: Header=BB456_991 Depth=1
	v_lshrrev_b32_e32 v8, 3, v7
	v_cmp_gt_u32_e32 vcc_lo, 8, v7
	v_dual_mov_b32 v7, v3 :: v_dual_mov_b32 v6, v2
	s_and_saveexec_b32 s13, vcc_lo
; %bb.1027:                             ;   in Loop: Header=BB456_991 Depth=1
	v_and_b32_e32 v6, 7, v2
	s_delay_alu instid0(VALU_DEP_1) | instskip(NEXT) | instid1(VALU_DEP_1)
	v_clz_i32_u32_e32 v6, v6
	v_min_u32_e32 v8, 32, v6
	s_delay_alu instid0(VALU_DEP_1) | instskip(SKIP_1) | instid1(VALU_DEP_2)
	v_subrev_nc_u32_e32 v6, 28, v8
	v_sub_nc_u32_e32 v8, 29, v8
	v_lshlrev_b64 v[6:7], v6, v[2:3]
; %bb.1028:                             ;   in Loop: Header=BB456_991 Depth=1
	s_or_b32 exec_lo, exec_lo, s13
	s_delay_alu instid0(VALU_DEP_1) | instskip(SKIP_2) | instid1(VALU_DEP_3)
	v_lshlrev_b32_e32 v6, 20, v6
	v_lshlrev_b32_e32 v7, 24, v2
	v_lshl_add_u32 v8, v8, 23, 0x3c000000
	v_and_b32_e32 v6, 0x700000, v6
	s_delay_alu instid0(VALU_DEP_3) | instskip(NEXT) | instid1(VALU_DEP_1)
	v_and_b32_e32 v7, 0x80000000, v7
	v_or3_b32 v6, v6, v7, v8
.LBB456_1029:                           ;   in Loop: Header=BB456_991 Depth=1
	s_or_b32 exec_lo, exec_lo, s12
.LBB456_1030:                           ;   in Loop: Header=BB456_991 Depth=1
	s_delay_alu instid0(SALU_CYCLE_1)
	s_or_b32 exec_lo, exec_lo, s9
.LBB456_1031:                           ;   in Loop: Header=BB456_991 Depth=1
	s_delay_alu instid0(SALU_CYCLE_1) | instskip(NEXT) | instid1(VALU_DEP_1)
	s_or_b32 exec_lo, exec_lo, s0
	v_mul_f32_e32 v6, v26, v6
	s_mov_b32 s0, exec_lo
                                        ; implicit-def: $vgpr8
	s_delay_alu instid0(VALU_DEP_1) | instskip(NEXT) | instid1(VALU_DEP_1)
	v_and_b32_e32 v7, 0x7f800000, v6
	v_cmpx_ne_u32_e32 0x7f800000, v7
	s_xor_b32 s0, exec_lo, s0
; %bb.1032:                             ;   in Loop: Header=BB456_991 Depth=1
	v_bfe_u32 v7, v6, 16, 1
	s_delay_alu instid0(VALU_DEP_1)
	v_add3_u32 v8, v6, v7, 0x7fff
                                        ; implicit-def: $vgpr6
; %bb.1033:                             ;   in Loop: Header=BB456_991 Depth=1
	s_and_not1_saveexec_b32 s0, s0
; %bb.1034:                             ;   in Loop: Header=BB456_991 Depth=1
	v_and_b32_e32 v7, 0xffff, v6
	v_or_b32_e32 v8, 0x10000, v6
	s_delay_alu instid0(VALU_DEP_2) | instskip(NEXT) | instid1(VALU_DEP_2)
	v_cmp_eq_u32_e32 vcc_lo, 0, v7
	v_cndmask_b32_e32 v8, v8, v6, vcc_lo
; %bb.1035:                             ;   in Loop: Header=BB456_991 Depth=1
	s_or_b32 exec_lo, exec_lo, s0
	v_lshrrev_b16 v7, 8, v2
	v_mov_b32_e32 v6, 0
	s_mov_b32 s0, exec_lo
	s_delay_alu instid0(VALU_DEP_2)
	v_cmpx_ne_u16_e32 0, v7
	s_cbranch_execz .LBB456_1043
; %bb.1036:                             ;   in Loop: Header=BB456_991 Depth=1
	v_bfrev_b32_e32 v6, 1
	s_mov_b32 s9, exec_lo
	v_cmpx_ne_u16_e32 0x80, v7
	s_cbranch_execz .LBB456_1042
; %bb.1037:                             ;   in Loop: Header=BB456_991 Depth=1
	v_and_b32_e32 v9, 0xffff, v7
	v_mov_b32_e32 v6, 0x7f800001
	s_mov_b32 s12, exec_lo
	s_delay_alu instid0(VALU_DEP_2) | instskip(NEXT) | instid1(VALU_DEP_1)
	v_and_b32_e32 v7, 0x7f, v9
	v_cmpx_ne_u32_e32 0x7f, v7
	s_cbranch_execz .LBB456_1041
; %bb.1038:                             ;   in Loop: Header=BB456_991 Depth=1
	v_and_b32_e32 v9, 7, v9
	v_lshrrev_b32_e32 v6, 3, v7
	s_mov_b32 s13, exec_lo
	v_cmpx_gt_u32_e32 8, v7
; %bb.1039:                             ;   in Loop: Header=BB456_991 Depth=1
	s_delay_alu instid0(VALU_DEP_3) | instskip(NEXT) | instid1(VALU_DEP_1)
	v_clz_i32_u32_e32 v6, v9
	v_min_u32_e32 v6, 32, v6
	s_delay_alu instid0(VALU_DEP_1) | instskip(SKIP_1) | instid1(VALU_DEP_2)
	v_subrev_nc_u32_e32 v7, 28, v6
	v_sub_nc_u32_e32 v6, 29, v6
	v_lshlrev_b64 v[51:52], v7, v[9:10]
	s_delay_alu instid0(VALU_DEP_1)
	v_and_b32_e32 v9, 7, v51
; %bb.1040:                             ;   in Loop: Header=BB456_991 Depth=1
	s_or_b32 exec_lo, exec_lo, s13
	v_lshlrev_b32_e32 v7, 16, v2
	s_delay_alu instid0(VALU_DEP_2) | instskip(SKIP_1) | instid1(VALU_DEP_3)
	v_lshlrev_b32_e32 v9, 20, v9
	v_lshl_add_u32 v6, v6, 23, 0x3c000000
	v_and_b32_e32 v7, 0x80000000, v7
	s_delay_alu instid0(VALU_DEP_1)
	v_or3_b32 v6, v9, v7, v6
.LBB456_1041:                           ;   in Loop: Header=BB456_991 Depth=1
	s_or_b32 exec_lo, exec_lo, s12
.LBB456_1042:                           ;   in Loop: Header=BB456_991 Depth=1
	s_delay_alu instid0(SALU_CYCLE_1)
	s_or_b32 exec_lo, exec_lo, s9
.LBB456_1043:                           ;   in Loop: Header=BB456_991 Depth=1
	s_delay_alu instid0(SALU_CYCLE_1) | instskip(NEXT) | instid1(VALU_DEP_1)
	s_or_b32 exec_lo, exec_lo, s0
	v_mul_f32_e32 v6, v26, v6
	s_mov_b32 s0, exec_lo
                                        ; implicit-def: $vgpr51
	s_delay_alu instid0(VALU_DEP_1) | instskip(NEXT) | instid1(VALU_DEP_1)
	v_and_b32_e32 v7, 0x7f800000, v6
	v_cmpx_ne_u32_e32 0x7f800000, v7
	s_xor_b32 s0, exec_lo, s0
; %bb.1044:                             ;   in Loop: Header=BB456_991 Depth=1
	v_bfe_u32 v7, v6, 16, 1
	s_delay_alu instid0(VALU_DEP_1)
	v_add3_u32 v51, v6, v7, 0x7fff
                                        ; implicit-def: $vgpr6
; %bb.1045:                             ;   in Loop: Header=BB456_991 Depth=1
	s_and_not1_saveexec_b32 s0, s0
; %bb.1046:                             ;   in Loop: Header=BB456_991 Depth=1
	v_and_b32_e32 v7, 0xffff, v6
	v_or_b32_e32 v9, 0x10000, v6
	s_delay_alu instid0(VALU_DEP_2) | instskip(NEXT) | instid1(VALU_DEP_2)
	v_cmp_eq_u32_e32 vcc_lo, 0, v7
	v_cndmask_b32_e32 v51, v9, v6, vcc_lo
; %bb.1047:                             ;   in Loop: Header=BB456_991 Depth=1
	s_or_b32 exec_lo, exec_lo, s0
	v_lshrrev_b32_e32 v6, 16, v2
	v_mov_b32_e32 v7, 0
	s_mov_b32 s0, exec_lo
	s_delay_alu instid0(VALU_DEP_2) | instskip(NEXT) | instid1(VALU_DEP_1)
	v_and_b32_e32 v9, 0xff, v6
	v_cmpx_ne_u16_e32 0, v9
	s_cbranch_execz .LBB456_1055
; %bb.1048:                             ;   in Loop: Header=BB456_991 Depth=1
	v_bfrev_b32_e32 v7, 1
	s_mov_b32 s9, exec_lo
	v_cmpx_ne_u16_e32 0x80, v9
	s_cbranch_execz .LBB456_1054
; %bb.1049:                             ;   in Loop: Header=BB456_991 Depth=1
	v_bfe_u32 v52, v2, 16, 7
	v_mov_b32_e32 v7, 0x7f800001
	s_mov_b32 s12, exec_lo
	s_delay_alu instid0(VALU_DEP_2)
	v_cmpx_ne_u32_e32 0x7f, v52
	s_cbranch_execz .LBB456_1053
; %bb.1050:                             ;   in Loop: Header=BB456_991 Depth=1
	v_and_b32_e32 v9, 7, v6
	v_lshrrev_b32_e32 v7, 3, v52
	s_mov_b32 s13, exec_lo
	v_cmpx_gt_u32_e32 8, v52
; %bb.1051:                             ;   in Loop: Header=BB456_991 Depth=1
	s_delay_alu instid0(VALU_DEP_3) | instskip(NEXT) | instid1(VALU_DEP_1)
	v_clz_i32_u32_e32 v7, v9
	v_min_u32_e32 v7, 32, v7
	s_delay_alu instid0(VALU_DEP_1) | instskip(SKIP_1) | instid1(VALU_DEP_2)
	v_subrev_nc_u32_e32 v52, 28, v7
	v_sub_nc_u32_e32 v7, 29, v7
	v_lshlrev_b64 v[52:53], v52, v[9:10]
	s_delay_alu instid0(VALU_DEP_1)
	v_and_b32_e32 v9, 7, v52
; %bb.1052:                             ;   in Loop: Header=BB456_991 Depth=1
	s_or_b32 exec_lo, exec_lo, s13
	v_lshlrev_b32_e32 v6, 24, v6
	s_delay_alu instid0(VALU_DEP_2) | instskip(SKIP_1) | instid1(VALU_DEP_3)
	v_lshlrev_b32_e32 v9, 20, v9
	v_lshl_add_u32 v7, v7, 23, 0x3c000000
	v_and_b32_e32 v6, 0x80000000, v6
	s_delay_alu instid0(VALU_DEP_1)
	v_or3_b32 v7, v9, v6, v7
.LBB456_1053:                           ;   in Loop: Header=BB456_991 Depth=1
	s_or_b32 exec_lo, exec_lo, s12
.LBB456_1054:                           ;   in Loop: Header=BB456_991 Depth=1
	s_delay_alu instid0(SALU_CYCLE_1)
	s_or_b32 exec_lo, exec_lo, s9
.LBB456_1055:                           ;   in Loop: Header=BB456_991 Depth=1
	s_delay_alu instid0(SALU_CYCLE_1) | instskip(NEXT) | instid1(VALU_DEP_1)
	s_or_b32 exec_lo, exec_lo, s0
	v_mul_f32_e32 v6, v26, v7
	s_mov_b32 s0, exec_lo
                                        ; implicit-def: $vgpr52
	s_delay_alu instid0(VALU_DEP_1) | instskip(NEXT) | instid1(VALU_DEP_1)
	v_and_b32_e32 v7, 0x7f800000, v6
	v_cmpx_ne_u32_e32 0x7f800000, v7
	s_xor_b32 s0, exec_lo, s0
; %bb.1056:                             ;   in Loop: Header=BB456_991 Depth=1
	v_bfe_u32 v7, v6, 16, 1
	s_delay_alu instid0(VALU_DEP_1)
	v_add3_u32 v52, v6, v7, 0x7fff
                                        ; implicit-def: $vgpr6
; %bb.1057:                             ;   in Loop: Header=BB456_991 Depth=1
	s_and_not1_saveexec_b32 s0, s0
; %bb.1058:                             ;   in Loop: Header=BB456_991 Depth=1
	v_and_b32_e32 v7, 0xffff, v6
	v_or_b32_e32 v9, 0x10000, v6
	s_delay_alu instid0(VALU_DEP_2) | instskip(NEXT) | instid1(VALU_DEP_2)
	v_cmp_eq_u32_e32 vcc_lo, 0, v7
	v_cndmask_b32_e32 v52, v9, v6, vcc_lo
; %bb.1059:                             ;   in Loop: Header=BB456_991 Depth=1
	s_or_b32 exec_lo, exec_lo, s0
	v_mov_b32_e32 v7, 0
	s_mov_b32 s0, exec_lo
	v_cmpx_lt_u32_e32 0xffffff, v2
	s_cbranch_execz .LBB456_1067
; %bb.1060:                             ;   in Loop: Header=BB456_991 Depth=1
	v_lshrrev_b32_e32 v6, 24, v2
	v_bfrev_b32_e32 v7, 1
	s_mov_b32 s9, exec_lo
	s_delay_alu instid0(VALU_DEP_2)
	v_cmpx_ne_u32_e32 0x80, v6
	s_cbranch_execz .LBB456_1066
; %bb.1061:                             ;   in Loop: Header=BB456_991 Depth=1
	v_bfe_u32 v53, v2, 24, 7
	v_mov_b32_e32 v7, 0x7f800001
	s_mov_b32 s12, exec_lo
	s_delay_alu instid0(VALU_DEP_2)
	v_cmpx_ne_u32_e32 0x7f, v53
	s_cbranch_execz .LBB456_1065
; %bb.1062:                             ;   in Loop: Header=BB456_991 Depth=1
	v_and_b32_e32 v9, 7, v6
	v_lshrrev_b32_e32 v7, 3, v53
	s_mov_b32 s13, exec_lo
	v_cmpx_gt_u32_e32 8, v53
; %bb.1063:                             ;   in Loop: Header=BB456_991 Depth=1
	s_delay_alu instid0(VALU_DEP_3) | instskip(NEXT) | instid1(VALU_DEP_1)
	v_clz_i32_u32_e32 v7, v9
	v_min_u32_e32 v7, 32, v7
	s_delay_alu instid0(VALU_DEP_1) | instskip(SKIP_1) | instid1(VALU_DEP_2)
	v_subrev_nc_u32_e32 v53, 28, v7
	v_sub_nc_u32_e32 v7, 29, v7
	v_lshlrev_b64 v[53:54], v53, v[9:10]
	s_delay_alu instid0(VALU_DEP_1)
	v_and_b32_e32 v9, 7, v53
; %bb.1064:                             ;   in Loop: Header=BB456_991 Depth=1
	s_or_b32 exec_lo, exec_lo, s13
	v_lshlrev_b32_e32 v6, 24, v6
	s_delay_alu instid0(VALU_DEP_2) | instskip(SKIP_1) | instid1(VALU_DEP_3)
	v_lshlrev_b32_e32 v9, 20, v9
	v_lshl_add_u32 v7, v7, 23, 0x3c000000
	v_and_b32_e32 v6, 0x80000000, v6
	s_delay_alu instid0(VALU_DEP_1)
	v_or3_b32 v7, v9, v6, v7
.LBB456_1065:                           ;   in Loop: Header=BB456_991 Depth=1
	s_or_b32 exec_lo, exec_lo, s12
.LBB456_1066:                           ;   in Loop: Header=BB456_991 Depth=1
	s_delay_alu instid0(SALU_CYCLE_1)
	s_or_b32 exec_lo, exec_lo, s9
.LBB456_1067:                           ;   in Loop: Header=BB456_991 Depth=1
	s_delay_alu instid0(SALU_CYCLE_1) | instskip(NEXT) | instid1(VALU_DEP_1)
	s_or_b32 exec_lo, exec_lo, s0
	v_mul_f32_e32 v6, v26, v7
	s_mov_b32 s0, exec_lo
                                        ; implicit-def: $vgpr53
	s_delay_alu instid0(VALU_DEP_1) | instskip(NEXT) | instid1(VALU_DEP_1)
	v_and_b32_e32 v7, 0x7f800000, v6
	v_cmpx_ne_u32_e32 0x7f800000, v7
	s_xor_b32 s0, exec_lo, s0
; %bb.1068:                             ;   in Loop: Header=BB456_991 Depth=1
	v_bfe_u32 v7, v6, 16, 1
	s_delay_alu instid0(VALU_DEP_1)
	v_add3_u32 v53, v6, v7, 0x7fff
                                        ; implicit-def: $vgpr6
; %bb.1069:                             ;   in Loop: Header=BB456_991 Depth=1
	s_and_not1_saveexec_b32 s0, s0
; %bb.1070:                             ;   in Loop: Header=BB456_991 Depth=1
	v_and_b32_e32 v7, 0xffff, v6
	v_or_b32_e32 v9, 0x10000, v6
	s_delay_alu instid0(VALU_DEP_2) | instskip(NEXT) | instid1(VALU_DEP_2)
	v_cmp_eq_u32_e32 vcc_lo, 0, v7
	v_cndmask_b32_e32 v53, v9, v6, vcc_lo
; %bb.1071:                             ;   in Loop: Header=BB456_991 Depth=1
	s_or_b32 exec_lo, exec_lo, s0
	v_dual_mov_b32 v6, 0 :: v_dual_and_b32 v7, 0xff, v3
	v_mov_b32_e32 v9, v3
	s_mov_b32 s0, exec_lo
	s_delay_alu instid0(VALU_DEP_2)
	v_cmpx_ne_u16_e32 0, v7
	s_cbranch_execz .LBB456_1079
; %bb.1072:                             ;   in Loop: Header=BB456_991 Depth=1
	v_bfrev_b32_e32 v6, 1
	s_mov_b32 s9, exec_lo
	v_cmpx_ne_u16_e32 0x80, v7
	s_cbranch_execz .LBB456_1078
; %bb.1073:                             ;   in Loop: Header=BB456_991 Depth=1
	v_and_b32_e32 v7, 0x7f, v3
	v_mov_b32_e32 v6, 0x7f800001
	s_mov_b32 s12, exec_lo
	s_delay_alu instid0(VALU_DEP_2)
	v_cmpx_ne_u32_e32 0x7f, v7
	s_cbranch_execz .LBB456_1077
; %bb.1074:                             ;   in Loop: Header=BB456_991 Depth=1
	v_lshrrev_b32_e32 v54, 3, v7
	v_cmp_gt_u32_e32 vcc_lo, 8, v7
	v_dual_mov_b32 v6, v9 :: v_dual_mov_b32 v7, v10
	s_and_saveexec_b32 s13, vcc_lo
; %bb.1075:                             ;   in Loop: Header=BB456_991 Depth=1
	v_and_b32_e32 v6, 7, v3
	s_delay_alu instid0(VALU_DEP_1) | instskip(NEXT) | instid1(VALU_DEP_1)
	v_clz_i32_u32_e32 v6, v6
	v_min_u32_e32 v54, 32, v6
	s_delay_alu instid0(VALU_DEP_1) | instskip(SKIP_1) | instid1(VALU_DEP_2)
	v_subrev_nc_u32_e32 v6, 28, v54
	v_sub_nc_u32_e32 v54, 29, v54
	v_lshlrev_b64 v[6:7], v6, v[9:10]
; %bb.1076:                             ;   in Loop: Header=BB456_991 Depth=1
	s_or_b32 exec_lo, exec_lo, s13
	s_delay_alu instid0(VALU_DEP_1) | instskip(SKIP_2) | instid1(VALU_DEP_3)
	v_lshlrev_b32_e32 v6, 20, v6
	v_lshlrev_b32_e32 v7, 24, v9
	v_lshl_add_u32 v54, v54, 23, 0x3c000000
	v_and_b32_e32 v6, 0x700000, v6
	s_delay_alu instid0(VALU_DEP_3) | instskip(NEXT) | instid1(VALU_DEP_1)
	v_and_b32_e32 v7, 0x80000000, v7
	v_or3_b32 v6, v6, v7, v54
.LBB456_1077:                           ;   in Loop: Header=BB456_991 Depth=1
	s_or_b32 exec_lo, exec_lo, s12
.LBB456_1078:                           ;   in Loop: Header=BB456_991 Depth=1
	s_delay_alu instid0(SALU_CYCLE_1)
	s_or_b32 exec_lo, exec_lo, s9
.LBB456_1079:                           ;   in Loop: Header=BB456_991 Depth=1
	s_delay_alu instid0(SALU_CYCLE_1) | instskip(NEXT) | instid1(VALU_DEP_1)
	s_or_b32 exec_lo, exec_lo, s0
	v_mul_f32_e32 v6, v26, v6
	s_mov_b32 s0, exec_lo
                                        ; implicit-def: $vgpr55
	s_delay_alu instid0(VALU_DEP_1) | instskip(NEXT) | instid1(VALU_DEP_1)
	v_and_b32_e32 v7, 0x7f800000, v6
	v_cmpx_ne_u32_e32 0x7f800000, v7
	s_xor_b32 s0, exec_lo, s0
; %bb.1080:                             ;   in Loop: Header=BB456_991 Depth=1
	v_bfe_u32 v7, v6, 16, 1
	s_delay_alu instid0(VALU_DEP_1)
	v_add3_u32 v55, v6, v7, 0x7fff
                                        ; implicit-def: $vgpr6
; %bb.1081:                             ;   in Loop: Header=BB456_991 Depth=1
	s_and_not1_saveexec_b32 s0, s0
; %bb.1082:                             ;   in Loop: Header=BB456_991 Depth=1
	v_and_b32_e32 v7, 0xffff, v6
	v_or_b32_e32 v54, 0x10000, v6
	s_delay_alu instid0(VALU_DEP_2) | instskip(NEXT) | instid1(VALU_DEP_2)
	v_cmp_eq_u32_e32 vcc_lo, 0, v7
	v_cndmask_b32_e32 v55, v54, v6, vcc_lo
; %bb.1083:                             ;   in Loop: Header=BB456_991 Depth=1
	s_or_b32 exec_lo, exec_lo, s0
	v_lshrrev_b16 v7, 8, v9
	v_mov_b32_e32 v6, 0
	s_mov_b32 s0, exec_lo
	s_delay_alu instid0(VALU_DEP_2)
	v_cmpx_ne_u16_e32 0, v7
	s_cbranch_execz .LBB456_1091
; %bb.1084:                             ;   in Loop: Header=BB456_991 Depth=1
	v_bfrev_b32_e32 v6, 1
	s_mov_b32 s9, exec_lo
	v_cmpx_ne_u16_e32 0x80, v7
	s_cbranch_execz .LBB456_1090
; %bb.1085:                             ;   in Loop: Header=BB456_991 Depth=1
	v_and_b32_e32 v7, 0xffff, v7
	v_mov_b32_e32 v6, 0x7f800001
	s_mov_b32 s12, exec_lo
	s_delay_alu instid0(VALU_DEP_2) | instskip(NEXT) | instid1(VALU_DEP_1)
	v_and_b32_e32 v64, 0x7f, v7
	v_cmpx_ne_u32_e32 0x7f, v64
	s_cbranch_execz .LBB456_1089
; %bb.1086:                             ;   in Loop: Header=BB456_991 Depth=1
	v_dual_mov_b32 v7, v10 :: v_dual_and_b32 v6, 7, v7
	v_lshrrev_b32_e32 v54, 3, v64
	s_mov_b32 s13, exec_lo
	v_cmpx_gt_u32_e32 8, v64
; %bb.1087:                             ;   in Loop: Header=BB456_991 Depth=1
	s_delay_alu instid0(VALU_DEP_3) | instskip(NEXT) | instid1(VALU_DEP_1)
	v_clz_i32_u32_e32 v54, v6
	v_min_u32_e32 v54, 32, v54
	s_delay_alu instid0(VALU_DEP_1) | instskip(SKIP_1) | instid1(VALU_DEP_2)
	v_subrev_nc_u32_e32 v64, 28, v54
	v_sub_nc_u32_e32 v54, 29, v54
	v_lshlrev_b64 v[6:7], v64, v[6:7]
	s_delay_alu instid0(VALU_DEP_1)
	v_and_b32_e32 v6, 7, v6
; %bb.1088:                             ;   in Loop: Header=BB456_991 Depth=1
	s_or_b32 exec_lo, exec_lo, s13
	v_lshlrev_b32_e32 v7, 16, v9
	s_delay_alu instid0(VALU_DEP_2) | instskip(SKIP_1) | instid1(VALU_DEP_3)
	v_lshlrev_b32_e32 v6, 20, v6
	v_lshl_add_u32 v9, v54, 23, 0x3c000000
	v_and_b32_e32 v7, 0x80000000, v7
	s_delay_alu instid0(VALU_DEP_1)
	v_or3_b32 v6, v6, v7, v9
.LBB456_1089:                           ;   in Loop: Header=BB456_991 Depth=1
	s_or_b32 exec_lo, exec_lo, s12
.LBB456_1090:                           ;   in Loop: Header=BB456_991 Depth=1
	s_delay_alu instid0(SALU_CYCLE_1)
	s_or_b32 exec_lo, exec_lo, s9
.LBB456_1091:                           ;   in Loop: Header=BB456_991 Depth=1
	s_delay_alu instid0(SALU_CYCLE_1) | instskip(NEXT) | instid1(VALU_DEP_1)
	s_or_b32 exec_lo, exec_lo, s0
	v_mul_f32_e32 v7, v26, v6
	s_delay_alu instid0(VALU_DEP_1) | instskip(NEXT) | instid1(VALU_DEP_1)
	v_and_b32_e32 v6, 0x7f800000, v7
	v_cmp_ne_u32_e32 vcc_lo, 0x7f800000, v6
                                        ; implicit-def: $vgpr6
	s_and_saveexec_b32 s0, vcc_lo
	s_delay_alu instid0(SALU_CYCLE_1)
	s_xor_b32 s0, exec_lo, s0
; %bb.1092:                             ;   in Loop: Header=BB456_991 Depth=1
	v_bfe_u32 v6, v7, 16, 1
	s_delay_alu instid0(VALU_DEP_1)
	v_add3_u32 v6, v7, v6, 0x7fff
                                        ; implicit-def: $vgpr7
; %bb.1093:                             ;   in Loop: Header=BB456_991 Depth=1
	s_and_not1_saveexec_b32 s0, s0
; %bb.1094:                             ;   in Loop: Header=BB456_991 Depth=1
	v_and_b32_e32 v6, 0xffff, v7
	v_or_b32_e32 v9, 0x10000, v7
	s_delay_alu instid0(VALU_DEP_2) | instskip(NEXT) | instid1(VALU_DEP_2)
	v_cmp_eq_u32_e32 vcc_lo, 0, v6
	v_cndmask_b32_e32 v6, v9, v7, vcc_lo
; %bb.1095:                             ;   in Loop: Header=BB456_991 Depth=1
	s_or_b32 exec_lo, exec_lo, s0
	v_lshrrev_b32_e32 v7, 16, v3
	s_mov_b32 s0, exec_lo
	s_delay_alu instid0(VALU_DEP_1) | instskip(NEXT) | instid1(VALU_DEP_1)
	v_dual_mov_b32 v9, 0 :: v_dual_and_b32 v54, 0xff, v7
	v_cmpx_ne_u16_e32 0, v54
	s_cbranch_execz .LBB456_1103
; %bb.1096:                             ;   in Loop: Header=BB456_991 Depth=1
	v_bfrev_b32_e32 v9, 1
	s_mov_b32 s9, exec_lo
	v_cmpx_ne_u16_e32 0x80, v54
	s_cbranch_execz .LBB456_1102
; %bb.1097:                             ;   in Loop: Header=BB456_991 Depth=1
	v_bfe_u32 v64, v3, 16, 7
	v_mov_b32_e32 v9, 0x7f800001
	s_mov_b32 s12, exec_lo
	s_delay_alu instid0(VALU_DEP_2)
	v_cmpx_ne_u32_e32 0x7f, v64
	s_cbranch_execz .LBB456_1101
; %bb.1098:                             ;   in Loop: Header=BB456_991 Depth=1
	v_and_b32_e32 v9, 7, v7
	v_lshrrev_b32_e32 v54, 3, v64
	s_mov_b32 s13, exec_lo
	v_cmpx_gt_u32_e32 8, v64
; %bb.1099:                             ;   in Loop: Header=BB456_991 Depth=1
	s_delay_alu instid0(VALU_DEP_3) | instskip(NEXT) | instid1(VALU_DEP_1)
	v_clz_i32_u32_e32 v54, v9
	v_min_u32_e32 v54, 32, v54
	s_delay_alu instid0(VALU_DEP_1) | instskip(SKIP_1) | instid1(VALU_DEP_2)
	v_subrev_nc_u32_e32 v64, 28, v54
	v_sub_nc_u32_e32 v54, 29, v54
	v_lshlrev_b64 v[64:65], v64, v[9:10]
	s_delay_alu instid0(VALU_DEP_1)
	v_and_b32_e32 v9, 7, v64
; %bb.1100:                             ;   in Loop: Header=BB456_991 Depth=1
	s_or_b32 exec_lo, exec_lo, s13
	v_lshlrev_b32_e32 v7, 24, v7
	s_delay_alu instid0(VALU_DEP_2) | instskip(SKIP_1) | instid1(VALU_DEP_3)
	v_lshlrev_b32_e32 v9, 20, v9
	v_lshl_add_u32 v54, v54, 23, 0x3c000000
	v_and_b32_e32 v7, 0x80000000, v7
	s_delay_alu instid0(VALU_DEP_1)
	v_or3_b32 v9, v9, v7, v54
.LBB456_1101:                           ;   in Loop: Header=BB456_991 Depth=1
	s_or_b32 exec_lo, exec_lo, s12
.LBB456_1102:                           ;   in Loop: Header=BB456_991 Depth=1
	s_delay_alu instid0(SALU_CYCLE_1)
	s_or_b32 exec_lo, exec_lo, s9
.LBB456_1103:                           ;   in Loop: Header=BB456_991 Depth=1
	s_delay_alu instid0(SALU_CYCLE_1) | instskip(NEXT) | instid1(VALU_DEP_1)
	s_or_b32 exec_lo, exec_lo, s0
	v_mul_f32_e32 v7, v26, v9
	s_mov_b32 s0, exec_lo
                                        ; implicit-def: $vgpr64
	s_delay_alu instid0(VALU_DEP_1) | instskip(NEXT) | instid1(VALU_DEP_1)
	v_and_b32_e32 v9, 0x7f800000, v7
	v_cmpx_ne_u32_e32 0x7f800000, v9
	s_xor_b32 s0, exec_lo, s0
; %bb.1104:                             ;   in Loop: Header=BB456_991 Depth=1
	v_bfe_u32 v9, v7, 16, 1
	s_delay_alu instid0(VALU_DEP_1)
	v_add3_u32 v64, v7, v9, 0x7fff
                                        ; implicit-def: $vgpr7
; %bb.1105:                             ;   in Loop: Header=BB456_991 Depth=1
	s_and_not1_saveexec_b32 s0, s0
; %bb.1106:                             ;   in Loop: Header=BB456_991 Depth=1
	v_and_b32_e32 v9, 0xffff, v7
	v_or_b32_e32 v54, 0x10000, v7
	s_delay_alu instid0(VALU_DEP_2) | instskip(NEXT) | instid1(VALU_DEP_2)
	v_cmp_eq_u32_e32 vcc_lo, 0, v9
	v_cndmask_b32_e32 v64, v54, v7, vcc_lo
; %bb.1107:                             ;   in Loop: Header=BB456_991 Depth=1
	s_or_b32 exec_lo, exec_lo, s0
	v_mov_b32_e32 v7, 0
	s_mov_b32 s0, exec_lo
	v_cmpx_lt_u64_e64 s[2:3], v[2:3]
	s_cbranch_execz .LBB456_1115
; %bb.1108:                             ;   in Loop: Header=BB456_991 Depth=1
	v_lshrrev_b32_e32 v2, 24, v3
	v_bfrev_b32_e32 v7, 1
	s_mov_b32 s9, exec_lo
	s_delay_alu instid0(VALU_DEP_2)
	v_cmpx_ne_u32_e32 0x80, v2
	s_cbranch_execz .LBB456_1114
; %bb.1109:                             ;   in Loop: Header=BB456_991 Depth=1
	v_bfe_u32 v54, v3, 24, 7
	v_mov_b32_e32 v7, 0x7f800001
	s_mov_b32 s12, exec_lo
	s_delay_alu instid0(VALU_DEP_2)
	v_cmpx_ne_u32_e32 0x7f, v54
	s_cbranch_execz .LBB456_1113
; %bb.1110:                             ;   in Loop: Header=BB456_991 Depth=1
	v_and_b32_e32 v9, 7, v2
	v_lshrrev_b32_e32 v3, 3, v54
	s_mov_b32 s13, exec_lo
	v_cmpx_gt_u32_e32 8, v54
; %bb.1111:                             ;   in Loop: Header=BB456_991 Depth=1
	s_delay_alu instid0(VALU_DEP_3) | instskip(NEXT) | instid1(VALU_DEP_1)
	v_clz_i32_u32_e32 v3, v9
	v_min_u32_e32 v3, 32, v3
	s_delay_alu instid0(VALU_DEP_1) | instskip(SKIP_1) | instid1(VALU_DEP_2)
	v_subrev_nc_u32_e32 v7, 28, v3
	v_sub_nc_u32_e32 v3, 29, v3
	v_lshlrev_b64 v[65:66], v7, v[9:10]
	s_delay_alu instid0(VALU_DEP_1)
	v_and_b32_e32 v9, 7, v65
; %bb.1112:                             ;   in Loop: Header=BB456_991 Depth=1
	s_or_b32 exec_lo, exec_lo, s13
	v_lshlrev_b32_e32 v2, 24, v2
	s_delay_alu instid0(VALU_DEP_2) | instskip(SKIP_1) | instid1(VALU_DEP_3)
	v_lshlrev_b32_e32 v7, 20, v9
	v_lshl_add_u32 v3, v3, 23, 0x3c000000
	v_and_b32_e32 v2, 0x80000000, v2
	s_delay_alu instid0(VALU_DEP_1)
	v_or3_b32 v7, v7, v2, v3
.LBB456_1113:                           ;   in Loop: Header=BB456_991 Depth=1
	s_or_b32 exec_lo, exec_lo, s12
.LBB456_1114:                           ;   in Loop: Header=BB456_991 Depth=1
	s_delay_alu instid0(SALU_CYCLE_1)
	s_or_b32 exec_lo, exec_lo, s9
.LBB456_1115:                           ;   in Loop: Header=BB456_991 Depth=1
	s_delay_alu instid0(SALU_CYCLE_1) | instskip(NEXT) | instid1(VALU_DEP_1)
	s_or_b32 exec_lo, exec_lo, s0
	v_mul_f32_e32 v3, v26, v7
	s_delay_alu instid0(VALU_DEP_1) | instskip(NEXT) | instid1(VALU_DEP_1)
	v_and_b32_e32 v2, 0x7f800000, v3
	v_cmp_ne_u32_e32 vcc_lo, 0x7f800000, v2
                                        ; implicit-def: $vgpr2
	s_and_saveexec_b32 s0, vcc_lo
	s_delay_alu instid0(SALU_CYCLE_1)
	s_xor_b32 s0, exec_lo, s0
; %bb.1116:                             ;   in Loop: Header=BB456_991 Depth=1
	v_bfe_u32 v2, v3, 16, 1
	s_delay_alu instid0(VALU_DEP_1)
	v_add3_u32 v2, v3, v2, 0x7fff
                                        ; implicit-def: $vgpr3
; %bb.1117:                             ;   in Loop: Header=BB456_991 Depth=1
	s_and_not1_saveexec_b32 s0, s0
; %bb.1118:                             ;   in Loop: Header=BB456_991 Depth=1
	v_and_b32_e32 v2, 0xffff, v3
	v_or_b32_e32 v7, 0x10000, v3
	s_delay_alu instid0(VALU_DEP_2) | instskip(NEXT) | instid1(VALU_DEP_2)
	v_cmp_eq_u32_e32 vcc_lo, 0, v2
	v_cndmask_b32_e32 v2, v7, v3, vcc_lo
; %bb.1119:                             ;   in Loop: Header=BB456_991 Depth=1
	s_or_b32 exec_lo, exec_lo, s0
	v_cmp_eq_u32_e32 vcc_lo, v27, v16
	v_add_nc_u32_e32 v54, -7, v15
	v_lshrrev_b32_e32 v6, 16, v6
	v_lshrrev_b32_e32 v7, 16, v55
	v_lshrrev_b32_e32 v9, 16, v53
	v_lshrrev_b32_e32 v52, 16, v52
	v_lshrrev_b32_e32 v51, 16, v51
	v_lshrrev_b32_e32 v8, 16, v8
	v_lshrrev_b32_e32 v3, 16, v64
	v_lshrrev_b32_e32 v2, 16, v2
	v_add_nc_u32_e32 v68, -6, v15
	v_add_nc_u32_e32 v67, -5, v15
	;; [unrolled: 1-line block ×6, first 2 shown]
	s_and_saveexec_b32 s9, vcc_lo
	s_cbranch_execz .LBB456_1121
; %bb.1120:                             ;   in Loop: Header=BB456_991 Depth=1
	v_cmp_lt_i32_e64 s0, v54, v35
	s_delay_alu instid0(VALU_DEP_1) | instskip(SKIP_1) | instid1(VALU_DEP_1)
	v_cndmask_b32_e64 v8, 0, v8, s0
	v_cmp_lt_i32_e64 s0, v68, v35
	v_cndmask_b32_e64 v51, 0, v51, s0
	v_cmp_lt_i32_e64 s0, v67, v35
	s_delay_alu instid0(VALU_DEP_1) | instskip(SKIP_1) | instid1(VALU_DEP_1)
	v_cndmask_b32_e64 v52, 0, v52, s0
	v_cmp_lt_i32_e64 s0, v66, v35
	v_cndmask_b32_e64 v9, 0, v9, s0
	;; [unrolled: 5-line block ×4, first 2 shown]
.LBB456_1121:                           ;   in Loop: Header=BB456_991 Depth=1
	s_or_b32 exec_lo, exec_lo, s9
	v_and_b32_e32 v69, 0xffff0000, v50
	v_lshlrev_b32_e32 v8, 16, v8
	s_delay_alu instid0(VALU_DEP_1) | instskip(NEXT) | instid1(VALU_DEP_1)
	v_mul_f32_e32 v50, v69, v8
	v_and_b32_e32 v8, 0x7f800000, v50
	s_delay_alu instid0(VALU_DEP_1) | instskip(NEXT) | instid1(VALU_DEP_1)
	v_cmp_ne_u32_e64 s0, 0x7f800000, v8
                                        ; implicit-def: $vgpr8
	s_and_saveexec_b32 s9, s0
	s_delay_alu instid0(SALU_CYCLE_1)
	s_xor_b32 s0, exec_lo, s9
; %bb.1122:                             ;   in Loop: Header=BB456_991 Depth=1
	v_bfe_u32 v8, v50, 16, 1
	s_delay_alu instid0(VALU_DEP_1)
	v_add3_u32 v8, v50, v8, 0x7fff
                                        ; implicit-def: $vgpr50
; %bb.1123:                             ;   in Loop: Header=BB456_991 Depth=1
	s_and_not1_saveexec_b32 s9, s0
; %bb.1124:                             ;   in Loop: Header=BB456_991 Depth=1
	v_and_b32_e32 v8, 0xffff, v50
	v_or_b32_e32 v53, 0x10000, v50
	s_delay_alu instid0(VALU_DEP_2) | instskip(NEXT) | instid1(VALU_DEP_1)
	v_cmp_eq_u32_e64 s0, 0, v8
	v_cndmask_b32_e64 v8, v53, v50, s0
; %bb.1125:                             ;   in Loop: Header=BB456_991 Depth=1
	s_or_b32 exec_lo, exec_lo, s9
	v_and_b32_e32 v70, 0xffff0000, v39
	v_lshlrev_b32_e32 v39, 16, v51
	s_delay_alu instid0(VALU_DEP_1) | instskip(NEXT) | instid1(VALU_DEP_1)
	v_mul_f32_e32 v50, v70, v39
	v_and_b32_e32 v39, 0x7f800000, v50
	s_delay_alu instid0(VALU_DEP_1) | instskip(NEXT) | instid1(VALU_DEP_1)
	v_cmp_ne_u32_e64 s0, 0x7f800000, v39
                                        ; implicit-def: $vgpr39
	s_and_saveexec_b32 s9, s0
	s_delay_alu instid0(SALU_CYCLE_1)
	s_xor_b32 s0, exec_lo, s9
; %bb.1126:                             ;   in Loop: Header=BB456_991 Depth=1
	v_bfe_u32 v39, v50, 16, 1
	s_delay_alu instid0(VALU_DEP_1)
	v_add3_u32 v39, v50, v39, 0x7fff
                                        ; implicit-def: $vgpr50
; %bb.1127:                             ;   in Loop: Header=BB456_991 Depth=1
	s_and_not1_saveexec_b32 s9, s0
; %bb.1128:                             ;   in Loop: Header=BB456_991 Depth=1
	v_and_b32_e32 v39, 0xffff, v50
	v_or_b32_e32 v51, 0x10000, v50
	s_delay_alu instid0(VALU_DEP_2) | instskip(NEXT) | instid1(VALU_DEP_1)
	v_cmp_eq_u32_e64 s0, 0, v39
	v_cndmask_b32_e64 v39, v51, v50, s0
; %bb.1129:                             ;   in Loop: Header=BB456_991 Depth=1
	s_or_b32 exec_lo, exec_lo, s9
	v_and_b32_e32 v71, 0xffff0000, v48
	v_lshlrev_b32_e32 v48, 16, v52
	s_delay_alu instid0(VALU_DEP_1) | instskip(NEXT) | instid1(VALU_DEP_1)
	v_mul_f32_e32 v50, v71, v48
	v_and_b32_e32 v48, 0x7f800000, v50
	s_delay_alu instid0(VALU_DEP_1) | instskip(NEXT) | instid1(VALU_DEP_1)
	v_cmp_ne_u32_e64 s0, 0x7f800000, v48
                                        ; implicit-def: $vgpr48
	s_and_saveexec_b32 s9, s0
	s_delay_alu instid0(SALU_CYCLE_1)
	s_xor_b32 s0, exec_lo, s9
; %bb.1130:                             ;   in Loop: Header=BB456_991 Depth=1
	v_bfe_u32 v48, v50, 16, 1
	s_delay_alu instid0(VALU_DEP_1)
	v_add3_u32 v48, v50, v48, 0x7fff
                                        ; implicit-def: $vgpr50
; %bb.1131:                             ;   in Loop: Header=BB456_991 Depth=1
	s_and_not1_saveexec_b32 s9, s0
; %bb.1132:                             ;   in Loop: Header=BB456_991 Depth=1
	v_and_b32_e32 v48, 0xffff, v50
	v_or_b32_e32 v51, 0x10000, v50
	s_delay_alu instid0(VALU_DEP_2) | instskip(NEXT) | instid1(VALU_DEP_1)
	v_cmp_eq_u32_e64 s0, 0, v48
	v_cndmask_b32_e64 v48, v51, v50, s0
; %bb.1133:                             ;   in Loop: Header=BB456_991 Depth=1
	s_or_b32 exec_lo, exec_lo, s9
	v_and_b32_e32 v80, 0xffff0000, v49
	v_lshlrev_b32_e32 v9, 16, v9
	s_delay_alu instid0(VALU_DEP_1) | instskip(NEXT) | instid1(VALU_DEP_1)
	v_mul_f32_e32 v9, v80, v9
	v_and_b32_e32 v49, 0x7f800000, v9
	s_delay_alu instid0(VALU_DEP_1) | instskip(NEXT) | instid1(VALU_DEP_1)
	v_cmp_ne_u32_e64 s0, 0x7f800000, v49
                                        ; implicit-def: $vgpr49
	s_and_saveexec_b32 s9, s0
	s_delay_alu instid0(SALU_CYCLE_1)
	s_xor_b32 s0, exec_lo, s9
; %bb.1134:                             ;   in Loop: Header=BB456_991 Depth=1
	v_bfe_u32 v49, v9, 16, 1
	s_delay_alu instid0(VALU_DEP_1)
	v_add3_u32 v49, v9, v49, 0x7fff
                                        ; implicit-def: $vgpr9
; %bb.1135:                             ;   in Loop: Header=BB456_991 Depth=1
	s_and_not1_saveexec_b32 s9, s0
; %bb.1136:                             ;   in Loop: Header=BB456_991 Depth=1
	v_and_b32_e32 v49, 0xffff, v9
	v_or_b32_e32 v50, 0x10000, v9
	s_delay_alu instid0(VALU_DEP_2) | instskip(NEXT) | instid1(VALU_DEP_1)
	v_cmp_eq_u32_e64 s0, 0, v49
	v_cndmask_b32_e64 v49, v50, v9, s0
; %bb.1137:                             ;   in Loop: Header=BB456_991 Depth=1
	s_or_b32 exec_lo, exec_lo, s9
	v_and_b32_e32 v81, 0xffff0000, v36
	v_lshlrev_b32_e32 v7, 16, v7
                                        ; implicit-def: $vgpr50
	s_delay_alu instid0(VALU_DEP_1) | instskip(NEXT) | instid1(VALU_DEP_1)
	v_mul_f32_e32 v7, v81, v7
	v_and_b32_e32 v9, 0x7f800000, v7
	s_delay_alu instid0(VALU_DEP_1) | instskip(NEXT) | instid1(VALU_DEP_1)
	v_cmp_ne_u32_e64 s0, 0x7f800000, v9
	s_and_saveexec_b32 s9, s0
	s_delay_alu instid0(SALU_CYCLE_1)
	s_xor_b32 s0, exec_lo, s9
; %bb.1138:                             ;   in Loop: Header=BB456_991 Depth=1
	v_bfe_u32 v9, v7, 16, 1
	s_delay_alu instid0(VALU_DEP_1)
	v_add3_u32 v50, v7, v9, 0x7fff
                                        ; implicit-def: $vgpr7
; %bb.1139:                             ;   in Loop: Header=BB456_991 Depth=1
	s_and_not1_saveexec_b32 s9, s0
; %bb.1140:                             ;   in Loop: Header=BB456_991 Depth=1
	v_and_b32_e32 v9, 0xffff, v7
	v_or_b32_e32 v36, 0x10000, v7
	s_delay_alu instid0(VALU_DEP_2) | instskip(NEXT) | instid1(VALU_DEP_1)
	v_cmp_eq_u32_e64 s0, 0, v9
	v_cndmask_b32_e64 v50, v36, v7, s0
; %bb.1141:                             ;   in Loop: Header=BB456_991 Depth=1
	s_or_b32 exec_lo, exec_lo, s9
	v_and_b32_e32 v82, 0xffff0000, v23
	v_lshlrev_b32_e32 v6, 16, v6
                                        ; implicit-def: $vgpr51
	s_delay_alu instid0(VALU_DEP_1) | instskip(NEXT) | instid1(VALU_DEP_1)
	v_mul_f32_e32 v6, v82, v6
	v_and_b32_e32 v7, 0x7f800000, v6
	s_delay_alu instid0(VALU_DEP_1) | instskip(NEXT) | instid1(VALU_DEP_1)
	v_cmp_ne_u32_e64 s0, 0x7f800000, v7
	s_and_saveexec_b32 s9, s0
	s_delay_alu instid0(SALU_CYCLE_1)
	s_xor_b32 s0, exec_lo, s9
; %bb.1142:                             ;   in Loop: Header=BB456_991 Depth=1
	v_bfe_u32 v7, v6, 16, 1
	s_delay_alu instid0(VALU_DEP_1)
	v_add3_u32 v51, v6, v7, 0x7fff
                                        ; implicit-def: $vgpr6
; %bb.1143:                             ;   in Loop: Header=BB456_991 Depth=1
	s_and_not1_saveexec_b32 s9, s0
; %bb.1144:                             ;   in Loop: Header=BB456_991 Depth=1
	v_and_b32_e32 v7, 0xffff, v6
	v_or_b32_e32 v9, 0x10000, v6
	s_delay_alu instid0(VALU_DEP_2) | instskip(NEXT) | instid1(VALU_DEP_1)
	v_cmp_eq_u32_e64 s0, 0, v7
	v_cndmask_b32_e64 v51, v9, v6, s0
; %bb.1145:                             ;   in Loop: Header=BB456_991 Depth=1
	s_or_b32 exec_lo, exec_lo, s9
	v_and_b32_e32 v83, 0xffff0000, v5
	v_lshlrev_b32_e32 v3, 16, v3
                                        ; implicit-def: $vgpr52
	s_delay_alu instid0(VALU_DEP_1) | instskip(NEXT) | instid1(VALU_DEP_1)
	v_mul_f32_e32 v3, v83, v3
	v_and_b32_e32 v5, 0x7f800000, v3
	s_delay_alu instid0(VALU_DEP_1) | instskip(NEXT) | instid1(VALU_DEP_1)
	v_cmp_ne_u32_e64 s0, 0x7f800000, v5
	s_and_saveexec_b32 s9, s0
	s_delay_alu instid0(SALU_CYCLE_1)
	s_xor_b32 s0, exec_lo, s9
; %bb.1146:                             ;   in Loop: Header=BB456_991 Depth=1
	v_bfe_u32 v5, v3, 16, 1
	s_delay_alu instid0(VALU_DEP_1)
	v_add3_u32 v52, v3, v5, 0x7fff
                                        ; implicit-def: $vgpr3
; %bb.1147:                             ;   in Loop: Header=BB456_991 Depth=1
	s_and_not1_saveexec_b32 s9, s0
; %bb.1148:                             ;   in Loop: Header=BB456_991 Depth=1
	v_and_b32_e32 v5, 0xffff, v3
	v_or_b32_e32 v6, 0x10000, v3
	s_delay_alu instid0(VALU_DEP_2) | instskip(NEXT) | instid1(VALU_DEP_1)
	v_cmp_eq_u32_e64 s0, 0, v5
	v_cndmask_b32_e64 v52, v6, v3, s0
; %bb.1149:                             ;   in Loop: Header=BB456_991 Depth=1
	s_or_b32 exec_lo, exec_lo, s9
	v_and_b32_e32 v84, 0xffff0000, v4
	v_lshlrev_b32_e32 v2, 16, v2
                                        ; implicit-def: $vgpr53
	s_delay_alu instid0(VALU_DEP_1) | instskip(NEXT) | instid1(VALU_DEP_1)
	v_mul_f32_e32 v2, v84, v2
	v_and_b32_e32 v3, 0x7f800000, v2
	s_delay_alu instid0(VALU_DEP_1) | instskip(NEXT) | instid1(VALU_DEP_1)
	v_cmp_ne_u32_e64 s0, 0x7f800000, v3
	s_and_saveexec_b32 s9, s0
	s_delay_alu instid0(SALU_CYCLE_1)
	s_xor_b32 s0, exec_lo, s9
; %bb.1150:                             ;   in Loop: Header=BB456_991 Depth=1
	v_bfe_u32 v3, v2, 16, 1
	s_delay_alu instid0(VALU_DEP_1)
	v_add3_u32 v53, v2, v3, 0x7fff
                                        ; implicit-def: $vgpr2
; %bb.1151:                             ;   in Loop: Header=BB456_991 Depth=1
	s_and_not1_saveexec_b32 s9, s0
; %bb.1152:                             ;   in Loop: Header=BB456_991 Depth=1
	v_and_b32_e32 v3, 0xffff, v2
	v_or_b32_e32 v4, 0x10000, v2
	s_delay_alu instid0(VALU_DEP_2) | instskip(NEXT) | instid1(VALU_DEP_1)
	v_cmp_eq_u32_e64 s0, 0, v3
	v_cndmask_b32_e64 v53, v4, v2, s0
; %bb.1153:                             ;   in Loop: Header=BB456_991 Depth=1
	s_or_b32 exec_lo, exec_lo, s9
	flat_load_b64 v[2:3], v[0:1] offset:256
	s_mov_b32 s9, exec_lo
	s_waitcnt vmcnt(0) lgkmcnt(0)
	v_dual_mov_b32 v4, 0 :: v_dual_and_b32 v5, 0xff, v2
	s_delay_alu instid0(VALU_DEP_1)
	v_cmpx_ne_u16_e32 0, v5
	s_cbranch_execz .LBB456_1161
; %bb.1154:                             ;   in Loop: Header=BB456_991 Depth=1
	v_bfrev_b32_e32 v4, 1
	s_mov_b32 s12, exec_lo
	v_cmpx_ne_u16_e32 0x80, v5
	s_cbranch_execz .LBB456_1160
; %bb.1155:                             ;   in Loop: Header=BB456_991 Depth=1
	v_and_b32_e32 v5, 0x7f, v2
	v_mov_b32_e32 v4, 0x7f800001
	s_mov_b32 s13, exec_lo
	s_delay_alu instid0(VALU_DEP_2)
	v_cmpx_ne_u32_e32 0x7f, v5
	s_cbranch_execz .LBB456_1159
; %bb.1156:                             ;   in Loop: Header=BB456_991 Depth=1
	v_lshrrev_b32_e32 v4, 3, v5
	v_dual_mov_b32 v7, v3 :: v_dual_mov_b32 v6, v2
	s_mov_b32 s15, exec_lo
	v_cmpx_gt_u32_e32 8, v5
; %bb.1157:                             ;   in Loop: Header=BB456_991 Depth=1
	v_and_b32_e32 v4, 7, v2
	s_delay_alu instid0(VALU_DEP_1) | instskip(NEXT) | instid1(VALU_DEP_1)
	v_clz_i32_u32_e32 v4, v4
	v_min_u32_e32 v4, 32, v4
	s_delay_alu instid0(VALU_DEP_1) | instskip(SKIP_1) | instid1(VALU_DEP_2)
	v_subrev_nc_u32_e32 v5, 28, v4
	v_sub_nc_u32_e32 v4, 29, v4
	v_lshlrev_b64 v[6:7], v5, v[2:3]
; %bb.1158:                             ;   in Loop: Header=BB456_991 Depth=1
	s_or_b32 exec_lo, exec_lo, s15
	s_delay_alu instid0(VALU_DEP_1) | instskip(SKIP_2) | instid1(VALU_DEP_3)
	v_lshlrev_b32_e32 v5, 20, v6
	v_lshlrev_b32_e32 v6, 24, v2
	v_lshl_add_u32 v4, v4, 23, 0x3c000000
	v_and_b32_e32 v5, 0x700000, v5
	s_delay_alu instid0(VALU_DEP_3) | instskip(NEXT) | instid1(VALU_DEP_1)
	v_and_b32_e32 v6, 0x80000000, v6
	v_or3_b32 v4, v5, v6, v4
.LBB456_1159:                           ;   in Loop: Header=BB456_991 Depth=1
	s_or_b32 exec_lo, exec_lo, s13
.LBB456_1160:                           ;   in Loop: Header=BB456_991 Depth=1
	s_delay_alu instid0(SALU_CYCLE_1)
	s_or_b32 exec_lo, exec_lo, s12
.LBB456_1161:                           ;   in Loop: Header=BB456_991 Depth=1
	s_delay_alu instid0(SALU_CYCLE_1) | instskip(NEXT) | instid1(VALU_DEP_1)
	s_or_b32 exec_lo, exec_lo, s9
	v_mul_f32_e32 v5, v26, v4
	s_delay_alu instid0(VALU_DEP_1) | instskip(NEXT) | instid1(VALU_DEP_1)
	v_and_b32_e32 v4, 0x7f800000, v5
	v_cmp_ne_u32_e64 s0, 0x7f800000, v4
                                        ; implicit-def: $vgpr4
	s_delay_alu instid0(VALU_DEP_1) | instskip(NEXT) | instid1(SALU_CYCLE_1)
	s_and_saveexec_b32 s9, s0
	s_xor_b32 s0, exec_lo, s9
; %bb.1162:                             ;   in Loop: Header=BB456_991 Depth=1
	v_bfe_u32 v4, v5, 16, 1
	s_delay_alu instid0(VALU_DEP_1)
	v_add3_u32 v4, v5, v4, 0x7fff
                                        ; implicit-def: $vgpr5
; %bb.1163:                             ;   in Loop: Header=BB456_991 Depth=1
	s_and_not1_saveexec_b32 s9, s0
; %bb.1164:                             ;   in Loop: Header=BB456_991 Depth=1
	v_and_b32_e32 v4, 0xffff, v5
	v_or_b32_e32 v6, 0x10000, v5
	s_delay_alu instid0(VALU_DEP_2) | instskip(NEXT) | instid1(VALU_DEP_1)
	v_cmp_eq_u32_e64 s0, 0, v4
	v_cndmask_b32_e64 v4, v6, v5, s0
; %bb.1165:                             ;   in Loop: Header=BB456_991 Depth=1
	s_or_b32 exec_lo, exec_lo, s9
	v_lshrrev_b16 v6, 8, v2
	v_mov_b32_e32 v5, 0
	s_mov_b32 s9, exec_lo
	s_delay_alu instid0(VALU_DEP_2)
	v_cmpx_ne_u16_e32 0, v6
	s_cbranch_execz .LBB456_1173
; %bb.1166:                             ;   in Loop: Header=BB456_991 Depth=1
	v_bfrev_b32_e32 v5, 1
	s_mov_b32 s12, exec_lo
	v_cmpx_ne_u16_e32 0x80, v6
	s_cbranch_execz .LBB456_1172
; %bb.1167:                             ;   in Loop: Header=BB456_991 Depth=1
	v_and_b32_e32 v7, 0xffff, v6
	v_mov_b32_e32 v5, 0x7f800001
	s_mov_b32 s13, exec_lo
	s_delay_alu instid0(VALU_DEP_2) | instskip(NEXT) | instid1(VALU_DEP_1)
	v_and_b32_e32 v6, 0x7f, v7
	v_cmpx_ne_u32_e32 0x7f, v6
	s_cbranch_execz .LBB456_1171
; %bb.1168:                             ;   in Loop: Header=BB456_991 Depth=1
	v_and_b32_e32 v9, 7, v7
	v_lshrrev_b32_e32 v5, 3, v6
	s_mov_b32 s15, exec_lo
	v_cmpx_gt_u32_e32 8, v6
; %bb.1169:                             ;   in Loop: Header=BB456_991 Depth=1
	s_delay_alu instid0(VALU_DEP_3) | instskip(NEXT) | instid1(VALU_DEP_1)
	v_clz_i32_u32_e32 v5, v9
	v_min_u32_e32 v5, 32, v5
	s_delay_alu instid0(VALU_DEP_1) | instskip(SKIP_1) | instid1(VALU_DEP_2)
	v_subrev_nc_u32_e32 v6, 28, v5
	v_sub_nc_u32_e32 v5, 29, v5
	v_lshlrev_b64 v[6:7], v6, v[9:10]
	s_delay_alu instid0(VALU_DEP_1)
	v_and_b32_e32 v9, 7, v6
; %bb.1170:                             ;   in Loop: Header=BB456_991 Depth=1
	s_or_b32 exec_lo, exec_lo, s15
	v_lshlrev_b32_e32 v6, 16, v2
	s_delay_alu instid0(VALU_DEP_2) | instskip(SKIP_1) | instid1(VALU_DEP_3)
	v_lshlrev_b32_e32 v7, 20, v9
	v_lshl_add_u32 v5, v5, 23, 0x3c000000
	v_and_b32_e32 v6, 0x80000000, v6
	s_delay_alu instid0(VALU_DEP_1)
	v_or3_b32 v5, v7, v6, v5
.LBB456_1171:                           ;   in Loop: Header=BB456_991 Depth=1
	s_or_b32 exec_lo, exec_lo, s13
.LBB456_1172:                           ;   in Loop: Header=BB456_991 Depth=1
	s_delay_alu instid0(SALU_CYCLE_1)
	s_or_b32 exec_lo, exec_lo, s12
.LBB456_1173:                           ;   in Loop: Header=BB456_991 Depth=1
	s_delay_alu instid0(SALU_CYCLE_1) | instskip(NEXT) | instid1(VALU_DEP_1)
	s_or_b32 exec_lo, exec_lo, s9
	v_mul_f32_e32 v6, v26, v5
	s_delay_alu instid0(VALU_DEP_1) | instskip(NEXT) | instid1(VALU_DEP_1)
	v_and_b32_e32 v5, 0x7f800000, v6
	v_cmp_ne_u32_e64 s0, 0x7f800000, v5
                                        ; implicit-def: $vgpr5
	s_delay_alu instid0(VALU_DEP_1) | instskip(NEXT) | instid1(SALU_CYCLE_1)
	s_and_saveexec_b32 s9, s0
	s_xor_b32 s0, exec_lo, s9
; %bb.1174:                             ;   in Loop: Header=BB456_991 Depth=1
	v_bfe_u32 v5, v6, 16, 1
	s_delay_alu instid0(VALU_DEP_1)
	v_add3_u32 v5, v6, v5, 0x7fff
                                        ; implicit-def: $vgpr6
; %bb.1175:                             ;   in Loop: Header=BB456_991 Depth=1
	s_and_not1_saveexec_b32 s9, s0
; %bb.1176:                             ;   in Loop: Header=BB456_991 Depth=1
	v_and_b32_e32 v5, 0xffff, v6
	v_or_b32_e32 v7, 0x10000, v6
	s_delay_alu instid0(VALU_DEP_2) | instskip(NEXT) | instid1(VALU_DEP_1)
	v_cmp_eq_u32_e64 s0, 0, v5
	v_cndmask_b32_e64 v5, v7, v6, s0
; %bb.1177:                             ;   in Loop: Header=BB456_991 Depth=1
	s_or_b32 exec_lo, exec_lo, s9
	v_lshrrev_b32_e32 v6, 16, v2
	v_mov_b32_e32 v7, 0
	s_mov_b32 s9, exec_lo
	s_delay_alu instid0(VALU_DEP_2) | instskip(NEXT) | instid1(VALU_DEP_1)
	v_and_b32_e32 v9, 0xff, v6
	v_cmpx_ne_u16_e32 0, v9
	s_cbranch_execz .LBB456_1185
; %bb.1178:                             ;   in Loop: Header=BB456_991 Depth=1
	v_bfrev_b32_e32 v7, 1
	s_mov_b32 s12, exec_lo
	v_cmpx_ne_u16_e32 0x80, v9
	s_cbranch_execz .LBB456_1184
; %bb.1179:                             ;   in Loop: Header=BB456_991 Depth=1
	v_bfe_u32 v23, v2, 16, 7
	v_mov_b32_e32 v7, 0x7f800001
	s_mov_b32 s13, exec_lo
	s_delay_alu instid0(VALU_DEP_2)
	v_cmpx_ne_u32_e32 0x7f, v23
	s_cbranch_execz .LBB456_1183
; %bb.1180:                             ;   in Loop: Header=BB456_991 Depth=1
	v_and_b32_e32 v9, 7, v6
	v_lshrrev_b32_e32 v7, 3, v23
	s_mov_b32 s15, exec_lo
	v_cmpx_gt_u32_e32 8, v23
; %bb.1181:                             ;   in Loop: Header=BB456_991 Depth=1
	s_delay_alu instid0(VALU_DEP_3) | instskip(NEXT) | instid1(VALU_DEP_1)
	v_clz_i32_u32_e32 v7, v9
	v_min_u32_e32 v7, 32, v7
	s_delay_alu instid0(VALU_DEP_1) | instskip(SKIP_1) | instid1(VALU_DEP_2)
	v_subrev_nc_u32_e32 v23, 28, v7
	v_sub_nc_u32_e32 v7, 29, v7
	v_lshlrev_b64 v[85:86], v23, v[9:10]
	s_delay_alu instid0(VALU_DEP_1)
	v_and_b32_e32 v9, 7, v85
; %bb.1182:                             ;   in Loop: Header=BB456_991 Depth=1
	s_or_b32 exec_lo, exec_lo, s15
	v_lshlrev_b32_e32 v6, 24, v6
	s_delay_alu instid0(VALU_DEP_2) | instskip(SKIP_1) | instid1(VALU_DEP_3)
	v_lshlrev_b32_e32 v9, 20, v9
	v_lshl_add_u32 v7, v7, 23, 0x3c000000
	v_and_b32_e32 v6, 0x80000000, v6
	s_delay_alu instid0(VALU_DEP_1)
	v_or3_b32 v7, v9, v6, v7
.LBB456_1183:                           ;   in Loop: Header=BB456_991 Depth=1
	s_or_b32 exec_lo, exec_lo, s13
.LBB456_1184:                           ;   in Loop: Header=BB456_991 Depth=1
	s_delay_alu instid0(SALU_CYCLE_1)
	s_or_b32 exec_lo, exec_lo, s12
.LBB456_1185:                           ;   in Loop: Header=BB456_991 Depth=1
	s_delay_alu instid0(SALU_CYCLE_1) | instskip(NEXT) | instid1(VALU_DEP_1)
	s_or_b32 exec_lo, exec_lo, s9
	v_mul_f32_e32 v6, v26, v7
                                        ; implicit-def: $vgpr23
	s_delay_alu instid0(VALU_DEP_1) | instskip(NEXT) | instid1(VALU_DEP_1)
	v_and_b32_e32 v7, 0x7f800000, v6
	v_cmp_ne_u32_e64 s0, 0x7f800000, v7
	s_delay_alu instid0(VALU_DEP_1) | instskip(NEXT) | instid1(SALU_CYCLE_1)
	s_and_saveexec_b32 s9, s0
	s_xor_b32 s0, exec_lo, s9
; %bb.1186:                             ;   in Loop: Header=BB456_991 Depth=1
	v_bfe_u32 v7, v6, 16, 1
	s_delay_alu instid0(VALU_DEP_1)
	v_add3_u32 v23, v6, v7, 0x7fff
                                        ; implicit-def: $vgpr6
; %bb.1187:                             ;   in Loop: Header=BB456_991 Depth=1
	s_and_not1_saveexec_b32 s9, s0
; %bb.1188:                             ;   in Loop: Header=BB456_991 Depth=1
	v_and_b32_e32 v7, 0xffff, v6
	v_or_b32_e32 v9, 0x10000, v6
	s_delay_alu instid0(VALU_DEP_2) | instskip(NEXT) | instid1(VALU_DEP_1)
	v_cmp_eq_u32_e64 s0, 0, v7
	v_cndmask_b32_e64 v23, v9, v6, s0
; %bb.1189:                             ;   in Loop: Header=BB456_991 Depth=1
	s_or_b32 exec_lo, exec_lo, s9
	v_mov_b32_e32 v7, 0
	s_mov_b32 s9, exec_lo
	v_cmpx_lt_u32_e32 0xffffff, v2
	s_cbranch_execz .LBB456_1197
; %bb.1190:                             ;   in Loop: Header=BB456_991 Depth=1
	v_lshrrev_b32_e32 v6, 24, v2
	v_bfrev_b32_e32 v7, 1
	s_mov_b32 s12, exec_lo
	s_delay_alu instid0(VALU_DEP_2)
	v_cmpx_ne_u32_e32 0x80, v6
	s_cbranch_execz .LBB456_1196
; %bb.1191:                             ;   in Loop: Header=BB456_991 Depth=1
	v_bfe_u32 v36, v2, 24, 7
	v_mov_b32_e32 v7, 0x7f800001
	s_mov_b32 s13, exec_lo
	s_delay_alu instid0(VALU_DEP_2)
	v_cmpx_ne_u32_e32 0x7f, v36
	s_cbranch_execz .LBB456_1195
; %bb.1192:                             ;   in Loop: Header=BB456_991 Depth=1
	v_and_b32_e32 v9, 7, v6
	v_lshrrev_b32_e32 v7, 3, v36
	s_mov_b32 s15, exec_lo
	v_cmpx_gt_u32_e32 8, v36
; %bb.1193:                             ;   in Loop: Header=BB456_991 Depth=1
	s_delay_alu instid0(VALU_DEP_3) | instskip(NEXT) | instid1(VALU_DEP_1)
	v_clz_i32_u32_e32 v7, v9
	v_min_u32_e32 v7, 32, v7
	s_delay_alu instid0(VALU_DEP_1) | instskip(SKIP_1) | instid1(VALU_DEP_2)
	v_subrev_nc_u32_e32 v36, 28, v7
	v_sub_nc_u32_e32 v7, 29, v7
	v_lshlrev_b64 v[85:86], v36, v[9:10]
	s_delay_alu instid0(VALU_DEP_1)
	v_and_b32_e32 v9, 7, v85
; %bb.1194:                             ;   in Loop: Header=BB456_991 Depth=1
	s_or_b32 exec_lo, exec_lo, s15
	v_lshlrev_b32_e32 v6, 24, v6
	s_delay_alu instid0(VALU_DEP_2) | instskip(SKIP_1) | instid1(VALU_DEP_3)
	v_lshlrev_b32_e32 v9, 20, v9
	v_lshl_add_u32 v7, v7, 23, 0x3c000000
	v_and_b32_e32 v6, 0x80000000, v6
	s_delay_alu instid0(VALU_DEP_1)
	v_or3_b32 v7, v9, v6, v7
.LBB456_1195:                           ;   in Loop: Header=BB456_991 Depth=1
	s_or_b32 exec_lo, exec_lo, s13
.LBB456_1196:                           ;   in Loop: Header=BB456_991 Depth=1
	s_delay_alu instid0(SALU_CYCLE_1)
	s_or_b32 exec_lo, exec_lo, s12
.LBB456_1197:                           ;   in Loop: Header=BB456_991 Depth=1
	s_delay_alu instid0(SALU_CYCLE_1) | instskip(NEXT) | instid1(VALU_DEP_1)
	s_or_b32 exec_lo, exec_lo, s9
	v_mul_f32_e32 v6, v26, v7
                                        ; implicit-def: $vgpr36
	s_delay_alu instid0(VALU_DEP_1) | instskip(NEXT) | instid1(VALU_DEP_1)
	v_and_b32_e32 v7, 0x7f800000, v6
	v_cmp_ne_u32_e64 s0, 0x7f800000, v7
	s_delay_alu instid0(VALU_DEP_1) | instskip(NEXT) | instid1(SALU_CYCLE_1)
	s_and_saveexec_b32 s9, s0
	s_xor_b32 s0, exec_lo, s9
; %bb.1198:                             ;   in Loop: Header=BB456_991 Depth=1
	v_bfe_u32 v7, v6, 16, 1
	s_delay_alu instid0(VALU_DEP_1)
	v_add3_u32 v36, v6, v7, 0x7fff
                                        ; implicit-def: $vgpr6
; %bb.1199:                             ;   in Loop: Header=BB456_991 Depth=1
	s_and_not1_saveexec_b32 s9, s0
; %bb.1200:                             ;   in Loop: Header=BB456_991 Depth=1
	v_and_b32_e32 v7, 0xffff, v6
	v_or_b32_e32 v9, 0x10000, v6
	s_delay_alu instid0(VALU_DEP_2) | instskip(NEXT) | instid1(VALU_DEP_1)
	v_cmp_eq_u32_e64 s0, 0, v7
	v_cndmask_b32_e64 v36, v9, v6, s0
; %bb.1201:                             ;   in Loop: Header=BB456_991 Depth=1
	s_or_b32 exec_lo, exec_lo, s9
	v_dual_mov_b32 v6, 0 :: v_dual_and_b32 v7, 0xff, v3
	v_mov_b32_e32 v9, v3
	s_mov_b32 s9, exec_lo
	s_delay_alu instid0(VALU_DEP_2)
	v_cmpx_ne_u16_e32 0, v7
	s_cbranch_execz .LBB456_1209
; %bb.1202:                             ;   in Loop: Header=BB456_991 Depth=1
	v_bfrev_b32_e32 v6, 1
	s_mov_b32 s12, exec_lo
	v_cmpx_ne_u16_e32 0x80, v7
	s_cbranch_execz .LBB456_1208
; %bb.1203:                             ;   in Loop: Header=BB456_991 Depth=1
	v_and_b32_e32 v7, 0x7f, v3
	v_mov_b32_e32 v6, 0x7f800001
	s_mov_b32 s13, exec_lo
	s_delay_alu instid0(VALU_DEP_2)
	v_cmpx_ne_u32_e32 0x7f, v7
	s_cbranch_execz .LBB456_1207
; %bb.1204:                             ;   in Loop: Header=BB456_991 Depth=1
	v_lshrrev_b32_e32 v85, 3, v7
	v_cmp_gt_u32_e64 s0, 8, v7
	v_dual_mov_b32 v6, v9 :: v_dual_mov_b32 v7, v10
	s_delay_alu instid0(VALU_DEP_2)
	s_and_saveexec_b32 s15, s0
; %bb.1205:                             ;   in Loop: Header=BB456_991 Depth=1
	v_and_b32_e32 v6, 7, v3
	s_delay_alu instid0(VALU_DEP_1) | instskip(NEXT) | instid1(VALU_DEP_1)
	v_clz_i32_u32_e32 v6, v6
	v_min_u32_e32 v85, 32, v6
	s_delay_alu instid0(VALU_DEP_1) | instskip(SKIP_1) | instid1(VALU_DEP_2)
	v_subrev_nc_u32_e32 v6, 28, v85
	v_sub_nc_u32_e32 v85, 29, v85
	v_lshlrev_b64 v[6:7], v6, v[9:10]
; %bb.1206:                             ;   in Loop: Header=BB456_991 Depth=1
	s_or_b32 exec_lo, exec_lo, s15
	s_delay_alu instid0(VALU_DEP_1) | instskip(SKIP_2) | instid1(VALU_DEP_3)
	v_lshlrev_b32_e32 v6, 20, v6
	v_lshlrev_b32_e32 v7, 24, v9
	v_lshl_add_u32 v85, v85, 23, 0x3c000000
	v_and_b32_e32 v6, 0x700000, v6
	s_delay_alu instid0(VALU_DEP_3) | instskip(NEXT) | instid1(VALU_DEP_1)
	v_and_b32_e32 v7, 0x80000000, v7
	v_or3_b32 v6, v6, v7, v85
.LBB456_1207:                           ;   in Loop: Header=BB456_991 Depth=1
	s_or_b32 exec_lo, exec_lo, s13
.LBB456_1208:                           ;   in Loop: Header=BB456_991 Depth=1
	s_delay_alu instid0(SALU_CYCLE_1)
	s_or_b32 exec_lo, exec_lo, s12
.LBB456_1209:                           ;   in Loop: Header=BB456_991 Depth=1
	s_delay_alu instid0(SALU_CYCLE_1) | instskip(NEXT) | instid1(VALU_DEP_1)
	s_or_b32 exec_lo, exec_lo, s9
	v_mul_f32_e32 v6, v26, v6
                                        ; implicit-def: $vgpr85
	s_delay_alu instid0(VALU_DEP_1) | instskip(NEXT) | instid1(VALU_DEP_1)
	v_and_b32_e32 v7, 0x7f800000, v6
	v_cmp_ne_u32_e64 s0, 0x7f800000, v7
	s_delay_alu instid0(VALU_DEP_1) | instskip(NEXT) | instid1(SALU_CYCLE_1)
	s_and_saveexec_b32 s9, s0
	s_xor_b32 s0, exec_lo, s9
; %bb.1210:                             ;   in Loop: Header=BB456_991 Depth=1
	v_bfe_u32 v7, v6, 16, 1
	s_delay_alu instid0(VALU_DEP_1)
	v_add3_u32 v85, v6, v7, 0x7fff
                                        ; implicit-def: $vgpr6
; %bb.1211:                             ;   in Loop: Header=BB456_991 Depth=1
	s_and_not1_saveexec_b32 s9, s0
; %bb.1212:                             ;   in Loop: Header=BB456_991 Depth=1
	v_and_b32_e32 v7, 0xffff, v6
	v_or_b32_e32 v85, 0x10000, v6
	s_delay_alu instid0(VALU_DEP_2) | instskip(NEXT) | instid1(VALU_DEP_1)
	v_cmp_eq_u32_e64 s0, 0, v7
	v_cndmask_b32_e64 v85, v85, v6, s0
; %bb.1213:                             ;   in Loop: Header=BB456_991 Depth=1
	s_or_b32 exec_lo, exec_lo, s9
	v_lshrrev_b16 v7, 8, v9
	v_mov_b32_e32 v6, 0
	s_mov_b32 s9, exec_lo
	s_delay_alu instid0(VALU_DEP_2)
	v_cmpx_ne_u16_e32 0, v7
	s_cbranch_execz .LBB456_1221
; %bb.1214:                             ;   in Loop: Header=BB456_991 Depth=1
	v_bfrev_b32_e32 v6, 1
	s_mov_b32 s12, exec_lo
	v_cmpx_ne_u16_e32 0x80, v7
	s_cbranch_execz .LBB456_1220
; %bb.1215:                             ;   in Loop: Header=BB456_991 Depth=1
	v_and_b32_e32 v7, 0xffff, v7
	v_mov_b32_e32 v6, 0x7f800001
	s_mov_b32 s13, exec_lo
	s_delay_alu instid0(VALU_DEP_2) | instskip(NEXT) | instid1(VALU_DEP_1)
	v_and_b32_e32 v87, 0x7f, v7
	v_cmpx_ne_u32_e32 0x7f, v87
	s_cbranch_execz .LBB456_1219
; %bb.1216:                             ;   in Loop: Header=BB456_991 Depth=1
	v_dual_mov_b32 v7, v10 :: v_dual_and_b32 v6, 7, v7
	v_lshrrev_b32_e32 v86, 3, v87
	s_mov_b32 s15, exec_lo
	v_cmpx_gt_u32_e32 8, v87
; %bb.1217:                             ;   in Loop: Header=BB456_991 Depth=1
	s_delay_alu instid0(VALU_DEP_3) | instskip(NEXT) | instid1(VALU_DEP_1)
	v_clz_i32_u32_e32 v86, v6
	v_min_u32_e32 v86, 32, v86
	s_delay_alu instid0(VALU_DEP_1) | instskip(SKIP_1) | instid1(VALU_DEP_2)
	v_subrev_nc_u32_e32 v87, 28, v86
	v_sub_nc_u32_e32 v86, 29, v86
	v_lshlrev_b64 v[6:7], v87, v[6:7]
	s_delay_alu instid0(VALU_DEP_1)
	v_and_b32_e32 v6, 7, v6
; %bb.1218:                             ;   in Loop: Header=BB456_991 Depth=1
	s_or_b32 exec_lo, exec_lo, s15
	v_lshlrev_b32_e32 v7, 16, v9
	s_delay_alu instid0(VALU_DEP_2) | instskip(SKIP_1) | instid1(VALU_DEP_3)
	v_lshlrev_b32_e32 v6, 20, v6
	v_lshl_add_u32 v9, v86, 23, 0x3c000000
	v_and_b32_e32 v7, 0x80000000, v7
	s_delay_alu instid0(VALU_DEP_1)
	v_or3_b32 v6, v6, v7, v9
.LBB456_1219:                           ;   in Loop: Header=BB456_991 Depth=1
	s_or_b32 exec_lo, exec_lo, s13
.LBB456_1220:                           ;   in Loop: Header=BB456_991 Depth=1
	s_delay_alu instid0(SALU_CYCLE_1)
	s_or_b32 exec_lo, exec_lo, s12
.LBB456_1221:                           ;   in Loop: Header=BB456_991 Depth=1
	s_delay_alu instid0(SALU_CYCLE_1) | instskip(NEXT) | instid1(VALU_DEP_1)
	s_or_b32 exec_lo, exec_lo, s9
	v_mul_f32_e32 v7, v26, v6
	s_delay_alu instid0(VALU_DEP_1) | instskip(NEXT) | instid1(VALU_DEP_1)
	v_and_b32_e32 v6, 0x7f800000, v7
	v_cmp_ne_u32_e64 s0, 0x7f800000, v6
                                        ; implicit-def: $vgpr6
	s_delay_alu instid0(VALU_DEP_1) | instskip(NEXT) | instid1(SALU_CYCLE_1)
	s_and_saveexec_b32 s9, s0
	s_xor_b32 s0, exec_lo, s9
; %bb.1222:                             ;   in Loop: Header=BB456_991 Depth=1
	v_bfe_u32 v6, v7, 16, 1
	s_delay_alu instid0(VALU_DEP_1)
	v_add3_u32 v6, v7, v6, 0x7fff
                                        ; implicit-def: $vgpr7
; %bb.1223:                             ;   in Loop: Header=BB456_991 Depth=1
	s_and_not1_saveexec_b32 s9, s0
; %bb.1224:                             ;   in Loop: Header=BB456_991 Depth=1
	v_and_b32_e32 v6, 0xffff, v7
	v_or_b32_e32 v9, 0x10000, v7
	s_delay_alu instid0(VALU_DEP_2) | instskip(NEXT) | instid1(VALU_DEP_1)
	v_cmp_eq_u32_e64 s0, 0, v6
	v_cndmask_b32_e64 v6, v9, v7, s0
; %bb.1225:                             ;   in Loop: Header=BB456_991 Depth=1
	s_or_b32 exec_lo, exec_lo, s9
	v_lshrrev_b32_e32 v7, 16, v3
	s_mov_b32 s9, exec_lo
	s_delay_alu instid0(VALU_DEP_1) | instskip(NEXT) | instid1(VALU_DEP_1)
	v_dual_mov_b32 v9, 0 :: v_dual_and_b32 v86, 0xff, v7
	v_cmpx_ne_u16_e32 0, v86
	s_cbranch_execz .LBB456_1233
; %bb.1226:                             ;   in Loop: Header=BB456_991 Depth=1
	v_bfrev_b32_e32 v9, 1
	s_mov_b32 s12, exec_lo
	v_cmpx_ne_u16_e32 0x80, v86
	s_cbranch_execz .LBB456_1232
; %bb.1227:                             ;   in Loop: Header=BB456_991 Depth=1
	v_bfe_u32 v87, v3, 16, 7
	v_mov_b32_e32 v9, 0x7f800001
	s_mov_b32 s13, exec_lo
	s_delay_alu instid0(VALU_DEP_2)
	v_cmpx_ne_u32_e32 0x7f, v87
	s_cbranch_execz .LBB456_1231
; %bb.1228:                             ;   in Loop: Header=BB456_991 Depth=1
	v_and_b32_e32 v9, 7, v7
	v_lshrrev_b32_e32 v86, 3, v87
	s_mov_b32 s15, exec_lo
	v_cmpx_gt_u32_e32 8, v87
; %bb.1229:                             ;   in Loop: Header=BB456_991 Depth=1
	s_delay_alu instid0(VALU_DEP_3) | instskip(NEXT) | instid1(VALU_DEP_1)
	v_clz_i32_u32_e32 v86, v9
	v_min_u32_e32 v86, 32, v86
	s_delay_alu instid0(VALU_DEP_1) | instskip(SKIP_1) | instid1(VALU_DEP_2)
	v_subrev_nc_u32_e32 v87, 28, v86
	v_sub_nc_u32_e32 v86, 29, v86
	v_lshlrev_b64 v[96:97], v87, v[9:10]
	s_delay_alu instid0(VALU_DEP_1)
	v_and_b32_e32 v9, 7, v96
; %bb.1230:                             ;   in Loop: Header=BB456_991 Depth=1
	s_or_b32 exec_lo, exec_lo, s15
	v_lshlrev_b32_e32 v7, 24, v7
	s_delay_alu instid0(VALU_DEP_2) | instskip(SKIP_1) | instid1(VALU_DEP_3)
	v_lshlrev_b32_e32 v9, 20, v9
	v_lshl_add_u32 v86, v86, 23, 0x3c000000
	v_and_b32_e32 v7, 0x80000000, v7
	s_delay_alu instid0(VALU_DEP_1)
	v_or3_b32 v9, v9, v7, v86
.LBB456_1231:                           ;   in Loop: Header=BB456_991 Depth=1
	s_or_b32 exec_lo, exec_lo, s13
.LBB456_1232:                           ;   in Loop: Header=BB456_991 Depth=1
	s_delay_alu instid0(SALU_CYCLE_1)
	s_or_b32 exec_lo, exec_lo, s12
.LBB456_1233:                           ;   in Loop: Header=BB456_991 Depth=1
	s_delay_alu instid0(SALU_CYCLE_1) | instskip(NEXT) | instid1(VALU_DEP_1)
	s_or_b32 exec_lo, exec_lo, s9
	v_mul_f32_e32 v7, v26, v9
                                        ; implicit-def: $vgpr86
	s_delay_alu instid0(VALU_DEP_1) | instskip(NEXT) | instid1(VALU_DEP_1)
	v_and_b32_e32 v9, 0x7f800000, v7
	v_cmp_ne_u32_e64 s0, 0x7f800000, v9
	s_delay_alu instid0(VALU_DEP_1) | instskip(NEXT) | instid1(SALU_CYCLE_1)
	s_and_saveexec_b32 s9, s0
	s_xor_b32 s0, exec_lo, s9
; %bb.1234:                             ;   in Loop: Header=BB456_991 Depth=1
	v_bfe_u32 v9, v7, 16, 1
	s_delay_alu instid0(VALU_DEP_1)
	v_add3_u32 v86, v7, v9, 0x7fff
                                        ; implicit-def: $vgpr7
; %bb.1235:                             ;   in Loop: Header=BB456_991 Depth=1
	s_and_not1_saveexec_b32 s9, s0
; %bb.1236:                             ;   in Loop: Header=BB456_991 Depth=1
	v_and_b32_e32 v9, 0xffff, v7
	v_or_b32_e32 v86, 0x10000, v7
	s_delay_alu instid0(VALU_DEP_2) | instskip(NEXT) | instid1(VALU_DEP_1)
	v_cmp_eq_u32_e64 s0, 0, v9
	v_cndmask_b32_e64 v86, v86, v7, s0
; %bb.1237:                             ;   in Loop: Header=BB456_991 Depth=1
	s_or_b32 exec_lo, exec_lo, s9
	v_mov_b32_e32 v7, 0
	s_mov_b32 s9, exec_lo
	v_cmpx_lt_u64_e64 s[2:3], v[2:3]
	s_cbranch_execz .LBB456_1245
; %bb.1238:                             ;   in Loop: Header=BB456_991 Depth=1
	v_lshrrev_b32_e32 v2, 24, v3
	v_bfrev_b32_e32 v7, 1
	s_mov_b32 s12, exec_lo
	s_delay_alu instid0(VALU_DEP_2)
	v_cmpx_ne_u32_e32 0x80, v2
	s_cbranch_execz .LBB456_1244
; %bb.1239:                             ;   in Loop: Header=BB456_991 Depth=1
	v_bfe_u32 v87, v3, 24, 7
	v_mov_b32_e32 v7, 0x7f800001
	s_mov_b32 s13, exec_lo
	s_delay_alu instid0(VALU_DEP_2)
	v_cmpx_ne_u32_e32 0x7f, v87
	s_cbranch_execz .LBB456_1243
; %bb.1240:                             ;   in Loop: Header=BB456_991 Depth=1
	v_and_b32_e32 v9, 7, v2
	v_lshrrev_b32_e32 v3, 3, v87
	s_mov_b32 s15, exec_lo
	v_cmpx_gt_u32_e32 8, v87
; %bb.1241:                             ;   in Loop: Header=BB456_991 Depth=1
	s_delay_alu instid0(VALU_DEP_3) | instskip(NEXT) | instid1(VALU_DEP_1)
	v_clz_i32_u32_e32 v3, v9
	v_min_u32_e32 v3, 32, v3
	s_delay_alu instid0(VALU_DEP_1) | instskip(SKIP_1) | instid1(VALU_DEP_2)
	v_subrev_nc_u32_e32 v7, 28, v3
	v_sub_nc_u32_e32 v3, 29, v3
	v_lshlrev_b64 v[96:97], v7, v[9:10]
	s_delay_alu instid0(VALU_DEP_1)
	v_and_b32_e32 v9, 7, v96
; %bb.1242:                             ;   in Loop: Header=BB456_991 Depth=1
	s_or_b32 exec_lo, exec_lo, s15
	v_lshlrev_b32_e32 v2, 24, v2
	s_delay_alu instid0(VALU_DEP_2) | instskip(SKIP_1) | instid1(VALU_DEP_3)
	v_lshlrev_b32_e32 v7, 20, v9
	v_lshl_add_u32 v3, v3, 23, 0x3c000000
	v_and_b32_e32 v2, 0x80000000, v2
	s_delay_alu instid0(VALU_DEP_1)
	v_or3_b32 v7, v7, v2, v3
.LBB456_1243:                           ;   in Loop: Header=BB456_991 Depth=1
	s_or_b32 exec_lo, exec_lo, s13
.LBB456_1244:                           ;   in Loop: Header=BB456_991 Depth=1
	s_delay_alu instid0(SALU_CYCLE_1)
	s_or_b32 exec_lo, exec_lo, s12
.LBB456_1245:                           ;   in Loop: Header=BB456_991 Depth=1
	s_delay_alu instid0(SALU_CYCLE_1) | instskip(NEXT) | instid1(VALU_DEP_1)
	s_or_b32 exec_lo, exec_lo, s9
	v_mul_f32_e32 v3, v26, v7
	s_delay_alu instid0(VALU_DEP_1) | instskip(NEXT) | instid1(VALU_DEP_1)
	v_and_b32_e32 v2, 0x7f800000, v3
	v_cmp_ne_u32_e64 s0, 0x7f800000, v2
                                        ; implicit-def: $vgpr2
	s_delay_alu instid0(VALU_DEP_1) | instskip(NEXT) | instid1(SALU_CYCLE_1)
	s_and_saveexec_b32 s9, s0
	s_xor_b32 s0, exec_lo, s9
; %bb.1246:                             ;   in Loop: Header=BB456_991 Depth=1
	v_bfe_u32 v2, v3, 16, 1
	s_delay_alu instid0(VALU_DEP_1)
	v_add3_u32 v2, v3, v2, 0x7fff
                                        ; implicit-def: $vgpr3
; %bb.1247:                             ;   in Loop: Header=BB456_991 Depth=1
	s_and_not1_saveexec_b32 s9, s0
; %bb.1248:                             ;   in Loop: Header=BB456_991 Depth=1
	v_and_b32_e32 v2, 0xffff, v3
	v_or_b32_e32 v7, 0x10000, v3
	s_delay_alu instid0(VALU_DEP_2) | instskip(NEXT) | instid1(VALU_DEP_1)
	v_cmp_eq_u32_e64 s0, 0, v2
	v_cndmask_b32_e64 v2, v7, v3, s0
; %bb.1249:                             ;   in Loop: Header=BB456_991 Depth=1
	s_or_b32 exec_lo, exec_lo, s9
	v_lshrrev_b32_e32 v6, 16, v6
	v_lshrrev_b32_e32 v7, 16, v85
	;; [unrolled: 1-line block ×8, first 2 shown]
	s_and_saveexec_b32 s9, vcc_lo
	s_cbranch_execz .LBB456_1251
; %bb.1250:                             ;   in Loop: Header=BB456_991 Depth=1
	v_cmp_lt_i32_e64 s0, v54, v35
	s_delay_alu instid0(VALU_DEP_1) | instskip(SKIP_1) | instid1(VALU_DEP_1)
	v_cndmask_b32_e64 v4, 0, v4, s0
	v_cmp_lt_i32_e64 s0, v68, v35
	v_cndmask_b32_e64 v5, 0, v5, s0
	v_cmp_lt_i32_e64 s0, v67, v35
	s_delay_alu instid0(VALU_DEP_1) | instskip(SKIP_1) | instid1(VALU_DEP_1)
	v_cndmask_b32_e64 v23, 0, v23, s0
	v_cmp_lt_i32_e64 s0, v66, v35
	v_cndmask_b32_e64 v9, 0, v9, s0
	;; [unrolled: 5-line block ×4, first 2 shown]
.LBB456_1251:                           ;   in Loop: Header=BB456_991 Depth=1
	s_or_b32 exec_lo, exec_lo, s9
	v_lshlrev_b32_e32 v4, 16, v4
                                        ; implicit-def: $vgpr85
	s_delay_alu instid0(VALU_DEP_1) | instskip(NEXT) | instid1(VALU_DEP_1)
	v_mul_f32_e32 v4, v69, v4
	v_and_b32_e32 v36, 0x7f800000, v4
	s_delay_alu instid0(VALU_DEP_1) | instskip(NEXT) | instid1(VALU_DEP_1)
	v_cmp_ne_u32_e64 s0, 0x7f800000, v36
	s_and_saveexec_b32 s9, s0
	s_delay_alu instid0(SALU_CYCLE_1)
	s_xor_b32 s0, exec_lo, s9
; %bb.1252:                             ;   in Loop: Header=BB456_991 Depth=1
	v_bfe_u32 v36, v4, 16, 1
	s_delay_alu instid0(VALU_DEP_1)
	v_add3_u32 v85, v4, v36, 0x7fff
                                        ; implicit-def: $vgpr4
; %bb.1253:                             ;   in Loop: Header=BB456_991 Depth=1
	s_and_not1_saveexec_b32 s9, s0
; %bb.1254:                             ;   in Loop: Header=BB456_991 Depth=1
	v_and_b32_e32 v36, 0xffff, v4
	v_or_b32_e32 v85, 0x10000, v4
	s_delay_alu instid0(VALU_DEP_2) | instskip(NEXT) | instid1(VALU_DEP_1)
	v_cmp_eq_u32_e64 s0, 0, v36
	v_cndmask_b32_e64 v85, v85, v4, s0
; %bb.1255:                             ;   in Loop: Header=BB456_991 Depth=1
	s_or_b32 exec_lo, exec_lo, s9
	v_lshlrev_b32_e32 v4, 16, v5
                                        ; implicit-def: $vgpr86
	s_delay_alu instid0(VALU_DEP_1) | instskip(NEXT) | instid1(VALU_DEP_1)
	v_mul_f32_e32 v4, v70, v4
	v_and_b32_e32 v5, 0x7f800000, v4
	s_delay_alu instid0(VALU_DEP_1) | instskip(NEXT) | instid1(VALU_DEP_1)
	v_cmp_ne_u32_e64 s0, 0x7f800000, v5
	s_and_saveexec_b32 s9, s0
	s_delay_alu instid0(SALU_CYCLE_1)
	s_xor_b32 s0, exec_lo, s9
; %bb.1256:                             ;   in Loop: Header=BB456_991 Depth=1
	v_bfe_u32 v5, v4, 16, 1
	s_delay_alu instid0(VALU_DEP_1)
	v_add3_u32 v86, v4, v5, 0x7fff
                                        ; implicit-def: $vgpr4
; %bb.1257:                             ;   in Loop: Header=BB456_991 Depth=1
	s_and_not1_saveexec_b32 s9, s0
; %bb.1258:                             ;   in Loop: Header=BB456_991 Depth=1
	v_and_b32_e32 v5, 0xffff, v4
	v_or_b32_e32 v36, 0x10000, v4
	s_delay_alu instid0(VALU_DEP_2) | instskip(NEXT) | instid1(VALU_DEP_1)
	v_cmp_eq_u32_e64 s0, 0, v5
	v_cndmask_b32_e64 v86, v36, v4, s0
; %bb.1259:                             ;   in Loop: Header=BB456_991 Depth=1
	s_or_b32 exec_lo, exec_lo, s9
	v_lshlrev_b32_e32 v4, 16, v23
                                        ; implicit-def: $vgpr87
	s_delay_alu instid0(VALU_DEP_1) | instskip(NEXT) | instid1(VALU_DEP_1)
	v_mul_f32_e32 v4, v71, v4
	v_and_b32_e32 v5, 0x7f800000, v4
	s_delay_alu instid0(VALU_DEP_1) | instskip(NEXT) | instid1(VALU_DEP_1)
	v_cmp_ne_u32_e64 s0, 0x7f800000, v5
	s_and_saveexec_b32 s9, s0
	s_delay_alu instid0(SALU_CYCLE_1)
	s_xor_b32 s0, exec_lo, s9
; %bb.1260:                             ;   in Loop: Header=BB456_991 Depth=1
	v_bfe_u32 v5, v4, 16, 1
	s_delay_alu instid0(VALU_DEP_1)
	v_add3_u32 v87, v4, v5, 0x7fff
                                        ; implicit-def: $vgpr4
; %bb.1261:                             ;   in Loop: Header=BB456_991 Depth=1
	s_and_not1_saveexec_b32 s9, s0
; %bb.1262:                             ;   in Loop: Header=BB456_991 Depth=1
	v_and_b32_e32 v5, 0xffff, v4
	v_or_b32_e32 v23, 0x10000, v4
	s_delay_alu instid0(VALU_DEP_2) | instskip(NEXT) | instid1(VALU_DEP_1)
	v_cmp_eq_u32_e64 s0, 0, v5
	v_cndmask_b32_e64 v87, v23, v4, s0
; %bb.1263:                             ;   in Loop: Header=BB456_991 Depth=1
	s_or_b32 exec_lo, exec_lo, s9
	v_lshlrev_b32_e32 v4, 16, v9
                                        ; implicit-def: $vgpr96
	s_delay_alu instid0(VALU_DEP_1) | instskip(NEXT) | instid1(VALU_DEP_1)
	v_mul_f32_e32 v4, v80, v4
	v_and_b32_e32 v5, 0x7f800000, v4
	s_delay_alu instid0(VALU_DEP_1) | instskip(NEXT) | instid1(VALU_DEP_1)
	v_cmp_ne_u32_e64 s0, 0x7f800000, v5
	s_and_saveexec_b32 s9, s0
	s_delay_alu instid0(SALU_CYCLE_1)
	s_xor_b32 s0, exec_lo, s9
; %bb.1264:                             ;   in Loop: Header=BB456_991 Depth=1
	v_bfe_u32 v5, v4, 16, 1
	s_delay_alu instid0(VALU_DEP_1)
	v_add3_u32 v96, v4, v5, 0x7fff
                                        ; implicit-def: $vgpr4
; %bb.1265:                             ;   in Loop: Header=BB456_991 Depth=1
	s_and_not1_saveexec_b32 s9, s0
; %bb.1266:                             ;   in Loop: Header=BB456_991 Depth=1
	v_and_b32_e32 v5, 0xffff, v4
	v_or_b32_e32 v9, 0x10000, v4
	s_delay_alu instid0(VALU_DEP_2) | instskip(NEXT) | instid1(VALU_DEP_1)
	v_cmp_eq_u32_e64 s0, 0, v5
	v_cndmask_b32_e64 v96, v9, v4, s0
; %bb.1267:                             ;   in Loop: Header=BB456_991 Depth=1
	s_or_b32 exec_lo, exec_lo, s9
	v_lshlrev_b32_e32 v4, 16, v7
                                        ; implicit-def: $vgpr97
	s_delay_alu instid0(VALU_DEP_1) | instskip(NEXT) | instid1(VALU_DEP_1)
	v_mul_f32_e32 v4, v81, v4
	v_and_b32_e32 v5, 0x7f800000, v4
	s_delay_alu instid0(VALU_DEP_1) | instskip(NEXT) | instid1(VALU_DEP_1)
	v_cmp_ne_u32_e64 s0, 0x7f800000, v5
	s_and_saveexec_b32 s9, s0
	s_delay_alu instid0(SALU_CYCLE_1)
	s_xor_b32 s0, exec_lo, s9
; %bb.1268:                             ;   in Loop: Header=BB456_991 Depth=1
	v_bfe_u32 v5, v4, 16, 1
	s_delay_alu instid0(VALU_DEP_1)
	v_add3_u32 v97, v4, v5, 0x7fff
                                        ; implicit-def: $vgpr4
; %bb.1269:                             ;   in Loop: Header=BB456_991 Depth=1
	s_and_not1_saveexec_b32 s9, s0
; %bb.1270:                             ;   in Loop: Header=BB456_991 Depth=1
	v_and_b32_e32 v5, 0xffff, v4
	v_or_b32_e32 v7, 0x10000, v4
	s_delay_alu instid0(VALU_DEP_2) | instskip(NEXT) | instid1(VALU_DEP_1)
	v_cmp_eq_u32_e64 s0, 0, v5
	v_cndmask_b32_e64 v97, v7, v4, s0
; %bb.1271:                             ;   in Loop: Header=BB456_991 Depth=1
	s_or_b32 exec_lo, exec_lo, s9
	v_lshlrev_b32_e32 v4, 16, v6
                                        ; implicit-def: $vgpr98
	s_delay_alu instid0(VALU_DEP_1) | instskip(NEXT) | instid1(VALU_DEP_1)
	v_mul_f32_e32 v4, v82, v4
	v_and_b32_e32 v5, 0x7f800000, v4
	s_delay_alu instid0(VALU_DEP_1) | instskip(NEXT) | instid1(VALU_DEP_1)
	v_cmp_ne_u32_e64 s0, 0x7f800000, v5
	s_and_saveexec_b32 s9, s0
	s_delay_alu instid0(SALU_CYCLE_1)
	s_xor_b32 s0, exec_lo, s9
; %bb.1272:                             ;   in Loop: Header=BB456_991 Depth=1
	v_bfe_u32 v5, v4, 16, 1
	s_delay_alu instid0(VALU_DEP_1)
	v_add3_u32 v98, v4, v5, 0x7fff
                                        ; implicit-def: $vgpr4
; %bb.1273:                             ;   in Loop: Header=BB456_991 Depth=1
	s_and_not1_saveexec_b32 s9, s0
; %bb.1274:                             ;   in Loop: Header=BB456_991 Depth=1
	v_and_b32_e32 v5, 0xffff, v4
	v_or_b32_e32 v6, 0x10000, v4
	s_delay_alu instid0(VALU_DEP_2) | instskip(NEXT) | instid1(VALU_DEP_1)
	v_cmp_eq_u32_e64 s0, 0, v5
	v_cndmask_b32_e64 v98, v6, v4, s0
; %bb.1275:                             ;   in Loop: Header=BB456_991 Depth=1
	s_or_b32 exec_lo, exec_lo, s9
	v_lshlrev_b32_e32 v3, 16, v3
                                        ; implicit-def: $vgpr99
	s_delay_alu instid0(VALU_DEP_1) | instskip(NEXT) | instid1(VALU_DEP_1)
	v_mul_f32_e32 v3, v83, v3
	v_and_b32_e32 v4, 0x7f800000, v3
	s_delay_alu instid0(VALU_DEP_1) | instskip(NEXT) | instid1(VALU_DEP_1)
	v_cmp_ne_u32_e64 s0, 0x7f800000, v4
	s_and_saveexec_b32 s9, s0
	s_delay_alu instid0(SALU_CYCLE_1)
	s_xor_b32 s0, exec_lo, s9
; %bb.1276:                             ;   in Loop: Header=BB456_991 Depth=1
	v_bfe_u32 v4, v3, 16, 1
	s_delay_alu instid0(VALU_DEP_1)
	v_add3_u32 v99, v3, v4, 0x7fff
                                        ; implicit-def: $vgpr3
; %bb.1277:                             ;   in Loop: Header=BB456_991 Depth=1
	s_and_not1_saveexec_b32 s9, s0
; %bb.1278:                             ;   in Loop: Header=BB456_991 Depth=1
	v_and_b32_e32 v4, 0xffff, v3
	v_or_b32_e32 v5, 0x10000, v3
	s_delay_alu instid0(VALU_DEP_2) | instskip(NEXT) | instid1(VALU_DEP_1)
	v_cmp_eq_u32_e64 s0, 0, v4
	v_cndmask_b32_e64 v99, v5, v3, s0
; %bb.1279:                             ;   in Loop: Header=BB456_991 Depth=1
	s_or_b32 exec_lo, exec_lo, s9
	v_lshlrev_b32_e32 v2, 16, v2
                                        ; implicit-def: $vgpr100
	s_delay_alu instid0(VALU_DEP_1) | instskip(NEXT) | instid1(VALU_DEP_1)
	v_mul_f32_e32 v2, v84, v2
	v_and_b32_e32 v3, 0x7f800000, v2
	s_delay_alu instid0(VALU_DEP_1) | instskip(NEXT) | instid1(VALU_DEP_1)
	v_cmp_ne_u32_e64 s0, 0x7f800000, v3
	s_and_saveexec_b32 s9, s0
	s_delay_alu instid0(SALU_CYCLE_1)
	s_xor_b32 s0, exec_lo, s9
; %bb.1280:                             ;   in Loop: Header=BB456_991 Depth=1
	v_bfe_u32 v3, v2, 16, 1
	s_delay_alu instid0(VALU_DEP_1)
	v_add3_u32 v100, v2, v3, 0x7fff
                                        ; implicit-def: $vgpr2
; %bb.1281:                             ;   in Loop: Header=BB456_991 Depth=1
	s_and_not1_saveexec_b32 s9, s0
; %bb.1282:                             ;   in Loop: Header=BB456_991 Depth=1
	v_and_b32_e32 v3, 0xffff, v2
	v_or_b32_e32 v4, 0x10000, v2
	s_delay_alu instid0(VALU_DEP_2) | instskip(NEXT) | instid1(VALU_DEP_1)
	v_cmp_eq_u32_e64 s0, 0, v3
	v_cndmask_b32_e64 v100, v4, v2, s0
; %bb.1283:                             ;   in Loop: Header=BB456_991 Depth=1
	s_or_b32 exec_lo, exec_lo, s9
	flat_load_b64 v[2:3], v[0:1] offset:512
	s_mov_b32 s9, exec_lo
	s_waitcnt vmcnt(0) lgkmcnt(0)
	v_dual_mov_b32 v4, 0 :: v_dual_and_b32 v5, 0xff, v2
	s_delay_alu instid0(VALU_DEP_1)
	v_cmpx_ne_u16_e32 0, v5
	s_cbranch_execz .LBB456_1291
; %bb.1284:                             ;   in Loop: Header=BB456_991 Depth=1
	v_bfrev_b32_e32 v4, 1
	s_mov_b32 s12, exec_lo
	v_cmpx_ne_u16_e32 0x80, v5
	s_cbranch_execz .LBB456_1290
; %bb.1285:                             ;   in Loop: Header=BB456_991 Depth=1
	v_and_b32_e32 v5, 0x7f, v2
	v_mov_b32_e32 v4, 0x7f800001
	s_mov_b32 s13, exec_lo
	s_delay_alu instid0(VALU_DEP_2)
	v_cmpx_ne_u32_e32 0x7f, v5
	s_cbranch_execz .LBB456_1289
; %bb.1286:                             ;   in Loop: Header=BB456_991 Depth=1
	v_lshrrev_b32_e32 v4, 3, v5
	v_dual_mov_b32 v7, v3 :: v_dual_mov_b32 v6, v2
	s_mov_b32 s15, exec_lo
	v_cmpx_gt_u32_e32 8, v5
; %bb.1287:                             ;   in Loop: Header=BB456_991 Depth=1
	v_and_b32_e32 v4, 7, v2
	s_delay_alu instid0(VALU_DEP_1) | instskip(NEXT) | instid1(VALU_DEP_1)
	v_clz_i32_u32_e32 v4, v4
	v_min_u32_e32 v4, 32, v4
	s_delay_alu instid0(VALU_DEP_1) | instskip(SKIP_1) | instid1(VALU_DEP_2)
	v_subrev_nc_u32_e32 v5, 28, v4
	v_sub_nc_u32_e32 v4, 29, v4
	v_lshlrev_b64 v[6:7], v5, v[2:3]
; %bb.1288:                             ;   in Loop: Header=BB456_991 Depth=1
	s_or_b32 exec_lo, exec_lo, s15
	s_delay_alu instid0(VALU_DEP_1) | instskip(SKIP_2) | instid1(VALU_DEP_3)
	v_lshlrev_b32_e32 v5, 20, v6
	v_lshlrev_b32_e32 v6, 24, v2
	v_lshl_add_u32 v4, v4, 23, 0x3c000000
	v_and_b32_e32 v5, 0x700000, v5
	s_delay_alu instid0(VALU_DEP_3) | instskip(NEXT) | instid1(VALU_DEP_1)
	v_and_b32_e32 v6, 0x80000000, v6
	v_or3_b32 v4, v5, v6, v4
.LBB456_1289:                           ;   in Loop: Header=BB456_991 Depth=1
	s_or_b32 exec_lo, exec_lo, s13
.LBB456_1290:                           ;   in Loop: Header=BB456_991 Depth=1
	s_delay_alu instid0(SALU_CYCLE_1)
	s_or_b32 exec_lo, exec_lo, s12
.LBB456_1291:                           ;   in Loop: Header=BB456_991 Depth=1
	s_delay_alu instid0(SALU_CYCLE_1) | instskip(NEXT) | instid1(VALU_DEP_1)
	s_or_b32 exec_lo, exec_lo, s9
	v_mul_f32_e32 v5, v26, v4
	s_delay_alu instid0(VALU_DEP_1) | instskip(NEXT) | instid1(VALU_DEP_1)
	v_and_b32_e32 v4, 0x7f800000, v5
	v_cmp_ne_u32_e64 s0, 0x7f800000, v4
                                        ; implicit-def: $vgpr4
	s_delay_alu instid0(VALU_DEP_1) | instskip(NEXT) | instid1(SALU_CYCLE_1)
	s_and_saveexec_b32 s9, s0
	s_xor_b32 s0, exec_lo, s9
; %bb.1292:                             ;   in Loop: Header=BB456_991 Depth=1
	v_bfe_u32 v4, v5, 16, 1
	s_delay_alu instid0(VALU_DEP_1)
	v_add3_u32 v4, v5, v4, 0x7fff
                                        ; implicit-def: $vgpr5
; %bb.1293:                             ;   in Loop: Header=BB456_991 Depth=1
	s_and_not1_saveexec_b32 s9, s0
; %bb.1294:                             ;   in Loop: Header=BB456_991 Depth=1
	v_and_b32_e32 v4, 0xffff, v5
	v_or_b32_e32 v6, 0x10000, v5
	s_delay_alu instid0(VALU_DEP_2) | instskip(NEXT) | instid1(VALU_DEP_1)
	v_cmp_eq_u32_e64 s0, 0, v4
	v_cndmask_b32_e64 v4, v6, v5, s0
; %bb.1295:                             ;   in Loop: Header=BB456_991 Depth=1
	s_or_b32 exec_lo, exec_lo, s9
	v_lshrrev_b16 v6, 8, v2
	v_mov_b32_e32 v5, 0
	s_mov_b32 s9, exec_lo
	s_delay_alu instid0(VALU_DEP_2)
	v_cmpx_ne_u16_e32 0, v6
	s_cbranch_execz .LBB456_1303
; %bb.1296:                             ;   in Loop: Header=BB456_991 Depth=1
	v_bfrev_b32_e32 v5, 1
	s_mov_b32 s12, exec_lo
	v_cmpx_ne_u16_e32 0x80, v6
	s_cbranch_execz .LBB456_1302
; %bb.1297:                             ;   in Loop: Header=BB456_991 Depth=1
	v_and_b32_e32 v7, 0xffff, v6
	v_mov_b32_e32 v5, 0x7f800001
	s_mov_b32 s13, exec_lo
	s_delay_alu instid0(VALU_DEP_2) | instskip(NEXT) | instid1(VALU_DEP_1)
	v_and_b32_e32 v6, 0x7f, v7
	v_cmpx_ne_u32_e32 0x7f, v6
	s_cbranch_execz .LBB456_1301
; %bb.1298:                             ;   in Loop: Header=BB456_991 Depth=1
	v_and_b32_e32 v9, 7, v7
	v_lshrrev_b32_e32 v5, 3, v6
	s_mov_b32 s15, exec_lo
	v_cmpx_gt_u32_e32 8, v6
; %bb.1299:                             ;   in Loop: Header=BB456_991 Depth=1
	s_delay_alu instid0(VALU_DEP_3) | instskip(NEXT) | instid1(VALU_DEP_1)
	v_clz_i32_u32_e32 v5, v9
	v_min_u32_e32 v5, 32, v5
	s_delay_alu instid0(VALU_DEP_1) | instskip(SKIP_1) | instid1(VALU_DEP_2)
	v_subrev_nc_u32_e32 v6, 28, v5
	v_sub_nc_u32_e32 v5, 29, v5
	v_lshlrev_b64 v[6:7], v6, v[9:10]
	s_delay_alu instid0(VALU_DEP_1)
	v_and_b32_e32 v9, 7, v6
; %bb.1300:                             ;   in Loop: Header=BB456_991 Depth=1
	s_or_b32 exec_lo, exec_lo, s15
	v_lshlrev_b32_e32 v6, 16, v2
	s_delay_alu instid0(VALU_DEP_2) | instskip(SKIP_1) | instid1(VALU_DEP_3)
	v_lshlrev_b32_e32 v7, 20, v9
	v_lshl_add_u32 v5, v5, 23, 0x3c000000
	v_and_b32_e32 v6, 0x80000000, v6
	s_delay_alu instid0(VALU_DEP_1)
	v_or3_b32 v5, v7, v6, v5
.LBB456_1301:                           ;   in Loop: Header=BB456_991 Depth=1
	s_or_b32 exec_lo, exec_lo, s13
.LBB456_1302:                           ;   in Loop: Header=BB456_991 Depth=1
	s_delay_alu instid0(SALU_CYCLE_1)
	s_or_b32 exec_lo, exec_lo, s12
.LBB456_1303:                           ;   in Loop: Header=BB456_991 Depth=1
	s_delay_alu instid0(SALU_CYCLE_1) | instskip(NEXT) | instid1(VALU_DEP_1)
	s_or_b32 exec_lo, exec_lo, s9
	v_mul_f32_e32 v6, v26, v5
	s_delay_alu instid0(VALU_DEP_1) | instskip(NEXT) | instid1(VALU_DEP_1)
	v_and_b32_e32 v5, 0x7f800000, v6
	v_cmp_ne_u32_e64 s0, 0x7f800000, v5
                                        ; implicit-def: $vgpr5
	s_delay_alu instid0(VALU_DEP_1) | instskip(NEXT) | instid1(SALU_CYCLE_1)
	s_and_saveexec_b32 s9, s0
	s_xor_b32 s0, exec_lo, s9
; %bb.1304:                             ;   in Loop: Header=BB456_991 Depth=1
	v_bfe_u32 v5, v6, 16, 1
	s_delay_alu instid0(VALU_DEP_1)
	v_add3_u32 v5, v6, v5, 0x7fff
                                        ; implicit-def: $vgpr6
; %bb.1305:                             ;   in Loop: Header=BB456_991 Depth=1
	s_and_not1_saveexec_b32 s9, s0
; %bb.1306:                             ;   in Loop: Header=BB456_991 Depth=1
	v_and_b32_e32 v5, 0xffff, v6
	v_or_b32_e32 v7, 0x10000, v6
	s_delay_alu instid0(VALU_DEP_2) | instskip(NEXT) | instid1(VALU_DEP_1)
	v_cmp_eq_u32_e64 s0, 0, v5
	v_cndmask_b32_e64 v5, v7, v6, s0
; %bb.1307:                             ;   in Loop: Header=BB456_991 Depth=1
	s_or_b32 exec_lo, exec_lo, s9
	v_lshrrev_b32_e32 v6, 16, v2
	v_mov_b32_e32 v7, 0
	s_mov_b32 s9, exec_lo
	s_delay_alu instid0(VALU_DEP_2) | instskip(NEXT) | instid1(VALU_DEP_1)
	v_and_b32_e32 v9, 0xff, v6
	v_cmpx_ne_u16_e32 0, v9
	s_cbranch_execz .LBB456_1315
; %bb.1308:                             ;   in Loop: Header=BB456_991 Depth=1
	v_bfrev_b32_e32 v7, 1
	s_mov_b32 s12, exec_lo
	v_cmpx_ne_u16_e32 0x80, v9
	s_cbranch_execz .LBB456_1314
; %bb.1309:                             ;   in Loop: Header=BB456_991 Depth=1
	v_bfe_u32 v23, v2, 16, 7
	v_mov_b32_e32 v7, 0x7f800001
	s_mov_b32 s13, exec_lo
	s_delay_alu instid0(VALU_DEP_2)
	v_cmpx_ne_u32_e32 0x7f, v23
	s_cbranch_execz .LBB456_1313
; %bb.1310:                             ;   in Loop: Header=BB456_991 Depth=1
	v_and_b32_e32 v9, 7, v6
	v_lshrrev_b32_e32 v7, 3, v23
	s_mov_b32 s15, exec_lo
	v_cmpx_gt_u32_e32 8, v23
; %bb.1311:                             ;   in Loop: Header=BB456_991 Depth=1
	s_delay_alu instid0(VALU_DEP_3) | instskip(NEXT) | instid1(VALU_DEP_1)
	v_clz_i32_u32_e32 v7, v9
	v_min_u32_e32 v7, 32, v7
	s_delay_alu instid0(VALU_DEP_1) | instskip(SKIP_1) | instid1(VALU_DEP_2)
	v_subrev_nc_u32_e32 v23, 28, v7
	v_sub_nc_u32_e32 v7, 29, v7
	v_lshlrev_b64 v[101:102], v23, v[9:10]
	s_delay_alu instid0(VALU_DEP_1)
	v_and_b32_e32 v9, 7, v101
; %bb.1312:                             ;   in Loop: Header=BB456_991 Depth=1
	s_or_b32 exec_lo, exec_lo, s15
	v_lshlrev_b32_e32 v6, 24, v6
	s_delay_alu instid0(VALU_DEP_2) | instskip(SKIP_1) | instid1(VALU_DEP_3)
	v_lshlrev_b32_e32 v9, 20, v9
	v_lshl_add_u32 v7, v7, 23, 0x3c000000
	v_and_b32_e32 v6, 0x80000000, v6
	s_delay_alu instid0(VALU_DEP_1)
	v_or3_b32 v7, v9, v6, v7
.LBB456_1313:                           ;   in Loop: Header=BB456_991 Depth=1
	s_or_b32 exec_lo, exec_lo, s13
.LBB456_1314:                           ;   in Loop: Header=BB456_991 Depth=1
	s_delay_alu instid0(SALU_CYCLE_1)
	s_or_b32 exec_lo, exec_lo, s12
.LBB456_1315:                           ;   in Loop: Header=BB456_991 Depth=1
	s_delay_alu instid0(SALU_CYCLE_1) | instskip(NEXT) | instid1(VALU_DEP_1)
	s_or_b32 exec_lo, exec_lo, s9
	v_mul_f32_e32 v6, v26, v7
                                        ; implicit-def: $vgpr23
	s_delay_alu instid0(VALU_DEP_1) | instskip(NEXT) | instid1(VALU_DEP_1)
	v_and_b32_e32 v7, 0x7f800000, v6
	v_cmp_ne_u32_e64 s0, 0x7f800000, v7
	s_delay_alu instid0(VALU_DEP_1) | instskip(NEXT) | instid1(SALU_CYCLE_1)
	s_and_saveexec_b32 s9, s0
	s_xor_b32 s0, exec_lo, s9
; %bb.1316:                             ;   in Loop: Header=BB456_991 Depth=1
	v_bfe_u32 v7, v6, 16, 1
	s_delay_alu instid0(VALU_DEP_1)
	v_add3_u32 v23, v6, v7, 0x7fff
                                        ; implicit-def: $vgpr6
; %bb.1317:                             ;   in Loop: Header=BB456_991 Depth=1
	s_and_not1_saveexec_b32 s9, s0
; %bb.1318:                             ;   in Loop: Header=BB456_991 Depth=1
	v_and_b32_e32 v7, 0xffff, v6
	v_or_b32_e32 v9, 0x10000, v6
	s_delay_alu instid0(VALU_DEP_2) | instskip(NEXT) | instid1(VALU_DEP_1)
	v_cmp_eq_u32_e64 s0, 0, v7
	v_cndmask_b32_e64 v23, v9, v6, s0
; %bb.1319:                             ;   in Loop: Header=BB456_991 Depth=1
	s_or_b32 exec_lo, exec_lo, s9
	v_mov_b32_e32 v7, 0
	s_mov_b32 s9, exec_lo
	v_cmpx_lt_u32_e32 0xffffff, v2
	s_cbranch_execz .LBB456_1327
; %bb.1320:                             ;   in Loop: Header=BB456_991 Depth=1
	v_lshrrev_b32_e32 v6, 24, v2
	v_bfrev_b32_e32 v7, 1
	s_mov_b32 s12, exec_lo
	s_delay_alu instid0(VALU_DEP_2)
	v_cmpx_ne_u32_e32 0x80, v6
	s_cbranch_execz .LBB456_1326
; %bb.1321:                             ;   in Loop: Header=BB456_991 Depth=1
	v_bfe_u32 v36, v2, 24, 7
	v_mov_b32_e32 v7, 0x7f800001
	s_mov_b32 s13, exec_lo
	s_delay_alu instid0(VALU_DEP_2)
	v_cmpx_ne_u32_e32 0x7f, v36
	s_cbranch_execz .LBB456_1325
; %bb.1322:                             ;   in Loop: Header=BB456_991 Depth=1
	v_and_b32_e32 v9, 7, v6
	v_lshrrev_b32_e32 v7, 3, v36
	s_mov_b32 s15, exec_lo
	v_cmpx_gt_u32_e32 8, v36
; %bb.1323:                             ;   in Loop: Header=BB456_991 Depth=1
	s_delay_alu instid0(VALU_DEP_3) | instskip(NEXT) | instid1(VALU_DEP_1)
	v_clz_i32_u32_e32 v7, v9
	v_min_u32_e32 v7, 32, v7
	s_delay_alu instid0(VALU_DEP_1) | instskip(SKIP_1) | instid1(VALU_DEP_2)
	v_subrev_nc_u32_e32 v36, 28, v7
	v_sub_nc_u32_e32 v7, 29, v7
	v_lshlrev_b64 v[101:102], v36, v[9:10]
	s_delay_alu instid0(VALU_DEP_1)
	v_and_b32_e32 v9, 7, v101
; %bb.1324:                             ;   in Loop: Header=BB456_991 Depth=1
	s_or_b32 exec_lo, exec_lo, s15
	v_lshlrev_b32_e32 v6, 24, v6
	s_delay_alu instid0(VALU_DEP_2) | instskip(SKIP_1) | instid1(VALU_DEP_3)
	v_lshlrev_b32_e32 v9, 20, v9
	v_lshl_add_u32 v7, v7, 23, 0x3c000000
	v_and_b32_e32 v6, 0x80000000, v6
	s_delay_alu instid0(VALU_DEP_1)
	v_or3_b32 v7, v9, v6, v7
.LBB456_1325:                           ;   in Loop: Header=BB456_991 Depth=1
	s_or_b32 exec_lo, exec_lo, s13
.LBB456_1326:                           ;   in Loop: Header=BB456_991 Depth=1
	s_delay_alu instid0(SALU_CYCLE_1)
	s_or_b32 exec_lo, exec_lo, s12
.LBB456_1327:                           ;   in Loop: Header=BB456_991 Depth=1
	s_delay_alu instid0(SALU_CYCLE_1) | instskip(NEXT) | instid1(VALU_DEP_1)
	s_or_b32 exec_lo, exec_lo, s9
	v_mul_f32_e32 v6, v26, v7
                                        ; implicit-def: $vgpr36
	s_delay_alu instid0(VALU_DEP_1) | instskip(NEXT) | instid1(VALU_DEP_1)
	v_and_b32_e32 v7, 0x7f800000, v6
	v_cmp_ne_u32_e64 s0, 0x7f800000, v7
	s_delay_alu instid0(VALU_DEP_1) | instskip(NEXT) | instid1(SALU_CYCLE_1)
	s_and_saveexec_b32 s9, s0
	s_xor_b32 s0, exec_lo, s9
; %bb.1328:                             ;   in Loop: Header=BB456_991 Depth=1
	v_bfe_u32 v7, v6, 16, 1
	s_delay_alu instid0(VALU_DEP_1)
	v_add3_u32 v36, v6, v7, 0x7fff
                                        ; implicit-def: $vgpr6
; %bb.1329:                             ;   in Loop: Header=BB456_991 Depth=1
	s_and_not1_saveexec_b32 s9, s0
; %bb.1330:                             ;   in Loop: Header=BB456_991 Depth=1
	v_and_b32_e32 v7, 0xffff, v6
	v_or_b32_e32 v9, 0x10000, v6
	s_delay_alu instid0(VALU_DEP_2) | instskip(NEXT) | instid1(VALU_DEP_1)
	v_cmp_eq_u32_e64 s0, 0, v7
	v_cndmask_b32_e64 v36, v9, v6, s0
; %bb.1331:                             ;   in Loop: Header=BB456_991 Depth=1
	s_or_b32 exec_lo, exec_lo, s9
	v_dual_mov_b32 v6, 0 :: v_dual_and_b32 v7, 0xff, v3
	v_mov_b32_e32 v9, v3
	s_mov_b32 s9, exec_lo
	s_delay_alu instid0(VALU_DEP_2)
	v_cmpx_ne_u16_e32 0, v7
	s_cbranch_execz .LBB456_1339
; %bb.1332:                             ;   in Loop: Header=BB456_991 Depth=1
	v_bfrev_b32_e32 v6, 1
	s_mov_b32 s12, exec_lo
	v_cmpx_ne_u16_e32 0x80, v7
	s_cbranch_execz .LBB456_1338
; %bb.1333:                             ;   in Loop: Header=BB456_991 Depth=1
	v_and_b32_e32 v7, 0x7f, v3
	v_mov_b32_e32 v6, 0x7f800001
	s_mov_b32 s13, exec_lo
	s_delay_alu instid0(VALU_DEP_2)
	v_cmpx_ne_u32_e32 0x7f, v7
	s_cbranch_execz .LBB456_1337
; %bb.1334:                             ;   in Loop: Header=BB456_991 Depth=1
	v_lshrrev_b32_e32 v101, 3, v7
	v_cmp_gt_u32_e64 s0, 8, v7
	v_dual_mov_b32 v6, v9 :: v_dual_mov_b32 v7, v10
	s_delay_alu instid0(VALU_DEP_2)
	s_and_saveexec_b32 s15, s0
; %bb.1335:                             ;   in Loop: Header=BB456_991 Depth=1
	v_and_b32_e32 v6, 7, v3
	s_delay_alu instid0(VALU_DEP_1) | instskip(NEXT) | instid1(VALU_DEP_1)
	v_clz_i32_u32_e32 v6, v6
	v_min_u32_e32 v101, 32, v6
	s_delay_alu instid0(VALU_DEP_1) | instskip(SKIP_1) | instid1(VALU_DEP_2)
	v_subrev_nc_u32_e32 v6, 28, v101
	v_sub_nc_u32_e32 v101, 29, v101
	v_lshlrev_b64 v[6:7], v6, v[9:10]
; %bb.1336:                             ;   in Loop: Header=BB456_991 Depth=1
	s_or_b32 exec_lo, exec_lo, s15
	s_delay_alu instid0(VALU_DEP_1) | instskip(SKIP_2) | instid1(VALU_DEP_3)
	v_lshlrev_b32_e32 v6, 20, v6
	v_lshlrev_b32_e32 v7, 24, v9
	v_lshl_add_u32 v101, v101, 23, 0x3c000000
	v_and_b32_e32 v6, 0x700000, v6
	s_delay_alu instid0(VALU_DEP_3) | instskip(NEXT) | instid1(VALU_DEP_1)
	v_and_b32_e32 v7, 0x80000000, v7
	v_or3_b32 v6, v6, v7, v101
.LBB456_1337:                           ;   in Loop: Header=BB456_991 Depth=1
	s_or_b32 exec_lo, exec_lo, s13
.LBB456_1338:                           ;   in Loop: Header=BB456_991 Depth=1
	s_delay_alu instid0(SALU_CYCLE_1)
	s_or_b32 exec_lo, exec_lo, s12
.LBB456_1339:                           ;   in Loop: Header=BB456_991 Depth=1
	s_delay_alu instid0(SALU_CYCLE_1) | instskip(NEXT) | instid1(VALU_DEP_1)
	s_or_b32 exec_lo, exec_lo, s9
	v_mul_f32_e32 v6, v26, v6
                                        ; implicit-def: $vgpr101
	s_delay_alu instid0(VALU_DEP_1) | instskip(NEXT) | instid1(VALU_DEP_1)
	v_and_b32_e32 v7, 0x7f800000, v6
	v_cmp_ne_u32_e64 s0, 0x7f800000, v7
	s_delay_alu instid0(VALU_DEP_1) | instskip(NEXT) | instid1(SALU_CYCLE_1)
	s_and_saveexec_b32 s9, s0
	s_xor_b32 s0, exec_lo, s9
; %bb.1340:                             ;   in Loop: Header=BB456_991 Depth=1
	v_bfe_u32 v7, v6, 16, 1
	s_delay_alu instid0(VALU_DEP_1)
	v_add3_u32 v101, v6, v7, 0x7fff
                                        ; implicit-def: $vgpr6
; %bb.1341:                             ;   in Loop: Header=BB456_991 Depth=1
	s_and_not1_saveexec_b32 s9, s0
; %bb.1342:                             ;   in Loop: Header=BB456_991 Depth=1
	v_and_b32_e32 v7, 0xffff, v6
	v_or_b32_e32 v101, 0x10000, v6
	s_delay_alu instid0(VALU_DEP_2) | instskip(NEXT) | instid1(VALU_DEP_1)
	v_cmp_eq_u32_e64 s0, 0, v7
	v_cndmask_b32_e64 v101, v101, v6, s0
; %bb.1343:                             ;   in Loop: Header=BB456_991 Depth=1
	s_or_b32 exec_lo, exec_lo, s9
	v_lshrrev_b16 v7, 8, v9
	v_mov_b32_e32 v6, 0
	s_mov_b32 s9, exec_lo
	s_delay_alu instid0(VALU_DEP_2)
	v_cmpx_ne_u16_e32 0, v7
	s_cbranch_execz .LBB456_1351
; %bb.1344:                             ;   in Loop: Header=BB456_991 Depth=1
	v_bfrev_b32_e32 v6, 1
	s_mov_b32 s12, exec_lo
	v_cmpx_ne_u16_e32 0x80, v7
	s_cbranch_execz .LBB456_1350
; %bb.1345:                             ;   in Loop: Header=BB456_991 Depth=1
	v_and_b32_e32 v7, 0xffff, v7
	v_mov_b32_e32 v6, 0x7f800001
	s_mov_b32 s13, exec_lo
	s_delay_alu instid0(VALU_DEP_2) | instskip(NEXT) | instid1(VALU_DEP_1)
	v_and_b32_e32 v103, 0x7f, v7
	v_cmpx_ne_u32_e32 0x7f, v103
	s_cbranch_execz .LBB456_1349
; %bb.1346:                             ;   in Loop: Header=BB456_991 Depth=1
	v_dual_mov_b32 v7, v10 :: v_dual_and_b32 v6, 7, v7
	v_lshrrev_b32_e32 v102, 3, v103
	s_mov_b32 s15, exec_lo
	v_cmpx_gt_u32_e32 8, v103
; %bb.1347:                             ;   in Loop: Header=BB456_991 Depth=1
	s_delay_alu instid0(VALU_DEP_3) | instskip(NEXT) | instid1(VALU_DEP_1)
	v_clz_i32_u32_e32 v102, v6
	v_min_u32_e32 v102, 32, v102
	s_delay_alu instid0(VALU_DEP_1) | instskip(SKIP_1) | instid1(VALU_DEP_2)
	v_subrev_nc_u32_e32 v103, 28, v102
	v_sub_nc_u32_e32 v102, 29, v102
	v_lshlrev_b64 v[6:7], v103, v[6:7]
	s_delay_alu instid0(VALU_DEP_1)
	v_and_b32_e32 v6, 7, v6
; %bb.1348:                             ;   in Loop: Header=BB456_991 Depth=1
	s_or_b32 exec_lo, exec_lo, s15
	v_lshlrev_b32_e32 v7, 16, v9
	s_delay_alu instid0(VALU_DEP_2) | instskip(SKIP_1) | instid1(VALU_DEP_3)
	v_lshlrev_b32_e32 v6, 20, v6
	v_lshl_add_u32 v9, v102, 23, 0x3c000000
	v_and_b32_e32 v7, 0x80000000, v7
	s_delay_alu instid0(VALU_DEP_1)
	v_or3_b32 v6, v6, v7, v9
.LBB456_1349:                           ;   in Loop: Header=BB456_991 Depth=1
	s_or_b32 exec_lo, exec_lo, s13
.LBB456_1350:                           ;   in Loop: Header=BB456_991 Depth=1
	s_delay_alu instid0(SALU_CYCLE_1)
	s_or_b32 exec_lo, exec_lo, s12
.LBB456_1351:                           ;   in Loop: Header=BB456_991 Depth=1
	s_delay_alu instid0(SALU_CYCLE_1) | instskip(NEXT) | instid1(VALU_DEP_1)
	s_or_b32 exec_lo, exec_lo, s9
	v_mul_f32_e32 v7, v26, v6
	s_delay_alu instid0(VALU_DEP_1) | instskip(NEXT) | instid1(VALU_DEP_1)
	v_and_b32_e32 v6, 0x7f800000, v7
	v_cmp_ne_u32_e64 s0, 0x7f800000, v6
                                        ; implicit-def: $vgpr6
	s_delay_alu instid0(VALU_DEP_1) | instskip(NEXT) | instid1(SALU_CYCLE_1)
	s_and_saveexec_b32 s9, s0
	s_xor_b32 s0, exec_lo, s9
; %bb.1352:                             ;   in Loop: Header=BB456_991 Depth=1
	v_bfe_u32 v6, v7, 16, 1
	s_delay_alu instid0(VALU_DEP_1)
	v_add3_u32 v6, v7, v6, 0x7fff
                                        ; implicit-def: $vgpr7
; %bb.1353:                             ;   in Loop: Header=BB456_991 Depth=1
	s_and_not1_saveexec_b32 s9, s0
; %bb.1354:                             ;   in Loop: Header=BB456_991 Depth=1
	v_and_b32_e32 v6, 0xffff, v7
	v_or_b32_e32 v9, 0x10000, v7
	s_delay_alu instid0(VALU_DEP_2) | instskip(NEXT) | instid1(VALU_DEP_1)
	v_cmp_eq_u32_e64 s0, 0, v6
	v_cndmask_b32_e64 v6, v9, v7, s0
; %bb.1355:                             ;   in Loop: Header=BB456_991 Depth=1
	s_or_b32 exec_lo, exec_lo, s9
	v_lshrrev_b32_e32 v7, 16, v3
	s_mov_b32 s9, exec_lo
	s_delay_alu instid0(VALU_DEP_1) | instskip(NEXT) | instid1(VALU_DEP_1)
	v_dual_mov_b32 v9, 0 :: v_dual_and_b32 v102, 0xff, v7
	v_cmpx_ne_u16_e32 0, v102
	s_cbranch_execz .LBB456_1363
; %bb.1356:                             ;   in Loop: Header=BB456_991 Depth=1
	v_bfrev_b32_e32 v9, 1
	s_mov_b32 s12, exec_lo
	v_cmpx_ne_u16_e32 0x80, v102
	s_cbranch_execz .LBB456_1362
; %bb.1357:                             ;   in Loop: Header=BB456_991 Depth=1
	v_bfe_u32 v103, v3, 16, 7
	v_mov_b32_e32 v9, 0x7f800001
	s_mov_b32 s13, exec_lo
	s_delay_alu instid0(VALU_DEP_2)
	v_cmpx_ne_u32_e32 0x7f, v103
	s_cbranch_execz .LBB456_1361
; %bb.1358:                             ;   in Loop: Header=BB456_991 Depth=1
	v_and_b32_e32 v9, 7, v7
	v_lshrrev_b32_e32 v102, 3, v103
	s_mov_b32 s15, exec_lo
	v_cmpx_gt_u32_e32 8, v103
; %bb.1359:                             ;   in Loop: Header=BB456_991 Depth=1
	s_delay_alu instid0(VALU_DEP_3) | instskip(NEXT) | instid1(VALU_DEP_1)
	v_clz_i32_u32_e32 v102, v9
	v_min_u32_e32 v102, 32, v102
	s_delay_alu instid0(VALU_DEP_1) | instskip(SKIP_1) | instid1(VALU_DEP_2)
	v_subrev_nc_u32_e32 v103, 28, v102
	v_sub_nc_u32_e32 v102, 29, v102
	v_lshlrev_b64 v[112:113], v103, v[9:10]
	s_delay_alu instid0(VALU_DEP_1)
	v_and_b32_e32 v9, 7, v112
; %bb.1360:                             ;   in Loop: Header=BB456_991 Depth=1
	s_or_b32 exec_lo, exec_lo, s15
	v_lshlrev_b32_e32 v7, 24, v7
	s_delay_alu instid0(VALU_DEP_2) | instskip(SKIP_1) | instid1(VALU_DEP_3)
	v_lshlrev_b32_e32 v9, 20, v9
	v_lshl_add_u32 v102, v102, 23, 0x3c000000
	v_and_b32_e32 v7, 0x80000000, v7
	s_delay_alu instid0(VALU_DEP_1)
	v_or3_b32 v9, v9, v7, v102
.LBB456_1361:                           ;   in Loop: Header=BB456_991 Depth=1
	s_or_b32 exec_lo, exec_lo, s13
.LBB456_1362:                           ;   in Loop: Header=BB456_991 Depth=1
	s_delay_alu instid0(SALU_CYCLE_1)
	s_or_b32 exec_lo, exec_lo, s12
.LBB456_1363:                           ;   in Loop: Header=BB456_991 Depth=1
	s_delay_alu instid0(SALU_CYCLE_1) | instskip(NEXT) | instid1(VALU_DEP_1)
	s_or_b32 exec_lo, exec_lo, s9
	v_mul_f32_e32 v7, v26, v9
                                        ; implicit-def: $vgpr102
	s_delay_alu instid0(VALU_DEP_1) | instskip(NEXT) | instid1(VALU_DEP_1)
	v_and_b32_e32 v9, 0x7f800000, v7
	v_cmp_ne_u32_e64 s0, 0x7f800000, v9
	s_delay_alu instid0(VALU_DEP_1) | instskip(NEXT) | instid1(SALU_CYCLE_1)
	s_and_saveexec_b32 s9, s0
	s_xor_b32 s0, exec_lo, s9
; %bb.1364:                             ;   in Loop: Header=BB456_991 Depth=1
	v_bfe_u32 v9, v7, 16, 1
	s_delay_alu instid0(VALU_DEP_1)
	v_add3_u32 v102, v7, v9, 0x7fff
                                        ; implicit-def: $vgpr7
; %bb.1365:                             ;   in Loop: Header=BB456_991 Depth=1
	s_and_not1_saveexec_b32 s9, s0
; %bb.1366:                             ;   in Loop: Header=BB456_991 Depth=1
	v_and_b32_e32 v9, 0xffff, v7
	v_or_b32_e32 v102, 0x10000, v7
	s_delay_alu instid0(VALU_DEP_2) | instskip(NEXT) | instid1(VALU_DEP_1)
	v_cmp_eq_u32_e64 s0, 0, v9
	v_cndmask_b32_e64 v102, v102, v7, s0
; %bb.1367:                             ;   in Loop: Header=BB456_991 Depth=1
	s_or_b32 exec_lo, exec_lo, s9
	v_mov_b32_e32 v7, 0
	s_mov_b32 s9, exec_lo
	v_cmpx_lt_u64_e64 s[2:3], v[2:3]
	s_cbranch_execz .LBB456_1375
; %bb.1368:                             ;   in Loop: Header=BB456_991 Depth=1
	v_lshrrev_b32_e32 v2, 24, v3
	v_bfrev_b32_e32 v7, 1
	s_mov_b32 s12, exec_lo
	s_delay_alu instid0(VALU_DEP_2)
	v_cmpx_ne_u32_e32 0x80, v2
	s_cbranch_execz .LBB456_1374
; %bb.1369:                             ;   in Loop: Header=BB456_991 Depth=1
	v_bfe_u32 v103, v3, 24, 7
	v_mov_b32_e32 v7, 0x7f800001
	s_mov_b32 s13, exec_lo
	s_delay_alu instid0(VALU_DEP_2)
	v_cmpx_ne_u32_e32 0x7f, v103
	s_cbranch_execz .LBB456_1373
; %bb.1370:                             ;   in Loop: Header=BB456_991 Depth=1
	v_and_b32_e32 v9, 7, v2
	v_lshrrev_b32_e32 v3, 3, v103
	s_mov_b32 s15, exec_lo
	v_cmpx_gt_u32_e32 8, v103
; %bb.1371:                             ;   in Loop: Header=BB456_991 Depth=1
	s_delay_alu instid0(VALU_DEP_3) | instskip(NEXT) | instid1(VALU_DEP_1)
	v_clz_i32_u32_e32 v3, v9
	v_min_u32_e32 v3, 32, v3
	s_delay_alu instid0(VALU_DEP_1) | instskip(SKIP_1) | instid1(VALU_DEP_2)
	v_subrev_nc_u32_e32 v7, 28, v3
	v_sub_nc_u32_e32 v3, 29, v3
	v_lshlrev_b64 v[112:113], v7, v[9:10]
	s_delay_alu instid0(VALU_DEP_1)
	v_and_b32_e32 v9, 7, v112
; %bb.1372:                             ;   in Loop: Header=BB456_991 Depth=1
	s_or_b32 exec_lo, exec_lo, s15
	v_lshlrev_b32_e32 v2, 24, v2
	s_delay_alu instid0(VALU_DEP_2) | instskip(SKIP_1) | instid1(VALU_DEP_3)
	v_lshlrev_b32_e32 v7, 20, v9
	v_lshl_add_u32 v3, v3, 23, 0x3c000000
	v_and_b32_e32 v2, 0x80000000, v2
	s_delay_alu instid0(VALU_DEP_1)
	v_or3_b32 v7, v7, v2, v3
.LBB456_1373:                           ;   in Loop: Header=BB456_991 Depth=1
	s_or_b32 exec_lo, exec_lo, s13
.LBB456_1374:                           ;   in Loop: Header=BB456_991 Depth=1
	s_delay_alu instid0(SALU_CYCLE_1)
	s_or_b32 exec_lo, exec_lo, s12
.LBB456_1375:                           ;   in Loop: Header=BB456_991 Depth=1
	s_delay_alu instid0(SALU_CYCLE_1) | instskip(NEXT) | instid1(VALU_DEP_1)
	s_or_b32 exec_lo, exec_lo, s9
	v_mul_f32_e32 v3, v26, v7
	s_delay_alu instid0(VALU_DEP_1) | instskip(NEXT) | instid1(VALU_DEP_1)
	v_and_b32_e32 v2, 0x7f800000, v3
	v_cmp_ne_u32_e64 s0, 0x7f800000, v2
                                        ; implicit-def: $vgpr2
	s_delay_alu instid0(VALU_DEP_1) | instskip(NEXT) | instid1(SALU_CYCLE_1)
	s_and_saveexec_b32 s9, s0
	s_xor_b32 s0, exec_lo, s9
; %bb.1376:                             ;   in Loop: Header=BB456_991 Depth=1
	v_bfe_u32 v2, v3, 16, 1
	s_delay_alu instid0(VALU_DEP_1)
	v_add3_u32 v2, v3, v2, 0x7fff
                                        ; implicit-def: $vgpr3
; %bb.1377:                             ;   in Loop: Header=BB456_991 Depth=1
	s_and_not1_saveexec_b32 s9, s0
; %bb.1378:                             ;   in Loop: Header=BB456_991 Depth=1
	v_and_b32_e32 v2, 0xffff, v3
	v_or_b32_e32 v7, 0x10000, v3
	s_delay_alu instid0(VALU_DEP_2) | instskip(NEXT) | instid1(VALU_DEP_1)
	v_cmp_eq_u32_e64 s0, 0, v2
	v_cndmask_b32_e64 v2, v7, v3, s0
; %bb.1379:                             ;   in Loop: Header=BB456_991 Depth=1
	s_or_b32 exec_lo, exec_lo, s9
	v_lshrrev_b32_e32 v6, 16, v6
	v_lshrrev_b32_e32 v7, 16, v101
	;; [unrolled: 1-line block ×8, first 2 shown]
	s_and_saveexec_b32 s9, vcc_lo
	s_cbranch_execz .LBB456_1381
; %bb.1380:                             ;   in Loop: Header=BB456_991 Depth=1
	v_cmp_lt_i32_e64 s0, v54, v35
	s_delay_alu instid0(VALU_DEP_1) | instskip(SKIP_1) | instid1(VALU_DEP_1)
	v_cndmask_b32_e64 v4, 0, v4, s0
	v_cmp_lt_i32_e64 s0, v68, v35
	v_cndmask_b32_e64 v5, 0, v5, s0
	v_cmp_lt_i32_e64 s0, v67, v35
	s_delay_alu instid0(VALU_DEP_1) | instskip(SKIP_1) | instid1(VALU_DEP_1)
	v_cndmask_b32_e64 v23, 0, v23, s0
	v_cmp_lt_i32_e64 s0, v66, v35
	v_cndmask_b32_e64 v9, 0, v9, s0
	;; [unrolled: 5-line block ×4, first 2 shown]
.LBB456_1381:                           ;   in Loop: Header=BB456_991 Depth=1
	s_or_b32 exec_lo, exec_lo, s9
	v_lshlrev_b32_e32 v4, 16, v4
                                        ; implicit-def: $vgpr101
	s_delay_alu instid0(VALU_DEP_1) | instskip(NEXT) | instid1(VALU_DEP_1)
	v_mul_f32_e32 v4, v69, v4
	v_and_b32_e32 v36, 0x7f800000, v4
	s_delay_alu instid0(VALU_DEP_1) | instskip(NEXT) | instid1(VALU_DEP_1)
	v_cmp_ne_u32_e64 s0, 0x7f800000, v36
	s_and_saveexec_b32 s9, s0
	s_delay_alu instid0(SALU_CYCLE_1)
	s_xor_b32 s0, exec_lo, s9
; %bb.1382:                             ;   in Loop: Header=BB456_991 Depth=1
	v_bfe_u32 v36, v4, 16, 1
	s_delay_alu instid0(VALU_DEP_1)
	v_add3_u32 v101, v4, v36, 0x7fff
                                        ; implicit-def: $vgpr4
; %bb.1383:                             ;   in Loop: Header=BB456_991 Depth=1
	s_and_not1_saveexec_b32 s9, s0
; %bb.1384:                             ;   in Loop: Header=BB456_991 Depth=1
	v_and_b32_e32 v36, 0xffff, v4
	v_or_b32_e32 v101, 0x10000, v4
	s_delay_alu instid0(VALU_DEP_2) | instskip(NEXT) | instid1(VALU_DEP_1)
	v_cmp_eq_u32_e64 s0, 0, v36
	v_cndmask_b32_e64 v101, v101, v4, s0
; %bb.1385:                             ;   in Loop: Header=BB456_991 Depth=1
	s_or_b32 exec_lo, exec_lo, s9
	v_lshlrev_b32_e32 v4, 16, v5
                                        ; implicit-def: $vgpr102
	s_delay_alu instid0(VALU_DEP_1) | instskip(NEXT) | instid1(VALU_DEP_1)
	v_mul_f32_e32 v4, v70, v4
	v_and_b32_e32 v5, 0x7f800000, v4
	s_delay_alu instid0(VALU_DEP_1) | instskip(NEXT) | instid1(VALU_DEP_1)
	v_cmp_ne_u32_e64 s0, 0x7f800000, v5
	s_and_saveexec_b32 s9, s0
	s_delay_alu instid0(SALU_CYCLE_1)
	s_xor_b32 s0, exec_lo, s9
; %bb.1386:                             ;   in Loop: Header=BB456_991 Depth=1
	v_bfe_u32 v5, v4, 16, 1
	s_delay_alu instid0(VALU_DEP_1)
	v_add3_u32 v102, v4, v5, 0x7fff
                                        ; implicit-def: $vgpr4
; %bb.1387:                             ;   in Loop: Header=BB456_991 Depth=1
	s_and_not1_saveexec_b32 s9, s0
; %bb.1388:                             ;   in Loop: Header=BB456_991 Depth=1
	v_and_b32_e32 v5, 0xffff, v4
	v_or_b32_e32 v36, 0x10000, v4
	s_delay_alu instid0(VALU_DEP_2) | instskip(NEXT) | instid1(VALU_DEP_1)
	v_cmp_eq_u32_e64 s0, 0, v5
	v_cndmask_b32_e64 v102, v36, v4, s0
; %bb.1389:                             ;   in Loop: Header=BB456_991 Depth=1
	s_or_b32 exec_lo, exec_lo, s9
	v_lshlrev_b32_e32 v4, 16, v23
                                        ; implicit-def: $vgpr103
	s_delay_alu instid0(VALU_DEP_1) | instskip(NEXT) | instid1(VALU_DEP_1)
	v_mul_f32_e32 v4, v71, v4
	v_and_b32_e32 v5, 0x7f800000, v4
	s_delay_alu instid0(VALU_DEP_1) | instskip(NEXT) | instid1(VALU_DEP_1)
	v_cmp_ne_u32_e64 s0, 0x7f800000, v5
	s_and_saveexec_b32 s9, s0
	s_delay_alu instid0(SALU_CYCLE_1)
	s_xor_b32 s0, exec_lo, s9
; %bb.1390:                             ;   in Loop: Header=BB456_991 Depth=1
	v_bfe_u32 v5, v4, 16, 1
	s_delay_alu instid0(VALU_DEP_1)
	v_add3_u32 v103, v4, v5, 0x7fff
                                        ; implicit-def: $vgpr4
; %bb.1391:                             ;   in Loop: Header=BB456_991 Depth=1
	s_and_not1_saveexec_b32 s9, s0
; %bb.1392:                             ;   in Loop: Header=BB456_991 Depth=1
	v_and_b32_e32 v5, 0xffff, v4
	v_or_b32_e32 v23, 0x10000, v4
	s_delay_alu instid0(VALU_DEP_2) | instskip(NEXT) | instid1(VALU_DEP_1)
	v_cmp_eq_u32_e64 s0, 0, v5
	v_cndmask_b32_e64 v103, v23, v4, s0
; %bb.1393:                             ;   in Loop: Header=BB456_991 Depth=1
	s_or_b32 exec_lo, exec_lo, s9
	v_lshlrev_b32_e32 v4, 16, v9
                                        ; implicit-def: $vgpr112
	s_delay_alu instid0(VALU_DEP_1) | instskip(NEXT) | instid1(VALU_DEP_1)
	v_mul_f32_e32 v4, v80, v4
	v_and_b32_e32 v5, 0x7f800000, v4
	s_delay_alu instid0(VALU_DEP_1) | instskip(NEXT) | instid1(VALU_DEP_1)
	v_cmp_ne_u32_e64 s0, 0x7f800000, v5
	s_and_saveexec_b32 s9, s0
	s_delay_alu instid0(SALU_CYCLE_1)
	s_xor_b32 s0, exec_lo, s9
; %bb.1394:                             ;   in Loop: Header=BB456_991 Depth=1
	v_bfe_u32 v5, v4, 16, 1
	s_delay_alu instid0(VALU_DEP_1)
	v_add3_u32 v112, v4, v5, 0x7fff
                                        ; implicit-def: $vgpr4
; %bb.1395:                             ;   in Loop: Header=BB456_991 Depth=1
	s_and_not1_saveexec_b32 s9, s0
; %bb.1396:                             ;   in Loop: Header=BB456_991 Depth=1
	v_and_b32_e32 v5, 0xffff, v4
	v_or_b32_e32 v9, 0x10000, v4
	s_delay_alu instid0(VALU_DEP_2) | instskip(NEXT) | instid1(VALU_DEP_1)
	v_cmp_eq_u32_e64 s0, 0, v5
	v_cndmask_b32_e64 v112, v9, v4, s0
; %bb.1397:                             ;   in Loop: Header=BB456_991 Depth=1
	s_or_b32 exec_lo, exec_lo, s9
	v_lshlrev_b32_e32 v4, 16, v7
                                        ; implicit-def: $vgpr113
	s_delay_alu instid0(VALU_DEP_1) | instskip(NEXT) | instid1(VALU_DEP_1)
	v_mul_f32_e32 v4, v81, v4
	v_and_b32_e32 v5, 0x7f800000, v4
	s_delay_alu instid0(VALU_DEP_1) | instskip(NEXT) | instid1(VALU_DEP_1)
	v_cmp_ne_u32_e64 s0, 0x7f800000, v5
	s_and_saveexec_b32 s9, s0
	s_delay_alu instid0(SALU_CYCLE_1)
	s_xor_b32 s0, exec_lo, s9
; %bb.1398:                             ;   in Loop: Header=BB456_991 Depth=1
	v_bfe_u32 v5, v4, 16, 1
	s_delay_alu instid0(VALU_DEP_1)
	v_add3_u32 v113, v4, v5, 0x7fff
                                        ; implicit-def: $vgpr4
; %bb.1399:                             ;   in Loop: Header=BB456_991 Depth=1
	s_and_not1_saveexec_b32 s9, s0
; %bb.1400:                             ;   in Loop: Header=BB456_991 Depth=1
	v_and_b32_e32 v5, 0xffff, v4
	v_or_b32_e32 v7, 0x10000, v4
	s_delay_alu instid0(VALU_DEP_2) | instskip(NEXT) | instid1(VALU_DEP_1)
	v_cmp_eq_u32_e64 s0, 0, v5
	v_cndmask_b32_e64 v113, v7, v4, s0
; %bb.1401:                             ;   in Loop: Header=BB456_991 Depth=1
	s_or_b32 exec_lo, exec_lo, s9
	v_lshlrev_b32_e32 v4, 16, v6
                                        ; implicit-def: $vgpr114
	s_delay_alu instid0(VALU_DEP_1) | instskip(NEXT) | instid1(VALU_DEP_1)
	v_mul_f32_e32 v4, v82, v4
	v_and_b32_e32 v5, 0x7f800000, v4
	s_delay_alu instid0(VALU_DEP_1) | instskip(NEXT) | instid1(VALU_DEP_1)
	v_cmp_ne_u32_e64 s0, 0x7f800000, v5
	s_and_saveexec_b32 s9, s0
	s_delay_alu instid0(SALU_CYCLE_1)
	s_xor_b32 s0, exec_lo, s9
; %bb.1402:                             ;   in Loop: Header=BB456_991 Depth=1
	v_bfe_u32 v5, v4, 16, 1
	s_delay_alu instid0(VALU_DEP_1)
	v_add3_u32 v114, v4, v5, 0x7fff
                                        ; implicit-def: $vgpr4
; %bb.1403:                             ;   in Loop: Header=BB456_991 Depth=1
	s_and_not1_saveexec_b32 s9, s0
; %bb.1404:                             ;   in Loop: Header=BB456_991 Depth=1
	v_and_b32_e32 v5, 0xffff, v4
	v_or_b32_e32 v6, 0x10000, v4
	s_delay_alu instid0(VALU_DEP_2) | instskip(NEXT) | instid1(VALU_DEP_1)
	v_cmp_eq_u32_e64 s0, 0, v5
	v_cndmask_b32_e64 v114, v6, v4, s0
; %bb.1405:                             ;   in Loop: Header=BB456_991 Depth=1
	s_or_b32 exec_lo, exec_lo, s9
	v_lshlrev_b32_e32 v3, 16, v3
                                        ; implicit-def: $vgpr115
	s_delay_alu instid0(VALU_DEP_1) | instskip(NEXT) | instid1(VALU_DEP_1)
	v_mul_f32_e32 v3, v83, v3
	v_and_b32_e32 v4, 0x7f800000, v3
	s_delay_alu instid0(VALU_DEP_1) | instskip(NEXT) | instid1(VALU_DEP_1)
	v_cmp_ne_u32_e64 s0, 0x7f800000, v4
	s_and_saveexec_b32 s9, s0
	s_delay_alu instid0(SALU_CYCLE_1)
	s_xor_b32 s0, exec_lo, s9
; %bb.1406:                             ;   in Loop: Header=BB456_991 Depth=1
	v_bfe_u32 v4, v3, 16, 1
	s_delay_alu instid0(VALU_DEP_1)
	v_add3_u32 v115, v3, v4, 0x7fff
                                        ; implicit-def: $vgpr3
; %bb.1407:                             ;   in Loop: Header=BB456_991 Depth=1
	s_and_not1_saveexec_b32 s9, s0
; %bb.1408:                             ;   in Loop: Header=BB456_991 Depth=1
	v_and_b32_e32 v4, 0xffff, v3
	v_or_b32_e32 v5, 0x10000, v3
	s_delay_alu instid0(VALU_DEP_2) | instskip(NEXT) | instid1(VALU_DEP_1)
	v_cmp_eq_u32_e64 s0, 0, v4
	v_cndmask_b32_e64 v115, v5, v3, s0
; %bb.1409:                             ;   in Loop: Header=BB456_991 Depth=1
	s_or_b32 exec_lo, exec_lo, s9
	v_lshlrev_b32_e32 v2, 16, v2
                                        ; implicit-def: $vgpr116
	s_delay_alu instid0(VALU_DEP_1) | instskip(NEXT) | instid1(VALU_DEP_1)
	v_mul_f32_e32 v2, v84, v2
	v_and_b32_e32 v3, 0x7f800000, v2
	s_delay_alu instid0(VALU_DEP_1) | instskip(NEXT) | instid1(VALU_DEP_1)
	v_cmp_ne_u32_e64 s0, 0x7f800000, v3
	s_and_saveexec_b32 s9, s0
	s_delay_alu instid0(SALU_CYCLE_1)
	s_xor_b32 s0, exec_lo, s9
; %bb.1410:                             ;   in Loop: Header=BB456_991 Depth=1
	v_bfe_u32 v3, v2, 16, 1
	s_delay_alu instid0(VALU_DEP_1)
	v_add3_u32 v116, v2, v3, 0x7fff
                                        ; implicit-def: $vgpr2
; %bb.1411:                             ;   in Loop: Header=BB456_991 Depth=1
	s_and_not1_saveexec_b32 s9, s0
; %bb.1412:                             ;   in Loop: Header=BB456_991 Depth=1
	v_and_b32_e32 v3, 0xffff, v2
	v_or_b32_e32 v4, 0x10000, v2
	s_delay_alu instid0(VALU_DEP_2) | instskip(NEXT) | instid1(VALU_DEP_1)
	v_cmp_eq_u32_e64 s0, 0, v3
	v_cndmask_b32_e64 v116, v4, v2, s0
; %bb.1413:                             ;   in Loop: Header=BB456_991 Depth=1
	s_or_b32 exec_lo, exec_lo, s9
	flat_load_b64 v[2:3], v[0:1] offset:768
	s_mov_b32 s9, exec_lo
	s_waitcnt vmcnt(0) lgkmcnt(0)
	v_dual_mov_b32 v4, 0 :: v_dual_and_b32 v5, 0xff, v2
	s_delay_alu instid0(VALU_DEP_1)
	v_cmpx_ne_u16_e32 0, v5
	s_cbranch_execz .LBB456_1421
; %bb.1414:                             ;   in Loop: Header=BB456_991 Depth=1
	v_bfrev_b32_e32 v4, 1
	s_mov_b32 s12, exec_lo
	v_cmpx_ne_u16_e32 0x80, v5
	s_cbranch_execz .LBB456_1420
; %bb.1415:                             ;   in Loop: Header=BB456_991 Depth=1
	v_and_b32_e32 v5, 0x7f, v2
	v_mov_b32_e32 v4, 0x7f800001
	s_mov_b32 s13, exec_lo
	s_delay_alu instid0(VALU_DEP_2)
	v_cmpx_ne_u32_e32 0x7f, v5
	s_cbranch_execz .LBB456_1419
; %bb.1416:                             ;   in Loop: Header=BB456_991 Depth=1
	v_lshrrev_b32_e32 v4, 3, v5
	v_dual_mov_b32 v7, v3 :: v_dual_mov_b32 v6, v2
	s_mov_b32 s15, exec_lo
	v_cmpx_gt_u32_e32 8, v5
; %bb.1417:                             ;   in Loop: Header=BB456_991 Depth=1
	v_and_b32_e32 v4, 7, v2
	s_delay_alu instid0(VALU_DEP_1) | instskip(NEXT) | instid1(VALU_DEP_1)
	v_clz_i32_u32_e32 v4, v4
	v_min_u32_e32 v4, 32, v4
	s_delay_alu instid0(VALU_DEP_1) | instskip(SKIP_1) | instid1(VALU_DEP_2)
	v_subrev_nc_u32_e32 v5, 28, v4
	v_sub_nc_u32_e32 v4, 29, v4
	v_lshlrev_b64 v[6:7], v5, v[2:3]
; %bb.1418:                             ;   in Loop: Header=BB456_991 Depth=1
	s_or_b32 exec_lo, exec_lo, s15
	s_delay_alu instid0(VALU_DEP_1) | instskip(SKIP_2) | instid1(VALU_DEP_3)
	v_lshlrev_b32_e32 v5, 20, v6
	v_lshlrev_b32_e32 v6, 24, v2
	v_lshl_add_u32 v4, v4, 23, 0x3c000000
	v_and_b32_e32 v5, 0x700000, v5
	s_delay_alu instid0(VALU_DEP_3) | instskip(NEXT) | instid1(VALU_DEP_1)
	v_and_b32_e32 v6, 0x80000000, v6
	v_or3_b32 v4, v5, v6, v4
.LBB456_1419:                           ;   in Loop: Header=BB456_991 Depth=1
	s_or_b32 exec_lo, exec_lo, s13
.LBB456_1420:                           ;   in Loop: Header=BB456_991 Depth=1
	s_delay_alu instid0(SALU_CYCLE_1)
	s_or_b32 exec_lo, exec_lo, s12
.LBB456_1421:                           ;   in Loop: Header=BB456_991 Depth=1
	s_delay_alu instid0(SALU_CYCLE_1) | instskip(NEXT) | instid1(VALU_DEP_1)
	s_or_b32 exec_lo, exec_lo, s9
	v_mul_f32_e32 v5, v26, v4
	s_delay_alu instid0(VALU_DEP_1) | instskip(NEXT) | instid1(VALU_DEP_1)
	v_and_b32_e32 v4, 0x7f800000, v5
	v_cmp_ne_u32_e64 s0, 0x7f800000, v4
                                        ; implicit-def: $vgpr4
	s_delay_alu instid0(VALU_DEP_1) | instskip(NEXT) | instid1(SALU_CYCLE_1)
	s_and_saveexec_b32 s9, s0
	s_xor_b32 s0, exec_lo, s9
; %bb.1422:                             ;   in Loop: Header=BB456_991 Depth=1
	v_bfe_u32 v4, v5, 16, 1
	s_delay_alu instid0(VALU_DEP_1)
	v_add3_u32 v4, v5, v4, 0x7fff
                                        ; implicit-def: $vgpr5
; %bb.1423:                             ;   in Loop: Header=BB456_991 Depth=1
	s_and_not1_saveexec_b32 s9, s0
; %bb.1424:                             ;   in Loop: Header=BB456_991 Depth=1
	v_and_b32_e32 v4, 0xffff, v5
	v_or_b32_e32 v6, 0x10000, v5
	s_delay_alu instid0(VALU_DEP_2) | instskip(NEXT) | instid1(VALU_DEP_1)
	v_cmp_eq_u32_e64 s0, 0, v4
	v_cndmask_b32_e64 v4, v6, v5, s0
; %bb.1425:                             ;   in Loop: Header=BB456_991 Depth=1
	s_or_b32 exec_lo, exec_lo, s9
	v_lshrrev_b16 v6, 8, v2
	v_mov_b32_e32 v5, 0
	s_mov_b32 s9, exec_lo
	s_delay_alu instid0(VALU_DEP_2)
	v_cmpx_ne_u16_e32 0, v6
	s_cbranch_execz .LBB456_1433
; %bb.1426:                             ;   in Loop: Header=BB456_991 Depth=1
	v_bfrev_b32_e32 v5, 1
	s_mov_b32 s12, exec_lo
	v_cmpx_ne_u16_e32 0x80, v6
	s_cbranch_execz .LBB456_1432
; %bb.1427:                             ;   in Loop: Header=BB456_991 Depth=1
	v_and_b32_e32 v7, 0xffff, v6
	v_mov_b32_e32 v5, 0x7f800001
	s_mov_b32 s13, exec_lo
	s_delay_alu instid0(VALU_DEP_2) | instskip(NEXT) | instid1(VALU_DEP_1)
	v_and_b32_e32 v6, 0x7f, v7
	v_cmpx_ne_u32_e32 0x7f, v6
	s_cbranch_execz .LBB456_1431
; %bb.1428:                             ;   in Loop: Header=BB456_991 Depth=1
	v_and_b32_e32 v9, 7, v7
	v_lshrrev_b32_e32 v5, 3, v6
	s_mov_b32 s15, exec_lo
	v_cmpx_gt_u32_e32 8, v6
; %bb.1429:                             ;   in Loop: Header=BB456_991 Depth=1
	s_delay_alu instid0(VALU_DEP_3) | instskip(NEXT) | instid1(VALU_DEP_1)
	v_clz_i32_u32_e32 v5, v9
	v_min_u32_e32 v5, 32, v5
	s_delay_alu instid0(VALU_DEP_1) | instskip(SKIP_1) | instid1(VALU_DEP_2)
	v_subrev_nc_u32_e32 v6, 28, v5
	v_sub_nc_u32_e32 v5, 29, v5
	v_lshlrev_b64 v[6:7], v6, v[9:10]
	s_delay_alu instid0(VALU_DEP_1)
	v_and_b32_e32 v9, 7, v6
; %bb.1430:                             ;   in Loop: Header=BB456_991 Depth=1
	s_or_b32 exec_lo, exec_lo, s15
	v_lshlrev_b32_e32 v6, 16, v2
	s_delay_alu instid0(VALU_DEP_2) | instskip(SKIP_1) | instid1(VALU_DEP_3)
	v_lshlrev_b32_e32 v7, 20, v9
	v_lshl_add_u32 v5, v5, 23, 0x3c000000
	v_and_b32_e32 v6, 0x80000000, v6
	s_delay_alu instid0(VALU_DEP_1)
	v_or3_b32 v5, v7, v6, v5
.LBB456_1431:                           ;   in Loop: Header=BB456_991 Depth=1
	s_or_b32 exec_lo, exec_lo, s13
.LBB456_1432:                           ;   in Loop: Header=BB456_991 Depth=1
	s_delay_alu instid0(SALU_CYCLE_1)
	s_or_b32 exec_lo, exec_lo, s12
.LBB456_1433:                           ;   in Loop: Header=BB456_991 Depth=1
	s_delay_alu instid0(SALU_CYCLE_1) | instskip(NEXT) | instid1(VALU_DEP_1)
	s_or_b32 exec_lo, exec_lo, s9
	v_mul_f32_e32 v6, v26, v5
	s_delay_alu instid0(VALU_DEP_1) | instskip(NEXT) | instid1(VALU_DEP_1)
	v_and_b32_e32 v5, 0x7f800000, v6
	v_cmp_ne_u32_e64 s0, 0x7f800000, v5
                                        ; implicit-def: $vgpr5
	s_delay_alu instid0(VALU_DEP_1) | instskip(NEXT) | instid1(SALU_CYCLE_1)
	s_and_saveexec_b32 s9, s0
	s_xor_b32 s0, exec_lo, s9
; %bb.1434:                             ;   in Loop: Header=BB456_991 Depth=1
	v_bfe_u32 v5, v6, 16, 1
	s_delay_alu instid0(VALU_DEP_1)
	v_add3_u32 v5, v6, v5, 0x7fff
                                        ; implicit-def: $vgpr6
; %bb.1435:                             ;   in Loop: Header=BB456_991 Depth=1
	s_and_not1_saveexec_b32 s9, s0
; %bb.1436:                             ;   in Loop: Header=BB456_991 Depth=1
	v_and_b32_e32 v5, 0xffff, v6
	v_or_b32_e32 v7, 0x10000, v6
	s_delay_alu instid0(VALU_DEP_2) | instskip(NEXT) | instid1(VALU_DEP_1)
	v_cmp_eq_u32_e64 s0, 0, v5
	v_cndmask_b32_e64 v5, v7, v6, s0
; %bb.1437:                             ;   in Loop: Header=BB456_991 Depth=1
	s_or_b32 exec_lo, exec_lo, s9
	v_lshrrev_b32_e32 v6, 16, v2
	v_mov_b32_e32 v7, 0
	s_mov_b32 s9, exec_lo
	s_delay_alu instid0(VALU_DEP_2) | instskip(NEXT) | instid1(VALU_DEP_1)
	v_and_b32_e32 v9, 0xff, v6
	v_cmpx_ne_u16_e32 0, v9
	s_cbranch_execz .LBB456_1445
; %bb.1438:                             ;   in Loop: Header=BB456_991 Depth=1
	v_bfrev_b32_e32 v7, 1
	s_mov_b32 s12, exec_lo
	v_cmpx_ne_u16_e32 0x80, v9
	s_cbranch_execz .LBB456_1444
; %bb.1439:                             ;   in Loop: Header=BB456_991 Depth=1
	v_bfe_u32 v23, v2, 16, 7
	v_mov_b32_e32 v7, 0x7f800001
	s_mov_b32 s13, exec_lo
	s_delay_alu instid0(VALU_DEP_2)
	v_cmpx_ne_u32_e32 0x7f, v23
	s_cbranch_execz .LBB456_1443
; %bb.1440:                             ;   in Loop: Header=BB456_991 Depth=1
	v_and_b32_e32 v9, 7, v6
	v_lshrrev_b32_e32 v7, 3, v23
	s_mov_b32 s15, exec_lo
	v_cmpx_gt_u32_e32 8, v23
; %bb.1441:                             ;   in Loop: Header=BB456_991 Depth=1
	s_delay_alu instid0(VALU_DEP_3) | instskip(NEXT) | instid1(VALU_DEP_1)
	v_clz_i32_u32_e32 v7, v9
	v_min_u32_e32 v7, 32, v7
	s_delay_alu instid0(VALU_DEP_1) | instskip(SKIP_1) | instid1(VALU_DEP_2)
	v_subrev_nc_u32_e32 v23, 28, v7
	v_sub_nc_u32_e32 v7, 29, v7
	v_lshlrev_b64 v[117:118], v23, v[9:10]
	s_delay_alu instid0(VALU_DEP_1)
	v_and_b32_e32 v9, 7, v117
; %bb.1442:                             ;   in Loop: Header=BB456_991 Depth=1
	s_or_b32 exec_lo, exec_lo, s15
	v_lshlrev_b32_e32 v6, 24, v6
	s_delay_alu instid0(VALU_DEP_2) | instskip(SKIP_1) | instid1(VALU_DEP_3)
	v_lshlrev_b32_e32 v9, 20, v9
	v_lshl_add_u32 v7, v7, 23, 0x3c000000
	v_and_b32_e32 v6, 0x80000000, v6
	s_delay_alu instid0(VALU_DEP_1)
	v_or3_b32 v7, v9, v6, v7
.LBB456_1443:                           ;   in Loop: Header=BB456_991 Depth=1
	s_or_b32 exec_lo, exec_lo, s13
.LBB456_1444:                           ;   in Loop: Header=BB456_991 Depth=1
	s_delay_alu instid0(SALU_CYCLE_1)
	s_or_b32 exec_lo, exec_lo, s12
.LBB456_1445:                           ;   in Loop: Header=BB456_991 Depth=1
	s_delay_alu instid0(SALU_CYCLE_1) | instskip(NEXT) | instid1(VALU_DEP_1)
	s_or_b32 exec_lo, exec_lo, s9
	v_mul_f32_e32 v6, v26, v7
                                        ; implicit-def: $vgpr23
	s_delay_alu instid0(VALU_DEP_1) | instskip(NEXT) | instid1(VALU_DEP_1)
	v_and_b32_e32 v7, 0x7f800000, v6
	v_cmp_ne_u32_e64 s0, 0x7f800000, v7
	s_delay_alu instid0(VALU_DEP_1) | instskip(NEXT) | instid1(SALU_CYCLE_1)
	s_and_saveexec_b32 s9, s0
	s_xor_b32 s0, exec_lo, s9
; %bb.1446:                             ;   in Loop: Header=BB456_991 Depth=1
	v_bfe_u32 v7, v6, 16, 1
	s_delay_alu instid0(VALU_DEP_1)
	v_add3_u32 v23, v6, v7, 0x7fff
                                        ; implicit-def: $vgpr6
; %bb.1447:                             ;   in Loop: Header=BB456_991 Depth=1
	s_and_not1_saveexec_b32 s9, s0
; %bb.1448:                             ;   in Loop: Header=BB456_991 Depth=1
	v_and_b32_e32 v7, 0xffff, v6
	v_or_b32_e32 v9, 0x10000, v6
	s_delay_alu instid0(VALU_DEP_2) | instskip(NEXT) | instid1(VALU_DEP_1)
	v_cmp_eq_u32_e64 s0, 0, v7
	v_cndmask_b32_e64 v23, v9, v6, s0
; %bb.1449:                             ;   in Loop: Header=BB456_991 Depth=1
	s_or_b32 exec_lo, exec_lo, s9
	v_mov_b32_e32 v7, 0
	s_mov_b32 s9, exec_lo
	v_cmpx_lt_u32_e32 0xffffff, v2
	s_cbranch_execz .LBB456_1457
; %bb.1450:                             ;   in Loop: Header=BB456_991 Depth=1
	v_lshrrev_b32_e32 v6, 24, v2
	v_bfrev_b32_e32 v7, 1
	s_mov_b32 s12, exec_lo
	s_delay_alu instid0(VALU_DEP_2)
	v_cmpx_ne_u32_e32 0x80, v6
	s_cbranch_execz .LBB456_1456
; %bb.1451:                             ;   in Loop: Header=BB456_991 Depth=1
	v_bfe_u32 v36, v2, 24, 7
	v_mov_b32_e32 v7, 0x7f800001
	s_mov_b32 s13, exec_lo
	s_delay_alu instid0(VALU_DEP_2)
	v_cmpx_ne_u32_e32 0x7f, v36
	s_cbranch_execz .LBB456_1455
; %bb.1452:                             ;   in Loop: Header=BB456_991 Depth=1
	v_and_b32_e32 v9, 7, v6
	v_lshrrev_b32_e32 v7, 3, v36
	s_mov_b32 s15, exec_lo
	v_cmpx_gt_u32_e32 8, v36
; %bb.1453:                             ;   in Loop: Header=BB456_991 Depth=1
	s_delay_alu instid0(VALU_DEP_3) | instskip(NEXT) | instid1(VALU_DEP_1)
	v_clz_i32_u32_e32 v7, v9
	v_min_u32_e32 v7, 32, v7
	s_delay_alu instid0(VALU_DEP_1) | instskip(SKIP_1) | instid1(VALU_DEP_2)
	v_subrev_nc_u32_e32 v36, 28, v7
	v_sub_nc_u32_e32 v7, 29, v7
	v_lshlrev_b64 v[117:118], v36, v[9:10]
	s_delay_alu instid0(VALU_DEP_1)
	v_and_b32_e32 v9, 7, v117
; %bb.1454:                             ;   in Loop: Header=BB456_991 Depth=1
	s_or_b32 exec_lo, exec_lo, s15
	v_lshlrev_b32_e32 v6, 24, v6
	s_delay_alu instid0(VALU_DEP_2) | instskip(SKIP_1) | instid1(VALU_DEP_3)
	v_lshlrev_b32_e32 v9, 20, v9
	v_lshl_add_u32 v7, v7, 23, 0x3c000000
	v_and_b32_e32 v6, 0x80000000, v6
	s_delay_alu instid0(VALU_DEP_1)
	v_or3_b32 v7, v9, v6, v7
.LBB456_1455:                           ;   in Loop: Header=BB456_991 Depth=1
	s_or_b32 exec_lo, exec_lo, s13
.LBB456_1456:                           ;   in Loop: Header=BB456_991 Depth=1
	s_delay_alu instid0(SALU_CYCLE_1)
	s_or_b32 exec_lo, exec_lo, s12
.LBB456_1457:                           ;   in Loop: Header=BB456_991 Depth=1
	s_delay_alu instid0(SALU_CYCLE_1) | instskip(NEXT) | instid1(VALU_DEP_1)
	s_or_b32 exec_lo, exec_lo, s9
	v_mul_f32_e32 v6, v26, v7
                                        ; implicit-def: $vgpr36
	s_delay_alu instid0(VALU_DEP_1) | instskip(NEXT) | instid1(VALU_DEP_1)
	v_and_b32_e32 v7, 0x7f800000, v6
	v_cmp_ne_u32_e64 s0, 0x7f800000, v7
	s_delay_alu instid0(VALU_DEP_1) | instskip(NEXT) | instid1(SALU_CYCLE_1)
	s_and_saveexec_b32 s9, s0
	s_xor_b32 s0, exec_lo, s9
; %bb.1458:                             ;   in Loop: Header=BB456_991 Depth=1
	v_bfe_u32 v7, v6, 16, 1
	s_delay_alu instid0(VALU_DEP_1)
	v_add3_u32 v36, v6, v7, 0x7fff
                                        ; implicit-def: $vgpr6
; %bb.1459:                             ;   in Loop: Header=BB456_991 Depth=1
	s_and_not1_saveexec_b32 s9, s0
; %bb.1460:                             ;   in Loop: Header=BB456_991 Depth=1
	v_and_b32_e32 v7, 0xffff, v6
	v_or_b32_e32 v9, 0x10000, v6
	s_delay_alu instid0(VALU_DEP_2) | instskip(NEXT) | instid1(VALU_DEP_1)
	v_cmp_eq_u32_e64 s0, 0, v7
	v_cndmask_b32_e64 v36, v9, v6, s0
; %bb.1461:                             ;   in Loop: Header=BB456_991 Depth=1
	s_or_b32 exec_lo, exec_lo, s9
	v_dual_mov_b32 v6, 0 :: v_dual_and_b32 v7, 0xff, v3
	v_mov_b32_e32 v9, v3
	s_mov_b32 s9, exec_lo
	s_delay_alu instid0(VALU_DEP_2)
	v_cmpx_ne_u16_e32 0, v7
	s_cbranch_execz .LBB456_1469
; %bb.1462:                             ;   in Loop: Header=BB456_991 Depth=1
	v_bfrev_b32_e32 v6, 1
	s_mov_b32 s12, exec_lo
	v_cmpx_ne_u16_e32 0x80, v7
	s_cbranch_execz .LBB456_1468
; %bb.1463:                             ;   in Loop: Header=BB456_991 Depth=1
	v_and_b32_e32 v7, 0x7f, v3
	v_mov_b32_e32 v6, 0x7f800001
	s_mov_b32 s13, exec_lo
	s_delay_alu instid0(VALU_DEP_2)
	v_cmpx_ne_u32_e32 0x7f, v7
	s_cbranch_execz .LBB456_1467
; %bb.1464:                             ;   in Loop: Header=BB456_991 Depth=1
	v_lshrrev_b32_e32 v117, 3, v7
	v_cmp_gt_u32_e64 s0, 8, v7
	v_dual_mov_b32 v6, v9 :: v_dual_mov_b32 v7, v10
	s_delay_alu instid0(VALU_DEP_2)
	s_and_saveexec_b32 s15, s0
; %bb.1465:                             ;   in Loop: Header=BB456_991 Depth=1
	v_and_b32_e32 v6, 7, v3
	s_delay_alu instid0(VALU_DEP_1) | instskip(NEXT) | instid1(VALU_DEP_1)
	v_clz_i32_u32_e32 v6, v6
	v_min_u32_e32 v117, 32, v6
	s_delay_alu instid0(VALU_DEP_1) | instskip(SKIP_1) | instid1(VALU_DEP_2)
	v_subrev_nc_u32_e32 v6, 28, v117
	v_sub_nc_u32_e32 v117, 29, v117
	v_lshlrev_b64 v[6:7], v6, v[9:10]
; %bb.1466:                             ;   in Loop: Header=BB456_991 Depth=1
	s_or_b32 exec_lo, exec_lo, s15
	s_delay_alu instid0(VALU_DEP_1) | instskip(SKIP_2) | instid1(VALU_DEP_3)
	v_lshlrev_b32_e32 v6, 20, v6
	v_lshlrev_b32_e32 v7, 24, v9
	v_lshl_add_u32 v117, v117, 23, 0x3c000000
	v_and_b32_e32 v6, 0x700000, v6
	s_delay_alu instid0(VALU_DEP_3) | instskip(NEXT) | instid1(VALU_DEP_1)
	v_and_b32_e32 v7, 0x80000000, v7
	v_or3_b32 v6, v6, v7, v117
.LBB456_1467:                           ;   in Loop: Header=BB456_991 Depth=1
	s_or_b32 exec_lo, exec_lo, s13
.LBB456_1468:                           ;   in Loop: Header=BB456_991 Depth=1
	s_delay_alu instid0(SALU_CYCLE_1)
	s_or_b32 exec_lo, exec_lo, s12
.LBB456_1469:                           ;   in Loop: Header=BB456_991 Depth=1
	s_delay_alu instid0(SALU_CYCLE_1) | instskip(NEXT) | instid1(VALU_DEP_1)
	s_or_b32 exec_lo, exec_lo, s9
	v_mul_f32_e32 v6, v26, v6
                                        ; implicit-def: $vgpr117
	s_delay_alu instid0(VALU_DEP_1) | instskip(NEXT) | instid1(VALU_DEP_1)
	v_and_b32_e32 v7, 0x7f800000, v6
	v_cmp_ne_u32_e64 s0, 0x7f800000, v7
	s_delay_alu instid0(VALU_DEP_1) | instskip(NEXT) | instid1(SALU_CYCLE_1)
	s_and_saveexec_b32 s9, s0
	s_xor_b32 s0, exec_lo, s9
; %bb.1470:                             ;   in Loop: Header=BB456_991 Depth=1
	v_bfe_u32 v7, v6, 16, 1
	s_delay_alu instid0(VALU_DEP_1)
	v_add3_u32 v117, v6, v7, 0x7fff
                                        ; implicit-def: $vgpr6
; %bb.1471:                             ;   in Loop: Header=BB456_991 Depth=1
	s_and_not1_saveexec_b32 s9, s0
; %bb.1472:                             ;   in Loop: Header=BB456_991 Depth=1
	v_and_b32_e32 v7, 0xffff, v6
	v_or_b32_e32 v117, 0x10000, v6
	s_delay_alu instid0(VALU_DEP_2) | instskip(NEXT) | instid1(VALU_DEP_1)
	v_cmp_eq_u32_e64 s0, 0, v7
	v_cndmask_b32_e64 v117, v117, v6, s0
; %bb.1473:                             ;   in Loop: Header=BB456_991 Depth=1
	s_or_b32 exec_lo, exec_lo, s9
	v_lshrrev_b16 v7, 8, v9
	v_mov_b32_e32 v6, 0
	s_mov_b32 s9, exec_lo
	s_delay_alu instid0(VALU_DEP_2)
	v_cmpx_ne_u16_e32 0, v7
	s_cbranch_execz .LBB456_1481
; %bb.1474:                             ;   in Loop: Header=BB456_991 Depth=1
	v_bfrev_b32_e32 v6, 1
	s_mov_b32 s12, exec_lo
	v_cmpx_ne_u16_e32 0x80, v7
	s_cbranch_execz .LBB456_1480
; %bb.1475:                             ;   in Loop: Header=BB456_991 Depth=1
	v_and_b32_e32 v7, 0xffff, v7
	v_mov_b32_e32 v6, 0x7f800001
	s_mov_b32 s13, exec_lo
	s_delay_alu instid0(VALU_DEP_2) | instskip(NEXT) | instid1(VALU_DEP_1)
	v_and_b32_e32 v119, 0x7f, v7
	v_cmpx_ne_u32_e32 0x7f, v119
	s_cbranch_execz .LBB456_1479
; %bb.1476:                             ;   in Loop: Header=BB456_991 Depth=1
	v_dual_mov_b32 v7, v10 :: v_dual_and_b32 v6, 7, v7
	v_lshrrev_b32_e32 v118, 3, v119
	s_mov_b32 s15, exec_lo
	v_cmpx_gt_u32_e32 8, v119
; %bb.1477:                             ;   in Loop: Header=BB456_991 Depth=1
	s_delay_alu instid0(VALU_DEP_3) | instskip(NEXT) | instid1(VALU_DEP_1)
	v_clz_i32_u32_e32 v118, v6
	v_min_u32_e32 v118, 32, v118
	s_delay_alu instid0(VALU_DEP_1) | instskip(SKIP_1) | instid1(VALU_DEP_2)
	v_subrev_nc_u32_e32 v119, 28, v118
	v_sub_nc_u32_e32 v118, 29, v118
	v_lshlrev_b64 v[6:7], v119, v[6:7]
	s_delay_alu instid0(VALU_DEP_1)
	v_and_b32_e32 v6, 7, v6
; %bb.1478:                             ;   in Loop: Header=BB456_991 Depth=1
	s_or_b32 exec_lo, exec_lo, s15
	v_lshlrev_b32_e32 v7, 16, v9
	s_delay_alu instid0(VALU_DEP_2) | instskip(SKIP_1) | instid1(VALU_DEP_3)
	v_lshlrev_b32_e32 v6, 20, v6
	v_lshl_add_u32 v9, v118, 23, 0x3c000000
	v_and_b32_e32 v7, 0x80000000, v7
	s_delay_alu instid0(VALU_DEP_1)
	v_or3_b32 v6, v6, v7, v9
.LBB456_1479:                           ;   in Loop: Header=BB456_991 Depth=1
	s_or_b32 exec_lo, exec_lo, s13
.LBB456_1480:                           ;   in Loop: Header=BB456_991 Depth=1
	s_delay_alu instid0(SALU_CYCLE_1)
	s_or_b32 exec_lo, exec_lo, s12
.LBB456_1481:                           ;   in Loop: Header=BB456_991 Depth=1
	s_delay_alu instid0(SALU_CYCLE_1) | instskip(NEXT) | instid1(VALU_DEP_1)
	s_or_b32 exec_lo, exec_lo, s9
	v_mul_f32_e32 v7, v26, v6
	s_delay_alu instid0(VALU_DEP_1) | instskip(NEXT) | instid1(VALU_DEP_1)
	v_and_b32_e32 v6, 0x7f800000, v7
	v_cmp_ne_u32_e64 s0, 0x7f800000, v6
                                        ; implicit-def: $vgpr6
	s_delay_alu instid0(VALU_DEP_1) | instskip(NEXT) | instid1(SALU_CYCLE_1)
	s_and_saveexec_b32 s9, s0
	s_xor_b32 s0, exec_lo, s9
; %bb.1482:                             ;   in Loop: Header=BB456_991 Depth=1
	v_bfe_u32 v6, v7, 16, 1
	s_delay_alu instid0(VALU_DEP_1)
	v_add3_u32 v6, v7, v6, 0x7fff
                                        ; implicit-def: $vgpr7
; %bb.1483:                             ;   in Loop: Header=BB456_991 Depth=1
	s_and_not1_saveexec_b32 s9, s0
; %bb.1484:                             ;   in Loop: Header=BB456_991 Depth=1
	v_and_b32_e32 v6, 0xffff, v7
	v_or_b32_e32 v9, 0x10000, v7
	s_delay_alu instid0(VALU_DEP_2) | instskip(NEXT) | instid1(VALU_DEP_1)
	v_cmp_eq_u32_e64 s0, 0, v6
	v_cndmask_b32_e64 v6, v9, v7, s0
; %bb.1485:                             ;   in Loop: Header=BB456_991 Depth=1
	s_or_b32 exec_lo, exec_lo, s9
	v_lshrrev_b32_e32 v7, 16, v3
	s_mov_b32 s9, exec_lo
	s_delay_alu instid0(VALU_DEP_1) | instskip(NEXT) | instid1(VALU_DEP_1)
	v_dual_mov_b32 v9, 0 :: v_dual_and_b32 v118, 0xff, v7
	v_cmpx_ne_u16_e32 0, v118
	s_cbranch_execz .LBB456_1493
; %bb.1486:                             ;   in Loop: Header=BB456_991 Depth=1
	v_bfrev_b32_e32 v9, 1
	s_mov_b32 s12, exec_lo
	v_cmpx_ne_u16_e32 0x80, v118
	s_cbranch_execz .LBB456_1492
; %bb.1487:                             ;   in Loop: Header=BB456_991 Depth=1
	v_bfe_u32 v119, v3, 16, 7
	v_mov_b32_e32 v9, 0x7f800001
	s_mov_b32 s13, exec_lo
	s_delay_alu instid0(VALU_DEP_2)
	v_cmpx_ne_u32_e32 0x7f, v119
	s_cbranch_execz .LBB456_1491
; %bb.1488:                             ;   in Loop: Header=BB456_991 Depth=1
	v_and_b32_e32 v9, 7, v7
	v_lshrrev_b32_e32 v118, 3, v119
	s_mov_b32 s15, exec_lo
	v_cmpx_gt_u32_e32 8, v119
; %bb.1489:                             ;   in Loop: Header=BB456_991 Depth=1
	s_delay_alu instid0(VALU_DEP_3) | instskip(NEXT) | instid1(VALU_DEP_1)
	v_clz_i32_u32_e32 v118, v9
	v_min_u32_e32 v118, 32, v118
	s_delay_alu instid0(VALU_DEP_1) | instskip(SKIP_1) | instid1(VALU_DEP_2)
	v_subrev_nc_u32_e32 v119, 28, v118
	v_sub_nc_u32_e32 v118, 29, v118
	v_lshlrev_b64 v[128:129], v119, v[9:10]
	s_delay_alu instid0(VALU_DEP_1)
	v_and_b32_e32 v9, 7, v128
; %bb.1490:                             ;   in Loop: Header=BB456_991 Depth=1
	s_or_b32 exec_lo, exec_lo, s15
	v_lshlrev_b32_e32 v7, 24, v7
	s_delay_alu instid0(VALU_DEP_2) | instskip(SKIP_1) | instid1(VALU_DEP_3)
	v_lshlrev_b32_e32 v9, 20, v9
	v_lshl_add_u32 v118, v118, 23, 0x3c000000
	v_and_b32_e32 v7, 0x80000000, v7
	s_delay_alu instid0(VALU_DEP_1)
	v_or3_b32 v9, v9, v7, v118
.LBB456_1491:                           ;   in Loop: Header=BB456_991 Depth=1
	s_or_b32 exec_lo, exec_lo, s13
.LBB456_1492:                           ;   in Loop: Header=BB456_991 Depth=1
	s_delay_alu instid0(SALU_CYCLE_1)
	s_or_b32 exec_lo, exec_lo, s12
.LBB456_1493:                           ;   in Loop: Header=BB456_991 Depth=1
	s_delay_alu instid0(SALU_CYCLE_1) | instskip(NEXT) | instid1(VALU_DEP_1)
	s_or_b32 exec_lo, exec_lo, s9
	v_mul_f32_e32 v7, v26, v9
                                        ; implicit-def: $vgpr118
	s_delay_alu instid0(VALU_DEP_1) | instskip(NEXT) | instid1(VALU_DEP_1)
	v_and_b32_e32 v9, 0x7f800000, v7
	v_cmp_ne_u32_e64 s0, 0x7f800000, v9
	s_delay_alu instid0(VALU_DEP_1) | instskip(NEXT) | instid1(SALU_CYCLE_1)
	s_and_saveexec_b32 s9, s0
	s_xor_b32 s0, exec_lo, s9
; %bb.1494:                             ;   in Loop: Header=BB456_991 Depth=1
	v_bfe_u32 v9, v7, 16, 1
	s_delay_alu instid0(VALU_DEP_1)
	v_add3_u32 v118, v7, v9, 0x7fff
                                        ; implicit-def: $vgpr7
; %bb.1495:                             ;   in Loop: Header=BB456_991 Depth=1
	s_and_not1_saveexec_b32 s9, s0
; %bb.1496:                             ;   in Loop: Header=BB456_991 Depth=1
	v_and_b32_e32 v9, 0xffff, v7
	v_or_b32_e32 v118, 0x10000, v7
	s_delay_alu instid0(VALU_DEP_2) | instskip(NEXT) | instid1(VALU_DEP_1)
	v_cmp_eq_u32_e64 s0, 0, v9
	v_cndmask_b32_e64 v118, v118, v7, s0
; %bb.1497:                             ;   in Loop: Header=BB456_991 Depth=1
	s_or_b32 exec_lo, exec_lo, s9
	v_mov_b32_e32 v7, 0
	s_mov_b32 s9, exec_lo
	v_cmpx_lt_u64_e64 s[2:3], v[2:3]
	s_cbranch_execz .LBB456_1505
; %bb.1498:                             ;   in Loop: Header=BB456_991 Depth=1
	v_lshrrev_b32_e32 v2, 24, v3
	v_bfrev_b32_e32 v7, 1
	s_mov_b32 s12, exec_lo
	s_delay_alu instid0(VALU_DEP_2)
	v_cmpx_ne_u32_e32 0x80, v2
	s_cbranch_execz .LBB456_1504
; %bb.1499:                             ;   in Loop: Header=BB456_991 Depth=1
	v_bfe_u32 v119, v3, 24, 7
	v_mov_b32_e32 v7, 0x7f800001
	s_mov_b32 s13, exec_lo
	s_delay_alu instid0(VALU_DEP_2)
	v_cmpx_ne_u32_e32 0x7f, v119
	s_cbranch_execz .LBB456_1503
; %bb.1500:                             ;   in Loop: Header=BB456_991 Depth=1
	v_and_b32_e32 v9, 7, v2
	v_lshrrev_b32_e32 v3, 3, v119
	s_mov_b32 s15, exec_lo
	v_cmpx_gt_u32_e32 8, v119
; %bb.1501:                             ;   in Loop: Header=BB456_991 Depth=1
	s_delay_alu instid0(VALU_DEP_3) | instskip(NEXT) | instid1(VALU_DEP_1)
	v_clz_i32_u32_e32 v3, v9
	v_min_u32_e32 v3, 32, v3
	s_delay_alu instid0(VALU_DEP_1) | instskip(SKIP_1) | instid1(VALU_DEP_2)
	v_subrev_nc_u32_e32 v7, 28, v3
	v_sub_nc_u32_e32 v3, 29, v3
	v_lshlrev_b64 v[128:129], v7, v[9:10]
	s_delay_alu instid0(VALU_DEP_1)
	v_and_b32_e32 v9, 7, v128
; %bb.1502:                             ;   in Loop: Header=BB456_991 Depth=1
	s_or_b32 exec_lo, exec_lo, s15
	v_lshlrev_b32_e32 v2, 24, v2
	s_delay_alu instid0(VALU_DEP_2) | instskip(SKIP_1) | instid1(VALU_DEP_3)
	v_lshlrev_b32_e32 v7, 20, v9
	v_lshl_add_u32 v3, v3, 23, 0x3c000000
	v_and_b32_e32 v2, 0x80000000, v2
	s_delay_alu instid0(VALU_DEP_1)
	v_or3_b32 v7, v7, v2, v3
.LBB456_1503:                           ;   in Loop: Header=BB456_991 Depth=1
	s_or_b32 exec_lo, exec_lo, s13
.LBB456_1504:                           ;   in Loop: Header=BB456_991 Depth=1
	s_delay_alu instid0(SALU_CYCLE_1)
	s_or_b32 exec_lo, exec_lo, s12
.LBB456_1505:                           ;   in Loop: Header=BB456_991 Depth=1
	s_delay_alu instid0(SALU_CYCLE_1) | instskip(NEXT) | instid1(VALU_DEP_1)
	s_or_b32 exec_lo, exec_lo, s9
	v_mul_f32_e32 v3, v26, v7
	s_delay_alu instid0(VALU_DEP_1) | instskip(NEXT) | instid1(VALU_DEP_1)
	v_and_b32_e32 v2, 0x7f800000, v3
	v_cmp_ne_u32_e64 s0, 0x7f800000, v2
                                        ; implicit-def: $vgpr2
	s_delay_alu instid0(VALU_DEP_1) | instskip(NEXT) | instid1(SALU_CYCLE_1)
	s_and_saveexec_b32 s9, s0
	s_xor_b32 s0, exec_lo, s9
; %bb.1506:                             ;   in Loop: Header=BB456_991 Depth=1
	v_bfe_u32 v2, v3, 16, 1
	s_delay_alu instid0(VALU_DEP_1)
	v_add3_u32 v2, v3, v2, 0x7fff
                                        ; implicit-def: $vgpr3
; %bb.1507:                             ;   in Loop: Header=BB456_991 Depth=1
	s_and_not1_saveexec_b32 s9, s0
; %bb.1508:                             ;   in Loop: Header=BB456_991 Depth=1
	v_and_b32_e32 v2, 0xffff, v3
	v_or_b32_e32 v7, 0x10000, v3
	s_delay_alu instid0(VALU_DEP_2) | instskip(NEXT) | instid1(VALU_DEP_1)
	v_cmp_eq_u32_e64 s0, 0, v2
	v_cndmask_b32_e64 v2, v7, v3, s0
; %bb.1509:                             ;   in Loop: Header=BB456_991 Depth=1
	s_or_b32 exec_lo, exec_lo, s9
	v_lshrrev_b32_e32 v6, 16, v6
	v_lshrrev_b32_e32 v7, 16, v117
	;; [unrolled: 1-line block ×8, first 2 shown]
	s_and_saveexec_b32 s9, vcc_lo
	s_cbranch_execz .LBB456_1511
; %bb.1510:                             ;   in Loop: Header=BB456_991 Depth=1
	v_cmp_lt_i32_e64 s0, v54, v35
	s_delay_alu instid0(VALU_DEP_1) | instskip(SKIP_1) | instid1(VALU_DEP_1)
	v_cndmask_b32_e64 v4, 0, v4, s0
	v_cmp_lt_i32_e64 s0, v68, v35
	v_cndmask_b32_e64 v5, 0, v5, s0
	v_cmp_lt_i32_e64 s0, v67, v35
	s_delay_alu instid0(VALU_DEP_1) | instskip(SKIP_1) | instid1(VALU_DEP_1)
	v_cndmask_b32_e64 v23, 0, v23, s0
	v_cmp_lt_i32_e64 s0, v66, v35
	v_cndmask_b32_e64 v9, 0, v9, s0
	;; [unrolled: 5-line block ×4, first 2 shown]
.LBB456_1511:                           ;   in Loop: Header=BB456_991 Depth=1
	s_or_b32 exec_lo, exec_lo, s9
	v_lshlrev_b32_e32 v4, 16, v4
                                        ; implicit-def: $vgpr117
	s_delay_alu instid0(VALU_DEP_1) | instskip(NEXT) | instid1(VALU_DEP_1)
	v_mul_f32_e32 v4, v69, v4
	v_and_b32_e32 v36, 0x7f800000, v4
	s_delay_alu instid0(VALU_DEP_1) | instskip(NEXT) | instid1(VALU_DEP_1)
	v_cmp_ne_u32_e64 s0, 0x7f800000, v36
	s_and_saveexec_b32 s9, s0
	s_delay_alu instid0(SALU_CYCLE_1)
	s_xor_b32 s0, exec_lo, s9
; %bb.1512:                             ;   in Loop: Header=BB456_991 Depth=1
	v_bfe_u32 v36, v4, 16, 1
	s_delay_alu instid0(VALU_DEP_1)
	v_add3_u32 v117, v4, v36, 0x7fff
                                        ; implicit-def: $vgpr4
; %bb.1513:                             ;   in Loop: Header=BB456_991 Depth=1
	s_and_not1_saveexec_b32 s9, s0
; %bb.1514:                             ;   in Loop: Header=BB456_991 Depth=1
	v_and_b32_e32 v36, 0xffff, v4
	v_or_b32_e32 v117, 0x10000, v4
	s_delay_alu instid0(VALU_DEP_2) | instskip(NEXT) | instid1(VALU_DEP_1)
	v_cmp_eq_u32_e64 s0, 0, v36
	v_cndmask_b32_e64 v117, v117, v4, s0
; %bb.1515:                             ;   in Loop: Header=BB456_991 Depth=1
	s_or_b32 exec_lo, exec_lo, s9
	v_lshlrev_b32_e32 v4, 16, v5
                                        ; implicit-def: $vgpr118
	s_delay_alu instid0(VALU_DEP_1) | instskip(NEXT) | instid1(VALU_DEP_1)
	v_mul_f32_e32 v4, v70, v4
	v_and_b32_e32 v5, 0x7f800000, v4
	s_delay_alu instid0(VALU_DEP_1) | instskip(NEXT) | instid1(VALU_DEP_1)
	v_cmp_ne_u32_e64 s0, 0x7f800000, v5
	s_and_saveexec_b32 s9, s0
	s_delay_alu instid0(SALU_CYCLE_1)
	s_xor_b32 s0, exec_lo, s9
; %bb.1516:                             ;   in Loop: Header=BB456_991 Depth=1
	v_bfe_u32 v5, v4, 16, 1
	s_delay_alu instid0(VALU_DEP_1)
	v_add3_u32 v118, v4, v5, 0x7fff
                                        ; implicit-def: $vgpr4
; %bb.1517:                             ;   in Loop: Header=BB456_991 Depth=1
	s_and_not1_saveexec_b32 s9, s0
; %bb.1518:                             ;   in Loop: Header=BB456_991 Depth=1
	v_and_b32_e32 v5, 0xffff, v4
	v_or_b32_e32 v36, 0x10000, v4
	s_delay_alu instid0(VALU_DEP_2) | instskip(NEXT) | instid1(VALU_DEP_1)
	v_cmp_eq_u32_e64 s0, 0, v5
	v_cndmask_b32_e64 v118, v36, v4, s0
; %bb.1519:                             ;   in Loop: Header=BB456_991 Depth=1
	s_or_b32 exec_lo, exec_lo, s9
	v_lshlrev_b32_e32 v4, 16, v23
                                        ; implicit-def: $vgpr119
	s_delay_alu instid0(VALU_DEP_1) | instskip(NEXT) | instid1(VALU_DEP_1)
	v_mul_f32_e32 v4, v71, v4
	v_and_b32_e32 v5, 0x7f800000, v4
	s_delay_alu instid0(VALU_DEP_1) | instskip(NEXT) | instid1(VALU_DEP_1)
	v_cmp_ne_u32_e64 s0, 0x7f800000, v5
	s_and_saveexec_b32 s9, s0
	s_delay_alu instid0(SALU_CYCLE_1)
	s_xor_b32 s0, exec_lo, s9
; %bb.1520:                             ;   in Loop: Header=BB456_991 Depth=1
	v_bfe_u32 v5, v4, 16, 1
	s_delay_alu instid0(VALU_DEP_1)
	v_add3_u32 v119, v4, v5, 0x7fff
                                        ; implicit-def: $vgpr4
; %bb.1521:                             ;   in Loop: Header=BB456_991 Depth=1
	s_and_not1_saveexec_b32 s9, s0
; %bb.1522:                             ;   in Loop: Header=BB456_991 Depth=1
	v_and_b32_e32 v5, 0xffff, v4
	v_or_b32_e32 v23, 0x10000, v4
	s_delay_alu instid0(VALU_DEP_2) | instskip(NEXT) | instid1(VALU_DEP_1)
	v_cmp_eq_u32_e64 s0, 0, v5
	v_cndmask_b32_e64 v119, v23, v4, s0
; %bb.1523:                             ;   in Loop: Header=BB456_991 Depth=1
	s_or_b32 exec_lo, exec_lo, s9
	v_lshlrev_b32_e32 v4, 16, v9
                                        ; implicit-def: $vgpr128
	s_delay_alu instid0(VALU_DEP_1) | instskip(NEXT) | instid1(VALU_DEP_1)
	v_mul_f32_e32 v4, v80, v4
	v_and_b32_e32 v5, 0x7f800000, v4
	s_delay_alu instid0(VALU_DEP_1) | instskip(NEXT) | instid1(VALU_DEP_1)
	v_cmp_ne_u32_e64 s0, 0x7f800000, v5
	s_and_saveexec_b32 s9, s0
	s_delay_alu instid0(SALU_CYCLE_1)
	s_xor_b32 s0, exec_lo, s9
; %bb.1524:                             ;   in Loop: Header=BB456_991 Depth=1
	v_bfe_u32 v5, v4, 16, 1
	s_delay_alu instid0(VALU_DEP_1)
	v_add3_u32 v128, v4, v5, 0x7fff
                                        ; implicit-def: $vgpr4
; %bb.1525:                             ;   in Loop: Header=BB456_991 Depth=1
	s_and_not1_saveexec_b32 s9, s0
; %bb.1526:                             ;   in Loop: Header=BB456_991 Depth=1
	v_and_b32_e32 v5, 0xffff, v4
	v_or_b32_e32 v9, 0x10000, v4
	s_delay_alu instid0(VALU_DEP_2) | instskip(NEXT) | instid1(VALU_DEP_1)
	v_cmp_eq_u32_e64 s0, 0, v5
	v_cndmask_b32_e64 v128, v9, v4, s0
; %bb.1527:                             ;   in Loop: Header=BB456_991 Depth=1
	s_or_b32 exec_lo, exec_lo, s9
	v_lshlrev_b32_e32 v4, 16, v7
                                        ; implicit-def: $vgpr129
	s_delay_alu instid0(VALU_DEP_1) | instskip(NEXT) | instid1(VALU_DEP_1)
	v_mul_f32_e32 v4, v81, v4
	v_and_b32_e32 v5, 0x7f800000, v4
	s_delay_alu instid0(VALU_DEP_1) | instskip(NEXT) | instid1(VALU_DEP_1)
	v_cmp_ne_u32_e64 s0, 0x7f800000, v5
	s_and_saveexec_b32 s9, s0
	s_delay_alu instid0(SALU_CYCLE_1)
	s_xor_b32 s0, exec_lo, s9
; %bb.1528:                             ;   in Loop: Header=BB456_991 Depth=1
	v_bfe_u32 v5, v4, 16, 1
	s_delay_alu instid0(VALU_DEP_1)
	v_add3_u32 v129, v4, v5, 0x7fff
                                        ; implicit-def: $vgpr4
; %bb.1529:                             ;   in Loop: Header=BB456_991 Depth=1
	s_and_not1_saveexec_b32 s9, s0
; %bb.1530:                             ;   in Loop: Header=BB456_991 Depth=1
	v_and_b32_e32 v5, 0xffff, v4
	v_or_b32_e32 v7, 0x10000, v4
	s_delay_alu instid0(VALU_DEP_2) | instskip(NEXT) | instid1(VALU_DEP_1)
	v_cmp_eq_u32_e64 s0, 0, v5
	v_cndmask_b32_e64 v129, v7, v4, s0
; %bb.1531:                             ;   in Loop: Header=BB456_991 Depth=1
	s_or_b32 exec_lo, exec_lo, s9
	v_lshlrev_b32_e32 v4, 16, v6
                                        ; implicit-def: $vgpr130
	s_delay_alu instid0(VALU_DEP_1) | instskip(NEXT) | instid1(VALU_DEP_1)
	v_mul_f32_e32 v4, v82, v4
	v_and_b32_e32 v5, 0x7f800000, v4
	s_delay_alu instid0(VALU_DEP_1) | instskip(NEXT) | instid1(VALU_DEP_1)
	v_cmp_ne_u32_e64 s0, 0x7f800000, v5
	s_and_saveexec_b32 s9, s0
	s_delay_alu instid0(SALU_CYCLE_1)
	s_xor_b32 s0, exec_lo, s9
; %bb.1532:                             ;   in Loop: Header=BB456_991 Depth=1
	v_bfe_u32 v5, v4, 16, 1
	s_delay_alu instid0(VALU_DEP_1)
	v_add3_u32 v130, v4, v5, 0x7fff
                                        ; implicit-def: $vgpr4
; %bb.1533:                             ;   in Loop: Header=BB456_991 Depth=1
	s_and_not1_saveexec_b32 s9, s0
; %bb.1534:                             ;   in Loop: Header=BB456_991 Depth=1
	v_and_b32_e32 v5, 0xffff, v4
	v_or_b32_e32 v6, 0x10000, v4
	s_delay_alu instid0(VALU_DEP_2) | instskip(NEXT) | instid1(VALU_DEP_1)
	v_cmp_eq_u32_e64 s0, 0, v5
	v_cndmask_b32_e64 v130, v6, v4, s0
; %bb.1535:                             ;   in Loop: Header=BB456_991 Depth=1
	s_or_b32 exec_lo, exec_lo, s9
	v_lshlrev_b32_e32 v3, 16, v3
                                        ; implicit-def: $vgpr131
	s_delay_alu instid0(VALU_DEP_1) | instskip(NEXT) | instid1(VALU_DEP_1)
	v_mul_f32_e32 v3, v83, v3
	v_and_b32_e32 v4, 0x7f800000, v3
	s_delay_alu instid0(VALU_DEP_1) | instskip(NEXT) | instid1(VALU_DEP_1)
	v_cmp_ne_u32_e64 s0, 0x7f800000, v4
	s_and_saveexec_b32 s9, s0
	s_delay_alu instid0(SALU_CYCLE_1)
	s_xor_b32 s0, exec_lo, s9
; %bb.1536:                             ;   in Loop: Header=BB456_991 Depth=1
	v_bfe_u32 v4, v3, 16, 1
	s_delay_alu instid0(VALU_DEP_1)
	v_add3_u32 v131, v3, v4, 0x7fff
                                        ; implicit-def: $vgpr3
; %bb.1537:                             ;   in Loop: Header=BB456_991 Depth=1
	s_and_not1_saveexec_b32 s9, s0
; %bb.1538:                             ;   in Loop: Header=BB456_991 Depth=1
	v_and_b32_e32 v4, 0xffff, v3
	v_or_b32_e32 v5, 0x10000, v3
	s_delay_alu instid0(VALU_DEP_2) | instskip(NEXT) | instid1(VALU_DEP_1)
	v_cmp_eq_u32_e64 s0, 0, v4
	v_cndmask_b32_e64 v131, v5, v3, s0
; %bb.1539:                             ;   in Loop: Header=BB456_991 Depth=1
	s_or_b32 exec_lo, exec_lo, s9
	v_lshlrev_b32_e32 v2, 16, v2
                                        ; implicit-def: $vgpr132
	s_delay_alu instid0(VALU_DEP_1) | instskip(NEXT) | instid1(VALU_DEP_1)
	v_mul_f32_e32 v2, v84, v2
	v_and_b32_e32 v3, 0x7f800000, v2
	s_delay_alu instid0(VALU_DEP_1) | instskip(NEXT) | instid1(VALU_DEP_1)
	v_cmp_ne_u32_e64 s0, 0x7f800000, v3
	s_and_saveexec_b32 s9, s0
	s_delay_alu instid0(SALU_CYCLE_1)
	s_xor_b32 s0, exec_lo, s9
; %bb.1540:                             ;   in Loop: Header=BB456_991 Depth=1
	v_bfe_u32 v3, v2, 16, 1
	s_delay_alu instid0(VALU_DEP_1)
	v_add3_u32 v132, v2, v3, 0x7fff
                                        ; implicit-def: $vgpr2
; %bb.1541:                             ;   in Loop: Header=BB456_991 Depth=1
	s_and_not1_saveexec_b32 s9, s0
; %bb.1542:                             ;   in Loop: Header=BB456_991 Depth=1
	v_and_b32_e32 v3, 0xffff, v2
	v_or_b32_e32 v4, 0x10000, v2
	s_delay_alu instid0(VALU_DEP_2) | instskip(NEXT) | instid1(VALU_DEP_1)
	v_cmp_eq_u32_e64 s0, 0, v3
	v_cndmask_b32_e64 v132, v4, v2, s0
; %bb.1543:                             ;   in Loop: Header=BB456_991 Depth=1
	s_or_b32 exec_lo, exec_lo, s9
	flat_load_b64 v[2:3], v[0:1] offset:1024
	s_mov_b32 s9, exec_lo
	s_waitcnt vmcnt(0) lgkmcnt(0)
	v_dual_mov_b32 v4, 0 :: v_dual_and_b32 v5, 0xff, v2
	s_delay_alu instid0(VALU_DEP_1)
	v_cmpx_ne_u16_e32 0, v5
	s_cbranch_execz .LBB456_1551
; %bb.1544:                             ;   in Loop: Header=BB456_991 Depth=1
	v_bfrev_b32_e32 v4, 1
	s_mov_b32 s12, exec_lo
	v_cmpx_ne_u16_e32 0x80, v5
	s_cbranch_execz .LBB456_1550
; %bb.1545:                             ;   in Loop: Header=BB456_991 Depth=1
	v_and_b32_e32 v5, 0x7f, v2
	v_mov_b32_e32 v4, 0x7f800001
	s_mov_b32 s13, exec_lo
	s_delay_alu instid0(VALU_DEP_2)
	v_cmpx_ne_u32_e32 0x7f, v5
	s_cbranch_execz .LBB456_1549
; %bb.1546:                             ;   in Loop: Header=BB456_991 Depth=1
	v_lshrrev_b32_e32 v4, 3, v5
	v_dual_mov_b32 v7, v3 :: v_dual_mov_b32 v6, v2
	s_mov_b32 s15, exec_lo
	v_cmpx_gt_u32_e32 8, v5
; %bb.1547:                             ;   in Loop: Header=BB456_991 Depth=1
	v_and_b32_e32 v4, 7, v2
	s_delay_alu instid0(VALU_DEP_1) | instskip(NEXT) | instid1(VALU_DEP_1)
	v_clz_i32_u32_e32 v4, v4
	v_min_u32_e32 v4, 32, v4
	s_delay_alu instid0(VALU_DEP_1) | instskip(SKIP_1) | instid1(VALU_DEP_2)
	v_subrev_nc_u32_e32 v5, 28, v4
	v_sub_nc_u32_e32 v4, 29, v4
	v_lshlrev_b64 v[6:7], v5, v[2:3]
; %bb.1548:                             ;   in Loop: Header=BB456_991 Depth=1
	s_or_b32 exec_lo, exec_lo, s15
	s_delay_alu instid0(VALU_DEP_1) | instskip(SKIP_2) | instid1(VALU_DEP_3)
	v_lshlrev_b32_e32 v5, 20, v6
	v_lshlrev_b32_e32 v6, 24, v2
	v_lshl_add_u32 v4, v4, 23, 0x3c000000
	v_and_b32_e32 v5, 0x700000, v5
	s_delay_alu instid0(VALU_DEP_3) | instskip(NEXT) | instid1(VALU_DEP_1)
	v_and_b32_e32 v6, 0x80000000, v6
	v_or3_b32 v4, v5, v6, v4
.LBB456_1549:                           ;   in Loop: Header=BB456_991 Depth=1
	s_or_b32 exec_lo, exec_lo, s13
.LBB456_1550:                           ;   in Loop: Header=BB456_991 Depth=1
	s_delay_alu instid0(SALU_CYCLE_1)
	s_or_b32 exec_lo, exec_lo, s12
.LBB456_1551:                           ;   in Loop: Header=BB456_991 Depth=1
	s_delay_alu instid0(SALU_CYCLE_1) | instskip(NEXT) | instid1(VALU_DEP_1)
	s_or_b32 exec_lo, exec_lo, s9
	v_mul_f32_e32 v5, v26, v4
	s_delay_alu instid0(VALU_DEP_1) | instskip(NEXT) | instid1(VALU_DEP_1)
	v_and_b32_e32 v4, 0x7f800000, v5
	v_cmp_ne_u32_e64 s0, 0x7f800000, v4
                                        ; implicit-def: $vgpr4
	s_delay_alu instid0(VALU_DEP_1) | instskip(NEXT) | instid1(SALU_CYCLE_1)
	s_and_saveexec_b32 s9, s0
	s_xor_b32 s0, exec_lo, s9
; %bb.1552:                             ;   in Loop: Header=BB456_991 Depth=1
	v_bfe_u32 v4, v5, 16, 1
	s_delay_alu instid0(VALU_DEP_1)
	v_add3_u32 v4, v5, v4, 0x7fff
                                        ; implicit-def: $vgpr5
; %bb.1553:                             ;   in Loop: Header=BB456_991 Depth=1
	s_and_not1_saveexec_b32 s9, s0
; %bb.1554:                             ;   in Loop: Header=BB456_991 Depth=1
	v_and_b32_e32 v4, 0xffff, v5
	v_or_b32_e32 v6, 0x10000, v5
	s_delay_alu instid0(VALU_DEP_2) | instskip(NEXT) | instid1(VALU_DEP_1)
	v_cmp_eq_u32_e64 s0, 0, v4
	v_cndmask_b32_e64 v4, v6, v5, s0
; %bb.1555:                             ;   in Loop: Header=BB456_991 Depth=1
	s_or_b32 exec_lo, exec_lo, s9
	v_lshrrev_b16 v6, 8, v2
	v_mov_b32_e32 v5, 0
	s_mov_b32 s9, exec_lo
	s_delay_alu instid0(VALU_DEP_2)
	v_cmpx_ne_u16_e32 0, v6
	s_cbranch_execz .LBB456_1563
; %bb.1556:                             ;   in Loop: Header=BB456_991 Depth=1
	v_bfrev_b32_e32 v5, 1
	s_mov_b32 s12, exec_lo
	v_cmpx_ne_u16_e32 0x80, v6
	s_cbranch_execz .LBB456_1562
; %bb.1557:                             ;   in Loop: Header=BB456_991 Depth=1
	v_and_b32_e32 v7, 0xffff, v6
	v_mov_b32_e32 v5, 0x7f800001
	s_mov_b32 s13, exec_lo
	s_delay_alu instid0(VALU_DEP_2) | instskip(NEXT) | instid1(VALU_DEP_1)
	v_and_b32_e32 v6, 0x7f, v7
	v_cmpx_ne_u32_e32 0x7f, v6
	s_cbranch_execz .LBB456_1561
; %bb.1558:                             ;   in Loop: Header=BB456_991 Depth=1
	v_and_b32_e32 v9, 7, v7
	v_lshrrev_b32_e32 v5, 3, v6
	s_mov_b32 s15, exec_lo
	v_cmpx_gt_u32_e32 8, v6
; %bb.1559:                             ;   in Loop: Header=BB456_991 Depth=1
	s_delay_alu instid0(VALU_DEP_3) | instskip(NEXT) | instid1(VALU_DEP_1)
	v_clz_i32_u32_e32 v5, v9
	v_min_u32_e32 v5, 32, v5
	s_delay_alu instid0(VALU_DEP_1) | instskip(SKIP_1) | instid1(VALU_DEP_2)
	v_subrev_nc_u32_e32 v6, 28, v5
	v_sub_nc_u32_e32 v5, 29, v5
	v_lshlrev_b64 v[6:7], v6, v[9:10]
	s_delay_alu instid0(VALU_DEP_1)
	v_and_b32_e32 v9, 7, v6
; %bb.1560:                             ;   in Loop: Header=BB456_991 Depth=1
	s_or_b32 exec_lo, exec_lo, s15
	v_lshlrev_b32_e32 v6, 16, v2
	s_delay_alu instid0(VALU_DEP_2) | instskip(SKIP_1) | instid1(VALU_DEP_3)
	v_lshlrev_b32_e32 v7, 20, v9
	v_lshl_add_u32 v5, v5, 23, 0x3c000000
	v_and_b32_e32 v6, 0x80000000, v6
	s_delay_alu instid0(VALU_DEP_1)
	v_or3_b32 v5, v7, v6, v5
.LBB456_1561:                           ;   in Loop: Header=BB456_991 Depth=1
	s_or_b32 exec_lo, exec_lo, s13
.LBB456_1562:                           ;   in Loop: Header=BB456_991 Depth=1
	s_delay_alu instid0(SALU_CYCLE_1)
	s_or_b32 exec_lo, exec_lo, s12
.LBB456_1563:                           ;   in Loop: Header=BB456_991 Depth=1
	s_delay_alu instid0(SALU_CYCLE_1) | instskip(NEXT) | instid1(VALU_DEP_1)
	s_or_b32 exec_lo, exec_lo, s9
	v_mul_f32_e32 v6, v26, v5
	s_delay_alu instid0(VALU_DEP_1) | instskip(NEXT) | instid1(VALU_DEP_1)
	v_and_b32_e32 v5, 0x7f800000, v6
	v_cmp_ne_u32_e64 s0, 0x7f800000, v5
                                        ; implicit-def: $vgpr5
	s_delay_alu instid0(VALU_DEP_1) | instskip(NEXT) | instid1(SALU_CYCLE_1)
	s_and_saveexec_b32 s9, s0
	s_xor_b32 s0, exec_lo, s9
; %bb.1564:                             ;   in Loop: Header=BB456_991 Depth=1
	v_bfe_u32 v5, v6, 16, 1
	s_delay_alu instid0(VALU_DEP_1)
	v_add3_u32 v5, v6, v5, 0x7fff
                                        ; implicit-def: $vgpr6
; %bb.1565:                             ;   in Loop: Header=BB456_991 Depth=1
	s_and_not1_saveexec_b32 s9, s0
; %bb.1566:                             ;   in Loop: Header=BB456_991 Depth=1
	v_and_b32_e32 v5, 0xffff, v6
	v_or_b32_e32 v7, 0x10000, v6
	s_delay_alu instid0(VALU_DEP_2) | instskip(NEXT) | instid1(VALU_DEP_1)
	v_cmp_eq_u32_e64 s0, 0, v5
	v_cndmask_b32_e64 v5, v7, v6, s0
; %bb.1567:                             ;   in Loop: Header=BB456_991 Depth=1
	s_or_b32 exec_lo, exec_lo, s9
	v_lshrrev_b32_e32 v6, 16, v2
	v_mov_b32_e32 v7, 0
	s_mov_b32 s9, exec_lo
	s_delay_alu instid0(VALU_DEP_2) | instskip(NEXT) | instid1(VALU_DEP_1)
	v_and_b32_e32 v9, 0xff, v6
	v_cmpx_ne_u16_e32 0, v9
	s_cbranch_execz .LBB456_1575
; %bb.1568:                             ;   in Loop: Header=BB456_991 Depth=1
	v_bfrev_b32_e32 v7, 1
	s_mov_b32 s12, exec_lo
	v_cmpx_ne_u16_e32 0x80, v9
	s_cbranch_execz .LBB456_1574
; %bb.1569:                             ;   in Loop: Header=BB456_991 Depth=1
	v_bfe_u32 v23, v2, 16, 7
	v_mov_b32_e32 v7, 0x7f800001
	s_mov_b32 s13, exec_lo
	s_delay_alu instid0(VALU_DEP_2)
	v_cmpx_ne_u32_e32 0x7f, v23
	s_cbranch_execz .LBB456_1573
; %bb.1570:                             ;   in Loop: Header=BB456_991 Depth=1
	v_and_b32_e32 v9, 7, v6
	v_lshrrev_b32_e32 v7, 3, v23
	s_mov_b32 s15, exec_lo
	v_cmpx_gt_u32_e32 8, v23
; %bb.1571:                             ;   in Loop: Header=BB456_991 Depth=1
	s_delay_alu instid0(VALU_DEP_3) | instskip(NEXT) | instid1(VALU_DEP_1)
	v_clz_i32_u32_e32 v7, v9
	v_min_u32_e32 v7, 32, v7
	s_delay_alu instid0(VALU_DEP_1) | instskip(SKIP_1) | instid1(VALU_DEP_2)
	v_subrev_nc_u32_e32 v23, 28, v7
	v_sub_nc_u32_e32 v7, 29, v7
	v_lshlrev_b64 v[133:134], v23, v[9:10]
	s_delay_alu instid0(VALU_DEP_1)
	v_and_b32_e32 v9, 7, v133
; %bb.1572:                             ;   in Loop: Header=BB456_991 Depth=1
	s_or_b32 exec_lo, exec_lo, s15
	v_lshlrev_b32_e32 v6, 24, v6
	s_delay_alu instid0(VALU_DEP_2) | instskip(SKIP_1) | instid1(VALU_DEP_3)
	v_lshlrev_b32_e32 v9, 20, v9
	v_lshl_add_u32 v7, v7, 23, 0x3c000000
	v_and_b32_e32 v6, 0x80000000, v6
	s_delay_alu instid0(VALU_DEP_1)
	v_or3_b32 v7, v9, v6, v7
.LBB456_1573:                           ;   in Loop: Header=BB456_991 Depth=1
	s_or_b32 exec_lo, exec_lo, s13
.LBB456_1574:                           ;   in Loop: Header=BB456_991 Depth=1
	s_delay_alu instid0(SALU_CYCLE_1)
	s_or_b32 exec_lo, exec_lo, s12
.LBB456_1575:                           ;   in Loop: Header=BB456_991 Depth=1
	s_delay_alu instid0(SALU_CYCLE_1) | instskip(NEXT) | instid1(VALU_DEP_1)
	s_or_b32 exec_lo, exec_lo, s9
	v_mul_f32_e32 v6, v26, v7
                                        ; implicit-def: $vgpr23
	s_delay_alu instid0(VALU_DEP_1) | instskip(NEXT) | instid1(VALU_DEP_1)
	v_and_b32_e32 v7, 0x7f800000, v6
	v_cmp_ne_u32_e64 s0, 0x7f800000, v7
	s_delay_alu instid0(VALU_DEP_1) | instskip(NEXT) | instid1(SALU_CYCLE_1)
	s_and_saveexec_b32 s9, s0
	s_xor_b32 s0, exec_lo, s9
; %bb.1576:                             ;   in Loop: Header=BB456_991 Depth=1
	v_bfe_u32 v7, v6, 16, 1
	s_delay_alu instid0(VALU_DEP_1)
	v_add3_u32 v23, v6, v7, 0x7fff
                                        ; implicit-def: $vgpr6
; %bb.1577:                             ;   in Loop: Header=BB456_991 Depth=1
	s_and_not1_saveexec_b32 s9, s0
; %bb.1578:                             ;   in Loop: Header=BB456_991 Depth=1
	v_and_b32_e32 v7, 0xffff, v6
	v_or_b32_e32 v9, 0x10000, v6
	s_delay_alu instid0(VALU_DEP_2) | instskip(NEXT) | instid1(VALU_DEP_1)
	v_cmp_eq_u32_e64 s0, 0, v7
	v_cndmask_b32_e64 v23, v9, v6, s0
; %bb.1579:                             ;   in Loop: Header=BB456_991 Depth=1
	s_or_b32 exec_lo, exec_lo, s9
	v_mov_b32_e32 v7, 0
	s_mov_b32 s9, exec_lo
	v_cmpx_lt_u32_e32 0xffffff, v2
	s_cbranch_execz .LBB456_1587
; %bb.1580:                             ;   in Loop: Header=BB456_991 Depth=1
	v_lshrrev_b32_e32 v6, 24, v2
	v_bfrev_b32_e32 v7, 1
	s_mov_b32 s12, exec_lo
	s_delay_alu instid0(VALU_DEP_2)
	v_cmpx_ne_u32_e32 0x80, v6
	s_cbranch_execz .LBB456_1586
; %bb.1581:                             ;   in Loop: Header=BB456_991 Depth=1
	v_bfe_u32 v36, v2, 24, 7
	v_mov_b32_e32 v7, 0x7f800001
	s_mov_b32 s13, exec_lo
	s_delay_alu instid0(VALU_DEP_2)
	v_cmpx_ne_u32_e32 0x7f, v36
	s_cbranch_execz .LBB456_1585
; %bb.1582:                             ;   in Loop: Header=BB456_991 Depth=1
	v_and_b32_e32 v9, 7, v6
	v_lshrrev_b32_e32 v7, 3, v36
	s_mov_b32 s15, exec_lo
	v_cmpx_gt_u32_e32 8, v36
; %bb.1583:                             ;   in Loop: Header=BB456_991 Depth=1
	s_delay_alu instid0(VALU_DEP_3) | instskip(NEXT) | instid1(VALU_DEP_1)
	v_clz_i32_u32_e32 v7, v9
	v_min_u32_e32 v7, 32, v7
	s_delay_alu instid0(VALU_DEP_1) | instskip(SKIP_1) | instid1(VALU_DEP_2)
	v_subrev_nc_u32_e32 v36, 28, v7
	v_sub_nc_u32_e32 v7, 29, v7
	v_lshlrev_b64 v[133:134], v36, v[9:10]
	s_delay_alu instid0(VALU_DEP_1)
	v_and_b32_e32 v9, 7, v133
; %bb.1584:                             ;   in Loop: Header=BB456_991 Depth=1
	s_or_b32 exec_lo, exec_lo, s15
	v_lshlrev_b32_e32 v6, 24, v6
	s_delay_alu instid0(VALU_DEP_2) | instskip(SKIP_1) | instid1(VALU_DEP_3)
	v_lshlrev_b32_e32 v9, 20, v9
	v_lshl_add_u32 v7, v7, 23, 0x3c000000
	v_and_b32_e32 v6, 0x80000000, v6
	s_delay_alu instid0(VALU_DEP_1)
	v_or3_b32 v7, v9, v6, v7
.LBB456_1585:                           ;   in Loop: Header=BB456_991 Depth=1
	s_or_b32 exec_lo, exec_lo, s13
.LBB456_1586:                           ;   in Loop: Header=BB456_991 Depth=1
	s_delay_alu instid0(SALU_CYCLE_1)
	s_or_b32 exec_lo, exec_lo, s12
.LBB456_1587:                           ;   in Loop: Header=BB456_991 Depth=1
	s_delay_alu instid0(SALU_CYCLE_1) | instskip(NEXT) | instid1(VALU_DEP_1)
	s_or_b32 exec_lo, exec_lo, s9
	v_mul_f32_e32 v6, v26, v7
                                        ; implicit-def: $vgpr36
	s_delay_alu instid0(VALU_DEP_1) | instskip(NEXT) | instid1(VALU_DEP_1)
	v_and_b32_e32 v7, 0x7f800000, v6
	v_cmp_ne_u32_e64 s0, 0x7f800000, v7
	s_delay_alu instid0(VALU_DEP_1) | instskip(NEXT) | instid1(SALU_CYCLE_1)
	s_and_saveexec_b32 s9, s0
	s_xor_b32 s0, exec_lo, s9
; %bb.1588:                             ;   in Loop: Header=BB456_991 Depth=1
	v_bfe_u32 v7, v6, 16, 1
	s_delay_alu instid0(VALU_DEP_1)
	v_add3_u32 v36, v6, v7, 0x7fff
                                        ; implicit-def: $vgpr6
; %bb.1589:                             ;   in Loop: Header=BB456_991 Depth=1
	s_and_not1_saveexec_b32 s9, s0
; %bb.1590:                             ;   in Loop: Header=BB456_991 Depth=1
	v_and_b32_e32 v7, 0xffff, v6
	v_or_b32_e32 v9, 0x10000, v6
	s_delay_alu instid0(VALU_DEP_2) | instskip(NEXT) | instid1(VALU_DEP_1)
	v_cmp_eq_u32_e64 s0, 0, v7
	v_cndmask_b32_e64 v36, v9, v6, s0
; %bb.1591:                             ;   in Loop: Header=BB456_991 Depth=1
	s_or_b32 exec_lo, exec_lo, s9
	v_dual_mov_b32 v6, 0 :: v_dual_and_b32 v7, 0xff, v3
	v_mov_b32_e32 v9, v3
	s_mov_b32 s9, exec_lo
	s_delay_alu instid0(VALU_DEP_2)
	v_cmpx_ne_u16_e32 0, v7
	s_cbranch_execz .LBB456_1599
; %bb.1592:                             ;   in Loop: Header=BB456_991 Depth=1
	v_bfrev_b32_e32 v6, 1
	s_mov_b32 s12, exec_lo
	v_cmpx_ne_u16_e32 0x80, v7
	s_cbranch_execz .LBB456_1598
; %bb.1593:                             ;   in Loop: Header=BB456_991 Depth=1
	v_and_b32_e32 v7, 0x7f, v3
	v_mov_b32_e32 v6, 0x7f800001
	s_mov_b32 s13, exec_lo
	s_delay_alu instid0(VALU_DEP_2)
	v_cmpx_ne_u32_e32 0x7f, v7
	s_cbranch_execz .LBB456_1597
; %bb.1594:                             ;   in Loop: Header=BB456_991 Depth=1
	v_lshrrev_b32_e32 v133, 3, v7
	v_cmp_gt_u32_e64 s0, 8, v7
	v_dual_mov_b32 v6, v9 :: v_dual_mov_b32 v7, v10
	s_delay_alu instid0(VALU_DEP_2)
	s_and_saveexec_b32 s15, s0
; %bb.1595:                             ;   in Loop: Header=BB456_991 Depth=1
	v_and_b32_e32 v6, 7, v3
	s_delay_alu instid0(VALU_DEP_1) | instskip(NEXT) | instid1(VALU_DEP_1)
	v_clz_i32_u32_e32 v6, v6
	v_min_u32_e32 v133, 32, v6
	s_delay_alu instid0(VALU_DEP_1) | instskip(SKIP_1) | instid1(VALU_DEP_2)
	v_subrev_nc_u32_e32 v6, 28, v133
	v_sub_nc_u32_e32 v133, 29, v133
	v_lshlrev_b64 v[6:7], v6, v[9:10]
; %bb.1596:                             ;   in Loop: Header=BB456_991 Depth=1
	s_or_b32 exec_lo, exec_lo, s15
	s_delay_alu instid0(VALU_DEP_1) | instskip(SKIP_2) | instid1(VALU_DEP_3)
	v_lshlrev_b32_e32 v6, 20, v6
	v_lshlrev_b32_e32 v7, 24, v9
	v_lshl_add_u32 v133, v133, 23, 0x3c000000
	v_and_b32_e32 v6, 0x700000, v6
	s_delay_alu instid0(VALU_DEP_3) | instskip(NEXT) | instid1(VALU_DEP_1)
	v_and_b32_e32 v7, 0x80000000, v7
	v_or3_b32 v6, v6, v7, v133
.LBB456_1597:                           ;   in Loop: Header=BB456_991 Depth=1
	s_or_b32 exec_lo, exec_lo, s13
.LBB456_1598:                           ;   in Loop: Header=BB456_991 Depth=1
	s_delay_alu instid0(SALU_CYCLE_1)
	s_or_b32 exec_lo, exec_lo, s12
.LBB456_1599:                           ;   in Loop: Header=BB456_991 Depth=1
	s_delay_alu instid0(SALU_CYCLE_1) | instskip(NEXT) | instid1(VALU_DEP_1)
	s_or_b32 exec_lo, exec_lo, s9
	v_mul_f32_e32 v6, v26, v6
                                        ; implicit-def: $vgpr133
	s_delay_alu instid0(VALU_DEP_1) | instskip(NEXT) | instid1(VALU_DEP_1)
	v_and_b32_e32 v7, 0x7f800000, v6
	v_cmp_ne_u32_e64 s0, 0x7f800000, v7
	s_delay_alu instid0(VALU_DEP_1) | instskip(NEXT) | instid1(SALU_CYCLE_1)
	s_and_saveexec_b32 s9, s0
	s_xor_b32 s0, exec_lo, s9
; %bb.1600:                             ;   in Loop: Header=BB456_991 Depth=1
	v_bfe_u32 v7, v6, 16, 1
	s_delay_alu instid0(VALU_DEP_1)
	v_add3_u32 v133, v6, v7, 0x7fff
                                        ; implicit-def: $vgpr6
; %bb.1601:                             ;   in Loop: Header=BB456_991 Depth=1
	s_and_not1_saveexec_b32 s9, s0
; %bb.1602:                             ;   in Loop: Header=BB456_991 Depth=1
	v_and_b32_e32 v7, 0xffff, v6
	v_or_b32_e32 v133, 0x10000, v6
	s_delay_alu instid0(VALU_DEP_2) | instskip(NEXT) | instid1(VALU_DEP_1)
	v_cmp_eq_u32_e64 s0, 0, v7
	v_cndmask_b32_e64 v133, v133, v6, s0
; %bb.1603:                             ;   in Loop: Header=BB456_991 Depth=1
	s_or_b32 exec_lo, exec_lo, s9
	v_lshrrev_b16 v7, 8, v9
	v_mov_b32_e32 v6, 0
	s_mov_b32 s9, exec_lo
	s_delay_alu instid0(VALU_DEP_2)
	v_cmpx_ne_u16_e32 0, v7
	s_cbranch_execz .LBB456_1611
; %bb.1604:                             ;   in Loop: Header=BB456_991 Depth=1
	v_bfrev_b32_e32 v6, 1
	s_mov_b32 s12, exec_lo
	v_cmpx_ne_u16_e32 0x80, v7
	s_cbranch_execz .LBB456_1610
; %bb.1605:                             ;   in Loop: Header=BB456_991 Depth=1
	v_and_b32_e32 v7, 0xffff, v7
	v_mov_b32_e32 v6, 0x7f800001
	s_mov_b32 s13, exec_lo
	s_delay_alu instid0(VALU_DEP_2) | instskip(NEXT) | instid1(VALU_DEP_1)
	v_and_b32_e32 v135, 0x7f, v7
	v_cmpx_ne_u32_e32 0x7f, v135
	s_cbranch_execz .LBB456_1609
; %bb.1606:                             ;   in Loop: Header=BB456_991 Depth=1
	v_dual_mov_b32 v7, v10 :: v_dual_and_b32 v6, 7, v7
	v_lshrrev_b32_e32 v134, 3, v135
	s_mov_b32 s15, exec_lo
	v_cmpx_gt_u32_e32 8, v135
; %bb.1607:                             ;   in Loop: Header=BB456_991 Depth=1
	s_delay_alu instid0(VALU_DEP_3) | instskip(NEXT) | instid1(VALU_DEP_1)
	v_clz_i32_u32_e32 v134, v6
	v_min_u32_e32 v134, 32, v134
	s_delay_alu instid0(VALU_DEP_1) | instskip(SKIP_1) | instid1(VALU_DEP_2)
	v_subrev_nc_u32_e32 v135, 28, v134
	v_sub_nc_u32_e32 v134, 29, v134
	v_lshlrev_b64 v[6:7], v135, v[6:7]
	s_delay_alu instid0(VALU_DEP_1)
	v_and_b32_e32 v6, 7, v6
; %bb.1608:                             ;   in Loop: Header=BB456_991 Depth=1
	s_or_b32 exec_lo, exec_lo, s15
	v_lshlrev_b32_e32 v7, 16, v9
	s_delay_alu instid0(VALU_DEP_2) | instskip(SKIP_1) | instid1(VALU_DEP_3)
	v_lshlrev_b32_e32 v6, 20, v6
	v_lshl_add_u32 v9, v134, 23, 0x3c000000
	v_and_b32_e32 v7, 0x80000000, v7
	s_delay_alu instid0(VALU_DEP_1)
	v_or3_b32 v6, v6, v7, v9
.LBB456_1609:                           ;   in Loop: Header=BB456_991 Depth=1
	s_or_b32 exec_lo, exec_lo, s13
.LBB456_1610:                           ;   in Loop: Header=BB456_991 Depth=1
	s_delay_alu instid0(SALU_CYCLE_1)
	s_or_b32 exec_lo, exec_lo, s12
.LBB456_1611:                           ;   in Loop: Header=BB456_991 Depth=1
	s_delay_alu instid0(SALU_CYCLE_1) | instskip(NEXT) | instid1(VALU_DEP_1)
	s_or_b32 exec_lo, exec_lo, s9
	v_mul_f32_e32 v7, v26, v6
	s_delay_alu instid0(VALU_DEP_1) | instskip(NEXT) | instid1(VALU_DEP_1)
	v_and_b32_e32 v6, 0x7f800000, v7
	v_cmp_ne_u32_e64 s0, 0x7f800000, v6
                                        ; implicit-def: $vgpr6
	s_delay_alu instid0(VALU_DEP_1) | instskip(NEXT) | instid1(SALU_CYCLE_1)
	s_and_saveexec_b32 s9, s0
	s_xor_b32 s0, exec_lo, s9
; %bb.1612:                             ;   in Loop: Header=BB456_991 Depth=1
	v_bfe_u32 v6, v7, 16, 1
	s_delay_alu instid0(VALU_DEP_1)
	v_add3_u32 v6, v7, v6, 0x7fff
                                        ; implicit-def: $vgpr7
; %bb.1613:                             ;   in Loop: Header=BB456_991 Depth=1
	s_and_not1_saveexec_b32 s9, s0
; %bb.1614:                             ;   in Loop: Header=BB456_991 Depth=1
	v_and_b32_e32 v6, 0xffff, v7
	v_or_b32_e32 v9, 0x10000, v7
	s_delay_alu instid0(VALU_DEP_2) | instskip(NEXT) | instid1(VALU_DEP_1)
	v_cmp_eq_u32_e64 s0, 0, v6
	v_cndmask_b32_e64 v6, v9, v7, s0
; %bb.1615:                             ;   in Loop: Header=BB456_991 Depth=1
	s_or_b32 exec_lo, exec_lo, s9
	v_lshrrev_b32_e32 v7, 16, v3
	s_mov_b32 s9, exec_lo
	s_delay_alu instid0(VALU_DEP_1) | instskip(NEXT) | instid1(VALU_DEP_1)
	v_dual_mov_b32 v9, 0 :: v_dual_and_b32 v134, 0xff, v7
	v_cmpx_ne_u16_e64 0, v134
	s_cbranch_execz .LBB456_1623
; %bb.1616:                             ;   in Loop: Header=BB456_991 Depth=1
	v_bfrev_b32_e32 v9, 1
	s_mov_b32 s12, exec_lo
	v_cmpx_ne_u16_e64 0x80, v134
	s_cbranch_execz .LBB456_1622
; %bb.1617:                             ;   in Loop: Header=BB456_991 Depth=1
	v_bfe_u32 v135, v3, 16, 7
	v_mov_b32_e32 v9, 0x7f800001
	s_mov_b32 s13, exec_lo
	s_delay_alu instid0(VALU_DEP_2)
	v_cmpx_ne_u32_e32 0x7f, v135
	s_cbranch_execz .LBB456_1621
; %bb.1618:                             ;   in Loop: Header=BB456_991 Depth=1
	v_and_b32_e32 v9, 7, v7
	v_lshrrev_b32_e32 v134, 3, v135
	s_mov_b32 s15, exec_lo
	v_cmpx_gt_u32_e32 8, v135
; %bb.1619:                             ;   in Loop: Header=BB456_991 Depth=1
	s_delay_alu instid0(VALU_DEP_3) | instskip(NEXT) | instid1(VALU_DEP_1)
	v_clz_i32_u32_e32 v134, v9
	v_min_u32_e32 v134, 32, v134
	s_delay_alu instid0(VALU_DEP_1) | instskip(SKIP_1) | instid1(VALU_DEP_2)
	v_subrev_nc_u32_e32 v135, 28, v134
	v_sub_nc_u32_e32 v134, 29, v134
	v_lshlrev_b64 v[144:145], v135, v[9:10]
	s_delay_alu instid0(VALU_DEP_1)
	v_and_b32_e32 v9, 7, v144
; %bb.1620:                             ;   in Loop: Header=BB456_991 Depth=1
	s_or_b32 exec_lo, exec_lo, s15
	v_lshlrev_b32_e32 v7, 24, v7
	s_delay_alu instid0(VALU_DEP_2) | instskip(SKIP_1) | instid1(VALU_DEP_3)
	v_lshlrev_b32_e32 v9, 20, v9
	v_lshl_add_u32 v134, v134, 23, 0x3c000000
	v_and_b32_e32 v7, 0x80000000, v7
	s_delay_alu instid0(VALU_DEP_1)
	v_or3_b32 v9, v9, v7, v134
.LBB456_1621:                           ;   in Loop: Header=BB456_991 Depth=1
	s_or_b32 exec_lo, exec_lo, s13
.LBB456_1622:                           ;   in Loop: Header=BB456_991 Depth=1
	s_delay_alu instid0(SALU_CYCLE_1)
	s_or_b32 exec_lo, exec_lo, s12
.LBB456_1623:                           ;   in Loop: Header=BB456_991 Depth=1
	s_delay_alu instid0(SALU_CYCLE_1) | instskip(NEXT) | instid1(VALU_DEP_1)
	s_or_b32 exec_lo, exec_lo, s9
	v_mul_f32_e32 v7, v26, v9
                                        ; implicit-def: $vgpr134
	s_delay_alu instid0(VALU_DEP_1) | instskip(NEXT) | instid1(VALU_DEP_1)
	v_and_b32_e32 v9, 0x7f800000, v7
	v_cmp_ne_u32_e64 s0, 0x7f800000, v9
	s_delay_alu instid0(VALU_DEP_1) | instskip(NEXT) | instid1(SALU_CYCLE_1)
	s_and_saveexec_b32 s9, s0
	s_xor_b32 s0, exec_lo, s9
; %bb.1624:                             ;   in Loop: Header=BB456_991 Depth=1
	v_bfe_u32 v9, v7, 16, 1
	s_delay_alu instid0(VALU_DEP_1)
	v_add3_u32 v134, v7, v9, 0x7fff
                                        ; implicit-def: $vgpr7
; %bb.1625:                             ;   in Loop: Header=BB456_991 Depth=1
	s_and_not1_saveexec_b32 s9, s0
; %bb.1626:                             ;   in Loop: Header=BB456_991 Depth=1
	v_and_b32_e32 v9, 0xffff, v7
	v_or_b32_e32 v134, 0x10000, v7
	s_delay_alu instid0(VALU_DEP_2) | instskip(NEXT) | instid1(VALU_DEP_1)
	v_cmp_eq_u32_e64 s0, 0, v9
	v_cndmask_b32_e64 v134, v134, v7, s0
; %bb.1627:                             ;   in Loop: Header=BB456_991 Depth=1
	s_or_b32 exec_lo, exec_lo, s9
	v_mov_b32_e32 v7, 0
	s_mov_b32 s9, exec_lo
	v_cmpx_lt_u64_e64 s[2:3], v[2:3]
	s_cbranch_execz .LBB456_1635
; %bb.1628:                             ;   in Loop: Header=BB456_991 Depth=1
	v_lshrrev_b32_e32 v2, 24, v3
	v_bfrev_b32_e32 v7, 1
	s_mov_b32 s12, exec_lo
	s_delay_alu instid0(VALU_DEP_2)
	v_cmpx_ne_u32_e32 0x80, v2
	s_cbranch_execz .LBB456_1634
; %bb.1629:                             ;   in Loop: Header=BB456_991 Depth=1
	v_bfe_u32 v135, v3, 24, 7
	v_mov_b32_e32 v7, 0x7f800001
	s_mov_b32 s13, exec_lo
	s_delay_alu instid0(VALU_DEP_2)
	v_cmpx_ne_u32_e32 0x7f, v135
	s_cbranch_execz .LBB456_1633
; %bb.1630:                             ;   in Loop: Header=BB456_991 Depth=1
	v_and_b32_e32 v9, 7, v2
	v_lshrrev_b32_e32 v3, 3, v135
	s_mov_b32 s15, exec_lo
	v_cmpx_gt_u32_e32 8, v135
; %bb.1631:                             ;   in Loop: Header=BB456_991 Depth=1
	s_delay_alu instid0(VALU_DEP_3) | instskip(NEXT) | instid1(VALU_DEP_1)
	v_clz_i32_u32_e32 v3, v9
	v_min_u32_e32 v3, 32, v3
	s_delay_alu instid0(VALU_DEP_1) | instskip(SKIP_1) | instid1(VALU_DEP_2)
	v_subrev_nc_u32_e32 v7, 28, v3
	v_sub_nc_u32_e32 v3, 29, v3
	v_lshlrev_b64 v[144:145], v7, v[9:10]
	s_delay_alu instid0(VALU_DEP_1)
	v_and_b32_e32 v9, 7, v144
; %bb.1632:                             ;   in Loop: Header=BB456_991 Depth=1
	s_or_b32 exec_lo, exec_lo, s15
	v_lshlrev_b32_e32 v2, 24, v2
	s_delay_alu instid0(VALU_DEP_2) | instskip(SKIP_1) | instid1(VALU_DEP_3)
	v_lshlrev_b32_e32 v7, 20, v9
	v_lshl_add_u32 v3, v3, 23, 0x3c000000
	v_and_b32_e32 v2, 0x80000000, v2
	s_delay_alu instid0(VALU_DEP_1)
	v_or3_b32 v7, v7, v2, v3
.LBB456_1633:                           ;   in Loop: Header=BB456_991 Depth=1
	s_or_b32 exec_lo, exec_lo, s13
.LBB456_1634:                           ;   in Loop: Header=BB456_991 Depth=1
	s_delay_alu instid0(SALU_CYCLE_1)
	s_or_b32 exec_lo, exec_lo, s12
.LBB456_1635:                           ;   in Loop: Header=BB456_991 Depth=1
	s_delay_alu instid0(SALU_CYCLE_1) | instskip(NEXT) | instid1(VALU_DEP_1)
	s_or_b32 exec_lo, exec_lo, s9
	v_mul_f32_e32 v3, v26, v7
	s_delay_alu instid0(VALU_DEP_1) | instskip(NEXT) | instid1(VALU_DEP_1)
	v_and_b32_e32 v2, 0x7f800000, v3
	v_cmp_ne_u32_e64 s0, 0x7f800000, v2
                                        ; implicit-def: $vgpr2
	s_delay_alu instid0(VALU_DEP_1) | instskip(NEXT) | instid1(SALU_CYCLE_1)
	s_and_saveexec_b32 s9, s0
	s_xor_b32 s0, exec_lo, s9
; %bb.1636:                             ;   in Loop: Header=BB456_991 Depth=1
	v_bfe_u32 v2, v3, 16, 1
	s_delay_alu instid0(VALU_DEP_1)
	v_add3_u32 v2, v3, v2, 0x7fff
                                        ; implicit-def: $vgpr3
; %bb.1637:                             ;   in Loop: Header=BB456_991 Depth=1
	s_and_not1_saveexec_b32 s9, s0
; %bb.1638:                             ;   in Loop: Header=BB456_991 Depth=1
	v_and_b32_e32 v2, 0xffff, v3
	v_or_b32_e32 v7, 0x10000, v3
	s_delay_alu instid0(VALU_DEP_2) | instskip(NEXT) | instid1(VALU_DEP_1)
	v_cmp_eq_u32_e64 s0, 0, v2
	v_cndmask_b32_e64 v2, v7, v3, s0
; %bb.1639:                             ;   in Loop: Header=BB456_991 Depth=1
	s_or_b32 exec_lo, exec_lo, s9
	v_lshrrev_b32_e32 v6, 16, v6
	v_lshrrev_b32_e32 v7, 16, v133
	;; [unrolled: 1-line block ×8, first 2 shown]
	s_and_saveexec_b32 s9, vcc_lo
	s_cbranch_execz .LBB456_1641
; %bb.1640:                             ;   in Loop: Header=BB456_991 Depth=1
	v_cmp_lt_i32_e64 s0, v54, v35
	s_delay_alu instid0(VALU_DEP_1) | instskip(SKIP_1) | instid1(VALU_DEP_1)
	v_cndmask_b32_e64 v4, 0, v4, s0
	v_cmp_lt_i32_e64 s0, v68, v35
	v_cndmask_b32_e64 v5, 0, v5, s0
	v_cmp_lt_i32_e64 s0, v67, v35
	s_delay_alu instid0(VALU_DEP_1) | instskip(SKIP_1) | instid1(VALU_DEP_1)
	v_cndmask_b32_e64 v23, 0, v23, s0
	v_cmp_lt_i32_e64 s0, v66, v35
	v_cndmask_b32_e64 v9, 0, v9, s0
	;; [unrolled: 5-line block ×4, first 2 shown]
.LBB456_1641:                           ;   in Loop: Header=BB456_991 Depth=1
	s_or_b32 exec_lo, exec_lo, s9
	v_lshlrev_b32_e32 v4, 16, v4
                                        ; implicit-def: $vgpr133
	s_delay_alu instid0(VALU_DEP_1) | instskip(NEXT) | instid1(VALU_DEP_1)
	v_mul_f32_e32 v4, v69, v4
	v_and_b32_e32 v36, 0x7f800000, v4
	s_delay_alu instid0(VALU_DEP_1) | instskip(NEXT) | instid1(VALU_DEP_1)
	v_cmp_ne_u32_e64 s0, 0x7f800000, v36
	s_and_saveexec_b32 s9, s0
	s_delay_alu instid0(SALU_CYCLE_1)
	s_xor_b32 s0, exec_lo, s9
; %bb.1642:                             ;   in Loop: Header=BB456_991 Depth=1
	v_bfe_u32 v36, v4, 16, 1
	s_delay_alu instid0(VALU_DEP_1)
	v_add3_u32 v133, v4, v36, 0x7fff
                                        ; implicit-def: $vgpr4
; %bb.1643:                             ;   in Loop: Header=BB456_991 Depth=1
	s_and_not1_saveexec_b32 s9, s0
; %bb.1644:                             ;   in Loop: Header=BB456_991 Depth=1
	v_and_b32_e32 v36, 0xffff, v4
	v_or_b32_e32 v133, 0x10000, v4
	s_delay_alu instid0(VALU_DEP_2) | instskip(NEXT) | instid1(VALU_DEP_1)
	v_cmp_eq_u32_e64 s0, 0, v36
	v_cndmask_b32_e64 v133, v133, v4, s0
; %bb.1645:                             ;   in Loop: Header=BB456_991 Depth=1
	s_or_b32 exec_lo, exec_lo, s9
	v_lshlrev_b32_e32 v4, 16, v5
                                        ; implicit-def: $vgpr134
	s_delay_alu instid0(VALU_DEP_1) | instskip(NEXT) | instid1(VALU_DEP_1)
	v_mul_f32_e32 v4, v70, v4
	v_and_b32_e32 v5, 0x7f800000, v4
	s_delay_alu instid0(VALU_DEP_1) | instskip(NEXT) | instid1(VALU_DEP_1)
	v_cmp_ne_u32_e64 s0, 0x7f800000, v5
	s_and_saveexec_b32 s9, s0
	s_delay_alu instid0(SALU_CYCLE_1)
	s_xor_b32 s0, exec_lo, s9
; %bb.1646:                             ;   in Loop: Header=BB456_991 Depth=1
	v_bfe_u32 v5, v4, 16, 1
	s_delay_alu instid0(VALU_DEP_1)
	v_add3_u32 v134, v4, v5, 0x7fff
                                        ; implicit-def: $vgpr4
; %bb.1647:                             ;   in Loop: Header=BB456_991 Depth=1
	s_and_not1_saveexec_b32 s9, s0
; %bb.1648:                             ;   in Loop: Header=BB456_991 Depth=1
	v_and_b32_e32 v5, 0xffff, v4
	v_or_b32_e32 v36, 0x10000, v4
	s_delay_alu instid0(VALU_DEP_2) | instskip(NEXT) | instid1(VALU_DEP_1)
	v_cmp_eq_u32_e64 s0, 0, v5
	v_cndmask_b32_e64 v134, v36, v4, s0
; %bb.1649:                             ;   in Loop: Header=BB456_991 Depth=1
	s_or_b32 exec_lo, exec_lo, s9
	v_lshlrev_b32_e32 v4, 16, v23
                                        ; implicit-def: $vgpr135
	s_delay_alu instid0(VALU_DEP_1) | instskip(NEXT) | instid1(VALU_DEP_1)
	v_mul_f32_e32 v4, v71, v4
	v_and_b32_e32 v5, 0x7f800000, v4
	s_delay_alu instid0(VALU_DEP_1) | instskip(NEXT) | instid1(VALU_DEP_1)
	v_cmp_ne_u32_e64 s0, 0x7f800000, v5
	s_and_saveexec_b32 s9, s0
	s_delay_alu instid0(SALU_CYCLE_1)
	s_xor_b32 s0, exec_lo, s9
; %bb.1650:                             ;   in Loop: Header=BB456_991 Depth=1
	v_bfe_u32 v5, v4, 16, 1
	s_delay_alu instid0(VALU_DEP_1)
	v_add3_u32 v135, v4, v5, 0x7fff
                                        ; implicit-def: $vgpr4
; %bb.1651:                             ;   in Loop: Header=BB456_991 Depth=1
	s_and_not1_saveexec_b32 s9, s0
; %bb.1652:                             ;   in Loop: Header=BB456_991 Depth=1
	v_and_b32_e32 v5, 0xffff, v4
	v_or_b32_e32 v23, 0x10000, v4
	s_delay_alu instid0(VALU_DEP_2) | instskip(NEXT) | instid1(VALU_DEP_1)
	v_cmp_eq_u32_e64 s0, 0, v5
	v_cndmask_b32_e64 v135, v23, v4, s0
; %bb.1653:                             ;   in Loop: Header=BB456_991 Depth=1
	s_or_b32 exec_lo, exec_lo, s9
	v_lshlrev_b32_e32 v4, 16, v9
                                        ; implicit-def: $vgpr144
	s_delay_alu instid0(VALU_DEP_1) | instskip(NEXT) | instid1(VALU_DEP_1)
	v_mul_f32_e32 v4, v80, v4
	v_and_b32_e32 v5, 0x7f800000, v4
	s_delay_alu instid0(VALU_DEP_1) | instskip(NEXT) | instid1(VALU_DEP_1)
	v_cmp_ne_u32_e64 s0, 0x7f800000, v5
	s_and_saveexec_b32 s9, s0
	s_delay_alu instid0(SALU_CYCLE_1)
	s_xor_b32 s0, exec_lo, s9
; %bb.1654:                             ;   in Loop: Header=BB456_991 Depth=1
	v_bfe_u32 v5, v4, 16, 1
	s_delay_alu instid0(VALU_DEP_1)
	v_add3_u32 v144, v4, v5, 0x7fff
                                        ; implicit-def: $vgpr4
; %bb.1655:                             ;   in Loop: Header=BB456_991 Depth=1
	s_and_not1_saveexec_b32 s9, s0
; %bb.1656:                             ;   in Loop: Header=BB456_991 Depth=1
	v_and_b32_e32 v5, 0xffff, v4
	v_or_b32_e32 v9, 0x10000, v4
	s_delay_alu instid0(VALU_DEP_2) | instskip(NEXT) | instid1(VALU_DEP_1)
	v_cmp_eq_u32_e64 s0, 0, v5
	v_cndmask_b32_e64 v144, v9, v4, s0
; %bb.1657:                             ;   in Loop: Header=BB456_991 Depth=1
	s_or_b32 exec_lo, exec_lo, s9
	v_lshlrev_b32_e32 v4, 16, v7
                                        ; implicit-def: $vgpr145
	s_delay_alu instid0(VALU_DEP_1) | instskip(NEXT) | instid1(VALU_DEP_1)
	v_mul_f32_e32 v4, v81, v4
	v_and_b32_e32 v5, 0x7f800000, v4
	s_delay_alu instid0(VALU_DEP_1) | instskip(NEXT) | instid1(VALU_DEP_1)
	v_cmp_ne_u32_e64 s0, 0x7f800000, v5
	s_and_saveexec_b32 s9, s0
	s_delay_alu instid0(SALU_CYCLE_1)
	s_xor_b32 s0, exec_lo, s9
; %bb.1658:                             ;   in Loop: Header=BB456_991 Depth=1
	v_bfe_u32 v5, v4, 16, 1
	s_delay_alu instid0(VALU_DEP_1)
	v_add3_u32 v145, v4, v5, 0x7fff
                                        ; implicit-def: $vgpr4
; %bb.1659:                             ;   in Loop: Header=BB456_991 Depth=1
	s_and_not1_saveexec_b32 s9, s0
; %bb.1660:                             ;   in Loop: Header=BB456_991 Depth=1
	v_and_b32_e32 v5, 0xffff, v4
	v_or_b32_e32 v7, 0x10000, v4
	s_delay_alu instid0(VALU_DEP_2) | instskip(NEXT) | instid1(VALU_DEP_1)
	v_cmp_eq_u32_e64 s0, 0, v5
	v_cndmask_b32_e64 v145, v7, v4, s0
; %bb.1661:                             ;   in Loop: Header=BB456_991 Depth=1
	s_or_b32 exec_lo, exec_lo, s9
	v_lshlrev_b32_e32 v4, 16, v6
                                        ; implicit-def: $vgpr146
	s_delay_alu instid0(VALU_DEP_1) | instskip(NEXT) | instid1(VALU_DEP_1)
	v_mul_f32_e32 v4, v82, v4
	v_and_b32_e32 v5, 0x7f800000, v4
	s_delay_alu instid0(VALU_DEP_1) | instskip(NEXT) | instid1(VALU_DEP_1)
	v_cmp_ne_u32_e64 s0, 0x7f800000, v5
	s_and_saveexec_b32 s9, s0
	s_delay_alu instid0(SALU_CYCLE_1)
	s_xor_b32 s0, exec_lo, s9
; %bb.1662:                             ;   in Loop: Header=BB456_991 Depth=1
	v_bfe_u32 v5, v4, 16, 1
	s_delay_alu instid0(VALU_DEP_1)
	v_add3_u32 v146, v4, v5, 0x7fff
                                        ; implicit-def: $vgpr4
; %bb.1663:                             ;   in Loop: Header=BB456_991 Depth=1
	s_and_not1_saveexec_b32 s9, s0
; %bb.1664:                             ;   in Loop: Header=BB456_991 Depth=1
	v_and_b32_e32 v5, 0xffff, v4
	v_or_b32_e32 v6, 0x10000, v4
	s_delay_alu instid0(VALU_DEP_2) | instskip(NEXT) | instid1(VALU_DEP_1)
	v_cmp_eq_u32_e64 s0, 0, v5
	v_cndmask_b32_e64 v146, v6, v4, s0
; %bb.1665:                             ;   in Loop: Header=BB456_991 Depth=1
	s_or_b32 exec_lo, exec_lo, s9
	v_lshlrev_b32_e32 v3, 16, v3
                                        ; implicit-def: $vgpr147
	s_delay_alu instid0(VALU_DEP_1) | instskip(NEXT) | instid1(VALU_DEP_1)
	v_mul_f32_e32 v3, v83, v3
	v_and_b32_e32 v4, 0x7f800000, v3
	s_delay_alu instid0(VALU_DEP_1) | instskip(NEXT) | instid1(VALU_DEP_1)
	v_cmp_ne_u32_e64 s0, 0x7f800000, v4
	s_and_saveexec_b32 s9, s0
	s_delay_alu instid0(SALU_CYCLE_1)
	s_xor_b32 s0, exec_lo, s9
; %bb.1666:                             ;   in Loop: Header=BB456_991 Depth=1
	v_bfe_u32 v4, v3, 16, 1
	s_delay_alu instid0(VALU_DEP_1)
	v_add3_u32 v147, v3, v4, 0x7fff
                                        ; implicit-def: $vgpr3
; %bb.1667:                             ;   in Loop: Header=BB456_991 Depth=1
	s_and_not1_saveexec_b32 s9, s0
; %bb.1668:                             ;   in Loop: Header=BB456_991 Depth=1
	v_and_b32_e32 v4, 0xffff, v3
	v_or_b32_e32 v5, 0x10000, v3
	s_delay_alu instid0(VALU_DEP_2) | instskip(NEXT) | instid1(VALU_DEP_1)
	v_cmp_eq_u32_e64 s0, 0, v4
	v_cndmask_b32_e64 v147, v5, v3, s0
; %bb.1669:                             ;   in Loop: Header=BB456_991 Depth=1
	s_or_b32 exec_lo, exec_lo, s9
	v_lshlrev_b32_e32 v2, 16, v2
                                        ; implicit-def: $vgpr148
	s_delay_alu instid0(VALU_DEP_1) | instskip(NEXT) | instid1(VALU_DEP_1)
	v_mul_f32_e32 v2, v84, v2
	v_and_b32_e32 v3, 0x7f800000, v2
	s_delay_alu instid0(VALU_DEP_1) | instskip(NEXT) | instid1(VALU_DEP_1)
	v_cmp_ne_u32_e64 s0, 0x7f800000, v3
	s_and_saveexec_b32 s9, s0
	s_delay_alu instid0(SALU_CYCLE_1)
	s_xor_b32 s0, exec_lo, s9
; %bb.1670:                             ;   in Loop: Header=BB456_991 Depth=1
	v_bfe_u32 v3, v2, 16, 1
	s_delay_alu instid0(VALU_DEP_1)
	v_add3_u32 v148, v2, v3, 0x7fff
                                        ; implicit-def: $vgpr2
; %bb.1671:                             ;   in Loop: Header=BB456_991 Depth=1
	s_and_not1_saveexec_b32 s9, s0
; %bb.1672:                             ;   in Loop: Header=BB456_991 Depth=1
	v_and_b32_e32 v3, 0xffff, v2
	v_or_b32_e32 v4, 0x10000, v2
	s_delay_alu instid0(VALU_DEP_2) | instskip(NEXT) | instid1(VALU_DEP_1)
	v_cmp_eq_u32_e64 s0, 0, v3
	v_cndmask_b32_e64 v148, v4, v2, s0
; %bb.1673:                             ;   in Loop: Header=BB456_991 Depth=1
	s_or_b32 exec_lo, exec_lo, s9
	flat_load_b64 v[2:3], v[0:1] offset:1280
	s_mov_b32 s9, exec_lo
	s_waitcnt vmcnt(0) lgkmcnt(0)
	v_dual_mov_b32 v4, 0 :: v_dual_and_b32 v5, 0xff, v2
	s_delay_alu instid0(VALU_DEP_1)
	v_cmpx_ne_u16_e32 0, v5
	s_cbranch_execz .LBB456_1681
; %bb.1674:                             ;   in Loop: Header=BB456_991 Depth=1
	v_bfrev_b32_e32 v4, 1
	s_mov_b32 s12, exec_lo
	v_cmpx_ne_u16_e32 0x80, v5
	s_cbranch_execz .LBB456_1680
; %bb.1675:                             ;   in Loop: Header=BB456_991 Depth=1
	v_and_b32_e32 v5, 0x7f, v2
	v_mov_b32_e32 v4, 0x7f800001
	s_mov_b32 s13, exec_lo
	s_delay_alu instid0(VALU_DEP_2)
	v_cmpx_ne_u32_e32 0x7f, v5
	s_cbranch_execz .LBB456_1679
; %bb.1676:                             ;   in Loop: Header=BB456_991 Depth=1
	v_lshrrev_b32_e32 v4, 3, v5
	v_dual_mov_b32 v7, v3 :: v_dual_mov_b32 v6, v2
	s_mov_b32 s15, exec_lo
	v_cmpx_gt_u32_e32 8, v5
; %bb.1677:                             ;   in Loop: Header=BB456_991 Depth=1
	v_and_b32_e32 v4, 7, v2
	s_delay_alu instid0(VALU_DEP_1) | instskip(NEXT) | instid1(VALU_DEP_1)
	v_clz_i32_u32_e32 v4, v4
	v_min_u32_e32 v4, 32, v4
	s_delay_alu instid0(VALU_DEP_1) | instskip(SKIP_1) | instid1(VALU_DEP_2)
	v_subrev_nc_u32_e32 v5, 28, v4
	v_sub_nc_u32_e32 v4, 29, v4
	v_lshlrev_b64 v[6:7], v5, v[2:3]
; %bb.1678:                             ;   in Loop: Header=BB456_991 Depth=1
	s_or_b32 exec_lo, exec_lo, s15
	s_delay_alu instid0(VALU_DEP_1) | instskip(SKIP_2) | instid1(VALU_DEP_3)
	v_lshlrev_b32_e32 v5, 20, v6
	v_lshlrev_b32_e32 v6, 24, v2
	v_lshl_add_u32 v4, v4, 23, 0x3c000000
	v_and_b32_e32 v5, 0x700000, v5
	s_delay_alu instid0(VALU_DEP_3) | instskip(NEXT) | instid1(VALU_DEP_1)
	v_and_b32_e32 v6, 0x80000000, v6
	v_or3_b32 v4, v5, v6, v4
.LBB456_1679:                           ;   in Loop: Header=BB456_991 Depth=1
	s_or_b32 exec_lo, exec_lo, s13
.LBB456_1680:                           ;   in Loop: Header=BB456_991 Depth=1
	s_delay_alu instid0(SALU_CYCLE_1)
	s_or_b32 exec_lo, exec_lo, s12
.LBB456_1681:                           ;   in Loop: Header=BB456_991 Depth=1
	s_delay_alu instid0(SALU_CYCLE_1) | instskip(NEXT) | instid1(VALU_DEP_1)
	s_or_b32 exec_lo, exec_lo, s9
	v_mul_f32_e32 v5, v26, v4
	s_delay_alu instid0(VALU_DEP_1) | instskip(NEXT) | instid1(VALU_DEP_1)
	v_and_b32_e32 v4, 0x7f800000, v5
	v_cmp_ne_u32_e64 s0, 0x7f800000, v4
                                        ; implicit-def: $vgpr4
	s_delay_alu instid0(VALU_DEP_1) | instskip(NEXT) | instid1(SALU_CYCLE_1)
	s_and_saveexec_b32 s9, s0
	s_xor_b32 s0, exec_lo, s9
; %bb.1682:                             ;   in Loop: Header=BB456_991 Depth=1
	v_bfe_u32 v4, v5, 16, 1
	s_delay_alu instid0(VALU_DEP_1)
	v_add3_u32 v4, v5, v4, 0x7fff
                                        ; implicit-def: $vgpr5
; %bb.1683:                             ;   in Loop: Header=BB456_991 Depth=1
	s_and_not1_saveexec_b32 s9, s0
; %bb.1684:                             ;   in Loop: Header=BB456_991 Depth=1
	v_and_b32_e32 v4, 0xffff, v5
	v_or_b32_e32 v6, 0x10000, v5
	s_delay_alu instid0(VALU_DEP_2) | instskip(NEXT) | instid1(VALU_DEP_1)
	v_cmp_eq_u32_e64 s0, 0, v4
	v_cndmask_b32_e64 v4, v6, v5, s0
; %bb.1685:                             ;   in Loop: Header=BB456_991 Depth=1
	s_or_b32 exec_lo, exec_lo, s9
	v_lshrrev_b16 v6, 8, v2
	v_mov_b32_e32 v5, 0
	s_mov_b32 s9, exec_lo
	s_delay_alu instid0(VALU_DEP_2)
	v_cmpx_ne_u16_e32 0, v6
	s_cbranch_execz .LBB456_1693
; %bb.1686:                             ;   in Loop: Header=BB456_991 Depth=1
	v_bfrev_b32_e32 v5, 1
	s_mov_b32 s12, exec_lo
	v_cmpx_ne_u16_e32 0x80, v6
	s_cbranch_execz .LBB456_1692
; %bb.1687:                             ;   in Loop: Header=BB456_991 Depth=1
	v_and_b32_e32 v7, 0xffff, v6
	v_mov_b32_e32 v5, 0x7f800001
	s_mov_b32 s13, exec_lo
	s_delay_alu instid0(VALU_DEP_2) | instskip(NEXT) | instid1(VALU_DEP_1)
	v_and_b32_e32 v6, 0x7f, v7
	v_cmpx_ne_u32_e32 0x7f, v6
	s_cbranch_execz .LBB456_1691
; %bb.1688:                             ;   in Loop: Header=BB456_991 Depth=1
	v_and_b32_e32 v9, 7, v7
	v_lshrrev_b32_e32 v5, 3, v6
	s_mov_b32 s15, exec_lo
	v_cmpx_gt_u32_e32 8, v6
; %bb.1689:                             ;   in Loop: Header=BB456_991 Depth=1
	s_delay_alu instid0(VALU_DEP_3) | instskip(NEXT) | instid1(VALU_DEP_1)
	v_clz_i32_u32_e32 v5, v9
	v_min_u32_e32 v5, 32, v5
	s_delay_alu instid0(VALU_DEP_1) | instskip(SKIP_1) | instid1(VALU_DEP_2)
	v_subrev_nc_u32_e32 v6, 28, v5
	v_sub_nc_u32_e32 v5, 29, v5
	v_lshlrev_b64 v[6:7], v6, v[9:10]
	s_delay_alu instid0(VALU_DEP_1)
	v_and_b32_e32 v9, 7, v6
; %bb.1690:                             ;   in Loop: Header=BB456_991 Depth=1
	s_or_b32 exec_lo, exec_lo, s15
	v_lshlrev_b32_e32 v6, 16, v2
	s_delay_alu instid0(VALU_DEP_2) | instskip(SKIP_1) | instid1(VALU_DEP_3)
	v_lshlrev_b32_e32 v7, 20, v9
	v_lshl_add_u32 v5, v5, 23, 0x3c000000
	v_and_b32_e32 v6, 0x80000000, v6
	s_delay_alu instid0(VALU_DEP_1)
	v_or3_b32 v5, v7, v6, v5
.LBB456_1691:                           ;   in Loop: Header=BB456_991 Depth=1
	s_or_b32 exec_lo, exec_lo, s13
.LBB456_1692:                           ;   in Loop: Header=BB456_991 Depth=1
	s_delay_alu instid0(SALU_CYCLE_1)
	s_or_b32 exec_lo, exec_lo, s12
.LBB456_1693:                           ;   in Loop: Header=BB456_991 Depth=1
	s_delay_alu instid0(SALU_CYCLE_1) | instskip(NEXT) | instid1(VALU_DEP_1)
	s_or_b32 exec_lo, exec_lo, s9
	v_mul_f32_e32 v6, v26, v5
	s_delay_alu instid0(VALU_DEP_1) | instskip(NEXT) | instid1(VALU_DEP_1)
	v_and_b32_e32 v5, 0x7f800000, v6
	v_cmp_ne_u32_e64 s0, 0x7f800000, v5
                                        ; implicit-def: $vgpr5
	s_delay_alu instid0(VALU_DEP_1) | instskip(NEXT) | instid1(SALU_CYCLE_1)
	s_and_saveexec_b32 s9, s0
	s_xor_b32 s0, exec_lo, s9
; %bb.1694:                             ;   in Loop: Header=BB456_991 Depth=1
	v_bfe_u32 v5, v6, 16, 1
	s_delay_alu instid0(VALU_DEP_1)
	v_add3_u32 v5, v6, v5, 0x7fff
                                        ; implicit-def: $vgpr6
; %bb.1695:                             ;   in Loop: Header=BB456_991 Depth=1
	s_and_not1_saveexec_b32 s9, s0
; %bb.1696:                             ;   in Loop: Header=BB456_991 Depth=1
	v_and_b32_e32 v5, 0xffff, v6
	v_or_b32_e32 v7, 0x10000, v6
	s_delay_alu instid0(VALU_DEP_2) | instskip(NEXT) | instid1(VALU_DEP_1)
	v_cmp_eq_u32_e64 s0, 0, v5
	v_cndmask_b32_e64 v5, v7, v6, s0
; %bb.1697:                             ;   in Loop: Header=BB456_991 Depth=1
	s_or_b32 exec_lo, exec_lo, s9
	v_lshrrev_b32_e32 v6, 16, v2
	v_mov_b32_e32 v7, 0
	s_mov_b32 s9, exec_lo
	s_delay_alu instid0(VALU_DEP_2) | instskip(NEXT) | instid1(VALU_DEP_1)
	v_and_b32_e32 v9, 0xff, v6
	v_cmpx_ne_u16_e32 0, v9
	s_cbranch_execz .LBB456_1705
; %bb.1698:                             ;   in Loop: Header=BB456_991 Depth=1
	v_bfrev_b32_e32 v7, 1
	s_mov_b32 s12, exec_lo
	v_cmpx_ne_u16_e32 0x80, v9
	s_cbranch_execz .LBB456_1704
; %bb.1699:                             ;   in Loop: Header=BB456_991 Depth=1
	v_bfe_u32 v23, v2, 16, 7
	v_mov_b32_e32 v7, 0x7f800001
	s_mov_b32 s13, exec_lo
	s_delay_alu instid0(VALU_DEP_2)
	v_cmpx_ne_u32_e32 0x7f, v23
	s_cbranch_execz .LBB456_1703
; %bb.1700:                             ;   in Loop: Header=BB456_991 Depth=1
	v_and_b32_e32 v9, 7, v6
	v_lshrrev_b32_e32 v7, 3, v23
	s_mov_b32 s15, exec_lo
	v_cmpx_gt_u32_e32 8, v23
; %bb.1701:                             ;   in Loop: Header=BB456_991 Depth=1
	s_delay_alu instid0(VALU_DEP_3) | instskip(NEXT) | instid1(VALU_DEP_1)
	v_clz_i32_u32_e32 v7, v9
	v_min_u32_e32 v7, 32, v7
	s_delay_alu instid0(VALU_DEP_1) | instskip(SKIP_1) | instid1(VALU_DEP_2)
	v_subrev_nc_u32_e32 v23, 28, v7
	v_sub_nc_u32_e32 v7, 29, v7
	v_lshlrev_b64 v[149:150], v23, v[9:10]
	s_delay_alu instid0(VALU_DEP_1)
	v_and_b32_e32 v9, 7, v149
; %bb.1702:                             ;   in Loop: Header=BB456_991 Depth=1
	s_or_b32 exec_lo, exec_lo, s15
	v_lshlrev_b32_e32 v6, 24, v6
	s_delay_alu instid0(VALU_DEP_2) | instskip(SKIP_1) | instid1(VALU_DEP_3)
	v_lshlrev_b32_e32 v9, 20, v9
	v_lshl_add_u32 v7, v7, 23, 0x3c000000
	v_and_b32_e32 v6, 0x80000000, v6
	s_delay_alu instid0(VALU_DEP_1)
	v_or3_b32 v7, v9, v6, v7
.LBB456_1703:                           ;   in Loop: Header=BB456_991 Depth=1
	s_or_b32 exec_lo, exec_lo, s13
.LBB456_1704:                           ;   in Loop: Header=BB456_991 Depth=1
	s_delay_alu instid0(SALU_CYCLE_1)
	s_or_b32 exec_lo, exec_lo, s12
.LBB456_1705:                           ;   in Loop: Header=BB456_991 Depth=1
	s_delay_alu instid0(SALU_CYCLE_1) | instskip(NEXT) | instid1(VALU_DEP_1)
	s_or_b32 exec_lo, exec_lo, s9
	v_mul_f32_e32 v6, v26, v7
                                        ; implicit-def: $vgpr23
	s_delay_alu instid0(VALU_DEP_1) | instskip(NEXT) | instid1(VALU_DEP_1)
	v_and_b32_e32 v7, 0x7f800000, v6
	v_cmp_ne_u32_e64 s0, 0x7f800000, v7
	s_delay_alu instid0(VALU_DEP_1) | instskip(NEXT) | instid1(SALU_CYCLE_1)
	s_and_saveexec_b32 s9, s0
	s_xor_b32 s0, exec_lo, s9
; %bb.1706:                             ;   in Loop: Header=BB456_991 Depth=1
	v_bfe_u32 v7, v6, 16, 1
	s_delay_alu instid0(VALU_DEP_1)
	v_add3_u32 v23, v6, v7, 0x7fff
                                        ; implicit-def: $vgpr6
; %bb.1707:                             ;   in Loop: Header=BB456_991 Depth=1
	s_and_not1_saveexec_b32 s9, s0
; %bb.1708:                             ;   in Loop: Header=BB456_991 Depth=1
	v_and_b32_e32 v7, 0xffff, v6
	v_or_b32_e32 v9, 0x10000, v6
	s_delay_alu instid0(VALU_DEP_2) | instskip(NEXT) | instid1(VALU_DEP_1)
	v_cmp_eq_u32_e64 s0, 0, v7
	v_cndmask_b32_e64 v23, v9, v6, s0
; %bb.1709:                             ;   in Loop: Header=BB456_991 Depth=1
	s_or_b32 exec_lo, exec_lo, s9
	v_mov_b32_e32 v7, 0
	s_mov_b32 s9, exec_lo
	v_cmpx_lt_u32_e32 0xffffff, v2
	s_cbranch_execz .LBB456_1717
; %bb.1710:                             ;   in Loop: Header=BB456_991 Depth=1
	v_lshrrev_b32_e32 v6, 24, v2
	v_bfrev_b32_e32 v7, 1
	s_mov_b32 s12, exec_lo
	s_delay_alu instid0(VALU_DEP_2)
	v_cmpx_ne_u32_e32 0x80, v6
	s_cbranch_execz .LBB456_1716
; %bb.1711:                             ;   in Loop: Header=BB456_991 Depth=1
	v_bfe_u32 v36, v2, 24, 7
	v_mov_b32_e32 v7, 0x7f800001
	s_mov_b32 s13, exec_lo
	s_delay_alu instid0(VALU_DEP_2)
	v_cmpx_ne_u32_e32 0x7f, v36
	s_cbranch_execz .LBB456_1715
; %bb.1712:                             ;   in Loop: Header=BB456_991 Depth=1
	v_and_b32_e32 v9, 7, v6
	v_lshrrev_b32_e32 v7, 3, v36
	s_mov_b32 s15, exec_lo
	v_cmpx_gt_u32_e32 8, v36
; %bb.1713:                             ;   in Loop: Header=BB456_991 Depth=1
	s_delay_alu instid0(VALU_DEP_3) | instskip(NEXT) | instid1(VALU_DEP_1)
	v_clz_i32_u32_e32 v7, v9
	v_min_u32_e32 v7, 32, v7
	s_delay_alu instid0(VALU_DEP_1) | instskip(SKIP_1) | instid1(VALU_DEP_2)
	v_subrev_nc_u32_e32 v36, 28, v7
	v_sub_nc_u32_e32 v7, 29, v7
	v_lshlrev_b64 v[149:150], v36, v[9:10]
	s_delay_alu instid0(VALU_DEP_1)
	v_and_b32_e32 v9, 7, v149
; %bb.1714:                             ;   in Loop: Header=BB456_991 Depth=1
	s_or_b32 exec_lo, exec_lo, s15
	v_lshlrev_b32_e32 v6, 24, v6
	s_delay_alu instid0(VALU_DEP_2) | instskip(SKIP_1) | instid1(VALU_DEP_3)
	v_lshlrev_b32_e32 v9, 20, v9
	v_lshl_add_u32 v7, v7, 23, 0x3c000000
	v_and_b32_e32 v6, 0x80000000, v6
	s_delay_alu instid0(VALU_DEP_1)
	v_or3_b32 v7, v9, v6, v7
.LBB456_1715:                           ;   in Loop: Header=BB456_991 Depth=1
	s_or_b32 exec_lo, exec_lo, s13
.LBB456_1716:                           ;   in Loop: Header=BB456_991 Depth=1
	s_delay_alu instid0(SALU_CYCLE_1)
	s_or_b32 exec_lo, exec_lo, s12
.LBB456_1717:                           ;   in Loop: Header=BB456_991 Depth=1
	s_delay_alu instid0(SALU_CYCLE_1) | instskip(NEXT) | instid1(VALU_DEP_1)
	s_or_b32 exec_lo, exec_lo, s9
	v_mul_f32_e32 v6, v26, v7
                                        ; implicit-def: $vgpr36
	s_delay_alu instid0(VALU_DEP_1) | instskip(NEXT) | instid1(VALU_DEP_1)
	v_and_b32_e32 v7, 0x7f800000, v6
	v_cmp_ne_u32_e64 s0, 0x7f800000, v7
	s_delay_alu instid0(VALU_DEP_1) | instskip(NEXT) | instid1(SALU_CYCLE_1)
	s_and_saveexec_b32 s9, s0
	s_xor_b32 s0, exec_lo, s9
; %bb.1718:                             ;   in Loop: Header=BB456_991 Depth=1
	v_bfe_u32 v7, v6, 16, 1
	s_delay_alu instid0(VALU_DEP_1)
	v_add3_u32 v36, v6, v7, 0x7fff
                                        ; implicit-def: $vgpr6
; %bb.1719:                             ;   in Loop: Header=BB456_991 Depth=1
	s_and_not1_saveexec_b32 s9, s0
; %bb.1720:                             ;   in Loop: Header=BB456_991 Depth=1
	v_and_b32_e32 v7, 0xffff, v6
	v_or_b32_e32 v9, 0x10000, v6
	s_delay_alu instid0(VALU_DEP_2) | instskip(NEXT) | instid1(VALU_DEP_1)
	v_cmp_eq_u32_e64 s0, 0, v7
	v_cndmask_b32_e64 v36, v9, v6, s0
; %bb.1721:                             ;   in Loop: Header=BB456_991 Depth=1
	s_or_b32 exec_lo, exec_lo, s9
	v_dual_mov_b32 v6, 0 :: v_dual_and_b32 v7, 0xff, v3
	v_mov_b32_e32 v9, v3
	s_mov_b32 s9, exec_lo
	s_delay_alu instid0(VALU_DEP_2)
	v_cmpx_ne_u16_e32 0, v7
	s_cbranch_execz .LBB456_1729
; %bb.1722:                             ;   in Loop: Header=BB456_991 Depth=1
	v_bfrev_b32_e32 v6, 1
	s_mov_b32 s12, exec_lo
	v_cmpx_ne_u16_e32 0x80, v7
	s_cbranch_execz .LBB456_1728
; %bb.1723:                             ;   in Loop: Header=BB456_991 Depth=1
	v_and_b32_e32 v7, 0x7f, v3
	v_mov_b32_e32 v6, 0x7f800001
	s_mov_b32 s13, exec_lo
	s_delay_alu instid0(VALU_DEP_2)
	v_cmpx_ne_u32_e32 0x7f, v7
	s_cbranch_execz .LBB456_1727
; %bb.1724:                             ;   in Loop: Header=BB456_991 Depth=1
	v_lshrrev_b32_e32 v149, 3, v7
	v_cmp_gt_u32_e64 s0, 8, v7
	v_dual_mov_b32 v6, v9 :: v_dual_mov_b32 v7, v10
	s_delay_alu instid0(VALU_DEP_2)
	s_and_saveexec_b32 s15, s0
; %bb.1725:                             ;   in Loop: Header=BB456_991 Depth=1
	v_and_b32_e32 v6, 7, v3
	s_delay_alu instid0(VALU_DEP_1) | instskip(NEXT) | instid1(VALU_DEP_1)
	v_clz_i32_u32_e32 v6, v6
	v_min_u32_e32 v149, 32, v6
	s_delay_alu instid0(VALU_DEP_1) | instskip(SKIP_1) | instid1(VALU_DEP_2)
	v_subrev_nc_u32_e32 v6, 28, v149
	v_sub_nc_u32_e32 v149, 29, v149
	v_lshlrev_b64 v[6:7], v6, v[9:10]
; %bb.1726:                             ;   in Loop: Header=BB456_991 Depth=1
	s_or_b32 exec_lo, exec_lo, s15
	s_delay_alu instid0(VALU_DEP_1) | instskip(SKIP_2) | instid1(VALU_DEP_3)
	v_lshlrev_b32_e32 v6, 20, v6
	v_lshlrev_b32_e32 v7, 24, v9
	v_lshl_add_u32 v149, v149, 23, 0x3c000000
	v_and_b32_e32 v6, 0x700000, v6
	s_delay_alu instid0(VALU_DEP_3) | instskip(NEXT) | instid1(VALU_DEP_1)
	v_and_b32_e32 v7, 0x80000000, v7
	v_or3_b32 v6, v6, v7, v149
.LBB456_1727:                           ;   in Loop: Header=BB456_991 Depth=1
	s_or_b32 exec_lo, exec_lo, s13
.LBB456_1728:                           ;   in Loop: Header=BB456_991 Depth=1
	s_delay_alu instid0(SALU_CYCLE_1)
	s_or_b32 exec_lo, exec_lo, s12
.LBB456_1729:                           ;   in Loop: Header=BB456_991 Depth=1
	s_delay_alu instid0(SALU_CYCLE_1) | instskip(NEXT) | instid1(VALU_DEP_1)
	s_or_b32 exec_lo, exec_lo, s9
	v_mul_f32_e32 v6, v26, v6
                                        ; implicit-def: $vgpr149
	s_delay_alu instid0(VALU_DEP_1) | instskip(NEXT) | instid1(VALU_DEP_1)
	v_and_b32_e32 v7, 0x7f800000, v6
	v_cmp_ne_u32_e64 s0, 0x7f800000, v7
	s_delay_alu instid0(VALU_DEP_1) | instskip(NEXT) | instid1(SALU_CYCLE_1)
	s_and_saveexec_b32 s9, s0
	s_xor_b32 s0, exec_lo, s9
; %bb.1730:                             ;   in Loop: Header=BB456_991 Depth=1
	v_bfe_u32 v7, v6, 16, 1
	s_delay_alu instid0(VALU_DEP_1)
	v_add3_u32 v149, v6, v7, 0x7fff
                                        ; implicit-def: $vgpr6
; %bb.1731:                             ;   in Loop: Header=BB456_991 Depth=1
	s_and_not1_saveexec_b32 s9, s0
; %bb.1732:                             ;   in Loop: Header=BB456_991 Depth=1
	v_and_b32_e32 v7, 0xffff, v6
	v_or_b32_e32 v149, 0x10000, v6
	s_delay_alu instid0(VALU_DEP_2) | instskip(NEXT) | instid1(VALU_DEP_1)
	v_cmp_eq_u32_e64 s0, 0, v7
	v_cndmask_b32_e64 v149, v149, v6, s0
; %bb.1733:                             ;   in Loop: Header=BB456_991 Depth=1
	s_or_b32 exec_lo, exec_lo, s9
	v_lshrrev_b16 v7, 8, v9
	v_mov_b32_e32 v6, 0
	s_mov_b32 s9, exec_lo
	s_delay_alu instid0(VALU_DEP_2)
	v_cmpx_ne_u16_e32 0, v7
	s_cbranch_execz .LBB456_1741
; %bb.1734:                             ;   in Loop: Header=BB456_991 Depth=1
	v_bfrev_b32_e32 v6, 1
	s_mov_b32 s12, exec_lo
	v_cmpx_ne_u16_e32 0x80, v7
	s_cbranch_execz .LBB456_1740
; %bb.1735:                             ;   in Loop: Header=BB456_991 Depth=1
	v_and_b32_e32 v7, 0xffff, v7
	v_mov_b32_e32 v6, 0x7f800001
	s_mov_b32 s13, exec_lo
	s_delay_alu instid0(VALU_DEP_2) | instskip(NEXT) | instid1(VALU_DEP_1)
	v_and_b32_e32 v151, 0x7f, v7
	v_cmpx_ne_u32_e32 0x7f, v151
	s_cbranch_execz .LBB456_1739
; %bb.1736:                             ;   in Loop: Header=BB456_991 Depth=1
	v_dual_mov_b32 v7, v10 :: v_dual_and_b32 v6, 7, v7
	v_lshrrev_b32_e32 v150, 3, v151
	s_mov_b32 s15, exec_lo
	v_cmpx_gt_u32_e32 8, v151
; %bb.1737:                             ;   in Loop: Header=BB456_991 Depth=1
	s_delay_alu instid0(VALU_DEP_3) | instskip(NEXT) | instid1(VALU_DEP_1)
	v_clz_i32_u32_e32 v150, v6
	v_min_u32_e32 v150, 32, v150
	s_delay_alu instid0(VALU_DEP_1) | instskip(SKIP_1) | instid1(VALU_DEP_2)
	v_subrev_nc_u32_e32 v151, 28, v150
	v_sub_nc_u32_e32 v150, 29, v150
	v_lshlrev_b64 v[6:7], v151, v[6:7]
	s_delay_alu instid0(VALU_DEP_1)
	v_and_b32_e32 v6, 7, v6
; %bb.1738:                             ;   in Loop: Header=BB456_991 Depth=1
	s_or_b32 exec_lo, exec_lo, s15
	v_lshlrev_b32_e32 v7, 16, v9
	s_delay_alu instid0(VALU_DEP_2) | instskip(SKIP_1) | instid1(VALU_DEP_3)
	v_lshlrev_b32_e32 v6, 20, v6
	v_lshl_add_u32 v9, v150, 23, 0x3c000000
	v_and_b32_e32 v7, 0x80000000, v7
	s_delay_alu instid0(VALU_DEP_1)
	v_or3_b32 v6, v6, v7, v9
.LBB456_1739:                           ;   in Loop: Header=BB456_991 Depth=1
	s_or_b32 exec_lo, exec_lo, s13
.LBB456_1740:                           ;   in Loop: Header=BB456_991 Depth=1
	s_delay_alu instid0(SALU_CYCLE_1)
	s_or_b32 exec_lo, exec_lo, s12
.LBB456_1741:                           ;   in Loop: Header=BB456_991 Depth=1
	s_delay_alu instid0(SALU_CYCLE_1) | instskip(NEXT) | instid1(VALU_DEP_1)
	s_or_b32 exec_lo, exec_lo, s9
	v_mul_f32_e32 v7, v26, v6
	s_delay_alu instid0(VALU_DEP_1) | instskip(NEXT) | instid1(VALU_DEP_1)
	v_and_b32_e32 v6, 0x7f800000, v7
	v_cmp_ne_u32_e64 s0, 0x7f800000, v6
                                        ; implicit-def: $vgpr6
	s_delay_alu instid0(VALU_DEP_1) | instskip(NEXT) | instid1(SALU_CYCLE_1)
	s_and_saveexec_b32 s9, s0
	s_xor_b32 s0, exec_lo, s9
; %bb.1742:                             ;   in Loop: Header=BB456_991 Depth=1
	v_bfe_u32 v6, v7, 16, 1
	s_delay_alu instid0(VALU_DEP_1)
	v_add3_u32 v6, v7, v6, 0x7fff
                                        ; implicit-def: $vgpr7
; %bb.1743:                             ;   in Loop: Header=BB456_991 Depth=1
	s_and_not1_saveexec_b32 s9, s0
; %bb.1744:                             ;   in Loop: Header=BB456_991 Depth=1
	v_and_b32_e32 v6, 0xffff, v7
	v_or_b32_e32 v9, 0x10000, v7
	s_delay_alu instid0(VALU_DEP_2) | instskip(NEXT) | instid1(VALU_DEP_1)
	v_cmp_eq_u32_e64 s0, 0, v6
	v_cndmask_b32_e64 v6, v9, v7, s0
; %bb.1745:                             ;   in Loop: Header=BB456_991 Depth=1
	s_or_b32 exec_lo, exec_lo, s9
	v_lshrrev_b32_e32 v7, 16, v3
	s_mov_b32 s9, exec_lo
	s_delay_alu instid0(VALU_DEP_1) | instskip(NEXT) | instid1(VALU_DEP_1)
	v_dual_mov_b32 v9, 0 :: v_dual_and_b32 v150, 0xff, v7
	v_cmpx_ne_u16_e64 0, v150
	s_cbranch_execz .LBB456_1753
; %bb.1746:                             ;   in Loop: Header=BB456_991 Depth=1
	v_bfrev_b32_e32 v9, 1
	s_mov_b32 s12, exec_lo
	v_cmpx_ne_u16_e64 0x80, v150
	s_cbranch_execz .LBB456_1752
; %bb.1747:                             ;   in Loop: Header=BB456_991 Depth=1
	v_bfe_u32 v151, v3, 16, 7
	v_mov_b32_e32 v9, 0x7f800001
	s_mov_b32 s13, exec_lo
	s_delay_alu instid0(VALU_DEP_2)
	v_cmpx_ne_u32_e32 0x7f, v151
	s_cbranch_execz .LBB456_1751
; %bb.1748:                             ;   in Loop: Header=BB456_991 Depth=1
	v_and_b32_e32 v9, 7, v7
	v_lshrrev_b32_e32 v150, 3, v151
	s_mov_b32 s15, exec_lo
	v_cmpx_gt_u32_e32 8, v151
; %bb.1749:                             ;   in Loop: Header=BB456_991 Depth=1
	s_delay_alu instid0(VALU_DEP_3) | instskip(NEXT) | instid1(VALU_DEP_1)
	v_clz_i32_u32_e32 v150, v9
	v_min_u32_e32 v150, 32, v150
	s_delay_alu instid0(VALU_DEP_1) | instskip(SKIP_1) | instid1(VALU_DEP_2)
	v_subrev_nc_u32_e32 v151, 28, v150
	v_sub_nc_u32_e32 v150, 29, v150
	v_lshlrev_b64 v[160:161], v151, v[9:10]
	s_delay_alu instid0(VALU_DEP_1)
	v_and_b32_e32 v9, 7, v160
; %bb.1750:                             ;   in Loop: Header=BB456_991 Depth=1
	s_or_b32 exec_lo, exec_lo, s15
	v_lshlrev_b32_e32 v7, 24, v7
	s_delay_alu instid0(VALU_DEP_2) | instskip(SKIP_1) | instid1(VALU_DEP_3)
	v_lshlrev_b32_e32 v9, 20, v9
	v_lshl_add_u32 v150, v150, 23, 0x3c000000
	v_and_b32_e32 v7, 0x80000000, v7
	s_delay_alu instid0(VALU_DEP_1)
	v_or3_b32 v9, v9, v7, v150
.LBB456_1751:                           ;   in Loop: Header=BB456_991 Depth=1
	s_or_b32 exec_lo, exec_lo, s13
.LBB456_1752:                           ;   in Loop: Header=BB456_991 Depth=1
	s_delay_alu instid0(SALU_CYCLE_1)
	s_or_b32 exec_lo, exec_lo, s12
.LBB456_1753:                           ;   in Loop: Header=BB456_991 Depth=1
	s_delay_alu instid0(SALU_CYCLE_1) | instskip(NEXT) | instid1(VALU_DEP_1)
	s_or_b32 exec_lo, exec_lo, s9
	v_mul_f32_e32 v7, v26, v9
                                        ; implicit-def: $vgpr150
	s_delay_alu instid0(VALU_DEP_1) | instskip(NEXT) | instid1(VALU_DEP_1)
	v_and_b32_e32 v9, 0x7f800000, v7
	v_cmp_ne_u32_e64 s0, 0x7f800000, v9
	s_delay_alu instid0(VALU_DEP_1) | instskip(NEXT) | instid1(SALU_CYCLE_1)
	s_and_saveexec_b32 s9, s0
	s_xor_b32 s0, exec_lo, s9
; %bb.1754:                             ;   in Loop: Header=BB456_991 Depth=1
	v_bfe_u32 v9, v7, 16, 1
	s_delay_alu instid0(VALU_DEP_1)
	v_add3_u32 v150, v7, v9, 0x7fff
                                        ; implicit-def: $vgpr7
; %bb.1755:                             ;   in Loop: Header=BB456_991 Depth=1
	s_and_not1_saveexec_b32 s9, s0
; %bb.1756:                             ;   in Loop: Header=BB456_991 Depth=1
	v_and_b32_e32 v9, 0xffff, v7
	v_or_b32_e32 v150, 0x10000, v7
	s_delay_alu instid0(VALU_DEP_2) | instskip(NEXT) | instid1(VALU_DEP_1)
	v_cmp_eq_u32_e64 s0, 0, v9
	v_cndmask_b32_e64 v150, v150, v7, s0
; %bb.1757:                             ;   in Loop: Header=BB456_991 Depth=1
	s_or_b32 exec_lo, exec_lo, s9
	v_mov_b32_e32 v7, 0
	s_mov_b32 s9, exec_lo
	v_cmpx_lt_u64_e64 s[2:3], v[2:3]
	s_cbranch_execz .LBB456_1765
; %bb.1758:                             ;   in Loop: Header=BB456_991 Depth=1
	v_lshrrev_b32_e32 v2, 24, v3
	v_bfrev_b32_e32 v7, 1
	s_mov_b32 s12, exec_lo
	s_delay_alu instid0(VALU_DEP_2)
	v_cmpx_ne_u32_e32 0x80, v2
	s_cbranch_execz .LBB456_1764
; %bb.1759:                             ;   in Loop: Header=BB456_991 Depth=1
	v_bfe_u32 v151, v3, 24, 7
	v_mov_b32_e32 v7, 0x7f800001
	s_mov_b32 s13, exec_lo
	s_delay_alu instid0(VALU_DEP_2)
	v_cmpx_ne_u32_e32 0x7f, v151
	s_cbranch_execz .LBB456_1763
; %bb.1760:                             ;   in Loop: Header=BB456_991 Depth=1
	v_and_b32_e32 v9, 7, v2
	v_lshrrev_b32_e32 v3, 3, v151
	s_mov_b32 s15, exec_lo
	v_cmpx_gt_u32_e32 8, v151
; %bb.1761:                             ;   in Loop: Header=BB456_991 Depth=1
	s_delay_alu instid0(VALU_DEP_3) | instskip(NEXT) | instid1(VALU_DEP_1)
	v_clz_i32_u32_e32 v3, v9
	v_min_u32_e32 v3, 32, v3
	s_delay_alu instid0(VALU_DEP_1) | instskip(SKIP_1) | instid1(VALU_DEP_2)
	v_subrev_nc_u32_e32 v7, 28, v3
	v_sub_nc_u32_e32 v3, 29, v3
	v_lshlrev_b64 v[160:161], v7, v[9:10]
	s_delay_alu instid0(VALU_DEP_1)
	v_and_b32_e32 v9, 7, v160
; %bb.1762:                             ;   in Loop: Header=BB456_991 Depth=1
	s_or_b32 exec_lo, exec_lo, s15
	v_lshlrev_b32_e32 v2, 24, v2
	s_delay_alu instid0(VALU_DEP_2) | instskip(SKIP_1) | instid1(VALU_DEP_3)
	v_lshlrev_b32_e32 v7, 20, v9
	v_lshl_add_u32 v3, v3, 23, 0x3c000000
	v_and_b32_e32 v2, 0x80000000, v2
	s_delay_alu instid0(VALU_DEP_1)
	v_or3_b32 v7, v7, v2, v3
.LBB456_1763:                           ;   in Loop: Header=BB456_991 Depth=1
	s_or_b32 exec_lo, exec_lo, s13
.LBB456_1764:                           ;   in Loop: Header=BB456_991 Depth=1
	s_delay_alu instid0(SALU_CYCLE_1)
	s_or_b32 exec_lo, exec_lo, s12
.LBB456_1765:                           ;   in Loop: Header=BB456_991 Depth=1
	s_delay_alu instid0(SALU_CYCLE_1) | instskip(NEXT) | instid1(VALU_DEP_1)
	s_or_b32 exec_lo, exec_lo, s9
	v_mul_f32_e32 v3, v26, v7
	s_delay_alu instid0(VALU_DEP_1) | instskip(NEXT) | instid1(VALU_DEP_1)
	v_and_b32_e32 v2, 0x7f800000, v3
	v_cmp_ne_u32_e64 s0, 0x7f800000, v2
                                        ; implicit-def: $vgpr2
	s_delay_alu instid0(VALU_DEP_1) | instskip(NEXT) | instid1(SALU_CYCLE_1)
	s_and_saveexec_b32 s9, s0
	s_xor_b32 s0, exec_lo, s9
; %bb.1766:                             ;   in Loop: Header=BB456_991 Depth=1
	v_bfe_u32 v2, v3, 16, 1
	s_delay_alu instid0(VALU_DEP_1)
	v_add3_u32 v2, v3, v2, 0x7fff
                                        ; implicit-def: $vgpr3
; %bb.1767:                             ;   in Loop: Header=BB456_991 Depth=1
	s_and_not1_saveexec_b32 s9, s0
; %bb.1768:                             ;   in Loop: Header=BB456_991 Depth=1
	v_and_b32_e32 v2, 0xffff, v3
	v_or_b32_e32 v7, 0x10000, v3
	s_delay_alu instid0(VALU_DEP_2) | instskip(NEXT) | instid1(VALU_DEP_1)
	v_cmp_eq_u32_e64 s0, 0, v2
	v_cndmask_b32_e64 v2, v7, v3, s0
; %bb.1769:                             ;   in Loop: Header=BB456_991 Depth=1
	s_or_b32 exec_lo, exec_lo, s9
	v_lshrrev_b32_e32 v6, 16, v6
	v_lshrrev_b32_e32 v7, 16, v149
	;; [unrolled: 1-line block ×8, first 2 shown]
	s_and_saveexec_b32 s9, vcc_lo
	s_cbranch_execz .LBB456_1771
; %bb.1770:                             ;   in Loop: Header=BB456_991 Depth=1
	v_cmp_lt_i32_e64 s0, v54, v35
	s_delay_alu instid0(VALU_DEP_1) | instskip(SKIP_1) | instid1(VALU_DEP_1)
	v_cndmask_b32_e64 v4, 0, v4, s0
	v_cmp_lt_i32_e64 s0, v68, v35
	v_cndmask_b32_e64 v5, 0, v5, s0
	v_cmp_lt_i32_e64 s0, v67, v35
	s_delay_alu instid0(VALU_DEP_1) | instskip(SKIP_1) | instid1(VALU_DEP_1)
	v_cndmask_b32_e64 v23, 0, v23, s0
	v_cmp_lt_i32_e64 s0, v66, v35
	v_cndmask_b32_e64 v9, 0, v9, s0
	;; [unrolled: 5-line block ×4, first 2 shown]
.LBB456_1771:                           ;   in Loop: Header=BB456_991 Depth=1
	s_or_b32 exec_lo, exec_lo, s9
	v_lshlrev_b32_e32 v4, 16, v4
                                        ; implicit-def: $vgpr149
	s_delay_alu instid0(VALU_DEP_1) | instskip(NEXT) | instid1(VALU_DEP_1)
	v_mul_f32_e32 v4, v69, v4
	v_and_b32_e32 v36, 0x7f800000, v4
	s_delay_alu instid0(VALU_DEP_1) | instskip(NEXT) | instid1(VALU_DEP_1)
	v_cmp_ne_u32_e64 s0, 0x7f800000, v36
	s_and_saveexec_b32 s9, s0
	s_delay_alu instid0(SALU_CYCLE_1)
	s_xor_b32 s0, exec_lo, s9
; %bb.1772:                             ;   in Loop: Header=BB456_991 Depth=1
	v_bfe_u32 v36, v4, 16, 1
	s_delay_alu instid0(VALU_DEP_1)
	v_add3_u32 v149, v4, v36, 0x7fff
                                        ; implicit-def: $vgpr4
; %bb.1773:                             ;   in Loop: Header=BB456_991 Depth=1
	s_and_not1_saveexec_b32 s9, s0
; %bb.1774:                             ;   in Loop: Header=BB456_991 Depth=1
	v_and_b32_e32 v36, 0xffff, v4
	v_or_b32_e32 v149, 0x10000, v4
	s_delay_alu instid0(VALU_DEP_2) | instskip(NEXT) | instid1(VALU_DEP_1)
	v_cmp_eq_u32_e64 s0, 0, v36
	v_cndmask_b32_e64 v149, v149, v4, s0
; %bb.1775:                             ;   in Loop: Header=BB456_991 Depth=1
	s_or_b32 exec_lo, exec_lo, s9
	v_lshlrev_b32_e32 v4, 16, v5
                                        ; implicit-def: $vgpr150
	s_delay_alu instid0(VALU_DEP_1) | instskip(NEXT) | instid1(VALU_DEP_1)
	v_mul_f32_e32 v4, v70, v4
	v_and_b32_e32 v5, 0x7f800000, v4
	s_delay_alu instid0(VALU_DEP_1) | instskip(NEXT) | instid1(VALU_DEP_1)
	v_cmp_ne_u32_e64 s0, 0x7f800000, v5
	s_and_saveexec_b32 s9, s0
	s_delay_alu instid0(SALU_CYCLE_1)
	s_xor_b32 s0, exec_lo, s9
; %bb.1776:                             ;   in Loop: Header=BB456_991 Depth=1
	v_bfe_u32 v5, v4, 16, 1
	s_delay_alu instid0(VALU_DEP_1)
	v_add3_u32 v150, v4, v5, 0x7fff
                                        ; implicit-def: $vgpr4
; %bb.1777:                             ;   in Loop: Header=BB456_991 Depth=1
	s_and_not1_saveexec_b32 s9, s0
; %bb.1778:                             ;   in Loop: Header=BB456_991 Depth=1
	v_and_b32_e32 v5, 0xffff, v4
	v_or_b32_e32 v36, 0x10000, v4
	s_delay_alu instid0(VALU_DEP_2) | instskip(NEXT) | instid1(VALU_DEP_1)
	v_cmp_eq_u32_e64 s0, 0, v5
	v_cndmask_b32_e64 v150, v36, v4, s0
; %bb.1779:                             ;   in Loop: Header=BB456_991 Depth=1
	s_or_b32 exec_lo, exec_lo, s9
	v_lshlrev_b32_e32 v4, 16, v23
                                        ; implicit-def: $vgpr151
	s_delay_alu instid0(VALU_DEP_1) | instskip(NEXT) | instid1(VALU_DEP_1)
	v_mul_f32_e32 v4, v71, v4
	v_and_b32_e32 v5, 0x7f800000, v4
	s_delay_alu instid0(VALU_DEP_1) | instskip(NEXT) | instid1(VALU_DEP_1)
	v_cmp_ne_u32_e64 s0, 0x7f800000, v5
	s_and_saveexec_b32 s9, s0
	s_delay_alu instid0(SALU_CYCLE_1)
	s_xor_b32 s0, exec_lo, s9
; %bb.1780:                             ;   in Loop: Header=BB456_991 Depth=1
	v_bfe_u32 v5, v4, 16, 1
	s_delay_alu instid0(VALU_DEP_1)
	v_add3_u32 v151, v4, v5, 0x7fff
                                        ; implicit-def: $vgpr4
; %bb.1781:                             ;   in Loop: Header=BB456_991 Depth=1
	s_and_not1_saveexec_b32 s9, s0
; %bb.1782:                             ;   in Loop: Header=BB456_991 Depth=1
	v_and_b32_e32 v5, 0xffff, v4
	v_or_b32_e32 v23, 0x10000, v4
	s_delay_alu instid0(VALU_DEP_2) | instskip(NEXT) | instid1(VALU_DEP_1)
	v_cmp_eq_u32_e64 s0, 0, v5
	v_cndmask_b32_e64 v151, v23, v4, s0
; %bb.1783:                             ;   in Loop: Header=BB456_991 Depth=1
	s_or_b32 exec_lo, exec_lo, s9
	v_lshlrev_b32_e32 v4, 16, v9
                                        ; implicit-def: $vgpr160
	s_delay_alu instid0(VALU_DEP_1) | instskip(NEXT) | instid1(VALU_DEP_1)
	v_mul_f32_e32 v4, v80, v4
	v_and_b32_e32 v5, 0x7f800000, v4
	s_delay_alu instid0(VALU_DEP_1) | instskip(NEXT) | instid1(VALU_DEP_1)
	v_cmp_ne_u32_e64 s0, 0x7f800000, v5
	s_and_saveexec_b32 s9, s0
	s_delay_alu instid0(SALU_CYCLE_1)
	s_xor_b32 s0, exec_lo, s9
; %bb.1784:                             ;   in Loop: Header=BB456_991 Depth=1
	v_bfe_u32 v5, v4, 16, 1
	s_delay_alu instid0(VALU_DEP_1)
	v_add3_u32 v160, v4, v5, 0x7fff
                                        ; implicit-def: $vgpr4
; %bb.1785:                             ;   in Loop: Header=BB456_991 Depth=1
	s_and_not1_saveexec_b32 s9, s0
; %bb.1786:                             ;   in Loop: Header=BB456_991 Depth=1
	v_and_b32_e32 v5, 0xffff, v4
	v_or_b32_e32 v9, 0x10000, v4
	s_delay_alu instid0(VALU_DEP_2) | instskip(NEXT) | instid1(VALU_DEP_1)
	v_cmp_eq_u32_e64 s0, 0, v5
	v_cndmask_b32_e64 v160, v9, v4, s0
; %bb.1787:                             ;   in Loop: Header=BB456_991 Depth=1
	s_or_b32 exec_lo, exec_lo, s9
	v_lshlrev_b32_e32 v4, 16, v7
                                        ; implicit-def: $vgpr161
	s_delay_alu instid0(VALU_DEP_1) | instskip(NEXT) | instid1(VALU_DEP_1)
	v_mul_f32_e32 v4, v81, v4
	v_and_b32_e32 v5, 0x7f800000, v4
	s_delay_alu instid0(VALU_DEP_1) | instskip(NEXT) | instid1(VALU_DEP_1)
	v_cmp_ne_u32_e64 s0, 0x7f800000, v5
	s_and_saveexec_b32 s9, s0
	s_delay_alu instid0(SALU_CYCLE_1)
	s_xor_b32 s0, exec_lo, s9
; %bb.1788:                             ;   in Loop: Header=BB456_991 Depth=1
	v_bfe_u32 v5, v4, 16, 1
	s_delay_alu instid0(VALU_DEP_1)
	v_add3_u32 v161, v4, v5, 0x7fff
                                        ; implicit-def: $vgpr4
; %bb.1789:                             ;   in Loop: Header=BB456_991 Depth=1
	s_and_not1_saveexec_b32 s9, s0
; %bb.1790:                             ;   in Loop: Header=BB456_991 Depth=1
	v_and_b32_e32 v5, 0xffff, v4
	v_or_b32_e32 v7, 0x10000, v4
	s_delay_alu instid0(VALU_DEP_2) | instskip(NEXT) | instid1(VALU_DEP_1)
	v_cmp_eq_u32_e64 s0, 0, v5
	v_cndmask_b32_e64 v161, v7, v4, s0
; %bb.1791:                             ;   in Loop: Header=BB456_991 Depth=1
	s_or_b32 exec_lo, exec_lo, s9
	v_lshlrev_b32_e32 v4, 16, v6
                                        ; implicit-def: $vgpr162
	s_delay_alu instid0(VALU_DEP_1) | instskip(NEXT) | instid1(VALU_DEP_1)
	v_mul_f32_e32 v4, v82, v4
	v_and_b32_e32 v5, 0x7f800000, v4
	s_delay_alu instid0(VALU_DEP_1) | instskip(NEXT) | instid1(VALU_DEP_1)
	v_cmp_ne_u32_e64 s0, 0x7f800000, v5
	s_and_saveexec_b32 s9, s0
	s_delay_alu instid0(SALU_CYCLE_1)
	s_xor_b32 s0, exec_lo, s9
; %bb.1792:                             ;   in Loop: Header=BB456_991 Depth=1
	v_bfe_u32 v5, v4, 16, 1
	s_delay_alu instid0(VALU_DEP_1)
	v_add3_u32 v162, v4, v5, 0x7fff
                                        ; implicit-def: $vgpr4
; %bb.1793:                             ;   in Loop: Header=BB456_991 Depth=1
	s_and_not1_saveexec_b32 s9, s0
; %bb.1794:                             ;   in Loop: Header=BB456_991 Depth=1
	v_and_b32_e32 v5, 0xffff, v4
	v_or_b32_e32 v6, 0x10000, v4
	s_delay_alu instid0(VALU_DEP_2) | instskip(NEXT) | instid1(VALU_DEP_1)
	v_cmp_eq_u32_e64 s0, 0, v5
	v_cndmask_b32_e64 v162, v6, v4, s0
; %bb.1795:                             ;   in Loop: Header=BB456_991 Depth=1
	s_or_b32 exec_lo, exec_lo, s9
	v_lshlrev_b32_e32 v3, 16, v3
                                        ; implicit-def: $vgpr163
	s_delay_alu instid0(VALU_DEP_1) | instskip(NEXT) | instid1(VALU_DEP_1)
	v_mul_f32_e32 v3, v83, v3
	v_and_b32_e32 v4, 0x7f800000, v3
	s_delay_alu instid0(VALU_DEP_1) | instskip(NEXT) | instid1(VALU_DEP_1)
	v_cmp_ne_u32_e64 s0, 0x7f800000, v4
	s_and_saveexec_b32 s9, s0
	s_delay_alu instid0(SALU_CYCLE_1)
	s_xor_b32 s0, exec_lo, s9
; %bb.1796:                             ;   in Loop: Header=BB456_991 Depth=1
	v_bfe_u32 v4, v3, 16, 1
	s_delay_alu instid0(VALU_DEP_1)
	v_add3_u32 v163, v3, v4, 0x7fff
                                        ; implicit-def: $vgpr3
; %bb.1797:                             ;   in Loop: Header=BB456_991 Depth=1
	s_and_not1_saveexec_b32 s9, s0
; %bb.1798:                             ;   in Loop: Header=BB456_991 Depth=1
	v_and_b32_e32 v4, 0xffff, v3
	v_or_b32_e32 v5, 0x10000, v3
	s_delay_alu instid0(VALU_DEP_2) | instskip(NEXT) | instid1(VALU_DEP_1)
	v_cmp_eq_u32_e64 s0, 0, v4
	v_cndmask_b32_e64 v163, v5, v3, s0
; %bb.1799:                             ;   in Loop: Header=BB456_991 Depth=1
	s_or_b32 exec_lo, exec_lo, s9
	v_lshlrev_b32_e32 v2, 16, v2
                                        ; implicit-def: $vgpr164
	s_delay_alu instid0(VALU_DEP_1) | instskip(NEXT) | instid1(VALU_DEP_1)
	v_mul_f32_e32 v2, v84, v2
	v_and_b32_e32 v3, 0x7f800000, v2
	s_delay_alu instid0(VALU_DEP_1) | instskip(NEXT) | instid1(VALU_DEP_1)
	v_cmp_ne_u32_e64 s0, 0x7f800000, v3
	s_and_saveexec_b32 s9, s0
	s_delay_alu instid0(SALU_CYCLE_1)
	s_xor_b32 s0, exec_lo, s9
; %bb.1800:                             ;   in Loop: Header=BB456_991 Depth=1
	v_bfe_u32 v3, v2, 16, 1
	s_delay_alu instid0(VALU_DEP_1)
	v_add3_u32 v164, v2, v3, 0x7fff
                                        ; implicit-def: $vgpr2
; %bb.1801:                             ;   in Loop: Header=BB456_991 Depth=1
	s_and_not1_saveexec_b32 s9, s0
; %bb.1802:                             ;   in Loop: Header=BB456_991 Depth=1
	v_and_b32_e32 v3, 0xffff, v2
	v_or_b32_e32 v4, 0x10000, v2
	s_delay_alu instid0(VALU_DEP_2) | instskip(NEXT) | instid1(VALU_DEP_1)
	v_cmp_eq_u32_e64 s0, 0, v3
	v_cndmask_b32_e64 v164, v4, v2, s0
; %bb.1803:                             ;   in Loop: Header=BB456_991 Depth=1
	s_or_b32 exec_lo, exec_lo, s9
	flat_load_b64 v[2:3], v[0:1] offset:1536
	s_mov_b32 s9, exec_lo
	s_waitcnt vmcnt(0) lgkmcnt(0)
	v_dual_mov_b32 v4, 0 :: v_dual_and_b32 v5, 0xff, v2
	s_delay_alu instid0(VALU_DEP_1)
	v_cmpx_ne_u16_e32 0, v5
	s_cbranch_execz .LBB456_1811
; %bb.1804:                             ;   in Loop: Header=BB456_991 Depth=1
	v_bfrev_b32_e32 v4, 1
	s_mov_b32 s12, exec_lo
	v_cmpx_ne_u16_e32 0x80, v5
	s_cbranch_execz .LBB456_1810
; %bb.1805:                             ;   in Loop: Header=BB456_991 Depth=1
	v_and_b32_e32 v5, 0x7f, v2
	v_mov_b32_e32 v4, 0x7f800001
	s_mov_b32 s13, exec_lo
	s_delay_alu instid0(VALU_DEP_2)
	v_cmpx_ne_u32_e32 0x7f, v5
	s_cbranch_execz .LBB456_1809
; %bb.1806:                             ;   in Loop: Header=BB456_991 Depth=1
	v_lshrrev_b32_e32 v4, 3, v5
	v_dual_mov_b32 v7, v3 :: v_dual_mov_b32 v6, v2
	s_mov_b32 s15, exec_lo
	v_cmpx_gt_u32_e32 8, v5
; %bb.1807:                             ;   in Loop: Header=BB456_991 Depth=1
	v_and_b32_e32 v4, 7, v2
	s_delay_alu instid0(VALU_DEP_1) | instskip(NEXT) | instid1(VALU_DEP_1)
	v_clz_i32_u32_e32 v4, v4
	v_min_u32_e32 v4, 32, v4
	s_delay_alu instid0(VALU_DEP_1) | instskip(SKIP_1) | instid1(VALU_DEP_2)
	v_subrev_nc_u32_e32 v5, 28, v4
	v_sub_nc_u32_e32 v4, 29, v4
	v_lshlrev_b64 v[6:7], v5, v[2:3]
; %bb.1808:                             ;   in Loop: Header=BB456_991 Depth=1
	s_or_b32 exec_lo, exec_lo, s15
	s_delay_alu instid0(VALU_DEP_1) | instskip(SKIP_2) | instid1(VALU_DEP_3)
	v_lshlrev_b32_e32 v5, 20, v6
	v_lshlrev_b32_e32 v6, 24, v2
	v_lshl_add_u32 v4, v4, 23, 0x3c000000
	v_and_b32_e32 v5, 0x700000, v5
	s_delay_alu instid0(VALU_DEP_3) | instskip(NEXT) | instid1(VALU_DEP_1)
	v_and_b32_e32 v6, 0x80000000, v6
	v_or3_b32 v4, v5, v6, v4
.LBB456_1809:                           ;   in Loop: Header=BB456_991 Depth=1
	s_or_b32 exec_lo, exec_lo, s13
.LBB456_1810:                           ;   in Loop: Header=BB456_991 Depth=1
	s_delay_alu instid0(SALU_CYCLE_1)
	s_or_b32 exec_lo, exec_lo, s12
.LBB456_1811:                           ;   in Loop: Header=BB456_991 Depth=1
	s_delay_alu instid0(SALU_CYCLE_1) | instskip(NEXT) | instid1(VALU_DEP_1)
	s_or_b32 exec_lo, exec_lo, s9
	v_mul_f32_e32 v5, v26, v4
	s_delay_alu instid0(VALU_DEP_1) | instskip(NEXT) | instid1(VALU_DEP_1)
	v_and_b32_e32 v4, 0x7f800000, v5
	v_cmp_ne_u32_e64 s0, 0x7f800000, v4
                                        ; implicit-def: $vgpr4
	s_delay_alu instid0(VALU_DEP_1) | instskip(NEXT) | instid1(SALU_CYCLE_1)
	s_and_saveexec_b32 s9, s0
	s_xor_b32 s0, exec_lo, s9
; %bb.1812:                             ;   in Loop: Header=BB456_991 Depth=1
	v_bfe_u32 v4, v5, 16, 1
	s_delay_alu instid0(VALU_DEP_1)
	v_add3_u32 v4, v5, v4, 0x7fff
                                        ; implicit-def: $vgpr5
; %bb.1813:                             ;   in Loop: Header=BB456_991 Depth=1
	s_and_not1_saveexec_b32 s9, s0
; %bb.1814:                             ;   in Loop: Header=BB456_991 Depth=1
	v_and_b32_e32 v4, 0xffff, v5
	v_or_b32_e32 v6, 0x10000, v5
	s_delay_alu instid0(VALU_DEP_2) | instskip(NEXT) | instid1(VALU_DEP_1)
	v_cmp_eq_u32_e64 s0, 0, v4
	v_cndmask_b32_e64 v4, v6, v5, s0
; %bb.1815:                             ;   in Loop: Header=BB456_991 Depth=1
	s_or_b32 exec_lo, exec_lo, s9
	v_lshrrev_b16 v6, 8, v2
	v_mov_b32_e32 v5, 0
	s_mov_b32 s9, exec_lo
	s_delay_alu instid0(VALU_DEP_2)
	v_cmpx_ne_u16_e32 0, v6
	s_cbranch_execz .LBB456_1823
; %bb.1816:                             ;   in Loop: Header=BB456_991 Depth=1
	v_bfrev_b32_e32 v5, 1
	s_mov_b32 s12, exec_lo
	v_cmpx_ne_u16_e32 0x80, v6
	s_cbranch_execz .LBB456_1822
; %bb.1817:                             ;   in Loop: Header=BB456_991 Depth=1
	v_and_b32_e32 v7, 0xffff, v6
	v_mov_b32_e32 v5, 0x7f800001
	s_mov_b32 s13, exec_lo
	s_delay_alu instid0(VALU_DEP_2) | instskip(NEXT) | instid1(VALU_DEP_1)
	v_and_b32_e32 v6, 0x7f, v7
	v_cmpx_ne_u32_e32 0x7f, v6
	s_cbranch_execz .LBB456_1821
; %bb.1818:                             ;   in Loop: Header=BB456_991 Depth=1
	v_and_b32_e32 v9, 7, v7
	v_lshrrev_b32_e32 v5, 3, v6
	s_mov_b32 s15, exec_lo
	v_cmpx_gt_u32_e32 8, v6
; %bb.1819:                             ;   in Loop: Header=BB456_991 Depth=1
	s_delay_alu instid0(VALU_DEP_3) | instskip(NEXT) | instid1(VALU_DEP_1)
	v_clz_i32_u32_e32 v5, v9
	v_min_u32_e32 v5, 32, v5
	s_delay_alu instid0(VALU_DEP_1) | instskip(SKIP_1) | instid1(VALU_DEP_2)
	v_subrev_nc_u32_e32 v6, 28, v5
	v_sub_nc_u32_e32 v5, 29, v5
	v_lshlrev_b64 v[6:7], v6, v[9:10]
	s_delay_alu instid0(VALU_DEP_1)
	v_and_b32_e32 v9, 7, v6
; %bb.1820:                             ;   in Loop: Header=BB456_991 Depth=1
	s_or_b32 exec_lo, exec_lo, s15
	v_lshlrev_b32_e32 v6, 16, v2
	s_delay_alu instid0(VALU_DEP_2) | instskip(SKIP_1) | instid1(VALU_DEP_3)
	v_lshlrev_b32_e32 v7, 20, v9
	v_lshl_add_u32 v5, v5, 23, 0x3c000000
	v_and_b32_e32 v6, 0x80000000, v6
	s_delay_alu instid0(VALU_DEP_1)
	v_or3_b32 v5, v7, v6, v5
.LBB456_1821:                           ;   in Loop: Header=BB456_991 Depth=1
	s_or_b32 exec_lo, exec_lo, s13
.LBB456_1822:                           ;   in Loop: Header=BB456_991 Depth=1
	s_delay_alu instid0(SALU_CYCLE_1)
	s_or_b32 exec_lo, exec_lo, s12
.LBB456_1823:                           ;   in Loop: Header=BB456_991 Depth=1
	s_delay_alu instid0(SALU_CYCLE_1) | instskip(NEXT) | instid1(VALU_DEP_1)
	s_or_b32 exec_lo, exec_lo, s9
	v_mul_f32_e32 v6, v26, v5
	s_delay_alu instid0(VALU_DEP_1) | instskip(NEXT) | instid1(VALU_DEP_1)
	v_and_b32_e32 v5, 0x7f800000, v6
	v_cmp_ne_u32_e64 s0, 0x7f800000, v5
                                        ; implicit-def: $vgpr5
	s_delay_alu instid0(VALU_DEP_1) | instskip(NEXT) | instid1(SALU_CYCLE_1)
	s_and_saveexec_b32 s9, s0
	s_xor_b32 s0, exec_lo, s9
; %bb.1824:                             ;   in Loop: Header=BB456_991 Depth=1
	v_bfe_u32 v5, v6, 16, 1
	s_delay_alu instid0(VALU_DEP_1)
	v_add3_u32 v5, v6, v5, 0x7fff
                                        ; implicit-def: $vgpr6
; %bb.1825:                             ;   in Loop: Header=BB456_991 Depth=1
	s_and_not1_saveexec_b32 s9, s0
; %bb.1826:                             ;   in Loop: Header=BB456_991 Depth=1
	v_and_b32_e32 v5, 0xffff, v6
	v_or_b32_e32 v7, 0x10000, v6
	s_delay_alu instid0(VALU_DEP_2) | instskip(NEXT) | instid1(VALU_DEP_1)
	v_cmp_eq_u32_e64 s0, 0, v5
	v_cndmask_b32_e64 v5, v7, v6, s0
; %bb.1827:                             ;   in Loop: Header=BB456_991 Depth=1
	s_or_b32 exec_lo, exec_lo, s9
	v_lshrrev_b32_e32 v6, 16, v2
	v_mov_b32_e32 v7, 0
	s_mov_b32 s9, exec_lo
	s_delay_alu instid0(VALU_DEP_2) | instskip(NEXT) | instid1(VALU_DEP_1)
	v_and_b32_e32 v9, 0xff, v6
	v_cmpx_ne_u16_e32 0, v9
	s_cbranch_execz .LBB456_1835
; %bb.1828:                             ;   in Loop: Header=BB456_991 Depth=1
	v_bfrev_b32_e32 v7, 1
	s_mov_b32 s12, exec_lo
	v_cmpx_ne_u16_e32 0x80, v9
	s_cbranch_execz .LBB456_1834
; %bb.1829:                             ;   in Loop: Header=BB456_991 Depth=1
	v_bfe_u32 v23, v2, 16, 7
	v_mov_b32_e32 v7, 0x7f800001
	s_mov_b32 s13, exec_lo
	s_delay_alu instid0(VALU_DEP_2)
	v_cmpx_ne_u32_e32 0x7f, v23
	s_cbranch_execz .LBB456_1833
; %bb.1830:                             ;   in Loop: Header=BB456_991 Depth=1
	v_and_b32_e32 v9, 7, v6
	v_lshrrev_b32_e32 v7, 3, v23
	s_mov_b32 s15, exec_lo
	v_cmpx_gt_u32_e32 8, v23
; %bb.1831:                             ;   in Loop: Header=BB456_991 Depth=1
	s_delay_alu instid0(VALU_DEP_3) | instskip(NEXT) | instid1(VALU_DEP_1)
	v_clz_i32_u32_e32 v7, v9
	v_min_u32_e32 v7, 32, v7
	s_delay_alu instid0(VALU_DEP_1) | instskip(SKIP_1) | instid1(VALU_DEP_2)
	v_subrev_nc_u32_e32 v23, 28, v7
	v_sub_nc_u32_e32 v7, 29, v7
	v_lshlrev_b64 v[165:166], v23, v[9:10]
	s_delay_alu instid0(VALU_DEP_1)
	v_and_b32_e32 v9, 7, v165
; %bb.1832:                             ;   in Loop: Header=BB456_991 Depth=1
	s_or_b32 exec_lo, exec_lo, s15
	v_lshlrev_b32_e32 v6, 24, v6
	s_delay_alu instid0(VALU_DEP_2) | instskip(SKIP_1) | instid1(VALU_DEP_3)
	v_lshlrev_b32_e32 v9, 20, v9
	v_lshl_add_u32 v7, v7, 23, 0x3c000000
	v_and_b32_e32 v6, 0x80000000, v6
	s_delay_alu instid0(VALU_DEP_1)
	v_or3_b32 v7, v9, v6, v7
.LBB456_1833:                           ;   in Loop: Header=BB456_991 Depth=1
	s_or_b32 exec_lo, exec_lo, s13
.LBB456_1834:                           ;   in Loop: Header=BB456_991 Depth=1
	s_delay_alu instid0(SALU_CYCLE_1)
	s_or_b32 exec_lo, exec_lo, s12
.LBB456_1835:                           ;   in Loop: Header=BB456_991 Depth=1
	s_delay_alu instid0(SALU_CYCLE_1) | instskip(NEXT) | instid1(VALU_DEP_1)
	s_or_b32 exec_lo, exec_lo, s9
	v_mul_f32_e32 v6, v26, v7
                                        ; implicit-def: $vgpr23
	s_delay_alu instid0(VALU_DEP_1) | instskip(NEXT) | instid1(VALU_DEP_1)
	v_and_b32_e32 v7, 0x7f800000, v6
	v_cmp_ne_u32_e64 s0, 0x7f800000, v7
	s_delay_alu instid0(VALU_DEP_1) | instskip(NEXT) | instid1(SALU_CYCLE_1)
	s_and_saveexec_b32 s9, s0
	s_xor_b32 s0, exec_lo, s9
; %bb.1836:                             ;   in Loop: Header=BB456_991 Depth=1
	v_bfe_u32 v7, v6, 16, 1
	s_delay_alu instid0(VALU_DEP_1)
	v_add3_u32 v23, v6, v7, 0x7fff
                                        ; implicit-def: $vgpr6
; %bb.1837:                             ;   in Loop: Header=BB456_991 Depth=1
	s_and_not1_saveexec_b32 s9, s0
; %bb.1838:                             ;   in Loop: Header=BB456_991 Depth=1
	v_and_b32_e32 v7, 0xffff, v6
	v_or_b32_e32 v9, 0x10000, v6
	s_delay_alu instid0(VALU_DEP_2) | instskip(NEXT) | instid1(VALU_DEP_1)
	v_cmp_eq_u32_e64 s0, 0, v7
	v_cndmask_b32_e64 v23, v9, v6, s0
; %bb.1839:                             ;   in Loop: Header=BB456_991 Depth=1
	s_or_b32 exec_lo, exec_lo, s9
	v_mov_b32_e32 v7, 0
	s_mov_b32 s9, exec_lo
	v_cmpx_lt_u32_e32 0xffffff, v2
	s_cbranch_execz .LBB456_1847
; %bb.1840:                             ;   in Loop: Header=BB456_991 Depth=1
	v_lshrrev_b32_e32 v6, 24, v2
	v_bfrev_b32_e32 v7, 1
	s_mov_b32 s12, exec_lo
	s_delay_alu instid0(VALU_DEP_2)
	v_cmpx_ne_u32_e32 0x80, v6
	s_cbranch_execz .LBB456_1846
; %bb.1841:                             ;   in Loop: Header=BB456_991 Depth=1
	v_bfe_u32 v36, v2, 24, 7
	v_mov_b32_e32 v7, 0x7f800001
	s_mov_b32 s13, exec_lo
	s_delay_alu instid0(VALU_DEP_2)
	v_cmpx_ne_u32_e32 0x7f, v36
	s_cbranch_execz .LBB456_1845
; %bb.1842:                             ;   in Loop: Header=BB456_991 Depth=1
	v_and_b32_e32 v9, 7, v6
	v_lshrrev_b32_e32 v7, 3, v36
	s_mov_b32 s15, exec_lo
	v_cmpx_gt_u32_e32 8, v36
; %bb.1843:                             ;   in Loop: Header=BB456_991 Depth=1
	s_delay_alu instid0(VALU_DEP_3) | instskip(NEXT) | instid1(VALU_DEP_1)
	v_clz_i32_u32_e32 v7, v9
	v_min_u32_e32 v7, 32, v7
	s_delay_alu instid0(VALU_DEP_1) | instskip(SKIP_1) | instid1(VALU_DEP_2)
	v_subrev_nc_u32_e32 v36, 28, v7
	v_sub_nc_u32_e32 v7, 29, v7
	v_lshlrev_b64 v[165:166], v36, v[9:10]
	s_delay_alu instid0(VALU_DEP_1)
	v_and_b32_e32 v9, 7, v165
; %bb.1844:                             ;   in Loop: Header=BB456_991 Depth=1
	s_or_b32 exec_lo, exec_lo, s15
	v_lshlrev_b32_e32 v6, 24, v6
	s_delay_alu instid0(VALU_DEP_2) | instskip(SKIP_1) | instid1(VALU_DEP_3)
	v_lshlrev_b32_e32 v9, 20, v9
	v_lshl_add_u32 v7, v7, 23, 0x3c000000
	v_and_b32_e32 v6, 0x80000000, v6
	s_delay_alu instid0(VALU_DEP_1)
	v_or3_b32 v7, v9, v6, v7
.LBB456_1845:                           ;   in Loop: Header=BB456_991 Depth=1
	s_or_b32 exec_lo, exec_lo, s13
.LBB456_1846:                           ;   in Loop: Header=BB456_991 Depth=1
	s_delay_alu instid0(SALU_CYCLE_1)
	s_or_b32 exec_lo, exec_lo, s12
.LBB456_1847:                           ;   in Loop: Header=BB456_991 Depth=1
	s_delay_alu instid0(SALU_CYCLE_1) | instskip(NEXT) | instid1(VALU_DEP_1)
	s_or_b32 exec_lo, exec_lo, s9
	v_mul_f32_e32 v6, v26, v7
                                        ; implicit-def: $vgpr36
	s_delay_alu instid0(VALU_DEP_1) | instskip(NEXT) | instid1(VALU_DEP_1)
	v_and_b32_e32 v7, 0x7f800000, v6
	v_cmp_ne_u32_e64 s0, 0x7f800000, v7
	s_delay_alu instid0(VALU_DEP_1) | instskip(NEXT) | instid1(SALU_CYCLE_1)
	s_and_saveexec_b32 s9, s0
	s_xor_b32 s0, exec_lo, s9
; %bb.1848:                             ;   in Loop: Header=BB456_991 Depth=1
	v_bfe_u32 v7, v6, 16, 1
	s_delay_alu instid0(VALU_DEP_1)
	v_add3_u32 v36, v6, v7, 0x7fff
                                        ; implicit-def: $vgpr6
; %bb.1849:                             ;   in Loop: Header=BB456_991 Depth=1
	s_and_not1_saveexec_b32 s9, s0
; %bb.1850:                             ;   in Loop: Header=BB456_991 Depth=1
	v_and_b32_e32 v7, 0xffff, v6
	v_or_b32_e32 v9, 0x10000, v6
	s_delay_alu instid0(VALU_DEP_2) | instskip(NEXT) | instid1(VALU_DEP_1)
	v_cmp_eq_u32_e64 s0, 0, v7
	v_cndmask_b32_e64 v36, v9, v6, s0
; %bb.1851:                             ;   in Loop: Header=BB456_991 Depth=1
	s_or_b32 exec_lo, exec_lo, s9
	v_dual_mov_b32 v6, 0 :: v_dual_and_b32 v7, 0xff, v3
	v_mov_b32_e32 v9, v3
	s_mov_b32 s9, exec_lo
	s_delay_alu instid0(VALU_DEP_2)
	v_cmpx_ne_u16_e32 0, v7
	s_cbranch_execz .LBB456_1859
; %bb.1852:                             ;   in Loop: Header=BB456_991 Depth=1
	v_bfrev_b32_e32 v6, 1
	s_mov_b32 s12, exec_lo
	v_cmpx_ne_u16_e32 0x80, v7
	s_cbranch_execz .LBB456_1858
; %bb.1853:                             ;   in Loop: Header=BB456_991 Depth=1
	v_and_b32_e32 v7, 0x7f, v3
	v_mov_b32_e32 v6, 0x7f800001
	s_mov_b32 s13, exec_lo
	s_delay_alu instid0(VALU_DEP_2)
	v_cmpx_ne_u32_e32 0x7f, v7
	s_cbranch_execz .LBB456_1857
; %bb.1854:                             ;   in Loop: Header=BB456_991 Depth=1
	v_lshrrev_b32_e32 v165, 3, v7
	v_cmp_gt_u32_e64 s0, 8, v7
	v_dual_mov_b32 v6, v9 :: v_dual_mov_b32 v7, v10
	s_delay_alu instid0(VALU_DEP_2)
	s_and_saveexec_b32 s15, s0
; %bb.1855:                             ;   in Loop: Header=BB456_991 Depth=1
	v_and_b32_e32 v6, 7, v3
	s_delay_alu instid0(VALU_DEP_1) | instskip(NEXT) | instid1(VALU_DEP_1)
	v_clz_i32_u32_e32 v6, v6
	v_min_u32_e32 v165, 32, v6
	s_delay_alu instid0(VALU_DEP_1) | instskip(SKIP_1) | instid1(VALU_DEP_2)
	v_subrev_nc_u32_e32 v6, 28, v165
	v_sub_nc_u32_e32 v165, 29, v165
	v_lshlrev_b64 v[6:7], v6, v[9:10]
; %bb.1856:                             ;   in Loop: Header=BB456_991 Depth=1
	s_or_b32 exec_lo, exec_lo, s15
	s_delay_alu instid0(VALU_DEP_1) | instskip(SKIP_2) | instid1(VALU_DEP_3)
	v_lshlrev_b32_e32 v6, 20, v6
	v_lshlrev_b32_e32 v7, 24, v9
	v_lshl_add_u32 v165, v165, 23, 0x3c000000
	v_and_b32_e32 v6, 0x700000, v6
	s_delay_alu instid0(VALU_DEP_3) | instskip(NEXT) | instid1(VALU_DEP_1)
	v_and_b32_e32 v7, 0x80000000, v7
	v_or3_b32 v6, v6, v7, v165
.LBB456_1857:                           ;   in Loop: Header=BB456_991 Depth=1
	s_or_b32 exec_lo, exec_lo, s13
.LBB456_1858:                           ;   in Loop: Header=BB456_991 Depth=1
	s_delay_alu instid0(SALU_CYCLE_1)
	s_or_b32 exec_lo, exec_lo, s12
.LBB456_1859:                           ;   in Loop: Header=BB456_991 Depth=1
	s_delay_alu instid0(SALU_CYCLE_1) | instskip(NEXT) | instid1(VALU_DEP_1)
	s_or_b32 exec_lo, exec_lo, s9
	v_mul_f32_e32 v6, v26, v6
                                        ; implicit-def: $vgpr165
	s_delay_alu instid0(VALU_DEP_1) | instskip(NEXT) | instid1(VALU_DEP_1)
	v_and_b32_e32 v7, 0x7f800000, v6
	v_cmp_ne_u32_e64 s0, 0x7f800000, v7
	s_delay_alu instid0(VALU_DEP_1) | instskip(NEXT) | instid1(SALU_CYCLE_1)
	s_and_saveexec_b32 s9, s0
	s_xor_b32 s0, exec_lo, s9
; %bb.1860:                             ;   in Loop: Header=BB456_991 Depth=1
	v_bfe_u32 v7, v6, 16, 1
	s_delay_alu instid0(VALU_DEP_1)
	v_add3_u32 v165, v6, v7, 0x7fff
                                        ; implicit-def: $vgpr6
; %bb.1861:                             ;   in Loop: Header=BB456_991 Depth=1
	s_and_not1_saveexec_b32 s9, s0
; %bb.1862:                             ;   in Loop: Header=BB456_991 Depth=1
	v_and_b32_e32 v7, 0xffff, v6
	v_or_b32_e32 v165, 0x10000, v6
	s_delay_alu instid0(VALU_DEP_2) | instskip(NEXT) | instid1(VALU_DEP_1)
	v_cmp_eq_u32_e64 s0, 0, v7
	v_cndmask_b32_e64 v165, v165, v6, s0
; %bb.1863:                             ;   in Loop: Header=BB456_991 Depth=1
	s_or_b32 exec_lo, exec_lo, s9
	v_lshrrev_b16 v7, 8, v9
	v_mov_b32_e32 v6, 0
	s_mov_b32 s9, exec_lo
	s_delay_alu instid0(VALU_DEP_2)
	v_cmpx_ne_u16_e32 0, v7
	s_cbranch_execz .LBB456_1871
; %bb.1864:                             ;   in Loop: Header=BB456_991 Depth=1
	v_bfrev_b32_e32 v6, 1
	s_mov_b32 s12, exec_lo
	v_cmpx_ne_u16_e32 0x80, v7
	s_cbranch_execz .LBB456_1870
; %bb.1865:                             ;   in Loop: Header=BB456_991 Depth=1
	v_and_b32_e32 v7, 0xffff, v7
	v_mov_b32_e32 v6, 0x7f800001
	s_mov_b32 s13, exec_lo
	s_delay_alu instid0(VALU_DEP_2) | instskip(NEXT) | instid1(VALU_DEP_1)
	v_and_b32_e32 v167, 0x7f, v7
	v_cmpx_ne_u32_e32 0x7f, v167
	s_cbranch_execz .LBB456_1869
; %bb.1866:                             ;   in Loop: Header=BB456_991 Depth=1
	v_dual_mov_b32 v7, v10 :: v_dual_and_b32 v6, 7, v7
	v_lshrrev_b32_e32 v166, 3, v167
	s_mov_b32 s15, exec_lo
	v_cmpx_gt_u32_e32 8, v167
; %bb.1867:                             ;   in Loop: Header=BB456_991 Depth=1
	s_delay_alu instid0(VALU_DEP_3) | instskip(NEXT) | instid1(VALU_DEP_1)
	v_clz_i32_u32_e32 v166, v6
	v_min_u32_e32 v166, 32, v166
	s_delay_alu instid0(VALU_DEP_1) | instskip(SKIP_1) | instid1(VALU_DEP_2)
	v_subrev_nc_u32_e32 v167, 28, v166
	v_sub_nc_u32_e32 v166, 29, v166
	v_lshlrev_b64 v[6:7], v167, v[6:7]
	s_delay_alu instid0(VALU_DEP_1)
	v_and_b32_e32 v6, 7, v6
; %bb.1868:                             ;   in Loop: Header=BB456_991 Depth=1
	s_or_b32 exec_lo, exec_lo, s15
	v_lshlrev_b32_e32 v7, 16, v9
	s_delay_alu instid0(VALU_DEP_2) | instskip(SKIP_1) | instid1(VALU_DEP_3)
	v_lshlrev_b32_e32 v6, 20, v6
	v_lshl_add_u32 v9, v166, 23, 0x3c000000
	v_and_b32_e32 v7, 0x80000000, v7
	s_delay_alu instid0(VALU_DEP_1)
	v_or3_b32 v6, v6, v7, v9
.LBB456_1869:                           ;   in Loop: Header=BB456_991 Depth=1
	s_or_b32 exec_lo, exec_lo, s13
.LBB456_1870:                           ;   in Loop: Header=BB456_991 Depth=1
	s_delay_alu instid0(SALU_CYCLE_1)
	s_or_b32 exec_lo, exec_lo, s12
.LBB456_1871:                           ;   in Loop: Header=BB456_991 Depth=1
	s_delay_alu instid0(SALU_CYCLE_1) | instskip(NEXT) | instid1(VALU_DEP_1)
	s_or_b32 exec_lo, exec_lo, s9
	v_mul_f32_e32 v7, v26, v6
	s_delay_alu instid0(VALU_DEP_1) | instskip(NEXT) | instid1(VALU_DEP_1)
	v_and_b32_e32 v6, 0x7f800000, v7
	v_cmp_ne_u32_e64 s0, 0x7f800000, v6
                                        ; implicit-def: $vgpr6
	s_delay_alu instid0(VALU_DEP_1) | instskip(NEXT) | instid1(SALU_CYCLE_1)
	s_and_saveexec_b32 s9, s0
	s_xor_b32 s0, exec_lo, s9
; %bb.1872:                             ;   in Loop: Header=BB456_991 Depth=1
	v_bfe_u32 v6, v7, 16, 1
	s_delay_alu instid0(VALU_DEP_1)
	v_add3_u32 v6, v7, v6, 0x7fff
                                        ; implicit-def: $vgpr7
; %bb.1873:                             ;   in Loop: Header=BB456_991 Depth=1
	s_and_not1_saveexec_b32 s9, s0
; %bb.1874:                             ;   in Loop: Header=BB456_991 Depth=1
	v_and_b32_e32 v6, 0xffff, v7
	v_or_b32_e32 v9, 0x10000, v7
	s_delay_alu instid0(VALU_DEP_2) | instskip(NEXT) | instid1(VALU_DEP_1)
	v_cmp_eq_u32_e64 s0, 0, v6
	v_cndmask_b32_e64 v6, v9, v7, s0
; %bb.1875:                             ;   in Loop: Header=BB456_991 Depth=1
	s_or_b32 exec_lo, exec_lo, s9
	v_lshrrev_b32_e32 v7, 16, v3
	s_mov_b32 s9, exec_lo
	s_delay_alu instid0(VALU_DEP_1) | instskip(NEXT) | instid1(VALU_DEP_1)
	v_dual_mov_b32 v9, 0 :: v_dual_and_b32 v166, 0xff, v7
	v_cmpx_ne_u16_e64 0, v166
	s_cbranch_execz .LBB456_1883
; %bb.1876:                             ;   in Loop: Header=BB456_991 Depth=1
	v_bfrev_b32_e32 v9, 1
	s_mov_b32 s12, exec_lo
	v_cmpx_ne_u16_e64 0x80, v166
	s_cbranch_execz .LBB456_1882
; %bb.1877:                             ;   in Loop: Header=BB456_991 Depth=1
	v_bfe_u32 v167, v3, 16, 7
	v_mov_b32_e32 v9, 0x7f800001
	s_mov_b32 s13, exec_lo
	s_delay_alu instid0(VALU_DEP_2)
	v_cmpx_ne_u32_e32 0x7f, v167
	s_cbranch_execz .LBB456_1881
; %bb.1878:                             ;   in Loop: Header=BB456_991 Depth=1
	v_and_b32_e32 v9, 7, v7
	v_lshrrev_b32_e32 v166, 3, v167
	s_mov_b32 s15, exec_lo
	v_cmpx_gt_u32_e32 8, v167
; %bb.1879:                             ;   in Loop: Header=BB456_991 Depth=1
	s_delay_alu instid0(VALU_DEP_3) | instskip(NEXT) | instid1(VALU_DEP_1)
	v_clz_i32_u32_e32 v166, v9
	v_min_u32_e32 v166, 32, v166
	s_delay_alu instid0(VALU_DEP_1) | instskip(SKIP_1) | instid1(VALU_DEP_2)
	v_subrev_nc_u32_e32 v167, 28, v166
	v_sub_nc_u32_e32 v166, 29, v166
	v_lshlrev_b64 v[176:177], v167, v[9:10]
	s_delay_alu instid0(VALU_DEP_1)
	v_and_b32_e32 v9, 7, v176
; %bb.1880:                             ;   in Loop: Header=BB456_991 Depth=1
	s_or_b32 exec_lo, exec_lo, s15
	v_lshlrev_b32_e32 v7, 24, v7
	s_delay_alu instid0(VALU_DEP_2) | instskip(SKIP_1) | instid1(VALU_DEP_3)
	v_lshlrev_b32_e32 v9, 20, v9
	v_lshl_add_u32 v166, v166, 23, 0x3c000000
	v_and_b32_e32 v7, 0x80000000, v7
	s_delay_alu instid0(VALU_DEP_1)
	v_or3_b32 v9, v9, v7, v166
.LBB456_1881:                           ;   in Loop: Header=BB456_991 Depth=1
	s_or_b32 exec_lo, exec_lo, s13
.LBB456_1882:                           ;   in Loop: Header=BB456_991 Depth=1
	s_delay_alu instid0(SALU_CYCLE_1)
	s_or_b32 exec_lo, exec_lo, s12
.LBB456_1883:                           ;   in Loop: Header=BB456_991 Depth=1
	s_delay_alu instid0(SALU_CYCLE_1) | instskip(NEXT) | instid1(VALU_DEP_1)
	s_or_b32 exec_lo, exec_lo, s9
	v_mul_f32_e32 v7, v26, v9
                                        ; implicit-def: $vgpr166
	s_delay_alu instid0(VALU_DEP_1) | instskip(NEXT) | instid1(VALU_DEP_1)
	v_and_b32_e32 v9, 0x7f800000, v7
	v_cmp_ne_u32_e64 s0, 0x7f800000, v9
	s_delay_alu instid0(VALU_DEP_1) | instskip(NEXT) | instid1(SALU_CYCLE_1)
	s_and_saveexec_b32 s9, s0
	s_xor_b32 s0, exec_lo, s9
; %bb.1884:                             ;   in Loop: Header=BB456_991 Depth=1
	v_bfe_u32 v9, v7, 16, 1
	s_delay_alu instid0(VALU_DEP_1)
	v_add3_u32 v166, v7, v9, 0x7fff
                                        ; implicit-def: $vgpr7
; %bb.1885:                             ;   in Loop: Header=BB456_991 Depth=1
	s_and_not1_saveexec_b32 s9, s0
; %bb.1886:                             ;   in Loop: Header=BB456_991 Depth=1
	v_and_b32_e32 v9, 0xffff, v7
	v_or_b32_e32 v166, 0x10000, v7
	s_delay_alu instid0(VALU_DEP_2) | instskip(NEXT) | instid1(VALU_DEP_1)
	v_cmp_eq_u32_e64 s0, 0, v9
	v_cndmask_b32_e64 v166, v166, v7, s0
; %bb.1887:                             ;   in Loop: Header=BB456_991 Depth=1
	s_or_b32 exec_lo, exec_lo, s9
	v_mov_b32_e32 v7, 0
	s_mov_b32 s9, exec_lo
	v_cmpx_lt_u64_e64 s[2:3], v[2:3]
	s_cbranch_execz .LBB456_1895
; %bb.1888:                             ;   in Loop: Header=BB456_991 Depth=1
	v_lshrrev_b32_e32 v2, 24, v3
	v_bfrev_b32_e32 v7, 1
	s_mov_b32 s12, exec_lo
	s_delay_alu instid0(VALU_DEP_2)
	v_cmpx_ne_u32_e32 0x80, v2
	s_cbranch_execz .LBB456_1894
; %bb.1889:                             ;   in Loop: Header=BB456_991 Depth=1
	v_bfe_u32 v167, v3, 24, 7
	v_mov_b32_e32 v7, 0x7f800001
	s_mov_b32 s13, exec_lo
	s_delay_alu instid0(VALU_DEP_2)
	v_cmpx_ne_u32_e32 0x7f, v167
	s_cbranch_execz .LBB456_1893
; %bb.1890:                             ;   in Loop: Header=BB456_991 Depth=1
	v_and_b32_e32 v9, 7, v2
	v_lshrrev_b32_e32 v3, 3, v167
	s_mov_b32 s15, exec_lo
	v_cmpx_gt_u32_e32 8, v167
; %bb.1891:                             ;   in Loop: Header=BB456_991 Depth=1
	s_delay_alu instid0(VALU_DEP_3) | instskip(NEXT) | instid1(VALU_DEP_1)
	v_clz_i32_u32_e32 v3, v9
	v_min_u32_e32 v3, 32, v3
	s_delay_alu instid0(VALU_DEP_1) | instskip(SKIP_1) | instid1(VALU_DEP_2)
	v_subrev_nc_u32_e32 v7, 28, v3
	v_sub_nc_u32_e32 v3, 29, v3
	v_lshlrev_b64 v[176:177], v7, v[9:10]
	s_delay_alu instid0(VALU_DEP_1)
	v_and_b32_e32 v9, 7, v176
; %bb.1892:                             ;   in Loop: Header=BB456_991 Depth=1
	s_or_b32 exec_lo, exec_lo, s15
	v_lshlrev_b32_e32 v2, 24, v2
	s_delay_alu instid0(VALU_DEP_2) | instskip(SKIP_1) | instid1(VALU_DEP_3)
	v_lshlrev_b32_e32 v7, 20, v9
	v_lshl_add_u32 v3, v3, 23, 0x3c000000
	v_and_b32_e32 v2, 0x80000000, v2
	s_delay_alu instid0(VALU_DEP_1)
	v_or3_b32 v7, v7, v2, v3
.LBB456_1893:                           ;   in Loop: Header=BB456_991 Depth=1
	s_or_b32 exec_lo, exec_lo, s13
.LBB456_1894:                           ;   in Loop: Header=BB456_991 Depth=1
	s_delay_alu instid0(SALU_CYCLE_1)
	s_or_b32 exec_lo, exec_lo, s12
.LBB456_1895:                           ;   in Loop: Header=BB456_991 Depth=1
	s_delay_alu instid0(SALU_CYCLE_1) | instskip(NEXT) | instid1(VALU_DEP_1)
	s_or_b32 exec_lo, exec_lo, s9
	v_mul_f32_e32 v3, v26, v7
	s_delay_alu instid0(VALU_DEP_1) | instskip(NEXT) | instid1(VALU_DEP_1)
	v_and_b32_e32 v2, 0x7f800000, v3
	v_cmp_ne_u32_e64 s0, 0x7f800000, v2
                                        ; implicit-def: $vgpr2
	s_delay_alu instid0(VALU_DEP_1) | instskip(NEXT) | instid1(SALU_CYCLE_1)
	s_and_saveexec_b32 s9, s0
	s_xor_b32 s0, exec_lo, s9
; %bb.1896:                             ;   in Loop: Header=BB456_991 Depth=1
	v_bfe_u32 v2, v3, 16, 1
	s_delay_alu instid0(VALU_DEP_1)
	v_add3_u32 v2, v3, v2, 0x7fff
                                        ; implicit-def: $vgpr3
; %bb.1897:                             ;   in Loop: Header=BB456_991 Depth=1
	s_and_not1_saveexec_b32 s9, s0
; %bb.1898:                             ;   in Loop: Header=BB456_991 Depth=1
	v_and_b32_e32 v2, 0xffff, v3
	v_or_b32_e32 v7, 0x10000, v3
	s_delay_alu instid0(VALU_DEP_2) | instskip(NEXT) | instid1(VALU_DEP_1)
	v_cmp_eq_u32_e64 s0, 0, v2
	v_cndmask_b32_e64 v2, v7, v3, s0
; %bb.1899:                             ;   in Loop: Header=BB456_991 Depth=1
	s_or_b32 exec_lo, exec_lo, s9
	v_lshrrev_b32_e32 v6, 16, v6
	v_lshrrev_b32_e32 v7, 16, v165
	;; [unrolled: 1-line block ×8, first 2 shown]
	s_and_saveexec_b32 s9, vcc_lo
	s_cbranch_execz .LBB456_1901
; %bb.1900:                             ;   in Loop: Header=BB456_991 Depth=1
	v_cmp_lt_i32_e64 s0, v54, v35
	s_delay_alu instid0(VALU_DEP_1) | instskip(SKIP_1) | instid1(VALU_DEP_1)
	v_cndmask_b32_e64 v4, 0, v4, s0
	v_cmp_lt_i32_e64 s0, v68, v35
	v_cndmask_b32_e64 v5, 0, v5, s0
	v_cmp_lt_i32_e64 s0, v67, v35
	s_delay_alu instid0(VALU_DEP_1) | instskip(SKIP_1) | instid1(VALU_DEP_1)
	v_cndmask_b32_e64 v23, 0, v23, s0
	v_cmp_lt_i32_e64 s0, v66, v35
	v_cndmask_b32_e64 v9, 0, v9, s0
	v_cmp_lt_i32_e64 s0, v65, v35
	s_delay_alu instid0(VALU_DEP_1) | instskip(SKIP_1) | instid1(VALU_DEP_1)
	v_cndmask_b32_e64 v7, 0, v7, s0
	v_cmp_lt_i32_e64 s0, v64, v35
	v_cndmask_b32_e64 v6, 0, v6, s0
	v_cmp_lt_i32_e64 s0, v55, v35
	s_delay_alu instid0(VALU_DEP_1) | instskip(SKIP_1) | instid1(VALU_DEP_1)
	v_cndmask_b32_e64 v3, 0, v3, s0
	v_cmp_lt_i32_e64 s0, v15, v35
	v_cndmask_b32_e64 v2, 0, v2, s0
.LBB456_1901:                           ;   in Loop: Header=BB456_991 Depth=1
	s_or_b32 exec_lo, exec_lo, s9
	v_lshlrev_b32_e32 v4, 16, v4
                                        ; implicit-def: $vgpr165
	s_delay_alu instid0(VALU_DEP_1) | instskip(NEXT) | instid1(VALU_DEP_1)
	v_mul_f32_e32 v4, v69, v4
	v_and_b32_e32 v36, 0x7f800000, v4
	s_delay_alu instid0(VALU_DEP_1) | instskip(NEXT) | instid1(VALU_DEP_1)
	v_cmp_ne_u32_e64 s0, 0x7f800000, v36
	s_and_saveexec_b32 s9, s0
	s_delay_alu instid0(SALU_CYCLE_1)
	s_xor_b32 s0, exec_lo, s9
; %bb.1902:                             ;   in Loop: Header=BB456_991 Depth=1
	v_bfe_u32 v36, v4, 16, 1
	s_delay_alu instid0(VALU_DEP_1)
	v_add3_u32 v165, v4, v36, 0x7fff
                                        ; implicit-def: $vgpr4
; %bb.1903:                             ;   in Loop: Header=BB456_991 Depth=1
	s_and_not1_saveexec_b32 s9, s0
; %bb.1904:                             ;   in Loop: Header=BB456_991 Depth=1
	v_and_b32_e32 v36, 0xffff, v4
	v_or_b32_e32 v165, 0x10000, v4
	s_delay_alu instid0(VALU_DEP_2) | instskip(NEXT) | instid1(VALU_DEP_1)
	v_cmp_eq_u32_e64 s0, 0, v36
	v_cndmask_b32_e64 v165, v165, v4, s0
; %bb.1905:                             ;   in Loop: Header=BB456_991 Depth=1
	s_or_b32 exec_lo, exec_lo, s9
	v_lshlrev_b32_e32 v4, 16, v5
                                        ; implicit-def: $vgpr166
	s_delay_alu instid0(VALU_DEP_1) | instskip(NEXT) | instid1(VALU_DEP_1)
	v_mul_f32_e32 v4, v70, v4
	v_and_b32_e32 v5, 0x7f800000, v4
	s_delay_alu instid0(VALU_DEP_1) | instskip(NEXT) | instid1(VALU_DEP_1)
	v_cmp_ne_u32_e64 s0, 0x7f800000, v5
	s_and_saveexec_b32 s9, s0
	s_delay_alu instid0(SALU_CYCLE_1)
	s_xor_b32 s0, exec_lo, s9
; %bb.1906:                             ;   in Loop: Header=BB456_991 Depth=1
	v_bfe_u32 v5, v4, 16, 1
	s_delay_alu instid0(VALU_DEP_1)
	v_add3_u32 v166, v4, v5, 0x7fff
                                        ; implicit-def: $vgpr4
; %bb.1907:                             ;   in Loop: Header=BB456_991 Depth=1
	s_and_not1_saveexec_b32 s9, s0
; %bb.1908:                             ;   in Loop: Header=BB456_991 Depth=1
	v_and_b32_e32 v5, 0xffff, v4
	v_or_b32_e32 v36, 0x10000, v4
	s_delay_alu instid0(VALU_DEP_2) | instskip(NEXT) | instid1(VALU_DEP_1)
	v_cmp_eq_u32_e64 s0, 0, v5
	v_cndmask_b32_e64 v166, v36, v4, s0
; %bb.1909:                             ;   in Loop: Header=BB456_991 Depth=1
	s_or_b32 exec_lo, exec_lo, s9
	v_lshlrev_b32_e32 v4, 16, v23
                                        ; implicit-def: $vgpr167
	s_delay_alu instid0(VALU_DEP_1) | instskip(NEXT) | instid1(VALU_DEP_1)
	v_mul_f32_e32 v4, v71, v4
	v_and_b32_e32 v5, 0x7f800000, v4
	s_delay_alu instid0(VALU_DEP_1) | instskip(NEXT) | instid1(VALU_DEP_1)
	v_cmp_ne_u32_e64 s0, 0x7f800000, v5
	s_and_saveexec_b32 s9, s0
	s_delay_alu instid0(SALU_CYCLE_1)
	s_xor_b32 s0, exec_lo, s9
; %bb.1910:                             ;   in Loop: Header=BB456_991 Depth=1
	v_bfe_u32 v5, v4, 16, 1
	s_delay_alu instid0(VALU_DEP_1)
	v_add3_u32 v167, v4, v5, 0x7fff
                                        ; implicit-def: $vgpr4
; %bb.1911:                             ;   in Loop: Header=BB456_991 Depth=1
	s_and_not1_saveexec_b32 s9, s0
; %bb.1912:                             ;   in Loop: Header=BB456_991 Depth=1
	v_and_b32_e32 v5, 0xffff, v4
	v_or_b32_e32 v23, 0x10000, v4
	s_delay_alu instid0(VALU_DEP_2) | instskip(NEXT) | instid1(VALU_DEP_1)
	v_cmp_eq_u32_e64 s0, 0, v5
	v_cndmask_b32_e64 v167, v23, v4, s0
; %bb.1913:                             ;   in Loop: Header=BB456_991 Depth=1
	s_or_b32 exec_lo, exec_lo, s9
	v_lshlrev_b32_e32 v4, 16, v9
                                        ; implicit-def: $vgpr176
	s_delay_alu instid0(VALU_DEP_1) | instskip(NEXT) | instid1(VALU_DEP_1)
	v_mul_f32_e32 v4, v80, v4
	v_and_b32_e32 v5, 0x7f800000, v4
	s_delay_alu instid0(VALU_DEP_1) | instskip(NEXT) | instid1(VALU_DEP_1)
	v_cmp_ne_u32_e64 s0, 0x7f800000, v5
	s_and_saveexec_b32 s9, s0
	s_delay_alu instid0(SALU_CYCLE_1)
	s_xor_b32 s0, exec_lo, s9
; %bb.1914:                             ;   in Loop: Header=BB456_991 Depth=1
	v_bfe_u32 v5, v4, 16, 1
	s_delay_alu instid0(VALU_DEP_1)
	v_add3_u32 v176, v4, v5, 0x7fff
                                        ; implicit-def: $vgpr4
; %bb.1915:                             ;   in Loop: Header=BB456_991 Depth=1
	s_and_not1_saveexec_b32 s9, s0
; %bb.1916:                             ;   in Loop: Header=BB456_991 Depth=1
	v_and_b32_e32 v5, 0xffff, v4
	v_or_b32_e32 v9, 0x10000, v4
	s_delay_alu instid0(VALU_DEP_2) | instskip(NEXT) | instid1(VALU_DEP_1)
	v_cmp_eq_u32_e64 s0, 0, v5
	v_cndmask_b32_e64 v176, v9, v4, s0
; %bb.1917:                             ;   in Loop: Header=BB456_991 Depth=1
	s_or_b32 exec_lo, exec_lo, s9
	v_lshlrev_b32_e32 v4, 16, v7
                                        ; implicit-def: $vgpr177
	s_delay_alu instid0(VALU_DEP_1) | instskip(NEXT) | instid1(VALU_DEP_1)
	v_mul_f32_e32 v4, v81, v4
	v_and_b32_e32 v5, 0x7f800000, v4
	s_delay_alu instid0(VALU_DEP_1) | instskip(NEXT) | instid1(VALU_DEP_1)
	v_cmp_ne_u32_e64 s0, 0x7f800000, v5
	s_and_saveexec_b32 s9, s0
	s_delay_alu instid0(SALU_CYCLE_1)
	s_xor_b32 s0, exec_lo, s9
; %bb.1918:                             ;   in Loop: Header=BB456_991 Depth=1
	v_bfe_u32 v5, v4, 16, 1
	s_delay_alu instid0(VALU_DEP_1)
	v_add3_u32 v177, v4, v5, 0x7fff
                                        ; implicit-def: $vgpr4
; %bb.1919:                             ;   in Loop: Header=BB456_991 Depth=1
	s_and_not1_saveexec_b32 s9, s0
; %bb.1920:                             ;   in Loop: Header=BB456_991 Depth=1
	v_and_b32_e32 v5, 0xffff, v4
	v_or_b32_e32 v7, 0x10000, v4
	s_delay_alu instid0(VALU_DEP_2) | instskip(NEXT) | instid1(VALU_DEP_1)
	v_cmp_eq_u32_e64 s0, 0, v5
	v_cndmask_b32_e64 v177, v7, v4, s0
; %bb.1921:                             ;   in Loop: Header=BB456_991 Depth=1
	s_or_b32 exec_lo, exec_lo, s9
	v_lshlrev_b32_e32 v4, 16, v6
                                        ; implicit-def: $vgpr178
	s_delay_alu instid0(VALU_DEP_1) | instskip(NEXT) | instid1(VALU_DEP_1)
	v_mul_f32_e32 v4, v82, v4
	v_and_b32_e32 v5, 0x7f800000, v4
	s_delay_alu instid0(VALU_DEP_1) | instskip(NEXT) | instid1(VALU_DEP_1)
	v_cmp_ne_u32_e64 s0, 0x7f800000, v5
	s_and_saveexec_b32 s9, s0
	s_delay_alu instid0(SALU_CYCLE_1)
	s_xor_b32 s0, exec_lo, s9
; %bb.1922:                             ;   in Loop: Header=BB456_991 Depth=1
	v_bfe_u32 v5, v4, 16, 1
	s_delay_alu instid0(VALU_DEP_1)
	v_add3_u32 v178, v4, v5, 0x7fff
                                        ; implicit-def: $vgpr4
; %bb.1923:                             ;   in Loop: Header=BB456_991 Depth=1
	s_and_not1_saveexec_b32 s9, s0
; %bb.1924:                             ;   in Loop: Header=BB456_991 Depth=1
	v_and_b32_e32 v5, 0xffff, v4
	v_or_b32_e32 v6, 0x10000, v4
	s_delay_alu instid0(VALU_DEP_2) | instskip(NEXT) | instid1(VALU_DEP_1)
	v_cmp_eq_u32_e64 s0, 0, v5
	v_cndmask_b32_e64 v178, v6, v4, s0
; %bb.1925:                             ;   in Loop: Header=BB456_991 Depth=1
	s_or_b32 exec_lo, exec_lo, s9
	v_lshlrev_b32_e32 v3, 16, v3
                                        ; implicit-def: $vgpr179
	s_delay_alu instid0(VALU_DEP_1) | instskip(NEXT) | instid1(VALU_DEP_1)
	v_mul_f32_e32 v3, v83, v3
	v_and_b32_e32 v4, 0x7f800000, v3
	s_delay_alu instid0(VALU_DEP_1) | instskip(NEXT) | instid1(VALU_DEP_1)
	v_cmp_ne_u32_e64 s0, 0x7f800000, v4
	s_and_saveexec_b32 s9, s0
	s_delay_alu instid0(SALU_CYCLE_1)
	s_xor_b32 s0, exec_lo, s9
; %bb.1926:                             ;   in Loop: Header=BB456_991 Depth=1
	v_bfe_u32 v4, v3, 16, 1
	s_delay_alu instid0(VALU_DEP_1)
	v_add3_u32 v179, v3, v4, 0x7fff
                                        ; implicit-def: $vgpr3
; %bb.1927:                             ;   in Loop: Header=BB456_991 Depth=1
	s_and_not1_saveexec_b32 s9, s0
; %bb.1928:                             ;   in Loop: Header=BB456_991 Depth=1
	v_and_b32_e32 v4, 0xffff, v3
	v_or_b32_e32 v5, 0x10000, v3
	s_delay_alu instid0(VALU_DEP_2) | instskip(NEXT) | instid1(VALU_DEP_1)
	v_cmp_eq_u32_e64 s0, 0, v4
	v_cndmask_b32_e64 v179, v5, v3, s0
; %bb.1929:                             ;   in Loop: Header=BB456_991 Depth=1
	s_or_b32 exec_lo, exec_lo, s9
	v_lshlrev_b32_e32 v2, 16, v2
                                        ; implicit-def: $vgpr180
	s_delay_alu instid0(VALU_DEP_1) | instskip(NEXT) | instid1(VALU_DEP_1)
	v_mul_f32_e32 v2, v84, v2
	v_and_b32_e32 v3, 0x7f800000, v2
	s_delay_alu instid0(VALU_DEP_1) | instskip(NEXT) | instid1(VALU_DEP_1)
	v_cmp_ne_u32_e64 s0, 0x7f800000, v3
	s_and_saveexec_b32 s9, s0
	s_delay_alu instid0(SALU_CYCLE_1)
	s_xor_b32 s0, exec_lo, s9
; %bb.1930:                             ;   in Loop: Header=BB456_991 Depth=1
	v_bfe_u32 v3, v2, 16, 1
	s_delay_alu instid0(VALU_DEP_1)
	v_add3_u32 v180, v2, v3, 0x7fff
                                        ; implicit-def: $vgpr2
; %bb.1931:                             ;   in Loop: Header=BB456_991 Depth=1
	s_and_not1_saveexec_b32 s9, s0
; %bb.1932:                             ;   in Loop: Header=BB456_991 Depth=1
	v_and_b32_e32 v3, 0xffff, v2
	v_or_b32_e32 v4, 0x10000, v2
	s_delay_alu instid0(VALU_DEP_2) | instskip(NEXT) | instid1(VALU_DEP_1)
	v_cmp_eq_u32_e64 s0, 0, v3
	v_cndmask_b32_e64 v180, v4, v2, s0
; %bb.1933:                             ;   in Loop: Header=BB456_991 Depth=1
	s_or_b32 exec_lo, exec_lo, s9
	flat_load_b64 v[2:3], v[0:1] offset:1792
	s_mov_b32 s9, exec_lo
	s_waitcnt vmcnt(0) lgkmcnt(0)
	v_dual_mov_b32 v4, 0 :: v_dual_and_b32 v5, 0xff, v2
	s_delay_alu instid0(VALU_DEP_1)
	v_cmpx_ne_u16_e32 0, v5
	s_cbranch_execz .LBB456_1941
; %bb.1934:                             ;   in Loop: Header=BB456_991 Depth=1
	v_bfrev_b32_e32 v4, 1
	s_mov_b32 s12, exec_lo
	v_cmpx_ne_u16_e32 0x80, v5
	s_cbranch_execz .LBB456_1940
; %bb.1935:                             ;   in Loop: Header=BB456_991 Depth=1
	v_and_b32_e32 v5, 0x7f, v2
	v_mov_b32_e32 v4, 0x7f800001
	s_mov_b32 s13, exec_lo
	s_delay_alu instid0(VALU_DEP_2)
	v_cmpx_ne_u32_e32 0x7f, v5
	s_cbranch_execz .LBB456_1939
; %bb.1936:                             ;   in Loop: Header=BB456_991 Depth=1
	v_lshrrev_b32_e32 v4, 3, v5
	v_dual_mov_b32 v7, v3 :: v_dual_mov_b32 v6, v2
	s_mov_b32 s15, exec_lo
	v_cmpx_gt_u32_e32 8, v5
; %bb.1937:                             ;   in Loop: Header=BB456_991 Depth=1
	v_and_b32_e32 v4, 7, v2
	s_delay_alu instid0(VALU_DEP_1) | instskip(NEXT) | instid1(VALU_DEP_1)
	v_clz_i32_u32_e32 v4, v4
	v_min_u32_e32 v4, 32, v4
	s_delay_alu instid0(VALU_DEP_1) | instskip(SKIP_1) | instid1(VALU_DEP_2)
	v_subrev_nc_u32_e32 v5, 28, v4
	v_sub_nc_u32_e32 v4, 29, v4
	v_lshlrev_b64 v[6:7], v5, v[2:3]
; %bb.1938:                             ;   in Loop: Header=BB456_991 Depth=1
	s_or_b32 exec_lo, exec_lo, s15
	s_delay_alu instid0(VALU_DEP_1) | instskip(SKIP_2) | instid1(VALU_DEP_3)
	v_lshlrev_b32_e32 v5, 20, v6
	v_lshlrev_b32_e32 v6, 24, v2
	v_lshl_add_u32 v4, v4, 23, 0x3c000000
	v_and_b32_e32 v5, 0x700000, v5
	s_delay_alu instid0(VALU_DEP_3) | instskip(NEXT) | instid1(VALU_DEP_1)
	v_and_b32_e32 v6, 0x80000000, v6
	v_or3_b32 v4, v5, v6, v4
.LBB456_1939:                           ;   in Loop: Header=BB456_991 Depth=1
	s_or_b32 exec_lo, exec_lo, s13
.LBB456_1940:                           ;   in Loop: Header=BB456_991 Depth=1
	s_delay_alu instid0(SALU_CYCLE_1)
	s_or_b32 exec_lo, exec_lo, s12
.LBB456_1941:                           ;   in Loop: Header=BB456_991 Depth=1
	s_delay_alu instid0(SALU_CYCLE_1) | instskip(NEXT) | instid1(VALU_DEP_1)
	s_or_b32 exec_lo, exec_lo, s9
	v_mul_f32_e32 v5, v26, v4
	s_delay_alu instid0(VALU_DEP_1) | instskip(NEXT) | instid1(VALU_DEP_1)
	v_and_b32_e32 v4, 0x7f800000, v5
	v_cmp_ne_u32_e64 s0, 0x7f800000, v4
                                        ; implicit-def: $vgpr4
	s_delay_alu instid0(VALU_DEP_1) | instskip(NEXT) | instid1(SALU_CYCLE_1)
	s_and_saveexec_b32 s9, s0
	s_xor_b32 s0, exec_lo, s9
; %bb.1942:                             ;   in Loop: Header=BB456_991 Depth=1
	v_bfe_u32 v4, v5, 16, 1
	s_delay_alu instid0(VALU_DEP_1)
	v_add3_u32 v4, v5, v4, 0x7fff
                                        ; implicit-def: $vgpr5
; %bb.1943:                             ;   in Loop: Header=BB456_991 Depth=1
	s_and_not1_saveexec_b32 s9, s0
; %bb.1944:                             ;   in Loop: Header=BB456_991 Depth=1
	v_and_b32_e32 v4, 0xffff, v5
	v_or_b32_e32 v6, 0x10000, v5
	s_delay_alu instid0(VALU_DEP_2) | instskip(NEXT) | instid1(VALU_DEP_1)
	v_cmp_eq_u32_e64 s0, 0, v4
	v_cndmask_b32_e64 v4, v6, v5, s0
; %bb.1945:                             ;   in Loop: Header=BB456_991 Depth=1
	s_or_b32 exec_lo, exec_lo, s9
	v_lshrrev_b16 v6, 8, v2
	v_mov_b32_e32 v5, 0
	s_mov_b32 s9, exec_lo
	s_delay_alu instid0(VALU_DEP_2)
	v_cmpx_ne_u16_e32 0, v6
	s_cbranch_execz .LBB456_1953
; %bb.1946:                             ;   in Loop: Header=BB456_991 Depth=1
	v_bfrev_b32_e32 v5, 1
	s_mov_b32 s12, exec_lo
	v_cmpx_ne_u16_e32 0x80, v6
	s_cbranch_execz .LBB456_1952
; %bb.1947:                             ;   in Loop: Header=BB456_991 Depth=1
	v_and_b32_e32 v7, 0xffff, v6
	v_mov_b32_e32 v5, 0x7f800001
	s_mov_b32 s13, exec_lo
	s_delay_alu instid0(VALU_DEP_2) | instskip(NEXT) | instid1(VALU_DEP_1)
	v_and_b32_e32 v6, 0x7f, v7
	v_cmpx_ne_u32_e32 0x7f, v6
	s_cbranch_execz .LBB456_1951
; %bb.1948:                             ;   in Loop: Header=BB456_991 Depth=1
	v_and_b32_e32 v9, 7, v7
	v_lshrrev_b32_e32 v5, 3, v6
	s_mov_b32 s15, exec_lo
	v_cmpx_gt_u32_e32 8, v6
; %bb.1949:                             ;   in Loop: Header=BB456_991 Depth=1
	s_delay_alu instid0(VALU_DEP_3) | instskip(NEXT) | instid1(VALU_DEP_1)
	v_clz_i32_u32_e32 v5, v9
	v_min_u32_e32 v5, 32, v5
	s_delay_alu instid0(VALU_DEP_1) | instskip(SKIP_1) | instid1(VALU_DEP_2)
	v_subrev_nc_u32_e32 v6, 28, v5
	v_sub_nc_u32_e32 v5, 29, v5
	v_lshlrev_b64 v[6:7], v6, v[9:10]
	s_delay_alu instid0(VALU_DEP_1)
	v_and_b32_e32 v9, 7, v6
; %bb.1950:                             ;   in Loop: Header=BB456_991 Depth=1
	s_or_b32 exec_lo, exec_lo, s15
	v_lshlrev_b32_e32 v6, 16, v2
	s_delay_alu instid0(VALU_DEP_2) | instskip(SKIP_1) | instid1(VALU_DEP_3)
	v_lshlrev_b32_e32 v7, 20, v9
	v_lshl_add_u32 v5, v5, 23, 0x3c000000
	v_and_b32_e32 v6, 0x80000000, v6
	s_delay_alu instid0(VALU_DEP_1)
	v_or3_b32 v5, v7, v6, v5
.LBB456_1951:                           ;   in Loop: Header=BB456_991 Depth=1
	s_or_b32 exec_lo, exec_lo, s13
.LBB456_1952:                           ;   in Loop: Header=BB456_991 Depth=1
	s_delay_alu instid0(SALU_CYCLE_1)
	s_or_b32 exec_lo, exec_lo, s12
.LBB456_1953:                           ;   in Loop: Header=BB456_991 Depth=1
	s_delay_alu instid0(SALU_CYCLE_1) | instskip(NEXT) | instid1(VALU_DEP_1)
	s_or_b32 exec_lo, exec_lo, s9
	v_mul_f32_e32 v6, v26, v5
	s_delay_alu instid0(VALU_DEP_1) | instskip(NEXT) | instid1(VALU_DEP_1)
	v_and_b32_e32 v5, 0x7f800000, v6
	v_cmp_ne_u32_e64 s0, 0x7f800000, v5
                                        ; implicit-def: $vgpr5
	s_delay_alu instid0(VALU_DEP_1) | instskip(NEXT) | instid1(SALU_CYCLE_1)
	s_and_saveexec_b32 s9, s0
	s_xor_b32 s0, exec_lo, s9
; %bb.1954:                             ;   in Loop: Header=BB456_991 Depth=1
	v_bfe_u32 v5, v6, 16, 1
	s_delay_alu instid0(VALU_DEP_1)
	v_add3_u32 v5, v6, v5, 0x7fff
                                        ; implicit-def: $vgpr6
; %bb.1955:                             ;   in Loop: Header=BB456_991 Depth=1
	s_and_not1_saveexec_b32 s9, s0
; %bb.1956:                             ;   in Loop: Header=BB456_991 Depth=1
	v_and_b32_e32 v5, 0xffff, v6
	v_or_b32_e32 v7, 0x10000, v6
	s_delay_alu instid0(VALU_DEP_2) | instskip(NEXT) | instid1(VALU_DEP_1)
	v_cmp_eq_u32_e64 s0, 0, v5
	v_cndmask_b32_e64 v5, v7, v6, s0
; %bb.1957:                             ;   in Loop: Header=BB456_991 Depth=1
	s_or_b32 exec_lo, exec_lo, s9
	v_lshrrev_b32_e32 v6, 16, v2
	v_mov_b32_e32 v7, 0
	s_mov_b32 s9, exec_lo
	s_delay_alu instid0(VALU_DEP_2) | instskip(NEXT) | instid1(VALU_DEP_1)
	v_and_b32_e32 v9, 0xff, v6
	v_cmpx_ne_u16_e32 0, v9
	s_cbranch_execz .LBB456_1965
; %bb.1958:                             ;   in Loop: Header=BB456_991 Depth=1
	v_bfrev_b32_e32 v7, 1
	s_mov_b32 s12, exec_lo
	v_cmpx_ne_u16_e32 0x80, v9
	s_cbranch_execz .LBB456_1964
; %bb.1959:                             ;   in Loop: Header=BB456_991 Depth=1
	v_bfe_u32 v23, v2, 16, 7
	v_mov_b32_e32 v7, 0x7f800001
	s_mov_b32 s13, exec_lo
	s_delay_alu instid0(VALU_DEP_2)
	v_cmpx_ne_u32_e32 0x7f, v23
	s_cbranch_execz .LBB456_1963
; %bb.1960:                             ;   in Loop: Header=BB456_991 Depth=1
	v_and_b32_e32 v9, 7, v6
	v_lshrrev_b32_e32 v7, 3, v23
	s_mov_b32 s15, exec_lo
	v_cmpx_gt_u32_e32 8, v23
; %bb.1961:                             ;   in Loop: Header=BB456_991 Depth=1
	s_delay_alu instid0(VALU_DEP_3) | instskip(NEXT) | instid1(VALU_DEP_1)
	v_clz_i32_u32_e32 v7, v9
	v_min_u32_e32 v7, 32, v7
	s_delay_alu instid0(VALU_DEP_1) | instskip(SKIP_1) | instid1(VALU_DEP_2)
	v_subrev_nc_u32_e32 v23, 28, v7
	v_sub_nc_u32_e32 v7, 29, v7
	v_lshlrev_b64 v[181:182], v23, v[9:10]
	s_delay_alu instid0(VALU_DEP_1)
	v_and_b32_e32 v9, 7, v181
; %bb.1962:                             ;   in Loop: Header=BB456_991 Depth=1
	s_or_b32 exec_lo, exec_lo, s15
	v_lshlrev_b32_e32 v6, 24, v6
	s_delay_alu instid0(VALU_DEP_2) | instskip(SKIP_1) | instid1(VALU_DEP_3)
	v_lshlrev_b32_e32 v9, 20, v9
	v_lshl_add_u32 v7, v7, 23, 0x3c000000
	v_and_b32_e32 v6, 0x80000000, v6
	s_delay_alu instid0(VALU_DEP_1)
	v_or3_b32 v7, v9, v6, v7
.LBB456_1963:                           ;   in Loop: Header=BB456_991 Depth=1
	s_or_b32 exec_lo, exec_lo, s13
.LBB456_1964:                           ;   in Loop: Header=BB456_991 Depth=1
	s_delay_alu instid0(SALU_CYCLE_1)
	s_or_b32 exec_lo, exec_lo, s12
.LBB456_1965:                           ;   in Loop: Header=BB456_991 Depth=1
	s_delay_alu instid0(SALU_CYCLE_1) | instskip(NEXT) | instid1(VALU_DEP_1)
	s_or_b32 exec_lo, exec_lo, s9
	v_mul_f32_e32 v6, v26, v7
                                        ; implicit-def: $vgpr23
	s_delay_alu instid0(VALU_DEP_1) | instskip(NEXT) | instid1(VALU_DEP_1)
	v_and_b32_e32 v7, 0x7f800000, v6
	v_cmp_ne_u32_e64 s0, 0x7f800000, v7
	s_delay_alu instid0(VALU_DEP_1) | instskip(NEXT) | instid1(SALU_CYCLE_1)
	s_and_saveexec_b32 s9, s0
	s_xor_b32 s0, exec_lo, s9
; %bb.1966:                             ;   in Loop: Header=BB456_991 Depth=1
	v_bfe_u32 v7, v6, 16, 1
	s_delay_alu instid0(VALU_DEP_1)
	v_add3_u32 v23, v6, v7, 0x7fff
                                        ; implicit-def: $vgpr6
; %bb.1967:                             ;   in Loop: Header=BB456_991 Depth=1
	s_and_not1_saveexec_b32 s9, s0
; %bb.1968:                             ;   in Loop: Header=BB456_991 Depth=1
	v_and_b32_e32 v7, 0xffff, v6
	v_or_b32_e32 v9, 0x10000, v6
	s_delay_alu instid0(VALU_DEP_2) | instskip(NEXT) | instid1(VALU_DEP_1)
	v_cmp_eq_u32_e64 s0, 0, v7
	v_cndmask_b32_e64 v23, v9, v6, s0
; %bb.1969:                             ;   in Loop: Header=BB456_991 Depth=1
	s_or_b32 exec_lo, exec_lo, s9
	v_mov_b32_e32 v7, 0
	s_mov_b32 s9, exec_lo
	v_cmpx_lt_u32_e32 0xffffff, v2
	s_cbranch_execz .LBB456_1977
; %bb.1970:                             ;   in Loop: Header=BB456_991 Depth=1
	v_lshrrev_b32_e32 v6, 24, v2
	v_bfrev_b32_e32 v7, 1
	s_mov_b32 s12, exec_lo
	s_delay_alu instid0(VALU_DEP_2)
	v_cmpx_ne_u32_e32 0x80, v6
	s_cbranch_execz .LBB456_1976
; %bb.1971:                             ;   in Loop: Header=BB456_991 Depth=1
	v_bfe_u32 v36, v2, 24, 7
	v_mov_b32_e32 v7, 0x7f800001
	s_mov_b32 s13, exec_lo
	s_delay_alu instid0(VALU_DEP_2)
	v_cmpx_ne_u32_e32 0x7f, v36
	s_cbranch_execz .LBB456_1975
; %bb.1972:                             ;   in Loop: Header=BB456_991 Depth=1
	v_and_b32_e32 v9, 7, v6
	v_lshrrev_b32_e32 v7, 3, v36
	s_mov_b32 s15, exec_lo
	v_cmpx_gt_u32_e32 8, v36
; %bb.1973:                             ;   in Loop: Header=BB456_991 Depth=1
	s_delay_alu instid0(VALU_DEP_3) | instskip(NEXT) | instid1(VALU_DEP_1)
	v_clz_i32_u32_e32 v7, v9
	v_min_u32_e32 v7, 32, v7
	s_delay_alu instid0(VALU_DEP_1) | instskip(SKIP_1) | instid1(VALU_DEP_2)
	v_subrev_nc_u32_e32 v36, 28, v7
	v_sub_nc_u32_e32 v7, 29, v7
	v_lshlrev_b64 v[181:182], v36, v[9:10]
	s_delay_alu instid0(VALU_DEP_1)
	v_and_b32_e32 v9, 7, v181
; %bb.1974:                             ;   in Loop: Header=BB456_991 Depth=1
	s_or_b32 exec_lo, exec_lo, s15
	v_lshlrev_b32_e32 v6, 24, v6
	s_delay_alu instid0(VALU_DEP_2) | instskip(SKIP_1) | instid1(VALU_DEP_3)
	v_lshlrev_b32_e32 v9, 20, v9
	v_lshl_add_u32 v7, v7, 23, 0x3c000000
	v_and_b32_e32 v6, 0x80000000, v6
	s_delay_alu instid0(VALU_DEP_1)
	v_or3_b32 v7, v9, v6, v7
.LBB456_1975:                           ;   in Loop: Header=BB456_991 Depth=1
	s_or_b32 exec_lo, exec_lo, s13
.LBB456_1976:                           ;   in Loop: Header=BB456_991 Depth=1
	s_delay_alu instid0(SALU_CYCLE_1)
	s_or_b32 exec_lo, exec_lo, s12
.LBB456_1977:                           ;   in Loop: Header=BB456_991 Depth=1
	s_delay_alu instid0(SALU_CYCLE_1) | instskip(NEXT) | instid1(VALU_DEP_1)
	s_or_b32 exec_lo, exec_lo, s9
	v_mul_f32_e32 v6, v26, v7
                                        ; implicit-def: $vgpr36
	s_delay_alu instid0(VALU_DEP_1) | instskip(NEXT) | instid1(VALU_DEP_1)
	v_and_b32_e32 v7, 0x7f800000, v6
	v_cmp_ne_u32_e64 s0, 0x7f800000, v7
	s_delay_alu instid0(VALU_DEP_1) | instskip(NEXT) | instid1(SALU_CYCLE_1)
	s_and_saveexec_b32 s9, s0
	s_xor_b32 s0, exec_lo, s9
; %bb.1978:                             ;   in Loop: Header=BB456_991 Depth=1
	v_bfe_u32 v7, v6, 16, 1
	s_delay_alu instid0(VALU_DEP_1)
	v_add3_u32 v36, v6, v7, 0x7fff
                                        ; implicit-def: $vgpr6
; %bb.1979:                             ;   in Loop: Header=BB456_991 Depth=1
	s_and_not1_saveexec_b32 s9, s0
; %bb.1980:                             ;   in Loop: Header=BB456_991 Depth=1
	v_and_b32_e32 v7, 0xffff, v6
	v_or_b32_e32 v9, 0x10000, v6
	s_delay_alu instid0(VALU_DEP_2) | instskip(NEXT) | instid1(VALU_DEP_1)
	v_cmp_eq_u32_e64 s0, 0, v7
	v_cndmask_b32_e64 v36, v9, v6, s0
; %bb.1981:                             ;   in Loop: Header=BB456_991 Depth=1
	s_or_b32 exec_lo, exec_lo, s9
	v_dual_mov_b32 v6, 0 :: v_dual_and_b32 v7, 0xff, v3
	v_mov_b32_e32 v9, v3
	s_mov_b32 s9, exec_lo
	s_delay_alu instid0(VALU_DEP_2)
	v_cmpx_ne_u16_e32 0, v7
	s_cbranch_execz .LBB456_1989
; %bb.1982:                             ;   in Loop: Header=BB456_991 Depth=1
	v_bfrev_b32_e32 v6, 1
	s_mov_b32 s12, exec_lo
	v_cmpx_ne_u16_e32 0x80, v7
	s_cbranch_execz .LBB456_1988
; %bb.1983:                             ;   in Loop: Header=BB456_991 Depth=1
	v_and_b32_e32 v7, 0x7f, v3
	v_mov_b32_e32 v6, 0x7f800001
	s_mov_b32 s13, exec_lo
	s_delay_alu instid0(VALU_DEP_2)
	v_cmpx_ne_u32_e32 0x7f, v7
	s_cbranch_execz .LBB456_1987
; %bb.1984:                             ;   in Loop: Header=BB456_991 Depth=1
	v_lshrrev_b32_e32 v181, 3, v7
	v_cmp_gt_u32_e64 s0, 8, v7
	v_dual_mov_b32 v6, v9 :: v_dual_mov_b32 v7, v10
	s_delay_alu instid0(VALU_DEP_2)
	s_and_saveexec_b32 s15, s0
; %bb.1985:                             ;   in Loop: Header=BB456_991 Depth=1
	v_and_b32_e32 v6, 7, v3
	s_delay_alu instid0(VALU_DEP_1) | instskip(NEXT) | instid1(VALU_DEP_1)
	v_clz_i32_u32_e32 v6, v6
	v_min_u32_e32 v181, 32, v6
	s_delay_alu instid0(VALU_DEP_1) | instskip(SKIP_1) | instid1(VALU_DEP_2)
	v_subrev_nc_u32_e32 v6, 28, v181
	v_sub_nc_u32_e32 v181, 29, v181
	v_lshlrev_b64 v[6:7], v6, v[9:10]
; %bb.1986:                             ;   in Loop: Header=BB456_991 Depth=1
	s_or_b32 exec_lo, exec_lo, s15
	s_delay_alu instid0(VALU_DEP_1) | instskip(SKIP_2) | instid1(VALU_DEP_3)
	v_lshlrev_b32_e32 v6, 20, v6
	v_lshlrev_b32_e32 v7, 24, v9
	v_lshl_add_u32 v181, v181, 23, 0x3c000000
	v_and_b32_e32 v6, 0x700000, v6
	s_delay_alu instid0(VALU_DEP_3) | instskip(NEXT) | instid1(VALU_DEP_1)
	v_and_b32_e32 v7, 0x80000000, v7
	v_or3_b32 v6, v6, v7, v181
.LBB456_1987:                           ;   in Loop: Header=BB456_991 Depth=1
	s_or_b32 exec_lo, exec_lo, s13
.LBB456_1988:                           ;   in Loop: Header=BB456_991 Depth=1
	s_delay_alu instid0(SALU_CYCLE_1)
	s_or_b32 exec_lo, exec_lo, s12
.LBB456_1989:                           ;   in Loop: Header=BB456_991 Depth=1
	s_delay_alu instid0(SALU_CYCLE_1) | instskip(NEXT) | instid1(VALU_DEP_1)
	s_or_b32 exec_lo, exec_lo, s9
	v_mul_f32_e32 v6, v26, v6
                                        ; implicit-def: $vgpr181
	s_delay_alu instid0(VALU_DEP_1) | instskip(NEXT) | instid1(VALU_DEP_1)
	v_and_b32_e32 v7, 0x7f800000, v6
	v_cmp_ne_u32_e64 s0, 0x7f800000, v7
	s_delay_alu instid0(VALU_DEP_1) | instskip(NEXT) | instid1(SALU_CYCLE_1)
	s_and_saveexec_b32 s9, s0
	s_xor_b32 s0, exec_lo, s9
; %bb.1990:                             ;   in Loop: Header=BB456_991 Depth=1
	v_bfe_u32 v7, v6, 16, 1
	s_delay_alu instid0(VALU_DEP_1)
	v_add3_u32 v181, v6, v7, 0x7fff
                                        ; implicit-def: $vgpr6
; %bb.1991:                             ;   in Loop: Header=BB456_991 Depth=1
	s_and_not1_saveexec_b32 s9, s0
; %bb.1992:                             ;   in Loop: Header=BB456_991 Depth=1
	v_and_b32_e32 v7, 0xffff, v6
	v_or_b32_e32 v181, 0x10000, v6
	s_delay_alu instid0(VALU_DEP_2) | instskip(NEXT) | instid1(VALU_DEP_1)
	v_cmp_eq_u32_e64 s0, 0, v7
	v_cndmask_b32_e64 v181, v181, v6, s0
; %bb.1993:                             ;   in Loop: Header=BB456_991 Depth=1
	s_or_b32 exec_lo, exec_lo, s9
	v_lshrrev_b16 v7, 8, v9
	v_mov_b32_e32 v6, 0
	s_mov_b32 s9, exec_lo
	s_delay_alu instid0(VALU_DEP_2)
	v_cmpx_ne_u16_e32 0, v7
	s_cbranch_execz .LBB456_2001
; %bb.1994:                             ;   in Loop: Header=BB456_991 Depth=1
	v_bfrev_b32_e32 v6, 1
	s_mov_b32 s12, exec_lo
	v_cmpx_ne_u16_e32 0x80, v7
	s_cbranch_execz .LBB456_2000
; %bb.1995:                             ;   in Loop: Header=BB456_991 Depth=1
	v_and_b32_e32 v7, 0xffff, v7
	v_mov_b32_e32 v6, 0x7f800001
	s_mov_b32 s13, exec_lo
	s_delay_alu instid0(VALU_DEP_2) | instskip(NEXT) | instid1(VALU_DEP_1)
	v_and_b32_e32 v183, 0x7f, v7
	v_cmpx_ne_u32_e32 0x7f, v183
	s_cbranch_execz .LBB456_1999
; %bb.1996:                             ;   in Loop: Header=BB456_991 Depth=1
	v_dual_mov_b32 v7, v10 :: v_dual_and_b32 v6, 7, v7
	v_lshrrev_b32_e32 v182, 3, v183
	s_mov_b32 s15, exec_lo
	v_cmpx_gt_u32_e32 8, v183
; %bb.1997:                             ;   in Loop: Header=BB456_991 Depth=1
	s_delay_alu instid0(VALU_DEP_3) | instskip(NEXT) | instid1(VALU_DEP_1)
	v_clz_i32_u32_e32 v182, v6
	v_min_u32_e32 v182, 32, v182
	s_delay_alu instid0(VALU_DEP_1) | instskip(SKIP_1) | instid1(VALU_DEP_2)
	v_subrev_nc_u32_e32 v183, 28, v182
	v_sub_nc_u32_e32 v182, 29, v182
	v_lshlrev_b64 v[6:7], v183, v[6:7]
	s_delay_alu instid0(VALU_DEP_1)
	v_and_b32_e32 v6, 7, v6
; %bb.1998:                             ;   in Loop: Header=BB456_991 Depth=1
	s_or_b32 exec_lo, exec_lo, s15
	v_lshlrev_b32_e32 v7, 16, v9
	s_delay_alu instid0(VALU_DEP_2) | instskip(SKIP_1) | instid1(VALU_DEP_3)
	v_lshlrev_b32_e32 v6, 20, v6
	v_lshl_add_u32 v9, v182, 23, 0x3c000000
	v_and_b32_e32 v7, 0x80000000, v7
	s_delay_alu instid0(VALU_DEP_1)
	v_or3_b32 v6, v6, v7, v9
.LBB456_1999:                           ;   in Loop: Header=BB456_991 Depth=1
	s_or_b32 exec_lo, exec_lo, s13
.LBB456_2000:                           ;   in Loop: Header=BB456_991 Depth=1
	s_delay_alu instid0(SALU_CYCLE_1)
	s_or_b32 exec_lo, exec_lo, s12
.LBB456_2001:                           ;   in Loop: Header=BB456_991 Depth=1
	s_delay_alu instid0(SALU_CYCLE_1) | instskip(NEXT) | instid1(VALU_DEP_1)
	s_or_b32 exec_lo, exec_lo, s9
	v_mul_f32_e32 v7, v26, v6
	s_delay_alu instid0(VALU_DEP_1) | instskip(NEXT) | instid1(VALU_DEP_1)
	v_and_b32_e32 v6, 0x7f800000, v7
	v_cmp_ne_u32_e64 s0, 0x7f800000, v6
                                        ; implicit-def: $vgpr6
	s_delay_alu instid0(VALU_DEP_1) | instskip(NEXT) | instid1(SALU_CYCLE_1)
	s_and_saveexec_b32 s9, s0
	s_xor_b32 s0, exec_lo, s9
; %bb.2002:                             ;   in Loop: Header=BB456_991 Depth=1
	v_bfe_u32 v6, v7, 16, 1
	s_delay_alu instid0(VALU_DEP_1)
	v_add3_u32 v6, v7, v6, 0x7fff
                                        ; implicit-def: $vgpr7
; %bb.2003:                             ;   in Loop: Header=BB456_991 Depth=1
	s_and_not1_saveexec_b32 s9, s0
; %bb.2004:                             ;   in Loop: Header=BB456_991 Depth=1
	v_and_b32_e32 v6, 0xffff, v7
	v_or_b32_e32 v9, 0x10000, v7
	s_delay_alu instid0(VALU_DEP_2) | instskip(NEXT) | instid1(VALU_DEP_1)
	v_cmp_eq_u32_e64 s0, 0, v6
	v_cndmask_b32_e64 v6, v9, v7, s0
; %bb.2005:                             ;   in Loop: Header=BB456_991 Depth=1
	s_or_b32 exec_lo, exec_lo, s9
	v_lshrrev_b32_e32 v7, 16, v3
	s_mov_b32 s9, exec_lo
	s_delay_alu instid0(VALU_DEP_1) | instskip(NEXT) | instid1(VALU_DEP_1)
	v_dual_mov_b32 v9, 0 :: v_dual_and_b32 v182, 0xff, v7
	v_cmpx_ne_u16_e64 0, v182
	s_cbranch_execz .LBB456_2013
; %bb.2006:                             ;   in Loop: Header=BB456_991 Depth=1
	v_bfrev_b32_e32 v9, 1
	s_mov_b32 s12, exec_lo
	v_cmpx_ne_u16_e64 0x80, v182
	s_cbranch_execz .LBB456_2012
; %bb.2007:                             ;   in Loop: Header=BB456_991 Depth=1
	v_bfe_u32 v183, v3, 16, 7
	v_mov_b32_e32 v9, 0x7f800001
	s_mov_b32 s13, exec_lo
	s_delay_alu instid0(VALU_DEP_2)
	v_cmpx_ne_u32_e32 0x7f, v183
	s_cbranch_execz .LBB456_2011
; %bb.2008:                             ;   in Loop: Header=BB456_991 Depth=1
	v_and_b32_e32 v9, 7, v7
	v_lshrrev_b32_e32 v182, 3, v183
	s_mov_b32 s15, exec_lo
	v_cmpx_gt_u32_e32 8, v183
; %bb.2009:                             ;   in Loop: Header=BB456_991 Depth=1
	s_delay_alu instid0(VALU_DEP_3) | instskip(NEXT) | instid1(VALU_DEP_1)
	v_clz_i32_u32_e32 v182, v9
	v_min_u32_e32 v182, 32, v182
	s_delay_alu instid0(VALU_DEP_1) | instskip(SKIP_1) | instid1(VALU_DEP_2)
	v_subrev_nc_u32_e32 v183, 28, v182
	v_sub_nc_u32_e32 v182, 29, v182
	v_lshlrev_b64 v[40:41], v183, v[9:10]
	s_delay_alu instid0(VALU_DEP_1)
	v_and_b32_e32 v9, 7, v40
; %bb.2010:                             ;   in Loop: Header=BB456_991 Depth=1
	s_or_b32 exec_lo, exec_lo, s15
	v_lshlrev_b32_e32 v7, 24, v7
	s_delay_alu instid0(VALU_DEP_2) | instskip(SKIP_1) | instid1(VALU_DEP_3)
	v_lshlrev_b32_e32 v9, 20, v9
	v_lshl_add_u32 v182, v182, 23, 0x3c000000
	v_and_b32_e32 v7, 0x80000000, v7
	s_delay_alu instid0(VALU_DEP_1)
	v_or3_b32 v9, v9, v7, v182
.LBB456_2011:                           ;   in Loop: Header=BB456_991 Depth=1
	s_or_b32 exec_lo, exec_lo, s13
.LBB456_2012:                           ;   in Loop: Header=BB456_991 Depth=1
	s_delay_alu instid0(SALU_CYCLE_1)
	s_or_b32 exec_lo, exec_lo, s12
.LBB456_2013:                           ;   in Loop: Header=BB456_991 Depth=1
	s_delay_alu instid0(SALU_CYCLE_1) | instskip(NEXT) | instid1(VALU_DEP_1)
	s_or_b32 exec_lo, exec_lo, s9
	v_mul_f32_e32 v7, v26, v9
                                        ; implicit-def: $vgpr182
	s_delay_alu instid0(VALU_DEP_1) | instskip(NEXT) | instid1(VALU_DEP_1)
	v_and_b32_e32 v9, 0x7f800000, v7
	v_cmp_ne_u32_e64 s0, 0x7f800000, v9
	s_delay_alu instid0(VALU_DEP_1) | instskip(NEXT) | instid1(SALU_CYCLE_1)
	s_and_saveexec_b32 s9, s0
	s_xor_b32 s0, exec_lo, s9
; %bb.2014:                             ;   in Loop: Header=BB456_991 Depth=1
	v_bfe_u32 v9, v7, 16, 1
	s_delay_alu instid0(VALU_DEP_1)
	v_add3_u32 v182, v7, v9, 0x7fff
                                        ; implicit-def: $vgpr7
; %bb.2015:                             ;   in Loop: Header=BB456_991 Depth=1
	s_and_not1_saveexec_b32 s9, s0
; %bb.2016:                             ;   in Loop: Header=BB456_991 Depth=1
	v_and_b32_e32 v9, 0xffff, v7
	v_or_b32_e32 v182, 0x10000, v7
	s_delay_alu instid0(VALU_DEP_2) | instskip(NEXT) | instid1(VALU_DEP_1)
	v_cmp_eq_u32_e64 s0, 0, v9
	v_cndmask_b32_e64 v182, v182, v7, s0
; %bb.2017:                             ;   in Loop: Header=BB456_991 Depth=1
	s_or_b32 exec_lo, exec_lo, s9
	v_mov_b32_e32 v7, 0
	s_mov_b32 s9, exec_lo
	v_cmpx_lt_u64_e64 s[2:3], v[2:3]
	s_cbranch_execz .LBB456_2025
; %bb.2018:                             ;   in Loop: Header=BB456_991 Depth=1
	v_lshrrev_b32_e32 v2, 24, v3
	v_bfrev_b32_e32 v7, 1
	s_mov_b32 s12, exec_lo
	s_delay_alu instid0(VALU_DEP_2)
	v_cmpx_ne_u32_e32 0x80, v2
	s_cbranch_execz .LBB456_2024
; %bb.2019:                             ;   in Loop: Header=BB456_991 Depth=1
	v_bfe_u32 v183, v3, 24, 7
	v_mov_b32_e32 v7, 0x7f800001
	s_mov_b32 s13, exec_lo
	s_delay_alu instid0(VALU_DEP_2)
	v_cmpx_ne_u32_e32 0x7f, v183
	s_cbranch_execz .LBB456_2023
; %bb.2020:                             ;   in Loop: Header=BB456_991 Depth=1
	v_and_b32_e32 v9, 7, v2
	v_lshrrev_b32_e32 v3, 3, v183
	s_mov_b32 s15, exec_lo
	v_cmpx_gt_u32_e32 8, v183
; %bb.2021:                             ;   in Loop: Header=BB456_991 Depth=1
	s_delay_alu instid0(VALU_DEP_3) | instskip(NEXT) | instid1(VALU_DEP_1)
	v_clz_i32_u32_e32 v3, v9
	v_min_u32_e32 v3, 32, v3
	s_delay_alu instid0(VALU_DEP_1) | instskip(SKIP_1) | instid1(VALU_DEP_2)
	v_subrev_nc_u32_e32 v7, 28, v3
	v_sub_nc_u32_e32 v3, 29, v3
	v_lshlrev_b64 v[40:41], v7, v[9:10]
	s_delay_alu instid0(VALU_DEP_1)
	v_and_b32_e32 v9, 7, v40
; %bb.2022:                             ;   in Loop: Header=BB456_991 Depth=1
	s_or_b32 exec_lo, exec_lo, s15
	v_lshlrev_b32_e32 v2, 24, v2
	s_delay_alu instid0(VALU_DEP_2) | instskip(SKIP_1) | instid1(VALU_DEP_3)
	v_lshlrev_b32_e32 v7, 20, v9
	v_lshl_add_u32 v3, v3, 23, 0x3c000000
	v_and_b32_e32 v2, 0x80000000, v2
	s_delay_alu instid0(VALU_DEP_1)
	v_or3_b32 v7, v7, v2, v3
.LBB456_2023:                           ;   in Loop: Header=BB456_991 Depth=1
	s_or_b32 exec_lo, exec_lo, s13
.LBB456_2024:                           ;   in Loop: Header=BB456_991 Depth=1
	s_delay_alu instid0(SALU_CYCLE_1)
	s_or_b32 exec_lo, exec_lo, s12
.LBB456_2025:                           ;   in Loop: Header=BB456_991 Depth=1
	s_delay_alu instid0(SALU_CYCLE_1) | instskip(NEXT) | instid1(VALU_DEP_1)
	s_or_b32 exec_lo, exec_lo, s9
	v_mul_f32_e32 v3, v26, v7
	s_delay_alu instid0(VALU_DEP_1) | instskip(NEXT) | instid1(VALU_DEP_1)
	v_and_b32_e32 v2, 0x7f800000, v3
	v_cmp_ne_u32_e64 s0, 0x7f800000, v2
                                        ; implicit-def: $vgpr2
	s_delay_alu instid0(VALU_DEP_1) | instskip(NEXT) | instid1(SALU_CYCLE_1)
	s_and_saveexec_b32 s9, s0
	s_xor_b32 s0, exec_lo, s9
; %bb.2026:                             ;   in Loop: Header=BB456_991 Depth=1
	v_bfe_u32 v2, v3, 16, 1
	s_delay_alu instid0(VALU_DEP_1)
	v_add3_u32 v2, v3, v2, 0x7fff
                                        ; implicit-def: $vgpr3
; %bb.2027:                             ;   in Loop: Header=BB456_991 Depth=1
	s_and_not1_saveexec_b32 s9, s0
; %bb.2028:                             ;   in Loop: Header=BB456_991 Depth=1
	v_and_b32_e32 v2, 0xffff, v3
	v_or_b32_e32 v7, 0x10000, v3
	s_delay_alu instid0(VALU_DEP_2) | instskip(NEXT) | instid1(VALU_DEP_1)
	v_cmp_eq_u32_e64 s0, 0, v2
	v_cndmask_b32_e64 v2, v7, v3, s0
; %bb.2029:                             ;   in Loop: Header=BB456_991 Depth=1
	s_or_b32 exec_lo, exec_lo, s9
	v_lshrrev_b32_e32 v6, 16, v6
	v_lshrrev_b32_e32 v7, 16, v181
	;; [unrolled: 1-line block ×8, first 2 shown]
	s_and_saveexec_b32 s9, vcc_lo
	s_cbranch_execz .LBB456_2031
; %bb.2030:                             ;   in Loop: Header=BB456_991 Depth=1
	v_cmp_lt_i32_e64 s0, v54, v35
	s_delay_alu instid0(VALU_DEP_1) | instskip(SKIP_1) | instid1(VALU_DEP_1)
	v_cndmask_b32_e64 v4, 0, v4, s0
	v_cmp_lt_i32_e64 s0, v68, v35
	v_cndmask_b32_e64 v5, 0, v5, s0
	v_cmp_lt_i32_e64 s0, v67, v35
	s_delay_alu instid0(VALU_DEP_1) | instskip(SKIP_1) | instid1(VALU_DEP_1)
	v_cndmask_b32_e64 v23, 0, v23, s0
	v_cmp_lt_i32_e64 s0, v66, v35
	v_cndmask_b32_e64 v9, 0, v9, s0
	;; [unrolled: 5-line block ×4, first 2 shown]
.LBB456_2031:                           ;   in Loop: Header=BB456_991 Depth=1
	s_or_b32 exec_lo, exec_lo, s9
	v_lshlrev_b32_e32 v4, 16, v4
                                        ; implicit-def: $vgpr181
	s_delay_alu instid0(VALU_DEP_1) | instskip(NEXT) | instid1(VALU_DEP_1)
	v_mul_f32_e32 v4, v69, v4
	v_and_b32_e32 v36, 0x7f800000, v4
	s_delay_alu instid0(VALU_DEP_1) | instskip(NEXT) | instid1(VALU_DEP_1)
	v_cmp_ne_u32_e64 s0, 0x7f800000, v36
	s_and_saveexec_b32 s9, s0
	s_delay_alu instid0(SALU_CYCLE_1)
	s_xor_b32 s0, exec_lo, s9
; %bb.2032:                             ;   in Loop: Header=BB456_991 Depth=1
	v_bfe_u32 v36, v4, 16, 1
	s_delay_alu instid0(VALU_DEP_1)
	v_add3_u32 v181, v4, v36, 0x7fff
                                        ; implicit-def: $vgpr4
; %bb.2033:                             ;   in Loop: Header=BB456_991 Depth=1
	s_and_not1_saveexec_b32 s9, s0
; %bb.2034:                             ;   in Loop: Header=BB456_991 Depth=1
	v_and_b32_e32 v36, 0xffff, v4
	v_or_b32_e32 v181, 0x10000, v4
	s_delay_alu instid0(VALU_DEP_2) | instskip(NEXT) | instid1(VALU_DEP_1)
	v_cmp_eq_u32_e64 s0, 0, v36
	v_cndmask_b32_e64 v181, v181, v4, s0
; %bb.2035:                             ;   in Loop: Header=BB456_991 Depth=1
	s_or_b32 exec_lo, exec_lo, s9
	v_lshlrev_b32_e32 v4, 16, v5
                                        ; implicit-def: $vgpr182
	s_delay_alu instid0(VALU_DEP_1) | instskip(NEXT) | instid1(VALU_DEP_1)
	v_mul_f32_e32 v4, v70, v4
	v_and_b32_e32 v5, 0x7f800000, v4
	s_delay_alu instid0(VALU_DEP_1) | instskip(NEXT) | instid1(VALU_DEP_1)
	v_cmp_ne_u32_e64 s0, 0x7f800000, v5
	s_and_saveexec_b32 s9, s0
	s_delay_alu instid0(SALU_CYCLE_1)
	s_xor_b32 s0, exec_lo, s9
; %bb.2036:                             ;   in Loop: Header=BB456_991 Depth=1
	v_bfe_u32 v5, v4, 16, 1
	s_delay_alu instid0(VALU_DEP_1)
	v_add3_u32 v182, v4, v5, 0x7fff
                                        ; implicit-def: $vgpr4
; %bb.2037:                             ;   in Loop: Header=BB456_991 Depth=1
	s_and_not1_saveexec_b32 s9, s0
; %bb.2038:                             ;   in Loop: Header=BB456_991 Depth=1
	v_and_b32_e32 v5, 0xffff, v4
	v_or_b32_e32 v36, 0x10000, v4
	s_delay_alu instid0(VALU_DEP_2) | instskip(NEXT) | instid1(VALU_DEP_1)
	v_cmp_eq_u32_e64 s0, 0, v5
	v_cndmask_b32_e64 v182, v36, v4, s0
; %bb.2039:                             ;   in Loop: Header=BB456_991 Depth=1
	s_or_b32 exec_lo, exec_lo, s9
	v_lshlrev_b32_e32 v4, 16, v23
                                        ; implicit-def: $vgpr183
	s_delay_alu instid0(VALU_DEP_1) | instskip(NEXT) | instid1(VALU_DEP_1)
	v_mul_f32_e32 v4, v71, v4
	v_and_b32_e32 v5, 0x7f800000, v4
	s_delay_alu instid0(VALU_DEP_1) | instskip(NEXT) | instid1(VALU_DEP_1)
	v_cmp_ne_u32_e64 s0, 0x7f800000, v5
	s_and_saveexec_b32 s9, s0
	s_delay_alu instid0(SALU_CYCLE_1)
	s_xor_b32 s0, exec_lo, s9
; %bb.2040:                             ;   in Loop: Header=BB456_991 Depth=1
	v_bfe_u32 v5, v4, 16, 1
	s_delay_alu instid0(VALU_DEP_1)
	v_add3_u32 v183, v4, v5, 0x7fff
                                        ; implicit-def: $vgpr4
; %bb.2041:                             ;   in Loop: Header=BB456_991 Depth=1
	s_and_not1_saveexec_b32 s9, s0
; %bb.2042:                             ;   in Loop: Header=BB456_991 Depth=1
	v_and_b32_e32 v5, 0xffff, v4
	v_or_b32_e32 v23, 0x10000, v4
	s_delay_alu instid0(VALU_DEP_2) | instskip(NEXT) | instid1(VALU_DEP_1)
	v_cmp_eq_u32_e64 s0, 0, v5
	v_cndmask_b32_e64 v183, v23, v4, s0
; %bb.2043:                             ;   in Loop: Header=BB456_991 Depth=1
	s_or_b32 exec_lo, exec_lo, s9
	v_lshlrev_b32_e32 v4, 16, v9
                                        ; implicit-def: $vgpr40
	s_delay_alu instid0(VALU_DEP_1) | instskip(NEXT) | instid1(VALU_DEP_1)
	v_mul_f32_e32 v4, v80, v4
	v_and_b32_e32 v5, 0x7f800000, v4
	s_delay_alu instid0(VALU_DEP_1) | instskip(NEXT) | instid1(VALU_DEP_1)
	v_cmp_ne_u32_e64 s0, 0x7f800000, v5
	s_and_saveexec_b32 s9, s0
	s_delay_alu instid0(SALU_CYCLE_1)
	s_xor_b32 s0, exec_lo, s9
; %bb.2044:                             ;   in Loop: Header=BB456_991 Depth=1
	v_bfe_u32 v5, v4, 16, 1
	s_delay_alu instid0(VALU_DEP_1)
	v_add3_u32 v40, v4, v5, 0x7fff
                                        ; implicit-def: $vgpr4
; %bb.2045:                             ;   in Loop: Header=BB456_991 Depth=1
	s_and_not1_saveexec_b32 s9, s0
; %bb.2046:                             ;   in Loop: Header=BB456_991 Depth=1
	v_and_b32_e32 v5, 0xffff, v4
	v_or_b32_e32 v9, 0x10000, v4
	s_delay_alu instid0(VALU_DEP_2) | instskip(NEXT) | instid1(VALU_DEP_1)
	v_cmp_eq_u32_e64 s0, 0, v5
	v_cndmask_b32_e64 v40, v9, v4, s0
; %bb.2047:                             ;   in Loop: Header=BB456_991 Depth=1
	s_or_b32 exec_lo, exec_lo, s9
	v_lshlrev_b32_e32 v4, 16, v7
                                        ; implicit-def: $vgpr41
	s_delay_alu instid0(VALU_DEP_1) | instskip(NEXT) | instid1(VALU_DEP_1)
	v_mul_f32_e32 v4, v81, v4
	v_and_b32_e32 v5, 0x7f800000, v4
	s_delay_alu instid0(VALU_DEP_1) | instskip(NEXT) | instid1(VALU_DEP_1)
	v_cmp_ne_u32_e64 s0, 0x7f800000, v5
	s_and_saveexec_b32 s9, s0
	s_delay_alu instid0(SALU_CYCLE_1)
	s_xor_b32 s0, exec_lo, s9
; %bb.2048:                             ;   in Loop: Header=BB456_991 Depth=1
	v_bfe_u32 v5, v4, 16, 1
	s_delay_alu instid0(VALU_DEP_1)
	v_add3_u32 v41, v4, v5, 0x7fff
                                        ; implicit-def: $vgpr4
; %bb.2049:                             ;   in Loop: Header=BB456_991 Depth=1
	s_and_not1_saveexec_b32 s9, s0
; %bb.2050:                             ;   in Loop: Header=BB456_991 Depth=1
	v_and_b32_e32 v5, 0xffff, v4
	v_or_b32_e32 v7, 0x10000, v4
	s_delay_alu instid0(VALU_DEP_2) | instskip(NEXT) | instid1(VALU_DEP_1)
	v_cmp_eq_u32_e64 s0, 0, v5
	v_cndmask_b32_e64 v41, v7, v4, s0
; %bb.2051:                             ;   in Loop: Header=BB456_991 Depth=1
	s_or_b32 exec_lo, exec_lo, s9
	v_lshlrev_b32_e32 v4, 16, v6
                                        ; implicit-def: $vgpr42
	s_delay_alu instid0(VALU_DEP_1) | instskip(NEXT) | instid1(VALU_DEP_1)
	v_mul_f32_e32 v4, v82, v4
	v_and_b32_e32 v5, 0x7f800000, v4
	s_delay_alu instid0(VALU_DEP_1) | instskip(NEXT) | instid1(VALU_DEP_1)
	v_cmp_ne_u32_e64 s0, 0x7f800000, v5
	s_and_saveexec_b32 s9, s0
	s_delay_alu instid0(SALU_CYCLE_1)
	s_xor_b32 s0, exec_lo, s9
; %bb.2052:                             ;   in Loop: Header=BB456_991 Depth=1
	v_bfe_u32 v5, v4, 16, 1
	s_delay_alu instid0(VALU_DEP_1)
	v_add3_u32 v42, v4, v5, 0x7fff
                                        ; implicit-def: $vgpr4
; %bb.2053:                             ;   in Loop: Header=BB456_991 Depth=1
	s_and_not1_saveexec_b32 s9, s0
; %bb.2054:                             ;   in Loop: Header=BB456_991 Depth=1
	v_and_b32_e32 v5, 0xffff, v4
	v_or_b32_e32 v6, 0x10000, v4
	s_delay_alu instid0(VALU_DEP_2) | instskip(NEXT) | instid1(VALU_DEP_1)
	v_cmp_eq_u32_e64 s0, 0, v5
	v_cndmask_b32_e64 v42, v6, v4, s0
; %bb.2055:                             ;   in Loop: Header=BB456_991 Depth=1
	s_or_b32 exec_lo, exec_lo, s9
	v_lshlrev_b32_e32 v3, 16, v3
                                        ; implicit-def: $vgpr43
	s_delay_alu instid0(VALU_DEP_1) | instskip(NEXT) | instid1(VALU_DEP_1)
	v_mul_f32_e32 v3, v83, v3
	v_and_b32_e32 v4, 0x7f800000, v3
	s_delay_alu instid0(VALU_DEP_1) | instskip(NEXT) | instid1(VALU_DEP_1)
	v_cmp_ne_u32_e64 s0, 0x7f800000, v4
	s_and_saveexec_b32 s9, s0
	s_delay_alu instid0(SALU_CYCLE_1)
	s_xor_b32 s0, exec_lo, s9
; %bb.2056:                             ;   in Loop: Header=BB456_991 Depth=1
	v_bfe_u32 v4, v3, 16, 1
	s_delay_alu instid0(VALU_DEP_1)
	v_add3_u32 v43, v3, v4, 0x7fff
                                        ; implicit-def: $vgpr3
; %bb.2057:                             ;   in Loop: Header=BB456_991 Depth=1
	s_and_not1_saveexec_b32 s9, s0
; %bb.2058:                             ;   in Loop: Header=BB456_991 Depth=1
	v_and_b32_e32 v4, 0xffff, v3
	v_or_b32_e32 v5, 0x10000, v3
	s_delay_alu instid0(VALU_DEP_2) | instskip(NEXT) | instid1(VALU_DEP_1)
	v_cmp_eq_u32_e64 s0, 0, v4
	v_cndmask_b32_e64 v43, v5, v3, s0
; %bb.2059:                             ;   in Loop: Header=BB456_991 Depth=1
	s_or_b32 exec_lo, exec_lo, s9
	v_lshlrev_b32_e32 v2, 16, v2
                                        ; implicit-def: $vgpr44
	s_delay_alu instid0(VALU_DEP_1) | instskip(NEXT) | instid1(VALU_DEP_1)
	v_mul_f32_e32 v2, v84, v2
	v_and_b32_e32 v3, 0x7f800000, v2
	s_delay_alu instid0(VALU_DEP_1) | instskip(NEXT) | instid1(VALU_DEP_1)
	v_cmp_ne_u32_e64 s0, 0x7f800000, v3
	s_and_saveexec_b32 s9, s0
	s_delay_alu instid0(SALU_CYCLE_1)
	s_xor_b32 s0, exec_lo, s9
; %bb.2060:                             ;   in Loop: Header=BB456_991 Depth=1
	v_bfe_u32 v3, v2, 16, 1
	s_delay_alu instid0(VALU_DEP_1)
	v_add3_u32 v44, v2, v3, 0x7fff
                                        ; implicit-def: $vgpr2
; %bb.2061:                             ;   in Loop: Header=BB456_991 Depth=1
	s_and_not1_saveexec_b32 s9, s0
; %bb.2062:                             ;   in Loop: Header=BB456_991 Depth=1
	v_and_b32_e32 v3, 0xffff, v2
	v_or_b32_e32 v4, 0x10000, v2
	s_delay_alu instid0(VALU_DEP_2) | instskip(NEXT) | instid1(VALU_DEP_1)
	v_cmp_eq_u32_e64 s0, 0, v3
	v_cndmask_b32_e64 v44, v4, v2, s0
; %bb.2063:                             ;   in Loop: Header=BB456_991 Depth=1
	s_or_b32 exec_lo, exec_lo, s9
	flat_load_b64 v[2:3], v[0:1] offset:2048
	s_mov_b32 s9, exec_lo
	s_waitcnt vmcnt(0) lgkmcnt(0)
	v_dual_mov_b32 v4, 0 :: v_dual_and_b32 v5, 0xff, v2
	s_delay_alu instid0(VALU_DEP_1)
	v_cmpx_ne_u16_e32 0, v5
	s_cbranch_execz .LBB456_2071
; %bb.2064:                             ;   in Loop: Header=BB456_991 Depth=1
	v_bfrev_b32_e32 v4, 1
	s_mov_b32 s12, exec_lo
	v_cmpx_ne_u16_e32 0x80, v5
	s_cbranch_execz .LBB456_2070
; %bb.2065:                             ;   in Loop: Header=BB456_991 Depth=1
	v_and_b32_e32 v5, 0x7f, v2
	v_mov_b32_e32 v4, 0x7f800001
	s_mov_b32 s13, exec_lo
	s_delay_alu instid0(VALU_DEP_2)
	v_cmpx_ne_u32_e32 0x7f, v5
	s_cbranch_execz .LBB456_2069
; %bb.2066:                             ;   in Loop: Header=BB456_991 Depth=1
	v_lshrrev_b32_e32 v4, 3, v5
	v_dual_mov_b32 v7, v3 :: v_dual_mov_b32 v6, v2
	s_mov_b32 s15, exec_lo
	v_cmpx_gt_u32_e32 8, v5
; %bb.2067:                             ;   in Loop: Header=BB456_991 Depth=1
	v_and_b32_e32 v4, 7, v2
	s_delay_alu instid0(VALU_DEP_1) | instskip(NEXT) | instid1(VALU_DEP_1)
	v_clz_i32_u32_e32 v4, v4
	v_min_u32_e32 v4, 32, v4
	s_delay_alu instid0(VALU_DEP_1) | instskip(SKIP_1) | instid1(VALU_DEP_2)
	v_subrev_nc_u32_e32 v5, 28, v4
	v_sub_nc_u32_e32 v4, 29, v4
	v_lshlrev_b64 v[6:7], v5, v[2:3]
; %bb.2068:                             ;   in Loop: Header=BB456_991 Depth=1
	s_or_b32 exec_lo, exec_lo, s15
	s_delay_alu instid0(VALU_DEP_1) | instskip(SKIP_2) | instid1(VALU_DEP_3)
	v_lshlrev_b32_e32 v5, 20, v6
	v_lshlrev_b32_e32 v6, 24, v2
	v_lshl_add_u32 v4, v4, 23, 0x3c000000
	v_and_b32_e32 v5, 0x700000, v5
	s_delay_alu instid0(VALU_DEP_3) | instskip(NEXT) | instid1(VALU_DEP_1)
	v_and_b32_e32 v6, 0x80000000, v6
	v_or3_b32 v4, v5, v6, v4
.LBB456_2069:                           ;   in Loop: Header=BB456_991 Depth=1
	s_or_b32 exec_lo, exec_lo, s13
.LBB456_2070:                           ;   in Loop: Header=BB456_991 Depth=1
	s_delay_alu instid0(SALU_CYCLE_1)
	s_or_b32 exec_lo, exec_lo, s12
.LBB456_2071:                           ;   in Loop: Header=BB456_991 Depth=1
	s_delay_alu instid0(SALU_CYCLE_1) | instskip(NEXT) | instid1(VALU_DEP_1)
	s_or_b32 exec_lo, exec_lo, s9
	v_mul_f32_e32 v5, v26, v4
	s_delay_alu instid0(VALU_DEP_1) | instskip(NEXT) | instid1(VALU_DEP_1)
	v_and_b32_e32 v4, 0x7f800000, v5
	v_cmp_ne_u32_e64 s0, 0x7f800000, v4
                                        ; implicit-def: $vgpr4
	s_delay_alu instid0(VALU_DEP_1) | instskip(NEXT) | instid1(SALU_CYCLE_1)
	s_and_saveexec_b32 s9, s0
	s_xor_b32 s0, exec_lo, s9
; %bb.2072:                             ;   in Loop: Header=BB456_991 Depth=1
	v_bfe_u32 v4, v5, 16, 1
	s_delay_alu instid0(VALU_DEP_1)
	v_add3_u32 v4, v5, v4, 0x7fff
                                        ; implicit-def: $vgpr5
; %bb.2073:                             ;   in Loop: Header=BB456_991 Depth=1
	s_and_not1_saveexec_b32 s9, s0
; %bb.2074:                             ;   in Loop: Header=BB456_991 Depth=1
	v_and_b32_e32 v4, 0xffff, v5
	v_or_b32_e32 v6, 0x10000, v5
	s_delay_alu instid0(VALU_DEP_2) | instskip(NEXT) | instid1(VALU_DEP_1)
	v_cmp_eq_u32_e64 s0, 0, v4
	v_cndmask_b32_e64 v4, v6, v5, s0
; %bb.2075:                             ;   in Loop: Header=BB456_991 Depth=1
	s_or_b32 exec_lo, exec_lo, s9
	v_lshrrev_b16 v6, 8, v2
	v_mov_b32_e32 v5, 0
	s_mov_b32 s9, exec_lo
	s_delay_alu instid0(VALU_DEP_2)
	v_cmpx_ne_u16_e32 0, v6
	s_cbranch_execz .LBB456_2083
; %bb.2076:                             ;   in Loop: Header=BB456_991 Depth=1
	v_bfrev_b32_e32 v5, 1
	s_mov_b32 s12, exec_lo
	v_cmpx_ne_u16_e32 0x80, v6
	s_cbranch_execz .LBB456_2082
; %bb.2077:                             ;   in Loop: Header=BB456_991 Depth=1
	v_and_b32_e32 v7, 0xffff, v6
	v_mov_b32_e32 v5, 0x7f800001
	s_mov_b32 s13, exec_lo
	s_delay_alu instid0(VALU_DEP_2) | instskip(NEXT) | instid1(VALU_DEP_1)
	v_and_b32_e32 v6, 0x7f, v7
	v_cmpx_ne_u32_e32 0x7f, v6
	s_cbranch_execz .LBB456_2081
; %bb.2078:                             ;   in Loop: Header=BB456_991 Depth=1
	v_and_b32_e32 v9, 7, v7
	v_lshrrev_b32_e32 v5, 3, v6
	s_mov_b32 s15, exec_lo
	v_cmpx_gt_u32_e32 8, v6
; %bb.2079:                             ;   in Loop: Header=BB456_991 Depth=1
	s_delay_alu instid0(VALU_DEP_3) | instskip(NEXT) | instid1(VALU_DEP_1)
	v_clz_i32_u32_e32 v5, v9
	v_min_u32_e32 v5, 32, v5
	s_delay_alu instid0(VALU_DEP_1) | instskip(SKIP_1) | instid1(VALU_DEP_2)
	v_subrev_nc_u32_e32 v6, 28, v5
	v_sub_nc_u32_e32 v5, 29, v5
	v_lshlrev_b64 v[6:7], v6, v[9:10]
	s_delay_alu instid0(VALU_DEP_1)
	v_and_b32_e32 v9, 7, v6
; %bb.2080:                             ;   in Loop: Header=BB456_991 Depth=1
	s_or_b32 exec_lo, exec_lo, s15
	v_lshlrev_b32_e32 v6, 16, v2
	s_delay_alu instid0(VALU_DEP_2) | instskip(SKIP_1) | instid1(VALU_DEP_3)
	v_lshlrev_b32_e32 v7, 20, v9
	v_lshl_add_u32 v5, v5, 23, 0x3c000000
	v_and_b32_e32 v6, 0x80000000, v6
	s_delay_alu instid0(VALU_DEP_1)
	v_or3_b32 v5, v7, v6, v5
.LBB456_2081:                           ;   in Loop: Header=BB456_991 Depth=1
	s_or_b32 exec_lo, exec_lo, s13
.LBB456_2082:                           ;   in Loop: Header=BB456_991 Depth=1
	s_delay_alu instid0(SALU_CYCLE_1)
	s_or_b32 exec_lo, exec_lo, s12
.LBB456_2083:                           ;   in Loop: Header=BB456_991 Depth=1
	s_delay_alu instid0(SALU_CYCLE_1) | instskip(NEXT) | instid1(VALU_DEP_1)
	s_or_b32 exec_lo, exec_lo, s9
	v_mul_f32_e32 v6, v26, v5
	s_delay_alu instid0(VALU_DEP_1) | instskip(NEXT) | instid1(VALU_DEP_1)
	v_and_b32_e32 v5, 0x7f800000, v6
	v_cmp_ne_u32_e64 s0, 0x7f800000, v5
                                        ; implicit-def: $vgpr5
	s_delay_alu instid0(VALU_DEP_1) | instskip(NEXT) | instid1(SALU_CYCLE_1)
	s_and_saveexec_b32 s9, s0
	s_xor_b32 s0, exec_lo, s9
; %bb.2084:                             ;   in Loop: Header=BB456_991 Depth=1
	v_bfe_u32 v5, v6, 16, 1
	s_delay_alu instid0(VALU_DEP_1)
	v_add3_u32 v5, v6, v5, 0x7fff
                                        ; implicit-def: $vgpr6
; %bb.2085:                             ;   in Loop: Header=BB456_991 Depth=1
	s_and_not1_saveexec_b32 s9, s0
; %bb.2086:                             ;   in Loop: Header=BB456_991 Depth=1
	v_and_b32_e32 v5, 0xffff, v6
	v_or_b32_e32 v7, 0x10000, v6
	s_delay_alu instid0(VALU_DEP_2) | instskip(NEXT) | instid1(VALU_DEP_1)
	v_cmp_eq_u32_e64 s0, 0, v5
	v_cndmask_b32_e64 v5, v7, v6, s0
; %bb.2087:                             ;   in Loop: Header=BB456_991 Depth=1
	s_or_b32 exec_lo, exec_lo, s9
	v_lshrrev_b32_e32 v6, 16, v2
	v_mov_b32_e32 v7, 0
	s_mov_b32 s9, exec_lo
	s_delay_alu instid0(VALU_DEP_2) | instskip(NEXT) | instid1(VALU_DEP_1)
	v_and_b32_e32 v9, 0xff, v6
	v_cmpx_ne_u16_e32 0, v9
	s_cbranch_execz .LBB456_2095
; %bb.2088:                             ;   in Loop: Header=BB456_991 Depth=1
	v_bfrev_b32_e32 v7, 1
	s_mov_b32 s12, exec_lo
	v_cmpx_ne_u16_e32 0x80, v9
	s_cbranch_execz .LBB456_2094
; %bb.2089:                             ;   in Loop: Header=BB456_991 Depth=1
	v_bfe_u32 v23, v2, 16, 7
	v_mov_b32_e32 v7, 0x7f800001
	s_mov_b32 s13, exec_lo
	s_delay_alu instid0(VALU_DEP_2)
	v_cmpx_ne_u32_e32 0x7f, v23
	s_cbranch_execz .LBB456_2093
; %bb.2090:                             ;   in Loop: Header=BB456_991 Depth=1
	v_and_b32_e32 v9, 7, v6
	v_lshrrev_b32_e32 v7, 3, v23
	s_mov_b32 s15, exec_lo
	v_cmpx_gt_u32_e32 8, v23
; %bb.2091:                             ;   in Loop: Header=BB456_991 Depth=1
	s_delay_alu instid0(VALU_DEP_3) | instskip(NEXT) | instid1(VALU_DEP_1)
	v_clz_i32_u32_e32 v7, v9
	v_min_u32_e32 v7, 32, v7
	s_delay_alu instid0(VALU_DEP_1) | instskip(SKIP_1) | instid1(VALU_DEP_2)
	v_subrev_nc_u32_e32 v23, 28, v7
	v_sub_nc_u32_e32 v7, 29, v7
	v_lshlrev_b64 v[45:46], v23, v[9:10]
	s_delay_alu instid0(VALU_DEP_1)
	v_and_b32_e32 v9, 7, v45
; %bb.2092:                             ;   in Loop: Header=BB456_991 Depth=1
	s_or_b32 exec_lo, exec_lo, s15
	v_lshlrev_b32_e32 v6, 24, v6
	s_delay_alu instid0(VALU_DEP_2) | instskip(SKIP_1) | instid1(VALU_DEP_3)
	v_lshlrev_b32_e32 v9, 20, v9
	v_lshl_add_u32 v7, v7, 23, 0x3c000000
	v_and_b32_e32 v6, 0x80000000, v6
	s_delay_alu instid0(VALU_DEP_1)
	v_or3_b32 v7, v9, v6, v7
.LBB456_2093:                           ;   in Loop: Header=BB456_991 Depth=1
	s_or_b32 exec_lo, exec_lo, s13
.LBB456_2094:                           ;   in Loop: Header=BB456_991 Depth=1
	s_delay_alu instid0(SALU_CYCLE_1)
	s_or_b32 exec_lo, exec_lo, s12
.LBB456_2095:                           ;   in Loop: Header=BB456_991 Depth=1
	s_delay_alu instid0(SALU_CYCLE_1) | instskip(NEXT) | instid1(VALU_DEP_1)
	s_or_b32 exec_lo, exec_lo, s9
	v_mul_f32_e32 v6, v26, v7
                                        ; implicit-def: $vgpr23
	s_delay_alu instid0(VALU_DEP_1) | instskip(NEXT) | instid1(VALU_DEP_1)
	v_and_b32_e32 v7, 0x7f800000, v6
	v_cmp_ne_u32_e64 s0, 0x7f800000, v7
	s_delay_alu instid0(VALU_DEP_1) | instskip(NEXT) | instid1(SALU_CYCLE_1)
	s_and_saveexec_b32 s9, s0
	s_xor_b32 s0, exec_lo, s9
; %bb.2096:                             ;   in Loop: Header=BB456_991 Depth=1
	v_bfe_u32 v7, v6, 16, 1
	s_delay_alu instid0(VALU_DEP_1)
	v_add3_u32 v23, v6, v7, 0x7fff
                                        ; implicit-def: $vgpr6
; %bb.2097:                             ;   in Loop: Header=BB456_991 Depth=1
	s_and_not1_saveexec_b32 s9, s0
; %bb.2098:                             ;   in Loop: Header=BB456_991 Depth=1
	v_and_b32_e32 v7, 0xffff, v6
	v_or_b32_e32 v9, 0x10000, v6
	s_delay_alu instid0(VALU_DEP_2) | instskip(NEXT) | instid1(VALU_DEP_1)
	v_cmp_eq_u32_e64 s0, 0, v7
	v_cndmask_b32_e64 v23, v9, v6, s0
; %bb.2099:                             ;   in Loop: Header=BB456_991 Depth=1
	s_or_b32 exec_lo, exec_lo, s9
	v_mov_b32_e32 v7, 0
	s_mov_b32 s9, exec_lo
	v_cmpx_lt_u32_e32 0xffffff, v2
	s_cbranch_execz .LBB456_2107
; %bb.2100:                             ;   in Loop: Header=BB456_991 Depth=1
	v_lshrrev_b32_e32 v6, 24, v2
	v_bfrev_b32_e32 v7, 1
	s_mov_b32 s12, exec_lo
	s_delay_alu instid0(VALU_DEP_2)
	v_cmpx_ne_u32_e32 0x80, v6
	s_cbranch_execz .LBB456_2106
; %bb.2101:                             ;   in Loop: Header=BB456_991 Depth=1
	v_bfe_u32 v36, v2, 24, 7
	v_mov_b32_e32 v7, 0x7f800001
	s_mov_b32 s13, exec_lo
	s_delay_alu instid0(VALU_DEP_2)
	v_cmpx_ne_u32_e32 0x7f, v36
	s_cbranch_execz .LBB456_2105
; %bb.2102:                             ;   in Loop: Header=BB456_991 Depth=1
	v_and_b32_e32 v9, 7, v6
	v_lshrrev_b32_e32 v7, 3, v36
	s_mov_b32 s15, exec_lo
	v_cmpx_gt_u32_e32 8, v36
; %bb.2103:                             ;   in Loop: Header=BB456_991 Depth=1
	s_delay_alu instid0(VALU_DEP_3) | instskip(NEXT) | instid1(VALU_DEP_1)
	v_clz_i32_u32_e32 v7, v9
	v_min_u32_e32 v7, 32, v7
	s_delay_alu instid0(VALU_DEP_1) | instskip(SKIP_1) | instid1(VALU_DEP_2)
	v_subrev_nc_u32_e32 v36, 28, v7
	v_sub_nc_u32_e32 v7, 29, v7
	v_lshlrev_b64 v[45:46], v36, v[9:10]
	s_delay_alu instid0(VALU_DEP_1)
	v_and_b32_e32 v9, 7, v45
; %bb.2104:                             ;   in Loop: Header=BB456_991 Depth=1
	s_or_b32 exec_lo, exec_lo, s15
	v_lshlrev_b32_e32 v6, 24, v6
	s_delay_alu instid0(VALU_DEP_2) | instskip(SKIP_1) | instid1(VALU_DEP_3)
	v_lshlrev_b32_e32 v9, 20, v9
	v_lshl_add_u32 v7, v7, 23, 0x3c000000
	v_and_b32_e32 v6, 0x80000000, v6
	s_delay_alu instid0(VALU_DEP_1)
	v_or3_b32 v7, v9, v6, v7
.LBB456_2105:                           ;   in Loop: Header=BB456_991 Depth=1
	s_or_b32 exec_lo, exec_lo, s13
.LBB456_2106:                           ;   in Loop: Header=BB456_991 Depth=1
	s_delay_alu instid0(SALU_CYCLE_1)
	s_or_b32 exec_lo, exec_lo, s12
.LBB456_2107:                           ;   in Loop: Header=BB456_991 Depth=1
	s_delay_alu instid0(SALU_CYCLE_1) | instskip(NEXT) | instid1(VALU_DEP_1)
	s_or_b32 exec_lo, exec_lo, s9
	v_mul_f32_e32 v6, v26, v7
                                        ; implicit-def: $vgpr36
	s_delay_alu instid0(VALU_DEP_1) | instskip(NEXT) | instid1(VALU_DEP_1)
	v_and_b32_e32 v7, 0x7f800000, v6
	v_cmp_ne_u32_e64 s0, 0x7f800000, v7
	s_delay_alu instid0(VALU_DEP_1) | instskip(NEXT) | instid1(SALU_CYCLE_1)
	s_and_saveexec_b32 s9, s0
	s_xor_b32 s0, exec_lo, s9
; %bb.2108:                             ;   in Loop: Header=BB456_991 Depth=1
	v_bfe_u32 v7, v6, 16, 1
	s_delay_alu instid0(VALU_DEP_1)
	v_add3_u32 v36, v6, v7, 0x7fff
                                        ; implicit-def: $vgpr6
; %bb.2109:                             ;   in Loop: Header=BB456_991 Depth=1
	s_and_not1_saveexec_b32 s9, s0
; %bb.2110:                             ;   in Loop: Header=BB456_991 Depth=1
	v_and_b32_e32 v7, 0xffff, v6
	v_or_b32_e32 v9, 0x10000, v6
	s_delay_alu instid0(VALU_DEP_2) | instskip(NEXT) | instid1(VALU_DEP_1)
	v_cmp_eq_u32_e64 s0, 0, v7
	v_cndmask_b32_e64 v36, v9, v6, s0
; %bb.2111:                             ;   in Loop: Header=BB456_991 Depth=1
	s_or_b32 exec_lo, exec_lo, s9
	v_dual_mov_b32 v6, 0 :: v_dual_and_b32 v7, 0xff, v3
	v_mov_b32_e32 v9, v3
	s_mov_b32 s9, exec_lo
	s_delay_alu instid0(VALU_DEP_2)
	v_cmpx_ne_u16_e32 0, v7
	s_cbranch_execz .LBB456_2119
; %bb.2112:                             ;   in Loop: Header=BB456_991 Depth=1
	v_bfrev_b32_e32 v6, 1
	s_mov_b32 s12, exec_lo
	v_cmpx_ne_u16_e32 0x80, v7
	s_cbranch_execz .LBB456_2118
; %bb.2113:                             ;   in Loop: Header=BB456_991 Depth=1
	v_and_b32_e32 v7, 0x7f, v3
	v_mov_b32_e32 v6, 0x7f800001
	s_mov_b32 s13, exec_lo
	s_delay_alu instid0(VALU_DEP_2)
	v_cmpx_ne_u32_e32 0x7f, v7
	s_cbranch_execz .LBB456_2117
; %bb.2114:                             ;   in Loop: Header=BB456_991 Depth=1
	v_lshrrev_b32_e32 v45, 3, v7
	v_cmp_gt_u32_e64 s0, 8, v7
	v_dual_mov_b32 v6, v9 :: v_dual_mov_b32 v7, v10
	s_delay_alu instid0(VALU_DEP_2)
	s_and_saveexec_b32 s15, s0
; %bb.2115:                             ;   in Loop: Header=BB456_991 Depth=1
	v_and_b32_e32 v6, 7, v3
	s_delay_alu instid0(VALU_DEP_1) | instskip(NEXT) | instid1(VALU_DEP_1)
	v_clz_i32_u32_e32 v6, v6
	v_min_u32_e32 v45, 32, v6
	s_delay_alu instid0(VALU_DEP_1) | instskip(SKIP_1) | instid1(VALU_DEP_2)
	v_subrev_nc_u32_e32 v6, 28, v45
	v_sub_nc_u32_e32 v45, 29, v45
	v_lshlrev_b64 v[6:7], v6, v[9:10]
; %bb.2116:                             ;   in Loop: Header=BB456_991 Depth=1
	s_or_b32 exec_lo, exec_lo, s15
	s_delay_alu instid0(VALU_DEP_1) | instskip(SKIP_2) | instid1(VALU_DEP_3)
	v_lshlrev_b32_e32 v6, 20, v6
	v_lshlrev_b32_e32 v7, 24, v9
	v_lshl_add_u32 v45, v45, 23, 0x3c000000
	v_and_b32_e32 v6, 0x700000, v6
	s_delay_alu instid0(VALU_DEP_3) | instskip(NEXT) | instid1(VALU_DEP_1)
	v_and_b32_e32 v7, 0x80000000, v7
	v_or3_b32 v6, v6, v7, v45
.LBB456_2117:                           ;   in Loop: Header=BB456_991 Depth=1
	s_or_b32 exec_lo, exec_lo, s13
.LBB456_2118:                           ;   in Loop: Header=BB456_991 Depth=1
	s_delay_alu instid0(SALU_CYCLE_1)
	s_or_b32 exec_lo, exec_lo, s12
.LBB456_2119:                           ;   in Loop: Header=BB456_991 Depth=1
	s_delay_alu instid0(SALU_CYCLE_1) | instskip(NEXT) | instid1(VALU_DEP_1)
	s_or_b32 exec_lo, exec_lo, s9
	v_mul_f32_e32 v6, v26, v6
                                        ; implicit-def: $vgpr45
	s_delay_alu instid0(VALU_DEP_1) | instskip(NEXT) | instid1(VALU_DEP_1)
	v_and_b32_e32 v7, 0x7f800000, v6
	v_cmp_ne_u32_e64 s0, 0x7f800000, v7
	s_delay_alu instid0(VALU_DEP_1) | instskip(NEXT) | instid1(SALU_CYCLE_1)
	s_and_saveexec_b32 s9, s0
	s_xor_b32 s0, exec_lo, s9
; %bb.2120:                             ;   in Loop: Header=BB456_991 Depth=1
	v_bfe_u32 v7, v6, 16, 1
	s_delay_alu instid0(VALU_DEP_1)
	v_add3_u32 v45, v6, v7, 0x7fff
                                        ; implicit-def: $vgpr6
; %bb.2121:                             ;   in Loop: Header=BB456_991 Depth=1
	s_and_not1_saveexec_b32 s9, s0
; %bb.2122:                             ;   in Loop: Header=BB456_991 Depth=1
	v_and_b32_e32 v7, 0xffff, v6
	v_or_b32_e32 v45, 0x10000, v6
	s_delay_alu instid0(VALU_DEP_2) | instskip(NEXT) | instid1(VALU_DEP_1)
	v_cmp_eq_u32_e64 s0, 0, v7
	v_cndmask_b32_e64 v45, v45, v6, s0
; %bb.2123:                             ;   in Loop: Header=BB456_991 Depth=1
	s_or_b32 exec_lo, exec_lo, s9
	v_lshrrev_b16 v7, 8, v9
	v_mov_b32_e32 v6, 0
	s_mov_b32 s9, exec_lo
	s_delay_alu instid0(VALU_DEP_2)
	v_cmpx_ne_u16_e32 0, v7
	s_cbranch_execz .LBB456_2131
; %bb.2124:                             ;   in Loop: Header=BB456_991 Depth=1
	v_bfrev_b32_e32 v6, 1
	s_mov_b32 s12, exec_lo
	v_cmpx_ne_u16_e32 0x80, v7
	s_cbranch_execz .LBB456_2130
; %bb.2125:                             ;   in Loop: Header=BB456_991 Depth=1
	v_and_b32_e32 v7, 0xffff, v7
	v_mov_b32_e32 v6, 0x7f800001
	s_mov_b32 s13, exec_lo
	s_delay_alu instid0(VALU_DEP_2) | instskip(NEXT) | instid1(VALU_DEP_1)
	v_and_b32_e32 v47, 0x7f, v7
	v_cmpx_ne_u32_e32 0x7f, v47
	s_cbranch_execz .LBB456_2129
; %bb.2126:                             ;   in Loop: Header=BB456_991 Depth=1
	v_dual_mov_b32 v7, v10 :: v_dual_and_b32 v6, 7, v7
	v_lshrrev_b32_e32 v46, 3, v47
	s_mov_b32 s15, exec_lo
	v_cmpx_gt_u32_e32 8, v47
; %bb.2127:                             ;   in Loop: Header=BB456_991 Depth=1
	s_delay_alu instid0(VALU_DEP_3) | instskip(NEXT) | instid1(VALU_DEP_1)
	v_clz_i32_u32_e32 v46, v6
	v_min_u32_e32 v46, 32, v46
	s_delay_alu instid0(VALU_DEP_1) | instskip(SKIP_1) | instid1(VALU_DEP_2)
	v_subrev_nc_u32_e32 v47, 28, v46
	v_sub_nc_u32_e32 v46, 29, v46
	v_lshlrev_b64 v[6:7], v47, v[6:7]
	s_delay_alu instid0(VALU_DEP_1)
	v_and_b32_e32 v6, 7, v6
; %bb.2128:                             ;   in Loop: Header=BB456_991 Depth=1
	s_or_b32 exec_lo, exec_lo, s15
	v_lshlrev_b32_e32 v7, 16, v9
	s_delay_alu instid0(VALU_DEP_2) | instskip(SKIP_1) | instid1(VALU_DEP_3)
	v_lshlrev_b32_e32 v6, 20, v6
	v_lshl_add_u32 v9, v46, 23, 0x3c000000
	v_and_b32_e32 v7, 0x80000000, v7
	s_delay_alu instid0(VALU_DEP_1)
	v_or3_b32 v6, v6, v7, v9
.LBB456_2129:                           ;   in Loop: Header=BB456_991 Depth=1
	s_or_b32 exec_lo, exec_lo, s13
.LBB456_2130:                           ;   in Loop: Header=BB456_991 Depth=1
	s_delay_alu instid0(SALU_CYCLE_1)
	s_or_b32 exec_lo, exec_lo, s12
.LBB456_2131:                           ;   in Loop: Header=BB456_991 Depth=1
	s_delay_alu instid0(SALU_CYCLE_1) | instskip(NEXT) | instid1(VALU_DEP_1)
	s_or_b32 exec_lo, exec_lo, s9
	v_mul_f32_e32 v7, v26, v6
	s_delay_alu instid0(VALU_DEP_1) | instskip(NEXT) | instid1(VALU_DEP_1)
	v_and_b32_e32 v6, 0x7f800000, v7
	v_cmp_ne_u32_e64 s0, 0x7f800000, v6
                                        ; implicit-def: $vgpr6
	s_delay_alu instid0(VALU_DEP_1) | instskip(NEXT) | instid1(SALU_CYCLE_1)
	s_and_saveexec_b32 s9, s0
	s_xor_b32 s0, exec_lo, s9
; %bb.2132:                             ;   in Loop: Header=BB456_991 Depth=1
	v_bfe_u32 v6, v7, 16, 1
	s_delay_alu instid0(VALU_DEP_1)
	v_add3_u32 v6, v7, v6, 0x7fff
                                        ; implicit-def: $vgpr7
; %bb.2133:                             ;   in Loop: Header=BB456_991 Depth=1
	s_and_not1_saveexec_b32 s9, s0
; %bb.2134:                             ;   in Loop: Header=BB456_991 Depth=1
	v_and_b32_e32 v6, 0xffff, v7
	v_or_b32_e32 v9, 0x10000, v7
	s_delay_alu instid0(VALU_DEP_2) | instskip(NEXT) | instid1(VALU_DEP_1)
	v_cmp_eq_u32_e64 s0, 0, v6
	v_cndmask_b32_e64 v6, v9, v7, s0
; %bb.2135:                             ;   in Loop: Header=BB456_991 Depth=1
	s_or_b32 exec_lo, exec_lo, s9
	v_lshrrev_b32_e32 v7, 16, v3
	s_mov_b32 s9, exec_lo
	s_delay_alu instid0(VALU_DEP_1) | instskip(NEXT) | instid1(VALU_DEP_1)
	v_dual_mov_b32 v9, 0 :: v_dual_and_b32 v46, 0xff, v7
	v_cmpx_ne_u16_e32 0, v46
	s_cbranch_execz .LBB456_2143
; %bb.2136:                             ;   in Loop: Header=BB456_991 Depth=1
	v_bfrev_b32_e32 v9, 1
	s_mov_b32 s12, exec_lo
	v_cmpx_ne_u16_e32 0x80, v46
	s_cbranch_execz .LBB456_2142
; %bb.2137:                             ;   in Loop: Header=BB456_991 Depth=1
	v_bfe_u32 v47, v3, 16, 7
	v_mov_b32_e32 v9, 0x7f800001
	s_mov_b32 s13, exec_lo
	s_delay_alu instid0(VALU_DEP_2)
	v_cmpx_ne_u32_e32 0x7f, v47
	s_cbranch_execz .LBB456_2141
; %bb.2138:                             ;   in Loop: Header=BB456_991 Depth=1
	v_and_b32_e32 v9, 7, v7
	v_lshrrev_b32_e32 v46, 3, v47
	s_mov_b32 s15, exec_lo
	v_cmpx_gt_u32_e32 8, v47
; %bb.2139:                             ;   in Loop: Header=BB456_991 Depth=1
	s_delay_alu instid0(VALU_DEP_3) | instskip(NEXT) | instid1(VALU_DEP_1)
	v_clz_i32_u32_e32 v46, v9
	v_min_u32_e32 v46, 32, v46
	s_delay_alu instid0(VALU_DEP_1) | instskip(SKIP_1) | instid1(VALU_DEP_2)
	v_subrev_nc_u32_e32 v47, 28, v46
	v_sub_nc_u32_e32 v46, 29, v46
	v_lshlrev_b64 v[56:57], v47, v[9:10]
	s_delay_alu instid0(VALU_DEP_1)
	v_and_b32_e32 v9, 7, v56
; %bb.2140:                             ;   in Loop: Header=BB456_991 Depth=1
	s_or_b32 exec_lo, exec_lo, s15
	v_lshlrev_b32_e32 v7, 24, v7
	s_delay_alu instid0(VALU_DEP_2) | instskip(SKIP_1) | instid1(VALU_DEP_3)
	v_lshlrev_b32_e32 v9, 20, v9
	v_lshl_add_u32 v46, v46, 23, 0x3c000000
	v_and_b32_e32 v7, 0x80000000, v7
	s_delay_alu instid0(VALU_DEP_1)
	v_or3_b32 v9, v9, v7, v46
.LBB456_2141:                           ;   in Loop: Header=BB456_991 Depth=1
	s_or_b32 exec_lo, exec_lo, s13
.LBB456_2142:                           ;   in Loop: Header=BB456_991 Depth=1
	s_delay_alu instid0(SALU_CYCLE_1)
	s_or_b32 exec_lo, exec_lo, s12
.LBB456_2143:                           ;   in Loop: Header=BB456_991 Depth=1
	s_delay_alu instid0(SALU_CYCLE_1) | instskip(NEXT) | instid1(VALU_DEP_1)
	s_or_b32 exec_lo, exec_lo, s9
	v_mul_f32_e32 v7, v26, v9
                                        ; implicit-def: $vgpr46
	s_delay_alu instid0(VALU_DEP_1) | instskip(NEXT) | instid1(VALU_DEP_1)
	v_and_b32_e32 v9, 0x7f800000, v7
	v_cmp_ne_u32_e64 s0, 0x7f800000, v9
	s_delay_alu instid0(VALU_DEP_1) | instskip(NEXT) | instid1(SALU_CYCLE_1)
	s_and_saveexec_b32 s9, s0
	s_xor_b32 s0, exec_lo, s9
; %bb.2144:                             ;   in Loop: Header=BB456_991 Depth=1
	v_bfe_u32 v9, v7, 16, 1
	s_delay_alu instid0(VALU_DEP_1)
	v_add3_u32 v46, v7, v9, 0x7fff
                                        ; implicit-def: $vgpr7
; %bb.2145:                             ;   in Loop: Header=BB456_991 Depth=1
	s_and_not1_saveexec_b32 s9, s0
; %bb.2146:                             ;   in Loop: Header=BB456_991 Depth=1
	v_and_b32_e32 v9, 0xffff, v7
	v_or_b32_e32 v46, 0x10000, v7
	s_delay_alu instid0(VALU_DEP_2) | instskip(NEXT) | instid1(VALU_DEP_1)
	v_cmp_eq_u32_e64 s0, 0, v9
	v_cndmask_b32_e64 v46, v46, v7, s0
; %bb.2147:                             ;   in Loop: Header=BB456_991 Depth=1
	s_or_b32 exec_lo, exec_lo, s9
	v_mov_b32_e32 v7, 0
	s_mov_b32 s9, exec_lo
	v_cmpx_lt_u64_e64 s[2:3], v[2:3]
	s_cbranch_execz .LBB456_2155
; %bb.2148:                             ;   in Loop: Header=BB456_991 Depth=1
	v_lshrrev_b32_e32 v2, 24, v3
	v_bfrev_b32_e32 v7, 1
	s_mov_b32 s12, exec_lo
	s_delay_alu instid0(VALU_DEP_2)
	v_cmpx_ne_u32_e32 0x80, v2
	s_cbranch_execz .LBB456_2154
; %bb.2149:                             ;   in Loop: Header=BB456_991 Depth=1
	v_bfe_u32 v47, v3, 24, 7
	v_mov_b32_e32 v7, 0x7f800001
	s_mov_b32 s13, exec_lo
	s_delay_alu instid0(VALU_DEP_2)
	v_cmpx_ne_u32_e32 0x7f, v47
	s_cbranch_execz .LBB456_2153
; %bb.2150:                             ;   in Loop: Header=BB456_991 Depth=1
	v_and_b32_e32 v9, 7, v2
	v_lshrrev_b32_e32 v3, 3, v47
	s_mov_b32 s15, exec_lo
	v_cmpx_gt_u32_e32 8, v47
; %bb.2151:                             ;   in Loop: Header=BB456_991 Depth=1
	s_delay_alu instid0(VALU_DEP_3) | instskip(NEXT) | instid1(VALU_DEP_1)
	v_clz_i32_u32_e32 v3, v9
	v_min_u32_e32 v3, 32, v3
	s_delay_alu instid0(VALU_DEP_1) | instskip(SKIP_1) | instid1(VALU_DEP_2)
	v_subrev_nc_u32_e32 v7, 28, v3
	v_sub_nc_u32_e32 v3, 29, v3
	v_lshlrev_b64 v[56:57], v7, v[9:10]
	s_delay_alu instid0(VALU_DEP_1)
	v_and_b32_e32 v9, 7, v56
; %bb.2152:                             ;   in Loop: Header=BB456_991 Depth=1
	s_or_b32 exec_lo, exec_lo, s15
	v_lshlrev_b32_e32 v2, 24, v2
	s_delay_alu instid0(VALU_DEP_2) | instskip(SKIP_1) | instid1(VALU_DEP_3)
	v_lshlrev_b32_e32 v7, 20, v9
	v_lshl_add_u32 v3, v3, 23, 0x3c000000
	v_and_b32_e32 v2, 0x80000000, v2
	s_delay_alu instid0(VALU_DEP_1)
	v_or3_b32 v7, v7, v2, v3
.LBB456_2153:                           ;   in Loop: Header=BB456_991 Depth=1
	s_or_b32 exec_lo, exec_lo, s13
.LBB456_2154:                           ;   in Loop: Header=BB456_991 Depth=1
	s_delay_alu instid0(SALU_CYCLE_1)
	s_or_b32 exec_lo, exec_lo, s12
.LBB456_2155:                           ;   in Loop: Header=BB456_991 Depth=1
	s_delay_alu instid0(SALU_CYCLE_1) | instskip(NEXT) | instid1(VALU_DEP_1)
	s_or_b32 exec_lo, exec_lo, s9
	v_mul_f32_e32 v3, v26, v7
	s_delay_alu instid0(VALU_DEP_1) | instskip(NEXT) | instid1(VALU_DEP_1)
	v_and_b32_e32 v2, 0x7f800000, v3
	v_cmp_ne_u32_e64 s0, 0x7f800000, v2
                                        ; implicit-def: $vgpr2
	s_delay_alu instid0(VALU_DEP_1) | instskip(NEXT) | instid1(SALU_CYCLE_1)
	s_and_saveexec_b32 s9, s0
	s_xor_b32 s0, exec_lo, s9
; %bb.2156:                             ;   in Loop: Header=BB456_991 Depth=1
	v_bfe_u32 v2, v3, 16, 1
	s_delay_alu instid0(VALU_DEP_1)
	v_add3_u32 v2, v3, v2, 0x7fff
                                        ; implicit-def: $vgpr3
; %bb.2157:                             ;   in Loop: Header=BB456_991 Depth=1
	s_and_not1_saveexec_b32 s9, s0
; %bb.2158:                             ;   in Loop: Header=BB456_991 Depth=1
	v_and_b32_e32 v2, 0xffff, v3
	v_or_b32_e32 v7, 0x10000, v3
	s_delay_alu instid0(VALU_DEP_2) | instskip(NEXT) | instid1(VALU_DEP_1)
	v_cmp_eq_u32_e64 s0, 0, v2
	v_cndmask_b32_e64 v2, v7, v3, s0
; %bb.2159:                             ;   in Loop: Header=BB456_991 Depth=1
	s_or_b32 exec_lo, exec_lo, s9
	v_lshrrev_b32_e32 v9, 16, v6
	v_lshrrev_b32_e32 v45, 16, v45
	;; [unrolled: 1-line block ×8, first 2 shown]
	s_and_saveexec_b32 s9, vcc_lo
	s_cbranch_execz .LBB456_2161
; %bb.2160:                             ;   in Loop: Header=BB456_991 Depth=1
	v_cmp_lt_i32_e64 s0, v54, v35
	s_delay_alu instid0(VALU_DEP_1) | instskip(SKIP_1) | instid1(VALU_DEP_1)
	v_cndmask_b32_e64 v4, 0, v4, s0
	v_cmp_lt_i32_e64 s0, v68, v35
	v_cndmask_b32_e64 v5, 0, v5, s0
	v_cmp_lt_i32_e64 s0, v67, v35
	s_delay_alu instid0(VALU_DEP_1) | instskip(SKIP_1) | instid1(VALU_DEP_1)
	v_cndmask_b32_e64 v6, 0, v6, s0
	v_cmp_lt_i32_e64 s0, v66, v35
	v_cndmask_b32_e64 v7, 0, v7, s0
	;; [unrolled: 5-line block ×4, first 2 shown]
.LBB456_2161:                           ;   in Loop: Header=BB456_991 Depth=1
	s_or_b32 exec_lo, exec_lo, s9
	v_lshlrev_b32_e32 v4, 16, v4
	s_delay_alu instid0(VALU_DEP_1) | instskip(NEXT) | instid1(VALU_DEP_1)
	v_mul_f32_e32 v23, v69, v4
	v_and_b32_e32 v4, 0x7f800000, v23
	s_delay_alu instid0(VALU_DEP_1) | instskip(NEXT) | instid1(VALU_DEP_1)
	v_cmp_ne_u32_e64 s0, 0x7f800000, v4
                                        ; implicit-def: $vgpr4
	s_and_saveexec_b32 s9, s0
	s_delay_alu instid0(SALU_CYCLE_1)
	s_xor_b32 s0, exec_lo, s9
; %bb.2162:                             ;   in Loop: Header=BB456_991 Depth=1
	v_bfe_u32 v4, v23, 16, 1
	s_delay_alu instid0(VALU_DEP_1)
	v_add3_u32 v4, v23, v4, 0x7fff
                                        ; implicit-def: $vgpr23
; %bb.2163:                             ;   in Loop: Header=BB456_991 Depth=1
	s_and_not1_saveexec_b32 s9, s0
; %bb.2164:                             ;   in Loop: Header=BB456_991 Depth=1
	v_and_b32_e32 v4, 0xffff, v23
	v_or_b32_e32 v36, 0x10000, v23
	s_delay_alu instid0(VALU_DEP_2) | instskip(NEXT) | instid1(VALU_DEP_1)
	v_cmp_eq_u32_e64 s0, 0, v4
	v_cndmask_b32_e64 v4, v36, v23, s0
; %bb.2165:                             ;   in Loop: Header=BB456_991 Depth=1
	s_or_b32 exec_lo, exec_lo, s9
	v_lshlrev_b32_e32 v5, 16, v5
	s_delay_alu instid0(VALU_DEP_1) | instskip(NEXT) | instid1(VALU_DEP_1)
	v_mul_f32_e32 v23, v70, v5
	v_and_b32_e32 v5, 0x7f800000, v23
	s_delay_alu instid0(VALU_DEP_1) | instskip(NEXT) | instid1(VALU_DEP_1)
	v_cmp_ne_u32_e64 s0, 0x7f800000, v5
                                        ; implicit-def: $vgpr5
	s_and_saveexec_b32 s9, s0
	s_delay_alu instid0(SALU_CYCLE_1)
	s_xor_b32 s0, exec_lo, s9
; %bb.2166:                             ;   in Loop: Header=BB456_991 Depth=1
	v_bfe_u32 v5, v23, 16, 1
	s_delay_alu instid0(VALU_DEP_1)
	v_add3_u32 v5, v23, v5, 0x7fff
                                        ; implicit-def: $vgpr23
; %bb.2167:                             ;   in Loop: Header=BB456_991 Depth=1
	s_and_not1_saveexec_b32 s9, s0
; %bb.2168:                             ;   in Loop: Header=BB456_991 Depth=1
	v_and_b32_e32 v5, 0xffff, v23
	v_or_b32_e32 v36, 0x10000, v23
	s_delay_alu instid0(VALU_DEP_2) | instskip(NEXT) | instid1(VALU_DEP_1)
	v_cmp_eq_u32_e64 s0, 0, v5
	v_cndmask_b32_e64 v5, v36, v23, s0
; %bb.2169:                             ;   in Loop: Header=BB456_991 Depth=1
	s_or_b32 exec_lo, exec_lo, s9
	v_lshlrev_b32_e32 v6, 16, v6
	s_delay_alu instid0(VALU_DEP_1) | instskip(NEXT) | instid1(VALU_DEP_1)
	v_mul_f32_e32 v23, v71, v6
	v_and_b32_e32 v6, 0x7f800000, v23
	s_delay_alu instid0(VALU_DEP_1) | instskip(NEXT) | instid1(VALU_DEP_1)
	v_cmp_ne_u32_e64 s0, 0x7f800000, v6
                                        ; implicit-def: $vgpr6
	s_and_saveexec_b32 s9, s0
	s_delay_alu instid0(SALU_CYCLE_1)
	s_xor_b32 s0, exec_lo, s9
; %bb.2170:                             ;   in Loop: Header=BB456_991 Depth=1
	v_bfe_u32 v6, v23, 16, 1
	s_delay_alu instid0(VALU_DEP_1)
	v_add3_u32 v6, v23, v6, 0x7fff
                                        ; implicit-def: $vgpr23
; %bb.2171:                             ;   in Loop: Header=BB456_991 Depth=1
	s_and_not1_saveexec_b32 s9, s0
; %bb.2172:                             ;   in Loop: Header=BB456_991 Depth=1
	v_and_b32_e32 v6, 0xffff, v23
	v_or_b32_e32 v36, 0x10000, v23
	s_delay_alu instid0(VALU_DEP_2) | instskip(NEXT) | instid1(VALU_DEP_1)
	v_cmp_eq_u32_e64 s0, 0, v6
	v_cndmask_b32_e64 v6, v36, v23, s0
; %bb.2173:                             ;   in Loop: Header=BB456_991 Depth=1
	s_or_b32 exec_lo, exec_lo, s9
	v_lshlrev_b32_e32 v7, 16, v7
	s_delay_alu instid0(VALU_DEP_1) | instskip(NEXT) | instid1(VALU_DEP_1)
	v_mul_f32_e32 v23, v80, v7
	v_and_b32_e32 v7, 0x7f800000, v23
	s_delay_alu instid0(VALU_DEP_1) | instskip(NEXT) | instid1(VALU_DEP_1)
	v_cmp_ne_u32_e64 s0, 0x7f800000, v7
                                        ; implicit-def: $vgpr7
	s_and_saveexec_b32 s9, s0
	s_delay_alu instid0(SALU_CYCLE_1)
	s_xor_b32 s0, exec_lo, s9
; %bb.2174:                             ;   in Loop: Header=BB456_991 Depth=1
	v_bfe_u32 v7, v23, 16, 1
	s_delay_alu instid0(VALU_DEP_1)
	v_add3_u32 v7, v23, v7, 0x7fff
                                        ; implicit-def: $vgpr23
; %bb.2175:                             ;   in Loop: Header=BB456_991 Depth=1
	s_and_not1_saveexec_b32 s9, s0
; %bb.2176:                             ;   in Loop: Header=BB456_991 Depth=1
	v_and_b32_e32 v7, 0xffff, v23
	v_or_b32_e32 v36, 0x10000, v23
	s_delay_alu instid0(VALU_DEP_2) | instskip(NEXT) | instid1(VALU_DEP_1)
	v_cmp_eq_u32_e64 s0, 0, v7
	v_cndmask_b32_e64 v7, v36, v23, s0
; %bb.2177:                             ;   in Loop: Header=BB456_991 Depth=1
	s_or_b32 exec_lo, exec_lo, s9
	v_lshlrev_b32_e32 v23, 16, v45
	s_delay_alu instid0(VALU_DEP_1) | instskip(NEXT) | instid1(VALU_DEP_1)
	v_mul_f32_e32 v36, v81, v23
	v_and_b32_e32 v23, 0x7f800000, v36
	s_delay_alu instid0(VALU_DEP_1) | instskip(NEXT) | instid1(VALU_DEP_1)
	v_cmp_ne_u32_e64 s0, 0x7f800000, v23
                                        ; implicit-def: $vgpr23
	s_and_saveexec_b32 s9, s0
	s_delay_alu instid0(SALU_CYCLE_1)
	s_xor_b32 s0, exec_lo, s9
; %bb.2178:                             ;   in Loop: Header=BB456_991 Depth=1
	v_bfe_u32 v23, v36, 16, 1
	s_delay_alu instid0(VALU_DEP_1)
	v_add3_u32 v23, v36, v23, 0x7fff
                                        ; implicit-def: $vgpr36
; %bb.2179:                             ;   in Loop: Header=BB456_991 Depth=1
	s_and_not1_saveexec_b32 s9, s0
; %bb.2180:                             ;   in Loop: Header=BB456_991 Depth=1
	v_and_b32_e32 v23, 0xffff, v36
	v_or_b32_e32 v45, 0x10000, v36
	s_delay_alu instid0(VALU_DEP_2) | instskip(NEXT) | instid1(VALU_DEP_1)
	v_cmp_eq_u32_e64 s0, 0, v23
	v_cndmask_b32_e64 v23, v45, v36, s0
; %bb.2181:                             ;   in Loop: Header=BB456_991 Depth=1
	s_or_b32 exec_lo, exec_lo, s9
	v_lshlrev_b32_e32 v9, 16, v9
	s_delay_alu instid0(VALU_DEP_1) | instskip(NEXT) | instid1(VALU_DEP_1)
	v_mul_f32_e32 v9, v82, v9
	v_and_b32_e32 v36, 0x7f800000, v9
	s_delay_alu instid0(VALU_DEP_1) | instskip(NEXT) | instid1(VALU_DEP_1)
	v_cmp_ne_u32_e64 s0, 0x7f800000, v36
                                        ; implicit-def: $vgpr36
	s_and_saveexec_b32 s9, s0
	s_delay_alu instid0(SALU_CYCLE_1)
	s_xor_b32 s0, exec_lo, s9
; %bb.2182:                             ;   in Loop: Header=BB456_991 Depth=1
	v_bfe_u32 v36, v9, 16, 1
	s_delay_alu instid0(VALU_DEP_1)
	v_add3_u32 v36, v9, v36, 0x7fff
                                        ; implicit-def: $vgpr9
; %bb.2183:                             ;   in Loop: Header=BB456_991 Depth=1
	s_and_not1_saveexec_b32 s9, s0
; %bb.2184:                             ;   in Loop: Header=BB456_991 Depth=1
	v_and_b32_e32 v36, 0xffff, v9
	v_or_b32_e32 v45, 0x10000, v9
	s_delay_alu instid0(VALU_DEP_2) | instskip(NEXT) | instid1(VALU_DEP_1)
	v_cmp_eq_u32_e64 s0, 0, v36
	v_cndmask_b32_e64 v36, v45, v9, s0
; %bb.2185:                             ;   in Loop: Header=BB456_991 Depth=1
	s_or_b32 exec_lo, exec_lo, s9
	v_lshlrev_b32_e32 v3, 16, v3
                                        ; implicit-def: $vgpr45
	s_delay_alu instid0(VALU_DEP_1) | instskip(NEXT) | instid1(VALU_DEP_1)
	v_mul_f32_e32 v3, v83, v3
	v_and_b32_e32 v9, 0x7f800000, v3
	s_delay_alu instid0(VALU_DEP_1) | instskip(NEXT) | instid1(VALU_DEP_1)
	v_cmp_ne_u32_e64 s0, 0x7f800000, v9
	s_and_saveexec_b32 s9, s0
	s_delay_alu instid0(SALU_CYCLE_1)
	s_xor_b32 s0, exec_lo, s9
; %bb.2186:                             ;   in Loop: Header=BB456_991 Depth=1
	v_bfe_u32 v9, v3, 16, 1
	s_delay_alu instid0(VALU_DEP_1)
	v_add3_u32 v45, v3, v9, 0x7fff
                                        ; implicit-def: $vgpr3
; %bb.2187:                             ;   in Loop: Header=BB456_991 Depth=1
	s_and_not1_saveexec_b32 s9, s0
; %bb.2188:                             ;   in Loop: Header=BB456_991 Depth=1
	v_and_b32_e32 v9, 0xffff, v3
	v_or_b32_e32 v45, 0x10000, v3
	s_delay_alu instid0(VALU_DEP_2) | instskip(NEXT) | instid1(VALU_DEP_1)
	v_cmp_eq_u32_e64 s0, 0, v9
	v_cndmask_b32_e64 v45, v45, v3, s0
; %bb.2189:                             ;   in Loop: Header=BB456_991 Depth=1
	s_or_b32 exec_lo, exec_lo, s9
	v_lshlrev_b32_e32 v2, 16, v2
                                        ; implicit-def: $vgpr46
	s_delay_alu instid0(VALU_DEP_1) | instskip(NEXT) | instid1(VALU_DEP_1)
	v_mul_f32_e32 v2, v84, v2
	v_and_b32_e32 v3, 0x7f800000, v2
	s_delay_alu instid0(VALU_DEP_1) | instskip(NEXT) | instid1(VALU_DEP_1)
	v_cmp_ne_u32_e64 s0, 0x7f800000, v3
	s_and_saveexec_b32 s9, s0
	s_delay_alu instid0(SALU_CYCLE_1)
	s_xor_b32 s0, exec_lo, s9
; %bb.2190:                             ;   in Loop: Header=BB456_991 Depth=1
	v_bfe_u32 v3, v2, 16, 1
	s_delay_alu instid0(VALU_DEP_1)
	v_add3_u32 v46, v2, v3, 0x7fff
                                        ; implicit-def: $vgpr2
; %bb.2191:                             ;   in Loop: Header=BB456_991 Depth=1
	s_and_not1_saveexec_b32 s9, s0
; %bb.2192:                             ;   in Loop: Header=BB456_991 Depth=1
	v_and_b32_e32 v3, 0xffff, v2
	v_or_b32_e32 v9, 0x10000, v2
	s_delay_alu instid0(VALU_DEP_2) | instskip(NEXT) | instid1(VALU_DEP_1)
	v_cmp_eq_u32_e64 s0, 0, v3
	v_cndmask_b32_e64 v46, v9, v2, s0
; %bb.2193:                             ;   in Loop: Header=BB456_991 Depth=1
	s_or_b32 exec_lo, exec_lo, s9
	flat_load_b64 v[0:1], v[0:1] offset:2304
	s_mov_b32 s9, exec_lo
	s_waitcnt vmcnt(0) lgkmcnt(0)
	v_dual_mov_b32 v2, 0 :: v_dual_and_b32 v3, 0xff, v0
	s_delay_alu instid0(VALU_DEP_1)
	v_cmpx_ne_u16_e32 0, v3
	s_cbranch_execz .LBB456_2201
; %bb.2194:                             ;   in Loop: Header=BB456_991 Depth=1
	v_bfrev_b32_e32 v2, 1
	s_mov_b32 s12, exec_lo
	v_cmpx_ne_u16_e32 0x80, v3
	s_cbranch_execz .LBB456_2200
; %bb.2195:                             ;   in Loop: Header=BB456_991 Depth=1
	v_and_b32_e32 v3, 0x7f, v0
	v_mov_b32_e32 v2, 0x7f800001
	s_mov_b32 s13, exec_lo
	s_delay_alu instid0(VALU_DEP_2)
	v_cmpx_ne_u32_e32 0x7f, v3
	s_cbranch_execz .LBB456_2199
; %bb.2196:                             ;   in Loop: Header=BB456_991 Depth=1
	v_lshrrev_b32_e32 v9, 3, v3
	v_cmp_gt_u32_e64 s0, 8, v3
	v_dual_mov_b32 v3, v1 :: v_dual_mov_b32 v2, v0
	s_delay_alu instid0(VALU_DEP_2)
	s_and_saveexec_b32 s15, s0
; %bb.2197:                             ;   in Loop: Header=BB456_991 Depth=1
	v_and_b32_e32 v2, 7, v0
	s_delay_alu instid0(VALU_DEP_1) | instskip(NEXT) | instid1(VALU_DEP_1)
	v_clz_i32_u32_e32 v2, v2
	v_min_u32_e32 v9, 32, v2
	s_delay_alu instid0(VALU_DEP_1) | instskip(SKIP_1) | instid1(VALU_DEP_2)
	v_subrev_nc_u32_e32 v2, 28, v9
	v_sub_nc_u32_e32 v9, 29, v9
	v_lshlrev_b64 v[2:3], v2, v[0:1]
; %bb.2198:                             ;   in Loop: Header=BB456_991 Depth=1
	s_or_b32 exec_lo, exec_lo, s15
	s_delay_alu instid0(VALU_DEP_1) | instskip(SKIP_2) | instid1(VALU_DEP_3)
	v_lshlrev_b32_e32 v2, 20, v2
	v_lshlrev_b32_e32 v3, 24, v0
	v_lshl_add_u32 v9, v9, 23, 0x3c000000
	v_and_b32_e32 v2, 0x700000, v2
	s_delay_alu instid0(VALU_DEP_3) | instskip(NEXT) | instid1(VALU_DEP_1)
	v_and_b32_e32 v3, 0x80000000, v3
	v_or3_b32 v2, v2, v3, v9
.LBB456_2199:                           ;   in Loop: Header=BB456_991 Depth=1
	s_or_b32 exec_lo, exec_lo, s13
.LBB456_2200:                           ;   in Loop: Header=BB456_991 Depth=1
	s_delay_alu instid0(SALU_CYCLE_1)
	s_or_b32 exec_lo, exec_lo, s12
.LBB456_2201:                           ;   in Loop: Header=BB456_991 Depth=1
	s_delay_alu instid0(SALU_CYCLE_1) | instskip(NEXT) | instid1(VALU_DEP_1)
	s_or_b32 exec_lo, exec_lo, s9
	v_mul_f32_e32 v2, v26, v2
                                        ; implicit-def: $vgpr47
	s_delay_alu instid0(VALU_DEP_1) | instskip(NEXT) | instid1(VALU_DEP_1)
	v_and_b32_e32 v3, 0x7f800000, v2
	v_cmp_ne_u32_e64 s0, 0x7f800000, v3
	s_delay_alu instid0(VALU_DEP_1) | instskip(NEXT) | instid1(SALU_CYCLE_1)
	s_and_saveexec_b32 s9, s0
	s_xor_b32 s0, exec_lo, s9
; %bb.2202:                             ;   in Loop: Header=BB456_991 Depth=1
	v_bfe_u32 v3, v2, 16, 1
	s_delay_alu instid0(VALU_DEP_1)
	v_add3_u32 v47, v2, v3, 0x7fff
                                        ; implicit-def: $vgpr2
; %bb.2203:                             ;   in Loop: Header=BB456_991 Depth=1
	s_and_not1_saveexec_b32 s9, s0
; %bb.2204:                             ;   in Loop: Header=BB456_991 Depth=1
	v_and_b32_e32 v3, 0xffff, v2
	v_or_b32_e32 v9, 0x10000, v2
	s_delay_alu instid0(VALU_DEP_2) | instskip(NEXT) | instid1(VALU_DEP_1)
	v_cmp_eq_u32_e64 s0, 0, v3
	v_cndmask_b32_e64 v47, v9, v2, s0
; %bb.2205:                             ;   in Loop: Header=BB456_991 Depth=1
	s_or_b32 exec_lo, exec_lo, s9
	v_lshrrev_b16 v3, 8, v0
	v_mov_b32_e32 v2, 0
	s_mov_b32 s9, exec_lo
	s_delay_alu instid0(VALU_DEP_2)
	v_cmpx_ne_u16_e32 0, v3
	s_cbranch_execz .LBB456_2213
; %bb.2206:                             ;   in Loop: Header=BB456_991 Depth=1
	v_bfrev_b32_e32 v2, 1
	s_mov_b32 s12, exec_lo
	v_cmpx_ne_u16_e32 0x80, v3
	s_cbranch_execz .LBB456_2212
; %bb.2207:                             ;   in Loop: Header=BB456_991 Depth=1
	v_and_b32_e32 v9, 0xffff, v3
	v_mov_b32_e32 v2, 0x7f800001
	s_mov_b32 s13, exec_lo
	s_delay_alu instid0(VALU_DEP_2) | instskip(NEXT) | instid1(VALU_DEP_1)
	v_and_b32_e32 v3, 0x7f, v9
	v_cmpx_ne_u32_e32 0x7f, v3
	s_cbranch_execz .LBB456_2211
; %bb.2208:                             ;   in Loop: Header=BB456_991 Depth=1
	v_and_b32_e32 v9, 7, v9
	v_lshrrev_b32_e32 v2, 3, v3
	s_mov_b32 s15, exec_lo
	v_cmpx_gt_u32_e32 8, v3
; %bb.2209:                             ;   in Loop: Header=BB456_991 Depth=1
	s_delay_alu instid0(VALU_DEP_3) | instskip(NEXT) | instid1(VALU_DEP_1)
	v_clz_i32_u32_e32 v2, v9
	v_min_u32_e32 v2, 32, v2
	s_delay_alu instid0(VALU_DEP_1) | instskip(SKIP_1) | instid1(VALU_DEP_2)
	v_subrev_nc_u32_e32 v3, 28, v2
	v_sub_nc_u32_e32 v2, 29, v2
	v_lshlrev_b64 v[56:57], v3, v[9:10]
	s_delay_alu instid0(VALU_DEP_1)
	v_and_b32_e32 v9, 7, v56
; %bb.2210:                             ;   in Loop: Header=BB456_991 Depth=1
	s_or_b32 exec_lo, exec_lo, s15
	v_lshlrev_b32_e32 v3, 16, v0
	s_delay_alu instid0(VALU_DEP_2) | instskip(SKIP_1) | instid1(VALU_DEP_3)
	v_lshlrev_b32_e32 v9, 20, v9
	v_lshl_add_u32 v2, v2, 23, 0x3c000000
	v_and_b32_e32 v3, 0x80000000, v3
	s_delay_alu instid0(VALU_DEP_1)
	v_or3_b32 v2, v9, v3, v2
.LBB456_2211:                           ;   in Loop: Header=BB456_991 Depth=1
	s_or_b32 exec_lo, exec_lo, s13
.LBB456_2212:                           ;   in Loop: Header=BB456_991 Depth=1
	s_delay_alu instid0(SALU_CYCLE_1)
	s_or_b32 exec_lo, exec_lo, s12
.LBB456_2213:                           ;   in Loop: Header=BB456_991 Depth=1
	s_delay_alu instid0(SALU_CYCLE_1) | instskip(NEXT) | instid1(VALU_DEP_1)
	s_or_b32 exec_lo, exec_lo, s9
	v_mul_f32_e32 v2, v26, v2
                                        ; implicit-def: $vgpr56
	s_delay_alu instid0(VALU_DEP_1) | instskip(NEXT) | instid1(VALU_DEP_1)
	v_and_b32_e32 v3, 0x7f800000, v2
	v_cmp_ne_u32_e64 s0, 0x7f800000, v3
	s_delay_alu instid0(VALU_DEP_1) | instskip(NEXT) | instid1(SALU_CYCLE_1)
	s_and_saveexec_b32 s9, s0
	s_xor_b32 s0, exec_lo, s9
; %bb.2214:                             ;   in Loop: Header=BB456_991 Depth=1
	v_bfe_u32 v3, v2, 16, 1
	s_delay_alu instid0(VALU_DEP_1)
	v_add3_u32 v56, v2, v3, 0x7fff
                                        ; implicit-def: $vgpr2
; %bb.2215:                             ;   in Loop: Header=BB456_991 Depth=1
	s_and_not1_saveexec_b32 s9, s0
; %bb.2216:                             ;   in Loop: Header=BB456_991 Depth=1
	v_and_b32_e32 v3, 0xffff, v2
	v_or_b32_e32 v9, 0x10000, v2
	s_delay_alu instid0(VALU_DEP_2) | instskip(NEXT) | instid1(VALU_DEP_1)
	v_cmp_eq_u32_e64 s0, 0, v3
	v_cndmask_b32_e64 v56, v9, v2, s0
; %bb.2217:                             ;   in Loop: Header=BB456_991 Depth=1
	s_or_b32 exec_lo, exec_lo, s9
	v_lshrrev_b32_e32 v2, 16, v0
	v_mov_b32_e32 v3, 0
	s_mov_b32 s9, exec_lo
	s_delay_alu instid0(VALU_DEP_2) | instskip(NEXT) | instid1(VALU_DEP_1)
	v_and_b32_e32 v9, 0xff, v2
	v_cmpx_ne_u16_e32 0, v9
	s_cbranch_execz .LBB456_2225
; %bb.2218:                             ;   in Loop: Header=BB456_991 Depth=1
	v_bfrev_b32_e32 v3, 1
	s_mov_b32 s12, exec_lo
	v_cmpx_ne_u16_e32 0x80, v9
	s_cbranch_execz .LBB456_2224
; %bb.2219:                             ;   in Loop: Header=BB456_991 Depth=1
	v_bfe_u32 v57, v0, 16, 7
	v_mov_b32_e32 v3, 0x7f800001
	s_mov_b32 s13, exec_lo
	s_delay_alu instid0(VALU_DEP_2)
	v_cmpx_ne_u32_e32 0x7f, v57
	s_cbranch_execz .LBB456_2223
; %bb.2220:                             ;   in Loop: Header=BB456_991 Depth=1
	v_and_b32_e32 v9, 7, v2
	v_lshrrev_b32_e32 v3, 3, v57
	s_mov_b32 s15, exec_lo
	v_cmpx_gt_u32_e32 8, v57
; %bb.2221:                             ;   in Loop: Header=BB456_991 Depth=1
	s_delay_alu instid0(VALU_DEP_3) | instskip(NEXT) | instid1(VALU_DEP_1)
	v_clz_i32_u32_e32 v3, v9
	v_min_u32_e32 v3, 32, v3
	s_delay_alu instid0(VALU_DEP_1) | instskip(SKIP_1) | instid1(VALU_DEP_2)
	v_subrev_nc_u32_e32 v57, 28, v3
	v_sub_nc_u32_e32 v3, 29, v3
	v_lshlrev_b64 v[57:58], v57, v[9:10]
	s_delay_alu instid0(VALU_DEP_1)
	v_and_b32_e32 v9, 7, v57
; %bb.2222:                             ;   in Loop: Header=BB456_991 Depth=1
	s_or_b32 exec_lo, exec_lo, s15
	v_lshlrev_b32_e32 v2, 24, v2
	s_delay_alu instid0(VALU_DEP_2) | instskip(SKIP_1) | instid1(VALU_DEP_3)
	v_lshlrev_b32_e32 v9, 20, v9
	v_lshl_add_u32 v3, v3, 23, 0x3c000000
	v_and_b32_e32 v2, 0x80000000, v2
	s_delay_alu instid0(VALU_DEP_1)
	v_or3_b32 v3, v9, v2, v3
.LBB456_2223:                           ;   in Loop: Header=BB456_991 Depth=1
	s_or_b32 exec_lo, exec_lo, s13
.LBB456_2224:                           ;   in Loop: Header=BB456_991 Depth=1
	s_delay_alu instid0(SALU_CYCLE_1)
	s_or_b32 exec_lo, exec_lo, s12
.LBB456_2225:                           ;   in Loop: Header=BB456_991 Depth=1
	s_delay_alu instid0(SALU_CYCLE_1) | instskip(NEXT) | instid1(VALU_DEP_1)
	s_or_b32 exec_lo, exec_lo, s9
	v_mul_f32_e32 v2, v26, v3
                                        ; implicit-def: $vgpr57
	s_delay_alu instid0(VALU_DEP_1) | instskip(NEXT) | instid1(VALU_DEP_1)
	v_and_b32_e32 v3, 0x7f800000, v2
	v_cmp_ne_u32_e64 s0, 0x7f800000, v3
	s_delay_alu instid0(VALU_DEP_1) | instskip(NEXT) | instid1(SALU_CYCLE_1)
	s_and_saveexec_b32 s9, s0
	s_xor_b32 s0, exec_lo, s9
; %bb.2226:                             ;   in Loop: Header=BB456_991 Depth=1
	v_bfe_u32 v3, v2, 16, 1
	s_delay_alu instid0(VALU_DEP_1)
	v_add3_u32 v57, v2, v3, 0x7fff
                                        ; implicit-def: $vgpr2
; %bb.2227:                             ;   in Loop: Header=BB456_991 Depth=1
	s_and_not1_saveexec_b32 s9, s0
; %bb.2228:                             ;   in Loop: Header=BB456_991 Depth=1
	v_and_b32_e32 v3, 0xffff, v2
	v_or_b32_e32 v9, 0x10000, v2
	s_delay_alu instid0(VALU_DEP_2) | instskip(NEXT) | instid1(VALU_DEP_1)
	v_cmp_eq_u32_e64 s0, 0, v3
	v_cndmask_b32_e64 v57, v9, v2, s0
; %bb.2229:                             ;   in Loop: Header=BB456_991 Depth=1
	s_or_b32 exec_lo, exec_lo, s9
	v_mov_b32_e32 v3, 0
	s_mov_b32 s9, exec_lo
	v_cmpx_lt_u32_e32 0xffffff, v0
	s_cbranch_execz .LBB456_2237
; %bb.2230:                             ;   in Loop: Header=BB456_991 Depth=1
	v_lshrrev_b32_e32 v2, 24, v0
	v_bfrev_b32_e32 v3, 1
	s_mov_b32 s12, exec_lo
	s_delay_alu instid0(VALU_DEP_2)
	v_cmpx_ne_u32_e32 0x80, v2
	s_cbranch_execz .LBB456_2236
; %bb.2231:                             ;   in Loop: Header=BB456_991 Depth=1
	v_bfe_u32 v58, v0, 24, 7
	v_mov_b32_e32 v3, 0x7f800001
	s_mov_b32 s13, exec_lo
	s_delay_alu instid0(VALU_DEP_2)
	v_cmpx_ne_u32_e32 0x7f, v58
	s_cbranch_execz .LBB456_2235
; %bb.2232:                             ;   in Loop: Header=BB456_991 Depth=1
	v_and_b32_e32 v9, 7, v2
	v_lshrrev_b32_e32 v3, 3, v58
	s_mov_b32 s15, exec_lo
	v_cmpx_gt_u32_e32 8, v58
; %bb.2233:                             ;   in Loop: Header=BB456_991 Depth=1
	s_delay_alu instid0(VALU_DEP_3) | instskip(NEXT) | instid1(VALU_DEP_1)
	v_clz_i32_u32_e32 v3, v9
	v_min_u32_e32 v3, 32, v3
	s_delay_alu instid0(VALU_DEP_1) | instskip(SKIP_1) | instid1(VALU_DEP_2)
	v_subrev_nc_u32_e32 v58, 28, v3
	v_sub_nc_u32_e32 v3, 29, v3
	v_lshlrev_b64 v[58:59], v58, v[9:10]
	s_delay_alu instid0(VALU_DEP_1)
	v_and_b32_e32 v9, 7, v58
; %bb.2234:                             ;   in Loop: Header=BB456_991 Depth=1
	s_or_b32 exec_lo, exec_lo, s15
	v_lshlrev_b32_e32 v2, 24, v2
	s_delay_alu instid0(VALU_DEP_2) | instskip(SKIP_1) | instid1(VALU_DEP_3)
	v_lshlrev_b32_e32 v9, 20, v9
	v_lshl_add_u32 v3, v3, 23, 0x3c000000
	v_and_b32_e32 v2, 0x80000000, v2
	s_delay_alu instid0(VALU_DEP_1)
	v_or3_b32 v3, v9, v2, v3
.LBB456_2235:                           ;   in Loop: Header=BB456_991 Depth=1
	s_or_b32 exec_lo, exec_lo, s13
.LBB456_2236:                           ;   in Loop: Header=BB456_991 Depth=1
	s_delay_alu instid0(SALU_CYCLE_1)
	s_or_b32 exec_lo, exec_lo, s12
.LBB456_2237:                           ;   in Loop: Header=BB456_991 Depth=1
	s_delay_alu instid0(SALU_CYCLE_1) | instskip(NEXT) | instid1(VALU_DEP_1)
	s_or_b32 exec_lo, exec_lo, s9
	v_mul_f32_e32 v2, v26, v3
                                        ; implicit-def: $vgpr58
	s_delay_alu instid0(VALU_DEP_1) | instskip(NEXT) | instid1(VALU_DEP_1)
	v_and_b32_e32 v3, 0x7f800000, v2
	v_cmp_ne_u32_e64 s0, 0x7f800000, v3
	s_delay_alu instid0(VALU_DEP_1) | instskip(NEXT) | instid1(SALU_CYCLE_1)
	s_and_saveexec_b32 s9, s0
	s_xor_b32 s0, exec_lo, s9
; %bb.2238:                             ;   in Loop: Header=BB456_991 Depth=1
	v_bfe_u32 v3, v2, 16, 1
	s_delay_alu instid0(VALU_DEP_1)
	v_add3_u32 v58, v2, v3, 0x7fff
                                        ; implicit-def: $vgpr2
; %bb.2239:                             ;   in Loop: Header=BB456_991 Depth=1
	s_and_not1_saveexec_b32 s9, s0
; %bb.2240:                             ;   in Loop: Header=BB456_991 Depth=1
	v_and_b32_e32 v3, 0xffff, v2
	v_or_b32_e32 v9, 0x10000, v2
	s_delay_alu instid0(VALU_DEP_2) | instskip(NEXT) | instid1(VALU_DEP_1)
	v_cmp_eq_u32_e64 s0, 0, v3
	v_cndmask_b32_e64 v58, v9, v2, s0
; %bb.2241:                             ;   in Loop: Header=BB456_991 Depth=1
	s_or_b32 exec_lo, exec_lo, s9
	v_dual_mov_b32 v2, 0 :: v_dual_and_b32 v3, 0xff, v1
	v_mov_b32_e32 v9, v1
	s_mov_b32 s9, exec_lo
	s_delay_alu instid0(VALU_DEP_2)
	v_cmpx_ne_u16_e32 0, v3
	s_cbranch_execz .LBB456_2249
; %bb.2242:                             ;   in Loop: Header=BB456_991 Depth=1
	v_bfrev_b32_e32 v2, 1
	s_mov_b32 s12, exec_lo
	v_cmpx_ne_u16_e32 0x80, v3
	s_cbranch_execz .LBB456_2248
; %bb.2243:                             ;   in Loop: Header=BB456_991 Depth=1
	v_and_b32_e32 v3, 0x7f, v1
	v_mov_b32_e32 v2, 0x7f800001
	s_mov_b32 s13, exec_lo
	s_delay_alu instid0(VALU_DEP_2)
	v_cmpx_ne_u32_e32 0x7f, v3
	s_cbranch_execz .LBB456_2247
; %bb.2244:                             ;   in Loop: Header=BB456_991 Depth=1
	v_lshrrev_b32_e32 v59, 3, v3
	v_cmp_gt_u32_e64 s0, 8, v3
	v_dual_mov_b32 v2, v9 :: v_dual_mov_b32 v3, v10
	s_delay_alu instid0(VALU_DEP_2)
	s_and_saveexec_b32 s15, s0
; %bb.2245:                             ;   in Loop: Header=BB456_991 Depth=1
	v_and_b32_e32 v2, 7, v1
	s_delay_alu instid0(VALU_DEP_1) | instskip(NEXT) | instid1(VALU_DEP_1)
	v_clz_i32_u32_e32 v2, v2
	v_min_u32_e32 v59, 32, v2
	s_delay_alu instid0(VALU_DEP_1) | instskip(SKIP_1) | instid1(VALU_DEP_2)
	v_subrev_nc_u32_e32 v2, 28, v59
	v_sub_nc_u32_e32 v59, 29, v59
	v_lshlrev_b64 v[2:3], v2, v[9:10]
; %bb.2246:                             ;   in Loop: Header=BB456_991 Depth=1
	s_or_b32 exec_lo, exec_lo, s15
	s_delay_alu instid0(VALU_DEP_1) | instskip(SKIP_2) | instid1(VALU_DEP_3)
	v_lshlrev_b32_e32 v2, 20, v2
	v_lshlrev_b32_e32 v3, 24, v9
	v_lshl_add_u32 v59, v59, 23, 0x3c000000
	v_and_b32_e32 v2, 0x700000, v2
	s_delay_alu instid0(VALU_DEP_3) | instskip(NEXT) | instid1(VALU_DEP_1)
	v_and_b32_e32 v3, 0x80000000, v3
	v_or3_b32 v2, v2, v3, v59
.LBB456_2247:                           ;   in Loop: Header=BB456_991 Depth=1
	s_or_b32 exec_lo, exec_lo, s13
.LBB456_2248:                           ;   in Loop: Header=BB456_991 Depth=1
	s_delay_alu instid0(SALU_CYCLE_1)
	s_or_b32 exec_lo, exec_lo, s12
.LBB456_2249:                           ;   in Loop: Header=BB456_991 Depth=1
	s_delay_alu instid0(SALU_CYCLE_1) | instskip(NEXT) | instid1(VALU_DEP_1)
	s_or_b32 exec_lo, exec_lo, s9
	v_mul_f32_e32 v2, v26, v2
                                        ; implicit-def: $vgpr59
	s_delay_alu instid0(VALU_DEP_1) | instskip(NEXT) | instid1(VALU_DEP_1)
	v_and_b32_e32 v3, 0x7f800000, v2
	v_cmp_ne_u32_e64 s0, 0x7f800000, v3
	s_delay_alu instid0(VALU_DEP_1) | instskip(NEXT) | instid1(SALU_CYCLE_1)
	s_and_saveexec_b32 s9, s0
	s_xor_b32 s0, exec_lo, s9
; %bb.2250:                             ;   in Loop: Header=BB456_991 Depth=1
	v_bfe_u32 v3, v2, 16, 1
	s_delay_alu instid0(VALU_DEP_1)
	v_add3_u32 v59, v2, v3, 0x7fff
                                        ; implicit-def: $vgpr2
; %bb.2251:                             ;   in Loop: Header=BB456_991 Depth=1
	s_and_not1_saveexec_b32 s9, s0
; %bb.2252:                             ;   in Loop: Header=BB456_991 Depth=1
	v_and_b32_e32 v3, 0xffff, v2
	v_or_b32_e32 v59, 0x10000, v2
	s_delay_alu instid0(VALU_DEP_2) | instskip(NEXT) | instid1(VALU_DEP_1)
	v_cmp_eq_u32_e64 s0, 0, v3
	v_cndmask_b32_e64 v59, v59, v2, s0
; %bb.2253:                             ;   in Loop: Header=BB456_991 Depth=1
	s_or_b32 exec_lo, exec_lo, s9
	v_lshrrev_b16 v3, 8, v9
	v_mov_b32_e32 v2, 0
	s_mov_b32 s9, exec_lo
	s_delay_alu instid0(VALU_DEP_2)
	v_cmpx_ne_u16_e32 0, v3
	s_cbranch_execz .LBB456_2261
; %bb.2254:                             ;   in Loop: Header=BB456_991 Depth=1
	v_bfrev_b32_e32 v2, 1
	s_mov_b32 s12, exec_lo
	v_cmpx_ne_u16_e32 0x80, v3
	s_cbranch_execz .LBB456_2260
; %bb.2255:                             ;   in Loop: Header=BB456_991 Depth=1
	v_and_b32_e32 v3, 0xffff, v3
	v_mov_b32_e32 v2, 0x7f800001
	s_mov_b32 s13, exec_lo
	s_delay_alu instid0(VALU_DEP_2) | instskip(NEXT) | instid1(VALU_DEP_1)
	v_and_b32_e32 v61, 0x7f, v3
	v_cmpx_ne_u32_e32 0x7f, v61
	s_cbranch_execz .LBB456_2259
; %bb.2256:                             ;   in Loop: Header=BB456_991 Depth=1
	v_dual_mov_b32 v3, v10 :: v_dual_and_b32 v2, 7, v3
	v_lshrrev_b32_e32 v60, 3, v61
	s_mov_b32 s15, exec_lo
	v_cmpx_gt_u32_e32 8, v61
; %bb.2257:                             ;   in Loop: Header=BB456_991 Depth=1
	s_delay_alu instid0(VALU_DEP_3) | instskip(NEXT) | instid1(VALU_DEP_1)
	v_clz_i32_u32_e32 v60, v2
	v_min_u32_e32 v60, 32, v60
	s_delay_alu instid0(VALU_DEP_1) | instskip(SKIP_1) | instid1(VALU_DEP_2)
	v_subrev_nc_u32_e32 v61, 28, v60
	v_sub_nc_u32_e32 v60, 29, v60
	v_lshlrev_b64 v[2:3], v61, v[2:3]
	s_delay_alu instid0(VALU_DEP_1)
	v_and_b32_e32 v2, 7, v2
; %bb.2258:                             ;   in Loop: Header=BB456_991 Depth=1
	s_or_b32 exec_lo, exec_lo, s15
	v_lshlrev_b32_e32 v3, 16, v9
	s_delay_alu instid0(VALU_DEP_2) | instskip(SKIP_1) | instid1(VALU_DEP_3)
	v_lshlrev_b32_e32 v2, 20, v2
	v_lshl_add_u32 v9, v60, 23, 0x3c000000
	v_and_b32_e32 v3, 0x80000000, v3
	s_delay_alu instid0(VALU_DEP_1)
	v_or3_b32 v2, v2, v3, v9
.LBB456_2259:                           ;   in Loop: Header=BB456_991 Depth=1
	s_or_b32 exec_lo, exec_lo, s13
.LBB456_2260:                           ;   in Loop: Header=BB456_991 Depth=1
	s_delay_alu instid0(SALU_CYCLE_1)
	s_or_b32 exec_lo, exec_lo, s12
.LBB456_2261:                           ;   in Loop: Header=BB456_991 Depth=1
	s_delay_alu instid0(SALU_CYCLE_1) | instskip(NEXT) | instid1(VALU_DEP_1)
	s_or_b32 exec_lo, exec_lo, s9
	v_mul_f32_e32 v3, v26, v2
	s_delay_alu instid0(VALU_DEP_1) | instskip(NEXT) | instid1(VALU_DEP_1)
	v_and_b32_e32 v2, 0x7f800000, v3
	v_cmp_ne_u32_e64 s0, 0x7f800000, v2
                                        ; implicit-def: $vgpr2
	s_delay_alu instid0(VALU_DEP_1) | instskip(NEXT) | instid1(SALU_CYCLE_1)
	s_and_saveexec_b32 s9, s0
	s_xor_b32 s0, exec_lo, s9
; %bb.2262:                             ;   in Loop: Header=BB456_991 Depth=1
	v_bfe_u32 v2, v3, 16, 1
	s_delay_alu instid0(VALU_DEP_1)
	v_add3_u32 v2, v3, v2, 0x7fff
                                        ; implicit-def: $vgpr3
; %bb.2263:                             ;   in Loop: Header=BB456_991 Depth=1
	s_and_not1_saveexec_b32 s9, s0
; %bb.2264:                             ;   in Loop: Header=BB456_991 Depth=1
	v_and_b32_e32 v2, 0xffff, v3
	v_or_b32_e32 v9, 0x10000, v3
	s_delay_alu instid0(VALU_DEP_2) | instskip(NEXT) | instid1(VALU_DEP_1)
	v_cmp_eq_u32_e64 s0, 0, v2
	v_cndmask_b32_e64 v2, v9, v3, s0
; %bb.2265:                             ;   in Loop: Header=BB456_991 Depth=1
	s_or_b32 exec_lo, exec_lo, s9
	v_lshrrev_b32_e32 v3, 16, v1
	s_mov_b32 s9, exec_lo
	s_delay_alu instid0(VALU_DEP_1) | instskip(NEXT) | instid1(VALU_DEP_1)
	v_dual_mov_b32 v9, 0 :: v_dual_and_b32 v60, 0xff, v3
	v_cmpx_ne_u16_e32 0, v60
	s_cbranch_execz .LBB456_2273
; %bb.2266:                             ;   in Loop: Header=BB456_991 Depth=1
	v_bfrev_b32_e32 v9, 1
	s_mov_b32 s12, exec_lo
	v_cmpx_ne_u16_e32 0x80, v60
	s_cbranch_execz .LBB456_2272
; %bb.2267:                             ;   in Loop: Header=BB456_991 Depth=1
	v_bfe_u32 v61, v1, 16, 7
	v_mov_b32_e32 v9, 0x7f800001
	s_mov_b32 s13, exec_lo
	s_delay_alu instid0(VALU_DEP_2)
	v_cmpx_ne_u32_e32 0x7f, v61
	s_cbranch_execz .LBB456_2271
; %bb.2268:                             ;   in Loop: Header=BB456_991 Depth=1
	v_and_b32_e32 v9, 7, v3
	v_lshrrev_b32_e32 v60, 3, v61
	s_mov_b32 s15, exec_lo
	v_cmpx_gt_u32_e32 8, v61
; %bb.2269:                             ;   in Loop: Header=BB456_991 Depth=1
	s_delay_alu instid0(VALU_DEP_3) | instskip(NEXT) | instid1(VALU_DEP_1)
	v_clz_i32_u32_e32 v60, v9
	v_min_u32_e32 v60, 32, v60
	s_delay_alu instid0(VALU_DEP_1) | instskip(SKIP_1) | instid1(VALU_DEP_2)
	v_subrev_nc_u32_e32 v61, 28, v60
	v_sub_nc_u32_e32 v60, 29, v60
	v_lshlrev_b64 v[61:62], v61, v[9:10]
	s_delay_alu instid0(VALU_DEP_1)
	v_and_b32_e32 v9, 7, v61
; %bb.2270:                             ;   in Loop: Header=BB456_991 Depth=1
	s_or_b32 exec_lo, exec_lo, s15
	v_lshlrev_b32_e32 v3, 24, v3
	s_delay_alu instid0(VALU_DEP_2) | instskip(SKIP_1) | instid1(VALU_DEP_3)
	v_lshlrev_b32_e32 v9, 20, v9
	v_lshl_add_u32 v60, v60, 23, 0x3c000000
	v_and_b32_e32 v3, 0x80000000, v3
	s_delay_alu instid0(VALU_DEP_1)
	v_or3_b32 v9, v9, v3, v60
.LBB456_2271:                           ;   in Loop: Header=BB456_991 Depth=1
	s_or_b32 exec_lo, exec_lo, s13
.LBB456_2272:                           ;   in Loop: Header=BB456_991 Depth=1
	s_delay_alu instid0(SALU_CYCLE_1)
	s_or_b32 exec_lo, exec_lo, s12
.LBB456_2273:                           ;   in Loop: Header=BB456_991 Depth=1
	s_delay_alu instid0(SALU_CYCLE_1) | instskip(NEXT) | instid1(VALU_DEP_1)
	s_or_b32 exec_lo, exec_lo, s9
	v_mul_f32_e32 v3, v26, v9
                                        ; implicit-def: $vgpr61
	s_delay_alu instid0(VALU_DEP_1) | instskip(NEXT) | instid1(VALU_DEP_1)
	v_and_b32_e32 v9, 0x7f800000, v3
	v_cmp_ne_u32_e64 s0, 0x7f800000, v9
	s_delay_alu instid0(VALU_DEP_1) | instskip(NEXT) | instid1(SALU_CYCLE_1)
	s_and_saveexec_b32 s9, s0
	s_xor_b32 s0, exec_lo, s9
; %bb.2274:                             ;   in Loop: Header=BB456_991 Depth=1
	v_bfe_u32 v9, v3, 16, 1
	s_delay_alu instid0(VALU_DEP_1)
	v_add3_u32 v61, v3, v9, 0x7fff
                                        ; implicit-def: $vgpr3
; %bb.2275:                             ;   in Loop: Header=BB456_991 Depth=1
	s_and_not1_saveexec_b32 s9, s0
; %bb.2276:                             ;   in Loop: Header=BB456_991 Depth=1
	v_and_b32_e32 v9, 0xffff, v3
	v_or_b32_e32 v60, 0x10000, v3
	s_delay_alu instid0(VALU_DEP_2) | instskip(NEXT) | instid1(VALU_DEP_1)
	v_cmp_eq_u32_e64 s0, 0, v9
	v_cndmask_b32_e64 v61, v60, v3, s0
; %bb.2277:                             ;   in Loop: Header=BB456_991 Depth=1
	s_or_b32 exec_lo, exec_lo, s9
	v_mov_b32_e32 v3, 0
	s_mov_b32 s9, exec_lo
	v_cmpx_lt_u64_e64 s[2:3], v[0:1]
	s_cbranch_execz .LBB456_2285
; %bb.2278:                             ;   in Loop: Header=BB456_991 Depth=1
	v_lshrrev_b32_e32 v0, 24, v1
	v_bfrev_b32_e32 v3, 1
	s_mov_b32 s12, exec_lo
	s_delay_alu instid0(VALU_DEP_2)
	v_cmpx_ne_u32_e32 0x80, v0
	s_cbranch_execz .LBB456_2284
; %bb.2279:                             ;   in Loop: Header=BB456_991 Depth=1
	v_bfe_u32 v60, v1, 24, 7
	v_mov_b32_e32 v3, 0x7f800001
	s_mov_b32 s13, exec_lo
	s_delay_alu instid0(VALU_DEP_2)
	v_cmpx_ne_u32_e32 0x7f, v60
	s_cbranch_execz .LBB456_2283
; %bb.2280:                             ;   in Loop: Header=BB456_991 Depth=1
	v_and_b32_e32 v9, 7, v0
	v_lshrrev_b32_e32 v1, 3, v60
	s_mov_b32 s15, exec_lo
	v_cmpx_gt_u32_e32 8, v60
; %bb.2281:                             ;   in Loop: Header=BB456_991 Depth=1
	s_delay_alu instid0(VALU_DEP_3) | instskip(NEXT) | instid1(VALU_DEP_1)
	v_clz_i32_u32_e32 v1, v9
	v_min_u32_e32 v1, 32, v1
	s_delay_alu instid0(VALU_DEP_1) | instskip(SKIP_1) | instid1(VALU_DEP_2)
	v_subrev_nc_u32_e32 v3, 28, v1
	v_sub_nc_u32_e32 v1, 29, v1
	v_lshlrev_b64 v[62:63], v3, v[9:10]
	s_delay_alu instid0(VALU_DEP_1)
	v_and_b32_e32 v9, 7, v62
; %bb.2282:                             ;   in Loop: Header=BB456_991 Depth=1
	s_or_b32 exec_lo, exec_lo, s15
	v_lshlrev_b32_e32 v0, 24, v0
	s_delay_alu instid0(VALU_DEP_2) | instskip(SKIP_1) | instid1(VALU_DEP_3)
	v_lshlrev_b32_e32 v3, 20, v9
	v_lshl_add_u32 v1, v1, 23, 0x3c000000
	v_and_b32_e32 v0, 0x80000000, v0
	s_delay_alu instid0(VALU_DEP_1)
	v_or3_b32 v3, v3, v0, v1
.LBB456_2283:                           ;   in Loop: Header=BB456_991 Depth=1
	s_or_b32 exec_lo, exec_lo, s13
.LBB456_2284:                           ;   in Loop: Header=BB456_991 Depth=1
	s_delay_alu instid0(SALU_CYCLE_1)
	s_or_b32 exec_lo, exec_lo, s12
.LBB456_2285:                           ;   in Loop: Header=BB456_991 Depth=1
	s_delay_alu instid0(SALU_CYCLE_1) | instskip(NEXT) | instid1(VALU_DEP_1)
	s_or_b32 exec_lo, exec_lo, s9
	v_mul_f32_e32 v0, v26, v3
                                        ; implicit-def: $vgpr62
	s_delay_alu instid0(VALU_DEP_1) | instskip(NEXT) | instid1(VALU_DEP_1)
	v_and_b32_e32 v1, 0x7f800000, v0
	v_cmp_ne_u32_e64 s0, 0x7f800000, v1
	s_delay_alu instid0(VALU_DEP_1) | instskip(NEXT) | instid1(SALU_CYCLE_1)
	s_and_saveexec_b32 s9, s0
	s_xor_b32 s0, exec_lo, s9
; %bb.2286:                             ;   in Loop: Header=BB456_991 Depth=1
	v_bfe_u32 v1, v0, 16, 1
	s_delay_alu instid0(VALU_DEP_1)
	v_add3_u32 v62, v0, v1, 0x7fff
                                        ; implicit-def: $vgpr0
; %bb.2287:                             ;   in Loop: Header=BB456_991 Depth=1
	s_and_not1_saveexec_b32 s9, s0
; %bb.2288:                             ;   in Loop: Header=BB456_991 Depth=1
	v_and_b32_e32 v1, 0xffff, v0
	v_or_b32_e32 v3, 0x10000, v0
	s_delay_alu instid0(VALU_DEP_2) | instskip(NEXT) | instid1(VALU_DEP_1)
	v_cmp_eq_u32_e64 s0, 0, v1
	v_cndmask_b32_e64 v62, v3, v0, s0
; %bb.2289:                             ;   in Loop: Header=BB456_991 Depth=1
	s_or_b32 exec_lo, exec_lo, s9
	v_lshrrev_b32_e32 v60, 16, v2
	v_lshrrev_b32_e32 v9, 16, v59
	v_lshrrev_b32_e32 v3, 16, v58
	v_lshrrev_b32_e32 v2, 16, v57
	v_lshrrev_b32_e32 v1, 16, v56
	v_lshrrev_b32_e32 v0, 16, v47
	v_lshrrev_b32_e32 v56, 16, v61
	v_lshrrev_b32_e32 v47, 16, v62
	s_and_saveexec_b32 s0, vcc_lo
	s_cbranch_execz .LBB456_2291
; %bb.2290:                             ;   in Loop: Header=BB456_991 Depth=1
	v_cmp_lt_i32_e32 vcc_lo, v54, v35
	v_cndmask_b32_e32 v0, 0, v0, vcc_lo
	v_cmp_lt_i32_e32 vcc_lo, v68, v35
	v_cndmask_b32_e32 v1, 0, v1, vcc_lo
	;; [unrolled: 2-line block ×8, first 2 shown]
.LBB456_2291:                           ;   in Loop: Header=BB456_991 Depth=1
	s_or_b32 exec_lo, exec_lo, s0
	v_lshlrev_b32_e32 v0, 16, v0
	s_delay_alu instid0(VALU_DEP_1) | instskip(NEXT) | instid1(VALU_DEP_1)
	v_mul_f32_e32 v54, v69, v0
	v_and_b32_e32 v0, 0x7f800000, v54
	s_delay_alu instid0(VALU_DEP_1) | instskip(SKIP_1) | instid1(SALU_CYCLE_1)
	v_cmp_ne_u32_e32 vcc_lo, 0x7f800000, v0
                                        ; implicit-def: $vgpr0
	s_and_saveexec_b32 s0, vcc_lo
	s_xor_b32 s0, exec_lo, s0
; %bb.2292:                             ;   in Loop: Header=BB456_991 Depth=1
	v_bfe_u32 v0, v54, 16, 1
	s_delay_alu instid0(VALU_DEP_1)
	v_add3_u32 v0, v54, v0, 0x7fff
                                        ; implicit-def: $vgpr54
; %bb.2293:                             ;   in Loop: Header=BB456_991 Depth=1
	s_and_not1_saveexec_b32 s0, s0
; %bb.2294:                             ;   in Loop: Header=BB456_991 Depth=1
	v_and_b32_e32 v0, 0xffff, v54
	v_or_b32_e32 v55, 0x10000, v54
	s_delay_alu instid0(VALU_DEP_2) | instskip(NEXT) | instid1(VALU_DEP_2)
	v_cmp_eq_u32_e32 vcc_lo, 0, v0
	v_cndmask_b32_e32 v0, v55, v54, vcc_lo
; %bb.2295:                             ;   in Loop: Header=BB456_991 Depth=1
	s_or_b32 exec_lo, exec_lo, s0
	v_lshlrev_b32_e32 v1, 16, v1
	s_delay_alu instid0(VALU_DEP_1) | instskip(NEXT) | instid1(VALU_DEP_1)
	v_mul_f32_e32 v54, v70, v1
	v_and_b32_e32 v1, 0x7f800000, v54
	s_delay_alu instid0(VALU_DEP_1) | instskip(SKIP_1) | instid1(SALU_CYCLE_1)
	v_cmp_ne_u32_e32 vcc_lo, 0x7f800000, v1
                                        ; implicit-def: $vgpr1
	s_and_saveexec_b32 s0, vcc_lo
	s_xor_b32 s0, exec_lo, s0
; %bb.2296:                             ;   in Loop: Header=BB456_991 Depth=1
	v_bfe_u32 v1, v54, 16, 1
	s_delay_alu instid0(VALU_DEP_1)
	v_add3_u32 v1, v54, v1, 0x7fff
                                        ; implicit-def: $vgpr54
; %bb.2297:                             ;   in Loop: Header=BB456_991 Depth=1
	s_and_not1_saveexec_b32 s0, s0
; %bb.2298:                             ;   in Loop: Header=BB456_991 Depth=1
	v_and_b32_e32 v1, 0xffff, v54
	v_or_b32_e32 v55, 0x10000, v54
	s_delay_alu instid0(VALU_DEP_2) | instskip(NEXT) | instid1(VALU_DEP_2)
	v_cmp_eq_u32_e32 vcc_lo, 0, v1
	v_cndmask_b32_e32 v1, v55, v54, vcc_lo
; %bb.2299:                             ;   in Loop: Header=BB456_991 Depth=1
	s_or_b32 exec_lo, exec_lo, s0
	v_lshlrev_b32_e32 v2, 16, v2
	s_delay_alu instid0(VALU_DEP_1) | instskip(NEXT) | instid1(VALU_DEP_1)
	v_mul_f32_e32 v54, v71, v2
	v_and_b32_e32 v2, 0x7f800000, v54
	s_delay_alu instid0(VALU_DEP_1) | instskip(SKIP_1) | instid1(SALU_CYCLE_1)
	v_cmp_ne_u32_e32 vcc_lo, 0x7f800000, v2
                                        ; implicit-def: $vgpr2
	s_and_saveexec_b32 s0, vcc_lo
	s_xor_b32 s0, exec_lo, s0
; %bb.2300:                             ;   in Loop: Header=BB456_991 Depth=1
	v_bfe_u32 v2, v54, 16, 1
	s_delay_alu instid0(VALU_DEP_1)
	v_add3_u32 v2, v54, v2, 0x7fff
                                        ; implicit-def: $vgpr54
; %bb.2301:                             ;   in Loop: Header=BB456_991 Depth=1
	s_and_not1_saveexec_b32 s0, s0
; %bb.2302:                             ;   in Loop: Header=BB456_991 Depth=1
	v_and_b32_e32 v2, 0xffff, v54
	v_or_b32_e32 v55, 0x10000, v54
	s_delay_alu instid0(VALU_DEP_2) | instskip(NEXT) | instid1(VALU_DEP_2)
	v_cmp_eq_u32_e32 vcc_lo, 0, v2
	v_cndmask_b32_e32 v2, v55, v54, vcc_lo
; %bb.2303:                             ;   in Loop: Header=BB456_991 Depth=1
	s_or_b32 exec_lo, exec_lo, s0
	v_lshlrev_b32_e32 v3, 16, v3
	s_delay_alu instid0(VALU_DEP_1) | instskip(NEXT) | instid1(VALU_DEP_1)
	v_mul_f32_e32 v54, v80, v3
	v_and_b32_e32 v3, 0x7f800000, v54
	s_delay_alu instid0(VALU_DEP_1) | instskip(SKIP_1) | instid1(SALU_CYCLE_1)
	v_cmp_ne_u32_e32 vcc_lo, 0x7f800000, v3
                                        ; implicit-def: $vgpr3
	s_and_saveexec_b32 s0, vcc_lo
	s_xor_b32 s0, exec_lo, s0
; %bb.2304:                             ;   in Loop: Header=BB456_991 Depth=1
	v_bfe_u32 v3, v54, 16, 1
	s_delay_alu instid0(VALU_DEP_1)
	v_add3_u32 v3, v54, v3, 0x7fff
                                        ; implicit-def: $vgpr54
; %bb.2305:                             ;   in Loop: Header=BB456_991 Depth=1
	s_and_not1_saveexec_b32 s0, s0
; %bb.2306:                             ;   in Loop: Header=BB456_991 Depth=1
	v_and_b32_e32 v3, 0xffff, v54
	v_or_b32_e32 v55, 0x10000, v54
	s_delay_alu instid0(VALU_DEP_2) | instskip(NEXT) | instid1(VALU_DEP_2)
	v_cmp_eq_u32_e32 vcc_lo, 0, v3
	v_cndmask_b32_e32 v3, v55, v54, vcc_lo
; %bb.2307:                             ;   in Loop: Header=BB456_991 Depth=1
	s_or_b32 exec_lo, exec_lo, s0
	v_lshlrev_b32_e32 v9, 16, v9
	s_delay_alu instid0(VALU_DEP_1) | instskip(NEXT) | instid1(VALU_DEP_1)
	v_mul_f32_e32 v54, v81, v9
	v_and_b32_e32 v9, 0x7f800000, v54
	s_delay_alu instid0(VALU_DEP_1) | instskip(SKIP_1) | instid1(SALU_CYCLE_1)
	v_cmp_ne_u32_e32 vcc_lo, 0x7f800000, v9
                                        ; implicit-def: $vgpr9
	s_and_saveexec_b32 s0, vcc_lo
	s_xor_b32 s0, exec_lo, s0
; %bb.2308:                             ;   in Loop: Header=BB456_991 Depth=1
	v_bfe_u32 v9, v54, 16, 1
	s_delay_alu instid0(VALU_DEP_1)
	v_add3_u32 v9, v54, v9, 0x7fff
                                        ; implicit-def: $vgpr54
; %bb.2309:                             ;   in Loop: Header=BB456_991 Depth=1
	s_and_not1_saveexec_b32 s0, s0
; %bb.2310:                             ;   in Loop: Header=BB456_991 Depth=1
	v_and_b32_e32 v9, 0xffff, v54
	v_or_b32_e32 v55, 0x10000, v54
	s_delay_alu instid0(VALU_DEP_2) | instskip(NEXT) | instid1(VALU_DEP_2)
	v_cmp_eq_u32_e32 vcc_lo, 0, v9
	v_cndmask_b32_e32 v9, v55, v54, vcc_lo
; %bb.2311:                             ;   in Loop: Header=BB456_991 Depth=1
	s_or_b32 exec_lo, exec_lo, s0
	v_lshlrev_b32_e32 v54, 16, v60
	s_delay_alu instid0(VALU_DEP_1) | instskip(NEXT) | instid1(VALU_DEP_1)
	v_mul_f32_e32 v55, v82, v54
	v_and_b32_e32 v54, 0x7f800000, v55
	s_delay_alu instid0(VALU_DEP_1) | instskip(SKIP_1) | instid1(SALU_CYCLE_1)
	v_cmp_ne_u32_e32 vcc_lo, 0x7f800000, v54
                                        ; implicit-def: $vgpr54
	s_and_saveexec_b32 s0, vcc_lo
	s_xor_b32 s0, exec_lo, s0
; %bb.2312:                             ;   in Loop: Header=BB456_991 Depth=1
	v_bfe_u32 v54, v55, 16, 1
	s_delay_alu instid0(VALU_DEP_1)
	v_add3_u32 v54, v55, v54, 0x7fff
                                        ; implicit-def: $vgpr55
; %bb.2313:                             ;   in Loop: Header=BB456_991 Depth=1
	s_and_not1_saveexec_b32 s0, s0
; %bb.2314:                             ;   in Loop: Header=BB456_991 Depth=1
	v_and_b32_e32 v54, 0xffff, v55
	v_or_b32_e32 v64, 0x10000, v55
	s_delay_alu instid0(VALU_DEP_2) | instskip(NEXT) | instid1(VALU_DEP_2)
	v_cmp_eq_u32_e32 vcc_lo, 0, v54
	v_cndmask_b32_e32 v54, v64, v55, vcc_lo
; %bb.2315:                             ;   in Loop: Header=BB456_991 Depth=1
	s_or_b32 exec_lo, exec_lo, s0
	v_lshlrev_b32_e32 v55, 16, v56
	s_delay_alu instid0(VALU_DEP_1) | instskip(NEXT) | instid1(VALU_DEP_1)
	v_mul_f32_e32 v64, v83, v55
	v_and_b32_e32 v55, 0x7f800000, v64
	s_delay_alu instid0(VALU_DEP_1) | instskip(SKIP_1) | instid1(SALU_CYCLE_1)
	v_cmp_ne_u32_e32 vcc_lo, 0x7f800000, v55
                                        ; implicit-def: $vgpr55
	s_and_saveexec_b32 s0, vcc_lo
	s_xor_b32 s0, exec_lo, s0
; %bb.2316:                             ;   in Loop: Header=BB456_991 Depth=1
	v_bfe_u32 v55, v64, 16, 1
	s_delay_alu instid0(VALU_DEP_1)
	v_add3_u32 v55, v64, v55, 0x7fff
                                        ; implicit-def: $vgpr64
; %bb.2317:                             ;   in Loop: Header=BB456_991 Depth=1
	s_and_not1_saveexec_b32 s0, s0
; %bb.2318:                             ;   in Loop: Header=BB456_991 Depth=1
	v_and_b32_e32 v55, 0xffff, v64
	v_or_b32_e32 v65, 0x10000, v64
	s_delay_alu instid0(VALU_DEP_2) | instskip(NEXT) | instid1(VALU_DEP_2)
	v_cmp_eq_u32_e32 vcc_lo, 0, v55
	v_cndmask_b32_e32 v55, v65, v64, vcc_lo
; %bb.2319:                             ;   in Loop: Header=BB456_991 Depth=1
	s_or_b32 exec_lo, exec_lo, s0
	v_lshlrev_b32_e32 v64, 16, v47
	s_delay_alu instid0(VALU_DEP_1) | instskip(NEXT) | instid1(VALU_DEP_1)
	v_mul_f32_e32 v65, v84, v64
	v_and_b32_e32 v64, 0x7f800000, v65
	s_delay_alu instid0(VALU_DEP_1) | instskip(SKIP_1) | instid1(SALU_CYCLE_1)
	v_cmp_ne_u32_e32 vcc_lo, 0x7f800000, v64
                                        ; implicit-def: $vgpr64
	s_and_saveexec_b32 s0, vcc_lo
	s_xor_b32 s0, exec_lo, s0
; %bb.2320:                             ;   in Loop: Header=BB456_991 Depth=1
	v_bfe_u32 v64, v65, 16, 1
	s_delay_alu instid0(VALU_DEP_1)
	v_add3_u32 v64, v65, v64, 0x7fff
                                        ; implicit-def: $vgpr65
; %bb.2321:                             ;   in Loop: Header=BB456_991 Depth=1
	s_and_not1_saveexec_b32 s0, s0
	s_cbranch_execz .LBB456_990
; %bb.2322:                             ;   in Loop: Header=BB456_991 Depth=1
	v_and_b32_e32 v64, 0xffff, v65
	v_or_b32_e32 v66, 0x10000, v65
	s_delay_alu instid0(VALU_DEP_2) | instskip(NEXT) | instid1(VALU_DEP_2)
	v_cmp_eq_u32_e32 vcc_lo, 0, v64
	v_cndmask_b32_e32 v64, v66, v65, vcc_lo
	s_branch .LBB456_990
.LBB456_2323:
	s_or_b32 exec_lo, exec_lo, s8
	v_dual_mov_b32 v0, s10 :: v_dual_mov_b32 v1, s11
.LBB456_2324:
	s_or_b32 exec_lo, exec_lo, s7
	s_delay_alu instid0(VALU_DEP_1)
	v_lshlrev_b64 v[0:1], 2, v[0:1]
	s_getpc_b64 s[2:3]
	s_add_u32 s2, s2, llvm.amdgcn.dynlds.offset.table@rel32@lo+4
	s_addc_u32 s3, s3, llvm.amdgcn.dynlds.offset.table@rel32@hi+12
	s_waitcnt lgkmcnt(0)
	s_waitcnt_vscnt null, 0x0
	s_barrier
	buffer_gl0_inv
	ds_bpermute_b32 v4, v19, v30
	v_add_co_u32 v0, vcc_lo, v0, s2
	v_add_co_ci_u32_e32 v1, vcc_lo, s3, v1, vcc_lo
	ds_bpermute_b32 v5, v19, v29
	ds_bpermute_b32 v7, v19, v25
	;; [unrolled: 1-line block ×3, first 2 shown]
	global_load_b32 v11, v[0:1], off
	ds_bpermute_b32 v1, v19, v38
	ds_bpermute_b32 v0, v19, v31
	;; [unrolled: 1-line block ×6, first 2 shown]
	s_waitcnt lgkmcnt(8)
	v_dual_add_f32 v4, v30, v4 :: v_dual_add_f32 v5, v29, v5
	ds_bpermute_b32 v17, v18, v4
	s_waitcnt lgkmcnt(7)
	v_add_f32_e32 v2, v33, v2
	s_waitcnt lgkmcnt(6)
	v_dual_add_f32 v13, v25, v7 :: v_dual_add_f32 v10, v38, v1
	s_waitcnt lgkmcnt(4)
	v_dual_add_f32 v0, v31, v0 :: v_dual_add_f32 v3, v32, v3
	s_waitcnt lgkmcnt(3)
	v_add_f32_e32 v12, v28, v6
	s_waitcnt lgkmcnt(2)
	v_add_f32_e32 v14, v24, v8
	ds_bpermute_b32 v7, v18, v10
	s_waitcnt lgkmcnt(2)
	v_add_f32_e32 v15, v21, v9
	v_and_b32_e32 v9, 0x3c3, v34
	ds_bpermute_b32 v6, v18, v0
	ds_bpermute_b32 v16, v18, v3
	;; [unrolled: 1-line block ×4, first 2 shown]
	v_and_b32_e32 v1, 31, v34
	ds_bpermute_b32 v22, v18, v13
	ds_bpermute_b32 v23, v18, v14
	v_cmp_eq_u32_e32 vcc_lo, 64, v9
	s_waitcnt lgkmcnt(6)
	v_dual_add_f32 v10, v10, v7 :: v_dual_add_f32 v7, v4, v17
	ds_bpermute_b32 v8, v18, v2
	ds_bpermute_b32 v18, v18, v15
	v_lshrrev_b32_e32 v1, 2, v1
	s_waitcnt lgkmcnt(7)
	v_add_f32_e32 v0, v0, v6
	s_waitcnt lgkmcnt(4)
	v_dual_add_f32 v6, v5, v19 :: v_dual_add_f32 v5, v12, v21
	v_lshrrev_b32_e32 v12, 5, v34
	s_waitcnt lgkmcnt(1)
	v_dual_add_f32 v4, v13, v22 :: v_dual_add_f32 v9, v2, v8
	v_dual_add_f32 v8, v3, v16 :: v_dual_add_f32 v3, v14, v23
	s_waitcnt lgkmcnt(0)
	v_add_f32_e32 v2, v15, v18
	s_waitcnt vmcnt(0)
	v_mad_u32_u24 v11, 0x140, v12, v11
	v_lshlrev_b32_e32 v12, 2, v1
	s_and_saveexec_b32 s0, vcc_lo
	s_cbranch_execz .LBB456_2326
; %bb.2325:
	s_delay_alu instid0(VALU_DEP_1)
	v_add3_u32 v13, v11, v12, 0xfffffd80
	ds_store_2addr_b32 v13, v0, v10 offset1:8
	ds_store_2addr_b32 v13, v9, v8 offset0:16 offset1:24
	ds_store_2addr_b32 v13, v7, v6 offset0:32 offset1:40
	ds_store_2addr_b32 v13, v5, v4 offset0:48 offset1:56
	ds_store_2addr_b32 v13, v3, v2 offset0:64 offset1:72
.LBB456_2326:
	s_or_b32 exec_lo, exec_lo, s0
	v_cmp_eq_u32_e32 vcc_lo, 0, v20
	s_mov_b32 s2, exec_lo
	s_waitcnt lgkmcnt(0)
	s_barrier
	buffer_gl0_inv
	v_cmpx_gt_u32_e32 64, v34
	s_cbranch_execz .LBB456_2339
; %bb.2327:
	s_and_saveexec_b32 s0, vcc_lo
	s_cbranch_execnz .LBB456_2398
; %bb.2328:
	s_or_b32 exec_lo, exec_lo, s0
	s_and_saveexec_b32 s0, vcc_lo
	s_cbranch_execnz .LBB456_2399
.LBB456_2329:
	s_or_b32 exec_lo, exec_lo, s0
	s_and_saveexec_b32 s0, vcc_lo
	s_cbranch_execnz .LBB456_2400
.LBB456_2330:
	s_or_b32 exec_lo, exec_lo, s0
	s_and_saveexec_b32 s0, vcc_lo
	s_cbranch_execnz .LBB456_2401
.LBB456_2331:
	s_or_b32 exec_lo, exec_lo, s0
	s_and_saveexec_b32 s0, vcc_lo
	s_cbranch_execnz .LBB456_2402
.LBB456_2332:
	s_or_b32 exec_lo, exec_lo, s0
	s_and_saveexec_b32 s0, vcc_lo
	s_cbranch_execnz .LBB456_2403
.LBB456_2333:
	s_or_b32 exec_lo, exec_lo, s0
	s_and_saveexec_b32 s0, vcc_lo
	s_cbranch_execnz .LBB456_2404
.LBB456_2334:
	s_or_b32 exec_lo, exec_lo, s0
	s_and_saveexec_b32 s0, vcc_lo
	s_cbranch_execnz .LBB456_2405
.LBB456_2335:
	s_or_b32 exec_lo, exec_lo, s0
	s_and_saveexec_b32 s0, vcc_lo
	s_cbranch_execnz .LBB456_2406
.LBB456_2336:
	s_or_b32 exec_lo, exec_lo, s0
	s_and_saveexec_b32 s0, vcc_lo
	s_cbranch_execz .LBB456_2338
.LBB456_2337:
	v_lshl_add_u32 v13, v1, 2, v11
	ds_load_b32 v13, v13 offset:288
	s_waitcnt lgkmcnt(0)
	v_add_f32_e32 v2, v13, v2
.LBB456_2338:
	s_or_b32 exec_lo, exec_lo, s0
.LBB456_2339:
	s_delay_alu instid0(SALU_CYCLE_1)
	s_or_b32 exec_lo, exec_lo, s2
	v_and_b32_e32 v13, 0x3e3, v34
	s_mov_b32 s2, exec_lo
	s_barrier
	buffer_gl0_inv
	v_cmpx_eq_u32_e32 32, v13
	s_cbranch_execz .LBB456_2341
; %bb.2340:
	v_add3_u32 v12, v11, v12, 0xfffffec0
	ds_store_2addr_b32 v12, v0, v10 offset1:8
	ds_store_2addr_b32 v12, v9, v8 offset0:16 offset1:24
	ds_store_2addr_b32 v12, v7, v6 offset0:32 offset1:40
	;; [unrolled: 1-line block ×4, first 2 shown]
.LBB456_2341:
	s_or_b32 exec_lo, exec_lo, s2
	v_cmp_gt_u32_e64 s0, 32, v34
	s_waitcnt lgkmcnt(0)
	s_barrier
	buffer_gl0_inv
	s_and_saveexec_b32 s2, s0
	s_cbranch_execz .LBB456_2354
; %bb.2342:
	v_lshl_add_u32 v1, v1, 2, v11
	s_and_saveexec_b32 s3, vcc_lo
	s_cbranch_execnz .LBB456_2407
; %bb.2343:
	s_or_b32 exec_lo, exec_lo, s3
	s_and_saveexec_b32 s3, vcc_lo
	s_cbranch_execnz .LBB456_2408
.LBB456_2344:
	s_or_b32 exec_lo, exec_lo, s3
	s_and_saveexec_b32 s3, vcc_lo
	s_cbranch_execnz .LBB456_2409
.LBB456_2345:
	s_or_b32 exec_lo, exec_lo, s3
	s_and_saveexec_b32 s3, vcc_lo
	s_cbranch_execnz .LBB456_2410
.LBB456_2346:
	s_or_b32 exec_lo, exec_lo, s3
	s_and_saveexec_b32 s3, vcc_lo
	s_cbranch_execnz .LBB456_2411
.LBB456_2347:
	s_or_b32 exec_lo, exec_lo, s3
	s_and_saveexec_b32 s3, vcc_lo
	s_cbranch_execnz .LBB456_2412
.LBB456_2348:
	s_or_b32 exec_lo, exec_lo, s3
	s_and_saveexec_b32 s3, vcc_lo
	s_cbranch_execnz .LBB456_2413
.LBB456_2349:
	s_or_b32 exec_lo, exec_lo, s3
	s_and_saveexec_b32 s3, vcc_lo
	s_cbranch_execnz .LBB456_2414
.LBB456_2350:
	s_or_b32 exec_lo, exec_lo, s3
	s_and_saveexec_b32 s3, vcc_lo
	s_cbranch_execnz .LBB456_2415
.LBB456_2351:
	s_or_b32 exec_lo, exec_lo, s3
	s_and_saveexec_b32 s3, vcc_lo
	s_cbranch_execz .LBB456_2353
.LBB456_2352:
	ds_load_b32 v1, v1 offset:288
	s_waitcnt lgkmcnt(0)
	v_add_f32_e32 v2, v1, v2
.LBB456_2353:
	s_or_b32 exec_lo, exec_lo, s3
.LBB456_2354:
	s_delay_alu instid0(SALU_CYCLE_1)
	s_or_b32 exec_lo, exec_lo, s2
	s_barrier
	buffer_gl0_inv
	s_and_b32 exec_lo, exec_lo, s0
	s_cbranch_execz .LBB456_2397
; %bb.2355:
	s_and_b32 exec_lo, exec_lo, vcc_lo
	s_cbranch_execz .LBB456_2397
; %bb.2356:
	v_and_b32_e32 v1, 0x7f800000, v0
	s_mov_b32 s0, exec_lo
                                        ; implicit-def: $vgpr11
	s_delay_alu instid0(VALU_DEP_1)
	v_cmpx_ne_u32_e32 0x7f800000, v1
	s_xor_b32 s0, exec_lo, s0
; %bb.2357:
	v_bfe_u32 v1, v0, 16, 1
	s_delay_alu instid0(VALU_DEP_1)
	v_add3_u32 v11, v0, v1, 0x7fff
                                        ; implicit-def: $vgpr0
; %bb.2358:
	s_and_not1_saveexec_b32 s0, s0
; %bb.2359:
	v_and_b32_e32 v1, 0xffff, v0
	v_or_b32_e32 v11, 0x10000, v0
	s_delay_alu instid0(VALU_DEP_2) | instskip(NEXT) | instid1(VALU_DEP_2)
	v_cmp_eq_u32_e32 vcc_lo, 0, v1
	v_cndmask_b32_e32 v11, v11, v0, vcc_lo
; %bb.2360:
	s_or_b32 exec_lo, exec_lo, s0
	s_clause 0x1
	scratch_load_b32 v1, off, s32 offset:324
	scratch_load_b32 v12, off, s32 offset:320
	s_mul_i32 s2, s1, s4
	s_mul_i32 s0, s6, s1
	;; [unrolled: 1-line block ×5, first 2 shown]
	s_ashr_i32 s1, s0, 31
	s_ashr_i32 s3, s2, 31
	;; [unrolled: 1-line block ×3, first 2 shown]
	s_lshl_b64 s[0:1], s[0:1], 1
	s_lshl_b64 s[2:3], s[2:3], 1
	;; [unrolled: 1-line block ×3, first 2 shown]
	v_lshrrev_b32_e32 v0, 1, v34
	s_add_u32 s0, s2, s0
	s_addc_u32 s1, s3, s1
	s_add_u32 s0, s0, s6
	s_addc_u32 s1, s1, s7
	v_and_b32_e32 v0, 0x1fe, v0
	v_and_b32_e32 v13, 0x7f800000, v10
	s_waitcnt vmcnt(1)
	v_add_co_u32 v1, vcc_lo, s0, v1
	s_waitcnt vmcnt(0)
	v_add_co_ci_u32_e32 v12, vcc_lo, s1, v12, vcc_lo
	s_mov_b32 s0, exec_lo
	s_delay_alu instid0(VALU_DEP_2) | instskip(NEXT) | instid1(VALU_DEP_2)
	v_add_co_u32 v0, vcc_lo, v1, v0
	v_add_co_ci_u32_e32 v1, vcc_lo, 0, v12, vcc_lo
	flat_store_d16_hi_b16 v[0:1], v11
                                        ; implicit-def: $vgpr11
	v_cmpx_ne_u32_e32 0x7f800000, v13
	s_xor_b32 s0, exec_lo, s0
; %bb.2361:
	v_bfe_u32 v11, v10, 16, 1
	s_delay_alu instid0(VALU_DEP_1)
	v_add3_u32 v11, v10, v11, 0x7fff
                                        ; implicit-def: $vgpr10
; %bb.2362:
	s_and_not1_saveexec_b32 s0, s0
; %bb.2363:
	v_and_b32_e32 v11, 0xffff, v10
	v_or_b32_e32 v12, 0x10000, v10
	s_delay_alu instid0(VALU_DEP_2) | instskip(NEXT) | instid1(VALU_DEP_2)
	v_cmp_eq_u32_e32 vcc_lo, 0, v11
	v_cndmask_b32_e32 v11, v12, v10, vcc_lo
; %bb.2364:
	s_or_b32 exec_lo, exec_lo, s0
	v_and_b32_e32 v10, 0x7f800000, v9
	flat_store_d16_hi_b16 v[0:1], v11 offset:16
	v_cmp_ne_u32_e32 vcc_lo, 0x7f800000, v10
                                        ; implicit-def: $vgpr10
	s_and_saveexec_b32 s0, vcc_lo
	s_delay_alu instid0(SALU_CYCLE_1)
	s_xor_b32 s0, exec_lo, s0
; %bb.2365:
	v_bfe_u32 v10, v9, 16, 1
	s_delay_alu instid0(VALU_DEP_1)
	v_add3_u32 v10, v9, v10, 0x7fff
                                        ; implicit-def: $vgpr9
; %bb.2366:
	s_and_not1_saveexec_b32 s0, s0
; %bb.2367:
	v_and_b32_e32 v10, 0xffff, v9
	v_or_b32_e32 v11, 0x10000, v9
	s_delay_alu instid0(VALU_DEP_2) | instskip(NEXT) | instid1(VALU_DEP_2)
	v_cmp_eq_u32_e32 vcc_lo, 0, v10
	v_cndmask_b32_e32 v10, v11, v9, vcc_lo
; %bb.2368:
	s_or_b32 exec_lo, exec_lo, s0
	v_and_b32_e32 v9, 0x7f800000, v8
	flat_store_d16_hi_b16 v[0:1], v10 offset:32
	v_cmp_ne_u32_e32 vcc_lo, 0x7f800000, v9
                                        ; implicit-def: $vgpr9
	s_and_saveexec_b32 s0, vcc_lo
	s_delay_alu instid0(SALU_CYCLE_1)
	s_xor_b32 s0, exec_lo, s0
; %bb.2369:
	v_bfe_u32 v9, v8, 16, 1
	s_delay_alu instid0(VALU_DEP_1)
	v_add3_u32 v9, v8, v9, 0x7fff
                                        ; implicit-def: $vgpr8
; %bb.2370:
	s_and_not1_saveexec_b32 s0, s0
; %bb.2371:
	v_and_b32_e32 v9, 0xffff, v8
	v_or_b32_e32 v10, 0x10000, v8
	s_delay_alu instid0(VALU_DEP_2) | instskip(NEXT) | instid1(VALU_DEP_2)
	v_cmp_eq_u32_e32 vcc_lo, 0, v9
	v_cndmask_b32_e32 v9, v10, v8, vcc_lo
; %bb.2372:
	s_or_b32 exec_lo, exec_lo, s0
	v_and_b32_e32 v8, 0x7f800000, v7
	flat_store_d16_hi_b16 v[0:1], v9 offset:48
	v_cmp_ne_u32_e32 vcc_lo, 0x7f800000, v8
                                        ; implicit-def: $vgpr8
	s_and_saveexec_b32 s0, vcc_lo
	s_delay_alu instid0(SALU_CYCLE_1)
	s_xor_b32 s0, exec_lo, s0
; %bb.2373:
	v_bfe_u32 v8, v7, 16, 1
	s_delay_alu instid0(VALU_DEP_1)
	v_add3_u32 v8, v7, v8, 0x7fff
                                        ; implicit-def: $vgpr7
; %bb.2374:
	s_and_not1_saveexec_b32 s0, s0
; %bb.2375:
	v_and_b32_e32 v8, 0xffff, v7
	v_or_b32_e32 v9, 0x10000, v7
	s_delay_alu instid0(VALU_DEP_2) | instskip(NEXT) | instid1(VALU_DEP_2)
	v_cmp_eq_u32_e32 vcc_lo, 0, v8
	v_cndmask_b32_e32 v8, v9, v7, vcc_lo
; %bb.2376:
	s_or_b32 exec_lo, exec_lo, s0
	v_and_b32_e32 v7, 0x7f800000, v6
	flat_store_d16_hi_b16 v[0:1], v8 offset:64
	v_cmp_ne_u32_e32 vcc_lo, 0x7f800000, v7
                                        ; implicit-def: $vgpr7
	s_and_saveexec_b32 s0, vcc_lo
	s_delay_alu instid0(SALU_CYCLE_1)
	s_xor_b32 s0, exec_lo, s0
; %bb.2377:
	v_bfe_u32 v7, v6, 16, 1
	s_delay_alu instid0(VALU_DEP_1)
	v_add3_u32 v7, v6, v7, 0x7fff
                                        ; implicit-def: $vgpr6
; %bb.2378:
	s_and_not1_saveexec_b32 s0, s0
; %bb.2379:
	v_and_b32_e32 v7, 0xffff, v6
	v_or_b32_e32 v8, 0x10000, v6
	s_delay_alu instid0(VALU_DEP_2) | instskip(NEXT) | instid1(VALU_DEP_2)
	v_cmp_eq_u32_e32 vcc_lo, 0, v7
	v_cndmask_b32_e32 v7, v8, v6, vcc_lo
; %bb.2380:
	s_or_b32 exec_lo, exec_lo, s0
	v_and_b32_e32 v6, 0x7f800000, v5
	flat_store_d16_hi_b16 v[0:1], v7 offset:80
	v_cmp_ne_u32_e32 vcc_lo, 0x7f800000, v6
                                        ; implicit-def: $vgpr6
	s_and_saveexec_b32 s0, vcc_lo
	s_delay_alu instid0(SALU_CYCLE_1)
	s_xor_b32 s0, exec_lo, s0
; %bb.2381:
	v_bfe_u32 v6, v5, 16, 1
	s_delay_alu instid0(VALU_DEP_1)
	v_add3_u32 v6, v5, v6, 0x7fff
                                        ; implicit-def: $vgpr5
; %bb.2382:
	s_and_not1_saveexec_b32 s0, s0
; %bb.2383:
	v_and_b32_e32 v6, 0xffff, v5
	v_or_b32_e32 v7, 0x10000, v5
	s_delay_alu instid0(VALU_DEP_2) | instskip(NEXT) | instid1(VALU_DEP_2)
	v_cmp_eq_u32_e32 vcc_lo, 0, v6
	v_cndmask_b32_e32 v6, v7, v5, vcc_lo
; %bb.2384:
	s_or_b32 exec_lo, exec_lo, s0
	v_and_b32_e32 v5, 0x7f800000, v4
	flat_store_d16_hi_b16 v[0:1], v6 offset:96
	v_cmp_ne_u32_e32 vcc_lo, 0x7f800000, v5
                                        ; implicit-def: $vgpr5
	s_and_saveexec_b32 s0, vcc_lo
	s_delay_alu instid0(SALU_CYCLE_1)
	s_xor_b32 s0, exec_lo, s0
; %bb.2385:
	v_bfe_u32 v5, v4, 16, 1
	s_delay_alu instid0(VALU_DEP_1)
	v_add3_u32 v5, v4, v5, 0x7fff
                                        ; implicit-def: $vgpr4
; %bb.2386:
	s_and_not1_saveexec_b32 s0, s0
; %bb.2387:
	v_and_b32_e32 v5, 0xffff, v4
	v_or_b32_e32 v6, 0x10000, v4
	s_delay_alu instid0(VALU_DEP_2) | instskip(NEXT) | instid1(VALU_DEP_2)
	v_cmp_eq_u32_e32 vcc_lo, 0, v5
	v_cndmask_b32_e32 v5, v6, v4, vcc_lo
; %bb.2388:
	s_or_b32 exec_lo, exec_lo, s0
	v_and_b32_e32 v4, 0x7f800000, v3
	flat_store_d16_hi_b16 v[0:1], v5 offset:112
	v_cmp_ne_u32_e32 vcc_lo, 0x7f800000, v4
                                        ; implicit-def: $vgpr4
	s_and_saveexec_b32 s0, vcc_lo
	s_delay_alu instid0(SALU_CYCLE_1)
	s_xor_b32 s0, exec_lo, s0
; %bb.2389:
	v_bfe_u32 v4, v3, 16, 1
	s_delay_alu instid0(VALU_DEP_1)
	v_add3_u32 v4, v3, v4, 0x7fff
                                        ; implicit-def: $vgpr3
; %bb.2390:
	s_and_not1_saveexec_b32 s0, s0
; %bb.2391:
	v_and_b32_e32 v4, 0xffff, v3
	v_or_b32_e32 v5, 0x10000, v3
	s_delay_alu instid0(VALU_DEP_2) | instskip(NEXT) | instid1(VALU_DEP_2)
	v_cmp_eq_u32_e32 vcc_lo, 0, v4
	v_cndmask_b32_e32 v4, v5, v3, vcc_lo
; %bb.2392:
	s_or_b32 exec_lo, exec_lo, s0
	v_and_b32_e32 v3, 0x7f800000, v2
	flat_store_d16_hi_b16 v[0:1], v4 offset:128
	v_cmp_ne_u32_e32 vcc_lo, 0x7f800000, v3
                                        ; implicit-def: $vgpr3
	s_and_saveexec_b32 s0, vcc_lo
	s_delay_alu instid0(SALU_CYCLE_1)
	s_xor_b32 s0, exec_lo, s0
; %bb.2393:
	v_bfe_u32 v3, v2, 16, 1
	s_delay_alu instid0(VALU_DEP_1)
	v_add3_u32 v3, v2, v3, 0x7fff
                                        ; implicit-def: $vgpr2
; %bb.2394:
	s_and_not1_saveexec_b32 s0, s0
; %bb.2395:
	v_and_b32_e32 v3, 0xffff, v2
	v_or_b32_e32 v4, 0x10000, v2
	s_delay_alu instid0(VALU_DEP_2) | instskip(NEXT) | instid1(VALU_DEP_2)
	v_cmp_eq_u32_e32 vcc_lo, 0, v3
	v_cndmask_b32_e32 v3, v4, v2, vcc_lo
; %bb.2396:
	s_or_b32 exec_lo, exec_lo, s0
	flat_store_d16_hi_b16 v[0:1], v3 offset:144
.LBB456_2397:
	s_or_b32 exec_lo, exec_lo, s5
	s_clause 0x1f
	scratch_load_b32 v191, off, s32
	scratch_load_b32 v190, off, s32 offset:4
	scratch_load_b32 v189, off, s32 offset:8
	scratch_load_b32 v188, off, s32 offset:12
	scratch_load_b32 v187, off, s32 offset:16
	scratch_load_b32 v186, off, s32 offset:20
	scratch_load_b32 v185, off, s32 offset:24
	scratch_load_b32 v184, off, s32 offset:28
	scratch_load_b32 v175, off, s32 offset:32
	scratch_load_b32 v174, off, s32 offset:36
	scratch_load_b32 v173, off, s32 offset:40
	scratch_load_b32 v172, off, s32 offset:44
	scratch_load_b32 v171, off, s32 offset:48
	scratch_load_b32 v170, off, s32 offset:52
	scratch_load_b32 v169, off, s32 offset:56
	scratch_load_b32 v168, off, s32 offset:60
	scratch_load_b32 v159, off, s32 offset:64
	scratch_load_b32 v158, off, s32 offset:68
	scratch_load_b32 v157, off, s32 offset:72
	scratch_load_b32 v156, off, s32 offset:76
	scratch_load_b32 v155, off, s32 offset:80
	scratch_load_b32 v154, off, s32 offset:84
	scratch_load_b32 v153, off, s32 offset:88
	scratch_load_b32 v152, off, s32 offset:92
	scratch_load_b32 v143, off, s32 offset:96
	scratch_load_b32 v142, off, s32 offset:100
	scratch_load_b32 v141, off, s32 offset:104
	scratch_load_b32 v140, off, s32 offset:108
	scratch_load_b32 v139, off, s32 offset:112
	scratch_load_b32 v138, off, s32 offset:116
	scratch_load_b32 v137, off, s32 offset:120
	scratch_load_b32 v136, off, s32 offset:124
	s_clause 0x1f
	scratch_load_b32 v127, off, s32 offset:128
	scratch_load_b32 v126, off, s32 offset:132
	;; [unrolled: 1-line block ×32, first 2 shown]
	s_clause 0xf
	scratch_load_b32 v63, off, s32 offset:256
	scratch_load_b32 v62, off, s32 offset:260
	scratch_load_b32 v61, off, s32 offset:264
	scratch_load_b32 v60, off, s32 offset:268
	scratch_load_b32 v59, off, s32 offset:272
	scratch_load_b32 v58, off, s32 offset:276
	scratch_load_b32 v57, off, s32 offset:280
	scratch_load_b32 v56, off, s32 offset:284
	scratch_load_b32 v47, off, s32 offset:288
	scratch_load_b32 v46, off, s32 offset:292
	scratch_load_b32 v45, off, s32 offset:296
	scratch_load_b32 v44, off, s32 offset:300
	scratch_load_b32 v43, off, s32 offset:304
	scratch_load_b32 v42, off, s32 offset:308
	scratch_load_b32 v41, off, s32 offset:312
	scratch_load_b32 v40, off, s32 offset:316
	s_waitcnt vmcnt(0) lgkmcnt(0)
	s_setpc_b64 s[30:31]
.LBB456_2398:
	v_lshl_add_u32 v13, v1, 2, v11
	ds_load_b32 v13, v13
	s_waitcnt lgkmcnt(0)
	v_add_f32_e32 v0, v13, v0
	s_or_b32 exec_lo, exec_lo, s0
	s_and_saveexec_b32 s0, vcc_lo
	s_cbranch_execz .LBB456_2329
.LBB456_2399:
	v_lshl_add_u32 v13, v1, 2, v11
	ds_load_b32 v13, v13 offset:32
	s_waitcnt lgkmcnt(0)
	v_add_f32_e32 v10, v13, v10
	s_or_b32 exec_lo, exec_lo, s0
	s_and_saveexec_b32 s0, vcc_lo
	s_cbranch_execz .LBB456_2330
.LBB456_2400:
	v_lshl_add_u32 v13, v1, 2, v11
	ds_load_b32 v13, v13 offset:64
	s_waitcnt lgkmcnt(0)
	v_add_f32_e32 v9, v13, v9
	s_or_b32 exec_lo, exec_lo, s0
	s_and_saveexec_b32 s0, vcc_lo
	s_cbranch_execz .LBB456_2331
.LBB456_2401:
	v_lshl_add_u32 v13, v1, 2, v11
	ds_load_b32 v13, v13 offset:96
	s_waitcnt lgkmcnt(0)
	v_add_f32_e32 v8, v13, v8
	s_or_b32 exec_lo, exec_lo, s0
	s_and_saveexec_b32 s0, vcc_lo
	s_cbranch_execz .LBB456_2332
.LBB456_2402:
	v_lshl_add_u32 v13, v1, 2, v11
	ds_load_b32 v13, v13 offset:128
	s_waitcnt lgkmcnt(0)
	v_add_f32_e32 v7, v13, v7
	s_or_b32 exec_lo, exec_lo, s0
	s_and_saveexec_b32 s0, vcc_lo
	s_cbranch_execz .LBB456_2333
.LBB456_2403:
	v_lshl_add_u32 v13, v1, 2, v11
	ds_load_b32 v13, v13 offset:160
	s_waitcnt lgkmcnt(0)
	v_add_f32_e32 v6, v13, v6
	s_or_b32 exec_lo, exec_lo, s0
	s_and_saveexec_b32 s0, vcc_lo
	s_cbranch_execz .LBB456_2334
.LBB456_2404:
	v_lshl_add_u32 v13, v1, 2, v11
	ds_load_b32 v13, v13 offset:192
	s_waitcnt lgkmcnt(0)
	v_add_f32_e32 v5, v13, v5
	s_or_b32 exec_lo, exec_lo, s0
	s_and_saveexec_b32 s0, vcc_lo
	s_cbranch_execz .LBB456_2335
.LBB456_2405:
	v_lshl_add_u32 v13, v1, 2, v11
	ds_load_b32 v13, v13 offset:224
	s_waitcnt lgkmcnt(0)
	v_add_f32_e32 v4, v13, v4
	s_or_b32 exec_lo, exec_lo, s0
	s_and_saveexec_b32 s0, vcc_lo
	s_cbranch_execz .LBB456_2336
.LBB456_2406:
	v_lshl_add_u32 v13, v1, 2, v11
	ds_load_b32 v13, v13 offset:256
	s_waitcnt lgkmcnt(0)
	v_add_f32_e32 v3, v13, v3
	s_or_b32 exec_lo, exec_lo, s0
	s_and_saveexec_b32 s0, vcc_lo
	s_cbranch_execnz .LBB456_2337
	s_branch .LBB456_2338
.LBB456_2407:
	ds_load_b32 v11, v1
	s_waitcnt lgkmcnt(0)
	v_add_f32_e32 v0, v11, v0
	s_or_b32 exec_lo, exec_lo, s3
	s_and_saveexec_b32 s3, vcc_lo
	s_cbranch_execz .LBB456_2344
.LBB456_2408:
	ds_load_b32 v11, v1 offset:32
	s_waitcnt lgkmcnt(0)
	v_add_f32_e32 v10, v11, v10
	s_or_b32 exec_lo, exec_lo, s3
	s_and_saveexec_b32 s3, vcc_lo
	s_cbranch_execz .LBB456_2345
.LBB456_2409:
	ds_load_b32 v11, v1 offset:64
	s_waitcnt lgkmcnt(0)
	v_add_f32_e32 v9, v11, v9
	s_or_b32 exec_lo, exec_lo, s3
	s_and_saveexec_b32 s3, vcc_lo
	s_cbranch_execz .LBB456_2346
.LBB456_2410:
	ds_load_b32 v11, v1 offset:96
	s_waitcnt lgkmcnt(0)
	v_add_f32_e32 v8, v11, v8
	s_or_b32 exec_lo, exec_lo, s3
	s_and_saveexec_b32 s3, vcc_lo
	s_cbranch_execz .LBB456_2347
.LBB456_2411:
	ds_load_b32 v11, v1 offset:128
	s_waitcnt lgkmcnt(0)
	v_add_f32_e32 v7, v11, v7
	s_or_b32 exec_lo, exec_lo, s3
	s_and_saveexec_b32 s3, vcc_lo
	s_cbranch_execz .LBB456_2348
.LBB456_2412:
	ds_load_b32 v11, v1 offset:160
	s_waitcnt lgkmcnt(0)
	v_add_f32_e32 v6, v11, v6
	s_or_b32 exec_lo, exec_lo, s3
	s_and_saveexec_b32 s3, vcc_lo
	s_cbranch_execz .LBB456_2349
.LBB456_2413:
	ds_load_b32 v11, v1 offset:192
	s_waitcnt lgkmcnt(0)
	v_add_f32_e32 v5, v11, v5
	s_or_b32 exec_lo, exec_lo, s3
	s_and_saveexec_b32 s3, vcc_lo
	s_cbranch_execz .LBB456_2350
.LBB456_2414:
	ds_load_b32 v11, v1 offset:224
	s_waitcnt lgkmcnt(0)
	v_add_f32_e32 v4, v11, v4
	s_or_b32 exec_lo, exec_lo, s3
	s_and_saveexec_b32 s3, vcc_lo
	s_cbranch_execz .LBB456_2351
.LBB456_2415:
	ds_load_b32 v11, v1 offset:256
	s_waitcnt lgkmcnt(0)
	v_add_f32_e32 v3, v11, v3
	s_or_b32 exec_lo, exec_lo, s3
	s_and_saveexec_b32 s3, vcc_lo
	s_cbranch_execnz .LBB456_2352
	s_branch .LBB456_2353
.Lfunc_end456:
	.size	_ZN4vllm22paged_attention_kernelI14__hip_bfloat16hLi80ELi32ELi128ELNS_18Fp8KVCacheDataTypeE1ELb0ELi512EEEvPfS3_PT_PKS4_PKT0_SA_ifPKiSC_iPKfiiiSE_SE_iiiii, .Lfunc_end456-_ZN4vllm22paged_attention_kernelI14__hip_bfloat16hLi80ELi32ELi128ELNS_18Fp8KVCacheDataTypeE1ELb0ELi512EEEvPfS3_PT_PKS4_PKT0_SA_ifPKiSC_iPKfiiiSE_SE_iiiii
                                        ; -- End function
	.section	.AMDGPU.csdata,"",@progbits
; Function info:
; codeLenInByte = 73244
; NumSgprs: 35
; NumVgprs: 192
; ScratchSize: 372
; MemoryBound: 0
	.section	.text._ZN4vllm25paged_attention_v2_kernelI14__hip_bfloat16hLi80ELi32ELi128ELNS_18Fp8KVCacheDataTypeE1ELb0ELi512EEEvPfS3_PT_PKS4_PKT0_SA_ifPKiSC_iPKfiiiSE_SE_iiiii,"axG",@progbits,_ZN4vllm25paged_attention_v2_kernelI14__hip_bfloat16hLi80ELi32ELi128ELNS_18Fp8KVCacheDataTypeE1ELb0ELi512EEEvPfS3_PT_PKS4_PKT0_SA_ifPKiSC_iPKfiiiSE_SE_iiiii,comdat
	.protected	_ZN4vllm25paged_attention_v2_kernelI14__hip_bfloat16hLi80ELi32ELi128ELNS_18Fp8KVCacheDataTypeE1ELb0ELi512EEEvPfS3_PT_PKS4_PKT0_SA_ifPKiSC_iPKfiiiSE_SE_iiiii ; -- Begin function _ZN4vllm25paged_attention_v2_kernelI14__hip_bfloat16hLi80ELi32ELi128ELNS_18Fp8KVCacheDataTypeE1ELb0ELi512EEEvPfS3_PT_PKS4_PKT0_SA_ifPKiSC_iPKfiiiSE_SE_iiiii
	.globl	_ZN4vllm25paged_attention_v2_kernelI14__hip_bfloat16hLi80ELi32ELi128ELNS_18Fp8KVCacheDataTypeE1ELb0ELi512EEEvPfS3_PT_PKS4_PKT0_SA_ifPKiSC_iPKfiiiSE_SE_iiiii
	.p2align	8
	.type	_ZN4vllm25paged_attention_v2_kernelI14__hip_bfloat16hLi80ELi32ELi128ELNS_18Fp8KVCacheDataTypeE1ELb0ELi512EEEvPfS3_PT_PKS4_PKT0_SA_ifPKiSC_iPKfiiiSE_SE_iiiii,@function
_ZN4vllm25paged_attention_v2_kernelI14__hip_bfloat16hLi80ELi32ELi128ELNS_18Fp8KVCacheDataTypeE1ELb0ELi512EEEvPfS3_PT_PKS4_PKT0_SA_ifPKiSC_iPKfiiiSE_SE_iiiii: ; @_ZN4vllm25paged_attention_v2_kernelI14__hip_bfloat16hLi80ELi32ELi128ELNS_18Fp8KVCacheDataTypeE1ELb0ELi512EEEvPfS3_PT_PKS4_PKT0_SA_ifPKiSC_iPKfiiiSE_SE_iiiii
; %bb.0:
	s_clause 0x5
	s_load_b256 s[24:31], s[0:1], 0x0
	s_load_b256 s[16:23], s[0:1], 0x20
	s_load_b64 s[2:3], s[0:1], 0x40
	s_load_b64 s[4:5], s[0:1], 0x50
	s_load_b32 s6, s[0:1], 0x48
	s_load_b256 s[36:43], s[0:1], 0x58
	v_mov_b32_e32 v31, v0
	s_add_u32 s8, s0, 0x90
	s_mov_b32 s12, s13
	s_addc_u32 s9, s1, 0
	s_mov_b32 s13, s14
	s_mov_b32 s14, s15
	;; [unrolled: 1-line block ×4, first 2 shown]
	s_getpc_b64 s[0:1]
	s_add_u32 s0, s0, _ZN4vllm22paged_attention_kernelI14__hip_bfloat16hLi80ELi32ELi128ELNS_18Fp8KVCacheDataTypeE1ELb0ELi512EEEvPfS3_PT_PKS4_PKT0_SA_ifPKiSC_iPKfiiiSE_SE_iiiii@rel32@lo+4
	s_addc_u32 s1, s1, _ZN4vllm22paged_attention_kernelI14__hip_bfloat16hLi80ELi32ELi128ELNS_18Fp8KVCacheDataTypeE1ELb0ELi512EEEvPfS3_PT_PKS4_PKT0_SA_ifPKiSC_iPKfiiiSE_SE_iiiii@rel32@hi+12
	s_waitcnt lgkmcnt(0)
	v_dual_mov_b32 v0, s24 :: v_dual_mov_b32 v1, s25
	v_dual_mov_b32 v2, s26 :: v_dual_mov_b32 v3, s27
	;; [unrolled: 1-line block ×14, first 2 shown]
	s_swappc_b64 s[30:31], s[0:1]
	s_endpgm
	.section	.rodata,"a",@progbits
	.p2align	6, 0x0
	.amdhsa_kernel _ZN4vllm25paged_attention_v2_kernelI14__hip_bfloat16hLi80ELi32ELi128ELNS_18Fp8KVCacheDataTypeE1ELb0ELi512EEEvPfS3_PT_PKS4_PKT0_SA_ifPKiSC_iPKfiiiSE_SE_iiiii
		.amdhsa_group_segment_fixed_size 192
		.amdhsa_private_segment_fixed_size 372
		.amdhsa_kernarg_size 400
		.amdhsa_user_sgpr_count 13
		.amdhsa_user_sgpr_dispatch_ptr 0
		.amdhsa_user_sgpr_queue_ptr 0
		.amdhsa_user_sgpr_kernarg_segment_ptr 1
		.amdhsa_user_sgpr_dispatch_id 0
		.amdhsa_user_sgpr_private_segment_size 0
		.amdhsa_wavefront_size32 1
		.amdhsa_uses_dynamic_stack 0
		.amdhsa_enable_private_segment 1
		.amdhsa_system_sgpr_workgroup_id_x 1
		.amdhsa_system_sgpr_workgroup_id_y 1
		.amdhsa_system_sgpr_workgroup_id_z 1
		.amdhsa_system_sgpr_workgroup_info 0
		.amdhsa_system_vgpr_workitem_id 0
		.amdhsa_next_free_vgpr 192
		.amdhsa_next_free_sgpr 44
		.amdhsa_reserve_vcc 1
		.amdhsa_float_round_mode_32 0
		.amdhsa_float_round_mode_16_64 0
		.amdhsa_float_denorm_mode_32 3
		.amdhsa_float_denorm_mode_16_64 3
		.amdhsa_dx10_clamp 1
		.amdhsa_ieee_mode 1
		.amdhsa_fp16_overflow 0
		.amdhsa_workgroup_processor_mode 1
		.amdhsa_memory_ordered 1
		.amdhsa_forward_progress 0
		.amdhsa_shared_vgpr_count 0
		.amdhsa_exception_fp_ieee_invalid_op 0
		.amdhsa_exception_fp_denorm_src 0
		.amdhsa_exception_fp_ieee_div_zero 0
		.amdhsa_exception_fp_ieee_overflow 0
		.amdhsa_exception_fp_ieee_underflow 0
		.amdhsa_exception_fp_ieee_inexact 0
		.amdhsa_exception_int_div_zero 0
	.end_amdhsa_kernel
	.section	.text._ZN4vllm25paged_attention_v2_kernelI14__hip_bfloat16hLi80ELi32ELi128ELNS_18Fp8KVCacheDataTypeE1ELb0ELi512EEEvPfS3_PT_PKS4_PKT0_SA_ifPKiSC_iPKfiiiSE_SE_iiiii,"axG",@progbits,_ZN4vllm25paged_attention_v2_kernelI14__hip_bfloat16hLi80ELi32ELi128ELNS_18Fp8KVCacheDataTypeE1ELb0ELi512EEEvPfS3_PT_PKS4_PKT0_SA_ifPKiSC_iPKfiiiSE_SE_iiiii,comdat
.Lfunc_end457:
	.size	_ZN4vllm25paged_attention_v2_kernelI14__hip_bfloat16hLi80ELi32ELi128ELNS_18Fp8KVCacheDataTypeE1ELb0ELi512EEEvPfS3_PT_PKS4_PKT0_SA_ifPKiSC_iPKfiiiSE_SE_iiiii, .Lfunc_end457-_ZN4vllm25paged_attention_v2_kernelI14__hip_bfloat16hLi80ELi32ELi128ELNS_18Fp8KVCacheDataTypeE1ELb0ELi512EEEvPfS3_PT_PKS4_PKT0_SA_ifPKiSC_iPKfiiiSE_SE_iiiii
                                        ; -- End function
	.section	.AMDGPU.csdata,"",@progbits
; Kernel info:
; codeLenInByte = 232
; NumSgprs: 46
; NumVgprs: 192
; ScratchSize: 372
; MemoryBound: 0
; FloatMode: 240
; IeeeMode: 1
; LDSByteSize: 192 bytes/workgroup (compile time only)
; SGPRBlocks: 5
; VGPRBlocks: 23
; NumSGPRsForWavesPerEU: 46
; NumVGPRsForWavesPerEU: 192
; Occupancy: 8
; WaveLimiterHint : 1
; COMPUTE_PGM_RSRC2:SCRATCH_EN: 1
; COMPUTE_PGM_RSRC2:USER_SGPR: 13
; COMPUTE_PGM_RSRC2:TRAP_HANDLER: 0
; COMPUTE_PGM_RSRC2:TGID_X_EN: 1
; COMPUTE_PGM_RSRC2:TGID_Y_EN: 1
; COMPUTE_PGM_RSRC2:TGID_Z_EN: 1
; COMPUTE_PGM_RSRC2:TIDIG_COMP_CNT: 0
	.text
	.p2align	2                               ; -- Begin function _ZN4vllm22paged_attention_kernelI14__hip_bfloat16hLi96ELi32ELi128ELNS_18Fp8KVCacheDataTypeE1ELb0ELi512EEEvPfS3_PT_PKS4_PKT0_SA_ifPKiSC_iPKfiiiSE_SE_iiiii
	.type	_ZN4vllm22paged_attention_kernelI14__hip_bfloat16hLi96ELi32ELi128ELNS_18Fp8KVCacheDataTypeE1ELb0ELi512EEEvPfS3_PT_PKS4_PKT0_SA_ifPKiSC_iPKfiiiSE_SE_iiiii,@function
_ZN4vllm22paged_attention_kernelI14__hip_bfloat16hLi96ELi32ELi128ELNS_18Fp8KVCacheDataTypeE1ELb0ELi512EEEvPfS3_PT_PKS4_PKT0_SA_ifPKiSC_iPKfiiiSE_SE_iiiii: ; @_ZN4vllm22paged_attention_kernelI14__hip_bfloat16hLi96ELi32ELi128ELNS_18Fp8KVCacheDataTypeE1ELb0ELi512EEEvPfS3_PT_PKS4_PKT0_SA_ifPKiSC_iPKfiiiSE_SE_iiiii
; %bb.0:
	s_waitcnt vmcnt(0) expcnt(0) lgkmcnt(0)
	s_clause 0x1f
	scratch_store_b32 off, v40, s32 offset:316
	; meta instruction
	scratch_store_b32 off, v41, s32 offset:312
	; meta instruction
	;; [unrolled: 2-line block ×31, first 2 shown]
	scratch_store_b32 off, v95, s32 offset:192
	s_clause 0x1f
	scratch_store_b32 off, v104, s32 offset:188
	; meta instruction
	scratch_store_b32 off, v105, s32 offset:184
	; meta instruction
	;; [unrolled: 2-line block ×31, first 2 shown]
	scratch_store_b32 off, v159, s32 offset:64
	s_clause 0xf
	scratch_store_b32 off, v168, s32 offset:60
	; meta instruction
	scratch_store_b32 off, v169, s32 offset:56
	; meta instruction
	;; [unrolled: 2-line block ×15, first 2 shown]
	scratch_store_b32 off, v191, s32
	s_mov_b32 s4, s13
	s_ashr_i32 s5, s13, 31
	v_dual_mov_b32 v30, v3 :: v_dual_mov_b32 v29, v0
	s_lshl_b64 s[0:1], s[4:5], 2
	v_mov_b32_e32 v28, v1
	v_add_co_u32 v0, vcc_lo, v16, s0
	v_add_co_ci_u32_e32 v1, vcc_lo, s1, v17, vcc_lo
	v_mov_b32_e32 v32, v2
	s_lshl_b32 s17, s14, 9
	s_mov_b32 s5, exec_lo
	flat_load_b32 v35, v[0:1]
	s_waitcnt vmcnt(0) lgkmcnt(0)
	v_cmpx_lt_i32_e64 s17, v35
	s_cbranch_execz .LBB458_2861
; %bb.1:
	v_sub_nc_u32_e32 v0, 0, v12
	s_clause 0x1
	scratch_store_b32 off, v4, s32 offset:432
	scratch_store_b32 off, v5, s32 offset:428
	s_clause 0x1
	s_load_b32 s0, s[8:9], 0x10
	s_load_b32 s1, s[8:9], 0x0
	s_mov_b32 s10, s15
	v_max_i32_e32 v0, v12, v0
	v_mov_b32_e32 v39, 0
	s_delay_alu instid0(VALU_DEP_2) | instskip(SKIP_1) | instid1(VALU_DEP_2)
	v_cvt_f32_u32_e32 v1, v0
	v_sub_nc_u32_e32 v2, 0, v0
	v_rcp_iflag_f32_e32 v1, v1
	s_waitcnt lgkmcnt(0)
	s_lshr_b32 s0, s0, 16
	s_delay_alu instid0(SALU_CYCLE_1) | instskip(SKIP_3) | instid1(SALU_CYCLE_1)
	s_cmp_lg_u32 s0, 0
	s_waitcnt_depctr 0xfff
	v_mul_f32_e32 v1, 0x4f7ffffe, v1
	s_cselect_b32 s0, -1, 0
	s_cmp_lg_u32 s0, 0
	s_delay_alu instid0(VALU_DEP_1) | instskip(SKIP_3) | instid1(VALU_DEP_1)
	v_cvt_u32_f32_e32 v1, v1
	s_addc_u32 s16, s1, 0
	s_mov_b32 s1, exec_lo
	s_abs_i32 s0, s16
	v_mul_lo_u32 v2, v2, v1
	s_delay_alu instid0(VALU_DEP_1) | instskip(NEXT) | instid1(VALU_DEP_1)
	v_mul_hi_u32 v2, v1, v2
	v_add_nc_u32_e32 v1, v1, v2
	s_delay_alu instid0(VALU_DEP_1) | instskip(NEXT) | instid1(VALU_DEP_1)
	v_mul_hi_u32 v1, s0, v1
	v_mul_lo_u32 v2, v1, v0
	v_add_nc_u32_e32 v3, 1, v1
	s_delay_alu instid0(VALU_DEP_2) | instskip(SKIP_1) | instid1(VALU_DEP_1)
	v_sub_nc_u32_e32 v2, s0, v2
	s_abs_i32 s0, s12
	v_sub_nc_u32_e32 v4, v2, v0
	v_cmp_ge_u32_e32 vcc_lo, v2, v0
	s_delay_alu instid0(VALU_DEP_2) | instskip(SKIP_1) | instid1(VALU_DEP_2)
	v_dual_cndmask_b32 v1, v1, v3 :: v_dual_cndmask_b32 v2, v2, v4
	v_xor_b32_e32 v3, s16, v12
	v_add_nc_u32_e32 v4, 1, v1
	s_delay_alu instid0(VALU_DEP_3) | instskip(NEXT) | instid1(VALU_DEP_3)
	v_cmp_ge_u32_e32 vcc_lo, v2, v0
	v_ashrrev_i32_e32 v3, 31, v3
	s_delay_alu instid0(VALU_DEP_3) | instskip(NEXT) | instid1(VALU_DEP_1)
	v_cndmask_b32_e32 v0, v1, v4, vcc_lo
	v_xor_b32_e32 v0, v0, v3
	s_delay_alu instid0(VALU_DEP_1) | instskip(NEXT) | instid1(VALU_DEP_1)
	v_sub_nc_u32_e32 v1, v0, v3
	v_sub_nc_u32_e32 v0, 0, v1
	s_delay_alu instid0(VALU_DEP_1) | instskip(NEXT) | instid1(VALU_DEP_1)
	v_max_i32_e32 v0, v1, v0
	v_cvt_f32_u32_e32 v2, v0
	v_sub_nc_u32_e32 v3, 0, v0
	s_delay_alu instid0(VALU_DEP_2) | instskip(SKIP_2) | instid1(VALU_DEP_1)
	v_rcp_iflag_f32_e32 v2, v2
	s_waitcnt_depctr 0xfff
	v_mul_f32_e32 v2, 0x4f7ffffe, v2
	v_cvt_u32_f32_e32 v2, v2
	s_delay_alu instid0(VALU_DEP_1) | instskip(NEXT) | instid1(VALU_DEP_1)
	v_mul_lo_u32 v3, v3, v2
	v_mul_hi_u32 v3, v2, v3
	s_delay_alu instid0(VALU_DEP_1) | instskip(NEXT) | instid1(VALU_DEP_1)
	v_add_nc_u32_e32 v2, v2, v3
	v_mad_u64_u32 v[16:17], null, s0, v2, 0
	v_cmpx_ne_u64_e32 0, v[19:20]
	s_cbranch_execz .LBB458_3
; %bb.2:
	s_ashr_i32 s13, s12, 31
	s_delay_alu instid0(SALU_CYCLE_1) | instskip(NEXT) | instid1(SALU_CYCLE_1)
	s_lshl_b64 s[2:3], s[12:13], 2
	v_add_co_u32 v2, vcc_lo, v19, s2
	v_add_co_ci_u32_e32 v3, vcc_lo, s3, v20, vcc_lo
	flat_load_b32 v39, v[2:3]
.LBB458_3:
	s_or_b32 exec_lo, exec_lo, s1
	v_and_b32_e32 v12, 0x3ff, v31
	v_ashrrev_i32_e32 v1, 31, v1
	s_ashr_i32 s1, s12, 31
	s_mul_i32 s6, s12, 0x60
	s_mov_b32 s2, exec_lo
	v_cmpx_gt_u32_e32 12, v12
	s_cbranch_execz .LBB458_5
; %bb.4:
	v_mul_lo_u32 v2, s4, v21
	s_ashr_i32 s7, s6, 31
	v_lshlrev_b32_e32 v16, 4, v12
	s_lshl_b64 s[18:19], s[6:7], 1
	s_delay_alu instid0(VALU_DEP_2) | instskip(NEXT) | instid1(VALU_DEP_1)
	v_ashrrev_i32_e32 v3, 31, v2
	v_lshlrev_b64 v[2:3], 1, v[2:3]
	s_delay_alu instid0(VALU_DEP_1) | instskip(NEXT) | instid1(VALU_DEP_2)
	v_add_co_u32 v2, vcc_lo, v6, v2
	v_add_co_ci_u32_e32 v3, vcc_lo, v7, v3, vcc_lo
	s_delay_alu instid0(VALU_DEP_2) | instskip(NEXT) | instid1(VALU_DEP_2)
	v_add_co_u32 v2, vcc_lo, v2, s18
	v_add_co_ci_u32_e32 v3, vcc_lo, s19, v3, vcc_lo
	s_delay_alu instid0(VALU_DEP_2) | instskip(NEXT) | instid1(VALU_DEP_2)
	v_add_co_u32 v2, vcc_lo, v2, v16
	v_add_co_ci_u32_e32 v3, vcc_lo, 0, v3, vcc_lo
	flat_load_b128 v[2:5], v[2:3]
	s_waitcnt vmcnt(0) lgkmcnt(0)
	ds_store_b128 v16, v[2:5]
.LBB458_5:
	s_or_b32 exec_lo, exec_lo, s2
	v_mul_lo_u32 v2, v17, v0
	v_dual_mov_b32 v88, 0xff7fffff :: v_dual_add_nc_u32 v3, 1, v17
	v_add_nc_u32_e32 v4, 31, v35
	v_xor_b32_e32 v1, s1, v1
	s_clause 0x1
	s_load_b32 s13, s[8:9], 0x14
	s_load_b32 s7, s[8:9], 0x8
	s_lshl_b32 s3, s14, 4
	s_mov_b32 s15, exec_lo
	v_sub_nc_u32_e32 v2, s0, v2
	v_ashrrev_i32_e32 v6, 31, v4
	s_add_i32 s0, s3, 16
	s_delay_alu instid0(VALU_DEP_2) | instskip(SKIP_1) | instid1(VALU_DEP_3)
	v_sub_nc_u32_e32 v5, v2, v0
	v_cmp_ge_u32_e32 vcc_lo, v2, v0
	v_lshrrev_b32_e32 v6, 27, v6
	s_delay_alu instid0(VALU_DEP_3) | instskip(NEXT) | instid1(VALU_DEP_1)
	v_dual_cndmask_b32 v3, v17, v3 :: v_dual_cndmask_b32 v2, v2, v5
	v_add_nc_u32_e32 v5, 1, v3
	s_delay_alu instid0(VALU_DEP_2) | instskip(SKIP_1) | instid1(VALU_DEP_3)
	v_cmp_ge_u32_e32 vcc_lo, v2, v0
	v_mul_lo_u32 v0, s4, v18
	v_dual_cndmask_b32 v2, v3, v5 :: v_dual_add_nc_u32 v3, v4, v6
	v_lshrrev_b32_e32 v4, 5, v12
	s_delay_alu instid0(VALU_DEP_2) | instskip(NEXT) | instid1(VALU_DEP_3)
	v_xor_b32_e32 v2, v2, v1
	v_ashrrev_i32_e32 v34, 5, v3
	s_delay_alu instid0(VALU_DEP_3) | instskip(NEXT) | instid1(VALU_DEP_3)
	v_add_nc_u32_e32 v16, s3, v4
	v_sub_nc_u32_e32 v2, v2, v1
	v_ashrrev_i32_e32 v1, 31, v0
	s_delay_alu instid0(VALU_DEP_4) | instskip(NEXT) | instid1(VALU_DEP_4)
	v_min_i32_e32 v37, s0, v34
	v_ashrrev_i32_e32 v17, 31, v16
	s_delay_alu instid0(VALU_DEP_4)
	v_mul_lo_u32 v23, v2, v23
	v_and_b32_e32 v2, 31, v12
	v_lshlrev_b64 v[49:50], 2, v[0:1]
	v_cmp_ge_i32_e64 s0, v16, v37
	s_clause 0x1
	scratch_store_b32 off, v4, s32 offset:424
	scratch_store_b32 off, v2, s32 offset:420
	v_lshlrev_b32_e32 v20, 2, v2
	v_ashrrev_i32_e32 v36, 31, v23
	s_waitcnt vmcnt(0) lgkmcnt(0)
	s_waitcnt_vscnt null, 0x0
	s_barrier
	buffer_gl0_inv
	v_cmpx_lt_i32_e64 v16, v37
	s_cbranch_execz .LBB458_1161
; %bb.6:
	v_mov_b32_e32 v19, 0
	s_clause 0x8
	scratch_store_b32 off, v34, s32 offset:480
	scratch_store_b32 off, v32, s32 offset:476
	scratch_store_b32 off, v30, s32 offset:472
	scratch_store_b32 off, v29, s32 offset:468
	scratch_store_b32 off, v28, s32 offset:464
	scratch_store_b32 off, v10, s32 offset:460
	scratch_store_b32 off, v11, s32 offset:456
	scratch_store_b64 off, v[26:27], s32 offset:448
	scratch_store_b32 off, v12, s32 offset:436
	s_getpc_b64 s[8:9]
	s_add_u32 s8, s8, llvm.amdgcn.dynlds.offset.table@rel32@lo+4
	s_addc_u32 s9, s9, llvm.amdgcn.dynlds.offset.table@rel32@hi+12
	s_ashr_i32 s11, s10, 31
	v_sub_nc_u32_e32 v93, 1, v35
	ds_load_b128 v[0:3], v19
	ds_load_b128 v[4:7], v19 offset:16
	ds_load_b128 v[26:29], v19 offset:32
	;; [unrolled: 1-line block ×3, first 2 shown]
	s_lshl_b64 s[18:19], s[10:11], 2
	s_mov_b32 s11, 0
	s_add_u32 s8, s18, s8
	s_addc_u32 s9, s19, s9
	v_mov_b32_e32 v94, v16
	s_load_b32 s1, s[8:9], 0x0
	s_mov_b32 s8, -1
	s_mov_b32 s9, 0xffffff
	s_clause 0x5
	scratch_store_b32 off, v15, s32 offset:440
	scratch_store_b32 off, v14, s32 offset:444
	scratch_store_b64 off, v[49:50], s32 offset:484
	scratch_store_b32 off, v23, s32 offset:492
	scratch_store_b32 off, v36, s32 offset:496
	;; [unrolled: 1-line block ×3, first 2 shown]
	v_mov_b32_e32 v88, 0xff7fffff
	s_waitcnt lgkmcnt(0)
	v_lshlrev_b32_e32 v10, 16, v0
	v_and_b32_e32 v0, 0xffff0000, v0
	v_and_b32_e32 v99, 0xffff0000, v30
	v_lshlrev_b32_e32 v100, 16, v31
	scratch_store_b32 off, v10, s32 offset:320 ; 4-byte Folded Spill
	v_and_b32_e32 v10, 0xffff0000, v29
	scratch_store_b32 off, v0, s32 offset:324 ; 4-byte Folded Spill
	v_lshlrev_b32_e32 v0, 16, v1
	v_and_b32_e32 v101, 0xffff0000, v31
	v_lshlrev_b32_e32 v102, 16, v32
	scratch_store_b32 off, v10, s32 offset:412 ; 4-byte Folded Spill
	v_lshlrev_b32_e32 v10, 16, v30
	scratch_store_b32 off, v0, s32 offset:328 ; 4-byte Folded Spill
	v_and_b32_e32 v0, 0xffff0000, v1
	v_and_b32_e32 v103, 0xffff0000, v32
	v_lshlrev_b32_e32 v112, 16, v33
	scratch_store_b32 off, v10, s32 offset:416 ; 4-byte Folded Spill
	v_and_b32_e32 v113, 0xffff0000, v33
	scratch_store_b32 off, v0, s32 offset:332 ; 4-byte Folded Spill
	v_lshlrev_b32_e32 v0, 16, v2
	ds_load_b128 v[30:33], v19 offset:112
	scratch_store_b32 off, v0, s32 offset:336 ; 4-byte Folded Spill
	v_and_b32_e32 v0, 0xffff0000, v2
	scratch_store_b32 off, v0, s32 offset:340 ; 4-byte Folded Spill
	v_lshlrev_b32_e32 v0, 16, v3
	scratch_store_b32 off, v0, s32 offset:344 ; 4-byte Folded Spill
	v_and_b32_e32 v0, 0xffff0000, v3
	s_waitcnt lgkmcnt(0)
	v_lshlrev_b32_e32 v162, 16, v30
	v_and_b32_e32 v163, 0xffff0000, v30
	scratch_store_b32 off, v0, s32 offset:348 ; 4-byte Folded Spill
	v_lshlrev_b32_e32 v0, 16, v4
	v_lshlrev_b32_e32 v164, 16, v31
	v_and_b32_e32 v165, 0xffff0000, v31
	v_lshlrev_b32_e32 v166, 16, v32
	v_and_b32_e32 v167, 0xffff0000, v32
	scratch_store_b32 off, v0, s32 offset:352 ; 4-byte Folded Spill
	v_and_b32_e32 v0, 0xffff0000, v4
	v_and_b32_e32 v4, 0xffff0000, v7
	v_lshlrev_b32_e32 v176, 16, v33
	v_and_b32_e32 v177, 0xffff0000, v33
	ds_load_b128 v[30:33], v19 offset:176
	s_clause 0x1
	scratch_store_b32 off, v0, s32 offset:356
	scratch_store_b32 off, v4, s32 offset:380
	v_lshlrev_b32_e32 v0, 16, v5
	v_lshlrev_b32_e32 v4, 16, v26
	s_clause 0x1
	scratch_store_b32 off, v0, s32 offset:360
	scratch_store_b32 off, v4, s32 offset:384
	v_and_b32_e32 v0, 0xffff0000, v5
	v_and_b32_e32 v4, 0xffff0000, v26
	s_clause 0x1
	scratch_store_b32 off, v0, s32 offset:364
	scratch_store_b32 off, v4, s32 offset:388
	v_lshlrev_b32_e32 v0, 16, v6
	v_lshlrev_b32_e32 v4, 16, v27
	s_waitcnt lgkmcnt(0)
	v_lshlrev_b32_e32 v74, 16, v30
	v_and_b32_e32 v75, 0xffff0000, v30
	s_clause 0x1
	scratch_store_b32 off, v0, s32 offset:368
	scratch_store_b32 off, v4, s32 offset:392
	v_and_b32_e32 v0, 0xffff0000, v6
	v_and_b32_e32 v4, 0xffff0000, v27
	v_lshlrev_b32_e32 v76, 16, v31
	v_and_b32_e32 v77, 0xffff0000, v31
	v_lshlrev_b32_e32 v78, 16, v32
	s_clause 0x1
	scratch_store_b32 off, v0, s32 offset:372
	scratch_store_b32 off, v4, s32 offset:396
	v_lshlrev_b32_e32 v0, 16, v7
	v_lshlrev_b32_e32 v4, 16, v28
	v_and_b32_e32 v79, 0xffff0000, v32
	v_lshlrev_b32_e32 v89, 16, v33
	v_and_b32_e32 v90, 0xffff0000, v33
	s_clause 0x1
	scratch_store_b32 off, v0, s32 offset:376
	scratch_store_b32 off, v4, s32 offset:400
	v_and_b32_e32 v4, 0xffff0000, v28
	ds_load_b128 v[0:3], v19 offset:64
	scratch_store_b32 off, v4, s32 offset:404 ; 4-byte Folded Spill
	v_lshlrev_b32_e32 v4, 16, v29
	ds_load_b128 v[26:29], v19 offset:96
	scratch_store_b32 off, v4, s32 offset:408 ; 4-byte Folded Spill
	ds_load_b128 v[4:7], v19 offset:80
	s_waitcnt lgkmcnt(2)
	v_lshlrev_b32_e32 v114, 16, v0
	v_and_b32_e32 v115, 0xffff0000, v0
	v_lshlrev_b32_e32 v116, 16, v1
	v_and_b32_e32 v117, 0xffff0000, v1
	;; [unrolled: 2-line block ×4, first 2 shown]
	ds_load_b128 v[0:3], v19 offset:128
	s_waitcnt lgkmcnt(2)
	v_lshlrev_b32_e32 v146, 16, v26
	v_and_b32_e32 v147, 0xffff0000, v26
	s_waitcnt lgkmcnt(1)
	v_lshlrev_b32_e32 v130, 16, v4
	v_and_b32_e32 v131, 0xffff0000, v4
	v_lshlrev_b32_e32 v132, 16, v5
	v_and_b32_e32 v133, 0xffff0000, v5
	;; [unrolled: 2-line block ×4, first 2 shown]
	ds_load_b128 v[4:7], v19 offset:144
	v_lshlrev_b32_e32 v148, 16, v27
	v_and_b32_e32 v149, 0xffff0000, v27
	v_lshlrev_b32_e32 v150, 16, v28
	v_and_b32_e32 v151, 0xffff0000, v28
	v_lshlrev_b32_e32 v160, 16, v29
	v_and_b32_e32 v161, 0xffff0000, v29
	ds_load_b128 v[26:29], v19 offset:160
	s_waitcnt lgkmcnt(2)
	v_lshlrev_b32_e32 v178, 16, v0
	v_and_b32_e32 v179, 0xffff0000, v0
	v_lshlrev_b32_e32 v180, 16, v1
	v_and_b32_e32 v181, 0xffff0000, v1
	v_lshlrev_b64 v[0:1], 2, v[16:17]
	v_lshlrev_b32_e32 v182, 16, v2
	v_and_b32_e32 v183, 0xffff0000, v2
	v_add_co_u32 v2, vcc_lo, v8, v23
	v_lshlrev_b32_e32 v40, 16, v3
	v_and_b32_e32 v41, 0xffff0000, v3
	s_waitcnt lgkmcnt(1)
	v_lshlrev_b32_e32 v44, 16, v5
	v_and_b32_e32 v45, 0xffff0000, v5
	scratch_load_b32 v5, off, s32 offset:420 ; 4-byte Folded Reload
	v_lshlrev_b32_e32 v42, 16, v4
	v_and_b32_e32 v43, 0xffff0000, v4
	v_add_co_ci_u32_e32 v3, vcc_lo, v9, v36, vcc_lo
	v_add_co_u32 v0, vcc_lo, v49, v0
	v_add_co_ci_u32_e32 v1, vcc_lo, v50, v1, vcc_lo
	v_lshlrev_b32_e32 v46, 16, v6
	v_and_b32_e32 v47, 0xffff0000, v6
	v_lshlrev_b32_e32 v56, 16, v7
	v_and_b32_e32 v57, 0xffff0000, v7
	s_waitcnt lgkmcnt(0)
	v_lshlrev_b32_e32 v58, 16, v26
	v_and_b32_e32 v59, 0xffff0000, v26
	v_lshlrev_b32_e32 v60, 16, v27
	v_and_b32_e32 v61, 0xffff0000, v27
	;; [unrolled: 2-line block ×4, first 2 shown]
	s_waitcnt vmcnt(0)
	v_lshlrev_b32_e32 v4, 4, v5
	s_delay_alu instid0(VALU_DEP_1)
	v_add_co_u32 v8, vcc_lo, v2, v4
	v_add_co_ci_u32_e32 v9, vcc_lo, 0, v3, vcc_lo
	scratch_load_b32 v3, off, s32 offset:424 ; 4-byte Folded Reload
	s_waitcnt vmcnt(0)
	v_lshlrev_b32_e32 v2, 5, v3
	v_lshl_or_b32 v3, v3, 7, v20
	v_add_co_u32 v20, vcc_lo, v14, v0
	v_add_co_ci_u32_e32 v21, vcc_lo, v15, v1, vcc_lo
	v_cmp_neq_f32_e32 vcc_lo, 0, v39
	v_add3_u32 v91, s17, v2, v5
	v_add_nc_u32_e32 v92, s1, v3
	s_branch .LBB458_8
.LBB458_7:                              ;   in Loop: Header=BB458_8 Depth=1
	s_or_b32 exec_lo, exec_lo, s2
	scratch_load_b32 v31, off, s32 offset:352 ; 4-byte Folded Reload
	v_and_b32_e32 v28, 0xffff0000, v120
	v_and_b32_e32 v29, 0xffff0000, v95
	;; [unrolled: 1-line block ×8, first 2 shown]
	v_cmp_lt_i32_e64 s1, v91, v35
	v_add_co_u32 v20, s2, v20, 16
	s_delay_alu instid0(VALU_DEP_1)
	v_add_co_ci_u32_e64 v21, s2, 0, v21, s2
	s_clause 0x1
	scratch_load_b32 v97, off, s32 offset:376
	scratch_load_b32 v98, off, s32 offset:380
	v_add_nc_u32_e32 v94, 4, v94
	s_waitcnt vmcnt(2)
	v_mul_f32_e32 v120, v31, v28
	s_clause 0x1
	scratch_load_b32 v28, off, s32 offset:320
	scratch_load_b32 v31, off, s32 offset:356
	s_waitcnt vmcnt(1)
	v_fmac_f32_e32 v120, v28, v29
	v_and_b32_e32 v28, 0xffff0000, v121
	v_and_b32_e32 v29, 0xffff0000, v105
	s_waitcnt vmcnt(0)
	s_delay_alu instid0(VALU_DEP_2)
	v_mul_f32_e32 v121, v31, v28
	s_clause 0x1
	scratch_load_b32 v28, off, s32 offset:324
	scratch_load_b32 v31, off, s32 offset:360
	s_waitcnt vmcnt(1)
	v_dual_fmac_f32 v121, v28, v29 :: v_dual_and_b32 v28, 0xffff0000, v122
	v_and_b32_e32 v29, 0xffff0000, v106
	s_waitcnt vmcnt(0)
	s_delay_alu instid0(VALU_DEP_2)
	v_mul_f32_e32 v105, v31, v28
	s_clause 0x1
	scratch_load_b32 v28, off, s32 offset:328
	scratch_load_b32 v31, off, s32 offset:364
	s_waitcnt vmcnt(1)
	v_dual_fmac_f32 v105, v28, v29 :: v_dual_and_b32 v28, 0xffff0000, v123
	s_waitcnt vmcnt(0)
	s_delay_alu instid0(VALU_DEP_1)
	v_dual_mul_f32 v104, v31, v28 :: v_dual_and_b32 v29, 0xffff0000, v107
	s_clause 0x1
	scratch_load_b32 v28, off, s32 offset:332
	scratch_load_b32 v31, off, s32 offset:368
	s_waitcnt vmcnt(1)
	v_dual_fmac_f32 v104, v28, v29 :: v_dual_and_b32 v29, 0xffff0000, v108
	v_and_b32_e32 v28, 0xffff0000, v124
	s_waitcnt vmcnt(0)
	s_delay_alu instid0(VALU_DEP_1)
	v_mul_f32_e32 v95, v31, v28
	scratch_load_b32 v28, off, s32 offset:336 ; 4-byte Folded Reload
	v_and_b32_e32 v31, 0xffff0000, v109
	s_waitcnt vmcnt(0)
	v_fmac_f32_e32 v95, v28, v29
	scratch_load_b32 v29, off, s32 offset:372 ; 4-byte Folded Reload
	v_and_b32_e32 v28, 0xffff0000, v125
	s_waitcnt vmcnt(0)
	s_delay_alu instid0(VALU_DEP_1) | instskip(SKIP_3) | instid1(VALU_DEP_1)
	v_mul_f32_e32 v29, v29, v28
	scratch_load_b32 v28, off, s32 offset:340 ; 4-byte Folded Reload
	s_waitcnt vmcnt(0)
	v_dual_fmac_f32 v29, v28, v31 :: v_dual_and_b32 v28, 0xffff0000, v126
	v_dual_mul_f32 v28, v97, v28 :: v_dual_and_b32 v31, 0xffff0000, v110
	scratch_load_b32 v97, off, s32 offset:344 ; 4-byte Folded Reload
	s_waitcnt vmcnt(0)
	v_fmac_f32_e32 v28, v97, v31
	v_and_b32_e32 v31, 0xffff0000, v127
	v_and_b32_e32 v97, 0xffff0000, v111
	s_delay_alu instid0(VALU_DEP_2)
	v_mul_f32_e32 v31, v98, v31
	scratch_load_b32 v98, off, s32 offset:348 ; 4-byte Folded Reload
	s_waitcnt vmcnt(0)
	v_fmac_f32_e32 v31, v98, v97
	scratch_load_b32 v98, off, s32 offset:384 ; 4-byte Folded Reload
	v_and_b32_e32 v97, 0xffff0000, v136
	s_waitcnt vmcnt(0)
	s_delay_alu instid0(VALU_DEP_1) | instskip(SKIP_3) | instid1(VALU_DEP_1)
	v_fmac_f32_e32 v120, v98, v97
	scratch_load_b32 v98, off, s32 offset:388 ; 4-byte Folded Reload
	v_and_b32_e32 v97, 0xffff0000, v137
	s_waitcnt vmcnt(0)
	v_fmac_f32_e32 v121, v98, v97
	scratch_load_b32 v98, off, s32 offset:392 ; 4-byte Folded Reload
	v_and_b32_e32 v97, 0xffff0000, v138
	s_waitcnt vmcnt(0)
	s_delay_alu instid0(VALU_DEP_1) | instskip(SKIP_3) | instid1(VALU_DEP_1)
	v_fmac_f32_e32 v105, v98, v97
	scratch_load_b32 v98, off, s32 offset:396 ; 4-byte Folded Reload
	v_and_b32_e32 v97, 0xffff0000, v139
	;; [unrolled: 9-line block ×4, first 2 shown]
	s_waitcnt vmcnt(0)
	v_fmac_f32_e32 v31, v98, v97
	scratch_load_b32 v98, off, s32 offset:416 ; 4-byte Folded Reload
	v_and_b32_e32 v97, 0xffff0000, v152
	s_waitcnt vmcnt(0)
	s_delay_alu instid0(VALU_DEP_1) | instskip(SKIP_1) | instid1(VALU_DEP_1)
	v_fmac_f32_e32 v120, v98, v97
	v_and_b32_e32 v97, 0xffff0000, v153
	v_fmac_f32_e32 v121, v99, v97
	v_and_b32_e32 v97, 0xffff0000, v154
	s_delay_alu instid0(VALU_DEP_1) | instskip(SKIP_1) | instid1(VALU_DEP_1)
	v_fmac_f32_e32 v105, v100, v97
	v_and_b32_e32 v97, 0xffff0000, v155
	v_dual_fmac_f32 v104, v101, v97 :: v_dual_and_b32 v97, 0xffff0000, v156
	s_delay_alu instid0(VALU_DEP_1) | instskip(SKIP_1) | instid1(VALU_DEP_1)
	v_fmac_f32_e32 v95, v102, v97
	v_and_b32_e32 v97, 0xffff0000, v157
	v_fmac_f32_e32 v29, v103, v97
	v_and_b32_e32 v97, 0xffff0000, v158
	s_delay_alu instid0(VALU_DEP_1) | instskip(NEXT) | instid1(VALU_DEP_1)
	v_dual_fmac_f32 v28, v112, v97 :: v_dual_and_b32 v97, 0xffff0000, v159
	v_fmac_f32_e32 v31, v113, v97
	v_and_b32_e32 v97, 0xffff0000, v168
	s_delay_alu instid0(VALU_DEP_1) | instskip(SKIP_1) | instid1(VALU_DEP_1)
	v_fmac_f32_e32 v120, v114, v97
	v_and_b32_e32 v97, 0xffff0000, v169
	v_fmac_f32_e32 v121, v115, v97
	v_and_b32_e32 v97, 0xffff0000, v170
	s_delay_alu instid0(VALU_DEP_1) | instskip(SKIP_1) | instid1(VALU_DEP_1)
	v_fmac_f32_e32 v105, v116, v97
	v_and_b32_e32 v97, 0xffff0000, v171
	v_dual_fmac_f32 v104, v117, v97 :: v_dual_and_b32 v97, 0xffff0000, v172
	s_delay_alu instid0(VALU_DEP_1) | instskip(SKIP_1) | instid1(VALU_DEP_1)
	v_fmac_f32_e32 v95, v118, v97
	v_and_b32_e32 v97, 0xffff0000, v173
	v_fmac_f32_e32 v29, v119, v97
	v_and_b32_e32 v97, 0xffff0000, v174
	s_delay_alu instid0(VALU_DEP_1) | instskip(NEXT) | instid1(VALU_DEP_1)
	v_dual_fmac_f32 v28, v128, v97 :: v_dual_and_b32 v97, 0xffff0000, v175
	v_fmac_f32_e32 v31, v129, v97
	v_and_b32_e32 v97, 0xffff0000, v184
	s_delay_alu instid0(VALU_DEP_1) | instskip(SKIP_1) | instid1(VALU_DEP_1)
	v_fmac_f32_e32 v120, v130, v97
	v_and_b32_e32 v97, 0xffff0000, v185
	v_fmac_f32_e32 v121, v131, v97
	v_and_b32_e32 v97, 0xffff0000, v186
	s_delay_alu instid0(VALU_DEP_2) | instskip(NEXT) | instid1(VALU_DEP_2)
	v_fmac_f32_e32 v121, v147, v5
	v_fmac_f32_e32 v105, v132, v97
	v_dual_fmac_f32 v120, v146, v38 :: v_dual_and_b32 v97, 0xffff0000, v187
	s_delay_alu instid0(VALU_DEP_1) | instskip(SKIP_1) | instid1(VALU_DEP_1)
	v_dual_fmac_f32 v105, v148, v4 :: v_dual_fmac_f32 v104, v133, v97
	v_and_b32_e32 v97, 0xffff0000, v188
	v_dual_fmac_f32 v95, v134, v97 :: v_dual_and_b32 v4, 0xffff0000, v36
	s_delay_alu instid0(VALU_DEP_1) | instskip(SKIP_1) | instid1(VALU_DEP_2)
	v_dual_fmac_f32 v104, v149, v4 :: v_dual_and_b32 v97, 0xffff0000, v189
	v_and_b32_e32 v4, 0xffff0000, v23
	v_fmac_f32_e32 v104, v165, v2
	s_delay_alu instid0(VALU_DEP_2) | instskip(SKIP_1) | instid1(VALU_DEP_3)
	v_dual_fmac_f32 v95, v150, v4 :: v_dual_and_b32 v2, 0xffff0000, v3
	v_and_b32_e32 v4, 0xffff0000, v50
	v_fmac_f32_e32 v104, v181, v0
	v_dual_fmac_f32 v29, v135, v97 :: v_dual_and_b32 v0, 0xffff0000, v55
	v_and_b32_e32 v97, 0xffff0000, v190
	s_delay_alu instid0(VALU_DEP_1) | instskip(SKIP_1) | instid1(VALU_DEP_1)
	v_dual_fmac_f32 v29, v151, v4 :: v_dual_fmac_f32 v28, v144, v97
	v_and_b32_e32 v97, 0xffff0000, v191
	v_dual_fmac_f32 v31, v145, v97 :: v_dual_and_b32 v4, 0xffff0000, v12
	s_delay_alu instid0(VALU_DEP_1) | instskip(SKIP_1) | instid1(VALU_DEP_1)
	v_fmac_f32_e32 v28, v160, v4
	v_and_b32_e32 v4, 0xffff0000, v11
	v_dual_fmac_f32 v31, v161, v4 :: v_dual_and_b32 v4, 0xffff0000, v10
	s_delay_alu instid0(VALU_DEP_1) | instskip(SKIP_1) | instid1(VALU_DEP_1)
	v_fmac_f32_e32 v120, v162, v4
	v_and_b32_e32 v4, 0xffff0000, v6
	v_dual_fmac_f32 v121, v163, v4 :: v_dual_and_b32 v4, 0xffff0000, v7
	s_delay_alu instid0(VALU_DEP_1) | instskip(NEXT) | instid1(VALU_DEP_1)
	v_fmac_f32_e32 v105, v164, v4
	v_fmac_f32_e32 v105, v180, v1
	v_and_b32_e32 v1, 0xffff0000, v53
	s_delay_alu instid0(VALU_DEP_2) | instskip(SKIP_2) | instid1(VALU_DEP_1)
	v_dual_fmac_f32 v105, v44, v0 :: v_dual_and_b32 v0, 0xffff0000, v69
	v_fmac_f32_e32 v95, v166, v2
	v_and_b32_e32 v2, 0xffff0000, v34
	v_fmac_f32_e32 v120, v178, v2
	v_and_b32_e32 v2, 0xffff0000, v48
	s_delay_alu instid0(VALU_DEP_1) | instskip(SKIP_2) | instid1(VALU_DEP_3)
	v_dual_fmac_f32 v120, v42, v1 :: v_dual_fmac_f32 v121, v179, v2
	v_and_b32_e32 v1, 0xffff0000, v54
	v_and_b32_e32 v2, 0xffff0000, v14
	v_fmac_f32_e32 v120, v58, v0
	s_delay_alu instid0(VALU_DEP_3) | instskip(SKIP_1) | instid1(VALU_DEP_2)
	v_dual_fmac_f32 v121, v43, v1 :: v_dual_and_b32 v0, 0xffff0000, v70
	v_and_b32_e32 v1, 0xffff0000, v49
	v_dual_fmac_f32 v121, v59, v0 :: v_dual_and_b32 v0, 0xffff0000, v27
	s_delay_alu instid0(VALU_DEP_1) | instskip(SKIP_1) | instid1(VALU_DEP_1)
	v_fmac_f32_e32 v95, v182, v0
	v_and_b32_e32 v0, 0xffff0000, v64
	v_fmac_f32_e32 v104, v45, v0
	v_and_b32_e32 v0, 0xffff0000, v71
	s_delay_alu instid0(VALU_DEP_1) | instskip(NEXT) | instid1(VALU_DEP_1)
	v_dual_fmac_f32 v105, v60, v0 :: v_dual_and_b32 v0, 0xffff0000, v83
	v_fmac_f32_e32 v120, v74, v0
	v_and_b32_e32 v0, 0xffff0000, v84
	s_delay_alu instid0(VALU_DEP_1) | instskip(SKIP_1) | instid1(VALU_DEP_1)
	v_dual_fmac_f32 v121, v75, v0 :: v_dual_and_b32 v0, 0xffff0000, v26
	v_dual_fmac_f32 v29, v167, v2 :: v_dual_and_b32 v2, 0xffff0000, v15
	v_dual_fmac_f32 v29, v183, v0 :: v_dual_fmac_f32 v28, v176, v2
	v_and_b32_e32 v0, 0xffff0000, v65
	v_fmac_f32_e32 v31, v177, v1
	v_and_b32_e32 v1, 0xffff0000, v51
	s_delay_alu instid0(VALU_DEP_3) | instskip(SKIP_1) | instid1(VALU_DEP_3)
	v_fmac_f32_e32 v95, v46, v0
	v_and_b32_e32 v0, 0xffff0000, v80
	v_dual_fmac_f32 v28, v40, v1 :: v_dual_and_b32 v1, 0xffff0000, v66
	s_delay_alu instid0(VALU_DEP_2) | instskip(SKIP_1) | instid1(VALU_DEP_3)
	v_fmac_f32_e32 v104, v61, v0
	v_and_b32_e32 v0, 0xffff0000, v85
	v_fmac_f32_e32 v29, v47, v1
	v_and_b32_e32 v1, 0xffff0000, v81
	s_delay_alu instid0(VALU_DEP_3) | instskip(SKIP_1) | instid1(VALU_DEP_3)
	v_fmac_f32_e32 v105, v76, v0
	v_add_f32_e32 v0, v120, v121
	v_fmac_f32_e32 v95, v62, v1
	s_delay_alu instid0(VALU_DEP_2) | instskip(NEXT) | instid1(VALU_DEP_1)
	v_dual_add_f32 v0, v0, v105 :: v_dual_and_b32 v1, 0xffff0000, v86
	v_dual_fmac_f32 v104, v77, v1 :: v_dual_and_b32 v1, 0xffff0000, v52
	s_delay_alu instid0(VALU_DEP_1) | instskip(SKIP_1) | instid1(VALU_DEP_1)
	v_dual_add_f32 v0, v104, v0 :: v_dual_fmac_f32 v31, v41, v1
	v_and_b32_e32 v1, 0xffff0000, v67
	v_dual_fmac_f32 v28, v56, v1 :: v_dual_and_b32 v1, 0xffff0000, v82
	s_delay_alu instid0(VALU_DEP_1) | instskip(SKIP_1) | instid1(VALU_DEP_1)
	v_fmac_f32_e32 v29, v63, v1
	v_and_b32_e32 v1, 0xffff0000, v87
	v_fmac_f32_e32 v95, v78, v1
	v_and_b32_e32 v1, 0xffff0000, v68
	s_delay_alu instid0(VALU_DEP_1) | instskip(SKIP_1) | instid1(VALU_DEP_1)
	v_dual_add_f32 v0, v95, v0 :: v_dual_fmac_f32 v31, v57, v1
	v_and_b32_e32 v1, 0xffff0000, v32
	v_dual_fmac_f32 v28, v72, v1 :: v_dual_and_b32 v1, 0xffff0000, v96
	s_delay_alu instid0(VALU_DEP_1) | instskip(NEXT) | instid1(VALU_DEP_1)
	v_fmac_f32_e32 v29, v79, v1
	v_dual_add_f32 v0, v29, v0 :: v_dual_and_b32 v1, 0xffff0000, v33
	s_delay_alu instid0(VALU_DEP_1) | instskip(SKIP_1) | instid1(VALU_DEP_1)
	v_fmac_f32_e32 v31, v73, v1
	v_and_b32_e32 v1, 0xffff0000, v30
	v_dual_fmac_f32 v28, v89, v1 :: v_dual_and_b32 v1, 0xffff0000, v18
	s_delay_alu instid0(VALU_DEP_1) | instskip(SKIP_1) | instid1(VALU_DEP_2)
	v_dual_add_f32 v0, v28, v0 :: v_dual_fmac_f32 v31, v90, v1
	v_add_nc_u32_e32 v1, v93, v91
	v_dual_add_f32 v0, v31, v0 :: v_dual_add_nc_u32 v91, 0x80, v91
	s_delay_alu instid0(VALU_DEP_2) | instskip(NEXT) | instid1(VALU_DEP_1)
	v_cvt_f32_i32_e32 v1, v1
	v_mul_f32_e32 v1, v39, v1
	s_delay_alu instid0(VALU_DEP_1) | instskip(NEXT) | instid1(VALU_DEP_1)
	v_cndmask_b32_e32 v1, 0, v1, vcc_lo
	v_fmac_f32_e32 v1, v0, v13
	v_max_f32_e32 v0, v88, v88
	s_delay_alu instid0(VALU_DEP_1) | instskip(SKIP_1) | instid1(VALU_DEP_2)
	v_max_f32_e32 v0, v0, v1
	v_cndmask_b32_e64 v1, 0, v1, s1
	v_cndmask_b32_e64 v88, v88, v0, s1
	v_cmp_ge_i32_e64 s1, v94, v37
	ds_store_b32 v92, v1
	v_add_nc_u32_e32 v92, 0x200, v92
	s_or_b32 s11, s1, s11
	s_delay_alu instid0(SALU_CYCLE_1)
	s_and_not1_b32 exec_lo, exec_lo, s11
	s_cbranch_execz .LBB458_1160
.LBB458_8:                              ; =>This Inner Loop Header: Depth=1
	flat_load_b32 v0, v[20:21]
	s_mov_b32 s2, exec_lo
	s_waitcnt vmcnt(0) lgkmcnt(0)
	v_mad_i64_i32 v[28:29], null, v0, v22, v[8:9]
	flat_load_b64 v[30:31], v[28:29]
	flat_load_b32 v104, v[24:25]
	s_waitcnt vmcnt(1) lgkmcnt(1)
	v_dual_mov_b32 v0, 0 :: v_dual_and_b32 v1, 0xff, v30
	s_delay_alu instid0(VALU_DEP_1)
	v_cmpx_ne_u16_e32 0, v1
	s_cbranch_execz .LBB458_16
; %bb.9:                                ;   in Loop: Header=BB458_8 Depth=1
	v_bfrev_b32_e32 v0, 1
	s_mov_b32 s18, exec_lo
	v_cmpx_ne_u16_e32 0x80, v1
	s_cbranch_execz .LBB458_15
; %bb.10:                               ;   in Loop: Header=BB458_8 Depth=1
	v_and_b32_e32 v1, 0x7f, v30
	v_mov_b32_e32 v0, 0x7f800001
	s_mov_b32 s19, exec_lo
	s_delay_alu instid0(VALU_DEP_2)
	v_cmpx_ne_u32_e32 0x7f, v1
	s_cbranch_execz .LBB458_14
; %bb.11:                               ;   in Loop: Header=BB458_8 Depth=1
	v_lshrrev_b32_e32 v0, 3, v1
	v_dual_mov_b32 v33, v31 :: v_dual_mov_b32 v32, v30
	s_mov_b32 s20, exec_lo
	v_cmpx_gt_u32_e32 8, v1
; %bb.12:                               ;   in Loop: Header=BB458_8 Depth=1
	v_and_b32_e32 v0, 7, v30
	s_delay_alu instid0(VALU_DEP_1) | instskip(NEXT) | instid1(VALU_DEP_1)
	v_clz_i32_u32_e32 v0, v0
	v_min_u32_e32 v0, 32, v0
	s_delay_alu instid0(VALU_DEP_1) | instskip(SKIP_1) | instid1(VALU_DEP_2)
	v_subrev_nc_u32_e32 v1, 28, v0
	v_sub_nc_u32_e32 v0, 29, v0
	v_lshlrev_b64 v[32:33], v1, v[30:31]
; %bb.13:                               ;   in Loop: Header=BB458_8 Depth=1
	s_or_b32 exec_lo, exec_lo, s20
	s_delay_alu instid0(VALU_DEP_1) | instskip(SKIP_2) | instid1(VALU_DEP_3)
	v_lshlrev_b32_e32 v1, 20, v32
	v_lshlrev_b32_e32 v2, 24, v30
	v_lshl_add_u32 v0, v0, 23, 0x3c000000
	v_and_b32_e32 v1, 0x700000, v1
	s_delay_alu instid0(VALU_DEP_3) | instskip(NEXT) | instid1(VALU_DEP_1)
	v_and_b32_e32 v2, 0x80000000, v2
	v_or3_b32 v0, v1, v2, v0
.LBB458_14:                             ;   in Loop: Header=BB458_8 Depth=1
	s_or_b32 exec_lo, exec_lo, s19
.LBB458_15:                             ;   in Loop: Header=BB458_8 Depth=1
	s_delay_alu instid0(SALU_CYCLE_1)
	s_or_b32 exec_lo, exec_lo, s18
.LBB458_16:                             ;   in Loop: Header=BB458_8 Depth=1
	s_delay_alu instid0(SALU_CYCLE_1) | instskip(SKIP_2) | instid1(VALU_DEP_1)
	s_or_b32 exec_lo, exec_lo, s2
	s_waitcnt vmcnt(0) lgkmcnt(0)
	v_mul_f32_e32 v0, v104, v0
                                        ; implicit-def: $vgpr95
	v_and_b32_e32 v1, 0x7f800000, v0
	s_delay_alu instid0(VALU_DEP_1) | instskip(NEXT) | instid1(VALU_DEP_1)
	v_cmp_ne_u32_e64 s1, 0x7f800000, v1
	s_and_saveexec_b32 s2, s1
	s_delay_alu instid0(SALU_CYCLE_1)
	s_xor_b32 s1, exec_lo, s2
; %bb.17:                               ;   in Loop: Header=BB458_8 Depth=1
	v_bfe_u32 v1, v0, 16, 1
	s_delay_alu instid0(VALU_DEP_1)
	v_add3_u32 v95, v0, v1, 0x7fff
                                        ; implicit-def: $vgpr0
; %bb.18:                               ;   in Loop: Header=BB458_8 Depth=1
	s_and_not1_saveexec_b32 s2, s1
; %bb.19:                               ;   in Loop: Header=BB458_8 Depth=1
	v_and_b32_e32 v1, 0xffff, v0
	v_or_b32_e32 v2, 0x10000, v0
	s_delay_alu instid0(VALU_DEP_2) | instskip(NEXT) | instid1(VALU_DEP_1)
	v_cmp_eq_u32_e64 s1, 0, v1
	v_cndmask_b32_e64 v95, v2, v0, s1
; %bb.20:                               ;   in Loop: Header=BB458_8 Depth=1
	s_or_b32 exec_lo, exec_lo, s2
	v_lshrrev_b16 v1, 8, v30
	v_mov_b32_e32 v0, 0
	s_mov_b32 s2, exec_lo
	s_delay_alu instid0(VALU_DEP_2)
	v_cmpx_ne_u16_e32 0, v1
	s_cbranch_execz .LBB458_28
; %bb.21:                               ;   in Loop: Header=BB458_8 Depth=1
	v_bfrev_b32_e32 v0, 1
	s_mov_b32 s18, exec_lo
	v_cmpx_ne_u16_e32 0x80, v1
	s_cbranch_execz .LBB458_27
; %bb.22:                               ;   in Loop: Header=BB458_8 Depth=1
	v_and_b32_e32 v2, 0xffff, v1
	v_mov_b32_e32 v0, 0x7f800001
	s_mov_b32 s19, exec_lo
	s_delay_alu instid0(VALU_DEP_2) | instskip(NEXT) | instid1(VALU_DEP_1)
	v_and_b32_e32 v1, 0x7f, v2
	v_cmpx_ne_u32_e32 0x7f, v1
	s_cbranch_execz .LBB458_26
; %bb.23:                               ;   in Loop: Header=BB458_8 Depth=1
	v_and_b32_e32 v18, 7, v2
	v_lshrrev_b32_e32 v0, 3, v1
	s_mov_b32 s20, exec_lo
	v_cmpx_gt_u32_e32 8, v1
; %bb.24:                               ;   in Loop: Header=BB458_8 Depth=1
	s_delay_alu instid0(VALU_DEP_3) | instskip(NEXT) | instid1(VALU_DEP_1)
	v_clz_i32_u32_e32 v0, v18
	v_min_u32_e32 v0, 32, v0
	s_delay_alu instid0(VALU_DEP_1) | instskip(SKIP_1) | instid1(VALU_DEP_2)
	v_subrev_nc_u32_e32 v1, 28, v0
	v_sub_nc_u32_e32 v0, 29, v0
	v_lshlrev_b64 v[1:2], v1, v[18:19]
	s_delay_alu instid0(VALU_DEP_1)
	v_and_b32_e32 v18, 7, v1
; %bb.25:                               ;   in Loop: Header=BB458_8 Depth=1
	s_or_b32 exec_lo, exec_lo, s20
	v_lshlrev_b32_e32 v1, 16, v30
	s_delay_alu instid0(VALU_DEP_2) | instskip(SKIP_1) | instid1(VALU_DEP_3)
	v_lshlrev_b32_e32 v2, 20, v18
	v_lshl_add_u32 v0, v0, 23, 0x3c000000
	v_and_b32_e32 v1, 0x80000000, v1
	s_delay_alu instid0(VALU_DEP_1)
	v_or3_b32 v0, v2, v1, v0
.LBB458_26:                             ;   in Loop: Header=BB458_8 Depth=1
	s_or_b32 exec_lo, exec_lo, s19
.LBB458_27:                             ;   in Loop: Header=BB458_8 Depth=1
	s_delay_alu instid0(SALU_CYCLE_1)
	s_or_b32 exec_lo, exec_lo, s18
.LBB458_28:                             ;   in Loop: Header=BB458_8 Depth=1
	s_delay_alu instid0(SALU_CYCLE_1) | instskip(NEXT) | instid1(VALU_DEP_1)
	s_or_b32 exec_lo, exec_lo, s2
	v_mul_f32_e32 v0, v104, v0
                                        ; implicit-def: $vgpr105
	s_delay_alu instid0(VALU_DEP_1) | instskip(NEXT) | instid1(VALU_DEP_1)
	v_and_b32_e32 v1, 0x7f800000, v0
	v_cmp_ne_u32_e64 s1, 0x7f800000, v1
	s_delay_alu instid0(VALU_DEP_1) | instskip(NEXT) | instid1(SALU_CYCLE_1)
	s_and_saveexec_b32 s2, s1
	s_xor_b32 s1, exec_lo, s2
; %bb.29:                               ;   in Loop: Header=BB458_8 Depth=1
	v_bfe_u32 v1, v0, 16, 1
	s_delay_alu instid0(VALU_DEP_1)
	v_add3_u32 v105, v0, v1, 0x7fff
                                        ; implicit-def: $vgpr0
; %bb.30:                               ;   in Loop: Header=BB458_8 Depth=1
	s_and_not1_saveexec_b32 s2, s1
; %bb.31:                               ;   in Loop: Header=BB458_8 Depth=1
	v_and_b32_e32 v1, 0xffff, v0
	v_or_b32_e32 v2, 0x10000, v0
	s_delay_alu instid0(VALU_DEP_2) | instskip(NEXT) | instid1(VALU_DEP_1)
	v_cmp_eq_u32_e64 s1, 0, v1
	v_cndmask_b32_e64 v105, v2, v0, s1
; %bb.32:                               ;   in Loop: Header=BB458_8 Depth=1
	s_or_b32 exec_lo, exec_lo, s2
	v_lshrrev_b32_e32 v0, 16, v30
	s_mov_b32 s2, exec_lo
	s_delay_alu instid0(VALU_DEP_1) | instskip(NEXT) | instid1(VALU_DEP_1)
	v_dual_mov_b32 v1, 0 :: v_dual_and_b32 v2, 0xff, v0
	v_cmpx_ne_u16_e32 0, v2
	s_cbranch_execz .LBB458_40
; %bb.33:                               ;   in Loop: Header=BB458_8 Depth=1
	v_bfrev_b32_e32 v1, 1
	s_mov_b32 s18, exec_lo
	v_cmpx_ne_u16_e32 0x80, v2
	s_cbranch_execz .LBB458_39
; %bb.34:                               ;   in Loop: Header=BB458_8 Depth=1
	v_bfe_u32 v2, v30, 16, 7
	v_mov_b32_e32 v1, 0x7f800001
	s_mov_b32 s19, exec_lo
	s_delay_alu instid0(VALU_DEP_2)
	v_cmpx_ne_u32_e32 0x7f, v2
	s_cbranch_execz .LBB458_38
; %bb.35:                               ;   in Loop: Header=BB458_8 Depth=1
	v_and_b32_e32 v18, 7, v0
	v_lshrrev_b32_e32 v1, 3, v2
	s_mov_b32 s20, exec_lo
	v_cmpx_gt_u32_e32 8, v2
; %bb.36:                               ;   in Loop: Header=BB458_8 Depth=1
	s_delay_alu instid0(VALU_DEP_3) | instskip(NEXT) | instid1(VALU_DEP_1)
	v_clz_i32_u32_e32 v1, v18
	v_min_u32_e32 v1, 32, v1
	s_delay_alu instid0(VALU_DEP_1) | instskip(SKIP_1) | instid1(VALU_DEP_2)
	v_subrev_nc_u32_e32 v2, 28, v1
	v_sub_nc_u32_e32 v1, 29, v1
	v_lshlrev_b64 v[2:3], v2, v[18:19]
	s_delay_alu instid0(VALU_DEP_1)
	v_and_b32_e32 v18, 7, v2
; %bb.37:                               ;   in Loop: Header=BB458_8 Depth=1
	s_or_b32 exec_lo, exec_lo, s20
	v_lshlrev_b32_e32 v0, 24, v0
	s_delay_alu instid0(VALU_DEP_2) | instskip(SKIP_1) | instid1(VALU_DEP_3)
	v_lshlrev_b32_e32 v2, 20, v18
	v_lshl_add_u32 v1, v1, 23, 0x3c000000
	v_and_b32_e32 v0, 0x80000000, v0
	s_delay_alu instid0(VALU_DEP_1)
	v_or3_b32 v1, v2, v0, v1
.LBB458_38:                             ;   in Loop: Header=BB458_8 Depth=1
	s_or_b32 exec_lo, exec_lo, s19
.LBB458_39:                             ;   in Loop: Header=BB458_8 Depth=1
	s_delay_alu instid0(SALU_CYCLE_1)
	s_or_b32 exec_lo, exec_lo, s18
.LBB458_40:                             ;   in Loop: Header=BB458_8 Depth=1
	s_delay_alu instid0(SALU_CYCLE_1) | instskip(NEXT) | instid1(VALU_DEP_1)
	s_or_b32 exec_lo, exec_lo, s2
	v_mul_f32_e32 v0, v104, v1
                                        ; implicit-def: $vgpr106
	s_delay_alu instid0(VALU_DEP_1) | instskip(NEXT) | instid1(VALU_DEP_1)
	v_and_b32_e32 v1, 0x7f800000, v0
	v_cmp_ne_u32_e64 s1, 0x7f800000, v1
	s_delay_alu instid0(VALU_DEP_1) | instskip(NEXT) | instid1(SALU_CYCLE_1)
	s_and_saveexec_b32 s2, s1
	s_xor_b32 s1, exec_lo, s2
; %bb.41:                               ;   in Loop: Header=BB458_8 Depth=1
	v_bfe_u32 v1, v0, 16, 1
	s_delay_alu instid0(VALU_DEP_1)
	v_add3_u32 v106, v0, v1, 0x7fff
                                        ; implicit-def: $vgpr0
; %bb.42:                               ;   in Loop: Header=BB458_8 Depth=1
	s_and_not1_saveexec_b32 s2, s1
; %bb.43:                               ;   in Loop: Header=BB458_8 Depth=1
	v_and_b32_e32 v1, 0xffff, v0
	v_or_b32_e32 v2, 0x10000, v0
	s_delay_alu instid0(VALU_DEP_2) | instskip(NEXT) | instid1(VALU_DEP_1)
	v_cmp_eq_u32_e64 s1, 0, v1
	v_cndmask_b32_e64 v106, v2, v0, s1
; %bb.44:                               ;   in Loop: Header=BB458_8 Depth=1
	s_or_b32 exec_lo, exec_lo, s2
	v_mov_b32_e32 v1, 0
	s_mov_b32 s2, exec_lo
	v_cmpx_lt_u32_e32 0xffffff, v30
	s_cbranch_execz .LBB458_52
; %bb.45:                               ;   in Loop: Header=BB458_8 Depth=1
	v_lshrrev_b32_e32 v0, 24, v30
	v_bfrev_b32_e32 v1, 1
	s_mov_b32 s18, exec_lo
	s_delay_alu instid0(VALU_DEP_2)
	v_cmpx_ne_u32_e32 0x80, v0
	s_cbranch_execz .LBB458_51
; %bb.46:                               ;   in Loop: Header=BB458_8 Depth=1
	v_bfe_u32 v2, v30, 24, 7
	v_mov_b32_e32 v1, 0x7f800001
	s_mov_b32 s19, exec_lo
	s_delay_alu instid0(VALU_DEP_2)
	v_cmpx_ne_u32_e32 0x7f, v2
	s_cbranch_execz .LBB458_50
; %bb.47:                               ;   in Loop: Header=BB458_8 Depth=1
	v_and_b32_e32 v18, 7, v0
	v_lshrrev_b32_e32 v1, 3, v2
	s_mov_b32 s20, exec_lo
	v_cmpx_gt_u32_e32 8, v2
; %bb.48:                               ;   in Loop: Header=BB458_8 Depth=1
	s_delay_alu instid0(VALU_DEP_3) | instskip(NEXT) | instid1(VALU_DEP_1)
	v_clz_i32_u32_e32 v1, v18
	v_min_u32_e32 v1, 32, v1
	s_delay_alu instid0(VALU_DEP_1) | instskip(SKIP_1) | instid1(VALU_DEP_2)
	v_subrev_nc_u32_e32 v2, 28, v1
	v_sub_nc_u32_e32 v1, 29, v1
	v_lshlrev_b64 v[2:3], v2, v[18:19]
	s_delay_alu instid0(VALU_DEP_1)
	v_and_b32_e32 v18, 7, v2
; %bb.49:                               ;   in Loop: Header=BB458_8 Depth=1
	s_or_b32 exec_lo, exec_lo, s20
	v_lshlrev_b32_e32 v0, 24, v0
	s_delay_alu instid0(VALU_DEP_2) | instskip(SKIP_1) | instid1(VALU_DEP_3)
	v_lshlrev_b32_e32 v2, 20, v18
	v_lshl_add_u32 v1, v1, 23, 0x3c000000
	v_and_b32_e32 v0, 0x80000000, v0
	s_delay_alu instid0(VALU_DEP_1)
	v_or3_b32 v1, v2, v0, v1
.LBB458_50:                             ;   in Loop: Header=BB458_8 Depth=1
	s_or_b32 exec_lo, exec_lo, s19
.LBB458_51:                             ;   in Loop: Header=BB458_8 Depth=1
	s_delay_alu instid0(SALU_CYCLE_1)
	s_or_b32 exec_lo, exec_lo, s18
.LBB458_52:                             ;   in Loop: Header=BB458_8 Depth=1
	s_delay_alu instid0(SALU_CYCLE_1) | instskip(NEXT) | instid1(VALU_DEP_1)
	s_or_b32 exec_lo, exec_lo, s2
	v_mul_f32_e32 v0, v104, v1
                                        ; implicit-def: $vgpr107
	s_delay_alu instid0(VALU_DEP_1) | instskip(NEXT) | instid1(VALU_DEP_1)
	v_and_b32_e32 v1, 0x7f800000, v0
	v_cmp_ne_u32_e64 s1, 0x7f800000, v1
	s_delay_alu instid0(VALU_DEP_1) | instskip(NEXT) | instid1(SALU_CYCLE_1)
	s_and_saveexec_b32 s2, s1
	s_xor_b32 s1, exec_lo, s2
; %bb.53:                               ;   in Loop: Header=BB458_8 Depth=1
	v_bfe_u32 v1, v0, 16, 1
	s_delay_alu instid0(VALU_DEP_1)
	v_add3_u32 v107, v0, v1, 0x7fff
                                        ; implicit-def: $vgpr0
; %bb.54:                               ;   in Loop: Header=BB458_8 Depth=1
	s_and_not1_saveexec_b32 s2, s1
; %bb.55:                               ;   in Loop: Header=BB458_8 Depth=1
	v_and_b32_e32 v1, 0xffff, v0
	v_or_b32_e32 v2, 0x10000, v0
	s_delay_alu instid0(VALU_DEP_2) | instskip(NEXT) | instid1(VALU_DEP_1)
	v_cmp_eq_u32_e64 s1, 0, v1
	v_cndmask_b32_e64 v107, v2, v0, s1
; %bb.56:                               ;   in Loop: Header=BB458_8 Depth=1
	s_or_b32 exec_lo, exec_lo, s2
	v_dual_mov_b32 v18, v31 :: v_dual_and_b32 v1, 0xff, v31
	v_mov_b32_e32 v0, 0
	s_mov_b32 s2, exec_lo
	s_delay_alu instid0(VALU_DEP_2)
	v_cmpx_ne_u16_e32 0, v1
	s_cbranch_execz .LBB458_64
; %bb.57:                               ;   in Loop: Header=BB458_8 Depth=1
	v_bfrev_b32_e32 v0, 1
	s_mov_b32 s18, exec_lo
	v_cmpx_ne_u16_e32 0x80, v1
	s_cbranch_execz .LBB458_63
; %bb.58:                               ;   in Loop: Header=BB458_8 Depth=1
	v_and_b32_e32 v1, 0x7f, v31
	v_mov_b32_e32 v0, 0x7f800001
	s_mov_b32 s19, exec_lo
	s_delay_alu instid0(VALU_DEP_2)
	v_cmpx_ne_u32_e32 0x7f, v1
	s_cbranch_execz .LBB458_62
; %bb.59:                               ;   in Loop: Header=BB458_8 Depth=1
	v_lshrrev_b32_e32 v0, 3, v1
	v_dual_mov_b32 v33, v19 :: v_dual_mov_b32 v32, v18
	s_mov_b32 s20, exec_lo
	v_cmpx_gt_u32_e32 8, v1
; %bb.60:                               ;   in Loop: Header=BB458_8 Depth=1
	v_and_b32_e32 v0, 7, v31
	s_delay_alu instid0(VALU_DEP_1) | instskip(NEXT) | instid1(VALU_DEP_1)
	v_clz_i32_u32_e32 v0, v0
	v_min_u32_e32 v0, 32, v0
	s_delay_alu instid0(VALU_DEP_1) | instskip(SKIP_1) | instid1(VALU_DEP_2)
	v_subrev_nc_u32_e32 v1, 28, v0
	v_sub_nc_u32_e32 v0, 29, v0
	v_lshlrev_b64 v[32:33], v1, v[18:19]
; %bb.61:                               ;   in Loop: Header=BB458_8 Depth=1
	s_or_b32 exec_lo, exec_lo, s20
	s_delay_alu instid0(VALU_DEP_1) | instskip(SKIP_2) | instid1(VALU_DEP_3)
	v_lshlrev_b32_e32 v1, 20, v32
	v_lshlrev_b32_e32 v2, 24, v18
	v_lshl_add_u32 v0, v0, 23, 0x3c000000
	v_and_b32_e32 v1, 0x700000, v1
	s_delay_alu instid0(VALU_DEP_3) | instskip(NEXT) | instid1(VALU_DEP_1)
	v_and_b32_e32 v2, 0x80000000, v2
	v_or3_b32 v0, v1, v2, v0
.LBB458_62:                             ;   in Loop: Header=BB458_8 Depth=1
	s_or_b32 exec_lo, exec_lo, s19
.LBB458_63:                             ;   in Loop: Header=BB458_8 Depth=1
	s_delay_alu instid0(SALU_CYCLE_1)
	s_or_b32 exec_lo, exec_lo, s18
.LBB458_64:                             ;   in Loop: Header=BB458_8 Depth=1
	s_delay_alu instid0(SALU_CYCLE_1) | instskip(NEXT) | instid1(VALU_DEP_1)
	s_or_b32 exec_lo, exec_lo, s2
	v_mul_f32_e32 v0, v104, v0
                                        ; implicit-def: $vgpr108
	s_delay_alu instid0(VALU_DEP_1) | instskip(NEXT) | instid1(VALU_DEP_1)
	v_and_b32_e32 v1, 0x7f800000, v0
	v_cmp_ne_u32_e64 s1, 0x7f800000, v1
	s_delay_alu instid0(VALU_DEP_1) | instskip(NEXT) | instid1(SALU_CYCLE_1)
	s_and_saveexec_b32 s2, s1
	s_xor_b32 s1, exec_lo, s2
; %bb.65:                               ;   in Loop: Header=BB458_8 Depth=1
	v_bfe_u32 v1, v0, 16, 1
	s_delay_alu instid0(VALU_DEP_1)
	v_add3_u32 v108, v0, v1, 0x7fff
                                        ; implicit-def: $vgpr0
; %bb.66:                               ;   in Loop: Header=BB458_8 Depth=1
	s_and_not1_saveexec_b32 s2, s1
; %bb.67:                               ;   in Loop: Header=BB458_8 Depth=1
	v_and_b32_e32 v1, 0xffff, v0
	v_or_b32_e32 v2, 0x10000, v0
	s_delay_alu instid0(VALU_DEP_2) | instskip(NEXT) | instid1(VALU_DEP_1)
	v_cmp_eq_u32_e64 s1, 0, v1
	v_cndmask_b32_e64 v108, v2, v0, s1
; %bb.68:                               ;   in Loop: Header=BB458_8 Depth=1
	s_or_b32 exec_lo, exec_lo, s2
	v_lshrrev_b16 v1, 8, v18
	v_mov_b32_e32 v0, 0
	s_mov_b32 s2, exec_lo
	s_delay_alu instid0(VALU_DEP_2)
	v_cmpx_ne_u16_e32 0, v1
	s_cbranch_execz .LBB458_76
; %bb.69:                               ;   in Loop: Header=BB458_8 Depth=1
	v_bfrev_b32_e32 v0, 1
	s_mov_b32 s18, exec_lo
	v_cmpx_ne_u16_e32 0x80, v1
	s_cbranch_execz .LBB458_75
; %bb.70:                               ;   in Loop: Header=BB458_8 Depth=1
	v_and_b32_e32 v2, 0xffff, v1
	v_mov_b32_e32 v0, 0x7f800001
	s_mov_b32 s19, exec_lo
	s_delay_alu instid0(VALU_DEP_2) | instskip(NEXT) | instid1(VALU_DEP_1)
	v_and_b32_e32 v1, 0x7f, v2
	v_cmpx_ne_u32_e32 0x7f, v1
	s_cbranch_execz .LBB458_74
; %bb.71:                               ;   in Loop: Header=BB458_8 Depth=1
	v_dual_mov_b32 v33, v19 :: v_dual_and_b32 v32, 7, v2
	v_lshrrev_b32_e32 v0, 3, v1
	s_mov_b32 s20, exec_lo
	v_cmpx_gt_u32_e32 8, v1
; %bb.72:                               ;   in Loop: Header=BB458_8 Depth=1
	s_delay_alu instid0(VALU_DEP_3) | instskip(NEXT) | instid1(VALU_DEP_1)
	v_clz_i32_u32_e32 v0, v32
	v_min_u32_e32 v0, 32, v0
	s_delay_alu instid0(VALU_DEP_1) | instskip(SKIP_1) | instid1(VALU_DEP_2)
	v_subrev_nc_u32_e32 v1, 28, v0
	v_sub_nc_u32_e32 v0, 29, v0
	v_lshlrev_b64 v[1:2], v1, v[32:33]
	s_delay_alu instid0(VALU_DEP_1)
	v_and_b32_e32 v32, 7, v1
; %bb.73:                               ;   in Loop: Header=BB458_8 Depth=1
	s_or_b32 exec_lo, exec_lo, s20
	v_lshlrev_b32_e32 v1, 16, v18
	s_delay_alu instid0(VALU_DEP_2) | instskip(SKIP_1) | instid1(VALU_DEP_3)
	v_lshlrev_b32_e32 v2, 20, v32
	v_lshl_add_u32 v0, v0, 23, 0x3c000000
	v_and_b32_e32 v1, 0x80000000, v1
	s_delay_alu instid0(VALU_DEP_1)
	v_or3_b32 v0, v2, v1, v0
.LBB458_74:                             ;   in Loop: Header=BB458_8 Depth=1
	s_or_b32 exec_lo, exec_lo, s19
.LBB458_75:                             ;   in Loop: Header=BB458_8 Depth=1
	s_delay_alu instid0(SALU_CYCLE_1)
	s_or_b32 exec_lo, exec_lo, s18
.LBB458_76:                             ;   in Loop: Header=BB458_8 Depth=1
	s_delay_alu instid0(SALU_CYCLE_1) | instskip(NEXT) | instid1(VALU_DEP_1)
	s_or_b32 exec_lo, exec_lo, s2
	v_mul_f32_e32 v0, v104, v0
                                        ; implicit-def: $vgpr109
	s_delay_alu instid0(VALU_DEP_1) | instskip(NEXT) | instid1(VALU_DEP_1)
	v_and_b32_e32 v1, 0x7f800000, v0
	v_cmp_ne_u32_e64 s1, 0x7f800000, v1
	s_delay_alu instid0(VALU_DEP_1) | instskip(NEXT) | instid1(SALU_CYCLE_1)
	s_and_saveexec_b32 s2, s1
	s_xor_b32 s1, exec_lo, s2
; %bb.77:                               ;   in Loop: Header=BB458_8 Depth=1
	v_bfe_u32 v1, v0, 16, 1
	s_delay_alu instid0(VALU_DEP_1)
	v_add3_u32 v109, v0, v1, 0x7fff
                                        ; implicit-def: $vgpr0
; %bb.78:                               ;   in Loop: Header=BB458_8 Depth=1
	s_and_not1_saveexec_b32 s2, s1
; %bb.79:                               ;   in Loop: Header=BB458_8 Depth=1
	v_and_b32_e32 v1, 0xffff, v0
	v_or_b32_e32 v2, 0x10000, v0
	s_delay_alu instid0(VALU_DEP_2) | instskip(NEXT) | instid1(VALU_DEP_1)
	v_cmp_eq_u32_e64 s1, 0, v1
	v_cndmask_b32_e64 v109, v2, v0, s1
; %bb.80:                               ;   in Loop: Header=BB458_8 Depth=1
	s_or_b32 exec_lo, exec_lo, s2
	v_lshrrev_b32_e32 v0, 16, v31
	s_mov_b32 s2, exec_lo
	s_delay_alu instid0(VALU_DEP_1) | instskip(NEXT) | instid1(VALU_DEP_1)
	v_dual_mov_b32 v1, 0 :: v_dual_and_b32 v2, 0xff, v0
	v_cmpx_ne_u16_e32 0, v2
	s_cbranch_execz .LBB458_88
; %bb.81:                               ;   in Loop: Header=BB458_8 Depth=1
	v_bfrev_b32_e32 v1, 1
	s_mov_b32 s18, exec_lo
	v_cmpx_ne_u16_e32 0x80, v2
	s_cbranch_execz .LBB458_87
; %bb.82:                               ;   in Loop: Header=BB458_8 Depth=1
	v_bfe_u32 v2, v31, 16, 7
	v_mov_b32_e32 v1, 0x7f800001
	s_mov_b32 s19, exec_lo
	s_delay_alu instid0(VALU_DEP_2)
	v_cmpx_ne_u32_e32 0x7f, v2
	s_cbranch_execz .LBB458_86
; %bb.83:                               ;   in Loop: Header=BB458_8 Depth=1
	v_and_b32_e32 v18, 7, v0
	v_lshrrev_b32_e32 v1, 3, v2
	s_mov_b32 s20, exec_lo
	v_cmpx_gt_u32_e32 8, v2
; %bb.84:                               ;   in Loop: Header=BB458_8 Depth=1
	s_delay_alu instid0(VALU_DEP_3) | instskip(NEXT) | instid1(VALU_DEP_1)
	v_clz_i32_u32_e32 v1, v18
	v_min_u32_e32 v1, 32, v1
	s_delay_alu instid0(VALU_DEP_1) | instskip(SKIP_1) | instid1(VALU_DEP_2)
	v_subrev_nc_u32_e32 v2, 28, v1
	v_sub_nc_u32_e32 v1, 29, v1
	v_lshlrev_b64 v[2:3], v2, v[18:19]
	s_delay_alu instid0(VALU_DEP_1)
	v_and_b32_e32 v18, 7, v2
; %bb.85:                               ;   in Loop: Header=BB458_8 Depth=1
	s_or_b32 exec_lo, exec_lo, s20
	v_lshlrev_b32_e32 v0, 24, v0
	s_delay_alu instid0(VALU_DEP_2) | instskip(SKIP_1) | instid1(VALU_DEP_3)
	v_lshlrev_b32_e32 v2, 20, v18
	v_lshl_add_u32 v1, v1, 23, 0x3c000000
	v_and_b32_e32 v0, 0x80000000, v0
	s_delay_alu instid0(VALU_DEP_1)
	v_or3_b32 v1, v2, v0, v1
.LBB458_86:                             ;   in Loop: Header=BB458_8 Depth=1
	s_or_b32 exec_lo, exec_lo, s19
.LBB458_87:                             ;   in Loop: Header=BB458_8 Depth=1
	s_delay_alu instid0(SALU_CYCLE_1)
	s_or_b32 exec_lo, exec_lo, s18
.LBB458_88:                             ;   in Loop: Header=BB458_8 Depth=1
	s_delay_alu instid0(SALU_CYCLE_1) | instskip(NEXT) | instid1(VALU_DEP_1)
	s_or_b32 exec_lo, exec_lo, s2
	v_mul_f32_e32 v0, v104, v1
                                        ; implicit-def: $vgpr110
	s_delay_alu instid0(VALU_DEP_1) | instskip(NEXT) | instid1(VALU_DEP_1)
	v_and_b32_e32 v1, 0x7f800000, v0
	v_cmp_ne_u32_e64 s1, 0x7f800000, v1
	s_delay_alu instid0(VALU_DEP_1) | instskip(NEXT) | instid1(SALU_CYCLE_1)
	s_and_saveexec_b32 s2, s1
	s_xor_b32 s1, exec_lo, s2
; %bb.89:                               ;   in Loop: Header=BB458_8 Depth=1
	v_bfe_u32 v1, v0, 16, 1
	s_delay_alu instid0(VALU_DEP_1)
	v_add3_u32 v110, v0, v1, 0x7fff
                                        ; implicit-def: $vgpr0
; %bb.90:                               ;   in Loop: Header=BB458_8 Depth=1
	s_and_not1_saveexec_b32 s2, s1
; %bb.91:                               ;   in Loop: Header=BB458_8 Depth=1
	v_and_b32_e32 v1, 0xffff, v0
	v_or_b32_e32 v2, 0x10000, v0
	s_delay_alu instid0(VALU_DEP_2) | instskip(NEXT) | instid1(VALU_DEP_1)
	v_cmp_eq_u32_e64 s1, 0, v1
	v_cndmask_b32_e64 v110, v2, v0, s1
; %bb.92:                               ;   in Loop: Header=BB458_8 Depth=1
	s_or_b32 exec_lo, exec_lo, s2
	v_mov_b32_e32 v1, 0
	s_mov_b32 s2, exec_lo
	v_cmpx_lt_u64_e64 s[8:9], v[30:31]
	s_cbranch_execz .LBB458_100
; %bb.93:                               ;   in Loop: Header=BB458_8 Depth=1
	v_lshrrev_b32_e32 v0, 24, v31
	v_bfrev_b32_e32 v1, 1
	s_mov_b32 s18, exec_lo
	s_delay_alu instid0(VALU_DEP_2)
	v_cmpx_ne_u32_e32 0x80, v0
	s_cbranch_execz .LBB458_99
; %bb.94:                               ;   in Loop: Header=BB458_8 Depth=1
	v_bfe_u32 v2, v31, 24, 7
	v_mov_b32_e32 v1, 0x7f800001
	s_mov_b32 s19, exec_lo
	s_delay_alu instid0(VALU_DEP_2)
	v_cmpx_ne_u32_e32 0x7f, v2
	s_cbranch_execz .LBB458_98
; %bb.95:                               ;   in Loop: Header=BB458_8 Depth=1
	v_and_b32_e32 v18, 7, v0
	v_lshrrev_b32_e32 v1, 3, v2
	s_mov_b32 s20, exec_lo
	v_cmpx_gt_u32_e32 8, v2
; %bb.96:                               ;   in Loop: Header=BB458_8 Depth=1
	s_delay_alu instid0(VALU_DEP_3) | instskip(NEXT) | instid1(VALU_DEP_1)
	v_clz_i32_u32_e32 v1, v18
	v_min_u32_e32 v1, 32, v1
	s_delay_alu instid0(VALU_DEP_1) | instskip(SKIP_1) | instid1(VALU_DEP_2)
	v_subrev_nc_u32_e32 v2, 28, v1
	v_sub_nc_u32_e32 v1, 29, v1
	v_lshlrev_b64 v[2:3], v2, v[18:19]
	s_delay_alu instid0(VALU_DEP_1)
	v_and_b32_e32 v18, 7, v2
; %bb.97:                               ;   in Loop: Header=BB458_8 Depth=1
	s_or_b32 exec_lo, exec_lo, s20
	v_lshlrev_b32_e32 v0, 24, v0
	s_delay_alu instid0(VALU_DEP_2) | instskip(SKIP_1) | instid1(VALU_DEP_3)
	v_lshlrev_b32_e32 v2, 20, v18
	v_lshl_add_u32 v1, v1, 23, 0x3c000000
	v_and_b32_e32 v0, 0x80000000, v0
	s_delay_alu instid0(VALU_DEP_1)
	v_or3_b32 v1, v2, v0, v1
.LBB458_98:                             ;   in Loop: Header=BB458_8 Depth=1
	s_or_b32 exec_lo, exec_lo, s19
.LBB458_99:                             ;   in Loop: Header=BB458_8 Depth=1
	s_delay_alu instid0(SALU_CYCLE_1)
	s_or_b32 exec_lo, exec_lo, s18
.LBB458_100:                            ;   in Loop: Header=BB458_8 Depth=1
	s_delay_alu instid0(SALU_CYCLE_1) | instskip(NEXT) | instid1(VALU_DEP_1)
	s_or_b32 exec_lo, exec_lo, s2
	v_mul_f32_e32 v0, v104, v1
                                        ; implicit-def: $vgpr111
	s_delay_alu instid0(VALU_DEP_1) | instskip(NEXT) | instid1(VALU_DEP_1)
	v_and_b32_e32 v1, 0x7f800000, v0
	v_cmp_ne_u32_e64 s1, 0x7f800000, v1
	s_delay_alu instid0(VALU_DEP_1) | instskip(NEXT) | instid1(SALU_CYCLE_1)
	s_and_saveexec_b32 s2, s1
	s_xor_b32 s1, exec_lo, s2
; %bb.101:                              ;   in Loop: Header=BB458_8 Depth=1
	v_bfe_u32 v1, v0, 16, 1
	s_delay_alu instid0(VALU_DEP_1)
	v_add3_u32 v111, v0, v1, 0x7fff
                                        ; implicit-def: $vgpr0
; %bb.102:                              ;   in Loop: Header=BB458_8 Depth=1
	s_and_not1_saveexec_b32 s2, s1
; %bb.103:                              ;   in Loop: Header=BB458_8 Depth=1
	v_and_b32_e32 v1, 0xffff, v0
	v_or_b32_e32 v2, 0x10000, v0
	s_delay_alu instid0(VALU_DEP_2) | instskip(NEXT) | instid1(VALU_DEP_1)
	v_cmp_eq_u32_e64 s1, 0, v1
	v_cndmask_b32_e64 v111, v2, v0, s1
; %bb.104:                              ;   in Loop: Header=BB458_8 Depth=1
	s_or_b32 exec_lo, exec_lo, s2
	flat_load_b64 v[30:31], v[28:29] offset:8
	s_mov_b32 s2, exec_lo
	s_waitcnt vmcnt(0) lgkmcnt(0)
	v_dual_mov_b32 v0, 0 :: v_dual_and_b32 v1, 0xff, v30
	s_delay_alu instid0(VALU_DEP_1)
	v_cmpx_ne_u16_e32 0, v1
	s_cbranch_execz .LBB458_112
; %bb.105:                              ;   in Loop: Header=BB458_8 Depth=1
	v_bfrev_b32_e32 v0, 1
	s_mov_b32 s18, exec_lo
	v_cmpx_ne_u16_e32 0x80, v1
	s_cbranch_execz .LBB458_111
; %bb.106:                              ;   in Loop: Header=BB458_8 Depth=1
	v_and_b32_e32 v1, 0x7f, v30
	v_mov_b32_e32 v0, 0x7f800001
	s_mov_b32 s19, exec_lo
	s_delay_alu instid0(VALU_DEP_2)
	v_cmpx_ne_u32_e32 0x7f, v1
	s_cbranch_execz .LBB458_110
; %bb.107:                              ;   in Loop: Header=BB458_8 Depth=1
	v_lshrrev_b32_e32 v0, 3, v1
	v_dual_mov_b32 v33, v31 :: v_dual_mov_b32 v32, v30
	s_mov_b32 s20, exec_lo
	v_cmpx_gt_u32_e32 8, v1
; %bb.108:                              ;   in Loop: Header=BB458_8 Depth=1
	v_and_b32_e32 v0, 7, v30
	s_delay_alu instid0(VALU_DEP_1) | instskip(NEXT) | instid1(VALU_DEP_1)
	v_clz_i32_u32_e32 v0, v0
	v_min_u32_e32 v0, 32, v0
	s_delay_alu instid0(VALU_DEP_1) | instskip(SKIP_1) | instid1(VALU_DEP_2)
	v_subrev_nc_u32_e32 v1, 28, v0
	v_sub_nc_u32_e32 v0, 29, v0
	v_lshlrev_b64 v[32:33], v1, v[30:31]
; %bb.109:                              ;   in Loop: Header=BB458_8 Depth=1
	s_or_b32 exec_lo, exec_lo, s20
	s_delay_alu instid0(VALU_DEP_1) | instskip(SKIP_2) | instid1(VALU_DEP_3)
	v_lshlrev_b32_e32 v1, 20, v32
	v_lshlrev_b32_e32 v2, 24, v30
	v_lshl_add_u32 v0, v0, 23, 0x3c000000
	v_and_b32_e32 v1, 0x700000, v1
	s_delay_alu instid0(VALU_DEP_3) | instskip(NEXT) | instid1(VALU_DEP_1)
	v_and_b32_e32 v2, 0x80000000, v2
	v_or3_b32 v0, v1, v2, v0
.LBB458_110:                            ;   in Loop: Header=BB458_8 Depth=1
	s_or_b32 exec_lo, exec_lo, s19
.LBB458_111:                            ;   in Loop: Header=BB458_8 Depth=1
	s_delay_alu instid0(SALU_CYCLE_1)
	s_or_b32 exec_lo, exec_lo, s18
.LBB458_112:                            ;   in Loop: Header=BB458_8 Depth=1
	s_delay_alu instid0(SALU_CYCLE_1) | instskip(NEXT) | instid1(VALU_DEP_1)
	s_or_b32 exec_lo, exec_lo, s2
	v_mul_f32_e32 v0, v104, v0
                                        ; implicit-def: $vgpr120
	s_delay_alu instid0(VALU_DEP_1) | instskip(NEXT) | instid1(VALU_DEP_1)
	v_and_b32_e32 v1, 0x7f800000, v0
	v_cmp_ne_u32_e64 s1, 0x7f800000, v1
	s_delay_alu instid0(VALU_DEP_1) | instskip(NEXT) | instid1(SALU_CYCLE_1)
	s_and_saveexec_b32 s2, s1
	s_xor_b32 s1, exec_lo, s2
; %bb.113:                              ;   in Loop: Header=BB458_8 Depth=1
	v_bfe_u32 v1, v0, 16, 1
	s_delay_alu instid0(VALU_DEP_1)
	v_add3_u32 v120, v0, v1, 0x7fff
                                        ; implicit-def: $vgpr0
; %bb.114:                              ;   in Loop: Header=BB458_8 Depth=1
	s_and_not1_saveexec_b32 s2, s1
; %bb.115:                              ;   in Loop: Header=BB458_8 Depth=1
	v_and_b32_e32 v1, 0xffff, v0
	v_or_b32_e32 v2, 0x10000, v0
	s_delay_alu instid0(VALU_DEP_2) | instskip(NEXT) | instid1(VALU_DEP_1)
	v_cmp_eq_u32_e64 s1, 0, v1
	v_cndmask_b32_e64 v120, v2, v0, s1
; %bb.116:                              ;   in Loop: Header=BB458_8 Depth=1
	s_or_b32 exec_lo, exec_lo, s2
	v_lshrrev_b16 v1, 8, v30
	v_mov_b32_e32 v0, 0
	s_mov_b32 s2, exec_lo
	s_delay_alu instid0(VALU_DEP_2)
	v_cmpx_ne_u16_e32 0, v1
	s_cbranch_execz .LBB458_124
; %bb.117:                              ;   in Loop: Header=BB458_8 Depth=1
	v_bfrev_b32_e32 v0, 1
	s_mov_b32 s18, exec_lo
	v_cmpx_ne_u16_e32 0x80, v1
	s_cbranch_execz .LBB458_123
; %bb.118:                              ;   in Loop: Header=BB458_8 Depth=1
	v_and_b32_e32 v2, 0xffff, v1
	v_mov_b32_e32 v0, 0x7f800001
	s_mov_b32 s19, exec_lo
	s_delay_alu instid0(VALU_DEP_2) | instskip(NEXT) | instid1(VALU_DEP_1)
	v_and_b32_e32 v1, 0x7f, v2
	v_cmpx_ne_u32_e32 0x7f, v1
	s_cbranch_execz .LBB458_122
; %bb.119:                              ;   in Loop: Header=BB458_8 Depth=1
	v_and_b32_e32 v18, 7, v2
	v_lshrrev_b32_e32 v0, 3, v1
	s_mov_b32 s20, exec_lo
	v_cmpx_gt_u32_e32 8, v1
; %bb.120:                              ;   in Loop: Header=BB458_8 Depth=1
	s_delay_alu instid0(VALU_DEP_3) | instskip(NEXT) | instid1(VALU_DEP_1)
	v_clz_i32_u32_e32 v0, v18
	v_min_u32_e32 v0, 32, v0
	s_delay_alu instid0(VALU_DEP_1) | instskip(SKIP_1) | instid1(VALU_DEP_2)
	v_subrev_nc_u32_e32 v1, 28, v0
	v_sub_nc_u32_e32 v0, 29, v0
	v_lshlrev_b64 v[1:2], v1, v[18:19]
	s_delay_alu instid0(VALU_DEP_1)
	v_and_b32_e32 v18, 7, v1
; %bb.121:                              ;   in Loop: Header=BB458_8 Depth=1
	s_or_b32 exec_lo, exec_lo, s20
	v_lshlrev_b32_e32 v1, 16, v30
	s_delay_alu instid0(VALU_DEP_2) | instskip(SKIP_1) | instid1(VALU_DEP_3)
	v_lshlrev_b32_e32 v2, 20, v18
	v_lshl_add_u32 v0, v0, 23, 0x3c000000
	v_and_b32_e32 v1, 0x80000000, v1
	s_delay_alu instid0(VALU_DEP_1)
	v_or3_b32 v0, v2, v1, v0
.LBB458_122:                            ;   in Loop: Header=BB458_8 Depth=1
	s_or_b32 exec_lo, exec_lo, s19
.LBB458_123:                            ;   in Loop: Header=BB458_8 Depth=1
	s_delay_alu instid0(SALU_CYCLE_1)
	s_or_b32 exec_lo, exec_lo, s18
.LBB458_124:                            ;   in Loop: Header=BB458_8 Depth=1
	s_delay_alu instid0(SALU_CYCLE_1) | instskip(NEXT) | instid1(VALU_DEP_1)
	s_or_b32 exec_lo, exec_lo, s2
	v_mul_f32_e32 v0, v104, v0
                                        ; implicit-def: $vgpr121
	s_delay_alu instid0(VALU_DEP_1) | instskip(NEXT) | instid1(VALU_DEP_1)
	v_and_b32_e32 v1, 0x7f800000, v0
	v_cmp_ne_u32_e64 s1, 0x7f800000, v1
	s_delay_alu instid0(VALU_DEP_1) | instskip(NEXT) | instid1(SALU_CYCLE_1)
	s_and_saveexec_b32 s2, s1
	s_xor_b32 s1, exec_lo, s2
; %bb.125:                              ;   in Loop: Header=BB458_8 Depth=1
	v_bfe_u32 v1, v0, 16, 1
	s_delay_alu instid0(VALU_DEP_1)
	v_add3_u32 v121, v0, v1, 0x7fff
                                        ; implicit-def: $vgpr0
; %bb.126:                              ;   in Loop: Header=BB458_8 Depth=1
	s_and_not1_saveexec_b32 s2, s1
; %bb.127:                              ;   in Loop: Header=BB458_8 Depth=1
	v_and_b32_e32 v1, 0xffff, v0
	v_or_b32_e32 v2, 0x10000, v0
	s_delay_alu instid0(VALU_DEP_2) | instskip(NEXT) | instid1(VALU_DEP_1)
	v_cmp_eq_u32_e64 s1, 0, v1
	v_cndmask_b32_e64 v121, v2, v0, s1
; %bb.128:                              ;   in Loop: Header=BB458_8 Depth=1
	s_or_b32 exec_lo, exec_lo, s2
	v_lshrrev_b32_e32 v0, 16, v30
	s_mov_b32 s2, exec_lo
	s_delay_alu instid0(VALU_DEP_1) | instskip(NEXT) | instid1(VALU_DEP_1)
	v_dual_mov_b32 v1, 0 :: v_dual_and_b32 v2, 0xff, v0
	v_cmpx_ne_u16_e32 0, v2
	s_cbranch_execz .LBB458_136
; %bb.129:                              ;   in Loop: Header=BB458_8 Depth=1
	v_bfrev_b32_e32 v1, 1
	s_mov_b32 s18, exec_lo
	v_cmpx_ne_u16_e32 0x80, v2
	s_cbranch_execz .LBB458_135
; %bb.130:                              ;   in Loop: Header=BB458_8 Depth=1
	v_bfe_u32 v2, v30, 16, 7
	v_mov_b32_e32 v1, 0x7f800001
	s_mov_b32 s19, exec_lo
	s_delay_alu instid0(VALU_DEP_2)
	v_cmpx_ne_u32_e32 0x7f, v2
	s_cbranch_execz .LBB458_134
; %bb.131:                              ;   in Loop: Header=BB458_8 Depth=1
	v_and_b32_e32 v18, 7, v0
	v_lshrrev_b32_e32 v1, 3, v2
	s_mov_b32 s20, exec_lo
	v_cmpx_gt_u32_e32 8, v2
; %bb.132:                              ;   in Loop: Header=BB458_8 Depth=1
	s_delay_alu instid0(VALU_DEP_3) | instskip(NEXT) | instid1(VALU_DEP_1)
	v_clz_i32_u32_e32 v1, v18
	v_min_u32_e32 v1, 32, v1
	s_delay_alu instid0(VALU_DEP_1) | instskip(SKIP_1) | instid1(VALU_DEP_2)
	v_subrev_nc_u32_e32 v2, 28, v1
	v_sub_nc_u32_e32 v1, 29, v1
	v_lshlrev_b64 v[2:3], v2, v[18:19]
	s_delay_alu instid0(VALU_DEP_1)
	v_and_b32_e32 v18, 7, v2
; %bb.133:                              ;   in Loop: Header=BB458_8 Depth=1
	s_or_b32 exec_lo, exec_lo, s20
	v_lshlrev_b32_e32 v0, 24, v0
	s_delay_alu instid0(VALU_DEP_2) | instskip(SKIP_1) | instid1(VALU_DEP_3)
	v_lshlrev_b32_e32 v2, 20, v18
	v_lshl_add_u32 v1, v1, 23, 0x3c000000
	v_and_b32_e32 v0, 0x80000000, v0
	s_delay_alu instid0(VALU_DEP_1)
	v_or3_b32 v1, v2, v0, v1
.LBB458_134:                            ;   in Loop: Header=BB458_8 Depth=1
	s_or_b32 exec_lo, exec_lo, s19
.LBB458_135:                            ;   in Loop: Header=BB458_8 Depth=1
	s_delay_alu instid0(SALU_CYCLE_1)
	s_or_b32 exec_lo, exec_lo, s18
.LBB458_136:                            ;   in Loop: Header=BB458_8 Depth=1
	s_delay_alu instid0(SALU_CYCLE_1) | instskip(NEXT) | instid1(VALU_DEP_1)
	s_or_b32 exec_lo, exec_lo, s2
	v_mul_f32_e32 v0, v104, v1
                                        ; implicit-def: $vgpr122
	s_delay_alu instid0(VALU_DEP_1) | instskip(NEXT) | instid1(VALU_DEP_1)
	v_and_b32_e32 v1, 0x7f800000, v0
	v_cmp_ne_u32_e64 s1, 0x7f800000, v1
	s_delay_alu instid0(VALU_DEP_1) | instskip(NEXT) | instid1(SALU_CYCLE_1)
	s_and_saveexec_b32 s2, s1
	s_xor_b32 s1, exec_lo, s2
; %bb.137:                              ;   in Loop: Header=BB458_8 Depth=1
	v_bfe_u32 v1, v0, 16, 1
	s_delay_alu instid0(VALU_DEP_1)
	v_add3_u32 v122, v0, v1, 0x7fff
                                        ; implicit-def: $vgpr0
; %bb.138:                              ;   in Loop: Header=BB458_8 Depth=1
	s_and_not1_saveexec_b32 s2, s1
; %bb.139:                              ;   in Loop: Header=BB458_8 Depth=1
	v_and_b32_e32 v1, 0xffff, v0
	v_or_b32_e32 v2, 0x10000, v0
	s_delay_alu instid0(VALU_DEP_2) | instskip(NEXT) | instid1(VALU_DEP_1)
	v_cmp_eq_u32_e64 s1, 0, v1
	v_cndmask_b32_e64 v122, v2, v0, s1
; %bb.140:                              ;   in Loop: Header=BB458_8 Depth=1
	s_or_b32 exec_lo, exec_lo, s2
	v_mov_b32_e32 v1, 0
	s_mov_b32 s2, exec_lo
	v_cmpx_lt_u32_e32 0xffffff, v30
	s_cbranch_execz .LBB458_148
; %bb.141:                              ;   in Loop: Header=BB458_8 Depth=1
	v_lshrrev_b32_e32 v0, 24, v30
	v_bfrev_b32_e32 v1, 1
	s_mov_b32 s18, exec_lo
	s_delay_alu instid0(VALU_DEP_2)
	v_cmpx_ne_u32_e32 0x80, v0
	s_cbranch_execz .LBB458_147
; %bb.142:                              ;   in Loop: Header=BB458_8 Depth=1
	v_bfe_u32 v2, v30, 24, 7
	v_mov_b32_e32 v1, 0x7f800001
	s_mov_b32 s19, exec_lo
	s_delay_alu instid0(VALU_DEP_2)
	v_cmpx_ne_u32_e32 0x7f, v2
	s_cbranch_execz .LBB458_146
; %bb.143:                              ;   in Loop: Header=BB458_8 Depth=1
	v_and_b32_e32 v18, 7, v0
	v_lshrrev_b32_e32 v1, 3, v2
	s_mov_b32 s20, exec_lo
	v_cmpx_gt_u32_e32 8, v2
; %bb.144:                              ;   in Loop: Header=BB458_8 Depth=1
	s_delay_alu instid0(VALU_DEP_3) | instskip(NEXT) | instid1(VALU_DEP_1)
	v_clz_i32_u32_e32 v1, v18
	v_min_u32_e32 v1, 32, v1
	s_delay_alu instid0(VALU_DEP_1) | instskip(SKIP_1) | instid1(VALU_DEP_2)
	v_subrev_nc_u32_e32 v2, 28, v1
	v_sub_nc_u32_e32 v1, 29, v1
	v_lshlrev_b64 v[2:3], v2, v[18:19]
	s_delay_alu instid0(VALU_DEP_1)
	v_and_b32_e32 v18, 7, v2
; %bb.145:                              ;   in Loop: Header=BB458_8 Depth=1
	s_or_b32 exec_lo, exec_lo, s20
	v_lshlrev_b32_e32 v0, 24, v0
	s_delay_alu instid0(VALU_DEP_2) | instskip(SKIP_1) | instid1(VALU_DEP_3)
	v_lshlrev_b32_e32 v2, 20, v18
	v_lshl_add_u32 v1, v1, 23, 0x3c000000
	v_and_b32_e32 v0, 0x80000000, v0
	s_delay_alu instid0(VALU_DEP_1)
	v_or3_b32 v1, v2, v0, v1
.LBB458_146:                            ;   in Loop: Header=BB458_8 Depth=1
	s_or_b32 exec_lo, exec_lo, s19
.LBB458_147:                            ;   in Loop: Header=BB458_8 Depth=1
	s_delay_alu instid0(SALU_CYCLE_1)
	s_or_b32 exec_lo, exec_lo, s18
.LBB458_148:                            ;   in Loop: Header=BB458_8 Depth=1
	s_delay_alu instid0(SALU_CYCLE_1) | instskip(NEXT) | instid1(VALU_DEP_1)
	s_or_b32 exec_lo, exec_lo, s2
	v_mul_f32_e32 v0, v104, v1
                                        ; implicit-def: $vgpr123
	s_delay_alu instid0(VALU_DEP_1) | instskip(NEXT) | instid1(VALU_DEP_1)
	v_and_b32_e32 v1, 0x7f800000, v0
	v_cmp_ne_u32_e64 s1, 0x7f800000, v1
	s_delay_alu instid0(VALU_DEP_1) | instskip(NEXT) | instid1(SALU_CYCLE_1)
	s_and_saveexec_b32 s2, s1
	s_xor_b32 s1, exec_lo, s2
; %bb.149:                              ;   in Loop: Header=BB458_8 Depth=1
	v_bfe_u32 v1, v0, 16, 1
	s_delay_alu instid0(VALU_DEP_1)
	v_add3_u32 v123, v0, v1, 0x7fff
                                        ; implicit-def: $vgpr0
; %bb.150:                              ;   in Loop: Header=BB458_8 Depth=1
	s_and_not1_saveexec_b32 s2, s1
; %bb.151:                              ;   in Loop: Header=BB458_8 Depth=1
	v_and_b32_e32 v1, 0xffff, v0
	v_or_b32_e32 v2, 0x10000, v0
	s_delay_alu instid0(VALU_DEP_2) | instskip(NEXT) | instid1(VALU_DEP_1)
	v_cmp_eq_u32_e64 s1, 0, v1
	v_cndmask_b32_e64 v123, v2, v0, s1
; %bb.152:                              ;   in Loop: Header=BB458_8 Depth=1
	s_or_b32 exec_lo, exec_lo, s2
	v_dual_mov_b32 v18, v31 :: v_dual_and_b32 v1, 0xff, v31
	v_mov_b32_e32 v0, 0
	s_mov_b32 s2, exec_lo
	s_delay_alu instid0(VALU_DEP_2)
	v_cmpx_ne_u16_e32 0, v1
	s_cbranch_execz .LBB458_160
; %bb.153:                              ;   in Loop: Header=BB458_8 Depth=1
	v_bfrev_b32_e32 v0, 1
	s_mov_b32 s18, exec_lo
	v_cmpx_ne_u16_e32 0x80, v1
	s_cbranch_execz .LBB458_159
; %bb.154:                              ;   in Loop: Header=BB458_8 Depth=1
	v_and_b32_e32 v1, 0x7f, v31
	v_mov_b32_e32 v0, 0x7f800001
	s_mov_b32 s19, exec_lo
	s_delay_alu instid0(VALU_DEP_2)
	v_cmpx_ne_u32_e32 0x7f, v1
	s_cbranch_execz .LBB458_158
; %bb.155:                              ;   in Loop: Header=BB458_8 Depth=1
	v_lshrrev_b32_e32 v0, 3, v1
	v_dual_mov_b32 v33, v19 :: v_dual_mov_b32 v32, v18
	s_mov_b32 s20, exec_lo
	v_cmpx_gt_u32_e32 8, v1
; %bb.156:                              ;   in Loop: Header=BB458_8 Depth=1
	v_and_b32_e32 v0, 7, v31
	s_delay_alu instid0(VALU_DEP_1) | instskip(NEXT) | instid1(VALU_DEP_1)
	v_clz_i32_u32_e32 v0, v0
	v_min_u32_e32 v0, 32, v0
	s_delay_alu instid0(VALU_DEP_1) | instskip(SKIP_1) | instid1(VALU_DEP_2)
	v_subrev_nc_u32_e32 v1, 28, v0
	v_sub_nc_u32_e32 v0, 29, v0
	v_lshlrev_b64 v[32:33], v1, v[18:19]
; %bb.157:                              ;   in Loop: Header=BB458_8 Depth=1
	s_or_b32 exec_lo, exec_lo, s20
	s_delay_alu instid0(VALU_DEP_1) | instskip(SKIP_2) | instid1(VALU_DEP_3)
	v_lshlrev_b32_e32 v1, 20, v32
	v_lshlrev_b32_e32 v2, 24, v18
	v_lshl_add_u32 v0, v0, 23, 0x3c000000
	v_and_b32_e32 v1, 0x700000, v1
	s_delay_alu instid0(VALU_DEP_3) | instskip(NEXT) | instid1(VALU_DEP_1)
	v_and_b32_e32 v2, 0x80000000, v2
	v_or3_b32 v0, v1, v2, v0
.LBB458_158:                            ;   in Loop: Header=BB458_8 Depth=1
	s_or_b32 exec_lo, exec_lo, s19
.LBB458_159:                            ;   in Loop: Header=BB458_8 Depth=1
	s_delay_alu instid0(SALU_CYCLE_1)
	s_or_b32 exec_lo, exec_lo, s18
.LBB458_160:                            ;   in Loop: Header=BB458_8 Depth=1
	s_delay_alu instid0(SALU_CYCLE_1) | instskip(NEXT) | instid1(VALU_DEP_1)
	s_or_b32 exec_lo, exec_lo, s2
	v_mul_f32_e32 v0, v104, v0
                                        ; implicit-def: $vgpr124
	s_delay_alu instid0(VALU_DEP_1) | instskip(NEXT) | instid1(VALU_DEP_1)
	v_and_b32_e32 v1, 0x7f800000, v0
	v_cmp_ne_u32_e64 s1, 0x7f800000, v1
	s_delay_alu instid0(VALU_DEP_1) | instskip(NEXT) | instid1(SALU_CYCLE_1)
	s_and_saveexec_b32 s2, s1
	s_xor_b32 s1, exec_lo, s2
; %bb.161:                              ;   in Loop: Header=BB458_8 Depth=1
	v_bfe_u32 v1, v0, 16, 1
	s_delay_alu instid0(VALU_DEP_1)
	v_add3_u32 v124, v0, v1, 0x7fff
                                        ; implicit-def: $vgpr0
; %bb.162:                              ;   in Loop: Header=BB458_8 Depth=1
	s_and_not1_saveexec_b32 s2, s1
; %bb.163:                              ;   in Loop: Header=BB458_8 Depth=1
	v_and_b32_e32 v1, 0xffff, v0
	v_or_b32_e32 v2, 0x10000, v0
	s_delay_alu instid0(VALU_DEP_2) | instskip(NEXT) | instid1(VALU_DEP_1)
	v_cmp_eq_u32_e64 s1, 0, v1
	v_cndmask_b32_e64 v124, v2, v0, s1
; %bb.164:                              ;   in Loop: Header=BB458_8 Depth=1
	s_or_b32 exec_lo, exec_lo, s2
	v_lshrrev_b16 v1, 8, v18
	v_mov_b32_e32 v0, 0
	s_mov_b32 s2, exec_lo
	s_delay_alu instid0(VALU_DEP_2)
	v_cmpx_ne_u16_e32 0, v1
	s_cbranch_execz .LBB458_172
; %bb.165:                              ;   in Loop: Header=BB458_8 Depth=1
	v_bfrev_b32_e32 v0, 1
	s_mov_b32 s18, exec_lo
	v_cmpx_ne_u16_e32 0x80, v1
	s_cbranch_execz .LBB458_171
; %bb.166:                              ;   in Loop: Header=BB458_8 Depth=1
	v_and_b32_e32 v2, 0xffff, v1
	v_mov_b32_e32 v0, 0x7f800001
	s_mov_b32 s19, exec_lo
	s_delay_alu instid0(VALU_DEP_2) | instskip(NEXT) | instid1(VALU_DEP_1)
	v_and_b32_e32 v1, 0x7f, v2
	v_cmpx_ne_u32_e32 0x7f, v1
	s_cbranch_execz .LBB458_170
; %bb.167:                              ;   in Loop: Header=BB458_8 Depth=1
	v_dual_mov_b32 v33, v19 :: v_dual_and_b32 v32, 7, v2
	v_lshrrev_b32_e32 v0, 3, v1
	s_mov_b32 s20, exec_lo
	v_cmpx_gt_u32_e32 8, v1
; %bb.168:                              ;   in Loop: Header=BB458_8 Depth=1
	s_delay_alu instid0(VALU_DEP_3) | instskip(NEXT) | instid1(VALU_DEP_1)
	v_clz_i32_u32_e32 v0, v32
	v_min_u32_e32 v0, 32, v0
	s_delay_alu instid0(VALU_DEP_1) | instskip(SKIP_1) | instid1(VALU_DEP_2)
	v_subrev_nc_u32_e32 v1, 28, v0
	v_sub_nc_u32_e32 v0, 29, v0
	v_lshlrev_b64 v[1:2], v1, v[32:33]
	s_delay_alu instid0(VALU_DEP_1)
	v_and_b32_e32 v32, 7, v1
; %bb.169:                              ;   in Loop: Header=BB458_8 Depth=1
	s_or_b32 exec_lo, exec_lo, s20
	v_lshlrev_b32_e32 v1, 16, v18
	s_delay_alu instid0(VALU_DEP_2) | instskip(SKIP_1) | instid1(VALU_DEP_3)
	v_lshlrev_b32_e32 v2, 20, v32
	v_lshl_add_u32 v0, v0, 23, 0x3c000000
	v_and_b32_e32 v1, 0x80000000, v1
	s_delay_alu instid0(VALU_DEP_1)
	v_or3_b32 v0, v2, v1, v0
.LBB458_170:                            ;   in Loop: Header=BB458_8 Depth=1
	s_or_b32 exec_lo, exec_lo, s19
.LBB458_171:                            ;   in Loop: Header=BB458_8 Depth=1
	s_delay_alu instid0(SALU_CYCLE_1)
	s_or_b32 exec_lo, exec_lo, s18
.LBB458_172:                            ;   in Loop: Header=BB458_8 Depth=1
	s_delay_alu instid0(SALU_CYCLE_1) | instskip(NEXT) | instid1(VALU_DEP_1)
	s_or_b32 exec_lo, exec_lo, s2
	v_mul_f32_e32 v0, v104, v0
                                        ; implicit-def: $vgpr125
	s_delay_alu instid0(VALU_DEP_1) | instskip(NEXT) | instid1(VALU_DEP_1)
	v_and_b32_e32 v1, 0x7f800000, v0
	v_cmp_ne_u32_e64 s1, 0x7f800000, v1
	s_delay_alu instid0(VALU_DEP_1) | instskip(NEXT) | instid1(SALU_CYCLE_1)
	s_and_saveexec_b32 s2, s1
	s_xor_b32 s1, exec_lo, s2
; %bb.173:                              ;   in Loop: Header=BB458_8 Depth=1
	v_bfe_u32 v1, v0, 16, 1
	s_delay_alu instid0(VALU_DEP_1)
	v_add3_u32 v125, v0, v1, 0x7fff
                                        ; implicit-def: $vgpr0
; %bb.174:                              ;   in Loop: Header=BB458_8 Depth=1
	s_and_not1_saveexec_b32 s2, s1
; %bb.175:                              ;   in Loop: Header=BB458_8 Depth=1
	v_and_b32_e32 v1, 0xffff, v0
	v_or_b32_e32 v2, 0x10000, v0
	s_delay_alu instid0(VALU_DEP_2) | instskip(NEXT) | instid1(VALU_DEP_1)
	v_cmp_eq_u32_e64 s1, 0, v1
	v_cndmask_b32_e64 v125, v2, v0, s1
; %bb.176:                              ;   in Loop: Header=BB458_8 Depth=1
	s_or_b32 exec_lo, exec_lo, s2
	v_lshrrev_b32_e32 v0, 16, v31
	s_mov_b32 s2, exec_lo
	s_delay_alu instid0(VALU_DEP_1) | instskip(NEXT) | instid1(VALU_DEP_1)
	v_dual_mov_b32 v1, 0 :: v_dual_and_b32 v2, 0xff, v0
	v_cmpx_ne_u16_e32 0, v2
	s_cbranch_execz .LBB458_184
; %bb.177:                              ;   in Loop: Header=BB458_8 Depth=1
	v_bfrev_b32_e32 v1, 1
	s_mov_b32 s18, exec_lo
	v_cmpx_ne_u16_e32 0x80, v2
	s_cbranch_execz .LBB458_183
; %bb.178:                              ;   in Loop: Header=BB458_8 Depth=1
	v_bfe_u32 v2, v31, 16, 7
	v_mov_b32_e32 v1, 0x7f800001
	s_mov_b32 s19, exec_lo
	s_delay_alu instid0(VALU_DEP_2)
	v_cmpx_ne_u32_e32 0x7f, v2
	s_cbranch_execz .LBB458_182
; %bb.179:                              ;   in Loop: Header=BB458_8 Depth=1
	v_and_b32_e32 v18, 7, v0
	v_lshrrev_b32_e32 v1, 3, v2
	s_mov_b32 s20, exec_lo
	v_cmpx_gt_u32_e32 8, v2
; %bb.180:                              ;   in Loop: Header=BB458_8 Depth=1
	s_delay_alu instid0(VALU_DEP_3) | instskip(NEXT) | instid1(VALU_DEP_1)
	v_clz_i32_u32_e32 v1, v18
	v_min_u32_e32 v1, 32, v1
	s_delay_alu instid0(VALU_DEP_1) | instskip(SKIP_1) | instid1(VALU_DEP_2)
	v_subrev_nc_u32_e32 v2, 28, v1
	v_sub_nc_u32_e32 v1, 29, v1
	v_lshlrev_b64 v[2:3], v2, v[18:19]
	s_delay_alu instid0(VALU_DEP_1)
	v_and_b32_e32 v18, 7, v2
; %bb.181:                              ;   in Loop: Header=BB458_8 Depth=1
	s_or_b32 exec_lo, exec_lo, s20
	v_lshlrev_b32_e32 v0, 24, v0
	s_delay_alu instid0(VALU_DEP_2) | instskip(SKIP_1) | instid1(VALU_DEP_3)
	v_lshlrev_b32_e32 v2, 20, v18
	v_lshl_add_u32 v1, v1, 23, 0x3c000000
	v_and_b32_e32 v0, 0x80000000, v0
	s_delay_alu instid0(VALU_DEP_1)
	v_or3_b32 v1, v2, v0, v1
.LBB458_182:                            ;   in Loop: Header=BB458_8 Depth=1
	s_or_b32 exec_lo, exec_lo, s19
.LBB458_183:                            ;   in Loop: Header=BB458_8 Depth=1
	s_delay_alu instid0(SALU_CYCLE_1)
	s_or_b32 exec_lo, exec_lo, s18
.LBB458_184:                            ;   in Loop: Header=BB458_8 Depth=1
	s_delay_alu instid0(SALU_CYCLE_1) | instskip(NEXT) | instid1(VALU_DEP_1)
	s_or_b32 exec_lo, exec_lo, s2
	v_mul_f32_e32 v0, v104, v1
                                        ; implicit-def: $vgpr126
	s_delay_alu instid0(VALU_DEP_1) | instskip(NEXT) | instid1(VALU_DEP_1)
	v_and_b32_e32 v1, 0x7f800000, v0
	v_cmp_ne_u32_e64 s1, 0x7f800000, v1
	s_delay_alu instid0(VALU_DEP_1) | instskip(NEXT) | instid1(SALU_CYCLE_1)
	s_and_saveexec_b32 s2, s1
	s_xor_b32 s1, exec_lo, s2
; %bb.185:                              ;   in Loop: Header=BB458_8 Depth=1
	v_bfe_u32 v1, v0, 16, 1
	s_delay_alu instid0(VALU_DEP_1)
	v_add3_u32 v126, v0, v1, 0x7fff
                                        ; implicit-def: $vgpr0
; %bb.186:                              ;   in Loop: Header=BB458_8 Depth=1
	s_and_not1_saveexec_b32 s2, s1
; %bb.187:                              ;   in Loop: Header=BB458_8 Depth=1
	v_and_b32_e32 v1, 0xffff, v0
	v_or_b32_e32 v2, 0x10000, v0
	s_delay_alu instid0(VALU_DEP_2) | instskip(NEXT) | instid1(VALU_DEP_1)
	v_cmp_eq_u32_e64 s1, 0, v1
	v_cndmask_b32_e64 v126, v2, v0, s1
; %bb.188:                              ;   in Loop: Header=BB458_8 Depth=1
	s_or_b32 exec_lo, exec_lo, s2
	v_mov_b32_e32 v1, 0
	s_mov_b32 s2, exec_lo
	v_cmpx_lt_u64_e64 s[8:9], v[30:31]
	s_cbranch_execz .LBB458_196
; %bb.189:                              ;   in Loop: Header=BB458_8 Depth=1
	v_lshrrev_b32_e32 v0, 24, v31
	v_bfrev_b32_e32 v1, 1
	s_mov_b32 s18, exec_lo
	s_delay_alu instid0(VALU_DEP_2)
	v_cmpx_ne_u32_e32 0x80, v0
	s_cbranch_execz .LBB458_195
; %bb.190:                              ;   in Loop: Header=BB458_8 Depth=1
	v_bfe_u32 v2, v31, 24, 7
	v_mov_b32_e32 v1, 0x7f800001
	s_mov_b32 s19, exec_lo
	s_delay_alu instid0(VALU_DEP_2)
	v_cmpx_ne_u32_e32 0x7f, v2
	s_cbranch_execz .LBB458_194
; %bb.191:                              ;   in Loop: Header=BB458_8 Depth=1
	v_and_b32_e32 v18, 7, v0
	v_lshrrev_b32_e32 v1, 3, v2
	s_mov_b32 s20, exec_lo
	v_cmpx_gt_u32_e32 8, v2
; %bb.192:                              ;   in Loop: Header=BB458_8 Depth=1
	s_delay_alu instid0(VALU_DEP_3) | instskip(NEXT) | instid1(VALU_DEP_1)
	v_clz_i32_u32_e32 v1, v18
	v_min_u32_e32 v1, 32, v1
	s_delay_alu instid0(VALU_DEP_1) | instskip(SKIP_1) | instid1(VALU_DEP_2)
	v_subrev_nc_u32_e32 v2, 28, v1
	v_sub_nc_u32_e32 v1, 29, v1
	v_lshlrev_b64 v[2:3], v2, v[18:19]
	s_delay_alu instid0(VALU_DEP_1)
	v_and_b32_e32 v18, 7, v2
; %bb.193:                              ;   in Loop: Header=BB458_8 Depth=1
	s_or_b32 exec_lo, exec_lo, s20
	v_lshlrev_b32_e32 v0, 24, v0
	s_delay_alu instid0(VALU_DEP_2) | instskip(SKIP_1) | instid1(VALU_DEP_3)
	v_lshlrev_b32_e32 v2, 20, v18
	v_lshl_add_u32 v1, v1, 23, 0x3c000000
	v_and_b32_e32 v0, 0x80000000, v0
	s_delay_alu instid0(VALU_DEP_1)
	v_or3_b32 v1, v2, v0, v1
.LBB458_194:                            ;   in Loop: Header=BB458_8 Depth=1
	s_or_b32 exec_lo, exec_lo, s19
.LBB458_195:                            ;   in Loop: Header=BB458_8 Depth=1
	s_delay_alu instid0(SALU_CYCLE_1)
	s_or_b32 exec_lo, exec_lo, s18
.LBB458_196:                            ;   in Loop: Header=BB458_8 Depth=1
	s_delay_alu instid0(SALU_CYCLE_1) | instskip(NEXT) | instid1(VALU_DEP_1)
	s_or_b32 exec_lo, exec_lo, s2
	v_mul_f32_e32 v0, v104, v1
                                        ; implicit-def: $vgpr127
	s_delay_alu instid0(VALU_DEP_1) | instskip(NEXT) | instid1(VALU_DEP_1)
	v_and_b32_e32 v1, 0x7f800000, v0
	v_cmp_ne_u32_e64 s1, 0x7f800000, v1
	s_delay_alu instid0(VALU_DEP_1) | instskip(NEXT) | instid1(SALU_CYCLE_1)
	s_and_saveexec_b32 s2, s1
	s_xor_b32 s1, exec_lo, s2
; %bb.197:                              ;   in Loop: Header=BB458_8 Depth=1
	v_bfe_u32 v1, v0, 16, 1
	s_delay_alu instid0(VALU_DEP_1)
	v_add3_u32 v127, v0, v1, 0x7fff
                                        ; implicit-def: $vgpr0
; %bb.198:                              ;   in Loop: Header=BB458_8 Depth=1
	s_and_not1_saveexec_b32 s2, s1
; %bb.199:                              ;   in Loop: Header=BB458_8 Depth=1
	v_and_b32_e32 v1, 0xffff, v0
	v_or_b32_e32 v2, 0x10000, v0
	s_delay_alu instid0(VALU_DEP_2) | instskip(NEXT) | instid1(VALU_DEP_1)
	v_cmp_eq_u32_e64 s1, 0, v1
	v_cndmask_b32_e64 v127, v2, v0, s1
; %bb.200:                              ;   in Loop: Header=BB458_8 Depth=1
	s_or_b32 exec_lo, exec_lo, s2
	flat_load_b64 v[30:31], v[28:29] offset:512
	s_mov_b32 s2, exec_lo
	s_waitcnt vmcnt(0) lgkmcnt(0)
	v_dual_mov_b32 v0, 0 :: v_dual_and_b32 v1, 0xff, v30
	s_delay_alu instid0(VALU_DEP_1)
	v_cmpx_ne_u16_e32 0, v1
	s_cbranch_execz .LBB458_208
; %bb.201:                              ;   in Loop: Header=BB458_8 Depth=1
	v_bfrev_b32_e32 v0, 1
	s_mov_b32 s18, exec_lo
	v_cmpx_ne_u16_e32 0x80, v1
	s_cbranch_execz .LBB458_207
; %bb.202:                              ;   in Loop: Header=BB458_8 Depth=1
	v_and_b32_e32 v1, 0x7f, v30
	v_mov_b32_e32 v0, 0x7f800001
	s_mov_b32 s19, exec_lo
	s_delay_alu instid0(VALU_DEP_2)
	v_cmpx_ne_u32_e32 0x7f, v1
	s_cbranch_execz .LBB458_206
; %bb.203:                              ;   in Loop: Header=BB458_8 Depth=1
	v_lshrrev_b32_e32 v0, 3, v1
	v_dual_mov_b32 v33, v31 :: v_dual_mov_b32 v32, v30
	s_mov_b32 s20, exec_lo
	v_cmpx_gt_u32_e32 8, v1
; %bb.204:                              ;   in Loop: Header=BB458_8 Depth=1
	v_and_b32_e32 v0, 7, v30
	s_delay_alu instid0(VALU_DEP_1) | instskip(NEXT) | instid1(VALU_DEP_1)
	v_clz_i32_u32_e32 v0, v0
	v_min_u32_e32 v0, 32, v0
	s_delay_alu instid0(VALU_DEP_1) | instskip(SKIP_1) | instid1(VALU_DEP_2)
	v_subrev_nc_u32_e32 v1, 28, v0
	v_sub_nc_u32_e32 v0, 29, v0
	v_lshlrev_b64 v[32:33], v1, v[30:31]
; %bb.205:                              ;   in Loop: Header=BB458_8 Depth=1
	s_or_b32 exec_lo, exec_lo, s20
	s_delay_alu instid0(VALU_DEP_1) | instskip(SKIP_2) | instid1(VALU_DEP_3)
	v_lshlrev_b32_e32 v1, 20, v32
	v_lshlrev_b32_e32 v2, 24, v30
	v_lshl_add_u32 v0, v0, 23, 0x3c000000
	v_and_b32_e32 v1, 0x700000, v1
	s_delay_alu instid0(VALU_DEP_3) | instskip(NEXT) | instid1(VALU_DEP_1)
	v_and_b32_e32 v2, 0x80000000, v2
	v_or3_b32 v0, v1, v2, v0
.LBB458_206:                            ;   in Loop: Header=BB458_8 Depth=1
	s_or_b32 exec_lo, exec_lo, s19
.LBB458_207:                            ;   in Loop: Header=BB458_8 Depth=1
	s_delay_alu instid0(SALU_CYCLE_1)
	s_or_b32 exec_lo, exec_lo, s18
.LBB458_208:                            ;   in Loop: Header=BB458_8 Depth=1
	s_delay_alu instid0(SALU_CYCLE_1) | instskip(NEXT) | instid1(VALU_DEP_1)
	s_or_b32 exec_lo, exec_lo, s2
	v_mul_f32_e32 v0, v104, v0
                                        ; implicit-def: $vgpr136
	s_delay_alu instid0(VALU_DEP_1) | instskip(NEXT) | instid1(VALU_DEP_1)
	v_and_b32_e32 v1, 0x7f800000, v0
	v_cmp_ne_u32_e64 s1, 0x7f800000, v1
	s_delay_alu instid0(VALU_DEP_1) | instskip(NEXT) | instid1(SALU_CYCLE_1)
	s_and_saveexec_b32 s2, s1
	s_xor_b32 s1, exec_lo, s2
; %bb.209:                              ;   in Loop: Header=BB458_8 Depth=1
	v_bfe_u32 v1, v0, 16, 1
	s_delay_alu instid0(VALU_DEP_1)
	v_add3_u32 v136, v0, v1, 0x7fff
                                        ; implicit-def: $vgpr0
; %bb.210:                              ;   in Loop: Header=BB458_8 Depth=1
	s_and_not1_saveexec_b32 s2, s1
; %bb.211:                              ;   in Loop: Header=BB458_8 Depth=1
	v_and_b32_e32 v1, 0xffff, v0
	v_or_b32_e32 v2, 0x10000, v0
	s_delay_alu instid0(VALU_DEP_2) | instskip(NEXT) | instid1(VALU_DEP_1)
	v_cmp_eq_u32_e64 s1, 0, v1
	v_cndmask_b32_e64 v136, v2, v0, s1
; %bb.212:                              ;   in Loop: Header=BB458_8 Depth=1
	s_or_b32 exec_lo, exec_lo, s2
	v_lshrrev_b16 v1, 8, v30
	v_mov_b32_e32 v0, 0
	s_mov_b32 s2, exec_lo
	s_delay_alu instid0(VALU_DEP_2)
	v_cmpx_ne_u16_e32 0, v1
	s_cbranch_execz .LBB458_220
; %bb.213:                              ;   in Loop: Header=BB458_8 Depth=1
	v_bfrev_b32_e32 v0, 1
	s_mov_b32 s18, exec_lo
	v_cmpx_ne_u16_e32 0x80, v1
	s_cbranch_execz .LBB458_219
; %bb.214:                              ;   in Loop: Header=BB458_8 Depth=1
	v_and_b32_e32 v2, 0xffff, v1
	v_mov_b32_e32 v0, 0x7f800001
	s_mov_b32 s19, exec_lo
	s_delay_alu instid0(VALU_DEP_2) | instskip(NEXT) | instid1(VALU_DEP_1)
	v_and_b32_e32 v1, 0x7f, v2
	v_cmpx_ne_u32_e32 0x7f, v1
	s_cbranch_execz .LBB458_218
; %bb.215:                              ;   in Loop: Header=BB458_8 Depth=1
	v_and_b32_e32 v18, 7, v2
	v_lshrrev_b32_e32 v0, 3, v1
	s_mov_b32 s20, exec_lo
	v_cmpx_gt_u32_e32 8, v1
; %bb.216:                              ;   in Loop: Header=BB458_8 Depth=1
	s_delay_alu instid0(VALU_DEP_3) | instskip(NEXT) | instid1(VALU_DEP_1)
	v_clz_i32_u32_e32 v0, v18
	v_min_u32_e32 v0, 32, v0
	s_delay_alu instid0(VALU_DEP_1) | instskip(SKIP_1) | instid1(VALU_DEP_2)
	v_subrev_nc_u32_e32 v1, 28, v0
	v_sub_nc_u32_e32 v0, 29, v0
	v_lshlrev_b64 v[1:2], v1, v[18:19]
	s_delay_alu instid0(VALU_DEP_1)
	v_and_b32_e32 v18, 7, v1
; %bb.217:                              ;   in Loop: Header=BB458_8 Depth=1
	s_or_b32 exec_lo, exec_lo, s20
	v_lshlrev_b32_e32 v1, 16, v30
	s_delay_alu instid0(VALU_DEP_2) | instskip(SKIP_1) | instid1(VALU_DEP_3)
	v_lshlrev_b32_e32 v2, 20, v18
	v_lshl_add_u32 v0, v0, 23, 0x3c000000
	v_and_b32_e32 v1, 0x80000000, v1
	s_delay_alu instid0(VALU_DEP_1)
	v_or3_b32 v0, v2, v1, v0
.LBB458_218:                            ;   in Loop: Header=BB458_8 Depth=1
	s_or_b32 exec_lo, exec_lo, s19
.LBB458_219:                            ;   in Loop: Header=BB458_8 Depth=1
	s_delay_alu instid0(SALU_CYCLE_1)
	s_or_b32 exec_lo, exec_lo, s18
.LBB458_220:                            ;   in Loop: Header=BB458_8 Depth=1
	s_delay_alu instid0(SALU_CYCLE_1) | instskip(NEXT) | instid1(VALU_DEP_1)
	s_or_b32 exec_lo, exec_lo, s2
	v_mul_f32_e32 v0, v104, v0
                                        ; implicit-def: $vgpr137
	s_delay_alu instid0(VALU_DEP_1) | instskip(NEXT) | instid1(VALU_DEP_1)
	v_and_b32_e32 v1, 0x7f800000, v0
	v_cmp_ne_u32_e64 s1, 0x7f800000, v1
	s_delay_alu instid0(VALU_DEP_1) | instskip(NEXT) | instid1(SALU_CYCLE_1)
	s_and_saveexec_b32 s2, s1
	s_xor_b32 s1, exec_lo, s2
; %bb.221:                              ;   in Loop: Header=BB458_8 Depth=1
	v_bfe_u32 v1, v0, 16, 1
	s_delay_alu instid0(VALU_DEP_1)
	v_add3_u32 v137, v0, v1, 0x7fff
                                        ; implicit-def: $vgpr0
; %bb.222:                              ;   in Loop: Header=BB458_8 Depth=1
	s_and_not1_saveexec_b32 s2, s1
; %bb.223:                              ;   in Loop: Header=BB458_8 Depth=1
	v_and_b32_e32 v1, 0xffff, v0
	v_or_b32_e32 v2, 0x10000, v0
	s_delay_alu instid0(VALU_DEP_2) | instskip(NEXT) | instid1(VALU_DEP_1)
	v_cmp_eq_u32_e64 s1, 0, v1
	v_cndmask_b32_e64 v137, v2, v0, s1
; %bb.224:                              ;   in Loop: Header=BB458_8 Depth=1
	s_or_b32 exec_lo, exec_lo, s2
	v_lshrrev_b32_e32 v0, 16, v30
	s_mov_b32 s2, exec_lo
	s_delay_alu instid0(VALU_DEP_1) | instskip(NEXT) | instid1(VALU_DEP_1)
	v_dual_mov_b32 v1, 0 :: v_dual_and_b32 v2, 0xff, v0
	v_cmpx_ne_u16_e32 0, v2
	s_cbranch_execz .LBB458_232
; %bb.225:                              ;   in Loop: Header=BB458_8 Depth=1
	v_bfrev_b32_e32 v1, 1
	s_mov_b32 s18, exec_lo
	v_cmpx_ne_u16_e32 0x80, v2
	s_cbranch_execz .LBB458_231
; %bb.226:                              ;   in Loop: Header=BB458_8 Depth=1
	v_bfe_u32 v2, v30, 16, 7
	v_mov_b32_e32 v1, 0x7f800001
	s_mov_b32 s19, exec_lo
	s_delay_alu instid0(VALU_DEP_2)
	v_cmpx_ne_u32_e32 0x7f, v2
	s_cbranch_execz .LBB458_230
; %bb.227:                              ;   in Loop: Header=BB458_8 Depth=1
	v_and_b32_e32 v18, 7, v0
	v_lshrrev_b32_e32 v1, 3, v2
	s_mov_b32 s20, exec_lo
	v_cmpx_gt_u32_e32 8, v2
; %bb.228:                              ;   in Loop: Header=BB458_8 Depth=1
	s_delay_alu instid0(VALU_DEP_3) | instskip(NEXT) | instid1(VALU_DEP_1)
	v_clz_i32_u32_e32 v1, v18
	v_min_u32_e32 v1, 32, v1
	s_delay_alu instid0(VALU_DEP_1) | instskip(SKIP_1) | instid1(VALU_DEP_2)
	v_subrev_nc_u32_e32 v2, 28, v1
	v_sub_nc_u32_e32 v1, 29, v1
	v_lshlrev_b64 v[2:3], v2, v[18:19]
	s_delay_alu instid0(VALU_DEP_1)
	v_and_b32_e32 v18, 7, v2
; %bb.229:                              ;   in Loop: Header=BB458_8 Depth=1
	s_or_b32 exec_lo, exec_lo, s20
	v_lshlrev_b32_e32 v0, 24, v0
	s_delay_alu instid0(VALU_DEP_2) | instskip(SKIP_1) | instid1(VALU_DEP_3)
	v_lshlrev_b32_e32 v2, 20, v18
	v_lshl_add_u32 v1, v1, 23, 0x3c000000
	v_and_b32_e32 v0, 0x80000000, v0
	s_delay_alu instid0(VALU_DEP_1)
	v_or3_b32 v1, v2, v0, v1
.LBB458_230:                            ;   in Loop: Header=BB458_8 Depth=1
	s_or_b32 exec_lo, exec_lo, s19
.LBB458_231:                            ;   in Loop: Header=BB458_8 Depth=1
	s_delay_alu instid0(SALU_CYCLE_1)
	s_or_b32 exec_lo, exec_lo, s18
.LBB458_232:                            ;   in Loop: Header=BB458_8 Depth=1
	s_delay_alu instid0(SALU_CYCLE_1) | instskip(NEXT) | instid1(VALU_DEP_1)
	s_or_b32 exec_lo, exec_lo, s2
	v_mul_f32_e32 v0, v104, v1
                                        ; implicit-def: $vgpr138
	s_delay_alu instid0(VALU_DEP_1) | instskip(NEXT) | instid1(VALU_DEP_1)
	v_and_b32_e32 v1, 0x7f800000, v0
	v_cmp_ne_u32_e64 s1, 0x7f800000, v1
	s_delay_alu instid0(VALU_DEP_1) | instskip(NEXT) | instid1(SALU_CYCLE_1)
	s_and_saveexec_b32 s2, s1
	s_xor_b32 s1, exec_lo, s2
; %bb.233:                              ;   in Loop: Header=BB458_8 Depth=1
	v_bfe_u32 v1, v0, 16, 1
	s_delay_alu instid0(VALU_DEP_1)
	v_add3_u32 v138, v0, v1, 0x7fff
                                        ; implicit-def: $vgpr0
; %bb.234:                              ;   in Loop: Header=BB458_8 Depth=1
	s_and_not1_saveexec_b32 s2, s1
; %bb.235:                              ;   in Loop: Header=BB458_8 Depth=1
	v_and_b32_e32 v1, 0xffff, v0
	v_or_b32_e32 v2, 0x10000, v0
	s_delay_alu instid0(VALU_DEP_2) | instskip(NEXT) | instid1(VALU_DEP_1)
	v_cmp_eq_u32_e64 s1, 0, v1
	v_cndmask_b32_e64 v138, v2, v0, s1
; %bb.236:                              ;   in Loop: Header=BB458_8 Depth=1
	s_or_b32 exec_lo, exec_lo, s2
	v_mov_b32_e32 v1, 0
	s_mov_b32 s2, exec_lo
	v_cmpx_lt_u32_e32 0xffffff, v30
	s_cbranch_execz .LBB458_244
; %bb.237:                              ;   in Loop: Header=BB458_8 Depth=1
	v_lshrrev_b32_e32 v0, 24, v30
	v_bfrev_b32_e32 v1, 1
	s_mov_b32 s18, exec_lo
	s_delay_alu instid0(VALU_DEP_2)
	v_cmpx_ne_u32_e32 0x80, v0
	s_cbranch_execz .LBB458_243
; %bb.238:                              ;   in Loop: Header=BB458_8 Depth=1
	v_bfe_u32 v2, v30, 24, 7
	v_mov_b32_e32 v1, 0x7f800001
	s_mov_b32 s19, exec_lo
	s_delay_alu instid0(VALU_DEP_2)
	v_cmpx_ne_u32_e32 0x7f, v2
	s_cbranch_execz .LBB458_242
; %bb.239:                              ;   in Loop: Header=BB458_8 Depth=1
	v_and_b32_e32 v18, 7, v0
	v_lshrrev_b32_e32 v1, 3, v2
	s_mov_b32 s20, exec_lo
	v_cmpx_gt_u32_e32 8, v2
; %bb.240:                              ;   in Loop: Header=BB458_8 Depth=1
	s_delay_alu instid0(VALU_DEP_3) | instskip(NEXT) | instid1(VALU_DEP_1)
	v_clz_i32_u32_e32 v1, v18
	v_min_u32_e32 v1, 32, v1
	s_delay_alu instid0(VALU_DEP_1) | instskip(SKIP_1) | instid1(VALU_DEP_2)
	v_subrev_nc_u32_e32 v2, 28, v1
	v_sub_nc_u32_e32 v1, 29, v1
	v_lshlrev_b64 v[2:3], v2, v[18:19]
	s_delay_alu instid0(VALU_DEP_1)
	v_and_b32_e32 v18, 7, v2
; %bb.241:                              ;   in Loop: Header=BB458_8 Depth=1
	s_or_b32 exec_lo, exec_lo, s20
	v_lshlrev_b32_e32 v0, 24, v0
	s_delay_alu instid0(VALU_DEP_2) | instskip(SKIP_1) | instid1(VALU_DEP_3)
	v_lshlrev_b32_e32 v2, 20, v18
	v_lshl_add_u32 v1, v1, 23, 0x3c000000
	v_and_b32_e32 v0, 0x80000000, v0
	s_delay_alu instid0(VALU_DEP_1)
	v_or3_b32 v1, v2, v0, v1
.LBB458_242:                            ;   in Loop: Header=BB458_8 Depth=1
	s_or_b32 exec_lo, exec_lo, s19
.LBB458_243:                            ;   in Loop: Header=BB458_8 Depth=1
	s_delay_alu instid0(SALU_CYCLE_1)
	s_or_b32 exec_lo, exec_lo, s18
.LBB458_244:                            ;   in Loop: Header=BB458_8 Depth=1
	s_delay_alu instid0(SALU_CYCLE_1) | instskip(NEXT) | instid1(VALU_DEP_1)
	s_or_b32 exec_lo, exec_lo, s2
	v_mul_f32_e32 v0, v104, v1
                                        ; implicit-def: $vgpr139
	s_delay_alu instid0(VALU_DEP_1) | instskip(NEXT) | instid1(VALU_DEP_1)
	v_and_b32_e32 v1, 0x7f800000, v0
	v_cmp_ne_u32_e64 s1, 0x7f800000, v1
	s_delay_alu instid0(VALU_DEP_1) | instskip(NEXT) | instid1(SALU_CYCLE_1)
	s_and_saveexec_b32 s2, s1
	s_xor_b32 s1, exec_lo, s2
; %bb.245:                              ;   in Loop: Header=BB458_8 Depth=1
	v_bfe_u32 v1, v0, 16, 1
	s_delay_alu instid0(VALU_DEP_1)
	v_add3_u32 v139, v0, v1, 0x7fff
                                        ; implicit-def: $vgpr0
; %bb.246:                              ;   in Loop: Header=BB458_8 Depth=1
	s_and_not1_saveexec_b32 s2, s1
; %bb.247:                              ;   in Loop: Header=BB458_8 Depth=1
	v_and_b32_e32 v1, 0xffff, v0
	v_or_b32_e32 v2, 0x10000, v0
	s_delay_alu instid0(VALU_DEP_2) | instskip(NEXT) | instid1(VALU_DEP_1)
	v_cmp_eq_u32_e64 s1, 0, v1
	v_cndmask_b32_e64 v139, v2, v0, s1
; %bb.248:                              ;   in Loop: Header=BB458_8 Depth=1
	s_or_b32 exec_lo, exec_lo, s2
	v_dual_mov_b32 v18, v31 :: v_dual_and_b32 v1, 0xff, v31
	v_mov_b32_e32 v0, 0
	s_mov_b32 s2, exec_lo
	s_delay_alu instid0(VALU_DEP_2)
	v_cmpx_ne_u16_e32 0, v1
	s_cbranch_execz .LBB458_256
; %bb.249:                              ;   in Loop: Header=BB458_8 Depth=1
	v_bfrev_b32_e32 v0, 1
	s_mov_b32 s18, exec_lo
	v_cmpx_ne_u16_e32 0x80, v1
	s_cbranch_execz .LBB458_255
; %bb.250:                              ;   in Loop: Header=BB458_8 Depth=1
	v_and_b32_e32 v1, 0x7f, v31
	v_mov_b32_e32 v0, 0x7f800001
	s_mov_b32 s19, exec_lo
	s_delay_alu instid0(VALU_DEP_2)
	v_cmpx_ne_u32_e32 0x7f, v1
	s_cbranch_execz .LBB458_254
; %bb.251:                              ;   in Loop: Header=BB458_8 Depth=1
	v_lshrrev_b32_e32 v0, 3, v1
	v_dual_mov_b32 v33, v19 :: v_dual_mov_b32 v32, v18
	s_mov_b32 s20, exec_lo
	v_cmpx_gt_u32_e32 8, v1
; %bb.252:                              ;   in Loop: Header=BB458_8 Depth=1
	v_and_b32_e32 v0, 7, v31
	s_delay_alu instid0(VALU_DEP_1) | instskip(NEXT) | instid1(VALU_DEP_1)
	v_clz_i32_u32_e32 v0, v0
	v_min_u32_e32 v0, 32, v0
	s_delay_alu instid0(VALU_DEP_1) | instskip(SKIP_1) | instid1(VALU_DEP_2)
	v_subrev_nc_u32_e32 v1, 28, v0
	v_sub_nc_u32_e32 v0, 29, v0
	v_lshlrev_b64 v[32:33], v1, v[18:19]
; %bb.253:                              ;   in Loop: Header=BB458_8 Depth=1
	s_or_b32 exec_lo, exec_lo, s20
	s_delay_alu instid0(VALU_DEP_1) | instskip(SKIP_2) | instid1(VALU_DEP_3)
	v_lshlrev_b32_e32 v1, 20, v32
	v_lshlrev_b32_e32 v2, 24, v18
	v_lshl_add_u32 v0, v0, 23, 0x3c000000
	v_and_b32_e32 v1, 0x700000, v1
	s_delay_alu instid0(VALU_DEP_3) | instskip(NEXT) | instid1(VALU_DEP_1)
	v_and_b32_e32 v2, 0x80000000, v2
	v_or3_b32 v0, v1, v2, v0
.LBB458_254:                            ;   in Loop: Header=BB458_8 Depth=1
	s_or_b32 exec_lo, exec_lo, s19
.LBB458_255:                            ;   in Loop: Header=BB458_8 Depth=1
	s_delay_alu instid0(SALU_CYCLE_1)
	s_or_b32 exec_lo, exec_lo, s18
.LBB458_256:                            ;   in Loop: Header=BB458_8 Depth=1
	s_delay_alu instid0(SALU_CYCLE_1) | instskip(NEXT) | instid1(VALU_DEP_1)
	s_or_b32 exec_lo, exec_lo, s2
	v_mul_f32_e32 v0, v104, v0
                                        ; implicit-def: $vgpr140
	s_delay_alu instid0(VALU_DEP_1) | instskip(NEXT) | instid1(VALU_DEP_1)
	v_and_b32_e32 v1, 0x7f800000, v0
	v_cmp_ne_u32_e64 s1, 0x7f800000, v1
	s_delay_alu instid0(VALU_DEP_1) | instskip(NEXT) | instid1(SALU_CYCLE_1)
	s_and_saveexec_b32 s2, s1
	s_xor_b32 s1, exec_lo, s2
; %bb.257:                              ;   in Loop: Header=BB458_8 Depth=1
	v_bfe_u32 v1, v0, 16, 1
	s_delay_alu instid0(VALU_DEP_1)
	v_add3_u32 v140, v0, v1, 0x7fff
                                        ; implicit-def: $vgpr0
; %bb.258:                              ;   in Loop: Header=BB458_8 Depth=1
	s_and_not1_saveexec_b32 s2, s1
; %bb.259:                              ;   in Loop: Header=BB458_8 Depth=1
	v_and_b32_e32 v1, 0xffff, v0
	v_or_b32_e32 v2, 0x10000, v0
	s_delay_alu instid0(VALU_DEP_2) | instskip(NEXT) | instid1(VALU_DEP_1)
	v_cmp_eq_u32_e64 s1, 0, v1
	v_cndmask_b32_e64 v140, v2, v0, s1
; %bb.260:                              ;   in Loop: Header=BB458_8 Depth=1
	s_or_b32 exec_lo, exec_lo, s2
	v_lshrrev_b16 v1, 8, v18
	v_mov_b32_e32 v0, 0
	s_mov_b32 s2, exec_lo
	s_delay_alu instid0(VALU_DEP_2)
	v_cmpx_ne_u16_e32 0, v1
	s_cbranch_execz .LBB458_268
; %bb.261:                              ;   in Loop: Header=BB458_8 Depth=1
	v_bfrev_b32_e32 v0, 1
	s_mov_b32 s18, exec_lo
	v_cmpx_ne_u16_e32 0x80, v1
	s_cbranch_execz .LBB458_267
; %bb.262:                              ;   in Loop: Header=BB458_8 Depth=1
	v_and_b32_e32 v2, 0xffff, v1
	v_mov_b32_e32 v0, 0x7f800001
	s_mov_b32 s19, exec_lo
	s_delay_alu instid0(VALU_DEP_2) | instskip(NEXT) | instid1(VALU_DEP_1)
	v_and_b32_e32 v1, 0x7f, v2
	v_cmpx_ne_u32_e32 0x7f, v1
	s_cbranch_execz .LBB458_266
; %bb.263:                              ;   in Loop: Header=BB458_8 Depth=1
	v_dual_mov_b32 v33, v19 :: v_dual_and_b32 v32, 7, v2
	v_lshrrev_b32_e32 v0, 3, v1
	s_mov_b32 s20, exec_lo
	v_cmpx_gt_u32_e32 8, v1
; %bb.264:                              ;   in Loop: Header=BB458_8 Depth=1
	s_delay_alu instid0(VALU_DEP_3) | instskip(NEXT) | instid1(VALU_DEP_1)
	v_clz_i32_u32_e32 v0, v32
	v_min_u32_e32 v0, 32, v0
	s_delay_alu instid0(VALU_DEP_1) | instskip(SKIP_1) | instid1(VALU_DEP_2)
	v_subrev_nc_u32_e32 v1, 28, v0
	v_sub_nc_u32_e32 v0, 29, v0
	v_lshlrev_b64 v[1:2], v1, v[32:33]
	s_delay_alu instid0(VALU_DEP_1)
	v_and_b32_e32 v32, 7, v1
; %bb.265:                              ;   in Loop: Header=BB458_8 Depth=1
	s_or_b32 exec_lo, exec_lo, s20
	v_lshlrev_b32_e32 v1, 16, v18
	s_delay_alu instid0(VALU_DEP_2) | instskip(SKIP_1) | instid1(VALU_DEP_3)
	v_lshlrev_b32_e32 v2, 20, v32
	v_lshl_add_u32 v0, v0, 23, 0x3c000000
	v_and_b32_e32 v1, 0x80000000, v1
	s_delay_alu instid0(VALU_DEP_1)
	v_or3_b32 v0, v2, v1, v0
.LBB458_266:                            ;   in Loop: Header=BB458_8 Depth=1
	s_or_b32 exec_lo, exec_lo, s19
.LBB458_267:                            ;   in Loop: Header=BB458_8 Depth=1
	s_delay_alu instid0(SALU_CYCLE_1)
	s_or_b32 exec_lo, exec_lo, s18
.LBB458_268:                            ;   in Loop: Header=BB458_8 Depth=1
	s_delay_alu instid0(SALU_CYCLE_1) | instskip(NEXT) | instid1(VALU_DEP_1)
	s_or_b32 exec_lo, exec_lo, s2
	v_mul_f32_e32 v0, v104, v0
                                        ; implicit-def: $vgpr141
	s_delay_alu instid0(VALU_DEP_1) | instskip(NEXT) | instid1(VALU_DEP_1)
	v_and_b32_e32 v1, 0x7f800000, v0
	v_cmp_ne_u32_e64 s1, 0x7f800000, v1
	s_delay_alu instid0(VALU_DEP_1) | instskip(NEXT) | instid1(SALU_CYCLE_1)
	s_and_saveexec_b32 s2, s1
	s_xor_b32 s1, exec_lo, s2
; %bb.269:                              ;   in Loop: Header=BB458_8 Depth=1
	v_bfe_u32 v1, v0, 16, 1
	s_delay_alu instid0(VALU_DEP_1)
	v_add3_u32 v141, v0, v1, 0x7fff
                                        ; implicit-def: $vgpr0
; %bb.270:                              ;   in Loop: Header=BB458_8 Depth=1
	s_and_not1_saveexec_b32 s2, s1
; %bb.271:                              ;   in Loop: Header=BB458_8 Depth=1
	v_and_b32_e32 v1, 0xffff, v0
	v_or_b32_e32 v2, 0x10000, v0
	s_delay_alu instid0(VALU_DEP_2) | instskip(NEXT) | instid1(VALU_DEP_1)
	v_cmp_eq_u32_e64 s1, 0, v1
	v_cndmask_b32_e64 v141, v2, v0, s1
; %bb.272:                              ;   in Loop: Header=BB458_8 Depth=1
	s_or_b32 exec_lo, exec_lo, s2
	v_lshrrev_b32_e32 v0, 16, v31
	s_mov_b32 s2, exec_lo
	s_delay_alu instid0(VALU_DEP_1) | instskip(NEXT) | instid1(VALU_DEP_1)
	v_dual_mov_b32 v1, 0 :: v_dual_and_b32 v2, 0xff, v0
	v_cmpx_ne_u16_e32 0, v2
	s_cbranch_execz .LBB458_280
; %bb.273:                              ;   in Loop: Header=BB458_8 Depth=1
	v_bfrev_b32_e32 v1, 1
	s_mov_b32 s18, exec_lo
	v_cmpx_ne_u16_e32 0x80, v2
	s_cbranch_execz .LBB458_279
; %bb.274:                              ;   in Loop: Header=BB458_8 Depth=1
	v_bfe_u32 v2, v31, 16, 7
	v_mov_b32_e32 v1, 0x7f800001
	s_mov_b32 s19, exec_lo
	s_delay_alu instid0(VALU_DEP_2)
	v_cmpx_ne_u32_e32 0x7f, v2
	s_cbranch_execz .LBB458_278
; %bb.275:                              ;   in Loop: Header=BB458_8 Depth=1
	v_and_b32_e32 v18, 7, v0
	v_lshrrev_b32_e32 v1, 3, v2
	s_mov_b32 s20, exec_lo
	v_cmpx_gt_u32_e32 8, v2
; %bb.276:                              ;   in Loop: Header=BB458_8 Depth=1
	s_delay_alu instid0(VALU_DEP_3) | instskip(NEXT) | instid1(VALU_DEP_1)
	v_clz_i32_u32_e32 v1, v18
	v_min_u32_e32 v1, 32, v1
	s_delay_alu instid0(VALU_DEP_1) | instskip(SKIP_1) | instid1(VALU_DEP_2)
	v_subrev_nc_u32_e32 v2, 28, v1
	v_sub_nc_u32_e32 v1, 29, v1
	v_lshlrev_b64 v[2:3], v2, v[18:19]
	s_delay_alu instid0(VALU_DEP_1)
	v_and_b32_e32 v18, 7, v2
; %bb.277:                              ;   in Loop: Header=BB458_8 Depth=1
	s_or_b32 exec_lo, exec_lo, s20
	v_lshlrev_b32_e32 v0, 24, v0
	s_delay_alu instid0(VALU_DEP_2) | instskip(SKIP_1) | instid1(VALU_DEP_3)
	v_lshlrev_b32_e32 v2, 20, v18
	v_lshl_add_u32 v1, v1, 23, 0x3c000000
	v_and_b32_e32 v0, 0x80000000, v0
	s_delay_alu instid0(VALU_DEP_1)
	v_or3_b32 v1, v2, v0, v1
.LBB458_278:                            ;   in Loop: Header=BB458_8 Depth=1
	s_or_b32 exec_lo, exec_lo, s19
.LBB458_279:                            ;   in Loop: Header=BB458_8 Depth=1
	s_delay_alu instid0(SALU_CYCLE_1)
	s_or_b32 exec_lo, exec_lo, s18
.LBB458_280:                            ;   in Loop: Header=BB458_8 Depth=1
	s_delay_alu instid0(SALU_CYCLE_1) | instskip(NEXT) | instid1(VALU_DEP_1)
	s_or_b32 exec_lo, exec_lo, s2
	v_mul_f32_e32 v0, v104, v1
                                        ; implicit-def: $vgpr143
	s_delay_alu instid0(VALU_DEP_1) | instskip(NEXT) | instid1(VALU_DEP_1)
	v_and_b32_e32 v1, 0x7f800000, v0
	v_cmp_ne_u32_e64 s1, 0x7f800000, v1
	s_delay_alu instid0(VALU_DEP_1) | instskip(NEXT) | instid1(SALU_CYCLE_1)
	s_and_saveexec_b32 s2, s1
	s_xor_b32 s1, exec_lo, s2
; %bb.281:                              ;   in Loop: Header=BB458_8 Depth=1
	v_bfe_u32 v1, v0, 16, 1
	s_delay_alu instid0(VALU_DEP_1)
	v_add3_u32 v143, v0, v1, 0x7fff
                                        ; implicit-def: $vgpr0
; %bb.282:                              ;   in Loop: Header=BB458_8 Depth=1
	s_and_not1_saveexec_b32 s2, s1
; %bb.283:                              ;   in Loop: Header=BB458_8 Depth=1
	v_and_b32_e32 v1, 0xffff, v0
	v_or_b32_e32 v2, 0x10000, v0
	s_delay_alu instid0(VALU_DEP_2) | instskip(NEXT) | instid1(VALU_DEP_1)
	v_cmp_eq_u32_e64 s1, 0, v1
	v_cndmask_b32_e64 v143, v2, v0, s1
; %bb.284:                              ;   in Loop: Header=BB458_8 Depth=1
	s_or_b32 exec_lo, exec_lo, s2
	v_mov_b32_e32 v1, 0
	s_mov_b32 s2, exec_lo
	v_cmpx_lt_u64_e64 s[8:9], v[30:31]
	s_cbranch_execz .LBB458_292
; %bb.285:                              ;   in Loop: Header=BB458_8 Depth=1
	v_lshrrev_b32_e32 v0, 24, v31
	v_bfrev_b32_e32 v1, 1
	s_mov_b32 s18, exec_lo
	s_delay_alu instid0(VALU_DEP_2)
	v_cmpx_ne_u32_e32 0x80, v0
	s_cbranch_execz .LBB458_291
; %bb.286:                              ;   in Loop: Header=BB458_8 Depth=1
	v_bfe_u32 v2, v31, 24, 7
	v_mov_b32_e32 v1, 0x7f800001
	s_mov_b32 s19, exec_lo
	s_delay_alu instid0(VALU_DEP_2)
	v_cmpx_ne_u32_e32 0x7f, v2
	s_cbranch_execz .LBB458_290
; %bb.287:                              ;   in Loop: Header=BB458_8 Depth=1
	v_and_b32_e32 v18, 7, v0
	v_lshrrev_b32_e32 v1, 3, v2
	s_mov_b32 s20, exec_lo
	v_cmpx_gt_u32_e32 8, v2
; %bb.288:                              ;   in Loop: Header=BB458_8 Depth=1
	s_delay_alu instid0(VALU_DEP_3) | instskip(NEXT) | instid1(VALU_DEP_1)
	v_clz_i32_u32_e32 v1, v18
	v_min_u32_e32 v1, 32, v1
	s_delay_alu instid0(VALU_DEP_1) | instskip(SKIP_1) | instid1(VALU_DEP_2)
	v_subrev_nc_u32_e32 v2, 28, v1
	v_sub_nc_u32_e32 v1, 29, v1
	v_lshlrev_b64 v[2:3], v2, v[18:19]
	s_delay_alu instid0(VALU_DEP_1)
	v_and_b32_e32 v18, 7, v2
; %bb.289:                              ;   in Loop: Header=BB458_8 Depth=1
	s_or_b32 exec_lo, exec_lo, s20
	v_lshlrev_b32_e32 v0, 24, v0
	s_delay_alu instid0(VALU_DEP_2) | instskip(SKIP_1) | instid1(VALU_DEP_3)
	v_lshlrev_b32_e32 v2, 20, v18
	v_lshl_add_u32 v1, v1, 23, 0x3c000000
	v_and_b32_e32 v0, 0x80000000, v0
	s_delay_alu instid0(VALU_DEP_1)
	v_or3_b32 v1, v2, v0, v1
.LBB458_290:                            ;   in Loop: Header=BB458_8 Depth=1
	s_or_b32 exec_lo, exec_lo, s19
.LBB458_291:                            ;   in Loop: Header=BB458_8 Depth=1
	s_delay_alu instid0(SALU_CYCLE_1)
	s_or_b32 exec_lo, exec_lo, s18
.LBB458_292:                            ;   in Loop: Header=BB458_8 Depth=1
	s_delay_alu instid0(SALU_CYCLE_1) | instskip(NEXT) | instid1(VALU_DEP_1)
	s_or_b32 exec_lo, exec_lo, s2
	v_mul_f32_e32 v0, v104, v1
                                        ; implicit-def: $vgpr142
	s_delay_alu instid0(VALU_DEP_1) | instskip(NEXT) | instid1(VALU_DEP_1)
	v_and_b32_e32 v1, 0x7f800000, v0
	v_cmp_ne_u32_e64 s1, 0x7f800000, v1
	s_delay_alu instid0(VALU_DEP_1) | instskip(NEXT) | instid1(SALU_CYCLE_1)
	s_and_saveexec_b32 s2, s1
	s_xor_b32 s1, exec_lo, s2
; %bb.293:                              ;   in Loop: Header=BB458_8 Depth=1
	v_bfe_u32 v1, v0, 16, 1
	s_delay_alu instid0(VALU_DEP_1)
	v_add3_u32 v142, v0, v1, 0x7fff
                                        ; implicit-def: $vgpr0
; %bb.294:                              ;   in Loop: Header=BB458_8 Depth=1
	s_and_not1_saveexec_b32 s2, s1
; %bb.295:                              ;   in Loop: Header=BB458_8 Depth=1
	v_and_b32_e32 v1, 0xffff, v0
	v_or_b32_e32 v2, 0x10000, v0
	s_delay_alu instid0(VALU_DEP_2) | instskip(NEXT) | instid1(VALU_DEP_1)
	v_cmp_eq_u32_e64 s1, 0, v1
	v_cndmask_b32_e64 v142, v2, v0, s1
; %bb.296:                              ;   in Loop: Header=BB458_8 Depth=1
	s_or_b32 exec_lo, exec_lo, s2
	flat_load_b64 v[30:31], v[28:29] offset:520
	s_mov_b32 s2, exec_lo
	s_waitcnt vmcnt(0) lgkmcnt(0)
	v_dual_mov_b32 v0, 0 :: v_dual_and_b32 v1, 0xff, v30
	s_delay_alu instid0(VALU_DEP_1)
	v_cmpx_ne_u16_e32 0, v1
	s_cbranch_execz .LBB458_304
; %bb.297:                              ;   in Loop: Header=BB458_8 Depth=1
	v_bfrev_b32_e32 v0, 1
	s_mov_b32 s18, exec_lo
	v_cmpx_ne_u16_e32 0x80, v1
	s_cbranch_execz .LBB458_303
; %bb.298:                              ;   in Loop: Header=BB458_8 Depth=1
	v_and_b32_e32 v1, 0x7f, v30
	v_mov_b32_e32 v0, 0x7f800001
	s_mov_b32 s19, exec_lo
	s_delay_alu instid0(VALU_DEP_2)
	v_cmpx_ne_u32_e32 0x7f, v1
	s_cbranch_execz .LBB458_302
; %bb.299:                              ;   in Loop: Header=BB458_8 Depth=1
	v_lshrrev_b32_e32 v0, 3, v1
	v_dual_mov_b32 v33, v31 :: v_dual_mov_b32 v32, v30
	s_mov_b32 s20, exec_lo
	v_cmpx_gt_u32_e32 8, v1
; %bb.300:                              ;   in Loop: Header=BB458_8 Depth=1
	v_and_b32_e32 v0, 7, v30
	s_delay_alu instid0(VALU_DEP_1) | instskip(NEXT) | instid1(VALU_DEP_1)
	v_clz_i32_u32_e32 v0, v0
	v_min_u32_e32 v0, 32, v0
	s_delay_alu instid0(VALU_DEP_1) | instskip(SKIP_1) | instid1(VALU_DEP_2)
	v_subrev_nc_u32_e32 v1, 28, v0
	v_sub_nc_u32_e32 v0, 29, v0
	v_lshlrev_b64 v[32:33], v1, v[30:31]
; %bb.301:                              ;   in Loop: Header=BB458_8 Depth=1
	s_or_b32 exec_lo, exec_lo, s20
	s_delay_alu instid0(VALU_DEP_1) | instskip(SKIP_2) | instid1(VALU_DEP_3)
	v_lshlrev_b32_e32 v1, 20, v32
	v_lshlrev_b32_e32 v2, 24, v30
	v_lshl_add_u32 v0, v0, 23, 0x3c000000
	v_and_b32_e32 v1, 0x700000, v1
	s_delay_alu instid0(VALU_DEP_3) | instskip(NEXT) | instid1(VALU_DEP_1)
	v_and_b32_e32 v2, 0x80000000, v2
	v_or3_b32 v0, v1, v2, v0
.LBB458_302:                            ;   in Loop: Header=BB458_8 Depth=1
	s_or_b32 exec_lo, exec_lo, s19
.LBB458_303:                            ;   in Loop: Header=BB458_8 Depth=1
	s_delay_alu instid0(SALU_CYCLE_1)
	s_or_b32 exec_lo, exec_lo, s18
.LBB458_304:                            ;   in Loop: Header=BB458_8 Depth=1
	s_delay_alu instid0(SALU_CYCLE_1) | instskip(NEXT) | instid1(VALU_DEP_1)
	s_or_b32 exec_lo, exec_lo, s2
	v_mul_f32_e32 v0, v104, v0
                                        ; implicit-def: $vgpr152
	s_delay_alu instid0(VALU_DEP_1) | instskip(NEXT) | instid1(VALU_DEP_1)
	v_and_b32_e32 v1, 0x7f800000, v0
	v_cmp_ne_u32_e64 s1, 0x7f800000, v1
	s_delay_alu instid0(VALU_DEP_1) | instskip(NEXT) | instid1(SALU_CYCLE_1)
	s_and_saveexec_b32 s2, s1
	s_xor_b32 s1, exec_lo, s2
; %bb.305:                              ;   in Loop: Header=BB458_8 Depth=1
	v_bfe_u32 v1, v0, 16, 1
	s_delay_alu instid0(VALU_DEP_1)
	v_add3_u32 v152, v0, v1, 0x7fff
                                        ; implicit-def: $vgpr0
; %bb.306:                              ;   in Loop: Header=BB458_8 Depth=1
	s_and_not1_saveexec_b32 s2, s1
; %bb.307:                              ;   in Loop: Header=BB458_8 Depth=1
	v_and_b32_e32 v1, 0xffff, v0
	v_or_b32_e32 v2, 0x10000, v0
	s_delay_alu instid0(VALU_DEP_2) | instskip(NEXT) | instid1(VALU_DEP_1)
	v_cmp_eq_u32_e64 s1, 0, v1
	v_cndmask_b32_e64 v152, v2, v0, s1
; %bb.308:                              ;   in Loop: Header=BB458_8 Depth=1
	s_or_b32 exec_lo, exec_lo, s2
	v_lshrrev_b16 v1, 8, v30
	v_mov_b32_e32 v0, 0
	s_mov_b32 s2, exec_lo
	s_delay_alu instid0(VALU_DEP_2)
	v_cmpx_ne_u16_e32 0, v1
	s_cbranch_execz .LBB458_316
; %bb.309:                              ;   in Loop: Header=BB458_8 Depth=1
	v_bfrev_b32_e32 v0, 1
	s_mov_b32 s18, exec_lo
	v_cmpx_ne_u16_e32 0x80, v1
	s_cbranch_execz .LBB458_315
; %bb.310:                              ;   in Loop: Header=BB458_8 Depth=1
	v_and_b32_e32 v2, 0xffff, v1
	v_mov_b32_e32 v0, 0x7f800001
	s_mov_b32 s19, exec_lo
	s_delay_alu instid0(VALU_DEP_2) | instskip(NEXT) | instid1(VALU_DEP_1)
	v_and_b32_e32 v1, 0x7f, v2
	v_cmpx_ne_u32_e32 0x7f, v1
	s_cbranch_execz .LBB458_314
; %bb.311:                              ;   in Loop: Header=BB458_8 Depth=1
	v_and_b32_e32 v18, 7, v2
	v_lshrrev_b32_e32 v0, 3, v1
	s_mov_b32 s20, exec_lo
	v_cmpx_gt_u32_e32 8, v1
; %bb.312:                              ;   in Loop: Header=BB458_8 Depth=1
	s_delay_alu instid0(VALU_DEP_3) | instskip(NEXT) | instid1(VALU_DEP_1)
	v_clz_i32_u32_e32 v0, v18
	v_min_u32_e32 v0, 32, v0
	s_delay_alu instid0(VALU_DEP_1) | instskip(SKIP_1) | instid1(VALU_DEP_2)
	v_subrev_nc_u32_e32 v1, 28, v0
	v_sub_nc_u32_e32 v0, 29, v0
	v_lshlrev_b64 v[1:2], v1, v[18:19]
	s_delay_alu instid0(VALU_DEP_1)
	v_and_b32_e32 v18, 7, v1
; %bb.313:                              ;   in Loop: Header=BB458_8 Depth=1
	s_or_b32 exec_lo, exec_lo, s20
	v_lshlrev_b32_e32 v1, 16, v30
	s_delay_alu instid0(VALU_DEP_2) | instskip(SKIP_1) | instid1(VALU_DEP_3)
	v_lshlrev_b32_e32 v2, 20, v18
	v_lshl_add_u32 v0, v0, 23, 0x3c000000
	v_and_b32_e32 v1, 0x80000000, v1
	s_delay_alu instid0(VALU_DEP_1)
	v_or3_b32 v0, v2, v1, v0
.LBB458_314:                            ;   in Loop: Header=BB458_8 Depth=1
	s_or_b32 exec_lo, exec_lo, s19
.LBB458_315:                            ;   in Loop: Header=BB458_8 Depth=1
	s_delay_alu instid0(SALU_CYCLE_1)
	s_or_b32 exec_lo, exec_lo, s18
.LBB458_316:                            ;   in Loop: Header=BB458_8 Depth=1
	s_delay_alu instid0(SALU_CYCLE_1) | instskip(NEXT) | instid1(VALU_DEP_1)
	s_or_b32 exec_lo, exec_lo, s2
	v_mul_f32_e32 v0, v104, v0
                                        ; implicit-def: $vgpr153
	s_delay_alu instid0(VALU_DEP_1) | instskip(NEXT) | instid1(VALU_DEP_1)
	v_and_b32_e32 v1, 0x7f800000, v0
	v_cmp_ne_u32_e64 s1, 0x7f800000, v1
	s_delay_alu instid0(VALU_DEP_1) | instskip(NEXT) | instid1(SALU_CYCLE_1)
	s_and_saveexec_b32 s2, s1
	s_xor_b32 s1, exec_lo, s2
; %bb.317:                              ;   in Loop: Header=BB458_8 Depth=1
	v_bfe_u32 v1, v0, 16, 1
	s_delay_alu instid0(VALU_DEP_1)
	v_add3_u32 v153, v0, v1, 0x7fff
                                        ; implicit-def: $vgpr0
; %bb.318:                              ;   in Loop: Header=BB458_8 Depth=1
	s_and_not1_saveexec_b32 s2, s1
; %bb.319:                              ;   in Loop: Header=BB458_8 Depth=1
	v_and_b32_e32 v1, 0xffff, v0
	v_or_b32_e32 v2, 0x10000, v0
	s_delay_alu instid0(VALU_DEP_2) | instskip(NEXT) | instid1(VALU_DEP_1)
	v_cmp_eq_u32_e64 s1, 0, v1
	v_cndmask_b32_e64 v153, v2, v0, s1
; %bb.320:                              ;   in Loop: Header=BB458_8 Depth=1
	s_or_b32 exec_lo, exec_lo, s2
	v_lshrrev_b32_e32 v0, 16, v30
	s_mov_b32 s2, exec_lo
	s_delay_alu instid0(VALU_DEP_1) | instskip(NEXT) | instid1(VALU_DEP_1)
	v_dual_mov_b32 v1, 0 :: v_dual_and_b32 v2, 0xff, v0
	v_cmpx_ne_u16_e32 0, v2
	s_cbranch_execz .LBB458_328
; %bb.321:                              ;   in Loop: Header=BB458_8 Depth=1
	v_bfrev_b32_e32 v1, 1
	s_mov_b32 s18, exec_lo
	v_cmpx_ne_u16_e32 0x80, v2
	s_cbranch_execz .LBB458_327
; %bb.322:                              ;   in Loop: Header=BB458_8 Depth=1
	v_bfe_u32 v2, v30, 16, 7
	v_mov_b32_e32 v1, 0x7f800001
	s_mov_b32 s19, exec_lo
	s_delay_alu instid0(VALU_DEP_2)
	v_cmpx_ne_u32_e32 0x7f, v2
	s_cbranch_execz .LBB458_326
; %bb.323:                              ;   in Loop: Header=BB458_8 Depth=1
	v_and_b32_e32 v18, 7, v0
	v_lshrrev_b32_e32 v1, 3, v2
	s_mov_b32 s20, exec_lo
	v_cmpx_gt_u32_e32 8, v2
; %bb.324:                              ;   in Loop: Header=BB458_8 Depth=1
	s_delay_alu instid0(VALU_DEP_3) | instskip(NEXT) | instid1(VALU_DEP_1)
	v_clz_i32_u32_e32 v1, v18
	v_min_u32_e32 v1, 32, v1
	s_delay_alu instid0(VALU_DEP_1) | instskip(SKIP_1) | instid1(VALU_DEP_2)
	v_subrev_nc_u32_e32 v2, 28, v1
	v_sub_nc_u32_e32 v1, 29, v1
	v_lshlrev_b64 v[2:3], v2, v[18:19]
	s_delay_alu instid0(VALU_DEP_1)
	v_and_b32_e32 v18, 7, v2
; %bb.325:                              ;   in Loop: Header=BB458_8 Depth=1
	s_or_b32 exec_lo, exec_lo, s20
	v_lshlrev_b32_e32 v0, 24, v0
	s_delay_alu instid0(VALU_DEP_2) | instskip(SKIP_1) | instid1(VALU_DEP_3)
	v_lshlrev_b32_e32 v2, 20, v18
	v_lshl_add_u32 v1, v1, 23, 0x3c000000
	v_and_b32_e32 v0, 0x80000000, v0
	s_delay_alu instid0(VALU_DEP_1)
	v_or3_b32 v1, v2, v0, v1
.LBB458_326:                            ;   in Loop: Header=BB458_8 Depth=1
	s_or_b32 exec_lo, exec_lo, s19
.LBB458_327:                            ;   in Loop: Header=BB458_8 Depth=1
	s_delay_alu instid0(SALU_CYCLE_1)
	s_or_b32 exec_lo, exec_lo, s18
.LBB458_328:                            ;   in Loop: Header=BB458_8 Depth=1
	s_delay_alu instid0(SALU_CYCLE_1) | instskip(NEXT) | instid1(VALU_DEP_1)
	s_or_b32 exec_lo, exec_lo, s2
	v_mul_f32_e32 v0, v104, v1
                                        ; implicit-def: $vgpr154
	s_delay_alu instid0(VALU_DEP_1) | instskip(NEXT) | instid1(VALU_DEP_1)
	v_and_b32_e32 v1, 0x7f800000, v0
	v_cmp_ne_u32_e64 s1, 0x7f800000, v1
	s_delay_alu instid0(VALU_DEP_1) | instskip(NEXT) | instid1(SALU_CYCLE_1)
	s_and_saveexec_b32 s2, s1
	s_xor_b32 s1, exec_lo, s2
; %bb.329:                              ;   in Loop: Header=BB458_8 Depth=1
	v_bfe_u32 v1, v0, 16, 1
	s_delay_alu instid0(VALU_DEP_1)
	v_add3_u32 v154, v0, v1, 0x7fff
                                        ; implicit-def: $vgpr0
; %bb.330:                              ;   in Loop: Header=BB458_8 Depth=1
	s_and_not1_saveexec_b32 s2, s1
; %bb.331:                              ;   in Loop: Header=BB458_8 Depth=1
	v_and_b32_e32 v1, 0xffff, v0
	v_or_b32_e32 v2, 0x10000, v0
	s_delay_alu instid0(VALU_DEP_2) | instskip(NEXT) | instid1(VALU_DEP_1)
	v_cmp_eq_u32_e64 s1, 0, v1
	v_cndmask_b32_e64 v154, v2, v0, s1
; %bb.332:                              ;   in Loop: Header=BB458_8 Depth=1
	s_or_b32 exec_lo, exec_lo, s2
	v_mov_b32_e32 v1, 0
	s_mov_b32 s2, exec_lo
	v_cmpx_lt_u32_e32 0xffffff, v30
	s_cbranch_execz .LBB458_340
; %bb.333:                              ;   in Loop: Header=BB458_8 Depth=1
	v_lshrrev_b32_e32 v0, 24, v30
	v_bfrev_b32_e32 v1, 1
	s_mov_b32 s18, exec_lo
	s_delay_alu instid0(VALU_DEP_2)
	v_cmpx_ne_u32_e32 0x80, v0
	s_cbranch_execz .LBB458_339
; %bb.334:                              ;   in Loop: Header=BB458_8 Depth=1
	v_bfe_u32 v2, v30, 24, 7
	v_mov_b32_e32 v1, 0x7f800001
	s_mov_b32 s19, exec_lo
	s_delay_alu instid0(VALU_DEP_2)
	v_cmpx_ne_u32_e32 0x7f, v2
	s_cbranch_execz .LBB458_338
; %bb.335:                              ;   in Loop: Header=BB458_8 Depth=1
	v_and_b32_e32 v18, 7, v0
	v_lshrrev_b32_e32 v1, 3, v2
	s_mov_b32 s20, exec_lo
	v_cmpx_gt_u32_e32 8, v2
; %bb.336:                              ;   in Loop: Header=BB458_8 Depth=1
	s_delay_alu instid0(VALU_DEP_3) | instskip(NEXT) | instid1(VALU_DEP_1)
	v_clz_i32_u32_e32 v1, v18
	v_min_u32_e32 v1, 32, v1
	s_delay_alu instid0(VALU_DEP_1) | instskip(SKIP_1) | instid1(VALU_DEP_2)
	v_subrev_nc_u32_e32 v2, 28, v1
	v_sub_nc_u32_e32 v1, 29, v1
	v_lshlrev_b64 v[2:3], v2, v[18:19]
	s_delay_alu instid0(VALU_DEP_1)
	v_and_b32_e32 v18, 7, v2
; %bb.337:                              ;   in Loop: Header=BB458_8 Depth=1
	s_or_b32 exec_lo, exec_lo, s20
	v_lshlrev_b32_e32 v0, 24, v0
	s_delay_alu instid0(VALU_DEP_2) | instskip(SKIP_1) | instid1(VALU_DEP_3)
	v_lshlrev_b32_e32 v2, 20, v18
	v_lshl_add_u32 v1, v1, 23, 0x3c000000
	v_and_b32_e32 v0, 0x80000000, v0
	s_delay_alu instid0(VALU_DEP_1)
	v_or3_b32 v1, v2, v0, v1
.LBB458_338:                            ;   in Loop: Header=BB458_8 Depth=1
	s_or_b32 exec_lo, exec_lo, s19
.LBB458_339:                            ;   in Loop: Header=BB458_8 Depth=1
	s_delay_alu instid0(SALU_CYCLE_1)
	s_or_b32 exec_lo, exec_lo, s18
.LBB458_340:                            ;   in Loop: Header=BB458_8 Depth=1
	s_delay_alu instid0(SALU_CYCLE_1) | instskip(NEXT) | instid1(VALU_DEP_1)
	s_or_b32 exec_lo, exec_lo, s2
	v_mul_f32_e32 v0, v104, v1
                                        ; implicit-def: $vgpr155
	s_delay_alu instid0(VALU_DEP_1) | instskip(NEXT) | instid1(VALU_DEP_1)
	v_and_b32_e32 v1, 0x7f800000, v0
	v_cmp_ne_u32_e64 s1, 0x7f800000, v1
	s_delay_alu instid0(VALU_DEP_1) | instskip(NEXT) | instid1(SALU_CYCLE_1)
	s_and_saveexec_b32 s2, s1
	s_xor_b32 s1, exec_lo, s2
; %bb.341:                              ;   in Loop: Header=BB458_8 Depth=1
	v_bfe_u32 v1, v0, 16, 1
	s_delay_alu instid0(VALU_DEP_1)
	v_add3_u32 v155, v0, v1, 0x7fff
                                        ; implicit-def: $vgpr0
; %bb.342:                              ;   in Loop: Header=BB458_8 Depth=1
	s_and_not1_saveexec_b32 s2, s1
; %bb.343:                              ;   in Loop: Header=BB458_8 Depth=1
	v_and_b32_e32 v1, 0xffff, v0
	v_or_b32_e32 v2, 0x10000, v0
	s_delay_alu instid0(VALU_DEP_2) | instskip(NEXT) | instid1(VALU_DEP_1)
	v_cmp_eq_u32_e64 s1, 0, v1
	v_cndmask_b32_e64 v155, v2, v0, s1
; %bb.344:                              ;   in Loop: Header=BB458_8 Depth=1
	s_or_b32 exec_lo, exec_lo, s2
	v_dual_mov_b32 v18, v31 :: v_dual_and_b32 v1, 0xff, v31
	v_mov_b32_e32 v0, 0
	s_mov_b32 s2, exec_lo
	s_delay_alu instid0(VALU_DEP_2)
	v_cmpx_ne_u16_e32 0, v1
	s_cbranch_execz .LBB458_352
; %bb.345:                              ;   in Loop: Header=BB458_8 Depth=1
	v_bfrev_b32_e32 v0, 1
	s_mov_b32 s18, exec_lo
	v_cmpx_ne_u16_e32 0x80, v1
	s_cbranch_execz .LBB458_351
; %bb.346:                              ;   in Loop: Header=BB458_8 Depth=1
	v_and_b32_e32 v1, 0x7f, v31
	v_mov_b32_e32 v0, 0x7f800001
	s_mov_b32 s19, exec_lo
	s_delay_alu instid0(VALU_DEP_2)
	v_cmpx_ne_u32_e32 0x7f, v1
	s_cbranch_execz .LBB458_350
; %bb.347:                              ;   in Loop: Header=BB458_8 Depth=1
	v_lshrrev_b32_e32 v0, 3, v1
	v_dual_mov_b32 v33, v19 :: v_dual_mov_b32 v32, v18
	s_mov_b32 s20, exec_lo
	v_cmpx_gt_u32_e32 8, v1
; %bb.348:                              ;   in Loop: Header=BB458_8 Depth=1
	v_and_b32_e32 v0, 7, v31
	s_delay_alu instid0(VALU_DEP_1) | instskip(NEXT) | instid1(VALU_DEP_1)
	v_clz_i32_u32_e32 v0, v0
	v_min_u32_e32 v0, 32, v0
	s_delay_alu instid0(VALU_DEP_1) | instskip(SKIP_1) | instid1(VALU_DEP_2)
	v_subrev_nc_u32_e32 v1, 28, v0
	v_sub_nc_u32_e32 v0, 29, v0
	v_lshlrev_b64 v[32:33], v1, v[18:19]
; %bb.349:                              ;   in Loop: Header=BB458_8 Depth=1
	s_or_b32 exec_lo, exec_lo, s20
	s_delay_alu instid0(VALU_DEP_1) | instskip(SKIP_2) | instid1(VALU_DEP_3)
	v_lshlrev_b32_e32 v1, 20, v32
	v_lshlrev_b32_e32 v2, 24, v18
	v_lshl_add_u32 v0, v0, 23, 0x3c000000
	v_and_b32_e32 v1, 0x700000, v1
	s_delay_alu instid0(VALU_DEP_3) | instskip(NEXT) | instid1(VALU_DEP_1)
	v_and_b32_e32 v2, 0x80000000, v2
	v_or3_b32 v0, v1, v2, v0
.LBB458_350:                            ;   in Loop: Header=BB458_8 Depth=1
	s_or_b32 exec_lo, exec_lo, s19
.LBB458_351:                            ;   in Loop: Header=BB458_8 Depth=1
	s_delay_alu instid0(SALU_CYCLE_1)
	s_or_b32 exec_lo, exec_lo, s18
.LBB458_352:                            ;   in Loop: Header=BB458_8 Depth=1
	s_delay_alu instid0(SALU_CYCLE_1) | instskip(NEXT) | instid1(VALU_DEP_1)
	s_or_b32 exec_lo, exec_lo, s2
	v_mul_f32_e32 v0, v104, v0
                                        ; implicit-def: $vgpr156
	s_delay_alu instid0(VALU_DEP_1) | instskip(NEXT) | instid1(VALU_DEP_1)
	v_and_b32_e32 v1, 0x7f800000, v0
	v_cmp_ne_u32_e64 s1, 0x7f800000, v1
	s_delay_alu instid0(VALU_DEP_1) | instskip(NEXT) | instid1(SALU_CYCLE_1)
	s_and_saveexec_b32 s2, s1
	s_xor_b32 s1, exec_lo, s2
; %bb.353:                              ;   in Loop: Header=BB458_8 Depth=1
	v_bfe_u32 v1, v0, 16, 1
	s_delay_alu instid0(VALU_DEP_1)
	v_add3_u32 v156, v0, v1, 0x7fff
                                        ; implicit-def: $vgpr0
; %bb.354:                              ;   in Loop: Header=BB458_8 Depth=1
	s_and_not1_saveexec_b32 s2, s1
; %bb.355:                              ;   in Loop: Header=BB458_8 Depth=1
	v_and_b32_e32 v1, 0xffff, v0
	v_or_b32_e32 v2, 0x10000, v0
	s_delay_alu instid0(VALU_DEP_2) | instskip(NEXT) | instid1(VALU_DEP_1)
	v_cmp_eq_u32_e64 s1, 0, v1
	v_cndmask_b32_e64 v156, v2, v0, s1
; %bb.356:                              ;   in Loop: Header=BB458_8 Depth=1
	s_or_b32 exec_lo, exec_lo, s2
	v_lshrrev_b16 v1, 8, v18
	v_mov_b32_e32 v0, 0
	s_mov_b32 s2, exec_lo
	s_delay_alu instid0(VALU_DEP_2)
	v_cmpx_ne_u16_e32 0, v1
	s_cbranch_execz .LBB458_364
; %bb.357:                              ;   in Loop: Header=BB458_8 Depth=1
	v_bfrev_b32_e32 v0, 1
	s_mov_b32 s18, exec_lo
	v_cmpx_ne_u16_e32 0x80, v1
	s_cbranch_execz .LBB458_363
; %bb.358:                              ;   in Loop: Header=BB458_8 Depth=1
	v_and_b32_e32 v2, 0xffff, v1
	v_mov_b32_e32 v0, 0x7f800001
	s_mov_b32 s19, exec_lo
	s_delay_alu instid0(VALU_DEP_2) | instskip(NEXT) | instid1(VALU_DEP_1)
	v_and_b32_e32 v1, 0x7f, v2
	v_cmpx_ne_u32_e32 0x7f, v1
	s_cbranch_execz .LBB458_362
; %bb.359:                              ;   in Loop: Header=BB458_8 Depth=1
	v_dual_mov_b32 v33, v19 :: v_dual_and_b32 v32, 7, v2
	v_lshrrev_b32_e32 v0, 3, v1
	s_mov_b32 s20, exec_lo
	v_cmpx_gt_u32_e32 8, v1
; %bb.360:                              ;   in Loop: Header=BB458_8 Depth=1
	s_delay_alu instid0(VALU_DEP_3) | instskip(NEXT) | instid1(VALU_DEP_1)
	v_clz_i32_u32_e32 v0, v32
	v_min_u32_e32 v0, 32, v0
	s_delay_alu instid0(VALU_DEP_1) | instskip(SKIP_1) | instid1(VALU_DEP_2)
	v_subrev_nc_u32_e32 v1, 28, v0
	v_sub_nc_u32_e32 v0, 29, v0
	v_lshlrev_b64 v[1:2], v1, v[32:33]
	s_delay_alu instid0(VALU_DEP_1)
	v_and_b32_e32 v32, 7, v1
; %bb.361:                              ;   in Loop: Header=BB458_8 Depth=1
	s_or_b32 exec_lo, exec_lo, s20
	v_lshlrev_b32_e32 v1, 16, v18
	s_delay_alu instid0(VALU_DEP_2) | instskip(SKIP_1) | instid1(VALU_DEP_3)
	v_lshlrev_b32_e32 v2, 20, v32
	v_lshl_add_u32 v0, v0, 23, 0x3c000000
	v_and_b32_e32 v1, 0x80000000, v1
	s_delay_alu instid0(VALU_DEP_1)
	v_or3_b32 v0, v2, v1, v0
.LBB458_362:                            ;   in Loop: Header=BB458_8 Depth=1
	s_or_b32 exec_lo, exec_lo, s19
.LBB458_363:                            ;   in Loop: Header=BB458_8 Depth=1
	s_delay_alu instid0(SALU_CYCLE_1)
	s_or_b32 exec_lo, exec_lo, s18
.LBB458_364:                            ;   in Loop: Header=BB458_8 Depth=1
	s_delay_alu instid0(SALU_CYCLE_1) | instskip(NEXT) | instid1(VALU_DEP_1)
	s_or_b32 exec_lo, exec_lo, s2
	v_mul_f32_e32 v0, v104, v0
                                        ; implicit-def: $vgpr157
	s_delay_alu instid0(VALU_DEP_1) | instskip(NEXT) | instid1(VALU_DEP_1)
	v_and_b32_e32 v1, 0x7f800000, v0
	v_cmp_ne_u32_e64 s1, 0x7f800000, v1
	s_delay_alu instid0(VALU_DEP_1) | instskip(NEXT) | instid1(SALU_CYCLE_1)
	s_and_saveexec_b32 s2, s1
	s_xor_b32 s1, exec_lo, s2
; %bb.365:                              ;   in Loop: Header=BB458_8 Depth=1
	v_bfe_u32 v1, v0, 16, 1
	s_delay_alu instid0(VALU_DEP_1)
	v_add3_u32 v157, v0, v1, 0x7fff
                                        ; implicit-def: $vgpr0
; %bb.366:                              ;   in Loop: Header=BB458_8 Depth=1
	s_and_not1_saveexec_b32 s2, s1
; %bb.367:                              ;   in Loop: Header=BB458_8 Depth=1
	v_and_b32_e32 v1, 0xffff, v0
	v_or_b32_e32 v2, 0x10000, v0
	s_delay_alu instid0(VALU_DEP_2) | instskip(NEXT) | instid1(VALU_DEP_1)
	v_cmp_eq_u32_e64 s1, 0, v1
	v_cndmask_b32_e64 v157, v2, v0, s1
; %bb.368:                              ;   in Loop: Header=BB458_8 Depth=1
	s_or_b32 exec_lo, exec_lo, s2
	v_lshrrev_b32_e32 v0, 16, v31
	s_mov_b32 s2, exec_lo
	s_delay_alu instid0(VALU_DEP_1) | instskip(NEXT) | instid1(VALU_DEP_1)
	v_dual_mov_b32 v1, 0 :: v_dual_and_b32 v2, 0xff, v0
	v_cmpx_ne_u16_e32 0, v2
	s_cbranch_execz .LBB458_376
; %bb.369:                              ;   in Loop: Header=BB458_8 Depth=1
	v_bfrev_b32_e32 v1, 1
	s_mov_b32 s18, exec_lo
	v_cmpx_ne_u16_e32 0x80, v2
	s_cbranch_execz .LBB458_375
; %bb.370:                              ;   in Loop: Header=BB458_8 Depth=1
	v_bfe_u32 v2, v31, 16, 7
	v_mov_b32_e32 v1, 0x7f800001
	s_mov_b32 s19, exec_lo
	s_delay_alu instid0(VALU_DEP_2)
	v_cmpx_ne_u32_e32 0x7f, v2
	s_cbranch_execz .LBB458_374
; %bb.371:                              ;   in Loop: Header=BB458_8 Depth=1
	v_and_b32_e32 v18, 7, v0
	v_lshrrev_b32_e32 v1, 3, v2
	s_mov_b32 s20, exec_lo
	v_cmpx_gt_u32_e32 8, v2
; %bb.372:                              ;   in Loop: Header=BB458_8 Depth=1
	s_delay_alu instid0(VALU_DEP_3) | instskip(NEXT) | instid1(VALU_DEP_1)
	v_clz_i32_u32_e32 v1, v18
	v_min_u32_e32 v1, 32, v1
	s_delay_alu instid0(VALU_DEP_1) | instskip(SKIP_1) | instid1(VALU_DEP_2)
	v_subrev_nc_u32_e32 v2, 28, v1
	v_sub_nc_u32_e32 v1, 29, v1
	v_lshlrev_b64 v[2:3], v2, v[18:19]
	s_delay_alu instid0(VALU_DEP_1)
	v_and_b32_e32 v18, 7, v2
; %bb.373:                              ;   in Loop: Header=BB458_8 Depth=1
	s_or_b32 exec_lo, exec_lo, s20
	v_lshlrev_b32_e32 v0, 24, v0
	s_delay_alu instid0(VALU_DEP_2) | instskip(SKIP_1) | instid1(VALU_DEP_3)
	v_lshlrev_b32_e32 v2, 20, v18
	v_lshl_add_u32 v1, v1, 23, 0x3c000000
	v_and_b32_e32 v0, 0x80000000, v0
	s_delay_alu instid0(VALU_DEP_1)
	v_or3_b32 v1, v2, v0, v1
.LBB458_374:                            ;   in Loop: Header=BB458_8 Depth=1
	s_or_b32 exec_lo, exec_lo, s19
.LBB458_375:                            ;   in Loop: Header=BB458_8 Depth=1
	s_delay_alu instid0(SALU_CYCLE_1)
	s_or_b32 exec_lo, exec_lo, s18
.LBB458_376:                            ;   in Loop: Header=BB458_8 Depth=1
	s_delay_alu instid0(SALU_CYCLE_1) | instskip(NEXT) | instid1(VALU_DEP_1)
	s_or_b32 exec_lo, exec_lo, s2
	v_mul_f32_e32 v0, v104, v1
                                        ; implicit-def: $vgpr158
	s_delay_alu instid0(VALU_DEP_1) | instskip(NEXT) | instid1(VALU_DEP_1)
	v_and_b32_e32 v1, 0x7f800000, v0
	v_cmp_ne_u32_e64 s1, 0x7f800000, v1
	s_delay_alu instid0(VALU_DEP_1) | instskip(NEXT) | instid1(SALU_CYCLE_1)
	s_and_saveexec_b32 s2, s1
	s_xor_b32 s1, exec_lo, s2
; %bb.377:                              ;   in Loop: Header=BB458_8 Depth=1
	v_bfe_u32 v1, v0, 16, 1
	s_delay_alu instid0(VALU_DEP_1)
	v_add3_u32 v158, v0, v1, 0x7fff
                                        ; implicit-def: $vgpr0
; %bb.378:                              ;   in Loop: Header=BB458_8 Depth=1
	s_and_not1_saveexec_b32 s2, s1
; %bb.379:                              ;   in Loop: Header=BB458_8 Depth=1
	v_and_b32_e32 v1, 0xffff, v0
	v_or_b32_e32 v2, 0x10000, v0
	s_delay_alu instid0(VALU_DEP_2) | instskip(NEXT) | instid1(VALU_DEP_1)
	v_cmp_eq_u32_e64 s1, 0, v1
	v_cndmask_b32_e64 v158, v2, v0, s1
; %bb.380:                              ;   in Loop: Header=BB458_8 Depth=1
	s_or_b32 exec_lo, exec_lo, s2
	v_mov_b32_e32 v1, 0
	s_mov_b32 s2, exec_lo
	v_cmpx_lt_u64_e64 s[8:9], v[30:31]
	s_cbranch_execz .LBB458_388
; %bb.381:                              ;   in Loop: Header=BB458_8 Depth=1
	v_lshrrev_b32_e32 v0, 24, v31
	v_bfrev_b32_e32 v1, 1
	s_mov_b32 s18, exec_lo
	s_delay_alu instid0(VALU_DEP_2)
	v_cmpx_ne_u32_e32 0x80, v0
	s_cbranch_execz .LBB458_387
; %bb.382:                              ;   in Loop: Header=BB458_8 Depth=1
	v_bfe_u32 v2, v31, 24, 7
	v_mov_b32_e32 v1, 0x7f800001
	s_mov_b32 s19, exec_lo
	s_delay_alu instid0(VALU_DEP_2)
	v_cmpx_ne_u32_e32 0x7f, v2
	s_cbranch_execz .LBB458_386
; %bb.383:                              ;   in Loop: Header=BB458_8 Depth=1
	v_and_b32_e32 v18, 7, v0
	v_lshrrev_b32_e32 v1, 3, v2
	s_mov_b32 s20, exec_lo
	v_cmpx_gt_u32_e32 8, v2
; %bb.384:                              ;   in Loop: Header=BB458_8 Depth=1
	s_delay_alu instid0(VALU_DEP_3) | instskip(NEXT) | instid1(VALU_DEP_1)
	v_clz_i32_u32_e32 v1, v18
	v_min_u32_e32 v1, 32, v1
	s_delay_alu instid0(VALU_DEP_1) | instskip(SKIP_1) | instid1(VALU_DEP_2)
	v_subrev_nc_u32_e32 v2, 28, v1
	v_sub_nc_u32_e32 v1, 29, v1
	v_lshlrev_b64 v[2:3], v2, v[18:19]
	s_delay_alu instid0(VALU_DEP_1)
	v_and_b32_e32 v18, 7, v2
; %bb.385:                              ;   in Loop: Header=BB458_8 Depth=1
	s_or_b32 exec_lo, exec_lo, s20
	v_lshlrev_b32_e32 v0, 24, v0
	s_delay_alu instid0(VALU_DEP_2) | instskip(SKIP_1) | instid1(VALU_DEP_3)
	v_lshlrev_b32_e32 v2, 20, v18
	v_lshl_add_u32 v1, v1, 23, 0x3c000000
	v_and_b32_e32 v0, 0x80000000, v0
	s_delay_alu instid0(VALU_DEP_1)
	v_or3_b32 v1, v2, v0, v1
.LBB458_386:                            ;   in Loop: Header=BB458_8 Depth=1
	s_or_b32 exec_lo, exec_lo, s19
.LBB458_387:                            ;   in Loop: Header=BB458_8 Depth=1
	s_delay_alu instid0(SALU_CYCLE_1)
	s_or_b32 exec_lo, exec_lo, s18
.LBB458_388:                            ;   in Loop: Header=BB458_8 Depth=1
	s_delay_alu instid0(SALU_CYCLE_1) | instskip(NEXT) | instid1(VALU_DEP_1)
	s_or_b32 exec_lo, exec_lo, s2
	v_mul_f32_e32 v0, v104, v1
                                        ; implicit-def: $vgpr159
	s_delay_alu instid0(VALU_DEP_1) | instskip(NEXT) | instid1(VALU_DEP_1)
	v_and_b32_e32 v1, 0x7f800000, v0
	v_cmp_ne_u32_e64 s1, 0x7f800000, v1
	s_delay_alu instid0(VALU_DEP_1) | instskip(NEXT) | instid1(SALU_CYCLE_1)
	s_and_saveexec_b32 s2, s1
	s_xor_b32 s1, exec_lo, s2
; %bb.389:                              ;   in Loop: Header=BB458_8 Depth=1
	v_bfe_u32 v1, v0, 16, 1
	s_delay_alu instid0(VALU_DEP_1)
	v_add3_u32 v159, v0, v1, 0x7fff
                                        ; implicit-def: $vgpr0
; %bb.390:                              ;   in Loop: Header=BB458_8 Depth=1
	s_and_not1_saveexec_b32 s2, s1
; %bb.391:                              ;   in Loop: Header=BB458_8 Depth=1
	v_and_b32_e32 v1, 0xffff, v0
	v_or_b32_e32 v2, 0x10000, v0
	s_delay_alu instid0(VALU_DEP_2) | instskip(NEXT) | instid1(VALU_DEP_1)
	v_cmp_eq_u32_e64 s1, 0, v1
	v_cndmask_b32_e64 v159, v2, v0, s1
; %bb.392:                              ;   in Loop: Header=BB458_8 Depth=1
	s_or_b32 exec_lo, exec_lo, s2
	flat_load_b64 v[30:31], v[28:29] offset:1024
	s_mov_b32 s2, exec_lo
	s_waitcnt vmcnt(0) lgkmcnt(0)
	v_dual_mov_b32 v0, 0 :: v_dual_and_b32 v1, 0xff, v30
	s_delay_alu instid0(VALU_DEP_1)
	v_cmpx_ne_u16_e32 0, v1
	s_cbranch_execz .LBB458_400
; %bb.393:                              ;   in Loop: Header=BB458_8 Depth=1
	v_bfrev_b32_e32 v0, 1
	s_mov_b32 s18, exec_lo
	v_cmpx_ne_u16_e32 0x80, v1
	s_cbranch_execz .LBB458_399
; %bb.394:                              ;   in Loop: Header=BB458_8 Depth=1
	v_and_b32_e32 v1, 0x7f, v30
	v_mov_b32_e32 v0, 0x7f800001
	s_mov_b32 s19, exec_lo
	s_delay_alu instid0(VALU_DEP_2)
	v_cmpx_ne_u32_e32 0x7f, v1
	s_cbranch_execz .LBB458_398
; %bb.395:                              ;   in Loop: Header=BB458_8 Depth=1
	v_lshrrev_b32_e32 v0, 3, v1
	v_dual_mov_b32 v33, v31 :: v_dual_mov_b32 v32, v30
	s_mov_b32 s20, exec_lo
	v_cmpx_gt_u32_e32 8, v1
; %bb.396:                              ;   in Loop: Header=BB458_8 Depth=1
	v_and_b32_e32 v0, 7, v30
	s_delay_alu instid0(VALU_DEP_1) | instskip(NEXT) | instid1(VALU_DEP_1)
	v_clz_i32_u32_e32 v0, v0
	v_min_u32_e32 v0, 32, v0
	s_delay_alu instid0(VALU_DEP_1) | instskip(SKIP_1) | instid1(VALU_DEP_2)
	v_subrev_nc_u32_e32 v1, 28, v0
	v_sub_nc_u32_e32 v0, 29, v0
	v_lshlrev_b64 v[32:33], v1, v[30:31]
; %bb.397:                              ;   in Loop: Header=BB458_8 Depth=1
	s_or_b32 exec_lo, exec_lo, s20
	s_delay_alu instid0(VALU_DEP_1) | instskip(SKIP_2) | instid1(VALU_DEP_3)
	v_lshlrev_b32_e32 v1, 20, v32
	v_lshlrev_b32_e32 v2, 24, v30
	v_lshl_add_u32 v0, v0, 23, 0x3c000000
	v_and_b32_e32 v1, 0x700000, v1
	s_delay_alu instid0(VALU_DEP_3) | instskip(NEXT) | instid1(VALU_DEP_1)
	v_and_b32_e32 v2, 0x80000000, v2
	v_or3_b32 v0, v1, v2, v0
.LBB458_398:                            ;   in Loop: Header=BB458_8 Depth=1
	s_or_b32 exec_lo, exec_lo, s19
.LBB458_399:                            ;   in Loop: Header=BB458_8 Depth=1
	s_delay_alu instid0(SALU_CYCLE_1)
	s_or_b32 exec_lo, exec_lo, s18
.LBB458_400:                            ;   in Loop: Header=BB458_8 Depth=1
	s_delay_alu instid0(SALU_CYCLE_1) | instskip(NEXT) | instid1(VALU_DEP_1)
	s_or_b32 exec_lo, exec_lo, s2
	v_mul_f32_e32 v0, v104, v0
                                        ; implicit-def: $vgpr168
	s_delay_alu instid0(VALU_DEP_1) | instskip(NEXT) | instid1(VALU_DEP_1)
	v_and_b32_e32 v1, 0x7f800000, v0
	v_cmp_ne_u32_e64 s1, 0x7f800000, v1
	s_delay_alu instid0(VALU_DEP_1) | instskip(NEXT) | instid1(SALU_CYCLE_1)
	s_and_saveexec_b32 s2, s1
	s_xor_b32 s1, exec_lo, s2
; %bb.401:                              ;   in Loop: Header=BB458_8 Depth=1
	v_bfe_u32 v1, v0, 16, 1
	s_delay_alu instid0(VALU_DEP_1)
	v_add3_u32 v168, v0, v1, 0x7fff
                                        ; implicit-def: $vgpr0
; %bb.402:                              ;   in Loop: Header=BB458_8 Depth=1
	s_and_not1_saveexec_b32 s2, s1
; %bb.403:                              ;   in Loop: Header=BB458_8 Depth=1
	v_and_b32_e32 v1, 0xffff, v0
	v_or_b32_e32 v2, 0x10000, v0
	s_delay_alu instid0(VALU_DEP_2) | instskip(NEXT) | instid1(VALU_DEP_1)
	v_cmp_eq_u32_e64 s1, 0, v1
	v_cndmask_b32_e64 v168, v2, v0, s1
; %bb.404:                              ;   in Loop: Header=BB458_8 Depth=1
	s_or_b32 exec_lo, exec_lo, s2
	v_lshrrev_b16 v1, 8, v30
	v_mov_b32_e32 v0, 0
	s_mov_b32 s2, exec_lo
	s_delay_alu instid0(VALU_DEP_2)
	v_cmpx_ne_u16_e32 0, v1
	s_cbranch_execz .LBB458_412
; %bb.405:                              ;   in Loop: Header=BB458_8 Depth=1
	v_bfrev_b32_e32 v0, 1
	s_mov_b32 s18, exec_lo
	v_cmpx_ne_u16_e32 0x80, v1
	s_cbranch_execz .LBB458_411
; %bb.406:                              ;   in Loop: Header=BB458_8 Depth=1
	v_and_b32_e32 v2, 0xffff, v1
	v_mov_b32_e32 v0, 0x7f800001
	s_mov_b32 s19, exec_lo
	s_delay_alu instid0(VALU_DEP_2) | instskip(NEXT) | instid1(VALU_DEP_1)
	v_and_b32_e32 v1, 0x7f, v2
	v_cmpx_ne_u32_e32 0x7f, v1
	s_cbranch_execz .LBB458_410
; %bb.407:                              ;   in Loop: Header=BB458_8 Depth=1
	v_and_b32_e32 v18, 7, v2
	v_lshrrev_b32_e32 v0, 3, v1
	s_mov_b32 s20, exec_lo
	v_cmpx_gt_u32_e32 8, v1
; %bb.408:                              ;   in Loop: Header=BB458_8 Depth=1
	s_delay_alu instid0(VALU_DEP_3) | instskip(NEXT) | instid1(VALU_DEP_1)
	v_clz_i32_u32_e32 v0, v18
	v_min_u32_e32 v0, 32, v0
	s_delay_alu instid0(VALU_DEP_1) | instskip(SKIP_1) | instid1(VALU_DEP_2)
	v_subrev_nc_u32_e32 v1, 28, v0
	v_sub_nc_u32_e32 v0, 29, v0
	v_lshlrev_b64 v[1:2], v1, v[18:19]
	s_delay_alu instid0(VALU_DEP_1)
	v_and_b32_e32 v18, 7, v1
; %bb.409:                              ;   in Loop: Header=BB458_8 Depth=1
	s_or_b32 exec_lo, exec_lo, s20
	v_lshlrev_b32_e32 v1, 16, v30
	s_delay_alu instid0(VALU_DEP_2) | instskip(SKIP_1) | instid1(VALU_DEP_3)
	v_lshlrev_b32_e32 v2, 20, v18
	v_lshl_add_u32 v0, v0, 23, 0x3c000000
	v_and_b32_e32 v1, 0x80000000, v1
	s_delay_alu instid0(VALU_DEP_1)
	v_or3_b32 v0, v2, v1, v0
.LBB458_410:                            ;   in Loop: Header=BB458_8 Depth=1
	s_or_b32 exec_lo, exec_lo, s19
.LBB458_411:                            ;   in Loop: Header=BB458_8 Depth=1
	s_delay_alu instid0(SALU_CYCLE_1)
	s_or_b32 exec_lo, exec_lo, s18
.LBB458_412:                            ;   in Loop: Header=BB458_8 Depth=1
	s_delay_alu instid0(SALU_CYCLE_1) | instskip(NEXT) | instid1(VALU_DEP_1)
	s_or_b32 exec_lo, exec_lo, s2
	v_mul_f32_e32 v0, v104, v0
                                        ; implicit-def: $vgpr169
	s_delay_alu instid0(VALU_DEP_1) | instskip(NEXT) | instid1(VALU_DEP_1)
	v_and_b32_e32 v1, 0x7f800000, v0
	v_cmp_ne_u32_e64 s1, 0x7f800000, v1
	s_delay_alu instid0(VALU_DEP_1) | instskip(NEXT) | instid1(SALU_CYCLE_1)
	s_and_saveexec_b32 s2, s1
	s_xor_b32 s1, exec_lo, s2
; %bb.413:                              ;   in Loop: Header=BB458_8 Depth=1
	v_bfe_u32 v1, v0, 16, 1
	s_delay_alu instid0(VALU_DEP_1)
	v_add3_u32 v169, v0, v1, 0x7fff
                                        ; implicit-def: $vgpr0
; %bb.414:                              ;   in Loop: Header=BB458_8 Depth=1
	s_and_not1_saveexec_b32 s2, s1
; %bb.415:                              ;   in Loop: Header=BB458_8 Depth=1
	v_and_b32_e32 v1, 0xffff, v0
	v_or_b32_e32 v2, 0x10000, v0
	s_delay_alu instid0(VALU_DEP_2) | instskip(NEXT) | instid1(VALU_DEP_1)
	v_cmp_eq_u32_e64 s1, 0, v1
	v_cndmask_b32_e64 v169, v2, v0, s1
; %bb.416:                              ;   in Loop: Header=BB458_8 Depth=1
	s_or_b32 exec_lo, exec_lo, s2
	v_lshrrev_b32_e32 v0, 16, v30
	s_mov_b32 s2, exec_lo
	s_delay_alu instid0(VALU_DEP_1) | instskip(NEXT) | instid1(VALU_DEP_1)
	v_dual_mov_b32 v1, 0 :: v_dual_and_b32 v2, 0xff, v0
	v_cmpx_ne_u16_e32 0, v2
	s_cbranch_execz .LBB458_424
; %bb.417:                              ;   in Loop: Header=BB458_8 Depth=1
	v_bfrev_b32_e32 v1, 1
	s_mov_b32 s18, exec_lo
	v_cmpx_ne_u16_e32 0x80, v2
	s_cbranch_execz .LBB458_423
; %bb.418:                              ;   in Loop: Header=BB458_8 Depth=1
	v_bfe_u32 v2, v30, 16, 7
	v_mov_b32_e32 v1, 0x7f800001
	s_mov_b32 s19, exec_lo
	s_delay_alu instid0(VALU_DEP_2)
	v_cmpx_ne_u32_e32 0x7f, v2
	s_cbranch_execz .LBB458_422
; %bb.419:                              ;   in Loop: Header=BB458_8 Depth=1
	v_and_b32_e32 v18, 7, v0
	v_lshrrev_b32_e32 v1, 3, v2
	s_mov_b32 s20, exec_lo
	v_cmpx_gt_u32_e32 8, v2
; %bb.420:                              ;   in Loop: Header=BB458_8 Depth=1
	s_delay_alu instid0(VALU_DEP_3) | instskip(NEXT) | instid1(VALU_DEP_1)
	v_clz_i32_u32_e32 v1, v18
	v_min_u32_e32 v1, 32, v1
	s_delay_alu instid0(VALU_DEP_1) | instskip(SKIP_1) | instid1(VALU_DEP_2)
	v_subrev_nc_u32_e32 v2, 28, v1
	v_sub_nc_u32_e32 v1, 29, v1
	v_lshlrev_b64 v[2:3], v2, v[18:19]
	s_delay_alu instid0(VALU_DEP_1)
	v_and_b32_e32 v18, 7, v2
; %bb.421:                              ;   in Loop: Header=BB458_8 Depth=1
	s_or_b32 exec_lo, exec_lo, s20
	v_lshlrev_b32_e32 v0, 24, v0
	s_delay_alu instid0(VALU_DEP_2) | instskip(SKIP_1) | instid1(VALU_DEP_3)
	v_lshlrev_b32_e32 v2, 20, v18
	v_lshl_add_u32 v1, v1, 23, 0x3c000000
	v_and_b32_e32 v0, 0x80000000, v0
	s_delay_alu instid0(VALU_DEP_1)
	v_or3_b32 v1, v2, v0, v1
.LBB458_422:                            ;   in Loop: Header=BB458_8 Depth=1
	s_or_b32 exec_lo, exec_lo, s19
.LBB458_423:                            ;   in Loop: Header=BB458_8 Depth=1
	s_delay_alu instid0(SALU_CYCLE_1)
	s_or_b32 exec_lo, exec_lo, s18
.LBB458_424:                            ;   in Loop: Header=BB458_8 Depth=1
	s_delay_alu instid0(SALU_CYCLE_1) | instskip(NEXT) | instid1(VALU_DEP_1)
	s_or_b32 exec_lo, exec_lo, s2
	v_mul_f32_e32 v0, v104, v1
                                        ; implicit-def: $vgpr170
	s_delay_alu instid0(VALU_DEP_1) | instskip(NEXT) | instid1(VALU_DEP_1)
	v_and_b32_e32 v1, 0x7f800000, v0
	v_cmp_ne_u32_e64 s1, 0x7f800000, v1
	s_delay_alu instid0(VALU_DEP_1) | instskip(NEXT) | instid1(SALU_CYCLE_1)
	s_and_saveexec_b32 s2, s1
	s_xor_b32 s1, exec_lo, s2
; %bb.425:                              ;   in Loop: Header=BB458_8 Depth=1
	v_bfe_u32 v1, v0, 16, 1
	s_delay_alu instid0(VALU_DEP_1)
	v_add3_u32 v170, v0, v1, 0x7fff
                                        ; implicit-def: $vgpr0
; %bb.426:                              ;   in Loop: Header=BB458_8 Depth=1
	s_and_not1_saveexec_b32 s2, s1
; %bb.427:                              ;   in Loop: Header=BB458_8 Depth=1
	v_and_b32_e32 v1, 0xffff, v0
	v_or_b32_e32 v2, 0x10000, v0
	s_delay_alu instid0(VALU_DEP_2) | instskip(NEXT) | instid1(VALU_DEP_1)
	v_cmp_eq_u32_e64 s1, 0, v1
	v_cndmask_b32_e64 v170, v2, v0, s1
; %bb.428:                              ;   in Loop: Header=BB458_8 Depth=1
	s_or_b32 exec_lo, exec_lo, s2
	v_mov_b32_e32 v1, 0
	s_mov_b32 s2, exec_lo
	v_cmpx_lt_u32_e32 0xffffff, v30
	s_cbranch_execz .LBB458_436
; %bb.429:                              ;   in Loop: Header=BB458_8 Depth=1
	v_lshrrev_b32_e32 v0, 24, v30
	v_bfrev_b32_e32 v1, 1
	s_mov_b32 s18, exec_lo
	s_delay_alu instid0(VALU_DEP_2)
	v_cmpx_ne_u32_e32 0x80, v0
	s_cbranch_execz .LBB458_435
; %bb.430:                              ;   in Loop: Header=BB458_8 Depth=1
	v_bfe_u32 v2, v30, 24, 7
	v_mov_b32_e32 v1, 0x7f800001
	s_mov_b32 s19, exec_lo
	s_delay_alu instid0(VALU_DEP_2)
	v_cmpx_ne_u32_e32 0x7f, v2
	s_cbranch_execz .LBB458_434
; %bb.431:                              ;   in Loop: Header=BB458_8 Depth=1
	v_and_b32_e32 v18, 7, v0
	v_lshrrev_b32_e32 v1, 3, v2
	s_mov_b32 s20, exec_lo
	v_cmpx_gt_u32_e32 8, v2
; %bb.432:                              ;   in Loop: Header=BB458_8 Depth=1
	s_delay_alu instid0(VALU_DEP_3) | instskip(NEXT) | instid1(VALU_DEP_1)
	v_clz_i32_u32_e32 v1, v18
	v_min_u32_e32 v1, 32, v1
	s_delay_alu instid0(VALU_DEP_1) | instskip(SKIP_1) | instid1(VALU_DEP_2)
	v_subrev_nc_u32_e32 v2, 28, v1
	v_sub_nc_u32_e32 v1, 29, v1
	v_lshlrev_b64 v[2:3], v2, v[18:19]
	s_delay_alu instid0(VALU_DEP_1)
	v_and_b32_e32 v18, 7, v2
; %bb.433:                              ;   in Loop: Header=BB458_8 Depth=1
	s_or_b32 exec_lo, exec_lo, s20
	v_lshlrev_b32_e32 v0, 24, v0
	s_delay_alu instid0(VALU_DEP_2) | instskip(SKIP_1) | instid1(VALU_DEP_3)
	v_lshlrev_b32_e32 v2, 20, v18
	v_lshl_add_u32 v1, v1, 23, 0x3c000000
	v_and_b32_e32 v0, 0x80000000, v0
	s_delay_alu instid0(VALU_DEP_1)
	v_or3_b32 v1, v2, v0, v1
.LBB458_434:                            ;   in Loop: Header=BB458_8 Depth=1
	s_or_b32 exec_lo, exec_lo, s19
.LBB458_435:                            ;   in Loop: Header=BB458_8 Depth=1
	s_delay_alu instid0(SALU_CYCLE_1)
	s_or_b32 exec_lo, exec_lo, s18
.LBB458_436:                            ;   in Loop: Header=BB458_8 Depth=1
	s_delay_alu instid0(SALU_CYCLE_1) | instskip(NEXT) | instid1(VALU_DEP_1)
	s_or_b32 exec_lo, exec_lo, s2
	v_mul_f32_e32 v0, v104, v1
                                        ; implicit-def: $vgpr171
	s_delay_alu instid0(VALU_DEP_1) | instskip(NEXT) | instid1(VALU_DEP_1)
	v_and_b32_e32 v1, 0x7f800000, v0
	v_cmp_ne_u32_e64 s1, 0x7f800000, v1
	s_delay_alu instid0(VALU_DEP_1) | instskip(NEXT) | instid1(SALU_CYCLE_1)
	s_and_saveexec_b32 s2, s1
	s_xor_b32 s1, exec_lo, s2
; %bb.437:                              ;   in Loop: Header=BB458_8 Depth=1
	v_bfe_u32 v1, v0, 16, 1
	s_delay_alu instid0(VALU_DEP_1)
	v_add3_u32 v171, v0, v1, 0x7fff
                                        ; implicit-def: $vgpr0
; %bb.438:                              ;   in Loop: Header=BB458_8 Depth=1
	s_and_not1_saveexec_b32 s2, s1
; %bb.439:                              ;   in Loop: Header=BB458_8 Depth=1
	v_and_b32_e32 v1, 0xffff, v0
	v_or_b32_e32 v2, 0x10000, v0
	s_delay_alu instid0(VALU_DEP_2) | instskip(NEXT) | instid1(VALU_DEP_1)
	v_cmp_eq_u32_e64 s1, 0, v1
	v_cndmask_b32_e64 v171, v2, v0, s1
; %bb.440:                              ;   in Loop: Header=BB458_8 Depth=1
	s_or_b32 exec_lo, exec_lo, s2
	v_dual_mov_b32 v18, v31 :: v_dual_and_b32 v1, 0xff, v31
	v_mov_b32_e32 v0, 0
	s_mov_b32 s2, exec_lo
	s_delay_alu instid0(VALU_DEP_2)
	v_cmpx_ne_u16_e32 0, v1
	s_cbranch_execz .LBB458_448
; %bb.441:                              ;   in Loop: Header=BB458_8 Depth=1
	v_bfrev_b32_e32 v0, 1
	s_mov_b32 s18, exec_lo
	v_cmpx_ne_u16_e32 0x80, v1
	s_cbranch_execz .LBB458_447
; %bb.442:                              ;   in Loop: Header=BB458_8 Depth=1
	v_and_b32_e32 v1, 0x7f, v31
	v_mov_b32_e32 v0, 0x7f800001
	s_mov_b32 s19, exec_lo
	s_delay_alu instid0(VALU_DEP_2)
	v_cmpx_ne_u32_e32 0x7f, v1
	s_cbranch_execz .LBB458_446
; %bb.443:                              ;   in Loop: Header=BB458_8 Depth=1
	v_lshrrev_b32_e32 v0, 3, v1
	v_dual_mov_b32 v33, v19 :: v_dual_mov_b32 v32, v18
	s_mov_b32 s20, exec_lo
	v_cmpx_gt_u32_e32 8, v1
; %bb.444:                              ;   in Loop: Header=BB458_8 Depth=1
	v_and_b32_e32 v0, 7, v31
	s_delay_alu instid0(VALU_DEP_1) | instskip(NEXT) | instid1(VALU_DEP_1)
	v_clz_i32_u32_e32 v0, v0
	v_min_u32_e32 v0, 32, v0
	s_delay_alu instid0(VALU_DEP_1) | instskip(SKIP_1) | instid1(VALU_DEP_2)
	v_subrev_nc_u32_e32 v1, 28, v0
	v_sub_nc_u32_e32 v0, 29, v0
	v_lshlrev_b64 v[32:33], v1, v[18:19]
; %bb.445:                              ;   in Loop: Header=BB458_8 Depth=1
	s_or_b32 exec_lo, exec_lo, s20
	s_delay_alu instid0(VALU_DEP_1) | instskip(SKIP_2) | instid1(VALU_DEP_3)
	v_lshlrev_b32_e32 v1, 20, v32
	v_lshlrev_b32_e32 v2, 24, v18
	v_lshl_add_u32 v0, v0, 23, 0x3c000000
	v_and_b32_e32 v1, 0x700000, v1
	s_delay_alu instid0(VALU_DEP_3) | instskip(NEXT) | instid1(VALU_DEP_1)
	v_and_b32_e32 v2, 0x80000000, v2
	v_or3_b32 v0, v1, v2, v0
.LBB458_446:                            ;   in Loop: Header=BB458_8 Depth=1
	s_or_b32 exec_lo, exec_lo, s19
.LBB458_447:                            ;   in Loop: Header=BB458_8 Depth=1
	s_delay_alu instid0(SALU_CYCLE_1)
	s_or_b32 exec_lo, exec_lo, s18
.LBB458_448:                            ;   in Loop: Header=BB458_8 Depth=1
	s_delay_alu instid0(SALU_CYCLE_1) | instskip(NEXT) | instid1(VALU_DEP_1)
	s_or_b32 exec_lo, exec_lo, s2
	v_mul_f32_e32 v0, v104, v0
                                        ; implicit-def: $vgpr172
	s_delay_alu instid0(VALU_DEP_1) | instskip(NEXT) | instid1(VALU_DEP_1)
	v_and_b32_e32 v1, 0x7f800000, v0
	v_cmp_ne_u32_e64 s1, 0x7f800000, v1
	s_delay_alu instid0(VALU_DEP_1) | instskip(NEXT) | instid1(SALU_CYCLE_1)
	s_and_saveexec_b32 s2, s1
	s_xor_b32 s1, exec_lo, s2
; %bb.449:                              ;   in Loop: Header=BB458_8 Depth=1
	v_bfe_u32 v1, v0, 16, 1
	s_delay_alu instid0(VALU_DEP_1)
	v_add3_u32 v172, v0, v1, 0x7fff
                                        ; implicit-def: $vgpr0
; %bb.450:                              ;   in Loop: Header=BB458_8 Depth=1
	s_and_not1_saveexec_b32 s2, s1
; %bb.451:                              ;   in Loop: Header=BB458_8 Depth=1
	v_and_b32_e32 v1, 0xffff, v0
	v_or_b32_e32 v2, 0x10000, v0
	s_delay_alu instid0(VALU_DEP_2) | instskip(NEXT) | instid1(VALU_DEP_1)
	v_cmp_eq_u32_e64 s1, 0, v1
	v_cndmask_b32_e64 v172, v2, v0, s1
; %bb.452:                              ;   in Loop: Header=BB458_8 Depth=1
	s_or_b32 exec_lo, exec_lo, s2
	v_lshrrev_b16 v1, 8, v18
	v_mov_b32_e32 v0, 0
	s_mov_b32 s2, exec_lo
	s_delay_alu instid0(VALU_DEP_2)
	v_cmpx_ne_u16_e32 0, v1
	s_cbranch_execz .LBB458_460
; %bb.453:                              ;   in Loop: Header=BB458_8 Depth=1
	v_bfrev_b32_e32 v0, 1
	s_mov_b32 s18, exec_lo
	v_cmpx_ne_u16_e32 0x80, v1
	s_cbranch_execz .LBB458_459
; %bb.454:                              ;   in Loop: Header=BB458_8 Depth=1
	v_and_b32_e32 v2, 0xffff, v1
	v_mov_b32_e32 v0, 0x7f800001
	s_mov_b32 s19, exec_lo
	s_delay_alu instid0(VALU_DEP_2) | instskip(NEXT) | instid1(VALU_DEP_1)
	v_and_b32_e32 v1, 0x7f, v2
	v_cmpx_ne_u32_e32 0x7f, v1
	s_cbranch_execz .LBB458_458
; %bb.455:                              ;   in Loop: Header=BB458_8 Depth=1
	v_dual_mov_b32 v33, v19 :: v_dual_and_b32 v32, 7, v2
	v_lshrrev_b32_e32 v0, 3, v1
	s_mov_b32 s20, exec_lo
	v_cmpx_gt_u32_e32 8, v1
; %bb.456:                              ;   in Loop: Header=BB458_8 Depth=1
	s_delay_alu instid0(VALU_DEP_3) | instskip(NEXT) | instid1(VALU_DEP_1)
	v_clz_i32_u32_e32 v0, v32
	v_min_u32_e32 v0, 32, v0
	s_delay_alu instid0(VALU_DEP_1) | instskip(SKIP_1) | instid1(VALU_DEP_2)
	v_subrev_nc_u32_e32 v1, 28, v0
	v_sub_nc_u32_e32 v0, 29, v0
	v_lshlrev_b64 v[1:2], v1, v[32:33]
	s_delay_alu instid0(VALU_DEP_1)
	v_and_b32_e32 v32, 7, v1
; %bb.457:                              ;   in Loop: Header=BB458_8 Depth=1
	s_or_b32 exec_lo, exec_lo, s20
	v_lshlrev_b32_e32 v1, 16, v18
	s_delay_alu instid0(VALU_DEP_2) | instskip(SKIP_1) | instid1(VALU_DEP_3)
	v_lshlrev_b32_e32 v2, 20, v32
	v_lshl_add_u32 v0, v0, 23, 0x3c000000
	v_and_b32_e32 v1, 0x80000000, v1
	s_delay_alu instid0(VALU_DEP_1)
	v_or3_b32 v0, v2, v1, v0
.LBB458_458:                            ;   in Loop: Header=BB458_8 Depth=1
	s_or_b32 exec_lo, exec_lo, s19
.LBB458_459:                            ;   in Loop: Header=BB458_8 Depth=1
	s_delay_alu instid0(SALU_CYCLE_1)
	s_or_b32 exec_lo, exec_lo, s18
.LBB458_460:                            ;   in Loop: Header=BB458_8 Depth=1
	s_delay_alu instid0(SALU_CYCLE_1) | instskip(NEXT) | instid1(VALU_DEP_1)
	s_or_b32 exec_lo, exec_lo, s2
	v_mul_f32_e32 v0, v104, v0
                                        ; implicit-def: $vgpr173
	s_delay_alu instid0(VALU_DEP_1) | instskip(NEXT) | instid1(VALU_DEP_1)
	v_and_b32_e32 v1, 0x7f800000, v0
	v_cmp_ne_u32_e64 s1, 0x7f800000, v1
	s_delay_alu instid0(VALU_DEP_1) | instskip(NEXT) | instid1(SALU_CYCLE_1)
	s_and_saveexec_b32 s2, s1
	s_xor_b32 s1, exec_lo, s2
; %bb.461:                              ;   in Loop: Header=BB458_8 Depth=1
	v_bfe_u32 v1, v0, 16, 1
	s_delay_alu instid0(VALU_DEP_1)
	v_add3_u32 v173, v0, v1, 0x7fff
                                        ; implicit-def: $vgpr0
; %bb.462:                              ;   in Loop: Header=BB458_8 Depth=1
	s_and_not1_saveexec_b32 s2, s1
; %bb.463:                              ;   in Loop: Header=BB458_8 Depth=1
	v_and_b32_e32 v1, 0xffff, v0
	v_or_b32_e32 v2, 0x10000, v0
	s_delay_alu instid0(VALU_DEP_2) | instskip(NEXT) | instid1(VALU_DEP_1)
	v_cmp_eq_u32_e64 s1, 0, v1
	v_cndmask_b32_e64 v173, v2, v0, s1
; %bb.464:                              ;   in Loop: Header=BB458_8 Depth=1
	s_or_b32 exec_lo, exec_lo, s2
	v_lshrrev_b32_e32 v0, 16, v31
	s_mov_b32 s2, exec_lo
	s_delay_alu instid0(VALU_DEP_1) | instskip(NEXT) | instid1(VALU_DEP_1)
	v_dual_mov_b32 v1, 0 :: v_dual_and_b32 v2, 0xff, v0
	v_cmpx_ne_u16_e32 0, v2
	s_cbranch_execz .LBB458_472
; %bb.465:                              ;   in Loop: Header=BB458_8 Depth=1
	v_bfrev_b32_e32 v1, 1
	s_mov_b32 s18, exec_lo
	v_cmpx_ne_u16_e32 0x80, v2
	s_cbranch_execz .LBB458_471
; %bb.466:                              ;   in Loop: Header=BB458_8 Depth=1
	v_bfe_u32 v2, v31, 16, 7
	v_mov_b32_e32 v1, 0x7f800001
	s_mov_b32 s19, exec_lo
	s_delay_alu instid0(VALU_DEP_2)
	v_cmpx_ne_u32_e32 0x7f, v2
	s_cbranch_execz .LBB458_470
; %bb.467:                              ;   in Loop: Header=BB458_8 Depth=1
	v_and_b32_e32 v18, 7, v0
	v_lshrrev_b32_e32 v1, 3, v2
	s_mov_b32 s20, exec_lo
	v_cmpx_gt_u32_e32 8, v2
; %bb.468:                              ;   in Loop: Header=BB458_8 Depth=1
	s_delay_alu instid0(VALU_DEP_3) | instskip(NEXT) | instid1(VALU_DEP_1)
	v_clz_i32_u32_e32 v1, v18
	v_min_u32_e32 v1, 32, v1
	s_delay_alu instid0(VALU_DEP_1) | instskip(SKIP_1) | instid1(VALU_DEP_2)
	v_subrev_nc_u32_e32 v2, 28, v1
	v_sub_nc_u32_e32 v1, 29, v1
	v_lshlrev_b64 v[2:3], v2, v[18:19]
	s_delay_alu instid0(VALU_DEP_1)
	v_and_b32_e32 v18, 7, v2
; %bb.469:                              ;   in Loop: Header=BB458_8 Depth=1
	s_or_b32 exec_lo, exec_lo, s20
	v_lshlrev_b32_e32 v0, 24, v0
	s_delay_alu instid0(VALU_DEP_2) | instskip(SKIP_1) | instid1(VALU_DEP_3)
	v_lshlrev_b32_e32 v2, 20, v18
	v_lshl_add_u32 v1, v1, 23, 0x3c000000
	v_and_b32_e32 v0, 0x80000000, v0
	s_delay_alu instid0(VALU_DEP_1)
	v_or3_b32 v1, v2, v0, v1
.LBB458_470:                            ;   in Loop: Header=BB458_8 Depth=1
	s_or_b32 exec_lo, exec_lo, s19
.LBB458_471:                            ;   in Loop: Header=BB458_8 Depth=1
	s_delay_alu instid0(SALU_CYCLE_1)
	s_or_b32 exec_lo, exec_lo, s18
.LBB458_472:                            ;   in Loop: Header=BB458_8 Depth=1
	s_delay_alu instid0(SALU_CYCLE_1) | instskip(NEXT) | instid1(VALU_DEP_1)
	s_or_b32 exec_lo, exec_lo, s2
	v_mul_f32_e32 v0, v104, v1
                                        ; implicit-def: $vgpr174
	s_delay_alu instid0(VALU_DEP_1) | instskip(NEXT) | instid1(VALU_DEP_1)
	v_and_b32_e32 v1, 0x7f800000, v0
	v_cmp_ne_u32_e64 s1, 0x7f800000, v1
	s_delay_alu instid0(VALU_DEP_1) | instskip(NEXT) | instid1(SALU_CYCLE_1)
	s_and_saveexec_b32 s2, s1
	s_xor_b32 s1, exec_lo, s2
; %bb.473:                              ;   in Loop: Header=BB458_8 Depth=1
	v_bfe_u32 v1, v0, 16, 1
	s_delay_alu instid0(VALU_DEP_1)
	v_add3_u32 v174, v0, v1, 0x7fff
                                        ; implicit-def: $vgpr0
; %bb.474:                              ;   in Loop: Header=BB458_8 Depth=1
	s_and_not1_saveexec_b32 s2, s1
; %bb.475:                              ;   in Loop: Header=BB458_8 Depth=1
	v_and_b32_e32 v1, 0xffff, v0
	v_or_b32_e32 v2, 0x10000, v0
	s_delay_alu instid0(VALU_DEP_2) | instskip(NEXT) | instid1(VALU_DEP_1)
	v_cmp_eq_u32_e64 s1, 0, v1
	v_cndmask_b32_e64 v174, v2, v0, s1
; %bb.476:                              ;   in Loop: Header=BB458_8 Depth=1
	s_or_b32 exec_lo, exec_lo, s2
	v_mov_b32_e32 v1, 0
	s_mov_b32 s2, exec_lo
	v_cmpx_lt_u64_e64 s[8:9], v[30:31]
	s_cbranch_execz .LBB458_484
; %bb.477:                              ;   in Loop: Header=BB458_8 Depth=1
	v_lshrrev_b32_e32 v0, 24, v31
	v_bfrev_b32_e32 v1, 1
	s_mov_b32 s18, exec_lo
	s_delay_alu instid0(VALU_DEP_2)
	v_cmpx_ne_u32_e32 0x80, v0
	s_cbranch_execz .LBB458_483
; %bb.478:                              ;   in Loop: Header=BB458_8 Depth=1
	v_bfe_u32 v2, v31, 24, 7
	v_mov_b32_e32 v1, 0x7f800001
	s_mov_b32 s19, exec_lo
	s_delay_alu instid0(VALU_DEP_2)
	v_cmpx_ne_u32_e32 0x7f, v2
	s_cbranch_execz .LBB458_482
; %bb.479:                              ;   in Loop: Header=BB458_8 Depth=1
	v_and_b32_e32 v18, 7, v0
	v_lshrrev_b32_e32 v1, 3, v2
	s_mov_b32 s20, exec_lo
	v_cmpx_gt_u32_e32 8, v2
; %bb.480:                              ;   in Loop: Header=BB458_8 Depth=1
	s_delay_alu instid0(VALU_DEP_3) | instskip(NEXT) | instid1(VALU_DEP_1)
	v_clz_i32_u32_e32 v1, v18
	v_min_u32_e32 v1, 32, v1
	s_delay_alu instid0(VALU_DEP_1) | instskip(SKIP_1) | instid1(VALU_DEP_2)
	v_subrev_nc_u32_e32 v2, 28, v1
	v_sub_nc_u32_e32 v1, 29, v1
	v_lshlrev_b64 v[2:3], v2, v[18:19]
	s_delay_alu instid0(VALU_DEP_1)
	v_and_b32_e32 v18, 7, v2
; %bb.481:                              ;   in Loop: Header=BB458_8 Depth=1
	s_or_b32 exec_lo, exec_lo, s20
	v_lshlrev_b32_e32 v0, 24, v0
	s_delay_alu instid0(VALU_DEP_2) | instskip(SKIP_1) | instid1(VALU_DEP_3)
	v_lshlrev_b32_e32 v2, 20, v18
	v_lshl_add_u32 v1, v1, 23, 0x3c000000
	v_and_b32_e32 v0, 0x80000000, v0
	s_delay_alu instid0(VALU_DEP_1)
	v_or3_b32 v1, v2, v0, v1
.LBB458_482:                            ;   in Loop: Header=BB458_8 Depth=1
	s_or_b32 exec_lo, exec_lo, s19
.LBB458_483:                            ;   in Loop: Header=BB458_8 Depth=1
	s_delay_alu instid0(SALU_CYCLE_1)
	s_or_b32 exec_lo, exec_lo, s18
.LBB458_484:                            ;   in Loop: Header=BB458_8 Depth=1
	s_delay_alu instid0(SALU_CYCLE_1) | instskip(NEXT) | instid1(VALU_DEP_1)
	s_or_b32 exec_lo, exec_lo, s2
	v_mul_f32_e32 v0, v104, v1
                                        ; implicit-def: $vgpr175
	s_delay_alu instid0(VALU_DEP_1) | instskip(NEXT) | instid1(VALU_DEP_1)
	v_and_b32_e32 v1, 0x7f800000, v0
	v_cmp_ne_u32_e64 s1, 0x7f800000, v1
	s_delay_alu instid0(VALU_DEP_1) | instskip(NEXT) | instid1(SALU_CYCLE_1)
	s_and_saveexec_b32 s2, s1
	s_xor_b32 s1, exec_lo, s2
; %bb.485:                              ;   in Loop: Header=BB458_8 Depth=1
	v_bfe_u32 v1, v0, 16, 1
	s_delay_alu instid0(VALU_DEP_1)
	v_add3_u32 v175, v0, v1, 0x7fff
                                        ; implicit-def: $vgpr0
; %bb.486:                              ;   in Loop: Header=BB458_8 Depth=1
	s_and_not1_saveexec_b32 s2, s1
; %bb.487:                              ;   in Loop: Header=BB458_8 Depth=1
	v_and_b32_e32 v1, 0xffff, v0
	v_or_b32_e32 v2, 0x10000, v0
	s_delay_alu instid0(VALU_DEP_2) | instskip(NEXT) | instid1(VALU_DEP_1)
	v_cmp_eq_u32_e64 s1, 0, v1
	v_cndmask_b32_e64 v175, v2, v0, s1
; %bb.488:                              ;   in Loop: Header=BB458_8 Depth=1
	s_or_b32 exec_lo, exec_lo, s2
	flat_load_b64 v[30:31], v[28:29] offset:1032
	s_mov_b32 s2, exec_lo
	s_waitcnt vmcnt(0) lgkmcnt(0)
	v_dual_mov_b32 v0, 0 :: v_dual_and_b32 v1, 0xff, v30
	s_delay_alu instid0(VALU_DEP_1)
	v_cmpx_ne_u16_e32 0, v1
	s_cbranch_execz .LBB458_496
; %bb.489:                              ;   in Loop: Header=BB458_8 Depth=1
	v_bfrev_b32_e32 v0, 1
	s_mov_b32 s18, exec_lo
	v_cmpx_ne_u16_e32 0x80, v1
	s_cbranch_execz .LBB458_495
; %bb.490:                              ;   in Loop: Header=BB458_8 Depth=1
	v_and_b32_e32 v1, 0x7f, v30
	v_mov_b32_e32 v0, 0x7f800001
	s_mov_b32 s19, exec_lo
	s_delay_alu instid0(VALU_DEP_2)
	v_cmpx_ne_u32_e32 0x7f, v1
	s_cbranch_execz .LBB458_494
; %bb.491:                              ;   in Loop: Header=BB458_8 Depth=1
	v_lshrrev_b32_e32 v0, 3, v1
	v_dual_mov_b32 v33, v31 :: v_dual_mov_b32 v32, v30
	s_mov_b32 s20, exec_lo
	v_cmpx_gt_u32_e32 8, v1
; %bb.492:                              ;   in Loop: Header=BB458_8 Depth=1
	v_and_b32_e32 v0, 7, v30
	s_delay_alu instid0(VALU_DEP_1) | instskip(NEXT) | instid1(VALU_DEP_1)
	v_clz_i32_u32_e32 v0, v0
	v_min_u32_e32 v0, 32, v0
	s_delay_alu instid0(VALU_DEP_1) | instskip(SKIP_1) | instid1(VALU_DEP_2)
	v_subrev_nc_u32_e32 v1, 28, v0
	v_sub_nc_u32_e32 v0, 29, v0
	v_lshlrev_b64 v[32:33], v1, v[30:31]
; %bb.493:                              ;   in Loop: Header=BB458_8 Depth=1
	s_or_b32 exec_lo, exec_lo, s20
	s_delay_alu instid0(VALU_DEP_1) | instskip(SKIP_2) | instid1(VALU_DEP_3)
	v_lshlrev_b32_e32 v1, 20, v32
	v_lshlrev_b32_e32 v2, 24, v30
	v_lshl_add_u32 v0, v0, 23, 0x3c000000
	v_and_b32_e32 v1, 0x700000, v1
	s_delay_alu instid0(VALU_DEP_3) | instskip(NEXT) | instid1(VALU_DEP_1)
	v_and_b32_e32 v2, 0x80000000, v2
	v_or3_b32 v0, v1, v2, v0
.LBB458_494:                            ;   in Loop: Header=BB458_8 Depth=1
	s_or_b32 exec_lo, exec_lo, s19
.LBB458_495:                            ;   in Loop: Header=BB458_8 Depth=1
	s_delay_alu instid0(SALU_CYCLE_1)
	s_or_b32 exec_lo, exec_lo, s18
.LBB458_496:                            ;   in Loop: Header=BB458_8 Depth=1
	s_delay_alu instid0(SALU_CYCLE_1) | instskip(NEXT) | instid1(VALU_DEP_1)
	s_or_b32 exec_lo, exec_lo, s2
	v_mul_f32_e32 v0, v104, v0
                                        ; implicit-def: $vgpr184
	s_delay_alu instid0(VALU_DEP_1) | instskip(NEXT) | instid1(VALU_DEP_1)
	v_and_b32_e32 v1, 0x7f800000, v0
	v_cmp_ne_u32_e64 s1, 0x7f800000, v1
	s_delay_alu instid0(VALU_DEP_1) | instskip(NEXT) | instid1(SALU_CYCLE_1)
	s_and_saveexec_b32 s2, s1
	s_xor_b32 s1, exec_lo, s2
; %bb.497:                              ;   in Loop: Header=BB458_8 Depth=1
	v_bfe_u32 v1, v0, 16, 1
	s_delay_alu instid0(VALU_DEP_1)
	v_add3_u32 v184, v0, v1, 0x7fff
                                        ; implicit-def: $vgpr0
; %bb.498:                              ;   in Loop: Header=BB458_8 Depth=1
	s_and_not1_saveexec_b32 s2, s1
; %bb.499:                              ;   in Loop: Header=BB458_8 Depth=1
	v_and_b32_e32 v1, 0xffff, v0
	v_or_b32_e32 v2, 0x10000, v0
	s_delay_alu instid0(VALU_DEP_2) | instskip(NEXT) | instid1(VALU_DEP_1)
	v_cmp_eq_u32_e64 s1, 0, v1
	v_cndmask_b32_e64 v184, v2, v0, s1
; %bb.500:                              ;   in Loop: Header=BB458_8 Depth=1
	s_or_b32 exec_lo, exec_lo, s2
	v_lshrrev_b16 v1, 8, v30
	v_mov_b32_e32 v0, 0
	s_mov_b32 s2, exec_lo
	s_delay_alu instid0(VALU_DEP_2)
	v_cmpx_ne_u16_e32 0, v1
	s_cbranch_execz .LBB458_508
; %bb.501:                              ;   in Loop: Header=BB458_8 Depth=1
	v_bfrev_b32_e32 v0, 1
	s_mov_b32 s18, exec_lo
	v_cmpx_ne_u16_e32 0x80, v1
	s_cbranch_execz .LBB458_507
; %bb.502:                              ;   in Loop: Header=BB458_8 Depth=1
	v_and_b32_e32 v2, 0xffff, v1
	v_mov_b32_e32 v0, 0x7f800001
	s_mov_b32 s19, exec_lo
	s_delay_alu instid0(VALU_DEP_2) | instskip(NEXT) | instid1(VALU_DEP_1)
	v_and_b32_e32 v1, 0x7f, v2
	v_cmpx_ne_u32_e32 0x7f, v1
	s_cbranch_execz .LBB458_506
; %bb.503:                              ;   in Loop: Header=BB458_8 Depth=1
	v_and_b32_e32 v18, 7, v2
	v_lshrrev_b32_e32 v0, 3, v1
	s_mov_b32 s20, exec_lo
	v_cmpx_gt_u32_e32 8, v1
; %bb.504:                              ;   in Loop: Header=BB458_8 Depth=1
	s_delay_alu instid0(VALU_DEP_3) | instskip(NEXT) | instid1(VALU_DEP_1)
	v_clz_i32_u32_e32 v0, v18
	v_min_u32_e32 v0, 32, v0
	s_delay_alu instid0(VALU_DEP_1) | instskip(SKIP_1) | instid1(VALU_DEP_2)
	v_subrev_nc_u32_e32 v1, 28, v0
	v_sub_nc_u32_e32 v0, 29, v0
	v_lshlrev_b64 v[1:2], v1, v[18:19]
	s_delay_alu instid0(VALU_DEP_1)
	v_and_b32_e32 v18, 7, v1
; %bb.505:                              ;   in Loop: Header=BB458_8 Depth=1
	s_or_b32 exec_lo, exec_lo, s20
	v_lshlrev_b32_e32 v1, 16, v30
	s_delay_alu instid0(VALU_DEP_2) | instskip(SKIP_1) | instid1(VALU_DEP_3)
	v_lshlrev_b32_e32 v2, 20, v18
	v_lshl_add_u32 v0, v0, 23, 0x3c000000
	v_and_b32_e32 v1, 0x80000000, v1
	s_delay_alu instid0(VALU_DEP_1)
	v_or3_b32 v0, v2, v1, v0
.LBB458_506:                            ;   in Loop: Header=BB458_8 Depth=1
	s_or_b32 exec_lo, exec_lo, s19
.LBB458_507:                            ;   in Loop: Header=BB458_8 Depth=1
	s_delay_alu instid0(SALU_CYCLE_1)
	s_or_b32 exec_lo, exec_lo, s18
.LBB458_508:                            ;   in Loop: Header=BB458_8 Depth=1
	s_delay_alu instid0(SALU_CYCLE_1) | instskip(NEXT) | instid1(VALU_DEP_1)
	s_or_b32 exec_lo, exec_lo, s2
	v_mul_f32_e32 v0, v104, v0
                                        ; implicit-def: $vgpr185
	s_delay_alu instid0(VALU_DEP_1) | instskip(NEXT) | instid1(VALU_DEP_1)
	v_and_b32_e32 v1, 0x7f800000, v0
	v_cmp_ne_u32_e64 s1, 0x7f800000, v1
	s_delay_alu instid0(VALU_DEP_1) | instskip(NEXT) | instid1(SALU_CYCLE_1)
	s_and_saveexec_b32 s2, s1
	s_xor_b32 s1, exec_lo, s2
; %bb.509:                              ;   in Loop: Header=BB458_8 Depth=1
	v_bfe_u32 v1, v0, 16, 1
	s_delay_alu instid0(VALU_DEP_1)
	v_add3_u32 v185, v0, v1, 0x7fff
                                        ; implicit-def: $vgpr0
; %bb.510:                              ;   in Loop: Header=BB458_8 Depth=1
	s_and_not1_saveexec_b32 s2, s1
; %bb.511:                              ;   in Loop: Header=BB458_8 Depth=1
	v_and_b32_e32 v1, 0xffff, v0
	v_or_b32_e32 v2, 0x10000, v0
	s_delay_alu instid0(VALU_DEP_2) | instskip(NEXT) | instid1(VALU_DEP_1)
	v_cmp_eq_u32_e64 s1, 0, v1
	v_cndmask_b32_e64 v185, v2, v0, s1
; %bb.512:                              ;   in Loop: Header=BB458_8 Depth=1
	s_or_b32 exec_lo, exec_lo, s2
	v_lshrrev_b32_e32 v0, 16, v30
	s_mov_b32 s2, exec_lo
	s_delay_alu instid0(VALU_DEP_1) | instskip(NEXT) | instid1(VALU_DEP_1)
	v_dual_mov_b32 v1, 0 :: v_dual_and_b32 v2, 0xff, v0
	v_cmpx_ne_u16_e32 0, v2
	s_cbranch_execz .LBB458_520
; %bb.513:                              ;   in Loop: Header=BB458_8 Depth=1
	v_bfrev_b32_e32 v1, 1
	s_mov_b32 s18, exec_lo
	v_cmpx_ne_u16_e32 0x80, v2
	s_cbranch_execz .LBB458_519
; %bb.514:                              ;   in Loop: Header=BB458_8 Depth=1
	v_bfe_u32 v2, v30, 16, 7
	v_mov_b32_e32 v1, 0x7f800001
	s_mov_b32 s19, exec_lo
	s_delay_alu instid0(VALU_DEP_2)
	v_cmpx_ne_u32_e32 0x7f, v2
	s_cbranch_execz .LBB458_518
; %bb.515:                              ;   in Loop: Header=BB458_8 Depth=1
	v_and_b32_e32 v18, 7, v0
	v_lshrrev_b32_e32 v1, 3, v2
	s_mov_b32 s20, exec_lo
	v_cmpx_gt_u32_e32 8, v2
; %bb.516:                              ;   in Loop: Header=BB458_8 Depth=1
	s_delay_alu instid0(VALU_DEP_3) | instskip(NEXT) | instid1(VALU_DEP_1)
	v_clz_i32_u32_e32 v1, v18
	v_min_u32_e32 v1, 32, v1
	s_delay_alu instid0(VALU_DEP_1) | instskip(SKIP_1) | instid1(VALU_DEP_2)
	v_subrev_nc_u32_e32 v2, 28, v1
	v_sub_nc_u32_e32 v1, 29, v1
	v_lshlrev_b64 v[2:3], v2, v[18:19]
	s_delay_alu instid0(VALU_DEP_1)
	v_and_b32_e32 v18, 7, v2
; %bb.517:                              ;   in Loop: Header=BB458_8 Depth=1
	s_or_b32 exec_lo, exec_lo, s20
	v_lshlrev_b32_e32 v0, 24, v0
	s_delay_alu instid0(VALU_DEP_2) | instskip(SKIP_1) | instid1(VALU_DEP_3)
	v_lshlrev_b32_e32 v2, 20, v18
	v_lshl_add_u32 v1, v1, 23, 0x3c000000
	v_and_b32_e32 v0, 0x80000000, v0
	s_delay_alu instid0(VALU_DEP_1)
	v_or3_b32 v1, v2, v0, v1
.LBB458_518:                            ;   in Loop: Header=BB458_8 Depth=1
	s_or_b32 exec_lo, exec_lo, s19
.LBB458_519:                            ;   in Loop: Header=BB458_8 Depth=1
	s_delay_alu instid0(SALU_CYCLE_1)
	s_or_b32 exec_lo, exec_lo, s18
.LBB458_520:                            ;   in Loop: Header=BB458_8 Depth=1
	s_delay_alu instid0(SALU_CYCLE_1) | instskip(NEXT) | instid1(VALU_DEP_1)
	s_or_b32 exec_lo, exec_lo, s2
	v_mul_f32_e32 v0, v104, v1
                                        ; implicit-def: $vgpr186
	s_delay_alu instid0(VALU_DEP_1) | instskip(NEXT) | instid1(VALU_DEP_1)
	v_and_b32_e32 v1, 0x7f800000, v0
	v_cmp_ne_u32_e64 s1, 0x7f800000, v1
	s_delay_alu instid0(VALU_DEP_1) | instskip(NEXT) | instid1(SALU_CYCLE_1)
	s_and_saveexec_b32 s2, s1
	s_xor_b32 s1, exec_lo, s2
; %bb.521:                              ;   in Loop: Header=BB458_8 Depth=1
	v_bfe_u32 v1, v0, 16, 1
	s_delay_alu instid0(VALU_DEP_1)
	v_add3_u32 v186, v0, v1, 0x7fff
                                        ; implicit-def: $vgpr0
; %bb.522:                              ;   in Loop: Header=BB458_8 Depth=1
	s_and_not1_saveexec_b32 s2, s1
; %bb.523:                              ;   in Loop: Header=BB458_8 Depth=1
	v_and_b32_e32 v1, 0xffff, v0
	v_or_b32_e32 v2, 0x10000, v0
	s_delay_alu instid0(VALU_DEP_2) | instskip(NEXT) | instid1(VALU_DEP_1)
	v_cmp_eq_u32_e64 s1, 0, v1
	v_cndmask_b32_e64 v186, v2, v0, s1
; %bb.524:                              ;   in Loop: Header=BB458_8 Depth=1
	s_or_b32 exec_lo, exec_lo, s2
	v_mov_b32_e32 v1, 0
	s_mov_b32 s2, exec_lo
	v_cmpx_lt_u32_e32 0xffffff, v30
	s_cbranch_execz .LBB458_532
; %bb.525:                              ;   in Loop: Header=BB458_8 Depth=1
	v_lshrrev_b32_e32 v0, 24, v30
	v_bfrev_b32_e32 v1, 1
	s_mov_b32 s18, exec_lo
	s_delay_alu instid0(VALU_DEP_2)
	v_cmpx_ne_u32_e32 0x80, v0
	s_cbranch_execz .LBB458_531
; %bb.526:                              ;   in Loop: Header=BB458_8 Depth=1
	v_bfe_u32 v2, v30, 24, 7
	v_mov_b32_e32 v1, 0x7f800001
	s_mov_b32 s19, exec_lo
	s_delay_alu instid0(VALU_DEP_2)
	v_cmpx_ne_u32_e32 0x7f, v2
	s_cbranch_execz .LBB458_530
; %bb.527:                              ;   in Loop: Header=BB458_8 Depth=1
	v_and_b32_e32 v18, 7, v0
	v_lshrrev_b32_e32 v1, 3, v2
	s_mov_b32 s20, exec_lo
	v_cmpx_gt_u32_e32 8, v2
; %bb.528:                              ;   in Loop: Header=BB458_8 Depth=1
	s_delay_alu instid0(VALU_DEP_3) | instskip(NEXT) | instid1(VALU_DEP_1)
	v_clz_i32_u32_e32 v1, v18
	v_min_u32_e32 v1, 32, v1
	s_delay_alu instid0(VALU_DEP_1) | instskip(SKIP_1) | instid1(VALU_DEP_2)
	v_subrev_nc_u32_e32 v2, 28, v1
	v_sub_nc_u32_e32 v1, 29, v1
	v_lshlrev_b64 v[2:3], v2, v[18:19]
	s_delay_alu instid0(VALU_DEP_1)
	v_and_b32_e32 v18, 7, v2
; %bb.529:                              ;   in Loop: Header=BB458_8 Depth=1
	s_or_b32 exec_lo, exec_lo, s20
	v_lshlrev_b32_e32 v0, 24, v0
	s_delay_alu instid0(VALU_DEP_2) | instskip(SKIP_1) | instid1(VALU_DEP_3)
	v_lshlrev_b32_e32 v2, 20, v18
	v_lshl_add_u32 v1, v1, 23, 0x3c000000
	v_and_b32_e32 v0, 0x80000000, v0
	s_delay_alu instid0(VALU_DEP_1)
	v_or3_b32 v1, v2, v0, v1
.LBB458_530:                            ;   in Loop: Header=BB458_8 Depth=1
	s_or_b32 exec_lo, exec_lo, s19
.LBB458_531:                            ;   in Loop: Header=BB458_8 Depth=1
	s_delay_alu instid0(SALU_CYCLE_1)
	s_or_b32 exec_lo, exec_lo, s18
.LBB458_532:                            ;   in Loop: Header=BB458_8 Depth=1
	s_delay_alu instid0(SALU_CYCLE_1) | instskip(NEXT) | instid1(VALU_DEP_1)
	s_or_b32 exec_lo, exec_lo, s2
	v_mul_f32_e32 v0, v104, v1
                                        ; implicit-def: $vgpr187
	s_delay_alu instid0(VALU_DEP_1) | instskip(NEXT) | instid1(VALU_DEP_1)
	v_and_b32_e32 v1, 0x7f800000, v0
	v_cmp_ne_u32_e64 s1, 0x7f800000, v1
	s_delay_alu instid0(VALU_DEP_1) | instskip(NEXT) | instid1(SALU_CYCLE_1)
	s_and_saveexec_b32 s2, s1
	s_xor_b32 s1, exec_lo, s2
; %bb.533:                              ;   in Loop: Header=BB458_8 Depth=1
	v_bfe_u32 v1, v0, 16, 1
	s_delay_alu instid0(VALU_DEP_1)
	v_add3_u32 v187, v0, v1, 0x7fff
                                        ; implicit-def: $vgpr0
; %bb.534:                              ;   in Loop: Header=BB458_8 Depth=1
	s_and_not1_saveexec_b32 s2, s1
; %bb.535:                              ;   in Loop: Header=BB458_8 Depth=1
	v_and_b32_e32 v1, 0xffff, v0
	v_or_b32_e32 v2, 0x10000, v0
	s_delay_alu instid0(VALU_DEP_2) | instskip(NEXT) | instid1(VALU_DEP_1)
	v_cmp_eq_u32_e64 s1, 0, v1
	v_cndmask_b32_e64 v187, v2, v0, s1
; %bb.536:                              ;   in Loop: Header=BB458_8 Depth=1
	s_or_b32 exec_lo, exec_lo, s2
	v_dual_mov_b32 v18, v31 :: v_dual_and_b32 v1, 0xff, v31
	v_mov_b32_e32 v0, 0
	s_mov_b32 s2, exec_lo
	s_delay_alu instid0(VALU_DEP_2)
	v_cmpx_ne_u16_e32 0, v1
	s_cbranch_execz .LBB458_544
; %bb.537:                              ;   in Loop: Header=BB458_8 Depth=1
	v_bfrev_b32_e32 v0, 1
	s_mov_b32 s18, exec_lo
	v_cmpx_ne_u16_e32 0x80, v1
	s_cbranch_execz .LBB458_543
; %bb.538:                              ;   in Loop: Header=BB458_8 Depth=1
	v_and_b32_e32 v1, 0x7f, v31
	v_mov_b32_e32 v0, 0x7f800001
	s_mov_b32 s19, exec_lo
	s_delay_alu instid0(VALU_DEP_2)
	v_cmpx_ne_u32_e32 0x7f, v1
	s_cbranch_execz .LBB458_542
; %bb.539:                              ;   in Loop: Header=BB458_8 Depth=1
	v_lshrrev_b32_e32 v0, 3, v1
	v_dual_mov_b32 v33, v19 :: v_dual_mov_b32 v32, v18
	s_mov_b32 s20, exec_lo
	v_cmpx_gt_u32_e32 8, v1
; %bb.540:                              ;   in Loop: Header=BB458_8 Depth=1
	v_and_b32_e32 v0, 7, v31
	s_delay_alu instid0(VALU_DEP_1) | instskip(NEXT) | instid1(VALU_DEP_1)
	v_clz_i32_u32_e32 v0, v0
	v_min_u32_e32 v0, 32, v0
	s_delay_alu instid0(VALU_DEP_1) | instskip(SKIP_1) | instid1(VALU_DEP_2)
	v_subrev_nc_u32_e32 v1, 28, v0
	v_sub_nc_u32_e32 v0, 29, v0
	v_lshlrev_b64 v[32:33], v1, v[18:19]
; %bb.541:                              ;   in Loop: Header=BB458_8 Depth=1
	s_or_b32 exec_lo, exec_lo, s20
	s_delay_alu instid0(VALU_DEP_1) | instskip(SKIP_2) | instid1(VALU_DEP_3)
	v_lshlrev_b32_e32 v1, 20, v32
	v_lshlrev_b32_e32 v2, 24, v18
	v_lshl_add_u32 v0, v0, 23, 0x3c000000
	v_and_b32_e32 v1, 0x700000, v1
	s_delay_alu instid0(VALU_DEP_3) | instskip(NEXT) | instid1(VALU_DEP_1)
	v_and_b32_e32 v2, 0x80000000, v2
	v_or3_b32 v0, v1, v2, v0
.LBB458_542:                            ;   in Loop: Header=BB458_8 Depth=1
	s_or_b32 exec_lo, exec_lo, s19
.LBB458_543:                            ;   in Loop: Header=BB458_8 Depth=1
	s_delay_alu instid0(SALU_CYCLE_1)
	s_or_b32 exec_lo, exec_lo, s18
.LBB458_544:                            ;   in Loop: Header=BB458_8 Depth=1
	s_delay_alu instid0(SALU_CYCLE_1) | instskip(NEXT) | instid1(VALU_DEP_1)
	s_or_b32 exec_lo, exec_lo, s2
	v_mul_f32_e32 v0, v104, v0
                                        ; implicit-def: $vgpr188
	s_delay_alu instid0(VALU_DEP_1) | instskip(NEXT) | instid1(VALU_DEP_1)
	v_and_b32_e32 v1, 0x7f800000, v0
	v_cmp_ne_u32_e64 s1, 0x7f800000, v1
	s_delay_alu instid0(VALU_DEP_1) | instskip(NEXT) | instid1(SALU_CYCLE_1)
	s_and_saveexec_b32 s2, s1
	s_xor_b32 s1, exec_lo, s2
; %bb.545:                              ;   in Loop: Header=BB458_8 Depth=1
	v_bfe_u32 v1, v0, 16, 1
	s_delay_alu instid0(VALU_DEP_1)
	v_add3_u32 v188, v0, v1, 0x7fff
                                        ; implicit-def: $vgpr0
; %bb.546:                              ;   in Loop: Header=BB458_8 Depth=1
	s_and_not1_saveexec_b32 s2, s1
; %bb.547:                              ;   in Loop: Header=BB458_8 Depth=1
	v_and_b32_e32 v1, 0xffff, v0
	v_or_b32_e32 v2, 0x10000, v0
	s_delay_alu instid0(VALU_DEP_2) | instskip(NEXT) | instid1(VALU_DEP_1)
	v_cmp_eq_u32_e64 s1, 0, v1
	v_cndmask_b32_e64 v188, v2, v0, s1
; %bb.548:                              ;   in Loop: Header=BB458_8 Depth=1
	s_or_b32 exec_lo, exec_lo, s2
	v_lshrrev_b16 v1, 8, v18
	v_mov_b32_e32 v0, 0
	s_mov_b32 s2, exec_lo
	s_delay_alu instid0(VALU_DEP_2)
	v_cmpx_ne_u16_e32 0, v1
	s_cbranch_execz .LBB458_556
; %bb.549:                              ;   in Loop: Header=BB458_8 Depth=1
	v_bfrev_b32_e32 v0, 1
	s_mov_b32 s18, exec_lo
	v_cmpx_ne_u16_e32 0x80, v1
	s_cbranch_execz .LBB458_555
; %bb.550:                              ;   in Loop: Header=BB458_8 Depth=1
	v_and_b32_e32 v2, 0xffff, v1
	v_mov_b32_e32 v0, 0x7f800001
	s_mov_b32 s19, exec_lo
	s_delay_alu instid0(VALU_DEP_2) | instskip(NEXT) | instid1(VALU_DEP_1)
	v_and_b32_e32 v1, 0x7f, v2
	v_cmpx_ne_u32_e32 0x7f, v1
	s_cbranch_execz .LBB458_554
; %bb.551:                              ;   in Loop: Header=BB458_8 Depth=1
	v_dual_mov_b32 v33, v19 :: v_dual_and_b32 v32, 7, v2
	v_lshrrev_b32_e32 v0, 3, v1
	s_mov_b32 s20, exec_lo
	v_cmpx_gt_u32_e32 8, v1
; %bb.552:                              ;   in Loop: Header=BB458_8 Depth=1
	s_delay_alu instid0(VALU_DEP_3) | instskip(NEXT) | instid1(VALU_DEP_1)
	v_clz_i32_u32_e32 v0, v32
	v_min_u32_e32 v0, 32, v0
	s_delay_alu instid0(VALU_DEP_1) | instskip(SKIP_1) | instid1(VALU_DEP_2)
	v_subrev_nc_u32_e32 v1, 28, v0
	v_sub_nc_u32_e32 v0, 29, v0
	v_lshlrev_b64 v[1:2], v1, v[32:33]
	s_delay_alu instid0(VALU_DEP_1)
	v_and_b32_e32 v32, 7, v1
; %bb.553:                              ;   in Loop: Header=BB458_8 Depth=1
	s_or_b32 exec_lo, exec_lo, s20
	v_lshlrev_b32_e32 v1, 16, v18
	s_delay_alu instid0(VALU_DEP_2) | instskip(SKIP_1) | instid1(VALU_DEP_3)
	v_lshlrev_b32_e32 v2, 20, v32
	v_lshl_add_u32 v0, v0, 23, 0x3c000000
	v_and_b32_e32 v1, 0x80000000, v1
	s_delay_alu instid0(VALU_DEP_1)
	v_or3_b32 v0, v2, v1, v0
.LBB458_554:                            ;   in Loop: Header=BB458_8 Depth=1
	s_or_b32 exec_lo, exec_lo, s19
.LBB458_555:                            ;   in Loop: Header=BB458_8 Depth=1
	s_delay_alu instid0(SALU_CYCLE_1)
	s_or_b32 exec_lo, exec_lo, s18
.LBB458_556:                            ;   in Loop: Header=BB458_8 Depth=1
	s_delay_alu instid0(SALU_CYCLE_1) | instskip(NEXT) | instid1(VALU_DEP_1)
	s_or_b32 exec_lo, exec_lo, s2
	v_mul_f32_e32 v0, v104, v0
                                        ; implicit-def: $vgpr189
	s_delay_alu instid0(VALU_DEP_1) | instskip(NEXT) | instid1(VALU_DEP_1)
	v_and_b32_e32 v1, 0x7f800000, v0
	v_cmp_ne_u32_e64 s1, 0x7f800000, v1
	s_delay_alu instid0(VALU_DEP_1) | instskip(NEXT) | instid1(SALU_CYCLE_1)
	s_and_saveexec_b32 s2, s1
	s_xor_b32 s1, exec_lo, s2
; %bb.557:                              ;   in Loop: Header=BB458_8 Depth=1
	v_bfe_u32 v1, v0, 16, 1
	s_delay_alu instid0(VALU_DEP_1)
	v_add3_u32 v189, v0, v1, 0x7fff
                                        ; implicit-def: $vgpr0
; %bb.558:                              ;   in Loop: Header=BB458_8 Depth=1
	s_and_not1_saveexec_b32 s2, s1
; %bb.559:                              ;   in Loop: Header=BB458_8 Depth=1
	v_and_b32_e32 v1, 0xffff, v0
	v_or_b32_e32 v2, 0x10000, v0
	s_delay_alu instid0(VALU_DEP_2) | instskip(NEXT) | instid1(VALU_DEP_1)
	v_cmp_eq_u32_e64 s1, 0, v1
	v_cndmask_b32_e64 v189, v2, v0, s1
; %bb.560:                              ;   in Loop: Header=BB458_8 Depth=1
	s_or_b32 exec_lo, exec_lo, s2
	v_lshrrev_b32_e32 v0, 16, v31
	s_mov_b32 s2, exec_lo
	s_delay_alu instid0(VALU_DEP_1) | instskip(NEXT) | instid1(VALU_DEP_1)
	v_dual_mov_b32 v1, 0 :: v_dual_and_b32 v2, 0xff, v0
	v_cmpx_ne_u16_e32 0, v2
	s_cbranch_execz .LBB458_568
; %bb.561:                              ;   in Loop: Header=BB458_8 Depth=1
	v_bfrev_b32_e32 v1, 1
	s_mov_b32 s18, exec_lo
	v_cmpx_ne_u16_e32 0x80, v2
	s_cbranch_execz .LBB458_567
; %bb.562:                              ;   in Loop: Header=BB458_8 Depth=1
	v_bfe_u32 v2, v31, 16, 7
	v_mov_b32_e32 v1, 0x7f800001
	s_mov_b32 s19, exec_lo
	s_delay_alu instid0(VALU_DEP_2)
	v_cmpx_ne_u32_e32 0x7f, v2
	s_cbranch_execz .LBB458_566
; %bb.563:                              ;   in Loop: Header=BB458_8 Depth=1
	v_and_b32_e32 v18, 7, v0
	v_lshrrev_b32_e32 v1, 3, v2
	s_mov_b32 s20, exec_lo
	v_cmpx_gt_u32_e32 8, v2
; %bb.564:                              ;   in Loop: Header=BB458_8 Depth=1
	s_delay_alu instid0(VALU_DEP_3) | instskip(NEXT) | instid1(VALU_DEP_1)
	v_clz_i32_u32_e32 v1, v18
	v_min_u32_e32 v1, 32, v1
	s_delay_alu instid0(VALU_DEP_1) | instskip(SKIP_1) | instid1(VALU_DEP_2)
	v_subrev_nc_u32_e32 v2, 28, v1
	v_sub_nc_u32_e32 v1, 29, v1
	v_lshlrev_b64 v[2:3], v2, v[18:19]
	s_delay_alu instid0(VALU_DEP_1)
	v_and_b32_e32 v18, 7, v2
; %bb.565:                              ;   in Loop: Header=BB458_8 Depth=1
	s_or_b32 exec_lo, exec_lo, s20
	v_lshlrev_b32_e32 v0, 24, v0
	s_delay_alu instid0(VALU_DEP_2) | instskip(SKIP_1) | instid1(VALU_DEP_3)
	v_lshlrev_b32_e32 v2, 20, v18
	v_lshl_add_u32 v1, v1, 23, 0x3c000000
	v_and_b32_e32 v0, 0x80000000, v0
	s_delay_alu instid0(VALU_DEP_1)
	v_or3_b32 v1, v2, v0, v1
.LBB458_566:                            ;   in Loop: Header=BB458_8 Depth=1
	s_or_b32 exec_lo, exec_lo, s19
.LBB458_567:                            ;   in Loop: Header=BB458_8 Depth=1
	s_delay_alu instid0(SALU_CYCLE_1)
	s_or_b32 exec_lo, exec_lo, s18
.LBB458_568:                            ;   in Loop: Header=BB458_8 Depth=1
	s_delay_alu instid0(SALU_CYCLE_1) | instskip(NEXT) | instid1(VALU_DEP_1)
	s_or_b32 exec_lo, exec_lo, s2
	v_mul_f32_e32 v0, v104, v1
                                        ; implicit-def: $vgpr190
	s_delay_alu instid0(VALU_DEP_1) | instskip(NEXT) | instid1(VALU_DEP_1)
	v_and_b32_e32 v1, 0x7f800000, v0
	v_cmp_ne_u32_e64 s1, 0x7f800000, v1
	s_delay_alu instid0(VALU_DEP_1) | instskip(NEXT) | instid1(SALU_CYCLE_1)
	s_and_saveexec_b32 s2, s1
	s_xor_b32 s1, exec_lo, s2
; %bb.569:                              ;   in Loop: Header=BB458_8 Depth=1
	v_bfe_u32 v1, v0, 16, 1
	s_delay_alu instid0(VALU_DEP_1)
	v_add3_u32 v190, v0, v1, 0x7fff
                                        ; implicit-def: $vgpr0
; %bb.570:                              ;   in Loop: Header=BB458_8 Depth=1
	s_and_not1_saveexec_b32 s2, s1
; %bb.571:                              ;   in Loop: Header=BB458_8 Depth=1
	v_and_b32_e32 v1, 0xffff, v0
	v_or_b32_e32 v2, 0x10000, v0
	s_delay_alu instid0(VALU_DEP_2) | instskip(NEXT) | instid1(VALU_DEP_1)
	v_cmp_eq_u32_e64 s1, 0, v1
	v_cndmask_b32_e64 v190, v2, v0, s1
; %bb.572:                              ;   in Loop: Header=BB458_8 Depth=1
	s_or_b32 exec_lo, exec_lo, s2
	v_mov_b32_e32 v1, 0
	s_mov_b32 s2, exec_lo
	v_cmpx_lt_u64_e64 s[8:9], v[30:31]
	s_cbranch_execz .LBB458_580
; %bb.573:                              ;   in Loop: Header=BB458_8 Depth=1
	v_lshrrev_b32_e32 v0, 24, v31
	v_bfrev_b32_e32 v1, 1
	s_mov_b32 s18, exec_lo
	s_delay_alu instid0(VALU_DEP_2)
	v_cmpx_ne_u32_e32 0x80, v0
	s_cbranch_execz .LBB458_579
; %bb.574:                              ;   in Loop: Header=BB458_8 Depth=1
	v_bfe_u32 v2, v31, 24, 7
	v_mov_b32_e32 v1, 0x7f800001
	s_mov_b32 s19, exec_lo
	s_delay_alu instid0(VALU_DEP_2)
	v_cmpx_ne_u32_e32 0x7f, v2
	s_cbranch_execz .LBB458_578
; %bb.575:                              ;   in Loop: Header=BB458_8 Depth=1
	v_and_b32_e32 v18, 7, v0
	v_lshrrev_b32_e32 v1, 3, v2
	s_mov_b32 s20, exec_lo
	v_cmpx_gt_u32_e32 8, v2
; %bb.576:                              ;   in Loop: Header=BB458_8 Depth=1
	s_delay_alu instid0(VALU_DEP_3) | instskip(NEXT) | instid1(VALU_DEP_1)
	v_clz_i32_u32_e32 v1, v18
	v_min_u32_e32 v1, 32, v1
	s_delay_alu instid0(VALU_DEP_1) | instskip(SKIP_1) | instid1(VALU_DEP_2)
	v_subrev_nc_u32_e32 v2, 28, v1
	v_sub_nc_u32_e32 v1, 29, v1
	v_lshlrev_b64 v[2:3], v2, v[18:19]
	s_delay_alu instid0(VALU_DEP_1)
	v_and_b32_e32 v18, 7, v2
; %bb.577:                              ;   in Loop: Header=BB458_8 Depth=1
	s_or_b32 exec_lo, exec_lo, s20
	v_lshlrev_b32_e32 v0, 24, v0
	s_delay_alu instid0(VALU_DEP_2) | instskip(SKIP_1) | instid1(VALU_DEP_3)
	v_lshlrev_b32_e32 v2, 20, v18
	v_lshl_add_u32 v1, v1, 23, 0x3c000000
	v_and_b32_e32 v0, 0x80000000, v0
	s_delay_alu instid0(VALU_DEP_1)
	v_or3_b32 v1, v2, v0, v1
.LBB458_578:                            ;   in Loop: Header=BB458_8 Depth=1
	s_or_b32 exec_lo, exec_lo, s19
.LBB458_579:                            ;   in Loop: Header=BB458_8 Depth=1
	s_delay_alu instid0(SALU_CYCLE_1)
	s_or_b32 exec_lo, exec_lo, s18
.LBB458_580:                            ;   in Loop: Header=BB458_8 Depth=1
	s_delay_alu instid0(SALU_CYCLE_1) | instskip(NEXT) | instid1(VALU_DEP_1)
	s_or_b32 exec_lo, exec_lo, s2
	v_mul_f32_e32 v0, v104, v1
                                        ; implicit-def: $vgpr191
	s_delay_alu instid0(VALU_DEP_1) | instskip(NEXT) | instid1(VALU_DEP_1)
	v_and_b32_e32 v1, 0x7f800000, v0
	v_cmp_ne_u32_e64 s1, 0x7f800000, v1
	s_delay_alu instid0(VALU_DEP_1) | instskip(NEXT) | instid1(SALU_CYCLE_1)
	s_and_saveexec_b32 s2, s1
	s_xor_b32 s1, exec_lo, s2
; %bb.581:                              ;   in Loop: Header=BB458_8 Depth=1
	v_bfe_u32 v1, v0, 16, 1
	s_delay_alu instid0(VALU_DEP_1)
	v_add3_u32 v191, v0, v1, 0x7fff
                                        ; implicit-def: $vgpr0
; %bb.582:                              ;   in Loop: Header=BB458_8 Depth=1
	s_and_not1_saveexec_b32 s2, s1
; %bb.583:                              ;   in Loop: Header=BB458_8 Depth=1
	v_and_b32_e32 v1, 0xffff, v0
	v_or_b32_e32 v2, 0x10000, v0
	s_delay_alu instid0(VALU_DEP_2) | instskip(NEXT) | instid1(VALU_DEP_1)
	v_cmp_eq_u32_e64 s1, 0, v1
	v_cndmask_b32_e64 v191, v2, v0, s1
; %bb.584:                              ;   in Loop: Header=BB458_8 Depth=1
	s_or_b32 exec_lo, exec_lo, s2
	flat_load_b64 v[30:31], v[28:29] offset:1536
	s_mov_b32 s2, exec_lo
	s_waitcnt vmcnt(0) lgkmcnt(0)
	v_dual_mov_b32 v0, 0 :: v_dual_and_b32 v1, 0xff, v30
	s_delay_alu instid0(VALU_DEP_1)
	v_cmpx_ne_u16_e32 0, v1
	s_cbranch_execz .LBB458_592
; %bb.585:                              ;   in Loop: Header=BB458_8 Depth=1
	v_bfrev_b32_e32 v0, 1
	s_mov_b32 s18, exec_lo
	v_cmpx_ne_u16_e32 0x80, v1
	s_cbranch_execz .LBB458_591
; %bb.586:                              ;   in Loop: Header=BB458_8 Depth=1
	v_and_b32_e32 v1, 0x7f, v30
	v_mov_b32_e32 v0, 0x7f800001
	s_mov_b32 s19, exec_lo
	s_delay_alu instid0(VALU_DEP_2)
	v_cmpx_ne_u32_e32 0x7f, v1
	s_cbranch_execz .LBB458_590
; %bb.587:                              ;   in Loop: Header=BB458_8 Depth=1
	v_lshrrev_b32_e32 v0, 3, v1
	v_dual_mov_b32 v33, v31 :: v_dual_mov_b32 v32, v30
	s_mov_b32 s20, exec_lo
	v_cmpx_gt_u32_e32 8, v1
; %bb.588:                              ;   in Loop: Header=BB458_8 Depth=1
	v_and_b32_e32 v0, 7, v30
	s_delay_alu instid0(VALU_DEP_1) | instskip(NEXT) | instid1(VALU_DEP_1)
	v_clz_i32_u32_e32 v0, v0
	v_min_u32_e32 v0, 32, v0
	s_delay_alu instid0(VALU_DEP_1) | instskip(SKIP_1) | instid1(VALU_DEP_2)
	v_subrev_nc_u32_e32 v1, 28, v0
	v_sub_nc_u32_e32 v0, 29, v0
	v_lshlrev_b64 v[32:33], v1, v[30:31]
; %bb.589:                              ;   in Loop: Header=BB458_8 Depth=1
	s_or_b32 exec_lo, exec_lo, s20
	s_delay_alu instid0(VALU_DEP_1) | instskip(SKIP_2) | instid1(VALU_DEP_3)
	v_lshlrev_b32_e32 v1, 20, v32
	v_lshlrev_b32_e32 v2, 24, v30
	v_lshl_add_u32 v0, v0, 23, 0x3c000000
	v_and_b32_e32 v1, 0x700000, v1
	s_delay_alu instid0(VALU_DEP_3) | instskip(NEXT) | instid1(VALU_DEP_1)
	v_and_b32_e32 v2, 0x80000000, v2
	v_or3_b32 v0, v1, v2, v0
.LBB458_590:                            ;   in Loop: Header=BB458_8 Depth=1
	s_or_b32 exec_lo, exec_lo, s19
.LBB458_591:                            ;   in Loop: Header=BB458_8 Depth=1
	s_delay_alu instid0(SALU_CYCLE_1)
	s_or_b32 exec_lo, exec_lo, s18
.LBB458_592:                            ;   in Loop: Header=BB458_8 Depth=1
	s_delay_alu instid0(SALU_CYCLE_1) | instskip(NEXT) | instid1(VALU_DEP_1)
	s_or_b32 exec_lo, exec_lo, s2
	v_mul_f32_e32 v0, v104, v0
                                        ; implicit-def: $vgpr38
	s_delay_alu instid0(VALU_DEP_1) | instskip(NEXT) | instid1(VALU_DEP_1)
	v_and_b32_e32 v1, 0x7f800000, v0
	v_cmp_ne_u32_e64 s1, 0x7f800000, v1
	s_delay_alu instid0(VALU_DEP_1) | instskip(NEXT) | instid1(SALU_CYCLE_1)
	s_and_saveexec_b32 s2, s1
	s_xor_b32 s1, exec_lo, s2
; %bb.593:                              ;   in Loop: Header=BB458_8 Depth=1
	v_bfe_u32 v1, v0, 16, 1
	s_delay_alu instid0(VALU_DEP_1)
	v_add3_u32 v38, v0, v1, 0x7fff
                                        ; implicit-def: $vgpr0
; %bb.594:                              ;   in Loop: Header=BB458_8 Depth=1
	s_and_not1_saveexec_b32 s2, s1
; %bb.595:                              ;   in Loop: Header=BB458_8 Depth=1
	v_and_b32_e32 v1, 0xffff, v0
	v_or_b32_e32 v2, 0x10000, v0
	s_delay_alu instid0(VALU_DEP_2) | instskip(NEXT) | instid1(VALU_DEP_1)
	v_cmp_eq_u32_e64 s1, 0, v1
	v_cndmask_b32_e64 v38, v2, v0, s1
; %bb.596:                              ;   in Loop: Header=BB458_8 Depth=1
	s_or_b32 exec_lo, exec_lo, s2
	v_lshrrev_b16 v1, 8, v30
	v_mov_b32_e32 v0, 0
	s_mov_b32 s2, exec_lo
	s_delay_alu instid0(VALU_DEP_2)
	v_cmpx_ne_u16_e32 0, v1
	s_cbranch_execz .LBB458_604
; %bb.597:                              ;   in Loop: Header=BB458_8 Depth=1
	v_bfrev_b32_e32 v0, 1
	s_mov_b32 s18, exec_lo
	v_cmpx_ne_u16_e32 0x80, v1
	s_cbranch_execz .LBB458_603
; %bb.598:                              ;   in Loop: Header=BB458_8 Depth=1
	v_and_b32_e32 v2, 0xffff, v1
	v_mov_b32_e32 v0, 0x7f800001
	s_mov_b32 s19, exec_lo
	s_delay_alu instid0(VALU_DEP_2) | instskip(NEXT) | instid1(VALU_DEP_1)
	v_and_b32_e32 v1, 0x7f, v2
	v_cmpx_ne_u32_e32 0x7f, v1
	s_cbranch_execz .LBB458_602
; %bb.599:                              ;   in Loop: Header=BB458_8 Depth=1
	v_and_b32_e32 v18, 7, v2
	v_lshrrev_b32_e32 v0, 3, v1
	s_mov_b32 s20, exec_lo
	v_cmpx_gt_u32_e32 8, v1
; %bb.600:                              ;   in Loop: Header=BB458_8 Depth=1
	s_delay_alu instid0(VALU_DEP_3) | instskip(NEXT) | instid1(VALU_DEP_1)
	v_clz_i32_u32_e32 v0, v18
	v_min_u32_e32 v0, 32, v0
	s_delay_alu instid0(VALU_DEP_1) | instskip(SKIP_1) | instid1(VALU_DEP_2)
	v_subrev_nc_u32_e32 v1, 28, v0
	v_sub_nc_u32_e32 v0, 29, v0
	v_lshlrev_b64 v[1:2], v1, v[18:19]
	s_delay_alu instid0(VALU_DEP_1)
	v_and_b32_e32 v18, 7, v1
; %bb.601:                              ;   in Loop: Header=BB458_8 Depth=1
	s_or_b32 exec_lo, exec_lo, s20
	v_lshlrev_b32_e32 v1, 16, v30
	s_delay_alu instid0(VALU_DEP_2) | instskip(SKIP_1) | instid1(VALU_DEP_3)
	v_lshlrev_b32_e32 v2, 20, v18
	v_lshl_add_u32 v0, v0, 23, 0x3c000000
	v_and_b32_e32 v1, 0x80000000, v1
	s_delay_alu instid0(VALU_DEP_1)
	v_or3_b32 v0, v2, v1, v0
.LBB458_602:                            ;   in Loop: Header=BB458_8 Depth=1
	s_or_b32 exec_lo, exec_lo, s19
.LBB458_603:                            ;   in Loop: Header=BB458_8 Depth=1
	s_delay_alu instid0(SALU_CYCLE_1)
	s_or_b32 exec_lo, exec_lo, s18
.LBB458_604:                            ;   in Loop: Header=BB458_8 Depth=1
	s_delay_alu instid0(SALU_CYCLE_1) | instskip(NEXT) | instid1(VALU_DEP_1)
	s_or_b32 exec_lo, exec_lo, s2
	v_mul_f32_e32 v0, v104, v0
                                        ; implicit-def: $vgpr5
	s_delay_alu instid0(VALU_DEP_1) | instskip(NEXT) | instid1(VALU_DEP_1)
	v_and_b32_e32 v1, 0x7f800000, v0
	v_cmp_ne_u32_e64 s1, 0x7f800000, v1
	s_delay_alu instid0(VALU_DEP_1) | instskip(NEXT) | instid1(SALU_CYCLE_1)
	s_and_saveexec_b32 s2, s1
	s_xor_b32 s1, exec_lo, s2
; %bb.605:                              ;   in Loop: Header=BB458_8 Depth=1
	v_bfe_u32 v1, v0, 16, 1
	s_delay_alu instid0(VALU_DEP_1)
	v_add3_u32 v5, v0, v1, 0x7fff
                                        ; implicit-def: $vgpr0
; %bb.606:                              ;   in Loop: Header=BB458_8 Depth=1
	s_and_not1_saveexec_b32 s2, s1
; %bb.607:                              ;   in Loop: Header=BB458_8 Depth=1
	v_and_b32_e32 v1, 0xffff, v0
	v_or_b32_e32 v2, 0x10000, v0
	s_delay_alu instid0(VALU_DEP_2) | instskip(NEXT) | instid1(VALU_DEP_1)
	v_cmp_eq_u32_e64 s1, 0, v1
	v_cndmask_b32_e64 v5, v2, v0, s1
; %bb.608:                              ;   in Loop: Header=BB458_8 Depth=1
	s_or_b32 exec_lo, exec_lo, s2
	v_lshrrev_b32_e32 v0, 16, v30
	s_mov_b32 s2, exec_lo
	s_delay_alu instid0(VALU_DEP_1) | instskip(NEXT) | instid1(VALU_DEP_1)
	v_dual_mov_b32 v1, 0 :: v_dual_and_b32 v2, 0xff, v0
	v_cmpx_ne_u16_e32 0, v2
	s_cbranch_execz .LBB458_616
; %bb.609:                              ;   in Loop: Header=BB458_8 Depth=1
	v_bfrev_b32_e32 v1, 1
	s_mov_b32 s18, exec_lo
	v_cmpx_ne_u16_e32 0x80, v2
	s_cbranch_execz .LBB458_615
; %bb.610:                              ;   in Loop: Header=BB458_8 Depth=1
	v_bfe_u32 v2, v30, 16, 7
	v_mov_b32_e32 v1, 0x7f800001
	s_mov_b32 s19, exec_lo
	s_delay_alu instid0(VALU_DEP_2)
	v_cmpx_ne_u32_e32 0x7f, v2
	s_cbranch_execz .LBB458_614
; %bb.611:                              ;   in Loop: Header=BB458_8 Depth=1
	v_and_b32_e32 v18, 7, v0
	v_lshrrev_b32_e32 v1, 3, v2
	s_mov_b32 s20, exec_lo
	v_cmpx_gt_u32_e32 8, v2
; %bb.612:                              ;   in Loop: Header=BB458_8 Depth=1
	s_delay_alu instid0(VALU_DEP_3) | instskip(NEXT) | instid1(VALU_DEP_1)
	v_clz_i32_u32_e32 v1, v18
	v_min_u32_e32 v1, 32, v1
	s_delay_alu instid0(VALU_DEP_1) | instskip(SKIP_1) | instid1(VALU_DEP_2)
	v_subrev_nc_u32_e32 v2, 28, v1
	v_sub_nc_u32_e32 v1, 29, v1
	v_lshlrev_b64 v[2:3], v2, v[18:19]
	s_delay_alu instid0(VALU_DEP_1)
	v_and_b32_e32 v18, 7, v2
; %bb.613:                              ;   in Loop: Header=BB458_8 Depth=1
	s_or_b32 exec_lo, exec_lo, s20
	v_lshlrev_b32_e32 v0, 24, v0
	s_delay_alu instid0(VALU_DEP_2) | instskip(SKIP_1) | instid1(VALU_DEP_3)
	v_lshlrev_b32_e32 v2, 20, v18
	v_lshl_add_u32 v1, v1, 23, 0x3c000000
	v_and_b32_e32 v0, 0x80000000, v0
	s_delay_alu instid0(VALU_DEP_1)
	v_or3_b32 v1, v2, v0, v1
.LBB458_614:                            ;   in Loop: Header=BB458_8 Depth=1
	s_or_b32 exec_lo, exec_lo, s19
.LBB458_615:                            ;   in Loop: Header=BB458_8 Depth=1
	s_delay_alu instid0(SALU_CYCLE_1)
	s_or_b32 exec_lo, exec_lo, s18
.LBB458_616:                            ;   in Loop: Header=BB458_8 Depth=1
	s_delay_alu instid0(SALU_CYCLE_1) | instskip(NEXT) | instid1(VALU_DEP_1)
	s_or_b32 exec_lo, exec_lo, s2
	v_mul_f32_e32 v0, v104, v1
                                        ; implicit-def: $vgpr4
	s_delay_alu instid0(VALU_DEP_1) | instskip(NEXT) | instid1(VALU_DEP_1)
	v_and_b32_e32 v1, 0x7f800000, v0
	v_cmp_ne_u32_e64 s1, 0x7f800000, v1
	s_delay_alu instid0(VALU_DEP_1) | instskip(NEXT) | instid1(SALU_CYCLE_1)
	s_and_saveexec_b32 s2, s1
	s_xor_b32 s1, exec_lo, s2
; %bb.617:                              ;   in Loop: Header=BB458_8 Depth=1
	v_bfe_u32 v1, v0, 16, 1
	s_delay_alu instid0(VALU_DEP_1)
	v_add3_u32 v4, v0, v1, 0x7fff
                                        ; implicit-def: $vgpr0
; %bb.618:                              ;   in Loop: Header=BB458_8 Depth=1
	s_and_not1_saveexec_b32 s2, s1
; %bb.619:                              ;   in Loop: Header=BB458_8 Depth=1
	v_and_b32_e32 v1, 0xffff, v0
	v_or_b32_e32 v2, 0x10000, v0
	s_delay_alu instid0(VALU_DEP_2) | instskip(NEXT) | instid1(VALU_DEP_1)
	v_cmp_eq_u32_e64 s1, 0, v1
	v_cndmask_b32_e64 v4, v2, v0, s1
; %bb.620:                              ;   in Loop: Header=BB458_8 Depth=1
	s_or_b32 exec_lo, exec_lo, s2
	v_mov_b32_e32 v1, 0
	s_mov_b32 s2, exec_lo
	v_cmpx_lt_u32_e32 0xffffff, v30
	s_cbranch_execz .LBB458_628
; %bb.621:                              ;   in Loop: Header=BB458_8 Depth=1
	v_lshrrev_b32_e32 v0, 24, v30
	v_bfrev_b32_e32 v1, 1
	s_mov_b32 s18, exec_lo
	s_delay_alu instid0(VALU_DEP_2)
	v_cmpx_ne_u32_e32 0x80, v0
	s_cbranch_execz .LBB458_627
; %bb.622:                              ;   in Loop: Header=BB458_8 Depth=1
	v_bfe_u32 v2, v30, 24, 7
	v_mov_b32_e32 v1, 0x7f800001
	s_mov_b32 s19, exec_lo
	s_delay_alu instid0(VALU_DEP_2)
	v_cmpx_ne_u32_e32 0x7f, v2
	s_cbranch_execz .LBB458_626
; %bb.623:                              ;   in Loop: Header=BB458_8 Depth=1
	v_and_b32_e32 v18, 7, v0
	v_lshrrev_b32_e32 v1, 3, v2
	s_mov_b32 s20, exec_lo
	v_cmpx_gt_u32_e32 8, v2
; %bb.624:                              ;   in Loop: Header=BB458_8 Depth=1
	s_delay_alu instid0(VALU_DEP_3) | instskip(NEXT) | instid1(VALU_DEP_1)
	v_clz_i32_u32_e32 v1, v18
	v_min_u32_e32 v1, 32, v1
	s_delay_alu instid0(VALU_DEP_1) | instskip(SKIP_1) | instid1(VALU_DEP_2)
	v_subrev_nc_u32_e32 v2, 28, v1
	v_sub_nc_u32_e32 v1, 29, v1
	v_lshlrev_b64 v[2:3], v2, v[18:19]
	s_delay_alu instid0(VALU_DEP_1)
	v_and_b32_e32 v18, 7, v2
; %bb.625:                              ;   in Loop: Header=BB458_8 Depth=1
	s_or_b32 exec_lo, exec_lo, s20
	v_lshlrev_b32_e32 v0, 24, v0
	s_delay_alu instid0(VALU_DEP_2) | instskip(SKIP_1) | instid1(VALU_DEP_3)
	v_lshlrev_b32_e32 v2, 20, v18
	v_lshl_add_u32 v1, v1, 23, 0x3c000000
	v_and_b32_e32 v0, 0x80000000, v0
	s_delay_alu instid0(VALU_DEP_1)
	v_or3_b32 v1, v2, v0, v1
.LBB458_626:                            ;   in Loop: Header=BB458_8 Depth=1
	s_or_b32 exec_lo, exec_lo, s19
.LBB458_627:                            ;   in Loop: Header=BB458_8 Depth=1
	s_delay_alu instid0(SALU_CYCLE_1)
	s_or_b32 exec_lo, exec_lo, s18
.LBB458_628:                            ;   in Loop: Header=BB458_8 Depth=1
	s_delay_alu instid0(SALU_CYCLE_1) | instskip(NEXT) | instid1(VALU_DEP_1)
	s_or_b32 exec_lo, exec_lo, s2
	v_mul_f32_e32 v0, v104, v1
                                        ; implicit-def: $vgpr36
	s_delay_alu instid0(VALU_DEP_1) | instskip(NEXT) | instid1(VALU_DEP_1)
	v_and_b32_e32 v1, 0x7f800000, v0
	v_cmp_ne_u32_e64 s1, 0x7f800000, v1
	s_delay_alu instid0(VALU_DEP_1) | instskip(NEXT) | instid1(SALU_CYCLE_1)
	s_and_saveexec_b32 s2, s1
	s_xor_b32 s1, exec_lo, s2
; %bb.629:                              ;   in Loop: Header=BB458_8 Depth=1
	v_bfe_u32 v1, v0, 16, 1
	s_delay_alu instid0(VALU_DEP_1)
	v_add3_u32 v36, v0, v1, 0x7fff
                                        ; implicit-def: $vgpr0
; %bb.630:                              ;   in Loop: Header=BB458_8 Depth=1
	s_and_not1_saveexec_b32 s2, s1
; %bb.631:                              ;   in Loop: Header=BB458_8 Depth=1
	v_and_b32_e32 v1, 0xffff, v0
	v_or_b32_e32 v2, 0x10000, v0
	s_delay_alu instid0(VALU_DEP_2) | instskip(NEXT) | instid1(VALU_DEP_1)
	v_cmp_eq_u32_e64 s1, 0, v1
	v_cndmask_b32_e64 v36, v2, v0, s1
; %bb.632:                              ;   in Loop: Header=BB458_8 Depth=1
	s_or_b32 exec_lo, exec_lo, s2
	v_dual_mov_b32 v18, v31 :: v_dual_and_b32 v1, 0xff, v31
	v_mov_b32_e32 v0, 0
	s_mov_b32 s2, exec_lo
	s_delay_alu instid0(VALU_DEP_2)
	v_cmpx_ne_u16_e32 0, v1
	s_cbranch_execz .LBB458_640
; %bb.633:                              ;   in Loop: Header=BB458_8 Depth=1
	v_bfrev_b32_e32 v0, 1
	s_mov_b32 s18, exec_lo
	v_cmpx_ne_u16_e32 0x80, v1
	s_cbranch_execz .LBB458_639
; %bb.634:                              ;   in Loop: Header=BB458_8 Depth=1
	v_and_b32_e32 v1, 0x7f, v31
	v_mov_b32_e32 v0, 0x7f800001
	s_mov_b32 s19, exec_lo
	s_delay_alu instid0(VALU_DEP_2)
	v_cmpx_ne_u32_e32 0x7f, v1
	s_cbranch_execz .LBB458_638
; %bb.635:                              ;   in Loop: Header=BB458_8 Depth=1
	v_lshrrev_b32_e32 v0, 3, v1
	v_dual_mov_b32 v33, v19 :: v_dual_mov_b32 v32, v18
	s_mov_b32 s20, exec_lo
	v_cmpx_gt_u32_e32 8, v1
; %bb.636:                              ;   in Loop: Header=BB458_8 Depth=1
	v_and_b32_e32 v0, 7, v31
	s_delay_alu instid0(VALU_DEP_1) | instskip(NEXT) | instid1(VALU_DEP_1)
	v_clz_i32_u32_e32 v0, v0
	v_min_u32_e32 v0, 32, v0
	s_delay_alu instid0(VALU_DEP_1) | instskip(SKIP_1) | instid1(VALU_DEP_2)
	v_subrev_nc_u32_e32 v1, 28, v0
	v_sub_nc_u32_e32 v0, 29, v0
	v_lshlrev_b64 v[32:33], v1, v[18:19]
; %bb.637:                              ;   in Loop: Header=BB458_8 Depth=1
	s_or_b32 exec_lo, exec_lo, s20
	s_delay_alu instid0(VALU_DEP_1) | instskip(SKIP_2) | instid1(VALU_DEP_3)
	v_lshlrev_b32_e32 v1, 20, v32
	v_lshlrev_b32_e32 v2, 24, v18
	v_lshl_add_u32 v0, v0, 23, 0x3c000000
	v_and_b32_e32 v1, 0x700000, v1
	s_delay_alu instid0(VALU_DEP_3) | instskip(NEXT) | instid1(VALU_DEP_1)
	v_and_b32_e32 v2, 0x80000000, v2
	v_or3_b32 v0, v1, v2, v0
.LBB458_638:                            ;   in Loop: Header=BB458_8 Depth=1
	s_or_b32 exec_lo, exec_lo, s19
.LBB458_639:                            ;   in Loop: Header=BB458_8 Depth=1
	s_delay_alu instid0(SALU_CYCLE_1)
	s_or_b32 exec_lo, exec_lo, s18
.LBB458_640:                            ;   in Loop: Header=BB458_8 Depth=1
	s_delay_alu instid0(SALU_CYCLE_1) | instskip(NEXT) | instid1(VALU_DEP_1)
	s_or_b32 exec_lo, exec_lo, s2
	v_mul_f32_e32 v0, v104, v0
                                        ; implicit-def: $vgpr23
	s_delay_alu instid0(VALU_DEP_1) | instskip(NEXT) | instid1(VALU_DEP_1)
	v_and_b32_e32 v1, 0x7f800000, v0
	v_cmp_ne_u32_e64 s1, 0x7f800000, v1
	s_delay_alu instid0(VALU_DEP_1) | instskip(NEXT) | instid1(SALU_CYCLE_1)
	s_and_saveexec_b32 s2, s1
	s_xor_b32 s1, exec_lo, s2
; %bb.641:                              ;   in Loop: Header=BB458_8 Depth=1
	v_bfe_u32 v1, v0, 16, 1
	s_delay_alu instid0(VALU_DEP_1)
	v_add3_u32 v23, v0, v1, 0x7fff
                                        ; implicit-def: $vgpr0
; %bb.642:                              ;   in Loop: Header=BB458_8 Depth=1
	s_and_not1_saveexec_b32 s2, s1
; %bb.643:                              ;   in Loop: Header=BB458_8 Depth=1
	v_and_b32_e32 v1, 0xffff, v0
	v_or_b32_e32 v2, 0x10000, v0
	s_delay_alu instid0(VALU_DEP_2) | instskip(NEXT) | instid1(VALU_DEP_1)
	v_cmp_eq_u32_e64 s1, 0, v1
	v_cndmask_b32_e64 v23, v2, v0, s1
; %bb.644:                              ;   in Loop: Header=BB458_8 Depth=1
	s_or_b32 exec_lo, exec_lo, s2
	v_lshrrev_b16 v1, 8, v18
	v_mov_b32_e32 v0, 0
	s_mov_b32 s2, exec_lo
	s_delay_alu instid0(VALU_DEP_2)
	v_cmpx_ne_u16_e32 0, v1
	s_cbranch_execz .LBB458_652
; %bb.645:                              ;   in Loop: Header=BB458_8 Depth=1
	v_bfrev_b32_e32 v0, 1
	s_mov_b32 s18, exec_lo
	v_cmpx_ne_u16_e32 0x80, v1
	s_cbranch_execz .LBB458_651
; %bb.646:                              ;   in Loop: Header=BB458_8 Depth=1
	v_and_b32_e32 v2, 0xffff, v1
	v_mov_b32_e32 v0, 0x7f800001
	s_mov_b32 s19, exec_lo
	s_delay_alu instid0(VALU_DEP_2) | instskip(NEXT) | instid1(VALU_DEP_1)
	v_and_b32_e32 v1, 0x7f, v2
	v_cmpx_ne_u32_e32 0x7f, v1
	s_cbranch_execz .LBB458_650
; %bb.647:                              ;   in Loop: Header=BB458_8 Depth=1
	v_dual_mov_b32 v33, v19 :: v_dual_and_b32 v32, 7, v2
	v_lshrrev_b32_e32 v0, 3, v1
	s_mov_b32 s20, exec_lo
	v_cmpx_gt_u32_e32 8, v1
; %bb.648:                              ;   in Loop: Header=BB458_8 Depth=1
	s_delay_alu instid0(VALU_DEP_3) | instskip(NEXT) | instid1(VALU_DEP_1)
	v_clz_i32_u32_e32 v0, v32
	v_min_u32_e32 v0, 32, v0
	s_delay_alu instid0(VALU_DEP_1) | instskip(SKIP_1) | instid1(VALU_DEP_2)
	v_subrev_nc_u32_e32 v1, 28, v0
	v_sub_nc_u32_e32 v0, 29, v0
	v_lshlrev_b64 v[1:2], v1, v[32:33]
	s_delay_alu instid0(VALU_DEP_1)
	v_and_b32_e32 v32, 7, v1
; %bb.649:                              ;   in Loop: Header=BB458_8 Depth=1
	s_or_b32 exec_lo, exec_lo, s20
	v_lshlrev_b32_e32 v1, 16, v18
	s_delay_alu instid0(VALU_DEP_2) | instskip(SKIP_1) | instid1(VALU_DEP_3)
	v_lshlrev_b32_e32 v2, 20, v32
	v_lshl_add_u32 v0, v0, 23, 0x3c000000
	v_and_b32_e32 v1, 0x80000000, v1
	s_delay_alu instid0(VALU_DEP_1)
	v_or3_b32 v0, v2, v1, v0
.LBB458_650:                            ;   in Loop: Header=BB458_8 Depth=1
	s_or_b32 exec_lo, exec_lo, s19
.LBB458_651:                            ;   in Loop: Header=BB458_8 Depth=1
	s_delay_alu instid0(SALU_CYCLE_1)
	s_or_b32 exec_lo, exec_lo, s18
.LBB458_652:                            ;   in Loop: Header=BB458_8 Depth=1
	s_delay_alu instid0(SALU_CYCLE_1) | instskip(NEXT) | instid1(VALU_DEP_1)
	s_or_b32 exec_lo, exec_lo, s2
	v_mul_f32_e32 v0, v104, v0
                                        ; implicit-def: $vgpr50
	s_delay_alu instid0(VALU_DEP_1) | instskip(NEXT) | instid1(VALU_DEP_1)
	v_and_b32_e32 v1, 0x7f800000, v0
	v_cmp_ne_u32_e64 s1, 0x7f800000, v1
	s_delay_alu instid0(VALU_DEP_1) | instskip(NEXT) | instid1(SALU_CYCLE_1)
	s_and_saveexec_b32 s2, s1
	s_xor_b32 s1, exec_lo, s2
; %bb.653:                              ;   in Loop: Header=BB458_8 Depth=1
	v_bfe_u32 v1, v0, 16, 1
	s_delay_alu instid0(VALU_DEP_1)
	v_add3_u32 v50, v0, v1, 0x7fff
                                        ; implicit-def: $vgpr0
; %bb.654:                              ;   in Loop: Header=BB458_8 Depth=1
	s_and_not1_saveexec_b32 s2, s1
; %bb.655:                              ;   in Loop: Header=BB458_8 Depth=1
	v_and_b32_e32 v1, 0xffff, v0
	v_or_b32_e32 v2, 0x10000, v0
	s_delay_alu instid0(VALU_DEP_2) | instskip(NEXT) | instid1(VALU_DEP_1)
	v_cmp_eq_u32_e64 s1, 0, v1
	v_cndmask_b32_e64 v50, v2, v0, s1
; %bb.656:                              ;   in Loop: Header=BB458_8 Depth=1
	s_or_b32 exec_lo, exec_lo, s2
	v_lshrrev_b32_e32 v0, 16, v31
	s_mov_b32 s2, exec_lo
	s_delay_alu instid0(VALU_DEP_1) | instskip(NEXT) | instid1(VALU_DEP_1)
	v_dual_mov_b32 v1, 0 :: v_dual_and_b32 v2, 0xff, v0
	v_cmpx_ne_u16_e32 0, v2
	s_cbranch_execz .LBB458_664
; %bb.657:                              ;   in Loop: Header=BB458_8 Depth=1
	v_bfrev_b32_e32 v1, 1
	s_mov_b32 s18, exec_lo
	v_cmpx_ne_u16_e32 0x80, v2
	s_cbranch_execz .LBB458_663
; %bb.658:                              ;   in Loop: Header=BB458_8 Depth=1
	v_bfe_u32 v2, v31, 16, 7
	v_mov_b32_e32 v1, 0x7f800001
	s_mov_b32 s19, exec_lo
	s_delay_alu instid0(VALU_DEP_2)
	v_cmpx_ne_u32_e32 0x7f, v2
	s_cbranch_execz .LBB458_662
; %bb.659:                              ;   in Loop: Header=BB458_8 Depth=1
	v_and_b32_e32 v18, 7, v0
	v_lshrrev_b32_e32 v1, 3, v2
	v_mov_b32_e32 v33, v19
	s_mov_b32 s20, exec_lo
	s_delay_alu instid0(VALU_DEP_3)
	v_mov_b32_e32 v32, v18
	v_cmpx_gt_u32_e32 8, v2
; %bb.660:                              ;   in Loop: Header=BB458_8 Depth=1
	v_clz_i32_u32_e32 v1, v18
	s_delay_alu instid0(VALU_DEP_1) | instskip(NEXT) | instid1(VALU_DEP_1)
	v_min_u32_e32 v1, 32, v1
	v_subrev_nc_u32_e32 v2, 28, v1
	v_sub_nc_u32_e32 v1, 29, v1
	s_delay_alu instid0(VALU_DEP_2) | instskip(NEXT) | instid1(VALU_DEP_1)
	v_lshlrev_b64 v[2:3], v2, v[18:19]
	v_and_b32_e32 v32, 7, v2
; %bb.661:                              ;   in Loop: Header=BB458_8 Depth=1
	s_or_b32 exec_lo, exec_lo, s20
	v_lshlrev_b32_e32 v0, 24, v0
	s_delay_alu instid0(VALU_DEP_2) | instskip(SKIP_1) | instid1(VALU_DEP_3)
	v_lshlrev_b32_e32 v2, 20, v32
	v_lshl_add_u32 v1, v1, 23, 0x3c000000
	v_and_b32_e32 v0, 0x80000000, v0
	s_delay_alu instid0(VALU_DEP_1)
	v_or3_b32 v1, v2, v0, v1
.LBB458_662:                            ;   in Loop: Header=BB458_8 Depth=1
	s_or_b32 exec_lo, exec_lo, s19
.LBB458_663:                            ;   in Loop: Header=BB458_8 Depth=1
	s_delay_alu instid0(SALU_CYCLE_1)
	s_or_b32 exec_lo, exec_lo, s18
.LBB458_664:                            ;   in Loop: Header=BB458_8 Depth=1
	s_delay_alu instid0(SALU_CYCLE_1) | instskip(NEXT) | instid1(VALU_DEP_1)
	s_or_b32 exec_lo, exec_lo, s2
	v_mul_f32_e32 v0, v104, v1
                                        ; implicit-def: $vgpr12
	s_delay_alu instid0(VALU_DEP_1) | instskip(NEXT) | instid1(VALU_DEP_1)
	v_and_b32_e32 v1, 0x7f800000, v0
	v_cmp_ne_u32_e64 s1, 0x7f800000, v1
	s_delay_alu instid0(VALU_DEP_1) | instskip(NEXT) | instid1(SALU_CYCLE_1)
	s_and_saveexec_b32 s2, s1
	s_xor_b32 s1, exec_lo, s2
; %bb.665:                              ;   in Loop: Header=BB458_8 Depth=1
	v_bfe_u32 v1, v0, 16, 1
	s_delay_alu instid0(VALU_DEP_1)
	v_add3_u32 v12, v0, v1, 0x7fff
                                        ; implicit-def: $vgpr0
; %bb.666:                              ;   in Loop: Header=BB458_8 Depth=1
	s_and_not1_saveexec_b32 s2, s1
; %bb.667:                              ;   in Loop: Header=BB458_8 Depth=1
	v_and_b32_e32 v1, 0xffff, v0
	v_or_b32_e32 v2, 0x10000, v0
	s_delay_alu instid0(VALU_DEP_2) | instskip(NEXT) | instid1(VALU_DEP_1)
	v_cmp_eq_u32_e64 s1, 0, v1
	v_cndmask_b32_e64 v12, v2, v0, s1
; %bb.668:                              ;   in Loop: Header=BB458_8 Depth=1
	s_or_b32 exec_lo, exec_lo, s2
	v_mov_b32_e32 v1, 0
	s_mov_b32 s2, exec_lo
	v_cmpx_lt_u64_e64 s[8:9], v[30:31]
	s_cbranch_execz .LBB458_676
; %bb.669:                              ;   in Loop: Header=BB458_8 Depth=1
	v_lshrrev_b32_e32 v0, 24, v31
	v_bfrev_b32_e32 v1, 1
	s_mov_b32 s18, exec_lo
	s_delay_alu instid0(VALU_DEP_2)
	v_cmpx_ne_u32_e32 0x80, v0
	s_cbranch_execz .LBB458_675
; %bb.670:                              ;   in Loop: Header=BB458_8 Depth=1
	v_bfe_u32 v2, v31, 24, 7
	v_mov_b32_e32 v1, 0x7f800001
	s_mov_b32 s19, exec_lo
	s_delay_alu instid0(VALU_DEP_2)
	v_cmpx_ne_u32_e32 0x7f, v2
	s_cbranch_execz .LBB458_674
; %bb.671:                              ;   in Loop: Header=BB458_8 Depth=1
	v_and_b32_e32 v18, 7, v0
	v_lshrrev_b32_e32 v1, 3, v2
	v_mov_b32_e32 v31, v19
	s_mov_b32 s20, exec_lo
	s_delay_alu instid0(VALU_DEP_3)
	v_mov_b32_e32 v30, v18
	v_cmpx_gt_u32_e32 8, v2
; %bb.672:                              ;   in Loop: Header=BB458_8 Depth=1
	v_clz_i32_u32_e32 v1, v18
	s_delay_alu instid0(VALU_DEP_1) | instskip(NEXT) | instid1(VALU_DEP_1)
	v_min_u32_e32 v1, 32, v1
	v_subrev_nc_u32_e32 v2, 28, v1
	v_sub_nc_u32_e32 v1, 29, v1
	s_delay_alu instid0(VALU_DEP_2) | instskip(NEXT) | instid1(VALU_DEP_1)
	v_lshlrev_b64 v[2:3], v2, v[18:19]
	v_and_b32_e32 v30, 7, v2
; %bb.673:                              ;   in Loop: Header=BB458_8 Depth=1
	s_or_b32 exec_lo, exec_lo, s20
	v_lshlrev_b32_e32 v0, 24, v0
	s_delay_alu instid0(VALU_DEP_2) | instskip(SKIP_1) | instid1(VALU_DEP_3)
	v_lshlrev_b32_e32 v2, 20, v30
	v_lshl_add_u32 v1, v1, 23, 0x3c000000
	v_and_b32_e32 v0, 0x80000000, v0
	s_delay_alu instid0(VALU_DEP_1)
	v_or3_b32 v1, v2, v0, v1
.LBB458_674:                            ;   in Loop: Header=BB458_8 Depth=1
	s_or_b32 exec_lo, exec_lo, s19
.LBB458_675:                            ;   in Loop: Header=BB458_8 Depth=1
	s_delay_alu instid0(SALU_CYCLE_1)
	s_or_b32 exec_lo, exec_lo, s18
.LBB458_676:                            ;   in Loop: Header=BB458_8 Depth=1
	s_delay_alu instid0(SALU_CYCLE_1) | instskip(NEXT) | instid1(VALU_DEP_1)
	s_or_b32 exec_lo, exec_lo, s2
	v_mul_f32_e32 v0, v104, v1
                                        ; implicit-def: $vgpr11
	s_delay_alu instid0(VALU_DEP_1) | instskip(NEXT) | instid1(VALU_DEP_1)
	v_and_b32_e32 v1, 0x7f800000, v0
	v_cmp_ne_u32_e64 s1, 0x7f800000, v1
	s_delay_alu instid0(VALU_DEP_1) | instskip(NEXT) | instid1(SALU_CYCLE_1)
	s_and_saveexec_b32 s2, s1
	s_xor_b32 s1, exec_lo, s2
; %bb.677:                              ;   in Loop: Header=BB458_8 Depth=1
	v_bfe_u32 v1, v0, 16, 1
	s_delay_alu instid0(VALU_DEP_1)
	v_add3_u32 v11, v0, v1, 0x7fff
                                        ; implicit-def: $vgpr0
; %bb.678:                              ;   in Loop: Header=BB458_8 Depth=1
	s_and_not1_saveexec_b32 s2, s1
; %bb.679:                              ;   in Loop: Header=BB458_8 Depth=1
	v_and_b32_e32 v1, 0xffff, v0
	v_or_b32_e32 v2, 0x10000, v0
	s_delay_alu instid0(VALU_DEP_2) | instskip(NEXT) | instid1(VALU_DEP_1)
	v_cmp_eq_u32_e64 s1, 0, v1
	v_cndmask_b32_e64 v11, v2, v0, s1
; %bb.680:                              ;   in Loop: Header=BB458_8 Depth=1
	s_or_b32 exec_lo, exec_lo, s2
	flat_load_b64 v[30:31], v[28:29] offset:1544
	s_mov_b32 s2, exec_lo
	s_waitcnt vmcnt(0) lgkmcnt(0)
	v_dual_mov_b32 v0, 0 :: v_dual_and_b32 v1, 0xff, v30
	s_delay_alu instid0(VALU_DEP_1)
	v_cmpx_ne_u16_e32 0, v1
	s_cbranch_execz .LBB458_688
; %bb.681:                              ;   in Loop: Header=BB458_8 Depth=1
	v_bfrev_b32_e32 v0, 1
	s_mov_b32 s18, exec_lo
	v_cmpx_ne_u16_e32 0x80, v1
	s_cbranch_execz .LBB458_687
; %bb.682:                              ;   in Loop: Header=BB458_8 Depth=1
	v_and_b32_e32 v1, 0x7f, v30
	v_mov_b32_e32 v0, 0x7f800001
	s_mov_b32 s19, exec_lo
	s_delay_alu instid0(VALU_DEP_2)
	v_cmpx_ne_u32_e32 0x7f, v1
	s_cbranch_execz .LBB458_686
; %bb.683:                              ;   in Loop: Header=BB458_8 Depth=1
	v_lshrrev_b32_e32 v0, 3, v1
	v_dual_mov_b32 v33, v31 :: v_dual_mov_b32 v32, v30
	s_mov_b32 s20, exec_lo
	v_cmpx_gt_u32_e32 8, v1
; %bb.684:                              ;   in Loop: Header=BB458_8 Depth=1
	v_and_b32_e32 v0, 7, v30
	s_delay_alu instid0(VALU_DEP_1) | instskip(NEXT) | instid1(VALU_DEP_1)
	v_clz_i32_u32_e32 v0, v0
	v_min_u32_e32 v0, 32, v0
	s_delay_alu instid0(VALU_DEP_1) | instskip(SKIP_1) | instid1(VALU_DEP_2)
	v_subrev_nc_u32_e32 v1, 28, v0
	v_sub_nc_u32_e32 v0, 29, v0
	v_lshlrev_b64 v[32:33], v1, v[30:31]
; %bb.685:                              ;   in Loop: Header=BB458_8 Depth=1
	s_or_b32 exec_lo, exec_lo, s20
	s_delay_alu instid0(VALU_DEP_1) | instskip(SKIP_2) | instid1(VALU_DEP_3)
	v_lshlrev_b32_e32 v1, 20, v32
	v_lshlrev_b32_e32 v2, 24, v30
	v_lshl_add_u32 v0, v0, 23, 0x3c000000
	v_and_b32_e32 v1, 0x700000, v1
	s_delay_alu instid0(VALU_DEP_3) | instskip(NEXT) | instid1(VALU_DEP_1)
	v_and_b32_e32 v2, 0x80000000, v2
	v_or3_b32 v0, v1, v2, v0
.LBB458_686:                            ;   in Loop: Header=BB458_8 Depth=1
	s_or_b32 exec_lo, exec_lo, s19
.LBB458_687:                            ;   in Loop: Header=BB458_8 Depth=1
	s_delay_alu instid0(SALU_CYCLE_1)
	s_or_b32 exec_lo, exec_lo, s18
.LBB458_688:                            ;   in Loop: Header=BB458_8 Depth=1
	s_delay_alu instid0(SALU_CYCLE_1) | instskip(NEXT) | instid1(VALU_DEP_1)
	s_or_b32 exec_lo, exec_lo, s2
	v_mul_f32_e32 v0, v104, v0
                                        ; implicit-def: $vgpr10
	s_delay_alu instid0(VALU_DEP_1) | instskip(NEXT) | instid1(VALU_DEP_1)
	v_and_b32_e32 v1, 0x7f800000, v0
	v_cmp_ne_u32_e64 s1, 0x7f800000, v1
	s_delay_alu instid0(VALU_DEP_1) | instskip(NEXT) | instid1(SALU_CYCLE_1)
	s_and_saveexec_b32 s2, s1
	s_xor_b32 s1, exec_lo, s2
; %bb.689:                              ;   in Loop: Header=BB458_8 Depth=1
	v_bfe_u32 v1, v0, 16, 1
	s_delay_alu instid0(VALU_DEP_1)
	v_add3_u32 v10, v0, v1, 0x7fff
                                        ; implicit-def: $vgpr0
; %bb.690:                              ;   in Loop: Header=BB458_8 Depth=1
	s_and_not1_saveexec_b32 s2, s1
; %bb.691:                              ;   in Loop: Header=BB458_8 Depth=1
	v_and_b32_e32 v1, 0xffff, v0
	v_or_b32_e32 v2, 0x10000, v0
	s_delay_alu instid0(VALU_DEP_2) | instskip(NEXT) | instid1(VALU_DEP_1)
	v_cmp_eq_u32_e64 s1, 0, v1
	v_cndmask_b32_e64 v10, v2, v0, s1
; %bb.692:                              ;   in Loop: Header=BB458_8 Depth=1
	s_or_b32 exec_lo, exec_lo, s2
	v_lshrrev_b16 v1, 8, v30
	v_mov_b32_e32 v0, 0
	s_mov_b32 s2, exec_lo
	s_delay_alu instid0(VALU_DEP_2)
	v_cmpx_ne_u16_e32 0, v1
	s_cbranch_execz .LBB458_700
; %bb.693:                              ;   in Loop: Header=BB458_8 Depth=1
	v_bfrev_b32_e32 v0, 1
	s_mov_b32 s18, exec_lo
	v_cmpx_ne_u16_e32 0x80, v1
	s_cbranch_execz .LBB458_699
; %bb.694:                              ;   in Loop: Header=BB458_8 Depth=1
	v_and_b32_e32 v2, 0xffff, v1
	v_mov_b32_e32 v0, 0x7f800001
	s_mov_b32 s19, exec_lo
	s_delay_alu instid0(VALU_DEP_2) | instskip(NEXT) | instid1(VALU_DEP_1)
	v_and_b32_e32 v1, 0x7f, v2
	v_cmpx_ne_u32_e32 0x7f, v1
	s_cbranch_execz .LBB458_698
; %bb.695:                              ;   in Loop: Header=BB458_8 Depth=1
	v_and_b32_e32 v18, 7, v2
	v_lshrrev_b32_e32 v0, 3, v1
	v_mov_b32_e32 v33, v19
	s_mov_b32 s20, exec_lo
	s_delay_alu instid0(VALU_DEP_3)
	v_mov_b32_e32 v32, v18
	v_cmpx_gt_u32_e32 8, v1
; %bb.696:                              ;   in Loop: Header=BB458_8 Depth=1
	v_clz_i32_u32_e32 v0, v18
	s_delay_alu instid0(VALU_DEP_1) | instskip(NEXT) | instid1(VALU_DEP_1)
	v_min_u32_e32 v0, 32, v0
	v_subrev_nc_u32_e32 v1, 28, v0
	v_sub_nc_u32_e32 v0, 29, v0
	s_delay_alu instid0(VALU_DEP_2) | instskip(NEXT) | instid1(VALU_DEP_1)
	v_lshlrev_b64 v[1:2], v1, v[18:19]
	v_and_b32_e32 v32, 7, v1
; %bb.697:                              ;   in Loop: Header=BB458_8 Depth=1
	s_or_b32 exec_lo, exec_lo, s20
	v_lshlrev_b32_e32 v1, 16, v30
	s_delay_alu instid0(VALU_DEP_2) | instskip(SKIP_1) | instid1(VALU_DEP_3)
	v_lshlrev_b32_e32 v2, 20, v32
	v_lshl_add_u32 v0, v0, 23, 0x3c000000
	v_and_b32_e32 v1, 0x80000000, v1
	s_delay_alu instid0(VALU_DEP_1)
	v_or3_b32 v0, v2, v1, v0
.LBB458_698:                            ;   in Loop: Header=BB458_8 Depth=1
	s_or_b32 exec_lo, exec_lo, s19
.LBB458_699:                            ;   in Loop: Header=BB458_8 Depth=1
	s_delay_alu instid0(SALU_CYCLE_1)
	s_or_b32 exec_lo, exec_lo, s18
.LBB458_700:                            ;   in Loop: Header=BB458_8 Depth=1
	s_delay_alu instid0(SALU_CYCLE_1) | instskip(NEXT) | instid1(VALU_DEP_1)
	s_or_b32 exec_lo, exec_lo, s2
	v_mul_f32_e32 v0, v104, v0
                                        ; implicit-def: $vgpr6
	s_delay_alu instid0(VALU_DEP_1) | instskip(NEXT) | instid1(VALU_DEP_1)
	v_and_b32_e32 v1, 0x7f800000, v0
	v_cmp_ne_u32_e64 s1, 0x7f800000, v1
	s_delay_alu instid0(VALU_DEP_1) | instskip(NEXT) | instid1(SALU_CYCLE_1)
	s_and_saveexec_b32 s2, s1
	s_xor_b32 s1, exec_lo, s2
; %bb.701:                              ;   in Loop: Header=BB458_8 Depth=1
	v_bfe_u32 v1, v0, 16, 1
	s_delay_alu instid0(VALU_DEP_1)
	v_add3_u32 v6, v0, v1, 0x7fff
                                        ; implicit-def: $vgpr0
; %bb.702:                              ;   in Loop: Header=BB458_8 Depth=1
	s_and_not1_saveexec_b32 s2, s1
; %bb.703:                              ;   in Loop: Header=BB458_8 Depth=1
	v_and_b32_e32 v1, 0xffff, v0
	v_or_b32_e32 v2, 0x10000, v0
	s_delay_alu instid0(VALU_DEP_2) | instskip(NEXT) | instid1(VALU_DEP_1)
	v_cmp_eq_u32_e64 s1, 0, v1
	v_cndmask_b32_e64 v6, v2, v0, s1
; %bb.704:                              ;   in Loop: Header=BB458_8 Depth=1
	s_or_b32 exec_lo, exec_lo, s2
	v_lshrrev_b32_e32 v0, 16, v30
	s_mov_b32 s2, exec_lo
	s_delay_alu instid0(VALU_DEP_1) | instskip(NEXT) | instid1(VALU_DEP_1)
	v_dual_mov_b32 v1, 0 :: v_dual_and_b32 v2, 0xff, v0
	v_cmpx_ne_u16_e32 0, v2
	s_cbranch_execz .LBB458_712
; %bb.705:                              ;   in Loop: Header=BB458_8 Depth=1
	v_bfrev_b32_e32 v1, 1
	s_mov_b32 s18, exec_lo
	v_cmpx_ne_u16_e32 0x80, v2
	s_cbranch_execz .LBB458_711
; %bb.706:                              ;   in Loop: Header=BB458_8 Depth=1
	v_bfe_u32 v2, v30, 16, 7
	v_mov_b32_e32 v1, 0x7f800001
	s_mov_b32 s19, exec_lo
	s_delay_alu instid0(VALU_DEP_2)
	v_cmpx_ne_u32_e32 0x7f, v2
	s_cbranch_execz .LBB458_710
; %bb.707:                              ;   in Loop: Header=BB458_8 Depth=1
	v_and_b32_e32 v18, 7, v0
	v_lshrrev_b32_e32 v1, 3, v2
	v_mov_b32_e32 v33, v19
	s_mov_b32 s20, exec_lo
	s_delay_alu instid0(VALU_DEP_3)
	v_mov_b32_e32 v32, v18
	v_cmpx_gt_u32_e32 8, v2
; %bb.708:                              ;   in Loop: Header=BB458_8 Depth=1
	v_clz_i32_u32_e32 v1, v18
	s_delay_alu instid0(VALU_DEP_1) | instskip(NEXT) | instid1(VALU_DEP_1)
	v_min_u32_e32 v1, 32, v1
	v_subrev_nc_u32_e32 v2, 28, v1
	v_sub_nc_u32_e32 v1, 29, v1
	s_delay_alu instid0(VALU_DEP_2) | instskip(NEXT) | instid1(VALU_DEP_1)
	v_lshlrev_b64 v[2:3], v2, v[18:19]
	v_and_b32_e32 v32, 7, v2
; %bb.709:                              ;   in Loop: Header=BB458_8 Depth=1
	s_or_b32 exec_lo, exec_lo, s20
	v_lshlrev_b32_e32 v0, 24, v0
	s_delay_alu instid0(VALU_DEP_2) | instskip(SKIP_1) | instid1(VALU_DEP_3)
	v_lshlrev_b32_e32 v2, 20, v32
	v_lshl_add_u32 v1, v1, 23, 0x3c000000
	v_and_b32_e32 v0, 0x80000000, v0
	s_delay_alu instid0(VALU_DEP_1)
	v_or3_b32 v1, v2, v0, v1
.LBB458_710:                            ;   in Loop: Header=BB458_8 Depth=1
	s_or_b32 exec_lo, exec_lo, s19
.LBB458_711:                            ;   in Loop: Header=BB458_8 Depth=1
	s_delay_alu instid0(SALU_CYCLE_1)
	s_or_b32 exec_lo, exec_lo, s18
.LBB458_712:                            ;   in Loop: Header=BB458_8 Depth=1
	s_delay_alu instid0(SALU_CYCLE_1) | instskip(NEXT) | instid1(VALU_DEP_1)
	s_or_b32 exec_lo, exec_lo, s2
	v_mul_f32_e32 v0, v104, v1
                                        ; implicit-def: $vgpr7
	s_delay_alu instid0(VALU_DEP_1) | instskip(NEXT) | instid1(VALU_DEP_1)
	v_and_b32_e32 v1, 0x7f800000, v0
	v_cmp_ne_u32_e64 s1, 0x7f800000, v1
	s_delay_alu instid0(VALU_DEP_1) | instskip(NEXT) | instid1(SALU_CYCLE_1)
	s_and_saveexec_b32 s2, s1
	s_xor_b32 s1, exec_lo, s2
; %bb.713:                              ;   in Loop: Header=BB458_8 Depth=1
	v_bfe_u32 v1, v0, 16, 1
	s_delay_alu instid0(VALU_DEP_1)
	v_add3_u32 v7, v0, v1, 0x7fff
                                        ; implicit-def: $vgpr0
; %bb.714:                              ;   in Loop: Header=BB458_8 Depth=1
	s_and_not1_saveexec_b32 s2, s1
; %bb.715:                              ;   in Loop: Header=BB458_8 Depth=1
	v_and_b32_e32 v1, 0xffff, v0
	v_or_b32_e32 v2, 0x10000, v0
	s_delay_alu instid0(VALU_DEP_2) | instskip(NEXT) | instid1(VALU_DEP_1)
	v_cmp_eq_u32_e64 s1, 0, v1
	v_cndmask_b32_e64 v7, v2, v0, s1
; %bb.716:                              ;   in Loop: Header=BB458_8 Depth=1
	s_or_b32 exec_lo, exec_lo, s2
	v_mov_b32_e32 v1, 0
	s_mov_b32 s2, exec_lo
	v_cmpx_lt_u32_e32 0xffffff, v30
	s_cbranch_execz .LBB458_724
; %bb.717:                              ;   in Loop: Header=BB458_8 Depth=1
	v_lshrrev_b32_e32 v0, 24, v30
	v_bfrev_b32_e32 v1, 1
	s_mov_b32 s18, exec_lo
	s_delay_alu instid0(VALU_DEP_2)
	v_cmpx_ne_u32_e32 0x80, v0
	s_cbranch_execz .LBB458_723
; %bb.718:                              ;   in Loop: Header=BB458_8 Depth=1
	v_bfe_u32 v2, v30, 24, 7
	v_mov_b32_e32 v1, 0x7f800001
	s_mov_b32 s19, exec_lo
	s_delay_alu instid0(VALU_DEP_2)
	v_cmpx_ne_u32_e32 0x7f, v2
	s_cbranch_execz .LBB458_722
; %bb.719:                              ;   in Loop: Header=BB458_8 Depth=1
	v_and_b32_e32 v18, 7, v0
	v_lshrrev_b32_e32 v1, 3, v2
	v_mov_b32_e32 v33, v19
	s_mov_b32 s20, exec_lo
	s_delay_alu instid0(VALU_DEP_3)
	v_mov_b32_e32 v32, v18
	v_cmpx_gt_u32_e32 8, v2
; %bb.720:                              ;   in Loop: Header=BB458_8 Depth=1
	v_clz_i32_u32_e32 v1, v18
	s_delay_alu instid0(VALU_DEP_1) | instskip(NEXT) | instid1(VALU_DEP_1)
	v_min_u32_e32 v1, 32, v1
	v_subrev_nc_u32_e32 v2, 28, v1
	v_sub_nc_u32_e32 v1, 29, v1
	s_delay_alu instid0(VALU_DEP_2) | instskip(NEXT) | instid1(VALU_DEP_1)
	v_lshlrev_b64 v[2:3], v2, v[18:19]
	v_and_b32_e32 v32, 7, v2
; %bb.721:                              ;   in Loop: Header=BB458_8 Depth=1
	s_or_b32 exec_lo, exec_lo, s20
	v_lshlrev_b32_e32 v0, 24, v0
	s_delay_alu instid0(VALU_DEP_2) | instskip(SKIP_1) | instid1(VALU_DEP_3)
	v_lshlrev_b32_e32 v2, 20, v32
	v_lshl_add_u32 v1, v1, 23, 0x3c000000
	v_and_b32_e32 v0, 0x80000000, v0
	s_delay_alu instid0(VALU_DEP_1)
	v_or3_b32 v1, v2, v0, v1
.LBB458_722:                            ;   in Loop: Header=BB458_8 Depth=1
	s_or_b32 exec_lo, exec_lo, s19
.LBB458_723:                            ;   in Loop: Header=BB458_8 Depth=1
	s_delay_alu instid0(SALU_CYCLE_1)
	s_or_b32 exec_lo, exec_lo, s18
.LBB458_724:                            ;   in Loop: Header=BB458_8 Depth=1
	s_delay_alu instid0(SALU_CYCLE_1) | instskip(NEXT) | instid1(VALU_DEP_1)
	s_or_b32 exec_lo, exec_lo, s2
	v_mul_f32_e32 v0, v104, v1
                                        ; implicit-def: $vgpr2
	s_delay_alu instid0(VALU_DEP_1) | instskip(NEXT) | instid1(VALU_DEP_1)
	v_and_b32_e32 v1, 0x7f800000, v0
	v_cmp_ne_u32_e64 s1, 0x7f800000, v1
	s_delay_alu instid0(VALU_DEP_1) | instskip(NEXT) | instid1(SALU_CYCLE_1)
	s_and_saveexec_b32 s2, s1
	s_xor_b32 s1, exec_lo, s2
; %bb.725:                              ;   in Loop: Header=BB458_8 Depth=1
	v_bfe_u32 v1, v0, 16, 1
	s_delay_alu instid0(VALU_DEP_1)
	v_add3_u32 v2, v0, v1, 0x7fff
                                        ; implicit-def: $vgpr0
; %bb.726:                              ;   in Loop: Header=BB458_8 Depth=1
	s_and_not1_saveexec_b32 s2, s1
; %bb.727:                              ;   in Loop: Header=BB458_8 Depth=1
	v_and_b32_e32 v1, 0xffff, v0
	v_or_b32_e32 v2, 0x10000, v0
	s_delay_alu instid0(VALU_DEP_2) | instskip(NEXT) | instid1(VALU_DEP_1)
	v_cmp_eq_u32_e64 s1, 0, v1
	v_cndmask_b32_e64 v2, v2, v0, s1
; %bb.728:                              ;   in Loop: Header=BB458_8 Depth=1
	s_or_b32 exec_lo, exec_lo, s2
	v_dual_mov_b32 v18, v31 :: v_dual_and_b32 v1, 0xff, v31
	v_mov_b32_e32 v0, 0
	s_mov_b32 s2, exec_lo
	s_delay_alu instid0(VALU_DEP_2)
	v_cmpx_ne_u16_e32 0, v1
	s_cbranch_execz .LBB458_736
; %bb.729:                              ;   in Loop: Header=BB458_8 Depth=1
	v_bfrev_b32_e32 v0, 1
	s_mov_b32 s18, exec_lo
	v_cmpx_ne_u16_e32 0x80, v1
	s_cbranch_execz .LBB458_735
; %bb.730:                              ;   in Loop: Header=BB458_8 Depth=1
	v_and_b32_e32 v1, 0x7f, v31
	v_mov_b32_e32 v0, 0x7f800001
	s_mov_b32 s19, exec_lo
	s_delay_alu instid0(VALU_DEP_2)
	v_cmpx_ne_u32_e32 0x7f, v1
	s_cbranch_execz .LBB458_734
; %bb.731:                              ;   in Loop: Header=BB458_8 Depth=1
	v_lshrrev_b32_e32 v0, 3, v1
	v_dual_mov_b32 v33, v19 :: v_dual_mov_b32 v32, v18
	s_mov_b32 s20, exec_lo
	v_cmpx_gt_u32_e32 8, v1
; %bb.732:                              ;   in Loop: Header=BB458_8 Depth=1
	v_and_b32_e32 v0, 7, v31
	s_delay_alu instid0(VALU_DEP_1) | instskip(NEXT) | instid1(VALU_DEP_1)
	v_clz_i32_u32_e32 v0, v0
	v_min_u32_e32 v0, 32, v0
	s_delay_alu instid0(VALU_DEP_1) | instskip(SKIP_1) | instid1(VALU_DEP_2)
	v_subrev_nc_u32_e32 v1, 28, v0
	v_sub_nc_u32_e32 v0, 29, v0
	v_lshlrev_b64 v[32:33], v1, v[18:19]
; %bb.733:                              ;   in Loop: Header=BB458_8 Depth=1
	s_or_b32 exec_lo, exec_lo, s20
	s_delay_alu instid0(VALU_DEP_1) | instskip(SKIP_2) | instid1(VALU_DEP_3)
	v_lshlrev_b32_e32 v1, 20, v32
	v_lshlrev_b32_e32 v3, 24, v18
	v_lshl_add_u32 v0, v0, 23, 0x3c000000
	v_and_b32_e32 v1, 0x700000, v1
	s_delay_alu instid0(VALU_DEP_3) | instskip(NEXT) | instid1(VALU_DEP_1)
	v_and_b32_e32 v3, 0x80000000, v3
	v_or3_b32 v0, v1, v3, v0
.LBB458_734:                            ;   in Loop: Header=BB458_8 Depth=1
	s_or_b32 exec_lo, exec_lo, s19
.LBB458_735:                            ;   in Loop: Header=BB458_8 Depth=1
	s_delay_alu instid0(SALU_CYCLE_1)
	s_or_b32 exec_lo, exec_lo, s18
.LBB458_736:                            ;   in Loop: Header=BB458_8 Depth=1
	s_delay_alu instid0(SALU_CYCLE_1) | instskip(NEXT) | instid1(VALU_DEP_1)
	s_or_b32 exec_lo, exec_lo, s2
	v_mul_f32_e32 v0, v104, v0
                                        ; implicit-def: $vgpr3
	s_delay_alu instid0(VALU_DEP_1) | instskip(NEXT) | instid1(VALU_DEP_1)
	v_and_b32_e32 v1, 0x7f800000, v0
	v_cmp_ne_u32_e64 s1, 0x7f800000, v1
	s_delay_alu instid0(VALU_DEP_1) | instskip(NEXT) | instid1(SALU_CYCLE_1)
	s_and_saveexec_b32 s2, s1
	s_xor_b32 s1, exec_lo, s2
; %bb.737:                              ;   in Loop: Header=BB458_8 Depth=1
	v_bfe_u32 v1, v0, 16, 1
	s_delay_alu instid0(VALU_DEP_1)
	v_add3_u32 v3, v0, v1, 0x7fff
                                        ; implicit-def: $vgpr0
; %bb.738:                              ;   in Loop: Header=BB458_8 Depth=1
	s_and_not1_saveexec_b32 s2, s1
; %bb.739:                              ;   in Loop: Header=BB458_8 Depth=1
	v_and_b32_e32 v1, 0xffff, v0
	v_or_b32_e32 v3, 0x10000, v0
	s_delay_alu instid0(VALU_DEP_2) | instskip(NEXT) | instid1(VALU_DEP_1)
	v_cmp_eq_u32_e64 s1, 0, v1
	v_cndmask_b32_e64 v3, v3, v0, s1
; %bb.740:                              ;   in Loop: Header=BB458_8 Depth=1
	s_or_b32 exec_lo, exec_lo, s2
	v_lshrrev_b16 v1, 8, v18
	v_mov_b32_e32 v0, 0
	s_mov_b32 s2, exec_lo
	s_delay_alu instid0(VALU_DEP_2)
	v_cmpx_ne_u16_e32 0, v1
	s_cbranch_execz .LBB458_748
; %bb.741:                              ;   in Loop: Header=BB458_8 Depth=1
	v_bfrev_b32_e32 v0, 1
	s_mov_b32 s18, exec_lo
	v_cmpx_ne_u16_e32 0x80, v1
	s_cbranch_execz .LBB458_747
; %bb.742:                              ;   in Loop: Header=BB458_8 Depth=1
	v_and_b32_e32 v14, 0xffff, v1
	v_mov_b32_e32 v0, 0x7f800001
	s_mov_b32 s19, exec_lo
	s_delay_alu instid0(VALU_DEP_2) | instskip(NEXT) | instid1(VALU_DEP_1)
	v_and_b32_e32 v1, 0x7f, v14
	v_cmpx_ne_u32_e32 0x7f, v1
	s_cbranch_execz .LBB458_746
; %bb.743:                              ;   in Loop: Header=BB458_8 Depth=1
	v_dual_mov_b32 v33, v19 :: v_dual_and_b32 v32, 7, v14
	v_lshrrev_b32_e32 v0, 3, v1
	s_mov_b32 s20, exec_lo
	v_cmpx_gt_u32_e32 8, v1
; %bb.744:                              ;   in Loop: Header=BB458_8 Depth=1
	s_delay_alu instid0(VALU_DEP_3) | instskip(NEXT) | instid1(VALU_DEP_1)
	v_clz_i32_u32_e32 v0, v32
	v_min_u32_e32 v0, 32, v0
	s_delay_alu instid0(VALU_DEP_1) | instskip(SKIP_1) | instid1(VALU_DEP_2)
	v_subrev_nc_u32_e32 v1, 28, v0
	v_sub_nc_u32_e32 v0, 29, v0
	v_lshlrev_b64 v[14:15], v1, v[32:33]
	s_delay_alu instid0(VALU_DEP_1)
	v_and_b32_e32 v32, 7, v14
; %bb.745:                              ;   in Loop: Header=BB458_8 Depth=1
	s_or_b32 exec_lo, exec_lo, s20
	v_lshlrev_b32_e32 v1, 16, v18
	s_delay_alu instid0(VALU_DEP_2) | instskip(SKIP_1) | instid1(VALU_DEP_3)
	v_lshlrev_b32_e32 v14, 20, v32
	v_lshl_add_u32 v0, v0, 23, 0x3c000000
	v_and_b32_e32 v1, 0x80000000, v1
	s_delay_alu instid0(VALU_DEP_1)
	v_or3_b32 v0, v14, v1, v0
.LBB458_746:                            ;   in Loop: Header=BB458_8 Depth=1
	s_or_b32 exec_lo, exec_lo, s19
.LBB458_747:                            ;   in Loop: Header=BB458_8 Depth=1
	s_delay_alu instid0(SALU_CYCLE_1)
	s_or_b32 exec_lo, exec_lo, s18
.LBB458_748:                            ;   in Loop: Header=BB458_8 Depth=1
	s_delay_alu instid0(SALU_CYCLE_1) | instskip(NEXT) | instid1(VALU_DEP_1)
	s_or_b32 exec_lo, exec_lo, s2
	v_mul_f32_e32 v0, v104, v0
                                        ; implicit-def: $vgpr14
	s_delay_alu instid0(VALU_DEP_1) | instskip(NEXT) | instid1(VALU_DEP_1)
	v_and_b32_e32 v1, 0x7f800000, v0
	v_cmp_ne_u32_e64 s1, 0x7f800000, v1
	s_delay_alu instid0(VALU_DEP_1) | instskip(NEXT) | instid1(SALU_CYCLE_1)
	s_and_saveexec_b32 s2, s1
	s_xor_b32 s1, exec_lo, s2
; %bb.749:                              ;   in Loop: Header=BB458_8 Depth=1
	v_bfe_u32 v1, v0, 16, 1
	s_delay_alu instid0(VALU_DEP_1)
	v_add3_u32 v14, v0, v1, 0x7fff
                                        ; implicit-def: $vgpr0
; %bb.750:                              ;   in Loop: Header=BB458_8 Depth=1
	s_and_not1_saveexec_b32 s2, s1
; %bb.751:                              ;   in Loop: Header=BB458_8 Depth=1
	v_and_b32_e32 v1, 0xffff, v0
	v_or_b32_e32 v14, 0x10000, v0
	s_delay_alu instid0(VALU_DEP_2) | instskip(NEXT) | instid1(VALU_DEP_1)
	v_cmp_eq_u32_e64 s1, 0, v1
	v_cndmask_b32_e64 v14, v14, v0, s1
; %bb.752:                              ;   in Loop: Header=BB458_8 Depth=1
	s_or_b32 exec_lo, exec_lo, s2
	v_lshrrev_b32_e32 v0, 16, v31
	v_mov_b32_e32 v1, 0
	s_mov_b32 s2, exec_lo
	s_delay_alu instid0(VALU_DEP_2) | instskip(NEXT) | instid1(VALU_DEP_1)
	v_and_b32_e32 v15, 0xff, v0
	v_cmpx_ne_u16_e32 0, v15
	s_cbranch_execz .LBB458_760
; %bb.753:                              ;   in Loop: Header=BB458_8 Depth=1
	v_bfrev_b32_e32 v1, 1
	s_mov_b32 s18, exec_lo
	v_cmpx_ne_u16_e32 0x80, v15
	s_cbranch_execz .LBB458_759
; %bb.754:                              ;   in Loop: Header=BB458_8 Depth=1
	v_bfe_u32 v15, v31, 16, 7
	v_mov_b32_e32 v1, 0x7f800001
	s_mov_b32 s19, exec_lo
	s_delay_alu instid0(VALU_DEP_2)
	v_cmpx_ne_u32_e32 0x7f, v15
	s_cbranch_execz .LBB458_758
; %bb.755:                              ;   in Loop: Header=BB458_8 Depth=1
	v_and_b32_e32 v18, 7, v0
	v_lshrrev_b32_e32 v1, 3, v15
	v_mov_b32_e32 v33, v19
	s_mov_b32 s20, exec_lo
	s_delay_alu instid0(VALU_DEP_3)
	v_mov_b32_e32 v32, v18
	v_cmpx_gt_u32_e32 8, v15
; %bb.756:                              ;   in Loop: Header=BB458_8 Depth=1
	v_clz_i32_u32_e32 v1, v18
	s_delay_alu instid0(VALU_DEP_1) | instskip(NEXT) | instid1(VALU_DEP_1)
	v_min_u32_e32 v1, 32, v1
	v_subrev_nc_u32_e32 v15, 28, v1
	v_sub_nc_u32_e32 v1, 29, v1
	s_delay_alu instid0(VALU_DEP_2) | instskip(NEXT) | instid1(VALU_DEP_1)
	v_lshlrev_b64 v[26:27], v15, v[18:19]
	v_and_b32_e32 v32, 7, v26
; %bb.757:                              ;   in Loop: Header=BB458_8 Depth=1
	s_or_b32 exec_lo, exec_lo, s20
	v_lshlrev_b32_e32 v0, 24, v0
	s_delay_alu instid0(VALU_DEP_2) | instskip(SKIP_1) | instid1(VALU_DEP_3)
	v_lshlrev_b32_e32 v15, 20, v32
	v_lshl_add_u32 v1, v1, 23, 0x3c000000
	v_and_b32_e32 v0, 0x80000000, v0
	s_delay_alu instid0(VALU_DEP_1)
	v_or3_b32 v1, v15, v0, v1
.LBB458_758:                            ;   in Loop: Header=BB458_8 Depth=1
	s_or_b32 exec_lo, exec_lo, s19
.LBB458_759:                            ;   in Loop: Header=BB458_8 Depth=1
	s_delay_alu instid0(SALU_CYCLE_1)
	s_or_b32 exec_lo, exec_lo, s18
.LBB458_760:                            ;   in Loop: Header=BB458_8 Depth=1
	s_delay_alu instid0(SALU_CYCLE_1) | instskip(NEXT) | instid1(VALU_DEP_1)
	s_or_b32 exec_lo, exec_lo, s2
	v_mul_f32_e32 v0, v104, v1
                                        ; implicit-def: $vgpr15
	s_delay_alu instid0(VALU_DEP_1) | instskip(NEXT) | instid1(VALU_DEP_1)
	v_and_b32_e32 v1, 0x7f800000, v0
	v_cmp_ne_u32_e64 s1, 0x7f800000, v1
	s_delay_alu instid0(VALU_DEP_1) | instskip(NEXT) | instid1(SALU_CYCLE_1)
	s_and_saveexec_b32 s2, s1
	s_xor_b32 s1, exec_lo, s2
; %bb.761:                              ;   in Loop: Header=BB458_8 Depth=1
	v_bfe_u32 v1, v0, 16, 1
	s_delay_alu instid0(VALU_DEP_1)
	v_add3_u32 v15, v0, v1, 0x7fff
                                        ; implicit-def: $vgpr0
; %bb.762:                              ;   in Loop: Header=BB458_8 Depth=1
	s_and_not1_saveexec_b32 s2, s1
; %bb.763:                              ;   in Loop: Header=BB458_8 Depth=1
	v_and_b32_e32 v1, 0xffff, v0
	v_or_b32_e32 v15, 0x10000, v0
	s_delay_alu instid0(VALU_DEP_2) | instskip(NEXT) | instid1(VALU_DEP_1)
	v_cmp_eq_u32_e64 s1, 0, v1
	v_cndmask_b32_e64 v15, v15, v0, s1
; %bb.764:                              ;   in Loop: Header=BB458_8 Depth=1
	s_or_b32 exec_lo, exec_lo, s2
	v_mov_b32_e32 v1, 0
	s_mov_b32 s2, exec_lo
	v_cmpx_lt_u64_e64 s[8:9], v[30:31]
	s_cbranch_execz .LBB458_772
; %bb.765:                              ;   in Loop: Header=BB458_8 Depth=1
	v_lshrrev_b32_e32 v0, 24, v31
	v_bfrev_b32_e32 v1, 1
	s_mov_b32 s18, exec_lo
	s_delay_alu instid0(VALU_DEP_2)
	v_cmpx_ne_u32_e32 0x80, v0
	s_cbranch_execz .LBB458_771
; %bb.766:                              ;   in Loop: Header=BB458_8 Depth=1
	v_bfe_u32 v26, v31, 24, 7
	v_mov_b32_e32 v1, 0x7f800001
	s_mov_b32 s19, exec_lo
	s_delay_alu instid0(VALU_DEP_2)
	v_cmpx_ne_u32_e32 0x7f, v26
	s_cbranch_execz .LBB458_770
; %bb.767:                              ;   in Loop: Header=BB458_8 Depth=1
	v_and_b32_e32 v18, 7, v0
	v_lshrrev_b32_e32 v1, 3, v26
	v_mov_b32_e32 v31, v19
	s_mov_b32 s20, exec_lo
	s_delay_alu instid0(VALU_DEP_3)
	v_mov_b32_e32 v30, v18
	v_cmpx_gt_u32_e32 8, v26
; %bb.768:                              ;   in Loop: Header=BB458_8 Depth=1
	v_clz_i32_u32_e32 v1, v18
	s_delay_alu instid0(VALU_DEP_1) | instskip(NEXT) | instid1(VALU_DEP_1)
	v_min_u32_e32 v1, 32, v1
	v_subrev_nc_u32_e32 v26, 28, v1
	v_sub_nc_u32_e32 v1, 29, v1
	s_delay_alu instid0(VALU_DEP_2) | instskip(NEXT) | instid1(VALU_DEP_1)
	v_lshlrev_b64 v[26:27], v26, v[18:19]
	v_and_b32_e32 v30, 7, v26
; %bb.769:                              ;   in Loop: Header=BB458_8 Depth=1
	s_or_b32 exec_lo, exec_lo, s20
	v_lshlrev_b32_e32 v0, 24, v0
	s_delay_alu instid0(VALU_DEP_2) | instskip(SKIP_1) | instid1(VALU_DEP_3)
	v_lshlrev_b32_e32 v18, 20, v30
	v_lshl_add_u32 v1, v1, 23, 0x3c000000
	v_and_b32_e32 v0, 0x80000000, v0
	s_delay_alu instid0(VALU_DEP_1)
	v_or3_b32 v1, v18, v0, v1
.LBB458_770:                            ;   in Loop: Header=BB458_8 Depth=1
	s_or_b32 exec_lo, exec_lo, s19
.LBB458_771:                            ;   in Loop: Header=BB458_8 Depth=1
	s_delay_alu instid0(SALU_CYCLE_1)
	s_or_b32 exec_lo, exec_lo, s18
.LBB458_772:                            ;   in Loop: Header=BB458_8 Depth=1
	s_delay_alu instid0(SALU_CYCLE_1) | instskip(NEXT) | instid1(VALU_DEP_1)
	s_or_b32 exec_lo, exec_lo, s2
	v_mul_f32_e32 v0, v104, v1
                                        ; implicit-def: $vgpr49
	s_delay_alu instid0(VALU_DEP_1) | instskip(NEXT) | instid1(VALU_DEP_1)
	v_and_b32_e32 v1, 0x7f800000, v0
	v_cmp_ne_u32_e64 s1, 0x7f800000, v1
	s_delay_alu instid0(VALU_DEP_1) | instskip(NEXT) | instid1(SALU_CYCLE_1)
	s_and_saveexec_b32 s2, s1
	s_xor_b32 s1, exec_lo, s2
; %bb.773:                              ;   in Loop: Header=BB458_8 Depth=1
	v_bfe_u32 v1, v0, 16, 1
	s_delay_alu instid0(VALU_DEP_1)
	v_add3_u32 v49, v0, v1, 0x7fff
                                        ; implicit-def: $vgpr0
; %bb.774:                              ;   in Loop: Header=BB458_8 Depth=1
	s_and_not1_saveexec_b32 s2, s1
; %bb.775:                              ;   in Loop: Header=BB458_8 Depth=1
	v_and_b32_e32 v1, 0xffff, v0
	v_or_b32_e32 v18, 0x10000, v0
	s_delay_alu instid0(VALU_DEP_2) | instskip(NEXT) | instid1(VALU_DEP_1)
	v_cmp_eq_u32_e64 s1, 0, v1
	v_cndmask_b32_e64 v49, v18, v0, s1
; %bb.776:                              ;   in Loop: Header=BB458_8 Depth=1
	s_or_b32 exec_lo, exec_lo, s2
	flat_load_b64 v[30:31], v[28:29] offset:2048
	s_mov_b32 s2, exec_lo
	s_waitcnt vmcnt(0) lgkmcnt(0)
	v_dual_mov_b32 v0, 0 :: v_dual_and_b32 v1, 0xff, v30
	s_delay_alu instid0(VALU_DEP_1)
	v_cmpx_ne_u16_e32 0, v1
	s_cbranch_execz .LBB458_784
; %bb.777:                              ;   in Loop: Header=BB458_8 Depth=1
	v_bfrev_b32_e32 v0, 1
	s_mov_b32 s18, exec_lo
	v_cmpx_ne_u16_e32 0x80, v1
	s_cbranch_execz .LBB458_783
; %bb.778:                              ;   in Loop: Header=BB458_8 Depth=1
	v_and_b32_e32 v1, 0x7f, v30
	v_mov_b32_e32 v0, 0x7f800001
	s_mov_b32 s19, exec_lo
	s_delay_alu instid0(VALU_DEP_2)
	v_cmpx_ne_u32_e32 0x7f, v1
	s_cbranch_execz .LBB458_782
; %bb.779:                              ;   in Loop: Header=BB458_8 Depth=1
	v_lshrrev_b32_e32 v0, 3, v1
	v_dual_mov_b32 v33, v31 :: v_dual_mov_b32 v32, v30
	s_mov_b32 s20, exec_lo
	v_cmpx_gt_u32_e32 8, v1
; %bb.780:                              ;   in Loop: Header=BB458_8 Depth=1
	v_and_b32_e32 v0, 7, v30
	s_delay_alu instid0(VALU_DEP_1) | instskip(NEXT) | instid1(VALU_DEP_1)
	v_clz_i32_u32_e32 v0, v0
	v_min_u32_e32 v0, 32, v0
	s_delay_alu instid0(VALU_DEP_1) | instskip(SKIP_1) | instid1(VALU_DEP_2)
	v_subrev_nc_u32_e32 v1, 28, v0
	v_sub_nc_u32_e32 v0, 29, v0
	v_lshlrev_b64 v[32:33], v1, v[30:31]
; %bb.781:                              ;   in Loop: Header=BB458_8 Depth=1
	s_or_b32 exec_lo, exec_lo, s20
	s_delay_alu instid0(VALU_DEP_1) | instskip(SKIP_2) | instid1(VALU_DEP_3)
	v_lshlrev_b32_e32 v1, 20, v32
	v_lshlrev_b32_e32 v18, 24, v30
	v_lshl_add_u32 v0, v0, 23, 0x3c000000
	v_and_b32_e32 v1, 0x700000, v1
	s_delay_alu instid0(VALU_DEP_3) | instskip(NEXT) | instid1(VALU_DEP_1)
	v_and_b32_e32 v18, 0x80000000, v18
	v_or3_b32 v0, v1, v18, v0
.LBB458_782:                            ;   in Loop: Header=BB458_8 Depth=1
	s_or_b32 exec_lo, exec_lo, s19
.LBB458_783:                            ;   in Loop: Header=BB458_8 Depth=1
	s_delay_alu instid0(SALU_CYCLE_1)
	s_or_b32 exec_lo, exec_lo, s18
.LBB458_784:                            ;   in Loop: Header=BB458_8 Depth=1
	s_delay_alu instid0(SALU_CYCLE_1) | instskip(NEXT) | instid1(VALU_DEP_1)
	s_or_b32 exec_lo, exec_lo, s2
	v_mul_f32_e32 v0, v104, v0
                                        ; implicit-def: $vgpr34
	s_delay_alu instid0(VALU_DEP_1) | instskip(NEXT) | instid1(VALU_DEP_1)
	v_and_b32_e32 v1, 0x7f800000, v0
	v_cmp_ne_u32_e64 s1, 0x7f800000, v1
	s_delay_alu instid0(VALU_DEP_1) | instskip(NEXT) | instid1(SALU_CYCLE_1)
	s_and_saveexec_b32 s2, s1
	s_xor_b32 s1, exec_lo, s2
; %bb.785:                              ;   in Loop: Header=BB458_8 Depth=1
	v_bfe_u32 v1, v0, 16, 1
	s_delay_alu instid0(VALU_DEP_1)
	v_add3_u32 v34, v0, v1, 0x7fff
                                        ; implicit-def: $vgpr0
; %bb.786:                              ;   in Loop: Header=BB458_8 Depth=1
	s_and_not1_saveexec_b32 s2, s1
; %bb.787:                              ;   in Loop: Header=BB458_8 Depth=1
	v_and_b32_e32 v1, 0xffff, v0
	v_or_b32_e32 v18, 0x10000, v0
	s_delay_alu instid0(VALU_DEP_2) | instskip(NEXT) | instid1(VALU_DEP_1)
	v_cmp_eq_u32_e64 s1, 0, v1
	v_cndmask_b32_e64 v34, v18, v0, s1
; %bb.788:                              ;   in Loop: Header=BB458_8 Depth=1
	s_or_b32 exec_lo, exec_lo, s2
	v_lshrrev_b16 v1, 8, v30
	v_mov_b32_e32 v0, 0
	s_mov_b32 s2, exec_lo
	s_delay_alu instid0(VALU_DEP_2)
	v_cmpx_ne_u16_e32 0, v1
	s_cbranch_execz .LBB458_796
; %bb.789:                              ;   in Loop: Header=BB458_8 Depth=1
	v_bfrev_b32_e32 v0, 1
	s_mov_b32 s18, exec_lo
	v_cmpx_ne_u16_e32 0x80, v1
	s_cbranch_execz .LBB458_795
; %bb.790:                              ;   in Loop: Header=BB458_8 Depth=1
	v_and_b32_e32 v18, 0xffff, v1
	v_mov_b32_e32 v0, 0x7f800001
	s_mov_b32 s19, exec_lo
	s_delay_alu instid0(VALU_DEP_2) | instskip(NEXT) | instid1(VALU_DEP_1)
	v_and_b32_e32 v1, 0x7f, v18
	v_cmpx_ne_u32_e32 0x7f, v1
	s_cbranch_execz .LBB458_794
; %bb.791:                              ;   in Loop: Header=BB458_8 Depth=1
	v_and_b32_e32 v18, 7, v18
	v_lshrrev_b32_e32 v0, 3, v1
	v_mov_b32_e32 v33, v19
	s_mov_b32 s20, exec_lo
	s_delay_alu instid0(VALU_DEP_3)
	v_mov_b32_e32 v32, v18
	v_cmpx_gt_u32_e32 8, v1
; %bb.792:                              ;   in Loop: Header=BB458_8 Depth=1
	v_clz_i32_u32_e32 v0, v18
	s_delay_alu instid0(VALU_DEP_1) | instskip(NEXT) | instid1(VALU_DEP_1)
	v_min_u32_e32 v0, 32, v0
	v_subrev_nc_u32_e32 v1, 28, v0
	v_sub_nc_u32_e32 v0, 29, v0
	s_delay_alu instid0(VALU_DEP_2) | instskip(NEXT) | instid1(VALU_DEP_1)
	v_lshlrev_b64 v[26:27], v1, v[18:19]
	v_and_b32_e32 v32, 7, v26
; %bb.793:                              ;   in Loop: Header=BB458_8 Depth=1
	s_or_b32 exec_lo, exec_lo, s20
	v_lshlrev_b32_e32 v1, 16, v30
	s_delay_alu instid0(VALU_DEP_2) | instskip(SKIP_1) | instid1(VALU_DEP_3)
	v_lshlrev_b32_e32 v18, 20, v32
	v_lshl_add_u32 v0, v0, 23, 0x3c000000
	v_and_b32_e32 v1, 0x80000000, v1
	s_delay_alu instid0(VALU_DEP_1)
	v_or3_b32 v0, v18, v1, v0
.LBB458_794:                            ;   in Loop: Header=BB458_8 Depth=1
	s_or_b32 exec_lo, exec_lo, s19
.LBB458_795:                            ;   in Loop: Header=BB458_8 Depth=1
	s_delay_alu instid0(SALU_CYCLE_1)
	s_or_b32 exec_lo, exec_lo, s18
.LBB458_796:                            ;   in Loop: Header=BB458_8 Depth=1
	s_delay_alu instid0(SALU_CYCLE_1) | instskip(NEXT) | instid1(VALU_DEP_1)
	s_or_b32 exec_lo, exec_lo, s2
	v_mul_f32_e32 v0, v104, v0
                                        ; implicit-def: $vgpr48
	s_delay_alu instid0(VALU_DEP_1) | instskip(NEXT) | instid1(VALU_DEP_1)
	v_and_b32_e32 v1, 0x7f800000, v0
	v_cmp_ne_u32_e64 s1, 0x7f800000, v1
	s_delay_alu instid0(VALU_DEP_1) | instskip(NEXT) | instid1(SALU_CYCLE_1)
	s_and_saveexec_b32 s2, s1
	s_xor_b32 s1, exec_lo, s2
; %bb.797:                              ;   in Loop: Header=BB458_8 Depth=1
	v_bfe_u32 v1, v0, 16, 1
	s_delay_alu instid0(VALU_DEP_1)
	v_add3_u32 v48, v0, v1, 0x7fff
                                        ; implicit-def: $vgpr0
; %bb.798:                              ;   in Loop: Header=BB458_8 Depth=1
	s_and_not1_saveexec_b32 s2, s1
; %bb.799:                              ;   in Loop: Header=BB458_8 Depth=1
	v_and_b32_e32 v1, 0xffff, v0
	v_or_b32_e32 v18, 0x10000, v0
	s_delay_alu instid0(VALU_DEP_2) | instskip(NEXT) | instid1(VALU_DEP_1)
	v_cmp_eq_u32_e64 s1, 0, v1
	v_cndmask_b32_e64 v48, v18, v0, s1
; %bb.800:                              ;   in Loop: Header=BB458_8 Depth=1
	s_or_b32 exec_lo, exec_lo, s2
	v_lshrrev_b32_e32 v0, 16, v30
	s_mov_b32 s2, exec_lo
	s_delay_alu instid0(VALU_DEP_1) | instskip(NEXT) | instid1(VALU_DEP_1)
	v_dual_mov_b32 v1, 0 :: v_dual_and_b32 v18, 0xff, v0
	v_cmpx_ne_u16_e32 0, v18
	s_cbranch_execz .LBB458_808
; %bb.801:                              ;   in Loop: Header=BB458_8 Depth=1
	v_bfrev_b32_e32 v1, 1
	s_mov_b32 s18, exec_lo
	v_cmpx_ne_u16_e32 0x80, v18
	s_cbranch_execz .LBB458_807
; %bb.802:                              ;   in Loop: Header=BB458_8 Depth=1
	v_bfe_u32 v26, v30, 16, 7
	v_mov_b32_e32 v1, 0x7f800001
	s_mov_b32 s19, exec_lo
	s_delay_alu instid0(VALU_DEP_2)
	v_cmpx_ne_u32_e32 0x7f, v26
	s_cbranch_execz .LBB458_806
; %bb.803:                              ;   in Loop: Header=BB458_8 Depth=1
	v_and_b32_e32 v18, 7, v0
	v_lshrrev_b32_e32 v1, 3, v26
	v_mov_b32_e32 v33, v19
	s_mov_b32 s20, exec_lo
	s_delay_alu instid0(VALU_DEP_3)
	v_mov_b32_e32 v32, v18
	v_cmpx_gt_u32_e32 8, v26
; %bb.804:                              ;   in Loop: Header=BB458_8 Depth=1
	v_clz_i32_u32_e32 v1, v18
	s_delay_alu instid0(VALU_DEP_1) | instskip(NEXT) | instid1(VALU_DEP_1)
	v_min_u32_e32 v1, 32, v1
	v_subrev_nc_u32_e32 v26, 28, v1
	v_sub_nc_u32_e32 v1, 29, v1
	s_delay_alu instid0(VALU_DEP_2) | instskip(NEXT) | instid1(VALU_DEP_1)
	v_lshlrev_b64 v[26:27], v26, v[18:19]
	v_and_b32_e32 v32, 7, v26
; %bb.805:                              ;   in Loop: Header=BB458_8 Depth=1
	s_or_b32 exec_lo, exec_lo, s20
	v_lshlrev_b32_e32 v0, 24, v0
	s_delay_alu instid0(VALU_DEP_2) | instskip(SKIP_1) | instid1(VALU_DEP_3)
	v_lshlrev_b32_e32 v18, 20, v32
	v_lshl_add_u32 v1, v1, 23, 0x3c000000
	v_and_b32_e32 v0, 0x80000000, v0
	s_delay_alu instid0(VALU_DEP_1)
	v_or3_b32 v1, v18, v0, v1
.LBB458_806:                            ;   in Loop: Header=BB458_8 Depth=1
	s_or_b32 exec_lo, exec_lo, s19
.LBB458_807:                            ;   in Loop: Header=BB458_8 Depth=1
	s_delay_alu instid0(SALU_CYCLE_1)
	s_or_b32 exec_lo, exec_lo, s18
.LBB458_808:                            ;   in Loop: Header=BB458_8 Depth=1
	s_delay_alu instid0(SALU_CYCLE_1) | instskip(NEXT) | instid1(VALU_DEP_1)
	s_or_b32 exec_lo, exec_lo, s2
	v_mul_f32_e32 v0, v104, v1
	s_delay_alu instid0(VALU_DEP_1) | instskip(NEXT) | instid1(VALU_DEP_1)
	v_and_b32_e32 v1, 0x7f800000, v0
	v_cmp_ne_u32_e64 s1, 0x7f800000, v1
                                        ; implicit-def: $vgpr1
	s_delay_alu instid0(VALU_DEP_1) | instskip(NEXT) | instid1(SALU_CYCLE_1)
	s_and_saveexec_b32 s2, s1
	s_xor_b32 s1, exec_lo, s2
; %bb.809:                              ;   in Loop: Header=BB458_8 Depth=1
	v_bfe_u32 v1, v0, 16, 1
	s_delay_alu instid0(VALU_DEP_1)
	v_add3_u32 v1, v0, v1, 0x7fff
                                        ; implicit-def: $vgpr0
; %bb.810:                              ;   in Loop: Header=BB458_8 Depth=1
	s_and_not1_saveexec_b32 s2, s1
; %bb.811:                              ;   in Loop: Header=BB458_8 Depth=1
	v_and_b32_e32 v1, 0xffff, v0
	v_or_b32_e32 v18, 0x10000, v0
	s_delay_alu instid0(VALU_DEP_2) | instskip(NEXT) | instid1(VALU_DEP_1)
	v_cmp_eq_u32_e64 s1, 0, v1
	v_cndmask_b32_e64 v1, v18, v0, s1
; %bb.812:                              ;   in Loop: Header=BB458_8 Depth=1
	s_or_b32 exec_lo, exec_lo, s2
	v_mov_b32_e32 v18, 0
	s_mov_b32 s2, exec_lo
	v_cmpx_lt_u32_e32 0xffffff, v30
	s_cbranch_execz .LBB458_820
; %bb.813:                              ;   in Loop: Header=BB458_8 Depth=1
	v_lshrrev_b32_e32 v0, 24, v30
	v_bfrev_b32_e32 v18, 1
	s_mov_b32 s18, exec_lo
	s_delay_alu instid0(VALU_DEP_2)
	v_cmpx_ne_u32_e32 0x80, v0
	s_cbranch_execz .LBB458_819
; %bb.814:                              ;   in Loop: Header=BB458_8 Depth=1
	v_bfe_u32 v27, v30, 24, 7
	v_mov_b32_e32 v18, 0x7f800001
	s_mov_b32 s19, exec_lo
	s_delay_alu instid0(VALU_DEP_2)
	v_cmpx_ne_u32_e32 0x7f, v27
	s_cbranch_execz .LBB458_818
; %bb.815:                              ;   in Loop: Header=BB458_8 Depth=1
	v_and_b32_e32 v18, 7, v0
	v_lshrrev_b32_e32 v26, 3, v27
	v_mov_b32_e32 v33, v19
	s_mov_b32 s20, exec_lo
	s_delay_alu instid0(VALU_DEP_3)
	v_mov_b32_e32 v32, v18
	v_cmpx_gt_u32_e32 8, v27
; %bb.816:                              ;   in Loop: Header=BB458_8 Depth=1
	v_clz_i32_u32_e32 v26, v18
	s_delay_alu instid0(VALU_DEP_1) | instskip(NEXT) | instid1(VALU_DEP_1)
	v_min_u32_e32 v26, 32, v26
	v_subrev_nc_u32_e32 v27, 28, v26
	v_sub_nc_u32_e32 v26, 29, v26
	s_delay_alu instid0(VALU_DEP_2) | instskip(NEXT) | instid1(VALU_DEP_1)
	v_lshlrev_b64 v[32:33], v27, v[18:19]
	v_and_b32_e32 v32, 7, v32
; %bb.817:                              ;   in Loop: Header=BB458_8 Depth=1
	s_or_b32 exec_lo, exec_lo, s20
	v_lshlrev_b32_e32 v0, 24, v0
	s_delay_alu instid0(VALU_DEP_2) | instskip(SKIP_1) | instid1(VALU_DEP_3)
	v_lshlrev_b32_e32 v18, 20, v32
	v_lshl_add_u32 v26, v26, 23, 0x3c000000
	v_and_b32_e32 v0, 0x80000000, v0
	s_delay_alu instid0(VALU_DEP_1)
	v_or3_b32 v18, v18, v0, v26
.LBB458_818:                            ;   in Loop: Header=BB458_8 Depth=1
	s_or_b32 exec_lo, exec_lo, s19
.LBB458_819:                            ;   in Loop: Header=BB458_8 Depth=1
	s_delay_alu instid0(SALU_CYCLE_1)
	s_or_b32 exec_lo, exec_lo, s18
.LBB458_820:                            ;   in Loop: Header=BB458_8 Depth=1
	s_delay_alu instid0(SALU_CYCLE_1) | instskip(NEXT) | instid1(VALU_DEP_1)
	s_or_b32 exec_lo, exec_lo, s2
	v_mul_f32_e32 v18, v104, v18
	s_delay_alu instid0(VALU_DEP_1) | instskip(NEXT) | instid1(VALU_DEP_1)
	v_and_b32_e32 v0, 0x7f800000, v18
	v_cmp_ne_u32_e64 s1, 0x7f800000, v0
                                        ; implicit-def: $vgpr0
	s_delay_alu instid0(VALU_DEP_1) | instskip(NEXT) | instid1(SALU_CYCLE_1)
	s_and_saveexec_b32 s2, s1
	s_xor_b32 s1, exec_lo, s2
; %bb.821:                              ;   in Loop: Header=BB458_8 Depth=1
	v_bfe_u32 v0, v18, 16, 1
	s_delay_alu instid0(VALU_DEP_1)
	v_add3_u32 v0, v18, v0, 0x7fff
                                        ; implicit-def: $vgpr18
; %bb.822:                              ;   in Loop: Header=BB458_8 Depth=1
	s_and_not1_saveexec_b32 s2, s1
; %bb.823:                              ;   in Loop: Header=BB458_8 Depth=1
	v_and_b32_e32 v0, 0xffff, v18
	v_or_b32_e32 v26, 0x10000, v18
	s_delay_alu instid0(VALU_DEP_2) | instskip(NEXT) | instid1(VALU_DEP_1)
	v_cmp_eq_u32_e64 s1, 0, v0
	v_cndmask_b32_e64 v0, v26, v18, s1
; %bb.824:                              ;   in Loop: Header=BB458_8 Depth=1
	s_or_b32 exec_lo, exec_lo, s2
	v_dual_mov_b32 v18, v31 :: v_dual_and_b32 v27, 0xff, v31
	v_mov_b32_e32 v26, 0
	s_mov_b32 s2, exec_lo
	s_delay_alu instid0(VALU_DEP_2)
	v_cmpx_ne_u16_e32 0, v27
	s_cbranch_execz .LBB458_832
; %bb.825:                              ;   in Loop: Header=BB458_8 Depth=1
	v_bfrev_b32_e32 v26, 1
	s_mov_b32 s18, exec_lo
	v_cmpx_ne_u16_e32 0x80, v27
	s_cbranch_execz .LBB458_831
; %bb.826:                              ;   in Loop: Header=BB458_8 Depth=1
	v_and_b32_e32 v27, 0x7f, v31
	v_mov_b32_e32 v26, 0x7f800001
	s_mov_b32 s19, exec_lo
	s_delay_alu instid0(VALU_DEP_2)
	v_cmpx_ne_u32_e32 0x7f, v27
	s_cbranch_execz .LBB458_830
; %bb.827:                              ;   in Loop: Header=BB458_8 Depth=1
	v_lshrrev_b32_e32 v26, 3, v27
	v_dual_mov_b32 v33, v19 :: v_dual_mov_b32 v32, v18
	s_mov_b32 s20, exec_lo
	v_cmpx_gt_u32_e32 8, v27
; %bb.828:                              ;   in Loop: Header=BB458_8 Depth=1
	v_and_b32_e32 v26, 7, v31
	s_delay_alu instid0(VALU_DEP_1) | instskip(NEXT) | instid1(VALU_DEP_1)
	v_clz_i32_u32_e32 v26, v26
	v_min_u32_e32 v26, 32, v26
	s_delay_alu instid0(VALU_DEP_1) | instskip(SKIP_1) | instid1(VALU_DEP_2)
	v_subrev_nc_u32_e32 v27, 28, v26
	v_sub_nc_u32_e32 v26, 29, v26
	v_lshlrev_b64 v[32:33], v27, v[18:19]
; %bb.829:                              ;   in Loop: Header=BB458_8 Depth=1
	s_or_b32 exec_lo, exec_lo, s20
	s_delay_alu instid0(VALU_DEP_1) | instskip(SKIP_2) | instid1(VALU_DEP_3)
	v_lshlrev_b32_e32 v27, 20, v32
	v_lshlrev_b32_e32 v32, 24, v18
	v_lshl_add_u32 v26, v26, 23, 0x3c000000
	v_and_b32_e32 v27, 0x700000, v27
	s_delay_alu instid0(VALU_DEP_3) | instskip(NEXT) | instid1(VALU_DEP_1)
	v_and_b32_e32 v32, 0x80000000, v32
	v_or3_b32 v26, v27, v32, v26
.LBB458_830:                            ;   in Loop: Header=BB458_8 Depth=1
	s_or_b32 exec_lo, exec_lo, s19
.LBB458_831:                            ;   in Loop: Header=BB458_8 Depth=1
	s_delay_alu instid0(SALU_CYCLE_1)
	s_or_b32 exec_lo, exec_lo, s18
.LBB458_832:                            ;   in Loop: Header=BB458_8 Depth=1
	s_delay_alu instid0(SALU_CYCLE_1) | instskip(NEXT) | instid1(VALU_DEP_1)
	s_or_b32 exec_lo, exec_lo, s2
	v_mul_f32_e32 v26, v104, v26
	s_delay_alu instid0(VALU_DEP_1) | instskip(NEXT) | instid1(VALU_DEP_1)
	v_and_b32_e32 v27, 0x7f800000, v26
	v_cmp_ne_u32_e64 s1, 0x7f800000, v27
                                        ; implicit-def: $vgpr27
	s_delay_alu instid0(VALU_DEP_1) | instskip(NEXT) | instid1(SALU_CYCLE_1)
	s_and_saveexec_b32 s2, s1
	s_xor_b32 s1, exec_lo, s2
; %bb.833:                              ;   in Loop: Header=BB458_8 Depth=1
	v_bfe_u32 v27, v26, 16, 1
	s_delay_alu instid0(VALU_DEP_1)
	v_add3_u32 v27, v26, v27, 0x7fff
                                        ; implicit-def: $vgpr26
; %bb.834:                              ;   in Loop: Header=BB458_8 Depth=1
	s_and_not1_saveexec_b32 s2, s1
; %bb.835:                              ;   in Loop: Header=BB458_8 Depth=1
	v_and_b32_e32 v27, 0xffff, v26
	v_or_b32_e32 v32, 0x10000, v26
	s_delay_alu instid0(VALU_DEP_2) | instskip(NEXT) | instid1(VALU_DEP_1)
	v_cmp_eq_u32_e64 s1, 0, v27
	v_cndmask_b32_e64 v27, v32, v26, s1
; %bb.836:                              ;   in Loop: Header=BB458_8 Depth=1
	s_or_b32 exec_lo, exec_lo, s2
	v_lshrrev_b16 v32, 8, v18
	v_mov_b32_e32 v26, 0
	s_mov_b32 s2, exec_lo
	s_delay_alu instid0(VALU_DEP_2)
	v_cmpx_ne_u16_e32 0, v32
	s_cbranch_execz .LBB458_844
; %bb.837:                              ;   in Loop: Header=BB458_8 Depth=1
	v_bfrev_b32_e32 v26, 1
	s_mov_b32 s18, exec_lo
	v_cmpx_ne_u16_e32 0x80, v32
	s_cbranch_execz .LBB458_843
; %bb.838:                              ;   in Loop: Header=BB458_8 Depth=1
	v_and_b32_e32 v32, 0xffff, v32
	v_mov_b32_e32 v26, 0x7f800001
	s_mov_b32 s19, exec_lo
	s_delay_alu instid0(VALU_DEP_2) | instskip(NEXT) | instid1(VALU_DEP_1)
	v_and_b32_e32 v51, 0x7f, v32
	v_cmpx_ne_u32_e32 0x7f, v51
	s_cbranch_execz .LBB458_842
; %bb.839:                              ;   in Loop: Header=BB458_8 Depth=1
	v_dual_mov_b32 v33, v19 :: v_dual_and_b32 v32, 7, v32
	v_lshrrev_b32_e32 v26, 3, v51
	s_mov_b32 s20, exec_lo
	v_cmpx_gt_u32_e32 8, v51
; %bb.840:                              ;   in Loop: Header=BB458_8 Depth=1
	s_delay_alu instid0(VALU_DEP_3) | instskip(NEXT) | instid1(VALU_DEP_1)
	v_clz_i32_u32_e32 v26, v32
	v_min_u32_e32 v26, 32, v26
	s_delay_alu instid0(VALU_DEP_1) | instskip(SKIP_1) | instid1(VALU_DEP_2)
	v_subrev_nc_u32_e32 v51, 28, v26
	v_sub_nc_u32_e32 v26, 29, v26
	v_lshlrev_b64 v[32:33], v51, v[32:33]
	s_delay_alu instid0(VALU_DEP_1)
	v_and_b32_e32 v32, 7, v32
; %bb.841:                              ;   in Loop: Header=BB458_8 Depth=1
	s_or_b32 exec_lo, exec_lo, s20
	v_lshlrev_b32_e32 v18, 16, v18
	s_delay_alu instid0(VALU_DEP_2) | instskip(SKIP_1) | instid1(VALU_DEP_3)
	v_lshlrev_b32_e32 v32, 20, v32
	v_lshl_add_u32 v26, v26, 23, 0x3c000000
	v_and_b32_e32 v18, 0x80000000, v18
	s_delay_alu instid0(VALU_DEP_1)
	v_or3_b32 v26, v32, v18, v26
.LBB458_842:                            ;   in Loop: Header=BB458_8 Depth=1
	s_or_b32 exec_lo, exec_lo, s19
.LBB458_843:                            ;   in Loop: Header=BB458_8 Depth=1
	s_delay_alu instid0(SALU_CYCLE_1)
	s_or_b32 exec_lo, exec_lo, s18
.LBB458_844:                            ;   in Loop: Header=BB458_8 Depth=1
	s_delay_alu instid0(SALU_CYCLE_1) | instskip(NEXT) | instid1(VALU_DEP_1)
	s_or_b32 exec_lo, exec_lo, s2
	v_mul_f32_e32 v18, v104, v26
	s_delay_alu instid0(VALU_DEP_1) | instskip(NEXT) | instid1(VALU_DEP_1)
	v_and_b32_e32 v26, 0x7f800000, v18
	v_cmp_ne_u32_e64 s1, 0x7f800000, v26
                                        ; implicit-def: $vgpr26
	s_delay_alu instid0(VALU_DEP_1) | instskip(NEXT) | instid1(SALU_CYCLE_1)
	s_and_saveexec_b32 s2, s1
	s_xor_b32 s1, exec_lo, s2
; %bb.845:                              ;   in Loop: Header=BB458_8 Depth=1
	v_bfe_u32 v26, v18, 16, 1
	s_delay_alu instid0(VALU_DEP_1)
	v_add3_u32 v26, v18, v26, 0x7fff
                                        ; implicit-def: $vgpr18
; %bb.846:                              ;   in Loop: Header=BB458_8 Depth=1
	s_and_not1_saveexec_b32 s2, s1
; %bb.847:                              ;   in Loop: Header=BB458_8 Depth=1
	v_and_b32_e32 v26, 0xffff, v18
	v_or_b32_e32 v32, 0x10000, v18
	s_delay_alu instid0(VALU_DEP_2) | instskip(NEXT) | instid1(VALU_DEP_1)
	v_cmp_eq_u32_e64 s1, 0, v26
	v_cndmask_b32_e64 v26, v32, v18, s1
; %bb.848:                              ;   in Loop: Header=BB458_8 Depth=1
	s_or_b32 exec_lo, exec_lo, s2
	v_lshrrev_b32_e32 v51, 16, v31
	v_mov_b32_e32 v18, 0
	s_mov_b32 s2, exec_lo
	s_delay_alu instid0(VALU_DEP_2) | instskip(NEXT) | instid1(VALU_DEP_1)
	v_and_b32_e32 v32, 0xff, v51
	v_cmpx_ne_u16_e32 0, v32
	s_cbranch_execz .LBB458_856
; %bb.849:                              ;   in Loop: Header=BB458_8 Depth=1
	v_bfrev_b32_e32 v18, 1
	s_mov_b32 s18, exec_lo
	v_cmpx_ne_u16_e32 0x80, v32
	s_cbranch_execz .LBB458_855
; %bb.850:                              ;   in Loop: Header=BB458_8 Depth=1
	v_bfe_u32 v32, v31, 16, 7
	v_mov_b32_e32 v18, 0x7f800001
	s_mov_b32 s19, exec_lo
	s_delay_alu instid0(VALU_DEP_2)
	v_cmpx_ne_u32_e32 0x7f, v32
	s_cbranch_execz .LBB458_854
; %bb.851:                              ;   in Loop: Header=BB458_8 Depth=1
	v_and_b32_e32 v18, 7, v51
	v_lshrrev_b32_e32 v52, 3, v32
	v_cmp_gt_u32_e64 s1, 8, v32
	s_delay_alu instid0(VALU_DEP_3) | instskip(NEXT) | instid1(VALU_DEP_2)
	v_dual_mov_b32 v33, v19 :: v_dual_mov_b32 v32, v18
	s_and_saveexec_b32 s20, s1
; %bb.852:                              ;   in Loop: Header=BB458_8 Depth=1
	v_clz_i32_u32_e32 v32, v18
	s_delay_alu instid0(VALU_DEP_1) | instskip(NEXT) | instid1(VALU_DEP_1)
	v_min_u32_e32 v52, 32, v32
	v_subrev_nc_u32_e32 v32, 28, v52
	v_sub_nc_u32_e32 v52, 29, v52
	s_delay_alu instid0(VALU_DEP_2) | instskip(NEXT) | instid1(VALU_DEP_1)
	v_lshlrev_b64 v[32:33], v32, v[18:19]
	v_and_b32_e32 v32, 7, v32
; %bb.853:                              ;   in Loop: Header=BB458_8 Depth=1
	s_or_b32 exec_lo, exec_lo, s20
	v_lshlrev_b32_e32 v18, 24, v51
	s_delay_alu instid0(VALU_DEP_2) | instskip(SKIP_1) | instid1(VALU_DEP_3)
	v_lshlrev_b32_e32 v32, 20, v32
	v_lshl_add_u32 v33, v52, 23, 0x3c000000
	v_and_b32_e32 v18, 0x80000000, v18
	s_delay_alu instid0(VALU_DEP_1)
	v_or3_b32 v18, v32, v18, v33
.LBB458_854:                            ;   in Loop: Header=BB458_8 Depth=1
	s_or_b32 exec_lo, exec_lo, s19
.LBB458_855:                            ;   in Loop: Header=BB458_8 Depth=1
	s_delay_alu instid0(SALU_CYCLE_1)
	s_or_b32 exec_lo, exec_lo, s18
.LBB458_856:                            ;   in Loop: Header=BB458_8 Depth=1
	s_delay_alu instid0(SALU_CYCLE_1) | instskip(NEXT) | instid1(VALU_DEP_1)
	s_or_b32 exec_lo, exec_lo, s2
	v_mul_f32_e32 v18, v104, v18
                                        ; implicit-def: $vgpr51
	s_delay_alu instid0(VALU_DEP_1) | instskip(NEXT) | instid1(VALU_DEP_1)
	v_and_b32_e32 v32, 0x7f800000, v18
	v_cmp_ne_u32_e64 s1, 0x7f800000, v32
	s_delay_alu instid0(VALU_DEP_1) | instskip(NEXT) | instid1(SALU_CYCLE_1)
	s_and_saveexec_b32 s2, s1
	s_xor_b32 s1, exec_lo, s2
; %bb.857:                              ;   in Loop: Header=BB458_8 Depth=1
	v_bfe_u32 v32, v18, 16, 1
	s_delay_alu instid0(VALU_DEP_1)
	v_add3_u32 v51, v18, v32, 0x7fff
                                        ; implicit-def: $vgpr18
; %bb.858:                              ;   in Loop: Header=BB458_8 Depth=1
	s_and_not1_saveexec_b32 s2, s1
; %bb.859:                              ;   in Loop: Header=BB458_8 Depth=1
	v_and_b32_e32 v32, 0xffff, v18
	v_or_b32_e32 v33, 0x10000, v18
	s_delay_alu instid0(VALU_DEP_2) | instskip(NEXT) | instid1(VALU_DEP_1)
	v_cmp_eq_u32_e64 s1, 0, v32
	v_cndmask_b32_e64 v51, v33, v18, s1
; %bb.860:                              ;   in Loop: Header=BB458_8 Depth=1
	s_or_b32 exec_lo, exec_lo, s2
	v_mov_b32_e32 v18, 0
	s_mov_b32 s2, exec_lo
	v_cmpx_lt_u64_e64 s[8:9], v[30:31]
	s_cbranch_execz .LBB458_868
; %bb.861:                              ;   in Loop: Header=BB458_8 Depth=1
	v_lshrrev_b32_e32 v32, 24, v31
	v_bfrev_b32_e32 v18, 1
	s_mov_b32 s18, exec_lo
	s_delay_alu instid0(VALU_DEP_2)
	v_cmpx_ne_u32_e32 0x80, v32
	s_cbranch_execz .LBB458_867
; %bb.862:                              ;   in Loop: Header=BB458_8 Depth=1
	v_bfe_u32 v30, v31, 24, 7
	v_mov_b32_e32 v18, 0x7f800001
	s_mov_b32 s19, exec_lo
	s_delay_alu instid0(VALU_DEP_2)
	v_cmpx_ne_u32_e32 0x7f, v30
	s_cbranch_execz .LBB458_866
; %bb.863:                              ;   in Loop: Header=BB458_8 Depth=1
	v_and_b32_e32 v18, 7, v32
	v_lshrrev_b32_e32 v33, 3, v30
	v_cmp_gt_u32_e64 s1, 8, v30
	s_delay_alu instid0(VALU_DEP_3) | instskip(NEXT) | instid1(VALU_DEP_2)
	v_dual_mov_b32 v31, v19 :: v_dual_mov_b32 v30, v18
	s_and_saveexec_b32 s20, s1
; %bb.864:                              ;   in Loop: Header=BB458_8 Depth=1
	v_clz_i32_u32_e32 v30, v18
	s_delay_alu instid0(VALU_DEP_1) | instskip(NEXT) | instid1(VALU_DEP_1)
	v_min_u32_e32 v33, 32, v30
	v_subrev_nc_u32_e32 v30, 28, v33
	v_sub_nc_u32_e32 v33, 29, v33
	s_delay_alu instid0(VALU_DEP_2) | instskip(NEXT) | instid1(VALU_DEP_1)
	v_lshlrev_b64 v[30:31], v30, v[18:19]
	v_and_b32_e32 v30, 7, v30
; %bb.865:                              ;   in Loop: Header=BB458_8 Depth=1
	s_or_b32 exec_lo, exec_lo, s20
	v_lshlrev_b32_e32 v18, 24, v32
	s_delay_alu instid0(VALU_DEP_2) | instskip(SKIP_1) | instid1(VALU_DEP_3)
	v_lshlrev_b32_e32 v30, 20, v30
	v_lshl_add_u32 v31, v33, 23, 0x3c000000
	v_and_b32_e32 v18, 0x80000000, v18
	s_delay_alu instid0(VALU_DEP_1)
	v_or3_b32 v18, v30, v18, v31
.LBB458_866:                            ;   in Loop: Header=BB458_8 Depth=1
	s_or_b32 exec_lo, exec_lo, s19
.LBB458_867:                            ;   in Loop: Header=BB458_8 Depth=1
	s_delay_alu instid0(SALU_CYCLE_1)
	s_or_b32 exec_lo, exec_lo, s18
.LBB458_868:                            ;   in Loop: Header=BB458_8 Depth=1
	s_delay_alu instid0(SALU_CYCLE_1) | instskip(NEXT) | instid1(VALU_DEP_1)
	s_or_b32 exec_lo, exec_lo, s2
	v_mul_f32_e32 v18, v104, v18
                                        ; implicit-def: $vgpr52
	s_delay_alu instid0(VALU_DEP_1) | instskip(NEXT) | instid1(VALU_DEP_1)
	v_and_b32_e32 v30, 0x7f800000, v18
	v_cmp_ne_u32_e64 s1, 0x7f800000, v30
	s_delay_alu instid0(VALU_DEP_1) | instskip(NEXT) | instid1(SALU_CYCLE_1)
	s_and_saveexec_b32 s2, s1
	s_xor_b32 s1, exec_lo, s2
; %bb.869:                              ;   in Loop: Header=BB458_8 Depth=1
	v_bfe_u32 v30, v18, 16, 1
	s_delay_alu instid0(VALU_DEP_1)
	v_add3_u32 v52, v18, v30, 0x7fff
                                        ; implicit-def: $vgpr18
; %bb.870:                              ;   in Loop: Header=BB458_8 Depth=1
	s_and_not1_saveexec_b32 s2, s1
; %bb.871:                              ;   in Loop: Header=BB458_8 Depth=1
	v_and_b32_e32 v30, 0xffff, v18
	v_or_b32_e32 v31, 0x10000, v18
	s_delay_alu instid0(VALU_DEP_2) | instskip(NEXT) | instid1(VALU_DEP_1)
	v_cmp_eq_u32_e64 s1, 0, v30
	v_cndmask_b32_e64 v52, v31, v18, s1
; %bb.872:                              ;   in Loop: Header=BB458_8 Depth=1
	s_or_b32 exec_lo, exec_lo, s2
	flat_load_b64 v[30:31], v[28:29] offset:2056
	v_mov_b32_e32 v18, 0
	s_mov_b32 s2, exec_lo
	s_waitcnt vmcnt(0) lgkmcnt(0)
	v_and_b32_e32 v32, 0xff, v30
	s_delay_alu instid0(VALU_DEP_1)
	v_cmpx_ne_u16_e32 0, v32
	s_cbranch_execz .LBB458_880
; %bb.873:                              ;   in Loop: Header=BB458_8 Depth=1
	v_bfrev_b32_e32 v18, 1
	s_mov_b32 s18, exec_lo
	v_cmpx_ne_u16_e32 0x80, v32
	s_cbranch_execz .LBB458_879
; %bb.874:                              ;   in Loop: Header=BB458_8 Depth=1
	v_and_b32_e32 v32, 0x7f, v30
	v_mov_b32_e32 v18, 0x7f800001
	s_mov_b32 s19, exec_lo
	s_delay_alu instid0(VALU_DEP_2)
	v_cmpx_ne_u32_e32 0x7f, v32
	s_cbranch_execz .LBB458_878
; %bb.875:                              ;   in Loop: Header=BB458_8 Depth=1
	v_lshrrev_b32_e32 v18, 3, v32
	v_cmp_gt_u32_e64 s1, 8, v32
	v_dual_mov_b32 v33, v31 :: v_dual_mov_b32 v32, v30
	s_delay_alu instid0(VALU_DEP_2)
	s_and_saveexec_b32 s20, s1
; %bb.876:                              ;   in Loop: Header=BB458_8 Depth=1
	v_and_b32_e32 v18, 7, v30
	s_delay_alu instid0(VALU_DEP_1) | instskip(NEXT) | instid1(VALU_DEP_1)
	v_clz_i32_u32_e32 v18, v18
	v_min_u32_e32 v18, 32, v18
	s_delay_alu instid0(VALU_DEP_1) | instskip(SKIP_1) | instid1(VALU_DEP_2)
	v_subrev_nc_u32_e32 v32, 28, v18
	v_sub_nc_u32_e32 v18, 29, v18
	v_lshlrev_b64 v[32:33], v32, v[30:31]
; %bb.877:                              ;   in Loop: Header=BB458_8 Depth=1
	s_or_b32 exec_lo, exec_lo, s20
	s_delay_alu instid0(VALU_DEP_1) | instskip(SKIP_2) | instid1(VALU_DEP_3)
	v_lshlrev_b32_e32 v32, 20, v32
	v_lshlrev_b32_e32 v33, 24, v30
	v_lshl_add_u32 v18, v18, 23, 0x3c000000
	v_and_b32_e32 v32, 0x700000, v32
	s_delay_alu instid0(VALU_DEP_3) | instskip(NEXT) | instid1(VALU_DEP_1)
	v_and_b32_e32 v33, 0x80000000, v33
	v_or3_b32 v18, v32, v33, v18
.LBB458_878:                            ;   in Loop: Header=BB458_8 Depth=1
	s_or_b32 exec_lo, exec_lo, s19
.LBB458_879:                            ;   in Loop: Header=BB458_8 Depth=1
	s_delay_alu instid0(SALU_CYCLE_1)
	s_or_b32 exec_lo, exec_lo, s18
.LBB458_880:                            ;   in Loop: Header=BB458_8 Depth=1
	s_delay_alu instid0(SALU_CYCLE_1) | instskip(NEXT) | instid1(VALU_DEP_1)
	s_or_b32 exec_lo, exec_lo, s2
	v_mul_f32_e32 v18, v104, v18
                                        ; implicit-def: $vgpr53
	s_delay_alu instid0(VALU_DEP_1) | instskip(NEXT) | instid1(VALU_DEP_1)
	v_and_b32_e32 v32, 0x7f800000, v18
	v_cmp_ne_u32_e64 s1, 0x7f800000, v32
	s_delay_alu instid0(VALU_DEP_1) | instskip(NEXT) | instid1(SALU_CYCLE_1)
	s_and_saveexec_b32 s2, s1
	s_xor_b32 s1, exec_lo, s2
; %bb.881:                              ;   in Loop: Header=BB458_8 Depth=1
	v_bfe_u32 v32, v18, 16, 1
	s_delay_alu instid0(VALU_DEP_1)
	v_add3_u32 v53, v18, v32, 0x7fff
                                        ; implicit-def: $vgpr18
; %bb.882:                              ;   in Loop: Header=BB458_8 Depth=1
	s_and_not1_saveexec_b32 s2, s1
; %bb.883:                              ;   in Loop: Header=BB458_8 Depth=1
	v_and_b32_e32 v32, 0xffff, v18
	v_or_b32_e32 v33, 0x10000, v18
	s_delay_alu instid0(VALU_DEP_2) | instskip(NEXT) | instid1(VALU_DEP_1)
	v_cmp_eq_u32_e64 s1, 0, v32
	v_cndmask_b32_e64 v53, v33, v18, s1
; %bb.884:                              ;   in Loop: Header=BB458_8 Depth=1
	s_or_b32 exec_lo, exec_lo, s2
	v_lshrrev_b16 v32, 8, v30
	v_mov_b32_e32 v18, 0
	s_mov_b32 s2, exec_lo
	s_delay_alu instid0(VALU_DEP_2)
	v_cmpx_ne_u16_e32 0, v32
	s_cbranch_execz .LBB458_892
; %bb.885:                              ;   in Loop: Header=BB458_8 Depth=1
	v_bfrev_b32_e32 v18, 1
	s_mov_b32 s18, exec_lo
	v_cmpx_ne_u16_e32 0x80, v32
	s_cbranch_execz .LBB458_891
; %bb.886:                              ;   in Loop: Header=BB458_8 Depth=1
	v_and_b32_e32 v33, 0xffff, v32
	v_mov_b32_e32 v18, 0x7f800001
	s_mov_b32 s19, exec_lo
	s_delay_alu instid0(VALU_DEP_2) | instskip(NEXT) | instid1(VALU_DEP_1)
	v_and_b32_e32 v32, 0x7f, v33
	v_cmpx_ne_u32_e32 0x7f, v32
	s_cbranch_execz .LBB458_890
; %bb.887:                              ;   in Loop: Header=BB458_8 Depth=1
	v_and_b32_e32 v18, 7, v33
	v_lshrrev_b32_e32 v54, 3, v32
	v_cmp_gt_u32_e64 s1, 8, v32
	s_delay_alu instid0(VALU_DEP_3) | instskip(NEXT) | instid1(VALU_DEP_2)
	v_dual_mov_b32 v33, v19 :: v_dual_mov_b32 v32, v18
	s_and_saveexec_b32 s20, s1
; %bb.888:                              ;   in Loop: Header=BB458_8 Depth=1
	v_clz_i32_u32_e32 v32, v18
	s_delay_alu instid0(VALU_DEP_1) | instskip(NEXT) | instid1(VALU_DEP_1)
	v_min_u32_e32 v54, 32, v32
	v_subrev_nc_u32_e32 v32, 28, v54
	v_sub_nc_u32_e32 v54, 29, v54
	s_delay_alu instid0(VALU_DEP_2) | instskip(NEXT) | instid1(VALU_DEP_1)
	v_lshlrev_b64 v[32:33], v32, v[18:19]
	v_and_b32_e32 v32, 7, v32
; %bb.889:                              ;   in Loop: Header=BB458_8 Depth=1
	s_or_b32 exec_lo, exec_lo, s20
	v_lshlrev_b32_e32 v18, 16, v30
	s_delay_alu instid0(VALU_DEP_2) | instskip(SKIP_1) | instid1(VALU_DEP_3)
	v_lshlrev_b32_e32 v32, 20, v32
	v_lshl_add_u32 v33, v54, 23, 0x3c000000
	v_and_b32_e32 v18, 0x80000000, v18
	s_delay_alu instid0(VALU_DEP_1)
	v_or3_b32 v18, v32, v18, v33
.LBB458_890:                            ;   in Loop: Header=BB458_8 Depth=1
	s_or_b32 exec_lo, exec_lo, s19
.LBB458_891:                            ;   in Loop: Header=BB458_8 Depth=1
	s_delay_alu instid0(SALU_CYCLE_1)
	s_or_b32 exec_lo, exec_lo, s18
.LBB458_892:                            ;   in Loop: Header=BB458_8 Depth=1
	s_delay_alu instid0(SALU_CYCLE_1) | instskip(NEXT) | instid1(VALU_DEP_1)
	s_or_b32 exec_lo, exec_lo, s2
	v_mul_f32_e32 v18, v104, v18
                                        ; implicit-def: $vgpr54
	s_delay_alu instid0(VALU_DEP_1) | instskip(NEXT) | instid1(VALU_DEP_1)
	v_and_b32_e32 v32, 0x7f800000, v18
	v_cmp_ne_u32_e64 s1, 0x7f800000, v32
	s_delay_alu instid0(VALU_DEP_1) | instskip(NEXT) | instid1(SALU_CYCLE_1)
	s_and_saveexec_b32 s2, s1
	s_xor_b32 s1, exec_lo, s2
; %bb.893:                              ;   in Loop: Header=BB458_8 Depth=1
	v_bfe_u32 v32, v18, 16, 1
	s_delay_alu instid0(VALU_DEP_1)
	v_add3_u32 v54, v18, v32, 0x7fff
                                        ; implicit-def: $vgpr18
; %bb.894:                              ;   in Loop: Header=BB458_8 Depth=1
	s_and_not1_saveexec_b32 s2, s1
; %bb.895:                              ;   in Loop: Header=BB458_8 Depth=1
	v_and_b32_e32 v32, 0xffff, v18
	v_or_b32_e32 v33, 0x10000, v18
	s_delay_alu instid0(VALU_DEP_2) | instskip(NEXT) | instid1(VALU_DEP_1)
	v_cmp_eq_u32_e64 s1, 0, v32
	v_cndmask_b32_e64 v54, v33, v18, s1
; %bb.896:                              ;   in Loop: Header=BB458_8 Depth=1
	s_or_b32 exec_lo, exec_lo, s2
	v_lshrrev_b32_e32 v55, 16, v30
	v_mov_b32_e32 v18, 0
	s_mov_b32 s2, exec_lo
	s_delay_alu instid0(VALU_DEP_2) | instskip(NEXT) | instid1(VALU_DEP_1)
	v_and_b32_e32 v32, 0xff, v55
	v_cmpx_ne_u16_e32 0, v32
	s_cbranch_execz .LBB458_904
; %bb.897:                              ;   in Loop: Header=BB458_8 Depth=1
	v_bfrev_b32_e32 v18, 1
	s_mov_b32 s18, exec_lo
	v_cmpx_ne_u16_e32 0x80, v32
	s_cbranch_execz .LBB458_903
; %bb.898:                              ;   in Loop: Header=BB458_8 Depth=1
	v_bfe_u32 v32, v30, 16, 7
	v_mov_b32_e32 v18, 0x7f800001
	s_mov_b32 s19, exec_lo
	s_delay_alu instid0(VALU_DEP_2)
	v_cmpx_ne_u32_e32 0x7f, v32
	s_cbranch_execz .LBB458_902
; %bb.899:                              ;   in Loop: Header=BB458_8 Depth=1
	v_and_b32_e32 v18, 7, v55
	v_lshrrev_b32_e32 v64, 3, v32
	v_cmp_gt_u32_e64 s1, 8, v32
	s_delay_alu instid0(VALU_DEP_3) | instskip(NEXT) | instid1(VALU_DEP_2)
	v_dual_mov_b32 v33, v19 :: v_dual_mov_b32 v32, v18
	s_and_saveexec_b32 s20, s1
; %bb.900:                              ;   in Loop: Header=BB458_8 Depth=1
	v_clz_i32_u32_e32 v32, v18
	s_delay_alu instid0(VALU_DEP_1) | instskip(NEXT) | instid1(VALU_DEP_1)
	v_min_u32_e32 v64, 32, v32
	v_subrev_nc_u32_e32 v32, 28, v64
	v_sub_nc_u32_e32 v64, 29, v64
	s_delay_alu instid0(VALU_DEP_2) | instskip(NEXT) | instid1(VALU_DEP_1)
	v_lshlrev_b64 v[32:33], v32, v[18:19]
	v_and_b32_e32 v32, 7, v32
; %bb.901:                              ;   in Loop: Header=BB458_8 Depth=1
	s_or_b32 exec_lo, exec_lo, s20
	v_lshlrev_b32_e32 v18, 24, v55
	s_delay_alu instid0(VALU_DEP_2) | instskip(SKIP_1) | instid1(VALU_DEP_3)
	v_lshlrev_b32_e32 v32, 20, v32
	v_lshl_add_u32 v33, v64, 23, 0x3c000000
	v_and_b32_e32 v18, 0x80000000, v18
	s_delay_alu instid0(VALU_DEP_1)
	v_or3_b32 v18, v32, v18, v33
.LBB458_902:                            ;   in Loop: Header=BB458_8 Depth=1
	s_or_b32 exec_lo, exec_lo, s19
.LBB458_903:                            ;   in Loop: Header=BB458_8 Depth=1
	s_delay_alu instid0(SALU_CYCLE_1)
	s_or_b32 exec_lo, exec_lo, s18
.LBB458_904:                            ;   in Loop: Header=BB458_8 Depth=1
	s_delay_alu instid0(SALU_CYCLE_1) | instskip(NEXT) | instid1(VALU_DEP_1)
	s_or_b32 exec_lo, exec_lo, s2
	v_mul_f32_e32 v18, v104, v18
                                        ; implicit-def: $vgpr55
	s_delay_alu instid0(VALU_DEP_1) | instskip(NEXT) | instid1(VALU_DEP_1)
	v_and_b32_e32 v32, 0x7f800000, v18
	v_cmp_ne_u32_e64 s1, 0x7f800000, v32
	s_delay_alu instid0(VALU_DEP_1) | instskip(NEXT) | instid1(SALU_CYCLE_1)
	s_and_saveexec_b32 s2, s1
	s_xor_b32 s1, exec_lo, s2
; %bb.905:                              ;   in Loop: Header=BB458_8 Depth=1
	v_bfe_u32 v32, v18, 16, 1
	s_delay_alu instid0(VALU_DEP_1)
	v_add3_u32 v55, v18, v32, 0x7fff
                                        ; implicit-def: $vgpr18
; %bb.906:                              ;   in Loop: Header=BB458_8 Depth=1
	s_and_not1_saveexec_b32 s2, s1
; %bb.907:                              ;   in Loop: Header=BB458_8 Depth=1
	v_and_b32_e32 v32, 0xffff, v18
	v_or_b32_e32 v33, 0x10000, v18
	s_delay_alu instid0(VALU_DEP_2) | instskip(NEXT) | instid1(VALU_DEP_1)
	v_cmp_eq_u32_e64 s1, 0, v32
	v_cndmask_b32_e64 v55, v33, v18, s1
; %bb.908:                              ;   in Loop: Header=BB458_8 Depth=1
	s_or_b32 exec_lo, exec_lo, s2
	v_mov_b32_e32 v18, 0
	s_mov_b32 s2, exec_lo
	v_cmpx_lt_u32_e32 0xffffff, v30
	s_cbranch_execz .LBB458_916
; %bb.909:                              ;   in Loop: Header=BB458_8 Depth=1
	v_lshrrev_b32_e32 v64, 24, v30
	v_bfrev_b32_e32 v18, 1
	s_mov_b32 s18, exec_lo
	s_delay_alu instid0(VALU_DEP_2)
	v_cmpx_ne_u32_e32 0x80, v64
	s_cbranch_execz .LBB458_915
; %bb.910:                              ;   in Loop: Header=BB458_8 Depth=1
	v_bfe_u32 v32, v30, 24, 7
	v_mov_b32_e32 v18, 0x7f800001
	s_mov_b32 s19, exec_lo
	s_delay_alu instid0(VALU_DEP_2)
	v_cmpx_ne_u32_e32 0x7f, v32
	s_cbranch_execz .LBB458_914
; %bb.911:                              ;   in Loop: Header=BB458_8 Depth=1
	v_and_b32_e32 v18, 7, v64
	v_lshrrev_b32_e32 v65, 3, v32
	v_cmp_gt_u32_e64 s1, 8, v32
	s_delay_alu instid0(VALU_DEP_3) | instskip(NEXT) | instid1(VALU_DEP_2)
	v_dual_mov_b32 v33, v19 :: v_dual_mov_b32 v32, v18
	s_and_saveexec_b32 s20, s1
; %bb.912:                              ;   in Loop: Header=BB458_8 Depth=1
	v_clz_i32_u32_e32 v32, v18
	s_delay_alu instid0(VALU_DEP_1) | instskip(NEXT) | instid1(VALU_DEP_1)
	v_min_u32_e32 v65, 32, v32
	v_subrev_nc_u32_e32 v32, 28, v65
	v_sub_nc_u32_e32 v65, 29, v65
	s_delay_alu instid0(VALU_DEP_2) | instskip(NEXT) | instid1(VALU_DEP_1)
	v_lshlrev_b64 v[32:33], v32, v[18:19]
	v_and_b32_e32 v32, 7, v32
; %bb.913:                              ;   in Loop: Header=BB458_8 Depth=1
	s_or_b32 exec_lo, exec_lo, s20
	v_lshlrev_b32_e32 v18, 24, v64
	s_delay_alu instid0(VALU_DEP_2) | instskip(SKIP_1) | instid1(VALU_DEP_3)
	v_lshlrev_b32_e32 v32, 20, v32
	v_lshl_add_u32 v33, v65, 23, 0x3c000000
	v_and_b32_e32 v18, 0x80000000, v18
	s_delay_alu instid0(VALU_DEP_1)
	v_or3_b32 v18, v32, v18, v33
.LBB458_914:                            ;   in Loop: Header=BB458_8 Depth=1
	s_or_b32 exec_lo, exec_lo, s19
.LBB458_915:                            ;   in Loop: Header=BB458_8 Depth=1
	s_delay_alu instid0(SALU_CYCLE_1)
	s_or_b32 exec_lo, exec_lo, s18
.LBB458_916:                            ;   in Loop: Header=BB458_8 Depth=1
	s_delay_alu instid0(SALU_CYCLE_1) | instskip(NEXT) | instid1(VALU_DEP_1)
	s_or_b32 exec_lo, exec_lo, s2
	v_mul_f32_e32 v18, v104, v18
                                        ; implicit-def: $vgpr64
	s_delay_alu instid0(VALU_DEP_1) | instskip(NEXT) | instid1(VALU_DEP_1)
	v_and_b32_e32 v32, 0x7f800000, v18
	v_cmp_ne_u32_e64 s1, 0x7f800000, v32
	s_delay_alu instid0(VALU_DEP_1) | instskip(NEXT) | instid1(SALU_CYCLE_1)
	s_and_saveexec_b32 s2, s1
	s_xor_b32 s1, exec_lo, s2
; %bb.917:                              ;   in Loop: Header=BB458_8 Depth=1
	v_bfe_u32 v32, v18, 16, 1
	s_delay_alu instid0(VALU_DEP_1)
	v_add3_u32 v64, v18, v32, 0x7fff
                                        ; implicit-def: $vgpr18
; %bb.918:                              ;   in Loop: Header=BB458_8 Depth=1
	s_and_not1_saveexec_b32 s2, s1
; %bb.919:                              ;   in Loop: Header=BB458_8 Depth=1
	v_and_b32_e32 v32, 0xffff, v18
	v_or_b32_e32 v33, 0x10000, v18
	s_delay_alu instid0(VALU_DEP_2) | instskip(NEXT) | instid1(VALU_DEP_1)
	v_cmp_eq_u32_e64 s1, 0, v32
	v_cndmask_b32_e64 v64, v33, v18, s1
; %bb.920:                              ;   in Loop: Header=BB458_8 Depth=1
	s_or_b32 exec_lo, exec_lo, s2
	v_dual_mov_b32 v18, v31 :: v_dual_and_b32 v33, 0xff, v31
	v_mov_b32_e32 v32, 0
	s_mov_b32 s2, exec_lo
	s_delay_alu instid0(VALU_DEP_2)
	v_cmpx_ne_u16_e32 0, v33
	s_cbranch_execz .LBB458_928
; %bb.921:                              ;   in Loop: Header=BB458_8 Depth=1
	v_bfrev_b32_e32 v32, 1
	s_mov_b32 s18, exec_lo
	v_cmpx_ne_u16_e32 0x80, v33
	s_cbranch_execz .LBB458_927
; %bb.922:                              ;   in Loop: Header=BB458_8 Depth=1
	v_and_b32_e32 v33, 0x7f, v31
	v_mov_b32_e32 v32, 0x7f800001
	s_mov_b32 s19, exec_lo
	s_delay_alu instid0(VALU_DEP_2)
	v_cmpx_ne_u32_e32 0x7f, v33
	s_cbranch_execz .LBB458_926
; %bb.923:                              ;   in Loop: Header=BB458_8 Depth=1
	v_lshrrev_b32_e32 v65, 3, v33
	v_cmp_gt_u32_e64 s1, 8, v33
	v_dual_mov_b32 v33, v19 :: v_dual_mov_b32 v32, v18
	s_delay_alu instid0(VALU_DEP_2)
	s_and_saveexec_b32 s20, s1
; %bb.924:                              ;   in Loop: Header=BB458_8 Depth=1
	v_and_b32_e32 v32, 7, v31
	s_delay_alu instid0(VALU_DEP_1) | instskip(NEXT) | instid1(VALU_DEP_1)
	v_clz_i32_u32_e32 v32, v32
	v_min_u32_e32 v65, 32, v32
	s_delay_alu instid0(VALU_DEP_1) | instskip(SKIP_1) | instid1(VALU_DEP_2)
	v_subrev_nc_u32_e32 v32, 28, v65
	v_sub_nc_u32_e32 v65, 29, v65
	v_lshlrev_b64 v[32:33], v32, v[18:19]
; %bb.925:                              ;   in Loop: Header=BB458_8 Depth=1
	s_or_b32 exec_lo, exec_lo, s20
	s_delay_alu instid0(VALU_DEP_1) | instskip(SKIP_2) | instid1(VALU_DEP_3)
	v_lshlrev_b32_e32 v32, 20, v32
	v_lshlrev_b32_e32 v33, 24, v18
	v_lshl_add_u32 v65, v65, 23, 0x3c000000
	v_and_b32_e32 v32, 0x700000, v32
	s_delay_alu instid0(VALU_DEP_3) | instskip(NEXT) | instid1(VALU_DEP_1)
	v_and_b32_e32 v33, 0x80000000, v33
	v_or3_b32 v32, v32, v33, v65
.LBB458_926:                            ;   in Loop: Header=BB458_8 Depth=1
	s_or_b32 exec_lo, exec_lo, s19
.LBB458_927:                            ;   in Loop: Header=BB458_8 Depth=1
	s_delay_alu instid0(SALU_CYCLE_1)
	s_or_b32 exec_lo, exec_lo, s18
.LBB458_928:                            ;   in Loop: Header=BB458_8 Depth=1
	s_delay_alu instid0(SALU_CYCLE_1) | instskip(NEXT) | instid1(VALU_DEP_1)
	s_or_b32 exec_lo, exec_lo, s2
	v_mul_f32_e32 v32, v104, v32
                                        ; implicit-def: $vgpr65
	s_delay_alu instid0(VALU_DEP_1) | instskip(NEXT) | instid1(VALU_DEP_1)
	v_and_b32_e32 v33, 0x7f800000, v32
	v_cmp_ne_u32_e64 s1, 0x7f800000, v33
	s_delay_alu instid0(VALU_DEP_1) | instskip(NEXT) | instid1(SALU_CYCLE_1)
	s_and_saveexec_b32 s2, s1
	s_xor_b32 s1, exec_lo, s2
; %bb.929:                              ;   in Loop: Header=BB458_8 Depth=1
	v_bfe_u32 v33, v32, 16, 1
	s_delay_alu instid0(VALU_DEP_1)
	v_add3_u32 v65, v32, v33, 0x7fff
                                        ; implicit-def: $vgpr32
; %bb.930:                              ;   in Loop: Header=BB458_8 Depth=1
	s_and_not1_saveexec_b32 s2, s1
; %bb.931:                              ;   in Loop: Header=BB458_8 Depth=1
	v_and_b32_e32 v33, 0xffff, v32
	v_or_b32_e32 v65, 0x10000, v32
	s_delay_alu instid0(VALU_DEP_2) | instskip(NEXT) | instid1(VALU_DEP_1)
	v_cmp_eq_u32_e64 s1, 0, v33
	v_cndmask_b32_e64 v65, v65, v32, s1
; %bb.932:                              ;   in Loop: Header=BB458_8 Depth=1
	s_or_b32 exec_lo, exec_lo, s2
	v_lshrrev_b16 v33, 8, v18
	v_mov_b32_e32 v32, 0
	s_mov_b32 s2, exec_lo
	s_delay_alu instid0(VALU_DEP_2)
	v_cmpx_ne_u16_e32 0, v33
	s_cbranch_execz .LBB458_940
; %bb.933:                              ;   in Loop: Header=BB458_8 Depth=1
	v_bfrev_b32_e32 v32, 1
	s_mov_b32 s18, exec_lo
	v_cmpx_ne_u16_e32 0x80, v33
	s_cbranch_execz .LBB458_939
; %bb.934:                              ;   in Loop: Header=BB458_8 Depth=1
	v_and_b32_e32 v33, 0xffff, v33
	v_mov_b32_e32 v32, 0x7f800001
	s_mov_b32 s19, exec_lo
	s_delay_alu instid0(VALU_DEP_2) | instskip(NEXT) | instid1(VALU_DEP_1)
	v_and_b32_e32 v67, 0x7f, v33
	v_cmpx_ne_u32_e32 0x7f, v67
	s_cbranch_execz .LBB458_938
; %bb.935:                              ;   in Loop: Header=BB458_8 Depth=1
	v_dual_mov_b32 v33, v19 :: v_dual_and_b32 v32, 7, v33
	v_lshrrev_b32_e32 v66, 3, v67
	s_mov_b32 s20, exec_lo
	v_cmpx_gt_u32_e32 8, v67
; %bb.936:                              ;   in Loop: Header=BB458_8 Depth=1
	s_delay_alu instid0(VALU_DEP_3) | instskip(NEXT) | instid1(VALU_DEP_1)
	v_clz_i32_u32_e32 v66, v32
	v_min_u32_e32 v66, 32, v66
	s_delay_alu instid0(VALU_DEP_1) | instskip(SKIP_1) | instid1(VALU_DEP_2)
	v_subrev_nc_u32_e32 v67, 28, v66
	v_sub_nc_u32_e32 v66, 29, v66
	v_lshlrev_b64 v[32:33], v67, v[32:33]
	s_delay_alu instid0(VALU_DEP_1)
	v_and_b32_e32 v32, 7, v32
; %bb.937:                              ;   in Loop: Header=BB458_8 Depth=1
	s_or_b32 exec_lo, exec_lo, s20
	v_lshlrev_b32_e32 v18, 16, v18
	s_delay_alu instid0(VALU_DEP_2) | instskip(SKIP_1) | instid1(VALU_DEP_3)
	v_lshlrev_b32_e32 v32, 20, v32
	v_lshl_add_u32 v33, v66, 23, 0x3c000000
	v_and_b32_e32 v18, 0x80000000, v18
	s_delay_alu instid0(VALU_DEP_1)
	v_or3_b32 v32, v32, v18, v33
.LBB458_938:                            ;   in Loop: Header=BB458_8 Depth=1
	s_or_b32 exec_lo, exec_lo, s19
.LBB458_939:                            ;   in Loop: Header=BB458_8 Depth=1
	s_delay_alu instid0(SALU_CYCLE_1)
	s_or_b32 exec_lo, exec_lo, s18
.LBB458_940:                            ;   in Loop: Header=BB458_8 Depth=1
	s_delay_alu instid0(SALU_CYCLE_1) | instskip(NEXT) | instid1(VALU_DEP_1)
	s_or_b32 exec_lo, exec_lo, s2
	v_mul_f32_e32 v18, v104, v32
                                        ; implicit-def: $vgpr66
	s_delay_alu instid0(VALU_DEP_1) | instskip(NEXT) | instid1(VALU_DEP_1)
	v_and_b32_e32 v32, 0x7f800000, v18
	v_cmp_ne_u32_e64 s1, 0x7f800000, v32
	s_delay_alu instid0(VALU_DEP_1) | instskip(NEXT) | instid1(SALU_CYCLE_1)
	s_and_saveexec_b32 s2, s1
	s_xor_b32 s1, exec_lo, s2
; %bb.941:                              ;   in Loop: Header=BB458_8 Depth=1
	v_bfe_u32 v32, v18, 16, 1
	s_delay_alu instid0(VALU_DEP_1)
	v_add3_u32 v66, v18, v32, 0x7fff
                                        ; implicit-def: $vgpr18
; %bb.942:                              ;   in Loop: Header=BB458_8 Depth=1
	s_and_not1_saveexec_b32 s2, s1
; %bb.943:                              ;   in Loop: Header=BB458_8 Depth=1
	v_and_b32_e32 v32, 0xffff, v18
	v_or_b32_e32 v33, 0x10000, v18
	s_delay_alu instid0(VALU_DEP_2) | instskip(NEXT) | instid1(VALU_DEP_1)
	v_cmp_eq_u32_e64 s1, 0, v32
	v_cndmask_b32_e64 v66, v33, v18, s1
; %bb.944:                              ;   in Loop: Header=BB458_8 Depth=1
	s_or_b32 exec_lo, exec_lo, s2
	v_lshrrev_b32_e32 v67, 16, v31
	v_mov_b32_e32 v18, 0
	s_mov_b32 s2, exec_lo
	s_delay_alu instid0(VALU_DEP_2) | instskip(NEXT) | instid1(VALU_DEP_1)
	v_and_b32_e32 v32, 0xff, v67
	v_cmpx_ne_u16_e32 0, v32
	s_cbranch_execz .LBB458_952
; %bb.945:                              ;   in Loop: Header=BB458_8 Depth=1
	v_bfrev_b32_e32 v18, 1
	s_mov_b32 s18, exec_lo
	v_cmpx_ne_u16_e32 0x80, v32
	s_cbranch_execz .LBB458_951
; %bb.946:                              ;   in Loop: Header=BB458_8 Depth=1
	v_bfe_u32 v32, v31, 16, 7
	v_mov_b32_e32 v18, 0x7f800001
	s_mov_b32 s19, exec_lo
	s_delay_alu instid0(VALU_DEP_2)
	v_cmpx_ne_u32_e32 0x7f, v32
	s_cbranch_execz .LBB458_950
; %bb.947:                              ;   in Loop: Header=BB458_8 Depth=1
	v_and_b32_e32 v18, 7, v67
	v_lshrrev_b32_e32 v68, 3, v32
	v_cmp_gt_u32_e64 s1, 8, v32
	s_delay_alu instid0(VALU_DEP_3) | instskip(NEXT) | instid1(VALU_DEP_2)
	v_dual_mov_b32 v33, v19 :: v_dual_mov_b32 v32, v18
	s_and_saveexec_b32 s20, s1
; %bb.948:                              ;   in Loop: Header=BB458_8 Depth=1
	v_clz_i32_u32_e32 v32, v18
	s_delay_alu instid0(VALU_DEP_1) | instskip(NEXT) | instid1(VALU_DEP_1)
	v_min_u32_e32 v68, 32, v32
	v_subrev_nc_u32_e32 v32, 28, v68
	v_sub_nc_u32_e32 v68, 29, v68
	s_delay_alu instid0(VALU_DEP_2) | instskip(NEXT) | instid1(VALU_DEP_1)
	v_lshlrev_b64 v[32:33], v32, v[18:19]
	v_and_b32_e32 v32, 7, v32
; %bb.949:                              ;   in Loop: Header=BB458_8 Depth=1
	s_or_b32 exec_lo, exec_lo, s20
	v_lshlrev_b32_e32 v18, 24, v67
	s_delay_alu instid0(VALU_DEP_2) | instskip(SKIP_1) | instid1(VALU_DEP_3)
	v_lshlrev_b32_e32 v32, 20, v32
	v_lshl_add_u32 v33, v68, 23, 0x3c000000
	v_and_b32_e32 v18, 0x80000000, v18
	s_delay_alu instid0(VALU_DEP_1)
	v_or3_b32 v18, v32, v18, v33
.LBB458_950:                            ;   in Loop: Header=BB458_8 Depth=1
	s_or_b32 exec_lo, exec_lo, s19
.LBB458_951:                            ;   in Loop: Header=BB458_8 Depth=1
	s_delay_alu instid0(SALU_CYCLE_1)
	s_or_b32 exec_lo, exec_lo, s18
.LBB458_952:                            ;   in Loop: Header=BB458_8 Depth=1
	s_delay_alu instid0(SALU_CYCLE_1) | instskip(NEXT) | instid1(VALU_DEP_1)
	s_or_b32 exec_lo, exec_lo, s2
	v_mul_f32_e32 v18, v104, v18
                                        ; implicit-def: $vgpr67
	s_delay_alu instid0(VALU_DEP_1) | instskip(NEXT) | instid1(VALU_DEP_1)
	v_and_b32_e32 v32, 0x7f800000, v18
	v_cmp_ne_u32_e64 s1, 0x7f800000, v32
	s_delay_alu instid0(VALU_DEP_1) | instskip(NEXT) | instid1(SALU_CYCLE_1)
	s_and_saveexec_b32 s2, s1
	s_xor_b32 s1, exec_lo, s2
; %bb.953:                              ;   in Loop: Header=BB458_8 Depth=1
	v_bfe_u32 v32, v18, 16, 1
	s_delay_alu instid0(VALU_DEP_1)
	v_add3_u32 v67, v18, v32, 0x7fff
                                        ; implicit-def: $vgpr18
; %bb.954:                              ;   in Loop: Header=BB458_8 Depth=1
	s_and_not1_saveexec_b32 s2, s1
; %bb.955:                              ;   in Loop: Header=BB458_8 Depth=1
	v_and_b32_e32 v32, 0xffff, v18
	v_or_b32_e32 v33, 0x10000, v18
	s_delay_alu instid0(VALU_DEP_2) | instskip(NEXT) | instid1(VALU_DEP_1)
	v_cmp_eq_u32_e64 s1, 0, v32
	v_cndmask_b32_e64 v67, v33, v18, s1
; %bb.956:                              ;   in Loop: Header=BB458_8 Depth=1
	s_or_b32 exec_lo, exec_lo, s2
	v_mov_b32_e32 v18, 0
	s_mov_b32 s2, exec_lo
	v_cmpx_lt_u64_e64 s[8:9], v[30:31]
	s_cbranch_execz .LBB458_964
; %bb.957:                              ;   in Loop: Header=BB458_8 Depth=1
	v_lshrrev_b32_e32 v32, 24, v31
	v_bfrev_b32_e32 v18, 1
	s_mov_b32 s18, exec_lo
	s_delay_alu instid0(VALU_DEP_2)
	v_cmpx_ne_u32_e32 0x80, v32
	s_cbranch_execz .LBB458_963
; %bb.958:                              ;   in Loop: Header=BB458_8 Depth=1
	v_bfe_u32 v30, v31, 24, 7
	v_mov_b32_e32 v18, 0x7f800001
	s_mov_b32 s19, exec_lo
	s_delay_alu instid0(VALU_DEP_2)
	v_cmpx_ne_u32_e32 0x7f, v30
	s_cbranch_execz .LBB458_962
; %bb.959:                              ;   in Loop: Header=BB458_8 Depth=1
	v_and_b32_e32 v18, 7, v32
	v_lshrrev_b32_e32 v33, 3, v30
	v_cmp_gt_u32_e64 s1, 8, v30
	s_delay_alu instid0(VALU_DEP_3) | instskip(NEXT) | instid1(VALU_DEP_2)
	v_dual_mov_b32 v31, v19 :: v_dual_mov_b32 v30, v18
	s_and_saveexec_b32 s20, s1
; %bb.960:                              ;   in Loop: Header=BB458_8 Depth=1
	v_clz_i32_u32_e32 v30, v18
	s_delay_alu instid0(VALU_DEP_1) | instskip(NEXT) | instid1(VALU_DEP_1)
	v_min_u32_e32 v33, 32, v30
	v_subrev_nc_u32_e32 v30, 28, v33
	v_sub_nc_u32_e32 v33, 29, v33
	s_delay_alu instid0(VALU_DEP_2) | instskip(NEXT) | instid1(VALU_DEP_1)
	v_lshlrev_b64 v[30:31], v30, v[18:19]
	v_and_b32_e32 v30, 7, v30
; %bb.961:                              ;   in Loop: Header=BB458_8 Depth=1
	s_or_b32 exec_lo, exec_lo, s20
	v_lshlrev_b32_e32 v18, 24, v32
	s_delay_alu instid0(VALU_DEP_2) | instskip(SKIP_1) | instid1(VALU_DEP_3)
	v_lshlrev_b32_e32 v30, 20, v30
	v_lshl_add_u32 v31, v33, 23, 0x3c000000
	v_and_b32_e32 v18, 0x80000000, v18
	s_delay_alu instid0(VALU_DEP_1)
	v_or3_b32 v18, v30, v18, v31
.LBB458_962:                            ;   in Loop: Header=BB458_8 Depth=1
	s_or_b32 exec_lo, exec_lo, s19
.LBB458_963:                            ;   in Loop: Header=BB458_8 Depth=1
	s_delay_alu instid0(SALU_CYCLE_1)
	s_or_b32 exec_lo, exec_lo, s18
.LBB458_964:                            ;   in Loop: Header=BB458_8 Depth=1
	s_delay_alu instid0(SALU_CYCLE_1) | instskip(NEXT) | instid1(VALU_DEP_1)
	s_or_b32 exec_lo, exec_lo, s2
	v_mul_f32_e32 v18, v104, v18
                                        ; implicit-def: $vgpr68
	s_delay_alu instid0(VALU_DEP_1) | instskip(NEXT) | instid1(VALU_DEP_1)
	v_and_b32_e32 v30, 0x7f800000, v18
	v_cmp_ne_u32_e64 s1, 0x7f800000, v30
	s_delay_alu instid0(VALU_DEP_1) | instskip(NEXT) | instid1(SALU_CYCLE_1)
	s_and_saveexec_b32 s2, s1
	s_xor_b32 s1, exec_lo, s2
; %bb.965:                              ;   in Loop: Header=BB458_8 Depth=1
	v_bfe_u32 v30, v18, 16, 1
	s_delay_alu instid0(VALU_DEP_1)
	v_add3_u32 v68, v18, v30, 0x7fff
                                        ; implicit-def: $vgpr18
; %bb.966:                              ;   in Loop: Header=BB458_8 Depth=1
	s_and_not1_saveexec_b32 s2, s1
; %bb.967:                              ;   in Loop: Header=BB458_8 Depth=1
	v_and_b32_e32 v30, 0xffff, v18
	v_or_b32_e32 v31, 0x10000, v18
	s_delay_alu instid0(VALU_DEP_2) | instskip(NEXT) | instid1(VALU_DEP_1)
	v_cmp_eq_u32_e64 s1, 0, v30
	v_cndmask_b32_e64 v68, v31, v18, s1
; %bb.968:                              ;   in Loop: Header=BB458_8 Depth=1
	s_or_b32 exec_lo, exec_lo, s2
	flat_load_b64 v[30:31], v[28:29] offset:2560
	v_mov_b32_e32 v18, 0
	s_mov_b32 s2, exec_lo
	s_waitcnt vmcnt(0) lgkmcnt(0)
	v_and_b32_e32 v32, 0xff, v30
	s_delay_alu instid0(VALU_DEP_1)
	v_cmpx_ne_u16_e32 0, v32
	s_cbranch_execz .LBB458_976
; %bb.969:                              ;   in Loop: Header=BB458_8 Depth=1
	v_bfrev_b32_e32 v18, 1
	s_mov_b32 s18, exec_lo
	v_cmpx_ne_u16_e32 0x80, v32
	s_cbranch_execz .LBB458_975
; %bb.970:                              ;   in Loop: Header=BB458_8 Depth=1
	v_and_b32_e32 v32, 0x7f, v30
	v_mov_b32_e32 v18, 0x7f800001
	s_mov_b32 s19, exec_lo
	s_delay_alu instid0(VALU_DEP_2)
	v_cmpx_ne_u32_e32 0x7f, v32
	s_cbranch_execz .LBB458_974
; %bb.971:                              ;   in Loop: Header=BB458_8 Depth=1
	v_lshrrev_b32_e32 v18, 3, v32
	v_cmp_gt_u32_e64 s1, 8, v32
	v_dual_mov_b32 v33, v31 :: v_dual_mov_b32 v32, v30
	s_delay_alu instid0(VALU_DEP_2)
	s_and_saveexec_b32 s20, s1
; %bb.972:                              ;   in Loop: Header=BB458_8 Depth=1
	v_and_b32_e32 v18, 7, v30
	s_delay_alu instid0(VALU_DEP_1) | instskip(NEXT) | instid1(VALU_DEP_1)
	v_clz_i32_u32_e32 v18, v18
	v_min_u32_e32 v18, 32, v18
	s_delay_alu instid0(VALU_DEP_1) | instskip(SKIP_1) | instid1(VALU_DEP_2)
	v_subrev_nc_u32_e32 v32, 28, v18
	v_sub_nc_u32_e32 v18, 29, v18
	v_lshlrev_b64 v[32:33], v32, v[30:31]
; %bb.973:                              ;   in Loop: Header=BB458_8 Depth=1
	s_or_b32 exec_lo, exec_lo, s20
	s_delay_alu instid0(VALU_DEP_1) | instskip(SKIP_2) | instid1(VALU_DEP_3)
	v_lshlrev_b32_e32 v32, 20, v32
	v_lshlrev_b32_e32 v33, 24, v30
	v_lshl_add_u32 v18, v18, 23, 0x3c000000
	v_and_b32_e32 v32, 0x700000, v32
	s_delay_alu instid0(VALU_DEP_3) | instskip(NEXT) | instid1(VALU_DEP_1)
	v_and_b32_e32 v33, 0x80000000, v33
	v_or3_b32 v18, v32, v33, v18
.LBB458_974:                            ;   in Loop: Header=BB458_8 Depth=1
	s_or_b32 exec_lo, exec_lo, s19
.LBB458_975:                            ;   in Loop: Header=BB458_8 Depth=1
	s_delay_alu instid0(SALU_CYCLE_1)
	s_or_b32 exec_lo, exec_lo, s18
.LBB458_976:                            ;   in Loop: Header=BB458_8 Depth=1
	s_delay_alu instid0(SALU_CYCLE_1) | instskip(NEXT) | instid1(VALU_DEP_1)
	s_or_b32 exec_lo, exec_lo, s2
	v_mul_f32_e32 v18, v104, v18
                                        ; implicit-def: $vgpr69
	s_delay_alu instid0(VALU_DEP_1) | instskip(NEXT) | instid1(VALU_DEP_1)
	v_and_b32_e32 v32, 0x7f800000, v18
	v_cmp_ne_u32_e64 s1, 0x7f800000, v32
	s_delay_alu instid0(VALU_DEP_1) | instskip(NEXT) | instid1(SALU_CYCLE_1)
	s_and_saveexec_b32 s2, s1
	s_xor_b32 s1, exec_lo, s2
; %bb.977:                              ;   in Loop: Header=BB458_8 Depth=1
	v_bfe_u32 v32, v18, 16, 1
	s_delay_alu instid0(VALU_DEP_1)
	v_add3_u32 v69, v18, v32, 0x7fff
                                        ; implicit-def: $vgpr18
; %bb.978:                              ;   in Loop: Header=BB458_8 Depth=1
	s_and_not1_saveexec_b32 s2, s1
; %bb.979:                              ;   in Loop: Header=BB458_8 Depth=1
	v_and_b32_e32 v32, 0xffff, v18
	v_or_b32_e32 v33, 0x10000, v18
	s_delay_alu instid0(VALU_DEP_2) | instskip(NEXT) | instid1(VALU_DEP_1)
	v_cmp_eq_u32_e64 s1, 0, v32
	v_cndmask_b32_e64 v69, v33, v18, s1
; %bb.980:                              ;   in Loop: Header=BB458_8 Depth=1
	s_or_b32 exec_lo, exec_lo, s2
	v_lshrrev_b16 v32, 8, v30
	v_mov_b32_e32 v18, 0
	s_mov_b32 s2, exec_lo
	s_delay_alu instid0(VALU_DEP_2)
	v_cmpx_ne_u16_e32 0, v32
	s_cbranch_execz .LBB458_988
; %bb.981:                              ;   in Loop: Header=BB458_8 Depth=1
	v_bfrev_b32_e32 v18, 1
	s_mov_b32 s18, exec_lo
	v_cmpx_ne_u16_e32 0x80, v32
	s_cbranch_execz .LBB458_987
; %bb.982:                              ;   in Loop: Header=BB458_8 Depth=1
	v_and_b32_e32 v33, 0xffff, v32
	v_mov_b32_e32 v18, 0x7f800001
	s_mov_b32 s19, exec_lo
	s_delay_alu instid0(VALU_DEP_2) | instskip(NEXT) | instid1(VALU_DEP_1)
	v_and_b32_e32 v32, 0x7f, v33
	v_cmpx_ne_u32_e32 0x7f, v32
	s_cbranch_execz .LBB458_986
; %bb.983:                              ;   in Loop: Header=BB458_8 Depth=1
	v_and_b32_e32 v18, 7, v33
	v_lshrrev_b32_e32 v70, 3, v32
	v_cmp_gt_u32_e64 s1, 8, v32
	s_delay_alu instid0(VALU_DEP_3) | instskip(NEXT) | instid1(VALU_DEP_2)
	v_dual_mov_b32 v33, v19 :: v_dual_mov_b32 v32, v18
	s_and_saveexec_b32 s20, s1
; %bb.984:                              ;   in Loop: Header=BB458_8 Depth=1
	v_clz_i32_u32_e32 v32, v18
	s_delay_alu instid0(VALU_DEP_1) | instskip(NEXT) | instid1(VALU_DEP_1)
	v_min_u32_e32 v70, 32, v32
	v_subrev_nc_u32_e32 v32, 28, v70
	v_sub_nc_u32_e32 v70, 29, v70
	s_delay_alu instid0(VALU_DEP_2) | instskip(NEXT) | instid1(VALU_DEP_1)
	v_lshlrev_b64 v[32:33], v32, v[18:19]
	v_and_b32_e32 v32, 7, v32
; %bb.985:                              ;   in Loop: Header=BB458_8 Depth=1
	s_or_b32 exec_lo, exec_lo, s20
	v_lshlrev_b32_e32 v18, 16, v30
	s_delay_alu instid0(VALU_DEP_2) | instskip(SKIP_1) | instid1(VALU_DEP_3)
	v_lshlrev_b32_e32 v32, 20, v32
	v_lshl_add_u32 v33, v70, 23, 0x3c000000
	v_and_b32_e32 v18, 0x80000000, v18
	s_delay_alu instid0(VALU_DEP_1)
	v_or3_b32 v18, v32, v18, v33
.LBB458_986:                            ;   in Loop: Header=BB458_8 Depth=1
	s_or_b32 exec_lo, exec_lo, s19
.LBB458_987:                            ;   in Loop: Header=BB458_8 Depth=1
	s_delay_alu instid0(SALU_CYCLE_1)
	s_or_b32 exec_lo, exec_lo, s18
.LBB458_988:                            ;   in Loop: Header=BB458_8 Depth=1
	s_delay_alu instid0(SALU_CYCLE_1) | instskip(NEXT) | instid1(VALU_DEP_1)
	s_or_b32 exec_lo, exec_lo, s2
	v_mul_f32_e32 v18, v104, v18
                                        ; implicit-def: $vgpr70
	s_delay_alu instid0(VALU_DEP_1) | instskip(NEXT) | instid1(VALU_DEP_1)
	v_and_b32_e32 v32, 0x7f800000, v18
	v_cmp_ne_u32_e64 s1, 0x7f800000, v32
	s_delay_alu instid0(VALU_DEP_1) | instskip(NEXT) | instid1(SALU_CYCLE_1)
	s_and_saveexec_b32 s2, s1
	s_xor_b32 s1, exec_lo, s2
; %bb.989:                              ;   in Loop: Header=BB458_8 Depth=1
	v_bfe_u32 v32, v18, 16, 1
	s_delay_alu instid0(VALU_DEP_1)
	v_add3_u32 v70, v18, v32, 0x7fff
                                        ; implicit-def: $vgpr18
; %bb.990:                              ;   in Loop: Header=BB458_8 Depth=1
	s_and_not1_saveexec_b32 s2, s1
; %bb.991:                              ;   in Loop: Header=BB458_8 Depth=1
	v_and_b32_e32 v32, 0xffff, v18
	v_or_b32_e32 v33, 0x10000, v18
	s_delay_alu instid0(VALU_DEP_2) | instskip(NEXT) | instid1(VALU_DEP_1)
	v_cmp_eq_u32_e64 s1, 0, v32
	v_cndmask_b32_e64 v70, v33, v18, s1
; %bb.992:                              ;   in Loop: Header=BB458_8 Depth=1
	s_or_b32 exec_lo, exec_lo, s2
	v_lshrrev_b32_e32 v71, 16, v30
	v_mov_b32_e32 v18, 0
	s_mov_b32 s2, exec_lo
	s_delay_alu instid0(VALU_DEP_2) | instskip(NEXT) | instid1(VALU_DEP_1)
	v_and_b32_e32 v32, 0xff, v71
	v_cmpx_ne_u16_e32 0, v32
	s_cbranch_execz .LBB458_1000
; %bb.993:                              ;   in Loop: Header=BB458_8 Depth=1
	v_bfrev_b32_e32 v18, 1
	s_mov_b32 s18, exec_lo
	v_cmpx_ne_u16_e32 0x80, v32
	s_cbranch_execz .LBB458_999
; %bb.994:                              ;   in Loop: Header=BB458_8 Depth=1
	v_bfe_u32 v32, v30, 16, 7
	v_mov_b32_e32 v18, 0x7f800001
	s_mov_b32 s19, exec_lo
	s_delay_alu instid0(VALU_DEP_2)
	v_cmpx_ne_u32_e32 0x7f, v32
	s_cbranch_execz .LBB458_998
; %bb.995:                              ;   in Loop: Header=BB458_8 Depth=1
	v_and_b32_e32 v18, 7, v71
	v_lshrrev_b32_e32 v80, 3, v32
	v_cmp_gt_u32_e64 s1, 8, v32
	s_delay_alu instid0(VALU_DEP_3) | instskip(NEXT) | instid1(VALU_DEP_2)
	v_dual_mov_b32 v33, v19 :: v_dual_mov_b32 v32, v18
	s_and_saveexec_b32 s20, s1
; %bb.996:                              ;   in Loop: Header=BB458_8 Depth=1
	v_clz_i32_u32_e32 v32, v18
	s_delay_alu instid0(VALU_DEP_1) | instskip(NEXT) | instid1(VALU_DEP_1)
	v_min_u32_e32 v80, 32, v32
	v_subrev_nc_u32_e32 v32, 28, v80
	v_sub_nc_u32_e32 v80, 29, v80
	s_delay_alu instid0(VALU_DEP_2) | instskip(NEXT) | instid1(VALU_DEP_1)
	v_lshlrev_b64 v[32:33], v32, v[18:19]
	v_and_b32_e32 v32, 7, v32
; %bb.997:                              ;   in Loop: Header=BB458_8 Depth=1
	s_or_b32 exec_lo, exec_lo, s20
	v_lshlrev_b32_e32 v18, 24, v71
	s_delay_alu instid0(VALU_DEP_2) | instskip(SKIP_1) | instid1(VALU_DEP_3)
	v_lshlrev_b32_e32 v32, 20, v32
	v_lshl_add_u32 v33, v80, 23, 0x3c000000
	v_and_b32_e32 v18, 0x80000000, v18
	s_delay_alu instid0(VALU_DEP_1)
	v_or3_b32 v18, v32, v18, v33
.LBB458_998:                            ;   in Loop: Header=BB458_8 Depth=1
	s_or_b32 exec_lo, exec_lo, s19
.LBB458_999:                            ;   in Loop: Header=BB458_8 Depth=1
	s_delay_alu instid0(SALU_CYCLE_1)
	s_or_b32 exec_lo, exec_lo, s18
.LBB458_1000:                           ;   in Loop: Header=BB458_8 Depth=1
	s_delay_alu instid0(SALU_CYCLE_1) | instskip(NEXT) | instid1(VALU_DEP_1)
	s_or_b32 exec_lo, exec_lo, s2
	v_mul_f32_e32 v18, v104, v18
                                        ; implicit-def: $vgpr71
	s_delay_alu instid0(VALU_DEP_1) | instskip(NEXT) | instid1(VALU_DEP_1)
	v_and_b32_e32 v32, 0x7f800000, v18
	v_cmp_ne_u32_e64 s1, 0x7f800000, v32
	s_delay_alu instid0(VALU_DEP_1) | instskip(NEXT) | instid1(SALU_CYCLE_1)
	s_and_saveexec_b32 s2, s1
	s_xor_b32 s1, exec_lo, s2
; %bb.1001:                             ;   in Loop: Header=BB458_8 Depth=1
	v_bfe_u32 v32, v18, 16, 1
	s_delay_alu instid0(VALU_DEP_1)
	v_add3_u32 v71, v18, v32, 0x7fff
                                        ; implicit-def: $vgpr18
; %bb.1002:                             ;   in Loop: Header=BB458_8 Depth=1
	s_and_not1_saveexec_b32 s2, s1
; %bb.1003:                             ;   in Loop: Header=BB458_8 Depth=1
	v_and_b32_e32 v32, 0xffff, v18
	v_or_b32_e32 v33, 0x10000, v18
	s_delay_alu instid0(VALU_DEP_2) | instskip(NEXT) | instid1(VALU_DEP_1)
	v_cmp_eq_u32_e64 s1, 0, v32
	v_cndmask_b32_e64 v71, v33, v18, s1
; %bb.1004:                             ;   in Loop: Header=BB458_8 Depth=1
	s_or_b32 exec_lo, exec_lo, s2
	v_mov_b32_e32 v18, 0
	s_mov_b32 s2, exec_lo
	v_cmpx_lt_u32_e32 0xffffff, v30
	s_cbranch_execz .LBB458_1012
; %bb.1005:                             ;   in Loop: Header=BB458_8 Depth=1
	v_lshrrev_b32_e32 v80, 24, v30
	v_bfrev_b32_e32 v18, 1
	s_mov_b32 s18, exec_lo
	s_delay_alu instid0(VALU_DEP_2)
	v_cmpx_ne_u32_e32 0x80, v80
	s_cbranch_execz .LBB458_1011
; %bb.1006:                             ;   in Loop: Header=BB458_8 Depth=1
	v_bfe_u32 v32, v30, 24, 7
	v_mov_b32_e32 v18, 0x7f800001
	s_mov_b32 s19, exec_lo
	s_delay_alu instid0(VALU_DEP_2)
	v_cmpx_ne_u32_e32 0x7f, v32
	s_cbranch_execz .LBB458_1010
; %bb.1007:                             ;   in Loop: Header=BB458_8 Depth=1
	v_and_b32_e32 v18, 7, v80
	v_lshrrev_b32_e32 v81, 3, v32
	v_cmp_gt_u32_e64 s1, 8, v32
	s_delay_alu instid0(VALU_DEP_3) | instskip(NEXT) | instid1(VALU_DEP_2)
	v_dual_mov_b32 v33, v19 :: v_dual_mov_b32 v32, v18
	s_and_saveexec_b32 s20, s1
; %bb.1008:                             ;   in Loop: Header=BB458_8 Depth=1
	v_clz_i32_u32_e32 v32, v18
	s_delay_alu instid0(VALU_DEP_1) | instskip(NEXT) | instid1(VALU_DEP_1)
	v_min_u32_e32 v81, 32, v32
	v_subrev_nc_u32_e32 v32, 28, v81
	v_sub_nc_u32_e32 v81, 29, v81
	s_delay_alu instid0(VALU_DEP_2) | instskip(NEXT) | instid1(VALU_DEP_1)
	v_lshlrev_b64 v[32:33], v32, v[18:19]
	v_and_b32_e32 v32, 7, v32
; %bb.1009:                             ;   in Loop: Header=BB458_8 Depth=1
	s_or_b32 exec_lo, exec_lo, s20
	v_lshlrev_b32_e32 v18, 24, v80
	s_delay_alu instid0(VALU_DEP_2) | instskip(SKIP_1) | instid1(VALU_DEP_3)
	v_lshlrev_b32_e32 v32, 20, v32
	v_lshl_add_u32 v33, v81, 23, 0x3c000000
	v_and_b32_e32 v18, 0x80000000, v18
	s_delay_alu instid0(VALU_DEP_1)
	v_or3_b32 v18, v32, v18, v33
.LBB458_1010:                           ;   in Loop: Header=BB458_8 Depth=1
	s_or_b32 exec_lo, exec_lo, s19
.LBB458_1011:                           ;   in Loop: Header=BB458_8 Depth=1
	s_delay_alu instid0(SALU_CYCLE_1)
	s_or_b32 exec_lo, exec_lo, s18
.LBB458_1012:                           ;   in Loop: Header=BB458_8 Depth=1
	s_delay_alu instid0(SALU_CYCLE_1) | instskip(NEXT) | instid1(VALU_DEP_1)
	s_or_b32 exec_lo, exec_lo, s2
	v_mul_f32_e32 v18, v104, v18
                                        ; implicit-def: $vgpr80
	s_delay_alu instid0(VALU_DEP_1) | instskip(NEXT) | instid1(VALU_DEP_1)
	v_and_b32_e32 v32, 0x7f800000, v18
	v_cmp_ne_u32_e64 s1, 0x7f800000, v32
	s_delay_alu instid0(VALU_DEP_1) | instskip(NEXT) | instid1(SALU_CYCLE_1)
	s_and_saveexec_b32 s2, s1
	s_xor_b32 s1, exec_lo, s2
; %bb.1013:                             ;   in Loop: Header=BB458_8 Depth=1
	v_bfe_u32 v32, v18, 16, 1
	s_delay_alu instid0(VALU_DEP_1)
	v_add3_u32 v80, v18, v32, 0x7fff
                                        ; implicit-def: $vgpr18
; %bb.1014:                             ;   in Loop: Header=BB458_8 Depth=1
	s_and_not1_saveexec_b32 s2, s1
; %bb.1015:                             ;   in Loop: Header=BB458_8 Depth=1
	v_and_b32_e32 v32, 0xffff, v18
	v_or_b32_e32 v33, 0x10000, v18
	s_delay_alu instid0(VALU_DEP_2) | instskip(NEXT) | instid1(VALU_DEP_1)
	v_cmp_eq_u32_e64 s1, 0, v32
	v_cndmask_b32_e64 v80, v33, v18, s1
; %bb.1016:                             ;   in Loop: Header=BB458_8 Depth=1
	s_or_b32 exec_lo, exec_lo, s2
	v_dual_mov_b32 v18, v31 :: v_dual_and_b32 v33, 0xff, v31
	v_mov_b32_e32 v32, 0
	s_mov_b32 s2, exec_lo
	s_delay_alu instid0(VALU_DEP_2)
	v_cmpx_ne_u16_e32 0, v33
	s_cbranch_execz .LBB458_1024
; %bb.1017:                             ;   in Loop: Header=BB458_8 Depth=1
	v_bfrev_b32_e32 v32, 1
	s_mov_b32 s18, exec_lo
	v_cmpx_ne_u16_e32 0x80, v33
	s_cbranch_execz .LBB458_1023
; %bb.1018:                             ;   in Loop: Header=BB458_8 Depth=1
	v_and_b32_e32 v33, 0x7f, v31
	v_mov_b32_e32 v32, 0x7f800001
	s_mov_b32 s19, exec_lo
	s_delay_alu instid0(VALU_DEP_2)
	v_cmpx_ne_u32_e32 0x7f, v33
	s_cbranch_execz .LBB458_1022
; %bb.1019:                             ;   in Loop: Header=BB458_8 Depth=1
	v_lshrrev_b32_e32 v81, 3, v33
	v_cmp_gt_u32_e64 s1, 8, v33
	v_dual_mov_b32 v33, v19 :: v_dual_mov_b32 v32, v18
	s_delay_alu instid0(VALU_DEP_2)
	s_and_saveexec_b32 s20, s1
; %bb.1020:                             ;   in Loop: Header=BB458_8 Depth=1
	v_and_b32_e32 v32, 7, v31
	s_delay_alu instid0(VALU_DEP_1) | instskip(NEXT) | instid1(VALU_DEP_1)
	v_clz_i32_u32_e32 v32, v32
	v_min_u32_e32 v81, 32, v32
	s_delay_alu instid0(VALU_DEP_1) | instskip(SKIP_1) | instid1(VALU_DEP_2)
	v_subrev_nc_u32_e32 v32, 28, v81
	v_sub_nc_u32_e32 v81, 29, v81
	v_lshlrev_b64 v[32:33], v32, v[18:19]
; %bb.1021:                             ;   in Loop: Header=BB458_8 Depth=1
	s_or_b32 exec_lo, exec_lo, s20
	s_delay_alu instid0(VALU_DEP_1) | instskip(SKIP_2) | instid1(VALU_DEP_3)
	v_lshlrev_b32_e32 v32, 20, v32
	v_lshlrev_b32_e32 v33, 24, v18
	v_lshl_add_u32 v81, v81, 23, 0x3c000000
	v_and_b32_e32 v32, 0x700000, v32
	s_delay_alu instid0(VALU_DEP_3) | instskip(NEXT) | instid1(VALU_DEP_1)
	v_and_b32_e32 v33, 0x80000000, v33
	v_or3_b32 v32, v32, v33, v81
.LBB458_1022:                           ;   in Loop: Header=BB458_8 Depth=1
	s_or_b32 exec_lo, exec_lo, s19
.LBB458_1023:                           ;   in Loop: Header=BB458_8 Depth=1
	s_delay_alu instid0(SALU_CYCLE_1)
	s_or_b32 exec_lo, exec_lo, s18
.LBB458_1024:                           ;   in Loop: Header=BB458_8 Depth=1
	s_delay_alu instid0(SALU_CYCLE_1) | instskip(NEXT) | instid1(VALU_DEP_1)
	s_or_b32 exec_lo, exec_lo, s2
	v_mul_f32_e32 v32, v104, v32
                                        ; implicit-def: $vgpr81
	s_delay_alu instid0(VALU_DEP_1) | instskip(NEXT) | instid1(VALU_DEP_1)
	v_and_b32_e32 v33, 0x7f800000, v32
	v_cmp_ne_u32_e64 s1, 0x7f800000, v33
	s_delay_alu instid0(VALU_DEP_1) | instskip(NEXT) | instid1(SALU_CYCLE_1)
	s_and_saveexec_b32 s2, s1
	s_xor_b32 s1, exec_lo, s2
; %bb.1025:                             ;   in Loop: Header=BB458_8 Depth=1
	v_bfe_u32 v33, v32, 16, 1
	s_delay_alu instid0(VALU_DEP_1)
	v_add3_u32 v81, v32, v33, 0x7fff
                                        ; implicit-def: $vgpr32
; %bb.1026:                             ;   in Loop: Header=BB458_8 Depth=1
	s_and_not1_saveexec_b32 s2, s1
; %bb.1027:                             ;   in Loop: Header=BB458_8 Depth=1
	v_and_b32_e32 v33, 0xffff, v32
	v_or_b32_e32 v81, 0x10000, v32
	s_delay_alu instid0(VALU_DEP_2) | instskip(NEXT) | instid1(VALU_DEP_1)
	v_cmp_eq_u32_e64 s1, 0, v33
	v_cndmask_b32_e64 v81, v81, v32, s1
; %bb.1028:                             ;   in Loop: Header=BB458_8 Depth=1
	s_or_b32 exec_lo, exec_lo, s2
	v_lshrrev_b16 v33, 8, v18
	v_mov_b32_e32 v32, 0
	s_mov_b32 s2, exec_lo
	s_delay_alu instid0(VALU_DEP_2)
	v_cmpx_ne_u16_e32 0, v33
	s_cbranch_execz .LBB458_1036
; %bb.1029:                             ;   in Loop: Header=BB458_8 Depth=1
	v_bfrev_b32_e32 v32, 1
	s_mov_b32 s18, exec_lo
	v_cmpx_ne_u16_e32 0x80, v33
	s_cbranch_execz .LBB458_1035
; %bb.1030:                             ;   in Loop: Header=BB458_8 Depth=1
	v_and_b32_e32 v33, 0xffff, v33
	v_mov_b32_e32 v32, 0x7f800001
	s_mov_b32 s19, exec_lo
	s_delay_alu instid0(VALU_DEP_2) | instskip(NEXT) | instid1(VALU_DEP_1)
	v_and_b32_e32 v83, 0x7f, v33
	v_cmpx_ne_u32_e32 0x7f, v83
	s_cbranch_execz .LBB458_1034
; %bb.1031:                             ;   in Loop: Header=BB458_8 Depth=1
	v_dual_mov_b32 v33, v19 :: v_dual_and_b32 v32, 7, v33
	v_lshrrev_b32_e32 v82, 3, v83
	s_mov_b32 s20, exec_lo
	v_cmpx_gt_u32_e32 8, v83
; %bb.1032:                             ;   in Loop: Header=BB458_8 Depth=1
	s_delay_alu instid0(VALU_DEP_3) | instskip(NEXT) | instid1(VALU_DEP_1)
	v_clz_i32_u32_e32 v82, v32
	v_min_u32_e32 v82, 32, v82
	s_delay_alu instid0(VALU_DEP_1) | instskip(SKIP_1) | instid1(VALU_DEP_2)
	v_subrev_nc_u32_e32 v83, 28, v82
	v_sub_nc_u32_e32 v82, 29, v82
	v_lshlrev_b64 v[32:33], v83, v[32:33]
	s_delay_alu instid0(VALU_DEP_1)
	v_and_b32_e32 v32, 7, v32
; %bb.1033:                             ;   in Loop: Header=BB458_8 Depth=1
	s_or_b32 exec_lo, exec_lo, s20
	v_lshlrev_b32_e32 v18, 16, v18
	s_delay_alu instid0(VALU_DEP_2) | instskip(SKIP_1) | instid1(VALU_DEP_3)
	v_lshlrev_b32_e32 v32, 20, v32
	v_lshl_add_u32 v33, v82, 23, 0x3c000000
	v_and_b32_e32 v18, 0x80000000, v18
	s_delay_alu instid0(VALU_DEP_1)
	v_or3_b32 v32, v32, v18, v33
.LBB458_1034:                           ;   in Loop: Header=BB458_8 Depth=1
	s_or_b32 exec_lo, exec_lo, s19
.LBB458_1035:                           ;   in Loop: Header=BB458_8 Depth=1
	s_delay_alu instid0(SALU_CYCLE_1)
	s_or_b32 exec_lo, exec_lo, s18
.LBB458_1036:                           ;   in Loop: Header=BB458_8 Depth=1
	s_delay_alu instid0(SALU_CYCLE_1) | instskip(NEXT) | instid1(VALU_DEP_1)
	s_or_b32 exec_lo, exec_lo, s2
	v_mul_f32_e32 v18, v104, v32
                                        ; implicit-def: $vgpr82
	s_delay_alu instid0(VALU_DEP_1) | instskip(NEXT) | instid1(VALU_DEP_1)
	v_and_b32_e32 v32, 0x7f800000, v18
	v_cmp_ne_u32_e64 s1, 0x7f800000, v32
	s_delay_alu instid0(VALU_DEP_1) | instskip(NEXT) | instid1(SALU_CYCLE_1)
	s_and_saveexec_b32 s2, s1
	s_xor_b32 s1, exec_lo, s2
; %bb.1037:                             ;   in Loop: Header=BB458_8 Depth=1
	v_bfe_u32 v32, v18, 16, 1
	s_delay_alu instid0(VALU_DEP_1)
	v_add3_u32 v82, v18, v32, 0x7fff
                                        ; implicit-def: $vgpr18
; %bb.1038:                             ;   in Loop: Header=BB458_8 Depth=1
	s_and_not1_saveexec_b32 s2, s1
; %bb.1039:                             ;   in Loop: Header=BB458_8 Depth=1
	v_and_b32_e32 v32, 0xffff, v18
	v_or_b32_e32 v33, 0x10000, v18
	s_delay_alu instid0(VALU_DEP_2) | instskip(NEXT) | instid1(VALU_DEP_1)
	v_cmp_eq_u32_e64 s1, 0, v32
	v_cndmask_b32_e64 v82, v33, v18, s1
; %bb.1040:                             ;   in Loop: Header=BB458_8 Depth=1
	s_or_b32 exec_lo, exec_lo, s2
	v_lshrrev_b32_e32 v83, 16, v31
	v_mov_b32_e32 v18, 0
	s_mov_b32 s2, exec_lo
	s_delay_alu instid0(VALU_DEP_2) | instskip(NEXT) | instid1(VALU_DEP_1)
	v_and_b32_e32 v32, 0xff, v83
	v_cmpx_ne_u16_e32 0, v32
	s_cbranch_execz .LBB458_1048
; %bb.1041:                             ;   in Loop: Header=BB458_8 Depth=1
	v_bfrev_b32_e32 v18, 1
	s_mov_b32 s18, exec_lo
	v_cmpx_ne_u16_e32 0x80, v32
	s_cbranch_execz .LBB458_1047
; %bb.1042:                             ;   in Loop: Header=BB458_8 Depth=1
	v_bfe_u32 v32, v31, 16, 7
	v_mov_b32_e32 v18, 0x7f800001
	s_mov_b32 s19, exec_lo
	s_delay_alu instid0(VALU_DEP_2)
	v_cmpx_ne_u32_e32 0x7f, v32
	s_cbranch_execz .LBB458_1046
; %bb.1043:                             ;   in Loop: Header=BB458_8 Depth=1
	v_and_b32_e32 v18, 7, v83
	v_lshrrev_b32_e32 v84, 3, v32
	v_cmp_gt_u32_e64 s1, 8, v32
	s_delay_alu instid0(VALU_DEP_3) | instskip(NEXT) | instid1(VALU_DEP_2)
	v_dual_mov_b32 v33, v19 :: v_dual_mov_b32 v32, v18
	s_and_saveexec_b32 s20, s1
; %bb.1044:                             ;   in Loop: Header=BB458_8 Depth=1
	v_clz_i32_u32_e32 v32, v18
	s_delay_alu instid0(VALU_DEP_1) | instskip(NEXT) | instid1(VALU_DEP_1)
	v_min_u32_e32 v84, 32, v32
	v_subrev_nc_u32_e32 v32, 28, v84
	v_sub_nc_u32_e32 v84, 29, v84
	s_delay_alu instid0(VALU_DEP_2) | instskip(NEXT) | instid1(VALU_DEP_1)
	v_lshlrev_b64 v[32:33], v32, v[18:19]
	v_and_b32_e32 v32, 7, v32
; %bb.1045:                             ;   in Loop: Header=BB458_8 Depth=1
	s_or_b32 exec_lo, exec_lo, s20
	v_lshlrev_b32_e32 v18, 24, v83
	s_delay_alu instid0(VALU_DEP_2) | instskip(SKIP_1) | instid1(VALU_DEP_3)
	v_lshlrev_b32_e32 v32, 20, v32
	v_lshl_add_u32 v33, v84, 23, 0x3c000000
	v_and_b32_e32 v18, 0x80000000, v18
	s_delay_alu instid0(VALU_DEP_1)
	v_or3_b32 v18, v32, v18, v33
.LBB458_1046:                           ;   in Loop: Header=BB458_8 Depth=1
	s_or_b32 exec_lo, exec_lo, s19
.LBB458_1047:                           ;   in Loop: Header=BB458_8 Depth=1
	s_delay_alu instid0(SALU_CYCLE_1)
	s_or_b32 exec_lo, exec_lo, s18
.LBB458_1048:                           ;   in Loop: Header=BB458_8 Depth=1
	s_delay_alu instid0(SALU_CYCLE_1) | instskip(NEXT) | instid1(VALU_DEP_1)
	s_or_b32 exec_lo, exec_lo, s2
	v_mul_f32_e32 v18, v104, v18
	s_delay_alu instid0(VALU_DEP_1) | instskip(NEXT) | instid1(VALU_DEP_1)
	v_and_b32_e32 v32, 0x7f800000, v18
	v_cmp_ne_u32_e64 s1, 0x7f800000, v32
                                        ; implicit-def: $vgpr32
	s_delay_alu instid0(VALU_DEP_1) | instskip(NEXT) | instid1(SALU_CYCLE_1)
	s_and_saveexec_b32 s2, s1
	s_xor_b32 s1, exec_lo, s2
; %bb.1049:                             ;   in Loop: Header=BB458_8 Depth=1
	v_bfe_u32 v32, v18, 16, 1
	s_delay_alu instid0(VALU_DEP_1)
	v_add3_u32 v32, v18, v32, 0x7fff
                                        ; implicit-def: $vgpr18
; %bb.1050:                             ;   in Loop: Header=BB458_8 Depth=1
	s_and_not1_saveexec_b32 s2, s1
; %bb.1051:                             ;   in Loop: Header=BB458_8 Depth=1
	v_and_b32_e32 v32, 0xffff, v18
	v_or_b32_e32 v33, 0x10000, v18
	s_delay_alu instid0(VALU_DEP_2) | instskip(NEXT) | instid1(VALU_DEP_1)
	v_cmp_eq_u32_e64 s1, 0, v32
	v_cndmask_b32_e64 v32, v33, v18, s1
; %bb.1052:                             ;   in Loop: Header=BB458_8 Depth=1
	s_or_b32 exec_lo, exec_lo, s2
	v_mov_b32_e32 v18, 0
	s_mov_b32 s2, exec_lo
	v_cmpx_lt_u64_e64 s[8:9], v[30:31]
	s_cbranch_execz .LBB458_1060
; %bb.1053:                             ;   in Loop: Header=BB458_8 Depth=1
	v_lshrrev_b32_e32 v33, 24, v31
	v_bfrev_b32_e32 v18, 1
	s_mov_b32 s18, exec_lo
	s_delay_alu instid0(VALU_DEP_2)
	v_cmpx_ne_u32_e32 0x80, v33
	s_cbranch_execz .LBB458_1059
; %bb.1054:                             ;   in Loop: Header=BB458_8 Depth=1
	v_bfe_u32 v30, v31, 24, 7
	v_mov_b32_e32 v18, 0x7f800001
	s_mov_b32 s19, exec_lo
	s_delay_alu instid0(VALU_DEP_2)
	v_cmpx_ne_u32_e32 0x7f, v30
	s_cbranch_execz .LBB458_1058
; %bb.1055:                             ;   in Loop: Header=BB458_8 Depth=1
	v_and_b32_e32 v18, 7, v33
	v_lshrrev_b32_e32 v83, 3, v30
	v_cmp_gt_u32_e64 s1, 8, v30
	s_delay_alu instid0(VALU_DEP_3) | instskip(NEXT) | instid1(VALU_DEP_2)
	v_dual_mov_b32 v31, v19 :: v_dual_mov_b32 v30, v18
	s_and_saveexec_b32 s20, s1
; %bb.1056:                             ;   in Loop: Header=BB458_8 Depth=1
	v_clz_i32_u32_e32 v30, v18
	s_delay_alu instid0(VALU_DEP_1) | instskip(NEXT) | instid1(VALU_DEP_1)
	v_min_u32_e32 v83, 32, v30
	v_subrev_nc_u32_e32 v30, 28, v83
	v_sub_nc_u32_e32 v83, 29, v83
	s_delay_alu instid0(VALU_DEP_2) | instskip(NEXT) | instid1(VALU_DEP_1)
	v_lshlrev_b64 v[30:31], v30, v[18:19]
	v_and_b32_e32 v30, 7, v30
; %bb.1057:                             ;   in Loop: Header=BB458_8 Depth=1
	s_or_b32 exec_lo, exec_lo, s20
	v_lshlrev_b32_e32 v18, 24, v33
	s_delay_alu instid0(VALU_DEP_2) | instskip(SKIP_1) | instid1(VALU_DEP_3)
	v_lshlrev_b32_e32 v30, 20, v30
	v_lshl_add_u32 v31, v83, 23, 0x3c000000
	v_and_b32_e32 v18, 0x80000000, v18
	s_delay_alu instid0(VALU_DEP_1)
	v_or3_b32 v18, v30, v18, v31
.LBB458_1058:                           ;   in Loop: Header=BB458_8 Depth=1
	s_or_b32 exec_lo, exec_lo, s19
.LBB458_1059:                           ;   in Loop: Header=BB458_8 Depth=1
	s_delay_alu instid0(SALU_CYCLE_1)
	s_or_b32 exec_lo, exec_lo, s18
.LBB458_1060:                           ;   in Loop: Header=BB458_8 Depth=1
	s_delay_alu instid0(SALU_CYCLE_1) | instskip(NEXT) | instid1(VALU_DEP_1)
	s_or_b32 exec_lo, exec_lo, s2
	v_mul_f32_e32 v18, v104, v18
                                        ; implicit-def: $vgpr33
	s_delay_alu instid0(VALU_DEP_1) | instskip(NEXT) | instid1(VALU_DEP_1)
	v_and_b32_e32 v30, 0x7f800000, v18
	v_cmp_ne_u32_e64 s1, 0x7f800000, v30
	s_delay_alu instid0(VALU_DEP_1) | instskip(NEXT) | instid1(SALU_CYCLE_1)
	s_and_saveexec_b32 s2, s1
	s_xor_b32 s1, exec_lo, s2
; %bb.1061:                             ;   in Loop: Header=BB458_8 Depth=1
	v_bfe_u32 v30, v18, 16, 1
	s_delay_alu instid0(VALU_DEP_1)
	v_add3_u32 v33, v18, v30, 0x7fff
                                        ; implicit-def: $vgpr18
; %bb.1062:                             ;   in Loop: Header=BB458_8 Depth=1
	s_and_not1_saveexec_b32 s2, s1
; %bb.1063:                             ;   in Loop: Header=BB458_8 Depth=1
	v_and_b32_e32 v30, 0xffff, v18
	v_or_b32_e32 v31, 0x10000, v18
	s_delay_alu instid0(VALU_DEP_2) | instskip(NEXT) | instid1(VALU_DEP_1)
	v_cmp_eq_u32_e64 s1, 0, v30
	v_cndmask_b32_e64 v33, v31, v18, s1
; %bb.1064:                             ;   in Loop: Header=BB458_8 Depth=1
	s_or_b32 exec_lo, exec_lo, s2
	flat_load_b64 v[28:29], v[28:29] offset:2568
	v_mov_b32_e32 v18, 0
	s_mov_b32 s2, exec_lo
	s_waitcnt vmcnt(0) lgkmcnt(0)
	v_and_b32_e32 v30, 0xff, v28
	s_delay_alu instid0(VALU_DEP_1)
	v_cmpx_ne_u16_e32 0, v30
	s_cbranch_execz .LBB458_1072
; %bb.1065:                             ;   in Loop: Header=BB458_8 Depth=1
	v_bfrev_b32_e32 v18, 1
	s_mov_b32 s18, exec_lo
	v_cmpx_ne_u16_e32 0x80, v30
	s_cbranch_execz .LBB458_1071
; %bb.1066:                             ;   in Loop: Header=BB458_8 Depth=1
	v_and_b32_e32 v30, 0x7f, v28
	v_mov_b32_e32 v18, 0x7f800001
	s_mov_b32 s19, exec_lo
	s_delay_alu instid0(VALU_DEP_2)
	v_cmpx_ne_u32_e32 0x7f, v30
	s_cbranch_execz .LBB458_1070
; %bb.1067:                             ;   in Loop: Header=BB458_8 Depth=1
	v_lshrrev_b32_e32 v18, 3, v30
	v_cmp_gt_u32_e64 s1, 8, v30
	v_dual_mov_b32 v31, v29 :: v_dual_mov_b32 v30, v28
	s_delay_alu instid0(VALU_DEP_2)
	s_and_saveexec_b32 s20, s1
; %bb.1068:                             ;   in Loop: Header=BB458_8 Depth=1
	v_and_b32_e32 v18, 7, v28
	s_delay_alu instid0(VALU_DEP_1) | instskip(NEXT) | instid1(VALU_DEP_1)
	v_clz_i32_u32_e32 v18, v18
	v_min_u32_e32 v18, 32, v18
	s_delay_alu instid0(VALU_DEP_1) | instskip(SKIP_1) | instid1(VALU_DEP_2)
	v_subrev_nc_u32_e32 v30, 28, v18
	v_sub_nc_u32_e32 v18, 29, v18
	v_lshlrev_b64 v[30:31], v30, v[28:29]
; %bb.1069:                             ;   in Loop: Header=BB458_8 Depth=1
	s_or_b32 exec_lo, exec_lo, s20
	s_delay_alu instid0(VALU_DEP_1) | instskip(SKIP_2) | instid1(VALU_DEP_3)
	v_lshlrev_b32_e32 v30, 20, v30
	v_lshlrev_b32_e32 v31, 24, v28
	v_lshl_add_u32 v18, v18, 23, 0x3c000000
	v_and_b32_e32 v30, 0x700000, v30
	s_delay_alu instid0(VALU_DEP_3) | instskip(NEXT) | instid1(VALU_DEP_1)
	v_and_b32_e32 v31, 0x80000000, v31
	v_or3_b32 v18, v30, v31, v18
.LBB458_1070:                           ;   in Loop: Header=BB458_8 Depth=1
	s_or_b32 exec_lo, exec_lo, s19
.LBB458_1071:                           ;   in Loop: Header=BB458_8 Depth=1
	s_delay_alu instid0(SALU_CYCLE_1)
	s_or_b32 exec_lo, exec_lo, s18
.LBB458_1072:                           ;   in Loop: Header=BB458_8 Depth=1
	s_delay_alu instid0(SALU_CYCLE_1) | instskip(NEXT) | instid1(VALU_DEP_1)
	s_or_b32 exec_lo, exec_lo, s2
	v_mul_f32_e32 v18, v104, v18
                                        ; implicit-def: $vgpr83
	s_delay_alu instid0(VALU_DEP_1) | instskip(NEXT) | instid1(VALU_DEP_1)
	v_and_b32_e32 v30, 0x7f800000, v18
	v_cmp_ne_u32_e64 s1, 0x7f800000, v30
	s_delay_alu instid0(VALU_DEP_1) | instskip(NEXT) | instid1(SALU_CYCLE_1)
	s_and_saveexec_b32 s2, s1
	s_xor_b32 s1, exec_lo, s2
; %bb.1073:                             ;   in Loop: Header=BB458_8 Depth=1
	v_bfe_u32 v30, v18, 16, 1
	s_delay_alu instid0(VALU_DEP_1)
	v_add3_u32 v83, v18, v30, 0x7fff
                                        ; implicit-def: $vgpr18
; %bb.1074:                             ;   in Loop: Header=BB458_8 Depth=1
	s_and_not1_saveexec_b32 s2, s1
; %bb.1075:                             ;   in Loop: Header=BB458_8 Depth=1
	v_and_b32_e32 v30, 0xffff, v18
	v_or_b32_e32 v31, 0x10000, v18
	s_delay_alu instid0(VALU_DEP_2) | instskip(NEXT) | instid1(VALU_DEP_1)
	v_cmp_eq_u32_e64 s1, 0, v30
	v_cndmask_b32_e64 v83, v31, v18, s1
; %bb.1076:                             ;   in Loop: Header=BB458_8 Depth=1
	s_or_b32 exec_lo, exec_lo, s2
	v_lshrrev_b16 v30, 8, v28
	v_mov_b32_e32 v18, 0
	s_mov_b32 s2, exec_lo
	s_delay_alu instid0(VALU_DEP_2)
	v_cmpx_ne_u16_e32 0, v30
	s_cbranch_execz .LBB458_1084
; %bb.1077:                             ;   in Loop: Header=BB458_8 Depth=1
	v_bfrev_b32_e32 v18, 1
	s_mov_b32 s18, exec_lo
	v_cmpx_ne_u16_e32 0x80, v30
	s_cbranch_execz .LBB458_1083
; %bb.1078:                             ;   in Loop: Header=BB458_8 Depth=1
	v_and_b32_e32 v31, 0xffff, v30
	v_mov_b32_e32 v18, 0x7f800001
	s_mov_b32 s19, exec_lo
	s_delay_alu instid0(VALU_DEP_2) | instskip(NEXT) | instid1(VALU_DEP_1)
	v_and_b32_e32 v30, 0x7f, v31
	v_cmpx_ne_u32_e32 0x7f, v30
	s_cbranch_execz .LBB458_1082
; %bb.1079:                             ;   in Loop: Header=BB458_8 Depth=1
	v_and_b32_e32 v18, 7, v31
	v_lshrrev_b32_e32 v84, 3, v30
	v_cmp_gt_u32_e64 s1, 8, v30
	s_delay_alu instid0(VALU_DEP_3) | instskip(NEXT) | instid1(VALU_DEP_2)
	v_dual_mov_b32 v31, v19 :: v_dual_mov_b32 v30, v18
	s_and_saveexec_b32 s20, s1
; %bb.1080:                             ;   in Loop: Header=BB458_8 Depth=1
	v_clz_i32_u32_e32 v30, v18
	s_delay_alu instid0(VALU_DEP_1) | instskip(NEXT) | instid1(VALU_DEP_1)
	v_min_u32_e32 v84, 32, v30
	v_subrev_nc_u32_e32 v30, 28, v84
	v_sub_nc_u32_e32 v84, 29, v84
	s_delay_alu instid0(VALU_DEP_2) | instskip(NEXT) | instid1(VALU_DEP_1)
	v_lshlrev_b64 v[30:31], v30, v[18:19]
	v_and_b32_e32 v30, 7, v30
; %bb.1081:                             ;   in Loop: Header=BB458_8 Depth=1
	s_or_b32 exec_lo, exec_lo, s20
	v_lshlrev_b32_e32 v18, 16, v28
	s_delay_alu instid0(VALU_DEP_2) | instskip(SKIP_1) | instid1(VALU_DEP_3)
	v_lshlrev_b32_e32 v30, 20, v30
	v_lshl_add_u32 v31, v84, 23, 0x3c000000
	v_and_b32_e32 v18, 0x80000000, v18
	s_delay_alu instid0(VALU_DEP_1)
	v_or3_b32 v18, v30, v18, v31
.LBB458_1082:                           ;   in Loop: Header=BB458_8 Depth=1
	s_or_b32 exec_lo, exec_lo, s19
.LBB458_1083:                           ;   in Loop: Header=BB458_8 Depth=1
	s_delay_alu instid0(SALU_CYCLE_1)
	s_or_b32 exec_lo, exec_lo, s18
.LBB458_1084:                           ;   in Loop: Header=BB458_8 Depth=1
	s_delay_alu instid0(SALU_CYCLE_1) | instskip(NEXT) | instid1(VALU_DEP_1)
	s_or_b32 exec_lo, exec_lo, s2
	v_mul_f32_e32 v18, v104, v18
                                        ; implicit-def: $vgpr84
	s_delay_alu instid0(VALU_DEP_1) | instskip(NEXT) | instid1(VALU_DEP_1)
	v_and_b32_e32 v30, 0x7f800000, v18
	v_cmp_ne_u32_e64 s1, 0x7f800000, v30
	s_delay_alu instid0(VALU_DEP_1) | instskip(NEXT) | instid1(SALU_CYCLE_1)
	s_and_saveexec_b32 s2, s1
	s_xor_b32 s1, exec_lo, s2
; %bb.1085:                             ;   in Loop: Header=BB458_8 Depth=1
	v_bfe_u32 v30, v18, 16, 1
	s_delay_alu instid0(VALU_DEP_1)
	v_add3_u32 v84, v18, v30, 0x7fff
                                        ; implicit-def: $vgpr18
; %bb.1086:                             ;   in Loop: Header=BB458_8 Depth=1
	s_and_not1_saveexec_b32 s2, s1
; %bb.1087:                             ;   in Loop: Header=BB458_8 Depth=1
	v_and_b32_e32 v30, 0xffff, v18
	v_or_b32_e32 v31, 0x10000, v18
	s_delay_alu instid0(VALU_DEP_2) | instskip(NEXT) | instid1(VALU_DEP_1)
	v_cmp_eq_u32_e64 s1, 0, v30
	v_cndmask_b32_e64 v84, v31, v18, s1
; %bb.1088:                             ;   in Loop: Header=BB458_8 Depth=1
	s_or_b32 exec_lo, exec_lo, s2
	v_lshrrev_b32_e32 v85, 16, v28
	v_mov_b32_e32 v18, 0
	s_mov_b32 s2, exec_lo
	s_delay_alu instid0(VALU_DEP_2) | instskip(NEXT) | instid1(VALU_DEP_1)
	v_and_b32_e32 v30, 0xff, v85
	v_cmpx_ne_u16_e32 0, v30
	s_cbranch_execz .LBB458_1096
; %bb.1089:                             ;   in Loop: Header=BB458_8 Depth=1
	v_bfrev_b32_e32 v18, 1
	s_mov_b32 s18, exec_lo
	v_cmpx_ne_u16_e32 0x80, v30
	s_cbranch_execz .LBB458_1095
; %bb.1090:                             ;   in Loop: Header=BB458_8 Depth=1
	v_bfe_u32 v30, v28, 16, 7
	v_mov_b32_e32 v18, 0x7f800001
	s_mov_b32 s19, exec_lo
	s_delay_alu instid0(VALU_DEP_2)
	v_cmpx_ne_u32_e32 0x7f, v30
	s_cbranch_execz .LBB458_1094
; %bb.1091:                             ;   in Loop: Header=BB458_8 Depth=1
	v_and_b32_e32 v18, 7, v85
	v_lshrrev_b32_e32 v86, 3, v30
	v_cmp_gt_u32_e64 s1, 8, v30
	s_delay_alu instid0(VALU_DEP_3) | instskip(NEXT) | instid1(VALU_DEP_2)
	v_dual_mov_b32 v31, v19 :: v_dual_mov_b32 v30, v18
	s_and_saveexec_b32 s20, s1
; %bb.1092:                             ;   in Loop: Header=BB458_8 Depth=1
	v_clz_i32_u32_e32 v30, v18
	s_delay_alu instid0(VALU_DEP_1) | instskip(NEXT) | instid1(VALU_DEP_1)
	v_min_u32_e32 v86, 32, v30
	v_subrev_nc_u32_e32 v30, 28, v86
	v_sub_nc_u32_e32 v86, 29, v86
	s_delay_alu instid0(VALU_DEP_2) | instskip(NEXT) | instid1(VALU_DEP_1)
	v_lshlrev_b64 v[30:31], v30, v[18:19]
	v_and_b32_e32 v30, 7, v30
; %bb.1093:                             ;   in Loop: Header=BB458_8 Depth=1
	s_or_b32 exec_lo, exec_lo, s20
	v_lshlrev_b32_e32 v18, 24, v85
	s_delay_alu instid0(VALU_DEP_2) | instskip(SKIP_1) | instid1(VALU_DEP_3)
	v_lshlrev_b32_e32 v30, 20, v30
	v_lshl_add_u32 v31, v86, 23, 0x3c000000
	v_and_b32_e32 v18, 0x80000000, v18
	s_delay_alu instid0(VALU_DEP_1)
	v_or3_b32 v18, v30, v18, v31
.LBB458_1094:                           ;   in Loop: Header=BB458_8 Depth=1
	s_or_b32 exec_lo, exec_lo, s19
.LBB458_1095:                           ;   in Loop: Header=BB458_8 Depth=1
	s_delay_alu instid0(SALU_CYCLE_1)
	s_or_b32 exec_lo, exec_lo, s18
.LBB458_1096:                           ;   in Loop: Header=BB458_8 Depth=1
	s_delay_alu instid0(SALU_CYCLE_1) | instskip(NEXT) | instid1(VALU_DEP_1)
	s_or_b32 exec_lo, exec_lo, s2
	v_mul_f32_e32 v18, v104, v18
                                        ; implicit-def: $vgpr85
	s_delay_alu instid0(VALU_DEP_1) | instskip(NEXT) | instid1(VALU_DEP_1)
	v_and_b32_e32 v30, 0x7f800000, v18
	v_cmp_ne_u32_e64 s1, 0x7f800000, v30
	s_delay_alu instid0(VALU_DEP_1) | instskip(NEXT) | instid1(SALU_CYCLE_1)
	s_and_saveexec_b32 s2, s1
	s_xor_b32 s1, exec_lo, s2
; %bb.1097:                             ;   in Loop: Header=BB458_8 Depth=1
	v_bfe_u32 v30, v18, 16, 1
	s_delay_alu instid0(VALU_DEP_1)
	v_add3_u32 v85, v18, v30, 0x7fff
                                        ; implicit-def: $vgpr18
; %bb.1098:                             ;   in Loop: Header=BB458_8 Depth=1
	s_and_not1_saveexec_b32 s2, s1
; %bb.1099:                             ;   in Loop: Header=BB458_8 Depth=1
	v_and_b32_e32 v30, 0xffff, v18
	v_or_b32_e32 v31, 0x10000, v18
	s_delay_alu instid0(VALU_DEP_2) | instskip(NEXT) | instid1(VALU_DEP_1)
	v_cmp_eq_u32_e64 s1, 0, v30
	v_cndmask_b32_e64 v85, v31, v18, s1
; %bb.1100:                             ;   in Loop: Header=BB458_8 Depth=1
	s_or_b32 exec_lo, exec_lo, s2
	v_mov_b32_e32 v18, 0
	s_mov_b32 s2, exec_lo
	v_cmpx_lt_u32_e32 0xffffff, v28
	s_cbranch_execz .LBB458_1108
; %bb.1101:                             ;   in Loop: Header=BB458_8 Depth=1
	v_lshrrev_b32_e32 v86, 24, v28
	v_bfrev_b32_e32 v18, 1
	s_mov_b32 s18, exec_lo
	s_delay_alu instid0(VALU_DEP_2)
	v_cmpx_ne_u32_e32 0x80, v86
	s_cbranch_execz .LBB458_1107
; %bb.1102:                             ;   in Loop: Header=BB458_8 Depth=1
	v_bfe_u32 v30, v28, 24, 7
	v_mov_b32_e32 v18, 0x7f800001
	s_mov_b32 s19, exec_lo
	s_delay_alu instid0(VALU_DEP_2)
	v_cmpx_ne_u32_e32 0x7f, v30
	s_cbranch_execz .LBB458_1106
; %bb.1103:                             ;   in Loop: Header=BB458_8 Depth=1
	v_and_b32_e32 v18, 7, v86
	v_lshrrev_b32_e32 v87, 3, v30
	v_cmp_gt_u32_e64 s1, 8, v30
	s_delay_alu instid0(VALU_DEP_3) | instskip(NEXT) | instid1(VALU_DEP_2)
	v_dual_mov_b32 v31, v19 :: v_dual_mov_b32 v30, v18
	s_and_saveexec_b32 s20, s1
; %bb.1104:                             ;   in Loop: Header=BB458_8 Depth=1
	v_clz_i32_u32_e32 v30, v18
	s_delay_alu instid0(VALU_DEP_1) | instskip(NEXT) | instid1(VALU_DEP_1)
	v_min_u32_e32 v87, 32, v30
	v_subrev_nc_u32_e32 v30, 28, v87
	v_sub_nc_u32_e32 v87, 29, v87
	s_delay_alu instid0(VALU_DEP_2) | instskip(NEXT) | instid1(VALU_DEP_1)
	v_lshlrev_b64 v[30:31], v30, v[18:19]
	v_and_b32_e32 v30, 7, v30
; %bb.1105:                             ;   in Loop: Header=BB458_8 Depth=1
	s_or_b32 exec_lo, exec_lo, s20
	v_lshlrev_b32_e32 v18, 24, v86
	s_delay_alu instid0(VALU_DEP_2) | instskip(SKIP_1) | instid1(VALU_DEP_3)
	v_lshlrev_b32_e32 v30, 20, v30
	v_lshl_add_u32 v31, v87, 23, 0x3c000000
	v_and_b32_e32 v18, 0x80000000, v18
	s_delay_alu instid0(VALU_DEP_1)
	v_or3_b32 v18, v30, v18, v31
.LBB458_1106:                           ;   in Loop: Header=BB458_8 Depth=1
	s_or_b32 exec_lo, exec_lo, s19
.LBB458_1107:                           ;   in Loop: Header=BB458_8 Depth=1
	s_delay_alu instid0(SALU_CYCLE_1)
	s_or_b32 exec_lo, exec_lo, s18
.LBB458_1108:                           ;   in Loop: Header=BB458_8 Depth=1
	s_delay_alu instid0(SALU_CYCLE_1) | instskip(NEXT) | instid1(VALU_DEP_1)
	s_or_b32 exec_lo, exec_lo, s2
	v_mul_f32_e32 v18, v104, v18
                                        ; implicit-def: $vgpr86
	s_delay_alu instid0(VALU_DEP_1) | instskip(NEXT) | instid1(VALU_DEP_1)
	v_and_b32_e32 v30, 0x7f800000, v18
	v_cmp_ne_u32_e64 s1, 0x7f800000, v30
	s_delay_alu instid0(VALU_DEP_1) | instskip(NEXT) | instid1(SALU_CYCLE_1)
	s_and_saveexec_b32 s2, s1
	s_xor_b32 s1, exec_lo, s2
; %bb.1109:                             ;   in Loop: Header=BB458_8 Depth=1
	v_bfe_u32 v30, v18, 16, 1
	s_delay_alu instid0(VALU_DEP_1)
	v_add3_u32 v86, v18, v30, 0x7fff
                                        ; implicit-def: $vgpr18
; %bb.1110:                             ;   in Loop: Header=BB458_8 Depth=1
	s_and_not1_saveexec_b32 s2, s1
; %bb.1111:                             ;   in Loop: Header=BB458_8 Depth=1
	v_and_b32_e32 v30, 0xffff, v18
	v_or_b32_e32 v31, 0x10000, v18
	s_delay_alu instid0(VALU_DEP_2) | instskip(NEXT) | instid1(VALU_DEP_1)
	v_cmp_eq_u32_e64 s1, 0, v30
	v_cndmask_b32_e64 v86, v31, v18, s1
; %bb.1112:                             ;   in Loop: Header=BB458_8 Depth=1
	s_or_b32 exec_lo, exec_lo, s2
	v_dual_mov_b32 v18, v29 :: v_dual_and_b32 v31, 0xff, v29
	v_mov_b32_e32 v30, 0
	s_mov_b32 s2, exec_lo
	s_delay_alu instid0(VALU_DEP_2)
	v_cmpx_ne_u16_e32 0, v31
	s_cbranch_execz .LBB458_1120
; %bb.1113:                             ;   in Loop: Header=BB458_8 Depth=1
	v_bfrev_b32_e32 v30, 1
	s_mov_b32 s18, exec_lo
	v_cmpx_ne_u16_e32 0x80, v31
	s_cbranch_execz .LBB458_1119
; %bb.1114:                             ;   in Loop: Header=BB458_8 Depth=1
	v_and_b32_e32 v31, 0x7f, v29
	v_mov_b32_e32 v30, 0x7f800001
	s_mov_b32 s19, exec_lo
	s_delay_alu instid0(VALU_DEP_2)
	v_cmpx_ne_u32_e32 0x7f, v31
	s_cbranch_execz .LBB458_1118
; %bb.1115:                             ;   in Loop: Header=BB458_8 Depth=1
	v_lshrrev_b32_e32 v87, 3, v31
	v_cmp_gt_u32_e64 s1, 8, v31
	v_dual_mov_b32 v31, v19 :: v_dual_mov_b32 v30, v18
	s_delay_alu instid0(VALU_DEP_2)
	s_and_saveexec_b32 s20, s1
; %bb.1116:                             ;   in Loop: Header=BB458_8 Depth=1
	v_and_b32_e32 v30, 7, v29
	s_delay_alu instid0(VALU_DEP_1) | instskip(NEXT) | instid1(VALU_DEP_1)
	v_clz_i32_u32_e32 v30, v30
	v_min_u32_e32 v87, 32, v30
	s_delay_alu instid0(VALU_DEP_1) | instskip(SKIP_1) | instid1(VALU_DEP_2)
	v_subrev_nc_u32_e32 v30, 28, v87
	v_sub_nc_u32_e32 v87, 29, v87
	v_lshlrev_b64 v[30:31], v30, v[18:19]
; %bb.1117:                             ;   in Loop: Header=BB458_8 Depth=1
	s_or_b32 exec_lo, exec_lo, s20
	s_delay_alu instid0(VALU_DEP_1) | instskip(SKIP_2) | instid1(VALU_DEP_3)
	v_lshlrev_b32_e32 v30, 20, v30
	v_lshlrev_b32_e32 v31, 24, v18
	v_lshl_add_u32 v87, v87, 23, 0x3c000000
	v_and_b32_e32 v30, 0x700000, v30
	s_delay_alu instid0(VALU_DEP_3) | instskip(NEXT) | instid1(VALU_DEP_1)
	v_and_b32_e32 v31, 0x80000000, v31
	v_or3_b32 v30, v30, v31, v87
.LBB458_1118:                           ;   in Loop: Header=BB458_8 Depth=1
	s_or_b32 exec_lo, exec_lo, s19
.LBB458_1119:                           ;   in Loop: Header=BB458_8 Depth=1
	s_delay_alu instid0(SALU_CYCLE_1)
	s_or_b32 exec_lo, exec_lo, s18
.LBB458_1120:                           ;   in Loop: Header=BB458_8 Depth=1
	s_delay_alu instid0(SALU_CYCLE_1) | instskip(NEXT) | instid1(VALU_DEP_1)
	s_or_b32 exec_lo, exec_lo, s2
	v_mul_f32_e32 v30, v104, v30
                                        ; implicit-def: $vgpr87
	s_delay_alu instid0(VALU_DEP_1) | instskip(NEXT) | instid1(VALU_DEP_1)
	v_and_b32_e32 v31, 0x7f800000, v30
	v_cmp_ne_u32_e64 s1, 0x7f800000, v31
	s_delay_alu instid0(VALU_DEP_1) | instskip(NEXT) | instid1(SALU_CYCLE_1)
	s_and_saveexec_b32 s2, s1
	s_xor_b32 s1, exec_lo, s2
; %bb.1121:                             ;   in Loop: Header=BB458_8 Depth=1
	v_bfe_u32 v31, v30, 16, 1
	s_delay_alu instid0(VALU_DEP_1)
	v_add3_u32 v87, v30, v31, 0x7fff
                                        ; implicit-def: $vgpr30
; %bb.1122:                             ;   in Loop: Header=BB458_8 Depth=1
	s_and_not1_saveexec_b32 s2, s1
; %bb.1123:                             ;   in Loop: Header=BB458_8 Depth=1
	v_and_b32_e32 v31, 0xffff, v30
	v_or_b32_e32 v87, 0x10000, v30
	s_delay_alu instid0(VALU_DEP_2) | instskip(NEXT) | instid1(VALU_DEP_1)
	v_cmp_eq_u32_e64 s1, 0, v31
	v_cndmask_b32_e64 v87, v87, v30, s1
; %bb.1124:                             ;   in Loop: Header=BB458_8 Depth=1
	s_or_b32 exec_lo, exec_lo, s2
	v_lshrrev_b16 v31, 8, v18
	v_mov_b32_e32 v30, 0
	s_mov_b32 s2, exec_lo
	s_delay_alu instid0(VALU_DEP_2)
	v_cmpx_ne_u16_e32 0, v31
	s_cbranch_execz .LBB458_1132
; %bb.1125:                             ;   in Loop: Header=BB458_8 Depth=1
	v_bfrev_b32_e32 v30, 1
	s_mov_b32 s18, exec_lo
	v_cmpx_ne_u16_e32 0x80, v31
	s_cbranch_execz .LBB458_1131
; %bb.1126:                             ;   in Loop: Header=BB458_8 Depth=1
	v_and_b32_e32 v31, 0xffff, v31
	v_mov_b32_e32 v30, 0x7f800001
	s_mov_b32 s19, exec_lo
	s_delay_alu instid0(VALU_DEP_2) | instskip(NEXT) | instid1(VALU_DEP_1)
	v_and_b32_e32 v97, 0x7f, v31
	v_cmpx_ne_u32_e32 0x7f, v97
	s_cbranch_execz .LBB458_1130
; %bb.1127:                             ;   in Loop: Header=BB458_8 Depth=1
	v_dual_mov_b32 v31, v19 :: v_dual_and_b32 v30, 7, v31
	v_lshrrev_b32_e32 v96, 3, v97
	s_mov_b32 s20, exec_lo
	v_cmpx_gt_u32_e32 8, v97
; %bb.1128:                             ;   in Loop: Header=BB458_8 Depth=1
	s_delay_alu instid0(VALU_DEP_3) | instskip(NEXT) | instid1(VALU_DEP_1)
	v_clz_i32_u32_e32 v96, v30
	v_min_u32_e32 v96, 32, v96
	s_delay_alu instid0(VALU_DEP_1) | instskip(SKIP_1) | instid1(VALU_DEP_2)
	v_subrev_nc_u32_e32 v97, 28, v96
	v_sub_nc_u32_e32 v96, 29, v96
	v_lshlrev_b64 v[30:31], v97, v[30:31]
	s_delay_alu instid0(VALU_DEP_1)
	v_and_b32_e32 v30, 7, v30
; %bb.1129:                             ;   in Loop: Header=BB458_8 Depth=1
	s_or_b32 exec_lo, exec_lo, s20
	v_lshlrev_b32_e32 v18, 16, v18
	s_delay_alu instid0(VALU_DEP_2) | instskip(SKIP_1) | instid1(VALU_DEP_3)
	v_lshlrev_b32_e32 v30, 20, v30
	v_lshl_add_u32 v31, v96, 23, 0x3c000000
	v_and_b32_e32 v18, 0x80000000, v18
	s_delay_alu instid0(VALU_DEP_1)
	v_or3_b32 v30, v30, v18, v31
.LBB458_1130:                           ;   in Loop: Header=BB458_8 Depth=1
	s_or_b32 exec_lo, exec_lo, s19
.LBB458_1131:                           ;   in Loop: Header=BB458_8 Depth=1
	s_delay_alu instid0(SALU_CYCLE_1)
	s_or_b32 exec_lo, exec_lo, s18
.LBB458_1132:                           ;   in Loop: Header=BB458_8 Depth=1
	s_delay_alu instid0(SALU_CYCLE_1) | instskip(NEXT) | instid1(VALU_DEP_1)
	s_or_b32 exec_lo, exec_lo, s2
	v_mul_f32_e32 v18, v104, v30
                                        ; implicit-def: $vgpr96
	s_delay_alu instid0(VALU_DEP_1) | instskip(NEXT) | instid1(VALU_DEP_1)
	v_and_b32_e32 v30, 0x7f800000, v18
	v_cmp_ne_u32_e64 s1, 0x7f800000, v30
	s_delay_alu instid0(VALU_DEP_1) | instskip(NEXT) | instid1(SALU_CYCLE_1)
	s_and_saveexec_b32 s2, s1
	s_xor_b32 s1, exec_lo, s2
; %bb.1133:                             ;   in Loop: Header=BB458_8 Depth=1
	v_bfe_u32 v30, v18, 16, 1
	s_delay_alu instid0(VALU_DEP_1)
	v_add3_u32 v96, v18, v30, 0x7fff
                                        ; implicit-def: $vgpr18
; %bb.1134:                             ;   in Loop: Header=BB458_8 Depth=1
	s_and_not1_saveexec_b32 s2, s1
; %bb.1135:                             ;   in Loop: Header=BB458_8 Depth=1
	v_and_b32_e32 v30, 0xffff, v18
	v_or_b32_e32 v31, 0x10000, v18
	s_delay_alu instid0(VALU_DEP_2) | instskip(NEXT) | instid1(VALU_DEP_1)
	v_cmp_eq_u32_e64 s1, 0, v30
	v_cndmask_b32_e64 v96, v31, v18, s1
; %bb.1136:                             ;   in Loop: Header=BB458_8 Depth=1
	s_or_b32 exec_lo, exec_lo, s2
	v_lshrrev_b32_e32 v97, 16, v29
	v_mov_b32_e32 v18, 0
	s_mov_b32 s2, exec_lo
	s_delay_alu instid0(VALU_DEP_2) | instskip(NEXT) | instid1(VALU_DEP_1)
	v_and_b32_e32 v30, 0xff, v97
	v_cmpx_ne_u16_e32 0, v30
	s_cbranch_execz .LBB458_1144
; %bb.1137:                             ;   in Loop: Header=BB458_8 Depth=1
	v_bfrev_b32_e32 v18, 1
	s_mov_b32 s18, exec_lo
	v_cmpx_ne_u16_e32 0x80, v30
	s_cbranch_execz .LBB458_1143
; %bb.1138:                             ;   in Loop: Header=BB458_8 Depth=1
	v_bfe_u32 v30, v29, 16, 7
	v_mov_b32_e32 v18, 0x7f800001
	s_mov_b32 s19, exec_lo
	s_delay_alu instid0(VALU_DEP_2)
	v_cmpx_ne_u32_e32 0x7f, v30
	s_cbranch_execz .LBB458_1142
; %bb.1139:                             ;   in Loop: Header=BB458_8 Depth=1
	v_and_b32_e32 v18, 7, v97
	v_lshrrev_b32_e32 v98, 3, v30
	v_cmp_gt_u32_e64 s1, 8, v30
	s_delay_alu instid0(VALU_DEP_3) | instskip(NEXT) | instid1(VALU_DEP_2)
	v_dual_mov_b32 v31, v19 :: v_dual_mov_b32 v30, v18
	s_and_saveexec_b32 s20, s1
; %bb.1140:                             ;   in Loop: Header=BB458_8 Depth=1
	v_clz_i32_u32_e32 v30, v18
	s_delay_alu instid0(VALU_DEP_1) | instskip(NEXT) | instid1(VALU_DEP_1)
	v_min_u32_e32 v98, 32, v30
	v_subrev_nc_u32_e32 v30, 28, v98
	v_sub_nc_u32_e32 v98, 29, v98
	s_delay_alu instid0(VALU_DEP_2) | instskip(NEXT) | instid1(VALU_DEP_1)
	v_lshlrev_b64 v[30:31], v30, v[18:19]
	v_and_b32_e32 v30, 7, v30
; %bb.1141:                             ;   in Loop: Header=BB458_8 Depth=1
	s_or_b32 exec_lo, exec_lo, s20
	v_lshlrev_b32_e32 v18, 24, v97
	s_delay_alu instid0(VALU_DEP_2) | instskip(SKIP_1) | instid1(VALU_DEP_3)
	v_lshlrev_b32_e32 v30, 20, v30
	v_lshl_add_u32 v31, v98, 23, 0x3c000000
	v_and_b32_e32 v18, 0x80000000, v18
	s_delay_alu instid0(VALU_DEP_1)
	v_or3_b32 v18, v30, v18, v31
.LBB458_1142:                           ;   in Loop: Header=BB458_8 Depth=1
	s_or_b32 exec_lo, exec_lo, s19
.LBB458_1143:                           ;   in Loop: Header=BB458_8 Depth=1
	s_delay_alu instid0(SALU_CYCLE_1)
	s_or_b32 exec_lo, exec_lo, s18
.LBB458_1144:                           ;   in Loop: Header=BB458_8 Depth=1
	s_delay_alu instid0(SALU_CYCLE_1) | instskip(NEXT) | instid1(VALU_DEP_1)
	s_or_b32 exec_lo, exec_lo, s2
	v_mul_f32_e32 v18, v104, v18
	s_delay_alu instid0(VALU_DEP_1) | instskip(NEXT) | instid1(VALU_DEP_1)
	v_and_b32_e32 v30, 0x7f800000, v18
	v_cmp_ne_u32_e64 s1, 0x7f800000, v30
                                        ; implicit-def: $vgpr30
	s_delay_alu instid0(VALU_DEP_1) | instskip(NEXT) | instid1(SALU_CYCLE_1)
	s_and_saveexec_b32 s2, s1
	s_xor_b32 s1, exec_lo, s2
; %bb.1145:                             ;   in Loop: Header=BB458_8 Depth=1
	v_bfe_u32 v30, v18, 16, 1
	s_delay_alu instid0(VALU_DEP_1)
	v_add3_u32 v30, v18, v30, 0x7fff
                                        ; implicit-def: $vgpr18
; %bb.1146:                             ;   in Loop: Header=BB458_8 Depth=1
	s_and_not1_saveexec_b32 s2, s1
; %bb.1147:                             ;   in Loop: Header=BB458_8 Depth=1
	v_and_b32_e32 v30, 0xffff, v18
	v_or_b32_e32 v31, 0x10000, v18
	s_delay_alu instid0(VALU_DEP_2) | instskip(NEXT) | instid1(VALU_DEP_1)
	v_cmp_eq_u32_e64 s1, 0, v30
	v_cndmask_b32_e64 v30, v31, v18, s1
; %bb.1148:                             ;   in Loop: Header=BB458_8 Depth=1
	s_or_b32 exec_lo, exec_lo, s2
	v_mov_b32_e32 v18, 0
	s_mov_b32 s2, exec_lo
	v_cmpx_lt_u64_e64 s[8:9], v[28:29]
	s_cbranch_execz .LBB458_1156
; %bb.1149:                             ;   in Loop: Header=BB458_8 Depth=1
	v_lshrrev_b32_e32 v31, 24, v29
	v_bfrev_b32_e32 v18, 1
	s_mov_b32 s18, exec_lo
	s_delay_alu instid0(VALU_DEP_2)
	v_cmpx_ne_u32_e32 0x80, v31
	s_cbranch_execz .LBB458_1155
; %bb.1150:                             ;   in Loop: Header=BB458_8 Depth=1
	v_bfe_u32 v28, v29, 24, 7
	v_mov_b32_e32 v18, 0x7f800001
	s_mov_b32 s19, exec_lo
	s_delay_alu instid0(VALU_DEP_2)
	v_cmpx_ne_u32_e32 0x7f, v28
	s_cbranch_execz .LBB458_1154
; %bb.1151:                             ;   in Loop: Header=BB458_8 Depth=1
	v_and_b32_e32 v18, 7, v31
	v_lshrrev_b32_e32 v97, 3, v28
	v_cmp_gt_u32_e64 s1, 8, v28
	s_delay_alu instid0(VALU_DEP_3) | instskip(NEXT) | instid1(VALU_DEP_2)
	v_dual_mov_b32 v29, v19 :: v_dual_mov_b32 v28, v18
	s_and_saveexec_b32 s20, s1
; %bb.1152:                             ;   in Loop: Header=BB458_8 Depth=1
	v_clz_i32_u32_e32 v28, v18
	s_delay_alu instid0(VALU_DEP_1) | instskip(NEXT) | instid1(VALU_DEP_1)
	v_min_u32_e32 v97, 32, v28
	v_subrev_nc_u32_e32 v28, 28, v97
	v_sub_nc_u32_e32 v97, 29, v97
	s_delay_alu instid0(VALU_DEP_2) | instskip(NEXT) | instid1(VALU_DEP_1)
	v_lshlrev_b64 v[28:29], v28, v[18:19]
	v_and_b32_e32 v28, 7, v28
; %bb.1153:                             ;   in Loop: Header=BB458_8 Depth=1
	s_or_b32 exec_lo, exec_lo, s20
	v_lshlrev_b32_e32 v18, 24, v31
	s_delay_alu instid0(VALU_DEP_2) | instskip(SKIP_1) | instid1(VALU_DEP_3)
	v_lshlrev_b32_e32 v28, 20, v28
	v_lshl_add_u32 v29, v97, 23, 0x3c000000
	v_and_b32_e32 v18, 0x80000000, v18
	s_delay_alu instid0(VALU_DEP_1)
	v_or3_b32 v18, v28, v18, v29
.LBB458_1154:                           ;   in Loop: Header=BB458_8 Depth=1
	s_or_b32 exec_lo, exec_lo, s19
.LBB458_1155:                           ;   in Loop: Header=BB458_8 Depth=1
	s_delay_alu instid0(SALU_CYCLE_1)
	s_or_b32 exec_lo, exec_lo, s18
.LBB458_1156:                           ;   in Loop: Header=BB458_8 Depth=1
	s_delay_alu instid0(SALU_CYCLE_1) | instskip(NEXT) | instid1(VALU_DEP_1)
	s_or_b32 exec_lo, exec_lo, s2
	v_mul_f32_e32 v28, v104, v18
	s_delay_alu instid0(VALU_DEP_1) | instskip(NEXT) | instid1(VALU_DEP_1)
	v_and_b32_e32 v18, 0x7f800000, v28
	v_cmp_ne_u32_e64 s1, 0x7f800000, v18
                                        ; implicit-def: $vgpr18
	s_delay_alu instid0(VALU_DEP_1) | instskip(NEXT) | instid1(SALU_CYCLE_1)
	s_and_saveexec_b32 s2, s1
	s_xor_b32 s1, exec_lo, s2
; %bb.1157:                             ;   in Loop: Header=BB458_8 Depth=1
	v_bfe_u32 v18, v28, 16, 1
	s_delay_alu instid0(VALU_DEP_1)
	v_add3_u32 v18, v28, v18, 0x7fff
                                        ; implicit-def: $vgpr28
; %bb.1158:                             ;   in Loop: Header=BB458_8 Depth=1
	s_and_not1_saveexec_b32 s2, s1
	s_cbranch_execz .LBB458_7
; %bb.1159:                             ;   in Loop: Header=BB458_8 Depth=1
	v_and_b32_e32 v18, 0xffff, v28
	v_or_b32_e32 v29, 0x10000, v28
	s_delay_alu instid0(VALU_DEP_2) | instskip(NEXT) | instid1(VALU_DEP_1)
	v_cmp_eq_u32_e64 s1, 0, v18
	v_cndmask_b32_e64 v18, v29, v28, s1
	s_branch .LBB458_7
.LBB458_1160:
	s_or_b32 exec_lo, exec_lo, s11
	s_clause 0xe
	scratch_load_b32 v12, off, s32 offset:436
	scratch_load_b32 v15, off, s32 offset:440
	;; [unrolled: 1-line block ×3, first 2 shown]
	scratch_load_b64 v[26:27], off, s32 offset:448
	scratch_load_b32 v11, off, s32 offset:456
	scratch_load_b32 v10, off, s32 offset:460
	;; [unrolled: 1-line block ×7, first 2 shown]
	scratch_load_b64 v[49:50], off, s32 offset:484
	scratch_load_b32 v23, off, s32 offset:492
	scratch_load_b32 v36, off, s32 offset:496
	scratch_load_b32 v20, off, s32 offset:500
.LBB458_1161:
	s_or_b32 exec_lo, exec_lo, s15
	v_mbcnt_lo_u32_b32 v0, -1, 0
	s_lshr_b32 s8, s13, 16
	s_delay_alu instid0(VALU_DEP_1) | instskip(SKIP_2) | instid1(VALU_DEP_3)
	v_xor_b32_e32 v1, 16, v0
	v_xor_b32_e32 v3, 8, v0
	;; [unrolled: 1-line block ×3, first 2 shown]
	v_cmp_gt_i32_e32 vcc_lo, 32, v1
	v_cndmask_b32_e32 v1, v0, v1, vcc_lo
	s_delay_alu instid0(VALU_DEP_4) | instskip(NEXT) | instid1(VALU_DEP_2)
	v_cmp_gt_i32_e32 vcc_lo, 32, v3
	v_dual_cndmask_b32 v3, v0, v3 :: v_dual_lshlrev_b32 v2, 2, v1
	v_cmp_gt_i32_e32 vcc_lo, 32, v5
	ds_bpermute_b32 v1, v2, v88
	v_dual_max_f32 v4, v88, v88 :: v_dual_lshlrev_b32 v3, 2, v3
	v_cndmask_b32_e32 v5, v0, v5, vcc_lo
	s_waitcnt lgkmcnt(0)
	v_max_f32_e32 v1, v1, v1
	s_delay_alu instid0(VALU_DEP_1) | instskip(SKIP_3) | instid1(VALU_DEP_1)
	v_max_f32_e32 v1, v4, v1
	ds_bpermute_b32 v4, v3, v1
	s_waitcnt lgkmcnt(0)
	v_max_f32_e32 v6, v4, v4
	v_dual_max_f32 v1, v1, v6 :: v_dual_lshlrev_b32 v4, 2, v5
	v_xor_b32_e32 v6, 2, v0
	ds_bpermute_b32 v5, v4, v1
	v_cmp_gt_i32_e32 vcc_lo, 32, v6
	s_waitcnt lgkmcnt(0)
	v_dual_cndmask_b32 v6, v0, v6 :: v_dual_max_f32 v5, v5, v5
	s_delay_alu instid0(VALU_DEP_1) | instskip(NEXT) | instid1(VALU_DEP_2)
	v_max_f32_e32 v1, v1, v5
	v_lshlrev_b32_e32 v19, 2, v6
	v_xor_b32_e32 v6, 1, v0
	s_delay_alu instid0(VALU_DEP_1) | instskip(SKIP_4) | instid1(VALU_DEP_1)
	v_cmp_gt_i32_e32 vcc_lo, 32, v6
	v_cndmask_b32_e32 v6, v0, v6, vcc_lo
	ds_bpermute_b32 v5, v19, v1
	s_waitcnt lgkmcnt(0)
	v_dual_max_f32 v5, v5, v5 :: v_dual_lshlrev_b32 v18, 2, v6
	v_max_f32_e32 v0, v1, v5
	scratch_load_b32 v5, off, s32 offset:420 ; 4-byte Folded Reload
	ds_bpermute_b32 v1, v18, v0
	s_waitcnt vmcnt(0)
	v_cmp_eq_u32_e32 vcc_lo, 0, v5
	scratch_load_b32 v5, off, s32 offset:424 ; 4-byte Folded Reload
	s_waitcnt vmcnt(0)
	v_lshlrev_b32_e32 v5, 2, v5
	s_and_saveexec_b32 s1, vcc_lo
	s_cbranch_execz .LBB458_1163
; %bb.1162:
	s_waitcnt lgkmcnt(0)
	v_dual_max_f32 v1, v1, v1 :: v_dual_max_f32 v0, v0, v0
	s_delay_alu instid0(VALU_DEP_1)
	v_max_f32_e32 v0, v0, v1
	ds_store_b32 v5, v0 offset:192
.LBB458_1163:
	s_or_b32 exec_lo, exec_lo, s1
	scratch_load_b32 v0, off, s32 offset:420 ; 4-byte Folded Reload
	s_waitcnt vmcnt(0) lgkmcnt(0)
	s_waitcnt_vscnt null, 0x0
	s_barrier
	buffer_gl0_inv
	v_cmp_gt_u32_e64 s1, 4, v0
	v_mov_b32_e32 v0, 0xff7fffff
	s_delay_alu instid0(VALU_DEP_2)
	s_and_saveexec_b32 s2, s1
	s_cbranch_execz .LBB458_1165
; %bb.1164:
	ds_load_b32 v0, v20 offset:192
.LBB458_1165:
	s_or_b32 exec_lo, exec_lo, s2
	s_waitcnt lgkmcnt(0)
	ds_bpermute_b32 v1, v19, v0
	v_max_f32_e32 v0, v0, v0
	v_subrev_nc_u32_e32 v7, s3, v37
	s_waitcnt lgkmcnt(0)
	v_dual_mov_b32 v6, 0 :: v_dual_max_f32 v1, v1, v1
	s_delay_alu instid0(VALU_DEP_1) | instskip(SKIP_3) | instid1(VALU_DEP_1)
	v_max_f32_e32 v0, v0, v1
	ds_bpermute_b32 v1, v18, v0
	s_waitcnt lgkmcnt(0)
	v_max_f32_e32 v1, v1, v1
	v_max_f32_e32 v0, v0, v1
	v_lshl_add_u32 v1, v7, 5, s17
	ds_bpermute_b32 v0, v6, v0
	v_min_i32_e32 v1, v1, v35
	s_delay_alu instid0(VALU_DEP_1) | instskip(NEXT) | instid1(VALU_DEP_1)
	v_subrev_nc_u32_e32 v1, s17, v1
	v_cmp_lt_i32_e64 s2, v12, v1
	s_delay_alu instid0(VALU_DEP_1)
	s_and_saveexec_b32 s9, s2
	s_cbranch_execz .LBB458_1169
; %bb.1166:
	s_getpc_b64 s[18:19]
	s_add_u32 s18, s18, llvm.amdgcn.dynlds.offset.table@rel32@lo+4
	s_addc_u32 s19, s19, llvm.amdgcn.dynlds.offset.table@rel32@hi+12
	s_ashr_i32 s11, s10, 31
	v_mov_b32_e32 v6, 0
	s_lshl_b64 s[20:21], s[10:11], 2
	v_mov_b32_e32 v8, v12
	s_add_u32 s18, s20, s18
	s_addc_u32 s19, s21, s19
	s_mov_b32 s11, 0
	s_load_b32 s3, s[18:19], 0x0
	s_waitcnt lgkmcnt(0)
	v_lshl_add_u32 v7, v12, 2, s3
	.p2align	6
.LBB458_1167:                           ; =>This Inner Loop Header: Depth=1
	ds_load_b32 v9, v7
	v_add_nc_u32_e32 v8, 0x80, v8
	s_delay_alu instid0(VALU_DEP_1) | instskip(NEXT) | instid1(VALU_DEP_1)
	v_cmp_ge_i32_e64 s3, v8, v1
	s_or_b32 s11, s3, s11
	s_waitcnt lgkmcnt(0)
	v_sub_f32_e32 v9, v9, v0
	s_delay_alu instid0(VALU_DEP_1) | instskip(NEXT) | instid1(VALU_DEP_1)
	v_mul_f32_e32 v9, 0x3fb8aa3b, v9
	v_exp_f32_e32 v9, v9
	ds_store_b32 v7, v9
	v_dual_add_f32 v6, v6, v9 :: v_dual_add_nc_u32 v7, 0x200, v7
	s_and_not1_b32 exec_lo, exec_lo, s11
	s_cbranch_execnz .LBB458_1167
; %bb.1168:
	s_or_b32 exec_lo, exec_lo, s11
.LBB458_1169:
	s_delay_alu instid0(SALU_CYCLE_1)
	s_or_b32 exec_lo, exec_lo, s9
	ds_bpermute_b32 v2, v2, v6
	s_waitcnt lgkmcnt(0)
	v_add_f32_e32 v2, v6, v2
	ds_bpermute_b32 v3, v3, v2
	s_waitcnt lgkmcnt(0)
	v_add_f32_e32 v2, v2, v3
	;; [unrolled: 3-line block ×5, first 2 shown]
	s_and_saveexec_b32 s3, vcc_lo
	s_cbranch_execz .LBB458_1171
; %bb.1170:
	ds_store_b32 v5, v2 offset:208
.LBB458_1171:
	s_or_b32 exec_lo, exec_lo, s3
	s_waitcnt lgkmcnt(0)
	s_barrier
	buffer_gl0_inv
	s_and_saveexec_b32 s3, s1
	s_cbranch_execz .LBB458_1173
; %bb.1172:
	ds_load_b32 v2, v20 offset:208
.LBB458_1173:
	s_or_b32 exec_lo, exec_lo, s3
	s_waitcnt lgkmcnt(0)
	ds_bpermute_b32 v3, v19, v2
	s_waitcnt lgkmcnt(0)
	v_add_f32_e32 v2, v2, v3
	ds_bpermute_b32 v3, v18, v2
	s_waitcnt lgkmcnt(0)
	v_dual_add_f32 v2, v2, v3 :: v_dual_mov_b32 v3, 0
	ds_bpermute_b32 v2, v3, v2
	s_and_saveexec_b32 s1, s2
	s_cbranch_execz .LBB458_1176
; %bb.1174:
	s_waitcnt lgkmcnt(0)
	v_add_f32_e32 v4, 0x358637bd, v2
	s_getpc_b64 s[2:3]
	s_add_u32 s2, s2, llvm.amdgcn.dynlds.offset.table@rel32@lo+4
	s_addc_u32 s3, s3, llvm.amdgcn.dynlds.offset.table@rel32@hi+12
	s_ashr_i32 s11, s10, 31
	s_delay_alu instid0(SALU_CYCLE_1) | instskip(SKIP_4) | instid1(VALU_DEP_1)
	s_lshl_b64 s[18:19], s[10:11], 2
	v_div_scale_f32 v3, null, v4, v4, 1.0
	s_add_u32 s2, s18, s2
	s_addc_u32 s3, s19, s3
	s_load_b32 s2, s[2:3], 0x0
	v_rcp_f32_e32 v5, v3
	s_waitcnt_depctr 0xfff
	v_fma_f32 v6, -v3, v5, 1.0
	s_delay_alu instid0(VALU_DEP_1) | instskip(SKIP_1) | instid1(VALU_DEP_1)
	v_fmac_f32_e32 v5, v6, v5
	v_div_scale_f32 v7, vcc_lo, 1.0, v4, 1.0
	v_mul_f32_e32 v6, v7, v5
	s_delay_alu instid0(VALU_DEP_1) | instskip(NEXT) | instid1(VALU_DEP_1)
	v_fma_f32 v8, -v3, v6, v7
	v_fmac_f32_e32 v6, v8, v5
	s_delay_alu instid0(VALU_DEP_1) | instskip(NEXT) | instid1(VALU_DEP_1)
	v_fma_f32 v3, -v3, v6, v7
	v_div_fmas_f32 v5, v3, v5, v6
	s_waitcnt lgkmcnt(0)
	v_lshl_add_u32 v3, v12, 2, s2
	s_mov_b32 s2, 0
	s_delay_alu instid0(VALU_DEP_2)
	v_div_fixup_f32 v4, v5, v4, 1.0
	v_mov_b32_e32 v5, v12
.LBB458_1175:                           ; =>This Inner Loop Header: Depth=1
	ds_load_b32 v6, v3
	s_waitcnt lgkmcnt(0)
	v_dual_mul_f32 v6, v4, v6 :: v_dual_add_nc_u32 v5, 0x80, v5
	s_delay_alu instid0(VALU_DEP_1) | instskip(SKIP_3) | instid1(SALU_CYCLE_1)
	v_cmp_ge_i32_e32 vcc_lo, v5, v1
	ds_store_b32 v3, v6
	v_add_nc_u32_e32 v3, 0x200, v3
	s_or_b32 s2, vcc_lo, s2
	s_and_not1_b32 exec_lo, exec_lo, s2
	s_cbranch_execnz .LBB458_1175
.LBB458_1176:
	s_or_b32 exec_lo, exec_lo, s1
	v_cmp_ne_u16_e64 s1, s8, 0
	s_mov_b32 s2, exec_lo
	s_waitcnt lgkmcnt(0)
	s_barrier
	buffer_gl0_inv
	s_cmp_lg_u32 s1, 0
	s_addc_u32 s1, s7, 0
	v_cmpx_eq_u32_e32 0, v12
	s_cbranch_execz .LBB458_1178
; %bb.1177:
	s_mul_i32 s3, s1, s4
	s_mul_i32 s8, s1, s12
	;; [unrolled: 1-line block ×3, first 2 shown]
	s_ashr_i32 s9, s8, 31
	s_ashr_i32 s15, s14, 31
	;; [unrolled: 1-line block ×3, first 2 shown]
	s_lshl_b64 s[8:9], s[8:9], 2
	s_lshl_b64 s[18:19], s[14:15], 2
	;; [unrolled: 1-line block ×3, first 2 shown]
	s_add_u32 s3, s18, s8
	s_addc_u32 s7, s19, s9
	s_add_u32 s3, s3, s12
	s_addc_u32 s7, s7, s13
	v_add_co_u32 v3, vcc_lo, s3, v32
	v_add_co_ci_u32_e32 v4, vcc_lo, s7, v30, vcc_lo
	v_add_co_u32 v5, vcc_lo, s3, v29
	v_add_co_ci_u32_e32 v6, vcc_lo, s7, v28, vcc_lo
	flat_store_b32 v[3:4], v0
	flat_store_b32 v[5:6], v2
.LBB458_1178:
	s_or_b32 exec_lo, exec_lo, s2
                                        ; implicit-def: $sgpr2
	s_and_saveexec_b32 s3, s0
	s_delay_alu instid0(SALU_CYCLE_1)
	s_xor_b32 s0, exec_lo, s3
; %bb.1179:
	s_ashr_i32 s11, s10, 31
	s_mov_b32 s2, 0
                                        ; implicit-def: $vgpr35
                                        ; implicit-def: $vgpr34
                                        ; implicit-def: $vgpr37
                                        ; implicit-def: $vgpr16
                                        ; implicit-def: $vgpr10
                                        ; implicit-def: $vgpr11
                                        ; implicit-def: $vgpr14
                                        ; implicit-def: $vgpr15
                                        ; implicit-def: $vgpr22
                                        ; implicit-def: $vgpr26_vgpr27
                                        ; implicit-def: $vgpr23
                                        ; implicit-def: $vgpr36
                                        ; implicit-def: $vgpr49_vgpr50
; %bb.1180:
	s_or_saveexec_b32 s7, s0
	v_dual_mov_b32 v33, s2 :: v_dual_mov_b32 v0, s10
	v_dual_mov_b32 v1, s11 :: v_dual_mov_b32 v104, v12
	v_dual_mov_b32 v39, s2 :: v_dual_and_b32 v20, 3, v12
	v_dual_mov_b32 v48, s2 :: v_dual_mov_b32 v31, s2
	v_dual_mov_b32 v38, s2 :: v_dual_mov_b32 v29, s2
	;; [unrolled: 1-line block ×4, first 2 shown]
	v_mov_b32_e32 v28, s2
	v_mov_b32_e32 v24, s2
	s_xor_b32 exec_lo, exec_lo, s7
	s_cbranch_execz .LBB458_2776
; %bb.1181:
	v_dual_mov_b32 v21, 0 :: v_dual_lshlrev_b32 v0, 3, v104
	v_add_co_u32 v3, vcc_lo, v10, v23
	v_add_co_ci_u32_e32 v4, vcc_lo, v11, v36, vcc_lo
	s_delay_alu instid0(VALU_DEP_3)
	v_dual_mov_b32 v10, 0 :: v_dual_and_b32 v5, 0xf8, v0
	flat_load_b32 v26, v[26:27]
	s_getpc_b64 s[2:3]
	s_add_u32 s2, s2, llvm.amdgcn.dynlds.offset.table@rel32@lo+4
	s_addc_u32 s3, s3, llvm.amdgcn.dynlds.offset.table@rel32@hi+12
	s_ashr_i32 s11, s10, 31
	v_add_co_u32 v11, vcc_lo, v3, v5
	scratch_load_b32 v5, off, s32 offset:424 ; 4-byte Folded Reload
	s_lshl_b64 s[8:9], s[10:11], 2
	v_dual_mov_b32 v25, 0 :: v_dual_and_b32 v2, 24, v0
	s_add_u32 s2, s8, s2
	s_addc_u32 s3, s9, s3
	v_lshlrev_b64 v[0:1], 2, v[16:17]
	s_load_b32 s0, s[2:3], 0x0
	v_dual_mov_b32 v28, 0 :: v_dual_lshlrev_b32 v3, 5, v20
	v_add_co_ci_u32_e32 v12, vcc_lo, 0, v4, vcc_lo
	s_delay_alu instid0(VALU_DEP_3) | instskip(NEXT) | instid1(VALU_DEP_4)
	v_add_co_u32 v0, vcc_lo, v49, v0
	v_add_co_ci_u32_e32 v1, vcc_lo, v50, v1, vcc_lo
	v_dual_mov_b32 v24, 0 :: v_dual_add_nc_u32 v27, -1, v34
	s_delay_alu instid0(VALU_DEP_3) | instskip(NEXT) | instid1(VALU_DEP_3)
	v_add_co_u32 v13, vcc_lo, v14, v0
	v_add_co_ci_u32_e32 v14, vcc_lo, v15, v1, vcc_lo
	v_dual_mov_b32 v29, 0 :: v_dual_mov_b32 v32, 0
	v_dual_mov_b32 v31, 0 :: v_dual_mov_b32 v38, 0
	;; [unrolled: 1-line block ×3, first 2 shown]
	v_mov_b32_e32 v33, 0
	s_mov_b32 s2, -1
	s_mov_b32 s3, 0xffffff
	s_mov_b32 s8, 0
	v_mov_b32_e32 v30, 0
	s_waitcnt vmcnt(0)
	v_lshl_add_u32 v4, v5, 5, s17
	v_lshl_or_b32 v3, v5, 7, v3
	s_delay_alu instid0(VALU_DEP_2) | instskip(SKIP_1) | instid1(VALU_DEP_2)
	v_add3_u32 v15, v4, v2, 7
	s_waitcnt lgkmcnt(0)
	v_add_nc_u32_e32 v17, s0, v3
	s_branch .LBB458_1183
.LBB458_1182:                           ;   in Loop: Header=BB458_1183 Depth=1
	s_or_b32 exec_lo, exec_lo, s0
	v_and_b32_e32 v71, 0xffff0000, v58
	v_and_b32_e32 v70, 0xffff0000, v76
	;; [unrolled: 1-line block ×8, first 2 shown]
	s_delay_alu instid0(VALU_DEP_4)
	v_dual_add_f32 v69, v70, v69 :: v_dual_and_b32 v36, 0xffff0000, v36
	v_and_b32_e32 v67, 0xffff0000, v75
	v_and_b32_e32 v6, 0xffff0000, v6
	;; [unrolled: 1-line block ×5, first 2 shown]
	s_delay_alu instid0(VALU_DEP_4) | instskip(SKIP_1) | instid1(VALU_DEP_4)
	v_dual_add_f32 v6, v6, v7 :: v_dual_and_b32 v1, 0xffff0000, v1
	v_add_f32_e32 v7, v68, v67
	v_dual_add_f32 v4, v4, v5 :: v_dual_and_b32 v67, 0xffff0000, v78
	v_dual_add_f32 v34, v82, v34 :: v_dual_and_b32 v81, 0xffff0000, v73
	s_delay_alu instid0(VALU_DEP_3) | instskip(SKIP_3) | instid1(VALU_DEP_4)
	v_add_f32_e32 v6, v6, v7
	v_and_b32_e32 v68, 0xffff0000, v79
	v_and_b32_e32 v70, 0xffff0000, v62
	;; [unrolled: 1-line block ×3, first 2 shown]
	v_dual_add_f32 v6, v6, v69 :: v_dual_and_b32 v3, 0xffff0000, v3
	v_and_b32_e32 v69, 0xffff0000, v59
	v_dual_add_f32 v67, v67, v68 :: v_dual_and_b32 v68, 0xffff0000, v61
	v_and_b32_e32 v2, 0xffff0000, v2
	v_and_b32_e32 v50, 0xffff0000, v50
	s_delay_alu instid0(VALU_DEP_3) | instskip(NEXT) | instid1(VALU_DEP_4)
	v_dual_add_f32 v6, v6, v67 :: v_dual_and_b32 v49, 0xffff0000, v49
	v_dual_add_f32 v69, v71, v69 :: v_dual_add_f32 v68, v80, v68
	v_and_b32_e32 v7, 0xffff0000, v63
	s_delay_alu instid0(VALU_DEP_3) | instskip(SKIP_2) | instid1(VALU_DEP_4)
	v_dual_add_f32 v24, v24, v6 :: v_dual_and_b32 v71, 0xffff0000, v44
	v_and_b32_e32 v80, 0xffff0000, v43
	v_and_b32_e32 v67, 0xffff0000, v72
	v_dual_add_f32 v68, v69, v68 :: v_dual_add_f32 v7, v70, v7
	s_delay_alu instid0(VALU_DEP_3) | instskip(SKIP_2) | instid1(VALU_DEP_4)
	v_dual_add_f32 v5, v23, v36 :: v_dual_add_f32 v70, v80, v71
	v_and_b32_e32 v23, 0xffff0000, v183
	v_and_b32_e32 v36, 0xffff0000, v167
	v_add_f32_e32 v7, v68, v7
	s_delay_alu instid0(VALU_DEP_4)
	v_add_f32_e32 v4, v4, v5
	v_add_f32_e32 v34, v70, v34
	v_and_b32_e32 v70, 0xffff0000, v57
	v_add_f32_e32 v67, v67, v81
	v_and_b32_e32 v71, 0xffff0000, v46
	v_and_b32_e32 v68, 0xffff0000, v56
	v_dual_add_f32 v0, v0, v1 :: v_dual_and_b32 v69, 0xffff0000, v47
	s_delay_alu instid0(VALU_DEP_4) | instskip(SKIP_1) | instid1(VALU_DEP_3)
	v_dual_add_f32 v6, v7, v67 :: v_dual_and_b32 v67, 0xffff0000, v177
	v_dual_add_f32 v1, v2, v3 :: v_dual_and_b32 v52, 0xffff0000, v52
	v_add_f32_e32 v69, v71, v69
	s_delay_alu instid0(VALU_DEP_3) | instskip(SKIP_1) | instid1(VALU_DEP_3)
	v_dual_add_f32 v25, v25, v6 :: v_dual_and_b32 v2, 0xffff0000, v9
	v_and_b32_e32 v9, 0xffff0000, v65
	v_dual_add_f32 v7, v34, v69 :: v_dual_and_b32 v8, 0xffff0000, v8
	v_add_f32_e32 v34, v68, v70
	v_and_b32_e32 v68, 0xffff0000, v161
	v_and_b32_e32 v70, 0xffff0000, v129
	s_delay_alu instid0(VALU_DEP_4) | instskip(NEXT) | instid1(VALU_DEP_4)
	v_dual_add_f32 v8, v8, v49 :: v_dual_and_b32 v51, 0xffff0000, v51
	v_dual_add_f32 v6, v7, v34 :: v_dual_and_b32 v7, 0xffff0000, v40
	v_dual_add_f32 v0, v0, v1 :: v_dual_add_nc_u32 v15, 0x80, v15
	v_add_nc_u32_e32 v16, 4, v16
	s_delay_alu instid0(VALU_DEP_3) | instskip(SKIP_2) | instid1(VALU_DEP_4)
	v_dual_add_f32 v28, v28, v6 :: v_dual_add_f32 v5, v23, v7
	v_and_b32_e32 v7, 0xffff0000, v178
	v_add_co_u32 v13, s0, v13, 16
	v_cmp_ge_i32_e32 vcc_lo, v16, v37
	s_delay_alu instid0(VALU_DEP_4) | instskip(NEXT) | instid1(VALU_DEP_4)
	v_dual_add_f32 v4, v4, v5 :: v_dual_and_b32 v23, 0xffff0000, v176
	v_dual_add_f32 v7, v67, v7 :: v_dual_and_b32 v6, 0xffff0000, v41
	v_add_co_ci_u32_e64 v14, s0, 0, v14, s0
	s_delay_alu instid0(VALU_DEP_3) | instskip(SKIP_3) | instid1(VALU_DEP_3)
	v_dual_add_f32 v23, v36, v23 :: v_dual_and_b32 v34, 0xffff0000, v42
	v_and_b32_e32 v36, 0xffff0000, v182
	s_or_b32 s8, vcc_lo, s8
	v_add_f32_e32 v49, v50, v51
	v_add_f32_e32 v7, v23, v7
	v_dual_add_f32 v5, v6, v34 :: v_dual_and_b32 v50, 0xffff0000, v64
	v_add_nc_u32_e32 v17, 0x200, v17
	s_delay_alu instid0(VALU_DEP_4) | instskip(NEXT) | instid1(VALU_DEP_3)
	v_add_f32_e32 v3, v8, v49
	v_add_f32_e32 v4, v4, v5
	v_and_b32_e32 v5, 0xffff0000, v181
	v_dual_add_f32 v1, v2, v50 :: v_dual_and_b32 v34, 0xffff0000, v179
	s_delay_alu instid0(VALU_DEP_3) | instskip(NEXT) | instid1(VALU_DEP_3)
	v_dual_add_f32 v29, v29, v4 :: v_dual_and_b32 v2, 0xffff0000, v66
	v_add_f32_e32 v5, v5, v36
	v_and_b32_e32 v23, 0xffff0000, v162
	v_and_b32_e32 v6, 0xffff0000, v180
	s_delay_alu instid0(VALU_DEP_4) | instskip(NEXT) | instid1(VALU_DEP_2)
	v_dual_add_f32 v0, v0, v1 :: v_dual_add_f32 v1, v9, v2
	v_dual_add_f32 v23, v68, v23 :: v_dual_add_f32 v6, v34, v6
	v_and_b32_e32 v68, 0xffff0000, v166
	s_delay_alu instid0(VALU_DEP_3) | instskip(NEXT) | instid1(VALU_DEP_3)
	v_add_f32_e32 v0, v0, v1
	v_dual_add_f32 v6, v7, v6 :: v_dual_and_b32 v7, 0xffff0000, v164
	s_delay_alu instid0(VALU_DEP_1) | instskip(SKIP_2) | instid1(VALU_DEP_3)
	v_dual_add_f32 v21, v21, v0 :: v_dual_add_f32 v4, v6, v5
	v_and_b32_e32 v5, 0xffff0000, v165
	v_and_b32_e32 v36, 0xffff0000, v163
	v_dual_add_f32 v30, v30, v4 :: v_dual_and_b32 v69, 0xffff0000, v119
	s_delay_alu instid0(VALU_DEP_3) | instskip(NEXT) | instid1(VALU_DEP_3)
	v_add_f32_e32 v5, v5, v68
	v_dual_add_f32 v7, v36, v7 :: v_dual_and_b32 v34, 0xffff0000, v160
	v_and_b32_e32 v68, 0xffff0000, v150
	v_and_b32_e32 v36, 0xffff0000, v135
	;; [unrolled: 1-line block ×3, first 2 shown]
	s_delay_alu instid0(VALU_DEP_1) | instskip(NEXT) | instid1(VALU_DEP_1)
	v_add_f32_e32 v34, v67, v34
	v_dual_add_f32 v6, v34, v23 :: v_dual_and_b32 v23, 0xffff0000, v146
	s_delay_alu instid0(VALU_DEP_1) | instskip(NEXT) | instid1(VALU_DEP_1)
	v_dual_add_f32 v6, v6, v7 :: v_dual_and_b32 v7, 0xffff0000, v148
	v_dual_add_f32 v5, v6, v5 :: v_dual_and_b32 v34, 0xffff0000, v144
	s_delay_alu instid0(VALU_DEP_1) | instskip(NEXT) | instid1(VALU_DEP_2)
	v_add_f32_e32 v34, v36, v34
	v_dual_add_f32 v31, v31, v5 :: v_dual_and_b32 v36, 0xffff0000, v147
	v_and_b32_e32 v5, 0xffff0000, v133
	s_delay_alu instid0(VALU_DEP_2) | instskip(NEXT) | instid1(VALU_DEP_1)
	v_dual_add_f32 v7, v36, v7 :: v_dual_and_b32 v36, 0xffff0000, v128
	v_dual_add_f32 v36, v69, v36 :: v_dual_and_b32 v67, 0xffff0000, v145
	s_delay_alu instid0(VALU_DEP_1) | instskip(NEXT) | instid1(VALU_DEP_1)
	v_add_f32_e32 v23, v67, v23
	v_add_f32_e32 v23, v34, v23
	s_delay_alu instid0(VALU_DEP_1) | instskip(SKIP_1) | instid1(VALU_DEP_1)
	v_add_f32_e32 v7, v23, v7
	v_and_b32_e32 v67, 0xffff0000, v149
	v_add_f32_e32 v23, v67, v68
	v_and_b32_e32 v67, 0xffff0000, v132
	v_and_b32_e32 v68, 0xffff0000, v131
	;; [unrolled: 1-line block ×3, first 2 shown]
	s_delay_alu instid0(VALU_DEP_4) | instskip(NEXT) | instid1(VALU_DEP_2)
	v_dual_add_f32 v6, v7, v23 :: v_dual_and_b32 v23, 0xffff0000, v112
	v_dual_add_f32 v7, v68, v67 :: v_dual_add_f32 v34, v70, v34
	v_and_b32_e32 v70, 0xffff0000, v117
	s_delay_alu instid0(VALU_DEP_3) | instskip(SKIP_1) | instid1(VALU_DEP_4)
	v_add_f32_e32 v32, v32, v6
	v_and_b32_e32 v68, 0xffff0000, v87
	v_add_f32_e32 v4, v36, v34
	v_and_b32_e32 v34, 0xffff0000, v103
	s_delay_alu instid0(VALU_DEP_2) | instskip(NEXT) | instid1(VALU_DEP_2)
	v_dual_add_f32 v4, v4, v7 :: v_dual_and_b32 v7, 0xffff0000, v114
	v_dual_add_f32 v23, v34, v23 :: v_dual_and_b32 v36, 0xffff0000, v113
	v_and_b32_e32 v6, 0xffff0000, v134
	s_delay_alu instid0(VALU_DEP_2) | instskip(NEXT) | instid1(VALU_DEP_2)
	v_dual_add_f32 v7, v36, v7 :: v_dual_and_b32 v34, 0xffff0000, v98
	v_dual_add_f32 v5, v5, v6 :: v_dual_and_b32 v36, 0xffff0000, v96
	s_delay_alu instid0(VALU_DEP_2) | instskip(NEXT) | instid1(VALU_DEP_2)
	v_add_f32_e32 v7, v23, v7
	v_dual_add_f32 v4, v4, v5 :: v_dual_and_b32 v23, 0xffff0000, v100
	s_delay_alu instid0(VALU_DEP_3) | instskip(SKIP_2) | instid1(VALU_DEP_2)
	v_add_f32_e32 v36, v68, v36
	v_and_b32_e32 v68, 0xffff0000, v99
	v_and_b32_e32 v6, 0xffff0000, v116
	v_dual_add_f32 v38, v38, v4 :: v_dual_add_f32 v23, v68, v23
	v_and_b32_e32 v69, 0xffff0000, v97
	s_delay_alu instid0(VALU_DEP_1) | instskip(NEXT) | instid1(VALU_DEP_1)
	v_dual_add_f32 v34, v69, v34 :: v_dual_and_b32 v67, 0xffff0000, v115
	v_add_f32_e32 v6, v67, v6
	s_delay_alu instid0(VALU_DEP_2) | instskip(NEXT) | instid1(VALU_DEP_1)
	v_add_f32_e32 v5, v36, v34
	v_dual_add_f32 v6, v7, v6 :: v_dual_add_f32 v5, v5, v23
	v_and_b32_e32 v23, 0xffff0000, v53
	v_and_b32_e32 v67, 0xffff0000, v118
	s_delay_alu instid0(VALU_DEP_2) | instskip(NEXT) | instid1(VALU_DEP_2)
	v_dual_add_f32 v8, v52, v23 :: v_dual_and_b32 v53, 0xffff0000, v54
	v_dual_add_f32 v7, v70, v67 :: v_dual_and_b32 v34, 0xffff0000, v101
	s_delay_alu instid0(VALU_DEP_1) | instskip(NEXT) | instid1(VALU_DEP_1)
	v_dual_add_f32 v3, v3, v8 :: v_dual_add_f32 v2, v6, v7
	v_dual_add_f32 v39, v39, v2 :: v_dual_and_b32 v54, 0xffff0000, v55
	s_delay_alu instid0(VALU_DEP_1) | instskip(NEXT) | instid1(VALU_DEP_1)
	v_add_f32_e32 v8, v53, v54
	v_dual_add_f32 v3, v3, v8 :: v_dual_and_b32 v36, 0xffff0000, v102
	s_delay_alu instid0(VALU_DEP_1) | instskip(NEXT) | instid1(VALU_DEP_2)
	v_add_f32_e32 v23, v34, v36
	v_add_f32_e32 v33, v33, v3
	s_delay_alu instid0(VALU_DEP_2) | instskip(NEXT) | instid1(VALU_DEP_1)
	v_add_f32_e32 v4, v5, v23
	v_add_f32_e32 v48, v48, v4
	s_and_not1_b32 exec_lo, exec_lo, s8
	s_cbranch_execz .LBB458_2775
.LBB458_1183:                           ; =>This Inner Loop Header: Depth=1
	flat_load_b32 v52, v[13:14]
	ds_load_2addr_b64 v[6:9], v17 offset1:1
	ds_load_2addr_b64 v[0:3], v17 offset0:2 offset1:3
	s_mov_b32 s0, exec_lo
                                        ; implicit-def: $vgpr51
	s_waitcnt lgkmcnt(1)
	v_and_b32_e32 v4, 0x7f800000, v6
	s_delay_alu instid0(VALU_DEP_1)
	v_cmpx_ne_u32_e32 0x7f800000, v4
	s_xor_b32 s0, exec_lo, s0
; %bb.1184:                             ;   in Loop: Header=BB458_1183 Depth=1
	v_bfe_u32 v4, v6, 16, 1
	s_delay_alu instid0(VALU_DEP_1)
	v_add3_u32 v51, v6, v4, 0x7fff
; %bb.1185:                             ;   in Loop: Header=BB458_1183 Depth=1
	s_and_not1_saveexec_b32 s0, s0
; %bb.1186:                             ;   in Loop: Header=BB458_1183 Depth=1
	v_and_b32_e32 v4, 0xffff, v6
	v_or_b32_e32 v5, 0x10000, v6
	s_delay_alu instid0(VALU_DEP_2) | instskip(NEXT) | instid1(VALU_DEP_2)
	v_cmp_eq_u32_e32 vcc_lo, 0, v4
	v_cndmask_b32_e32 v51, v5, v6, vcc_lo
; %bb.1187:                             ;   in Loop: Header=BB458_1183 Depth=1
	s_or_b32 exec_lo, exec_lo, s0
	v_and_b32_e32 v4, 0x7f800000, v7
	s_mov_b32 s0, exec_lo
                                        ; implicit-def: $vgpr49
	s_delay_alu instid0(VALU_DEP_1)
	v_cmpx_ne_u32_e32 0x7f800000, v4
	s_xor_b32 s0, exec_lo, s0
; %bb.1188:                             ;   in Loop: Header=BB458_1183 Depth=1
	v_bfe_u32 v4, v7, 16, 1
	s_delay_alu instid0(VALU_DEP_1)
	v_add3_u32 v49, v7, v4, 0x7fff
; %bb.1189:                             ;   in Loop: Header=BB458_1183 Depth=1
	s_and_not1_saveexec_b32 s0, s0
; %bb.1190:                             ;   in Loop: Header=BB458_1183 Depth=1
	v_and_b32_e32 v4, 0xffff, v7
	v_or_b32_e32 v5, 0x10000, v7
	s_delay_alu instid0(VALU_DEP_2) | instskip(NEXT) | instid1(VALU_DEP_2)
	v_cmp_eq_u32_e32 vcc_lo, 0, v4
	v_cndmask_b32_e32 v49, v5, v7, vcc_lo
; %bb.1191:                             ;   in Loop: Header=BB458_1183 Depth=1
	s_or_b32 exec_lo, exec_lo, s0
	v_and_b32_e32 v4, 0x7f800000, v8
	s_mov_b32 s0, exec_lo
                                        ; implicit-def: $vgpr50
	s_delay_alu instid0(VALU_DEP_1)
	v_cmpx_ne_u32_e32 0x7f800000, v4
	s_xor_b32 s0, exec_lo, s0
; %bb.1192:                             ;   in Loop: Header=BB458_1183 Depth=1
	v_bfe_u32 v4, v8, 16, 1
	s_delay_alu instid0(VALU_DEP_1)
	v_add3_u32 v50, v8, v4, 0x7fff
; %bb.1193:                             ;   in Loop: Header=BB458_1183 Depth=1
	s_and_not1_saveexec_b32 s0, s0
; %bb.1194:                             ;   in Loop: Header=BB458_1183 Depth=1
	v_and_b32_e32 v4, 0xffff, v8
	v_or_b32_e32 v5, 0x10000, v8
	s_delay_alu instid0(VALU_DEP_2) | instskip(NEXT) | instid1(VALU_DEP_2)
	v_cmp_eq_u32_e32 vcc_lo, 0, v4
	v_cndmask_b32_e32 v50, v5, v8, vcc_lo
; %bb.1195:                             ;   in Loop: Header=BB458_1183 Depth=1
	s_or_b32 exec_lo, exec_lo, s0
	v_and_b32_e32 v4, 0x7f800000, v9
	s_mov_b32 s0, exec_lo
                                        ; implicit-def: $vgpr36
	s_delay_alu instid0(VALU_DEP_1)
	v_cmpx_ne_u32_e32 0x7f800000, v4
	s_xor_b32 s0, exec_lo, s0
; %bb.1196:                             ;   in Loop: Header=BB458_1183 Depth=1
	v_bfe_u32 v4, v9, 16, 1
	s_delay_alu instid0(VALU_DEP_1)
	v_add3_u32 v36, v9, v4, 0x7fff
                                        ; implicit-def: $vgpr6_vgpr7_vgpr8_vgpr9
; %bb.1197:                             ;   in Loop: Header=BB458_1183 Depth=1
	s_and_not1_saveexec_b32 s0, s0
; %bb.1198:                             ;   in Loop: Header=BB458_1183 Depth=1
	v_and_b32_e32 v4, 0xffff, v9
	v_or_b32_e32 v5, 0x10000, v9
	s_delay_alu instid0(VALU_DEP_2) | instskip(NEXT) | instid1(VALU_DEP_2)
	v_cmp_eq_u32_e32 vcc_lo, 0, v4
	v_cndmask_b32_e32 v36, v5, v9, vcc_lo
; %bb.1199:                             ;   in Loop: Header=BB458_1183 Depth=1
	s_or_b32 exec_lo, exec_lo, s0
	s_waitcnt lgkmcnt(0)
	v_and_b32_e32 v4, 0x7f800000, v0
	s_mov_b32 s0, exec_lo
                                        ; implicit-def: $vgpr34
	s_delay_alu instid0(VALU_DEP_1)
	v_cmpx_ne_u32_e32 0x7f800000, v4
	s_xor_b32 s0, exec_lo, s0
; %bb.1200:                             ;   in Loop: Header=BB458_1183 Depth=1
	v_bfe_u32 v4, v0, 16, 1
	s_delay_alu instid0(VALU_DEP_1)
	v_add3_u32 v34, v0, v4, 0x7fff
; %bb.1201:                             ;   in Loop: Header=BB458_1183 Depth=1
	s_and_not1_saveexec_b32 s0, s0
; %bb.1202:                             ;   in Loop: Header=BB458_1183 Depth=1
	v_and_b32_e32 v4, 0xffff, v0
	v_or_b32_e32 v5, 0x10000, v0
	s_delay_alu instid0(VALU_DEP_2) | instskip(NEXT) | instid1(VALU_DEP_2)
	v_cmp_eq_u32_e32 vcc_lo, 0, v4
	v_cndmask_b32_e32 v34, v5, v0, vcc_lo
; %bb.1203:                             ;   in Loop: Header=BB458_1183 Depth=1
	s_or_b32 exec_lo, exec_lo, s0
	v_and_b32_e32 v0, 0x7f800000, v1
	s_mov_b32 s0, exec_lo
                                        ; implicit-def: $vgpr23
	s_delay_alu instid0(VALU_DEP_1)
	v_cmpx_ne_u32_e32 0x7f800000, v0
	s_xor_b32 s0, exec_lo, s0
; %bb.1204:                             ;   in Loop: Header=BB458_1183 Depth=1
	v_bfe_u32 v0, v1, 16, 1
	s_delay_alu instid0(VALU_DEP_1)
	v_add3_u32 v23, v1, v0, 0x7fff
; %bb.1205:                             ;   in Loop: Header=BB458_1183 Depth=1
	s_and_not1_saveexec_b32 s0, s0
; %bb.1206:                             ;   in Loop: Header=BB458_1183 Depth=1
	v_and_b32_e32 v0, 0xffff, v1
	v_or_b32_e32 v4, 0x10000, v1
	s_delay_alu instid0(VALU_DEP_2) | instskip(NEXT) | instid1(VALU_DEP_2)
	v_cmp_eq_u32_e32 vcc_lo, 0, v0
	v_cndmask_b32_e32 v23, v4, v1, vcc_lo
; %bb.1207:                             ;   in Loop: Header=BB458_1183 Depth=1
	s_or_b32 exec_lo, exec_lo, s0
	v_and_b32_e32 v0, 0x7f800000, v2
	s_mov_b32 s0, exec_lo
                                        ; implicit-def: $vgpr5
	s_delay_alu instid0(VALU_DEP_1)
	v_cmpx_ne_u32_e32 0x7f800000, v0
	s_xor_b32 s0, exec_lo, s0
; %bb.1208:                             ;   in Loop: Header=BB458_1183 Depth=1
	v_bfe_u32 v0, v2, 16, 1
	s_delay_alu instid0(VALU_DEP_1)
	v_add3_u32 v5, v2, v0, 0x7fff
; %bb.1209:                             ;   in Loop: Header=BB458_1183 Depth=1
	s_and_not1_saveexec_b32 s0, s0
; %bb.1210:                             ;   in Loop: Header=BB458_1183 Depth=1
	v_and_b32_e32 v0, 0xffff, v2
	v_or_b32_e32 v1, 0x10000, v2
	s_delay_alu instid0(VALU_DEP_2) | instskip(NEXT) | instid1(VALU_DEP_2)
	v_cmp_eq_u32_e32 vcc_lo, 0, v0
	v_cndmask_b32_e32 v5, v1, v2, vcc_lo
; %bb.1211:                             ;   in Loop: Header=BB458_1183 Depth=1
	s_or_b32 exec_lo, exec_lo, s0
	v_and_b32_e32 v0, 0x7f800000, v3
	s_mov_b32 s0, exec_lo
                                        ; implicit-def: $vgpr4
	s_delay_alu instid0(VALU_DEP_1)
	v_cmpx_ne_u32_e32 0x7f800000, v0
	s_xor_b32 s0, exec_lo, s0
; %bb.1212:                             ;   in Loop: Header=BB458_1183 Depth=1
	v_bfe_u32 v0, v3, 16, 1
	s_delay_alu instid0(VALU_DEP_1)
	v_add3_u32 v4, v3, v0, 0x7fff
                                        ; implicit-def: $vgpr0_vgpr1_vgpr2_vgpr3
; %bb.1213:                             ;   in Loop: Header=BB458_1183 Depth=1
	s_and_not1_saveexec_b32 s0, s0
; %bb.1214:                             ;   in Loop: Header=BB458_1183 Depth=1
	v_and_b32_e32 v0, 0xffff, v3
	v_or_b32_e32 v1, 0x10000, v3
	s_delay_alu instid0(VALU_DEP_2) | instskip(NEXT) | instid1(VALU_DEP_2)
	v_cmp_eq_u32_e32 vcc_lo, 0, v0
	v_cndmask_b32_e32 v4, v1, v3, vcc_lo
; %bb.1215:                             ;   in Loop: Header=BB458_1183 Depth=1
	s_or_b32 exec_lo, exec_lo, s0
	s_waitcnt vmcnt(0)
	v_mad_i64_i32 v[0:1], null, v52, v22, v[11:12]
	s_mov_b32 s0, exec_lo
	v_mov_b32_e32 v6, 0
	flat_load_b64 v[2:3], v[0:1]
	s_waitcnt vmcnt(0) lgkmcnt(0)
	v_and_b32_e32 v7, 0xff, v2
	s_delay_alu instid0(VALU_DEP_1)
	v_cmpx_ne_u16_e32 0, v7
	s_cbranch_execz .LBB458_1223
; %bb.1216:                             ;   in Loop: Header=BB458_1183 Depth=1
	v_bfrev_b32_e32 v6, 1
	s_mov_b32 s9, exec_lo
	v_cmpx_ne_u16_e32 0x80, v7
	s_cbranch_execz .LBB458_1222
; %bb.1217:                             ;   in Loop: Header=BB458_1183 Depth=1
	v_and_b32_e32 v7, 0x7f, v2
	v_mov_b32_e32 v6, 0x7f800001
	s_mov_b32 s12, exec_lo
	s_delay_alu instid0(VALU_DEP_2)
	v_cmpx_ne_u32_e32 0x7f, v7
	s_cbranch_execz .LBB458_1221
; %bb.1218:                             ;   in Loop: Header=BB458_1183 Depth=1
	v_lshrrev_b32_e32 v8, 3, v7
	v_cmp_gt_u32_e32 vcc_lo, 8, v7
	v_dual_mov_b32 v7, v3 :: v_dual_mov_b32 v6, v2
	s_and_saveexec_b32 s13, vcc_lo
; %bb.1219:                             ;   in Loop: Header=BB458_1183 Depth=1
	v_and_b32_e32 v6, 7, v2
	s_delay_alu instid0(VALU_DEP_1) | instskip(NEXT) | instid1(VALU_DEP_1)
	v_clz_i32_u32_e32 v6, v6
	v_min_u32_e32 v8, 32, v6
	s_delay_alu instid0(VALU_DEP_1) | instskip(SKIP_1) | instid1(VALU_DEP_2)
	v_subrev_nc_u32_e32 v6, 28, v8
	v_sub_nc_u32_e32 v8, 29, v8
	v_lshlrev_b64 v[6:7], v6, v[2:3]
; %bb.1220:                             ;   in Loop: Header=BB458_1183 Depth=1
	s_or_b32 exec_lo, exec_lo, s13
	s_delay_alu instid0(VALU_DEP_1) | instskip(SKIP_2) | instid1(VALU_DEP_3)
	v_lshlrev_b32_e32 v6, 20, v6
	v_lshlrev_b32_e32 v7, 24, v2
	v_lshl_add_u32 v8, v8, 23, 0x3c000000
	v_and_b32_e32 v6, 0x700000, v6
	s_delay_alu instid0(VALU_DEP_3) | instskip(NEXT) | instid1(VALU_DEP_1)
	v_and_b32_e32 v7, 0x80000000, v7
	v_or3_b32 v6, v6, v7, v8
.LBB458_1221:                           ;   in Loop: Header=BB458_1183 Depth=1
	s_or_b32 exec_lo, exec_lo, s12
.LBB458_1222:                           ;   in Loop: Header=BB458_1183 Depth=1
	s_delay_alu instid0(SALU_CYCLE_1)
	s_or_b32 exec_lo, exec_lo, s9
.LBB458_1223:                           ;   in Loop: Header=BB458_1183 Depth=1
	s_delay_alu instid0(SALU_CYCLE_1) | instskip(NEXT) | instid1(VALU_DEP_1)
	s_or_b32 exec_lo, exec_lo, s0
	v_mul_f32_e32 v6, v26, v6
	s_mov_b32 s0, exec_lo
                                        ; implicit-def: $vgpr8
	s_delay_alu instid0(VALU_DEP_1) | instskip(NEXT) | instid1(VALU_DEP_1)
	v_and_b32_e32 v7, 0x7f800000, v6
	v_cmpx_ne_u32_e32 0x7f800000, v7
	s_xor_b32 s0, exec_lo, s0
; %bb.1224:                             ;   in Loop: Header=BB458_1183 Depth=1
	v_bfe_u32 v7, v6, 16, 1
	s_delay_alu instid0(VALU_DEP_1)
	v_add3_u32 v8, v6, v7, 0x7fff
                                        ; implicit-def: $vgpr6
; %bb.1225:                             ;   in Loop: Header=BB458_1183 Depth=1
	s_and_not1_saveexec_b32 s0, s0
; %bb.1226:                             ;   in Loop: Header=BB458_1183 Depth=1
	v_and_b32_e32 v7, 0xffff, v6
	v_or_b32_e32 v8, 0x10000, v6
	s_delay_alu instid0(VALU_DEP_2) | instskip(NEXT) | instid1(VALU_DEP_2)
	v_cmp_eq_u32_e32 vcc_lo, 0, v7
	v_cndmask_b32_e32 v8, v8, v6, vcc_lo
; %bb.1227:                             ;   in Loop: Header=BB458_1183 Depth=1
	s_or_b32 exec_lo, exec_lo, s0
	v_lshrrev_b16 v7, 8, v2
	v_mov_b32_e32 v6, 0
	s_mov_b32 s0, exec_lo
	s_delay_alu instid0(VALU_DEP_2)
	v_cmpx_ne_u16_e32 0, v7
	s_cbranch_execz .LBB458_1235
; %bb.1228:                             ;   in Loop: Header=BB458_1183 Depth=1
	v_bfrev_b32_e32 v6, 1
	s_mov_b32 s9, exec_lo
	v_cmpx_ne_u16_e32 0x80, v7
	s_cbranch_execz .LBB458_1234
; %bb.1229:                             ;   in Loop: Header=BB458_1183 Depth=1
	v_and_b32_e32 v9, 0xffff, v7
	v_mov_b32_e32 v6, 0x7f800001
	s_mov_b32 s12, exec_lo
	s_delay_alu instid0(VALU_DEP_2) | instskip(NEXT) | instid1(VALU_DEP_1)
	v_and_b32_e32 v7, 0x7f, v9
	v_cmpx_ne_u32_e32 0x7f, v7
	s_cbranch_execz .LBB458_1233
; %bb.1230:                             ;   in Loop: Header=BB458_1183 Depth=1
	v_and_b32_e32 v9, 7, v9
	v_lshrrev_b32_e32 v6, 3, v7
	s_mov_b32 s13, exec_lo
	v_cmpx_gt_u32_e32 8, v7
; %bb.1231:                             ;   in Loop: Header=BB458_1183 Depth=1
	s_delay_alu instid0(VALU_DEP_3) | instskip(NEXT) | instid1(VALU_DEP_1)
	v_clz_i32_u32_e32 v6, v9
	v_min_u32_e32 v6, 32, v6
	s_delay_alu instid0(VALU_DEP_1) | instskip(SKIP_1) | instid1(VALU_DEP_2)
	v_subrev_nc_u32_e32 v7, 28, v6
	v_sub_nc_u32_e32 v6, 29, v6
	v_lshlrev_b64 v[52:53], v7, v[9:10]
	s_delay_alu instid0(VALU_DEP_1)
	v_and_b32_e32 v9, 7, v52
; %bb.1232:                             ;   in Loop: Header=BB458_1183 Depth=1
	s_or_b32 exec_lo, exec_lo, s13
	v_lshlrev_b32_e32 v7, 16, v2
	s_delay_alu instid0(VALU_DEP_2) | instskip(SKIP_1) | instid1(VALU_DEP_3)
	v_lshlrev_b32_e32 v9, 20, v9
	v_lshl_add_u32 v6, v6, 23, 0x3c000000
	v_and_b32_e32 v7, 0x80000000, v7
	s_delay_alu instid0(VALU_DEP_1)
	v_or3_b32 v6, v9, v7, v6
.LBB458_1233:                           ;   in Loop: Header=BB458_1183 Depth=1
	s_or_b32 exec_lo, exec_lo, s12
.LBB458_1234:                           ;   in Loop: Header=BB458_1183 Depth=1
	s_delay_alu instid0(SALU_CYCLE_1)
	s_or_b32 exec_lo, exec_lo, s9
.LBB458_1235:                           ;   in Loop: Header=BB458_1183 Depth=1
	s_delay_alu instid0(SALU_CYCLE_1) | instskip(NEXT) | instid1(VALU_DEP_1)
	s_or_b32 exec_lo, exec_lo, s0
	v_mul_f32_e32 v6, v26, v6
	s_mov_b32 s0, exec_lo
                                        ; implicit-def: $vgpr52
	s_delay_alu instid0(VALU_DEP_1) | instskip(NEXT) | instid1(VALU_DEP_1)
	v_and_b32_e32 v7, 0x7f800000, v6
	v_cmpx_ne_u32_e32 0x7f800000, v7
	s_xor_b32 s0, exec_lo, s0
; %bb.1236:                             ;   in Loop: Header=BB458_1183 Depth=1
	v_bfe_u32 v7, v6, 16, 1
	s_delay_alu instid0(VALU_DEP_1)
	v_add3_u32 v52, v6, v7, 0x7fff
                                        ; implicit-def: $vgpr6
; %bb.1237:                             ;   in Loop: Header=BB458_1183 Depth=1
	s_and_not1_saveexec_b32 s0, s0
; %bb.1238:                             ;   in Loop: Header=BB458_1183 Depth=1
	v_and_b32_e32 v7, 0xffff, v6
	v_or_b32_e32 v9, 0x10000, v6
	s_delay_alu instid0(VALU_DEP_2) | instskip(NEXT) | instid1(VALU_DEP_2)
	v_cmp_eq_u32_e32 vcc_lo, 0, v7
	v_cndmask_b32_e32 v52, v9, v6, vcc_lo
; %bb.1239:                             ;   in Loop: Header=BB458_1183 Depth=1
	s_or_b32 exec_lo, exec_lo, s0
	v_lshrrev_b32_e32 v6, 16, v2
	v_mov_b32_e32 v7, 0
	s_mov_b32 s0, exec_lo
	s_delay_alu instid0(VALU_DEP_2) | instskip(NEXT) | instid1(VALU_DEP_1)
	v_and_b32_e32 v9, 0xff, v6
	v_cmpx_ne_u16_e32 0, v9
	s_cbranch_execz .LBB458_1247
; %bb.1240:                             ;   in Loop: Header=BB458_1183 Depth=1
	v_bfrev_b32_e32 v7, 1
	s_mov_b32 s9, exec_lo
	v_cmpx_ne_u16_e32 0x80, v9
	s_cbranch_execz .LBB458_1246
; %bb.1241:                             ;   in Loop: Header=BB458_1183 Depth=1
	v_bfe_u32 v53, v2, 16, 7
	v_mov_b32_e32 v7, 0x7f800001
	s_mov_b32 s12, exec_lo
	s_delay_alu instid0(VALU_DEP_2)
	v_cmpx_ne_u32_e32 0x7f, v53
	s_cbranch_execz .LBB458_1245
; %bb.1242:                             ;   in Loop: Header=BB458_1183 Depth=1
	v_and_b32_e32 v9, 7, v6
	v_lshrrev_b32_e32 v7, 3, v53
	s_mov_b32 s13, exec_lo
	v_cmpx_gt_u32_e32 8, v53
; %bb.1243:                             ;   in Loop: Header=BB458_1183 Depth=1
	s_delay_alu instid0(VALU_DEP_3) | instskip(NEXT) | instid1(VALU_DEP_1)
	v_clz_i32_u32_e32 v7, v9
	v_min_u32_e32 v7, 32, v7
	s_delay_alu instid0(VALU_DEP_1) | instskip(SKIP_1) | instid1(VALU_DEP_2)
	v_subrev_nc_u32_e32 v53, 28, v7
	v_sub_nc_u32_e32 v7, 29, v7
	v_lshlrev_b64 v[53:54], v53, v[9:10]
	s_delay_alu instid0(VALU_DEP_1)
	v_and_b32_e32 v9, 7, v53
; %bb.1244:                             ;   in Loop: Header=BB458_1183 Depth=1
	s_or_b32 exec_lo, exec_lo, s13
	v_lshlrev_b32_e32 v6, 24, v6
	s_delay_alu instid0(VALU_DEP_2) | instskip(SKIP_1) | instid1(VALU_DEP_3)
	v_lshlrev_b32_e32 v9, 20, v9
	v_lshl_add_u32 v7, v7, 23, 0x3c000000
	v_and_b32_e32 v6, 0x80000000, v6
	s_delay_alu instid0(VALU_DEP_1)
	v_or3_b32 v7, v9, v6, v7
.LBB458_1245:                           ;   in Loop: Header=BB458_1183 Depth=1
	s_or_b32 exec_lo, exec_lo, s12
.LBB458_1246:                           ;   in Loop: Header=BB458_1183 Depth=1
	s_delay_alu instid0(SALU_CYCLE_1)
	s_or_b32 exec_lo, exec_lo, s9
.LBB458_1247:                           ;   in Loop: Header=BB458_1183 Depth=1
	s_delay_alu instid0(SALU_CYCLE_1) | instskip(NEXT) | instid1(VALU_DEP_1)
	s_or_b32 exec_lo, exec_lo, s0
	v_mul_f32_e32 v6, v26, v7
	s_mov_b32 s0, exec_lo
                                        ; implicit-def: $vgpr53
	s_delay_alu instid0(VALU_DEP_1) | instskip(NEXT) | instid1(VALU_DEP_1)
	v_and_b32_e32 v7, 0x7f800000, v6
	v_cmpx_ne_u32_e32 0x7f800000, v7
	s_xor_b32 s0, exec_lo, s0
; %bb.1248:                             ;   in Loop: Header=BB458_1183 Depth=1
	v_bfe_u32 v7, v6, 16, 1
	s_delay_alu instid0(VALU_DEP_1)
	v_add3_u32 v53, v6, v7, 0x7fff
                                        ; implicit-def: $vgpr6
; %bb.1249:                             ;   in Loop: Header=BB458_1183 Depth=1
	s_and_not1_saveexec_b32 s0, s0
; %bb.1250:                             ;   in Loop: Header=BB458_1183 Depth=1
	v_and_b32_e32 v7, 0xffff, v6
	v_or_b32_e32 v9, 0x10000, v6
	s_delay_alu instid0(VALU_DEP_2) | instskip(NEXT) | instid1(VALU_DEP_2)
	v_cmp_eq_u32_e32 vcc_lo, 0, v7
	v_cndmask_b32_e32 v53, v9, v6, vcc_lo
; %bb.1251:                             ;   in Loop: Header=BB458_1183 Depth=1
	s_or_b32 exec_lo, exec_lo, s0
	v_mov_b32_e32 v7, 0
	s_mov_b32 s0, exec_lo
	v_cmpx_lt_u32_e32 0xffffff, v2
	s_cbranch_execz .LBB458_1259
; %bb.1252:                             ;   in Loop: Header=BB458_1183 Depth=1
	v_lshrrev_b32_e32 v6, 24, v2
	v_bfrev_b32_e32 v7, 1
	s_mov_b32 s9, exec_lo
	s_delay_alu instid0(VALU_DEP_2)
	v_cmpx_ne_u32_e32 0x80, v6
	s_cbranch_execz .LBB458_1258
; %bb.1253:                             ;   in Loop: Header=BB458_1183 Depth=1
	v_bfe_u32 v54, v2, 24, 7
	v_mov_b32_e32 v7, 0x7f800001
	s_mov_b32 s12, exec_lo
	s_delay_alu instid0(VALU_DEP_2)
	v_cmpx_ne_u32_e32 0x7f, v54
	s_cbranch_execz .LBB458_1257
; %bb.1254:                             ;   in Loop: Header=BB458_1183 Depth=1
	v_and_b32_e32 v9, 7, v6
	v_lshrrev_b32_e32 v7, 3, v54
	s_mov_b32 s13, exec_lo
	v_cmpx_gt_u32_e32 8, v54
; %bb.1255:                             ;   in Loop: Header=BB458_1183 Depth=1
	s_delay_alu instid0(VALU_DEP_3) | instskip(NEXT) | instid1(VALU_DEP_1)
	v_clz_i32_u32_e32 v7, v9
	v_min_u32_e32 v7, 32, v7
	s_delay_alu instid0(VALU_DEP_1) | instskip(SKIP_1) | instid1(VALU_DEP_2)
	v_subrev_nc_u32_e32 v54, 28, v7
	v_sub_nc_u32_e32 v7, 29, v7
	v_lshlrev_b64 v[54:55], v54, v[9:10]
	s_delay_alu instid0(VALU_DEP_1)
	v_and_b32_e32 v9, 7, v54
; %bb.1256:                             ;   in Loop: Header=BB458_1183 Depth=1
	s_or_b32 exec_lo, exec_lo, s13
	v_lshlrev_b32_e32 v6, 24, v6
	s_delay_alu instid0(VALU_DEP_2) | instskip(SKIP_1) | instid1(VALU_DEP_3)
	v_lshlrev_b32_e32 v9, 20, v9
	v_lshl_add_u32 v7, v7, 23, 0x3c000000
	v_and_b32_e32 v6, 0x80000000, v6
	s_delay_alu instid0(VALU_DEP_1)
	v_or3_b32 v7, v9, v6, v7
.LBB458_1257:                           ;   in Loop: Header=BB458_1183 Depth=1
	s_or_b32 exec_lo, exec_lo, s12
.LBB458_1258:                           ;   in Loop: Header=BB458_1183 Depth=1
	s_delay_alu instid0(SALU_CYCLE_1)
	s_or_b32 exec_lo, exec_lo, s9
.LBB458_1259:                           ;   in Loop: Header=BB458_1183 Depth=1
	s_delay_alu instid0(SALU_CYCLE_1) | instskip(NEXT) | instid1(VALU_DEP_1)
	s_or_b32 exec_lo, exec_lo, s0
	v_mul_f32_e32 v6, v26, v7
	s_mov_b32 s0, exec_lo
                                        ; implicit-def: $vgpr54
	s_delay_alu instid0(VALU_DEP_1) | instskip(NEXT) | instid1(VALU_DEP_1)
	v_and_b32_e32 v7, 0x7f800000, v6
	v_cmpx_ne_u32_e32 0x7f800000, v7
	s_xor_b32 s0, exec_lo, s0
; %bb.1260:                             ;   in Loop: Header=BB458_1183 Depth=1
	v_bfe_u32 v7, v6, 16, 1
	s_delay_alu instid0(VALU_DEP_1)
	v_add3_u32 v54, v6, v7, 0x7fff
                                        ; implicit-def: $vgpr6
; %bb.1261:                             ;   in Loop: Header=BB458_1183 Depth=1
	s_and_not1_saveexec_b32 s0, s0
; %bb.1262:                             ;   in Loop: Header=BB458_1183 Depth=1
	v_and_b32_e32 v7, 0xffff, v6
	v_or_b32_e32 v9, 0x10000, v6
	s_delay_alu instid0(VALU_DEP_2) | instskip(NEXT) | instid1(VALU_DEP_2)
	v_cmp_eq_u32_e32 vcc_lo, 0, v7
	v_cndmask_b32_e32 v54, v9, v6, vcc_lo
; %bb.1263:                             ;   in Loop: Header=BB458_1183 Depth=1
	s_or_b32 exec_lo, exec_lo, s0
	v_dual_mov_b32 v6, 0 :: v_dual_and_b32 v7, 0xff, v3
	v_mov_b32_e32 v9, v3
	s_mov_b32 s0, exec_lo
	s_delay_alu instid0(VALU_DEP_2)
	v_cmpx_ne_u16_e32 0, v7
	s_cbranch_execz .LBB458_1271
; %bb.1264:                             ;   in Loop: Header=BB458_1183 Depth=1
	v_bfrev_b32_e32 v6, 1
	s_mov_b32 s9, exec_lo
	v_cmpx_ne_u16_e32 0x80, v7
	s_cbranch_execz .LBB458_1270
; %bb.1265:                             ;   in Loop: Header=BB458_1183 Depth=1
	v_and_b32_e32 v7, 0x7f, v3
	v_mov_b32_e32 v6, 0x7f800001
	s_mov_b32 s12, exec_lo
	s_delay_alu instid0(VALU_DEP_2)
	v_cmpx_ne_u32_e32 0x7f, v7
	s_cbranch_execz .LBB458_1269
; %bb.1266:                             ;   in Loop: Header=BB458_1183 Depth=1
	v_lshrrev_b32_e32 v55, 3, v7
	v_cmp_gt_u32_e32 vcc_lo, 8, v7
	v_dual_mov_b32 v6, v9 :: v_dual_mov_b32 v7, v10
	s_and_saveexec_b32 s13, vcc_lo
; %bb.1267:                             ;   in Loop: Header=BB458_1183 Depth=1
	v_and_b32_e32 v6, 7, v3
	s_delay_alu instid0(VALU_DEP_1) | instskip(NEXT) | instid1(VALU_DEP_1)
	v_clz_i32_u32_e32 v6, v6
	v_min_u32_e32 v55, 32, v6
	s_delay_alu instid0(VALU_DEP_1) | instskip(SKIP_1) | instid1(VALU_DEP_2)
	v_subrev_nc_u32_e32 v6, 28, v55
	v_sub_nc_u32_e32 v55, 29, v55
	v_lshlrev_b64 v[6:7], v6, v[9:10]
; %bb.1268:                             ;   in Loop: Header=BB458_1183 Depth=1
	s_or_b32 exec_lo, exec_lo, s13
	s_delay_alu instid0(VALU_DEP_1) | instskip(SKIP_2) | instid1(VALU_DEP_3)
	v_lshlrev_b32_e32 v6, 20, v6
	v_lshlrev_b32_e32 v7, 24, v9
	v_lshl_add_u32 v55, v55, 23, 0x3c000000
	v_and_b32_e32 v6, 0x700000, v6
	s_delay_alu instid0(VALU_DEP_3) | instskip(NEXT) | instid1(VALU_DEP_1)
	v_and_b32_e32 v7, 0x80000000, v7
	v_or3_b32 v6, v6, v7, v55
.LBB458_1269:                           ;   in Loop: Header=BB458_1183 Depth=1
	s_or_b32 exec_lo, exec_lo, s12
.LBB458_1270:                           ;   in Loop: Header=BB458_1183 Depth=1
	s_delay_alu instid0(SALU_CYCLE_1)
	s_or_b32 exec_lo, exec_lo, s9
.LBB458_1271:                           ;   in Loop: Header=BB458_1183 Depth=1
	s_delay_alu instid0(SALU_CYCLE_1) | instskip(NEXT) | instid1(VALU_DEP_1)
	s_or_b32 exec_lo, exec_lo, s0
	v_mul_f32_e32 v6, v26, v6
	s_mov_b32 s0, exec_lo
                                        ; implicit-def: $vgpr55
	s_delay_alu instid0(VALU_DEP_1) | instskip(NEXT) | instid1(VALU_DEP_1)
	v_and_b32_e32 v7, 0x7f800000, v6
	v_cmpx_ne_u32_e32 0x7f800000, v7
	s_xor_b32 s0, exec_lo, s0
; %bb.1272:                             ;   in Loop: Header=BB458_1183 Depth=1
	v_bfe_u32 v7, v6, 16, 1
	s_delay_alu instid0(VALU_DEP_1)
	v_add3_u32 v55, v6, v7, 0x7fff
                                        ; implicit-def: $vgpr6
; %bb.1273:                             ;   in Loop: Header=BB458_1183 Depth=1
	s_and_not1_saveexec_b32 s0, s0
; %bb.1274:                             ;   in Loop: Header=BB458_1183 Depth=1
	v_and_b32_e32 v7, 0xffff, v6
	v_or_b32_e32 v55, 0x10000, v6
	s_delay_alu instid0(VALU_DEP_2) | instskip(NEXT) | instid1(VALU_DEP_2)
	v_cmp_eq_u32_e32 vcc_lo, 0, v7
	v_cndmask_b32_e32 v55, v55, v6, vcc_lo
; %bb.1275:                             ;   in Loop: Header=BB458_1183 Depth=1
	s_or_b32 exec_lo, exec_lo, s0
	v_lshrrev_b16 v7, 8, v9
	v_mov_b32_e32 v6, 0
	s_mov_b32 s0, exec_lo
	s_delay_alu instid0(VALU_DEP_2)
	v_cmpx_ne_u16_e32 0, v7
	s_cbranch_execz .LBB458_1283
; %bb.1276:                             ;   in Loop: Header=BB458_1183 Depth=1
	v_bfrev_b32_e32 v6, 1
	s_mov_b32 s9, exec_lo
	v_cmpx_ne_u16_e32 0x80, v7
	s_cbranch_execz .LBB458_1282
; %bb.1277:                             ;   in Loop: Header=BB458_1183 Depth=1
	v_and_b32_e32 v7, 0xffff, v7
	v_mov_b32_e32 v6, 0x7f800001
	s_mov_b32 s12, exec_lo
	s_delay_alu instid0(VALU_DEP_2) | instskip(NEXT) | instid1(VALU_DEP_1)
	v_and_b32_e32 v65, 0x7f, v7
	v_cmpx_ne_u32_e32 0x7f, v65
	s_cbranch_execz .LBB458_1281
; %bb.1278:                             ;   in Loop: Header=BB458_1183 Depth=1
	v_dual_mov_b32 v7, v10 :: v_dual_and_b32 v6, 7, v7
	v_lshrrev_b32_e32 v64, 3, v65
	s_mov_b32 s13, exec_lo
	v_cmpx_gt_u32_e32 8, v65
; %bb.1279:                             ;   in Loop: Header=BB458_1183 Depth=1
	s_delay_alu instid0(VALU_DEP_3) | instskip(NEXT) | instid1(VALU_DEP_1)
	v_clz_i32_u32_e32 v64, v6
	v_min_u32_e32 v64, 32, v64
	s_delay_alu instid0(VALU_DEP_1) | instskip(SKIP_1) | instid1(VALU_DEP_2)
	v_subrev_nc_u32_e32 v65, 28, v64
	v_sub_nc_u32_e32 v64, 29, v64
	v_lshlrev_b64 v[6:7], v65, v[6:7]
	s_delay_alu instid0(VALU_DEP_1)
	v_and_b32_e32 v6, 7, v6
; %bb.1280:                             ;   in Loop: Header=BB458_1183 Depth=1
	s_or_b32 exec_lo, exec_lo, s13
	v_lshlrev_b32_e32 v7, 16, v9
	s_delay_alu instid0(VALU_DEP_2) | instskip(SKIP_1) | instid1(VALU_DEP_3)
	v_lshlrev_b32_e32 v6, 20, v6
	v_lshl_add_u32 v9, v64, 23, 0x3c000000
	v_and_b32_e32 v7, 0x80000000, v7
	s_delay_alu instid0(VALU_DEP_1)
	v_or3_b32 v6, v6, v7, v9
.LBB458_1281:                           ;   in Loop: Header=BB458_1183 Depth=1
	s_or_b32 exec_lo, exec_lo, s12
.LBB458_1282:                           ;   in Loop: Header=BB458_1183 Depth=1
	s_delay_alu instid0(SALU_CYCLE_1)
	s_or_b32 exec_lo, exec_lo, s9
.LBB458_1283:                           ;   in Loop: Header=BB458_1183 Depth=1
	s_delay_alu instid0(SALU_CYCLE_1) | instskip(NEXT) | instid1(VALU_DEP_1)
	s_or_b32 exec_lo, exec_lo, s0
	v_mul_f32_e32 v7, v26, v6
	s_delay_alu instid0(VALU_DEP_1) | instskip(NEXT) | instid1(VALU_DEP_1)
	v_and_b32_e32 v6, 0x7f800000, v7
	v_cmp_ne_u32_e32 vcc_lo, 0x7f800000, v6
                                        ; implicit-def: $vgpr6
	s_and_saveexec_b32 s0, vcc_lo
	s_delay_alu instid0(SALU_CYCLE_1)
	s_xor_b32 s0, exec_lo, s0
; %bb.1284:                             ;   in Loop: Header=BB458_1183 Depth=1
	v_bfe_u32 v6, v7, 16, 1
	s_delay_alu instid0(VALU_DEP_1)
	v_add3_u32 v6, v7, v6, 0x7fff
                                        ; implicit-def: $vgpr7
; %bb.1285:                             ;   in Loop: Header=BB458_1183 Depth=1
	s_and_not1_saveexec_b32 s0, s0
; %bb.1286:                             ;   in Loop: Header=BB458_1183 Depth=1
	v_and_b32_e32 v6, 0xffff, v7
	v_or_b32_e32 v9, 0x10000, v7
	s_delay_alu instid0(VALU_DEP_2) | instskip(NEXT) | instid1(VALU_DEP_2)
	v_cmp_eq_u32_e32 vcc_lo, 0, v6
	v_cndmask_b32_e32 v6, v9, v7, vcc_lo
; %bb.1287:                             ;   in Loop: Header=BB458_1183 Depth=1
	s_or_b32 exec_lo, exec_lo, s0
	v_lshrrev_b32_e32 v7, 16, v3
	s_mov_b32 s0, exec_lo
	s_delay_alu instid0(VALU_DEP_1) | instskip(NEXT) | instid1(VALU_DEP_1)
	v_dual_mov_b32 v9, 0 :: v_dual_and_b32 v64, 0xff, v7
	v_cmpx_ne_u16_e32 0, v64
	s_cbranch_execz .LBB458_1295
; %bb.1288:                             ;   in Loop: Header=BB458_1183 Depth=1
	v_bfrev_b32_e32 v9, 1
	s_mov_b32 s9, exec_lo
	v_cmpx_ne_u16_e32 0x80, v64
	s_cbranch_execz .LBB458_1294
; %bb.1289:                             ;   in Loop: Header=BB458_1183 Depth=1
	v_bfe_u32 v65, v3, 16, 7
	v_mov_b32_e32 v9, 0x7f800001
	s_mov_b32 s12, exec_lo
	s_delay_alu instid0(VALU_DEP_2)
	v_cmpx_ne_u32_e32 0x7f, v65
	s_cbranch_execz .LBB458_1293
; %bb.1290:                             ;   in Loop: Header=BB458_1183 Depth=1
	v_and_b32_e32 v9, 7, v7
	v_lshrrev_b32_e32 v64, 3, v65
	s_mov_b32 s13, exec_lo
	v_cmpx_gt_u32_e32 8, v65
; %bb.1291:                             ;   in Loop: Header=BB458_1183 Depth=1
	s_delay_alu instid0(VALU_DEP_3) | instskip(NEXT) | instid1(VALU_DEP_1)
	v_clz_i32_u32_e32 v64, v9
	v_min_u32_e32 v64, 32, v64
	s_delay_alu instid0(VALU_DEP_1) | instskip(SKIP_1) | instid1(VALU_DEP_2)
	v_subrev_nc_u32_e32 v65, 28, v64
	v_sub_nc_u32_e32 v64, 29, v64
	v_lshlrev_b64 v[65:66], v65, v[9:10]
	s_delay_alu instid0(VALU_DEP_1)
	v_and_b32_e32 v9, 7, v65
; %bb.1292:                             ;   in Loop: Header=BB458_1183 Depth=1
	s_or_b32 exec_lo, exec_lo, s13
	v_lshlrev_b32_e32 v7, 24, v7
	s_delay_alu instid0(VALU_DEP_2) | instskip(SKIP_1) | instid1(VALU_DEP_3)
	v_lshlrev_b32_e32 v9, 20, v9
	v_lshl_add_u32 v64, v64, 23, 0x3c000000
	v_and_b32_e32 v7, 0x80000000, v7
	s_delay_alu instid0(VALU_DEP_1)
	v_or3_b32 v9, v9, v7, v64
.LBB458_1293:                           ;   in Loop: Header=BB458_1183 Depth=1
	s_or_b32 exec_lo, exec_lo, s12
.LBB458_1294:                           ;   in Loop: Header=BB458_1183 Depth=1
	s_delay_alu instid0(SALU_CYCLE_1)
	s_or_b32 exec_lo, exec_lo, s9
.LBB458_1295:                           ;   in Loop: Header=BB458_1183 Depth=1
	s_delay_alu instid0(SALU_CYCLE_1) | instskip(NEXT) | instid1(VALU_DEP_1)
	s_or_b32 exec_lo, exec_lo, s0
	v_mul_f32_e32 v7, v26, v9
	s_mov_b32 s0, exec_lo
                                        ; implicit-def: $vgpr65
	s_delay_alu instid0(VALU_DEP_1) | instskip(NEXT) | instid1(VALU_DEP_1)
	v_and_b32_e32 v9, 0x7f800000, v7
	v_cmpx_ne_u32_e32 0x7f800000, v9
	s_xor_b32 s0, exec_lo, s0
; %bb.1296:                             ;   in Loop: Header=BB458_1183 Depth=1
	v_bfe_u32 v9, v7, 16, 1
	s_delay_alu instid0(VALU_DEP_1)
	v_add3_u32 v65, v7, v9, 0x7fff
                                        ; implicit-def: $vgpr7
; %bb.1297:                             ;   in Loop: Header=BB458_1183 Depth=1
	s_and_not1_saveexec_b32 s0, s0
; %bb.1298:                             ;   in Loop: Header=BB458_1183 Depth=1
	v_and_b32_e32 v9, 0xffff, v7
	v_or_b32_e32 v64, 0x10000, v7
	s_delay_alu instid0(VALU_DEP_2) | instskip(NEXT) | instid1(VALU_DEP_2)
	v_cmp_eq_u32_e32 vcc_lo, 0, v9
	v_cndmask_b32_e32 v65, v64, v7, vcc_lo
; %bb.1299:                             ;   in Loop: Header=BB458_1183 Depth=1
	s_or_b32 exec_lo, exec_lo, s0
	v_mov_b32_e32 v7, 0
	s_mov_b32 s0, exec_lo
	v_cmpx_lt_u64_e64 s[2:3], v[2:3]
	s_cbranch_execz .LBB458_1307
; %bb.1300:                             ;   in Loop: Header=BB458_1183 Depth=1
	v_lshrrev_b32_e32 v2, 24, v3
	v_bfrev_b32_e32 v7, 1
	s_mov_b32 s9, exec_lo
	s_delay_alu instid0(VALU_DEP_2)
	v_cmpx_ne_u32_e32 0x80, v2
	s_cbranch_execz .LBB458_1306
; %bb.1301:                             ;   in Loop: Header=BB458_1183 Depth=1
	v_bfe_u32 v64, v3, 24, 7
	v_mov_b32_e32 v7, 0x7f800001
	s_mov_b32 s12, exec_lo
	s_delay_alu instid0(VALU_DEP_2)
	v_cmpx_ne_u32_e32 0x7f, v64
	s_cbranch_execz .LBB458_1305
; %bb.1302:                             ;   in Loop: Header=BB458_1183 Depth=1
	v_and_b32_e32 v9, 7, v2
	v_lshrrev_b32_e32 v3, 3, v64
	s_mov_b32 s13, exec_lo
	v_cmpx_gt_u32_e32 8, v64
; %bb.1303:                             ;   in Loop: Header=BB458_1183 Depth=1
	s_delay_alu instid0(VALU_DEP_3) | instskip(NEXT) | instid1(VALU_DEP_1)
	v_clz_i32_u32_e32 v3, v9
	v_min_u32_e32 v3, 32, v3
	s_delay_alu instid0(VALU_DEP_1) | instskip(SKIP_1) | instid1(VALU_DEP_2)
	v_subrev_nc_u32_e32 v7, 28, v3
	v_sub_nc_u32_e32 v3, 29, v3
	v_lshlrev_b64 v[66:67], v7, v[9:10]
	s_delay_alu instid0(VALU_DEP_1)
	v_and_b32_e32 v9, 7, v66
; %bb.1304:                             ;   in Loop: Header=BB458_1183 Depth=1
	s_or_b32 exec_lo, exec_lo, s13
	v_lshlrev_b32_e32 v2, 24, v2
	s_delay_alu instid0(VALU_DEP_2) | instskip(SKIP_1) | instid1(VALU_DEP_3)
	v_lshlrev_b32_e32 v7, 20, v9
	v_lshl_add_u32 v3, v3, 23, 0x3c000000
	v_and_b32_e32 v2, 0x80000000, v2
	s_delay_alu instid0(VALU_DEP_1)
	v_or3_b32 v7, v7, v2, v3
.LBB458_1305:                           ;   in Loop: Header=BB458_1183 Depth=1
	s_or_b32 exec_lo, exec_lo, s12
.LBB458_1306:                           ;   in Loop: Header=BB458_1183 Depth=1
	s_delay_alu instid0(SALU_CYCLE_1)
	s_or_b32 exec_lo, exec_lo, s9
.LBB458_1307:                           ;   in Loop: Header=BB458_1183 Depth=1
	s_delay_alu instid0(SALU_CYCLE_1) | instskip(NEXT) | instid1(VALU_DEP_1)
	s_or_b32 exec_lo, exec_lo, s0
	v_mul_f32_e32 v3, v26, v7
	s_delay_alu instid0(VALU_DEP_1) | instskip(NEXT) | instid1(VALU_DEP_1)
	v_and_b32_e32 v2, 0x7f800000, v3
	v_cmp_ne_u32_e32 vcc_lo, 0x7f800000, v2
                                        ; implicit-def: $vgpr2
	s_and_saveexec_b32 s0, vcc_lo
	s_delay_alu instid0(SALU_CYCLE_1)
	s_xor_b32 s0, exec_lo, s0
; %bb.1308:                             ;   in Loop: Header=BB458_1183 Depth=1
	v_bfe_u32 v2, v3, 16, 1
	s_delay_alu instid0(VALU_DEP_1)
	v_add3_u32 v2, v3, v2, 0x7fff
                                        ; implicit-def: $vgpr3
; %bb.1309:                             ;   in Loop: Header=BB458_1183 Depth=1
	s_and_not1_saveexec_b32 s0, s0
; %bb.1310:                             ;   in Loop: Header=BB458_1183 Depth=1
	v_and_b32_e32 v2, 0xffff, v3
	v_or_b32_e32 v7, 0x10000, v3
	s_delay_alu instid0(VALU_DEP_2) | instskip(NEXT) | instid1(VALU_DEP_2)
	v_cmp_eq_u32_e32 vcc_lo, 0, v2
	v_cndmask_b32_e32 v2, v7, v3, vcc_lo
; %bb.1311:                             ;   in Loop: Header=BB458_1183 Depth=1
	s_or_b32 exec_lo, exec_lo, s0
	v_cmp_eq_u32_e32 vcc_lo, v27, v16
	v_add_nc_u32_e32 v64, -7, v15
	v_lshrrev_b32_e32 v6, 16, v6
	v_lshrrev_b32_e32 v7, 16, v55
	;; [unrolled: 1-line block ×8, first 2 shown]
	v_add_nc_u32_e32 v70, -6, v15
	v_add_nc_u32_e32 v69, -5, v15
	v_add_nc_u32_e32 v68, -4, v15
	v_add_nc_u32_e32 v67, -3, v15
	v_add_nc_u32_e32 v66, -2, v15
	v_add_nc_u32_e32 v65, -1, v15
	s_and_saveexec_b32 s9, vcc_lo
	s_cbranch_execz .LBB458_1313
; %bb.1312:                             ;   in Loop: Header=BB458_1183 Depth=1
	v_cmp_lt_i32_e64 s0, v64, v35
	s_delay_alu instid0(VALU_DEP_1) | instskip(SKIP_1) | instid1(VALU_DEP_1)
	v_cndmask_b32_e64 v8, 0, v8, s0
	v_cmp_lt_i32_e64 s0, v70, v35
	v_cndmask_b32_e64 v52, 0, v52, s0
	v_cmp_lt_i32_e64 s0, v69, v35
	s_delay_alu instid0(VALU_DEP_1) | instskip(SKIP_1) | instid1(VALU_DEP_1)
	v_cndmask_b32_e64 v53, 0, v53, s0
	v_cmp_lt_i32_e64 s0, v68, v35
	v_cndmask_b32_e64 v9, 0, v9, s0
	;; [unrolled: 5-line block ×4, first 2 shown]
.LBB458_1313:                           ;   in Loop: Header=BB458_1183 Depth=1
	s_or_b32 exec_lo, exec_lo, s9
	v_and_b32_e32 v71, 0xffff0000, v51
	v_lshlrev_b32_e32 v8, 16, v8
	s_delay_alu instid0(VALU_DEP_1) | instskip(NEXT) | instid1(VALU_DEP_1)
	v_mul_f32_e32 v51, v71, v8
	v_and_b32_e32 v8, 0x7f800000, v51
	s_delay_alu instid0(VALU_DEP_1) | instskip(NEXT) | instid1(VALU_DEP_1)
	v_cmp_ne_u32_e64 s0, 0x7f800000, v8
                                        ; implicit-def: $vgpr8
	s_and_saveexec_b32 s9, s0
	s_delay_alu instid0(SALU_CYCLE_1)
	s_xor_b32 s0, exec_lo, s9
; %bb.1314:                             ;   in Loop: Header=BB458_1183 Depth=1
	v_bfe_u32 v8, v51, 16, 1
	s_delay_alu instid0(VALU_DEP_1)
	v_add3_u32 v8, v51, v8, 0x7fff
                                        ; implicit-def: $vgpr51
; %bb.1315:                             ;   in Loop: Header=BB458_1183 Depth=1
	s_and_not1_saveexec_b32 s9, s0
; %bb.1316:                             ;   in Loop: Header=BB458_1183 Depth=1
	v_and_b32_e32 v8, 0xffff, v51
	v_or_b32_e32 v54, 0x10000, v51
	s_delay_alu instid0(VALU_DEP_2) | instskip(NEXT) | instid1(VALU_DEP_1)
	v_cmp_eq_u32_e64 s0, 0, v8
	v_cndmask_b32_e64 v8, v54, v51, s0
; %bb.1317:                             ;   in Loop: Header=BB458_1183 Depth=1
	s_or_b32 exec_lo, exec_lo, s9
	v_and_b32_e32 v80, 0xffff0000, v49
	v_lshlrev_b32_e32 v49, 16, v52
	s_delay_alu instid0(VALU_DEP_1) | instskip(NEXT) | instid1(VALU_DEP_1)
	v_mul_f32_e32 v51, v80, v49
	v_and_b32_e32 v49, 0x7f800000, v51
	s_delay_alu instid0(VALU_DEP_1) | instskip(NEXT) | instid1(VALU_DEP_1)
	v_cmp_ne_u32_e64 s0, 0x7f800000, v49
                                        ; implicit-def: $vgpr49
	s_and_saveexec_b32 s9, s0
	s_delay_alu instid0(SALU_CYCLE_1)
	s_xor_b32 s0, exec_lo, s9
; %bb.1318:                             ;   in Loop: Header=BB458_1183 Depth=1
	v_bfe_u32 v49, v51, 16, 1
	s_delay_alu instid0(VALU_DEP_1)
	v_add3_u32 v49, v51, v49, 0x7fff
                                        ; implicit-def: $vgpr51
; %bb.1319:                             ;   in Loop: Header=BB458_1183 Depth=1
	s_and_not1_saveexec_b32 s9, s0
; %bb.1320:                             ;   in Loop: Header=BB458_1183 Depth=1
	v_and_b32_e32 v49, 0xffff, v51
	v_or_b32_e32 v52, 0x10000, v51
	s_delay_alu instid0(VALU_DEP_2) | instskip(NEXT) | instid1(VALU_DEP_1)
	v_cmp_eq_u32_e64 s0, 0, v49
	v_cndmask_b32_e64 v49, v52, v51, s0
; %bb.1321:                             ;   in Loop: Header=BB458_1183 Depth=1
	s_or_b32 exec_lo, exec_lo, s9
	v_and_b32_e32 v81, 0xffff0000, v50
	v_lshlrev_b32_e32 v50, 16, v53
	s_delay_alu instid0(VALU_DEP_1) | instskip(NEXT) | instid1(VALU_DEP_1)
	v_mul_f32_e32 v51, v81, v50
	v_and_b32_e32 v50, 0x7f800000, v51
	s_delay_alu instid0(VALU_DEP_1) | instskip(NEXT) | instid1(VALU_DEP_1)
	v_cmp_ne_u32_e64 s0, 0x7f800000, v50
                                        ; implicit-def: $vgpr50
	s_and_saveexec_b32 s9, s0
	s_delay_alu instid0(SALU_CYCLE_1)
	s_xor_b32 s0, exec_lo, s9
; %bb.1322:                             ;   in Loop: Header=BB458_1183 Depth=1
	v_bfe_u32 v50, v51, 16, 1
	s_delay_alu instid0(VALU_DEP_1)
	v_add3_u32 v50, v51, v50, 0x7fff
                                        ; implicit-def: $vgpr51
; %bb.1323:                             ;   in Loop: Header=BB458_1183 Depth=1
	s_and_not1_saveexec_b32 s9, s0
; %bb.1324:                             ;   in Loop: Header=BB458_1183 Depth=1
	v_and_b32_e32 v50, 0xffff, v51
	v_or_b32_e32 v52, 0x10000, v51
	s_delay_alu instid0(VALU_DEP_2) | instskip(NEXT) | instid1(VALU_DEP_1)
	v_cmp_eq_u32_e64 s0, 0, v50
	v_cndmask_b32_e64 v50, v52, v51, s0
; %bb.1325:                             ;   in Loop: Header=BB458_1183 Depth=1
	s_or_b32 exec_lo, exec_lo, s9
	v_and_b32_e32 v82, 0xffff0000, v36
	v_lshlrev_b32_e32 v9, 16, v9
                                        ; implicit-def: $vgpr51
	s_delay_alu instid0(VALU_DEP_1) | instskip(NEXT) | instid1(VALU_DEP_1)
	v_mul_f32_e32 v9, v82, v9
	v_and_b32_e32 v36, 0x7f800000, v9
	s_delay_alu instid0(VALU_DEP_1) | instskip(NEXT) | instid1(VALU_DEP_1)
	v_cmp_ne_u32_e64 s0, 0x7f800000, v36
	s_and_saveexec_b32 s9, s0
	s_delay_alu instid0(SALU_CYCLE_1)
	s_xor_b32 s0, exec_lo, s9
; %bb.1326:                             ;   in Loop: Header=BB458_1183 Depth=1
	v_bfe_u32 v36, v9, 16, 1
	s_delay_alu instid0(VALU_DEP_1)
	v_add3_u32 v51, v9, v36, 0x7fff
                                        ; implicit-def: $vgpr9
; %bb.1327:                             ;   in Loop: Header=BB458_1183 Depth=1
	s_and_not1_saveexec_b32 s9, s0
; %bb.1328:                             ;   in Loop: Header=BB458_1183 Depth=1
	v_and_b32_e32 v36, 0xffff, v9
	v_or_b32_e32 v51, 0x10000, v9
	s_delay_alu instid0(VALU_DEP_2) | instskip(NEXT) | instid1(VALU_DEP_1)
	v_cmp_eq_u32_e64 s0, 0, v36
	v_cndmask_b32_e64 v51, v51, v9, s0
; %bb.1329:                             ;   in Loop: Header=BB458_1183 Depth=1
	s_or_b32 exec_lo, exec_lo, s9
	v_and_b32_e32 v83, 0xffff0000, v34
	v_lshlrev_b32_e32 v7, 16, v7
                                        ; implicit-def: $vgpr52
	s_delay_alu instid0(VALU_DEP_1) | instskip(NEXT) | instid1(VALU_DEP_1)
	v_mul_f32_e32 v7, v83, v7
	v_and_b32_e32 v9, 0x7f800000, v7
	s_delay_alu instid0(VALU_DEP_1) | instskip(NEXT) | instid1(VALU_DEP_1)
	v_cmp_ne_u32_e64 s0, 0x7f800000, v9
	s_and_saveexec_b32 s9, s0
	s_delay_alu instid0(SALU_CYCLE_1)
	s_xor_b32 s0, exec_lo, s9
; %bb.1330:                             ;   in Loop: Header=BB458_1183 Depth=1
	v_bfe_u32 v9, v7, 16, 1
	s_delay_alu instid0(VALU_DEP_1)
	v_add3_u32 v52, v7, v9, 0x7fff
                                        ; implicit-def: $vgpr7
; %bb.1331:                             ;   in Loop: Header=BB458_1183 Depth=1
	s_and_not1_saveexec_b32 s9, s0
; %bb.1332:                             ;   in Loop: Header=BB458_1183 Depth=1
	v_and_b32_e32 v9, 0xffff, v7
	v_or_b32_e32 v34, 0x10000, v7
	s_delay_alu instid0(VALU_DEP_2) | instskip(NEXT) | instid1(VALU_DEP_1)
	v_cmp_eq_u32_e64 s0, 0, v9
	v_cndmask_b32_e64 v52, v34, v7, s0
; %bb.1333:                             ;   in Loop: Header=BB458_1183 Depth=1
	s_or_b32 exec_lo, exec_lo, s9
	v_and_b32_e32 v84, 0xffff0000, v23
	v_lshlrev_b32_e32 v6, 16, v6
                                        ; implicit-def: $vgpr53
	s_delay_alu instid0(VALU_DEP_1) | instskip(NEXT) | instid1(VALU_DEP_1)
	v_mul_f32_e32 v6, v84, v6
	v_and_b32_e32 v7, 0x7f800000, v6
	s_delay_alu instid0(VALU_DEP_1) | instskip(NEXT) | instid1(VALU_DEP_1)
	v_cmp_ne_u32_e64 s0, 0x7f800000, v7
	s_and_saveexec_b32 s9, s0
	s_delay_alu instid0(SALU_CYCLE_1)
	s_xor_b32 s0, exec_lo, s9
; %bb.1334:                             ;   in Loop: Header=BB458_1183 Depth=1
	v_bfe_u32 v7, v6, 16, 1
	s_delay_alu instid0(VALU_DEP_1)
	v_add3_u32 v53, v6, v7, 0x7fff
                                        ; implicit-def: $vgpr6
; %bb.1335:                             ;   in Loop: Header=BB458_1183 Depth=1
	s_and_not1_saveexec_b32 s9, s0
; %bb.1336:                             ;   in Loop: Header=BB458_1183 Depth=1
	v_and_b32_e32 v7, 0xffff, v6
	v_or_b32_e32 v9, 0x10000, v6
	s_delay_alu instid0(VALU_DEP_2) | instskip(NEXT) | instid1(VALU_DEP_1)
	v_cmp_eq_u32_e64 s0, 0, v7
	v_cndmask_b32_e64 v53, v9, v6, s0
; %bb.1337:                             ;   in Loop: Header=BB458_1183 Depth=1
	s_or_b32 exec_lo, exec_lo, s9
	v_and_b32_e32 v85, 0xffff0000, v5
	v_lshlrev_b32_e32 v3, 16, v3
                                        ; implicit-def: $vgpr54
	s_delay_alu instid0(VALU_DEP_1) | instskip(NEXT) | instid1(VALU_DEP_1)
	v_mul_f32_e32 v3, v85, v3
	v_and_b32_e32 v5, 0x7f800000, v3
	s_delay_alu instid0(VALU_DEP_1) | instskip(NEXT) | instid1(VALU_DEP_1)
	v_cmp_ne_u32_e64 s0, 0x7f800000, v5
	s_and_saveexec_b32 s9, s0
	s_delay_alu instid0(SALU_CYCLE_1)
	s_xor_b32 s0, exec_lo, s9
; %bb.1338:                             ;   in Loop: Header=BB458_1183 Depth=1
	v_bfe_u32 v5, v3, 16, 1
	s_delay_alu instid0(VALU_DEP_1)
	v_add3_u32 v54, v3, v5, 0x7fff
                                        ; implicit-def: $vgpr3
; %bb.1339:                             ;   in Loop: Header=BB458_1183 Depth=1
	s_and_not1_saveexec_b32 s9, s0
; %bb.1340:                             ;   in Loop: Header=BB458_1183 Depth=1
	v_and_b32_e32 v5, 0xffff, v3
	v_or_b32_e32 v6, 0x10000, v3
	s_delay_alu instid0(VALU_DEP_2) | instskip(NEXT) | instid1(VALU_DEP_1)
	v_cmp_eq_u32_e64 s0, 0, v5
	v_cndmask_b32_e64 v54, v6, v3, s0
; %bb.1341:                             ;   in Loop: Header=BB458_1183 Depth=1
	s_or_b32 exec_lo, exec_lo, s9
	v_and_b32_e32 v86, 0xffff0000, v4
	v_lshlrev_b32_e32 v2, 16, v2
                                        ; implicit-def: $vgpr55
	s_delay_alu instid0(VALU_DEP_1) | instskip(NEXT) | instid1(VALU_DEP_1)
	v_mul_f32_e32 v2, v86, v2
	v_and_b32_e32 v3, 0x7f800000, v2
	s_delay_alu instid0(VALU_DEP_1) | instskip(NEXT) | instid1(VALU_DEP_1)
	v_cmp_ne_u32_e64 s0, 0x7f800000, v3
	s_and_saveexec_b32 s9, s0
	s_delay_alu instid0(SALU_CYCLE_1)
	s_xor_b32 s0, exec_lo, s9
; %bb.1342:                             ;   in Loop: Header=BB458_1183 Depth=1
	v_bfe_u32 v3, v2, 16, 1
	s_delay_alu instid0(VALU_DEP_1)
	v_add3_u32 v55, v2, v3, 0x7fff
                                        ; implicit-def: $vgpr2
; %bb.1343:                             ;   in Loop: Header=BB458_1183 Depth=1
	s_and_not1_saveexec_b32 s9, s0
; %bb.1344:                             ;   in Loop: Header=BB458_1183 Depth=1
	v_and_b32_e32 v3, 0xffff, v2
	v_or_b32_e32 v4, 0x10000, v2
	s_delay_alu instid0(VALU_DEP_2) | instskip(NEXT) | instid1(VALU_DEP_1)
	v_cmp_eq_u32_e64 s0, 0, v3
	v_cndmask_b32_e64 v55, v4, v2, s0
; %bb.1345:                             ;   in Loop: Header=BB458_1183 Depth=1
	s_or_b32 exec_lo, exec_lo, s9
	flat_load_b64 v[2:3], v[0:1] offset:256
	s_mov_b32 s9, exec_lo
	s_waitcnt vmcnt(0) lgkmcnt(0)
	v_dual_mov_b32 v4, 0 :: v_dual_and_b32 v5, 0xff, v2
	s_delay_alu instid0(VALU_DEP_1)
	v_cmpx_ne_u16_e32 0, v5
	s_cbranch_execz .LBB458_1353
; %bb.1346:                             ;   in Loop: Header=BB458_1183 Depth=1
	v_bfrev_b32_e32 v4, 1
	s_mov_b32 s12, exec_lo
	v_cmpx_ne_u16_e32 0x80, v5
	s_cbranch_execz .LBB458_1352
; %bb.1347:                             ;   in Loop: Header=BB458_1183 Depth=1
	v_and_b32_e32 v5, 0x7f, v2
	v_mov_b32_e32 v4, 0x7f800001
	s_mov_b32 s13, exec_lo
	s_delay_alu instid0(VALU_DEP_2)
	v_cmpx_ne_u32_e32 0x7f, v5
	s_cbranch_execz .LBB458_1351
; %bb.1348:                             ;   in Loop: Header=BB458_1183 Depth=1
	v_lshrrev_b32_e32 v4, 3, v5
	v_dual_mov_b32 v7, v3 :: v_dual_mov_b32 v6, v2
	s_mov_b32 s15, exec_lo
	v_cmpx_gt_u32_e32 8, v5
; %bb.1349:                             ;   in Loop: Header=BB458_1183 Depth=1
	v_and_b32_e32 v4, 7, v2
	s_delay_alu instid0(VALU_DEP_1) | instskip(NEXT) | instid1(VALU_DEP_1)
	v_clz_i32_u32_e32 v4, v4
	v_min_u32_e32 v4, 32, v4
	s_delay_alu instid0(VALU_DEP_1) | instskip(SKIP_1) | instid1(VALU_DEP_2)
	v_subrev_nc_u32_e32 v5, 28, v4
	v_sub_nc_u32_e32 v4, 29, v4
	v_lshlrev_b64 v[6:7], v5, v[2:3]
; %bb.1350:                             ;   in Loop: Header=BB458_1183 Depth=1
	s_or_b32 exec_lo, exec_lo, s15
	s_delay_alu instid0(VALU_DEP_1) | instskip(SKIP_2) | instid1(VALU_DEP_3)
	v_lshlrev_b32_e32 v5, 20, v6
	v_lshlrev_b32_e32 v6, 24, v2
	v_lshl_add_u32 v4, v4, 23, 0x3c000000
	v_and_b32_e32 v5, 0x700000, v5
	s_delay_alu instid0(VALU_DEP_3) | instskip(NEXT) | instid1(VALU_DEP_1)
	v_and_b32_e32 v6, 0x80000000, v6
	v_or3_b32 v4, v5, v6, v4
.LBB458_1351:                           ;   in Loop: Header=BB458_1183 Depth=1
	s_or_b32 exec_lo, exec_lo, s13
.LBB458_1352:                           ;   in Loop: Header=BB458_1183 Depth=1
	s_delay_alu instid0(SALU_CYCLE_1)
	s_or_b32 exec_lo, exec_lo, s12
.LBB458_1353:                           ;   in Loop: Header=BB458_1183 Depth=1
	s_delay_alu instid0(SALU_CYCLE_1) | instskip(NEXT) | instid1(VALU_DEP_1)
	s_or_b32 exec_lo, exec_lo, s9
	v_mul_f32_e32 v5, v26, v4
	s_delay_alu instid0(VALU_DEP_1) | instskip(NEXT) | instid1(VALU_DEP_1)
	v_and_b32_e32 v4, 0x7f800000, v5
	v_cmp_ne_u32_e64 s0, 0x7f800000, v4
                                        ; implicit-def: $vgpr4
	s_delay_alu instid0(VALU_DEP_1) | instskip(NEXT) | instid1(SALU_CYCLE_1)
	s_and_saveexec_b32 s9, s0
	s_xor_b32 s0, exec_lo, s9
; %bb.1354:                             ;   in Loop: Header=BB458_1183 Depth=1
	v_bfe_u32 v4, v5, 16, 1
	s_delay_alu instid0(VALU_DEP_1)
	v_add3_u32 v4, v5, v4, 0x7fff
                                        ; implicit-def: $vgpr5
; %bb.1355:                             ;   in Loop: Header=BB458_1183 Depth=1
	s_and_not1_saveexec_b32 s9, s0
; %bb.1356:                             ;   in Loop: Header=BB458_1183 Depth=1
	v_and_b32_e32 v4, 0xffff, v5
	v_or_b32_e32 v6, 0x10000, v5
	s_delay_alu instid0(VALU_DEP_2) | instskip(NEXT) | instid1(VALU_DEP_1)
	v_cmp_eq_u32_e64 s0, 0, v4
	v_cndmask_b32_e64 v4, v6, v5, s0
; %bb.1357:                             ;   in Loop: Header=BB458_1183 Depth=1
	s_or_b32 exec_lo, exec_lo, s9
	v_lshrrev_b16 v6, 8, v2
	v_mov_b32_e32 v5, 0
	s_mov_b32 s9, exec_lo
	s_delay_alu instid0(VALU_DEP_2)
	v_cmpx_ne_u16_e32 0, v6
	s_cbranch_execz .LBB458_1365
; %bb.1358:                             ;   in Loop: Header=BB458_1183 Depth=1
	v_bfrev_b32_e32 v5, 1
	s_mov_b32 s12, exec_lo
	v_cmpx_ne_u16_e32 0x80, v6
	s_cbranch_execz .LBB458_1364
; %bb.1359:                             ;   in Loop: Header=BB458_1183 Depth=1
	v_and_b32_e32 v7, 0xffff, v6
	v_mov_b32_e32 v5, 0x7f800001
	s_mov_b32 s13, exec_lo
	s_delay_alu instid0(VALU_DEP_2) | instskip(NEXT) | instid1(VALU_DEP_1)
	v_and_b32_e32 v6, 0x7f, v7
	v_cmpx_ne_u32_e32 0x7f, v6
	s_cbranch_execz .LBB458_1363
; %bb.1360:                             ;   in Loop: Header=BB458_1183 Depth=1
	v_and_b32_e32 v9, 7, v7
	v_lshrrev_b32_e32 v5, 3, v6
	s_mov_b32 s15, exec_lo
	v_cmpx_gt_u32_e32 8, v6
; %bb.1361:                             ;   in Loop: Header=BB458_1183 Depth=1
	s_delay_alu instid0(VALU_DEP_3) | instskip(NEXT) | instid1(VALU_DEP_1)
	v_clz_i32_u32_e32 v5, v9
	v_min_u32_e32 v5, 32, v5
	s_delay_alu instid0(VALU_DEP_1) | instskip(SKIP_1) | instid1(VALU_DEP_2)
	v_subrev_nc_u32_e32 v6, 28, v5
	v_sub_nc_u32_e32 v5, 29, v5
	v_lshlrev_b64 v[6:7], v6, v[9:10]
	s_delay_alu instid0(VALU_DEP_1)
	v_and_b32_e32 v9, 7, v6
; %bb.1362:                             ;   in Loop: Header=BB458_1183 Depth=1
	s_or_b32 exec_lo, exec_lo, s15
	v_lshlrev_b32_e32 v6, 16, v2
	s_delay_alu instid0(VALU_DEP_2) | instskip(SKIP_1) | instid1(VALU_DEP_3)
	v_lshlrev_b32_e32 v7, 20, v9
	v_lshl_add_u32 v5, v5, 23, 0x3c000000
	v_and_b32_e32 v6, 0x80000000, v6
	s_delay_alu instid0(VALU_DEP_1)
	v_or3_b32 v5, v7, v6, v5
.LBB458_1363:                           ;   in Loop: Header=BB458_1183 Depth=1
	s_or_b32 exec_lo, exec_lo, s13
.LBB458_1364:                           ;   in Loop: Header=BB458_1183 Depth=1
	s_delay_alu instid0(SALU_CYCLE_1)
	s_or_b32 exec_lo, exec_lo, s12
.LBB458_1365:                           ;   in Loop: Header=BB458_1183 Depth=1
	s_delay_alu instid0(SALU_CYCLE_1) | instskip(NEXT) | instid1(VALU_DEP_1)
	s_or_b32 exec_lo, exec_lo, s9
	v_mul_f32_e32 v6, v26, v5
	s_delay_alu instid0(VALU_DEP_1) | instskip(NEXT) | instid1(VALU_DEP_1)
	v_and_b32_e32 v5, 0x7f800000, v6
	v_cmp_ne_u32_e64 s0, 0x7f800000, v5
                                        ; implicit-def: $vgpr5
	s_delay_alu instid0(VALU_DEP_1) | instskip(NEXT) | instid1(SALU_CYCLE_1)
	s_and_saveexec_b32 s9, s0
	s_xor_b32 s0, exec_lo, s9
; %bb.1366:                             ;   in Loop: Header=BB458_1183 Depth=1
	v_bfe_u32 v5, v6, 16, 1
	s_delay_alu instid0(VALU_DEP_1)
	v_add3_u32 v5, v6, v5, 0x7fff
                                        ; implicit-def: $vgpr6
; %bb.1367:                             ;   in Loop: Header=BB458_1183 Depth=1
	s_and_not1_saveexec_b32 s9, s0
; %bb.1368:                             ;   in Loop: Header=BB458_1183 Depth=1
	v_and_b32_e32 v5, 0xffff, v6
	v_or_b32_e32 v7, 0x10000, v6
	s_delay_alu instid0(VALU_DEP_2) | instskip(NEXT) | instid1(VALU_DEP_1)
	v_cmp_eq_u32_e64 s0, 0, v5
	v_cndmask_b32_e64 v5, v7, v6, s0
; %bb.1369:                             ;   in Loop: Header=BB458_1183 Depth=1
	s_or_b32 exec_lo, exec_lo, s9
	v_lshrrev_b32_e32 v6, 16, v2
	v_mov_b32_e32 v7, 0
	s_mov_b32 s9, exec_lo
	s_delay_alu instid0(VALU_DEP_2) | instskip(NEXT) | instid1(VALU_DEP_1)
	v_and_b32_e32 v9, 0xff, v6
	v_cmpx_ne_u16_e32 0, v9
	s_cbranch_execz .LBB458_1377
; %bb.1370:                             ;   in Loop: Header=BB458_1183 Depth=1
	v_bfrev_b32_e32 v7, 1
	s_mov_b32 s12, exec_lo
	v_cmpx_ne_u16_e32 0x80, v9
	s_cbranch_execz .LBB458_1376
; %bb.1371:                             ;   in Loop: Header=BB458_1183 Depth=1
	v_bfe_u32 v23, v2, 16, 7
	v_mov_b32_e32 v7, 0x7f800001
	s_mov_b32 s13, exec_lo
	s_delay_alu instid0(VALU_DEP_2)
	v_cmpx_ne_u32_e32 0x7f, v23
	s_cbranch_execz .LBB458_1375
; %bb.1372:                             ;   in Loop: Header=BB458_1183 Depth=1
	v_and_b32_e32 v9, 7, v6
	v_lshrrev_b32_e32 v7, 3, v23
	s_mov_b32 s15, exec_lo
	v_cmpx_gt_u32_e32 8, v23
; %bb.1373:                             ;   in Loop: Header=BB458_1183 Depth=1
	s_delay_alu instid0(VALU_DEP_3) | instskip(NEXT) | instid1(VALU_DEP_1)
	v_clz_i32_u32_e32 v7, v9
	v_min_u32_e32 v7, 32, v7
	s_delay_alu instid0(VALU_DEP_1) | instskip(SKIP_1) | instid1(VALU_DEP_2)
	v_subrev_nc_u32_e32 v23, 28, v7
	v_sub_nc_u32_e32 v7, 29, v7
	v_lshlrev_b64 v[96:97], v23, v[9:10]
	s_delay_alu instid0(VALU_DEP_1)
	v_and_b32_e32 v9, 7, v96
; %bb.1374:                             ;   in Loop: Header=BB458_1183 Depth=1
	s_or_b32 exec_lo, exec_lo, s15
	v_lshlrev_b32_e32 v6, 24, v6
	s_delay_alu instid0(VALU_DEP_2) | instskip(SKIP_1) | instid1(VALU_DEP_3)
	v_lshlrev_b32_e32 v9, 20, v9
	v_lshl_add_u32 v7, v7, 23, 0x3c000000
	v_and_b32_e32 v6, 0x80000000, v6
	s_delay_alu instid0(VALU_DEP_1)
	v_or3_b32 v7, v9, v6, v7
.LBB458_1375:                           ;   in Loop: Header=BB458_1183 Depth=1
	s_or_b32 exec_lo, exec_lo, s13
.LBB458_1376:                           ;   in Loop: Header=BB458_1183 Depth=1
	s_delay_alu instid0(SALU_CYCLE_1)
	s_or_b32 exec_lo, exec_lo, s12
.LBB458_1377:                           ;   in Loop: Header=BB458_1183 Depth=1
	s_delay_alu instid0(SALU_CYCLE_1) | instskip(NEXT) | instid1(VALU_DEP_1)
	s_or_b32 exec_lo, exec_lo, s9
	v_mul_f32_e32 v6, v26, v7
                                        ; implicit-def: $vgpr23
	s_delay_alu instid0(VALU_DEP_1) | instskip(NEXT) | instid1(VALU_DEP_1)
	v_and_b32_e32 v7, 0x7f800000, v6
	v_cmp_ne_u32_e64 s0, 0x7f800000, v7
	s_delay_alu instid0(VALU_DEP_1) | instskip(NEXT) | instid1(SALU_CYCLE_1)
	s_and_saveexec_b32 s9, s0
	s_xor_b32 s0, exec_lo, s9
; %bb.1378:                             ;   in Loop: Header=BB458_1183 Depth=1
	v_bfe_u32 v7, v6, 16, 1
	s_delay_alu instid0(VALU_DEP_1)
	v_add3_u32 v23, v6, v7, 0x7fff
                                        ; implicit-def: $vgpr6
; %bb.1379:                             ;   in Loop: Header=BB458_1183 Depth=1
	s_and_not1_saveexec_b32 s9, s0
; %bb.1380:                             ;   in Loop: Header=BB458_1183 Depth=1
	v_and_b32_e32 v7, 0xffff, v6
	v_or_b32_e32 v9, 0x10000, v6
	s_delay_alu instid0(VALU_DEP_2) | instskip(NEXT) | instid1(VALU_DEP_1)
	v_cmp_eq_u32_e64 s0, 0, v7
	v_cndmask_b32_e64 v23, v9, v6, s0
; %bb.1381:                             ;   in Loop: Header=BB458_1183 Depth=1
	s_or_b32 exec_lo, exec_lo, s9
	v_mov_b32_e32 v7, 0
	s_mov_b32 s9, exec_lo
	v_cmpx_lt_u32_e32 0xffffff, v2
	s_cbranch_execz .LBB458_1389
; %bb.1382:                             ;   in Loop: Header=BB458_1183 Depth=1
	v_lshrrev_b32_e32 v6, 24, v2
	v_bfrev_b32_e32 v7, 1
	s_mov_b32 s12, exec_lo
	s_delay_alu instid0(VALU_DEP_2)
	v_cmpx_ne_u32_e32 0x80, v6
	s_cbranch_execz .LBB458_1388
; %bb.1383:                             ;   in Loop: Header=BB458_1183 Depth=1
	v_bfe_u32 v34, v2, 24, 7
	v_mov_b32_e32 v7, 0x7f800001
	s_mov_b32 s13, exec_lo
	s_delay_alu instid0(VALU_DEP_2)
	v_cmpx_ne_u32_e32 0x7f, v34
	s_cbranch_execz .LBB458_1387
; %bb.1384:                             ;   in Loop: Header=BB458_1183 Depth=1
	v_and_b32_e32 v9, 7, v6
	v_lshrrev_b32_e32 v7, 3, v34
	s_mov_b32 s15, exec_lo
	v_cmpx_gt_u32_e32 8, v34
; %bb.1385:                             ;   in Loop: Header=BB458_1183 Depth=1
	s_delay_alu instid0(VALU_DEP_3) | instskip(NEXT) | instid1(VALU_DEP_1)
	v_clz_i32_u32_e32 v7, v9
	v_min_u32_e32 v7, 32, v7
	s_delay_alu instid0(VALU_DEP_1) | instskip(SKIP_1) | instid1(VALU_DEP_2)
	v_subrev_nc_u32_e32 v34, 28, v7
	v_sub_nc_u32_e32 v7, 29, v7
	v_lshlrev_b64 v[96:97], v34, v[9:10]
	s_delay_alu instid0(VALU_DEP_1)
	v_and_b32_e32 v9, 7, v96
; %bb.1386:                             ;   in Loop: Header=BB458_1183 Depth=1
	s_or_b32 exec_lo, exec_lo, s15
	v_lshlrev_b32_e32 v6, 24, v6
	s_delay_alu instid0(VALU_DEP_2) | instskip(SKIP_1) | instid1(VALU_DEP_3)
	v_lshlrev_b32_e32 v9, 20, v9
	v_lshl_add_u32 v7, v7, 23, 0x3c000000
	v_and_b32_e32 v6, 0x80000000, v6
	s_delay_alu instid0(VALU_DEP_1)
	v_or3_b32 v7, v9, v6, v7
.LBB458_1387:                           ;   in Loop: Header=BB458_1183 Depth=1
	s_or_b32 exec_lo, exec_lo, s13
.LBB458_1388:                           ;   in Loop: Header=BB458_1183 Depth=1
	s_delay_alu instid0(SALU_CYCLE_1)
	s_or_b32 exec_lo, exec_lo, s12
.LBB458_1389:                           ;   in Loop: Header=BB458_1183 Depth=1
	s_delay_alu instid0(SALU_CYCLE_1) | instskip(NEXT) | instid1(VALU_DEP_1)
	s_or_b32 exec_lo, exec_lo, s9
	v_mul_f32_e32 v6, v26, v7
                                        ; implicit-def: $vgpr34
	s_delay_alu instid0(VALU_DEP_1) | instskip(NEXT) | instid1(VALU_DEP_1)
	v_and_b32_e32 v7, 0x7f800000, v6
	v_cmp_ne_u32_e64 s0, 0x7f800000, v7
	s_delay_alu instid0(VALU_DEP_1) | instskip(NEXT) | instid1(SALU_CYCLE_1)
	s_and_saveexec_b32 s9, s0
	s_xor_b32 s0, exec_lo, s9
; %bb.1390:                             ;   in Loop: Header=BB458_1183 Depth=1
	v_bfe_u32 v7, v6, 16, 1
	s_delay_alu instid0(VALU_DEP_1)
	v_add3_u32 v34, v6, v7, 0x7fff
                                        ; implicit-def: $vgpr6
; %bb.1391:                             ;   in Loop: Header=BB458_1183 Depth=1
	s_and_not1_saveexec_b32 s9, s0
; %bb.1392:                             ;   in Loop: Header=BB458_1183 Depth=1
	v_and_b32_e32 v7, 0xffff, v6
	v_or_b32_e32 v9, 0x10000, v6
	s_delay_alu instid0(VALU_DEP_2) | instskip(NEXT) | instid1(VALU_DEP_1)
	v_cmp_eq_u32_e64 s0, 0, v7
	v_cndmask_b32_e64 v34, v9, v6, s0
; %bb.1393:                             ;   in Loop: Header=BB458_1183 Depth=1
	s_or_b32 exec_lo, exec_lo, s9
	v_dual_mov_b32 v6, 0 :: v_dual_and_b32 v7, 0xff, v3
	v_mov_b32_e32 v9, v3
	s_mov_b32 s9, exec_lo
	s_delay_alu instid0(VALU_DEP_2)
	v_cmpx_ne_u16_e32 0, v7
	s_cbranch_execz .LBB458_1401
; %bb.1394:                             ;   in Loop: Header=BB458_1183 Depth=1
	v_bfrev_b32_e32 v6, 1
	s_mov_b32 s12, exec_lo
	v_cmpx_ne_u16_e32 0x80, v7
	s_cbranch_execz .LBB458_1400
; %bb.1395:                             ;   in Loop: Header=BB458_1183 Depth=1
	v_and_b32_e32 v7, 0x7f, v3
	v_mov_b32_e32 v6, 0x7f800001
	s_mov_b32 s13, exec_lo
	s_delay_alu instid0(VALU_DEP_2)
	v_cmpx_ne_u32_e32 0x7f, v7
	s_cbranch_execz .LBB458_1399
; %bb.1396:                             ;   in Loop: Header=BB458_1183 Depth=1
	v_lshrrev_b32_e32 v36, 3, v7
	v_cmp_gt_u32_e64 s0, 8, v7
	v_dual_mov_b32 v6, v9 :: v_dual_mov_b32 v7, v10
	s_delay_alu instid0(VALU_DEP_2)
	s_and_saveexec_b32 s15, s0
; %bb.1397:                             ;   in Loop: Header=BB458_1183 Depth=1
	v_and_b32_e32 v6, 7, v3
	s_delay_alu instid0(VALU_DEP_1) | instskip(NEXT) | instid1(VALU_DEP_1)
	v_clz_i32_u32_e32 v6, v6
	v_min_u32_e32 v36, 32, v6
	s_delay_alu instid0(VALU_DEP_1) | instskip(SKIP_1) | instid1(VALU_DEP_2)
	v_subrev_nc_u32_e32 v6, 28, v36
	v_sub_nc_u32_e32 v36, 29, v36
	v_lshlrev_b64 v[6:7], v6, v[9:10]
; %bb.1398:                             ;   in Loop: Header=BB458_1183 Depth=1
	s_or_b32 exec_lo, exec_lo, s15
	s_delay_alu instid0(VALU_DEP_1) | instskip(SKIP_2) | instid1(VALU_DEP_3)
	v_lshlrev_b32_e32 v6, 20, v6
	v_lshlrev_b32_e32 v7, 24, v9
	v_lshl_add_u32 v36, v36, 23, 0x3c000000
	v_and_b32_e32 v6, 0x700000, v6
	s_delay_alu instid0(VALU_DEP_3) | instskip(NEXT) | instid1(VALU_DEP_1)
	v_and_b32_e32 v7, 0x80000000, v7
	v_or3_b32 v6, v6, v7, v36
.LBB458_1399:                           ;   in Loop: Header=BB458_1183 Depth=1
	s_or_b32 exec_lo, exec_lo, s13
.LBB458_1400:                           ;   in Loop: Header=BB458_1183 Depth=1
	s_delay_alu instid0(SALU_CYCLE_1)
	s_or_b32 exec_lo, exec_lo, s12
.LBB458_1401:                           ;   in Loop: Header=BB458_1183 Depth=1
	s_delay_alu instid0(SALU_CYCLE_1) | instskip(NEXT) | instid1(VALU_DEP_1)
	s_or_b32 exec_lo, exec_lo, s9
	v_mul_f32_e32 v6, v26, v6
                                        ; implicit-def: $vgpr36
	s_delay_alu instid0(VALU_DEP_1) | instskip(NEXT) | instid1(VALU_DEP_1)
	v_and_b32_e32 v7, 0x7f800000, v6
	v_cmp_ne_u32_e64 s0, 0x7f800000, v7
	s_delay_alu instid0(VALU_DEP_1) | instskip(NEXT) | instid1(SALU_CYCLE_1)
	s_and_saveexec_b32 s9, s0
	s_xor_b32 s0, exec_lo, s9
; %bb.1402:                             ;   in Loop: Header=BB458_1183 Depth=1
	v_bfe_u32 v7, v6, 16, 1
	s_delay_alu instid0(VALU_DEP_1)
	v_add3_u32 v36, v6, v7, 0x7fff
                                        ; implicit-def: $vgpr6
; %bb.1403:                             ;   in Loop: Header=BB458_1183 Depth=1
	s_and_not1_saveexec_b32 s9, s0
; %bb.1404:                             ;   in Loop: Header=BB458_1183 Depth=1
	v_and_b32_e32 v7, 0xffff, v6
	v_or_b32_e32 v36, 0x10000, v6
	s_delay_alu instid0(VALU_DEP_2) | instskip(NEXT) | instid1(VALU_DEP_1)
	v_cmp_eq_u32_e64 s0, 0, v7
	v_cndmask_b32_e64 v36, v36, v6, s0
; %bb.1405:                             ;   in Loop: Header=BB458_1183 Depth=1
	s_or_b32 exec_lo, exec_lo, s9
	v_lshrrev_b16 v7, 8, v9
	v_mov_b32_e32 v6, 0
	s_mov_b32 s9, exec_lo
	s_delay_alu instid0(VALU_DEP_2)
	v_cmpx_ne_u16_e32 0, v7
	s_cbranch_execz .LBB458_1413
; %bb.1406:                             ;   in Loop: Header=BB458_1183 Depth=1
	v_bfrev_b32_e32 v6, 1
	s_mov_b32 s12, exec_lo
	v_cmpx_ne_u16_e32 0x80, v7
	s_cbranch_execz .LBB458_1412
; %bb.1407:                             ;   in Loop: Header=BB458_1183 Depth=1
	v_and_b32_e32 v7, 0xffff, v7
	v_mov_b32_e32 v6, 0x7f800001
	s_mov_b32 s13, exec_lo
	s_delay_alu instid0(VALU_DEP_2) | instskip(NEXT) | instid1(VALU_DEP_1)
	v_and_b32_e32 v96, 0x7f, v7
	v_cmpx_ne_u32_e32 0x7f, v96
	s_cbranch_execz .LBB458_1411
; %bb.1408:                             ;   in Loop: Header=BB458_1183 Depth=1
	v_dual_mov_b32 v7, v10 :: v_dual_and_b32 v6, 7, v7
	v_lshrrev_b32_e32 v87, 3, v96
	s_mov_b32 s15, exec_lo
	v_cmpx_gt_u32_e32 8, v96
; %bb.1409:                             ;   in Loop: Header=BB458_1183 Depth=1
	s_delay_alu instid0(VALU_DEP_3) | instskip(NEXT) | instid1(VALU_DEP_1)
	v_clz_i32_u32_e32 v87, v6
	v_min_u32_e32 v87, 32, v87
	s_delay_alu instid0(VALU_DEP_1) | instskip(SKIP_1) | instid1(VALU_DEP_2)
	v_subrev_nc_u32_e32 v96, 28, v87
	v_sub_nc_u32_e32 v87, 29, v87
	v_lshlrev_b64 v[6:7], v96, v[6:7]
	s_delay_alu instid0(VALU_DEP_1)
	v_and_b32_e32 v6, 7, v6
; %bb.1410:                             ;   in Loop: Header=BB458_1183 Depth=1
	s_or_b32 exec_lo, exec_lo, s15
	v_lshlrev_b32_e32 v7, 16, v9
	s_delay_alu instid0(VALU_DEP_2) | instskip(SKIP_1) | instid1(VALU_DEP_3)
	v_lshlrev_b32_e32 v6, 20, v6
	v_lshl_add_u32 v9, v87, 23, 0x3c000000
	v_and_b32_e32 v7, 0x80000000, v7
	s_delay_alu instid0(VALU_DEP_1)
	v_or3_b32 v6, v6, v7, v9
.LBB458_1411:                           ;   in Loop: Header=BB458_1183 Depth=1
	s_or_b32 exec_lo, exec_lo, s13
.LBB458_1412:                           ;   in Loop: Header=BB458_1183 Depth=1
	s_delay_alu instid0(SALU_CYCLE_1)
	s_or_b32 exec_lo, exec_lo, s12
.LBB458_1413:                           ;   in Loop: Header=BB458_1183 Depth=1
	s_delay_alu instid0(SALU_CYCLE_1) | instskip(NEXT) | instid1(VALU_DEP_1)
	s_or_b32 exec_lo, exec_lo, s9
	v_mul_f32_e32 v7, v26, v6
	s_delay_alu instid0(VALU_DEP_1) | instskip(NEXT) | instid1(VALU_DEP_1)
	v_and_b32_e32 v6, 0x7f800000, v7
	v_cmp_ne_u32_e64 s0, 0x7f800000, v6
                                        ; implicit-def: $vgpr6
	s_delay_alu instid0(VALU_DEP_1) | instskip(NEXT) | instid1(SALU_CYCLE_1)
	s_and_saveexec_b32 s9, s0
	s_xor_b32 s0, exec_lo, s9
; %bb.1414:                             ;   in Loop: Header=BB458_1183 Depth=1
	v_bfe_u32 v6, v7, 16, 1
	s_delay_alu instid0(VALU_DEP_1)
	v_add3_u32 v6, v7, v6, 0x7fff
                                        ; implicit-def: $vgpr7
; %bb.1415:                             ;   in Loop: Header=BB458_1183 Depth=1
	s_and_not1_saveexec_b32 s9, s0
; %bb.1416:                             ;   in Loop: Header=BB458_1183 Depth=1
	v_and_b32_e32 v6, 0xffff, v7
	v_or_b32_e32 v9, 0x10000, v7
	s_delay_alu instid0(VALU_DEP_2) | instskip(NEXT) | instid1(VALU_DEP_1)
	v_cmp_eq_u32_e64 s0, 0, v6
	v_cndmask_b32_e64 v6, v9, v7, s0
; %bb.1417:                             ;   in Loop: Header=BB458_1183 Depth=1
	s_or_b32 exec_lo, exec_lo, s9
	v_lshrrev_b32_e32 v7, 16, v3
	v_mov_b32_e32 v9, 0
	s_mov_b32 s9, exec_lo
	s_delay_alu instid0(VALU_DEP_2) | instskip(NEXT) | instid1(VALU_DEP_1)
	v_and_b32_e32 v87, 0xff, v7
	v_cmpx_ne_u16_e32 0, v87
	s_cbranch_execz .LBB458_1425
; %bb.1418:                             ;   in Loop: Header=BB458_1183 Depth=1
	v_bfrev_b32_e32 v9, 1
	s_mov_b32 s12, exec_lo
	v_cmpx_ne_u16_e32 0x80, v87
	s_cbranch_execz .LBB458_1424
; %bb.1419:                             ;   in Loop: Header=BB458_1183 Depth=1
	v_bfe_u32 v96, v3, 16, 7
	v_mov_b32_e32 v9, 0x7f800001
	s_mov_b32 s13, exec_lo
	s_delay_alu instid0(VALU_DEP_2)
	v_cmpx_ne_u32_e32 0x7f, v96
	s_cbranch_execz .LBB458_1423
; %bb.1420:                             ;   in Loop: Header=BB458_1183 Depth=1
	v_and_b32_e32 v9, 7, v7
	v_lshrrev_b32_e32 v87, 3, v96
	s_mov_b32 s15, exec_lo
	v_cmpx_gt_u32_e32 8, v96
; %bb.1421:                             ;   in Loop: Header=BB458_1183 Depth=1
	s_delay_alu instid0(VALU_DEP_3) | instskip(NEXT) | instid1(VALU_DEP_1)
	v_clz_i32_u32_e32 v87, v9
	v_min_u32_e32 v87, 32, v87
	s_delay_alu instid0(VALU_DEP_1) | instskip(SKIP_1) | instid1(VALU_DEP_2)
	v_subrev_nc_u32_e32 v96, 28, v87
	v_sub_nc_u32_e32 v87, 29, v87
	v_lshlrev_b64 v[96:97], v96, v[9:10]
	s_delay_alu instid0(VALU_DEP_1)
	v_and_b32_e32 v9, 7, v96
; %bb.1422:                             ;   in Loop: Header=BB458_1183 Depth=1
	s_or_b32 exec_lo, exec_lo, s15
	v_lshlrev_b32_e32 v7, 24, v7
	s_delay_alu instid0(VALU_DEP_2) | instskip(SKIP_1) | instid1(VALU_DEP_3)
	v_lshlrev_b32_e32 v9, 20, v9
	v_lshl_add_u32 v87, v87, 23, 0x3c000000
	v_and_b32_e32 v7, 0x80000000, v7
	s_delay_alu instid0(VALU_DEP_1)
	v_or3_b32 v9, v9, v7, v87
.LBB458_1423:                           ;   in Loop: Header=BB458_1183 Depth=1
	s_or_b32 exec_lo, exec_lo, s13
.LBB458_1424:                           ;   in Loop: Header=BB458_1183 Depth=1
	s_delay_alu instid0(SALU_CYCLE_1)
	s_or_b32 exec_lo, exec_lo, s12
.LBB458_1425:                           ;   in Loop: Header=BB458_1183 Depth=1
	s_delay_alu instid0(SALU_CYCLE_1) | instskip(NEXT) | instid1(VALU_DEP_1)
	s_or_b32 exec_lo, exec_lo, s9
	v_mul_f32_e32 v7, v26, v9
                                        ; implicit-def: $vgpr87
	s_delay_alu instid0(VALU_DEP_1) | instskip(NEXT) | instid1(VALU_DEP_1)
	v_and_b32_e32 v9, 0x7f800000, v7
	v_cmp_ne_u32_e64 s0, 0x7f800000, v9
	s_delay_alu instid0(VALU_DEP_1) | instskip(NEXT) | instid1(SALU_CYCLE_1)
	s_and_saveexec_b32 s9, s0
	s_xor_b32 s0, exec_lo, s9
; %bb.1426:                             ;   in Loop: Header=BB458_1183 Depth=1
	v_bfe_u32 v9, v7, 16, 1
	s_delay_alu instid0(VALU_DEP_1)
	v_add3_u32 v87, v7, v9, 0x7fff
                                        ; implicit-def: $vgpr7
; %bb.1427:                             ;   in Loop: Header=BB458_1183 Depth=1
	s_and_not1_saveexec_b32 s9, s0
; %bb.1428:                             ;   in Loop: Header=BB458_1183 Depth=1
	v_and_b32_e32 v9, 0xffff, v7
	v_or_b32_e32 v87, 0x10000, v7
	s_delay_alu instid0(VALU_DEP_2) | instskip(NEXT) | instid1(VALU_DEP_1)
	v_cmp_eq_u32_e64 s0, 0, v9
	v_cndmask_b32_e64 v87, v87, v7, s0
; %bb.1429:                             ;   in Loop: Header=BB458_1183 Depth=1
	s_or_b32 exec_lo, exec_lo, s9
	v_mov_b32_e32 v7, 0
	s_mov_b32 s9, exec_lo
	v_cmpx_lt_u64_e64 s[2:3], v[2:3]
	s_cbranch_execz .LBB458_1437
; %bb.1430:                             ;   in Loop: Header=BB458_1183 Depth=1
	v_lshrrev_b32_e32 v2, 24, v3
	v_bfrev_b32_e32 v7, 1
	s_mov_b32 s12, exec_lo
	s_delay_alu instid0(VALU_DEP_2)
	v_cmpx_ne_u32_e32 0x80, v2
	s_cbranch_execz .LBB458_1436
; %bb.1431:                             ;   in Loop: Header=BB458_1183 Depth=1
	v_bfe_u32 v96, v3, 24, 7
	v_mov_b32_e32 v7, 0x7f800001
	s_mov_b32 s13, exec_lo
	s_delay_alu instid0(VALU_DEP_2)
	v_cmpx_ne_u32_e32 0x7f, v96
	s_cbranch_execz .LBB458_1435
; %bb.1432:                             ;   in Loop: Header=BB458_1183 Depth=1
	v_and_b32_e32 v9, 7, v2
	v_lshrrev_b32_e32 v3, 3, v96
	s_mov_b32 s15, exec_lo
	v_cmpx_gt_u32_e32 8, v96
; %bb.1433:                             ;   in Loop: Header=BB458_1183 Depth=1
	s_delay_alu instid0(VALU_DEP_3) | instskip(NEXT) | instid1(VALU_DEP_1)
	v_clz_i32_u32_e32 v3, v9
	v_min_u32_e32 v3, 32, v3
	s_delay_alu instid0(VALU_DEP_1) | instskip(SKIP_1) | instid1(VALU_DEP_2)
	v_subrev_nc_u32_e32 v7, 28, v3
	v_sub_nc_u32_e32 v3, 29, v3
	v_lshlrev_b64 v[96:97], v7, v[9:10]
	s_delay_alu instid0(VALU_DEP_1)
	v_and_b32_e32 v9, 7, v96
; %bb.1434:                             ;   in Loop: Header=BB458_1183 Depth=1
	s_or_b32 exec_lo, exec_lo, s15
	v_lshlrev_b32_e32 v2, 24, v2
	s_delay_alu instid0(VALU_DEP_2) | instskip(SKIP_1) | instid1(VALU_DEP_3)
	v_lshlrev_b32_e32 v7, 20, v9
	v_lshl_add_u32 v3, v3, 23, 0x3c000000
	v_and_b32_e32 v2, 0x80000000, v2
	s_delay_alu instid0(VALU_DEP_1)
	v_or3_b32 v7, v7, v2, v3
.LBB458_1435:                           ;   in Loop: Header=BB458_1183 Depth=1
	s_or_b32 exec_lo, exec_lo, s13
.LBB458_1436:                           ;   in Loop: Header=BB458_1183 Depth=1
	s_delay_alu instid0(SALU_CYCLE_1)
	s_or_b32 exec_lo, exec_lo, s12
.LBB458_1437:                           ;   in Loop: Header=BB458_1183 Depth=1
	s_delay_alu instid0(SALU_CYCLE_1) | instskip(NEXT) | instid1(VALU_DEP_1)
	s_or_b32 exec_lo, exec_lo, s9
	v_mul_f32_e32 v3, v26, v7
	s_delay_alu instid0(VALU_DEP_1) | instskip(NEXT) | instid1(VALU_DEP_1)
	v_and_b32_e32 v2, 0x7f800000, v3
	v_cmp_ne_u32_e64 s0, 0x7f800000, v2
                                        ; implicit-def: $vgpr2
	s_delay_alu instid0(VALU_DEP_1) | instskip(NEXT) | instid1(SALU_CYCLE_1)
	s_and_saveexec_b32 s9, s0
	s_xor_b32 s0, exec_lo, s9
; %bb.1438:                             ;   in Loop: Header=BB458_1183 Depth=1
	v_bfe_u32 v2, v3, 16, 1
	s_delay_alu instid0(VALU_DEP_1)
	v_add3_u32 v2, v3, v2, 0x7fff
                                        ; implicit-def: $vgpr3
; %bb.1439:                             ;   in Loop: Header=BB458_1183 Depth=1
	s_and_not1_saveexec_b32 s9, s0
; %bb.1440:                             ;   in Loop: Header=BB458_1183 Depth=1
	v_and_b32_e32 v2, 0xffff, v3
	v_or_b32_e32 v7, 0x10000, v3
	s_delay_alu instid0(VALU_DEP_2) | instskip(NEXT) | instid1(VALU_DEP_1)
	v_cmp_eq_u32_e64 s0, 0, v2
	v_cndmask_b32_e64 v2, v7, v3, s0
; %bb.1441:                             ;   in Loop: Header=BB458_1183 Depth=1
	s_or_b32 exec_lo, exec_lo, s9
	v_lshrrev_b32_e32 v6, 16, v6
	v_lshrrev_b32_e32 v7, 16, v36
	;; [unrolled: 1-line block ×8, first 2 shown]
	s_and_saveexec_b32 s9, vcc_lo
	s_cbranch_execz .LBB458_1443
; %bb.1442:                             ;   in Loop: Header=BB458_1183 Depth=1
	v_cmp_lt_i32_e64 s0, v64, v35
	s_delay_alu instid0(VALU_DEP_1) | instskip(SKIP_1) | instid1(VALU_DEP_1)
	v_cndmask_b32_e64 v4, 0, v4, s0
	v_cmp_lt_i32_e64 s0, v70, v35
	v_cndmask_b32_e64 v5, 0, v5, s0
	v_cmp_lt_i32_e64 s0, v69, v35
	s_delay_alu instid0(VALU_DEP_1) | instskip(SKIP_1) | instid1(VALU_DEP_1)
	v_cndmask_b32_e64 v23, 0, v23, s0
	v_cmp_lt_i32_e64 s0, v68, v35
	v_cndmask_b32_e64 v9, 0, v9, s0
	;; [unrolled: 5-line block ×4, first 2 shown]
.LBB458_1443:                           ;   in Loop: Header=BB458_1183 Depth=1
	s_or_b32 exec_lo, exec_lo, s9
	v_lshlrev_b32_e32 v4, 16, v4
                                        ; implicit-def: $vgpr87
	s_delay_alu instid0(VALU_DEP_1) | instskip(NEXT) | instid1(VALU_DEP_1)
	v_mul_f32_e32 v4, v71, v4
	v_and_b32_e32 v34, 0x7f800000, v4
	s_delay_alu instid0(VALU_DEP_1) | instskip(NEXT) | instid1(VALU_DEP_1)
	v_cmp_ne_u32_e64 s0, 0x7f800000, v34
	s_and_saveexec_b32 s9, s0
	s_delay_alu instid0(SALU_CYCLE_1)
	s_xor_b32 s0, exec_lo, s9
; %bb.1444:                             ;   in Loop: Header=BB458_1183 Depth=1
	v_bfe_u32 v34, v4, 16, 1
	s_delay_alu instid0(VALU_DEP_1)
	v_add3_u32 v87, v4, v34, 0x7fff
                                        ; implicit-def: $vgpr4
; %bb.1445:                             ;   in Loop: Header=BB458_1183 Depth=1
	s_and_not1_saveexec_b32 s9, s0
; %bb.1446:                             ;   in Loop: Header=BB458_1183 Depth=1
	v_and_b32_e32 v34, 0xffff, v4
	v_or_b32_e32 v36, 0x10000, v4
	s_delay_alu instid0(VALU_DEP_2) | instskip(NEXT) | instid1(VALU_DEP_1)
	v_cmp_eq_u32_e64 s0, 0, v34
	v_cndmask_b32_e64 v87, v36, v4, s0
; %bb.1447:                             ;   in Loop: Header=BB458_1183 Depth=1
	s_or_b32 exec_lo, exec_lo, s9
	v_lshlrev_b32_e32 v4, 16, v5
                                        ; implicit-def: $vgpr96
	s_delay_alu instid0(VALU_DEP_1) | instskip(NEXT) | instid1(VALU_DEP_1)
	v_mul_f32_e32 v4, v80, v4
	v_and_b32_e32 v5, 0x7f800000, v4
	s_delay_alu instid0(VALU_DEP_1) | instskip(NEXT) | instid1(VALU_DEP_1)
	v_cmp_ne_u32_e64 s0, 0x7f800000, v5
	s_and_saveexec_b32 s9, s0
	s_delay_alu instid0(SALU_CYCLE_1)
	s_xor_b32 s0, exec_lo, s9
; %bb.1448:                             ;   in Loop: Header=BB458_1183 Depth=1
	v_bfe_u32 v5, v4, 16, 1
	s_delay_alu instid0(VALU_DEP_1)
	v_add3_u32 v96, v4, v5, 0x7fff
                                        ; implicit-def: $vgpr4
; %bb.1449:                             ;   in Loop: Header=BB458_1183 Depth=1
	s_and_not1_saveexec_b32 s9, s0
; %bb.1450:                             ;   in Loop: Header=BB458_1183 Depth=1
	v_and_b32_e32 v5, 0xffff, v4
	v_or_b32_e32 v34, 0x10000, v4
	s_delay_alu instid0(VALU_DEP_2) | instskip(NEXT) | instid1(VALU_DEP_1)
	v_cmp_eq_u32_e64 s0, 0, v5
	v_cndmask_b32_e64 v96, v34, v4, s0
; %bb.1451:                             ;   in Loop: Header=BB458_1183 Depth=1
	s_or_b32 exec_lo, exec_lo, s9
	v_lshlrev_b32_e32 v4, 16, v23
                                        ; implicit-def: $vgpr97
	s_delay_alu instid0(VALU_DEP_1) | instskip(NEXT) | instid1(VALU_DEP_1)
	v_mul_f32_e32 v4, v81, v4
	v_and_b32_e32 v5, 0x7f800000, v4
	s_delay_alu instid0(VALU_DEP_1) | instskip(NEXT) | instid1(VALU_DEP_1)
	v_cmp_ne_u32_e64 s0, 0x7f800000, v5
	s_and_saveexec_b32 s9, s0
	s_delay_alu instid0(SALU_CYCLE_1)
	s_xor_b32 s0, exec_lo, s9
; %bb.1452:                             ;   in Loop: Header=BB458_1183 Depth=1
	v_bfe_u32 v5, v4, 16, 1
	s_delay_alu instid0(VALU_DEP_1)
	v_add3_u32 v97, v4, v5, 0x7fff
                                        ; implicit-def: $vgpr4
; %bb.1453:                             ;   in Loop: Header=BB458_1183 Depth=1
	s_and_not1_saveexec_b32 s9, s0
; %bb.1454:                             ;   in Loop: Header=BB458_1183 Depth=1
	v_and_b32_e32 v5, 0xffff, v4
	v_or_b32_e32 v23, 0x10000, v4
	s_delay_alu instid0(VALU_DEP_2) | instskip(NEXT) | instid1(VALU_DEP_1)
	v_cmp_eq_u32_e64 s0, 0, v5
	v_cndmask_b32_e64 v97, v23, v4, s0
; %bb.1455:                             ;   in Loop: Header=BB458_1183 Depth=1
	s_or_b32 exec_lo, exec_lo, s9
	v_lshlrev_b32_e32 v4, 16, v9
                                        ; implicit-def: $vgpr98
	s_delay_alu instid0(VALU_DEP_1) | instskip(NEXT) | instid1(VALU_DEP_1)
	v_mul_f32_e32 v4, v82, v4
	v_and_b32_e32 v5, 0x7f800000, v4
	s_delay_alu instid0(VALU_DEP_1) | instskip(NEXT) | instid1(VALU_DEP_1)
	v_cmp_ne_u32_e64 s0, 0x7f800000, v5
	s_and_saveexec_b32 s9, s0
	s_delay_alu instid0(SALU_CYCLE_1)
	s_xor_b32 s0, exec_lo, s9
; %bb.1456:                             ;   in Loop: Header=BB458_1183 Depth=1
	v_bfe_u32 v5, v4, 16, 1
	s_delay_alu instid0(VALU_DEP_1)
	v_add3_u32 v98, v4, v5, 0x7fff
                                        ; implicit-def: $vgpr4
; %bb.1457:                             ;   in Loop: Header=BB458_1183 Depth=1
	s_and_not1_saveexec_b32 s9, s0
; %bb.1458:                             ;   in Loop: Header=BB458_1183 Depth=1
	v_and_b32_e32 v5, 0xffff, v4
	v_or_b32_e32 v9, 0x10000, v4
	s_delay_alu instid0(VALU_DEP_2) | instskip(NEXT) | instid1(VALU_DEP_1)
	v_cmp_eq_u32_e64 s0, 0, v5
	v_cndmask_b32_e64 v98, v9, v4, s0
; %bb.1459:                             ;   in Loop: Header=BB458_1183 Depth=1
	s_or_b32 exec_lo, exec_lo, s9
	v_lshlrev_b32_e32 v4, 16, v7
                                        ; implicit-def: $vgpr99
	s_delay_alu instid0(VALU_DEP_1) | instskip(NEXT) | instid1(VALU_DEP_1)
	v_mul_f32_e32 v4, v83, v4
	v_and_b32_e32 v5, 0x7f800000, v4
	s_delay_alu instid0(VALU_DEP_1) | instskip(NEXT) | instid1(VALU_DEP_1)
	v_cmp_ne_u32_e64 s0, 0x7f800000, v5
	s_and_saveexec_b32 s9, s0
	s_delay_alu instid0(SALU_CYCLE_1)
	s_xor_b32 s0, exec_lo, s9
; %bb.1460:                             ;   in Loop: Header=BB458_1183 Depth=1
	v_bfe_u32 v5, v4, 16, 1
	s_delay_alu instid0(VALU_DEP_1)
	v_add3_u32 v99, v4, v5, 0x7fff
                                        ; implicit-def: $vgpr4
; %bb.1461:                             ;   in Loop: Header=BB458_1183 Depth=1
	s_and_not1_saveexec_b32 s9, s0
; %bb.1462:                             ;   in Loop: Header=BB458_1183 Depth=1
	v_and_b32_e32 v5, 0xffff, v4
	v_or_b32_e32 v7, 0x10000, v4
	s_delay_alu instid0(VALU_DEP_2) | instskip(NEXT) | instid1(VALU_DEP_1)
	v_cmp_eq_u32_e64 s0, 0, v5
	v_cndmask_b32_e64 v99, v7, v4, s0
; %bb.1463:                             ;   in Loop: Header=BB458_1183 Depth=1
	s_or_b32 exec_lo, exec_lo, s9
	v_lshlrev_b32_e32 v4, 16, v6
                                        ; implicit-def: $vgpr100
	s_delay_alu instid0(VALU_DEP_1) | instskip(NEXT) | instid1(VALU_DEP_1)
	v_mul_f32_e32 v4, v84, v4
	v_and_b32_e32 v5, 0x7f800000, v4
	s_delay_alu instid0(VALU_DEP_1) | instskip(NEXT) | instid1(VALU_DEP_1)
	v_cmp_ne_u32_e64 s0, 0x7f800000, v5
	s_and_saveexec_b32 s9, s0
	s_delay_alu instid0(SALU_CYCLE_1)
	s_xor_b32 s0, exec_lo, s9
; %bb.1464:                             ;   in Loop: Header=BB458_1183 Depth=1
	v_bfe_u32 v5, v4, 16, 1
	s_delay_alu instid0(VALU_DEP_1)
	v_add3_u32 v100, v4, v5, 0x7fff
                                        ; implicit-def: $vgpr4
; %bb.1465:                             ;   in Loop: Header=BB458_1183 Depth=1
	s_and_not1_saveexec_b32 s9, s0
; %bb.1466:                             ;   in Loop: Header=BB458_1183 Depth=1
	v_and_b32_e32 v5, 0xffff, v4
	v_or_b32_e32 v6, 0x10000, v4
	s_delay_alu instid0(VALU_DEP_2) | instskip(NEXT) | instid1(VALU_DEP_1)
	v_cmp_eq_u32_e64 s0, 0, v5
	v_cndmask_b32_e64 v100, v6, v4, s0
; %bb.1467:                             ;   in Loop: Header=BB458_1183 Depth=1
	s_or_b32 exec_lo, exec_lo, s9
	v_lshlrev_b32_e32 v3, 16, v3
                                        ; implicit-def: $vgpr101
	s_delay_alu instid0(VALU_DEP_1) | instskip(NEXT) | instid1(VALU_DEP_1)
	v_mul_f32_e32 v3, v85, v3
	v_and_b32_e32 v4, 0x7f800000, v3
	s_delay_alu instid0(VALU_DEP_1) | instskip(NEXT) | instid1(VALU_DEP_1)
	v_cmp_ne_u32_e64 s0, 0x7f800000, v4
	s_and_saveexec_b32 s9, s0
	s_delay_alu instid0(SALU_CYCLE_1)
	s_xor_b32 s0, exec_lo, s9
; %bb.1468:                             ;   in Loop: Header=BB458_1183 Depth=1
	v_bfe_u32 v4, v3, 16, 1
	s_delay_alu instid0(VALU_DEP_1)
	v_add3_u32 v101, v3, v4, 0x7fff
                                        ; implicit-def: $vgpr3
; %bb.1469:                             ;   in Loop: Header=BB458_1183 Depth=1
	s_and_not1_saveexec_b32 s9, s0
; %bb.1470:                             ;   in Loop: Header=BB458_1183 Depth=1
	v_and_b32_e32 v4, 0xffff, v3
	v_or_b32_e32 v5, 0x10000, v3
	s_delay_alu instid0(VALU_DEP_2) | instskip(NEXT) | instid1(VALU_DEP_1)
	v_cmp_eq_u32_e64 s0, 0, v4
	v_cndmask_b32_e64 v101, v5, v3, s0
; %bb.1471:                             ;   in Loop: Header=BB458_1183 Depth=1
	s_or_b32 exec_lo, exec_lo, s9
	v_lshlrev_b32_e32 v2, 16, v2
                                        ; implicit-def: $vgpr102
	s_delay_alu instid0(VALU_DEP_1) | instskip(NEXT) | instid1(VALU_DEP_1)
	v_mul_f32_e32 v2, v86, v2
	v_and_b32_e32 v3, 0x7f800000, v2
	s_delay_alu instid0(VALU_DEP_1) | instskip(NEXT) | instid1(VALU_DEP_1)
	v_cmp_ne_u32_e64 s0, 0x7f800000, v3
	s_and_saveexec_b32 s9, s0
	s_delay_alu instid0(SALU_CYCLE_1)
	s_xor_b32 s0, exec_lo, s9
; %bb.1472:                             ;   in Loop: Header=BB458_1183 Depth=1
	v_bfe_u32 v3, v2, 16, 1
	s_delay_alu instid0(VALU_DEP_1)
	v_add3_u32 v102, v2, v3, 0x7fff
                                        ; implicit-def: $vgpr2
; %bb.1473:                             ;   in Loop: Header=BB458_1183 Depth=1
	s_and_not1_saveexec_b32 s9, s0
; %bb.1474:                             ;   in Loop: Header=BB458_1183 Depth=1
	v_and_b32_e32 v3, 0xffff, v2
	v_or_b32_e32 v4, 0x10000, v2
	s_delay_alu instid0(VALU_DEP_2) | instskip(NEXT) | instid1(VALU_DEP_1)
	v_cmp_eq_u32_e64 s0, 0, v3
	v_cndmask_b32_e64 v102, v4, v2, s0
; %bb.1475:                             ;   in Loop: Header=BB458_1183 Depth=1
	s_or_b32 exec_lo, exec_lo, s9
	flat_load_b64 v[2:3], v[0:1] offset:512
	s_mov_b32 s9, exec_lo
	s_waitcnt vmcnt(0) lgkmcnt(0)
	v_dual_mov_b32 v4, 0 :: v_dual_and_b32 v5, 0xff, v2
	s_delay_alu instid0(VALU_DEP_1)
	v_cmpx_ne_u16_e32 0, v5
	s_cbranch_execz .LBB458_1483
; %bb.1476:                             ;   in Loop: Header=BB458_1183 Depth=1
	v_bfrev_b32_e32 v4, 1
	s_mov_b32 s12, exec_lo
	v_cmpx_ne_u16_e32 0x80, v5
	s_cbranch_execz .LBB458_1482
; %bb.1477:                             ;   in Loop: Header=BB458_1183 Depth=1
	v_and_b32_e32 v5, 0x7f, v2
	v_mov_b32_e32 v4, 0x7f800001
	s_mov_b32 s13, exec_lo
	s_delay_alu instid0(VALU_DEP_2)
	v_cmpx_ne_u32_e32 0x7f, v5
	s_cbranch_execz .LBB458_1481
; %bb.1478:                             ;   in Loop: Header=BB458_1183 Depth=1
	v_lshrrev_b32_e32 v4, 3, v5
	v_dual_mov_b32 v7, v3 :: v_dual_mov_b32 v6, v2
	s_mov_b32 s15, exec_lo
	v_cmpx_gt_u32_e32 8, v5
; %bb.1479:                             ;   in Loop: Header=BB458_1183 Depth=1
	v_and_b32_e32 v4, 7, v2
	s_delay_alu instid0(VALU_DEP_1) | instskip(NEXT) | instid1(VALU_DEP_1)
	v_clz_i32_u32_e32 v4, v4
	v_min_u32_e32 v4, 32, v4
	s_delay_alu instid0(VALU_DEP_1) | instskip(SKIP_1) | instid1(VALU_DEP_2)
	v_subrev_nc_u32_e32 v5, 28, v4
	v_sub_nc_u32_e32 v4, 29, v4
	v_lshlrev_b64 v[6:7], v5, v[2:3]
; %bb.1480:                             ;   in Loop: Header=BB458_1183 Depth=1
	s_or_b32 exec_lo, exec_lo, s15
	s_delay_alu instid0(VALU_DEP_1) | instskip(SKIP_2) | instid1(VALU_DEP_3)
	v_lshlrev_b32_e32 v5, 20, v6
	v_lshlrev_b32_e32 v6, 24, v2
	v_lshl_add_u32 v4, v4, 23, 0x3c000000
	v_and_b32_e32 v5, 0x700000, v5
	s_delay_alu instid0(VALU_DEP_3) | instskip(NEXT) | instid1(VALU_DEP_1)
	v_and_b32_e32 v6, 0x80000000, v6
	v_or3_b32 v4, v5, v6, v4
.LBB458_1481:                           ;   in Loop: Header=BB458_1183 Depth=1
	s_or_b32 exec_lo, exec_lo, s13
.LBB458_1482:                           ;   in Loop: Header=BB458_1183 Depth=1
	s_delay_alu instid0(SALU_CYCLE_1)
	s_or_b32 exec_lo, exec_lo, s12
.LBB458_1483:                           ;   in Loop: Header=BB458_1183 Depth=1
	s_delay_alu instid0(SALU_CYCLE_1) | instskip(NEXT) | instid1(VALU_DEP_1)
	s_or_b32 exec_lo, exec_lo, s9
	v_mul_f32_e32 v5, v26, v4
	s_delay_alu instid0(VALU_DEP_1) | instskip(NEXT) | instid1(VALU_DEP_1)
	v_and_b32_e32 v4, 0x7f800000, v5
	v_cmp_ne_u32_e64 s0, 0x7f800000, v4
                                        ; implicit-def: $vgpr4
	s_delay_alu instid0(VALU_DEP_1) | instskip(NEXT) | instid1(SALU_CYCLE_1)
	s_and_saveexec_b32 s9, s0
	s_xor_b32 s0, exec_lo, s9
; %bb.1484:                             ;   in Loop: Header=BB458_1183 Depth=1
	v_bfe_u32 v4, v5, 16, 1
	s_delay_alu instid0(VALU_DEP_1)
	v_add3_u32 v4, v5, v4, 0x7fff
                                        ; implicit-def: $vgpr5
; %bb.1485:                             ;   in Loop: Header=BB458_1183 Depth=1
	s_and_not1_saveexec_b32 s9, s0
; %bb.1486:                             ;   in Loop: Header=BB458_1183 Depth=1
	v_and_b32_e32 v4, 0xffff, v5
	v_or_b32_e32 v6, 0x10000, v5
	s_delay_alu instid0(VALU_DEP_2) | instskip(NEXT) | instid1(VALU_DEP_1)
	v_cmp_eq_u32_e64 s0, 0, v4
	v_cndmask_b32_e64 v4, v6, v5, s0
; %bb.1487:                             ;   in Loop: Header=BB458_1183 Depth=1
	s_or_b32 exec_lo, exec_lo, s9
	v_lshrrev_b16 v6, 8, v2
	v_mov_b32_e32 v5, 0
	s_mov_b32 s9, exec_lo
	s_delay_alu instid0(VALU_DEP_2)
	v_cmpx_ne_u16_e32 0, v6
	s_cbranch_execz .LBB458_1495
; %bb.1488:                             ;   in Loop: Header=BB458_1183 Depth=1
	v_bfrev_b32_e32 v5, 1
	s_mov_b32 s12, exec_lo
	v_cmpx_ne_u16_e32 0x80, v6
	s_cbranch_execz .LBB458_1494
; %bb.1489:                             ;   in Loop: Header=BB458_1183 Depth=1
	v_and_b32_e32 v7, 0xffff, v6
	v_mov_b32_e32 v5, 0x7f800001
	s_mov_b32 s13, exec_lo
	s_delay_alu instid0(VALU_DEP_2) | instskip(NEXT) | instid1(VALU_DEP_1)
	v_and_b32_e32 v6, 0x7f, v7
	v_cmpx_ne_u32_e32 0x7f, v6
	s_cbranch_execz .LBB458_1493
; %bb.1490:                             ;   in Loop: Header=BB458_1183 Depth=1
	v_and_b32_e32 v9, 7, v7
	v_lshrrev_b32_e32 v5, 3, v6
	s_mov_b32 s15, exec_lo
	v_cmpx_gt_u32_e32 8, v6
; %bb.1491:                             ;   in Loop: Header=BB458_1183 Depth=1
	s_delay_alu instid0(VALU_DEP_3) | instskip(NEXT) | instid1(VALU_DEP_1)
	v_clz_i32_u32_e32 v5, v9
	v_min_u32_e32 v5, 32, v5
	s_delay_alu instid0(VALU_DEP_1) | instskip(SKIP_1) | instid1(VALU_DEP_2)
	v_subrev_nc_u32_e32 v6, 28, v5
	v_sub_nc_u32_e32 v5, 29, v5
	v_lshlrev_b64 v[6:7], v6, v[9:10]
	s_delay_alu instid0(VALU_DEP_1)
	v_and_b32_e32 v9, 7, v6
; %bb.1492:                             ;   in Loop: Header=BB458_1183 Depth=1
	s_or_b32 exec_lo, exec_lo, s15
	v_lshlrev_b32_e32 v6, 16, v2
	s_delay_alu instid0(VALU_DEP_2) | instskip(SKIP_1) | instid1(VALU_DEP_3)
	v_lshlrev_b32_e32 v7, 20, v9
	v_lshl_add_u32 v5, v5, 23, 0x3c000000
	v_and_b32_e32 v6, 0x80000000, v6
	s_delay_alu instid0(VALU_DEP_1)
	v_or3_b32 v5, v7, v6, v5
.LBB458_1493:                           ;   in Loop: Header=BB458_1183 Depth=1
	s_or_b32 exec_lo, exec_lo, s13
.LBB458_1494:                           ;   in Loop: Header=BB458_1183 Depth=1
	s_delay_alu instid0(SALU_CYCLE_1)
	s_or_b32 exec_lo, exec_lo, s12
.LBB458_1495:                           ;   in Loop: Header=BB458_1183 Depth=1
	s_delay_alu instid0(SALU_CYCLE_1) | instskip(NEXT) | instid1(VALU_DEP_1)
	s_or_b32 exec_lo, exec_lo, s9
	v_mul_f32_e32 v6, v26, v5
	s_delay_alu instid0(VALU_DEP_1) | instskip(NEXT) | instid1(VALU_DEP_1)
	v_and_b32_e32 v5, 0x7f800000, v6
	v_cmp_ne_u32_e64 s0, 0x7f800000, v5
                                        ; implicit-def: $vgpr5
	s_delay_alu instid0(VALU_DEP_1) | instskip(NEXT) | instid1(SALU_CYCLE_1)
	s_and_saveexec_b32 s9, s0
	s_xor_b32 s0, exec_lo, s9
; %bb.1496:                             ;   in Loop: Header=BB458_1183 Depth=1
	v_bfe_u32 v5, v6, 16, 1
	s_delay_alu instid0(VALU_DEP_1)
	v_add3_u32 v5, v6, v5, 0x7fff
                                        ; implicit-def: $vgpr6
; %bb.1497:                             ;   in Loop: Header=BB458_1183 Depth=1
	s_and_not1_saveexec_b32 s9, s0
; %bb.1498:                             ;   in Loop: Header=BB458_1183 Depth=1
	v_and_b32_e32 v5, 0xffff, v6
	v_or_b32_e32 v7, 0x10000, v6
	s_delay_alu instid0(VALU_DEP_2) | instskip(NEXT) | instid1(VALU_DEP_1)
	v_cmp_eq_u32_e64 s0, 0, v5
	v_cndmask_b32_e64 v5, v7, v6, s0
; %bb.1499:                             ;   in Loop: Header=BB458_1183 Depth=1
	s_or_b32 exec_lo, exec_lo, s9
	v_lshrrev_b32_e32 v6, 16, v2
	v_mov_b32_e32 v7, 0
	s_mov_b32 s9, exec_lo
	s_delay_alu instid0(VALU_DEP_2) | instskip(NEXT) | instid1(VALU_DEP_1)
	v_and_b32_e32 v9, 0xff, v6
	v_cmpx_ne_u16_e32 0, v9
	s_cbranch_execz .LBB458_1507
; %bb.1500:                             ;   in Loop: Header=BB458_1183 Depth=1
	v_bfrev_b32_e32 v7, 1
	s_mov_b32 s12, exec_lo
	v_cmpx_ne_u16_e32 0x80, v9
	s_cbranch_execz .LBB458_1506
; %bb.1501:                             ;   in Loop: Header=BB458_1183 Depth=1
	v_bfe_u32 v23, v2, 16, 7
	v_mov_b32_e32 v7, 0x7f800001
	s_mov_b32 s13, exec_lo
	s_delay_alu instid0(VALU_DEP_2)
	v_cmpx_ne_u32_e32 0x7f, v23
	s_cbranch_execz .LBB458_1505
; %bb.1502:                             ;   in Loop: Header=BB458_1183 Depth=1
	v_and_b32_e32 v9, 7, v6
	v_lshrrev_b32_e32 v7, 3, v23
	s_mov_b32 s15, exec_lo
	v_cmpx_gt_u32_e32 8, v23
; %bb.1503:                             ;   in Loop: Header=BB458_1183 Depth=1
	s_delay_alu instid0(VALU_DEP_3) | instskip(NEXT) | instid1(VALU_DEP_1)
	v_clz_i32_u32_e32 v7, v9
	v_min_u32_e32 v7, 32, v7
	s_delay_alu instid0(VALU_DEP_1) | instskip(SKIP_1) | instid1(VALU_DEP_2)
	v_subrev_nc_u32_e32 v23, 28, v7
	v_sub_nc_u32_e32 v7, 29, v7
	v_lshlrev_b64 v[112:113], v23, v[9:10]
	s_delay_alu instid0(VALU_DEP_1)
	v_and_b32_e32 v9, 7, v112
; %bb.1504:                             ;   in Loop: Header=BB458_1183 Depth=1
	s_or_b32 exec_lo, exec_lo, s15
	v_lshlrev_b32_e32 v6, 24, v6
	s_delay_alu instid0(VALU_DEP_2) | instskip(SKIP_1) | instid1(VALU_DEP_3)
	v_lshlrev_b32_e32 v9, 20, v9
	v_lshl_add_u32 v7, v7, 23, 0x3c000000
	v_and_b32_e32 v6, 0x80000000, v6
	s_delay_alu instid0(VALU_DEP_1)
	v_or3_b32 v7, v9, v6, v7
.LBB458_1505:                           ;   in Loop: Header=BB458_1183 Depth=1
	s_or_b32 exec_lo, exec_lo, s13
.LBB458_1506:                           ;   in Loop: Header=BB458_1183 Depth=1
	s_delay_alu instid0(SALU_CYCLE_1)
	s_or_b32 exec_lo, exec_lo, s12
.LBB458_1507:                           ;   in Loop: Header=BB458_1183 Depth=1
	s_delay_alu instid0(SALU_CYCLE_1) | instskip(NEXT) | instid1(VALU_DEP_1)
	s_or_b32 exec_lo, exec_lo, s9
	v_mul_f32_e32 v6, v26, v7
                                        ; implicit-def: $vgpr23
	s_delay_alu instid0(VALU_DEP_1) | instskip(NEXT) | instid1(VALU_DEP_1)
	v_and_b32_e32 v7, 0x7f800000, v6
	v_cmp_ne_u32_e64 s0, 0x7f800000, v7
	s_delay_alu instid0(VALU_DEP_1) | instskip(NEXT) | instid1(SALU_CYCLE_1)
	s_and_saveexec_b32 s9, s0
	s_xor_b32 s0, exec_lo, s9
; %bb.1508:                             ;   in Loop: Header=BB458_1183 Depth=1
	v_bfe_u32 v7, v6, 16, 1
	s_delay_alu instid0(VALU_DEP_1)
	v_add3_u32 v23, v6, v7, 0x7fff
                                        ; implicit-def: $vgpr6
; %bb.1509:                             ;   in Loop: Header=BB458_1183 Depth=1
	s_and_not1_saveexec_b32 s9, s0
; %bb.1510:                             ;   in Loop: Header=BB458_1183 Depth=1
	v_and_b32_e32 v7, 0xffff, v6
	v_or_b32_e32 v9, 0x10000, v6
	s_delay_alu instid0(VALU_DEP_2) | instskip(NEXT) | instid1(VALU_DEP_1)
	v_cmp_eq_u32_e64 s0, 0, v7
	v_cndmask_b32_e64 v23, v9, v6, s0
; %bb.1511:                             ;   in Loop: Header=BB458_1183 Depth=1
	s_or_b32 exec_lo, exec_lo, s9
	v_mov_b32_e32 v7, 0
	s_mov_b32 s9, exec_lo
	v_cmpx_lt_u32_e32 0xffffff, v2
	s_cbranch_execz .LBB458_1519
; %bb.1512:                             ;   in Loop: Header=BB458_1183 Depth=1
	v_lshrrev_b32_e32 v6, 24, v2
	v_bfrev_b32_e32 v7, 1
	s_mov_b32 s12, exec_lo
	s_delay_alu instid0(VALU_DEP_2)
	v_cmpx_ne_u32_e32 0x80, v6
	s_cbranch_execz .LBB458_1518
; %bb.1513:                             ;   in Loop: Header=BB458_1183 Depth=1
	v_bfe_u32 v34, v2, 24, 7
	v_mov_b32_e32 v7, 0x7f800001
	s_mov_b32 s13, exec_lo
	s_delay_alu instid0(VALU_DEP_2)
	v_cmpx_ne_u32_e32 0x7f, v34
	s_cbranch_execz .LBB458_1517
; %bb.1514:                             ;   in Loop: Header=BB458_1183 Depth=1
	v_and_b32_e32 v9, 7, v6
	v_lshrrev_b32_e32 v7, 3, v34
	s_mov_b32 s15, exec_lo
	v_cmpx_gt_u32_e32 8, v34
; %bb.1515:                             ;   in Loop: Header=BB458_1183 Depth=1
	s_delay_alu instid0(VALU_DEP_3) | instskip(NEXT) | instid1(VALU_DEP_1)
	v_clz_i32_u32_e32 v7, v9
	v_min_u32_e32 v7, 32, v7
	s_delay_alu instid0(VALU_DEP_1) | instskip(SKIP_1) | instid1(VALU_DEP_2)
	v_subrev_nc_u32_e32 v34, 28, v7
	v_sub_nc_u32_e32 v7, 29, v7
	v_lshlrev_b64 v[112:113], v34, v[9:10]
	s_delay_alu instid0(VALU_DEP_1)
	v_and_b32_e32 v9, 7, v112
; %bb.1516:                             ;   in Loop: Header=BB458_1183 Depth=1
	s_or_b32 exec_lo, exec_lo, s15
	v_lshlrev_b32_e32 v6, 24, v6
	s_delay_alu instid0(VALU_DEP_2) | instskip(SKIP_1) | instid1(VALU_DEP_3)
	v_lshlrev_b32_e32 v9, 20, v9
	v_lshl_add_u32 v7, v7, 23, 0x3c000000
	v_and_b32_e32 v6, 0x80000000, v6
	s_delay_alu instid0(VALU_DEP_1)
	v_or3_b32 v7, v9, v6, v7
.LBB458_1517:                           ;   in Loop: Header=BB458_1183 Depth=1
	s_or_b32 exec_lo, exec_lo, s13
.LBB458_1518:                           ;   in Loop: Header=BB458_1183 Depth=1
	s_delay_alu instid0(SALU_CYCLE_1)
	s_or_b32 exec_lo, exec_lo, s12
.LBB458_1519:                           ;   in Loop: Header=BB458_1183 Depth=1
	s_delay_alu instid0(SALU_CYCLE_1) | instskip(NEXT) | instid1(VALU_DEP_1)
	s_or_b32 exec_lo, exec_lo, s9
	v_mul_f32_e32 v6, v26, v7
                                        ; implicit-def: $vgpr34
	s_delay_alu instid0(VALU_DEP_1) | instskip(NEXT) | instid1(VALU_DEP_1)
	v_and_b32_e32 v7, 0x7f800000, v6
	v_cmp_ne_u32_e64 s0, 0x7f800000, v7
	s_delay_alu instid0(VALU_DEP_1) | instskip(NEXT) | instid1(SALU_CYCLE_1)
	s_and_saveexec_b32 s9, s0
	s_xor_b32 s0, exec_lo, s9
; %bb.1520:                             ;   in Loop: Header=BB458_1183 Depth=1
	v_bfe_u32 v7, v6, 16, 1
	s_delay_alu instid0(VALU_DEP_1)
	v_add3_u32 v34, v6, v7, 0x7fff
                                        ; implicit-def: $vgpr6
; %bb.1521:                             ;   in Loop: Header=BB458_1183 Depth=1
	s_and_not1_saveexec_b32 s9, s0
; %bb.1522:                             ;   in Loop: Header=BB458_1183 Depth=1
	v_and_b32_e32 v7, 0xffff, v6
	v_or_b32_e32 v9, 0x10000, v6
	s_delay_alu instid0(VALU_DEP_2) | instskip(NEXT) | instid1(VALU_DEP_1)
	v_cmp_eq_u32_e64 s0, 0, v7
	v_cndmask_b32_e64 v34, v9, v6, s0
; %bb.1523:                             ;   in Loop: Header=BB458_1183 Depth=1
	s_or_b32 exec_lo, exec_lo, s9
	v_dual_mov_b32 v6, 0 :: v_dual_and_b32 v7, 0xff, v3
	v_mov_b32_e32 v9, v3
	s_mov_b32 s9, exec_lo
	s_delay_alu instid0(VALU_DEP_2)
	v_cmpx_ne_u16_e32 0, v7
	s_cbranch_execz .LBB458_1531
; %bb.1524:                             ;   in Loop: Header=BB458_1183 Depth=1
	v_bfrev_b32_e32 v6, 1
	s_mov_b32 s12, exec_lo
	v_cmpx_ne_u16_e32 0x80, v7
	s_cbranch_execz .LBB458_1530
; %bb.1525:                             ;   in Loop: Header=BB458_1183 Depth=1
	v_and_b32_e32 v7, 0x7f, v3
	v_mov_b32_e32 v6, 0x7f800001
	s_mov_b32 s13, exec_lo
	s_delay_alu instid0(VALU_DEP_2)
	v_cmpx_ne_u32_e32 0x7f, v7
	s_cbranch_execz .LBB458_1529
; %bb.1526:                             ;   in Loop: Header=BB458_1183 Depth=1
	v_lshrrev_b32_e32 v36, 3, v7
	v_cmp_gt_u32_e64 s0, 8, v7
	v_dual_mov_b32 v6, v9 :: v_dual_mov_b32 v7, v10
	s_delay_alu instid0(VALU_DEP_2)
	s_and_saveexec_b32 s15, s0
; %bb.1527:                             ;   in Loop: Header=BB458_1183 Depth=1
	v_and_b32_e32 v6, 7, v3
	s_delay_alu instid0(VALU_DEP_1) | instskip(NEXT) | instid1(VALU_DEP_1)
	v_clz_i32_u32_e32 v6, v6
	v_min_u32_e32 v36, 32, v6
	s_delay_alu instid0(VALU_DEP_1) | instskip(SKIP_1) | instid1(VALU_DEP_2)
	v_subrev_nc_u32_e32 v6, 28, v36
	v_sub_nc_u32_e32 v36, 29, v36
	v_lshlrev_b64 v[6:7], v6, v[9:10]
; %bb.1528:                             ;   in Loop: Header=BB458_1183 Depth=1
	s_or_b32 exec_lo, exec_lo, s15
	s_delay_alu instid0(VALU_DEP_1) | instskip(SKIP_2) | instid1(VALU_DEP_3)
	v_lshlrev_b32_e32 v6, 20, v6
	v_lshlrev_b32_e32 v7, 24, v9
	v_lshl_add_u32 v36, v36, 23, 0x3c000000
	v_and_b32_e32 v6, 0x700000, v6
	s_delay_alu instid0(VALU_DEP_3) | instskip(NEXT) | instid1(VALU_DEP_1)
	v_and_b32_e32 v7, 0x80000000, v7
	v_or3_b32 v6, v6, v7, v36
.LBB458_1529:                           ;   in Loop: Header=BB458_1183 Depth=1
	s_or_b32 exec_lo, exec_lo, s13
.LBB458_1530:                           ;   in Loop: Header=BB458_1183 Depth=1
	s_delay_alu instid0(SALU_CYCLE_1)
	s_or_b32 exec_lo, exec_lo, s12
.LBB458_1531:                           ;   in Loop: Header=BB458_1183 Depth=1
	s_delay_alu instid0(SALU_CYCLE_1) | instskip(NEXT) | instid1(VALU_DEP_1)
	s_or_b32 exec_lo, exec_lo, s9
	v_mul_f32_e32 v6, v26, v6
                                        ; implicit-def: $vgpr36
	s_delay_alu instid0(VALU_DEP_1) | instskip(NEXT) | instid1(VALU_DEP_1)
	v_and_b32_e32 v7, 0x7f800000, v6
	v_cmp_ne_u32_e64 s0, 0x7f800000, v7
	s_delay_alu instid0(VALU_DEP_1) | instskip(NEXT) | instid1(SALU_CYCLE_1)
	s_and_saveexec_b32 s9, s0
	s_xor_b32 s0, exec_lo, s9
; %bb.1532:                             ;   in Loop: Header=BB458_1183 Depth=1
	v_bfe_u32 v7, v6, 16, 1
	s_delay_alu instid0(VALU_DEP_1)
	v_add3_u32 v36, v6, v7, 0x7fff
                                        ; implicit-def: $vgpr6
; %bb.1533:                             ;   in Loop: Header=BB458_1183 Depth=1
	s_and_not1_saveexec_b32 s9, s0
; %bb.1534:                             ;   in Loop: Header=BB458_1183 Depth=1
	v_and_b32_e32 v7, 0xffff, v6
	v_or_b32_e32 v36, 0x10000, v6
	s_delay_alu instid0(VALU_DEP_2) | instskip(NEXT) | instid1(VALU_DEP_1)
	v_cmp_eq_u32_e64 s0, 0, v7
	v_cndmask_b32_e64 v36, v36, v6, s0
; %bb.1535:                             ;   in Loop: Header=BB458_1183 Depth=1
	s_or_b32 exec_lo, exec_lo, s9
	v_lshrrev_b16 v7, 8, v9
	v_mov_b32_e32 v6, 0
	s_mov_b32 s9, exec_lo
	s_delay_alu instid0(VALU_DEP_2)
	v_cmpx_ne_u16_e32 0, v7
	s_cbranch_execz .LBB458_1543
; %bb.1536:                             ;   in Loop: Header=BB458_1183 Depth=1
	v_bfrev_b32_e32 v6, 1
	s_mov_b32 s12, exec_lo
	v_cmpx_ne_u16_e32 0x80, v7
	s_cbranch_execz .LBB458_1542
; %bb.1537:                             ;   in Loop: Header=BB458_1183 Depth=1
	v_and_b32_e32 v7, 0xffff, v7
	v_mov_b32_e32 v6, 0x7f800001
	s_mov_b32 s13, exec_lo
	s_delay_alu instid0(VALU_DEP_2) | instskip(NEXT) | instid1(VALU_DEP_1)
	v_and_b32_e32 v112, 0x7f, v7
	v_cmpx_ne_u32_e32 0x7f, v112
	s_cbranch_execz .LBB458_1541
; %bb.1538:                             ;   in Loop: Header=BB458_1183 Depth=1
	v_dual_mov_b32 v7, v10 :: v_dual_and_b32 v6, 7, v7
	v_lshrrev_b32_e32 v103, 3, v112
	s_mov_b32 s15, exec_lo
	v_cmpx_gt_u32_e32 8, v112
; %bb.1539:                             ;   in Loop: Header=BB458_1183 Depth=1
	s_delay_alu instid0(VALU_DEP_3) | instskip(NEXT) | instid1(VALU_DEP_1)
	v_clz_i32_u32_e32 v103, v6
	v_min_u32_e32 v103, 32, v103
	s_delay_alu instid0(VALU_DEP_1) | instskip(SKIP_1) | instid1(VALU_DEP_2)
	v_subrev_nc_u32_e32 v112, 28, v103
	v_sub_nc_u32_e32 v103, 29, v103
	v_lshlrev_b64 v[6:7], v112, v[6:7]
	s_delay_alu instid0(VALU_DEP_1)
	v_and_b32_e32 v6, 7, v6
; %bb.1540:                             ;   in Loop: Header=BB458_1183 Depth=1
	s_or_b32 exec_lo, exec_lo, s15
	v_lshlrev_b32_e32 v7, 16, v9
	s_delay_alu instid0(VALU_DEP_2) | instskip(SKIP_1) | instid1(VALU_DEP_3)
	v_lshlrev_b32_e32 v6, 20, v6
	v_lshl_add_u32 v9, v103, 23, 0x3c000000
	v_and_b32_e32 v7, 0x80000000, v7
	s_delay_alu instid0(VALU_DEP_1)
	v_or3_b32 v6, v6, v7, v9
.LBB458_1541:                           ;   in Loop: Header=BB458_1183 Depth=1
	s_or_b32 exec_lo, exec_lo, s13
.LBB458_1542:                           ;   in Loop: Header=BB458_1183 Depth=1
	s_delay_alu instid0(SALU_CYCLE_1)
	s_or_b32 exec_lo, exec_lo, s12
.LBB458_1543:                           ;   in Loop: Header=BB458_1183 Depth=1
	s_delay_alu instid0(SALU_CYCLE_1) | instskip(NEXT) | instid1(VALU_DEP_1)
	s_or_b32 exec_lo, exec_lo, s9
	v_mul_f32_e32 v7, v26, v6
	s_delay_alu instid0(VALU_DEP_1) | instskip(NEXT) | instid1(VALU_DEP_1)
	v_and_b32_e32 v6, 0x7f800000, v7
	v_cmp_ne_u32_e64 s0, 0x7f800000, v6
                                        ; implicit-def: $vgpr6
	s_delay_alu instid0(VALU_DEP_1) | instskip(NEXT) | instid1(SALU_CYCLE_1)
	s_and_saveexec_b32 s9, s0
	s_xor_b32 s0, exec_lo, s9
; %bb.1544:                             ;   in Loop: Header=BB458_1183 Depth=1
	v_bfe_u32 v6, v7, 16, 1
	s_delay_alu instid0(VALU_DEP_1)
	v_add3_u32 v6, v7, v6, 0x7fff
                                        ; implicit-def: $vgpr7
; %bb.1545:                             ;   in Loop: Header=BB458_1183 Depth=1
	s_and_not1_saveexec_b32 s9, s0
; %bb.1546:                             ;   in Loop: Header=BB458_1183 Depth=1
	v_and_b32_e32 v6, 0xffff, v7
	v_or_b32_e32 v9, 0x10000, v7
	s_delay_alu instid0(VALU_DEP_2) | instskip(NEXT) | instid1(VALU_DEP_1)
	v_cmp_eq_u32_e64 s0, 0, v6
	v_cndmask_b32_e64 v6, v9, v7, s0
; %bb.1547:                             ;   in Loop: Header=BB458_1183 Depth=1
	s_or_b32 exec_lo, exec_lo, s9
	v_lshrrev_b32_e32 v7, 16, v3
	v_mov_b32_e32 v9, 0
	s_mov_b32 s9, exec_lo
	s_delay_alu instid0(VALU_DEP_2) | instskip(NEXT) | instid1(VALU_DEP_1)
	v_and_b32_e32 v103, 0xff, v7
	v_cmpx_ne_u16_e32 0, v103
	s_cbranch_execz .LBB458_1555
; %bb.1548:                             ;   in Loop: Header=BB458_1183 Depth=1
	v_bfrev_b32_e32 v9, 1
	s_mov_b32 s12, exec_lo
	v_cmpx_ne_u16_e32 0x80, v103
	s_cbranch_execz .LBB458_1554
; %bb.1549:                             ;   in Loop: Header=BB458_1183 Depth=1
	v_bfe_u32 v112, v3, 16, 7
	v_mov_b32_e32 v9, 0x7f800001
	s_mov_b32 s13, exec_lo
	s_delay_alu instid0(VALU_DEP_2)
	v_cmpx_ne_u32_e32 0x7f, v112
	s_cbranch_execz .LBB458_1553
; %bb.1550:                             ;   in Loop: Header=BB458_1183 Depth=1
	v_and_b32_e32 v9, 7, v7
	v_lshrrev_b32_e32 v103, 3, v112
	s_mov_b32 s15, exec_lo
	v_cmpx_gt_u32_e32 8, v112
; %bb.1551:                             ;   in Loop: Header=BB458_1183 Depth=1
	s_delay_alu instid0(VALU_DEP_3) | instskip(NEXT) | instid1(VALU_DEP_1)
	v_clz_i32_u32_e32 v103, v9
	v_min_u32_e32 v103, 32, v103
	s_delay_alu instid0(VALU_DEP_1) | instskip(SKIP_1) | instid1(VALU_DEP_2)
	v_subrev_nc_u32_e32 v112, 28, v103
	v_sub_nc_u32_e32 v103, 29, v103
	v_lshlrev_b64 v[112:113], v112, v[9:10]
	s_delay_alu instid0(VALU_DEP_1)
	v_and_b32_e32 v9, 7, v112
; %bb.1552:                             ;   in Loop: Header=BB458_1183 Depth=1
	s_or_b32 exec_lo, exec_lo, s15
	v_lshlrev_b32_e32 v7, 24, v7
	s_delay_alu instid0(VALU_DEP_2) | instskip(SKIP_1) | instid1(VALU_DEP_3)
	v_lshlrev_b32_e32 v9, 20, v9
	v_lshl_add_u32 v103, v103, 23, 0x3c000000
	v_and_b32_e32 v7, 0x80000000, v7
	s_delay_alu instid0(VALU_DEP_1)
	v_or3_b32 v9, v9, v7, v103
.LBB458_1553:                           ;   in Loop: Header=BB458_1183 Depth=1
	s_or_b32 exec_lo, exec_lo, s13
.LBB458_1554:                           ;   in Loop: Header=BB458_1183 Depth=1
	s_delay_alu instid0(SALU_CYCLE_1)
	s_or_b32 exec_lo, exec_lo, s12
.LBB458_1555:                           ;   in Loop: Header=BB458_1183 Depth=1
	s_delay_alu instid0(SALU_CYCLE_1) | instskip(NEXT) | instid1(VALU_DEP_1)
	s_or_b32 exec_lo, exec_lo, s9
	v_mul_f32_e32 v7, v26, v9
                                        ; implicit-def: $vgpr103
	s_delay_alu instid0(VALU_DEP_1) | instskip(NEXT) | instid1(VALU_DEP_1)
	v_and_b32_e32 v9, 0x7f800000, v7
	v_cmp_ne_u32_e64 s0, 0x7f800000, v9
	s_delay_alu instid0(VALU_DEP_1) | instskip(NEXT) | instid1(SALU_CYCLE_1)
	s_and_saveexec_b32 s9, s0
	s_xor_b32 s0, exec_lo, s9
; %bb.1556:                             ;   in Loop: Header=BB458_1183 Depth=1
	v_bfe_u32 v9, v7, 16, 1
	s_delay_alu instid0(VALU_DEP_1)
	v_add3_u32 v103, v7, v9, 0x7fff
                                        ; implicit-def: $vgpr7
; %bb.1557:                             ;   in Loop: Header=BB458_1183 Depth=1
	s_and_not1_saveexec_b32 s9, s0
; %bb.1558:                             ;   in Loop: Header=BB458_1183 Depth=1
	v_and_b32_e32 v9, 0xffff, v7
	v_or_b32_e32 v103, 0x10000, v7
	s_delay_alu instid0(VALU_DEP_2) | instskip(NEXT) | instid1(VALU_DEP_1)
	v_cmp_eq_u32_e64 s0, 0, v9
	v_cndmask_b32_e64 v103, v103, v7, s0
; %bb.1559:                             ;   in Loop: Header=BB458_1183 Depth=1
	s_or_b32 exec_lo, exec_lo, s9
	v_mov_b32_e32 v7, 0
	s_mov_b32 s9, exec_lo
	v_cmpx_lt_u64_e64 s[2:3], v[2:3]
	s_cbranch_execz .LBB458_1567
; %bb.1560:                             ;   in Loop: Header=BB458_1183 Depth=1
	v_lshrrev_b32_e32 v2, 24, v3
	v_bfrev_b32_e32 v7, 1
	s_mov_b32 s12, exec_lo
	s_delay_alu instid0(VALU_DEP_2)
	v_cmpx_ne_u32_e32 0x80, v2
	s_cbranch_execz .LBB458_1566
; %bb.1561:                             ;   in Loop: Header=BB458_1183 Depth=1
	v_bfe_u32 v112, v3, 24, 7
	v_mov_b32_e32 v7, 0x7f800001
	s_mov_b32 s13, exec_lo
	s_delay_alu instid0(VALU_DEP_2)
	v_cmpx_ne_u32_e32 0x7f, v112
	s_cbranch_execz .LBB458_1565
; %bb.1562:                             ;   in Loop: Header=BB458_1183 Depth=1
	v_and_b32_e32 v9, 7, v2
	v_lshrrev_b32_e32 v3, 3, v112
	s_mov_b32 s15, exec_lo
	v_cmpx_gt_u32_e32 8, v112
; %bb.1563:                             ;   in Loop: Header=BB458_1183 Depth=1
	s_delay_alu instid0(VALU_DEP_3) | instskip(NEXT) | instid1(VALU_DEP_1)
	v_clz_i32_u32_e32 v3, v9
	v_min_u32_e32 v3, 32, v3
	s_delay_alu instid0(VALU_DEP_1) | instskip(SKIP_1) | instid1(VALU_DEP_2)
	v_subrev_nc_u32_e32 v7, 28, v3
	v_sub_nc_u32_e32 v3, 29, v3
	v_lshlrev_b64 v[112:113], v7, v[9:10]
	s_delay_alu instid0(VALU_DEP_1)
	v_and_b32_e32 v9, 7, v112
; %bb.1564:                             ;   in Loop: Header=BB458_1183 Depth=1
	s_or_b32 exec_lo, exec_lo, s15
	v_lshlrev_b32_e32 v2, 24, v2
	s_delay_alu instid0(VALU_DEP_2) | instskip(SKIP_1) | instid1(VALU_DEP_3)
	v_lshlrev_b32_e32 v7, 20, v9
	v_lshl_add_u32 v3, v3, 23, 0x3c000000
	v_and_b32_e32 v2, 0x80000000, v2
	s_delay_alu instid0(VALU_DEP_1)
	v_or3_b32 v7, v7, v2, v3
.LBB458_1565:                           ;   in Loop: Header=BB458_1183 Depth=1
	s_or_b32 exec_lo, exec_lo, s13
.LBB458_1566:                           ;   in Loop: Header=BB458_1183 Depth=1
	s_delay_alu instid0(SALU_CYCLE_1)
	s_or_b32 exec_lo, exec_lo, s12
.LBB458_1567:                           ;   in Loop: Header=BB458_1183 Depth=1
	s_delay_alu instid0(SALU_CYCLE_1) | instskip(NEXT) | instid1(VALU_DEP_1)
	s_or_b32 exec_lo, exec_lo, s9
	v_mul_f32_e32 v3, v26, v7
	s_delay_alu instid0(VALU_DEP_1) | instskip(NEXT) | instid1(VALU_DEP_1)
	v_and_b32_e32 v2, 0x7f800000, v3
	v_cmp_ne_u32_e64 s0, 0x7f800000, v2
                                        ; implicit-def: $vgpr2
	s_delay_alu instid0(VALU_DEP_1) | instskip(NEXT) | instid1(SALU_CYCLE_1)
	s_and_saveexec_b32 s9, s0
	s_xor_b32 s0, exec_lo, s9
; %bb.1568:                             ;   in Loop: Header=BB458_1183 Depth=1
	v_bfe_u32 v2, v3, 16, 1
	s_delay_alu instid0(VALU_DEP_1)
	v_add3_u32 v2, v3, v2, 0x7fff
                                        ; implicit-def: $vgpr3
; %bb.1569:                             ;   in Loop: Header=BB458_1183 Depth=1
	s_and_not1_saveexec_b32 s9, s0
; %bb.1570:                             ;   in Loop: Header=BB458_1183 Depth=1
	v_and_b32_e32 v2, 0xffff, v3
	v_or_b32_e32 v7, 0x10000, v3
	s_delay_alu instid0(VALU_DEP_2) | instskip(NEXT) | instid1(VALU_DEP_1)
	v_cmp_eq_u32_e64 s0, 0, v2
	v_cndmask_b32_e64 v2, v7, v3, s0
; %bb.1571:                             ;   in Loop: Header=BB458_1183 Depth=1
	s_or_b32 exec_lo, exec_lo, s9
	v_lshrrev_b32_e32 v6, 16, v6
	v_lshrrev_b32_e32 v7, 16, v36
	;; [unrolled: 1-line block ×8, first 2 shown]
	s_and_saveexec_b32 s9, vcc_lo
	s_cbranch_execz .LBB458_1573
; %bb.1572:                             ;   in Loop: Header=BB458_1183 Depth=1
	v_cmp_lt_i32_e64 s0, v64, v35
	s_delay_alu instid0(VALU_DEP_1) | instskip(SKIP_1) | instid1(VALU_DEP_1)
	v_cndmask_b32_e64 v4, 0, v4, s0
	v_cmp_lt_i32_e64 s0, v70, v35
	v_cndmask_b32_e64 v5, 0, v5, s0
	v_cmp_lt_i32_e64 s0, v69, v35
	s_delay_alu instid0(VALU_DEP_1) | instskip(SKIP_1) | instid1(VALU_DEP_1)
	v_cndmask_b32_e64 v23, 0, v23, s0
	v_cmp_lt_i32_e64 s0, v68, v35
	v_cndmask_b32_e64 v9, 0, v9, s0
	;; [unrolled: 5-line block ×4, first 2 shown]
.LBB458_1573:                           ;   in Loop: Header=BB458_1183 Depth=1
	s_or_b32 exec_lo, exec_lo, s9
	v_lshlrev_b32_e32 v4, 16, v4
                                        ; implicit-def: $vgpr103
	s_delay_alu instid0(VALU_DEP_1) | instskip(NEXT) | instid1(VALU_DEP_1)
	v_mul_f32_e32 v4, v71, v4
	v_and_b32_e32 v34, 0x7f800000, v4
	s_delay_alu instid0(VALU_DEP_1) | instskip(NEXT) | instid1(VALU_DEP_1)
	v_cmp_ne_u32_e64 s0, 0x7f800000, v34
	s_and_saveexec_b32 s9, s0
	s_delay_alu instid0(SALU_CYCLE_1)
	s_xor_b32 s0, exec_lo, s9
; %bb.1574:                             ;   in Loop: Header=BB458_1183 Depth=1
	v_bfe_u32 v34, v4, 16, 1
	s_delay_alu instid0(VALU_DEP_1)
	v_add3_u32 v103, v4, v34, 0x7fff
                                        ; implicit-def: $vgpr4
; %bb.1575:                             ;   in Loop: Header=BB458_1183 Depth=1
	s_and_not1_saveexec_b32 s9, s0
; %bb.1576:                             ;   in Loop: Header=BB458_1183 Depth=1
	v_and_b32_e32 v34, 0xffff, v4
	v_or_b32_e32 v36, 0x10000, v4
	s_delay_alu instid0(VALU_DEP_2) | instskip(NEXT) | instid1(VALU_DEP_1)
	v_cmp_eq_u32_e64 s0, 0, v34
	v_cndmask_b32_e64 v103, v36, v4, s0
; %bb.1577:                             ;   in Loop: Header=BB458_1183 Depth=1
	s_or_b32 exec_lo, exec_lo, s9
	v_lshlrev_b32_e32 v4, 16, v5
                                        ; implicit-def: $vgpr112
	s_delay_alu instid0(VALU_DEP_1) | instskip(NEXT) | instid1(VALU_DEP_1)
	v_mul_f32_e32 v4, v80, v4
	v_and_b32_e32 v5, 0x7f800000, v4
	s_delay_alu instid0(VALU_DEP_1) | instskip(NEXT) | instid1(VALU_DEP_1)
	v_cmp_ne_u32_e64 s0, 0x7f800000, v5
	s_and_saveexec_b32 s9, s0
	s_delay_alu instid0(SALU_CYCLE_1)
	s_xor_b32 s0, exec_lo, s9
; %bb.1578:                             ;   in Loop: Header=BB458_1183 Depth=1
	v_bfe_u32 v5, v4, 16, 1
	s_delay_alu instid0(VALU_DEP_1)
	v_add3_u32 v112, v4, v5, 0x7fff
                                        ; implicit-def: $vgpr4
; %bb.1579:                             ;   in Loop: Header=BB458_1183 Depth=1
	s_and_not1_saveexec_b32 s9, s0
; %bb.1580:                             ;   in Loop: Header=BB458_1183 Depth=1
	v_and_b32_e32 v5, 0xffff, v4
	v_or_b32_e32 v34, 0x10000, v4
	s_delay_alu instid0(VALU_DEP_2) | instskip(NEXT) | instid1(VALU_DEP_1)
	v_cmp_eq_u32_e64 s0, 0, v5
	v_cndmask_b32_e64 v112, v34, v4, s0
; %bb.1581:                             ;   in Loop: Header=BB458_1183 Depth=1
	s_or_b32 exec_lo, exec_lo, s9
	v_lshlrev_b32_e32 v4, 16, v23
                                        ; implicit-def: $vgpr113
	s_delay_alu instid0(VALU_DEP_1) | instskip(NEXT) | instid1(VALU_DEP_1)
	v_mul_f32_e32 v4, v81, v4
	v_and_b32_e32 v5, 0x7f800000, v4
	s_delay_alu instid0(VALU_DEP_1) | instskip(NEXT) | instid1(VALU_DEP_1)
	v_cmp_ne_u32_e64 s0, 0x7f800000, v5
	s_and_saveexec_b32 s9, s0
	s_delay_alu instid0(SALU_CYCLE_1)
	s_xor_b32 s0, exec_lo, s9
; %bb.1582:                             ;   in Loop: Header=BB458_1183 Depth=1
	v_bfe_u32 v5, v4, 16, 1
	s_delay_alu instid0(VALU_DEP_1)
	v_add3_u32 v113, v4, v5, 0x7fff
                                        ; implicit-def: $vgpr4
; %bb.1583:                             ;   in Loop: Header=BB458_1183 Depth=1
	s_and_not1_saveexec_b32 s9, s0
; %bb.1584:                             ;   in Loop: Header=BB458_1183 Depth=1
	v_and_b32_e32 v5, 0xffff, v4
	v_or_b32_e32 v23, 0x10000, v4
	s_delay_alu instid0(VALU_DEP_2) | instskip(NEXT) | instid1(VALU_DEP_1)
	v_cmp_eq_u32_e64 s0, 0, v5
	v_cndmask_b32_e64 v113, v23, v4, s0
; %bb.1585:                             ;   in Loop: Header=BB458_1183 Depth=1
	s_or_b32 exec_lo, exec_lo, s9
	v_lshlrev_b32_e32 v4, 16, v9
                                        ; implicit-def: $vgpr114
	s_delay_alu instid0(VALU_DEP_1) | instskip(NEXT) | instid1(VALU_DEP_1)
	v_mul_f32_e32 v4, v82, v4
	v_and_b32_e32 v5, 0x7f800000, v4
	s_delay_alu instid0(VALU_DEP_1) | instskip(NEXT) | instid1(VALU_DEP_1)
	v_cmp_ne_u32_e64 s0, 0x7f800000, v5
	s_and_saveexec_b32 s9, s0
	s_delay_alu instid0(SALU_CYCLE_1)
	s_xor_b32 s0, exec_lo, s9
; %bb.1586:                             ;   in Loop: Header=BB458_1183 Depth=1
	v_bfe_u32 v5, v4, 16, 1
	s_delay_alu instid0(VALU_DEP_1)
	v_add3_u32 v114, v4, v5, 0x7fff
                                        ; implicit-def: $vgpr4
; %bb.1587:                             ;   in Loop: Header=BB458_1183 Depth=1
	s_and_not1_saveexec_b32 s9, s0
; %bb.1588:                             ;   in Loop: Header=BB458_1183 Depth=1
	v_and_b32_e32 v5, 0xffff, v4
	v_or_b32_e32 v9, 0x10000, v4
	s_delay_alu instid0(VALU_DEP_2) | instskip(NEXT) | instid1(VALU_DEP_1)
	v_cmp_eq_u32_e64 s0, 0, v5
	v_cndmask_b32_e64 v114, v9, v4, s0
; %bb.1589:                             ;   in Loop: Header=BB458_1183 Depth=1
	s_or_b32 exec_lo, exec_lo, s9
	v_lshlrev_b32_e32 v4, 16, v7
                                        ; implicit-def: $vgpr115
	s_delay_alu instid0(VALU_DEP_1) | instskip(NEXT) | instid1(VALU_DEP_1)
	v_mul_f32_e32 v4, v83, v4
	v_and_b32_e32 v5, 0x7f800000, v4
	s_delay_alu instid0(VALU_DEP_1) | instskip(NEXT) | instid1(VALU_DEP_1)
	v_cmp_ne_u32_e64 s0, 0x7f800000, v5
	s_and_saveexec_b32 s9, s0
	s_delay_alu instid0(SALU_CYCLE_1)
	s_xor_b32 s0, exec_lo, s9
; %bb.1590:                             ;   in Loop: Header=BB458_1183 Depth=1
	v_bfe_u32 v5, v4, 16, 1
	s_delay_alu instid0(VALU_DEP_1)
	v_add3_u32 v115, v4, v5, 0x7fff
                                        ; implicit-def: $vgpr4
; %bb.1591:                             ;   in Loop: Header=BB458_1183 Depth=1
	s_and_not1_saveexec_b32 s9, s0
; %bb.1592:                             ;   in Loop: Header=BB458_1183 Depth=1
	v_and_b32_e32 v5, 0xffff, v4
	v_or_b32_e32 v7, 0x10000, v4
	s_delay_alu instid0(VALU_DEP_2) | instskip(NEXT) | instid1(VALU_DEP_1)
	v_cmp_eq_u32_e64 s0, 0, v5
	v_cndmask_b32_e64 v115, v7, v4, s0
; %bb.1593:                             ;   in Loop: Header=BB458_1183 Depth=1
	s_or_b32 exec_lo, exec_lo, s9
	v_lshlrev_b32_e32 v4, 16, v6
                                        ; implicit-def: $vgpr116
	s_delay_alu instid0(VALU_DEP_1) | instskip(NEXT) | instid1(VALU_DEP_1)
	v_mul_f32_e32 v4, v84, v4
	v_and_b32_e32 v5, 0x7f800000, v4
	s_delay_alu instid0(VALU_DEP_1) | instskip(NEXT) | instid1(VALU_DEP_1)
	v_cmp_ne_u32_e64 s0, 0x7f800000, v5
	s_and_saveexec_b32 s9, s0
	s_delay_alu instid0(SALU_CYCLE_1)
	s_xor_b32 s0, exec_lo, s9
; %bb.1594:                             ;   in Loop: Header=BB458_1183 Depth=1
	v_bfe_u32 v5, v4, 16, 1
	s_delay_alu instid0(VALU_DEP_1)
	v_add3_u32 v116, v4, v5, 0x7fff
                                        ; implicit-def: $vgpr4
; %bb.1595:                             ;   in Loop: Header=BB458_1183 Depth=1
	s_and_not1_saveexec_b32 s9, s0
; %bb.1596:                             ;   in Loop: Header=BB458_1183 Depth=1
	v_and_b32_e32 v5, 0xffff, v4
	v_or_b32_e32 v6, 0x10000, v4
	s_delay_alu instid0(VALU_DEP_2) | instskip(NEXT) | instid1(VALU_DEP_1)
	v_cmp_eq_u32_e64 s0, 0, v5
	v_cndmask_b32_e64 v116, v6, v4, s0
; %bb.1597:                             ;   in Loop: Header=BB458_1183 Depth=1
	s_or_b32 exec_lo, exec_lo, s9
	v_lshlrev_b32_e32 v3, 16, v3
                                        ; implicit-def: $vgpr117
	s_delay_alu instid0(VALU_DEP_1) | instskip(NEXT) | instid1(VALU_DEP_1)
	v_mul_f32_e32 v3, v85, v3
	v_and_b32_e32 v4, 0x7f800000, v3
	s_delay_alu instid0(VALU_DEP_1) | instskip(NEXT) | instid1(VALU_DEP_1)
	v_cmp_ne_u32_e64 s0, 0x7f800000, v4
	s_and_saveexec_b32 s9, s0
	s_delay_alu instid0(SALU_CYCLE_1)
	s_xor_b32 s0, exec_lo, s9
; %bb.1598:                             ;   in Loop: Header=BB458_1183 Depth=1
	v_bfe_u32 v4, v3, 16, 1
	s_delay_alu instid0(VALU_DEP_1)
	v_add3_u32 v117, v3, v4, 0x7fff
                                        ; implicit-def: $vgpr3
; %bb.1599:                             ;   in Loop: Header=BB458_1183 Depth=1
	s_and_not1_saveexec_b32 s9, s0
; %bb.1600:                             ;   in Loop: Header=BB458_1183 Depth=1
	v_and_b32_e32 v4, 0xffff, v3
	v_or_b32_e32 v5, 0x10000, v3
	s_delay_alu instid0(VALU_DEP_2) | instskip(NEXT) | instid1(VALU_DEP_1)
	v_cmp_eq_u32_e64 s0, 0, v4
	v_cndmask_b32_e64 v117, v5, v3, s0
; %bb.1601:                             ;   in Loop: Header=BB458_1183 Depth=1
	s_or_b32 exec_lo, exec_lo, s9
	v_lshlrev_b32_e32 v2, 16, v2
                                        ; implicit-def: $vgpr118
	s_delay_alu instid0(VALU_DEP_1) | instskip(NEXT) | instid1(VALU_DEP_1)
	v_mul_f32_e32 v2, v86, v2
	v_and_b32_e32 v3, 0x7f800000, v2
	s_delay_alu instid0(VALU_DEP_1) | instskip(NEXT) | instid1(VALU_DEP_1)
	v_cmp_ne_u32_e64 s0, 0x7f800000, v3
	s_and_saveexec_b32 s9, s0
	s_delay_alu instid0(SALU_CYCLE_1)
	s_xor_b32 s0, exec_lo, s9
; %bb.1602:                             ;   in Loop: Header=BB458_1183 Depth=1
	v_bfe_u32 v3, v2, 16, 1
	s_delay_alu instid0(VALU_DEP_1)
	v_add3_u32 v118, v2, v3, 0x7fff
                                        ; implicit-def: $vgpr2
; %bb.1603:                             ;   in Loop: Header=BB458_1183 Depth=1
	s_and_not1_saveexec_b32 s9, s0
; %bb.1604:                             ;   in Loop: Header=BB458_1183 Depth=1
	v_and_b32_e32 v3, 0xffff, v2
	v_or_b32_e32 v4, 0x10000, v2
	s_delay_alu instid0(VALU_DEP_2) | instskip(NEXT) | instid1(VALU_DEP_1)
	v_cmp_eq_u32_e64 s0, 0, v3
	v_cndmask_b32_e64 v118, v4, v2, s0
; %bb.1605:                             ;   in Loop: Header=BB458_1183 Depth=1
	s_or_b32 exec_lo, exec_lo, s9
	flat_load_b64 v[2:3], v[0:1] offset:768
	s_mov_b32 s9, exec_lo
	s_waitcnt vmcnt(0) lgkmcnt(0)
	v_dual_mov_b32 v4, 0 :: v_dual_and_b32 v5, 0xff, v2
	s_delay_alu instid0(VALU_DEP_1)
	v_cmpx_ne_u16_e32 0, v5
	s_cbranch_execz .LBB458_1613
; %bb.1606:                             ;   in Loop: Header=BB458_1183 Depth=1
	v_bfrev_b32_e32 v4, 1
	s_mov_b32 s12, exec_lo
	v_cmpx_ne_u16_e32 0x80, v5
	s_cbranch_execz .LBB458_1612
; %bb.1607:                             ;   in Loop: Header=BB458_1183 Depth=1
	v_and_b32_e32 v5, 0x7f, v2
	v_mov_b32_e32 v4, 0x7f800001
	s_mov_b32 s13, exec_lo
	s_delay_alu instid0(VALU_DEP_2)
	v_cmpx_ne_u32_e32 0x7f, v5
	s_cbranch_execz .LBB458_1611
; %bb.1608:                             ;   in Loop: Header=BB458_1183 Depth=1
	v_lshrrev_b32_e32 v4, 3, v5
	v_dual_mov_b32 v7, v3 :: v_dual_mov_b32 v6, v2
	s_mov_b32 s15, exec_lo
	v_cmpx_gt_u32_e32 8, v5
; %bb.1609:                             ;   in Loop: Header=BB458_1183 Depth=1
	v_and_b32_e32 v4, 7, v2
	s_delay_alu instid0(VALU_DEP_1) | instskip(NEXT) | instid1(VALU_DEP_1)
	v_clz_i32_u32_e32 v4, v4
	v_min_u32_e32 v4, 32, v4
	s_delay_alu instid0(VALU_DEP_1) | instskip(SKIP_1) | instid1(VALU_DEP_2)
	v_subrev_nc_u32_e32 v5, 28, v4
	v_sub_nc_u32_e32 v4, 29, v4
	v_lshlrev_b64 v[6:7], v5, v[2:3]
; %bb.1610:                             ;   in Loop: Header=BB458_1183 Depth=1
	s_or_b32 exec_lo, exec_lo, s15
	s_delay_alu instid0(VALU_DEP_1) | instskip(SKIP_2) | instid1(VALU_DEP_3)
	v_lshlrev_b32_e32 v5, 20, v6
	v_lshlrev_b32_e32 v6, 24, v2
	v_lshl_add_u32 v4, v4, 23, 0x3c000000
	v_and_b32_e32 v5, 0x700000, v5
	s_delay_alu instid0(VALU_DEP_3) | instskip(NEXT) | instid1(VALU_DEP_1)
	v_and_b32_e32 v6, 0x80000000, v6
	v_or3_b32 v4, v5, v6, v4
.LBB458_1611:                           ;   in Loop: Header=BB458_1183 Depth=1
	s_or_b32 exec_lo, exec_lo, s13
.LBB458_1612:                           ;   in Loop: Header=BB458_1183 Depth=1
	s_delay_alu instid0(SALU_CYCLE_1)
	s_or_b32 exec_lo, exec_lo, s12
.LBB458_1613:                           ;   in Loop: Header=BB458_1183 Depth=1
	s_delay_alu instid0(SALU_CYCLE_1) | instskip(NEXT) | instid1(VALU_DEP_1)
	s_or_b32 exec_lo, exec_lo, s9
	v_mul_f32_e32 v5, v26, v4
	s_delay_alu instid0(VALU_DEP_1) | instskip(NEXT) | instid1(VALU_DEP_1)
	v_and_b32_e32 v4, 0x7f800000, v5
	v_cmp_ne_u32_e64 s0, 0x7f800000, v4
                                        ; implicit-def: $vgpr4
	s_delay_alu instid0(VALU_DEP_1) | instskip(NEXT) | instid1(SALU_CYCLE_1)
	s_and_saveexec_b32 s9, s0
	s_xor_b32 s0, exec_lo, s9
; %bb.1614:                             ;   in Loop: Header=BB458_1183 Depth=1
	v_bfe_u32 v4, v5, 16, 1
	s_delay_alu instid0(VALU_DEP_1)
	v_add3_u32 v4, v5, v4, 0x7fff
                                        ; implicit-def: $vgpr5
; %bb.1615:                             ;   in Loop: Header=BB458_1183 Depth=1
	s_and_not1_saveexec_b32 s9, s0
; %bb.1616:                             ;   in Loop: Header=BB458_1183 Depth=1
	v_and_b32_e32 v4, 0xffff, v5
	v_or_b32_e32 v6, 0x10000, v5
	s_delay_alu instid0(VALU_DEP_2) | instskip(NEXT) | instid1(VALU_DEP_1)
	v_cmp_eq_u32_e64 s0, 0, v4
	v_cndmask_b32_e64 v4, v6, v5, s0
; %bb.1617:                             ;   in Loop: Header=BB458_1183 Depth=1
	s_or_b32 exec_lo, exec_lo, s9
	v_lshrrev_b16 v6, 8, v2
	v_mov_b32_e32 v5, 0
	s_mov_b32 s9, exec_lo
	s_delay_alu instid0(VALU_DEP_2)
	v_cmpx_ne_u16_e32 0, v6
	s_cbranch_execz .LBB458_1625
; %bb.1618:                             ;   in Loop: Header=BB458_1183 Depth=1
	v_bfrev_b32_e32 v5, 1
	s_mov_b32 s12, exec_lo
	v_cmpx_ne_u16_e32 0x80, v6
	s_cbranch_execz .LBB458_1624
; %bb.1619:                             ;   in Loop: Header=BB458_1183 Depth=1
	v_and_b32_e32 v7, 0xffff, v6
	v_mov_b32_e32 v5, 0x7f800001
	s_mov_b32 s13, exec_lo
	s_delay_alu instid0(VALU_DEP_2) | instskip(NEXT) | instid1(VALU_DEP_1)
	v_and_b32_e32 v6, 0x7f, v7
	v_cmpx_ne_u32_e32 0x7f, v6
	s_cbranch_execz .LBB458_1623
; %bb.1620:                             ;   in Loop: Header=BB458_1183 Depth=1
	v_and_b32_e32 v9, 7, v7
	v_lshrrev_b32_e32 v5, 3, v6
	s_mov_b32 s15, exec_lo
	v_cmpx_gt_u32_e32 8, v6
; %bb.1621:                             ;   in Loop: Header=BB458_1183 Depth=1
	s_delay_alu instid0(VALU_DEP_3) | instskip(NEXT) | instid1(VALU_DEP_1)
	v_clz_i32_u32_e32 v5, v9
	v_min_u32_e32 v5, 32, v5
	s_delay_alu instid0(VALU_DEP_1) | instskip(SKIP_1) | instid1(VALU_DEP_2)
	v_subrev_nc_u32_e32 v6, 28, v5
	v_sub_nc_u32_e32 v5, 29, v5
	v_lshlrev_b64 v[6:7], v6, v[9:10]
	s_delay_alu instid0(VALU_DEP_1)
	v_and_b32_e32 v9, 7, v6
; %bb.1622:                             ;   in Loop: Header=BB458_1183 Depth=1
	s_or_b32 exec_lo, exec_lo, s15
	v_lshlrev_b32_e32 v6, 16, v2
	s_delay_alu instid0(VALU_DEP_2) | instskip(SKIP_1) | instid1(VALU_DEP_3)
	v_lshlrev_b32_e32 v7, 20, v9
	v_lshl_add_u32 v5, v5, 23, 0x3c000000
	v_and_b32_e32 v6, 0x80000000, v6
	s_delay_alu instid0(VALU_DEP_1)
	v_or3_b32 v5, v7, v6, v5
.LBB458_1623:                           ;   in Loop: Header=BB458_1183 Depth=1
	s_or_b32 exec_lo, exec_lo, s13
.LBB458_1624:                           ;   in Loop: Header=BB458_1183 Depth=1
	s_delay_alu instid0(SALU_CYCLE_1)
	s_or_b32 exec_lo, exec_lo, s12
.LBB458_1625:                           ;   in Loop: Header=BB458_1183 Depth=1
	s_delay_alu instid0(SALU_CYCLE_1) | instskip(NEXT) | instid1(VALU_DEP_1)
	s_or_b32 exec_lo, exec_lo, s9
	v_mul_f32_e32 v6, v26, v5
	s_delay_alu instid0(VALU_DEP_1) | instskip(NEXT) | instid1(VALU_DEP_1)
	v_and_b32_e32 v5, 0x7f800000, v6
	v_cmp_ne_u32_e64 s0, 0x7f800000, v5
                                        ; implicit-def: $vgpr5
	s_delay_alu instid0(VALU_DEP_1) | instskip(NEXT) | instid1(SALU_CYCLE_1)
	s_and_saveexec_b32 s9, s0
	s_xor_b32 s0, exec_lo, s9
; %bb.1626:                             ;   in Loop: Header=BB458_1183 Depth=1
	v_bfe_u32 v5, v6, 16, 1
	s_delay_alu instid0(VALU_DEP_1)
	v_add3_u32 v5, v6, v5, 0x7fff
                                        ; implicit-def: $vgpr6
; %bb.1627:                             ;   in Loop: Header=BB458_1183 Depth=1
	s_and_not1_saveexec_b32 s9, s0
; %bb.1628:                             ;   in Loop: Header=BB458_1183 Depth=1
	v_and_b32_e32 v5, 0xffff, v6
	v_or_b32_e32 v7, 0x10000, v6
	s_delay_alu instid0(VALU_DEP_2) | instskip(NEXT) | instid1(VALU_DEP_1)
	v_cmp_eq_u32_e64 s0, 0, v5
	v_cndmask_b32_e64 v5, v7, v6, s0
; %bb.1629:                             ;   in Loop: Header=BB458_1183 Depth=1
	s_or_b32 exec_lo, exec_lo, s9
	v_lshrrev_b32_e32 v6, 16, v2
	v_mov_b32_e32 v7, 0
	s_mov_b32 s9, exec_lo
	s_delay_alu instid0(VALU_DEP_2) | instskip(NEXT) | instid1(VALU_DEP_1)
	v_and_b32_e32 v9, 0xff, v6
	v_cmpx_ne_u16_e32 0, v9
	s_cbranch_execz .LBB458_1637
; %bb.1630:                             ;   in Loop: Header=BB458_1183 Depth=1
	v_bfrev_b32_e32 v7, 1
	s_mov_b32 s12, exec_lo
	v_cmpx_ne_u16_e32 0x80, v9
	s_cbranch_execz .LBB458_1636
; %bb.1631:                             ;   in Loop: Header=BB458_1183 Depth=1
	v_bfe_u32 v23, v2, 16, 7
	v_mov_b32_e32 v7, 0x7f800001
	s_mov_b32 s13, exec_lo
	s_delay_alu instid0(VALU_DEP_2)
	v_cmpx_ne_u32_e32 0x7f, v23
	s_cbranch_execz .LBB458_1635
; %bb.1632:                             ;   in Loop: Header=BB458_1183 Depth=1
	v_and_b32_e32 v9, 7, v6
	v_lshrrev_b32_e32 v7, 3, v23
	s_mov_b32 s15, exec_lo
	v_cmpx_gt_u32_e32 8, v23
; %bb.1633:                             ;   in Loop: Header=BB458_1183 Depth=1
	s_delay_alu instid0(VALU_DEP_3) | instskip(NEXT) | instid1(VALU_DEP_1)
	v_clz_i32_u32_e32 v7, v9
	v_min_u32_e32 v7, 32, v7
	s_delay_alu instid0(VALU_DEP_1) | instskip(SKIP_1) | instid1(VALU_DEP_2)
	v_subrev_nc_u32_e32 v23, 28, v7
	v_sub_nc_u32_e32 v7, 29, v7
	v_lshlrev_b64 v[128:129], v23, v[9:10]
	s_delay_alu instid0(VALU_DEP_1)
	v_and_b32_e32 v9, 7, v128
; %bb.1634:                             ;   in Loop: Header=BB458_1183 Depth=1
	s_or_b32 exec_lo, exec_lo, s15
	v_lshlrev_b32_e32 v6, 24, v6
	s_delay_alu instid0(VALU_DEP_2) | instskip(SKIP_1) | instid1(VALU_DEP_3)
	v_lshlrev_b32_e32 v9, 20, v9
	v_lshl_add_u32 v7, v7, 23, 0x3c000000
	v_and_b32_e32 v6, 0x80000000, v6
	s_delay_alu instid0(VALU_DEP_1)
	v_or3_b32 v7, v9, v6, v7
.LBB458_1635:                           ;   in Loop: Header=BB458_1183 Depth=1
	s_or_b32 exec_lo, exec_lo, s13
.LBB458_1636:                           ;   in Loop: Header=BB458_1183 Depth=1
	s_delay_alu instid0(SALU_CYCLE_1)
	s_or_b32 exec_lo, exec_lo, s12
.LBB458_1637:                           ;   in Loop: Header=BB458_1183 Depth=1
	s_delay_alu instid0(SALU_CYCLE_1) | instskip(NEXT) | instid1(VALU_DEP_1)
	s_or_b32 exec_lo, exec_lo, s9
	v_mul_f32_e32 v6, v26, v7
                                        ; implicit-def: $vgpr23
	s_delay_alu instid0(VALU_DEP_1) | instskip(NEXT) | instid1(VALU_DEP_1)
	v_and_b32_e32 v7, 0x7f800000, v6
	v_cmp_ne_u32_e64 s0, 0x7f800000, v7
	s_delay_alu instid0(VALU_DEP_1) | instskip(NEXT) | instid1(SALU_CYCLE_1)
	s_and_saveexec_b32 s9, s0
	s_xor_b32 s0, exec_lo, s9
; %bb.1638:                             ;   in Loop: Header=BB458_1183 Depth=1
	v_bfe_u32 v7, v6, 16, 1
	s_delay_alu instid0(VALU_DEP_1)
	v_add3_u32 v23, v6, v7, 0x7fff
                                        ; implicit-def: $vgpr6
; %bb.1639:                             ;   in Loop: Header=BB458_1183 Depth=1
	s_and_not1_saveexec_b32 s9, s0
; %bb.1640:                             ;   in Loop: Header=BB458_1183 Depth=1
	v_and_b32_e32 v7, 0xffff, v6
	v_or_b32_e32 v9, 0x10000, v6
	s_delay_alu instid0(VALU_DEP_2) | instskip(NEXT) | instid1(VALU_DEP_1)
	v_cmp_eq_u32_e64 s0, 0, v7
	v_cndmask_b32_e64 v23, v9, v6, s0
; %bb.1641:                             ;   in Loop: Header=BB458_1183 Depth=1
	s_or_b32 exec_lo, exec_lo, s9
	v_mov_b32_e32 v7, 0
	s_mov_b32 s9, exec_lo
	v_cmpx_lt_u32_e32 0xffffff, v2
	s_cbranch_execz .LBB458_1649
; %bb.1642:                             ;   in Loop: Header=BB458_1183 Depth=1
	v_lshrrev_b32_e32 v6, 24, v2
	v_bfrev_b32_e32 v7, 1
	s_mov_b32 s12, exec_lo
	s_delay_alu instid0(VALU_DEP_2)
	v_cmpx_ne_u32_e32 0x80, v6
	s_cbranch_execz .LBB458_1648
; %bb.1643:                             ;   in Loop: Header=BB458_1183 Depth=1
	v_bfe_u32 v34, v2, 24, 7
	v_mov_b32_e32 v7, 0x7f800001
	s_mov_b32 s13, exec_lo
	s_delay_alu instid0(VALU_DEP_2)
	v_cmpx_ne_u32_e32 0x7f, v34
	s_cbranch_execz .LBB458_1647
; %bb.1644:                             ;   in Loop: Header=BB458_1183 Depth=1
	v_and_b32_e32 v9, 7, v6
	v_lshrrev_b32_e32 v7, 3, v34
	s_mov_b32 s15, exec_lo
	v_cmpx_gt_u32_e32 8, v34
; %bb.1645:                             ;   in Loop: Header=BB458_1183 Depth=1
	s_delay_alu instid0(VALU_DEP_3) | instskip(NEXT) | instid1(VALU_DEP_1)
	v_clz_i32_u32_e32 v7, v9
	v_min_u32_e32 v7, 32, v7
	s_delay_alu instid0(VALU_DEP_1) | instskip(SKIP_1) | instid1(VALU_DEP_2)
	v_subrev_nc_u32_e32 v34, 28, v7
	v_sub_nc_u32_e32 v7, 29, v7
	v_lshlrev_b64 v[128:129], v34, v[9:10]
	s_delay_alu instid0(VALU_DEP_1)
	v_and_b32_e32 v9, 7, v128
; %bb.1646:                             ;   in Loop: Header=BB458_1183 Depth=1
	s_or_b32 exec_lo, exec_lo, s15
	v_lshlrev_b32_e32 v6, 24, v6
	s_delay_alu instid0(VALU_DEP_2) | instskip(SKIP_1) | instid1(VALU_DEP_3)
	v_lshlrev_b32_e32 v9, 20, v9
	v_lshl_add_u32 v7, v7, 23, 0x3c000000
	v_and_b32_e32 v6, 0x80000000, v6
	s_delay_alu instid0(VALU_DEP_1)
	v_or3_b32 v7, v9, v6, v7
.LBB458_1647:                           ;   in Loop: Header=BB458_1183 Depth=1
	s_or_b32 exec_lo, exec_lo, s13
.LBB458_1648:                           ;   in Loop: Header=BB458_1183 Depth=1
	s_delay_alu instid0(SALU_CYCLE_1)
	s_or_b32 exec_lo, exec_lo, s12
.LBB458_1649:                           ;   in Loop: Header=BB458_1183 Depth=1
	s_delay_alu instid0(SALU_CYCLE_1) | instskip(NEXT) | instid1(VALU_DEP_1)
	s_or_b32 exec_lo, exec_lo, s9
	v_mul_f32_e32 v6, v26, v7
                                        ; implicit-def: $vgpr34
	s_delay_alu instid0(VALU_DEP_1) | instskip(NEXT) | instid1(VALU_DEP_1)
	v_and_b32_e32 v7, 0x7f800000, v6
	v_cmp_ne_u32_e64 s0, 0x7f800000, v7
	s_delay_alu instid0(VALU_DEP_1) | instskip(NEXT) | instid1(SALU_CYCLE_1)
	s_and_saveexec_b32 s9, s0
	s_xor_b32 s0, exec_lo, s9
; %bb.1650:                             ;   in Loop: Header=BB458_1183 Depth=1
	v_bfe_u32 v7, v6, 16, 1
	s_delay_alu instid0(VALU_DEP_1)
	v_add3_u32 v34, v6, v7, 0x7fff
                                        ; implicit-def: $vgpr6
; %bb.1651:                             ;   in Loop: Header=BB458_1183 Depth=1
	s_and_not1_saveexec_b32 s9, s0
; %bb.1652:                             ;   in Loop: Header=BB458_1183 Depth=1
	v_and_b32_e32 v7, 0xffff, v6
	v_or_b32_e32 v9, 0x10000, v6
	s_delay_alu instid0(VALU_DEP_2) | instskip(NEXT) | instid1(VALU_DEP_1)
	v_cmp_eq_u32_e64 s0, 0, v7
	v_cndmask_b32_e64 v34, v9, v6, s0
; %bb.1653:                             ;   in Loop: Header=BB458_1183 Depth=1
	s_or_b32 exec_lo, exec_lo, s9
	v_dual_mov_b32 v6, 0 :: v_dual_and_b32 v7, 0xff, v3
	v_mov_b32_e32 v9, v3
	s_mov_b32 s9, exec_lo
	s_delay_alu instid0(VALU_DEP_2)
	v_cmpx_ne_u16_e32 0, v7
	s_cbranch_execz .LBB458_1661
; %bb.1654:                             ;   in Loop: Header=BB458_1183 Depth=1
	v_bfrev_b32_e32 v6, 1
	s_mov_b32 s12, exec_lo
	v_cmpx_ne_u16_e32 0x80, v7
	s_cbranch_execz .LBB458_1660
; %bb.1655:                             ;   in Loop: Header=BB458_1183 Depth=1
	v_and_b32_e32 v7, 0x7f, v3
	v_mov_b32_e32 v6, 0x7f800001
	s_mov_b32 s13, exec_lo
	s_delay_alu instid0(VALU_DEP_2)
	v_cmpx_ne_u32_e32 0x7f, v7
	s_cbranch_execz .LBB458_1659
; %bb.1656:                             ;   in Loop: Header=BB458_1183 Depth=1
	v_lshrrev_b32_e32 v36, 3, v7
	v_cmp_gt_u32_e64 s0, 8, v7
	v_dual_mov_b32 v6, v9 :: v_dual_mov_b32 v7, v10
	s_delay_alu instid0(VALU_DEP_2)
	s_and_saveexec_b32 s15, s0
; %bb.1657:                             ;   in Loop: Header=BB458_1183 Depth=1
	v_and_b32_e32 v6, 7, v3
	s_delay_alu instid0(VALU_DEP_1) | instskip(NEXT) | instid1(VALU_DEP_1)
	v_clz_i32_u32_e32 v6, v6
	v_min_u32_e32 v36, 32, v6
	s_delay_alu instid0(VALU_DEP_1) | instskip(SKIP_1) | instid1(VALU_DEP_2)
	v_subrev_nc_u32_e32 v6, 28, v36
	v_sub_nc_u32_e32 v36, 29, v36
	v_lshlrev_b64 v[6:7], v6, v[9:10]
; %bb.1658:                             ;   in Loop: Header=BB458_1183 Depth=1
	s_or_b32 exec_lo, exec_lo, s15
	s_delay_alu instid0(VALU_DEP_1) | instskip(SKIP_2) | instid1(VALU_DEP_3)
	v_lshlrev_b32_e32 v6, 20, v6
	v_lshlrev_b32_e32 v7, 24, v9
	v_lshl_add_u32 v36, v36, 23, 0x3c000000
	v_and_b32_e32 v6, 0x700000, v6
	s_delay_alu instid0(VALU_DEP_3) | instskip(NEXT) | instid1(VALU_DEP_1)
	v_and_b32_e32 v7, 0x80000000, v7
	v_or3_b32 v6, v6, v7, v36
.LBB458_1659:                           ;   in Loop: Header=BB458_1183 Depth=1
	s_or_b32 exec_lo, exec_lo, s13
.LBB458_1660:                           ;   in Loop: Header=BB458_1183 Depth=1
	s_delay_alu instid0(SALU_CYCLE_1)
	s_or_b32 exec_lo, exec_lo, s12
.LBB458_1661:                           ;   in Loop: Header=BB458_1183 Depth=1
	s_delay_alu instid0(SALU_CYCLE_1) | instskip(NEXT) | instid1(VALU_DEP_1)
	s_or_b32 exec_lo, exec_lo, s9
	v_mul_f32_e32 v6, v26, v6
                                        ; implicit-def: $vgpr36
	s_delay_alu instid0(VALU_DEP_1) | instskip(NEXT) | instid1(VALU_DEP_1)
	v_and_b32_e32 v7, 0x7f800000, v6
	v_cmp_ne_u32_e64 s0, 0x7f800000, v7
	s_delay_alu instid0(VALU_DEP_1) | instskip(NEXT) | instid1(SALU_CYCLE_1)
	s_and_saveexec_b32 s9, s0
	s_xor_b32 s0, exec_lo, s9
; %bb.1662:                             ;   in Loop: Header=BB458_1183 Depth=1
	v_bfe_u32 v7, v6, 16, 1
	s_delay_alu instid0(VALU_DEP_1)
	v_add3_u32 v36, v6, v7, 0x7fff
                                        ; implicit-def: $vgpr6
; %bb.1663:                             ;   in Loop: Header=BB458_1183 Depth=1
	s_and_not1_saveexec_b32 s9, s0
; %bb.1664:                             ;   in Loop: Header=BB458_1183 Depth=1
	v_and_b32_e32 v7, 0xffff, v6
	v_or_b32_e32 v36, 0x10000, v6
	s_delay_alu instid0(VALU_DEP_2) | instskip(NEXT) | instid1(VALU_DEP_1)
	v_cmp_eq_u32_e64 s0, 0, v7
	v_cndmask_b32_e64 v36, v36, v6, s0
; %bb.1665:                             ;   in Loop: Header=BB458_1183 Depth=1
	s_or_b32 exec_lo, exec_lo, s9
	v_lshrrev_b16 v7, 8, v9
	v_mov_b32_e32 v6, 0
	s_mov_b32 s9, exec_lo
	s_delay_alu instid0(VALU_DEP_2)
	v_cmpx_ne_u16_e32 0, v7
	s_cbranch_execz .LBB458_1673
; %bb.1666:                             ;   in Loop: Header=BB458_1183 Depth=1
	v_bfrev_b32_e32 v6, 1
	s_mov_b32 s12, exec_lo
	v_cmpx_ne_u16_e32 0x80, v7
	s_cbranch_execz .LBB458_1672
; %bb.1667:                             ;   in Loop: Header=BB458_1183 Depth=1
	v_and_b32_e32 v7, 0xffff, v7
	v_mov_b32_e32 v6, 0x7f800001
	s_mov_b32 s13, exec_lo
	s_delay_alu instid0(VALU_DEP_2) | instskip(NEXT) | instid1(VALU_DEP_1)
	v_and_b32_e32 v128, 0x7f, v7
	v_cmpx_ne_u32_e32 0x7f, v128
	s_cbranch_execz .LBB458_1671
; %bb.1668:                             ;   in Loop: Header=BB458_1183 Depth=1
	v_dual_mov_b32 v7, v10 :: v_dual_and_b32 v6, 7, v7
	v_lshrrev_b32_e32 v119, 3, v128
	s_mov_b32 s15, exec_lo
	v_cmpx_gt_u32_e32 8, v128
; %bb.1669:                             ;   in Loop: Header=BB458_1183 Depth=1
	s_delay_alu instid0(VALU_DEP_3) | instskip(NEXT) | instid1(VALU_DEP_1)
	v_clz_i32_u32_e32 v119, v6
	v_min_u32_e32 v119, 32, v119
	s_delay_alu instid0(VALU_DEP_1) | instskip(SKIP_1) | instid1(VALU_DEP_2)
	v_subrev_nc_u32_e32 v128, 28, v119
	v_sub_nc_u32_e32 v119, 29, v119
	v_lshlrev_b64 v[6:7], v128, v[6:7]
	s_delay_alu instid0(VALU_DEP_1)
	v_and_b32_e32 v6, 7, v6
; %bb.1670:                             ;   in Loop: Header=BB458_1183 Depth=1
	s_or_b32 exec_lo, exec_lo, s15
	v_lshlrev_b32_e32 v7, 16, v9
	s_delay_alu instid0(VALU_DEP_2) | instskip(SKIP_1) | instid1(VALU_DEP_3)
	v_lshlrev_b32_e32 v6, 20, v6
	v_lshl_add_u32 v9, v119, 23, 0x3c000000
	v_and_b32_e32 v7, 0x80000000, v7
	s_delay_alu instid0(VALU_DEP_1)
	v_or3_b32 v6, v6, v7, v9
.LBB458_1671:                           ;   in Loop: Header=BB458_1183 Depth=1
	s_or_b32 exec_lo, exec_lo, s13
.LBB458_1672:                           ;   in Loop: Header=BB458_1183 Depth=1
	s_delay_alu instid0(SALU_CYCLE_1)
	s_or_b32 exec_lo, exec_lo, s12
.LBB458_1673:                           ;   in Loop: Header=BB458_1183 Depth=1
	s_delay_alu instid0(SALU_CYCLE_1) | instskip(NEXT) | instid1(VALU_DEP_1)
	s_or_b32 exec_lo, exec_lo, s9
	v_mul_f32_e32 v7, v26, v6
	s_delay_alu instid0(VALU_DEP_1) | instskip(NEXT) | instid1(VALU_DEP_1)
	v_and_b32_e32 v6, 0x7f800000, v7
	v_cmp_ne_u32_e64 s0, 0x7f800000, v6
                                        ; implicit-def: $vgpr6
	s_delay_alu instid0(VALU_DEP_1) | instskip(NEXT) | instid1(SALU_CYCLE_1)
	s_and_saveexec_b32 s9, s0
	s_xor_b32 s0, exec_lo, s9
; %bb.1674:                             ;   in Loop: Header=BB458_1183 Depth=1
	v_bfe_u32 v6, v7, 16, 1
	s_delay_alu instid0(VALU_DEP_1)
	v_add3_u32 v6, v7, v6, 0x7fff
                                        ; implicit-def: $vgpr7
; %bb.1675:                             ;   in Loop: Header=BB458_1183 Depth=1
	s_and_not1_saveexec_b32 s9, s0
; %bb.1676:                             ;   in Loop: Header=BB458_1183 Depth=1
	v_and_b32_e32 v6, 0xffff, v7
	v_or_b32_e32 v9, 0x10000, v7
	s_delay_alu instid0(VALU_DEP_2) | instskip(NEXT) | instid1(VALU_DEP_1)
	v_cmp_eq_u32_e64 s0, 0, v6
	v_cndmask_b32_e64 v6, v9, v7, s0
; %bb.1677:                             ;   in Loop: Header=BB458_1183 Depth=1
	s_or_b32 exec_lo, exec_lo, s9
	v_lshrrev_b32_e32 v7, 16, v3
	v_mov_b32_e32 v9, 0
	s_mov_b32 s9, exec_lo
	s_delay_alu instid0(VALU_DEP_2) | instskip(NEXT) | instid1(VALU_DEP_1)
	v_and_b32_e32 v119, 0xff, v7
	v_cmpx_ne_u16_e32 0, v119
	s_cbranch_execz .LBB458_1685
; %bb.1678:                             ;   in Loop: Header=BB458_1183 Depth=1
	v_bfrev_b32_e32 v9, 1
	s_mov_b32 s12, exec_lo
	v_cmpx_ne_u16_e32 0x80, v119
	s_cbranch_execz .LBB458_1684
; %bb.1679:                             ;   in Loop: Header=BB458_1183 Depth=1
	v_bfe_u32 v128, v3, 16, 7
	v_mov_b32_e32 v9, 0x7f800001
	s_mov_b32 s13, exec_lo
	s_delay_alu instid0(VALU_DEP_2)
	v_cmpx_ne_u32_e32 0x7f, v128
	s_cbranch_execz .LBB458_1683
; %bb.1680:                             ;   in Loop: Header=BB458_1183 Depth=1
	v_and_b32_e32 v9, 7, v7
	v_lshrrev_b32_e32 v119, 3, v128
	s_mov_b32 s15, exec_lo
	v_cmpx_gt_u32_e32 8, v128
; %bb.1681:                             ;   in Loop: Header=BB458_1183 Depth=1
	s_delay_alu instid0(VALU_DEP_3) | instskip(NEXT) | instid1(VALU_DEP_1)
	v_clz_i32_u32_e32 v119, v9
	v_min_u32_e32 v119, 32, v119
	s_delay_alu instid0(VALU_DEP_1) | instskip(SKIP_1) | instid1(VALU_DEP_2)
	v_subrev_nc_u32_e32 v128, 28, v119
	v_sub_nc_u32_e32 v119, 29, v119
	v_lshlrev_b64 v[128:129], v128, v[9:10]
	s_delay_alu instid0(VALU_DEP_1)
	v_and_b32_e32 v9, 7, v128
; %bb.1682:                             ;   in Loop: Header=BB458_1183 Depth=1
	s_or_b32 exec_lo, exec_lo, s15
	v_lshlrev_b32_e32 v7, 24, v7
	s_delay_alu instid0(VALU_DEP_2) | instskip(SKIP_1) | instid1(VALU_DEP_3)
	v_lshlrev_b32_e32 v9, 20, v9
	v_lshl_add_u32 v119, v119, 23, 0x3c000000
	v_and_b32_e32 v7, 0x80000000, v7
	s_delay_alu instid0(VALU_DEP_1)
	v_or3_b32 v9, v9, v7, v119
.LBB458_1683:                           ;   in Loop: Header=BB458_1183 Depth=1
	s_or_b32 exec_lo, exec_lo, s13
.LBB458_1684:                           ;   in Loop: Header=BB458_1183 Depth=1
	s_delay_alu instid0(SALU_CYCLE_1)
	s_or_b32 exec_lo, exec_lo, s12
.LBB458_1685:                           ;   in Loop: Header=BB458_1183 Depth=1
	s_delay_alu instid0(SALU_CYCLE_1) | instskip(NEXT) | instid1(VALU_DEP_1)
	s_or_b32 exec_lo, exec_lo, s9
	v_mul_f32_e32 v7, v26, v9
                                        ; implicit-def: $vgpr119
	s_delay_alu instid0(VALU_DEP_1) | instskip(NEXT) | instid1(VALU_DEP_1)
	v_and_b32_e32 v9, 0x7f800000, v7
	v_cmp_ne_u32_e64 s0, 0x7f800000, v9
	s_delay_alu instid0(VALU_DEP_1) | instskip(NEXT) | instid1(SALU_CYCLE_1)
	s_and_saveexec_b32 s9, s0
	s_xor_b32 s0, exec_lo, s9
; %bb.1686:                             ;   in Loop: Header=BB458_1183 Depth=1
	v_bfe_u32 v9, v7, 16, 1
	s_delay_alu instid0(VALU_DEP_1)
	v_add3_u32 v119, v7, v9, 0x7fff
                                        ; implicit-def: $vgpr7
; %bb.1687:                             ;   in Loop: Header=BB458_1183 Depth=1
	s_and_not1_saveexec_b32 s9, s0
; %bb.1688:                             ;   in Loop: Header=BB458_1183 Depth=1
	v_and_b32_e32 v9, 0xffff, v7
	v_or_b32_e32 v119, 0x10000, v7
	s_delay_alu instid0(VALU_DEP_2) | instskip(NEXT) | instid1(VALU_DEP_1)
	v_cmp_eq_u32_e64 s0, 0, v9
	v_cndmask_b32_e64 v119, v119, v7, s0
; %bb.1689:                             ;   in Loop: Header=BB458_1183 Depth=1
	s_or_b32 exec_lo, exec_lo, s9
	v_mov_b32_e32 v7, 0
	s_mov_b32 s9, exec_lo
	v_cmpx_lt_u64_e64 s[2:3], v[2:3]
	s_cbranch_execz .LBB458_1697
; %bb.1690:                             ;   in Loop: Header=BB458_1183 Depth=1
	v_lshrrev_b32_e32 v2, 24, v3
	v_bfrev_b32_e32 v7, 1
	s_mov_b32 s12, exec_lo
	s_delay_alu instid0(VALU_DEP_2)
	v_cmpx_ne_u32_e32 0x80, v2
	s_cbranch_execz .LBB458_1696
; %bb.1691:                             ;   in Loop: Header=BB458_1183 Depth=1
	v_bfe_u32 v128, v3, 24, 7
	v_mov_b32_e32 v7, 0x7f800001
	s_mov_b32 s13, exec_lo
	s_delay_alu instid0(VALU_DEP_2)
	v_cmpx_ne_u32_e32 0x7f, v128
	s_cbranch_execz .LBB458_1695
; %bb.1692:                             ;   in Loop: Header=BB458_1183 Depth=1
	v_and_b32_e32 v9, 7, v2
	v_lshrrev_b32_e32 v3, 3, v128
	s_mov_b32 s15, exec_lo
	v_cmpx_gt_u32_e32 8, v128
; %bb.1693:                             ;   in Loop: Header=BB458_1183 Depth=1
	s_delay_alu instid0(VALU_DEP_3) | instskip(NEXT) | instid1(VALU_DEP_1)
	v_clz_i32_u32_e32 v3, v9
	v_min_u32_e32 v3, 32, v3
	s_delay_alu instid0(VALU_DEP_1) | instskip(SKIP_1) | instid1(VALU_DEP_2)
	v_subrev_nc_u32_e32 v7, 28, v3
	v_sub_nc_u32_e32 v3, 29, v3
	v_lshlrev_b64 v[128:129], v7, v[9:10]
	s_delay_alu instid0(VALU_DEP_1)
	v_and_b32_e32 v9, 7, v128
; %bb.1694:                             ;   in Loop: Header=BB458_1183 Depth=1
	s_or_b32 exec_lo, exec_lo, s15
	v_lshlrev_b32_e32 v2, 24, v2
	s_delay_alu instid0(VALU_DEP_2) | instskip(SKIP_1) | instid1(VALU_DEP_3)
	v_lshlrev_b32_e32 v7, 20, v9
	v_lshl_add_u32 v3, v3, 23, 0x3c000000
	v_and_b32_e32 v2, 0x80000000, v2
	s_delay_alu instid0(VALU_DEP_1)
	v_or3_b32 v7, v7, v2, v3
.LBB458_1695:                           ;   in Loop: Header=BB458_1183 Depth=1
	s_or_b32 exec_lo, exec_lo, s13
.LBB458_1696:                           ;   in Loop: Header=BB458_1183 Depth=1
	s_delay_alu instid0(SALU_CYCLE_1)
	s_or_b32 exec_lo, exec_lo, s12
.LBB458_1697:                           ;   in Loop: Header=BB458_1183 Depth=1
	s_delay_alu instid0(SALU_CYCLE_1) | instskip(NEXT) | instid1(VALU_DEP_1)
	s_or_b32 exec_lo, exec_lo, s9
	v_mul_f32_e32 v3, v26, v7
	s_delay_alu instid0(VALU_DEP_1) | instskip(NEXT) | instid1(VALU_DEP_1)
	v_and_b32_e32 v2, 0x7f800000, v3
	v_cmp_ne_u32_e64 s0, 0x7f800000, v2
                                        ; implicit-def: $vgpr2
	s_delay_alu instid0(VALU_DEP_1) | instskip(NEXT) | instid1(SALU_CYCLE_1)
	s_and_saveexec_b32 s9, s0
	s_xor_b32 s0, exec_lo, s9
; %bb.1698:                             ;   in Loop: Header=BB458_1183 Depth=1
	v_bfe_u32 v2, v3, 16, 1
	s_delay_alu instid0(VALU_DEP_1)
	v_add3_u32 v2, v3, v2, 0x7fff
                                        ; implicit-def: $vgpr3
; %bb.1699:                             ;   in Loop: Header=BB458_1183 Depth=1
	s_and_not1_saveexec_b32 s9, s0
; %bb.1700:                             ;   in Loop: Header=BB458_1183 Depth=1
	v_and_b32_e32 v2, 0xffff, v3
	v_or_b32_e32 v7, 0x10000, v3
	s_delay_alu instid0(VALU_DEP_2) | instskip(NEXT) | instid1(VALU_DEP_1)
	v_cmp_eq_u32_e64 s0, 0, v2
	v_cndmask_b32_e64 v2, v7, v3, s0
; %bb.1701:                             ;   in Loop: Header=BB458_1183 Depth=1
	s_or_b32 exec_lo, exec_lo, s9
	v_lshrrev_b32_e32 v6, 16, v6
	v_lshrrev_b32_e32 v7, 16, v36
	;; [unrolled: 1-line block ×8, first 2 shown]
	s_and_saveexec_b32 s9, vcc_lo
	s_cbranch_execz .LBB458_1703
; %bb.1702:                             ;   in Loop: Header=BB458_1183 Depth=1
	v_cmp_lt_i32_e64 s0, v64, v35
	s_delay_alu instid0(VALU_DEP_1) | instskip(SKIP_1) | instid1(VALU_DEP_1)
	v_cndmask_b32_e64 v4, 0, v4, s0
	v_cmp_lt_i32_e64 s0, v70, v35
	v_cndmask_b32_e64 v5, 0, v5, s0
	v_cmp_lt_i32_e64 s0, v69, v35
	s_delay_alu instid0(VALU_DEP_1) | instskip(SKIP_1) | instid1(VALU_DEP_1)
	v_cndmask_b32_e64 v23, 0, v23, s0
	v_cmp_lt_i32_e64 s0, v68, v35
	v_cndmask_b32_e64 v9, 0, v9, s0
	;; [unrolled: 5-line block ×4, first 2 shown]
.LBB458_1703:                           ;   in Loop: Header=BB458_1183 Depth=1
	s_or_b32 exec_lo, exec_lo, s9
	v_lshlrev_b32_e32 v4, 16, v4
                                        ; implicit-def: $vgpr119
	s_delay_alu instid0(VALU_DEP_1) | instskip(NEXT) | instid1(VALU_DEP_1)
	v_mul_f32_e32 v4, v71, v4
	v_and_b32_e32 v34, 0x7f800000, v4
	s_delay_alu instid0(VALU_DEP_1) | instskip(NEXT) | instid1(VALU_DEP_1)
	v_cmp_ne_u32_e64 s0, 0x7f800000, v34
	s_and_saveexec_b32 s9, s0
	s_delay_alu instid0(SALU_CYCLE_1)
	s_xor_b32 s0, exec_lo, s9
; %bb.1704:                             ;   in Loop: Header=BB458_1183 Depth=1
	v_bfe_u32 v34, v4, 16, 1
	s_delay_alu instid0(VALU_DEP_1)
	v_add3_u32 v119, v4, v34, 0x7fff
                                        ; implicit-def: $vgpr4
; %bb.1705:                             ;   in Loop: Header=BB458_1183 Depth=1
	s_and_not1_saveexec_b32 s9, s0
; %bb.1706:                             ;   in Loop: Header=BB458_1183 Depth=1
	v_and_b32_e32 v34, 0xffff, v4
	v_or_b32_e32 v36, 0x10000, v4
	s_delay_alu instid0(VALU_DEP_2) | instskip(NEXT) | instid1(VALU_DEP_1)
	v_cmp_eq_u32_e64 s0, 0, v34
	v_cndmask_b32_e64 v119, v36, v4, s0
; %bb.1707:                             ;   in Loop: Header=BB458_1183 Depth=1
	s_or_b32 exec_lo, exec_lo, s9
	v_lshlrev_b32_e32 v4, 16, v5
                                        ; implicit-def: $vgpr128
	s_delay_alu instid0(VALU_DEP_1) | instskip(NEXT) | instid1(VALU_DEP_1)
	v_mul_f32_e32 v4, v80, v4
	v_and_b32_e32 v5, 0x7f800000, v4
	s_delay_alu instid0(VALU_DEP_1) | instskip(NEXT) | instid1(VALU_DEP_1)
	v_cmp_ne_u32_e64 s0, 0x7f800000, v5
	s_and_saveexec_b32 s9, s0
	s_delay_alu instid0(SALU_CYCLE_1)
	s_xor_b32 s0, exec_lo, s9
; %bb.1708:                             ;   in Loop: Header=BB458_1183 Depth=1
	v_bfe_u32 v5, v4, 16, 1
	s_delay_alu instid0(VALU_DEP_1)
	v_add3_u32 v128, v4, v5, 0x7fff
                                        ; implicit-def: $vgpr4
; %bb.1709:                             ;   in Loop: Header=BB458_1183 Depth=1
	s_and_not1_saveexec_b32 s9, s0
; %bb.1710:                             ;   in Loop: Header=BB458_1183 Depth=1
	v_and_b32_e32 v5, 0xffff, v4
	v_or_b32_e32 v34, 0x10000, v4
	s_delay_alu instid0(VALU_DEP_2) | instskip(NEXT) | instid1(VALU_DEP_1)
	v_cmp_eq_u32_e64 s0, 0, v5
	v_cndmask_b32_e64 v128, v34, v4, s0
; %bb.1711:                             ;   in Loop: Header=BB458_1183 Depth=1
	s_or_b32 exec_lo, exec_lo, s9
	v_lshlrev_b32_e32 v4, 16, v23
                                        ; implicit-def: $vgpr129
	s_delay_alu instid0(VALU_DEP_1) | instskip(NEXT) | instid1(VALU_DEP_1)
	v_mul_f32_e32 v4, v81, v4
	v_and_b32_e32 v5, 0x7f800000, v4
	s_delay_alu instid0(VALU_DEP_1) | instskip(NEXT) | instid1(VALU_DEP_1)
	v_cmp_ne_u32_e64 s0, 0x7f800000, v5
	s_and_saveexec_b32 s9, s0
	s_delay_alu instid0(SALU_CYCLE_1)
	s_xor_b32 s0, exec_lo, s9
; %bb.1712:                             ;   in Loop: Header=BB458_1183 Depth=1
	v_bfe_u32 v5, v4, 16, 1
	s_delay_alu instid0(VALU_DEP_1)
	v_add3_u32 v129, v4, v5, 0x7fff
                                        ; implicit-def: $vgpr4
; %bb.1713:                             ;   in Loop: Header=BB458_1183 Depth=1
	s_and_not1_saveexec_b32 s9, s0
; %bb.1714:                             ;   in Loop: Header=BB458_1183 Depth=1
	v_and_b32_e32 v5, 0xffff, v4
	v_or_b32_e32 v23, 0x10000, v4
	s_delay_alu instid0(VALU_DEP_2) | instskip(NEXT) | instid1(VALU_DEP_1)
	v_cmp_eq_u32_e64 s0, 0, v5
	v_cndmask_b32_e64 v129, v23, v4, s0
; %bb.1715:                             ;   in Loop: Header=BB458_1183 Depth=1
	s_or_b32 exec_lo, exec_lo, s9
	v_lshlrev_b32_e32 v4, 16, v9
                                        ; implicit-def: $vgpr130
	s_delay_alu instid0(VALU_DEP_1) | instskip(NEXT) | instid1(VALU_DEP_1)
	v_mul_f32_e32 v4, v82, v4
	v_and_b32_e32 v5, 0x7f800000, v4
	s_delay_alu instid0(VALU_DEP_1) | instskip(NEXT) | instid1(VALU_DEP_1)
	v_cmp_ne_u32_e64 s0, 0x7f800000, v5
	s_and_saveexec_b32 s9, s0
	s_delay_alu instid0(SALU_CYCLE_1)
	s_xor_b32 s0, exec_lo, s9
; %bb.1716:                             ;   in Loop: Header=BB458_1183 Depth=1
	v_bfe_u32 v5, v4, 16, 1
	s_delay_alu instid0(VALU_DEP_1)
	v_add3_u32 v130, v4, v5, 0x7fff
                                        ; implicit-def: $vgpr4
; %bb.1717:                             ;   in Loop: Header=BB458_1183 Depth=1
	s_and_not1_saveexec_b32 s9, s0
; %bb.1718:                             ;   in Loop: Header=BB458_1183 Depth=1
	v_and_b32_e32 v5, 0xffff, v4
	v_or_b32_e32 v9, 0x10000, v4
	s_delay_alu instid0(VALU_DEP_2) | instskip(NEXT) | instid1(VALU_DEP_1)
	v_cmp_eq_u32_e64 s0, 0, v5
	v_cndmask_b32_e64 v130, v9, v4, s0
; %bb.1719:                             ;   in Loop: Header=BB458_1183 Depth=1
	s_or_b32 exec_lo, exec_lo, s9
	v_lshlrev_b32_e32 v4, 16, v7
                                        ; implicit-def: $vgpr131
	s_delay_alu instid0(VALU_DEP_1) | instskip(NEXT) | instid1(VALU_DEP_1)
	v_mul_f32_e32 v4, v83, v4
	v_and_b32_e32 v5, 0x7f800000, v4
	s_delay_alu instid0(VALU_DEP_1) | instskip(NEXT) | instid1(VALU_DEP_1)
	v_cmp_ne_u32_e64 s0, 0x7f800000, v5
	s_and_saveexec_b32 s9, s0
	s_delay_alu instid0(SALU_CYCLE_1)
	s_xor_b32 s0, exec_lo, s9
; %bb.1720:                             ;   in Loop: Header=BB458_1183 Depth=1
	v_bfe_u32 v5, v4, 16, 1
	s_delay_alu instid0(VALU_DEP_1)
	v_add3_u32 v131, v4, v5, 0x7fff
                                        ; implicit-def: $vgpr4
; %bb.1721:                             ;   in Loop: Header=BB458_1183 Depth=1
	s_and_not1_saveexec_b32 s9, s0
; %bb.1722:                             ;   in Loop: Header=BB458_1183 Depth=1
	v_and_b32_e32 v5, 0xffff, v4
	v_or_b32_e32 v7, 0x10000, v4
	s_delay_alu instid0(VALU_DEP_2) | instskip(NEXT) | instid1(VALU_DEP_1)
	v_cmp_eq_u32_e64 s0, 0, v5
	v_cndmask_b32_e64 v131, v7, v4, s0
; %bb.1723:                             ;   in Loop: Header=BB458_1183 Depth=1
	s_or_b32 exec_lo, exec_lo, s9
	v_lshlrev_b32_e32 v4, 16, v6
                                        ; implicit-def: $vgpr132
	s_delay_alu instid0(VALU_DEP_1) | instskip(NEXT) | instid1(VALU_DEP_1)
	v_mul_f32_e32 v4, v84, v4
	v_and_b32_e32 v5, 0x7f800000, v4
	s_delay_alu instid0(VALU_DEP_1) | instskip(NEXT) | instid1(VALU_DEP_1)
	v_cmp_ne_u32_e64 s0, 0x7f800000, v5
	s_and_saveexec_b32 s9, s0
	s_delay_alu instid0(SALU_CYCLE_1)
	s_xor_b32 s0, exec_lo, s9
; %bb.1724:                             ;   in Loop: Header=BB458_1183 Depth=1
	v_bfe_u32 v5, v4, 16, 1
	s_delay_alu instid0(VALU_DEP_1)
	v_add3_u32 v132, v4, v5, 0x7fff
                                        ; implicit-def: $vgpr4
; %bb.1725:                             ;   in Loop: Header=BB458_1183 Depth=1
	s_and_not1_saveexec_b32 s9, s0
; %bb.1726:                             ;   in Loop: Header=BB458_1183 Depth=1
	v_and_b32_e32 v5, 0xffff, v4
	v_or_b32_e32 v6, 0x10000, v4
	s_delay_alu instid0(VALU_DEP_2) | instskip(NEXT) | instid1(VALU_DEP_1)
	v_cmp_eq_u32_e64 s0, 0, v5
	v_cndmask_b32_e64 v132, v6, v4, s0
; %bb.1727:                             ;   in Loop: Header=BB458_1183 Depth=1
	s_or_b32 exec_lo, exec_lo, s9
	v_lshlrev_b32_e32 v3, 16, v3
                                        ; implicit-def: $vgpr133
	s_delay_alu instid0(VALU_DEP_1) | instskip(NEXT) | instid1(VALU_DEP_1)
	v_mul_f32_e32 v3, v85, v3
	v_and_b32_e32 v4, 0x7f800000, v3
	s_delay_alu instid0(VALU_DEP_1) | instskip(NEXT) | instid1(VALU_DEP_1)
	v_cmp_ne_u32_e64 s0, 0x7f800000, v4
	s_and_saveexec_b32 s9, s0
	s_delay_alu instid0(SALU_CYCLE_1)
	s_xor_b32 s0, exec_lo, s9
; %bb.1728:                             ;   in Loop: Header=BB458_1183 Depth=1
	v_bfe_u32 v4, v3, 16, 1
	s_delay_alu instid0(VALU_DEP_1)
	v_add3_u32 v133, v3, v4, 0x7fff
                                        ; implicit-def: $vgpr3
; %bb.1729:                             ;   in Loop: Header=BB458_1183 Depth=1
	s_and_not1_saveexec_b32 s9, s0
; %bb.1730:                             ;   in Loop: Header=BB458_1183 Depth=1
	v_and_b32_e32 v4, 0xffff, v3
	v_or_b32_e32 v5, 0x10000, v3
	s_delay_alu instid0(VALU_DEP_2) | instskip(NEXT) | instid1(VALU_DEP_1)
	v_cmp_eq_u32_e64 s0, 0, v4
	v_cndmask_b32_e64 v133, v5, v3, s0
; %bb.1731:                             ;   in Loop: Header=BB458_1183 Depth=1
	s_or_b32 exec_lo, exec_lo, s9
	v_lshlrev_b32_e32 v2, 16, v2
                                        ; implicit-def: $vgpr134
	s_delay_alu instid0(VALU_DEP_1) | instskip(NEXT) | instid1(VALU_DEP_1)
	v_mul_f32_e32 v2, v86, v2
	v_and_b32_e32 v3, 0x7f800000, v2
	s_delay_alu instid0(VALU_DEP_1) | instskip(NEXT) | instid1(VALU_DEP_1)
	v_cmp_ne_u32_e64 s0, 0x7f800000, v3
	s_and_saveexec_b32 s9, s0
	s_delay_alu instid0(SALU_CYCLE_1)
	s_xor_b32 s0, exec_lo, s9
; %bb.1732:                             ;   in Loop: Header=BB458_1183 Depth=1
	v_bfe_u32 v3, v2, 16, 1
	s_delay_alu instid0(VALU_DEP_1)
	v_add3_u32 v134, v2, v3, 0x7fff
                                        ; implicit-def: $vgpr2
; %bb.1733:                             ;   in Loop: Header=BB458_1183 Depth=1
	s_and_not1_saveexec_b32 s9, s0
; %bb.1734:                             ;   in Loop: Header=BB458_1183 Depth=1
	v_and_b32_e32 v3, 0xffff, v2
	v_or_b32_e32 v4, 0x10000, v2
	s_delay_alu instid0(VALU_DEP_2) | instskip(NEXT) | instid1(VALU_DEP_1)
	v_cmp_eq_u32_e64 s0, 0, v3
	v_cndmask_b32_e64 v134, v4, v2, s0
; %bb.1735:                             ;   in Loop: Header=BB458_1183 Depth=1
	s_or_b32 exec_lo, exec_lo, s9
	flat_load_b64 v[2:3], v[0:1] offset:1024
	s_mov_b32 s9, exec_lo
	s_waitcnt vmcnt(0) lgkmcnt(0)
	v_dual_mov_b32 v4, 0 :: v_dual_and_b32 v5, 0xff, v2
	s_delay_alu instid0(VALU_DEP_1)
	v_cmpx_ne_u16_e32 0, v5
	s_cbranch_execz .LBB458_1743
; %bb.1736:                             ;   in Loop: Header=BB458_1183 Depth=1
	v_bfrev_b32_e32 v4, 1
	s_mov_b32 s12, exec_lo
	v_cmpx_ne_u16_e32 0x80, v5
	s_cbranch_execz .LBB458_1742
; %bb.1737:                             ;   in Loop: Header=BB458_1183 Depth=1
	v_and_b32_e32 v5, 0x7f, v2
	v_mov_b32_e32 v4, 0x7f800001
	s_mov_b32 s13, exec_lo
	s_delay_alu instid0(VALU_DEP_2)
	v_cmpx_ne_u32_e32 0x7f, v5
	s_cbranch_execz .LBB458_1741
; %bb.1738:                             ;   in Loop: Header=BB458_1183 Depth=1
	v_lshrrev_b32_e32 v4, 3, v5
	v_dual_mov_b32 v7, v3 :: v_dual_mov_b32 v6, v2
	s_mov_b32 s15, exec_lo
	v_cmpx_gt_u32_e32 8, v5
; %bb.1739:                             ;   in Loop: Header=BB458_1183 Depth=1
	v_and_b32_e32 v4, 7, v2
	s_delay_alu instid0(VALU_DEP_1) | instskip(NEXT) | instid1(VALU_DEP_1)
	v_clz_i32_u32_e32 v4, v4
	v_min_u32_e32 v4, 32, v4
	s_delay_alu instid0(VALU_DEP_1) | instskip(SKIP_1) | instid1(VALU_DEP_2)
	v_subrev_nc_u32_e32 v5, 28, v4
	v_sub_nc_u32_e32 v4, 29, v4
	v_lshlrev_b64 v[6:7], v5, v[2:3]
; %bb.1740:                             ;   in Loop: Header=BB458_1183 Depth=1
	s_or_b32 exec_lo, exec_lo, s15
	s_delay_alu instid0(VALU_DEP_1) | instskip(SKIP_2) | instid1(VALU_DEP_3)
	v_lshlrev_b32_e32 v5, 20, v6
	v_lshlrev_b32_e32 v6, 24, v2
	v_lshl_add_u32 v4, v4, 23, 0x3c000000
	v_and_b32_e32 v5, 0x700000, v5
	s_delay_alu instid0(VALU_DEP_3) | instskip(NEXT) | instid1(VALU_DEP_1)
	v_and_b32_e32 v6, 0x80000000, v6
	v_or3_b32 v4, v5, v6, v4
.LBB458_1741:                           ;   in Loop: Header=BB458_1183 Depth=1
	s_or_b32 exec_lo, exec_lo, s13
.LBB458_1742:                           ;   in Loop: Header=BB458_1183 Depth=1
	s_delay_alu instid0(SALU_CYCLE_1)
	s_or_b32 exec_lo, exec_lo, s12
.LBB458_1743:                           ;   in Loop: Header=BB458_1183 Depth=1
	s_delay_alu instid0(SALU_CYCLE_1) | instskip(NEXT) | instid1(VALU_DEP_1)
	s_or_b32 exec_lo, exec_lo, s9
	v_mul_f32_e32 v5, v26, v4
	s_delay_alu instid0(VALU_DEP_1) | instskip(NEXT) | instid1(VALU_DEP_1)
	v_and_b32_e32 v4, 0x7f800000, v5
	v_cmp_ne_u32_e64 s0, 0x7f800000, v4
                                        ; implicit-def: $vgpr4
	s_delay_alu instid0(VALU_DEP_1) | instskip(NEXT) | instid1(SALU_CYCLE_1)
	s_and_saveexec_b32 s9, s0
	s_xor_b32 s0, exec_lo, s9
; %bb.1744:                             ;   in Loop: Header=BB458_1183 Depth=1
	v_bfe_u32 v4, v5, 16, 1
	s_delay_alu instid0(VALU_DEP_1)
	v_add3_u32 v4, v5, v4, 0x7fff
                                        ; implicit-def: $vgpr5
; %bb.1745:                             ;   in Loop: Header=BB458_1183 Depth=1
	s_and_not1_saveexec_b32 s9, s0
; %bb.1746:                             ;   in Loop: Header=BB458_1183 Depth=1
	v_and_b32_e32 v4, 0xffff, v5
	v_or_b32_e32 v6, 0x10000, v5
	s_delay_alu instid0(VALU_DEP_2) | instskip(NEXT) | instid1(VALU_DEP_1)
	v_cmp_eq_u32_e64 s0, 0, v4
	v_cndmask_b32_e64 v4, v6, v5, s0
; %bb.1747:                             ;   in Loop: Header=BB458_1183 Depth=1
	s_or_b32 exec_lo, exec_lo, s9
	v_lshrrev_b16 v6, 8, v2
	v_mov_b32_e32 v5, 0
	s_mov_b32 s9, exec_lo
	s_delay_alu instid0(VALU_DEP_2)
	v_cmpx_ne_u16_e32 0, v6
	s_cbranch_execz .LBB458_1755
; %bb.1748:                             ;   in Loop: Header=BB458_1183 Depth=1
	v_bfrev_b32_e32 v5, 1
	s_mov_b32 s12, exec_lo
	v_cmpx_ne_u16_e32 0x80, v6
	s_cbranch_execz .LBB458_1754
; %bb.1749:                             ;   in Loop: Header=BB458_1183 Depth=1
	v_and_b32_e32 v7, 0xffff, v6
	v_mov_b32_e32 v5, 0x7f800001
	s_mov_b32 s13, exec_lo
	s_delay_alu instid0(VALU_DEP_2) | instskip(NEXT) | instid1(VALU_DEP_1)
	v_and_b32_e32 v6, 0x7f, v7
	v_cmpx_ne_u32_e32 0x7f, v6
	s_cbranch_execz .LBB458_1753
; %bb.1750:                             ;   in Loop: Header=BB458_1183 Depth=1
	v_and_b32_e32 v9, 7, v7
	v_lshrrev_b32_e32 v5, 3, v6
	s_mov_b32 s15, exec_lo
	v_cmpx_gt_u32_e32 8, v6
; %bb.1751:                             ;   in Loop: Header=BB458_1183 Depth=1
	s_delay_alu instid0(VALU_DEP_3) | instskip(NEXT) | instid1(VALU_DEP_1)
	v_clz_i32_u32_e32 v5, v9
	v_min_u32_e32 v5, 32, v5
	s_delay_alu instid0(VALU_DEP_1) | instskip(SKIP_1) | instid1(VALU_DEP_2)
	v_subrev_nc_u32_e32 v6, 28, v5
	v_sub_nc_u32_e32 v5, 29, v5
	v_lshlrev_b64 v[6:7], v6, v[9:10]
	s_delay_alu instid0(VALU_DEP_1)
	v_and_b32_e32 v9, 7, v6
; %bb.1752:                             ;   in Loop: Header=BB458_1183 Depth=1
	s_or_b32 exec_lo, exec_lo, s15
	v_lshlrev_b32_e32 v6, 16, v2
	s_delay_alu instid0(VALU_DEP_2) | instskip(SKIP_1) | instid1(VALU_DEP_3)
	v_lshlrev_b32_e32 v7, 20, v9
	v_lshl_add_u32 v5, v5, 23, 0x3c000000
	v_and_b32_e32 v6, 0x80000000, v6
	s_delay_alu instid0(VALU_DEP_1)
	v_or3_b32 v5, v7, v6, v5
.LBB458_1753:                           ;   in Loop: Header=BB458_1183 Depth=1
	s_or_b32 exec_lo, exec_lo, s13
.LBB458_1754:                           ;   in Loop: Header=BB458_1183 Depth=1
	s_delay_alu instid0(SALU_CYCLE_1)
	s_or_b32 exec_lo, exec_lo, s12
.LBB458_1755:                           ;   in Loop: Header=BB458_1183 Depth=1
	s_delay_alu instid0(SALU_CYCLE_1) | instskip(NEXT) | instid1(VALU_DEP_1)
	s_or_b32 exec_lo, exec_lo, s9
	v_mul_f32_e32 v6, v26, v5
	s_delay_alu instid0(VALU_DEP_1) | instskip(NEXT) | instid1(VALU_DEP_1)
	v_and_b32_e32 v5, 0x7f800000, v6
	v_cmp_ne_u32_e64 s0, 0x7f800000, v5
                                        ; implicit-def: $vgpr5
	s_delay_alu instid0(VALU_DEP_1) | instskip(NEXT) | instid1(SALU_CYCLE_1)
	s_and_saveexec_b32 s9, s0
	s_xor_b32 s0, exec_lo, s9
; %bb.1756:                             ;   in Loop: Header=BB458_1183 Depth=1
	v_bfe_u32 v5, v6, 16, 1
	s_delay_alu instid0(VALU_DEP_1)
	v_add3_u32 v5, v6, v5, 0x7fff
                                        ; implicit-def: $vgpr6
; %bb.1757:                             ;   in Loop: Header=BB458_1183 Depth=1
	s_and_not1_saveexec_b32 s9, s0
; %bb.1758:                             ;   in Loop: Header=BB458_1183 Depth=1
	v_and_b32_e32 v5, 0xffff, v6
	v_or_b32_e32 v7, 0x10000, v6
	s_delay_alu instid0(VALU_DEP_2) | instskip(NEXT) | instid1(VALU_DEP_1)
	v_cmp_eq_u32_e64 s0, 0, v5
	v_cndmask_b32_e64 v5, v7, v6, s0
; %bb.1759:                             ;   in Loop: Header=BB458_1183 Depth=1
	s_or_b32 exec_lo, exec_lo, s9
	v_lshrrev_b32_e32 v6, 16, v2
	v_mov_b32_e32 v7, 0
	s_mov_b32 s9, exec_lo
	s_delay_alu instid0(VALU_DEP_2) | instskip(NEXT) | instid1(VALU_DEP_1)
	v_and_b32_e32 v9, 0xff, v6
	v_cmpx_ne_u16_e32 0, v9
	s_cbranch_execz .LBB458_1767
; %bb.1760:                             ;   in Loop: Header=BB458_1183 Depth=1
	v_bfrev_b32_e32 v7, 1
	s_mov_b32 s12, exec_lo
	v_cmpx_ne_u16_e32 0x80, v9
	s_cbranch_execz .LBB458_1766
; %bb.1761:                             ;   in Loop: Header=BB458_1183 Depth=1
	v_bfe_u32 v23, v2, 16, 7
	v_mov_b32_e32 v7, 0x7f800001
	s_mov_b32 s13, exec_lo
	s_delay_alu instid0(VALU_DEP_2)
	v_cmpx_ne_u32_e32 0x7f, v23
	s_cbranch_execz .LBB458_1765
; %bb.1762:                             ;   in Loop: Header=BB458_1183 Depth=1
	v_and_b32_e32 v9, 7, v6
	v_lshrrev_b32_e32 v7, 3, v23
	s_mov_b32 s15, exec_lo
	v_cmpx_gt_u32_e32 8, v23
; %bb.1763:                             ;   in Loop: Header=BB458_1183 Depth=1
	s_delay_alu instid0(VALU_DEP_3) | instskip(NEXT) | instid1(VALU_DEP_1)
	v_clz_i32_u32_e32 v7, v9
	v_min_u32_e32 v7, 32, v7
	s_delay_alu instid0(VALU_DEP_1) | instskip(SKIP_1) | instid1(VALU_DEP_2)
	v_subrev_nc_u32_e32 v23, 28, v7
	v_sub_nc_u32_e32 v7, 29, v7
	v_lshlrev_b64 v[144:145], v23, v[9:10]
	s_delay_alu instid0(VALU_DEP_1)
	v_and_b32_e32 v9, 7, v144
; %bb.1764:                             ;   in Loop: Header=BB458_1183 Depth=1
	s_or_b32 exec_lo, exec_lo, s15
	v_lshlrev_b32_e32 v6, 24, v6
	s_delay_alu instid0(VALU_DEP_2) | instskip(SKIP_1) | instid1(VALU_DEP_3)
	v_lshlrev_b32_e32 v9, 20, v9
	v_lshl_add_u32 v7, v7, 23, 0x3c000000
	v_and_b32_e32 v6, 0x80000000, v6
	s_delay_alu instid0(VALU_DEP_1)
	v_or3_b32 v7, v9, v6, v7
.LBB458_1765:                           ;   in Loop: Header=BB458_1183 Depth=1
	s_or_b32 exec_lo, exec_lo, s13
.LBB458_1766:                           ;   in Loop: Header=BB458_1183 Depth=1
	s_delay_alu instid0(SALU_CYCLE_1)
	s_or_b32 exec_lo, exec_lo, s12
.LBB458_1767:                           ;   in Loop: Header=BB458_1183 Depth=1
	s_delay_alu instid0(SALU_CYCLE_1) | instskip(NEXT) | instid1(VALU_DEP_1)
	s_or_b32 exec_lo, exec_lo, s9
	v_mul_f32_e32 v6, v26, v7
                                        ; implicit-def: $vgpr23
	s_delay_alu instid0(VALU_DEP_1) | instskip(NEXT) | instid1(VALU_DEP_1)
	v_and_b32_e32 v7, 0x7f800000, v6
	v_cmp_ne_u32_e64 s0, 0x7f800000, v7
	s_delay_alu instid0(VALU_DEP_1) | instskip(NEXT) | instid1(SALU_CYCLE_1)
	s_and_saveexec_b32 s9, s0
	s_xor_b32 s0, exec_lo, s9
; %bb.1768:                             ;   in Loop: Header=BB458_1183 Depth=1
	v_bfe_u32 v7, v6, 16, 1
	s_delay_alu instid0(VALU_DEP_1)
	v_add3_u32 v23, v6, v7, 0x7fff
                                        ; implicit-def: $vgpr6
; %bb.1769:                             ;   in Loop: Header=BB458_1183 Depth=1
	s_and_not1_saveexec_b32 s9, s0
; %bb.1770:                             ;   in Loop: Header=BB458_1183 Depth=1
	v_and_b32_e32 v7, 0xffff, v6
	v_or_b32_e32 v9, 0x10000, v6
	s_delay_alu instid0(VALU_DEP_2) | instskip(NEXT) | instid1(VALU_DEP_1)
	v_cmp_eq_u32_e64 s0, 0, v7
	v_cndmask_b32_e64 v23, v9, v6, s0
; %bb.1771:                             ;   in Loop: Header=BB458_1183 Depth=1
	s_or_b32 exec_lo, exec_lo, s9
	v_mov_b32_e32 v7, 0
	s_mov_b32 s9, exec_lo
	v_cmpx_lt_u32_e32 0xffffff, v2
	s_cbranch_execz .LBB458_1779
; %bb.1772:                             ;   in Loop: Header=BB458_1183 Depth=1
	v_lshrrev_b32_e32 v6, 24, v2
	v_bfrev_b32_e32 v7, 1
	s_mov_b32 s12, exec_lo
	s_delay_alu instid0(VALU_DEP_2)
	v_cmpx_ne_u32_e32 0x80, v6
	s_cbranch_execz .LBB458_1778
; %bb.1773:                             ;   in Loop: Header=BB458_1183 Depth=1
	v_bfe_u32 v34, v2, 24, 7
	v_mov_b32_e32 v7, 0x7f800001
	s_mov_b32 s13, exec_lo
	s_delay_alu instid0(VALU_DEP_2)
	v_cmpx_ne_u32_e32 0x7f, v34
	s_cbranch_execz .LBB458_1777
; %bb.1774:                             ;   in Loop: Header=BB458_1183 Depth=1
	v_and_b32_e32 v9, 7, v6
	v_lshrrev_b32_e32 v7, 3, v34
	s_mov_b32 s15, exec_lo
	v_cmpx_gt_u32_e32 8, v34
; %bb.1775:                             ;   in Loop: Header=BB458_1183 Depth=1
	s_delay_alu instid0(VALU_DEP_3) | instskip(NEXT) | instid1(VALU_DEP_1)
	v_clz_i32_u32_e32 v7, v9
	v_min_u32_e32 v7, 32, v7
	s_delay_alu instid0(VALU_DEP_1) | instskip(SKIP_1) | instid1(VALU_DEP_2)
	v_subrev_nc_u32_e32 v34, 28, v7
	v_sub_nc_u32_e32 v7, 29, v7
	v_lshlrev_b64 v[144:145], v34, v[9:10]
	s_delay_alu instid0(VALU_DEP_1)
	v_and_b32_e32 v9, 7, v144
; %bb.1776:                             ;   in Loop: Header=BB458_1183 Depth=1
	s_or_b32 exec_lo, exec_lo, s15
	v_lshlrev_b32_e32 v6, 24, v6
	s_delay_alu instid0(VALU_DEP_2) | instskip(SKIP_1) | instid1(VALU_DEP_3)
	v_lshlrev_b32_e32 v9, 20, v9
	v_lshl_add_u32 v7, v7, 23, 0x3c000000
	v_and_b32_e32 v6, 0x80000000, v6
	s_delay_alu instid0(VALU_DEP_1)
	v_or3_b32 v7, v9, v6, v7
.LBB458_1777:                           ;   in Loop: Header=BB458_1183 Depth=1
	s_or_b32 exec_lo, exec_lo, s13
.LBB458_1778:                           ;   in Loop: Header=BB458_1183 Depth=1
	s_delay_alu instid0(SALU_CYCLE_1)
	s_or_b32 exec_lo, exec_lo, s12
.LBB458_1779:                           ;   in Loop: Header=BB458_1183 Depth=1
	s_delay_alu instid0(SALU_CYCLE_1) | instskip(NEXT) | instid1(VALU_DEP_1)
	s_or_b32 exec_lo, exec_lo, s9
	v_mul_f32_e32 v6, v26, v7
                                        ; implicit-def: $vgpr34
	s_delay_alu instid0(VALU_DEP_1) | instskip(NEXT) | instid1(VALU_DEP_1)
	v_and_b32_e32 v7, 0x7f800000, v6
	v_cmp_ne_u32_e64 s0, 0x7f800000, v7
	s_delay_alu instid0(VALU_DEP_1) | instskip(NEXT) | instid1(SALU_CYCLE_1)
	s_and_saveexec_b32 s9, s0
	s_xor_b32 s0, exec_lo, s9
; %bb.1780:                             ;   in Loop: Header=BB458_1183 Depth=1
	v_bfe_u32 v7, v6, 16, 1
	s_delay_alu instid0(VALU_DEP_1)
	v_add3_u32 v34, v6, v7, 0x7fff
                                        ; implicit-def: $vgpr6
; %bb.1781:                             ;   in Loop: Header=BB458_1183 Depth=1
	s_and_not1_saveexec_b32 s9, s0
; %bb.1782:                             ;   in Loop: Header=BB458_1183 Depth=1
	v_and_b32_e32 v7, 0xffff, v6
	v_or_b32_e32 v9, 0x10000, v6
	s_delay_alu instid0(VALU_DEP_2) | instskip(NEXT) | instid1(VALU_DEP_1)
	v_cmp_eq_u32_e64 s0, 0, v7
	v_cndmask_b32_e64 v34, v9, v6, s0
; %bb.1783:                             ;   in Loop: Header=BB458_1183 Depth=1
	s_or_b32 exec_lo, exec_lo, s9
	v_dual_mov_b32 v6, 0 :: v_dual_and_b32 v7, 0xff, v3
	v_mov_b32_e32 v9, v3
	s_mov_b32 s9, exec_lo
	s_delay_alu instid0(VALU_DEP_2)
	v_cmpx_ne_u16_e32 0, v7
	s_cbranch_execz .LBB458_1791
; %bb.1784:                             ;   in Loop: Header=BB458_1183 Depth=1
	v_bfrev_b32_e32 v6, 1
	s_mov_b32 s12, exec_lo
	v_cmpx_ne_u16_e32 0x80, v7
	s_cbranch_execz .LBB458_1790
; %bb.1785:                             ;   in Loop: Header=BB458_1183 Depth=1
	v_and_b32_e32 v7, 0x7f, v3
	v_mov_b32_e32 v6, 0x7f800001
	s_mov_b32 s13, exec_lo
	s_delay_alu instid0(VALU_DEP_2)
	v_cmpx_ne_u32_e32 0x7f, v7
	s_cbranch_execz .LBB458_1789
; %bb.1786:                             ;   in Loop: Header=BB458_1183 Depth=1
	v_lshrrev_b32_e32 v36, 3, v7
	v_cmp_gt_u32_e64 s0, 8, v7
	v_dual_mov_b32 v6, v9 :: v_dual_mov_b32 v7, v10
	s_delay_alu instid0(VALU_DEP_2)
	s_and_saveexec_b32 s15, s0
; %bb.1787:                             ;   in Loop: Header=BB458_1183 Depth=1
	v_and_b32_e32 v6, 7, v3
	s_delay_alu instid0(VALU_DEP_1) | instskip(NEXT) | instid1(VALU_DEP_1)
	v_clz_i32_u32_e32 v6, v6
	v_min_u32_e32 v36, 32, v6
	s_delay_alu instid0(VALU_DEP_1) | instskip(SKIP_1) | instid1(VALU_DEP_2)
	v_subrev_nc_u32_e32 v6, 28, v36
	v_sub_nc_u32_e32 v36, 29, v36
	v_lshlrev_b64 v[6:7], v6, v[9:10]
; %bb.1788:                             ;   in Loop: Header=BB458_1183 Depth=1
	s_or_b32 exec_lo, exec_lo, s15
	s_delay_alu instid0(VALU_DEP_1) | instskip(SKIP_2) | instid1(VALU_DEP_3)
	v_lshlrev_b32_e32 v6, 20, v6
	v_lshlrev_b32_e32 v7, 24, v9
	v_lshl_add_u32 v36, v36, 23, 0x3c000000
	v_and_b32_e32 v6, 0x700000, v6
	s_delay_alu instid0(VALU_DEP_3) | instskip(NEXT) | instid1(VALU_DEP_1)
	v_and_b32_e32 v7, 0x80000000, v7
	v_or3_b32 v6, v6, v7, v36
.LBB458_1789:                           ;   in Loop: Header=BB458_1183 Depth=1
	s_or_b32 exec_lo, exec_lo, s13
.LBB458_1790:                           ;   in Loop: Header=BB458_1183 Depth=1
	s_delay_alu instid0(SALU_CYCLE_1)
	s_or_b32 exec_lo, exec_lo, s12
.LBB458_1791:                           ;   in Loop: Header=BB458_1183 Depth=1
	s_delay_alu instid0(SALU_CYCLE_1) | instskip(NEXT) | instid1(VALU_DEP_1)
	s_or_b32 exec_lo, exec_lo, s9
	v_mul_f32_e32 v6, v26, v6
                                        ; implicit-def: $vgpr36
	s_delay_alu instid0(VALU_DEP_1) | instskip(NEXT) | instid1(VALU_DEP_1)
	v_and_b32_e32 v7, 0x7f800000, v6
	v_cmp_ne_u32_e64 s0, 0x7f800000, v7
	s_delay_alu instid0(VALU_DEP_1) | instskip(NEXT) | instid1(SALU_CYCLE_1)
	s_and_saveexec_b32 s9, s0
	s_xor_b32 s0, exec_lo, s9
; %bb.1792:                             ;   in Loop: Header=BB458_1183 Depth=1
	v_bfe_u32 v7, v6, 16, 1
	s_delay_alu instid0(VALU_DEP_1)
	v_add3_u32 v36, v6, v7, 0x7fff
                                        ; implicit-def: $vgpr6
; %bb.1793:                             ;   in Loop: Header=BB458_1183 Depth=1
	s_and_not1_saveexec_b32 s9, s0
; %bb.1794:                             ;   in Loop: Header=BB458_1183 Depth=1
	v_and_b32_e32 v7, 0xffff, v6
	v_or_b32_e32 v36, 0x10000, v6
	s_delay_alu instid0(VALU_DEP_2) | instskip(NEXT) | instid1(VALU_DEP_1)
	v_cmp_eq_u32_e64 s0, 0, v7
	v_cndmask_b32_e64 v36, v36, v6, s0
; %bb.1795:                             ;   in Loop: Header=BB458_1183 Depth=1
	s_or_b32 exec_lo, exec_lo, s9
	v_lshrrev_b16 v7, 8, v9
	v_mov_b32_e32 v6, 0
	s_mov_b32 s9, exec_lo
	s_delay_alu instid0(VALU_DEP_2)
	v_cmpx_ne_u16_e32 0, v7
	s_cbranch_execz .LBB458_1803
; %bb.1796:                             ;   in Loop: Header=BB458_1183 Depth=1
	v_bfrev_b32_e32 v6, 1
	s_mov_b32 s12, exec_lo
	v_cmpx_ne_u16_e32 0x80, v7
	s_cbranch_execz .LBB458_1802
; %bb.1797:                             ;   in Loop: Header=BB458_1183 Depth=1
	v_and_b32_e32 v7, 0xffff, v7
	v_mov_b32_e32 v6, 0x7f800001
	s_mov_b32 s13, exec_lo
	s_delay_alu instid0(VALU_DEP_2) | instskip(NEXT) | instid1(VALU_DEP_1)
	v_and_b32_e32 v144, 0x7f, v7
	v_cmpx_ne_u32_e32 0x7f, v144
	s_cbranch_execz .LBB458_1801
; %bb.1798:                             ;   in Loop: Header=BB458_1183 Depth=1
	v_dual_mov_b32 v7, v10 :: v_dual_and_b32 v6, 7, v7
	v_lshrrev_b32_e32 v135, 3, v144
	s_mov_b32 s15, exec_lo
	v_cmpx_gt_u32_e32 8, v144
; %bb.1799:                             ;   in Loop: Header=BB458_1183 Depth=1
	s_delay_alu instid0(VALU_DEP_3) | instskip(NEXT) | instid1(VALU_DEP_1)
	v_clz_i32_u32_e32 v135, v6
	v_min_u32_e32 v135, 32, v135
	s_delay_alu instid0(VALU_DEP_1) | instskip(SKIP_1) | instid1(VALU_DEP_2)
	v_subrev_nc_u32_e32 v144, 28, v135
	v_sub_nc_u32_e32 v135, 29, v135
	v_lshlrev_b64 v[6:7], v144, v[6:7]
	s_delay_alu instid0(VALU_DEP_1)
	v_and_b32_e32 v6, 7, v6
; %bb.1800:                             ;   in Loop: Header=BB458_1183 Depth=1
	s_or_b32 exec_lo, exec_lo, s15
	v_lshlrev_b32_e32 v7, 16, v9
	s_delay_alu instid0(VALU_DEP_2) | instskip(SKIP_1) | instid1(VALU_DEP_3)
	v_lshlrev_b32_e32 v6, 20, v6
	v_lshl_add_u32 v9, v135, 23, 0x3c000000
	v_and_b32_e32 v7, 0x80000000, v7
	s_delay_alu instid0(VALU_DEP_1)
	v_or3_b32 v6, v6, v7, v9
.LBB458_1801:                           ;   in Loop: Header=BB458_1183 Depth=1
	s_or_b32 exec_lo, exec_lo, s13
.LBB458_1802:                           ;   in Loop: Header=BB458_1183 Depth=1
	s_delay_alu instid0(SALU_CYCLE_1)
	s_or_b32 exec_lo, exec_lo, s12
.LBB458_1803:                           ;   in Loop: Header=BB458_1183 Depth=1
	s_delay_alu instid0(SALU_CYCLE_1) | instskip(NEXT) | instid1(VALU_DEP_1)
	s_or_b32 exec_lo, exec_lo, s9
	v_mul_f32_e32 v6, v26, v6
                                        ; implicit-def: $vgpr135
	s_delay_alu instid0(VALU_DEP_1) | instskip(NEXT) | instid1(VALU_DEP_1)
	v_and_b32_e32 v7, 0x7f800000, v6
	v_cmp_ne_u32_e64 s0, 0x7f800000, v7
	s_delay_alu instid0(VALU_DEP_1) | instskip(NEXT) | instid1(SALU_CYCLE_1)
	s_and_saveexec_b32 s9, s0
	s_xor_b32 s0, exec_lo, s9
; %bb.1804:                             ;   in Loop: Header=BB458_1183 Depth=1
	v_bfe_u32 v7, v6, 16, 1
	s_delay_alu instid0(VALU_DEP_1)
	v_add3_u32 v135, v6, v7, 0x7fff
                                        ; implicit-def: $vgpr6
; %bb.1805:                             ;   in Loop: Header=BB458_1183 Depth=1
	s_and_not1_saveexec_b32 s9, s0
; %bb.1806:                             ;   in Loop: Header=BB458_1183 Depth=1
	v_and_b32_e32 v7, 0xffff, v6
	v_or_b32_e32 v9, 0x10000, v6
	s_delay_alu instid0(VALU_DEP_2) | instskip(NEXT) | instid1(VALU_DEP_1)
	v_cmp_eq_u32_e64 s0, 0, v7
	v_cndmask_b32_e64 v135, v9, v6, s0
; %bb.1807:                             ;   in Loop: Header=BB458_1183 Depth=1
	s_or_b32 exec_lo, exec_lo, s9
	v_lshrrev_b32_e32 v144, 16, v3
	s_mov_b32 s9, exec_lo
	s_delay_alu instid0(VALU_DEP_1) | instskip(NEXT) | instid1(VALU_DEP_1)
	v_dual_mov_b32 v6, 0 :: v_dual_and_b32 v7, 0xff, v144
	v_cmpx_ne_u16_e32 0, v7
	s_cbranch_execz .LBB458_1815
; %bb.1808:                             ;   in Loop: Header=BB458_1183 Depth=1
	v_bfrev_b32_e32 v6, 1
	s_mov_b32 s12, exec_lo
	v_cmpx_ne_u16_e32 0x80, v7
	s_cbranch_execz .LBB458_1814
; %bb.1809:                             ;   in Loop: Header=BB458_1183 Depth=1
	v_bfe_u32 v7, v3, 16, 7
	v_mov_b32_e32 v6, 0x7f800001
	s_mov_b32 s13, exec_lo
	s_delay_alu instid0(VALU_DEP_2)
	v_cmpx_ne_u32_e32 0x7f, v7
	s_cbranch_execz .LBB458_1813
; %bb.1810:                             ;   in Loop: Header=BB458_1183 Depth=1
	v_and_b32_e32 v9, 7, v144
	v_lshrrev_b32_e32 v145, 3, v7
	v_cmp_gt_u32_e64 s0, 8, v7
	s_delay_alu instid0(VALU_DEP_3) | instskip(NEXT) | instid1(VALU_DEP_2)
	v_dual_mov_b32 v6, v9 :: v_dual_mov_b32 v7, v10
	s_and_saveexec_b32 s15, s0
; %bb.1811:                             ;   in Loop: Header=BB458_1183 Depth=1
	v_clz_i32_u32_e32 v6, v9
	s_delay_alu instid0(VALU_DEP_1) | instskip(NEXT) | instid1(VALU_DEP_1)
	v_min_u32_e32 v145, 32, v6
	v_subrev_nc_u32_e32 v6, 28, v145
	v_sub_nc_u32_e32 v145, 29, v145
	s_delay_alu instid0(VALU_DEP_2) | instskip(NEXT) | instid1(VALU_DEP_1)
	v_lshlrev_b64 v[6:7], v6, v[9:10]
	v_and_b32_e32 v6, 7, v6
; %bb.1812:                             ;   in Loop: Header=BB458_1183 Depth=1
	s_or_b32 exec_lo, exec_lo, s15
	v_lshlrev_b32_e32 v7, 24, v144
	s_delay_alu instid0(VALU_DEP_2) | instskip(SKIP_1) | instid1(VALU_DEP_3)
	v_lshlrev_b32_e32 v6, 20, v6
	v_lshl_add_u32 v9, v145, 23, 0x3c000000
	v_and_b32_e32 v7, 0x80000000, v7
	s_delay_alu instid0(VALU_DEP_1)
	v_or3_b32 v6, v6, v7, v9
.LBB458_1813:                           ;   in Loop: Header=BB458_1183 Depth=1
	s_or_b32 exec_lo, exec_lo, s13
.LBB458_1814:                           ;   in Loop: Header=BB458_1183 Depth=1
	s_delay_alu instid0(SALU_CYCLE_1)
	s_or_b32 exec_lo, exec_lo, s12
.LBB458_1815:                           ;   in Loop: Header=BB458_1183 Depth=1
	s_delay_alu instid0(SALU_CYCLE_1) | instskip(NEXT) | instid1(VALU_DEP_1)
	s_or_b32 exec_lo, exec_lo, s9
	v_mul_f32_e32 v6, v26, v6
                                        ; implicit-def: $vgpr144
	s_delay_alu instid0(VALU_DEP_1) | instskip(NEXT) | instid1(VALU_DEP_1)
	v_and_b32_e32 v7, 0x7f800000, v6
	v_cmp_ne_u32_e64 s0, 0x7f800000, v7
	s_delay_alu instid0(VALU_DEP_1) | instskip(NEXT) | instid1(SALU_CYCLE_1)
	s_and_saveexec_b32 s9, s0
	s_xor_b32 s0, exec_lo, s9
; %bb.1816:                             ;   in Loop: Header=BB458_1183 Depth=1
	v_bfe_u32 v7, v6, 16, 1
	s_delay_alu instid0(VALU_DEP_1)
	v_add3_u32 v144, v6, v7, 0x7fff
                                        ; implicit-def: $vgpr6
; %bb.1817:                             ;   in Loop: Header=BB458_1183 Depth=1
	s_and_not1_saveexec_b32 s9, s0
; %bb.1818:                             ;   in Loop: Header=BB458_1183 Depth=1
	v_and_b32_e32 v7, 0xffff, v6
	v_or_b32_e32 v9, 0x10000, v6
	s_delay_alu instid0(VALU_DEP_2) | instskip(NEXT) | instid1(VALU_DEP_1)
	v_cmp_eq_u32_e64 s0, 0, v7
	v_cndmask_b32_e64 v144, v9, v6, s0
; %bb.1819:                             ;   in Loop: Header=BB458_1183 Depth=1
	s_or_b32 exec_lo, exec_lo, s9
	v_cmp_lt_u64_e64 s0, s[2:3], v[2:3]
	v_mov_b32_e32 v2, 0
	s_delay_alu instid0(VALU_DEP_2)
	s_and_saveexec_b32 s9, s0
	s_cbranch_execz .LBB458_1827
; %bb.1820:                             ;   in Loop: Header=BB458_1183 Depth=1
	v_lshrrev_b32_e32 v6, 24, v3
	v_bfrev_b32_e32 v2, 1
	s_mov_b32 s12, exec_lo
	s_delay_alu instid0(VALU_DEP_2)
	v_cmpx_ne_u32_e32 0x80, v6
	s_cbranch_execz .LBB458_1826
; %bb.1821:                             ;   in Loop: Header=BB458_1183 Depth=1
	v_bfe_u32 v3, v3, 24, 7
	v_mov_b32_e32 v2, 0x7f800001
	s_mov_b32 s13, exec_lo
	s_delay_alu instid0(VALU_DEP_2)
	v_cmpx_ne_u32_e32 0x7f, v3
	s_cbranch_execz .LBB458_1825
; %bb.1822:                             ;   in Loop: Header=BB458_1183 Depth=1
	v_and_b32_e32 v9, 7, v6
	v_lshrrev_b32_e32 v7, 3, v3
	v_cmp_gt_u32_e64 s0, 8, v3
	s_delay_alu instid0(VALU_DEP_3) | instskip(NEXT) | instid1(VALU_DEP_2)
	v_dual_mov_b32 v2, v9 :: v_dual_mov_b32 v3, v10
	s_and_saveexec_b32 s15, s0
; %bb.1823:                             ;   in Loop: Header=BB458_1183 Depth=1
	v_clz_i32_u32_e32 v2, v9
	s_delay_alu instid0(VALU_DEP_1) | instskip(NEXT) | instid1(VALU_DEP_1)
	v_min_u32_e32 v7, 32, v2
	v_subrev_nc_u32_e32 v2, 28, v7
	v_sub_nc_u32_e32 v7, 29, v7
	s_delay_alu instid0(VALU_DEP_2) | instskip(NEXT) | instid1(VALU_DEP_1)
	v_lshlrev_b64 v[2:3], v2, v[9:10]
	v_and_b32_e32 v2, 7, v2
; %bb.1824:                             ;   in Loop: Header=BB458_1183 Depth=1
	s_or_b32 exec_lo, exec_lo, s15
	v_lshlrev_b32_e32 v3, 24, v6
	s_delay_alu instid0(VALU_DEP_2) | instskip(SKIP_1) | instid1(VALU_DEP_3)
	v_lshlrev_b32_e32 v2, 20, v2
	v_lshl_add_u32 v6, v7, 23, 0x3c000000
	v_and_b32_e32 v3, 0x80000000, v3
	s_delay_alu instid0(VALU_DEP_1)
	v_or3_b32 v2, v2, v3, v6
.LBB458_1825:                           ;   in Loop: Header=BB458_1183 Depth=1
	s_or_b32 exec_lo, exec_lo, s13
.LBB458_1826:                           ;   in Loop: Header=BB458_1183 Depth=1
	s_delay_alu instid0(SALU_CYCLE_1)
	s_or_b32 exec_lo, exec_lo, s12
.LBB458_1827:                           ;   in Loop: Header=BB458_1183 Depth=1
	s_delay_alu instid0(SALU_CYCLE_1) | instskip(NEXT) | instid1(VALU_DEP_1)
	s_or_b32 exec_lo, exec_lo, s9
	v_mul_f32_e32 v3, v26, v2
	s_delay_alu instid0(VALU_DEP_1) | instskip(NEXT) | instid1(VALU_DEP_1)
	v_and_b32_e32 v2, 0x7f800000, v3
	v_cmp_ne_u32_e64 s0, 0x7f800000, v2
                                        ; implicit-def: $vgpr2
	s_delay_alu instid0(VALU_DEP_1) | instskip(NEXT) | instid1(SALU_CYCLE_1)
	s_and_saveexec_b32 s9, s0
	s_xor_b32 s0, exec_lo, s9
; %bb.1828:                             ;   in Loop: Header=BB458_1183 Depth=1
	v_bfe_u32 v2, v3, 16, 1
	s_delay_alu instid0(VALU_DEP_1)
	v_add3_u32 v2, v3, v2, 0x7fff
                                        ; implicit-def: $vgpr3
; %bb.1829:                             ;   in Loop: Header=BB458_1183 Depth=1
	s_and_not1_saveexec_b32 s9, s0
; %bb.1830:                             ;   in Loop: Header=BB458_1183 Depth=1
	v_and_b32_e32 v2, 0xffff, v3
	v_or_b32_e32 v6, 0x10000, v3
	s_delay_alu instid0(VALU_DEP_2) | instskip(NEXT) | instid1(VALU_DEP_1)
	v_cmp_eq_u32_e64 s0, 0, v2
	v_cndmask_b32_e64 v2, v6, v3, s0
; %bb.1831:                             ;   in Loop: Header=BB458_1183 Depth=1
	s_or_b32 exec_lo, exec_lo, s9
	v_lshrrev_b32_e32 v6, 16, v135
	v_lshrrev_b32_e32 v7, 16, v36
	;; [unrolled: 1-line block ×8, first 2 shown]
	s_and_saveexec_b32 s9, vcc_lo
	s_cbranch_execz .LBB458_1833
; %bb.1832:                             ;   in Loop: Header=BB458_1183 Depth=1
	v_cmp_lt_i32_e64 s0, v64, v35
	s_delay_alu instid0(VALU_DEP_1) | instskip(SKIP_1) | instid1(VALU_DEP_1)
	v_cndmask_b32_e64 v4, 0, v4, s0
	v_cmp_lt_i32_e64 s0, v70, v35
	v_cndmask_b32_e64 v5, 0, v5, s0
	v_cmp_lt_i32_e64 s0, v69, v35
	s_delay_alu instid0(VALU_DEP_1) | instskip(SKIP_1) | instid1(VALU_DEP_1)
	v_cndmask_b32_e64 v23, 0, v23, s0
	v_cmp_lt_i32_e64 s0, v68, v35
	v_cndmask_b32_e64 v9, 0, v9, s0
	;; [unrolled: 5-line block ×4, first 2 shown]
.LBB458_1833:                           ;   in Loop: Header=BB458_1183 Depth=1
	s_or_b32 exec_lo, exec_lo, s9
	v_lshlrev_b32_e32 v4, 16, v4
                                        ; implicit-def: $vgpr135
	s_delay_alu instid0(VALU_DEP_1) | instskip(NEXT) | instid1(VALU_DEP_1)
	v_mul_f32_e32 v4, v71, v4
	v_and_b32_e32 v34, 0x7f800000, v4
	s_delay_alu instid0(VALU_DEP_1) | instskip(NEXT) | instid1(VALU_DEP_1)
	v_cmp_ne_u32_e64 s0, 0x7f800000, v34
	s_and_saveexec_b32 s9, s0
	s_delay_alu instid0(SALU_CYCLE_1)
	s_xor_b32 s0, exec_lo, s9
; %bb.1834:                             ;   in Loop: Header=BB458_1183 Depth=1
	v_bfe_u32 v34, v4, 16, 1
	s_delay_alu instid0(VALU_DEP_1)
	v_add3_u32 v135, v4, v34, 0x7fff
                                        ; implicit-def: $vgpr4
; %bb.1835:                             ;   in Loop: Header=BB458_1183 Depth=1
	s_and_not1_saveexec_b32 s9, s0
; %bb.1836:                             ;   in Loop: Header=BB458_1183 Depth=1
	v_and_b32_e32 v34, 0xffff, v4
	v_or_b32_e32 v36, 0x10000, v4
	s_delay_alu instid0(VALU_DEP_2) | instskip(NEXT) | instid1(VALU_DEP_1)
	v_cmp_eq_u32_e64 s0, 0, v34
	v_cndmask_b32_e64 v135, v36, v4, s0
; %bb.1837:                             ;   in Loop: Header=BB458_1183 Depth=1
	s_or_b32 exec_lo, exec_lo, s9
	v_lshlrev_b32_e32 v4, 16, v5
                                        ; implicit-def: $vgpr144
	s_delay_alu instid0(VALU_DEP_1) | instskip(NEXT) | instid1(VALU_DEP_1)
	v_mul_f32_e32 v4, v80, v4
	v_and_b32_e32 v5, 0x7f800000, v4
	s_delay_alu instid0(VALU_DEP_1) | instskip(NEXT) | instid1(VALU_DEP_1)
	v_cmp_ne_u32_e64 s0, 0x7f800000, v5
	s_and_saveexec_b32 s9, s0
	s_delay_alu instid0(SALU_CYCLE_1)
	s_xor_b32 s0, exec_lo, s9
; %bb.1838:                             ;   in Loop: Header=BB458_1183 Depth=1
	v_bfe_u32 v5, v4, 16, 1
	s_delay_alu instid0(VALU_DEP_1)
	v_add3_u32 v144, v4, v5, 0x7fff
                                        ; implicit-def: $vgpr4
; %bb.1839:                             ;   in Loop: Header=BB458_1183 Depth=1
	s_and_not1_saveexec_b32 s9, s0
; %bb.1840:                             ;   in Loop: Header=BB458_1183 Depth=1
	v_and_b32_e32 v5, 0xffff, v4
	v_or_b32_e32 v34, 0x10000, v4
	s_delay_alu instid0(VALU_DEP_2) | instskip(NEXT) | instid1(VALU_DEP_1)
	v_cmp_eq_u32_e64 s0, 0, v5
	v_cndmask_b32_e64 v144, v34, v4, s0
; %bb.1841:                             ;   in Loop: Header=BB458_1183 Depth=1
	s_or_b32 exec_lo, exec_lo, s9
	v_lshlrev_b32_e32 v4, 16, v23
                                        ; implicit-def: $vgpr145
	s_delay_alu instid0(VALU_DEP_1) | instskip(NEXT) | instid1(VALU_DEP_1)
	v_mul_f32_e32 v4, v81, v4
	v_and_b32_e32 v5, 0x7f800000, v4
	s_delay_alu instid0(VALU_DEP_1) | instskip(NEXT) | instid1(VALU_DEP_1)
	v_cmp_ne_u32_e64 s0, 0x7f800000, v5
	s_and_saveexec_b32 s9, s0
	s_delay_alu instid0(SALU_CYCLE_1)
	s_xor_b32 s0, exec_lo, s9
; %bb.1842:                             ;   in Loop: Header=BB458_1183 Depth=1
	v_bfe_u32 v5, v4, 16, 1
	s_delay_alu instid0(VALU_DEP_1)
	v_add3_u32 v145, v4, v5, 0x7fff
                                        ; implicit-def: $vgpr4
; %bb.1843:                             ;   in Loop: Header=BB458_1183 Depth=1
	s_and_not1_saveexec_b32 s9, s0
; %bb.1844:                             ;   in Loop: Header=BB458_1183 Depth=1
	v_and_b32_e32 v5, 0xffff, v4
	v_or_b32_e32 v23, 0x10000, v4
	s_delay_alu instid0(VALU_DEP_2) | instskip(NEXT) | instid1(VALU_DEP_1)
	v_cmp_eq_u32_e64 s0, 0, v5
	v_cndmask_b32_e64 v145, v23, v4, s0
; %bb.1845:                             ;   in Loop: Header=BB458_1183 Depth=1
	s_or_b32 exec_lo, exec_lo, s9
	v_lshlrev_b32_e32 v4, 16, v9
                                        ; implicit-def: $vgpr146
	s_delay_alu instid0(VALU_DEP_1) | instskip(NEXT) | instid1(VALU_DEP_1)
	v_mul_f32_e32 v4, v82, v4
	v_and_b32_e32 v5, 0x7f800000, v4
	s_delay_alu instid0(VALU_DEP_1) | instskip(NEXT) | instid1(VALU_DEP_1)
	v_cmp_ne_u32_e64 s0, 0x7f800000, v5
	s_and_saveexec_b32 s9, s0
	s_delay_alu instid0(SALU_CYCLE_1)
	s_xor_b32 s0, exec_lo, s9
; %bb.1846:                             ;   in Loop: Header=BB458_1183 Depth=1
	v_bfe_u32 v5, v4, 16, 1
	s_delay_alu instid0(VALU_DEP_1)
	v_add3_u32 v146, v4, v5, 0x7fff
                                        ; implicit-def: $vgpr4
; %bb.1847:                             ;   in Loop: Header=BB458_1183 Depth=1
	s_and_not1_saveexec_b32 s9, s0
; %bb.1848:                             ;   in Loop: Header=BB458_1183 Depth=1
	v_and_b32_e32 v5, 0xffff, v4
	v_or_b32_e32 v9, 0x10000, v4
	s_delay_alu instid0(VALU_DEP_2) | instskip(NEXT) | instid1(VALU_DEP_1)
	v_cmp_eq_u32_e64 s0, 0, v5
	v_cndmask_b32_e64 v146, v9, v4, s0
; %bb.1849:                             ;   in Loop: Header=BB458_1183 Depth=1
	s_or_b32 exec_lo, exec_lo, s9
	v_lshlrev_b32_e32 v4, 16, v7
                                        ; implicit-def: $vgpr147
	s_delay_alu instid0(VALU_DEP_1) | instskip(NEXT) | instid1(VALU_DEP_1)
	v_mul_f32_e32 v4, v83, v4
	v_and_b32_e32 v5, 0x7f800000, v4
	s_delay_alu instid0(VALU_DEP_1) | instskip(NEXT) | instid1(VALU_DEP_1)
	v_cmp_ne_u32_e64 s0, 0x7f800000, v5
	s_and_saveexec_b32 s9, s0
	s_delay_alu instid0(SALU_CYCLE_1)
	s_xor_b32 s0, exec_lo, s9
; %bb.1850:                             ;   in Loop: Header=BB458_1183 Depth=1
	v_bfe_u32 v5, v4, 16, 1
	s_delay_alu instid0(VALU_DEP_1)
	v_add3_u32 v147, v4, v5, 0x7fff
                                        ; implicit-def: $vgpr4
; %bb.1851:                             ;   in Loop: Header=BB458_1183 Depth=1
	s_and_not1_saveexec_b32 s9, s0
; %bb.1852:                             ;   in Loop: Header=BB458_1183 Depth=1
	v_and_b32_e32 v5, 0xffff, v4
	v_or_b32_e32 v7, 0x10000, v4
	s_delay_alu instid0(VALU_DEP_2) | instskip(NEXT) | instid1(VALU_DEP_1)
	v_cmp_eq_u32_e64 s0, 0, v5
	v_cndmask_b32_e64 v147, v7, v4, s0
; %bb.1853:                             ;   in Loop: Header=BB458_1183 Depth=1
	s_or_b32 exec_lo, exec_lo, s9
	v_lshlrev_b32_e32 v4, 16, v6
                                        ; implicit-def: $vgpr148
	s_delay_alu instid0(VALU_DEP_1) | instskip(NEXT) | instid1(VALU_DEP_1)
	v_mul_f32_e32 v4, v84, v4
	v_and_b32_e32 v5, 0x7f800000, v4
	s_delay_alu instid0(VALU_DEP_1) | instskip(NEXT) | instid1(VALU_DEP_1)
	v_cmp_ne_u32_e64 s0, 0x7f800000, v5
	s_and_saveexec_b32 s9, s0
	s_delay_alu instid0(SALU_CYCLE_1)
	s_xor_b32 s0, exec_lo, s9
; %bb.1854:                             ;   in Loop: Header=BB458_1183 Depth=1
	v_bfe_u32 v5, v4, 16, 1
	s_delay_alu instid0(VALU_DEP_1)
	v_add3_u32 v148, v4, v5, 0x7fff
                                        ; implicit-def: $vgpr4
; %bb.1855:                             ;   in Loop: Header=BB458_1183 Depth=1
	s_and_not1_saveexec_b32 s9, s0
; %bb.1856:                             ;   in Loop: Header=BB458_1183 Depth=1
	v_and_b32_e32 v5, 0xffff, v4
	v_or_b32_e32 v6, 0x10000, v4
	s_delay_alu instid0(VALU_DEP_2) | instskip(NEXT) | instid1(VALU_DEP_1)
	v_cmp_eq_u32_e64 s0, 0, v5
	v_cndmask_b32_e64 v148, v6, v4, s0
; %bb.1857:                             ;   in Loop: Header=BB458_1183 Depth=1
	s_or_b32 exec_lo, exec_lo, s9
	v_lshlrev_b32_e32 v3, 16, v3
                                        ; implicit-def: $vgpr149
	s_delay_alu instid0(VALU_DEP_1) | instskip(NEXT) | instid1(VALU_DEP_1)
	v_mul_f32_e32 v3, v85, v3
	v_and_b32_e32 v4, 0x7f800000, v3
	s_delay_alu instid0(VALU_DEP_1) | instskip(NEXT) | instid1(VALU_DEP_1)
	v_cmp_ne_u32_e64 s0, 0x7f800000, v4
	s_and_saveexec_b32 s9, s0
	s_delay_alu instid0(SALU_CYCLE_1)
	s_xor_b32 s0, exec_lo, s9
; %bb.1858:                             ;   in Loop: Header=BB458_1183 Depth=1
	v_bfe_u32 v4, v3, 16, 1
	s_delay_alu instid0(VALU_DEP_1)
	v_add3_u32 v149, v3, v4, 0x7fff
                                        ; implicit-def: $vgpr3
; %bb.1859:                             ;   in Loop: Header=BB458_1183 Depth=1
	s_and_not1_saveexec_b32 s9, s0
; %bb.1860:                             ;   in Loop: Header=BB458_1183 Depth=1
	v_and_b32_e32 v4, 0xffff, v3
	v_or_b32_e32 v5, 0x10000, v3
	s_delay_alu instid0(VALU_DEP_2) | instskip(NEXT) | instid1(VALU_DEP_1)
	v_cmp_eq_u32_e64 s0, 0, v4
	v_cndmask_b32_e64 v149, v5, v3, s0
; %bb.1861:                             ;   in Loop: Header=BB458_1183 Depth=1
	s_or_b32 exec_lo, exec_lo, s9
	v_lshlrev_b32_e32 v2, 16, v2
                                        ; implicit-def: $vgpr150
	s_delay_alu instid0(VALU_DEP_1) | instskip(NEXT) | instid1(VALU_DEP_1)
	v_mul_f32_e32 v2, v86, v2
	v_and_b32_e32 v3, 0x7f800000, v2
	s_delay_alu instid0(VALU_DEP_1) | instskip(NEXT) | instid1(VALU_DEP_1)
	v_cmp_ne_u32_e64 s0, 0x7f800000, v3
	s_and_saveexec_b32 s9, s0
	s_delay_alu instid0(SALU_CYCLE_1)
	s_xor_b32 s0, exec_lo, s9
; %bb.1862:                             ;   in Loop: Header=BB458_1183 Depth=1
	v_bfe_u32 v3, v2, 16, 1
	s_delay_alu instid0(VALU_DEP_1)
	v_add3_u32 v150, v2, v3, 0x7fff
                                        ; implicit-def: $vgpr2
; %bb.1863:                             ;   in Loop: Header=BB458_1183 Depth=1
	s_and_not1_saveexec_b32 s9, s0
; %bb.1864:                             ;   in Loop: Header=BB458_1183 Depth=1
	v_and_b32_e32 v3, 0xffff, v2
	v_or_b32_e32 v4, 0x10000, v2
	s_delay_alu instid0(VALU_DEP_2) | instskip(NEXT) | instid1(VALU_DEP_1)
	v_cmp_eq_u32_e64 s0, 0, v3
	v_cndmask_b32_e64 v150, v4, v2, s0
; %bb.1865:                             ;   in Loop: Header=BB458_1183 Depth=1
	s_or_b32 exec_lo, exec_lo, s9
	flat_load_b64 v[2:3], v[0:1] offset:1280
	s_mov_b32 s9, exec_lo
	s_waitcnt vmcnt(0) lgkmcnt(0)
	v_dual_mov_b32 v4, 0 :: v_dual_and_b32 v5, 0xff, v2
	s_delay_alu instid0(VALU_DEP_1)
	v_cmpx_ne_u16_e32 0, v5
	s_cbranch_execz .LBB458_1873
; %bb.1866:                             ;   in Loop: Header=BB458_1183 Depth=1
	v_bfrev_b32_e32 v4, 1
	s_mov_b32 s12, exec_lo
	v_cmpx_ne_u16_e32 0x80, v5
	s_cbranch_execz .LBB458_1872
; %bb.1867:                             ;   in Loop: Header=BB458_1183 Depth=1
	v_and_b32_e32 v5, 0x7f, v2
	v_mov_b32_e32 v4, 0x7f800001
	s_mov_b32 s13, exec_lo
	s_delay_alu instid0(VALU_DEP_2)
	v_cmpx_ne_u32_e32 0x7f, v5
	s_cbranch_execz .LBB458_1871
; %bb.1868:                             ;   in Loop: Header=BB458_1183 Depth=1
	v_lshrrev_b32_e32 v4, 3, v5
	v_dual_mov_b32 v7, v3 :: v_dual_mov_b32 v6, v2
	s_mov_b32 s15, exec_lo
	v_cmpx_gt_u32_e32 8, v5
; %bb.1869:                             ;   in Loop: Header=BB458_1183 Depth=1
	v_and_b32_e32 v4, 7, v2
	s_delay_alu instid0(VALU_DEP_1) | instskip(NEXT) | instid1(VALU_DEP_1)
	v_clz_i32_u32_e32 v4, v4
	v_min_u32_e32 v4, 32, v4
	s_delay_alu instid0(VALU_DEP_1) | instskip(SKIP_1) | instid1(VALU_DEP_2)
	v_subrev_nc_u32_e32 v5, 28, v4
	v_sub_nc_u32_e32 v4, 29, v4
	v_lshlrev_b64 v[6:7], v5, v[2:3]
; %bb.1870:                             ;   in Loop: Header=BB458_1183 Depth=1
	s_or_b32 exec_lo, exec_lo, s15
	s_delay_alu instid0(VALU_DEP_1) | instskip(SKIP_2) | instid1(VALU_DEP_3)
	v_lshlrev_b32_e32 v5, 20, v6
	v_lshlrev_b32_e32 v6, 24, v2
	v_lshl_add_u32 v4, v4, 23, 0x3c000000
	v_and_b32_e32 v5, 0x700000, v5
	s_delay_alu instid0(VALU_DEP_3) | instskip(NEXT) | instid1(VALU_DEP_1)
	v_and_b32_e32 v6, 0x80000000, v6
	v_or3_b32 v4, v5, v6, v4
.LBB458_1871:                           ;   in Loop: Header=BB458_1183 Depth=1
	s_or_b32 exec_lo, exec_lo, s13
.LBB458_1872:                           ;   in Loop: Header=BB458_1183 Depth=1
	s_delay_alu instid0(SALU_CYCLE_1)
	s_or_b32 exec_lo, exec_lo, s12
.LBB458_1873:                           ;   in Loop: Header=BB458_1183 Depth=1
	s_delay_alu instid0(SALU_CYCLE_1) | instskip(NEXT) | instid1(VALU_DEP_1)
	s_or_b32 exec_lo, exec_lo, s9
	v_mul_f32_e32 v5, v26, v4
	s_delay_alu instid0(VALU_DEP_1) | instskip(NEXT) | instid1(VALU_DEP_1)
	v_and_b32_e32 v4, 0x7f800000, v5
	v_cmp_ne_u32_e64 s0, 0x7f800000, v4
                                        ; implicit-def: $vgpr4
	s_delay_alu instid0(VALU_DEP_1) | instskip(NEXT) | instid1(SALU_CYCLE_1)
	s_and_saveexec_b32 s9, s0
	s_xor_b32 s0, exec_lo, s9
; %bb.1874:                             ;   in Loop: Header=BB458_1183 Depth=1
	v_bfe_u32 v4, v5, 16, 1
	s_delay_alu instid0(VALU_DEP_1)
	v_add3_u32 v4, v5, v4, 0x7fff
                                        ; implicit-def: $vgpr5
; %bb.1875:                             ;   in Loop: Header=BB458_1183 Depth=1
	s_and_not1_saveexec_b32 s9, s0
; %bb.1876:                             ;   in Loop: Header=BB458_1183 Depth=1
	v_and_b32_e32 v4, 0xffff, v5
	v_or_b32_e32 v6, 0x10000, v5
	s_delay_alu instid0(VALU_DEP_2) | instskip(NEXT) | instid1(VALU_DEP_1)
	v_cmp_eq_u32_e64 s0, 0, v4
	v_cndmask_b32_e64 v4, v6, v5, s0
; %bb.1877:                             ;   in Loop: Header=BB458_1183 Depth=1
	s_or_b32 exec_lo, exec_lo, s9
	v_lshrrev_b16 v6, 8, v2
	v_mov_b32_e32 v5, 0
	s_mov_b32 s9, exec_lo
	s_delay_alu instid0(VALU_DEP_2)
	v_cmpx_ne_u16_e32 0, v6
	s_cbranch_execz .LBB458_1885
; %bb.1878:                             ;   in Loop: Header=BB458_1183 Depth=1
	v_bfrev_b32_e32 v5, 1
	s_mov_b32 s12, exec_lo
	v_cmpx_ne_u16_e32 0x80, v6
	s_cbranch_execz .LBB458_1884
; %bb.1879:                             ;   in Loop: Header=BB458_1183 Depth=1
	v_and_b32_e32 v7, 0xffff, v6
	v_mov_b32_e32 v5, 0x7f800001
	s_mov_b32 s13, exec_lo
	s_delay_alu instid0(VALU_DEP_2) | instskip(NEXT) | instid1(VALU_DEP_1)
	v_and_b32_e32 v6, 0x7f, v7
	v_cmpx_ne_u32_e32 0x7f, v6
	s_cbranch_execz .LBB458_1883
; %bb.1880:                             ;   in Loop: Header=BB458_1183 Depth=1
	v_and_b32_e32 v9, 7, v7
	v_lshrrev_b32_e32 v5, 3, v6
	v_cmp_gt_u32_e64 s0, 8, v6
	s_delay_alu instid0(VALU_DEP_3) | instskip(NEXT) | instid1(VALU_DEP_2)
	v_dual_mov_b32 v6, v9 :: v_dual_mov_b32 v7, v10
	s_and_saveexec_b32 s15, s0
; %bb.1881:                             ;   in Loop: Header=BB458_1183 Depth=1
	v_clz_i32_u32_e32 v5, v9
	s_delay_alu instid0(VALU_DEP_1) | instskip(NEXT) | instid1(VALU_DEP_1)
	v_min_u32_e32 v5, 32, v5
	v_subrev_nc_u32_e32 v6, 28, v5
	v_sub_nc_u32_e32 v5, 29, v5
	s_delay_alu instid0(VALU_DEP_2) | instskip(NEXT) | instid1(VALU_DEP_1)
	v_lshlrev_b64 v[6:7], v6, v[9:10]
	v_and_b32_e32 v6, 7, v6
; %bb.1882:                             ;   in Loop: Header=BB458_1183 Depth=1
	s_or_b32 exec_lo, exec_lo, s15
	v_lshlrev_b32_e32 v7, 16, v2
	s_delay_alu instid0(VALU_DEP_2) | instskip(SKIP_1) | instid1(VALU_DEP_3)
	v_lshlrev_b32_e32 v6, 20, v6
	v_lshl_add_u32 v5, v5, 23, 0x3c000000
	v_and_b32_e32 v7, 0x80000000, v7
	s_delay_alu instid0(VALU_DEP_1)
	v_or3_b32 v5, v6, v7, v5
.LBB458_1883:                           ;   in Loop: Header=BB458_1183 Depth=1
	s_or_b32 exec_lo, exec_lo, s13
.LBB458_1884:                           ;   in Loop: Header=BB458_1183 Depth=1
	s_delay_alu instid0(SALU_CYCLE_1)
	s_or_b32 exec_lo, exec_lo, s12
.LBB458_1885:                           ;   in Loop: Header=BB458_1183 Depth=1
	s_delay_alu instid0(SALU_CYCLE_1) | instskip(NEXT) | instid1(VALU_DEP_1)
	s_or_b32 exec_lo, exec_lo, s9
	v_mul_f32_e32 v6, v26, v5
	s_delay_alu instid0(VALU_DEP_1) | instskip(NEXT) | instid1(VALU_DEP_1)
	v_and_b32_e32 v5, 0x7f800000, v6
	v_cmp_ne_u32_e64 s0, 0x7f800000, v5
                                        ; implicit-def: $vgpr5
	s_delay_alu instid0(VALU_DEP_1) | instskip(NEXT) | instid1(SALU_CYCLE_1)
	s_and_saveexec_b32 s9, s0
	s_xor_b32 s0, exec_lo, s9
; %bb.1886:                             ;   in Loop: Header=BB458_1183 Depth=1
	v_bfe_u32 v5, v6, 16, 1
	s_delay_alu instid0(VALU_DEP_1)
	v_add3_u32 v5, v6, v5, 0x7fff
                                        ; implicit-def: $vgpr6
; %bb.1887:                             ;   in Loop: Header=BB458_1183 Depth=1
	s_and_not1_saveexec_b32 s9, s0
; %bb.1888:                             ;   in Loop: Header=BB458_1183 Depth=1
	v_and_b32_e32 v5, 0xffff, v6
	v_or_b32_e32 v7, 0x10000, v6
	s_delay_alu instid0(VALU_DEP_2) | instskip(NEXT) | instid1(VALU_DEP_1)
	v_cmp_eq_u32_e64 s0, 0, v5
	v_cndmask_b32_e64 v5, v7, v6, s0
; %bb.1889:                             ;   in Loop: Header=BB458_1183 Depth=1
	s_or_b32 exec_lo, exec_lo, s9
	v_lshrrev_b32_e32 v23, 16, v2
	s_mov_b32 s9, exec_lo
	s_delay_alu instid0(VALU_DEP_1) | instskip(NEXT) | instid1(VALU_DEP_1)
	v_dual_mov_b32 v6, 0 :: v_dual_and_b32 v7, 0xff, v23
	v_cmpx_ne_u16_e32 0, v7
	s_cbranch_execz .LBB458_1897
; %bb.1890:                             ;   in Loop: Header=BB458_1183 Depth=1
	v_bfrev_b32_e32 v6, 1
	s_mov_b32 s12, exec_lo
	v_cmpx_ne_u16_e32 0x80, v7
	s_cbranch_execz .LBB458_1896
; %bb.1891:                             ;   in Loop: Header=BB458_1183 Depth=1
	v_bfe_u32 v7, v2, 16, 7
	v_mov_b32_e32 v6, 0x7f800001
	s_mov_b32 s13, exec_lo
	s_delay_alu instid0(VALU_DEP_2)
	v_cmpx_ne_u32_e32 0x7f, v7
	s_cbranch_execz .LBB458_1895
; %bb.1892:                             ;   in Loop: Header=BB458_1183 Depth=1
	v_and_b32_e32 v9, 7, v23
	v_lshrrev_b32_e32 v34, 3, v7
	v_cmp_gt_u32_e64 s0, 8, v7
	s_delay_alu instid0(VALU_DEP_3) | instskip(NEXT) | instid1(VALU_DEP_2)
	v_dual_mov_b32 v6, v9 :: v_dual_mov_b32 v7, v10
	s_and_saveexec_b32 s15, s0
; %bb.1893:                             ;   in Loop: Header=BB458_1183 Depth=1
	v_clz_i32_u32_e32 v6, v9
	s_delay_alu instid0(VALU_DEP_1) | instskip(NEXT) | instid1(VALU_DEP_1)
	v_min_u32_e32 v34, 32, v6
	v_subrev_nc_u32_e32 v6, 28, v34
	v_sub_nc_u32_e32 v34, 29, v34
	s_delay_alu instid0(VALU_DEP_2) | instskip(NEXT) | instid1(VALU_DEP_1)
	v_lshlrev_b64 v[6:7], v6, v[9:10]
	v_and_b32_e32 v6, 7, v6
; %bb.1894:                             ;   in Loop: Header=BB458_1183 Depth=1
	s_or_b32 exec_lo, exec_lo, s15
	v_lshlrev_b32_e32 v7, 24, v23
	s_delay_alu instid0(VALU_DEP_2) | instskip(SKIP_1) | instid1(VALU_DEP_3)
	v_lshlrev_b32_e32 v6, 20, v6
	v_lshl_add_u32 v9, v34, 23, 0x3c000000
	v_and_b32_e32 v7, 0x80000000, v7
	s_delay_alu instid0(VALU_DEP_1)
	v_or3_b32 v6, v6, v7, v9
.LBB458_1895:                           ;   in Loop: Header=BB458_1183 Depth=1
	s_or_b32 exec_lo, exec_lo, s13
.LBB458_1896:                           ;   in Loop: Header=BB458_1183 Depth=1
	s_delay_alu instid0(SALU_CYCLE_1)
	s_or_b32 exec_lo, exec_lo, s12
.LBB458_1897:                           ;   in Loop: Header=BB458_1183 Depth=1
	s_delay_alu instid0(SALU_CYCLE_1) | instskip(NEXT) | instid1(VALU_DEP_1)
	s_or_b32 exec_lo, exec_lo, s9
	v_mul_f32_e32 v6, v26, v6
                                        ; implicit-def: $vgpr23
	s_delay_alu instid0(VALU_DEP_1) | instskip(NEXT) | instid1(VALU_DEP_1)
	v_and_b32_e32 v7, 0x7f800000, v6
	v_cmp_ne_u32_e64 s0, 0x7f800000, v7
	s_delay_alu instid0(VALU_DEP_1) | instskip(NEXT) | instid1(SALU_CYCLE_1)
	s_and_saveexec_b32 s9, s0
	s_xor_b32 s0, exec_lo, s9
; %bb.1898:                             ;   in Loop: Header=BB458_1183 Depth=1
	v_bfe_u32 v7, v6, 16, 1
	s_delay_alu instid0(VALU_DEP_1)
	v_add3_u32 v23, v6, v7, 0x7fff
                                        ; implicit-def: $vgpr6
; %bb.1899:                             ;   in Loop: Header=BB458_1183 Depth=1
	s_and_not1_saveexec_b32 s9, s0
; %bb.1900:                             ;   in Loop: Header=BB458_1183 Depth=1
	v_and_b32_e32 v7, 0xffff, v6
	v_or_b32_e32 v9, 0x10000, v6
	s_delay_alu instid0(VALU_DEP_2) | instskip(NEXT) | instid1(VALU_DEP_1)
	v_cmp_eq_u32_e64 s0, 0, v7
	v_cndmask_b32_e64 v23, v9, v6, s0
; %bb.1901:                             ;   in Loop: Header=BB458_1183 Depth=1
	s_or_b32 exec_lo, exec_lo, s9
	v_mov_b32_e32 v6, 0
	s_mov_b32 s9, exec_lo
	v_cmpx_lt_u32_e32 0xffffff, v2
	s_cbranch_execz .LBB458_1909
; %bb.1902:                             ;   in Loop: Header=BB458_1183 Depth=1
	v_lshrrev_b32_e32 v34, 24, v2
	v_bfrev_b32_e32 v6, 1
	s_mov_b32 s12, exec_lo
	s_delay_alu instid0(VALU_DEP_2)
	v_cmpx_ne_u32_e32 0x80, v34
	s_cbranch_execz .LBB458_1908
; %bb.1903:                             ;   in Loop: Header=BB458_1183 Depth=1
	v_bfe_u32 v7, v2, 24, 7
	v_mov_b32_e32 v6, 0x7f800001
	s_mov_b32 s13, exec_lo
	s_delay_alu instid0(VALU_DEP_2)
	v_cmpx_ne_u32_e32 0x7f, v7
	s_cbranch_execz .LBB458_1907
; %bb.1904:                             ;   in Loop: Header=BB458_1183 Depth=1
	v_and_b32_e32 v9, 7, v34
	v_lshrrev_b32_e32 v36, 3, v7
	v_cmp_gt_u32_e64 s0, 8, v7
	s_delay_alu instid0(VALU_DEP_3) | instskip(NEXT) | instid1(VALU_DEP_2)
	v_dual_mov_b32 v6, v9 :: v_dual_mov_b32 v7, v10
	s_and_saveexec_b32 s15, s0
; %bb.1905:                             ;   in Loop: Header=BB458_1183 Depth=1
	v_clz_i32_u32_e32 v6, v9
	s_delay_alu instid0(VALU_DEP_1) | instskip(NEXT) | instid1(VALU_DEP_1)
	v_min_u32_e32 v36, 32, v6
	v_subrev_nc_u32_e32 v6, 28, v36
	v_sub_nc_u32_e32 v36, 29, v36
	s_delay_alu instid0(VALU_DEP_2) | instskip(NEXT) | instid1(VALU_DEP_1)
	v_lshlrev_b64 v[6:7], v6, v[9:10]
	v_and_b32_e32 v6, 7, v6
; %bb.1906:                             ;   in Loop: Header=BB458_1183 Depth=1
	s_or_b32 exec_lo, exec_lo, s15
	v_lshlrev_b32_e32 v7, 24, v34
	s_delay_alu instid0(VALU_DEP_2) | instskip(SKIP_1) | instid1(VALU_DEP_3)
	v_lshlrev_b32_e32 v6, 20, v6
	v_lshl_add_u32 v9, v36, 23, 0x3c000000
	v_and_b32_e32 v7, 0x80000000, v7
	s_delay_alu instid0(VALU_DEP_1)
	v_or3_b32 v6, v6, v7, v9
.LBB458_1907:                           ;   in Loop: Header=BB458_1183 Depth=1
	s_or_b32 exec_lo, exec_lo, s13
.LBB458_1908:                           ;   in Loop: Header=BB458_1183 Depth=1
	s_delay_alu instid0(SALU_CYCLE_1)
	s_or_b32 exec_lo, exec_lo, s12
.LBB458_1909:                           ;   in Loop: Header=BB458_1183 Depth=1
	s_delay_alu instid0(SALU_CYCLE_1) | instskip(NEXT) | instid1(VALU_DEP_1)
	s_or_b32 exec_lo, exec_lo, s9
	v_mul_f32_e32 v6, v26, v6
                                        ; implicit-def: $vgpr34
	s_delay_alu instid0(VALU_DEP_1) | instskip(NEXT) | instid1(VALU_DEP_1)
	v_and_b32_e32 v7, 0x7f800000, v6
	v_cmp_ne_u32_e64 s0, 0x7f800000, v7
	s_delay_alu instid0(VALU_DEP_1) | instskip(NEXT) | instid1(SALU_CYCLE_1)
	s_and_saveexec_b32 s9, s0
	s_xor_b32 s0, exec_lo, s9
; %bb.1910:                             ;   in Loop: Header=BB458_1183 Depth=1
	v_bfe_u32 v7, v6, 16, 1
	s_delay_alu instid0(VALU_DEP_1)
	v_add3_u32 v34, v6, v7, 0x7fff
                                        ; implicit-def: $vgpr6
; %bb.1911:                             ;   in Loop: Header=BB458_1183 Depth=1
	s_and_not1_saveexec_b32 s9, s0
; %bb.1912:                             ;   in Loop: Header=BB458_1183 Depth=1
	v_and_b32_e32 v7, 0xffff, v6
	v_or_b32_e32 v9, 0x10000, v6
	s_delay_alu instid0(VALU_DEP_2) | instskip(NEXT) | instid1(VALU_DEP_1)
	v_cmp_eq_u32_e64 s0, 0, v7
	v_cndmask_b32_e64 v34, v9, v6, s0
; %bb.1913:                             ;   in Loop: Header=BB458_1183 Depth=1
	s_or_b32 exec_lo, exec_lo, s9
	v_dual_mov_b32 v6, 0 :: v_dual_and_b32 v7, 0xff, v3
	v_mov_b32_e32 v9, v3
	s_mov_b32 s9, exec_lo
	s_delay_alu instid0(VALU_DEP_2)
	v_cmpx_ne_u16_e32 0, v7
	s_cbranch_execz .LBB458_1921
; %bb.1914:                             ;   in Loop: Header=BB458_1183 Depth=1
	v_bfrev_b32_e32 v6, 1
	s_mov_b32 s12, exec_lo
	v_cmpx_ne_u16_e32 0x80, v7
	s_cbranch_execz .LBB458_1920
; %bb.1915:                             ;   in Loop: Header=BB458_1183 Depth=1
	v_and_b32_e32 v7, 0x7f, v3
	v_mov_b32_e32 v6, 0x7f800001
	s_mov_b32 s13, exec_lo
	s_delay_alu instid0(VALU_DEP_2)
	v_cmpx_ne_u32_e32 0x7f, v7
	s_cbranch_execz .LBB458_1919
; %bb.1916:                             ;   in Loop: Header=BB458_1183 Depth=1
	v_lshrrev_b32_e32 v36, 3, v7
	v_cmp_gt_u32_e64 s0, 8, v7
	v_dual_mov_b32 v6, v9 :: v_dual_mov_b32 v7, v10
	s_delay_alu instid0(VALU_DEP_2)
	s_and_saveexec_b32 s15, s0
; %bb.1917:                             ;   in Loop: Header=BB458_1183 Depth=1
	v_and_b32_e32 v6, 7, v3
	s_delay_alu instid0(VALU_DEP_1) | instskip(NEXT) | instid1(VALU_DEP_1)
	v_clz_i32_u32_e32 v6, v6
	v_min_u32_e32 v36, 32, v6
	s_delay_alu instid0(VALU_DEP_1) | instskip(SKIP_1) | instid1(VALU_DEP_2)
	v_subrev_nc_u32_e32 v6, 28, v36
	v_sub_nc_u32_e32 v36, 29, v36
	v_lshlrev_b64 v[6:7], v6, v[9:10]
; %bb.1918:                             ;   in Loop: Header=BB458_1183 Depth=1
	s_or_b32 exec_lo, exec_lo, s15
	s_delay_alu instid0(VALU_DEP_1) | instskip(SKIP_2) | instid1(VALU_DEP_3)
	v_lshlrev_b32_e32 v6, 20, v6
	v_lshlrev_b32_e32 v7, 24, v9
	v_lshl_add_u32 v36, v36, 23, 0x3c000000
	v_and_b32_e32 v6, 0x700000, v6
	s_delay_alu instid0(VALU_DEP_3) | instskip(NEXT) | instid1(VALU_DEP_1)
	v_and_b32_e32 v7, 0x80000000, v7
	v_or3_b32 v6, v6, v7, v36
.LBB458_1919:                           ;   in Loop: Header=BB458_1183 Depth=1
	s_or_b32 exec_lo, exec_lo, s13
.LBB458_1920:                           ;   in Loop: Header=BB458_1183 Depth=1
	s_delay_alu instid0(SALU_CYCLE_1)
	s_or_b32 exec_lo, exec_lo, s12
.LBB458_1921:                           ;   in Loop: Header=BB458_1183 Depth=1
	s_delay_alu instid0(SALU_CYCLE_1) | instskip(NEXT) | instid1(VALU_DEP_1)
	s_or_b32 exec_lo, exec_lo, s9
	v_mul_f32_e32 v6, v26, v6
                                        ; implicit-def: $vgpr36
	s_delay_alu instid0(VALU_DEP_1) | instskip(NEXT) | instid1(VALU_DEP_1)
	v_and_b32_e32 v7, 0x7f800000, v6
	v_cmp_ne_u32_e64 s0, 0x7f800000, v7
	s_delay_alu instid0(VALU_DEP_1) | instskip(NEXT) | instid1(SALU_CYCLE_1)
	s_and_saveexec_b32 s9, s0
	s_xor_b32 s0, exec_lo, s9
; %bb.1922:                             ;   in Loop: Header=BB458_1183 Depth=1
	v_bfe_u32 v7, v6, 16, 1
	s_delay_alu instid0(VALU_DEP_1)
	v_add3_u32 v36, v6, v7, 0x7fff
                                        ; implicit-def: $vgpr6
; %bb.1923:                             ;   in Loop: Header=BB458_1183 Depth=1
	s_and_not1_saveexec_b32 s9, s0
; %bb.1924:                             ;   in Loop: Header=BB458_1183 Depth=1
	v_and_b32_e32 v7, 0xffff, v6
	v_or_b32_e32 v36, 0x10000, v6
	s_delay_alu instid0(VALU_DEP_2) | instskip(NEXT) | instid1(VALU_DEP_1)
	v_cmp_eq_u32_e64 s0, 0, v7
	v_cndmask_b32_e64 v36, v36, v6, s0
; %bb.1925:                             ;   in Loop: Header=BB458_1183 Depth=1
	s_or_b32 exec_lo, exec_lo, s9
	v_lshrrev_b16 v7, 8, v9
	v_mov_b32_e32 v6, 0
	s_mov_b32 s9, exec_lo
	s_delay_alu instid0(VALU_DEP_2)
	v_cmpx_ne_u16_e32 0, v7
	s_cbranch_execz .LBB458_1933
; %bb.1926:                             ;   in Loop: Header=BB458_1183 Depth=1
	v_bfrev_b32_e32 v6, 1
	s_mov_b32 s12, exec_lo
	v_cmpx_ne_u16_e32 0x80, v7
	s_cbranch_execz .LBB458_1932
; %bb.1927:                             ;   in Loop: Header=BB458_1183 Depth=1
	v_and_b32_e32 v7, 0xffff, v7
	v_mov_b32_e32 v6, 0x7f800001
	s_mov_b32 s13, exec_lo
	s_delay_alu instid0(VALU_DEP_2) | instskip(NEXT) | instid1(VALU_DEP_1)
	v_and_b32_e32 v160, 0x7f, v7
	v_cmpx_ne_u32_e32 0x7f, v160
	s_cbranch_execz .LBB458_1931
; %bb.1928:                             ;   in Loop: Header=BB458_1183 Depth=1
	v_dual_mov_b32 v7, v10 :: v_dual_and_b32 v6, 7, v7
	v_lshrrev_b32_e32 v151, 3, v160
	s_mov_b32 s15, exec_lo
	v_cmpx_gt_u32_e32 8, v160
; %bb.1929:                             ;   in Loop: Header=BB458_1183 Depth=1
	s_delay_alu instid0(VALU_DEP_3) | instskip(NEXT) | instid1(VALU_DEP_1)
	v_clz_i32_u32_e32 v151, v6
	v_min_u32_e32 v151, 32, v151
	s_delay_alu instid0(VALU_DEP_1) | instskip(SKIP_1) | instid1(VALU_DEP_2)
	v_subrev_nc_u32_e32 v160, 28, v151
	v_sub_nc_u32_e32 v151, 29, v151
	v_lshlrev_b64 v[6:7], v160, v[6:7]
	s_delay_alu instid0(VALU_DEP_1)
	v_and_b32_e32 v6, 7, v6
; %bb.1930:                             ;   in Loop: Header=BB458_1183 Depth=1
	s_or_b32 exec_lo, exec_lo, s15
	v_lshlrev_b32_e32 v7, 16, v9
	s_delay_alu instid0(VALU_DEP_2) | instskip(SKIP_1) | instid1(VALU_DEP_3)
	v_lshlrev_b32_e32 v6, 20, v6
	v_lshl_add_u32 v9, v151, 23, 0x3c000000
	v_and_b32_e32 v7, 0x80000000, v7
	s_delay_alu instid0(VALU_DEP_1)
	v_or3_b32 v6, v6, v7, v9
.LBB458_1931:                           ;   in Loop: Header=BB458_1183 Depth=1
	s_or_b32 exec_lo, exec_lo, s13
.LBB458_1932:                           ;   in Loop: Header=BB458_1183 Depth=1
	s_delay_alu instid0(SALU_CYCLE_1)
	s_or_b32 exec_lo, exec_lo, s12
.LBB458_1933:                           ;   in Loop: Header=BB458_1183 Depth=1
	s_delay_alu instid0(SALU_CYCLE_1) | instskip(NEXT) | instid1(VALU_DEP_1)
	s_or_b32 exec_lo, exec_lo, s9
	v_mul_f32_e32 v6, v26, v6
                                        ; implicit-def: $vgpr151
	s_delay_alu instid0(VALU_DEP_1) | instskip(NEXT) | instid1(VALU_DEP_1)
	v_and_b32_e32 v7, 0x7f800000, v6
	v_cmp_ne_u32_e64 s0, 0x7f800000, v7
	s_delay_alu instid0(VALU_DEP_1) | instskip(NEXT) | instid1(SALU_CYCLE_1)
	s_and_saveexec_b32 s9, s0
	s_xor_b32 s0, exec_lo, s9
; %bb.1934:                             ;   in Loop: Header=BB458_1183 Depth=1
	v_bfe_u32 v7, v6, 16, 1
	s_delay_alu instid0(VALU_DEP_1)
	v_add3_u32 v151, v6, v7, 0x7fff
                                        ; implicit-def: $vgpr6
; %bb.1935:                             ;   in Loop: Header=BB458_1183 Depth=1
	s_and_not1_saveexec_b32 s9, s0
; %bb.1936:                             ;   in Loop: Header=BB458_1183 Depth=1
	v_and_b32_e32 v7, 0xffff, v6
	v_or_b32_e32 v9, 0x10000, v6
	s_delay_alu instid0(VALU_DEP_2) | instskip(NEXT) | instid1(VALU_DEP_1)
	v_cmp_eq_u32_e64 s0, 0, v7
	v_cndmask_b32_e64 v151, v9, v6, s0
; %bb.1937:                             ;   in Loop: Header=BB458_1183 Depth=1
	s_or_b32 exec_lo, exec_lo, s9
	v_lshrrev_b32_e32 v160, 16, v3
	s_mov_b32 s9, exec_lo
	s_delay_alu instid0(VALU_DEP_1) | instskip(NEXT) | instid1(VALU_DEP_1)
	v_dual_mov_b32 v6, 0 :: v_dual_and_b32 v7, 0xff, v160
	v_cmpx_ne_u16_e32 0, v7
	s_cbranch_execz .LBB458_1945
; %bb.1938:                             ;   in Loop: Header=BB458_1183 Depth=1
	v_bfrev_b32_e32 v6, 1
	s_mov_b32 s12, exec_lo
	v_cmpx_ne_u16_e32 0x80, v7
	s_cbranch_execz .LBB458_1944
; %bb.1939:                             ;   in Loop: Header=BB458_1183 Depth=1
	v_bfe_u32 v7, v3, 16, 7
	v_mov_b32_e32 v6, 0x7f800001
	s_mov_b32 s13, exec_lo
	s_delay_alu instid0(VALU_DEP_2)
	v_cmpx_ne_u32_e32 0x7f, v7
	s_cbranch_execz .LBB458_1943
; %bb.1940:                             ;   in Loop: Header=BB458_1183 Depth=1
	v_and_b32_e32 v9, 7, v160
	v_lshrrev_b32_e32 v161, 3, v7
	v_cmp_gt_u32_e64 s0, 8, v7
	s_delay_alu instid0(VALU_DEP_3) | instskip(NEXT) | instid1(VALU_DEP_2)
	v_dual_mov_b32 v6, v9 :: v_dual_mov_b32 v7, v10
	s_and_saveexec_b32 s15, s0
; %bb.1941:                             ;   in Loop: Header=BB458_1183 Depth=1
	v_clz_i32_u32_e32 v6, v9
	s_delay_alu instid0(VALU_DEP_1) | instskip(NEXT) | instid1(VALU_DEP_1)
	v_min_u32_e32 v161, 32, v6
	v_subrev_nc_u32_e32 v6, 28, v161
	v_sub_nc_u32_e32 v161, 29, v161
	s_delay_alu instid0(VALU_DEP_2) | instskip(NEXT) | instid1(VALU_DEP_1)
	v_lshlrev_b64 v[6:7], v6, v[9:10]
	v_and_b32_e32 v6, 7, v6
; %bb.1942:                             ;   in Loop: Header=BB458_1183 Depth=1
	s_or_b32 exec_lo, exec_lo, s15
	v_lshlrev_b32_e32 v7, 24, v160
	s_delay_alu instid0(VALU_DEP_2) | instskip(SKIP_1) | instid1(VALU_DEP_3)
	v_lshlrev_b32_e32 v6, 20, v6
	v_lshl_add_u32 v9, v161, 23, 0x3c000000
	v_and_b32_e32 v7, 0x80000000, v7
	s_delay_alu instid0(VALU_DEP_1)
	v_or3_b32 v6, v6, v7, v9
.LBB458_1943:                           ;   in Loop: Header=BB458_1183 Depth=1
	s_or_b32 exec_lo, exec_lo, s13
.LBB458_1944:                           ;   in Loop: Header=BB458_1183 Depth=1
	s_delay_alu instid0(SALU_CYCLE_1)
	s_or_b32 exec_lo, exec_lo, s12
.LBB458_1945:                           ;   in Loop: Header=BB458_1183 Depth=1
	s_delay_alu instid0(SALU_CYCLE_1) | instskip(NEXT) | instid1(VALU_DEP_1)
	s_or_b32 exec_lo, exec_lo, s9
	v_mul_f32_e32 v6, v26, v6
                                        ; implicit-def: $vgpr160
	s_delay_alu instid0(VALU_DEP_1) | instskip(NEXT) | instid1(VALU_DEP_1)
	v_and_b32_e32 v7, 0x7f800000, v6
	v_cmp_ne_u32_e64 s0, 0x7f800000, v7
	s_delay_alu instid0(VALU_DEP_1) | instskip(NEXT) | instid1(SALU_CYCLE_1)
	s_and_saveexec_b32 s9, s0
	s_xor_b32 s0, exec_lo, s9
; %bb.1946:                             ;   in Loop: Header=BB458_1183 Depth=1
	v_bfe_u32 v7, v6, 16, 1
	s_delay_alu instid0(VALU_DEP_1)
	v_add3_u32 v160, v6, v7, 0x7fff
                                        ; implicit-def: $vgpr6
; %bb.1947:                             ;   in Loop: Header=BB458_1183 Depth=1
	s_and_not1_saveexec_b32 s9, s0
; %bb.1948:                             ;   in Loop: Header=BB458_1183 Depth=1
	v_and_b32_e32 v7, 0xffff, v6
	v_or_b32_e32 v9, 0x10000, v6
	s_delay_alu instid0(VALU_DEP_2) | instskip(NEXT) | instid1(VALU_DEP_1)
	v_cmp_eq_u32_e64 s0, 0, v7
	v_cndmask_b32_e64 v160, v9, v6, s0
; %bb.1949:                             ;   in Loop: Header=BB458_1183 Depth=1
	s_or_b32 exec_lo, exec_lo, s9
	v_cmp_lt_u64_e64 s0, s[2:3], v[2:3]
	v_mov_b32_e32 v2, 0
	s_delay_alu instid0(VALU_DEP_2)
	s_and_saveexec_b32 s9, s0
	s_cbranch_execz .LBB458_1957
; %bb.1950:                             ;   in Loop: Header=BB458_1183 Depth=1
	v_lshrrev_b32_e32 v6, 24, v3
	v_bfrev_b32_e32 v2, 1
	s_mov_b32 s12, exec_lo
	s_delay_alu instid0(VALU_DEP_2)
	v_cmpx_ne_u32_e32 0x80, v6
	s_cbranch_execz .LBB458_1956
; %bb.1951:                             ;   in Loop: Header=BB458_1183 Depth=1
	v_bfe_u32 v3, v3, 24, 7
	v_mov_b32_e32 v2, 0x7f800001
	s_mov_b32 s13, exec_lo
	s_delay_alu instid0(VALU_DEP_2)
	v_cmpx_ne_u32_e32 0x7f, v3
	s_cbranch_execz .LBB458_1955
; %bb.1952:                             ;   in Loop: Header=BB458_1183 Depth=1
	v_and_b32_e32 v9, 7, v6
	v_lshrrev_b32_e32 v7, 3, v3
	v_cmp_gt_u32_e64 s0, 8, v3
	s_delay_alu instid0(VALU_DEP_3) | instskip(NEXT) | instid1(VALU_DEP_2)
	v_dual_mov_b32 v2, v9 :: v_dual_mov_b32 v3, v10
	s_and_saveexec_b32 s15, s0
; %bb.1953:                             ;   in Loop: Header=BB458_1183 Depth=1
	v_clz_i32_u32_e32 v2, v9
	s_delay_alu instid0(VALU_DEP_1) | instskip(NEXT) | instid1(VALU_DEP_1)
	v_min_u32_e32 v7, 32, v2
	v_subrev_nc_u32_e32 v2, 28, v7
	v_sub_nc_u32_e32 v7, 29, v7
	s_delay_alu instid0(VALU_DEP_2) | instskip(NEXT) | instid1(VALU_DEP_1)
	v_lshlrev_b64 v[2:3], v2, v[9:10]
	v_and_b32_e32 v2, 7, v2
; %bb.1954:                             ;   in Loop: Header=BB458_1183 Depth=1
	s_or_b32 exec_lo, exec_lo, s15
	v_lshlrev_b32_e32 v3, 24, v6
	s_delay_alu instid0(VALU_DEP_2) | instskip(SKIP_1) | instid1(VALU_DEP_3)
	v_lshlrev_b32_e32 v2, 20, v2
	v_lshl_add_u32 v6, v7, 23, 0x3c000000
	v_and_b32_e32 v3, 0x80000000, v3
	s_delay_alu instid0(VALU_DEP_1)
	v_or3_b32 v2, v2, v3, v6
.LBB458_1955:                           ;   in Loop: Header=BB458_1183 Depth=1
	s_or_b32 exec_lo, exec_lo, s13
.LBB458_1956:                           ;   in Loop: Header=BB458_1183 Depth=1
	s_delay_alu instid0(SALU_CYCLE_1)
	s_or_b32 exec_lo, exec_lo, s12
.LBB458_1957:                           ;   in Loop: Header=BB458_1183 Depth=1
	s_delay_alu instid0(SALU_CYCLE_1) | instskip(NEXT) | instid1(VALU_DEP_1)
	s_or_b32 exec_lo, exec_lo, s9
	v_mul_f32_e32 v3, v26, v2
	s_delay_alu instid0(VALU_DEP_1) | instskip(NEXT) | instid1(VALU_DEP_1)
	v_and_b32_e32 v2, 0x7f800000, v3
	v_cmp_ne_u32_e64 s0, 0x7f800000, v2
                                        ; implicit-def: $vgpr2
	s_delay_alu instid0(VALU_DEP_1) | instskip(NEXT) | instid1(SALU_CYCLE_1)
	s_and_saveexec_b32 s9, s0
	s_xor_b32 s0, exec_lo, s9
; %bb.1958:                             ;   in Loop: Header=BB458_1183 Depth=1
	v_bfe_u32 v2, v3, 16, 1
	s_delay_alu instid0(VALU_DEP_1)
	v_add3_u32 v2, v3, v2, 0x7fff
                                        ; implicit-def: $vgpr3
; %bb.1959:                             ;   in Loop: Header=BB458_1183 Depth=1
	s_and_not1_saveexec_b32 s9, s0
; %bb.1960:                             ;   in Loop: Header=BB458_1183 Depth=1
	v_and_b32_e32 v2, 0xffff, v3
	v_or_b32_e32 v6, 0x10000, v3
	s_delay_alu instid0(VALU_DEP_2) | instskip(NEXT) | instid1(VALU_DEP_1)
	v_cmp_eq_u32_e64 s0, 0, v2
	v_cndmask_b32_e64 v2, v6, v3, s0
; %bb.1961:                             ;   in Loop: Header=BB458_1183 Depth=1
	s_or_b32 exec_lo, exec_lo, s9
	v_lshrrev_b32_e32 v6, 16, v151
	v_lshrrev_b32_e32 v7, 16, v36
	;; [unrolled: 1-line block ×8, first 2 shown]
	s_and_saveexec_b32 s9, vcc_lo
	s_cbranch_execz .LBB458_1963
; %bb.1962:                             ;   in Loop: Header=BB458_1183 Depth=1
	v_cmp_lt_i32_e64 s0, v64, v35
	s_delay_alu instid0(VALU_DEP_1) | instskip(SKIP_1) | instid1(VALU_DEP_1)
	v_cndmask_b32_e64 v4, 0, v4, s0
	v_cmp_lt_i32_e64 s0, v70, v35
	v_cndmask_b32_e64 v5, 0, v5, s0
	v_cmp_lt_i32_e64 s0, v69, v35
	s_delay_alu instid0(VALU_DEP_1) | instskip(SKIP_1) | instid1(VALU_DEP_1)
	v_cndmask_b32_e64 v23, 0, v23, s0
	v_cmp_lt_i32_e64 s0, v68, v35
	v_cndmask_b32_e64 v9, 0, v9, s0
	;; [unrolled: 5-line block ×4, first 2 shown]
.LBB458_1963:                           ;   in Loop: Header=BB458_1183 Depth=1
	s_or_b32 exec_lo, exec_lo, s9
	v_lshlrev_b32_e32 v4, 16, v4
                                        ; implicit-def: $vgpr151
	s_delay_alu instid0(VALU_DEP_1) | instskip(NEXT) | instid1(VALU_DEP_1)
	v_mul_f32_e32 v4, v71, v4
	v_and_b32_e32 v34, 0x7f800000, v4
	s_delay_alu instid0(VALU_DEP_1) | instskip(NEXT) | instid1(VALU_DEP_1)
	v_cmp_ne_u32_e64 s0, 0x7f800000, v34
	s_and_saveexec_b32 s9, s0
	s_delay_alu instid0(SALU_CYCLE_1)
	s_xor_b32 s0, exec_lo, s9
; %bb.1964:                             ;   in Loop: Header=BB458_1183 Depth=1
	v_bfe_u32 v34, v4, 16, 1
	s_delay_alu instid0(VALU_DEP_1)
	v_add3_u32 v151, v4, v34, 0x7fff
                                        ; implicit-def: $vgpr4
; %bb.1965:                             ;   in Loop: Header=BB458_1183 Depth=1
	s_and_not1_saveexec_b32 s9, s0
; %bb.1966:                             ;   in Loop: Header=BB458_1183 Depth=1
	v_and_b32_e32 v34, 0xffff, v4
	v_or_b32_e32 v36, 0x10000, v4
	s_delay_alu instid0(VALU_DEP_2) | instskip(NEXT) | instid1(VALU_DEP_1)
	v_cmp_eq_u32_e64 s0, 0, v34
	v_cndmask_b32_e64 v151, v36, v4, s0
; %bb.1967:                             ;   in Loop: Header=BB458_1183 Depth=1
	s_or_b32 exec_lo, exec_lo, s9
	v_lshlrev_b32_e32 v4, 16, v5
                                        ; implicit-def: $vgpr160
	s_delay_alu instid0(VALU_DEP_1) | instskip(NEXT) | instid1(VALU_DEP_1)
	v_mul_f32_e32 v4, v80, v4
	v_and_b32_e32 v5, 0x7f800000, v4
	s_delay_alu instid0(VALU_DEP_1) | instskip(NEXT) | instid1(VALU_DEP_1)
	v_cmp_ne_u32_e64 s0, 0x7f800000, v5
	s_and_saveexec_b32 s9, s0
	s_delay_alu instid0(SALU_CYCLE_1)
	s_xor_b32 s0, exec_lo, s9
; %bb.1968:                             ;   in Loop: Header=BB458_1183 Depth=1
	v_bfe_u32 v5, v4, 16, 1
	s_delay_alu instid0(VALU_DEP_1)
	v_add3_u32 v160, v4, v5, 0x7fff
                                        ; implicit-def: $vgpr4
; %bb.1969:                             ;   in Loop: Header=BB458_1183 Depth=1
	s_and_not1_saveexec_b32 s9, s0
; %bb.1970:                             ;   in Loop: Header=BB458_1183 Depth=1
	v_and_b32_e32 v5, 0xffff, v4
	v_or_b32_e32 v34, 0x10000, v4
	s_delay_alu instid0(VALU_DEP_2) | instskip(NEXT) | instid1(VALU_DEP_1)
	v_cmp_eq_u32_e64 s0, 0, v5
	v_cndmask_b32_e64 v160, v34, v4, s0
; %bb.1971:                             ;   in Loop: Header=BB458_1183 Depth=1
	s_or_b32 exec_lo, exec_lo, s9
	v_lshlrev_b32_e32 v4, 16, v23
                                        ; implicit-def: $vgpr161
	s_delay_alu instid0(VALU_DEP_1) | instskip(NEXT) | instid1(VALU_DEP_1)
	v_mul_f32_e32 v4, v81, v4
	v_and_b32_e32 v5, 0x7f800000, v4
	s_delay_alu instid0(VALU_DEP_1) | instskip(NEXT) | instid1(VALU_DEP_1)
	v_cmp_ne_u32_e64 s0, 0x7f800000, v5
	s_and_saveexec_b32 s9, s0
	s_delay_alu instid0(SALU_CYCLE_1)
	s_xor_b32 s0, exec_lo, s9
; %bb.1972:                             ;   in Loop: Header=BB458_1183 Depth=1
	v_bfe_u32 v5, v4, 16, 1
	s_delay_alu instid0(VALU_DEP_1)
	v_add3_u32 v161, v4, v5, 0x7fff
                                        ; implicit-def: $vgpr4
; %bb.1973:                             ;   in Loop: Header=BB458_1183 Depth=1
	s_and_not1_saveexec_b32 s9, s0
; %bb.1974:                             ;   in Loop: Header=BB458_1183 Depth=1
	v_and_b32_e32 v5, 0xffff, v4
	v_or_b32_e32 v23, 0x10000, v4
	s_delay_alu instid0(VALU_DEP_2) | instskip(NEXT) | instid1(VALU_DEP_1)
	v_cmp_eq_u32_e64 s0, 0, v5
	v_cndmask_b32_e64 v161, v23, v4, s0
; %bb.1975:                             ;   in Loop: Header=BB458_1183 Depth=1
	s_or_b32 exec_lo, exec_lo, s9
	v_lshlrev_b32_e32 v4, 16, v9
                                        ; implicit-def: $vgpr162
	s_delay_alu instid0(VALU_DEP_1) | instskip(NEXT) | instid1(VALU_DEP_1)
	v_mul_f32_e32 v4, v82, v4
	v_and_b32_e32 v5, 0x7f800000, v4
	s_delay_alu instid0(VALU_DEP_1) | instskip(NEXT) | instid1(VALU_DEP_1)
	v_cmp_ne_u32_e64 s0, 0x7f800000, v5
	s_and_saveexec_b32 s9, s0
	s_delay_alu instid0(SALU_CYCLE_1)
	s_xor_b32 s0, exec_lo, s9
; %bb.1976:                             ;   in Loop: Header=BB458_1183 Depth=1
	v_bfe_u32 v5, v4, 16, 1
	s_delay_alu instid0(VALU_DEP_1)
	v_add3_u32 v162, v4, v5, 0x7fff
                                        ; implicit-def: $vgpr4
; %bb.1977:                             ;   in Loop: Header=BB458_1183 Depth=1
	s_and_not1_saveexec_b32 s9, s0
; %bb.1978:                             ;   in Loop: Header=BB458_1183 Depth=1
	v_and_b32_e32 v5, 0xffff, v4
	v_or_b32_e32 v9, 0x10000, v4
	s_delay_alu instid0(VALU_DEP_2) | instskip(NEXT) | instid1(VALU_DEP_1)
	v_cmp_eq_u32_e64 s0, 0, v5
	v_cndmask_b32_e64 v162, v9, v4, s0
; %bb.1979:                             ;   in Loop: Header=BB458_1183 Depth=1
	s_or_b32 exec_lo, exec_lo, s9
	v_lshlrev_b32_e32 v4, 16, v7
                                        ; implicit-def: $vgpr163
	s_delay_alu instid0(VALU_DEP_1) | instskip(NEXT) | instid1(VALU_DEP_1)
	v_mul_f32_e32 v4, v83, v4
	v_and_b32_e32 v5, 0x7f800000, v4
	s_delay_alu instid0(VALU_DEP_1) | instskip(NEXT) | instid1(VALU_DEP_1)
	v_cmp_ne_u32_e64 s0, 0x7f800000, v5
	s_and_saveexec_b32 s9, s0
	s_delay_alu instid0(SALU_CYCLE_1)
	s_xor_b32 s0, exec_lo, s9
; %bb.1980:                             ;   in Loop: Header=BB458_1183 Depth=1
	v_bfe_u32 v5, v4, 16, 1
	s_delay_alu instid0(VALU_DEP_1)
	v_add3_u32 v163, v4, v5, 0x7fff
                                        ; implicit-def: $vgpr4
; %bb.1981:                             ;   in Loop: Header=BB458_1183 Depth=1
	s_and_not1_saveexec_b32 s9, s0
; %bb.1982:                             ;   in Loop: Header=BB458_1183 Depth=1
	v_and_b32_e32 v5, 0xffff, v4
	v_or_b32_e32 v7, 0x10000, v4
	s_delay_alu instid0(VALU_DEP_2) | instskip(NEXT) | instid1(VALU_DEP_1)
	v_cmp_eq_u32_e64 s0, 0, v5
	v_cndmask_b32_e64 v163, v7, v4, s0
; %bb.1983:                             ;   in Loop: Header=BB458_1183 Depth=1
	s_or_b32 exec_lo, exec_lo, s9
	v_lshlrev_b32_e32 v4, 16, v6
                                        ; implicit-def: $vgpr164
	s_delay_alu instid0(VALU_DEP_1) | instskip(NEXT) | instid1(VALU_DEP_1)
	v_mul_f32_e32 v4, v84, v4
	v_and_b32_e32 v5, 0x7f800000, v4
	s_delay_alu instid0(VALU_DEP_1) | instskip(NEXT) | instid1(VALU_DEP_1)
	v_cmp_ne_u32_e64 s0, 0x7f800000, v5
	s_and_saveexec_b32 s9, s0
	s_delay_alu instid0(SALU_CYCLE_1)
	s_xor_b32 s0, exec_lo, s9
; %bb.1984:                             ;   in Loop: Header=BB458_1183 Depth=1
	v_bfe_u32 v5, v4, 16, 1
	s_delay_alu instid0(VALU_DEP_1)
	v_add3_u32 v164, v4, v5, 0x7fff
                                        ; implicit-def: $vgpr4
; %bb.1985:                             ;   in Loop: Header=BB458_1183 Depth=1
	s_and_not1_saveexec_b32 s9, s0
; %bb.1986:                             ;   in Loop: Header=BB458_1183 Depth=1
	v_and_b32_e32 v5, 0xffff, v4
	v_or_b32_e32 v6, 0x10000, v4
	s_delay_alu instid0(VALU_DEP_2) | instskip(NEXT) | instid1(VALU_DEP_1)
	v_cmp_eq_u32_e64 s0, 0, v5
	v_cndmask_b32_e64 v164, v6, v4, s0
; %bb.1987:                             ;   in Loop: Header=BB458_1183 Depth=1
	s_or_b32 exec_lo, exec_lo, s9
	v_lshlrev_b32_e32 v3, 16, v3
                                        ; implicit-def: $vgpr165
	s_delay_alu instid0(VALU_DEP_1) | instskip(NEXT) | instid1(VALU_DEP_1)
	v_mul_f32_e32 v3, v85, v3
	v_and_b32_e32 v4, 0x7f800000, v3
	s_delay_alu instid0(VALU_DEP_1) | instskip(NEXT) | instid1(VALU_DEP_1)
	v_cmp_ne_u32_e64 s0, 0x7f800000, v4
	s_and_saveexec_b32 s9, s0
	s_delay_alu instid0(SALU_CYCLE_1)
	s_xor_b32 s0, exec_lo, s9
; %bb.1988:                             ;   in Loop: Header=BB458_1183 Depth=1
	v_bfe_u32 v4, v3, 16, 1
	s_delay_alu instid0(VALU_DEP_1)
	v_add3_u32 v165, v3, v4, 0x7fff
                                        ; implicit-def: $vgpr3
; %bb.1989:                             ;   in Loop: Header=BB458_1183 Depth=1
	s_and_not1_saveexec_b32 s9, s0
; %bb.1990:                             ;   in Loop: Header=BB458_1183 Depth=1
	v_and_b32_e32 v4, 0xffff, v3
	v_or_b32_e32 v5, 0x10000, v3
	s_delay_alu instid0(VALU_DEP_2) | instskip(NEXT) | instid1(VALU_DEP_1)
	v_cmp_eq_u32_e64 s0, 0, v4
	v_cndmask_b32_e64 v165, v5, v3, s0
; %bb.1991:                             ;   in Loop: Header=BB458_1183 Depth=1
	s_or_b32 exec_lo, exec_lo, s9
	v_lshlrev_b32_e32 v2, 16, v2
                                        ; implicit-def: $vgpr166
	s_delay_alu instid0(VALU_DEP_1) | instskip(NEXT) | instid1(VALU_DEP_1)
	v_mul_f32_e32 v2, v86, v2
	v_and_b32_e32 v3, 0x7f800000, v2
	s_delay_alu instid0(VALU_DEP_1) | instskip(NEXT) | instid1(VALU_DEP_1)
	v_cmp_ne_u32_e64 s0, 0x7f800000, v3
	s_and_saveexec_b32 s9, s0
	s_delay_alu instid0(SALU_CYCLE_1)
	s_xor_b32 s0, exec_lo, s9
; %bb.1992:                             ;   in Loop: Header=BB458_1183 Depth=1
	v_bfe_u32 v3, v2, 16, 1
	s_delay_alu instid0(VALU_DEP_1)
	v_add3_u32 v166, v2, v3, 0x7fff
                                        ; implicit-def: $vgpr2
; %bb.1993:                             ;   in Loop: Header=BB458_1183 Depth=1
	s_and_not1_saveexec_b32 s9, s0
; %bb.1994:                             ;   in Loop: Header=BB458_1183 Depth=1
	v_and_b32_e32 v3, 0xffff, v2
	v_or_b32_e32 v4, 0x10000, v2
	s_delay_alu instid0(VALU_DEP_2) | instskip(NEXT) | instid1(VALU_DEP_1)
	v_cmp_eq_u32_e64 s0, 0, v3
	v_cndmask_b32_e64 v166, v4, v2, s0
; %bb.1995:                             ;   in Loop: Header=BB458_1183 Depth=1
	s_or_b32 exec_lo, exec_lo, s9
	flat_load_b64 v[2:3], v[0:1] offset:1536
	s_mov_b32 s9, exec_lo
	s_waitcnt vmcnt(0) lgkmcnt(0)
	v_dual_mov_b32 v4, 0 :: v_dual_and_b32 v5, 0xff, v2
	s_delay_alu instid0(VALU_DEP_1)
	v_cmpx_ne_u16_e32 0, v5
	s_cbranch_execz .LBB458_2003
; %bb.1996:                             ;   in Loop: Header=BB458_1183 Depth=1
	v_bfrev_b32_e32 v4, 1
	s_mov_b32 s12, exec_lo
	v_cmpx_ne_u16_e32 0x80, v5
	s_cbranch_execz .LBB458_2002
; %bb.1997:                             ;   in Loop: Header=BB458_1183 Depth=1
	v_and_b32_e32 v5, 0x7f, v2
	v_mov_b32_e32 v4, 0x7f800001
	s_mov_b32 s13, exec_lo
	s_delay_alu instid0(VALU_DEP_2)
	v_cmpx_ne_u32_e32 0x7f, v5
	s_cbranch_execz .LBB458_2001
; %bb.1998:                             ;   in Loop: Header=BB458_1183 Depth=1
	v_lshrrev_b32_e32 v4, 3, v5
	v_dual_mov_b32 v7, v3 :: v_dual_mov_b32 v6, v2
	s_mov_b32 s15, exec_lo
	v_cmpx_gt_u32_e32 8, v5
; %bb.1999:                             ;   in Loop: Header=BB458_1183 Depth=1
	v_and_b32_e32 v4, 7, v2
	s_delay_alu instid0(VALU_DEP_1) | instskip(NEXT) | instid1(VALU_DEP_1)
	v_clz_i32_u32_e32 v4, v4
	v_min_u32_e32 v4, 32, v4
	s_delay_alu instid0(VALU_DEP_1) | instskip(SKIP_1) | instid1(VALU_DEP_2)
	v_subrev_nc_u32_e32 v5, 28, v4
	v_sub_nc_u32_e32 v4, 29, v4
	v_lshlrev_b64 v[6:7], v5, v[2:3]
; %bb.2000:                             ;   in Loop: Header=BB458_1183 Depth=1
	s_or_b32 exec_lo, exec_lo, s15
	s_delay_alu instid0(VALU_DEP_1) | instskip(SKIP_2) | instid1(VALU_DEP_3)
	v_lshlrev_b32_e32 v5, 20, v6
	v_lshlrev_b32_e32 v6, 24, v2
	v_lshl_add_u32 v4, v4, 23, 0x3c000000
	v_and_b32_e32 v5, 0x700000, v5
	s_delay_alu instid0(VALU_DEP_3) | instskip(NEXT) | instid1(VALU_DEP_1)
	v_and_b32_e32 v6, 0x80000000, v6
	v_or3_b32 v4, v5, v6, v4
.LBB458_2001:                           ;   in Loop: Header=BB458_1183 Depth=1
	s_or_b32 exec_lo, exec_lo, s13
.LBB458_2002:                           ;   in Loop: Header=BB458_1183 Depth=1
	s_delay_alu instid0(SALU_CYCLE_1)
	s_or_b32 exec_lo, exec_lo, s12
.LBB458_2003:                           ;   in Loop: Header=BB458_1183 Depth=1
	s_delay_alu instid0(SALU_CYCLE_1) | instskip(NEXT) | instid1(VALU_DEP_1)
	s_or_b32 exec_lo, exec_lo, s9
	v_mul_f32_e32 v5, v26, v4
	s_delay_alu instid0(VALU_DEP_1) | instskip(NEXT) | instid1(VALU_DEP_1)
	v_and_b32_e32 v4, 0x7f800000, v5
	v_cmp_ne_u32_e64 s0, 0x7f800000, v4
                                        ; implicit-def: $vgpr4
	s_delay_alu instid0(VALU_DEP_1) | instskip(NEXT) | instid1(SALU_CYCLE_1)
	s_and_saveexec_b32 s9, s0
	s_xor_b32 s0, exec_lo, s9
; %bb.2004:                             ;   in Loop: Header=BB458_1183 Depth=1
	v_bfe_u32 v4, v5, 16, 1
	s_delay_alu instid0(VALU_DEP_1)
	v_add3_u32 v4, v5, v4, 0x7fff
                                        ; implicit-def: $vgpr5
; %bb.2005:                             ;   in Loop: Header=BB458_1183 Depth=1
	s_and_not1_saveexec_b32 s9, s0
; %bb.2006:                             ;   in Loop: Header=BB458_1183 Depth=1
	v_and_b32_e32 v4, 0xffff, v5
	v_or_b32_e32 v6, 0x10000, v5
	s_delay_alu instid0(VALU_DEP_2) | instskip(NEXT) | instid1(VALU_DEP_1)
	v_cmp_eq_u32_e64 s0, 0, v4
	v_cndmask_b32_e64 v4, v6, v5, s0
; %bb.2007:                             ;   in Loop: Header=BB458_1183 Depth=1
	s_or_b32 exec_lo, exec_lo, s9
	v_lshrrev_b16 v6, 8, v2
	v_mov_b32_e32 v5, 0
	s_mov_b32 s9, exec_lo
	s_delay_alu instid0(VALU_DEP_2)
	v_cmpx_ne_u16_e32 0, v6
	s_cbranch_execz .LBB458_2015
; %bb.2008:                             ;   in Loop: Header=BB458_1183 Depth=1
	v_bfrev_b32_e32 v5, 1
	s_mov_b32 s12, exec_lo
	v_cmpx_ne_u16_e32 0x80, v6
	s_cbranch_execz .LBB458_2014
; %bb.2009:                             ;   in Loop: Header=BB458_1183 Depth=1
	v_and_b32_e32 v7, 0xffff, v6
	v_mov_b32_e32 v5, 0x7f800001
	s_mov_b32 s13, exec_lo
	s_delay_alu instid0(VALU_DEP_2) | instskip(NEXT) | instid1(VALU_DEP_1)
	v_and_b32_e32 v6, 0x7f, v7
	v_cmpx_ne_u32_e32 0x7f, v6
	s_cbranch_execz .LBB458_2013
; %bb.2010:                             ;   in Loop: Header=BB458_1183 Depth=1
	v_and_b32_e32 v9, 7, v7
	v_lshrrev_b32_e32 v5, 3, v6
	v_cmp_gt_u32_e64 s0, 8, v6
	s_delay_alu instid0(VALU_DEP_3) | instskip(NEXT) | instid1(VALU_DEP_2)
	v_dual_mov_b32 v6, v9 :: v_dual_mov_b32 v7, v10
	s_and_saveexec_b32 s15, s0
; %bb.2011:                             ;   in Loop: Header=BB458_1183 Depth=1
	v_clz_i32_u32_e32 v5, v9
	s_delay_alu instid0(VALU_DEP_1) | instskip(NEXT) | instid1(VALU_DEP_1)
	v_min_u32_e32 v5, 32, v5
	v_subrev_nc_u32_e32 v6, 28, v5
	v_sub_nc_u32_e32 v5, 29, v5
	s_delay_alu instid0(VALU_DEP_2) | instskip(NEXT) | instid1(VALU_DEP_1)
	v_lshlrev_b64 v[6:7], v6, v[9:10]
	v_and_b32_e32 v6, 7, v6
; %bb.2012:                             ;   in Loop: Header=BB458_1183 Depth=1
	s_or_b32 exec_lo, exec_lo, s15
	v_lshlrev_b32_e32 v7, 16, v2
	s_delay_alu instid0(VALU_DEP_2) | instskip(SKIP_1) | instid1(VALU_DEP_3)
	v_lshlrev_b32_e32 v6, 20, v6
	v_lshl_add_u32 v5, v5, 23, 0x3c000000
	v_and_b32_e32 v7, 0x80000000, v7
	s_delay_alu instid0(VALU_DEP_1)
	v_or3_b32 v5, v6, v7, v5
.LBB458_2013:                           ;   in Loop: Header=BB458_1183 Depth=1
	s_or_b32 exec_lo, exec_lo, s13
.LBB458_2014:                           ;   in Loop: Header=BB458_1183 Depth=1
	s_delay_alu instid0(SALU_CYCLE_1)
	s_or_b32 exec_lo, exec_lo, s12
.LBB458_2015:                           ;   in Loop: Header=BB458_1183 Depth=1
	s_delay_alu instid0(SALU_CYCLE_1) | instskip(NEXT) | instid1(VALU_DEP_1)
	s_or_b32 exec_lo, exec_lo, s9
	v_mul_f32_e32 v6, v26, v5
	s_delay_alu instid0(VALU_DEP_1) | instskip(NEXT) | instid1(VALU_DEP_1)
	v_and_b32_e32 v5, 0x7f800000, v6
	v_cmp_ne_u32_e64 s0, 0x7f800000, v5
                                        ; implicit-def: $vgpr5
	s_delay_alu instid0(VALU_DEP_1) | instskip(NEXT) | instid1(SALU_CYCLE_1)
	s_and_saveexec_b32 s9, s0
	s_xor_b32 s0, exec_lo, s9
; %bb.2016:                             ;   in Loop: Header=BB458_1183 Depth=1
	v_bfe_u32 v5, v6, 16, 1
	s_delay_alu instid0(VALU_DEP_1)
	v_add3_u32 v5, v6, v5, 0x7fff
                                        ; implicit-def: $vgpr6
; %bb.2017:                             ;   in Loop: Header=BB458_1183 Depth=1
	s_and_not1_saveexec_b32 s9, s0
; %bb.2018:                             ;   in Loop: Header=BB458_1183 Depth=1
	v_and_b32_e32 v5, 0xffff, v6
	v_or_b32_e32 v7, 0x10000, v6
	s_delay_alu instid0(VALU_DEP_2) | instskip(NEXT) | instid1(VALU_DEP_1)
	v_cmp_eq_u32_e64 s0, 0, v5
	v_cndmask_b32_e64 v5, v7, v6, s0
; %bb.2019:                             ;   in Loop: Header=BB458_1183 Depth=1
	s_or_b32 exec_lo, exec_lo, s9
	v_lshrrev_b32_e32 v23, 16, v2
	s_mov_b32 s9, exec_lo
	s_delay_alu instid0(VALU_DEP_1) | instskip(NEXT) | instid1(VALU_DEP_1)
	v_dual_mov_b32 v6, 0 :: v_dual_and_b32 v7, 0xff, v23
	v_cmpx_ne_u16_e32 0, v7
	s_cbranch_execz .LBB458_2027
; %bb.2020:                             ;   in Loop: Header=BB458_1183 Depth=1
	v_bfrev_b32_e32 v6, 1
	s_mov_b32 s12, exec_lo
	v_cmpx_ne_u16_e32 0x80, v7
	s_cbranch_execz .LBB458_2026
; %bb.2021:                             ;   in Loop: Header=BB458_1183 Depth=1
	v_bfe_u32 v7, v2, 16, 7
	v_mov_b32_e32 v6, 0x7f800001
	s_mov_b32 s13, exec_lo
	s_delay_alu instid0(VALU_DEP_2)
	v_cmpx_ne_u32_e32 0x7f, v7
	s_cbranch_execz .LBB458_2025
; %bb.2022:                             ;   in Loop: Header=BB458_1183 Depth=1
	v_and_b32_e32 v9, 7, v23
	v_lshrrev_b32_e32 v34, 3, v7
	v_cmp_gt_u32_e64 s0, 8, v7
	s_delay_alu instid0(VALU_DEP_3) | instskip(NEXT) | instid1(VALU_DEP_2)
	v_dual_mov_b32 v6, v9 :: v_dual_mov_b32 v7, v10
	s_and_saveexec_b32 s15, s0
; %bb.2023:                             ;   in Loop: Header=BB458_1183 Depth=1
	v_clz_i32_u32_e32 v6, v9
	s_delay_alu instid0(VALU_DEP_1) | instskip(NEXT) | instid1(VALU_DEP_1)
	v_min_u32_e32 v34, 32, v6
	v_subrev_nc_u32_e32 v6, 28, v34
	v_sub_nc_u32_e32 v34, 29, v34
	s_delay_alu instid0(VALU_DEP_2) | instskip(NEXT) | instid1(VALU_DEP_1)
	v_lshlrev_b64 v[6:7], v6, v[9:10]
	v_and_b32_e32 v6, 7, v6
; %bb.2024:                             ;   in Loop: Header=BB458_1183 Depth=1
	s_or_b32 exec_lo, exec_lo, s15
	v_lshlrev_b32_e32 v7, 24, v23
	s_delay_alu instid0(VALU_DEP_2) | instskip(SKIP_1) | instid1(VALU_DEP_3)
	v_lshlrev_b32_e32 v6, 20, v6
	v_lshl_add_u32 v9, v34, 23, 0x3c000000
	v_and_b32_e32 v7, 0x80000000, v7
	s_delay_alu instid0(VALU_DEP_1)
	v_or3_b32 v6, v6, v7, v9
.LBB458_2025:                           ;   in Loop: Header=BB458_1183 Depth=1
	s_or_b32 exec_lo, exec_lo, s13
.LBB458_2026:                           ;   in Loop: Header=BB458_1183 Depth=1
	s_delay_alu instid0(SALU_CYCLE_1)
	s_or_b32 exec_lo, exec_lo, s12
.LBB458_2027:                           ;   in Loop: Header=BB458_1183 Depth=1
	s_delay_alu instid0(SALU_CYCLE_1) | instskip(NEXT) | instid1(VALU_DEP_1)
	s_or_b32 exec_lo, exec_lo, s9
	v_mul_f32_e32 v6, v26, v6
                                        ; implicit-def: $vgpr23
	s_delay_alu instid0(VALU_DEP_1) | instskip(NEXT) | instid1(VALU_DEP_1)
	v_and_b32_e32 v7, 0x7f800000, v6
	v_cmp_ne_u32_e64 s0, 0x7f800000, v7
	s_delay_alu instid0(VALU_DEP_1) | instskip(NEXT) | instid1(SALU_CYCLE_1)
	s_and_saveexec_b32 s9, s0
	s_xor_b32 s0, exec_lo, s9
; %bb.2028:                             ;   in Loop: Header=BB458_1183 Depth=1
	v_bfe_u32 v7, v6, 16, 1
	s_delay_alu instid0(VALU_DEP_1)
	v_add3_u32 v23, v6, v7, 0x7fff
                                        ; implicit-def: $vgpr6
; %bb.2029:                             ;   in Loop: Header=BB458_1183 Depth=1
	s_and_not1_saveexec_b32 s9, s0
; %bb.2030:                             ;   in Loop: Header=BB458_1183 Depth=1
	v_and_b32_e32 v7, 0xffff, v6
	v_or_b32_e32 v9, 0x10000, v6
	s_delay_alu instid0(VALU_DEP_2) | instskip(NEXT) | instid1(VALU_DEP_1)
	v_cmp_eq_u32_e64 s0, 0, v7
	v_cndmask_b32_e64 v23, v9, v6, s0
; %bb.2031:                             ;   in Loop: Header=BB458_1183 Depth=1
	s_or_b32 exec_lo, exec_lo, s9
	v_mov_b32_e32 v6, 0
	s_mov_b32 s9, exec_lo
	v_cmpx_lt_u32_e32 0xffffff, v2
	s_cbranch_execz .LBB458_2039
; %bb.2032:                             ;   in Loop: Header=BB458_1183 Depth=1
	v_lshrrev_b32_e32 v34, 24, v2
	v_bfrev_b32_e32 v6, 1
	s_mov_b32 s12, exec_lo
	s_delay_alu instid0(VALU_DEP_2)
	v_cmpx_ne_u32_e32 0x80, v34
	s_cbranch_execz .LBB458_2038
; %bb.2033:                             ;   in Loop: Header=BB458_1183 Depth=1
	v_bfe_u32 v7, v2, 24, 7
	v_mov_b32_e32 v6, 0x7f800001
	s_mov_b32 s13, exec_lo
	s_delay_alu instid0(VALU_DEP_2)
	v_cmpx_ne_u32_e32 0x7f, v7
	s_cbranch_execz .LBB458_2037
; %bb.2034:                             ;   in Loop: Header=BB458_1183 Depth=1
	v_and_b32_e32 v9, 7, v34
	v_lshrrev_b32_e32 v36, 3, v7
	v_cmp_gt_u32_e64 s0, 8, v7
	s_delay_alu instid0(VALU_DEP_3) | instskip(NEXT) | instid1(VALU_DEP_2)
	v_dual_mov_b32 v6, v9 :: v_dual_mov_b32 v7, v10
	s_and_saveexec_b32 s15, s0
; %bb.2035:                             ;   in Loop: Header=BB458_1183 Depth=1
	v_clz_i32_u32_e32 v6, v9
	s_delay_alu instid0(VALU_DEP_1) | instskip(NEXT) | instid1(VALU_DEP_1)
	v_min_u32_e32 v36, 32, v6
	v_subrev_nc_u32_e32 v6, 28, v36
	v_sub_nc_u32_e32 v36, 29, v36
	s_delay_alu instid0(VALU_DEP_2) | instskip(NEXT) | instid1(VALU_DEP_1)
	v_lshlrev_b64 v[6:7], v6, v[9:10]
	v_and_b32_e32 v6, 7, v6
; %bb.2036:                             ;   in Loop: Header=BB458_1183 Depth=1
	s_or_b32 exec_lo, exec_lo, s15
	v_lshlrev_b32_e32 v7, 24, v34
	s_delay_alu instid0(VALU_DEP_2) | instskip(SKIP_1) | instid1(VALU_DEP_3)
	v_lshlrev_b32_e32 v6, 20, v6
	v_lshl_add_u32 v9, v36, 23, 0x3c000000
	v_and_b32_e32 v7, 0x80000000, v7
	s_delay_alu instid0(VALU_DEP_1)
	v_or3_b32 v6, v6, v7, v9
.LBB458_2037:                           ;   in Loop: Header=BB458_1183 Depth=1
	s_or_b32 exec_lo, exec_lo, s13
.LBB458_2038:                           ;   in Loop: Header=BB458_1183 Depth=1
	s_delay_alu instid0(SALU_CYCLE_1)
	s_or_b32 exec_lo, exec_lo, s12
.LBB458_2039:                           ;   in Loop: Header=BB458_1183 Depth=1
	s_delay_alu instid0(SALU_CYCLE_1) | instskip(NEXT) | instid1(VALU_DEP_1)
	s_or_b32 exec_lo, exec_lo, s9
	v_mul_f32_e32 v6, v26, v6
                                        ; implicit-def: $vgpr34
	s_delay_alu instid0(VALU_DEP_1) | instskip(NEXT) | instid1(VALU_DEP_1)
	v_and_b32_e32 v7, 0x7f800000, v6
	v_cmp_ne_u32_e64 s0, 0x7f800000, v7
	s_delay_alu instid0(VALU_DEP_1) | instskip(NEXT) | instid1(SALU_CYCLE_1)
	s_and_saveexec_b32 s9, s0
	s_xor_b32 s0, exec_lo, s9
; %bb.2040:                             ;   in Loop: Header=BB458_1183 Depth=1
	v_bfe_u32 v7, v6, 16, 1
	s_delay_alu instid0(VALU_DEP_1)
	v_add3_u32 v34, v6, v7, 0x7fff
                                        ; implicit-def: $vgpr6
; %bb.2041:                             ;   in Loop: Header=BB458_1183 Depth=1
	s_and_not1_saveexec_b32 s9, s0
; %bb.2042:                             ;   in Loop: Header=BB458_1183 Depth=1
	v_and_b32_e32 v7, 0xffff, v6
	v_or_b32_e32 v9, 0x10000, v6
	s_delay_alu instid0(VALU_DEP_2) | instskip(NEXT) | instid1(VALU_DEP_1)
	v_cmp_eq_u32_e64 s0, 0, v7
	v_cndmask_b32_e64 v34, v9, v6, s0
; %bb.2043:                             ;   in Loop: Header=BB458_1183 Depth=1
	s_or_b32 exec_lo, exec_lo, s9
	v_dual_mov_b32 v6, 0 :: v_dual_and_b32 v7, 0xff, v3
	v_mov_b32_e32 v9, v3
	s_mov_b32 s9, exec_lo
	s_delay_alu instid0(VALU_DEP_2)
	v_cmpx_ne_u16_e32 0, v7
	s_cbranch_execz .LBB458_2051
; %bb.2044:                             ;   in Loop: Header=BB458_1183 Depth=1
	v_bfrev_b32_e32 v6, 1
	s_mov_b32 s12, exec_lo
	v_cmpx_ne_u16_e32 0x80, v7
	s_cbranch_execz .LBB458_2050
; %bb.2045:                             ;   in Loop: Header=BB458_1183 Depth=1
	v_and_b32_e32 v7, 0x7f, v3
	v_mov_b32_e32 v6, 0x7f800001
	s_mov_b32 s13, exec_lo
	s_delay_alu instid0(VALU_DEP_2)
	v_cmpx_ne_u32_e32 0x7f, v7
	s_cbranch_execz .LBB458_2049
; %bb.2046:                             ;   in Loop: Header=BB458_1183 Depth=1
	v_lshrrev_b32_e32 v36, 3, v7
	v_cmp_gt_u32_e64 s0, 8, v7
	v_dual_mov_b32 v6, v9 :: v_dual_mov_b32 v7, v10
	s_delay_alu instid0(VALU_DEP_2)
	s_and_saveexec_b32 s15, s0
; %bb.2047:                             ;   in Loop: Header=BB458_1183 Depth=1
	v_and_b32_e32 v6, 7, v3
	s_delay_alu instid0(VALU_DEP_1) | instskip(NEXT) | instid1(VALU_DEP_1)
	v_clz_i32_u32_e32 v6, v6
	v_min_u32_e32 v36, 32, v6
	s_delay_alu instid0(VALU_DEP_1) | instskip(SKIP_1) | instid1(VALU_DEP_2)
	v_subrev_nc_u32_e32 v6, 28, v36
	v_sub_nc_u32_e32 v36, 29, v36
	v_lshlrev_b64 v[6:7], v6, v[9:10]
; %bb.2048:                             ;   in Loop: Header=BB458_1183 Depth=1
	s_or_b32 exec_lo, exec_lo, s15
	s_delay_alu instid0(VALU_DEP_1) | instskip(SKIP_2) | instid1(VALU_DEP_3)
	v_lshlrev_b32_e32 v6, 20, v6
	v_lshlrev_b32_e32 v7, 24, v9
	v_lshl_add_u32 v36, v36, 23, 0x3c000000
	v_and_b32_e32 v6, 0x700000, v6
	s_delay_alu instid0(VALU_DEP_3) | instskip(NEXT) | instid1(VALU_DEP_1)
	v_and_b32_e32 v7, 0x80000000, v7
	v_or3_b32 v6, v6, v7, v36
.LBB458_2049:                           ;   in Loop: Header=BB458_1183 Depth=1
	s_or_b32 exec_lo, exec_lo, s13
.LBB458_2050:                           ;   in Loop: Header=BB458_1183 Depth=1
	s_delay_alu instid0(SALU_CYCLE_1)
	s_or_b32 exec_lo, exec_lo, s12
.LBB458_2051:                           ;   in Loop: Header=BB458_1183 Depth=1
	s_delay_alu instid0(SALU_CYCLE_1) | instskip(NEXT) | instid1(VALU_DEP_1)
	s_or_b32 exec_lo, exec_lo, s9
	v_mul_f32_e32 v6, v26, v6
                                        ; implicit-def: $vgpr36
	s_delay_alu instid0(VALU_DEP_1) | instskip(NEXT) | instid1(VALU_DEP_1)
	v_and_b32_e32 v7, 0x7f800000, v6
	v_cmp_ne_u32_e64 s0, 0x7f800000, v7
	s_delay_alu instid0(VALU_DEP_1) | instskip(NEXT) | instid1(SALU_CYCLE_1)
	s_and_saveexec_b32 s9, s0
	s_xor_b32 s0, exec_lo, s9
; %bb.2052:                             ;   in Loop: Header=BB458_1183 Depth=1
	v_bfe_u32 v7, v6, 16, 1
	s_delay_alu instid0(VALU_DEP_1)
	v_add3_u32 v36, v6, v7, 0x7fff
                                        ; implicit-def: $vgpr6
; %bb.2053:                             ;   in Loop: Header=BB458_1183 Depth=1
	s_and_not1_saveexec_b32 s9, s0
; %bb.2054:                             ;   in Loop: Header=BB458_1183 Depth=1
	v_and_b32_e32 v7, 0xffff, v6
	v_or_b32_e32 v36, 0x10000, v6
	s_delay_alu instid0(VALU_DEP_2) | instskip(NEXT) | instid1(VALU_DEP_1)
	v_cmp_eq_u32_e64 s0, 0, v7
	v_cndmask_b32_e64 v36, v36, v6, s0
; %bb.2055:                             ;   in Loop: Header=BB458_1183 Depth=1
	s_or_b32 exec_lo, exec_lo, s9
	v_lshrrev_b16 v7, 8, v9
	v_mov_b32_e32 v6, 0
	s_mov_b32 s9, exec_lo
	s_delay_alu instid0(VALU_DEP_2)
	v_cmpx_ne_u16_e32 0, v7
	s_cbranch_execz .LBB458_2063
; %bb.2056:                             ;   in Loop: Header=BB458_1183 Depth=1
	v_bfrev_b32_e32 v6, 1
	s_mov_b32 s12, exec_lo
	v_cmpx_ne_u16_e32 0x80, v7
	s_cbranch_execz .LBB458_2062
; %bb.2057:                             ;   in Loop: Header=BB458_1183 Depth=1
	v_and_b32_e32 v7, 0xffff, v7
	v_mov_b32_e32 v6, 0x7f800001
	s_mov_b32 s13, exec_lo
	s_delay_alu instid0(VALU_DEP_2) | instskip(NEXT) | instid1(VALU_DEP_1)
	v_and_b32_e32 v176, 0x7f, v7
	v_cmpx_ne_u32_e32 0x7f, v176
	s_cbranch_execz .LBB458_2061
; %bb.2058:                             ;   in Loop: Header=BB458_1183 Depth=1
	v_dual_mov_b32 v7, v10 :: v_dual_and_b32 v6, 7, v7
	v_lshrrev_b32_e32 v167, 3, v176
	s_mov_b32 s15, exec_lo
	v_cmpx_gt_u32_e32 8, v176
; %bb.2059:                             ;   in Loop: Header=BB458_1183 Depth=1
	s_delay_alu instid0(VALU_DEP_3) | instskip(NEXT) | instid1(VALU_DEP_1)
	v_clz_i32_u32_e32 v167, v6
	v_min_u32_e32 v167, 32, v167
	s_delay_alu instid0(VALU_DEP_1) | instskip(SKIP_1) | instid1(VALU_DEP_2)
	v_subrev_nc_u32_e32 v176, 28, v167
	v_sub_nc_u32_e32 v167, 29, v167
	v_lshlrev_b64 v[6:7], v176, v[6:7]
	s_delay_alu instid0(VALU_DEP_1)
	v_and_b32_e32 v6, 7, v6
; %bb.2060:                             ;   in Loop: Header=BB458_1183 Depth=1
	s_or_b32 exec_lo, exec_lo, s15
	v_lshlrev_b32_e32 v7, 16, v9
	s_delay_alu instid0(VALU_DEP_2) | instskip(SKIP_1) | instid1(VALU_DEP_3)
	v_lshlrev_b32_e32 v6, 20, v6
	v_lshl_add_u32 v9, v167, 23, 0x3c000000
	v_and_b32_e32 v7, 0x80000000, v7
	s_delay_alu instid0(VALU_DEP_1)
	v_or3_b32 v6, v6, v7, v9
.LBB458_2061:                           ;   in Loop: Header=BB458_1183 Depth=1
	s_or_b32 exec_lo, exec_lo, s13
.LBB458_2062:                           ;   in Loop: Header=BB458_1183 Depth=1
	s_delay_alu instid0(SALU_CYCLE_1)
	s_or_b32 exec_lo, exec_lo, s12
.LBB458_2063:                           ;   in Loop: Header=BB458_1183 Depth=1
	s_delay_alu instid0(SALU_CYCLE_1) | instskip(NEXT) | instid1(VALU_DEP_1)
	s_or_b32 exec_lo, exec_lo, s9
	v_mul_f32_e32 v6, v26, v6
                                        ; implicit-def: $vgpr167
	s_delay_alu instid0(VALU_DEP_1) | instskip(NEXT) | instid1(VALU_DEP_1)
	v_and_b32_e32 v7, 0x7f800000, v6
	v_cmp_ne_u32_e64 s0, 0x7f800000, v7
	s_delay_alu instid0(VALU_DEP_1) | instskip(NEXT) | instid1(SALU_CYCLE_1)
	s_and_saveexec_b32 s9, s0
	s_xor_b32 s0, exec_lo, s9
; %bb.2064:                             ;   in Loop: Header=BB458_1183 Depth=1
	v_bfe_u32 v7, v6, 16, 1
	s_delay_alu instid0(VALU_DEP_1)
	v_add3_u32 v167, v6, v7, 0x7fff
                                        ; implicit-def: $vgpr6
; %bb.2065:                             ;   in Loop: Header=BB458_1183 Depth=1
	s_and_not1_saveexec_b32 s9, s0
; %bb.2066:                             ;   in Loop: Header=BB458_1183 Depth=1
	v_and_b32_e32 v7, 0xffff, v6
	v_or_b32_e32 v9, 0x10000, v6
	s_delay_alu instid0(VALU_DEP_2) | instskip(NEXT) | instid1(VALU_DEP_1)
	v_cmp_eq_u32_e64 s0, 0, v7
	v_cndmask_b32_e64 v167, v9, v6, s0
; %bb.2067:                             ;   in Loop: Header=BB458_1183 Depth=1
	s_or_b32 exec_lo, exec_lo, s9
	v_lshrrev_b32_e32 v176, 16, v3
	s_mov_b32 s9, exec_lo
	s_delay_alu instid0(VALU_DEP_1) | instskip(NEXT) | instid1(VALU_DEP_1)
	v_dual_mov_b32 v6, 0 :: v_dual_and_b32 v7, 0xff, v176
	v_cmpx_ne_u16_e32 0, v7
	s_cbranch_execz .LBB458_2075
; %bb.2068:                             ;   in Loop: Header=BB458_1183 Depth=1
	v_bfrev_b32_e32 v6, 1
	s_mov_b32 s12, exec_lo
	v_cmpx_ne_u16_e32 0x80, v7
	s_cbranch_execz .LBB458_2074
; %bb.2069:                             ;   in Loop: Header=BB458_1183 Depth=1
	v_bfe_u32 v7, v3, 16, 7
	v_mov_b32_e32 v6, 0x7f800001
	s_mov_b32 s13, exec_lo
	s_delay_alu instid0(VALU_DEP_2)
	v_cmpx_ne_u32_e32 0x7f, v7
	s_cbranch_execz .LBB458_2073
; %bb.2070:                             ;   in Loop: Header=BB458_1183 Depth=1
	v_and_b32_e32 v9, 7, v176
	v_lshrrev_b32_e32 v177, 3, v7
	v_cmp_gt_u32_e64 s0, 8, v7
	s_delay_alu instid0(VALU_DEP_3) | instskip(NEXT) | instid1(VALU_DEP_2)
	v_dual_mov_b32 v6, v9 :: v_dual_mov_b32 v7, v10
	s_and_saveexec_b32 s15, s0
; %bb.2071:                             ;   in Loop: Header=BB458_1183 Depth=1
	v_clz_i32_u32_e32 v6, v9
	s_delay_alu instid0(VALU_DEP_1) | instskip(NEXT) | instid1(VALU_DEP_1)
	v_min_u32_e32 v177, 32, v6
	v_subrev_nc_u32_e32 v6, 28, v177
	v_sub_nc_u32_e32 v177, 29, v177
	s_delay_alu instid0(VALU_DEP_2) | instskip(NEXT) | instid1(VALU_DEP_1)
	v_lshlrev_b64 v[6:7], v6, v[9:10]
	v_and_b32_e32 v6, 7, v6
; %bb.2072:                             ;   in Loop: Header=BB458_1183 Depth=1
	s_or_b32 exec_lo, exec_lo, s15
	v_lshlrev_b32_e32 v7, 24, v176
	s_delay_alu instid0(VALU_DEP_2) | instskip(SKIP_1) | instid1(VALU_DEP_3)
	v_lshlrev_b32_e32 v6, 20, v6
	v_lshl_add_u32 v9, v177, 23, 0x3c000000
	v_and_b32_e32 v7, 0x80000000, v7
	s_delay_alu instid0(VALU_DEP_1)
	v_or3_b32 v6, v6, v7, v9
.LBB458_2073:                           ;   in Loop: Header=BB458_1183 Depth=1
	s_or_b32 exec_lo, exec_lo, s13
.LBB458_2074:                           ;   in Loop: Header=BB458_1183 Depth=1
	s_delay_alu instid0(SALU_CYCLE_1)
	s_or_b32 exec_lo, exec_lo, s12
.LBB458_2075:                           ;   in Loop: Header=BB458_1183 Depth=1
	s_delay_alu instid0(SALU_CYCLE_1) | instskip(NEXT) | instid1(VALU_DEP_1)
	s_or_b32 exec_lo, exec_lo, s9
	v_mul_f32_e32 v6, v26, v6
                                        ; implicit-def: $vgpr176
	s_delay_alu instid0(VALU_DEP_1) | instskip(NEXT) | instid1(VALU_DEP_1)
	v_and_b32_e32 v7, 0x7f800000, v6
	v_cmp_ne_u32_e64 s0, 0x7f800000, v7
	s_delay_alu instid0(VALU_DEP_1) | instskip(NEXT) | instid1(SALU_CYCLE_1)
	s_and_saveexec_b32 s9, s0
	s_xor_b32 s0, exec_lo, s9
; %bb.2076:                             ;   in Loop: Header=BB458_1183 Depth=1
	v_bfe_u32 v7, v6, 16, 1
	s_delay_alu instid0(VALU_DEP_1)
	v_add3_u32 v176, v6, v7, 0x7fff
                                        ; implicit-def: $vgpr6
; %bb.2077:                             ;   in Loop: Header=BB458_1183 Depth=1
	s_and_not1_saveexec_b32 s9, s0
; %bb.2078:                             ;   in Loop: Header=BB458_1183 Depth=1
	v_and_b32_e32 v7, 0xffff, v6
	v_or_b32_e32 v9, 0x10000, v6
	s_delay_alu instid0(VALU_DEP_2) | instskip(NEXT) | instid1(VALU_DEP_1)
	v_cmp_eq_u32_e64 s0, 0, v7
	v_cndmask_b32_e64 v176, v9, v6, s0
; %bb.2079:                             ;   in Loop: Header=BB458_1183 Depth=1
	s_or_b32 exec_lo, exec_lo, s9
	v_cmp_lt_u64_e64 s0, s[2:3], v[2:3]
	v_mov_b32_e32 v2, 0
	s_delay_alu instid0(VALU_DEP_2)
	s_and_saveexec_b32 s9, s0
	s_cbranch_execz .LBB458_2087
; %bb.2080:                             ;   in Loop: Header=BB458_1183 Depth=1
	v_lshrrev_b32_e32 v6, 24, v3
	v_bfrev_b32_e32 v2, 1
	s_mov_b32 s12, exec_lo
	s_delay_alu instid0(VALU_DEP_2)
	v_cmpx_ne_u32_e32 0x80, v6
	s_cbranch_execz .LBB458_2086
; %bb.2081:                             ;   in Loop: Header=BB458_1183 Depth=1
	v_bfe_u32 v3, v3, 24, 7
	v_mov_b32_e32 v2, 0x7f800001
	s_mov_b32 s13, exec_lo
	s_delay_alu instid0(VALU_DEP_2)
	v_cmpx_ne_u32_e32 0x7f, v3
	s_cbranch_execz .LBB458_2085
; %bb.2082:                             ;   in Loop: Header=BB458_1183 Depth=1
	v_and_b32_e32 v9, 7, v6
	v_lshrrev_b32_e32 v7, 3, v3
	v_cmp_gt_u32_e64 s0, 8, v3
	s_delay_alu instid0(VALU_DEP_3) | instskip(NEXT) | instid1(VALU_DEP_2)
	v_dual_mov_b32 v2, v9 :: v_dual_mov_b32 v3, v10
	s_and_saveexec_b32 s15, s0
; %bb.2083:                             ;   in Loop: Header=BB458_1183 Depth=1
	v_clz_i32_u32_e32 v2, v9
	s_delay_alu instid0(VALU_DEP_1) | instskip(NEXT) | instid1(VALU_DEP_1)
	v_min_u32_e32 v7, 32, v2
	v_subrev_nc_u32_e32 v2, 28, v7
	v_sub_nc_u32_e32 v7, 29, v7
	s_delay_alu instid0(VALU_DEP_2) | instskip(NEXT) | instid1(VALU_DEP_1)
	v_lshlrev_b64 v[2:3], v2, v[9:10]
	v_and_b32_e32 v2, 7, v2
; %bb.2084:                             ;   in Loop: Header=BB458_1183 Depth=1
	s_or_b32 exec_lo, exec_lo, s15
	v_lshlrev_b32_e32 v3, 24, v6
	s_delay_alu instid0(VALU_DEP_2) | instskip(SKIP_1) | instid1(VALU_DEP_3)
	v_lshlrev_b32_e32 v2, 20, v2
	v_lshl_add_u32 v6, v7, 23, 0x3c000000
	v_and_b32_e32 v3, 0x80000000, v3
	s_delay_alu instid0(VALU_DEP_1)
	v_or3_b32 v2, v2, v3, v6
.LBB458_2085:                           ;   in Loop: Header=BB458_1183 Depth=1
	s_or_b32 exec_lo, exec_lo, s13
.LBB458_2086:                           ;   in Loop: Header=BB458_1183 Depth=1
	s_delay_alu instid0(SALU_CYCLE_1)
	s_or_b32 exec_lo, exec_lo, s12
.LBB458_2087:                           ;   in Loop: Header=BB458_1183 Depth=1
	s_delay_alu instid0(SALU_CYCLE_1) | instskip(NEXT) | instid1(VALU_DEP_1)
	s_or_b32 exec_lo, exec_lo, s9
	v_mul_f32_e32 v3, v26, v2
	s_delay_alu instid0(VALU_DEP_1) | instskip(NEXT) | instid1(VALU_DEP_1)
	v_and_b32_e32 v2, 0x7f800000, v3
	v_cmp_ne_u32_e64 s0, 0x7f800000, v2
                                        ; implicit-def: $vgpr2
	s_delay_alu instid0(VALU_DEP_1) | instskip(NEXT) | instid1(SALU_CYCLE_1)
	s_and_saveexec_b32 s9, s0
	s_xor_b32 s0, exec_lo, s9
; %bb.2088:                             ;   in Loop: Header=BB458_1183 Depth=1
	v_bfe_u32 v2, v3, 16, 1
	s_delay_alu instid0(VALU_DEP_1)
	v_add3_u32 v2, v3, v2, 0x7fff
                                        ; implicit-def: $vgpr3
; %bb.2089:                             ;   in Loop: Header=BB458_1183 Depth=1
	s_and_not1_saveexec_b32 s9, s0
; %bb.2090:                             ;   in Loop: Header=BB458_1183 Depth=1
	v_and_b32_e32 v2, 0xffff, v3
	v_or_b32_e32 v6, 0x10000, v3
	s_delay_alu instid0(VALU_DEP_2) | instskip(NEXT) | instid1(VALU_DEP_1)
	v_cmp_eq_u32_e64 s0, 0, v2
	v_cndmask_b32_e64 v2, v6, v3, s0
; %bb.2091:                             ;   in Loop: Header=BB458_1183 Depth=1
	s_or_b32 exec_lo, exec_lo, s9
	v_lshrrev_b32_e32 v6, 16, v167
	v_lshrrev_b32_e32 v7, 16, v36
	;; [unrolled: 1-line block ×8, first 2 shown]
	s_and_saveexec_b32 s9, vcc_lo
	s_cbranch_execz .LBB458_2093
; %bb.2092:                             ;   in Loop: Header=BB458_1183 Depth=1
	v_cmp_lt_i32_e64 s0, v64, v35
	s_delay_alu instid0(VALU_DEP_1) | instskip(SKIP_1) | instid1(VALU_DEP_1)
	v_cndmask_b32_e64 v4, 0, v4, s0
	v_cmp_lt_i32_e64 s0, v70, v35
	v_cndmask_b32_e64 v5, 0, v5, s0
	v_cmp_lt_i32_e64 s0, v69, v35
	s_delay_alu instid0(VALU_DEP_1) | instskip(SKIP_1) | instid1(VALU_DEP_1)
	v_cndmask_b32_e64 v23, 0, v23, s0
	v_cmp_lt_i32_e64 s0, v68, v35
	v_cndmask_b32_e64 v9, 0, v9, s0
	;; [unrolled: 5-line block ×4, first 2 shown]
.LBB458_2093:                           ;   in Loop: Header=BB458_1183 Depth=1
	s_or_b32 exec_lo, exec_lo, s9
	v_lshlrev_b32_e32 v4, 16, v4
                                        ; implicit-def: $vgpr167
	s_delay_alu instid0(VALU_DEP_1) | instskip(NEXT) | instid1(VALU_DEP_1)
	v_mul_f32_e32 v4, v71, v4
	v_and_b32_e32 v34, 0x7f800000, v4
	s_delay_alu instid0(VALU_DEP_1) | instskip(NEXT) | instid1(VALU_DEP_1)
	v_cmp_ne_u32_e64 s0, 0x7f800000, v34
	s_and_saveexec_b32 s9, s0
	s_delay_alu instid0(SALU_CYCLE_1)
	s_xor_b32 s0, exec_lo, s9
; %bb.2094:                             ;   in Loop: Header=BB458_1183 Depth=1
	v_bfe_u32 v34, v4, 16, 1
	s_delay_alu instid0(VALU_DEP_1)
	v_add3_u32 v167, v4, v34, 0x7fff
                                        ; implicit-def: $vgpr4
; %bb.2095:                             ;   in Loop: Header=BB458_1183 Depth=1
	s_and_not1_saveexec_b32 s9, s0
; %bb.2096:                             ;   in Loop: Header=BB458_1183 Depth=1
	v_and_b32_e32 v34, 0xffff, v4
	v_or_b32_e32 v36, 0x10000, v4
	s_delay_alu instid0(VALU_DEP_2) | instskip(NEXT) | instid1(VALU_DEP_1)
	v_cmp_eq_u32_e64 s0, 0, v34
	v_cndmask_b32_e64 v167, v36, v4, s0
; %bb.2097:                             ;   in Loop: Header=BB458_1183 Depth=1
	s_or_b32 exec_lo, exec_lo, s9
	v_lshlrev_b32_e32 v4, 16, v5
                                        ; implicit-def: $vgpr176
	s_delay_alu instid0(VALU_DEP_1) | instskip(NEXT) | instid1(VALU_DEP_1)
	v_mul_f32_e32 v4, v80, v4
	v_and_b32_e32 v5, 0x7f800000, v4
	s_delay_alu instid0(VALU_DEP_1) | instskip(NEXT) | instid1(VALU_DEP_1)
	v_cmp_ne_u32_e64 s0, 0x7f800000, v5
	s_and_saveexec_b32 s9, s0
	s_delay_alu instid0(SALU_CYCLE_1)
	s_xor_b32 s0, exec_lo, s9
; %bb.2098:                             ;   in Loop: Header=BB458_1183 Depth=1
	v_bfe_u32 v5, v4, 16, 1
	s_delay_alu instid0(VALU_DEP_1)
	v_add3_u32 v176, v4, v5, 0x7fff
                                        ; implicit-def: $vgpr4
; %bb.2099:                             ;   in Loop: Header=BB458_1183 Depth=1
	s_and_not1_saveexec_b32 s9, s0
; %bb.2100:                             ;   in Loop: Header=BB458_1183 Depth=1
	v_and_b32_e32 v5, 0xffff, v4
	v_or_b32_e32 v34, 0x10000, v4
	s_delay_alu instid0(VALU_DEP_2) | instskip(NEXT) | instid1(VALU_DEP_1)
	v_cmp_eq_u32_e64 s0, 0, v5
	v_cndmask_b32_e64 v176, v34, v4, s0
; %bb.2101:                             ;   in Loop: Header=BB458_1183 Depth=1
	s_or_b32 exec_lo, exec_lo, s9
	v_lshlrev_b32_e32 v4, 16, v23
                                        ; implicit-def: $vgpr177
	s_delay_alu instid0(VALU_DEP_1) | instskip(NEXT) | instid1(VALU_DEP_1)
	v_mul_f32_e32 v4, v81, v4
	v_and_b32_e32 v5, 0x7f800000, v4
	s_delay_alu instid0(VALU_DEP_1) | instskip(NEXT) | instid1(VALU_DEP_1)
	v_cmp_ne_u32_e64 s0, 0x7f800000, v5
	s_and_saveexec_b32 s9, s0
	s_delay_alu instid0(SALU_CYCLE_1)
	s_xor_b32 s0, exec_lo, s9
; %bb.2102:                             ;   in Loop: Header=BB458_1183 Depth=1
	v_bfe_u32 v5, v4, 16, 1
	s_delay_alu instid0(VALU_DEP_1)
	v_add3_u32 v177, v4, v5, 0x7fff
                                        ; implicit-def: $vgpr4
; %bb.2103:                             ;   in Loop: Header=BB458_1183 Depth=1
	s_and_not1_saveexec_b32 s9, s0
; %bb.2104:                             ;   in Loop: Header=BB458_1183 Depth=1
	v_and_b32_e32 v5, 0xffff, v4
	v_or_b32_e32 v23, 0x10000, v4
	s_delay_alu instid0(VALU_DEP_2) | instskip(NEXT) | instid1(VALU_DEP_1)
	v_cmp_eq_u32_e64 s0, 0, v5
	v_cndmask_b32_e64 v177, v23, v4, s0
; %bb.2105:                             ;   in Loop: Header=BB458_1183 Depth=1
	s_or_b32 exec_lo, exec_lo, s9
	v_lshlrev_b32_e32 v4, 16, v9
                                        ; implicit-def: $vgpr178
	s_delay_alu instid0(VALU_DEP_1) | instskip(NEXT) | instid1(VALU_DEP_1)
	v_mul_f32_e32 v4, v82, v4
	v_and_b32_e32 v5, 0x7f800000, v4
	s_delay_alu instid0(VALU_DEP_1) | instskip(NEXT) | instid1(VALU_DEP_1)
	v_cmp_ne_u32_e64 s0, 0x7f800000, v5
	s_and_saveexec_b32 s9, s0
	s_delay_alu instid0(SALU_CYCLE_1)
	s_xor_b32 s0, exec_lo, s9
; %bb.2106:                             ;   in Loop: Header=BB458_1183 Depth=1
	v_bfe_u32 v5, v4, 16, 1
	s_delay_alu instid0(VALU_DEP_1)
	v_add3_u32 v178, v4, v5, 0x7fff
                                        ; implicit-def: $vgpr4
; %bb.2107:                             ;   in Loop: Header=BB458_1183 Depth=1
	s_and_not1_saveexec_b32 s9, s0
; %bb.2108:                             ;   in Loop: Header=BB458_1183 Depth=1
	v_and_b32_e32 v5, 0xffff, v4
	v_or_b32_e32 v9, 0x10000, v4
	s_delay_alu instid0(VALU_DEP_2) | instskip(NEXT) | instid1(VALU_DEP_1)
	v_cmp_eq_u32_e64 s0, 0, v5
	v_cndmask_b32_e64 v178, v9, v4, s0
; %bb.2109:                             ;   in Loop: Header=BB458_1183 Depth=1
	s_or_b32 exec_lo, exec_lo, s9
	v_lshlrev_b32_e32 v4, 16, v7
                                        ; implicit-def: $vgpr179
	s_delay_alu instid0(VALU_DEP_1) | instskip(NEXT) | instid1(VALU_DEP_1)
	v_mul_f32_e32 v4, v83, v4
	v_and_b32_e32 v5, 0x7f800000, v4
	s_delay_alu instid0(VALU_DEP_1) | instskip(NEXT) | instid1(VALU_DEP_1)
	v_cmp_ne_u32_e64 s0, 0x7f800000, v5
	s_and_saveexec_b32 s9, s0
	s_delay_alu instid0(SALU_CYCLE_1)
	s_xor_b32 s0, exec_lo, s9
; %bb.2110:                             ;   in Loop: Header=BB458_1183 Depth=1
	v_bfe_u32 v5, v4, 16, 1
	s_delay_alu instid0(VALU_DEP_1)
	v_add3_u32 v179, v4, v5, 0x7fff
                                        ; implicit-def: $vgpr4
; %bb.2111:                             ;   in Loop: Header=BB458_1183 Depth=1
	s_and_not1_saveexec_b32 s9, s0
; %bb.2112:                             ;   in Loop: Header=BB458_1183 Depth=1
	v_and_b32_e32 v5, 0xffff, v4
	v_or_b32_e32 v7, 0x10000, v4
	s_delay_alu instid0(VALU_DEP_2) | instskip(NEXT) | instid1(VALU_DEP_1)
	v_cmp_eq_u32_e64 s0, 0, v5
	v_cndmask_b32_e64 v179, v7, v4, s0
; %bb.2113:                             ;   in Loop: Header=BB458_1183 Depth=1
	s_or_b32 exec_lo, exec_lo, s9
	v_lshlrev_b32_e32 v4, 16, v6
                                        ; implicit-def: $vgpr180
	s_delay_alu instid0(VALU_DEP_1) | instskip(NEXT) | instid1(VALU_DEP_1)
	v_mul_f32_e32 v4, v84, v4
	v_and_b32_e32 v5, 0x7f800000, v4
	s_delay_alu instid0(VALU_DEP_1) | instskip(NEXT) | instid1(VALU_DEP_1)
	v_cmp_ne_u32_e64 s0, 0x7f800000, v5
	s_and_saveexec_b32 s9, s0
	s_delay_alu instid0(SALU_CYCLE_1)
	s_xor_b32 s0, exec_lo, s9
; %bb.2114:                             ;   in Loop: Header=BB458_1183 Depth=1
	v_bfe_u32 v5, v4, 16, 1
	s_delay_alu instid0(VALU_DEP_1)
	v_add3_u32 v180, v4, v5, 0x7fff
                                        ; implicit-def: $vgpr4
; %bb.2115:                             ;   in Loop: Header=BB458_1183 Depth=1
	s_and_not1_saveexec_b32 s9, s0
; %bb.2116:                             ;   in Loop: Header=BB458_1183 Depth=1
	v_and_b32_e32 v5, 0xffff, v4
	v_or_b32_e32 v6, 0x10000, v4
	s_delay_alu instid0(VALU_DEP_2) | instskip(NEXT) | instid1(VALU_DEP_1)
	v_cmp_eq_u32_e64 s0, 0, v5
	v_cndmask_b32_e64 v180, v6, v4, s0
; %bb.2117:                             ;   in Loop: Header=BB458_1183 Depth=1
	s_or_b32 exec_lo, exec_lo, s9
	v_lshlrev_b32_e32 v3, 16, v3
                                        ; implicit-def: $vgpr181
	s_delay_alu instid0(VALU_DEP_1) | instskip(NEXT) | instid1(VALU_DEP_1)
	v_mul_f32_e32 v3, v85, v3
	v_and_b32_e32 v4, 0x7f800000, v3
	s_delay_alu instid0(VALU_DEP_1) | instskip(NEXT) | instid1(VALU_DEP_1)
	v_cmp_ne_u32_e64 s0, 0x7f800000, v4
	s_and_saveexec_b32 s9, s0
	s_delay_alu instid0(SALU_CYCLE_1)
	s_xor_b32 s0, exec_lo, s9
; %bb.2118:                             ;   in Loop: Header=BB458_1183 Depth=1
	v_bfe_u32 v4, v3, 16, 1
	s_delay_alu instid0(VALU_DEP_1)
	v_add3_u32 v181, v3, v4, 0x7fff
                                        ; implicit-def: $vgpr3
; %bb.2119:                             ;   in Loop: Header=BB458_1183 Depth=1
	s_and_not1_saveexec_b32 s9, s0
; %bb.2120:                             ;   in Loop: Header=BB458_1183 Depth=1
	v_and_b32_e32 v4, 0xffff, v3
	v_or_b32_e32 v5, 0x10000, v3
	s_delay_alu instid0(VALU_DEP_2) | instskip(NEXT) | instid1(VALU_DEP_1)
	v_cmp_eq_u32_e64 s0, 0, v4
	v_cndmask_b32_e64 v181, v5, v3, s0
; %bb.2121:                             ;   in Loop: Header=BB458_1183 Depth=1
	s_or_b32 exec_lo, exec_lo, s9
	v_lshlrev_b32_e32 v2, 16, v2
                                        ; implicit-def: $vgpr182
	s_delay_alu instid0(VALU_DEP_1) | instskip(NEXT) | instid1(VALU_DEP_1)
	v_mul_f32_e32 v2, v86, v2
	v_and_b32_e32 v3, 0x7f800000, v2
	s_delay_alu instid0(VALU_DEP_1) | instskip(NEXT) | instid1(VALU_DEP_1)
	v_cmp_ne_u32_e64 s0, 0x7f800000, v3
	s_and_saveexec_b32 s9, s0
	s_delay_alu instid0(SALU_CYCLE_1)
	s_xor_b32 s0, exec_lo, s9
; %bb.2122:                             ;   in Loop: Header=BB458_1183 Depth=1
	v_bfe_u32 v3, v2, 16, 1
	s_delay_alu instid0(VALU_DEP_1)
	v_add3_u32 v182, v2, v3, 0x7fff
                                        ; implicit-def: $vgpr2
; %bb.2123:                             ;   in Loop: Header=BB458_1183 Depth=1
	s_and_not1_saveexec_b32 s9, s0
; %bb.2124:                             ;   in Loop: Header=BB458_1183 Depth=1
	v_and_b32_e32 v3, 0xffff, v2
	v_or_b32_e32 v4, 0x10000, v2
	s_delay_alu instid0(VALU_DEP_2) | instskip(NEXT) | instid1(VALU_DEP_1)
	v_cmp_eq_u32_e64 s0, 0, v3
	v_cndmask_b32_e64 v182, v4, v2, s0
; %bb.2125:                             ;   in Loop: Header=BB458_1183 Depth=1
	s_or_b32 exec_lo, exec_lo, s9
	flat_load_b64 v[2:3], v[0:1] offset:1792
	s_mov_b32 s9, exec_lo
	s_waitcnt vmcnt(0) lgkmcnt(0)
	v_dual_mov_b32 v4, 0 :: v_dual_and_b32 v5, 0xff, v2
	s_delay_alu instid0(VALU_DEP_1)
	v_cmpx_ne_u16_e32 0, v5
	s_cbranch_execz .LBB458_2133
; %bb.2126:                             ;   in Loop: Header=BB458_1183 Depth=1
	v_bfrev_b32_e32 v4, 1
	s_mov_b32 s12, exec_lo
	v_cmpx_ne_u16_e32 0x80, v5
	s_cbranch_execz .LBB458_2132
; %bb.2127:                             ;   in Loop: Header=BB458_1183 Depth=1
	v_and_b32_e32 v5, 0x7f, v2
	v_mov_b32_e32 v4, 0x7f800001
	s_mov_b32 s13, exec_lo
	s_delay_alu instid0(VALU_DEP_2)
	v_cmpx_ne_u32_e32 0x7f, v5
	s_cbranch_execz .LBB458_2131
; %bb.2128:                             ;   in Loop: Header=BB458_1183 Depth=1
	v_lshrrev_b32_e32 v4, 3, v5
	v_dual_mov_b32 v7, v3 :: v_dual_mov_b32 v6, v2
	s_mov_b32 s15, exec_lo
	v_cmpx_gt_u32_e32 8, v5
; %bb.2129:                             ;   in Loop: Header=BB458_1183 Depth=1
	v_and_b32_e32 v4, 7, v2
	s_delay_alu instid0(VALU_DEP_1) | instskip(NEXT) | instid1(VALU_DEP_1)
	v_clz_i32_u32_e32 v4, v4
	v_min_u32_e32 v4, 32, v4
	s_delay_alu instid0(VALU_DEP_1) | instskip(SKIP_1) | instid1(VALU_DEP_2)
	v_subrev_nc_u32_e32 v5, 28, v4
	v_sub_nc_u32_e32 v4, 29, v4
	v_lshlrev_b64 v[6:7], v5, v[2:3]
; %bb.2130:                             ;   in Loop: Header=BB458_1183 Depth=1
	s_or_b32 exec_lo, exec_lo, s15
	s_delay_alu instid0(VALU_DEP_1) | instskip(SKIP_2) | instid1(VALU_DEP_3)
	v_lshlrev_b32_e32 v5, 20, v6
	v_lshlrev_b32_e32 v6, 24, v2
	v_lshl_add_u32 v4, v4, 23, 0x3c000000
	v_and_b32_e32 v5, 0x700000, v5
	s_delay_alu instid0(VALU_DEP_3) | instskip(NEXT) | instid1(VALU_DEP_1)
	v_and_b32_e32 v6, 0x80000000, v6
	v_or3_b32 v4, v5, v6, v4
.LBB458_2131:                           ;   in Loop: Header=BB458_1183 Depth=1
	s_or_b32 exec_lo, exec_lo, s13
.LBB458_2132:                           ;   in Loop: Header=BB458_1183 Depth=1
	s_delay_alu instid0(SALU_CYCLE_1)
	s_or_b32 exec_lo, exec_lo, s12
.LBB458_2133:                           ;   in Loop: Header=BB458_1183 Depth=1
	s_delay_alu instid0(SALU_CYCLE_1) | instskip(NEXT) | instid1(VALU_DEP_1)
	s_or_b32 exec_lo, exec_lo, s9
	v_mul_f32_e32 v5, v26, v4
	s_delay_alu instid0(VALU_DEP_1) | instskip(NEXT) | instid1(VALU_DEP_1)
	v_and_b32_e32 v4, 0x7f800000, v5
	v_cmp_ne_u32_e64 s0, 0x7f800000, v4
                                        ; implicit-def: $vgpr4
	s_delay_alu instid0(VALU_DEP_1) | instskip(NEXT) | instid1(SALU_CYCLE_1)
	s_and_saveexec_b32 s9, s0
	s_xor_b32 s0, exec_lo, s9
; %bb.2134:                             ;   in Loop: Header=BB458_1183 Depth=1
	v_bfe_u32 v4, v5, 16, 1
	s_delay_alu instid0(VALU_DEP_1)
	v_add3_u32 v4, v5, v4, 0x7fff
                                        ; implicit-def: $vgpr5
; %bb.2135:                             ;   in Loop: Header=BB458_1183 Depth=1
	s_and_not1_saveexec_b32 s9, s0
; %bb.2136:                             ;   in Loop: Header=BB458_1183 Depth=1
	v_and_b32_e32 v4, 0xffff, v5
	v_or_b32_e32 v6, 0x10000, v5
	s_delay_alu instid0(VALU_DEP_2) | instskip(NEXT) | instid1(VALU_DEP_1)
	v_cmp_eq_u32_e64 s0, 0, v4
	v_cndmask_b32_e64 v4, v6, v5, s0
; %bb.2137:                             ;   in Loop: Header=BB458_1183 Depth=1
	s_or_b32 exec_lo, exec_lo, s9
	v_lshrrev_b16 v6, 8, v2
	v_mov_b32_e32 v5, 0
	s_mov_b32 s9, exec_lo
	s_delay_alu instid0(VALU_DEP_2)
	v_cmpx_ne_u16_e32 0, v6
	s_cbranch_execz .LBB458_2145
; %bb.2138:                             ;   in Loop: Header=BB458_1183 Depth=1
	v_bfrev_b32_e32 v5, 1
	s_mov_b32 s12, exec_lo
	v_cmpx_ne_u16_e32 0x80, v6
	s_cbranch_execz .LBB458_2144
; %bb.2139:                             ;   in Loop: Header=BB458_1183 Depth=1
	v_and_b32_e32 v7, 0xffff, v6
	v_mov_b32_e32 v5, 0x7f800001
	s_mov_b32 s13, exec_lo
	s_delay_alu instid0(VALU_DEP_2) | instskip(NEXT) | instid1(VALU_DEP_1)
	v_and_b32_e32 v6, 0x7f, v7
	v_cmpx_ne_u32_e32 0x7f, v6
	s_cbranch_execz .LBB458_2143
; %bb.2140:                             ;   in Loop: Header=BB458_1183 Depth=1
	v_and_b32_e32 v9, 7, v7
	v_lshrrev_b32_e32 v5, 3, v6
	v_cmp_gt_u32_e64 s0, 8, v6
	s_delay_alu instid0(VALU_DEP_3) | instskip(NEXT) | instid1(VALU_DEP_2)
	v_dual_mov_b32 v6, v9 :: v_dual_mov_b32 v7, v10
	s_and_saveexec_b32 s15, s0
; %bb.2141:                             ;   in Loop: Header=BB458_1183 Depth=1
	v_clz_i32_u32_e32 v5, v9
	s_delay_alu instid0(VALU_DEP_1) | instskip(NEXT) | instid1(VALU_DEP_1)
	v_min_u32_e32 v5, 32, v5
	v_subrev_nc_u32_e32 v6, 28, v5
	v_sub_nc_u32_e32 v5, 29, v5
	s_delay_alu instid0(VALU_DEP_2) | instskip(NEXT) | instid1(VALU_DEP_1)
	v_lshlrev_b64 v[6:7], v6, v[9:10]
	v_and_b32_e32 v6, 7, v6
; %bb.2142:                             ;   in Loop: Header=BB458_1183 Depth=1
	s_or_b32 exec_lo, exec_lo, s15
	v_lshlrev_b32_e32 v7, 16, v2
	s_delay_alu instid0(VALU_DEP_2) | instskip(SKIP_1) | instid1(VALU_DEP_3)
	v_lshlrev_b32_e32 v6, 20, v6
	v_lshl_add_u32 v5, v5, 23, 0x3c000000
	v_and_b32_e32 v7, 0x80000000, v7
	s_delay_alu instid0(VALU_DEP_1)
	v_or3_b32 v5, v6, v7, v5
.LBB458_2143:                           ;   in Loop: Header=BB458_1183 Depth=1
	s_or_b32 exec_lo, exec_lo, s13
.LBB458_2144:                           ;   in Loop: Header=BB458_1183 Depth=1
	s_delay_alu instid0(SALU_CYCLE_1)
	s_or_b32 exec_lo, exec_lo, s12
.LBB458_2145:                           ;   in Loop: Header=BB458_1183 Depth=1
	s_delay_alu instid0(SALU_CYCLE_1) | instskip(NEXT) | instid1(VALU_DEP_1)
	s_or_b32 exec_lo, exec_lo, s9
	v_mul_f32_e32 v6, v26, v5
	s_delay_alu instid0(VALU_DEP_1) | instskip(NEXT) | instid1(VALU_DEP_1)
	v_and_b32_e32 v5, 0x7f800000, v6
	v_cmp_ne_u32_e64 s0, 0x7f800000, v5
                                        ; implicit-def: $vgpr5
	s_delay_alu instid0(VALU_DEP_1) | instskip(NEXT) | instid1(SALU_CYCLE_1)
	s_and_saveexec_b32 s9, s0
	s_xor_b32 s0, exec_lo, s9
; %bb.2146:                             ;   in Loop: Header=BB458_1183 Depth=1
	v_bfe_u32 v5, v6, 16, 1
	s_delay_alu instid0(VALU_DEP_1)
	v_add3_u32 v5, v6, v5, 0x7fff
                                        ; implicit-def: $vgpr6
; %bb.2147:                             ;   in Loop: Header=BB458_1183 Depth=1
	s_and_not1_saveexec_b32 s9, s0
; %bb.2148:                             ;   in Loop: Header=BB458_1183 Depth=1
	v_and_b32_e32 v5, 0xffff, v6
	v_or_b32_e32 v7, 0x10000, v6
	s_delay_alu instid0(VALU_DEP_2) | instskip(NEXT) | instid1(VALU_DEP_1)
	v_cmp_eq_u32_e64 s0, 0, v5
	v_cndmask_b32_e64 v5, v7, v6, s0
; %bb.2149:                             ;   in Loop: Header=BB458_1183 Depth=1
	s_or_b32 exec_lo, exec_lo, s9
	v_lshrrev_b32_e32 v23, 16, v2
	s_mov_b32 s9, exec_lo
	s_delay_alu instid0(VALU_DEP_1) | instskip(NEXT) | instid1(VALU_DEP_1)
	v_dual_mov_b32 v6, 0 :: v_dual_and_b32 v7, 0xff, v23
	v_cmpx_ne_u16_e32 0, v7
	s_cbranch_execz .LBB458_2157
; %bb.2150:                             ;   in Loop: Header=BB458_1183 Depth=1
	v_bfrev_b32_e32 v6, 1
	s_mov_b32 s12, exec_lo
	v_cmpx_ne_u16_e32 0x80, v7
	s_cbranch_execz .LBB458_2156
; %bb.2151:                             ;   in Loop: Header=BB458_1183 Depth=1
	v_bfe_u32 v7, v2, 16, 7
	v_mov_b32_e32 v6, 0x7f800001
	s_mov_b32 s13, exec_lo
	s_delay_alu instid0(VALU_DEP_2)
	v_cmpx_ne_u32_e32 0x7f, v7
	s_cbranch_execz .LBB458_2155
; %bb.2152:                             ;   in Loop: Header=BB458_1183 Depth=1
	v_and_b32_e32 v9, 7, v23
	v_lshrrev_b32_e32 v34, 3, v7
	v_cmp_gt_u32_e64 s0, 8, v7
	s_delay_alu instid0(VALU_DEP_3) | instskip(NEXT) | instid1(VALU_DEP_2)
	v_dual_mov_b32 v6, v9 :: v_dual_mov_b32 v7, v10
	s_and_saveexec_b32 s15, s0
; %bb.2153:                             ;   in Loop: Header=BB458_1183 Depth=1
	v_clz_i32_u32_e32 v6, v9
	s_delay_alu instid0(VALU_DEP_1) | instskip(NEXT) | instid1(VALU_DEP_1)
	v_min_u32_e32 v34, 32, v6
	v_subrev_nc_u32_e32 v6, 28, v34
	v_sub_nc_u32_e32 v34, 29, v34
	s_delay_alu instid0(VALU_DEP_2) | instskip(NEXT) | instid1(VALU_DEP_1)
	v_lshlrev_b64 v[6:7], v6, v[9:10]
	v_and_b32_e32 v6, 7, v6
; %bb.2154:                             ;   in Loop: Header=BB458_1183 Depth=1
	s_or_b32 exec_lo, exec_lo, s15
	v_lshlrev_b32_e32 v7, 24, v23
	s_delay_alu instid0(VALU_DEP_2) | instskip(SKIP_1) | instid1(VALU_DEP_3)
	v_lshlrev_b32_e32 v6, 20, v6
	v_lshl_add_u32 v9, v34, 23, 0x3c000000
	v_and_b32_e32 v7, 0x80000000, v7
	s_delay_alu instid0(VALU_DEP_1)
	v_or3_b32 v6, v6, v7, v9
.LBB458_2155:                           ;   in Loop: Header=BB458_1183 Depth=1
	s_or_b32 exec_lo, exec_lo, s13
.LBB458_2156:                           ;   in Loop: Header=BB458_1183 Depth=1
	s_delay_alu instid0(SALU_CYCLE_1)
	s_or_b32 exec_lo, exec_lo, s12
.LBB458_2157:                           ;   in Loop: Header=BB458_1183 Depth=1
	s_delay_alu instid0(SALU_CYCLE_1) | instskip(NEXT) | instid1(VALU_DEP_1)
	s_or_b32 exec_lo, exec_lo, s9
	v_mul_f32_e32 v6, v26, v6
                                        ; implicit-def: $vgpr23
	s_delay_alu instid0(VALU_DEP_1) | instskip(NEXT) | instid1(VALU_DEP_1)
	v_and_b32_e32 v7, 0x7f800000, v6
	v_cmp_ne_u32_e64 s0, 0x7f800000, v7
	s_delay_alu instid0(VALU_DEP_1) | instskip(NEXT) | instid1(SALU_CYCLE_1)
	s_and_saveexec_b32 s9, s0
	s_xor_b32 s0, exec_lo, s9
; %bb.2158:                             ;   in Loop: Header=BB458_1183 Depth=1
	v_bfe_u32 v7, v6, 16, 1
	s_delay_alu instid0(VALU_DEP_1)
	v_add3_u32 v23, v6, v7, 0x7fff
                                        ; implicit-def: $vgpr6
; %bb.2159:                             ;   in Loop: Header=BB458_1183 Depth=1
	s_and_not1_saveexec_b32 s9, s0
; %bb.2160:                             ;   in Loop: Header=BB458_1183 Depth=1
	v_and_b32_e32 v7, 0xffff, v6
	v_or_b32_e32 v9, 0x10000, v6
	s_delay_alu instid0(VALU_DEP_2) | instskip(NEXT) | instid1(VALU_DEP_1)
	v_cmp_eq_u32_e64 s0, 0, v7
	v_cndmask_b32_e64 v23, v9, v6, s0
; %bb.2161:                             ;   in Loop: Header=BB458_1183 Depth=1
	s_or_b32 exec_lo, exec_lo, s9
	v_mov_b32_e32 v6, 0
	s_mov_b32 s9, exec_lo
	v_cmpx_lt_u32_e32 0xffffff, v2
	s_cbranch_execz .LBB458_2169
; %bb.2162:                             ;   in Loop: Header=BB458_1183 Depth=1
	v_lshrrev_b32_e32 v34, 24, v2
	v_bfrev_b32_e32 v6, 1
	s_mov_b32 s12, exec_lo
	s_delay_alu instid0(VALU_DEP_2)
	v_cmpx_ne_u32_e32 0x80, v34
	s_cbranch_execz .LBB458_2168
; %bb.2163:                             ;   in Loop: Header=BB458_1183 Depth=1
	v_bfe_u32 v7, v2, 24, 7
	v_mov_b32_e32 v6, 0x7f800001
	s_mov_b32 s13, exec_lo
	s_delay_alu instid0(VALU_DEP_2)
	v_cmpx_ne_u32_e32 0x7f, v7
	s_cbranch_execz .LBB458_2167
; %bb.2164:                             ;   in Loop: Header=BB458_1183 Depth=1
	v_and_b32_e32 v9, 7, v34
	v_lshrrev_b32_e32 v36, 3, v7
	v_cmp_gt_u32_e64 s0, 8, v7
	s_delay_alu instid0(VALU_DEP_3) | instskip(NEXT) | instid1(VALU_DEP_2)
	v_dual_mov_b32 v6, v9 :: v_dual_mov_b32 v7, v10
	s_and_saveexec_b32 s15, s0
; %bb.2165:                             ;   in Loop: Header=BB458_1183 Depth=1
	v_clz_i32_u32_e32 v6, v9
	s_delay_alu instid0(VALU_DEP_1) | instskip(NEXT) | instid1(VALU_DEP_1)
	v_min_u32_e32 v36, 32, v6
	v_subrev_nc_u32_e32 v6, 28, v36
	v_sub_nc_u32_e32 v36, 29, v36
	s_delay_alu instid0(VALU_DEP_2) | instskip(NEXT) | instid1(VALU_DEP_1)
	v_lshlrev_b64 v[6:7], v6, v[9:10]
	v_and_b32_e32 v6, 7, v6
; %bb.2166:                             ;   in Loop: Header=BB458_1183 Depth=1
	s_or_b32 exec_lo, exec_lo, s15
	v_lshlrev_b32_e32 v7, 24, v34
	s_delay_alu instid0(VALU_DEP_2) | instskip(SKIP_1) | instid1(VALU_DEP_3)
	v_lshlrev_b32_e32 v6, 20, v6
	v_lshl_add_u32 v9, v36, 23, 0x3c000000
	v_and_b32_e32 v7, 0x80000000, v7
	s_delay_alu instid0(VALU_DEP_1)
	v_or3_b32 v6, v6, v7, v9
.LBB458_2167:                           ;   in Loop: Header=BB458_1183 Depth=1
	s_or_b32 exec_lo, exec_lo, s13
.LBB458_2168:                           ;   in Loop: Header=BB458_1183 Depth=1
	s_delay_alu instid0(SALU_CYCLE_1)
	s_or_b32 exec_lo, exec_lo, s12
.LBB458_2169:                           ;   in Loop: Header=BB458_1183 Depth=1
	s_delay_alu instid0(SALU_CYCLE_1) | instskip(NEXT) | instid1(VALU_DEP_1)
	s_or_b32 exec_lo, exec_lo, s9
	v_mul_f32_e32 v6, v26, v6
                                        ; implicit-def: $vgpr34
	s_delay_alu instid0(VALU_DEP_1) | instskip(NEXT) | instid1(VALU_DEP_1)
	v_and_b32_e32 v7, 0x7f800000, v6
	v_cmp_ne_u32_e64 s0, 0x7f800000, v7
	s_delay_alu instid0(VALU_DEP_1) | instskip(NEXT) | instid1(SALU_CYCLE_1)
	s_and_saveexec_b32 s9, s0
	s_xor_b32 s0, exec_lo, s9
; %bb.2170:                             ;   in Loop: Header=BB458_1183 Depth=1
	v_bfe_u32 v7, v6, 16, 1
	s_delay_alu instid0(VALU_DEP_1)
	v_add3_u32 v34, v6, v7, 0x7fff
                                        ; implicit-def: $vgpr6
; %bb.2171:                             ;   in Loop: Header=BB458_1183 Depth=1
	s_and_not1_saveexec_b32 s9, s0
; %bb.2172:                             ;   in Loop: Header=BB458_1183 Depth=1
	v_and_b32_e32 v7, 0xffff, v6
	v_or_b32_e32 v9, 0x10000, v6
	s_delay_alu instid0(VALU_DEP_2) | instskip(NEXT) | instid1(VALU_DEP_1)
	v_cmp_eq_u32_e64 s0, 0, v7
	v_cndmask_b32_e64 v34, v9, v6, s0
; %bb.2173:                             ;   in Loop: Header=BB458_1183 Depth=1
	s_or_b32 exec_lo, exec_lo, s9
	v_dual_mov_b32 v6, 0 :: v_dual_and_b32 v7, 0xff, v3
	v_mov_b32_e32 v9, v3
	s_mov_b32 s9, exec_lo
	s_delay_alu instid0(VALU_DEP_2)
	v_cmpx_ne_u16_e32 0, v7
	s_cbranch_execz .LBB458_2181
; %bb.2174:                             ;   in Loop: Header=BB458_1183 Depth=1
	v_bfrev_b32_e32 v6, 1
	s_mov_b32 s12, exec_lo
	v_cmpx_ne_u16_e32 0x80, v7
	s_cbranch_execz .LBB458_2180
; %bb.2175:                             ;   in Loop: Header=BB458_1183 Depth=1
	v_and_b32_e32 v7, 0x7f, v3
	v_mov_b32_e32 v6, 0x7f800001
	s_mov_b32 s13, exec_lo
	s_delay_alu instid0(VALU_DEP_2)
	v_cmpx_ne_u32_e32 0x7f, v7
	s_cbranch_execz .LBB458_2179
; %bb.2176:                             ;   in Loop: Header=BB458_1183 Depth=1
	v_lshrrev_b32_e32 v36, 3, v7
	v_cmp_gt_u32_e64 s0, 8, v7
	v_dual_mov_b32 v6, v9 :: v_dual_mov_b32 v7, v10
	s_delay_alu instid0(VALU_DEP_2)
	s_and_saveexec_b32 s15, s0
; %bb.2177:                             ;   in Loop: Header=BB458_1183 Depth=1
	v_and_b32_e32 v6, 7, v3
	s_delay_alu instid0(VALU_DEP_1) | instskip(NEXT) | instid1(VALU_DEP_1)
	v_clz_i32_u32_e32 v6, v6
	v_min_u32_e32 v36, 32, v6
	s_delay_alu instid0(VALU_DEP_1) | instskip(SKIP_1) | instid1(VALU_DEP_2)
	v_subrev_nc_u32_e32 v6, 28, v36
	v_sub_nc_u32_e32 v36, 29, v36
	v_lshlrev_b64 v[6:7], v6, v[9:10]
; %bb.2178:                             ;   in Loop: Header=BB458_1183 Depth=1
	s_or_b32 exec_lo, exec_lo, s15
	s_delay_alu instid0(VALU_DEP_1) | instskip(SKIP_2) | instid1(VALU_DEP_3)
	v_lshlrev_b32_e32 v6, 20, v6
	v_lshlrev_b32_e32 v7, 24, v9
	v_lshl_add_u32 v36, v36, 23, 0x3c000000
	v_and_b32_e32 v6, 0x700000, v6
	s_delay_alu instid0(VALU_DEP_3) | instskip(NEXT) | instid1(VALU_DEP_1)
	v_and_b32_e32 v7, 0x80000000, v7
	v_or3_b32 v6, v6, v7, v36
.LBB458_2179:                           ;   in Loop: Header=BB458_1183 Depth=1
	s_or_b32 exec_lo, exec_lo, s13
.LBB458_2180:                           ;   in Loop: Header=BB458_1183 Depth=1
	s_delay_alu instid0(SALU_CYCLE_1)
	s_or_b32 exec_lo, exec_lo, s12
.LBB458_2181:                           ;   in Loop: Header=BB458_1183 Depth=1
	s_delay_alu instid0(SALU_CYCLE_1) | instskip(NEXT) | instid1(VALU_DEP_1)
	s_or_b32 exec_lo, exec_lo, s9
	v_mul_f32_e32 v6, v26, v6
                                        ; implicit-def: $vgpr36
	s_delay_alu instid0(VALU_DEP_1) | instskip(NEXT) | instid1(VALU_DEP_1)
	v_and_b32_e32 v7, 0x7f800000, v6
	v_cmp_ne_u32_e64 s0, 0x7f800000, v7
	s_delay_alu instid0(VALU_DEP_1) | instskip(NEXT) | instid1(SALU_CYCLE_1)
	s_and_saveexec_b32 s9, s0
	s_xor_b32 s0, exec_lo, s9
; %bb.2182:                             ;   in Loop: Header=BB458_1183 Depth=1
	v_bfe_u32 v7, v6, 16, 1
	s_delay_alu instid0(VALU_DEP_1)
	v_add3_u32 v36, v6, v7, 0x7fff
                                        ; implicit-def: $vgpr6
; %bb.2183:                             ;   in Loop: Header=BB458_1183 Depth=1
	s_and_not1_saveexec_b32 s9, s0
; %bb.2184:                             ;   in Loop: Header=BB458_1183 Depth=1
	v_and_b32_e32 v7, 0xffff, v6
	v_or_b32_e32 v36, 0x10000, v6
	s_delay_alu instid0(VALU_DEP_2) | instskip(NEXT) | instid1(VALU_DEP_1)
	v_cmp_eq_u32_e64 s0, 0, v7
	v_cndmask_b32_e64 v36, v36, v6, s0
; %bb.2185:                             ;   in Loop: Header=BB458_1183 Depth=1
	s_or_b32 exec_lo, exec_lo, s9
	v_lshrrev_b16 v7, 8, v9
	v_mov_b32_e32 v6, 0
	s_mov_b32 s9, exec_lo
	s_delay_alu instid0(VALU_DEP_2)
	v_cmpx_ne_u16_e32 0, v7
	s_cbranch_execz .LBB458_2193
; %bb.2186:                             ;   in Loop: Header=BB458_1183 Depth=1
	v_bfrev_b32_e32 v6, 1
	s_mov_b32 s12, exec_lo
	v_cmpx_ne_u16_e32 0x80, v7
	s_cbranch_execz .LBB458_2192
; %bb.2187:                             ;   in Loop: Header=BB458_1183 Depth=1
	v_and_b32_e32 v7, 0xffff, v7
	v_mov_b32_e32 v6, 0x7f800001
	s_mov_b32 s13, exec_lo
	s_delay_alu instid0(VALU_DEP_2) | instskip(NEXT) | instid1(VALU_DEP_1)
	v_and_b32_e32 v40, 0x7f, v7
	v_cmpx_ne_u32_e32 0x7f, v40
	s_cbranch_execz .LBB458_2191
; %bb.2188:                             ;   in Loop: Header=BB458_1183 Depth=1
	v_dual_mov_b32 v7, v10 :: v_dual_and_b32 v6, 7, v7
	v_lshrrev_b32_e32 v183, 3, v40
	s_mov_b32 s15, exec_lo
	v_cmpx_gt_u32_e32 8, v40
; %bb.2189:                             ;   in Loop: Header=BB458_1183 Depth=1
	s_delay_alu instid0(VALU_DEP_3) | instskip(NEXT) | instid1(VALU_DEP_1)
	v_clz_i32_u32_e32 v183, v6
	v_min_u32_e32 v183, 32, v183
	s_delay_alu instid0(VALU_DEP_1) | instskip(SKIP_1) | instid1(VALU_DEP_2)
	v_subrev_nc_u32_e32 v40, 28, v183
	v_sub_nc_u32_e32 v183, 29, v183
	v_lshlrev_b64 v[6:7], v40, v[6:7]
	s_delay_alu instid0(VALU_DEP_1)
	v_and_b32_e32 v6, 7, v6
; %bb.2190:                             ;   in Loop: Header=BB458_1183 Depth=1
	s_or_b32 exec_lo, exec_lo, s15
	v_lshlrev_b32_e32 v7, 16, v9
	s_delay_alu instid0(VALU_DEP_2) | instskip(SKIP_1) | instid1(VALU_DEP_3)
	v_lshlrev_b32_e32 v6, 20, v6
	v_lshl_add_u32 v9, v183, 23, 0x3c000000
	v_and_b32_e32 v7, 0x80000000, v7
	s_delay_alu instid0(VALU_DEP_1)
	v_or3_b32 v6, v6, v7, v9
.LBB458_2191:                           ;   in Loop: Header=BB458_1183 Depth=1
	s_or_b32 exec_lo, exec_lo, s13
.LBB458_2192:                           ;   in Loop: Header=BB458_1183 Depth=1
	s_delay_alu instid0(SALU_CYCLE_1)
	s_or_b32 exec_lo, exec_lo, s12
.LBB458_2193:                           ;   in Loop: Header=BB458_1183 Depth=1
	s_delay_alu instid0(SALU_CYCLE_1) | instskip(NEXT) | instid1(VALU_DEP_1)
	s_or_b32 exec_lo, exec_lo, s9
	v_mul_f32_e32 v6, v26, v6
                                        ; implicit-def: $vgpr183
	s_delay_alu instid0(VALU_DEP_1) | instskip(NEXT) | instid1(VALU_DEP_1)
	v_and_b32_e32 v7, 0x7f800000, v6
	v_cmp_ne_u32_e64 s0, 0x7f800000, v7
	s_delay_alu instid0(VALU_DEP_1) | instskip(NEXT) | instid1(SALU_CYCLE_1)
	s_and_saveexec_b32 s9, s0
	s_xor_b32 s0, exec_lo, s9
; %bb.2194:                             ;   in Loop: Header=BB458_1183 Depth=1
	v_bfe_u32 v7, v6, 16, 1
	s_delay_alu instid0(VALU_DEP_1)
	v_add3_u32 v183, v6, v7, 0x7fff
                                        ; implicit-def: $vgpr6
; %bb.2195:                             ;   in Loop: Header=BB458_1183 Depth=1
	s_and_not1_saveexec_b32 s9, s0
; %bb.2196:                             ;   in Loop: Header=BB458_1183 Depth=1
	v_and_b32_e32 v7, 0xffff, v6
	v_or_b32_e32 v9, 0x10000, v6
	s_delay_alu instid0(VALU_DEP_2) | instskip(NEXT) | instid1(VALU_DEP_1)
	v_cmp_eq_u32_e64 s0, 0, v7
	v_cndmask_b32_e64 v183, v9, v6, s0
; %bb.2197:                             ;   in Loop: Header=BB458_1183 Depth=1
	s_or_b32 exec_lo, exec_lo, s9
	v_lshrrev_b32_e32 v40, 16, v3
	s_mov_b32 s9, exec_lo
	s_delay_alu instid0(VALU_DEP_1) | instskip(NEXT) | instid1(VALU_DEP_1)
	v_dual_mov_b32 v6, 0 :: v_dual_and_b32 v7, 0xff, v40
	v_cmpx_ne_u16_e32 0, v7
	s_cbranch_execz .LBB458_2205
; %bb.2198:                             ;   in Loop: Header=BB458_1183 Depth=1
	v_bfrev_b32_e32 v6, 1
	s_mov_b32 s12, exec_lo
	v_cmpx_ne_u16_e32 0x80, v7
	s_cbranch_execz .LBB458_2204
; %bb.2199:                             ;   in Loop: Header=BB458_1183 Depth=1
	v_bfe_u32 v7, v3, 16, 7
	v_mov_b32_e32 v6, 0x7f800001
	s_mov_b32 s13, exec_lo
	s_delay_alu instid0(VALU_DEP_2)
	v_cmpx_ne_u32_e32 0x7f, v7
	s_cbranch_execz .LBB458_2203
; %bb.2200:                             ;   in Loop: Header=BB458_1183 Depth=1
	v_and_b32_e32 v9, 7, v40
	v_lshrrev_b32_e32 v41, 3, v7
	v_cmp_gt_u32_e64 s0, 8, v7
	s_delay_alu instid0(VALU_DEP_3) | instskip(NEXT) | instid1(VALU_DEP_2)
	v_dual_mov_b32 v6, v9 :: v_dual_mov_b32 v7, v10
	s_and_saveexec_b32 s15, s0
; %bb.2201:                             ;   in Loop: Header=BB458_1183 Depth=1
	v_clz_i32_u32_e32 v6, v9
	s_delay_alu instid0(VALU_DEP_1) | instskip(NEXT) | instid1(VALU_DEP_1)
	v_min_u32_e32 v41, 32, v6
	v_subrev_nc_u32_e32 v6, 28, v41
	v_sub_nc_u32_e32 v41, 29, v41
	s_delay_alu instid0(VALU_DEP_2) | instskip(NEXT) | instid1(VALU_DEP_1)
	v_lshlrev_b64 v[6:7], v6, v[9:10]
	v_and_b32_e32 v6, 7, v6
; %bb.2202:                             ;   in Loop: Header=BB458_1183 Depth=1
	s_or_b32 exec_lo, exec_lo, s15
	v_lshlrev_b32_e32 v7, 24, v40
	s_delay_alu instid0(VALU_DEP_2) | instskip(SKIP_1) | instid1(VALU_DEP_3)
	v_lshlrev_b32_e32 v6, 20, v6
	v_lshl_add_u32 v9, v41, 23, 0x3c000000
	v_and_b32_e32 v7, 0x80000000, v7
	s_delay_alu instid0(VALU_DEP_1)
	v_or3_b32 v6, v6, v7, v9
.LBB458_2203:                           ;   in Loop: Header=BB458_1183 Depth=1
	s_or_b32 exec_lo, exec_lo, s13
.LBB458_2204:                           ;   in Loop: Header=BB458_1183 Depth=1
	s_delay_alu instid0(SALU_CYCLE_1)
	s_or_b32 exec_lo, exec_lo, s12
.LBB458_2205:                           ;   in Loop: Header=BB458_1183 Depth=1
	s_delay_alu instid0(SALU_CYCLE_1) | instskip(NEXT) | instid1(VALU_DEP_1)
	s_or_b32 exec_lo, exec_lo, s9
	v_mul_f32_e32 v6, v26, v6
                                        ; implicit-def: $vgpr40
	s_delay_alu instid0(VALU_DEP_1) | instskip(NEXT) | instid1(VALU_DEP_1)
	v_and_b32_e32 v7, 0x7f800000, v6
	v_cmp_ne_u32_e64 s0, 0x7f800000, v7
	s_delay_alu instid0(VALU_DEP_1) | instskip(NEXT) | instid1(SALU_CYCLE_1)
	s_and_saveexec_b32 s9, s0
	s_xor_b32 s0, exec_lo, s9
; %bb.2206:                             ;   in Loop: Header=BB458_1183 Depth=1
	v_bfe_u32 v7, v6, 16, 1
	s_delay_alu instid0(VALU_DEP_1)
	v_add3_u32 v40, v6, v7, 0x7fff
                                        ; implicit-def: $vgpr6
; %bb.2207:                             ;   in Loop: Header=BB458_1183 Depth=1
	s_and_not1_saveexec_b32 s9, s0
; %bb.2208:                             ;   in Loop: Header=BB458_1183 Depth=1
	v_and_b32_e32 v7, 0xffff, v6
	v_or_b32_e32 v9, 0x10000, v6
	s_delay_alu instid0(VALU_DEP_2) | instskip(NEXT) | instid1(VALU_DEP_1)
	v_cmp_eq_u32_e64 s0, 0, v7
	v_cndmask_b32_e64 v40, v9, v6, s0
; %bb.2209:                             ;   in Loop: Header=BB458_1183 Depth=1
	s_or_b32 exec_lo, exec_lo, s9
	v_cmp_lt_u64_e64 s0, s[2:3], v[2:3]
	v_mov_b32_e32 v2, 0
	s_delay_alu instid0(VALU_DEP_2)
	s_and_saveexec_b32 s9, s0
	s_cbranch_execz .LBB458_2217
; %bb.2210:                             ;   in Loop: Header=BB458_1183 Depth=1
	v_lshrrev_b32_e32 v6, 24, v3
	v_bfrev_b32_e32 v2, 1
	s_mov_b32 s12, exec_lo
	s_delay_alu instid0(VALU_DEP_2)
	v_cmpx_ne_u32_e32 0x80, v6
	s_cbranch_execz .LBB458_2216
; %bb.2211:                             ;   in Loop: Header=BB458_1183 Depth=1
	v_bfe_u32 v3, v3, 24, 7
	v_mov_b32_e32 v2, 0x7f800001
	s_mov_b32 s13, exec_lo
	s_delay_alu instid0(VALU_DEP_2)
	v_cmpx_ne_u32_e32 0x7f, v3
	s_cbranch_execz .LBB458_2215
; %bb.2212:                             ;   in Loop: Header=BB458_1183 Depth=1
	v_and_b32_e32 v9, 7, v6
	v_lshrrev_b32_e32 v7, 3, v3
	v_cmp_gt_u32_e64 s0, 8, v3
	s_delay_alu instid0(VALU_DEP_3) | instskip(NEXT) | instid1(VALU_DEP_2)
	v_dual_mov_b32 v2, v9 :: v_dual_mov_b32 v3, v10
	s_and_saveexec_b32 s15, s0
; %bb.2213:                             ;   in Loop: Header=BB458_1183 Depth=1
	v_clz_i32_u32_e32 v2, v9
	s_delay_alu instid0(VALU_DEP_1) | instskip(NEXT) | instid1(VALU_DEP_1)
	v_min_u32_e32 v7, 32, v2
	v_subrev_nc_u32_e32 v2, 28, v7
	v_sub_nc_u32_e32 v7, 29, v7
	s_delay_alu instid0(VALU_DEP_2) | instskip(NEXT) | instid1(VALU_DEP_1)
	v_lshlrev_b64 v[2:3], v2, v[9:10]
	v_and_b32_e32 v2, 7, v2
; %bb.2214:                             ;   in Loop: Header=BB458_1183 Depth=1
	s_or_b32 exec_lo, exec_lo, s15
	v_lshlrev_b32_e32 v3, 24, v6
	s_delay_alu instid0(VALU_DEP_2) | instskip(SKIP_1) | instid1(VALU_DEP_3)
	v_lshlrev_b32_e32 v2, 20, v2
	v_lshl_add_u32 v6, v7, 23, 0x3c000000
	v_and_b32_e32 v3, 0x80000000, v3
	s_delay_alu instid0(VALU_DEP_1)
	v_or3_b32 v2, v2, v3, v6
.LBB458_2215:                           ;   in Loop: Header=BB458_1183 Depth=1
	s_or_b32 exec_lo, exec_lo, s13
.LBB458_2216:                           ;   in Loop: Header=BB458_1183 Depth=1
	s_delay_alu instid0(SALU_CYCLE_1)
	s_or_b32 exec_lo, exec_lo, s12
.LBB458_2217:                           ;   in Loop: Header=BB458_1183 Depth=1
	s_delay_alu instid0(SALU_CYCLE_1) | instskip(NEXT) | instid1(VALU_DEP_1)
	s_or_b32 exec_lo, exec_lo, s9
	v_mul_f32_e32 v3, v26, v2
	s_delay_alu instid0(VALU_DEP_1) | instskip(NEXT) | instid1(VALU_DEP_1)
	v_and_b32_e32 v2, 0x7f800000, v3
	v_cmp_ne_u32_e64 s0, 0x7f800000, v2
                                        ; implicit-def: $vgpr2
	s_delay_alu instid0(VALU_DEP_1) | instskip(NEXT) | instid1(SALU_CYCLE_1)
	s_and_saveexec_b32 s9, s0
	s_xor_b32 s0, exec_lo, s9
; %bb.2218:                             ;   in Loop: Header=BB458_1183 Depth=1
	v_bfe_u32 v2, v3, 16, 1
	s_delay_alu instid0(VALU_DEP_1)
	v_add3_u32 v2, v3, v2, 0x7fff
                                        ; implicit-def: $vgpr3
; %bb.2219:                             ;   in Loop: Header=BB458_1183 Depth=1
	s_and_not1_saveexec_b32 s9, s0
; %bb.2220:                             ;   in Loop: Header=BB458_1183 Depth=1
	v_and_b32_e32 v2, 0xffff, v3
	v_or_b32_e32 v6, 0x10000, v3
	s_delay_alu instid0(VALU_DEP_2) | instskip(NEXT) | instid1(VALU_DEP_1)
	v_cmp_eq_u32_e64 s0, 0, v2
	v_cndmask_b32_e64 v2, v6, v3, s0
; %bb.2221:                             ;   in Loop: Header=BB458_1183 Depth=1
	s_or_b32 exec_lo, exec_lo, s9
	v_lshrrev_b32_e32 v6, 16, v183
	v_lshrrev_b32_e32 v7, 16, v36
	;; [unrolled: 1-line block ×8, first 2 shown]
	s_and_saveexec_b32 s9, vcc_lo
	s_cbranch_execz .LBB458_2223
; %bb.2222:                             ;   in Loop: Header=BB458_1183 Depth=1
	v_cmp_lt_i32_e64 s0, v64, v35
	s_delay_alu instid0(VALU_DEP_1) | instskip(SKIP_1) | instid1(VALU_DEP_1)
	v_cndmask_b32_e64 v4, 0, v4, s0
	v_cmp_lt_i32_e64 s0, v70, v35
	v_cndmask_b32_e64 v5, 0, v5, s0
	v_cmp_lt_i32_e64 s0, v69, v35
	s_delay_alu instid0(VALU_DEP_1) | instskip(SKIP_1) | instid1(VALU_DEP_1)
	v_cndmask_b32_e64 v23, 0, v23, s0
	v_cmp_lt_i32_e64 s0, v68, v35
	v_cndmask_b32_e64 v9, 0, v9, s0
	;; [unrolled: 5-line block ×4, first 2 shown]
.LBB458_2223:                           ;   in Loop: Header=BB458_1183 Depth=1
	s_or_b32 exec_lo, exec_lo, s9
	v_lshlrev_b32_e32 v4, 16, v4
	s_delay_alu instid0(VALU_DEP_1) | instskip(NEXT) | instid1(VALU_DEP_1)
	v_mul_f32_e32 v34, v71, v4
	v_and_b32_e32 v4, 0x7f800000, v34
	s_delay_alu instid0(VALU_DEP_1) | instskip(NEXT) | instid1(VALU_DEP_1)
	v_cmp_ne_u32_e64 s0, 0x7f800000, v4
                                        ; implicit-def: $vgpr4
	s_and_saveexec_b32 s9, s0
	s_delay_alu instid0(SALU_CYCLE_1)
	s_xor_b32 s0, exec_lo, s9
; %bb.2224:                             ;   in Loop: Header=BB458_1183 Depth=1
	v_bfe_u32 v4, v34, 16, 1
	s_delay_alu instid0(VALU_DEP_1)
	v_add3_u32 v4, v34, v4, 0x7fff
                                        ; implicit-def: $vgpr34
; %bb.2225:                             ;   in Loop: Header=BB458_1183 Depth=1
	s_and_not1_saveexec_b32 s9, s0
; %bb.2226:                             ;   in Loop: Header=BB458_1183 Depth=1
	v_and_b32_e32 v4, 0xffff, v34
	v_or_b32_e32 v36, 0x10000, v34
	s_delay_alu instid0(VALU_DEP_2) | instskip(NEXT) | instid1(VALU_DEP_1)
	v_cmp_eq_u32_e64 s0, 0, v4
	v_cndmask_b32_e64 v4, v36, v34, s0
; %bb.2227:                             ;   in Loop: Header=BB458_1183 Depth=1
	s_or_b32 exec_lo, exec_lo, s9
	v_lshlrev_b32_e32 v5, 16, v5
	s_delay_alu instid0(VALU_DEP_1) | instskip(NEXT) | instid1(VALU_DEP_1)
	v_mul_f32_e32 v34, v80, v5
	v_and_b32_e32 v5, 0x7f800000, v34
	s_delay_alu instid0(VALU_DEP_1) | instskip(NEXT) | instid1(VALU_DEP_1)
	v_cmp_ne_u32_e64 s0, 0x7f800000, v5
                                        ; implicit-def: $vgpr5
	s_and_saveexec_b32 s9, s0
	s_delay_alu instid0(SALU_CYCLE_1)
	s_xor_b32 s0, exec_lo, s9
; %bb.2228:                             ;   in Loop: Header=BB458_1183 Depth=1
	v_bfe_u32 v5, v34, 16, 1
	s_delay_alu instid0(VALU_DEP_1)
	v_add3_u32 v5, v34, v5, 0x7fff
                                        ; implicit-def: $vgpr34
; %bb.2229:                             ;   in Loop: Header=BB458_1183 Depth=1
	s_and_not1_saveexec_b32 s9, s0
; %bb.2230:                             ;   in Loop: Header=BB458_1183 Depth=1
	v_and_b32_e32 v5, 0xffff, v34
	v_or_b32_e32 v36, 0x10000, v34
	s_delay_alu instid0(VALU_DEP_2) | instskip(NEXT) | instid1(VALU_DEP_1)
	v_cmp_eq_u32_e64 s0, 0, v5
	v_cndmask_b32_e64 v5, v36, v34, s0
; %bb.2231:                             ;   in Loop: Header=BB458_1183 Depth=1
	s_or_b32 exec_lo, exec_lo, s9
	v_lshlrev_b32_e32 v23, 16, v23
	s_delay_alu instid0(VALU_DEP_1) | instskip(NEXT) | instid1(VALU_DEP_1)
	v_mul_f32_e32 v34, v81, v23
	v_and_b32_e32 v23, 0x7f800000, v34
	s_delay_alu instid0(VALU_DEP_1) | instskip(NEXT) | instid1(VALU_DEP_1)
	v_cmp_ne_u32_e64 s0, 0x7f800000, v23
                                        ; implicit-def: $vgpr23
	s_and_saveexec_b32 s9, s0
	s_delay_alu instid0(SALU_CYCLE_1)
	s_xor_b32 s0, exec_lo, s9
; %bb.2232:                             ;   in Loop: Header=BB458_1183 Depth=1
	v_bfe_u32 v23, v34, 16, 1
	s_delay_alu instid0(VALU_DEP_1)
	v_add3_u32 v23, v34, v23, 0x7fff
                                        ; implicit-def: $vgpr34
; %bb.2233:                             ;   in Loop: Header=BB458_1183 Depth=1
	s_and_not1_saveexec_b32 s9, s0
; %bb.2234:                             ;   in Loop: Header=BB458_1183 Depth=1
	v_and_b32_e32 v23, 0xffff, v34
	v_or_b32_e32 v36, 0x10000, v34
	s_delay_alu instid0(VALU_DEP_2) | instskip(NEXT) | instid1(VALU_DEP_1)
	v_cmp_eq_u32_e64 s0, 0, v23
	v_cndmask_b32_e64 v23, v36, v34, s0
; %bb.2235:                             ;   in Loop: Header=BB458_1183 Depth=1
	s_or_b32 exec_lo, exec_lo, s9
	v_lshlrev_b32_e32 v9, 16, v9
                                        ; implicit-def: $vgpr36
	s_delay_alu instid0(VALU_DEP_1) | instskip(NEXT) | instid1(VALU_DEP_1)
	v_mul_f32_e32 v9, v82, v9
	v_and_b32_e32 v34, 0x7f800000, v9
	s_delay_alu instid0(VALU_DEP_1) | instskip(NEXT) | instid1(VALU_DEP_1)
	v_cmp_ne_u32_e64 s0, 0x7f800000, v34
	s_and_saveexec_b32 s9, s0
	s_delay_alu instid0(SALU_CYCLE_1)
	s_xor_b32 s0, exec_lo, s9
; %bb.2236:                             ;   in Loop: Header=BB458_1183 Depth=1
	v_bfe_u32 v34, v9, 16, 1
	s_delay_alu instid0(VALU_DEP_1)
	v_add3_u32 v36, v9, v34, 0x7fff
                                        ; implicit-def: $vgpr9
; %bb.2237:                             ;   in Loop: Header=BB458_1183 Depth=1
	s_and_not1_saveexec_b32 s9, s0
; %bb.2238:                             ;   in Loop: Header=BB458_1183 Depth=1
	v_and_b32_e32 v34, 0xffff, v9
	v_or_b32_e32 v36, 0x10000, v9
	s_delay_alu instid0(VALU_DEP_2) | instskip(NEXT) | instid1(VALU_DEP_1)
	v_cmp_eq_u32_e64 s0, 0, v34
	v_cndmask_b32_e64 v36, v36, v9, s0
; %bb.2239:                             ;   in Loop: Header=BB458_1183 Depth=1
	s_or_b32 exec_lo, exec_lo, s9
	v_lshlrev_b32_e32 v7, 16, v7
                                        ; implicit-def: $vgpr183
	s_delay_alu instid0(VALU_DEP_1) | instskip(NEXT) | instid1(VALU_DEP_1)
	v_mul_f32_e32 v7, v83, v7
	v_and_b32_e32 v9, 0x7f800000, v7
	s_delay_alu instid0(VALU_DEP_1) | instskip(NEXT) | instid1(VALU_DEP_1)
	v_cmp_ne_u32_e64 s0, 0x7f800000, v9
	s_and_saveexec_b32 s9, s0
	s_delay_alu instid0(SALU_CYCLE_1)
	s_xor_b32 s0, exec_lo, s9
; %bb.2240:                             ;   in Loop: Header=BB458_1183 Depth=1
	v_bfe_u32 v9, v7, 16, 1
	s_delay_alu instid0(VALU_DEP_1)
	v_add3_u32 v183, v7, v9, 0x7fff
                                        ; implicit-def: $vgpr7
; %bb.2241:                             ;   in Loop: Header=BB458_1183 Depth=1
	s_and_not1_saveexec_b32 s9, s0
; %bb.2242:                             ;   in Loop: Header=BB458_1183 Depth=1
	v_and_b32_e32 v9, 0xffff, v7
	v_or_b32_e32 v34, 0x10000, v7
	s_delay_alu instid0(VALU_DEP_2) | instskip(NEXT) | instid1(VALU_DEP_1)
	v_cmp_eq_u32_e64 s0, 0, v9
	v_cndmask_b32_e64 v183, v34, v7, s0
; %bb.2243:                             ;   in Loop: Header=BB458_1183 Depth=1
	s_or_b32 exec_lo, exec_lo, s9
	v_lshlrev_b32_e32 v6, 16, v6
                                        ; implicit-def: $vgpr40
	s_delay_alu instid0(VALU_DEP_1) | instskip(NEXT) | instid1(VALU_DEP_1)
	v_mul_f32_e32 v6, v84, v6
	v_and_b32_e32 v7, 0x7f800000, v6
	s_delay_alu instid0(VALU_DEP_1) | instskip(NEXT) | instid1(VALU_DEP_1)
	v_cmp_ne_u32_e64 s0, 0x7f800000, v7
	s_and_saveexec_b32 s9, s0
	s_delay_alu instid0(SALU_CYCLE_1)
	s_xor_b32 s0, exec_lo, s9
; %bb.2244:                             ;   in Loop: Header=BB458_1183 Depth=1
	v_bfe_u32 v7, v6, 16, 1
	s_delay_alu instid0(VALU_DEP_1)
	v_add3_u32 v40, v6, v7, 0x7fff
                                        ; implicit-def: $vgpr6
; %bb.2245:                             ;   in Loop: Header=BB458_1183 Depth=1
	s_and_not1_saveexec_b32 s9, s0
; %bb.2246:                             ;   in Loop: Header=BB458_1183 Depth=1
	v_and_b32_e32 v7, 0xffff, v6
	v_or_b32_e32 v9, 0x10000, v6
	s_delay_alu instid0(VALU_DEP_2) | instskip(NEXT) | instid1(VALU_DEP_1)
	v_cmp_eq_u32_e64 s0, 0, v7
	v_cndmask_b32_e64 v40, v9, v6, s0
; %bb.2247:                             ;   in Loop: Header=BB458_1183 Depth=1
	s_or_b32 exec_lo, exec_lo, s9
	v_lshlrev_b32_e32 v3, 16, v3
                                        ; implicit-def: $vgpr41
	s_delay_alu instid0(VALU_DEP_1) | instskip(NEXT) | instid1(VALU_DEP_1)
	v_mul_f32_e32 v3, v85, v3
	v_and_b32_e32 v6, 0x7f800000, v3
	s_delay_alu instid0(VALU_DEP_1) | instskip(NEXT) | instid1(VALU_DEP_1)
	v_cmp_ne_u32_e64 s0, 0x7f800000, v6
	s_and_saveexec_b32 s9, s0
	s_delay_alu instid0(SALU_CYCLE_1)
	s_xor_b32 s0, exec_lo, s9
; %bb.2248:                             ;   in Loop: Header=BB458_1183 Depth=1
	v_bfe_u32 v6, v3, 16, 1
	s_delay_alu instid0(VALU_DEP_1)
	v_add3_u32 v41, v3, v6, 0x7fff
                                        ; implicit-def: $vgpr3
; %bb.2249:                             ;   in Loop: Header=BB458_1183 Depth=1
	s_and_not1_saveexec_b32 s9, s0
; %bb.2250:                             ;   in Loop: Header=BB458_1183 Depth=1
	v_and_b32_e32 v6, 0xffff, v3
	v_or_b32_e32 v7, 0x10000, v3
	s_delay_alu instid0(VALU_DEP_2) | instskip(NEXT) | instid1(VALU_DEP_1)
	v_cmp_eq_u32_e64 s0, 0, v6
	v_cndmask_b32_e64 v41, v7, v3, s0
; %bb.2251:                             ;   in Loop: Header=BB458_1183 Depth=1
	s_or_b32 exec_lo, exec_lo, s9
	v_lshlrev_b32_e32 v2, 16, v2
                                        ; implicit-def: $vgpr42
	s_delay_alu instid0(VALU_DEP_1) | instskip(NEXT) | instid1(VALU_DEP_1)
	v_mul_f32_e32 v2, v86, v2
	v_and_b32_e32 v3, 0x7f800000, v2
	s_delay_alu instid0(VALU_DEP_1) | instskip(NEXT) | instid1(VALU_DEP_1)
	v_cmp_ne_u32_e64 s0, 0x7f800000, v3
	s_and_saveexec_b32 s9, s0
	s_delay_alu instid0(SALU_CYCLE_1)
	s_xor_b32 s0, exec_lo, s9
; %bb.2252:                             ;   in Loop: Header=BB458_1183 Depth=1
	v_bfe_u32 v3, v2, 16, 1
	s_delay_alu instid0(VALU_DEP_1)
	v_add3_u32 v42, v2, v3, 0x7fff
                                        ; implicit-def: $vgpr2
; %bb.2253:                             ;   in Loop: Header=BB458_1183 Depth=1
	s_and_not1_saveexec_b32 s9, s0
; %bb.2254:                             ;   in Loop: Header=BB458_1183 Depth=1
	v_and_b32_e32 v3, 0xffff, v2
	v_or_b32_e32 v6, 0x10000, v2
	s_delay_alu instid0(VALU_DEP_2) | instskip(NEXT) | instid1(VALU_DEP_1)
	v_cmp_eq_u32_e64 s0, 0, v3
	v_cndmask_b32_e64 v42, v6, v2, s0
; %bb.2255:                             ;   in Loop: Header=BB458_1183 Depth=1
	s_or_b32 exec_lo, exec_lo, s9
	flat_load_b64 v[2:3], v[0:1] offset:2048
	s_mov_b32 s9, exec_lo
	s_waitcnt vmcnt(0) lgkmcnt(0)
	v_dual_mov_b32 v6, 0 :: v_dual_and_b32 v7, 0xff, v2
	s_delay_alu instid0(VALU_DEP_1)
	v_cmpx_ne_u16_e32 0, v7
	s_cbranch_execz .LBB458_2263
; %bb.2256:                             ;   in Loop: Header=BB458_1183 Depth=1
	v_bfrev_b32_e32 v6, 1
	s_mov_b32 s12, exec_lo
	v_cmpx_ne_u16_e32 0x80, v7
	s_cbranch_execz .LBB458_2262
; %bb.2257:                             ;   in Loop: Header=BB458_1183 Depth=1
	v_and_b32_e32 v7, 0x7f, v2
	v_mov_b32_e32 v6, 0x7f800001
	s_mov_b32 s13, exec_lo
	s_delay_alu instid0(VALU_DEP_2)
	v_cmpx_ne_u32_e32 0x7f, v7
	s_cbranch_execz .LBB458_2261
; %bb.2258:                             ;   in Loop: Header=BB458_1183 Depth=1
	v_lshrrev_b32_e32 v9, 3, v7
	v_cmp_gt_u32_e64 s0, 8, v7
	v_dual_mov_b32 v7, v3 :: v_dual_mov_b32 v6, v2
	s_delay_alu instid0(VALU_DEP_2)
	s_and_saveexec_b32 s15, s0
; %bb.2259:                             ;   in Loop: Header=BB458_1183 Depth=1
	v_and_b32_e32 v6, 7, v2
	s_delay_alu instid0(VALU_DEP_1) | instskip(NEXT) | instid1(VALU_DEP_1)
	v_clz_i32_u32_e32 v6, v6
	v_min_u32_e32 v9, 32, v6
	s_delay_alu instid0(VALU_DEP_1) | instskip(SKIP_1) | instid1(VALU_DEP_2)
	v_subrev_nc_u32_e32 v6, 28, v9
	v_sub_nc_u32_e32 v9, 29, v9
	v_lshlrev_b64 v[6:7], v6, v[2:3]
; %bb.2260:                             ;   in Loop: Header=BB458_1183 Depth=1
	s_or_b32 exec_lo, exec_lo, s15
	s_delay_alu instid0(VALU_DEP_1) | instskip(SKIP_2) | instid1(VALU_DEP_3)
	v_lshlrev_b32_e32 v6, 20, v6
	v_lshlrev_b32_e32 v7, 24, v2
	v_lshl_add_u32 v9, v9, 23, 0x3c000000
	v_and_b32_e32 v6, 0x700000, v6
	s_delay_alu instid0(VALU_DEP_3) | instskip(NEXT) | instid1(VALU_DEP_1)
	v_and_b32_e32 v7, 0x80000000, v7
	v_or3_b32 v6, v6, v7, v9
.LBB458_2261:                           ;   in Loop: Header=BB458_1183 Depth=1
	s_or_b32 exec_lo, exec_lo, s13
.LBB458_2262:                           ;   in Loop: Header=BB458_1183 Depth=1
	s_delay_alu instid0(SALU_CYCLE_1)
	s_or_b32 exec_lo, exec_lo, s12
.LBB458_2263:                           ;   in Loop: Header=BB458_1183 Depth=1
	s_delay_alu instid0(SALU_CYCLE_1) | instskip(NEXT) | instid1(VALU_DEP_1)
	s_or_b32 exec_lo, exec_lo, s9
	v_mul_f32_e32 v6, v26, v6
                                        ; implicit-def: $vgpr34
	s_delay_alu instid0(VALU_DEP_1) | instskip(NEXT) | instid1(VALU_DEP_1)
	v_and_b32_e32 v7, 0x7f800000, v6
	v_cmp_ne_u32_e64 s0, 0x7f800000, v7
	s_delay_alu instid0(VALU_DEP_1) | instskip(NEXT) | instid1(SALU_CYCLE_1)
	s_and_saveexec_b32 s9, s0
	s_xor_b32 s0, exec_lo, s9
; %bb.2264:                             ;   in Loop: Header=BB458_1183 Depth=1
	v_bfe_u32 v7, v6, 16, 1
	s_delay_alu instid0(VALU_DEP_1)
	v_add3_u32 v34, v6, v7, 0x7fff
                                        ; implicit-def: $vgpr6
; %bb.2265:                             ;   in Loop: Header=BB458_1183 Depth=1
	s_and_not1_saveexec_b32 s9, s0
; %bb.2266:                             ;   in Loop: Header=BB458_1183 Depth=1
	v_and_b32_e32 v7, 0xffff, v6
	v_or_b32_e32 v9, 0x10000, v6
	s_delay_alu instid0(VALU_DEP_2) | instskip(NEXT) | instid1(VALU_DEP_1)
	v_cmp_eq_u32_e64 s0, 0, v7
	v_cndmask_b32_e64 v34, v9, v6, s0
; %bb.2267:                             ;   in Loop: Header=BB458_1183 Depth=1
	s_or_b32 exec_lo, exec_lo, s9
	v_lshrrev_b16 v7, 8, v2
	v_mov_b32_e32 v6, 0
	s_mov_b32 s9, exec_lo
	s_delay_alu instid0(VALU_DEP_2)
	v_cmpx_ne_u16_e32 0, v7
	s_cbranch_execz .LBB458_2275
; %bb.2268:                             ;   in Loop: Header=BB458_1183 Depth=1
	v_bfrev_b32_e32 v6, 1
	s_mov_b32 s12, exec_lo
	v_cmpx_ne_u16_e32 0x80, v7
	s_cbranch_execz .LBB458_2274
; %bb.2269:                             ;   in Loop: Header=BB458_1183 Depth=1
	v_and_b32_e32 v9, 0xffff, v7
	v_mov_b32_e32 v6, 0x7f800001
	s_mov_b32 s13, exec_lo
	s_delay_alu instid0(VALU_DEP_2) | instskip(NEXT) | instid1(VALU_DEP_1)
	v_and_b32_e32 v7, 0x7f, v9
	v_cmpx_ne_u32_e32 0x7f, v7
	s_cbranch_execz .LBB458_2273
; %bb.2270:                             ;   in Loop: Header=BB458_1183 Depth=1
	v_and_b32_e32 v9, 7, v9
	v_lshrrev_b32_e32 v43, 3, v7
	v_cmp_gt_u32_e64 s0, 8, v7
	s_delay_alu instid0(VALU_DEP_3) | instskip(NEXT) | instid1(VALU_DEP_2)
	v_dual_mov_b32 v6, v9 :: v_dual_mov_b32 v7, v10
	s_and_saveexec_b32 s15, s0
; %bb.2271:                             ;   in Loop: Header=BB458_1183 Depth=1
	v_clz_i32_u32_e32 v6, v9
	s_delay_alu instid0(VALU_DEP_1) | instskip(NEXT) | instid1(VALU_DEP_1)
	v_min_u32_e32 v43, 32, v6
	v_subrev_nc_u32_e32 v6, 28, v43
	v_sub_nc_u32_e32 v43, 29, v43
	s_delay_alu instid0(VALU_DEP_2) | instskip(NEXT) | instid1(VALU_DEP_1)
	v_lshlrev_b64 v[6:7], v6, v[9:10]
	v_and_b32_e32 v6, 7, v6
; %bb.2272:                             ;   in Loop: Header=BB458_1183 Depth=1
	s_or_b32 exec_lo, exec_lo, s15
	v_lshlrev_b32_e32 v7, 16, v2
	s_delay_alu instid0(VALU_DEP_2) | instskip(SKIP_1) | instid1(VALU_DEP_3)
	v_lshlrev_b32_e32 v6, 20, v6
	v_lshl_add_u32 v9, v43, 23, 0x3c000000
	v_and_b32_e32 v7, 0x80000000, v7
	s_delay_alu instid0(VALU_DEP_1)
	v_or3_b32 v6, v6, v7, v9
.LBB458_2273:                           ;   in Loop: Header=BB458_1183 Depth=1
	s_or_b32 exec_lo, exec_lo, s13
.LBB458_2274:                           ;   in Loop: Header=BB458_1183 Depth=1
	s_delay_alu instid0(SALU_CYCLE_1)
	s_or_b32 exec_lo, exec_lo, s12
.LBB458_2275:                           ;   in Loop: Header=BB458_1183 Depth=1
	s_delay_alu instid0(SALU_CYCLE_1) | instskip(NEXT) | instid1(VALU_DEP_1)
	s_or_b32 exec_lo, exec_lo, s9
	v_mul_f32_e32 v6, v26, v6
                                        ; implicit-def: $vgpr43
	s_delay_alu instid0(VALU_DEP_1) | instskip(NEXT) | instid1(VALU_DEP_1)
	v_and_b32_e32 v7, 0x7f800000, v6
	v_cmp_ne_u32_e64 s0, 0x7f800000, v7
	s_delay_alu instid0(VALU_DEP_1) | instskip(NEXT) | instid1(SALU_CYCLE_1)
	s_and_saveexec_b32 s9, s0
	s_xor_b32 s0, exec_lo, s9
; %bb.2276:                             ;   in Loop: Header=BB458_1183 Depth=1
	v_bfe_u32 v7, v6, 16, 1
	s_delay_alu instid0(VALU_DEP_1)
	v_add3_u32 v43, v6, v7, 0x7fff
                                        ; implicit-def: $vgpr6
; %bb.2277:                             ;   in Loop: Header=BB458_1183 Depth=1
	s_and_not1_saveexec_b32 s9, s0
; %bb.2278:                             ;   in Loop: Header=BB458_1183 Depth=1
	v_and_b32_e32 v7, 0xffff, v6
	v_or_b32_e32 v9, 0x10000, v6
	s_delay_alu instid0(VALU_DEP_2) | instskip(NEXT) | instid1(VALU_DEP_1)
	v_cmp_eq_u32_e64 s0, 0, v7
	v_cndmask_b32_e64 v43, v9, v6, s0
; %bb.2279:                             ;   in Loop: Header=BB458_1183 Depth=1
	s_or_b32 exec_lo, exec_lo, s9
	v_lshrrev_b32_e32 v44, 16, v2
	s_mov_b32 s9, exec_lo
	s_delay_alu instid0(VALU_DEP_1) | instskip(NEXT) | instid1(VALU_DEP_1)
	v_dual_mov_b32 v6, 0 :: v_dual_and_b32 v7, 0xff, v44
	v_cmpx_ne_u16_e32 0, v7
	s_cbranch_execz .LBB458_2287
; %bb.2280:                             ;   in Loop: Header=BB458_1183 Depth=1
	v_bfrev_b32_e32 v6, 1
	s_mov_b32 s12, exec_lo
	v_cmpx_ne_u16_e32 0x80, v7
	s_cbranch_execz .LBB458_2286
; %bb.2281:                             ;   in Loop: Header=BB458_1183 Depth=1
	v_bfe_u32 v7, v2, 16, 7
	v_mov_b32_e32 v6, 0x7f800001
	s_mov_b32 s13, exec_lo
	s_delay_alu instid0(VALU_DEP_2)
	v_cmpx_ne_u32_e32 0x7f, v7
	s_cbranch_execz .LBB458_2285
; %bb.2282:                             ;   in Loop: Header=BB458_1183 Depth=1
	v_and_b32_e32 v9, 7, v44
	v_lshrrev_b32_e32 v45, 3, v7
	v_cmp_gt_u32_e64 s0, 8, v7
	s_delay_alu instid0(VALU_DEP_3) | instskip(NEXT) | instid1(VALU_DEP_2)
	v_dual_mov_b32 v6, v9 :: v_dual_mov_b32 v7, v10
	s_and_saveexec_b32 s15, s0
; %bb.2283:                             ;   in Loop: Header=BB458_1183 Depth=1
	v_clz_i32_u32_e32 v6, v9
	s_delay_alu instid0(VALU_DEP_1) | instskip(NEXT) | instid1(VALU_DEP_1)
	v_min_u32_e32 v45, 32, v6
	v_subrev_nc_u32_e32 v6, 28, v45
	v_sub_nc_u32_e32 v45, 29, v45
	s_delay_alu instid0(VALU_DEP_2) | instskip(NEXT) | instid1(VALU_DEP_1)
	v_lshlrev_b64 v[6:7], v6, v[9:10]
	v_and_b32_e32 v6, 7, v6
; %bb.2284:                             ;   in Loop: Header=BB458_1183 Depth=1
	s_or_b32 exec_lo, exec_lo, s15
	v_lshlrev_b32_e32 v7, 24, v44
	s_delay_alu instid0(VALU_DEP_2) | instskip(SKIP_1) | instid1(VALU_DEP_3)
	v_lshlrev_b32_e32 v6, 20, v6
	v_lshl_add_u32 v9, v45, 23, 0x3c000000
	v_and_b32_e32 v7, 0x80000000, v7
	s_delay_alu instid0(VALU_DEP_1)
	v_or3_b32 v6, v6, v7, v9
.LBB458_2285:                           ;   in Loop: Header=BB458_1183 Depth=1
	s_or_b32 exec_lo, exec_lo, s13
.LBB458_2286:                           ;   in Loop: Header=BB458_1183 Depth=1
	s_delay_alu instid0(SALU_CYCLE_1)
	s_or_b32 exec_lo, exec_lo, s12
.LBB458_2287:                           ;   in Loop: Header=BB458_1183 Depth=1
	s_delay_alu instid0(SALU_CYCLE_1) | instskip(NEXT) | instid1(VALU_DEP_1)
	s_or_b32 exec_lo, exec_lo, s9
	v_mul_f32_e32 v6, v26, v6
                                        ; implicit-def: $vgpr44
	s_delay_alu instid0(VALU_DEP_1) | instskip(NEXT) | instid1(VALU_DEP_1)
	v_and_b32_e32 v7, 0x7f800000, v6
	v_cmp_ne_u32_e64 s0, 0x7f800000, v7
	s_delay_alu instid0(VALU_DEP_1) | instskip(NEXT) | instid1(SALU_CYCLE_1)
	s_and_saveexec_b32 s9, s0
	s_xor_b32 s0, exec_lo, s9
; %bb.2288:                             ;   in Loop: Header=BB458_1183 Depth=1
	v_bfe_u32 v7, v6, 16, 1
	s_delay_alu instid0(VALU_DEP_1)
	v_add3_u32 v44, v6, v7, 0x7fff
                                        ; implicit-def: $vgpr6
; %bb.2289:                             ;   in Loop: Header=BB458_1183 Depth=1
	s_and_not1_saveexec_b32 s9, s0
; %bb.2290:                             ;   in Loop: Header=BB458_1183 Depth=1
	v_and_b32_e32 v7, 0xffff, v6
	v_or_b32_e32 v9, 0x10000, v6
	s_delay_alu instid0(VALU_DEP_2) | instskip(NEXT) | instid1(VALU_DEP_1)
	v_cmp_eq_u32_e64 s0, 0, v7
	v_cndmask_b32_e64 v44, v9, v6, s0
; %bb.2291:                             ;   in Loop: Header=BB458_1183 Depth=1
	s_or_b32 exec_lo, exec_lo, s9
	v_mov_b32_e32 v6, 0
	s_mov_b32 s9, exec_lo
	v_cmpx_lt_u32_e32 0xffffff, v2
	s_cbranch_execz .LBB458_2299
; %bb.2292:                             ;   in Loop: Header=BB458_1183 Depth=1
	v_lshrrev_b32_e32 v45, 24, v2
	v_bfrev_b32_e32 v6, 1
	s_mov_b32 s12, exec_lo
	s_delay_alu instid0(VALU_DEP_2)
	v_cmpx_ne_u32_e32 0x80, v45
	s_cbranch_execz .LBB458_2298
; %bb.2293:                             ;   in Loop: Header=BB458_1183 Depth=1
	v_bfe_u32 v7, v2, 24, 7
	v_mov_b32_e32 v6, 0x7f800001
	s_mov_b32 s13, exec_lo
	s_delay_alu instid0(VALU_DEP_2)
	v_cmpx_ne_u32_e32 0x7f, v7
	s_cbranch_execz .LBB458_2297
; %bb.2294:                             ;   in Loop: Header=BB458_1183 Depth=1
	v_and_b32_e32 v9, 7, v45
	v_lshrrev_b32_e32 v46, 3, v7
	v_cmp_gt_u32_e64 s0, 8, v7
	s_delay_alu instid0(VALU_DEP_3) | instskip(NEXT) | instid1(VALU_DEP_2)
	v_dual_mov_b32 v6, v9 :: v_dual_mov_b32 v7, v10
	s_and_saveexec_b32 s15, s0
; %bb.2295:                             ;   in Loop: Header=BB458_1183 Depth=1
	v_clz_i32_u32_e32 v6, v9
	s_delay_alu instid0(VALU_DEP_1) | instskip(NEXT) | instid1(VALU_DEP_1)
	v_min_u32_e32 v46, 32, v6
	v_subrev_nc_u32_e32 v6, 28, v46
	v_sub_nc_u32_e32 v46, 29, v46
	s_delay_alu instid0(VALU_DEP_2) | instskip(NEXT) | instid1(VALU_DEP_1)
	v_lshlrev_b64 v[6:7], v6, v[9:10]
	v_and_b32_e32 v6, 7, v6
; %bb.2296:                             ;   in Loop: Header=BB458_1183 Depth=1
	s_or_b32 exec_lo, exec_lo, s15
	v_lshlrev_b32_e32 v7, 24, v45
	s_delay_alu instid0(VALU_DEP_2) | instskip(SKIP_1) | instid1(VALU_DEP_3)
	v_lshlrev_b32_e32 v6, 20, v6
	v_lshl_add_u32 v9, v46, 23, 0x3c000000
	v_and_b32_e32 v7, 0x80000000, v7
	s_delay_alu instid0(VALU_DEP_1)
	v_or3_b32 v6, v6, v7, v9
.LBB458_2297:                           ;   in Loop: Header=BB458_1183 Depth=1
	s_or_b32 exec_lo, exec_lo, s13
.LBB458_2298:                           ;   in Loop: Header=BB458_1183 Depth=1
	s_delay_alu instid0(SALU_CYCLE_1)
	s_or_b32 exec_lo, exec_lo, s12
.LBB458_2299:                           ;   in Loop: Header=BB458_1183 Depth=1
	s_delay_alu instid0(SALU_CYCLE_1) | instskip(NEXT) | instid1(VALU_DEP_1)
	s_or_b32 exec_lo, exec_lo, s9
	v_mul_f32_e32 v6, v26, v6
                                        ; implicit-def: $vgpr45
	s_delay_alu instid0(VALU_DEP_1) | instskip(NEXT) | instid1(VALU_DEP_1)
	v_and_b32_e32 v7, 0x7f800000, v6
	v_cmp_ne_u32_e64 s0, 0x7f800000, v7
	s_delay_alu instid0(VALU_DEP_1) | instskip(NEXT) | instid1(SALU_CYCLE_1)
	s_and_saveexec_b32 s9, s0
	s_xor_b32 s0, exec_lo, s9
; %bb.2300:                             ;   in Loop: Header=BB458_1183 Depth=1
	v_bfe_u32 v7, v6, 16, 1
	s_delay_alu instid0(VALU_DEP_1)
	v_add3_u32 v45, v6, v7, 0x7fff
                                        ; implicit-def: $vgpr6
; %bb.2301:                             ;   in Loop: Header=BB458_1183 Depth=1
	s_and_not1_saveexec_b32 s9, s0
; %bb.2302:                             ;   in Loop: Header=BB458_1183 Depth=1
	v_and_b32_e32 v7, 0xffff, v6
	v_or_b32_e32 v9, 0x10000, v6
	s_delay_alu instid0(VALU_DEP_2) | instskip(NEXT) | instid1(VALU_DEP_1)
	v_cmp_eq_u32_e64 s0, 0, v7
	v_cndmask_b32_e64 v45, v9, v6, s0
; %bb.2303:                             ;   in Loop: Header=BB458_1183 Depth=1
	s_or_b32 exec_lo, exec_lo, s9
	v_dual_mov_b32 v6, 0 :: v_dual_and_b32 v7, 0xff, v3
	v_mov_b32_e32 v9, v3
	s_mov_b32 s9, exec_lo
	s_delay_alu instid0(VALU_DEP_2)
	v_cmpx_ne_u16_e32 0, v7
	s_cbranch_execz .LBB458_2311
; %bb.2304:                             ;   in Loop: Header=BB458_1183 Depth=1
	v_bfrev_b32_e32 v6, 1
	s_mov_b32 s12, exec_lo
	v_cmpx_ne_u16_e32 0x80, v7
	s_cbranch_execz .LBB458_2310
; %bb.2305:                             ;   in Loop: Header=BB458_1183 Depth=1
	v_and_b32_e32 v7, 0x7f, v3
	v_mov_b32_e32 v6, 0x7f800001
	s_mov_b32 s13, exec_lo
	s_delay_alu instid0(VALU_DEP_2)
	v_cmpx_ne_u32_e32 0x7f, v7
	s_cbranch_execz .LBB458_2309
; %bb.2306:                             ;   in Loop: Header=BB458_1183 Depth=1
	v_lshrrev_b32_e32 v46, 3, v7
	v_cmp_gt_u32_e64 s0, 8, v7
	v_dual_mov_b32 v6, v9 :: v_dual_mov_b32 v7, v10
	s_delay_alu instid0(VALU_DEP_2)
	s_and_saveexec_b32 s15, s0
; %bb.2307:                             ;   in Loop: Header=BB458_1183 Depth=1
	v_and_b32_e32 v6, 7, v3
	s_delay_alu instid0(VALU_DEP_1) | instskip(NEXT) | instid1(VALU_DEP_1)
	v_clz_i32_u32_e32 v6, v6
	v_min_u32_e32 v46, 32, v6
	s_delay_alu instid0(VALU_DEP_1) | instskip(SKIP_1) | instid1(VALU_DEP_2)
	v_subrev_nc_u32_e32 v6, 28, v46
	v_sub_nc_u32_e32 v46, 29, v46
	v_lshlrev_b64 v[6:7], v6, v[9:10]
; %bb.2308:                             ;   in Loop: Header=BB458_1183 Depth=1
	s_or_b32 exec_lo, exec_lo, s15
	s_delay_alu instid0(VALU_DEP_1) | instskip(SKIP_2) | instid1(VALU_DEP_3)
	v_lshlrev_b32_e32 v6, 20, v6
	v_lshlrev_b32_e32 v7, 24, v9
	v_lshl_add_u32 v46, v46, 23, 0x3c000000
	v_and_b32_e32 v6, 0x700000, v6
	s_delay_alu instid0(VALU_DEP_3) | instskip(NEXT) | instid1(VALU_DEP_1)
	v_and_b32_e32 v7, 0x80000000, v7
	v_or3_b32 v6, v6, v7, v46
.LBB458_2309:                           ;   in Loop: Header=BB458_1183 Depth=1
	s_or_b32 exec_lo, exec_lo, s13
.LBB458_2310:                           ;   in Loop: Header=BB458_1183 Depth=1
	s_delay_alu instid0(SALU_CYCLE_1)
	s_or_b32 exec_lo, exec_lo, s12
.LBB458_2311:                           ;   in Loop: Header=BB458_1183 Depth=1
	s_delay_alu instid0(SALU_CYCLE_1) | instskip(NEXT) | instid1(VALU_DEP_1)
	s_or_b32 exec_lo, exec_lo, s9
	v_mul_f32_e32 v6, v26, v6
                                        ; implicit-def: $vgpr46
	s_delay_alu instid0(VALU_DEP_1) | instskip(NEXT) | instid1(VALU_DEP_1)
	v_and_b32_e32 v7, 0x7f800000, v6
	v_cmp_ne_u32_e64 s0, 0x7f800000, v7
	s_delay_alu instid0(VALU_DEP_1) | instskip(NEXT) | instid1(SALU_CYCLE_1)
	s_and_saveexec_b32 s9, s0
	s_xor_b32 s0, exec_lo, s9
; %bb.2312:                             ;   in Loop: Header=BB458_1183 Depth=1
	v_bfe_u32 v7, v6, 16, 1
	s_delay_alu instid0(VALU_DEP_1)
	v_add3_u32 v46, v6, v7, 0x7fff
                                        ; implicit-def: $vgpr6
; %bb.2313:                             ;   in Loop: Header=BB458_1183 Depth=1
	s_and_not1_saveexec_b32 s9, s0
; %bb.2314:                             ;   in Loop: Header=BB458_1183 Depth=1
	v_and_b32_e32 v7, 0xffff, v6
	v_or_b32_e32 v46, 0x10000, v6
	s_delay_alu instid0(VALU_DEP_2) | instskip(NEXT) | instid1(VALU_DEP_1)
	v_cmp_eq_u32_e64 s0, 0, v7
	v_cndmask_b32_e64 v46, v46, v6, s0
; %bb.2315:                             ;   in Loop: Header=BB458_1183 Depth=1
	s_or_b32 exec_lo, exec_lo, s9
	v_lshrrev_b16 v7, 8, v9
	v_mov_b32_e32 v6, 0
	s_mov_b32 s9, exec_lo
	s_delay_alu instid0(VALU_DEP_2)
	v_cmpx_ne_u16_e32 0, v7
	s_cbranch_execz .LBB458_2323
; %bb.2316:                             ;   in Loop: Header=BB458_1183 Depth=1
	v_bfrev_b32_e32 v6, 1
	s_mov_b32 s12, exec_lo
	v_cmpx_ne_u16_e32 0x80, v7
	s_cbranch_execz .LBB458_2322
; %bb.2317:                             ;   in Loop: Header=BB458_1183 Depth=1
	v_and_b32_e32 v7, 0xffff, v7
	v_mov_b32_e32 v6, 0x7f800001
	s_mov_b32 s13, exec_lo
	s_delay_alu instid0(VALU_DEP_2) | instskip(NEXT) | instid1(VALU_DEP_1)
	v_and_b32_e32 v56, 0x7f, v7
	v_cmpx_ne_u32_e32 0x7f, v56
	s_cbranch_execz .LBB458_2321
; %bb.2318:                             ;   in Loop: Header=BB458_1183 Depth=1
	v_dual_mov_b32 v7, v10 :: v_dual_and_b32 v6, 7, v7
	v_lshrrev_b32_e32 v47, 3, v56
	s_mov_b32 s15, exec_lo
	v_cmpx_gt_u32_e32 8, v56
; %bb.2319:                             ;   in Loop: Header=BB458_1183 Depth=1
	s_delay_alu instid0(VALU_DEP_3) | instskip(NEXT) | instid1(VALU_DEP_1)
	v_clz_i32_u32_e32 v47, v6
	v_min_u32_e32 v47, 32, v47
	s_delay_alu instid0(VALU_DEP_1) | instskip(SKIP_1) | instid1(VALU_DEP_2)
	v_subrev_nc_u32_e32 v56, 28, v47
	v_sub_nc_u32_e32 v47, 29, v47
	v_lshlrev_b64 v[6:7], v56, v[6:7]
	s_delay_alu instid0(VALU_DEP_1)
	v_and_b32_e32 v6, 7, v6
; %bb.2320:                             ;   in Loop: Header=BB458_1183 Depth=1
	s_or_b32 exec_lo, exec_lo, s15
	v_lshlrev_b32_e32 v7, 16, v9
	s_delay_alu instid0(VALU_DEP_2) | instskip(SKIP_1) | instid1(VALU_DEP_3)
	v_lshlrev_b32_e32 v6, 20, v6
	v_lshl_add_u32 v9, v47, 23, 0x3c000000
	v_and_b32_e32 v7, 0x80000000, v7
	s_delay_alu instid0(VALU_DEP_1)
	v_or3_b32 v6, v6, v7, v9
.LBB458_2321:                           ;   in Loop: Header=BB458_1183 Depth=1
	s_or_b32 exec_lo, exec_lo, s13
.LBB458_2322:                           ;   in Loop: Header=BB458_1183 Depth=1
	s_delay_alu instid0(SALU_CYCLE_1)
	s_or_b32 exec_lo, exec_lo, s12
.LBB458_2323:                           ;   in Loop: Header=BB458_1183 Depth=1
	s_delay_alu instid0(SALU_CYCLE_1) | instskip(NEXT) | instid1(VALU_DEP_1)
	s_or_b32 exec_lo, exec_lo, s9
	v_mul_f32_e32 v6, v26, v6
                                        ; implicit-def: $vgpr47
	s_delay_alu instid0(VALU_DEP_1) | instskip(NEXT) | instid1(VALU_DEP_1)
	v_and_b32_e32 v7, 0x7f800000, v6
	v_cmp_ne_u32_e64 s0, 0x7f800000, v7
	s_delay_alu instid0(VALU_DEP_1) | instskip(NEXT) | instid1(SALU_CYCLE_1)
	s_and_saveexec_b32 s9, s0
	s_xor_b32 s0, exec_lo, s9
; %bb.2324:                             ;   in Loop: Header=BB458_1183 Depth=1
	v_bfe_u32 v7, v6, 16, 1
	s_delay_alu instid0(VALU_DEP_1)
	v_add3_u32 v47, v6, v7, 0x7fff
                                        ; implicit-def: $vgpr6
; %bb.2325:                             ;   in Loop: Header=BB458_1183 Depth=1
	s_and_not1_saveexec_b32 s9, s0
; %bb.2326:                             ;   in Loop: Header=BB458_1183 Depth=1
	v_and_b32_e32 v7, 0xffff, v6
	v_or_b32_e32 v9, 0x10000, v6
	s_delay_alu instid0(VALU_DEP_2) | instskip(NEXT) | instid1(VALU_DEP_1)
	v_cmp_eq_u32_e64 s0, 0, v7
	v_cndmask_b32_e64 v47, v9, v6, s0
; %bb.2327:                             ;   in Loop: Header=BB458_1183 Depth=1
	s_or_b32 exec_lo, exec_lo, s9
	v_lshrrev_b32_e32 v56, 16, v3
	s_mov_b32 s9, exec_lo
	s_delay_alu instid0(VALU_DEP_1) | instskip(NEXT) | instid1(VALU_DEP_1)
	v_dual_mov_b32 v6, 0 :: v_dual_and_b32 v7, 0xff, v56
	v_cmpx_ne_u16_e32 0, v7
	s_cbranch_execz .LBB458_2335
; %bb.2328:                             ;   in Loop: Header=BB458_1183 Depth=1
	v_bfrev_b32_e32 v6, 1
	s_mov_b32 s12, exec_lo
	v_cmpx_ne_u16_e32 0x80, v7
	s_cbranch_execz .LBB458_2334
; %bb.2329:                             ;   in Loop: Header=BB458_1183 Depth=1
	v_bfe_u32 v7, v3, 16, 7
	v_mov_b32_e32 v6, 0x7f800001
	s_mov_b32 s13, exec_lo
	s_delay_alu instid0(VALU_DEP_2)
	v_cmpx_ne_u32_e32 0x7f, v7
	s_cbranch_execz .LBB458_2333
; %bb.2330:                             ;   in Loop: Header=BB458_1183 Depth=1
	v_and_b32_e32 v9, 7, v56
	v_lshrrev_b32_e32 v57, 3, v7
	v_cmp_gt_u32_e64 s0, 8, v7
	s_delay_alu instid0(VALU_DEP_3) | instskip(NEXT) | instid1(VALU_DEP_2)
	v_dual_mov_b32 v6, v9 :: v_dual_mov_b32 v7, v10
	s_and_saveexec_b32 s15, s0
; %bb.2331:                             ;   in Loop: Header=BB458_1183 Depth=1
	v_clz_i32_u32_e32 v6, v9
	s_delay_alu instid0(VALU_DEP_1) | instskip(NEXT) | instid1(VALU_DEP_1)
	v_min_u32_e32 v57, 32, v6
	v_subrev_nc_u32_e32 v6, 28, v57
	v_sub_nc_u32_e32 v57, 29, v57
	s_delay_alu instid0(VALU_DEP_2) | instskip(NEXT) | instid1(VALU_DEP_1)
	v_lshlrev_b64 v[6:7], v6, v[9:10]
	v_and_b32_e32 v6, 7, v6
; %bb.2332:                             ;   in Loop: Header=BB458_1183 Depth=1
	s_or_b32 exec_lo, exec_lo, s15
	v_lshlrev_b32_e32 v7, 24, v56
	s_delay_alu instid0(VALU_DEP_2) | instskip(SKIP_1) | instid1(VALU_DEP_3)
	v_lshlrev_b32_e32 v6, 20, v6
	v_lshl_add_u32 v9, v57, 23, 0x3c000000
	v_and_b32_e32 v7, 0x80000000, v7
	s_delay_alu instid0(VALU_DEP_1)
	v_or3_b32 v6, v6, v7, v9
.LBB458_2333:                           ;   in Loop: Header=BB458_1183 Depth=1
	s_or_b32 exec_lo, exec_lo, s13
.LBB458_2334:                           ;   in Loop: Header=BB458_1183 Depth=1
	s_delay_alu instid0(SALU_CYCLE_1)
	s_or_b32 exec_lo, exec_lo, s12
.LBB458_2335:                           ;   in Loop: Header=BB458_1183 Depth=1
	s_delay_alu instid0(SALU_CYCLE_1) | instskip(NEXT) | instid1(VALU_DEP_1)
	s_or_b32 exec_lo, exec_lo, s9
	v_mul_f32_e32 v6, v26, v6
                                        ; implicit-def: $vgpr56
	s_delay_alu instid0(VALU_DEP_1) | instskip(NEXT) | instid1(VALU_DEP_1)
	v_and_b32_e32 v7, 0x7f800000, v6
	v_cmp_ne_u32_e64 s0, 0x7f800000, v7
	s_delay_alu instid0(VALU_DEP_1) | instskip(NEXT) | instid1(SALU_CYCLE_1)
	s_and_saveexec_b32 s9, s0
	s_xor_b32 s0, exec_lo, s9
; %bb.2336:                             ;   in Loop: Header=BB458_1183 Depth=1
	v_bfe_u32 v7, v6, 16, 1
	s_delay_alu instid0(VALU_DEP_1)
	v_add3_u32 v56, v6, v7, 0x7fff
                                        ; implicit-def: $vgpr6
; %bb.2337:                             ;   in Loop: Header=BB458_1183 Depth=1
	s_and_not1_saveexec_b32 s9, s0
; %bb.2338:                             ;   in Loop: Header=BB458_1183 Depth=1
	v_and_b32_e32 v7, 0xffff, v6
	v_or_b32_e32 v9, 0x10000, v6
	s_delay_alu instid0(VALU_DEP_2) | instskip(NEXT) | instid1(VALU_DEP_1)
	v_cmp_eq_u32_e64 s0, 0, v7
	v_cndmask_b32_e64 v56, v9, v6, s0
; %bb.2339:                             ;   in Loop: Header=BB458_1183 Depth=1
	s_or_b32 exec_lo, exec_lo, s9
	v_cmp_lt_u64_e64 s0, s[2:3], v[2:3]
	v_mov_b32_e32 v2, 0
	s_delay_alu instid0(VALU_DEP_2)
	s_and_saveexec_b32 s9, s0
	s_cbranch_execz .LBB458_2347
; %bb.2340:                             ;   in Loop: Header=BB458_1183 Depth=1
	v_lshrrev_b32_e32 v6, 24, v3
	v_bfrev_b32_e32 v2, 1
	s_mov_b32 s12, exec_lo
	s_delay_alu instid0(VALU_DEP_2)
	v_cmpx_ne_u32_e32 0x80, v6
	s_cbranch_execz .LBB458_2346
; %bb.2341:                             ;   in Loop: Header=BB458_1183 Depth=1
	v_bfe_u32 v3, v3, 24, 7
	v_mov_b32_e32 v2, 0x7f800001
	s_mov_b32 s13, exec_lo
	s_delay_alu instid0(VALU_DEP_2)
	v_cmpx_ne_u32_e32 0x7f, v3
	s_cbranch_execz .LBB458_2345
; %bb.2342:                             ;   in Loop: Header=BB458_1183 Depth=1
	v_and_b32_e32 v9, 7, v6
	v_lshrrev_b32_e32 v7, 3, v3
	v_cmp_gt_u32_e64 s0, 8, v3
	s_delay_alu instid0(VALU_DEP_3) | instskip(NEXT) | instid1(VALU_DEP_2)
	v_dual_mov_b32 v2, v9 :: v_dual_mov_b32 v3, v10
	s_and_saveexec_b32 s15, s0
; %bb.2343:                             ;   in Loop: Header=BB458_1183 Depth=1
	v_clz_i32_u32_e32 v2, v9
	s_delay_alu instid0(VALU_DEP_1) | instskip(NEXT) | instid1(VALU_DEP_1)
	v_min_u32_e32 v7, 32, v2
	v_subrev_nc_u32_e32 v2, 28, v7
	v_sub_nc_u32_e32 v7, 29, v7
	s_delay_alu instid0(VALU_DEP_2) | instskip(NEXT) | instid1(VALU_DEP_1)
	v_lshlrev_b64 v[2:3], v2, v[9:10]
	v_and_b32_e32 v2, 7, v2
; %bb.2344:                             ;   in Loop: Header=BB458_1183 Depth=1
	s_or_b32 exec_lo, exec_lo, s15
	v_lshlrev_b32_e32 v3, 24, v6
	s_delay_alu instid0(VALU_DEP_2) | instskip(SKIP_1) | instid1(VALU_DEP_3)
	v_lshlrev_b32_e32 v2, 20, v2
	v_lshl_add_u32 v6, v7, 23, 0x3c000000
	v_and_b32_e32 v3, 0x80000000, v3
	s_delay_alu instid0(VALU_DEP_1)
	v_or3_b32 v2, v2, v3, v6
.LBB458_2345:                           ;   in Loop: Header=BB458_1183 Depth=1
	s_or_b32 exec_lo, exec_lo, s13
.LBB458_2346:                           ;   in Loop: Header=BB458_1183 Depth=1
	s_delay_alu instid0(SALU_CYCLE_1)
	s_or_b32 exec_lo, exec_lo, s12
.LBB458_2347:                           ;   in Loop: Header=BB458_1183 Depth=1
	s_delay_alu instid0(SALU_CYCLE_1) | instskip(NEXT) | instid1(VALU_DEP_1)
	s_or_b32 exec_lo, exec_lo, s9
	v_mul_f32_e32 v3, v26, v2
	s_delay_alu instid0(VALU_DEP_1) | instskip(NEXT) | instid1(VALU_DEP_1)
	v_and_b32_e32 v2, 0x7f800000, v3
	v_cmp_ne_u32_e64 s0, 0x7f800000, v2
                                        ; implicit-def: $vgpr2
	s_delay_alu instid0(VALU_DEP_1) | instskip(NEXT) | instid1(SALU_CYCLE_1)
	s_and_saveexec_b32 s9, s0
	s_xor_b32 s0, exec_lo, s9
; %bb.2348:                             ;   in Loop: Header=BB458_1183 Depth=1
	v_bfe_u32 v2, v3, 16, 1
	s_delay_alu instid0(VALU_DEP_1)
	v_add3_u32 v2, v3, v2, 0x7fff
                                        ; implicit-def: $vgpr3
; %bb.2349:                             ;   in Loop: Header=BB458_1183 Depth=1
	s_and_not1_saveexec_b32 s9, s0
; %bb.2350:                             ;   in Loop: Header=BB458_1183 Depth=1
	v_and_b32_e32 v2, 0xffff, v3
	v_or_b32_e32 v6, 0x10000, v3
	s_delay_alu instid0(VALU_DEP_2) | instskip(NEXT) | instid1(VALU_DEP_1)
	v_cmp_eq_u32_e64 s0, 0, v2
	v_cndmask_b32_e64 v2, v6, v3, s0
; %bb.2351:                             ;   in Loop: Header=BB458_1183 Depth=1
	s_or_b32 exec_lo, exec_lo, s9
	v_lshrrev_b32_e32 v6, 16, v47
	v_lshrrev_b32_e32 v7, 16, v46
	;; [unrolled: 1-line block ×8, first 2 shown]
	s_and_saveexec_b32 s9, vcc_lo
	s_cbranch_execz .LBB458_2353
; %bb.2352:                             ;   in Loop: Header=BB458_1183 Depth=1
	v_cmp_lt_i32_e64 s0, v64, v35
	s_delay_alu instid0(VALU_DEP_1) | instskip(SKIP_1) | instid1(VALU_DEP_1)
	v_cndmask_b32_e64 v34, 0, v34, s0
	v_cmp_lt_i32_e64 s0, v70, v35
	v_cndmask_b32_e64 v44, 0, v44, s0
	v_cmp_lt_i32_e64 s0, v69, v35
	s_delay_alu instid0(VALU_DEP_1) | instskip(SKIP_1) | instid1(VALU_DEP_1)
	v_cndmask_b32_e64 v45, 0, v45, s0
	v_cmp_lt_i32_e64 s0, v68, v35
	v_cndmask_b32_e64 v9, 0, v9, s0
	;; [unrolled: 5-line block ×4, first 2 shown]
.LBB458_2353:                           ;   in Loop: Header=BB458_1183 Depth=1
	s_or_b32 exec_lo, exec_lo, s9
	v_lshlrev_b32_e32 v34, 16, v34
	s_delay_alu instid0(VALU_DEP_1) | instskip(NEXT) | instid1(VALU_DEP_1)
	v_mul_f32_e32 v34, v71, v34
	v_and_b32_e32 v43, 0x7f800000, v34
	s_delay_alu instid0(VALU_DEP_1) | instskip(NEXT) | instid1(VALU_DEP_1)
	v_cmp_ne_u32_e64 s0, 0x7f800000, v43
                                        ; implicit-def: $vgpr43
	s_and_saveexec_b32 s9, s0
	s_delay_alu instid0(SALU_CYCLE_1)
	s_xor_b32 s0, exec_lo, s9
; %bb.2354:                             ;   in Loop: Header=BB458_1183 Depth=1
	v_bfe_u32 v43, v34, 16, 1
	s_delay_alu instid0(VALU_DEP_1)
	v_add3_u32 v43, v34, v43, 0x7fff
                                        ; implicit-def: $vgpr34
; %bb.2355:                             ;   in Loop: Header=BB458_1183 Depth=1
	s_and_not1_saveexec_b32 s9, s0
; %bb.2356:                             ;   in Loop: Header=BB458_1183 Depth=1
	v_and_b32_e32 v43, 0xffff, v34
	v_or_b32_e32 v46, 0x10000, v34
	s_delay_alu instid0(VALU_DEP_2) | instskip(NEXT) | instid1(VALU_DEP_1)
	v_cmp_eq_u32_e64 s0, 0, v43
	v_cndmask_b32_e64 v43, v46, v34, s0
; %bb.2357:                             ;   in Loop: Header=BB458_1183 Depth=1
	s_or_b32 exec_lo, exec_lo, s9
	v_lshlrev_b32_e32 v34, 16, v44
	s_delay_alu instid0(VALU_DEP_1) | instskip(NEXT) | instid1(VALU_DEP_1)
	v_mul_f32_e32 v34, v80, v34
	v_and_b32_e32 v44, 0x7f800000, v34
	s_delay_alu instid0(VALU_DEP_1) | instskip(NEXT) | instid1(VALU_DEP_1)
	v_cmp_ne_u32_e64 s0, 0x7f800000, v44
                                        ; implicit-def: $vgpr44
	s_and_saveexec_b32 s9, s0
	s_delay_alu instid0(SALU_CYCLE_1)
	s_xor_b32 s0, exec_lo, s9
; %bb.2358:                             ;   in Loop: Header=BB458_1183 Depth=1
	v_bfe_u32 v44, v34, 16, 1
	s_delay_alu instid0(VALU_DEP_1)
	v_add3_u32 v44, v34, v44, 0x7fff
                                        ; implicit-def: $vgpr34
; %bb.2359:                             ;   in Loop: Header=BB458_1183 Depth=1
	s_and_not1_saveexec_b32 s9, s0
; %bb.2360:                             ;   in Loop: Header=BB458_1183 Depth=1
	v_and_b32_e32 v44, 0xffff, v34
	v_or_b32_e32 v46, 0x10000, v34
	s_delay_alu instid0(VALU_DEP_2) | instskip(NEXT) | instid1(VALU_DEP_1)
	v_cmp_eq_u32_e64 s0, 0, v44
	v_cndmask_b32_e64 v44, v46, v34, s0
; %bb.2361:                             ;   in Loop: Header=BB458_1183 Depth=1
	s_or_b32 exec_lo, exec_lo, s9
	v_lshlrev_b32_e32 v34, 16, v45
	s_delay_alu instid0(VALU_DEP_1) | instskip(NEXT) | instid1(VALU_DEP_1)
	v_mul_f32_e32 v34, v81, v34
	v_and_b32_e32 v45, 0x7f800000, v34
	s_delay_alu instid0(VALU_DEP_1) | instskip(NEXT) | instid1(VALU_DEP_1)
	v_cmp_ne_u32_e64 s0, 0x7f800000, v45
                                        ; implicit-def: $vgpr45
	s_and_saveexec_b32 s9, s0
	s_delay_alu instid0(SALU_CYCLE_1)
	s_xor_b32 s0, exec_lo, s9
; %bb.2362:                             ;   in Loop: Header=BB458_1183 Depth=1
	v_bfe_u32 v45, v34, 16, 1
	s_delay_alu instid0(VALU_DEP_1)
	v_add3_u32 v45, v34, v45, 0x7fff
                                        ; implicit-def: $vgpr34
; %bb.2363:                             ;   in Loop: Header=BB458_1183 Depth=1
	s_and_not1_saveexec_b32 s9, s0
; %bb.2364:                             ;   in Loop: Header=BB458_1183 Depth=1
	v_and_b32_e32 v45, 0xffff, v34
	v_or_b32_e32 v46, 0x10000, v34
	s_delay_alu instid0(VALU_DEP_2) | instskip(NEXT) | instid1(VALU_DEP_1)
	v_cmp_eq_u32_e64 s0, 0, v45
	v_cndmask_b32_e64 v45, v46, v34, s0
; %bb.2365:                             ;   in Loop: Header=BB458_1183 Depth=1
	s_or_b32 exec_lo, exec_lo, s9
	v_lshlrev_b32_e32 v9, 16, v9
	s_delay_alu instid0(VALU_DEP_1) | instskip(NEXT) | instid1(VALU_DEP_1)
	v_mul_f32_e32 v9, v82, v9
	v_and_b32_e32 v34, 0x7f800000, v9
	s_delay_alu instid0(VALU_DEP_1) | instskip(NEXT) | instid1(VALU_DEP_1)
	v_cmp_ne_u32_e64 s0, 0x7f800000, v34
                                        ; implicit-def: $vgpr34
	s_and_saveexec_b32 s9, s0
	s_delay_alu instid0(SALU_CYCLE_1)
	s_xor_b32 s0, exec_lo, s9
; %bb.2366:                             ;   in Loop: Header=BB458_1183 Depth=1
	v_bfe_u32 v34, v9, 16, 1
	s_delay_alu instid0(VALU_DEP_1)
	v_add3_u32 v34, v9, v34, 0x7fff
                                        ; implicit-def: $vgpr9
; %bb.2367:                             ;   in Loop: Header=BB458_1183 Depth=1
	s_and_not1_saveexec_b32 s9, s0
; %bb.2368:                             ;   in Loop: Header=BB458_1183 Depth=1
	v_and_b32_e32 v34, 0xffff, v9
	v_or_b32_e32 v46, 0x10000, v9
	s_delay_alu instid0(VALU_DEP_2) | instskip(NEXT) | instid1(VALU_DEP_1)
	v_cmp_eq_u32_e64 s0, 0, v34
	v_cndmask_b32_e64 v34, v46, v9, s0
; %bb.2369:                             ;   in Loop: Header=BB458_1183 Depth=1
	s_or_b32 exec_lo, exec_lo, s9
	v_lshlrev_b32_e32 v7, 16, v7
                                        ; implicit-def: $vgpr46
	s_delay_alu instid0(VALU_DEP_1) | instskip(NEXT) | instid1(VALU_DEP_1)
	v_mul_f32_e32 v7, v83, v7
	v_and_b32_e32 v9, 0x7f800000, v7
	s_delay_alu instid0(VALU_DEP_1) | instskip(NEXT) | instid1(VALU_DEP_1)
	v_cmp_ne_u32_e64 s0, 0x7f800000, v9
	s_and_saveexec_b32 s9, s0
	s_delay_alu instid0(SALU_CYCLE_1)
	s_xor_b32 s0, exec_lo, s9
; %bb.2370:                             ;   in Loop: Header=BB458_1183 Depth=1
	v_bfe_u32 v9, v7, 16, 1
	s_delay_alu instid0(VALU_DEP_1)
	v_add3_u32 v46, v7, v9, 0x7fff
                                        ; implicit-def: $vgpr7
; %bb.2371:                             ;   in Loop: Header=BB458_1183 Depth=1
	s_and_not1_saveexec_b32 s9, s0
; %bb.2372:                             ;   in Loop: Header=BB458_1183 Depth=1
	v_and_b32_e32 v9, 0xffff, v7
	v_or_b32_e32 v46, 0x10000, v7
	s_delay_alu instid0(VALU_DEP_2) | instskip(NEXT) | instid1(VALU_DEP_1)
	v_cmp_eq_u32_e64 s0, 0, v9
	v_cndmask_b32_e64 v46, v46, v7, s0
; %bb.2373:                             ;   in Loop: Header=BB458_1183 Depth=1
	s_or_b32 exec_lo, exec_lo, s9
	v_lshlrev_b32_e32 v6, 16, v6
                                        ; implicit-def: $vgpr47
	s_delay_alu instid0(VALU_DEP_1) | instskip(NEXT) | instid1(VALU_DEP_1)
	v_mul_f32_e32 v6, v84, v6
	v_and_b32_e32 v7, 0x7f800000, v6
	s_delay_alu instid0(VALU_DEP_1) | instskip(NEXT) | instid1(VALU_DEP_1)
	v_cmp_ne_u32_e64 s0, 0x7f800000, v7
	s_and_saveexec_b32 s9, s0
	s_delay_alu instid0(SALU_CYCLE_1)
	s_xor_b32 s0, exec_lo, s9
; %bb.2374:                             ;   in Loop: Header=BB458_1183 Depth=1
	v_bfe_u32 v7, v6, 16, 1
	s_delay_alu instid0(VALU_DEP_1)
	v_add3_u32 v47, v6, v7, 0x7fff
                                        ; implicit-def: $vgpr6
; %bb.2375:                             ;   in Loop: Header=BB458_1183 Depth=1
	s_and_not1_saveexec_b32 s9, s0
; %bb.2376:                             ;   in Loop: Header=BB458_1183 Depth=1
	v_and_b32_e32 v7, 0xffff, v6
	v_or_b32_e32 v9, 0x10000, v6
	s_delay_alu instid0(VALU_DEP_2) | instskip(NEXT) | instid1(VALU_DEP_1)
	v_cmp_eq_u32_e64 s0, 0, v7
	v_cndmask_b32_e64 v47, v9, v6, s0
; %bb.2377:                             ;   in Loop: Header=BB458_1183 Depth=1
	s_or_b32 exec_lo, exec_lo, s9
	v_lshlrev_b32_e32 v3, 16, v3
                                        ; implicit-def: $vgpr56
	s_delay_alu instid0(VALU_DEP_1) | instskip(NEXT) | instid1(VALU_DEP_1)
	v_mul_f32_e32 v3, v85, v3
	v_and_b32_e32 v6, 0x7f800000, v3
	s_delay_alu instid0(VALU_DEP_1) | instskip(NEXT) | instid1(VALU_DEP_1)
	v_cmp_ne_u32_e64 s0, 0x7f800000, v6
	s_and_saveexec_b32 s9, s0
	s_delay_alu instid0(SALU_CYCLE_1)
	s_xor_b32 s0, exec_lo, s9
; %bb.2378:                             ;   in Loop: Header=BB458_1183 Depth=1
	v_bfe_u32 v6, v3, 16, 1
	s_delay_alu instid0(VALU_DEP_1)
	v_add3_u32 v56, v3, v6, 0x7fff
                                        ; implicit-def: $vgpr3
; %bb.2379:                             ;   in Loop: Header=BB458_1183 Depth=1
	s_and_not1_saveexec_b32 s9, s0
; %bb.2380:                             ;   in Loop: Header=BB458_1183 Depth=1
	v_and_b32_e32 v6, 0xffff, v3
	v_or_b32_e32 v7, 0x10000, v3
	s_delay_alu instid0(VALU_DEP_2) | instskip(NEXT) | instid1(VALU_DEP_1)
	v_cmp_eq_u32_e64 s0, 0, v6
	v_cndmask_b32_e64 v56, v7, v3, s0
; %bb.2381:                             ;   in Loop: Header=BB458_1183 Depth=1
	s_or_b32 exec_lo, exec_lo, s9
	v_lshlrev_b32_e32 v2, 16, v2
                                        ; implicit-def: $vgpr57
	s_delay_alu instid0(VALU_DEP_1) | instskip(NEXT) | instid1(VALU_DEP_1)
	v_mul_f32_e32 v2, v86, v2
	v_and_b32_e32 v3, 0x7f800000, v2
	s_delay_alu instid0(VALU_DEP_1) | instskip(NEXT) | instid1(VALU_DEP_1)
	v_cmp_ne_u32_e64 s0, 0x7f800000, v3
	s_and_saveexec_b32 s9, s0
	s_delay_alu instid0(SALU_CYCLE_1)
	s_xor_b32 s0, exec_lo, s9
; %bb.2382:                             ;   in Loop: Header=BB458_1183 Depth=1
	v_bfe_u32 v3, v2, 16, 1
	s_delay_alu instid0(VALU_DEP_1)
	v_add3_u32 v57, v2, v3, 0x7fff
                                        ; implicit-def: $vgpr2
; %bb.2383:                             ;   in Loop: Header=BB458_1183 Depth=1
	s_and_not1_saveexec_b32 s9, s0
; %bb.2384:                             ;   in Loop: Header=BB458_1183 Depth=1
	v_and_b32_e32 v3, 0xffff, v2
	v_or_b32_e32 v6, 0x10000, v2
	s_delay_alu instid0(VALU_DEP_2) | instskip(NEXT) | instid1(VALU_DEP_1)
	v_cmp_eq_u32_e64 s0, 0, v3
	v_cndmask_b32_e64 v57, v6, v2, s0
; %bb.2385:                             ;   in Loop: Header=BB458_1183 Depth=1
	s_or_b32 exec_lo, exec_lo, s9
	flat_load_b64 v[2:3], v[0:1] offset:2304
	s_mov_b32 s9, exec_lo
	s_waitcnt vmcnt(0) lgkmcnt(0)
	v_dual_mov_b32 v6, 0 :: v_dual_and_b32 v7, 0xff, v2
	s_delay_alu instid0(VALU_DEP_1)
	v_cmpx_ne_u16_e32 0, v7
	s_cbranch_execz .LBB458_2393
; %bb.2386:                             ;   in Loop: Header=BB458_1183 Depth=1
	v_bfrev_b32_e32 v6, 1
	s_mov_b32 s12, exec_lo
	v_cmpx_ne_u16_e32 0x80, v7
	s_cbranch_execz .LBB458_2392
; %bb.2387:                             ;   in Loop: Header=BB458_1183 Depth=1
	v_and_b32_e32 v7, 0x7f, v2
	v_mov_b32_e32 v6, 0x7f800001
	s_mov_b32 s13, exec_lo
	s_delay_alu instid0(VALU_DEP_2)
	v_cmpx_ne_u32_e32 0x7f, v7
	s_cbranch_execz .LBB458_2391
; %bb.2388:                             ;   in Loop: Header=BB458_1183 Depth=1
	v_lshrrev_b32_e32 v9, 3, v7
	v_cmp_gt_u32_e64 s0, 8, v7
	v_dual_mov_b32 v7, v3 :: v_dual_mov_b32 v6, v2
	s_delay_alu instid0(VALU_DEP_2)
	s_and_saveexec_b32 s15, s0
; %bb.2389:                             ;   in Loop: Header=BB458_1183 Depth=1
	v_and_b32_e32 v6, 7, v2
	s_delay_alu instid0(VALU_DEP_1) | instskip(NEXT) | instid1(VALU_DEP_1)
	v_clz_i32_u32_e32 v6, v6
	v_min_u32_e32 v9, 32, v6
	s_delay_alu instid0(VALU_DEP_1) | instskip(SKIP_1) | instid1(VALU_DEP_2)
	v_subrev_nc_u32_e32 v6, 28, v9
	v_sub_nc_u32_e32 v9, 29, v9
	v_lshlrev_b64 v[6:7], v6, v[2:3]
; %bb.2390:                             ;   in Loop: Header=BB458_1183 Depth=1
	s_or_b32 exec_lo, exec_lo, s15
	s_delay_alu instid0(VALU_DEP_1) | instskip(SKIP_2) | instid1(VALU_DEP_3)
	v_lshlrev_b32_e32 v6, 20, v6
	v_lshlrev_b32_e32 v7, 24, v2
	v_lshl_add_u32 v9, v9, 23, 0x3c000000
	v_and_b32_e32 v6, 0x700000, v6
	s_delay_alu instid0(VALU_DEP_3) | instskip(NEXT) | instid1(VALU_DEP_1)
	v_and_b32_e32 v7, 0x80000000, v7
	v_or3_b32 v6, v6, v7, v9
.LBB458_2391:                           ;   in Loop: Header=BB458_1183 Depth=1
	s_or_b32 exec_lo, exec_lo, s13
.LBB458_2392:                           ;   in Loop: Header=BB458_1183 Depth=1
	s_delay_alu instid0(SALU_CYCLE_1)
	s_or_b32 exec_lo, exec_lo, s12
.LBB458_2393:                           ;   in Loop: Header=BB458_1183 Depth=1
	s_delay_alu instid0(SALU_CYCLE_1) | instskip(NEXT) | instid1(VALU_DEP_1)
	s_or_b32 exec_lo, exec_lo, s9
	v_mul_f32_e32 v6, v26, v6
                                        ; implicit-def: $vgpr58
	s_delay_alu instid0(VALU_DEP_1) | instskip(NEXT) | instid1(VALU_DEP_1)
	v_and_b32_e32 v7, 0x7f800000, v6
	v_cmp_ne_u32_e64 s0, 0x7f800000, v7
	s_delay_alu instid0(VALU_DEP_1) | instskip(NEXT) | instid1(SALU_CYCLE_1)
	s_and_saveexec_b32 s9, s0
	s_xor_b32 s0, exec_lo, s9
; %bb.2394:                             ;   in Loop: Header=BB458_1183 Depth=1
	v_bfe_u32 v7, v6, 16, 1
	s_delay_alu instid0(VALU_DEP_1)
	v_add3_u32 v58, v6, v7, 0x7fff
                                        ; implicit-def: $vgpr6
; %bb.2395:                             ;   in Loop: Header=BB458_1183 Depth=1
	s_and_not1_saveexec_b32 s9, s0
; %bb.2396:                             ;   in Loop: Header=BB458_1183 Depth=1
	v_and_b32_e32 v7, 0xffff, v6
	v_or_b32_e32 v9, 0x10000, v6
	s_delay_alu instid0(VALU_DEP_2) | instskip(NEXT) | instid1(VALU_DEP_1)
	v_cmp_eq_u32_e64 s0, 0, v7
	v_cndmask_b32_e64 v58, v9, v6, s0
; %bb.2397:                             ;   in Loop: Header=BB458_1183 Depth=1
	s_or_b32 exec_lo, exec_lo, s9
	v_lshrrev_b16 v7, 8, v2
	v_mov_b32_e32 v6, 0
	s_mov_b32 s9, exec_lo
	s_delay_alu instid0(VALU_DEP_2)
	v_cmpx_ne_u16_e32 0, v7
	s_cbranch_execz .LBB458_2405
; %bb.2398:                             ;   in Loop: Header=BB458_1183 Depth=1
	v_bfrev_b32_e32 v6, 1
	s_mov_b32 s12, exec_lo
	v_cmpx_ne_u16_e32 0x80, v7
	s_cbranch_execz .LBB458_2404
; %bb.2399:                             ;   in Loop: Header=BB458_1183 Depth=1
	v_and_b32_e32 v9, 0xffff, v7
	v_mov_b32_e32 v6, 0x7f800001
	s_mov_b32 s13, exec_lo
	s_delay_alu instid0(VALU_DEP_2) | instskip(NEXT) | instid1(VALU_DEP_1)
	v_and_b32_e32 v7, 0x7f, v9
	v_cmpx_ne_u32_e32 0x7f, v7
	s_cbranch_execz .LBB458_2403
; %bb.2400:                             ;   in Loop: Header=BB458_1183 Depth=1
	v_and_b32_e32 v9, 7, v9
	v_lshrrev_b32_e32 v59, 3, v7
	v_cmp_gt_u32_e64 s0, 8, v7
	s_delay_alu instid0(VALU_DEP_3) | instskip(NEXT) | instid1(VALU_DEP_2)
	v_dual_mov_b32 v6, v9 :: v_dual_mov_b32 v7, v10
	s_and_saveexec_b32 s15, s0
; %bb.2401:                             ;   in Loop: Header=BB458_1183 Depth=1
	v_clz_i32_u32_e32 v6, v9
	s_delay_alu instid0(VALU_DEP_1) | instskip(NEXT) | instid1(VALU_DEP_1)
	v_min_u32_e32 v59, 32, v6
	v_subrev_nc_u32_e32 v6, 28, v59
	v_sub_nc_u32_e32 v59, 29, v59
	s_delay_alu instid0(VALU_DEP_2) | instskip(NEXT) | instid1(VALU_DEP_1)
	v_lshlrev_b64 v[6:7], v6, v[9:10]
	v_and_b32_e32 v6, 7, v6
; %bb.2402:                             ;   in Loop: Header=BB458_1183 Depth=1
	s_or_b32 exec_lo, exec_lo, s15
	v_lshlrev_b32_e32 v7, 16, v2
	s_delay_alu instid0(VALU_DEP_2) | instskip(SKIP_1) | instid1(VALU_DEP_3)
	v_lshlrev_b32_e32 v6, 20, v6
	v_lshl_add_u32 v9, v59, 23, 0x3c000000
	v_and_b32_e32 v7, 0x80000000, v7
	s_delay_alu instid0(VALU_DEP_1)
	v_or3_b32 v6, v6, v7, v9
.LBB458_2403:                           ;   in Loop: Header=BB458_1183 Depth=1
	s_or_b32 exec_lo, exec_lo, s13
.LBB458_2404:                           ;   in Loop: Header=BB458_1183 Depth=1
	s_delay_alu instid0(SALU_CYCLE_1)
	s_or_b32 exec_lo, exec_lo, s12
.LBB458_2405:                           ;   in Loop: Header=BB458_1183 Depth=1
	s_delay_alu instid0(SALU_CYCLE_1) | instskip(NEXT) | instid1(VALU_DEP_1)
	s_or_b32 exec_lo, exec_lo, s9
	v_mul_f32_e32 v6, v26, v6
                                        ; implicit-def: $vgpr59
	s_delay_alu instid0(VALU_DEP_1) | instskip(NEXT) | instid1(VALU_DEP_1)
	v_and_b32_e32 v7, 0x7f800000, v6
	v_cmp_ne_u32_e64 s0, 0x7f800000, v7
	s_delay_alu instid0(VALU_DEP_1) | instskip(NEXT) | instid1(SALU_CYCLE_1)
	s_and_saveexec_b32 s9, s0
	s_xor_b32 s0, exec_lo, s9
; %bb.2406:                             ;   in Loop: Header=BB458_1183 Depth=1
	v_bfe_u32 v7, v6, 16, 1
	s_delay_alu instid0(VALU_DEP_1)
	v_add3_u32 v59, v6, v7, 0x7fff
                                        ; implicit-def: $vgpr6
; %bb.2407:                             ;   in Loop: Header=BB458_1183 Depth=1
	s_and_not1_saveexec_b32 s9, s0
; %bb.2408:                             ;   in Loop: Header=BB458_1183 Depth=1
	v_and_b32_e32 v7, 0xffff, v6
	v_or_b32_e32 v9, 0x10000, v6
	s_delay_alu instid0(VALU_DEP_2) | instskip(NEXT) | instid1(VALU_DEP_1)
	v_cmp_eq_u32_e64 s0, 0, v7
	v_cndmask_b32_e64 v59, v9, v6, s0
; %bb.2409:                             ;   in Loop: Header=BB458_1183 Depth=1
	s_or_b32 exec_lo, exec_lo, s9
	v_lshrrev_b32_e32 v60, 16, v2
	s_mov_b32 s9, exec_lo
	s_delay_alu instid0(VALU_DEP_1) | instskip(NEXT) | instid1(VALU_DEP_1)
	v_dual_mov_b32 v6, 0 :: v_dual_and_b32 v7, 0xff, v60
	v_cmpx_ne_u16_e32 0, v7
	s_cbranch_execz .LBB458_2417
; %bb.2410:                             ;   in Loop: Header=BB458_1183 Depth=1
	v_bfrev_b32_e32 v6, 1
	s_mov_b32 s12, exec_lo
	v_cmpx_ne_u16_e32 0x80, v7
	s_cbranch_execz .LBB458_2416
; %bb.2411:                             ;   in Loop: Header=BB458_1183 Depth=1
	v_bfe_u32 v7, v2, 16, 7
	v_mov_b32_e32 v6, 0x7f800001
	s_mov_b32 s13, exec_lo
	s_delay_alu instid0(VALU_DEP_2)
	v_cmpx_ne_u32_e32 0x7f, v7
	s_cbranch_execz .LBB458_2415
; %bb.2412:                             ;   in Loop: Header=BB458_1183 Depth=1
	v_and_b32_e32 v9, 7, v60
	v_lshrrev_b32_e32 v61, 3, v7
	v_cmp_gt_u32_e64 s0, 8, v7
	s_delay_alu instid0(VALU_DEP_3) | instskip(NEXT) | instid1(VALU_DEP_2)
	v_dual_mov_b32 v6, v9 :: v_dual_mov_b32 v7, v10
	s_and_saveexec_b32 s15, s0
; %bb.2413:                             ;   in Loop: Header=BB458_1183 Depth=1
	v_clz_i32_u32_e32 v6, v9
	s_delay_alu instid0(VALU_DEP_1) | instskip(NEXT) | instid1(VALU_DEP_1)
	v_min_u32_e32 v61, 32, v6
	v_subrev_nc_u32_e32 v6, 28, v61
	v_sub_nc_u32_e32 v61, 29, v61
	s_delay_alu instid0(VALU_DEP_2) | instskip(NEXT) | instid1(VALU_DEP_1)
	v_lshlrev_b64 v[6:7], v6, v[9:10]
	v_and_b32_e32 v6, 7, v6
; %bb.2414:                             ;   in Loop: Header=BB458_1183 Depth=1
	s_or_b32 exec_lo, exec_lo, s15
	v_lshlrev_b32_e32 v7, 24, v60
	s_delay_alu instid0(VALU_DEP_2) | instskip(SKIP_1) | instid1(VALU_DEP_3)
	v_lshlrev_b32_e32 v6, 20, v6
	v_lshl_add_u32 v9, v61, 23, 0x3c000000
	v_and_b32_e32 v7, 0x80000000, v7
	s_delay_alu instid0(VALU_DEP_1)
	v_or3_b32 v6, v6, v7, v9
.LBB458_2415:                           ;   in Loop: Header=BB458_1183 Depth=1
	s_or_b32 exec_lo, exec_lo, s13
.LBB458_2416:                           ;   in Loop: Header=BB458_1183 Depth=1
	s_delay_alu instid0(SALU_CYCLE_1)
	s_or_b32 exec_lo, exec_lo, s12
.LBB458_2417:                           ;   in Loop: Header=BB458_1183 Depth=1
	s_delay_alu instid0(SALU_CYCLE_1) | instskip(NEXT) | instid1(VALU_DEP_1)
	s_or_b32 exec_lo, exec_lo, s9
	v_mul_f32_e32 v6, v26, v6
                                        ; implicit-def: $vgpr60
	s_delay_alu instid0(VALU_DEP_1) | instskip(NEXT) | instid1(VALU_DEP_1)
	v_and_b32_e32 v7, 0x7f800000, v6
	v_cmp_ne_u32_e64 s0, 0x7f800000, v7
	s_delay_alu instid0(VALU_DEP_1) | instskip(NEXT) | instid1(SALU_CYCLE_1)
	s_and_saveexec_b32 s9, s0
	s_xor_b32 s0, exec_lo, s9
; %bb.2418:                             ;   in Loop: Header=BB458_1183 Depth=1
	v_bfe_u32 v7, v6, 16, 1
	s_delay_alu instid0(VALU_DEP_1)
	v_add3_u32 v60, v6, v7, 0x7fff
                                        ; implicit-def: $vgpr6
; %bb.2419:                             ;   in Loop: Header=BB458_1183 Depth=1
	s_and_not1_saveexec_b32 s9, s0
; %bb.2420:                             ;   in Loop: Header=BB458_1183 Depth=1
	v_and_b32_e32 v7, 0xffff, v6
	v_or_b32_e32 v9, 0x10000, v6
	s_delay_alu instid0(VALU_DEP_2) | instskip(NEXT) | instid1(VALU_DEP_1)
	v_cmp_eq_u32_e64 s0, 0, v7
	v_cndmask_b32_e64 v60, v9, v6, s0
; %bb.2421:                             ;   in Loop: Header=BB458_1183 Depth=1
	s_or_b32 exec_lo, exec_lo, s9
	v_mov_b32_e32 v6, 0
	s_mov_b32 s9, exec_lo
	v_cmpx_lt_u32_e32 0xffffff, v2
	s_cbranch_execz .LBB458_2429
; %bb.2422:                             ;   in Loop: Header=BB458_1183 Depth=1
	v_lshrrev_b32_e32 v61, 24, v2
	v_bfrev_b32_e32 v6, 1
	s_mov_b32 s12, exec_lo
	s_delay_alu instid0(VALU_DEP_2)
	v_cmpx_ne_u32_e32 0x80, v61
	s_cbranch_execz .LBB458_2428
; %bb.2423:                             ;   in Loop: Header=BB458_1183 Depth=1
	v_bfe_u32 v7, v2, 24, 7
	v_mov_b32_e32 v6, 0x7f800001
	s_mov_b32 s13, exec_lo
	s_delay_alu instid0(VALU_DEP_2)
	v_cmpx_ne_u32_e32 0x7f, v7
	s_cbranch_execz .LBB458_2427
; %bb.2424:                             ;   in Loop: Header=BB458_1183 Depth=1
	v_and_b32_e32 v9, 7, v61
	v_lshrrev_b32_e32 v62, 3, v7
	v_cmp_gt_u32_e64 s0, 8, v7
	s_delay_alu instid0(VALU_DEP_3) | instskip(NEXT) | instid1(VALU_DEP_2)
	v_dual_mov_b32 v6, v9 :: v_dual_mov_b32 v7, v10
	s_and_saveexec_b32 s15, s0
; %bb.2425:                             ;   in Loop: Header=BB458_1183 Depth=1
	v_clz_i32_u32_e32 v6, v9
	s_delay_alu instid0(VALU_DEP_1) | instskip(NEXT) | instid1(VALU_DEP_1)
	v_min_u32_e32 v62, 32, v6
	v_subrev_nc_u32_e32 v6, 28, v62
	v_sub_nc_u32_e32 v62, 29, v62
	s_delay_alu instid0(VALU_DEP_2) | instskip(NEXT) | instid1(VALU_DEP_1)
	v_lshlrev_b64 v[6:7], v6, v[9:10]
	v_and_b32_e32 v6, 7, v6
; %bb.2426:                             ;   in Loop: Header=BB458_1183 Depth=1
	s_or_b32 exec_lo, exec_lo, s15
	v_lshlrev_b32_e32 v7, 24, v61
	s_delay_alu instid0(VALU_DEP_2) | instskip(SKIP_1) | instid1(VALU_DEP_3)
	v_lshlrev_b32_e32 v6, 20, v6
	v_lshl_add_u32 v9, v62, 23, 0x3c000000
	v_and_b32_e32 v7, 0x80000000, v7
	s_delay_alu instid0(VALU_DEP_1)
	v_or3_b32 v6, v6, v7, v9
.LBB458_2427:                           ;   in Loop: Header=BB458_1183 Depth=1
	s_or_b32 exec_lo, exec_lo, s13
.LBB458_2428:                           ;   in Loop: Header=BB458_1183 Depth=1
	s_delay_alu instid0(SALU_CYCLE_1)
	s_or_b32 exec_lo, exec_lo, s12
.LBB458_2429:                           ;   in Loop: Header=BB458_1183 Depth=1
	s_delay_alu instid0(SALU_CYCLE_1) | instskip(NEXT) | instid1(VALU_DEP_1)
	s_or_b32 exec_lo, exec_lo, s9
	v_mul_f32_e32 v6, v26, v6
                                        ; implicit-def: $vgpr61
	s_delay_alu instid0(VALU_DEP_1) | instskip(NEXT) | instid1(VALU_DEP_1)
	v_and_b32_e32 v7, 0x7f800000, v6
	v_cmp_ne_u32_e64 s0, 0x7f800000, v7
	s_delay_alu instid0(VALU_DEP_1) | instskip(NEXT) | instid1(SALU_CYCLE_1)
	s_and_saveexec_b32 s9, s0
	s_xor_b32 s0, exec_lo, s9
; %bb.2430:                             ;   in Loop: Header=BB458_1183 Depth=1
	v_bfe_u32 v7, v6, 16, 1
	s_delay_alu instid0(VALU_DEP_1)
	v_add3_u32 v61, v6, v7, 0x7fff
                                        ; implicit-def: $vgpr6
; %bb.2431:                             ;   in Loop: Header=BB458_1183 Depth=1
	s_and_not1_saveexec_b32 s9, s0
; %bb.2432:                             ;   in Loop: Header=BB458_1183 Depth=1
	v_and_b32_e32 v7, 0xffff, v6
	v_or_b32_e32 v9, 0x10000, v6
	s_delay_alu instid0(VALU_DEP_2) | instskip(NEXT) | instid1(VALU_DEP_1)
	v_cmp_eq_u32_e64 s0, 0, v7
	v_cndmask_b32_e64 v61, v9, v6, s0
; %bb.2433:                             ;   in Loop: Header=BB458_1183 Depth=1
	s_or_b32 exec_lo, exec_lo, s9
	v_dual_mov_b32 v6, 0 :: v_dual_and_b32 v7, 0xff, v3
	v_mov_b32_e32 v9, v3
	s_mov_b32 s9, exec_lo
	s_delay_alu instid0(VALU_DEP_2)
	v_cmpx_ne_u16_e32 0, v7
	s_cbranch_execz .LBB458_2441
; %bb.2434:                             ;   in Loop: Header=BB458_1183 Depth=1
	v_bfrev_b32_e32 v6, 1
	s_mov_b32 s12, exec_lo
	v_cmpx_ne_u16_e32 0x80, v7
	s_cbranch_execz .LBB458_2440
; %bb.2435:                             ;   in Loop: Header=BB458_1183 Depth=1
	v_and_b32_e32 v7, 0x7f, v3
	v_mov_b32_e32 v6, 0x7f800001
	s_mov_b32 s13, exec_lo
	s_delay_alu instid0(VALU_DEP_2)
	v_cmpx_ne_u32_e32 0x7f, v7
	s_cbranch_execz .LBB458_2439
; %bb.2436:                             ;   in Loop: Header=BB458_1183 Depth=1
	v_lshrrev_b32_e32 v62, 3, v7
	v_cmp_gt_u32_e64 s0, 8, v7
	v_dual_mov_b32 v6, v9 :: v_dual_mov_b32 v7, v10
	s_delay_alu instid0(VALU_DEP_2)
	s_and_saveexec_b32 s15, s0
; %bb.2437:                             ;   in Loop: Header=BB458_1183 Depth=1
	v_and_b32_e32 v6, 7, v3
	s_delay_alu instid0(VALU_DEP_1) | instskip(NEXT) | instid1(VALU_DEP_1)
	v_clz_i32_u32_e32 v6, v6
	v_min_u32_e32 v62, 32, v6
	s_delay_alu instid0(VALU_DEP_1) | instskip(SKIP_1) | instid1(VALU_DEP_2)
	v_subrev_nc_u32_e32 v6, 28, v62
	v_sub_nc_u32_e32 v62, 29, v62
	v_lshlrev_b64 v[6:7], v6, v[9:10]
; %bb.2438:                             ;   in Loop: Header=BB458_1183 Depth=1
	s_or_b32 exec_lo, exec_lo, s15
	s_delay_alu instid0(VALU_DEP_1) | instskip(SKIP_2) | instid1(VALU_DEP_3)
	v_lshlrev_b32_e32 v6, 20, v6
	v_lshlrev_b32_e32 v7, 24, v9
	v_lshl_add_u32 v62, v62, 23, 0x3c000000
	v_and_b32_e32 v6, 0x700000, v6
	s_delay_alu instid0(VALU_DEP_3) | instskip(NEXT) | instid1(VALU_DEP_1)
	v_and_b32_e32 v7, 0x80000000, v7
	v_or3_b32 v6, v6, v7, v62
.LBB458_2439:                           ;   in Loop: Header=BB458_1183 Depth=1
	s_or_b32 exec_lo, exec_lo, s13
.LBB458_2440:                           ;   in Loop: Header=BB458_1183 Depth=1
	s_delay_alu instid0(SALU_CYCLE_1)
	s_or_b32 exec_lo, exec_lo, s12
.LBB458_2441:                           ;   in Loop: Header=BB458_1183 Depth=1
	s_delay_alu instid0(SALU_CYCLE_1) | instskip(NEXT) | instid1(VALU_DEP_1)
	s_or_b32 exec_lo, exec_lo, s9
	v_mul_f32_e32 v6, v26, v6
                                        ; implicit-def: $vgpr62
	s_delay_alu instid0(VALU_DEP_1) | instskip(NEXT) | instid1(VALU_DEP_1)
	v_and_b32_e32 v7, 0x7f800000, v6
	v_cmp_ne_u32_e64 s0, 0x7f800000, v7
	s_delay_alu instid0(VALU_DEP_1) | instskip(NEXT) | instid1(SALU_CYCLE_1)
	s_and_saveexec_b32 s9, s0
	s_xor_b32 s0, exec_lo, s9
; %bb.2442:                             ;   in Loop: Header=BB458_1183 Depth=1
	v_bfe_u32 v7, v6, 16, 1
	s_delay_alu instid0(VALU_DEP_1)
	v_add3_u32 v62, v6, v7, 0x7fff
                                        ; implicit-def: $vgpr6
; %bb.2443:                             ;   in Loop: Header=BB458_1183 Depth=1
	s_and_not1_saveexec_b32 s9, s0
; %bb.2444:                             ;   in Loop: Header=BB458_1183 Depth=1
	v_and_b32_e32 v7, 0xffff, v6
	v_or_b32_e32 v62, 0x10000, v6
	s_delay_alu instid0(VALU_DEP_2) | instskip(NEXT) | instid1(VALU_DEP_1)
	v_cmp_eq_u32_e64 s0, 0, v7
	v_cndmask_b32_e64 v62, v62, v6, s0
; %bb.2445:                             ;   in Loop: Header=BB458_1183 Depth=1
	s_or_b32 exec_lo, exec_lo, s9
	v_lshrrev_b16 v7, 8, v9
	v_mov_b32_e32 v6, 0
	s_mov_b32 s9, exec_lo
	s_delay_alu instid0(VALU_DEP_2)
	v_cmpx_ne_u16_e32 0, v7
	s_cbranch_execz .LBB458_2453
; %bb.2446:                             ;   in Loop: Header=BB458_1183 Depth=1
	v_bfrev_b32_e32 v6, 1
	s_mov_b32 s12, exec_lo
	v_cmpx_ne_u16_e32 0x80, v7
	s_cbranch_execz .LBB458_2452
; %bb.2447:                             ;   in Loop: Header=BB458_1183 Depth=1
	v_and_b32_e32 v7, 0xffff, v7
	v_mov_b32_e32 v6, 0x7f800001
	s_mov_b32 s13, exec_lo
	s_delay_alu instid0(VALU_DEP_2) | instskip(NEXT) | instid1(VALU_DEP_1)
	v_and_b32_e32 v72, 0x7f, v7
	v_cmpx_ne_u32_e32 0x7f, v72
	s_cbranch_execz .LBB458_2451
; %bb.2448:                             ;   in Loop: Header=BB458_1183 Depth=1
	v_dual_mov_b32 v7, v10 :: v_dual_and_b32 v6, 7, v7
	v_lshrrev_b32_e32 v63, 3, v72
	s_mov_b32 s15, exec_lo
	v_cmpx_gt_u32_e32 8, v72
; %bb.2449:                             ;   in Loop: Header=BB458_1183 Depth=1
	s_delay_alu instid0(VALU_DEP_3) | instskip(NEXT) | instid1(VALU_DEP_1)
	v_clz_i32_u32_e32 v63, v6
	v_min_u32_e32 v63, 32, v63
	s_delay_alu instid0(VALU_DEP_1) | instskip(SKIP_1) | instid1(VALU_DEP_2)
	v_subrev_nc_u32_e32 v72, 28, v63
	v_sub_nc_u32_e32 v63, 29, v63
	v_lshlrev_b64 v[6:7], v72, v[6:7]
	s_delay_alu instid0(VALU_DEP_1)
	v_and_b32_e32 v6, 7, v6
; %bb.2450:                             ;   in Loop: Header=BB458_1183 Depth=1
	s_or_b32 exec_lo, exec_lo, s15
	v_lshlrev_b32_e32 v7, 16, v9
	s_delay_alu instid0(VALU_DEP_2) | instskip(SKIP_1) | instid1(VALU_DEP_3)
	v_lshlrev_b32_e32 v6, 20, v6
	v_lshl_add_u32 v9, v63, 23, 0x3c000000
	v_and_b32_e32 v7, 0x80000000, v7
	s_delay_alu instid0(VALU_DEP_1)
	v_or3_b32 v6, v6, v7, v9
.LBB458_2451:                           ;   in Loop: Header=BB458_1183 Depth=1
	s_or_b32 exec_lo, exec_lo, s13
.LBB458_2452:                           ;   in Loop: Header=BB458_1183 Depth=1
	s_delay_alu instid0(SALU_CYCLE_1)
	s_or_b32 exec_lo, exec_lo, s12
.LBB458_2453:                           ;   in Loop: Header=BB458_1183 Depth=1
	s_delay_alu instid0(SALU_CYCLE_1) | instskip(NEXT) | instid1(VALU_DEP_1)
	s_or_b32 exec_lo, exec_lo, s9
	v_mul_f32_e32 v6, v26, v6
                                        ; implicit-def: $vgpr63
	s_delay_alu instid0(VALU_DEP_1) | instskip(NEXT) | instid1(VALU_DEP_1)
	v_and_b32_e32 v7, 0x7f800000, v6
	v_cmp_ne_u32_e64 s0, 0x7f800000, v7
	s_delay_alu instid0(VALU_DEP_1) | instskip(NEXT) | instid1(SALU_CYCLE_1)
	s_and_saveexec_b32 s9, s0
	s_xor_b32 s0, exec_lo, s9
; %bb.2454:                             ;   in Loop: Header=BB458_1183 Depth=1
	v_bfe_u32 v7, v6, 16, 1
	s_delay_alu instid0(VALU_DEP_1)
	v_add3_u32 v63, v6, v7, 0x7fff
                                        ; implicit-def: $vgpr6
; %bb.2455:                             ;   in Loop: Header=BB458_1183 Depth=1
	s_and_not1_saveexec_b32 s9, s0
; %bb.2456:                             ;   in Loop: Header=BB458_1183 Depth=1
	v_and_b32_e32 v7, 0xffff, v6
	v_or_b32_e32 v9, 0x10000, v6
	s_delay_alu instid0(VALU_DEP_2) | instskip(NEXT) | instid1(VALU_DEP_1)
	v_cmp_eq_u32_e64 s0, 0, v7
	v_cndmask_b32_e64 v63, v9, v6, s0
; %bb.2457:                             ;   in Loop: Header=BB458_1183 Depth=1
	s_or_b32 exec_lo, exec_lo, s9
	v_lshrrev_b32_e32 v72, 16, v3
	s_mov_b32 s9, exec_lo
	s_delay_alu instid0(VALU_DEP_1) | instskip(NEXT) | instid1(VALU_DEP_1)
	v_dual_mov_b32 v6, 0 :: v_dual_and_b32 v7, 0xff, v72
	v_cmpx_ne_u16_e32 0, v7
	s_cbranch_execz .LBB458_2465
; %bb.2458:                             ;   in Loop: Header=BB458_1183 Depth=1
	v_bfrev_b32_e32 v6, 1
	s_mov_b32 s12, exec_lo
	v_cmpx_ne_u16_e32 0x80, v7
	s_cbranch_execz .LBB458_2464
; %bb.2459:                             ;   in Loop: Header=BB458_1183 Depth=1
	v_bfe_u32 v7, v3, 16, 7
	v_mov_b32_e32 v6, 0x7f800001
	s_mov_b32 s13, exec_lo
	s_delay_alu instid0(VALU_DEP_2)
	v_cmpx_ne_u32_e32 0x7f, v7
	s_cbranch_execz .LBB458_2463
; %bb.2460:                             ;   in Loop: Header=BB458_1183 Depth=1
	v_and_b32_e32 v9, 7, v72
	v_lshrrev_b32_e32 v73, 3, v7
	v_cmp_gt_u32_e64 s0, 8, v7
	s_delay_alu instid0(VALU_DEP_3) | instskip(NEXT) | instid1(VALU_DEP_2)
	v_dual_mov_b32 v6, v9 :: v_dual_mov_b32 v7, v10
	s_and_saveexec_b32 s15, s0
; %bb.2461:                             ;   in Loop: Header=BB458_1183 Depth=1
	v_clz_i32_u32_e32 v6, v9
	s_delay_alu instid0(VALU_DEP_1) | instskip(NEXT) | instid1(VALU_DEP_1)
	v_min_u32_e32 v73, 32, v6
	v_subrev_nc_u32_e32 v6, 28, v73
	v_sub_nc_u32_e32 v73, 29, v73
	s_delay_alu instid0(VALU_DEP_2) | instskip(NEXT) | instid1(VALU_DEP_1)
	v_lshlrev_b64 v[6:7], v6, v[9:10]
	v_and_b32_e32 v6, 7, v6
; %bb.2462:                             ;   in Loop: Header=BB458_1183 Depth=1
	s_or_b32 exec_lo, exec_lo, s15
	v_lshlrev_b32_e32 v7, 24, v72
	s_delay_alu instid0(VALU_DEP_2) | instskip(SKIP_1) | instid1(VALU_DEP_3)
	v_lshlrev_b32_e32 v6, 20, v6
	v_lshl_add_u32 v9, v73, 23, 0x3c000000
	v_and_b32_e32 v7, 0x80000000, v7
	s_delay_alu instid0(VALU_DEP_1)
	v_or3_b32 v6, v6, v7, v9
.LBB458_2463:                           ;   in Loop: Header=BB458_1183 Depth=1
	s_or_b32 exec_lo, exec_lo, s13
.LBB458_2464:                           ;   in Loop: Header=BB458_1183 Depth=1
	s_delay_alu instid0(SALU_CYCLE_1)
	s_or_b32 exec_lo, exec_lo, s12
.LBB458_2465:                           ;   in Loop: Header=BB458_1183 Depth=1
	s_delay_alu instid0(SALU_CYCLE_1) | instskip(NEXT) | instid1(VALU_DEP_1)
	s_or_b32 exec_lo, exec_lo, s9
	v_mul_f32_e32 v6, v26, v6
                                        ; implicit-def: $vgpr72
	s_delay_alu instid0(VALU_DEP_1) | instskip(NEXT) | instid1(VALU_DEP_1)
	v_and_b32_e32 v7, 0x7f800000, v6
	v_cmp_ne_u32_e64 s0, 0x7f800000, v7
	s_delay_alu instid0(VALU_DEP_1) | instskip(NEXT) | instid1(SALU_CYCLE_1)
	s_and_saveexec_b32 s9, s0
	s_xor_b32 s0, exec_lo, s9
; %bb.2466:                             ;   in Loop: Header=BB458_1183 Depth=1
	v_bfe_u32 v7, v6, 16, 1
	s_delay_alu instid0(VALU_DEP_1)
	v_add3_u32 v72, v6, v7, 0x7fff
                                        ; implicit-def: $vgpr6
; %bb.2467:                             ;   in Loop: Header=BB458_1183 Depth=1
	s_and_not1_saveexec_b32 s9, s0
; %bb.2468:                             ;   in Loop: Header=BB458_1183 Depth=1
	v_and_b32_e32 v7, 0xffff, v6
	v_or_b32_e32 v9, 0x10000, v6
	s_delay_alu instid0(VALU_DEP_2) | instskip(NEXT) | instid1(VALU_DEP_1)
	v_cmp_eq_u32_e64 s0, 0, v7
	v_cndmask_b32_e64 v72, v9, v6, s0
; %bb.2469:                             ;   in Loop: Header=BB458_1183 Depth=1
	s_or_b32 exec_lo, exec_lo, s9
	v_cmp_lt_u64_e64 s0, s[2:3], v[2:3]
	v_mov_b32_e32 v2, 0
	s_delay_alu instid0(VALU_DEP_2)
	s_and_saveexec_b32 s9, s0
	s_cbranch_execz .LBB458_2477
; %bb.2470:                             ;   in Loop: Header=BB458_1183 Depth=1
	v_lshrrev_b32_e32 v6, 24, v3
	v_bfrev_b32_e32 v2, 1
	s_mov_b32 s12, exec_lo
	s_delay_alu instid0(VALU_DEP_2)
	v_cmpx_ne_u32_e32 0x80, v6
	s_cbranch_execz .LBB458_2476
; %bb.2471:                             ;   in Loop: Header=BB458_1183 Depth=1
	v_bfe_u32 v3, v3, 24, 7
	v_mov_b32_e32 v2, 0x7f800001
	s_mov_b32 s13, exec_lo
	s_delay_alu instid0(VALU_DEP_2)
	v_cmpx_ne_u32_e32 0x7f, v3
	s_cbranch_execz .LBB458_2475
; %bb.2472:                             ;   in Loop: Header=BB458_1183 Depth=1
	v_and_b32_e32 v9, 7, v6
	v_lshrrev_b32_e32 v7, 3, v3
	v_cmp_gt_u32_e64 s0, 8, v3
	s_delay_alu instid0(VALU_DEP_3) | instskip(NEXT) | instid1(VALU_DEP_2)
	v_dual_mov_b32 v2, v9 :: v_dual_mov_b32 v3, v10
	s_and_saveexec_b32 s15, s0
; %bb.2473:                             ;   in Loop: Header=BB458_1183 Depth=1
	v_clz_i32_u32_e32 v2, v9
	s_delay_alu instid0(VALU_DEP_1) | instskip(NEXT) | instid1(VALU_DEP_1)
	v_min_u32_e32 v7, 32, v2
	v_subrev_nc_u32_e32 v2, 28, v7
	v_sub_nc_u32_e32 v7, 29, v7
	s_delay_alu instid0(VALU_DEP_2) | instskip(NEXT) | instid1(VALU_DEP_1)
	v_lshlrev_b64 v[2:3], v2, v[9:10]
	v_and_b32_e32 v2, 7, v2
; %bb.2474:                             ;   in Loop: Header=BB458_1183 Depth=1
	s_or_b32 exec_lo, exec_lo, s15
	v_lshlrev_b32_e32 v3, 24, v6
	s_delay_alu instid0(VALU_DEP_2) | instskip(SKIP_1) | instid1(VALU_DEP_3)
	v_lshlrev_b32_e32 v2, 20, v2
	v_lshl_add_u32 v6, v7, 23, 0x3c000000
	v_and_b32_e32 v3, 0x80000000, v3
	s_delay_alu instid0(VALU_DEP_1)
	v_or3_b32 v2, v2, v3, v6
.LBB458_2475:                           ;   in Loop: Header=BB458_1183 Depth=1
	s_or_b32 exec_lo, exec_lo, s13
.LBB458_2476:                           ;   in Loop: Header=BB458_1183 Depth=1
	s_delay_alu instid0(SALU_CYCLE_1)
	s_or_b32 exec_lo, exec_lo, s12
.LBB458_2477:                           ;   in Loop: Header=BB458_1183 Depth=1
	s_delay_alu instid0(SALU_CYCLE_1) | instskip(NEXT) | instid1(VALU_DEP_1)
	s_or_b32 exec_lo, exec_lo, s9
	v_mul_f32_e32 v3, v26, v2
	s_delay_alu instid0(VALU_DEP_1) | instskip(NEXT) | instid1(VALU_DEP_1)
	v_and_b32_e32 v2, 0x7f800000, v3
	v_cmp_ne_u32_e64 s0, 0x7f800000, v2
                                        ; implicit-def: $vgpr2
	s_delay_alu instid0(VALU_DEP_1) | instskip(NEXT) | instid1(SALU_CYCLE_1)
	s_and_saveexec_b32 s9, s0
	s_xor_b32 s0, exec_lo, s9
; %bb.2478:                             ;   in Loop: Header=BB458_1183 Depth=1
	v_bfe_u32 v2, v3, 16, 1
	s_delay_alu instid0(VALU_DEP_1)
	v_add3_u32 v2, v3, v2, 0x7fff
                                        ; implicit-def: $vgpr3
; %bb.2479:                             ;   in Loop: Header=BB458_1183 Depth=1
	s_and_not1_saveexec_b32 s9, s0
; %bb.2480:                             ;   in Loop: Header=BB458_1183 Depth=1
	v_and_b32_e32 v2, 0xffff, v3
	v_or_b32_e32 v6, 0x10000, v3
	s_delay_alu instid0(VALU_DEP_2) | instskip(NEXT) | instid1(VALU_DEP_1)
	v_cmp_eq_u32_e64 s0, 0, v2
	v_cndmask_b32_e64 v2, v6, v3, s0
; %bb.2481:                             ;   in Loop: Header=BB458_1183 Depth=1
	s_or_b32 exec_lo, exec_lo, s9
	v_lshrrev_b32_e32 v6, 16, v63
	v_lshrrev_b32_e32 v7, 16, v62
	;; [unrolled: 1-line block ×8, first 2 shown]
	s_and_saveexec_b32 s9, vcc_lo
	s_cbranch_execz .LBB458_2483
; %bb.2482:                             ;   in Loop: Header=BB458_1183 Depth=1
	v_cmp_lt_i32_e64 s0, v64, v35
	s_delay_alu instid0(VALU_DEP_1) | instskip(SKIP_1) | instid1(VALU_DEP_1)
	v_cndmask_b32_e64 v58, 0, v58, s0
	v_cmp_lt_i32_e64 s0, v70, v35
	v_cndmask_b32_e64 v59, 0, v59, s0
	v_cmp_lt_i32_e64 s0, v69, v35
	s_delay_alu instid0(VALU_DEP_1) | instskip(SKIP_1) | instid1(VALU_DEP_1)
	v_cndmask_b32_e64 v60, 0, v60, s0
	v_cmp_lt_i32_e64 s0, v68, v35
	v_cndmask_b32_e64 v9, 0, v9, s0
	v_cmp_lt_i32_e64 s0, v67, v35
	s_delay_alu instid0(VALU_DEP_1) | instskip(SKIP_1) | instid1(VALU_DEP_1)
	v_cndmask_b32_e64 v7, 0, v7, s0
	v_cmp_lt_i32_e64 s0, v66, v35
	v_cndmask_b32_e64 v6, 0, v6, s0
	v_cmp_lt_i32_e64 s0, v65, v35
	s_delay_alu instid0(VALU_DEP_1) | instskip(SKIP_1) | instid1(VALU_DEP_1)
	v_cndmask_b32_e64 v3, 0, v3, s0
	v_cmp_lt_i32_e64 s0, v15, v35
	v_cndmask_b32_e64 v2, 0, v2, s0
.LBB458_2483:                           ;   in Loop: Header=BB458_1183 Depth=1
	s_or_b32 exec_lo, exec_lo, s9
	v_lshlrev_b32_e32 v58, 16, v58
	s_delay_alu instid0(VALU_DEP_1) | instskip(NEXT) | instid1(VALU_DEP_1)
	v_mul_f32_e32 v61, v71, v58
	v_and_b32_e32 v58, 0x7f800000, v61
	s_delay_alu instid0(VALU_DEP_1) | instskip(NEXT) | instid1(VALU_DEP_1)
	v_cmp_ne_u32_e64 s0, 0x7f800000, v58
                                        ; implicit-def: $vgpr58
	s_and_saveexec_b32 s9, s0
	s_delay_alu instid0(SALU_CYCLE_1)
	s_xor_b32 s0, exec_lo, s9
; %bb.2484:                             ;   in Loop: Header=BB458_1183 Depth=1
	v_bfe_u32 v58, v61, 16, 1
	s_delay_alu instid0(VALU_DEP_1)
	v_add3_u32 v58, v61, v58, 0x7fff
                                        ; implicit-def: $vgpr61
; %bb.2485:                             ;   in Loop: Header=BB458_1183 Depth=1
	s_and_not1_saveexec_b32 s9, s0
; %bb.2486:                             ;   in Loop: Header=BB458_1183 Depth=1
	v_and_b32_e32 v58, 0xffff, v61
	v_or_b32_e32 v62, 0x10000, v61
	s_delay_alu instid0(VALU_DEP_2) | instskip(NEXT) | instid1(VALU_DEP_1)
	v_cmp_eq_u32_e64 s0, 0, v58
	v_cndmask_b32_e64 v58, v62, v61, s0
; %bb.2487:                             ;   in Loop: Header=BB458_1183 Depth=1
	s_or_b32 exec_lo, exec_lo, s9
	v_lshlrev_b32_e32 v59, 16, v59
	s_delay_alu instid0(VALU_DEP_1) | instskip(NEXT) | instid1(VALU_DEP_1)
	v_mul_f32_e32 v61, v80, v59
	v_and_b32_e32 v59, 0x7f800000, v61
	s_delay_alu instid0(VALU_DEP_1) | instskip(NEXT) | instid1(VALU_DEP_1)
	v_cmp_ne_u32_e64 s0, 0x7f800000, v59
                                        ; implicit-def: $vgpr59
	s_and_saveexec_b32 s9, s0
	s_delay_alu instid0(SALU_CYCLE_1)
	s_xor_b32 s0, exec_lo, s9
; %bb.2488:                             ;   in Loop: Header=BB458_1183 Depth=1
	v_bfe_u32 v59, v61, 16, 1
	s_delay_alu instid0(VALU_DEP_1)
	v_add3_u32 v59, v61, v59, 0x7fff
                                        ; implicit-def: $vgpr61
; %bb.2489:                             ;   in Loop: Header=BB458_1183 Depth=1
	s_and_not1_saveexec_b32 s9, s0
; %bb.2490:                             ;   in Loop: Header=BB458_1183 Depth=1
	v_and_b32_e32 v59, 0xffff, v61
	v_or_b32_e32 v62, 0x10000, v61
	s_delay_alu instid0(VALU_DEP_2) | instskip(NEXT) | instid1(VALU_DEP_1)
	v_cmp_eq_u32_e64 s0, 0, v59
	v_cndmask_b32_e64 v59, v62, v61, s0
; %bb.2491:                             ;   in Loop: Header=BB458_1183 Depth=1
	s_or_b32 exec_lo, exec_lo, s9
	v_lshlrev_b32_e32 v60, 16, v60
	s_delay_alu instid0(VALU_DEP_1) | instskip(NEXT) | instid1(VALU_DEP_1)
	v_mul_f32_e32 v61, v81, v60
	v_and_b32_e32 v60, 0x7f800000, v61
	s_delay_alu instid0(VALU_DEP_1) | instskip(NEXT) | instid1(VALU_DEP_1)
	v_cmp_ne_u32_e64 s0, 0x7f800000, v60
                                        ; implicit-def: $vgpr60
	s_and_saveexec_b32 s9, s0
	s_delay_alu instid0(SALU_CYCLE_1)
	s_xor_b32 s0, exec_lo, s9
; %bb.2492:                             ;   in Loop: Header=BB458_1183 Depth=1
	v_bfe_u32 v60, v61, 16, 1
	s_delay_alu instid0(VALU_DEP_1)
	v_add3_u32 v60, v61, v60, 0x7fff
                                        ; implicit-def: $vgpr61
; %bb.2493:                             ;   in Loop: Header=BB458_1183 Depth=1
	s_and_not1_saveexec_b32 s9, s0
; %bb.2494:                             ;   in Loop: Header=BB458_1183 Depth=1
	v_and_b32_e32 v60, 0xffff, v61
	v_or_b32_e32 v62, 0x10000, v61
	s_delay_alu instid0(VALU_DEP_2) | instskip(NEXT) | instid1(VALU_DEP_1)
	v_cmp_eq_u32_e64 s0, 0, v60
	v_cndmask_b32_e64 v60, v62, v61, s0
; %bb.2495:                             ;   in Loop: Header=BB458_1183 Depth=1
	s_or_b32 exec_lo, exec_lo, s9
	v_lshlrev_b32_e32 v9, 16, v9
	s_delay_alu instid0(VALU_DEP_1) | instskip(NEXT) | instid1(VALU_DEP_1)
	v_mul_f32_e32 v9, v82, v9
	v_and_b32_e32 v61, 0x7f800000, v9
	s_delay_alu instid0(VALU_DEP_1) | instskip(NEXT) | instid1(VALU_DEP_1)
	v_cmp_ne_u32_e64 s0, 0x7f800000, v61
                                        ; implicit-def: $vgpr61
	s_and_saveexec_b32 s9, s0
	s_delay_alu instid0(SALU_CYCLE_1)
	s_xor_b32 s0, exec_lo, s9
; %bb.2496:                             ;   in Loop: Header=BB458_1183 Depth=1
	v_bfe_u32 v61, v9, 16, 1
	s_delay_alu instid0(VALU_DEP_1)
	v_add3_u32 v61, v9, v61, 0x7fff
                                        ; implicit-def: $vgpr9
; %bb.2497:                             ;   in Loop: Header=BB458_1183 Depth=1
	s_and_not1_saveexec_b32 s9, s0
; %bb.2498:                             ;   in Loop: Header=BB458_1183 Depth=1
	v_and_b32_e32 v61, 0xffff, v9
	v_or_b32_e32 v62, 0x10000, v9
	s_delay_alu instid0(VALU_DEP_2) | instskip(NEXT) | instid1(VALU_DEP_1)
	v_cmp_eq_u32_e64 s0, 0, v61
	v_cndmask_b32_e64 v61, v62, v9, s0
; %bb.2499:                             ;   in Loop: Header=BB458_1183 Depth=1
	s_or_b32 exec_lo, exec_lo, s9
	v_lshlrev_b32_e32 v7, 16, v7
                                        ; implicit-def: $vgpr62
	s_delay_alu instid0(VALU_DEP_1) | instskip(NEXT) | instid1(VALU_DEP_1)
	v_mul_f32_e32 v7, v83, v7
	v_and_b32_e32 v9, 0x7f800000, v7
	s_delay_alu instid0(VALU_DEP_1) | instskip(NEXT) | instid1(VALU_DEP_1)
	v_cmp_ne_u32_e64 s0, 0x7f800000, v9
	s_and_saveexec_b32 s9, s0
	s_delay_alu instid0(SALU_CYCLE_1)
	s_xor_b32 s0, exec_lo, s9
; %bb.2500:                             ;   in Loop: Header=BB458_1183 Depth=1
	v_bfe_u32 v9, v7, 16, 1
	s_delay_alu instid0(VALU_DEP_1)
	v_add3_u32 v62, v7, v9, 0x7fff
                                        ; implicit-def: $vgpr7
; %bb.2501:                             ;   in Loop: Header=BB458_1183 Depth=1
	s_and_not1_saveexec_b32 s9, s0
; %bb.2502:                             ;   in Loop: Header=BB458_1183 Depth=1
	v_and_b32_e32 v9, 0xffff, v7
	v_or_b32_e32 v62, 0x10000, v7
	s_delay_alu instid0(VALU_DEP_2) | instskip(NEXT) | instid1(VALU_DEP_1)
	v_cmp_eq_u32_e64 s0, 0, v9
	v_cndmask_b32_e64 v62, v62, v7, s0
; %bb.2503:                             ;   in Loop: Header=BB458_1183 Depth=1
	s_or_b32 exec_lo, exec_lo, s9
	v_lshlrev_b32_e32 v6, 16, v6
                                        ; implicit-def: $vgpr63
	s_delay_alu instid0(VALU_DEP_1) | instskip(NEXT) | instid1(VALU_DEP_1)
	v_mul_f32_e32 v6, v84, v6
	v_and_b32_e32 v7, 0x7f800000, v6
	s_delay_alu instid0(VALU_DEP_1) | instskip(NEXT) | instid1(VALU_DEP_1)
	v_cmp_ne_u32_e64 s0, 0x7f800000, v7
	s_and_saveexec_b32 s9, s0
	s_delay_alu instid0(SALU_CYCLE_1)
	s_xor_b32 s0, exec_lo, s9
; %bb.2504:                             ;   in Loop: Header=BB458_1183 Depth=1
	v_bfe_u32 v7, v6, 16, 1
	s_delay_alu instid0(VALU_DEP_1)
	v_add3_u32 v63, v6, v7, 0x7fff
                                        ; implicit-def: $vgpr6
; %bb.2505:                             ;   in Loop: Header=BB458_1183 Depth=1
	s_and_not1_saveexec_b32 s9, s0
; %bb.2506:                             ;   in Loop: Header=BB458_1183 Depth=1
	v_and_b32_e32 v7, 0xffff, v6
	v_or_b32_e32 v9, 0x10000, v6
	s_delay_alu instid0(VALU_DEP_2) | instskip(NEXT) | instid1(VALU_DEP_1)
	v_cmp_eq_u32_e64 s0, 0, v7
	v_cndmask_b32_e64 v63, v9, v6, s0
; %bb.2507:                             ;   in Loop: Header=BB458_1183 Depth=1
	s_or_b32 exec_lo, exec_lo, s9
	v_lshlrev_b32_e32 v3, 16, v3
                                        ; implicit-def: $vgpr72
	s_delay_alu instid0(VALU_DEP_1) | instskip(NEXT) | instid1(VALU_DEP_1)
	v_mul_f32_e32 v3, v85, v3
	v_and_b32_e32 v6, 0x7f800000, v3
	s_delay_alu instid0(VALU_DEP_1) | instskip(NEXT) | instid1(VALU_DEP_1)
	v_cmp_ne_u32_e64 s0, 0x7f800000, v6
	s_and_saveexec_b32 s9, s0
	s_delay_alu instid0(SALU_CYCLE_1)
	s_xor_b32 s0, exec_lo, s9
; %bb.2508:                             ;   in Loop: Header=BB458_1183 Depth=1
	v_bfe_u32 v6, v3, 16, 1
	s_delay_alu instid0(VALU_DEP_1)
	v_add3_u32 v72, v3, v6, 0x7fff
                                        ; implicit-def: $vgpr3
; %bb.2509:                             ;   in Loop: Header=BB458_1183 Depth=1
	s_and_not1_saveexec_b32 s9, s0
; %bb.2510:                             ;   in Loop: Header=BB458_1183 Depth=1
	v_and_b32_e32 v6, 0xffff, v3
	v_or_b32_e32 v7, 0x10000, v3
	s_delay_alu instid0(VALU_DEP_2) | instskip(NEXT) | instid1(VALU_DEP_1)
	v_cmp_eq_u32_e64 s0, 0, v6
	v_cndmask_b32_e64 v72, v7, v3, s0
; %bb.2511:                             ;   in Loop: Header=BB458_1183 Depth=1
	s_or_b32 exec_lo, exec_lo, s9
	v_lshlrev_b32_e32 v2, 16, v2
                                        ; implicit-def: $vgpr73
	s_delay_alu instid0(VALU_DEP_1) | instskip(NEXT) | instid1(VALU_DEP_1)
	v_mul_f32_e32 v2, v86, v2
	v_and_b32_e32 v3, 0x7f800000, v2
	s_delay_alu instid0(VALU_DEP_1) | instskip(NEXT) | instid1(VALU_DEP_1)
	v_cmp_ne_u32_e64 s0, 0x7f800000, v3
	s_and_saveexec_b32 s9, s0
	s_delay_alu instid0(SALU_CYCLE_1)
	s_xor_b32 s0, exec_lo, s9
; %bb.2512:                             ;   in Loop: Header=BB458_1183 Depth=1
	v_bfe_u32 v3, v2, 16, 1
	s_delay_alu instid0(VALU_DEP_1)
	v_add3_u32 v73, v2, v3, 0x7fff
                                        ; implicit-def: $vgpr2
; %bb.2513:                             ;   in Loop: Header=BB458_1183 Depth=1
	s_and_not1_saveexec_b32 s9, s0
; %bb.2514:                             ;   in Loop: Header=BB458_1183 Depth=1
	v_and_b32_e32 v3, 0xffff, v2
	v_or_b32_e32 v6, 0x10000, v2
	s_delay_alu instid0(VALU_DEP_2) | instskip(NEXT) | instid1(VALU_DEP_1)
	v_cmp_eq_u32_e64 s0, 0, v3
	v_cndmask_b32_e64 v73, v6, v2, s0
; %bb.2515:                             ;   in Loop: Header=BB458_1183 Depth=1
	s_or_b32 exec_lo, exec_lo, s9
	flat_load_b64 v[2:3], v[0:1] offset:2560
	s_mov_b32 s9, exec_lo
	s_waitcnt vmcnt(0) lgkmcnt(0)
	v_dual_mov_b32 v6, 0 :: v_dual_and_b32 v7, 0xff, v2
	s_delay_alu instid0(VALU_DEP_1)
	v_cmpx_ne_u16_e32 0, v7
	s_cbranch_execz .LBB458_2523
; %bb.2516:                             ;   in Loop: Header=BB458_1183 Depth=1
	v_bfrev_b32_e32 v6, 1
	s_mov_b32 s12, exec_lo
	v_cmpx_ne_u16_e32 0x80, v7
	s_cbranch_execz .LBB458_2522
; %bb.2517:                             ;   in Loop: Header=BB458_1183 Depth=1
	v_and_b32_e32 v7, 0x7f, v2
	v_mov_b32_e32 v6, 0x7f800001
	s_mov_b32 s13, exec_lo
	s_delay_alu instid0(VALU_DEP_2)
	v_cmpx_ne_u32_e32 0x7f, v7
	s_cbranch_execz .LBB458_2521
; %bb.2518:                             ;   in Loop: Header=BB458_1183 Depth=1
	v_lshrrev_b32_e32 v9, 3, v7
	v_cmp_gt_u32_e64 s0, 8, v7
	v_dual_mov_b32 v7, v3 :: v_dual_mov_b32 v6, v2
	s_delay_alu instid0(VALU_DEP_2)
	s_and_saveexec_b32 s15, s0
; %bb.2519:                             ;   in Loop: Header=BB458_1183 Depth=1
	v_and_b32_e32 v6, 7, v2
	s_delay_alu instid0(VALU_DEP_1) | instskip(NEXT) | instid1(VALU_DEP_1)
	v_clz_i32_u32_e32 v6, v6
	v_min_u32_e32 v9, 32, v6
	s_delay_alu instid0(VALU_DEP_1) | instskip(SKIP_1) | instid1(VALU_DEP_2)
	v_subrev_nc_u32_e32 v6, 28, v9
	v_sub_nc_u32_e32 v9, 29, v9
	v_lshlrev_b64 v[6:7], v6, v[2:3]
; %bb.2520:                             ;   in Loop: Header=BB458_1183 Depth=1
	s_or_b32 exec_lo, exec_lo, s15
	s_delay_alu instid0(VALU_DEP_1) | instskip(SKIP_2) | instid1(VALU_DEP_3)
	v_lshlrev_b32_e32 v6, 20, v6
	v_lshlrev_b32_e32 v7, 24, v2
	v_lshl_add_u32 v9, v9, 23, 0x3c000000
	v_and_b32_e32 v6, 0x700000, v6
	s_delay_alu instid0(VALU_DEP_3) | instskip(NEXT) | instid1(VALU_DEP_1)
	v_and_b32_e32 v7, 0x80000000, v7
	v_or3_b32 v6, v6, v7, v9
.LBB458_2521:                           ;   in Loop: Header=BB458_1183 Depth=1
	s_or_b32 exec_lo, exec_lo, s13
.LBB458_2522:                           ;   in Loop: Header=BB458_1183 Depth=1
	s_delay_alu instid0(SALU_CYCLE_1)
	s_or_b32 exec_lo, exec_lo, s12
.LBB458_2523:                           ;   in Loop: Header=BB458_1183 Depth=1
	s_delay_alu instid0(SALU_CYCLE_1) | instskip(NEXT) | instid1(VALU_DEP_1)
	s_or_b32 exec_lo, exec_lo, s9
	v_mul_f32_e32 v6, v26, v6
                                        ; implicit-def: $vgpr74
	s_delay_alu instid0(VALU_DEP_1) | instskip(NEXT) | instid1(VALU_DEP_1)
	v_and_b32_e32 v7, 0x7f800000, v6
	v_cmp_ne_u32_e64 s0, 0x7f800000, v7
	s_delay_alu instid0(VALU_DEP_1) | instskip(NEXT) | instid1(SALU_CYCLE_1)
	s_and_saveexec_b32 s9, s0
	s_xor_b32 s0, exec_lo, s9
; %bb.2524:                             ;   in Loop: Header=BB458_1183 Depth=1
	v_bfe_u32 v7, v6, 16, 1
	s_delay_alu instid0(VALU_DEP_1)
	v_add3_u32 v74, v6, v7, 0x7fff
                                        ; implicit-def: $vgpr6
; %bb.2525:                             ;   in Loop: Header=BB458_1183 Depth=1
	s_and_not1_saveexec_b32 s9, s0
; %bb.2526:                             ;   in Loop: Header=BB458_1183 Depth=1
	v_and_b32_e32 v7, 0xffff, v6
	v_or_b32_e32 v9, 0x10000, v6
	s_delay_alu instid0(VALU_DEP_2) | instskip(NEXT) | instid1(VALU_DEP_1)
	v_cmp_eq_u32_e64 s0, 0, v7
	v_cndmask_b32_e64 v74, v9, v6, s0
; %bb.2527:                             ;   in Loop: Header=BB458_1183 Depth=1
	s_or_b32 exec_lo, exec_lo, s9
	v_lshrrev_b16 v7, 8, v2
	v_mov_b32_e32 v6, 0
	s_mov_b32 s9, exec_lo
	s_delay_alu instid0(VALU_DEP_2)
	v_cmpx_ne_u16_e32 0, v7
	s_cbranch_execz .LBB458_2535
; %bb.2528:                             ;   in Loop: Header=BB458_1183 Depth=1
	v_bfrev_b32_e32 v6, 1
	s_mov_b32 s12, exec_lo
	v_cmpx_ne_u16_e32 0x80, v7
	s_cbranch_execz .LBB458_2534
; %bb.2529:                             ;   in Loop: Header=BB458_1183 Depth=1
	v_and_b32_e32 v9, 0xffff, v7
	v_mov_b32_e32 v6, 0x7f800001
	s_mov_b32 s13, exec_lo
	s_delay_alu instid0(VALU_DEP_2) | instskip(NEXT) | instid1(VALU_DEP_1)
	v_and_b32_e32 v7, 0x7f, v9
	v_cmpx_ne_u32_e32 0x7f, v7
	s_cbranch_execz .LBB458_2533
; %bb.2530:                             ;   in Loop: Header=BB458_1183 Depth=1
	v_and_b32_e32 v9, 7, v9
	v_lshrrev_b32_e32 v75, 3, v7
	v_cmp_gt_u32_e64 s0, 8, v7
	s_delay_alu instid0(VALU_DEP_3) | instskip(NEXT) | instid1(VALU_DEP_2)
	v_dual_mov_b32 v6, v9 :: v_dual_mov_b32 v7, v10
	s_and_saveexec_b32 s15, s0
; %bb.2531:                             ;   in Loop: Header=BB458_1183 Depth=1
	v_clz_i32_u32_e32 v6, v9
	s_delay_alu instid0(VALU_DEP_1) | instskip(NEXT) | instid1(VALU_DEP_1)
	v_min_u32_e32 v75, 32, v6
	v_subrev_nc_u32_e32 v6, 28, v75
	v_sub_nc_u32_e32 v75, 29, v75
	s_delay_alu instid0(VALU_DEP_2) | instskip(NEXT) | instid1(VALU_DEP_1)
	v_lshlrev_b64 v[6:7], v6, v[9:10]
	v_and_b32_e32 v6, 7, v6
; %bb.2532:                             ;   in Loop: Header=BB458_1183 Depth=1
	s_or_b32 exec_lo, exec_lo, s15
	v_lshlrev_b32_e32 v7, 16, v2
	s_delay_alu instid0(VALU_DEP_2) | instskip(SKIP_1) | instid1(VALU_DEP_3)
	v_lshlrev_b32_e32 v6, 20, v6
	v_lshl_add_u32 v9, v75, 23, 0x3c000000
	v_and_b32_e32 v7, 0x80000000, v7
	s_delay_alu instid0(VALU_DEP_1)
	v_or3_b32 v6, v6, v7, v9
.LBB458_2533:                           ;   in Loop: Header=BB458_1183 Depth=1
	s_or_b32 exec_lo, exec_lo, s13
.LBB458_2534:                           ;   in Loop: Header=BB458_1183 Depth=1
	s_delay_alu instid0(SALU_CYCLE_1)
	s_or_b32 exec_lo, exec_lo, s12
.LBB458_2535:                           ;   in Loop: Header=BB458_1183 Depth=1
	s_delay_alu instid0(SALU_CYCLE_1) | instskip(NEXT) | instid1(VALU_DEP_1)
	s_or_b32 exec_lo, exec_lo, s9
	v_mul_f32_e32 v6, v26, v6
                                        ; implicit-def: $vgpr75
	s_delay_alu instid0(VALU_DEP_1) | instskip(NEXT) | instid1(VALU_DEP_1)
	v_and_b32_e32 v7, 0x7f800000, v6
	v_cmp_ne_u32_e64 s0, 0x7f800000, v7
	s_delay_alu instid0(VALU_DEP_1) | instskip(NEXT) | instid1(SALU_CYCLE_1)
	s_and_saveexec_b32 s9, s0
	s_xor_b32 s0, exec_lo, s9
; %bb.2536:                             ;   in Loop: Header=BB458_1183 Depth=1
	v_bfe_u32 v7, v6, 16, 1
	s_delay_alu instid0(VALU_DEP_1)
	v_add3_u32 v75, v6, v7, 0x7fff
                                        ; implicit-def: $vgpr6
; %bb.2537:                             ;   in Loop: Header=BB458_1183 Depth=1
	s_and_not1_saveexec_b32 s9, s0
; %bb.2538:                             ;   in Loop: Header=BB458_1183 Depth=1
	v_and_b32_e32 v7, 0xffff, v6
	v_or_b32_e32 v9, 0x10000, v6
	s_delay_alu instid0(VALU_DEP_2) | instskip(NEXT) | instid1(VALU_DEP_1)
	v_cmp_eq_u32_e64 s0, 0, v7
	v_cndmask_b32_e64 v75, v9, v6, s0
; %bb.2539:                             ;   in Loop: Header=BB458_1183 Depth=1
	s_or_b32 exec_lo, exec_lo, s9
	v_lshrrev_b32_e32 v76, 16, v2
	s_mov_b32 s9, exec_lo
	s_delay_alu instid0(VALU_DEP_1) | instskip(NEXT) | instid1(VALU_DEP_1)
	v_dual_mov_b32 v6, 0 :: v_dual_and_b32 v7, 0xff, v76
	v_cmpx_ne_u16_e32 0, v7
	s_cbranch_execz .LBB458_2547
; %bb.2540:                             ;   in Loop: Header=BB458_1183 Depth=1
	v_bfrev_b32_e32 v6, 1
	s_mov_b32 s12, exec_lo
	v_cmpx_ne_u16_e32 0x80, v7
	s_cbranch_execz .LBB458_2546
; %bb.2541:                             ;   in Loop: Header=BB458_1183 Depth=1
	v_bfe_u32 v7, v2, 16, 7
	v_mov_b32_e32 v6, 0x7f800001
	s_mov_b32 s13, exec_lo
	s_delay_alu instid0(VALU_DEP_2)
	v_cmpx_ne_u32_e32 0x7f, v7
	s_cbranch_execz .LBB458_2545
; %bb.2542:                             ;   in Loop: Header=BB458_1183 Depth=1
	v_and_b32_e32 v9, 7, v76
	v_lshrrev_b32_e32 v77, 3, v7
	v_cmp_gt_u32_e64 s0, 8, v7
	s_delay_alu instid0(VALU_DEP_3) | instskip(NEXT) | instid1(VALU_DEP_2)
	v_dual_mov_b32 v6, v9 :: v_dual_mov_b32 v7, v10
	s_and_saveexec_b32 s15, s0
; %bb.2543:                             ;   in Loop: Header=BB458_1183 Depth=1
	v_clz_i32_u32_e32 v6, v9
	s_delay_alu instid0(VALU_DEP_1) | instskip(NEXT) | instid1(VALU_DEP_1)
	v_min_u32_e32 v77, 32, v6
	v_subrev_nc_u32_e32 v6, 28, v77
	v_sub_nc_u32_e32 v77, 29, v77
	s_delay_alu instid0(VALU_DEP_2) | instskip(NEXT) | instid1(VALU_DEP_1)
	v_lshlrev_b64 v[6:7], v6, v[9:10]
	v_and_b32_e32 v6, 7, v6
; %bb.2544:                             ;   in Loop: Header=BB458_1183 Depth=1
	s_or_b32 exec_lo, exec_lo, s15
	v_lshlrev_b32_e32 v7, 24, v76
	s_delay_alu instid0(VALU_DEP_2) | instskip(SKIP_1) | instid1(VALU_DEP_3)
	v_lshlrev_b32_e32 v6, 20, v6
	v_lshl_add_u32 v9, v77, 23, 0x3c000000
	v_and_b32_e32 v7, 0x80000000, v7
	s_delay_alu instid0(VALU_DEP_1)
	v_or3_b32 v6, v6, v7, v9
.LBB458_2545:                           ;   in Loop: Header=BB458_1183 Depth=1
	s_or_b32 exec_lo, exec_lo, s13
.LBB458_2546:                           ;   in Loop: Header=BB458_1183 Depth=1
	s_delay_alu instid0(SALU_CYCLE_1)
	s_or_b32 exec_lo, exec_lo, s12
.LBB458_2547:                           ;   in Loop: Header=BB458_1183 Depth=1
	s_delay_alu instid0(SALU_CYCLE_1) | instskip(NEXT) | instid1(VALU_DEP_1)
	s_or_b32 exec_lo, exec_lo, s9
	v_mul_f32_e32 v6, v26, v6
                                        ; implicit-def: $vgpr76
	s_delay_alu instid0(VALU_DEP_1) | instskip(NEXT) | instid1(VALU_DEP_1)
	v_and_b32_e32 v7, 0x7f800000, v6
	v_cmp_ne_u32_e64 s0, 0x7f800000, v7
	s_delay_alu instid0(VALU_DEP_1) | instskip(NEXT) | instid1(SALU_CYCLE_1)
	s_and_saveexec_b32 s9, s0
	s_xor_b32 s0, exec_lo, s9
; %bb.2548:                             ;   in Loop: Header=BB458_1183 Depth=1
	v_bfe_u32 v7, v6, 16, 1
	s_delay_alu instid0(VALU_DEP_1)
	v_add3_u32 v76, v6, v7, 0x7fff
                                        ; implicit-def: $vgpr6
; %bb.2549:                             ;   in Loop: Header=BB458_1183 Depth=1
	s_and_not1_saveexec_b32 s9, s0
; %bb.2550:                             ;   in Loop: Header=BB458_1183 Depth=1
	v_and_b32_e32 v7, 0xffff, v6
	v_or_b32_e32 v9, 0x10000, v6
	s_delay_alu instid0(VALU_DEP_2) | instskip(NEXT) | instid1(VALU_DEP_1)
	v_cmp_eq_u32_e64 s0, 0, v7
	v_cndmask_b32_e64 v76, v9, v6, s0
; %bb.2551:                             ;   in Loop: Header=BB458_1183 Depth=1
	s_or_b32 exec_lo, exec_lo, s9
	v_mov_b32_e32 v6, 0
	s_mov_b32 s9, exec_lo
	v_cmpx_lt_u32_e32 0xffffff, v2
	s_cbranch_execz .LBB458_2559
; %bb.2552:                             ;   in Loop: Header=BB458_1183 Depth=1
	v_lshrrev_b32_e32 v77, 24, v2
	v_bfrev_b32_e32 v6, 1
	s_mov_b32 s12, exec_lo
	s_delay_alu instid0(VALU_DEP_2)
	v_cmpx_ne_u32_e32 0x80, v77
	s_cbranch_execz .LBB458_2558
; %bb.2553:                             ;   in Loop: Header=BB458_1183 Depth=1
	v_bfe_u32 v7, v2, 24, 7
	v_mov_b32_e32 v6, 0x7f800001
	s_mov_b32 s13, exec_lo
	s_delay_alu instid0(VALU_DEP_2)
	v_cmpx_ne_u32_e32 0x7f, v7
	s_cbranch_execz .LBB458_2557
; %bb.2554:                             ;   in Loop: Header=BB458_1183 Depth=1
	v_and_b32_e32 v9, 7, v77
	v_lshrrev_b32_e32 v78, 3, v7
	v_cmp_gt_u32_e64 s0, 8, v7
	s_delay_alu instid0(VALU_DEP_3) | instskip(NEXT) | instid1(VALU_DEP_2)
	v_dual_mov_b32 v6, v9 :: v_dual_mov_b32 v7, v10
	s_and_saveexec_b32 s15, s0
; %bb.2555:                             ;   in Loop: Header=BB458_1183 Depth=1
	v_clz_i32_u32_e32 v6, v9
	s_delay_alu instid0(VALU_DEP_1) | instskip(NEXT) | instid1(VALU_DEP_1)
	v_min_u32_e32 v78, 32, v6
	v_subrev_nc_u32_e32 v6, 28, v78
	v_sub_nc_u32_e32 v78, 29, v78
	s_delay_alu instid0(VALU_DEP_2) | instskip(NEXT) | instid1(VALU_DEP_1)
	v_lshlrev_b64 v[6:7], v6, v[9:10]
	v_and_b32_e32 v6, 7, v6
; %bb.2556:                             ;   in Loop: Header=BB458_1183 Depth=1
	s_or_b32 exec_lo, exec_lo, s15
	v_lshlrev_b32_e32 v7, 24, v77
	s_delay_alu instid0(VALU_DEP_2) | instskip(SKIP_1) | instid1(VALU_DEP_3)
	v_lshlrev_b32_e32 v6, 20, v6
	v_lshl_add_u32 v9, v78, 23, 0x3c000000
	v_and_b32_e32 v7, 0x80000000, v7
	s_delay_alu instid0(VALU_DEP_1)
	v_or3_b32 v6, v6, v7, v9
.LBB458_2557:                           ;   in Loop: Header=BB458_1183 Depth=1
	s_or_b32 exec_lo, exec_lo, s13
.LBB458_2558:                           ;   in Loop: Header=BB458_1183 Depth=1
	s_delay_alu instid0(SALU_CYCLE_1)
	s_or_b32 exec_lo, exec_lo, s12
.LBB458_2559:                           ;   in Loop: Header=BB458_1183 Depth=1
	s_delay_alu instid0(SALU_CYCLE_1) | instskip(NEXT) | instid1(VALU_DEP_1)
	s_or_b32 exec_lo, exec_lo, s9
	v_mul_f32_e32 v6, v26, v6
                                        ; implicit-def: $vgpr77
	s_delay_alu instid0(VALU_DEP_1) | instskip(NEXT) | instid1(VALU_DEP_1)
	v_and_b32_e32 v7, 0x7f800000, v6
	v_cmp_ne_u32_e64 s0, 0x7f800000, v7
	s_delay_alu instid0(VALU_DEP_1) | instskip(NEXT) | instid1(SALU_CYCLE_1)
	s_and_saveexec_b32 s9, s0
	s_xor_b32 s0, exec_lo, s9
; %bb.2560:                             ;   in Loop: Header=BB458_1183 Depth=1
	v_bfe_u32 v7, v6, 16, 1
	s_delay_alu instid0(VALU_DEP_1)
	v_add3_u32 v77, v6, v7, 0x7fff
                                        ; implicit-def: $vgpr6
; %bb.2561:                             ;   in Loop: Header=BB458_1183 Depth=1
	s_and_not1_saveexec_b32 s9, s0
; %bb.2562:                             ;   in Loop: Header=BB458_1183 Depth=1
	v_and_b32_e32 v7, 0xffff, v6
	v_or_b32_e32 v9, 0x10000, v6
	s_delay_alu instid0(VALU_DEP_2) | instskip(NEXT) | instid1(VALU_DEP_1)
	v_cmp_eq_u32_e64 s0, 0, v7
	v_cndmask_b32_e64 v77, v9, v6, s0
; %bb.2563:                             ;   in Loop: Header=BB458_1183 Depth=1
	s_or_b32 exec_lo, exec_lo, s9
	v_dual_mov_b32 v6, 0 :: v_dual_and_b32 v7, 0xff, v3
	v_mov_b32_e32 v9, v3
	s_mov_b32 s9, exec_lo
	s_delay_alu instid0(VALU_DEP_2)
	v_cmpx_ne_u16_e32 0, v7
	s_cbranch_execz .LBB458_2571
; %bb.2564:                             ;   in Loop: Header=BB458_1183 Depth=1
	v_bfrev_b32_e32 v6, 1
	s_mov_b32 s12, exec_lo
	v_cmpx_ne_u16_e32 0x80, v7
	s_cbranch_execz .LBB458_2570
; %bb.2565:                             ;   in Loop: Header=BB458_1183 Depth=1
	v_and_b32_e32 v7, 0x7f, v3
	v_mov_b32_e32 v6, 0x7f800001
	s_mov_b32 s13, exec_lo
	s_delay_alu instid0(VALU_DEP_2)
	v_cmpx_ne_u32_e32 0x7f, v7
	s_cbranch_execz .LBB458_2569
; %bb.2566:                             ;   in Loop: Header=BB458_1183 Depth=1
	v_lshrrev_b32_e32 v78, 3, v7
	v_cmp_gt_u32_e64 s0, 8, v7
	v_dual_mov_b32 v6, v9 :: v_dual_mov_b32 v7, v10
	s_delay_alu instid0(VALU_DEP_2)
	s_and_saveexec_b32 s15, s0
; %bb.2567:                             ;   in Loop: Header=BB458_1183 Depth=1
	v_and_b32_e32 v6, 7, v3
	s_delay_alu instid0(VALU_DEP_1) | instskip(NEXT) | instid1(VALU_DEP_1)
	v_clz_i32_u32_e32 v6, v6
	v_min_u32_e32 v78, 32, v6
	s_delay_alu instid0(VALU_DEP_1) | instskip(SKIP_1) | instid1(VALU_DEP_2)
	v_subrev_nc_u32_e32 v6, 28, v78
	v_sub_nc_u32_e32 v78, 29, v78
	v_lshlrev_b64 v[6:7], v6, v[9:10]
; %bb.2568:                             ;   in Loop: Header=BB458_1183 Depth=1
	s_or_b32 exec_lo, exec_lo, s15
	s_delay_alu instid0(VALU_DEP_1) | instskip(SKIP_2) | instid1(VALU_DEP_3)
	v_lshlrev_b32_e32 v6, 20, v6
	v_lshlrev_b32_e32 v7, 24, v9
	v_lshl_add_u32 v78, v78, 23, 0x3c000000
	v_and_b32_e32 v6, 0x700000, v6
	s_delay_alu instid0(VALU_DEP_3) | instskip(NEXT) | instid1(VALU_DEP_1)
	v_and_b32_e32 v7, 0x80000000, v7
	v_or3_b32 v6, v6, v7, v78
.LBB458_2569:                           ;   in Loop: Header=BB458_1183 Depth=1
	s_or_b32 exec_lo, exec_lo, s13
.LBB458_2570:                           ;   in Loop: Header=BB458_1183 Depth=1
	s_delay_alu instid0(SALU_CYCLE_1)
	s_or_b32 exec_lo, exec_lo, s12
.LBB458_2571:                           ;   in Loop: Header=BB458_1183 Depth=1
	s_delay_alu instid0(SALU_CYCLE_1) | instskip(NEXT) | instid1(VALU_DEP_1)
	s_or_b32 exec_lo, exec_lo, s9
	v_mul_f32_e32 v6, v26, v6
                                        ; implicit-def: $vgpr78
	s_delay_alu instid0(VALU_DEP_1) | instskip(NEXT) | instid1(VALU_DEP_1)
	v_and_b32_e32 v7, 0x7f800000, v6
	v_cmp_ne_u32_e64 s0, 0x7f800000, v7
	s_delay_alu instid0(VALU_DEP_1) | instskip(NEXT) | instid1(SALU_CYCLE_1)
	s_and_saveexec_b32 s9, s0
	s_xor_b32 s0, exec_lo, s9
; %bb.2572:                             ;   in Loop: Header=BB458_1183 Depth=1
	v_bfe_u32 v7, v6, 16, 1
	s_delay_alu instid0(VALU_DEP_1)
	v_add3_u32 v78, v6, v7, 0x7fff
                                        ; implicit-def: $vgpr6
; %bb.2573:                             ;   in Loop: Header=BB458_1183 Depth=1
	s_and_not1_saveexec_b32 s9, s0
; %bb.2574:                             ;   in Loop: Header=BB458_1183 Depth=1
	v_and_b32_e32 v7, 0xffff, v6
	v_or_b32_e32 v78, 0x10000, v6
	s_delay_alu instid0(VALU_DEP_2) | instskip(NEXT) | instid1(VALU_DEP_1)
	v_cmp_eq_u32_e64 s0, 0, v7
	v_cndmask_b32_e64 v78, v78, v6, s0
; %bb.2575:                             ;   in Loop: Header=BB458_1183 Depth=1
	s_or_b32 exec_lo, exec_lo, s9
	v_lshrrev_b16 v7, 8, v9
	v_mov_b32_e32 v6, 0
	s_mov_b32 s9, exec_lo
	s_delay_alu instid0(VALU_DEP_2)
	v_cmpx_ne_u16_e32 0, v7
	s_cbranch_execz .LBB458_2583
; %bb.2576:                             ;   in Loop: Header=BB458_1183 Depth=1
	v_bfrev_b32_e32 v6, 1
	s_mov_b32 s12, exec_lo
	v_cmpx_ne_u16_e32 0x80, v7
	s_cbranch_execz .LBB458_2582
; %bb.2577:                             ;   in Loop: Header=BB458_1183 Depth=1
	v_and_b32_e32 v7, 0xffff, v7
	v_mov_b32_e32 v6, 0x7f800001
	s_mov_b32 s13, exec_lo
	s_delay_alu instid0(VALU_DEP_2) | instskip(NEXT) | instid1(VALU_DEP_1)
	v_and_b32_e32 v88, 0x7f, v7
	v_cmpx_ne_u32_e32 0x7f, v88
	s_cbranch_execz .LBB458_2581
; %bb.2578:                             ;   in Loop: Header=BB458_1183 Depth=1
	v_dual_mov_b32 v7, v10 :: v_dual_and_b32 v6, 7, v7
	v_lshrrev_b32_e32 v79, 3, v88
	s_mov_b32 s15, exec_lo
	v_cmpx_gt_u32_e32 8, v88
; %bb.2579:                             ;   in Loop: Header=BB458_1183 Depth=1
	s_delay_alu instid0(VALU_DEP_3) | instskip(NEXT) | instid1(VALU_DEP_1)
	v_clz_i32_u32_e32 v79, v6
	v_min_u32_e32 v79, 32, v79
	s_delay_alu instid0(VALU_DEP_1) | instskip(SKIP_1) | instid1(VALU_DEP_2)
	v_subrev_nc_u32_e32 v88, 28, v79
	v_sub_nc_u32_e32 v79, 29, v79
	v_lshlrev_b64 v[6:7], v88, v[6:7]
	s_delay_alu instid0(VALU_DEP_1)
	v_and_b32_e32 v6, 7, v6
; %bb.2580:                             ;   in Loop: Header=BB458_1183 Depth=1
	s_or_b32 exec_lo, exec_lo, s15
	v_lshlrev_b32_e32 v7, 16, v9
	s_delay_alu instid0(VALU_DEP_2) | instskip(SKIP_1) | instid1(VALU_DEP_3)
	v_lshlrev_b32_e32 v6, 20, v6
	v_lshl_add_u32 v9, v79, 23, 0x3c000000
	v_and_b32_e32 v7, 0x80000000, v7
	s_delay_alu instid0(VALU_DEP_1)
	v_or3_b32 v6, v6, v7, v9
.LBB458_2581:                           ;   in Loop: Header=BB458_1183 Depth=1
	s_or_b32 exec_lo, exec_lo, s13
.LBB458_2582:                           ;   in Loop: Header=BB458_1183 Depth=1
	s_delay_alu instid0(SALU_CYCLE_1)
	s_or_b32 exec_lo, exec_lo, s12
.LBB458_2583:                           ;   in Loop: Header=BB458_1183 Depth=1
	s_delay_alu instid0(SALU_CYCLE_1) | instskip(NEXT) | instid1(VALU_DEP_1)
	s_or_b32 exec_lo, exec_lo, s9
	v_mul_f32_e32 v6, v26, v6
                                        ; implicit-def: $vgpr79
	s_delay_alu instid0(VALU_DEP_1) | instskip(NEXT) | instid1(VALU_DEP_1)
	v_and_b32_e32 v7, 0x7f800000, v6
	v_cmp_ne_u32_e64 s0, 0x7f800000, v7
	s_delay_alu instid0(VALU_DEP_1) | instskip(NEXT) | instid1(SALU_CYCLE_1)
	s_and_saveexec_b32 s9, s0
	s_xor_b32 s0, exec_lo, s9
; %bb.2584:                             ;   in Loop: Header=BB458_1183 Depth=1
	v_bfe_u32 v7, v6, 16, 1
	s_delay_alu instid0(VALU_DEP_1)
	v_add3_u32 v79, v6, v7, 0x7fff
                                        ; implicit-def: $vgpr6
; %bb.2585:                             ;   in Loop: Header=BB458_1183 Depth=1
	s_and_not1_saveexec_b32 s9, s0
; %bb.2586:                             ;   in Loop: Header=BB458_1183 Depth=1
	v_and_b32_e32 v7, 0xffff, v6
	v_or_b32_e32 v9, 0x10000, v6
	s_delay_alu instid0(VALU_DEP_2) | instskip(NEXT) | instid1(VALU_DEP_1)
	v_cmp_eq_u32_e64 s0, 0, v7
	v_cndmask_b32_e64 v79, v9, v6, s0
; %bb.2587:                             ;   in Loop: Header=BB458_1183 Depth=1
	s_or_b32 exec_lo, exec_lo, s9
	v_lshrrev_b32_e32 v88, 16, v3
	s_mov_b32 s9, exec_lo
	s_delay_alu instid0(VALU_DEP_1) | instskip(NEXT) | instid1(VALU_DEP_1)
	v_dual_mov_b32 v6, 0 :: v_dual_and_b32 v7, 0xff, v88
	v_cmpx_ne_u16_e32 0, v7
	s_cbranch_execz .LBB458_2595
; %bb.2588:                             ;   in Loop: Header=BB458_1183 Depth=1
	v_bfrev_b32_e32 v6, 1
	s_mov_b32 s12, exec_lo
	v_cmpx_ne_u16_e32 0x80, v7
	s_cbranch_execz .LBB458_2594
; %bb.2589:                             ;   in Loop: Header=BB458_1183 Depth=1
	v_bfe_u32 v7, v3, 16, 7
	v_mov_b32_e32 v6, 0x7f800001
	s_mov_b32 s13, exec_lo
	s_delay_alu instid0(VALU_DEP_2)
	v_cmpx_ne_u32_e32 0x7f, v7
	s_cbranch_execz .LBB458_2593
; %bb.2590:                             ;   in Loop: Header=BB458_1183 Depth=1
	v_and_b32_e32 v9, 7, v88
	v_lshrrev_b32_e32 v89, 3, v7
	v_cmp_gt_u32_e64 s0, 8, v7
	s_delay_alu instid0(VALU_DEP_3) | instskip(NEXT) | instid1(VALU_DEP_2)
	v_dual_mov_b32 v6, v9 :: v_dual_mov_b32 v7, v10
	s_and_saveexec_b32 s15, s0
; %bb.2591:                             ;   in Loop: Header=BB458_1183 Depth=1
	v_clz_i32_u32_e32 v6, v9
	s_delay_alu instid0(VALU_DEP_1) | instskip(NEXT) | instid1(VALU_DEP_1)
	v_min_u32_e32 v89, 32, v6
	v_subrev_nc_u32_e32 v6, 28, v89
	v_sub_nc_u32_e32 v89, 29, v89
	s_delay_alu instid0(VALU_DEP_2) | instskip(NEXT) | instid1(VALU_DEP_1)
	v_lshlrev_b64 v[6:7], v6, v[9:10]
	v_and_b32_e32 v6, 7, v6
; %bb.2592:                             ;   in Loop: Header=BB458_1183 Depth=1
	s_or_b32 exec_lo, exec_lo, s15
	v_lshlrev_b32_e32 v7, 24, v88
	s_delay_alu instid0(VALU_DEP_2) | instskip(SKIP_1) | instid1(VALU_DEP_3)
	v_lshlrev_b32_e32 v6, 20, v6
	v_lshl_add_u32 v9, v89, 23, 0x3c000000
	v_and_b32_e32 v7, 0x80000000, v7
	s_delay_alu instid0(VALU_DEP_1)
	v_or3_b32 v6, v6, v7, v9
.LBB458_2593:                           ;   in Loop: Header=BB458_1183 Depth=1
	s_or_b32 exec_lo, exec_lo, s13
.LBB458_2594:                           ;   in Loop: Header=BB458_1183 Depth=1
	s_delay_alu instid0(SALU_CYCLE_1)
	s_or_b32 exec_lo, exec_lo, s12
.LBB458_2595:                           ;   in Loop: Header=BB458_1183 Depth=1
	s_delay_alu instid0(SALU_CYCLE_1) | instskip(NEXT) | instid1(VALU_DEP_1)
	s_or_b32 exec_lo, exec_lo, s9
	v_mul_f32_e32 v7, v26, v6
	s_delay_alu instid0(VALU_DEP_1) | instskip(NEXT) | instid1(VALU_DEP_1)
	v_and_b32_e32 v6, 0x7f800000, v7
	v_cmp_ne_u32_e64 s0, 0x7f800000, v6
                                        ; implicit-def: $vgpr6
	s_delay_alu instid0(VALU_DEP_1) | instskip(NEXT) | instid1(SALU_CYCLE_1)
	s_and_saveexec_b32 s9, s0
	s_xor_b32 s0, exec_lo, s9
; %bb.2596:                             ;   in Loop: Header=BB458_1183 Depth=1
	v_bfe_u32 v6, v7, 16, 1
	s_delay_alu instid0(VALU_DEP_1)
	v_add3_u32 v6, v7, v6, 0x7fff
                                        ; implicit-def: $vgpr7
; %bb.2597:                             ;   in Loop: Header=BB458_1183 Depth=1
	s_and_not1_saveexec_b32 s9, s0
; %bb.2598:                             ;   in Loop: Header=BB458_1183 Depth=1
	v_and_b32_e32 v6, 0xffff, v7
	v_or_b32_e32 v9, 0x10000, v7
	s_delay_alu instid0(VALU_DEP_2) | instskip(NEXT) | instid1(VALU_DEP_1)
	v_cmp_eq_u32_e64 s0, 0, v6
	v_cndmask_b32_e64 v6, v9, v7, s0
; %bb.2599:                             ;   in Loop: Header=BB458_1183 Depth=1
	s_or_b32 exec_lo, exec_lo, s9
	v_cmp_lt_u64_e64 s0, s[2:3], v[2:3]
	v_mov_b32_e32 v2, 0
	s_delay_alu instid0(VALU_DEP_2)
	s_and_saveexec_b32 s9, s0
	s_cbranch_execz .LBB458_2607
; %bb.2600:                             ;   in Loop: Header=BB458_1183 Depth=1
	v_lshrrev_b32_e32 v7, 24, v3
	v_bfrev_b32_e32 v2, 1
	s_mov_b32 s12, exec_lo
	s_delay_alu instid0(VALU_DEP_2)
	v_cmpx_ne_u32_e32 0x80, v7
	s_cbranch_execz .LBB458_2606
; %bb.2601:                             ;   in Loop: Header=BB458_1183 Depth=1
	v_bfe_u32 v3, v3, 24, 7
	v_mov_b32_e32 v2, 0x7f800001
	s_mov_b32 s13, exec_lo
	s_delay_alu instid0(VALU_DEP_2)
	v_cmpx_ne_u32_e32 0x7f, v3
	s_cbranch_execz .LBB458_2605
; %bb.2602:                             ;   in Loop: Header=BB458_1183 Depth=1
	v_and_b32_e32 v9, 7, v7
	v_lshrrev_b32_e32 v88, 3, v3
	v_cmp_gt_u32_e64 s0, 8, v3
	s_delay_alu instid0(VALU_DEP_3) | instskip(NEXT) | instid1(VALU_DEP_2)
	v_dual_mov_b32 v2, v9 :: v_dual_mov_b32 v3, v10
	s_and_saveexec_b32 s15, s0
; %bb.2603:                             ;   in Loop: Header=BB458_1183 Depth=1
	v_clz_i32_u32_e32 v2, v9
	s_delay_alu instid0(VALU_DEP_1) | instskip(NEXT) | instid1(VALU_DEP_1)
	v_min_u32_e32 v88, 32, v2
	v_subrev_nc_u32_e32 v2, 28, v88
	v_sub_nc_u32_e32 v88, 29, v88
	s_delay_alu instid0(VALU_DEP_2) | instskip(NEXT) | instid1(VALU_DEP_1)
	v_lshlrev_b64 v[2:3], v2, v[9:10]
	v_and_b32_e32 v2, 7, v2
; %bb.2604:                             ;   in Loop: Header=BB458_1183 Depth=1
	s_or_b32 exec_lo, exec_lo, s15
	v_lshlrev_b32_e32 v3, 24, v7
	s_delay_alu instid0(VALU_DEP_2) | instskip(SKIP_1) | instid1(VALU_DEP_3)
	v_lshlrev_b32_e32 v2, 20, v2
	v_lshl_add_u32 v7, v88, 23, 0x3c000000
	v_and_b32_e32 v3, 0x80000000, v3
	s_delay_alu instid0(VALU_DEP_1)
	v_or3_b32 v2, v2, v3, v7
.LBB458_2605:                           ;   in Loop: Header=BB458_1183 Depth=1
	s_or_b32 exec_lo, exec_lo, s13
.LBB458_2606:                           ;   in Loop: Header=BB458_1183 Depth=1
	s_delay_alu instid0(SALU_CYCLE_1)
	s_or_b32 exec_lo, exec_lo, s12
.LBB458_2607:                           ;   in Loop: Header=BB458_1183 Depth=1
	s_delay_alu instid0(SALU_CYCLE_1) | instskip(NEXT) | instid1(VALU_DEP_1)
	s_or_b32 exec_lo, exec_lo, s9
	v_mul_f32_e32 v3, v26, v2
	s_delay_alu instid0(VALU_DEP_1) | instskip(NEXT) | instid1(VALU_DEP_1)
	v_and_b32_e32 v2, 0x7f800000, v3
	v_cmp_ne_u32_e64 s0, 0x7f800000, v2
                                        ; implicit-def: $vgpr2
	s_delay_alu instid0(VALU_DEP_1) | instskip(NEXT) | instid1(SALU_CYCLE_1)
	s_and_saveexec_b32 s9, s0
	s_xor_b32 s0, exec_lo, s9
; %bb.2608:                             ;   in Loop: Header=BB458_1183 Depth=1
	v_bfe_u32 v2, v3, 16, 1
	s_delay_alu instid0(VALU_DEP_1)
	v_add3_u32 v2, v3, v2, 0x7fff
                                        ; implicit-def: $vgpr3
; %bb.2609:                             ;   in Loop: Header=BB458_1183 Depth=1
	s_and_not1_saveexec_b32 s9, s0
; %bb.2610:                             ;   in Loop: Header=BB458_1183 Depth=1
	v_and_b32_e32 v2, 0xffff, v3
	v_or_b32_e32 v7, 0x10000, v3
	s_delay_alu instid0(VALU_DEP_2) | instskip(NEXT) | instid1(VALU_DEP_1)
	v_cmp_eq_u32_e64 s0, 0, v2
	v_cndmask_b32_e64 v2, v7, v3, s0
; %bb.2611:                             ;   in Loop: Header=BB458_1183 Depth=1
	s_or_b32 exec_lo, exec_lo, s9
	v_lshrrev_b32_e32 v9, 16, v79
	v_lshrrev_b32_e32 v78, 16, v78
	;; [unrolled: 1-line block ×8, first 2 shown]
	s_and_saveexec_b32 s9, vcc_lo
	s_cbranch_execz .LBB458_2613
; %bb.2612:                             ;   in Loop: Header=BB458_1183 Depth=1
	v_cmp_lt_i32_e64 s0, v64, v35
	s_delay_alu instid0(VALU_DEP_1) | instskip(SKIP_1) | instid1(VALU_DEP_1)
	v_cndmask_b32_e64 v74, 0, v74, s0
	v_cmp_lt_i32_e64 s0, v70, v35
	v_cndmask_b32_e64 v7, 0, v7, s0
	v_cmp_lt_i32_e64 s0, v69, v35
	s_delay_alu instid0(VALU_DEP_1) | instskip(SKIP_1) | instid1(VALU_DEP_1)
	v_cndmask_b32_e64 v76, 0, v76, s0
	v_cmp_lt_i32_e64 s0, v68, v35
	v_cndmask_b32_e64 v77, 0, v77, s0
	;; [unrolled: 5-line block ×4, first 2 shown]
.LBB458_2613:                           ;   in Loop: Header=BB458_1183 Depth=1
	s_or_b32 exec_lo, exec_lo, s9
	v_lshlrev_b32_e32 v6, 16, v74
	s_delay_alu instid0(VALU_DEP_1) | instskip(NEXT) | instid1(VALU_DEP_1)
	v_mul_f32_e32 v74, v71, v6
	v_and_b32_e32 v6, 0x7f800000, v74
	s_delay_alu instid0(VALU_DEP_1) | instskip(NEXT) | instid1(VALU_DEP_1)
	v_cmp_ne_u32_e64 s0, 0x7f800000, v6
                                        ; implicit-def: $vgpr6
	s_and_saveexec_b32 s9, s0
	s_delay_alu instid0(SALU_CYCLE_1)
	s_xor_b32 s0, exec_lo, s9
; %bb.2614:                             ;   in Loop: Header=BB458_1183 Depth=1
	v_bfe_u32 v6, v74, 16, 1
	s_delay_alu instid0(VALU_DEP_1)
	v_add3_u32 v6, v74, v6, 0x7fff
                                        ; implicit-def: $vgpr74
; %bb.2615:                             ;   in Loop: Header=BB458_1183 Depth=1
	s_and_not1_saveexec_b32 s9, s0
; %bb.2616:                             ;   in Loop: Header=BB458_1183 Depth=1
	v_and_b32_e32 v6, 0xffff, v74
	v_or_b32_e32 v75, 0x10000, v74
	s_delay_alu instid0(VALU_DEP_2) | instskip(NEXT) | instid1(VALU_DEP_1)
	v_cmp_eq_u32_e64 s0, 0, v6
	v_cndmask_b32_e64 v6, v75, v74, s0
; %bb.2617:                             ;   in Loop: Header=BB458_1183 Depth=1
	s_or_b32 exec_lo, exec_lo, s9
	v_lshlrev_b32_e32 v7, 16, v7
	s_delay_alu instid0(VALU_DEP_1) | instskip(NEXT) | instid1(VALU_DEP_1)
	v_mul_f32_e32 v74, v80, v7
	v_and_b32_e32 v7, 0x7f800000, v74
	s_delay_alu instid0(VALU_DEP_1) | instskip(NEXT) | instid1(VALU_DEP_1)
	v_cmp_ne_u32_e64 s0, 0x7f800000, v7
                                        ; implicit-def: $vgpr7
	s_and_saveexec_b32 s9, s0
	s_delay_alu instid0(SALU_CYCLE_1)
	s_xor_b32 s0, exec_lo, s9
; %bb.2618:                             ;   in Loop: Header=BB458_1183 Depth=1
	v_bfe_u32 v7, v74, 16, 1
	s_delay_alu instid0(VALU_DEP_1)
	v_add3_u32 v7, v74, v7, 0x7fff
                                        ; implicit-def: $vgpr74
; %bb.2619:                             ;   in Loop: Header=BB458_1183 Depth=1
	s_and_not1_saveexec_b32 s9, s0
; %bb.2620:                             ;   in Loop: Header=BB458_1183 Depth=1
	v_and_b32_e32 v7, 0xffff, v74
	v_or_b32_e32 v75, 0x10000, v74
	s_delay_alu instid0(VALU_DEP_2) | instskip(NEXT) | instid1(VALU_DEP_1)
	v_cmp_eq_u32_e64 s0, 0, v7
	v_cndmask_b32_e64 v7, v75, v74, s0
; %bb.2621:                             ;   in Loop: Header=BB458_1183 Depth=1
	s_or_b32 exec_lo, exec_lo, s9
	v_lshlrev_b32_e32 v74, 16, v76
	s_delay_alu instid0(VALU_DEP_1) | instskip(NEXT) | instid1(VALU_DEP_1)
	v_mul_f32_e32 v75, v81, v74
	v_and_b32_e32 v74, 0x7f800000, v75
	s_delay_alu instid0(VALU_DEP_1) | instskip(NEXT) | instid1(VALU_DEP_1)
	v_cmp_ne_u32_e64 s0, 0x7f800000, v74
                                        ; implicit-def: $vgpr74
	s_and_saveexec_b32 s9, s0
	s_delay_alu instid0(SALU_CYCLE_1)
	s_xor_b32 s0, exec_lo, s9
; %bb.2622:                             ;   in Loop: Header=BB458_1183 Depth=1
	v_bfe_u32 v74, v75, 16, 1
	s_delay_alu instid0(VALU_DEP_1)
	v_add3_u32 v74, v75, v74, 0x7fff
                                        ; implicit-def: $vgpr75
; %bb.2623:                             ;   in Loop: Header=BB458_1183 Depth=1
	s_and_not1_saveexec_b32 s9, s0
; %bb.2624:                             ;   in Loop: Header=BB458_1183 Depth=1
	v_and_b32_e32 v74, 0xffff, v75
	v_or_b32_e32 v76, 0x10000, v75
	s_delay_alu instid0(VALU_DEP_2) | instskip(NEXT) | instid1(VALU_DEP_1)
	v_cmp_eq_u32_e64 s0, 0, v74
	v_cndmask_b32_e64 v74, v76, v75, s0
; %bb.2625:                             ;   in Loop: Header=BB458_1183 Depth=1
	s_or_b32 exec_lo, exec_lo, s9
	v_lshlrev_b32_e32 v75, 16, v77
	s_delay_alu instid0(VALU_DEP_1) | instskip(NEXT) | instid1(VALU_DEP_1)
	v_mul_f32_e32 v76, v82, v75
	v_and_b32_e32 v75, 0x7f800000, v76
	s_delay_alu instid0(VALU_DEP_1) | instskip(NEXT) | instid1(VALU_DEP_1)
	v_cmp_ne_u32_e64 s0, 0x7f800000, v75
                                        ; implicit-def: $vgpr75
	s_and_saveexec_b32 s9, s0
	s_delay_alu instid0(SALU_CYCLE_1)
	s_xor_b32 s0, exec_lo, s9
; %bb.2626:                             ;   in Loop: Header=BB458_1183 Depth=1
	v_bfe_u32 v75, v76, 16, 1
	s_delay_alu instid0(VALU_DEP_1)
	v_add3_u32 v75, v76, v75, 0x7fff
                                        ; implicit-def: $vgpr76
; %bb.2627:                             ;   in Loop: Header=BB458_1183 Depth=1
	s_and_not1_saveexec_b32 s9, s0
; %bb.2628:                             ;   in Loop: Header=BB458_1183 Depth=1
	v_and_b32_e32 v75, 0xffff, v76
	v_or_b32_e32 v77, 0x10000, v76
	s_delay_alu instid0(VALU_DEP_2) | instskip(NEXT) | instid1(VALU_DEP_1)
	v_cmp_eq_u32_e64 s0, 0, v75
	v_cndmask_b32_e64 v75, v77, v76, s0
; %bb.2629:                             ;   in Loop: Header=BB458_1183 Depth=1
	s_or_b32 exec_lo, exec_lo, s9
	v_lshlrev_b32_e32 v76, 16, v78
	s_delay_alu instid0(VALU_DEP_1) | instskip(NEXT) | instid1(VALU_DEP_1)
	v_mul_f32_e32 v77, v83, v76
	v_and_b32_e32 v76, 0x7f800000, v77
	s_delay_alu instid0(VALU_DEP_1) | instskip(NEXT) | instid1(VALU_DEP_1)
	v_cmp_ne_u32_e64 s0, 0x7f800000, v76
                                        ; implicit-def: $vgpr76
	s_and_saveexec_b32 s9, s0
	s_delay_alu instid0(SALU_CYCLE_1)
	s_xor_b32 s0, exec_lo, s9
; %bb.2630:                             ;   in Loop: Header=BB458_1183 Depth=1
	v_bfe_u32 v76, v77, 16, 1
	s_delay_alu instid0(VALU_DEP_1)
	v_add3_u32 v76, v77, v76, 0x7fff
                                        ; implicit-def: $vgpr77
; %bb.2631:                             ;   in Loop: Header=BB458_1183 Depth=1
	s_and_not1_saveexec_b32 s9, s0
; %bb.2632:                             ;   in Loop: Header=BB458_1183 Depth=1
	v_and_b32_e32 v76, 0xffff, v77
	v_or_b32_e32 v78, 0x10000, v77
	s_delay_alu instid0(VALU_DEP_2) | instskip(NEXT) | instid1(VALU_DEP_1)
	v_cmp_eq_u32_e64 s0, 0, v76
	v_cndmask_b32_e64 v76, v78, v77, s0
; %bb.2633:                             ;   in Loop: Header=BB458_1183 Depth=1
	s_or_b32 exec_lo, exec_lo, s9
	v_lshlrev_b32_e32 v9, 16, v9
	s_delay_alu instid0(VALU_DEP_1) | instskip(NEXT) | instid1(VALU_DEP_1)
	v_mul_f32_e32 v9, v84, v9
	v_and_b32_e32 v77, 0x7f800000, v9
	s_delay_alu instid0(VALU_DEP_1) | instskip(NEXT) | instid1(VALU_DEP_1)
	v_cmp_ne_u32_e64 s0, 0x7f800000, v77
                                        ; implicit-def: $vgpr77
	s_and_saveexec_b32 s9, s0
	s_delay_alu instid0(SALU_CYCLE_1)
	s_xor_b32 s0, exec_lo, s9
; %bb.2634:                             ;   in Loop: Header=BB458_1183 Depth=1
	v_bfe_u32 v77, v9, 16, 1
	s_delay_alu instid0(VALU_DEP_1)
	v_add3_u32 v77, v9, v77, 0x7fff
                                        ; implicit-def: $vgpr9
; %bb.2635:                             ;   in Loop: Header=BB458_1183 Depth=1
	s_and_not1_saveexec_b32 s9, s0
; %bb.2636:                             ;   in Loop: Header=BB458_1183 Depth=1
	v_and_b32_e32 v77, 0xffff, v9
	v_or_b32_e32 v78, 0x10000, v9
	s_delay_alu instid0(VALU_DEP_2) | instskip(NEXT) | instid1(VALU_DEP_1)
	v_cmp_eq_u32_e64 s0, 0, v77
	v_cndmask_b32_e64 v77, v78, v9, s0
; %bb.2637:                             ;   in Loop: Header=BB458_1183 Depth=1
	s_or_b32 exec_lo, exec_lo, s9
	v_lshlrev_b32_e32 v3, 16, v3
                                        ; implicit-def: $vgpr78
	s_delay_alu instid0(VALU_DEP_1) | instskip(NEXT) | instid1(VALU_DEP_1)
	v_mul_f32_e32 v3, v85, v3
	v_and_b32_e32 v9, 0x7f800000, v3
	s_delay_alu instid0(VALU_DEP_1) | instskip(NEXT) | instid1(VALU_DEP_1)
	v_cmp_ne_u32_e64 s0, 0x7f800000, v9
	s_and_saveexec_b32 s9, s0
	s_delay_alu instid0(SALU_CYCLE_1)
	s_xor_b32 s0, exec_lo, s9
; %bb.2638:                             ;   in Loop: Header=BB458_1183 Depth=1
	v_bfe_u32 v9, v3, 16, 1
	s_delay_alu instid0(VALU_DEP_1)
	v_add3_u32 v78, v3, v9, 0x7fff
                                        ; implicit-def: $vgpr3
; %bb.2639:                             ;   in Loop: Header=BB458_1183 Depth=1
	s_and_not1_saveexec_b32 s9, s0
; %bb.2640:                             ;   in Loop: Header=BB458_1183 Depth=1
	v_and_b32_e32 v9, 0xffff, v3
	v_or_b32_e32 v78, 0x10000, v3
	s_delay_alu instid0(VALU_DEP_2) | instskip(NEXT) | instid1(VALU_DEP_1)
	v_cmp_eq_u32_e64 s0, 0, v9
	v_cndmask_b32_e64 v78, v78, v3, s0
; %bb.2641:                             ;   in Loop: Header=BB458_1183 Depth=1
	s_or_b32 exec_lo, exec_lo, s9
	v_lshlrev_b32_e32 v2, 16, v2
                                        ; implicit-def: $vgpr79
	s_delay_alu instid0(VALU_DEP_1) | instskip(NEXT) | instid1(VALU_DEP_1)
	v_mul_f32_e32 v2, v86, v2
	v_and_b32_e32 v3, 0x7f800000, v2
	s_delay_alu instid0(VALU_DEP_1) | instskip(NEXT) | instid1(VALU_DEP_1)
	v_cmp_ne_u32_e64 s0, 0x7f800000, v3
	s_and_saveexec_b32 s9, s0
	s_delay_alu instid0(SALU_CYCLE_1)
	s_xor_b32 s0, exec_lo, s9
; %bb.2642:                             ;   in Loop: Header=BB458_1183 Depth=1
	v_bfe_u32 v3, v2, 16, 1
	s_delay_alu instid0(VALU_DEP_1)
	v_add3_u32 v79, v2, v3, 0x7fff
                                        ; implicit-def: $vgpr2
; %bb.2643:                             ;   in Loop: Header=BB458_1183 Depth=1
	s_and_not1_saveexec_b32 s9, s0
; %bb.2644:                             ;   in Loop: Header=BB458_1183 Depth=1
	v_and_b32_e32 v3, 0xffff, v2
	v_or_b32_e32 v9, 0x10000, v2
	s_delay_alu instid0(VALU_DEP_2) | instskip(NEXT) | instid1(VALU_DEP_1)
	v_cmp_eq_u32_e64 s0, 0, v3
	v_cndmask_b32_e64 v79, v9, v2, s0
; %bb.2645:                             ;   in Loop: Header=BB458_1183 Depth=1
	s_or_b32 exec_lo, exec_lo, s9
	flat_load_b64 v[0:1], v[0:1] offset:2816
	s_mov_b32 s9, exec_lo
	s_waitcnt vmcnt(0) lgkmcnt(0)
	v_dual_mov_b32 v2, 0 :: v_dual_and_b32 v3, 0xff, v0
	s_delay_alu instid0(VALU_DEP_1)
	v_cmpx_ne_u16_e32 0, v3
	s_cbranch_execz .LBB458_2653
; %bb.2646:                             ;   in Loop: Header=BB458_1183 Depth=1
	v_bfrev_b32_e32 v2, 1
	s_mov_b32 s12, exec_lo
	v_cmpx_ne_u16_e32 0x80, v3
	s_cbranch_execz .LBB458_2652
; %bb.2647:                             ;   in Loop: Header=BB458_1183 Depth=1
	v_and_b32_e32 v3, 0x7f, v0
	v_mov_b32_e32 v2, 0x7f800001
	s_mov_b32 s13, exec_lo
	s_delay_alu instid0(VALU_DEP_2)
	v_cmpx_ne_u32_e32 0x7f, v3
	s_cbranch_execz .LBB458_2651
; %bb.2648:                             ;   in Loop: Header=BB458_1183 Depth=1
	v_lshrrev_b32_e32 v9, 3, v3
	v_cmp_gt_u32_e64 s0, 8, v3
	v_dual_mov_b32 v3, v1 :: v_dual_mov_b32 v2, v0
	s_delay_alu instid0(VALU_DEP_2)
	s_and_saveexec_b32 s15, s0
; %bb.2649:                             ;   in Loop: Header=BB458_1183 Depth=1
	v_and_b32_e32 v2, 7, v0
	s_delay_alu instid0(VALU_DEP_1) | instskip(NEXT) | instid1(VALU_DEP_1)
	v_clz_i32_u32_e32 v2, v2
	v_min_u32_e32 v9, 32, v2
	s_delay_alu instid0(VALU_DEP_1) | instskip(SKIP_1) | instid1(VALU_DEP_2)
	v_subrev_nc_u32_e32 v2, 28, v9
	v_sub_nc_u32_e32 v9, 29, v9
	v_lshlrev_b64 v[2:3], v2, v[0:1]
; %bb.2650:                             ;   in Loop: Header=BB458_1183 Depth=1
	s_or_b32 exec_lo, exec_lo, s15
	s_delay_alu instid0(VALU_DEP_1) | instskip(SKIP_2) | instid1(VALU_DEP_3)
	v_lshlrev_b32_e32 v2, 20, v2
	v_lshlrev_b32_e32 v3, 24, v0
	v_lshl_add_u32 v9, v9, 23, 0x3c000000
	v_and_b32_e32 v2, 0x700000, v2
	s_delay_alu instid0(VALU_DEP_3) | instskip(NEXT) | instid1(VALU_DEP_1)
	v_and_b32_e32 v3, 0x80000000, v3
	v_or3_b32 v2, v2, v3, v9
.LBB458_2651:                           ;   in Loop: Header=BB458_1183 Depth=1
	s_or_b32 exec_lo, exec_lo, s13
.LBB458_2652:                           ;   in Loop: Header=BB458_1183 Depth=1
	s_delay_alu instid0(SALU_CYCLE_1)
	s_or_b32 exec_lo, exec_lo, s12
.LBB458_2653:                           ;   in Loop: Header=BB458_1183 Depth=1
	s_delay_alu instid0(SALU_CYCLE_1) | instskip(NEXT) | instid1(VALU_DEP_1)
	s_or_b32 exec_lo, exec_lo, s9
	v_mul_f32_e32 v2, v26, v2
                                        ; implicit-def: $vgpr88
	s_delay_alu instid0(VALU_DEP_1) | instskip(NEXT) | instid1(VALU_DEP_1)
	v_and_b32_e32 v3, 0x7f800000, v2
	v_cmp_ne_u32_e64 s0, 0x7f800000, v3
	s_delay_alu instid0(VALU_DEP_1) | instskip(NEXT) | instid1(SALU_CYCLE_1)
	s_and_saveexec_b32 s9, s0
	s_xor_b32 s0, exec_lo, s9
; %bb.2654:                             ;   in Loop: Header=BB458_1183 Depth=1
	v_bfe_u32 v3, v2, 16, 1
	s_delay_alu instid0(VALU_DEP_1)
	v_add3_u32 v88, v2, v3, 0x7fff
                                        ; implicit-def: $vgpr2
; %bb.2655:                             ;   in Loop: Header=BB458_1183 Depth=1
	s_and_not1_saveexec_b32 s9, s0
; %bb.2656:                             ;   in Loop: Header=BB458_1183 Depth=1
	v_and_b32_e32 v3, 0xffff, v2
	v_or_b32_e32 v9, 0x10000, v2
	s_delay_alu instid0(VALU_DEP_2) | instskip(NEXT) | instid1(VALU_DEP_1)
	v_cmp_eq_u32_e64 s0, 0, v3
	v_cndmask_b32_e64 v88, v9, v2, s0
; %bb.2657:                             ;   in Loop: Header=BB458_1183 Depth=1
	s_or_b32 exec_lo, exec_lo, s9
	v_lshrrev_b16 v3, 8, v0
	v_mov_b32_e32 v2, 0
	s_mov_b32 s9, exec_lo
	s_delay_alu instid0(VALU_DEP_2)
	v_cmpx_ne_u16_e32 0, v3
	s_cbranch_execz .LBB458_2665
; %bb.2658:                             ;   in Loop: Header=BB458_1183 Depth=1
	v_bfrev_b32_e32 v2, 1
	s_mov_b32 s12, exec_lo
	v_cmpx_ne_u16_e32 0x80, v3
	s_cbranch_execz .LBB458_2664
; %bb.2659:                             ;   in Loop: Header=BB458_1183 Depth=1
	v_and_b32_e32 v9, 0xffff, v3
	v_mov_b32_e32 v2, 0x7f800001
	s_mov_b32 s13, exec_lo
	s_delay_alu instid0(VALU_DEP_2) | instskip(NEXT) | instid1(VALU_DEP_1)
	v_and_b32_e32 v3, 0x7f, v9
	v_cmpx_ne_u32_e32 0x7f, v3
	s_cbranch_execz .LBB458_2663
; %bb.2660:                             ;   in Loop: Header=BB458_1183 Depth=1
	v_and_b32_e32 v9, 7, v9
	v_lshrrev_b32_e32 v89, 3, v3
	v_cmp_gt_u32_e64 s0, 8, v3
	s_delay_alu instid0(VALU_DEP_3) | instskip(NEXT) | instid1(VALU_DEP_2)
	v_dual_mov_b32 v2, v9 :: v_dual_mov_b32 v3, v10
	s_and_saveexec_b32 s15, s0
; %bb.2661:                             ;   in Loop: Header=BB458_1183 Depth=1
	v_clz_i32_u32_e32 v2, v9
	s_delay_alu instid0(VALU_DEP_1) | instskip(NEXT) | instid1(VALU_DEP_1)
	v_min_u32_e32 v89, 32, v2
	v_subrev_nc_u32_e32 v2, 28, v89
	v_sub_nc_u32_e32 v89, 29, v89
	s_delay_alu instid0(VALU_DEP_2) | instskip(NEXT) | instid1(VALU_DEP_1)
	v_lshlrev_b64 v[2:3], v2, v[9:10]
	v_and_b32_e32 v2, 7, v2
; %bb.2662:                             ;   in Loop: Header=BB458_1183 Depth=1
	s_or_b32 exec_lo, exec_lo, s15
	v_lshlrev_b32_e32 v3, 16, v0
	s_delay_alu instid0(VALU_DEP_2) | instskip(SKIP_1) | instid1(VALU_DEP_3)
	v_lshlrev_b32_e32 v2, 20, v2
	v_lshl_add_u32 v9, v89, 23, 0x3c000000
	v_and_b32_e32 v3, 0x80000000, v3
	s_delay_alu instid0(VALU_DEP_1)
	v_or3_b32 v2, v2, v3, v9
.LBB458_2663:                           ;   in Loop: Header=BB458_1183 Depth=1
	s_or_b32 exec_lo, exec_lo, s13
.LBB458_2664:                           ;   in Loop: Header=BB458_1183 Depth=1
	s_delay_alu instid0(SALU_CYCLE_1)
	s_or_b32 exec_lo, exec_lo, s12
.LBB458_2665:                           ;   in Loop: Header=BB458_1183 Depth=1
	s_delay_alu instid0(SALU_CYCLE_1) | instskip(NEXT) | instid1(VALU_DEP_1)
	s_or_b32 exec_lo, exec_lo, s9
	v_mul_f32_e32 v2, v26, v2
                                        ; implicit-def: $vgpr89
	s_delay_alu instid0(VALU_DEP_1) | instskip(NEXT) | instid1(VALU_DEP_1)
	v_and_b32_e32 v3, 0x7f800000, v2
	v_cmp_ne_u32_e64 s0, 0x7f800000, v3
	s_delay_alu instid0(VALU_DEP_1) | instskip(NEXT) | instid1(SALU_CYCLE_1)
	s_and_saveexec_b32 s9, s0
	s_xor_b32 s0, exec_lo, s9
; %bb.2666:                             ;   in Loop: Header=BB458_1183 Depth=1
	v_bfe_u32 v3, v2, 16, 1
	s_delay_alu instid0(VALU_DEP_1)
	v_add3_u32 v89, v2, v3, 0x7fff
                                        ; implicit-def: $vgpr2
; %bb.2667:                             ;   in Loop: Header=BB458_1183 Depth=1
	s_and_not1_saveexec_b32 s9, s0
; %bb.2668:                             ;   in Loop: Header=BB458_1183 Depth=1
	v_and_b32_e32 v3, 0xffff, v2
	v_or_b32_e32 v9, 0x10000, v2
	s_delay_alu instid0(VALU_DEP_2) | instskip(NEXT) | instid1(VALU_DEP_1)
	v_cmp_eq_u32_e64 s0, 0, v3
	v_cndmask_b32_e64 v89, v9, v2, s0
; %bb.2669:                             ;   in Loop: Header=BB458_1183 Depth=1
	s_or_b32 exec_lo, exec_lo, s9
	v_lshrrev_b32_e32 v90, 16, v0
	s_mov_b32 s9, exec_lo
	s_delay_alu instid0(VALU_DEP_1) | instskip(NEXT) | instid1(VALU_DEP_1)
	v_dual_mov_b32 v2, 0 :: v_dual_and_b32 v3, 0xff, v90
	v_cmpx_ne_u16_e32 0, v3
	s_cbranch_execz .LBB458_2677
; %bb.2670:                             ;   in Loop: Header=BB458_1183 Depth=1
	v_bfrev_b32_e32 v2, 1
	s_mov_b32 s12, exec_lo
	v_cmpx_ne_u16_e32 0x80, v3
	s_cbranch_execz .LBB458_2676
; %bb.2671:                             ;   in Loop: Header=BB458_1183 Depth=1
	v_bfe_u32 v3, v0, 16, 7
	v_mov_b32_e32 v2, 0x7f800001
	s_mov_b32 s13, exec_lo
	s_delay_alu instid0(VALU_DEP_2)
	v_cmpx_ne_u32_e32 0x7f, v3
	s_cbranch_execz .LBB458_2675
; %bb.2672:                             ;   in Loop: Header=BB458_1183 Depth=1
	v_and_b32_e32 v9, 7, v90
	v_lshrrev_b32_e32 v91, 3, v3
	v_cmp_gt_u32_e64 s0, 8, v3
	s_delay_alu instid0(VALU_DEP_3) | instskip(NEXT) | instid1(VALU_DEP_2)
	v_dual_mov_b32 v2, v9 :: v_dual_mov_b32 v3, v10
	s_and_saveexec_b32 s15, s0
; %bb.2673:                             ;   in Loop: Header=BB458_1183 Depth=1
	v_clz_i32_u32_e32 v2, v9
	s_delay_alu instid0(VALU_DEP_1) | instskip(NEXT) | instid1(VALU_DEP_1)
	v_min_u32_e32 v91, 32, v2
	v_subrev_nc_u32_e32 v2, 28, v91
	v_sub_nc_u32_e32 v91, 29, v91
	s_delay_alu instid0(VALU_DEP_2) | instskip(NEXT) | instid1(VALU_DEP_1)
	v_lshlrev_b64 v[2:3], v2, v[9:10]
	v_and_b32_e32 v2, 7, v2
; %bb.2674:                             ;   in Loop: Header=BB458_1183 Depth=1
	s_or_b32 exec_lo, exec_lo, s15
	v_lshlrev_b32_e32 v3, 24, v90
	s_delay_alu instid0(VALU_DEP_2) | instskip(SKIP_1) | instid1(VALU_DEP_3)
	v_lshlrev_b32_e32 v2, 20, v2
	v_lshl_add_u32 v9, v91, 23, 0x3c000000
	v_and_b32_e32 v3, 0x80000000, v3
	s_delay_alu instid0(VALU_DEP_1)
	v_or3_b32 v2, v2, v3, v9
.LBB458_2675:                           ;   in Loop: Header=BB458_1183 Depth=1
	s_or_b32 exec_lo, exec_lo, s13
.LBB458_2676:                           ;   in Loop: Header=BB458_1183 Depth=1
	s_delay_alu instid0(SALU_CYCLE_1)
	s_or_b32 exec_lo, exec_lo, s12
.LBB458_2677:                           ;   in Loop: Header=BB458_1183 Depth=1
	s_delay_alu instid0(SALU_CYCLE_1) | instskip(NEXT) | instid1(VALU_DEP_1)
	s_or_b32 exec_lo, exec_lo, s9
	v_mul_f32_e32 v2, v26, v2
                                        ; implicit-def: $vgpr90
	s_delay_alu instid0(VALU_DEP_1) | instskip(NEXT) | instid1(VALU_DEP_1)
	v_and_b32_e32 v3, 0x7f800000, v2
	v_cmp_ne_u32_e64 s0, 0x7f800000, v3
	s_delay_alu instid0(VALU_DEP_1) | instskip(NEXT) | instid1(SALU_CYCLE_1)
	s_and_saveexec_b32 s9, s0
	s_xor_b32 s0, exec_lo, s9
; %bb.2678:                             ;   in Loop: Header=BB458_1183 Depth=1
	v_bfe_u32 v3, v2, 16, 1
	s_delay_alu instid0(VALU_DEP_1)
	v_add3_u32 v90, v2, v3, 0x7fff
                                        ; implicit-def: $vgpr2
; %bb.2679:                             ;   in Loop: Header=BB458_1183 Depth=1
	s_and_not1_saveexec_b32 s9, s0
; %bb.2680:                             ;   in Loop: Header=BB458_1183 Depth=1
	v_and_b32_e32 v3, 0xffff, v2
	v_or_b32_e32 v9, 0x10000, v2
	s_delay_alu instid0(VALU_DEP_2) | instskip(NEXT) | instid1(VALU_DEP_1)
	v_cmp_eq_u32_e64 s0, 0, v3
	v_cndmask_b32_e64 v90, v9, v2, s0
; %bb.2681:                             ;   in Loop: Header=BB458_1183 Depth=1
	s_or_b32 exec_lo, exec_lo, s9
	v_mov_b32_e32 v2, 0
	s_mov_b32 s9, exec_lo
	v_cmpx_lt_u32_e32 0xffffff, v0
	s_cbranch_execz .LBB458_2689
; %bb.2682:                             ;   in Loop: Header=BB458_1183 Depth=1
	v_lshrrev_b32_e32 v91, 24, v0
	v_bfrev_b32_e32 v2, 1
	s_mov_b32 s12, exec_lo
	s_delay_alu instid0(VALU_DEP_2)
	v_cmpx_ne_u32_e32 0x80, v91
	s_cbranch_execz .LBB458_2688
; %bb.2683:                             ;   in Loop: Header=BB458_1183 Depth=1
	v_bfe_u32 v3, v0, 24, 7
	v_mov_b32_e32 v2, 0x7f800001
	s_mov_b32 s13, exec_lo
	s_delay_alu instid0(VALU_DEP_2)
	v_cmpx_ne_u32_e32 0x7f, v3
	s_cbranch_execz .LBB458_2687
; %bb.2684:                             ;   in Loop: Header=BB458_1183 Depth=1
	v_and_b32_e32 v9, 7, v91
	v_lshrrev_b32_e32 v92, 3, v3
	v_cmp_gt_u32_e64 s0, 8, v3
	s_delay_alu instid0(VALU_DEP_3) | instskip(NEXT) | instid1(VALU_DEP_2)
	v_dual_mov_b32 v2, v9 :: v_dual_mov_b32 v3, v10
	s_and_saveexec_b32 s15, s0
; %bb.2685:                             ;   in Loop: Header=BB458_1183 Depth=1
	v_clz_i32_u32_e32 v2, v9
	s_delay_alu instid0(VALU_DEP_1) | instskip(NEXT) | instid1(VALU_DEP_1)
	v_min_u32_e32 v92, 32, v2
	v_subrev_nc_u32_e32 v2, 28, v92
	v_sub_nc_u32_e32 v92, 29, v92
	s_delay_alu instid0(VALU_DEP_2) | instskip(NEXT) | instid1(VALU_DEP_1)
	v_lshlrev_b64 v[2:3], v2, v[9:10]
	v_and_b32_e32 v2, 7, v2
; %bb.2686:                             ;   in Loop: Header=BB458_1183 Depth=1
	s_or_b32 exec_lo, exec_lo, s15
	v_lshlrev_b32_e32 v3, 24, v91
	s_delay_alu instid0(VALU_DEP_2) | instskip(SKIP_1) | instid1(VALU_DEP_3)
	v_lshlrev_b32_e32 v2, 20, v2
	v_lshl_add_u32 v9, v92, 23, 0x3c000000
	v_and_b32_e32 v3, 0x80000000, v3
	s_delay_alu instid0(VALU_DEP_1)
	v_or3_b32 v2, v2, v3, v9
.LBB458_2687:                           ;   in Loop: Header=BB458_1183 Depth=1
	s_or_b32 exec_lo, exec_lo, s13
.LBB458_2688:                           ;   in Loop: Header=BB458_1183 Depth=1
	s_delay_alu instid0(SALU_CYCLE_1)
	s_or_b32 exec_lo, exec_lo, s12
.LBB458_2689:                           ;   in Loop: Header=BB458_1183 Depth=1
	s_delay_alu instid0(SALU_CYCLE_1) | instskip(NEXT) | instid1(VALU_DEP_1)
	s_or_b32 exec_lo, exec_lo, s9
	v_mul_f32_e32 v2, v26, v2
                                        ; implicit-def: $vgpr91
	s_delay_alu instid0(VALU_DEP_1) | instskip(NEXT) | instid1(VALU_DEP_1)
	v_and_b32_e32 v3, 0x7f800000, v2
	v_cmp_ne_u32_e64 s0, 0x7f800000, v3
	s_delay_alu instid0(VALU_DEP_1) | instskip(NEXT) | instid1(SALU_CYCLE_1)
	s_and_saveexec_b32 s9, s0
	s_xor_b32 s0, exec_lo, s9
; %bb.2690:                             ;   in Loop: Header=BB458_1183 Depth=1
	v_bfe_u32 v3, v2, 16, 1
	s_delay_alu instid0(VALU_DEP_1)
	v_add3_u32 v91, v2, v3, 0x7fff
                                        ; implicit-def: $vgpr2
; %bb.2691:                             ;   in Loop: Header=BB458_1183 Depth=1
	s_and_not1_saveexec_b32 s9, s0
; %bb.2692:                             ;   in Loop: Header=BB458_1183 Depth=1
	v_and_b32_e32 v3, 0xffff, v2
	v_or_b32_e32 v9, 0x10000, v2
	s_delay_alu instid0(VALU_DEP_2) | instskip(NEXT) | instid1(VALU_DEP_1)
	v_cmp_eq_u32_e64 s0, 0, v3
	v_cndmask_b32_e64 v91, v9, v2, s0
; %bb.2693:                             ;   in Loop: Header=BB458_1183 Depth=1
	s_or_b32 exec_lo, exec_lo, s9
	v_dual_mov_b32 v2, 0 :: v_dual_and_b32 v3, 0xff, v1
	v_mov_b32_e32 v9, v1
	s_mov_b32 s9, exec_lo
	s_delay_alu instid0(VALU_DEP_2)
	v_cmpx_ne_u16_e32 0, v3
	s_cbranch_execz .LBB458_2701
; %bb.2694:                             ;   in Loop: Header=BB458_1183 Depth=1
	v_bfrev_b32_e32 v2, 1
	s_mov_b32 s12, exec_lo
	v_cmpx_ne_u16_e32 0x80, v3
	s_cbranch_execz .LBB458_2700
; %bb.2695:                             ;   in Loop: Header=BB458_1183 Depth=1
	v_and_b32_e32 v3, 0x7f, v1
	v_mov_b32_e32 v2, 0x7f800001
	s_mov_b32 s13, exec_lo
	s_delay_alu instid0(VALU_DEP_2)
	v_cmpx_ne_u32_e32 0x7f, v3
	s_cbranch_execz .LBB458_2699
; %bb.2696:                             ;   in Loop: Header=BB458_1183 Depth=1
	v_lshrrev_b32_e32 v92, 3, v3
	v_cmp_gt_u32_e64 s0, 8, v3
	v_dual_mov_b32 v2, v9 :: v_dual_mov_b32 v3, v10
	s_delay_alu instid0(VALU_DEP_2)
	s_and_saveexec_b32 s15, s0
; %bb.2697:                             ;   in Loop: Header=BB458_1183 Depth=1
	v_and_b32_e32 v2, 7, v1
	s_delay_alu instid0(VALU_DEP_1) | instskip(NEXT) | instid1(VALU_DEP_1)
	v_clz_i32_u32_e32 v2, v2
	v_min_u32_e32 v92, 32, v2
	s_delay_alu instid0(VALU_DEP_1) | instskip(SKIP_1) | instid1(VALU_DEP_2)
	v_subrev_nc_u32_e32 v2, 28, v92
	v_sub_nc_u32_e32 v92, 29, v92
	v_lshlrev_b64 v[2:3], v2, v[9:10]
; %bb.2698:                             ;   in Loop: Header=BB458_1183 Depth=1
	s_or_b32 exec_lo, exec_lo, s15
	s_delay_alu instid0(VALU_DEP_1) | instskip(SKIP_2) | instid1(VALU_DEP_3)
	v_lshlrev_b32_e32 v2, 20, v2
	v_lshlrev_b32_e32 v3, 24, v9
	v_lshl_add_u32 v92, v92, 23, 0x3c000000
	v_and_b32_e32 v2, 0x700000, v2
	s_delay_alu instid0(VALU_DEP_3) | instskip(NEXT) | instid1(VALU_DEP_1)
	v_and_b32_e32 v3, 0x80000000, v3
	v_or3_b32 v2, v2, v3, v92
.LBB458_2699:                           ;   in Loop: Header=BB458_1183 Depth=1
	s_or_b32 exec_lo, exec_lo, s13
.LBB458_2700:                           ;   in Loop: Header=BB458_1183 Depth=1
	s_delay_alu instid0(SALU_CYCLE_1)
	s_or_b32 exec_lo, exec_lo, s12
.LBB458_2701:                           ;   in Loop: Header=BB458_1183 Depth=1
	s_delay_alu instid0(SALU_CYCLE_1) | instskip(NEXT) | instid1(VALU_DEP_1)
	s_or_b32 exec_lo, exec_lo, s9
	v_mul_f32_e32 v2, v26, v2
                                        ; implicit-def: $vgpr92
	s_delay_alu instid0(VALU_DEP_1) | instskip(NEXT) | instid1(VALU_DEP_1)
	v_and_b32_e32 v3, 0x7f800000, v2
	v_cmp_ne_u32_e64 s0, 0x7f800000, v3
	s_delay_alu instid0(VALU_DEP_1) | instskip(NEXT) | instid1(SALU_CYCLE_1)
	s_and_saveexec_b32 s9, s0
	s_xor_b32 s0, exec_lo, s9
; %bb.2702:                             ;   in Loop: Header=BB458_1183 Depth=1
	v_bfe_u32 v3, v2, 16, 1
	s_delay_alu instid0(VALU_DEP_1)
	v_add3_u32 v92, v2, v3, 0x7fff
                                        ; implicit-def: $vgpr2
; %bb.2703:                             ;   in Loop: Header=BB458_1183 Depth=1
	s_and_not1_saveexec_b32 s9, s0
; %bb.2704:                             ;   in Loop: Header=BB458_1183 Depth=1
	v_and_b32_e32 v3, 0xffff, v2
	v_or_b32_e32 v92, 0x10000, v2
	s_delay_alu instid0(VALU_DEP_2) | instskip(NEXT) | instid1(VALU_DEP_1)
	v_cmp_eq_u32_e64 s0, 0, v3
	v_cndmask_b32_e64 v92, v92, v2, s0
; %bb.2705:                             ;   in Loop: Header=BB458_1183 Depth=1
	s_or_b32 exec_lo, exec_lo, s9
	v_lshrrev_b16 v3, 8, v9
	v_mov_b32_e32 v2, 0
	s_mov_b32 s9, exec_lo
	s_delay_alu instid0(VALU_DEP_2)
	v_cmpx_ne_u16_e32 0, v3
	s_cbranch_execz .LBB458_2713
; %bb.2706:                             ;   in Loop: Header=BB458_1183 Depth=1
	v_bfrev_b32_e32 v2, 1
	s_mov_b32 s12, exec_lo
	v_cmpx_ne_u16_e32 0x80, v3
	s_cbranch_execz .LBB458_2712
; %bb.2707:                             ;   in Loop: Header=BB458_1183 Depth=1
	v_and_b32_e32 v3, 0xffff, v3
	v_mov_b32_e32 v2, 0x7f800001
	s_mov_b32 s13, exec_lo
	s_delay_alu instid0(VALU_DEP_2) | instskip(NEXT) | instid1(VALU_DEP_1)
	v_and_b32_e32 v94, 0x7f, v3
	v_cmpx_ne_u32_e32 0x7f, v94
	s_cbranch_execz .LBB458_2711
; %bb.2708:                             ;   in Loop: Header=BB458_1183 Depth=1
	v_dual_mov_b32 v3, v10 :: v_dual_and_b32 v2, 7, v3
	v_lshrrev_b32_e32 v93, 3, v94
	s_mov_b32 s15, exec_lo
	v_cmpx_gt_u32_e32 8, v94
; %bb.2709:                             ;   in Loop: Header=BB458_1183 Depth=1
	s_delay_alu instid0(VALU_DEP_3) | instskip(NEXT) | instid1(VALU_DEP_1)
	v_clz_i32_u32_e32 v93, v2
	v_min_u32_e32 v93, 32, v93
	s_delay_alu instid0(VALU_DEP_1) | instskip(SKIP_1) | instid1(VALU_DEP_2)
	v_subrev_nc_u32_e32 v94, 28, v93
	v_sub_nc_u32_e32 v93, 29, v93
	v_lshlrev_b64 v[2:3], v94, v[2:3]
	s_delay_alu instid0(VALU_DEP_1)
	v_and_b32_e32 v2, 7, v2
; %bb.2710:                             ;   in Loop: Header=BB458_1183 Depth=1
	s_or_b32 exec_lo, exec_lo, s15
	v_lshlrev_b32_e32 v3, 16, v9
	s_delay_alu instid0(VALU_DEP_2) | instskip(SKIP_1) | instid1(VALU_DEP_3)
	v_lshlrev_b32_e32 v2, 20, v2
	v_lshl_add_u32 v9, v93, 23, 0x3c000000
	v_and_b32_e32 v3, 0x80000000, v3
	s_delay_alu instid0(VALU_DEP_1)
	v_or3_b32 v2, v2, v3, v9
.LBB458_2711:                           ;   in Loop: Header=BB458_1183 Depth=1
	s_or_b32 exec_lo, exec_lo, s13
.LBB458_2712:                           ;   in Loop: Header=BB458_1183 Depth=1
	s_delay_alu instid0(SALU_CYCLE_1)
	s_or_b32 exec_lo, exec_lo, s12
.LBB458_2713:                           ;   in Loop: Header=BB458_1183 Depth=1
	s_delay_alu instid0(SALU_CYCLE_1) | instskip(NEXT) | instid1(VALU_DEP_1)
	s_or_b32 exec_lo, exec_lo, s9
	v_mul_f32_e32 v2, v26, v2
                                        ; implicit-def: $vgpr93
	s_delay_alu instid0(VALU_DEP_1) | instskip(NEXT) | instid1(VALU_DEP_1)
	v_and_b32_e32 v3, 0x7f800000, v2
	v_cmp_ne_u32_e64 s0, 0x7f800000, v3
	s_delay_alu instid0(VALU_DEP_1) | instskip(NEXT) | instid1(SALU_CYCLE_1)
	s_and_saveexec_b32 s9, s0
	s_xor_b32 s0, exec_lo, s9
; %bb.2714:                             ;   in Loop: Header=BB458_1183 Depth=1
	v_bfe_u32 v3, v2, 16, 1
	s_delay_alu instid0(VALU_DEP_1)
	v_add3_u32 v93, v2, v3, 0x7fff
                                        ; implicit-def: $vgpr2
; %bb.2715:                             ;   in Loop: Header=BB458_1183 Depth=1
	s_and_not1_saveexec_b32 s9, s0
; %bb.2716:                             ;   in Loop: Header=BB458_1183 Depth=1
	v_and_b32_e32 v3, 0xffff, v2
	v_or_b32_e32 v9, 0x10000, v2
	s_delay_alu instid0(VALU_DEP_2) | instskip(NEXT) | instid1(VALU_DEP_1)
	v_cmp_eq_u32_e64 s0, 0, v3
	v_cndmask_b32_e64 v93, v9, v2, s0
; %bb.2717:                             ;   in Loop: Header=BB458_1183 Depth=1
	s_or_b32 exec_lo, exec_lo, s9
	v_lshrrev_b32_e32 v94, 16, v1
	s_mov_b32 s9, exec_lo
	s_delay_alu instid0(VALU_DEP_1) | instskip(NEXT) | instid1(VALU_DEP_1)
	v_dual_mov_b32 v2, 0 :: v_dual_and_b32 v3, 0xff, v94
	v_cmpx_ne_u16_e32 0, v3
	s_cbranch_execz .LBB458_2725
; %bb.2718:                             ;   in Loop: Header=BB458_1183 Depth=1
	v_bfrev_b32_e32 v2, 1
	s_mov_b32 s12, exec_lo
	v_cmpx_ne_u16_e32 0x80, v3
	s_cbranch_execz .LBB458_2724
; %bb.2719:                             ;   in Loop: Header=BB458_1183 Depth=1
	v_bfe_u32 v3, v1, 16, 7
	v_mov_b32_e32 v2, 0x7f800001
	s_mov_b32 s13, exec_lo
	s_delay_alu instid0(VALU_DEP_2)
	v_cmpx_ne_u32_e32 0x7f, v3
	s_cbranch_execz .LBB458_2723
; %bb.2720:                             ;   in Loop: Header=BB458_1183 Depth=1
	v_and_b32_e32 v9, 7, v94
	v_lshrrev_b32_e32 v95, 3, v3
	v_cmp_gt_u32_e64 s0, 8, v3
	s_delay_alu instid0(VALU_DEP_3) | instskip(NEXT) | instid1(VALU_DEP_2)
	v_dual_mov_b32 v2, v9 :: v_dual_mov_b32 v3, v10
	s_and_saveexec_b32 s15, s0
; %bb.2721:                             ;   in Loop: Header=BB458_1183 Depth=1
	v_clz_i32_u32_e32 v2, v9
	s_delay_alu instid0(VALU_DEP_1) | instskip(NEXT) | instid1(VALU_DEP_1)
	v_min_u32_e32 v95, 32, v2
	v_subrev_nc_u32_e32 v2, 28, v95
	v_sub_nc_u32_e32 v95, 29, v95
	s_delay_alu instid0(VALU_DEP_2) | instskip(NEXT) | instid1(VALU_DEP_1)
	v_lshlrev_b64 v[2:3], v2, v[9:10]
	v_and_b32_e32 v2, 7, v2
; %bb.2722:                             ;   in Loop: Header=BB458_1183 Depth=1
	s_or_b32 exec_lo, exec_lo, s15
	v_lshlrev_b32_e32 v3, 24, v94
	s_delay_alu instid0(VALU_DEP_2) | instskip(SKIP_1) | instid1(VALU_DEP_3)
	v_lshlrev_b32_e32 v2, 20, v2
	v_lshl_add_u32 v9, v95, 23, 0x3c000000
	v_and_b32_e32 v3, 0x80000000, v3
	s_delay_alu instid0(VALU_DEP_1)
	v_or3_b32 v2, v2, v3, v9
.LBB458_2723:                           ;   in Loop: Header=BB458_1183 Depth=1
	s_or_b32 exec_lo, exec_lo, s13
.LBB458_2724:                           ;   in Loop: Header=BB458_1183 Depth=1
	s_delay_alu instid0(SALU_CYCLE_1)
	s_or_b32 exec_lo, exec_lo, s12
.LBB458_2725:                           ;   in Loop: Header=BB458_1183 Depth=1
	s_delay_alu instid0(SALU_CYCLE_1) | instskip(NEXT) | instid1(VALU_DEP_1)
	s_or_b32 exec_lo, exec_lo, s9
	v_mul_f32_e32 v3, v26, v2
	s_delay_alu instid0(VALU_DEP_1) | instskip(NEXT) | instid1(VALU_DEP_1)
	v_and_b32_e32 v2, 0x7f800000, v3
	v_cmp_ne_u32_e64 s0, 0x7f800000, v2
                                        ; implicit-def: $vgpr2
	s_delay_alu instid0(VALU_DEP_1) | instskip(NEXT) | instid1(SALU_CYCLE_1)
	s_and_saveexec_b32 s9, s0
	s_xor_b32 s0, exec_lo, s9
; %bb.2726:                             ;   in Loop: Header=BB458_1183 Depth=1
	v_bfe_u32 v2, v3, 16, 1
	s_delay_alu instid0(VALU_DEP_1)
	v_add3_u32 v2, v3, v2, 0x7fff
                                        ; implicit-def: $vgpr3
; %bb.2727:                             ;   in Loop: Header=BB458_1183 Depth=1
	s_and_not1_saveexec_b32 s9, s0
; %bb.2728:                             ;   in Loop: Header=BB458_1183 Depth=1
	v_and_b32_e32 v2, 0xffff, v3
	v_or_b32_e32 v9, 0x10000, v3
	s_delay_alu instid0(VALU_DEP_2) | instskip(NEXT) | instid1(VALU_DEP_1)
	v_cmp_eq_u32_e64 s0, 0, v2
	v_cndmask_b32_e64 v2, v9, v3, s0
; %bb.2729:                             ;   in Loop: Header=BB458_1183 Depth=1
	s_or_b32 exec_lo, exec_lo, s9
	v_cmp_lt_u64_e64 s0, s[2:3], v[0:1]
	v_mov_b32_e32 v0, 0
	s_delay_alu instid0(VALU_DEP_2)
	s_and_saveexec_b32 s9, s0
	s_cbranch_execz .LBB458_2737
; %bb.2730:                             ;   in Loop: Header=BB458_1183 Depth=1
	v_lshrrev_b32_e32 v3, 24, v1
	v_bfrev_b32_e32 v0, 1
	s_mov_b32 s12, exec_lo
	s_delay_alu instid0(VALU_DEP_2)
	v_cmpx_ne_u32_e32 0x80, v3
	s_cbranch_execz .LBB458_2736
; %bb.2731:                             ;   in Loop: Header=BB458_1183 Depth=1
	v_bfe_u32 v1, v1, 24, 7
	v_mov_b32_e32 v0, 0x7f800001
	s_mov_b32 s13, exec_lo
	s_delay_alu instid0(VALU_DEP_2)
	v_cmpx_ne_u32_e32 0x7f, v1
	s_cbranch_execz .LBB458_2735
; %bb.2732:                             ;   in Loop: Header=BB458_1183 Depth=1
	v_and_b32_e32 v9, 7, v3
	v_lshrrev_b32_e32 v94, 3, v1
	v_cmp_gt_u32_e64 s0, 8, v1
	s_delay_alu instid0(VALU_DEP_3) | instskip(NEXT) | instid1(VALU_DEP_2)
	v_dual_mov_b32 v0, v9 :: v_dual_mov_b32 v1, v10
	s_and_saveexec_b32 s15, s0
; %bb.2733:                             ;   in Loop: Header=BB458_1183 Depth=1
	v_clz_i32_u32_e32 v0, v9
	s_delay_alu instid0(VALU_DEP_1) | instskip(NEXT) | instid1(VALU_DEP_1)
	v_min_u32_e32 v94, 32, v0
	v_subrev_nc_u32_e32 v0, 28, v94
	v_sub_nc_u32_e32 v94, 29, v94
	s_delay_alu instid0(VALU_DEP_2) | instskip(NEXT) | instid1(VALU_DEP_1)
	v_lshlrev_b64 v[0:1], v0, v[9:10]
	v_and_b32_e32 v0, 7, v0
; %bb.2734:                             ;   in Loop: Header=BB458_1183 Depth=1
	s_or_b32 exec_lo, exec_lo, s15
	v_lshlrev_b32_e32 v1, 24, v3
	s_delay_alu instid0(VALU_DEP_2) | instskip(SKIP_1) | instid1(VALU_DEP_3)
	v_lshlrev_b32_e32 v0, 20, v0
	v_lshl_add_u32 v3, v94, 23, 0x3c000000
	v_and_b32_e32 v1, 0x80000000, v1
	s_delay_alu instid0(VALU_DEP_1)
	v_or3_b32 v0, v0, v1, v3
.LBB458_2735:                           ;   in Loop: Header=BB458_1183 Depth=1
	s_or_b32 exec_lo, exec_lo, s13
.LBB458_2736:                           ;   in Loop: Header=BB458_1183 Depth=1
	s_delay_alu instid0(SALU_CYCLE_1)
	s_or_b32 exec_lo, exec_lo, s12
.LBB458_2737:                           ;   in Loop: Header=BB458_1183 Depth=1
	s_delay_alu instid0(SALU_CYCLE_1) | instskip(NEXT) | instid1(VALU_DEP_1)
	s_or_b32 exec_lo, exec_lo, s9
	v_mul_f32_e32 v0, v26, v0
                                        ; implicit-def: $vgpr94
	s_delay_alu instid0(VALU_DEP_1) | instskip(NEXT) | instid1(VALU_DEP_1)
	v_and_b32_e32 v1, 0x7f800000, v0
	v_cmp_ne_u32_e64 s0, 0x7f800000, v1
	s_delay_alu instid0(VALU_DEP_1) | instskip(NEXT) | instid1(SALU_CYCLE_1)
	s_and_saveexec_b32 s9, s0
	s_xor_b32 s0, exec_lo, s9
; %bb.2738:                             ;   in Loop: Header=BB458_1183 Depth=1
	v_bfe_u32 v1, v0, 16, 1
	s_delay_alu instid0(VALU_DEP_1)
	v_add3_u32 v94, v0, v1, 0x7fff
                                        ; implicit-def: $vgpr0
; %bb.2739:                             ;   in Loop: Header=BB458_1183 Depth=1
	s_and_not1_saveexec_b32 s9, s0
; %bb.2740:                             ;   in Loop: Header=BB458_1183 Depth=1
	v_and_b32_e32 v1, 0xffff, v0
	v_or_b32_e32 v3, 0x10000, v0
	s_delay_alu instid0(VALU_DEP_2) | instskip(NEXT) | instid1(VALU_DEP_1)
	v_cmp_eq_u32_e64 s0, 0, v1
	v_cndmask_b32_e64 v94, v3, v0, s0
; %bb.2741:                             ;   in Loop: Header=BB458_1183 Depth=1
	s_or_b32 exec_lo, exec_lo, s9
	v_lshrrev_b32_e32 v93, 16, v93
	v_lshrrev_b32_e32 v9, 16, v92
	;; [unrolled: 1-line block ×8, first 2 shown]
	s_and_saveexec_b32 s0, vcc_lo
	s_cbranch_execz .LBB458_2743
; %bb.2742:                             ;   in Loop: Header=BB458_1183 Depth=1
	v_cmp_lt_i32_e32 vcc_lo, v64, v35
	v_cndmask_b32_e32 v0, 0, v0, vcc_lo
	v_cmp_lt_i32_e32 vcc_lo, v70, v35
	v_cndmask_b32_e32 v1, 0, v1, vcc_lo
	;; [unrolled: 2-line block ×8, first 2 shown]
.LBB458_2743:                           ;   in Loop: Header=BB458_1183 Depth=1
	s_or_b32 exec_lo, exec_lo, s0
	v_lshlrev_b32_e32 v0, 16, v0
	s_delay_alu instid0(VALU_DEP_1) | instskip(NEXT) | instid1(VALU_DEP_1)
	v_mul_f32_e32 v2, v71, v0
	v_and_b32_e32 v0, 0x7f800000, v2
	s_delay_alu instid0(VALU_DEP_1) | instskip(SKIP_1) | instid1(SALU_CYCLE_1)
	v_cmp_ne_u32_e32 vcc_lo, 0x7f800000, v0
                                        ; implicit-def: $vgpr0
	s_and_saveexec_b32 s0, vcc_lo
	s_xor_b32 s0, exec_lo, s0
; %bb.2744:                             ;   in Loop: Header=BB458_1183 Depth=1
	v_bfe_u32 v0, v2, 16, 1
	s_delay_alu instid0(VALU_DEP_1)
	v_add3_u32 v0, v2, v0, 0x7fff
                                        ; implicit-def: $vgpr2
; %bb.2745:                             ;   in Loop: Header=BB458_1183 Depth=1
	s_and_not1_saveexec_b32 s0, s0
; %bb.2746:                             ;   in Loop: Header=BB458_1183 Depth=1
	v_and_b32_e32 v0, 0xffff, v2
	v_or_b32_e32 v64, 0x10000, v2
	s_delay_alu instid0(VALU_DEP_2) | instskip(NEXT) | instid1(VALU_DEP_2)
	v_cmp_eq_u32_e32 vcc_lo, 0, v0
	v_cndmask_b32_e32 v0, v64, v2, vcc_lo
; %bb.2747:                             ;   in Loop: Header=BB458_1183 Depth=1
	s_or_b32 exec_lo, exec_lo, s0
	v_lshlrev_b32_e32 v1, 16, v1
	s_delay_alu instid0(VALU_DEP_1) | instskip(NEXT) | instid1(VALU_DEP_1)
	v_mul_f32_e32 v2, v80, v1
	v_and_b32_e32 v1, 0x7f800000, v2
	s_delay_alu instid0(VALU_DEP_1) | instskip(SKIP_1) | instid1(SALU_CYCLE_1)
	v_cmp_ne_u32_e32 vcc_lo, 0x7f800000, v1
                                        ; implicit-def: $vgpr1
	s_and_saveexec_b32 s0, vcc_lo
	s_xor_b32 s0, exec_lo, s0
; %bb.2748:                             ;   in Loop: Header=BB458_1183 Depth=1
	v_bfe_u32 v1, v2, 16, 1
	s_delay_alu instid0(VALU_DEP_1)
	v_add3_u32 v1, v2, v1, 0x7fff
                                        ; implicit-def: $vgpr2
; %bb.2749:                             ;   in Loop: Header=BB458_1183 Depth=1
	s_and_not1_saveexec_b32 s0, s0
; %bb.2750:                             ;   in Loop: Header=BB458_1183 Depth=1
	v_and_b32_e32 v1, 0xffff, v2
	v_or_b32_e32 v64, 0x10000, v2
	s_delay_alu instid0(VALU_DEP_2) | instskip(NEXT) | instid1(VALU_DEP_2)
	v_cmp_eq_u32_e32 vcc_lo, 0, v1
	v_cndmask_b32_e32 v1, v64, v2, vcc_lo
; %bb.2751:                             ;   in Loop: Header=BB458_1183 Depth=1
	s_or_b32 exec_lo, exec_lo, s0
	v_lshlrev_b32_e32 v2, 16, v90
	s_delay_alu instid0(VALU_DEP_1) | instskip(NEXT) | instid1(VALU_DEP_1)
	v_mul_f32_e32 v64, v81, v2
	v_and_b32_e32 v2, 0x7f800000, v64
	s_delay_alu instid0(VALU_DEP_1) | instskip(SKIP_1) | instid1(SALU_CYCLE_1)
	v_cmp_ne_u32_e32 vcc_lo, 0x7f800000, v2
                                        ; implicit-def: $vgpr2
	s_and_saveexec_b32 s0, vcc_lo
	s_xor_b32 s0, exec_lo, s0
; %bb.2752:                             ;   in Loop: Header=BB458_1183 Depth=1
	v_bfe_u32 v2, v64, 16, 1
	s_delay_alu instid0(VALU_DEP_1)
	v_add3_u32 v2, v64, v2, 0x7fff
                                        ; implicit-def: $vgpr64
; %bb.2753:                             ;   in Loop: Header=BB458_1183 Depth=1
	s_and_not1_saveexec_b32 s0, s0
; %bb.2754:                             ;   in Loop: Header=BB458_1183 Depth=1
	v_and_b32_e32 v2, 0xffff, v64
	v_or_b32_e32 v65, 0x10000, v64
	s_delay_alu instid0(VALU_DEP_2) | instskip(NEXT) | instid1(VALU_DEP_2)
	v_cmp_eq_u32_e32 vcc_lo, 0, v2
	v_cndmask_b32_e32 v2, v65, v64, vcc_lo
; %bb.2755:                             ;   in Loop: Header=BB458_1183 Depth=1
	s_or_b32 exec_lo, exec_lo, s0
	v_lshlrev_b32_e32 v3, 16, v3
	s_delay_alu instid0(VALU_DEP_1) | instskip(NEXT) | instid1(VALU_DEP_1)
	v_mul_f32_e32 v64, v82, v3
	v_and_b32_e32 v3, 0x7f800000, v64
	s_delay_alu instid0(VALU_DEP_1) | instskip(SKIP_1) | instid1(SALU_CYCLE_1)
	v_cmp_ne_u32_e32 vcc_lo, 0x7f800000, v3
                                        ; implicit-def: $vgpr3
	s_and_saveexec_b32 s0, vcc_lo
	s_xor_b32 s0, exec_lo, s0
; %bb.2756:                             ;   in Loop: Header=BB458_1183 Depth=1
	v_bfe_u32 v3, v64, 16, 1
	s_delay_alu instid0(VALU_DEP_1)
	v_add3_u32 v3, v64, v3, 0x7fff
                                        ; implicit-def: $vgpr64
; %bb.2757:                             ;   in Loop: Header=BB458_1183 Depth=1
	s_and_not1_saveexec_b32 s0, s0
; %bb.2758:                             ;   in Loop: Header=BB458_1183 Depth=1
	v_and_b32_e32 v3, 0xffff, v64
	v_or_b32_e32 v65, 0x10000, v64
	s_delay_alu instid0(VALU_DEP_2) | instskip(NEXT) | instid1(VALU_DEP_2)
	v_cmp_eq_u32_e32 vcc_lo, 0, v3
	v_cndmask_b32_e32 v3, v65, v64, vcc_lo
; %bb.2759:                             ;   in Loop: Header=BB458_1183 Depth=1
	s_or_b32 exec_lo, exec_lo, s0
	v_lshlrev_b32_e32 v9, 16, v9
	s_delay_alu instid0(VALU_DEP_1) | instskip(NEXT) | instid1(VALU_DEP_1)
	v_mul_f32_e32 v64, v83, v9
	v_and_b32_e32 v9, 0x7f800000, v64
	s_delay_alu instid0(VALU_DEP_1) | instskip(SKIP_1) | instid1(SALU_CYCLE_1)
	v_cmp_ne_u32_e32 vcc_lo, 0x7f800000, v9
                                        ; implicit-def: $vgpr9
	s_and_saveexec_b32 s0, vcc_lo
	s_xor_b32 s0, exec_lo, s0
; %bb.2760:                             ;   in Loop: Header=BB458_1183 Depth=1
	v_bfe_u32 v9, v64, 16, 1
	s_delay_alu instid0(VALU_DEP_1)
	v_add3_u32 v9, v64, v9, 0x7fff
                                        ; implicit-def: $vgpr64
; %bb.2761:                             ;   in Loop: Header=BB458_1183 Depth=1
	s_and_not1_saveexec_b32 s0, s0
; %bb.2762:                             ;   in Loop: Header=BB458_1183 Depth=1
	v_and_b32_e32 v9, 0xffff, v64
	v_or_b32_e32 v65, 0x10000, v64
	s_delay_alu instid0(VALU_DEP_2) | instskip(NEXT) | instid1(VALU_DEP_2)
	v_cmp_eq_u32_e32 vcc_lo, 0, v9
	v_cndmask_b32_e32 v9, v65, v64, vcc_lo
; %bb.2763:                             ;   in Loop: Header=BB458_1183 Depth=1
	s_or_b32 exec_lo, exec_lo, s0
	v_lshlrev_b32_e32 v64, 16, v93
	s_delay_alu instid0(VALU_DEP_1) | instskip(NEXT) | instid1(VALU_DEP_1)
	v_mul_f32_e32 v65, v84, v64
	v_and_b32_e32 v64, 0x7f800000, v65
	s_delay_alu instid0(VALU_DEP_1) | instskip(SKIP_1) | instid1(SALU_CYCLE_1)
	v_cmp_ne_u32_e32 vcc_lo, 0x7f800000, v64
                                        ; implicit-def: $vgpr64
	s_and_saveexec_b32 s0, vcc_lo
	s_xor_b32 s0, exec_lo, s0
; %bb.2764:                             ;   in Loop: Header=BB458_1183 Depth=1
	v_bfe_u32 v64, v65, 16, 1
	s_delay_alu instid0(VALU_DEP_1)
	v_add3_u32 v64, v65, v64, 0x7fff
                                        ; implicit-def: $vgpr65
; %bb.2765:                             ;   in Loop: Header=BB458_1183 Depth=1
	s_and_not1_saveexec_b32 s0, s0
; %bb.2766:                             ;   in Loop: Header=BB458_1183 Depth=1
	v_and_b32_e32 v64, 0xffff, v65
	v_or_b32_e32 v66, 0x10000, v65
	s_delay_alu instid0(VALU_DEP_2) | instskip(NEXT) | instid1(VALU_DEP_2)
	v_cmp_eq_u32_e32 vcc_lo, 0, v64
	v_cndmask_b32_e32 v64, v66, v65, vcc_lo
; %bb.2767:                             ;   in Loop: Header=BB458_1183 Depth=1
	s_or_b32 exec_lo, exec_lo, s0
	v_lshlrev_b32_e32 v65, 16, v89
	s_delay_alu instid0(VALU_DEP_1) | instskip(NEXT) | instid1(VALU_DEP_1)
	v_mul_f32_e32 v66, v85, v65
	v_and_b32_e32 v65, 0x7f800000, v66
	s_delay_alu instid0(VALU_DEP_1) | instskip(SKIP_1) | instid1(SALU_CYCLE_1)
	v_cmp_ne_u32_e32 vcc_lo, 0x7f800000, v65
                                        ; implicit-def: $vgpr65
	s_and_saveexec_b32 s0, vcc_lo
	s_xor_b32 s0, exec_lo, s0
; %bb.2768:                             ;   in Loop: Header=BB458_1183 Depth=1
	v_bfe_u32 v65, v66, 16, 1
	s_delay_alu instid0(VALU_DEP_1)
	v_add3_u32 v65, v66, v65, 0x7fff
                                        ; implicit-def: $vgpr66
; %bb.2769:                             ;   in Loop: Header=BB458_1183 Depth=1
	s_and_not1_saveexec_b32 s0, s0
; %bb.2770:                             ;   in Loop: Header=BB458_1183 Depth=1
	v_and_b32_e32 v65, 0xffff, v66
	v_or_b32_e32 v67, 0x10000, v66
	s_delay_alu instid0(VALU_DEP_2) | instskip(NEXT) | instid1(VALU_DEP_2)
	v_cmp_eq_u32_e32 vcc_lo, 0, v65
	v_cndmask_b32_e32 v65, v67, v66, vcc_lo
; %bb.2771:                             ;   in Loop: Header=BB458_1183 Depth=1
	s_or_b32 exec_lo, exec_lo, s0
	v_lshlrev_b32_e32 v66, 16, v88
	s_delay_alu instid0(VALU_DEP_1) | instskip(NEXT) | instid1(VALU_DEP_1)
	v_mul_f32_e32 v67, v86, v66
	v_and_b32_e32 v66, 0x7f800000, v67
	s_delay_alu instid0(VALU_DEP_1) | instskip(SKIP_1) | instid1(SALU_CYCLE_1)
	v_cmp_ne_u32_e32 vcc_lo, 0x7f800000, v66
                                        ; implicit-def: $vgpr66
	s_and_saveexec_b32 s0, vcc_lo
	s_xor_b32 s0, exec_lo, s0
; %bb.2772:                             ;   in Loop: Header=BB458_1183 Depth=1
	v_bfe_u32 v66, v67, 16, 1
	s_delay_alu instid0(VALU_DEP_1)
	v_add3_u32 v66, v67, v66, 0x7fff
                                        ; implicit-def: $vgpr67
; %bb.2773:                             ;   in Loop: Header=BB458_1183 Depth=1
	s_and_not1_saveexec_b32 s0, s0
	s_cbranch_execz .LBB458_1182
; %bb.2774:                             ;   in Loop: Header=BB458_1183 Depth=1
	v_and_b32_e32 v66, 0xffff, v67
	v_or_b32_e32 v68, 0x10000, v67
	s_delay_alu instid0(VALU_DEP_2) | instskip(NEXT) | instid1(VALU_DEP_2)
	v_cmp_eq_u32_e32 vcc_lo, 0, v66
	v_cndmask_b32_e32 v66, v68, v67, vcc_lo
	s_branch .LBB458_1182
.LBB458_2775:
	s_or_b32 exec_lo, exec_lo, s8
	v_dual_mov_b32 v0, s10 :: v_dual_mov_b32 v1, s11
.LBB458_2776:
	s_or_b32 exec_lo, exec_lo, s7
	s_delay_alu instid0(VALU_DEP_1)
	v_lshlrev_b64 v[0:1], 2, v[0:1]
	s_getpc_b64 s[2:3]
	s_add_u32 s2, s2, llvm.amdgcn.dynlds.offset.table@rel32@lo+4
	s_addc_u32 s3, s3, llvm.amdgcn.dynlds.offset.table@rel32@hi+12
	s_waitcnt lgkmcnt(0)
	s_waitcnt_vscnt null, 0x0
	s_barrier
	buffer_gl0_inv
	ds_bpermute_b32 v6, v19, v30
	v_add_co_u32 v0, vcc_lo, v0, s2
	v_add_co_ci_u32_e32 v1, vcc_lo, s3, v1, vcc_lo
	ds_bpermute_b32 v7, v19, v29
	ds_bpermute_b32 v3, v19, v38
	;; [unrolled: 1-line block ×3, first 2 shown]
	global_load_b32 v13, v[0:1], off
	ds_bpermute_b32 v0, v19, v33
	ds_bpermute_b32 v1, v19, v48
	ds_bpermute_b32 v11, v19, v21
	ds_bpermute_b32 v2, v19, v39
	ds_bpermute_b32 v4, v19, v32
	ds_bpermute_b32 v5, v19, v31
	ds_bpermute_b32 v8, v19, v28
	ds_bpermute_b32 v9, v19, v25
	s_waitcnt lgkmcnt(11)
	v_add_f32_e32 v6, v30, v6
	s_waitcnt lgkmcnt(10)
	v_add_f32_e32 v14, v29, v7
	;; [unrolled: 2-line block ×3, first 2 shown]
	s_waitcnt lgkmcnt(7)
	v_dual_add_f32 v17, v24, v10 :: v_dual_add_f32 v0, v33, v0
	s_waitcnt lgkmcnt(5)
	v_dual_add_f32 v12, v48, v1 :: v_dual_add_f32 v19, v21, v11
	ds_bpermute_b32 v24, v18, v14
	v_and_b32_e32 v11, 0x3c3, v104
	ds_bpermute_b32 v7, v18, v0
	ds_bpermute_b32 v23, v18, v6
	s_waitcnt lgkmcnt(4)
	v_dual_add_f32 v2, v39, v2 :: v_dual_add_f32 v15, v28, v8
	scratch_load_b32 v1, off, s32 offset:420 ; 4-byte Folded Reload
	s_waitcnt lgkmcnt(3)
	v_add_f32_e32 v16, v25, v9
	ds_bpermute_b32 v27, v18, v17
	ds_bpermute_b32 v9, v18, v2
	v_dual_add_f32 v4, v32, v4 :: v_dual_add_f32 v5, v31, v5
	ds_bpermute_b32 v8, v18, v12
	ds_bpermute_b32 v10, v18, v3
	;; [unrolled: 1-line block ×5, first 2 shown]
	v_cmp_eq_u32_e32 vcc_lo, 64, v11
	s_waitcnt lgkmcnt(8)
	v_add_f32_e32 v0, v0, v7
	s_waitcnt lgkmcnt(7)
	v_add_f32_e32 v7, v6, v23
	v_add_f32_e32 v6, v14, v24
	scratch_load_b32 v14, off, s32 offset:424 ; 4-byte Folded Reload
	ds_bpermute_b32 v26, v18, v16
	ds_bpermute_b32 v18, v18, v19
	s_waitcnt lgkmcnt(6)
	v_dual_add_f32 v11, v2, v9 :: v_dual_add_f32 v12, v12, v8
	s_waitcnt lgkmcnt(5)
	v_dual_add_f32 v10, v3, v10 :: v_dual_add_f32 v3, v17, v27
	;; [unrolled: 2-line block ×4, first 2 shown]
	s_waitcnt lgkmcnt(0)
	v_add_f32_e32 v2, v19, v18
	s_waitcnt vmcnt(1)
	v_lshrrev_b32_e32 v1, 2, v1
	s_waitcnt vmcnt(0)
	v_mad_u32_u24 v13, 0x180, v14, v13
	s_delay_alu instid0(VALU_DEP_2)
	v_lshlrev_b32_e32 v14, 2, v1
	s_and_saveexec_b32 s0, vcc_lo
	s_cbranch_execz .LBB458_2778
; %bb.2777:
	s_delay_alu instid0(VALU_DEP_1)
	v_add3_u32 v15, v13, v14, 0xfffffd00
	ds_store_2addr_b32 v15, v0, v12 offset1:8
	ds_store_2addr_b32 v15, v11, v10 offset0:16 offset1:24
	ds_store_2addr_b32 v15, v9, v8 offset0:32 offset1:40
	;; [unrolled: 1-line block ×5, first 2 shown]
.LBB458_2778:
	s_or_b32 exec_lo, exec_lo, s0
	v_cmp_eq_u32_e32 vcc_lo, 0, v20
	v_cmp_gt_u32_e64 s0, 64, v104
	s_waitcnt lgkmcnt(0)
	s_barrier
	buffer_gl0_inv
	s_mov_b32 s2, exec_lo
	s_clause 0x1
	scratch_load_b32 v16, off, s32 offset:428
	scratch_load_b32 v17, off, s32 offset:432
	s_and_b32 s0, s2, s0
	s_delay_alu instid0(SALU_CYCLE_1)
	s_mov_b32 exec_lo, s0
	s_cbranch_execz .LBB458_2793
; %bb.2779:
	s_and_saveexec_b32 s0, vcc_lo
	s_cbranch_execnz .LBB458_2862
; %bb.2780:
	s_or_b32 exec_lo, exec_lo, s0
	s_and_saveexec_b32 s0, vcc_lo
	s_cbranch_execnz .LBB458_2863
.LBB458_2781:
	s_or_b32 exec_lo, exec_lo, s0
	s_and_saveexec_b32 s0, vcc_lo
	s_cbranch_execnz .LBB458_2864
.LBB458_2782:
	s_or_b32 exec_lo, exec_lo, s0
	s_and_saveexec_b32 s0, vcc_lo
	s_cbranch_execnz .LBB458_2865
.LBB458_2783:
	s_or_b32 exec_lo, exec_lo, s0
	s_and_saveexec_b32 s0, vcc_lo
	s_cbranch_execnz .LBB458_2866
.LBB458_2784:
	s_or_b32 exec_lo, exec_lo, s0
	s_and_saveexec_b32 s0, vcc_lo
	s_cbranch_execnz .LBB458_2867
.LBB458_2785:
	s_or_b32 exec_lo, exec_lo, s0
	s_and_saveexec_b32 s0, vcc_lo
	s_cbranch_execnz .LBB458_2868
.LBB458_2786:
	s_or_b32 exec_lo, exec_lo, s0
	s_and_saveexec_b32 s0, vcc_lo
	s_cbranch_execnz .LBB458_2869
.LBB458_2787:
	s_or_b32 exec_lo, exec_lo, s0
	s_and_saveexec_b32 s0, vcc_lo
	s_cbranch_execnz .LBB458_2870
.LBB458_2788:
	s_or_b32 exec_lo, exec_lo, s0
	s_and_saveexec_b32 s0, vcc_lo
	s_cbranch_execnz .LBB458_2871
.LBB458_2789:
	s_or_b32 exec_lo, exec_lo, s0
	s_and_saveexec_b32 s0, vcc_lo
	s_cbranch_execnz .LBB458_2872
.LBB458_2790:
	s_or_b32 exec_lo, exec_lo, s0
	s_and_saveexec_b32 s0, vcc_lo
	s_cbranch_execz .LBB458_2792
.LBB458_2791:
	v_lshl_add_u32 v15, v1, 2, v13
	ds_load_b32 v15, v15 offset:352
	s_waitcnt lgkmcnt(0)
	v_add_f32_e32 v2, v15, v2
.LBB458_2792:
	s_or_b32 exec_lo, exec_lo, s0
.LBB458_2793:
	s_delay_alu instid0(SALU_CYCLE_1)
	s_or_b32 exec_lo, exec_lo, s2
	v_and_b32_e32 v15, 0x3e3, v104
	s_mov_b32 s2, exec_lo
	s_waitcnt vmcnt(0)
	s_barrier
	buffer_gl0_inv
	v_cmpx_eq_u32_e32 32, v15
	s_cbranch_execz .LBB458_2795
; %bb.2794:
	v_add3_u32 v14, v13, v14, 0xfffffe80
	ds_store_2addr_b32 v14, v0, v12 offset1:8
	ds_store_2addr_b32 v14, v11, v10 offset0:16 offset1:24
	ds_store_2addr_b32 v14, v9, v8 offset0:32 offset1:40
	;; [unrolled: 1-line block ×5, first 2 shown]
.LBB458_2795:
	s_or_b32 exec_lo, exec_lo, s2
	v_cmp_gt_u32_e64 s0, 32, v104
	s_waitcnt lgkmcnt(0)
	s_barrier
	buffer_gl0_inv
	s_and_saveexec_b32 s2, s0
	s_cbranch_execz .LBB458_2810
; %bb.2796:
	v_lshl_add_u32 v1, v1, 2, v13
	s_and_saveexec_b32 s3, vcc_lo
	s_cbranch_execnz .LBB458_2873
; %bb.2797:
	s_or_b32 exec_lo, exec_lo, s3
	s_and_saveexec_b32 s3, vcc_lo
	s_cbranch_execnz .LBB458_2874
.LBB458_2798:
	s_or_b32 exec_lo, exec_lo, s3
	s_and_saveexec_b32 s3, vcc_lo
	s_cbranch_execnz .LBB458_2875
.LBB458_2799:
	s_or_b32 exec_lo, exec_lo, s3
	s_and_saveexec_b32 s3, vcc_lo
	s_cbranch_execnz .LBB458_2876
.LBB458_2800:
	s_or_b32 exec_lo, exec_lo, s3
	s_and_saveexec_b32 s3, vcc_lo
	s_cbranch_execnz .LBB458_2877
.LBB458_2801:
	s_or_b32 exec_lo, exec_lo, s3
	s_and_saveexec_b32 s3, vcc_lo
	s_cbranch_execnz .LBB458_2878
.LBB458_2802:
	s_or_b32 exec_lo, exec_lo, s3
	s_and_saveexec_b32 s3, vcc_lo
	s_cbranch_execnz .LBB458_2879
.LBB458_2803:
	s_or_b32 exec_lo, exec_lo, s3
	s_and_saveexec_b32 s3, vcc_lo
	s_cbranch_execnz .LBB458_2880
.LBB458_2804:
	s_or_b32 exec_lo, exec_lo, s3
	s_and_saveexec_b32 s3, vcc_lo
	s_cbranch_execnz .LBB458_2881
.LBB458_2805:
	s_or_b32 exec_lo, exec_lo, s3
	s_and_saveexec_b32 s3, vcc_lo
	s_cbranch_execnz .LBB458_2882
.LBB458_2806:
	s_or_b32 exec_lo, exec_lo, s3
	s_and_saveexec_b32 s3, vcc_lo
	s_cbranch_execnz .LBB458_2883
.LBB458_2807:
	s_or_b32 exec_lo, exec_lo, s3
	s_and_saveexec_b32 s3, vcc_lo
	s_cbranch_execz .LBB458_2809
.LBB458_2808:
	ds_load_b32 v1, v1 offset:352
	s_waitcnt lgkmcnt(0)
	v_add_f32_e32 v2, v1, v2
.LBB458_2809:
	s_or_b32 exec_lo, exec_lo, s3
.LBB458_2810:
	s_delay_alu instid0(SALU_CYCLE_1)
	s_or_b32 exec_lo, exec_lo, s2
	s_barrier
	buffer_gl0_inv
	s_and_b32 exec_lo, exec_lo, s0
	s_cbranch_execz .LBB458_2861
; %bb.2811:
	s_and_b32 exec_lo, exec_lo, vcc_lo
	s_cbranch_execz .LBB458_2861
; %bb.2812:
	v_and_b32_e32 v1, 0x7f800000, v0
	s_mov_b32 s0, exec_lo
                                        ; implicit-def: $vgpr13
	s_delay_alu instid0(VALU_DEP_1)
	v_cmpx_ne_u32_e32 0x7f800000, v1
	s_xor_b32 s0, exec_lo, s0
; %bb.2813:
	v_bfe_u32 v1, v0, 16, 1
	s_delay_alu instid0(VALU_DEP_1)
	v_add3_u32 v13, v0, v1, 0x7fff
                                        ; implicit-def: $vgpr0
; %bb.2814:
	s_and_not1_saveexec_b32 s0, s0
; %bb.2815:
	v_and_b32_e32 v1, 0xffff, v0
	v_or_b32_e32 v13, 0x10000, v0
	s_delay_alu instid0(VALU_DEP_2) | instskip(NEXT) | instid1(VALU_DEP_2)
	v_cmp_eq_u32_e32 vcc_lo, 0, v1
	v_cndmask_b32_e32 v13, v13, v0, vcc_lo
; %bb.2816:
	s_or_b32 exec_lo, exec_lo, s0
	s_mul_i32 s2, s1, s4
	s_mul_i32 s0, s6, s1
	;; [unrolled: 1-line block ×5, first 2 shown]
	s_ashr_i32 s1, s0, 31
	s_ashr_i32 s3, s2, 31
	;; [unrolled: 1-line block ×3, first 2 shown]
	s_lshl_b64 s[0:1], s[0:1], 1
	s_lshl_b64 s[2:3], s[2:3], 1
	;; [unrolled: 1-line block ×3, first 2 shown]
	v_lshrrev_b32_e32 v0, 1, v104
	s_add_u32 s0, s2, s0
	s_addc_u32 s1, s3, s1
	s_add_u32 s0, s0, s6
	s_addc_u32 s1, s1, s7
	v_and_b32_e32 v0, 0x1fe, v0
	v_add_co_u32 v1, vcc_lo, s0, v17
	v_add_co_ci_u32_e32 v14, vcc_lo, s1, v16, vcc_lo
	v_and_b32_e32 v15, 0x7f800000, v12
	s_delay_alu instid0(VALU_DEP_3) | instskip(NEXT) | instid1(VALU_DEP_3)
	v_add_co_u32 v0, vcc_lo, v1, v0
	v_add_co_ci_u32_e32 v1, vcc_lo, 0, v14, vcc_lo
	s_mov_b32 s0, exec_lo
	flat_store_d16_hi_b16 v[0:1], v13
                                        ; implicit-def: $vgpr13
	v_cmpx_ne_u32_e32 0x7f800000, v15
	s_xor_b32 s0, exec_lo, s0
; %bb.2817:
	v_bfe_u32 v13, v12, 16, 1
	s_delay_alu instid0(VALU_DEP_1)
	v_add3_u32 v13, v12, v13, 0x7fff
                                        ; implicit-def: $vgpr12
; %bb.2818:
	s_and_not1_saveexec_b32 s0, s0
; %bb.2819:
	v_and_b32_e32 v13, 0xffff, v12
	v_or_b32_e32 v14, 0x10000, v12
	s_delay_alu instid0(VALU_DEP_2) | instskip(NEXT) | instid1(VALU_DEP_2)
	v_cmp_eq_u32_e32 vcc_lo, 0, v13
	v_cndmask_b32_e32 v13, v14, v12, vcc_lo
; %bb.2820:
	s_or_b32 exec_lo, exec_lo, s0
	v_and_b32_e32 v12, 0x7f800000, v11
	flat_store_d16_hi_b16 v[0:1], v13 offset:16
	v_cmp_ne_u32_e32 vcc_lo, 0x7f800000, v12
                                        ; implicit-def: $vgpr12
	s_and_saveexec_b32 s0, vcc_lo
	s_delay_alu instid0(SALU_CYCLE_1)
	s_xor_b32 s0, exec_lo, s0
; %bb.2821:
	v_bfe_u32 v12, v11, 16, 1
	s_delay_alu instid0(VALU_DEP_1)
	v_add3_u32 v12, v11, v12, 0x7fff
                                        ; implicit-def: $vgpr11
; %bb.2822:
	s_and_not1_saveexec_b32 s0, s0
; %bb.2823:
	v_and_b32_e32 v12, 0xffff, v11
	v_or_b32_e32 v13, 0x10000, v11
	s_delay_alu instid0(VALU_DEP_2) | instskip(NEXT) | instid1(VALU_DEP_2)
	v_cmp_eq_u32_e32 vcc_lo, 0, v12
	v_cndmask_b32_e32 v12, v13, v11, vcc_lo
; %bb.2824:
	s_or_b32 exec_lo, exec_lo, s0
	v_and_b32_e32 v11, 0x7f800000, v10
	flat_store_d16_hi_b16 v[0:1], v12 offset:32
	v_cmp_ne_u32_e32 vcc_lo, 0x7f800000, v11
                                        ; implicit-def: $vgpr11
	s_and_saveexec_b32 s0, vcc_lo
	s_delay_alu instid0(SALU_CYCLE_1)
	s_xor_b32 s0, exec_lo, s0
; %bb.2825:
	v_bfe_u32 v11, v10, 16, 1
	s_delay_alu instid0(VALU_DEP_1)
	v_add3_u32 v11, v10, v11, 0x7fff
                                        ; implicit-def: $vgpr10
; %bb.2826:
	s_and_not1_saveexec_b32 s0, s0
; %bb.2827:
	v_and_b32_e32 v11, 0xffff, v10
	v_or_b32_e32 v12, 0x10000, v10
	s_delay_alu instid0(VALU_DEP_2) | instskip(NEXT) | instid1(VALU_DEP_2)
	v_cmp_eq_u32_e32 vcc_lo, 0, v11
	v_cndmask_b32_e32 v11, v12, v10, vcc_lo
; %bb.2828:
	s_or_b32 exec_lo, exec_lo, s0
	v_and_b32_e32 v10, 0x7f800000, v9
	flat_store_d16_hi_b16 v[0:1], v11 offset:48
	v_cmp_ne_u32_e32 vcc_lo, 0x7f800000, v10
                                        ; implicit-def: $vgpr10
	s_and_saveexec_b32 s0, vcc_lo
	s_delay_alu instid0(SALU_CYCLE_1)
	s_xor_b32 s0, exec_lo, s0
; %bb.2829:
	v_bfe_u32 v10, v9, 16, 1
	s_delay_alu instid0(VALU_DEP_1)
	v_add3_u32 v10, v9, v10, 0x7fff
                                        ; implicit-def: $vgpr9
; %bb.2830:
	s_and_not1_saveexec_b32 s0, s0
; %bb.2831:
	v_and_b32_e32 v10, 0xffff, v9
	v_or_b32_e32 v11, 0x10000, v9
	s_delay_alu instid0(VALU_DEP_2) | instskip(NEXT) | instid1(VALU_DEP_2)
	v_cmp_eq_u32_e32 vcc_lo, 0, v10
	v_cndmask_b32_e32 v10, v11, v9, vcc_lo
; %bb.2832:
	s_or_b32 exec_lo, exec_lo, s0
	v_and_b32_e32 v9, 0x7f800000, v8
	flat_store_d16_hi_b16 v[0:1], v10 offset:64
	v_cmp_ne_u32_e32 vcc_lo, 0x7f800000, v9
                                        ; implicit-def: $vgpr9
	s_and_saveexec_b32 s0, vcc_lo
	s_delay_alu instid0(SALU_CYCLE_1)
	s_xor_b32 s0, exec_lo, s0
; %bb.2833:
	v_bfe_u32 v9, v8, 16, 1
	s_delay_alu instid0(VALU_DEP_1)
	v_add3_u32 v9, v8, v9, 0x7fff
                                        ; implicit-def: $vgpr8
; %bb.2834:
	s_and_not1_saveexec_b32 s0, s0
; %bb.2835:
	v_and_b32_e32 v9, 0xffff, v8
	v_or_b32_e32 v10, 0x10000, v8
	s_delay_alu instid0(VALU_DEP_2) | instskip(NEXT) | instid1(VALU_DEP_2)
	v_cmp_eq_u32_e32 vcc_lo, 0, v9
	v_cndmask_b32_e32 v9, v10, v8, vcc_lo
; %bb.2836:
	s_or_b32 exec_lo, exec_lo, s0
	v_and_b32_e32 v8, 0x7f800000, v7
	flat_store_d16_hi_b16 v[0:1], v9 offset:80
	v_cmp_ne_u32_e32 vcc_lo, 0x7f800000, v8
                                        ; implicit-def: $vgpr8
	s_and_saveexec_b32 s0, vcc_lo
	s_delay_alu instid0(SALU_CYCLE_1)
	s_xor_b32 s0, exec_lo, s0
; %bb.2837:
	v_bfe_u32 v8, v7, 16, 1
	s_delay_alu instid0(VALU_DEP_1)
	v_add3_u32 v8, v7, v8, 0x7fff
                                        ; implicit-def: $vgpr7
; %bb.2838:
	s_and_not1_saveexec_b32 s0, s0
; %bb.2839:
	v_and_b32_e32 v8, 0xffff, v7
	v_or_b32_e32 v9, 0x10000, v7
	s_delay_alu instid0(VALU_DEP_2) | instskip(NEXT) | instid1(VALU_DEP_2)
	v_cmp_eq_u32_e32 vcc_lo, 0, v8
	v_cndmask_b32_e32 v8, v9, v7, vcc_lo
; %bb.2840:
	s_or_b32 exec_lo, exec_lo, s0
	v_and_b32_e32 v7, 0x7f800000, v6
	flat_store_d16_hi_b16 v[0:1], v8 offset:96
	v_cmp_ne_u32_e32 vcc_lo, 0x7f800000, v7
                                        ; implicit-def: $vgpr7
	s_and_saveexec_b32 s0, vcc_lo
	s_delay_alu instid0(SALU_CYCLE_1)
	s_xor_b32 s0, exec_lo, s0
; %bb.2841:
	v_bfe_u32 v7, v6, 16, 1
	s_delay_alu instid0(VALU_DEP_1)
	v_add3_u32 v7, v6, v7, 0x7fff
                                        ; implicit-def: $vgpr6
; %bb.2842:
	s_and_not1_saveexec_b32 s0, s0
; %bb.2843:
	v_and_b32_e32 v7, 0xffff, v6
	v_or_b32_e32 v8, 0x10000, v6
	s_delay_alu instid0(VALU_DEP_2) | instskip(NEXT) | instid1(VALU_DEP_2)
	v_cmp_eq_u32_e32 vcc_lo, 0, v7
	v_cndmask_b32_e32 v7, v8, v6, vcc_lo
; %bb.2844:
	s_or_b32 exec_lo, exec_lo, s0
	v_and_b32_e32 v6, 0x7f800000, v5
	flat_store_d16_hi_b16 v[0:1], v7 offset:112
	v_cmp_ne_u32_e32 vcc_lo, 0x7f800000, v6
                                        ; implicit-def: $vgpr6
	s_and_saveexec_b32 s0, vcc_lo
	s_delay_alu instid0(SALU_CYCLE_1)
	s_xor_b32 s0, exec_lo, s0
; %bb.2845:
	v_bfe_u32 v6, v5, 16, 1
	s_delay_alu instid0(VALU_DEP_1)
	v_add3_u32 v6, v5, v6, 0x7fff
                                        ; implicit-def: $vgpr5
; %bb.2846:
	s_and_not1_saveexec_b32 s0, s0
; %bb.2847:
	v_and_b32_e32 v6, 0xffff, v5
	v_or_b32_e32 v7, 0x10000, v5
	s_delay_alu instid0(VALU_DEP_2) | instskip(NEXT) | instid1(VALU_DEP_2)
	v_cmp_eq_u32_e32 vcc_lo, 0, v6
	v_cndmask_b32_e32 v6, v7, v5, vcc_lo
; %bb.2848:
	s_or_b32 exec_lo, exec_lo, s0
	v_and_b32_e32 v5, 0x7f800000, v4
	flat_store_d16_hi_b16 v[0:1], v6 offset:128
	v_cmp_ne_u32_e32 vcc_lo, 0x7f800000, v5
                                        ; implicit-def: $vgpr5
	s_and_saveexec_b32 s0, vcc_lo
	s_delay_alu instid0(SALU_CYCLE_1)
	s_xor_b32 s0, exec_lo, s0
; %bb.2849:
	v_bfe_u32 v5, v4, 16, 1
	s_delay_alu instid0(VALU_DEP_1)
	v_add3_u32 v5, v4, v5, 0x7fff
                                        ; implicit-def: $vgpr4
; %bb.2850:
	s_and_not1_saveexec_b32 s0, s0
; %bb.2851:
	v_and_b32_e32 v5, 0xffff, v4
	v_or_b32_e32 v6, 0x10000, v4
	s_delay_alu instid0(VALU_DEP_2) | instskip(NEXT) | instid1(VALU_DEP_2)
	v_cmp_eq_u32_e32 vcc_lo, 0, v5
	v_cndmask_b32_e32 v5, v6, v4, vcc_lo
; %bb.2852:
	s_or_b32 exec_lo, exec_lo, s0
	v_and_b32_e32 v4, 0x7f800000, v3
	flat_store_d16_hi_b16 v[0:1], v5 offset:144
	v_cmp_ne_u32_e32 vcc_lo, 0x7f800000, v4
                                        ; implicit-def: $vgpr4
	s_and_saveexec_b32 s0, vcc_lo
	s_delay_alu instid0(SALU_CYCLE_1)
	s_xor_b32 s0, exec_lo, s0
; %bb.2853:
	v_bfe_u32 v4, v3, 16, 1
	s_delay_alu instid0(VALU_DEP_1)
	v_add3_u32 v4, v3, v4, 0x7fff
                                        ; implicit-def: $vgpr3
; %bb.2854:
	s_and_not1_saveexec_b32 s0, s0
; %bb.2855:
	v_and_b32_e32 v4, 0xffff, v3
	v_or_b32_e32 v5, 0x10000, v3
	s_delay_alu instid0(VALU_DEP_2) | instskip(NEXT) | instid1(VALU_DEP_2)
	v_cmp_eq_u32_e32 vcc_lo, 0, v4
	v_cndmask_b32_e32 v4, v5, v3, vcc_lo
; %bb.2856:
	s_or_b32 exec_lo, exec_lo, s0
	v_and_b32_e32 v3, 0x7f800000, v2
	flat_store_d16_hi_b16 v[0:1], v4 offset:160
	v_cmp_ne_u32_e32 vcc_lo, 0x7f800000, v3
                                        ; implicit-def: $vgpr3
	s_and_saveexec_b32 s0, vcc_lo
	s_delay_alu instid0(SALU_CYCLE_1)
	s_xor_b32 s0, exec_lo, s0
; %bb.2857:
	v_bfe_u32 v3, v2, 16, 1
	s_delay_alu instid0(VALU_DEP_1)
	v_add3_u32 v3, v2, v3, 0x7fff
                                        ; implicit-def: $vgpr2
; %bb.2858:
	s_and_not1_saveexec_b32 s0, s0
; %bb.2859:
	v_and_b32_e32 v3, 0xffff, v2
	v_or_b32_e32 v4, 0x10000, v2
	s_delay_alu instid0(VALU_DEP_2) | instskip(NEXT) | instid1(VALU_DEP_2)
	v_cmp_eq_u32_e32 vcc_lo, 0, v3
	v_cndmask_b32_e32 v3, v4, v2, vcc_lo
; %bb.2860:
	s_or_b32 exec_lo, exec_lo, s0
	flat_store_d16_hi_b16 v[0:1], v3 offset:176
.LBB458_2861:
	s_or_b32 exec_lo, exec_lo, s5
	s_clause 0x1f
	scratch_load_b32 v191, off, s32
	scratch_load_b32 v190, off, s32 offset:4
	scratch_load_b32 v189, off, s32 offset:8
	scratch_load_b32 v188, off, s32 offset:12
	scratch_load_b32 v187, off, s32 offset:16
	scratch_load_b32 v186, off, s32 offset:20
	scratch_load_b32 v185, off, s32 offset:24
	scratch_load_b32 v184, off, s32 offset:28
	scratch_load_b32 v175, off, s32 offset:32
	scratch_load_b32 v174, off, s32 offset:36
	scratch_load_b32 v173, off, s32 offset:40
	scratch_load_b32 v172, off, s32 offset:44
	scratch_load_b32 v171, off, s32 offset:48
	scratch_load_b32 v170, off, s32 offset:52
	scratch_load_b32 v169, off, s32 offset:56
	scratch_load_b32 v168, off, s32 offset:60
	scratch_load_b32 v159, off, s32 offset:64
	scratch_load_b32 v158, off, s32 offset:68
	scratch_load_b32 v157, off, s32 offset:72
	scratch_load_b32 v156, off, s32 offset:76
	scratch_load_b32 v155, off, s32 offset:80
	scratch_load_b32 v154, off, s32 offset:84
	scratch_load_b32 v153, off, s32 offset:88
	scratch_load_b32 v152, off, s32 offset:92
	scratch_load_b32 v143, off, s32 offset:96
	scratch_load_b32 v142, off, s32 offset:100
	scratch_load_b32 v141, off, s32 offset:104
	scratch_load_b32 v140, off, s32 offset:108
	scratch_load_b32 v139, off, s32 offset:112
	scratch_load_b32 v138, off, s32 offset:116
	scratch_load_b32 v137, off, s32 offset:120
	scratch_load_b32 v136, off, s32 offset:124
	s_clause 0x1f
	scratch_load_b32 v127, off, s32 offset:128
	scratch_load_b32 v126, off, s32 offset:132
	;; [unrolled: 1-line block ×32, first 2 shown]
	s_clause 0xf
	scratch_load_b32 v63, off, s32 offset:256
	scratch_load_b32 v62, off, s32 offset:260
	;; [unrolled: 1-line block ×16, first 2 shown]
	s_waitcnt vmcnt(0) lgkmcnt(0)
	s_setpc_b64 s[30:31]
.LBB458_2862:
	v_lshl_add_u32 v15, v1, 2, v13
	ds_load_b32 v15, v15
	s_waitcnt lgkmcnt(0)
	v_add_f32_e32 v0, v15, v0
	s_or_b32 exec_lo, exec_lo, s0
	s_and_saveexec_b32 s0, vcc_lo
	s_cbranch_execz .LBB458_2781
.LBB458_2863:
	v_lshl_add_u32 v15, v1, 2, v13
	ds_load_b32 v15, v15 offset:32
	s_waitcnt lgkmcnt(0)
	v_add_f32_e32 v12, v15, v12
	s_or_b32 exec_lo, exec_lo, s0
	s_and_saveexec_b32 s0, vcc_lo
	s_cbranch_execz .LBB458_2782
.LBB458_2864:
	v_lshl_add_u32 v15, v1, 2, v13
	ds_load_b32 v15, v15 offset:64
	s_waitcnt lgkmcnt(0)
	v_add_f32_e32 v11, v15, v11
	s_or_b32 exec_lo, exec_lo, s0
	s_and_saveexec_b32 s0, vcc_lo
	s_cbranch_execz .LBB458_2783
.LBB458_2865:
	v_lshl_add_u32 v15, v1, 2, v13
	ds_load_b32 v15, v15 offset:96
	s_waitcnt lgkmcnt(0)
	v_add_f32_e32 v10, v15, v10
	s_or_b32 exec_lo, exec_lo, s0
	s_and_saveexec_b32 s0, vcc_lo
	s_cbranch_execz .LBB458_2784
.LBB458_2866:
	v_lshl_add_u32 v15, v1, 2, v13
	ds_load_b32 v15, v15 offset:128
	s_waitcnt lgkmcnt(0)
	v_add_f32_e32 v9, v15, v9
	s_or_b32 exec_lo, exec_lo, s0
	s_and_saveexec_b32 s0, vcc_lo
	s_cbranch_execz .LBB458_2785
.LBB458_2867:
	v_lshl_add_u32 v15, v1, 2, v13
	ds_load_b32 v15, v15 offset:160
	s_waitcnt lgkmcnt(0)
	v_add_f32_e32 v8, v15, v8
	s_or_b32 exec_lo, exec_lo, s0
	s_and_saveexec_b32 s0, vcc_lo
	s_cbranch_execz .LBB458_2786
.LBB458_2868:
	v_lshl_add_u32 v15, v1, 2, v13
	ds_load_b32 v15, v15 offset:192
	s_waitcnt lgkmcnt(0)
	v_add_f32_e32 v7, v15, v7
	s_or_b32 exec_lo, exec_lo, s0
	s_and_saveexec_b32 s0, vcc_lo
	s_cbranch_execz .LBB458_2787
.LBB458_2869:
	v_lshl_add_u32 v15, v1, 2, v13
	ds_load_b32 v15, v15 offset:224
	s_waitcnt lgkmcnt(0)
	v_add_f32_e32 v6, v15, v6
	s_or_b32 exec_lo, exec_lo, s0
	s_and_saveexec_b32 s0, vcc_lo
	s_cbranch_execz .LBB458_2788
.LBB458_2870:
	v_lshl_add_u32 v15, v1, 2, v13
	ds_load_b32 v15, v15 offset:256
	s_waitcnt lgkmcnt(0)
	v_add_f32_e32 v5, v15, v5
	s_or_b32 exec_lo, exec_lo, s0
	s_and_saveexec_b32 s0, vcc_lo
	s_cbranch_execz .LBB458_2789
.LBB458_2871:
	v_lshl_add_u32 v15, v1, 2, v13
	ds_load_b32 v15, v15 offset:288
	s_waitcnt lgkmcnt(0)
	v_add_f32_e32 v4, v15, v4
	s_or_b32 exec_lo, exec_lo, s0
	s_and_saveexec_b32 s0, vcc_lo
	s_cbranch_execz .LBB458_2790
.LBB458_2872:
	v_lshl_add_u32 v15, v1, 2, v13
	ds_load_b32 v15, v15 offset:320
	s_waitcnt lgkmcnt(0)
	v_add_f32_e32 v3, v15, v3
	s_or_b32 exec_lo, exec_lo, s0
	s_and_saveexec_b32 s0, vcc_lo
	s_cbranch_execnz .LBB458_2791
	s_branch .LBB458_2792
.LBB458_2873:
	ds_load_b32 v13, v1
	s_waitcnt lgkmcnt(0)
	v_add_f32_e32 v0, v13, v0
	s_or_b32 exec_lo, exec_lo, s3
	s_and_saveexec_b32 s3, vcc_lo
	s_cbranch_execz .LBB458_2798
.LBB458_2874:
	ds_load_b32 v13, v1 offset:32
	s_waitcnt lgkmcnt(0)
	v_add_f32_e32 v12, v13, v12
	s_or_b32 exec_lo, exec_lo, s3
	s_and_saveexec_b32 s3, vcc_lo
	s_cbranch_execz .LBB458_2799
.LBB458_2875:
	ds_load_b32 v13, v1 offset:64
	s_waitcnt lgkmcnt(0)
	v_add_f32_e32 v11, v13, v11
	s_or_b32 exec_lo, exec_lo, s3
	s_and_saveexec_b32 s3, vcc_lo
	s_cbranch_execz .LBB458_2800
.LBB458_2876:
	ds_load_b32 v13, v1 offset:96
	s_waitcnt lgkmcnt(0)
	v_add_f32_e32 v10, v13, v10
	s_or_b32 exec_lo, exec_lo, s3
	s_and_saveexec_b32 s3, vcc_lo
	s_cbranch_execz .LBB458_2801
.LBB458_2877:
	ds_load_b32 v13, v1 offset:128
	s_waitcnt lgkmcnt(0)
	v_add_f32_e32 v9, v13, v9
	s_or_b32 exec_lo, exec_lo, s3
	s_and_saveexec_b32 s3, vcc_lo
	s_cbranch_execz .LBB458_2802
.LBB458_2878:
	ds_load_b32 v13, v1 offset:160
	s_waitcnt lgkmcnt(0)
	v_add_f32_e32 v8, v13, v8
	s_or_b32 exec_lo, exec_lo, s3
	s_and_saveexec_b32 s3, vcc_lo
	s_cbranch_execz .LBB458_2803
.LBB458_2879:
	ds_load_b32 v13, v1 offset:192
	s_waitcnt lgkmcnt(0)
	v_add_f32_e32 v7, v13, v7
	s_or_b32 exec_lo, exec_lo, s3
	s_and_saveexec_b32 s3, vcc_lo
	s_cbranch_execz .LBB458_2804
.LBB458_2880:
	ds_load_b32 v13, v1 offset:224
	s_waitcnt lgkmcnt(0)
	v_add_f32_e32 v6, v13, v6
	s_or_b32 exec_lo, exec_lo, s3
	s_and_saveexec_b32 s3, vcc_lo
	s_cbranch_execz .LBB458_2805
.LBB458_2881:
	ds_load_b32 v13, v1 offset:256
	s_waitcnt lgkmcnt(0)
	v_add_f32_e32 v5, v13, v5
	s_or_b32 exec_lo, exec_lo, s3
	s_and_saveexec_b32 s3, vcc_lo
	s_cbranch_execz .LBB458_2806
.LBB458_2882:
	ds_load_b32 v13, v1 offset:288
	s_waitcnt lgkmcnt(0)
	v_add_f32_e32 v4, v13, v4
	s_or_b32 exec_lo, exec_lo, s3
	s_and_saveexec_b32 s3, vcc_lo
	s_cbranch_execz .LBB458_2807
.LBB458_2883:
	ds_load_b32 v13, v1 offset:320
	s_waitcnt lgkmcnt(0)
	v_add_f32_e32 v3, v13, v3
	s_or_b32 exec_lo, exec_lo, s3
	s_and_saveexec_b32 s3, vcc_lo
	s_cbranch_execnz .LBB458_2808
	s_branch .LBB458_2809
.Lfunc_end458:
	.size	_ZN4vllm22paged_attention_kernelI14__hip_bfloat16hLi96ELi32ELi128ELNS_18Fp8KVCacheDataTypeE1ELb0ELi512EEEvPfS3_PT_PKS4_PKT0_SA_ifPKiSC_iPKfiiiSE_SE_iiiii, .Lfunc_end458-_ZN4vllm22paged_attention_kernelI14__hip_bfloat16hLi96ELi32ELi128ELNS_18Fp8KVCacheDataTypeE1ELb0ELi512EEEvPfS3_PT_PKS4_PKT0_SA_ifPKiSC_iPKfiiiSE_SE_iiiii
                                        ; -- End function
	.section	.AMDGPU.csdata,"",@progbits
; Function info:
; codeLenInByte = 88372
; NumSgprs: 35
; NumVgprs: 192
; ScratchSize: 508
; MemoryBound: 0
	.section	.text._ZN4vllm25paged_attention_v2_kernelI14__hip_bfloat16hLi96ELi32ELi128ELNS_18Fp8KVCacheDataTypeE1ELb0ELi512EEEvPfS3_PT_PKS4_PKT0_SA_ifPKiSC_iPKfiiiSE_SE_iiiii,"axG",@progbits,_ZN4vllm25paged_attention_v2_kernelI14__hip_bfloat16hLi96ELi32ELi128ELNS_18Fp8KVCacheDataTypeE1ELb0ELi512EEEvPfS3_PT_PKS4_PKT0_SA_ifPKiSC_iPKfiiiSE_SE_iiiii,comdat
	.protected	_ZN4vllm25paged_attention_v2_kernelI14__hip_bfloat16hLi96ELi32ELi128ELNS_18Fp8KVCacheDataTypeE1ELb0ELi512EEEvPfS3_PT_PKS4_PKT0_SA_ifPKiSC_iPKfiiiSE_SE_iiiii ; -- Begin function _ZN4vllm25paged_attention_v2_kernelI14__hip_bfloat16hLi96ELi32ELi128ELNS_18Fp8KVCacheDataTypeE1ELb0ELi512EEEvPfS3_PT_PKS4_PKT0_SA_ifPKiSC_iPKfiiiSE_SE_iiiii
	.globl	_ZN4vllm25paged_attention_v2_kernelI14__hip_bfloat16hLi96ELi32ELi128ELNS_18Fp8KVCacheDataTypeE1ELb0ELi512EEEvPfS3_PT_PKS4_PKT0_SA_ifPKiSC_iPKfiiiSE_SE_iiiii
	.p2align	8
	.type	_ZN4vllm25paged_attention_v2_kernelI14__hip_bfloat16hLi96ELi32ELi128ELNS_18Fp8KVCacheDataTypeE1ELb0ELi512EEEvPfS3_PT_PKS4_PKT0_SA_ifPKiSC_iPKfiiiSE_SE_iiiii,@function
_ZN4vllm25paged_attention_v2_kernelI14__hip_bfloat16hLi96ELi32ELi128ELNS_18Fp8KVCacheDataTypeE1ELb0ELi512EEEvPfS3_PT_PKS4_PKT0_SA_ifPKiSC_iPKfiiiSE_SE_iiiii: ; @_ZN4vllm25paged_attention_v2_kernelI14__hip_bfloat16hLi96ELi32ELi128ELNS_18Fp8KVCacheDataTypeE1ELb0ELi512EEEvPfS3_PT_PKS4_PKT0_SA_ifPKiSC_iPKfiiiSE_SE_iiiii
; %bb.0:
	s_clause 0x5
	s_load_b256 s[24:31], s[0:1], 0x0
	s_load_b256 s[16:23], s[0:1], 0x20
	s_load_b64 s[2:3], s[0:1], 0x40
	s_load_b64 s[4:5], s[0:1], 0x50
	s_load_b32 s6, s[0:1], 0x48
	s_load_b256 s[36:43], s[0:1], 0x58
	v_mov_b32_e32 v31, v0
	s_add_u32 s8, s0, 0x90
	s_mov_b32 s12, s13
	s_addc_u32 s9, s1, 0
	s_mov_b32 s13, s14
	s_mov_b32 s14, s15
	;; [unrolled: 1-line block ×4, first 2 shown]
	s_getpc_b64 s[0:1]
	s_add_u32 s0, s0, _ZN4vllm22paged_attention_kernelI14__hip_bfloat16hLi96ELi32ELi128ELNS_18Fp8KVCacheDataTypeE1ELb0ELi512EEEvPfS3_PT_PKS4_PKT0_SA_ifPKiSC_iPKfiiiSE_SE_iiiii@rel32@lo+4
	s_addc_u32 s1, s1, _ZN4vllm22paged_attention_kernelI14__hip_bfloat16hLi96ELi32ELi128ELNS_18Fp8KVCacheDataTypeE1ELb0ELi512EEEvPfS3_PT_PKS4_PKT0_SA_ifPKiSC_iPKfiiiSE_SE_iiiii@rel32@hi+12
	s_waitcnt lgkmcnt(0)
	v_dual_mov_b32 v0, s24 :: v_dual_mov_b32 v1, s25
	v_dual_mov_b32 v2, s26 :: v_dual_mov_b32 v3, s27
	v_dual_mov_b32 v4, s28 :: v_dual_mov_b32 v5, s29
	v_dual_mov_b32 v6, s30 :: v_dual_mov_b32 v7, s31
	v_dual_mov_b32 v8, s16 :: v_dual_mov_b32 v9, s17
	v_dual_mov_b32 v10, s18 :: v_dual_mov_b32 v11, s19
	v_dual_mov_b32 v12, s20 :: v_dual_mov_b32 v13, s21
	v_dual_mov_b32 v14, s22 :: v_dual_mov_b32 v15, s23
	v_dual_mov_b32 v16, s2 :: v_dual_mov_b32 v17, s3
	v_dual_mov_b32 v18, s6 :: v_dual_mov_b32 v19, s4
	v_dual_mov_b32 v20, s5 :: v_dual_mov_b32 v21, s36
	v_dual_mov_b32 v22, s37 :: v_dual_mov_b32 v23, s38
	v_dual_mov_b32 v24, s40 :: v_dual_mov_b32 v25, s41
	v_dual_mov_b32 v26, s42 :: v_dual_mov_b32 v27, s43
	s_swappc_b64 s[30:31], s[0:1]
	s_endpgm
	.section	.rodata,"a",@progbits
	.p2align	6, 0x0
	.amdhsa_kernel _ZN4vllm25paged_attention_v2_kernelI14__hip_bfloat16hLi96ELi32ELi128ELNS_18Fp8KVCacheDataTypeE1ELb0ELi512EEEvPfS3_PT_PKS4_PKT0_SA_ifPKiSC_iPKfiiiSE_SE_iiiii
		.amdhsa_group_segment_fixed_size 224
		.amdhsa_private_segment_fixed_size 508
		.amdhsa_kernarg_size 400
		.amdhsa_user_sgpr_count 13
		.amdhsa_user_sgpr_dispatch_ptr 0
		.amdhsa_user_sgpr_queue_ptr 0
		.amdhsa_user_sgpr_kernarg_segment_ptr 1
		.amdhsa_user_sgpr_dispatch_id 0
		.amdhsa_user_sgpr_private_segment_size 0
		.amdhsa_wavefront_size32 1
		.amdhsa_uses_dynamic_stack 0
		.amdhsa_enable_private_segment 1
		.amdhsa_system_sgpr_workgroup_id_x 1
		.amdhsa_system_sgpr_workgroup_id_y 1
		.amdhsa_system_sgpr_workgroup_id_z 1
		.amdhsa_system_sgpr_workgroup_info 0
		.amdhsa_system_vgpr_workitem_id 0
		.amdhsa_next_free_vgpr 192
		.amdhsa_next_free_sgpr 44
		.amdhsa_reserve_vcc 1
		.amdhsa_float_round_mode_32 0
		.amdhsa_float_round_mode_16_64 0
		.amdhsa_float_denorm_mode_32 3
		.amdhsa_float_denorm_mode_16_64 3
		.amdhsa_dx10_clamp 1
		.amdhsa_ieee_mode 1
		.amdhsa_fp16_overflow 0
		.amdhsa_workgroup_processor_mode 1
		.amdhsa_memory_ordered 1
		.amdhsa_forward_progress 0
		.amdhsa_shared_vgpr_count 0
		.amdhsa_exception_fp_ieee_invalid_op 0
		.amdhsa_exception_fp_denorm_src 0
		.amdhsa_exception_fp_ieee_div_zero 0
		.amdhsa_exception_fp_ieee_overflow 0
		.amdhsa_exception_fp_ieee_underflow 0
		.amdhsa_exception_fp_ieee_inexact 0
		.amdhsa_exception_int_div_zero 0
	.end_amdhsa_kernel
	.section	.text._ZN4vllm25paged_attention_v2_kernelI14__hip_bfloat16hLi96ELi32ELi128ELNS_18Fp8KVCacheDataTypeE1ELb0ELi512EEEvPfS3_PT_PKS4_PKT0_SA_ifPKiSC_iPKfiiiSE_SE_iiiii,"axG",@progbits,_ZN4vllm25paged_attention_v2_kernelI14__hip_bfloat16hLi96ELi32ELi128ELNS_18Fp8KVCacheDataTypeE1ELb0ELi512EEEvPfS3_PT_PKS4_PKT0_SA_ifPKiSC_iPKfiiiSE_SE_iiiii,comdat
.Lfunc_end459:
	.size	_ZN4vllm25paged_attention_v2_kernelI14__hip_bfloat16hLi96ELi32ELi128ELNS_18Fp8KVCacheDataTypeE1ELb0ELi512EEEvPfS3_PT_PKS4_PKT0_SA_ifPKiSC_iPKfiiiSE_SE_iiiii, .Lfunc_end459-_ZN4vllm25paged_attention_v2_kernelI14__hip_bfloat16hLi96ELi32ELi128ELNS_18Fp8KVCacheDataTypeE1ELb0ELi512EEEvPfS3_PT_PKS4_PKT0_SA_ifPKiSC_iPKfiiiSE_SE_iiiii
                                        ; -- End function
	.section	.AMDGPU.csdata,"",@progbits
; Kernel info:
; codeLenInByte = 232
; NumSgprs: 46
; NumVgprs: 192
; ScratchSize: 508
; MemoryBound: 0
; FloatMode: 240
; IeeeMode: 1
; LDSByteSize: 224 bytes/workgroup (compile time only)
; SGPRBlocks: 5
; VGPRBlocks: 23
; NumSGPRsForWavesPerEU: 46
; NumVGPRsForWavesPerEU: 192
; Occupancy: 8
; WaveLimiterHint : 1
; COMPUTE_PGM_RSRC2:SCRATCH_EN: 1
; COMPUTE_PGM_RSRC2:USER_SGPR: 13
; COMPUTE_PGM_RSRC2:TRAP_HANDLER: 0
; COMPUTE_PGM_RSRC2:TGID_X_EN: 1
; COMPUTE_PGM_RSRC2:TGID_Y_EN: 1
; COMPUTE_PGM_RSRC2:TGID_Z_EN: 1
; COMPUTE_PGM_RSRC2:TIDIG_COMP_CNT: 0
	.text
	.p2align	2                               ; -- Begin function _ZN4vllm22paged_attention_kernelI14__hip_bfloat16hLi112ELi32ELi128ELNS_18Fp8KVCacheDataTypeE1ELb0ELi512EEEvPfS3_PT_PKS4_PKT0_SA_ifPKiSC_iPKfiiiSE_SE_iiiii
	.type	_ZN4vllm22paged_attention_kernelI14__hip_bfloat16hLi112ELi32ELi128ELNS_18Fp8KVCacheDataTypeE1ELb0ELi512EEEvPfS3_PT_PKS4_PKT0_SA_ifPKiSC_iPKfiiiSE_SE_iiiii,@function
_ZN4vllm22paged_attention_kernelI14__hip_bfloat16hLi112ELi32ELi128ELNS_18Fp8KVCacheDataTypeE1ELb0ELi512EEEvPfS3_PT_PKS4_PKT0_SA_ifPKiSC_iPKfiiiSE_SE_iiiii: ; @_ZN4vllm22paged_attention_kernelI14__hip_bfloat16hLi112ELi32ELi128ELNS_18Fp8KVCacheDataTypeE1ELb0ELi512EEEvPfS3_PT_PKS4_PKT0_SA_ifPKiSC_iPKfiiiSE_SE_iiiii
; %bb.0:
	s_waitcnt vmcnt(0) expcnt(0) lgkmcnt(0)
	s_clause 0x1f
	scratch_store_b32 off, v40, s32 offset:316
	; meta instruction
	scratch_store_b32 off, v41, s32 offset:312
	; meta instruction
	;; [unrolled: 2-line block ×31, first 2 shown]
	scratch_store_b32 off, v95, s32 offset:192
	s_clause 0x1f
	scratch_store_b32 off, v104, s32 offset:188
	; meta instruction
	scratch_store_b32 off, v105, s32 offset:184
	; meta instruction
	;; [unrolled: 2-line block ×31, first 2 shown]
	scratch_store_b32 off, v159, s32 offset:64
	s_clause 0xf
	scratch_store_b32 off, v168, s32 offset:60
	; meta instruction
	scratch_store_b32 off, v169, s32 offset:56
	; meta instruction
	;; [unrolled: 2-line block ×15, first 2 shown]
	scratch_store_b32 off, v191, s32
	s_mov_b32 s4, s13
	s_ashr_i32 s5, s13, 31
	v_dual_mov_b32 v30, v3 :: v_dual_mov_b32 v29, v0
	s_lshl_b64 s[0:1], s[4:5], 2
	v_mov_b32_e32 v28, v1
	v_add_co_u32 v0, vcc_lo, v16, s0
	v_add_co_ci_u32_e32 v1, vcc_lo, s1, v17, vcc_lo
	v_mov_b32_e32 v32, v2
	s_lshl_b32 s17, s14, 9
	s_mov_b32 s5, exec_lo
	flat_load_b32 v36, v[0:1]
	s_waitcnt vmcnt(0) lgkmcnt(0)
	v_cmpx_lt_i32_e64 s17, v36
	s_cbranch_execz .LBB460_3325
; %bb.1:
	v_sub_nc_u32_e32 v0, 0, v12
	s_clause 0x1
	scratch_store_b32 off, v4, s32 offset:560
	scratch_store_b32 off, v5, s32 offset:556
	s_clause 0x1
	s_load_b32 s0, s[8:9], 0x10
	s_load_b32 s1, s[8:9], 0x0
	s_mov_b32 s10, s15
	v_max_i32_e32 v0, v12, v0
	v_mov_b32_e32 v39, 0
	s_delay_alu instid0(VALU_DEP_2) | instskip(SKIP_1) | instid1(VALU_DEP_2)
	v_cvt_f32_u32_e32 v1, v0
	v_sub_nc_u32_e32 v2, 0, v0
	v_rcp_iflag_f32_e32 v1, v1
	s_waitcnt lgkmcnt(0)
	s_lshr_b32 s0, s0, 16
	s_delay_alu instid0(SALU_CYCLE_1) | instskip(SKIP_3) | instid1(SALU_CYCLE_1)
	s_cmp_lg_u32 s0, 0
	s_waitcnt_depctr 0xfff
	v_mul_f32_e32 v1, 0x4f7ffffe, v1
	s_cselect_b32 s0, -1, 0
	s_cmp_lg_u32 s0, 0
	s_delay_alu instid0(VALU_DEP_1) | instskip(SKIP_3) | instid1(VALU_DEP_1)
	v_cvt_u32_f32_e32 v1, v1
	s_addc_u32 s16, s1, 0
	s_mov_b32 s1, exec_lo
	s_abs_i32 s0, s16
	v_mul_lo_u32 v2, v2, v1
	s_delay_alu instid0(VALU_DEP_1) | instskip(NEXT) | instid1(VALU_DEP_1)
	v_mul_hi_u32 v2, v1, v2
	v_add_nc_u32_e32 v1, v1, v2
	s_delay_alu instid0(VALU_DEP_1) | instskip(NEXT) | instid1(VALU_DEP_1)
	v_mul_hi_u32 v1, s0, v1
	v_mul_lo_u32 v2, v1, v0
	v_add_nc_u32_e32 v3, 1, v1
	s_delay_alu instid0(VALU_DEP_2) | instskip(SKIP_1) | instid1(VALU_DEP_1)
	v_sub_nc_u32_e32 v2, s0, v2
	s_abs_i32 s0, s12
	v_sub_nc_u32_e32 v4, v2, v0
	v_cmp_ge_u32_e32 vcc_lo, v2, v0
	s_delay_alu instid0(VALU_DEP_2) | instskip(SKIP_1) | instid1(VALU_DEP_2)
	v_dual_cndmask_b32 v1, v1, v3 :: v_dual_cndmask_b32 v2, v2, v4
	v_xor_b32_e32 v3, s16, v12
	v_add_nc_u32_e32 v4, 1, v1
	s_delay_alu instid0(VALU_DEP_3) | instskip(NEXT) | instid1(VALU_DEP_3)
	v_cmp_ge_u32_e32 vcc_lo, v2, v0
	v_ashrrev_i32_e32 v3, 31, v3
	s_delay_alu instid0(VALU_DEP_3) | instskip(NEXT) | instid1(VALU_DEP_1)
	v_cndmask_b32_e32 v0, v1, v4, vcc_lo
	v_xor_b32_e32 v0, v0, v3
	s_delay_alu instid0(VALU_DEP_1) | instskip(NEXT) | instid1(VALU_DEP_1)
	v_sub_nc_u32_e32 v1, v0, v3
	v_sub_nc_u32_e32 v0, 0, v1
	s_delay_alu instid0(VALU_DEP_1) | instskip(NEXT) | instid1(VALU_DEP_1)
	v_max_i32_e32 v0, v1, v0
	v_cvt_f32_u32_e32 v2, v0
	v_sub_nc_u32_e32 v3, 0, v0
	s_delay_alu instid0(VALU_DEP_2) | instskip(SKIP_2) | instid1(VALU_DEP_1)
	v_rcp_iflag_f32_e32 v2, v2
	s_waitcnt_depctr 0xfff
	v_mul_f32_e32 v2, 0x4f7ffffe, v2
	v_cvt_u32_f32_e32 v2, v2
	s_delay_alu instid0(VALU_DEP_1) | instskip(NEXT) | instid1(VALU_DEP_1)
	v_mul_lo_u32 v3, v3, v2
	v_mul_hi_u32 v3, v2, v3
	s_delay_alu instid0(VALU_DEP_1) | instskip(NEXT) | instid1(VALU_DEP_1)
	v_add_nc_u32_e32 v2, v2, v3
	v_mad_u64_u32 v[16:17], null, s0, v2, 0
	v_cmpx_ne_u64_e32 0, v[19:20]
	s_cbranch_execz .LBB460_3
; %bb.2:
	s_ashr_i32 s13, s12, 31
	s_delay_alu instid0(SALU_CYCLE_1) | instskip(NEXT) | instid1(SALU_CYCLE_1)
	s_lshl_b64 s[2:3], s[12:13], 2
	v_add_co_u32 v2, vcc_lo, v19, s2
	v_add_co_ci_u32_e32 v3, vcc_lo, s3, v20, vcc_lo
	flat_load_b32 v39, v[2:3]
.LBB460_3:
	s_or_b32 exec_lo, exec_lo, s1
	v_and_b32_e32 v12, 0x3ff, v31
	v_ashrrev_i32_e32 v1, 31, v1
	s_ashr_i32 s1, s12, 31
	s_mul_i32 s6, s12, 0x70
	s_mov_b32 s2, exec_lo
	v_cmpx_gt_u32_e32 14, v12
	s_cbranch_execz .LBB460_5
; %bb.4:
	v_mul_lo_u32 v2, s4, v21
	s_ashr_i32 s7, s6, 31
	v_lshlrev_b32_e32 v16, 4, v12
	s_lshl_b64 s[18:19], s[6:7], 1
	s_delay_alu instid0(VALU_DEP_2) | instskip(NEXT) | instid1(VALU_DEP_1)
	v_ashrrev_i32_e32 v3, 31, v2
	v_lshlrev_b64 v[2:3], 1, v[2:3]
	s_delay_alu instid0(VALU_DEP_1) | instskip(NEXT) | instid1(VALU_DEP_2)
	v_add_co_u32 v2, vcc_lo, v6, v2
	v_add_co_ci_u32_e32 v3, vcc_lo, v7, v3, vcc_lo
	s_delay_alu instid0(VALU_DEP_2) | instskip(NEXT) | instid1(VALU_DEP_2)
	v_add_co_u32 v2, vcc_lo, v2, s18
	v_add_co_ci_u32_e32 v3, vcc_lo, s19, v3, vcc_lo
	s_delay_alu instid0(VALU_DEP_2) | instskip(NEXT) | instid1(VALU_DEP_2)
	v_add_co_u32 v2, vcc_lo, v2, v16
	v_add_co_ci_u32_e32 v3, vcc_lo, 0, v3, vcc_lo
	flat_load_b128 v[2:5], v[2:3]
	s_waitcnt vmcnt(0) lgkmcnt(0)
	ds_store_b128 v16, v[2:5]
.LBB460_5:
	s_or_b32 exec_lo, exec_lo, s2
	v_mul_lo_u32 v2, v17, v0
	v_dual_mov_b32 v120, 0xff7fffff :: v_dual_add_nc_u32 v3, 1, v17
	v_xor_b32_e32 v1, s1, v1
	s_clause 0x1
	s_load_b32 s13, s[8:9], 0x14
	s_load_b32 s7, s[8:9], 0x8
	s_lshl_b32 s3, s14, 4
	s_mov_b32 s15, exec_lo
	v_sub_nc_u32_e32 v2, s0, v2
	s_add_i32 s0, s3, 16
	s_delay_alu instid0(VALU_DEP_1) | instskip(SKIP_2) | instid1(VALU_DEP_3)
	v_sub_nc_u32_e32 v5, v2, v0
	v_cmp_ge_u32_e32 vcc_lo, v2, v0
	v_dual_cndmask_b32 v3, v17, v3 :: v_dual_add_nc_u32 v4, 31, v36
	v_cndmask_b32_e32 v2, v2, v5, vcc_lo
	s_delay_alu instid0(VALU_DEP_2) | instskip(NEXT) | instid1(VALU_DEP_3)
	v_ashrrev_i32_e32 v6, 31, v4
	v_add_nc_u32_e32 v5, 1, v3
	s_delay_alu instid0(VALU_DEP_3) | instskip(NEXT) | instid1(VALU_DEP_3)
	v_cmp_ge_u32_e32 vcc_lo, v2, v0
	v_lshrrev_b32_e32 v6, 27, v6
	v_mul_lo_u32 v0, s4, v18
	s_delay_alu instid0(VALU_DEP_2) | instskip(SKIP_1) | instid1(VALU_DEP_2)
	v_dual_cndmask_b32 v2, v3, v5 :: v_dual_add_nc_u32 v3, v4, v6
	v_lshrrev_b32_e32 v4, 5, v12
	v_xor_b32_e32 v2, v2, v1
	s_delay_alu instid0(VALU_DEP_3) | instskip(NEXT) | instid1(VALU_DEP_3)
	v_ashrrev_i32_e32 v34, 5, v3
	v_add_nc_u32_e32 v16, s3, v4
	s_delay_alu instid0(VALU_DEP_3) | instskip(SKIP_1) | instid1(VALU_DEP_4)
	v_sub_nc_u32_e32 v2, v2, v1
	v_ashrrev_i32_e32 v1, 31, v0
	v_min_i32_e32 v37, s0, v34
	s_delay_alu instid0(VALU_DEP_4) | instskip(NEXT) | instid1(VALU_DEP_4)
	v_ashrrev_i32_e32 v17, 31, v16
	v_mul_lo_u32 v23, v2, v23
	v_and_b32_e32 v2, 31, v12
	v_lshlrev_b64 v[51:52], 2, v[0:1]
	v_cmp_ge_i32_e64 s0, v16, v37
	s_clause 0x1
	scratch_store_b32 off, v4, s32 offset:552
	scratch_store_b32 off, v2, s32 offset:548
	v_lshlrev_b32_e32 v20, 2, v2
	v_ashrrev_i32_e32 v35, 31, v23
	s_waitcnt vmcnt(0) lgkmcnt(0)
	s_waitcnt_vscnt null, 0x0
	s_barrier
	buffer_gl0_inv
	v_cmpx_lt_i32_e64 v16, v37
	s_cbranch_execz .LBB460_1353
; %bb.6:
	v_mov_b32_e32 v19, 0
	s_clause 0x8
	scratch_store_b32 off, v34, s32 offset:608
	scratch_store_b32 off, v32, s32 offset:604
	;; [unrolled: 1-line block ×7, first 2 shown]
	scratch_store_b64 off, v[26:27], s32 offset:576
	scratch_store_b32 off, v12, s32 offset:564
	s_getpc_b64 s[8:9]
	s_add_u32 s8, s8, llvm.amdgcn.dynlds.offset.table@rel32@lo+4
	s_addc_u32 s9, s9, llvm.amdgcn.dynlds.offset.table@rel32@hi+12
	s_ashr_i32 s11, s10, 31
	v_sub_nc_u32_e32 v125, 1, v36
	ds_load_b128 v[0:3], v19
	ds_load_b128 v[4:7], v19 offset:16
	ds_load_b128 v[26:29], v19 offset:32
	;; [unrolled: 1-line block ×3, first 2 shown]
	s_lshl_b64 s[18:19], s[10:11], 2
	s_mov_b32 s11, 0
	s_add_u32 s8, s18, s8
	s_addc_u32 s9, s19, s9
	scratch_store_b32 off, v15, s32 offset:568 ; 4-byte Folded Spill
	s_load_b32 s1, s[8:9], 0x0
	s_mov_b32 s8, -1
	s_mov_b32 s9, 0xffffff
	s_clause 0x4
	scratch_store_b32 off, v14, s32 offset:572
	scratch_store_b64 off, v[51:52], s32 offset:612
	scratch_store_b32 off, v23, s32 offset:620
	scratch_store_b32 off, v35, s32 offset:624
	;; [unrolled: 1-line block ×3, first 2 shown]
	v_mov_b32_e32 v126, v16
	v_mov_b32_e32 v120, 0xff7fffff
	s_waitcnt lgkmcnt(0)
	v_lshlrev_b32_e32 v10, 16, v0
	v_and_b32_e32 v0, 0xffff0000, v0
	scratch_store_b32 off, v10, s32 offset:320 ; 4-byte Folded Spill
	v_and_b32_e32 v10, 0xffff0000, v29
	scratch_store_b32 off, v0, s32 offset:324 ; 4-byte Folded Spill
	v_lshlrev_b32_e32 v0, 16, v1
	scratch_store_b32 off, v10, s32 offset:412 ; 4-byte Folded Spill
	v_lshlrev_b32_e32 v10, 16, v30
	scratch_store_b32 off, v0, s32 offset:328 ; 4-byte Folded Spill
	v_and_b32_e32 v0, 0xffff0000, v1
	scratch_store_b32 off, v10, s32 offset:416 ; 4-byte Folded Spill
	v_and_b32_e32 v10, 0xffff0000, v30
	scratch_store_b32 off, v0, s32 offset:332 ; 4-byte Folded Spill
	v_lshlrev_b32_e32 v0, 16, v2
	scratch_store_b32 off, v10, s32 offset:420 ; 4-byte Folded Spill
	v_lshlrev_b32_e32 v10, 16, v31
	scratch_store_b32 off, v0, s32 offset:336 ; 4-byte Folded Spill
	;; [unrolled: 8-line block ×4, first 2 shown]
	v_and_b32_e32 v0, 0xffff0000, v4
	v_and_b32_e32 v4, 0xffff0000, v7
	scratch_store_b32 off, v10, s32 offset:440 ; 4-byte Folded Spill
	v_and_b32_e32 v10, 0xffff0000, v33
	s_clause 0x1
	scratch_store_b32 off, v0, s32 offset:356
	scratch_store_b32 off, v4, s32 offset:380
	v_lshlrev_b32_e32 v0, 16, v5
	v_lshlrev_b32_e32 v4, 16, v26
	scratch_store_b32 off, v10, s32 offset:444 ; 4-byte Folded Spill
	ds_load_b128 v[30:33], v19 offset:112
	s_clause 0x1
	scratch_store_b32 off, v0, s32 offset:360
	scratch_store_b32 off, v4, s32 offset:384
	v_and_b32_e32 v0, 0xffff0000, v5
	v_and_b32_e32 v4, 0xffff0000, v26
	s_clause 0x1
	scratch_store_b32 off, v0, s32 offset:364
	scratch_store_b32 off, v4, s32 offset:388
	v_lshlrev_b32_e32 v0, 16, v6
	v_lshlrev_b32_e32 v4, 16, v27
	s_clause 0x1
	scratch_store_b32 off, v0, s32 offset:368
	scratch_store_b32 off, v4, s32 offset:392
	v_and_b32_e32 v0, 0xffff0000, v6
	v_and_b32_e32 v4, 0xffff0000, v27
	s_waitcnt lgkmcnt(0)
	v_and_b32_e32 v163, 0xffff0000, v30
	v_lshlrev_b32_e32 v164, 16, v31
	v_and_b32_e32 v165, 0xffff0000, v31
	s_clause 0x1
	scratch_store_b32 off, v0, s32 offset:372
	scratch_store_b32 off, v4, s32 offset:396
	v_lshlrev_b32_e32 v0, 16, v7
	v_lshlrev_b32_e32 v4, 16, v28
	;; [unrolled: 1-line block ×3, first 2 shown]
	v_and_b32_e32 v167, 0xffff0000, v32
	v_lshlrev_b32_e32 v176, 16, v33
	s_clause 0x1
	scratch_store_b32 off, v0, s32 offset:376
	scratch_store_b32 off, v4, s32 offset:400
	ds_load_b128 v[0:3], v19 offset:64
	v_and_b32_e32 v4, 0xffff0000, v28
	v_and_b32_e32 v177, 0xffff0000, v33
	scratch_store_b32 off, v4, s32 offset:404 ; 4-byte Folded Spill
	v_lshlrev_b32_e32 v4, 16, v29
	ds_load_b128 v[26:29], v19 offset:96
	scratch_store_b32 off, v4, s32 offset:408 ; 4-byte Folded Spill
	ds_load_b128 v[4:7], v19 offset:80
	s_waitcnt lgkmcnt(2)
	v_lshlrev_b32_e32 v10, 16, v0
	v_and_b32_e32 v0, 0xffff0000, v0
	scratch_store_b32 off, v10, s32 offset:448 ; 4-byte Folded Spill
	s_waitcnt lgkmcnt(1)
	v_and_b32_e32 v10, 0xffff0000, v28
	scratch_store_b32 off, v0, s32 offset:452 ; 4-byte Folded Spill
	v_lshlrev_b32_e32 v0, 16, v1
	scratch_store_b32 off, v10, s32 offset:532 ; 4-byte Folded Spill
	v_lshlrev_b32_e32 v10, 16, v29
	scratch_store_b32 off, v0, s32 offset:456 ; 4-byte Folded Spill
	v_and_b32_e32 v0, 0xffff0000, v1
	scratch_store_b32 off, v10, s32 offset:536 ; 4-byte Folded Spill
	v_and_b32_e32 v10, 0xffff0000, v29
	scratch_store_b32 off, v0, s32 offset:460 ; 4-byte Folded Spill
	v_lshlrev_b32_e32 v0, 16, v2
	scratch_store_b32 off, v10, s32 offset:540 ; 4-byte Folded Spill
	v_lshlrev_b32_e32 v10, 16, v30
	scratch_store_b32 off, v0, s32 offset:464 ; 4-byte Folded Spill
	v_and_b32_e32 v0, 0xffff0000, v2
	ds_load_b128 v[30:33], v19 offset:176
	s_clause 0x1
	scratch_store_b32 off, v10, s32 offset:544
	scratch_store_b32 off, v0, s32 offset:468
	v_lshlrev_b32_e32 v0, 16, v3
	scratch_store_b32 off, v0, s32 offset:472 ; 4-byte Folded Spill
	v_and_b32_e32 v0, 0xffff0000, v3
	scratch_store_b32 off, v0, s32 offset:476 ; 4-byte Folded Spill
	s_waitcnt lgkmcnt(1)
	v_lshlrev_b32_e32 v0, 16, v4
	s_waitcnt lgkmcnt(0)
	v_lshlrev_b32_e32 v74, 16, v30
	v_and_b32_e32 v75, 0xffff0000, v30
	scratch_store_b32 off, v0, s32 offset:480 ; 4-byte Folded Spill
	v_and_b32_e32 v0, 0xffff0000, v4
	v_and_b32_e32 v4, 0xffff0000, v7
	v_lshlrev_b32_e32 v76, 16, v31
	v_and_b32_e32 v77, 0xffff0000, v31
	v_lshlrev_b32_e32 v78, 16, v32
	s_clause 0x1
	scratch_store_b32 off, v0, s32 offset:484
	scratch_store_b32 off, v4, s32 offset:508
	v_lshlrev_b32_e32 v0, 16, v5
	v_lshlrev_b32_e32 v4, 16, v26
	v_and_b32_e32 v79, 0xffff0000, v32
	v_lshlrev_b32_e32 v88, 16, v33
	v_and_b32_e32 v89, 0xffff0000, v33
	s_clause 0x1
	scratch_store_b32 off, v0, s32 offset:488
	scratch_store_b32 off, v4, s32 offset:512
	v_and_b32_e32 v0, 0xffff0000, v5
	v_and_b32_e32 v4, 0xffff0000, v26
	s_clause 0x1
	scratch_store_b32 off, v0, s32 offset:492
	scratch_store_b32 off, v4, s32 offset:516
	v_lshlrev_b32_e32 v0, 16, v6
	v_lshlrev_b32_e32 v4, 16, v27
	s_clause 0x1
	scratch_store_b32 off, v0, s32 offset:496
	scratch_store_b32 off, v4, s32 offset:520
	v_and_b32_e32 v0, 0xffff0000, v6
	v_and_b32_e32 v4, 0xffff0000, v27
	s_clause 0x1
	scratch_store_b32 off, v0, s32 offset:500
	scratch_store_b32 off, v4, s32 offset:524
	v_lshlrev_b32_e32 v0, 16, v7
	v_lshlrev_b32_e32 v4, 16, v28
	ds_load_b128 v[26:29], v19 offset:160
	s_clause 0x1
	scratch_store_b32 off, v0, s32 offset:504
	scratch_store_b32 off, v4, s32 offset:528
	ds_load_b128 v[0:3], v19 offset:128
	ds_load_b128 v[4:7], v19 offset:144
	s_waitcnt lgkmcnt(2)
	v_lshlrev_b32_e32 v58, 16, v26
	v_and_b32_e32 v59, 0xffff0000, v26
	v_lshlrev_b32_e32 v60, 16, v27
	v_and_b32_e32 v61, 0xffff0000, v27
	v_lshlrev_b32_e32 v62, 16, v28
	s_waitcnt lgkmcnt(1)
	v_lshlrev_b32_e32 v178, 16, v0
	v_and_b32_e32 v179, 0xffff0000, v0
	v_lshlrev_b32_e32 v180, 16, v1
	v_and_b32_e32 v181, 0xffff0000, v1
	;; [unrolled: 2-line block ×4, first 2 shown]
	s_waitcnt lgkmcnt(0)
	v_lshlrev_b32_e32 v42, 16, v4
	v_and_b32_e32 v43, 0xffff0000, v4
	v_lshlrev_b32_e32 v44, 16, v5
	v_and_b32_e32 v45, 0xffff0000, v5
	;; [unrolled: 2-line block ×3, first 2 shown]
	ds_load_b128 v[0:3], v19 offset:192
	v_lshlrev_b32_e32 v56, 16, v7
	v_and_b32_e32 v57, 0xffff0000, v7
	ds_load_b128 v[4:7], v19 offset:208
	v_and_b32_e32 v63, 0xffff0000, v28
	v_lshlrev_b32_e32 v72, 16, v29
	v_and_b32_e32 v73, 0xffff0000, v29
	s_waitcnt lgkmcnt(1)
	v_lshlrev_b32_e32 v90, 16, v0
	v_and_b32_e32 v91, 0xffff0000, v0
	v_lshlrev_b32_e32 v92, 16, v1
	s_waitcnt lgkmcnt(0)
	v_lshlrev_b32_e32 v108, 16, v5
	v_and_b32_e32 v109, 0xffff0000, v5
	scratch_load_b32 v5, off, s32 offset:548 ; 4-byte Folded Reload
	v_and_b32_e32 v93, 0xffff0000, v1
	v_lshlrev_b64 v[0:1], 2, v[16:17]
	v_lshlrev_b32_e32 v94, 16, v2
	v_and_b32_e32 v95, 0xffff0000, v2
	v_add_co_u32 v2, vcc_lo, v8, v23
	v_lshlrev_b32_e32 v106, 16, v4
	v_and_b32_e32 v107, 0xffff0000, v4
	v_lshlrev_b32_e32 v104, 16, v3
	v_and_b32_e32 v105, 0xffff0000, v3
	v_add_co_ci_u32_e32 v3, vcc_lo, v9, v35, vcc_lo
	v_add_co_u32 v0, vcc_lo, v51, v0
	v_add_co_ci_u32_e32 v1, vcc_lo, v52, v1, vcc_lo
	v_lshlrev_b32_e32 v110, 16, v6
	v_and_b32_e32 v111, 0xffff0000, v6
	v_lshlrev_b32_e32 v121, 16, v7
	v_and_b32_e32 v122, 0xffff0000, v7
	s_waitcnt vmcnt(0)
	v_lshlrev_b32_e32 v4, 4, v5
	s_delay_alu instid0(VALU_DEP_1)
	v_add_co_u32 v8, vcc_lo, v2, v4
	v_add_co_ci_u32_e32 v9, vcc_lo, 0, v3, vcc_lo
	scratch_load_b32 v3, off, s32 offset:552 ; 4-byte Folded Reload
	s_waitcnt vmcnt(0)
	v_lshlrev_b32_e32 v2, 5, v3
	v_lshl_or_b32 v3, v3, 7, v20
	v_add_co_u32 v20, vcc_lo, v14, v0
	v_add_co_ci_u32_e32 v21, vcc_lo, v15, v1, vcc_lo
	v_cmp_neq_f32_e32 vcc_lo, 0, v39
	v_add3_u32 v123, s17, v2, v5
	v_add_nc_u32_e32 v124, s1, v3
	s_branch .LBB460_8
.LBB460_7:                              ;   in Loop: Header=BB460_8 Depth=1
	s_or_b32 exec_lo, exec_lo, s2
	scratch_load_b32 v31, off, s32 offset:352 ; 4-byte Folded Reload
	v_and_b32_e32 v28, 0xffff0000, v152
	v_and_b32_e32 v29, 0xffff0000, v127
	v_and_b32_e32 v4, 0xffff0000, v4
	v_and_b32_e32 v38, 0xffff0000, v38
	v_and_b32_e32 v2, 0xffff0000, v2
	v_and_b32_e32 v0, 0xffff0000, v0
	v_and_b32_e32 v5, 0xffff0000, v5
	v_and_b32_e32 v1, 0xffff0000, v1
	v_cmp_lt_i32_e64 s1, v123, v36
	v_add_co_u32 v20, s2, v20, 16
	s_delay_alu instid0(VALU_DEP_1)
	v_add_co_ci_u32_e64 v21, s2, 0, v21, s2
	s_clause 0x1
	scratch_load_b32 v161, off, s32 offset:376
	scratch_load_b32 v162, off, s32 offset:380
	v_add_nc_u32_e32 v126, 4, v126
	s_waitcnt vmcnt(2)
	v_mul_f32_e32 v152, v31, v28
	s_clause 0x1
	scratch_load_b32 v28, off, s32 offset:320
	scratch_load_b32 v31, off, s32 offset:356
	s_waitcnt vmcnt(1)
	v_fmac_f32_e32 v152, v28, v29
	v_and_b32_e32 v28, 0xffff0000, v153
	v_and_b32_e32 v29, 0xffff0000, v137
	s_waitcnt vmcnt(0)
	s_delay_alu instid0(VALU_DEP_2)
	v_mul_f32_e32 v153, v31, v28
	s_clause 0x1
	scratch_load_b32 v28, off, s32 offset:324
	scratch_load_b32 v31, off, s32 offset:360
	s_waitcnt vmcnt(1)
	v_dual_fmac_f32 v153, v28, v29 :: v_dual_and_b32 v28, 0xffff0000, v154
	v_and_b32_e32 v29, 0xffff0000, v138
	s_waitcnt vmcnt(0)
	s_delay_alu instid0(VALU_DEP_2)
	v_mul_f32_e32 v137, v31, v28
	s_clause 0x1
	scratch_load_b32 v28, off, s32 offset:328
	scratch_load_b32 v31, off, s32 offset:364
	s_waitcnt vmcnt(1)
	v_dual_fmac_f32 v137, v28, v29 :: v_dual_and_b32 v28, 0xffff0000, v155
	s_waitcnt vmcnt(0)
	s_delay_alu instid0(VALU_DEP_1)
	v_dual_mul_f32 v136, v31, v28 :: v_dual_and_b32 v29, 0xffff0000, v139
	s_clause 0x1
	scratch_load_b32 v28, off, s32 offset:332
	scratch_load_b32 v31, off, s32 offset:368
	s_waitcnt vmcnt(1)
	v_dual_fmac_f32 v136, v28, v29 :: v_dual_and_b32 v29, 0xffff0000, v140
	v_and_b32_e32 v28, 0xffff0000, v156
	s_waitcnt vmcnt(0)
	s_delay_alu instid0(VALU_DEP_1)
	v_mul_f32_e32 v127, v31, v28
	scratch_load_b32 v28, off, s32 offset:336 ; 4-byte Folded Reload
	v_and_b32_e32 v31, 0xffff0000, v141
	s_waitcnt vmcnt(0)
	v_fmac_f32_e32 v127, v28, v29
	scratch_load_b32 v29, off, s32 offset:372 ; 4-byte Folded Reload
	v_and_b32_e32 v28, 0xffff0000, v157
	s_waitcnt vmcnt(0)
	s_delay_alu instid0(VALU_DEP_1) | instskip(SKIP_3) | instid1(VALU_DEP_1)
	v_mul_f32_e32 v29, v29, v28
	scratch_load_b32 v28, off, s32 offset:340 ; 4-byte Folded Reload
	s_waitcnt vmcnt(0)
	v_dual_fmac_f32 v29, v28, v31 :: v_dual_and_b32 v28, 0xffff0000, v158
	v_dual_mul_f32 v28, v161, v28 :: v_dual_and_b32 v31, 0xffff0000, v142
	scratch_load_b32 v161, off, s32 offset:344 ; 4-byte Folded Reload
	s_waitcnt vmcnt(0)
	v_fmac_f32_e32 v28, v161, v31
	v_and_b32_e32 v31, 0xffff0000, v159
	v_and_b32_e32 v161, 0xffff0000, v143
	s_delay_alu instid0(VALU_DEP_2)
	v_mul_f32_e32 v31, v162, v31
	scratch_load_b32 v162, off, s32 offset:348 ; 4-byte Folded Reload
	s_waitcnt vmcnt(0)
	v_fmac_f32_e32 v31, v162, v161
	scratch_load_b32 v162, off, s32 offset:384 ; 4-byte Folded Reload
	v_and_b32_e32 v161, 0xffff0000, v168
	s_waitcnt vmcnt(0)
	s_delay_alu instid0(VALU_DEP_1) | instskip(SKIP_3) | instid1(VALU_DEP_1)
	v_fmac_f32_e32 v152, v162, v161
	scratch_load_b32 v162, off, s32 offset:388 ; 4-byte Folded Reload
	v_and_b32_e32 v161, 0xffff0000, v169
	s_waitcnt vmcnt(0)
	v_fmac_f32_e32 v153, v162, v161
	scratch_load_b32 v162, off, s32 offset:392 ; 4-byte Folded Reload
	v_and_b32_e32 v161, 0xffff0000, v170
	s_waitcnt vmcnt(0)
	s_delay_alu instid0(VALU_DEP_1) | instskip(SKIP_3) | instid1(VALU_DEP_1)
	v_fmac_f32_e32 v137, v162, v161
	scratch_load_b32 v162, off, s32 offset:396 ; 4-byte Folded Reload
	v_and_b32_e32 v161, 0xffff0000, v171
	;; [unrolled: 9-line block ×7, first 2 shown]
	s_waitcnt vmcnt(0)
	v_fmac_f32_e32 v29, v162, v161
	scratch_load_b32 v162, off, s32 offset:440 ; 4-byte Folded Reload
	v_and_b32_e32 v161, 0xffff0000, v190
	s_waitcnt vmcnt(0)
	s_delay_alu instid0(VALU_DEP_1)
	v_dual_fmac_f32 v28, v162, v161 :: v_dual_and_b32 v161, 0xffff0000, v191
	scratch_load_b32 v162, off, s32 offset:444 ; 4-byte Folded Reload
	s_waitcnt vmcnt(0)
	v_fmac_f32_e32 v31, v162, v161
	scratch_load_b32 v161, off, s32 offset:448 ; 4-byte Folded Reload
	s_waitcnt vmcnt(0)
	v_fmac_f32_e32 v152, v161, v38
	;; [unrolled: 3-line block ×4, first 2 shown]
	scratch_load_b32 v5, off, s32 offset:460 ; 4-byte Folded Reload
	v_and_b32_e32 v4, 0xffff0000, v35
	s_waitcnt vmcnt(0)
	s_delay_alu instid0(VALU_DEP_1) | instskip(SKIP_3) | instid1(VALU_DEP_1)
	v_fmac_f32_e32 v136, v5, v4
	scratch_load_b32 v5, off, s32 offset:464 ; 4-byte Folded Reload
	v_and_b32_e32 v4, 0xffff0000, v23
	s_waitcnt vmcnt(0)
	v_fmac_f32_e32 v127, v5, v4
	scratch_load_b32 v5, off, s32 offset:468 ; 4-byte Folded Reload
	v_and_b32_e32 v4, 0xffff0000, v52
	s_waitcnt vmcnt(0)
	s_delay_alu instid0(VALU_DEP_1) | instskip(SKIP_3) | instid1(VALU_DEP_1)
	v_fmac_f32_e32 v29, v5, v4
	scratch_load_b32 v5, off, s32 offset:472 ; 4-byte Folded Reload
	v_and_b32_e32 v4, 0xffff0000, v12
	s_waitcnt vmcnt(0)
	v_fmac_f32_e32 v28, v5, v4
	;; [unrolled: 9-line block ×4, first 2 shown]
	scratch_load_b32 v4, off, s32 offset:492 ; 4-byte Folded Reload
	s_waitcnt vmcnt(0)
	v_fmac_f32_e32 v136, v4, v2
	v_and_b32_e32 v2, 0xffff0000, v3
	scratch_load_b32 v3, off, s32 offset:496 ; 4-byte Folded Reload
	s_waitcnt vmcnt(0)
	v_fmac_f32_e32 v127, v3, v2
	scratch_load_b32 v3, off, s32 offset:500 ; 4-byte Folded Reload
	v_and_b32_e32 v2, 0xffff0000, v14
	s_waitcnt vmcnt(0)
	s_delay_alu instid0(VALU_DEP_1) | instskip(SKIP_3) | instid1(VALU_DEP_1)
	v_fmac_f32_e32 v29, v3, v2
	scratch_load_b32 v3, off, s32 offset:504 ; 4-byte Folded Reload
	v_and_b32_e32 v2, 0xffff0000, v15
	s_waitcnt vmcnt(0)
	v_fmac_f32_e32 v28, v3, v2
	scratch_load_b32 v3, off, s32 offset:508 ; 4-byte Folded Reload
	v_and_b32_e32 v2, 0xffff0000, v51
	s_waitcnt vmcnt(0)
	s_delay_alu instid0(VALU_DEP_1) | instskip(SKIP_3) | instid1(VALU_DEP_1)
	v_fmac_f32_e32 v31, v3, v2
	scratch_load_b32 v3, off, s32 offset:512 ; 4-byte Folded Reload
	v_and_b32_e32 v2, 0xffff0000, v34
	s_waitcnt vmcnt(0)
	v_fmac_f32_e32 v152, v3, v2
	scratch_load_b32 v3, off, s32 offset:516 ; 4-byte Folded Reload
	v_and_b32_e32 v2, 0xffff0000, v48
	s_waitcnt vmcnt(0)
	s_delay_alu instid0(VALU_DEP_1)
	v_fmac_f32_e32 v153, v3, v2
	scratch_load_b32 v2, off, s32 offset:520 ; 4-byte Folded Reload
	s_waitcnt vmcnt(0)
	v_fmac_f32_e32 v137, v2, v1
	scratch_load_b32 v1, off, s32 offset:524 ; 4-byte Folded Reload
	s_waitcnt vmcnt(0)
	v_fmac_f32_e32 v136, v1, v0
	scratch_load_b32 v1, off, s32 offset:528 ; 4-byte Folded Reload
	v_and_b32_e32 v0, 0xffff0000, v27
	s_waitcnt vmcnt(0)
	s_delay_alu instid0(VALU_DEP_1) | instskip(SKIP_3) | instid1(VALU_DEP_1)
	v_fmac_f32_e32 v127, v1, v0
	scratch_load_b32 v1, off, s32 offset:532 ; 4-byte Folded Reload
	v_and_b32_e32 v0, 0xffff0000, v26
	s_waitcnt vmcnt(0)
	v_fmac_f32_e32 v29, v1, v0
	scratch_load_b32 v1, off, s32 offset:536 ; 4-byte Folded Reload
	v_and_b32_e32 v0, 0xffff0000, v49
	s_waitcnt vmcnt(0)
	s_delay_alu instid0(VALU_DEP_1) | instskip(SKIP_3) | instid1(VALU_DEP_1)
	v_fmac_f32_e32 v28, v1, v0
	scratch_load_b32 v1, off, s32 offset:540 ; 4-byte Folded Reload
	v_and_b32_e32 v0, 0xffff0000, v50
	s_waitcnt vmcnt(0)
	v_fmac_f32_e32 v31, v1, v0
	scratch_load_b32 v1, off, s32 offset:544 ; 4-byte Folded Reload
	v_and_b32_e32 v0, 0xffff0000, v53
	s_waitcnt vmcnt(0)
	s_delay_alu instid0(VALU_DEP_1) | instskip(SKIP_2) | instid1(VALU_DEP_2)
	v_fmac_f32_e32 v152, v1, v0
	v_and_b32_e32 v0, 0xffff0000, v54
	v_and_b32_e32 v1, 0xffff0000, v115
	v_dual_fmac_f32 v153, v163, v0 :: v_dual_and_b32 v0, 0xffff0000, v55
	s_delay_alu instid0(VALU_DEP_1) | instskip(SKIP_1) | instid1(VALU_DEP_1)
	v_fmac_f32_e32 v137, v164, v0
	v_and_b32_e32 v0, 0xffff0000, v64
	v_fmac_f32_e32 v136, v165, v0
	v_and_b32_e32 v0, 0xffff0000, v65
	s_delay_alu instid0(VALU_DEP_1) | instskip(NEXT) | instid1(VALU_DEP_1)
	v_dual_fmac_f32 v127, v166, v0 :: v_dual_and_b32 v0, 0xffff0000, v66
	v_dual_fmac_f32 v29, v167, v0 :: v_dual_and_b32 v0, 0xffff0000, v67
	s_delay_alu instid0(VALU_DEP_1) | instskip(SKIP_1) | instid1(VALU_DEP_1)
	v_fmac_f32_e32 v28, v176, v0
	v_and_b32_e32 v0, 0xffff0000, v68
	v_dual_fmac_f32 v31, v177, v0 :: v_dual_and_b32 v0, 0xffff0000, v69
	s_delay_alu instid0(VALU_DEP_1) | instskip(SKIP_1) | instid1(VALU_DEP_1)
	v_fmac_f32_e32 v152, v178, v0
	v_and_b32_e32 v0, 0xffff0000, v70
	;; [unrolled: 4-line block ×3, first 2 shown]
	v_fmac_f32_e32 v136, v181, v0
	v_and_b32_e32 v0, 0xffff0000, v81
	s_delay_alu instid0(VALU_DEP_1) | instskip(NEXT) | instid1(VALU_DEP_1)
	v_dual_fmac_f32 v127, v182, v0 :: v_dual_and_b32 v0, 0xffff0000, v82
	v_dual_fmac_f32 v29, v183, v0 :: v_dual_and_b32 v0, 0xffff0000, v83
	s_delay_alu instid0(VALU_DEP_1) | instskip(SKIP_1) | instid1(VALU_DEP_1)
	v_fmac_f32_e32 v28, v40, v0
	v_and_b32_e32 v0, 0xffff0000, v84
	v_dual_fmac_f32 v31, v41, v0 :: v_dual_and_b32 v0, 0xffff0000, v85
	s_delay_alu instid0(VALU_DEP_1) | instskip(SKIP_1) | instid1(VALU_DEP_1)
	v_fmac_f32_e32 v152, v42, v0
	v_and_b32_e32 v0, 0xffff0000, v86
	;; [unrolled: 4-line block ×3, first 2 shown]
	v_fmac_f32_e32 v136, v45, v0
	v_and_b32_e32 v0, 0xffff0000, v97
	s_delay_alu instid0(VALU_DEP_1) | instskip(NEXT) | instid1(VALU_DEP_1)
	v_dual_fmac_f32 v127, v46, v0 :: v_dual_and_b32 v0, 0xffff0000, v101
	v_fmac_f32_e32 v152, v58, v0
	v_and_b32_e32 v0, 0xffff0000, v102
	s_delay_alu instid0(VALU_DEP_1) | instskip(NEXT) | instid1(VALU_DEP_1)
	v_dual_fmac_f32 v153, v59, v0 :: v_dual_and_b32 v0, 0xffff0000, v98
	v_dual_fmac_f32 v29, v47, v0 :: v_dual_and_b32 v0, 0xffff0000, v99
	s_delay_alu instid0(VALU_DEP_1) | instskip(SKIP_1) | instid1(VALU_DEP_2)
	v_fmac_f32_e32 v28, v56, v0
	v_and_b32_e32 v0, 0xffff0000, v103
	v_fmac_f32_e32 v28, v72, v1
	s_delay_alu instid0(VALU_DEP_2) | instskip(NEXT) | instid1(VALU_DEP_1)
	v_dual_fmac_f32 v137, v60, v0 :: v_dual_and_b32 v0, 0xffff0000, v117
	v_dual_fmac_f32 v152, v74, v0 :: v_dual_and_b32 v1, 0xffff0000, v130
	v_and_b32_e32 v0, 0xffff0000, v118
	s_delay_alu instid0(VALU_DEP_1) | instskip(SKIP_1) | instid1(VALU_DEP_1)
	v_fmac_f32_e32 v153, v75, v0
	v_and_b32_e32 v0, 0xffff0000, v100
	v_fmac_f32_e32 v31, v57, v0
	v_and_b32_e32 v0, 0xffff0000, v112
	s_delay_alu instid0(VALU_DEP_1) | instskip(SKIP_1) | instid1(VALU_DEP_1)
	v_fmac_f32_e32 v136, v61, v0
	v_and_b32_e32 v0, 0xffff0000, v119
	v_dual_fmac_f32 v137, v76, v0 :: v_dual_and_b32 v0, 0xffff0000, v133
	s_delay_alu instid0(VALU_DEP_1) | instskip(SKIP_1) | instid1(VALU_DEP_1)
	v_fmac_f32_e32 v152, v90, v0
	v_and_b32_e32 v0, 0xffff0000, v134
	v_dual_fmac_f32 v153, v91, v0 :: v_dual_and_b32 v0, 0xffff0000, v113
	s_delay_alu instid0(VALU_DEP_1) | instskip(SKIP_1) | instid1(VALU_DEP_1)
	v_fmac_f32_e32 v127, v62, v0
	v_and_b32_e32 v0, 0xffff0000, v128
	v_fmac_f32_e32 v136, v77, v0
	v_and_b32_e32 v0, 0xffff0000, v135
	s_delay_alu instid0(VALU_DEP_1) | instskip(NEXT) | instid1(VALU_DEP_1)
	v_dual_fmac_f32 v137, v92, v0 :: v_dual_and_b32 v0, 0xffff0000, v147
	v_fmac_f32_e32 v152, v106, v0
	v_and_b32_e32 v0, 0xffff0000, v148
	s_delay_alu instid0(VALU_DEP_1) | instskip(NEXT) | instid1(VALU_DEP_1)
	v_dual_fmac_f32 v153, v107, v0 :: v_dual_and_b32 v0, 0xffff0000, v114
	v_dual_fmac_f32 v29, v63, v0 :: v_dual_and_b32 v0, 0xffff0000, v129
	s_delay_alu instid0(VALU_DEP_1) | instskip(NEXT) | instid1(VALU_DEP_2)
	v_fmac_f32_e32 v29, v79, v1
	v_fmac_f32_e32 v127, v78, v0
	v_and_b32_e32 v0, 0xffff0000, v144
	s_delay_alu instid0(VALU_DEP_1) | instskip(SKIP_1) | instid1(VALU_DEP_2)
	v_dual_fmac_f32 v136, v93, v0 :: v_dual_and_b32 v1, 0xffff0000, v145
	v_and_b32_e32 v0, 0xffff0000, v149
	v_fmac_f32_e32 v127, v94, v1
	v_and_b32_e32 v1, 0xffff0000, v150
	s_delay_alu instid0(VALU_DEP_1) | instskip(SKIP_1) | instid1(VALU_DEP_1)
	v_dual_fmac_f32 v137, v108, v0 :: v_dual_fmac_f32 v136, v109, v1
	v_and_b32_e32 v1, 0xffff0000, v116
	v_fmac_f32_e32 v31, v73, v1
	v_and_b32_e32 v1, 0xffff0000, v131
	s_delay_alu instid0(VALU_DEP_1) | instskip(NEXT) | instid1(VALU_DEP_1)
	v_dual_fmac_f32 v28, v88, v1 :: v_dual_and_b32 v1, 0xffff0000, v146
	v_fmac_f32_e32 v29, v95, v1
	v_dual_add_f32 v0, v152, v153 :: v_dual_and_b32 v1, 0xffff0000, v151
	s_delay_alu instid0(VALU_DEP_1) | instskip(NEXT) | instid1(VALU_DEP_2)
	v_fmac_f32_e32 v127, v110, v1
	v_dual_add_f32 v0, v0, v137 :: v_dual_and_b32 v1, 0xffff0000, v132
	s_delay_alu instid0(VALU_DEP_1) | instskip(SKIP_1) | instid1(VALU_DEP_1)
	v_dual_add_f32 v0, v136, v0 :: v_dual_fmac_f32 v31, v89, v1
	v_and_b32_e32 v1, 0xffff0000, v32
	v_dual_fmac_f32 v28, v104, v1 :: v_dual_and_b32 v1, 0xffff0000, v160
	s_delay_alu instid0(VALU_DEP_1) | instskip(SKIP_1) | instid1(VALU_DEP_1)
	v_fmac_f32_e32 v29, v111, v1
	v_and_b32_e32 v1, 0xffff0000, v33
	v_fmac_f32_e32 v31, v105, v1
	v_dual_add_f32 v0, v127, v0 :: v_dual_and_b32 v1, 0xffff0000, v30
	s_delay_alu instid0(VALU_DEP_1) | instskip(NEXT) | instid1(VALU_DEP_1)
	v_dual_fmac_f32 v28, v121, v1 :: v_dual_and_b32 v1, 0xffff0000, v18
	v_dual_add_f32 v0, v29, v0 :: v_dual_fmac_f32 v31, v122, v1
	v_add_nc_u32_e32 v1, v125, v123
	s_delay_alu instid0(VALU_DEP_2) | instskip(NEXT) | instid1(VALU_DEP_2)
	v_dual_add_f32 v0, v28, v0 :: v_dual_add_nc_u32 v123, 0x80, v123
	v_cvt_f32_i32_e32 v1, v1
	s_delay_alu instid0(VALU_DEP_2) | instskip(NEXT) | instid1(VALU_DEP_2)
	v_add_f32_e32 v0, v31, v0
	v_mul_f32_e32 v1, v39, v1
	s_delay_alu instid0(VALU_DEP_1) | instskip(NEXT) | instid1(VALU_DEP_1)
	v_cndmask_b32_e32 v1, 0, v1, vcc_lo
	v_fmac_f32_e32 v1, v0, v13
	v_max_f32_e32 v0, v120, v120
	s_delay_alu instid0(VALU_DEP_1) | instskip(SKIP_1) | instid1(VALU_DEP_2)
	v_max_f32_e32 v0, v0, v1
	v_cndmask_b32_e64 v1, 0, v1, s1
	v_cndmask_b32_e64 v120, v120, v0, s1
	v_cmp_ge_i32_e64 s1, v126, v37
	ds_store_b32 v124, v1
	v_add_nc_u32_e32 v124, 0x200, v124
	s_or_b32 s11, s1, s11
	s_delay_alu instid0(SALU_CYCLE_1)
	s_and_not1_b32 exec_lo, exec_lo, s11
	s_cbranch_execz .LBB460_1352
.LBB460_8:                              ; =>This Inner Loop Header: Depth=1
	flat_load_b32 v0, v[20:21]
	s_mov_b32 s2, exec_lo
	s_waitcnt vmcnt(0) lgkmcnt(0)
	v_mad_i64_i32 v[28:29], null, v0, v22, v[8:9]
	flat_load_b64 v[30:31], v[28:29]
	flat_load_b32 v136, v[24:25]
	s_waitcnt vmcnt(1) lgkmcnt(1)
	v_dual_mov_b32 v0, 0 :: v_dual_and_b32 v1, 0xff, v30
	s_delay_alu instid0(VALU_DEP_1)
	v_cmpx_ne_u16_e32 0, v1
	s_cbranch_execz .LBB460_16
; %bb.9:                                ;   in Loop: Header=BB460_8 Depth=1
	v_bfrev_b32_e32 v0, 1
	s_mov_b32 s18, exec_lo
	v_cmpx_ne_u16_e32 0x80, v1
	s_cbranch_execz .LBB460_15
; %bb.10:                               ;   in Loop: Header=BB460_8 Depth=1
	v_and_b32_e32 v1, 0x7f, v30
	v_mov_b32_e32 v0, 0x7f800001
	s_mov_b32 s19, exec_lo
	s_delay_alu instid0(VALU_DEP_2)
	v_cmpx_ne_u32_e32 0x7f, v1
	s_cbranch_execz .LBB460_14
; %bb.11:                               ;   in Loop: Header=BB460_8 Depth=1
	v_lshrrev_b32_e32 v0, 3, v1
	v_dual_mov_b32 v33, v31 :: v_dual_mov_b32 v32, v30
	s_mov_b32 s20, exec_lo
	v_cmpx_gt_u32_e32 8, v1
; %bb.12:                               ;   in Loop: Header=BB460_8 Depth=1
	v_and_b32_e32 v0, 7, v30
	s_delay_alu instid0(VALU_DEP_1) | instskip(NEXT) | instid1(VALU_DEP_1)
	v_clz_i32_u32_e32 v0, v0
	v_min_u32_e32 v0, 32, v0
	s_delay_alu instid0(VALU_DEP_1) | instskip(SKIP_1) | instid1(VALU_DEP_2)
	v_subrev_nc_u32_e32 v1, 28, v0
	v_sub_nc_u32_e32 v0, 29, v0
	v_lshlrev_b64 v[32:33], v1, v[30:31]
; %bb.13:                               ;   in Loop: Header=BB460_8 Depth=1
	s_or_b32 exec_lo, exec_lo, s20
	s_delay_alu instid0(VALU_DEP_1) | instskip(SKIP_2) | instid1(VALU_DEP_3)
	v_lshlrev_b32_e32 v1, 20, v32
	v_lshlrev_b32_e32 v2, 24, v30
	v_lshl_add_u32 v0, v0, 23, 0x3c000000
	v_and_b32_e32 v1, 0x700000, v1
	s_delay_alu instid0(VALU_DEP_3) | instskip(NEXT) | instid1(VALU_DEP_1)
	v_and_b32_e32 v2, 0x80000000, v2
	v_or3_b32 v0, v1, v2, v0
.LBB460_14:                             ;   in Loop: Header=BB460_8 Depth=1
	s_or_b32 exec_lo, exec_lo, s19
.LBB460_15:                             ;   in Loop: Header=BB460_8 Depth=1
	s_delay_alu instid0(SALU_CYCLE_1)
	s_or_b32 exec_lo, exec_lo, s18
.LBB460_16:                             ;   in Loop: Header=BB460_8 Depth=1
	s_delay_alu instid0(SALU_CYCLE_1) | instskip(SKIP_2) | instid1(VALU_DEP_1)
	s_or_b32 exec_lo, exec_lo, s2
	s_waitcnt vmcnt(0) lgkmcnt(0)
	v_mul_f32_e32 v0, v136, v0
                                        ; implicit-def: $vgpr127
	v_and_b32_e32 v1, 0x7f800000, v0
	s_delay_alu instid0(VALU_DEP_1) | instskip(NEXT) | instid1(VALU_DEP_1)
	v_cmp_ne_u32_e64 s1, 0x7f800000, v1
	s_and_saveexec_b32 s2, s1
	s_delay_alu instid0(SALU_CYCLE_1)
	s_xor_b32 s1, exec_lo, s2
; %bb.17:                               ;   in Loop: Header=BB460_8 Depth=1
	v_bfe_u32 v1, v0, 16, 1
	s_delay_alu instid0(VALU_DEP_1)
	v_add3_u32 v127, v0, v1, 0x7fff
                                        ; implicit-def: $vgpr0
; %bb.18:                               ;   in Loop: Header=BB460_8 Depth=1
	s_and_not1_saveexec_b32 s2, s1
; %bb.19:                               ;   in Loop: Header=BB460_8 Depth=1
	v_and_b32_e32 v1, 0xffff, v0
	v_or_b32_e32 v2, 0x10000, v0
	s_delay_alu instid0(VALU_DEP_2) | instskip(NEXT) | instid1(VALU_DEP_1)
	v_cmp_eq_u32_e64 s1, 0, v1
	v_cndmask_b32_e64 v127, v2, v0, s1
; %bb.20:                               ;   in Loop: Header=BB460_8 Depth=1
	s_or_b32 exec_lo, exec_lo, s2
	v_lshrrev_b16 v1, 8, v30
	v_mov_b32_e32 v0, 0
	s_mov_b32 s2, exec_lo
	s_delay_alu instid0(VALU_DEP_2)
	v_cmpx_ne_u16_e32 0, v1
	s_cbranch_execz .LBB460_28
; %bb.21:                               ;   in Loop: Header=BB460_8 Depth=1
	v_bfrev_b32_e32 v0, 1
	s_mov_b32 s18, exec_lo
	v_cmpx_ne_u16_e32 0x80, v1
	s_cbranch_execz .LBB460_27
; %bb.22:                               ;   in Loop: Header=BB460_8 Depth=1
	v_and_b32_e32 v2, 0xffff, v1
	v_mov_b32_e32 v0, 0x7f800001
	s_mov_b32 s19, exec_lo
	s_delay_alu instid0(VALU_DEP_2) | instskip(NEXT) | instid1(VALU_DEP_1)
	v_and_b32_e32 v1, 0x7f, v2
	v_cmpx_ne_u32_e32 0x7f, v1
	s_cbranch_execz .LBB460_26
; %bb.23:                               ;   in Loop: Header=BB460_8 Depth=1
	v_and_b32_e32 v18, 7, v2
	v_lshrrev_b32_e32 v0, 3, v1
	s_mov_b32 s20, exec_lo
	v_cmpx_gt_u32_e32 8, v1
; %bb.24:                               ;   in Loop: Header=BB460_8 Depth=1
	s_delay_alu instid0(VALU_DEP_3) | instskip(NEXT) | instid1(VALU_DEP_1)
	v_clz_i32_u32_e32 v0, v18
	v_min_u32_e32 v0, 32, v0
	s_delay_alu instid0(VALU_DEP_1) | instskip(SKIP_1) | instid1(VALU_DEP_2)
	v_subrev_nc_u32_e32 v1, 28, v0
	v_sub_nc_u32_e32 v0, 29, v0
	v_lshlrev_b64 v[1:2], v1, v[18:19]
	s_delay_alu instid0(VALU_DEP_1)
	v_and_b32_e32 v18, 7, v1
; %bb.25:                               ;   in Loop: Header=BB460_8 Depth=1
	s_or_b32 exec_lo, exec_lo, s20
	v_lshlrev_b32_e32 v1, 16, v30
	s_delay_alu instid0(VALU_DEP_2) | instskip(SKIP_1) | instid1(VALU_DEP_3)
	v_lshlrev_b32_e32 v2, 20, v18
	v_lshl_add_u32 v0, v0, 23, 0x3c000000
	v_and_b32_e32 v1, 0x80000000, v1
	s_delay_alu instid0(VALU_DEP_1)
	v_or3_b32 v0, v2, v1, v0
.LBB460_26:                             ;   in Loop: Header=BB460_8 Depth=1
	s_or_b32 exec_lo, exec_lo, s19
.LBB460_27:                             ;   in Loop: Header=BB460_8 Depth=1
	s_delay_alu instid0(SALU_CYCLE_1)
	s_or_b32 exec_lo, exec_lo, s18
.LBB460_28:                             ;   in Loop: Header=BB460_8 Depth=1
	s_delay_alu instid0(SALU_CYCLE_1) | instskip(NEXT) | instid1(VALU_DEP_1)
	s_or_b32 exec_lo, exec_lo, s2
	v_mul_f32_e32 v0, v136, v0
                                        ; implicit-def: $vgpr137
	s_delay_alu instid0(VALU_DEP_1) | instskip(NEXT) | instid1(VALU_DEP_1)
	v_and_b32_e32 v1, 0x7f800000, v0
	v_cmp_ne_u32_e64 s1, 0x7f800000, v1
	s_delay_alu instid0(VALU_DEP_1) | instskip(NEXT) | instid1(SALU_CYCLE_1)
	s_and_saveexec_b32 s2, s1
	s_xor_b32 s1, exec_lo, s2
; %bb.29:                               ;   in Loop: Header=BB460_8 Depth=1
	v_bfe_u32 v1, v0, 16, 1
	s_delay_alu instid0(VALU_DEP_1)
	v_add3_u32 v137, v0, v1, 0x7fff
                                        ; implicit-def: $vgpr0
; %bb.30:                               ;   in Loop: Header=BB460_8 Depth=1
	s_and_not1_saveexec_b32 s2, s1
; %bb.31:                               ;   in Loop: Header=BB460_8 Depth=1
	v_and_b32_e32 v1, 0xffff, v0
	v_or_b32_e32 v2, 0x10000, v0
	s_delay_alu instid0(VALU_DEP_2) | instskip(NEXT) | instid1(VALU_DEP_1)
	v_cmp_eq_u32_e64 s1, 0, v1
	v_cndmask_b32_e64 v137, v2, v0, s1
; %bb.32:                               ;   in Loop: Header=BB460_8 Depth=1
	s_or_b32 exec_lo, exec_lo, s2
	v_lshrrev_b32_e32 v0, 16, v30
	s_mov_b32 s2, exec_lo
	s_delay_alu instid0(VALU_DEP_1) | instskip(NEXT) | instid1(VALU_DEP_1)
	v_dual_mov_b32 v1, 0 :: v_dual_and_b32 v2, 0xff, v0
	v_cmpx_ne_u16_e32 0, v2
	s_cbranch_execz .LBB460_40
; %bb.33:                               ;   in Loop: Header=BB460_8 Depth=1
	v_bfrev_b32_e32 v1, 1
	s_mov_b32 s18, exec_lo
	v_cmpx_ne_u16_e32 0x80, v2
	s_cbranch_execz .LBB460_39
; %bb.34:                               ;   in Loop: Header=BB460_8 Depth=1
	v_bfe_u32 v2, v30, 16, 7
	v_mov_b32_e32 v1, 0x7f800001
	s_mov_b32 s19, exec_lo
	s_delay_alu instid0(VALU_DEP_2)
	v_cmpx_ne_u32_e32 0x7f, v2
	s_cbranch_execz .LBB460_38
; %bb.35:                               ;   in Loop: Header=BB460_8 Depth=1
	v_and_b32_e32 v18, 7, v0
	v_lshrrev_b32_e32 v1, 3, v2
	s_mov_b32 s20, exec_lo
	v_cmpx_gt_u32_e32 8, v2
; %bb.36:                               ;   in Loop: Header=BB460_8 Depth=1
	s_delay_alu instid0(VALU_DEP_3) | instskip(NEXT) | instid1(VALU_DEP_1)
	v_clz_i32_u32_e32 v1, v18
	v_min_u32_e32 v1, 32, v1
	s_delay_alu instid0(VALU_DEP_1) | instskip(SKIP_1) | instid1(VALU_DEP_2)
	v_subrev_nc_u32_e32 v2, 28, v1
	v_sub_nc_u32_e32 v1, 29, v1
	v_lshlrev_b64 v[2:3], v2, v[18:19]
	s_delay_alu instid0(VALU_DEP_1)
	v_and_b32_e32 v18, 7, v2
; %bb.37:                               ;   in Loop: Header=BB460_8 Depth=1
	s_or_b32 exec_lo, exec_lo, s20
	v_lshlrev_b32_e32 v0, 24, v0
	s_delay_alu instid0(VALU_DEP_2) | instskip(SKIP_1) | instid1(VALU_DEP_3)
	v_lshlrev_b32_e32 v2, 20, v18
	v_lshl_add_u32 v1, v1, 23, 0x3c000000
	v_and_b32_e32 v0, 0x80000000, v0
	s_delay_alu instid0(VALU_DEP_1)
	v_or3_b32 v1, v2, v0, v1
.LBB460_38:                             ;   in Loop: Header=BB460_8 Depth=1
	s_or_b32 exec_lo, exec_lo, s19
.LBB460_39:                             ;   in Loop: Header=BB460_8 Depth=1
	s_delay_alu instid0(SALU_CYCLE_1)
	s_or_b32 exec_lo, exec_lo, s18
.LBB460_40:                             ;   in Loop: Header=BB460_8 Depth=1
	s_delay_alu instid0(SALU_CYCLE_1) | instskip(NEXT) | instid1(VALU_DEP_1)
	s_or_b32 exec_lo, exec_lo, s2
	v_mul_f32_e32 v0, v136, v1
                                        ; implicit-def: $vgpr138
	s_delay_alu instid0(VALU_DEP_1) | instskip(NEXT) | instid1(VALU_DEP_1)
	v_and_b32_e32 v1, 0x7f800000, v0
	v_cmp_ne_u32_e64 s1, 0x7f800000, v1
	s_delay_alu instid0(VALU_DEP_1) | instskip(NEXT) | instid1(SALU_CYCLE_1)
	s_and_saveexec_b32 s2, s1
	s_xor_b32 s1, exec_lo, s2
; %bb.41:                               ;   in Loop: Header=BB460_8 Depth=1
	v_bfe_u32 v1, v0, 16, 1
	s_delay_alu instid0(VALU_DEP_1)
	v_add3_u32 v138, v0, v1, 0x7fff
                                        ; implicit-def: $vgpr0
; %bb.42:                               ;   in Loop: Header=BB460_8 Depth=1
	s_and_not1_saveexec_b32 s2, s1
; %bb.43:                               ;   in Loop: Header=BB460_8 Depth=1
	v_and_b32_e32 v1, 0xffff, v0
	v_or_b32_e32 v2, 0x10000, v0
	s_delay_alu instid0(VALU_DEP_2) | instskip(NEXT) | instid1(VALU_DEP_1)
	v_cmp_eq_u32_e64 s1, 0, v1
	v_cndmask_b32_e64 v138, v2, v0, s1
; %bb.44:                               ;   in Loop: Header=BB460_8 Depth=1
	s_or_b32 exec_lo, exec_lo, s2
	v_mov_b32_e32 v1, 0
	s_mov_b32 s2, exec_lo
	v_cmpx_lt_u32_e32 0xffffff, v30
	s_cbranch_execz .LBB460_52
; %bb.45:                               ;   in Loop: Header=BB460_8 Depth=1
	v_lshrrev_b32_e32 v0, 24, v30
	v_bfrev_b32_e32 v1, 1
	s_mov_b32 s18, exec_lo
	s_delay_alu instid0(VALU_DEP_2)
	v_cmpx_ne_u32_e32 0x80, v0
	s_cbranch_execz .LBB460_51
; %bb.46:                               ;   in Loop: Header=BB460_8 Depth=1
	v_bfe_u32 v2, v30, 24, 7
	v_mov_b32_e32 v1, 0x7f800001
	s_mov_b32 s19, exec_lo
	s_delay_alu instid0(VALU_DEP_2)
	v_cmpx_ne_u32_e32 0x7f, v2
	s_cbranch_execz .LBB460_50
; %bb.47:                               ;   in Loop: Header=BB460_8 Depth=1
	v_and_b32_e32 v18, 7, v0
	v_lshrrev_b32_e32 v1, 3, v2
	s_mov_b32 s20, exec_lo
	v_cmpx_gt_u32_e32 8, v2
; %bb.48:                               ;   in Loop: Header=BB460_8 Depth=1
	s_delay_alu instid0(VALU_DEP_3) | instskip(NEXT) | instid1(VALU_DEP_1)
	v_clz_i32_u32_e32 v1, v18
	v_min_u32_e32 v1, 32, v1
	s_delay_alu instid0(VALU_DEP_1) | instskip(SKIP_1) | instid1(VALU_DEP_2)
	v_subrev_nc_u32_e32 v2, 28, v1
	v_sub_nc_u32_e32 v1, 29, v1
	v_lshlrev_b64 v[2:3], v2, v[18:19]
	s_delay_alu instid0(VALU_DEP_1)
	v_and_b32_e32 v18, 7, v2
; %bb.49:                               ;   in Loop: Header=BB460_8 Depth=1
	s_or_b32 exec_lo, exec_lo, s20
	v_lshlrev_b32_e32 v0, 24, v0
	s_delay_alu instid0(VALU_DEP_2) | instskip(SKIP_1) | instid1(VALU_DEP_3)
	v_lshlrev_b32_e32 v2, 20, v18
	v_lshl_add_u32 v1, v1, 23, 0x3c000000
	v_and_b32_e32 v0, 0x80000000, v0
	s_delay_alu instid0(VALU_DEP_1)
	v_or3_b32 v1, v2, v0, v1
.LBB460_50:                             ;   in Loop: Header=BB460_8 Depth=1
	s_or_b32 exec_lo, exec_lo, s19
.LBB460_51:                             ;   in Loop: Header=BB460_8 Depth=1
	s_delay_alu instid0(SALU_CYCLE_1)
	s_or_b32 exec_lo, exec_lo, s18
.LBB460_52:                             ;   in Loop: Header=BB460_8 Depth=1
	s_delay_alu instid0(SALU_CYCLE_1) | instskip(NEXT) | instid1(VALU_DEP_1)
	s_or_b32 exec_lo, exec_lo, s2
	v_mul_f32_e32 v0, v136, v1
                                        ; implicit-def: $vgpr139
	s_delay_alu instid0(VALU_DEP_1) | instskip(NEXT) | instid1(VALU_DEP_1)
	v_and_b32_e32 v1, 0x7f800000, v0
	v_cmp_ne_u32_e64 s1, 0x7f800000, v1
	s_delay_alu instid0(VALU_DEP_1) | instskip(NEXT) | instid1(SALU_CYCLE_1)
	s_and_saveexec_b32 s2, s1
	s_xor_b32 s1, exec_lo, s2
; %bb.53:                               ;   in Loop: Header=BB460_8 Depth=1
	v_bfe_u32 v1, v0, 16, 1
	s_delay_alu instid0(VALU_DEP_1)
	v_add3_u32 v139, v0, v1, 0x7fff
                                        ; implicit-def: $vgpr0
; %bb.54:                               ;   in Loop: Header=BB460_8 Depth=1
	s_and_not1_saveexec_b32 s2, s1
; %bb.55:                               ;   in Loop: Header=BB460_8 Depth=1
	v_and_b32_e32 v1, 0xffff, v0
	v_or_b32_e32 v2, 0x10000, v0
	s_delay_alu instid0(VALU_DEP_2) | instskip(NEXT) | instid1(VALU_DEP_1)
	v_cmp_eq_u32_e64 s1, 0, v1
	v_cndmask_b32_e64 v139, v2, v0, s1
; %bb.56:                               ;   in Loop: Header=BB460_8 Depth=1
	s_or_b32 exec_lo, exec_lo, s2
	v_dual_mov_b32 v18, v31 :: v_dual_and_b32 v1, 0xff, v31
	v_mov_b32_e32 v0, 0
	s_mov_b32 s2, exec_lo
	s_delay_alu instid0(VALU_DEP_2)
	v_cmpx_ne_u16_e32 0, v1
	s_cbranch_execz .LBB460_64
; %bb.57:                               ;   in Loop: Header=BB460_8 Depth=1
	v_bfrev_b32_e32 v0, 1
	s_mov_b32 s18, exec_lo
	v_cmpx_ne_u16_e32 0x80, v1
	s_cbranch_execz .LBB460_63
; %bb.58:                               ;   in Loop: Header=BB460_8 Depth=1
	v_and_b32_e32 v1, 0x7f, v31
	v_mov_b32_e32 v0, 0x7f800001
	s_mov_b32 s19, exec_lo
	s_delay_alu instid0(VALU_DEP_2)
	v_cmpx_ne_u32_e32 0x7f, v1
	s_cbranch_execz .LBB460_62
; %bb.59:                               ;   in Loop: Header=BB460_8 Depth=1
	v_lshrrev_b32_e32 v0, 3, v1
	v_dual_mov_b32 v33, v19 :: v_dual_mov_b32 v32, v18
	s_mov_b32 s20, exec_lo
	v_cmpx_gt_u32_e32 8, v1
; %bb.60:                               ;   in Loop: Header=BB460_8 Depth=1
	v_and_b32_e32 v0, 7, v31
	s_delay_alu instid0(VALU_DEP_1) | instskip(NEXT) | instid1(VALU_DEP_1)
	v_clz_i32_u32_e32 v0, v0
	v_min_u32_e32 v0, 32, v0
	s_delay_alu instid0(VALU_DEP_1) | instskip(SKIP_1) | instid1(VALU_DEP_2)
	v_subrev_nc_u32_e32 v1, 28, v0
	v_sub_nc_u32_e32 v0, 29, v0
	v_lshlrev_b64 v[32:33], v1, v[18:19]
; %bb.61:                               ;   in Loop: Header=BB460_8 Depth=1
	s_or_b32 exec_lo, exec_lo, s20
	s_delay_alu instid0(VALU_DEP_1) | instskip(SKIP_2) | instid1(VALU_DEP_3)
	v_lshlrev_b32_e32 v1, 20, v32
	v_lshlrev_b32_e32 v2, 24, v18
	v_lshl_add_u32 v0, v0, 23, 0x3c000000
	v_and_b32_e32 v1, 0x700000, v1
	s_delay_alu instid0(VALU_DEP_3) | instskip(NEXT) | instid1(VALU_DEP_1)
	v_and_b32_e32 v2, 0x80000000, v2
	v_or3_b32 v0, v1, v2, v0
.LBB460_62:                             ;   in Loop: Header=BB460_8 Depth=1
	s_or_b32 exec_lo, exec_lo, s19
.LBB460_63:                             ;   in Loop: Header=BB460_8 Depth=1
	s_delay_alu instid0(SALU_CYCLE_1)
	s_or_b32 exec_lo, exec_lo, s18
.LBB460_64:                             ;   in Loop: Header=BB460_8 Depth=1
	s_delay_alu instid0(SALU_CYCLE_1) | instskip(NEXT) | instid1(VALU_DEP_1)
	s_or_b32 exec_lo, exec_lo, s2
	v_mul_f32_e32 v0, v136, v0
                                        ; implicit-def: $vgpr140
	s_delay_alu instid0(VALU_DEP_1) | instskip(NEXT) | instid1(VALU_DEP_1)
	v_and_b32_e32 v1, 0x7f800000, v0
	v_cmp_ne_u32_e64 s1, 0x7f800000, v1
	s_delay_alu instid0(VALU_DEP_1) | instskip(NEXT) | instid1(SALU_CYCLE_1)
	s_and_saveexec_b32 s2, s1
	s_xor_b32 s1, exec_lo, s2
; %bb.65:                               ;   in Loop: Header=BB460_8 Depth=1
	v_bfe_u32 v1, v0, 16, 1
	s_delay_alu instid0(VALU_DEP_1)
	v_add3_u32 v140, v0, v1, 0x7fff
                                        ; implicit-def: $vgpr0
; %bb.66:                               ;   in Loop: Header=BB460_8 Depth=1
	s_and_not1_saveexec_b32 s2, s1
; %bb.67:                               ;   in Loop: Header=BB460_8 Depth=1
	v_and_b32_e32 v1, 0xffff, v0
	v_or_b32_e32 v2, 0x10000, v0
	s_delay_alu instid0(VALU_DEP_2) | instskip(NEXT) | instid1(VALU_DEP_1)
	v_cmp_eq_u32_e64 s1, 0, v1
	v_cndmask_b32_e64 v140, v2, v0, s1
; %bb.68:                               ;   in Loop: Header=BB460_8 Depth=1
	s_or_b32 exec_lo, exec_lo, s2
	v_lshrrev_b16 v1, 8, v18
	v_mov_b32_e32 v0, 0
	s_mov_b32 s2, exec_lo
	s_delay_alu instid0(VALU_DEP_2)
	v_cmpx_ne_u16_e32 0, v1
	s_cbranch_execz .LBB460_76
; %bb.69:                               ;   in Loop: Header=BB460_8 Depth=1
	v_bfrev_b32_e32 v0, 1
	s_mov_b32 s18, exec_lo
	v_cmpx_ne_u16_e32 0x80, v1
	s_cbranch_execz .LBB460_75
; %bb.70:                               ;   in Loop: Header=BB460_8 Depth=1
	v_and_b32_e32 v2, 0xffff, v1
	v_mov_b32_e32 v0, 0x7f800001
	s_mov_b32 s19, exec_lo
	s_delay_alu instid0(VALU_DEP_2) | instskip(NEXT) | instid1(VALU_DEP_1)
	v_and_b32_e32 v1, 0x7f, v2
	v_cmpx_ne_u32_e32 0x7f, v1
	s_cbranch_execz .LBB460_74
; %bb.71:                               ;   in Loop: Header=BB460_8 Depth=1
	v_dual_mov_b32 v33, v19 :: v_dual_and_b32 v32, 7, v2
	v_lshrrev_b32_e32 v0, 3, v1
	s_mov_b32 s20, exec_lo
	v_cmpx_gt_u32_e32 8, v1
; %bb.72:                               ;   in Loop: Header=BB460_8 Depth=1
	s_delay_alu instid0(VALU_DEP_3) | instskip(NEXT) | instid1(VALU_DEP_1)
	v_clz_i32_u32_e32 v0, v32
	v_min_u32_e32 v0, 32, v0
	s_delay_alu instid0(VALU_DEP_1) | instskip(SKIP_1) | instid1(VALU_DEP_2)
	v_subrev_nc_u32_e32 v1, 28, v0
	v_sub_nc_u32_e32 v0, 29, v0
	v_lshlrev_b64 v[1:2], v1, v[32:33]
	s_delay_alu instid0(VALU_DEP_1)
	v_and_b32_e32 v32, 7, v1
; %bb.73:                               ;   in Loop: Header=BB460_8 Depth=1
	s_or_b32 exec_lo, exec_lo, s20
	v_lshlrev_b32_e32 v1, 16, v18
	s_delay_alu instid0(VALU_DEP_2) | instskip(SKIP_1) | instid1(VALU_DEP_3)
	v_lshlrev_b32_e32 v2, 20, v32
	v_lshl_add_u32 v0, v0, 23, 0x3c000000
	v_and_b32_e32 v1, 0x80000000, v1
	s_delay_alu instid0(VALU_DEP_1)
	v_or3_b32 v0, v2, v1, v0
.LBB460_74:                             ;   in Loop: Header=BB460_8 Depth=1
	s_or_b32 exec_lo, exec_lo, s19
.LBB460_75:                             ;   in Loop: Header=BB460_8 Depth=1
	s_delay_alu instid0(SALU_CYCLE_1)
	s_or_b32 exec_lo, exec_lo, s18
.LBB460_76:                             ;   in Loop: Header=BB460_8 Depth=1
	s_delay_alu instid0(SALU_CYCLE_1) | instskip(NEXT) | instid1(VALU_DEP_1)
	s_or_b32 exec_lo, exec_lo, s2
	v_mul_f32_e32 v0, v136, v0
                                        ; implicit-def: $vgpr141
	s_delay_alu instid0(VALU_DEP_1) | instskip(NEXT) | instid1(VALU_DEP_1)
	v_and_b32_e32 v1, 0x7f800000, v0
	v_cmp_ne_u32_e64 s1, 0x7f800000, v1
	s_delay_alu instid0(VALU_DEP_1) | instskip(NEXT) | instid1(SALU_CYCLE_1)
	s_and_saveexec_b32 s2, s1
	s_xor_b32 s1, exec_lo, s2
; %bb.77:                               ;   in Loop: Header=BB460_8 Depth=1
	v_bfe_u32 v1, v0, 16, 1
	s_delay_alu instid0(VALU_DEP_1)
	v_add3_u32 v141, v0, v1, 0x7fff
                                        ; implicit-def: $vgpr0
; %bb.78:                               ;   in Loop: Header=BB460_8 Depth=1
	s_and_not1_saveexec_b32 s2, s1
; %bb.79:                               ;   in Loop: Header=BB460_8 Depth=1
	v_and_b32_e32 v1, 0xffff, v0
	v_or_b32_e32 v2, 0x10000, v0
	s_delay_alu instid0(VALU_DEP_2) | instskip(NEXT) | instid1(VALU_DEP_1)
	v_cmp_eq_u32_e64 s1, 0, v1
	v_cndmask_b32_e64 v141, v2, v0, s1
; %bb.80:                               ;   in Loop: Header=BB460_8 Depth=1
	s_or_b32 exec_lo, exec_lo, s2
	v_lshrrev_b32_e32 v0, 16, v31
	s_mov_b32 s2, exec_lo
	s_delay_alu instid0(VALU_DEP_1) | instskip(NEXT) | instid1(VALU_DEP_1)
	v_dual_mov_b32 v1, 0 :: v_dual_and_b32 v2, 0xff, v0
	v_cmpx_ne_u16_e32 0, v2
	s_cbranch_execz .LBB460_88
; %bb.81:                               ;   in Loop: Header=BB460_8 Depth=1
	v_bfrev_b32_e32 v1, 1
	s_mov_b32 s18, exec_lo
	v_cmpx_ne_u16_e32 0x80, v2
	s_cbranch_execz .LBB460_87
; %bb.82:                               ;   in Loop: Header=BB460_8 Depth=1
	v_bfe_u32 v2, v31, 16, 7
	v_mov_b32_e32 v1, 0x7f800001
	s_mov_b32 s19, exec_lo
	s_delay_alu instid0(VALU_DEP_2)
	v_cmpx_ne_u32_e32 0x7f, v2
	s_cbranch_execz .LBB460_86
; %bb.83:                               ;   in Loop: Header=BB460_8 Depth=1
	v_and_b32_e32 v18, 7, v0
	v_lshrrev_b32_e32 v1, 3, v2
	v_mov_b32_e32 v33, v19
	s_mov_b32 s20, exec_lo
	s_delay_alu instid0(VALU_DEP_3)
	v_mov_b32_e32 v32, v18
	v_cmpx_gt_u32_e32 8, v2
; %bb.84:                               ;   in Loop: Header=BB460_8 Depth=1
	v_clz_i32_u32_e32 v1, v18
	s_delay_alu instid0(VALU_DEP_1) | instskip(NEXT) | instid1(VALU_DEP_1)
	v_min_u32_e32 v1, 32, v1
	v_subrev_nc_u32_e32 v2, 28, v1
	v_sub_nc_u32_e32 v1, 29, v1
	s_delay_alu instid0(VALU_DEP_2) | instskip(NEXT) | instid1(VALU_DEP_1)
	v_lshlrev_b64 v[2:3], v2, v[18:19]
	v_and_b32_e32 v32, 7, v2
; %bb.85:                               ;   in Loop: Header=BB460_8 Depth=1
	s_or_b32 exec_lo, exec_lo, s20
	v_lshlrev_b32_e32 v0, 24, v0
	s_delay_alu instid0(VALU_DEP_2) | instskip(SKIP_1) | instid1(VALU_DEP_3)
	v_lshlrev_b32_e32 v2, 20, v32
	v_lshl_add_u32 v1, v1, 23, 0x3c000000
	v_and_b32_e32 v0, 0x80000000, v0
	s_delay_alu instid0(VALU_DEP_1)
	v_or3_b32 v1, v2, v0, v1
.LBB460_86:                             ;   in Loop: Header=BB460_8 Depth=1
	s_or_b32 exec_lo, exec_lo, s19
.LBB460_87:                             ;   in Loop: Header=BB460_8 Depth=1
	s_delay_alu instid0(SALU_CYCLE_1)
	s_or_b32 exec_lo, exec_lo, s18
.LBB460_88:                             ;   in Loop: Header=BB460_8 Depth=1
	s_delay_alu instid0(SALU_CYCLE_1) | instskip(NEXT) | instid1(VALU_DEP_1)
	s_or_b32 exec_lo, exec_lo, s2
	v_mul_f32_e32 v0, v136, v1
                                        ; implicit-def: $vgpr142
	s_delay_alu instid0(VALU_DEP_1) | instskip(NEXT) | instid1(VALU_DEP_1)
	v_and_b32_e32 v1, 0x7f800000, v0
	v_cmp_ne_u32_e64 s1, 0x7f800000, v1
	s_delay_alu instid0(VALU_DEP_1) | instskip(NEXT) | instid1(SALU_CYCLE_1)
	s_and_saveexec_b32 s2, s1
	s_xor_b32 s1, exec_lo, s2
; %bb.89:                               ;   in Loop: Header=BB460_8 Depth=1
	v_bfe_u32 v1, v0, 16, 1
	s_delay_alu instid0(VALU_DEP_1)
	v_add3_u32 v142, v0, v1, 0x7fff
                                        ; implicit-def: $vgpr0
; %bb.90:                               ;   in Loop: Header=BB460_8 Depth=1
	s_and_not1_saveexec_b32 s2, s1
; %bb.91:                               ;   in Loop: Header=BB460_8 Depth=1
	v_and_b32_e32 v1, 0xffff, v0
	v_or_b32_e32 v2, 0x10000, v0
	s_delay_alu instid0(VALU_DEP_2) | instskip(NEXT) | instid1(VALU_DEP_1)
	v_cmp_eq_u32_e64 s1, 0, v1
	v_cndmask_b32_e64 v142, v2, v0, s1
; %bb.92:                               ;   in Loop: Header=BB460_8 Depth=1
	s_or_b32 exec_lo, exec_lo, s2
	v_mov_b32_e32 v1, 0
	s_mov_b32 s2, exec_lo
	v_cmpx_lt_u64_e64 s[8:9], v[30:31]
	s_cbranch_execz .LBB460_100
; %bb.93:                               ;   in Loop: Header=BB460_8 Depth=1
	v_lshrrev_b32_e32 v0, 24, v31
	v_bfrev_b32_e32 v1, 1
	s_mov_b32 s18, exec_lo
	s_delay_alu instid0(VALU_DEP_2)
	v_cmpx_ne_u32_e32 0x80, v0
	s_cbranch_execz .LBB460_99
; %bb.94:                               ;   in Loop: Header=BB460_8 Depth=1
	v_bfe_u32 v2, v31, 24, 7
	v_mov_b32_e32 v1, 0x7f800001
	s_mov_b32 s19, exec_lo
	s_delay_alu instid0(VALU_DEP_2)
	v_cmpx_ne_u32_e32 0x7f, v2
	s_cbranch_execz .LBB460_98
; %bb.95:                               ;   in Loop: Header=BB460_8 Depth=1
	v_and_b32_e32 v18, 7, v0
	v_lshrrev_b32_e32 v1, 3, v2
	v_mov_b32_e32 v31, v19
	s_mov_b32 s20, exec_lo
	s_delay_alu instid0(VALU_DEP_3)
	v_mov_b32_e32 v30, v18
	v_cmpx_gt_u32_e32 8, v2
; %bb.96:                               ;   in Loop: Header=BB460_8 Depth=1
	v_clz_i32_u32_e32 v1, v18
	s_delay_alu instid0(VALU_DEP_1) | instskip(NEXT) | instid1(VALU_DEP_1)
	v_min_u32_e32 v1, 32, v1
	v_subrev_nc_u32_e32 v2, 28, v1
	v_sub_nc_u32_e32 v1, 29, v1
	s_delay_alu instid0(VALU_DEP_2) | instskip(NEXT) | instid1(VALU_DEP_1)
	v_lshlrev_b64 v[2:3], v2, v[18:19]
	v_and_b32_e32 v30, 7, v2
; %bb.97:                               ;   in Loop: Header=BB460_8 Depth=1
	s_or_b32 exec_lo, exec_lo, s20
	v_lshlrev_b32_e32 v0, 24, v0
	s_delay_alu instid0(VALU_DEP_2) | instskip(SKIP_1) | instid1(VALU_DEP_3)
	v_lshlrev_b32_e32 v2, 20, v30
	v_lshl_add_u32 v1, v1, 23, 0x3c000000
	v_and_b32_e32 v0, 0x80000000, v0
	s_delay_alu instid0(VALU_DEP_1)
	v_or3_b32 v1, v2, v0, v1
.LBB460_98:                             ;   in Loop: Header=BB460_8 Depth=1
	s_or_b32 exec_lo, exec_lo, s19
.LBB460_99:                             ;   in Loop: Header=BB460_8 Depth=1
	s_delay_alu instid0(SALU_CYCLE_1)
	s_or_b32 exec_lo, exec_lo, s18
.LBB460_100:                            ;   in Loop: Header=BB460_8 Depth=1
	s_delay_alu instid0(SALU_CYCLE_1) | instskip(NEXT) | instid1(VALU_DEP_1)
	s_or_b32 exec_lo, exec_lo, s2
	v_mul_f32_e32 v0, v136, v1
                                        ; implicit-def: $vgpr143
	s_delay_alu instid0(VALU_DEP_1) | instskip(NEXT) | instid1(VALU_DEP_1)
	v_and_b32_e32 v1, 0x7f800000, v0
	v_cmp_ne_u32_e64 s1, 0x7f800000, v1
	s_delay_alu instid0(VALU_DEP_1) | instskip(NEXT) | instid1(SALU_CYCLE_1)
	s_and_saveexec_b32 s2, s1
	s_xor_b32 s1, exec_lo, s2
; %bb.101:                              ;   in Loop: Header=BB460_8 Depth=1
	v_bfe_u32 v1, v0, 16, 1
	s_delay_alu instid0(VALU_DEP_1)
	v_add3_u32 v143, v0, v1, 0x7fff
                                        ; implicit-def: $vgpr0
; %bb.102:                              ;   in Loop: Header=BB460_8 Depth=1
	s_and_not1_saveexec_b32 s2, s1
; %bb.103:                              ;   in Loop: Header=BB460_8 Depth=1
	v_and_b32_e32 v1, 0xffff, v0
	v_or_b32_e32 v2, 0x10000, v0
	s_delay_alu instid0(VALU_DEP_2) | instskip(NEXT) | instid1(VALU_DEP_1)
	v_cmp_eq_u32_e64 s1, 0, v1
	v_cndmask_b32_e64 v143, v2, v0, s1
; %bb.104:                              ;   in Loop: Header=BB460_8 Depth=1
	s_or_b32 exec_lo, exec_lo, s2
	flat_load_b64 v[30:31], v[28:29] offset:8
	s_mov_b32 s2, exec_lo
	s_waitcnt vmcnt(0) lgkmcnt(0)
	v_dual_mov_b32 v0, 0 :: v_dual_and_b32 v1, 0xff, v30
	s_delay_alu instid0(VALU_DEP_1)
	v_cmpx_ne_u16_e32 0, v1
	s_cbranch_execz .LBB460_112
; %bb.105:                              ;   in Loop: Header=BB460_8 Depth=1
	v_bfrev_b32_e32 v0, 1
	s_mov_b32 s18, exec_lo
	v_cmpx_ne_u16_e32 0x80, v1
	s_cbranch_execz .LBB460_111
; %bb.106:                              ;   in Loop: Header=BB460_8 Depth=1
	v_and_b32_e32 v1, 0x7f, v30
	v_mov_b32_e32 v0, 0x7f800001
	s_mov_b32 s19, exec_lo
	s_delay_alu instid0(VALU_DEP_2)
	v_cmpx_ne_u32_e32 0x7f, v1
	s_cbranch_execz .LBB460_110
; %bb.107:                              ;   in Loop: Header=BB460_8 Depth=1
	v_lshrrev_b32_e32 v0, 3, v1
	v_dual_mov_b32 v33, v31 :: v_dual_mov_b32 v32, v30
	s_mov_b32 s20, exec_lo
	v_cmpx_gt_u32_e32 8, v1
; %bb.108:                              ;   in Loop: Header=BB460_8 Depth=1
	v_and_b32_e32 v0, 7, v30
	s_delay_alu instid0(VALU_DEP_1) | instskip(NEXT) | instid1(VALU_DEP_1)
	v_clz_i32_u32_e32 v0, v0
	v_min_u32_e32 v0, 32, v0
	s_delay_alu instid0(VALU_DEP_1) | instskip(SKIP_1) | instid1(VALU_DEP_2)
	v_subrev_nc_u32_e32 v1, 28, v0
	v_sub_nc_u32_e32 v0, 29, v0
	v_lshlrev_b64 v[32:33], v1, v[30:31]
; %bb.109:                              ;   in Loop: Header=BB460_8 Depth=1
	s_or_b32 exec_lo, exec_lo, s20
	s_delay_alu instid0(VALU_DEP_1) | instskip(SKIP_2) | instid1(VALU_DEP_3)
	v_lshlrev_b32_e32 v1, 20, v32
	v_lshlrev_b32_e32 v2, 24, v30
	v_lshl_add_u32 v0, v0, 23, 0x3c000000
	v_and_b32_e32 v1, 0x700000, v1
	s_delay_alu instid0(VALU_DEP_3) | instskip(NEXT) | instid1(VALU_DEP_1)
	v_and_b32_e32 v2, 0x80000000, v2
	v_or3_b32 v0, v1, v2, v0
.LBB460_110:                            ;   in Loop: Header=BB460_8 Depth=1
	s_or_b32 exec_lo, exec_lo, s19
.LBB460_111:                            ;   in Loop: Header=BB460_8 Depth=1
	s_delay_alu instid0(SALU_CYCLE_1)
	s_or_b32 exec_lo, exec_lo, s18
.LBB460_112:                            ;   in Loop: Header=BB460_8 Depth=1
	s_delay_alu instid0(SALU_CYCLE_1) | instskip(NEXT) | instid1(VALU_DEP_1)
	s_or_b32 exec_lo, exec_lo, s2
	v_mul_f32_e32 v0, v136, v0
                                        ; implicit-def: $vgpr152
	s_delay_alu instid0(VALU_DEP_1) | instskip(NEXT) | instid1(VALU_DEP_1)
	v_and_b32_e32 v1, 0x7f800000, v0
	v_cmp_ne_u32_e64 s1, 0x7f800000, v1
	s_delay_alu instid0(VALU_DEP_1) | instskip(NEXT) | instid1(SALU_CYCLE_1)
	s_and_saveexec_b32 s2, s1
	s_xor_b32 s1, exec_lo, s2
; %bb.113:                              ;   in Loop: Header=BB460_8 Depth=1
	v_bfe_u32 v1, v0, 16, 1
	s_delay_alu instid0(VALU_DEP_1)
	v_add3_u32 v152, v0, v1, 0x7fff
                                        ; implicit-def: $vgpr0
; %bb.114:                              ;   in Loop: Header=BB460_8 Depth=1
	s_and_not1_saveexec_b32 s2, s1
; %bb.115:                              ;   in Loop: Header=BB460_8 Depth=1
	v_and_b32_e32 v1, 0xffff, v0
	v_or_b32_e32 v2, 0x10000, v0
	s_delay_alu instid0(VALU_DEP_2) | instskip(NEXT) | instid1(VALU_DEP_1)
	v_cmp_eq_u32_e64 s1, 0, v1
	v_cndmask_b32_e64 v152, v2, v0, s1
; %bb.116:                              ;   in Loop: Header=BB460_8 Depth=1
	s_or_b32 exec_lo, exec_lo, s2
	v_lshrrev_b16 v1, 8, v30
	v_mov_b32_e32 v0, 0
	s_mov_b32 s2, exec_lo
	s_delay_alu instid0(VALU_DEP_2)
	v_cmpx_ne_u16_e32 0, v1
	s_cbranch_execz .LBB460_124
; %bb.117:                              ;   in Loop: Header=BB460_8 Depth=1
	v_bfrev_b32_e32 v0, 1
	s_mov_b32 s18, exec_lo
	v_cmpx_ne_u16_e32 0x80, v1
	s_cbranch_execz .LBB460_123
; %bb.118:                              ;   in Loop: Header=BB460_8 Depth=1
	v_and_b32_e32 v2, 0xffff, v1
	v_mov_b32_e32 v0, 0x7f800001
	s_mov_b32 s19, exec_lo
	s_delay_alu instid0(VALU_DEP_2) | instskip(NEXT) | instid1(VALU_DEP_1)
	v_and_b32_e32 v1, 0x7f, v2
	v_cmpx_ne_u32_e32 0x7f, v1
	s_cbranch_execz .LBB460_122
; %bb.119:                              ;   in Loop: Header=BB460_8 Depth=1
	v_and_b32_e32 v18, 7, v2
	v_lshrrev_b32_e32 v0, 3, v1
	v_mov_b32_e32 v33, v19
	s_mov_b32 s20, exec_lo
	s_delay_alu instid0(VALU_DEP_3)
	v_mov_b32_e32 v32, v18
	v_cmpx_gt_u32_e32 8, v1
; %bb.120:                              ;   in Loop: Header=BB460_8 Depth=1
	v_clz_i32_u32_e32 v0, v18
	s_delay_alu instid0(VALU_DEP_1) | instskip(NEXT) | instid1(VALU_DEP_1)
	v_min_u32_e32 v0, 32, v0
	v_subrev_nc_u32_e32 v1, 28, v0
	v_sub_nc_u32_e32 v0, 29, v0
	s_delay_alu instid0(VALU_DEP_2) | instskip(NEXT) | instid1(VALU_DEP_1)
	v_lshlrev_b64 v[1:2], v1, v[18:19]
	v_and_b32_e32 v32, 7, v1
; %bb.121:                              ;   in Loop: Header=BB460_8 Depth=1
	s_or_b32 exec_lo, exec_lo, s20
	v_lshlrev_b32_e32 v1, 16, v30
	s_delay_alu instid0(VALU_DEP_2) | instskip(SKIP_1) | instid1(VALU_DEP_3)
	v_lshlrev_b32_e32 v2, 20, v32
	v_lshl_add_u32 v0, v0, 23, 0x3c000000
	v_and_b32_e32 v1, 0x80000000, v1
	s_delay_alu instid0(VALU_DEP_1)
	v_or3_b32 v0, v2, v1, v0
.LBB460_122:                            ;   in Loop: Header=BB460_8 Depth=1
	s_or_b32 exec_lo, exec_lo, s19
.LBB460_123:                            ;   in Loop: Header=BB460_8 Depth=1
	s_delay_alu instid0(SALU_CYCLE_1)
	s_or_b32 exec_lo, exec_lo, s18
.LBB460_124:                            ;   in Loop: Header=BB460_8 Depth=1
	s_delay_alu instid0(SALU_CYCLE_1) | instskip(NEXT) | instid1(VALU_DEP_1)
	s_or_b32 exec_lo, exec_lo, s2
	v_mul_f32_e32 v0, v136, v0
                                        ; implicit-def: $vgpr153
	s_delay_alu instid0(VALU_DEP_1) | instskip(NEXT) | instid1(VALU_DEP_1)
	v_and_b32_e32 v1, 0x7f800000, v0
	v_cmp_ne_u32_e64 s1, 0x7f800000, v1
	s_delay_alu instid0(VALU_DEP_1) | instskip(NEXT) | instid1(SALU_CYCLE_1)
	s_and_saveexec_b32 s2, s1
	s_xor_b32 s1, exec_lo, s2
; %bb.125:                              ;   in Loop: Header=BB460_8 Depth=1
	v_bfe_u32 v1, v0, 16, 1
	s_delay_alu instid0(VALU_DEP_1)
	v_add3_u32 v153, v0, v1, 0x7fff
                                        ; implicit-def: $vgpr0
; %bb.126:                              ;   in Loop: Header=BB460_8 Depth=1
	s_and_not1_saveexec_b32 s2, s1
; %bb.127:                              ;   in Loop: Header=BB460_8 Depth=1
	v_and_b32_e32 v1, 0xffff, v0
	v_or_b32_e32 v2, 0x10000, v0
	s_delay_alu instid0(VALU_DEP_2) | instskip(NEXT) | instid1(VALU_DEP_1)
	v_cmp_eq_u32_e64 s1, 0, v1
	v_cndmask_b32_e64 v153, v2, v0, s1
; %bb.128:                              ;   in Loop: Header=BB460_8 Depth=1
	s_or_b32 exec_lo, exec_lo, s2
	v_lshrrev_b32_e32 v0, 16, v30
	s_mov_b32 s2, exec_lo
	s_delay_alu instid0(VALU_DEP_1) | instskip(NEXT) | instid1(VALU_DEP_1)
	v_dual_mov_b32 v1, 0 :: v_dual_and_b32 v2, 0xff, v0
	v_cmpx_ne_u16_e32 0, v2
	s_cbranch_execz .LBB460_136
; %bb.129:                              ;   in Loop: Header=BB460_8 Depth=1
	v_bfrev_b32_e32 v1, 1
	s_mov_b32 s18, exec_lo
	v_cmpx_ne_u16_e32 0x80, v2
	s_cbranch_execz .LBB460_135
; %bb.130:                              ;   in Loop: Header=BB460_8 Depth=1
	v_bfe_u32 v2, v30, 16, 7
	v_mov_b32_e32 v1, 0x7f800001
	s_mov_b32 s19, exec_lo
	s_delay_alu instid0(VALU_DEP_2)
	v_cmpx_ne_u32_e32 0x7f, v2
	s_cbranch_execz .LBB460_134
; %bb.131:                              ;   in Loop: Header=BB460_8 Depth=1
	v_and_b32_e32 v18, 7, v0
	v_lshrrev_b32_e32 v1, 3, v2
	v_mov_b32_e32 v33, v19
	s_mov_b32 s20, exec_lo
	s_delay_alu instid0(VALU_DEP_3)
	v_mov_b32_e32 v32, v18
	v_cmpx_gt_u32_e32 8, v2
; %bb.132:                              ;   in Loop: Header=BB460_8 Depth=1
	v_clz_i32_u32_e32 v1, v18
	s_delay_alu instid0(VALU_DEP_1) | instskip(NEXT) | instid1(VALU_DEP_1)
	v_min_u32_e32 v1, 32, v1
	v_subrev_nc_u32_e32 v2, 28, v1
	v_sub_nc_u32_e32 v1, 29, v1
	s_delay_alu instid0(VALU_DEP_2) | instskip(NEXT) | instid1(VALU_DEP_1)
	v_lshlrev_b64 v[2:3], v2, v[18:19]
	v_and_b32_e32 v32, 7, v2
; %bb.133:                              ;   in Loop: Header=BB460_8 Depth=1
	s_or_b32 exec_lo, exec_lo, s20
	v_lshlrev_b32_e32 v0, 24, v0
	s_delay_alu instid0(VALU_DEP_2) | instskip(SKIP_1) | instid1(VALU_DEP_3)
	v_lshlrev_b32_e32 v2, 20, v32
	v_lshl_add_u32 v1, v1, 23, 0x3c000000
	v_and_b32_e32 v0, 0x80000000, v0
	s_delay_alu instid0(VALU_DEP_1)
	v_or3_b32 v1, v2, v0, v1
.LBB460_134:                            ;   in Loop: Header=BB460_8 Depth=1
	s_or_b32 exec_lo, exec_lo, s19
.LBB460_135:                            ;   in Loop: Header=BB460_8 Depth=1
	s_delay_alu instid0(SALU_CYCLE_1)
	s_or_b32 exec_lo, exec_lo, s18
.LBB460_136:                            ;   in Loop: Header=BB460_8 Depth=1
	s_delay_alu instid0(SALU_CYCLE_1) | instskip(NEXT) | instid1(VALU_DEP_1)
	s_or_b32 exec_lo, exec_lo, s2
	v_mul_f32_e32 v0, v136, v1
                                        ; implicit-def: $vgpr154
	s_delay_alu instid0(VALU_DEP_1) | instskip(NEXT) | instid1(VALU_DEP_1)
	v_and_b32_e32 v1, 0x7f800000, v0
	v_cmp_ne_u32_e64 s1, 0x7f800000, v1
	s_delay_alu instid0(VALU_DEP_1) | instskip(NEXT) | instid1(SALU_CYCLE_1)
	s_and_saveexec_b32 s2, s1
	s_xor_b32 s1, exec_lo, s2
; %bb.137:                              ;   in Loop: Header=BB460_8 Depth=1
	v_bfe_u32 v1, v0, 16, 1
	s_delay_alu instid0(VALU_DEP_1)
	v_add3_u32 v154, v0, v1, 0x7fff
                                        ; implicit-def: $vgpr0
; %bb.138:                              ;   in Loop: Header=BB460_8 Depth=1
	s_and_not1_saveexec_b32 s2, s1
; %bb.139:                              ;   in Loop: Header=BB460_8 Depth=1
	v_and_b32_e32 v1, 0xffff, v0
	v_or_b32_e32 v2, 0x10000, v0
	s_delay_alu instid0(VALU_DEP_2) | instskip(NEXT) | instid1(VALU_DEP_1)
	v_cmp_eq_u32_e64 s1, 0, v1
	v_cndmask_b32_e64 v154, v2, v0, s1
; %bb.140:                              ;   in Loop: Header=BB460_8 Depth=1
	s_or_b32 exec_lo, exec_lo, s2
	v_mov_b32_e32 v1, 0
	s_mov_b32 s2, exec_lo
	v_cmpx_lt_u32_e32 0xffffff, v30
	s_cbranch_execz .LBB460_148
; %bb.141:                              ;   in Loop: Header=BB460_8 Depth=1
	v_lshrrev_b32_e32 v0, 24, v30
	v_bfrev_b32_e32 v1, 1
	s_mov_b32 s18, exec_lo
	s_delay_alu instid0(VALU_DEP_2)
	v_cmpx_ne_u32_e32 0x80, v0
	s_cbranch_execz .LBB460_147
; %bb.142:                              ;   in Loop: Header=BB460_8 Depth=1
	v_bfe_u32 v2, v30, 24, 7
	v_mov_b32_e32 v1, 0x7f800001
	s_mov_b32 s19, exec_lo
	s_delay_alu instid0(VALU_DEP_2)
	v_cmpx_ne_u32_e32 0x7f, v2
	s_cbranch_execz .LBB460_146
; %bb.143:                              ;   in Loop: Header=BB460_8 Depth=1
	v_and_b32_e32 v18, 7, v0
	v_lshrrev_b32_e32 v1, 3, v2
	v_mov_b32_e32 v33, v19
	s_mov_b32 s20, exec_lo
	s_delay_alu instid0(VALU_DEP_3)
	v_mov_b32_e32 v32, v18
	v_cmpx_gt_u32_e32 8, v2
; %bb.144:                              ;   in Loop: Header=BB460_8 Depth=1
	v_clz_i32_u32_e32 v1, v18
	s_delay_alu instid0(VALU_DEP_1) | instskip(NEXT) | instid1(VALU_DEP_1)
	v_min_u32_e32 v1, 32, v1
	v_subrev_nc_u32_e32 v2, 28, v1
	v_sub_nc_u32_e32 v1, 29, v1
	s_delay_alu instid0(VALU_DEP_2) | instskip(NEXT) | instid1(VALU_DEP_1)
	v_lshlrev_b64 v[2:3], v2, v[18:19]
	v_and_b32_e32 v32, 7, v2
; %bb.145:                              ;   in Loop: Header=BB460_8 Depth=1
	s_or_b32 exec_lo, exec_lo, s20
	v_lshlrev_b32_e32 v0, 24, v0
	s_delay_alu instid0(VALU_DEP_2) | instskip(SKIP_1) | instid1(VALU_DEP_3)
	v_lshlrev_b32_e32 v2, 20, v32
	v_lshl_add_u32 v1, v1, 23, 0x3c000000
	v_and_b32_e32 v0, 0x80000000, v0
	s_delay_alu instid0(VALU_DEP_1)
	v_or3_b32 v1, v2, v0, v1
.LBB460_146:                            ;   in Loop: Header=BB460_8 Depth=1
	s_or_b32 exec_lo, exec_lo, s19
.LBB460_147:                            ;   in Loop: Header=BB460_8 Depth=1
	s_delay_alu instid0(SALU_CYCLE_1)
	s_or_b32 exec_lo, exec_lo, s18
.LBB460_148:                            ;   in Loop: Header=BB460_8 Depth=1
	s_delay_alu instid0(SALU_CYCLE_1) | instskip(NEXT) | instid1(VALU_DEP_1)
	s_or_b32 exec_lo, exec_lo, s2
	v_mul_f32_e32 v0, v136, v1
                                        ; implicit-def: $vgpr155
	s_delay_alu instid0(VALU_DEP_1) | instskip(NEXT) | instid1(VALU_DEP_1)
	v_and_b32_e32 v1, 0x7f800000, v0
	v_cmp_ne_u32_e64 s1, 0x7f800000, v1
	s_delay_alu instid0(VALU_DEP_1) | instskip(NEXT) | instid1(SALU_CYCLE_1)
	s_and_saveexec_b32 s2, s1
	s_xor_b32 s1, exec_lo, s2
; %bb.149:                              ;   in Loop: Header=BB460_8 Depth=1
	v_bfe_u32 v1, v0, 16, 1
	s_delay_alu instid0(VALU_DEP_1)
	v_add3_u32 v155, v0, v1, 0x7fff
                                        ; implicit-def: $vgpr0
; %bb.150:                              ;   in Loop: Header=BB460_8 Depth=1
	s_and_not1_saveexec_b32 s2, s1
; %bb.151:                              ;   in Loop: Header=BB460_8 Depth=1
	v_and_b32_e32 v1, 0xffff, v0
	v_or_b32_e32 v2, 0x10000, v0
	s_delay_alu instid0(VALU_DEP_2) | instskip(NEXT) | instid1(VALU_DEP_1)
	v_cmp_eq_u32_e64 s1, 0, v1
	v_cndmask_b32_e64 v155, v2, v0, s1
; %bb.152:                              ;   in Loop: Header=BB460_8 Depth=1
	s_or_b32 exec_lo, exec_lo, s2
	v_dual_mov_b32 v18, v31 :: v_dual_and_b32 v1, 0xff, v31
	v_mov_b32_e32 v0, 0
	s_mov_b32 s2, exec_lo
	s_delay_alu instid0(VALU_DEP_2)
	v_cmpx_ne_u16_e32 0, v1
	s_cbranch_execz .LBB460_160
; %bb.153:                              ;   in Loop: Header=BB460_8 Depth=1
	v_bfrev_b32_e32 v0, 1
	s_mov_b32 s18, exec_lo
	v_cmpx_ne_u16_e32 0x80, v1
	s_cbranch_execz .LBB460_159
; %bb.154:                              ;   in Loop: Header=BB460_8 Depth=1
	v_and_b32_e32 v1, 0x7f, v31
	v_mov_b32_e32 v0, 0x7f800001
	s_mov_b32 s19, exec_lo
	s_delay_alu instid0(VALU_DEP_2)
	v_cmpx_ne_u32_e32 0x7f, v1
	s_cbranch_execz .LBB460_158
; %bb.155:                              ;   in Loop: Header=BB460_8 Depth=1
	v_lshrrev_b32_e32 v0, 3, v1
	v_dual_mov_b32 v33, v19 :: v_dual_mov_b32 v32, v18
	s_mov_b32 s20, exec_lo
	v_cmpx_gt_u32_e32 8, v1
; %bb.156:                              ;   in Loop: Header=BB460_8 Depth=1
	v_and_b32_e32 v0, 7, v31
	s_delay_alu instid0(VALU_DEP_1) | instskip(NEXT) | instid1(VALU_DEP_1)
	v_clz_i32_u32_e32 v0, v0
	v_min_u32_e32 v0, 32, v0
	s_delay_alu instid0(VALU_DEP_1) | instskip(SKIP_1) | instid1(VALU_DEP_2)
	v_subrev_nc_u32_e32 v1, 28, v0
	v_sub_nc_u32_e32 v0, 29, v0
	v_lshlrev_b64 v[32:33], v1, v[18:19]
; %bb.157:                              ;   in Loop: Header=BB460_8 Depth=1
	s_or_b32 exec_lo, exec_lo, s20
	s_delay_alu instid0(VALU_DEP_1) | instskip(SKIP_2) | instid1(VALU_DEP_3)
	v_lshlrev_b32_e32 v1, 20, v32
	v_lshlrev_b32_e32 v2, 24, v18
	v_lshl_add_u32 v0, v0, 23, 0x3c000000
	v_and_b32_e32 v1, 0x700000, v1
	s_delay_alu instid0(VALU_DEP_3) | instskip(NEXT) | instid1(VALU_DEP_1)
	v_and_b32_e32 v2, 0x80000000, v2
	v_or3_b32 v0, v1, v2, v0
.LBB460_158:                            ;   in Loop: Header=BB460_8 Depth=1
	s_or_b32 exec_lo, exec_lo, s19
.LBB460_159:                            ;   in Loop: Header=BB460_8 Depth=1
	s_delay_alu instid0(SALU_CYCLE_1)
	s_or_b32 exec_lo, exec_lo, s18
.LBB460_160:                            ;   in Loop: Header=BB460_8 Depth=1
	s_delay_alu instid0(SALU_CYCLE_1) | instskip(NEXT) | instid1(VALU_DEP_1)
	s_or_b32 exec_lo, exec_lo, s2
	v_mul_f32_e32 v0, v136, v0
                                        ; implicit-def: $vgpr156
	s_delay_alu instid0(VALU_DEP_1) | instskip(NEXT) | instid1(VALU_DEP_1)
	v_and_b32_e32 v1, 0x7f800000, v0
	v_cmp_ne_u32_e64 s1, 0x7f800000, v1
	s_delay_alu instid0(VALU_DEP_1) | instskip(NEXT) | instid1(SALU_CYCLE_1)
	s_and_saveexec_b32 s2, s1
	s_xor_b32 s1, exec_lo, s2
; %bb.161:                              ;   in Loop: Header=BB460_8 Depth=1
	v_bfe_u32 v1, v0, 16, 1
	s_delay_alu instid0(VALU_DEP_1)
	v_add3_u32 v156, v0, v1, 0x7fff
                                        ; implicit-def: $vgpr0
; %bb.162:                              ;   in Loop: Header=BB460_8 Depth=1
	s_and_not1_saveexec_b32 s2, s1
; %bb.163:                              ;   in Loop: Header=BB460_8 Depth=1
	v_and_b32_e32 v1, 0xffff, v0
	v_or_b32_e32 v2, 0x10000, v0
	s_delay_alu instid0(VALU_DEP_2) | instskip(NEXT) | instid1(VALU_DEP_1)
	v_cmp_eq_u32_e64 s1, 0, v1
	v_cndmask_b32_e64 v156, v2, v0, s1
; %bb.164:                              ;   in Loop: Header=BB460_8 Depth=1
	s_or_b32 exec_lo, exec_lo, s2
	v_lshrrev_b16 v1, 8, v18
	v_mov_b32_e32 v0, 0
	s_mov_b32 s2, exec_lo
	s_delay_alu instid0(VALU_DEP_2)
	v_cmpx_ne_u16_e32 0, v1
	s_cbranch_execz .LBB460_172
; %bb.165:                              ;   in Loop: Header=BB460_8 Depth=1
	v_bfrev_b32_e32 v0, 1
	s_mov_b32 s18, exec_lo
	v_cmpx_ne_u16_e32 0x80, v1
	s_cbranch_execz .LBB460_171
; %bb.166:                              ;   in Loop: Header=BB460_8 Depth=1
	v_and_b32_e32 v2, 0xffff, v1
	v_mov_b32_e32 v0, 0x7f800001
	s_mov_b32 s19, exec_lo
	s_delay_alu instid0(VALU_DEP_2) | instskip(NEXT) | instid1(VALU_DEP_1)
	v_and_b32_e32 v1, 0x7f, v2
	v_cmpx_ne_u32_e32 0x7f, v1
	s_cbranch_execz .LBB460_170
; %bb.167:                              ;   in Loop: Header=BB460_8 Depth=1
	v_dual_mov_b32 v33, v19 :: v_dual_and_b32 v32, 7, v2
	v_lshrrev_b32_e32 v0, 3, v1
	s_mov_b32 s20, exec_lo
	v_cmpx_gt_u32_e32 8, v1
; %bb.168:                              ;   in Loop: Header=BB460_8 Depth=1
	s_delay_alu instid0(VALU_DEP_3) | instskip(NEXT) | instid1(VALU_DEP_1)
	v_clz_i32_u32_e32 v0, v32
	v_min_u32_e32 v0, 32, v0
	s_delay_alu instid0(VALU_DEP_1) | instskip(SKIP_1) | instid1(VALU_DEP_2)
	v_subrev_nc_u32_e32 v1, 28, v0
	v_sub_nc_u32_e32 v0, 29, v0
	v_lshlrev_b64 v[1:2], v1, v[32:33]
	s_delay_alu instid0(VALU_DEP_1)
	v_and_b32_e32 v32, 7, v1
; %bb.169:                              ;   in Loop: Header=BB460_8 Depth=1
	s_or_b32 exec_lo, exec_lo, s20
	v_lshlrev_b32_e32 v1, 16, v18
	s_delay_alu instid0(VALU_DEP_2) | instskip(SKIP_1) | instid1(VALU_DEP_3)
	v_lshlrev_b32_e32 v2, 20, v32
	v_lshl_add_u32 v0, v0, 23, 0x3c000000
	v_and_b32_e32 v1, 0x80000000, v1
	s_delay_alu instid0(VALU_DEP_1)
	v_or3_b32 v0, v2, v1, v0
.LBB460_170:                            ;   in Loop: Header=BB460_8 Depth=1
	s_or_b32 exec_lo, exec_lo, s19
.LBB460_171:                            ;   in Loop: Header=BB460_8 Depth=1
	s_delay_alu instid0(SALU_CYCLE_1)
	s_or_b32 exec_lo, exec_lo, s18
.LBB460_172:                            ;   in Loop: Header=BB460_8 Depth=1
	s_delay_alu instid0(SALU_CYCLE_1) | instskip(NEXT) | instid1(VALU_DEP_1)
	s_or_b32 exec_lo, exec_lo, s2
	v_mul_f32_e32 v0, v136, v0
                                        ; implicit-def: $vgpr157
	s_delay_alu instid0(VALU_DEP_1) | instskip(NEXT) | instid1(VALU_DEP_1)
	v_and_b32_e32 v1, 0x7f800000, v0
	v_cmp_ne_u32_e64 s1, 0x7f800000, v1
	s_delay_alu instid0(VALU_DEP_1) | instskip(NEXT) | instid1(SALU_CYCLE_1)
	s_and_saveexec_b32 s2, s1
	s_xor_b32 s1, exec_lo, s2
; %bb.173:                              ;   in Loop: Header=BB460_8 Depth=1
	v_bfe_u32 v1, v0, 16, 1
	s_delay_alu instid0(VALU_DEP_1)
	v_add3_u32 v157, v0, v1, 0x7fff
                                        ; implicit-def: $vgpr0
; %bb.174:                              ;   in Loop: Header=BB460_8 Depth=1
	s_and_not1_saveexec_b32 s2, s1
; %bb.175:                              ;   in Loop: Header=BB460_8 Depth=1
	v_and_b32_e32 v1, 0xffff, v0
	v_or_b32_e32 v2, 0x10000, v0
	s_delay_alu instid0(VALU_DEP_2) | instskip(NEXT) | instid1(VALU_DEP_1)
	v_cmp_eq_u32_e64 s1, 0, v1
	v_cndmask_b32_e64 v157, v2, v0, s1
; %bb.176:                              ;   in Loop: Header=BB460_8 Depth=1
	s_or_b32 exec_lo, exec_lo, s2
	v_lshrrev_b32_e32 v0, 16, v31
	s_mov_b32 s2, exec_lo
	s_delay_alu instid0(VALU_DEP_1) | instskip(NEXT) | instid1(VALU_DEP_1)
	v_dual_mov_b32 v1, 0 :: v_dual_and_b32 v2, 0xff, v0
	v_cmpx_ne_u16_e32 0, v2
	s_cbranch_execz .LBB460_184
; %bb.177:                              ;   in Loop: Header=BB460_8 Depth=1
	v_bfrev_b32_e32 v1, 1
	s_mov_b32 s18, exec_lo
	v_cmpx_ne_u16_e32 0x80, v2
	s_cbranch_execz .LBB460_183
; %bb.178:                              ;   in Loop: Header=BB460_8 Depth=1
	v_bfe_u32 v2, v31, 16, 7
	v_mov_b32_e32 v1, 0x7f800001
	s_mov_b32 s19, exec_lo
	s_delay_alu instid0(VALU_DEP_2)
	v_cmpx_ne_u32_e32 0x7f, v2
	s_cbranch_execz .LBB460_182
; %bb.179:                              ;   in Loop: Header=BB460_8 Depth=1
	v_and_b32_e32 v18, 7, v0
	v_lshrrev_b32_e32 v1, 3, v2
	v_mov_b32_e32 v33, v19
	s_mov_b32 s20, exec_lo
	s_delay_alu instid0(VALU_DEP_3)
	v_mov_b32_e32 v32, v18
	v_cmpx_gt_u32_e32 8, v2
; %bb.180:                              ;   in Loop: Header=BB460_8 Depth=1
	v_clz_i32_u32_e32 v1, v18
	s_delay_alu instid0(VALU_DEP_1) | instskip(NEXT) | instid1(VALU_DEP_1)
	v_min_u32_e32 v1, 32, v1
	v_subrev_nc_u32_e32 v2, 28, v1
	v_sub_nc_u32_e32 v1, 29, v1
	s_delay_alu instid0(VALU_DEP_2) | instskip(NEXT) | instid1(VALU_DEP_1)
	v_lshlrev_b64 v[2:3], v2, v[18:19]
	v_and_b32_e32 v32, 7, v2
; %bb.181:                              ;   in Loop: Header=BB460_8 Depth=1
	s_or_b32 exec_lo, exec_lo, s20
	v_lshlrev_b32_e32 v0, 24, v0
	s_delay_alu instid0(VALU_DEP_2) | instskip(SKIP_1) | instid1(VALU_DEP_3)
	v_lshlrev_b32_e32 v2, 20, v32
	v_lshl_add_u32 v1, v1, 23, 0x3c000000
	v_and_b32_e32 v0, 0x80000000, v0
	s_delay_alu instid0(VALU_DEP_1)
	v_or3_b32 v1, v2, v0, v1
.LBB460_182:                            ;   in Loop: Header=BB460_8 Depth=1
	s_or_b32 exec_lo, exec_lo, s19
.LBB460_183:                            ;   in Loop: Header=BB460_8 Depth=1
	s_delay_alu instid0(SALU_CYCLE_1)
	s_or_b32 exec_lo, exec_lo, s18
.LBB460_184:                            ;   in Loop: Header=BB460_8 Depth=1
	s_delay_alu instid0(SALU_CYCLE_1) | instskip(NEXT) | instid1(VALU_DEP_1)
	s_or_b32 exec_lo, exec_lo, s2
	v_mul_f32_e32 v0, v136, v1
                                        ; implicit-def: $vgpr158
	s_delay_alu instid0(VALU_DEP_1) | instskip(NEXT) | instid1(VALU_DEP_1)
	v_and_b32_e32 v1, 0x7f800000, v0
	v_cmp_ne_u32_e64 s1, 0x7f800000, v1
	s_delay_alu instid0(VALU_DEP_1) | instskip(NEXT) | instid1(SALU_CYCLE_1)
	s_and_saveexec_b32 s2, s1
	s_xor_b32 s1, exec_lo, s2
; %bb.185:                              ;   in Loop: Header=BB460_8 Depth=1
	v_bfe_u32 v1, v0, 16, 1
	s_delay_alu instid0(VALU_DEP_1)
	v_add3_u32 v158, v0, v1, 0x7fff
                                        ; implicit-def: $vgpr0
; %bb.186:                              ;   in Loop: Header=BB460_8 Depth=1
	s_and_not1_saveexec_b32 s2, s1
; %bb.187:                              ;   in Loop: Header=BB460_8 Depth=1
	v_and_b32_e32 v1, 0xffff, v0
	v_or_b32_e32 v2, 0x10000, v0
	s_delay_alu instid0(VALU_DEP_2) | instskip(NEXT) | instid1(VALU_DEP_1)
	v_cmp_eq_u32_e64 s1, 0, v1
	v_cndmask_b32_e64 v158, v2, v0, s1
; %bb.188:                              ;   in Loop: Header=BB460_8 Depth=1
	s_or_b32 exec_lo, exec_lo, s2
	v_mov_b32_e32 v1, 0
	s_mov_b32 s2, exec_lo
	v_cmpx_lt_u64_e64 s[8:9], v[30:31]
	s_cbranch_execz .LBB460_196
; %bb.189:                              ;   in Loop: Header=BB460_8 Depth=1
	v_lshrrev_b32_e32 v0, 24, v31
	v_bfrev_b32_e32 v1, 1
	s_mov_b32 s18, exec_lo
	s_delay_alu instid0(VALU_DEP_2)
	v_cmpx_ne_u32_e32 0x80, v0
	s_cbranch_execz .LBB460_195
; %bb.190:                              ;   in Loop: Header=BB460_8 Depth=1
	v_bfe_u32 v2, v31, 24, 7
	v_mov_b32_e32 v1, 0x7f800001
	s_mov_b32 s19, exec_lo
	s_delay_alu instid0(VALU_DEP_2)
	v_cmpx_ne_u32_e32 0x7f, v2
	s_cbranch_execz .LBB460_194
; %bb.191:                              ;   in Loop: Header=BB460_8 Depth=1
	v_and_b32_e32 v18, 7, v0
	v_lshrrev_b32_e32 v1, 3, v2
	v_mov_b32_e32 v31, v19
	s_mov_b32 s20, exec_lo
	s_delay_alu instid0(VALU_DEP_3)
	v_mov_b32_e32 v30, v18
	v_cmpx_gt_u32_e32 8, v2
; %bb.192:                              ;   in Loop: Header=BB460_8 Depth=1
	v_clz_i32_u32_e32 v1, v18
	s_delay_alu instid0(VALU_DEP_1) | instskip(NEXT) | instid1(VALU_DEP_1)
	v_min_u32_e32 v1, 32, v1
	v_subrev_nc_u32_e32 v2, 28, v1
	v_sub_nc_u32_e32 v1, 29, v1
	s_delay_alu instid0(VALU_DEP_2) | instskip(NEXT) | instid1(VALU_DEP_1)
	v_lshlrev_b64 v[2:3], v2, v[18:19]
	v_and_b32_e32 v30, 7, v2
; %bb.193:                              ;   in Loop: Header=BB460_8 Depth=1
	s_or_b32 exec_lo, exec_lo, s20
	v_lshlrev_b32_e32 v0, 24, v0
	s_delay_alu instid0(VALU_DEP_2) | instskip(SKIP_1) | instid1(VALU_DEP_3)
	v_lshlrev_b32_e32 v2, 20, v30
	v_lshl_add_u32 v1, v1, 23, 0x3c000000
	v_and_b32_e32 v0, 0x80000000, v0
	s_delay_alu instid0(VALU_DEP_1)
	v_or3_b32 v1, v2, v0, v1
.LBB460_194:                            ;   in Loop: Header=BB460_8 Depth=1
	s_or_b32 exec_lo, exec_lo, s19
.LBB460_195:                            ;   in Loop: Header=BB460_8 Depth=1
	s_delay_alu instid0(SALU_CYCLE_1)
	s_or_b32 exec_lo, exec_lo, s18
.LBB460_196:                            ;   in Loop: Header=BB460_8 Depth=1
	s_delay_alu instid0(SALU_CYCLE_1) | instskip(NEXT) | instid1(VALU_DEP_1)
	s_or_b32 exec_lo, exec_lo, s2
	v_mul_f32_e32 v0, v136, v1
                                        ; implicit-def: $vgpr159
	s_delay_alu instid0(VALU_DEP_1) | instskip(NEXT) | instid1(VALU_DEP_1)
	v_and_b32_e32 v1, 0x7f800000, v0
	v_cmp_ne_u32_e64 s1, 0x7f800000, v1
	s_delay_alu instid0(VALU_DEP_1) | instskip(NEXT) | instid1(SALU_CYCLE_1)
	s_and_saveexec_b32 s2, s1
	s_xor_b32 s1, exec_lo, s2
; %bb.197:                              ;   in Loop: Header=BB460_8 Depth=1
	v_bfe_u32 v1, v0, 16, 1
	s_delay_alu instid0(VALU_DEP_1)
	v_add3_u32 v159, v0, v1, 0x7fff
                                        ; implicit-def: $vgpr0
; %bb.198:                              ;   in Loop: Header=BB460_8 Depth=1
	s_and_not1_saveexec_b32 s2, s1
; %bb.199:                              ;   in Loop: Header=BB460_8 Depth=1
	v_and_b32_e32 v1, 0xffff, v0
	v_or_b32_e32 v2, 0x10000, v0
	s_delay_alu instid0(VALU_DEP_2) | instskip(NEXT) | instid1(VALU_DEP_1)
	v_cmp_eq_u32_e64 s1, 0, v1
	v_cndmask_b32_e64 v159, v2, v0, s1
; %bb.200:                              ;   in Loop: Header=BB460_8 Depth=1
	s_or_b32 exec_lo, exec_lo, s2
	flat_load_b64 v[30:31], v[28:29] offset:512
	s_mov_b32 s2, exec_lo
	s_waitcnt vmcnt(0) lgkmcnt(0)
	v_dual_mov_b32 v0, 0 :: v_dual_and_b32 v1, 0xff, v30
	s_delay_alu instid0(VALU_DEP_1)
	v_cmpx_ne_u16_e32 0, v1
	s_cbranch_execz .LBB460_208
; %bb.201:                              ;   in Loop: Header=BB460_8 Depth=1
	v_bfrev_b32_e32 v0, 1
	s_mov_b32 s18, exec_lo
	v_cmpx_ne_u16_e32 0x80, v1
	s_cbranch_execz .LBB460_207
; %bb.202:                              ;   in Loop: Header=BB460_8 Depth=1
	v_and_b32_e32 v1, 0x7f, v30
	v_mov_b32_e32 v0, 0x7f800001
	s_mov_b32 s19, exec_lo
	s_delay_alu instid0(VALU_DEP_2)
	v_cmpx_ne_u32_e32 0x7f, v1
	s_cbranch_execz .LBB460_206
; %bb.203:                              ;   in Loop: Header=BB460_8 Depth=1
	v_lshrrev_b32_e32 v0, 3, v1
	v_dual_mov_b32 v33, v31 :: v_dual_mov_b32 v32, v30
	s_mov_b32 s20, exec_lo
	v_cmpx_gt_u32_e32 8, v1
; %bb.204:                              ;   in Loop: Header=BB460_8 Depth=1
	v_and_b32_e32 v0, 7, v30
	s_delay_alu instid0(VALU_DEP_1) | instskip(NEXT) | instid1(VALU_DEP_1)
	v_clz_i32_u32_e32 v0, v0
	v_min_u32_e32 v0, 32, v0
	s_delay_alu instid0(VALU_DEP_1) | instskip(SKIP_1) | instid1(VALU_DEP_2)
	v_subrev_nc_u32_e32 v1, 28, v0
	v_sub_nc_u32_e32 v0, 29, v0
	v_lshlrev_b64 v[32:33], v1, v[30:31]
; %bb.205:                              ;   in Loop: Header=BB460_8 Depth=1
	s_or_b32 exec_lo, exec_lo, s20
	s_delay_alu instid0(VALU_DEP_1) | instskip(SKIP_2) | instid1(VALU_DEP_3)
	v_lshlrev_b32_e32 v1, 20, v32
	v_lshlrev_b32_e32 v2, 24, v30
	v_lshl_add_u32 v0, v0, 23, 0x3c000000
	v_and_b32_e32 v1, 0x700000, v1
	s_delay_alu instid0(VALU_DEP_3) | instskip(NEXT) | instid1(VALU_DEP_1)
	v_and_b32_e32 v2, 0x80000000, v2
	v_or3_b32 v0, v1, v2, v0
.LBB460_206:                            ;   in Loop: Header=BB460_8 Depth=1
	s_or_b32 exec_lo, exec_lo, s19
.LBB460_207:                            ;   in Loop: Header=BB460_8 Depth=1
	s_delay_alu instid0(SALU_CYCLE_1)
	s_or_b32 exec_lo, exec_lo, s18
.LBB460_208:                            ;   in Loop: Header=BB460_8 Depth=1
	s_delay_alu instid0(SALU_CYCLE_1) | instskip(NEXT) | instid1(VALU_DEP_1)
	s_or_b32 exec_lo, exec_lo, s2
	v_mul_f32_e32 v0, v136, v0
                                        ; implicit-def: $vgpr168
	s_delay_alu instid0(VALU_DEP_1) | instskip(NEXT) | instid1(VALU_DEP_1)
	v_and_b32_e32 v1, 0x7f800000, v0
	v_cmp_ne_u32_e64 s1, 0x7f800000, v1
	s_delay_alu instid0(VALU_DEP_1) | instskip(NEXT) | instid1(SALU_CYCLE_1)
	s_and_saveexec_b32 s2, s1
	s_xor_b32 s1, exec_lo, s2
; %bb.209:                              ;   in Loop: Header=BB460_8 Depth=1
	v_bfe_u32 v1, v0, 16, 1
	s_delay_alu instid0(VALU_DEP_1)
	v_add3_u32 v168, v0, v1, 0x7fff
                                        ; implicit-def: $vgpr0
; %bb.210:                              ;   in Loop: Header=BB460_8 Depth=1
	s_and_not1_saveexec_b32 s2, s1
; %bb.211:                              ;   in Loop: Header=BB460_8 Depth=1
	v_and_b32_e32 v1, 0xffff, v0
	v_or_b32_e32 v2, 0x10000, v0
	s_delay_alu instid0(VALU_DEP_2) | instskip(NEXT) | instid1(VALU_DEP_1)
	v_cmp_eq_u32_e64 s1, 0, v1
	v_cndmask_b32_e64 v168, v2, v0, s1
; %bb.212:                              ;   in Loop: Header=BB460_8 Depth=1
	s_or_b32 exec_lo, exec_lo, s2
	v_lshrrev_b16 v1, 8, v30
	v_mov_b32_e32 v0, 0
	s_mov_b32 s2, exec_lo
	s_delay_alu instid0(VALU_DEP_2)
	v_cmpx_ne_u16_e32 0, v1
	s_cbranch_execz .LBB460_220
; %bb.213:                              ;   in Loop: Header=BB460_8 Depth=1
	v_bfrev_b32_e32 v0, 1
	s_mov_b32 s18, exec_lo
	v_cmpx_ne_u16_e32 0x80, v1
	s_cbranch_execz .LBB460_219
; %bb.214:                              ;   in Loop: Header=BB460_8 Depth=1
	v_and_b32_e32 v2, 0xffff, v1
	v_mov_b32_e32 v0, 0x7f800001
	s_mov_b32 s19, exec_lo
	s_delay_alu instid0(VALU_DEP_2) | instskip(NEXT) | instid1(VALU_DEP_1)
	v_and_b32_e32 v1, 0x7f, v2
	v_cmpx_ne_u32_e32 0x7f, v1
	s_cbranch_execz .LBB460_218
; %bb.215:                              ;   in Loop: Header=BB460_8 Depth=1
	v_and_b32_e32 v18, 7, v2
	v_lshrrev_b32_e32 v0, 3, v1
	v_mov_b32_e32 v33, v19
	s_mov_b32 s20, exec_lo
	s_delay_alu instid0(VALU_DEP_3)
	v_mov_b32_e32 v32, v18
	v_cmpx_gt_u32_e32 8, v1
; %bb.216:                              ;   in Loop: Header=BB460_8 Depth=1
	v_clz_i32_u32_e32 v0, v18
	s_delay_alu instid0(VALU_DEP_1) | instskip(NEXT) | instid1(VALU_DEP_1)
	v_min_u32_e32 v0, 32, v0
	v_subrev_nc_u32_e32 v1, 28, v0
	v_sub_nc_u32_e32 v0, 29, v0
	s_delay_alu instid0(VALU_DEP_2) | instskip(NEXT) | instid1(VALU_DEP_1)
	v_lshlrev_b64 v[1:2], v1, v[18:19]
	v_and_b32_e32 v32, 7, v1
; %bb.217:                              ;   in Loop: Header=BB460_8 Depth=1
	s_or_b32 exec_lo, exec_lo, s20
	v_lshlrev_b32_e32 v1, 16, v30
	s_delay_alu instid0(VALU_DEP_2) | instskip(SKIP_1) | instid1(VALU_DEP_3)
	v_lshlrev_b32_e32 v2, 20, v32
	v_lshl_add_u32 v0, v0, 23, 0x3c000000
	v_and_b32_e32 v1, 0x80000000, v1
	s_delay_alu instid0(VALU_DEP_1)
	v_or3_b32 v0, v2, v1, v0
.LBB460_218:                            ;   in Loop: Header=BB460_8 Depth=1
	s_or_b32 exec_lo, exec_lo, s19
.LBB460_219:                            ;   in Loop: Header=BB460_8 Depth=1
	s_delay_alu instid0(SALU_CYCLE_1)
	s_or_b32 exec_lo, exec_lo, s18
.LBB460_220:                            ;   in Loop: Header=BB460_8 Depth=1
	s_delay_alu instid0(SALU_CYCLE_1) | instskip(NEXT) | instid1(VALU_DEP_1)
	s_or_b32 exec_lo, exec_lo, s2
	v_mul_f32_e32 v0, v136, v0
                                        ; implicit-def: $vgpr169
	s_delay_alu instid0(VALU_DEP_1) | instskip(NEXT) | instid1(VALU_DEP_1)
	v_and_b32_e32 v1, 0x7f800000, v0
	v_cmp_ne_u32_e64 s1, 0x7f800000, v1
	s_delay_alu instid0(VALU_DEP_1) | instskip(NEXT) | instid1(SALU_CYCLE_1)
	s_and_saveexec_b32 s2, s1
	s_xor_b32 s1, exec_lo, s2
; %bb.221:                              ;   in Loop: Header=BB460_8 Depth=1
	v_bfe_u32 v1, v0, 16, 1
	s_delay_alu instid0(VALU_DEP_1)
	v_add3_u32 v169, v0, v1, 0x7fff
                                        ; implicit-def: $vgpr0
; %bb.222:                              ;   in Loop: Header=BB460_8 Depth=1
	s_and_not1_saveexec_b32 s2, s1
; %bb.223:                              ;   in Loop: Header=BB460_8 Depth=1
	v_and_b32_e32 v1, 0xffff, v0
	v_or_b32_e32 v2, 0x10000, v0
	s_delay_alu instid0(VALU_DEP_2) | instskip(NEXT) | instid1(VALU_DEP_1)
	v_cmp_eq_u32_e64 s1, 0, v1
	v_cndmask_b32_e64 v169, v2, v0, s1
; %bb.224:                              ;   in Loop: Header=BB460_8 Depth=1
	s_or_b32 exec_lo, exec_lo, s2
	v_lshrrev_b32_e32 v0, 16, v30
	s_mov_b32 s2, exec_lo
	s_delay_alu instid0(VALU_DEP_1) | instskip(NEXT) | instid1(VALU_DEP_1)
	v_dual_mov_b32 v1, 0 :: v_dual_and_b32 v2, 0xff, v0
	v_cmpx_ne_u16_e32 0, v2
	s_cbranch_execz .LBB460_232
; %bb.225:                              ;   in Loop: Header=BB460_8 Depth=1
	v_bfrev_b32_e32 v1, 1
	s_mov_b32 s18, exec_lo
	v_cmpx_ne_u16_e32 0x80, v2
	s_cbranch_execz .LBB460_231
; %bb.226:                              ;   in Loop: Header=BB460_8 Depth=1
	v_bfe_u32 v2, v30, 16, 7
	v_mov_b32_e32 v1, 0x7f800001
	s_mov_b32 s19, exec_lo
	s_delay_alu instid0(VALU_DEP_2)
	v_cmpx_ne_u32_e32 0x7f, v2
	s_cbranch_execz .LBB460_230
; %bb.227:                              ;   in Loop: Header=BB460_8 Depth=1
	v_and_b32_e32 v18, 7, v0
	v_lshrrev_b32_e32 v1, 3, v2
	v_mov_b32_e32 v33, v19
	s_mov_b32 s20, exec_lo
	s_delay_alu instid0(VALU_DEP_3)
	v_mov_b32_e32 v32, v18
	v_cmpx_gt_u32_e32 8, v2
; %bb.228:                              ;   in Loop: Header=BB460_8 Depth=1
	v_clz_i32_u32_e32 v1, v18
	s_delay_alu instid0(VALU_DEP_1) | instskip(NEXT) | instid1(VALU_DEP_1)
	v_min_u32_e32 v1, 32, v1
	v_subrev_nc_u32_e32 v2, 28, v1
	v_sub_nc_u32_e32 v1, 29, v1
	s_delay_alu instid0(VALU_DEP_2) | instskip(NEXT) | instid1(VALU_DEP_1)
	v_lshlrev_b64 v[2:3], v2, v[18:19]
	v_and_b32_e32 v32, 7, v2
; %bb.229:                              ;   in Loop: Header=BB460_8 Depth=1
	s_or_b32 exec_lo, exec_lo, s20
	v_lshlrev_b32_e32 v0, 24, v0
	s_delay_alu instid0(VALU_DEP_2) | instskip(SKIP_1) | instid1(VALU_DEP_3)
	v_lshlrev_b32_e32 v2, 20, v32
	v_lshl_add_u32 v1, v1, 23, 0x3c000000
	v_and_b32_e32 v0, 0x80000000, v0
	s_delay_alu instid0(VALU_DEP_1)
	v_or3_b32 v1, v2, v0, v1
.LBB460_230:                            ;   in Loop: Header=BB460_8 Depth=1
	s_or_b32 exec_lo, exec_lo, s19
.LBB460_231:                            ;   in Loop: Header=BB460_8 Depth=1
	s_delay_alu instid0(SALU_CYCLE_1)
	s_or_b32 exec_lo, exec_lo, s18
.LBB460_232:                            ;   in Loop: Header=BB460_8 Depth=1
	s_delay_alu instid0(SALU_CYCLE_1) | instskip(NEXT) | instid1(VALU_DEP_1)
	s_or_b32 exec_lo, exec_lo, s2
	v_mul_f32_e32 v0, v136, v1
                                        ; implicit-def: $vgpr170
	s_delay_alu instid0(VALU_DEP_1) | instskip(NEXT) | instid1(VALU_DEP_1)
	v_and_b32_e32 v1, 0x7f800000, v0
	v_cmp_ne_u32_e64 s1, 0x7f800000, v1
	s_delay_alu instid0(VALU_DEP_1) | instskip(NEXT) | instid1(SALU_CYCLE_1)
	s_and_saveexec_b32 s2, s1
	s_xor_b32 s1, exec_lo, s2
; %bb.233:                              ;   in Loop: Header=BB460_8 Depth=1
	v_bfe_u32 v1, v0, 16, 1
	s_delay_alu instid0(VALU_DEP_1)
	v_add3_u32 v170, v0, v1, 0x7fff
                                        ; implicit-def: $vgpr0
; %bb.234:                              ;   in Loop: Header=BB460_8 Depth=1
	s_and_not1_saveexec_b32 s2, s1
; %bb.235:                              ;   in Loop: Header=BB460_8 Depth=1
	v_and_b32_e32 v1, 0xffff, v0
	v_or_b32_e32 v2, 0x10000, v0
	s_delay_alu instid0(VALU_DEP_2) | instskip(NEXT) | instid1(VALU_DEP_1)
	v_cmp_eq_u32_e64 s1, 0, v1
	v_cndmask_b32_e64 v170, v2, v0, s1
; %bb.236:                              ;   in Loop: Header=BB460_8 Depth=1
	s_or_b32 exec_lo, exec_lo, s2
	v_mov_b32_e32 v1, 0
	s_mov_b32 s2, exec_lo
	v_cmpx_lt_u32_e32 0xffffff, v30
	s_cbranch_execz .LBB460_244
; %bb.237:                              ;   in Loop: Header=BB460_8 Depth=1
	v_lshrrev_b32_e32 v0, 24, v30
	v_bfrev_b32_e32 v1, 1
	s_mov_b32 s18, exec_lo
	s_delay_alu instid0(VALU_DEP_2)
	v_cmpx_ne_u32_e32 0x80, v0
	s_cbranch_execz .LBB460_243
; %bb.238:                              ;   in Loop: Header=BB460_8 Depth=1
	v_bfe_u32 v2, v30, 24, 7
	v_mov_b32_e32 v1, 0x7f800001
	s_mov_b32 s19, exec_lo
	s_delay_alu instid0(VALU_DEP_2)
	v_cmpx_ne_u32_e32 0x7f, v2
	s_cbranch_execz .LBB460_242
; %bb.239:                              ;   in Loop: Header=BB460_8 Depth=1
	v_and_b32_e32 v18, 7, v0
	v_lshrrev_b32_e32 v1, 3, v2
	v_mov_b32_e32 v33, v19
	s_mov_b32 s20, exec_lo
	s_delay_alu instid0(VALU_DEP_3)
	v_mov_b32_e32 v32, v18
	v_cmpx_gt_u32_e32 8, v2
; %bb.240:                              ;   in Loop: Header=BB460_8 Depth=1
	v_clz_i32_u32_e32 v1, v18
	s_delay_alu instid0(VALU_DEP_1) | instskip(NEXT) | instid1(VALU_DEP_1)
	v_min_u32_e32 v1, 32, v1
	v_subrev_nc_u32_e32 v2, 28, v1
	v_sub_nc_u32_e32 v1, 29, v1
	s_delay_alu instid0(VALU_DEP_2) | instskip(NEXT) | instid1(VALU_DEP_1)
	v_lshlrev_b64 v[2:3], v2, v[18:19]
	v_and_b32_e32 v32, 7, v2
; %bb.241:                              ;   in Loop: Header=BB460_8 Depth=1
	s_or_b32 exec_lo, exec_lo, s20
	v_lshlrev_b32_e32 v0, 24, v0
	s_delay_alu instid0(VALU_DEP_2) | instskip(SKIP_1) | instid1(VALU_DEP_3)
	v_lshlrev_b32_e32 v2, 20, v32
	v_lshl_add_u32 v1, v1, 23, 0x3c000000
	v_and_b32_e32 v0, 0x80000000, v0
	s_delay_alu instid0(VALU_DEP_1)
	v_or3_b32 v1, v2, v0, v1
.LBB460_242:                            ;   in Loop: Header=BB460_8 Depth=1
	s_or_b32 exec_lo, exec_lo, s19
.LBB460_243:                            ;   in Loop: Header=BB460_8 Depth=1
	s_delay_alu instid0(SALU_CYCLE_1)
	s_or_b32 exec_lo, exec_lo, s18
.LBB460_244:                            ;   in Loop: Header=BB460_8 Depth=1
	s_delay_alu instid0(SALU_CYCLE_1) | instskip(NEXT) | instid1(VALU_DEP_1)
	s_or_b32 exec_lo, exec_lo, s2
	v_mul_f32_e32 v0, v136, v1
                                        ; implicit-def: $vgpr171
	s_delay_alu instid0(VALU_DEP_1) | instskip(NEXT) | instid1(VALU_DEP_1)
	v_and_b32_e32 v1, 0x7f800000, v0
	v_cmp_ne_u32_e64 s1, 0x7f800000, v1
	s_delay_alu instid0(VALU_DEP_1) | instskip(NEXT) | instid1(SALU_CYCLE_1)
	s_and_saveexec_b32 s2, s1
	s_xor_b32 s1, exec_lo, s2
; %bb.245:                              ;   in Loop: Header=BB460_8 Depth=1
	v_bfe_u32 v1, v0, 16, 1
	s_delay_alu instid0(VALU_DEP_1)
	v_add3_u32 v171, v0, v1, 0x7fff
                                        ; implicit-def: $vgpr0
; %bb.246:                              ;   in Loop: Header=BB460_8 Depth=1
	s_and_not1_saveexec_b32 s2, s1
; %bb.247:                              ;   in Loop: Header=BB460_8 Depth=1
	v_and_b32_e32 v1, 0xffff, v0
	v_or_b32_e32 v2, 0x10000, v0
	s_delay_alu instid0(VALU_DEP_2) | instskip(NEXT) | instid1(VALU_DEP_1)
	v_cmp_eq_u32_e64 s1, 0, v1
	v_cndmask_b32_e64 v171, v2, v0, s1
; %bb.248:                              ;   in Loop: Header=BB460_8 Depth=1
	s_or_b32 exec_lo, exec_lo, s2
	v_dual_mov_b32 v18, v31 :: v_dual_and_b32 v1, 0xff, v31
	v_mov_b32_e32 v0, 0
	s_mov_b32 s2, exec_lo
	s_delay_alu instid0(VALU_DEP_2)
	v_cmpx_ne_u16_e32 0, v1
	s_cbranch_execz .LBB460_256
; %bb.249:                              ;   in Loop: Header=BB460_8 Depth=1
	v_bfrev_b32_e32 v0, 1
	s_mov_b32 s18, exec_lo
	v_cmpx_ne_u16_e32 0x80, v1
	s_cbranch_execz .LBB460_255
; %bb.250:                              ;   in Loop: Header=BB460_8 Depth=1
	v_and_b32_e32 v1, 0x7f, v31
	v_mov_b32_e32 v0, 0x7f800001
	s_mov_b32 s19, exec_lo
	s_delay_alu instid0(VALU_DEP_2)
	v_cmpx_ne_u32_e32 0x7f, v1
	s_cbranch_execz .LBB460_254
; %bb.251:                              ;   in Loop: Header=BB460_8 Depth=1
	v_lshrrev_b32_e32 v0, 3, v1
	v_dual_mov_b32 v33, v19 :: v_dual_mov_b32 v32, v18
	s_mov_b32 s20, exec_lo
	v_cmpx_gt_u32_e32 8, v1
; %bb.252:                              ;   in Loop: Header=BB460_8 Depth=1
	v_and_b32_e32 v0, 7, v31
	s_delay_alu instid0(VALU_DEP_1) | instskip(NEXT) | instid1(VALU_DEP_1)
	v_clz_i32_u32_e32 v0, v0
	v_min_u32_e32 v0, 32, v0
	s_delay_alu instid0(VALU_DEP_1) | instskip(SKIP_1) | instid1(VALU_DEP_2)
	v_subrev_nc_u32_e32 v1, 28, v0
	v_sub_nc_u32_e32 v0, 29, v0
	v_lshlrev_b64 v[32:33], v1, v[18:19]
; %bb.253:                              ;   in Loop: Header=BB460_8 Depth=1
	s_or_b32 exec_lo, exec_lo, s20
	s_delay_alu instid0(VALU_DEP_1) | instskip(SKIP_2) | instid1(VALU_DEP_3)
	v_lshlrev_b32_e32 v1, 20, v32
	v_lshlrev_b32_e32 v2, 24, v18
	v_lshl_add_u32 v0, v0, 23, 0x3c000000
	v_and_b32_e32 v1, 0x700000, v1
	s_delay_alu instid0(VALU_DEP_3) | instskip(NEXT) | instid1(VALU_DEP_1)
	v_and_b32_e32 v2, 0x80000000, v2
	v_or3_b32 v0, v1, v2, v0
.LBB460_254:                            ;   in Loop: Header=BB460_8 Depth=1
	s_or_b32 exec_lo, exec_lo, s19
.LBB460_255:                            ;   in Loop: Header=BB460_8 Depth=1
	s_delay_alu instid0(SALU_CYCLE_1)
	s_or_b32 exec_lo, exec_lo, s18
.LBB460_256:                            ;   in Loop: Header=BB460_8 Depth=1
	s_delay_alu instid0(SALU_CYCLE_1) | instskip(NEXT) | instid1(VALU_DEP_1)
	s_or_b32 exec_lo, exec_lo, s2
	v_mul_f32_e32 v0, v136, v0
                                        ; implicit-def: $vgpr172
	s_delay_alu instid0(VALU_DEP_1) | instskip(NEXT) | instid1(VALU_DEP_1)
	v_and_b32_e32 v1, 0x7f800000, v0
	v_cmp_ne_u32_e64 s1, 0x7f800000, v1
	s_delay_alu instid0(VALU_DEP_1) | instskip(NEXT) | instid1(SALU_CYCLE_1)
	s_and_saveexec_b32 s2, s1
	s_xor_b32 s1, exec_lo, s2
; %bb.257:                              ;   in Loop: Header=BB460_8 Depth=1
	v_bfe_u32 v1, v0, 16, 1
	s_delay_alu instid0(VALU_DEP_1)
	v_add3_u32 v172, v0, v1, 0x7fff
                                        ; implicit-def: $vgpr0
; %bb.258:                              ;   in Loop: Header=BB460_8 Depth=1
	s_and_not1_saveexec_b32 s2, s1
; %bb.259:                              ;   in Loop: Header=BB460_8 Depth=1
	v_and_b32_e32 v1, 0xffff, v0
	v_or_b32_e32 v2, 0x10000, v0
	s_delay_alu instid0(VALU_DEP_2) | instskip(NEXT) | instid1(VALU_DEP_1)
	v_cmp_eq_u32_e64 s1, 0, v1
	v_cndmask_b32_e64 v172, v2, v0, s1
; %bb.260:                              ;   in Loop: Header=BB460_8 Depth=1
	s_or_b32 exec_lo, exec_lo, s2
	v_lshrrev_b16 v1, 8, v18
	v_mov_b32_e32 v0, 0
	s_mov_b32 s2, exec_lo
	s_delay_alu instid0(VALU_DEP_2)
	v_cmpx_ne_u16_e32 0, v1
	s_cbranch_execz .LBB460_268
; %bb.261:                              ;   in Loop: Header=BB460_8 Depth=1
	v_bfrev_b32_e32 v0, 1
	s_mov_b32 s18, exec_lo
	v_cmpx_ne_u16_e32 0x80, v1
	s_cbranch_execz .LBB460_267
; %bb.262:                              ;   in Loop: Header=BB460_8 Depth=1
	v_and_b32_e32 v2, 0xffff, v1
	v_mov_b32_e32 v0, 0x7f800001
	s_mov_b32 s19, exec_lo
	s_delay_alu instid0(VALU_DEP_2) | instskip(NEXT) | instid1(VALU_DEP_1)
	v_and_b32_e32 v1, 0x7f, v2
	v_cmpx_ne_u32_e32 0x7f, v1
	s_cbranch_execz .LBB460_266
; %bb.263:                              ;   in Loop: Header=BB460_8 Depth=1
	v_dual_mov_b32 v33, v19 :: v_dual_and_b32 v32, 7, v2
	v_lshrrev_b32_e32 v0, 3, v1
	s_mov_b32 s20, exec_lo
	v_cmpx_gt_u32_e32 8, v1
; %bb.264:                              ;   in Loop: Header=BB460_8 Depth=1
	s_delay_alu instid0(VALU_DEP_3) | instskip(NEXT) | instid1(VALU_DEP_1)
	v_clz_i32_u32_e32 v0, v32
	v_min_u32_e32 v0, 32, v0
	s_delay_alu instid0(VALU_DEP_1) | instskip(SKIP_1) | instid1(VALU_DEP_2)
	v_subrev_nc_u32_e32 v1, 28, v0
	v_sub_nc_u32_e32 v0, 29, v0
	v_lshlrev_b64 v[1:2], v1, v[32:33]
	s_delay_alu instid0(VALU_DEP_1)
	v_and_b32_e32 v32, 7, v1
; %bb.265:                              ;   in Loop: Header=BB460_8 Depth=1
	s_or_b32 exec_lo, exec_lo, s20
	v_lshlrev_b32_e32 v1, 16, v18
	s_delay_alu instid0(VALU_DEP_2) | instskip(SKIP_1) | instid1(VALU_DEP_3)
	v_lshlrev_b32_e32 v2, 20, v32
	v_lshl_add_u32 v0, v0, 23, 0x3c000000
	v_and_b32_e32 v1, 0x80000000, v1
	s_delay_alu instid0(VALU_DEP_1)
	v_or3_b32 v0, v2, v1, v0
.LBB460_266:                            ;   in Loop: Header=BB460_8 Depth=1
	s_or_b32 exec_lo, exec_lo, s19
.LBB460_267:                            ;   in Loop: Header=BB460_8 Depth=1
	s_delay_alu instid0(SALU_CYCLE_1)
	s_or_b32 exec_lo, exec_lo, s18
.LBB460_268:                            ;   in Loop: Header=BB460_8 Depth=1
	s_delay_alu instid0(SALU_CYCLE_1) | instskip(NEXT) | instid1(VALU_DEP_1)
	s_or_b32 exec_lo, exec_lo, s2
	v_mul_f32_e32 v0, v136, v0
                                        ; implicit-def: $vgpr173
	s_delay_alu instid0(VALU_DEP_1) | instskip(NEXT) | instid1(VALU_DEP_1)
	v_and_b32_e32 v1, 0x7f800000, v0
	v_cmp_ne_u32_e64 s1, 0x7f800000, v1
	s_delay_alu instid0(VALU_DEP_1) | instskip(NEXT) | instid1(SALU_CYCLE_1)
	s_and_saveexec_b32 s2, s1
	s_xor_b32 s1, exec_lo, s2
; %bb.269:                              ;   in Loop: Header=BB460_8 Depth=1
	v_bfe_u32 v1, v0, 16, 1
	s_delay_alu instid0(VALU_DEP_1)
	v_add3_u32 v173, v0, v1, 0x7fff
                                        ; implicit-def: $vgpr0
; %bb.270:                              ;   in Loop: Header=BB460_8 Depth=1
	s_and_not1_saveexec_b32 s2, s1
; %bb.271:                              ;   in Loop: Header=BB460_8 Depth=1
	v_and_b32_e32 v1, 0xffff, v0
	v_or_b32_e32 v2, 0x10000, v0
	s_delay_alu instid0(VALU_DEP_2) | instskip(NEXT) | instid1(VALU_DEP_1)
	v_cmp_eq_u32_e64 s1, 0, v1
	v_cndmask_b32_e64 v173, v2, v0, s1
; %bb.272:                              ;   in Loop: Header=BB460_8 Depth=1
	s_or_b32 exec_lo, exec_lo, s2
	v_lshrrev_b32_e32 v0, 16, v31
	s_mov_b32 s2, exec_lo
	s_delay_alu instid0(VALU_DEP_1) | instskip(NEXT) | instid1(VALU_DEP_1)
	v_dual_mov_b32 v1, 0 :: v_dual_and_b32 v2, 0xff, v0
	v_cmpx_ne_u16_e32 0, v2
	s_cbranch_execz .LBB460_280
; %bb.273:                              ;   in Loop: Header=BB460_8 Depth=1
	v_bfrev_b32_e32 v1, 1
	s_mov_b32 s18, exec_lo
	v_cmpx_ne_u16_e32 0x80, v2
	s_cbranch_execz .LBB460_279
; %bb.274:                              ;   in Loop: Header=BB460_8 Depth=1
	v_bfe_u32 v2, v31, 16, 7
	v_mov_b32_e32 v1, 0x7f800001
	s_mov_b32 s19, exec_lo
	s_delay_alu instid0(VALU_DEP_2)
	v_cmpx_ne_u32_e32 0x7f, v2
	s_cbranch_execz .LBB460_278
; %bb.275:                              ;   in Loop: Header=BB460_8 Depth=1
	v_and_b32_e32 v18, 7, v0
	v_lshrrev_b32_e32 v1, 3, v2
	v_mov_b32_e32 v33, v19
	s_mov_b32 s20, exec_lo
	s_delay_alu instid0(VALU_DEP_3)
	v_mov_b32_e32 v32, v18
	v_cmpx_gt_u32_e32 8, v2
; %bb.276:                              ;   in Loop: Header=BB460_8 Depth=1
	v_clz_i32_u32_e32 v1, v18
	s_delay_alu instid0(VALU_DEP_1) | instskip(NEXT) | instid1(VALU_DEP_1)
	v_min_u32_e32 v1, 32, v1
	v_subrev_nc_u32_e32 v2, 28, v1
	v_sub_nc_u32_e32 v1, 29, v1
	s_delay_alu instid0(VALU_DEP_2) | instskip(NEXT) | instid1(VALU_DEP_1)
	v_lshlrev_b64 v[2:3], v2, v[18:19]
	v_and_b32_e32 v32, 7, v2
; %bb.277:                              ;   in Loop: Header=BB460_8 Depth=1
	s_or_b32 exec_lo, exec_lo, s20
	v_lshlrev_b32_e32 v0, 24, v0
	s_delay_alu instid0(VALU_DEP_2) | instskip(SKIP_1) | instid1(VALU_DEP_3)
	v_lshlrev_b32_e32 v2, 20, v32
	v_lshl_add_u32 v1, v1, 23, 0x3c000000
	v_and_b32_e32 v0, 0x80000000, v0
	s_delay_alu instid0(VALU_DEP_1)
	v_or3_b32 v1, v2, v0, v1
.LBB460_278:                            ;   in Loop: Header=BB460_8 Depth=1
	s_or_b32 exec_lo, exec_lo, s19
.LBB460_279:                            ;   in Loop: Header=BB460_8 Depth=1
	s_delay_alu instid0(SALU_CYCLE_1)
	s_or_b32 exec_lo, exec_lo, s18
.LBB460_280:                            ;   in Loop: Header=BB460_8 Depth=1
	s_delay_alu instid0(SALU_CYCLE_1) | instskip(NEXT) | instid1(VALU_DEP_1)
	s_or_b32 exec_lo, exec_lo, s2
	v_mul_f32_e32 v0, v136, v1
                                        ; implicit-def: $vgpr174
	s_delay_alu instid0(VALU_DEP_1) | instskip(NEXT) | instid1(VALU_DEP_1)
	v_and_b32_e32 v1, 0x7f800000, v0
	v_cmp_ne_u32_e64 s1, 0x7f800000, v1
	s_delay_alu instid0(VALU_DEP_1) | instskip(NEXT) | instid1(SALU_CYCLE_1)
	s_and_saveexec_b32 s2, s1
	s_xor_b32 s1, exec_lo, s2
; %bb.281:                              ;   in Loop: Header=BB460_8 Depth=1
	v_bfe_u32 v1, v0, 16, 1
	s_delay_alu instid0(VALU_DEP_1)
	v_add3_u32 v174, v0, v1, 0x7fff
                                        ; implicit-def: $vgpr0
; %bb.282:                              ;   in Loop: Header=BB460_8 Depth=1
	s_and_not1_saveexec_b32 s2, s1
; %bb.283:                              ;   in Loop: Header=BB460_8 Depth=1
	v_and_b32_e32 v1, 0xffff, v0
	v_or_b32_e32 v2, 0x10000, v0
	s_delay_alu instid0(VALU_DEP_2) | instskip(NEXT) | instid1(VALU_DEP_1)
	v_cmp_eq_u32_e64 s1, 0, v1
	v_cndmask_b32_e64 v174, v2, v0, s1
; %bb.284:                              ;   in Loop: Header=BB460_8 Depth=1
	s_or_b32 exec_lo, exec_lo, s2
	v_mov_b32_e32 v1, 0
	s_mov_b32 s2, exec_lo
	v_cmpx_lt_u64_e64 s[8:9], v[30:31]
	s_cbranch_execz .LBB460_292
; %bb.285:                              ;   in Loop: Header=BB460_8 Depth=1
	v_lshrrev_b32_e32 v0, 24, v31
	v_bfrev_b32_e32 v1, 1
	s_mov_b32 s18, exec_lo
	s_delay_alu instid0(VALU_DEP_2)
	v_cmpx_ne_u32_e32 0x80, v0
	s_cbranch_execz .LBB460_291
; %bb.286:                              ;   in Loop: Header=BB460_8 Depth=1
	v_bfe_u32 v2, v31, 24, 7
	v_mov_b32_e32 v1, 0x7f800001
	s_mov_b32 s19, exec_lo
	s_delay_alu instid0(VALU_DEP_2)
	v_cmpx_ne_u32_e32 0x7f, v2
	s_cbranch_execz .LBB460_290
; %bb.287:                              ;   in Loop: Header=BB460_8 Depth=1
	v_and_b32_e32 v18, 7, v0
	v_lshrrev_b32_e32 v1, 3, v2
	v_mov_b32_e32 v31, v19
	s_mov_b32 s20, exec_lo
	s_delay_alu instid0(VALU_DEP_3)
	v_mov_b32_e32 v30, v18
	v_cmpx_gt_u32_e32 8, v2
; %bb.288:                              ;   in Loop: Header=BB460_8 Depth=1
	v_clz_i32_u32_e32 v1, v18
	s_delay_alu instid0(VALU_DEP_1) | instskip(NEXT) | instid1(VALU_DEP_1)
	v_min_u32_e32 v1, 32, v1
	v_subrev_nc_u32_e32 v2, 28, v1
	v_sub_nc_u32_e32 v1, 29, v1
	s_delay_alu instid0(VALU_DEP_2) | instskip(NEXT) | instid1(VALU_DEP_1)
	v_lshlrev_b64 v[2:3], v2, v[18:19]
	v_and_b32_e32 v30, 7, v2
; %bb.289:                              ;   in Loop: Header=BB460_8 Depth=1
	s_or_b32 exec_lo, exec_lo, s20
	v_lshlrev_b32_e32 v0, 24, v0
	s_delay_alu instid0(VALU_DEP_2) | instskip(SKIP_1) | instid1(VALU_DEP_3)
	v_lshlrev_b32_e32 v2, 20, v30
	v_lshl_add_u32 v1, v1, 23, 0x3c000000
	v_and_b32_e32 v0, 0x80000000, v0
	s_delay_alu instid0(VALU_DEP_1)
	v_or3_b32 v1, v2, v0, v1
.LBB460_290:                            ;   in Loop: Header=BB460_8 Depth=1
	s_or_b32 exec_lo, exec_lo, s19
.LBB460_291:                            ;   in Loop: Header=BB460_8 Depth=1
	s_delay_alu instid0(SALU_CYCLE_1)
	s_or_b32 exec_lo, exec_lo, s18
.LBB460_292:                            ;   in Loop: Header=BB460_8 Depth=1
	s_delay_alu instid0(SALU_CYCLE_1) | instskip(NEXT) | instid1(VALU_DEP_1)
	s_or_b32 exec_lo, exec_lo, s2
	v_mul_f32_e32 v0, v136, v1
                                        ; implicit-def: $vgpr175
	s_delay_alu instid0(VALU_DEP_1) | instskip(NEXT) | instid1(VALU_DEP_1)
	v_and_b32_e32 v1, 0x7f800000, v0
	v_cmp_ne_u32_e64 s1, 0x7f800000, v1
	s_delay_alu instid0(VALU_DEP_1) | instskip(NEXT) | instid1(SALU_CYCLE_1)
	s_and_saveexec_b32 s2, s1
	s_xor_b32 s1, exec_lo, s2
; %bb.293:                              ;   in Loop: Header=BB460_8 Depth=1
	v_bfe_u32 v1, v0, 16, 1
	s_delay_alu instid0(VALU_DEP_1)
	v_add3_u32 v175, v0, v1, 0x7fff
                                        ; implicit-def: $vgpr0
; %bb.294:                              ;   in Loop: Header=BB460_8 Depth=1
	s_and_not1_saveexec_b32 s2, s1
; %bb.295:                              ;   in Loop: Header=BB460_8 Depth=1
	v_and_b32_e32 v1, 0xffff, v0
	v_or_b32_e32 v2, 0x10000, v0
	s_delay_alu instid0(VALU_DEP_2) | instskip(NEXT) | instid1(VALU_DEP_1)
	v_cmp_eq_u32_e64 s1, 0, v1
	v_cndmask_b32_e64 v175, v2, v0, s1
; %bb.296:                              ;   in Loop: Header=BB460_8 Depth=1
	s_or_b32 exec_lo, exec_lo, s2
	flat_load_b64 v[30:31], v[28:29] offset:520
	s_mov_b32 s2, exec_lo
	s_waitcnt vmcnt(0) lgkmcnt(0)
	v_dual_mov_b32 v0, 0 :: v_dual_and_b32 v1, 0xff, v30
	s_delay_alu instid0(VALU_DEP_1)
	v_cmpx_ne_u16_e32 0, v1
	s_cbranch_execz .LBB460_304
; %bb.297:                              ;   in Loop: Header=BB460_8 Depth=1
	v_bfrev_b32_e32 v0, 1
	s_mov_b32 s18, exec_lo
	v_cmpx_ne_u16_e32 0x80, v1
	s_cbranch_execz .LBB460_303
; %bb.298:                              ;   in Loop: Header=BB460_8 Depth=1
	v_and_b32_e32 v1, 0x7f, v30
	v_mov_b32_e32 v0, 0x7f800001
	s_mov_b32 s19, exec_lo
	s_delay_alu instid0(VALU_DEP_2)
	v_cmpx_ne_u32_e32 0x7f, v1
	s_cbranch_execz .LBB460_302
; %bb.299:                              ;   in Loop: Header=BB460_8 Depth=1
	v_lshrrev_b32_e32 v0, 3, v1
	v_dual_mov_b32 v33, v31 :: v_dual_mov_b32 v32, v30
	s_mov_b32 s20, exec_lo
	v_cmpx_gt_u32_e32 8, v1
; %bb.300:                              ;   in Loop: Header=BB460_8 Depth=1
	v_and_b32_e32 v0, 7, v30
	s_delay_alu instid0(VALU_DEP_1) | instskip(NEXT) | instid1(VALU_DEP_1)
	v_clz_i32_u32_e32 v0, v0
	v_min_u32_e32 v0, 32, v0
	s_delay_alu instid0(VALU_DEP_1) | instskip(SKIP_1) | instid1(VALU_DEP_2)
	v_subrev_nc_u32_e32 v1, 28, v0
	v_sub_nc_u32_e32 v0, 29, v0
	v_lshlrev_b64 v[32:33], v1, v[30:31]
; %bb.301:                              ;   in Loop: Header=BB460_8 Depth=1
	s_or_b32 exec_lo, exec_lo, s20
	s_delay_alu instid0(VALU_DEP_1) | instskip(SKIP_2) | instid1(VALU_DEP_3)
	v_lshlrev_b32_e32 v1, 20, v32
	v_lshlrev_b32_e32 v2, 24, v30
	v_lshl_add_u32 v0, v0, 23, 0x3c000000
	v_and_b32_e32 v1, 0x700000, v1
	s_delay_alu instid0(VALU_DEP_3) | instskip(NEXT) | instid1(VALU_DEP_1)
	v_and_b32_e32 v2, 0x80000000, v2
	v_or3_b32 v0, v1, v2, v0
.LBB460_302:                            ;   in Loop: Header=BB460_8 Depth=1
	s_or_b32 exec_lo, exec_lo, s19
.LBB460_303:                            ;   in Loop: Header=BB460_8 Depth=1
	s_delay_alu instid0(SALU_CYCLE_1)
	s_or_b32 exec_lo, exec_lo, s18
.LBB460_304:                            ;   in Loop: Header=BB460_8 Depth=1
	s_delay_alu instid0(SALU_CYCLE_1) | instskip(NEXT) | instid1(VALU_DEP_1)
	s_or_b32 exec_lo, exec_lo, s2
	v_mul_f32_e32 v0, v136, v0
                                        ; implicit-def: $vgpr184
	s_delay_alu instid0(VALU_DEP_1) | instskip(NEXT) | instid1(VALU_DEP_1)
	v_and_b32_e32 v1, 0x7f800000, v0
	v_cmp_ne_u32_e64 s1, 0x7f800000, v1
	s_delay_alu instid0(VALU_DEP_1) | instskip(NEXT) | instid1(SALU_CYCLE_1)
	s_and_saveexec_b32 s2, s1
	s_xor_b32 s1, exec_lo, s2
; %bb.305:                              ;   in Loop: Header=BB460_8 Depth=1
	v_bfe_u32 v1, v0, 16, 1
	s_delay_alu instid0(VALU_DEP_1)
	v_add3_u32 v184, v0, v1, 0x7fff
                                        ; implicit-def: $vgpr0
; %bb.306:                              ;   in Loop: Header=BB460_8 Depth=1
	s_and_not1_saveexec_b32 s2, s1
; %bb.307:                              ;   in Loop: Header=BB460_8 Depth=1
	v_and_b32_e32 v1, 0xffff, v0
	v_or_b32_e32 v2, 0x10000, v0
	s_delay_alu instid0(VALU_DEP_2) | instskip(NEXT) | instid1(VALU_DEP_1)
	v_cmp_eq_u32_e64 s1, 0, v1
	v_cndmask_b32_e64 v184, v2, v0, s1
; %bb.308:                              ;   in Loop: Header=BB460_8 Depth=1
	s_or_b32 exec_lo, exec_lo, s2
	v_lshrrev_b16 v1, 8, v30
	v_mov_b32_e32 v0, 0
	s_mov_b32 s2, exec_lo
	s_delay_alu instid0(VALU_DEP_2)
	v_cmpx_ne_u16_e32 0, v1
	s_cbranch_execz .LBB460_316
; %bb.309:                              ;   in Loop: Header=BB460_8 Depth=1
	v_bfrev_b32_e32 v0, 1
	s_mov_b32 s18, exec_lo
	v_cmpx_ne_u16_e32 0x80, v1
	s_cbranch_execz .LBB460_315
; %bb.310:                              ;   in Loop: Header=BB460_8 Depth=1
	v_and_b32_e32 v2, 0xffff, v1
	v_mov_b32_e32 v0, 0x7f800001
	s_mov_b32 s19, exec_lo
	s_delay_alu instid0(VALU_DEP_2) | instskip(NEXT) | instid1(VALU_DEP_1)
	v_and_b32_e32 v1, 0x7f, v2
	v_cmpx_ne_u32_e32 0x7f, v1
	s_cbranch_execz .LBB460_314
; %bb.311:                              ;   in Loop: Header=BB460_8 Depth=1
	v_and_b32_e32 v18, 7, v2
	v_lshrrev_b32_e32 v0, 3, v1
	v_mov_b32_e32 v33, v19
	s_mov_b32 s20, exec_lo
	s_delay_alu instid0(VALU_DEP_3)
	v_mov_b32_e32 v32, v18
	v_cmpx_gt_u32_e32 8, v1
; %bb.312:                              ;   in Loop: Header=BB460_8 Depth=1
	v_clz_i32_u32_e32 v0, v18
	s_delay_alu instid0(VALU_DEP_1) | instskip(NEXT) | instid1(VALU_DEP_1)
	v_min_u32_e32 v0, 32, v0
	v_subrev_nc_u32_e32 v1, 28, v0
	v_sub_nc_u32_e32 v0, 29, v0
	s_delay_alu instid0(VALU_DEP_2) | instskip(NEXT) | instid1(VALU_DEP_1)
	v_lshlrev_b64 v[1:2], v1, v[18:19]
	v_and_b32_e32 v32, 7, v1
; %bb.313:                              ;   in Loop: Header=BB460_8 Depth=1
	s_or_b32 exec_lo, exec_lo, s20
	v_lshlrev_b32_e32 v1, 16, v30
	s_delay_alu instid0(VALU_DEP_2) | instskip(SKIP_1) | instid1(VALU_DEP_3)
	v_lshlrev_b32_e32 v2, 20, v32
	v_lshl_add_u32 v0, v0, 23, 0x3c000000
	v_and_b32_e32 v1, 0x80000000, v1
	s_delay_alu instid0(VALU_DEP_1)
	v_or3_b32 v0, v2, v1, v0
.LBB460_314:                            ;   in Loop: Header=BB460_8 Depth=1
	s_or_b32 exec_lo, exec_lo, s19
.LBB460_315:                            ;   in Loop: Header=BB460_8 Depth=1
	s_delay_alu instid0(SALU_CYCLE_1)
	s_or_b32 exec_lo, exec_lo, s18
.LBB460_316:                            ;   in Loop: Header=BB460_8 Depth=1
	s_delay_alu instid0(SALU_CYCLE_1) | instskip(NEXT) | instid1(VALU_DEP_1)
	s_or_b32 exec_lo, exec_lo, s2
	v_mul_f32_e32 v0, v136, v0
                                        ; implicit-def: $vgpr185
	s_delay_alu instid0(VALU_DEP_1) | instskip(NEXT) | instid1(VALU_DEP_1)
	v_and_b32_e32 v1, 0x7f800000, v0
	v_cmp_ne_u32_e64 s1, 0x7f800000, v1
	s_delay_alu instid0(VALU_DEP_1) | instskip(NEXT) | instid1(SALU_CYCLE_1)
	s_and_saveexec_b32 s2, s1
	s_xor_b32 s1, exec_lo, s2
; %bb.317:                              ;   in Loop: Header=BB460_8 Depth=1
	v_bfe_u32 v1, v0, 16, 1
	s_delay_alu instid0(VALU_DEP_1)
	v_add3_u32 v185, v0, v1, 0x7fff
                                        ; implicit-def: $vgpr0
; %bb.318:                              ;   in Loop: Header=BB460_8 Depth=1
	s_and_not1_saveexec_b32 s2, s1
; %bb.319:                              ;   in Loop: Header=BB460_8 Depth=1
	v_and_b32_e32 v1, 0xffff, v0
	v_or_b32_e32 v2, 0x10000, v0
	s_delay_alu instid0(VALU_DEP_2) | instskip(NEXT) | instid1(VALU_DEP_1)
	v_cmp_eq_u32_e64 s1, 0, v1
	v_cndmask_b32_e64 v185, v2, v0, s1
; %bb.320:                              ;   in Loop: Header=BB460_8 Depth=1
	s_or_b32 exec_lo, exec_lo, s2
	v_lshrrev_b32_e32 v0, 16, v30
	s_mov_b32 s2, exec_lo
	s_delay_alu instid0(VALU_DEP_1) | instskip(NEXT) | instid1(VALU_DEP_1)
	v_dual_mov_b32 v1, 0 :: v_dual_and_b32 v2, 0xff, v0
	v_cmpx_ne_u16_e32 0, v2
	s_cbranch_execz .LBB460_328
; %bb.321:                              ;   in Loop: Header=BB460_8 Depth=1
	v_bfrev_b32_e32 v1, 1
	s_mov_b32 s18, exec_lo
	v_cmpx_ne_u16_e32 0x80, v2
	s_cbranch_execz .LBB460_327
; %bb.322:                              ;   in Loop: Header=BB460_8 Depth=1
	v_bfe_u32 v2, v30, 16, 7
	v_mov_b32_e32 v1, 0x7f800001
	s_mov_b32 s19, exec_lo
	s_delay_alu instid0(VALU_DEP_2)
	v_cmpx_ne_u32_e32 0x7f, v2
	s_cbranch_execz .LBB460_326
; %bb.323:                              ;   in Loop: Header=BB460_8 Depth=1
	v_and_b32_e32 v18, 7, v0
	v_lshrrev_b32_e32 v1, 3, v2
	v_mov_b32_e32 v33, v19
	s_mov_b32 s20, exec_lo
	s_delay_alu instid0(VALU_DEP_3)
	v_mov_b32_e32 v32, v18
	v_cmpx_gt_u32_e32 8, v2
; %bb.324:                              ;   in Loop: Header=BB460_8 Depth=1
	v_clz_i32_u32_e32 v1, v18
	s_delay_alu instid0(VALU_DEP_1) | instskip(NEXT) | instid1(VALU_DEP_1)
	v_min_u32_e32 v1, 32, v1
	v_subrev_nc_u32_e32 v2, 28, v1
	v_sub_nc_u32_e32 v1, 29, v1
	s_delay_alu instid0(VALU_DEP_2) | instskip(NEXT) | instid1(VALU_DEP_1)
	v_lshlrev_b64 v[2:3], v2, v[18:19]
	v_and_b32_e32 v32, 7, v2
; %bb.325:                              ;   in Loop: Header=BB460_8 Depth=1
	s_or_b32 exec_lo, exec_lo, s20
	v_lshlrev_b32_e32 v0, 24, v0
	s_delay_alu instid0(VALU_DEP_2) | instskip(SKIP_1) | instid1(VALU_DEP_3)
	v_lshlrev_b32_e32 v2, 20, v32
	v_lshl_add_u32 v1, v1, 23, 0x3c000000
	v_and_b32_e32 v0, 0x80000000, v0
	s_delay_alu instid0(VALU_DEP_1)
	v_or3_b32 v1, v2, v0, v1
.LBB460_326:                            ;   in Loop: Header=BB460_8 Depth=1
	s_or_b32 exec_lo, exec_lo, s19
.LBB460_327:                            ;   in Loop: Header=BB460_8 Depth=1
	s_delay_alu instid0(SALU_CYCLE_1)
	s_or_b32 exec_lo, exec_lo, s18
.LBB460_328:                            ;   in Loop: Header=BB460_8 Depth=1
	s_delay_alu instid0(SALU_CYCLE_1) | instskip(NEXT) | instid1(VALU_DEP_1)
	s_or_b32 exec_lo, exec_lo, s2
	v_mul_f32_e32 v0, v136, v1
                                        ; implicit-def: $vgpr186
	s_delay_alu instid0(VALU_DEP_1) | instskip(NEXT) | instid1(VALU_DEP_1)
	v_and_b32_e32 v1, 0x7f800000, v0
	v_cmp_ne_u32_e64 s1, 0x7f800000, v1
	s_delay_alu instid0(VALU_DEP_1) | instskip(NEXT) | instid1(SALU_CYCLE_1)
	s_and_saveexec_b32 s2, s1
	s_xor_b32 s1, exec_lo, s2
; %bb.329:                              ;   in Loop: Header=BB460_8 Depth=1
	v_bfe_u32 v1, v0, 16, 1
	s_delay_alu instid0(VALU_DEP_1)
	v_add3_u32 v186, v0, v1, 0x7fff
                                        ; implicit-def: $vgpr0
; %bb.330:                              ;   in Loop: Header=BB460_8 Depth=1
	s_and_not1_saveexec_b32 s2, s1
; %bb.331:                              ;   in Loop: Header=BB460_8 Depth=1
	v_and_b32_e32 v1, 0xffff, v0
	v_or_b32_e32 v2, 0x10000, v0
	s_delay_alu instid0(VALU_DEP_2) | instskip(NEXT) | instid1(VALU_DEP_1)
	v_cmp_eq_u32_e64 s1, 0, v1
	v_cndmask_b32_e64 v186, v2, v0, s1
; %bb.332:                              ;   in Loop: Header=BB460_8 Depth=1
	s_or_b32 exec_lo, exec_lo, s2
	v_mov_b32_e32 v1, 0
	s_mov_b32 s2, exec_lo
	v_cmpx_lt_u32_e32 0xffffff, v30
	s_cbranch_execz .LBB460_340
; %bb.333:                              ;   in Loop: Header=BB460_8 Depth=1
	v_lshrrev_b32_e32 v0, 24, v30
	v_bfrev_b32_e32 v1, 1
	s_mov_b32 s18, exec_lo
	s_delay_alu instid0(VALU_DEP_2)
	v_cmpx_ne_u32_e32 0x80, v0
	s_cbranch_execz .LBB460_339
; %bb.334:                              ;   in Loop: Header=BB460_8 Depth=1
	v_bfe_u32 v2, v30, 24, 7
	v_mov_b32_e32 v1, 0x7f800001
	s_mov_b32 s19, exec_lo
	s_delay_alu instid0(VALU_DEP_2)
	v_cmpx_ne_u32_e32 0x7f, v2
	s_cbranch_execz .LBB460_338
; %bb.335:                              ;   in Loop: Header=BB460_8 Depth=1
	v_and_b32_e32 v18, 7, v0
	v_lshrrev_b32_e32 v1, 3, v2
	v_mov_b32_e32 v33, v19
	s_mov_b32 s20, exec_lo
	s_delay_alu instid0(VALU_DEP_3)
	v_mov_b32_e32 v32, v18
	v_cmpx_gt_u32_e32 8, v2
; %bb.336:                              ;   in Loop: Header=BB460_8 Depth=1
	v_clz_i32_u32_e32 v1, v18
	s_delay_alu instid0(VALU_DEP_1) | instskip(NEXT) | instid1(VALU_DEP_1)
	v_min_u32_e32 v1, 32, v1
	v_subrev_nc_u32_e32 v2, 28, v1
	v_sub_nc_u32_e32 v1, 29, v1
	s_delay_alu instid0(VALU_DEP_2) | instskip(NEXT) | instid1(VALU_DEP_1)
	v_lshlrev_b64 v[2:3], v2, v[18:19]
	v_and_b32_e32 v32, 7, v2
; %bb.337:                              ;   in Loop: Header=BB460_8 Depth=1
	s_or_b32 exec_lo, exec_lo, s20
	v_lshlrev_b32_e32 v0, 24, v0
	s_delay_alu instid0(VALU_DEP_2) | instskip(SKIP_1) | instid1(VALU_DEP_3)
	v_lshlrev_b32_e32 v2, 20, v32
	v_lshl_add_u32 v1, v1, 23, 0x3c000000
	v_and_b32_e32 v0, 0x80000000, v0
	s_delay_alu instid0(VALU_DEP_1)
	v_or3_b32 v1, v2, v0, v1
.LBB460_338:                            ;   in Loop: Header=BB460_8 Depth=1
	s_or_b32 exec_lo, exec_lo, s19
.LBB460_339:                            ;   in Loop: Header=BB460_8 Depth=1
	s_delay_alu instid0(SALU_CYCLE_1)
	s_or_b32 exec_lo, exec_lo, s18
.LBB460_340:                            ;   in Loop: Header=BB460_8 Depth=1
	s_delay_alu instid0(SALU_CYCLE_1) | instskip(NEXT) | instid1(VALU_DEP_1)
	s_or_b32 exec_lo, exec_lo, s2
	v_mul_f32_e32 v0, v136, v1
                                        ; implicit-def: $vgpr187
	s_delay_alu instid0(VALU_DEP_1) | instskip(NEXT) | instid1(VALU_DEP_1)
	v_and_b32_e32 v1, 0x7f800000, v0
	v_cmp_ne_u32_e64 s1, 0x7f800000, v1
	s_delay_alu instid0(VALU_DEP_1) | instskip(NEXT) | instid1(SALU_CYCLE_1)
	s_and_saveexec_b32 s2, s1
	s_xor_b32 s1, exec_lo, s2
; %bb.341:                              ;   in Loop: Header=BB460_8 Depth=1
	v_bfe_u32 v1, v0, 16, 1
	s_delay_alu instid0(VALU_DEP_1)
	v_add3_u32 v187, v0, v1, 0x7fff
                                        ; implicit-def: $vgpr0
; %bb.342:                              ;   in Loop: Header=BB460_8 Depth=1
	s_and_not1_saveexec_b32 s2, s1
; %bb.343:                              ;   in Loop: Header=BB460_8 Depth=1
	v_and_b32_e32 v1, 0xffff, v0
	v_or_b32_e32 v2, 0x10000, v0
	s_delay_alu instid0(VALU_DEP_2) | instskip(NEXT) | instid1(VALU_DEP_1)
	v_cmp_eq_u32_e64 s1, 0, v1
	v_cndmask_b32_e64 v187, v2, v0, s1
; %bb.344:                              ;   in Loop: Header=BB460_8 Depth=1
	s_or_b32 exec_lo, exec_lo, s2
	v_dual_mov_b32 v18, v31 :: v_dual_and_b32 v1, 0xff, v31
	v_mov_b32_e32 v0, 0
	s_mov_b32 s2, exec_lo
	s_delay_alu instid0(VALU_DEP_2)
	v_cmpx_ne_u16_e32 0, v1
	s_cbranch_execz .LBB460_352
; %bb.345:                              ;   in Loop: Header=BB460_8 Depth=1
	v_bfrev_b32_e32 v0, 1
	s_mov_b32 s18, exec_lo
	v_cmpx_ne_u16_e32 0x80, v1
	s_cbranch_execz .LBB460_351
; %bb.346:                              ;   in Loop: Header=BB460_8 Depth=1
	v_and_b32_e32 v1, 0x7f, v31
	v_mov_b32_e32 v0, 0x7f800001
	s_mov_b32 s19, exec_lo
	s_delay_alu instid0(VALU_DEP_2)
	v_cmpx_ne_u32_e32 0x7f, v1
	s_cbranch_execz .LBB460_350
; %bb.347:                              ;   in Loop: Header=BB460_8 Depth=1
	v_lshrrev_b32_e32 v0, 3, v1
	v_dual_mov_b32 v33, v19 :: v_dual_mov_b32 v32, v18
	s_mov_b32 s20, exec_lo
	v_cmpx_gt_u32_e32 8, v1
; %bb.348:                              ;   in Loop: Header=BB460_8 Depth=1
	v_and_b32_e32 v0, 7, v31
	s_delay_alu instid0(VALU_DEP_1) | instskip(NEXT) | instid1(VALU_DEP_1)
	v_clz_i32_u32_e32 v0, v0
	v_min_u32_e32 v0, 32, v0
	s_delay_alu instid0(VALU_DEP_1) | instskip(SKIP_1) | instid1(VALU_DEP_2)
	v_subrev_nc_u32_e32 v1, 28, v0
	v_sub_nc_u32_e32 v0, 29, v0
	v_lshlrev_b64 v[32:33], v1, v[18:19]
; %bb.349:                              ;   in Loop: Header=BB460_8 Depth=1
	s_or_b32 exec_lo, exec_lo, s20
	s_delay_alu instid0(VALU_DEP_1) | instskip(SKIP_2) | instid1(VALU_DEP_3)
	v_lshlrev_b32_e32 v1, 20, v32
	v_lshlrev_b32_e32 v2, 24, v18
	v_lshl_add_u32 v0, v0, 23, 0x3c000000
	v_and_b32_e32 v1, 0x700000, v1
	s_delay_alu instid0(VALU_DEP_3) | instskip(NEXT) | instid1(VALU_DEP_1)
	v_and_b32_e32 v2, 0x80000000, v2
	v_or3_b32 v0, v1, v2, v0
.LBB460_350:                            ;   in Loop: Header=BB460_8 Depth=1
	s_or_b32 exec_lo, exec_lo, s19
.LBB460_351:                            ;   in Loop: Header=BB460_8 Depth=1
	s_delay_alu instid0(SALU_CYCLE_1)
	s_or_b32 exec_lo, exec_lo, s18
.LBB460_352:                            ;   in Loop: Header=BB460_8 Depth=1
	s_delay_alu instid0(SALU_CYCLE_1) | instskip(NEXT) | instid1(VALU_DEP_1)
	s_or_b32 exec_lo, exec_lo, s2
	v_mul_f32_e32 v0, v136, v0
                                        ; implicit-def: $vgpr188
	s_delay_alu instid0(VALU_DEP_1) | instskip(NEXT) | instid1(VALU_DEP_1)
	v_and_b32_e32 v1, 0x7f800000, v0
	v_cmp_ne_u32_e64 s1, 0x7f800000, v1
	s_delay_alu instid0(VALU_DEP_1) | instskip(NEXT) | instid1(SALU_CYCLE_1)
	s_and_saveexec_b32 s2, s1
	s_xor_b32 s1, exec_lo, s2
; %bb.353:                              ;   in Loop: Header=BB460_8 Depth=1
	v_bfe_u32 v1, v0, 16, 1
	s_delay_alu instid0(VALU_DEP_1)
	v_add3_u32 v188, v0, v1, 0x7fff
                                        ; implicit-def: $vgpr0
; %bb.354:                              ;   in Loop: Header=BB460_8 Depth=1
	s_and_not1_saveexec_b32 s2, s1
; %bb.355:                              ;   in Loop: Header=BB460_8 Depth=1
	v_and_b32_e32 v1, 0xffff, v0
	v_or_b32_e32 v2, 0x10000, v0
	s_delay_alu instid0(VALU_DEP_2) | instskip(NEXT) | instid1(VALU_DEP_1)
	v_cmp_eq_u32_e64 s1, 0, v1
	v_cndmask_b32_e64 v188, v2, v0, s1
; %bb.356:                              ;   in Loop: Header=BB460_8 Depth=1
	s_or_b32 exec_lo, exec_lo, s2
	v_lshrrev_b16 v1, 8, v18
	v_mov_b32_e32 v0, 0
	s_mov_b32 s2, exec_lo
	s_delay_alu instid0(VALU_DEP_2)
	v_cmpx_ne_u16_e32 0, v1
	s_cbranch_execz .LBB460_364
; %bb.357:                              ;   in Loop: Header=BB460_8 Depth=1
	v_bfrev_b32_e32 v0, 1
	s_mov_b32 s18, exec_lo
	v_cmpx_ne_u16_e32 0x80, v1
	s_cbranch_execz .LBB460_363
; %bb.358:                              ;   in Loop: Header=BB460_8 Depth=1
	v_and_b32_e32 v2, 0xffff, v1
	v_mov_b32_e32 v0, 0x7f800001
	s_mov_b32 s19, exec_lo
	s_delay_alu instid0(VALU_DEP_2) | instskip(NEXT) | instid1(VALU_DEP_1)
	v_and_b32_e32 v1, 0x7f, v2
	v_cmpx_ne_u32_e32 0x7f, v1
	s_cbranch_execz .LBB460_362
; %bb.359:                              ;   in Loop: Header=BB460_8 Depth=1
	v_dual_mov_b32 v33, v19 :: v_dual_and_b32 v32, 7, v2
	v_lshrrev_b32_e32 v0, 3, v1
	s_mov_b32 s20, exec_lo
	v_cmpx_gt_u32_e32 8, v1
; %bb.360:                              ;   in Loop: Header=BB460_8 Depth=1
	s_delay_alu instid0(VALU_DEP_3) | instskip(NEXT) | instid1(VALU_DEP_1)
	v_clz_i32_u32_e32 v0, v32
	v_min_u32_e32 v0, 32, v0
	s_delay_alu instid0(VALU_DEP_1) | instskip(SKIP_1) | instid1(VALU_DEP_2)
	v_subrev_nc_u32_e32 v1, 28, v0
	v_sub_nc_u32_e32 v0, 29, v0
	v_lshlrev_b64 v[1:2], v1, v[32:33]
	s_delay_alu instid0(VALU_DEP_1)
	v_and_b32_e32 v32, 7, v1
; %bb.361:                              ;   in Loop: Header=BB460_8 Depth=1
	s_or_b32 exec_lo, exec_lo, s20
	v_lshlrev_b32_e32 v1, 16, v18
	s_delay_alu instid0(VALU_DEP_2) | instskip(SKIP_1) | instid1(VALU_DEP_3)
	v_lshlrev_b32_e32 v2, 20, v32
	v_lshl_add_u32 v0, v0, 23, 0x3c000000
	v_and_b32_e32 v1, 0x80000000, v1
	s_delay_alu instid0(VALU_DEP_1)
	v_or3_b32 v0, v2, v1, v0
.LBB460_362:                            ;   in Loop: Header=BB460_8 Depth=1
	s_or_b32 exec_lo, exec_lo, s19
.LBB460_363:                            ;   in Loop: Header=BB460_8 Depth=1
	s_delay_alu instid0(SALU_CYCLE_1)
	s_or_b32 exec_lo, exec_lo, s18
.LBB460_364:                            ;   in Loop: Header=BB460_8 Depth=1
	s_delay_alu instid0(SALU_CYCLE_1) | instskip(NEXT) | instid1(VALU_DEP_1)
	s_or_b32 exec_lo, exec_lo, s2
	v_mul_f32_e32 v0, v136, v0
                                        ; implicit-def: $vgpr189
	s_delay_alu instid0(VALU_DEP_1) | instskip(NEXT) | instid1(VALU_DEP_1)
	v_and_b32_e32 v1, 0x7f800000, v0
	v_cmp_ne_u32_e64 s1, 0x7f800000, v1
	s_delay_alu instid0(VALU_DEP_1) | instskip(NEXT) | instid1(SALU_CYCLE_1)
	s_and_saveexec_b32 s2, s1
	s_xor_b32 s1, exec_lo, s2
; %bb.365:                              ;   in Loop: Header=BB460_8 Depth=1
	v_bfe_u32 v1, v0, 16, 1
	s_delay_alu instid0(VALU_DEP_1)
	v_add3_u32 v189, v0, v1, 0x7fff
                                        ; implicit-def: $vgpr0
; %bb.366:                              ;   in Loop: Header=BB460_8 Depth=1
	s_and_not1_saveexec_b32 s2, s1
; %bb.367:                              ;   in Loop: Header=BB460_8 Depth=1
	v_and_b32_e32 v1, 0xffff, v0
	v_or_b32_e32 v2, 0x10000, v0
	s_delay_alu instid0(VALU_DEP_2) | instskip(NEXT) | instid1(VALU_DEP_1)
	v_cmp_eq_u32_e64 s1, 0, v1
	v_cndmask_b32_e64 v189, v2, v0, s1
; %bb.368:                              ;   in Loop: Header=BB460_8 Depth=1
	s_or_b32 exec_lo, exec_lo, s2
	v_lshrrev_b32_e32 v0, 16, v31
	s_mov_b32 s2, exec_lo
	s_delay_alu instid0(VALU_DEP_1) | instskip(NEXT) | instid1(VALU_DEP_1)
	v_dual_mov_b32 v1, 0 :: v_dual_and_b32 v2, 0xff, v0
	v_cmpx_ne_u16_e32 0, v2
	s_cbranch_execz .LBB460_376
; %bb.369:                              ;   in Loop: Header=BB460_8 Depth=1
	v_bfrev_b32_e32 v1, 1
	s_mov_b32 s18, exec_lo
	v_cmpx_ne_u16_e32 0x80, v2
	s_cbranch_execz .LBB460_375
; %bb.370:                              ;   in Loop: Header=BB460_8 Depth=1
	v_bfe_u32 v2, v31, 16, 7
	v_mov_b32_e32 v1, 0x7f800001
	s_mov_b32 s19, exec_lo
	s_delay_alu instid0(VALU_DEP_2)
	v_cmpx_ne_u32_e32 0x7f, v2
	s_cbranch_execz .LBB460_374
; %bb.371:                              ;   in Loop: Header=BB460_8 Depth=1
	v_and_b32_e32 v18, 7, v0
	v_lshrrev_b32_e32 v1, 3, v2
	v_mov_b32_e32 v33, v19
	s_mov_b32 s20, exec_lo
	s_delay_alu instid0(VALU_DEP_3)
	v_mov_b32_e32 v32, v18
	v_cmpx_gt_u32_e32 8, v2
; %bb.372:                              ;   in Loop: Header=BB460_8 Depth=1
	v_clz_i32_u32_e32 v1, v18
	s_delay_alu instid0(VALU_DEP_1) | instskip(NEXT) | instid1(VALU_DEP_1)
	v_min_u32_e32 v1, 32, v1
	v_subrev_nc_u32_e32 v2, 28, v1
	v_sub_nc_u32_e32 v1, 29, v1
	s_delay_alu instid0(VALU_DEP_2) | instskip(NEXT) | instid1(VALU_DEP_1)
	v_lshlrev_b64 v[2:3], v2, v[18:19]
	v_and_b32_e32 v32, 7, v2
; %bb.373:                              ;   in Loop: Header=BB460_8 Depth=1
	s_or_b32 exec_lo, exec_lo, s20
	v_lshlrev_b32_e32 v0, 24, v0
	s_delay_alu instid0(VALU_DEP_2) | instskip(SKIP_1) | instid1(VALU_DEP_3)
	v_lshlrev_b32_e32 v2, 20, v32
	v_lshl_add_u32 v1, v1, 23, 0x3c000000
	v_and_b32_e32 v0, 0x80000000, v0
	s_delay_alu instid0(VALU_DEP_1)
	v_or3_b32 v1, v2, v0, v1
.LBB460_374:                            ;   in Loop: Header=BB460_8 Depth=1
	s_or_b32 exec_lo, exec_lo, s19
.LBB460_375:                            ;   in Loop: Header=BB460_8 Depth=1
	s_delay_alu instid0(SALU_CYCLE_1)
	s_or_b32 exec_lo, exec_lo, s18
.LBB460_376:                            ;   in Loop: Header=BB460_8 Depth=1
	s_delay_alu instid0(SALU_CYCLE_1) | instskip(NEXT) | instid1(VALU_DEP_1)
	s_or_b32 exec_lo, exec_lo, s2
	v_mul_f32_e32 v0, v136, v1
                                        ; implicit-def: $vgpr190
	s_delay_alu instid0(VALU_DEP_1) | instskip(NEXT) | instid1(VALU_DEP_1)
	v_and_b32_e32 v1, 0x7f800000, v0
	v_cmp_ne_u32_e64 s1, 0x7f800000, v1
	s_delay_alu instid0(VALU_DEP_1) | instskip(NEXT) | instid1(SALU_CYCLE_1)
	s_and_saveexec_b32 s2, s1
	s_xor_b32 s1, exec_lo, s2
; %bb.377:                              ;   in Loop: Header=BB460_8 Depth=1
	v_bfe_u32 v1, v0, 16, 1
	s_delay_alu instid0(VALU_DEP_1)
	v_add3_u32 v190, v0, v1, 0x7fff
                                        ; implicit-def: $vgpr0
; %bb.378:                              ;   in Loop: Header=BB460_8 Depth=1
	s_and_not1_saveexec_b32 s2, s1
; %bb.379:                              ;   in Loop: Header=BB460_8 Depth=1
	v_and_b32_e32 v1, 0xffff, v0
	v_or_b32_e32 v2, 0x10000, v0
	s_delay_alu instid0(VALU_DEP_2) | instskip(NEXT) | instid1(VALU_DEP_1)
	v_cmp_eq_u32_e64 s1, 0, v1
	v_cndmask_b32_e64 v190, v2, v0, s1
; %bb.380:                              ;   in Loop: Header=BB460_8 Depth=1
	s_or_b32 exec_lo, exec_lo, s2
	v_mov_b32_e32 v1, 0
	s_mov_b32 s2, exec_lo
	v_cmpx_lt_u64_e64 s[8:9], v[30:31]
	s_cbranch_execz .LBB460_388
; %bb.381:                              ;   in Loop: Header=BB460_8 Depth=1
	v_lshrrev_b32_e32 v0, 24, v31
	v_bfrev_b32_e32 v1, 1
	s_mov_b32 s18, exec_lo
	s_delay_alu instid0(VALU_DEP_2)
	v_cmpx_ne_u32_e32 0x80, v0
	s_cbranch_execz .LBB460_387
; %bb.382:                              ;   in Loop: Header=BB460_8 Depth=1
	v_bfe_u32 v2, v31, 24, 7
	v_mov_b32_e32 v1, 0x7f800001
	s_mov_b32 s19, exec_lo
	s_delay_alu instid0(VALU_DEP_2)
	v_cmpx_ne_u32_e32 0x7f, v2
	s_cbranch_execz .LBB460_386
; %bb.383:                              ;   in Loop: Header=BB460_8 Depth=1
	v_and_b32_e32 v18, 7, v0
	v_lshrrev_b32_e32 v1, 3, v2
	v_mov_b32_e32 v31, v19
	s_mov_b32 s20, exec_lo
	s_delay_alu instid0(VALU_DEP_3)
	v_mov_b32_e32 v30, v18
	v_cmpx_gt_u32_e32 8, v2
; %bb.384:                              ;   in Loop: Header=BB460_8 Depth=1
	v_clz_i32_u32_e32 v1, v18
	s_delay_alu instid0(VALU_DEP_1) | instskip(NEXT) | instid1(VALU_DEP_1)
	v_min_u32_e32 v1, 32, v1
	v_subrev_nc_u32_e32 v2, 28, v1
	v_sub_nc_u32_e32 v1, 29, v1
	s_delay_alu instid0(VALU_DEP_2) | instskip(NEXT) | instid1(VALU_DEP_1)
	v_lshlrev_b64 v[2:3], v2, v[18:19]
	v_and_b32_e32 v30, 7, v2
; %bb.385:                              ;   in Loop: Header=BB460_8 Depth=1
	s_or_b32 exec_lo, exec_lo, s20
	v_lshlrev_b32_e32 v0, 24, v0
	s_delay_alu instid0(VALU_DEP_2) | instskip(SKIP_1) | instid1(VALU_DEP_3)
	v_lshlrev_b32_e32 v2, 20, v30
	v_lshl_add_u32 v1, v1, 23, 0x3c000000
	v_and_b32_e32 v0, 0x80000000, v0
	s_delay_alu instid0(VALU_DEP_1)
	v_or3_b32 v1, v2, v0, v1
.LBB460_386:                            ;   in Loop: Header=BB460_8 Depth=1
	s_or_b32 exec_lo, exec_lo, s19
.LBB460_387:                            ;   in Loop: Header=BB460_8 Depth=1
	s_delay_alu instid0(SALU_CYCLE_1)
	s_or_b32 exec_lo, exec_lo, s18
.LBB460_388:                            ;   in Loop: Header=BB460_8 Depth=1
	s_delay_alu instid0(SALU_CYCLE_1) | instskip(NEXT) | instid1(VALU_DEP_1)
	s_or_b32 exec_lo, exec_lo, s2
	v_mul_f32_e32 v0, v136, v1
                                        ; implicit-def: $vgpr191
	s_delay_alu instid0(VALU_DEP_1) | instskip(NEXT) | instid1(VALU_DEP_1)
	v_and_b32_e32 v1, 0x7f800000, v0
	v_cmp_ne_u32_e64 s1, 0x7f800000, v1
	s_delay_alu instid0(VALU_DEP_1) | instskip(NEXT) | instid1(SALU_CYCLE_1)
	s_and_saveexec_b32 s2, s1
	s_xor_b32 s1, exec_lo, s2
; %bb.389:                              ;   in Loop: Header=BB460_8 Depth=1
	v_bfe_u32 v1, v0, 16, 1
	s_delay_alu instid0(VALU_DEP_1)
	v_add3_u32 v191, v0, v1, 0x7fff
                                        ; implicit-def: $vgpr0
; %bb.390:                              ;   in Loop: Header=BB460_8 Depth=1
	s_and_not1_saveexec_b32 s2, s1
; %bb.391:                              ;   in Loop: Header=BB460_8 Depth=1
	v_and_b32_e32 v1, 0xffff, v0
	v_or_b32_e32 v2, 0x10000, v0
	s_delay_alu instid0(VALU_DEP_2) | instskip(NEXT) | instid1(VALU_DEP_1)
	v_cmp_eq_u32_e64 s1, 0, v1
	v_cndmask_b32_e64 v191, v2, v0, s1
; %bb.392:                              ;   in Loop: Header=BB460_8 Depth=1
	s_or_b32 exec_lo, exec_lo, s2
	flat_load_b64 v[30:31], v[28:29] offset:1024
	s_mov_b32 s2, exec_lo
	s_waitcnt vmcnt(0) lgkmcnt(0)
	v_dual_mov_b32 v0, 0 :: v_dual_and_b32 v1, 0xff, v30
	s_delay_alu instid0(VALU_DEP_1)
	v_cmpx_ne_u16_e32 0, v1
	s_cbranch_execz .LBB460_400
; %bb.393:                              ;   in Loop: Header=BB460_8 Depth=1
	v_bfrev_b32_e32 v0, 1
	s_mov_b32 s18, exec_lo
	v_cmpx_ne_u16_e32 0x80, v1
	s_cbranch_execz .LBB460_399
; %bb.394:                              ;   in Loop: Header=BB460_8 Depth=1
	v_and_b32_e32 v1, 0x7f, v30
	v_mov_b32_e32 v0, 0x7f800001
	s_mov_b32 s19, exec_lo
	s_delay_alu instid0(VALU_DEP_2)
	v_cmpx_ne_u32_e32 0x7f, v1
	s_cbranch_execz .LBB460_398
; %bb.395:                              ;   in Loop: Header=BB460_8 Depth=1
	v_lshrrev_b32_e32 v0, 3, v1
	v_dual_mov_b32 v33, v31 :: v_dual_mov_b32 v32, v30
	s_mov_b32 s20, exec_lo
	v_cmpx_gt_u32_e32 8, v1
; %bb.396:                              ;   in Loop: Header=BB460_8 Depth=1
	v_and_b32_e32 v0, 7, v30
	s_delay_alu instid0(VALU_DEP_1) | instskip(NEXT) | instid1(VALU_DEP_1)
	v_clz_i32_u32_e32 v0, v0
	v_min_u32_e32 v0, 32, v0
	s_delay_alu instid0(VALU_DEP_1) | instskip(SKIP_1) | instid1(VALU_DEP_2)
	v_subrev_nc_u32_e32 v1, 28, v0
	v_sub_nc_u32_e32 v0, 29, v0
	v_lshlrev_b64 v[32:33], v1, v[30:31]
; %bb.397:                              ;   in Loop: Header=BB460_8 Depth=1
	s_or_b32 exec_lo, exec_lo, s20
	s_delay_alu instid0(VALU_DEP_1) | instskip(SKIP_2) | instid1(VALU_DEP_3)
	v_lshlrev_b32_e32 v1, 20, v32
	v_lshlrev_b32_e32 v2, 24, v30
	v_lshl_add_u32 v0, v0, 23, 0x3c000000
	v_and_b32_e32 v1, 0x700000, v1
	s_delay_alu instid0(VALU_DEP_3) | instskip(NEXT) | instid1(VALU_DEP_1)
	v_and_b32_e32 v2, 0x80000000, v2
	v_or3_b32 v0, v1, v2, v0
.LBB460_398:                            ;   in Loop: Header=BB460_8 Depth=1
	s_or_b32 exec_lo, exec_lo, s19
.LBB460_399:                            ;   in Loop: Header=BB460_8 Depth=1
	s_delay_alu instid0(SALU_CYCLE_1)
	s_or_b32 exec_lo, exec_lo, s18
.LBB460_400:                            ;   in Loop: Header=BB460_8 Depth=1
	s_delay_alu instid0(SALU_CYCLE_1) | instskip(NEXT) | instid1(VALU_DEP_1)
	s_or_b32 exec_lo, exec_lo, s2
	v_mul_f32_e32 v0, v136, v0
                                        ; implicit-def: $vgpr38
	s_delay_alu instid0(VALU_DEP_1) | instskip(NEXT) | instid1(VALU_DEP_1)
	v_and_b32_e32 v1, 0x7f800000, v0
	v_cmp_ne_u32_e64 s1, 0x7f800000, v1
	s_delay_alu instid0(VALU_DEP_1) | instskip(NEXT) | instid1(SALU_CYCLE_1)
	s_and_saveexec_b32 s2, s1
	s_xor_b32 s1, exec_lo, s2
; %bb.401:                              ;   in Loop: Header=BB460_8 Depth=1
	v_bfe_u32 v1, v0, 16, 1
	s_delay_alu instid0(VALU_DEP_1)
	v_add3_u32 v38, v0, v1, 0x7fff
                                        ; implicit-def: $vgpr0
; %bb.402:                              ;   in Loop: Header=BB460_8 Depth=1
	s_and_not1_saveexec_b32 s2, s1
; %bb.403:                              ;   in Loop: Header=BB460_8 Depth=1
	v_and_b32_e32 v1, 0xffff, v0
	v_or_b32_e32 v2, 0x10000, v0
	s_delay_alu instid0(VALU_DEP_2) | instskip(NEXT) | instid1(VALU_DEP_1)
	v_cmp_eq_u32_e64 s1, 0, v1
	v_cndmask_b32_e64 v38, v2, v0, s1
; %bb.404:                              ;   in Loop: Header=BB460_8 Depth=1
	s_or_b32 exec_lo, exec_lo, s2
	v_lshrrev_b16 v1, 8, v30
	v_mov_b32_e32 v0, 0
	s_mov_b32 s2, exec_lo
	s_delay_alu instid0(VALU_DEP_2)
	v_cmpx_ne_u16_e32 0, v1
	s_cbranch_execz .LBB460_412
; %bb.405:                              ;   in Loop: Header=BB460_8 Depth=1
	v_bfrev_b32_e32 v0, 1
	s_mov_b32 s18, exec_lo
	v_cmpx_ne_u16_e32 0x80, v1
	s_cbranch_execz .LBB460_411
; %bb.406:                              ;   in Loop: Header=BB460_8 Depth=1
	v_and_b32_e32 v2, 0xffff, v1
	v_mov_b32_e32 v0, 0x7f800001
	s_mov_b32 s19, exec_lo
	s_delay_alu instid0(VALU_DEP_2) | instskip(NEXT) | instid1(VALU_DEP_1)
	v_and_b32_e32 v1, 0x7f, v2
	v_cmpx_ne_u32_e32 0x7f, v1
	s_cbranch_execz .LBB460_410
; %bb.407:                              ;   in Loop: Header=BB460_8 Depth=1
	v_and_b32_e32 v18, 7, v2
	v_lshrrev_b32_e32 v0, 3, v1
	v_mov_b32_e32 v33, v19
	s_mov_b32 s20, exec_lo
	s_delay_alu instid0(VALU_DEP_3)
	v_mov_b32_e32 v32, v18
	v_cmpx_gt_u32_e32 8, v1
; %bb.408:                              ;   in Loop: Header=BB460_8 Depth=1
	v_clz_i32_u32_e32 v0, v18
	s_delay_alu instid0(VALU_DEP_1) | instskip(NEXT) | instid1(VALU_DEP_1)
	v_min_u32_e32 v0, 32, v0
	v_subrev_nc_u32_e32 v1, 28, v0
	v_sub_nc_u32_e32 v0, 29, v0
	s_delay_alu instid0(VALU_DEP_2) | instskip(NEXT) | instid1(VALU_DEP_1)
	v_lshlrev_b64 v[1:2], v1, v[18:19]
	v_and_b32_e32 v32, 7, v1
; %bb.409:                              ;   in Loop: Header=BB460_8 Depth=1
	s_or_b32 exec_lo, exec_lo, s20
	v_lshlrev_b32_e32 v1, 16, v30
	s_delay_alu instid0(VALU_DEP_2) | instskip(SKIP_1) | instid1(VALU_DEP_3)
	v_lshlrev_b32_e32 v2, 20, v32
	v_lshl_add_u32 v0, v0, 23, 0x3c000000
	v_and_b32_e32 v1, 0x80000000, v1
	s_delay_alu instid0(VALU_DEP_1)
	v_or3_b32 v0, v2, v1, v0
.LBB460_410:                            ;   in Loop: Header=BB460_8 Depth=1
	s_or_b32 exec_lo, exec_lo, s19
.LBB460_411:                            ;   in Loop: Header=BB460_8 Depth=1
	s_delay_alu instid0(SALU_CYCLE_1)
	s_or_b32 exec_lo, exec_lo, s18
.LBB460_412:                            ;   in Loop: Header=BB460_8 Depth=1
	s_delay_alu instid0(SALU_CYCLE_1) | instskip(NEXT) | instid1(VALU_DEP_1)
	s_or_b32 exec_lo, exec_lo, s2
	v_mul_f32_e32 v0, v136, v0
                                        ; implicit-def: $vgpr5
	s_delay_alu instid0(VALU_DEP_1) | instskip(NEXT) | instid1(VALU_DEP_1)
	v_and_b32_e32 v1, 0x7f800000, v0
	v_cmp_ne_u32_e64 s1, 0x7f800000, v1
	s_delay_alu instid0(VALU_DEP_1) | instskip(NEXT) | instid1(SALU_CYCLE_1)
	s_and_saveexec_b32 s2, s1
	s_xor_b32 s1, exec_lo, s2
; %bb.413:                              ;   in Loop: Header=BB460_8 Depth=1
	v_bfe_u32 v1, v0, 16, 1
	s_delay_alu instid0(VALU_DEP_1)
	v_add3_u32 v5, v0, v1, 0x7fff
                                        ; implicit-def: $vgpr0
; %bb.414:                              ;   in Loop: Header=BB460_8 Depth=1
	s_and_not1_saveexec_b32 s2, s1
; %bb.415:                              ;   in Loop: Header=BB460_8 Depth=1
	v_and_b32_e32 v1, 0xffff, v0
	v_or_b32_e32 v2, 0x10000, v0
	s_delay_alu instid0(VALU_DEP_2) | instskip(NEXT) | instid1(VALU_DEP_1)
	v_cmp_eq_u32_e64 s1, 0, v1
	v_cndmask_b32_e64 v5, v2, v0, s1
; %bb.416:                              ;   in Loop: Header=BB460_8 Depth=1
	s_or_b32 exec_lo, exec_lo, s2
	v_lshrrev_b32_e32 v0, 16, v30
	s_mov_b32 s2, exec_lo
	s_delay_alu instid0(VALU_DEP_1) | instskip(NEXT) | instid1(VALU_DEP_1)
	v_dual_mov_b32 v1, 0 :: v_dual_and_b32 v2, 0xff, v0
	v_cmpx_ne_u16_e32 0, v2
	s_cbranch_execz .LBB460_424
; %bb.417:                              ;   in Loop: Header=BB460_8 Depth=1
	v_bfrev_b32_e32 v1, 1
	s_mov_b32 s18, exec_lo
	v_cmpx_ne_u16_e32 0x80, v2
	s_cbranch_execz .LBB460_423
; %bb.418:                              ;   in Loop: Header=BB460_8 Depth=1
	v_bfe_u32 v2, v30, 16, 7
	v_mov_b32_e32 v1, 0x7f800001
	s_mov_b32 s19, exec_lo
	s_delay_alu instid0(VALU_DEP_2)
	v_cmpx_ne_u32_e32 0x7f, v2
	s_cbranch_execz .LBB460_422
; %bb.419:                              ;   in Loop: Header=BB460_8 Depth=1
	v_and_b32_e32 v18, 7, v0
	v_lshrrev_b32_e32 v1, 3, v2
	v_mov_b32_e32 v33, v19
	s_mov_b32 s20, exec_lo
	s_delay_alu instid0(VALU_DEP_3)
	v_mov_b32_e32 v32, v18
	v_cmpx_gt_u32_e32 8, v2
; %bb.420:                              ;   in Loop: Header=BB460_8 Depth=1
	v_clz_i32_u32_e32 v1, v18
	s_delay_alu instid0(VALU_DEP_1) | instskip(NEXT) | instid1(VALU_DEP_1)
	v_min_u32_e32 v1, 32, v1
	v_subrev_nc_u32_e32 v2, 28, v1
	v_sub_nc_u32_e32 v1, 29, v1
	s_delay_alu instid0(VALU_DEP_2) | instskip(NEXT) | instid1(VALU_DEP_1)
	v_lshlrev_b64 v[2:3], v2, v[18:19]
	v_and_b32_e32 v32, 7, v2
; %bb.421:                              ;   in Loop: Header=BB460_8 Depth=1
	s_or_b32 exec_lo, exec_lo, s20
	v_lshlrev_b32_e32 v0, 24, v0
	s_delay_alu instid0(VALU_DEP_2) | instskip(SKIP_1) | instid1(VALU_DEP_3)
	v_lshlrev_b32_e32 v2, 20, v32
	v_lshl_add_u32 v1, v1, 23, 0x3c000000
	v_and_b32_e32 v0, 0x80000000, v0
	s_delay_alu instid0(VALU_DEP_1)
	v_or3_b32 v1, v2, v0, v1
.LBB460_422:                            ;   in Loop: Header=BB460_8 Depth=1
	s_or_b32 exec_lo, exec_lo, s19
.LBB460_423:                            ;   in Loop: Header=BB460_8 Depth=1
	s_delay_alu instid0(SALU_CYCLE_1)
	s_or_b32 exec_lo, exec_lo, s18
.LBB460_424:                            ;   in Loop: Header=BB460_8 Depth=1
	s_delay_alu instid0(SALU_CYCLE_1) | instskip(NEXT) | instid1(VALU_DEP_1)
	s_or_b32 exec_lo, exec_lo, s2
	v_mul_f32_e32 v0, v136, v1
                                        ; implicit-def: $vgpr4
	s_delay_alu instid0(VALU_DEP_1) | instskip(NEXT) | instid1(VALU_DEP_1)
	v_and_b32_e32 v1, 0x7f800000, v0
	v_cmp_ne_u32_e64 s1, 0x7f800000, v1
	s_delay_alu instid0(VALU_DEP_1) | instskip(NEXT) | instid1(SALU_CYCLE_1)
	s_and_saveexec_b32 s2, s1
	s_xor_b32 s1, exec_lo, s2
; %bb.425:                              ;   in Loop: Header=BB460_8 Depth=1
	v_bfe_u32 v1, v0, 16, 1
	s_delay_alu instid0(VALU_DEP_1)
	v_add3_u32 v4, v0, v1, 0x7fff
                                        ; implicit-def: $vgpr0
; %bb.426:                              ;   in Loop: Header=BB460_8 Depth=1
	s_and_not1_saveexec_b32 s2, s1
; %bb.427:                              ;   in Loop: Header=BB460_8 Depth=1
	v_and_b32_e32 v1, 0xffff, v0
	v_or_b32_e32 v2, 0x10000, v0
	s_delay_alu instid0(VALU_DEP_2) | instskip(NEXT) | instid1(VALU_DEP_1)
	v_cmp_eq_u32_e64 s1, 0, v1
	v_cndmask_b32_e64 v4, v2, v0, s1
; %bb.428:                              ;   in Loop: Header=BB460_8 Depth=1
	s_or_b32 exec_lo, exec_lo, s2
	v_mov_b32_e32 v1, 0
	s_mov_b32 s2, exec_lo
	v_cmpx_lt_u32_e32 0xffffff, v30
	s_cbranch_execz .LBB460_436
; %bb.429:                              ;   in Loop: Header=BB460_8 Depth=1
	v_lshrrev_b32_e32 v0, 24, v30
	v_bfrev_b32_e32 v1, 1
	s_mov_b32 s18, exec_lo
	s_delay_alu instid0(VALU_DEP_2)
	v_cmpx_ne_u32_e32 0x80, v0
	s_cbranch_execz .LBB460_435
; %bb.430:                              ;   in Loop: Header=BB460_8 Depth=1
	v_bfe_u32 v2, v30, 24, 7
	v_mov_b32_e32 v1, 0x7f800001
	s_mov_b32 s19, exec_lo
	s_delay_alu instid0(VALU_DEP_2)
	v_cmpx_ne_u32_e32 0x7f, v2
	s_cbranch_execz .LBB460_434
; %bb.431:                              ;   in Loop: Header=BB460_8 Depth=1
	v_and_b32_e32 v18, 7, v0
	v_lshrrev_b32_e32 v1, 3, v2
	v_mov_b32_e32 v33, v19
	s_mov_b32 s20, exec_lo
	s_delay_alu instid0(VALU_DEP_3)
	v_mov_b32_e32 v32, v18
	v_cmpx_gt_u32_e32 8, v2
; %bb.432:                              ;   in Loop: Header=BB460_8 Depth=1
	v_clz_i32_u32_e32 v1, v18
	s_delay_alu instid0(VALU_DEP_1) | instskip(NEXT) | instid1(VALU_DEP_1)
	v_min_u32_e32 v1, 32, v1
	v_subrev_nc_u32_e32 v2, 28, v1
	v_sub_nc_u32_e32 v1, 29, v1
	s_delay_alu instid0(VALU_DEP_2) | instskip(NEXT) | instid1(VALU_DEP_1)
	v_lshlrev_b64 v[2:3], v2, v[18:19]
	v_and_b32_e32 v32, 7, v2
; %bb.433:                              ;   in Loop: Header=BB460_8 Depth=1
	s_or_b32 exec_lo, exec_lo, s20
	v_lshlrev_b32_e32 v0, 24, v0
	s_delay_alu instid0(VALU_DEP_2) | instskip(SKIP_1) | instid1(VALU_DEP_3)
	v_lshlrev_b32_e32 v2, 20, v32
	v_lshl_add_u32 v1, v1, 23, 0x3c000000
	v_and_b32_e32 v0, 0x80000000, v0
	s_delay_alu instid0(VALU_DEP_1)
	v_or3_b32 v1, v2, v0, v1
.LBB460_434:                            ;   in Loop: Header=BB460_8 Depth=1
	s_or_b32 exec_lo, exec_lo, s19
.LBB460_435:                            ;   in Loop: Header=BB460_8 Depth=1
	s_delay_alu instid0(SALU_CYCLE_1)
	s_or_b32 exec_lo, exec_lo, s18
.LBB460_436:                            ;   in Loop: Header=BB460_8 Depth=1
	s_delay_alu instid0(SALU_CYCLE_1) | instskip(NEXT) | instid1(VALU_DEP_1)
	s_or_b32 exec_lo, exec_lo, s2
	v_mul_f32_e32 v0, v136, v1
                                        ; implicit-def: $vgpr35
	s_delay_alu instid0(VALU_DEP_1) | instskip(NEXT) | instid1(VALU_DEP_1)
	v_and_b32_e32 v1, 0x7f800000, v0
	v_cmp_ne_u32_e64 s1, 0x7f800000, v1
	s_delay_alu instid0(VALU_DEP_1) | instskip(NEXT) | instid1(SALU_CYCLE_1)
	s_and_saveexec_b32 s2, s1
	s_xor_b32 s1, exec_lo, s2
; %bb.437:                              ;   in Loop: Header=BB460_8 Depth=1
	v_bfe_u32 v1, v0, 16, 1
	s_delay_alu instid0(VALU_DEP_1)
	v_add3_u32 v35, v0, v1, 0x7fff
                                        ; implicit-def: $vgpr0
; %bb.438:                              ;   in Loop: Header=BB460_8 Depth=1
	s_and_not1_saveexec_b32 s2, s1
; %bb.439:                              ;   in Loop: Header=BB460_8 Depth=1
	v_and_b32_e32 v1, 0xffff, v0
	v_or_b32_e32 v2, 0x10000, v0
	s_delay_alu instid0(VALU_DEP_2) | instskip(NEXT) | instid1(VALU_DEP_1)
	v_cmp_eq_u32_e64 s1, 0, v1
	v_cndmask_b32_e64 v35, v2, v0, s1
; %bb.440:                              ;   in Loop: Header=BB460_8 Depth=1
	s_or_b32 exec_lo, exec_lo, s2
	v_dual_mov_b32 v18, v31 :: v_dual_and_b32 v1, 0xff, v31
	v_mov_b32_e32 v0, 0
	s_mov_b32 s2, exec_lo
	s_delay_alu instid0(VALU_DEP_2)
	v_cmpx_ne_u16_e32 0, v1
	s_cbranch_execz .LBB460_448
; %bb.441:                              ;   in Loop: Header=BB460_8 Depth=1
	v_bfrev_b32_e32 v0, 1
	s_mov_b32 s18, exec_lo
	v_cmpx_ne_u16_e32 0x80, v1
	s_cbranch_execz .LBB460_447
; %bb.442:                              ;   in Loop: Header=BB460_8 Depth=1
	v_and_b32_e32 v1, 0x7f, v31
	v_mov_b32_e32 v0, 0x7f800001
	s_mov_b32 s19, exec_lo
	s_delay_alu instid0(VALU_DEP_2)
	v_cmpx_ne_u32_e32 0x7f, v1
	s_cbranch_execz .LBB460_446
; %bb.443:                              ;   in Loop: Header=BB460_8 Depth=1
	v_lshrrev_b32_e32 v0, 3, v1
	v_dual_mov_b32 v33, v19 :: v_dual_mov_b32 v32, v18
	s_mov_b32 s20, exec_lo
	v_cmpx_gt_u32_e32 8, v1
; %bb.444:                              ;   in Loop: Header=BB460_8 Depth=1
	v_and_b32_e32 v0, 7, v31
	s_delay_alu instid0(VALU_DEP_1) | instskip(NEXT) | instid1(VALU_DEP_1)
	v_clz_i32_u32_e32 v0, v0
	v_min_u32_e32 v0, 32, v0
	s_delay_alu instid0(VALU_DEP_1) | instskip(SKIP_1) | instid1(VALU_DEP_2)
	v_subrev_nc_u32_e32 v1, 28, v0
	v_sub_nc_u32_e32 v0, 29, v0
	v_lshlrev_b64 v[32:33], v1, v[18:19]
; %bb.445:                              ;   in Loop: Header=BB460_8 Depth=1
	s_or_b32 exec_lo, exec_lo, s20
	s_delay_alu instid0(VALU_DEP_1) | instskip(SKIP_2) | instid1(VALU_DEP_3)
	v_lshlrev_b32_e32 v1, 20, v32
	v_lshlrev_b32_e32 v2, 24, v18
	v_lshl_add_u32 v0, v0, 23, 0x3c000000
	v_and_b32_e32 v1, 0x700000, v1
	s_delay_alu instid0(VALU_DEP_3) | instskip(NEXT) | instid1(VALU_DEP_1)
	v_and_b32_e32 v2, 0x80000000, v2
	v_or3_b32 v0, v1, v2, v0
.LBB460_446:                            ;   in Loop: Header=BB460_8 Depth=1
	s_or_b32 exec_lo, exec_lo, s19
.LBB460_447:                            ;   in Loop: Header=BB460_8 Depth=1
	s_delay_alu instid0(SALU_CYCLE_1)
	s_or_b32 exec_lo, exec_lo, s18
.LBB460_448:                            ;   in Loop: Header=BB460_8 Depth=1
	s_delay_alu instid0(SALU_CYCLE_1) | instskip(NEXT) | instid1(VALU_DEP_1)
	s_or_b32 exec_lo, exec_lo, s2
	v_mul_f32_e32 v0, v136, v0
                                        ; implicit-def: $vgpr23
	s_delay_alu instid0(VALU_DEP_1) | instskip(NEXT) | instid1(VALU_DEP_1)
	v_and_b32_e32 v1, 0x7f800000, v0
	v_cmp_ne_u32_e64 s1, 0x7f800000, v1
	s_delay_alu instid0(VALU_DEP_1) | instskip(NEXT) | instid1(SALU_CYCLE_1)
	s_and_saveexec_b32 s2, s1
	s_xor_b32 s1, exec_lo, s2
; %bb.449:                              ;   in Loop: Header=BB460_8 Depth=1
	v_bfe_u32 v1, v0, 16, 1
	s_delay_alu instid0(VALU_DEP_1)
	v_add3_u32 v23, v0, v1, 0x7fff
                                        ; implicit-def: $vgpr0
; %bb.450:                              ;   in Loop: Header=BB460_8 Depth=1
	s_and_not1_saveexec_b32 s2, s1
; %bb.451:                              ;   in Loop: Header=BB460_8 Depth=1
	v_and_b32_e32 v1, 0xffff, v0
	v_or_b32_e32 v2, 0x10000, v0
	s_delay_alu instid0(VALU_DEP_2) | instskip(NEXT) | instid1(VALU_DEP_1)
	v_cmp_eq_u32_e64 s1, 0, v1
	v_cndmask_b32_e64 v23, v2, v0, s1
; %bb.452:                              ;   in Loop: Header=BB460_8 Depth=1
	s_or_b32 exec_lo, exec_lo, s2
	v_lshrrev_b16 v1, 8, v18
	v_mov_b32_e32 v0, 0
	s_mov_b32 s2, exec_lo
	s_delay_alu instid0(VALU_DEP_2)
	v_cmpx_ne_u16_e32 0, v1
	s_cbranch_execz .LBB460_460
; %bb.453:                              ;   in Loop: Header=BB460_8 Depth=1
	v_bfrev_b32_e32 v0, 1
	s_mov_b32 s18, exec_lo
	v_cmpx_ne_u16_e32 0x80, v1
	s_cbranch_execz .LBB460_459
; %bb.454:                              ;   in Loop: Header=BB460_8 Depth=1
	v_and_b32_e32 v2, 0xffff, v1
	v_mov_b32_e32 v0, 0x7f800001
	s_mov_b32 s19, exec_lo
	s_delay_alu instid0(VALU_DEP_2) | instskip(NEXT) | instid1(VALU_DEP_1)
	v_and_b32_e32 v1, 0x7f, v2
	v_cmpx_ne_u32_e32 0x7f, v1
	s_cbranch_execz .LBB460_458
; %bb.455:                              ;   in Loop: Header=BB460_8 Depth=1
	v_dual_mov_b32 v33, v19 :: v_dual_and_b32 v32, 7, v2
	v_lshrrev_b32_e32 v0, 3, v1
	s_mov_b32 s20, exec_lo
	v_cmpx_gt_u32_e32 8, v1
; %bb.456:                              ;   in Loop: Header=BB460_8 Depth=1
	s_delay_alu instid0(VALU_DEP_3) | instskip(NEXT) | instid1(VALU_DEP_1)
	v_clz_i32_u32_e32 v0, v32
	v_min_u32_e32 v0, 32, v0
	s_delay_alu instid0(VALU_DEP_1) | instskip(SKIP_1) | instid1(VALU_DEP_2)
	v_subrev_nc_u32_e32 v1, 28, v0
	v_sub_nc_u32_e32 v0, 29, v0
	v_lshlrev_b64 v[1:2], v1, v[32:33]
	s_delay_alu instid0(VALU_DEP_1)
	v_and_b32_e32 v32, 7, v1
; %bb.457:                              ;   in Loop: Header=BB460_8 Depth=1
	s_or_b32 exec_lo, exec_lo, s20
	v_lshlrev_b32_e32 v1, 16, v18
	s_delay_alu instid0(VALU_DEP_2) | instskip(SKIP_1) | instid1(VALU_DEP_3)
	v_lshlrev_b32_e32 v2, 20, v32
	v_lshl_add_u32 v0, v0, 23, 0x3c000000
	v_and_b32_e32 v1, 0x80000000, v1
	s_delay_alu instid0(VALU_DEP_1)
	v_or3_b32 v0, v2, v1, v0
.LBB460_458:                            ;   in Loop: Header=BB460_8 Depth=1
	s_or_b32 exec_lo, exec_lo, s19
.LBB460_459:                            ;   in Loop: Header=BB460_8 Depth=1
	s_delay_alu instid0(SALU_CYCLE_1)
	s_or_b32 exec_lo, exec_lo, s18
.LBB460_460:                            ;   in Loop: Header=BB460_8 Depth=1
	s_delay_alu instid0(SALU_CYCLE_1) | instskip(NEXT) | instid1(VALU_DEP_1)
	s_or_b32 exec_lo, exec_lo, s2
	v_mul_f32_e32 v0, v136, v0
                                        ; implicit-def: $vgpr52
	s_delay_alu instid0(VALU_DEP_1) | instskip(NEXT) | instid1(VALU_DEP_1)
	v_and_b32_e32 v1, 0x7f800000, v0
	v_cmp_ne_u32_e64 s1, 0x7f800000, v1
	s_delay_alu instid0(VALU_DEP_1) | instskip(NEXT) | instid1(SALU_CYCLE_1)
	s_and_saveexec_b32 s2, s1
	s_xor_b32 s1, exec_lo, s2
; %bb.461:                              ;   in Loop: Header=BB460_8 Depth=1
	v_bfe_u32 v1, v0, 16, 1
	s_delay_alu instid0(VALU_DEP_1)
	v_add3_u32 v52, v0, v1, 0x7fff
                                        ; implicit-def: $vgpr0
; %bb.462:                              ;   in Loop: Header=BB460_8 Depth=1
	s_and_not1_saveexec_b32 s2, s1
; %bb.463:                              ;   in Loop: Header=BB460_8 Depth=1
	v_and_b32_e32 v1, 0xffff, v0
	v_or_b32_e32 v2, 0x10000, v0
	s_delay_alu instid0(VALU_DEP_2) | instskip(NEXT) | instid1(VALU_DEP_1)
	v_cmp_eq_u32_e64 s1, 0, v1
	v_cndmask_b32_e64 v52, v2, v0, s1
; %bb.464:                              ;   in Loop: Header=BB460_8 Depth=1
	s_or_b32 exec_lo, exec_lo, s2
	v_lshrrev_b32_e32 v0, 16, v31
	s_mov_b32 s2, exec_lo
	s_delay_alu instid0(VALU_DEP_1) | instskip(NEXT) | instid1(VALU_DEP_1)
	v_dual_mov_b32 v1, 0 :: v_dual_and_b32 v2, 0xff, v0
	v_cmpx_ne_u16_e32 0, v2
	s_cbranch_execz .LBB460_472
; %bb.465:                              ;   in Loop: Header=BB460_8 Depth=1
	v_bfrev_b32_e32 v1, 1
	s_mov_b32 s18, exec_lo
	v_cmpx_ne_u16_e32 0x80, v2
	s_cbranch_execz .LBB460_471
; %bb.466:                              ;   in Loop: Header=BB460_8 Depth=1
	v_bfe_u32 v2, v31, 16, 7
	v_mov_b32_e32 v1, 0x7f800001
	s_mov_b32 s19, exec_lo
	s_delay_alu instid0(VALU_DEP_2)
	v_cmpx_ne_u32_e32 0x7f, v2
	s_cbranch_execz .LBB460_470
; %bb.467:                              ;   in Loop: Header=BB460_8 Depth=1
	v_and_b32_e32 v18, 7, v0
	v_lshrrev_b32_e32 v1, 3, v2
	v_mov_b32_e32 v33, v19
	s_mov_b32 s20, exec_lo
	s_delay_alu instid0(VALU_DEP_3)
	v_mov_b32_e32 v32, v18
	v_cmpx_gt_u32_e32 8, v2
; %bb.468:                              ;   in Loop: Header=BB460_8 Depth=1
	v_clz_i32_u32_e32 v1, v18
	s_delay_alu instid0(VALU_DEP_1) | instskip(NEXT) | instid1(VALU_DEP_1)
	v_min_u32_e32 v1, 32, v1
	v_subrev_nc_u32_e32 v2, 28, v1
	v_sub_nc_u32_e32 v1, 29, v1
	s_delay_alu instid0(VALU_DEP_2) | instskip(NEXT) | instid1(VALU_DEP_1)
	v_lshlrev_b64 v[2:3], v2, v[18:19]
	v_and_b32_e32 v32, 7, v2
; %bb.469:                              ;   in Loop: Header=BB460_8 Depth=1
	s_or_b32 exec_lo, exec_lo, s20
	v_lshlrev_b32_e32 v0, 24, v0
	s_delay_alu instid0(VALU_DEP_2) | instskip(SKIP_1) | instid1(VALU_DEP_3)
	v_lshlrev_b32_e32 v2, 20, v32
	v_lshl_add_u32 v1, v1, 23, 0x3c000000
	v_and_b32_e32 v0, 0x80000000, v0
	s_delay_alu instid0(VALU_DEP_1)
	v_or3_b32 v1, v2, v0, v1
.LBB460_470:                            ;   in Loop: Header=BB460_8 Depth=1
	s_or_b32 exec_lo, exec_lo, s19
.LBB460_471:                            ;   in Loop: Header=BB460_8 Depth=1
	s_delay_alu instid0(SALU_CYCLE_1)
	s_or_b32 exec_lo, exec_lo, s18
.LBB460_472:                            ;   in Loop: Header=BB460_8 Depth=1
	s_delay_alu instid0(SALU_CYCLE_1) | instskip(NEXT) | instid1(VALU_DEP_1)
	s_or_b32 exec_lo, exec_lo, s2
	v_mul_f32_e32 v0, v136, v1
                                        ; implicit-def: $vgpr12
	s_delay_alu instid0(VALU_DEP_1) | instskip(NEXT) | instid1(VALU_DEP_1)
	v_and_b32_e32 v1, 0x7f800000, v0
	v_cmp_ne_u32_e64 s1, 0x7f800000, v1
	s_delay_alu instid0(VALU_DEP_1) | instskip(NEXT) | instid1(SALU_CYCLE_1)
	s_and_saveexec_b32 s2, s1
	s_xor_b32 s1, exec_lo, s2
; %bb.473:                              ;   in Loop: Header=BB460_8 Depth=1
	v_bfe_u32 v1, v0, 16, 1
	s_delay_alu instid0(VALU_DEP_1)
	v_add3_u32 v12, v0, v1, 0x7fff
                                        ; implicit-def: $vgpr0
; %bb.474:                              ;   in Loop: Header=BB460_8 Depth=1
	s_and_not1_saveexec_b32 s2, s1
; %bb.475:                              ;   in Loop: Header=BB460_8 Depth=1
	v_and_b32_e32 v1, 0xffff, v0
	v_or_b32_e32 v2, 0x10000, v0
	s_delay_alu instid0(VALU_DEP_2) | instskip(NEXT) | instid1(VALU_DEP_1)
	v_cmp_eq_u32_e64 s1, 0, v1
	v_cndmask_b32_e64 v12, v2, v0, s1
; %bb.476:                              ;   in Loop: Header=BB460_8 Depth=1
	s_or_b32 exec_lo, exec_lo, s2
	v_mov_b32_e32 v1, 0
	s_mov_b32 s2, exec_lo
	v_cmpx_lt_u64_e64 s[8:9], v[30:31]
	s_cbranch_execz .LBB460_484
; %bb.477:                              ;   in Loop: Header=BB460_8 Depth=1
	v_lshrrev_b32_e32 v0, 24, v31
	v_bfrev_b32_e32 v1, 1
	s_mov_b32 s18, exec_lo
	s_delay_alu instid0(VALU_DEP_2)
	v_cmpx_ne_u32_e32 0x80, v0
	s_cbranch_execz .LBB460_483
; %bb.478:                              ;   in Loop: Header=BB460_8 Depth=1
	v_bfe_u32 v2, v31, 24, 7
	v_mov_b32_e32 v1, 0x7f800001
	s_mov_b32 s19, exec_lo
	s_delay_alu instid0(VALU_DEP_2)
	v_cmpx_ne_u32_e32 0x7f, v2
	s_cbranch_execz .LBB460_482
; %bb.479:                              ;   in Loop: Header=BB460_8 Depth=1
	v_and_b32_e32 v18, 7, v0
	v_lshrrev_b32_e32 v1, 3, v2
	v_mov_b32_e32 v31, v19
	s_mov_b32 s20, exec_lo
	s_delay_alu instid0(VALU_DEP_3)
	v_mov_b32_e32 v30, v18
	v_cmpx_gt_u32_e32 8, v2
; %bb.480:                              ;   in Loop: Header=BB460_8 Depth=1
	v_clz_i32_u32_e32 v1, v18
	s_delay_alu instid0(VALU_DEP_1) | instskip(NEXT) | instid1(VALU_DEP_1)
	v_min_u32_e32 v1, 32, v1
	v_subrev_nc_u32_e32 v2, 28, v1
	v_sub_nc_u32_e32 v1, 29, v1
	s_delay_alu instid0(VALU_DEP_2) | instskip(NEXT) | instid1(VALU_DEP_1)
	v_lshlrev_b64 v[2:3], v2, v[18:19]
	v_and_b32_e32 v30, 7, v2
; %bb.481:                              ;   in Loop: Header=BB460_8 Depth=1
	s_or_b32 exec_lo, exec_lo, s20
	v_lshlrev_b32_e32 v0, 24, v0
	s_delay_alu instid0(VALU_DEP_2) | instskip(SKIP_1) | instid1(VALU_DEP_3)
	v_lshlrev_b32_e32 v2, 20, v30
	v_lshl_add_u32 v1, v1, 23, 0x3c000000
	v_and_b32_e32 v0, 0x80000000, v0
	s_delay_alu instid0(VALU_DEP_1)
	v_or3_b32 v1, v2, v0, v1
.LBB460_482:                            ;   in Loop: Header=BB460_8 Depth=1
	s_or_b32 exec_lo, exec_lo, s19
.LBB460_483:                            ;   in Loop: Header=BB460_8 Depth=1
	s_delay_alu instid0(SALU_CYCLE_1)
	s_or_b32 exec_lo, exec_lo, s18
.LBB460_484:                            ;   in Loop: Header=BB460_8 Depth=1
	s_delay_alu instid0(SALU_CYCLE_1) | instskip(NEXT) | instid1(VALU_DEP_1)
	s_or_b32 exec_lo, exec_lo, s2
	v_mul_f32_e32 v0, v136, v1
                                        ; implicit-def: $vgpr11
	s_delay_alu instid0(VALU_DEP_1) | instskip(NEXT) | instid1(VALU_DEP_1)
	v_and_b32_e32 v1, 0x7f800000, v0
	v_cmp_ne_u32_e64 s1, 0x7f800000, v1
	s_delay_alu instid0(VALU_DEP_1) | instskip(NEXT) | instid1(SALU_CYCLE_1)
	s_and_saveexec_b32 s2, s1
	s_xor_b32 s1, exec_lo, s2
; %bb.485:                              ;   in Loop: Header=BB460_8 Depth=1
	v_bfe_u32 v1, v0, 16, 1
	s_delay_alu instid0(VALU_DEP_1)
	v_add3_u32 v11, v0, v1, 0x7fff
                                        ; implicit-def: $vgpr0
; %bb.486:                              ;   in Loop: Header=BB460_8 Depth=1
	s_and_not1_saveexec_b32 s2, s1
; %bb.487:                              ;   in Loop: Header=BB460_8 Depth=1
	v_and_b32_e32 v1, 0xffff, v0
	v_or_b32_e32 v2, 0x10000, v0
	s_delay_alu instid0(VALU_DEP_2) | instskip(NEXT) | instid1(VALU_DEP_1)
	v_cmp_eq_u32_e64 s1, 0, v1
	v_cndmask_b32_e64 v11, v2, v0, s1
; %bb.488:                              ;   in Loop: Header=BB460_8 Depth=1
	s_or_b32 exec_lo, exec_lo, s2
	flat_load_b64 v[30:31], v[28:29] offset:1032
	s_mov_b32 s2, exec_lo
	s_waitcnt vmcnt(0) lgkmcnt(0)
	v_dual_mov_b32 v0, 0 :: v_dual_and_b32 v1, 0xff, v30
	s_delay_alu instid0(VALU_DEP_1)
	v_cmpx_ne_u16_e32 0, v1
	s_cbranch_execz .LBB460_496
; %bb.489:                              ;   in Loop: Header=BB460_8 Depth=1
	v_bfrev_b32_e32 v0, 1
	s_mov_b32 s18, exec_lo
	v_cmpx_ne_u16_e32 0x80, v1
	s_cbranch_execz .LBB460_495
; %bb.490:                              ;   in Loop: Header=BB460_8 Depth=1
	v_and_b32_e32 v1, 0x7f, v30
	v_mov_b32_e32 v0, 0x7f800001
	s_mov_b32 s19, exec_lo
	s_delay_alu instid0(VALU_DEP_2)
	v_cmpx_ne_u32_e32 0x7f, v1
	s_cbranch_execz .LBB460_494
; %bb.491:                              ;   in Loop: Header=BB460_8 Depth=1
	v_lshrrev_b32_e32 v0, 3, v1
	v_dual_mov_b32 v33, v31 :: v_dual_mov_b32 v32, v30
	s_mov_b32 s20, exec_lo
	v_cmpx_gt_u32_e32 8, v1
; %bb.492:                              ;   in Loop: Header=BB460_8 Depth=1
	v_and_b32_e32 v0, 7, v30
	s_delay_alu instid0(VALU_DEP_1) | instskip(NEXT) | instid1(VALU_DEP_1)
	v_clz_i32_u32_e32 v0, v0
	v_min_u32_e32 v0, 32, v0
	s_delay_alu instid0(VALU_DEP_1) | instskip(SKIP_1) | instid1(VALU_DEP_2)
	v_subrev_nc_u32_e32 v1, 28, v0
	v_sub_nc_u32_e32 v0, 29, v0
	v_lshlrev_b64 v[32:33], v1, v[30:31]
; %bb.493:                              ;   in Loop: Header=BB460_8 Depth=1
	s_or_b32 exec_lo, exec_lo, s20
	s_delay_alu instid0(VALU_DEP_1) | instskip(SKIP_2) | instid1(VALU_DEP_3)
	v_lshlrev_b32_e32 v1, 20, v32
	v_lshlrev_b32_e32 v2, 24, v30
	v_lshl_add_u32 v0, v0, 23, 0x3c000000
	v_and_b32_e32 v1, 0x700000, v1
	s_delay_alu instid0(VALU_DEP_3) | instskip(NEXT) | instid1(VALU_DEP_1)
	v_and_b32_e32 v2, 0x80000000, v2
	v_or3_b32 v0, v1, v2, v0
.LBB460_494:                            ;   in Loop: Header=BB460_8 Depth=1
	s_or_b32 exec_lo, exec_lo, s19
.LBB460_495:                            ;   in Loop: Header=BB460_8 Depth=1
	s_delay_alu instid0(SALU_CYCLE_1)
	s_or_b32 exec_lo, exec_lo, s18
.LBB460_496:                            ;   in Loop: Header=BB460_8 Depth=1
	s_delay_alu instid0(SALU_CYCLE_1) | instskip(NEXT) | instid1(VALU_DEP_1)
	s_or_b32 exec_lo, exec_lo, s2
	v_mul_f32_e32 v0, v136, v0
                                        ; implicit-def: $vgpr10
	s_delay_alu instid0(VALU_DEP_1) | instskip(NEXT) | instid1(VALU_DEP_1)
	v_and_b32_e32 v1, 0x7f800000, v0
	v_cmp_ne_u32_e64 s1, 0x7f800000, v1
	s_delay_alu instid0(VALU_DEP_1) | instskip(NEXT) | instid1(SALU_CYCLE_1)
	s_and_saveexec_b32 s2, s1
	s_xor_b32 s1, exec_lo, s2
; %bb.497:                              ;   in Loop: Header=BB460_8 Depth=1
	v_bfe_u32 v1, v0, 16, 1
	s_delay_alu instid0(VALU_DEP_1)
	v_add3_u32 v10, v0, v1, 0x7fff
                                        ; implicit-def: $vgpr0
; %bb.498:                              ;   in Loop: Header=BB460_8 Depth=1
	s_and_not1_saveexec_b32 s2, s1
; %bb.499:                              ;   in Loop: Header=BB460_8 Depth=1
	v_and_b32_e32 v1, 0xffff, v0
	v_or_b32_e32 v2, 0x10000, v0
	s_delay_alu instid0(VALU_DEP_2) | instskip(NEXT) | instid1(VALU_DEP_1)
	v_cmp_eq_u32_e64 s1, 0, v1
	v_cndmask_b32_e64 v10, v2, v0, s1
; %bb.500:                              ;   in Loop: Header=BB460_8 Depth=1
	s_or_b32 exec_lo, exec_lo, s2
	v_lshrrev_b16 v1, 8, v30
	v_mov_b32_e32 v0, 0
	s_mov_b32 s2, exec_lo
	s_delay_alu instid0(VALU_DEP_2)
	v_cmpx_ne_u16_e32 0, v1
	s_cbranch_execz .LBB460_508
; %bb.501:                              ;   in Loop: Header=BB460_8 Depth=1
	v_bfrev_b32_e32 v0, 1
	s_mov_b32 s18, exec_lo
	v_cmpx_ne_u16_e32 0x80, v1
	s_cbranch_execz .LBB460_507
; %bb.502:                              ;   in Loop: Header=BB460_8 Depth=1
	v_and_b32_e32 v2, 0xffff, v1
	v_mov_b32_e32 v0, 0x7f800001
	s_mov_b32 s19, exec_lo
	s_delay_alu instid0(VALU_DEP_2) | instskip(NEXT) | instid1(VALU_DEP_1)
	v_and_b32_e32 v1, 0x7f, v2
	v_cmpx_ne_u32_e32 0x7f, v1
	s_cbranch_execz .LBB460_506
; %bb.503:                              ;   in Loop: Header=BB460_8 Depth=1
	v_and_b32_e32 v18, 7, v2
	v_lshrrev_b32_e32 v0, 3, v1
	v_mov_b32_e32 v33, v19
	s_mov_b32 s20, exec_lo
	s_delay_alu instid0(VALU_DEP_3)
	v_mov_b32_e32 v32, v18
	v_cmpx_gt_u32_e32 8, v1
; %bb.504:                              ;   in Loop: Header=BB460_8 Depth=1
	v_clz_i32_u32_e32 v0, v18
	s_delay_alu instid0(VALU_DEP_1) | instskip(NEXT) | instid1(VALU_DEP_1)
	v_min_u32_e32 v0, 32, v0
	v_subrev_nc_u32_e32 v1, 28, v0
	v_sub_nc_u32_e32 v0, 29, v0
	s_delay_alu instid0(VALU_DEP_2) | instskip(NEXT) | instid1(VALU_DEP_1)
	v_lshlrev_b64 v[1:2], v1, v[18:19]
	v_and_b32_e32 v32, 7, v1
; %bb.505:                              ;   in Loop: Header=BB460_8 Depth=1
	s_or_b32 exec_lo, exec_lo, s20
	v_lshlrev_b32_e32 v1, 16, v30
	s_delay_alu instid0(VALU_DEP_2) | instskip(SKIP_1) | instid1(VALU_DEP_3)
	v_lshlrev_b32_e32 v2, 20, v32
	v_lshl_add_u32 v0, v0, 23, 0x3c000000
	v_and_b32_e32 v1, 0x80000000, v1
	s_delay_alu instid0(VALU_DEP_1)
	v_or3_b32 v0, v2, v1, v0
.LBB460_506:                            ;   in Loop: Header=BB460_8 Depth=1
	s_or_b32 exec_lo, exec_lo, s19
.LBB460_507:                            ;   in Loop: Header=BB460_8 Depth=1
	s_delay_alu instid0(SALU_CYCLE_1)
	s_or_b32 exec_lo, exec_lo, s18
.LBB460_508:                            ;   in Loop: Header=BB460_8 Depth=1
	s_delay_alu instid0(SALU_CYCLE_1) | instskip(NEXT) | instid1(VALU_DEP_1)
	s_or_b32 exec_lo, exec_lo, s2
	v_mul_f32_e32 v0, v136, v0
                                        ; implicit-def: $vgpr6
	s_delay_alu instid0(VALU_DEP_1) | instskip(NEXT) | instid1(VALU_DEP_1)
	v_and_b32_e32 v1, 0x7f800000, v0
	v_cmp_ne_u32_e64 s1, 0x7f800000, v1
	s_delay_alu instid0(VALU_DEP_1) | instskip(NEXT) | instid1(SALU_CYCLE_1)
	s_and_saveexec_b32 s2, s1
	s_xor_b32 s1, exec_lo, s2
; %bb.509:                              ;   in Loop: Header=BB460_8 Depth=1
	v_bfe_u32 v1, v0, 16, 1
	s_delay_alu instid0(VALU_DEP_1)
	v_add3_u32 v6, v0, v1, 0x7fff
                                        ; implicit-def: $vgpr0
; %bb.510:                              ;   in Loop: Header=BB460_8 Depth=1
	s_and_not1_saveexec_b32 s2, s1
; %bb.511:                              ;   in Loop: Header=BB460_8 Depth=1
	v_and_b32_e32 v1, 0xffff, v0
	v_or_b32_e32 v2, 0x10000, v0
	s_delay_alu instid0(VALU_DEP_2) | instskip(NEXT) | instid1(VALU_DEP_1)
	v_cmp_eq_u32_e64 s1, 0, v1
	v_cndmask_b32_e64 v6, v2, v0, s1
; %bb.512:                              ;   in Loop: Header=BB460_8 Depth=1
	s_or_b32 exec_lo, exec_lo, s2
	v_lshrrev_b32_e32 v0, 16, v30
	s_mov_b32 s2, exec_lo
	s_delay_alu instid0(VALU_DEP_1) | instskip(NEXT) | instid1(VALU_DEP_1)
	v_dual_mov_b32 v1, 0 :: v_dual_and_b32 v2, 0xff, v0
	v_cmpx_ne_u16_e32 0, v2
	s_cbranch_execz .LBB460_520
; %bb.513:                              ;   in Loop: Header=BB460_8 Depth=1
	v_bfrev_b32_e32 v1, 1
	s_mov_b32 s18, exec_lo
	v_cmpx_ne_u16_e32 0x80, v2
	s_cbranch_execz .LBB460_519
; %bb.514:                              ;   in Loop: Header=BB460_8 Depth=1
	v_bfe_u32 v2, v30, 16, 7
	v_mov_b32_e32 v1, 0x7f800001
	s_mov_b32 s19, exec_lo
	s_delay_alu instid0(VALU_DEP_2)
	v_cmpx_ne_u32_e32 0x7f, v2
	s_cbranch_execz .LBB460_518
; %bb.515:                              ;   in Loop: Header=BB460_8 Depth=1
	v_and_b32_e32 v18, 7, v0
	v_lshrrev_b32_e32 v1, 3, v2
	v_mov_b32_e32 v33, v19
	s_mov_b32 s20, exec_lo
	s_delay_alu instid0(VALU_DEP_3)
	v_mov_b32_e32 v32, v18
	v_cmpx_gt_u32_e32 8, v2
; %bb.516:                              ;   in Loop: Header=BB460_8 Depth=1
	v_clz_i32_u32_e32 v1, v18
	s_delay_alu instid0(VALU_DEP_1) | instskip(NEXT) | instid1(VALU_DEP_1)
	v_min_u32_e32 v1, 32, v1
	v_subrev_nc_u32_e32 v2, 28, v1
	v_sub_nc_u32_e32 v1, 29, v1
	s_delay_alu instid0(VALU_DEP_2) | instskip(NEXT) | instid1(VALU_DEP_1)
	v_lshlrev_b64 v[2:3], v2, v[18:19]
	v_and_b32_e32 v32, 7, v2
; %bb.517:                              ;   in Loop: Header=BB460_8 Depth=1
	s_or_b32 exec_lo, exec_lo, s20
	v_lshlrev_b32_e32 v0, 24, v0
	s_delay_alu instid0(VALU_DEP_2) | instskip(SKIP_1) | instid1(VALU_DEP_3)
	v_lshlrev_b32_e32 v2, 20, v32
	v_lshl_add_u32 v1, v1, 23, 0x3c000000
	v_and_b32_e32 v0, 0x80000000, v0
	s_delay_alu instid0(VALU_DEP_1)
	v_or3_b32 v1, v2, v0, v1
.LBB460_518:                            ;   in Loop: Header=BB460_8 Depth=1
	s_or_b32 exec_lo, exec_lo, s19
.LBB460_519:                            ;   in Loop: Header=BB460_8 Depth=1
	s_delay_alu instid0(SALU_CYCLE_1)
	s_or_b32 exec_lo, exec_lo, s18
.LBB460_520:                            ;   in Loop: Header=BB460_8 Depth=1
	s_delay_alu instid0(SALU_CYCLE_1) | instskip(NEXT) | instid1(VALU_DEP_1)
	s_or_b32 exec_lo, exec_lo, s2
	v_mul_f32_e32 v0, v136, v1
                                        ; implicit-def: $vgpr7
	s_delay_alu instid0(VALU_DEP_1) | instskip(NEXT) | instid1(VALU_DEP_1)
	v_and_b32_e32 v1, 0x7f800000, v0
	v_cmp_ne_u32_e64 s1, 0x7f800000, v1
	s_delay_alu instid0(VALU_DEP_1) | instskip(NEXT) | instid1(SALU_CYCLE_1)
	s_and_saveexec_b32 s2, s1
	s_xor_b32 s1, exec_lo, s2
; %bb.521:                              ;   in Loop: Header=BB460_8 Depth=1
	v_bfe_u32 v1, v0, 16, 1
	s_delay_alu instid0(VALU_DEP_1)
	v_add3_u32 v7, v0, v1, 0x7fff
                                        ; implicit-def: $vgpr0
; %bb.522:                              ;   in Loop: Header=BB460_8 Depth=1
	s_and_not1_saveexec_b32 s2, s1
; %bb.523:                              ;   in Loop: Header=BB460_8 Depth=1
	v_and_b32_e32 v1, 0xffff, v0
	v_or_b32_e32 v2, 0x10000, v0
	s_delay_alu instid0(VALU_DEP_2) | instskip(NEXT) | instid1(VALU_DEP_1)
	v_cmp_eq_u32_e64 s1, 0, v1
	v_cndmask_b32_e64 v7, v2, v0, s1
; %bb.524:                              ;   in Loop: Header=BB460_8 Depth=1
	s_or_b32 exec_lo, exec_lo, s2
	v_mov_b32_e32 v1, 0
	s_mov_b32 s2, exec_lo
	v_cmpx_lt_u32_e32 0xffffff, v30
	s_cbranch_execz .LBB460_532
; %bb.525:                              ;   in Loop: Header=BB460_8 Depth=1
	v_lshrrev_b32_e32 v0, 24, v30
	v_bfrev_b32_e32 v1, 1
	s_mov_b32 s18, exec_lo
	s_delay_alu instid0(VALU_DEP_2)
	v_cmpx_ne_u32_e32 0x80, v0
	s_cbranch_execz .LBB460_531
; %bb.526:                              ;   in Loop: Header=BB460_8 Depth=1
	v_bfe_u32 v2, v30, 24, 7
	v_mov_b32_e32 v1, 0x7f800001
	s_mov_b32 s19, exec_lo
	s_delay_alu instid0(VALU_DEP_2)
	v_cmpx_ne_u32_e32 0x7f, v2
	s_cbranch_execz .LBB460_530
; %bb.527:                              ;   in Loop: Header=BB460_8 Depth=1
	v_and_b32_e32 v18, 7, v0
	v_lshrrev_b32_e32 v1, 3, v2
	v_mov_b32_e32 v33, v19
	s_mov_b32 s20, exec_lo
	s_delay_alu instid0(VALU_DEP_3)
	v_mov_b32_e32 v32, v18
	v_cmpx_gt_u32_e32 8, v2
; %bb.528:                              ;   in Loop: Header=BB460_8 Depth=1
	v_clz_i32_u32_e32 v1, v18
	s_delay_alu instid0(VALU_DEP_1) | instskip(NEXT) | instid1(VALU_DEP_1)
	v_min_u32_e32 v1, 32, v1
	v_subrev_nc_u32_e32 v2, 28, v1
	v_sub_nc_u32_e32 v1, 29, v1
	s_delay_alu instid0(VALU_DEP_2) | instskip(NEXT) | instid1(VALU_DEP_1)
	v_lshlrev_b64 v[2:3], v2, v[18:19]
	v_and_b32_e32 v32, 7, v2
; %bb.529:                              ;   in Loop: Header=BB460_8 Depth=1
	s_or_b32 exec_lo, exec_lo, s20
	v_lshlrev_b32_e32 v0, 24, v0
	s_delay_alu instid0(VALU_DEP_2) | instskip(SKIP_1) | instid1(VALU_DEP_3)
	v_lshlrev_b32_e32 v2, 20, v32
	v_lshl_add_u32 v1, v1, 23, 0x3c000000
	v_and_b32_e32 v0, 0x80000000, v0
	s_delay_alu instid0(VALU_DEP_1)
	v_or3_b32 v1, v2, v0, v1
.LBB460_530:                            ;   in Loop: Header=BB460_8 Depth=1
	s_or_b32 exec_lo, exec_lo, s19
.LBB460_531:                            ;   in Loop: Header=BB460_8 Depth=1
	s_delay_alu instid0(SALU_CYCLE_1)
	s_or_b32 exec_lo, exec_lo, s18
.LBB460_532:                            ;   in Loop: Header=BB460_8 Depth=1
	s_delay_alu instid0(SALU_CYCLE_1) | instskip(NEXT) | instid1(VALU_DEP_1)
	s_or_b32 exec_lo, exec_lo, s2
	v_mul_f32_e32 v0, v136, v1
                                        ; implicit-def: $vgpr2
	s_delay_alu instid0(VALU_DEP_1) | instskip(NEXT) | instid1(VALU_DEP_1)
	v_and_b32_e32 v1, 0x7f800000, v0
	v_cmp_ne_u32_e64 s1, 0x7f800000, v1
	s_delay_alu instid0(VALU_DEP_1) | instskip(NEXT) | instid1(SALU_CYCLE_1)
	s_and_saveexec_b32 s2, s1
	s_xor_b32 s1, exec_lo, s2
; %bb.533:                              ;   in Loop: Header=BB460_8 Depth=1
	v_bfe_u32 v1, v0, 16, 1
	s_delay_alu instid0(VALU_DEP_1)
	v_add3_u32 v2, v0, v1, 0x7fff
                                        ; implicit-def: $vgpr0
; %bb.534:                              ;   in Loop: Header=BB460_8 Depth=1
	s_and_not1_saveexec_b32 s2, s1
; %bb.535:                              ;   in Loop: Header=BB460_8 Depth=1
	v_and_b32_e32 v1, 0xffff, v0
	v_or_b32_e32 v2, 0x10000, v0
	s_delay_alu instid0(VALU_DEP_2) | instskip(NEXT) | instid1(VALU_DEP_1)
	v_cmp_eq_u32_e64 s1, 0, v1
	v_cndmask_b32_e64 v2, v2, v0, s1
; %bb.536:                              ;   in Loop: Header=BB460_8 Depth=1
	s_or_b32 exec_lo, exec_lo, s2
	v_dual_mov_b32 v18, v31 :: v_dual_and_b32 v1, 0xff, v31
	v_mov_b32_e32 v0, 0
	s_mov_b32 s2, exec_lo
	s_delay_alu instid0(VALU_DEP_2)
	v_cmpx_ne_u16_e32 0, v1
	s_cbranch_execz .LBB460_544
; %bb.537:                              ;   in Loop: Header=BB460_8 Depth=1
	v_bfrev_b32_e32 v0, 1
	s_mov_b32 s18, exec_lo
	v_cmpx_ne_u16_e32 0x80, v1
	s_cbranch_execz .LBB460_543
; %bb.538:                              ;   in Loop: Header=BB460_8 Depth=1
	v_and_b32_e32 v1, 0x7f, v31
	v_mov_b32_e32 v0, 0x7f800001
	s_mov_b32 s19, exec_lo
	s_delay_alu instid0(VALU_DEP_2)
	v_cmpx_ne_u32_e32 0x7f, v1
	s_cbranch_execz .LBB460_542
; %bb.539:                              ;   in Loop: Header=BB460_8 Depth=1
	v_lshrrev_b32_e32 v0, 3, v1
	v_dual_mov_b32 v33, v19 :: v_dual_mov_b32 v32, v18
	s_mov_b32 s20, exec_lo
	v_cmpx_gt_u32_e32 8, v1
; %bb.540:                              ;   in Loop: Header=BB460_8 Depth=1
	v_and_b32_e32 v0, 7, v31
	s_delay_alu instid0(VALU_DEP_1) | instskip(NEXT) | instid1(VALU_DEP_1)
	v_clz_i32_u32_e32 v0, v0
	v_min_u32_e32 v0, 32, v0
	s_delay_alu instid0(VALU_DEP_1) | instskip(SKIP_1) | instid1(VALU_DEP_2)
	v_subrev_nc_u32_e32 v1, 28, v0
	v_sub_nc_u32_e32 v0, 29, v0
	v_lshlrev_b64 v[32:33], v1, v[18:19]
; %bb.541:                              ;   in Loop: Header=BB460_8 Depth=1
	s_or_b32 exec_lo, exec_lo, s20
	s_delay_alu instid0(VALU_DEP_1) | instskip(SKIP_2) | instid1(VALU_DEP_3)
	v_lshlrev_b32_e32 v1, 20, v32
	v_lshlrev_b32_e32 v3, 24, v18
	v_lshl_add_u32 v0, v0, 23, 0x3c000000
	v_and_b32_e32 v1, 0x700000, v1
	s_delay_alu instid0(VALU_DEP_3) | instskip(NEXT) | instid1(VALU_DEP_1)
	v_and_b32_e32 v3, 0x80000000, v3
	v_or3_b32 v0, v1, v3, v0
.LBB460_542:                            ;   in Loop: Header=BB460_8 Depth=1
	s_or_b32 exec_lo, exec_lo, s19
.LBB460_543:                            ;   in Loop: Header=BB460_8 Depth=1
	s_delay_alu instid0(SALU_CYCLE_1)
	s_or_b32 exec_lo, exec_lo, s18
.LBB460_544:                            ;   in Loop: Header=BB460_8 Depth=1
	s_delay_alu instid0(SALU_CYCLE_1) | instskip(NEXT) | instid1(VALU_DEP_1)
	s_or_b32 exec_lo, exec_lo, s2
	v_mul_f32_e32 v0, v136, v0
                                        ; implicit-def: $vgpr3
	s_delay_alu instid0(VALU_DEP_1) | instskip(NEXT) | instid1(VALU_DEP_1)
	v_and_b32_e32 v1, 0x7f800000, v0
	v_cmp_ne_u32_e64 s1, 0x7f800000, v1
	s_delay_alu instid0(VALU_DEP_1) | instskip(NEXT) | instid1(SALU_CYCLE_1)
	s_and_saveexec_b32 s2, s1
	s_xor_b32 s1, exec_lo, s2
; %bb.545:                              ;   in Loop: Header=BB460_8 Depth=1
	v_bfe_u32 v1, v0, 16, 1
	s_delay_alu instid0(VALU_DEP_1)
	v_add3_u32 v3, v0, v1, 0x7fff
                                        ; implicit-def: $vgpr0
; %bb.546:                              ;   in Loop: Header=BB460_8 Depth=1
	s_and_not1_saveexec_b32 s2, s1
; %bb.547:                              ;   in Loop: Header=BB460_8 Depth=1
	v_and_b32_e32 v1, 0xffff, v0
	v_or_b32_e32 v3, 0x10000, v0
	s_delay_alu instid0(VALU_DEP_2) | instskip(NEXT) | instid1(VALU_DEP_1)
	v_cmp_eq_u32_e64 s1, 0, v1
	v_cndmask_b32_e64 v3, v3, v0, s1
; %bb.548:                              ;   in Loop: Header=BB460_8 Depth=1
	s_or_b32 exec_lo, exec_lo, s2
	v_lshrrev_b16 v1, 8, v18
	v_mov_b32_e32 v0, 0
	s_mov_b32 s2, exec_lo
	s_delay_alu instid0(VALU_DEP_2)
	v_cmpx_ne_u16_e32 0, v1
	s_cbranch_execz .LBB460_556
; %bb.549:                              ;   in Loop: Header=BB460_8 Depth=1
	v_bfrev_b32_e32 v0, 1
	s_mov_b32 s18, exec_lo
	v_cmpx_ne_u16_e32 0x80, v1
	s_cbranch_execz .LBB460_555
; %bb.550:                              ;   in Loop: Header=BB460_8 Depth=1
	v_and_b32_e32 v14, 0xffff, v1
	v_mov_b32_e32 v0, 0x7f800001
	s_mov_b32 s19, exec_lo
	s_delay_alu instid0(VALU_DEP_2) | instskip(NEXT) | instid1(VALU_DEP_1)
	v_and_b32_e32 v1, 0x7f, v14
	v_cmpx_ne_u32_e32 0x7f, v1
	s_cbranch_execz .LBB460_554
; %bb.551:                              ;   in Loop: Header=BB460_8 Depth=1
	v_dual_mov_b32 v33, v19 :: v_dual_and_b32 v32, 7, v14
	v_lshrrev_b32_e32 v0, 3, v1
	s_mov_b32 s20, exec_lo
	v_cmpx_gt_u32_e32 8, v1
; %bb.552:                              ;   in Loop: Header=BB460_8 Depth=1
	s_delay_alu instid0(VALU_DEP_3) | instskip(NEXT) | instid1(VALU_DEP_1)
	v_clz_i32_u32_e32 v0, v32
	v_min_u32_e32 v0, 32, v0
	s_delay_alu instid0(VALU_DEP_1) | instskip(SKIP_1) | instid1(VALU_DEP_2)
	v_subrev_nc_u32_e32 v1, 28, v0
	v_sub_nc_u32_e32 v0, 29, v0
	v_lshlrev_b64 v[14:15], v1, v[32:33]
	s_delay_alu instid0(VALU_DEP_1)
	v_and_b32_e32 v32, 7, v14
; %bb.553:                              ;   in Loop: Header=BB460_8 Depth=1
	s_or_b32 exec_lo, exec_lo, s20
	v_lshlrev_b32_e32 v1, 16, v18
	s_delay_alu instid0(VALU_DEP_2) | instskip(SKIP_1) | instid1(VALU_DEP_3)
	v_lshlrev_b32_e32 v14, 20, v32
	v_lshl_add_u32 v0, v0, 23, 0x3c000000
	v_and_b32_e32 v1, 0x80000000, v1
	s_delay_alu instid0(VALU_DEP_1)
	v_or3_b32 v0, v14, v1, v0
.LBB460_554:                            ;   in Loop: Header=BB460_8 Depth=1
	s_or_b32 exec_lo, exec_lo, s19
.LBB460_555:                            ;   in Loop: Header=BB460_8 Depth=1
	s_delay_alu instid0(SALU_CYCLE_1)
	s_or_b32 exec_lo, exec_lo, s18
.LBB460_556:                            ;   in Loop: Header=BB460_8 Depth=1
	s_delay_alu instid0(SALU_CYCLE_1) | instskip(NEXT) | instid1(VALU_DEP_1)
	s_or_b32 exec_lo, exec_lo, s2
	v_mul_f32_e32 v0, v136, v0
                                        ; implicit-def: $vgpr14
	s_delay_alu instid0(VALU_DEP_1) | instskip(NEXT) | instid1(VALU_DEP_1)
	v_and_b32_e32 v1, 0x7f800000, v0
	v_cmp_ne_u32_e64 s1, 0x7f800000, v1
	s_delay_alu instid0(VALU_DEP_1) | instskip(NEXT) | instid1(SALU_CYCLE_1)
	s_and_saveexec_b32 s2, s1
	s_xor_b32 s1, exec_lo, s2
; %bb.557:                              ;   in Loop: Header=BB460_8 Depth=1
	v_bfe_u32 v1, v0, 16, 1
	s_delay_alu instid0(VALU_DEP_1)
	v_add3_u32 v14, v0, v1, 0x7fff
                                        ; implicit-def: $vgpr0
; %bb.558:                              ;   in Loop: Header=BB460_8 Depth=1
	s_and_not1_saveexec_b32 s2, s1
; %bb.559:                              ;   in Loop: Header=BB460_8 Depth=1
	v_and_b32_e32 v1, 0xffff, v0
	v_or_b32_e32 v14, 0x10000, v0
	s_delay_alu instid0(VALU_DEP_2) | instskip(NEXT) | instid1(VALU_DEP_1)
	v_cmp_eq_u32_e64 s1, 0, v1
	v_cndmask_b32_e64 v14, v14, v0, s1
; %bb.560:                              ;   in Loop: Header=BB460_8 Depth=1
	s_or_b32 exec_lo, exec_lo, s2
	v_lshrrev_b32_e32 v0, 16, v31
	v_mov_b32_e32 v1, 0
	s_mov_b32 s2, exec_lo
	s_delay_alu instid0(VALU_DEP_2) | instskip(NEXT) | instid1(VALU_DEP_1)
	v_and_b32_e32 v15, 0xff, v0
	v_cmpx_ne_u16_e32 0, v15
	s_cbranch_execz .LBB460_568
; %bb.561:                              ;   in Loop: Header=BB460_8 Depth=1
	v_bfrev_b32_e32 v1, 1
	s_mov_b32 s18, exec_lo
	v_cmpx_ne_u16_e32 0x80, v15
	s_cbranch_execz .LBB460_567
; %bb.562:                              ;   in Loop: Header=BB460_8 Depth=1
	v_bfe_u32 v15, v31, 16, 7
	v_mov_b32_e32 v1, 0x7f800001
	s_mov_b32 s19, exec_lo
	s_delay_alu instid0(VALU_DEP_2)
	v_cmpx_ne_u32_e32 0x7f, v15
	s_cbranch_execz .LBB460_566
; %bb.563:                              ;   in Loop: Header=BB460_8 Depth=1
	v_and_b32_e32 v18, 7, v0
	v_lshrrev_b32_e32 v1, 3, v15
	v_mov_b32_e32 v33, v19
	s_mov_b32 s20, exec_lo
	s_delay_alu instid0(VALU_DEP_3)
	v_mov_b32_e32 v32, v18
	v_cmpx_gt_u32_e32 8, v15
; %bb.564:                              ;   in Loop: Header=BB460_8 Depth=1
	v_clz_i32_u32_e32 v1, v18
	s_delay_alu instid0(VALU_DEP_1) | instskip(NEXT) | instid1(VALU_DEP_1)
	v_min_u32_e32 v1, 32, v1
	v_subrev_nc_u32_e32 v15, 28, v1
	v_sub_nc_u32_e32 v1, 29, v1
	s_delay_alu instid0(VALU_DEP_2) | instskip(NEXT) | instid1(VALU_DEP_1)
	v_lshlrev_b64 v[26:27], v15, v[18:19]
	v_and_b32_e32 v32, 7, v26
; %bb.565:                              ;   in Loop: Header=BB460_8 Depth=1
	s_or_b32 exec_lo, exec_lo, s20
	v_lshlrev_b32_e32 v0, 24, v0
	s_delay_alu instid0(VALU_DEP_2) | instskip(SKIP_1) | instid1(VALU_DEP_3)
	v_lshlrev_b32_e32 v15, 20, v32
	v_lshl_add_u32 v1, v1, 23, 0x3c000000
	v_and_b32_e32 v0, 0x80000000, v0
	s_delay_alu instid0(VALU_DEP_1)
	v_or3_b32 v1, v15, v0, v1
.LBB460_566:                            ;   in Loop: Header=BB460_8 Depth=1
	s_or_b32 exec_lo, exec_lo, s19
.LBB460_567:                            ;   in Loop: Header=BB460_8 Depth=1
	s_delay_alu instid0(SALU_CYCLE_1)
	s_or_b32 exec_lo, exec_lo, s18
.LBB460_568:                            ;   in Loop: Header=BB460_8 Depth=1
	s_delay_alu instid0(SALU_CYCLE_1) | instskip(NEXT) | instid1(VALU_DEP_1)
	s_or_b32 exec_lo, exec_lo, s2
	v_mul_f32_e32 v0, v136, v1
                                        ; implicit-def: $vgpr15
	s_delay_alu instid0(VALU_DEP_1) | instskip(NEXT) | instid1(VALU_DEP_1)
	v_and_b32_e32 v1, 0x7f800000, v0
	v_cmp_ne_u32_e64 s1, 0x7f800000, v1
	s_delay_alu instid0(VALU_DEP_1) | instskip(NEXT) | instid1(SALU_CYCLE_1)
	s_and_saveexec_b32 s2, s1
	s_xor_b32 s1, exec_lo, s2
; %bb.569:                              ;   in Loop: Header=BB460_8 Depth=1
	v_bfe_u32 v1, v0, 16, 1
	s_delay_alu instid0(VALU_DEP_1)
	v_add3_u32 v15, v0, v1, 0x7fff
                                        ; implicit-def: $vgpr0
; %bb.570:                              ;   in Loop: Header=BB460_8 Depth=1
	s_and_not1_saveexec_b32 s2, s1
; %bb.571:                              ;   in Loop: Header=BB460_8 Depth=1
	v_and_b32_e32 v1, 0xffff, v0
	v_or_b32_e32 v15, 0x10000, v0
	s_delay_alu instid0(VALU_DEP_2) | instskip(NEXT) | instid1(VALU_DEP_1)
	v_cmp_eq_u32_e64 s1, 0, v1
	v_cndmask_b32_e64 v15, v15, v0, s1
; %bb.572:                              ;   in Loop: Header=BB460_8 Depth=1
	s_or_b32 exec_lo, exec_lo, s2
	v_mov_b32_e32 v1, 0
	s_mov_b32 s2, exec_lo
	v_cmpx_lt_u64_e64 s[8:9], v[30:31]
	s_cbranch_execz .LBB460_580
; %bb.573:                              ;   in Loop: Header=BB460_8 Depth=1
	v_lshrrev_b32_e32 v0, 24, v31
	v_bfrev_b32_e32 v1, 1
	s_mov_b32 s18, exec_lo
	s_delay_alu instid0(VALU_DEP_2)
	v_cmpx_ne_u32_e32 0x80, v0
	s_cbranch_execz .LBB460_579
; %bb.574:                              ;   in Loop: Header=BB460_8 Depth=1
	v_bfe_u32 v26, v31, 24, 7
	v_mov_b32_e32 v1, 0x7f800001
	s_mov_b32 s19, exec_lo
	s_delay_alu instid0(VALU_DEP_2)
	v_cmpx_ne_u32_e32 0x7f, v26
	s_cbranch_execz .LBB460_578
; %bb.575:                              ;   in Loop: Header=BB460_8 Depth=1
	v_and_b32_e32 v18, 7, v0
	v_lshrrev_b32_e32 v1, 3, v26
	v_mov_b32_e32 v31, v19
	s_mov_b32 s20, exec_lo
	s_delay_alu instid0(VALU_DEP_3)
	v_mov_b32_e32 v30, v18
	v_cmpx_gt_u32_e32 8, v26
; %bb.576:                              ;   in Loop: Header=BB460_8 Depth=1
	v_clz_i32_u32_e32 v1, v18
	s_delay_alu instid0(VALU_DEP_1) | instskip(NEXT) | instid1(VALU_DEP_1)
	v_min_u32_e32 v1, 32, v1
	v_subrev_nc_u32_e32 v26, 28, v1
	v_sub_nc_u32_e32 v1, 29, v1
	s_delay_alu instid0(VALU_DEP_2) | instskip(NEXT) | instid1(VALU_DEP_1)
	v_lshlrev_b64 v[26:27], v26, v[18:19]
	v_and_b32_e32 v30, 7, v26
; %bb.577:                              ;   in Loop: Header=BB460_8 Depth=1
	s_or_b32 exec_lo, exec_lo, s20
	v_lshlrev_b32_e32 v0, 24, v0
	s_delay_alu instid0(VALU_DEP_2) | instskip(SKIP_1) | instid1(VALU_DEP_3)
	v_lshlrev_b32_e32 v18, 20, v30
	v_lshl_add_u32 v1, v1, 23, 0x3c000000
	v_and_b32_e32 v0, 0x80000000, v0
	s_delay_alu instid0(VALU_DEP_1)
	v_or3_b32 v1, v18, v0, v1
.LBB460_578:                            ;   in Loop: Header=BB460_8 Depth=1
	s_or_b32 exec_lo, exec_lo, s19
.LBB460_579:                            ;   in Loop: Header=BB460_8 Depth=1
	s_delay_alu instid0(SALU_CYCLE_1)
	s_or_b32 exec_lo, exec_lo, s18
.LBB460_580:                            ;   in Loop: Header=BB460_8 Depth=1
	s_delay_alu instid0(SALU_CYCLE_1) | instskip(NEXT) | instid1(VALU_DEP_1)
	s_or_b32 exec_lo, exec_lo, s2
	v_mul_f32_e32 v0, v136, v1
                                        ; implicit-def: $vgpr51
	s_delay_alu instid0(VALU_DEP_1) | instskip(NEXT) | instid1(VALU_DEP_1)
	v_and_b32_e32 v1, 0x7f800000, v0
	v_cmp_ne_u32_e64 s1, 0x7f800000, v1
	s_delay_alu instid0(VALU_DEP_1) | instskip(NEXT) | instid1(SALU_CYCLE_1)
	s_and_saveexec_b32 s2, s1
	s_xor_b32 s1, exec_lo, s2
; %bb.581:                              ;   in Loop: Header=BB460_8 Depth=1
	v_bfe_u32 v1, v0, 16, 1
	s_delay_alu instid0(VALU_DEP_1)
	v_add3_u32 v51, v0, v1, 0x7fff
                                        ; implicit-def: $vgpr0
; %bb.582:                              ;   in Loop: Header=BB460_8 Depth=1
	s_and_not1_saveexec_b32 s2, s1
; %bb.583:                              ;   in Loop: Header=BB460_8 Depth=1
	v_and_b32_e32 v1, 0xffff, v0
	v_or_b32_e32 v18, 0x10000, v0
	s_delay_alu instid0(VALU_DEP_2) | instskip(NEXT) | instid1(VALU_DEP_1)
	v_cmp_eq_u32_e64 s1, 0, v1
	v_cndmask_b32_e64 v51, v18, v0, s1
; %bb.584:                              ;   in Loop: Header=BB460_8 Depth=1
	s_or_b32 exec_lo, exec_lo, s2
	flat_load_b64 v[30:31], v[28:29] offset:1536
	s_mov_b32 s2, exec_lo
	s_waitcnt vmcnt(0) lgkmcnt(0)
	v_dual_mov_b32 v0, 0 :: v_dual_and_b32 v1, 0xff, v30
	s_delay_alu instid0(VALU_DEP_1)
	v_cmpx_ne_u16_e32 0, v1
	s_cbranch_execz .LBB460_592
; %bb.585:                              ;   in Loop: Header=BB460_8 Depth=1
	v_bfrev_b32_e32 v0, 1
	s_mov_b32 s18, exec_lo
	v_cmpx_ne_u16_e32 0x80, v1
	s_cbranch_execz .LBB460_591
; %bb.586:                              ;   in Loop: Header=BB460_8 Depth=1
	v_and_b32_e32 v1, 0x7f, v30
	v_mov_b32_e32 v0, 0x7f800001
	s_mov_b32 s19, exec_lo
	s_delay_alu instid0(VALU_DEP_2)
	v_cmpx_ne_u32_e32 0x7f, v1
	s_cbranch_execz .LBB460_590
; %bb.587:                              ;   in Loop: Header=BB460_8 Depth=1
	v_lshrrev_b32_e32 v0, 3, v1
	v_dual_mov_b32 v33, v31 :: v_dual_mov_b32 v32, v30
	s_mov_b32 s20, exec_lo
	v_cmpx_gt_u32_e32 8, v1
; %bb.588:                              ;   in Loop: Header=BB460_8 Depth=1
	v_and_b32_e32 v0, 7, v30
	s_delay_alu instid0(VALU_DEP_1) | instskip(NEXT) | instid1(VALU_DEP_1)
	v_clz_i32_u32_e32 v0, v0
	v_min_u32_e32 v0, 32, v0
	s_delay_alu instid0(VALU_DEP_1) | instskip(SKIP_1) | instid1(VALU_DEP_2)
	v_subrev_nc_u32_e32 v1, 28, v0
	v_sub_nc_u32_e32 v0, 29, v0
	v_lshlrev_b64 v[32:33], v1, v[30:31]
; %bb.589:                              ;   in Loop: Header=BB460_8 Depth=1
	s_or_b32 exec_lo, exec_lo, s20
	s_delay_alu instid0(VALU_DEP_1) | instskip(SKIP_2) | instid1(VALU_DEP_3)
	v_lshlrev_b32_e32 v1, 20, v32
	v_lshlrev_b32_e32 v18, 24, v30
	v_lshl_add_u32 v0, v0, 23, 0x3c000000
	v_and_b32_e32 v1, 0x700000, v1
	s_delay_alu instid0(VALU_DEP_3) | instskip(NEXT) | instid1(VALU_DEP_1)
	v_and_b32_e32 v18, 0x80000000, v18
	v_or3_b32 v0, v1, v18, v0
.LBB460_590:                            ;   in Loop: Header=BB460_8 Depth=1
	s_or_b32 exec_lo, exec_lo, s19
.LBB460_591:                            ;   in Loop: Header=BB460_8 Depth=1
	s_delay_alu instid0(SALU_CYCLE_1)
	s_or_b32 exec_lo, exec_lo, s18
.LBB460_592:                            ;   in Loop: Header=BB460_8 Depth=1
	s_delay_alu instid0(SALU_CYCLE_1) | instskip(NEXT) | instid1(VALU_DEP_1)
	s_or_b32 exec_lo, exec_lo, s2
	v_mul_f32_e32 v0, v136, v0
                                        ; implicit-def: $vgpr34
	s_delay_alu instid0(VALU_DEP_1) | instskip(NEXT) | instid1(VALU_DEP_1)
	v_and_b32_e32 v1, 0x7f800000, v0
	v_cmp_ne_u32_e64 s1, 0x7f800000, v1
	s_delay_alu instid0(VALU_DEP_1) | instskip(NEXT) | instid1(SALU_CYCLE_1)
	s_and_saveexec_b32 s2, s1
	s_xor_b32 s1, exec_lo, s2
; %bb.593:                              ;   in Loop: Header=BB460_8 Depth=1
	v_bfe_u32 v1, v0, 16, 1
	s_delay_alu instid0(VALU_DEP_1)
	v_add3_u32 v34, v0, v1, 0x7fff
                                        ; implicit-def: $vgpr0
; %bb.594:                              ;   in Loop: Header=BB460_8 Depth=1
	s_and_not1_saveexec_b32 s2, s1
; %bb.595:                              ;   in Loop: Header=BB460_8 Depth=1
	v_and_b32_e32 v1, 0xffff, v0
	v_or_b32_e32 v18, 0x10000, v0
	s_delay_alu instid0(VALU_DEP_2) | instskip(NEXT) | instid1(VALU_DEP_1)
	v_cmp_eq_u32_e64 s1, 0, v1
	v_cndmask_b32_e64 v34, v18, v0, s1
; %bb.596:                              ;   in Loop: Header=BB460_8 Depth=1
	s_or_b32 exec_lo, exec_lo, s2
	v_lshrrev_b16 v1, 8, v30
	v_mov_b32_e32 v0, 0
	s_mov_b32 s2, exec_lo
	s_delay_alu instid0(VALU_DEP_2)
	v_cmpx_ne_u16_e32 0, v1
	s_cbranch_execz .LBB460_604
; %bb.597:                              ;   in Loop: Header=BB460_8 Depth=1
	v_bfrev_b32_e32 v0, 1
	s_mov_b32 s18, exec_lo
	v_cmpx_ne_u16_e32 0x80, v1
	s_cbranch_execz .LBB460_603
; %bb.598:                              ;   in Loop: Header=BB460_8 Depth=1
	v_and_b32_e32 v18, 0xffff, v1
	v_mov_b32_e32 v0, 0x7f800001
	s_mov_b32 s19, exec_lo
	s_delay_alu instid0(VALU_DEP_2) | instskip(NEXT) | instid1(VALU_DEP_1)
	v_and_b32_e32 v1, 0x7f, v18
	v_cmpx_ne_u32_e32 0x7f, v1
	s_cbranch_execz .LBB460_602
; %bb.599:                              ;   in Loop: Header=BB460_8 Depth=1
	v_and_b32_e32 v18, 7, v18
	v_lshrrev_b32_e32 v0, 3, v1
	v_mov_b32_e32 v33, v19
	s_mov_b32 s20, exec_lo
	s_delay_alu instid0(VALU_DEP_3)
	v_mov_b32_e32 v32, v18
	v_cmpx_gt_u32_e32 8, v1
; %bb.600:                              ;   in Loop: Header=BB460_8 Depth=1
	v_clz_i32_u32_e32 v0, v18
	s_delay_alu instid0(VALU_DEP_1) | instskip(NEXT) | instid1(VALU_DEP_1)
	v_min_u32_e32 v0, 32, v0
	v_subrev_nc_u32_e32 v1, 28, v0
	v_sub_nc_u32_e32 v0, 29, v0
	s_delay_alu instid0(VALU_DEP_2) | instskip(NEXT) | instid1(VALU_DEP_1)
	v_lshlrev_b64 v[26:27], v1, v[18:19]
	v_and_b32_e32 v32, 7, v26
; %bb.601:                              ;   in Loop: Header=BB460_8 Depth=1
	s_or_b32 exec_lo, exec_lo, s20
	v_lshlrev_b32_e32 v1, 16, v30
	s_delay_alu instid0(VALU_DEP_2) | instskip(SKIP_1) | instid1(VALU_DEP_3)
	v_lshlrev_b32_e32 v18, 20, v32
	v_lshl_add_u32 v0, v0, 23, 0x3c000000
	v_and_b32_e32 v1, 0x80000000, v1
	s_delay_alu instid0(VALU_DEP_1)
	v_or3_b32 v0, v18, v1, v0
.LBB460_602:                            ;   in Loop: Header=BB460_8 Depth=1
	s_or_b32 exec_lo, exec_lo, s19
.LBB460_603:                            ;   in Loop: Header=BB460_8 Depth=1
	s_delay_alu instid0(SALU_CYCLE_1)
	s_or_b32 exec_lo, exec_lo, s18
.LBB460_604:                            ;   in Loop: Header=BB460_8 Depth=1
	s_delay_alu instid0(SALU_CYCLE_1) | instskip(NEXT) | instid1(VALU_DEP_1)
	s_or_b32 exec_lo, exec_lo, s2
	v_mul_f32_e32 v0, v136, v0
                                        ; implicit-def: $vgpr48
	s_delay_alu instid0(VALU_DEP_1) | instskip(NEXT) | instid1(VALU_DEP_1)
	v_and_b32_e32 v1, 0x7f800000, v0
	v_cmp_ne_u32_e64 s1, 0x7f800000, v1
	s_delay_alu instid0(VALU_DEP_1) | instskip(NEXT) | instid1(SALU_CYCLE_1)
	s_and_saveexec_b32 s2, s1
	s_xor_b32 s1, exec_lo, s2
; %bb.605:                              ;   in Loop: Header=BB460_8 Depth=1
	v_bfe_u32 v1, v0, 16, 1
	s_delay_alu instid0(VALU_DEP_1)
	v_add3_u32 v48, v0, v1, 0x7fff
                                        ; implicit-def: $vgpr0
; %bb.606:                              ;   in Loop: Header=BB460_8 Depth=1
	s_and_not1_saveexec_b32 s2, s1
; %bb.607:                              ;   in Loop: Header=BB460_8 Depth=1
	v_and_b32_e32 v1, 0xffff, v0
	v_or_b32_e32 v18, 0x10000, v0
	s_delay_alu instid0(VALU_DEP_2) | instskip(NEXT) | instid1(VALU_DEP_1)
	v_cmp_eq_u32_e64 s1, 0, v1
	v_cndmask_b32_e64 v48, v18, v0, s1
; %bb.608:                              ;   in Loop: Header=BB460_8 Depth=1
	s_or_b32 exec_lo, exec_lo, s2
	v_lshrrev_b32_e32 v0, 16, v30
	s_mov_b32 s2, exec_lo
	s_delay_alu instid0(VALU_DEP_1) | instskip(NEXT) | instid1(VALU_DEP_1)
	v_dual_mov_b32 v1, 0 :: v_dual_and_b32 v18, 0xff, v0
	v_cmpx_ne_u16_e32 0, v18
	s_cbranch_execz .LBB460_616
; %bb.609:                              ;   in Loop: Header=BB460_8 Depth=1
	v_bfrev_b32_e32 v1, 1
	s_mov_b32 s18, exec_lo
	v_cmpx_ne_u16_e32 0x80, v18
	s_cbranch_execz .LBB460_615
; %bb.610:                              ;   in Loop: Header=BB460_8 Depth=1
	v_bfe_u32 v26, v30, 16, 7
	v_mov_b32_e32 v1, 0x7f800001
	s_mov_b32 s19, exec_lo
	s_delay_alu instid0(VALU_DEP_2)
	v_cmpx_ne_u32_e32 0x7f, v26
	s_cbranch_execz .LBB460_614
; %bb.611:                              ;   in Loop: Header=BB460_8 Depth=1
	v_and_b32_e32 v18, 7, v0
	v_lshrrev_b32_e32 v1, 3, v26
	v_mov_b32_e32 v33, v19
	s_mov_b32 s20, exec_lo
	s_delay_alu instid0(VALU_DEP_3)
	v_mov_b32_e32 v32, v18
	v_cmpx_gt_u32_e32 8, v26
; %bb.612:                              ;   in Loop: Header=BB460_8 Depth=1
	v_clz_i32_u32_e32 v1, v18
	s_delay_alu instid0(VALU_DEP_1) | instskip(NEXT) | instid1(VALU_DEP_1)
	v_min_u32_e32 v1, 32, v1
	v_subrev_nc_u32_e32 v26, 28, v1
	v_sub_nc_u32_e32 v1, 29, v1
	s_delay_alu instid0(VALU_DEP_2) | instskip(NEXT) | instid1(VALU_DEP_1)
	v_lshlrev_b64 v[26:27], v26, v[18:19]
	v_and_b32_e32 v32, 7, v26
; %bb.613:                              ;   in Loop: Header=BB460_8 Depth=1
	s_or_b32 exec_lo, exec_lo, s20
	v_lshlrev_b32_e32 v0, 24, v0
	s_delay_alu instid0(VALU_DEP_2) | instskip(SKIP_1) | instid1(VALU_DEP_3)
	v_lshlrev_b32_e32 v18, 20, v32
	v_lshl_add_u32 v1, v1, 23, 0x3c000000
	v_and_b32_e32 v0, 0x80000000, v0
	s_delay_alu instid0(VALU_DEP_1)
	v_or3_b32 v1, v18, v0, v1
.LBB460_614:                            ;   in Loop: Header=BB460_8 Depth=1
	s_or_b32 exec_lo, exec_lo, s19
.LBB460_615:                            ;   in Loop: Header=BB460_8 Depth=1
	s_delay_alu instid0(SALU_CYCLE_1)
	s_or_b32 exec_lo, exec_lo, s18
.LBB460_616:                            ;   in Loop: Header=BB460_8 Depth=1
	s_delay_alu instid0(SALU_CYCLE_1) | instskip(NEXT) | instid1(VALU_DEP_1)
	s_or_b32 exec_lo, exec_lo, s2
	v_mul_f32_e32 v0, v136, v1
	s_delay_alu instid0(VALU_DEP_1) | instskip(NEXT) | instid1(VALU_DEP_1)
	v_and_b32_e32 v1, 0x7f800000, v0
	v_cmp_ne_u32_e64 s1, 0x7f800000, v1
                                        ; implicit-def: $vgpr1
	s_delay_alu instid0(VALU_DEP_1) | instskip(NEXT) | instid1(SALU_CYCLE_1)
	s_and_saveexec_b32 s2, s1
	s_xor_b32 s1, exec_lo, s2
; %bb.617:                              ;   in Loop: Header=BB460_8 Depth=1
	v_bfe_u32 v1, v0, 16, 1
	s_delay_alu instid0(VALU_DEP_1)
	v_add3_u32 v1, v0, v1, 0x7fff
                                        ; implicit-def: $vgpr0
; %bb.618:                              ;   in Loop: Header=BB460_8 Depth=1
	s_and_not1_saveexec_b32 s2, s1
; %bb.619:                              ;   in Loop: Header=BB460_8 Depth=1
	v_and_b32_e32 v1, 0xffff, v0
	v_or_b32_e32 v18, 0x10000, v0
	s_delay_alu instid0(VALU_DEP_2) | instskip(NEXT) | instid1(VALU_DEP_1)
	v_cmp_eq_u32_e64 s1, 0, v1
	v_cndmask_b32_e64 v1, v18, v0, s1
; %bb.620:                              ;   in Loop: Header=BB460_8 Depth=1
	s_or_b32 exec_lo, exec_lo, s2
	v_mov_b32_e32 v18, 0
	s_mov_b32 s2, exec_lo
	v_cmpx_lt_u32_e32 0xffffff, v30
	s_cbranch_execz .LBB460_628
; %bb.621:                              ;   in Loop: Header=BB460_8 Depth=1
	v_lshrrev_b32_e32 v0, 24, v30
	v_bfrev_b32_e32 v18, 1
	s_mov_b32 s18, exec_lo
	s_delay_alu instid0(VALU_DEP_2)
	v_cmpx_ne_u32_e32 0x80, v0
	s_cbranch_execz .LBB460_627
; %bb.622:                              ;   in Loop: Header=BB460_8 Depth=1
	v_bfe_u32 v27, v30, 24, 7
	v_mov_b32_e32 v18, 0x7f800001
	s_mov_b32 s19, exec_lo
	s_delay_alu instid0(VALU_DEP_2)
	v_cmpx_ne_u32_e32 0x7f, v27
	s_cbranch_execz .LBB460_626
; %bb.623:                              ;   in Loop: Header=BB460_8 Depth=1
	v_and_b32_e32 v18, 7, v0
	v_lshrrev_b32_e32 v26, 3, v27
	v_mov_b32_e32 v33, v19
	s_mov_b32 s20, exec_lo
	s_delay_alu instid0(VALU_DEP_3)
	v_mov_b32_e32 v32, v18
	v_cmpx_gt_u32_e32 8, v27
; %bb.624:                              ;   in Loop: Header=BB460_8 Depth=1
	v_clz_i32_u32_e32 v26, v18
	s_delay_alu instid0(VALU_DEP_1) | instskip(NEXT) | instid1(VALU_DEP_1)
	v_min_u32_e32 v26, 32, v26
	v_subrev_nc_u32_e32 v27, 28, v26
	v_sub_nc_u32_e32 v26, 29, v26
	s_delay_alu instid0(VALU_DEP_2) | instskip(NEXT) | instid1(VALU_DEP_1)
	v_lshlrev_b64 v[32:33], v27, v[18:19]
	v_and_b32_e32 v32, 7, v32
; %bb.625:                              ;   in Loop: Header=BB460_8 Depth=1
	s_or_b32 exec_lo, exec_lo, s20
	v_lshlrev_b32_e32 v0, 24, v0
	s_delay_alu instid0(VALU_DEP_2) | instskip(SKIP_1) | instid1(VALU_DEP_3)
	v_lshlrev_b32_e32 v18, 20, v32
	v_lshl_add_u32 v26, v26, 23, 0x3c000000
	v_and_b32_e32 v0, 0x80000000, v0
	s_delay_alu instid0(VALU_DEP_1)
	v_or3_b32 v18, v18, v0, v26
.LBB460_626:                            ;   in Loop: Header=BB460_8 Depth=1
	s_or_b32 exec_lo, exec_lo, s19
.LBB460_627:                            ;   in Loop: Header=BB460_8 Depth=1
	s_delay_alu instid0(SALU_CYCLE_1)
	s_or_b32 exec_lo, exec_lo, s18
.LBB460_628:                            ;   in Loop: Header=BB460_8 Depth=1
	s_delay_alu instid0(SALU_CYCLE_1) | instskip(NEXT) | instid1(VALU_DEP_1)
	s_or_b32 exec_lo, exec_lo, s2
	v_mul_f32_e32 v18, v136, v18
	s_delay_alu instid0(VALU_DEP_1) | instskip(NEXT) | instid1(VALU_DEP_1)
	v_and_b32_e32 v0, 0x7f800000, v18
	v_cmp_ne_u32_e64 s1, 0x7f800000, v0
                                        ; implicit-def: $vgpr0
	s_delay_alu instid0(VALU_DEP_1) | instskip(NEXT) | instid1(SALU_CYCLE_1)
	s_and_saveexec_b32 s2, s1
	s_xor_b32 s1, exec_lo, s2
; %bb.629:                              ;   in Loop: Header=BB460_8 Depth=1
	v_bfe_u32 v0, v18, 16, 1
	s_delay_alu instid0(VALU_DEP_1)
	v_add3_u32 v0, v18, v0, 0x7fff
                                        ; implicit-def: $vgpr18
; %bb.630:                              ;   in Loop: Header=BB460_8 Depth=1
	s_and_not1_saveexec_b32 s2, s1
; %bb.631:                              ;   in Loop: Header=BB460_8 Depth=1
	v_and_b32_e32 v0, 0xffff, v18
	v_or_b32_e32 v26, 0x10000, v18
	s_delay_alu instid0(VALU_DEP_2) | instskip(NEXT) | instid1(VALU_DEP_1)
	v_cmp_eq_u32_e64 s1, 0, v0
	v_cndmask_b32_e64 v0, v26, v18, s1
; %bb.632:                              ;   in Loop: Header=BB460_8 Depth=1
	s_or_b32 exec_lo, exec_lo, s2
	v_dual_mov_b32 v18, v31 :: v_dual_and_b32 v27, 0xff, v31
	v_mov_b32_e32 v26, 0
	s_mov_b32 s2, exec_lo
	s_delay_alu instid0(VALU_DEP_2)
	v_cmpx_ne_u16_e32 0, v27
	s_cbranch_execz .LBB460_640
; %bb.633:                              ;   in Loop: Header=BB460_8 Depth=1
	v_bfrev_b32_e32 v26, 1
	s_mov_b32 s18, exec_lo
	v_cmpx_ne_u16_e32 0x80, v27
	s_cbranch_execz .LBB460_639
; %bb.634:                              ;   in Loop: Header=BB460_8 Depth=1
	v_and_b32_e32 v27, 0x7f, v31
	v_mov_b32_e32 v26, 0x7f800001
	s_mov_b32 s19, exec_lo
	s_delay_alu instid0(VALU_DEP_2)
	v_cmpx_ne_u32_e32 0x7f, v27
	s_cbranch_execz .LBB460_638
; %bb.635:                              ;   in Loop: Header=BB460_8 Depth=1
	v_lshrrev_b32_e32 v26, 3, v27
	v_dual_mov_b32 v33, v19 :: v_dual_mov_b32 v32, v18
	s_mov_b32 s20, exec_lo
	v_cmpx_gt_u32_e32 8, v27
; %bb.636:                              ;   in Loop: Header=BB460_8 Depth=1
	v_and_b32_e32 v26, 7, v31
	s_delay_alu instid0(VALU_DEP_1) | instskip(NEXT) | instid1(VALU_DEP_1)
	v_clz_i32_u32_e32 v26, v26
	v_min_u32_e32 v26, 32, v26
	s_delay_alu instid0(VALU_DEP_1) | instskip(SKIP_1) | instid1(VALU_DEP_2)
	v_subrev_nc_u32_e32 v27, 28, v26
	v_sub_nc_u32_e32 v26, 29, v26
	v_lshlrev_b64 v[32:33], v27, v[18:19]
; %bb.637:                              ;   in Loop: Header=BB460_8 Depth=1
	s_or_b32 exec_lo, exec_lo, s20
	s_delay_alu instid0(VALU_DEP_1) | instskip(SKIP_2) | instid1(VALU_DEP_3)
	v_lshlrev_b32_e32 v27, 20, v32
	v_lshlrev_b32_e32 v32, 24, v18
	v_lshl_add_u32 v26, v26, 23, 0x3c000000
	v_and_b32_e32 v27, 0x700000, v27
	s_delay_alu instid0(VALU_DEP_3) | instskip(NEXT) | instid1(VALU_DEP_1)
	v_and_b32_e32 v32, 0x80000000, v32
	v_or3_b32 v26, v27, v32, v26
.LBB460_638:                            ;   in Loop: Header=BB460_8 Depth=1
	s_or_b32 exec_lo, exec_lo, s19
.LBB460_639:                            ;   in Loop: Header=BB460_8 Depth=1
	s_delay_alu instid0(SALU_CYCLE_1)
	s_or_b32 exec_lo, exec_lo, s18
.LBB460_640:                            ;   in Loop: Header=BB460_8 Depth=1
	s_delay_alu instid0(SALU_CYCLE_1) | instskip(NEXT) | instid1(VALU_DEP_1)
	s_or_b32 exec_lo, exec_lo, s2
	v_mul_f32_e32 v26, v136, v26
	s_delay_alu instid0(VALU_DEP_1) | instskip(NEXT) | instid1(VALU_DEP_1)
	v_and_b32_e32 v27, 0x7f800000, v26
	v_cmp_ne_u32_e64 s1, 0x7f800000, v27
                                        ; implicit-def: $vgpr27
	s_delay_alu instid0(VALU_DEP_1) | instskip(NEXT) | instid1(SALU_CYCLE_1)
	s_and_saveexec_b32 s2, s1
	s_xor_b32 s1, exec_lo, s2
; %bb.641:                              ;   in Loop: Header=BB460_8 Depth=1
	v_bfe_u32 v27, v26, 16, 1
	s_delay_alu instid0(VALU_DEP_1)
	v_add3_u32 v27, v26, v27, 0x7fff
                                        ; implicit-def: $vgpr26
; %bb.642:                              ;   in Loop: Header=BB460_8 Depth=1
	s_and_not1_saveexec_b32 s2, s1
; %bb.643:                              ;   in Loop: Header=BB460_8 Depth=1
	v_and_b32_e32 v27, 0xffff, v26
	v_or_b32_e32 v32, 0x10000, v26
	s_delay_alu instid0(VALU_DEP_2) | instskip(NEXT) | instid1(VALU_DEP_1)
	v_cmp_eq_u32_e64 s1, 0, v27
	v_cndmask_b32_e64 v27, v32, v26, s1
; %bb.644:                              ;   in Loop: Header=BB460_8 Depth=1
	s_or_b32 exec_lo, exec_lo, s2
	v_lshrrev_b16 v32, 8, v18
	v_mov_b32_e32 v26, 0
	s_mov_b32 s2, exec_lo
	s_delay_alu instid0(VALU_DEP_2)
	v_cmpx_ne_u16_e32 0, v32
	s_cbranch_execz .LBB460_652
; %bb.645:                              ;   in Loop: Header=BB460_8 Depth=1
	v_bfrev_b32_e32 v26, 1
	s_mov_b32 s18, exec_lo
	v_cmpx_ne_u16_e32 0x80, v32
	s_cbranch_execz .LBB460_651
; %bb.646:                              ;   in Loop: Header=BB460_8 Depth=1
	v_and_b32_e32 v32, 0xffff, v32
	v_mov_b32_e32 v26, 0x7f800001
	s_mov_b32 s19, exec_lo
	s_delay_alu instid0(VALU_DEP_2) | instskip(NEXT) | instid1(VALU_DEP_1)
	v_and_b32_e32 v49, 0x7f, v32
	v_cmpx_ne_u32_e32 0x7f, v49
	s_cbranch_execz .LBB460_650
; %bb.647:                              ;   in Loop: Header=BB460_8 Depth=1
	v_dual_mov_b32 v33, v19 :: v_dual_and_b32 v32, 7, v32
	v_lshrrev_b32_e32 v26, 3, v49
	s_mov_b32 s20, exec_lo
	v_cmpx_gt_u32_e32 8, v49
; %bb.648:                              ;   in Loop: Header=BB460_8 Depth=1
	s_delay_alu instid0(VALU_DEP_3) | instskip(NEXT) | instid1(VALU_DEP_1)
	v_clz_i32_u32_e32 v26, v32
	v_min_u32_e32 v26, 32, v26
	s_delay_alu instid0(VALU_DEP_1) | instskip(SKIP_1) | instid1(VALU_DEP_2)
	v_subrev_nc_u32_e32 v49, 28, v26
	v_sub_nc_u32_e32 v26, 29, v26
	v_lshlrev_b64 v[32:33], v49, v[32:33]
	s_delay_alu instid0(VALU_DEP_1)
	v_and_b32_e32 v32, 7, v32
; %bb.649:                              ;   in Loop: Header=BB460_8 Depth=1
	s_or_b32 exec_lo, exec_lo, s20
	v_lshlrev_b32_e32 v18, 16, v18
	s_delay_alu instid0(VALU_DEP_2) | instskip(SKIP_1) | instid1(VALU_DEP_3)
	v_lshlrev_b32_e32 v32, 20, v32
	v_lshl_add_u32 v26, v26, 23, 0x3c000000
	v_and_b32_e32 v18, 0x80000000, v18
	s_delay_alu instid0(VALU_DEP_1)
	v_or3_b32 v26, v32, v18, v26
.LBB460_650:                            ;   in Loop: Header=BB460_8 Depth=1
	s_or_b32 exec_lo, exec_lo, s19
.LBB460_651:                            ;   in Loop: Header=BB460_8 Depth=1
	s_delay_alu instid0(SALU_CYCLE_1)
	s_or_b32 exec_lo, exec_lo, s18
.LBB460_652:                            ;   in Loop: Header=BB460_8 Depth=1
	s_delay_alu instid0(SALU_CYCLE_1) | instskip(NEXT) | instid1(VALU_DEP_1)
	s_or_b32 exec_lo, exec_lo, s2
	v_mul_f32_e32 v18, v136, v26
	s_delay_alu instid0(VALU_DEP_1) | instskip(NEXT) | instid1(VALU_DEP_1)
	v_and_b32_e32 v26, 0x7f800000, v18
	v_cmp_ne_u32_e64 s1, 0x7f800000, v26
                                        ; implicit-def: $vgpr26
	s_delay_alu instid0(VALU_DEP_1) | instskip(NEXT) | instid1(SALU_CYCLE_1)
	s_and_saveexec_b32 s2, s1
	s_xor_b32 s1, exec_lo, s2
; %bb.653:                              ;   in Loop: Header=BB460_8 Depth=1
	v_bfe_u32 v26, v18, 16, 1
	s_delay_alu instid0(VALU_DEP_1)
	v_add3_u32 v26, v18, v26, 0x7fff
                                        ; implicit-def: $vgpr18
; %bb.654:                              ;   in Loop: Header=BB460_8 Depth=1
	s_and_not1_saveexec_b32 s2, s1
; %bb.655:                              ;   in Loop: Header=BB460_8 Depth=1
	v_and_b32_e32 v26, 0xffff, v18
	v_or_b32_e32 v32, 0x10000, v18
	s_delay_alu instid0(VALU_DEP_2) | instskip(NEXT) | instid1(VALU_DEP_1)
	v_cmp_eq_u32_e64 s1, 0, v26
	v_cndmask_b32_e64 v26, v32, v18, s1
; %bb.656:                              ;   in Loop: Header=BB460_8 Depth=1
	s_or_b32 exec_lo, exec_lo, s2
	v_lshrrev_b32_e32 v49, 16, v31
	v_mov_b32_e32 v18, 0
	s_mov_b32 s2, exec_lo
	s_delay_alu instid0(VALU_DEP_2) | instskip(NEXT) | instid1(VALU_DEP_1)
	v_and_b32_e32 v32, 0xff, v49
	v_cmpx_ne_u16_e32 0, v32
	s_cbranch_execz .LBB460_664
; %bb.657:                              ;   in Loop: Header=BB460_8 Depth=1
	v_bfrev_b32_e32 v18, 1
	s_mov_b32 s18, exec_lo
	v_cmpx_ne_u16_e32 0x80, v32
	s_cbranch_execz .LBB460_663
; %bb.658:                              ;   in Loop: Header=BB460_8 Depth=1
	v_bfe_u32 v32, v31, 16, 7
	v_mov_b32_e32 v18, 0x7f800001
	s_mov_b32 s19, exec_lo
	s_delay_alu instid0(VALU_DEP_2)
	v_cmpx_ne_u32_e32 0x7f, v32
	s_cbranch_execz .LBB460_662
; %bb.659:                              ;   in Loop: Header=BB460_8 Depth=1
	v_and_b32_e32 v18, 7, v49
	v_lshrrev_b32_e32 v50, 3, v32
	v_cmp_gt_u32_e64 s1, 8, v32
	s_delay_alu instid0(VALU_DEP_3) | instskip(NEXT) | instid1(VALU_DEP_2)
	v_dual_mov_b32 v33, v19 :: v_dual_mov_b32 v32, v18
	s_and_saveexec_b32 s20, s1
; %bb.660:                              ;   in Loop: Header=BB460_8 Depth=1
	v_clz_i32_u32_e32 v32, v18
	s_delay_alu instid0(VALU_DEP_1) | instskip(NEXT) | instid1(VALU_DEP_1)
	v_min_u32_e32 v50, 32, v32
	v_subrev_nc_u32_e32 v32, 28, v50
	v_sub_nc_u32_e32 v50, 29, v50
	s_delay_alu instid0(VALU_DEP_2) | instskip(NEXT) | instid1(VALU_DEP_1)
	v_lshlrev_b64 v[32:33], v32, v[18:19]
	v_and_b32_e32 v32, 7, v32
; %bb.661:                              ;   in Loop: Header=BB460_8 Depth=1
	s_or_b32 exec_lo, exec_lo, s20
	v_lshlrev_b32_e32 v18, 24, v49
	s_delay_alu instid0(VALU_DEP_2) | instskip(SKIP_1) | instid1(VALU_DEP_3)
	v_lshlrev_b32_e32 v32, 20, v32
	v_lshl_add_u32 v33, v50, 23, 0x3c000000
	v_and_b32_e32 v18, 0x80000000, v18
	s_delay_alu instid0(VALU_DEP_1)
	v_or3_b32 v18, v32, v18, v33
.LBB460_662:                            ;   in Loop: Header=BB460_8 Depth=1
	s_or_b32 exec_lo, exec_lo, s19
.LBB460_663:                            ;   in Loop: Header=BB460_8 Depth=1
	s_delay_alu instid0(SALU_CYCLE_1)
	s_or_b32 exec_lo, exec_lo, s18
.LBB460_664:                            ;   in Loop: Header=BB460_8 Depth=1
	s_delay_alu instid0(SALU_CYCLE_1) | instskip(NEXT) | instid1(VALU_DEP_1)
	s_or_b32 exec_lo, exec_lo, s2
	v_mul_f32_e32 v18, v136, v18
                                        ; implicit-def: $vgpr49
	s_delay_alu instid0(VALU_DEP_1) | instskip(NEXT) | instid1(VALU_DEP_1)
	v_and_b32_e32 v32, 0x7f800000, v18
	v_cmp_ne_u32_e64 s1, 0x7f800000, v32
	s_delay_alu instid0(VALU_DEP_1) | instskip(NEXT) | instid1(SALU_CYCLE_1)
	s_and_saveexec_b32 s2, s1
	s_xor_b32 s1, exec_lo, s2
; %bb.665:                              ;   in Loop: Header=BB460_8 Depth=1
	v_bfe_u32 v32, v18, 16, 1
	s_delay_alu instid0(VALU_DEP_1)
	v_add3_u32 v49, v18, v32, 0x7fff
                                        ; implicit-def: $vgpr18
; %bb.666:                              ;   in Loop: Header=BB460_8 Depth=1
	s_and_not1_saveexec_b32 s2, s1
; %bb.667:                              ;   in Loop: Header=BB460_8 Depth=1
	v_and_b32_e32 v32, 0xffff, v18
	v_or_b32_e32 v33, 0x10000, v18
	s_delay_alu instid0(VALU_DEP_2) | instskip(NEXT) | instid1(VALU_DEP_1)
	v_cmp_eq_u32_e64 s1, 0, v32
	v_cndmask_b32_e64 v49, v33, v18, s1
; %bb.668:                              ;   in Loop: Header=BB460_8 Depth=1
	s_or_b32 exec_lo, exec_lo, s2
	v_mov_b32_e32 v18, 0
	s_mov_b32 s2, exec_lo
	v_cmpx_lt_u64_e64 s[8:9], v[30:31]
	s_cbranch_execz .LBB460_676
; %bb.669:                              ;   in Loop: Header=BB460_8 Depth=1
	v_lshrrev_b32_e32 v32, 24, v31
	v_bfrev_b32_e32 v18, 1
	s_mov_b32 s18, exec_lo
	s_delay_alu instid0(VALU_DEP_2)
	v_cmpx_ne_u32_e32 0x80, v32
	s_cbranch_execz .LBB460_675
; %bb.670:                              ;   in Loop: Header=BB460_8 Depth=1
	v_bfe_u32 v30, v31, 24, 7
	v_mov_b32_e32 v18, 0x7f800001
	s_mov_b32 s19, exec_lo
	s_delay_alu instid0(VALU_DEP_2)
	v_cmpx_ne_u32_e32 0x7f, v30
	s_cbranch_execz .LBB460_674
; %bb.671:                              ;   in Loop: Header=BB460_8 Depth=1
	v_and_b32_e32 v18, 7, v32
	v_lshrrev_b32_e32 v33, 3, v30
	v_cmp_gt_u32_e64 s1, 8, v30
	s_delay_alu instid0(VALU_DEP_3) | instskip(NEXT) | instid1(VALU_DEP_2)
	v_dual_mov_b32 v31, v19 :: v_dual_mov_b32 v30, v18
	s_and_saveexec_b32 s20, s1
; %bb.672:                              ;   in Loop: Header=BB460_8 Depth=1
	v_clz_i32_u32_e32 v30, v18
	s_delay_alu instid0(VALU_DEP_1) | instskip(NEXT) | instid1(VALU_DEP_1)
	v_min_u32_e32 v33, 32, v30
	v_subrev_nc_u32_e32 v30, 28, v33
	v_sub_nc_u32_e32 v33, 29, v33
	s_delay_alu instid0(VALU_DEP_2) | instskip(NEXT) | instid1(VALU_DEP_1)
	v_lshlrev_b64 v[30:31], v30, v[18:19]
	v_and_b32_e32 v30, 7, v30
; %bb.673:                              ;   in Loop: Header=BB460_8 Depth=1
	s_or_b32 exec_lo, exec_lo, s20
	v_lshlrev_b32_e32 v18, 24, v32
	s_delay_alu instid0(VALU_DEP_2) | instskip(SKIP_1) | instid1(VALU_DEP_3)
	v_lshlrev_b32_e32 v30, 20, v30
	v_lshl_add_u32 v31, v33, 23, 0x3c000000
	v_and_b32_e32 v18, 0x80000000, v18
	s_delay_alu instid0(VALU_DEP_1)
	v_or3_b32 v18, v30, v18, v31
.LBB460_674:                            ;   in Loop: Header=BB460_8 Depth=1
	s_or_b32 exec_lo, exec_lo, s19
.LBB460_675:                            ;   in Loop: Header=BB460_8 Depth=1
	s_delay_alu instid0(SALU_CYCLE_1)
	s_or_b32 exec_lo, exec_lo, s18
.LBB460_676:                            ;   in Loop: Header=BB460_8 Depth=1
	s_delay_alu instid0(SALU_CYCLE_1) | instskip(NEXT) | instid1(VALU_DEP_1)
	s_or_b32 exec_lo, exec_lo, s2
	v_mul_f32_e32 v18, v136, v18
                                        ; implicit-def: $vgpr50
	s_delay_alu instid0(VALU_DEP_1) | instskip(NEXT) | instid1(VALU_DEP_1)
	v_and_b32_e32 v30, 0x7f800000, v18
	v_cmp_ne_u32_e64 s1, 0x7f800000, v30
	s_delay_alu instid0(VALU_DEP_1) | instskip(NEXT) | instid1(SALU_CYCLE_1)
	s_and_saveexec_b32 s2, s1
	s_xor_b32 s1, exec_lo, s2
; %bb.677:                              ;   in Loop: Header=BB460_8 Depth=1
	v_bfe_u32 v30, v18, 16, 1
	s_delay_alu instid0(VALU_DEP_1)
	v_add3_u32 v50, v18, v30, 0x7fff
                                        ; implicit-def: $vgpr18
; %bb.678:                              ;   in Loop: Header=BB460_8 Depth=1
	s_and_not1_saveexec_b32 s2, s1
; %bb.679:                              ;   in Loop: Header=BB460_8 Depth=1
	v_and_b32_e32 v30, 0xffff, v18
	v_or_b32_e32 v31, 0x10000, v18
	s_delay_alu instid0(VALU_DEP_2) | instskip(NEXT) | instid1(VALU_DEP_1)
	v_cmp_eq_u32_e64 s1, 0, v30
	v_cndmask_b32_e64 v50, v31, v18, s1
; %bb.680:                              ;   in Loop: Header=BB460_8 Depth=1
	s_or_b32 exec_lo, exec_lo, s2
	flat_load_b64 v[30:31], v[28:29] offset:1544
	v_mov_b32_e32 v18, 0
	s_mov_b32 s2, exec_lo
	s_waitcnt vmcnt(0) lgkmcnt(0)
	v_and_b32_e32 v32, 0xff, v30
	s_delay_alu instid0(VALU_DEP_1)
	v_cmpx_ne_u16_e32 0, v32
	s_cbranch_execz .LBB460_688
; %bb.681:                              ;   in Loop: Header=BB460_8 Depth=1
	v_bfrev_b32_e32 v18, 1
	s_mov_b32 s18, exec_lo
	v_cmpx_ne_u16_e32 0x80, v32
	s_cbranch_execz .LBB460_687
; %bb.682:                              ;   in Loop: Header=BB460_8 Depth=1
	v_and_b32_e32 v32, 0x7f, v30
	v_mov_b32_e32 v18, 0x7f800001
	s_mov_b32 s19, exec_lo
	s_delay_alu instid0(VALU_DEP_2)
	v_cmpx_ne_u32_e32 0x7f, v32
	s_cbranch_execz .LBB460_686
; %bb.683:                              ;   in Loop: Header=BB460_8 Depth=1
	v_lshrrev_b32_e32 v18, 3, v32
	v_cmp_gt_u32_e64 s1, 8, v32
	v_dual_mov_b32 v33, v31 :: v_dual_mov_b32 v32, v30
	s_delay_alu instid0(VALU_DEP_2)
	s_and_saveexec_b32 s20, s1
; %bb.684:                              ;   in Loop: Header=BB460_8 Depth=1
	v_and_b32_e32 v18, 7, v30
	s_delay_alu instid0(VALU_DEP_1) | instskip(NEXT) | instid1(VALU_DEP_1)
	v_clz_i32_u32_e32 v18, v18
	v_min_u32_e32 v18, 32, v18
	s_delay_alu instid0(VALU_DEP_1) | instskip(SKIP_1) | instid1(VALU_DEP_2)
	v_subrev_nc_u32_e32 v32, 28, v18
	v_sub_nc_u32_e32 v18, 29, v18
	v_lshlrev_b64 v[32:33], v32, v[30:31]
; %bb.685:                              ;   in Loop: Header=BB460_8 Depth=1
	s_or_b32 exec_lo, exec_lo, s20
	s_delay_alu instid0(VALU_DEP_1) | instskip(SKIP_2) | instid1(VALU_DEP_3)
	v_lshlrev_b32_e32 v32, 20, v32
	v_lshlrev_b32_e32 v33, 24, v30
	v_lshl_add_u32 v18, v18, 23, 0x3c000000
	v_and_b32_e32 v32, 0x700000, v32
	s_delay_alu instid0(VALU_DEP_3) | instskip(NEXT) | instid1(VALU_DEP_1)
	v_and_b32_e32 v33, 0x80000000, v33
	v_or3_b32 v18, v32, v33, v18
.LBB460_686:                            ;   in Loop: Header=BB460_8 Depth=1
	s_or_b32 exec_lo, exec_lo, s19
.LBB460_687:                            ;   in Loop: Header=BB460_8 Depth=1
	s_delay_alu instid0(SALU_CYCLE_1)
	s_or_b32 exec_lo, exec_lo, s18
.LBB460_688:                            ;   in Loop: Header=BB460_8 Depth=1
	s_delay_alu instid0(SALU_CYCLE_1) | instskip(NEXT) | instid1(VALU_DEP_1)
	s_or_b32 exec_lo, exec_lo, s2
	v_mul_f32_e32 v18, v136, v18
                                        ; implicit-def: $vgpr53
	s_delay_alu instid0(VALU_DEP_1) | instskip(NEXT) | instid1(VALU_DEP_1)
	v_and_b32_e32 v32, 0x7f800000, v18
	v_cmp_ne_u32_e64 s1, 0x7f800000, v32
	s_delay_alu instid0(VALU_DEP_1) | instskip(NEXT) | instid1(SALU_CYCLE_1)
	s_and_saveexec_b32 s2, s1
	s_xor_b32 s1, exec_lo, s2
; %bb.689:                              ;   in Loop: Header=BB460_8 Depth=1
	v_bfe_u32 v32, v18, 16, 1
	s_delay_alu instid0(VALU_DEP_1)
	v_add3_u32 v53, v18, v32, 0x7fff
                                        ; implicit-def: $vgpr18
; %bb.690:                              ;   in Loop: Header=BB460_8 Depth=1
	s_and_not1_saveexec_b32 s2, s1
; %bb.691:                              ;   in Loop: Header=BB460_8 Depth=1
	v_and_b32_e32 v32, 0xffff, v18
	v_or_b32_e32 v33, 0x10000, v18
	s_delay_alu instid0(VALU_DEP_2) | instskip(NEXT) | instid1(VALU_DEP_1)
	v_cmp_eq_u32_e64 s1, 0, v32
	v_cndmask_b32_e64 v53, v33, v18, s1
; %bb.692:                              ;   in Loop: Header=BB460_8 Depth=1
	s_or_b32 exec_lo, exec_lo, s2
	v_lshrrev_b16 v32, 8, v30
	v_mov_b32_e32 v18, 0
	s_mov_b32 s2, exec_lo
	s_delay_alu instid0(VALU_DEP_2)
	v_cmpx_ne_u16_e32 0, v32
	s_cbranch_execz .LBB460_700
; %bb.693:                              ;   in Loop: Header=BB460_8 Depth=1
	v_bfrev_b32_e32 v18, 1
	s_mov_b32 s18, exec_lo
	v_cmpx_ne_u16_e32 0x80, v32
	s_cbranch_execz .LBB460_699
; %bb.694:                              ;   in Loop: Header=BB460_8 Depth=1
	v_and_b32_e32 v33, 0xffff, v32
	v_mov_b32_e32 v18, 0x7f800001
	s_mov_b32 s19, exec_lo
	s_delay_alu instid0(VALU_DEP_2) | instskip(NEXT) | instid1(VALU_DEP_1)
	v_and_b32_e32 v32, 0x7f, v33
	v_cmpx_ne_u32_e32 0x7f, v32
	s_cbranch_execz .LBB460_698
; %bb.695:                              ;   in Loop: Header=BB460_8 Depth=1
	v_and_b32_e32 v18, 7, v33
	v_lshrrev_b32_e32 v54, 3, v32
	v_cmp_gt_u32_e64 s1, 8, v32
	s_delay_alu instid0(VALU_DEP_3) | instskip(NEXT) | instid1(VALU_DEP_2)
	v_dual_mov_b32 v33, v19 :: v_dual_mov_b32 v32, v18
	s_and_saveexec_b32 s20, s1
; %bb.696:                              ;   in Loop: Header=BB460_8 Depth=1
	v_clz_i32_u32_e32 v32, v18
	s_delay_alu instid0(VALU_DEP_1) | instskip(NEXT) | instid1(VALU_DEP_1)
	v_min_u32_e32 v54, 32, v32
	v_subrev_nc_u32_e32 v32, 28, v54
	v_sub_nc_u32_e32 v54, 29, v54
	s_delay_alu instid0(VALU_DEP_2) | instskip(NEXT) | instid1(VALU_DEP_1)
	v_lshlrev_b64 v[32:33], v32, v[18:19]
	v_and_b32_e32 v32, 7, v32
; %bb.697:                              ;   in Loop: Header=BB460_8 Depth=1
	s_or_b32 exec_lo, exec_lo, s20
	v_lshlrev_b32_e32 v18, 16, v30
	s_delay_alu instid0(VALU_DEP_2) | instskip(SKIP_1) | instid1(VALU_DEP_3)
	v_lshlrev_b32_e32 v32, 20, v32
	v_lshl_add_u32 v33, v54, 23, 0x3c000000
	v_and_b32_e32 v18, 0x80000000, v18
	s_delay_alu instid0(VALU_DEP_1)
	v_or3_b32 v18, v32, v18, v33
.LBB460_698:                            ;   in Loop: Header=BB460_8 Depth=1
	s_or_b32 exec_lo, exec_lo, s19
.LBB460_699:                            ;   in Loop: Header=BB460_8 Depth=1
	s_delay_alu instid0(SALU_CYCLE_1)
	s_or_b32 exec_lo, exec_lo, s18
.LBB460_700:                            ;   in Loop: Header=BB460_8 Depth=1
	s_delay_alu instid0(SALU_CYCLE_1) | instskip(NEXT) | instid1(VALU_DEP_1)
	s_or_b32 exec_lo, exec_lo, s2
	v_mul_f32_e32 v18, v136, v18
                                        ; implicit-def: $vgpr54
	s_delay_alu instid0(VALU_DEP_1) | instskip(NEXT) | instid1(VALU_DEP_1)
	v_and_b32_e32 v32, 0x7f800000, v18
	v_cmp_ne_u32_e64 s1, 0x7f800000, v32
	s_delay_alu instid0(VALU_DEP_1) | instskip(NEXT) | instid1(SALU_CYCLE_1)
	s_and_saveexec_b32 s2, s1
	s_xor_b32 s1, exec_lo, s2
; %bb.701:                              ;   in Loop: Header=BB460_8 Depth=1
	v_bfe_u32 v32, v18, 16, 1
	s_delay_alu instid0(VALU_DEP_1)
	v_add3_u32 v54, v18, v32, 0x7fff
                                        ; implicit-def: $vgpr18
; %bb.702:                              ;   in Loop: Header=BB460_8 Depth=1
	s_and_not1_saveexec_b32 s2, s1
; %bb.703:                              ;   in Loop: Header=BB460_8 Depth=1
	v_and_b32_e32 v32, 0xffff, v18
	v_or_b32_e32 v33, 0x10000, v18
	s_delay_alu instid0(VALU_DEP_2) | instskip(NEXT) | instid1(VALU_DEP_1)
	v_cmp_eq_u32_e64 s1, 0, v32
	v_cndmask_b32_e64 v54, v33, v18, s1
; %bb.704:                              ;   in Loop: Header=BB460_8 Depth=1
	s_or_b32 exec_lo, exec_lo, s2
	v_lshrrev_b32_e32 v55, 16, v30
	v_mov_b32_e32 v18, 0
	s_mov_b32 s2, exec_lo
	s_delay_alu instid0(VALU_DEP_2) | instskip(NEXT) | instid1(VALU_DEP_1)
	v_and_b32_e32 v32, 0xff, v55
	v_cmpx_ne_u16_e32 0, v32
	s_cbranch_execz .LBB460_712
; %bb.705:                              ;   in Loop: Header=BB460_8 Depth=1
	v_bfrev_b32_e32 v18, 1
	s_mov_b32 s18, exec_lo
	v_cmpx_ne_u16_e32 0x80, v32
	s_cbranch_execz .LBB460_711
; %bb.706:                              ;   in Loop: Header=BB460_8 Depth=1
	v_bfe_u32 v32, v30, 16, 7
	v_mov_b32_e32 v18, 0x7f800001
	s_mov_b32 s19, exec_lo
	s_delay_alu instid0(VALU_DEP_2)
	v_cmpx_ne_u32_e32 0x7f, v32
	s_cbranch_execz .LBB460_710
; %bb.707:                              ;   in Loop: Header=BB460_8 Depth=1
	v_and_b32_e32 v18, 7, v55
	v_lshrrev_b32_e32 v64, 3, v32
	v_cmp_gt_u32_e64 s1, 8, v32
	s_delay_alu instid0(VALU_DEP_3) | instskip(NEXT) | instid1(VALU_DEP_2)
	v_dual_mov_b32 v33, v19 :: v_dual_mov_b32 v32, v18
	s_and_saveexec_b32 s20, s1
; %bb.708:                              ;   in Loop: Header=BB460_8 Depth=1
	v_clz_i32_u32_e32 v32, v18
	s_delay_alu instid0(VALU_DEP_1) | instskip(NEXT) | instid1(VALU_DEP_1)
	v_min_u32_e32 v64, 32, v32
	v_subrev_nc_u32_e32 v32, 28, v64
	v_sub_nc_u32_e32 v64, 29, v64
	s_delay_alu instid0(VALU_DEP_2) | instskip(NEXT) | instid1(VALU_DEP_1)
	v_lshlrev_b64 v[32:33], v32, v[18:19]
	v_and_b32_e32 v32, 7, v32
; %bb.709:                              ;   in Loop: Header=BB460_8 Depth=1
	s_or_b32 exec_lo, exec_lo, s20
	v_lshlrev_b32_e32 v18, 24, v55
	s_delay_alu instid0(VALU_DEP_2) | instskip(SKIP_1) | instid1(VALU_DEP_3)
	v_lshlrev_b32_e32 v32, 20, v32
	v_lshl_add_u32 v33, v64, 23, 0x3c000000
	v_and_b32_e32 v18, 0x80000000, v18
	s_delay_alu instid0(VALU_DEP_1)
	v_or3_b32 v18, v32, v18, v33
.LBB460_710:                            ;   in Loop: Header=BB460_8 Depth=1
	s_or_b32 exec_lo, exec_lo, s19
.LBB460_711:                            ;   in Loop: Header=BB460_8 Depth=1
	s_delay_alu instid0(SALU_CYCLE_1)
	s_or_b32 exec_lo, exec_lo, s18
.LBB460_712:                            ;   in Loop: Header=BB460_8 Depth=1
	s_delay_alu instid0(SALU_CYCLE_1) | instskip(NEXT) | instid1(VALU_DEP_1)
	s_or_b32 exec_lo, exec_lo, s2
	v_mul_f32_e32 v18, v136, v18
                                        ; implicit-def: $vgpr55
	s_delay_alu instid0(VALU_DEP_1) | instskip(NEXT) | instid1(VALU_DEP_1)
	v_and_b32_e32 v32, 0x7f800000, v18
	v_cmp_ne_u32_e64 s1, 0x7f800000, v32
	s_delay_alu instid0(VALU_DEP_1) | instskip(NEXT) | instid1(SALU_CYCLE_1)
	s_and_saveexec_b32 s2, s1
	s_xor_b32 s1, exec_lo, s2
; %bb.713:                              ;   in Loop: Header=BB460_8 Depth=1
	v_bfe_u32 v32, v18, 16, 1
	s_delay_alu instid0(VALU_DEP_1)
	v_add3_u32 v55, v18, v32, 0x7fff
                                        ; implicit-def: $vgpr18
; %bb.714:                              ;   in Loop: Header=BB460_8 Depth=1
	s_and_not1_saveexec_b32 s2, s1
; %bb.715:                              ;   in Loop: Header=BB460_8 Depth=1
	v_and_b32_e32 v32, 0xffff, v18
	v_or_b32_e32 v33, 0x10000, v18
	s_delay_alu instid0(VALU_DEP_2) | instskip(NEXT) | instid1(VALU_DEP_1)
	v_cmp_eq_u32_e64 s1, 0, v32
	v_cndmask_b32_e64 v55, v33, v18, s1
; %bb.716:                              ;   in Loop: Header=BB460_8 Depth=1
	s_or_b32 exec_lo, exec_lo, s2
	v_mov_b32_e32 v18, 0
	s_mov_b32 s2, exec_lo
	v_cmpx_lt_u32_e32 0xffffff, v30
	s_cbranch_execz .LBB460_724
; %bb.717:                              ;   in Loop: Header=BB460_8 Depth=1
	v_lshrrev_b32_e32 v64, 24, v30
	v_bfrev_b32_e32 v18, 1
	s_mov_b32 s18, exec_lo
	s_delay_alu instid0(VALU_DEP_2)
	v_cmpx_ne_u32_e32 0x80, v64
	s_cbranch_execz .LBB460_723
; %bb.718:                              ;   in Loop: Header=BB460_8 Depth=1
	v_bfe_u32 v32, v30, 24, 7
	v_mov_b32_e32 v18, 0x7f800001
	s_mov_b32 s19, exec_lo
	s_delay_alu instid0(VALU_DEP_2)
	v_cmpx_ne_u32_e32 0x7f, v32
	s_cbranch_execz .LBB460_722
; %bb.719:                              ;   in Loop: Header=BB460_8 Depth=1
	v_and_b32_e32 v18, 7, v64
	v_lshrrev_b32_e32 v65, 3, v32
	v_cmp_gt_u32_e64 s1, 8, v32
	s_delay_alu instid0(VALU_DEP_3) | instskip(NEXT) | instid1(VALU_DEP_2)
	v_dual_mov_b32 v33, v19 :: v_dual_mov_b32 v32, v18
	s_and_saveexec_b32 s20, s1
; %bb.720:                              ;   in Loop: Header=BB460_8 Depth=1
	v_clz_i32_u32_e32 v32, v18
	s_delay_alu instid0(VALU_DEP_1) | instskip(NEXT) | instid1(VALU_DEP_1)
	v_min_u32_e32 v65, 32, v32
	v_subrev_nc_u32_e32 v32, 28, v65
	v_sub_nc_u32_e32 v65, 29, v65
	s_delay_alu instid0(VALU_DEP_2) | instskip(NEXT) | instid1(VALU_DEP_1)
	v_lshlrev_b64 v[32:33], v32, v[18:19]
	v_and_b32_e32 v32, 7, v32
; %bb.721:                              ;   in Loop: Header=BB460_8 Depth=1
	s_or_b32 exec_lo, exec_lo, s20
	v_lshlrev_b32_e32 v18, 24, v64
	s_delay_alu instid0(VALU_DEP_2) | instskip(SKIP_1) | instid1(VALU_DEP_3)
	v_lshlrev_b32_e32 v32, 20, v32
	v_lshl_add_u32 v33, v65, 23, 0x3c000000
	v_and_b32_e32 v18, 0x80000000, v18
	s_delay_alu instid0(VALU_DEP_1)
	v_or3_b32 v18, v32, v18, v33
.LBB460_722:                            ;   in Loop: Header=BB460_8 Depth=1
	s_or_b32 exec_lo, exec_lo, s19
.LBB460_723:                            ;   in Loop: Header=BB460_8 Depth=1
	s_delay_alu instid0(SALU_CYCLE_1)
	s_or_b32 exec_lo, exec_lo, s18
.LBB460_724:                            ;   in Loop: Header=BB460_8 Depth=1
	s_delay_alu instid0(SALU_CYCLE_1) | instskip(NEXT) | instid1(VALU_DEP_1)
	s_or_b32 exec_lo, exec_lo, s2
	v_mul_f32_e32 v18, v136, v18
                                        ; implicit-def: $vgpr64
	s_delay_alu instid0(VALU_DEP_1) | instskip(NEXT) | instid1(VALU_DEP_1)
	v_and_b32_e32 v32, 0x7f800000, v18
	v_cmp_ne_u32_e64 s1, 0x7f800000, v32
	s_delay_alu instid0(VALU_DEP_1) | instskip(NEXT) | instid1(SALU_CYCLE_1)
	s_and_saveexec_b32 s2, s1
	s_xor_b32 s1, exec_lo, s2
; %bb.725:                              ;   in Loop: Header=BB460_8 Depth=1
	v_bfe_u32 v32, v18, 16, 1
	s_delay_alu instid0(VALU_DEP_1)
	v_add3_u32 v64, v18, v32, 0x7fff
                                        ; implicit-def: $vgpr18
; %bb.726:                              ;   in Loop: Header=BB460_8 Depth=1
	s_and_not1_saveexec_b32 s2, s1
; %bb.727:                              ;   in Loop: Header=BB460_8 Depth=1
	v_and_b32_e32 v32, 0xffff, v18
	v_or_b32_e32 v33, 0x10000, v18
	s_delay_alu instid0(VALU_DEP_2) | instskip(NEXT) | instid1(VALU_DEP_1)
	v_cmp_eq_u32_e64 s1, 0, v32
	v_cndmask_b32_e64 v64, v33, v18, s1
; %bb.728:                              ;   in Loop: Header=BB460_8 Depth=1
	s_or_b32 exec_lo, exec_lo, s2
	v_dual_mov_b32 v18, v31 :: v_dual_and_b32 v33, 0xff, v31
	v_mov_b32_e32 v32, 0
	s_mov_b32 s2, exec_lo
	s_delay_alu instid0(VALU_DEP_2)
	v_cmpx_ne_u16_e32 0, v33
	s_cbranch_execz .LBB460_736
; %bb.729:                              ;   in Loop: Header=BB460_8 Depth=1
	v_bfrev_b32_e32 v32, 1
	s_mov_b32 s18, exec_lo
	v_cmpx_ne_u16_e32 0x80, v33
	s_cbranch_execz .LBB460_735
; %bb.730:                              ;   in Loop: Header=BB460_8 Depth=1
	v_and_b32_e32 v33, 0x7f, v31
	v_mov_b32_e32 v32, 0x7f800001
	s_mov_b32 s19, exec_lo
	s_delay_alu instid0(VALU_DEP_2)
	v_cmpx_ne_u32_e32 0x7f, v33
	s_cbranch_execz .LBB460_734
; %bb.731:                              ;   in Loop: Header=BB460_8 Depth=1
	v_lshrrev_b32_e32 v65, 3, v33
	v_cmp_gt_u32_e64 s1, 8, v33
	v_dual_mov_b32 v33, v19 :: v_dual_mov_b32 v32, v18
	s_delay_alu instid0(VALU_DEP_2)
	s_and_saveexec_b32 s20, s1
; %bb.732:                              ;   in Loop: Header=BB460_8 Depth=1
	v_and_b32_e32 v32, 7, v31
	s_delay_alu instid0(VALU_DEP_1) | instskip(NEXT) | instid1(VALU_DEP_1)
	v_clz_i32_u32_e32 v32, v32
	v_min_u32_e32 v65, 32, v32
	s_delay_alu instid0(VALU_DEP_1) | instskip(SKIP_1) | instid1(VALU_DEP_2)
	v_subrev_nc_u32_e32 v32, 28, v65
	v_sub_nc_u32_e32 v65, 29, v65
	v_lshlrev_b64 v[32:33], v32, v[18:19]
; %bb.733:                              ;   in Loop: Header=BB460_8 Depth=1
	s_or_b32 exec_lo, exec_lo, s20
	s_delay_alu instid0(VALU_DEP_1) | instskip(SKIP_2) | instid1(VALU_DEP_3)
	v_lshlrev_b32_e32 v32, 20, v32
	v_lshlrev_b32_e32 v33, 24, v18
	v_lshl_add_u32 v65, v65, 23, 0x3c000000
	v_and_b32_e32 v32, 0x700000, v32
	s_delay_alu instid0(VALU_DEP_3) | instskip(NEXT) | instid1(VALU_DEP_1)
	v_and_b32_e32 v33, 0x80000000, v33
	v_or3_b32 v32, v32, v33, v65
.LBB460_734:                            ;   in Loop: Header=BB460_8 Depth=1
	s_or_b32 exec_lo, exec_lo, s19
.LBB460_735:                            ;   in Loop: Header=BB460_8 Depth=1
	s_delay_alu instid0(SALU_CYCLE_1)
	s_or_b32 exec_lo, exec_lo, s18
.LBB460_736:                            ;   in Loop: Header=BB460_8 Depth=1
	s_delay_alu instid0(SALU_CYCLE_1) | instskip(NEXT) | instid1(VALU_DEP_1)
	s_or_b32 exec_lo, exec_lo, s2
	v_mul_f32_e32 v32, v136, v32
                                        ; implicit-def: $vgpr65
	s_delay_alu instid0(VALU_DEP_1) | instskip(NEXT) | instid1(VALU_DEP_1)
	v_and_b32_e32 v33, 0x7f800000, v32
	v_cmp_ne_u32_e64 s1, 0x7f800000, v33
	s_delay_alu instid0(VALU_DEP_1) | instskip(NEXT) | instid1(SALU_CYCLE_1)
	s_and_saveexec_b32 s2, s1
	s_xor_b32 s1, exec_lo, s2
; %bb.737:                              ;   in Loop: Header=BB460_8 Depth=1
	v_bfe_u32 v33, v32, 16, 1
	s_delay_alu instid0(VALU_DEP_1)
	v_add3_u32 v65, v32, v33, 0x7fff
                                        ; implicit-def: $vgpr32
; %bb.738:                              ;   in Loop: Header=BB460_8 Depth=1
	s_and_not1_saveexec_b32 s2, s1
; %bb.739:                              ;   in Loop: Header=BB460_8 Depth=1
	v_and_b32_e32 v33, 0xffff, v32
	v_or_b32_e32 v65, 0x10000, v32
	s_delay_alu instid0(VALU_DEP_2) | instskip(NEXT) | instid1(VALU_DEP_1)
	v_cmp_eq_u32_e64 s1, 0, v33
	v_cndmask_b32_e64 v65, v65, v32, s1
; %bb.740:                              ;   in Loop: Header=BB460_8 Depth=1
	s_or_b32 exec_lo, exec_lo, s2
	v_lshrrev_b16 v33, 8, v18
	v_mov_b32_e32 v32, 0
	s_mov_b32 s2, exec_lo
	s_delay_alu instid0(VALU_DEP_2)
	v_cmpx_ne_u16_e32 0, v33
	s_cbranch_execz .LBB460_748
; %bb.741:                              ;   in Loop: Header=BB460_8 Depth=1
	v_bfrev_b32_e32 v32, 1
	s_mov_b32 s18, exec_lo
	v_cmpx_ne_u16_e32 0x80, v33
	s_cbranch_execz .LBB460_747
; %bb.742:                              ;   in Loop: Header=BB460_8 Depth=1
	v_and_b32_e32 v33, 0xffff, v33
	v_mov_b32_e32 v32, 0x7f800001
	s_mov_b32 s19, exec_lo
	s_delay_alu instid0(VALU_DEP_2) | instskip(NEXT) | instid1(VALU_DEP_1)
	v_and_b32_e32 v67, 0x7f, v33
	v_cmpx_ne_u32_e32 0x7f, v67
	s_cbranch_execz .LBB460_746
; %bb.743:                              ;   in Loop: Header=BB460_8 Depth=1
	v_dual_mov_b32 v33, v19 :: v_dual_and_b32 v32, 7, v33
	v_lshrrev_b32_e32 v66, 3, v67
	s_mov_b32 s20, exec_lo
	v_cmpx_gt_u32_e32 8, v67
; %bb.744:                              ;   in Loop: Header=BB460_8 Depth=1
	s_delay_alu instid0(VALU_DEP_3) | instskip(NEXT) | instid1(VALU_DEP_1)
	v_clz_i32_u32_e32 v66, v32
	v_min_u32_e32 v66, 32, v66
	s_delay_alu instid0(VALU_DEP_1) | instskip(SKIP_1) | instid1(VALU_DEP_2)
	v_subrev_nc_u32_e32 v67, 28, v66
	v_sub_nc_u32_e32 v66, 29, v66
	v_lshlrev_b64 v[32:33], v67, v[32:33]
	s_delay_alu instid0(VALU_DEP_1)
	v_and_b32_e32 v32, 7, v32
; %bb.745:                              ;   in Loop: Header=BB460_8 Depth=1
	s_or_b32 exec_lo, exec_lo, s20
	v_lshlrev_b32_e32 v18, 16, v18
	s_delay_alu instid0(VALU_DEP_2) | instskip(SKIP_1) | instid1(VALU_DEP_3)
	v_lshlrev_b32_e32 v32, 20, v32
	v_lshl_add_u32 v33, v66, 23, 0x3c000000
	v_and_b32_e32 v18, 0x80000000, v18
	s_delay_alu instid0(VALU_DEP_1)
	v_or3_b32 v32, v32, v18, v33
.LBB460_746:                            ;   in Loop: Header=BB460_8 Depth=1
	s_or_b32 exec_lo, exec_lo, s19
.LBB460_747:                            ;   in Loop: Header=BB460_8 Depth=1
	s_delay_alu instid0(SALU_CYCLE_1)
	s_or_b32 exec_lo, exec_lo, s18
.LBB460_748:                            ;   in Loop: Header=BB460_8 Depth=1
	s_delay_alu instid0(SALU_CYCLE_1) | instskip(NEXT) | instid1(VALU_DEP_1)
	s_or_b32 exec_lo, exec_lo, s2
	v_mul_f32_e32 v18, v136, v32
                                        ; implicit-def: $vgpr66
	s_delay_alu instid0(VALU_DEP_1) | instskip(NEXT) | instid1(VALU_DEP_1)
	v_and_b32_e32 v32, 0x7f800000, v18
	v_cmp_ne_u32_e64 s1, 0x7f800000, v32
	s_delay_alu instid0(VALU_DEP_1) | instskip(NEXT) | instid1(SALU_CYCLE_1)
	s_and_saveexec_b32 s2, s1
	s_xor_b32 s1, exec_lo, s2
; %bb.749:                              ;   in Loop: Header=BB460_8 Depth=1
	v_bfe_u32 v32, v18, 16, 1
	s_delay_alu instid0(VALU_DEP_1)
	v_add3_u32 v66, v18, v32, 0x7fff
                                        ; implicit-def: $vgpr18
; %bb.750:                              ;   in Loop: Header=BB460_8 Depth=1
	s_and_not1_saveexec_b32 s2, s1
; %bb.751:                              ;   in Loop: Header=BB460_8 Depth=1
	v_and_b32_e32 v32, 0xffff, v18
	v_or_b32_e32 v33, 0x10000, v18
	s_delay_alu instid0(VALU_DEP_2) | instskip(NEXT) | instid1(VALU_DEP_1)
	v_cmp_eq_u32_e64 s1, 0, v32
	v_cndmask_b32_e64 v66, v33, v18, s1
; %bb.752:                              ;   in Loop: Header=BB460_8 Depth=1
	s_or_b32 exec_lo, exec_lo, s2
	v_lshrrev_b32_e32 v67, 16, v31
	v_mov_b32_e32 v18, 0
	s_mov_b32 s2, exec_lo
	s_delay_alu instid0(VALU_DEP_2) | instskip(NEXT) | instid1(VALU_DEP_1)
	v_and_b32_e32 v32, 0xff, v67
	v_cmpx_ne_u16_e32 0, v32
	s_cbranch_execz .LBB460_760
; %bb.753:                              ;   in Loop: Header=BB460_8 Depth=1
	v_bfrev_b32_e32 v18, 1
	s_mov_b32 s18, exec_lo
	v_cmpx_ne_u16_e32 0x80, v32
	s_cbranch_execz .LBB460_759
; %bb.754:                              ;   in Loop: Header=BB460_8 Depth=1
	v_bfe_u32 v32, v31, 16, 7
	v_mov_b32_e32 v18, 0x7f800001
	s_mov_b32 s19, exec_lo
	s_delay_alu instid0(VALU_DEP_2)
	v_cmpx_ne_u32_e32 0x7f, v32
	s_cbranch_execz .LBB460_758
; %bb.755:                              ;   in Loop: Header=BB460_8 Depth=1
	v_and_b32_e32 v18, 7, v67
	v_lshrrev_b32_e32 v68, 3, v32
	v_cmp_gt_u32_e64 s1, 8, v32
	s_delay_alu instid0(VALU_DEP_3) | instskip(NEXT) | instid1(VALU_DEP_2)
	v_dual_mov_b32 v33, v19 :: v_dual_mov_b32 v32, v18
	s_and_saveexec_b32 s20, s1
; %bb.756:                              ;   in Loop: Header=BB460_8 Depth=1
	v_clz_i32_u32_e32 v32, v18
	s_delay_alu instid0(VALU_DEP_1) | instskip(NEXT) | instid1(VALU_DEP_1)
	v_min_u32_e32 v68, 32, v32
	v_subrev_nc_u32_e32 v32, 28, v68
	v_sub_nc_u32_e32 v68, 29, v68
	s_delay_alu instid0(VALU_DEP_2) | instskip(NEXT) | instid1(VALU_DEP_1)
	v_lshlrev_b64 v[32:33], v32, v[18:19]
	v_and_b32_e32 v32, 7, v32
; %bb.757:                              ;   in Loop: Header=BB460_8 Depth=1
	s_or_b32 exec_lo, exec_lo, s20
	v_lshlrev_b32_e32 v18, 24, v67
	s_delay_alu instid0(VALU_DEP_2) | instskip(SKIP_1) | instid1(VALU_DEP_3)
	v_lshlrev_b32_e32 v32, 20, v32
	v_lshl_add_u32 v33, v68, 23, 0x3c000000
	v_and_b32_e32 v18, 0x80000000, v18
	s_delay_alu instid0(VALU_DEP_1)
	v_or3_b32 v18, v32, v18, v33
.LBB460_758:                            ;   in Loop: Header=BB460_8 Depth=1
	s_or_b32 exec_lo, exec_lo, s19
.LBB460_759:                            ;   in Loop: Header=BB460_8 Depth=1
	s_delay_alu instid0(SALU_CYCLE_1)
	s_or_b32 exec_lo, exec_lo, s18
.LBB460_760:                            ;   in Loop: Header=BB460_8 Depth=1
	s_delay_alu instid0(SALU_CYCLE_1) | instskip(NEXT) | instid1(VALU_DEP_1)
	s_or_b32 exec_lo, exec_lo, s2
	v_mul_f32_e32 v18, v136, v18
                                        ; implicit-def: $vgpr67
	s_delay_alu instid0(VALU_DEP_1) | instskip(NEXT) | instid1(VALU_DEP_1)
	v_and_b32_e32 v32, 0x7f800000, v18
	v_cmp_ne_u32_e64 s1, 0x7f800000, v32
	s_delay_alu instid0(VALU_DEP_1) | instskip(NEXT) | instid1(SALU_CYCLE_1)
	s_and_saveexec_b32 s2, s1
	s_xor_b32 s1, exec_lo, s2
; %bb.761:                              ;   in Loop: Header=BB460_8 Depth=1
	v_bfe_u32 v32, v18, 16, 1
	s_delay_alu instid0(VALU_DEP_1)
	v_add3_u32 v67, v18, v32, 0x7fff
                                        ; implicit-def: $vgpr18
; %bb.762:                              ;   in Loop: Header=BB460_8 Depth=1
	s_and_not1_saveexec_b32 s2, s1
; %bb.763:                              ;   in Loop: Header=BB460_8 Depth=1
	v_and_b32_e32 v32, 0xffff, v18
	v_or_b32_e32 v33, 0x10000, v18
	s_delay_alu instid0(VALU_DEP_2) | instskip(NEXT) | instid1(VALU_DEP_1)
	v_cmp_eq_u32_e64 s1, 0, v32
	v_cndmask_b32_e64 v67, v33, v18, s1
; %bb.764:                              ;   in Loop: Header=BB460_8 Depth=1
	s_or_b32 exec_lo, exec_lo, s2
	v_mov_b32_e32 v18, 0
	s_mov_b32 s2, exec_lo
	v_cmpx_lt_u64_e64 s[8:9], v[30:31]
	s_cbranch_execz .LBB460_772
; %bb.765:                              ;   in Loop: Header=BB460_8 Depth=1
	v_lshrrev_b32_e32 v32, 24, v31
	v_bfrev_b32_e32 v18, 1
	s_mov_b32 s18, exec_lo
	s_delay_alu instid0(VALU_DEP_2)
	v_cmpx_ne_u32_e32 0x80, v32
	s_cbranch_execz .LBB460_771
; %bb.766:                              ;   in Loop: Header=BB460_8 Depth=1
	v_bfe_u32 v30, v31, 24, 7
	v_mov_b32_e32 v18, 0x7f800001
	s_mov_b32 s19, exec_lo
	s_delay_alu instid0(VALU_DEP_2)
	v_cmpx_ne_u32_e32 0x7f, v30
	s_cbranch_execz .LBB460_770
; %bb.767:                              ;   in Loop: Header=BB460_8 Depth=1
	v_and_b32_e32 v18, 7, v32
	v_lshrrev_b32_e32 v33, 3, v30
	v_cmp_gt_u32_e64 s1, 8, v30
	s_delay_alu instid0(VALU_DEP_3) | instskip(NEXT) | instid1(VALU_DEP_2)
	v_dual_mov_b32 v31, v19 :: v_dual_mov_b32 v30, v18
	s_and_saveexec_b32 s20, s1
; %bb.768:                              ;   in Loop: Header=BB460_8 Depth=1
	v_clz_i32_u32_e32 v30, v18
	s_delay_alu instid0(VALU_DEP_1) | instskip(NEXT) | instid1(VALU_DEP_1)
	v_min_u32_e32 v33, 32, v30
	v_subrev_nc_u32_e32 v30, 28, v33
	v_sub_nc_u32_e32 v33, 29, v33
	s_delay_alu instid0(VALU_DEP_2) | instskip(NEXT) | instid1(VALU_DEP_1)
	v_lshlrev_b64 v[30:31], v30, v[18:19]
	v_and_b32_e32 v30, 7, v30
; %bb.769:                              ;   in Loop: Header=BB460_8 Depth=1
	s_or_b32 exec_lo, exec_lo, s20
	v_lshlrev_b32_e32 v18, 24, v32
	s_delay_alu instid0(VALU_DEP_2) | instskip(SKIP_1) | instid1(VALU_DEP_3)
	v_lshlrev_b32_e32 v30, 20, v30
	v_lshl_add_u32 v31, v33, 23, 0x3c000000
	v_and_b32_e32 v18, 0x80000000, v18
	s_delay_alu instid0(VALU_DEP_1)
	v_or3_b32 v18, v30, v18, v31
.LBB460_770:                            ;   in Loop: Header=BB460_8 Depth=1
	s_or_b32 exec_lo, exec_lo, s19
.LBB460_771:                            ;   in Loop: Header=BB460_8 Depth=1
	s_delay_alu instid0(SALU_CYCLE_1)
	s_or_b32 exec_lo, exec_lo, s18
.LBB460_772:                            ;   in Loop: Header=BB460_8 Depth=1
	s_delay_alu instid0(SALU_CYCLE_1) | instskip(NEXT) | instid1(VALU_DEP_1)
	s_or_b32 exec_lo, exec_lo, s2
	v_mul_f32_e32 v18, v136, v18
                                        ; implicit-def: $vgpr68
	s_delay_alu instid0(VALU_DEP_1) | instskip(NEXT) | instid1(VALU_DEP_1)
	v_and_b32_e32 v30, 0x7f800000, v18
	v_cmp_ne_u32_e64 s1, 0x7f800000, v30
	s_delay_alu instid0(VALU_DEP_1) | instskip(NEXT) | instid1(SALU_CYCLE_1)
	s_and_saveexec_b32 s2, s1
	s_xor_b32 s1, exec_lo, s2
; %bb.773:                              ;   in Loop: Header=BB460_8 Depth=1
	v_bfe_u32 v30, v18, 16, 1
	s_delay_alu instid0(VALU_DEP_1)
	v_add3_u32 v68, v18, v30, 0x7fff
                                        ; implicit-def: $vgpr18
; %bb.774:                              ;   in Loop: Header=BB460_8 Depth=1
	s_and_not1_saveexec_b32 s2, s1
; %bb.775:                              ;   in Loop: Header=BB460_8 Depth=1
	v_and_b32_e32 v30, 0xffff, v18
	v_or_b32_e32 v31, 0x10000, v18
	s_delay_alu instid0(VALU_DEP_2) | instskip(NEXT) | instid1(VALU_DEP_1)
	v_cmp_eq_u32_e64 s1, 0, v30
	v_cndmask_b32_e64 v68, v31, v18, s1
; %bb.776:                              ;   in Loop: Header=BB460_8 Depth=1
	s_or_b32 exec_lo, exec_lo, s2
	flat_load_b64 v[30:31], v[28:29] offset:2048
	v_mov_b32_e32 v18, 0
	s_mov_b32 s2, exec_lo
	s_waitcnt vmcnt(0) lgkmcnt(0)
	v_and_b32_e32 v32, 0xff, v30
	s_delay_alu instid0(VALU_DEP_1)
	v_cmpx_ne_u16_e32 0, v32
	s_cbranch_execz .LBB460_784
; %bb.777:                              ;   in Loop: Header=BB460_8 Depth=1
	v_bfrev_b32_e32 v18, 1
	s_mov_b32 s18, exec_lo
	v_cmpx_ne_u16_e32 0x80, v32
	s_cbranch_execz .LBB460_783
; %bb.778:                              ;   in Loop: Header=BB460_8 Depth=1
	v_and_b32_e32 v32, 0x7f, v30
	v_mov_b32_e32 v18, 0x7f800001
	s_mov_b32 s19, exec_lo
	s_delay_alu instid0(VALU_DEP_2)
	v_cmpx_ne_u32_e32 0x7f, v32
	s_cbranch_execz .LBB460_782
; %bb.779:                              ;   in Loop: Header=BB460_8 Depth=1
	v_lshrrev_b32_e32 v18, 3, v32
	v_cmp_gt_u32_e64 s1, 8, v32
	v_dual_mov_b32 v33, v31 :: v_dual_mov_b32 v32, v30
	s_delay_alu instid0(VALU_DEP_2)
	s_and_saveexec_b32 s20, s1
; %bb.780:                              ;   in Loop: Header=BB460_8 Depth=1
	v_and_b32_e32 v18, 7, v30
	s_delay_alu instid0(VALU_DEP_1) | instskip(NEXT) | instid1(VALU_DEP_1)
	v_clz_i32_u32_e32 v18, v18
	v_min_u32_e32 v18, 32, v18
	s_delay_alu instid0(VALU_DEP_1) | instskip(SKIP_1) | instid1(VALU_DEP_2)
	v_subrev_nc_u32_e32 v32, 28, v18
	v_sub_nc_u32_e32 v18, 29, v18
	v_lshlrev_b64 v[32:33], v32, v[30:31]
; %bb.781:                              ;   in Loop: Header=BB460_8 Depth=1
	s_or_b32 exec_lo, exec_lo, s20
	s_delay_alu instid0(VALU_DEP_1) | instskip(SKIP_2) | instid1(VALU_DEP_3)
	v_lshlrev_b32_e32 v32, 20, v32
	v_lshlrev_b32_e32 v33, 24, v30
	v_lshl_add_u32 v18, v18, 23, 0x3c000000
	v_and_b32_e32 v32, 0x700000, v32
	s_delay_alu instid0(VALU_DEP_3) | instskip(NEXT) | instid1(VALU_DEP_1)
	v_and_b32_e32 v33, 0x80000000, v33
	v_or3_b32 v18, v32, v33, v18
.LBB460_782:                            ;   in Loop: Header=BB460_8 Depth=1
	s_or_b32 exec_lo, exec_lo, s19
.LBB460_783:                            ;   in Loop: Header=BB460_8 Depth=1
	s_delay_alu instid0(SALU_CYCLE_1)
	s_or_b32 exec_lo, exec_lo, s18
.LBB460_784:                            ;   in Loop: Header=BB460_8 Depth=1
	s_delay_alu instid0(SALU_CYCLE_1) | instskip(NEXT) | instid1(VALU_DEP_1)
	s_or_b32 exec_lo, exec_lo, s2
	v_mul_f32_e32 v18, v136, v18
                                        ; implicit-def: $vgpr69
	s_delay_alu instid0(VALU_DEP_1) | instskip(NEXT) | instid1(VALU_DEP_1)
	v_and_b32_e32 v32, 0x7f800000, v18
	v_cmp_ne_u32_e64 s1, 0x7f800000, v32
	s_delay_alu instid0(VALU_DEP_1) | instskip(NEXT) | instid1(SALU_CYCLE_1)
	s_and_saveexec_b32 s2, s1
	s_xor_b32 s1, exec_lo, s2
; %bb.785:                              ;   in Loop: Header=BB460_8 Depth=1
	v_bfe_u32 v32, v18, 16, 1
	s_delay_alu instid0(VALU_DEP_1)
	v_add3_u32 v69, v18, v32, 0x7fff
                                        ; implicit-def: $vgpr18
; %bb.786:                              ;   in Loop: Header=BB460_8 Depth=1
	s_and_not1_saveexec_b32 s2, s1
; %bb.787:                              ;   in Loop: Header=BB460_8 Depth=1
	v_and_b32_e32 v32, 0xffff, v18
	v_or_b32_e32 v33, 0x10000, v18
	s_delay_alu instid0(VALU_DEP_2) | instskip(NEXT) | instid1(VALU_DEP_1)
	v_cmp_eq_u32_e64 s1, 0, v32
	v_cndmask_b32_e64 v69, v33, v18, s1
; %bb.788:                              ;   in Loop: Header=BB460_8 Depth=1
	s_or_b32 exec_lo, exec_lo, s2
	v_lshrrev_b16 v32, 8, v30
	v_mov_b32_e32 v18, 0
	s_mov_b32 s2, exec_lo
	s_delay_alu instid0(VALU_DEP_2)
	v_cmpx_ne_u16_e32 0, v32
	s_cbranch_execz .LBB460_796
; %bb.789:                              ;   in Loop: Header=BB460_8 Depth=1
	v_bfrev_b32_e32 v18, 1
	s_mov_b32 s18, exec_lo
	v_cmpx_ne_u16_e32 0x80, v32
	s_cbranch_execz .LBB460_795
; %bb.790:                              ;   in Loop: Header=BB460_8 Depth=1
	v_and_b32_e32 v33, 0xffff, v32
	v_mov_b32_e32 v18, 0x7f800001
	s_mov_b32 s19, exec_lo
	s_delay_alu instid0(VALU_DEP_2) | instskip(NEXT) | instid1(VALU_DEP_1)
	v_and_b32_e32 v32, 0x7f, v33
	v_cmpx_ne_u32_e32 0x7f, v32
	s_cbranch_execz .LBB460_794
; %bb.791:                              ;   in Loop: Header=BB460_8 Depth=1
	v_and_b32_e32 v18, 7, v33
	v_lshrrev_b32_e32 v70, 3, v32
	v_cmp_gt_u32_e64 s1, 8, v32
	s_delay_alu instid0(VALU_DEP_3) | instskip(NEXT) | instid1(VALU_DEP_2)
	v_dual_mov_b32 v33, v19 :: v_dual_mov_b32 v32, v18
	s_and_saveexec_b32 s20, s1
; %bb.792:                              ;   in Loop: Header=BB460_8 Depth=1
	v_clz_i32_u32_e32 v32, v18
	s_delay_alu instid0(VALU_DEP_1) | instskip(NEXT) | instid1(VALU_DEP_1)
	v_min_u32_e32 v70, 32, v32
	v_subrev_nc_u32_e32 v32, 28, v70
	v_sub_nc_u32_e32 v70, 29, v70
	s_delay_alu instid0(VALU_DEP_2) | instskip(NEXT) | instid1(VALU_DEP_1)
	v_lshlrev_b64 v[32:33], v32, v[18:19]
	v_and_b32_e32 v32, 7, v32
; %bb.793:                              ;   in Loop: Header=BB460_8 Depth=1
	s_or_b32 exec_lo, exec_lo, s20
	v_lshlrev_b32_e32 v18, 16, v30
	s_delay_alu instid0(VALU_DEP_2) | instskip(SKIP_1) | instid1(VALU_DEP_3)
	v_lshlrev_b32_e32 v32, 20, v32
	v_lshl_add_u32 v33, v70, 23, 0x3c000000
	v_and_b32_e32 v18, 0x80000000, v18
	s_delay_alu instid0(VALU_DEP_1)
	v_or3_b32 v18, v32, v18, v33
.LBB460_794:                            ;   in Loop: Header=BB460_8 Depth=1
	s_or_b32 exec_lo, exec_lo, s19
.LBB460_795:                            ;   in Loop: Header=BB460_8 Depth=1
	s_delay_alu instid0(SALU_CYCLE_1)
	s_or_b32 exec_lo, exec_lo, s18
.LBB460_796:                            ;   in Loop: Header=BB460_8 Depth=1
	s_delay_alu instid0(SALU_CYCLE_1) | instskip(NEXT) | instid1(VALU_DEP_1)
	s_or_b32 exec_lo, exec_lo, s2
	v_mul_f32_e32 v18, v136, v18
                                        ; implicit-def: $vgpr70
	s_delay_alu instid0(VALU_DEP_1) | instskip(NEXT) | instid1(VALU_DEP_1)
	v_and_b32_e32 v32, 0x7f800000, v18
	v_cmp_ne_u32_e64 s1, 0x7f800000, v32
	s_delay_alu instid0(VALU_DEP_1) | instskip(NEXT) | instid1(SALU_CYCLE_1)
	s_and_saveexec_b32 s2, s1
	s_xor_b32 s1, exec_lo, s2
; %bb.797:                              ;   in Loop: Header=BB460_8 Depth=1
	v_bfe_u32 v32, v18, 16, 1
	s_delay_alu instid0(VALU_DEP_1)
	v_add3_u32 v70, v18, v32, 0x7fff
                                        ; implicit-def: $vgpr18
; %bb.798:                              ;   in Loop: Header=BB460_8 Depth=1
	s_and_not1_saveexec_b32 s2, s1
; %bb.799:                              ;   in Loop: Header=BB460_8 Depth=1
	v_and_b32_e32 v32, 0xffff, v18
	v_or_b32_e32 v33, 0x10000, v18
	s_delay_alu instid0(VALU_DEP_2) | instskip(NEXT) | instid1(VALU_DEP_1)
	v_cmp_eq_u32_e64 s1, 0, v32
	v_cndmask_b32_e64 v70, v33, v18, s1
; %bb.800:                              ;   in Loop: Header=BB460_8 Depth=1
	s_or_b32 exec_lo, exec_lo, s2
	v_lshrrev_b32_e32 v71, 16, v30
	v_mov_b32_e32 v18, 0
	s_mov_b32 s2, exec_lo
	s_delay_alu instid0(VALU_DEP_2) | instskip(NEXT) | instid1(VALU_DEP_1)
	v_and_b32_e32 v32, 0xff, v71
	v_cmpx_ne_u16_e32 0, v32
	s_cbranch_execz .LBB460_808
; %bb.801:                              ;   in Loop: Header=BB460_8 Depth=1
	v_bfrev_b32_e32 v18, 1
	s_mov_b32 s18, exec_lo
	v_cmpx_ne_u16_e32 0x80, v32
	s_cbranch_execz .LBB460_807
; %bb.802:                              ;   in Loop: Header=BB460_8 Depth=1
	v_bfe_u32 v32, v30, 16, 7
	v_mov_b32_e32 v18, 0x7f800001
	s_mov_b32 s19, exec_lo
	s_delay_alu instid0(VALU_DEP_2)
	v_cmpx_ne_u32_e32 0x7f, v32
	s_cbranch_execz .LBB460_806
; %bb.803:                              ;   in Loop: Header=BB460_8 Depth=1
	v_and_b32_e32 v18, 7, v71
	v_lshrrev_b32_e32 v80, 3, v32
	v_cmp_gt_u32_e64 s1, 8, v32
	s_delay_alu instid0(VALU_DEP_3) | instskip(NEXT) | instid1(VALU_DEP_2)
	v_dual_mov_b32 v33, v19 :: v_dual_mov_b32 v32, v18
	s_and_saveexec_b32 s20, s1
; %bb.804:                              ;   in Loop: Header=BB460_8 Depth=1
	v_clz_i32_u32_e32 v32, v18
	s_delay_alu instid0(VALU_DEP_1) | instskip(NEXT) | instid1(VALU_DEP_1)
	v_min_u32_e32 v80, 32, v32
	v_subrev_nc_u32_e32 v32, 28, v80
	v_sub_nc_u32_e32 v80, 29, v80
	s_delay_alu instid0(VALU_DEP_2) | instskip(NEXT) | instid1(VALU_DEP_1)
	v_lshlrev_b64 v[32:33], v32, v[18:19]
	v_and_b32_e32 v32, 7, v32
; %bb.805:                              ;   in Loop: Header=BB460_8 Depth=1
	s_or_b32 exec_lo, exec_lo, s20
	v_lshlrev_b32_e32 v18, 24, v71
	s_delay_alu instid0(VALU_DEP_2) | instskip(SKIP_1) | instid1(VALU_DEP_3)
	v_lshlrev_b32_e32 v32, 20, v32
	v_lshl_add_u32 v33, v80, 23, 0x3c000000
	v_and_b32_e32 v18, 0x80000000, v18
	s_delay_alu instid0(VALU_DEP_1)
	v_or3_b32 v18, v32, v18, v33
.LBB460_806:                            ;   in Loop: Header=BB460_8 Depth=1
	s_or_b32 exec_lo, exec_lo, s19
.LBB460_807:                            ;   in Loop: Header=BB460_8 Depth=1
	s_delay_alu instid0(SALU_CYCLE_1)
	s_or_b32 exec_lo, exec_lo, s18
.LBB460_808:                            ;   in Loop: Header=BB460_8 Depth=1
	s_delay_alu instid0(SALU_CYCLE_1) | instskip(NEXT) | instid1(VALU_DEP_1)
	s_or_b32 exec_lo, exec_lo, s2
	v_mul_f32_e32 v18, v136, v18
                                        ; implicit-def: $vgpr71
	s_delay_alu instid0(VALU_DEP_1) | instskip(NEXT) | instid1(VALU_DEP_1)
	v_and_b32_e32 v32, 0x7f800000, v18
	v_cmp_ne_u32_e64 s1, 0x7f800000, v32
	s_delay_alu instid0(VALU_DEP_1) | instskip(NEXT) | instid1(SALU_CYCLE_1)
	s_and_saveexec_b32 s2, s1
	s_xor_b32 s1, exec_lo, s2
; %bb.809:                              ;   in Loop: Header=BB460_8 Depth=1
	v_bfe_u32 v32, v18, 16, 1
	s_delay_alu instid0(VALU_DEP_1)
	v_add3_u32 v71, v18, v32, 0x7fff
                                        ; implicit-def: $vgpr18
; %bb.810:                              ;   in Loop: Header=BB460_8 Depth=1
	s_and_not1_saveexec_b32 s2, s1
; %bb.811:                              ;   in Loop: Header=BB460_8 Depth=1
	v_and_b32_e32 v32, 0xffff, v18
	v_or_b32_e32 v33, 0x10000, v18
	s_delay_alu instid0(VALU_DEP_2) | instskip(NEXT) | instid1(VALU_DEP_1)
	v_cmp_eq_u32_e64 s1, 0, v32
	v_cndmask_b32_e64 v71, v33, v18, s1
; %bb.812:                              ;   in Loop: Header=BB460_8 Depth=1
	s_or_b32 exec_lo, exec_lo, s2
	v_mov_b32_e32 v18, 0
	s_mov_b32 s2, exec_lo
	v_cmpx_lt_u32_e32 0xffffff, v30
	s_cbranch_execz .LBB460_820
; %bb.813:                              ;   in Loop: Header=BB460_8 Depth=1
	v_lshrrev_b32_e32 v80, 24, v30
	v_bfrev_b32_e32 v18, 1
	s_mov_b32 s18, exec_lo
	s_delay_alu instid0(VALU_DEP_2)
	v_cmpx_ne_u32_e32 0x80, v80
	s_cbranch_execz .LBB460_819
; %bb.814:                              ;   in Loop: Header=BB460_8 Depth=1
	v_bfe_u32 v32, v30, 24, 7
	v_mov_b32_e32 v18, 0x7f800001
	s_mov_b32 s19, exec_lo
	s_delay_alu instid0(VALU_DEP_2)
	v_cmpx_ne_u32_e32 0x7f, v32
	s_cbranch_execz .LBB460_818
; %bb.815:                              ;   in Loop: Header=BB460_8 Depth=1
	v_and_b32_e32 v18, 7, v80
	v_lshrrev_b32_e32 v81, 3, v32
	v_cmp_gt_u32_e64 s1, 8, v32
	s_delay_alu instid0(VALU_DEP_3) | instskip(NEXT) | instid1(VALU_DEP_2)
	v_dual_mov_b32 v33, v19 :: v_dual_mov_b32 v32, v18
	s_and_saveexec_b32 s20, s1
; %bb.816:                              ;   in Loop: Header=BB460_8 Depth=1
	v_clz_i32_u32_e32 v32, v18
	s_delay_alu instid0(VALU_DEP_1) | instskip(NEXT) | instid1(VALU_DEP_1)
	v_min_u32_e32 v81, 32, v32
	v_subrev_nc_u32_e32 v32, 28, v81
	v_sub_nc_u32_e32 v81, 29, v81
	s_delay_alu instid0(VALU_DEP_2) | instskip(NEXT) | instid1(VALU_DEP_1)
	v_lshlrev_b64 v[32:33], v32, v[18:19]
	v_and_b32_e32 v32, 7, v32
; %bb.817:                              ;   in Loop: Header=BB460_8 Depth=1
	s_or_b32 exec_lo, exec_lo, s20
	v_lshlrev_b32_e32 v18, 24, v80
	s_delay_alu instid0(VALU_DEP_2) | instskip(SKIP_1) | instid1(VALU_DEP_3)
	v_lshlrev_b32_e32 v32, 20, v32
	v_lshl_add_u32 v33, v81, 23, 0x3c000000
	v_and_b32_e32 v18, 0x80000000, v18
	s_delay_alu instid0(VALU_DEP_1)
	v_or3_b32 v18, v32, v18, v33
.LBB460_818:                            ;   in Loop: Header=BB460_8 Depth=1
	s_or_b32 exec_lo, exec_lo, s19
.LBB460_819:                            ;   in Loop: Header=BB460_8 Depth=1
	s_delay_alu instid0(SALU_CYCLE_1)
	s_or_b32 exec_lo, exec_lo, s18
.LBB460_820:                            ;   in Loop: Header=BB460_8 Depth=1
	s_delay_alu instid0(SALU_CYCLE_1) | instskip(NEXT) | instid1(VALU_DEP_1)
	s_or_b32 exec_lo, exec_lo, s2
	v_mul_f32_e32 v18, v136, v18
                                        ; implicit-def: $vgpr80
	s_delay_alu instid0(VALU_DEP_1) | instskip(NEXT) | instid1(VALU_DEP_1)
	v_and_b32_e32 v32, 0x7f800000, v18
	v_cmp_ne_u32_e64 s1, 0x7f800000, v32
	s_delay_alu instid0(VALU_DEP_1) | instskip(NEXT) | instid1(SALU_CYCLE_1)
	s_and_saveexec_b32 s2, s1
	s_xor_b32 s1, exec_lo, s2
; %bb.821:                              ;   in Loop: Header=BB460_8 Depth=1
	v_bfe_u32 v32, v18, 16, 1
	s_delay_alu instid0(VALU_DEP_1)
	v_add3_u32 v80, v18, v32, 0x7fff
                                        ; implicit-def: $vgpr18
; %bb.822:                              ;   in Loop: Header=BB460_8 Depth=1
	s_and_not1_saveexec_b32 s2, s1
; %bb.823:                              ;   in Loop: Header=BB460_8 Depth=1
	v_and_b32_e32 v32, 0xffff, v18
	v_or_b32_e32 v33, 0x10000, v18
	s_delay_alu instid0(VALU_DEP_2) | instskip(NEXT) | instid1(VALU_DEP_1)
	v_cmp_eq_u32_e64 s1, 0, v32
	v_cndmask_b32_e64 v80, v33, v18, s1
; %bb.824:                              ;   in Loop: Header=BB460_8 Depth=1
	s_or_b32 exec_lo, exec_lo, s2
	v_dual_mov_b32 v18, v31 :: v_dual_and_b32 v33, 0xff, v31
	v_mov_b32_e32 v32, 0
	s_mov_b32 s2, exec_lo
	s_delay_alu instid0(VALU_DEP_2)
	v_cmpx_ne_u16_e32 0, v33
	s_cbranch_execz .LBB460_832
; %bb.825:                              ;   in Loop: Header=BB460_8 Depth=1
	v_bfrev_b32_e32 v32, 1
	s_mov_b32 s18, exec_lo
	v_cmpx_ne_u16_e32 0x80, v33
	s_cbranch_execz .LBB460_831
; %bb.826:                              ;   in Loop: Header=BB460_8 Depth=1
	v_and_b32_e32 v33, 0x7f, v31
	v_mov_b32_e32 v32, 0x7f800001
	s_mov_b32 s19, exec_lo
	s_delay_alu instid0(VALU_DEP_2)
	v_cmpx_ne_u32_e32 0x7f, v33
	s_cbranch_execz .LBB460_830
; %bb.827:                              ;   in Loop: Header=BB460_8 Depth=1
	v_lshrrev_b32_e32 v81, 3, v33
	v_cmp_gt_u32_e64 s1, 8, v33
	v_dual_mov_b32 v33, v19 :: v_dual_mov_b32 v32, v18
	s_delay_alu instid0(VALU_DEP_2)
	s_and_saveexec_b32 s20, s1
; %bb.828:                              ;   in Loop: Header=BB460_8 Depth=1
	v_and_b32_e32 v32, 7, v31
	s_delay_alu instid0(VALU_DEP_1) | instskip(NEXT) | instid1(VALU_DEP_1)
	v_clz_i32_u32_e32 v32, v32
	v_min_u32_e32 v81, 32, v32
	s_delay_alu instid0(VALU_DEP_1) | instskip(SKIP_1) | instid1(VALU_DEP_2)
	v_subrev_nc_u32_e32 v32, 28, v81
	v_sub_nc_u32_e32 v81, 29, v81
	v_lshlrev_b64 v[32:33], v32, v[18:19]
; %bb.829:                              ;   in Loop: Header=BB460_8 Depth=1
	s_or_b32 exec_lo, exec_lo, s20
	s_delay_alu instid0(VALU_DEP_1) | instskip(SKIP_2) | instid1(VALU_DEP_3)
	v_lshlrev_b32_e32 v32, 20, v32
	v_lshlrev_b32_e32 v33, 24, v18
	v_lshl_add_u32 v81, v81, 23, 0x3c000000
	v_and_b32_e32 v32, 0x700000, v32
	s_delay_alu instid0(VALU_DEP_3) | instskip(NEXT) | instid1(VALU_DEP_1)
	v_and_b32_e32 v33, 0x80000000, v33
	v_or3_b32 v32, v32, v33, v81
.LBB460_830:                            ;   in Loop: Header=BB460_8 Depth=1
	s_or_b32 exec_lo, exec_lo, s19
.LBB460_831:                            ;   in Loop: Header=BB460_8 Depth=1
	s_delay_alu instid0(SALU_CYCLE_1)
	s_or_b32 exec_lo, exec_lo, s18
.LBB460_832:                            ;   in Loop: Header=BB460_8 Depth=1
	s_delay_alu instid0(SALU_CYCLE_1) | instskip(NEXT) | instid1(VALU_DEP_1)
	s_or_b32 exec_lo, exec_lo, s2
	v_mul_f32_e32 v32, v136, v32
                                        ; implicit-def: $vgpr81
	s_delay_alu instid0(VALU_DEP_1) | instskip(NEXT) | instid1(VALU_DEP_1)
	v_and_b32_e32 v33, 0x7f800000, v32
	v_cmp_ne_u32_e64 s1, 0x7f800000, v33
	s_delay_alu instid0(VALU_DEP_1) | instskip(NEXT) | instid1(SALU_CYCLE_1)
	s_and_saveexec_b32 s2, s1
	s_xor_b32 s1, exec_lo, s2
; %bb.833:                              ;   in Loop: Header=BB460_8 Depth=1
	v_bfe_u32 v33, v32, 16, 1
	s_delay_alu instid0(VALU_DEP_1)
	v_add3_u32 v81, v32, v33, 0x7fff
                                        ; implicit-def: $vgpr32
; %bb.834:                              ;   in Loop: Header=BB460_8 Depth=1
	s_and_not1_saveexec_b32 s2, s1
; %bb.835:                              ;   in Loop: Header=BB460_8 Depth=1
	v_and_b32_e32 v33, 0xffff, v32
	v_or_b32_e32 v81, 0x10000, v32
	s_delay_alu instid0(VALU_DEP_2) | instskip(NEXT) | instid1(VALU_DEP_1)
	v_cmp_eq_u32_e64 s1, 0, v33
	v_cndmask_b32_e64 v81, v81, v32, s1
; %bb.836:                              ;   in Loop: Header=BB460_8 Depth=1
	s_or_b32 exec_lo, exec_lo, s2
	v_lshrrev_b16 v33, 8, v18
	v_mov_b32_e32 v32, 0
	s_mov_b32 s2, exec_lo
	s_delay_alu instid0(VALU_DEP_2)
	v_cmpx_ne_u16_e32 0, v33
	s_cbranch_execz .LBB460_844
; %bb.837:                              ;   in Loop: Header=BB460_8 Depth=1
	v_bfrev_b32_e32 v32, 1
	s_mov_b32 s18, exec_lo
	v_cmpx_ne_u16_e32 0x80, v33
	s_cbranch_execz .LBB460_843
; %bb.838:                              ;   in Loop: Header=BB460_8 Depth=1
	v_and_b32_e32 v33, 0xffff, v33
	v_mov_b32_e32 v32, 0x7f800001
	s_mov_b32 s19, exec_lo
	s_delay_alu instid0(VALU_DEP_2) | instskip(NEXT) | instid1(VALU_DEP_1)
	v_and_b32_e32 v83, 0x7f, v33
	v_cmpx_ne_u32_e32 0x7f, v83
	s_cbranch_execz .LBB460_842
; %bb.839:                              ;   in Loop: Header=BB460_8 Depth=1
	v_dual_mov_b32 v33, v19 :: v_dual_and_b32 v32, 7, v33
	v_lshrrev_b32_e32 v82, 3, v83
	s_mov_b32 s20, exec_lo
	v_cmpx_gt_u32_e32 8, v83
; %bb.840:                              ;   in Loop: Header=BB460_8 Depth=1
	s_delay_alu instid0(VALU_DEP_3) | instskip(NEXT) | instid1(VALU_DEP_1)
	v_clz_i32_u32_e32 v82, v32
	v_min_u32_e32 v82, 32, v82
	s_delay_alu instid0(VALU_DEP_1) | instskip(SKIP_1) | instid1(VALU_DEP_2)
	v_subrev_nc_u32_e32 v83, 28, v82
	v_sub_nc_u32_e32 v82, 29, v82
	v_lshlrev_b64 v[32:33], v83, v[32:33]
	s_delay_alu instid0(VALU_DEP_1)
	v_and_b32_e32 v32, 7, v32
; %bb.841:                              ;   in Loop: Header=BB460_8 Depth=1
	s_or_b32 exec_lo, exec_lo, s20
	v_lshlrev_b32_e32 v18, 16, v18
	s_delay_alu instid0(VALU_DEP_2) | instskip(SKIP_1) | instid1(VALU_DEP_3)
	v_lshlrev_b32_e32 v32, 20, v32
	v_lshl_add_u32 v33, v82, 23, 0x3c000000
	v_and_b32_e32 v18, 0x80000000, v18
	s_delay_alu instid0(VALU_DEP_1)
	v_or3_b32 v32, v32, v18, v33
.LBB460_842:                            ;   in Loop: Header=BB460_8 Depth=1
	s_or_b32 exec_lo, exec_lo, s19
.LBB460_843:                            ;   in Loop: Header=BB460_8 Depth=1
	s_delay_alu instid0(SALU_CYCLE_1)
	s_or_b32 exec_lo, exec_lo, s18
.LBB460_844:                            ;   in Loop: Header=BB460_8 Depth=1
	s_delay_alu instid0(SALU_CYCLE_1) | instskip(NEXT) | instid1(VALU_DEP_1)
	s_or_b32 exec_lo, exec_lo, s2
	v_mul_f32_e32 v18, v136, v32
                                        ; implicit-def: $vgpr82
	s_delay_alu instid0(VALU_DEP_1) | instskip(NEXT) | instid1(VALU_DEP_1)
	v_and_b32_e32 v32, 0x7f800000, v18
	v_cmp_ne_u32_e64 s1, 0x7f800000, v32
	s_delay_alu instid0(VALU_DEP_1) | instskip(NEXT) | instid1(SALU_CYCLE_1)
	s_and_saveexec_b32 s2, s1
	s_xor_b32 s1, exec_lo, s2
; %bb.845:                              ;   in Loop: Header=BB460_8 Depth=1
	v_bfe_u32 v32, v18, 16, 1
	s_delay_alu instid0(VALU_DEP_1)
	v_add3_u32 v82, v18, v32, 0x7fff
                                        ; implicit-def: $vgpr18
; %bb.846:                              ;   in Loop: Header=BB460_8 Depth=1
	s_and_not1_saveexec_b32 s2, s1
; %bb.847:                              ;   in Loop: Header=BB460_8 Depth=1
	v_and_b32_e32 v32, 0xffff, v18
	v_or_b32_e32 v33, 0x10000, v18
	s_delay_alu instid0(VALU_DEP_2) | instskip(NEXT) | instid1(VALU_DEP_1)
	v_cmp_eq_u32_e64 s1, 0, v32
	v_cndmask_b32_e64 v82, v33, v18, s1
; %bb.848:                              ;   in Loop: Header=BB460_8 Depth=1
	s_or_b32 exec_lo, exec_lo, s2
	v_lshrrev_b32_e32 v83, 16, v31
	v_mov_b32_e32 v18, 0
	s_mov_b32 s2, exec_lo
	s_delay_alu instid0(VALU_DEP_2) | instskip(NEXT) | instid1(VALU_DEP_1)
	v_and_b32_e32 v32, 0xff, v83
	v_cmpx_ne_u16_e32 0, v32
	s_cbranch_execz .LBB460_856
; %bb.849:                              ;   in Loop: Header=BB460_8 Depth=1
	v_bfrev_b32_e32 v18, 1
	s_mov_b32 s18, exec_lo
	v_cmpx_ne_u16_e32 0x80, v32
	s_cbranch_execz .LBB460_855
; %bb.850:                              ;   in Loop: Header=BB460_8 Depth=1
	v_bfe_u32 v32, v31, 16, 7
	v_mov_b32_e32 v18, 0x7f800001
	s_mov_b32 s19, exec_lo
	s_delay_alu instid0(VALU_DEP_2)
	v_cmpx_ne_u32_e32 0x7f, v32
	s_cbranch_execz .LBB460_854
; %bb.851:                              ;   in Loop: Header=BB460_8 Depth=1
	v_and_b32_e32 v18, 7, v83
	v_lshrrev_b32_e32 v84, 3, v32
	v_cmp_gt_u32_e64 s1, 8, v32
	s_delay_alu instid0(VALU_DEP_3) | instskip(NEXT) | instid1(VALU_DEP_2)
	v_dual_mov_b32 v33, v19 :: v_dual_mov_b32 v32, v18
	s_and_saveexec_b32 s20, s1
; %bb.852:                              ;   in Loop: Header=BB460_8 Depth=1
	v_clz_i32_u32_e32 v32, v18
	s_delay_alu instid0(VALU_DEP_1) | instskip(NEXT) | instid1(VALU_DEP_1)
	v_min_u32_e32 v84, 32, v32
	v_subrev_nc_u32_e32 v32, 28, v84
	v_sub_nc_u32_e32 v84, 29, v84
	s_delay_alu instid0(VALU_DEP_2) | instskip(NEXT) | instid1(VALU_DEP_1)
	v_lshlrev_b64 v[32:33], v32, v[18:19]
	v_and_b32_e32 v32, 7, v32
; %bb.853:                              ;   in Loop: Header=BB460_8 Depth=1
	s_or_b32 exec_lo, exec_lo, s20
	v_lshlrev_b32_e32 v18, 24, v83
	s_delay_alu instid0(VALU_DEP_2) | instskip(SKIP_1) | instid1(VALU_DEP_3)
	v_lshlrev_b32_e32 v32, 20, v32
	v_lshl_add_u32 v33, v84, 23, 0x3c000000
	v_and_b32_e32 v18, 0x80000000, v18
	s_delay_alu instid0(VALU_DEP_1)
	v_or3_b32 v18, v32, v18, v33
.LBB460_854:                            ;   in Loop: Header=BB460_8 Depth=1
	s_or_b32 exec_lo, exec_lo, s19
.LBB460_855:                            ;   in Loop: Header=BB460_8 Depth=1
	s_delay_alu instid0(SALU_CYCLE_1)
	s_or_b32 exec_lo, exec_lo, s18
.LBB460_856:                            ;   in Loop: Header=BB460_8 Depth=1
	s_delay_alu instid0(SALU_CYCLE_1) | instskip(NEXT) | instid1(VALU_DEP_1)
	s_or_b32 exec_lo, exec_lo, s2
	v_mul_f32_e32 v18, v136, v18
                                        ; implicit-def: $vgpr83
	s_delay_alu instid0(VALU_DEP_1) | instskip(NEXT) | instid1(VALU_DEP_1)
	v_and_b32_e32 v32, 0x7f800000, v18
	v_cmp_ne_u32_e64 s1, 0x7f800000, v32
	s_delay_alu instid0(VALU_DEP_1) | instskip(NEXT) | instid1(SALU_CYCLE_1)
	s_and_saveexec_b32 s2, s1
	s_xor_b32 s1, exec_lo, s2
; %bb.857:                              ;   in Loop: Header=BB460_8 Depth=1
	v_bfe_u32 v32, v18, 16, 1
	s_delay_alu instid0(VALU_DEP_1)
	v_add3_u32 v83, v18, v32, 0x7fff
                                        ; implicit-def: $vgpr18
; %bb.858:                              ;   in Loop: Header=BB460_8 Depth=1
	s_and_not1_saveexec_b32 s2, s1
; %bb.859:                              ;   in Loop: Header=BB460_8 Depth=1
	v_and_b32_e32 v32, 0xffff, v18
	v_or_b32_e32 v33, 0x10000, v18
	s_delay_alu instid0(VALU_DEP_2) | instskip(NEXT) | instid1(VALU_DEP_1)
	v_cmp_eq_u32_e64 s1, 0, v32
	v_cndmask_b32_e64 v83, v33, v18, s1
; %bb.860:                              ;   in Loop: Header=BB460_8 Depth=1
	s_or_b32 exec_lo, exec_lo, s2
	v_mov_b32_e32 v18, 0
	s_mov_b32 s2, exec_lo
	v_cmpx_lt_u64_e64 s[8:9], v[30:31]
	s_cbranch_execz .LBB460_868
; %bb.861:                              ;   in Loop: Header=BB460_8 Depth=1
	v_lshrrev_b32_e32 v32, 24, v31
	v_bfrev_b32_e32 v18, 1
	s_mov_b32 s18, exec_lo
	s_delay_alu instid0(VALU_DEP_2)
	v_cmpx_ne_u32_e32 0x80, v32
	s_cbranch_execz .LBB460_867
; %bb.862:                              ;   in Loop: Header=BB460_8 Depth=1
	v_bfe_u32 v30, v31, 24, 7
	v_mov_b32_e32 v18, 0x7f800001
	s_mov_b32 s19, exec_lo
	s_delay_alu instid0(VALU_DEP_2)
	v_cmpx_ne_u32_e32 0x7f, v30
	s_cbranch_execz .LBB460_866
; %bb.863:                              ;   in Loop: Header=BB460_8 Depth=1
	v_and_b32_e32 v18, 7, v32
	v_lshrrev_b32_e32 v33, 3, v30
	v_cmp_gt_u32_e64 s1, 8, v30
	s_delay_alu instid0(VALU_DEP_3) | instskip(NEXT) | instid1(VALU_DEP_2)
	v_dual_mov_b32 v31, v19 :: v_dual_mov_b32 v30, v18
	s_and_saveexec_b32 s20, s1
; %bb.864:                              ;   in Loop: Header=BB460_8 Depth=1
	v_clz_i32_u32_e32 v30, v18
	s_delay_alu instid0(VALU_DEP_1) | instskip(NEXT) | instid1(VALU_DEP_1)
	v_min_u32_e32 v33, 32, v30
	v_subrev_nc_u32_e32 v30, 28, v33
	v_sub_nc_u32_e32 v33, 29, v33
	s_delay_alu instid0(VALU_DEP_2) | instskip(NEXT) | instid1(VALU_DEP_1)
	v_lshlrev_b64 v[30:31], v30, v[18:19]
	v_and_b32_e32 v30, 7, v30
; %bb.865:                              ;   in Loop: Header=BB460_8 Depth=1
	s_or_b32 exec_lo, exec_lo, s20
	v_lshlrev_b32_e32 v18, 24, v32
	s_delay_alu instid0(VALU_DEP_2) | instskip(SKIP_1) | instid1(VALU_DEP_3)
	v_lshlrev_b32_e32 v30, 20, v30
	v_lshl_add_u32 v31, v33, 23, 0x3c000000
	v_and_b32_e32 v18, 0x80000000, v18
	s_delay_alu instid0(VALU_DEP_1)
	v_or3_b32 v18, v30, v18, v31
.LBB460_866:                            ;   in Loop: Header=BB460_8 Depth=1
	s_or_b32 exec_lo, exec_lo, s19
.LBB460_867:                            ;   in Loop: Header=BB460_8 Depth=1
	s_delay_alu instid0(SALU_CYCLE_1)
	s_or_b32 exec_lo, exec_lo, s18
.LBB460_868:                            ;   in Loop: Header=BB460_8 Depth=1
	s_delay_alu instid0(SALU_CYCLE_1) | instskip(NEXT) | instid1(VALU_DEP_1)
	s_or_b32 exec_lo, exec_lo, s2
	v_mul_f32_e32 v18, v136, v18
                                        ; implicit-def: $vgpr84
	s_delay_alu instid0(VALU_DEP_1) | instskip(NEXT) | instid1(VALU_DEP_1)
	v_and_b32_e32 v30, 0x7f800000, v18
	v_cmp_ne_u32_e64 s1, 0x7f800000, v30
	s_delay_alu instid0(VALU_DEP_1) | instskip(NEXT) | instid1(SALU_CYCLE_1)
	s_and_saveexec_b32 s2, s1
	s_xor_b32 s1, exec_lo, s2
; %bb.869:                              ;   in Loop: Header=BB460_8 Depth=1
	v_bfe_u32 v30, v18, 16, 1
	s_delay_alu instid0(VALU_DEP_1)
	v_add3_u32 v84, v18, v30, 0x7fff
                                        ; implicit-def: $vgpr18
; %bb.870:                              ;   in Loop: Header=BB460_8 Depth=1
	s_and_not1_saveexec_b32 s2, s1
; %bb.871:                              ;   in Loop: Header=BB460_8 Depth=1
	v_and_b32_e32 v30, 0xffff, v18
	v_or_b32_e32 v31, 0x10000, v18
	s_delay_alu instid0(VALU_DEP_2) | instskip(NEXT) | instid1(VALU_DEP_1)
	v_cmp_eq_u32_e64 s1, 0, v30
	v_cndmask_b32_e64 v84, v31, v18, s1
; %bb.872:                              ;   in Loop: Header=BB460_8 Depth=1
	s_or_b32 exec_lo, exec_lo, s2
	flat_load_b64 v[30:31], v[28:29] offset:2056
	v_mov_b32_e32 v18, 0
	s_mov_b32 s2, exec_lo
	s_waitcnt vmcnt(0) lgkmcnt(0)
	v_and_b32_e32 v32, 0xff, v30
	s_delay_alu instid0(VALU_DEP_1)
	v_cmpx_ne_u16_e32 0, v32
	s_cbranch_execz .LBB460_880
; %bb.873:                              ;   in Loop: Header=BB460_8 Depth=1
	v_bfrev_b32_e32 v18, 1
	s_mov_b32 s18, exec_lo
	v_cmpx_ne_u16_e32 0x80, v32
	s_cbranch_execz .LBB460_879
; %bb.874:                              ;   in Loop: Header=BB460_8 Depth=1
	v_and_b32_e32 v32, 0x7f, v30
	v_mov_b32_e32 v18, 0x7f800001
	s_mov_b32 s19, exec_lo
	s_delay_alu instid0(VALU_DEP_2)
	v_cmpx_ne_u32_e32 0x7f, v32
	s_cbranch_execz .LBB460_878
; %bb.875:                              ;   in Loop: Header=BB460_8 Depth=1
	v_lshrrev_b32_e32 v18, 3, v32
	v_cmp_gt_u32_e64 s1, 8, v32
	v_dual_mov_b32 v33, v31 :: v_dual_mov_b32 v32, v30
	s_delay_alu instid0(VALU_DEP_2)
	s_and_saveexec_b32 s20, s1
; %bb.876:                              ;   in Loop: Header=BB460_8 Depth=1
	v_and_b32_e32 v18, 7, v30
	s_delay_alu instid0(VALU_DEP_1) | instskip(NEXT) | instid1(VALU_DEP_1)
	v_clz_i32_u32_e32 v18, v18
	v_min_u32_e32 v18, 32, v18
	s_delay_alu instid0(VALU_DEP_1) | instskip(SKIP_1) | instid1(VALU_DEP_2)
	v_subrev_nc_u32_e32 v32, 28, v18
	v_sub_nc_u32_e32 v18, 29, v18
	v_lshlrev_b64 v[32:33], v32, v[30:31]
; %bb.877:                              ;   in Loop: Header=BB460_8 Depth=1
	s_or_b32 exec_lo, exec_lo, s20
	s_delay_alu instid0(VALU_DEP_1) | instskip(SKIP_2) | instid1(VALU_DEP_3)
	v_lshlrev_b32_e32 v32, 20, v32
	v_lshlrev_b32_e32 v33, 24, v30
	v_lshl_add_u32 v18, v18, 23, 0x3c000000
	v_and_b32_e32 v32, 0x700000, v32
	s_delay_alu instid0(VALU_DEP_3) | instskip(NEXT) | instid1(VALU_DEP_1)
	v_and_b32_e32 v33, 0x80000000, v33
	v_or3_b32 v18, v32, v33, v18
.LBB460_878:                            ;   in Loop: Header=BB460_8 Depth=1
	s_or_b32 exec_lo, exec_lo, s19
.LBB460_879:                            ;   in Loop: Header=BB460_8 Depth=1
	s_delay_alu instid0(SALU_CYCLE_1)
	s_or_b32 exec_lo, exec_lo, s18
.LBB460_880:                            ;   in Loop: Header=BB460_8 Depth=1
	s_delay_alu instid0(SALU_CYCLE_1) | instskip(NEXT) | instid1(VALU_DEP_1)
	s_or_b32 exec_lo, exec_lo, s2
	v_mul_f32_e32 v18, v136, v18
                                        ; implicit-def: $vgpr85
	s_delay_alu instid0(VALU_DEP_1) | instskip(NEXT) | instid1(VALU_DEP_1)
	v_and_b32_e32 v32, 0x7f800000, v18
	v_cmp_ne_u32_e64 s1, 0x7f800000, v32
	s_delay_alu instid0(VALU_DEP_1) | instskip(NEXT) | instid1(SALU_CYCLE_1)
	s_and_saveexec_b32 s2, s1
	s_xor_b32 s1, exec_lo, s2
; %bb.881:                              ;   in Loop: Header=BB460_8 Depth=1
	v_bfe_u32 v32, v18, 16, 1
	s_delay_alu instid0(VALU_DEP_1)
	v_add3_u32 v85, v18, v32, 0x7fff
                                        ; implicit-def: $vgpr18
; %bb.882:                              ;   in Loop: Header=BB460_8 Depth=1
	s_and_not1_saveexec_b32 s2, s1
; %bb.883:                              ;   in Loop: Header=BB460_8 Depth=1
	v_and_b32_e32 v32, 0xffff, v18
	v_or_b32_e32 v33, 0x10000, v18
	s_delay_alu instid0(VALU_DEP_2) | instskip(NEXT) | instid1(VALU_DEP_1)
	v_cmp_eq_u32_e64 s1, 0, v32
	v_cndmask_b32_e64 v85, v33, v18, s1
; %bb.884:                              ;   in Loop: Header=BB460_8 Depth=1
	s_or_b32 exec_lo, exec_lo, s2
	v_lshrrev_b16 v32, 8, v30
	v_mov_b32_e32 v18, 0
	s_mov_b32 s2, exec_lo
	s_delay_alu instid0(VALU_DEP_2)
	v_cmpx_ne_u16_e32 0, v32
	s_cbranch_execz .LBB460_892
; %bb.885:                              ;   in Loop: Header=BB460_8 Depth=1
	v_bfrev_b32_e32 v18, 1
	s_mov_b32 s18, exec_lo
	v_cmpx_ne_u16_e32 0x80, v32
	s_cbranch_execz .LBB460_891
; %bb.886:                              ;   in Loop: Header=BB460_8 Depth=1
	v_and_b32_e32 v33, 0xffff, v32
	v_mov_b32_e32 v18, 0x7f800001
	s_mov_b32 s19, exec_lo
	s_delay_alu instid0(VALU_DEP_2) | instskip(NEXT) | instid1(VALU_DEP_1)
	v_and_b32_e32 v32, 0x7f, v33
	v_cmpx_ne_u32_e32 0x7f, v32
	s_cbranch_execz .LBB460_890
; %bb.887:                              ;   in Loop: Header=BB460_8 Depth=1
	v_and_b32_e32 v18, 7, v33
	v_lshrrev_b32_e32 v86, 3, v32
	v_cmp_gt_u32_e64 s1, 8, v32
	s_delay_alu instid0(VALU_DEP_3) | instskip(NEXT) | instid1(VALU_DEP_2)
	v_dual_mov_b32 v33, v19 :: v_dual_mov_b32 v32, v18
	s_and_saveexec_b32 s20, s1
; %bb.888:                              ;   in Loop: Header=BB460_8 Depth=1
	v_clz_i32_u32_e32 v32, v18
	s_delay_alu instid0(VALU_DEP_1) | instskip(NEXT) | instid1(VALU_DEP_1)
	v_min_u32_e32 v86, 32, v32
	v_subrev_nc_u32_e32 v32, 28, v86
	v_sub_nc_u32_e32 v86, 29, v86
	s_delay_alu instid0(VALU_DEP_2) | instskip(NEXT) | instid1(VALU_DEP_1)
	v_lshlrev_b64 v[32:33], v32, v[18:19]
	v_and_b32_e32 v32, 7, v32
; %bb.889:                              ;   in Loop: Header=BB460_8 Depth=1
	s_or_b32 exec_lo, exec_lo, s20
	v_lshlrev_b32_e32 v18, 16, v30
	s_delay_alu instid0(VALU_DEP_2) | instskip(SKIP_1) | instid1(VALU_DEP_3)
	v_lshlrev_b32_e32 v32, 20, v32
	v_lshl_add_u32 v33, v86, 23, 0x3c000000
	v_and_b32_e32 v18, 0x80000000, v18
	s_delay_alu instid0(VALU_DEP_1)
	v_or3_b32 v18, v32, v18, v33
.LBB460_890:                            ;   in Loop: Header=BB460_8 Depth=1
	s_or_b32 exec_lo, exec_lo, s19
.LBB460_891:                            ;   in Loop: Header=BB460_8 Depth=1
	s_delay_alu instid0(SALU_CYCLE_1)
	s_or_b32 exec_lo, exec_lo, s18
.LBB460_892:                            ;   in Loop: Header=BB460_8 Depth=1
	s_delay_alu instid0(SALU_CYCLE_1) | instskip(NEXT) | instid1(VALU_DEP_1)
	s_or_b32 exec_lo, exec_lo, s2
	v_mul_f32_e32 v18, v136, v18
                                        ; implicit-def: $vgpr86
	s_delay_alu instid0(VALU_DEP_1) | instskip(NEXT) | instid1(VALU_DEP_1)
	v_and_b32_e32 v32, 0x7f800000, v18
	v_cmp_ne_u32_e64 s1, 0x7f800000, v32
	s_delay_alu instid0(VALU_DEP_1) | instskip(NEXT) | instid1(SALU_CYCLE_1)
	s_and_saveexec_b32 s2, s1
	s_xor_b32 s1, exec_lo, s2
; %bb.893:                              ;   in Loop: Header=BB460_8 Depth=1
	v_bfe_u32 v32, v18, 16, 1
	s_delay_alu instid0(VALU_DEP_1)
	v_add3_u32 v86, v18, v32, 0x7fff
                                        ; implicit-def: $vgpr18
; %bb.894:                              ;   in Loop: Header=BB460_8 Depth=1
	s_and_not1_saveexec_b32 s2, s1
; %bb.895:                              ;   in Loop: Header=BB460_8 Depth=1
	v_and_b32_e32 v32, 0xffff, v18
	v_or_b32_e32 v33, 0x10000, v18
	s_delay_alu instid0(VALU_DEP_2) | instskip(NEXT) | instid1(VALU_DEP_1)
	v_cmp_eq_u32_e64 s1, 0, v32
	v_cndmask_b32_e64 v86, v33, v18, s1
; %bb.896:                              ;   in Loop: Header=BB460_8 Depth=1
	s_or_b32 exec_lo, exec_lo, s2
	v_lshrrev_b32_e32 v87, 16, v30
	v_mov_b32_e32 v18, 0
	s_mov_b32 s2, exec_lo
	s_delay_alu instid0(VALU_DEP_2) | instskip(NEXT) | instid1(VALU_DEP_1)
	v_and_b32_e32 v32, 0xff, v87
	v_cmpx_ne_u16_e32 0, v32
	s_cbranch_execz .LBB460_904
; %bb.897:                              ;   in Loop: Header=BB460_8 Depth=1
	v_bfrev_b32_e32 v18, 1
	s_mov_b32 s18, exec_lo
	v_cmpx_ne_u16_e32 0x80, v32
	s_cbranch_execz .LBB460_903
; %bb.898:                              ;   in Loop: Header=BB460_8 Depth=1
	v_bfe_u32 v32, v30, 16, 7
	v_mov_b32_e32 v18, 0x7f800001
	s_mov_b32 s19, exec_lo
	s_delay_alu instid0(VALU_DEP_2)
	v_cmpx_ne_u32_e32 0x7f, v32
	s_cbranch_execz .LBB460_902
; %bb.899:                              ;   in Loop: Header=BB460_8 Depth=1
	v_and_b32_e32 v18, 7, v87
	v_lshrrev_b32_e32 v96, 3, v32
	v_cmp_gt_u32_e64 s1, 8, v32
	s_delay_alu instid0(VALU_DEP_3) | instskip(NEXT) | instid1(VALU_DEP_2)
	v_dual_mov_b32 v33, v19 :: v_dual_mov_b32 v32, v18
	s_and_saveexec_b32 s20, s1
; %bb.900:                              ;   in Loop: Header=BB460_8 Depth=1
	v_clz_i32_u32_e32 v32, v18
	s_delay_alu instid0(VALU_DEP_1) | instskip(NEXT) | instid1(VALU_DEP_1)
	v_min_u32_e32 v96, 32, v32
	v_subrev_nc_u32_e32 v32, 28, v96
	v_sub_nc_u32_e32 v96, 29, v96
	s_delay_alu instid0(VALU_DEP_2) | instskip(NEXT) | instid1(VALU_DEP_1)
	v_lshlrev_b64 v[32:33], v32, v[18:19]
	v_and_b32_e32 v32, 7, v32
; %bb.901:                              ;   in Loop: Header=BB460_8 Depth=1
	s_or_b32 exec_lo, exec_lo, s20
	v_lshlrev_b32_e32 v18, 24, v87
	s_delay_alu instid0(VALU_DEP_2) | instskip(SKIP_1) | instid1(VALU_DEP_3)
	v_lshlrev_b32_e32 v32, 20, v32
	v_lshl_add_u32 v33, v96, 23, 0x3c000000
	v_and_b32_e32 v18, 0x80000000, v18
	s_delay_alu instid0(VALU_DEP_1)
	v_or3_b32 v18, v32, v18, v33
.LBB460_902:                            ;   in Loop: Header=BB460_8 Depth=1
	s_or_b32 exec_lo, exec_lo, s19
.LBB460_903:                            ;   in Loop: Header=BB460_8 Depth=1
	s_delay_alu instid0(SALU_CYCLE_1)
	s_or_b32 exec_lo, exec_lo, s18
.LBB460_904:                            ;   in Loop: Header=BB460_8 Depth=1
	s_delay_alu instid0(SALU_CYCLE_1) | instskip(NEXT) | instid1(VALU_DEP_1)
	s_or_b32 exec_lo, exec_lo, s2
	v_mul_f32_e32 v18, v136, v18
                                        ; implicit-def: $vgpr87
	s_delay_alu instid0(VALU_DEP_1) | instskip(NEXT) | instid1(VALU_DEP_1)
	v_and_b32_e32 v32, 0x7f800000, v18
	v_cmp_ne_u32_e64 s1, 0x7f800000, v32
	s_delay_alu instid0(VALU_DEP_1) | instskip(NEXT) | instid1(SALU_CYCLE_1)
	s_and_saveexec_b32 s2, s1
	s_xor_b32 s1, exec_lo, s2
; %bb.905:                              ;   in Loop: Header=BB460_8 Depth=1
	v_bfe_u32 v32, v18, 16, 1
	s_delay_alu instid0(VALU_DEP_1)
	v_add3_u32 v87, v18, v32, 0x7fff
                                        ; implicit-def: $vgpr18
; %bb.906:                              ;   in Loop: Header=BB460_8 Depth=1
	s_and_not1_saveexec_b32 s2, s1
; %bb.907:                              ;   in Loop: Header=BB460_8 Depth=1
	v_and_b32_e32 v32, 0xffff, v18
	v_or_b32_e32 v33, 0x10000, v18
	s_delay_alu instid0(VALU_DEP_2) | instskip(NEXT) | instid1(VALU_DEP_1)
	v_cmp_eq_u32_e64 s1, 0, v32
	v_cndmask_b32_e64 v87, v33, v18, s1
; %bb.908:                              ;   in Loop: Header=BB460_8 Depth=1
	s_or_b32 exec_lo, exec_lo, s2
	v_mov_b32_e32 v18, 0
	s_mov_b32 s2, exec_lo
	v_cmpx_lt_u32_e32 0xffffff, v30
	s_cbranch_execz .LBB460_916
; %bb.909:                              ;   in Loop: Header=BB460_8 Depth=1
	v_lshrrev_b32_e32 v96, 24, v30
	v_bfrev_b32_e32 v18, 1
	s_mov_b32 s18, exec_lo
	s_delay_alu instid0(VALU_DEP_2)
	v_cmpx_ne_u32_e32 0x80, v96
	s_cbranch_execz .LBB460_915
; %bb.910:                              ;   in Loop: Header=BB460_8 Depth=1
	v_bfe_u32 v32, v30, 24, 7
	v_mov_b32_e32 v18, 0x7f800001
	s_mov_b32 s19, exec_lo
	s_delay_alu instid0(VALU_DEP_2)
	v_cmpx_ne_u32_e32 0x7f, v32
	s_cbranch_execz .LBB460_914
; %bb.911:                              ;   in Loop: Header=BB460_8 Depth=1
	v_and_b32_e32 v18, 7, v96
	v_lshrrev_b32_e32 v97, 3, v32
	v_cmp_gt_u32_e64 s1, 8, v32
	s_delay_alu instid0(VALU_DEP_3) | instskip(NEXT) | instid1(VALU_DEP_2)
	v_dual_mov_b32 v33, v19 :: v_dual_mov_b32 v32, v18
	s_and_saveexec_b32 s20, s1
; %bb.912:                              ;   in Loop: Header=BB460_8 Depth=1
	v_clz_i32_u32_e32 v32, v18
	s_delay_alu instid0(VALU_DEP_1) | instskip(NEXT) | instid1(VALU_DEP_1)
	v_min_u32_e32 v97, 32, v32
	v_subrev_nc_u32_e32 v32, 28, v97
	v_sub_nc_u32_e32 v97, 29, v97
	s_delay_alu instid0(VALU_DEP_2) | instskip(NEXT) | instid1(VALU_DEP_1)
	v_lshlrev_b64 v[32:33], v32, v[18:19]
	v_and_b32_e32 v32, 7, v32
; %bb.913:                              ;   in Loop: Header=BB460_8 Depth=1
	s_or_b32 exec_lo, exec_lo, s20
	v_lshlrev_b32_e32 v18, 24, v96
	s_delay_alu instid0(VALU_DEP_2) | instskip(SKIP_1) | instid1(VALU_DEP_3)
	v_lshlrev_b32_e32 v32, 20, v32
	v_lshl_add_u32 v33, v97, 23, 0x3c000000
	v_and_b32_e32 v18, 0x80000000, v18
	s_delay_alu instid0(VALU_DEP_1)
	v_or3_b32 v18, v32, v18, v33
.LBB460_914:                            ;   in Loop: Header=BB460_8 Depth=1
	s_or_b32 exec_lo, exec_lo, s19
.LBB460_915:                            ;   in Loop: Header=BB460_8 Depth=1
	s_delay_alu instid0(SALU_CYCLE_1)
	s_or_b32 exec_lo, exec_lo, s18
.LBB460_916:                            ;   in Loop: Header=BB460_8 Depth=1
	s_delay_alu instid0(SALU_CYCLE_1) | instskip(NEXT) | instid1(VALU_DEP_1)
	s_or_b32 exec_lo, exec_lo, s2
	v_mul_f32_e32 v18, v136, v18
                                        ; implicit-def: $vgpr96
	s_delay_alu instid0(VALU_DEP_1) | instskip(NEXT) | instid1(VALU_DEP_1)
	v_and_b32_e32 v32, 0x7f800000, v18
	v_cmp_ne_u32_e64 s1, 0x7f800000, v32
	s_delay_alu instid0(VALU_DEP_1) | instskip(NEXT) | instid1(SALU_CYCLE_1)
	s_and_saveexec_b32 s2, s1
	s_xor_b32 s1, exec_lo, s2
; %bb.917:                              ;   in Loop: Header=BB460_8 Depth=1
	v_bfe_u32 v32, v18, 16, 1
	s_delay_alu instid0(VALU_DEP_1)
	v_add3_u32 v96, v18, v32, 0x7fff
                                        ; implicit-def: $vgpr18
; %bb.918:                              ;   in Loop: Header=BB460_8 Depth=1
	s_and_not1_saveexec_b32 s2, s1
; %bb.919:                              ;   in Loop: Header=BB460_8 Depth=1
	v_and_b32_e32 v32, 0xffff, v18
	v_or_b32_e32 v33, 0x10000, v18
	s_delay_alu instid0(VALU_DEP_2) | instskip(NEXT) | instid1(VALU_DEP_1)
	v_cmp_eq_u32_e64 s1, 0, v32
	v_cndmask_b32_e64 v96, v33, v18, s1
; %bb.920:                              ;   in Loop: Header=BB460_8 Depth=1
	s_or_b32 exec_lo, exec_lo, s2
	v_dual_mov_b32 v18, v31 :: v_dual_and_b32 v33, 0xff, v31
	v_mov_b32_e32 v32, 0
	s_mov_b32 s2, exec_lo
	s_delay_alu instid0(VALU_DEP_2)
	v_cmpx_ne_u16_e32 0, v33
	s_cbranch_execz .LBB460_928
; %bb.921:                              ;   in Loop: Header=BB460_8 Depth=1
	v_bfrev_b32_e32 v32, 1
	s_mov_b32 s18, exec_lo
	v_cmpx_ne_u16_e32 0x80, v33
	s_cbranch_execz .LBB460_927
; %bb.922:                              ;   in Loop: Header=BB460_8 Depth=1
	v_and_b32_e32 v33, 0x7f, v31
	v_mov_b32_e32 v32, 0x7f800001
	s_mov_b32 s19, exec_lo
	s_delay_alu instid0(VALU_DEP_2)
	v_cmpx_ne_u32_e32 0x7f, v33
	s_cbranch_execz .LBB460_926
; %bb.923:                              ;   in Loop: Header=BB460_8 Depth=1
	v_lshrrev_b32_e32 v97, 3, v33
	v_cmp_gt_u32_e64 s1, 8, v33
	v_dual_mov_b32 v33, v19 :: v_dual_mov_b32 v32, v18
	s_delay_alu instid0(VALU_DEP_2)
	s_and_saveexec_b32 s20, s1
; %bb.924:                              ;   in Loop: Header=BB460_8 Depth=1
	v_and_b32_e32 v32, 7, v31
	s_delay_alu instid0(VALU_DEP_1) | instskip(NEXT) | instid1(VALU_DEP_1)
	v_clz_i32_u32_e32 v32, v32
	v_min_u32_e32 v97, 32, v32
	s_delay_alu instid0(VALU_DEP_1) | instskip(SKIP_1) | instid1(VALU_DEP_2)
	v_subrev_nc_u32_e32 v32, 28, v97
	v_sub_nc_u32_e32 v97, 29, v97
	v_lshlrev_b64 v[32:33], v32, v[18:19]
; %bb.925:                              ;   in Loop: Header=BB460_8 Depth=1
	s_or_b32 exec_lo, exec_lo, s20
	s_delay_alu instid0(VALU_DEP_1) | instskip(SKIP_2) | instid1(VALU_DEP_3)
	v_lshlrev_b32_e32 v32, 20, v32
	v_lshlrev_b32_e32 v33, 24, v18
	v_lshl_add_u32 v97, v97, 23, 0x3c000000
	v_and_b32_e32 v32, 0x700000, v32
	s_delay_alu instid0(VALU_DEP_3) | instskip(NEXT) | instid1(VALU_DEP_1)
	v_and_b32_e32 v33, 0x80000000, v33
	v_or3_b32 v32, v32, v33, v97
.LBB460_926:                            ;   in Loop: Header=BB460_8 Depth=1
	s_or_b32 exec_lo, exec_lo, s19
.LBB460_927:                            ;   in Loop: Header=BB460_8 Depth=1
	s_delay_alu instid0(SALU_CYCLE_1)
	s_or_b32 exec_lo, exec_lo, s18
.LBB460_928:                            ;   in Loop: Header=BB460_8 Depth=1
	s_delay_alu instid0(SALU_CYCLE_1) | instskip(NEXT) | instid1(VALU_DEP_1)
	s_or_b32 exec_lo, exec_lo, s2
	v_mul_f32_e32 v32, v136, v32
                                        ; implicit-def: $vgpr97
	s_delay_alu instid0(VALU_DEP_1) | instskip(NEXT) | instid1(VALU_DEP_1)
	v_and_b32_e32 v33, 0x7f800000, v32
	v_cmp_ne_u32_e64 s1, 0x7f800000, v33
	s_delay_alu instid0(VALU_DEP_1) | instskip(NEXT) | instid1(SALU_CYCLE_1)
	s_and_saveexec_b32 s2, s1
	s_xor_b32 s1, exec_lo, s2
; %bb.929:                              ;   in Loop: Header=BB460_8 Depth=1
	v_bfe_u32 v33, v32, 16, 1
	s_delay_alu instid0(VALU_DEP_1)
	v_add3_u32 v97, v32, v33, 0x7fff
                                        ; implicit-def: $vgpr32
; %bb.930:                              ;   in Loop: Header=BB460_8 Depth=1
	s_and_not1_saveexec_b32 s2, s1
; %bb.931:                              ;   in Loop: Header=BB460_8 Depth=1
	v_and_b32_e32 v33, 0xffff, v32
	v_or_b32_e32 v97, 0x10000, v32
	s_delay_alu instid0(VALU_DEP_2) | instskip(NEXT) | instid1(VALU_DEP_1)
	v_cmp_eq_u32_e64 s1, 0, v33
	v_cndmask_b32_e64 v97, v97, v32, s1
; %bb.932:                              ;   in Loop: Header=BB460_8 Depth=1
	s_or_b32 exec_lo, exec_lo, s2
	v_lshrrev_b16 v33, 8, v18
	v_mov_b32_e32 v32, 0
	s_mov_b32 s2, exec_lo
	s_delay_alu instid0(VALU_DEP_2)
	v_cmpx_ne_u16_e32 0, v33
	s_cbranch_execz .LBB460_940
; %bb.933:                              ;   in Loop: Header=BB460_8 Depth=1
	v_bfrev_b32_e32 v32, 1
	s_mov_b32 s18, exec_lo
	v_cmpx_ne_u16_e32 0x80, v33
	s_cbranch_execz .LBB460_939
; %bb.934:                              ;   in Loop: Header=BB460_8 Depth=1
	v_and_b32_e32 v33, 0xffff, v33
	v_mov_b32_e32 v32, 0x7f800001
	s_mov_b32 s19, exec_lo
	s_delay_alu instid0(VALU_DEP_2) | instskip(NEXT) | instid1(VALU_DEP_1)
	v_and_b32_e32 v99, 0x7f, v33
	v_cmpx_ne_u32_e32 0x7f, v99
	s_cbranch_execz .LBB460_938
; %bb.935:                              ;   in Loop: Header=BB460_8 Depth=1
	v_dual_mov_b32 v33, v19 :: v_dual_and_b32 v32, 7, v33
	v_lshrrev_b32_e32 v98, 3, v99
	s_mov_b32 s20, exec_lo
	v_cmpx_gt_u32_e32 8, v99
; %bb.936:                              ;   in Loop: Header=BB460_8 Depth=1
	s_delay_alu instid0(VALU_DEP_3) | instskip(NEXT) | instid1(VALU_DEP_1)
	v_clz_i32_u32_e32 v98, v32
	v_min_u32_e32 v98, 32, v98
	s_delay_alu instid0(VALU_DEP_1) | instskip(SKIP_1) | instid1(VALU_DEP_2)
	v_subrev_nc_u32_e32 v99, 28, v98
	v_sub_nc_u32_e32 v98, 29, v98
	v_lshlrev_b64 v[32:33], v99, v[32:33]
	s_delay_alu instid0(VALU_DEP_1)
	v_and_b32_e32 v32, 7, v32
; %bb.937:                              ;   in Loop: Header=BB460_8 Depth=1
	s_or_b32 exec_lo, exec_lo, s20
	v_lshlrev_b32_e32 v18, 16, v18
	s_delay_alu instid0(VALU_DEP_2) | instskip(SKIP_1) | instid1(VALU_DEP_3)
	v_lshlrev_b32_e32 v32, 20, v32
	v_lshl_add_u32 v33, v98, 23, 0x3c000000
	v_and_b32_e32 v18, 0x80000000, v18
	s_delay_alu instid0(VALU_DEP_1)
	v_or3_b32 v32, v32, v18, v33
.LBB460_938:                            ;   in Loop: Header=BB460_8 Depth=1
	s_or_b32 exec_lo, exec_lo, s19
.LBB460_939:                            ;   in Loop: Header=BB460_8 Depth=1
	s_delay_alu instid0(SALU_CYCLE_1)
	s_or_b32 exec_lo, exec_lo, s18
.LBB460_940:                            ;   in Loop: Header=BB460_8 Depth=1
	s_delay_alu instid0(SALU_CYCLE_1) | instskip(NEXT) | instid1(VALU_DEP_1)
	s_or_b32 exec_lo, exec_lo, s2
	v_mul_f32_e32 v18, v136, v32
                                        ; implicit-def: $vgpr98
	s_delay_alu instid0(VALU_DEP_1) | instskip(NEXT) | instid1(VALU_DEP_1)
	v_and_b32_e32 v32, 0x7f800000, v18
	v_cmp_ne_u32_e64 s1, 0x7f800000, v32
	s_delay_alu instid0(VALU_DEP_1) | instskip(NEXT) | instid1(SALU_CYCLE_1)
	s_and_saveexec_b32 s2, s1
	s_xor_b32 s1, exec_lo, s2
; %bb.941:                              ;   in Loop: Header=BB460_8 Depth=1
	v_bfe_u32 v32, v18, 16, 1
	s_delay_alu instid0(VALU_DEP_1)
	v_add3_u32 v98, v18, v32, 0x7fff
                                        ; implicit-def: $vgpr18
; %bb.942:                              ;   in Loop: Header=BB460_8 Depth=1
	s_and_not1_saveexec_b32 s2, s1
; %bb.943:                              ;   in Loop: Header=BB460_8 Depth=1
	v_and_b32_e32 v32, 0xffff, v18
	v_or_b32_e32 v33, 0x10000, v18
	s_delay_alu instid0(VALU_DEP_2) | instskip(NEXT) | instid1(VALU_DEP_1)
	v_cmp_eq_u32_e64 s1, 0, v32
	v_cndmask_b32_e64 v98, v33, v18, s1
; %bb.944:                              ;   in Loop: Header=BB460_8 Depth=1
	s_or_b32 exec_lo, exec_lo, s2
	v_lshrrev_b32_e32 v99, 16, v31
	v_mov_b32_e32 v18, 0
	s_mov_b32 s2, exec_lo
	s_delay_alu instid0(VALU_DEP_2) | instskip(NEXT) | instid1(VALU_DEP_1)
	v_and_b32_e32 v32, 0xff, v99
	v_cmpx_ne_u16_e32 0, v32
	s_cbranch_execz .LBB460_952
; %bb.945:                              ;   in Loop: Header=BB460_8 Depth=1
	v_bfrev_b32_e32 v18, 1
	s_mov_b32 s18, exec_lo
	v_cmpx_ne_u16_e32 0x80, v32
	s_cbranch_execz .LBB460_951
; %bb.946:                              ;   in Loop: Header=BB460_8 Depth=1
	v_bfe_u32 v32, v31, 16, 7
	v_mov_b32_e32 v18, 0x7f800001
	s_mov_b32 s19, exec_lo
	s_delay_alu instid0(VALU_DEP_2)
	v_cmpx_ne_u32_e32 0x7f, v32
	s_cbranch_execz .LBB460_950
; %bb.947:                              ;   in Loop: Header=BB460_8 Depth=1
	v_and_b32_e32 v18, 7, v99
	v_lshrrev_b32_e32 v100, 3, v32
	v_cmp_gt_u32_e64 s1, 8, v32
	s_delay_alu instid0(VALU_DEP_3) | instskip(NEXT) | instid1(VALU_DEP_2)
	v_dual_mov_b32 v33, v19 :: v_dual_mov_b32 v32, v18
	s_and_saveexec_b32 s20, s1
; %bb.948:                              ;   in Loop: Header=BB460_8 Depth=1
	v_clz_i32_u32_e32 v32, v18
	s_delay_alu instid0(VALU_DEP_1) | instskip(NEXT) | instid1(VALU_DEP_1)
	v_min_u32_e32 v100, 32, v32
	v_subrev_nc_u32_e32 v32, 28, v100
	v_sub_nc_u32_e32 v100, 29, v100
	s_delay_alu instid0(VALU_DEP_2) | instskip(NEXT) | instid1(VALU_DEP_1)
	v_lshlrev_b64 v[32:33], v32, v[18:19]
	v_and_b32_e32 v32, 7, v32
; %bb.949:                              ;   in Loop: Header=BB460_8 Depth=1
	s_or_b32 exec_lo, exec_lo, s20
	v_lshlrev_b32_e32 v18, 24, v99
	s_delay_alu instid0(VALU_DEP_2) | instskip(SKIP_1) | instid1(VALU_DEP_3)
	v_lshlrev_b32_e32 v32, 20, v32
	v_lshl_add_u32 v33, v100, 23, 0x3c000000
	v_and_b32_e32 v18, 0x80000000, v18
	s_delay_alu instid0(VALU_DEP_1)
	v_or3_b32 v18, v32, v18, v33
.LBB460_950:                            ;   in Loop: Header=BB460_8 Depth=1
	s_or_b32 exec_lo, exec_lo, s19
.LBB460_951:                            ;   in Loop: Header=BB460_8 Depth=1
	s_delay_alu instid0(SALU_CYCLE_1)
	s_or_b32 exec_lo, exec_lo, s18
.LBB460_952:                            ;   in Loop: Header=BB460_8 Depth=1
	s_delay_alu instid0(SALU_CYCLE_1) | instskip(NEXT) | instid1(VALU_DEP_1)
	s_or_b32 exec_lo, exec_lo, s2
	v_mul_f32_e32 v18, v136, v18
                                        ; implicit-def: $vgpr99
	s_delay_alu instid0(VALU_DEP_1) | instskip(NEXT) | instid1(VALU_DEP_1)
	v_and_b32_e32 v32, 0x7f800000, v18
	v_cmp_ne_u32_e64 s1, 0x7f800000, v32
	s_delay_alu instid0(VALU_DEP_1) | instskip(NEXT) | instid1(SALU_CYCLE_1)
	s_and_saveexec_b32 s2, s1
	s_xor_b32 s1, exec_lo, s2
; %bb.953:                              ;   in Loop: Header=BB460_8 Depth=1
	v_bfe_u32 v32, v18, 16, 1
	s_delay_alu instid0(VALU_DEP_1)
	v_add3_u32 v99, v18, v32, 0x7fff
                                        ; implicit-def: $vgpr18
; %bb.954:                              ;   in Loop: Header=BB460_8 Depth=1
	s_and_not1_saveexec_b32 s2, s1
; %bb.955:                              ;   in Loop: Header=BB460_8 Depth=1
	v_and_b32_e32 v32, 0xffff, v18
	v_or_b32_e32 v33, 0x10000, v18
	s_delay_alu instid0(VALU_DEP_2) | instskip(NEXT) | instid1(VALU_DEP_1)
	v_cmp_eq_u32_e64 s1, 0, v32
	v_cndmask_b32_e64 v99, v33, v18, s1
; %bb.956:                              ;   in Loop: Header=BB460_8 Depth=1
	s_or_b32 exec_lo, exec_lo, s2
	v_mov_b32_e32 v18, 0
	s_mov_b32 s2, exec_lo
	v_cmpx_lt_u64_e64 s[8:9], v[30:31]
	s_cbranch_execz .LBB460_964
; %bb.957:                              ;   in Loop: Header=BB460_8 Depth=1
	v_lshrrev_b32_e32 v32, 24, v31
	v_bfrev_b32_e32 v18, 1
	s_mov_b32 s18, exec_lo
	s_delay_alu instid0(VALU_DEP_2)
	v_cmpx_ne_u32_e32 0x80, v32
	s_cbranch_execz .LBB460_963
; %bb.958:                              ;   in Loop: Header=BB460_8 Depth=1
	v_bfe_u32 v30, v31, 24, 7
	v_mov_b32_e32 v18, 0x7f800001
	s_mov_b32 s19, exec_lo
	s_delay_alu instid0(VALU_DEP_2)
	v_cmpx_ne_u32_e32 0x7f, v30
	s_cbranch_execz .LBB460_962
; %bb.959:                              ;   in Loop: Header=BB460_8 Depth=1
	v_and_b32_e32 v18, 7, v32
	v_lshrrev_b32_e32 v33, 3, v30
	v_cmp_gt_u32_e64 s1, 8, v30
	s_delay_alu instid0(VALU_DEP_3) | instskip(NEXT) | instid1(VALU_DEP_2)
	v_dual_mov_b32 v31, v19 :: v_dual_mov_b32 v30, v18
	s_and_saveexec_b32 s20, s1
; %bb.960:                              ;   in Loop: Header=BB460_8 Depth=1
	v_clz_i32_u32_e32 v30, v18
	s_delay_alu instid0(VALU_DEP_1) | instskip(NEXT) | instid1(VALU_DEP_1)
	v_min_u32_e32 v33, 32, v30
	v_subrev_nc_u32_e32 v30, 28, v33
	v_sub_nc_u32_e32 v33, 29, v33
	s_delay_alu instid0(VALU_DEP_2) | instskip(NEXT) | instid1(VALU_DEP_1)
	v_lshlrev_b64 v[30:31], v30, v[18:19]
	v_and_b32_e32 v30, 7, v30
; %bb.961:                              ;   in Loop: Header=BB460_8 Depth=1
	s_or_b32 exec_lo, exec_lo, s20
	v_lshlrev_b32_e32 v18, 24, v32
	s_delay_alu instid0(VALU_DEP_2) | instskip(SKIP_1) | instid1(VALU_DEP_3)
	v_lshlrev_b32_e32 v30, 20, v30
	v_lshl_add_u32 v31, v33, 23, 0x3c000000
	v_and_b32_e32 v18, 0x80000000, v18
	s_delay_alu instid0(VALU_DEP_1)
	v_or3_b32 v18, v30, v18, v31
.LBB460_962:                            ;   in Loop: Header=BB460_8 Depth=1
	s_or_b32 exec_lo, exec_lo, s19
.LBB460_963:                            ;   in Loop: Header=BB460_8 Depth=1
	s_delay_alu instid0(SALU_CYCLE_1)
	s_or_b32 exec_lo, exec_lo, s18
.LBB460_964:                            ;   in Loop: Header=BB460_8 Depth=1
	s_delay_alu instid0(SALU_CYCLE_1) | instskip(NEXT) | instid1(VALU_DEP_1)
	s_or_b32 exec_lo, exec_lo, s2
	v_mul_f32_e32 v18, v136, v18
                                        ; implicit-def: $vgpr100
	s_delay_alu instid0(VALU_DEP_1) | instskip(NEXT) | instid1(VALU_DEP_1)
	v_and_b32_e32 v30, 0x7f800000, v18
	v_cmp_ne_u32_e64 s1, 0x7f800000, v30
	s_delay_alu instid0(VALU_DEP_1) | instskip(NEXT) | instid1(SALU_CYCLE_1)
	s_and_saveexec_b32 s2, s1
	s_xor_b32 s1, exec_lo, s2
; %bb.965:                              ;   in Loop: Header=BB460_8 Depth=1
	v_bfe_u32 v30, v18, 16, 1
	s_delay_alu instid0(VALU_DEP_1)
	v_add3_u32 v100, v18, v30, 0x7fff
                                        ; implicit-def: $vgpr18
; %bb.966:                              ;   in Loop: Header=BB460_8 Depth=1
	s_and_not1_saveexec_b32 s2, s1
; %bb.967:                              ;   in Loop: Header=BB460_8 Depth=1
	v_and_b32_e32 v30, 0xffff, v18
	v_or_b32_e32 v31, 0x10000, v18
	s_delay_alu instid0(VALU_DEP_2) | instskip(NEXT) | instid1(VALU_DEP_1)
	v_cmp_eq_u32_e64 s1, 0, v30
	v_cndmask_b32_e64 v100, v31, v18, s1
; %bb.968:                              ;   in Loop: Header=BB460_8 Depth=1
	s_or_b32 exec_lo, exec_lo, s2
	flat_load_b64 v[30:31], v[28:29] offset:2560
	v_mov_b32_e32 v18, 0
	s_mov_b32 s2, exec_lo
	s_waitcnt vmcnt(0) lgkmcnt(0)
	v_and_b32_e32 v32, 0xff, v30
	s_delay_alu instid0(VALU_DEP_1)
	v_cmpx_ne_u16_e32 0, v32
	s_cbranch_execz .LBB460_976
; %bb.969:                              ;   in Loop: Header=BB460_8 Depth=1
	v_bfrev_b32_e32 v18, 1
	s_mov_b32 s18, exec_lo
	v_cmpx_ne_u16_e32 0x80, v32
	s_cbranch_execz .LBB460_975
; %bb.970:                              ;   in Loop: Header=BB460_8 Depth=1
	v_and_b32_e32 v32, 0x7f, v30
	v_mov_b32_e32 v18, 0x7f800001
	s_mov_b32 s19, exec_lo
	s_delay_alu instid0(VALU_DEP_2)
	v_cmpx_ne_u32_e32 0x7f, v32
	s_cbranch_execz .LBB460_974
; %bb.971:                              ;   in Loop: Header=BB460_8 Depth=1
	v_lshrrev_b32_e32 v18, 3, v32
	v_cmp_gt_u32_e64 s1, 8, v32
	v_dual_mov_b32 v33, v31 :: v_dual_mov_b32 v32, v30
	s_delay_alu instid0(VALU_DEP_2)
	s_and_saveexec_b32 s20, s1
; %bb.972:                              ;   in Loop: Header=BB460_8 Depth=1
	v_and_b32_e32 v18, 7, v30
	s_delay_alu instid0(VALU_DEP_1) | instskip(NEXT) | instid1(VALU_DEP_1)
	v_clz_i32_u32_e32 v18, v18
	v_min_u32_e32 v18, 32, v18
	s_delay_alu instid0(VALU_DEP_1) | instskip(SKIP_1) | instid1(VALU_DEP_2)
	v_subrev_nc_u32_e32 v32, 28, v18
	v_sub_nc_u32_e32 v18, 29, v18
	v_lshlrev_b64 v[32:33], v32, v[30:31]
; %bb.973:                              ;   in Loop: Header=BB460_8 Depth=1
	s_or_b32 exec_lo, exec_lo, s20
	s_delay_alu instid0(VALU_DEP_1) | instskip(SKIP_2) | instid1(VALU_DEP_3)
	v_lshlrev_b32_e32 v32, 20, v32
	v_lshlrev_b32_e32 v33, 24, v30
	v_lshl_add_u32 v18, v18, 23, 0x3c000000
	v_and_b32_e32 v32, 0x700000, v32
	s_delay_alu instid0(VALU_DEP_3) | instskip(NEXT) | instid1(VALU_DEP_1)
	v_and_b32_e32 v33, 0x80000000, v33
	v_or3_b32 v18, v32, v33, v18
.LBB460_974:                            ;   in Loop: Header=BB460_8 Depth=1
	s_or_b32 exec_lo, exec_lo, s19
.LBB460_975:                            ;   in Loop: Header=BB460_8 Depth=1
	s_delay_alu instid0(SALU_CYCLE_1)
	s_or_b32 exec_lo, exec_lo, s18
.LBB460_976:                            ;   in Loop: Header=BB460_8 Depth=1
	s_delay_alu instid0(SALU_CYCLE_1) | instskip(NEXT) | instid1(VALU_DEP_1)
	s_or_b32 exec_lo, exec_lo, s2
	v_mul_f32_e32 v18, v136, v18
                                        ; implicit-def: $vgpr101
	s_delay_alu instid0(VALU_DEP_1) | instskip(NEXT) | instid1(VALU_DEP_1)
	v_and_b32_e32 v32, 0x7f800000, v18
	v_cmp_ne_u32_e64 s1, 0x7f800000, v32
	s_delay_alu instid0(VALU_DEP_1) | instskip(NEXT) | instid1(SALU_CYCLE_1)
	s_and_saveexec_b32 s2, s1
	s_xor_b32 s1, exec_lo, s2
; %bb.977:                              ;   in Loop: Header=BB460_8 Depth=1
	v_bfe_u32 v32, v18, 16, 1
	s_delay_alu instid0(VALU_DEP_1)
	v_add3_u32 v101, v18, v32, 0x7fff
                                        ; implicit-def: $vgpr18
; %bb.978:                              ;   in Loop: Header=BB460_8 Depth=1
	s_and_not1_saveexec_b32 s2, s1
; %bb.979:                              ;   in Loop: Header=BB460_8 Depth=1
	v_and_b32_e32 v32, 0xffff, v18
	v_or_b32_e32 v33, 0x10000, v18
	s_delay_alu instid0(VALU_DEP_2) | instskip(NEXT) | instid1(VALU_DEP_1)
	v_cmp_eq_u32_e64 s1, 0, v32
	v_cndmask_b32_e64 v101, v33, v18, s1
; %bb.980:                              ;   in Loop: Header=BB460_8 Depth=1
	s_or_b32 exec_lo, exec_lo, s2
	v_lshrrev_b16 v32, 8, v30
	v_mov_b32_e32 v18, 0
	s_mov_b32 s2, exec_lo
	s_delay_alu instid0(VALU_DEP_2)
	v_cmpx_ne_u16_e32 0, v32
	s_cbranch_execz .LBB460_988
; %bb.981:                              ;   in Loop: Header=BB460_8 Depth=1
	v_bfrev_b32_e32 v18, 1
	s_mov_b32 s18, exec_lo
	v_cmpx_ne_u16_e32 0x80, v32
	s_cbranch_execz .LBB460_987
; %bb.982:                              ;   in Loop: Header=BB460_8 Depth=1
	v_and_b32_e32 v33, 0xffff, v32
	v_mov_b32_e32 v18, 0x7f800001
	s_mov_b32 s19, exec_lo
	s_delay_alu instid0(VALU_DEP_2) | instskip(NEXT) | instid1(VALU_DEP_1)
	v_and_b32_e32 v32, 0x7f, v33
	v_cmpx_ne_u32_e32 0x7f, v32
	s_cbranch_execz .LBB460_986
; %bb.983:                              ;   in Loop: Header=BB460_8 Depth=1
	v_and_b32_e32 v18, 7, v33
	v_lshrrev_b32_e32 v102, 3, v32
	v_cmp_gt_u32_e64 s1, 8, v32
	s_delay_alu instid0(VALU_DEP_3) | instskip(NEXT) | instid1(VALU_DEP_2)
	v_dual_mov_b32 v33, v19 :: v_dual_mov_b32 v32, v18
	s_and_saveexec_b32 s20, s1
; %bb.984:                              ;   in Loop: Header=BB460_8 Depth=1
	v_clz_i32_u32_e32 v32, v18
	s_delay_alu instid0(VALU_DEP_1) | instskip(NEXT) | instid1(VALU_DEP_1)
	v_min_u32_e32 v102, 32, v32
	v_subrev_nc_u32_e32 v32, 28, v102
	v_sub_nc_u32_e32 v102, 29, v102
	s_delay_alu instid0(VALU_DEP_2) | instskip(NEXT) | instid1(VALU_DEP_1)
	v_lshlrev_b64 v[32:33], v32, v[18:19]
	v_and_b32_e32 v32, 7, v32
; %bb.985:                              ;   in Loop: Header=BB460_8 Depth=1
	s_or_b32 exec_lo, exec_lo, s20
	v_lshlrev_b32_e32 v18, 16, v30
	s_delay_alu instid0(VALU_DEP_2) | instskip(SKIP_1) | instid1(VALU_DEP_3)
	v_lshlrev_b32_e32 v32, 20, v32
	v_lshl_add_u32 v33, v102, 23, 0x3c000000
	v_and_b32_e32 v18, 0x80000000, v18
	s_delay_alu instid0(VALU_DEP_1)
	v_or3_b32 v18, v32, v18, v33
.LBB460_986:                            ;   in Loop: Header=BB460_8 Depth=1
	s_or_b32 exec_lo, exec_lo, s19
.LBB460_987:                            ;   in Loop: Header=BB460_8 Depth=1
	s_delay_alu instid0(SALU_CYCLE_1)
	s_or_b32 exec_lo, exec_lo, s18
.LBB460_988:                            ;   in Loop: Header=BB460_8 Depth=1
	s_delay_alu instid0(SALU_CYCLE_1) | instskip(NEXT) | instid1(VALU_DEP_1)
	s_or_b32 exec_lo, exec_lo, s2
	v_mul_f32_e32 v18, v136, v18
                                        ; implicit-def: $vgpr102
	s_delay_alu instid0(VALU_DEP_1) | instskip(NEXT) | instid1(VALU_DEP_1)
	v_and_b32_e32 v32, 0x7f800000, v18
	v_cmp_ne_u32_e64 s1, 0x7f800000, v32
	s_delay_alu instid0(VALU_DEP_1) | instskip(NEXT) | instid1(SALU_CYCLE_1)
	s_and_saveexec_b32 s2, s1
	s_xor_b32 s1, exec_lo, s2
; %bb.989:                              ;   in Loop: Header=BB460_8 Depth=1
	v_bfe_u32 v32, v18, 16, 1
	s_delay_alu instid0(VALU_DEP_1)
	v_add3_u32 v102, v18, v32, 0x7fff
                                        ; implicit-def: $vgpr18
; %bb.990:                              ;   in Loop: Header=BB460_8 Depth=1
	s_and_not1_saveexec_b32 s2, s1
; %bb.991:                              ;   in Loop: Header=BB460_8 Depth=1
	v_and_b32_e32 v32, 0xffff, v18
	v_or_b32_e32 v33, 0x10000, v18
	s_delay_alu instid0(VALU_DEP_2) | instskip(NEXT) | instid1(VALU_DEP_1)
	v_cmp_eq_u32_e64 s1, 0, v32
	v_cndmask_b32_e64 v102, v33, v18, s1
; %bb.992:                              ;   in Loop: Header=BB460_8 Depth=1
	s_or_b32 exec_lo, exec_lo, s2
	v_lshrrev_b32_e32 v103, 16, v30
	v_mov_b32_e32 v18, 0
	s_mov_b32 s2, exec_lo
	s_delay_alu instid0(VALU_DEP_2) | instskip(NEXT) | instid1(VALU_DEP_1)
	v_and_b32_e32 v32, 0xff, v103
	v_cmpx_ne_u16_e32 0, v32
	s_cbranch_execz .LBB460_1000
; %bb.993:                              ;   in Loop: Header=BB460_8 Depth=1
	v_bfrev_b32_e32 v18, 1
	s_mov_b32 s18, exec_lo
	v_cmpx_ne_u16_e32 0x80, v32
	s_cbranch_execz .LBB460_999
; %bb.994:                              ;   in Loop: Header=BB460_8 Depth=1
	v_bfe_u32 v32, v30, 16, 7
	v_mov_b32_e32 v18, 0x7f800001
	s_mov_b32 s19, exec_lo
	s_delay_alu instid0(VALU_DEP_2)
	v_cmpx_ne_u32_e32 0x7f, v32
	s_cbranch_execz .LBB460_998
; %bb.995:                              ;   in Loop: Header=BB460_8 Depth=1
	v_and_b32_e32 v18, 7, v103
	v_lshrrev_b32_e32 v112, 3, v32
	v_cmp_gt_u32_e64 s1, 8, v32
	s_delay_alu instid0(VALU_DEP_3) | instskip(NEXT) | instid1(VALU_DEP_2)
	v_dual_mov_b32 v33, v19 :: v_dual_mov_b32 v32, v18
	s_and_saveexec_b32 s20, s1
; %bb.996:                              ;   in Loop: Header=BB460_8 Depth=1
	v_clz_i32_u32_e32 v32, v18
	s_delay_alu instid0(VALU_DEP_1) | instskip(NEXT) | instid1(VALU_DEP_1)
	v_min_u32_e32 v112, 32, v32
	v_subrev_nc_u32_e32 v32, 28, v112
	v_sub_nc_u32_e32 v112, 29, v112
	s_delay_alu instid0(VALU_DEP_2) | instskip(NEXT) | instid1(VALU_DEP_1)
	v_lshlrev_b64 v[32:33], v32, v[18:19]
	v_and_b32_e32 v32, 7, v32
; %bb.997:                              ;   in Loop: Header=BB460_8 Depth=1
	s_or_b32 exec_lo, exec_lo, s20
	v_lshlrev_b32_e32 v18, 24, v103
	s_delay_alu instid0(VALU_DEP_2) | instskip(SKIP_1) | instid1(VALU_DEP_3)
	v_lshlrev_b32_e32 v32, 20, v32
	v_lshl_add_u32 v33, v112, 23, 0x3c000000
	v_and_b32_e32 v18, 0x80000000, v18
	s_delay_alu instid0(VALU_DEP_1)
	v_or3_b32 v18, v32, v18, v33
.LBB460_998:                            ;   in Loop: Header=BB460_8 Depth=1
	s_or_b32 exec_lo, exec_lo, s19
.LBB460_999:                            ;   in Loop: Header=BB460_8 Depth=1
	s_delay_alu instid0(SALU_CYCLE_1)
	s_or_b32 exec_lo, exec_lo, s18
.LBB460_1000:                           ;   in Loop: Header=BB460_8 Depth=1
	s_delay_alu instid0(SALU_CYCLE_1) | instskip(NEXT) | instid1(VALU_DEP_1)
	s_or_b32 exec_lo, exec_lo, s2
	v_mul_f32_e32 v18, v136, v18
                                        ; implicit-def: $vgpr103
	s_delay_alu instid0(VALU_DEP_1) | instskip(NEXT) | instid1(VALU_DEP_1)
	v_and_b32_e32 v32, 0x7f800000, v18
	v_cmp_ne_u32_e64 s1, 0x7f800000, v32
	s_delay_alu instid0(VALU_DEP_1) | instskip(NEXT) | instid1(SALU_CYCLE_1)
	s_and_saveexec_b32 s2, s1
	s_xor_b32 s1, exec_lo, s2
; %bb.1001:                             ;   in Loop: Header=BB460_8 Depth=1
	v_bfe_u32 v32, v18, 16, 1
	s_delay_alu instid0(VALU_DEP_1)
	v_add3_u32 v103, v18, v32, 0x7fff
                                        ; implicit-def: $vgpr18
; %bb.1002:                             ;   in Loop: Header=BB460_8 Depth=1
	s_and_not1_saveexec_b32 s2, s1
; %bb.1003:                             ;   in Loop: Header=BB460_8 Depth=1
	v_and_b32_e32 v32, 0xffff, v18
	v_or_b32_e32 v33, 0x10000, v18
	s_delay_alu instid0(VALU_DEP_2) | instskip(NEXT) | instid1(VALU_DEP_1)
	v_cmp_eq_u32_e64 s1, 0, v32
	v_cndmask_b32_e64 v103, v33, v18, s1
; %bb.1004:                             ;   in Loop: Header=BB460_8 Depth=1
	s_or_b32 exec_lo, exec_lo, s2
	v_mov_b32_e32 v18, 0
	s_mov_b32 s2, exec_lo
	v_cmpx_lt_u32_e32 0xffffff, v30
	s_cbranch_execz .LBB460_1012
; %bb.1005:                             ;   in Loop: Header=BB460_8 Depth=1
	v_lshrrev_b32_e32 v112, 24, v30
	v_bfrev_b32_e32 v18, 1
	s_mov_b32 s18, exec_lo
	s_delay_alu instid0(VALU_DEP_2)
	v_cmpx_ne_u32_e32 0x80, v112
	s_cbranch_execz .LBB460_1011
; %bb.1006:                             ;   in Loop: Header=BB460_8 Depth=1
	v_bfe_u32 v32, v30, 24, 7
	v_mov_b32_e32 v18, 0x7f800001
	s_mov_b32 s19, exec_lo
	s_delay_alu instid0(VALU_DEP_2)
	v_cmpx_ne_u32_e32 0x7f, v32
	s_cbranch_execz .LBB460_1010
; %bb.1007:                             ;   in Loop: Header=BB460_8 Depth=1
	v_and_b32_e32 v18, 7, v112
	v_lshrrev_b32_e32 v113, 3, v32
	v_cmp_gt_u32_e64 s1, 8, v32
	s_delay_alu instid0(VALU_DEP_3) | instskip(NEXT) | instid1(VALU_DEP_2)
	v_dual_mov_b32 v33, v19 :: v_dual_mov_b32 v32, v18
	s_and_saveexec_b32 s20, s1
; %bb.1008:                             ;   in Loop: Header=BB460_8 Depth=1
	v_clz_i32_u32_e32 v32, v18
	s_delay_alu instid0(VALU_DEP_1) | instskip(NEXT) | instid1(VALU_DEP_1)
	v_min_u32_e32 v113, 32, v32
	v_subrev_nc_u32_e32 v32, 28, v113
	v_sub_nc_u32_e32 v113, 29, v113
	s_delay_alu instid0(VALU_DEP_2) | instskip(NEXT) | instid1(VALU_DEP_1)
	v_lshlrev_b64 v[32:33], v32, v[18:19]
	v_and_b32_e32 v32, 7, v32
; %bb.1009:                             ;   in Loop: Header=BB460_8 Depth=1
	s_or_b32 exec_lo, exec_lo, s20
	v_lshlrev_b32_e32 v18, 24, v112
	s_delay_alu instid0(VALU_DEP_2) | instskip(SKIP_1) | instid1(VALU_DEP_3)
	v_lshlrev_b32_e32 v32, 20, v32
	v_lshl_add_u32 v33, v113, 23, 0x3c000000
	v_and_b32_e32 v18, 0x80000000, v18
	s_delay_alu instid0(VALU_DEP_1)
	v_or3_b32 v18, v32, v18, v33
.LBB460_1010:                           ;   in Loop: Header=BB460_8 Depth=1
	s_or_b32 exec_lo, exec_lo, s19
.LBB460_1011:                           ;   in Loop: Header=BB460_8 Depth=1
	s_delay_alu instid0(SALU_CYCLE_1)
	s_or_b32 exec_lo, exec_lo, s18
.LBB460_1012:                           ;   in Loop: Header=BB460_8 Depth=1
	s_delay_alu instid0(SALU_CYCLE_1) | instskip(NEXT) | instid1(VALU_DEP_1)
	s_or_b32 exec_lo, exec_lo, s2
	v_mul_f32_e32 v18, v136, v18
                                        ; implicit-def: $vgpr112
	s_delay_alu instid0(VALU_DEP_1) | instskip(NEXT) | instid1(VALU_DEP_1)
	v_and_b32_e32 v32, 0x7f800000, v18
	v_cmp_ne_u32_e64 s1, 0x7f800000, v32
	s_delay_alu instid0(VALU_DEP_1) | instskip(NEXT) | instid1(SALU_CYCLE_1)
	s_and_saveexec_b32 s2, s1
	s_xor_b32 s1, exec_lo, s2
; %bb.1013:                             ;   in Loop: Header=BB460_8 Depth=1
	v_bfe_u32 v32, v18, 16, 1
	s_delay_alu instid0(VALU_DEP_1)
	v_add3_u32 v112, v18, v32, 0x7fff
                                        ; implicit-def: $vgpr18
; %bb.1014:                             ;   in Loop: Header=BB460_8 Depth=1
	s_and_not1_saveexec_b32 s2, s1
; %bb.1015:                             ;   in Loop: Header=BB460_8 Depth=1
	v_and_b32_e32 v32, 0xffff, v18
	v_or_b32_e32 v33, 0x10000, v18
	s_delay_alu instid0(VALU_DEP_2) | instskip(NEXT) | instid1(VALU_DEP_1)
	v_cmp_eq_u32_e64 s1, 0, v32
	v_cndmask_b32_e64 v112, v33, v18, s1
; %bb.1016:                             ;   in Loop: Header=BB460_8 Depth=1
	s_or_b32 exec_lo, exec_lo, s2
	v_dual_mov_b32 v18, v31 :: v_dual_and_b32 v33, 0xff, v31
	v_mov_b32_e32 v32, 0
	s_mov_b32 s2, exec_lo
	s_delay_alu instid0(VALU_DEP_2)
	v_cmpx_ne_u16_e32 0, v33
	s_cbranch_execz .LBB460_1024
; %bb.1017:                             ;   in Loop: Header=BB460_8 Depth=1
	v_bfrev_b32_e32 v32, 1
	s_mov_b32 s18, exec_lo
	v_cmpx_ne_u16_e32 0x80, v33
	s_cbranch_execz .LBB460_1023
; %bb.1018:                             ;   in Loop: Header=BB460_8 Depth=1
	v_and_b32_e32 v33, 0x7f, v31
	v_mov_b32_e32 v32, 0x7f800001
	s_mov_b32 s19, exec_lo
	s_delay_alu instid0(VALU_DEP_2)
	v_cmpx_ne_u32_e32 0x7f, v33
	s_cbranch_execz .LBB460_1022
; %bb.1019:                             ;   in Loop: Header=BB460_8 Depth=1
	v_lshrrev_b32_e32 v113, 3, v33
	v_cmp_gt_u32_e64 s1, 8, v33
	v_dual_mov_b32 v33, v19 :: v_dual_mov_b32 v32, v18
	s_delay_alu instid0(VALU_DEP_2)
	s_and_saveexec_b32 s20, s1
; %bb.1020:                             ;   in Loop: Header=BB460_8 Depth=1
	v_and_b32_e32 v32, 7, v31
	s_delay_alu instid0(VALU_DEP_1) | instskip(NEXT) | instid1(VALU_DEP_1)
	v_clz_i32_u32_e32 v32, v32
	v_min_u32_e32 v113, 32, v32
	s_delay_alu instid0(VALU_DEP_1) | instskip(SKIP_1) | instid1(VALU_DEP_2)
	v_subrev_nc_u32_e32 v32, 28, v113
	v_sub_nc_u32_e32 v113, 29, v113
	v_lshlrev_b64 v[32:33], v32, v[18:19]
; %bb.1021:                             ;   in Loop: Header=BB460_8 Depth=1
	s_or_b32 exec_lo, exec_lo, s20
	s_delay_alu instid0(VALU_DEP_1) | instskip(SKIP_2) | instid1(VALU_DEP_3)
	v_lshlrev_b32_e32 v32, 20, v32
	v_lshlrev_b32_e32 v33, 24, v18
	v_lshl_add_u32 v113, v113, 23, 0x3c000000
	v_and_b32_e32 v32, 0x700000, v32
	s_delay_alu instid0(VALU_DEP_3) | instskip(NEXT) | instid1(VALU_DEP_1)
	v_and_b32_e32 v33, 0x80000000, v33
	v_or3_b32 v32, v32, v33, v113
.LBB460_1022:                           ;   in Loop: Header=BB460_8 Depth=1
	s_or_b32 exec_lo, exec_lo, s19
.LBB460_1023:                           ;   in Loop: Header=BB460_8 Depth=1
	s_delay_alu instid0(SALU_CYCLE_1)
	s_or_b32 exec_lo, exec_lo, s18
.LBB460_1024:                           ;   in Loop: Header=BB460_8 Depth=1
	s_delay_alu instid0(SALU_CYCLE_1) | instskip(NEXT) | instid1(VALU_DEP_1)
	s_or_b32 exec_lo, exec_lo, s2
	v_mul_f32_e32 v32, v136, v32
                                        ; implicit-def: $vgpr113
	s_delay_alu instid0(VALU_DEP_1) | instskip(NEXT) | instid1(VALU_DEP_1)
	v_and_b32_e32 v33, 0x7f800000, v32
	v_cmp_ne_u32_e64 s1, 0x7f800000, v33
	s_delay_alu instid0(VALU_DEP_1) | instskip(NEXT) | instid1(SALU_CYCLE_1)
	s_and_saveexec_b32 s2, s1
	s_xor_b32 s1, exec_lo, s2
; %bb.1025:                             ;   in Loop: Header=BB460_8 Depth=1
	v_bfe_u32 v33, v32, 16, 1
	s_delay_alu instid0(VALU_DEP_1)
	v_add3_u32 v113, v32, v33, 0x7fff
                                        ; implicit-def: $vgpr32
; %bb.1026:                             ;   in Loop: Header=BB460_8 Depth=1
	s_and_not1_saveexec_b32 s2, s1
; %bb.1027:                             ;   in Loop: Header=BB460_8 Depth=1
	v_and_b32_e32 v33, 0xffff, v32
	v_or_b32_e32 v113, 0x10000, v32
	s_delay_alu instid0(VALU_DEP_2) | instskip(NEXT) | instid1(VALU_DEP_1)
	v_cmp_eq_u32_e64 s1, 0, v33
	v_cndmask_b32_e64 v113, v113, v32, s1
; %bb.1028:                             ;   in Loop: Header=BB460_8 Depth=1
	s_or_b32 exec_lo, exec_lo, s2
	v_lshrrev_b16 v33, 8, v18
	v_mov_b32_e32 v32, 0
	s_mov_b32 s2, exec_lo
	s_delay_alu instid0(VALU_DEP_2)
	v_cmpx_ne_u16_e32 0, v33
	s_cbranch_execz .LBB460_1036
; %bb.1029:                             ;   in Loop: Header=BB460_8 Depth=1
	v_bfrev_b32_e32 v32, 1
	s_mov_b32 s18, exec_lo
	v_cmpx_ne_u16_e32 0x80, v33
	s_cbranch_execz .LBB460_1035
; %bb.1030:                             ;   in Loop: Header=BB460_8 Depth=1
	v_and_b32_e32 v33, 0xffff, v33
	v_mov_b32_e32 v32, 0x7f800001
	s_mov_b32 s19, exec_lo
	s_delay_alu instid0(VALU_DEP_2) | instskip(NEXT) | instid1(VALU_DEP_1)
	v_and_b32_e32 v115, 0x7f, v33
	v_cmpx_ne_u32_e32 0x7f, v115
	s_cbranch_execz .LBB460_1034
; %bb.1031:                             ;   in Loop: Header=BB460_8 Depth=1
	v_dual_mov_b32 v33, v19 :: v_dual_and_b32 v32, 7, v33
	v_lshrrev_b32_e32 v114, 3, v115
	s_mov_b32 s20, exec_lo
	v_cmpx_gt_u32_e32 8, v115
; %bb.1032:                             ;   in Loop: Header=BB460_8 Depth=1
	s_delay_alu instid0(VALU_DEP_3) | instskip(NEXT) | instid1(VALU_DEP_1)
	v_clz_i32_u32_e32 v114, v32
	v_min_u32_e32 v114, 32, v114
	s_delay_alu instid0(VALU_DEP_1) | instskip(SKIP_1) | instid1(VALU_DEP_2)
	v_subrev_nc_u32_e32 v115, 28, v114
	v_sub_nc_u32_e32 v114, 29, v114
	v_lshlrev_b64 v[32:33], v115, v[32:33]
	s_delay_alu instid0(VALU_DEP_1)
	v_and_b32_e32 v32, 7, v32
; %bb.1033:                             ;   in Loop: Header=BB460_8 Depth=1
	s_or_b32 exec_lo, exec_lo, s20
	v_lshlrev_b32_e32 v18, 16, v18
	s_delay_alu instid0(VALU_DEP_2) | instskip(SKIP_1) | instid1(VALU_DEP_3)
	v_lshlrev_b32_e32 v32, 20, v32
	v_lshl_add_u32 v33, v114, 23, 0x3c000000
	v_and_b32_e32 v18, 0x80000000, v18
	s_delay_alu instid0(VALU_DEP_1)
	v_or3_b32 v32, v32, v18, v33
.LBB460_1034:                           ;   in Loop: Header=BB460_8 Depth=1
	s_or_b32 exec_lo, exec_lo, s19
.LBB460_1035:                           ;   in Loop: Header=BB460_8 Depth=1
	s_delay_alu instid0(SALU_CYCLE_1)
	s_or_b32 exec_lo, exec_lo, s18
.LBB460_1036:                           ;   in Loop: Header=BB460_8 Depth=1
	s_delay_alu instid0(SALU_CYCLE_1) | instskip(NEXT) | instid1(VALU_DEP_1)
	s_or_b32 exec_lo, exec_lo, s2
	v_mul_f32_e32 v18, v136, v32
                                        ; implicit-def: $vgpr114
	s_delay_alu instid0(VALU_DEP_1) | instskip(NEXT) | instid1(VALU_DEP_1)
	v_and_b32_e32 v32, 0x7f800000, v18
	v_cmp_ne_u32_e64 s1, 0x7f800000, v32
	s_delay_alu instid0(VALU_DEP_1) | instskip(NEXT) | instid1(SALU_CYCLE_1)
	s_and_saveexec_b32 s2, s1
	s_xor_b32 s1, exec_lo, s2
; %bb.1037:                             ;   in Loop: Header=BB460_8 Depth=1
	v_bfe_u32 v32, v18, 16, 1
	s_delay_alu instid0(VALU_DEP_1)
	v_add3_u32 v114, v18, v32, 0x7fff
                                        ; implicit-def: $vgpr18
; %bb.1038:                             ;   in Loop: Header=BB460_8 Depth=1
	s_and_not1_saveexec_b32 s2, s1
; %bb.1039:                             ;   in Loop: Header=BB460_8 Depth=1
	v_and_b32_e32 v32, 0xffff, v18
	v_or_b32_e32 v33, 0x10000, v18
	s_delay_alu instid0(VALU_DEP_2) | instskip(NEXT) | instid1(VALU_DEP_1)
	v_cmp_eq_u32_e64 s1, 0, v32
	v_cndmask_b32_e64 v114, v33, v18, s1
; %bb.1040:                             ;   in Loop: Header=BB460_8 Depth=1
	s_or_b32 exec_lo, exec_lo, s2
	v_lshrrev_b32_e32 v115, 16, v31
	v_mov_b32_e32 v18, 0
	s_mov_b32 s2, exec_lo
	s_delay_alu instid0(VALU_DEP_2) | instskip(NEXT) | instid1(VALU_DEP_1)
	v_and_b32_e32 v32, 0xff, v115
	v_cmpx_ne_u16_e32 0, v32
	s_cbranch_execz .LBB460_1048
; %bb.1041:                             ;   in Loop: Header=BB460_8 Depth=1
	v_bfrev_b32_e32 v18, 1
	s_mov_b32 s18, exec_lo
	v_cmpx_ne_u16_e32 0x80, v32
	s_cbranch_execz .LBB460_1047
; %bb.1042:                             ;   in Loop: Header=BB460_8 Depth=1
	v_bfe_u32 v32, v31, 16, 7
	v_mov_b32_e32 v18, 0x7f800001
	s_mov_b32 s19, exec_lo
	s_delay_alu instid0(VALU_DEP_2)
	v_cmpx_ne_u32_e32 0x7f, v32
	s_cbranch_execz .LBB460_1046
; %bb.1043:                             ;   in Loop: Header=BB460_8 Depth=1
	v_and_b32_e32 v18, 7, v115
	v_lshrrev_b32_e32 v116, 3, v32
	v_cmp_gt_u32_e64 s1, 8, v32
	s_delay_alu instid0(VALU_DEP_3) | instskip(NEXT) | instid1(VALU_DEP_2)
	v_dual_mov_b32 v33, v19 :: v_dual_mov_b32 v32, v18
	s_and_saveexec_b32 s20, s1
; %bb.1044:                             ;   in Loop: Header=BB460_8 Depth=1
	v_clz_i32_u32_e32 v32, v18
	s_delay_alu instid0(VALU_DEP_1) | instskip(NEXT) | instid1(VALU_DEP_1)
	v_min_u32_e32 v116, 32, v32
	v_subrev_nc_u32_e32 v32, 28, v116
	v_sub_nc_u32_e32 v116, 29, v116
	s_delay_alu instid0(VALU_DEP_2) | instskip(NEXT) | instid1(VALU_DEP_1)
	v_lshlrev_b64 v[32:33], v32, v[18:19]
	v_and_b32_e32 v32, 7, v32
; %bb.1045:                             ;   in Loop: Header=BB460_8 Depth=1
	s_or_b32 exec_lo, exec_lo, s20
	v_lshlrev_b32_e32 v18, 24, v115
	s_delay_alu instid0(VALU_DEP_2) | instskip(SKIP_1) | instid1(VALU_DEP_3)
	v_lshlrev_b32_e32 v32, 20, v32
	v_lshl_add_u32 v33, v116, 23, 0x3c000000
	v_and_b32_e32 v18, 0x80000000, v18
	s_delay_alu instid0(VALU_DEP_1)
	v_or3_b32 v18, v32, v18, v33
.LBB460_1046:                           ;   in Loop: Header=BB460_8 Depth=1
	s_or_b32 exec_lo, exec_lo, s19
.LBB460_1047:                           ;   in Loop: Header=BB460_8 Depth=1
	s_delay_alu instid0(SALU_CYCLE_1)
	s_or_b32 exec_lo, exec_lo, s18
.LBB460_1048:                           ;   in Loop: Header=BB460_8 Depth=1
	s_delay_alu instid0(SALU_CYCLE_1) | instskip(NEXT) | instid1(VALU_DEP_1)
	s_or_b32 exec_lo, exec_lo, s2
	v_mul_f32_e32 v18, v136, v18
                                        ; implicit-def: $vgpr115
	s_delay_alu instid0(VALU_DEP_1) | instskip(NEXT) | instid1(VALU_DEP_1)
	v_and_b32_e32 v32, 0x7f800000, v18
	v_cmp_ne_u32_e64 s1, 0x7f800000, v32
	s_delay_alu instid0(VALU_DEP_1) | instskip(NEXT) | instid1(SALU_CYCLE_1)
	s_and_saveexec_b32 s2, s1
	s_xor_b32 s1, exec_lo, s2
; %bb.1049:                             ;   in Loop: Header=BB460_8 Depth=1
	v_bfe_u32 v32, v18, 16, 1
	s_delay_alu instid0(VALU_DEP_1)
	v_add3_u32 v115, v18, v32, 0x7fff
                                        ; implicit-def: $vgpr18
; %bb.1050:                             ;   in Loop: Header=BB460_8 Depth=1
	s_and_not1_saveexec_b32 s2, s1
; %bb.1051:                             ;   in Loop: Header=BB460_8 Depth=1
	v_and_b32_e32 v32, 0xffff, v18
	v_or_b32_e32 v33, 0x10000, v18
	s_delay_alu instid0(VALU_DEP_2) | instskip(NEXT) | instid1(VALU_DEP_1)
	v_cmp_eq_u32_e64 s1, 0, v32
	v_cndmask_b32_e64 v115, v33, v18, s1
; %bb.1052:                             ;   in Loop: Header=BB460_8 Depth=1
	s_or_b32 exec_lo, exec_lo, s2
	v_mov_b32_e32 v18, 0
	s_mov_b32 s2, exec_lo
	v_cmpx_lt_u64_e64 s[8:9], v[30:31]
	s_cbranch_execz .LBB460_1060
; %bb.1053:                             ;   in Loop: Header=BB460_8 Depth=1
	v_lshrrev_b32_e32 v32, 24, v31
	v_bfrev_b32_e32 v18, 1
	s_mov_b32 s18, exec_lo
	s_delay_alu instid0(VALU_DEP_2)
	v_cmpx_ne_u32_e32 0x80, v32
	s_cbranch_execz .LBB460_1059
; %bb.1054:                             ;   in Loop: Header=BB460_8 Depth=1
	v_bfe_u32 v30, v31, 24, 7
	v_mov_b32_e32 v18, 0x7f800001
	s_mov_b32 s19, exec_lo
	s_delay_alu instid0(VALU_DEP_2)
	v_cmpx_ne_u32_e32 0x7f, v30
	s_cbranch_execz .LBB460_1058
; %bb.1055:                             ;   in Loop: Header=BB460_8 Depth=1
	v_and_b32_e32 v18, 7, v32
	v_lshrrev_b32_e32 v33, 3, v30
	v_cmp_gt_u32_e64 s1, 8, v30
	s_delay_alu instid0(VALU_DEP_3) | instskip(NEXT) | instid1(VALU_DEP_2)
	v_dual_mov_b32 v31, v19 :: v_dual_mov_b32 v30, v18
	s_and_saveexec_b32 s20, s1
; %bb.1056:                             ;   in Loop: Header=BB460_8 Depth=1
	v_clz_i32_u32_e32 v30, v18
	s_delay_alu instid0(VALU_DEP_1) | instskip(NEXT) | instid1(VALU_DEP_1)
	v_min_u32_e32 v33, 32, v30
	v_subrev_nc_u32_e32 v30, 28, v33
	v_sub_nc_u32_e32 v33, 29, v33
	s_delay_alu instid0(VALU_DEP_2) | instskip(NEXT) | instid1(VALU_DEP_1)
	v_lshlrev_b64 v[30:31], v30, v[18:19]
	v_and_b32_e32 v30, 7, v30
; %bb.1057:                             ;   in Loop: Header=BB460_8 Depth=1
	s_or_b32 exec_lo, exec_lo, s20
	v_lshlrev_b32_e32 v18, 24, v32
	s_delay_alu instid0(VALU_DEP_2) | instskip(SKIP_1) | instid1(VALU_DEP_3)
	v_lshlrev_b32_e32 v30, 20, v30
	v_lshl_add_u32 v31, v33, 23, 0x3c000000
	v_and_b32_e32 v18, 0x80000000, v18
	s_delay_alu instid0(VALU_DEP_1)
	v_or3_b32 v18, v30, v18, v31
.LBB460_1058:                           ;   in Loop: Header=BB460_8 Depth=1
	s_or_b32 exec_lo, exec_lo, s19
.LBB460_1059:                           ;   in Loop: Header=BB460_8 Depth=1
	s_delay_alu instid0(SALU_CYCLE_1)
	s_or_b32 exec_lo, exec_lo, s18
.LBB460_1060:                           ;   in Loop: Header=BB460_8 Depth=1
	s_delay_alu instid0(SALU_CYCLE_1) | instskip(NEXT) | instid1(VALU_DEP_1)
	s_or_b32 exec_lo, exec_lo, s2
	v_mul_f32_e32 v18, v136, v18
                                        ; implicit-def: $vgpr116
	s_delay_alu instid0(VALU_DEP_1) | instskip(NEXT) | instid1(VALU_DEP_1)
	v_and_b32_e32 v30, 0x7f800000, v18
	v_cmp_ne_u32_e64 s1, 0x7f800000, v30
	s_delay_alu instid0(VALU_DEP_1) | instskip(NEXT) | instid1(SALU_CYCLE_1)
	s_and_saveexec_b32 s2, s1
	s_xor_b32 s1, exec_lo, s2
; %bb.1061:                             ;   in Loop: Header=BB460_8 Depth=1
	v_bfe_u32 v30, v18, 16, 1
	s_delay_alu instid0(VALU_DEP_1)
	v_add3_u32 v116, v18, v30, 0x7fff
                                        ; implicit-def: $vgpr18
; %bb.1062:                             ;   in Loop: Header=BB460_8 Depth=1
	s_and_not1_saveexec_b32 s2, s1
; %bb.1063:                             ;   in Loop: Header=BB460_8 Depth=1
	v_and_b32_e32 v30, 0xffff, v18
	v_or_b32_e32 v31, 0x10000, v18
	s_delay_alu instid0(VALU_DEP_2) | instskip(NEXT) | instid1(VALU_DEP_1)
	v_cmp_eq_u32_e64 s1, 0, v30
	v_cndmask_b32_e64 v116, v31, v18, s1
; %bb.1064:                             ;   in Loop: Header=BB460_8 Depth=1
	s_or_b32 exec_lo, exec_lo, s2
	flat_load_b64 v[30:31], v[28:29] offset:2568
	v_mov_b32_e32 v18, 0
	s_mov_b32 s2, exec_lo
	s_waitcnt vmcnt(0) lgkmcnt(0)
	v_and_b32_e32 v32, 0xff, v30
	s_delay_alu instid0(VALU_DEP_1)
	v_cmpx_ne_u16_e32 0, v32
	s_cbranch_execz .LBB460_1072
; %bb.1065:                             ;   in Loop: Header=BB460_8 Depth=1
	v_bfrev_b32_e32 v18, 1
	s_mov_b32 s18, exec_lo
	v_cmpx_ne_u16_e32 0x80, v32
	s_cbranch_execz .LBB460_1071
; %bb.1066:                             ;   in Loop: Header=BB460_8 Depth=1
	v_and_b32_e32 v32, 0x7f, v30
	v_mov_b32_e32 v18, 0x7f800001
	s_mov_b32 s19, exec_lo
	s_delay_alu instid0(VALU_DEP_2)
	v_cmpx_ne_u32_e32 0x7f, v32
	s_cbranch_execz .LBB460_1070
; %bb.1067:                             ;   in Loop: Header=BB460_8 Depth=1
	v_lshrrev_b32_e32 v18, 3, v32
	v_cmp_gt_u32_e64 s1, 8, v32
	v_dual_mov_b32 v33, v31 :: v_dual_mov_b32 v32, v30
	s_delay_alu instid0(VALU_DEP_2)
	s_and_saveexec_b32 s20, s1
; %bb.1068:                             ;   in Loop: Header=BB460_8 Depth=1
	v_and_b32_e32 v18, 7, v30
	s_delay_alu instid0(VALU_DEP_1) | instskip(NEXT) | instid1(VALU_DEP_1)
	v_clz_i32_u32_e32 v18, v18
	v_min_u32_e32 v18, 32, v18
	s_delay_alu instid0(VALU_DEP_1) | instskip(SKIP_1) | instid1(VALU_DEP_2)
	v_subrev_nc_u32_e32 v32, 28, v18
	v_sub_nc_u32_e32 v18, 29, v18
	v_lshlrev_b64 v[32:33], v32, v[30:31]
; %bb.1069:                             ;   in Loop: Header=BB460_8 Depth=1
	s_or_b32 exec_lo, exec_lo, s20
	s_delay_alu instid0(VALU_DEP_1) | instskip(SKIP_2) | instid1(VALU_DEP_3)
	v_lshlrev_b32_e32 v32, 20, v32
	v_lshlrev_b32_e32 v33, 24, v30
	v_lshl_add_u32 v18, v18, 23, 0x3c000000
	v_and_b32_e32 v32, 0x700000, v32
	s_delay_alu instid0(VALU_DEP_3) | instskip(NEXT) | instid1(VALU_DEP_1)
	v_and_b32_e32 v33, 0x80000000, v33
	v_or3_b32 v18, v32, v33, v18
.LBB460_1070:                           ;   in Loop: Header=BB460_8 Depth=1
	s_or_b32 exec_lo, exec_lo, s19
.LBB460_1071:                           ;   in Loop: Header=BB460_8 Depth=1
	s_delay_alu instid0(SALU_CYCLE_1)
	s_or_b32 exec_lo, exec_lo, s18
.LBB460_1072:                           ;   in Loop: Header=BB460_8 Depth=1
	s_delay_alu instid0(SALU_CYCLE_1) | instskip(NEXT) | instid1(VALU_DEP_1)
	s_or_b32 exec_lo, exec_lo, s2
	v_mul_f32_e32 v18, v136, v18
                                        ; implicit-def: $vgpr117
	s_delay_alu instid0(VALU_DEP_1) | instskip(NEXT) | instid1(VALU_DEP_1)
	v_and_b32_e32 v32, 0x7f800000, v18
	v_cmp_ne_u32_e64 s1, 0x7f800000, v32
	s_delay_alu instid0(VALU_DEP_1) | instskip(NEXT) | instid1(SALU_CYCLE_1)
	s_and_saveexec_b32 s2, s1
	s_xor_b32 s1, exec_lo, s2
; %bb.1073:                             ;   in Loop: Header=BB460_8 Depth=1
	v_bfe_u32 v32, v18, 16, 1
	s_delay_alu instid0(VALU_DEP_1)
	v_add3_u32 v117, v18, v32, 0x7fff
                                        ; implicit-def: $vgpr18
; %bb.1074:                             ;   in Loop: Header=BB460_8 Depth=1
	s_and_not1_saveexec_b32 s2, s1
; %bb.1075:                             ;   in Loop: Header=BB460_8 Depth=1
	v_and_b32_e32 v32, 0xffff, v18
	v_or_b32_e32 v33, 0x10000, v18
	s_delay_alu instid0(VALU_DEP_2) | instskip(NEXT) | instid1(VALU_DEP_1)
	v_cmp_eq_u32_e64 s1, 0, v32
	v_cndmask_b32_e64 v117, v33, v18, s1
; %bb.1076:                             ;   in Loop: Header=BB460_8 Depth=1
	s_or_b32 exec_lo, exec_lo, s2
	v_lshrrev_b16 v32, 8, v30
	v_mov_b32_e32 v18, 0
	s_mov_b32 s2, exec_lo
	s_delay_alu instid0(VALU_DEP_2)
	v_cmpx_ne_u16_e32 0, v32
	s_cbranch_execz .LBB460_1084
; %bb.1077:                             ;   in Loop: Header=BB460_8 Depth=1
	v_bfrev_b32_e32 v18, 1
	s_mov_b32 s18, exec_lo
	v_cmpx_ne_u16_e32 0x80, v32
	s_cbranch_execz .LBB460_1083
; %bb.1078:                             ;   in Loop: Header=BB460_8 Depth=1
	v_and_b32_e32 v33, 0xffff, v32
	v_mov_b32_e32 v18, 0x7f800001
	s_mov_b32 s19, exec_lo
	s_delay_alu instid0(VALU_DEP_2) | instskip(NEXT) | instid1(VALU_DEP_1)
	v_and_b32_e32 v32, 0x7f, v33
	v_cmpx_ne_u32_e32 0x7f, v32
	s_cbranch_execz .LBB460_1082
; %bb.1079:                             ;   in Loop: Header=BB460_8 Depth=1
	v_and_b32_e32 v18, 7, v33
	v_lshrrev_b32_e32 v118, 3, v32
	v_cmp_gt_u32_e64 s1, 8, v32
	s_delay_alu instid0(VALU_DEP_3) | instskip(NEXT) | instid1(VALU_DEP_2)
	v_dual_mov_b32 v33, v19 :: v_dual_mov_b32 v32, v18
	s_and_saveexec_b32 s20, s1
; %bb.1080:                             ;   in Loop: Header=BB460_8 Depth=1
	v_clz_i32_u32_e32 v32, v18
	s_delay_alu instid0(VALU_DEP_1) | instskip(NEXT) | instid1(VALU_DEP_1)
	v_min_u32_e32 v118, 32, v32
	v_subrev_nc_u32_e32 v32, 28, v118
	v_sub_nc_u32_e32 v118, 29, v118
	s_delay_alu instid0(VALU_DEP_2) | instskip(NEXT) | instid1(VALU_DEP_1)
	v_lshlrev_b64 v[32:33], v32, v[18:19]
	v_and_b32_e32 v32, 7, v32
; %bb.1081:                             ;   in Loop: Header=BB460_8 Depth=1
	s_or_b32 exec_lo, exec_lo, s20
	v_lshlrev_b32_e32 v18, 16, v30
	s_delay_alu instid0(VALU_DEP_2) | instskip(SKIP_1) | instid1(VALU_DEP_3)
	v_lshlrev_b32_e32 v32, 20, v32
	v_lshl_add_u32 v33, v118, 23, 0x3c000000
	v_and_b32_e32 v18, 0x80000000, v18
	s_delay_alu instid0(VALU_DEP_1)
	v_or3_b32 v18, v32, v18, v33
.LBB460_1082:                           ;   in Loop: Header=BB460_8 Depth=1
	s_or_b32 exec_lo, exec_lo, s19
.LBB460_1083:                           ;   in Loop: Header=BB460_8 Depth=1
	s_delay_alu instid0(SALU_CYCLE_1)
	s_or_b32 exec_lo, exec_lo, s18
.LBB460_1084:                           ;   in Loop: Header=BB460_8 Depth=1
	s_delay_alu instid0(SALU_CYCLE_1) | instskip(NEXT) | instid1(VALU_DEP_1)
	s_or_b32 exec_lo, exec_lo, s2
	v_mul_f32_e32 v18, v136, v18
                                        ; implicit-def: $vgpr118
	s_delay_alu instid0(VALU_DEP_1) | instskip(NEXT) | instid1(VALU_DEP_1)
	v_and_b32_e32 v32, 0x7f800000, v18
	v_cmp_ne_u32_e64 s1, 0x7f800000, v32
	s_delay_alu instid0(VALU_DEP_1) | instskip(NEXT) | instid1(SALU_CYCLE_1)
	s_and_saveexec_b32 s2, s1
	s_xor_b32 s1, exec_lo, s2
; %bb.1085:                             ;   in Loop: Header=BB460_8 Depth=1
	v_bfe_u32 v32, v18, 16, 1
	s_delay_alu instid0(VALU_DEP_1)
	v_add3_u32 v118, v18, v32, 0x7fff
                                        ; implicit-def: $vgpr18
; %bb.1086:                             ;   in Loop: Header=BB460_8 Depth=1
	s_and_not1_saveexec_b32 s2, s1
; %bb.1087:                             ;   in Loop: Header=BB460_8 Depth=1
	v_and_b32_e32 v32, 0xffff, v18
	v_or_b32_e32 v33, 0x10000, v18
	s_delay_alu instid0(VALU_DEP_2) | instskip(NEXT) | instid1(VALU_DEP_1)
	v_cmp_eq_u32_e64 s1, 0, v32
	v_cndmask_b32_e64 v118, v33, v18, s1
; %bb.1088:                             ;   in Loop: Header=BB460_8 Depth=1
	s_or_b32 exec_lo, exec_lo, s2
	v_lshrrev_b32_e32 v119, 16, v30
	v_mov_b32_e32 v18, 0
	s_mov_b32 s2, exec_lo
	s_delay_alu instid0(VALU_DEP_2) | instskip(NEXT) | instid1(VALU_DEP_1)
	v_and_b32_e32 v32, 0xff, v119
	v_cmpx_ne_u16_e32 0, v32
	s_cbranch_execz .LBB460_1096
; %bb.1089:                             ;   in Loop: Header=BB460_8 Depth=1
	v_bfrev_b32_e32 v18, 1
	s_mov_b32 s18, exec_lo
	v_cmpx_ne_u16_e32 0x80, v32
	s_cbranch_execz .LBB460_1095
; %bb.1090:                             ;   in Loop: Header=BB460_8 Depth=1
	v_bfe_u32 v32, v30, 16, 7
	v_mov_b32_e32 v18, 0x7f800001
	s_mov_b32 s19, exec_lo
	s_delay_alu instid0(VALU_DEP_2)
	v_cmpx_ne_u32_e32 0x7f, v32
	s_cbranch_execz .LBB460_1094
; %bb.1091:                             ;   in Loop: Header=BB460_8 Depth=1
	v_and_b32_e32 v18, 7, v119
	v_lshrrev_b32_e32 v128, 3, v32
	v_cmp_gt_u32_e64 s1, 8, v32
	s_delay_alu instid0(VALU_DEP_3) | instskip(NEXT) | instid1(VALU_DEP_2)
	v_dual_mov_b32 v33, v19 :: v_dual_mov_b32 v32, v18
	s_and_saveexec_b32 s20, s1
; %bb.1092:                             ;   in Loop: Header=BB460_8 Depth=1
	v_clz_i32_u32_e32 v32, v18
	s_delay_alu instid0(VALU_DEP_1) | instskip(NEXT) | instid1(VALU_DEP_1)
	v_min_u32_e32 v128, 32, v32
	v_subrev_nc_u32_e32 v32, 28, v128
	v_sub_nc_u32_e32 v128, 29, v128
	s_delay_alu instid0(VALU_DEP_2) | instskip(NEXT) | instid1(VALU_DEP_1)
	v_lshlrev_b64 v[32:33], v32, v[18:19]
	v_and_b32_e32 v32, 7, v32
; %bb.1093:                             ;   in Loop: Header=BB460_8 Depth=1
	s_or_b32 exec_lo, exec_lo, s20
	v_lshlrev_b32_e32 v18, 24, v119
	s_delay_alu instid0(VALU_DEP_2) | instskip(SKIP_1) | instid1(VALU_DEP_3)
	v_lshlrev_b32_e32 v32, 20, v32
	v_lshl_add_u32 v33, v128, 23, 0x3c000000
	v_and_b32_e32 v18, 0x80000000, v18
	s_delay_alu instid0(VALU_DEP_1)
	v_or3_b32 v18, v32, v18, v33
.LBB460_1094:                           ;   in Loop: Header=BB460_8 Depth=1
	s_or_b32 exec_lo, exec_lo, s19
.LBB460_1095:                           ;   in Loop: Header=BB460_8 Depth=1
	s_delay_alu instid0(SALU_CYCLE_1)
	s_or_b32 exec_lo, exec_lo, s18
.LBB460_1096:                           ;   in Loop: Header=BB460_8 Depth=1
	s_delay_alu instid0(SALU_CYCLE_1) | instskip(NEXT) | instid1(VALU_DEP_1)
	s_or_b32 exec_lo, exec_lo, s2
	v_mul_f32_e32 v18, v136, v18
                                        ; implicit-def: $vgpr119
	s_delay_alu instid0(VALU_DEP_1) | instskip(NEXT) | instid1(VALU_DEP_1)
	v_and_b32_e32 v32, 0x7f800000, v18
	v_cmp_ne_u32_e64 s1, 0x7f800000, v32
	s_delay_alu instid0(VALU_DEP_1) | instskip(NEXT) | instid1(SALU_CYCLE_1)
	s_and_saveexec_b32 s2, s1
	s_xor_b32 s1, exec_lo, s2
; %bb.1097:                             ;   in Loop: Header=BB460_8 Depth=1
	v_bfe_u32 v32, v18, 16, 1
	s_delay_alu instid0(VALU_DEP_1)
	v_add3_u32 v119, v18, v32, 0x7fff
                                        ; implicit-def: $vgpr18
; %bb.1098:                             ;   in Loop: Header=BB460_8 Depth=1
	s_and_not1_saveexec_b32 s2, s1
; %bb.1099:                             ;   in Loop: Header=BB460_8 Depth=1
	v_and_b32_e32 v32, 0xffff, v18
	v_or_b32_e32 v33, 0x10000, v18
	s_delay_alu instid0(VALU_DEP_2) | instskip(NEXT) | instid1(VALU_DEP_1)
	v_cmp_eq_u32_e64 s1, 0, v32
	v_cndmask_b32_e64 v119, v33, v18, s1
; %bb.1100:                             ;   in Loop: Header=BB460_8 Depth=1
	s_or_b32 exec_lo, exec_lo, s2
	v_mov_b32_e32 v18, 0
	s_mov_b32 s2, exec_lo
	v_cmpx_lt_u32_e32 0xffffff, v30
	s_cbranch_execz .LBB460_1108
; %bb.1101:                             ;   in Loop: Header=BB460_8 Depth=1
	v_lshrrev_b32_e32 v128, 24, v30
	v_bfrev_b32_e32 v18, 1
	s_mov_b32 s18, exec_lo
	s_delay_alu instid0(VALU_DEP_2)
	v_cmpx_ne_u32_e32 0x80, v128
	s_cbranch_execz .LBB460_1107
; %bb.1102:                             ;   in Loop: Header=BB460_8 Depth=1
	v_bfe_u32 v32, v30, 24, 7
	v_mov_b32_e32 v18, 0x7f800001
	s_mov_b32 s19, exec_lo
	s_delay_alu instid0(VALU_DEP_2)
	v_cmpx_ne_u32_e32 0x7f, v32
	s_cbranch_execz .LBB460_1106
; %bb.1103:                             ;   in Loop: Header=BB460_8 Depth=1
	v_and_b32_e32 v18, 7, v128
	v_lshrrev_b32_e32 v129, 3, v32
	v_cmp_gt_u32_e64 s1, 8, v32
	s_delay_alu instid0(VALU_DEP_3) | instskip(NEXT) | instid1(VALU_DEP_2)
	v_dual_mov_b32 v33, v19 :: v_dual_mov_b32 v32, v18
	s_and_saveexec_b32 s20, s1
; %bb.1104:                             ;   in Loop: Header=BB460_8 Depth=1
	v_clz_i32_u32_e32 v32, v18
	s_delay_alu instid0(VALU_DEP_1) | instskip(NEXT) | instid1(VALU_DEP_1)
	v_min_u32_e32 v129, 32, v32
	v_subrev_nc_u32_e32 v32, 28, v129
	v_sub_nc_u32_e32 v129, 29, v129
	s_delay_alu instid0(VALU_DEP_2) | instskip(NEXT) | instid1(VALU_DEP_1)
	v_lshlrev_b64 v[32:33], v32, v[18:19]
	v_and_b32_e32 v32, 7, v32
; %bb.1105:                             ;   in Loop: Header=BB460_8 Depth=1
	s_or_b32 exec_lo, exec_lo, s20
	v_lshlrev_b32_e32 v18, 24, v128
	s_delay_alu instid0(VALU_DEP_2) | instskip(SKIP_1) | instid1(VALU_DEP_3)
	v_lshlrev_b32_e32 v32, 20, v32
	v_lshl_add_u32 v33, v129, 23, 0x3c000000
	v_and_b32_e32 v18, 0x80000000, v18
	s_delay_alu instid0(VALU_DEP_1)
	v_or3_b32 v18, v32, v18, v33
.LBB460_1106:                           ;   in Loop: Header=BB460_8 Depth=1
	s_or_b32 exec_lo, exec_lo, s19
.LBB460_1107:                           ;   in Loop: Header=BB460_8 Depth=1
	s_delay_alu instid0(SALU_CYCLE_1)
	s_or_b32 exec_lo, exec_lo, s18
.LBB460_1108:                           ;   in Loop: Header=BB460_8 Depth=1
	s_delay_alu instid0(SALU_CYCLE_1) | instskip(NEXT) | instid1(VALU_DEP_1)
	s_or_b32 exec_lo, exec_lo, s2
	v_mul_f32_e32 v18, v136, v18
                                        ; implicit-def: $vgpr128
	s_delay_alu instid0(VALU_DEP_1) | instskip(NEXT) | instid1(VALU_DEP_1)
	v_and_b32_e32 v32, 0x7f800000, v18
	v_cmp_ne_u32_e64 s1, 0x7f800000, v32
	s_delay_alu instid0(VALU_DEP_1) | instskip(NEXT) | instid1(SALU_CYCLE_1)
	s_and_saveexec_b32 s2, s1
	s_xor_b32 s1, exec_lo, s2
; %bb.1109:                             ;   in Loop: Header=BB460_8 Depth=1
	v_bfe_u32 v32, v18, 16, 1
	s_delay_alu instid0(VALU_DEP_1)
	v_add3_u32 v128, v18, v32, 0x7fff
                                        ; implicit-def: $vgpr18
; %bb.1110:                             ;   in Loop: Header=BB460_8 Depth=1
	s_and_not1_saveexec_b32 s2, s1
; %bb.1111:                             ;   in Loop: Header=BB460_8 Depth=1
	v_and_b32_e32 v32, 0xffff, v18
	v_or_b32_e32 v33, 0x10000, v18
	s_delay_alu instid0(VALU_DEP_2) | instskip(NEXT) | instid1(VALU_DEP_1)
	v_cmp_eq_u32_e64 s1, 0, v32
	v_cndmask_b32_e64 v128, v33, v18, s1
; %bb.1112:                             ;   in Loop: Header=BB460_8 Depth=1
	s_or_b32 exec_lo, exec_lo, s2
	v_dual_mov_b32 v18, v31 :: v_dual_and_b32 v33, 0xff, v31
	v_mov_b32_e32 v32, 0
	s_mov_b32 s2, exec_lo
	s_delay_alu instid0(VALU_DEP_2)
	v_cmpx_ne_u16_e32 0, v33
	s_cbranch_execz .LBB460_1120
; %bb.1113:                             ;   in Loop: Header=BB460_8 Depth=1
	v_bfrev_b32_e32 v32, 1
	s_mov_b32 s18, exec_lo
	v_cmpx_ne_u16_e32 0x80, v33
	s_cbranch_execz .LBB460_1119
; %bb.1114:                             ;   in Loop: Header=BB460_8 Depth=1
	v_and_b32_e32 v33, 0x7f, v31
	v_mov_b32_e32 v32, 0x7f800001
	s_mov_b32 s19, exec_lo
	s_delay_alu instid0(VALU_DEP_2)
	v_cmpx_ne_u32_e32 0x7f, v33
	s_cbranch_execz .LBB460_1118
; %bb.1115:                             ;   in Loop: Header=BB460_8 Depth=1
	v_lshrrev_b32_e32 v129, 3, v33
	v_cmp_gt_u32_e64 s1, 8, v33
	v_dual_mov_b32 v33, v19 :: v_dual_mov_b32 v32, v18
	s_delay_alu instid0(VALU_DEP_2)
	s_and_saveexec_b32 s20, s1
; %bb.1116:                             ;   in Loop: Header=BB460_8 Depth=1
	v_and_b32_e32 v32, 7, v31
	s_delay_alu instid0(VALU_DEP_1) | instskip(NEXT) | instid1(VALU_DEP_1)
	v_clz_i32_u32_e32 v32, v32
	v_min_u32_e32 v129, 32, v32
	s_delay_alu instid0(VALU_DEP_1) | instskip(SKIP_1) | instid1(VALU_DEP_2)
	v_subrev_nc_u32_e32 v32, 28, v129
	v_sub_nc_u32_e32 v129, 29, v129
	v_lshlrev_b64 v[32:33], v32, v[18:19]
; %bb.1117:                             ;   in Loop: Header=BB460_8 Depth=1
	s_or_b32 exec_lo, exec_lo, s20
	s_delay_alu instid0(VALU_DEP_1) | instskip(SKIP_2) | instid1(VALU_DEP_3)
	v_lshlrev_b32_e32 v32, 20, v32
	v_lshlrev_b32_e32 v33, 24, v18
	v_lshl_add_u32 v129, v129, 23, 0x3c000000
	v_and_b32_e32 v32, 0x700000, v32
	s_delay_alu instid0(VALU_DEP_3) | instskip(NEXT) | instid1(VALU_DEP_1)
	v_and_b32_e32 v33, 0x80000000, v33
	v_or3_b32 v32, v32, v33, v129
.LBB460_1118:                           ;   in Loop: Header=BB460_8 Depth=1
	s_or_b32 exec_lo, exec_lo, s19
.LBB460_1119:                           ;   in Loop: Header=BB460_8 Depth=1
	s_delay_alu instid0(SALU_CYCLE_1)
	s_or_b32 exec_lo, exec_lo, s18
.LBB460_1120:                           ;   in Loop: Header=BB460_8 Depth=1
	s_delay_alu instid0(SALU_CYCLE_1) | instskip(NEXT) | instid1(VALU_DEP_1)
	s_or_b32 exec_lo, exec_lo, s2
	v_mul_f32_e32 v32, v136, v32
                                        ; implicit-def: $vgpr129
	s_delay_alu instid0(VALU_DEP_1) | instskip(NEXT) | instid1(VALU_DEP_1)
	v_and_b32_e32 v33, 0x7f800000, v32
	v_cmp_ne_u32_e64 s1, 0x7f800000, v33
	s_delay_alu instid0(VALU_DEP_1) | instskip(NEXT) | instid1(SALU_CYCLE_1)
	s_and_saveexec_b32 s2, s1
	s_xor_b32 s1, exec_lo, s2
; %bb.1121:                             ;   in Loop: Header=BB460_8 Depth=1
	v_bfe_u32 v33, v32, 16, 1
	s_delay_alu instid0(VALU_DEP_1)
	v_add3_u32 v129, v32, v33, 0x7fff
                                        ; implicit-def: $vgpr32
; %bb.1122:                             ;   in Loop: Header=BB460_8 Depth=1
	s_and_not1_saveexec_b32 s2, s1
; %bb.1123:                             ;   in Loop: Header=BB460_8 Depth=1
	v_and_b32_e32 v33, 0xffff, v32
	v_or_b32_e32 v129, 0x10000, v32
	s_delay_alu instid0(VALU_DEP_2) | instskip(NEXT) | instid1(VALU_DEP_1)
	v_cmp_eq_u32_e64 s1, 0, v33
	v_cndmask_b32_e64 v129, v129, v32, s1
; %bb.1124:                             ;   in Loop: Header=BB460_8 Depth=1
	s_or_b32 exec_lo, exec_lo, s2
	v_lshrrev_b16 v33, 8, v18
	v_mov_b32_e32 v32, 0
	s_mov_b32 s2, exec_lo
	s_delay_alu instid0(VALU_DEP_2)
	v_cmpx_ne_u16_e32 0, v33
	s_cbranch_execz .LBB460_1132
; %bb.1125:                             ;   in Loop: Header=BB460_8 Depth=1
	v_bfrev_b32_e32 v32, 1
	s_mov_b32 s18, exec_lo
	v_cmpx_ne_u16_e32 0x80, v33
	s_cbranch_execz .LBB460_1131
; %bb.1126:                             ;   in Loop: Header=BB460_8 Depth=1
	v_and_b32_e32 v33, 0xffff, v33
	v_mov_b32_e32 v32, 0x7f800001
	s_mov_b32 s19, exec_lo
	s_delay_alu instid0(VALU_DEP_2) | instskip(NEXT) | instid1(VALU_DEP_1)
	v_and_b32_e32 v131, 0x7f, v33
	v_cmpx_ne_u32_e32 0x7f, v131
	s_cbranch_execz .LBB460_1130
; %bb.1127:                             ;   in Loop: Header=BB460_8 Depth=1
	v_dual_mov_b32 v33, v19 :: v_dual_and_b32 v32, 7, v33
	v_lshrrev_b32_e32 v130, 3, v131
	s_mov_b32 s20, exec_lo
	v_cmpx_gt_u32_e32 8, v131
; %bb.1128:                             ;   in Loop: Header=BB460_8 Depth=1
	s_delay_alu instid0(VALU_DEP_3) | instskip(NEXT) | instid1(VALU_DEP_1)
	v_clz_i32_u32_e32 v130, v32
	v_min_u32_e32 v130, 32, v130
	s_delay_alu instid0(VALU_DEP_1) | instskip(SKIP_1) | instid1(VALU_DEP_2)
	v_subrev_nc_u32_e32 v131, 28, v130
	v_sub_nc_u32_e32 v130, 29, v130
	v_lshlrev_b64 v[32:33], v131, v[32:33]
	s_delay_alu instid0(VALU_DEP_1)
	v_and_b32_e32 v32, 7, v32
; %bb.1129:                             ;   in Loop: Header=BB460_8 Depth=1
	s_or_b32 exec_lo, exec_lo, s20
	v_lshlrev_b32_e32 v18, 16, v18
	s_delay_alu instid0(VALU_DEP_2) | instskip(SKIP_1) | instid1(VALU_DEP_3)
	v_lshlrev_b32_e32 v32, 20, v32
	v_lshl_add_u32 v33, v130, 23, 0x3c000000
	v_and_b32_e32 v18, 0x80000000, v18
	s_delay_alu instid0(VALU_DEP_1)
	v_or3_b32 v32, v32, v18, v33
.LBB460_1130:                           ;   in Loop: Header=BB460_8 Depth=1
	s_or_b32 exec_lo, exec_lo, s19
.LBB460_1131:                           ;   in Loop: Header=BB460_8 Depth=1
	s_delay_alu instid0(SALU_CYCLE_1)
	s_or_b32 exec_lo, exec_lo, s18
.LBB460_1132:                           ;   in Loop: Header=BB460_8 Depth=1
	s_delay_alu instid0(SALU_CYCLE_1) | instskip(NEXT) | instid1(VALU_DEP_1)
	s_or_b32 exec_lo, exec_lo, s2
	v_mul_f32_e32 v18, v136, v32
                                        ; implicit-def: $vgpr130
	s_delay_alu instid0(VALU_DEP_1) | instskip(NEXT) | instid1(VALU_DEP_1)
	v_and_b32_e32 v32, 0x7f800000, v18
	v_cmp_ne_u32_e64 s1, 0x7f800000, v32
	s_delay_alu instid0(VALU_DEP_1) | instskip(NEXT) | instid1(SALU_CYCLE_1)
	s_and_saveexec_b32 s2, s1
	s_xor_b32 s1, exec_lo, s2
; %bb.1133:                             ;   in Loop: Header=BB460_8 Depth=1
	v_bfe_u32 v32, v18, 16, 1
	s_delay_alu instid0(VALU_DEP_1)
	v_add3_u32 v130, v18, v32, 0x7fff
                                        ; implicit-def: $vgpr18
; %bb.1134:                             ;   in Loop: Header=BB460_8 Depth=1
	s_and_not1_saveexec_b32 s2, s1
; %bb.1135:                             ;   in Loop: Header=BB460_8 Depth=1
	v_and_b32_e32 v32, 0xffff, v18
	v_or_b32_e32 v33, 0x10000, v18
	s_delay_alu instid0(VALU_DEP_2) | instskip(NEXT) | instid1(VALU_DEP_1)
	v_cmp_eq_u32_e64 s1, 0, v32
	v_cndmask_b32_e64 v130, v33, v18, s1
; %bb.1136:                             ;   in Loop: Header=BB460_8 Depth=1
	s_or_b32 exec_lo, exec_lo, s2
	v_lshrrev_b32_e32 v131, 16, v31
	v_mov_b32_e32 v18, 0
	s_mov_b32 s2, exec_lo
	s_delay_alu instid0(VALU_DEP_2) | instskip(NEXT) | instid1(VALU_DEP_1)
	v_and_b32_e32 v32, 0xff, v131
	v_cmpx_ne_u16_e32 0, v32
	s_cbranch_execz .LBB460_1144
; %bb.1137:                             ;   in Loop: Header=BB460_8 Depth=1
	v_bfrev_b32_e32 v18, 1
	s_mov_b32 s18, exec_lo
	v_cmpx_ne_u16_e32 0x80, v32
	s_cbranch_execz .LBB460_1143
; %bb.1138:                             ;   in Loop: Header=BB460_8 Depth=1
	v_bfe_u32 v32, v31, 16, 7
	v_mov_b32_e32 v18, 0x7f800001
	s_mov_b32 s19, exec_lo
	s_delay_alu instid0(VALU_DEP_2)
	v_cmpx_ne_u32_e32 0x7f, v32
	s_cbranch_execz .LBB460_1142
; %bb.1139:                             ;   in Loop: Header=BB460_8 Depth=1
	v_and_b32_e32 v18, 7, v131
	v_lshrrev_b32_e32 v132, 3, v32
	v_cmp_gt_u32_e64 s1, 8, v32
	s_delay_alu instid0(VALU_DEP_3) | instskip(NEXT) | instid1(VALU_DEP_2)
	v_dual_mov_b32 v33, v19 :: v_dual_mov_b32 v32, v18
	s_and_saveexec_b32 s20, s1
; %bb.1140:                             ;   in Loop: Header=BB460_8 Depth=1
	v_clz_i32_u32_e32 v32, v18
	s_delay_alu instid0(VALU_DEP_1) | instskip(NEXT) | instid1(VALU_DEP_1)
	v_min_u32_e32 v132, 32, v32
	v_subrev_nc_u32_e32 v32, 28, v132
	v_sub_nc_u32_e32 v132, 29, v132
	s_delay_alu instid0(VALU_DEP_2) | instskip(NEXT) | instid1(VALU_DEP_1)
	v_lshlrev_b64 v[32:33], v32, v[18:19]
	v_and_b32_e32 v32, 7, v32
; %bb.1141:                             ;   in Loop: Header=BB460_8 Depth=1
	s_or_b32 exec_lo, exec_lo, s20
	v_lshlrev_b32_e32 v18, 24, v131
	s_delay_alu instid0(VALU_DEP_2) | instskip(SKIP_1) | instid1(VALU_DEP_3)
	v_lshlrev_b32_e32 v32, 20, v32
	v_lshl_add_u32 v33, v132, 23, 0x3c000000
	v_and_b32_e32 v18, 0x80000000, v18
	s_delay_alu instid0(VALU_DEP_1)
	v_or3_b32 v18, v32, v18, v33
.LBB460_1142:                           ;   in Loop: Header=BB460_8 Depth=1
	s_or_b32 exec_lo, exec_lo, s19
.LBB460_1143:                           ;   in Loop: Header=BB460_8 Depth=1
	s_delay_alu instid0(SALU_CYCLE_1)
	s_or_b32 exec_lo, exec_lo, s18
.LBB460_1144:                           ;   in Loop: Header=BB460_8 Depth=1
	s_delay_alu instid0(SALU_CYCLE_1) | instskip(NEXT) | instid1(VALU_DEP_1)
	s_or_b32 exec_lo, exec_lo, s2
	v_mul_f32_e32 v18, v136, v18
                                        ; implicit-def: $vgpr131
	s_delay_alu instid0(VALU_DEP_1) | instskip(NEXT) | instid1(VALU_DEP_1)
	v_and_b32_e32 v32, 0x7f800000, v18
	v_cmp_ne_u32_e64 s1, 0x7f800000, v32
	s_delay_alu instid0(VALU_DEP_1) | instskip(NEXT) | instid1(SALU_CYCLE_1)
	s_and_saveexec_b32 s2, s1
	s_xor_b32 s1, exec_lo, s2
; %bb.1145:                             ;   in Loop: Header=BB460_8 Depth=1
	v_bfe_u32 v32, v18, 16, 1
	s_delay_alu instid0(VALU_DEP_1)
	v_add3_u32 v131, v18, v32, 0x7fff
                                        ; implicit-def: $vgpr18
; %bb.1146:                             ;   in Loop: Header=BB460_8 Depth=1
	s_and_not1_saveexec_b32 s2, s1
; %bb.1147:                             ;   in Loop: Header=BB460_8 Depth=1
	v_and_b32_e32 v32, 0xffff, v18
	v_or_b32_e32 v33, 0x10000, v18
	s_delay_alu instid0(VALU_DEP_2) | instskip(NEXT) | instid1(VALU_DEP_1)
	v_cmp_eq_u32_e64 s1, 0, v32
	v_cndmask_b32_e64 v131, v33, v18, s1
; %bb.1148:                             ;   in Loop: Header=BB460_8 Depth=1
	s_or_b32 exec_lo, exec_lo, s2
	v_mov_b32_e32 v18, 0
	s_mov_b32 s2, exec_lo
	v_cmpx_lt_u64_e64 s[8:9], v[30:31]
	s_cbranch_execz .LBB460_1156
; %bb.1149:                             ;   in Loop: Header=BB460_8 Depth=1
	v_lshrrev_b32_e32 v32, 24, v31
	v_bfrev_b32_e32 v18, 1
	s_mov_b32 s18, exec_lo
	s_delay_alu instid0(VALU_DEP_2)
	v_cmpx_ne_u32_e32 0x80, v32
	s_cbranch_execz .LBB460_1155
; %bb.1150:                             ;   in Loop: Header=BB460_8 Depth=1
	v_bfe_u32 v30, v31, 24, 7
	v_mov_b32_e32 v18, 0x7f800001
	s_mov_b32 s19, exec_lo
	s_delay_alu instid0(VALU_DEP_2)
	v_cmpx_ne_u32_e32 0x7f, v30
	s_cbranch_execz .LBB460_1154
; %bb.1151:                             ;   in Loop: Header=BB460_8 Depth=1
	v_and_b32_e32 v18, 7, v32
	v_lshrrev_b32_e32 v33, 3, v30
	v_cmp_gt_u32_e64 s1, 8, v30
	s_delay_alu instid0(VALU_DEP_3) | instskip(NEXT) | instid1(VALU_DEP_2)
	v_dual_mov_b32 v31, v19 :: v_dual_mov_b32 v30, v18
	s_and_saveexec_b32 s20, s1
; %bb.1152:                             ;   in Loop: Header=BB460_8 Depth=1
	v_clz_i32_u32_e32 v30, v18
	s_delay_alu instid0(VALU_DEP_1) | instskip(NEXT) | instid1(VALU_DEP_1)
	v_min_u32_e32 v33, 32, v30
	v_subrev_nc_u32_e32 v30, 28, v33
	v_sub_nc_u32_e32 v33, 29, v33
	s_delay_alu instid0(VALU_DEP_2) | instskip(NEXT) | instid1(VALU_DEP_1)
	v_lshlrev_b64 v[30:31], v30, v[18:19]
	v_and_b32_e32 v30, 7, v30
; %bb.1153:                             ;   in Loop: Header=BB460_8 Depth=1
	s_or_b32 exec_lo, exec_lo, s20
	v_lshlrev_b32_e32 v18, 24, v32
	s_delay_alu instid0(VALU_DEP_2) | instskip(SKIP_1) | instid1(VALU_DEP_3)
	v_lshlrev_b32_e32 v30, 20, v30
	v_lshl_add_u32 v31, v33, 23, 0x3c000000
	v_and_b32_e32 v18, 0x80000000, v18
	s_delay_alu instid0(VALU_DEP_1)
	v_or3_b32 v18, v30, v18, v31
.LBB460_1154:                           ;   in Loop: Header=BB460_8 Depth=1
	s_or_b32 exec_lo, exec_lo, s19
.LBB460_1155:                           ;   in Loop: Header=BB460_8 Depth=1
	s_delay_alu instid0(SALU_CYCLE_1)
	s_or_b32 exec_lo, exec_lo, s18
.LBB460_1156:                           ;   in Loop: Header=BB460_8 Depth=1
	s_delay_alu instid0(SALU_CYCLE_1) | instskip(NEXT) | instid1(VALU_DEP_1)
	s_or_b32 exec_lo, exec_lo, s2
	v_mul_f32_e32 v18, v136, v18
                                        ; implicit-def: $vgpr132
	s_delay_alu instid0(VALU_DEP_1) | instskip(NEXT) | instid1(VALU_DEP_1)
	v_and_b32_e32 v30, 0x7f800000, v18
	v_cmp_ne_u32_e64 s1, 0x7f800000, v30
	s_delay_alu instid0(VALU_DEP_1) | instskip(NEXT) | instid1(SALU_CYCLE_1)
	s_and_saveexec_b32 s2, s1
	s_xor_b32 s1, exec_lo, s2
; %bb.1157:                             ;   in Loop: Header=BB460_8 Depth=1
	v_bfe_u32 v30, v18, 16, 1
	s_delay_alu instid0(VALU_DEP_1)
	v_add3_u32 v132, v18, v30, 0x7fff
                                        ; implicit-def: $vgpr18
; %bb.1158:                             ;   in Loop: Header=BB460_8 Depth=1
	s_and_not1_saveexec_b32 s2, s1
; %bb.1159:                             ;   in Loop: Header=BB460_8 Depth=1
	v_and_b32_e32 v30, 0xffff, v18
	v_or_b32_e32 v31, 0x10000, v18
	s_delay_alu instid0(VALU_DEP_2) | instskip(NEXT) | instid1(VALU_DEP_1)
	v_cmp_eq_u32_e64 s1, 0, v30
	v_cndmask_b32_e64 v132, v31, v18, s1
; %bb.1160:                             ;   in Loop: Header=BB460_8 Depth=1
	s_or_b32 exec_lo, exec_lo, s2
	flat_load_b64 v[30:31], v[28:29] offset:3072
	v_mov_b32_e32 v18, 0
	s_mov_b32 s2, exec_lo
	s_waitcnt vmcnt(0) lgkmcnt(0)
	v_and_b32_e32 v32, 0xff, v30
	s_delay_alu instid0(VALU_DEP_1)
	v_cmpx_ne_u16_e32 0, v32
	s_cbranch_execz .LBB460_1168
; %bb.1161:                             ;   in Loop: Header=BB460_8 Depth=1
	v_bfrev_b32_e32 v18, 1
	s_mov_b32 s18, exec_lo
	v_cmpx_ne_u16_e32 0x80, v32
	s_cbranch_execz .LBB460_1167
; %bb.1162:                             ;   in Loop: Header=BB460_8 Depth=1
	v_and_b32_e32 v32, 0x7f, v30
	v_mov_b32_e32 v18, 0x7f800001
	s_mov_b32 s19, exec_lo
	s_delay_alu instid0(VALU_DEP_2)
	v_cmpx_ne_u32_e32 0x7f, v32
	s_cbranch_execz .LBB460_1166
; %bb.1163:                             ;   in Loop: Header=BB460_8 Depth=1
	v_lshrrev_b32_e32 v18, 3, v32
	v_cmp_gt_u32_e64 s1, 8, v32
	v_dual_mov_b32 v33, v31 :: v_dual_mov_b32 v32, v30
	s_delay_alu instid0(VALU_DEP_2)
	s_and_saveexec_b32 s20, s1
; %bb.1164:                             ;   in Loop: Header=BB460_8 Depth=1
	v_and_b32_e32 v18, 7, v30
	s_delay_alu instid0(VALU_DEP_1) | instskip(NEXT) | instid1(VALU_DEP_1)
	v_clz_i32_u32_e32 v18, v18
	v_min_u32_e32 v18, 32, v18
	s_delay_alu instid0(VALU_DEP_1) | instskip(SKIP_1) | instid1(VALU_DEP_2)
	v_subrev_nc_u32_e32 v32, 28, v18
	v_sub_nc_u32_e32 v18, 29, v18
	v_lshlrev_b64 v[32:33], v32, v[30:31]
; %bb.1165:                             ;   in Loop: Header=BB460_8 Depth=1
	s_or_b32 exec_lo, exec_lo, s20
	s_delay_alu instid0(VALU_DEP_1) | instskip(SKIP_2) | instid1(VALU_DEP_3)
	v_lshlrev_b32_e32 v32, 20, v32
	v_lshlrev_b32_e32 v33, 24, v30
	v_lshl_add_u32 v18, v18, 23, 0x3c000000
	v_and_b32_e32 v32, 0x700000, v32
	s_delay_alu instid0(VALU_DEP_3) | instskip(NEXT) | instid1(VALU_DEP_1)
	v_and_b32_e32 v33, 0x80000000, v33
	v_or3_b32 v18, v32, v33, v18
.LBB460_1166:                           ;   in Loop: Header=BB460_8 Depth=1
	s_or_b32 exec_lo, exec_lo, s19
.LBB460_1167:                           ;   in Loop: Header=BB460_8 Depth=1
	s_delay_alu instid0(SALU_CYCLE_1)
	s_or_b32 exec_lo, exec_lo, s18
.LBB460_1168:                           ;   in Loop: Header=BB460_8 Depth=1
	s_delay_alu instid0(SALU_CYCLE_1) | instskip(NEXT) | instid1(VALU_DEP_1)
	s_or_b32 exec_lo, exec_lo, s2
	v_mul_f32_e32 v18, v136, v18
                                        ; implicit-def: $vgpr133
	s_delay_alu instid0(VALU_DEP_1) | instskip(NEXT) | instid1(VALU_DEP_1)
	v_and_b32_e32 v32, 0x7f800000, v18
	v_cmp_ne_u32_e64 s1, 0x7f800000, v32
	s_delay_alu instid0(VALU_DEP_1) | instskip(NEXT) | instid1(SALU_CYCLE_1)
	s_and_saveexec_b32 s2, s1
	s_xor_b32 s1, exec_lo, s2
; %bb.1169:                             ;   in Loop: Header=BB460_8 Depth=1
	v_bfe_u32 v32, v18, 16, 1
	s_delay_alu instid0(VALU_DEP_1)
	v_add3_u32 v133, v18, v32, 0x7fff
                                        ; implicit-def: $vgpr18
; %bb.1170:                             ;   in Loop: Header=BB460_8 Depth=1
	s_and_not1_saveexec_b32 s2, s1
; %bb.1171:                             ;   in Loop: Header=BB460_8 Depth=1
	v_and_b32_e32 v32, 0xffff, v18
	v_or_b32_e32 v33, 0x10000, v18
	s_delay_alu instid0(VALU_DEP_2) | instskip(NEXT) | instid1(VALU_DEP_1)
	v_cmp_eq_u32_e64 s1, 0, v32
	v_cndmask_b32_e64 v133, v33, v18, s1
; %bb.1172:                             ;   in Loop: Header=BB460_8 Depth=1
	s_or_b32 exec_lo, exec_lo, s2
	v_lshrrev_b16 v32, 8, v30
	v_mov_b32_e32 v18, 0
	s_mov_b32 s2, exec_lo
	s_delay_alu instid0(VALU_DEP_2)
	v_cmpx_ne_u16_e32 0, v32
	s_cbranch_execz .LBB460_1180
; %bb.1173:                             ;   in Loop: Header=BB460_8 Depth=1
	v_bfrev_b32_e32 v18, 1
	s_mov_b32 s18, exec_lo
	v_cmpx_ne_u16_e32 0x80, v32
	s_cbranch_execz .LBB460_1179
; %bb.1174:                             ;   in Loop: Header=BB460_8 Depth=1
	v_and_b32_e32 v33, 0xffff, v32
	v_mov_b32_e32 v18, 0x7f800001
	s_mov_b32 s19, exec_lo
	s_delay_alu instid0(VALU_DEP_2) | instskip(NEXT) | instid1(VALU_DEP_1)
	v_and_b32_e32 v32, 0x7f, v33
	v_cmpx_ne_u32_e32 0x7f, v32
	s_cbranch_execz .LBB460_1178
; %bb.1175:                             ;   in Loop: Header=BB460_8 Depth=1
	v_and_b32_e32 v18, 7, v33
	v_lshrrev_b32_e32 v134, 3, v32
	v_cmp_gt_u32_e64 s1, 8, v32
	s_delay_alu instid0(VALU_DEP_3) | instskip(NEXT) | instid1(VALU_DEP_2)
	v_dual_mov_b32 v33, v19 :: v_dual_mov_b32 v32, v18
	s_and_saveexec_b32 s20, s1
; %bb.1176:                             ;   in Loop: Header=BB460_8 Depth=1
	v_clz_i32_u32_e32 v32, v18
	s_delay_alu instid0(VALU_DEP_1) | instskip(NEXT) | instid1(VALU_DEP_1)
	v_min_u32_e32 v134, 32, v32
	v_subrev_nc_u32_e32 v32, 28, v134
	v_sub_nc_u32_e32 v134, 29, v134
	s_delay_alu instid0(VALU_DEP_2) | instskip(NEXT) | instid1(VALU_DEP_1)
	v_lshlrev_b64 v[32:33], v32, v[18:19]
	v_and_b32_e32 v32, 7, v32
; %bb.1177:                             ;   in Loop: Header=BB460_8 Depth=1
	s_or_b32 exec_lo, exec_lo, s20
	v_lshlrev_b32_e32 v18, 16, v30
	s_delay_alu instid0(VALU_DEP_2) | instskip(SKIP_1) | instid1(VALU_DEP_3)
	v_lshlrev_b32_e32 v32, 20, v32
	v_lshl_add_u32 v33, v134, 23, 0x3c000000
	v_and_b32_e32 v18, 0x80000000, v18
	s_delay_alu instid0(VALU_DEP_1)
	v_or3_b32 v18, v32, v18, v33
.LBB460_1178:                           ;   in Loop: Header=BB460_8 Depth=1
	s_or_b32 exec_lo, exec_lo, s19
.LBB460_1179:                           ;   in Loop: Header=BB460_8 Depth=1
	s_delay_alu instid0(SALU_CYCLE_1)
	s_or_b32 exec_lo, exec_lo, s18
.LBB460_1180:                           ;   in Loop: Header=BB460_8 Depth=1
	s_delay_alu instid0(SALU_CYCLE_1) | instskip(NEXT) | instid1(VALU_DEP_1)
	s_or_b32 exec_lo, exec_lo, s2
	v_mul_f32_e32 v18, v136, v18
                                        ; implicit-def: $vgpr134
	s_delay_alu instid0(VALU_DEP_1) | instskip(NEXT) | instid1(VALU_DEP_1)
	v_and_b32_e32 v32, 0x7f800000, v18
	v_cmp_ne_u32_e64 s1, 0x7f800000, v32
	s_delay_alu instid0(VALU_DEP_1) | instskip(NEXT) | instid1(SALU_CYCLE_1)
	s_and_saveexec_b32 s2, s1
	s_xor_b32 s1, exec_lo, s2
; %bb.1181:                             ;   in Loop: Header=BB460_8 Depth=1
	v_bfe_u32 v32, v18, 16, 1
	s_delay_alu instid0(VALU_DEP_1)
	v_add3_u32 v134, v18, v32, 0x7fff
                                        ; implicit-def: $vgpr18
; %bb.1182:                             ;   in Loop: Header=BB460_8 Depth=1
	s_and_not1_saveexec_b32 s2, s1
; %bb.1183:                             ;   in Loop: Header=BB460_8 Depth=1
	v_and_b32_e32 v32, 0xffff, v18
	v_or_b32_e32 v33, 0x10000, v18
	s_delay_alu instid0(VALU_DEP_2) | instskip(NEXT) | instid1(VALU_DEP_1)
	v_cmp_eq_u32_e64 s1, 0, v32
	v_cndmask_b32_e64 v134, v33, v18, s1
; %bb.1184:                             ;   in Loop: Header=BB460_8 Depth=1
	s_or_b32 exec_lo, exec_lo, s2
	v_lshrrev_b32_e32 v135, 16, v30
	v_mov_b32_e32 v18, 0
	s_mov_b32 s2, exec_lo
	s_delay_alu instid0(VALU_DEP_2) | instskip(NEXT) | instid1(VALU_DEP_1)
	v_and_b32_e32 v32, 0xff, v135
	v_cmpx_ne_u16_e32 0, v32
	s_cbranch_execz .LBB460_1192
; %bb.1185:                             ;   in Loop: Header=BB460_8 Depth=1
	v_bfrev_b32_e32 v18, 1
	s_mov_b32 s18, exec_lo
	v_cmpx_ne_u16_e32 0x80, v32
	s_cbranch_execz .LBB460_1191
; %bb.1186:                             ;   in Loop: Header=BB460_8 Depth=1
	v_bfe_u32 v32, v30, 16, 7
	v_mov_b32_e32 v18, 0x7f800001
	s_mov_b32 s19, exec_lo
	s_delay_alu instid0(VALU_DEP_2)
	v_cmpx_ne_u32_e32 0x7f, v32
	s_cbranch_execz .LBB460_1190
; %bb.1187:                             ;   in Loop: Header=BB460_8 Depth=1
	v_and_b32_e32 v18, 7, v135
	v_lshrrev_b32_e32 v144, 3, v32
	v_cmp_gt_u32_e64 s1, 8, v32
	s_delay_alu instid0(VALU_DEP_3) | instskip(NEXT) | instid1(VALU_DEP_2)
	v_dual_mov_b32 v33, v19 :: v_dual_mov_b32 v32, v18
	s_and_saveexec_b32 s20, s1
; %bb.1188:                             ;   in Loop: Header=BB460_8 Depth=1
	v_clz_i32_u32_e32 v32, v18
	s_delay_alu instid0(VALU_DEP_1) | instskip(NEXT) | instid1(VALU_DEP_1)
	v_min_u32_e32 v144, 32, v32
	v_subrev_nc_u32_e32 v32, 28, v144
	v_sub_nc_u32_e32 v144, 29, v144
	s_delay_alu instid0(VALU_DEP_2) | instskip(NEXT) | instid1(VALU_DEP_1)
	v_lshlrev_b64 v[32:33], v32, v[18:19]
	v_and_b32_e32 v32, 7, v32
; %bb.1189:                             ;   in Loop: Header=BB460_8 Depth=1
	s_or_b32 exec_lo, exec_lo, s20
	v_lshlrev_b32_e32 v18, 24, v135
	s_delay_alu instid0(VALU_DEP_2) | instskip(SKIP_1) | instid1(VALU_DEP_3)
	v_lshlrev_b32_e32 v32, 20, v32
	v_lshl_add_u32 v33, v144, 23, 0x3c000000
	v_and_b32_e32 v18, 0x80000000, v18
	s_delay_alu instid0(VALU_DEP_1)
	v_or3_b32 v18, v32, v18, v33
.LBB460_1190:                           ;   in Loop: Header=BB460_8 Depth=1
	s_or_b32 exec_lo, exec_lo, s19
.LBB460_1191:                           ;   in Loop: Header=BB460_8 Depth=1
	s_delay_alu instid0(SALU_CYCLE_1)
	s_or_b32 exec_lo, exec_lo, s18
.LBB460_1192:                           ;   in Loop: Header=BB460_8 Depth=1
	s_delay_alu instid0(SALU_CYCLE_1) | instskip(NEXT) | instid1(VALU_DEP_1)
	s_or_b32 exec_lo, exec_lo, s2
	v_mul_f32_e32 v18, v136, v18
                                        ; implicit-def: $vgpr135
	s_delay_alu instid0(VALU_DEP_1) | instskip(NEXT) | instid1(VALU_DEP_1)
	v_and_b32_e32 v32, 0x7f800000, v18
	v_cmp_ne_u32_e64 s1, 0x7f800000, v32
	s_delay_alu instid0(VALU_DEP_1) | instskip(NEXT) | instid1(SALU_CYCLE_1)
	s_and_saveexec_b32 s2, s1
	s_xor_b32 s1, exec_lo, s2
; %bb.1193:                             ;   in Loop: Header=BB460_8 Depth=1
	v_bfe_u32 v32, v18, 16, 1
	s_delay_alu instid0(VALU_DEP_1)
	v_add3_u32 v135, v18, v32, 0x7fff
                                        ; implicit-def: $vgpr18
; %bb.1194:                             ;   in Loop: Header=BB460_8 Depth=1
	s_and_not1_saveexec_b32 s2, s1
; %bb.1195:                             ;   in Loop: Header=BB460_8 Depth=1
	v_and_b32_e32 v32, 0xffff, v18
	v_or_b32_e32 v33, 0x10000, v18
	s_delay_alu instid0(VALU_DEP_2) | instskip(NEXT) | instid1(VALU_DEP_1)
	v_cmp_eq_u32_e64 s1, 0, v32
	v_cndmask_b32_e64 v135, v33, v18, s1
; %bb.1196:                             ;   in Loop: Header=BB460_8 Depth=1
	s_or_b32 exec_lo, exec_lo, s2
	v_mov_b32_e32 v18, 0
	s_mov_b32 s2, exec_lo
	v_cmpx_lt_u32_e32 0xffffff, v30
	s_cbranch_execz .LBB460_1204
; %bb.1197:                             ;   in Loop: Header=BB460_8 Depth=1
	v_lshrrev_b32_e32 v144, 24, v30
	v_bfrev_b32_e32 v18, 1
	s_mov_b32 s18, exec_lo
	s_delay_alu instid0(VALU_DEP_2)
	v_cmpx_ne_u32_e32 0x80, v144
	s_cbranch_execz .LBB460_1203
; %bb.1198:                             ;   in Loop: Header=BB460_8 Depth=1
	v_bfe_u32 v32, v30, 24, 7
	v_mov_b32_e32 v18, 0x7f800001
	s_mov_b32 s19, exec_lo
	s_delay_alu instid0(VALU_DEP_2)
	v_cmpx_ne_u32_e32 0x7f, v32
	s_cbranch_execz .LBB460_1202
; %bb.1199:                             ;   in Loop: Header=BB460_8 Depth=1
	v_and_b32_e32 v18, 7, v144
	v_lshrrev_b32_e32 v145, 3, v32
	v_cmp_gt_u32_e64 s1, 8, v32
	s_delay_alu instid0(VALU_DEP_3) | instskip(NEXT) | instid1(VALU_DEP_2)
	v_dual_mov_b32 v33, v19 :: v_dual_mov_b32 v32, v18
	s_and_saveexec_b32 s20, s1
; %bb.1200:                             ;   in Loop: Header=BB460_8 Depth=1
	v_clz_i32_u32_e32 v32, v18
	s_delay_alu instid0(VALU_DEP_1) | instskip(NEXT) | instid1(VALU_DEP_1)
	v_min_u32_e32 v145, 32, v32
	v_subrev_nc_u32_e32 v32, 28, v145
	v_sub_nc_u32_e32 v145, 29, v145
	s_delay_alu instid0(VALU_DEP_2) | instskip(NEXT) | instid1(VALU_DEP_1)
	v_lshlrev_b64 v[32:33], v32, v[18:19]
	v_and_b32_e32 v32, 7, v32
; %bb.1201:                             ;   in Loop: Header=BB460_8 Depth=1
	s_or_b32 exec_lo, exec_lo, s20
	v_lshlrev_b32_e32 v18, 24, v144
	s_delay_alu instid0(VALU_DEP_2) | instskip(SKIP_1) | instid1(VALU_DEP_3)
	v_lshlrev_b32_e32 v32, 20, v32
	v_lshl_add_u32 v33, v145, 23, 0x3c000000
	v_and_b32_e32 v18, 0x80000000, v18
	s_delay_alu instid0(VALU_DEP_1)
	v_or3_b32 v18, v32, v18, v33
.LBB460_1202:                           ;   in Loop: Header=BB460_8 Depth=1
	s_or_b32 exec_lo, exec_lo, s19
.LBB460_1203:                           ;   in Loop: Header=BB460_8 Depth=1
	s_delay_alu instid0(SALU_CYCLE_1)
	s_or_b32 exec_lo, exec_lo, s18
.LBB460_1204:                           ;   in Loop: Header=BB460_8 Depth=1
	s_delay_alu instid0(SALU_CYCLE_1) | instskip(NEXT) | instid1(VALU_DEP_1)
	s_or_b32 exec_lo, exec_lo, s2
	v_mul_f32_e32 v18, v136, v18
                                        ; implicit-def: $vgpr144
	s_delay_alu instid0(VALU_DEP_1) | instskip(NEXT) | instid1(VALU_DEP_1)
	v_and_b32_e32 v32, 0x7f800000, v18
	v_cmp_ne_u32_e64 s1, 0x7f800000, v32
	s_delay_alu instid0(VALU_DEP_1) | instskip(NEXT) | instid1(SALU_CYCLE_1)
	s_and_saveexec_b32 s2, s1
	s_xor_b32 s1, exec_lo, s2
; %bb.1205:                             ;   in Loop: Header=BB460_8 Depth=1
	v_bfe_u32 v32, v18, 16, 1
	s_delay_alu instid0(VALU_DEP_1)
	v_add3_u32 v144, v18, v32, 0x7fff
                                        ; implicit-def: $vgpr18
; %bb.1206:                             ;   in Loop: Header=BB460_8 Depth=1
	s_and_not1_saveexec_b32 s2, s1
; %bb.1207:                             ;   in Loop: Header=BB460_8 Depth=1
	v_and_b32_e32 v32, 0xffff, v18
	v_or_b32_e32 v33, 0x10000, v18
	s_delay_alu instid0(VALU_DEP_2) | instskip(NEXT) | instid1(VALU_DEP_1)
	v_cmp_eq_u32_e64 s1, 0, v32
	v_cndmask_b32_e64 v144, v33, v18, s1
; %bb.1208:                             ;   in Loop: Header=BB460_8 Depth=1
	s_or_b32 exec_lo, exec_lo, s2
	v_dual_mov_b32 v18, v31 :: v_dual_and_b32 v33, 0xff, v31
	v_mov_b32_e32 v32, 0
	s_mov_b32 s2, exec_lo
	s_delay_alu instid0(VALU_DEP_2)
	v_cmpx_ne_u16_e32 0, v33
	s_cbranch_execz .LBB460_1216
; %bb.1209:                             ;   in Loop: Header=BB460_8 Depth=1
	v_bfrev_b32_e32 v32, 1
	s_mov_b32 s18, exec_lo
	v_cmpx_ne_u16_e32 0x80, v33
	s_cbranch_execz .LBB460_1215
; %bb.1210:                             ;   in Loop: Header=BB460_8 Depth=1
	v_and_b32_e32 v33, 0x7f, v31
	v_mov_b32_e32 v32, 0x7f800001
	s_mov_b32 s19, exec_lo
	s_delay_alu instid0(VALU_DEP_2)
	v_cmpx_ne_u32_e32 0x7f, v33
	s_cbranch_execz .LBB460_1214
; %bb.1211:                             ;   in Loop: Header=BB460_8 Depth=1
	v_lshrrev_b32_e32 v145, 3, v33
	v_cmp_gt_u32_e64 s1, 8, v33
	v_dual_mov_b32 v33, v19 :: v_dual_mov_b32 v32, v18
	s_delay_alu instid0(VALU_DEP_2)
	s_and_saveexec_b32 s20, s1
; %bb.1212:                             ;   in Loop: Header=BB460_8 Depth=1
	v_and_b32_e32 v32, 7, v31
	s_delay_alu instid0(VALU_DEP_1) | instskip(NEXT) | instid1(VALU_DEP_1)
	v_clz_i32_u32_e32 v32, v32
	v_min_u32_e32 v145, 32, v32
	s_delay_alu instid0(VALU_DEP_1) | instskip(SKIP_1) | instid1(VALU_DEP_2)
	v_subrev_nc_u32_e32 v32, 28, v145
	v_sub_nc_u32_e32 v145, 29, v145
	v_lshlrev_b64 v[32:33], v32, v[18:19]
; %bb.1213:                             ;   in Loop: Header=BB460_8 Depth=1
	s_or_b32 exec_lo, exec_lo, s20
	s_delay_alu instid0(VALU_DEP_1) | instskip(SKIP_2) | instid1(VALU_DEP_3)
	v_lshlrev_b32_e32 v32, 20, v32
	v_lshlrev_b32_e32 v33, 24, v18
	v_lshl_add_u32 v145, v145, 23, 0x3c000000
	v_and_b32_e32 v32, 0x700000, v32
	s_delay_alu instid0(VALU_DEP_3) | instskip(NEXT) | instid1(VALU_DEP_1)
	v_and_b32_e32 v33, 0x80000000, v33
	v_or3_b32 v32, v32, v33, v145
.LBB460_1214:                           ;   in Loop: Header=BB460_8 Depth=1
	s_or_b32 exec_lo, exec_lo, s19
.LBB460_1215:                           ;   in Loop: Header=BB460_8 Depth=1
	s_delay_alu instid0(SALU_CYCLE_1)
	s_or_b32 exec_lo, exec_lo, s18
.LBB460_1216:                           ;   in Loop: Header=BB460_8 Depth=1
	s_delay_alu instid0(SALU_CYCLE_1) | instskip(NEXT) | instid1(VALU_DEP_1)
	s_or_b32 exec_lo, exec_lo, s2
	v_mul_f32_e32 v32, v136, v32
                                        ; implicit-def: $vgpr145
	s_delay_alu instid0(VALU_DEP_1) | instskip(NEXT) | instid1(VALU_DEP_1)
	v_and_b32_e32 v33, 0x7f800000, v32
	v_cmp_ne_u32_e64 s1, 0x7f800000, v33
	s_delay_alu instid0(VALU_DEP_1) | instskip(NEXT) | instid1(SALU_CYCLE_1)
	s_and_saveexec_b32 s2, s1
	s_xor_b32 s1, exec_lo, s2
; %bb.1217:                             ;   in Loop: Header=BB460_8 Depth=1
	v_bfe_u32 v33, v32, 16, 1
	s_delay_alu instid0(VALU_DEP_1)
	v_add3_u32 v145, v32, v33, 0x7fff
                                        ; implicit-def: $vgpr32
; %bb.1218:                             ;   in Loop: Header=BB460_8 Depth=1
	s_and_not1_saveexec_b32 s2, s1
; %bb.1219:                             ;   in Loop: Header=BB460_8 Depth=1
	v_and_b32_e32 v33, 0xffff, v32
	v_or_b32_e32 v145, 0x10000, v32
	s_delay_alu instid0(VALU_DEP_2) | instskip(NEXT) | instid1(VALU_DEP_1)
	v_cmp_eq_u32_e64 s1, 0, v33
	v_cndmask_b32_e64 v145, v145, v32, s1
; %bb.1220:                             ;   in Loop: Header=BB460_8 Depth=1
	s_or_b32 exec_lo, exec_lo, s2
	v_lshrrev_b16 v33, 8, v18
	v_mov_b32_e32 v32, 0
	s_mov_b32 s2, exec_lo
	s_delay_alu instid0(VALU_DEP_2)
	v_cmpx_ne_u16_e32 0, v33
	s_cbranch_execz .LBB460_1228
; %bb.1221:                             ;   in Loop: Header=BB460_8 Depth=1
	v_bfrev_b32_e32 v32, 1
	s_mov_b32 s18, exec_lo
	v_cmpx_ne_u16_e32 0x80, v33
	s_cbranch_execz .LBB460_1227
; %bb.1222:                             ;   in Loop: Header=BB460_8 Depth=1
	v_and_b32_e32 v33, 0xffff, v33
	v_mov_b32_e32 v32, 0x7f800001
	s_mov_b32 s19, exec_lo
	s_delay_alu instid0(VALU_DEP_2) | instskip(NEXT) | instid1(VALU_DEP_1)
	v_and_b32_e32 v147, 0x7f, v33
	v_cmpx_ne_u32_e32 0x7f, v147
	s_cbranch_execz .LBB460_1226
; %bb.1223:                             ;   in Loop: Header=BB460_8 Depth=1
	v_dual_mov_b32 v33, v19 :: v_dual_and_b32 v32, 7, v33
	v_lshrrev_b32_e32 v146, 3, v147
	s_mov_b32 s20, exec_lo
	v_cmpx_gt_u32_e32 8, v147
; %bb.1224:                             ;   in Loop: Header=BB460_8 Depth=1
	s_delay_alu instid0(VALU_DEP_3) | instskip(NEXT) | instid1(VALU_DEP_1)
	v_clz_i32_u32_e32 v146, v32
	v_min_u32_e32 v146, 32, v146
	s_delay_alu instid0(VALU_DEP_1) | instskip(SKIP_1) | instid1(VALU_DEP_2)
	v_subrev_nc_u32_e32 v147, 28, v146
	v_sub_nc_u32_e32 v146, 29, v146
	v_lshlrev_b64 v[32:33], v147, v[32:33]
	s_delay_alu instid0(VALU_DEP_1)
	v_and_b32_e32 v32, 7, v32
; %bb.1225:                             ;   in Loop: Header=BB460_8 Depth=1
	s_or_b32 exec_lo, exec_lo, s20
	v_lshlrev_b32_e32 v18, 16, v18
	s_delay_alu instid0(VALU_DEP_2) | instskip(SKIP_1) | instid1(VALU_DEP_3)
	v_lshlrev_b32_e32 v32, 20, v32
	v_lshl_add_u32 v33, v146, 23, 0x3c000000
	v_and_b32_e32 v18, 0x80000000, v18
	s_delay_alu instid0(VALU_DEP_1)
	v_or3_b32 v32, v32, v18, v33
.LBB460_1226:                           ;   in Loop: Header=BB460_8 Depth=1
	s_or_b32 exec_lo, exec_lo, s19
.LBB460_1227:                           ;   in Loop: Header=BB460_8 Depth=1
	s_delay_alu instid0(SALU_CYCLE_1)
	s_or_b32 exec_lo, exec_lo, s18
.LBB460_1228:                           ;   in Loop: Header=BB460_8 Depth=1
	s_delay_alu instid0(SALU_CYCLE_1) | instskip(NEXT) | instid1(VALU_DEP_1)
	s_or_b32 exec_lo, exec_lo, s2
	v_mul_f32_e32 v18, v136, v32
                                        ; implicit-def: $vgpr146
	s_delay_alu instid0(VALU_DEP_1) | instskip(NEXT) | instid1(VALU_DEP_1)
	v_and_b32_e32 v32, 0x7f800000, v18
	v_cmp_ne_u32_e64 s1, 0x7f800000, v32
	s_delay_alu instid0(VALU_DEP_1) | instskip(NEXT) | instid1(SALU_CYCLE_1)
	s_and_saveexec_b32 s2, s1
	s_xor_b32 s1, exec_lo, s2
; %bb.1229:                             ;   in Loop: Header=BB460_8 Depth=1
	v_bfe_u32 v32, v18, 16, 1
	s_delay_alu instid0(VALU_DEP_1)
	v_add3_u32 v146, v18, v32, 0x7fff
                                        ; implicit-def: $vgpr18
; %bb.1230:                             ;   in Loop: Header=BB460_8 Depth=1
	s_and_not1_saveexec_b32 s2, s1
; %bb.1231:                             ;   in Loop: Header=BB460_8 Depth=1
	v_and_b32_e32 v32, 0xffff, v18
	v_or_b32_e32 v33, 0x10000, v18
	s_delay_alu instid0(VALU_DEP_2) | instskip(NEXT) | instid1(VALU_DEP_1)
	v_cmp_eq_u32_e64 s1, 0, v32
	v_cndmask_b32_e64 v146, v33, v18, s1
; %bb.1232:                             ;   in Loop: Header=BB460_8 Depth=1
	s_or_b32 exec_lo, exec_lo, s2
	v_lshrrev_b32_e32 v147, 16, v31
	v_mov_b32_e32 v18, 0
	s_mov_b32 s2, exec_lo
	s_delay_alu instid0(VALU_DEP_2) | instskip(NEXT) | instid1(VALU_DEP_1)
	v_and_b32_e32 v32, 0xff, v147
	v_cmpx_ne_u16_e32 0, v32
	s_cbranch_execz .LBB460_1240
; %bb.1233:                             ;   in Loop: Header=BB460_8 Depth=1
	v_bfrev_b32_e32 v18, 1
	s_mov_b32 s18, exec_lo
	v_cmpx_ne_u16_e32 0x80, v32
	s_cbranch_execz .LBB460_1239
; %bb.1234:                             ;   in Loop: Header=BB460_8 Depth=1
	v_bfe_u32 v32, v31, 16, 7
	v_mov_b32_e32 v18, 0x7f800001
	s_mov_b32 s19, exec_lo
	s_delay_alu instid0(VALU_DEP_2)
	v_cmpx_ne_u32_e32 0x7f, v32
	s_cbranch_execz .LBB460_1238
; %bb.1235:                             ;   in Loop: Header=BB460_8 Depth=1
	v_and_b32_e32 v18, 7, v147
	v_lshrrev_b32_e32 v148, 3, v32
	v_cmp_gt_u32_e64 s1, 8, v32
	s_delay_alu instid0(VALU_DEP_3) | instskip(NEXT) | instid1(VALU_DEP_2)
	v_dual_mov_b32 v33, v19 :: v_dual_mov_b32 v32, v18
	s_and_saveexec_b32 s20, s1
; %bb.1236:                             ;   in Loop: Header=BB460_8 Depth=1
	v_clz_i32_u32_e32 v32, v18
	s_delay_alu instid0(VALU_DEP_1) | instskip(NEXT) | instid1(VALU_DEP_1)
	v_min_u32_e32 v148, 32, v32
	v_subrev_nc_u32_e32 v32, 28, v148
	v_sub_nc_u32_e32 v148, 29, v148
	s_delay_alu instid0(VALU_DEP_2) | instskip(NEXT) | instid1(VALU_DEP_1)
	v_lshlrev_b64 v[32:33], v32, v[18:19]
	v_and_b32_e32 v32, 7, v32
; %bb.1237:                             ;   in Loop: Header=BB460_8 Depth=1
	s_or_b32 exec_lo, exec_lo, s20
	v_lshlrev_b32_e32 v18, 24, v147
	s_delay_alu instid0(VALU_DEP_2) | instskip(SKIP_1) | instid1(VALU_DEP_3)
	v_lshlrev_b32_e32 v32, 20, v32
	v_lshl_add_u32 v33, v148, 23, 0x3c000000
	v_and_b32_e32 v18, 0x80000000, v18
	s_delay_alu instid0(VALU_DEP_1)
	v_or3_b32 v18, v32, v18, v33
.LBB460_1238:                           ;   in Loop: Header=BB460_8 Depth=1
	s_or_b32 exec_lo, exec_lo, s19
.LBB460_1239:                           ;   in Loop: Header=BB460_8 Depth=1
	s_delay_alu instid0(SALU_CYCLE_1)
	s_or_b32 exec_lo, exec_lo, s18
.LBB460_1240:                           ;   in Loop: Header=BB460_8 Depth=1
	s_delay_alu instid0(SALU_CYCLE_1) | instskip(NEXT) | instid1(VALU_DEP_1)
	s_or_b32 exec_lo, exec_lo, s2
	v_mul_f32_e32 v18, v136, v18
	s_delay_alu instid0(VALU_DEP_1) | instskip(NEXT) | instid1(VALU_DEP_1)
	v_and_b32_e32 v32, 0x7f800000, v18
	v_cmp_ne_u32_e64 s1, 0x7f800000, v32
                                        ; implicit-def: $vgpr32
	s_delay_alu instid0(VALU_DEP_1) | instskip(NEXT) | instid1(SALU_CYCLE_1)
	s_and_saveexec_b32 s2, s1
	s_xor_b32 s1, exec_lo, s2
; %bb.1241:                             ;   in Loop: Header=BB460_8 Depth=1
	v_bfe_u32 v32, v18, 16, 1
	s_delay_alu instid0(VALU_DEP_1)
	v_add3_u32 v32, v18, v32, 0x7fff
                                        ; implicit-def: $vgpr18
; %bb.1242:                             ;   in Loop: Header=BB460_8 Depth=1
	s_and_not1_saveexec_b32 s2, s1
; %bb.1243:                             ;   in Loop: Header=BB460_8 Depth=1
	v_and_b32_e32 v32, 0xffff, v18
	v_or_b32_e32 v33, 0x10000, v18
	s_delay_alu instid0(VALU_DEP_2) | instskip(NEXT) | instid1(VALU_DEP_1)
	v_cmp_eq_u32_e64 s1, 0, v32
	v_cndmask_b32_e64 v32, v33, v18, s1
; %bb.1244:                             ;   in Loop: Header=BB460_8 Depth=1
	s_or_b32 exec_lo, exec_lo, s2
	v_mov_b32_e32 v18, 0
	s_mov_b32 s2, exec_lo
	v_cmpx_lt_u64_e64 s[8:9], v[30:31]
	s_cbranch_execz .LBB460_1252
; %bb.1245:                             ;   in Loop: Header=BB460_8 Depth=1
	v_lshrrev_b32_e32 v33, 24, v31
	v_bfrev_b32_e32 v18, 1
	s_mov_b32 s18, exec_lo
	s_delay_alu instid0(VALU_DEP_2)
	v_cmpx_ne_u32_e32 0x80, v33
	s_cbranch_execz .LBB460_1251
; %bb.1246:                             ;   in Loop: Header=BB460_8 Depth=1
	v_bfe_u32 v30, v31, 24, 7
	v_mov_b32_e32 v18, 0x7f800001
	s_mov_b32 s19, exec_lo
	s_delay_alu instid0(VALU_DEP_2)
	v_cmpx_ne_u32_e32 0x7f, v30
	s_cbranch_execz .LBB460_1250
; %bb.1247:                             ;   in Loop: Header=BB460_8 Depth=1
	v_and_b32_e32 v18, 7, v33
	v_lshrrev_b32_e32 v147, 3, v30
	v_cmp_gt_u32_e64 s1, 8, v30
	s_delay_alu instid0(VALU_DEP_3) | instskip(NEXT) | instid1(VALU_DEP_2)
	v_dual_mov_b32 v31, v19 :: v_dual_mov_b32 v30, v18
	s_and_saveexec_b32 s20, s1
; %bb.1248:                             ;   in Loop: Header=BB460_8 Depth=1
	v_clz_i32_u32_e32 v30, v18
	s_delay_alu instid0(VALU_DEP_1) | instskip(NEXT) | instid1(VALU_DEP_1)
	v_min_u32_e32 v147, 32, v30
	v_subrev_nc_u32_e32 v30, 28, v147
	v_sub_nc_u32_e32 v147, 29, v147
	s_delay_alu instid0(VALU_DEP_2) | instskip(NEXT) | instid1(VALU_DEP_1)
	v_lshlrev_b64 v[30:31], v30, v[18:19]
	v_and_b32_e32 v30, 7, v30
; %bb.1249:                             ;   in Loop: Header=BB460_8 Depth=1
	s_or_b32 exec_lo, exec_lo, s20
	v_lshlrev_b32_e32 v18, 24, v33
	s_delay_alu instid0(VALU_DEP_2) | instskip(SKIP_1) | instid1(VALU_DEP_3)
	v_lshlrev_b32_e32 v30, 20, v30
	v_lshl_add_u32 v31, v147, 23, 0x3c000000
	v_and_b32_e32 v18, 0x80000000, v18
	s_delay_alu instid0(VALU_DEP_1)
	v_or3_b32 v18, v30, v18, v31
.LBB460_1250:                           ;   in Loop: Header=BB460_8 Depth=1
	s_or_b32 exec_lo, exec_lo, s19
.LBB460_1251:                           ;   in Loop: Header=BB460_8 Depth=1
	s_delay_alu instid0(SALU_CYCLE_1)
	s_or_b32 exec_lo, exec_lo, s18
.LBB460_1252:                           ;   in Loop: Header=BB460_8 Depth=1
	s_delay_alu instid0(SALU_CYCLE_1) | instskip(NEXT) | instid1(VALU_DEP_1)
	s_or_b32 exec_lo, exec_lo, s2
	v_mul_f32_e32 v18, v136, v18
                                        ; implicit-def: $vgpr33
	s_delay_alu instid0(VALU_DEP_1) | instskip(NEXT) | instid1(VALU_DEP_1)
	v_and_b32_e32 v30, 0x7f800000, v18
	v_cmp_ne_u32_e64 s1, 0x7f800000, v30
	s_delay_alu instid0(VALU_DEP_1) | instskip(NEXT) | instid1(SALU_CYCLE_1)
	s_and_saveexec_b32 s2, s1
	s_xor_b32 s1, exec_lo, s2
; %bb.1253:                             ;   in Loop: Header=BB460_8 Depth=1
	v_bfe_u32 v30, v18, 16, 1
	s_delay_alu instid0(VALU_DEP_1)
	v_add3_u32 v33, v18, v30, 0x7fff
                                        ; implicit-def: $vgpr18
; %bb.1254:                             ;   in Loop: Header=BB460_8 Depth=1
	s_and_not1_saveexec_b32 s2, s1
; %bb.1255:                             ;   in Loop: Header=BB460_8 Depth=1
	v_and_b32_e32 v30, 0xffff, v18
	v_or_b32_e32 v31, 0x10000, v18
	s_delay_alu instid0(VALU_DEP_2) | instskip(NEXT) | instid1(VALU_DEP_1)
	v_cmp_eq_u32_e64 s1, 0, v30
	v_cndmask_b32_e64 v33, v31, v18, s1
; %bb.1256:                             ;   in Loop: Header=BB460_8 Depth=1
	s_or_b32 exec_lo, exec_lo, s2
	flat_load_b64 v[28:29], v[28:29] offset:3080
	v_mov_b32_e32 v18, 0
	s_mov_b32 s2, exec_lo
	s_waitcnt vmcnt(0) lgkmcnt(0)
	v_and_b32_e32 v30, 0xff, v28
	s_delay_alu instid0(VALU_DEP_1)
	v_cmpx_ne_u16_e32 0, v30
	s_cbranch_execz .LBB460_1264
; %bb.1257:                             ;   in Loop: Header=BB460_8 Depth=1
	v_bfrev_b32_e32 v18, 1
	s_mov_b32 s18, exec_lo
	v_cmpx_ne_u16_e32 0x80, v30
	s_cbranch_execz .LBB460_1263
; %bb.1258:                             ;   in Loop: Header=BB460_8 Depth=1
	v_and_b32_e32 v30, 0x7f, v28
	v_mov_b32_e32 v18, 0x7f800001
	s_mov_b32 s19, exec_lo
	s_delay_alu instid0(VALU_DEP_2)
	v_cmpx_ne_u32_e32 0x7f, v30
	s_cbranch_execz .LBB460_1262
; %bb.1259:                             ;   in Loop: Header=BB460_8 Depth=1
	v_lshrrev_b32_e32 v18, 3, v30
	v_cmp_gt_u32_e64 s1, 8, v30
	v_dual_mov_b32 v31, v29 :: v_dual_mov_b32 v30, v28
	s_delay_alu instid0(VALU_DEP_2)
	s_and_saveexec_b32 s20, s1
; %bb.1260:                             ;   in Loop: Header=BB460_8 Depth=1
	v_and_b32_e32 v18, 7, v28
	s_delay_alu instid0(VALU_DEP_1) | instskip(NEXT) | instid1(VALU_DEP_1)
	v_clz_i32_u32_e32 v18, v18
	v_min_u32_e32 v18, 32, v18
	s_delay_alu instid0(VALU_DEP_1) | instskip(SKIP_1) | instid1(VALU_DEP_2)
	v_subrev_nc_u32_e32 v30, 28, v18
	v_sub_nc_u32_e32 v18, 29, v18
	v_lshlrev_b64 v[30:31], v30, v[28:29]
; %bb.1261:                             ;   in Loop: Header=BB460_8 Depth=1
	s_or_b32 exec_lo, exec_lo, s20
	s_delay_alu instid0(VALU_DEP_1) | instskip(SKIP_2) | instid1(VALU_DEP_3)
	v_lshlrev_b32_e32 v30, 20, v30
	v_lshlrev_b32_e32 v31, 24, v28
	v_lshl_add_u32 v18, v18, 23, 0x3c000000
	v_and_b32_e32 v30, 0x700000, v30
	s_delay_alu instid0(VALU_DEP_3) | instskip(NEXT) | instid1(VALU_DEP_1)
	v_and_b32_e32 v31, 0x80000000, v31
	v_or3_b32 v18, v30, v31, v18
.LBB460_1262:                           ;   in Loop: Header=BB460_8 Depth=1
	s_or_b32 exec_lo, exec_lo, s19
.LBB460_1263:                           ;   in Loop: Header=BB460_8 Depth=1
	s_delay_alu instid0(SALU_CYCLE_1)
	s_or_b32 exec_lo, exec_lo, s18
.LBB460_1264:                           ;   in Loop: Header=BB460_8 Depth=1
	s_delay_alu instid0(SALU_CYCLE_1) | instskip(NEXT) | instid1(VALU_DEP_1)
	s_or_b32 exec_lo, exec_lo, s2
	v_mul_f32_e32 v18, v136, v18
                                        ; implicit-def: $vgpr147
	s_delay_alu instid0(VALU_DEP_1) | instskip(NEXT) | instid1(VALU_DEP_1)
	v_and_b32_e32 v30, 0x7f800000, v18
	v_cmp_ne_u32_e64 s1, 0x7f800000, v30
	s_delay_alu instid0(VALU_DEP_1) | instskip(NEXT) | instid1(SALU_CYCLE_1)
	s_and_saveexec_b32 s2, s1
	s_xor_b32 s1, exec_lo, s2
; %bb.1265:                             ;   in Loop: Header=BB460_8 Depth=1
	v_bfe_u32 v30, v18, 16, 1
	s_delay_alu instid0(VALU_DEP_1)
	v_add3_u32 v147, v18, v30, 0x7fff
                                        ; implicit-def: $vgpr18
; %bb.1266:                             ;   in Loop: Header=BB460_8 Depth=1
	s_and_not1_saveexec_b32 s2, s1
; %bb.1267:                             ;   in Loop: Header=BB460_8 Depth=1
	v_and_b32_e32 v30, 0xffff, v18
	v_or_b32_e32 v31, 0x10000, v18
	s_delay_alu instid0(VALU_DEP_2) | instskip(NEXT) | instid1(VALU_DEP_1)
	v_cmp_eq_u32_e64 s1, 0, v30
	v_cndmask_b32_e64 v147, v31, v18, s1
; %bb.1268:                             ;   in Loop: Header=BB460_8 Depth=1
	s_or_b32 exec_lo, exec_lo, s2
	v_lshrrev_b16 v30, 8, v28
	v_mov_b32_e32 v18, 0
	s_mov_b32 s2, exec_lo
	s_delay_alu instid0(VALU_DEP_2)
	v_cmpx_ne_u16_e32 0, v30
	s_cbranch_execz .LBB460_1276
; %bb.1269:                             ;   in Loop: Header=BB460_8 Depth=1
	v_bfrev_b32_e32 v18, 1
	s_mov_b32 s18, exec_lo
	v_cmpx_ne_u16_e32 0x80, v30
	s_cbranch_execz .LBB460_1275
; %bb.1270:                             ;   in Loop: Header=BB460_8 Depth=1
	v_and_b32_e32 v31, 0xffff, v30
	v_mov_b32_e32 v18, 0x7f800001
	s_mov_b32 s19, exec_lo
	s_delay_alu instid0(VALU_DEP_2) | instskip(NEXT) | instid1(VALU_DEP_1)
	v_and_b32_e32 v30, 0x7f, v31
	v_cmpx_ne_u32_e32 0x7f, v30
	s_cbranch_execz .LBB460_1274
; %bb.1271:                             ;   in Loop: Header=BB460_8 Depth=1
	v_and_b32_e32 v18, 7, v31
	v_lshrrev_b32_e32 v148, 3, v30
	v_cmp_gt_u32_e64 s1, 8, v30
	s_delay_alu instid0(VALU_DEP_3) | instskip(NEXT) | instid1(VALU_DEP_2)
	v_dual_mov_b32 v31, v19 :: v_dual_mov_b32 v30, v18
	s_and_saveexec_b32 s20, s1
; %bb.1272:                             ;   in Loop: Header=BB460_8 Depth=1
	v_clz_i32_u32_e32 v30, v18
	s_delay_alu instid0(VALU_DEP_1) | instskip(NEXT) | instid1(VALU_DEP_1)
	v_min_u32_e32 v148, 32, v30
	v_subrev_nc_u32_e32 v30, 28, v148
	v_sub_nc_u32_e32 v148, 29, v148
	s_delay_alu instid0(VALU_DEP_2) | instskip(NEXT) | instid1(VALU_DEP_1)
	v_lshlrev_b64 v[30:31], v30, v[18:19]
	v_and_b32_e32 v30, 7, v30
; %bb.1273:                             ;   in Loop: Header=BB460_8 Depth=1
	s_or_b32 exec_lo, exec_lo, s20
	v_lshlrev_b32_e32 v18, 16, v28
	s_delay_alu instid0(VALU_DEP_2) | instskip(SKIP_1) | instid1(VALU_DEP_3)
	v_lshlrev_b32_e32 v30, 20, v30
	v_lshl_add_u32 v31, v148, 23, 0x3c000000
	v_and_b32_e32 v18, 0x80000000, v18
	s_delay_alu instid0(VALU_DEP_1)
	v_or3_b32 v18, v30, v18, v31
.LBB460_1274:                           ;   in Loop: Header=BB460_8 Depth=1
	s_or_b32 exec_lo, exec_lo, s19
.LBB460_1275:                           ;   in Loop: Header=BB460_8 Depth=1
	s_delay_alu instid0(SALU_CYCLE_1)
	s_or_b32 exec_lo, exec_lo, s18
.LBB460_1276:                           ;   in Loop: Header=BB460_8 Depth=1
	s_delay_alu instid0(SALU_CYCLE_1) | instskip(NEXT) | instid1(VALU_DEP_1)
	s_or_b32 exec_lo, exec_lo, s2
	v_mul_f32_e32 v18, v136, v18
                                        ; implicit-def: $vgpr148
	s_delay_alu instid0(VALU_DEP_1) | instskip(NEXT) | instid1(VALU_DEP_1)
	v_and_b32_e32 v30, 0x7f800000, v18
	v_cmp_ne_u32_e64 s1, 0x7f800000, v30
	s_delay_alu instid0(VALU_DEP_1) | instskip(NEXT) | instid1(SALU_CYCLE_1)
	s_and_saveexec_b32 s2, s1
	s_xor_b32 s1, exec_lo, s2
; %bb.1277:                             ;   in Loop: Header=BB460_8 Depth=1
	v_bfe_u32 v30, v18, 16, 1
	s_delay_alu instid0(VALU_DEP_1)
	v_add3_u32 v148, v18, v30, 0x7fff
                                        ; implicit-def: $vgpr18
; %bb.1278:                             ;   in Loop: Header=BB460_8 Depth=1
	s_and_not1_saveexec_b32 s2, s1
; %bb.1279:                             ;   in Loop: Header=BB460_8 Depth=1
	v_and_b32_e32 v30, 0xffff, v18
	v_or_b32_e32 v31, 0x10000, v18
	s_delay_alu instid0(VALU_DEP_2) | instskip(NEXT) | instid1(VALU_DEP_1)
	v_cmp_eq_u32_e64 s1, 0, v30
	v_cndmask_b32_e64 v148, v31, v18, s1
; %bb.1280:                             ;   in Loop: Header=BB460_8 Depth=1
	s_or_b32 exec_lo, exec_lo, s2
	v_lshrrev_b32_e32 v149, 16, v28
	v_mov_b32_e32 v18, 0
	s_mov_b32 s2, exec_lo
	s_delay_alu instid0(VALU_DEP_2) | instskip(NEXT) | instid1(VALU_DEP_1)
	v_and_b32_e32 v30, 0xff, v149
	v_cmpx_ne_u16_e32 0, v30
	s_cbranch_execz .LBB460_1288
; %bb.1281:                             ;   in Loop: Header=BB460_8 Depth=1
	v_bfrev_b32_e32 v18, 1
	s_mov_b32 s18, exec_lo
	v_cmpx_ne_u16_e32 0x80, v30
	s_cbranch_execz .LBB460_1287
; %bb.1282:                             ;   in Loop: Header=BB460_8 Depth=1
	v_bfe_u32 v30, v28, 16, 7
	v_mov_b32_e32 v18, 0x7f800001
	s_mov_b32 s19, exec_lo
	s_delay_alu instid0(VALU_DEP_2)
	v_cmpx_ne_u32_e32 0x7f, v30
	s_cbranch_execz .LBB460_1286
; %bb.1283:                             ;   in Loop: Header=BB460_8 Depth=1
	v_and_b32_e32 v18, 7, v149
	v_lshrrev_b32_e32 v150, 3, v30
	v_cmp_gt_u32_e64 s1, 8, v30
	s_delay_alu instid0(VALU_DEP_3) | instskip(NEXT) | instid1(VALU_DEP_2)
	v_dual_mov_b32 v31, v19 :: v_dual_mov_b32 v30, v18
	s_and_saveexec_b32 s20, s1
; %bb.1284:                             ;   in Loop: Header=BB460_8 Depth=1
	v_clz_i32_u32_e32 v30, v18
	s_delay_alu instid0(VALU_DEP_1) | instskip(NEXT) | instid1(VALU_DEP_1)
	v_min_u32_e32 v150, 32, v30
	v_subrev_nc_u32_e32 v30, 28, v150
	v_sub_nc_u32_e32 v150, 29, v150
	s_delay_alu instid0(VALU_DEP_2) | instskip(NEXT) | instid1(VALU_DEP_1)
	v_lshlrev_b64 v[30:31], v30, v[18:19]
	v_and_b32_e32 v30, 7, v30
; %bb.1285:                             ;   in Loop: Header=BB460_8 Depth=1
	s_or_b32 exec_lo, exec_lo, s20
	v_lshlrev_b32_e32 v18, 24, v149
	s_delay_alu instid0(VALU_DEP_2) | instskip(SKIP_1) | instid1(VALU_DEP_3)
	v_lshlrev_b32_e32 v30, 20, v30
	v_lshl_add_u32 v31, v150, 23, 0x3c000000
	v_and_b32_e32 v18, 0x80000000, v18
	s_delay_alu instid0(VALU_DEP_1)
	v_or3_b32 v18, v30, v18, v31
.LBB460_1286:                           ;   in Loop: Header=BB460_8 Depth=1
	s_or_b32 exec_lo, exec_lo, s19
.LBB460_1287:                           ;   in Loop: Header=BB460_8 Depth=1
	s_delay_alu instid0(SALU_CYCLE_1)
	s_or_b32 exec_lo, exec_lo, s18
.LBB460_1288:                           ;   in Loop: Header=BB460_8 Depth=1
	s_delay_alu instid0(SALU_CYCLE_1) | instskip(NEXT) | instid1(VALU_DEP_1)
	s_or_b32 exec_lo, exec_lo, s2
	v_mul_f32_e32 v18, v136, v18
                                        ; implicit-def: $vgpr149
	s_delay_alu instid0(VALU_DEP_1) | instskip(NEXT) | instid1(VALU_DEP_1)
	v_and_b32_e32 v30, 0x7f800000, v18
	v_cmp_ne_u32_e64 s1, 0x7f800000, v30
	s_delay_alu instid0(VALU_DEP_1) | instskip(NEXT) | instid1(SALU_CYCLE_1)
	s_and_saveexec_b32 s2, s1
	s_xor_b32 s1, exec_lo, s2
; %bb.1289:                             ;   in Loop: Header=BB460_8 Depth=1
	v_bfe_u32 v30, v18, 16, 1
	s_delay_alu instid0(VALU_DEP_1)
	v_add3_u32 v149, v18, v30, 0x7fff
                                        ; implicit-def: $vgpr18
; %bb.1290:                             ;   in Loop: Header=BB460_8 Depth=1
	s_and_not1_saveexec_b32 s2, s1
; %bb.1291:                             ;   in Loop: Header=BB460_8 Depth=1
	v_and_b32_e32 v30, 0xffff, v18
	v_or_b32_e32 v31, 0x10000, v18
	s_delay_alu instid0(VALU_DEP_2) | instskip(NEXT) | instid1(VALU_DEP_1)
	v_cmp_eq_u32_e64 s1, 0, v30
	v_cndmask_b32_e64 v149, v31, v18, s1
; %bb.1292:                             ;   in Loop: Header=BB460_8 Depth=1
	s_or_b32 exec_lo, exec_lo, s2
	v_mov_b32_e32 v18, 0
	s_mov_b32 s2, exec_lo
	v_cmpx_lt_u32_e32 0xffffff, v28
	s_cbranch_execz .LBB460_1300
; %bb.1293:                             ;   in Loop: Header=BB460_8 Depth=1
	v_lshrrev_b32_e32 v150, 24, v28
	v_bfrev_b32_e32 v18, 1
	s_mov_b32 s18, exec_lo
	s_delay_alu instid0(VALU_DEP_2)
	v_cmpx_ne_u32_e32 0x80, v150
	s_cbranch_execz .LBB460_1299
; %bb.1294:                             ;   in Loop: Header=BB460_8 Depth=1
	v_bfe_u32 v30, v28, 24, 7
	v_mov_b32_e32 v18, 0x7f800001
	s_mov_b32 s19, exec_lo
	s_delay_alu instid0(VALU_DEP_2)
	v_cmpx_ne_u32_e32 0x7f, v30
	s_cbranch_execz .LBB460_1298
; %bb.1295:                             ;   in Loop: Header=BB460_8 Depth=1
	v_and_b32_e32 v18, 7, v150
	v_lshrrev_b32_e32 v151, 3, v30
	v_cmp_gt_u32_e64 s1, 8, v30
	s_delay_alu instid0(VALU_DEP_3) | instskip(NEXT) | instid1(VALU_DEP_2)
	v_dual_mov_b32 v31, v19 :: v_dual_mov_b32 v30, v18
	s_and_saveexec_b32 s20, s1
; %bb.1296:                             ;   in Loop: Header=BB460_8 Depth=1
	v_clz_i32_u32_e32 v30, v18
	s_delay_alu instid0(VALU_DEP_1) | instskip(NEXT) | instid1(VALU_DEP_1)
	v_min_u32_e32 v151, 32, v30
	v_subrev_nc_u32_e32 v30, 28, v151
	v_sub_nc_u32_e32 v151, 29, v151
	s_delay_alu instid0(VALU_DEP_2) | instskip(NEXT) | instid1(VALU_DEP_1)
	v_lshlrev_b64 v[30:31], v30, v[18:19]
	v_and_b32_e32 v30, 7, v30
; %bb.1297:                             ;   in Loop: Header=BB460_8 Depth=1
	s_or_b32 exec_lo, exec_lo, s20
	v_lshlrev_b32_e32 v18, 24, v150
	s_delay_alu instid0(VALU_DEP_2) | instskip(SKIP_1) | instid1(VALU_DEP_3)
	v_lshlrev_b32_e32 v30, 20, v30
	v_lshl_add_u32 v31, v151, 23, 0x3c000000
	v_and_b32_e32 v18, 0x80000000, v18
	s_delay_alu instid0(VALU_DEP_1)
	v_or3_b32 v18, v30, v18, v31
.LBB460_1298:                           ;   in Loop: Header=BB460_8 Depth=1
	s_or_b32 exec_lo, exec_lo, s19
.LBB460_1299:                           ;   in Loop: Header=BB460_8 Depth=1
	s_delay_alu instid0(SALU_CYCLE_1)
	s_or_b32 exec_lo, exec_lo, s18
.LBB460_1300:                           ;   in Loop: Header=BB460_8 Depth=1
	s_delay_alu instid0(SALU_CYCLE_1) | instskip(NEXT) | instid1(VALU_DEP_1)
	s_or_b32 exec_lo, exec_lo, s2
	v_mul_f32_e32 v18, v136, v18
                                        ; implicit-def: $vgpr150
	s_delay_alu instid0(VALU_DEP_1) | instskip(NEXT) | instid1(VALU_DEP_1)
	v_and_b32_e32 v30, 0x7f800000, v18
	v_cmp_ne_u32_e64 s1, 0x7f800000, v30
	s_delay_alu instid0(VALU_DEP_1) | instskip(NEXT) | instid1(SALU_CYCLE_1)
	s_and_saveexec_b32 s2, s1
	s_xor_b32 s1, exec_lo, s2
; %bb.1301:                             ;   in Loop: Header=BB460_8 Depth=1
	v_bfe_u32 v30, v18, 16, 1
	s_delay_alu instid0(VALU_DEP_1)
	v_add3_u32 v150, v18, v30, 0x7fff
                                        ; implicit-def: $vgpr18
; %bb.1302:                             ;   in Loop: Header=BB460_8 Depth=1
	s_and_not1_saveexec_b32 s2, s1
; %bb.1303:                             ;   in Loop: Header=BB460_8 Depth=1
	v_and_b32_e32 v30, 0xffff, v18
	v_or_b32_e32 v31, 0x10000, v18
	s_delay_alu instid0(VALU_DEP_2) | instskip(NEXT) | instid1(VALU_DEP_1)
	v_cmp_eq_u32_e64 s1, 0, v30
	v_cndmask_b32_e64 v150, v31, v18, s1
; %bb.1304:                             ;   in Loop: Header=BB460_8 Depth=1
	s_or_b32 exec_lo, exec_lo, s2
	v_dual_mov_b32 v18, v29 :: v_dual_and_b32 v31, 0xff, v29
	v_mov_b32_e32 v30, 0
	s_mov_b32 s2, exec_lo
	s_delay_alu instid0(VALU_DEP_2)
	v_cmpx_ne_u16_e32 0, v31
	s_cbranch_execz .LBB460_1312
; %bb.1305:                             ;   in Loop: Header=BB460_8 Depth=1
	v_bfrev_b32_e32 v30, 1
	s_mov_b32 s18, exec_lo
	v_cmpx_ne_u16_e32 0x80, v31
	s_cbranch_execz .LBB460_1311
; %bb.1306:                             ;   in Loop: Header=BB460_8 Depth=1
	v_and_b32_e32 v31, 0x7f, v29
	v_mov_b32_e32 v30, 0x7f800001
	s_mov_b32 s19, exec_lo
	s_delay_alu instid0(VALU_DEP_2)
	v_cmpx_ne_u32_e32 0x7f, v31
	s_cbranch_execz .LBB460_1310
; %bb.1307:                             ;   in Loop: Header=BB460_8 Depth=1
	v_lshrrev_b32_e32 v151, 3, v31
	v_cmp_gt_u32_e64 s1, 8, v31
	v_dual_mov_b32 v31, v19 :: v_dual_mov_b32 v30, v18
	s_delay_alu instid0(VALU_DEP_2)
	s_and_saveexec_b32 s20, s1
; %bb.1308:                             ;   in Loop: Header=BB460_8 Depth=1
	v_and_b32_e32 v30, 7, v29
	s_delay_alu instid0(VALU_DEP_1) | instskip(NEXT) | instid1(VALU_DEP_1)
	v_clz_i32_u32_e32 v30, v30
	v_min_u32_e32 v151, 32, v30
	s_delay_alu instid0(VALU_DEP_1) | instskip(SKIP_1) | instid1(VALU_DEP_2)
	v_subrev_nc_u32_e32 v30, 28, v151
	v_sub_nc_u32_e32 v151, 29, v151
	v_lshlrev_b64 v[30:31], v30, v[18:19]
; %bb.1309:                             ;   in Loop: Header=BB460_8 Depth=1
	s_or_b32 exec_lo, exec_lo, s20
	s_delay_alu instid0(VALU_DEP_1) | instskip(SKIP_2) | instid1(VALU_DEP_3)
	v_lshlrev_b32_e32 v30, 20, v30
	v_lshlrev_b32_e32 v31, 24, v18
	v_lshl_add_u32 v151, v151, 23, 0x3c000000
	v_and_b32_e32 v30, 0x700000, v30
	s_delay_alu instid0(VALU_DEP_3) | instskip(NEXT) | instid1(VALU_DEP_1)
	v_and_b32_e32 v31, 0x80000000, v31
	v_or3_b32 v30, v30, v31, v151
.LBB460_1310:                           ;   in Loop: Header=BB460_8 Depth=1
	s_or_b32 exec_lo, exec_lo, s19
.LBB460_1311:                           ;   in Loop: Header=BB460_8 Depth=1
	s_delay_alu instid0(SALU_CYCLE_1)
	s_or_b32 exec_lo, exec_lo, s18
.LBB460_1312:                           ;   in Loop: Header=BB460_8 Depth=1
	s_delay_alu instid0(SALU_CYCLE_1) | instskip(NEXT) | instid1(VALU_DEP_1)
	s_or_b32 exec_lo, exec_lo, s2
	v_mul_f32_e32 v30, v136, v30
                                        ; implicit-def: $vgpr151
	s_delay_alu instid0(VALU_DEP_1) | instskip(NEXT) | instid1(VALU_DEP_1)
	v_and_b32_e32 v31, 0x7f800000, v30
	v_cmp_ne_u32_e64 s1, 0x7f800000, v31
	s_delay_alu instid0(VALU_DEP_1) | instskip(NEXT) | instid1(SALU_CYCLE_1)
	s_and_saveexec_b32 s2, s1
	s_xor_b32 s1, exec_lo, s2
; %bb.1313:                             ;   in Loop: Header=BB460_8 Depth=1
	v_bfe_u32 v31, v30, 16, 1
	s_delay_alu instid0(VALU_DEP_1)
	v_add3_u32 v151, v30, v31, 0x7fff
                                        ; implicit-def: $vgpr30
; %bb.1314:                             ;   in Loop: Header=BB460_8 Depth=1
	s_and_not1_saveexec_b32 s2, s1
; %bb.1315:                             ;   in Loop: Header=BB460_8 Depth=1
	v_and_b32_e32 v31, 0xffff, v30
	v_or_b32_e32 v151, 0x10000, v30
	s_delay_alu instid0(VALU_DEP_2) | instskip(NEXT) | instid1(VALU_DEP_1)
	v_cmp_eq_u32_e64 s1, 0, v31
	v_cndmask_b32_e64 v151, v151, v30, s1
; %bb.1316:                             ;   in Loop: Header=BB460_8 Depth=1
	s_or_b32 exec_lo, exec_lo, s2
	v_lshrrev_b16 v31, 8, v18
	v_mov_b32_e32 v30, 0
	s_mov_b32 s2, exec_lo
	s_delay_alu instid0(VALU_DEP_2)
	v_cmpx_ne_u16_e32 0, v31
	s_cbranch_execz .LBB460_1324
; %bb.1317:                             ;   in Loop: Header=BB460_8 Depth=1
	v_bfrev_b32_e32 v30, 1
	s_mov_b32 s18, exec_lo
	v_cmpx_ne_u16_e32 0x80, v31
	s_cbranch_execz .LBB460_1323
; %bb.1318:                             ;   in Loop: Header=BB460_8 Depth=1
	v_and_b32_e32 v31, 0xffff, v31
	v_mov_b32_e32 v30, 0x7f800001
	s_mov_b32 s19, exec_lo
	s_delay_alu instid0(VALU_DEP_2) | instskip(NEXT) | instid1(VALU_DEP_1)
	v_and_b32_e32 v161, 0x7f, v31
	v_cmpx_ne_u32_e32 0x7f, v161
	s_cbranch_execz .LBB460_1322
; %bb.1319:                             ;   in Loop: Header=BB460_8 Depth=1
	v_dual_mov_b32 v31, v19 :: v_dual_and_b32 v30, 7, v31
	v_lshrrev_b32_e32 v160, 3, v161
	s_mov_b32 s20, exec_lo
	v_cmpx_gt_u32_e32 8, v161
; %bb.1320:                             ;   in Loop: Header=BB460_8 Depth=1
	s_delay_alu instid0(VALU_DEP_3) | instskip(NEXT) | instid1(VALU_DEP_1)
	v_clz_i32_u32_e32 v160, v30
	v_min_u32_e32 v160, 32, v160
	s_delay_alu instid0(VALU_DEP_1) | instskip(SKIP_1) | instid1(VALU_DEP_2)
	v_subrev_nc_u32_e32 v161, 28, v160
	v_sub_nc_u32_e32 v160, 29, v160
	v_lshlrev_b64 v[30:31], v161, v[30:31]
	s_delay_alu instid0(VALU_DEP_1)
	v_and_b32_e32 v30, 7, v30
; %bb.1321:                             ;   in Loop: Header=BB460_8 Depth=1
	s_or_b32 exec_lo, exec_lo, s20
	v_lshlrev_b32_e32 v18, 16, v18
	s_delay_alu instid0(VALU_DEP_2) | instskip(SKIP_1) | instid1(VALU_DEP_3)
	v_lshlrev_b32_e32 v30, 20, v30
	v_lshl_add_u32 v31, v160, 23, 0x3c000000
	v_and_b32_e32 v18, 0x80000000, v18
	s_delay_alu instid0(VALU_DEP_1)
	v_or3_b32 v30, v30, v18, v31
.LBB460_1322:                           ;   in Loop: Header=BB460_8 Depth=1
	s_or_b32 exec_lo, exec_lo, s19
.LBB460_1323:                           ;   in Loop: Header=BB460_8 Depth=1
	s_delay_alu instid0(SALU_CYCLE_1)
	s_or_b32 exec_lo, exec_lo, s18
.LBB460_1324:                           ;   in Loop: Header=BB460_8 Depth=1
	s_delay_alu instid0(SALU_CYCLE_1) | instskip(NEXT) | instid1(VALU_DEP_1)
	s_or_b32 exec_lo, exec_lo, s2
	v_mul_f32_e32 v18, v136, v30
                                        ; implicit-def: $vgpr160
	s_delay_alu instid0(VALU_DEP_1) | instskip(NEXT) | instid1(VALU_DEP_1)
	v_and_b32_e32 v30, 0x7f800000, v18
	v_cmp_ne_u32_e64 s1, 0x7f800000, v30
	s_delay_alu instid0(VALU_DEP_1) | instskip(NEXT) | instid1(SALU_CYCLE_1)
	s_and_saveexec_b32 s2, s1
	s_xor_b32 s1, exec_lo, s2
; %bb.1325:                             ;   in Loop: Header=BB460_8 Depth=1
	v_bfe_u32 v30, v18, 16, 1
	s_delay_alu instid0(VALU_DEP_1)
	v_add3_u32 v160, v18, v30, 0x7fff
                                        ; implicit-def: $vgpr18
; %bb.1326:                             ;   in Loop: Header=BB460_8 Depth=1
	s_and_not1_saveexec_b32 s2, s1
; %bb.1327:                             ;   in Loop: Header=BB460_8 Depth=1
	v_and_b32_e32 v30, 0xffff, v18
	v_or_b32_e32 v31, 0x10000, v18
	s_delay_alu instid0(VALU_DEP_2) | instskip(NEXT) | instid1(VALU_DEP_1)
	v_cmp_eq_u32_e64 s1, 0, v30
	v_cndmask_b32_e64 v160, v31, v18, s1
; %bb.1328:                             ;   in Loop: Header=BB460_8 Depth=1
	s_or_b32 exec_lo, exec_lo, s2
	v_lshrrev_b32_e32 v161, 16, v29
	v_mov_b32_e32 v18, 0
	s_mov_b32 s2, exec_lo
	s_delay_alu instid0(VALU_DEP_2) | instskip(NEXT) | instid1(VALU_DEP_1)
	v_and_b32_e32 v30, 0xff, v161
	v_cmpx_ne_u16_e32 0, v30
	s_cbranch_execz .LBB460_1336
; %bb.1329:                             ;   in Loop: Header=BB460_8 Depth=1
	v_bfrev_b32_e32 v18, 1
	s_mov_b32 s18, exec_lo
	v_cmpx_ne_u16_e32 0x80, v30
	s_cbranch_execz .LBB460_1335
; %bb.1330:                             ;   in Loop: Header=BB460_8 Depth=1
	v_bfe_u32 v30, v29, 16, 7
	v_mov_b32_e32 v18, 0x7f800001
	s_mov_b32 s19, exec_lo
	s_delay_alu instid0(VALU_DEP_2)
	v_cmpx_ne_u32_e32 0x7f, v30
	s_cbranch_execz .LBB460_1334
; %bb.1331:                             ;   in Loop: Header=BB460_8 Depth=1
	v_and_b32_e32 v18, 7, v161
	v_lshrrev_b32_e32 v162, 3, v30
	v_cmp_gt_u32_e64 s1, 8, v30
	s_delay_alu instid0(VALU_DEP_3) | instskip(NEXT) | instid1(VALU_DEP_2)
	v_dual_mov_b32 v31, v19 :: v_dual_mov_b32 v30, v18
	s_and_saveexec_b32 s20, s1
; %bb.1332:                             ;   in Loop: Header=BB460_8 Depth=1
	v_clz_i32_u32_e32 v30, v18
	s_delay_alu instid0(VALU_DEP_1) | instskip(NEXT) | instid1(VALU_DEP_1)
	v_min_u32_e32 v162, 32, v30
	v_subrev_nc_u32_e32 v30, 28, v162
	v_sub_nc_u32_e32 v162, 29, v162
	s_delay_alu instid0(VALU_DEP_2) | instskip(NEXT) | instid1(VALU_DEP_1)
	v_lshlrev_b64 v[30:31], v30, v[18:19]
	v_and_b32_e32 v30, 7, v30
; %bb.1333:                             ;   in Loop: Header=BB460_8 Depth=1
	s_or_b32 exec_lo, exec_lo, s20
	v_lshlrev_b32_e32 v18, 24, v161
	s_delay_alu instid0(VALU_DEP_2) | instskip(SKIP_1) | instid1(VALU_DEP_3)
	v_lshlrev_b32_e32 v30, 20, v30
	v_lshl_add_u32 v31, v162, 23, 0x3c000000
	v_and_b32_e32 v18, 0x80000000, v18
	s_delay_alu instid0(VALU_DEP_1)
	v_or3_b32 v18, v30, v18, v31
.LBB460_1334:                           ;   in Loop: Header=BB460_8 Depth=1
	s_or_b32 exec_lo, exec_lo, s19
.LBB460_1335:                           ;   in Loop: Header=BB460_8 Depth=1
	s_delay_alu instid0(SALU_CYCLE_1)
	s_or_b32 exec_lo, exec_lo, s18
.LBB460_1336:                           ;   in Loop: Header=BB460_8 Depth=1
	s_delay_alu instid0(SALU_CYCLE_1) | instskip(NEXT) | instid1(VALU_DEP_1)
	s_or_b32 exec_lo, exec_lo, s2
	v_mul_f32_e32 v18, v136, v18
	s_delay_alu instid0(VALU_DEP_1) | instskip(NEXT) | instid1(VALU_DEP_1)
	v_and_b32_e32 v30, 0x7f800000, v18
	v_cmp_ne_u32_e64 s1, 0x7f800000, v30
                                        ; implicit-def: $vgpr30
	s_delay_alu instid0(VALU_DEP_1) | instskip(NEXT) | instid1(SALU_CYCLE_1)
	s_and_saveexec_b32 s2, s1
	s_xor_b32 s1, exec_lo, s2
; %bb.1337:                             ;   in Loop: Header=BB460_8 Depth=1
	v_bfe_u32 v30, v18, 16, 1
	s_delay_alu instid0(VALU_DEP_1)
	v_add3_u32 v30, v18, v30, 0x7fff
                                        ; implicit-def: $vgpr18
; %bb.1338:                             ;   in Loop: Header=BB460_8 Depth=1
	s_and_not1_saveexec_b32 s2, s1
; %bb.1339:                             ;   in Loop: Header=BB460_8 Depth=1
	v_and_b32_e32 v30, 0xffff, v18
	v_or_b32_e32 v31, 0x10000, v18
	s_delay_alu instid0(VALU_DEP_2) | instskip(NEXT) | instid1(VALU_DEP_1)
	v_cmp_eq_u32_e64 s1, 0, v30
	v_cndmask_b32_e64 v30, v31, v18, s1
; %bb.1340:                             ;   in Loop: Header=BB460_8 Depth=1
	s_or_b32 exec_lo, exec_lo, s2
	v_mov_b32_e32 v18, 0
	s_mov_b32 s2, exec_lo
	v_cmpx_lt_u64_e64 s[8:9], v[28:29]
	s_cbranch_execz .LBB460_1348
; %bb.1341:                             ;   in Loop: Header=BB460_8 Depth=1
	v_lshrrev_b32_e32 v31, 24, v29
	v_bfrev_b32_e32 v18, 1
	s_mov_b32 s18, exec_lo
	s_delay_alu instid0(VALU_DEP_2)
	v_cmpx_ne_u32_e32 0x80, v31
	s_cbranch_execz .LBB460_1347
; %bb.1342:                             ;   in Loop: Header=BB460_8 Depth=1
	v_bfe_u32 v28, v29, 24, 7
	v_mov_b32_e32 v18, 0x7f800001
	s_mov_b32 s19, exec_lo
	s_delay_alu instid0(VALU_DEP_2)
	v_cmpx_ne_u32_e32 0x7f, v28
	s_cbranch_execz .LBB460_1346
; %bb.1343:                             ;   in Loop: Header=BB460_8 Depth=1
	v_and_b32_e32 v18, 7, v31
	v_lshrrev_b32_e32 v161, 3, v28
	v_cmp_gt_u32_e64 s1, 8, v28
	s_delay_alu instid0(VALU_DEP_3) | instskip(NEXT) | instid1(VALU_DEP_2)
	v_dual_mov_b32 v29, v19 :: v_dual_mov_b32 v28, v18
	s_and_saveexec_b32 s20, s1
; %bb.1344:                             ;   in Loop: Header=BB460_8 Depth=1
	v_clz_i32_u32_e32 v28, v18
	s_delay_alu instid0(VALU_DEP_1) | instskip(NEXT) | instid1(VALU_DEP_1)
	v_min_u32_e32 v161, 32, v28
	v_subrev_nc_u32_e32 v28, 28, v161
	v_sub_nc_u32_e32 v161, 29, v161
	s_delay_alu instid0(VALU_DEP_2) | instskip(NEXT) | instid1(VALU_DEP_1)
	v_lshlrev_b64 v[28:29], v28, v[18:19]
	v_and_b32_e32 v28, 7, v28
; %bb.1345:                             ;   in Loop: Header=BB460_8 Depth=1
	s_or_b32 exec_lo, exec_lo, s20
	v_lshlrev_b32_e32 v18, 24, v31
	s_delay_alu instid0(VALU_DEP_2) | instskip(SKIP_1) | instid1(VALU_DEP_3)
	v_lshlrev_b32_e32 v28, 20, v28
	v_lshl_add_u32 v29, v161, 23, 0x3c000000
	v_and_b32_e32 v18, 0x80000000, v18
	s_delay_alu instid0(VALU_DEP_1)
	v_or3_b32 v18, v28, v18, v29
.LBB460_1346:                           ;   in Loop: Header=BB460_8 Depth=1
	s_or_b32 exec_lo, exec_lo, s19
.LBB460_1347:                           ;   in Loop: Header=BB460_8 Depth=1
	s_delay_alu instid0(SALU_CYCLE_1)
	s_or_b32 exec_lo, exec_lo, s18
.LBB460_1348:                           ;   in Loop: Header=BB460_8 Depth=1
	s_delay_alu instid0(SALU_CYCLE_1) | instskip(NEXT) | instid1(VALU_DEP_1)
	s_or_b32 exec_lo, exec_lo, s2
	v_mul_f32_e32 v28, v136, v18
	s_delay_alu instid0(VALU_DEP_1) | instskip(NEXT) | instid1(VALU_DEP_1)
	v_and_b32_e32 v18, 0x7f800000, v28
	v_cmp_ne_u32_e64 s1, 0x7f800000, v18
                                        ; implicit-def: $vgpr18
	s_delay_alu instid0(VALU_DEP_1) | instskip(NEXT) | instid1(SALU_CYCLE_1)
	s_and_saveexec_b32 s2, s1
	s_xor_b32 s1, exec_lo, s2
; %bb.1349:                             ;   in Loop: Header=BB460_8 Depth=1
	v_bfe_u32 v18, v28, 16, 1
	s_delay_alu instid0(VALU_DEP_1)
	v_add3_u32 v18, v28, v18, 0x7fff
                                        ; implicit-def: $vgpr28
; %bb.1350:                             ;   in Loop: Header=BB460_8 Depth=1
	s_and_not1_saveexec_b32 s2, s1
	s_cbranch_execz .LBB460_7
; %bb.1351:                             ;   in Loop: Header=BB460_8 Depth=1
	v_and_b32_e32 v18, 0xffff, v28
	v_or_b32_e32 v29, 0x10000, v28
	s_delay_alu instid0(VALU_DEP_2) | instskip(NEXT) | instid1(VALU_DEP_1)
	v_cmp_eq_u32_e64 s1, 0, v18
	v_cndmask_b32_e64 v18, v29, v28, s1
	s_branch .LBB460_7
.LBB460_1352:
	s_or_b32 exec_lo, exec_lo, s11
	s_clause 0xe
	scratch_load_b32 v12, off, s32 offset:564
	scratch_load_b32 v15, off, s32 offset:568
	;; [unrolled: 1-line block ×3, first 2 shown]
	scratch_load_b64 v[26:27], off, s32 offset:576
	scratch_load_b32 v11, off, s32 offset:584
	scratch_load_b32 v10, off, s32 offset:588
	scratch_load_b32 v28, off, s32 offset:592
	scratch_load_b32 v29, off, s32 offset:596
	scratch_load_b32 v30, off, s32 offset:600
	scratch_load_b32 v32, off, s32 offset:604
	scratch_load_b32 v34, off, s32 offset:608
	scratch_load_b64 v[51:52], off, s32 offset:612
	scratch_load_b32 v23, off, s32 offset:620
	scratch_load_b32 v35, off, s32 offset:624
	;; [unrolled: 1-line block ×3, first 2 shown]
.LBB460_1353:
	s_or_b32 exec_lo, exec_lo, s15
	v_mbcnt_lo_u32_b32 v0, -1, 0
	s_lshr_b32 s8, s13, 16
	s_delay_alu instid0(VALU_DEP_1) | instskip(SKIP_2) | instid1(VALU_DEP_3)
	v_xor_b32_e32 v1, 16, v0
	v_xor_b32_e32 v3, 8, v0
	;; [unrolled: 1-line block ×3, first 2 shown]
	v_cmp_gt_i32_e32 vcc_lo, 32, v1
	v_cndmask_b32_e32 v1, v0, v1, vcc_lo
	s_delay_alu instid0(VALU_DEP_4) | instskip(NEXT) | instid1(VALU_DEP_2)
	v_cmp_gt_i32_e32 vcc_lo, 32, v3
	v_dual_cndmask_b32 v3, v0, v3 :: v_dual_lshlrev_b32 v2, 2, v1
	v_cmp_gt_i32_e32 vcc_lo, 32, v5
	ds_bpermute_b32 v1, v2, v120
	v_dual_max_f32 v4, v120, v120 :: v_dual_lshlrev_b32 v3, 2, v3
	v_cndmask_b32_e32 v5, v0, v5, vcc_lo
	s_waitcnt lgkmcnt(0)
	v_max_f32_e32 v1, v1, v1
	s_delay_alu instid0(VALU_DEP_1) | instskip(SKIP_3) | instid1(VALU_DEP_1)
	v_max_f32_e32 v1, v4, v1
	ds_bpermute_b32 v4, v3, v1
	s_waitcnt lgkmcnt(0)
	v_max_f32_e32 v6, v4, v4
	v_dual_max_f32 v1, v1, v6 :: v_dual_lshlrev_b32 v4, 2, v5
	v_xor_b32_e32 v6, 2, v0
	ds_bpermute_b32 v5, v4, v1
	v_cmp_gt_i32_e32 vcc_lo, 32, v6
	s_waitcnt lgkmcnt(0)
	v_dual_cndmask_b32 v6, v0, v6 :: v_dual_max_f32 v5, v5, v5
	s_delay_alu instid0(VALU_DEP_1) | instskip(NEXT) | instid1(VALU_DEP_2)
	v_max_f32_e32 v1, v1, v5
	v_lshlrev_b32_e32 v19, 2, v6
	v_xor_b32_e32 v6, 1, v0
	s_delay_alu instid0(VALU_DEP_1) | instskip(SKIP_4) | instid1(VALU_DEP_1)
	v_cmp_gt_i32_e32 vcc_lo, 32, v6
	v_cndmask_b32_e32 v6, v0, v6, vcc_lo
	ds_bpermute_b32 v5, v19, v1
	s_waitcnt lgkmcnt(0)
	v_dual_max_f32 v5, v5, v5 :: v_dual_lshlrev_b32 v18, 2, v6
	v_max_f32_e32 v0, v1, v5
	scratch_load_b32 v5, off, s32 offset:548 ; 4-byte Folded Reload
	ds_bpermute_b32 v1, v18, v0
	s_waitcnt vmcnt(0)
	v_cmp_eq_u32_e32 vcc_lo, 0, v5
	scratch_load_b32 v5, off, s32 offset:552 ; 4-byte Folded Reload
	s_waitcnt vmcnt(0)
	v_lshlrev_b32_e32 v5, 2, v5
	s_and_saveexec_b32 s1, vcc_lo
	s_cbranch_execz .LBB460_1355
; %bb.1354:
	s_waitcnt lgkmcnt(0)
	v_dual_max_f32 v1, v1, v1 :: v_dual_max_f32 v0, v0, v0
	s_delay_alu instid0(VALU_DEP_1)
	v_max_f32_e32 v0, v0, v1
	ds_store_b32 v5, v0 offset:224
.LBB460_1355:
	s_or_b32 exec_lo, exec_lo, s1
	scratch_load_b32 v0, off, s32 offset:548 ; 4-byte Folded Reload
	s_waitcnt vmcnt(0) lgkmcnt(0)
	s_waitcnt_vscnt null, 0x0
	s_barrier
	buffer_gl0_inv
	v_cmp_gt_u32_e64 s1, 4, v0
	v_mov_b32_e32 v0, 0xff7fffff
	s_delay_alu instid0(VALU_DEP_2)
	s_and_saveexec_b32 s2, s1
	s_cbranch_execz .LBB460_1357
; %bb.1356:
	ds_load_b32 v0, v20 offset:224
.LBB460_1357:
	s_or_b32 exec_lo, exec_lo, s2
	s_waitcnt lgkmcnt(0)
	ds_bpermute_b32 v1, v19, v0
	v_max_f32_e32 v0, v0, v0
	v_subrev_nc_u32_e32 v7, s3, v37
	s_waitcnt lgkmcnt(0)
	v_dual_mov_b32 v6, 0 :: v_dual_max_f32 v1, v1, v1
	s_delay_alu instid0(VALU_DEP_1) | instskip(SKIP_3) | instid1(VALU_DEP_1)
	v_max_f32_e32 v0, v0, v1
	ds_bpermute_b32 v1, v18, v0
	s_waitcnt lgkmcnt(0)
	v_max_f32_e32 v1, v1, v1
	v_max_f32_e32 v0, v0, v1
	v_lshl_add_u32 v1, v7, 5, s17
	ds_bpermute_b32 v0, v6, v0
	v_min_i32_e32 v1, v1, v36
	s_delay_alu instid0(VALU_DEP_1) | instskip(NEXT) | instid1(VALU_DEP_1)
	v_subrev_nc_u32_e32 v1, s17, v1
	v_cmp_lt_i32_e64 s2, v12, v1
	s_delay_alu instid0(VALU_DEP_1)
	s_and_saveexec_b32 s9, s2
	s_cbranch_execz .LBB460_1361
; %bb.1358:
	s_getpc_b64 s[18:19]
	s_add_u32 s18, s18, llvm.amdgcn.dynlds.offset.table@rel32@lo+4
	s_addc_u32 s19, s19, llvm.amdgcn.dynlds.offset.table@rel32@hi+12
	s_ashr_i32 s11, s10, 31
	v_mov_b32_e32 v6, 0
	s_lshl_b64 s[20:21], s[10:11], 2
	v_mov_b32_e32 v8, v12
	s_add_u32 s18, s20, s18
	s_addc_u32 s19, s21, s19
	s_mov_b32 s11, 0
	s_load_b32 s3, s[18:19], 0x0
	s_waitcnt lgkmcnt(0)
	v_lshl_add_u32 v7, v12, 2, s3
	.p2align	6
.LBB460_1359:                           ; =>This Inner Loop Header: Depth=1
	ds_load_b32 v9, v7
	v_add_nc_u32_e32 v8, 0x80, v8
	s_delay_alu instid0(VALU_DEP_1) | instskip(NEXT) | instid1(VALU_DEP_1)
	v_cmp_ge_i32_e64 s3, v8, v1
	s_or_b32 s11, s3, s11
	s_waitcnt lgkmcnt(0)
	v_sub_f32_e32 v9, v9, v0
	s_delay_alu instid0(VALU_DEP_1) | instskip(NEXT) | instid1(VALU_DEP_1)
	v_mul_f32_e32 v9, 0x3fb8aa3b, v9
	v_exp_f32_e32 v9, v9
	ds_store_b32 v7, v9
	v_dual_add_f32 v6, v6, v9 :: v_dual_add_nc_u32 v7, 0x200, v7
	s_and_not1_b32 exec_lo, exec_lo, s11
	s_cbranch_execnz .LBB460_1359
; %bb.1360:
	s_or_b32 exec_lo, exec_lo, s11
.LBB460_1361:
	s_delay_alu instid0(SALU_CYCLE_1)
	s_or_b32 exec_lo, exec_lo, s9
	ds_bpermute_b32 v2, v2, v6
	s_waitcnt lgkmcnt(0)
	v_add_f32_e32 v2, v6, v2
	ds_bpermute_b32 v3, v3, v2
	s_waitcnt lgkmcnt(0)
	v_add_f32_e32 v2, v2, v3
	;; [unrolled: 3-line block ×5, first 2 shown]
	s_and_saveexec_b32 s3, vcc_lo
	s_cbranch_execz .LBB460_1363
; %bb.1362:
	ds_store_b32 v5, v2 offset:240
.LBB460_1363:
	s_or_b32 exec_lo, exec_lo, s3
	s_waitcnt lgkmcnt(0)
	s_barrier
	buffer_gl0_inv
	s_and_saveexec_b32 s3, s1
	s_cbranch_execz .LBB460_1365
; %bb.1364:
	ds_load_b32 v2, v20 offset:240
.LBB460_1365:
	s_or_b32 exec_lo, exec_lo, s3
	s_waitcnt lgkmcnt(0)
	ds_bpermute_b32 v3, v19, v2
	s_waitcnt lgkmcnt(0)
	v_add_f32_e32 v2, v2, v3
	ds_bpermute_b32 v3, v18, v2
	s_waitcnt lgkmcnt(0)
	v_dual_add_f32 v2, v2, v3 :: v_dual_mov_b32 v3, 0
	ds_bpermute_b32 v2, v3, v2
	s_and_saveexec_b32 s1, s2
	s_cbranch_execz .LBB460_1368
; %bb.1366:
	s_waitcnt lgkmcnt(0)
	v_add_f32_e32 v4, 0x358637bd, v2
	s_getpc_b64 s[2:3]
	s_add_u32 s2, s2, llvm.amdgcn.dynlds.offset.table@rel32@lo+4
	s_addc_u32 s3, s3, llvm.amdgcn.dynlds.offset.table@rel32@hi+12
	s_ashr_i32 s11, s10, 31
	s_delay_alu instid0(SALU_CYCLE_1) | instskip(SKIP_4) | instid1(VALU_DEP_1)
	s_lshl_b64 s[18:19], s[10:11], 2
	v_div_scale_f32 v3, null, v4, v4, 1.0
	s_add_u32 s2, s18, s2
	s_addc_u32 s3, s19, s3
	s_load_b32 s2, s[2:3], 0x0
	v_rcp_f32_e32 v5, v3
	s_waitcnt_depctr 0xfff
	v_fma_f32 v6, -v3, v5, 1.0
	s_delay_alu instid0(VALU_DEP_1) | instskip(SKIP_1) | instid1(VALU_DEP_1)
	v_fmac_f32_e32 v5, v6, v5
	v_div_scale_f32 v7, vcc_lo, 1.0, v4, 1.0
	v_mul_f32_e32 v6, v7, v5
	s_delay_alu instid0(VALU_DEP_1) | instskip(NEXT) | instid1(VALU_DEP_1)
	v_fma_f32 v8, -v3, v6, v7
	v_fmac_f32_e32 v6, v8, v5
	s_delay_alu instid0(VALU_DEP_1) | instskip(NEXT) | instid1(VALU_DEP_1)
	v_fma_f32 v3, -v3, v6, v7
	v_div_fmas_f32 v5, v3, v5, v6
	s_waitcnt lgkmcnt(0)
	v_lshl_add_u32 v3, v12, 2, s2
	s_mov_b32 s2, 0
	s_delay_alu instid0(VALU_DEP_2)
	v_div_fixup_f32 v4, v5, v4, 1.0
	v_mov_b32_e32 v5, v12
.LBB460_1367:                           ; =>This Inner Loop Header: Depth=1
	ds_load_b32 v6, v3
	s_waitcnt lgkmcnt(0)
	v_dual_mul_f32 v6, v4, v6 :: v_dual_add_nc_u32 v5, 0x80, v5
	s_delay_alu instid0(VALU_DEP_1) | instskip(SKIP_3) | instid1(SALU_CYCLE_1)
	v_cmp_ge_i32_e32 vcc_lo, v5, v1
	ds_store_b32 v3, v6
	v_add_nc_u32_e32 v3, 0x200, v3
	s_or_b32 s2, vcc_lo, s2
	s_and_not1_b32 exec_lo, exec_lo, s2
	s_cbranch_execnz .LBB460_1367
.LBB460_1368:
	s_or_b32 exec_lo, exec_lo, s1
	v_cmp_ne_u16_e64 s1, s8, 0
	s_mov_b32 s2, exec_lo
	s_waitcnt lgkmcnt(0)
	s_barrier
	buffer_gl0_inv
	s_cmp_lg_u32 s1, 0
	s_addc_u32 s1, s7, 0
	v_cmpx_eq_u32_e32 0, v12
	s_cbranch_execz .LBB460_1370
; %bb.1369:
	s_mul_i32 s3, s1, s4
	s_mul_i32 s8, s1, s12
	;; [unrolled: 1-line block ×3, first 2 shown]
	s_ashr_i32 s9, s8, 31
	s_ashr_i32 s15, s14, 31
	;; [unrolled: 1-line block ×3, first 2 shown]
	s_lshl_b64 s[8:9], s[8:9], 2
	s_lshl_b64 s[18:19], s[14:15], 2
	s_lshl_b64 s[12:13], s[12:13], 2
	s_add_u32 s3, s18, s8
	s_addc_u32 s7, s19, s9
	s_add_u32 s3, s3, s12
	s_addc_u32 s7, s7, s13
	v_add_co_u32 v3, vcc_lo, s3, v32
	v_add_co_ci_u32_e32 v4, vcc_lo, s7, v30, vcc_lo
	v_add_co_u32 v5, vcc_lo, s3, v29
	v_add_co_ci_u32_e32 v6, vcc_lo, s7, v28, vcc_lo
	flat_store_b32 v[3:4], v0
	flat_store_b32 v[5:6], v2
.LBB460_1370:
	s_or_b32 exec_lo, exec_lo, s2
                                        ; implicit-def: $sgpr2
	s_and_saveexec_b32 s3, s0
	s_delay_alu instid0(SALU_CYCLE_1)
	s_xor_b32 s0, exec_lo, s3
; %bb.1371:
	s_ashr_i32 s11, s10, 31
	s_mov_b32 s2, 0
                                        ; implicit-def: $vgpr36
                                        ; implicit-def: $vgpr34
                                        ; implicit-def: $vgpr37
                                        ; implicit-def: $vgpr16
                                        ; implicit-def: $vgpr10
                                        ; implicit-def: $vgpr11
                                        ; implicit-def: $vgpr14
                                        ; implicit-def: $vgpr15
                                        ; implicit-def: $vgpr22
                                        ; implicit-def: $vgpr26_vgpr27
                                        ; implicit-def: $vgpr23
                                        ; implicit-def: $vgpr35
                                        ; implicit-def: $vgpr51_vgpr52
; %bb.1372:
	s_or_saveexec_b32 s7, s0
	v_dual_mov_b32 v39, s2 :: v_dual_mov_b32 v0, s10
	v_dual_mov_b32 v1, s11 :: v_dual_mov_b32 v138, v12
	v_dual_mov_b32 v49, s2 :: v_dual_and_b32 v20, 3, v12
	v_dual_mov_b32 v50, s2 :: v_dual_mov_b32 v33, s2
	v_dual_mov_b32 v48, s2 :: v_dual_mov_b32 v31, s2
	v_dual_mov_b32 v38, s2 :: v_dual_mov_b32 v29, s2
	v_dual_mov_b32 v32, s2 :: v_dual_mov_b32 v25, s2
	v_dual_mov_b32 v30, s2 :: v_dual_mov_b32 v21, s2
	v_mov_b32_e32 v28, s2
	v_mov_b32_e32 v24, s2
	s_xor_b32 exec_lo, exec_lo, s7
	s_cbranch_execz .LBB460_3228
; %bb.1373:
	v_dual_mov_b32 v21, 0 :: v_dual_lshlrev_b32 v0, 3, v138
	v_add_co_u32 v3, vcc_lo, v10, v23
	v_add_co_ci_u32_e32 v4, vcc_lo, v11, v35, vcc_lo
	s_delay_alu instid0(VALU_DEP_3)
	v_dual_mov_b32 v10, 0 :: v_dual_and_b32 v5, 0xf8, v0
	flat_load_b32 v26, v[26:27]
	s_getpc_b64 s[2:3]
	s_add_u32 s2, s2, llvm.amdgcn.dynlds.offset.table@rel32@lo+4
	s_addc_u32 s3, s3, llvm.amdgcn.dynlds.offset.table@rel32@hi+12
	s_ashr_i32 s11, s10, 31
	v_add_co_u32 v11, vcc_lo, v3, v5
	scratch_load_b32 v5, off, s32 offset:552 ; 4-byte Folded Reload
	s_lshl_b64 s[8:9], s[10:11], 2
	v_dual_mov_b32 v25, 0 :: v_dual_and_b32 v2, 24, v0
	s_add_u32 s2, s8, s2
	s_addc_u32 s3, s9, s3
	v_lshlrev_b64 v[0:1], 2, v[16:17]
	s_load_b32 s0, s[2:3], 0x0
	v_dual_mov_b32 v28, 0 :: v_dual_lshlrev_b32 v3, 5, v20
	v_add_co_ci_u32_e32 v12, vcc_lo, 0, v4, vcc_lo
	s_delay_alu instid0(VALU_DEP_3) | instskip(NEXT) | instid1(VALU_DEP_4)
	v_add_co_u32 v0, vcc_lo, v51, v0
	v_add_co_ci_u32_e32 v1, vcc_lo, v52, v1, vcc_lo
	v_dual_mov_b32 v24, 0 :: v_dual_add_nc_u32 v27, -1, v34
	s_delay_alu instid0(VALU_DEP_3) | instskip(NEXT) | instid1(VALU_DEP_3)
	v_add_co_u32 v13, vcc_lo, v14, v0
	v_add_co_ci_u32_e32 v14, vcc_lo, v15, v1, vcc_lo
	v_dual_mov_b32 v29, 0 :: v_dual_mov_b32 v32, 0
	v_dual_mov_b32 v31, 0 :: v_dual_mov_b32 v38, 0
	;; [unrolled: 1-line block ×4, first 2 shown]
	v_mov_b32_e32 v39, 0
	s_mov_b32 s2, -1
	s_mov_b32 s3, 0xffffff
	s_mov_b32 s8, 0
	v_mov_b32_e32 v30, 0
	s_waitcnt vmcnt(0)
	v_lshl_add_u32 v4, v5, 5, s17
	v_lshl_or_b32 v3, v5, 7, v3
	s_delay_alu instid0(VALU_DEP_2) | instskip(SKIP_1) | instid1(VALU_DEP_2)
	v_add3_u32 v15, v4, v2, 7
	s_waitcnt lgkmcnt(0)
	v_add_nc_u32_e32 v17, s0, v3
	s_branch .LBB460_1375
.LBB460_1374:                           ;   in Loop: Header=BB460_1375 Depth=1
	s_or_b32 exec_lo, exec_lo, s0
	v_and_b32_e32 v81, 0xffff0000, v93
	v_and_b32_e32 v82, 0xffff0000, v92
	;; [unrolled: 1-line block ×7, first 2 shown]
	v_add_f32_e32 v81, v82, v81
	s_delay_alu instid0(VALU_DEP_4) | instskip(NEXT) | instid1(VALU_DEP_4)
	v_dual_add_f32 v82, v87, v86 :: v_dual_and_b32 v85, 0xffff0000, v79
	v_dual_add_f32 v71, v80, v71 :: v_dual_and_b32 v70, 0xffff0000, v108
	v_and_b32_e32 v6, 0xffff0000, v6
	v_and_b32_e32 v69, 0xffff0000, v109
	v_and_b32_e32 v96, 0xffff0000, v78
	v_and_b32_e32 v35, 0xffff0000, v35
	v_and_b32_e32 v23, 0xffff0000, v23
	v_add_f32_e32 v6, v6, v7
	v_add_f32_e32 v7, v70, v69
	v_and_b32_e32 v69, 0xffff0000, v120
	s_delay_alu instid0(VALU_DEP_4) | instskip(NEXT) | instid1(VALU_DEP_3)
	v_dual_add_f32 v23, v23, v35 :: v_dual_and_b32 v34, 0xffff0000, v34
	v_dual_add_f32 v6, v6, v7 :: v_dual_and_b32 v35, 0xffff0000, v41
	v_and_b32_e32 v7, 0xffff0000, v105
	v_dual_add_f32 v85, v96, v85 :: v_dual_and_b32 v80, 0xffff0000, v104
	v_and_b32_e32 v84, 0xffff0000, v107
	s_delay_alu instid0(VALU_DEP_4) | instskip(NEXT) | instid1(VALU_DEP_3)
	v_add_f32_e32 v6, v6, v71
	v_dual_add_f32 v7, v80, v7 :: v_dual_and_b32 v70, 0xffff0000, v121
	v_and_b32_e32 v80, 0xffff0000, v90
	v_and_b32_e32 v4, 0xffff0000, v4
	;; [unrolled: 1-line block ×3, first 2 shown]
	s_delay_alu instid0(VALU_DEP_4) | instskip(SKIP_3) | instid1(VALU_DEP_4)
	v_dual_add_f32 v69, v69, v70 :: v_dual_and_b32 v70, 0xffff0000, v95
	v_and_b32_e32 v71, 0xffff0000, v94
	v_and_b32_e32 v51, 0xffff0000, v51
	;; [unrolled: 1-line block ×3, first 2 shown]
	v_add_f32_e32 v6, v6, v69
	s_delay_alu instid0(VALU_DEP_4) | instskip(SKIP_1) | instid1(VALU_DEP_3)
	v_dual_add_f32 v70, v71, v70 :: v_dual_and_b32 v53, 0xffff0000, v53
	v_and_b32_e32 v71, 0xffff0000, v89
	v_dual_add_f32 v24, v24, v6 :: v_dual_and_b32 v3, 0xffff0000, v3
	s_delay_alu instid0(VALU_DEP_3) | instskip(SKIP_2) | instid1(VALU_DEP_3)
	v_dual_add_f32 v70, v81, v70 :: v_dual_and_b32 v1, 0xffff0000, v1
	v_dual_add_f32 v81, v82, v85 :: v_dual_and_b32 v82, 0xffff0000, v91
	v_and_b32_e32 v86, 0xffff0000, v88
	v_dual_add_f32 v7, v70, v7 :: v_dual_and_b32 v2, 0xffff0000, v2
	v_and_b32_e32 v52, 0xffff0000, v52
	v_add_co_u32 v13, s0, v13, 16
	s_delay_alu instid0(VALU_DEP_4) | instskip(SKIP_3) | instid1(VALU_DEP_3)
	v_add_f32_e32 v71, v86, v71
	v_and_b32_e32 v83, 0xffff0000, v106
	v_add_co_ci_u32_e64 v14, s0, 0, v14, s0
	v_add_nc_u32_e32 v15, 0x80, v15
	v_dual_add_f32 v70, v81, v71 :: v_dual_add_f32 v69, v83, v84
	v_add_f32_e32 v71, v80, v82
	v_and_b32_e32 v83, 0xffff0000, v74
	v_dual_add_f32 v8, v8, v51 :: v_dual_add_nc_u32 v17, 0x200, v17
	s_delay_alu instid0(VALU_DEP_3) | instskip(SKIP_2) | instid1(VALU_DEP_3)
	v_dual_add_f32 v6, v7, v69 :: v_dual_add_f32 v7, v70, v71
	v_and_b32_e32 v84, 0xffff0000, v75
	v_and_b32_e32 v85, 0xffff0000, v46
	v_dual_add_f32 v25, v25, v6 :: v_dual_and_b32 v0, 0xffff0000, v0
	s_delay_alu instid0(VALU_DEP_4)
	v_dual_add_f32 v28, v28, v7 :: v_dual_and_b32 v81, 0xffff0000, v62
	v_and_b32_e32 v71, 0xffff0000, v61
	v_and_b32_e32 v82, 0xffff0000, v72
	v_and_b32_e32 v70, 0xffff0000, v63
	v_dual_add_f32 v0, v0, v1 :: v_dual_add_f32 v1, v2, v3
	v_dual_add_f32 v51, v52, v53 :: v_dual_and_b32 v54, 0xffff0000, v54
	s_delay_alu instid0(VALU_DEP_3) | instskip(SKIP_3) | instid1(VALU_DEP_4)
	v_dual_add_f32 v70, v81, v70 :: v_dual_and_b32 v81, 0xffff0000, v45
	v_and_b32_e32 v52, 0xffff0000, v66
	v_and_b32_e32 v2, 0xffff0000, v9
	v_dual_add_f32 v0, v0, v1 :: v_dual_and_b32 v9, 0xffff0000, v67
	v_dual_add_f32 v34, v34, v81 :: v_dual_and_b32 v81, 0xffff0000, v56
	v_and_b32_e32 v80, 0xffff0000, v60
	s_delay_alu instid0(VALU_DEP_4) | instskip(SKIP_1) | instid1(VALU_DEP_3)
	v_add_f32_e32 v1, v2, v52
	v_dual_add_f32 v3, v8, v51 :: v_dual_and_b32 v2, 0xffff0000, v68
	v_dual_add_f32 v71, v80, v71 :: v_dual_add_nc_u32 v16, 4, v16
	v_and_b32_e32 v69, 0xffff0000, v73
	s_delay_alu instid0(VALU_DEP_3) | instskip(NEXT) | instid1(VALU_DEP_3)
	v_dual_add_f32 v0, v0, v1 :: v_dual_add_f32 v1, v9, v2
	v_cmp_ge_i32_e32 vcc_lo, v16, v37
	s_delay_alu instid0(VALU_DEP_3) | instskip(NEXT) | instid1(VALU_DEP_3)
	v_dual_add_f32 v70, v71, v70 :: v_dual_add_f32 v69, v82, v69
	v_add_f32_e32 v0, v0, v1
	s_or_b32 s8, vcc_lo, s8
	s_delay_alu instid0(VALU_DEP_2) | instskip(SKIP_1) | instid1(VALU_DEP_3)
	v_dual_add_f32 v69, v70, v69 :: v_dual_add_f32 v70, v83, v84
	v_and_b32_e32 v71, 0xffff0000, v57
	v_add_f32_e32 v21, v21, v0
	s_delay_alu instid0(VALU_DEP_3) | instskip(SKIP_1) | instid1(VALU_DEP_4)
	v_add_f32_e32 v6, v69, v70
	v_and_b32_e32 v80, 0xffff0000, v47
	v_add_f32_e32 v71, v81, v71
	s_delay_alu instid0(VALU_DEP_3) | instskip(NEXT) | instid1(VALU_DEP_3)
	v_add_f32_e32 v29, v29, v6
	v_add_f32_e32 v80, v85, v80
	s_delay_alu instid0(VALU_DEP_1) | instskip(SKIP_2) | instid1(VALU_DEP_3)
	v_add_f32_e32 v34, v34, v80
	v_and_b32_e32 v82, 0xffff0000, v58
	v_and_b32_e32 v80, 0xffff0000, v59
	v_add_f32_e32 v7, v34, v71
	s_delay_alu instid0(VALU_DEP_2) | instskip(SKIP_1) | instid1(VALU_DEP_2)
	v_dual_add_f32 v34, v82, v80 :: v_dual_and_b32 v71, 0xffff0000, v129
	v_and_b32_e32 v80, 0xffff0000, v131
	v_add_f32_e32 v6, v7, v34
	v_and_b32_e32 v7, 0xffff0000, v42
	s_delay_alu instid0(VALU_DEP_2) | instskip(NEXT) | instid1(VALU_DEP_2)
	v_dual_add_f32 v30, v30, v6 :: v_dual_and_b32 v69, 0xffff0000, v40
	v_add_f32_e32 v7, v35, v7
	v_and_b32_e32 v35, 0xffff0000, v177
	s_delay_alu instid0(VALU_DEP_1) | instskip(NEXT) | instid1(VALU_DEP_1)
	v_dual_add_f32 v5, v35, v5 :: v_dual_and_b32 v70, 0xffff0000, v183
	v_add_f32_e32 v34, v70, v69
	v_and_b32_e32 v70, 0xffff0000, v178
	s_delay_alu instid0(VALU_DEP_2) | instskip(NEXT) | instid1(VALU_DEP_1)
	v_dual_add_f32 v23, v23, v34 :: v_dual_and_b32 v34, 0xffff0000, v179
	v_dual_add_f32 v7, v23, v7 :: v_dual_add_f32 v34, v70, v34
	v_and_b32_e32 v6, 0xffff0000, v43
	s_delay_alu instid0(VALU_DEP_2) | instskip(SKIP_2) | instid1(VALU_DEP_1)
	v_dual_add_f32 v5, v5, v34 :: v_dual_and_b32 v70, 0xffff0000, v163
	v_and_b32_e32 v34, 0xffff0000, v162
	v_and_b32_e32 v69, 0xffff0000, v44
	v_add_f32_e32 v6, v6, v69
	v_and_b32_e32 v69, 0xffff0000, v161
	s_delay_alu instid0(VALU_DEP_2) | instskip(NEXT) | instid1(VALU_DEP_2)
	v_dual_add_f32 v6, v7, v6 :: v_dual_and_b32 v23, 0xffff0000, v180
	v_add_f32_e32 v34, v69, v34
	s_delay_alu instid0(VALU_DEP_2) | instskip(NEXT) | instid1(VALU_DEP_1)
	v_dual_add_f32 v4, v4, v23 :: v_dual_and_b32 v23, 0xffff0000, v164
	v_dual_add_f32 v31, v31, v6 :: v_dual_add_f32 v4, v5, v4
	v_and_b32_e32 v35, 0xffff0000, v182
	s_delay_alu instid0(VALU_DEP_3) | instskip(SKIP_2) | instid1(VALU_DEP_3)
	v_add_f32_e32 v23, v70, v23
	v_and_b32_e32 v7, 0xffff0000, v181
	v_and_b32_e32 v70, 0xffff0000, v176
	v_add_f32_e32 v6, v34, v23
	s_delay_alu instid0(VALU_DEP_3) | instskip(SKIP_2) | instid1(VALU_DEP_3)
	v_add_f32_e32 v5, v7, v35
	v_and_b32_e32 v35, 0xffff0000, v165
	v_and_b32_e32 v34, 0xffff0000, v146
	v_dual_add_f32 v4, v4, v5 :: v_dual_and_b32 v23, 0xffff0000, v148
	s_delay_alu instid0(VALU_DEP_1) | instskip(NEXT) | instid1(VALU_DEP_1)
	v_dual_add_f32 v32, v32, v4 :: v_dual_and_b32 v7, 0xffff0000, v166
	v_add_f32_e32 v7, v35, v7
	s_delay_alu instid0(VALU_DEP_1) | instskip(SKIP_1) | instid1(VALU_DEP_2)
	v_dual_add_f32 v6, v6, v7 :: v_dual_and_b32 v35, 0xffff0000, v145
	v_and_b32_e32 v7, 0xffff0000, v150
	v_dual_add_f32 v34, v35, v34 :: v_dual_and_b32 v35, 0xffff0000, v149
	s_delay_alu instid0(VALU_DEP_1) | instskip(SKIP_1) | instid1(VALU_DEP_1)
	v_add_f32_e32 v7, v35, v7
	v_and_b32_e32 v35, 0xffff0000, v130
	v_add_f32_e32 v35, v71, v35
	v_and_b32_e32 v71, 0xffff0000, v99
	v_and_b32_e32 v69, 0xffff0000, v147
	s_delay_alu instid0(VALU_DEP_1) | instskip(SKIP_1) | instid1(VALU_DEP_2)
	v_add_f32_e32 v23, v69, v23
	v_and_b32_e32 v69, 0xffff0000, v151
	v_dual_add_f32 v23, v34, v23 :: v_dual_and_b32 v34, 0xffff0000, v132
	s_delay_alu instid0(VALU_DEP_1) | instskip(SKIP_2) | instid1(VALU_DEP_3)
	v_dual_add_f32 v7, v23, v7 :: v_dual_add_f32 v34, v80, v34
	v_and_b32_e32 v5, 0xffff0000, v167
	v_and_b32_e32 v80, 0xffff0000, v119
	v_add_f32_e32 v4, v35, v34
	s_delay_alu instid0(VALU_DEP_3) | instskip(SKIP_2) | instid1(VALU_DEP_3)
	v_dual_add_f32 v5, v5, v70 :: v_dual_and_b32 v70, 0xffff0000, v160
	v_and_b32_e32 v34, 0xffff0000, v113
	v_and_b32_e32 v35, 0xffff0000, v115
	v_add_f32_e32 v23, v69, v70
	v_and_b32_e32 v69, 0xffff0000, v134
	v_and_b32_e32 v70, 0xffff0000, v133
	s_delay_alu instid0(VALU_DEP_3) | instskip(SKIP_1) | instid1(VALU_DEP_3)
	v_dual_add_f32 v5, v6, v5 :: v_dual_add_f32 v6, v7, v23
	v_and_b32_e32 v23, 0xffff0000, v114
	v_add_f32_e32 v7, v70, v69
	s_delay_alu instid0(VALU_DEP_3) | instskip(NEXT) | instid1(VALU_DEP_4)
	v_add_f32_e32 v33, v33, v5
	v_dual_add_f32 v38, v38, v6 :: v_dual_and_b32 v5, 0xffff0000, v135
	s_delay_alu instid0(VALU_DEP_4) | instskip(SKIP_2) | instid1(VALU_DEP_3)
	v_dual_add_f32 v23, v34, v23 :: v_dual_and_b32 v6, 0xffff0000, v144
	v_and_b32_e32 v34, 0xffff0000, v100
	v_dual_add_f32 v4, v4, v7 :: v_dual_and_b32 v7, 0xffff0000, v116
	v_dual_add_f32 v5, v5, v6 :: v_dual_and_b32 v70, 0xffff0000, v97
	s_delay_alu instid0(VALU_DEP_3) | instskip(NEXT) | instid1(VALU_DEP_3)
	v_add_f32_e32 v34, v71, v34
	v_dual_add_f32 v7, v35, v7 :: v_dual_and_b32 v6, 0xffff0000, v118
	s_delay_alu instid0(VALU_DEP_3) | instskip(SKIP_1) | instid1(VALU_DEP_2)
	v_dual_add_f32 v4, v4, v5 :: v_dual_and_b32 v35, 0xffff0000, v98
	v_and_b32_e32 v69, 0xffff0000, v117
	v_dual_add_f32 v35, v70, v35 :: v_dual_and_b32 v70, 0xffff0000, v101
	s_delay_alu instid0(VALU_DEP_4) | instskip(NEXT) | instid1(VALU_DEP_4)
	v_add_f32_e32 v7, v23, v7
	v_dual_add_f32 v48, v48, v4 :: v_dual_and_b32 v23, 0xffff0000, v102
	s_delay_alu instid0(VALU_DEP_3) | instskip(SKIP_1) | instid1(VALU_DEP_3)
	v_dual_add_f32 v5, v35, v34 :: v_dual_and_b32 v34, 0xffff0000, v103
	v_and_b32_e32 v35, 0xffff0000, v112
	v_dual_add_f32 v23, v70, v23 :: v_dual_add_f32 v6, v69, v6
	s_delay_alu instid0(VALU_DEP_1) | instskip(SKIP_4) | instid1(VALU_DEP_4)
	v_add_f32_e32 v5, v5, v23
	v_and_b32_e32 v23, 0xffff0000, v55
	v_and_b32_e32 v55, 0xffff0000, v64
	;; [unrolled: 1-line block ×3, first 2 shown]
	v_add_f32_e32 v6, v7, v6
	v_add_f32_e32 v8, v54, v23
	;; [unrolled: 1-line block ×3, first 2 shown]
	v_and_b32_e32 v69, 0xffff0000, v128
	s_delay_alu instid0(VALU_DEP_2) | instskip(NEXT) | instid1(VALU_DEP_2)
	v_dual_add_f32 v3, v3, v8 :: v_dual_add_f32 v4, v5, v23
	v_dual_add_f32 v7, v80, v69 :: v_dual_add_f32 v8, v55, v64
	s_delay_alu instid0(VALU_DEP_2) | instskip(NEXT) | instid1(VALU_DEP_2)
	v_add_f32_e32 v50, v50, v4
	v_dual_add_f32 v2, v6, v7 :: v_dual_add_f32 v3, v3, v8
	s_delay_alu instid0(VALU_DEP_1) | instskip(NEXT) | instid1(VALU_DEP_2)
	v_add_f32_e32 v49, v49, v2
	v_add_f32_e32 v39, v39, v3
	s_and_not1_b32 exec_lo, exec_lo, s8
	s_cbranch_execz .LBB460_3227
.LBB460_1375:                           ; =>This Inner Loop Header: Depth=1
	flat_load_b32 v54, v[13:14]
	ds_load_2addr_b64 v[6:9], v17 offset1:1
	ds_load_2addr_b64 v[0:3], v17 offset0:2 offset1:3
	s_mov_b32 s0, exec_lo
                                        ; implicit-def: $vgpr53
	s_waitcnt lgkmcnt(1)
	v_and_b32_e32 v4, 0x7f800000, v6
	s_delay_alu instid0(VALU_DEP_1)
	v_cmpx_ne_u32_e32 0x7f800000, v4
	s_xor_b32 s0, exec_lo, s0
; %bb.1376:                             ;   in Loop: Header=BB460_1375 Depth=1
	v_bfe_u32 v4, v6, 16, 1
	s_delay_alu instid0(VALU_DEP_1)
	v_add3_u32 v53, v6, v4, 0x7fff
; %bb.1377:                             ;   in Loop: Header=BB460_1375 Depth=1
	s_and_not1_saveexec_b32 s0, s0
; %bb.1378:                             ;   in Loop: Header=BB460_1375 Depth=1
	v_and_b32_e32 v4, 0xffff, v6
	v_or_b32_e32 v5, 0x10000, v6
	s_delay_alu instid0(VALU_DEP_2) | instskip(NEXT) | instid1(VALU_DEP_2)
	v_cmp_eq_u32_e32 vcc_lo, 0, v4
	v_cndmask_b32_e32 v53, v5, v6, vcc_lo
; %bb.1379:                             ;   in Loop: Header=BB460_1375 Depth=1
	s_or_b32 exec_lo, exec_lo, s0
	v_and_b32_e32 v4, 0x7f800000, v7
	s_mov_b32 s0, exec_lo
                                        ; implicit-def: $vgpr51
	s_delay_alu instid0(VALU_DEP_1)
	v_cmpx_ne_u32_e32 0x7f800000, v4
	s_xor_b32 s0, exec_lo, s0
; %bb.1380:                             ;   in Loop: Header=BB460_1375 Depth=1
	v_bfe_u32 v4, v7, 16, 1
	s_delay_alu instid0(VALU_DEP_1)
	v_add3_u32 v51, v7, v4, 0x7fff
; %bb.1381:                             ;   in Loop: Header=BB460_1375 Depth=1
	s_and_not1_saveexec_b32 s0, s0
; %bb.1382:                             ;   in Loop: Header=BB460_1375 Depth=1
	v_and_b32_e32 v4, 0xffff, v7
	v_or_b32_e32 v5, 0x10000, v7
	s_delay_alu instid0(VALU_DEP_2) | instskip(NEXT) | instid1(VALU_DEP_2)
	v_cmp_eq_u32_e32 vcc_lo, 0, v4
	v_cndmask_b32_e32 v51, v5, v7, vcc_lo
; %bb.1383:                             ;   in Loop: Header=BB460_1375 Depth=1
	s_or_b32 exec_lo, exec_lo, s0
	v_and_b32_e32 v4, 0x7f800000, v8
	s_mov_b32 s0, exec_lo
                                        ; implicit-def: $vgpr52
	s_delay_alu instid0(VALU_DEP_1)
	v_cmpx_ne_u32_e32 0x7f800000, v4
	s_xor_b32 s0, exec_lo, s0
; %bb.1384:                             ;   in Loop: Header=BB460_1375 Depth=1
	v_bfe_u32 v4, v8, 16, 1
	s_delay_alu instid0(VALU_DEP_1)
	v_add3_u32 v52, v8, v4, 0x7fff
; %bb.1385:                             ;   in Loop: Header=BB460_1375 Depth=1
	s_and_not1_saveexec_b32 s0, s0
; %bb.1386:                             ;   in Loop: Header=BB460_1375 Depth=1
	v_and_b32_e32 v4, 0xffff, v8
	v_or_b32_e32 v5, 0x10000, v8
	s_delay_alu instid0(VALU_DEP_2) | instskip(NEXT) | instid1(VALU_DEP_2)
	v_cmp_eq_u32_e32 vcc_lo, 0, v4
	v_cndmask_b32_e32 v52, v5, v8, vcc_lo
; %bb.1387:                             ;   in Loop: Header=BB460_1375 Depth=1
	s_or_b32 exec_lo, exec_lo, s0
	v_and_b32_e32 v4, 0x7f800000, v9
	s_mov_b32 s0, exec_lo
                                        ; implicit-def: $vgpr35
	s_delay_alu instid0(VALU_DEP_1)
	v_cmpx_ne_u32_e32 0x7f800000, v4
	s_xor_b32 s0, exec_lo, s0
; %bb.1388:                             ;   in Loop: Header=BB460_1375 Depth=1
	v_bfe_u32 v4, v9, 16, 1
	s_delay_alu instid0(VALU_DEP_1)
	v_add3_u32 v35, v9, v4, 0x7fff
                                        ; implicit-def: $vgpr6_vgpr7_vgpr8_vgpr9
; %bb.1389:                             ;   in Loop: Header=BB460_1375 Depth=1
	s_and_not1_saveexec_b32 s0, s0
; %bb.1390:                             ;   in Loop: Header=BB460_1375 Depth=1
	v_and_b32_e32 v4, 0xffff, v9
	v_or_b32_e32 v5, 0x10000, v9
	s_delay_alu instid0(VALU_DEP_2) | instskip(NEXT) | instid1(VALU_DEP_2)
	v_cmp_eq_u32_e32 vcc_lo, 0, v4
	v_cndmask_b32_e32 v35, v5, v9, vcc_lo
; %bb.1391:                             ;   in Loop: Header=BB460_1375 Depth=1
	s_or_b32 exec_lo, exec_lo, s0
	s_waitcnt lgkmcnt(0)
	v_and_b32_e32 v4, 0x7f800000, v0
	s_mov_b32 s0, exec_lo
                                        ; implicit-def: $vgpr34
	s_delay_alu instid0(VALU_DEP_1)
	v_cmpx_ne_u32_e32 0x7f800000, v4
	s_xor_b32 s0, exec_lo, s0
; %bb.1392:                             ;   in Loop: Header=BB460_1375 Depth=1
	v_bfe_u32 v4, v0, 16, 1
	s_delay_alu instid0(VALU_DEP_1)
	v_add3_u32 v34, v0, v4, 0x7fff
; %bb.1393:                             ;   in Loop: Header=BB460_1375 Depth=1
	s_and_not1_saveexec_b32 s0, s0
; %bb.1394:                             ;   in Loop: Header=BB460_1375 Depth=1
	v_and_b32_e32 v4, 0xffff, v0
	v_or_b32_e32 v5, 0x10000, v0
	s_delay_alu instid0(VALU_DEP_2) | instskip(NEXT) | instid1(VALU_DEP_2)
	v_cmp_eq_u32_e32 vcc_lo, 0, v4
	v_cndmask_b32_e32 v34, v5, v0, vcc_lo
; %bb.1395:                             ;   in Loop: Header=BB460_1375 Depth=1
	s_or_b32 exec_lo, exec_lo, s0
	v_and_b32_e32 v0, 0x7f800000, v1
	s_mov_b32 s0, exec_lo
                                        ; implicit-def: $vgpr23
	s_delay_alu instid0(VALU_DEP_1)
	v_cmpx_ne_u32_e32 0x7f800000, v0
	s_xor_b32 s0, exec_lo, s0
; %bb.1396:                             ;   in Loop: Header=BB460_1375 Depth=1
	v_bfe_u32 v0, v1, 16, 1
	s_delay_alu instid0(VALU_DEP_1)
	v_add3_u32 v23, v1, v0, 0x7fff
; %bb.1397:                             ;   in Loop: Header=BB460_1375 Depth=1
	s_and_not1_saveexec_b32 s0, s0
; %bb.1398:                             ;   in Loop: Header=BB460_1375 Depth=1
	v_and_b32_e32 v0, 0xffff, v1
	v_or_b32_e32 v4, 0x10000, v1
	s_delay_alu instid0(VALU_DEP_2) | instskip(NEXT) | instid1(VALU_DEP_2)
	v_cmp_eq_u32_e32 vcc_lo, 0, v0
	v_cndmask_b32_e32 v23, v4, v1, vcc_lo
; %bb.1399:                             ;   in Loop: Header=BB460_1375 Depth=1
	s_or_b32 exec_lo, exec_lo, s0
	v_and_b32_e32 v0, 0x7f800000, v2
	s_mov_b32 s0, exec_lo
                                        ; implicit-def: $vgpr5
	s_delay_alu instid0(VALU_DEP_1)
	v_cmpx_ne_u32_e32 0x7f800000, v0
	s_xor_b32 s0, exec_lo, s0
; %bb.1400:                             ;   in Loop: Header=BB460_1375 Depth=1
	v_bfe_u32 v0, v2, 16, 1
	s_delay_alu instid0(VALU_DEP_1)
	v_add3_u32 v5, v2, v0, 0x7fff
; %bb.1401:                             ;   in Loop: Header=BB460_1375 Depth=1
	s_and_not1_saveexec_b32 s0, s0
; %bb.1402:                             ;   in Loop: Header=BB460_1375 Depth=1
	v_and_b32_e32 v0, 0xffff, v2
	v_or_b32_e32 v1, 0x10000, v2
	s_delay_alu instid0(VALU_DEP_2) | instskip(NEXT) | instid1(VALU_DEP_2)
	v_cmp_eq_u32_e32 vcc_lo, 0, v0
	v_cndmask_b32_e32 v5, v1, v2, vcc_lo
; %bb.1403:                             ;   in Loop: Header=BB460_1375 Depth=1
	s_or_b32 exec_lo, exec_lo, s0
	v_and_b32_e32 v0, 0x7f800000, v3
	s_mov_b32 s0, exec_lo
                                        ; implicit-def: $vgpr4
	s_delay_alu instid0(VALU_DEP_1)
	v_cmpx_ne_u32_e32 0x7f800000, v0
	s_xor_b32 s0, exec_lo, s0
; %bb.1404:                             ;   in Loop: Header=BB460_1375 Depth=1
	v_bfe_u32 v0, v3, 16, 1
	s_delay_alu instid0(VALU_DEP_1)
	v_add3_u32 v4, v3, v0, 0x7fff
                                        ; implicit-def: $vgpr0_vgpr1_vgpr2_vgpr3
; %bb.1405:                             ;   in Loop: Header=BB460_1375 Depth=1
	s_and_not1_saveexec_b32 s0, s0
; %bb.1406:                             ;   in Loop: Header=BB460_1375 Depth=1
	v_and_b32_e32 v0, 0xffff, v3
	v_or_b32_e32 v1, 0x10000, v3
	s_delay_alu instid0(VALU_DEP_2) | instskip(NEXT) | instid1(VALU_DEP_2)
	v_cmp_eq_u32_e32 vcc_lo, 0, v0
	v_cndmask_b32_e32 v4, v1, v3, vcc_lo
; %bb.1407:                             ;   in Loop: Header=BB460_1375 Depth=1
	s_or_b32 exec_lo, exec_lo, s0
	s_waitcnt vmcnt(0)
	v_mad_i64_i32 v[0:1], null, v54, v22, v[11:12]
	s_mov_b32 s0, exec_lo
	v_mov_b32_e32 v6, 0
	flat_load_b64 v[2:3], v[0:1]
	s_waitcnt vmcnt(0) lgkmcnt(0)
	v_and_b32_e32 v7, 0xff, v2
	s_delay_alu instid0(VALU_DEP_1)
	v_cmpx_ne_u16_e32 0, v7
	s_cbranch_execz .LBB460_1415
; %bb.1408:                             ;   in Loop: Header=BB460_1375 Depth=1
	v_bfrev_b32_e32 v6, 1
	s_mov_b32 s9, exec_lo
	v_cmpx_ne_u16_e32 0x80, v7
	s_cbranch_execz .LBB460_1414
; %bb.1409:                             ;   in Loop: Header=BB460_1375 Depth=1
	v_and_b32_e32 v7, 0x7f, v2
	v_mov_b32_e32 v6, 0x7f800001
	s_mov_b32 s12, exec_lo
	s_delay_alu instid0(VALU_DEP_2)
	v_cmpx_ne_u32_e32 0x7f, v7
	s_cbranch_execz .LBB460_1413
; %bb.1410:                             ;   in Loop: Header=BB460_1375 Depth=1
	v_lshrrev_b32_e32 v8, 3, v7
	v_cmp_gt_u32_e32 vcc_lo, 8, v7
	v_dual_mov_b32 v7, v3 :: v_dual_mov_b32 v6, v2
	s_and_saveexec_b32 s13, vcc_lo
; %bb.1411:                             ;   in Loop: Header=BB460_1375 Depth=1
	v_and_b32_e32 v6, 7, v2
	s_delay_alu instid0(VALU_DEP_1) | instskip(NEXT) | instid1(VALU_DEP_1)
	v_clz_i32_u32_e32 v6, v6
	v_min_u32_e32 v8, 32, v6
	s_delay_alu instid0(VALU_DEP_1) | instskip(SKIP_1) | instid1(VALU_DEP_2)
	v_subrev_nc_u32_e32 v6, 28, v8
	v_sub_nc_u32_e32 v8, 29, v8
	v_lshlrev_b64 v[6:7], v6, v[2:3]
; %bb.1412:                             ;   in Loop: Header=BB460_1375 Depth=1
	s_or_b32 exec_lo, exec_lo, s13
	s_delay_alu instid0(VALU_DEP_1) | instskip(SKIP_2) | instid1(VALU_DEP_3)
	v_lshlrev_b32_e32 v6, 20, v6
	v_lshlrev_b32_e32 v7, 24, v2
	v_lshl_add_u32 v8, v8, 23, 0x3c000000
	v_and_b32_e32 v6, 0x700000, v6
	s_delay_alu instid0(VALU_DEP_3) | instskip(NEXT) | instid1(VALU_DEP_1)
	v_and_b32_e32 v7, 0x80000000, v7
	v_or3_b32 v6, v6, v7, v8
.LBB460_1413:                           ;   in Loop: Header=BB460_1375 Depth=1
	s_or_b32 exec_lo, exec_lo, s12
.LBB460_1414:                           ;   in Loop: Header=BB460_1375 Depth=1
	s_delay_alu instid0(SALU_CYCLE_1)
	s_or_b32 exec_lo, exec_lo, s9
.LBB460_1415:                           ;   in Loop: Header=BB460_1375 Depth=1
	s_delay_alu instid0(SALU_CYCLE_1) | instskip(NEXT) | instid1(VALU_DEP_1)
	s_or_b32 exec_lo, exec_lo, s0
	v_mul_f32_e32 v6, v26, v6
	s_mov_b32 s0, exec_lo
                                        ; implicit-def: $vgpr8
	s_delay_alu instid0(VALU_DEP_1) | instskip(NEXT) | instid1(VALU_DEP_1)
	v_and_b32_e32 v7, 0x7f800000, v6
	v_cmpx_ne_u32_e32 0x7f800000, v7
	s_xor_b32 s0, exec_lo, s0
; %bb.1416:                             ;   in Loop: Header=BB460_1375 Depth=1
	v_bfe_u32 v7, v6, 16, 1
	s_delay_alu instid0(VALU_DEP_1)
	v_add3_u32 v8, v6, v7, 0x7fff
                                        ; implicit-def: $vgpr6
; %bb.1417:                             ;   in Loop: Header=BB460_1375 Depth=1
	s_and_not1_saveexec_b32 s0, s0
; %bb.1418:                             ;   in Loop: Header=BB460_1375 Depth=1
	v_and_b32_e32 v7, 0xffff, v6
	v_or_b32_e32 v8, 0x10000, v6
	s_delay_alu instid0(VALU_DEP_2) | instskip(NEXT) | instid1(VALU_DEP_2)
	v_cmp_eq_u32_e32 vcc_lo, 0, v7
	v_cndmask_b32_e32 v8, v8, v6, vcc_lo
; %bb.1419:                             ;   in Loop: Header=BB460_1375 Depth=1
	s_or_b32 exec_lo, exec_lo, s0
	v_lshrrev_b16 v7, 8, v2
	v_mov_b32_e32 v6, 0
	s_mov_b32 s0, exec_lo
	s_delay_alu instid0(VALU_DEP_2)
	v_cmpx_ne_u16_e32 0, v7
	s_cbranch_execz .LBB460_1427
; %bb.1420:                             ;   in Loop: Header=BB460_1375 Depth=1
	v_bfrev_b32_e32 v6, 1
	s_mov_b32 s9, exec_lo
	v_cmpx_ne_u16_e32 0x80, v7
	s_cbranch_execz .LBB460_1426
; %bb.1421:                             ;   in Loop: Header=BB460_1375 Depth=1
	v_and_b32_e32 v9, 0xffff, v7
	v_mov_b32_e32 v6, 0x7f800001
	s_mov_b32 s12, exec_lo
	s_delay_alu instid0(VALU_DEP_2) | instskip(NEXT) | instid1(VALU_DEP_1)
	v_and_b32_e32 v7, 0x7f, v9
	v_cmpx_ne_u32_e32 0x7f, v7
	s_cbranch_execz .LBB460_1425
; %bb.1422:                             ;   in Loop: Header=BB460_1375 Depth=1
	v_and_b32_e32 v9, 7, v9
	v_lshrrev_b32_e32 v54, 3, v7
	v_cmp_gt_u32_e32 vcc_lo, 8, v7
	s_delay_alu instid0(VALU_DEP_3)
	v_dual_mov_b32 v6, v9 :: v_dual_mov_b32 v7, v10
	s_and_saveexec_b32 s13, vcc_lo
; %bb.1423:                             ;   in Loop: Header=BB460_1375 Depth=1
	v_clz_i32_u32_e32 v6, v9
	s_delay_alu instid0(VALU_DEP_1) | instskip(NEXT) | instid1(VALU_DEP_1)
	v_min_u32_e32 v54, 32, v6
	v_subrev_nc_u32_e32 v6, 28, v54
	v_sub_nc_u32_e32 v54, 29, v54
	s_delay_alu instid0(VALU_DEP_2) | instskip(NEXT) | instid1(VALU_DEP_1)
	v_lshlrev_b64 v[6:7], v6, v[9:10]
	v_and_b32_e32 v6, 7, v6
; %bb.1424:                             ;   in Loop: Header=BB460_1375 Depth=1
	s_or_b32 exec_lo, exec_lo, s13
	v_lshlrev_b32_e32 v7, 16, v2
	s_delay_alu instid0(VALU_DEP_2) | instskip(SKIP_1) | instid1(VALU_DEP_3)
	v_lshlrev_b32_e32 v6, 20, v6
	v_lshl_add_u32 v9, v54, 23, 0x3c000000
	v_and_b32_e32 v7, 0x80000000, v7
	s_delay_alu instid0(VALU_DEP_1)
	v_or3_b32 v6, v6, v7, v9
.LBB460_1425:                           ;   in Loop: Header=BB460_1375 Depth=1
	s_or_b32 exec_lo, exec_lo, s12
.LBB460_1426:                           ;   in Loop: Header=BB460_1375 Depth=1
	s_delay_alu instid0(SALU_CYCLE_1)
	s_or_b32 exec_lo, exec_lo, s9
.LBB460_1427:                           ;   in Loop: Header=BB460_1375 Depth=1
	s_delay_alu instid0(SALU_CYCLE_1) | instskip(NEXT) | instid1(VALU_DEP_1)
	s_or_b32 exec_lo, exec_lo, s0
	v_mul_f32_e32 v6, v26, v6
	s_mov_b32 s0, exec_lo
                                        ; implicit-def: $vgpr54
	s_delay_alu instid0(VALU_DEP_1) | instskip(NEXT) | instid1(VALU_DEP_1)
	v_and_b32_e32 v7, 0x7f800000, v6
	v_cmpx_ne_u32_e32 0x7f800000, v7
	s_xor_b32 s0, exec_lo, s0
; %bb.1428:                             ;   in Loop: Header=BB460_1375 Depth=1
	v_bfe_u32 v7, v6, 16, 1
	s_delay_alu instid0(VALU_DEP_1)
	v_add3_u32 v54, v6, v7, 0x7fff
                                        ; implicit-def: $vgpr6
; %bb.1429:                             ;   in Loop: Header=BB460_1375 Depth=1
	s_and_not1_saveexec_b32 s0, s0
; %bb.1430:                             ;   in Loop: Header=BB460_1375 Depth=1
	v_and_b32_e32 v7, 0xffff, v6
	v_or_b32_e32 v9, 0x10000, v6
	s_delay_alu instid0(VALU_DEP_2) | instskip(NEXT) | instid1(VALU_DEP_2)
	v_cmp_eq_u32_e32 vcc_lo, 0, v7
	v_cndmask_b32_e32 v54, v9, v6, vcc_lo
; %bb.1431:                             ;   in Loop: Header=BB460_1375 Depth=1
	s_or_b32 exec_lo, exec_lo, s0
	v_lshrrev_b32_e32 v55, 16, v2
	s_mov_b32 s0, exec_lo
	s_delay_alu instid0(VALU_DEP_1) | instskip(NEXT) | instid1(VALU_DEP_1)
	v_dual_mov_b32 v6, 0 :: v_dual_and_b32 v7, 0xff, v55
	v_cmpx_ne_u16_e32 0, v7
	s_cbranch_execz .LBB460_1439
; %bb.1432:                             ;   in Loop: Header=BB460_1375 Depth=1
	v_bfrev_b32_e32 v6, 1
	s_mov_b32 s9, exec_lo
	v_cmpx_ne_u16_e32 0x80, v7
	s_cbranch_execz .LBB460_1438
; %bb.1433:                             ;   in Loop: Header=BB460_1375 Depth=1
	v_bfe_u32 v7, v2, 16, 7
	v_mov_b32_e32 v6, 0x7f800001
	s_mov_b32 s12, exec_lo
	s_delay_alu instid0(VALU_DEP_2)
	v_cmpx_ne_u32_e32 0x7f, v7
	s_cbranch_execz .LBB460_1437
; %bb.1434:                             ;   in Loop: Header=BB460_1375 Depth=1
	v_and_b32_e32 v9, 7, v55
	v_lshrrev_b32_e32 v64, 3, v7
	v_cmp_gt_u32_e32 vcc_lo, 8, v7
	s_delay_alu instid0(VALU_DEP_3)
	v_dual_mov_b32 v6, v9 :: v_dual_mov_b32 v7, v10
	s_and_saveexec_b32 s13, vcc_lo
; %bb.1435:                             ;   in Loop: Header=BB460_1375 Depth=1
	v_clz_i32_u32_e32 v6, v9
	s_delay_alu instid0(VALU_DEP_1) | instskip(NEXT) | instid1(VALU_DEP_1)
	v_min_u32_e32 v64, 32, v6
	v_subrev_nc_u32_e32 v6, 28, v64
	v_sub_nc_u32_e32 v64, 29, v64
	s_delay_alu instid0(VALU_DEP_2) | instskip(NEXT) | instid1(VALU_DEP_1)
	v_lshlrev_b64 v[6:7], v6, v[9:10]
	v_and_b32_e32 v6, 7, v6
; %bb.1436:                             ;   in Loop: Header=BB460_1375 Depth=1
	s_or_b32 exec_lo, exec_lo, s13
	v_lshlrev_b32_e32 v7, 24, v55
	s_delay_alu instid0(VALU_DEP_2) | instskip(SKIP_1) | instid1(VALU_DEP_3)
	v_lshlrev_b32_e32 v6, 20, v6
	v_lshl_add_u32 v9, v64, 23, 0x3c000000
	v_and_b32_e32 v7, 0x80000000, v7
	s_delay_alu instid0(VALU_DEP_1)
	v_or3_b32 v6, v6, v7, v9
.LBB460_1437:                           ;   in Loop: Header=BB460_1375 Depth=1
	s_or_b32 exec_lo, exec_lo, s12
.LBB460_1438:                           ;   in Loop: Header=BB460_1375 Depth=1
	s_delay_alu instid0(SALU_CYCLE_1)
	s_or_b32 exec_lo, exec_lo, s9
.LBB460_1439:                           ;   in Loop: Header=BB460_1375 Depth=1
	s_delay_alu instid0(SALU_CYCLE_1) | instskip(NEXT) | instid1(VALU_DEP_1)
	s_or_b32 exec_lo, exec_lo, s0
	v_mul_f32_e32 v6, v26, v6
	s_mov_b32 s0, exec_lo
                                        ; implicit-def: $vgpr55
	s_delay_alu instid0(VALU_DEP_1) | instskip(NEXT) | instid1(VALU_DEP_1)
	v_and_b32_e32 v7, 0x7f800000, v6
	v_cmpx_ne_u32_e32 0x7f800000, v7
	s_xor_b32 s0, exec_lo, s0
; %bb.1440:                             ;   in Loop: Header=BB460_1375 Depth=1
	v_bfe_u32 v7, v6, 16, 1
	s_delay_alu instid0(VALU_DEP_1)
	v_add3_u32 v55, v6, v7, 0x7fff
                                        ; implicit-def: $vgpr6
; %bb.1441:                             ;   in Loop: Header=BB460_1375 Depth=1
	s_and_not1_saveexec_b32 s0, s0
; %bb.1442:                             ;   in Loop: Header=BB460_1375 Depth=1
	v_and_b32_e32 v7, 0xffff, v6
	v_or_b32_e32 v9, 0x10000, v6
	s_delay_alu instid0(VALU_DEP_2) | instskip(NEXT) | instid1(VALU_DEP_2)
	v_cmp_eq_u32_e32 vcc_lo, 0, v7
	v_cndmask_b32_e32 v55, v9, v6, vcc_lo
; %bb.1443:                             ;   in Loop: Header=BB460_1375 Depth=1
	s_or_b32 exec_lo, exec_lo, s0
	v_mov_b32_e32 v6, 0
	s_mov_b32 s0, exec_lo
	v_cmpx_lt_u32_e32 0xffffff, v2
	s_cbranch_execz .LBB460_1451
; %bb.1444:                             ;   in Loop: Header=BB460_1375 Depth=1
	v_lshrrev_b32_e32 v64, 24, v2
	v_bfrev_b32_e32 v6, 1
	s_mov_b32 s9, exec_lo
	s_delay_alu instid0(VALU_DEP_2)
	v_cmpx_ne_u32_e32 0x80, v64
	s_cbranch_execz .LBB460_1450
; %bb.1445:                             ;   in Loop: Header=BB460_1375 Depth=1
	v_bfe_u32 v7, v2, 24, 7
	v_mov_b32_e32 v6, 0x7f800001
	s_mov_b32 s12, exec_lo
	s_delay_alu instid0(VALU_DEP_2)
	v_cmpx_ne_u32_e32 0x7f, v7
	s_cbranch_execz .LBB460_1449
; %bb.1446:                             ;   in Loop: Header=BB460_1375 Depth=1
	v_and_b32_e32 v9, 7, v64
	v_lshrrev_b32_e32 v65, 3, v7
	v_cmp_gt_u32_e32 vcc_lo, 8, v7
	s_delay_alu instid0(VALU_DEP_3)
	v_dual_mov_b32 v6, v9 :: v_dual_mov_b32 v7, v10
	s_and_saveexec_b32 s13, vcc_lo
; %bb.1447:                             ;   in Loop: Header=BB460_1375 Depth=1
	v_clz_i32_u32_e32 v6, v9
	s_delay_alu instid0(VALU_DEP_1) | instskip(NEXT) | instid1(VALU_DEP_1)
	v_min_u32_e32 v65, 32, v6
	v_subrev_nc_u32_e32 v6, 28, v65
	v_sub_nc_u32_e32 v65, 29, v65
	s_delay_alu instid0(VALU_DEP_2) | instskip(NEXT) | instid1(VALU_DEP_1)
	v_lshlrev_b64 v[6:7], v6, v[9:10]
	v_and_b32_e32 v6, 7, v6
; %bb.1448:                             ;   in Loop: Header=BB460_1375 Depth=1
	s_or_b32 exec_lo, exec_lo, s13
	v_lshlrev_b32_e32 v7, 24, v64
	s_delay_alu instid0(VALU_DEP_2) | instskip(SKIP_1) | instid1(VALU_DEP_3)
	v_lshlrev_b32_e32 v6, 20, v6
	v_lshl_add_u32 v9, v65, 23, 0x3c000000
	v_and_b32_e32 v7, 0x80000000, v7
	s_delay_alu instid0(VALU_DEP_1)
	v_or3_b32 v6, v6, v7, v9
.LBB460_1449:                           ;   in Loop: Header=BB460_1375 Depth=1
	s_or_b32 exec_lo, exec_lo, s12
.LBB460_1450:                           ;   in Loop: Header=BB460_1375 Depth=1
	s_delay_alu instid0(SALU_CYCLE_1)
	s_or_b32 exec_lo, exec_lo, s9
.LBB460_1451:                           ;   in Loop: Header=BB460_1375 Depth=1
	s_delay_alu instid0(SALU_CYCLE_1) | instskip(NEXT) | instid1(VALU_DEP_1)
	s_or_b32 exec_lo, exec_lo, s0
	v_mul_f32_e32 v6, v26, v6
	s_mov_b32 s0, exec_lo
                                        ; implicit-def: $vgpr64
	s_delay_alu instid0(VALU_DEP_1) | instskip(NEXT) | instid1(VALU_DEP_1)
	v_and_b32_e32 v7, 0x7f800000, v6
	v_cmpx_ne_u32_e32 0x7f800000, v7
	s_xor_b32 s0, exec_lo, s0
; %bb.1452:                             ;   in Loop: Header=BB460_1375 Depth=1
	v_bfe_u32 v7, v6, 16, 1
	s_delay_alu instid0(VALU_DEP_1)
	v_add3_u32 v64, v6, v7, 0x7fff
                                        ; implicit-def: $vgpr6
; %bb.1453:                             ;   in Loop: Header=BB460_1375 Depth=1
	s_and_not1_saveexec_b32 s0, s0
; %bb.1454:                             ;   in Loop: Header=BB460_1375 Depth=1
	v_and_b32_e32 v7, 0xffff, v6
	v_or_b32_e32 v9, 0x10000, v6
	s_delay_alu instid0(VALU_DEP_2) | instskip(NEXT) | instid1(VALU_DEP_2)
	v_cmp_eq_u32_e32 vcc_lo, 0, v7
	v_cndmask_b32_e32 v64, v9, v6, vcc_lo
; %bb.1455:                             ;   in Loop: Header=BB460_1375 Depth=1
	s_or_b32 exec_lo, exec_lo, s0
	v_dual_mov_b32 v6, 0 :: v_dual_and_b32 v7, 0xff, v3
	v_mov_b32_e32 v9, v3
	s_mov_b32 s0, exec_lo
	s_delay_alu instid0(VALU_DEP_2)
	v_cmpx_ne_u16_e32 0, v7
	s_cbranch_execz .LBB460_1463
; %bb.1456:                             ;   in Loop: Header=BB460_1375 Depth=1
	v_bfrev_b32_e32 v6, 1
	s_mov_b32 s9, exec_lo
	v_cmpx_ne_u16_e32 0x80, v7
	s_cbranch_execz .LBB460_1462
; %bb.1457:                             ;   in Loop: Header=BB460_1375 Depth=1
	v_and_b32_e32 v7, 0x7f, v3
	v_mov_b32_e32 v6, 0x7f800001
	s_mov_b32 s12, exec_lo
	s_delay_alu instid0(VALU_DEP_2)
	v_cmpx_ne_u32_e32 0x7f, v7
	s_cbranch_execz .LBB460_1461
; %bb.1458:                             ;   in Loop: Header=BB460_1375 Depth=1
	v_lshrrev_b32_e32 v65, 3, v7
	v_cmp_gt_u32_e32 vcc_lo, 8, v7
	v_dual_mov_b32 v6, v9 :: v_dual_mov_b32 v7, v10
	s_and_saveexec_b32 s13, vcc_lo
; %bb.1459:                             ;   in Loop: Header=BB460_1375 Depth=1
	v_and_b32_e32 v6, 7, v3
	s_delay_alu instid0(VALU_DEP_1) | instskip(NEXT) | instid1(VALU_DEP_1)
	v_clz_i32_u32_e32 v6, v6
	v_min_u32_e32 v65, 32, v6
	s_delay_alu instid0(VALU_DEP_1) | instskip(SKIP_1) | instid1(VALU_DEP_2)
	v_subrev_nc_u32_e32 v6, 28, v65
	v_sub_nc_u32_e32 v65, 29, v65
	v_lshlrev_b64 v[6:7], v6, v[9:10]
; %bb.1460:                             ;   in Loop: Header=BB460_1375 Depth=1
	s_or_b32 exec_lo, exec_lo, s13
	s_delay_alu instid0(VALU_DEP_1) | instskip(SKIP_2) | instid1(VALU_DEP_3)
	v_lshlrev_b32_e32 v6, 20, v6
	v_lshlrev_b32_e32 v7, 24, v9
	v_lshl_add_u32 v65, v65, 23, 0x3c000000
	v_and_b32_e32 v6, 0x700000, v6
	s_delay_alu instid0(VALU_DEP_3) | instskip(NEXT) | instid1(VALU_DEP_1)
	v_and_b32_e32 v7, 0x80000000, v7
	v_or3_b32 v6, v6, v7, v65
.LBB460_1461:                           ;   in Loop: Header=BB460_1375 Depth=1
	s_or_b32 exec_lo, exec_lo, s12
.LBB460_1462:                           ;   in Loop: Header=BB460_1375 Depth=1
	s_delay_alu instid0(SALU_CYCLE_1)
	s_or_b32 exec_lo, exec_lo, s9
.LBB460_1463:                           ;   in Loop: Header=BB460_1375 Depth=1
	s_delay_alu instid0(SALU_CYCLE_1) | instskip(NEXT) | instid1(VALU_DEP_1)
	s_or_b32 exec_lo, exec_lo, s0
	v_mul_f32_e32 v6, v26, v6
	s_mov_b32 s0, exec_lo
                                        ; implicit-def: $vgpr65
	s_delay_alu instid0(VALU_DEP_1) | instskip(NEXT) | instid1(VALU_DEP_1)
	v_and_b32_e32 v7, 0x7f800000, v6
	v_cmpx_ne_u32_e32 0x7f800000, v7
	s_xor_b32 s0, exec_lo, s0
; %bb.1464:                             ;   in Loop: Header=BB460_1375 Depth=1
	v_bfe_u32 v7, v6, 16, 1
	s_delay_alu instid0(VALU_DEP_1)
	v_add3_u32 v65, v6, v7, 0x7fff
                                        ; implicit-def: $vgpr6
; %bb.1465:                             ;   in Loop: Header=BB460_1375 Depth=1
	s_and_not1_saveexec_b32 s0, s0
; %bb.1466:                             ;   in Loop: Header=BB460_1375 Depth=1
	v_and_b32_e32 v7, 0xffff, v6
	v_or_b32_e32 v65, 0x10000, v6
	s_delay_alu instid0(VALU_DEP_2) | instskip(NEXT) | instid1(VALU_DEP_2)
	v_cmp_eq_u32_e32 vcc_lo, 0, v7
	v_cndmask_b32_e32 v65, v65, v6, vcc_lo
; %bb.1467:                             ;   in Loop: Header=BB460_1375 Depth=1
	s_or_b32 exec_lo, exec_lo, s0
	v_lshrrev_b16 v7, 8, v9
	v_mov_b32_e32 v6, 0
	s_mov_b32 s0, exec_lo
	s_delay_alu instid0(VALU_DEP_2)
	v_cmpx_ne_u16_e32 0, v7
	s_cbranch_execz .LBB460_1475
; %bb.1468:                             ;   in Loop: Header=BB460_1375 Depth=1
	v_bfrev_b32_e32 v6, 1
	s_mov_b32 s9, exec_lo
	v_cmpx_ne_u16_e32 0x80, v7
	s_cbranch_execz .LBB460_1474
; %bb.1469:                             ;   in Loop: Header=BB460_1375 Depth=1
	v_and_b32_e32 v7, 0xffff, v7
	v_mov_b32_e32 v6, 0x7f800001
	s_mov_b32 s12, exec_lo
	s_delay_alu instid0(VALU_DEP_2) | instskip(NEXT) | instid1(VALU_DEP_1)
	v_and_b32_e32 v67, 0x7f, v7
	v_cmpx_ne_u32_e32 0x7f, v67
	s_cbranch_execz .LBB460_1473
; %bb.1470:                             ;   in Loop: Header=BB460_1375 Depth=1
	v_dual_mov_b32 v7, v10 :: v_dual_and_b32 v6, 7, v7
	v_lshrrev_b32_e32 v66, 3, v67
	s_mov_b32 s13, exec_lo
	v_cmpx_gt_u32_e32 8, v67
; %bb.1471:                             ;   in Loop: Header=BB460_1375 Depth=1
	s_delay_alu instid0(VALU_DEP_3) | instskip(NEXT) | instid1(VALU_DEP_1)
	v_clz_i32_u32_e32 v66, v6
	v_min_u32_e32 v66, 32, v66
	s_delay_alu instid0(VALU_DEP_1) | instskip(SKIP_1) | instid1(VALU_DEP_2)
	v_subrev_nc_u32_e32 v67, 28, v66
	v_sub_nc_u32_e32 v66, 29, v66
	v_lshlrev_b64 v[6:7], v67, v[6:7]
	s_delay_alu instid0(VALU_DEP_1)
	v_and_b32_e32 v6, 7, v6
; %bb.1472:                             ;   in Loop: Header=BB460_1375 Depth=1
	s_or_b32 exec_lo, exec_lo, s13
	v_lshlrev_b32_e32 v7, 16, v9
	s_delay_alu instid0(VALU_DEP_2) | instskip(SKIP_1) | instid1(VALU_DEP_3)
	v_lshlrev_b32_e32 v6, 20, v6
	v_lshl_add_u32 v9, v66, 23, 0x3c000000
	v_and_b32_e32 v7, 0x80000000, v7
	s_delay_alu instid0(VALU_DEP_1)
	v_or3_b32 v6, v6, v7, v9
.LBB460_1473:                           ;   in Loop: Header=BB460_1375 Depth=1
	s_or_b32 exec_lo, exec_lo, s12
.LBB460_1474:                           ;   in Loop: Header=BB460_1375 Depth=1
	s_delay_alu instid0(SALU_CYCLE_1)
	s_or_b32 exec_lo, exec_lo, s9
.LBB460_1475:                           ;   in Loop: Header=BB460_1375 Depth=1
	s_delay_alu instid0(SALU_CYCLE_1) | instskip(NEXT) | instid1(VALU_DEP_1)
	s_or_b32 exec_lo, exec_lo, s0
	v_mul_f32_e32 v6, v26, v6
	s_mov_b32 s0, exec_lo
                                        ; implicit-def: $vgpr67
	s_delay_alu instid0(VALU_DEP_1) | instskip(NEXT) | instid1(VALU_DEP_1)
	v_and_b32_e32 v7, 0x7f800000, v6
	v_cmpx_ne_u32_e32 0x7f800000, v7
	s_xor_b32 s0, exec_lo, s0
; %bb.1476:                             ;   in Loop: Header=BB460_1375 Depth=1
	v_bfe_u32 v7, v6, 16, 1
	s_delay_alu instid0(VALU_DEP_1)
	v_add3_u32 v67, v6, v7, 0x7fff
                                        ; implicit-def: $vgpr6
; %bb.1477:                             ;   in Loop: Header=BB460_1375 Depth=1
	s_and_not1_saveexec_b32 s0, s0
; %bb.1478:                             ;   in Loop: Header=BB460_1375 Depth=1
	v_and_b32_e32 v7, 0xffff, v6
	v_or_b32_e32 v9, 0x10000, v6
	s_delay_alu instid0(VALU_DEP_2) | instskip(NEXT) | instid1(VALU_DEP_2)
	v_cmp_eq_u32_e32 vcc_lo, 0, v7
	v_cndmask_b32_e32 v67, v9, v6, vcc_lo
; %bb.1479:                             ;   in Loop: Header=BB460_1375 Depth=1
	s_or_b32 exec_lo, exec_lo, s0
	v_lshrrev_b32_e32 v66, 16, v3
	s_mov_b32 s0, exec_lo
	s_delay_alu instid0(VALU_DEP_1) | instskip(NEXT) | instid1(VALU_DEP_1)
	v_dual_mov_b32 v6, 0 :: v_dual_and_b32 v7, 0xff, v66
	v_cmpx_ne_u16_e32 0, v7
	s_cbranch_execz .LBB460_1487
; %bb.1480:                             ;   in Loop: Header=BB460_1375 Depth=1
	v_bfrev_b32_e32 v6, 1
	s_mov_b32 s9, exec_lo
	v_cmpx_ne_u16_e32 0x80, v7
	s_cbranch_execz .LBB460_1486
; %bb.1481:                             ;   in Loop: Header=BB460_1375 Depth=1
	v_bfe_u32 v7, v3, 16, 7
	v_mov_b32_e32 v6, 0x7f800001
	s_mov_b32 s12, exec_lo
	s_delay_alu instid0(VALU_DEP_2)
	v_cmpx_ne_u32_e32 0x7f, v7
	s_cbranch_execz .LBB460_1485
; %bb.1482:                             ;   in Loop: Header=BB460_1375 Depth=1
	v_and_b32_e32 v9, 7, v66
	v_lshrrev_b32_e32 v68, 3, v7
	v_cmp_gt_u32_e32 vcc_lo, 8, v7
	s_delay_alu instid0(VALU_DEP_3)
	v_dual_mov_b32 v6, v9 :: v_dual_mov_b32 v7, v10
	s_and_saveexec_b32 s13, vcc_lo
; %bb.1483:                             ;   in Loop: Header=BB460_1375 Depth=1
	v_clz_i32_u32_e32 v6, v9
	s_delay_alu instid0(VALU_DEP_1) | instskip(NEXT) | instid1(VALU_DEP_1)
	v_min_u32_e32 v68, 32, v6
	v_subrev_nc_u32_e32 v6, 28, v68
	v_sub_nc_u32_e32 v68, 29, v68
	s_delay_alu instid0(VALU_DEP_2) | instskip(NEXT) | instid1(VALU_DEP_1)
	v_lshlrev_b64 v[6:7], v6, v[9:10]
	v_and_b32_e32 v6, 7, v6
; %bb.1484:                             ;   in Loop: Header=BB460_1375 Depth=1
	s_or_b32 exec_lo, exec_lo, s13
	v_lshlrev_b32_e32 v7, 24, v66
	s_delay_alu instid0(VALU_DEP_2) | instskip(SKIP_1) | instid1(VALU_DEP_3)
	v_lshlrev_b32_e32 v6, 20, v6
	v_lshl_add_u32 v9, v68, 23, 0x3c000000
	v_and_b32_e32 v7, 0x80000000, v7
	s_delay_alu instid0(VALU_DEP_1)
	v_or3_b32 v6, v6, v7, v9
.LBB460_1485:                           ;   in Loop: Header=BB460_1375 Depth=1
	s_or_b32 exec_lo, exec_lo, s12
.LBB460_1486:                           ;   in Loop: Header=BB460_1375 Depth=1
	s_delay_alu instid0(SALU_CYCLE_1)
	s_or_b32 exec_lo, exec_lo, s9
.LBB460_1487:                           ;   in Loop: Header=BB460_1375 Depth=1
	s_delay_alu instid0(SALU_CYCLE_1) | instskip(NEXT) | instid1(VALU_DEP_1)
	s_or_b32 exec_lo, exec_lo, s0
	v_mul_f32_e32 v6, v26, v6
	s_mov_b32 s0, exec_lo
                                        ; implicit-def: $vgpr68
	s_delay_alu instid0(VALU_DEP_1) | instskip(NEXT) | instid1(VALU_DEP_1)
	v_and_b32_e32 v7, 0x7f800000, v6
	v_cmpx_ne_u32_e32 0x7f800000, v7
	s_xor_b32 s0, exec_lo, s0
; %bb.1488:                             ;   in Loop: Header=BB460_1375 Depth=1
	v_bfe_u32 v7, v6, 16, 1
	s_delay_alu instid0(VALU_DEP_1)
	v_add3_u32 v68, v6, v7, 0x7fff
                                        ; implicit-def: $vgpr6
; %bb.1489:                             ;   in Loop: Header=BB460_1375 Depth=1
	s_and_not1_saveexec_b32 s0, s0
; %bb.1490:                             ;   in Loop: Header=BB460_1375 Depth=1
	v_and_b32_e32 v7, 0xffff, v6
	v_or_b32_e32 v9, 0x10000, v6
	s_delay_alu instid0(VALU_DEP_2) | instskip(NEXT) | instid1(VALU_DEP_2)
	v_cmp_eq_u32_e32 vcc_lo, 0, v7
	v_cndmask_b32_e32 v68, v9, v6, vcc_lo
; %bb.1491:                             ;   in Loop: Header=BB460_1375 Depth=1
	s_or_b32 exec_lo, exec_lo, s0
	v_cmp_lt_u64_e32 vcc_lo, s[2:3], v[2:3]
	v_mov_b32_e32 v2, 0
	s_and_saveexec_b32 s0, vcc_lo
	s_cbranch_execz .LBB460_1499
; %bb.1492:                             ;   in Loop: Header=BB460_1375 Depth=1
	v_lshrrev_b32_e32 v6, 24, v3
	v_bfrev_b32_e32 v2, 1
	s_mov_b32 s9, exec_lo
	s_delay_alu instid0(VALU_DEP_2)
	v_cmpx_ne_u32_e32 0x80, v6
	s_cbranch_execz .LBB460_1498
; %bb.1493:                             ;   in Loop: Header=BB460_1375 Depth=1
	v_bfe_u32 v3, v3, 24, 7
	v_mov_b32_e32 v2, 0x7f800001
	s_mov_b32 s12, exec_lo
	s_delay_alu instid0(VALU_DEP_2)
	v_cmpx_ne_u32_e32 0x7f, v3
	s_cbranch_execz .LBB460_1497
; %bb.1494:                             ;   in Loop: Header=BB460_1375 Depth=1
	v_and_b32_e32 v9, 7, v6
	v_lshrrev_b32_e32 v7, 3, v3
	v_cmp_gt_u32_e32 vcc_lo, 8, v3
	s_delay_alu instid0(VALU_DEP_3)
	v_dual_mov_b32 v2, v9 :: v_dual_mov_b32 v3, v10
	s_and_saveexec_b32 s13, vcc_lo
; %bb.1495:                             ;   in Loop: Header=BB460_1375 Depth=1
	v_clz_i32_u32_e32 v2, v9
	s_delay_alu instid0(VALU_DEP_1) | instskip(NEXT) | instid1(VALU_DEP_1)
	v_min_u32_e32 v7, 32, v2
	v_subrev_nc_u32_e32 v2, 28, v7
	v_sub_nc_u32_e32 v7, 29, v7
	s_delay_alu instid0(VALU_DEP_2) | instskip(NEXT) | instid1(VALU_DEP_1)
	v_lshlrev_b64 v[2:3], v2, v[9:10]
	v_and_b32_e32 v2, 7, v2
; %bb.1496:                             ;   in Loop: Header=BB460_1375 Depth=1
	s_or_b32 exec_lo, exec_lo, s13
	v_lshlrev_b32_e32 v3, 24, v6
	s_delay_alu instid0(VALU_DEP_2) | instskip(SKIP_1) | instid1(VALU_DEP_3)
	v_lshlrev_b32_e32 v2, 20, v2
	v_lshl_add_u32 v6, v7, 23, 0x3c000000
	v_and_b32_e32 v3, 0x80000000, v3
	s_delay_alu instid0(VALU_DEP_1)
	v_or3_b32 v2, v2, v3, v6
.LBB460_1497:                           ;   in Loop: Header=BB460_1375 Depth=1
	s_or_b32 exec_lo, exec_lo, s12
.LBB460_1498:                           ;   in Loop: Header=BB460_1375 Depth=1
	s_delay_alu instid0(SALU_CYCLE_1)
	s_or_b32 exec_lo, exec_lo, s9
.LBB460_1499:                           ;   in Loop: Header=BB460_1375 Depth=1
	s_delay_alu instid0(SALU_CYCLE_1) | instskip(NEXT) | instid1(VALU_DEP_1)
	s_or_b32 exec_lo, exec_lo, s0
	v_mul_f32_e32 v3, v26, v2
	s_delay_alu instid0(VALU_DEP_1) | instskip(NEXT) | instid1(VALU_DEP_1)
	v_and_b32_e32 v2, 0x7f800000, v3
	v_cmp_ne_u32_e32 vcc_lo, 0x7f800000, v2
                                        ; implicit-def: $vgpr2
	s_and_saveexec_b32 s0, vcc_lo
	s_delay_alu instid0(SALU_CYCLE_1)
	s_xor_b32 s0, exec_lo, s0
; %bb.1500:                             ;   in Loop: Header=BB460_1375 Depth=1
	v_bfe_u32 v2, v3, 16, 1
	s_delay_alu instid0(VALU_DEP_1)
	v_add3_u32 v2, v3, v2, 0x7fff
                                        ; implicit-def: $vgpr3
; %bb.1501:                             ;   in Loop: Header=BB460_1375 Depth=1
	s_and_not1_saveexec_b32 s0, s0
; %bb.1502:                             ;   in Loop: Header=BB460_1375 Depth=1
	v_and_b32_e32 v2, 0xffff, v3
	v_or_b32_e32 v6, 0x10000, v3
	s_delay_alu instid0(VALU_DEP_2) | instskip(NEXT) | instid1(VALU_DEP_2)
	v_cmp_eq_u32_e32 vcc_lo, 0, v2
	v_cndmask_b32_e32 v2, v6, v3, vcc_lo
; %bb.1503:                             ;   in Loop: Header=BB460_1375 Depth=1
	s_or_b32 exec_lo, exec_lo, s0
	v_cmp_eq_u32_e32 vcc_lo, v27, v16
	v_add_nc_u32_e32 v66, -7, v15
	v_lshrrev_b32_e32 v6, 16, v67
	v_lshrrev_b32_e32 v7, 16, v65
	;; [unrolled: 1-line block ×8, first 2 shown]
	v_add_nc_u32_e32 v80, -6, v15
	v_add_nc_u32_e32 v71, -5, v15
	;; [unrolled: 1-line block ×6, first 2 shown]
	s_and_saveexec_b32 s9, vcc_lo
	s_cbranch_execz .LBB460_1505
; %bb.1504:                             ;   in Loop: Header=BB460_1375 Depth=1
	v_cmp_lt_i32_e64 s0, v66, v36
	s_delay_alu instid0(VALU_DEP_1) | instskip(SKIP_1) | instid1(VALU_DEP_1)
	v_cndmask_b32_e64 v8, 0, v8, s0
	v_cmp_lt_i32_e64 s0, v80, v36
	v_cndmask_b32_e64 v54, 0, v54, s0
	v_cmp_lt_i32_e64 s0, v71, v36
	s_delay_alu instid0(VALU_DEP_1) | instskip(SKIP_1) | instid1(VALU_DEP_1)
	v_cndmask_b32_e64 v55, 0, v55, s0
	v_cmp_lt_i32_e64 s0, v70, v36
	v_cndmask_b32_e64 v9, 0, v9, s0
	v_cmp_lt_i32_e64 s0, v69, v36
	s_delay_alu instid0(VALU_DEP_1) | instskip(SKIP_1) | instid1(VALU_DEP_1)
	v_cndmask_b32_e64 v7, 0, v7, s0
	v_cmp_lt_i32_e64 s0, v68, v36
	v_cndmask_b32_e64 v6, 0, v6, s0
	v_cmp_lt_i32_e64 s0, v67, v36
	s_delay_alu instid0(VALU_DEP_1) | instskip(SKIP_1) | instid1(VALU_DEP_1)
	v_cndmask_b32_e64 v3, 0, v3, s0
	v_cmp_lt_i32_e64 s0, v15, v36
	v_cndmask_b32_e64 v2, 0, v2, s0
.LBB460_1505:                           ;   in Loop: Header=BB460_1375 Depth=1
	s_or_b32 exec_lo, exec_lo, s9
	v_and_b32_e32 v81, 0xffff0000, v53
	v_lshlrev_b32_e32 v8, 16, v8
	s_delay_alu instid0(VALU_DEP_1) | instskip(NEXT) | instid1(VALU_DEP_1)
	v_mul_f32_e32 v53, v81, v8
	v_and_b32_e32 v8, 0x7f800000, v53
	s_delay_alu instid0(VALU_DEP_1) | instskip(NEXT) | instid1(VALU_DEP_1)
	v_cmp_ne_u32_e64 s0, 0x7f800000, v8
                                        ; implicit-def: $vgpr8
	s_and_saveexec_b32 s9, s0
	s_delay_alu instid0(SALU_CYCLE_1)
	s_xor_b32 s0, exec_lo, s9
; %bb.1506:                             ;   in Loop: Header=BB460_1375 Depth=1
	v_bfe_u32 v8, v53, 16, 1
	s_delay_alu instid0(VALU_DEP_1)
	v_add3_u32 v8, v53, v8, 0x7fff
                                        ; implicit-def: $vgpr53
; %bb.1507:                             ;   in Loop: Header=BB460_1375 Depth=1
	s_and_not1_saveexec_b32 s9, s0
; %bb.1508:                             ;   in Loop: Header=BB460_1375 Depth=1
	v_and_b32_e32 v8, 0xffff, v53
	v_or_b32_e32 v64, 0x10000, v53
	s_delay_alu instid0(VALU_DEP_2) | instskip(NEXT) | instid1(VALU_DEP_1)
	v_cmp_eq_u32_e64 s0, 0, v8
	v_cndmask_b32_e64 v8, v64, v53, s0
; %bb.1509:                             ;   in Loop: Header=BB460_1375 Depth=1
	s_or_b32 exec_lo, exec_lo, s9
	v_and_b32_e32 v82, 0xffff0000, v51
	v_lshlrev_b32_e32 v51, 16, v54
	s_delay_alu instid0(VALU_DEP_1) | instskip(NEXT) | instid1(VALU_DEP_1)
	v_mul_f32_e32 v53, v82, v51
	v_and_b32_e32 v51, 0x7f800000, v53
	s_delay_alu instid0(VALU_DEP_1) | instskip(NEXT) | instid1(VALU_DEP_1)
	v_cmp_ne_u32_e64 s0, 0x7f800000, v51
                                        ; implicit-def: $vgpr51
	s_and_saveexec_b32 s9, s0
	s_delay_alu instid0(SALU_CYCLE_1)
	s_xor_b32 s0, exec_lo, s9
; %bb.1510:                             ;   in Loop: Header=BB460_1375 Depth=1
	v_bfe_u32 v51, v53, 16, 1
	s_delay_alu instid0(VALU_DEP_1)
	v_add3_u32 v51, v53, v51, 0x7fff
                                        ; implicit-def: $vgpr53
; %bb.1511:                             ;   in Loop: Header=BB460_1375 Depth=1
	s_and_not1_saveexec_b32 s9, s0
; %bb.1512:                             ;   in Loop: Header=BB460_1375 Depth=1
	v_and_b32_e32 v51, 0xffff, v53
	v_or_b32_e32 v54, 0x10000, v53
	s_delay_alu instid0(VALU_DEP_2) | instskip(NEXT) | instid1(VALU_DEP_1)
	v_cmp_eq_u32_e64 s0, 0, v51
	v_cndmask_b32_e64 v51, v54, v53, s0
; %bb.1513:                             ;   in Loop: Header=BB460_1375 Depth=1
	s_or_b32 exec_lo, exec_lo, s9
	v_and_b32_e32 v83, 0xffff0000, v52
	v_lshlrev_b32_e32 v52, 16, v55
	s_delay_alu instid0(VALU_DEP_1) | instskip(NEXT) | instid1(VALU_DEP_1)
	v_mul_f32_e32 v53, v83, v52
	v_and_b32_e32 v52, 0x7f800000, v53
	s_delay_alu instid0(VALU_DEP_1) | instskip(NEXT) | instid1(VALU_DEP_1)
	v_cmp_ne_u32_e64 s0, 0x7f800000, v52
                                        ; implicit-def: $vgpr52
	s_and_saveexec_b32 s9, s0
	s_delay_alu instid0(SALU_CYCLE_1)
	s_xor_b32 s0, exec_lo, s9
; %bb.1514:                             ;   in Loop: Header=BB460_1375 Depth=1
	v_bfe_u32 v52, v53, 16, 1
	s_delay_alu instid0(VALU_DEP_1)
	v_add3_u32 v52, v53, v52, 0x7fff
                                        ; implicit-def: $vgpr53
; %bb.1515:                             ;   in Loop: Header=BB460_1375 Depth=1
	s_and_not1_saveexec_b32 s9, s0
; %bb.1516:                             ;   in Loop: Header=BB460_1375 Depth=1
	v_and_b32_e32 v52, 0xffff, v53
	v_or_b32_e32 v54, 0x10000, v53
	s_delay_alu instid0(VALU_DEP_2) | instskip(NEXT) | instid1(VALU_DEP_1)
	v_cmp_eq_u32_e64 s0, 0, v52
	v_cndmask_b32_e64 v52, v54, v53, s0
; %bb.1517:                             ;   in Loop: Header=BB460_1375 Depth=1
	s_or_b32 exec_lo, exec_lo, s9
	v_and_b32_e32 v84, 0xffff0000, v35
	v_lshlrev_b32_e32 v9, 16, v9
                                        ; implicit-def: $vgpr53
	s_delay_alu instid0(VALU_DEP_1) | instskip(NEXT) | instid1(VALU_DEP_1)
	v_mul_f32_e32 v9, v84, v9
	v_and_b32_e32 v35, 0x7f800000, v9
	s_delay_alu instid0(VALU_DEP_1) | instskip(NEXT) | instid1(VALU_DEP_1)
	v_cmp_ne_u32_e64 s0, 0x7f800000, v35
	s_and_saveexec_b32 s9, s0
	s_delay_alu instid0(SALU_CYCLE_1)
	s_xor_b32 s0, exec_lo, s9
; %bb.1518:                             ;   in Loop: Header=BB460_1375 Depth=1
	v_bfe_u32 v35, v9, 16, 1
	s_delay_alu instid0(VALU_DEP_1)
	v_add3_u32 v53, v9, v35, 0x7fff
                                        ; implicit-def: $vgpr9
; %bb.1519:                             ;   in Loop: Header=BB460_1375 Depth=1
	s_and_not1_saveexec_b32 s9, s0
; %bb.1520:                             ;   in Loop: Header=BB460_1375 Depth=1
	v_and_b32_e32 v35, 0xffff, v9
	v_or_b32_e32 v53, 0x10000, v9
	s_delay_alu instid0(VALU_DEP_2) | instskip(NEXT) | instid1(VALU_DEP_1)
	v_cmp_eq_u32_e64 s0, 0, v35
	v_cndmask_b32_e64 v53, v53, v9, s0
; %bb.1521:                             ;   in Loop: Header=BB460_1375 Depth=1
	s_or_b32 exec_lo, exec_lo, s9
	v_and_b32_e32 v85, 0xffff0000, v34
	v_lshlrev_b32_e32 v7, 16, v7
                                        ; implicit-def: $vgpr54
	s_delay_alu instid0(VALU_DEP_1) | instskip(NEXT) | instid1(VALU_DEP_1)
	v_mul_f32_e32 v7, v85, v7
	v_and_b32_e32 v9, 0x7f800000, v7
	s_delay_alu instid0(VALU_DEP_1) | instskip(NEXT) | instid1(VALU_DEP_1)
	v_cmp_ne_u32_e64 s0, 0x7f800000, v9
	s_and_saveexec_b32 s9, s0
	s_delay_alu instid0(SALU_CYCLE_1)
	s_xor_b32 s0, exec_lo, s9
; %bb.1522:                             ;   in Loop: Header=BB460_1375 Depth=1
	v_bfe_u32 v9, v7, 16, 1
	s_delay_alu instid0(VALU_DEP_1)
	v_add3_u32 v54, v7, v9, 0x7fff
                                        ; implicit-def: $vgpr7
; %bb.1523:                             ;   in Loop: Header=BB460_1375 Depth=1
	s_and_not1_saveexec_b32 s9, s0
; %bb.1524:                             ;   in Loop: Header=BB460_1375 Depth=1
	v_and_b32_e32 v9, 0xffff, v7
	v_or_b32_e32 v34, 0x10000, v7
	s_delay_alu instid0(VALU_DEP_2) | instskip(NEXT) | instid1(VALU_DEP_1)
	v_cmp_eq_u32_e64 s0, 0, v9
	v_cndmask_b32_e64 v54, v34, v7, s0
; %bb.1525:                             ;   in Loop: Header=BB460_1375 Depth=1
	s_or_b32 exec_lo, exec_lo, s9
	v_and_b32_e32 v86, 0xffff0000, v23
	v_lshlrev_b32_e32 v6, 16, v6
                                        ; implicit-def: $vgpr55
	s_delay_alu instid0(VALU_DEP_1) | instskip(NEXT) | instid1(VALU_DEP_1)
	v_mul_f32_e32 v6, v86, v6
	v_and_b32_e32 v7, 0x7f800000, v6
	s_delay_alu instid0(VALU_DEP_1) | instskip(NEXT) | instid1(VALU_DEP_1)
	v_cmp_ne_u32_e64 s0, 0x7f800000, v7
	s_and_saveexec_b32 s9, s0
	s_delay_alu instid0(SALU_CYCLE_1)
	s_xor_b32 s0, exec_lo, s9
; %bb.1526:                             ;   in Loop: Header=BB460_1375 Depth=1
	v_bfe_u32 v7, v6, 16, 1
	s_delay_alu instid0(VALU_DEP_1)
	v_add3_u32 v55, v6, v7, 0x7fff
                                        ; implicit-def: $vgpr6
; %bb.1527:                             ;   in Loop: Header=BB460_1375 Depth=1
	s_and_not1_saveexec_b32 s9, s0
; %bb.1528:                             ;   in Loop: Header=BB460_1375 Depth=1
	v_and_b32_e32 v7, 0xffff, v6
	v_or_b32_e32 v9, 0x10000, v6
	s_delay_alu instid0(VALU_DEP_2) | instskip(NEXT) | instid1(VALU_DEP_1)
	v_cmp_eq_u32_e64 s0, 0, v7
	v_cndmask_b32_e64 v55, v9, v6, s0
; %bb.1529:                             ;   in Loop: Header=BB460_1375 Depth=1
	s_or_b32 exec_lo, exec_lo, s9
	v_and_b32_e32 v87, 0xffff0000, v5
	v_lshlrev_b32_e32 v3, 16, v3
                                        ; implicit-def: $vgpr64
	s_delay_alu instid0(VALU_DEP_1) | instskip(NEXT) | instid1(VALU_DEP_1)
	v_mul_f32_e32 v3, v87, v3
	v_and_b32_e32 v5, 0x7f800000, v3
	s_delay_alu instid0(VALU_DEP_1) | instskip(NEXT) | instid1(VALU_DEP_1)
	v_cmp_ne_u32_e64 s0, 0x7f800000, v5
	s_and_saveexec_b32 s9, s0
	s_delay_alu instid0(SALU_CYCLE_1)
	s_xor_b32 s0, exec_lo, s9
; %bb.1530:                             ;   in Loop: Header=BB460_1375 Depth=1
	v_bfe_u32 v5, v3, 16, 1
	s_delay_alu instid0(VALU_DEP_1)
	v_add3_u32 v64, v3, v5, 0x7fff
                                        ; implicit-def: $vgpr3
; %bb.1531:                             ;   in Loop: Header=BB460_1375 Depth=1
	s_and_not1_saveexec_b32 s9, s0
; %bb.1532:                             ;   in Loop: Header=BB460_1375 Depth=1
	v_and_b32_e32 v5, 0xffff, v3
	v_or_b32_e32 v6, 0x10000, v3
	s_delay_alu instid0(VALU_DEP_2) | instskip(NEXT) | instid1(VALU_DEP_1)
	v_cmp_eq_u32_e64 s0, 0, v5
	v_cndmask_b32_e64 v64, v6, v3, s0
; %bb.1533:                             ;   in Loop: Header=BB460_1375 Depth=1
	s_or_b32 exec_lo, exec_lo, s9
	v_and_b32_e32 v96, 0xffff0000, v4
	v_lshlrev_b32_e32 v2, 16, v2
                                        ; implicit-def: $vgpr65
	s_delay_alu instid0(VALU_DEP_1) | instskip(NEXT) | instid1(VALU_DEP_1)
	v_mul_f32_e32 v2, v96, v2
	v_and_b32_e32 v3, 0x7f800000, v2
	s_delay_alu instid0(VALU_DEP_1) | instskip(NEXT) | instid1(VALU_DEP_1)
	v_cmp_ne_u32_e64 s0, 0x7f800000, v3
	s_and_saveexec_b32 s9, s0
	s_delay_alu instid0(SALU_CYCLE_1)
	s_xor_b32 s0, exec_lo, s9
; %bb.1534:                             ;   in Loop: Header=BB460_1375 Depth=1
	v_bfe_u32 v3, v2, 16, 1
	s_delay_alu instid0(VALU_DEP_1)
	v_add3_u32 v65, v2, v3, 0x7fff
                                        ; implicit-def: $vgpr2
; %bb.1535:                             ;   in Loop: Header=BB460_1375 Depth=1
	s_and_not1_saveexec_b32 s9, s0
; %bb.1536:                             ;   in Loop: Header=BB460_1375 Depth=1
	v_and_b32_e32 v3, 0xffff, v2
	v_or_b32_e32 v4, 0x10000, v2
	s_delay_alu instid0(VALU_DEP_2) | instskip(NEXT) | instid1(VALU_DEP_1)
	v_cmp_eq_u32_e64 s0, 0, v3
	v_cndmask_b32_e64 v65, v4, v2, s0
; %bb.1537:                             ;   in Loop: Header=BB460_1375 Depth=1
	s_or_b32 exec_lo, exec_lo, s9
	flat_load_b64 v[2:3], v[0:1] offset:256
	s_mov_b32 s9, exec_lo
	s_waitcnt vmcnt(0) lgkmcnt(0)
	v_dual_mov_b32 v4, 0 :: v_dual_and_b32 v5, 0xff, v2
	s_delay_alu instid0(VALU_DEP_1)
	v_cmpx_ne_u16_e32 0, v5
	s_cbranch_execz .LBB460_1545
; %bb.1538:                             ;   in Loop: Header=BB460_1375 Depth=1
	v_bfrev_b32_e32 v4, 1
	s_mov_b32 s12, exec_lo
	v_cmpx_ne_u16_e32 0x80, v5
	s_cbranch_execz .LBB460_1544
; %bb.1539:                             ;   in Loop: Header=BB460_1375 Depth=1
	v_and_b32_e32 v5, 0x7f, v2
	v_mov_b32_e32 v4, 0x7f800001
	s_mov_b32 s13, exec_lo
	s_delay_alu instid0(VALU_DEP_2)
	v_cmpx_ne_u32_e32 0x7f, v5
	s_cbranch_execz .LBB460_1543
; %bb.1540:                             ;   in Loop: Header=BB460_1375 Depth=1
	v_lshrrev_b32_e32 v4, 3, v5
	v_dual_mov_b32 v7, v3 :: v_dual_mov_b32 v6, v2
	s_mov_b32 s15, exec_lo
	v_cmpx_gt_u32_e32 8, v5
; %bb.1541:                             ;   in Loop: Header=BB460_1375 Depth=1
	v_and_b32_e32 v4, 7, v2
	s_delay_alu instid0(VALU_DEP_1) | instskip(NEXT) | instid1(VALU_DEP_1)
	v_clz_i32_u32_e32 v4, v4
	v_min_u32_e32 v4, 32, v4
	s_delay_alu instid0(VALU_DEP_1) | instskip(SKIP_1) | instid1(VALU_DEP_2)
	v_subrev_nc_u32_e32 v5, 28, v4
	v_sub_nc_u32_e32 v4, 29, v4
	v_lshlrev_b64 v[6:7], v5, v[2:3]
; %bb.1542:                             ;   in Loop: Header=BB460_1375 Depth=1
	s_or_b32 exec_lo, exec_lo, s15
	s_delay_alu instid0(VALU_DEP_1) | instskip(SKIP_2) | instid1(VALU_DEP_3)
	v_lshlrev_b32_e32 v5, 20, v6
	v_lshlrev_b32_e32 v6, 24, v2
	v_lshl_add_u32 v4, v4, 23, 0x3c000000
	v_and_b32_e32 v5, 0x700000, v5
	s_delay_alu instid0(VALU_DEP_3) | instskip(NEXT) | instid1(VALU_DEP_1)
	v_and_b32_e32 v6, 0x80000000, v6
	v_or3_b32 v4, v5, v6, v4
.LBB460_1543:                           ;   in Loop: Header=BB460_1375 Depth=1
	s_or_b32 exec_lo, exec_lo, s13
.LBB460_1544:                           ;   in Loop: Header=BB460_1375 Depth=1
	s_delay_alu instid0(SALU_CYCLE_1)
	s_or_b32 exec_lo, exec_lo, s12
.LBB460_1545:                           ;   in Loop: Header=BB460_1375 Depth=1
	s_delay_alu instid0(SALU_CYCLE_1) | instskip(NEXT) | instid1(VALU_DEP_1)
	s_or_b32 exec_lo, exec_lo, s9
	v_mul_f32_e32 v5, v26, v4
	s_delay_alu instid0(VALU_DEP_1) | instskip(NEXT) | instid1(VALU_DEP_1)
	v_and_b32_e32 v4, 0x7f800000, v5
	v_cmp_ne_u32_e64 s0, 0x7f800000, v4
                                        ; implicit-def: $vgpr4
	s_delay_alu instid0(VALU_DEP_1) | instskip(NEXT) | instid1(SALU_CYCLE_1)
	s_and_saveexec_b32 s9, s0
	s_xor_b32 s0, exec_lo, s9
; %bb.1546:                             ;   in Loop: Header=BB460_1375 Depth=1
	v_bfe_u32 v4, v5, 16, 1
	s_delay_alu instid0(VALU_DEP_1)
	v_add3_u32 v4, v5, v4, 0x7fff
                                        ; implicit-def: $vgpr5
; %bb.1547:                             ;   in Loop: Header=BB460_1375 Depth=1
	s_and_not1_saveexec_b32 s9, s0
; %bb.1548:                             ;   in Loop: Header=BB460_1375 Depth=1
	v_and_b32_e32 v4, 0xffff, v5
	v_or_b32_e32 v6, 0x10000, v5
	s_delay_alu instid0(VALU_DEP_2) | instskip(NEXT) | instid1(VALU_DEP_1)
	v_cmp_eq_u32_e64 s0, 0, v4
	v_cndmask_b32_e64 v4, v6, v5, s0
; %bb.1549:                             ;   in Loop: Header=BB460_1375 Depth=1
	s_or_b32 exec_lo, exec_lo, s9
	v_lshrrev_b16 v6, 8, v2
	v_mov_b32_e32 v5, 0
	s_mov_b32 s9, exec_lo
	s_delay_alu instid0(VALU_DEP_2)
	v_cmpx_ne_u16_e32 0, v6
	s_cbranch_execz .LBB460_1557
; %bb.1550:                             ;   in Loop: Header=BB460_1375 Depth=1
	v_bfrev_b32_e32 v5, 1
	s_mov_b32 s12, exec_lo
	v_cmpx_ne_u16_e32 0x80, v6
	s_cbranch_execz .LBB460_1556
; %bb.1551:                             ;   in Loop: Header=BB460_1375 Depth=1
	v_and_b32_e32 v7, 0xffff, v6
	v_mov_b32_e32 v5, 0x7f800001
	s_mov_b32 s13, exec_lo
	s_delay_alu instid0(VALU_DEP_2) | instskip(NEXT) | instid1(VALU_DEP_1)
	v_and_b32_e32 v6, 0x7f, v7
	v_cmpx_ne_u32_e32 0x7f, v6
	s_cbranch_execz .LBB460_1555
; %bb.1552:                             ;   in Loop: Header=BB460_1375 Depth=1
	v_and_b32_e32 v9, 7, v7
	v_lshrrev_b32_e32 v5, 3, v6
	v_cmp_gt_u32_e64 s0, 8, v6
	s_delay_alu instid0(VALU_DEP_3) | instskip(NEXT) | instid1(VALU_DEP_2)
	v_dual_mov_b32 v6, v9 :: v_dual_mov_b32 v7, v10
	s_and_saveexec_b32 s15, s0
; %bb.1553:                             ;   in Loop: Header=BB460_1375 Depth=1
	v_clz_i32_u32_e32 v5, v9
	s_delay_alu instid0(VALU_DEP_1) | instskip(NEXT) | instid1(VALU_DEP_1)
	v_min_u32_e32 v5, 32, v5
	v_subrev_nc_u32_e32 v6, 28, v5
	v_sub_nc_u32_e32 v5, 29, v5
	s_delay_alu instid0(VALU_DEP_2) | instskip(NEXT) | instid1(VALU_DEP_1)
	v_lshlrev_b64 v[6:7], v6, v[9:10]
	v_and_b32_e32 v6, 7, v6
; %bb.1554:                             ;   in Loop: Header=BB460_1375 Depth=1
	s_or_b32 exec_lo, exec_lo, s15
	v_lshlrev_b32_e32 v7, 16, v2
	s_delay_alu instid0(VALU_DEP_2) | instskip(SKIP_1) | instid1(VALU_DEP_3)
	v_lshlrev_b32_e32 v6, 20, v6
	v_lshl_add_u32 v5, v5, 23, 0x3c000000
	v_and_b32_e32 v7, 0x80000000, v7
	s_delay_alu instid0(VALU_DEP_1)
	v_or3_b32 v5, v6, v7, v5
.LBB460_1555:                           ;   in Loop: Header=BB460_1375 Depth=1
	s_or_b32 exec_lo, exec_lo, s13
.LBB460_1556:                           ;   in Loop: Header=BB460_1375 Depth=1
	s_delay_alu instid0(SALU_CYCLE_1)
	s_or_b32 exec_lo, exec_lo, s12
.LBB460_1557:                           ;   in Loop: Header=BB460_1375 Depth=1
	s_delay_alu instid0(SALU_CYCLE_1) | instskip(NEXT) | instid1(VALU_DEP_1)
	s_or_b32 exec_lo, exec_lo, s9
	v_mul_f32_e32 v6, v26, v5
	s_delay_alu instid0(VALU_DEP_1) | instskip(NEXT) | instid1(VALU_DEP_1)
	v_and_b32_e32 v5, 0x7f800000, v6
	v_cmp_ne_u32_e64 s0, 0x7f800000, v5
                                        ; implicit-def: $vgpr5
	s_delay_alu instid0(VALU_DEP_1) | instskip(NEXT) | instid1(SALU_CYCLE_1)
	s_and_saveexec_b32 s9, s0
	s_xor_b32 s0, exec_lo, s9
; %bb.1558:                             ;   in Loop: Header=BB460_1375 Depth=1
	v_bfe_u32 v5, v6, 16, 1
	s_delay_alu instid0(VALU_DEP_1)
	v_add3_u32 v5, v6, v5, 0x7fff
                                        ; implicit-def: $vgpr6
; %bb.1559:                             ;   in Loop: Header=BB460_1375 Depth=1
	s_and_not1_saveexec_b32 s9, s0
; %bb.1560:                             ;   in Loop: Header=BB460_1375 Depth=1
	v_and_b32_e32 v5, 0xffff, v6
	v_or_b32_e32 v7, 0x10000, v6
	s_delay_alu instid0(VALU_DEP_2) | instskip(NEXT) | instid1(VALU_DEP_1)
	v_cmp_eq_u32_e64 s0, 0, v5
	v_cndmask_b32_e64 v5, v7, v6, s0
; %bb.1561:                             ;   in Loop: Header=BB460_1375 Depth=1
	s_or_b32 exec_lo, exec_lo, s9
	v_lshrrev_b32_e32 v23, 16, v2
	s_mov_b32 s9, exec_lo
	s_delay_alu instid0(VALU_DEP_1) | instskip(NEXT) | instid1(VALU_DEP_1)
	v_dual_mov_b32 v6, 0 :: v_dual_and_b32 v7, 0xff, v23
	v_cmpx_ne_u16_e32 0, v7
	s_cbranch_execz .LBB460_1569
; %bb.1562:                             ;   in Loop: Header=BB460_1375 Depth=1
	v_bfrev_b32_e32 v6, 1
	s_mov_b32 s12, exec_lo
	v_cmpx_ne_u16_e32 0x80, v7
	s_cbranch_execz .LBB460_1568
; %bb.1563:                             ;   in Loop: Header=BB460_1375 Depth=1
	v_bfe_u32 v7, v2, 16, 7
	v_mov_b32_e32 v6, 0x7f800001
	s_mov_b32 s13, exec_lo
	s_delay_alu instid0(VALU_DEP_2)
	v_cmpx_ne_u32_e32 0x7f, v7
	s_cbranch_execz .LBB460_1567
; %bb.1564:                             ;   in Loop: Header=BB460_1375 Depth=1
	v_and_b32_e32 v9, 7, v23
	v_lshrrev_b32_e32 v34, 3, v7
	v_cmp_gt_u32_e64 s0, 8, v7
	s_delay_alu instid0(VALU_DEP_3) | instskip(NEXT) | instid1(VALU_DEP_2)
	v_dual_mov_b32 v6, v9 :: v_dual_mov_b32 v7, v10
	s_and_saveexec_b32 s15, s0
; %bb.1565:                             ;   in Loop: Header=BB460_1375 Depth=1
	v_clz_i32_u32_e32 v6, v9
	s_delay_alu instid0(VALU_DEP_1) | instskip(NEXT) | instid1(VALU_DEP_1)
	v_min_u32_e32 v34, 32, v6
	v_subrev_nc_u32_e32 v6, 28, v34
	v_sub_nc_u32_e32 v34, 29, v34
	s_delay_alu instid0(VALU_DEP_2) | instskip(NEXT) | instid1(VALU_DEP_1)
	v_lshlrev_b64 v[6:7], v6, v[9:10]
	v_and_b32_e32 v6, 7, v6
; %bb.1566:                             ;   in Loop: Header=BB460_1375 Depth=1
	s_or_b32 exec_lo, exec_lo, s15
	v_lshlrev_b32_e32 v7, 24, v23
	s_delay_alu instid0(VALU_DEP_2) | instskip(SKIP_1) | instid1(VALU_DEP_3)
	v_lshlrev_b32_e32 v6, 20, v6
	v_lshl_add_u32 v9, v34, 23, 0x3c000000
	v_and_b32_e32 v7, 0x80000000, v7
	s_delay_alu instid0(VALU_DEP_1)
	v_or3_b32 v6, v6, v7, v9
.LBB460_1567:                           ;   in Loop: Header=BB460_1375 Depth=1
	s_or_b32 exec_lo, exec_lo, s13
.LBB460_1568:                           ;   in Loop: Header=BB460_1375 Depth=1
	s_delay_alu instid0(SALU_CYCLE_1)
	s_or_b32 exec_lo, exec_lo, s12
.LBB460_1569:                           ;   in Loop: Header=BB460_1375 Depth=1
	s_delay_alu instid0(SALU_CYCLE_1) | instskip(NEXT) | instid1(VALU_DEP_1)
	s_or_b32 exec_lo, exec_lo, s9
	v_mul_f32_e32 v6, v26, v6
                                        ; implicit-def: $vgpr23
	s_delay_alu instid0(VALU_DEP_1) | instskip(NEXT) | instid1(VALU_DEP_1)
	v_and_b32_e32 v7, 0x7f800000, v6
	v_cmp_ne_u32_e64 s0, 0x7f800000, v7
	s_delay_alu instid0(VALU_DEP_1) | instskip(NEXT) | instid1(SALU_CYCLE_1)
	s_and_saveexec_b32 s9, s0
	s_xor_b32 s0, exec_lo, s9
; %bb.1570:                             ;   in Loop: Header=BB460_1375 Depth=1
	v_bfe_u32 v7, v6, 16, 1
	s_delay_alu instid0(VALU_DEP_1)
	v_add3_u32 v23, v6, v7, 0x7fff
                                        ; implicit-def: $vgpr6
; %bb.1571:                             ;   in Loop: Header=BB460_1375 Depth=1
	s_and_not1_saveexec_b32 s9, s0
; %bb.1572:                             ;   in Loop: Header=BB460_1375 Depth=1
	v_and_b32_e32 v7, 0xffff, v6
	v_or_b32_e32 v9, 0x10000, v6
	s_delay_alu instid0(VALU_DEP_2) | instskip(NEXT) | instid1(VALU_DEP_1)
	v_cmp_eq_u32_e64 s0, 0, v7
	v_cndmask_b32_e64 v23, v9, v6, s0
; %bb.1573:                             ;   in Loop: Header=BB460_1375 Depth=1
	s_or_b32 exec_lo, exec_lo, s9
	v_mov_b32_e32 v6, 0
	s_mov_b32 s9, exec_lo
	v_cmpx_lt_u32_e32 0xffffff, v2
	s_cbranch_execz .LBB460_1581
; %bb.1574:                             ;   in Loop: Header=BB460_1375 Depth=1
	v_lshrrev_b32_e32 v34, 24, v2
	v_bfrev_b32_e32 v6, 1
	s_mov_b32 s12, exec_lo
	s_delay_alu instid0(VALU_DEP_2)
	v_cmpx_ne_u32_e32 0x80, v34
	s_cbranch_execz .LBB460_1580
; %bb.1575:                             ;   in Loop: Header=BB460_1375 Depth=1
	v_bfe_u32 v7, v2, 24, 7
	v_mov_b32_e32 v6, 0x7f800001
	s_mov_b32 s13, exec_lo
	s_delay_alu instid0(VALU_DEP_2)
	v_cmpx_ne_u32_e32 0x7f, v7
	s_cbranch_execz .LBB460_1579
; %bb.1576:                             ;   in Loop: Header=BB460_1375 Depth=1
	v_and_b32_e32 v9, 7, v34
	v_lshrrev_b32_e32 v35, 3, v7
	v_cmp_gt_u32_e64 s0, 8, v7
	s_delay_alu instid0(VALU_DEP_3) | instskip(NEXT) | instid1(VALU_DEP_2)
	v_dual_mov_b32 v6, v9 :: v_dual_mov_b32 v7, v10
	s_and_saveexec_b32 s15, s0
; %bb.1577:                             ;   in Loop: Header=BB460_1375 Depth=1
	v_clz_i32_u32_e32 v6, v9
	s_delay_alu instid0(VALU_DEP_1) | instskip(NEXT) | instid1(VALU_DEP_1)
	v_min_u32_e32 v35, 32, v6
	v_subrev_nc_u32_e32 v6, 28, v35
	v_sub_nc_u32_e32 v35, 29, v35
	s_delay_alu instid0(VALU_DEP_2) | instskip(NEXT) | instid1(VALU_DEP_1)
	v_lshlrev_b64 v[6:7], v6, v[9:10]
	v_and_b32_e32 v6, 7, v6
; %bb.1578:                             ;   in Loop: Header=BB460_1375 Depth=1
	s_or_b32 exec_lo, exec_lo, s15
	v_lshlrev_b32_e32 v7, 24, v34
	s_delay_alu instid0(VALU_DEP_2) | instskip(SKIP_1) | instid1(VALU_DEP_3)
	v_lshlrev_b32_e32 v6, 20, v6
	v_lshl_add_u32 v9, v35, 23, 0x3c000000
	v_and_b32_e32 v7, 0x80000000, v7
	s_delay_alu instid0(VALU_DEP_1)
	v_or3_b32 v6, v6, v7, v9
.LBB460_1579:                           ;   in Loop: Header=BB460_1375 Depth=1
	s_or_b32 exec_lo, exec_lo, s13
.LBB460_1580:                           ;   in Loop: Header=BB460_1375 Depth=1
	s_delay_alu instid0(SALU_CYCLE_1)
	s_or_b32 exec_lo, exec_lo, s12
.LBB460_1581:                           ;   in Loop: Header=BB460_1375 Depth=1
	s_delay_alu instid0(SALU_CYCLE_1) | instskip(NEXT) | instid1(VALU_DEP_1)
	s_or_b32 exec_lo, exec_lo, s9
	v_mul_f32_e32 v6, v26, v6
                                        ; implicit-def: $vgpr34
	s_delay_alu instid0(VALU_DEP_1) | instskip(NEXT) | instid1(VALU_DEP_1)
	v_and_b32_e32 v7, 0x7f800000, v6
	v_cmp_ne_u32_e64 s0, 0x7f800000, v7
	s_delay_alu instid0(VALU_DEP_1) | instskip(NEXT) | instid1(SALU_CYCLE_1)
	s_and_saveexec_b32 s9, s0
	s_xor_b32 s0, exec_lo, s9
; %bb.1582:                             ;   in Loop: Header=BB460_1375 Depth=1
	v_bfe_u32 v7, v6, 16, 1
	s_delay_alu instid0(VALU_DEP_1)
	v_add3_u32 v34, v6, v7, 0x7fff
                                        ; implicit-def: $vgpr6
; %bb.1583:                             ;   in Loop: Header=BB460_1375 Depth=1
	s_and_not1_saveexec_b32 s9, s0
; %bb.1584:                             ;   in Loop: Header=BB460_1375 Depth=1
	v_and_b32_e32 v7, 0xffff, v6
	v_or_b32_e32 v9, 0x10000, v6
	s_delay_alu instid0(VALU_DEP_2) | instskip(NEXT) | instid1(VALU_DEP_1)
	v_cmp_eq_u32_e64 s0, 0, v7
	v_cndmask_b32_e64 v34, v9, v6, s0
; %bb.1585:                             ;   in Loop: Header=BB460_1375 Depth=1
	s_or_b32 exec_lo, exec_lo, s9
	v_dual_mov_b32 v6, 0 :: v_dual_and_b32 v7, 0xff, v3
	v_mov_b32_e32 v9, v3
	s_mov_b32 s9, exec_lo
	s_delay_alu instid0(VALU_DEP_2)
	v_cmpx_ne_u16_e32 0, v7
	s_cbranch_execz .LBB460_1593
; %bb.1586:                             ;   in Loop: Header=BB460_1375 Depth=1
	v_bfrev_b32_e32 v6, 1
	s_mov_b32 s12, exec_lo
	v_cmpx_ne_u16_e32 0x80, v7
	s_cbranch_execz .LBB460_1592
; %bb.1587:                             ;   in Loop: Header=BB460_1375 Depth=1
	v_and_b32_e32 v7, 0x7f, v3
	v_mov_b32_e32 v6, 0x7f800001
	s_mov_b32 s13, exec_lo
	s_delay_alu instid0(VALU_DEP_2)
	v_cmpx_ne_u32_e32 0x7f, v7
	s_cbranch_execz .LBB460_1591
; %bb.1588:                             ;   in Loop: Header=BB460_1375 Depth=1
	v_lshrrev_b32_e32 v35, 3, v7
	v_cmp_gt_u32_e64 s0, 8, v7
	v_dual_mov_b32 v6, v9 :: v_dual_mov_b32 v7, v10
	s_delay_alu instid0(VALU_DEP_2)
	s_and_saveexec_b32 s15, s0
; %bb.1589:                             ;   in Loop: Header=BB460_1375 Depth=1
	v_and_b32_e32 v6, 7, v3
	s_delay_alu instid0(VALU_DEP_1) | instskip(NEXT) | instid1(VALU_DEP_1)
	v_clz_i32_u32_e32 v6, v6
	v_min_u32_e32 v35, 32, v6
	s_delay_alu instid0(VALU_DEP_1) | instskip(SKIP_1) | instid1(VALU_DEP_2)
	v_subrev_nc_u32_e32 v6, 28, v35
	v_sub_nc_u32_e32 v35, 29, v35
	v_lshlrev_b64 v[6:7], v6, v[9:10]
; %bb.1590:                             ;   in Loop: Header=BB460_1375 Depth=1
	s_or_b32 exec_lo, exec_lo, s15
	s_delay_alu instid0(VALU_DEP_1) | instskip(SKIP_2) | instid1(VALU_DEP_3)
	v_lshlrev_b32_e32 v6, 20, v6
	v_lshlrev_b32_e32 v7, 24, v9
	v_lshl_add_u32 v35, v35, 23, 0x3c000000
	v_and_b32_e32 v6, 0x700000, v6
	s_delay_alu instid0(VALU_DEP_3) | instskip(NEXT) | instid1(VALU_DEP_1)
	v_and_b32_e32 v7, 0x80000000, v7
	v_or3_b32 v6, v6, v7, v35
.LBB460_1591:                           ;   in Loop: Header=BB460_1375 Depth=1
	s_or_b32 exec_lo, exec_lo, s13
.LBB460_1592:                           ;   in Loop: Header=BB460_1375 Depth=1
	s_delay_alu instid0(SALU_CYCLE_1)
	s_or_b32 exec_lo, exec_lo, s12
.LBB460_1593:                           ;   in Loop: Header=BB460_1375 Depth=1
	s_delay_alu instid0(SALU_CYCLE_1) | instskip(NEXT) | instid1(VALU_DEP_1)
	s_or_b32 exec_lo, exec_lo, s9
	v_mul_f32_e32 v6, v26, v6
                                        ; implicit-def: $vgpr35
	s_delay_alu instid0(VALU_DEP_1) | instskip(NEXT) | instid1(VALU_DEP_1)
	v_and_b32_e32 v7, 0x7f800000, v6
	v_cmp_ne_u32_e64 s0, 0x7f800000, v7
	s_delay_alu instid0(VALU_DEP_1) | instskip(NEXT) | instid1(SALU_CYCLE_1)
	s_and_saveexec_b32 s9, s0
	s_xor_b32 s0, exec_lo, s9
; %bb.1594:                             ;   in Loop: Header=BB460_1375 Depth=1
	v_bfe_u32 v7, v6, 16, 1
	s_delay_alu instid0(VALU_DEP_1)
	v_add3_u32 v35, v6, v7, 0x7fff
                                        ; implicit-def: $vgpr6
; %bb.1595:                             ;   in Loop: Header=BB460_1375 Depth=1
	s_and_not1_saveexec_b32 s9, s0
; %bb.1596:                             ;   in Loop: Header=BB460_1375 Depth=1
	v_and_b32_e32 v7, 0xffff, v6
	v_or_b32_e32 v35, 0x10000, v6
	s_delay_alu instid0(VALU_DEP_2) | instskip(NEXT) | instid1(VALU_DEP_1)
	v_cmp_eq_u32_e64 s0, 0, v7
	v_cndmask_b32_e64 v35, v35, v6, s0
; %bb.1597:                             ;   in Loop: Header=BB460_1375 Depth=1
	s_or_b32 exec_lo, exec_lo, s9
	v_lshrrev_b16 v7, 8, v9
	v_mov_b32_e32 v6, 0
	s_mov_b32 s9, exec_lo
	s_delay_alu instid0(VALU_DEP_2)
	v_cmpx_ne_u16_e32 0, v7
	s_cbranch_execz .LBB460_1605
; %bb.1598:                             ;   in Loop: Header=BB460_1375 Depth=1
	v_bfrev_b32_e32 v6, 1
	s_mov_b32 s12, exec_lo
	v_cmpx_ne_u16_e32 0x80, v7
	s_cbranch_execz .LBB460_1604
; %bb.1599:                             ;   in Loop: Header=BB460_1375 Depth=1
	v_and_b32_e32 v7, 0xffff, v7
	v_mov_b32_e32 v6, 0x7f800001
	s_mov_b32 s13, exec_lo
	s_delay_alu instid0(VALU_DEP_2) | instskip(NEXT) | instid1(VALU_DEP_1)
	v_and_b32_e32 v98, 0x7f, v7
	v_cmpx_ne_u32_e32 0x7f, v98
	s_cbranch_execz .LBB460_1603
; %bb.1600:                             ;   in Loop: Header=BB460_1375 Depth=1
	v_dual_mov_b32 v7, v10 :: v_dual_and_b32 v6, 7, v7
	v_lshrrev_b32_e32 v97, 3, v98
	s_mov_b32 s15, exec_lo
	v_cmpx_gt_u32_e32 8, v98
; %bb.1601:                             ;   in Loop: Header=BB460_1375 Depth=1
	s_delay_alu instid0(VALU_DEP_3) | instskip(NEXT) | instid1(VALU_DEP_1)
	v_clz_i32_u32_e32 v97, v6
	v_min_u32_e32 v97, 32, v97
	s_delay_alu instid0(VALU_DEP_1) | instskip(SKIP_1) | instid1(VALU_DEP_2)
	v_subrev_nc_u32_e32 v98, 28, v97
	v_sub_nc_u32_e32 v97, 29, v97
	v_lshlrev_b64 v[6:7], v98, v[6:7]
	s_delay_alu instid0(VALU_DEP_1)
	v_and_b32_e32 v6, 7, v6
; %bb.1602:                             ;   in Loop: Header=BB460_1375 Depth=1
	s_or_b32 exec_lo, exec_lo, s15
	v_lshlrev_b32_e32 v7, 16, v9
	s_delay_alu instid0(VALU_DEP_2) | instskip(SKIP_1) | instid1(VALU_DEP_3)
	v_lshlrev_b32_e32 v6, 20, v6
	v_lshl_add_u32 v9, v97, 23, 0x3c000000
	v_and_b32_e32 v7, 0x80000000, v7
	s_delay_alu instid0(VALU_DEP_1)
	v_or3_b32 v6, v6, v7, v9
.LBB460_1603:                           ;   in Loop: Header=BB460_1375 Depth=1
	s_or_b32 exec_lo, exec_lo, s13
.LBB460_1604:                           ;   in Loop: Header=BB460_1375 Depth=1
	s_delay_alu instid0(SALU_CYCLE_1)
	s_or_b32 exec_lo, exec_lo, s12
.LBB460_1605:                           ;   in Loop: Header=BB460_1375 Depth=1
	s_delay_alu instid0(SALU_CYCLE_1) | instskip(NEXT) | instid1(VALU_DEP_1)
	s_or_b32 exec_lo, exec_lo, s9
	v_mul_f32_e32 v6, v26, v6
                                        ; implicit-def: $vgpr97
	s_delay_alu instid0(VALU_DEP_1) | instskip(NEXT) | instid1(VALU_DEP_1)
	v_and_b32_e32 v7, 0x7f800000, v6
	v_cmp_ne_u32_e64 s0, 0x7f800000, v7
	s_delay_alu instid0(VALU_DEP_1) | instskip(NEXT) | instid1(SALU_CYCLE_1)
	s_and_saveexec_b32 s9, s0
	s_xor_b32 s0, exec_lo, s9
; %bb.1606:                             ;   in Loop: Header=BB460_1375 Depth=1
	v_bfe_u32 v7, v6, 16, 1
	s_delay_alu instid0(VALU_DEP_1)
	v_add3_u32 v97, v6, v7, 0x7fff
                                        ; implicit-def: $vgpr6
; %bb.1607:                             ;   in Loop: Header=BB460_1375 Depth=1
	s_and_not1_saveexec_b32 s9, s0
; %bb.1608:                             ;   in Loop: Header=BB460_1375 Depth=1
	v_and_b32_e32 v7, 0xffff, v6
	v_or_b32_e32 v9, 0x10000, v6
	s_delay_alu instid0(VALU_DEP_2) | instskip(NEXT) | instid1(VALU_DEP_1)
	v_cmp_eq_u32_e64 s0, 0, v7
	v_cndmask_b32_e64 v97, v9, v6, s0
; %bb.1609:                             ;   in Loop: Header=BB460_1375 Depth=1
	s_or_b32 exec_lo, exec_lo, s9
	v_lshrrev_b32_e32 v98, 16, v3
	s_mov_b32 s9, exec_lo
	s_delay_alu instid0(VALU_DEP_1) | instskip(NEXT) | instid1(VALU_DEP_1)
	v_dual_mov_b32 v6, 0 :: v_dual_and_b32 v7, 0xff, v98
	v_cmpx_ne_u16_e32 0, v7
	s_cbranch_execz .LBB460_1617
; %bb.1610:                             ;   in Loop: Header=BB460_1375 Depth=1
	v_bfrev_b32_e32 v6, 1
	s_mov_b32 s12, exec_lo
	v_cmpx_ne_u16_e32 0x80, v7
	s_cbranch_execz .LBB460_1616
; %bb.1611:                             ;   in Loop: Header=BB460_1375 Depth=1
	v_bfe_u32 v7, v3, 16, 7
	v_mov_b32_e32 v6, 0x7f800001
	s_mov_b32 s13, exec_lo
	s_delay_alu instid0(VALU_DEP_2)
	v_cmpx_ne_u32_e32 0x7f, v7
	s_cbranch_execz .LBB460_1615
; %bb.1612:                             ;   in Loop: Header=BB460_1375 Depth=1
	v_and_b32_e32 v9, 7, v98
	v_lshrrev_b32_e32 v99, 3, v7
	v_cmp_gt_u32_e64 s0, 8, v7
	s_delay_alu instid0(VALU_DEP_3) | instskip(NEXT) | instid1(VALU_DEP_2)
	v_dual_mov_b32 v6, v9 :: v_dual_mov_b32 v7, v10
	s_and_saveexec_b32 s15, s0
; %bb.1613:                             ;   in Loop: Header=BB460_1375 Depth=1
	v_clz_i32_u32_e32 v6, v9
	s_delay_alu instid0(VALU_DEP_1) | instskip(NEXT) | instid1(VALU_DEP_1)
	v_min_u32_e32 v99, 32, v6
	v_subrev_nc_u32_e32 v6, 28, v99
	v_sub_nc_u32_e32 v99, 29, v99
	s_delay_alu instid0(VALU_DEP_2) | instskip(NEXT) | instid1(VALU_DEP_1)
	v_lshlrev_b64 v[6:7], v6, v[9:10]
	v_and_b32_e32 v6, 7, v6
; %bb.1614:                             ;   in Loop: Header=BB460_1375 Depth=1
	s_or_b32 exec_lo, exec_lo, s15
	v_lshlrev_b32_e32 v7, 24, v98
	s_delay_alu instid0(VALU_DEP_2) | instskip(SKIP_1) | instid1(VALU_DEP_3)
	v_lshlrev_b32_e32 v6, 20, v6
	v_lshl_add_u32 v9, v99, 23, 0x3c000000
	v_and_b32_e32 v7, 0x80000000, v7
	s_delay_alu instid0(VALU_DEP_1)
	v_or3_b32 v6, v6, v7, v9
.LBB460_1615:                           ;   in Loop: Header=BB460_1375 Depth=1
	s_or_b32 exec_lo, exec_lo, s13
.LBB460_1616:                           ;   in Loop: Header=BB460_1375 Depth=1
	s_delay_alu instid0(SALU_CYCLE_1)
	s_or_b32 exec_lo, exec_lo, s12
.LBB460_1617:                           ;   in Loop: Header=BB460_1375 Depth=1
	s_delay_alu instid0(SALU_CYCLE_1) | instskip(NEXT) | instid1(VALU_DEP_1)
	s_or_b32 exec_lo, exec_lo, s9
	v_mul_f32_e32 v6, v26, v6
                                        ; implicit-def: $vgpr98
	s_delay_alu instid0(VALU_DEP_1) | instskip(NEXT) | instid1(VALU_DEP_1)
	v_and_b32_e32 v7, 0x7f800000, v6
	v_cmp_ne_u32_e64 s0, 0x7f800000, v7
	s_delay_alu instid0(VALU_DEP_1) | instskip(NEXT) | instid1(SALU_CYCLE_1)
	s_and_saveexec_b32 s9, s0
	s_xor_b32 s0, exec_lo, s9
; %bb.1618:                             ;   in Loop: Header=BB460_1375 Depth=1
	v_bfe_u32 v7, v6, 16, 1
	s_delay_alu instid0(VALU_DEP_1)
	v_add3_u32 v98, v6, v7, 0x7fff
                                        ; implicit-def: $vgpr6
; %bb.1619:                             ;   in Loop: Header=BB460_1375 Depth=1
	s_and_not1_saveexec_b32 s9, s0
; %bb.1620:                             ;   in Loop: Header=BB460_1375 Depth=1
	v_and_b32_e32 v7, 0xffff, v6
	v_or_b32_e32 v9, 0x10000, v6
	s_delay_alu instid0(VALU_DEP_2) | instskip(NEXT) | instid1(VALU_DEP_1)
	v_cmp_eq_u32_e64 s0, 0, v7
	v_cndmask_b32_e64 v98, v9, v6, s0
; %bb.1621:                             ;   in Loop: Header=BB460_1375 Depth=1
	s_or_b32 exec_lo, exec_lo, s9
	v_cmp_lt_u64_e64 s0, s[2:3], v[2:3]
	v_mov_b32_e32 v2, 0
	s_delay_alu instid0(VALU_DEP_2)
	s_and_saveexec_b32 s9, s0
	s_cbranch_execz .LBB460_1629
; %bb.1622:                             ;   in Loop: Header=BB460_1375 Depth=1
	v_lshrrev_b32_e32 v6, 24, v3
	v_bfrev_b32_e32 v2, 1
	s_mov_b32 s12, exec_lo
	s_delay_alu instid0(VALU_DEP_2)
	v_cmpx_ne_u32_e32 0x80, v6
	s_cbranch_execz .LBB460_1628
; %bb.1623:                             ;   in Loop: Header=BB460_1375 Depth=1
	v_bfe_u32 v3, v3, 24, 7
	v_mov_b32_e32 v2, 0x7f800001
	s_mov_b32 s13, exec_lo
	s_delay_alu instid0(VALU_DEP_2)
	v_cmpx_ne_u32_e32 0x7f, v3
	s_cbranch_execz .LBB460_1627
; %bb.1624:                             ;   in Loop: Header=BB460_1375 Depth=1
	v_and_b32_e32 v9, 7, v6
	v_lshrrev_b32_e32 v7, 3, v3
	v_cmp_gt_u32_e64 s0, 8, v3
	s_delay_alu instid0(VALU_DEP_3) | instskip(NEXT) | instid1(VALU_DEP_2)
	v_dual_mov_b32 v2, v9 :: v_dual_mov_b32 v3, v10
	s_and_saveexec_b32 s15, s0
; %bb.1625:                             ;   in Loop: Header=BB460_1375 Depth=1
	v_clz_i32_u32_e32 v2, v9
	s_delay_alu instid0(VALU_DEP_1) | instskip(NEXT) | instid1(VALU_DEP_1)
	v_min_u32_e32 v7, 32, v2
	v_subrev_nc_u32_e32 v2, 28, v7
	v_sub_nc_u32_e32 v7, 29, v7
	s_delay_alu instid0(VALU_DEP_2) | instskip(NEXT) | instid1(VALU_DEP_1)
	v_lshlrev_b64 v[2:3], v2, v[9:10]
	v_and_b32_e32 v2, 7, v2
; %bb.1626:                             ;   in Loop: Header=BB460_1375 Depth=1
	s_or_b32 exec_lo, exec_lo, s15
	v_lshlrev_b32_e32 v3, 24, v6
	s_delay_alu instid0(VALU_DEP_2) | instskip(SKIP_1) | instid1(VALU_DEP_3)
	v_lshlrev_b32_e32 v2, 20, v2
	v_lshl_add_u32 v6, v7, 23, 0x3c000000
	v_and_b32_e32 v3, 0x80000000, v3
	s_delay_alu instid0(VALU_DEP_1)
	v_or3_b32 v2, v2, v3, v6
.LBB460_1627:                           ;   in Loop: Header=BB460_1375 Depth=1
	s_or_b32 exec_lo, exec_lo, s13
.LBB460_1628:                           ;   in Loop: Header=BB460_1375 Depth=1
	s_delay_alu instid0(SALU_CYCLE_1)
	s_or_b32 exec_lo, exec_lo, s12
.LBB460_1629:                           ;   in Loop: Header=BB460_1375 Depth=1
	s_delay_alu instid0(SALU_CYCLE_1) | instskip(NEXT) | instid1(VALU_DEP_1)
	s_or_b32 exec_lo, exec_lo, s9
	v_mul_f32_e32 v3, v26, v2
	s_delay_alu instid0(VALU_DEP_1) | instskip(NEXT) | instid1(VALU_DEP_1)
	v_and_b32_e32 v2, 0x7f800000, v3
	v_cmp_ne_u32_e64 s0, 0x7f800000, v2
                                        ; implicit-def: $vgpr2
	s_delay_alu instid0(VALU_DEP_1) | instskip(NEXT) | instid1(SALU_CYCLE_1)
	s_and_saveexec_b32 s9, s0
	s_xor_b32 s0, exec_lo, s9
; %bb.1630:                             ;   in Loop: Header=BB460_1375 Depth=1
	v_bfe_u32 v2, v3, 16, 1
	s_delay_alu instid0(VALU_DEP_1)
	v_add3_u32 v2, v3, v2, 0x7fff
                                        ; implicit-def: $vgpr3
; %bb.1631:                             ;   in Loop: Header=BB460_1375 Depth=1
	s_and_not1_saveexec_b32 s9, s0
; %bb.1632:                             ;   in Loop: Header=BB460_1375 Depth=1
	v_and_b32_e32 v2, 0xffff, v3
	v_or_b32_e32 v6, 0x10000, v3
	s_delay_alu instid0(VALU_DEP_2) | instskip(NEXT) | instid1(VALU_DEP_1)
	v_cmp_eq_u32_e64 s0, 0, v2
	v_cndmask_b32_e64 v2, v6, v3, s0
; %bb.1633:                             ;   in Loop: Header=BB460_1375 Depth=1
	s_or_b32 exec_lo, exec_lo, s9
	v_lshrrev_b32_e32 v6, 16, v97
	v_lshrrev_b32_e32 v7, 16, v35
	;; [unrolled: 1-line block ×8, first 2 shown]
	s_and_saveexec_b32 s9, vcc_lo
	s_cbranch_execz .LBB460_1635
; %bb.1634:                             ;   in Loop: Header=BB460_1375 Depth=1
	v_cmp_lt_i32_e64 s0, v66, v36
	s_delay_alu instid0(VALU_DEP_1) | instskip(SKIP_1) | instid1(VALU_DEP_1)
	v_cndmask_b32_e64 v4, 0, v4, s0
	v_cmp_lt_i32_e64 s0, v80, v36
	v_cndmask_b32_e64 v5, 0, v5, s0
	v_cmp_lt_i32_e64 s0, v71, v36
	s_delay_alu instid0(VALU_DEP_1) | instskip(SKIP_1) | instid1(VALU_DEP_1)
	v_cndmask_b32_e64 v23, 0, v23, s0
	v_cmp_lt_i32_e64 s0, v70, v36
	v_cndmask_b32_e64 v9, 0, v9, s0
	;; [unrolled: 5-line block ×4, first 2 shown]
.LBB460_1635:                           ;   in Loop: Header=BB460_1375 Depth=1
	s_or_b32 exec_lo, exec_lo, s9
	v_lshlrev_b32_e32 v4, 16, v4
                                        ; implicit-def: $vgpr97
	s_delay_alu instid0(VALU_DEP_1) | instskip(NEXT) | instid1(VALU_DEP_1)
	v_mul_f32_e32 v4, v81, v4
	v_and_b32_e32 v34, 0x7f800000, v4
	s_delay_alu instid0(VALU_DEP_1) | instskip(NEXT) | instid1(VALU_DEP_1)
	v_cmp_ne_u32_e64 s0, 0x7f800000, v34
	s_and_saveexec_b32 s9, s0
	s_delay_alu instid0(SALU_CYCLE_1)
	s_xor_b32 s0, exec_lo, s9
; %bb.1636:                             ;   in Loop: Header=BB460_1375 Depth=1
	v_bfe_u32 v34, v4, 16, 1
	s_delay_alu instid0(VALU_DEP_1)
	v_add3_u32 v97, v4, v34, 0x7fff
                                        ; implicit-def: $vgpr4
; %bb.1637:                             ;   in Loop: Header=BB460_1375 Depth=1
	s_and_not1_saveexec_b32 s9, s0
; %bb.1638:                             ;   in Loop: Header=BB460_1375 Depth=1
	v_and_b32_e32 v34, 0xffff, v4
	v_or_b32_e32 v35, 0x10000, v4
	s_delay_alu instid0(VALU_DEP_2) | instskip(NEXT) | instid1(VALU_DEP_1)
	v_cmp_eq_u32_e64 s0, 0, v34
	v_cndmask_b32_e64 v97, v35, v4, s0
; %bb.1639:                             ;   in Loop: Header=BB460_1375 Depth=1
	s_or_b32 exec_lo, exec_lo, s9
	v_lshlrev_b32_e32 v4, 16, v5
                                        ; implicit-def: $vgpr98
	s_delay_alu instid0(VALU_DEP_1) | instskip(NEXT) | instid1(VALU_DEP_1)
	v_mul_f32_e32 v4, v82, v4
	v_and_b32_e32 v5, 0x7f800000, v4
	s_delay_alu instid0(VALU_DEP_1) | instskip(NEXT) | instid1(VALU_DEP_1)
	v_cmp_ne_u32_e64 s0, 0x7f800000, v5
	s_and_saveexec_b32 s9, s0
	s_delay_alu instid0(SALU_CYCLE_1)
	s_xor_b32 s0, exec_lo, s9
; %bb.1640:                             ;   in Loop: Header=BB460_1375 Depth=1
	v_bfe_u32 v5, v4, 16, 1
	s_delay_alu instid0(VALU_DEP_1)
	v_add3_u32 v98, v4, v5, 0x7fff
                                        ; implicit-def: $vgpr4
; %bb.1641:                             ;   in Loop: Header=BB460_1375 Depth=1
	s_and_not1_saveexec_b32 s9, s0
; %bb.1642:                             ;   in Loop: Header=BB460_1375 Depth=1
	v_and_b32_e32 v5, 0xffff, v4
	v_or_b32_e32 v34, 0x10000, v4
	s_delay_alu instid0(VALU_DEP_2) | instskip(NEXT) | instid1(VALU_DEP_1)
	v_cmp_eq_u32_e64 s0, 0, v5
	v_cndmask_b32_e64 v98, v34, v4, s0
; %bb.1643:                             ;   in Loop: Header=BB460_1375 Depth=1
	s_or_b32 exec_lo, exec_lo, s9
	v_lshlrev_b32_e32 v4, 16, v23
                                        ; implicit-def: $vgpr99
	s_delay_alu instid0(VALU_DEP_1) | instskip(NEXT) | instid1(VALU_DEP_1)
	v_mul_f32_e32 v4, v83, v4
	v_and_b32_e32 v5, 0x7f800000, v4
	s_delay_alu instid0(VALU_DEP_1) | instskip(NEXT) | instid1(VALU_DEP_1)
	v_cmp_ne_u32_e64 s0, 0x7f800000, v5
	s_and_saveexec_b32 s9, s0
	s_delay_alu instid0(SALU_CYCLE_1)
	s_xor_b32 s0, exec_lo, s9
; %bb.1644:                             ;   in Loop: Header=BB460_1375 Depth=1
	v_bfe_u32 v5, v4, 16, 1
	s_delay_alu instid0(VALU_DEP_1)
	v_add3_u32 v99, v4, v5, 0x7fff
                                        ; implicit-def: $vgpr4
; %bb.1645:                             ;   in Loop: Header=BB460_1375 Depth=1
	s_and_not1_saveexec_b32 s9, s0
; %bb.1646:                             ;   in Loop: Header=BB460_1375 Depth=1
	v_and_b32_e32 v5, 0xffff, v4
	v_or_b32_e32 v23, 0x10000, v4
	s_delay_alu instid0(VALU_DEP_2) | instskip(NEXT) | instid1(VALU_DEP_1)
	v_cmp_eq_u32_e64 s0, 0, v5
	v_cndmask_b32_e64 v99, v23, v4, s0
; %bb.1647:                             ;   in Loop: Header=BB460_1375 Depth=1
	s_or_b32 exec_lo, exec_lo, s9
	v_lshlrev_b32_e32 v4, 16, v9
                                        ; implicit-def: $vgpr100
	s_delay_alu instid0(VALU_DEP_1) | instskip(NEXT) | instid1(VALU_DEP_1)
	v_mul_f32_e32 v4, v84, v4
	v_and_b32_e32 v5, 0x7f800000, v4
	s_delay_alu instid0(VALU_DEP_1) | instskip(NEXT) | instid1(VALU_DEP_1)
	v_cmp_ne_u32_e64 s0, 0x7f800000, v5
	s_and_saveexec_b32 s9, s0
	s_delay_alu instid0(SALU_CYCLE_1)
	s_xor_b32 s0, exec_lo, s9
; %bb.1648:                             ;   in Loop: Header=BB460_1375 Depth=1
	v_bfe_u32 v5, v4, 16, 1
	s_delay_alu instid0(VALU_DEP_1)
	v_add3_u32 v100, v4, v5, 0x7fff
                                        ; implicit-def: $vgpr4
; %bb.1649:                             ;   in Loop: Header=BB460_1375 Depth=1
	s_and_not1_saveexec_b32 s9, s0
; %bb.1650:                             ;   in Loop: Header=BB460_1375 Depth=1
	v_and_b32_e32 v5, 0xffff, v4
	v_or_b32_e32 v9, 0x10000, v4
	s_delay_alu instid0(VALU_DEP_2) | instskip(NEXT) | instid1(VALU_DEP_1)
	v_cmp_eq_u32_e64 s0, 0, v5
	v_cndmask_b32_e64 v100, v9, v4, s0
; %bb.1651:                             ;   in Loop: Header=BB460_1375 Depth=1
	s_or_b32 exec_lo, exec_lo, s9
	v_lshlrev_b32_e32 v4, 16, v7
                                        ; implicit-def: $vgpr101
	s_delay_alu instid0(VALU_DEP_1) | instskip(NEXT) | instid1(VALU_DEP_1)
	v_mul_f32_e32 v4, v85, v4
	v_and_b32_e32 v5, 0x7f800000, v4
	s_delay_alu instid0(VALU_DEP_1) | instskip(NEXT) | instid1(VALU_DEP_1)
	v_cmp_ne_u32_e64 s0, 0x7f800000, v5
	s_and_saveexec_b32 s9, s0
	s_delay_alu instid0(SALU_CYCLE_1)
	s_xor_b32 s0, exec_lo, s9
; %bb.1652:                             ;   in Loop: Header=BB460_1375 Depth=1
	v_bfe_u32 v5, v4, 16, 1
	s_delay_alu instid0(VALU_DEP_1)
	v_add3_u32 v101, v4, v5, 0x7fff
                                        ; implicit-def: $vgpr4
; %bb.1653:                             ;   in Loop: Header=BB460_1375 Depth=1
	s_and_not1_saveexec_b32 s9, s0
; %bb.1654:                             ;   in Loop: Header=BB460_1375 Depth=1
	v_and_b32_e32 v5, 0xffff, v4
	v_or_b32_e32 v7, 0x10000, v4
	s_delay_alu instid0(VALU_DEP_2) | instskip(NEXT) | instid1(VALU_DEP_1)
	v_cmp_eq_u32_e64 s0, 0, v5
	v_cndmask_b32_e64 v101, v7, v4, s0
; %bb.1655:                             ;   in Loop: Header=BB460_1375 Depth=1
	s_or_b32 exec_lo, exec_lo, s9
	v_lshlrev_b32_e32 v4, 16, v6
                                        ; implicit-def: $vgpr102
	s_delay_alu instid0(VALU_DEP_1) | instskip(NEXT) | instid1(VALU_DEP_1)
	v_mul_f32_e32 v4, v86, v4
	v_and_b32_e32 v5, 0x7f800000, v4
	s_delay_alu instid0(VALU_DEP_1) | instskip(NEXT) | instid1(VALU_DEP_1)
	v_cmp_ne_u32_e64 s0, 0x7f800000, v5
	s_and_saveexec_b32 s9, s0
	s_delay_alu instid0(SALU_CYCLE_1)
	s_xor_b32 s0, exec_lo, s9
; %bb.1656:                             ;   in Loop: Header=BB460_1375 Depth=1
	v_bfe_u32 v5, v4, 16, 1
	s_delay_alu instid0(VALU_DEP_1)
	v_add3_u32 v102, v4, v5, 0x7fff
                                        ; implicit-def: $vgpr4
; %bb.1657:                             ;   in Loop: Header=BB460_1375 Depth=1
	s_and_not1_saveexec_b32 s9, s0
; %bb.1658:                             ;   in Loop: Header=BB460_1375 Depth=1
	v_and_b32_e32 v5, 0xffff, v4
	v_or_b32_e32 v6, 0x10000, v4
	s_delay_alu instid0(VALU_DEP_2) | instskip(NEXT) | instid1(VALU_DEP_1)
	v_cmp_eq_u32_e64 s0, 0, v5
	v_cndmask_b32_e64 v102, v6, v4, s0
; %bb.1659:                             ;   in Loop: Header=BB460_1375 Depth=1
	s_or_b32 exec_lo, exec_lo, s9
	v_lshlrev_b32_e32 v3, 16, v3
                                        ; implicit-def: $vgpr103
	s_delay_alu instid0(VALU_DEP_1) | instskip(NEXT) | instid1(VALU_DEP_1)
	v_mul_f32_e32 v3, v87, v3
	v_and_b32_e32 v4, 0x7f800000, v3
	s_delay_alu instid0(VALU_DEP_1) | instskip(NEXT) | instid1(VALU_DEP_1)
	v_cmp_ne_u32_e64 s0, 0x7f800000, v4
	s_and_saveexec_b32 s9, s0
	s_delay_alu instid0(SALU_CYCLE_1)
	s_xor_b32 s0, exec_lo, s9
; %bb.1660:                             ;   in Loop: Header=BB460_1375 Depth=1
	v_bfe_u32 v4, v3, 16, 1
	s_delay_alu instid0(VALU_DEP_1)
	v_add3_u32 v103, v3, v4, 0x7fff
                                        ; implicit-def: $vgpr3
; %bb.1661:                             ;   in Loop: Header=BB460_1375 Depth=1
	s_and_not1_saveexec_b32 s9, s0
; %bb.1662:                             ;   in Loop: Header=BB460_1375 Depth=1
	v_and_b32_e32 v4, 0xffff, v3
	v_or_b32_e32 v5, 0x10000, v3
	s_delay_alu instid0(VALU_DEP_2) | instskip(NEXT) | instid1(VALU_DEP_1)
	v_cmp_eq_u32_e64 s0, 0, v4
	v_cndmask_b32_e64 v103, v5, v3, s0
; %bb.1663:                             ;   in Loop: Header=BB460_1375 Depth=1
	s_or_b32 exec_lo, exec_lo, s9
	v_lshlrev_b32_e32 v2, 16, v2
                                        ; implicit-def: $vgpr112
	s_delay_alu instid0(VALU_DEP_1) | instskip(NEXT) | instid1(VALU_DEP_1)
	v_mul_f32_e32 v2, v96, v2
	v_and_b32_e32 v3, 0x7f800000, v2
	s_delay_alu instid0(VALU_DEP_1) | instskip(NEXT) | instid1(VALU_DEP_1)
	v_cmp_ne_u32_e64 s0, 0x7f800000, v3
	s_and_saveexec_b32 s9, s0
	s_delay_alu instid0(SALU_CYCLE_1)
	s_xor_b32 s0, exec_lo, s9
; %bb.1664:                             ;   in Loop: Header=BB460_1375 Depth=1
	v_bfe_u32 v3, v2, 16, 1
	s_delay_alu instid0(VALU_DEP_1)
	v_add3_u32 v112, v2, v3, 0x7fff
                                        ; implicit-def: $vgpr2
; %bb.1665:                             ;   in Loop: Header=BB460_1375 Depth=1
	s_and_not1_saveexec_b32 s9, s0
; %bb.1666:                             ;   in Loop: Header=BB460_1375 Depth=1
	v_and_b32_e32 v3, 0xffff, v2
	v_or_b32_e32 v4, 0x10000, v2
	s_delay_alu instid0(VALU_DEP_2) | instskip(NEXT) | instid1(VALU_DEP_1)
	v_cmp_eq_u32_e64 s0, 0, v3
	v_cndmask_b32_e64 v112, v4, v2, s0
; %bb.1667:                             ;   in Loop: Header=BB460_1375 Depth=1
	s_or_b32 exec_lo, exec_lo, s9
	flat_load_b64 v[2:3], v[0:1] offset:512
	s_mov_b32 s9, exec_lo
	s_waitcnt vmcnt(0) lgkmcnt(0)
	v_dual_mov_b32 v4, 0 :: v_dual_and_b32 v5, 0xff, v2
	s_delay_alu instid0(VALU_DEP_1)
	v_cmpx_ne_u16_e32 0, v5
	s_cbranch_execz .LBB460_1675
; %bb.1668:                             ;   in Loop: Header=BB460_1375 Depth=1
	v_bfrev_b32_e32 v4, 1
	s_mov_b32 s12, exec_lo
	v_cmpx_ne_u16_e32 0x80, v5
	s_cbranch_execz .LBB460_1674
; %bb.1669:                             ;   in Loop: Header=BB460_1375 Depth=1
	v_and_b32_e32 v5, 0x7f, v2
	v_mov_b32_e32 v4, 0x7f800001
	s_mov_b32 s13, exec_lo
	s_delay_alu instid0(VALU_DEP_2)
	v_cmpx_ne_u32_e32 0x7f, v5
	s_cbranch_execz .LBB460_1673
; %bb.1670:                             ;   in Loop: Header=BB460_1375 Depth=1
	v_lshrrev_b32_e32 v4, 3, v5
	v_dual_mov_b32 v7, v3 :: v_dual_mov_b32 v6, v2
	s_mov_b32 s15, exec_lo
	v_cmpx_gt_u32_e32 8, v5
; %bb.1671:                             ;   in Loop: Header=BB460_1375 Depth=1
	v_and_b32_e32 v4, 7, v2
	s_delay_alu instid0(VALU_DEP_1) | instskip(NEXT) | instid1(VALU_DEP_1)
	v_clz_i32_u32_e32 v4, v4
	v_min_u32_e32 v4, 32, v4
	s_delay_alu instid0(VALU_DEP_1) | instskip(SKIP_1) | instid1(VALU_DEP_2)
	v_subrev_nc_u32_e32 v5, 28, v4
	v_sub_nc_u32_e32 v4, 29, v4
	v_lshlrev_b64 v[6:7], v5, v[2:3]
; %bb.1672:                             ;   in Loop: Header=BB460_1375 Depth=1
	s_or_b32 exec_lo, exec_lo, s15
	s_delay_alu instid0(VALU_DEP_1) | instskip(SKIP_2) | instid1(VALU_DEP_3)
	v_lshlrev_b32_e32 v5, 20, v6
	v_lshlrev_b32_e32 v6, 24, v2
	v_lshl_add_u32 v4, v4, 23, 0x3c000000
	v_and_b32_e32 v5, 0x700000, v5
	s_delay_alu instid0(VALU_DEP_3) | instskip(NEXT) | instid1(VALU_DEP_1)
	v_and_b32_e32 v6, 0x80000000, v6
	v_or3_b32 v4, v5, v6, v4
.LBB460_1673:                           ;   in Loop: Header=BB460_1375 Depth=1
	s_or_b32 exec_lo, exec_lo, s13
.LBB460_1674:                           ;   in Loop: Header=BB460_1375 Depth=1
	s_delay_alu instid0(SALU_CYCLE_1)
	s_or_b32 exec_lo, exec_lo, s12
.LBB460_1675:                           ;   in Loop: Header=BB460_1375 Depth=1
	s_delay_alu instid0(SALU_CYCLE_1) | instskip(NEXT) | instid1(VALU_DEP_1)
	s_or_b32 exec_lo, exec_lo, s9
	v_mul_f32_e32 v5, v26, v4
	s_delay_alu instid0(VALU_DEP_1) | instskip(NEXT) | instid1(VALU_DEP_1)
	v_and_b32_e32 v4, 0x7f800000, v5
	v_cmp_ne_u32_e64 s0, 0x7f800000, v4
                                        ; implicit-def: $vgpr4
	s_delay_alu instid0(VALU_DEP_1) | instskip(NEXT) | instid1(SALU_CYCLE_1)
	s_and_saveexec_b32 s9, s0
	s_xor_b32 s0, exec_lo, s9
; %bb.1676:                             ;   in Loop: Header=BB460_1375 Depth=1
	v_bfe_u32 v4, v5, 16, 1
	s_delay_alu instid0(VALU_DEP_1)
	v_add3_u32 v4, v5, v4, 0x7fff
                                        ; implicit-def: $vgpr5
; %bb.1677:                             ;   in Loop: Header=BB460_1375 Depth=1
	s_and_not1_saveexec_b32 s9, s0
; %bb.1678:                             ;   in Loop: Header=BB460_1375 Depth=1
	v_and_b32_e32 v4, 0xffff, v5
	v_or_b32_e32 v6, 0x10000, v5
	s_delay_alu instid0(VALU_DEP_2) | instskip(NEXT) | instid1(VALU_DEP_1)
	v_cmp_eq_u32_e64 s0, 0, v4
	v_cndmask_b32_e64 v4, v6, v5, s0
; %bb.1679:                             ;   in Loop: Header=BB460_1375 Depth=1
	s_or_b32 exec_lo, exec_lo, s9
	v_lshrrev_b16 v6, 8, v2
	v_mov_b32_e32 v5, 0
	s_mov_b32 s9, exec_lo
	s_delay_alu instid0(VALU_DEP_2)
	v_cmpx_ne_u16_e32 0, v6
	s_cbranch_execz .LBB460_1687
; %bb.1680:                             ;   in Loop: Header=BB460_1375 Depth=1
	v_bfrev_b32_e32 v5, 1
	s_mov_b32 s12, exec_lo
	v_cmpx_ne_u16_e32 0x80, v6
	s_cbranch_execz .LBB460_1686
; %bb.1681:                             ;   in Loop: Header=BB460_1375 Depth=1
	v_and_b32_e32 v7, 0xffff, v6
	v_mov_b32_e32 v5, 0x7f800001
	s_mov_b32 s13, exec_lo
	s_delay_alu instid0(VALU_DEP_2) | instskip(NEXT) | instid1(VALU_DEP_1)
	v_and_b32_e32 v6, 0x7f, v7
	v_cmpx_ne_u32_e32 0x7f, v6
	s_cbranch_execz .LBB460_1685
; %bb.1682:                             ;   in Loop: Header=BB460_1375 Depth=1
	v_and_b32_e32 v9, 7, v7
	v_lshrrev_b32_e32 v5, 3, v6
	v_cmp_gt_u32_e64 s0, 8, v6
	s_delay_alu instid0(VALU_DEP_3) | instskip(NEXT) | instid1(VALU_DEP_2)
	v_dual_mov_b32 v6, v9 :: v_dual_mov_b32 v7, v10
	s_and_saveexec_b32 s15, s0
; %bb.1683:                             ;   in Loop: Header=BB460_1375 Depth=1
	v_clz_i32_u32_e32 v5, v9
	s_delay_alu instid0(VALU_DEP_1) | instskip(NEXT) | instid1(VALU_DEP_1)
	v_min_u32_e32 v5, 32, v5
	v_subrev_nc_u32_e32 v6, 28, v5
	v_sub_nc_u32_e32 v5, 29, v5
	s_delay_alu instid0(VALU_DEP_2) | instskip(NEXT) | instid1(VALU_DEP_1)
	v_lshlrev_b64 v[6:7], v6, v[9:10]
	v_and_b32_e32 v6, 7, v6
; %bb.1684:                             ;   in Loop: Header=BB460_1375 Depth=1
	s_or_b32 exec_lo, exec_lo, s15
	v_lshlrev_b32_e32 v7, 16, v2
	s_delay_alu instid0(VALU_DEP_2) | instskip(SKIP_1) | instid1(VALU_DEP_3)
	v_lshlrev_b32_e32 v6, 20, v6
	v_lshl_add_u32 v5, v5, 23, 0x3c000000
	v_and_b32_e32 v7, 0x80000000, v7
	s_delay_alu instid0(VALU_DEP_1)
	v_or3_b32 v5, v6, v7, v5
.LBB460_1685:                           ;   in Loop: Header=BB460_1375 Depth=1
	s_or_b32 exec_lo, exec_lo, s13
.LBB460_1686:                           ;   in Loop: Header=BB460_1375 Depth=1
	s_delay_alu instid0(SALU_CYCLE_1)
	s_or_b32 exec_lo, exec_lo, s12
.LBB460_1687:                           ;   in Loop: Header=BB460_1375 Depth=1
	s_delay_alu instid0(SALU_CYCLE_1) | instskip(NEXT) | instid1(VALU_DEP_1)
	s_or_b32 exec_lo, exec_lo, s9
	v_mul_f32_e32 v6, v26, v5
	s_delay_alu instid0(VALU_DEP_1) | instskip(NEXT) | instid1(VALU_DEP_1)
	v_and_b32_e32 v5, 0x7f800000, v6
	v_cmp_ne_u32_e64 s0, 0x7f800000, v5
                                        ; implicit-def: $vgpr5
	s_delay_alu instid0(VALU_DEP_1) | instskip(NEXT) | instid1(SALU_CYCLE_1)
	s_and_saveexec_b32 s9, s0
	s_xor_b32 s0, exec_lo, s9
; %bb.1688:                             ;   in Loop: Header=BB460_1375 Depth=1
	v_bfe_u32 v5, v6, 16, 1
	s_delay_alu instid0(VALU_DEP_1)
	v_add3_u32 v5, v6, v5, 0x7fff
                                        ; implicit-def: $vgpr6
; %bb.1689:                             ;   in Loop: Header=BB460_1375 Depth=1
	s_and_not1_saveexec_b32 s9, s0
; %bb.1690:                             ;   in Loop: Header=BB460_1375 Depth=1
	v_and_b32_e32 v5, 0xffff, v6
	v_or_b32_e32 v7, 0x10000, v6
	s_delay_alu instid0(VALU_DEP_2) | instskip(NEXT) | instid1(VALU_DEP_1)
	v_cmp_eq_u32_e64 s0, 0, v5
	v_cndmask_b32_e64 v5, v7, v6, s0
; %bb.1691:                             ;   in Loop: Header=BB460_1375 Depth=1
	s_or_b32 exec_lo, exec_lo, s9
	v_lshrrev_b32_e32 v23, 16, v2
	s_mov_b32 s9, exec_lo
	s_delay_alu instid0(VALU_DEP_1) | instskip(NEXT) | instid1(VALU_DEP_1)
	v_dual_mov_b32 v6, 0 :: v_dual_and_b32 v7, 0xff, v23
	v_cmpx_ne_u16_e32 0, v7
	s_cbranch_execz .LBB460_1699
; %bb.1692:                             ;   in Loop: Header=BB460_1375 Depth=1
	v_bfrev_b32_e32 v6, 1
	s_mov_b32 s12, exec_lo
	v_cmpx_ne_u16_e32 0x80, v7
	s_cbranch_execz .LBB460_1698
; %bb.1693:                             ;   in Loop: Header=BB460_1375 Depth=1
	v_bfe_u32 v7, v2, 16, 7
	v_mov_b32_e32 v6, 0x7f800001
	s_mov_b32 s13, exec_lo
	s_delay_alu instid0(VALU_DEP_2)
	v_cmpx_ne_u32_e32 0x7f, v7
	s_cbranch_execz .LBB460_1697
; %bb.1694:                             ;   in Loop: Header=BB460_1375 Depth=1
	v_and_b32_e32 v9, 7, v23
	v_lshrrev_b32_e32 v34, 3, v7
	v_cmp_gt_u32_e64 s0, 8, v7
	s_delay_alu instid0(VALU_DEP_3) | instskip(NEXT) | instid1(VALU_DEP_2)
	v_dual_mov_b32 v6, v9 :: v_dual_mov_b32 v7, v10
	s_and_saveexec_b32 s15, s0
; %bb.1695:                             ;   in Loop: Header=BB460_1375 Depth=1
	v_clz_i32_u32_e32 v6, v9
	s_delay_alu instid0(VALU_DEP_1) | instskip(NEXT) | instid1(VALU_DEP_1)
	v_min_u32_e32 v34, 32, v6
	v_subrev_nc_u32_e32 v6, 28, v34
	v_sub_nc_u32_e32 v34, 29, v34
	s_delay_alu instid0(VALU_DEP_2) | instskip(NEXT) | instid1(VALU_DEP_1)
	v_lshlrev_b64 v[6:7], v6, v[9:10]
	v_and_b32_e32 v6, 7, v6
; %bb.1696:                             ;   in Loop: Header=BB460_1375 Depth=1
	s_or_b32 exec_lo, exec_lo, s15
	v_lshlrev_b32_e32 v7, 24, v23
	s_delay_alu instid0(VALU_DEP_2) | instskip(SKIP_1) | instid1(VALU_DEP_3)
	v_lshlrev_b32_e32 v6, 20, v6
	v_lshl_add_u32 v9, v34, 23, 0x3c000000
	v_and_b32_e32 v7, 0x80000000, v7
	s_delay_alu instid0(VALU_DEP_1)
	v_or3_b32 v6, v6, v7, v9
.LBB460_1697:                           ;   in Loop: Header=BB460_1375 Depth=1
	s_or_b32 exec_lo, exec_lo, s13
.LBB460_1698:                           ;   in Loop: Header=BB460_1375 Depth=1
	s_delay_alu instid0(SALU_CYCLE_1)
	s_or_b32 exec_lo, exec_lo, s12
.LBB460_1699:                           ;   in Loop: Header=BB460_1375 Depth=1
	s_delay_alu instid0(SALU_CYCLE_1) | instskip(NEXT) | instid1(VALU_DEP_1)
	s_or_b32 exec_lo, exec_lo, s9
	v_mul_f32_e32 v6, v26, v6
                                        ; implicit-def: $vgpr23
	s_delay_alu instid0(VALU_DEP_1) | instskip(NEXT) | instid1(VALU_DEP_1)
	v_and_b32_e32 v7, 0x7f800000, v6
	v_cmp_ne_u32_e64 s0, 0x7f800000, v7
	s_delay_alu instid0(VALU_DEP_1) | instskip(NEXT) | instid1(SALU_CYCLE_1)
	s_and_saveexec_b32 s9, s0
	s_xor_b32 s0, exec_lo, s9
; %bb.1700:                             ;   in Loop: Header=BB460_1375 Depth=1
	v_bfe_u32 v7, v6, 16, 1
	s_delay_alu instid0(VALU_DEP_1)
	v_add3_u32 v23, v6, v7, 0x7fff
                                        ; implicit-def: $vgpr6
; %bb.1701:                             ;   in Loop: Header=BB460_1375 Depth=1
	s_and_not1_saveexec_b32 s9, s0
; %bb.1702:                             ;   in Loop: Header=BB460_1375 Depth=1
	v_and_b32_e32 v7, 0xffff, v6
	v_or_b32_e32 v9, 0x10000, v6
	s_delay_alu instid0(VALU_DEP_2) | instskip(NEXT) | instid1(VALU_DEP_1)
	v_cmp_eq_u32_e64 s0, 0, v7
	v_cndmask_b32_e64 v23, v9, v6, s0
; %bb.1703:                             ;   in Loop: Header=BB460_1375 Depth=1
	s_or_b32 exec_lo, exec_lo, s9
	v_mov_b32_e32 v6, 0
	s_mov_b32 s9, exec_lo
	v_cmpx_lt_u32_e32 0xffffff, v2
	s_cbranch_execz .LBB460_1711
; %bb.1704:                             ;   in Loop: Header=BB460_1375 Depth=1
	v_lshrrev_b32_e32 v34, 24, v2
	v_bfrev_b32_e32 v6, 1
	s_mov_b32 s12, exec_lo
	s_delay_alu instid0(VALU_DEP_2)
	v_cmpx_ne_u32_e32 0x80, v34
	s_cbranch_execz .LBB460_1710
; %bb.1705:                             ;   in Loop: Header=BB460_1375 Depth=1
	v_bfe_u32 v7, v2, 24, 7
	v_mov_b32_e32 v6, 0x7f800001
	s_mov_b32 s13, exec_lo
	s_delay_alu instid0(VALU_DEP_2)
	v_cmpx_ne_u32_e32 0x7f, v7
	s_cbranch_execz .LBB460_1709
; %bb.1706:                             ;   in Loop: Header=BB460_1375 Depth=1
	v_and_b32_e32 v9, 7, v34
	v_lshrrev_b32_e32 v35, 3, v7
	v_cmp_gt_u32_e64 s0, 8, v7
	s_delay_alu instid0(VALU_DEP_3) | instskip(NEXT) | instid1(VALU_DEP_2)
	v_dual_mov_b32 v6, v9 :: v_dual_mov_b32 v7, v10
	s_and_saveexec_b32 s15, s0
; %bb.1707:                             ;   in Loop: Header=BB460_1375 Depth=1
	v_clz_i32_u32_e32 v6, v9
	s_delay_alu instid0(VALU_DEP_1) | instskip(NEXT) | instid1(VALU_DEP_1)
	v_min_u32_e32 v35, 32, v6
	v_subrev_nc_u32_e32 v6, 28, v35
	v_sub_nc_u32_e32 v35, 29, v35
	s_delay_alu instid0(VALU_DEP_2) | instskip(NEXT) | instid1(VALU_DEP_1)
	v_lshlrev_b64 v[6:7], v6, v[9:10]
	v_and_b32_e32 v6, 7, v6
; %bb.1708:                             ;   in Loop: Header=BB460_1375 Depth=1
	s_or_b32 exec_lo, exec_lo, s15
	v_lshlrev_b32_e32 v7, 24, v34
	s_delay_alu instid0(VALU_DEP_2) | instskip(SKIP_1) | instid1(VALU_DEP_3)
	v_lshlrev_b32_e32 v6, 20, v6
	v_lshl_add_u32 v9, v35, 23, 0x3c000000
	v_and_b32_e32 v7, 0x80000000, v7
	s_delay_alu instid0(VALU_DEP_1)
	v_or3_b32 v6, v6, v7, v9
.LBB460_1709:                           ;   in Loop: Header=BB460_1375 Depth=1
	s_or_b32 exec_lo, exec_lo, s13
.LBB460_1710:                           ;   in Loop: Header=BB460_1375 Depth=1
	s_delay_alu instid0(SALU_CYCLE_1)
	s_or_b32 exec_lo, exec_lo, s12
.LBB460_1711:                           ;   in Loop: Header=BB460_1375 Depth=1
	s_delay_alu instid0(SALU_CYCLE_1) | instskip(NEXT) | instid1(VALU_DEP_1)
	s_or_b32 exec_lo, exec_lo, s9
	v_mul_f32_e32 v6, v26, v6
                                        ; implicit-def: $vgpr34
	s_delay_alu instid0(VALU_DEP_1) | instskip(NEXT) | instid1(VALU_DEP_1)
	v_and_b32_e32 v7, 0x7f800000, v6
	v_cmp_ne_u32_e64 s0, 0x7f800000, v7
	s_delay_alu instid0(VALU_DEP_1) | instskip(NEXT) | instid1(SALU_CYCLE_1)
	s_and_saveexec_b32 s9, s0
	s_xor_b32 s0, exec_lo, s9
; %bb.1712:                             ;   in Loop: Header=BB460_1375 Depth=1
	v_bfe_u32 v7, v6, 16, 1
	s_delay_alu instid0(VALU_DEP_1)
	v_add3_u32 v34, v6, v7, 0x7fff
                                        ; implicit-def: $vgpr6
; %bb.1713:                             ;   in Loop: Header=BB460_1375 Depth=1
	s_and_not1_saveexec_b32 s9, s0
; %bb.1714:                             ;   in Loop: Header=BB460_1375 Depth=1
	v_and_b32_e32 v7, 0xffff, v6
	v_or_b32_e32 v9, 0x10000, v6
	s_delay_alu instid0(VALU_DEP_2) | instskip(NEXT) | instid1(VALU_DEP_1)
	v_cmp_eq_u32_e64 s0, 0, v7
	v_cndmask_b32_e64 v34, v9, v6, s0
; %bb.1715:                             ;   in Loop: Header=BB460_1375 Depth=1
	s_or_b32 exec_lo, exec_lo, s9
	v_dual_mov_b32 v6, 0 :: v_dual_and_b32 v7, 0xff, v3
	v_mov_b32_e32 v9, v3
	s_mov_b32 s9, exec_lo
	s_delay_alu instid0(VALU_DEP_2)
	v_cmpx_ne_u16_e32 0, v7
	s_cbranch_execz .LBB460_1723
; %bb.1716:                             ;   in Loop: Header=BB460_1375 Depth=1
	v_bfrev_b32_e32 v6, 1
	s_mov_b32 s12, exec_lo
	v_cmpx_ne_u16_e32 0x80, v7
	s_cbranch_execz .LBB460_1722
; %bb.1717:                             ;   in Loop: Header=BB460_1375 Depth=1
	v_and_b32_e32 v7, 0x7f, v3
	v_mov_b32_e32 v6, 0x7f800001
	s_mov_b32 s13, exec_lo
	s_delay_alu instid0(VALU_DEP_2)
	v_cmpx_ne_u32_e32 0x7f, v7
	s_cbranch_execz .LBB460_1721
; %bb.1718:                             ;   in Loop: Header=BB460_1375 Depth=1
	v_lshrrev_b32_e32 v35, 3, v7
	v_cmp_gt_u32_e64 s0, 8, v7
	v_dual_mov_b32 v6, v9 :: v_dual_mov_b32 v7, v10
	s_delay_alu instid0(VALU_DEP_2)
	s_and_saveexec_b32 s15, s0
; %bb.1719:                             ;   in Loop: Header=BB460_1375 Depth=1
	v_and_b32_e32 v6, 7, v3
	s_delay_alu instid0(VALU_DEP_1) | instskip(NEXT) | instid1(VALU_DEP_1)
	v_clz_i32_u32_e32 v6, v6
	v_min_u32_e32 v35, 32, v6
	s_delay_alu instid0(VALU_DEP_1) | instskip(SKIP_1) | instid1(VALU_DEP_2)
	v_subrev_nc_u32_e32 v6, 28, v35
	v_sub_nc_u32_e32 v35, 29, v35
	v_lshlrev_b64 v[6:7], v6, v[9:10]
; %bb.1720:                             ;   in Loop: Header=BB460_1375 Depth=1
	s_or_b32 exec_lo, exec_lo, s15
	s_delay_alu instid0(VALU_DEP_1) | instskip(SKIP_2) | instid1(VALU_DEP_3)
	v_lshlrev_b32_e32 v6, 20, v6
	v_lshlrev_b32_e32 v7, 24, v9
	v_lshl_add_u32 v35, v35, 23, 0x3c000000
	v_and_b32_e32 v6, 0x700000, v6
	s_delay_alu instid0(VALU_DEP_3) | instskip(NEXT) | instid1(VALU_DEP_1)
	v_and_b32_e32 v7, 0x80000000, v7
	v_or3_b32 v6, v6, v7, v35
.LBB460_1721:                           ;   in Loop: Header=BB460_1375 Depth=1
	s_or_b32 exec_lo, exec_lo, s13
.LBB460_1722:                           ;   in Loop: Header=BB460_1375 Depth=1
	s_delay_alu instid0(SALU_CYCLE_1)
	s_or_b32 exec_lo, exec_lo, s12
.LBB460_1723:                           ;   in Loop: Header=BB460_1375 Depth=1
	s_delay_alu instid0(SALU_CYCLE_1) | instskip(NEXT) | instid1(VALU_DEP_1)
	s_or_b32 exec_lo, exec_lo, s9
	v_mul_f32_e32 v6, v26, v6
                                        ; implicit-def: $vgpr35
	s_delay_alu instid0(VALU_DEP_1) | instskip(NEXT) | instid1(VALU_DEP_1)
	v_and_b32_e32 v7, 0x7f800000, v6
	v_cmp_ne_u32_e64 s0, 0x7f800000, v7
	s_delay_alu instid0(VALU_DEP_1) | instskip(NEXT) | instid1(SALU_CYCLE_1)
	s_and_saveexec_b32 s9, s0
	s_xor_b32 s0, exec_lo, s9
; %bb.1724:                             ;   in Loop: Header=BB460_1375 Depth=1
	v_bfe_u32 v7, v6, 16, 1
	s_delay_alu instid0(VALU_DEP_1)
	v_add3_u32 v35, v6, v7, 0x7fff
                                        ; implicit-def: $vgpr6
; %bb.1725:                             ;   in Loop: Header=BB460_1375 Depth=1
	s_and_not1_saveexec_b32 s9, s0
; %bb.1726:                             ;   in Loop: Header=BB460_1375 Depth=1
	v_and_b32_e32 v7, 0xffff, v6
	v_or_b32_e32 v35, 0x10000, v6
	s_delay_alu instid0(VALU_DEP_2) | instskip(NEXT) | instid1(VALU_DEP_1)
	v_cmp_eq_u32_e64 s0, 0, v7
	v_cndmask_b32_e64 v35, v35, v6, s0
; %bb.1727:                             ;   in Loop: Header=BB460_1375 Depth=1
	s_or_b32 exec_lo, exec_lo, s9
	v_lshrrev_b16 v7, 8, v9
	v_mov_b32_e32 v6, 0
	s_mov_b32 s9, exec_lo
	s_delay_alu instid0(VALU_DEP_2)
	v_cmpx_ne_u16_e32 0, v7
	s_cbranch_execz .LBB460_1735
; %bb.1728:                             ;   in Loop: Header=BB460_1375 Depth=1
	v_bfrev_b32_e32 v6, 1
	s_mov_b32 s12, exec_lo
	v_cmpx_ne_u16_e32 0x80, v7
	s_cbranch_execz .LBB460_1734
; %bb.1729:                             ;   in Loop: Header=BB460_1375 Depth=1
	v_and_b32_e32 v7, 0xffff, v7
	v_mov_b32_e32 v6, 0x7f800001
	s_mov_b32 s13, exec_lo
	s_delay_alu instid0(VALU_DEP_2) | instskip(NEXT) | instid1(VALU_DEP_1)
	v_and_b32_e32 v114, 0x7f, v7
	v_cmpx_ne_u32_e32 0x7f, v114
	s_cbranch_execz .LBB460_1733
; %bb.1730:                             ;   in Loop: Header=BB460_1375 Depth=1
	v_dual_mov_b32 v7, v10 :: v_dual_and_b32 v6, 7, v7
	v_lshrrev_b32_e32 v113, 3, v114
	s_mov_b32 s15, exec_lo
	v_cmpx_gt_u32_e32 8, v114
; %bb.1731:                             ;   in Loop: Header=BB460_1375 Depth=1
	s_delay_alu instid0(VALU_DEP_3) | instskip(NEXT) | instid1(VALU_DEP_1)
	v_clz_i32_u32_e32 v113, v6
	v_min_u32_e32 v113, 32, v113
	s_delay_alu instid0(VALU_DEP_1) | instskip(SKIP_1) | instid1(VALU_DEP_2)
	v_subrev_nc_u32_e32 v114, 28, v113
	v_sub_nc_u32_e32 v113, 29, v113
	v_lshlrev_b64 v[6:7], v114, v[6:7]
	s_delay_alu instid0(VALU_DEP_1)
	v_and_b32_e32 v6, 7, v6
; %bb.1732:                             ;   in Loop: Header=BB460_1375 Depth=1
	s_or_b32 exec_lo, exec_lo, s15
	v_lshlrev_b32_e32 v7, 16, v9
	s_delay_alu instid0(VALU_DEP_2) | instskip(SKIP_1) | instid1(VALU_DEP_3)
	v_lshlrev_b32_e32 v6, 20, v6
	v_lshl_add_u32 v9, v113, 23, 0x3c000000
	v_and_b32_e32 v7, 0x80000000, v7
	s_delay_alu instid0(VALU_DEP_1)
	v_or3_b32 v6, v6, v7, v9
.LBB460_1733:                           ;   in Loop: Header=BB460_1375 Depth=1
	s_or_b32 exec_lo, exec_lo, s13
.LBB460_1734:                           ;   in Loop: Header=BB460_1375 Depth=1
	s_delay_alu instid0(SALU_CYCLE_1)
	s_or_b32 exec_lo, exec_lo, s12
.LBB460_1735:                           ;   in Loop: Header=BB460_1375 Depth=1
	s_delay_alu instid0(SALU_CYCLE_1) | instskip(NEXT) | instid1(VALU_DEP_1)
	s_or_b32 exec_lo, exec_lo, s9
	v_mul_f32_e32 v6, v26, v6
                                        ; implicit-def: $vgpr113
	s_delay_alu instid0(VALU_DEP_1) | instskip(NEXT) | instid1(VALU_DEP_1)
	v_and_b32_e32 v7, 0x7f800000, v6
	v_cmp_ne_u32_e64 s0, 0x7f800000, v7
	s_delay_alu instid0(VALU_DEP_1) | instskip(NEXT) | instid1(SALU_CYCLE_1)
	s_and_saveexec_b32 s9, s0
	s_xor_b32 s0, exec_lo, s9
; %bb.1736:                             ;   in Loop: Header=BB460_1375 Depth=1
	v_bfe_u32 v7, v6, 16, 1
	s_delay_alu instid0(VALU_DEP_1)
	v_add3_u32 v113, v6, v7, 0x7fff
                                        ; implicit-def: $vgpr6
; %bb.1737:                             ;   in Loop: Header=BB460_1375 Depth=1
	s_and_not1_saveexec_b32 s9, s0
; %bb.1738:                             ;   in Loop: Header=BB460_1375 Depth=1
	v_and_b32_e32 v7, 0xffff, v6
	v_or_b32_e32 v9, 0x10000, v6
	s_delay_alu instid0(VALU_DEP_2) | instskip(NEXT) | instid1(VALU_DEP_1)
	v_cmp_eq_u32_e64 s0, 0, v7
	v_cndmask_b32_e64 v113, v9, v6, s0
; %bb.1739:                             ;   in Loop: Header=BB460_1375 Depth=1
	s_or_b32 exec_lo, exec_lo, s9
	v_lshrrev_b32_e32 v114, 16, v3
	s_mov_b32 s9, exec_lo
	s_delay_alu instid0(VALU_DEP_1) | instskip(NEXT) | instid1(VALU_DEP_1)
	v_dual_mov_b32 v6, 0 :: v_dual_and_b32 v7, 0xff, v114
	v_cmpx_ne_u16_e32 0, v7
	s_cbranch_execz .LBB460_1747
; %bb.1740:                             ;   in Loop: Header=BB460_1375 Depth=1
	v_bfrev_b32_e32 v6, 1
	s_mov_b32 s12, exec_lo
	v_cmpx_ne_u16_e32 0x80, v7
	s_cbranch_execz .LBB460_1746
; %bb.1741:                             ;   in Loop: Header=BB460_1375 Depth=1
	v_bfe_u32 v7, v3, 16, 7
	v_mov_b32_e32 v6, 0x7f800001
	s_mov_b32 s13, exec_lo
	s_delay_alu instid0(VALU_DEP_2)
	v_cmpx_ne_u32_e32 0x7f, v7
	s_cbranch_execz .LBB460_1745
; %bb.1742:                             ;   in Loop: Header=BB460_1375 Depth=1
	v_and_b32_e32 v9, 7, v114
	v_lshrrev_b32_e32 v115, 3, v7
	v_cmp_gt_u32_e64 s0, 8, v7
	s_delay_alu instid0(VALU_DEP_3) | instskip(NEXT) | instid1(VALU_DEP_2)
	v_dual_mov_b32 v6, v9 :: v_dual_mov_b32 v7, v10
	s_and_saveexec_b32 s15, s0
; %bb.1743:                             ;   in Loop: Header=BB460_1375 Depth=1
	v_clz_i32_u32_e32 v6, v9
	s_delay_alu instid0(VALU_DEP_1) | instskip(NEXT) | instid1(VALU_DEP_1)
	v_min_u32_e32 v115, 32, v6
	v_subrev_nc_u32_e32 v6, 28, v115
	v_sub_nc_u32_e32 v115, 29, v115
	s_delay_alu instid0(VALU_DEP_2) | instskip(NEXT) | instid1(VALU_DEP_1)
	v_lshlrev_b64 v[6:7], v6, v[9:10]
	v_and_b32_e32 v6, 7, v6
; %bb.1744:                             ;   in Loop: Header=BB460_1375 Depth=1
	s_or_b32 exec_lo, exec_lo, s15
	v_lshlrev_b32_e32 v7, 24, v114
	s_delay_alu instid0(VALU_DEP_2) | instskip(SKIP_1) | instid1(VALU_DEP_3)
	v_lshlrev_b32_e32 v6, 20, v6
	v_lshl_add_u32 v9, v115, 23, 0x3c000000
	v_and_b32_e32 v7, 0x80000000, v7
	s_delay_alu instid0(VALU_DEP_1)
	v_or3_b32 v6, v6, v7, v9
.LBB460_1745:                           ;   in Loop: Header=BB460_1375 Depth=1
	s_or_b32 exec_lo, exec_lo, s13
.LBB460_1746:                           ;   in Loop: Header=BB460_1375 Depth=1
	s_delay_alu instid0(SALU_CYCLE_1)
	s_or_b32 exec_lo, exec_lo, s12
.LBB460_1747:                           ;   in Loop: Header=BB460_1375 Depth=1
	s_delay_alu instid0(SALU_CYCLE_1) | instskip(NEXT) | instid1(VALU_DEP_1)
	s_or_b32 exec_lo, exec_lo, s9
	v_mul_f32_e32 v6, v26, v6
                                        ; implicit-def: $vgpr114
	s_delay_alu instid0(VALU_DEP_1) | instskip(NEXT) | instid1(VALU_DEP_1)
	v_and_b32_e32 v7, 0x7f800000, v6
	v_cmp_ne_u32_e64 s0, 0x7f800000, v7
	s_delay_alu instid0(VALU_DEP_1) | instskip(NEXT) | instid1(SALU_CYCLE_1)
	s_and_saveexec_b32 s9, s0
	s_xor_b32 s0, exec_lo, s9
; %bb.1748:                             ;   in Loop: Header=BB460_1375 Depth=1
	v_bfe_u32 v7, v6, 16, 1
	s_delay_alu instid0(VALU_DEP_1)
	v_add3_u32 v114, v6, v7, 0x7fff
                                        ; implicit-def: $vgpr6
; %bb.1749:                             ;   in Loop: Header=BB460_1375 Depth=1
	s_and_not1_saveexec_b32 s9, s0
; %bb.1750:                             ;   in Loop: Header=BB460_1375 Depth=1
	v_and_b32_e32 v7, 0xffff, v6
	v_or_b32_e32 v9, 0x10000, v6
	s_delay_alu instid0(VALU_DEP_2) | instskip(NEXT) | instid1(VALU_DEP_1)
	v_cmp_eq_u32_e64 s0, 0, v7
	v_cndmask_b32_e64 v114, v9, v6, s0
; %bb.1751:                             ;   in Loop: Header=BB460_1375 Depth=1
	s_or_b32 exec_lo, exec_lo, s9
	v_cmp_lt_u64_e64 s0, s[2:3], v[2:3]
	v_mov_b32_e32 v2, 0
	s_delay_alu instid0(VALU_DEP_2)
	s_and_saveexec_b32 s9, s0
	s_cbranch_execz .LBB460_1759
; %bb.1752:                             ;   in Loop: Header=BB460_1375 Depth=1
	v_lshrrev_b32_e32 v6, 24, v3
	v_bfrev_b32_e32 v2, 1
	s_mov_b32 s12, exec_lo
	s_delay_alu instid0(VALU_DEP_2)
	v_cmpx_ne_u32_e32 0x80, v6
	s_cbranch_execz .LBB460_1758
; %bb.1753:                             ;   in Loop: Header=BB460_1375 Depth=1
	v_bfe_u32 v3, v3, 24, 7
	v_mov_b32_e32 v2, 0x7f800001
	s_mov_b32 s13, exec_lo
	s_delay_alu instid0(VALU_DEP_2)
	v_cmpx_ne_u32_e32 0x7f, v3
	s_cbranch_execz .LBB460_1757
; %bb.1754:                             ;   in Loop: Header=BB460_1375 Depth=1
	v_and_b32_e32 v9, 7, v6
	v_lshrrev_b32_e32 v7, 3, v3
	v_cmp_gt_u32_e64 s0, 8, v3
	s_delay_alu instid0(VALU_DEP_3) | instskip(NEXT) | instid1(VALU_DEP_2)
	v_dual_mov_b32 v2, v9 :: v_dual_mov_b32 v3, v10
	s_and_saveexec_b32 s15, s0
; %bb.1755:                             ;   in Loop: Header=BB460_1375 Depth=1
	v_clz_i32_u32_e32 v2, v9
	s_delay_alu instid0(VALU_DEP_1) | instskip(NEXT) | instid1(VALU_DEP_1)
	v_min_u32_e32 v7, 32, v2
	v_subrev_nc_u32_e32 v2, 28, v7
	v_sub_nc_u32_e32 v7, 29, v7
	s_delay_alu instid0(VALU_DEP_2) | instskip(NEXT) | instid1(VALU_DEP_1)
	v_lshlrev_b64 v[2:3], v2, v[9:10]
	v_and_b32_e32 v2, 7, v2
; %bb.1756:                             ;   in Loop: Header=BB460_1375 Depth=1
	s_or_b32 exec_lo, exec_lo, s15
	v_lshlrev_b32_e32 v3, 24, v6
	s_delay_alu instid0(VALU_DEP_2) | instskip(SKIP_1) | instid1(VALU_DEP_3)
	v_lshlrev_b32_e32 v2, 20, v2
	v_lshl_add_u32 v6, v7, 23, 0x3c000000
	v_and_b32_e32 v3, 0x80000000, v3
	s_delay_alu instid0(VALU_DEP_1)
	v_or3_b32 v2, v2, v3, v6
.LBB460_1757:                           ;   in Loop: Header=BB460_1375 Depth=1
	s_or_b32 exec_lo, exec_lo, s13
.LBB460_1758:                           ;   in Loop: Header=BB460_1375 Depth=1
	s_delay_alu instid0(SALU_CYCLE_1)
	s_or_b32 exec_lo, exec_lo, s12
.LBB460_1759:                           ;   in Loop: Header=BB460_1375 Depth=1
	s_delay_alu instid0(SALU_CYCLE_1) | instskip(NEXT) | instid1(VALU_DEP_1)
	s_or_b32 exec_lo, exec_lo, s9
	v_mul_f32_e32 v3, v26, v2
	s_delay_alu instid0(VALU_DEP_1) | instskip(NEXT) | instid1(VALU_DEP_1)
	v_and_b32_e32 v2, 0x7f800000, v3
	v_cmp_ne_u32_e64 s0, 0x7f800000, v2
                                        ; implicit-def: $vgpr2
	s_delay_alu instid0(VALU_DEP_1) | instskip(NEXT) | instid1(SALU_CYCLE_1)
	s_and_saveexec_b32 s9, s0
	s_xor_b32 s0, exec_lo, s9
; %bb.1760:                             ;   in Loop: Header=BB460_1375 Depth=1
	v_bfe_u32 v2, v3, 16, 1
	s_delay_alu instid0(VALU_DEP_1)
	v_add3_u32 v2, v3, v2, 0x7fff
                                        ; implicit-def: $vgpr3
; %bb.1761:                             ;   in Loop: Header=BB460_1375 Depth=1
	s_and_not1_saveexec_b32 s9, s0
; %bb.1762:                             ;   in Loop: Header=BB460_1375 Depth=1
	v_and_b32_e32 v2, 0xffff, v3
	v_or_b32_e32 v6, 0x10000, v3
	s_delay_alu instid0(VALU_DEP_2) | instskip(NEXT) | instid1(VALU_DEP_1)
	v_cmp_eq_u32_e64 s0, 0, v2
	v_cndmask_b32_e64 v2, v6, v3, s0
; %bb.1763:                             ;   in Loop: Header=BB460_1375 Depth=1
	s_or_b32 exec_lo, exec_lo, s9
	v_lshrrev_b32_e32 v6, 16, v113
	v_lshrrev_b32_e32 v7, 16, v35
	;; [unrolled: 1-line block ×8, first 2 shown]
	s_and_saveexec_b32 s9, vcc_lo
	s_cbranch_execz .LBB460_1765
; %bb.1764:                             ;   in Loop: Header=BB460_1375 Depth=1
	v_cmp_lt_i32_e64 s0, v66, v36
	s_delay_alu instid0(VALU_DEP_1) | instskip(SKIP_1) | instid1(VALU_DEP_1)
	v_cndmask_b32_e64 v4, 0, v4, s0
	v_cmp_lt_i32_e64 s0, v80, v36
	v_cndmask_b32_e64 v5, 0, v5, s0
	v_cmp_lt_i32_e64 s0, v71, v36
	s_delay_alu instid0(VALU_DEP_1) | instskip(SKIP_1) | instid1(VALU_DEP_1)
	v_cndmask_b32_e64 v23, 0, v23, s0
	v_cmp_lt_i32_e64 s0, v70, v36
	v_cndmask_b32_e64 v9, 0, v9, s0
	;; [unrolled: 5-line block ×4, first 2 shown]
.LBB460_1765:                           ;   in Loop: Header=BB460_1375 Depth=1
	s_or_b32 exec_lo, exec_lo, s9
	v_lshlrev_b32_e32 v4, 16, v4
                                        ; implicit-def: $vgpr113
	s_delay_alu instid0(VALU_DEP_1) | instskip(NEXT) | instid1(VALU_DEP_1)
	v_mul_f32_e32 v4, v81, v4
	v_and_b32_e32 v34, 0x7f800000, v4
	s_delay_alu instid0(VALU_DEP_1) | instskip(NEXT) | instid1(VALU_DEP_1)
	v_cmp_ne_u32_e64 s0, 0x7f800000, v34
	s_and_saveexec_b32 s9, s0
	s_delay_alu instid0(SALU_CYCLE_1)
	s_xor_b32 s0, exec_lo, s9
; %bb.1766:                             ;   in Loop: Header=BB460_1375 Depth=1
	v_bfe_u32 v34, v4, 16, 1
	s_delay_alu instid0(VALU_DEP_1)
	v_add3_u32 v113, v4, v34, 0x7fff
                                        ; implicit-def: $vgpr4
; %bb.1767:                             ;   in Loop: Header=BB460_1375 Depth=1
	s_and_not1_saveexec_b32 s9, s0
; %bb.1768:                             ;   in Loop: Header=BB460_1375 Depth=1
	v_and_b32_e32 v34, 0xffff, v4
	v_or_b32_e32 v35, 0x10000, v4
	s_delay_alu instid0(VALU_DEP_2) | instskip(NEXT) | instid1(VALU_DEP_1)
	v_cmp_eq_u32_e64 s0, 0, v34
	v_cndmask_b32_e64 v113, v35, v4, s0
; %bb.1769:                             ;   in Loop: Header=BB460_1375 Depth=1
	s_or_b32 exec_lo, exec_lo, s9
	v_lshlrev_b32_e32 v4, 16, v5
                                        ; implicit-def: $vgpr114
	s_delay_alu instid0(VALU_DEP_1) | instskip(NEXT) | instid1(VALU_DEP_1)
	v_mul_f32_e32 v4, v82, v4
	v_and_b32_e32 v5, 0x7f800000, v4
	s_delay_alu instid0(VALU_DEP_1) | instskip(NEXT) | instid1(VALU_DEP_1)
	v_cmp_ne_u32_e64 s0, 0x7f800000, v5
	s_and_saveexec_b32 s9, s0
	s_delay_alu instid0(SALU_CYCLE_1)
	s_xor_b32 s0, exec_lo, s9
; %bb.1770:                             ;   in Loop: Header=BB460_1375 Depth=1
	v_bfe_u32 v5, v4, 16, 1
	s_delay_alu instid0(VALU_DEP_1)
	v_add3_u32 v114, v4, v5, 0x7fff
                                        ; implicit-def: $vgpr4
; %bb.1771:                             ;   in Loop: Header=BB460_1375 Depth=1
	s_and_not1_saveexec_b32 s9, s0
; %bb.1772:                             ;   in Loop: Header=BB460_1375 Depth=1
	v_and_b32_e32 v5, 0xffff, v4
	v_or_b32_e32 v34, 0x10000, v4
	s_delay_alu instid0(VALU_DEP_2) | instskip(NEXT) | instid1(VALU_DEP_1)
	v_cmp_eq_u32_e64 s0, 0, v5
	v_cndmask_b32_e64 v114, v34, v4, s0
; %bb.1773:                             ;   in Loop: Header=BB460_1375 Depth=1
	s_or_b32 exec_lo, exec_lo, s9
	v_lshlrev_b32_e32 v4, 16, v23
                                        ; implicit-def: $vgpr115
	s_delay_alu instid0(VALU_DEP_1) | instskip(NEXT) | instid1(VALU_DEP_1)
	v_mul_f32_e32 v4, v83, v4
	v_and_b32_e32 v5, 0x7f800000, v4
	s_delay_alu instid0(VALU_DEP_1) | instskip(NEXT) | instid1(VALU_DEP_1)
	v_cmp_ne_u32_e64 s0, 0x7f800000, v5
	s_and_saveexec_b32 s9, s0
	s_delay_alu instid0(SALU_CYCLE_1)
	s_xor_b32 s0, exec_lo, s9
; %bb.1774:                             ;   in Loop: Header=BB460_1375 Depth=1
	v_bfe_u32 v5, v4, 16, 1
	s_delay_alu instid0(VALU_DEP_1)
	v_add3_u32 v115, v4, v5, 0x7fff
                                        ; implicit-def: $vgpr4
; %bb.1775:                             ;   in Loop: Header=BB460_1375 Depth=1
	s_and_not1_saveexec_b32 s9, s0
; %bb.1776:                             ;   in Loop: Header=BB460_1375 Depth=1
	v_and_b32_e32 v5, 0xffff, v4
	v_or_b32_e32 v23, 0x10000, v4
	s_delay_alu instid0(VALU_DEP_2) | instskip(NEXT) | instid1(VALU_DEP_1)
	v_cmp_eq_u32_e64 s0, 0, v5
	v_cndmask_b32_e64 v115, v23, v4, s0
; %bb.1777:                             ;   in Loop: Header=BB460_1375 Depth=1
	s_or_b32 exec_lo, exec_lo, s9
	v_lshlrev_b32_e32 v4, 16, v9
                                        ; implicit-def: $vgpr116
	s_delay_alu instid0(VALU_DEP_1) | instskip(NEXT) | instid1(VALU_DEP_1)
	v_mul_f32_e32 v4, v84, v4
	v_and_b32_e32 v5, 0x7f800000, v4
	s_delay_alu instid0(VALU_DEP_1) | instskip(NEXT) | instid1(VALU_DEP_1)
	v_cmp_ne_u32_e64 s0, 0x7f800000, v5
	s_and_saveexec_b32 s9, s0
	s_delay_alu instid0(SALU_CYCLE_1)
	s_xor_b32 s0, exec_lo, s9
; %bb.1778:                             ;   in Loop: Header=BB460_1375 Depth=1
	v_bfe_u32 v5, v4, 16, 1
	s_delay_alu instid0(VALU_DEP_1)
	v_add3_u32 v116, v4, v5, 0x7fff
                                        ; implicit-def: $vgpr4
; %bb.1779:                             ;   in Loop: Header=BB460_1375 Depth=1
	s_and_not1_saveexec_b32 s9, s0
; %bb.1780:                             ;   in Loop: Header=BB460_1375 Depth=1
	v_and_b32_e32 v5, 0xffff, v4
	v_or_b32_e32 v9, 0x10000, v4
	s_delay_alu instid0(VALU_DEP_2) | instskip(NEXT) | instid1(VALU_DEP_1)
	v_cmp_eq_u32_e64 s0, 0, v5
	v_cndmask_b32_e64 v116, v9, v4, s0
; %bb.1781:                             ;   in Loop: Header=BB460_1375 Depth=1
	s_or_b32 exec_lo, exec_lo, s9
	v_lshlrev_b32_e32 v4, 16, v7
                                        ; implicit-def: $vgpr117
	s_delay_alu instid0(VALU_DEP_1) | instskip(NEXT) | instid1(VALU_DEP_1)
	v_mul_f32_e32 v4, v85, v4
	v_and_b32_e32 v5, 0x7f800000, v4
	s_delay_alu instid0(VALU_DEP_1) | instskip(NEXT) | instid1(VALU_DEP_1)
	v_cmp_ne_u32_e64 s0, 0x7f800000, v5
	s_and_saveexec_b32 s9, s0
	s_delay_alu instid0(SALU_CYCLE_1)
	s_xor_b32 s0, exec_lo, s9
; %bb.1782:                             ;   in Loop: Header=BB460_1375 Depth=1
	v_bfe_u32 v5, v4, 16, 1
	s_delay_alu instid0(VALU_DEP_1)
	v_add3_u32 v117, v4, v5, 0x7fff
                                        ; implicit-def: $vgpr4
; %bb.1783:                             ;   in Loop: Header=BB460_1375 Depth=1
	s_and_not1_saveexec_b32 s9, s0
; %bb.1784:                             ;   in Loop: Header=BB460_1375 Depth=1
	v_and_b32_e32 v5, 0xffff, v4
	v_or_b32_e32 v7, 0x10000, v4
	s_delay_alu instid0(VALU_DEP_2) | instskip(NEXT) | instid1(VALU_DEP_1)
	v_cmp_eq_u32_e64 s0, 0, v5
	v_cndmask_b32_e64 v117, v7, v4, s0
; %bb.1785:                             ;   in Loop: Header=BB460_1375 Depth=1
	s_or_b32 exec_lo, exec_lo, s9
	v_lshlrev_b32_e32 v4, 16, v6
                                        ; implicit-def: $vgpr118
	s_delay_alu instid0(VALU_DEP_1) | instskip(NEXT) | instid1(VALU_DEP_1)
	v_mul_f32_e32 v4, v86, v4
	v_and_b32_e32 v5, 0x7f800000, v4
	s_delay_alu instid0(VALU_DEP_1) | instskip(NEXT) | instid1(VALU_DEP_1)
	v_cmp_ne_u32_e64 s0, 0x7f800000, v5
	s_and_saveexec_b32 s9, s0
	s_delay_alu instid0(SALU_CYCLE_1)
	s_xor_b32 s0, exec_lo, s9
; %bb.1786:                             ;   in Loop: Header=BB460_1375 Depth=1
	v_bfe_u32 v5, v4, 16, 1
	s_delay_alu instid0(VALU_DEP_1)
	v_add3_u32 v118, v4, v5, 0x7fff
                                        ; implicit-def: $vgpr4
; %bb.1787:                             ;   in Loop: Header=BB460_1375 Depth=1
	s_and_not1_saveexec_b32 s9, s0
; %bb.1788:                             ;   in Loop: Header=BB460_1375 Depth=1
	v_and_b32_e32 v5, 0xffff, v4
	v_or_b32_e32 v6, 0x10000, v4
	s_delay_alu instid0(VALU_DEP_2) | instskip(NEXT) | instid1(VALU_DEP_1)
	v_cmp_eq_u32_e64 s0, 0, v5
	v_cndmask_b32_e64 v118, v6, v4, s0
; %bb.1789:                             ;   in Loop: Header=BB460_1375 Depth=1
	s_or_b32 exec_lo, exec_lo, s9
	v_lshlrev_b32_e32 v3, 16, v3
                                        ; implicit-def: $vgpr119
	s_delay_alu instid0(VALU_DEP_1) | instskip(NEXT) | instid1(VALU_DEP_1)
	v_mul_f32_e32 v3, v87, v3
	v_and_b32_e32 v4, 0x7f800000, v3
	s_delay_alu instid0(VALU_DEP_1) | instskip(NEXT) | instid1(VALU_DEP_1)
	v_cmp_ne_u32_e64 s0, 0x7f800000, v4
	s_and_saveexec_b32 s9, s0
	s_delay_alu instid0(SALU_CYCLE_1)
	s_xor_b32 s0, exec_lo, s9
; %bb.1790:                             ;   in Loop: Header=BB460_1375 Depth=1
	v_bfe_u32 v4, v3, 16, 1
	s_delay_alu instid0(VALU_DEP_1)
	v_add3_u32 v119, v3, v4, 0x7fff
                                        ; implicit-def: $vgpr3
; %bb.1791:                             ;   in Loop: Header=BB460_1375 Depth=1
	s_and_not1_saveexec_b32 s9, s0
; %bb.1792:                             ;   in Loop: Header=BB460_1375 Depth=1
	v_and_b32_e32 v4, 0xffff, v3
	v_or_b32_e32 v5, 0x10000, v3
	s_delay_alu instid0(VALU_DEP_2) | instskip(NEXT) | instid1(VALU_DEP_1)
	v_cmp_eq_u32_e64 s0, 0, v4
	v_cndmask_b32_e64 v119, v5, v3, s0
; %bb.1793:                             ;   in Loop: Header=BB460_1375 Depth=1
	s_or_b32 exec_lo, exec_lo, s9
	v_lshlrev_b32_e32 v2, 16, v2
                                        ; implicit-def: $vgpr128
	s_delay_alu instid0(VALU_DEP_1) | instskip(NEXT) | instid1(VALU_DEP_1)
	v_mul_f32_e32 v2, v96, v2
	v_and_b32_e32 v3, 0x7f800000, v2
	s_delay_alu instid0(VALU_DEP_1) | instskip(NEXT) | instid1(VALU_DEP_1)
	v_cmp_ne_u32_e64 s0, 0x7f800000, v3
	s_and_saveexec_b32 s9, s0
	s_delay_alu instid0(SALU_CYCLE_1)
	s_xor_b32 s0, exec_lo, s9
; %bb.1794:                             ;   in Loop: Header=BB460_1375 Depth=1
	v_bfe_u32 v3, v2, 16, 1
	s_delay_alu instid0(VALU_DEP_1)
	v_add3_u32 v128, v2, v3, 0x7fff
                                        ; implicit-def: $vgpr2
; %bb.1795:                             ;   in Loop: Header=BB460_1375 Depth=1
	s_and_not1_saveexec_b32 s9, s0
; %bb.1796:                             ;   in Loop: Header=BB460_1375 Depth=1
	v_and_b32_e32 v3, 0xffff, v2
	v_or_b32_e32 v4, 0x10000, v2
	s_delay_alu instid0(VALU_DEP_2) | instskip(NEXT) | instid1(VALU_DEP_1)
	v_cmp_eq_u32_e64 s0, 0, v3
	v_cndmask_b32_e64 v128, v4, v2, s0
; %bb.1797:                             ;   in Loop: Header=BB460_1375 Depth=1
	s_or_b32 exec_lo, exec_lo, s9
	flat_load_b64 v[2:3], v[0:1] offset:768
	s_mov_b32 s9, exec_lo
	s_waitcnt vmcnt(0) lgkmcnt(0)
	v_dual_mov_b32 v4, 0 :: v_dual_and_b32 v5, 0xff, v2
	s_delay_alu instid0(VALU_DEP_1)
	v_cmpx_ne_u16_e32 0, v5
	s_cbranch_execz .LBB460_1805
; %bb.1798:                             ;   in Loop: Header=BB460_1375 Depth=1
	v_bfrev_b32_e32 v4, 1
	s_mov_b32 s12, exec_lo
	v_cmpx_ne_u16_e32 0x80, v5
	s_cbranch_execz .LBB460_1804
; %bb.1799:                             ;   in Loop: Header=BB460_1375 Depth=1
	v_and_b32_e32 v5, 0x7f, v2
	v_mov_b32_e32 v4, 0x7f800001
	s_mov_b32 s13, exec_lo
	s_delay_alu instid0(VALU_DEP_2)
	v_cmpx_ne_u32_e32 0x7f, v5
	s_cbranch_execz .LBB460_1803
; %bb.1800:                             ;   in Loop: Header=BB460_1375 Depth=1
	v_lshrrev_b32_e32 v4, 3, v5
	v_dual_mov_b32 v7, v3 :: v_dual_mov_b32 v6, v2
	s_mov_b32 s15, exec_lo
	v_cmpx_gt_u32_e32 8, v5
; %bb.1801:                             ;   in Loop: Header=BB460_1375 Depth=1
	v_and_b32_e32 v4, 7, v2
	s_delay_alu instid0(VALU_DEP_1) | instskip(NEXT) | instid1(VALU_DEP_1)
	v_clz_i32_u32_e32 v4, v4
	v_min_u32_e32 v4, 32, v4
	s_delay_alu instid0(VALU_DEP_1) | instskip(SKIP_1) | instid1(VALU_DEP_2)
	v_subrev_nc_u32_e32 v5, 28, v4
	v_sub_nc_u32_e32 v4, 29, v4
	v_lshlrev_b64 v[6:7], v5, v[2:3]
; %bb.1802:                             ;   in Loop: Header=BB460_1375 Depth=1
	s_or_b32 exec_lo, exec_lo, s15
	s_delay_alu instid0(VALU_DEP_1) | instskip(SKIP_2) | instid1(VALU_DEP_3)
	v_lshlrev_b32_e32 v5, 20, v6
	v_lshlrev_b32_e32 v6, 24, v2
	v_lshl_add_u32 v4, v4, 23, 0x3c000000
	v_and_b32_e32 v5, 0x700000, v5
	s_delay_alu instid0(VALU_DEP_3) | instskip(NEXT) | instid1(VALU_DEP_1)
	v_and_b32_e32 v6, 0x80000000, v6
	v_or3_b32 v4, v5, v6, v4
.LBB460_1803:                           ;   in Loop: Header=BB460_1375 Depth=1
	s_or_b32 exec_lo, exec_lo, s13
.LBB460_1804:                           ;   in Loop: Header=BB460_1375 Depth=1
	s_delay_alu instid0(SALU_CYCLE_1)
	s_or_b32 exec_lo, exec_lo, s12
.LBB460_1805:                           ;   in Loop: Header=BB460_1375 Depth=1
	s_delay_alu instid0(SALU_CYCLE_1) | instskip(NEXT) | instid1(VALU_DEP_1)
	s_or_b32 exec_lo, exec_lo, s9
	v_mul_f32_e32 v5, v26, v4
	s_delay_alu instid0(VALU_DEP_1) | instskip(NEXT) | instid1(VALU_DEP_1)
	v_and_b32_e32 v4, 0x7f800000, v5
	v_cmp_ne_u32_e64 s0, 0x7f800000, v4
                                        ; implicit-def: $vgpr4
	s_delay_alu instid0(VALU_DEP_1) | instskip(NEXT) | instid1(SALU_CYCLE_1)
	s_and_saveexec_b32 s9, s0
	s_xor_b32 s0, exec_lo, s9
; %bb.1806:                             ;   in Loop: Header=BB460_1375 Depth=1
	v_bfe_u32 v4, v5, 16, 1
	s_delay_alu instid0(VALU_DEP_1)
	v_add3_u32 v4, v5, v4, 0x7fff
                                        ; implicit-def: $vgpr5
; %bb.1807:                             ;   in Loop: Header=BB460_1375 Depth=1
	s_and_not1_saveexec_b32 s9, s0
; %bb.1808:                             ;   in Loop: Header=BB460_1375 Depth=1
	v_and_b32_e32 v4, 0xffff, v5
	v_or_b32_e32 v6, 0x10000, v5
	s_delay_alu instid0(VALU_DEP_2) | instskip(NEXT) | instid1(VALU_DEP_1)
	v_cmp_eq_u32_e64 s0, 0, v4
	v_cndmask_b32_e64 v4, v6, v5, s0
; %bb.1809:                             ;   in Loop: Header=BB460_1375 Depth=1
	s_or_b32 exec_lo, exec_lo, s9
	v_lshrrev_b16 v6, 8, v2
	v_mov_b32_e32 v5, 0
	s_mov_b32 s9, exec_lo
	s_delay_alu instid0(VALU_DEP_2)
	v_cmpx_ne_u16_e32 0, v6
	s_cbranch_execz .LBB460_1817
; %bb.1810:                             ;   in Loop: Header=BB460_1375 Depth=1
	v_bfrev_b32_e32 v5, 1
	s_mov_b32 s12, exec_lo
	v_cmpx_ne_u16_e32 0x80, v6
	s_cbranch_execz .LBB460_1816
; %bb.1811:                             ;   in Loop: Header=BB460_1375 Depth=1
	v_and_b32_e32 v7, 0xffff, v6
	v_mov_b32_e32 v5, 0x7f800001
	s_mov_b32 s13, exec_lo
	s_delay_alu instid0(VALU_DEP_2) | instskip(NEXT) | instid1(VALU_DEP_1)
	v_and_b32_e32 v6, 0x7f, v7
	v_cmpx_ne_u32_e32 0x7f, v6
	s_cbranch_execz .LBB460_1815
; %bb.1812:                             ;   in Loop: Header=BB460_1375 Depth=1
	v_and_b32_e32 v9, 7, v7
	v_lshrrev_b32_e32 v5, 3, v6
	v_cmp_gt_u32_e64 s0, 8, v6
	s_delay_alu instid0(VALU_DEP_3) | instskip(NEXT) | instid1(VALU_DEP_2)
	v_dual_mov_b32 v6, v9 :: v_dual_mov_b32 v7, v10
	s_and_saveexec_b32 s15, s0
; %bb.1813:                             ;   in Loop: Header=BB460_1375 Depth=1
	v_clz_i32_u32_e32 v5, v9
	s_delay_alu instid0(VALU_DEP_1) | instskip(NEXT) | instid1(VALU_DEP_1)
	v_min_u32_e32 v5, 32, v5
	v_subrev_nc_u32_e32 v6, 28, v5
	v_sub_nc_u32_e32 v5, 29, v5
	s_delay_alu instid0(VALU_DEP_2) | instskip(NEXT) | instid1(VALU_DEP_1)
	v_lshlrev_b64 v[6:7], v6, v[9:10]
	v_and_b32_e32 v6, 7, v6
; %bb.1814:                             ;   in Loop: Header=BB460_1375 Depth=1
	s_or_b32 exec_lo, exec_lo, s15
	v_lshlrev_b32_e32 v7, 16, v2
	s_delay_alu instid0(VALU_DEP_2) | instskip(SKIP_1) | instid1(VALU_DEP_3)
	v_lshlrev_b32_e32 v6, 20, v6
	v_lshl_add_u32 v5, v5, 23, 0x3c000000
	v_and_b32_e32 v7, 0x80000000, v7
	s_delay_alu instid0(VALU_DEP_1)
	v_or3_b32 v5, v6, v7, v5
.LBB460_1815:                           ;   in Loop: Header=BB460_1375 Depth=1
	s_or_b32 exec_lo, exec_lo, s13
.LBB460_1816:                           ;   in Loop: Header=BB460_1375 Depth=1
	s_delay_alu instid0(SALU_CYCLE_1)
	s_or_b32 exec_lo, exec_lo, s12
.LBB460_1817:                           ;   in Loop: Header=BB460_1375 Depth=1
	s_delay_alu instid0(SALU_CYCLE_1) | instskip(NEXT) | instid1(VALU_DEP_1)
	s_or_b32 exec_lo, exec_lo, s9
	v_mul_f32_e32 v6, v26, v5
	s_delay_alu instid0(VALU_DEP_1) | instskip(NEXT) | instid1(VALU_DEP_1)
	v_and_b32_e32 v5, 0x7f800000, v6
	v_cmp_ne_u32_e64 s0, 0x7f800000, v5
                                        ; implicit-def: $vgpr5
	s_delay_alu instid0(VALU_DEP_1) | instskip(NEXT) | instid1(SALU_CYCLE_1)
	s_and_saveexec_b32 s9, s0
	s_xor_b32 s0, exec_lo, s9
; %bb.1818:                             ;   in Loop: Header=BB460_1375 Depth=1
	v_bfe_u32 v5, v6, 16, 1
	s_delay_alu instid0(VALU_DEP_1)
	v_add3_u32 v5, v6, v5, 0x7fff
                                        ; implicit-def: $vgpr6
; %bb.1819:                             ;   in Loop: Header=BB460_1375 Depth=1
	s_and_not1_saveexec_b32 s9, s0
; %bb.1820:                             ;   in Loop: Header=BB460_1375 Depth=1
	v_and_b32_e32 v5, 0xffff, v6
	v_or_b32_e32 v7, 0x10000, v6
	s_delay_alu instid0(VALU_DEP_2) | instskip(NEXT) | instid1(VALU_DEP_1)
	v_cmp_eq_u32_e64 s0, 0, v5
	v_cndmask_b32_e64 v5, v7, v6, s0
; %bb.1821:                             ;   in Loop: Header=BB460_1375 Depth=1
	s_or_b32 exec_lo, exec_lo, s9
	v_lshrrev_b32_e32 v23, 16, v2
	s_mov_b32 s9, exec_lo
	s_delay_alu instid0(VALU_DEP_1) | instskip(NEXT) | instid1(VALU_DEP_1)
	v_dual_mov_b32 v6, 0 :: v_dual_and_b32 v7, 0xff, v23
	v_cmpx_ne_u16_e32 0, v7
	s_cbranch_execz .LBB460_1829
; %bb.1822:                             ;   in Loop: Header=BB460_1375 Depth=1
	v_bfrev_b32_e32 v6, 1
	s_mov_b32 s12, exec_lo
	v_cmpx_ne_u16_e32 0x80, v7
	s_cbranch_execz .LBB460_1828
; %bb.1823:                             ;   in Loop: Header=BB460_1375 Depth=1
	v_bfe_u32 v7, v2, 16, 7
	v_mov_b32_e32 v6, 0x7f800001
	s_mov_b32 s13, exec_lo
	s_delay_alu instid0(VALU_DEP_2)
	v_cmpx_ne_u32_e32 0x7f, v7
	s_cbranch_execz .LBB460_1827
; %bb.1824:                             ;   in Loop: Header=BB460_1375 Depth=1
	v_and_b32_e32 v9, 7, v23
	v_lshrrev_b32_e32 v34, 3, v7
	v_cmp_gt_u32_e64 s0, 8, v7
	s_delay_alu instid0(VALU_DEP_3) | instskip(NEXT) | instid1(VALU_DEP_2)
	v_dual_mov_b32 v6, v9 :: v_dual_mov_b32 v7, v10
	s_and_saveexec_b32 s15, s0
; %bb.1825:                             ;   in Loop: Header=BB460_1375 Depth=1
	v_clz_i32_u32_e32 v6, v9
	s_delay_alu instid0(VALU_DEP_1) | instskip(NEXT) | instid1(VALU_DEP_1)
	v_min_u32_e32 v34, 32, v6
	v_subrev_nc_u32_e32 v6, 28, v34
	v_sub_nc_u32_e32 v34, 29, v34
	s_delay_alu instid0(VALU_DEP_2) | instskip(NEXT) | instid1(VALU_DEP_1)
	v_lshlrev_b64 v[6:7], v6, v[9:10]
	v_and_b32_e32 v6, 7, v6
; %bb.1826:                             ;   in Loop: Header=BB460_1375 Depth=1
	s_or_b32 exec_lo, exec_lo, s15
	v_lshlrev_b32_e32 v7, 24, v23
	s_delay_alu instid0(VALU_DEP_2) | instskip(SKIP_1) | instid1(VALU_DEP_3)
	v_lshlrev_b32_e32 v6, 20, v6
	v_lshl_add_u32 v9, v34, 23, 0x3c000000
	v_and_b32_e32 v7, 0x80000000, v7
	s_delay_alu instid0(VALU_DEP_1)
	v_or3_b32 v6, v6, v7, v9
.LBB460_1827:                           ;   in Loop: Header=BB460_1375 Depth=1
	s_or_b32 exec_lo, exec_lo, s13
.LBB460_1828:                           ;   in Loop: Header=BB460_1375 Depth=1
	s_delay_alu instid0(SALU_CYCLE_1)
	s_or_b32 exec_lo, exec_lo, s12
.LBB460_1829:                           ;   in Loop: Header=BB460_1375 Depth=1
	s_delay_alu instid0(SALU_CYCLE_1) | instskip(NEXT) | instid1(VALU_DEP_1)
	s_or_b32 exec_lo, exec_lo, s9
	v_mul_f32_e32 v6, v26, v6
                                        ; implicit-def: $vgpr23
	s_delay_alu instid0(VALU_DEP_1) | instskip(NEXT) | instid1(VALU_DEP_1)
	v_and_b32_e32 v7, 0x7f800000, v6
	v_cmp_ne_u32_e64 s0, 0x7f800000, v7
	s_delay_alu instid0(VALU_DEP_1) | instskip(NEXT) | instid1(SALU_CYCLE_1)
	s_and_saveexec_b32 s9, s0
	s_xor_b32 s0, exec_lo, s9
; %bb.1830:                             ;   in Loop: Header=BB460_1375 Depth=1
	v_bfe_u32 v7, v6, 16, 1
	s_delay_alu instid0(VALU_DEP_1)
	v_add3_u32 v23, v6, v7, 0x7fff
                                        ; implicit-def: $vgpr6
; %bb.1831:                             ;   in Loop: Header=BB460_1375 Depth=1
	s_and_not1_saveexec_b32 s9, s0
; %bb.1832:                             ;   in Loop: Header=BB460_1375 Depth=1
	v_and_b32_e32 v7, 0xffff, v6
	v_or_b32_e32 v9, 0x10000, v6
	s_delay_alu instid0(VALU_DEP_2) | instskip(NEXT) | instid1(VALU_DEP_1)
	v_cmp_eq_u32_e64 s0, 0, v7
	v_cndmask_b32_e64 v23, v9, v6, s0
; %bb.1833:                             ;   in Loop: Header=BB460_1375 Depth=1
	s_or_b32 exec_lo, exec_lo, s9
	v_mov_b32_e32 v6, 0
	s_mov_b32 s9, exec_lo
	v_cmpx_lt_u32_e32 0xffffff, v2
	s_cbranch_execz .LBB460_1841
; %bb.1834:                             ;   in Loop: Header=BB460_1375 Depth=1
	v_lshrrev_b32_e32 v34, 24, v2
	v_bfrev_b32_e32 v6, 1
	s_mov_b32 s12, exec_lo
	s_delay_alu instid0(VALU_DEP_2)
	v_cmpx_ne_u32_e32 0x80, v34
	s_cbranch_execz .LBB460_1840
; %bb.1835:                             ;   in Loop: Header=BB460_1375 Depth=1
	v_bfe_u32 v7, v2, 24, 7
	v_mov_b32_e32 v6, 0x7f800001
	s_mov_b32 s13, exec_lo
	s_delay_alu instid0(VALU_DEP_2)
	v_cmpx_ne_u32_e32 0x7f, v7
	s_cbranch_execz .LBB460_1839
; %bb.1836:                             ;   in Loop: Header=BB460_1375 Depth=1
	v_and_b32_e32 v9, 7, v34
	v_lshrrev_b32_e32 v35, 3, v7
	v_cmp_gt_u32_e64 s0, 8, v7
	s_delay_alu instid0(VALU_DEP_3) | instskip(NEXT) | instid1(VALU_DEP_2)
	v_dual_mov_b32 v6, v9 :: v_dual_mov_b32 v7, v10
	s_and_saveexec_b32 s15, s0
; %bb.1837:                             ;   in Loop: Header=BB460_1375 Depth=1
	v_clz_i32_u32_e32 v6, v9
	s_delay_alu instid0(VALU_DEP_1) | instskip(NEXT) | instid1(VALU_DEP_1)
	v_min_u32_e32 v35, 32, v6
	v_subrev_nc_u32_e32 v6, 28, v35
	v_sub_nc_u32_e32 v35, 29, v35
	s_delay_alu instid0(VALU_DEP_2) | instskip(NEXT) | instid1(VALU_DEP_1)
	v_lshlrev_b64 v[6:7], v6, v[9:10]
	v_and_b32_e32 v6, 7, v6
; %bb.1838:                             ;   in Loop: Header=BB460_1375 Depth=1
	s_or_b32 exec_lo, exec_lo, s15
	v_lshlrev_b32_e32 v7, 24, v34
	s_delay_alu instid0(VALU_DEP_2) | instskip(SKIP_1) | instid1(VALU_DEP_3)
	v_lshlrev_b32_e32 v6, 20, v6
	v_lshl_add_u32 v9, v35, 23, 0x3c000000
	v_and_b32_e32 v7, 0x80000000, v7
	s_delay_alu instid0(VALU_DEP_1)
	v_or3_b32 v6, v6, v7, v9
.LBB460_1839:                           ;   in Loop: Header=BB460_1375 Depth=1
	s_or_b32 exec_lo, exec_lo, s13
.LBB460_1840:                           ;   in Loop: Header=BB460_1375 Depth=1
	s_delay_alu instid0(SALU_CYCLE_1)
	s_or_b32 exec_lo, exec_lo, s12
.LBB460_1841:                           ;   in Loop: Header=BB460_1375 Depth=1
	s_delay_alu instid0(SALU_CYCLE_1) | instskip(NEXT) | instid1(VALU_DEP_1)
	s_or_b32 exec_lo, exec_lo, s9
	v_mul_f32_e32 v6, v26, v6
                                        ; implicit-def: $vgpr34
	s_delay_alu instid0(VALU_DEP_1) | instskip(NEXT) | instid1(VALU_DEP_1)
	v_and_b32_e32 v7, 0x7f800000, v6
	v_cmp_ne_u32_e64 s0, 0x7f800000, v7
	s_delay_alu instid0(VALU_DEP_1) | instskip(NEXT) | instid1(SALU_CYCLE_1)
	s_and_saveexec_b32 s9, s0
	s_xor_b32 s0, exec_lo, s9
; %bb.1842:                             ;   in Loop: Header=BB460_1375 Depth=1
	v_bfe_u32 v7, v6, 16, 1
	s_delay_alu instid0(VALU_DEP_1)
	v_add3_u32 v34, v6, v7, 0x7fff
                                        ; implicit-def: $vgpr6
; %bb.1843:                             ;   in Loop: Header=BB460_1375 Depth=1
	s_and_not1_saveexec_b32 s9, s0
; %bb.1844:                             ;   in Loop: Header=BB460_1375 Depth=1
	v_and_b32_e32 v7, 0xffff, v6
	v_or_b32_e32 v9, 0x10000, v6
	s_delay_alu instid0(VALU_DEP_2) | instskip(NEXT) | instid1(VALU_DEP_1)
	v_cmp_eq_u32_e64 s0, 0, v7
	v_cndmask_b32_e64 v34, v9, v6, s0
; %bb.1845:                             ;   in Loop: Header=BB460_1375 Depth=1
	s_or_b32 exec_lo, exec_lo, s9
	v_dual_mov_b32 v6, 0 :: v_dual_and_b32 v7, 0xff, v3
	v_mov_b32_e32 v9, v3
	s_mov_b32 s9, exec_lo
	s_delay_alu instid0(VALU_DEP_2)
	v_cmpx_ne_u16_e32 0, v7
	s_cbranch_execz .LBB460_1853
; %bb.1846:                             ;   in Loop: Header=BB460_1375 Depth=1
	v_bfrev_b32_e32 v6, 1
	s_mov_b32 s12, exec_lo
	v_cmpx_ne_u16_e32 0x80, v7
	s_cbranch_execz .LBB460_1852
; %bb.1847:                             ;   in Loop: Header=BB460_1375 Depth=1
	v_and_b32_e32 v7, 0x7f, v3
	v_mov_b32_e32 v6, 0x7f800001
	s_mov_b32 s13, exec_lo
	s_delay_alu instid0(VALU_DEP_2)
	v_cmpx_ne_u32_e32 0x7f, v7
	s_cbranch_execz .LBB460_1851
; %bb.1848:                             ;   in Loop: Header=BB460_1375 Depth=1
	v_lshrrev_b32_e32 v35, 3, v7
	v_cmp_gt_u32_e64 s0, 8, v7
	v_dual_mov_b32 v6, v9 :: v_dual_mov_b32 v7, v10
	s_delay_alu instid0(VALU_DEP_2)
	s_and_saveexec_b32 s15, s0
; %bb.1849:                             ;   in Loop: Header=BB460_1375 Depth=1
	v_and_b32_e32 v6, 7, v3
	s_delay_alu instid0(VALU_DEP_1) | instskip(NEXT) | instid1(VALU_DEP_1)
	v_clz_i32_u32_e32 v6, v6
	v_min_u32_e32 v35, 32, v6
	s_delay_alu instid0(VALU_DEP_1) | instskip(SKIP_1) | instid1(VALU_DEP_2)
	v_subrev_nc_u32_e32 v6, 28, v35
	v_sub_nc_u32_e32 v35, 29, v35
	v_lshlrev_b64 v[6:7], v6, v[9:10]
; %bb.1850:                             ;   in Loop: Header=BB460_1375 Depth=1
	s_or_b32 exec_lo, exec_lo, s15
	s_delay_alu instid0(VALU_DEP_1) | instskip(SKIP_2) | instid1(VALU_DEP_3)
	v_lshlrev_b32_e32 v6, 20, v6
	v_lshlrev_b32_e32 v7, 24, v9
	v_lshl_add_u32 v35, v35, 23, 0x3c000000
	v_and_b32_e32 v6, 0x700000, v6
	s_delay_alu instid0(VALU_DEP_3) | instskip(NEXT) | instid1(VALU_DEP_1)
	v_and_b32_e32 v7, 0x80000000, v7
	v_or3_b32 v6, v6, v7, v35
.LBB460_1851:                           ;   in Loop: Header=BB460_1375 Depth=1
	s_or_b32 exec_lo, exec_lo, s13
.LBB460_1852:                           ;   in Loop: Header=BB460_1375 Depth=1
	s_delay_alu instid0(SALU_CYCLE_1)
	s_or_b32 exec_lo, exec_lo, s12
.LBB460_1853:                           ;   in Loop: Header=BB460_1375 Depth=1
	s_delay_alu instid0(SALU_CYCLE_1) | instskip(NEXT) | instid1(VALU_DEP_1)
	s_or_b32 exec_lo, exec_lo, s9
	v_mul_f32_e32 v6, v26, v6
                                        ; implicit-def: $vgpr35
	s_delay_alu instid0(VALU_DEP_1) | instskip(NEXT) | instid1(VALU_DEP_1)
	v_and_b32_e32 v7, 0x7f800000, v6
	v_cmp_ne_u32_e64 s0, 0x7f800000, v7
	s_delay_alu instid0(VALU_DEP_1) | instskip(NEXT) | instid1(SALU_CYCLE_1)
	s_and_saveexec_b32 s9, s0
	s_xor_b32 s0, exec_lo, s9
; %bb.1854:                             ;   in Loop: Header=BB460_1375 Depth=1
	v_bfe_u32 v7, v6, 16, 1
	s_delay_alu instid0(VALU_DEP_1)
	v_add3_u32 v35, v6, v7, 0x7fff
                                        ; implicit-def: $vgpr6
; %bb.1855:                             ;   in Loop: Header=BB460_1375 Depth=1
	s_and_not1_saveexec_b32 s9, s0
; %bb.1856:                             ;   in Loop: Header=BB460_1375 Depth=1
	v_and_b32_e32 v7, 0xffff, v6
	v_or_b32_e32 v35, 0x10000, v6
	s_delay_alu instid0(VALU_DEP_2) | instskip(NEXT) | instid1(VALU_DEP_1)
	v_cmp_eq_u32_e64 s0, 0, v7
	v_cndmask_b32_e64 v35, v35, v6, s0
; %bb.1857:                             ;   in Loop: Header=BB460_1375 Depth=1
	s_or_b32 exec_lo, exec_lo, s9
	v_lshrrev_b16 v7, 8, v9
	v_mov_b32_e32 v6, 0
	s_mov_b32 s9, exec_lo
	s_delay_alu instid0(VALU_DEP_2)
	v_cmpx_ne_u16_e32 0, v7
	s_cbranch_execz .LBB460_1865
; %bb.1858:                             ;   in Loop: Header=BB460_1375 Depth=1
	v_bfrev_b32_e32 v6, 1
	s_mov_b32 s12, exec_lo
	v_cmpx_ne_u16_e32 0x80, v7
	s_cbranch_execz .LBB460_1864
; %bb.1859:                             ;   in Loop: Header=BB460_1375 Depth=1
	v_and_b32_e32 v7, 0xffff, v7
	v_mov_b32_e32 v6, 0x7f800001
	s_mov_b32 s13, exec_lo
	s_delay_alu instid0(VALU_DEP_2) | instskip(NEXT) | instid1(VALU_DEP_1)
	v_and_b32_e32 v130, 0x7f, v7
	v_cmpx_ne_u32_e32 0x7f, v130
	s_cbranch_execz .LBB460_1863
; %bb.1860:                             ;   in Loop: Header=BB460_1375 Depth=1
	v_dual_mov_b32 v7, v10 :: v_dual_and_b32 v6, 7, v7
	v_lshrrev_b32_e32 v129, 3, v130
	s_mov_b32 s15, exec_lo
	v_cmpx_gt_u32_e32 8, v130
; %bb.1861:                             ;   in Loop: Header=BB460_1375 Depth=1
	s_delay_alu instid0(VALU_DEP_3) | instskip(NEXT) | instid1(VALU_DEP_1)
	v_clz_i32_u32_e32 v129, v6
	v_min_u32_e32 v129, 32, v129
	s_delay_alu instid0(VALU_DEP_1) | instskip(SKIP_1) | instid1(VALU_DEP_2)
	v_subrev_nc_u32_e32 v130, 28, v129
	v_sub_nc_u32_e32 v129, 29, v129
	v_lshlrev_b64 v[6:7], v130, v[6:7]
	s_delay_alu instid0(VALU_DEP_1)
	v_and_b32_e32 v6, 7, v6
; %bb.1862:                             ;   in Loop: Header=BB460_1375 Depth=1
	s_or_b32 exec_lo, exec_lo, s15
	v_lshlrev_b32_e32 v7, 16, v9
	s_delay_alu instid0(VALU_DEP_2) | instskip(SKIP_1) | instid1(VALU_DEP_3)
	v_lshlrev_b32_e32 v6, 20, v6
	v_lshl_add_u32 v9, v129, 23, 0x3c000000
	v_and_b32_e32 v7, 0x80000000, v7
	s_delay_alu instid0(VALU_DEP_1)
	v_or3_b32 v6, v6, v7, v9
.LBB460_1863:                           ;   in Loop: Header=BB460_1375 Depth=1
	s_or_b32 exec_lo, exec_lo, s13
.LBB460_1864:                           ;   in Loop: Header=BB460_1375 Depth=1
	s_delay_alu instid0(SALU_CYCLE_1)
	s_or_b32 exec_lo, exec_lo, s12
.LBB460_1865:                           ;   in Loop: Header=BB460_1375 Depth=1
	s_delay_alu instid0(SALU_CYCLE_1) | instskip(NEXT) | instid1(VALU_DEP_1)
	s_or_b32 exec_lo, exec_lo, s9
	v_mul_f32_e32 v6, v26, v6
                                        ; implicit-def: $vgpr129
	s_delay_alu instid0(VALU_DEP_1) | instskip(NEXT) | instid1(VALU_DEP_1)
	v_and_b32_e32 v7, 0x7f800000, v6
	v_cmp_ne_u32_e64 s0, 0x7f800000, v7
	s_delay_alu instid0(VALU_DEP_1) | instskip(NEXT) | instid1(SALU_CYCLE_1)
	s_and_saveexec_b32 s9, s0
	s_xor_b32 s0, exec_lo, s9
; %bb.1866:                             ;   in Loop: Header=BB460_1375 Depth=1
	v_bfe_u32 v7, v6, 16, 1
	s_delay_alu instid0(VALU_DEP_1)
	v_add3_u32 v129, v6, v7, 0x7fff
                                        ; implicit-def: $vgpr6
; %bb.1867:                             ;   in Loop: Header=BB460_1375 Depth=1
	s_and_not1_saveexec_b32 s9, s0
; %bb.1868:                             ;   in Loop: Header=BB460_1375 Depth=1
	v_and_b32_e32 v7, 0xffff, v6
	v_or_b32_e32 v9, 0x10000, v6
	s_delay_alu instid0(VALU_DEP_2) | instskip(NEXT) | instid1(VALU_DEP_1)
	v_cmp_eq_u32_e64 s0, 0, v7
	v_cndmask_b32_e64 v129, v9, v6, s0
; %bb.1869:                             ;   in Loop: Header=BB460_1375 Depth=1
	s_or_b32 exec_lo, exec_lo, s9
	v_lshrrev_b32_e32 v130, 16, v3
	s_mov_b32 s9, exec_lo
	s_delay_alu instid0(VALU_DEP_1) | instskip(NEXT) | instid1(VALU_DEP_1)
	v_dual_mov_b32 v6, 0 :: v_dual_and_b32 v7, 0xff, v130
	v_cmpx_ne_u16_e32 0, v7
	s_cbranch_execz .LBB460_1877
; %bb.1870:                             ;   in Loop: Header=BB460_1375 Depth=1
	v_bfrev_b32_e32 v6, 1
	s_mov_b32 s12, exec_lo
	v_cmpx_ne_u16_e32 0x80, v7
	s_cbranch_execz .LBB460_1876
; %bb.1871:                             ;   in Loop: Header=BB460_1375 Depth=1
	v_bfe_u32 v7, v3, 16, 7
	v_mov_b32_e32 v6, 0x7f800001
	s_mov_b32 s13, exec_lo
	s_delay_alu instid0(VALU_DEP_2)
	v_cmpx_ne_u32_e32 0x7f, v7
	s_cbranch_execz .LBB460_1875
; %bb.1872:                             ;   in Loop: Header=BB460_1375 Depth=1
	v_and_b32_e32 v9, 7, v130
	v_lshrrev_b32_e32 v131, 3, v7
	v_cmp_gt_u32_e64 s0, 8, v7
	s_delay_alu instid0(VALU_DEP_3) | instskip(NEXT) | instid1(VALU_DEP_2)
	v_dual_mov_b32 v6, v9 :: v_dual_mov_b32 v7, v10
	s_and_saveexec_b32 s15, s0
; %bb.1873:                             ;   in Loop: Header=BB460_1375 Depth=1
	v_clz_i32_u32_e32 v6, v9
	s_delay_alu instid0(VALU_DEP_1) | instskip(NEXT) | instid1(VALU_DEP_1)
	v_min_u32_e32 v131, 32, v6
	v_subrev_nc_u32_e32 v6, 28, v131
	v_sub_nc_u32_e32 v131, 29, v131
	s_delay_alu instid0(VALU_DEP_2) | instskip(NEXT) | instid1(VALU_DEP_1)
	v_lshlrev_b64 v[6:7], v6, v[9:10]
	v_and_b32_e32 v6, 7, v6
; %bb.1874:                             ;   in Loop: Header=BB460_1375 Depth=1
	s_or_b32 exec_lo, exec_lo, s15
	v_lshlrev_b32_e32 v7, 24, v130
	s_delay_alu instid0(VALU_DEP_2) | instskip(SKIP_1) | instid1(VALU_DEP_3)
	v_lshlrev_b32_e32 v6, 20, v6
	v_lshl_add_u32 v9, v131, 23, 0x3c000000
	v_and_b32_e32 v7, 0x80000000, v7
	s_delay_alu instid0(VALU_DEP_1)
	v_or3_b32 v6, v6, v7, v9
.LBB460_1875:                           ;   in Loop: Header=BB460_1375 Depth=1
	s_or_b32 exec_lo, exec_lo, s13
.LBB460_1876:                           ;   in Loop: Header=BB460_1375 Depth=1
	s_delay_alu instid0(SALU_CYCLE_1)
	s_or_b32 exec_lo, exec_lo, s12
.LBB460_1877:                           ;   in Loop: Header=BB460_1375 Depth=1
	s_delay_alu instid0(SALU_CYCLE_1) | instskip(NEXT) | instid1(VALU_DEP_1)
	s_or_b32 exec_lo, exec_lo, s9
	v_mul_f32_e32 v6, v26, v6
                                        ; implicit-def: $vgpr130
	s_delay_alu instid0(VALU_DEP_1) | instskip(NEXT) | instid1(VALU_DEP_1)
	v_and_b32_e32 v7, 0x7f800000, v6
	v_cmp_ne_u32_e64 s0, 0x7f800000, v7
	s_delay_alu instid0(VALU_DEP_1) | instskip(NEXT) | instid1(SALU_CYCLE_1)
	s_and_saveexec_b32 s9, s0
	s_xor_b32 s0, exec_lo, s9
; %bb.1878:                             ;   in Loop: Header=BB460_1375 Depth=1
	v_bfe_u32 v7, v6, 16, 1
	s_delay_alu instid0(VALU_DEP_1)
	v_add3_u32 v130, v6, v7, 0x7fff
                                        ; implicit-def: $vgpr6
; %bb.1879:                             ;   in Loop: Header=BB460_1375 Depth=1
	s_and_not1_saveexec_b32 s9, s0
; %bb.1880:                             ;   in Loop: Header=BB460_1375 Depth=1
	v_and_b32_e32 v7, 0xffff, v6
	v_or_b32_e32 v9, 0x10000, v6
	s_delay_alu instid0(VALU_DEP_2) | instskip(NEXT) | instid1(VALU_DEP_1)
	v_cmp_eq_u32_e64 s0, 0, v7
	v_cndmask_b32_e64 v130, v9, v6, s0
; %bb.1881:                             ;   in Loop: Header=BB460_1375 Depth=1
	s_or_b32 exec_lo, exec_lo, s9
	v_cmp_lt_u64_e64 s0, s[2:3], v[2:3]
	v_mov_b32_e32 v2, 0
	s_delay_alu instid0(VALU_DEP_2)
	s_and_saveexec_b32 s9, s0
	s_cbranch_execz .LBB460_1889
; %bb.1882:                             ;   in Loop: Header=BB460_1375 Depth=1
	v_lshrrev_b32_e32 v6, 24, v3
	v_bfrev_b32_e32 v2, 1
	s_mov_b32 s12, exec_lo
	s_delay_alu instid0(VALU_DEP_2)
	v_cmpx_ne_u32_e32 0x80, v6
	s_cbranch_execz .LBB460_1888
; %bb.1883:                             ;   in Loop: Header=BB460_1375 Depth=1
	v_bfe_u32 v3, v3, 24, 7
	v_mov_b32_e32 v2, 0x7f800001
	s_mov_b32 s13, exec_lo
	s_delay_alu instid0(VALU_DEP_2)
	v_cmpx_ne_u32_e32 0x7f, v3
	s_cbranch_execz .LBB460_1887
; %bb.1884:                             ;   in Loop: Header=BB460_1375 Depth=1
	v_and_b32_e32 v9, 7, v6
	v_lshrrev_b32_e32 v7, 3, v3
	v_cmp_gt_u32_e64 s0, 8, v3
	s_delay_alu instid0(VALU_DEP_3) | instskip(NEXT) | instid1(VALU_DEP_2)
	v_dual_mov_b32 v2, v9 :: v_dual_mov_b32 v3, v10
	s_and_saveexec_b32 s15, s0
; %bb.1885:                             ;   in Loop: Header=BB460_1375 Depth=1
	v_clz_i32_u32_e32 v2, v9
	s_delay_alu instid0(VALU_DEP_1) | instskip(NEXT) | instid1(VALU_DEP_1)
	v_min_u32_e32 v7, 32, v2
	v_subrev_nc_u32_e32 v2, 28, v7
	v_sub_nc_u32_e32 v7, 29, v7
	s_delay_alu instid0(VALU_DEP_2) | instskip(NEXT) | instid1(VALU_DEP_1)
	v_lshlrev_b64 v[2:3], v2, v[9:10]
	v_and_b32_e32 v2, 7, v2
; %bb.1886:                             ;   in Loop: Header=BB460_1375 Depth=1
	s_or_b32 exec_lo, exec_lo, s15
	v_lshlrev_b32_e32 v3, 24, v6
	s_delay_alu instid0(VALU_DEP_2) | instskip(SKIP_1) | instid1(VALU_DEP_3)
	v_lshlrev_b32_e32 v2, 20, v2
	v_lshl_add_u32 v6, v7, 23, 0x3c000000
	v_and_b32_e32 v3, 0x80000000, v3
	s_delay_alu instid0(VALU_DEP_1)
	v_or3_b32 v2, v2, v3, v6
.LBB460_1887:                           ;   in Loop: Header=BB460_1375 Depth=1
	s_or_b32 exec_lo, exec_lo, s13
.LBB460_1888:                           ;   in Loop: Header=BB460_1375 Depth=1
	s_delay_alu instid0(SALU_CYCLE_1)
	s_or_b32 exec_lo, exec_lo, s12
.LBB460_1889:                           ;   in Loop: Header=BB460_1375 Depth=1
	s_delay_alu instid0(SALU_CYCLE_1) | instskip(NEXT) | instid1(VALU_DEP_1)
	s_or_b32 exec_lo, exec_lo, s9
	v_mul_f32_e32 v3, v26, v2
	s_delay_alu instid0(VALU_DEP_1) | instskip(NEXT) | instid1(VALU_DEP_1)
	v_and_b32_e32 v2, 0x7f800000, v3
	v_cmp_ne_u32_e64 s0, 0x7f800000, v2
                                        ; implicit-def: $vgpr2
	s_delay_alu instid0(VALU_DEP_1) | instskip(NEXT) | instid1(SALU_CYCLE_1)
	s_and_saveexec_b32 s9, s0
	s_xor_b32 s0, exec_lo, s9
; %bb.1890:                             ;   in Loop: Header=BB460_1375 Depth=1
	v_bfe_u32 v2, v3, 16, 1
	s_delay_alu instid0(VALU_DEP_1)
	v_add3_u32 v2, v3, v2, 0x7fff
                                        ; implicit-def: $vgpr3
; %bb.1891:                             ;   in Loop: Header=BB460_1375 Depth=1
	s_and_not1_saveexec_b32 s9, s0
; %bb.1892:                             ;   in Loop: Header=BB460_1375 Depth=1
	v_and_b32_e32 v2, 0xffff, v3
	v_or_b32_e32 v6, 0x10000, v3
	s_delay_alu instid0(VALU_DEP_2) | instskip(NEXT) | instid1(VALU_DEP_1)
	v_cmp_eq_u32_e64 s0, 0, v2
	v_cndmask_b32_e64 v2, v6, v3, s0
; %bb.1893:                             ;   in Loop: Header=BB460_1375 Depth=1
	s_or_b32 exec_lo, exec_lo, s9
	v_lshrrev_b32_e32 v6, 16, v129
	v_lshrrev_b32_e32 v7, 16, v35
	;; [unrolled: 1-line block ×8, first 2 shown]
	s_and_saveexec_b32 s9, vcc_lo
	s_cbranch_execz .LBB460_1895
; %bb.1894:                             ;   in Loop: Header=BB460_1375 Depth=1
	v_cmp_lt_i32_e64 s0, v66, v36
	s_delay_alu instid0(VALU_DEP_1) | instskip(SKIP_1) | instid1(VALU_DEP_1)
	v_cndmask_b32_e64 v4, 0, v4, s0
	v_cmp_lt_i32_e64 s0, v80, v36
	v_cndmask_b32_e64 v5, 0, v5, s0
	v_cmp_lt_i32_e64 s0, v71, v36
	s_delay_alu instid0(VALU_DEP_1) | instskip(SKIP_1) | instid1(VALU_DEP_1)
	v_cndmask_b32_e64 v23, 0, v23, s0
	v_cmp_lt_i32_e64 s0, v70, v36
	v_cndmask_b32_e64 v9, 0, v9, s0
	;; [unrolled: 5-line block ×4, first 2 shown]
.LBB460_1895:                           ;   in Loop: Header=BB460_1375 Depth=1
	s_or_b32 exec_lo, exec_lo, s9
	v_lshlrev_b32_e32 v4, 16, v4
                                        ; implicit-def: $vgpr129
	s_delay_alu instid0(VALU_DEP_1) | instskip(NEXT) | instid1(VALU_DEP_1)
	v_mul_f32_e32 v4, v81, v4
	v_and_b32_e32 v34, 0x7f800000, v4
	s_delay_alu instid0(VALU_DEP_1) | instskip(NEXT) | instid1(VALU_DEP_1)
	v_cmp_ne_u32_e64 s0, 0x7f800000, v34
	s_and_saveexec_b32 s9, s0
	s_delay_alu instid0(SALU_CYCLE_1)
	s_xor_b32 s0, exec_lo, s9
; %bb.1896:                             ;   in Loop: Header=BB460_1375 Depth=1
	v_bfe_u32 v34, v4, 16, 1
	s_delay_alu instid0(VALU_DEP_1)
	v_add3_u32 v129, v4, v34, 0x7fff
                                        ; implicit-def: $vgpr4
; %bb.1897:                             ;   in Loop: Header=BB460_1375 Depth=1
	s_and_not1_saveexec_b32 s9, s0
; %bb.1898:                             ;   in Loop: Header=BB460_1375 Depth=1
	v_and_b32_e32 v34, 0xffff, v4
	v_or_b32_e32 v35, 0x10000, v4
	s_delay_alu instid0(VALU_DEP_2) | instskip(NEXT) | instid1(VALU_DEP_1)
	v_cmp_eq_u32_e64 s0, 0, v34
	v_cndmask_b32_e64 v129, v35, v4, s0
; %bb.1899:                             ;   in Loop: Header=BB460_1375 Depth=1
	s_or_b32 exec_lo, exec_lo, s9
	v_lshlrev_b32_e32 v4, 16, v5
                                        ; implicit-def: $vgpr130
	s_delay_alu instid0(VALU_DEP_1) | instskip(NEXT) | instid1(VALU_DEP_1)
	v_mul_f32_e32 v4, v82, v4
	v_and_b32_e32 v5, 0x7f800000, v4
	s_delay_alu instid0(VALU_DEP_1) | instskip(NEXT) | instid1(VALU_DEP_1)
	v_cmp_ne_u32_e64 s0, 0x7f800000, v5
	s_and_saveexec_b32 s9, s0
	s_delay_alu instid0(SALU_CYCLE_1)
	s_xor_b32 s0, exec_lo, s9
; %bb.1900:                             ;   in Loop: Header=BB460_1375 Depth=1
	v_bfe_u32 v5, v4, 16, 1
	s_delay_alu instid0(VALU_DEP_1)
	v_add3_u32 v130, v4, v5, 0x7fff
                                        ; implicit-def: $vgpr4
; %bb.1901:                             ;   in Loop: Header=BB460_1375 Depth=1
	s_and_not1_saveexec_b32 s9, s0
; %bb.1902:                             ;   in Loop: Header=BB460_1375 Depth=1
	v_and_b32_e32 v5, 0xffff, v4
	v_or_b32_e32 v34, 0x10000, v4
	s_delay_alu instid0(VALU_DEP_2) | instskip(NEXT) | instid1(VALU_DEP_1)
	v_cmp_eq_u32_e64 s0, 0, v5
	v_cndmask_b32_e64 v130, v34, v4, s0
; %bb.1903:                             ;   in Loop: Header=BB460_1375 Depth=1
	s_or_b32 exec_lo, exec_lo, s9
	v_lshlrev_b32_e32 v4, 16, v23
                                        ; implicit-def: $vgpr131
	s_delay_alu instid0(VALU_DEP_1) | instskip(NEXT) | instid1(VALU_DEP_1)
	v_mul_f32_e32 v4, v83, v4
	v_and_b32_e32 v5, 0x7f800000, v4
	s_delay_alu instid0(VALU_DEP_1) | instskip(NEXT) | instid1(VALU_DEP_1)
	v_cmp_ne_u32_e64 s0, 0x7f800000, v5
	s_and_saveexec_b32 s9, s0
	s_delay_alu instid0(SALU_CYCLE_1)
	s_xor_b32 s0, exec_lo, s9
; %bb.1904:                             ;   in Loop: Header=BB460_1375 Depth=1
	v_bfe_u32 v5, v4, 16, 1
	s_delay_alu instid0(VALU_DEP_1)
	v_add3_u32 v131, v4, v5, 0x7fff
                                        ; implicit-def: $vgpr4
; %bb.1905:                             ;   in Loop: Header=BB460_1375 Depth=1
	s_and_not1_saveexec_b32 s9, s0
; %bb.1906:                             ;   in Loop: Header=BB460_1375 Depth=1
	v_and_b32_e32 v5, 0xffff, v4
	v_or_b32_e32 v23, 0x10000, v4
	s_delay_alu instid0(VALU_DEP_2) | instskip(NEXT) | instid1(VALU_DEP_1)
	v_cmp_eq_u32_e64 s0, 0, v5
	v_cndmask_b32_e64 v131, v23, v4, s0
; %bb.1907:                             ;   in Loop: Header=BB460_1375 Depth=1
	s_or_b32 exec_lo, exec_lo, s9
	v_lshlrev_b32_e32 v4, 16, v9
                                        ; implicit-def: $vgpr132
	s_delay_alu instid0(VALU_DEP_1) | instskip(NEXT) | instid1(VALU_DEP_1)
	v_mul_f32_e32 v4, v84, v4
	v_and_b32_e32 v5, 0x7f800000, v4
	s_delay_alu instid0(VALU_DEP_1) | instskip(NEXT) | instid1(VALU_DEP_1)
	v_cmp_ne_u32_e64 s0, 0x7f800000, v5
	s_and_saveexec_b32 s9, s0
	s_delay_alu instid0(SALU_CYCLE_1)
	s_xor_b32 s0, exec_lo, s9
; %bb.1908:                             ;   in Loop: Header=BB460_1375 Depth=1
	v_bfe_u32 v5, v4, 16, 1
	s_delay_alu instid0(VALU_DEP_1)
	v_add3_u32 v132, v4, v5, 0x7fff
                                        ; implicit-def: $vgpr4
; %bb.1909:                             ;   in Loop: Header=BB460_1375 Depth=1
	s_and_not1_saveexec_b32 s9, s0
; %bb.1910:                             ;   in Loop: Header=BB460_1375 Depth=1
	v_and_b32_e32 v5, 0xffff, v4
	v_or_b32_e32 v9, 0x10000, v4
	s_delay_alu instid0(VALU_DEP_2) | instskip(NEXT) | instid1(VALU_DEP_1)
	v_cmp_eq_u32_e64 s0, 0, v5
	v_cndmask_b32_e64 v132, v9, v4, s0
; %bb.1911:                             ;   in Loop: Header=BB460_1375 Depth=1
	s_or_b32 exec_lo, exec_lo, s9
	v_lshlrev_b32_e32 v4, 16, v7
                                        ; implicit-def: $vgpr133
	s_delay_alu instid0(VALU_DEP_1) | instskip(NEXT) | instid1(VALU_DEP_1)
	v_mul_f32_e32 v4, v85, v4
	v_and_b32_e32 v5, 0x7f800000, v4
	s_delay_alu instid0(VALU_DEP_1) | instskip(NEXT) | instid1(VALU_DEP_1)
	v_cmp_ne_u32_e64 s0, 0x7f800000, v5
	s_and_saveexec_b32 s9, s0
	s_delay_alu instid0(SALU_CYCLE_1)
	s_xor_b32 s0, exec_lo, s9
; %bb.1912:                             ;   in Loop: Header=BB460_1375 Depth=1
	v_bfe_u32 v5, v4, 16, 1
	s_delay_alu instid0(VALU_DEP_1)
	v_add3_u32 v133, v4, v5, 0x7fff
                                        ; implicit-def: $vgpr4
; %bb.1913:                             ;   in Loop: Header=BB460_1375 Depth=1
	s_and_not1_saveexec_b32 s9, s0
; %bb.1914:                             ;   in Loop: Header=BB460_1375 Depth=1
	v_and_b32_e32 v5, 0xffff, v4
	v_or_b32_e32 v7, 0x10000, v4
	s_delay_alu instid0(VALU_DEP_2) | instskip(NEXT) | instid1(VALU_DEP_1)
	v_cmp_eq_u32_e64 s0, 0, v5
	v_cndmask_b32_e64 v133, v7, v4, s0
; %bb.1915:                             ;   in Loop: Header=BB460_1375 Depth=1
	s_or_b32 exec_lo, exec_lo, s9
	v_lshlrev_b32_e32 v4, 16, v6
                                        ; implicit-def: $vgpr134
	s_delay_alu instid0(VALU_DEP_1) | instskip(NEXT) | instid1(VALU_DEP_1)
	v_mul_f32_e32 v4, v86, v4
	v_and_b32_e32 v5, 0x7f800000, v4
	s_delay_alu instid0(VALU_DEP_1) | instskip(NEXT) | instid1(VALU_DEP_1)
	v_cmp_ne_u32_e64 s0, 0x7f800000, v5
	s_and_saveexec_b32 s9, s0
	s_delay_alu instid0(SALU_CYCLE_1)
	s_xor_b32 s0, exec_lo, s9
; %bb.1916:                             ;   in Loop: Header=BB460_1375 Depth=1
	v_bfe_u32 v5, v4, 16, 1
	s_delay_alu instid0(VALU_DEP_1)
	v_add3_u32 v134, v4, v5, 0x7fff
                                        ; implicit-def: $vgpr4
; %bb.1917:                             ;   in Loop: Header=BB460_1375 Depth=1
	s_and_not1_saveexec_b32 s9, s0
; %bb.1918:                             ;   in Loop: Header=BB460_1375 Depth=1
	v_and_b32_e32 v5, 0xffff, v4
	v_or_b32_e32 v6, 0x10000, v4
	s_delay_alu instid0(VALU_DEP_2) | instskip(NEXT) | instid1(VALU_DEP_1)
	v_cmp_eq_u32_e64 s0, 0, v5
	v_cndmask_b32_e64 v134, v6, v4, s0
; %bb.1919:                             ;   in Loop: Header=BB460_1375 Depth=1
	s_or_b32 exec_lo, exec_lo, s9
	v_lshlrev_b32_e32 v3, 16, v3
                                        ; implicit-def: $vgpr135
	s_delay_alu instid0(VALU_DEP_1) | instskip(NEXT) | instid1(VALU_DEP_1)
	v_mul_f32_e32 v3, v87, v3
	v_and_b32_e32 v4, 0x7f800000, v3
	s_delay_alu instid0(VALU_DEP_1) | instskip(NEXT) | instid1(VALU_DEP_1)
	v_cmp_ne_u32_e64 s0, 0x7f800000, v4
	s_and_saveexec_b32 s9, s0
	s_delay_alu instid0(SALU_CYCLE_1)
	s_xor_b32 s0, exec_lo, s9
; %bb.1920:                             ;   in Loop: Header=BB460_1375 Depth=1
	v_bfe_u32 v4, v3, 16, 1
	s_delay_alu instid0(VALU_DEP_1)
	v_add3_u32 v135, v3, v4, 0x7fff
                                        ; implicit-def: $vgpr3
; %bb.1921:                             ;   in Loop: Header=BB460_1375 Depth=1
	s_and_not1_saveexec_b32 s9, s0
; %bb.1922:                             ;   in Loop: Header=BB460_1375 Depth=1
	v_and_b32_e32 v4, 0xffff, v3
	v_or_b32_e32 v5, 0x10000, v3
	s_delay_alu instid0(VALU_DEP_2) | instskip(NEXT) | instid1(VALU_DEP_1)
	v_cmp_eq_u32_e64 s0, 0, v4
	v_cndmask_b32_e64 v135, v5, v3, s0
; %bb.1923:                             ;   in Loop: Header=BB460_1375 Depth=1
	s_or_b32 exec_lo, exec_lo, s9
	v_lshlrev_b32_e32 v2, 16, v2
                                        ; implicit-def: $vgpr144
	s_delay_alu instid0(VALU_DEP_1) | instskip(NEXT) | instid1(VALU_DEP_1)
	v_mul_f32_e32 v2, v96, v2
	v_and_b32_e32 v3, 0x7f800000, v2
	s_delay_alu instid0(VALU_DEP_1) | instskip(NEXT) | instid1(VALU_DEP_1)
	v_cmp_ne_u32_e64 s0, 0x7f800000, v3
	s_and_saveexec_b32 s9, s0
	s_delay_alu instid0(SALU_CYCLE_1)
	s_xor_b32 s0, exec_lo, s9
; %bb.1924:                             ;   in Loop: Header=BB460_1375 Depth=1
	v_bfe_u32 v3, v2, 16, 1
	s_delay_alu instid0(VALU_DEP_1)
	v_add3_u32 v144, v2, v3, 0x7fff
                                        ; implicit-def: $vgpr2
; %bb.1925:                             ;   in Loop: Header=BB460_1375 Depth=1
	s_and_not1_saveexec_b32 s9, s0
; %bb.1926:                             ;   in Loop: Header=BB460_1375 Depth=1
	v_and_b32_e32 v3, 0xffff, v2
	v_or_b32_e32 v4, 0x10000, v2
	s_delay_alu instid0(VALU_DEP_2) | instskip(NEXT) | instid1(VALU_DEP_1)
	v_cmp_eq_u32_e64 s0, 0, v3
	v_cndmask_b32_e64 v144, v4, v2, s0
; %bb.1927:                             ;   in Loop: Header=BB460_1375 Depth=1
	s_or_b32 exec_lo, exec_lo, s9
	flat_load_b64 v[2:3], v[0:1] offset:1024
	s_mov_b32 s9, exec_lo
	s_waitcnt vmcnt(0) lgkmcnt(0)
	v_dual_mov_b32 v4, 0 :: v_dual_and_b32 v5, 0xff, v2
	s_delay_alu instid0(VALU_DEP_1)
	v_cmpx_ne_u16_e32 0, v5
	s_cbranch_execz .LBB460_1935
; %bb.1928:                             ;   in Loop: Header=BB460_1375 Depth=1
	v_bfrev_b32_e32 v4, 1
	s_mov_b32 s12, exec_lo
	v_cmpx_ne_u16_e32 0x80, v5
	s_cbranch_execz .LBB460_1934
; %bb.1929:                             ;   in Loop: Header=BB460_1375 Depth=1
	v_and_b32_e32 v5, 0x7f, v2
	v_mov_b32_e32 v4, 0x7f800001
	s_mov_b32 s13, exec_lo
	s_delay_alu instid0(VALU_DEP_2)
	v_cmpx_ne_u32_e32 0x7f, v5
	s_cbranch_execz .LBB460_1933
; %bb.1930:                             ;   in Loop: Header=BB460_1375 Depth=1
	v_lshrrev_b32_e32 v4, 3, v5
	v_dual_mov_b32 v7, v3 :: v_dual_mov_b32 v6, v2
	s_mov_b32 s15, exec_lo
	v_cmpx_gt_u32_e32 8, v5
; %bb.1931:                             ;   in Loop: Header=BB460_1375 Depth=1
	v_and_b32_e32 v4, 7, v2
	s_delay_alu instid0(VALU_DEP_1) | instskip(NEXT) | instid1(VALU_DEP_1)
	v_clz_i32_u32_e32 v4, v4
	v_min_u32_e32 v4, 32, v4
	s_delay_alu instid0(VALU_DEP_1) | instskip(SKIP_1) | instid1(VALU_DEP_2)
	v_subrev_nc_u32_e32 v5, 28, v4
	v_sub_nc_u32_e32 v4, 29, v4
	v_lshlrev_b64 v[6:7], v5, v[2:3]
; %bb.1932:                             ;   in Loop: Header=BB460_1375 Depth=1
	s_or_b32 exec_lo, exec_lo, s15
	s_delay_alu instid0(VALU_DEP_1) | instskip(SKIP_2) | instid1(VALU_DEP_3)
	v_lshlrev_b32_e32 v5, 20, v6
	v_lshlrev_b32_e32 v6, 24, v2
	v_lshl_add_u32 v4, v4, 23, 0x3c000000
	v_and_b32_e32 v5, 0x700000, v5
	s_delay_alu instid0(VALU_DEP_3) | instskip(NEXT) | instid1(VALU_DEP_1)
	v_and_b32_e32 v6, 0x80000000, v6
	v_or3_b32 v4, v5, v6, v4
.LBB460_1933:                           ;   in Loop: Header=BB460_1375 Depth=1
	s_or_b32 exec_lo, exec_lo, s13
.LBB460_1934:                           ;   in Loop: Header=BB460_1375 Depth=1
	s_delay_alu instid0(SALU_CYCLE_1)
	s_or_b32 exec_lo, exec_lo, s12
.LBB460_1935:                           ;   in Loop: Header=BB460_1375 Depth=1
	s_delay_alu instid0(SALU_CYCLE_1) | instskip(NEXT) | instid1(VALU_DEP_1)
	s_or_b32 exec_lo, exec_lo, s9
	v_mul_f32_e32 v5, v26, v4
	s_delay_alu instid0(VALU_DEP_1) | instskip(NEXT) | instid1(VALU_DEP_1)
	v_and_b32_e32 v4, 0x7f800000, v5
	v_cmp_ne_u32_e64 s0, 0x7f800000, v4
                                        ; implicit-def: $vgpr4
	s_delay_alu instid0(VALU_DEP_1) | instskip(NEXT) | instid1(SALU_CYCLE_1)
	s_and_saveexec_b32 s9, s0
	s_xor_b32 s0, exec_lo, s9
; %bb.1936:                             ;   in Loop: Header=BB460_1375 Depth=1
	v_bfe_u32 v4, v5, 16, 1
	s_delay_alu instid0(VALU_DEP_1)
	v_add3_u32 v4, v5, v4, 0x7fff
                                        ; implicit-def: $vgpr5
; %bb.1937:                             ;   in Loop: Header=BB460_1375 Depth=1
	s_and_not1_saveexec_b32 s9, s0
; %bb.1938:                             ;   in Loop: Header=BB460_1375 Depth=1
	v_and_b32_e32 v4, 0xffff, v5
	v_or_b32_e32 v6, 0x10000, v5
	s_delay_alu instid0(VALU_DEP_2) | instskip(NEXT) | instid1(VALU_DEP_1)
	v_cmp_eq_u32_e64 s0, 0, v4
	v_cndmask_b32_e64 v4, v6, v5, s0
; %bb.1939:                             ;   in Loop: Header=BB460_1375 Depth=1
	s_or_b32 exec_lo, exec_lo, s9
	v_lshrrev_b16 v6, 8, v2
	v_mov_b32_e32 v5, 0
	s_mov_b32 s9, exec_lo
	s_delay_alu instid0(VALU_DEP_2)
	v_cmpx_ne_u16_e32 0, v6
	s_cbranch_execz .LBB460_1947
; %bb.1940:                             ;   in Loop: Header=BB460_1375 Depth=1
	v_bfrev_b32_e32 v5, 1
	s_mov_b32 s12, exec_lo
	v_cmpx_ne_u16_e32 0x80, v6
	s_cbranch_execz .LBB460_1946
; %bb.1941:                             ;   in Loop: Header=BB460_1375 Depth=1
	v_and_b32_e32 v7, 0xffff, v6
	v_mov_b32_e32 v5, 0x7f800001
	s_mov_b32 s13, exec_lo
	s_delay_alu instid0(VALU_DEP_2) | instskip(NEXT) | instid1(VALU_DEP_1)
	v_and_b32_e32 v6, 0x7f, v7
	v_cmpx_ne_u32_e32 0x7f, v6
	s_cbranch_execz .LBB460_1945
; %bb.1942:                             ;   in Loop: Header=BB460_1375 Depth=1
	v_and_b32_e32 v9, 7, v7
	v_lshrrev_b32_e32 v5, 3, v6
	v_cmp_gt_u32_e64 s0, 8, v6
	s_delay_alu instid0(VALU_DEP_3) | instskip(NEXT) | instid1(VALU_DEP_2)
	v_dual_mov_b32 v6, v9 :: v_dual_mov_b32 v7, v10
	s_and_saveexec_b32 s15, s0
; %bb.1943:                             ;   in Loop: Header=BB460_1375 Depth=1
	v_clz_i32_u32_e32 v5, v9
	s_delay_alu instid0(VALU_DEP_1) | instskip(NEXT) | instid1(VALU_DEP_1)
	v_min_u32_e32 v5, 32, v5
	v_subrev_nc_u32_e32 v6, 28, v5
	v_sub_nc_u32_e32 v5, 29, v5
	s_delay_alu instid0(VALU_DEP_2) | instskip(NEXT) | instid1(VALU_DEP_1)
	v_lshlrev_b64 v[6:7], v6, v[9:10]
	v_and_b32_e32 v6, 7, v6
; %bb.1944:                             ;   in Loop: Header=BB460_1375 Depth=1
	s_or_b32 exec_lo, exec_lo, s15
	v_lshlrev_b32_e32 v7, 16, v2
	s_delay_alu instid0(VALU_DEP_2) | instskip(SKIP_1) | instid1(VALU_DEP_3)
	v_lshlrev_b32_e32 v6, 20, v6
	v_lshl_add_u32 v5, v5, 23, 0x3c000000
	v_and_b32_e32 v7, 0x80000000, v7
	s_delay_alu instid0(VALU_DEP_1)
	v_or3_b32 v5, v6, v7, v5
.LBB460_1945:                           ;   in Loop: Header=BB460_1375 Depth=1
	s_or_b32 exec_lo, exec_lo, s13
.LBB460_1946:                           ;   in Loop: Header=BB460_1375 Depth=1
	s_delay_alu instid0(SALU_CYCLE_1)
	s_or_b32 exec_lo, exec_lo, s12
.LBB460_1947:                           ;   in Loop: Header=BB460_1375 Depth=1
	s_delay_alu instid0(SALU_CYCLE_1) | instskip(NEXT) | instid1(VALU_DEP_1)
	s_or_b32 exec_lo, exec_lo, s9
	v_mul_f32_e32 v6, v26, v5
	s_delay_alu instid0(VALU_DEP_1) | instskip(NEXT) | instid1(VALU_DEP_1)
	v_and_b32_e32 v5, 0x7f800000, v6
	v_cmp_ne_u32_e64 s0, 0x7f800000, v5
                                        ; implicit-def: $vgpr5
	s_delay_alu instid0(VALU_DEP_1) | instskip(NEXT) | instid1(SALU_CYCLE_1)
	s_and_saveexec_b32 s9, s0
	s_xor_b32 s0, exec_lo, s9
; %bb.1948:                             ;   in Loop: Header=BB460_1375 Depth=1
	v_bfe_u32 v5, v6, 16, 1
	s_delay_alu instid0(VALU_DEP_1)
	v_add3_u32 v5, v6, v5, 0x7fff
                                        ; implicit-def: $vgpr6
; %bb.1949:                             ;   in Loop: Header=BB460_1375 Depth=1
	s_and_not1_saveexec_b32 s9, s0
; %bb.1950:                             ;   in Loop: Header=BB460_1375 Depth=1
	v_and_b32_e32 v5, 0xffff, v6
	v_or_b32_e32 v7, 0x10000, v6
	s_delay_alu instid0(VALU_DEP_2) | instskip(NEXT) | instid1(VALU_DEP_1)
	v_cmp_eq_u32_e64 s0, 0, v5
	v_cndmask_b32_e64 v5, v7, v6, s0
; %bb.1951:                             ;   in Loop: Header=BB460_1375 Depth=1
	s_or_b32 exec_lo, exec_lo, s9
	v_lshrrev_b32_e32 v23, 16, v2
	s_mov_b32 s9, exec_lo
	s_delay_alu instid0(VALU_DEP_1) | instskip(NEXT) | instid1(VALU_DEP_1)
	v_dual_mov_b32 v6, 0 :: v_dual_and_b32 v7, 0xff, v23
	v_cmpx_ne_u16_e32 0, v7
	s_cbranch_execz .LBB460_1959
; %bb.1952:                             ;   in Loop: Header=BB460_1375 Depth=1
	v_bfrev_b32_e32 v6, 1
	s_mov_b32 s12, exec_lo
	v_cmpx_ne_u16_e32 0x80, v7
	s_cbranch_execz .LBB460_1958
; %bb.1953:                             ;   in Loop: Header=BB460_1375 Depth=1
	v_bfe_u32 v7, v2, 16, 7
	v_mov_b32_e32 v6, 0x7f800001
	s_mov_b32 s13, exec_lo
	s_delay_alu instid0(VALU_DEP_2)
	v_cmpx_ne_u32_e32 0x7f, v7
	s_cbranch_execz .LBB460_1957
; %bb.1954:                             ;   in Loop: Header=BB460_1375 Depth=1
	v_and_b32_e32 v9, 7, v23
	v_lshrrev_b32_e32 v34, 3, v7
	v_cmp_gt_u32_e64 s0, 8, v7
	s_delay_alu instid0(VALU_DEP_3) | instskip(NEXT) | instid1(VALU_DEP_2)
	v_dual_mov_b32 v6, v9 :: v_dual_mov_b32 v7, v10
	s_and_saveexec_b32 s15, s0
; %bb.1955:                             ;   in Loop: Header=BB460_1375 Depth=1
	v_clz_i32_u32_e32 v6, v9
	s_delay_alu instid0(VALU_DEP_1) | instskip(NEXT) | instid1(VALU_DEP_1)
	v_min_u32_e32 v34, 32, v6
	v_subrev_nc_u32_e32 v6, 28, v34
	v_sub_nc_u32_e32 v34, 29, v34
	s_delay_alu instid0(VALU_DEP_2) | instskip(NEXT) | instid1(VALU_DEP_1)
	v_lshlrev_b64 v[6:7], v6, v[9:10]
	v_and_b32_e32 v6, 7, v6
; %bb.1956:                             ;   in Loop: Header=BB460_1375 Depth=1
	s_or_b32 exec_lo, exec_lo, s15
	v_lshlrev_b32_e32 v7, 24, v23
	s_delay_alu instid0(VALU_DEP_2) | instskip(SKIP_1) | instid1(VALU_DEP_3)
	v_lshlrev_b32_e32 v6, 20, v6
	v_lshl_add_u32 v9, v34, 23, 0x3c000000
	v_and_b32_e32 v7, 0x80000000, v7
	s_delay_alu instid0(VALU_DEP_1)
	v_or3_b32 v6, v6, v7, v9
.LBB460_1957:                           ;   in Loop: Header=BB460_1375 Depth=1
	s_or_b32 exec_lo, exec_lo, s13
.LBB460_1958:                           ;   in Loop: Header=BB460_1375 Depth=1
	s_delay_alu instid0(SALU_CYCLE_1)
	s_or_b32 exec_lo, exec_lo, s12
.LBB460_1959:                           ;   in Loop: Header=BB460_1375 Depth=1
	s_delay_alu instid0(SALU_CYCLE_1) | instskip(NEXT) | instid1(VALU_DEP_1)
	s_or_b32 exec_lo, exec_lo, s9
	v_mul_f32_e32 v6, v26, v6
                                        ; implicit-def: $vgpr23
	s_delay_alu instid0(VALU_DEP_1) | instskip(NEXT) | instid1(VALU_DEP_1)
	v_and_b32_e32 v7, 0x7f800000, v6
	v_cmp_ne_u32_e64 s0, 0x7f800000, v7
	s_delay_alu instid0(VALU_DEP_1) | instskip(NEXT) | instid1(SALU_CYCLE_1)
	s_and_saveexec_b32 s9, s0
	s_xor_b32 s0, exec_lo, s9
; %bb.1960:                             ;   in Loop: Header=BB460_1375 Depth=1
	v_bfe_u32 v7, v6, 16, 1
	s_delay_alu instid0(VALU_DEP_1)
	v_add3_u32 v23, v6, v7, 0x7fff
                                        ; implicit-def: $vgpr6
; %bb.1961:                             ;   in Loop: Header=BB460_1375 Depth=1
	s_and_not1_saveexec_b32 s9, s0
; %bb.1962:                             ;   in Loop: Header=BB460_1375 Depth=1
	v_and_b32_e32 v7, 0xffff, v6
	v_or_b32_e32 v9, 0x10000, v6
	s_delay_alu instid0(VALU_DEP_2) | instskip(NEXT) | instid1(VALU_DEP_1)
	v_cmp_eq_u32_e64 s0, 0, v7
	v_cndmask_b32_e64 v23, v9, v6, s0
; %bb.1963:                             ;   in Loop: Header=BB460_1375 Depth=1
	s_or_b32 exec_lo, exec_lo, s9
	v_mov_b32_e32 v6, 0
	s_mov_b32 s9, exec_lo
	v_cmpx_lt_u32_e32 0xffffff, v2
	s_cbranch_execz .LBB460_1971
; %bb.1964:                             ;   in Loop: Header=BB460_1375 Depth=1
	v_lshrrev_b32_e32 v34, 24, v2
	v_bfrev_b32_e32 v6, 1
	s_mov_b32 s12, exec_lo
	s_delay_alu instid0(VALU_DEP_2)
	v_cmpx_ne_u32_e32 0x80, v34
	s_cbranch_execz .LBB460_1970
; %bb.1965:                             ;   in Loop: Header=BB460_1375 Depth=1
	v_bfe_u32 v7, v2, 24, 7
	v_mov_b32_e32 v6, 0x7f800001
	s_mov_b32 s13, exec_lo
	s_delay_alu instid0(VALU_DEP_2)
	v_cmpx_ne_u32_e32 0x7f, v7
	s_cbranch_execz .LBB460_1969
; %bb.1966:                             ;   in Loop: Header=BB460_1375 Depth=1
	v_and_b32_e32 v9, 7, v34
	v_lshrrev_b32_e32 v35, 3, v7
	v_cmp_gt_u32_e64 s0, 8, v7
	s_delay_alu instid0(VALU_DEP_3) | instskip(NEXT) | instid1(VALU_DEP_2)
	v_dual_mov_b32 v6, v9 :: v_dual_mov_b32 v7, v10
	s_and_saveexec_b32 s15, s0
; %bb.1967:                             ;   in Loop: Header=BB460_1375 Depth=1
	v_clz_i32_u32_e32 v6, v9
	s_delay_alu instid0(VALU_DEP_1) | instskip(NEXT) | instid1(VALU_DEP_1)
	v_min_u32_e32 v35, 32, v6
	v_subrev_nc_u32_e32 v6, 28, v35
	v_sub_nc_u32_e32 v35, 29, v35
	s_delay_alu instid0(VALU_DEP_2) | instskip(NEXT) | instid1(VALU_DEP_1)
	v_lshlrev_b64 v[6:7], v6, v[9:10]
	v_and_b32_e32 v6, 7, v6
; %bb.1968:                             ;   in Loop: Header=BB460_1375 Depth=1
	s_or_b32 exec_lo, exec_lo, s15
	v_lshlrev_b32_e32 v7, 24, v34
	s_delay_alu instid0(VALU_DEP_2) | instskip(SKIP_1) | instid1(VALU_DEP_3)
	v_lshlrev_b32_e32 v6, 20, v6
	v_lshl_add_u32 v9, v35, 23, 0x3c000000
	v_and_b32_e32 v7, 0x80000000, v7
	s_delay_alu instid0(VALU_DEP_1)
	v_or3_b32 v6, v6, v7, v9
.LBB460_1969:                           ;   in Loop: Header=BB460_1375 Depth=1
	s_or_b32 exec_lo, exec_lo, s13
.LBB460_1970:                           ;   in Loop: Header=BB460_1375 Depth=1
	s_delay_alu instid0(SALU_CYCLE_1)
	s_or_b32 exec_lo, exec_lo, s12
.LBB460_1971:                           ;   in Loop: Header=BB460_1375 Depth=1
	s_delay_alu instid0(SALU_CYCLE_1) | instskip(NEXT) | instid1(VALU_DEP_1)
	s_or_b32 exec_lo, exec_lo, s9
	v_mul_f32_e32 v6, v26, v6
                                        ; implicit-def: $vgpr34
	s_delay_alu instid0(VALU_DEP_1) | instskip(NEXT) | instid1(VALU_DEP_1)
	v_and_b32_e32 v7, 0x7f800000, v6
	v_cmp_ne_u32_e64 s0, 0x7f800000, v7
	s_delay_alu instid0(VALU_DEP_1) | instskip(NEXT) | instid1(SALU_CYCLE_1)
	s_and_saveexec_b32 s9, s0
	s_xor_b32 s0, exec_lo, s9
; %bb.1972:                             ;   in Loop: Header=BB460_1375 Depth=1
	v_bfe_u32 v7, v6, 16, 1
	s_delay_alu instid0(VALU_DEP_1)
	v_add3_u32 v34, v6, v7, 0x7fff
                                        ; implicit-def: $vgpr6
; %bb.1973:                             ;   in Loop: Header=BB460_1375 Depth=1
	s_and_not1_saveexec_b32 s9, s0
; %bb.1974:                             ;   in Loop: Header=BB460_1375 Depth=1
	v_and_b32_e32 v7, 0xffff, v6
	v_or_b32_e32 v9, 0x10000, v6
	s_delay_alu instid0(VALU_DEP_2) | instskip(NEXT) | instid1(VALU_DEP_1)
	v_cmp_eq_u32_e64 s0, 0, v7
	v_cndmask_b32_e64 v34, v9, v6, s0
; %bb.1975:                             ;   in Loop: Header=BB460_1375 Depth=1
	s_or_b32 exec_lo, exec_lo, s9
	v_dual_mov_b32 v6, 0 :: v_dual_and_b32 v7, 0xff, v3
	v_mov_b32_e32 v9, v3
	s_mov_b32 s9, exec_lo
	s_delay_alu instid0(VALU_DEP_2)
	v_cmpx_ne_u16_e32 0, v7
	s_cbranch_execz .LBB460_1983
; %bb.1976:                             ;   in Loop: Header=BB460_1375 Depth=1
	v_bfrev_b32_e32 v6, 1
	s_mov_b32 s12, exec_lo
	v_cmpx_ne_u16_e32 0x80, v7
	s_cbranch_execz .LBB460_1982
; %bb.1977:                             ;   in Loop: Header=BB460_1375 Depth=1
	v_and_b32_e32 v7, 0x7f, v3
	v_mov_b32_e32 v6, 0x7f800001
	s_mov_b32 s13, exec_lo
	s_delay_alu instid0(VALU_DEP_2)
	v_cmpx_ne_u32_e32 0x7f, v7
	s_cbranch_execz .LBB460_1981
; %bb.1978:                             ;   in Loop: Header=BB460_1375 Depth=1
	v_lshrrev_b32_e32 v35, 3, v7
	v_cmp_gt_u32_e64 s0, 8, v7
	v_dual_mov_b32 v6, v9 :: v_dual_mov_b32 v7, v10
	s_delay_alu instid0(VALU_DEP_2)
	s_and_saveexec_b32 s15, s0
; %bb.1979:                             ;   in Loop: Header=BB460_1375 Depth=1
	v_and_b32_e32 v6, 7, v3
	s_delay_alu instid0(VALU_DEP_1) | instskip(NEXT) | instid1(VALU_DEP_1)
	v_clz_i32_u32_e32 v6, v6
	v_min_u32_e32 v35, 32, v6
	s_delay_alu instid0(VALU_DEP_1) | instskip(SKIP_1) | instid1(VALU_DEP_2)
	v_subrev_nc_u32_e32 v6, 28, v35
	v_sub_nc_u32_e32 v35, 29, v35
	v_lshlrev_b64 v[6:7], v6, v[9:10]
; %bb.1980:                             ;   in Loop: Header=BB460_1375 Depth=1
	s_or_b32 exec_lo, exec_lo, s15
	s_delay_alu instid0(VALU_DEP_1) | instskip(SKIP_2) | instid1(VALU_DEP_3)
	v_lshlrev_b32_e32 v6, 20, v6
	v_lshlrev_b32_e32 v7, 24, v9
	v_lshl_add_u32 v35, v35, 23, 0x3c000000
	v_and_b32_e32 v6, 0x700000, v6
	s_delay_alu instid0(VALU_DEP_3) | instskip(NEXT) | instid1(VALU_DEP_1)
	v_and_b32_e32 v7, 0x80000000, v7
	v_or3_b32 v6, v6, v7, v35
.LBB460_1981:                           ;   in Loop: Header=BB460_1375 Depth=1
	s_or_b32 exec_lo, exec_lo, s13
.LBB460_1982:                           ;   in Loop: Header=BB460_1375 Depth=1
	s_delay_alu instid0(SALU_CYCLE_1)
	s_or_b32 exec_lo, exec_lo, s12
.LBB460_1983:                           ;   in Loop: Header=BB460_1375 Depth=1
	s_delay_alu instid0(SALU_CYCLE_1) | instskip(NEXT) | instid1(VALU_DEP_1)
	s_or_b32 exec_lo, exec_lo, s9
	v_mul_f32_e32 v6, v26, v6
                                        ; implicit-def: $vgpr35
	s_delay_alu instid0(VALU_DEP_1) | instskip(NEXT) | instid1(VALU_DEP_1)
	v_and_b32_e32 v7, 0x7f800000, v6
	v_cmp_ne_u32_e64 s0, 0x7f800000, v7
	s_delay_alu instid0(VALU_DEP_1) | instskip(NEXT) | instid1(SALU_CYCLE_1)
	s_and_saveexec_b32 s9, s0
	s_xor_b32 s0, exec_lo, s9
; %bb.1984:                             ;   in Loop: Header=BB460_1375 Depth=1
	v_bfe_u32 v7, v6, 16, 1
	s_delay_alu instid0(VALU_DEP_1)
	v_add3_u32 v35, v6, v7, 0x7fff
                                        ; implicit-def: $vgpr6
; %bb.1985:                             ;   in Loop: Header=BB460_1375 Depth=1
	s_and_not1_saveexec_b32 s9, s0
; %bb.1986:                             ;   in Loop: Header=BB460_1375 Depth=1
	v_and_b32_e32 v7, 0xffff, v6
	v_or_b32_e32 v35, 0x10000, v6
	s_delay_alu instid0(VALU_DEP_2) | instskip(NEXT) | instid1(VALU_DEP_1)
	v_cmp_eq_u32_e64 s0, 0, v7
	v_cndmask_b32_e64 v35, v35, v6, s0
; %bb.1987:                             ;   in Loop: Header=BB460_1375 Depth=1
	s_or_b32 exec_lo, exec_lo, s9
	v_lshrrev_b16 v7, 8, v9
	v_mov_b32_e32 v6, 0
	s_mov_b32 s9, exec_lo
	s_delay_alu instid0(VALU_DEP_2)
	v_cmpx_ne_u16_e32 0, v7
	s_cbranch_execz .LBB460_1995
; %bb.1988:                             ;   in Loop: Header=BB460_1375 Depth=1
	v_bfrev_b32_e32 v6, 1
	s_mov_b32 s12, exec_lo
	v_cmpx_ne_u16_e32 0x80, v7
	s_cbranch_execz .LBB460_1994
; %bb.1989:                             ;   in Loop: Header=BB460_1375 Depth=1
	v_and_b32_e32 v7, 0xffff, v7
	v_mov_b32_e32 v6, 0x7f800001
	s_mov_b32 s13, exec_lo
	s_delay_alu instid0(VALU_DEP_2) | instskip(NEXT) | instid1(VALU_DEP_1)
	v_and_b32_e32 v146, 0x7f, v7
	v_cmpx_ne_u32_e32 0x7f, v146
	s_cbranch_execz .LBB460_1993
; %bb.1990:                             ;   in Loop: Header=BB460_1375 Depth=1
	v_dual_mov_b32 v7, v10 :: v_dual_and_b32 v6, 7, v7
	v_lshrrev_b32_e32 v145, 3, v146
	s_mov_b32 s15, exec_lo
	v_cmpx_gt_u32_e32 8, v146
; %bb.1991:                             ;   in Loop: Header=BB460_1375 Depth=1
	s_delay_alu instid0(VALU_DEP_3) | instskip(NEXT) | instid1(VALU_DEP_1)
	v_clz_i32_u32_e32 v145, v6
	v_min_u32_e32 v145, 32, v145
	s_delay_alu instid0(VALU_DEP_1) | instskip(SKIP_1) | instid1(VALU_DEP_2)
	v_subrev_nc_u32_e32 v146, 28, v145
	v_sub_nc_u32_e32 v145, 29, v145
	v_lshlrev_b64 v[6:7], v146, v[6:7]
	s_delay_alu instid0(VALU_DEP_1)
	v_and_b32_e32 v6, 7, v6
; %bb.1992:                             ;   in Loop: Header=BB460_1375 Depth=1
	s_or_b32 exec_lo, exec_lo, s15
	v_lshlrev_b32_e32 v7, 16, v9
	s_delay_alu instid0(VALU_DEP_2) | instskip(SKIP_1) | instid1(VALU_DEP_3)
	v_lshlrev_b32_e32 v6, 20, v6
	v_lshl_add_u32 v9, v145, 23, 0x3c000000
	v_and_b32_e32 v7, 0x80000000, v7
	s_delay_alu instid0(VALU_DEP_1)
	v_or3_b32 v6, v6, v7, v9
.LBB460_1993:                           ;   in Loop: Header=BB460_1375 Depth=1
	s_or_b32 exec_lo, exec_lo, s13
.LBB460_1994:                           ;   in Loop: Header=BB460_1375 Depth=1
	s_delay_alu instid0(SALU_CYCLE_1)
	s_or_b32 exec_lo, exec_lo, s12
.LBB460_1995:                           ;   in Loop: Header=BB460_1375 Depth=1
	s_delay_alu instid0(SALU_CYCLE_1) | instskip(NEXT) | instid1(VALU_DEP_1)
	s_or_b32 exec_lo, exec_lo, s9
	v_mul_f32_e32 v6, v26, v6
                                        ; implicit-def: $vgpr145
	s_delay_alu instid0(VALU_DEP_1) | instskip(NEXT) | instid1(VALU_DEP_1)
	v_and_b32_e32 v7, 0x7f800000, v6
	v_cmp_ne_u32_e64 s0, 0x7f800000, v7
	s_delay_alu instid0(VALU_DEP_1) | instskip(NEXT) | instid1(SALU_CYCLE_1)
	s_and_saveexec_b32 s9, s0
	s_xor_b32 s0, exec_lo, s9
; %bb.1996:                             ;   in Loop: Header=BB460_1375 Depth=1
	v_bfe_u32 v7, v6, 16, 1
	s_delay_alu instid0(VALU_DEP_1)
	v_add3_u32 v145, v6, v7, 0x7fff
                                        ; implicit-def: $vgpr6
; %bb.1997:                             ;   in Loop: Header=BB460_1375 Depth=1
	s_and_not1_saveexec_b32 s9, s0
; %bb.1998:                             ;   in Loop: Header=BB460_1375 Depth=1
	v_and_b32_e32 v7, 0xffff, v6
	v_or_b32_e32 v9, 0x10000, v6
	s_delay_alu instid0(VALU_DEP_2) | instskip(NEXT) | instid1(VALU_DEP_1)
	v_cmp_eq_u32_e64 s0, 0, v7
	v_cndmask_b32_e64 v145, v9, v6, s0
; %bb.1999:                             ;   in Loop: Header=BB460_1375 Depth=1
	s_or_b32 exec_lo, exec_lo, s9
	v_lshrrev_b32_e32 v146, 16, v3
	s_mov_b32 s9, exec_lo
	s_delay_alu instid0(VALU_DEP_1) | instskip(NEXT) | instid1(VALU_DEP_1)
	v_dual_mov_b32 v6, 0 :: v_dual_and_b32 v7, 0xff, v146
	v_cmpx_ne_u16_e32 0, v7
	s_cbranch_execz .LBB460_2007
; %bb.2000:                             ;   in Loop: Header=BB460_1375 Depth=1
	v_bfrev_b32_e32 v6, 1
	s_mov_b32 s12, exec_lo
	v_cmpx_ne_u16_e32 0x80, v7
	s_cbranch_execz .LBB460_2006
; %bb.2001:                             ;   in Loop: Header=BB460_1375 Depth=1
	v_bfe_u32 v7, v3, 16, 7
	v_mov_b32_e32 v6, 0x7f800001
	s_mov_b32 s13, exec_lo
	s_delay_alu instid0(VALU_DEP_2)
	v_cmpx_ne_u32_e32 0x7f, v7
	s_cbranch_execz .LBB460_2005
; %bb.2002:                             ;   in Loop: Header=BB460_1375 Depth=1
	v_and_b32_e32 v9, 7, v146
	v_lshrrev_b32_e32 v147, 3, v7
	v_cmp_gt_u32_e64 s0, 8, v7
	s_delay_alu instid0(VALU_DEP_3) | instskip(NEXT) | instid1(VALU_DEP_2)
	v_dual_mov_b32 v6, v9 :: v_dual_mov_b32 v7, v10
	s_and_saveexec_b32 s15, s0
; %bb.2003:                             ;   in Loop: Header=BB460_1375 Depth=1
	v_clz_i32_u32_e32 v6, v9
	s_delay_alu instid0(VALU_DEP_1) | instskip(NEXT) | instid1(VALU_DEP_1)
	v_min_u32_e32 v147, 32, v6
	v_subrev_nc_u32_e32 v6, 28, v147
	v_sub_nc_u32_e32 v147, 29, v147
	s_delay_alu instid0(VALU_DEP_2) | instskip(NEXT) | instid1(VALU_DEP_1)
	v_lshlrev_b64 v[6:7], v6, v[9:10]
	v_and_b32_e32 v6, 7, v6
; %bb.2004:                             ;   in Loop: Header=BB460_1375 Depth=1
	s_or_b32 exec_lo, exec_lo, s15
	v_lshlrev_b32_e32 v7, 24, v146
	s_delay_alu instid0(VALU_DEP_2) | instskip(SKIP_1) | instid1(VALU_DEP_3)
	v_lshlrev_b32_e32 v6, 20, v6
	v_lshl_add_u32 v9, v147, 23, 0x3c000000
	v_and_b32_e32 v7, 0x80000000, v7
	s_delay_alu instid0(VALU_DEP_1)
	v_or3_b32 v6, v6, v7, v9
.LBB460_2005:                           ;   in Loop: Header=BB460_1375 Depth=1
	s_or_b32 exec_lo, exec_lo, s13
.LBB460_2006:                           ;   in Loop: Header=BB460_1375 Depth=1
	s_delay_alu instid0(SALU_CYCLE_1)
	s_or_b32 exec_lo, exec_lo, s12
.LBB460_2007:                           ;   in Loop: Header=BB460_1375 Depth=1
	s_delay_alu instid0(SALU_CYCLE_1) | instskip(NEXT) | instid1(VALU_DEP_1)
	s_or_b32 exec_lo, exec_lo, s9
	v_mul_f32_e32 v6, v26, v6
                                        ; implicit-def: $vgpr146
	s_delay_alu instid0(VALU_DEP_1) | instskip(NEXT) | instid1(VALU_DEP_1)
	v_and_b32_e32 v7, 0x7f800000, v6
	v_cmp_ne_u32_e64 s0, 0x7f800000, v7
	s_delay_alu instid0(VALU_DEP_1) | instskip(NEXT) | instid1(SALU_CYCLE_1)
	s_and_saveexec_b32 s9, s0
	s_xor_b32 s0, exec_lo, s9
; %bb.2008:                             ;   in Loop: Header=BB460_1375 Depth=1
	v_bfe_u32 v7, v6, 16, 1
	s_delay_alu instid0(VALU_DEP_1)
	v_add3_u32 v146, v6, v7, 0x7fff
                                        ; implicit-def: $vgpr6
; %bb.2009:                             ;   in Loop: Header=BB460_1375 Depth=1
	s_and_not1_saveexec_b32 s9, s0
; %bb.2010:                             ;   in Loop: Header=BB460_1375 Depth=1
	v_and_b32_e32 v7, 0xffff, v6
	v_or_b32_e32 v9, 0x10000, v6
	s_delay_alu instid0(VALU_DEP_2) | instskip(NEXT) | instid1(VALU_DEP_1)
	v_cmp_eq_u32_e64 s0, 0, v7
	v_cndmask_b32_e64 v146, v9, v6, s0
; %bb.2011:                             ;   in Loop: Header=BB460_1375 Depth=1
	s_or_b32 exec_lo, exec_lo, s9
	v_cmp_lt_u64_e64 s0, s[2:3], v[2:3]
	v_mov_b32_e32 v2, 0
	s_delay_alu instid0(VALU_DEP_2)
	s_and_saveexec_b32 s9, s0
	s_cbranch_execz .LBB460_2019
; %bb.2012:                             ;   in Loop: Header=BB460_1375 Depth=1
	v_lshrrev_b32_e32 v6, 24, v3
	v_bfrev_b32_e32 v2, 1
	s_mov_b32 s12, exec_lo
	s_delay_alu instid0(VALU_DEP_2)
	v_cmpx_ne_u32_e32 0x80, v6
	s_cbranch_execz .LBB460_2018
; %bb.2013:                             ;   in Loop: Header=BB460_1375 Depth=1
	v_bfe_u32 v3, v3, 24, 7
	v_mov_b32_e32 v2, 0x7f800001
	s_mov_b32 s13, exec_lo
	s_delay_alu instid0(VALU_DEP_2)
	v_cmpx_ne_u32_e32 0x7f, v3
	s_cbranch_execz .LBB460_2017
; %bb.2014:                             ;   in Loop: Header=BB460_1375 Depth=1
	v_and_b32_e32 v9, 7, v6
	v_lshrrev_b32_e32 v7, 3, v3
	v_cmp_gt_u32_e64 s0, 8, v3
	s_delay_alu instid0(VALU_DEP_3) | instskip(NEXT) | instid1(VALU_DEP_2)
	v_dual_mov_b32 v2, v9 :: v_dual_mov_b32 v3, v10
	s_and_saveexec_b32 s15, s0
; %bb.2015:                             ;   in Loop: Header=BB460_1375 Depth=1
	v_clz_i32_u32_e32 v2, v9
	s_delay_alu instid0(VALU_DEP_1) | instskip(NEXT) | instid1(VALU_DEP_1)
	v_min_u32_e32 v7, 32, v2
	v_subrev_nc_u32_e32 v2, 28, v7
	v_sub_nc_u32_e32 v7, 29, v7
	s_delay_alu instid0(VALU_DEP_2) | instskip(NEXT) | instid1(VALU_DEP_1)
	v_lshlrev_b64 v[2:3], v2, v[9:10]
	v_and_b32_e32 v2, 7, v2
; %bb.2016:                             ;   in Loop: Header=BB460_1375 Depth=1
	s_or_b32 exec_lo, exec_lo, s15
	v_lshlrev_b32_e32 v3, 24, v6
	s_delay_alu instid0(VALU_DEP_2) | instskip(SKIP_1) | instid1(VALU_DEP_3)
	v_lshlrev_b32_e32 v2, 20, v2
	v_lshl_add_u32 v6, v7, 23, 0x3c000000
	v_and_b32_e32 v3, 0x80000000, v3
	s_delay_alu instid0(VALU_DEP_1)
	v_or3_b32 v2, v2, v3, v6
.LBB460_2017:                           ;   in Loop: Header=BB460_1375 Depth=1
	s_or_b32 exec_lo, exec_lo, s13
.LBB460_2018:                           ;   in Loop: Header=BB460_1375 Depth=1
	s_delay_alu instid0(SALU_CYCLE_1)
	s_or_b32 exec_lo, exec_lo, s12
.LBB460_2019:                           ;   in Loop: Header=BB460_1375 Depth=1
	s_delay_alu instid0(SALU_CYCLE_1) | instskip(NEXT) | instid1(VALU_DEP_1)
	s_or_b32 exec_lo, exec_lo, s9
	v_mul_f32_e32 v3, v26, v2
	s_delay_alu instid0(VALU_DEP_1) | instskip(NEXT) | instid1(VALU_DEP_1)
	v_and_b32_e32 v2, 0x7f800000, v3
	v_cmp_ne_u32_e64 s0, 0x7f800000, v2
                                        ; implicit-def: $vgpr2
	s_delay_alu instid0(VALU_DEP_1) | instskip(NEXT) | instid1(SALU_CYCLE_1)
	s_and_saveexec_b32 s9, s0
	s_xor_b32 s0, exec_lo, s9
; %bb.2020:                             ;   in Loop: Header=BB460_1375 Depth=1
	v_bfe_u32 v2, v3, 16, 1
	s_delay_alu instid0(VALU_DEP_1)
	v_add3_u32 v2, v3, v2, 0x7fff
                                        ; implicit-def: $vgpr3
; %bb.2021:                             ;   in Loop: Header=BB460_1375 Depth=1
	s_and_not1_saveexec_b32 s9, s0
; %bb.2022:                             ;   in Loop: Header=BB460_1375 Depth=1
	v_and_b32_e32 v2, 0xffff, v3
	v_or_b32_e32 v6, 0x10000, v3
	s_delay_alu instid0(VALU_DEP_2) | instskip(NEXT) | instid1(VALU_DEP_1)
	v_cmp_eq_u32_e64 s0, 0, v2
	v_cndmask_b32_e64 v2, v6, v3, s0
; %bb.2023:                             ;   in Loop: Header=BB460_1375 Depth=1
	s_or_b32 exec_lo, exec_lo, s9
	v_lshrrev_b32_e32 v6, 16, v145
	v_lshrrev_b32_e32 v7, 16, v35
	;; [unrolled: 1-line block ×8, first 2 shown]
	s_and_saveexec_b32 s9, vcc_lo
	s_cbranch_execz .LBB460_2025
; %bb.2024:                             ;   in Loop: Header=BB460_1375 Depth=1
	v_cmp_lt_i32_e64 s0, v66, v36
	s_delay_alu instid0(VALU_DEP_1) | instskip(SKIP_1) | instid1(VALU_DEP_1)
	v_cndmask_b32_e64 v4, 0, v4, s0
	v_cmp_lt_i32_e64 s0, v80, v36
	v_cndmask_b32_e64 v5, 0, v5, s0
	v_cmp_lt_i32_e64 s0, v71, v36
	s_delay_alu instid0(VALU_DEP_1) | instskip(SKIP_1) | instid1(VALU_DEP_1)
	v_cndmask_b32_e64 v23, 0, v23, s0
	v_cmp_lt_i32_e64 s0, v70, v36
	v_cndmask_b32_e64 v9, 0, v9, s0
	;; [unrolled: 5-line block ×4, first 2 shown]
.LBB460_2025:                           ;   in Loop: Header=BB460_1375 Depth=1
	s_or_b32 exec_lo, exec_lo, s9
	v_lshlrev_b32_e32 v4, 16, v4
                                        ; implicit-def: $vgpr145
	s_delay_alu instid0(VALU_DEP_1) | instskip(NEXT) | instid1(VALU_DEP_1)
	v_mul_f32_e32 v4, v81, v4
	v_and_b32_e32 v34, 0x7f800000, v4
	s_delay_alu instid0(VALU_DEP_1) | instskip(NEXT) | instid1(VALU_DEP_1)
	v_cmp_ne_u32_e64 s0, 0x7f800000, v34
	s_and_saveexec_b32 s9, s0
	s_delay_alu instid0(SALU_CYCLE_1)
	s_xor_b32 s0, exec_lo, s9
; %bb.2026:                             ;   in Loop: Header=BB460_1375 Depth=1
	v_bfe_u32 v34, v4, 16, 1
	s_delay_alu instid0(VALU_DEP_1)
	v_add3_u32 v145, v4, v34, 0x7fff
                                        ; implicit-def: $vgpr4
; %bb.2027:                             ;   in Loop: Header=BB460_1375 Depth=1
	s_and_not1_saveexec_b32 s9, s0
; %bb.2028:                             ;   in Loop: Header=BB460_1375 Depth=1
	v_and_b32_e32 v34, 0xffff, v4
	v_or_b32_e32 v35, 0x10000, v4
	s_delay_alu instid0(VALU_DEP_2) | instskip(NEXT) | instid1(VALU_DEP_1)
	v_cmp_eq_u32_e64 s0, 0, v34
	v_cndmask_b32_e64 v145, v35, v4, s0
; %bb.2029:                             ;   in Loop: Header=BB460_1375 Depth=1
	s_or_b32 exec_lo, exec_lo, s9
	v_lshlrev_b32_e32 v4, 16, v5
                                        ; implicit-def: $vgpr146
	s_delay_alu instid0(VALU_DEP_1) | instskip(NEXT) | instid1(VALU_DEP_1)
	v_mul_f32_e32 v4, v82, v4
	v_and_b32_e32 v5, 0x7f800000, v4
	s_delay_alu instid0(VALU_DEP_1) | instskip(NEXT) | instid1(VALU_DEP_1)
	v_cmp_ne_u32_e64 s0, 0x7f800000, v5
	s_and_saveexec_b32 s9, s0
	s_delay_alu instid0(SALU_CYCLE_1)
	s_xor_b32 s0, exec_lo, s9
; %bb.2030:                             ;   in Loop: Header=BB460_1375 Depth=1
	v_bfe_u32 v5, v4, 16, 1
	s_delay_alu instid0(VALU_DEP_1)
	v_add3_u32 v146, v4, v5, 0x7fff
                                        ; implicit-def: $vgpr4
; %bb.2031:                             ;   in Loop: Header=BB460_1375 Depth=1
	s_and_not1_saveexec_b32 s9, s0
; %bb.2032:                             ;   in Loop: Header=BB460_1375 Depth=1
	v_and_b32_e32 v5, 0xffff, v4
	v_or_b32_e32 v34, 0x10000, v4
	s_delay_alu instid0(VALU_DEP_2) | instskip(NEXT) | instid1(VALU_DEP_1)
	v_cmp_eq_u32_e64 s0, 0, v5
	v_cndmask_b32_e64 v146, v34, v4, s0
; %bb.2033:                             ;   in Loop: Header=BB460_1375 Depth=1
	s_or_b32 exec_lo, exec_lo, s9
	v_lshlrev_b32_e32 v4, 16, v23
                                        ; implicit-def: $vgpr147
	s_delay_alu instid0(VALU_DEP_1) | instskip(NEXT) | instid1(VALU_DEP_1)
	v_mul_f32_e32 v4, v83, v4
	v_and_b32_e32 v5, 0x7f800000, v4
	s_delay_alu instid0(VALU_DEP_1) | instskip(NEXT) | instid1(VALU_DEP_1)
	v_cmp_ne_u32_e64 s0, 0x7f800000, v5
	s_and_saveexec_b32 s9, s0
	s_delay_alu instid0(SALU_CYCLE_1)
	s_xor_b32 s0, exec_lo, s9
; %bb.2034:                             ;   in Loop: Header=BB460_1375 Depth=1
	v_bfe_u32 v5, v4, 16, 1
	s_delay_alu instid0(VALU_DEP_1)
	v_add3_u32 v147, v4, v5, 0x7fff
                                        ; implicit-def: $vgpr4
; %bb.2035:                             ;   in Loop: Header=BB460_1375 Depth=1
	s_and_not1_saveexec_b32 s9, s0
; %bb.2036:                             ;   in Loop: Header=BB460_1375 Depth=1
	v_and_b32_e32 v5, 0xffff, v4
	v_or_b32_e32 v23, 0x10000, v4
	s_delay_alu instid0(VALU_DEP_2) | instskip(NEXT) | instid1(VALU_DEP_1)
	v_cmp_eq_u32_e64 s0, 0, v5
	v_cndmask_b32_e64 v147, v23, v4, s0
; %bb.2037:                             ;   in Loop: Header=BB460_1375 Depth=1
	s_or_b32 exec_lo, exec_lo, s9
	v_lshlrev_b32_e32 v4, 16, v9
                                        ; implicit-def: $vgpr148
	s_delay_alu instid0(VALU_DEP_1) | instskip(NEXT) | instid1(VALU_DEP_1)
	v_mul_f32_e32 v4, v84, v4
	v_and_b32_e32 v5, 0x7f800000, v4
	s_delay_alu instid0(VALU_DEP_1) | instskip(NEXT) | instid1(VALU_DEP_1)
	v_cmp_ne_u32_e64 s0, 0x7f800000, v5
	s_and_saveexec_b32 s9, s0
	s_delay_alu instid0(SALU_CYCLE_1)
	s_xor_b32 s0, exec_lo, s9
; %bb.2038:                             ;   in Loop: Header=BB460_1375 Depth=1
	v_bfe_u32 v5, v4, 16, 1
	s_delay_alu instid0(VALU_DEP_1)
	v_add3_u32 v148, v4, v5, 0x7fff
                                        ; implicit-def: $vgpr4
; %bb.2039:                             ;   in Loop: Header=BB460_1375 Depth=1
	s_and_not1_saveexec_b32 s9, s0
; %bb.2040:                             ;   in Loop: Header=BB460_1375 Depth=1
	v_and_b32_e32 v5, 0xffff, v4
	v_or_b32_e32 v9, 0x10000, v4
	s_delay_alu instid0(VALU_DEP_2) | instskip(NEXT) | instid1(VALU_DEP_1)
	v_cmp_eq_u32_e64 s0, 0, v5
	v_cndmask_b32_e64 v148, v9, v4, s0
; %bb.2041:                             ;   in Loop: Header=BB460_1375 Depth=1
	s_or_b32 exec_lo, exec_lo, s9
	v_lshlrev_b32_e32 v4, 16, v7
                                        ; implicit-def: $vgpr149
	s_delay_alu instid0(VALU_DEP_1) | instskip(NEXT) | instid1(VALU_DEP_1)
	v_mul_f32_e32 v4, v85, v4
	v_and_b32_e32 v5, 0x7f800000, v4
	s_delay_alu instid0(VALU_DEP_1) | instskip(NEXT) | instid1(VALU_DEP_1)
	v_cmp_ne_u32_e64 s0, 0x7f800000, v5
	s_and_saveexec_b32 s9, s0
	s_delay_alu instid0(SALU_CYCLE_1)
	s_xor_b32 s0, exec_lo, s9
; %bb.2042:                             ;   in Loop: Header=BB460_1375 Depth=1
	v_bfe_u32 v5, v4, 16, 1
	s_delay_alu instid0(VALU_DEP_1)
	v_add3_u32 v149, v4, v5, 0x7fff
                                        ; implicit-def: $vgpr4
; %bb.2043:                             ;   in Loop: Header=BB460_1375 Depth=1
	s_and_not1_saveexec_b32 s9, s0
; %bb.2044:                             ;   in Loop: Header=BB460_1375 Depth=1
	v_and_b32_e32 v5, 0xffff, v4
	v_or_b32_e32 v7, 0x10000, v4
	s_delay_alu instid0(VALU_DEP_2) | instskip(NEXT) | instid1(VALU_DEP_1)
	v_cmp_eq_u32_e64 s0, 0, v5
	v_cndmask_b32_e64 v149, v7, v4, s0
; %bb.2045:                             ;   in Loop: Header=BB460_1375 Depth=1
	s_or_b32 exec_lo, exec_lo, s9
	v_lshlrev_b32_e32 v4, 16, v6
                                        ; implicit-def: $vgpr150
	s_delay_alu instid0(VALU_DEP_1) | instskip(NEXT) | instid1(VALU_DEP_1)
	v_mul_f32_e32 v4, v86, v4
	v_and_b32_e32 v5, 0x7f800000, v4
	s_delay_alu instid0(VALU_DEP_1) | instskip(NEXT) | instid1(VALU_DEP_1)
	v_cmp_ne_u32_e64 s0, 0x7f800000, v5
	s_and_saveexec_b32 s9, s0
	s_delay_alu instid0(SALU_CYCLE_1)
	s_xor_b32 s0, exec_lo, s9
; %bb.2046:                             ;   in Loop: Header=BB460_1375 Depth=1
	v_bfe_u32 v5, v4, 16, 1
	s_delay_alu instid0(VALU_DEP_1)
	v_add3_u32 v150, v4, v5, 0x7fff
                                        ; implicit-def: $vgpr4
; %bb.2047:                             ;   in Loop: Header=BB460_1375 Depth=1
	s_and_not1_saveexec_b32 s9, s0
; %bb.2048:                             ;   in Loop: Header=BB460_1375 Depth=1
	v_and_b32_e32 v5, 0xffff, v4
	v_or_b32_e32 v6, 0x10000, v4
	s_delay_alu instid0(VALU_DEP_2) | instskip(NEXT) | instid1(VALU_DEP_1)
	v_cmp_eq_u32_e64 s0, 0, v5
	v_cndmask_b32_e64 v150, v6, v4, s0
; %bb.2049:                             ;   in Loop: Header=BB460_1375 Depth=1
	s_or_b32 exec_lo, exec_lo, s9
	v_lshlrev_b32_e32 v3, 16, v3
                                        ; implicit-def: $vgpr151
	s_delay_alu instid0(VALU_DEP_1) | instskip(NEXT) | instid1(VALU_DEP_1)
	v_mul_f32_e32 v3, v87, v3
	v_and_b32_e32 v4, 0x7f800000, v3
	s_delay_alu instid0(VALU_DEP_1) | instskip(NEXT) | instid1(VALU_DEP_1)
	v_cmp_ne_u32_e64 s0, 0x7f800000, v4
	s_and_saveexec_b32 s9, s0
	s_delay_alu instid0(SALU_CYCLE_1)
	s_xor_b32 s0, exec_lo, s9
; %bb.2050:                             ;   in Loop: Header=BB460_1375 Depth=1
	v_bfe_u32 v4, v3, 16, 1
	s_delay_alu instid0(VALU_DEP_1)
	v_add3_u32 v151, v3, v4, 0x7fff
                                        ; implicit-def: $vgpr3
; %bb.2051:                             ;   in Loop: Header=BB460_1375 Depth=1
	s_and_not1_saveexec_b32 s9, s0
; %bb.2052:                             ;   in Loop: Header=BB460_1375 Depth=1
	v_and_b32_e32 v4, 0xffff, v3
	v_or_b32_e32 v5, 0x10000, v3
	s_delay_alu instid0(VALU_DEP_2) | instskip(NEXT) | instid1(VALU_DEP_1)
	v_cmp_eq_u32_e64 s0, 0, v4
	v_cndmask_b32_e64 v151, v5, v3, s0
; %bb.2053:                             ;   in Loop: Header=BB460_1375 Depth=1
	s_or_b32 exec_lo, exec_lo, s9
	v_lshlrev_b32_e32 v2, 16, v2
                                        ; implicit-def: $vgpr160
	s_delay_alu instid0(VALU_DEP_1) | instskip(NEXT) | instid1(VALU_DEP_1)
	v_mul_f32_e32 v2, v96, v2
	v_and_b32_e32 v3, 0x7f800000, v2
	s_delay_alu instid0(VALU_DEP_1) | instskip(NEXT) | instid1(VALU_DEP_1)
	v_cmp_ne_u32_e64 s0, 0x7f800000, v3
	s_and_saveexec_b32 s9, s0
	s_delay_alu instid0(SALU_CYCLE_1)
	s_xor_b32 s0, exec_lo, s9
; %bb.2054:                             ;   in Loop: Header=BB460_1375 Depth=1
	v_bfe_u32 v3, v2, 16, 1
	s_delay_alu instid0(VALU_DEP_1)
	v_add3_u32 v160, v2, v3, 0x7fff
                                        ; implicit-def: $vgpr2
; %bb.2055:                             ;   in Loop: Header=BB460_1375 Depth=1
	s_and_not1_saveexec_b32 s9, s0
; %bb.2056:                             ;   in Loop: Header=BB460_1375 Depth=1
	v_and_b32_e32 v3, 0xffff, v2
	v_or_b32_e32 v4, 0x10000, v2
	s_delay_alu instid0(VALU_DEP_2) | instskip(NEXT) | instid1(VALU_DEP_1)
	v_cmp_eq_u32_e64 s0, 0, v3
	v_cndmask_b32_e64 v160, v4, v2, s0
; %bb.2057:                             ;   in Loop: Header=BB460_1375 Depth=1
	s_or_b32 exec_lo, exec_lo, s9
	flat_load_b64 v[2:3], v[0:1] offset:1280
	s_mov_b32 s9, exec_lo
	s_waitcnt vmcnt(0) lgkmcnt(0)
	v_dual_mov_b32 v4, 0 :: v_dual_and_b32 v5, 0xff, v2
	s_delay_alu instid0(VALU_DEP_1)
	v_cmpx_ne_u16_e32 0, v5
	s_cbranch_execz .LBB460_2065
; %bb.2058:                             ;   in Loop: Header=BB460_1375 Depth=1
	v_bfrev_b32_e32 v4, 1
	s_mov_b32 s12, exec_lo
	v_cmpx_ne_u16_e32 0x80, v5
	s_cbranch_execz .LBB460_2064
; %bb.2059:                             ;   in Loop: Header=BB460_1375 Depth=1
	v_and_b32_e32 v5, 0x7f, v2
	v_mov_b32_e32 v4, 0x7f800001
	s_mov_b32 s13, exec_lo
	s_delay_alu instid0(VALU_DEP_2)
	v_cmpx_ne_u32_e32 0x7f, v5
	s_cbranch_execz .LBB460_2063
; %bb.2060:                             ;   in Loop: Header=BB460_1375 Depth=1
	v_lshrrev_b32_e32 v4, 3, v5
	v_dual_mov_b32 v7, v3 :: v_dual_mov_b32 v6, v2
	s_mov_b32 s15, exec_lo
	v_cmpx_gt_u32_e32 8, v5
; %bb.2061:                             ;   in Loop: Header=BB460_1375 Depth=1
	v_and_b32_e32 v4, 7, v2
	s_delay_alu instid0(VALU_DEP_1) | instskip(NEXT) | instid1(VALU_DEP_1)
	v_clz_i32_u32_e32 v4, v4
	v_min_u32_e32 v4, 32, v4
	s_delay_alu instid0(VALU_DEP_1) | instskip(SKIP_1) | instid1(VALU_DEP_2)
	v_subrev_nc_u32_e32 v5, 28, v4
	v_sub_nc_u32_e32 v4, 29, v4
	v_lshlrev_b64 v[6:7], v5, v[2:3]
; %bb.2062:                             ;   in Loop: Header=BB460_1375 Depth=1
	s_or_b32 exec_lo, exec_lo, s15
	s_delay_alu instid0(VALU_DEP_1) | instskip(SKIP_2) | instid1(VALU_DEP_3)
	v_lshlrev_b32_e32 v5, 20, v6
	v_lshlrev_b32_e32 v6, 24, v2
	v_lshl_add_u32 v4, v4, 23, 0x3c000000
	v_and_b32_e32 v5, 0x700000, v5
	s_delay_alu instid0(VALU_DEP_3) | instskip(NEXT) | instid1(VALU_DEP_1)
	v_and_b32_e32 v6, 0x80000000, v6
	v_or3_b32 v4, v5, v6, v4
.LBB460_2063:                           ;   in Loop: Header=BB460_1375 Depth=1
	s_or_b32 exec_lo, exec_lo, s13
.LBB460_2064:                           ;   in Loop: Header=BB460_1375 Depth=1
	s_delay_alu instid0(SALU_CYCLE_1)
	s_or_b32 exec_lo, exec_lo, s12
.LBB460_2065:                           ;   in Loop: Header=BB460_1375 Depth=1
	s_delay_alu instid0(SALU_CYCLE_1) | instskip(NEXT) | instid1(VALU_DEP_1)
	s_or_b32 exec_lo, exec_lo, s9
	v_mul_f32_e32 v5, v26, v4
	s_delay_alu instid0(VALU_DEP_1) | instskip(NEXT) | instid1(VALU_DEP_1)
	v_and_b32_e32 v4, 0x7f800000, v5
	v_cmp_ne_u32_e64 s0, 0x7f800000, v4
                                        ; implicit-def: $vgpr4
	s_delay_alu instid0(VALU_DEP_1) | instskip(NEXT) | instid1(SALU_CYCLE_1)
	s_and_saveexec_b32 s9, s0
	s_xor_b32 s0, exec_lo, s9
; %bb.2066:                             ;   in Loop: Header=BB460_1375 Depth=1
	v_bfe_u32 v4, v5, 16, 1
	s_delay_alu instid0(VALU_DEP_1)
	v_add3_u32 v4, v5, v4, 0x7fff
                                        ; implicit-def: $vgpr5
; %bb.2067:                             ;   in Loop: Header=BB460_1375 Depth=1
	s_and_not1_saveexec_b32 s9, s0
; %bb.2068:                             ;   in Loop: Header=BB460_1375 Depth=1
	v_and_b32_e32 v4, 0xffff, v5
	v_or_b32_e32 v6, 0x10000, v5
	s_delay_alu instid0(VALU_DEP_2) | instskip(NEXT) | instid1(VALU_DEP_1)
	v_cmp_eq_u32_e64 s0, 0, v4
	v_cndmask_b32_e64 v4, v6, v5, s0
; %bb.2069:                             ;   in Loop: Header=BB460_1375 Depth=1
	s_or_b32 exec_lo, exec_lo, s9
	v_lshrrev_b16 v6, 8, v2
	v_mov_b32_e32 v5, 0
	s_mov_b32 s9, exec_lo
	s_delay_alu instid0(VALU_DEP_2)
	v_cmpx_ne_u16_e32 0, v6
	s_cbranch_execz .LBB460_2077
; %bb.2070:                             ;   in Loop: Header=BB460_1375 Depth=1
	v_bfrev_b32_e32 v5, 1
	s_mov_b32 s12, exec_lo
	v_cmpx_ne_u16_e32 0x80, v6
	s_cbranch_execz .LBB460_2076
; %bb.2071:                             ;   in Loop: Header=BB460_1375 Depth=1
	v_and_b32_e32 v7, 0xffff, v6
	v_mov_b32_e32 v5, 0x7f800001
	s_mov_b32 s13, exec_lo
	s_delay_alu instid0(VALU_DEP_2) | instskip(NEXT) | instid1(VALU_DEP_1)
	v_and_b32_e32 v6, 0x7f, v7
	v_cmpx_ne_u32_e32 0x7f, v6
	s_cbranch_execz .LBB460_2075
; %bb.2072:                             ;   in Loop: Header=BB460_1375 Depth=1
	v_and_b32_e32 v9, 7, v7
	v_lshrrev_b32_e32 v5, 3, v6
	v_cmp_gt_u32_e64 s0, 8, v6
	s_delay_alu instid0(VALU_DEP_3) | instskip(NEXT) | instid1(VALU_DEP_2)
	v_dual_mov_b32 v6, v9 :: v_dual_mov_b32 v7, v10
	s_and_saveexec_b32 s15, s0
; %bb.2073:                             ;   in Loop: Header=BB460_1375 Depth=1
	v_clz_i32_u32_e32 v5, v9
	s_delay_alu instid0(VALU_DEP_1) | instskip(NEXT) | instid1(VALU_DEP_1)
	v_min_u32_e32 v5, 32, v5
	v_subrev_nc_u32_e32 v6, 28, v5
	v_sub_nc_u32_e32 v5, 29, v5
	s_delay_alu instid0(VALU_DEP_2) | instskip(NEXT) | instid1(VALU_DEP_1)
	v_lshlrev_b64 v[6:7], v6, v[9:10]
	v_and_b32_e32 v6, 7, v6
; %bb.2074:                             ;   in Loop: Header=BB460_1375 Depth=1
	s_or_b32 exec_lo, exec_lo, s15
	v_lshlrev_b32_e32 v7, 16, v2
	s_delay_alu instid0(VALU_DEP_2) | instskip(SKIP_1) | instid1(VALU_DEP_3)
	v_lshlrev_b32_e32 v6, 20, v6
	v_lshl_add_u32 v5, v5, 23, 0x3c000000
	v_and_b32_e32 v7, 0x80000000, v7
	s_delay_alu instid0(VALU_DEP_1)
	v_or3_b32 v5, v6, v7, v5
.LBB460_2075:                           ;   in Loop: Header=BB460_1375 Depth=1
	s_or_b32 exec_lo, exec_lo, s13
.LBB460_2076:                           ;   in Loop: Header=BB460_1375 Depth=1
	s_delay_alu instid0(SALU_CYCLE_1)
	s_or_b32 exec_lo, exec_lo, s12
.LBB460_2077:                           ;   in Loop: Header=BB460_1375 Depth=1
	s_delay_alu instid0(SALU_CYCLE_1) | instskip(NEXT) | instid1(VALU_DEP_1)
	s_or_b32 exec_lo, exec_lo, s9
	v_mul_f32_e32 v6, v26, v5
	s_delay_alu instid0(VALU_DEP_1) | instskip(NEXT) | instid1(VALU_DEP_1)
	v_and_b32_e32 v5, 0x7f800000, v6
	v_cmp_ne_u32_e64 s0, 0x7f800000, v5
                                        ; implicit-def: $vgpr5
	s_delay_alu instid0(VALU_DEP_1) | instskip(NEXT) | instid1(SALU_CYCLE_1)
	s_and_saveexec_b32 s9, s0
	s_xor_b32 s0, exec_lo, s9
; %bb.2078:                             ;   in Loop: Header=BB460_1375 Depth=1
	v_bfe_u32 v5, v6, 16, 1
	s_delay_alu instid0(VALU_DEP_1)
	v_add3_u32 v5, v6, v5, 0x7fff
                                        ; implicit-def: $vgpr6
; %bb.2079:                             ;   in Loop: Header=BB460_1375 Depth=1
	s_and_not1_saveexec_b32 s9, s0
; %bb.2080:                             ;   in Loop: Header=BB460_1375 Depth=1
	v_and_b32_e32 v5, 0xffff, v6
	v_or_b32_e32 v7, 0x10000, v6
	s_delay_alu instid0(VALU_DEP_2) | instskip(NEXT) | instid1(VALU_DEP_1)
	v_cmp_eq_u32_e64 s0, 0, v5
	v_cndmask_b32_e64 v5, v7, v6, s0
; %bb.2081:                             ;   in Loop: Header=BB460_1375 Depth=1
	s_or_b32 exec_lo, exec_lo, s9
	v_lshrrev_b32_e32 v23, 16, v2
	s_mov_b32 s9, exec_lo
	s_delay_alu instid0(VALU_DEP_1) | instskip(NEXT) | instid1(VALU_DEP_1)
	v_dual_mov_b32 v6, 0 :: v_dual_and_b32 v7, 0xff, v23
	v_cmpx_ne_u16_e32 0, v7
	s_cbranch_execz .LBB460_2089
; %bb.2082:                             ;   in Loop: Header=BB460_1375 Depth=1
	v_bfrev_b32_e32 v6, 1
	s_mov_b32 s12, exec_lo
	v_cmpx_ne_u16_e32 0x80, v7
	s_cbranch_execz .LBB460_2088
; %bb.2083:                             ;   in Loop: Header=BB460_1375 Depth=1
	v_bfe_u32 v7, v2, 16, 7
	v_mov_b32_e32 v6, 0x7f800001
	s_mov_b32 s13, exec_lo
	s_delay_alu instid0(VALU_DEP_2)
	v_cmpx_ne_u32_e32 0x7f, v7
	s_cbranch_execz .LBB460_2087
; %bb.2084:                             ;   in Loop: Header=BB460_1375 Depth=1
	v_and_b32_e32 v9, 7, v23
	v_lshrrev_b32_e32 v34, 3, v7
	v_cmp_gt_u32_e64 s0, 8, v7
	s_delay_alu instid0(VALU_DEP_3) | instskip(NEXT) | instid1(VALU_DEP_2)
	v_dual_mov_b32 v6, v9 :: v_dual_mov_b32 v7, v10
	s_and_saveexec_b32 s15, s0
; %bb.2085:                             ;   in Loop: Header=BB460_1375 Depth=1
	v_clz_i32_u32_e32 v6, v9
	s_delay_alu instid0(VALU_DEP_1) | instskip(NEXT) | instid1(VALU_DEP_1)
	v_min_u32_e32 v34, 32, v6
	v_subrev_nc_u32_e32 v6, 28, v34
	v_sub_nc_u32_e32 v34, 29, v34
	s_delay_alu instid0(VALU_DEP_2) | instskip(NEXT) | instid1(VALU_DEP_1)
	v_lshlrev_b64 v[6:7], v6, v[9:10]
	v_and_b32_e32 v6, 7, v6
; %bb.2086:                             ;   in Loop: Header=BB460_1375 Depth=1
	s_or_b32 exec_lo, exec_lo, s15
	v_lshlrev_b32_e32 v7, 24, v23
	s_delay_alu instid0(VALU_DEP_2) | instskip(SKIP_1) | instid1(VALU_DEP_3)
	v_lshlrev_b32_e32 v6, 20, v6
	v_lshl_add_u32 v9, v34, 23, 0x3c000000
	v_and_b32_e32 v7, 0x80000000, v7
	s_delay_alu instid0(VALU_DEP_1)
	v_or3_b32 v6, v6, v7, v9
.LBB460_2087:                           ;   in Loop: Header=BB460_1375 Depth=1
	s_or_b32 exec_lo, exec_lo, s13
.LBB460_2088:                           ;   in Loop: Header=BB460_1375 Depth=1
	s_delay_alu instid0(SALU_CYCLE_1)
	s_or_b32 exec_lo, exec_lo, s12
.LBB460_2089:                           ;   in Loop: Header=BB460_1375 Depth=1
	s_delay_alu instid0(SALU_CYCLE_1) | instskip(NEXT) | instid1(VALU_DEP_1)
	s_or_b32 exec_lo, exec_lo, s9
	v_mul_f32_e32 v6, v26, v6
                                        ; implicit-def: $vgpr23
	s_delay_alu instid0(VALU_DEP_1) | instskip(NEXT) | instid1(VALU_DEP_1)
	v_and_b32_e32 v7, 0x7f800000, v6
	v_cmp_ne_u32_e64 s0, 0x7f800000, v7
	s_delay_alu instid0(VALU_DEP_1) | instskip(NEXT) | instid1(SALU_CYCLE_1)
	s_and_saveexec_b32 s9, s0
	s_xor_b32 s0, exec_lo, s9
; %bb.2090:                             ;   in Loop: Header=BB460_1375 Depth=1
	v_bfe_u32 v7, v6, 16, 1
	s_delay_alu instid0(VALU_DEP_1)
	v_add3_u32 v23, v6, v7, 0x7fff
                                        ; implicit-def: $vgpr6
; %bb.2091:                             ;   in Loop: Header=BB460_1375 Depth=1
	s_and_not1_saveexec_b32 s9, s0
; %bb.2092:                             ;   in Loop: Header=BB460_1375 Depth=1
	v_and_b32_e32 v7, 0xffff, v6
	v_or_b32_e32 v9, 0x10000, v6
	s_delay_alu instid0(VALU_DEP_2) | instskip(NEXT) | instid1(VALU_DEP_1)
	v_cmp_eq_u32_e64 s0, 0, v7
	v_cndmask_b32_e64 v23, v9, v6, s0
; %bb.2093:                             ;   in Loop: Header=BB460_1375 Depth=1
	s_or_b32 exec_lo, exec_lo, s9
	v_mov_b32_e32 v6, 0
	s_mov_b32 s9, exec_lo
	v_cmpx_lt_u32_e32 0xffffff, v2
	s_cbranch_execz .LBB460_2101
; %bb.2094:                             ;   in Loop: Header=BB460_1375 Depth=1
	v_lshrrev_b32_e32 v34, 24, v2
	v_bfrev_b32_e32 v6, 1
	s_mov_b32 s12, exec_lo
	s_delay_alu instid0(VALU_DEP_2)
	v_cmpx_ne_u32_e32 0x80, v34
	s_cbranch_execz .LBB460_2100
; %bb.2095:                             ;   in Loop: Header=BB460_1375 Depth=1
	v_bfe_u32 v7, v2, 24, 7
	v_mov_b32_e32 v6, 0x7f800001
	s_mov_b32 s13, exec_lo
	s_delay_alu instid0(VALU_DEP_2)
	v_cmpx_ne_u32_e32 0x7f, v7
	s_cbranch_execz .LBB460_2099
; %bb.2096:                             ;   in Loop: Header=BB460_1375 Depth=1
	v_and_b32_e32 v9, 7, v34
	v_lshrrev_b32_e32 v35, 3, v7
	v_cmp_gt_u32_e64 s0, 8, v7
	s_delay_alu instid0(VALU_DEP_3) | instskip(NEXT) | instid1(VALU_DEP_2)
	v_dual_mov_b32 v6, v9 :: v_dual_mov_b32 v7, v10
	s_and_saveexec_b32 s15, s0
; %bb.2097:                             ;   in Loop: Header=BB460_1375 Depth=1
	v_clz_i32_u32_e32 v6, v9
	s_delay_alu instid0(VALU_DEP_1) | instskip(NEXT) | instid1(VALU_DEP_1)
	v_min_u32_e32 v35, 32, v6
	v_subrev_nc_u32_e32 v6, 28, v35
	v_sub_nc_u32_e32 v35, 29, v35
	s_delay_alu instid0(VALU_DEP_2) | instskip(NEXT) | instid1(VALU_DEP_1)
	v_lshlrev_b64 v[6:7], v6, v[9:10]
	v_and_b32_e32 v6, 7, v6
; %bb.2098:                             ;   in Loop: Header=BB460_1375 Depth=1
	s_or_b32 exec_lo, exec_lo, s15
	v_lshlrev_b32_e32 v7, 24, v34
	s_delay_alu instid0(VALU_DEP_2) | instskip(SKIP_1) | instid1(VALU_DEP_3)
	v_lshlrev_b32_e32 v6, 20, v6
	v_lshl_add_u32 v9, v35, 23, 0x3c000000
	v_and_b32_e32 v7, 0x80000000, v7
	s_delay_alu instid0(VALU_DEP_1)
	v_or3_b32 v6, v6, v7, v9
.LBB460_2099:                           ;   in Loop: Header=BB460_1375 Depth=1
	s_or_b32 exec_lo, exec_lo, s13
.LBB460_2100:                           ;   in Loop: Header=BB460_1375 Depth=1
	s_delay_alu instid0(SALU_CYCLE_1)
	s_or_b32 exec_lo, exec_lo, s12
.LBB460_2101:                           ;   in Loop: Header=BB460_1375 Depth=1
	s_delay_alu instid0(SALU_CYCLE_1) | instskip(NEXT) | instid1(VALU_DEP_1)
	s_or_b32 exec_lo, exec_lo, s9
	v_mul_f32_e32 v6, v26, v6
                                        ; implicit-def: $vgpr34
	s_delay_alu instid0(VALU_DEP_1) | instskip(NEXT) | instid1(VALU_DEP_1)
	v_and_b32_e32 v7, 0x7f800000, v6
	v_cmp_ne_u32_e64 s0, 0x7f800000, v7
	s_delay_alu instid0(VALU_DEP_1) | instskip(NEXT) | instid1(SALU_CYCLE_1)
	s_and_saveexec_b32 s9, s0
	s_xor_b32 s0, exec_lo, s9
; %bb.2102:                             ;   in Loop: Header=BB460_1375 Depth=1
	v_bfe_u32 v7, v6, 16, 1
	s_delay_alu instid0(VALU_DEP_1)
	v_add3_u32 v34, v6, v7, 0x7fff
                                        ; implicit-def: $vgpr6
; %bb.2103:                             ;   in Loop: Header=BB460_1375 Depth=1
	s_and_not1_saveexec_b32 s9, s0
; %bb.2104:                             ;   in Loop: Header=BB460_1375 Depth=1
	v_and_b32_e32 v7, 0xffff, v6
	v_or_b32_e32 v9, 0x10000, v6
	s_delay_alu instid0(VALU_DEP_2) | instskip(NEXT) | instid1(VALU_DEP_1)
	v_cmp_eq_u32_e64 s0, 0, v7
	v_cndmask_b32_e64 v34, v9, v6, s0
; %bb.2105:                             ;   in Loop: Header=BB460_1375 Depth=1
	s_or_b32 exec_lo, exec_lo, s9
	v_dual_mov_b32 v6, 0 :: v_dual_and_b32 v7, 0xff, v3
	v_mov_b32_e32 v9, v3
	s_mov_b32 s9, exec_lo
	s_delay_alu instid0(VALU_DEP_2)
	v_cmpx_ne_u16_e32 0, v7
	s_cbranch_execz .LBB460_2113
; %bb.2106:                             ;   in Loop: Header=BB460_1375 Depth=1
	v_bfrev_b32_e32 v6, 1
	s_mov_b32 s12, exec_lo
	v_cmpx_ne_u16_e32 0x80, v7
	s_cbranch_execz .LBB460_2112
; %bb.2107:                             ;   in Loop: Header=BB460_1375 Depth=1
	v_and_b32_e32 v7, 0x7f, v3
	v_mov_b32_e32 v6, 0x7f800001
	s_mov_b32 s13, exec_lo
	s_delay_alu instid0(VALU_DEP_2)
	v_cmpx_ne_u32_e32 0x7f, v7
	s_cbranch_execz .LBB460_2111
; %bb.2108:                             ;   in Loop: Header=BB460_1375 Depth=1
	v_lshrrev_b32_e32 v35, 3, v7
	v_cmp_gt_u32_e64 s0, 8, v7
	v_dual_mov_b32 v6, v9 :: v_dual_mov_b32 v7, v10
	s_delay_alu instid0(VALU_DEP_2)
	s_and_saveexec_b32 s15, s0
; %bb.2109:                             ;   in Loop: Header=BB460_1375 Depth=1
	v_and_b32_e32 v6, 7, v3
	s_delay_alu instid0(VALU_DEP_1) | instskip(NEXT) | instid1(VALU_DEP_1)
	v_clz_i32_u32_e32 v6, v6
	v_min_u32_e32 v35, 32, v6
	s_delay_alu instid0(VALU_DEP_1) | instskip(SKIP_1) | instid1(VALU_DEP_2)
	v_subrev_nc_u32_e32 v6, 28, v35
	v_sub_nc_u32_e32 v35, 29, v35
	v_lshlrev_b64 v[6:7], v6, v[9:10]
; %bb.2110:                             ;   in Loop: Header=BB460_1375 Depth=1
	s_or_b32 exec_lo, exec_lo, s15
	s_delay_alu instid0(VALU_DEP_1) | instskip(SKIP_2) | instid1(VALU_DEP_3)
	v_lshlrev_b32_e32 v6, 20, v6
	v_lshlrev_b32_e32 v7, 24, v9
	v_lshl_add_u32 v35, v35, 23, 0x3c000000
	v_and_b32_e32 v6, 0x700000, v6
	s_delay_alu instid0(VALU_DEP_3) | instskip(NEXT) | instid1(VALU_DEP_1)
	v_and_b32_e32 v7, 0x80000000, v7
	v_or3_b32 v6, v6, v7, v35
.LBB460_2111:                           ;   in Loop: Header=BB460_1375 Depth=1
	s_or_b32 exec_lo, exec_lo, s13
.LBB460_2112:                           ;   in Loop: Header=BB460_1375 Depth=1
	s_delay_alu instid0(SALU_CYCLE_1)
	s_or_b32 exec_lo, exec_lo, s12
.LBB460_2113:                           ;   in Loop: Header=BB460_1375 Depth=1
	s_delay_alu instid0(SALU_CYCLE_1) | instskip(NEXT) | instid1(VALU_DEP_1)
	s_or_b32 exec_lo, exec_lo, s9
	v_mul_f32_e32 v6, v26, v6
                                        ; implicit-def: $vgpr35
	s_delay_alu instid0(VALU_DEP_1) | instskip(NEXT) | instid1(VALU_DEP_1)
	v_and_b32_e32 v7, 0x7f800000, v6
	v_cmp_ne_u32_e64 s0, 0x7f800000, v7
	s_delay_alu instid0(VALU_DEP_1) | instskip(NEXT) | instid1(SALU_CYCLE_1)
	s_and_saveexec_b32 s9, s0
	s_xor_b32 s0, exec_lo, s9
; %bb.2114:                             ;   in Loop: Header=BB460_1375 Depth=1
	v_bfe_u32 v7, v6, 16, 1
	s_delay_alu instid0(VALU_DEP_1)
	v_add3_u32 v35, v6, v7, 0x7fff
                                        ; implicit-def: $vgpr6
; %bb.2115:                             ;   in Loop: Header=BB460_1375 Depth=1
	s_and_not1_saveexec_b32 s9, s0
; %bb.2116:                             ;   in Loop: Header=BB460_1375 Depth=1
	v_and_b32_e32 v7, 0xffff, v6
	v_or_b32_e32 v35, 0x10000, v6
	s_delay_alu instid0(VALU_DEP_2) | instskip(NEXT) | instid1(VALU_DEP_1)
	v_cmp_eq_u32_e64 s0, 0, v7
	v_cndmask_b32_e64 v35, v35, v6, s0
; %bb.2117:                             ;   in Loop: Header=BB460_1375 Depth=1
	s_or_b32 exec_lo, exec_lo, s9
	v_lshrrev_b16 v7, 8, v9
	v_mov_b32_e32 v6, 0
	s_mov_b32 s9, exec_lo
	s_delay_alu instid0(VALU_DEP_2)
	v_cmpx_ne_u16_e32 0, v7
	s_cbranch_execz .LBB460_2125
; %bb.2118:                             ;   in Loop: Header=BB460_1375 Depth=1
	v_bfrev_b32_e32 v6, 1
	s_mov_b32 s12, exec_lo
	v_cmpx_ne_u16_e32 0x80, v7
	s_cbranch_execz .LBB460_2124
; %bb.2119:                             ;   in Loop: Header=BB460_1375 Depth=1
	v_and_b32_e32 v7, 0xffff, v7
	v_mov_b32_e32 v6, 0x7f800001
	s_mov_b32 s13, exec_lo
	s_delay_alu instid0(VALU_DEP_2) | instskip(NEXT) | instid1(VALU_DEP_1)
	v_and_b32_e32 v162, 0x7f, v7
	v_cmpx_ne_u32_e32 0x7f, v162
	s_cbranch_execz .LBB460_2123
; %bb.2120:                             ;   in Loop: Header=BB460_1375 Depth=1
	v_dual_mov_b32 v7, v10 :: v_dual_and_b32 v6, 7, v7
	v_lshrrev_b32_e32 v161, 3, v162
	s_mov_b32 s15, exec_lo
	v_cmpx_gt_u32_e32 8, v162
; %bb.2121:                             ;   in Loop: Header=BB460_1375 Depth=1
	s_delay_alu instid0(VALU_DEP_3) | instskip(NEXT) | instid1(VALU_DEP_1)
	v_clz_i32_u32_e32 v161, v6
	v_min_u32_e32 v161, 32, v161
	s_delay_alu instid0(VALU_DEP_1) | instskip(SKIP_1) | instid1(VALU_DEP_2)
	v_subrev_nc_u32_e32 v162, 28, v161
	v_sub_nc_u32_e32 v161, 29, v161
	v_lshlrev_b64 v[6:7], v162, v[6:7]
	s_delay_alu instid0(VALU_DEP_1)
	v_and_b32_e32 v6, 7, v6
; %bb.2122:                             ;   in Loop: Header=BB460_1375 Depth=1
	s_or_b32 exec_lo, exec_lo, s15
	v_lshlrev_b32_e32 v7, 16, v9
	s_delay_alu instid0(VALU_DEP_2) | instskip(SKIP_1) | instid1(VALU_DEP_3)
	v_lshlrev_b32_e32 v6, 20, v6
	v_lshl_add_u32 v9, v161, 23, 0x3c000000
	v_and_b32_e32 v7, 0x80000000, v7
	s_delay_alu instid0(VALU_DEP_1)
	v_or3_b32 v6, v6, v7, v9
.LBB460_2123:                           ;   in Loop: Header=BB460_1375 Depth=1
	s_or_b32 exec_lo, exec_lo, s13
.LBB460_2124:                           ;   in Loop: Header=BB460_1375 Depth=1
	s_delay_alu instid0(SALU_CYCLE_1)
	s_or_b32 exec_lo, exec_lo, s12
.LBB460_2125:                           ;   in Loop: Header=BB460_1375 Depth=1
	s_delay_alu instid0(SALU_CYCLE_1) | instskip(NEXT) | instid1(VALU_DEP_1)
	s_or_b32 exec_lo, exec_lo, s9
	v_mul_f32_e32 v6, v26, v6
                                        ; implicit-def: $vgpr161
	s_delay_alu instid0(VALU_DEP_1) | instskip(NEXT) | instid1(VALU_DEP_1)
	v_and_b32_e32 v7, 0x7f800000, v6
	v_cmp_ne_u32_e64 s0, 0x7f800000, v7
	s_delay_alu instid0(VALU_DEP_1) | instskip(NEXT) | instid1(SALU_CYCLE_1)
	s_and_saveexec_b32 s9, s0
	s_xor_b32 s0, exec_lo, s9
; %bb.2126:                             ;   in Loop: Header=BB460_1375 Depth=1
	v_bfe_u32 v7, v6, 16, 1
	s_delay_alu instid0(VALU_DEP_1)
	v_add3_u32 v161, v6, v7, 0x7fff
                                        ; implicit-def: $vgpr6
; %bb.2127:                             ;   in Loop: Header=BB460_1375 Depth=1
	s_and_not1_saveexec_b32 s9, s0
; %bb.2128:                             ;   in Loop: Header=BB460_1375 Depth=1
	v_and_b32_e32 v7, 0xffff, v6
	v_or_b32_e32 v9, 0x10000, v6
	s_delay_alu instid0(VALU_DEP_2) | instskip(NEXT) | instid1(VALU_DEP_1)
	v_cmp_eq_u32_e64 s0, 0, v7
	v_cndmask_b32_e64 v161, v9, v6, s0
; %bb.2129:                             ;   in Loop: Header=BB460_1375 Depth=1
	s_or_b32 exec_lo, exec_lo, s9
	v_lshrrev_b32_e32 v162, 16, v3
	s_mov_b32 s9, exec_lo
	s_delay_alu instid0(VALU_DEP_1) | instskip(NEXT) | instid1(VALU_DEP_1)
	v_dual_mov_b32 v6, 0 :: v_dual_and_b32 v7, 0xff, v162
	v_cmpx_ne_u16_e32 0, v7
	s_cbranch_execz .LBB460_2137
; %bb.2130:                             ;   in Loop: Header=BB460_1375 Depth=1
	v_bfrev_b32_e32 v6, 1
	s_mov_b32 s12, exec_lo
	v_cmpx_ne_u16_e32 0x80, v7
	s_cbranch_execz .LBB460_2136
; %bb.2131:                             ;   in Loop: Header=BB460_1375 Depth=1
	v_bfe_u32 v7, v3, 16, 7
	v_mov_b32_e32 v6, 0x7f800001
	s_mov_b32 s13, exec_lo
	s_delay_alu instid0(VALU_DEP_2)
	v_cmpx_ne_u32_e32 0x7f, v7
	s_cbranch_execz .LBB460_2135
; %bb.2132:                             ;   in Loop: Header=BB460_1375 Depth=1
	v_and_b32_e32 v9, 7, v162
	v_lshrrev_b32_e32 v163, 3, v7
	v_cmp_gt_u32_e64 s0, 8, v7
	s_delay_alu instid0(VALU_DEP_3) | instskip(NEXT) | instid1(VALU_DEP_2)
	v_dual_mov_b32 v6, v9 :: v_dual_mov_b32 v7, v10
	s_and_saveexec_b32 s15, s0
; %bb.2133:                             ;   in Loop: Header=BB460_1375 Depth=1
	v_clz_i32_u32_e32 v6, v9
	s_delay_alu instid0(VALU_DEP_1) | instskip(NEXT) | instid1(VALU_DEP_1)
	v_min_u32_e32 v163, 32, v6
	v_subrev_nc_u32_e32 v6, 28, v163
	v_sub_nc_u32_e32 v163, 29, v163
	s_delay_alu instid0(VALU_DEP_2) | instskip(NEXT) | instid1(VALU_DEP_1)
	v_lshlrev_b64 v[6:7], v6, v[9:10]
	v_and_b32_e32 v6, 7, v6
; %bb.2134:                             ;   in Loop: Header=BB460_1375 Depth=1
	s_or_b32 exec_lo, exec_lo, s15
	v_lshlrev_b32_e32 v7, 24, v162
	s_delay_alu instid0(VALU_DEP_2) | instskip(SKIP_1) | instid1(VALU_DEP_3)
	v_lshlrev_b32_e32 v6, 20, v6
	v_lshl_add_u32 v9, v163, 23, 0x3c000000
	v_and_b32_e32 v7, 0x80000000, v7
	s_delay_alu instid0(VALU_DEP_1)
	v_or3_b32 v6, v6, v7, v9
.LBB460_2135:                           ;   in Loop: Header=BB460_1375 Depth=1
	s_or_b32 exec_lo, exec_lo, s13
.LBB460_2136:                           ;   in Loop: Header=BB460_1375 Depth=1
	s_delay_alu instid0(SALU_CYCLE_1)
	s_or_b32 exec_lo, exec_lo, s12
.LBB460_2137:                           ;   in Loop: Header=BB460_1375 Depth=1
	s_delay_alu instid0(SALU_CYCLE_1) | instskip(NEXT) | instid1(VALU_DEP_1)
	s_or_b32 exec_lo, exec_lo, s9
	v_mul_f32_e32 v6, v26, v6
                                        ; implicit-def: $vgpr162
	s_delay_alu instid0(VALU_DEP_1) | instskip(NEXT) | instid1(VALU_DEP_1)
	v_and_b32_e32 v7, 0x7f800000, v6
	v_cmp_ne_u32_e64 s0, 0x7f800000, v7
	s_delay_alu instid0(VALU_DEP_1) | instskip(NEXT) | instid1(SALU_CYCLE_1)
	s_and_saveexec_b32 s9, s0
	s_xor_b32 s0, exec_lo, s9
; %bb.2138:                             ;   in Loop: Header=BB460_1375 Depth=1
	v_bfe_u32 v7, v6, 16, 1
	s_delay_alu instid0(VALU_DEP_1)
	v_add3_u32 v162, v6, v7, 0x7fff
                                        ; implicit-def: $vgpr6
; %bb.2139:                             ;   in Loop: Header=BB460_1375 Depth=1
	s_and_not1_saveexec_b32 s9, s0
; %bb.2140:                             ;   in Loop: Header=BB460_1375 Depth=1
	v_and_b32_e32 v7, 0xffff, v6
	v_or_b32_e32 v9, 0x10000, v6
	s_delay_alu instid0(VALU_DEP_2) | instskip(NEXT) | instid1(VALU_DEP_1)
	v_cmp_eq_u32_e64 s0, 0, v7
	v_cndmask_b32_e64 v162, v9, v6, s0
; %bb.2141:                             ;   in Loop: Header=BB460_1375 Depth=1
	s_or_b32 exec_lo, exec_lo, s9
	v_cmp_lt_u64_e64 s0, s[2:3], v[2:3]
	v_mov_b32_e32 v2, 0
	s_delay_alu instid0(VALU_DEP_2)
	s_and_saveexec_b32 s9, s0
	s_cbranch_execz .LBB460_2149
; %bb.2142:                             ;   in Loop: Header=BB460_1375 Depth=1
	v_lshrrev_b32_e32 v6, 24, v3
	v_bfrev_b32_e32 v2, 1
	s_mov_b32 s12, exec_lo
	s_delay_alu instid0(VALU_DEP_2)
	v_cmpx_ne_u32_e32 0x80, v6
	s_cbranch_execz .LBB460_2148
; %bb.2143:                             ;   in Loop: Header=BB460_1375 Depth=1
	v_bfe_u32 v3, v3, 24, 7
	v_mov_b32_e32 v2, 0x7f800001
	s_mov_b32 s13, exec_lo
	s_delay_alu instid0(VALU_DEP_2)
	v_cmpx_ne_u32_e32 0x7f, v3
	s_cbranch_execz .LBB460_2147
; %bb.2144:                             ;   in Loop: Header=BB460_1375 Depth=1
	v_and_b32_e32 v9, 7, v6
	v_lshrrev_b32_e32 v7, 3, v3
	v_cmp_gt_u32_e64 s0, 8, v3
	s_delay_alu instid0(VALU_DEP_3) | instskip(NEXT) | instid1(VALU_DEP_2)
	v_dual_mov_b32 v2, v9 :: v_dual_mov_b32 v3, v10
	s_and_saveexec_b32 s15, s0
; %bb.2145:                             ;   in Loop: Header=BB460_1375 Depth=1
	v_clz_i32_u32_e32 v2, v9
	s_delay_alu instid0(VALU_DEP_1) | instskip(NEXT) | instid1(VALU_DEP_1)
	v_min_u32_e32 v7, 32, v2
	v_subrev_nc_u32_e32 v2, 28, v7
	v_sub_nc_u32_e32 v7, 29, v7
	s_delay_alu instid0(VALU_DEP_2) | instskip(NEXT) | instid1(VALU_DEP_1)
	v_lshlrev_b64 v[2:3], v2, v[9:10]
	v_and_b32_e32 v2, 7, v2
; %bb.2146:                             ;   in Loop: Header=BB460_1375 Depth=1
	s_or_b32 exec_lo, exec_lo, s15
	v_lshlrev_b32_e32 v3, 24, v6
	s_delay_alu instid0(VALU_DEP_2) | instskip(SKIP_1) | instid1(VALU_DEP_3)
	v_lshlrev_b32_e32 v2, 20, v2
	v_lshl_add_u32 v6, v7, 23, 0x3c000000
	v_and_b32_e32 v3, 0x80000000, v3
	s_delay_alu instid0(VALU_DEP_1)
	v_or3_b32 v2, v2, v3, v6
.LBB460_2147:                           ;   in Loop: Header=BB460_1375 Depth=1
	s_or_b32 exec_lo, exec_lo, s13
.LBB460_2148:                           ;   in Loop: Header=BB460_1375 Depth=1
	s_delay_alu instid0(SALU_CYCLE_1)
	s_or_b32 exec_lo, exec_lo, s12
.LBB460_2149:                           ;   in Loop: Header=BB460_1375 Depth=1
	s_delay_alu instid0(SALU_CYCLE_1) | instskip(NEXT) | instid1(VALU_DEP_1)
	s_or_b32 exec_lo, exec_lo, s9
	v_mul_f32_e32 v3, v26, v2
	s_delay_alu instid0(VALU_DEP_1) | instskip(NEXT) | instid1(VALU_DEP_1)
	v_and_b32_e32 v2, 0x7f800000, v3
	v_cmp_ne_u32_e64 s0, 0x7f800000, v2
                                        ; implicit-def: $vgpr2
	s_delay_alu instid0(VALU_DEP_1) | instskip(NEXT) | instid1(SALU_CYCLE_1)
	s_and_saveexec_b32 s9, s0
	s_xor_b32 s0, exec_lo, s9
; %bb.2150:                             ;   in Loop: Header=BB460_1375 Depth=1
	v_bfe_u32 v2, v3, 16, 1
	s_delay_alu instid0(VALU_DEP_1)
	v_add3_u32 v2, v3, v2, 0x7fff
                                        ; implicit-def: $vgpr3
; %bb.2151:                             ;   in Loop: Header=BB460_1375 Depth=1
	s_and_not1_saveexec_b32 s9, s0
; %bb.2152:                             ;   in Loop: Header=BB460_1375 Depth=1
	v_and_b32_e32 v2, 0xffff, v3
	v_or_b32_e32 v6, 0x10000, v3
	s_delay_alu instid0(VALU_DEP_2) | instskip(NEXT) | instid1(VALU_DEP_1)
	v_cmp_eq_u32_e64 s0, 0, v2
	v_cndmask_b32_e64 v2, v6, v3, s0
; %bb.2153:                             ;   in Loop: Header=BB460_1375 Depth=1
	s_or_b32 exec_lo, exec_lo, s9
	v_lshrrev_b32_e32 v6, 16, v161
	v_lshrrev_b32_e32 v7, 16, v35
	;; [unrolled: 1-line block ×8, first 2 shown]
	s_and_saveexec_b32 s9, vcc_lo
	s_cbranch_execz .LBB460_2155
; %bb.2154:                             ;   in Loop: Header=BB460_1375 Depth=1
	v_cmp_lt_i32_e64 s0, v66, v36
	s_delay_alu instid0(VALU_DEP_1) | instskip(SKIP_1) | instid1(VALU_DEP_1)
	v_cndmask_b32_e64 v4, 0, v4, s0
	v_cmp_lt_i32_e64 s0, v80, v36
	v_cndmask_b32_e64 v5, 0, v5, s0
	v_cmp_lt_i32_e64 s0, v71, v36
	s_delay_alu instid0(VALU_DEP_1) | instskip(SKIP_1) | instid1(VALU_DEP_1)
	v_cndmask_b32_e64 v23, 0, v23, s0
	v_cmp_lt_i32_e64 s0, v70, v36
	v_cndmask_b32_e64 v9, 0, v9, s0
	;; [unrolled: 5-line block ×4, first 2 shown]
.LBB460_2155:                           ;   in Loop: Header=BB460_1375 Depth=1
	s_or_b32 exec_lo, exec_lo, s9
	v_lshlrev_b32_e32 v4, 16, v4
                                        ; implicit-def: $vgpr161
	s_delay_alu instid0(VALU_DEP_1) | instskip(NEXT) | instid1(VALU_DEP_1)
	v_mul_f32_e32 v4, v81, v4
	v_and_b32_e32 v34, 0x7f800000, v4
	s_delay_alu instid0(VALU_DEP_1) | instskip(NEXT) | instid1(VALU_DEP_1)
	v_cmp_ne_u32_e64 s0, 0x7f800000, v34
	s_and_saveexec_b32 s9, s0
	s_delay_alu instid0(SALU_CYCLE_1)
	s_xor_b32 s0, exec_lo, s9
; %bb.2156:                             ;   in Loop: Header=BB460_1375 Depth=1
	v_bfe_u32 v34, v4, 16, 1
	s_delay_alu instid0(VALU_DEP_1)
	v_add3_u32 v161, v4, v34, 0x7fff
                                        ; implicit-def: $vgpr4
; %bb.2157:                             ;   in Loop: Header=BB460_1375 Depth=1
	s_and_not1_saveexec_b32 s9, s0
; %bb.2158:                             ;   in Loop: Header=BB460_1375 Depth=1
	v_and_b32_e32 v34, 0xffff, v4
	v_or_b32_e32 v35, 0x10000, v4
	s_delay_alu instid0(VALU_DEP_2) | instskip(NEXT) | instid1(VALU_DEP_1)
	v_cmp_eq_u32_e64 s0, 0, v34
	v_cndmask_b32_e64 v161, v35, v4, s0
; %bb.2159:                             ;   in Loop: Header=BB460_1375 Depth=1
	s_or_b32 exec_lo, exec_lo, s9
	v_lshlrev_b32_e32 v4, 16, v5
                                        ; implicit-def: $vgpr162
	s_delay_alu instid0(VALU_DEP_1) | instskip(NEXT) | instid1(VALU_DEP_1)
	v_mul_f32_e32 v4, v82, v4
	v_and_b32_e32 v5, 0x7f800000, v4
	s_delay_alu instid0(VALU_DEP_1) | instskip(NEXT) | instid1(VALU_DEP_1)
	v_cmp_ne_u32_e64 s0, 0x7f800000, v5
	s_and_saveexec_b32 s9, s0
	s_delay_alu instid0(SALU_CYCLE_1)
	s_xor_b32 s0, exec_lo, s9
; %bb.2160:                             ;   in Loop: Header=BB460_1375 Depth=1
	v_bfe_u32 v5, v4, 16, 1
	s_delay_alu instid0(VALU_DEP_1)
	v_add3_u32 v162, v4, v5, 0x7fff
                                        ; implicit-def: $vgpr4
; %bb.2161:                             ;   in Loop: Header=BB460_1375 Depth=1
	s_and_not1_saveexec_b32 s9, s0
; %bb.2162:                             ;   in Loop: Header=BB460_1375 Depth=1
	v_and_b32_e32 v5, 0xffff, v4
	v_or_b32_e32 v34, 0x10000, v4
	s_delay_alu instid0(VALU_DEP_2) | instskip(NEXT) | instid1(VALU_DEP_1)
	v_cmp_eq_u32_e64 s0, 0, v5
	v_cndmask_b32_e64 v162, v34, v4, s0
; %bb.2163:                             ;   in Loop: Header=BB460_1375 Depth=1
	s_or_b32 exec_lo, exec_lo, s9
	v_lshlrev_b32_e32 v4, 16, v23
                                        ; implicit-def: $vgpr163
	s_delay_alu instid0(VALU_DEP_1) | instskip(NEXT) | instid1(VALU_DEP_1)
	v_mul_f32_e32 v4, v83, v4
	v_and_b32_e32 v5, 0x7f800000, v4
	s_delay_alu instid0(VALU_DEP_1) | instskip(NEXT) | instid1(VALU_DEP_1)
	v_cmp_ne_u32_e64 s0, 0x7f800000, v5
	s_and_saveexec_b32 s9, s0
	s_delay_alu instid0(SALU_CYCLE_1)
	s_xor_b32 s0, exec_lo, s9
; %bb.2164:                             ;   in Loop: Header=BB460_1375 Depth=1
	v_bfe_u32 v5, v4, 16, 1
	s_delay_alu instid0(VALU_DEP_1)
	v_add3_u32 v163, v4, v5, 0x7fff
                                        ; implicit-def: $vgpr4
; %bb.2165:                             ;   in Loop: Header=BB460_1375 Depth=1
	s_and_not1_saveexec_b32 s9, s0
; %bb.2166:                             ;   in Loop: Header=BB460_1375 Depth=1
	v_and_b32_e32 v5, 0xffff, v4
	v_or_b32_e32 v23, 0x10000, v4
	s_delay_alu instid0(VALU_DEP_2) | instskip(NEXT) | instid1(VALU_DEP_1)
	v_cmp_eq_u32_e64 s0, 0, v5
	v_cndmask_b32_e64 v163, v23, v4, s0
; %bb.2167:                             ;   in Loop: Header=BB460_1375 Depth=1
	s_or_b32 exec_lo, exec_lo, s9
	v_lshlrev_b32_e32 v4, 16, v9
                                        ; implicit-def: $vgpr164
	s_delay_alu instid0(VALU_DEP_1) | instskip(NEXT) | instid1(VALU_DEP_1)
	v_mul_f32_e32 v4, v84, v4
	v_and_b32_e32 v5, 0x7f800000, v4
	s_delay_alu instid0(VALU_DEP_1) | instskip(NEXT) | instid1(VALU_DEP_1)
	v_cmp_ne_u32_e64 s0, 0x7f800000, v5
	s_and_saveexec_b32 s9, s0
	s_delay_alu instid0(SALU_CYCLE_1)
	s_xor_b32 s0, exec_lo, s9
; %bb.2168:                             ;   in Loop: Header=BB460_1375 Depth=1
	v_bfe_u32 v5, v4, 16, 1
	s_delay_alu instid0(VALU_DEP_1)
	v_add3_u32 v164, v4, v5, 0x7fff
                                        ; implicit-def: $vgpr4
; %bb.2169:                             ;   in Loop: Header=BB460_1375 Depth=1
	s_and_not1_saveexec_b32 s9, s0
; %bb.2170:                             ;   in Loop: Header=BB460_1375 Depth=1
	v_and_b32_e32 v5, 0xffff, v4
	v_or_b32_e32 v9, 0x10000, v4
	s_delay_alu instid0(VALU_DEP_2) | instskip(NEXT) | instid1(VALU_DEP_1)
	v_cmp_eq_u32_e64 s0, 0, v5
	v_cndmask_b32_e64 v164, v9, v4, s0
; %bb.2171:                             ;   in Loop: Header=BB460_1375 Depth=1
	s_or_b32 exec_lo, exec_lo, s9
	v_lshlrev_b32_e32 v4, 16, v7
                                        ; implicit-def: $vgpr165
	s_delay_alu instid0(VALU_DEP_1) | instskip(NEXT) | instid1(VALU_DEP_1)
	v_mul_f32_e32 v4, v85, v4
	v_and_b32_e32 v5, 0x7f800000, v4
	s_delay_alu instid0(VALU_DEP_1) | instskip(NEXT) | instid1(VALU_DEP_1)
	v_cmp_ne_u32_e64 s0, 0x7f800000, v5
	s_and_saveexec_b32 s9, s0
	s_delay_alu instid0(SALU_CYCLE_1)
	s_xor_b32 s0, exec_lo, s9
; %bb.2172:                             ;   in Loop: Header=BB460_1375 Depth=1
	v_bfe_u32 v5, v4, 16, 1
	s_delay_alu instid0(VALU_DEP_1)
	v_add3_u32 v165, v4, v5, 0x7fff
                                        ; implicit-def: $vgpr4
; %bb.2173:                             ;   in Loop: Header=BB460_1375 Depth=1
	s_and_not1_saveexec_b32 s9, s0
; %bb.2174:                             ;   in Loop: Header=BB460_1375 Depth=1
	v_and_b32_e32 v5, 0xffff, v4
	v_or_b32_e32 v7, 0x10000, v4
	s_delay_alu instid0(VALU_DEP_2) | instskip(NEXT) | instid1(VALU_DEP_1)
	v_cmp_eq_u32_e64 s0, 0, v5
	v_cndmask_b32_e64 v165, v7, v4, s0
; %bb.2175:                             ;   in Loop: Header=BB460_1375 Depth=1
	s_or_b32 exec_lo, exec_lo, s9
	v_lshlrev_b32_e32 v4, 16, v6
                                        ; implicit-def: $vgpr166
	s_delay_alu instid0(VALU_DEP_1) | instskip(NEXT) | instid1(VALU_DEP_1)
	v_mul_f32_e32 v4, v86, v4
	v_and_b32_e32 v5, 0x7f800000, v4
	s_delay_alu instid0(VALU_DEP_1) | instskip(NEXT) | instid1(VALU_DEP_1)
	v_cmp_ne_u32_e64 s0, 0x7f800000, v5
	s_and_saveexec_b32 s9, s0
	s_delay_alu instid0(SALU_CYCLE_1)
	s_xor_b32 s0, exec_lo, s9
; %bb.2176:                             ;   in Loop: Header=BB460_1375 Depth=1
	v_bfe_u32 v5, v4, 16, 1
	s_delay_alu instid0(VALU_DEP_1)
	v_add3_u32 v166, v4, v5, 0x7fff
                                        ; implicit-def: $vgpr4
; %bb.2177:                             ;   in Loop: Header=BB460_1375 Depth=1
	s_and_not1_saveexec_b32 s9, s0
; %bb.2178:                             ;   in Loop: Header=BB460_1375 Depth=1
	v_and_b32_e32 v5, 0xffff, v4
	v_or_b32_e32 v6, 0x10000, v4
	s_delay_alu instid0(VALU_DEP_2) | instskip(NEXT) | instid1(VALU_DEP_1)
	v_cmp_eq_u32_e64 s0, 0, v5
	v_cndmask_b32_e64 v166, v6, v4, s0
; %bb.2179:                             ;   in Loop: Header=BB460_1375 Depth=1
	s_or_b32 exec_lo, exec_lo, s9
	v_lshlrev_b32_e32 v3, 16, v3
                                        ; implicit-def: $vgpr167
	s_delay_alu instid0(VALU_DEP_1) | instskip(NEXT) | instid1(VALU_DEP_1)
	v_mul_f32_e32 v3, v87, v3
	v_and_b32_e32 v4, 0x7f800000, v3
	s_delay_alu instid0(VALU_DEP_1) | instskip(NEXT) | instid1(VALU_DEP_1)
	v_cmp_ne_u32_e64 s0, 0x7f800000, v4
	s_and_saveexec_b32 s9, s0
	s_delay_alu instid0(SALU_CYCLE_1)
	s_xor_b32 s0, exec_lo, s9
; %bb.2180:                             ;   in Loop: Header=BB460_1375 Depth=1
	v_bfe_u32 v4, v3, 16, 1
	s_delay_alu instid0(VALU_DEP_1)
	v_add3_u32 v167, v3, v4, 0x7fff
                                        ; implicit-def: $vgpr3
; %bb.2181:                             ;   in Loop: Header=BB460_1375 Depth=1
	s_and_not1_saveexec_b32 s9, s0
; %bb.2182:                             ;   in Loop: Header=BB460_1375 Depth=1
	v_and_b32_e32 v4, 0xffff, v3
	v_or_b32_e32 v5, 0x10000, v3
	s_delay_alu instid0(VALU_DEP_2) | instskip(NEXT) | instid1(VALU_DEP_1)
	v_cmp_eq_u32_e64 s0, 0, v4
	v_cndmask_b32_e64 v167, v5, v3, s0
; %bb.2183:                             ;   in Loop: Header=BB460_1375 Depth=1
	s_or_b32 exec_lo, exec_lo, s9
	v_lshlrev_b32_e32 v2, 16, v2
                                        ; implicit-def: $vgpr176
	s_delay_alu instid0(VALU_DEP_1) | instskip(NEXT) | instid1(VALU_DEP_1)
	v_mul_f32_e32 v2, v96, v2
	v_and_b32_e32 v3, 0x7f800000, v2
	s_delay_alu instid0(VALU_DEP_1) | instskip(NEXT) | instid1(VALU_DEP_1)
	v_cmp_ne_u32_e64 s0, 0x7f800000, v3
	s_and_saveexec_b32 s9, s0
	s_delay_alu instid0(SALU_CYCLE_1)
	s_xor_b32 s0, exec_lo, s9
; %bb.2184:                             ;   in Loop: Header=BB460_1375 Depth=1
	v_bfe_u32 v3, v2, 16, 1
	s_delay_alu instid0(VALU_DEP_1)
	v_add3_u32 v176, v2, v3, 0x7fff
                                        ; implicit-def: $vgpr2
; %bb.2185:                             ;   in Loop: Header=BB460_1375 Depth=1
	s_and_not1_saveexec_b32 s9, s0
; %bb.2186:                             ;   in Loop: Header=BB460_1375 Depth=1
	v_and_b32_e32 v3, 0xffff, v2
	v_or_b32_e32 v4, 0x10000, v2
	s_delay_alu instid0(VALU_DEP_2) | instskip(NEXT) | instid1(VALU_DEP_1)
	v_cmp_eq_u32_e64 s0, 0, v3
	v_cndmask_b32_e64 v176, v4, v2, s0
; %bb.2187:                             ;   in Loop: Header=BB460_1375 Depth=1
	s_or_b32 exec_lo, exec_lo, s9
	flat_load_b64 v[2:3], v[0:1] offset:1536
	s_mov_b32 s9, exec_lo
	s_waitcnt vmcnt(0) lgkmcnt(0)
	v_dual_mov_b32 v4, 0 :: v_dual_and_b32 v5, 0xff, v2
	s_delay_alu instid0(VALU_DEP_1)
	v_cmpx_ne_u16_e32 0, v5
	s_cbranch_execz .LBB460_2195
; %bb.2188:                             ;   in Loop: Header=BB460_1375 Depth=1
	v_bfrev_b32_e32 v4, 1
	s_mov_b32 s12, exec_lo
	v_cmpx_ne_u16_e32 0x80, v5
	s_cbranch_execz .LBB460_2194
; %bb.2189:                             ;   in Loop: Header=BB460_1375 Depth=1
	v_and_b32_e32 v5, 0x7f, v2
	v_mov_b32_e32 v4, 0x7f800001
	s_mov_b32 s13, exec_lo
	s_delay_alu instid0(VALU_DEP_2)
	v_cmpx_ne_u32_e32 0x7f, v5
	s_cbranch_execz .LBB460_2193
; %bb.2190:                             ;   in Loop: Header=BB460_1375 Depth=1
	v_lshrrev_b32_e32 v4, 3, v5
	v_dual_mov_b32 v7, v3 :: v_dual_mov_b32 v6, v2
	s_mov_b32 s15, exec_lo
	v_cmpx_gt_u32_e32 8, v5
; %bb.2191:                             ;   in Loop: Header=BB460_1375 Depth=1
	v_and_b32_e32 v4, 7, v2
	s_delay_alu instid0(VALU_DEP_1) | instskip(NEXT) | instid1(VALU_DEP_1)
	v_clz_i32_u32_e32 v4, v4
	v_min_u32_e32 v4, 32, v4
	s_delay_alu instid0(VALU_DEP_1) | instskip(SKIP_1) | instid1(VALU_DEP_2)
	v_subrev_nc_u32_e32 v5, 28, v4
	v_sub_nc_u32_e32 v4, 29, v4
	v_lshlrev_b64 v[6:7], v5, v[2:3]
; %bb.2192:                             ;   in Loop: Header=BB460_1375 Depth=1
	s_or_b32 exec_lo, exec_lo, s15
	s_delay_alu instid0(VALU_DEP_1) | instskip(SKIP_2) | instid1(VALU_DEP_3)
	v_lshlrev_b32_e32 v5, 20, v6
	v_lshlrev_b32_e32 v6, 24, v2
	v_lshl_add_u32 v4, v4, 23, 0x3c000000
	v_and_b32_e32 v5, 0x700000, v5
	s_delay_alu instid0(VALU_DEP_3) | instskip(NEXT) | instid1(VALU_DEP_1)
	v_and_b32_e32 v6, 0x80000000, v6
	v_or3_b32 v4, v5, v6, v4
.LBB460_2193:                           ;   in Loop: Header=BB460_1375 Depth=1
	s_or_b32 exec_lo, exec_lo, s13
.LBB460_2194:                           ;   in Loop: Header=BB460_1375 Depth=1
	s_delay_alu instid0(SALU_CYCLE_1)
	s_or_b32 exec_lo, exec_lo, s12
.LBB460_2195:                           ;   in Loop: Header=BB460_1375 Depth=1
	s_delay_alu instid0(SALU_CYCLE_1) | instskip(NEXT) | instid1(VALU_DEP_1)
	s_or_b32 exec_lo, exec_lo, s9
	v_mul_f32_e32 v5, v26, v4
	s_delay_alu instid0(VALU_DEP_1) | instskip(NEXT) | instid1(VALU_DEP_1)
	v_and_b32_e32 v4, 0x7f800000, v5
	v_cmp_ne_u32_e64 s0, 0x7f800000, v4
                                        ; implicit-def: $vgpr4
	s_delay_alu instid0(VALU_DEP_1) | instskip(NEXT) | instid1(SALU_CYCLE_1)
	s_and_saveexec_b32 s9, s0
	s_xor_b32 s0, exec_lo, s9
; %bb.2196:                             ;   in Loop: Header=BB460_1375 Depth=1
	v_bfe_u32 v4, v5, 16, 1
	s_delay_alu instid0(VALU_DEP_1)
	v_add3_u32 v4, v5, v4, 0x7fff
                                        ; implicit-def: $vgpr5
; %bb.2197:                             ;   in Loop: Header=BB460_1375 Depth=1
	s_and_not1_saveexec_b32 s9, s0
; %bb.2198:                             ;   in Loop: Header=BB460_1375 Depth=1
	v_and_b32_e32 v4, 0xffff, v5
	v_or_b32_e32 v6, 0x10000, v5
	s_delay_alu instid0(VALU_DEP_2) | instskip(NEXT) | instid1(VALU_DEP_1)
	v_cmp_eq_u32_e64 s0, 0, v4
	v_cndmask_b32_e64 v4, v6, v5, s0
; %bb.2199:                             ;   in Loop: Header=BB460_1375 Depth=1
	s_or_b32 exec_lo, exec_lo, s9
	v_lshrrev_b16 v6, 8, v2
	v_mov_b32_e32 v5, 0
	s_mov_b32 s9, exec_lo
	s_delay_alu instid0(VALU_DEP_2)
	v_cmpx_ne_u16_e32 0, v6
	s_cbranch_execz .LBB460_2207
; %bb.2200:                             ;   in Loop: Header=BB460_1375 Depth=1
	v_bfrev_b32_e32 v5, 1
	s_mov_b32 s12, exec_lo
	v_cmpx_ne_u16_e32 0x80, v6
	s_cbranch_execz .LBB460_2206
; %bb.2201:                             ;   in Loop: Header=BB460_1375 Depth=1
	v_and_b32_e32 v7, 0xffff, v6
	v_mov_b32_e32 v5, 0x7f800001
	s_mov_b32 s13, exec_lo
	s_delay_alu instid0(VALU_DEP_2) | instskip(NEXT) | instid1(VALU_DEP_1)
	v_and_b32_e32 v6, 0x7f, v7
	v_cmpx_ne_u32_e32 0x7f, v6
	s_cbranch_execz .LBB460_2205
; %bb.2202:                             ;   in Loop: Header=BB460_1375 Depth=1
	v_and_b32_e32 v9, 7, v7
	v_lshrrev_b32_e32 v5, 3, v6
	v_cmp_gt_u32_e64 s0, 8, v6
	s_delay_alu instid0(VALU_DEP_3) | instskip(NEXT) | instid1(VALU_DEP_2)
	v_dual_mov_b32 v6, v9 :: v_dual_mov_b32 v7, v10
	s_and_saveexec_b32 s15, s0
; %bb.2203:                             ;   in Loop: Header=BB460_1375 Depth=1
	v_clz_i32_u32_e32 v5, v9
	s_delay_alu instid0(VALU_DEP_1) | instskip(NEXT) | instid1(VALU_DEP_1)
	v_min_u32_e32 v5, 32, v5
	v_subrev_nc_u32_e32 v6, 28, v5
	v_sub_nc_u32_e32 v5, 29, v5
	s_delay_alu instid0(VALU_DEP_2) | instskip(NEXT) | instid1(VALU_DEP_1)
	v_lshlrev_b64 v[6:7], v6, v[9:10]
	v_and_b32_e32 v6, 7, v6
; %bb.2204:                             ;   in Loop: Header=BB460_1375 Depth=1
	s_or_b32 exec_lo, exec_lo, s15
	v_lshlrev_b32_e32 v7, 16, v2
	s_delay_alu instid0(VALU_DEP_2) | instskip(SKIP_1) | instid1(VALU_DEP_3)
	v_lshlrev_b32_e32 v6, 20, v6
	v_lshl_add_u32 v5, v5, 23, 0x3c000000
	v_and_b32_e32 v7, 0x80000000, v7
	s_delay_alu instid0(VALU_DEP_1)
	v_or3_b32 v5, v6, v7, v5
.LBB460_2205:                           ;   in Loop: Header=BB460_1375 Depth=1
	s_or_b32 exec_lo, exec_lo, s13
.LBB460_2206:                           ;   in Loop: Header=BB460_1375 Depth=1
	s_delay_alu instid0(SALU_CYCLE_1)
	s_or_b32 exec_lo, exec_lo, s12
.LBB460_2207:                           ;   in Loop: Header=BB460_1375 Depth=1
	s_delay_alu instid0(SALU_CYCLE_1) | instskip(NEXT) | instid1(VALU_DEP_1)
	s_or_b32 exec_lo, exec_lo, s9
	v_mul_f32_e32 v6, v26, v5
	s_delay_alu instid0(VALU_DEP_1) | instskip(NEXT) | instid1(VALU_DEP_1)
	v_and_b32_e32 v5, 0x7f800000, v6
	v_cmp_ne_u32_e64 s0, 0x7f800000, v5
                                        ; implicit-def: $vgpr5
	s_delay_alu instid0(VALU_DEP_1) | instskip(NEXT) | instid1(SALU_CYCLE_1)
	s_and_saveexec_b32 s9, s0
	s_xor_b32 s0, exec_lo, s9
; %bb.2208:                             ;   in Loop: Header=BB460_1375 Depth=1
	v_bfe_u32 v5, v6, 16, 1
	s_delay_alu instid0(VALU_DEP_1)
	v_add3_u32 v5, v6, v5, 0x7fff
                                        ; implicit-def: $vgpr6
; %bb.2209:                             ;   in Loop: Header=BB460_1375 Depth=1
	s_and_not1_saveexec_b32 s9, s0
; %bb.2210:                             ;   in Loop: Header=BB460_1375 Depth=1
	v_and_b32_e32 v5, 0xffff, v6
	v_or_b32_e32 v7, 0x10000, v6
	s_delay_alu instid0(VALU_DEP_2) | instskip(NEXT) | instid1(VALU_DEP_1)
	v_cmp_eq_u32_e64 s0, 0, v5
	v_cndmask_b32_e64 v5, v7, v6, s0
; %bb.2211:                             ;   in Loop: Header=BB460_1375 Depth=1
	s_or_b32 exec_lo, exec_lo, s9
	v_lshrrev_b32_e32 v23, 16, v2
	s_mov_b32 s9, exec_lo
	s_delay_alu instid0(VALU_DEP_1) | instskip(NEXT) | instid1(VALU_DEP_1)
	v_dual_mov_b32 v6, 0 :: v_dual_and_b32 v7, 0xff, v23
	v_cmpx_ne_u16_e32 0, v7
	s_cbranch_execz .LBB460_2219
; %bb.2212:                             ;   in Loop: Header=BB460_1375 Depth=1
	v_bfrev_b32_e32 v6, 1
	s_mov_b32 s12, exec_lo
	v_cmpx_ne_u16_e32 0x80, v7
	s_cbranch_execz .LBB460_2218
; %bb.2213:                             ;   in Loop: Header=BB460_1375 Depth=1
	v_bfe_u32 v7, v2, 16, 7
	v_mov_b32_e32 v6, 0x7f800001
	s_mov_b32 s13, exec_lo
	s_delay_alu instid0(VALU_DEP_2)
	v_cmpx_ne_u32_e32 0x7f, v7
	s_cbranch_execz .LBB460_2217
; %bb.2214:                             ;   in Loop: Header=BB460_1375 Depth=1
	v_and_b32_e32 v9, 7, v23
	v_lshrrev_b32_e32 v34, 3, v7
	v_cmp_gt_u32_e64 s0, 8, v7
	s_delay_alu instid0(VALU_DEP_3) | instskip(NEXT) | instid1(VALU_DEP_2)
	v_dual_mov_b32 v6, v9 :: v_dual_mov_b32 v7, v10
	s_and_saveexec_b32 s15, s0
; %bb.2215:                             ;   in Loop: Header=BB460_1375 Depth=1
	v_clz_i32_u32_e32 v6, v9
	s_delay_alu instid0(VALU_DEP_1) | instskip(NEXT) | instid1(VALU_DEP_1)
	v_min_u32_e32 v34, 32, v6
	v_subrev_nc_u32_e32 v6, 28, v34
	v_sub_nc_u32_e32 v34, 29, v34
	s_delay_alu instid0(VALU_DEP_2) | instskip(NEXT) | instid1(VALU_DEP_1)
	v_lshlrev_b64 v[6:7], v6, v[9:10]
	v_and_b32_e32 v6, 7, v6
; %bb.2216:                             ;   in Loop: Header=BB460_1375 Depth=1
	s_or_b32 exec_lo, exec_lo, s15
	v_lshlrev_b32_e32 v7, 24, v23
	s_delay_alu instid0(VALU_DEP_2) | instskip(SKIP_1) | instid1(VALU_DEP_3)
	v_lshlrev_b32_e32 v6, 20, v6
	v_lshl_add_u32 v9, v34, 23, 0x3c000000
	v_and_b32_e32 v7, 0x80000000, v7
	s_delay_alu instid0(VALU_DEP_1)
	v_or3_b32 v6, v6, v7, v9
.LBB460_2217:                           ;   in Loop: Header=BB460_1375 Depth=1
	s_or_b32 exec_lo, exec_lo, s13
.LBB460_2218:                           ;   in Loop: Header=BB460_1375 Depth=1
	s_delay_alu instid0(SALU_CYCLE_1)
	s_or_b32 exec_lo, exec_lo, s12
.LBB460_2219:                           ;   in Loop: Header=BB460_1375 Depth=1
	s_delay_alu instid0(SALU_CYCLE_1) | instskip(NEXT) | instid1(VALU_DEP_1)
	s_or_b32 exec_lo, exec_lo, s9
	v_mul_f32_e32 v6, v26, v6
                                        ; implicit-def: $vgpr23
	s_delay_alu instid0(VALU_DEP_1) | instskip(NEXT) | instid1(VALU_DEP_1)
	v_and_b32_e32 v7, 0x7f800000, v6
	v_cmp_ne_u32_e64 s0, 0x7f800000, v7
	s_delay_alu instid0(VALU_DEP_1) | instskip(NEXT) | instid1(SALU_CYCLE_1)
	s_and_saveexec_b32 s9, s0
	s_xor_b32 s0, exec_lo, s9
; %bb.2220:                             ;   in Loop: Header=BB460_1375 Depth=1
	v_bfe_u32 v7, v6, 16, 1
	s_delay_alu instid0(VALU_DEP_1)
	v_add3_u32 v23, v6, v7, 0x7fff
                                        ; implicit-def: $vgpr6
; %bb.2221:                             ;   in Loop: Header=BB460_1375 Depth=1
	s_and_not1_saveexec_b32 s9, s0
; %bb.2222:                             ;   in Loop: Header=BB460_1375 Depth=1
	v_and_b32_e32 v7, 0xffff, v6
	v_or_b32_e32 v9, 0x10000, v6
	s_delay_alu instid0(VALU_DEP_2) | instskip(NEXT) | instid1(VALU_DEP_1)
	v_cmp_eq_u32_e64 s0, 0, v7
	v_cndmask_b32_e64 v23, v9, v6, s0
; %bb.2223:                             ;   in Loop: Header=BB460_1375 Depth=1
	s_or_b32 exec_lo, exec_lo, s9
	v_mov_b32_e32 v6, 0
	s_mov_b32 s9, exec_lo
	v_cmpx_lt_u32_e32 0xffffff, v2
	s_cbranch_execz .LBB460_2231
; %bb.2224:                             ;   in Loop: Header=BB460_1375 Depth=1
	v_lshrrev_b32_e32 v34, 24, v2
	v_bfrev_b32_e32 v6, 1
	s_mov_b32 s12, exec_lo
	s_delay_alu instid0(VALU_DEP_2)
	v_cmpx_ne_u32_e32 0x80, v34
	s_cbranch_execz .LBB460_2230
; %bb.2225:                             ;   in Loop: Header=BB460_1375 Depth=1
	v_bfe_u32 v7, v2, 24, 7
	v_mov_b32_e32 v6, 0x7f800001
	s_mov_b32 s13, exec_lo
	s_delay_alu instid0(VALU_DEP_2)
	v_cmpx_ne_u32_e32 0x7f, v7
	s_cbranch_execz .LBB460_2229
; %bb.2226:                             ;   in Loop: Header=BB460_1375 Depth=1
	v_and_b32_e32 v9, 7, v34
	v_lshrrev_b32_e32 v35, 3, v7
	v_cmp_gt_u32_e64 s0, 8, v7
	s_delay_alu instid0(VALU_DEP_3) | instskip(NEXT) | instid1(VALU_DEP_2)
	v_dual_mov_b32 v6, v9 :: v_dual_mov_b32 v7, v10
	s_and_saveexec_b32 s15, s0
; %bb.2227:                             ;   in Loop: Header=BB460_1375 Depth=1
	v_clz_i32_u32_e32 v6, v9
	s_delay_alu instid0(VALU_DEP_1) | instskip(NEXT) | instid1(VALU_DEP_1)
	v_min_u32_e32 v35, 32, v6
	v_subrev_nc_u32_e32 v6, 28, v35
	v_sub_nc_u32_e32 v35, 29, v35
	s_delay_alu instid0(VALU_DEP_2) | instskip(NEXT) | instid1(VALU_DEP_1)
	v_lshlrev_b64 v[6:7], v6, v[9:10]
	v_and_b32_e32 v6, 7, v6
; %bb.2228:                             ;   in Loop: Header=BB460_1375 Depth=1
	s_or_b32 exec_lo, exec_lo, s15
	v_lshlrev_b32_e32 v7, 24, v34
	s_delay_alu instid0(VALU_DEP_2) | instskip(SKIP_1) | instid1(VALU_DEP_3)
	v_lshlrev_b32_e32 v6, 20, v6
	v_lshl_add_u32 v9, v35, 23, 0x3c000000
	v_and_b32_e32 v7, 0x80000000, v7
	s_delay_alu instid0(VALU_DEP_1)
	v_or3_b32 v6, v6, v7, v9
.LBB460_2229:                           ;   in Loop: Header=BB460_1375 Depth=1
	s_or_b32 exec_lo, exec_lo, s13
.LBB460_2230:                           ;   in Loop: Header=BB460_1375 Depth=1
	s_delay_alu instid0(SALU_CYCLE_1)
	s_or_b32 exec_lo, exec_lo, s12
.LBB460_2231:                           ;   in Loop: Header=BB460_1375 Depth=1
	s_delay_alu instid0(SALU_CYCLE_1) | instskip(NEXT) | instid1(VALU_DEP_1)
	s_or_b32 exec_lo, exec_lo, s9
	v_mul_f32_e32 v6, v26, v6
                                        ; implicit-def: $vgpr34
	s_delay_alu instid0(VALU_DEP_1) | instskip(NEXT) | instid1(VALU_DEP_1)
	v_and_b32_e32 v7, 0x7f800000, v6
	v_cmp_ne_u32_e64 s0, 0x7f800000, v7
	s_delay_alu instid0(VALU_DEP_1) | instskip(NEXT) | instid1(SALU_CYCLE_1)
	s_and_saveexec_b32 s9, s0
	s_xor_b32 s0, exec_lo, s9
; %bb.2232:                             ;   in Loop: Header=BB460_1375 Depth=1
	v_bfe_u32 v7, v6, 16, 1
	s_delay_alu instid0(VALU_DEP_1)
	v_add3_u32 v34, v6, v7, 0x7fff
                                        ; implicit-def: $vgpr6
; %bb.2233:                             ;   in Loop: Header=BB460_1375 Depth=1
	s_and_not1_saveexec_b32 s9, s0
; %bb.2234:                             ;   in Loop: Header=BB460_1375 Depth=1
	v_and_b32_e32 v7, 0xffff, v6
	v_or_b32_e32 v9, 0x10000, v6
	s_delay_alu instid0(VALU_DEP_2) | instskip(NEXT) | instid1(VALU_DEP_1)
	v_cmp_eq_u32_e64 s0, 0, v7
	v_cndmask_b32_e64 v34, v9, v6, s0
; %bb.2235:                             ;   in Loop: Header=BB460_1375 Depth=1
	s_or_b32 exec_lo, exec_lo, s9
	v_dual_mov_b32 v6, 0 :: v_dual_and_b32 v7, 0xff, v3
	v_mov_b32_e32 v9, v3
	s_mov_b32 s9, exec_lo
	s_delay_alu instid0(VALU_DEP_2)
	v_cmpx_ne_u16_e32 0, v7
	s_cbranch_execz .LBB460_2243
; %bb.2236:                             ;   in Loop: Header=BB460_1375 Depth=1
	v_bfrev_b32_e32 v6, 1
	s_mov_b32 s12, exec_lo
	v_cmpx_ne_u16_e32 0x80, v7
	s_cbranch_execz .LBB460_2242
; %bb.2237:                             ;   in Loop: Header=BB460_1375 Depth=1
	v_and_b32_e32 v7, 0x7f, v3
	v_mov_b32_e32 v6, 0x7f800001
	s_mov_b32 s13, exec_lo
	s_delay_alu instid0(VALU_DEP_2)
	v_cmpx_ne_u32_e32 0x7f, v7
	s_cbranch_execz .LBB460_2241
; %bb.2238:                             ;   in Loop: Header=BB460_1375 Depth=1
	v_lshrrev_b32_e32 v35, 3, v7
	v_cmp_gt_u32_e64 s0, 8, v7
	v_dual_mov_b32 v6, v9 :: v_dual_mov_b32 v7, v10
	s_delay_alu instid0(VALU_DEP_2)
	s_and_saveexec_b32 s15, s0
; %bb.2239:                             ;   in Loop: Header=BB460_1375 Depth=1
	v_and_b32_e32 v6, 7, v3
	s_delay_alu instid0(VALU_DEP_1) | instskip(NEXT) | instid1(VALU_DEP_1)
	v_clz_i32_u32_e32 v6, v6
	v_min_u32_e32 v35, 32, v6
	s_delay_alu instid0(VALU_DEP_1) | instskip(SKIP_1) | instid1(VALU_DEP_2)
	v_subrev_nc_u32_e32 v6, 28, v35
	v_sub_nc_u32_e32 v35, 29, v35
	v_lshlrev_b64 v[6:7], v6, v[9:10]
; %bb.2240:                             ;   in Loop: Header=BB460_1375 Depth=1
	s_or_b32 exec_lo, exec_lo, s15
	s_delay_alu instid0(VALU_DEP_1) | instskip(SKIP_2) | instid1(VALU_DEP_3)
	v_lshlrev_b32_e32 v6, 20, v6
	v_lshlrev_b32_e32 v7, 24, v9
	v_lshl_add_u32 v35, v35, 23, 0x3c000000
	v_and_b32_e32 v6, 0x700000, v6
	s_delay_alu instid0(VALU_DEP_3) | instskip(NEXT) | instid1(VALU_DEP_1)
	v_and_b32_e32 v7, 0x80000000, v7
	v_or3_b32 v6, v6, v7, v35
.LBB460_2241:                           ;   in Loop: Header=BB460_1375 Depth=1
	s_or_b32 exec_lo, exec_lo, s13
.LBB460_2242:                           ;   in Loop: Header=BB460_1375 Depth=1
	s_delay_alu instid0(SALU_CYCLE_1)
	s_or_b32 exec_lo, exec_lo, s12
.LBB460_2243:                           ;   in Loop: Header=BB460_1375 Depth=1
	s_delay_alu instid0(SALU_CYCLE_1) | instskip(NEXT) | instid1(VALU_DEP_1)
	s_or_b32 exec_lo, exec_lo, s9
	v_mul_f32_e32 v6, v26, v6
                                        ; implicit-def: $vgpr35
	s_delay_alu instid0(VALU_DEP_1) | instskip(NEXT) | instid1(VALU_DEP_1)
	v_and_b32_e32 v7, 0x7f800000, v6
	v_cmp_ne_u32_e64 s0, 0x7f800000, v7
	s_delay_alu instid0(VALU_DEP_1) | instskip(NEXT) | instid1(SALU_CYCLE_1)
	s_and_saveexec_b32 s9, s0
	s_xor_b32 s0, exec_lo, s9
; %bb.2244:                             ;   in Loop: Header=BB460_1375 Depth=1
	v_bfe_u32 v7, v6, 16, 1
	s_delay_alu instid0(VALU_DEP_1)
	v_add3_u32 v35, v6, v7, 0x7fff
                                        ; implicit-def: $vgpr6
; %bb.2245:                             ;   in Loop: Header=BB460_1375 Depth=1
	s_and_not1_saveexec_b32 s9, s0
; %bb.2246:                             ;   in Loop: Header=BB460_1375 Depth=1
	v_and_b32_e32 v7, 0xffff, v6
	v_or_b32_e32 v35, 0x10000, v6
	s_delay_alu instid0(VALU_DEP_2) | instskip(NEXT) | instid1(VALU_DEP_1)
	v_cmp_eq_u32_e64 s0, 0, v7
	v_cndmask_b32_e64 v35, v35, v6, s0
; %bb.2247:                             ;   in Loop: Header=BB460_1375 Depth=1
	s_or_b32 exec_lo, exec_lo, s9
	v_lshrrev_b16 v7, 8, v9
	v_mov_b32_e32 v6, 0
	s_mov_b32 s9, exec_lo
	s_delay_alu instid0(VALU_DEP_2)
	v_cmpx_ne_u16_e32 0, v7
	s_cbranch_execz .LBB460_2255
; %bb.2248:                             ;   in Loop: Header=BB460_1375 Depth=1
	v_bfrev_b32_e32 v6, 1
	s_mov_b32 s12, exec_lo
	v_cmpx_ne_u16_e32 0x80, v7
	s_cbranch_execz .LBB460_2254
; %bb.2249:                             ;   in Loop: Header=BB460_1375 Depth=1
	v_and_b32_e32 v7, 0xffff, v7
	v_mov_b32_e32 v6, 0x7f800001
	s_mov_b32 s13, exec_lo
	s_delay_alu instid0(VALU_DEP_2) | instskip(NEXT) | instid1(VALU_DEP_1)
	v_and_b32_e32 v178, 0x7f, v7
	v_cmpx_ne_u32_e32 0x7f, v178
	s_cbranch_execz .LBB460_2253
; %bb.2250:                             ;   in Loop: Header=BB460_1375 Depth=1
	v_dual_mov_b32 v7, v10 :: v_dual_and_b32 v6, 7, v7
	v_lshrrev_b32_e32 v177, 3, v178
	s_mov_b32 s15, exec_lo
	v_cmpx_gt_u32_e32 8, v178
; %bb.2251:                             ;   in Loop: Header=BB460_1375 Depth=1
	s_delay_alu instid0(VALU_DEP_3) | instskip(NEXT) | instid1(VALU_DEP_1)
	v_clz_i32_u32_e32 v177, v6
	v_min_u32_e32 v177, 32, v177
	s_delay_alu instid0(VALU_DEP_1) | instskip(SKIP_1) | instid1(VALU_DEP_2)
	v_subrev_nc_u32_e32 v178, 28, v177
	v_sub_nc_u32_e32 v177, 29, v177
	v_lshlrev_b64 v[6:7], v178, v[6:7]
	s_delay_alu instid0(VALU_DEP_1)
	v_and_b32_e32 v6, 7, v6
; %bb.2252:                             ;   in Loop: Header=BB460_1375 Depth=1
	s_or_b32 exec_lo, exec_lo, s15
	v_lshlrev_b32_e32 v7, 16, v9
	s_delay_alu instid0(VALU_DEP_2) | instskip(SKIP_1) | instid1(VALU_DEP_3)
	v_lshlrev_b32_e32 v6, 20, v6
	v_lshl_add_u32 v9, v177, 23, 0x3c000000
	v_and_b32_e32 v7, 0x80000000, v7
	s_delay_alu instid0(VALU_DEP_1)
	v_or3_b32 v6, v6, v7, v9
.LBB460_2253:                           ;   in Loop: Header=BB460_1375 Depth=1
	s_or_b32 exec_lo, exec_lo, s13
.LBB460_2254:                           ;   in Loop: Header=BB460_1375 Depth=1
	s_delay_alu instid0(SALU_CYCLE_1)
	s_or_b32 exec_lo, exec_lo, s12
.LBB460_2255:                           ;   in Loop: Header=BB460_1375 Depth=1
	s_delay_alu instid0(SALU_CYCLE_1) | instskip(NEXT) | instid1(VALU_DEP_1)
	s_or_b32 exec_lo, exec_lo, s9
	v_mul_f32_e32 v6, v26, v6
                                        ; implicit-def: $vgpr177
	s_delay_alu instid0(VALU_DEP_1) | instskip(NEXT) | instid1(VALU_DEP_1)
	v_and_b32_e32 v7, 0x7f800000, v6
	v_cmp_ne_u32_e64 s0, 0x7f800000, v7
	s_delay_alu instid0(VALU_DEP_1) | instskip(NEXT) | instid1(SALU_CYCLE_1)
	s_and_saveexec_b32 s9, s0
	s_xor_b32 s0, exec_lo, s9
; %bb.2256:                             ;   in Loop: Header=BB460_1375 Depth=1
	v_bfe_u32 v7, v6, 16, 1
	s_delay_alu instid0(VALU_DEP_1)
	v_add3_u32 v177, v6, v7, 0x7fff
                                        ; implicit-def: $vgpr6
; %bb.2257:                             ;   in Loop: Header=BB460_1375 Depth=1
	s_and_not1_saveexec_b32 s9, s0
; %bb.2258:                             ;   in Loop: Header=BB460_1375 Depth=1
	v_and_b32_e32 v7, 0xffff, v6
	v_or_b32_e32 v9, 0x10000, v6
	s_delay_alu instid0(VALU_DEP_2) | instskip(NEXT) | instid1(VALU_DEP_1)
	v_cmp_eq_u32_e64 s0, 0, v7
	v_cndmask_b32_e64 v177, v9, v6, s0
; %bb.2259:                             ;   in Loop: Header=BB460_1375 Depth=1
	s_or_b32 exec_lo, exec_lo, s9
	v_lshrrev_b32_e32 v178, 16, v3
	s_mov_b32 s9, exec_lo
	s_delay_alu instid0(VALU_DEP_1) | instskip(NEXT) | instid1(VALU_DEP_1)
	v_dual_mov_b32 v6, 0 :: v_dual_and_b32 v7, 0xff, v178
	v_cmpx_ne_u16_e32 0, v7
	s_cbranch_execz .LBB460_2267
; %bb.2260:                             ;   in Loop: Header=BB460_1375 Depth=1
	v_bfrev_b32_e32 v6, 1
	s_mov_b32 s12, exec_lo
	v_cmpx_ne_u16_e32 0x80, v7
	s_cbranch_execz .LBB460_2266
; %bb.2261:                             ;   in Loop: Header=BB460_1375 Depth=1
	v_bfe_u32 v7, v3, 16, 7
	v_mov_b32_e32 v6, 0x7f800001
	s_mov_b32 s13, exec_lo
	s_delay_alu instid0(VALU_DEP_2)
	v_cmpx_ne_u32_e32 0x7f, v7
	s_cbranch_execz .LBB460_2265
; %bb.2262:                             ;   in Loop: Header=BB460_1375 Depth=1
	v_and_b32_e32 v9, 7, v178
	v_lshrrev_b32_e32 v179, 3, v7
	v_cmp_gt_u32_e64 s0, 8, v7
	s_delay_alu instid0(VALU_DEP_3) | instskip(NEXT) | instid1(VALU_DEP_2)
	v_dual_mov_b32 v6, v9 :: v_dual_mov_b32 v7, v10
	s_and_saveexec_b32 s15, s0
; %bb.2263:                             ;   in Loop: Header=BB460_1375 Depth=1
	v_clz_i32_u32_e32 v6, v9
	s_delay_alu instid0(VALU_DEP_1) | instskip(NEXT) | instid1(VALU_DEP_1)
	v_min_u32_e32 v179, 32, v6
	v_subrev_nc_u32_e32 v6, 28, v179
	v_sub_nc_u32_e32 v179, 29, v179
	s_delay_alu instid0(VALU_DEP_2) | instskip(NEXT) | instid1(VALU_DEP_1)
	v_lshlrev_b64 v[6:7], v6, v[9:10]
	v_and_b32_e32 v6, 7, v6
; %bb.2264:                             ;   in Loop: Header=BB460_1375 Depth=1
	s_or_b32 exec_lo, exec_lo, s15
	v_lshlrev_b32_e32 v7, 24, v178
	s_delay_alu instid0(VALU_DEP_2) | instskip(SKIP_1) | instid1(VALU_DEP_3)
	v_lshlrev_b32_e32 v6, 20, v6
	v_lshl_add_u32 v9, v179, 23, 0x3c000000
	v_and_b32_e32 v7, 0x80000000, v7
	s_delay_alu instid0(VALU_DEP_1)
	v_or3_b32 v6, v6, v7, v9
.LBB460_2265:                           ;   in Loop: Header=BB460_1375 Depth=1
	s_or_b32 exec_lo, exec_lo, s13
.LBB460_2266:                           ;   in Loop: Header=BB460_1375 Depth=1
	s_delay_alu instid0(SALU_CYCLE_1)
	s_or_b32 exec_lo, exec_lo, s12
.LBB460_2267:                           ;   in Loop: Header=BB460_1375 Depth=1
	s_delay_alu instid0(SALU_CYCLE_1) | instskip(NEXT) | instid1(VALU_DEP_1)
	s_or_b32 exec_lo, exec_lo, s9
	v_mul_f32_e32 v6, v26, v6
                                        ; implicit-def: $vgpr178
	s_delay_alu instid0(VALU_DEP_1) | instskip(NEXT) | instid1(VALU_DEP_1)
	v_and_b32_e32 v7, 0x7f800000, v6
	v_cmp_ne_u32_e64 s0, 0x7f800000, v7
	s_delay_alu instid0(VALU_DEP_1) | instskip(NEXT) | instid1(SALU_CYCLE_1)
	s_and_saveexec_b32 s9, s0
	s_xor_b32 s0, exec_lo, s9
; %bb.2268:                             ;   in Loop: Header=BB460_1375 Depth=1
	v_bfe_u32 v7, v6, 16, 1
	s_delay_alu instid0(VALU_DEP_1)
	v_add3_u32 v178, v6, v7, 0x7fff
                                        ; implicit-def: $vgpr6
; %bb.2269:                             ;   in Loop: Header=BB460_1375 Depth=1
	s_and_not1_saveexec_b32 s9, s0
; %bb.2270:                             ;   in Loop: Header=BB460_1375 Depth=1
	v_and_b32_e32 v7, 0xffff, v6
	v_or_b32_e32 v9, 0x10000, v6
	s_delay_alu instid0(VALU_DEP_2) | instskip(NEXT) | instid1(VALU_DEP_1)
	v_cmp_eq_u32_e64 s0, 0, v7
	v_cndmask_b32_e64 v178, v9, v6, s0
; %bb.2271:                             ;   in Loop: Header=BB460_1375 Depth=1
	s_or_b32 exec_lo, exec_lo, s9
	v_cmp_lt_u64_e64 s0, s[2:3], v[2:3]
	v_mov_b32_e32 v2, 0
	s_delay_alu instid0(VALU_DEP_2)
	s_and_saveexec_b32 s9, s0
	s_cbranch_execz .LBB460_2279
; %bb.2272:                             ;   in Loop: Header=BB460_1375 Depth=1
	v_lshrrev_b32_e32 v6, 24, v3
	v_bfrev_b32_e32 v2, 1
	s_mov_b32 s12, exec_lo
	s_delay_alu instid0(VALU_DEP_2)
	v_cmpx_ne_u32_e32 0x80, v6
	s_cbranch_execz .LBB460_2278
; %bb.2273:                             ;   in Loop: Header=BB460_1375 Depth=1
	v_bfe_u32 v3, v3, 24, 7
	v_mov_b32_e32 v2, 0x7f800001
	s_mov_b32 s13, exec_lo
	s_delay_alu instid0(VALU_DEP_2)
	v_cmpx_ne_u32_e32 0x7f, v3
	s_cbranch_execz .LBB460_2277
; %bb.2274:                             ;   in Loop: Header=BB460_1375 Depth=1
	v_and_b32_e32 v9, 7, v6
	v_lshrrev_b32_e32 v7, 3, v3
	v_cmp_gt_u32_e64 s0, 8, v3
	s_delay_alu instid0(VALU_DEP_3) | instskip(NEXT) | instid1(VALU_DEP_2)
	v_dual_mov_b32 v2, v9 :: v_dual_mov_b32 v3, v10
	s_and_saveexec_b32 s15, s0
; %bb.2275:                             ;   in Loop: Header=BB460_1375 Depth=1
	v_clz_i32_u32_e32 v2, v9
	s_delay_alu instid0(VALU_DEP_1) | instskip(NEXT) | instid1(VALU_DEP_1)
	v_min_u32_e32 v7, 32, v2
	v_subrev_nc_u32_e32 v2, 28, v7
	v_sub_nc_u32_e32 v7, 29, v7
	s_delay_alu instid0(VALU_DEP_2) | instskip(NEXT) | instid1(VALU_DEP_1)
	v_lshlrev_b64 v[2:3], v2, v[9:10]
	v_and_b32_e32 v2, 7, v2
; %bb.2276:                             ;   in Loop: Header=BB460_1375 Depth=1
	s_or_b32 exec_lo, exec_lo, s15
	v_lshlrev_b32_e32 v3, 24, v6
	s_delay_alu instid0(VALU_DEP_2) | instskip(SKIP_1) | instid1(VALU_DEP_3)
	v_lshlrev_b32_e32 v2, 20, v2
	v_lshl_add_u32 v6, v7, 23, 0x3c000000
	v_and_b32_e32 v3, 0x80000000, v3
	s_delay_alu instid0(VALU_DEP_1)
	v_or3_b32 v2, v2, v3, v6
.LBB460_2277:                           ;   in Loop: Header=BB460_1375 Depth=1
	s_or_b32 exec_lo, exec_lo, s13
.LBB460_2278:                           ;   in Loop: Header=BB460_1375 Depth=1
	s_delay_alu instid0(SALU_CYCLE_1)
	s_or_b32 exec_lo, exec_lo, s12
.LBB460_2279:                           ;   in Loop: Header=BB460_1375 Depth=1
	s_delay_alu instid0(SALU_CYCLE_1) | instskip(NEXT) | instid1(VALU_DEP_1)
	s_or_b32 exec_lo, exec_lo, s9
	v_mul_f32_e32 v3, v26, v2
	s_delay_alu instid0(VALU_DEP_1) | instskip(NEXT) | instid1(VALU_DEP_1)
	v_and_b32_e32 v2, 0x7f800000, v3
	v_cmp_ne_u32_e64 s0, 0x7f800000, v2
                                        ; implicit-def: $vgpr2
	s_delay_alu instid0(VALU_DEP_1) | instskip(NEXT) | instid1(SALU_CYCLE_1)
	s_and_saveexec_b32 s9, s0
	s_xor_b32 s0, exec_lo, s9
; %bb.2280:                             ;   in Loop: Header=BB460_1375 Depth=1
	v_bfe_u32 v2, v3, 16, 1
	s_delay_alu instid0(VALU_DEP_1)
	v_add3_u32 v2, v3, v2, 0x7fff
                                        ; implicit-def: $vgpr3
; %bb.2281:                             ;   in Loop: Header=BB460_1375 Depth=1
	s_and_not1_saveexec_b32 s9, s0
; %bb.2282:                             ;   in Loop: Header=BB460_1375 Depth=1
	v_and_b32_e32 v2, 0xffff, v3
	v_or_b32_e32 v6, 0x10000, v3
	s_delay_alu instid0(VALU_DEP_2) | instskip(NEXT) | instid1(VALU_DEP_1)
	v_cmp_eq_u32_e64 s0, 0, v2
	v_cndmask_b32_e64 v2, v6, v3, s0
; %bb.2283:                             ;   in Loop: Header=BB460_1375 Depth=1
	s_or_b32 exec_lo, exec_lo, s9
	v_lshrrev_b32_e32 v6, 16, v177
	v_lshrrev_b32_e32 v7, 16, v35
	;; [unrolled: 1-line block ×8, first 2 shown]
	s_and_saveexec_b32 s9, vcc_lo
	s_cbranch_execz .LBB460_2285
; %bb.2284:                             ;   in Loop: Header=BB460_1375 Depth=1
	v_cmp_lt_i32_e64 s0, v66, v36
	s_delay_alu instid0(VALU_DEP_1) | instskip(SKIP_1) | instid1(VALU_DEP_1)
	v_cndmask_b32_e64 v4, 0, v4, s0
	v_cmp_lt_i32_e64 s0, v80, v36
	v_cndmask_b32_e64 v5, 0, v5, s0
	v_cmp_lt_i32_e64 s0, v71, v36
	s_delay_alu instid0(VALU_DEP_1) | instskip(SKIP_1) | instid1(VALU_DEP_1)
	v_cndmask_b32_e64 v23, 0, v23, s0
	v_cmp_lt_i32_e64 s0, v70, v36
	v_cndmask_b32_e64 v9, 0, v9, s0
	;; [unrolled: 5-line block ×4, first 2 shown]
.LBB460_2285:                           ;   in Loop: Header=BB460_1375 Depth=1
	s_or_b32 exec_lo, exec_lo, s9
	v_lshlrev_b32_e32 v4, 16, v4
                                        ; implicit-def: $vgpr177
	s_delay_alu instid0(VALU_DEP_1) | instskip(NEXT) | instid1(VALU_DEP_1)
	v_mul_f32_e32 v4, v81, v4
	v_and_b32_e32 v34, 0x7f800000, v4
	s_delay_alu instid0(VALU_DEP_1) | instskip(NEXT) | instid1(VALU_DEP_1)
	v_cmp_ne_u32_e64 s0, 0x7f800000, v34
	s_and_saveexec_b32 s9, s0
	s_delay_alu instid0(SALU_CYCLE_1)
	s_xor_b32 s0, exec_lo, s9
; %bb.2286:                             ;   in Loop: Header=BB460_1375 Depth=1
	v_bfe_u32 v34, v4, 16, 1
	s_delay_alu instid0(VALU_DEP_1)
	v_add3_u32 v177, v4, v34, 0x7fff
                                        ; implicit-def: $vgpr4
; %bb.2287:                             ;   in Loop: Header=BB460_1375 Depth=1
	s_and_not1_saveexec_b32 s9, s0
; %bb.2288:                             ;   in Loop: Header=BB460_1375 Depth=1
	v_and_b32_e32 v34, 0xffff, v4
	v_or_b32_e32 v35, 0x10000, v4
	s_delay_alu instid0(VALU_DEP_2) | instskip(NEXT) | instid1(VALU_DEP_1)
	v_cmp_eq_u32_e64 s0, 0, v34
	v_cndmask_b32_e64 v177, v35, v4, s0
; %bb.2289:                             ;   in Loop: Header=BB460_1375 Depth=1
	s_or_b32 exec_lo, exec_lo, s9
	v_lshlrev_b32_e32 v4, 16, v5
	s_delay_alu instid0(VALU_DEP_1) | instskip(NEXT) | instid1(VALU_DEP_1)
	v_mul_f32_e32 v4, v82, v4
	v_and_b32_e32 v5, 0x7f800000, v4
	s_delay_alu instid0(VALU_DEP_1) | instskip(NEXT) | instid1(VALU_DEP_1)
	v_cmp_ne_u32_e64 s0, 0x7f800000, v5
                                        ; implicit-def: $vgpr5
	s_and_saveexec_b32 s9, s0
	s_delay_alu instid0(SALU_CYCLE_1)
	s_xor_b32 s0, exec_lo, s9
; %bb.2290:                             ;   in Loop: Header=BB460_1375 Depth=1
	v_bfe_u32 v5, v4, 16, 1
	s_delay_alu instid0(VALU_DEP_1)
	v_add3_u32 v5, v4, v5, 0x7fff
                                        ; implicit-def: $vgpr4
; %bb.2291:                             ;   in Loop: Header=BB460_1375 Depth=1
	s_and_not1_saveexec_b32 s9, s0
; %bb.2292:                             ;   in Loop: Header=BB460_1375 Depth=1
	v_and_b32_e32 v5, 0xffff, v4
	v_or_b32_e32 v34, 0x10000, v4
	s_delay_alu instid0(VALU_DEP_2) | instskip(NEXT) | instid1(VALU_DEP_1)
	v_cmp_eq_u32_e64 s0, 0, v5
	v_cndmask_b32_e64 v5, v34, v4, s0
; %bb.2293:                             ;   in Loop: Header=BB460_1375 Depth=1
	s_or_b32 exec_lo, exec_lo, s9
	v_lshlrev_b32_e32 v4, 16, v23
                                        ; implicit-def: $vgpr178
	s_delay_alu instid0(VALU_DEP_1) | instskip(NEXT) | instid1(VALU_DEP_1)
	v_mul_f32_e32 v4, v83, v4
	v_and_b32_e32 v23, 0x7f800000, v4
	s_delay_alu instid0(VALU_DEP_1) | instskip(NEXT) | instid1(VALU_DEP_1)
	v_cmp_ne_u32_e64 s0, 0x7f800000, v23
	s_and_saveexec_b32 s9, s0
	s_delay_alu instid0(SALU_CYCLE_1)
	s_xor_b32 s0, exec_lo, s9
; %bb.2294:                             ;   in Loop: Header=BB460_1375 Depth=1
	v_bfe_u32 v23, v4, 16, 1
	s_delay_alu instid0(VALU_DEP_1)
	v_add3_u32 v178, v4, v23, 0x7fff
                                        ; implicit-def: $vgpr4
; %bb.2295:                             ;   in Loop: Header=BB460_1375 Depth=1
	s_and_not1_saveexec_b32 s9, s0
; %bb.2296:                             ;   in Loop: Header=BB460_1375 Depth=1
	v_and_b32_e32 v23, 0xffff, v4
	v_or_b32_e32 v34, 0x10000, v4
	s_delay_alu instid0(VALU_DEP_2) | instskip(NEXT) | instid1(VALU_DEP_1)
	v_cmp_eq_u32_e64 s0, 0, v23
	v_cndmask_b32_e64 v178, v34, v4, s0
; %bb.2297:                             ;   in Loop: Header=BB460_1375 Depth=1
	s_or_b32 exec_lo, exec_lo, s9
	v_lshlrev_b32_e32 v4, 16, v9
                                        ; implicit-def: $vgpr179
	s_delay_alu instid0(VALU_DEP_1) | instskip(NEXT) | instid1(VALU_DEP_1)
	v_mul_f32_e32 v4, v84, v4
	v_and_b32_e32 v9, 0x7f800000, v4
	s_delay_alu instid0(VALU_DEP_1) | instskip(NEXT) | instid1(VALU_DEP_1)
	v_cmp_ne_u32_e64 s0, 0x7f800000, v9
	s_and_saveexec_b32 s9, s0
	s_delay_alu instid0(SALU_CYCLE_1)
	s_xor_b32 s0, exec_lo, s9
; %bb.2298:                             ;   in Loop: Header=BB460_1375 Depth=1
	v_bfe_u32 v9, v4, 16, 1
	s_delay_alu instid0(VALU_DEP_1)
	v_add3_u32 v179, v4, v9, 0x7fff
                                        ; implicit-def: $vgpr4
; %bb.2299:                             ;   in Loop: Header=BB460_1375 Depth=1
	s_and_not1_saveexec_b32 s9, s0
; %bb.2300:                             ;   in Loop: Header=BB460_1375 Depth=1
	v_and_b32_e32 v9, 0xffff, v4
	v_or_b32_e32 v23, 0x10000, v4
	s_delay_alu instid0(VALU_DEP_2) | instskip(NEXT) | instid1(VALU_DEP_1)
	v_cmp_eq_u32_e64 s0, 0, v9
	v_cndmask_b32_e64 v179, v23, v4, s0
; %bb.2301:                             ;   in Loop: Header=BB460_1375 Depth=1
	s_or_b32 exec_lo, exec_lo, s9
	v_lshlrev_b32_e32 v4, 16, v7
	s_delay_alu instid0(VALU_DEP_1) | instskip(NEXT) | instid1(VALU_DEP_1)
	v_mul_f32_e32 v7, v85, v4
	v_and_b32_e32 v4, 0x7f800000, v7
	s_delay_alu instid0(VALU_DEP_1) | instskip(NEXT) | instid1(VALU_DEP_1)
	v_cmp_ne_u32_e64 s0, 0x7f800000, v4
                                        ; implicit-def: $vgpr4
	s_and_saveexec_b32 s9, s0
	s_delay_alu instid0(SALU_CYCLE_1)
	s_xor_b32 s0, exec_lo, s9
; %bb.2302:                             ;   in Loop: Header=BB460_1375 Depth=1
	v_bfe_u32 v4, v7, 16, 1
	s_delay_alu instid0(VALU_DEP_1)
	v_add3_u32 v4, v7, v4, 0x7fff
                                        ; implicit-def: $vgpr7
; %bb.2303:                             ;   in Loop: Header=BB460_1375 Depth=1
	s_and_not1_saveexec_b32 s9, s0
; %bb.2304:                             ;   in Loop: Header=BB460_1375 Depth=1
	v_and_b32_e32 v4, 0xffff, v7
	v_or_b32_e32 v9, 0x10000, v7
	s_delay_alu instid0(VALU_DEP_2) | instskip(NEXT) | instid1(VALU_DEP_1)
	v_cmp_eq_u32_e64 s0, 0, v4
	v_cndmask_b32_e64 v4, v9, v7, s0
; %bb.2305:                             ;   in Loop: Header=BB460_1375 Depth=1
	s_or_b32 exec_lo, exec_lo, s9
	v_lshlrev_b32_e32 v6, 16, v6
                                        ; implicit-def: $vgpr180
	s_delay_alu instid0(VALU_DEP_1) | instskip(NEXT) | instid1(VALU_DEP_1)
	v_mul_f32_e32 v6, v86, v6
	v_and_b32_e32 v7, 0x7f800000, v6
	s_delay_alu instid0(VALU_DEP_1) | instskip(NEXT) | instid1(VALU_DEP_1)
	v_cmp_ne_u32_e64 s0, 0x7f800000, v7
	s_and_saveexec_b32 s9, s0
	s_delay_alu instid0(SALU_CYCLE_1)
	s_xor_b32 s0, exec_lo, s9
; %bb.2306:                             ;   in Loop: Header=BB460_1375 Depth=1
	v_bfe_u32 v7, v6, 16, 1
	s_delay_alu instid0(VALU_DEP_1)
	v_add3_u32 v180, v6, v7, 0x7fff
                                        ; implicit-def: $vgpr6
; %bb.2307:                             ;   in Loop: Header=BB460_1375 Depth=1
	s_and_not1_saveexec_b32 s9, s0
; %bb.2308:                             ;   in Loop: Header=BB460_1375 Depth=1
	v_and_b32_e32 v7, 0xffff, v6
	v_or_b32_e32 v9, 0x10000, v6
	s_delay_alu instid0(VALU_DEP_2) | instskip(NEXT) | instid1(VALU_DEP_1)
	v_cmp_eq_u32_e64 s0, 0, v7
	v_cndmask_b32_e64 v180, v9, v6, s0
; %bb.2309:                             ;   in Loop: Header=BB460_1375 Depth=1
	s_or_b32 exec_lo, exec_lo, s9
	v_lshlrev_b32_e32 v3, 16, v3
                                        ; implicit-def: $vgpr181
	s_delay_alu instid0(VALU_DEP_1) | instskip(NEXT) | instid1(VALU_DEP_1)
	v_mul_f32_e32 v3, v87, v3
	v_and_b32_e32 v6, 0x7f800000, v3
	s_delay_alu instid0(VALU_DEP_1) | instskip(NEXT) | instid1(VALU_DEP_1)
	v_cmp_ne_u32_e64 s0, 0x7f800000, v6
	s_and_saveexec_b32 s9, s0
	s_delay_alu instid0(SALU_CYCLE_1)
	s_xor_b32 s0, exec_lo, s9
; %bb.2310:                             ;   in Loop: Header=BB460_1375 Depth=1
	v_bfe_u32 v6, v3, 16, 1
	s_delay_alu instid0(VALU_DEP_1)
	v_add3_u32 v181, v3, v6, 0x7fff
                                        ; implicit-def: $vgpr3
; %bb.2311:                             ;   in Loop: Header=BB460_1375 Depth=1
	s_and_not1_saveexec_b32 s9, s0
; %bb.2312:                             ;   in Loop: Header=BB460_1375 Depth=1
	v_and_b32_e32 v6, 0xffff, v3
	v_or_b32_e32 v7, 0x10000, v3
	s_delay_alu instid0(VALU_DEP_2) | instskip(NEXT) | instid1(VALU_DEP_1)
	v_cmp_eq_u32_e64 s0, 0, v6
	v_cndmask_b32_e64 v181, v7, v3, s0
; %bb.2313:                             ;   in Loop: Header=BB460_1375 Depth=1
	s_or_b32 exec_lo, exec_lo, s9
	v_lshlrev_b32_e32 v2, 16, v2
                                        ; implicit-def: $vgpr182
	s_delay_alu instid0(VALU_DEP_1) | instskip(NEXT) | instid1(VALU_DEP_1)
	v_mul_f32_e32 v2, v96, v2
	v_and_b32_e32 v3, 0x7f800000, v2
	s_delay_alu instid0(VALU_DEP_1) | instskip(NEXT) | instid1(VALU_DEP_1)
	v_cmp_ne_u32_e64 s0, 0x7f800000, v3
	s_and_saveexec_b32 s9, s0
	s_delay_alu instid0(SALU_CYCLE_1)
	s_xor_b32 s0, exec_lo, s9
; %bb.2314:                             ;   in Loop: Header=BB460_1375 Depth=1
	v_bfe_u32 v3, v2, 16, 1
	s_delay_alu instid0(VALU_DEP_1)
	v_add3_u32 v182, v2, v3, 0x7fff
                                        ; implicit-def: $vgpr2
; %bb.2315:                             ;   in Loop: Header=BB460_1375 Depth=1
	s_and_not1_saveexec_b32 s9, s0
; %bb.2316:                             ;   in Loop: Header=BB460_1375 Depth=1
	v_and_b32_e32 v3, 0xffff, v2
	v_or_b32_e32 v6, 0x10000, v2
	s_delay_alu instid0(VALU_DEP_2) | instskip(NEXT) | instid1(VALU_DEP_1)
	v_cmp_eq_u32_e64 s0, 0, v3
	v_cndmask_b32_e64 v182, v6, v2, s0
; %bb.2317:                             ;   in Loop: Header=BB460_1375 Depth=1
	s_or_b32 exec_lo, exec_lo, s9
	flat_load_b64 v[2:3], v[0:1] offset:1792
	s_mov_b32 s9, exec_lo
	s_waitcnt vmcnt(0) lgkmcnt(0)
	v_dual_mov_b32 v6, 0 :: v_dual_and_b32 v7, 0xff, v2
	s_delay_alu instid0(VALU_DEP_1)
	v_cmpx_ne_u16_e32 0, v7
	s_cbranch_execz .LBB460_2325
; %bb.2318:                             ;   in Loop: Header=BB460_1375 Depth=1
	v_bfrev_b32_e32 v6, 1
	s_mov_b32 s12, exec_lo
	v_cmpx_ne_u16_e32 0x80, v7
	s_cbranch_execz .LBB460_2324
; %bb.2319:                             ;   in Loop: Header=BB460_1375 Depth=1
	v_and_b32_e32 v7, 0x7f, v2
	v_mov_b32_e32 v6, 0x7f800001
	s_mov_b32 s13, exec_lo
	s_delay_alu instid0(VALU_DEP_2)
	v_cmpx_ne_u32_e32 0x7f, v7
	s_cbranch_execz .LBB460_2323
; %bb.2320:                             ;   in Loop: Header=BB460_1375 Depth=1
	v_lshrrev_b32_e32 v9, 3, v7
	v_cmp_gt_u32_e64 s0, 8, v7
	v_dual_mov_b32 v7, v3 :: v_dual_mov_b32 v6, v2
	s_delay_alu instid0(VALU_DEP_2)
	s_and_saveexec_b32 s15, s0
; %bb.2321:                             ;   in Loop: Header=BB460_1375 Depth=1
	v_and_b32_e32 v6, 7, v2
	s_delay_alu instid0(VALU_DEP_1) | instskip(NEXT) | instid1(VALU_DEP_1)
	v_clz_i32_u32_e32 v6, v6
	v_min_u32_e32 v9, 32, v6
	s_delay_alu instid0(VALU_DEP_1) | instskip(SKIP_1) | instid1(VALU_DEP_2)
	v_subrev_nc_u32_e32 v6, 28, v9
	v_sub_nc_u32_e32 v9, 29, v9
	v_lshlrev_b64 v[6:7], v6, v[2:3]
; %bb.2322:                             ;   in Loop: Header=BB460_1375 Depth=1
	s_or_b32 exec_lo, exec_lo, s15
	s_delay_alu instid0(VALU_DEP_1) | instskip(SKIP_2) | instid1(VALU_DEP_3)
	v_lshlrev_b32_e32 v6, 20, v6
	v_lshlrev_b32_e32 v7, 24, v2
	v_lshl_add_u32 v9, v9, 23, 0x3c000000
	v_and_b32_e32 v6, 0x700000, v6
	s_delay_alu instid0(VALU_DEP_3) | instskip(NEXT) | instid1(VALU_DEP_1)
	v_and_b32_e32 v7, 0x80000000, v7
	v_or3_b32 v6, v6, v7, v9
.LBB460_2323:                           ;   in Loop: Header=BB460_1375 Depth=1
	s_or_b32 exec_lo, exec_lo, s13
.LBB460_2324:                           ;   in Loop: Header=BB460_1375 Depth=1
	s_delay_alu instid0(SALU_CYCLE_1)
	s_or_b32 exec_lo, exec_lo, s12
.LBB460_2325:                           ;   in Loop: Header=BB460_1375 Depth=1
	s_delay_alu instid0(SALU_CYCLE_1) | instskip(NEXT) | instid1(VALU_DEP_1)
	s_or_b32 exec_lo, exec_lo, s9
	v_mul_f32_e32 v6, v26, v6
                                        ; implicit-def: $vgpr23
	s_delay_alu instid0(VALU_DEP_1) | instskip(NEXT) | instid1(VALU_DEP_1)
	v_and_b32_e32 v7, 0x7f800000, v6
	v_cmp_ne_u32_e64 s0, 0x7f800000, v7
	s_delay_alu instid0(VALU_DEP_1) | instskip(NEXT) | instid1(SALU_CYCLE_1)
	s_and_saveexec_b32 s9, s0
	s_xor_b32 s0, exec_lo, s9
; %bb.2326:                             ;   in Loop: Header=BB460_1375 Depth=1
	v_bfe_u32 v7, v6, 16, 1
	s_delay_alu instid0(VALU_DEP_1)
	v_add3_u32 v23, v6, v7, 0x7fff
                                        ; implicit-def: $vgpr6
; %bb.2327:                             ;   in Loop: Header=BB460_1375 Depth=1
	s_and_not1_saveexec_b32 s9, s0
; %bb.2328:                             ;   in Loop: Header=BB460_1375 Depth=1
	v_and_b32_e32 v7, 0xffff, v6
	v_or_b32_e32 v9, 0x10000, v6
	s_delay_alu instid0(VALU_DEP_2) | instskip(NEXT) | instid1(VALU_DEP_1)
	v_cmp_eq_u32_e64 s0, 0, v7
	v_cndmask_b32_e64 v23, v9, v6, s0
; %bb.2329:                             ;   in Loop: Header=BB460_1375 Depth=1
	s_or_b32 exec_lo, exec_lo, s9
	v_lshrrev_b16 v7, 8, v2
	v_mov_b32_e32 v6, 0
	s_mov_b32 s9, exec_lo
	s_delay_alu instid0(VALU_DEP_2)
	v_cmpx_ne_u16_e32 0, v7
	s_cbranch_execz .LBB460_2337
; %bb.2330:                             ;   in Loop: Header=BB460_1375 Depth=1
	v_bfrev_b32_e32 v6, 1
	s_mov_b32 s12, exec_lo
	v_cmpx_ne_u16_e32 0x80, v7
	s_cbranch_execz .LBB460_2336
; %bb.2331:                             ;   in Loop: Header=BB460_1375 Depth=1
	v_and_b32_e32 v9, 0xffff, v7
	v_mov_b32_e32 v6, 0x7f800001
	s_mov_b32 s13, exec_lo
	s_delay_alu instid0(VALU_DEP_2) | instskip(NEXT) | instid1(VALU_DEP_1)
	v_and_b32_e32 v7, 0x7f, v9
	v_cmpx_ne_u32_e32 0x7f, v7
	s_cbranch_execz .LBB460_2335
; %bb.2332:                             ;   in Loop: Header=BB460_1375 Depth=1
	v_and_b32_e32 v9, 7, v9
	v_lshrrev_b32_e32 v34, 3, v7
	v_cmp_gt_u32_e64 s0, 8, v7
	s_delay_alu instid0(VALU_DEP_3) | instskip(NEXT) | instid1(VALU_DEP_2)
	v_dual_mov_b32 v6, v9 :: v_dual_mov_b32 v7, v10
	s_and_saveexec_b32 s15, s0
; %bb.2333:                             ;   in Loop: Header=BB460_1375 Depth=1
	v_clz_i32_u32_e32 v6, v9
	s_delay_alu instid0(VALU_DEP_1) | instskip(NEXT) | instid1(VALU_DEP_1)
	v_min_u32_e32 v34, 32, v6
	v_subrev_nc_u32_e32 v6, 28, v34
	v_sub_nc_u32_e32 v34, 29, v34
	s_delay_alu instid0(VALU_DEP_2) | instskip(NEXT) | instid1(VALU_DEP_1)
	v_lshlrev_b64 v[6:7], v6, v[9:10]
	v_and_b32_e32 v6, 7, v6
; %bb.2334:                             ;   in Loop: Header=BB460_1375 Depth=1
	s_or_b32 exec_lo, exec_lo, s15
	v_lshlrev_b32_e32 v7, 16, v2
	s_delay_alu instid0(VALU_DEP_2) | instskip(SKIP_1) | instid1(VALU_DEP_3)
	v_lshlrev_b32_e32 v6, 20, v6
	v_lshl_add_u32 v9, v34, 23, 0x3c000000
	v_and_b32_e32 v7, 0x80000000, v7
	s_delay_alu instid0(VALU_DEP_1)
	v_or3_b32 v6, v6, v7, v9
.LBB460_2335:                           ;   in Loop: Header=BB460_1375 Depth=1
	s_or_b32 exec_lo, exec_lo, s13
.LBB460_2336:                           ;   in Loop: Header=BB460_1375 Depth=1
	s_delay_alu instid0(SALU_CYCLE_1)
	s_or_b32 exec_lo, exec_lo, s12
.LBB460_2337:                           ;   in Loop: Header=BB460_1375 Depth=1
	s_delay_alu instid0(SALU_CYCLE_1) | instskip(NEXT) | instid1(VALU_DEP_1)
	s_or_b32 exec_lo, exec_lo, s9
	v_mul_f32_e32 v6, v26, v6
                                        ; implicit-def: $vgpr34
	s_delay_alu instid0(VALU_DEP_1) | instskip(NEXT) | instid1(VALU_DEP_1)
	v_and_b32_e32 v7, 0x7f800000, v6
	v_cmp_ne_u32_e64 s0, 0x7f800000, v7
	s_delay_alu instid0(VALU_DEP_1) | instskip(NEXT) | instid1(SALU_CYCLE_1)
	s_and_saveexec_b32 s9, s0
	s_xor_b32 s0, exec_lo, s9
; %bb.2338:                             ;   in Loop: Header=BB460_1375 Depth=1
	v_bfe_u32 v7, v6, 16, 1
	s_delay_alu instid0(VALU_DEP_1)
	v_add3_u32 v34, v6, v7, 0x7fff
                                        ; implicit-def: $vgpr6
; %bb.2339:                             ;   in Loop: Header=BB460_1375 Depth=1
	s_and_not1_saveexec_b32 s9, s0
; %bb.2340:                             ;   in Loop: Header=BB460_1375 Depth=1
	v_and_b32_e32 v7, 0xffff, v6
	v_or_b32_e32 v9, 0x10000, v6
	s_delay_alu instid0(VALU_DEP_2) | instskip(NEXT) | instid1(VALU_DEP_1)
	v_cmp_eq_u32_e64 s0, 0, v7
	v_cndmask_b32_e64 v34, v9, v6, s0
; %bb.2341:                             ;   in Loop: Header=BB460_1375 Depth=1
	s_or_b32 exec_lo, exec_lo, s9
	v_lshrrev_b32_e32 v35, 16, v2
	s_mov_b32 s9, exec_lo
	s_delay_alu instid0(VALU_DEP_1) | instskip(NEXT) | instid1(VALU_DEP_1)
	v_dual_mov_b32 v6, 0 :: v_dual_and_b32 v7, 0xff, v35
	v_cmpx_ne_u16_e32 0, v7
	s_cbranch_execz .LBB460_2349
; %bb.2342:                             ;   in Loop: Header=BB460_1375 Depth=1
	v_bfrev_b32_e32 v6, 1
	s_mov_b32 s12, exec_lo
	v_cmpx_ne_u16_e32 0x80, v7
	s_cbranch_execz .LBB460_2348
; %bb.2343:                             ;   in Loop: Header=BB460_1375 Depth=1
	v_bfe_u32 v7, v2, 16, 7
	v_mov_b32_e32 v6, 0x7f800001
	s_mov_b32 s13, exec_lo
	s_delay_alu instid0(VALU_DEP_2)
	v_cmpx_ne_u32_e32 0x7f, v7
	s_cbranch_execz .LBB460_2347
; %bb.2344:                             ;   in Loop: Header=BB460_1375 Depth=1
	v_and_b32_e32 v9, 7, v35
	v_lshrrev_b32_e32 v183, 3, v7
	v_cmp_gt_u32_e64 s0, 8, v7
	s_delay_alu instid0(VALU_DEP_3) | instskip(NEXT) | instid1(VALU_DEP_2)
	v_dual_mov_b32 v6, v9 :: v_dual_mov_b32 v7, v10
	s_and_saveexec_b32 s15, s0
; %bb.2345:                             ;   in Loop: Header=BB460_1375 Depth=1
	v_clz_i32_u32_e32 v6, v9
	s_delay_alu instid0(VALU_DEP_1) | instskip(NEXT) | instid1(VALU_DEP_1)
	v_min_u32_e32 v183, 32, v6
	v_subrev_nc_u32_e32 v6, 28, v183
	v_sub_nc_u32_e32 v183, 29, v183
	s_delay_alu instid0(VALU_DEP_2) | instskip(NEXT) | instid1(VALU_DEP_1)
	v_lshlrev_b64 v[6:7], v6, v[9:10]
	v_and_b32_e32 v6, 7, v6
; %bb.2346:                             ;   in Loop: Header=BB460_1375 Depth=1
	s_or_b32 exec_lo, exec_lo, s15
	v_lshlrev_b32_e32 v7, 24, v35
	s_delay_alu instid0(VALU_DEP_2) | instskip(SKIP_1) | instid1(VALU_DEP_3)
	v_lshlrev_b32_e32 v6, 20, v6
	v_lshl_add_u32 v9, v183, 23, 0x3c000000
	v_and_b32_e32 v7, 0x80000000, v7
	s_delay_alu instid0(VALU_DEP_1)
	v_or3_b32 v6, v6, v7, v9
.LBB460_2347:                           ;   in Loop: Header=BB460_1375 Depth=1
	s_or_b32 exec_lo, exec_lo, s13
.LBB460_2348:                           ;   in Loop: Header=BB460_1375 Depth=1
	s_delay_alu instid0(SALU_CYCLE_1)
	s_or_b32 exec_lo, exec_lo, s12
.LBB460_2349:                           ;   in Loop: Header=BB460_1375 Depth=1
	s_delay_alu instid0(SALU_CYCLE_1) | instskip(NEXT) | instid1(VALU_DEP_1)
	s_or_b32 exec_lo, exec_lo, s9
	v_mul_f32_e32 v6, v26, v6
                                        ; implicit-def: $vgpr35
	s_delay_alu instid0(VALU_DEP_1) | instskip(NEXT) | instid1(VALU_DEP_1)
	v_and_b32_e32 v7, 0x7f800000, v6
	v_cmp_ne_u32_e64 s0, 0x7f800000, v7
	s_delay_alu instid0(VALU_DEP_1) | instskip(NEXT) | instid1(SALU_CYCLE_1)
	s_and_saveexec_b32 s9, s0
	s_xor_b32 s0, exec_lo, s9
; %bb.2350:                             ;   in Loop: Header=BB460_1375 Depth=1
	v_bfe_u32 v7, v6, 16, 1
	s_delay_alu instid0(VALU_DEP_1)
	v_add3_u32 v35, v6, v7, 0x7fff
                                        ; implicit-def: $vgpr6
; %bb.2351:                             ;   in Loop: Header=BB460_1375 Depth=1
	s_and_not1_saveexec_b32 s9, s0
; %bb.2352:                             ;   in Loop: Header=BB460_1375 Depth=1
	v_and_b32_e32 v7, 0xffff, v6
	v_or_b32_e32 v9, 0x10000, v6
	s_delay_alu instid0(VALU_DEP_2) | instskip(NEXT) | instid1(VALU_DEP_1)
	v_cmp_eq_u32_e64 s0, 0, v7
	v_cndmask_b32_e64 v35, v9, v6, s0
; %bb.2353:                             ;   in Loop: Header=BB460_1375 Depth=1
	s_or_b32 exec_lo, exec_lo, s9
	v_mov_b32_e32 v6, 0
	s_mov_b32 s9, exec_lo
	v_cmpx_lt_u32_e32 0xffffff, v2
	s_cbranch_execz .LBB460_2361
; %bb.2354:                             ;   in Loop: Header=BB460_1375 Depth=1
	v_lshrrev_b32_e32 v183, 24, v2
	v_bfrev_b32_e32 v6, 1
	s_mov_b32 s12, exec_lo
	s_delay_alu instid0(VALU_DEP_2)
	v_cmpx_ne_u32_e32 0x80, v183
	s_cbranch_execz .LBB460_2360
; %bb.2355:                             ;   in Loop: Header=BB460_1375 Depth=1
	v_bfe_u32 v7, v2, 24, 7
	v_mov_b32_e32 v6, 0x7f800001
	s_mov_b32 s13, exec_lo
	s_delay_alu instid0(VALU_DEP_2)
	v_cmpx_ne_u32_e32 0x7f, v7
	s_cbranch_execz .LBB460_2359
; %bb.2356:                             ;   in Loop: Header=BB460_1375 Depth=1
	v_and_b32_e32 v9, 7, v183
	v_lshrrev_b32_e32 v40, 3, v7
	v_cmp_gt_u32_e64 s0, 8, v7
	s_delay_alu instid0(VALU_DEP_3) | instskip(NEXT) | instid1(VALU_DEP_2)
	v_dual_mov_b32 v6, v9 :: v_dual_mov_b32 v7, v10
	s_and_saveexec_b32 s15, s0
; %bb.2357:                             ;   in Loop: Header=BB460_1375 Depth=1
	v_clz_i32_u32_e32 v6, v9
	s_delay_alu instid0(VALU_DEP_1) | instskip(NEXT) | instid1(VALU_DEP_1)
	v_min_u32_e32 v40, 32, v6
	v_subrev_nc_u32_e32 v6, 28, v40
	v_sub_nc_u32_e32 v40, 29, v40
	s_delay_alu instid0(VALU_DEP_2) | instskip(NEXT) | instid1(VALU_DEP_1)
	v_lshlrev_b64 v[6:7], v6, v[9:10]
	v_and_b32_e32 v6, 7, v6
; %bb.2358:                             ;   in Loop: Header=BB460_1375 Depth=1
	s_or_b32 exec_lo, exec_lo, s15
	v_lshlrev_b32_e32 v7, 24, v183
	s_delay_alu instid0(VALU_DEP_2) | instskip(SKIP_1) | instid1(VALU_DEP_3)
	v_lshlrev_b32_e32 v6, 20, v6
	v_lshl_add_u32 v9, v40, 23, 0x3c000000
	v_and_b32_e32 v7, 0x80000000, v7
	s_delay_alu instid0(VALU_DEP_1)
	v_or3_b32 v6, v6, v7, v9
.LBB460_2359:                           ;   in Loop: Header=BB460_1375 Depth=1
	s_or_b32 exec_lo, exec_lo, s13
.LBB460_2360:                           ;   in Loop: Header=BB460_1375 Depth=1
	s_delay_alu instid0(SALU_CYCLE_1)
	s_or_b32 exec_lo, exec_lo, s12
.LBB460_2361:                           ;   in Loop: Header=BB460_1375 Depth=1
	s_delay_alu instid0(SALU_CYCLE_1) | instskip(NEXT) | instid1(VALU_DEP_1)
	s_or_b32 exec_lo, exec_lo, s9
	v_mul_f32_e32 v6, v26, v6
                                        ; implicit-def: $vgpr183
	s_delay_alu instid0(VALU_DEP_1) | instskip(NEXT) | instid1(VALU_DEP_1)
	v_and_b32_e32 v7, 0x7f800000, v6
	v_cmp_ne_u32_e64 s0, 0x7f800000, v7
	s_delay_alu instid0(VALU_DEP_1) | instskip(NEXT) | instid1(SALU_CYCLE_1)
	s_and_saveexec_b32 s9, s0
	s_xor_b32 s0, exec_lo, s9
; %bb.2362:                             ;   in Loop: Header=BB460_1375 Depth=1
	v_bfe_u32 v7, v6, 16, 1
	s_delay_alu instid0(VALU_DEP_1)
	v_add3_u32 v183, v6, v7, 0x7fff
                                        ; implicit-def: $vgpr6
; %bb.2363:                             ;   in Loop: Header=BB460_1375 Depth=1
	s_and_not1_saveexec_b32 s9, s0
; %bb.2364:                             ;   in Loop: Header=BB460_1375 Depth=1
	v_and_b32_e32 v7, 0xffff, v6
	v_or_b32_e32 v9, 0x10000, v6
	s_delay_alu instid0(VALU_DEP_2) | instskip(NEXT) | instid1(VALU_DEP_1)
	v_cmp_eq_u32_e64 s0, 0, v7
	v_cndmask_b32_e64 v183, v9, v6, s0
; %bb.2365:                             ;   in Loop: Header=BB460_1375 Depth=1
	s_or_b32 exec_lo, exec_lo, s9
	v_dual_mov_b32 v6, 0 :: v_dual_and_b32 v7, 0xff, v3
	v_mov_b32_e32 v9, v3
	s_mov_b32 s9, exec_lo
	s_delay_alu instid0(VALU_DEP_2)
	v_cmpx_ne_u16_e32 0, v7
	s_cbranch_execz .LBB460_2373
; %bb.2366:                             ;   in Loop: Header=BB460_1375 Depth=1
	v_bfrev_b32_e32 v6, 1
	s_mov_b32 s12, exec_lo
	v_cmpx_ne_u16_e32 0x80, v7
	s_cbranch_execz .LBB460_2372
; %bb.2367:                             ;   in Loop: Header=BB460_1375 Depth=1
	v_and_b32_e32 v7, 0x7f, v3
	v_mov_b32_e32 v6, 0x7f800001
	s_mov_b32 s13, exec_lo
	s_delay_alu instid0(VALU_DEP_2)
	v_cmpx_ne_u32_e32 0x7f, v7
	s_cbranch_execz .LBB460_2371
; %bb.2368:                             ;   in Loop: Header=BB460_1375 Depth=1
	v_lshrrev_b32_e32 v40, 3, v7
	v_cmp_gt_u32_e64 s0, 8, v7
	v_dual_mov_b32 v6, v9 :: v_dual_mov_b32 v7, v10
	s_delay_alu instid0(VALU_DEP_2)
	s_and_saveexec_b32 s15, s0
; %bb.2369:                             ;   in Loop: Header=BB460_1375 Depth=1
	v_and_b32_e32 v6, 7, v3
	s_delay_alu instid0(VALU_DEP_1) | instskip(NEXT) | instid1(VALU_DEP_1)
	v_clz_i32_u32_e32 v6, v6
	v_min_u32_e32 v40, 32, v6
	s_delay_alu instid0(VALU_DEP_1) | instskip(SKIP_1) | instid1(VALU_DEP_2)
	v_subrev_nc_u32_e32 v6, 28, v40
	v_sub_nc_u32_e32 v40, 29, v40
	v_lshlrev_b64 v[6:7], v6, v[9:10]
; %bb.2370:                             ;   in Loop: Header=BB460_1375 Depth=1
	s_or_b32 exec_lo, exec_lo, s15
	s_delay_alu instid0(VALU_DEP_1) | instskip(SKIP_2) | instid1(VALU_DEP_3)
	v_lshlrev_b32_e32 v6, 20, v6
	v_lshlrev_b32_e32 v7, 24, v9
	v_lshl_add_u32 v40, v40, 23, 0x3c000000
	v_and_b32_e32 v6, 0x700000, v6
	s_delay_alu instid0(VALU_DEP_3) | instskip(NEXT) | instid1(VALU_DEP_1)
	v_and_b32_e32 v7, 0x80000000, v7
	v_or3_b32 v6, v6, v7, v40
.LBB460_2371:                           ;   in Loop: Header=BB460_1375 Depth=1
	s_or_b32 exec_lo, exec_lo, s13
.LBB460_2372:                           ;   in Loop: Header=BB460_1375 Depth=1
	s_delay_alu instid0(SALU_CYCLE_1)
	s_or_b32 exec_lo, exec_lo, s12
.LBB460_2373:                           ;   in Loop: Header=BB460_1375 Depth=1
	s_delay_alu instid0(SALU_CYCLE_1) | instskip(NEXT) | instid1(VALU_DEP_1)
	s_or_b32 exec_lo, exec_lo, s9
	v_mul_f32_e32 v6, v26, v6
                                        ; implicit-def: $vgpr40
	s_delay_alu instid0(VALU_DEP_1) | instskip(NEXT) | instid1(VALU_DEP_1)
	v_and_b32_e32 v7, 0x7f800000, v6
	v_cmp_ne_u32_e64 s0, 0x7f800000, v7
	s_delay_alu instid0(VALU_DEP_1) | instskip(NEXT) | instid1(SALU_CYCLE_1)
	s_and_saveexec_b32 s9, s0
	s_xor_b32 s0, exec_lo, s9
; %bb.2374:                             ;   in Loop: Header=BB460_1375 Depth=1
	v_bfe_u32 v7, v6, 16, 1
	s_delay_alu instid0(VALU_DEP_1)
	v_add3_u32 v40, v6, v7, 0x7fff
                                        ; implicit-def: $vgpr6
; %bb.2375:                             ;   in Loop: Header=BB460_1375 Depth=1
	s_and_not1_saveexec_b32 s9, s0
; %bb.2376:                             ;   in Loop: Header=BB460_1375 Depth=1
	v_and_b32_e32 v7, 0xffff, v6
	v_or_b32_e32 v40, 0x10000, v6
	s_delay_alu instid0(VALU_DEP_2) | instskip(NEXT) | instid1(VALU_DEP_1)
	v_cmp_eq_u32_e64 s0, 0, v7
	v_cndmask_b32_e64 v40, v40, v6, s0
; %bb.2377:                             ;   in Loop: Header=BB460_1375 Depth=1
	s_or_b32 exec_lo, exec_lo, s9
	v_lshrrev_b16 v7, 8, v9
	v_mov_b32_e32 v6, 0
	s_mov_b32 s9, exec_lo
	s_delay_alu instid0(VALU_DEP_2)
	v_cmpx_ne_u16_e32 0, v7
	s_cbranch_execz .LBB460_2385
; %bb.2378:                             ;   in Loop: Header=BB460_1375 Depth=1
	v_bfrev_b32_e32 v6, 1
	s_mov_b32 s12, exec_lo
	v_cmpx_ne_u16_e32 0x80, v7
	s_cbranch_execz .LBB460_2384
; %bb.2379:                             ;   in Loop: Header=BB460_1375 Depth=1
	v_and_b32_e32 v7, 0xffff, v7
	v_mov_b32_e32 v6, 0x7f800001
	s_mov_b32 s13, exec_lo
	s_delay_alu instid0(VALU_DEP_2) | instskip(NEXT) | instid1(VALU_DEP_1)
	v_and_b32_e32 v42, 0x7f, v7
	v_cmpx_ne_u32_e32 0x7f, v42
	s_cbranch_execz .LBB460_2383
; %bb.2380:                             ;   in Loop: Header=BB460_1375 Depth=1
	v_dual_mov_b32 v7, v10 :: v_dual_and_b32 v6, 7, v7
	v_lshrrev_b32_e32 v41, 3, v42
	s_mov_b32 s15, exec_lo
	v_cmpx_gt_u32_e32 8, v42
; %bb.2381:                             ;   in Loop: Header=BB460_1375 Depth=1
	s_delay_alu instid0(VALU_DEP_3) | instskip(NEXT) | instid1(VALU_DEP_1)
	v_clz_i32_u32_e32 v41, v6
	v_min_u32_e32 v41, 32, v41
	s_delay_alu instid0(VALU_DEP_1) | instskip(SKIP_1) | instid1(VALU_DEP_2)
	v_subrev_nc_u32_e32 v42, 28, v41
	v_sub_nc_u32_e32 v41, 29, v41
	v_lshlrev_b64 v[6:7], v42, v[6:7]
	s_delay_alu instid0(VALU_DEP_1)
	v_and_b32_e32 v6, 7, v6
; %bb.2382:                             ;   in Loop: Header=BB460_1375 Depth=1
	s_or_b32 exec_lo, exec_lo, s15
	v_lshlrev_b32_e32 v7, 16, v9
	s_delay_alu instid0(VALU_DEP_2) | instskip(SKIP_1) | instid1(VALU_DEP_3)
	v_lshlrev_b32_e32 v6, 20, v6
	v_lshl_add_u32 v9, v41, 23, 0x3c000000
	v_and_b32_e32 v7, 0x80000000, v7
	s_delay_alu instid0(VALU_DEP_1)
	v_or3_b32 v6, v6, v7, v9
.LBB460_2383:                           ;   in Loop: Header=BB460_1375 Depth=1
	s_or_b32 exec_lo, exec_lo, s13
.LBB460_2384:                           ;   in Loop: Header=BB460_1375 Depth=1
	s_delay_alu instid0(SALU_CYCLE_1)
	s_or_b32 exec_lo, exec_lo, s12
.LBB460_2385:                           ;   in Loop: Header=BB460_1375 Depth=1
	s_delay_alu instid0(SALU_CYCLE_1) | instskip(NEXT) | instid1(VALU_DEP_1)
	s_or_b32 exec_lo, exec_lo, s9
	v_mul_f32_e32 v6, v26, v6
                                        ; implicit-def: $vgpr41
	s_delay_alu instid0(VALU_DEP_1) | instskip(NEXT) | instid1(VALU_DEP_1)
	v_and_b32_e32 v7, 0x7f800000, v6
	v_cmp_ne_u32_e64 s0, 0x7f800000, v7
	s_delay_alu instid0(VALU_DEP_1) | instskip(NEXT) | instid1(SALU_CYCLE_1)
	s_and_saveexec_b32 s9, s0
	s_xor_b32 s0, exec_lo, s9
; %bb.2386:                             ;   in Loop: Header=BB460_1375 Depth=1
	v_bfe_u32 v7, v6, 16, 1
	s_delay_alu instid0(VALU_DEP_1)
	v_add3_u32 v41, v6, v7, 0x7fff
                                        ; implicit-def: $vgpr6
; %bb.2387:                             ;   in Loop: Header=BB460_1375 Depth=1
	s_and_not1_saveexec_b32 s9, s0
; %bb.2388:                             ;   in Loop: Header=BB460_1375 Depth=1
	v_and_b32_e32 v7, 0xffff, v6
	v_or_b32_e32 v9, 0x10000, v6
	s_delay_alu instid0(VALU_DEP_2) | instskip(NEXT) | instid1(VALU_DEP_1)
	v_cmp_eq_u32_e64 s0, 0, v7
	v_cndmask_b32_e64 v41, v9, v6, s0
; %bb.2389:                             ;   in Loop: Header=BB460_1375 Depth=1
	s_or_b32 exec_lo, exec_lo, s9
	v_lshrrev_b32_e32 v42, 16, v3
	s_mov_b32 s9, exec_lo
	s_delay_alu instid0(VALU_DEP_1) | instskip(NEXT) | instid1(VALU_DEP_1)
	v_dual_mov_b32 v6, 0 :: v_dual_and_b32 v7, 0xff, v42
	v_cmpx_ne_u16_e32 0, v7
	s_cbranch_execz .LBB460_2397
; %bb.2390:                             ;   in Loop: Header=BB460_1375 Depth=1
	v_bfrev_b32_e32 v6, 1
	s_mov_b32 s12, exec_lo
	v_cmpx_ne_u16_e32 0x80, v7
	s_cbranch_execz .LBB460_2396
; %bb.2391:                             ;   in Loop: Header=BB460_1375 Depth=1
	v_bfe_u32 v7, v3, 16, 7
	v_mov_b32_e32 v6, 0x7f800001
	s_mov_b32 s13, exec_lo
	s_delay_alu instid0(VALU_DEP_2)
	v_cmpx_ne_u32_e32 0x7f, v7
	s_cbranch_execz .LBB460_2395
; %bb.2392:                             ;   in Loop: Header=BB460_1375 Depth=1
	v_and_b32_e32 v9, 7, v42
	v_lshrrev_b32_e32 v43, 3, v7
	v_cmp_gt_u32_e64 s0, 8, v7
	s_delay_alu instid0(VALU_DEP_3) | instskip(NEXT) | instid1(VALU_DEP_2)
	v_dual_mov_b32 v6, v9 :: v_dual_mov_b32 v7, v10
	s_and_saveexec_b32 s15, s0
; %bb.2393:                             ;   in Loop: Header=BB460_1375 Depth=1
	v_clz_i32_u32_e32 v6, v9
	s_delay_alu instid0(VALU_DEP_1) | instskip(NEXT) | instid1(VALU_DEP_1)
	v_min_u32_e32 v43, 32, v6
	v_subrev_nc_u32_e32 v6, 28, v43
	v_sub_nc_u32_e32 v43, 29, v43
	s_delay_alu instid0(VALU_DEP_2) | instskip(NEXT) | instid1(VALU_DEP_1)
	v_lshlrev_b64 v[6:7], v6, v[9:10]
	v_and_b32_e32 v6, 7, v6
; %bb.2394:                             ;   in Loop: Header=BB460_1375 Depth=1
	s_or_b32 exec_lo, exec_lo, s15
	v_lshlrev_b32_e32 v7, 24, v42
	s_delay_alu instid0(VALU_DEP_2) | instskip(SKIP_1) | instid1(VALU_DEP_3)
	v_lshlrev_b32_e32 v6, 20, v6
	v_lshl_add_u32 v9, v43, 23, 0x3c000000
	v_and_b32_e32 v7, 0x80000000, v7
	s_delay_alu instid0(VALU_DEP_1)
	v_or3_b32 v6, v6, v7, v9
.LBB460_2395:                           ;   in Loop: Header=BB460_1375 Depth=1
	s_or_b32 exec_lo, exec_lo, s13
.LBB460_2396:                           ;   in Loop: Header=BB460_1375 Depth=1
	s_delay_alu instid0(SALU_CYCLE_1)
	s_or_b32 exec_lo, exec_lo, s12
.LBB460_2397:                           ;   in Loop: Header=BB460_1375 Depth=1
	s_delay_alu instid0(SALU_CYCLE_1) | instskip(NEXT) | instid1(VALU_DEP_1)
	s_or_b32 exec_lo, exec_lo, s9
	v_mul_f32_e32 v6, v26, v6
                                        ; implicit-def: $vgpr42
	s_delay_alu instid0(VALU_DEP_1) | instskip(NEXT) | instid1(VALU_DEP_1)
	v_and_b32_e32 v7, 0x7f800000, v6
	v_cmp_ne_u32_e64 s0, 0x7f800000, v7
	s_delay_alu instid0(VALU_DEP_1) | instskip(NEXT) | instid1(SALU_CYCLE_1)
	s_and_saveexec_b32 s9, s0
	s_xor_b32 s0, exec_lo, s9
; %bb.2398:                             ;   in Loop: Header=BB460_1375 Depth=1
	v_bfe_u32 v7, v6, 16, 1
	s_delay_alu instid0(VALU_DEP_1)
	v_add3_u32 v42, v6, v7, 0x7fff
                                        ; implicit-def: $vgpr6
; %bb.2399:                             ;   in Loop: Header=BB460_1375 Depth=1
	s_and_not1_saveexec_b32 s9, s0
; %bb.2400:                             ;   in Loop: Header=BB460_1375 Depth=1
	v_and_b32_e32 v7, 0xffff, v6
	v_or_b32_e32 v9, 0x10000, v6
	s_delay_alu instid0(VALU_DEP_2) | instskip(NEXT) | instid1(VALU_DEP_1)
	v_cmp_eq_u32_e64 s0, 0, v7
	v_cndmask_b32_e64 v42, v9, v6, s0
; %bb.2401:                             ;   in Loop: Header=BB460_1375 Depth=1
	s_or_b32 exec_lo, exec_lo, s9
	v_cmp_lt_u64_e64 s0, s[2:3], v[2:3]
	v_mov_b32_e32 v2, 0
	s_delay_alu instid0(VALU_DEP_2)
	s_and_saveexec_b32 s9, s0
	s_cbranch_execz .LBB460_2409
; %bb.2402:                             ;   in Loop: Header=BB460_1375 Depth=1
	v_lshrrev_b32_e32 v6, 24, v3
	v_bfrev_b32_e32 v2, 1
	s_mov_b32 s12, exec_lo
	s_delay_alu instid0(VALU_DEP_2)
	v_cmpx_ne_u32_e32 0x80, v6
	s_cbranch_execz .LBB460_2408
; %bb.2403:                             ;   in Loop: Header=BB460_1375 Depth=1
	v_bfe_u32 v3, v3, 24, 7
	v_mov_b32_e32 v2, 0x7f800001
	s_mov_b32 s13, exec_lo
	s_delay_alu instid0(VALU_DEP_2)
	v_cmpx_ne_u32_e32 0x7f, v3
	s_cbranch_execz .LBB460_2407
; %bb.2404:                             ;   in Loop: Header=BB460_1375 Depth=1
	v_and_b32_e32 v9, 7, v6
	v_lshrrev_b32_e32 v7, 3, v3
	v_cmp_gt_u32_e64 s0, 8, v3
	s_delay_alu instid0(VALU_DEP_3) | instskip(NEXT) | instid1(VALU_DEP_2)
	v_dual_mov_b32 v2, v9 :: v_dual_mov_b32 v3, v10
	s_and_saveexec_b32 s15, s0
; %bb.2405:                             ;   in Loop: Header=BB460_1375 Depth=1
	v_clz_i32_u32_e32 v2, v9
	s_delay_alu instid0(VALU_DEP_1) | instskip(NEXT) | instid1(VALU_DEP_1)
	v_min_u32_e32 v7, 32, v2
	v_subrev_nc_u32_e32 v2, 28, v7
	v_sub_nc_u32_e32 v7, 29, v7
	s_delay_alu instid0(VALU_DEP_2) | instskip(NEXT) | instid1(VALU_DEP_1)
	v_lshlrev_b64 v[2:3], v2, v[9:10]
	v_and_b32_e32 v2, 7, v2
; %bb.2406:                             ;   in Loop: Header=BB460_1375 Depth=1
	s_or_b32 exec_lo, exec_lo, s15
	v_lshlrev_b32_e32 v3, 24, v6
	s_delay_alu instid0(VALU_DEP_2) | instskip(SKIP_1) | instid1(VALU_DEP_3)
	v_lshlrev_b32_e32 v2, 20, v2
	v_lshl_add_u32 v6, v7, 23, 0x3c000000
	v_and_b32_e32 v3, 0x80000000, v3
	s_delay_alu instid0(VALU_DEP_1)
	v_or3_b32 v2, v2, v3, v6
.LBB460_2407:                           ;   in Loop: Header=BB460_1375 Depth=1
	s_or_b32 exec_lo, exec_lo, s13
.LBB460_2408:                           ;   in Loop: Header=BB460_1375 Depth=1
	s_delay_alu instid0(SALU_CYCLE_1)
	s_or_b32 exec_lo, exec_lo, s12
.LBB460_2409:                           ;   in Loop: Header=BB460_1375 Depth=1
	s_delay_alu instid0(SALU_CYCLE_1) | instskip(NEXT) | instid1(VALU_DEP_1)
	s_or_b32 exec_lo, exec_lo, s9
	v_mul_f32_e32 v3, v26, v2
	s_delay_alu instid0(VALU_DEP_1) | instskip(NEXT) | instid1(VALU_DEP_1)
	v_and_b32_e32 v2, 0x7f800000, v3
	v_cmp_ne_u32_e64 s0, 0x7f800000, v2
                                        ; implicit-def: $vgpr2
	s_delay_alu instid0(VALU_DEP_1) | instskip(NEXT) | instid1(SALU_CYCLE_1)
	s_and_saveexec_b32 s9, s0
	s_xor_b32 s0, exec_lo, s9
; %bb.2410:                             ;   in Loop: Header=BB460_1375 Depth=1
	v_bfe_u32 v2, v3, 16, 1
	s_delay_alu instid0(VALU_DEP_1)
	v_add3_u32 v2, v3, v2, 0x7fff
                                        ; implicit-def: $vgpr3
; %bb.2411:                             ;   in Loop: Header=BB460_1375 Depth=1
	s_and_not1_saveexec_b32 s9, s0
; %bb.2412:                             ;   in Loop: Header=BB460_1375 Depth=1
	v_and_b32_e32 v2, 0xffff, v3
	v_or_b32_e32 v6, 0x10000, v3
	s_delay_alu instid0(VALU_DEP_2) | instskip(NEXT) | instid1(VALU_DEP_1)
	v_cmp_eq_u32_e64 s0, 0, v2
	v_cndmask_b32_e64 v2, v6, v3, s0
; %bb.2413:                             ;   in Loop: Header=BB460_1375 Depth=1
	s_or_b32 exec_lo, exec_lo, s9
	v_lshrrev_b32_e32 v6, 16, v41
	v_lshrrev_b32_e32 v7, 16, v40
	;; [unrolled: 1-line block ×8, first 2 shown]
	s_and_saveexec_b32 s9, vcc_lo
	s_cbranch_execz .LBB460_2415
; %bb.2414:                             ;   in Loop: Header=BB460_1375 Depth=1
	v_cmp_lt_i32_e64 s0, v66, v36
	s_delay_alu instid0(VALU_DEP_1) | instskip(SKIP_1) | instid1(VALU_DEP_1)
	v_cndmask_b32_e64 v23, 0, v23, s0
	v_cmp_lt_i32_e64 s0, v80, v36
	v_cndmask_b32_e64 v34, 0, v34, s0
	v_cmp_lt_i32_e64 s0, v71, v36
	s_delay_alu instid0(VALU_DEP_1) | instskip(SKIP_1) | instid1(VALU_DEP_1)
	v_cndmask_b32_e64 v183, 0, v183, s0
	v_cmp_lt_i32_e64 s0, v70, v36
	v_cndmask_b32_e64 v9, 0, v9, s0
	;; [unrolled: 5-line block ×4, first 2 shown]
.LBB460_2415:                           ;   in Loop: Header=BB460_1375 Depth=1
	s_or_b32 exec_lo, exec_lo, s9
	v_lshlrev_b32_e32 v23, 16, v23
	s_delay_alu instid0(VALU_DEP_1) | instskip(NEXT) | instid1(VALU_DEP_1)
	v_mul_f32_e32 v35, v81, v23
	v_and_b32_e32 v23, 0x7f800000, v35
	s_delay_alu instid0(VALU_DEP_1) | instskip(NEXT) | instid1(VALU_DEP_1)
	v_cmp_ne_u32_e64 s0, 0x7f800000, v23
                                        ; implicit-def: $vgpr23
	s_and_saveexec_b32 s9, s0
	s_delay_alu instid0(SALU_CYCLE_1)
	s_xor_b32 s0, exec_lo, s9
; %bb.2416:                             ;   in Loop: Header=BB460_1375 Depth=1
	v_bfe_u32 v23, v35, 16, 1
	s_delay_alu instid0(VALU_DEP_1)
	v_add3_u32 v23, v35, v23, 0x7fff
                                        ; implicit-def: $vgpr35
; %bb.2417:                             ;   in Loop: Header=BB460_1375 Depth=1
	s_and_not1_saveexec_b32 s9, s0
; %bb.2418:                             ;   in Loop: Header=BB460_1375 Depth=1
	v_and_b32_e32 v23, 0xffff, v35
	v_or_b32_e32 v40, 0x10000, v35
	s_delay_alu instid0(VALU_DEP_2) | instskip(NEXT) | instid1(VALU_DEP_1)
	v_cmp_eq_u32_e64 s0, 0, v23
	v_cndmask_b32_e64 v23, v40, v35, s0
; %bb.2419:                             ;   in Loop: Header=BB460_1375 Depth=1
	s_or_b32 exec_lo, exec_lo, s9
	v_lshlrev_b32_e32 v34, 16, v34
	s_delay_alu instid0(VALU_DEP_1) | instskip(NEXT) | instid1(VALU_DEP_1)
	v_mul_f32_e32 v34, v82, v34
	v_and_b32_e32 v35, 0x7f800000, v34
	s_delay_alu instid0(VALU_DEP_1) | instskip(NEXT) | instid1(VALU_DEP_1)
	v_cmp_ne_u32_e64 s0, 0x7f800000, v35
                                        ; implicit-def: $vgpr35
	s_and_saveexec_b32 s9, s0
	s_delay_alu instid0(SALU_CYCLE_1)
	s_xor_b32 s0, exec_lo, s9
; %bb.2420:                             ;   in Loop: Header=BB460_1375 Depth=1
	v_bfe_u32 v35, v34, 16, 1
	s_delay_alu instid0(VALU_DEP_1)
	v_add3_u32 v35, v34, v35, 0x7fff
                                        ; implicit-def: $vgpr34
; %bb.2421:                             ;   in Loop: Header=BB460_1375 Depth=1
	s_and_not1_saveexec_b32 s9, s0
; %bb.2422:                             ;   in Loop: Header=BB460_1375 Depth=1
	v_and_b32_e32 v35, 0xffff, v34
	v_or_b32_e32 v40, 0x10000, v34
	s_delay_alu instid0(VALU_DEP_2) | instskip(NEXT) | instid1(VALU_DEP_1)
	v_cmp_eq_u32_e64 s0, 0, v35
	v_cndmask_b32_e64 v35, v40, v34, s0
; %bb.2423:                             ;   in Loop: Header=BB460_1375 Depth=1
	s_or_b32 exec_lo, exec_lo, s9
	v_lshlrev_b32_e32 v34, 16, v183
	s_delay_alu instid0(VALU_DEP_1) | instskip(NEXT) | instid1(VALU_DEP_1)
	v_mul_f32_e32 v34, v83, v34
	v_and_b32_e32 v183, 0x7f800000, v34
	s_delay_alu instid0(VALU_DEP_1) | instskip(NEXT) | instid1(VALU_DEP_1)
	v_cmp_ne_u32_e64 s0, 0x7f800000, v183
                                        ; implicit-def: $vgpr183
	s_and_saveexec_b32 s9, s0
	s_delay_alu instid0(SALU_CYCLE_1)
	s_xor_b32 s0, exec_lo, s9
; %bb.2424:                             ;   in Loop: Header=BB460_1375 Depth=1
	v_bfe_u32 v183, v34, 16, 1
	s_delay_alu instid0(VALU_DEP_1)
	v_add3_u32 v183, v34, v183, 0x7fff
                                        ; implicit-def: $vgpr34
; %bb.2425:                             ;   in Loop: Header=BB460_1375 Depth=1
	s_and_not1_saveexec_b32 s9, s0
; %bb.2426:                             ;   in Loop: Header=BB460_1375 Depth=1
	v_and_b32_e32 v183, 0xffff, v34
	v_or_b32_e32 v40, 0x10000, v34
	s_delay_alu instid0(VALU_DEP_2) | instskip(NEXT) | instid1(VALU_DEP_1)
	v_cmp_eq_u32_e64 s0, 0, v183
	v_cndmask_b32_e64 v183, v40, v34, s0
; %bb.2427:                             ;   in Loop: Header=BB460_1375 Depth=1
	s_or_b32 exec_lo, exec_lo, s9
	v_lshlrev_b32_e32 v9, 16, v9
                                        ; implicit-def: $vgpr40
	s_delay_alu instid0(VALU_DEP_1) | instskip(NEXT) | instid1(VALU_DEP_1)
	v_mul_f32_e32 v9, v84, v9
	v_and_b32_e32 v34, 0x7f800000, v9
	s_delay_alu instid0(VALU_DEP_1) | instskip(NEXT) | instid1(VALU_DEP_1)
	v_cmp_ne_u32_e64 s0, 0x7f800000, v34
	s_and_saveexec_b32 s9, s0
	s_delay_alu instid0(SALU_CYCLE_1)
	s_xor_b32 s0, exec_lo, s9
; %bb.2428:                             ;   in Loop: Header=BB460_1375 Depth=1
	v_bfe_u32 v34, v9, 16, 1
	s_delay_alu instid0(VALU_DEP_1)
	v_add3_u32 v40, v9, v34, 0x7fff
                                        ; implicit-def: $vgpr9
; %bb.2429:                             ;   in Loop: Header=BB460_1375 Depth=1
	s_and_not1_saveexec_b32 s9, s0
; %bb.2430:                             ;   in Loop: Header=BB460_1375 Depth=1
	v_and_b32_e32 v34, 0xffff, v9
	v_or_b32_e32 v40, 0x10000, v9
	s_delay_alu instid0(VALU_DEP_2) | instskip(NEXT) | instid1(VALU_DEP_1)
	v_cmp_eq_u32_e64 s0, 0, v34
	v_cndmask_b32_e64 v40, v40, v9, s0
; %bb.2431:                             ;   in Loop: Header=BB460_1375 Depth=1
	s_or_b32 exec_lo, exec_lo, s9
	v_lshlrev_b32_e32 v7, 16, v7
                                        ; implicit-def: $vgpr41
	s_delay_alu instid0(VALU_DEP_1) | instskip(NEXT) | instid1(VALU_DEP_1)
	v_mul_f32_e32 v7, v85, v7
	v_and_b32_e32 v9, 0x7f800000, v7
	s_delay_alu instid0(VALU_DEP_1) | instskip(NEXT) | instid1(VALU_DEP_1)
	v_cmp_ne_u32_e64 s0, 0x7f800000, v9
	s_and_saveexec_b32 s9, s0
	s_delay_alu instid0(SALU_CYCLE_1)
	s_xor_b32 s0, exec_lo, s9
; %bb.2432:                             ;   in Loop: Header=BB460_1375 Depth=1
	v_bfe_u32 v9, v7, 16, 1
	s_delay_alu instid0(VALU_DEP_1)
	v_add3_u32 v41, v7, v9, 0x7fff
                                        ; implicit-def: $vgpr7
; %bb.2433:                             ;   in Loop: Header=BB460_1375 Depth=1
	s_and_not1_saveexec_b32 s9, s0
; %bb.2434:                             ;   in Loop: Header=BB460_1375 Depth=1
	v_and_b32_e32 v9, 0xffff, v7
	v_or_b32_e32 v34, 0x10000, v7
	s_delay_alu instid0(VALU_DEP_2) | instskip(NEXT) | instid1(VALU_DEP_1)
	v_cmp_eq_u32_e64 s0, 0, v9
	v_cndmask_b32_e64 v41, v34, v7, s0
; %bb.2435:                             ;   in Loop: Header=BB460_1375 Depth=1
	s_or_b32 exec_lo, exec_lo, s9
	v_lshlrev_b32_e32 v6, 16, v6
                                        ; implicit-def: $vgpr42
	s_delay_alu instid0(VALU_DEP_1) | instskip(NEXT) | instid1(VALU_DEP_1)
	v_mul_f32_e32 v6, v86, v6
	v_and_b32_e32 v7, 0x7f800000, v6
	s_delay_alu instid0(VALU_DEP_1) | instskip(NEXT) | instid1(VALU_DEP_1)
	v_cmp_ne_u32_e64 s0, 0x7f800000, v7
	s_and_saveexec_b32 s9, s0
	s_delay_alu instid0(SALU_CYCLE_1)
	s_xor_b32 s0, exec_lo, s9
; %bb.2436:                             ;   in Loop: Header=BB460_1375 Depth=1
	v_bfe_u32 v7, v6, 16, 1
	s_delay_alu instid0(VALU_DEP_1)
	v_add3_u32 v42, v6, v7, 0x7fff
                                        ; implicit-def: $vgpr6
; %bb.2437:                             ;   in Loop: Header=BB460_1375 Depth=1
	s_and_not1_saveexec_b32 s9, s0
; %bb.2438:                             ;   in Loop: Header=BB460_1375 Depth=1
	v_and_b32_e32 v7, 0xffff, v6
	v_or_b32_e32 v9, 0x10000, v6
	s_delay_alu instid0(VALU_DEP_2) | instskip(NEXT) | instid1(VALU_DEP_1)
	v_cmp_eq_u32_e64 s0, 0, v7
	v_cndmask_b32_e64 v42, v9, v6, s0
; %bb.2439:                             ;   in Loop: Header=BB460_1375 Depth=1
	s_or_b32 exec_lo, exec_lo, s9
	v_lshlrev_b32_e32 v3, 16, v3
                                        ; implicit-def: $vgpr43
	s_delay_alu instid0(VALU_DEP_1) | instskip(NEXT) | instid1(VALU_DEP_1)
	v_mul_f32_e32 v3, v87, v3
	v_and_b32_e32 v6, 0x7f800000, v3
	s_delay_alu instid0(VALU_DEP_1) | instskip(NEXT) | instid1(VALU_DEP_1)
	v_cmp_ne_u32_e64 s0, 0x7f800000, v6
	s_and_saveexec_b32 s9, s0
	s_delay_alu instid0(SALU_CYCLE_1)
	s_xor_b32 s0, exec_lo, s9
; %bb.2440:                             ;   in Loop: Header=BB460_1375 Depth=1
	v_bfe_u32 v6, v3, 16, 1
	s_delay_alu instid0(VALU_DEP_1)
	v_add3_u32 v43, v3, v6, 0x7fff
                                        ; implicit-def: $vgpr3
; %bb.2441:                             ;   in Loop: Header=BB460_1375 Depth=1
	s_and_not1_saveexec_b32 s9, s0
; %bb.2442:                             ;   in Loop: Header=BB460_1375 Depth=1
	v_and_b32_e32 v6, 0xffff, v3
	v_or_b32_e32 v7, 0x10000, v3
	s_delay_alu instid0(VALU_DEP_2) | instskip(NEXT) | instid1(VALU_DEP_1)
	v_cmp_eq_u32_e64 s0, 0, v6
	v_cndmask_b32_e64 v43, v7, v3, s0
; %bb.2443:                             ;   in Loop: Header=BB460_1375 Depth=1
	s_or_b32 exec_lo, exec_lo, s9
	v_lshlrev_b32_e32 v2, 16, v2
                                        ; implicit-def: $vgpr44
	s_delay_alu instid0(VALU_DEP_1) | instskip(NEXT) | instid1(VALU_DEP_1)
	v_mul_f32_e32 v2, v96, v2
	v_and_b32_e32 v3, 0x7f800000, v2
	s_delay_alu instid0(VALU_DEP_1) | instskip(NEXT) | instid1(VALU_DEP_1)
	v_cmp_ne_u32_e64 s0, 0x7f800000, v3
	s_and_saveexec_b32 s9, s0
	s_delay_alu instid0(SALU_CYCLE_1)
	s_xor_b32 s0, exec_lo, s9
; %bb.2444:                             ;   in Loop: Header=BB460_1375 Depth=1
	v_bfe_u32 v3, v2, 16, 1
	s_delay_alu instid0(VALU_DEP_1)
	v_add3_u32 v44, v2, v3, 0x7fff
                                        ; implicit-def: $vgpr2
; %bb.2445:                             ;   in Loop: Header=BB460_1375 Depth=1
	s_and_not1_saveexec_b32 s9, s0
; %bb.2446:                             ;   in Loop: Header=BB460_1375 Depth=1
	v_and_b32_e32 v3, 0xffff, v2
	v_or_b32_e32 v6, 0x10000, v2
	s_delay_alu instid0(VALU_DEP_2) | instskip(NEXT) | instid1(VALU_DEP_1)
	v_cmp_eq_u32_e64 s0, 0, v3
	v_cndmask_b32_e64 v44, v6, v2, s0
; %bb.2447:                             ;   in Loop: Header=BB460_1375 Depth=1
	s_or_b32 exec_lo, exec_lo, s9
	flat_load_b64 v[2:3], v[0:1] offset:2048
	s_mov_b32 s9, exec_lo
	s_waitcnt vmcnt(0) lgkmcnt(0)
	v_dual_mov_b32 v6, 0 :: v_dual_and_b32 v7, 0xff, v2
	s_delay_alu instid0(VALU_DEP_1)
	v_cmpx_ne_u16_e32 0, v7
	s_cbranch_execz .LBB460_2455
; %bb.2448:                             ;   in Loop: Header=BB460_1375 Depth=1
	v_bfrev_b32_e32 v6, 1
	s_mov_b32 s12, exec_lo
	v_cmpx_ne_u16_e32 0x80, v7
	s_cbranch_execz .LBB460_2454
; %bb.2449:                             ;   in Loop: Header=BB460_1375 Depth=1
	v_and_b32_e32 v7, 0x7f, v2
	v_mov_b32_e32 v6, 0x7f800001
	s_mov_b32 s13, exec_lo
	s_delay_alu instid0(VALU_DEP_2)
	v_cmpx_ne_u32_e32 0x7f, v7
	s_cbranch_execz .LBB460_2453
; %bb.2450:                             ;   in Loop: Header=BB460_1375 Depth=1
	v_lshrrev_b32_e32 v9, 3, v7
	v_cmp_gt_u32_e64 s0, 8, v7
	v_dual_mov_b32 v7, v3 :: v_dual_mov_b32 v6, v2
	s_delay_alu instid0(VALU_DEP_2)
	s_and_saveexec_b32 s15, s0
; %bb.2451:                             ;   in Loop: Header=BB460_1375 Depth=1
	v_and_b32_e32 v6, 7, v2
	s_delay_alu instid0(VALU_DEP_1) | instskip(NEXT) | instid1(VALU_DEP_1)
	v_clz_i32_u32_e32 v6, v6
	v_min_u32_e32 v9, 32, v6
	s_delay_alu instid0(VALU_DEP_1) | instskip(SKIP_1) | instid1(VALU_DEP_2)
	v_subrev_nc_u32_e32 v6, 28, v9
	v_sub_nc_u32_e32 v9, 29, v9
	v_lshlrev_b64 v[6:7], v6, v[2:3]
; %bb.2452:                             ;   in Loop: Header=BB460_1375 Depth=1
	s_or_b32 exec_lo, exec_lo, s15
	s_delay_alu instid0(VALU_DEP_1) | instskip(SKIP_2) | instid1(VALU_DEP_3)
	v_lshlrev_b32_e32 v6, 20, v6
	v_lshlrev_b32_e32 v7, 24, v2
	v_lshl_add_u32 v9, v9, 23, 0x3c000000
	v_and_b32_e32 v6, 0x700000, v6
	s_delay_alu instid0(VALU_DEP_3) | instskip(NEXT) | instid1(VALU_DEP_1)
	v_and_b32_e32 v7, 0x80000000, v7
	v_or3_b32 v6, v6, v7, v9
.LBB460_2453:                           ;   in Loop: Header=BB460_1375 Depth=1
	s_or_b32 exec_lo, exec_lo, s13
.LBB460_2454:                           ;   in Loop: Header=BB460_1375 Depth=1
	s_delay_alu instid0(SALU_CYCLE_1)
	s_or_b32 exec_lo, exec_lo, s12
.LBB460_2455:                           ;   in Loop: Header=BB460_1375 Depth=1
	s_delay_alu instid0(SALU_CYCLE_1) | instskip(NEXT) | instid1(VALU_DEP_1)
	s_or_b32 exec_lo, exec_lo, s9
	v_mul_f32_e32 v6, v26, v6
                                        ; implicit-def: $vgpr34
	s_delay_alu instid0(VALU_DEP_1) | instskip(NEXT) | instid1(VALU_DEP_1)
	v_and_b32_e32 v7, 0x7f800000, v6
	v_cmp_ne_u32_e64 s0, 0x7f800000, v7
	s_delay_alu instid0(VALU_DEP_1) | instskip(NEXT) | instid1(SALU_CYCLE_1)
	s_and_saveexec_b32 s9, s0
	s_xor_b32 s0, exec_lo, s9
; %bb.2456:                             ;   in Loop: Header=BB460_1375 Depth=1
	v_bfe_u32 v7, v6, 16, 1
	s_delay_alu instid0(VALU_DEP_1)
	v_add3_u32 v34, v6, v7, 0x7fff
                                        ; implicit-def: $vgpr6
; %bb.2457:                             ;   in Loop: Header=BB460_1375 Depth=1
	s_and_not1_saveexec_b32 s9, s0
; %bb.2458:                             ;   in Loop: Header=BB460_1375 Depth=1
	v_and_b32_e32 v7, 0xffff, v6
	v_or_b32_e32 v9, 0x10000, v6
	s_delay_alu instid0(VALU_DEP_2) | instskip(NEXT) | instid1(VALU_DEP_1)
	v_cmp_eq_u32_e64 s0, 0, v7
	v_cndmask_b32_e64 v34, v9, v6, s0
; %bb.2459:                             ;   in Loop: Header=BB460_1375 Depth=1
	s_or_b32 exec_lo, exec_lo, s9
	v_lshrrev_b16 v7, 8, v2
	v_mov_b32_e32 v6, 0
	s_mov_b32 s9, exec_lo
	s_delay_alu instid0(VALU_DEP_2)
	v_cmpx_ne_u16_e32 0, v7
	s_cbranch_execz .LBB460_2467
; %bb.2460:                             ;   in Loop: Header=BB460_1375 Depth=1
	v_bfrev_b32_e32 v6, 1
	s_mov_b32 s12, exec_lo
	v_cmpx_ne_u16_e32 0x80, v7
	s_cbranch_execz .LBB460_2466
; %bb.2461:                             ;   in Loop: Header=BB460_1375 Depth=1
	v_and_b32_e32 v9, 0xffff, v7
	v_mov_b32_e32 v6, 0x7f800001
	s_mov_b32 s13, exec_lo
	s_delay_alu instid0(VALU_DEP_2) | instskip(NEXT) | instid1(VALU_DEP_1)
	v_and_b32_e32 v7, 0x7f, v9
	v_cmpx_ne_u32_e32 0x7f, v7
	s_cbranch_execz .LBB460_2465
; %bb.2462:                             ;   in Loop: Header=BB460_1375 Depth=1
	v_and_b32_e32 v9, 7, v9
	v_lshrrev_b32_e32 v45, 3, v7
	v_cmp_gt_u32_e64 s0, 8, v7
	s_delay_alu instid0(VALU_DEP_3) | instskip(NEXT) | instid1(VALU_DEP_2)
	v_dual_mov_b32 v6, v9 :: v_dual_mov_b32 v7, v10
	s_and_saveexec_b32 s15, s0
; %bb.2463:                             ;   in Loop: Header=BB460_1375 Depth=1
	v_clz_i32_u32_e32 v6, v9
	s_delay_alu instid0(VALU_DEP_1) | instskip(NEXT) | instid1(VALU_DEP_1)
	v_min_u32_e32 v45, 32, v6
	v_subrev_nc_u32_e32 v6, 28, v45
	v_sub_nc_u32_e32 v45, 29, v45
	s_delay_alu instid0(VALU_DEP_2) | instskip(NEXT) | instid1(VALU_DEP_1)
	v_lshlrev_b64 v[6:7], v6, v[9:10]
	v_and_b32_e32 v6, 7, v6
; %bb.2464:                             ;   in Loop: Header=BB460_1375 Depth=1
	s_or_b32 exec_lo, exec_lo, s15
	v_lshlrev_b32_e32 v7, 16, v2
	s_delay_alu instid0(VALU_DEP_2) | instskip(SKIP_1) | instid1(VALU_DEP_3)
	v_lshlrev_b32_e32 v6, 20, v6
	v_lshl_add_u32 v9, v45, 23, 0x3c000000
	v_and_b32_e32 v7, 0x80000000, v7
	s_delay_alu instid0(VALU_DEP_1)
	v_or3_b32 v6, v6, v7, v9
.LBB460_2465:                           ;   in Loop: Header=BB460_1375 Depth=1
	s_or_b32 exec_lo, exec_lo, s13
.LBB460_2466:                           ;   in Loop: Header=BB460_1375 Depth=1
	s_delay_alu instid0(SALU_CYCLE_1)
	s_or_b32 exec_lo, exec_lo, s12
.LBB460_2467:                           ;   in Loop: Header=BB460_1375 Depth=1
	s_delay_alu instid0(SALU_CYCLE_1) | instskip(NEXT) | instid1(VALU_DEP_1)
	s_or_b32 exec_lo, exec_lo, s9
	v_mul_f32_e32 v6, v26, v6
                                        ; implicit-def: $vgpr45
	s_delay_alu instid0(VALU_DEP_1) | instskip(NEXT) | instid1(VALU_DEP_1)
	v_and_b32_e32 v7, 0x7f800000, v6
	v_cmp_ne_u32_e64 s0, 0x7f800000, v7
	s_delay_alu instid0(VALU_DEP_1) | instskip(NEXT) | instid1(SALU_CYCLE_1)
	s_and_saveexec_b32 s9, s0
	s_xor_b32 s0, exec_lo, s9
; %bb.2468:                             ;   in Loop: Header=BB460_1375 Depth=1
	v_bfe_u32 v7, v6, 16, 1
	s_delay_alu instid0(VALU_DEP_1)
	v_add3_u32 v45, v6, v7, 0x7fff
                                        ; implicit-def: $vgpr6
; %bb.2469:                             ;   in Loop: Header=BB460_1375 Depth=1
	s_and_not1_saveexec_b32 s9, s0
; %bb.2470:                             ;   in Loop: Header=BB460_1375 Depth=1
	v_and_b32_e32 v7, 0xffff, v6
	v_or_b32_e32 v9, 0x10000, v6
	s_delay_alu instid0(VALU_DEP_2) | instskip(NEXT) | instid1(VALU_DEP_1)
	v_cmp_eq_u32_e64 s0, 0, v7
	v_cndmask_b32_e64 v45, v9, v6, s0
; %bb.2471:                             ;   in Loop: Header=BB460_1375 Depth=1
	s_or_b32 exec_lo, exec_lo, s9
	v_lshrrev_b32_e32 v46, 16, v2
	s_mov_b32 s9, exec_lo
	s_delay_alu instid0(VALU_DEP_1) | instskip(NEXT) | instid1(VALU_DEP_1)
	v_dual_mov_b32 v6, 0 :: v_dual_and_b32 v7, 0xff, v46
	v_cmpx_ne_u16_e32 0, v7
	s_cbranch_execz .LBB460_2479
; %bb.2472:                             ;   in Loop: Header=BB460_1375 Depth=1
	v_bfrev_b32_e32 v6, 1
	s_mov_b32 s12, exec_lo
	v_cmpx_ne_u16_e32 0x80, v7
	s_cbranch_execz .LBB460_2478
; %bb.2473:                             ;   in Loop: Header=BB460_1375 Depth=1
	v_bfe_u32 v7, v2, 16, 7
	v_mov_b32_e32 v6, 0x7f800001
	s_mov_b32 s13, exec_lo
	s_delay_alu instid0(VALU_DEP_2)
	v_cmpx_ne_u32_e32 0x7f, v7
	s_cbranch_execz .LBB460_2477
; %bb.2474:                             ;   in Loop: Header=BB460_1375 Depth=1
	v_and_b32_e32 v9, 7, v46
	v_lshrrev_b32_e32 v47, 3, v7
	v_cmp_gt_u32_e64 s0, 8, v7
	s_delay_alu instid0(VALU_DEP_3) | instskip(NEXT) | instid1(VALU_DEP_2)
	v_dual_mov_b32 v6, v9 :: v_dual_mov_b32 v7, v10
	s_and_saveexec_b32 s15, s0
; %bb.2475:                             ;   in Loop: Header=BB460_1375 Depth=1
	v_clz_i32_u32_e32 v6, v9
	s_delay_alu instid0(VALU_DEP_1) | instskip(NEXT) | instid1(VALU_DEP_1)
	v_min_u32_e32 v47, 32, v6
	v_subrev_nc_u32_e32 v6, 28, v47
	v_sub_nc_u32_e32 v47, 29, v47
	s_delay_alu instid0(VALU_DEP_2) | instskip(NEXT) | instid1(VALU_DEP_1)
	v_lshlrev_b64 v[6:7], v6, v[9:10]
	v_and_b32_e32 v6, 7, v6
; %bb.2476:                             ;   in Loop: Header=BB460_1375 Depth=1
	s_or_b32 exec_lo, exec_lo, s15
	v_lshlrev_b32_e32 v7, 24, v46
	s_delay_alu instid0(VALU_DEP_2) | instskip(SKIP_1) | instid1(VALU_DEP_3)
	v_lshlrev_b32_e32 v6, 20, v6
	v_lshl_add_u32 v9, v47, 23, 0x3c000000
	v_and_b32_e32 v7, 0x80000000, v7
	s_delay_alu instid0(VALU_DEP_1)
	v_or3_b32 v6, v6, v7, v9
.LBB460_2477:                           ;   in Loop: Header=BB460_1375 Depth=1
	s_or_b32 exec_lo, exec_lo, s13
.LBB460_2478:                           ;   in Loop: Header=BB460_1375 Depth=1
	s_delay_alu instid0(SALU_CYCLE_1)
	s_or_b32 exec_lo, exec_lo, s12
.LBB460_2479:                           ;   in Loop: Header=BB460_1375 Depth=1
	s_delay_alu instid0(SALU_CYCLE_1) | instskip(NEXT) | instid1(VALU_DEP_1)
	s_or_b32 exec_lo, exec_lo, s9
	v_mul_f32_e32 v6, v26, v6
                                        ; implicit-def: $vgpr46
	s_delay_alu instid0(VALU_DEP_1) | instskip(NEXT) | instid1(VALU_DEP_1)
	v_and_b32_e32 v7, 0x7f800000, v6
	v_cmp_ne_u32_e64 s0, 0x7f800000, v7
	s_delay_alu instid0(VALU_DEP_1) | instskip(NEXT) | instid1(SALU_CYCLE_1)
	s_and_saveexec_b32 s9, s0
	s_xor_b32 s0, exec_lo, s9
; %bb.2480:                             ;   in Loop: Header=BB460_1375 Depth=1
	v_bfe_u32 v7, v6, 16, 1
	s_delay_alu instid0(VALU_DEP_1)
	v_add3_u32 v46, v6, v7, 0x7fff
                                        ; implicit-def: $vgpr6
; %bb.2481:                             ;   in Loop: Header=BB460_1375 Depth=1
	s_and_not1_saveexec_b32 s9, s0
; %bb.2482:                             ;   in Loop: Header=BB460_1375 Depth=1
	v_and_b32_e32 v7, 0xffff, v6
	v_or_b32_e32 v9, 0x10000, v6
	s_delay_alu instid0(VALU_DEP_2) | instskip(NEXT) | instid1(VALU_DEP_1)
	v_cmp_eq_u32_e64 s0, 0, v7
	v_cndmask_b32_e64 v46, v9, v6, s0
; %bb.2483:                             ;   in Loop: Header=BB460_1375 Depth=1
	s_or_b32 exec_lo, exec_lo, s9
	v_mov_b32_e32 v6, 0
	s_mov_b32 s9, exec_lo
	v_cmpx_lt_u32_e32 0xffffff, v2
	s_cbranch_execz .LBB460_2491
; %bb.2484:                             ;   in Loop: Header=BB460_1375 Depth=1
	v_lshrrev_b32_e32 v47, 24, v2
	v_bfrev_b32_e32 v6, 1
	s_mov_b32 s12, exec_lo
	s_delay_alu instid0(VALU_DEP_2)
	v_cmpx_ne_u32_e32 0x80, v47
	s_cbranch_execz .LBB460_2490
; %bb.2485:                             ;   in Loop: Header=BB460_1375 Depth=1
	v_bfe_u32 v7, v2, 24, 7
	v_mov_b32_e32 v6, 0x7f800001
	s_mov_b32 s13, exec_lo
	s_delay_alu instid0(VALU_DEP_2)
	v_cmpx_ne_u32_e32 0x7f, v7
	s_cbranch_execz .LBB460_2489
; %bb.2486:                             ;   in Loop: Header=BB460_1375 Depth=1
	v_and_b32_e32 v9, 7, v47
	v_lshrrev_b32_e32 v56, 3, v7
	v_cmp_gt_u32_e64 s0, 8, v7
	s_delay_alu instid0(VALU_DEP_3) | instskip(NEXT) | instid1(VALU_DEP_2)
	v_dual_mov_b32 v6, v9 :: v_dual_mov_b32 v7, v10
	s_and_saveexec_b32 s15, s0
; %bb.2487:                             ;   in Loop: Header=BB460_1375 Depth=1
	v_clz_i32_u32_e32 v6, v9
	s_delay_alu instid0(VALU_DEP_1) | instskip(NEXT) | instid1(VALU_DEP_1)
	v_min_u32_e32 v56, 32, v6
	v_subrev_nc_u32_e32 v6, 28, v56
	v_sub_nc_u32_e32 v56, 29, v56
	s_delay_alu instid0(VALU_DEP_2) | instskip(NEXT) | instid1(VALU_DEP_1)
	v_lshlrev_b64 v[6:7], v6, v[9:10]
	v_and_b32_e32 v6, 7, v6
; %bb.2488:                             ;   in Loop: Header=BB460_1375 Depth=1
	s_or_b32 exec_lo, exec_lo, s15
	v_lshlrev_b32_e32 v7, 24, v47
	s_delay_alu instid0(VALU_DEP_2) | instskip(SKIP_1) | instid1(VALU_DEP_3)
	v_lshlrev_b32_e32 v6, 20, v6
	v_lshl_add_u32 v9, v56, 23, 0x3c000000
	v_and_b32_e32 v7, 0x80000000, v7
	s_delay_alu instid0(VALU_DEP_1)
	v_or3_b32 v6, v6, v7, v9
.LBB460_2489:                           ;   in Loop: Header=BB460_1375 Depth=1
	s_or_b32 exec_lo, exec_lo, s13
.LBB460_2490:                           ;   in Loop: Header=BB460_1375 Depth=1
	s_delay_alu instid0(SALU_CYCLE_1)
	s_or_b32 exec_lo, exec_lo, s12
.LBB460_2491:                           ;   in Loop: Header=BB460_1375 Depth=1
	s_delay_alu instid0(SALU_CYCLE_1) | instskip(NEXT) | instid1(VALU_DEP_1)
	s_or_b32 exec_lo, exec_lo, s9
	v_mul_f32_e32 v6, v26, v6
                                        ; implicit-def: $vgpr47
	s_delay_alu instid0(VALU_DEP_1) | instskip(NEXT) | instid1(VALU_DEP_1)
	v_and_b32_e32 v7, 0x7f800000, v6
	v_cmp_ne_u32_e64 s0, 0x7f800000, v7
	s_delay_alu instid0(VALU_DEP_1) | instskip(NEXT) | instid1(SALU_CYCLE_1)
	s_and_saveexec_b32 s9, s0
	s_xor_b32 s0, exec_lo, s9
; %bb.2492:                             ;   in Loop: Header=BB460_1375 Depth=1
	v_bfe_u32 v7, v6, 16, 1
	s_delay_alu instid0(VALU_DEP_1)
	v_add3_u32 v47, v6, v7, 0x7fff
                                        ; implicit-def: $vgpr6
; %bb.2493:                             ;   in Loop: Header=BB460_1375 Depth=1
	s_and_not1_saveexec_b32 s9, s0
; %bb.2494:                             ;   in Loop: Header=BB460_1375 Depth=1
	v_and_b32_e32 v7, 0xffff, v6
	v_or_b32_e32 v9, 0x10000, v6
	s_delay_alu instid0(VALU_DEP_2) | instskip(NEXT) | instid1(VALU_DEP_1)
	v_cmp_eq_u32_e64 s0, 0, v7
	v_cndmask_b32_e64 v47, v9, v6, s0
; %bb.2495:                             ;   in Loop: Header=BB460_1375 Depth=1
	s_or_b32 exec_lo, exec_lo, s9
	v_dual_mov_b32 v6, 0 :: v_dual_and_b32 v7, 0xff, v3
	v_mov_b32_e32 v9, v3
	s_mov_b32 s9, exec_lo
	s_delay_alu instid0(VALU_DEP_2)
	v_cmpx_ne_u16_e32 0, v7
	s_cbranch_execz .LBB460_2503
; %bb.2496:                             ;   in Loop: Header=BB460_1375 Depth=1
	v_bfrev_b32_e32 v6, 1
	s_mov_b32 s12, exec_lo
	v_cmpx_ne_u16_e32 0x80, v7
	s_cbranch_execz .LBB460_2502
; %bb.2497:                             ;   in Loop: Header=BB460_1375 Depth=1
	v_and_b32_e32 v7, 0x7f, v3
	v_mov_b32_e32 v6, 0x7f800001
	s_mov_b32 s13, exec_lo
	s_delay_alu instid0(VALU_DEP_2)
	v_cmpx_ne_u32_e32 0x7f, v7
	s_cbranch_execz .LBB460_2501
; %bb.2498:                             ;   in Loop: Header=BB460_1375 Depth=1
	v_lshrrev_b32_e32 v56, 3, v7
	v_cmp_gt_u32_e64 s0, 8, v7
	v_dual_mov_b32 v6, v9 :: v_dual_mov_b32 v7, v10
	s_delay_alu instid0(VALU_DEP_2)
	s_and_saveexec_b32 s15, s0
; %bb.2499:                             ;   in Loop: Header=BB460_1375 Depth=1
	v_and_b32_e32 v6, 7, v3
	s_delay_alu instid0(VALU_DEP_1) | instskip(NEXT) | instid1(VALU_DEP_1)
	v_clz_i32_u32_e32 v6, v6
	v_min_u32_e32 v56, 32, v6
	s_delay_alu instid0(VALU_DEP_1) | instskip(SKIP_1) | instid1(VALU_DEP_2)
	v_subrev_nc_u32_e32 v6, 28, v56
	v_sub_nc_u32_e32 v56, 29, v56
	v_lshlrev_b64 v[6:7], v6, v[9:10]
; %bb.2500:                             ;   in Loop: Header=BB460_1375 Depth=1
	s_or_b32 exec_lo, exec_lo, s15
	s_delay_alu instid0(VALU_DEP_1) | instskip(SKIP_2) | instid1(VALU_DEP_3)
	v_lshlrev_b32_e32 v6, 20, v6
	v_lshlrev_b32_e32 v7, 24, v9
	v_lshl_add_u32 v56, v56, 23, 0x3c000000
	v_and_b32_e32 v6, 0x700000, v6
	s_delay_alu instid0(VALU_DEP_3) | instskip(NEXT) | instid1(VALU_DEP_1)
	v_and_b32_e32 v7, 0x80000000, v7
	v_or3_b32 v6, v6, v7, v56
.LBB460_2501:                           ;   in Loop: Header=BB460_1375 Depth=1
	s_or_b32 exec_lo, exec_lo, s13
.LBB460_2502:                           ;   in Loop: Header=BB460_1375 Depth=1
	s_delay_alu instid0(SALU_CYCLE_1)
	s_or_b32 exec_lo, exec_lo, s12
.LBB460_2503:                           ;   in Loop: Header=BB460_1375 Depth=1
	s_delay_alu instid0(SALU_CYCLE_1) | instskip(NEXT) | instid1(VALU_DEP_1)
	s_or_b32 exec_lo, exec_lo, s9
	v_mul_f32_e32 v6, v26, v6
                                        ; implicit-def: $vgpr56
	s_delay_alu instid0(VALU_DEP_1) | instskip(NEXT) | instid1(VALU_DEP_1)
	v_and_b32_e32 v7, 0x7f800000, v6
	v_cmp_ne_u32_e64 s0, 0x7f800000, v7
	s_delay_alu instid0(VALU_DEP_1) | instskip(NEXT) | instid1(SALU_CYCLE_1)
	s_and_saveexec_b32 s9, s0
	s_xor_b32 s0, exec_lo, s9
; %bb.2504:                             ;   in Loop: Header=BB460_1375 Depth=1
	v_bfe_u32 v7, v6, 16, 1
	s_delay_alu instid0(VALU_DEP_1)
	v_add3_u32 v56, v6, v7, 0x7fff
                                        ; implicit-def: $vgpr6
; %bb.2505:                             ;   in Loop: Header=BB460_1375 Depth=1
	s_and_not1_saveexec_b32 s9, s0
; %bb.2506:                             ;   in Loop: Header=BB460_1375 Depth=1
	v_and_b32_e32 v7, 0xffff, v6
	v_or_b32_e32 v56, 0x10000, v6
	s_delay_alu instid0(VALU_DEP_2) | instskip(NEXT) | instid1(VALU_DEP_1)
	v_cmp_eq_u32_e64 s0, 0, v7
	v_cndmask_b32_e64 v56, v56, v6, s0
; %bb.2507:                             ;   in Loop: Header=BB460_1375 Depth=1
	s_or_b32 exec_lo, exec_lo, s9
	v_lshrrev_b16 v7, 8, v9
	v_mov_b32_e32 v6, 0
	s_mov_b32 s9, exec_lo
	s_delay_alu instid0(VALU_DEP_2)
	v_cmpx_ne_u16_e32 0, v7
	s_cbranch_execz .LBB460_2515
; %bb.2508:                             ;   in Loop: Header=BB460_1375 Depth=1
	v_bfrev_b32_e32 v6, 1
	s_mov_b32 s12, exec_lo
	v_cmpx_ne_u16_e32 0x80, v7
	s_cbranch_execz .LBB460_2514
; %bb.2509:                             ;   in Loop: Header=BB460_1375 Depth=1
	v_and_b32_e32 v7, 0xffff, v7
	v_mov_b32_e32 v6, 0x7f800001
	s_mov_b32 s13, exec_lo
	s_delay_alu instid0(VALU_DEP_2) | instskip(NEXT) | instid1(VALU_DEP_1)
	v_and_b32_e32 v58, 0x7f, v7
	v_cmpx_ne_u32_e32 0x7f, v58
	s_cbranch_execz .LBB460_2513
; %bb.2510:                             ;   in Loop: Header=BB460_1375 Depth=1
	v_dual_mov_b32 v7, v10 :: v_dual_and_b32 v6, 7, v7
	v_lshrrev_b32_e32 v57, 3, v58
	s_mov_b32 s15, exec_lo
	v_cmpx_gt_u32_e32 8, v58
; %bb.2511:                             ;   in Loop: Header=BB460_1375 Depth=1
	s_delay_alu instid0(VALU_DEP_3) | instskip(NEXT) | instid1(VALU_DEP_1)
	v_clz_i32_u32_e32 v57, v6
	v_min_u32_e32 v57, 32, v57
	s_delay_alu instid0(VALU_DEP_1) | instskip(SKIP_1) | instid1(VALU_DEP_2)
	v_subrev_nc_u32_e32 v58, 28, v57
	v_sub_nc_u32_e32 v57, 29, v57
	v_lshlrev_b64 v[6:7], v58, v[6:7]
	s_delay_alu instid0(VALU_DEP_1)
	v_and_b32_e32 v6, 7, v6
; %bb.2512:                             ;   in Loop: Header=BB460_1375 Depth=1
	s_or_b32 exec_lo, exec_lo, s15
	v_lshlrev_b32_e32 v7, 16, v9
	s_delay_alu instid0(VALU_DEP_2) | instskip(SKIP_1) | instid1(VALU_DEP_3)
	v_lshlrev_b32_e32 v6, 20, v6
	v_lshl_add_u32 v9, v57, 23, 0x3c000000
	v_and_b32_e32 v7, 0x80000000, v7
	s_delay_alu instid0(VALU_DEP_1)
	v_or3_b32 v6, v6, v7, v9
.LBB460_2513:                           ;   in Loop: Header=BB460_1375 Depth=1
	s_or_b32 exec_lo, exec_lo, s13
.LBB460_2514:                           ;   in Loop: Header=BB460_1375 Depth=1
	s_delay_alu instid0(SALU_CYCLE_1)
	s_or_b32 exec_lo, exec_lo, s12
.LBB460_2515:                           ;   in Loop: Header=BB460_1375 Depth=1
	s_delay_alu instid0(SALU_CYCLE_1) | instskip(NEXT) | instid1(VALU_DEP_1)
	s_or_b32 exec_lo, exec_lo, s9
	v_mul_f32_e32 v6, v26, v6
                                        ; implicit-def: $vgpr57
	s_delay_alu instid0(VALU_DEP_1) | instskip(NEXT) | instid1(VALU_DEP_1)
	v_and_b32_e32 v7, 0x7f800000, v6
	v_cmp_ne_u32_e64 s0, 0x7f800000, v7
	s_delay_alu instid0(VALU_DEP_1) | instskip(NEXT) | instid1(SALU_CYCLE_1)
	s_and_saveexec_b32 s9, s0
	s_xor_b32 s0, exec_lo, s9
; %bb.2516:                             ;   in Loop: Header=BB460_1375 Depth=1
	v_bfe_u32 v7, v6, 16, 1
	s_delay_alu instid0(VALU_DEP_1)
	v_add3_u32 v57, v6, v7, 0x7fff
                                        ; implicit-def: $vgpr6
; %bb.2517:                             ;   in Loop: Header=BB460_1375 Depth=1
	s_and_not1_saveexec_b32 s9, s0
; %bb.2518:                             ;   in Loop: Header=BB460_1375 Depth=1
	v_and_b32_e32 v7, 0xffff, v6
	v_or_b32_e32 v9, 0x10000, v6
	s_delay_alu instid0(VALU_DEP_2) | instskip(NEXT) | instid1(VALU_DEP_1)
	v_cmp_eq_u32_e64 s0, 0, v7
	v_cndmask_b32_e64 v57, v9, v6, s0
; %bb.2519:                             ;   in Loop: Header=BB460_1375 Depth=1
	s_or_b32 exec_lo, exec_lo, s9
	v_lshrrev_b32_e32 v58, 16, v3
	s_mov_b32 s9, exec_lo
	s_delay_alu instid0(VALU_DEP_1) | instskip(NEXT) | instid1(VALU_DEP_1)
	v_dual_mov_b32 v6, 0 :: v_dual_and_b32 v7, 0xff, v58
	v_cmpx_ne_u16_e32 0, v7
	s_cbranch_execz .LBB460_2527
; %bb.2520:                             ;   in Loop: Header=BB460_1375 Depth=1
	v_bfrev_b32_e32 v6, 1
	s_mov_b32 s12, exec_lo
	v_cmpx_ne_u16_e32 0x80, v7
	s_cbranch_execz .LBB460_2526
; %bb.2521:                             ;   in Loop: Header=BB460_1375 Depth=1
	v_bfe_u32 v7, v3, 16, 7
	v_mov_b32_e32 v6, 0x7f800001
	s_mov_b32 s13, exec_lo
	s_delay_alu instid0(VALU_DEP_2)
	v_cmpx_ne_u32_e32 0x7f, v7
	s_cbranch_execz .LBB460_2525
; %bb.2522:                             ;   in Loop: Header=BB460_1375 Depth=1
	v_and_b32_e32 v9, 7, v58
	v_lshrrev_b32_e32 v59, 3, v7
	v_cmp_gt_u32_e64 s0, 8, v7
	s_delay_alu instid0(VALU_DEP_3) | instskip(NEXT) | instid1(VALU_DEP_2)
	v_dual_mov_b32 v6, v9 :: v_dual_mov_b32 v7, v10
	s_and_saveexec_b32 s15, s0
; %bb.2523:                             ;   in Loop: Header=BB460_1375 Depth=1
	v_clz_i32_u32_e32 v6, v9
	s_delay_alu instid0(VALU_DEP_1) | instskip(NEXT) | instid1(VALU_DEP_1)
	v_min_u32_e32 v59, 32, v6
	v_subrev_nc_u32_e32 v6, 28, v59
	v_sub_nc_u32_e32 v59, 29, v59
	s_delay_alu instid0(VALU_DEP_2) | instskip(NEXT) | instid1(VALU_DEP_1)
	v_lshlrev_b64 v[6:7], v6, v[9:10]
	v_and_b32_e32 v6, 7, v6
; %bb.2524:                             ;   in Loop: Header=BB460_1375 Depth=1
	s_or_b32 exec_lo, exec_lo, s15
	v_lshlrev_b32_e32 v7, 24, v58
	s_delay_alu instid0(VALU_DEP_2) | instskip(SKIP_1) | instid1(VALU_DEP_3)
	v_lshlrev_b32_e32 v6, 20, v6
	v_lshl_add_u32 v9, v59, 23, 0x3c000000
	v_and_b32_e32 v7, 0x80000000, v7
	s_delay_alu instid0(VALU_DEP_1)
	v_or3_b32 v6, v6, v7, v9
.LBB460_2525:                           ;   in Loop: Header=BB460_1375 Depth=1
	s_or_b32 exec_lo, exec_lo, s13
.LBB460_2526:                           ;   in Loop: Header=BB460_1375 Depth=1
	s_delay_alu instid0(SALU_CYCLE_1)
	s_or_b32 exec_lo, exec_lo, s12
.LBB460_2527:                           ;   in Loop: Header=BB460_1375 Depth=1
	s_delay_alu instid0(SALU_CYCLE_1) | instskip(NEXT) | instid1(VALU_DEP_1)
	s_or_b32 exec_lo, exec_lo, s9
	v_mul_f32_e32 v6, v26, v6
                                        ; implicit-def: $vgpr58
	s_delay_alu instid0(VALU_DEP_1) | instskip(NEXT) | instid1(VALU_DEP_1)
	v_and_b32_e32 v7, 0x7f800000, v6
	v_cmp_ne_u32_e64 s0, 0x7f800000, v7
	s_delay_alu instid0(VALU_DEP_1) | instskip(NEXT) | instid1(SALU_CYCLE_1)
	s_and_saveexec_b32 s9, s0
	s_xor_b32 s0, exec_lo, s9
; %bb.2528:                             ;   in Loop: Header=BB460_1375 Depth=1
	v_bfe_u32 v7, v6, 16, 1
	s_delay_alu instid0(VALU_DEP_1)
	v_add3_u32 v58, v6, v7, 0x7fff
                                        ; implicit-def: $vgpr6
; %bb.2529:                             ;   in Loop: Header=BB460_1375 Depth=1
	s_and_not1_saveexec_b32 s9, s0
; %bb.2530:                             ;   in Loop: Header=BB460_1375 Depth=1
	v_and_b32_e32 v7, 0xffff, v6
	v_or_b32_e32 v9, 0x10000, v6
	s_delay_alu instid0(VALU_DEP_2) | instskip(NEXT) | instid1(VALU_DEP_1)
	v_cmp_eq_u32_e64 s0, 0, v7
	v_cndmask_b32_e64 v58, v9, v6, s0
; %bb.2531:                             ;   in Loop: Header=BB460_1375 Depth=1
	s_or_b32 exec_lo, exec_lo, s9
	v_cmp_lt_u64_e64 s0, s[2:3], v[2:3]
	v_mov_b32_e32 v2, 0
	s_delay_alu instid0(VALU_DEP_2)
	s_and_saveexec_b32 s9, s0
	s_cbranch_execz .LBB460_2539
; %bb.2532:                             ;   in Loop: Header=BB460_1375 Depth=1
	v_lshrrev_b32_e32 v6, 24, v3
	v_bfrev_b32_e32 v2, 1
	s_mov_b32 s12, exec_lo
	s_delay_alu instid0(VALU_DEP_2)
	v_cmpx_ne_u32_e32 0x80, v6
	s_cbranch_execz .LBB460_2538
; %bb.2533:                             ;   in Loop: Header=BB460_1375 Depth=1
	v_bfe_u32 v3, v3, 24, 7
	v_mov_b32_e32 v2, 0x7f800001
	s_mov_b32 s13, exec_lo
	s_delay_alu instid0(VALU_DEP_2)
	v_cmpx_ne_u32_e32 0x7f, v3
	s_cbranch_execz .LBB460_2537
; %bb.2534:                             ;   in Loop: Header=BB460_1375 Depth=1
	v_and_b32_e32 v9, 7, v6
	v_lshrrev_b32_e32 v7, 3, v3
	v_cmp_gt_u32_e64 s0, 8, v3
	s_delay_alu instid0(VALU_DEP_3) | instskip(NEXT) | instid1(VALU_DEP_2)
	v_dual_mov_b32 v2, v9 :: v_dual_mov_b32 v3, v10
	s_and_saveexec_b32 s15, s0
; %bb.2535:                             ;   in Loop: Header=BB460_1375 Depth=1
	v_clz_i32_u32_e32 v2, v9
	s_delay_alu instid0(VALU_DEP_1) | instskip(NEXT) | instid1(VALU_DEP_1)
	v_min_u32_e32 v7, 32, v2
	v_subrev_nc_u32_e32 v2, 28, v7
	v_sub_nc_u32_e32 v7, 29, v7
	s_delay_alu instid0(VALU_DEP_2) | instskip(NEXT) | instid1(VALU_DEP_1)
	v_lshlrev_b64 v[2:3], v2, v[9:10]
	v_and_b32_e32 v2, 7, v2
; %bb.2536:                             ;   in Loop: Header=BB460_1375 Depth=1
	s_or_b32 exec_lo, exec_lo, s15
	v_lshlrev_b32_e32 v3, 24, v6
	s_delay_alu instid0(VALU_DEP_2) | instskip(SKIP_1) | instid1(VALU_DEP_3)
	v_lshlrev_b32_e32 v2, 20, v2
	v_lshl_add_u32 v6, v7, 23, 0x3c000000
	v_and_b32_e32 v3, 0x80000000, v3
	s_delay_alu instid0(VALU_DEP_1)
	v_or3_b32 v2, v2, v3, v6
.LBB460_2537:                           ;   in Loop: Header=BB460_1375 Depth=1
	s_or_b32 exec_lo, exec_lo, s13
.LBB460_2538:                           ;   in Loop: Header=BB460_1375 Depth=1
	s_delay_alu instid0(SALU_CYCLE_1)
	s_or_b32 exec_lo, exec_lo, s12
.LBB460_2539:                           ;   in Loop: Header=BB460_1375 Depth=1
	s_delay_alu instid0(SALU_CYCLE_1) | instskip(NEXT) | instid1(VALU_DEP_1)
	s_or_b32 exec_lo, exec_lo, s9
	v_mul_f32_e32 v3, v26, v2
	s_delay_alu instid0(VALU_DEP_1) | instskip(NEXT) | instid1(VALU_DEP_1)
	v_and_b32_e32 v2, 0x7f800000, v3
	v_cmp_ne_u32_e64 s0, 0x7f800000, v2
                                        ; implicit-def: $vgpr2
	s_delay_alu instid0(VALU_DEP_1) | instskip(NEXT) | instid1(SALU_CYCLE_1)
	s_and_saveexec_b32 s9, s0
	s_xor_b32 s0, exec_lo, s9
; %bb.2540:                             ;   in Loop: Header=BB460_1375 Depth=1
	v_bfe_u32 v2, v3, 16, 1
	s_delay_alu instid0(VALU_DEP_1)
	v_add3_u32 v2, v3, v2, 0x7fff
                                        ; implicit-def: $vgpr3
; %bb.2541:                             ;   in Loop: Header=BB460_1375 Depth=1
	s_and_not1_saveexec_b32 s9, s0
; %bb.2542:                             ;   in Loop: Header=BB460_1375 Depth=1
	v_and_b32_e32 v2, 0xffff, v3
	v_or_b32_e32 v6, 0x10000, v3
	s_delay_alu instid0(VALU_DEP_2) | instskip(NEXT) | instid1(VALU_DEP_1)
	v_cmp_eq_u32_e64 s0, 0, v2
	v_cndmask_b32_e64 v2, v6, v3, s0
; %bb.2543:                             ;   in Loop: Header=BB460_1375 Depth=1
	s_or_b32 exec_lo, exec_lo, s9
	v_lshrrev_b32_e32 v6, 16, v57
	v_lshrrev_b32_e32 v7, 16, v56
	;; [unrolled: 1-line block ×8, first 2 shown]
	s_and_saveexec_b32 s9, vcc_lo
	s_cbranch_execz .LBB460_2545
; %bb.2544:                             ;   in Loop: Header=BB460_1375 Depth=1
	v_cmp_lt_i32_e64 s0, v66, v36
	s_delay_alu instid0(VALU_DEP_1) | instskip(SKIP_1) | instid1(VALU_DEP_1)
	v_cndmask_b32_e64 v34, 0, v34, s0
	v_cmp_lt_i32_e64 s0, v80, v36
	v_cndmask_b32_e64 v45, 0, v45, s0
	v_cmp_lt_i32_e64 s0, v71, v36
	s_delay_alu instid0(VALU_DEP_1) | instskip(SKIP_1) | instid1(VALU_DEP_1)
	v_cndmask_b32_e64 v46, 0, v46, s0
	v_cmp_lt_i32_e64 s0, v70, v36
	v_cndmask_b32_e64 v9, 0, v9, s0
	;; [unrolled: 5-line block ×4, first 2 shown]
.LBB460_2545:                           ;   in Loop: Header=BB460_1375 Depth=1
	s_or_b32 exec_lo, exec_lo, s9
	v_lshlrev_b32_e32 v34, 16, v34
	s_delay_alu instid0(VALU_DEP_1) | instskip(NEXT) | instid1(VALU_DEP_1)
	v_mul_f32_e32 v47, v81, v34
	v_and_b32_e32 v34, 0x7f800000, v47
	s_delay_alu instid0(VALU_DEP_1) | instskip(NEXT) | instid1(VALU_DEP_1)
	v_cmp_ne_u32_e64 s0, 0x7f800000, v34
                                        ; implicit-def: $vgpr34
	s_and_saveexec_b32 s9, s0
	s_delay_alu instid0(SALU_CYCLE_1)
	s_xor_b32 s0, exec_lo, s9
; %bb.2546:                             ;   in Loop: Header=BB460_1375 Depth=1
	v_bfe_u32 v34, v47, 16, 1
	s_delay_alu instid0(VALU_DEP_1)
	v_add3_u32 v34, v47, v34, 0x7fff
                                        ; implicit-def: $vgpr47
; %bb.2547:                             ;   in Loop: Header=BB460_1375 Depth=1
	s_and_not1_saveexec_b32 s9, s0
; %bb.2548:                             ;   in Loop: Header=BB460_1375 Depth=1
	v_and_b32_e32 v34, 0xffff, v47
	v_or_b32_e32 v56, 0x10000, v47
	s_delay_alu instid0(VALU_DEP_2) | instskip(NEXT) | instid1(VALU_DEP_1)
	v_cmp_eq_u32_e64 s0, 0, v34
	v_cndmask_b32_e64 v34, v56, v47, s0
; %bb.2549:                             ;   in Loop: Header=BB460_1375 Depth=1
	s_or_b32 exec_lo, exec_lo, s9
	v_lshlrev_b32_e32 v45, 16, v45
	s_delay_alu instid0(VALU_DEP_1) | instskip(NEXT) | instid1(VALU_DEP_1)
	v_mul_f32_e32 v47, v82, v45
	v_and_b32_e32 v45, 0x7f800000, v47
	s_delay_alu instid0(VALU_DEP_1) | instskip(NEXT) | instid1(VALU_DEP_1)
	v_cmp_ne_u32_e64 s0, 0x7f800000, v45
                                        ; implicit-def: $vgpr45
	s_and_saveexec_b32 s9, s0
	s_delay_alu instid0(SALU_CYCLE_1)
	s_xor_b32 s0, exec_lo, s9
; %bb.2550:                             ;   in Loop: Header=BB460_1375 Depth=1
	v_bfe_u32 v45, v47, 16, 1
	s_delay_alu instid0(VALU_DEP_1)
	v_add3_u32 v45, v47, v45, 0x7fff
                                        ; implicit-def: $vgpr47
; %bb.2551:                             ;   in Loop: Header=BB460_1375 Depth=1
	s_and_not1_saveexec_b32 s9, s0
; %bb.2552:                             ;   in Loop: Header=BB460_1375 Depth=1
	v_and_b32_e32 v45, 0xffff, v47
	v_or_b32_e32 v56, 0x10000, v47
	s_delay_alu instid0(VALU_DEP_2) | instskip(NEXT) | instid1(VALU_DEP_1)
	v_cmp_eq_u32_e64 s0, 0, v45
	v_cndmask_b32_e64 v45, v56, v47, s0
; %bb.2553:                             ;   in Loop: Header=BB460_1375 Depth=1
	s_or_b32 exec_lo, exec_lo, s9
	v_lshlrev_b32_e32 v46, 16, v46
	s_delay_alu instid0(VALU_DEP_1) | instskip(NEXT) | instid1(VALU_DEP_1)
	v_mul_f32_e32 v47, v83, v46
	v_and_b32_e32 v46, 0x7f800000, v47
	s_delay_alu instid0(VALU_DEP_1) | instskip(NEXT) | instid1(VALU_DEP_1)
	v_cmp_ne_u32_e64 s0, 0x7f800000, v46
                                        ; implicit-def: $vgpr46
	s_and_saveexec_b32 s9, s0
	s_delay_alu instid0(SALU_CYCLE_1)
	s_xor_b32 s0, exec_lo, s9
; %bb.2554:                             ;   in Loop: Header=BB460_1375 Depth=1
	v_bfe_u32 v46, v47, 16, 1
	s_delay_alu instid0(VALU_DEP_1)
	v_add3_u32 v46, v47, v46, 0x7fff
                                        ; implicit-def: $vgpr47
; %bb.2555:                             ;   in Loop: Header=BB460_1375 Depth=1
	s_and_not1_saveexec_b32 s9, s0
; %bb.2556:                             ;   in Loop: Header=BB460_1375 Depth=1
	v_and_b32_e32 v46, 0xffff, v47
	v_or_b32_e32 v56, 0x10000, v47
	s_delay_alu instid0(VALU_DEP_2) | instskip(NEXT) | instid1(VALU_DEP_1)
	v_cmp_eq_u32_e64 s0, 0, v46
	v_cndmask_b32_e64 v46, v56, v47, s0
; %bb.2557:                             ;   in Loop: Header=BB460_1375 Depth=1
	s_or_b32 exec_lo, exec_lo, s9
	v_lshlrev_b32_e32 v9, 16, v9
	s_delay_alu instid0(VALU_DEP_1) | instskip(NEXT) | instid1(VALU_DEP_1)
	v_mul_f32_e32 v9, v84, v9
	v_and_b32_e32 v47, 0x7f800000, v9
	s_delay_alu instid0(VALU_DEP_1) | instskip(NEXT) | instid1(VALU_DEP_1)
	v_cmp_ne_u32_e64 s0, 0x7f800000, v47
                                        ; implicit-def: $vgpr47
	s_and_saveexec_b32 s9, s0
	s_delay_alu instid0(SALU_CYCLE_1)
	s_xor_b32 s0, exec_lo, s9
; %bb.2558:                             ;   in Loop: Header=BB460_1375 Depth=1
	v_bfe_u32 v47, v9, 16, 1
	s_delay_alu instid0(VALU_DEP_1)
	v_add3_u32 v47, v9, v47, 0x7fff
                                        ; implicit-def: $vgpr9
; %bb.2559:                             ;   in Loop: Header=BB460_1375 Depth=1
	s_and_not1_saveexec_b32 s9, s0
; %bb.2560:                             ;   in Loop: Header=BB460_1375 Depth=1
	v_and_b32_e32 v47, 0xffff, v9
	v_or_b32_e32 v56, 0x10000, v9
	s_delay_alu instid0(VALU_DEP_2) | instskip(NEXT) | instid1(VALU_DEP_1)
	v_cmp_eq_u32_e64 s0, 0, v47
	v_cndmask_b32_e64 v47, v56, v9, s0
; %bb.2561:                             ;   in Loop: Header=BB460_1375 Depth=1
	s_or_b32 exec_lo, exec_lo, s9
	v_lshlrev_b32_e32 v7, 16, v7
                                        ; implicit-def: $vgpr56
	s_delay_alu instid0(VALU_DEP_1) | instskip(NEXT) | instid1(VALU_DEP_1)
	v_mul_f32_e32 v7, v85, v7
	v_and_b32_e32 v9, 0x7f800000, v7
	s_delay_alu instid0(VALU_DEP_1) | instskip(NEXT) | instid1(VALU_DEP_1)
	v_cmp_ne_u32_e64 s0, 0x7f800000, v9
	s_and_saveexec_b32 s9, s0
	s_delay_alu instid0(SALU_CYCLE_1)
	s_xor_b32 s0, exec_lo, s9
; %bb.2562:                             ;   in Loop: Header=BB460_1375 Depth=1
	v_bfe_u32 v9, v7, 16, 1
	s_delay_alu instid0(VALU_DEP_1)
	v_add3_u32 v56, v7, v9, 0x7fff
                                        ; implicit-def: $vgpr7
; %bb.2563:                             ;   in Loop: Header=BB460_1375 Depth=1
	s_and_not1_saveexec_b32 s9, s0
; %bb.2564:                             ;   in Loop: Header=BB460_1375 Depth=1
	v_and_b32_e32 v9, 0xffff, v7
	v_or_b32_e32 v56, 0x10000, v7
	s_delay_alu instid0(VALU_DEP_2) | instskip(NEXT) | instid1(VALU_DEP_1)
	v_cmp_eq_u32_e64 s0, 0, v9
	v_cndmask_b32_e64 v56, v56, v7, s0
; %bb.2565:                             ;   in Loop: Header=BB460_1375 Depth=1
	s_or_b32 exec_lo, exec_lo, s9
	v_lshlrev_b32_e32 v6, 16, v6
                                        ; implicit-def: $vgpr57
	s_delay_alu instid0(VALU_DEP_1) | instskip(NEXT) | instid1(VALU_DEP_1)
	v_mul_f32_e32 v6, v86, v6
	v_and_b32_e32 v7, 0x7f800000, v6
	s_delay_alu instid0(VALU_DEP_1) | instskip(NEXT) | instid1(VALU_DEP_1)
	v_cmp_ne_u32_e64 s0, 0x7f800000, v7
	s_and_saveexec_b32 s9, s0
	s_delay_alu instid0(SALU_CYCLE_1)
	s_xor_b32 s0, exec_lo, s9
; %bb.2566:                             ;   in Loop: Header=BB460_1375 Depth=1
	v_bfe_u32 v7, v6, 16, 1
	s_delay_alu instid0(VALU_DEP_1)
	v_add3_u32 v57, v6, v7, 0x7fff
                                        ; implicit-def: $vgpr6
; %bb.2567:                             ;   in Loop: Header=BB460_1375 Depth=1
	s_and_not1_saveexec_b32 s9, s0
; %bb.2568:                             ;   in Loop: Header=BB460_1375 Depth=1
	v_and_b32_e32 v7, 0xffff, v6
	v_or_b32_e32 v9, 0x10000, v6
	s_delay_alu instid0(VALU_DEP_2) | instskip(NEXT) | instid1(VALU_DEP_1)
	v_cmp_eq_u32_e64 s0, 0, v7
	v_cndmask_b32_e64 v57, v9, v6, s0
; %bb.2569:                             ;   in Loop: Header=BB460_1375 Depth=1
	s_or_b32 exec_lo, exec_lo, s9
	v_lshlrev_b32_e32 v3, 16, v3
                                        ; implicit-def: $vgpr58
	s_delay_alu instid0(VALU_DEP_1) | instskip(NEXT) | instid1(VALU_DEP_1)
	v_mul_f32_e32 v3, v87, v3
	v_and_b32_e32 v6, 0x7f800000, v3
	s_delay_alu instid0(VALU_DEP_1) | instskip(NEXT) | instid1(VALU_DEP_1)
	v_cmp_ne_u32_e64 s0, 0x7f800000, v6
	s_and_saveexec_b32 s9, s0
	s_delay_alu instid0(SALU_CYCLE_1)
	s_xor_b32 s0, exec_lo, s9
; %bb.2570:                             ;   in Loop: Header=BB460_1375 Depth=1
	v_bfe_u32 v6, v3, 16, 1
	s_delay_alu instid0(VALU_DEP_1)
	v_add3_u32 v58, v3, v6, 0x7fff
                                        ; implicit-def: $vgpr3
; %bb.2571:                             ;   in Loop: Header=BB460_1375 Depth=1
	s_and_not1_saveexec_b32 s9, s0
; %bb.2572:                             ;   in Loop: Header=BB460_1375 Depth=1
	v_and_b32_e32 v6, 0xffff, v3
	v_or_b32_e32 v7, 0x10000, v3
	s_delay_alu instid0(VALU_DEP_2) | instskip(NEXT) | instid1(VALU_DEP_1)
	v_cmp_eq_u32_e64 s0, 0, v6
	v_cndmask_b32_e64 v58, v7, v3, s0
; %bb.2573:                             ;   in Loop: Header=BB460_1375 Depth=1
	s_or_b32 exec_lo, exec_lo, s9
	v_lshlrev_b32_e32 v2, 16, v2
                                        ; implicit-def: $vgpr59
	s_delay_alu instid0(VALU_DEP_1) | instskip(NEXT) | instid1(VALU_DEP_1)
	v_mul_f32_e32 v2, v96, v2
	v_and_b32_e32 v3, 0x7f800000, v2
	s_delay_alu instid0(VALU_DEP_1) | instskip(NEXT) | instid1(VALU_DEP_1)
	v_cmp_ne_u32_e64 s0, 0x7f800000, v3
	s_and_saveexec_b32 s9, s0
	s_delay_alu instid0(SALU_CYCLE_1)
	s_xor_b32 s0, exec_lo, s9
; %bb.2574:                             ;   in Loop: Header=BB460_1375 Depth=1
	v_bfe_u32 v3, v2, 16, 1
	s_delay_alu instid0(VALU_DEP_1)
	v_add3_u32 v59, v2, v3, 0x7fff
                                        ; implicit-def: $vgpr2
; %bb.2575:                             ;   in Loop: Header=BB460_1375 Depth=1
	s_and_not1_saveexec_b32 s9, s0
; %bb.2576:                             ;   in Loop: Header=BB460_1375 Depth=1
	v_and_b32_e32 v3, 0xffff, v2
	v_or_b32_e32 v6, 0x10000, v2
	s_delay_alu instid0(VALU_DEP_2) | instskip(NEXT) | instid1(VALU_DEP_1)
	v_cmp_eq_u32_e64 s0, 0, v3
	v_cndmask_b32_e64 v59, v6, v2, s0
; %bb.2577:                             ;   in Loop: Header=BB460_1375 Depth=1
	s_or_b32 exec_lo, exec_lo, s9
	flat_load_b64 v[2:3], v[0:1] offset:2304
	s_mov_b32 s9, exec_lo
	s_waitcnt vmcnt(0) lgkmcnt(0)
	v_dual_mov_b32 v6, 0 :: v_dual_and_b32 v7, 0xff, v2
	s_delay_alu instid0(VALU_DEP_1)
	v_cmpx_ne_u16_e32 0, v7
	s_cbranch_execz .LBB460_2585
; %bb.2578:                             ;   in Loop: Header=BB460_1375 Depth=1
	v_bfrev_b32_e32 v6, 1
	s_mov_b32 s12, exec_lo
	v_cmpx_ne_u16_e32 0x80, v7
	s_cbranch_execz .LBB460_2584
; %bb.2579:                             ;   in Loop: Header=BB460_1375 Depth=1
	v_and_b32_e32 v7, 0x7f, v2
	v_mov_b32_e32 v6, 0x7f800001
	s_mov_b32 s13, exec_lo
	s_delay_alu instid0(VALU_DEP_2)
	v_cmpx_ne_u32_e32 0x7f, v7
	s_cbranch_execz .LBB460_2583
; %bb.2580:                             ;   in Loop: Header=BB460_1375 Depth=1
	v_lshrrev_b32_e32 v9, 3, v7
	v_cmp_gt_u32_e64 s0, 8, v7
	v_dual_mov_b32 v7, v3 :: v_dual_mov_b32 v6, v2
	s_delay_alu instid0(VALU_DEP_2)
	s_and_saveexec_b32 s15, s0
; %bb.2581:                             ;   in Loop: Header=BB460_1375 Depth=1
	v_and_b32_e32 v6, 7, v2
	s_delay_alu instid0(VALU_DEP_1) | instskip(NEXT) | instid1(VALU_DEP_1)
	v_clz_i32_u32_e32 v6, v6
	v_min_u32_e32 v9, 32, v6
	s_delay_alu instid0(VALU_DEP_1) | instskip(SKIP_1) | instid1(VALU_DEP_2)
	v_subrev_nc_u32_e32 v6, 28, v9
	v_sub_nc_u32_e32 v9, 29, v9
	v_lshlrev_b64 v[6:7], v6, v[2:3]
; %bb.2582:                             ;   in Loop: Header=BB460_1375 Depth=1
	s_or_b32 exec_lo, exec_lo, s15
	s_delay_alu instid0(VALU_DEP_1) | instskip(SKIP_2) | instid1(VALU_DEP_3)
	v_lshlrev_b32_e32 v6, 20, v6
	v_lshlrev_b32_e32 v7, 24, v2
	v_lshl_add_u32 v9, v9, 23, 0x3c000000
	v_and_b32_e32 v6, 0x700000, v6
	s_delay_alu instid0(VALU_DEP_3) | instskip(NEXT) | instid1(VALU_DEP_1)
	v_and_b32_e32 v7, 0x80000000, v7
	v_or3_b32 v6, v6, v7, v9
.LBB460_2583:                           ;   in Loop: Header=BB460_1375 Depth=1
	s_or_b32 exec_lo, exec_lo, s13
.LBB460_2584:                           ;   in Loop: Header=BB460_1375 Depth=1
	s_delay_alu instid0(SALU_CYCLE_1)
	s_or_b32 exec_lo, exec_lo, s12
.LBB460_2585:                           ;   in Loop: Header=BB460_1375 Depth=1
	s_delay_alu instid0(SALU_CYCLE_1) | instskip(NEXT) | instid1(VALU_DEP_1)
	s_or_b32 exec_lo, exec_lo, s9
	v_mul_f32_e32 v6, v26, v6
                                        ; implicit-def: $vgpr60
	s_delay_alu instid0(VALU_DEP_1) | instskip(NEXT) | instid1(VALU_DEP_1)
	v_and_b32_e32 v7, 0x7f800000, v6
	v_cmp_ne_u32_e64 s0, 0x7f800000, v7
	s_delay_alu instid0(VALU_DEP_1) | instskip(NEXT) | instid1(SALU_CYCLE_1)
	s_and_saveexec_b32 s9, s0
	s_xor_b32 s0, exec_lo, s9
; %bb.2586:                             ;   in Loop: Header=BB460_1375 Depth=1
	v_bfe_u32 v7, v6, 16, 1
	s_delay_alu instid0(VALU_DEP_1)
	v_add3_u32 v60, v6, v7, 0x7fff
                                        ; implicit-def: $vgpr6
; %bb.2587:                             ;   in Loop: Header=BB460_1375 Depth=1
	s_and_not1_saveexec_b32 s9, s0
; %bb.2588:                             ;   in Loop: Header=BB460_1375 Depth=1
	v_and_b32_e32 v7, 0xffff, v6
	v_or_b32_e32 v9, 0x10000, v6
	s_delay_alu instid0(VALU_DEP_2) | instskip(NEXT) | instid1(VALU_DEP_1)
	v_cmp_eq_u32_e64 s0, 0, v7
	v_cndmask_b32_e64 v60, v9, v6, s0
; %bb.2589:                             ;   in Loop: Header=BB460_1375 Depth=1
	s_or_b32 exec_lo, exec_lo, s9
	v_lshrrev_b16 v7, 8, v2
	v_mov_b32_e32 v6, 0
	s_mov_b32 s9, exec_lo
	s_delay_alu instid0(VALU_DEP_2)
	v_cmpx_ne_u16_e32 0, v7
	s_cbranch_execz .LBB460_2597
; %bb.2590:                             ;   in Loop: Header=BB460_1375 Depth=1
	v_bfrev_b32_e32 v6, 1
	s_mov_b32 s12, exec_lo
	v_cmpx_ne_u16_e32 0x80, v7
	s_cbranch_execz .LBB460_2596
; %bb.2591:                             ;   in Loop: Header=BB460_1375 Depth=1
	v_and_b32_e32 v9, 0xffff, v7
	v_mov_b32_e32 v6, 0x7f800001
	s_mov_b32 s13, exec_lo
	s_delay_alu instid0(VALU_DEP_2) | instskip(NEXT) | instid1(VALU_DEP_1)
	v_and_b32_e32 v7, 0x7f, v9
	v_cmpx_ne_u32_e32 0x7f, v7
	s_cbranch_execz .LBB460_2595
; %bb.2592:                             ;   in Loop: Header=BB460_1375 Depth=1
	v_and_b32_e32 v9, 7, v9
	v_lshrrev_b32_e32 v61, 3, v7
	v_cmp_gt_u32_e64 s0, 8, v7
	s_delay_alu instid0(VALU_DEP_3) | instskip(NEXT) | instid1(VALU_DEP_2)
	v_dual_mov_b32 v6, v9 :: v_dual_mov_b32 v7, v10
	s_and_saveexec_b32 s15, s0
; %bb.2593:                             ;   in Loop: Header=BB460_1375 Depth=1
	v_clz_i32_u32_e32 v6, v9
	s_delay_alu instid0(VALU_DEP_1) | instskip(NEXT) | instid1(VALU_DEP_1)
	v_min_u32_e32 v61, 32, v6
	v_subrev_nc_u32_e32 v6, 28, v61
	v_sub_nc_u32_e32 v61, 29, v61
	s_delay_alu instid0(VALU_DEP_2) | instskip(NEXT) | instid1(VALU_DEP_1)
	v_lshlrev_b64 v[6:7], v6, v[9:10]
	v_and_b32_e32 v6, 7, v6
; %bb.2594:                             ;   in Loop: Header=BB460_1375 Depth=1
	s_or_b32 exec_lo, exec_lo, s15
	v_lshlrev_b32_e32 v7, 16, v2
	s_delay_alu instid0(VALU_DEP_2) | instskip(SKIP_1) | instid1(VALU_DEP_3)
	v_lshlrev_b32_e32 v6, 20, v6
	v_lshl_add_u32 v9, v61, 23, 0x3c000000
	v_and_b32_e32 v7, 0x80000000, v7
	s_delay_alu instid0(VALU_DEP_1)
	v_or3_b32 v6, v6, v7, v9
.LBB460_2595:                           ;   in Loop: Header=BB460_1375 Depth=1
	s_or_b32 exec_lo, exec_lo, s13
.LBB460_2596:                           ;   in Loop: Header=BB460_1375 Depth=1
	s_delay_alu instid0(SALU_CYCLE_1)
	s_or_b32 exec_lo, exec_lo, s12
.LBB460_2597:                           ;   in Loop: Header=BB460_1375 Depth=1
	s_delay_alu instid0(SALU_CYCLE_1) | instskip(NEXT) | instid1(VALU_DEP_1)
	s_or_b32 exec_lo, exec_lo, s9
	v_mul_f32_e32 v6, v26, v6
                                        ; implicit-def: $vgpr61
	s_delay_alu instid0(VALU_DEP_1) | instskip(NEXT) | instid1(VALU_DEP_1)
	v_and_b32_e32 v7, 0x7f800000, v6
	v_cmp_ne_u32_e64 s0, 0x7f800000, v7
	s_delay_alu instid0(VALU_DEP_1) | instskip(NEXT) | instid1(SALU_CYCLE_1)
	s_and_saveexec_b32 s9, s0
	s_xor_b32 s0, exec_lo, s9
; %bb.2598:                             ;   in Loop: Header=BB460_1375 Depth=1
	v_bfe_u32 v7, v6, 16, 1
	s_delay_alu instid0(VALU_DEP_1)
	v_add3_u32 v61, v6, v7, 0x7fff
                                        ; implicit-def: $vgpr6
; %bb.2599:                             ;   in Loop: Header=BB460_1375 Depth=1
	s_and_not1_saveexec_b32 s9, s0
; %bb.2600:                             ;   in Loop: Header=BB460_1375 Depth=1
	v_and_b32_e32 v7, 0xffff, v6
	v_or_b32_e32 v9, 0x10000, v6
	s_delay_alu instid0(VALU_DEP_2) | instskip(NEXT) | instid1(VALU_DEP_1)
	v_cmp_eq_u32_e64 s0, 0, v7
	v_cndmask_b32_e64 v61, v9, v6, s0
; %bb.2601:                             ;   in Loop: Header=BB460_1375 Depth=1
	s_or_b32 exec_lo, exec_lo, s9
	v_lshrrev_b32_e32 v62, 16, v2
	s_mov_b32 s9, exec_lo
	s_delay_alu instid0(VALU_DEP_1) | instskip(NEXT) | instid1(VALU_DEP_1)
	v_dual_mov_b32 v6, 0 :: v_dual_and_b32 v7, 0xff, v62
	v_cmpx_ne_u16_e32 0, v7
	s_cbranch_execz .LBB460_2609
; %bb.2602:                             ;   in Loop: Header=BB460_1375 Depth=1
	v_bfrev_b32_e32 v6, 1
	s_mov_b32 s12, exec_lo
	v_cmpx_ne_u16_e32 0x80, v7
	s_cbranch_execz .LBB460_2608
; %bb.2603:                             ;   in Loop: Header=BB460_1375 Depth=1
	v_bfe_u32 v7, v2, 16, 7
	v_mov_b32_e32 v6, 0x7f800001
	s_mov_b32 s13, exec_lo
	s_delay_alu instid0(VALU_DEP_2)
	v_cmpx_ne_u32_e32 0x7f, v7
	s_cbranch_execz .LBB460_2607
; %bb.2604:                             ;   in Loop: Header=BB460_1375 Depth=1
	v_and_b32_e32 v9, 7, v62
	v_lshrrev_b32_e32 v63, 3, v7
	v_cmp_gt_u32_e64 s0, 8, v7
	s_delay_alu instid0(VALU_DEP_3) | instskip(NEXT) | instid1(VALU_DEP_2)
	v_dual_mov_b32 v6, v9 :: v_dual_mov_b32 v7, v10
	s_and_saveexec_b32 s15, s0
; %bb.2605:                             ;   in Loop: Header=BB460_1375 Depth=1
	v_clz_i32_u32_e32 v6, v9
	s_delay_alu instid0(VALU_DEP_1) | instskip(NEXT) | instid1(VALU_DEP_1)
	v_min_u32_e32 v63, 32, v6
	v_subrev_nc_u32_e32 v6, 28, v63
	v_sub_nc_u32_e32 v63, 29, v63
	s_delay_alu instid0(VALU_DEP_2) | instskip(NEXT) | instid1(VALU_DEP_1)
	v_lshlrev_b64 v[6:7], v6, v[9:10]
	v_and_b32_e32 v6, 7, v6
; %bb.2606:                             ;   in Loop: Header=BB460_1375 Depth=1
	s_or_b32 exec_lo, exec_lo, s15
	v_lshlrev_b32_e32 v7, 24, v62
	s_delay_alu instid0(VALU_DEP_2) | instskip(SKIP_1) | instid1(VALU_DEP_3)
	v_lshlrev_b32_e32 v6, 20, v6
	v_lshl_add_u32 v9, v63, 23, 0x3c000000
	v_and_b32_e32 v7, 0x80000000, v7
	s_delay_alu instid0(VALU_DEP_1)
	v_or3_b32 v6, v6, v7, v9
.LBB460_2607:                           ;   in Loop: Header=BB460_1375 Depth=1
	s_or_b32 exec_lo, exec_lo, s13
.LBB460_2608:                           ;   in Loop: Header=BB460_1375 Depth=1
	s_delay_alu instid0(SALU_CYCLE_1)
	s_or_b32 exec_lo, exec_lo, s12
.LBB460_2609:                           ;   in Loop: Header=BB460_1375 Depth=1
	s_delay_alu instid0(SALU_CYCLE_1) | instskip(NEXT) | instid1(VALU_DEP_1)
	s_or_b32 exec_lo, exec_lo, s9
	v_mul_f32_e32 v6, v26, v6
                                        ; implicit-def: $vgpr62
	s_delay_alu instid0(VALU_DEP_1) | instskip(NEXT) | instid1(VALU_DEP_1)
	v_and_b32_e32 v7, 0x7f800000, v6
	v_cmp_ne_u32_e64 s0, 0x7f800000, v7
	s_delay_alu instid0(VALU_DEP_1) | instskip(NEXT) | instid1(SALU_CYCLE_1)
	s_and_saveexec_b32 s9, s0
	s_xor_b32 s0, exec_lo, s9
; %bb.2610:                             ;   in Loop: Header=BB460_1375 Depth=1
	v_bfe_u32 v7, v6, 16, 1
	s_delay_alu instid0(VALU_DEP_1)
	v_add3_u32 v62, v6, v7, 0x7fff
                                        ; implicit-def: $vgpr6
; %bb.2611:                             ;   in Loop: Header=BB460_1375 Depth=1
	s_and_not1_saveexec_b32 s9, s0
; %bb.2612:                             ;   in Loop: Header=BB460_1375 Depth=1
	v_and_b32_e32 v7, 0xffff, v6
	v_or_b32_e32 v9, 0x10000, v6
	s_delay_alu instid0(VALU_DEP_2) | instskip(NEXT) | instid1(VALU_DEP_1)
	v_cmp_eq_u32_e64 s0, 0, v7
	v_cndmask_b32_e64 v62, v9, v6, s0
; %bb.2613:                             ;   in Loop: Header=BB460_1375 Depth=1
	s_or_b32 exec_lo, exec_lo, s9
	v_mov_b32_e32 v6, 0
	s_mov_b32 s9, exec_lo
	v_cmpx_lt_u32_e32 0xffffff, v2
	s_cbranch_execz .LBB460_2621
; %bb.2614:                             ;   in Loop: Header=BB460_1375 Depth=1
	v_lshrrev_b32_e32 v63, 24, v2
	v_bfrev_b32_e32 v6, 1
	s_mov_b32 s12, exec_lo
	s_delay_alu instid0(VALU_DEP_2)
	v_cmpx_ne_u32_e32 0x80, v63
	s_cbranch_execz .LBB460_2620
; %bb.2615:                             ;   in Loop: Header=BB460_1375 Depth=1
	v_bfe_u32 v7, v2, 24, 7
	v_mov_b32_e32 v6, 0x7f800001
	s_mov_b32 s13, exec_lo
	s_delay_alu instid0(VALU_DEP_2)
	v_cmpx_ne_u32_e32 0x7f, v7
	s_cbranch_execz .LBB460_2619
; %bb.2616:                             ;   in Loop: Header=BB460_1375 Depth=1
	v_and_b32_e32 v9, 7, v63
	v_lshrrev_b32_e32 v72, 3, v7
	v_cmp_gt_u32_e64 s0, 8, v7
	s_delay_alu instid0(VALU_DEP_3) | instskip(NEXT) | instid1(VALU_DEP_2)
	v_dual_mov_b32 v6, v9 :: v_dual_mov_b32 v7, v10
	s_and_saveexec_b32 s15, s0
; %bb.2617:                             ;   in Loop: Header=BB460_1375 Depth=1
	v_clz_i32_u32_e32 v6, v9
	s_delay_alu instid0(VALU_DEP_1) | instskip(NEXT) | instid1(VALU_DEP_1)
	v_min_u32_e32 v72, 32, v6
	v_subrev_nc_u32_e32 v6, 28, v72
	v_sub_nc_u32_e32 v72, 29, v72
	s_delay_alu instid0(VALU_DEP_2) | instskip(NEXT) | instid1(VALU_DEP_1)
	v_lshlrev_b64 v[6:7], v6, v[9:10]
	v_and_b32_e32 v6, 7, v6
; %bb.2618:                             ;   in Loop: Header=BB460_1375 Depth=1
	s_or_b32 exec_lo, exec_lo, s15
	v_lshlrev_b32_e32 v7, 24, v63
	s_delay_alu instid0(VALU_DEP_2) | instskip(SKIP_1) | instid1(VALU_DEP_3)
	v_lshlrev_b32_e32 v6, 20, v6
	v_lshl_add_u32 v9, v72, 23, 0x3c000000
	v_and_b32_e32 v7, 0x80000000, v7
	s_delay_alu instid0(VALU_DEP_1)
	v_or3_b32 v6, v6, v7, v9
.LBB460_2619:                           ;   in Loop: Header=BB460_1375 Depth=1
	s_or_b32 exec_lo, exec_lo, s13
.LBB460_2620:                           ;   in Loop: Header=BB460_1375 Depth=1
	s_delay_alu instid0(SALU_CYCLE_1)
	s_or_b32 exec_lo, exec_lo, s12
.LBB460_2621:                           ;   in Loop: Header=BB460_1375 Depth=1
	s_delay_alu instid0(SALU_CYCLE_1) | instskip(NEXT) | instid1(VALU_DEP_1)
	s_or_b32 exec_lo, exec_lo, s9
	v_mul_f32_e32 v6, v26, v6
                                        ; implicit-def: $vgpr63
	s_delay_alu instid0(VALU_DEP_1) | instskip(NEXT) | instid1(VALU_DEP_1)
	v_and_b32_e32 v7, 0x7f800000, v6
	v_cmp_ne_u32_e64 s0, 0x7f800000, v7
	s_delay_alu instid0(VALU_DEP_1) | instskip(NEXT) | instid1(SALU_CYCLE_1)
	s_and_saveexec_b32 s9, s0
	s_xor_b32 s0, exec_lo, s9
; %bb.2622:                             ;   in Loop: Header=BB460_1375 Depth=1
	v_bfe_u32 v7, v6, 16, 1
	s_delay_alu instid0(VALU_DEP_1)
	v_add3_u32 v63, v6, v7, 0x7fff
                                        ; implicit-def: $vgpr6
; %bb.2623:                             ;   in Loop: Header=BB460_1375 Depth=1
	s_and_not1_saveexec_b32 s9, s0
; %bb.2624:                             ;   in Loop: Header=BB460_1375 Depth=1
	v_and_b32_e32 v7, 0xffff, v6
	v_or_b32_e32 v9, 0x10000, v6
	s_delay_alu instid0(VALU_DEP_2) | instskip(NEXT) | instid1(VALU_DEP_1)
	v_cmp_eq_u32_e64 s0, 0, v7
	v_cndmask_b32_e64 v63, v9, v6, s0
; %bb.2625:                             ;   in Loop: Header=BB460_1375 Depth=1
	s_or_b32 exec_lo, exec_lo, s9
	v_dual_mov_b32 v6, 0 :: v_dual_and_b32 v7, 0xff, v3
	v_mov_b32_e32 v9, v3
	s_mov_b32 s9, exec_lo
	s_delay_alu instid0(VALU_DEP_2)
	v_cmpx_ne_u16_e32 0, v7
	s_cbranch_execz .LBB460_2633
; %bb.2626:                             ;   in Loop: Header=BB460_1375 Depth=1
	v_bfrev_b32_e32 v6, 1
	s_mov_b32 s12, exec_lo
	v_cmpx_ne_u16_e32 0x80, v7
	s_cbranch_execz .LBB460_2632
; %bb.2627:                             ;   in Loop: Header=BB460_1375 Depth=1
	v_and_b32_e32 v7, 0x7f, v3
	v_mov_b32_e32 v6, 0x7f800001
	s_mov_b32 s13, exec_lo
	s_delay_alu instid0(VALU_DEP_2)
	v_cmpx_ne_u32_e32 0x7f, v7
	s_cbranch_execz .LBB460_2631
; %bb.2628:                             ;   in Loop: Header=BB460_1375 Depth=1
	v_lshrrev_b32_e32 v72, 3, v7
	v_cmp_gt_u32_e64 s0, 8, v7
	v_dual_mov_b32 v6, v9 :: v_dual_mov_b32 v7, v10
	s_delay_alu instid0(VALU_DEP_2)
	s_and_saveexec_b32 s15, s0
; %bb.2629:                             ;   in Loop: Header=BB460_1375 Depth=1
	v_and_b32_e32 v6, 7, v3
	s_delay_alu instid0(VALU_DEP_1) | instskip(NEXT) | instid1(VALU_DEP_1)
	v_clz_i32_u32_e32 v6, v6
	v_min_u32_e32 v72, 32, v6
	s_delay_alu instid0(VALU_DEP_1) | instskip(SKIP_1) | instid1(VALU_DEP_2)
	v_subrev_nc_u32_e32 v6, 28, v72
	v_sub_nc_u32_e32 v72, 29, v72
	v_lshlrev_b64 v[6:7], v6, v[9:10]
; %bb.2630:                             ;   in Loop: Header=BB460_1375 Depth=1
	s_or_b32 exec_lo, exec_lo, s15
	s_delay_alu instid0(VALU_DEP_1) | instskip(SKIP_2) | instid1(VALU_DEP_3)
	v_lshlrev_b32_e32 v6, 20, v6
	v_lshlrev_b32_e32 v7, 24, v9
	v_lshl_add_u32 v72, v72, 23, 0x3c000000
	v_and_b32_e32 v6, 0x700000, v6
	s_delay_alu instid0(VALU_DEP_3) | instskip(NEXT) | instid1(VALU_DEP_1)
	v_and_b32_e32 v7, 0x80000000, v7
	v_or3_b32 v6, v6, v7, v72
.LBB460_2631:                           ;   in Loop: Header=BB460_1375 Depth=1
	s_or_b32 exec_lo, exec_lo, s13
.LBB460_2632:                           ;   in Loop: Header=BB460_1375 Depth=1
	s_delay_alu instid0(SALU_CYCLE_1)
	s_or_b32 exec_lo, exec_lo, s12
.LBB460_2633:                           ;   in Loop: Header=BB460_1375 Depth=1
	s_delay_alu instid0(SALU_CYCLE_1) | instskip(NEXT) | instid1(VALU_DEP_1)
	s_or_b32 exec_lo, exec_lo, s9
	v_mul_f32_e32 v6, v26, v6
                                        ; implicit-def: $vgpr72
	s_delay_alu instid0(VALU_DEP_1) | instskip(NEXT) | instid1(VALU_DEP_1)
	v_and_b32_e32 v7, 0x7f800000, v6
	v_cmp_ne_u32_e64 s0, 0x7f800000, v7
	s_delay_alu instid0(VALU_DEP_1) | instskip(NEXT) | instid1(SALU_CYCLE_1)
	s_and_saveexec_b32 s9, s0
	s_xor_b32 s0, exec_lo, s9
; %bb.2634:                             ;   in Loop: Header=BB460_1375 Depth=1
	v_bfe_u32 v7, v6, 16, 1
	s_delay_alu instid0(VALU_DEP_1)
	v_add3_u32 v72, v6, v7, 0x7fff
                                        ; implicit-def: $vgpr6
; %bb.2635:                             ;   in Loop: Header=BB460_1375 Depth=1
	s_and_not1_saveexec_b32 s9, s0
; %bb.2636:                             ;   in Loop: Header=BB460_1375 Depth=1
	v_and_b32_e32 v7, 0xffff, v6
	v_or_b32_e32 v72, 0x10000, v6
	s_delay_alu instid0(VALU_DEP_2) | instskip(NEXT) | instid1(VALU_DEP_1)
	v_cmp_eq_u32_e64 s0, 0, v7
	v_cndmask_b32_e64 v72, v72, v6, s0
; %bb.2637:                             ;   in Loop: Header=BB460_1375 Depth=1
	s_or_b32 exec_lo, exec_lo, s9
	v_lshrrev_b16 v7, 8, v9
	v_mov_b32_e32 v6, 0
	s_mov_b32 s9, exec_lo
	s_delay_alu instid0(VALU_DEP_2)
	v_cmpx_ne_u16_e32 0, v7
	s_cbranch_execz .LBB460_2645
; %bb.2638:                             ;   in Loop: Header=BB460_1375 Depth=1
	v_bfrev_b32_e32 v6, 1
	s_mov_b32 s12, exec_lo
	v_cmpx_ne_u16_e32 0x80, v7
	s_cbranch_execz .LBB460_2644
; %bb.2639:                             ;   in Loop: Header=BB460_1375 Depth=1
	v_and_b32_e32 v7, 0xffff, v7
	v_mov_b32_e32 v6, 0x7f800001
	s_mov_b32 s13, exec_lo
	s_delay_alu instid0(VALU_DEP_2) | instskip(NEXT) | instid1(VALU_DEP_1)
	v_and_b32_e32 v74, 0x7f, v7
	v_cmpx_ne_u32_e32 0x7f, v74
	s_cbranch_execz .LBB460_2643
; %bb.2640:                             ;   in Loop: Header=BB460_1375 Depth=1
	v_dual_mov_b32 v7, v10 :: v_dual_and_b32 v6, 7, v7
	v_lshrrev_b32_e32 v73, 3, v74
	s_mov_b32 s15, exec_lo
	v_cmpx_gt_u32_e32 8, v74
; %bb.2641:                             ;   in Loop: Header=BB460_1375 Depth=1
	s_delay_alu instid0(VALU_DEP_3) | instskip(NEXT) | instid1(VALU_DEP_1)
	v_clz_i32_u32_e32 v73, v6
	v_min_u32_e32 v73, 32, v73
	s_delay_alu instid0(VALU_DEP_1) | instskip(SKIP_1) | instid1(VALU_DEP_2)
	v_subrev_nc_u32_e32 v74, 28, v73
	v_sub_nc_u32_e32 v73, 29, v73
	v_lshlrev_b64 v[6:7], v74, v[6:7]
	s_delay_alu instid0(VALU_DEP_1)
	v_and_b32_e32 v6, 7, v6
; %bb.2642:                             ;   in Loop: Header=BB460_1375 Depth=1
	s_or_b32 exec_lo, exec_lo, s15
	v_lshlrev_b32_e32 v7, 16, v9
	s_delay_alu instid0(VALU_DEP_2) | instskip(SKIP_1) | instid1(VALU_DEP_3)
	v_lshlrev_b32_e32 v6, 20, v6
	v_lshl_add_u32 v9, v73, 23, 0x3c000000
	v_and_b32_e32 v7, 0x80000000, v7
	s_delay_alu instid0(VALU_DEP_1)
	v_or3_b32 v6, v6, v7, v9
.LBB460_2643:                           ;   in Loop: Header=BB460_1375 Depth=1
	s_or_b32 exec_lo, exec_lo, s13
.LBB460_2644:                           ;   in Loop: Header=BB460_1375 Depth=1
	s_delay_alu instid0(SALU_CYCLE_1)
	s_or_b32 exec_lo, exec_lo, s12
.LBB460_2645:                           ;   in Loop: Header=BB460_1375 Depth=1
	s_delay_alu instid0(SALU_CYCLE_1) | instskip(NEXT) | instid1(VALU_DEP_1)
	s_or_b32 exec_lo, exec_lo, s9
	v_mul_f32_e32 v6, v26, v6
                                        ; implicit-def: $vgpr73
	s_delay_alu instid0(VALU_DEP_1) | instskip(NEXT) | instid1(VALU_DEP_1)
	v_and_b32_e32 v7, 0x7f800000, v6
	v_cmp_ne_u32_e64 s0, 0x7f800000, v7
	s_delay_alu instid0(VALU_DEP_1) | instskip(NEXT) | instid1(SALU_CYCLE_1)
	s_and_saveexec_b32 s9, s0
	s_xor_b32 s0, exec_lo, s9
; %bb.2646:                             ;   in Loop: Header=BB460_1375 Depth=1
	v_bfe_u32 v7, v6, 16, 1
	s_delay_alu instid0(VALU_DEP_1)
	v_add3_u32 v73, v6, v7, 0x7fff
                                        ; implicit-def: $vgpr6
; %bb.2647:                             ;   in Loop: Header=BB460_1375 Depth=1
	s_and_not1_saveexec_b32 s9, s0
; %bb.2648:                             ;   in Loop: Header=BB460_1375 Depth=1
	v_and_b32_e32 v7, 0xffff, v6
	v_or_b32_e32 v9, 0x10000, v6
	s_delay_alu instid0(VALU_DEP_2) | instskip(NEXT) | instid1(VALU_DEP_1)
	v_cmp_eq_u32_e64 s0, 0, v7
	v_cndmask_b32_e64 v73, v9, v6, s0
; %bb.2649:                             ;   in Loop: Header=BB460_1375 Depth=1
	s_or_b32 exec_lo, exec_lo, s9
	v_lshrrev_b32_e32 v74, 16, v3
	s_mov_b32 s9, exec_lo
	s_delay_alu instid0(VALU_DEP_1) | instskip(NEXT) | instid1(VALU_DEP_1)
	v_dual_mov_b32 v6, 0 :: v_dual_and_b32 v7, 0xff, v74
	v_cmpx_ne_u16_e32 0, v7
	s_cbranch_execz .LBB460_2657
; %bb.2650:                             ;   in Loop: Header=BB460_1375 Depth=1
	v_bfrev_b32_e32 v6, 1
	s_mov_b32 s12, exec_lo
	v_cmpx_ne_u16_e32 0x80, v7
	s_cbranch_execz .LBB460_2656
; %bb.2651:                             ;   in Loop: Header=BB460_1375 Depth=1
	v_bfe_u32 v7, v3, 16, 7
	v_mov_b32_e32 v6, 0x7f800001
	s_mov_b32 s13, exec_lo
	s_delay_alu instid0(VALU_DEP_2)
	v_cmpx_ne_u32_e32 0x7f, v7
	s_cbranch_execz .LBB460_2655
; %bb.2652:                             ;   in Loop: Header=BB460_1375 Depth=1
	v_and_b32_e32 v9, 7, v74
	v_lshrrev_b32_e32 v75, 3, v7
	v_cmp_gt_u32_e64 s0, 8, v7
	s_delay_alu instid0(VALU_DEP_3) | instskip(NEXT) | instid1(VALU_DEP_2)
	v_dual_mov_b32 v6, v9 :: v_dual_mov_b32 v7, v10
	s_and_saveexec_b32 s15, s0
; %bb.2653:                             ;   in Loop: Header=BB460_1375 Depth=1
	v_clz_i32_u32_e32 v6, v9
	s_delay_alu instid0(VALU_DEP_1) | instskip(NEXT) | instid1(VALU_DEP_1)
	v_min_u32_e32 v75, 32, v6
	v_subrev_nc_u32_e32 v6, 28, v75
	v_sub_nc_u32_e32 v75, 29, v75
	s_delay_alu instid0(VALU_DEP_2) | instskip(NEXT) | instid1(VALU_DEP_1)
	v_lshlrev_b64 v[6:7], v6, v[9:10]
	v_and_b32_e32 v6, 7, v6
; %bb.2654:                             ;   in Loop: Header=BB460_1375 Depth=1
	s_or_b32 exec_lo, exec_lo, s15
	v_lshlrev_b32_e32 v7, 24, v74
	s_delay_alu instid0(VALU_DEP_2) | instskip(SKIP_1) | instid1(VALU_DEP_3)
	v_lshlrev_b32_e32 v6, 20, v6
	v_lshl_add_u32 v9, v75, 23, 0x3c000000
	v_and_b32_e32 v7, 0x80000000, v7
	s_delay_alu instid0(VALU_DEP_1)
	v_or3_b32 v6, v6, v7, v9
.LBB460_2655:                           ;   in Loop: Header=BB460_1375 Depth=1
	s_or_b32 exec_lo, exec_lo, s13
.LBB460_2656:                           ;   in Loop: Header=BB460_1375 Depth=1
	s_delay_alu instid0(SALU_CYCLE_1)
	s_or_b32 exec_lo, exec_lo, s12
.LBB460_2657:                           ;   in Loop: Header=BB460_1375 Depth=1
	s_delay_alu instid0(SALU_CYCLE_1) | instskip(NEXT) | instid1(VALU_DEP_1)
	s_or_b32 exec_lo, exec_lo, s9
	v_mul_f32_e32 v6, v26, v6
                                        ; implicit-def: $vgpr74
	s_delay_alu instid0(VALU_DEP_1) | instskip(NEXT) | instid1(VALU_DEP_1)
	v_and_b32_e32 v7, 0x7f800000, v6
	v_cmp_ne_u32_e64 s0, 0x7f800000, v7
	s_delay_alu instid0(VALU_DEP_1) | instskip(NEXT) | instid1(SALU_CYCLE_1)
	s_and_saveexec_b32 s9, s0
	s_xor_b32 s0, exec_lo, s9
; %bb.2658:                             ;   in Loop: Header=BB460_1375 Depth=1
	v_bfe_u32 v7, v6, 16, 1
	s_delay_alu instid0(VALU_DEP_1)
	v_add3_u32 v74, v6, v7, 0x7fff
                                        ; implicit-def: $vgpr6
; %bb.2659:                             ;   in Loop: Header=BB460_1375 Depth=1
	s_and_not1_saveexec_b32 s9, s0
; %bb.2660:                             ;   in Loop: Header=BB460_1375 Depth=1
	v_and_b32_e32 v7, 0xffff, v6
	v_or_b32_e32 v9, 0x10000, v6
	s_delay_alu instid0(VALU_DEP_2) | instskip(NEXT) | instid1(VALU_DEP_1)
	v_cmp_eq_u32_e64 s0, 0, v7
	v_cndmask_b32_e64 v74, v9, v6, s0
; %bb.2661:                             ;   in Loop: Header=BB460_1375 Depth=1
	s_or_b32 exec_lo, exec_lo, s9
	v_cmp_lt_u64_e64 s0, s[2:3], v[2:3]
	v_mov_b32_e32 v2, 0
	s_delay_alu instid0(VALU_DEP_2)
	s_and_saveexec_b32 s9, s0
	s_cbranch_execz .LBB460_2669
; %bb.2662:                             ;   in Loop: Header=BB460_1375 Depth=1
	v_lshrrev_b32_e32 v6, 24, v3
	v_bfrev_b32_e32 v2, 1
	s_mov_b32 s12, exec_lo
	s_delay_alu instid0(VALU_DEP_2)
	v_cmpx_ne_u32_e32 0x80, v6
	s_cbranch_execz .LBB460_2668
; %bb.2663:                             ;   in Loop: Header=BB460_1375 Depth=1
	v_bfe_u32 v3, v3, 24, 7
	v_mov_b32_e32 v2, 0x7f800001
	s_mov_b32 s13, exec_lo
	s_delay_alu instid0(VALU_DEP_2)
	v_cmpx_ne_u32_e32 0x7f, v3
	s_cbranch_execz .LBB460_2667
; %bb.2664:                             ;   in Loop: Header=BB460_1375 Depth=1
	v_and_b32_e32 v9, 7, v6
	v_lshrrev_b32_e32 v7, 3, v3
	v_cmp_gt_u32_e64 s0, 8, v3
	s_delay_alu instid0(VALU_DEP_3) | instskip(NEXT) | instid1(VALU_DEP_2)
	v_dual_mov_b32 v2, v9 :: v_dual_mov_b32 v3, v10
	s_and_saveexec_b32 s15, s0
; %bb.2665:                             ;   in Loop: Header=BB460_1375 Depth=1
	v_clz_i32_u32_e32 v2, v9
	s_delay_alu instid0(VALU_DEP_1) | instskip(NEXT) | instid1(VALU_DEP_1)
	v_min_u32_e32 v7, 32, v2
	v_subrev_nc_u32_e32 v2, 28, v7
	v_sub_nc_u32_e32 v7, 29, v7
	s_delay_alu instid0(VALU_DEP_2) | instskip(NEXT) | instid1(VALU_DEP_1)
	v_lshlrev_b64 v[2:3], v2, v[9:10]
	v_and_b32_e32 v2, 7, v2
; %bb.2666:                             ;   in Loop: Header=BB460_1375 Depth=1
	s_or_b32 exec_lo, exec_lo, s15
	v_lshlrev_b32_e32 v3, 24, v6
	s_delay_alu instid0(VALU_DEP_2) | instskip(SKIP_1) | instid1(VALU_DEP_3)
	v_lshlrev_b32_e32 v2, 20, v2
	v_lshl_add_u32 v6, v7, 23, 0x3c000000
	v_and_b32_e32 v3, 0x80000000, v3
	s_delay_alu instid0(VALU_DEP_1)
	v_or3_b32 v2, v2, v3, v6
.LBB460_2667:                           ;   in Loop: Header=BB460_1375 Depth=1
	s_or_b32 exec_lo, exec_lo, s13
.LBB460_2668:                           ;   in Loop: Header=BB460_1375 Depth=1
	s_delay_alu instid0(SALU_CYCLE_1)
	s_or_b32 exec_lo, exec_lo, s12
.LBB460_2669:                           ;   in Loop: Header=BB460_1375 Depth=1
	s_delay_alu instid0(SALU_CYCLE_1) | instskip(NEXT) | instid1(VALU_DEP_1)
	s_or_b32 exec_lo, exec_lo, s9
	v_mul_f32_e32 v3, v26, v2
	s_delay_alu instid0(VALU_DEP_1) | instskip(NEXT) | instid1(VALU_DEP_1)
	v_and_b32_e32 v2, 0x7f800000, v3
	v_cmp_ne_u32_e64 s0, 0x7f800000, v2
                                        ; implicit-def: $vgpr2
	s_delay_alu instid0(VALU_DEP_1) | instskip(NEXT) | instid1(SALU_CYCLE_1)
	s_and_saveexec_b32 s9, s0
	s_xor_b32 s0, exec_lo, s9
; %bb.2670:                             ;   in Loop: Header=BB460_1375 Depth=1
	v_bfe_u32 v2, v3, 16, 1
	s_delay_alu instid0(VALU_DEP_1)
	v_add3_u32 v2, v3, v2, 0x7fff
                                        ; implicit-def: $vgpr3
; %bb.2671:                             ;   in Loop: Header=BB460_1375 Depth=1
	s_and_not1_saveexec_b32 s9, s0
; %bb.2672:                             ;   in Loop: Header=BB460_1375 Depth=1
	v_and_b32_e32 v2, 0xffff, v3
	v_or_b32_e32 v6, 0x10000, v3
	s_delay_alu instid0(VALU_DEP_2) | instskip(NEXT) | instid1(VALU_DEP_1)
	v_cmp_eq_u32_e64 s0, 0, v2
	v_cndmask_b32_e64 v2, v6, v3, s0
; %bb.2673:                             ;   in Loop: Header=BB460_1375 Depth=1
	s_or_b32 exec_lo, exec_lo, s9
	v_lshrrev_b32_e32 v6, 16, v73
	v_lshrrev_b32_e32 v7, 16, v72
	;; [unrolled: 1-line block ×8, first 2 shown]
	s_and_saveexec_b32 s9, vcc_lo
	s_cbranch_execz .LBB460_2675
; %bb.2674:                             ;   in Loop: Header=BB460_1375 Depth=1
	v_cmp_lt_i32_e64 s0, v66, v36
	s_delay_alu instid0(VALU_DEP_1) | instskip(SKIP_1) | instid1(VALU_DEP_1)
	v_cndmask_b32_e64 v60, 0, v60, s0
	v_cmp_lt_i32_e64 s0, v80, v36
	v_cndmask_b32_e64 v61, 0, v61, s0
	v_cmp_lt_i32_e64 s0, v71, v36
	s_delay_alu instid0(VALU_DEP_1) | instskip(SKIP_1) | instid1(VALU_DEP_1)
	v_cndmask_b32_e64 v62, 0, v62, s0
	v_cmp_lt_i32_e64 s0, v70, v36
	v_cndmask_b32_e64 v9, 0, v9, s0
	;; [unrolled: 5-line block ×4, first 2 shown]
.LBB460_2675:                           ;   in Loop: Header=BB460_1375 Depth=1
	s_or_b32 exec_lo, exec_lo, s9
	v_lshlrev_b32_e32 v60, 16, v60
	s_delay_alu instid0(VALU_DEP_1) | instskip(NEXT) | instid1(VALU_DEP_1)
	v_mul_f32_e32 v63, v81, v60
	v_and_b32_e32 v60, 0x7f800000, v63
	s_delay_alu instid0(VALU_DEP_1) | instskip(NEXT) | instid1(VALU_DEP_1)
	v_cmp_ne_u32_e64 s0, 0x7f800000, v60
                                        ; implicit-def: $vgpr60
	s_and_saveexec_b32 s9, s0
	s_delay_alu instid0(SALU_CYCLE_1)
	s_xor_b32 s0, exec_lo, s9
; %bb.2676:                             ;   in Loop: Header=BB460_1375 Depth=1
	v_bfe_u32 v60, v63, 16, 1
	s_delay_alu instid0(VALU_DEP_1)
	v_add3_u32 v60, v63, v60, 0x7fff
                                        ; implicit-def: $vgpr63
; %bb.2677:                             ;   in Loop: Header=BB460_1375 Depth=1
	s_and_not1_saveexec_b32 s9, s0
; %bb.2678:                             ;   in Loop: Header=BB460_1375 Depth=1
	v_and_b32_e32 v60, 0xffff, v63
	v_or_b32_e32 v72, 0x10000, v63
	s_delay_alu instid0(VALU_DEP_2) | instskip(NEXT) | instid1(VALU_DEP_1)
	v_cmp_eq_u32_e64 s0, 0, v60
	v_cndmask_b32_e64 v60, v72, v63, s0
; %bb.2679:                             ;   in Loop: Header=BB460_1375 Depth=1
	s_or_b32 exec_lo, exec_lo, s9
	v_lshlrev_b32_e32 v61, 16, v61
	s_delay_alu instid0(VALU_DEP_1) | instskip(NEXT) | instid1(VALU_DEP_1)
	v_mul_f32_e32 v63, v82, v61
	v_and_b32_e32 v61, 0x7f800000, v63
	s_delay_alu instid0(VALU_DEP_1) | instskip(NEXT) | instid1(VALU_DEP_1)
	v_cmp_ne_u32_e64 s0, 0x7f800000, v61
                                        ; implicit-def: $vgpr61
	s_and_saveexec_b32 s9, s0
	s_delay_alu instid0(SALU_CYCLE_1)
	s_xor_b32 s0, exec_lo, s9
; %bb.2680:                             ;   in Loop: Header=BB460_1375 Depth=1
	v_bfe_u32 v61, v63, 16, 1
	s_delay_alu instid0(VALU_DEP_1)
	v_add3_u32 v61, v63, v61, 0x7fff
                                        ; implicit-def: $vgpr63
; %bb.2681:                             ;   in Loop: Header=BB460_1375 Depth=1
	s_and_not1_saveexec_b32 s9, s0
; %bb.2682:                             ;   in Loop: Header=BB460_1375 Depth=1
	v_and_b32_e32 v61, 0xffff, v63
	v_or_b32_e32 v72, 0x10000, v63
	s_delay_alu instid0(VALU_DEP_2) | instskip(NEXT) | instid1(VALU_DEP_1)
	v_cmp_eq_u32_e64 s0, 0, v61
	v_cndmask_b32_e64 v61, v72, v63, s0
; %bb.2683:                             ;   in Loop: Header=BB460_1375 Depth=1
	s_or_b32 exec_lo, exec_lo, s9
	v_lshlrev_b32_e32 v62, 16, v62
	s_delay_alu instid0(VALU_DEP_1) | instskip(NEXT) | instid1(VALU_DEP_1)
	v_mul_f32_e32 v63, v83, v62
	v_and_b32_e32 v62, 0x7f800000, v63
	s_delay_alu instid0(VALU_DEP_1) | instskip(NEXT) | instid1(VALU_DEP_1)
	v_cmp_ne_u32_e64 s0, 0x7f800000, v62
                                        ; implicit-def: $vgpr62
	s_and_saveexec_b32 s9, s0
	s_delay_alu instid0(SALU_CYCLE_1)
	s_xor_b32 s0, exec_lo, s9
; %bb.2684:                             ;   in Loop: Header=BB460_1375 Depth=1
	v_bfe_u32 v62, v63, 16, 1
	s_delay_alu instid0(VALU_DEP_1)
	v_add3_u32 v62, v63, v62, 0x7fff
                                        ; implicit-def: $vgpr63
; %bb.2685:                             ;   in Loop: Header=BB460_1375 Depth=1
	s_and_not1_saveexec_b32 s9, s0
; %bb.2686:                             ;   in Loop: Header=BB460_1375 Depth=1
	v_and_b32_e32 v62, 0xffff, v63
	v_or_b32_e32 v72, 0x10000, v63
	s_delay_alu instid0(VALU_DEP_2) | instskip(NEXT) | instid1(VALU_DEP_1)
	v_cmp_eq_u32_e64 s0, 0, v62
	v_cndmask_b32_e64 v62, v72, v63, s0
; %bb.2687:                             ;   in Loop: Header=BB460_1375 Depth=1
	s_or_b32 exec_lo, exec_lo, s9
	v_lshlrev_b32_e32 v9, 16, v9
	s_delay_alu instid0(VALU_DEP_1) | instskip(NEXT) | instid1(VALU_DEP_1)
	v_mul_f32_e32 v9, v84, v9
	v_and_b32_e32 v63, 0x7f800000, v9
	s_delay_alu instid0(VALU_DEP_1) | instskip(NEXT) | instid1(VALU_DEP_1)
	v_cmp_ne_u32_e64 s0, 0x7f800000, v63
                                        ; implicit-def: $vgpr63
	s_and_saveexec_b32 s9, s0
	s_delay_alu instid0(SALU_CYCLE_1)
	s_xor_b32 s0, exec_lo, s9
; %bb.2688:                             ;   in Loop: Header=BB460_1375 Depth=1
	v_bfe_u32 v63, v9, 16, 1
	s_delay_alu instid0(VALU_DEP_1)
	v_add3_u32 v63, v9, v63, 0x7fff
                                        ; implicit-def: $vgpr9
; %bb.2689:                             ;   in Loop: Header=BB460_1375 Depth=1
	s_and_not1_saveexec_b32 s9, s0
; %bb.2690:                             ;   in Loop: Header=BB460_1375 Depth=1
	v_and_b32_e32 v63, 0xffff, v9
	v_or_b32_e32 v72, 0x10000, v9
	s_delay_alu instid0(VALU_DEP_2) | instskip(NEXT) | instid1(VALU_DEP_1)
	v_cmp_eq_u32_e64 s0, 0, v63
	v_cndmask_b32_e64 v63, v72, v9, s0
; %bb.2691:                             ;   in Loop: Header=BB460_1375 Depth=1
	s_or_b32 exec_lo, exec_lo, s9
	v_lshlrev_b32_e32 v7, 16, v7
                                        ; implicit-def: $vgpr72
	s_delay_alu instid0(VALU_DEP_1) | instskip(NEXT) | instid1(VALU_DEP_1)
	v_mul_f32_e32 v7, v85, v7
	v_and_b32_e32 v9, 0x7f800000, v7
	s_delay_alu instid0(VALU_DEP_1) | instskip(NEXT) | instid1(VALU_DEP_1)
	v_cmp_ne_u32_e64 s0, 0x7f800000, v9
	s_and_saveexec_b32 s9, s0
	s_delay_alu instid0(SALU_CYCLE_1)
	s_xor_b32 s0, exec_lo, s9
; %bb.2692:                             ;   in Loop: Header=BB460_1375 Depth=1
	v_bfe_u32 v9, v7, 16, 1
	s_delay_alu instid0(VALU_DEP_1)
	v_add3_u32 v72, v7, v9, 0x7fff
                                        ; implicit-def: $vgpr7
; %bb.2693:                             ;   in Loop: Header=BB460_1375 Depth=1
	s_and_not1_saveexec_b32 s9, s0
; %bb.2694:                             ;   in Loop: Header=BB460_1375 Depth=1
	v_and_b32_e32 v9, 0xffff, v7
	v_or_b32_e32 v72, 0x10000, v7
	s_delay_alu instid0(VALU_DEP_2) | instskip(NEXT) | instid1(VALU_DEP_1)
	v_cmp_eq_u32_e64 s0, 0, v9
	v_cndmask_b32_e64 v72, v72, v7, s0
; %bb.2695:                             ;   in Loop: Header=BB460_1375 Depth=1
	s_or_b32 exec_lo, exec_lo, s9
	v_lshlrev_b32_e32 v6, 16, v6
                                        ; implicit-def: $vgpr73
	s_delay_alu instid0(VALU_DEP_1) | instskip(NEXT) | instid1(VALU_DEP_1)
	v_mul_f32_e32 v6, v86, v6
	v_and_b32_e32 v7, 0x7f800000, v6
	s_delay_alu instid0(VALU_DEP_1) | instskip(NEXT) | instid1(VALU_DEP_1)
	v_cmp_ne_u32_e64 s0, 0x7f800000, v7
	s_and_saveexec_b32 s9, s0
	s_delay_alu instid0(SALU_CYCLE_1)
	s_xor_b32 s0, exec_lo, s9
; %bb.2696:                             ;   in Loop: Header=BB460_1375 Depth=1
	v_bfe_u32 v7, v6, 16, 1
	s_delay_alu instid0(VALU_DEP_1)
	v_add3_u32 v73, v6, v7, 0x7fff
                                        ; implicit-def: $vgpr6
; %bb.2697:                             ;   in Loop: Header=BB460_1375 Depth=1
	s_and_not1_saveexec_b32 s9, s0
; %bb.2698:                             ;   in Loop: Header=BB460_1375 Depth=1
	v_and_b32_e32 v7, 0xffff, v6
	v_or_b32_e32 v9, 0x10000, v6
	s_delay_alu instid0(VALU_DEP_2) | instskip(NEXT) | instid1(VALU_DEP_1)
	v_cmp_eq_u32_e64 s0, 0, v7
	v_cndmask_b32_e64 v73, v9, v6, s0
; %bb.2699:                             ;   in Loop: Header=BB460_1375 Depth=1
	s_or_b32 exec_lo, exec_lo, s9
	v_lshlrev_b32_e32 v3, 16, v3
                                        ; implicit-def: $vgpr74
	s_delay_alu instid0(VALU_DEP_1) | instskip(NEXT) | instid1(VALU_DEP_1)
	v_mul_f32_e32 v3, v87, v3
	v_and_b32_e32 v6, 0x7f800000, v3
	s_delay_alu instid0(VALU_DEP_1) | instskip(NEXT) | instid1(VALU_DEP_1)
	v_cmp_ne_u32_e64 s0, 0x7f800000, v6
	s_and_saveexec_b32 s9, s0
	s_delay_alu instid0(SALU_CYCLE_1)
	s_xor_b32 s0, exec_lo, s9
; %bb.2700:                             ;   in Loop: Header=BB460_1375 Depth=1
	v_bfe_u32 v6, v3, 16, 1
	s_delay_alu instid0(VALU_DEP_1)
	v_add3_u32 v74, v3, v6, 0x7fff
                                        ; implicit-def: $vgpr3
; %bb.2701:                             ;   in Loop: Header=BB460_1375 Depth=1
	s_and_not1_saveexec_b32 s9, s0
; %bb.2702:                             ;   in Loop: Header=BB460_1375 Depth=1
	v_and_b32_e32 v6, 0xffff, v3
	v_or_b32_e32 v7, 0x10000, v3
	s_delay_alu instid0(VALU_DEP_2) | instskip(NEXT) | instid1(VALU_DEP_1)
	v_cmp_eq_u32_e64 s0, 0, v6
	v_cndmask_b32_e64 v74, v7, v3, s0
; %bb.2703:                             ;   in Loop: Header=BB460_1375 Depth=1
	s_or_b32 exec_lo, exec_lo, s9
	v_lshlrev_b32_e32 v2, 16, v2
                                        ; implicit-def: $vgpr75
	s_delay_alu instid0(VALU_DEP_1) | instskip(NEXT) | instid1(VALU_DEP_1)
	v_mul_f32_e32 v2, v96, v2
	v_and_b32_e32 v3, 0x7f800000, v2
	s_delay_alu instid0(VALU_DEP_1) | instskip(NEXT) | instid1(VALU_DEP_1)
	v_cmp_ne_u32_e64 s0, 0x7f800000, v3
	s_and_saveexec_b32 s9, s0
	s_delay_alu instid0(SALU_CYCLE_1)
	s_xor_b32 s0, exec_lo, s9
; %bb.2704:                             ;   in Loop: Header=BB460_1375 Depth=1
	v_bfe_u32 v3, v2, 16, 1
	s_delay_alu instid0(VALU_DEP_1)
	v_add3_u32 v75, v2, v3, 0x7fff
                                        ; implicit-def: $vgpr2
; %bb.2705:                             ;   in Loop: Header=BB460_1375 Depth=1
	s_and_not1_saveexec_b32 s9, s0
; %bb.2706:                             ;   in Loop: Header=BB460_1375 Depth=1
	v_and_b32_e32 v3, 0xffff, v2
	v_or_b32_e32 v6, 0x10000, v2
	s_delay_alu instid0(VALU_DEP_2) | instskip(NEXT) | instid1(VALU_DEP_1)
	v_cmp_eq_u32_e64 s0, 0, v3
	v_cndmask_b32_e64 v75, v6, v2, s0
; %bb.2707:                             ;   in Loop: Header=BB460_1375 Depth=1
	s_or_b32 exec_lo, exec_lo, s9
	flat_load_b64 v[2:3], v[0:1] offset:2560
	s_mov_b32 s9, exec_lo
	s_waitcnt vmcnt(0) lgkmcnt(0)
	v_dual_mov_b32 v6, 0 :: v_dual_and_b32 v7, 0xff, v2
	s_delay_alu instid0(VALU_DEP_1)
	v_cmpx_ne_u16_e32 0, v7
	s_cbranch_execz .LBB460_2715
; %bb.2708:                             ;   in Loop: Header=BB460_1375 Depth=1
	v_bfrev_b32_e32 v6, 1
	s_mov_b32 s12, exec_lo
	v_cmpx_ne_u16_e32 0x80, v7
	s_cbranch_execz .LBB460_2714
; %bb.2709:                             ;   in Loop: Header=BB460_1375 Depth=1
	v_and_b32_e32 v7, 0x7f, v2
	v_mov_b32_e32 v6, 0x7f800001
	s_mov_b32 s13, exec_lo
	s_delay_alu instid0(VALU_DEP_2)
	v_cmpx_ne_u32_e32 0x7f, v7
	s_cbranch_execz .LBB460_2713
; %bb.2710:                             ;   in Loop: Header=BB460_1375 Depth=1
	v_lshrrev_b32_e32 v9, 3, v7
	v_cmp_gt_u32_e64 s0, 8, v7
	v_dual_mov_b32 v7, v3 :: v_dual_mov_b32 v6, v2
	s_delay_alu instid0(VALU_DEP_2)
	s_and_saveexec_b32 s15, s0
; %bb.2711:                             ;   in Loop: Header=BB460_1375 Depth=1
	v_and_b32_e32 v6, 7, v2
	s_delay_alu instid0(VALU_DEP_1) | instskip(NEXT) | instid1(VALU_DEP_1)
	v_clz_i32_u32_e32 v6, v6
	v_min_u32_e32 v9, 32, v6
	s_delay_alu instid0(VALU_DEP_1) | instskip(SKIP_1) | instid1(VALU_DEP_2)
	v_subrev_nc_u32_e32 v6, 28, v9
	v_sub_nc_u32_e32 v9, 29, v9
	v_lshlrev_b64 v[6:7], v6, v[2:3]
; %bb.2712:                             ;   in Loop: Header=BB460_1375 Depth=1
	s_or_b32 exec_lo, exec_lo, s15
	s_delay_alu instid0(VALU_DEP_1) | instskip(SKIP_2) | instid1(VALU_DEP_3)
	v_lshlrev_b32_e32 v6, 20, v6
	v_lshlrev_b32_e32 v7, 24, v2
	v_lshl_add_u32 v9, v9, 23, 0x3c000000
	v_and_b32_e32 v6, 0x700000, v6
	s_delay_alu instid0(VALU_DEP_3) | instskip(NEXT) | instid1(VALU_DEP_1)
	v_and_b32_e32 v7, 0x80000000, v7
	v_or3_b32 v6, v6, v7, v9
.LBB460_2713:                           ;   in Loop: Header=BB460_1375 Depth=1
	s_or_b32 exec_lo, exec_lo, s13
.LBB460_2714:                           ;   in Loop: Header=BB460_1375 Depth=1
	s_delay_alu instid0(SALU_CYCLE_1)
	s_or_b32 exec_lo, exec_lo, s12
.LBB460_2715:                           ;   in Loop: Header=BB460_1375 Depth=1
	s_delay_alu instid0(SALU_CYCLE_1) | instskip(NEXT) | instid1(VALU_DEP_1)
	s_or_b32 exec_lo, exec_lo, s9
	v_mul_f32_e32 v6, v26, v6
                                        ; implicit-def: $vgpr76
	s_delay_alu instid0(VALU_DEP_1) | instskip(NEXT) | instid1(VALU_DEP_1)
	v_and_b32_e32 v7, 0x7f800000, v6
	v_cmp_ne_u32_e64 s0, 0x7f800000, v7
	s_delay_alu instid0(VALU_DEP_1) | instskip(NEXT) | instid1(SALU_CYCLE_1)
	s_and_saveexec_b32 s9, s0
	s_xor_b32 s0, exec_lo, s9
; %bb.2716:                             ;   in Loop: Header=BB460_1375 Depth=1
	v_bfe_u32 v7, v6, 16, 1
	s_delay_alu instid0(VALU_DEP_1)
	v_add3_u32 v76, v6, v7, 0x7fff
                                        ; implicit-def: $vgpr6
; %bb.2717:                             ;   in Loop: Header=BB460_1375 Depth=1
	s_and_not1_saveexec_b32 s9, s0
; %bb.2718:                             ;   in Loop: Header=BB460_1375 Depth=1
	v_and_b32_e32 v7, 0xffff, v6
	v_or_b32_e32 v9, 0x10000, v6
	s_delay_alu instid0(VALU_DEP_2) | instskip(NEXT) | instid1(VALU_DEP_1)
	v_cmp_eq_u32_e64 s0, 0, v7
	v_cndmask_b32_e64 v76, v9, v6, s0
; %bb.2719:                             ;   in Loop: Header=BB460_1375 Depth=1
	s_or_b32 exec_lo, exec_lo, s9
	v_lshrrev_b16 v7, 8, v2
	v_mov_b32_e32 v6, 0
	s_mov_b32 s9, exec_lo
	s_delay_alu instid0(VALU_DEP_2)
	v_cmpx_ne_u16_e32 0, v7
	s_cbranch_execz .LBB460_2727
; %bb.2720:                             ;   in Loop: Header=BB460_1375 Depth=1
	v_bfrev_b32_e32 v6, 1
	s_mov_b32 s12, exec_lo
	v_cmpx_ne_u16_e32 0x80, v7
	s_cbranch_execz .LBB460_2726
; %bb.2721:                             ;   in Loop: Header=BB460_1375 Depth=1
	v_and_b32_e32 v9, 0xffff, v7
	v_mov_b32_e32 v6, 0x7f800001
	s_mov_b32 s13, exec_lo
	s_delay_alu instid0(VALU_DEP_2) | instskip(NEXT) | instid1(VALU_DEP_1)
	v_and_b32_e32 v7, 0x7f, v9
	v_cmpx_ne_u32_e32 0x7f, v7
	s_cbranch_execz .LBB460_2725
; %bb.2722:                             ;   in Loop: Header=BB460_1375 Depth=1
	v_and_b32_e32 v9, 7, v9
	v_lshrrev_b32_e32 v77, 3, v7
	v_cmp_gt_u32_e64 s0, 8, v7
	s_delay_alu instid0(VALU_DEP_3) | instskip(NEXT) | instid1(VALU_DEP_2)
	v_dual_mov_b32 v6, v9 :: v_dual_mov_b32 v7, v10
	s_and_saveexec_b32 s15, s0
; %bb.2723:                             ;   in Loop: Header=BB460_1375 Depth=1
	v_clz_i32_u32_e32 v6, v9
	s_delay_alu instid0(VALU_DEP_1) | instskip(NEXT) | instid1(VALU_DEP_1)
	v_min_u32_e32 v77, 32, v6
	v_subrev_nc_u32_e32 v6, 28, v77
	v_sub_nc_u32_e32 v77, 29, v77
	s_delay_alu instid0(VALU_DEP_2) | instskip(NEXT) | instid1(VALU_DEP_1)
	v_lshlrev_b64 v[6:7], v6, v[9:10]
	v_and_b32_e32 v6, 7, v6
; %bb.2724:                             ;   in Loop: Header=BB460_1375 Depth=1
	s_or_b32 exec_lo, exec_lo, s15
	v_lshlrev_b32_e32 v7, 16, v2
	s_delay_alu instid0(VALU_DEP_2) | instskip(SKIP_1) | instid1(VALU_DEP_3)
	v_lshlrev_b32_e32 v6, 20, v6
	v_lshl_add_u32 v9, v77, 23, 0x3c000000
	v_and_b32_e32 v7, 0x80000000, v7
	s_delay_alu instid0(VALU_DEP_1)
	v_or3_b32 v6, v6, v7, v9
.LBB460_2725:                           ;   in Loop: Header=BB460_1375 Depth=1
	s_or_b32 exec_lo, exec_lo, s13
.LBB460_2726:                           ;   in Loop: Header=BB460_1375 Depth=1
	s_delay_alu instid0(SALU_CYCLE_1)
	s_or_b32 exec_lo, exec_lo, s12
.LBB460_2727:                           ;   in Loop: Header=BB460_1375 Depth=1
	s_delay_alu instid0(SALU_CYCLE_1) | instskip(NEXT) | instid1(VALU_DEP_1)
	s_or_b32 exec_lo, exec_lo, s9
	v_mul_f32_e32 v6, v26, v6
                                        ; implicit-def: $vgpr77
	s_delay_alu instid0(VALU_DEP_1) | instskip(NEXT) | instid1(VALU_DEP_1)
	v_and_b32_e32 v7, 0x7f800000, v6
	v_cmp_ne_u32_e64 s0, 0x7f800000, v7
	s_delay_alu instid0(VALU_DEP_1) | instskip(NEXT) | instid1(SALU_CYCLE_1)
	s_and_saveexec_b32 s9, s0
	s_xor_b32 s0, exec_lo, s9
; %bb.2728:                             ;   in Loop: Header=BB460_1375 Depth=1
	v_bfe_u32 v7, v6, 16, 1
	s_delay_alu instid0(VALU_DEP_1)
	v_add3_u32 v77, v6, v7, 0x7fff
                                        ; implicit-def: $vgpr6
; %bb.2729:                             ;   in Loop: Header=BB460_1375 Depth=1
	s_and_not1_saveexec_b32 s9, s0
; %bb.2730:                             ;   in Loop: Header=BB460_1375 Depth=1
	v_and_b32_e32 v7, 0xffff, v6
	v_or_b32_e32 v9, 0x10000, v6
	s_delay_alu instid0(VALU_DEP_2) | instskip(NEXT) | instid1(VALU_DEP_1)
	v_cmp_eq_u32_e64 s0, 0, v7
	v_cndmask_b32_e64 v77, v9, v6, s0
; %bb.2731:                             ;   in Loop: Header=BB460_1375 Depth=1
	s_or_b32 exec_lo, exec_lo, s9
	v_lshrrev_b32_e32 v78, 16, v2
	s_mov_b32 s9, exec_lo
	s_delay_alu instid0(VALU_DEP_1) | instskip(NEXT) | instid1(VALU_DEP_1)
	v_dual_mov_b32 v6, 0 :: v_dual_and_b32 v7, 0xff, v78
	v_cmpx_ne_u16_e32 0, v7
	s_cbranch_execz .LBB460_2739
; %bb.2732:                             ;   in Loop: Header=BB460_1375 Depth=1
	v_bfrev_b32_e32 v6, 1
	s_mov_b32 s12, exec_lo
	v_cmpx_ne_u16_e32 0x80, v7
	s_cbranch_execz .LBB460_2738
; %bb.2733:                             ;   in Loop: Header=BB460_1375 Depth=1
	v_bfe_u32 v7, v2, 16, 7
	v_mov_b32_e32 v6, 0x7f800001
	s_mov_b32 s13, exec_lo
	s_delay_alu instid0(VALU_DEP_2)
	v_cmpx_ne_u32_e32 0x7f, v7
	s_cbranch_execz .LBB460_2737
; %bb.2734:                             ;   in Loop: Header=BB460_1375 Depth=1
	v_and_b32_e32 v9, 7, v78
	v_lshrrev_b32_e32 v79, 3, v7
	v_cmp_gt_u32_e64 s0, 8, v7
	s_delay_alu instid0(VALU_DEP_3) | instskip(NEXT) | instid1(VALU_DEP_2)
	v_dual_mov_b32 v6, v9 :: v_dual_mov_b32 v7, v10
	s_and_saveexec_b32 s15, s0
; %bb.2735:                             ;   in Loop: Header=BB460_1375 Depth=1
	v_clz_i32_u32_e32 v6, v9
	s_delay_alu instid0(VALU_DEP_1) | instskip(NEXT) | instid1(VALU_DEP_1)
	v_min_u32_e32 v79, 32, v6
	v_subrev_nc_u32_e32 v6, 28, v79
	v_sub_nc_u32_e32 v79, 29, v79
	s_delay_alu instid0(VALU_DEP_2) | instskip(NEXT) | instid1(VALU_DEP_1)
	v_lshlrev_b64 v[6:7], v6, v[9:10]
	v_and_b32_e32 v6, 7, v6
; %bb.2736:                             ;   in Loop: Header=BB460_1375 Depth=1
	s_or_b32 exec_lo, exec_lo, s15
	v_lshlrev_b32_e32 v7, 24, v78
	s_delay_alu instid0(VALU_DEP_2) | instskip(SKIP_1) | instid1(VALU_DEP_3)
	v_lshlrev_b32_e32 v6, 20, v6
	v_lshl_add_u32 v9, v79, 23, 0x3c000000
	v_and_b32_e32 v7, 0x80000000, v7
	s_delay_alu instid0(VALU_DEP_1)
	v_or3_b32 v6, v6, v7, v9
.LBB460_2737:                           ;   in Loop: Header=BB460_1375 Depth=1
	s_or_b32 exec_lo, exec_lo, s13
.LBB460_2738:                           ;   in Loop: Header=BB460_1375 Depth=1
	s_delay_alu instid0(SALU_CYCLE_1)
	s_or_b32 exec_lo, exec_lo, s12
.LBB460_2739:                           ;   in Loop: Header=BB460_1375 Depth=1
	s_delay_alu instid0(SALU_CYCLE_1) | instskip(NEXT) | instid1(VALU_DEP_1)
	s_or_b32 exec_lo, exec_lo, s9
	v_mul_f32_e32 v6, v26, v6
                                        ; implicit-def: $vgpr78
	s_delay_alu instid0(VALU_DEP_1) | instskip(NEXT) | instid1(VALU_DEP_1)
	v_and_b32_e32 v7, 0x7f800000, v6
	v_cmp_ne_u32_e64 s0, 0x7f800000, v7
	s_delay_alu instid0(VALU_DEP_1) | instskip(NEXT) | instid1(SALU_CYCLE_1)
	s_and_saveexec_b32 s9, s0
	s_xor_b32 s0, exec_lo, s9
; %bb.2740:                             ;   in Loop: Header=BB460_1375 Depth=1
	v_bfe_u32 v7, v6, 16, 1
	s_delay_alu instid0(VALU_DEP_1)
	v_add3_u32 v78, v6, v7, 0x7fff
                                        ; implicit-def: $vgpr6
; %bb.2741:                             ;   in Loop: Header=BB460_1375 Depth=1
	s_and_not1_saveexec_b32 s9, s0
; %bb.2742:                             ;   in Loop: Header=BB460_1375 Depth=1
	v_and_b32_e32 v7, 0xffff, v6
	v_or_b32_e32 v9, 0x10000, v6
	s_delay_alu instid0(VALU_DEP_2) | instskip(NEXT) | instid1(VALU_DEP_1)
	v_cmp_eq_u32_e64 s0, 0, v7
	v_cndmask_b32_e64 v78, v9, v6, s0
; %bb.2743:                             ;   in Loop: Header=BB460_1375 Depth=1
	s_or_b32 exec_lo, exec_lo, s9
	v_mov_b32_e32 v6, 0
	s_mov_b32 s9, exec_lo
	v_cmpx_lt_u32_e32 0xffffff, v2
	s_cbranch_execz .LBB460_2751
; %bb.2744:                             ;   in Loop: Header=BB460_1375 Depth=1
	v_lshrrev_b32_e32 v79, 24, v2
	v_bfrev_b32_e32 v6, 1
	s_mov_b32 s12, exec_lo
	s_delay_alu instid0(VALU_DEP_2)
	v_cmpx_ne_u32_e32 0x80, v79
	s_cbranch_execz .LBB460_2750
; %bb.2745:                             ;   in Loop: Header=BB460_1375 Depth=1
	v_bfe_u32 v7, v2, 24, 7
	v_mov_b32_e32 v6, 0x7f800001
	s_mov_b32 s13, exec_lo
	s_delay_alu instid0(VALU_DEP_2)
	v_cmpx_ne_u32_e32 0x7f, v7
	s_cbranch_execz .LBB460_2749
; %bb.2746:                             ;   in Loop: Header=BB460_1375 Depth=1
	v_and_b32_e32 v9, 7, v79
	v_lshrrev_b32_e32 v88, 3, v7
	v_cmp_gt_u32_e64 s0, 8, v7
	s_delay_alu instid0(VALU_DEP_3) | instskip(NEXT) | instid1(VALU_DEP_2)
	v_dual_mov_b32 v6, v9 :: v_dual_mov_b32 v7, v10
	s_and_saveexec_b32 s15, s0
; %bb.2747:                             ;   in Loop: Header=BB460_1375 Depth=1
	v_clz_i32_u32_e32 v6, v9
	s_delay_alu instid0(VALU_DEP_1) | instskip(NEXT) | instid1(VALU_DEP_1)
	v_min_u32_e32 v88, 32, v6
	v_subrev_nc_u32_e32 v6, 28, v88
	v_sub_nc_u32_e32 v88, 29, v88
	s_delay_alu instid0(VALU_DEP_2) | instskip(NEXT) | instid1(VALU_DEP_1)
	v_lshlrev_b64 v[6:7], v6, v[9:10]
	v_and_b32_e32 v6, 7, v6
; %bb.2748:                             ;   in Loop: Header=BB460_1375 Depth=1
	s_or_b32 exec_lo, exec_lo, s15
	v_lshlrev_b32_e32 v7, 24, v79
	s_delay_alu instid0(VALU_DEP_2) | instskip(SKIP_1) | instid1(VALU_DEP_3)
	v_lshlrev_b32_e32 v6, 20, v6
	v_lshl_add_u32 v9, v88, 23, 0x3c000000
	v_and_b32_e32 v7, 0x80000000, v7
	s_delay_alu instid0(VALU_DEP_1)
	v_or3_b32 v6, v6, v7, v9
.LBB460_2749:                           ;   in Loop: Header=BB460_1375 Depth=1
	s_or_b32 exec_lo, exec_lo, s13
.LBB460_2750:                           ;   in Loop: Header=BB460_1375 Depth=1
	s_delay_alu instid0(SALU_CYCLE_1)
	s_or_b32 exec_lo, exec_lo, s12
.LBB460_2751:                           ;   in Loop: Header=BB460_1375 Depth=1
	s_delay_alu instid0(SALU_CYCLE_1) | instskip(NEXT) | instid1(VALU_DEP_1)
	s_or_b32 exec_lo, exec_lo, s9
	v_mul_f32_e32 v6, v26, v6
                                        ; implicit-def: $vgpr79
	s_delay_alu instid0(VALU_DEP_1) | instskip(NEXT) | instid1(VALU_DEP_1)
	v_and_b32_e32 v7, 0x7f800000, v6
	v_cmp_ne_u32_e64 s0, 0x7f800000, v7
	s_delay_alu instid0(VALU_DEP_1) | instskip(NEXT) | instid1(SALU_CYCLE_1)
	s_and_saveexec_b32 s9, s0
	s_xor_b32 s0, exec_lo, s9
; %bb.2752:                             ;   in Loop: Header=BB460_1375 Depth=1
	v_bfe_u32 v7, v6, 16, 1
	s_delay_alu instid0(VALU_DEP_1)
	v_add3_u32 v79, v6, v7, 0x7fff
                                        ; implicit-def: $vgpr6
; %bb.2753:                             ;   in Loop: Header=BB460_1375 Depth=1
	s_and_not1_saveexec_b32 s9, s0
; %bb.2754:                             ;   in Loop: Header=BB460_1375 Depth=1
	v_and_b32_e32 v7, 0xffff, v6
	v_or_b32_e32 v9, 0x10000, v6
	s_delay_alu instid0(VALU_DEP_2) | instskip(NEXT) | instid1(VALU_DEP_1)
	v_cmp_eq_u32_e64 s0, 0, v7
	v_cndmask_b32_e64 v79, v9, v6, s0
; %bb.2755:                             ;   in Loop: Header=BB460_1375 Depth=1
	s_or_b32 exec_lo, exec_lo, s9
	v_dual_mov_b32 v6, 0 :: v_dual_and_b32 v7, 0xff, v3
	v_mov_b32_e32 v9, v3
	s_mov_b32 s9, exec_lo
	s_delay_alu instid0(VALU_DEP_2)
	v_cmpx_ne_u16_e32 0, v7
	s_cbranch_execz .LBB460_2763
; %bb.2756:                             ;   in Loop: Header=BB460_1375 Depth=1
	v_bfrev_b32_e32 v6, 1
	s_mov_b32 s12, exec_lo
	v_cmpx_ne_u16_e32 0x80, v7
	s_cbranch_execz .LBB460_2762
; %bb.2757:                             ;   in Loop: Header=BB460_1375 Depth=1
	v_and_b32_e32 v7, 0x7f, v3
	v_mov_b32_e32 v6, 0x7f800001
	s_mov_b32 s13, exec_lo
	s_delay_alu instid0(VALU_DEP_2)
	v_cmpx_ne_u32_e32 0x7f, v7
	s_cbranch_execz .LBB460_2761
; %bb.2758:                             ;   in Loop: Header=BB460_1375 Depth=1
	v_lshrrev_b32_e32 v88, 3, v7
	v_cmp_gt_u32_e64 s0, 8, v7
	v_dual_mov_b32 v6, v9 :: v_dual_mov_b32 v7, v10
	s_delay_alu instid0(VALU_DEP_2)
	s_and_saveexec_b32 s15, s0
; %bb.2759:                             ;   in Loop: Header=BB460_1375 Depth=1
	v_and_b32_e32 v6, 7, v3
	s_delay_alu instid0(VALU_DEP_1) | instskip(NEXT) | instid1(VALU_DEP_1)
	v_clz_i32_u32_e32 v6, v6
	v_min_u32_e32 v88, 32, v6
	s_delay_alu instid0(VALU_DEP_1) | instskip(SKIP_1) | instid1(VALU_DEP_2)
	v_subrev_nc_u32_e32 v6, 28, v88
	v_sub_nc_u32_e32 v88, 29, v88
	v_lshlrev_b64 v[6:7], v6, v[9:10]
; %bb.2760:                             ;   in Loop: Header=BB460_1375 Depth=1
	s_or_b32 exec_lo, exec_lo, s15
	s_delay_alu instid0(VALU_DEP_1) | instskip(SKIP_2) | instid1(VALU_DEP_3)
	v_lshlrev_b32_e32 v6, 20, v6
	v_lshlrev_b32_e32 v7, 24, v9
	v_lshl_add_u32 v88, v88, 23, 0x3c000000
	v_and_b32_e32 v6, 0x700000, v6
	s_delay_alu instid0(VALU_DEP_3) | instskip(NEXT) | instid1(VALU_DEP_1)
	v_and_b32_e32 v7, 0x80000000, v7
	v_or3_b32 v6, v6, v7, v88
.LBB460_2761:                           ;   in Loop: Header=BB460_1375 Depth=1
	s_or_b32 exec_lo, exec_lo, s13
.LBB460_2762:                           ;   in Loop: Header=BB460_1375 Depth=1
	s_delay_alu instid0(SALU_CYCLE_1)
	s_or_b32 exec_lo, exec_lo, s12
.LBB460_2763:                           ;   in Loop: Header=BB460_1375 Depth=1
	s_delay_alu instid0(SALU_CYCLE_1) | instskip(NEXT) | instid1(VALU_DEP_1)
	s_or_b32 exec_lo, exec_lo, s9
	v_mul_f32_e32 v6, v26, v6
                                        ; implicit-def: $vgpr88
	s_delay_alu instid0(VALU_DEP_1) | instskip(NEXT) | instid1(VALU_DEP_1)
	v_and_b32_e32 v7, 0x7f800000, v6
	v_cmp_ne_u32_e64 s0, 0x7f800000, v7
	s_delay_alu instid0(VALU_DEP_1) | instskip(NEXT) | instid1(SALU_CYCLE_1)
	s_and_saveexec_b32 s9, s0
	s_xor_b32 s0, exec_lo, s9
; %bb.2764:                             ;   in Loop: Header=BB460_1375 Depth=1
	v_bfe_u32 v7, v6, 16, 1
	s_delay_alu instid0(VALU_DEP_1)
	v_add3_u32 v88, v6, v7, 0x7fff
                                        ; implicit-def: $vgpr6
; %bb.2765:                             ;   in Loop: Header=BB460_1375 Depth=1
	s_and_not1_saveexec_b32 s9, s0
; %bb.2766:                             ;   in Loop: Header=BB460_1375 Depth=1
	v_and_b32_e32 v7, 0xffff, v6
	v_or_b32_e32 v88, 0x10000, v6
	s_delay_alu instid0(VALU_DEP_2) | instskip(NEXT) | instid1(VALU_DEP_1)
	v_cmp_eq_u32_e64 s0, 0, v7
	v_cndmask_b32_e64 v88, v88, v6, s0
; %bb.2767:                             ;   in Loop: Header=BB460_1375 Depth=1
	s_or_b32 exec_lo, exec_lo, s9
	v_lshrrev_b16 v7, 8, v9
	v_mov_b32_e32 v6, 0
	s_mov_b32 s9, exec_lo
	s_delay_alu instid0(VALU_DEP_2)
	v_cmpx_ne_u16_e32 0, v7
	s_cbranch_execz .LBB460_2775
; %bb.2768:                             ;   in Loop: Header=BB460_1375 Depth=1
	v_bfrev_b32_e32 v6, 1
	s_mov_b32 s12, exec_lo
	v_cmpx_ne_u16_e32 0x80, v7
	s_cbranch_execz .LBB460_2774
; %bb.2769:                             ;   in Loop: Header=BB460_1375 Depth=1
	v_and_b32_e32 v7, 0xffff, v7
	v_mov_b32_e32 v6, 0x7f800001
	s_mov_b32 s13, exec_lo
	s_delay_alu instid0(VALU_DEP_2) | instskip(NEXT) | instid1(VALU_DEP_1)
	v_and_b32_e32 v90, 0x7f, v7
	v_cmpx_ne_u32_e32 0x7f, v90
	s_cbranch_execz .LBB460_2773
; %bb.2770:                             ;   in Loop: Header=BB460_1375 Depth=1
	v_dual_mov_b32 v7, v10 :: v_dual_and_b32 v6, 7, v7
	v_lshrrev_b32_e32 v89, 3, v90
	s_mov_b32 s15, exec_lo
	v_cmpx_gt_u32_e32 8, v90
; %bb.2771:                             ;   in Loop: Header=BB460_1375 Depth=1
	s_delay_alu instid0(VALU_DEP_3) | instskip(NEXT) | instid1(VALU_DEP_1)
	v_clz_i32_u32_e32 v89, v6
	v_min_u32_e32 v89, 32, v89
	s_delay_alu instid0(VALU_DEP_1) | instskip(SKIP_1) | instid1(VALU_DEP_2)
	v_subrev_nc_u32_e32 v90, 28, v89
	v_sub_nc_u32_e32 v89, 29, v89
	v_lshlrev_b64 v[6:7], v90, v[6:7]
	s_delay_alu instid0(VALU_DEP_1)
	v_and_b32_e32 v6, 7, v6
; %bb.2772:                             ;   in Loop: Header=BB460_1375 Depth=1
	s_or_b32 exec_lo, exec_lo, s15
	v_lshlrev_b32_e32 v7, 16, v9
	s_delay_alu instid0(VALU_DEP_2) | instskip(SKIP_1) | instid1(VALU_DEP_3)
	v_lshlrev_b32_e32 v6, 20, v6
	v_lshl_add_u32 v9, v89, 23, 0x3c000000
	v_and_b32_e32 v7, 0x80000000, v7
	s_delay_alu instid0(VALU_DEP_1)
	v_or3_b32 v6, v6, v7, v9
.LBB460_2773:                           ;   in Loop: Header=BB460_1375 Depth=1
	s_or_b32 exec_lo, exec_lo, s13
.LBB460_2774:                           ;   in Loop: Header=BB460_1375 Depth=1
	s_delay_alu instid0(SALU_CYCLE_1)
	s_or_b32 exec_lo, exec_lo, s12
.LBB460_2775:                           ;   in Loop: Header=BB460_1375 Depth=1
	s_delay_alu instid0(SALU_CYCLE_1) | instskip(NEXT) | instid1(VALU_DEP_1)
	s_or_b32 exec_lo, exec_lo, s9
	v_mul_f32_e32 v6, v26, v6
                                        ; implicit-def: $vgpr89
	s_delay_alu instid0(VALU_DEP_1) | instskip(NEXT) | instid1(VALU_DEP_1)
	v_and_b32_e32 v7, 0x7f800000, v6
	v_cmp_ne_u32_e64 s0, 0x7f800000, v7
	s_delay_alu instid0(VALU_DEP_1) | instskip(NEXT) | instid1(SALU_CYCLE_1)
	s_and_saveexec_b32 s9, s0
	s_xor_b32 s0, exec_lo, s9
; %bb.2776:                             ;   in Loop: Header=BB460_1375 Depth=1
	v_bfe_u32 v7, v6, 16, 1
	s_delay_alu instid0(VALU_DEP_1)
	v_add3_u32 v89, v6, v7, 0x7fff
                                        ; implicit-def: $vgpr6
; %bb.2777:                             ;   in Loop: Header=BB460_1375 Depth=1
	s_and_not1_saveexec_b32 s9, s0
; %bb.2778:                             ;   in Loop: Header=BB460_1375 Depth=1
	v_and_b32_e32 v7, 0xffff, v6
	v_or_b32_e32 v9, 0x10000, v6
	s_delay_alu instid0(VALU_DEP_2) | instskip(NEXT) | instid1(VALU_DEP_1)
	v_cmp_eq_u32_e64 s0, 0, v7
	v_cndmask_b32_e64 v89, v9, v6, s0
; %bb.2779:                             ;   in Loop: Header=BB460_1375 Depth=1
	s_or_b32 exec_lo, exec_lo, s9
	v_lshrrev_b32_e32 v90, 16, v3
	s_mov_b32 s9, exec_lo
	s_delay_alu instid0(VALU_DEP_1) | instskip(NEXT) | instid1(VALU_DEP_1)
	v_dual_mov_b32 v6, 0 :: v_dual_and_b32 v7, 0xff, v90
	v_cmpx_ne_u16_e32 0, v7
	s_cbranch_execz .LBB460_2787
; %bb.2780:                             ;   in Loop: Header=BB460_1375 Depth=1
	v_bfrev_b32_e32 v6, 1
	s_mov_b32 s12, exec_lo
	v_cmpx_ne_u16_e32 0x80, v7
	s_cbranch_execz .LBB460_2786
; %bb.2781:                             ;   in Loop: Header=BB460_1375 Depth=1
	v_bfe_u32 v7, v3, 16, 7
	v_mov_b32_e32 v6, 0x7f800001
	s_mov_b32 s13, exec_lo
	s_delay_alu instid0(VALU_DEP_2)
	v_cmpx_ne_u32_e32 0x7f, v7
	s_cbranch_execz .LBB460_2785
; %bb.2782:                             ;   in Loop: Header=BB460_1375 Depth=1
	v_and_b32_e32 v9, 7, v90
	v_lshrrev_b32_e32 v91, 3, v7
	v_cmp_gt_u32_e64 s0, 8, v7
	s_delay_alu instid0(VALU_DEP_3) | instskip(NEXT) | instid1(VALU_DEP_2)
	v_dual_mov_b32 v6, v9 :: v_dual_mov_b32 v7, v10
	s_and_saveexec_b32 s15, s0
; %bb.2783:                             ;   in Loop: Header=BB460_1375 Depth=1
	v_clz_i32_u32_e32 v6, v9
	s_delay_alu instid0(VALU_DEP_1) | instskip(NEXT) | instid1(VALU_DEP_1)
	v_min_u32_e32 v91, 32, v6
	v_subrev_nc_u32_e32 v6, 28, v91
	v_sub_nc_u32_e32 v91, 29, v91
	s_delay_alu instid0(VALU_DEP_2) | instskip(NEXT) | instid1(VALU_DEP_1)
	v_lshlrev_b64 v[6:7], v6, v[9:10]
	v_and_b32_e32 v6, 7, v6
; %bb.2784:                             ;   in Loop: Header=BB460_1375 Depth=1
	s_or_b32 exec_lo, exec_lo, s15
	v_lshlrev_b32_e32 v7, 24, v90
	s_delay_alu instid0(VALU_DEP_2) | instskip(SKIP_1) | instid1(VALU_DEP_3)
	v_lshlrev_b32_e32 v6, 20, v6
	v_lshl_add_u32 v9, v91, 23, 0x3c000000
	v_and_b32_e32 v7, 0x80000000, v7
	s_delay_alu instid0(VALU_DEP_1)
	v_or3_b32 v6, v6, v7, v9
.LBB460_2785:                           ;   in Loop: Header=BB460_1375 Depth=1
	s_or_b32 exec_lo, exec_lo, s13
.LBB460_2786:                           ;   in Loop: Header=BB460_1375 Depth=1
	s_delay_alu instid0(SALU_CYCLE_1)
	s_or_b32 exec_lo, exec_lo, s12
.LBB460_2787:                           ;   in Loop: Header=BB460_1375 Depth=1
	s_delay_alu instid0(SALU_CYCLE_1) | instskip(NEXT) | instid1(VALU_DEP_1)
	s_or_b32 exec_lo, exec_lo, s9
	v_mul_f32_e32 v6, v26, v6
                                        ; implicit-def: $vgpr90
	s_delay_alu instid0(VALU_DEP_1) | instskip(NEXT) | instid1(VALU_DEP_1)
	v_and_b32_e32 v7, 0x7f800000, v6
	v_cmp_ne_u32_e64 s0, 0x7f800000, v7
	s_delay_alu instid0(VALU_DEP_1) | instskip(NEXT) | instid1(SALU_CYCLE_1)
	s_and_saveexec_b32 s9, s0
	s_xor_b32 s0, exec_lo, s9
; %bb.2788:                             ;   in Loop: Header=BB460_1375 Depth=1
	v_bfe_u32 v7, v6, 16, 1
	s_delay_alu instid0(VALU_DEP_1)
	v_add3_u32 v90, v6, v7, 0x7fff
                                        ; implicit-def: $vgpr6
; %bb.2789:                             ;   in Loop: Header=BB460_1375 Depth=1
	s_and_not1_saveexec_b32 s9, s0
; %bb.2790:                             ;   in Loop: Header=BB460_1375 Depth=1
	v_and_b32_e32 v7, 0xffff, v6
	v_or_b32_e32 v9, 0x10000, v6
	s_delay_alu instid0(VALU_DEP_2) | instskip(NEXT) | instid1(VALU_DEP_1)
	v_cmp_eq_u32_e64 s0, 0, v7
	v_cndmask_b32_e64 v90, v9, v6, s0
; %bb.2791:                             ;   in Loop: Header=BB460_1375 Depth=1
	s_or_b32 exec_lo, exec_lo, s9
	v_cmp_lt_u64_e64 s0, s[2:3], v[2:3]
	v_mov_b32_e32 v2, 0
	s_delay_alu instid0(VALU_DEP_2)
	s_and_saveexec_b32 s9, s0
	s_cbranch_execz .LBB460_2799
; %bb.2792:                             ;   in Loop: Header=BB460_1375 Depth=1
	v_lshrrev_b32_e32 v6, 24, v3
	v_bfrev_b32_e32 v2, 1
	s_mov_b32 s12, exec_lo
	s_delay_alu instid0(VALU_DEP_2)
	v_cmpx_ne_u32_e32 0x80, v6
	s_cbranch_execz .LBB460_2798
; %bb.2793:                             ;   in Loop: Header=BB460_1375 Depth=1
	v_bfe_u32 v3, v3, 24, 7
	v_mov_b32_e32 v2, 0x7f800001
	s_mov_b32 s13, exec_lo
	s_delay_alu instid0(VALU_DEP_2)
	v_cmpx_ne_u32_e32 0x7f, v3
	s_cbranch_execz .LBB460_2797
; %bb.2794:                             ;   in Loop: Header=BB460_1375 Depth=1
	v_and_b32_e32 v9, 7, v6
	v_lshrrev_b32_e32 v7, 3, v3
	v_cmp_gt_u32_e64 s0, 8, v3
	s_delay_alu instid0(VALU_DEP_3) | instskip(NEXT) | instid1(VALU_DEP_2)
	v_dual_mov_b32 v2, v9 :: v_dual_mov_b32 v3, v10
	s_and_saveexec_b32 s15, s0
; %bb.2795:                             ;   in Loop: Header=BB460_1375 Depth=1
	v_clz_i32_u32_e32 v2, v9
	s_delay_alu instid0(VALU_DEP_1) | instskip(NEXT) | instid1(VALU_DEP_1)
	v_min_u32_e32 v7, 32, v2
	v_subrev_nc_u32_e32 v2, 28, v7
	v_sub_nc_u32_e32 v7, 29, v7
	s_delay_alu instid0(VALU_DEP_2) | instskip(NEXT) | instid1(VALU_DEP_1)
	v_lshlrev_b64 v[2:3], v2, v[9:10]
	v_and_b32_e32 v2, 7, v2
; %bb.2796:                             ;   in Loop: Header=BB460_1375 Depth=1
	s_or_b32 exec_lo, exec_lo, s15
	v_lshlrev_b32_e32 v3, 24, v6
	s_delay_alu instid0(VALU_DEP_2) | instskip(SKIP_1) | instid1(VALU_DEP_3)
	v_lshlrev_b32_e32 v2, 20, v2
	v_lshl_add_u32 v6, v7, 23, 0x3c000000
	v_and_b32_e32 v3, 0x80000000, v3
	s_delay_alu instid0(VALU_DEP_1)
	v_or3_b32 v2, v2, v3, v6
.LBB460_2797:                           ;   in Loop: Header=BB460_1375 Depth=1
	s_or_b32 exec_lo, exec_lo, s13
.LBB460_2798:                           ;   in Loop: Header=BB460_1375 Depth=1
	s_delay_alu instid0(SALU_CYCLE_1)
	s_or_b32 exec_lo, exec_lo, s12
.LBB460_2799:                           ;   in Loop: Header=BB460_1375 Depth=1
	s_delay_alu instid0(SALU_CYCLE_1) | instskip(NEXT) | instid1(VALU_DEP_1)
	s_or_b32 exec_lo, exec_lo, s9
	v_mul_f32_e32 v3, v26, v2
	s_delay_alu instid0(VALU_DEP_1) | instskip(NEXT) | instid1(VALU_DEP_1)
	v_and_b32_e32 v2, 0x7f800000, v3
	v_cmp_ne_u32_e64 s0, 0x7f800000, v2
                                        ; implicit-def: $vgpr2
	s_delay_alu instid0(VALU_DEP_1) | instskip(NEXT) | instid1(SALU_CYCLE_1)
	s_and_saveexec_b32 s9, s0
	s_xor_b32 s0, exec_lo, s9
; %bb.2800:                             ;   in Loop: Header=BB460_1375 Depth=1
	v_bfe_u32 v2, v3, 16, 1
	s_delay_alu instid0(VALU_DEP_1)
	v_add3_u32 v2, v3, v2, 0x7fff
                                        ; implicit-def: $vgpr3
; %bb.2801:                             ;   in Loop: Header=BB460_1375 Depth=1
	s_and_not1_saveexec_b32 s9, s0
; %bb.2802:                             ;   in Loop: Header=BB460_1375 Depth=1
	v_and_b32_e32 v2, 0xffff, v3
	v_or_b32_e32 v6, 0x10000, v3
	s_delay_alu instid0(VALU_DEP_2) | instskip(NEXT) | instid1(VALU_DEP_1)
	v_cmp_eq_u32_e64 s0, 0, v2
	v_cndmask_b32_e64 v2, v6, v3, s0
; %bb.2803:                             ;   in Loop: Header=BB460_1375 Depth=1
	s_or_b32 exec_lo, exec_lo, s9
	v_lshrrev_b32_e32 v6, 16, v89
	v_lshrrev_b32_e32 v7, 16, v88
	;; [unrolled: 1-line block ×8, first 2 shown]
	s_and_saveexec_b32 s9, vcc_lo
	s_cbranch_execz .LBB460_2805
; %bb.2804:                             ;   in Loop: Header=BB460_1375 Depth=1
	v_cmp_lt_i32_e64 s0, v66, v36
	s_delay_alu instid0(VALU_DEP_1) | instskip(SKIP_1) | instid1(VALU_DEP_1)
	v_cndmask_b32_e64 v76, 0, v76, s0
	v_cmp_lt_i32_e64 s0, v80, v36
	v_cndmask_b32_e64 v77, 0, v77, s0
	v_cmp_lt_i32_e64 s0, v71, v36
	s_delay_alu instid0(VALU_DEP_1) | instskip(SKIP_1) | instid1(VALU_DEP_1)
	v_cndmask_b32_e64 v78, 0, v78, s0
	v_cmp_lt_i32_e64 s0, v70, v36
	v_cndmask_b32_e64 v9, 0, v9, s0
	;; [unrolled: 5-line block ×4, first 2 shown]
.LBB460_2805:                           ;   in Loop: Header=BB460_1375 Depth=1
	s_or_b32 exec_lo, exec_lo, s9
	v_lshlrev_b32_e32 v76, 16, v76
	s_delay_alu instid0(VALU_DEP_1) | instskip(NEXT) | instid1(VALU_DEP_1)
	v_mul_f32_e32 v79, v81, v76
	v_and_b32_e32 v76, 0x7f800000, v79
	s_delay_alu instid0(VALU_DEP_1) | instskip(NEXT) | instid1(VALU_DEP_1)
	v_cmp_ne_u32_e64 s0, 0x7f800000, v76
                                        ; implicit-def: $vgpr76
	s_and_saveexec_b32 s9, s0
	s_delay_alu instid0(SALU_CYCLE_1)
	s_xor_b32 s0, exec_lo, s9
; %bb.2806:                             ;   in Loop: Header=BB460_1375 Depth=1
	v_bfe_u32 v76, v79, 16, 1
	s_delay_alu instid0(VALU_DEP_1)
	v_add3_u32 v76, v79, v76, 0x7fff
                                        ; implicit-def: $vgpr79
; %bb.2807:                             ;   in Loop: Header=BB460_1375 Depth=1
	s_and_not1_saveexec_b32 s9, s0
; %bb.2808:                             ;   in Loop: Header=BB460_1375 Depth=1
	v_and_b32_e32 v76, 0xffff, v79
	v_or_b32_e32 v88, 0x10000, v79
	s_delay_alu instid0(VALU_DEP_2) | instskip(NEXT) | instid1(VALU_DEP_1)
	v_cmp_eq_u32_e64 s0, 0, v76
	v_cndmask_b32_e64 v76, v88, v79, s0
; %bb.2809:                             ;   in Loop: Header=BB460_1375 Depth=1
	s_or_b32 exec_lo, exec_lo, s9
	v_lshlrev_b32_e32 v77, 16, v77
	s_delay_alu instid0(VALU_DEP_1) | instskip(NEXT) | instid1(VALU_DEP_1)
	v_mul_f32_e32 v79, v82, v77
	v_and_b32_e32 v77, 0x7f800000, v79
	s_delay_alu instid0(VALU_DEP_1) | instskip(NEXT) | instid1(VALU_DEP_1)
	v_cmp_ne_u32_e64 s0, 0x7f800000, v77
                                        ; implicit-def: $vgpr77
	s_and_saveexec_b32 s9, s0
	s_delay_alu instid0(SALU_CYCLE_1)
	s_xor_b32 s0, exec_lo, s9
; %bb.2810:                             ;   in Loop: Header=BB460_1375 Depth=1
	v_bfe_u32 v77, v79, 16, 1
	s_delay_alu instid0(VALU_DEP_1)
	v_add3_u32 v77, v79, v77, 0x7fff
                                        ; implicit-def: $vgpr79
; %bb.2811:                             ;   in Loop: Header=BB460_1375 Depth=1
	s_and_not1_saveexec_b32 s9, s0
; %bb.2812:                             ;   in Loop: Header=BB460_1375 Depth=1
	v_and_b32_e32 v77, 0xffff, v79
	v_or_b32_e32 v88, 0x10000, v79
	s_delay_alu instid0(VALU_DEP_2) | instskip(NEXT) | instid1(VALU_DEP_1)
	v_cmp_eq_u32_e64 s0, 0, v77
	v_cndmask_b32_e64 v77, v88, v79, s0
; %bb.2813:                             ;   in Loop: Header=BB460_1375 Depth=1
	s_or_b32 exec_lo, exec_lo, s9
	v_lshlrev_b32_e32 v78, 16, v78
	s_delay_alu instid0(VALU_DEP_1) | instskip(NEXT) | instid1(VALU_DEP_1)
	v_mul_f32_e32 v79, v83, v78
	v_and_b32_e32 v78, 0x7f800000, v79
	s_delay_alu instid0(VALU_DEP_1) | instskip(NEXT) | instid1(VALU_DEP_1)
	v_cmp_ne_u32_e64 s0, 0x7f800000, v78
                                        ; implicit-def: $vgpr78
	s_and_saveexec_b32 s9, s0
	s_delay_alu instid0(SALU_CYCLE_1)
	s_xor_b32 s0, exec_lo, s9
; %bb.2814:                             ;   in Loop: Header=BB460_1375 Depth=1
	v_bfe_u32 v78, v79, 16, 1
	s_delay_alu instid0(VALU_DEP_1)
	v_add3_u32 v78, v79, v78, 0x7fff
                                        ; implicit-def: $vgpr79
; %bb.2815:                             ;   in Loop: Header=BB460_1375 Depth=1
	s_and_not1_saveexec_b32 s9, s0
; %bb.2816:                             ;   in Loop: Header=BB460_1375 Depth=1
	v_and_b32_e32 v78, 0xffff, v79
	v_or_b32_e32 v88, 0x10000, v79
	s_delay_alu instid0(VALU_DEP_2) | instskip(NEXT) | instid1(VALU_DEP_1)
	v_cmp_eq_u32_e64 s0, 0, v78
	v_cndmask_b32_e64 v78, v88, v79, s0
; %bb.2817:                             ;   in Loop: Header=BB460_1375 Depth=1
	s_or_b32 exec_lo, exec_lo, s9
	v_lshlrev_b32_e32 v9, 16, v9
	s_delay_alu instid0(VALU_DEP_1) | instskip(NEXT) | instid1(VALU_DEP_1)
	v_mul_f32_e32 v9, v84, v9
	v_and_b32_e32 v79, 0x7f800000, v9
	s_delay_alu instid0(VALU_DEP_1) | instskip(NEXT) | instid1(VALU_DEP_1)
	v_cmp_ne_u32_e64 s0, 0x7f800000, v79
                                        ; implicit-def: $vgpr79
	s_and_saveexec_b32 s9, s0
	s_delay_alu instid0(SALU_CYCLE_1)
	s_xor_b32 s0, exec_lo, s9
; %bb.2818:                             ;   in Loop: Header=BB460_1375 Depth=1
	v_bfe_u32 v79, v9, 16, 1
	s_delay_alu instid0(VALU_DEP_1)
	v_add3_u32 v79, v9, v79, 0x7fff
                                        ; implicit-def: $vgpr9
; %bb.2819:                             ;   in Loop: Header=BB460_1375 Depth=1
	s_and_not1_saveexec_b32 s9, s0
; %bb.2820:                             ;   in Loop: Header=BB460_1375 Depth=1
	v_and_b32_e32 v79, 0xffff, v9
	v_or_b32_e32 v88, 0x10000, v9
	s_delay_alu instid0(VALU_DEP_2) | instskip(NEXT) | instid1(VALU_DEP_1)
	v_cmp_eq_u32_e64 s0, 0, v79
	v_cndmask_b32_e64 v79, v88, v9, s0
; %bb.2821:                             ;   in Loop: Header=BB460_1375 Depth=1
	s_or_b32 exec_lo, exec_lo, s9
	v_lshlrev_b32_e32 v7, 16, v7
                                        ; implicit-def: $vgpr88
	s_delay_alu instid0(VALU_DEP_1) | instskip(NEXT) | instid1(VALU_DEP_1)
	v_mul_f32_e32 v7, v85, v7
	v_and_b32_e32 v9, 0x7f800000, v7
	s_delay_alu instid0(VALU_DEP_1) | instskip(NEXT) | instid1(VALU_DEP_1)
	v_cmp_ne_u32_e64 s0, 0x7f800000, v9
	s_and_saveexec_b32 s9, s0
	s_delay_alu instid0(SALU_CYCLE_1)
	s_xor_b32 s0, exec_lo, s9
; %bb.2822:                             ;   in Loop: Header=BB460_1375 Depth=1
	v_bfe_u32 v9, v7, 16, 1
	s_delay_alu instid0(VALU_DEP_1)
	v_add3_u32 v88, v7, v9, 0x7fff
                                        ; implicit-def: $vgpr7
; %bb.2823:                             ;   in Loop: Header=BB460_1375 Depth=1
	s_and_not1_saveexec_b32 s9, s0
; %bb.2824:                             ;   in Loop: Header=BB460_1375 Depth=1
	v_and_b32_e32 v9, 0xffff, v7
	v_or_b32_e32 v88, 0x10000, v7
	s_delay_alu instid0(VALU_DEP_2) | instskip(NEXT) | instid1(VALU_DEP_1)
	v_cmp_eq_u32_e64 s0, 0, v9
	v_cndmask_b32_e64 v88, v88, v7, s0
; %bb.2825:                             ;   in Loop: Header=BB460_1375 Depth=1
	s_or_b32 exec_lo, exec_lo, s9
	v_lshlrev_b32_e32 v6, 16, v6
                                        ; implicit-def: $vgpr89
	s_delay_alu instid0(VALU_DEP_1) | instskip(NEXT) | instid1(VALU_DEP_1)
	v_mul_f32_e32 v6, v86, v6
	v_and_b32_e32 v7, 0x7f800000, v6
	s_delay_alu instid0(VALU_DEP_1) | instskip(NEXT) | instid1(VALU_DEP_1)
	v_cmp_ne_u32_e64 s0, 0x7f800000, v7
	s_and_saveexec_b32 s9, s0
	s_delay_alu instid0(SALU_CYCLE_1)
	s_xor_b32 s0, exec_lo, s9
; %bb.2826:                             ;   in Loop: Header=BB460_1375 Depth=1
	v_bfe_u32 v7, v6, 16, 1
	s_delay_alu instid0(VALU_DEP_1)
	v_add3_u32 v89, v6, v7, 0x7fff
                                        ; implicit-def: $vgpr6
; %bb.2827:                             ;   in Loop: Header=BB460_1375 Depth=1
	s_and_not1_saveexec_b32 s9, s0
; %bb.2828:                             ;   in Loop: Header=BB460_1375 Depth=1
	v_and_b32_e32 v7, 0xffff, v6
	v_or_b32_e32 v9, 0x10000, v6
	s_delay_alu instid0(VALU_DEP_2) | instskip(NEXT) | instid1(VALU_DEP_1)
	v_cmp_eq_u32_e64 s0, 0, v7
	v_cndmask_b32_e64 v89, v9, v6, s0
; %bb.2829:                             ;   in Loop: Header=BB460_1375 Depth=1
	s_or_b32 exec_lo, exec_lo, s9
	v_lshlrev_b32_e32 v3, 16, v3
                                        ; implicit-def: $vgpr90
	s_delay_alu instid0(VALU_DEP_1) | instskip(NEXT) | instid1(VALU_DEP_1)
	v_mul_f32_e32 v3, v87, v3
	v_and_b32_e32 v6, 0x7f800000, v3
	s_delay_alu instid0(VALU_DEP_1) | instskip(NEXT) | instid1(VALU_DEP_1)
	v_cmp_ne_u32_e64 s0, 0x7f800000, v6
	s_and_saveexec_b32 s9, s0
	s_delay_alu instid0(SALU_CYCLE_1)
	s_xor_b32 s0, exec_lo, s9
; %bb.2830:                             ;   in Loop: Header=BB460_1375 Depth=1
	v_bfe_u32 v6, v3, 16, 1
	s_delay_alu instid0(VALU_DEP_1)
	v_add3_u32 v90, v3, v6, 0x7fff
                                        ; implicit-def: $vgpr3
; %bb.2831:                             ;   in Loop: Header=BB460_1375 Depth=1
	s_and_not1_saveexec_b32 s9, s0
; %bb.2832:                             ;   in Loop: Header=BB460_1375 Depth=1
	v_and_b32_e32 v6, 0xffff, v3
	v_or_b32_e32 v7, 0x10000, v3
	s_delay_alu instid0(VALU_DEP_2) | instskip(NEXT) | instid1(VALU_DEP_1)
	v_cmp_eq_u32_e64 s0, 0, v6
	v_cndmask_b32_e64 v90, v7, v3, s0
; %bb.2833:                             ;   in Loop: Header=BB460_1375 Depth=1
	s_or_b32 exec_lo, exec_lo, s9
	v_lshlrev_b32_e32 v2, 16, v2
                                        ; implicit-def: $vgpr91
	s_delay_alu instid0(VALU_DEP_1) | instskip(NEXT) | instid1(VALU_DEP_1)
	v_mul_f32_e32 v2, v96, v2
	v_and_b32_e32 v3, 0x7f800000, v2
	s_delay_alu instid0(VALU_DEP_1) | instskip(NEXT) | instid1(VALU_DEP_1)
	v_cmp_ne_u32_e64 s0, 0x7f800000, v3
	s_and_saveexec_b32 s9, s0
	s_delay_alu instid0(SALU_CYCLE_1)
	s_xor_b32 s0, exec_lo, s9
; %bb.2834:                             ;   in Loop: Header=BB460_1375 Depth=1
	v_bfe_u32 v3, v2, 16, 1
	s_delay_alu instid0(VALU_DEP_1)
	v_add3_u32 v91, v2, v3, 0x7fff
                                        ; implicit-def: $vgpr2
; %bb.2835:                             ;   in Loop: Header=BB460_1375 Depth=1
	s_and_not1_saveexec_b32 s9, s0
; %bb.2836:                             ;   in Loop: Header=BB460_1375 Depth=1
	v_and_b32_e32 v3, 0xffff, v2
	v_or_b32_e32 v6, 0x10000, v2
	s_delay_alu instid0(VALU_DEP_2) | instskip(NEXT) | instid1(VALU_DEP_1)
	v_cmp_eq_u32_e64 s0, 0, v3
	v_cndmask_b32_e64 v91, v6, v2, s0
; %bb.2837:                             ;   in Loop: Header=BB460_1375 Depth=1
	s_or_b32 exec_lo, exec_lo, s9
	flat_load_b64 v[2:3], v[0:1] offset:2816
	s_mov_b32 s9, exec_lo
	s_waitcnt vmcnt(0) lgkmcnt(0)
	v_dual_mov_b32 v6, 0 :: v_dual_and_b32 v7, 0xff, v2
	s_delay_alu instid0(VALU_DEP_1)
	v_cmpx_ne_u16_e32 0, v7
	s_cbranch_execz .LBB460_2845
; %bb.2838:                             ;   in Loop: Header=BB460_1375 Depth=1
	v_bfrev_b32_e32 v6, 1
	s_mov_b32 s12, exec_lo
	v_cmpx_ne_u16_e32 0x80, v7
	s_cbranch_execz .LBB460_2844
; %bb.2839:                             ;   in Loop: Header=BB460_1375 Depth=1
	v_and_b32_e32 v7, 0x7f, v2
	v_mov_b32_e32 v6, 0x7f800001
	s_mov_b32 s13, exec_lo
	s_delay_alu instid0(VALU_DEP_2)
	v_cmpx_ne_u32_e32 0x7f, v7
	s_cbranch_execz .LBB460_2843
; %bb.2840:                             ;   in Loop: Header=BB460_1375 Depth=1
	v_lshrrev_b32_e32 v9, 3, v7
	v_cmp_gt_u32_e64 s0, 8, v7
	v_dual_mov_b32 v7, v3 :: v_dual_mov_b32 v6, v2
	s_delay_alu instid0(VALU_DEP_2)
	s_and_saveexec_b32 s15, s0
; %bb.2841:                             ;   in Loop: Header=BB460_1375 Depth=1
	v_and_b32_e32 v6, 7, v2
	s_delay_alu instid0(VALU_DEP_1) | instskip(NEXT) | instid1(VALU_DEP_1)
	v_clz_i32_u32_e32 v6, v6
	v_min_u32_e32 v9, 32, v6
	s_delay_alu instid0(VALU_DEP_1) | instskip(SKIP_1) | instid1(VALU_DEP_2)
	v_subrev_nc_u32_e32 v6, 28, v9
	v_sub_nc_u32_e32 v9, 29, v9
	v_lshlrev_b64 v[6:7], v6, v[2:3]
; %bb.2842:                             ;   in Loop: Header=BB460_1375 Depth=1
	s_or_b32 exec_lo, exec_lo, s15
	s_delay_alu instid0(VALU_DEP_1) | instskip(SKIP_2) | instid1(VALU_DEP_3)
	v_lshlrev_b32_e32 v6, 20, v6
	v_lshlrev_b32_e32 v7, 24, v2
	v_lshl_add_u32 v9, v9, 23, 0x3c000000
	v_and_b32_e32 v6, 0x700000, v6
	s_delay_alu instid0(VALU_DEP_3) | instskip(NEXT) | instid1(VALU_DEP_1)
	v_and_b32_e32 v7, 0x80000000, v7
	v_or3_b32 v6, v6, v7, v9
.LBB460_2843:                           ;   in Loop: Header=BB460_1375 Depth=1
	s_or_b32 exec_lo, exec_lo, s13
.LBB460_2844:                           ;   in Loop: Header=BB460_1375 Depth=1
	s_delay_alu instid0(SALU_CYCLE_1)
	s_or_b32 exec_lo, exec_lo, s12
.LBB460_2845:                           ;   in Loop: Header=BB460_1375 Depth=1
	s_delay_alu instid0(SALU_CYCLE_1) | instskip(NEXT) | instid1(VALU_DEP_1)
	s_or_b32 exec_lo, exec_lo, s9
	v_mul_f32_e32 v6, v26, v6
                                        ; implicit-def: $vgpr92
	s_delay_alu instid0(VALU_DEP_1) | instskip(NEXT) | instid1(VALU_DEP_1)
	v_and_b32_e32 v7, 0x7f800000, v6
	v_cmp_ne_u32_e64 s0, 0x7f800000, v7
	s_delay_alu instid0(VALU_DEP_1) | instskip(NEXT) | instid1(SALU_CYCLE_1)
	s_and_saveexec_b32 s9, s0
	s_xor_b32 s0, exec_lo, s9
; %bb.2846:                             ;   in Loop: Header=BB460_1375 Depth=1
	v_bfe_u32 v7, v6, 16, 1
	s_delay_alu instid0(VALU_DEP_1)
	v_add3_u32 v92, v6, v7, 0x7fff
                                        ; implicit-def: $vgpr6
; %bb.2847:                             ;   in Loop: Header=BB460_1375 Depth=1
	s_and_not1_saveexec_b32 s9, s0
; %bb.2848:                             ;   in Loop: Header=BB460_1375 Depth=1
	v_and_b32_e32 v7, 0xffff, v6
	v_or_b32_e32 v9, 0x10000, v6
	s_delay_alu instid0(VALU_DEP_2) | instskip(NEXT) | instid1(VALU_DEP_1)
	v_cmp_eq_u32_e64 s0, 0, v7
	v_cndmask_b32_e64 v92, v9, v6, s0
; %bb.2849:                             ;   in Loop: Header=BB460_1375 Depth=1
	s_or_b32 exec_lo, exec_lo, s9
	v_lshrrev_b16 v7, 8, v2
	v_mov_b32_e32 v6, 0
	s_mov_b32 s9, exec_lo
	s_delay_alu instid0(VALU_DEP_2)
	v_cmpx_ne_u16_e32 0, v7
	s_cbranch_execz .LBB460_2857
; %bb.2850:                             ;   in Loop: Header=BB460_1375 Depth=1
	v_bfrev_b32_e32 v6, 1
	s_mov_b32 s12, exec_lo
	v_cmpx_ne_u16_e32 0x80, v7
	s_cbranch_execz .LBB460_2856
; %bb.2851:                             ;   in Loop: Header=BB460_1375 Depth=1
	v_and_b32_e32 v9, 0xffff, v7
	v_mov_b32_e32 v6, 0x7f800001
	s_mov_b32 s13, exec_lo
	s_delay_alu instid0(VALU_DEP_2) | instskip(NEXT) | instid1(VALU_DEP_1)
	v_and_b32_e32 v7, 0x7f, v9
	v_cmpx_ne_u32_e32 0x7f, v7
	s_cbranch_execz .LBB460_2855
; %bb.2852:                             ;   in Loop: Header=BB460_1375 Depth=1
	v_and_b32_e32 v9, 7, v9
	v_lshrrev_b32_e32 v93, 3, v7
	v_cmp_gt_u32_e64 s0, 8, v7
	s_delay_alu instid0(VALU_DEP_3) | instskip(NEXT) | instid1(VALU_DEP_2)
	v_dual_mov_b32 v6, v9 :: v_dual_mov_b32 v7, v10
	s_and_saveexec_b32 s15, s0
; %bb.2853:                             ;   in Loop: Header=BB460_1375 Depth=1
	v_clz_i32_u32_e32 v6, v9
	s_delay_alu instid0(VALU_DEP_1) | instskip(NEXT) | instid1(VALU_DEP_1)
	v_min_u32_e32 v93, 32, v6
	v_subrev_nc_u32_e32 v6, 28, v93
	v_sub_nc_u32_e32 v93, 29, v93
	s_delay_alu instid0(VALU_DEP_2) | instskip(NEXT) | instid1(VALU_DEP_1)
	v_lshlrev_b64 v[6:7], v6, v[9:10]
	v_and_b32_e32 v6, 7, v6
; %bb.2854:                             ;   in Loop: Header=BB460_1375 Depth=1
	s_or_b32 exec_lo, exec_lo, s15
	v_lshlrev_b32_e32 v7, 16, v2
	s_delay_alu instid0(VALU_DEP_2) | instskip(SKIP_1) | instid1(VALU_DEP_3)
	v_lshlrev_b32_e32 v6, 20, v6
	v_lshl_add_u32 v9, v93, 23, 0x3c000000
	v_and_b32_e32 v7, 0x80000000, v7
	s_delay_alu instid0(VALU_DEP_1)
	v_or3_b32 v6, v6, v7, v9
.LBB460_2855:                           ;   in Loop: Header=BB460_1375 Depth=1
	s_or_b32 exec_lo, exec_lo, s13
.LBB460_2856:                           ;   in Loop: Header=BB460_1375 Depth=1
	s_delay_alu instid0(SALU_CYCLE_1)
	s_or_b32 exec_lo, exec_lo, s12
.LBB460_2857:                           ;   in Loop: Header=BB460_1375 Depth=1
	s_delay_alu instid0(SALU_CYCLE_1) | instskip(NEXT) | instid1(VALU_DEP_1)
	s_or_b32 exec_lo, exec_lo, s9
	v_mul_f32_e32 v6, v26, v6
                                        ; implicit-def: $vgpr93
	s_delay_alu instid0(VALU_DEP_1) | instskip(NEXT) | instid1(VALU_DEP_1)
	v_and_b32_e32 v7, 0x7f800000, v6
	v_cmp_ne_u32_e64 s0, 0x7f800000, v7
	s_delay_alu instid0(VALU_DEP_1) | instskip(NEXT) | instid1(SALU_CYCLE_1)
	s_and_saveexec_b32 s9, s0
	s_xor_b32 s0, exec_lo, s9
; %bb.2858:                             ;   in Loop: Header=BB460_1375 Depth=1
	v_bfe_u32 v7, v6, 16, 1
	s_delay_alu instid0(VALU_DEP_1)
	v_add3_u32 v93, v6, v7, 0x7fff
                                        ; implicit-def: $vgpr6
; %bb.2859:                             ;   in Loop: Header=BB460_1375 Depth=1
	s_and_not1_saveexec_b32 s9, s0
; %bb.2860:                             ;   in Loop: Header=BB460_1375 Depth=1
	v_and_b32_e32 v7, 0xffff, v6
	v_or_b32_e32 v9, 0x10000, v6
	s_delay_alu instid0(VALU_DEP_2) | instskip(NEXT) | instid1(VALU_DEP_1)
	v_cmp_eq_u32_e64 s0, 0, v7
	v_cndmask_b32_e64 v93, v9, v6, s0
; %bb.2861:                             ;   in Loop: Header=BB460_1375 Depth=1
	s_or_b32 exec_lo, exec_lo, s9
	v_lshrrev_b32_e32 v94, 16, v2
	s_mov_b32 s9, exec_lo
	s_delay_alu instid0(VALU_DEP_1) | instskip(NEXT) | instid1(VALU_DEP_1)
	v_dual_mov_b32 v6, 0 :: v_dual_and_b32 v7, 0xff, v94
	v_cmpx_ne_u16_e32 0, v7
	s_cbranch_execz .LBB460_2869
; %bb.2862:                             ;   in Loop: Header=BB460_1375 Depth=1
	v_bfrev_b32_e32 v6, 1
	s_mov_b32 s12, exec_lo
	v_cmpx_ne_u16_e32 0x80, v7
	s_cbranch_execz .LBB460_2868
; %bb.2863:                             ;   in Loop: Header=BB460_1375 Depth=1
	v_bfe_u32 v7, v2, 16, 7
	v_mov_b32_e32 v6, 0x7f800001
	s_mov_b32 s13, exec_lo
	s_delay_alu instid0(VALU_DEP_2)
	v_cmpx_ne_u32_e32 0x7f, v7
	s_cbranch_execz .LBB460_2867
; %bb.2864:                             ;   in Loop: Header=BB460_1375 Depth=1
	v_and_b32_e32 v9, 7, v94
	v_lshrrev_b32_e32 v95, 3, v7
	v_cmp_gt_u32_e64 s0, 8, v7
	s_delay_alu instid0(VALU_DEP_3) | instskip(NEXT) | instid1(VALU_DEP_2)
	v_dual_mov_b32 v6, v9 :: v_dual_mov_b32 v7, v10
	s_and_saveexec_b32 s15, s0
; %bb.2865:                             ;   in Loop: Header=BB460_1375 Depth=1
	v_clz_i32_u32_e32 v6, v9
	s_delay_alu instid0(VALU_DEP_1) | instskip(NEXT) | instid1(VALU_DEP_1)
	v_min_u32_e32 v95, 32, v6
	v_subrev_nc_u32_e32 v6, 28, v95
	v_sub_nc_u32_e32 v95, 29, v95
	s_delay_alu instid0(VALU_DEP_2) | instskip(NEXT) | instid1(VALU_DEP_1)
	v_lshlrev_b64 v[6:7], v6, v[9:10]
	v_and_b32_e32 v6, 7, v6
; %bb.2866:                             ;   in Loop: Header=BB460_1375 Depth=1
	s_or_b32 exec_lo, exec_lo, s15
	v_lshlrev_b32_e32 v7, 24, v94
	s_delay_alu instid0(VALU_DEP_2) | instskip(SKIP_1) | instid1(VALU_DEP_3)
	v_lshlrev_b32_e32 v6, 20, v6
	v_lshl_add_u32 v9, v95, 23, 0x3c000000
	v_and_b32_e32 v7, 0x80000000, v7
	s_delay_alu instid0(VALU_DEP_1)
	v_or3_b32 v6, v6, v7, v9
.LBB460_2867:                           ;   in Loop: Header=BB460_1375 Depth=1
	s_or_b32 exec_lo, exec_lo, s13
.LBB460_2868:                           ;   in Loop: Header=BB460_1375 Depth=1
	s_delay_alu instid0(SALU_CYCLE_1)
	s_or_b32 exec_lo, exec_lo, s12
.LBB460_2869:                           ;   in Loop: Header=BB460_1375 Depth=1
	s_delay_alu instid0(SALU_CYCLE_1) | instskip(NEXT) | instid1(VALU_DEP_1)
	s_or_b32 exec_lo, exec_lo, s9
	v_mul_f32_e32 v6, v26, v6
                                        ; implicit-def: $vgpr94
	s_delay_alu instid0(VALU_DEP_1) | instskip(NEXT) | instid1(VALU_DEP_1)
	v_and_b32_e32 v7, 0x7f800000, v6
	v_cmp_ne_u32_e64 s0, 0x7f800000, v7
	s_delay_alu instid0(VALU_DEP_1) | instskip(NEXT) | instid1(SALU_CYCLE_1)
	s_and_saveexec_b32 s9, s0
	s_xor_b32 s0, exec_lo, s9
; %bb.2870:                             ;   in Loop: Header=BB460_1375 Depth=1
	v_bfe_u32 v7, v6, 16, 1
	s_delay_alu instid0(VALU_DEP_1)
	v_add3_u32 v94, v6, v7, 0x7fff
                                        ; implicit-def: $vgpr6
; %bb.2871:                             ;   in Loop: Header=BB460_1375 Depth=1
	s_and_not1_saveexec_b32 s9, s0
; %bb.2872:                             ;   in Loop: Header=BB460_1375 Depth=1
	v_and_b32_e32 v7, 0xffff, v6
	v_or_b32_e32 v9, 0x10000, v6
	s_delay_alu instid0(VALU_DEP_2) | instskip(NEXT) | instid1(VALU_DEP_1)
	v_cmp_eq_u32_e64 s0, 0, v7
	v_cndmask_b32_e64 v94, v9, v6, s0
; %bb.2873:                             ;   in Loop: Header=BB460_1375 Depth=1
	s_or_b32 exec_lo, exec_lo, s9
	v_mov_b32_e32 v6, 0
	s_mov_b32 s9, exec_lo
	v_cmpx_lt_u32_e32 0xffffff, v2
	s_cbranch_execz .LBB460_2881
; %bb.2874:                             ;   in Loop: Header=BB460_1375 Depth=1
	v_lshrrev_b32_e32 v95, 24, v2
	v_bfrev_b32_e32 v6, 1
	s_mov_b32 s12, exec_lo
	s_delay_alu instid0(VALU_DEP_2)
	v_cmpx_ne_u32_e32 0x80, v95
	s_cbranch_execz .LBB460_2880
; %bb.2875:                             ;   in Loop: Header=BB460_1375 Depth=1
	v_bfe_u32 v7, v2, 24, 7
	v_mov_b32_e32 v6, 0x7f800001
	s_mov_b32 s13, exec_lo
	s_delay_alu instid0(VALU_DEP_2)
	v_cmpx_ne_u32_e32 0x7f, v7
	s_cbranch_execz .LBB460_2879
; %bb.2876:                             ;   in Loop: Header=BB460_1375 Depth=1
	v_and_b32_e32 v9, 7, v95
	v_lshrrev_b32_e32 v104, 3, v7
	v_cmp_gt_u32_e64 s0, 8, v7
	s_delay_alu instid0(VALU_DEP_3) | instskip(NEXT) | instid1(VALU_DEP_2)
	v_dual_mov_b32 v6, v9 :: v_dual_mov_b32 v7, v10
	s_and_saveexec_b32 s15, s0
; %bb.2877:                             ;   in Loop: Header=BB460_1375 Depth=1
	v_clz_i32_u32_e32 v6, v9
	s_delay_alu instid0(VALU_DEP_1) | instskip(NEXT) | instid1(VALU_DEP_1)
	v_min_u32_e32 v104, 32, v6
	v_subrev_nc_u32_e32 v6, 28, v104
	v_sub_nc_u32_e32 v104, 29, v104
	s_delay_alu instid0(VALU_DEP_2) | instskip(NEXT) | instid1(VALU_DEP_1)
	v_lshlrev_b64 v[6:7], v6, v[9:10]
	v_and_b32_e32 v6, 7, v6
; %bb.2878:                             ;   in Loop: Header=BB460_1375 Depth=1
	s_or_b32 exec_lo, exec_lo, s15
	v_lshlrev_b32_e32 v7, 24, v95
	s_delay_alu instid0(VALU_DEP_2) | instskip(SKIP_1) | instid1(VALU_DEP_3)
	v_lshlrev_b32_e32 v6, 20, v6
	v_lshl_add_u32 v9, v104, 23, 0x3c000000
	v_and_b32_e32 v7, 0x80000000, v7
	s_delay_alu instid0(VALU_DEP_1)
	v_or3_b32 v6, v6, v7, v9
.LBB460_2879:                           ;   in Loop: Header=BB460_1375 Depth=1
	s_or_b32 exec_lo, exec_lo, s13
.LBB460_2880:                           ;   in Loop: Header=BB460_1375 Depth=1
	s_delay_alu instid0(SALU_CYCLE_1)
	s_or_b32 exec_lo, exec_lo, s12
.LBB460_2881:                           ;   in Loop: Header=BB460_1375 Depth=1
	s_delay_alu instid0(SALU_CYCLE_1) | instskip(NEXT) | instid1(VALU_DEP_1)
	s_or_b32 exec_lo, exec_lo, s9
	v_mul_f32_e32 v6, v26, v6
                                        ; implicit-def: $vgpr95
	s_delay_alu instid0(VALU_DEP_1) | instskip(NEXT) | instid1(VALU_DEP_1)
	v_and_b32_e32 v7, 0x7f800000, v6
	v_cmp_ne_u32_e64 s0, 0x7f800000, v7
	s_delay_alu instid0(VALU_DEP_1) | instskip(NEXT) | instid1(SALU_CYCLE_1)
	s_and_saveexec_b32 s9, s0
	s_xor_b32 s0, exec_lo, s9
; %bb.2882:                             ;   in Loop: Header=BB460_1375 Depth=1
	v_bfe_u32 v7, v6, 16, 1
	s_delay_alu instid0(VALU_DEP_1)
	v_add3_u32 v95, v6, v7, 0x7fff
                                        ; implicit-def: $vgpr6
; %bb.2883:                             ;   in Loop: Header=BB460_1375 Depth=1
	s_and_not1_saveexec_b32 s9, s0
; %bb.2884:                             ;   in Loop: Header=BB460_1375 Depth=1
	v_and_b32_e32 v7, 0xffff, v6
	v_or_b32_e32 v9, 0x10000, v6
	s_delay_alu instid0(VALU_DEP_2) | instskip(NEXT) | instid1(VALU_DEP_1)
	v_cmp_eq_u32_e64 s0, 0, v7
	v_cndmask_b32_e64 v95, v9, v6, s0
; %bb.2885:                             ;   in Loop: Header=BB460_1375 Depth=1
	s_or_b32 exec_lo, exec_lo, s9
	v_dual_mov_b32 v6, 0 :: v_dual_and_b32 v7, 0xff, v3
	v_mov_b32_e32 v9, v3
	s_mov_b32 s9, exec_lo
	s_delay_alu instid0(VALU_DEP_2)
	v_cmpx_ne_u16_e32 0, v7
	s_cbranch_execz .LBB460_2893
; %bb.2886:                             ;   in Loop: Header=BB460_1375 Depth=1
	v_bfrev_b32_e32 v6, 1
	s_mov_b32 s12, exec_lo
	v_cmpx_ne_u16_e32 0x80, v7
	s_cbranch_execz .LBB460_2892
; %bb.2887:                             ;   in Loop: Header=BB460_1375 Depth=1
	v_and_b32_e32 v7, 0x7f, v3
	v_mov_b32_e32 v6, 0x7f800001
	s_mov_b32 s13, exec_lo
	s_delay_alu instid0(VALU_DEP_2)
	v_cmpx_ne_u32_e32 0x7f, v7
	s_cbranch_execz .LBB460_2891
; %bb.2888:                             ;   in Loop: Header=BB460_1375 Depth=1
	v_lshrrev_b32_e32 v104, 3, v7
	v_cmp_gt_u32_e64 s0, 8, v7
	v_dual_mov_b32 v6, v9 :: v_dual_mov_b32 v7, v10
	s_delay_alu instid0(VALU_DEP_2)
	s_and_saveexec_b32 s15, s0
; %bb.2889:                             ;   in Loop: Header=BB460_1375 Depth=1
	v_and_b32_e32 v6, 7, v3
	s_delay_alu instid0(VALU_DEP_1) | instskip(NEXT) | instid1(VALU_DEP_1)
	v_clz_i32_u32_e32 v6, v6
	v_min_u32_e32 v104, 32, v6
	s_delay_alu instid0(VALU_DEP_1) | instskip(SKIP_1) | instid1(VALU_DEP_2)
	v_subrev_nc_u32_e32 v6, 28, v104
	v_sub_nc_u32_e32 v104, 29, v104
	v_lshlrev_b64 v[6:7], v6, v[9:10]
; %bb.2890:                             ;   in Loop: Header=BB460_1375 Depth=1
	s_or_b32 exec_lo, exec_lo, s15
	s_delay_alu instid0(VALU_DEP_1) | instskip(SKIP_2) | instid1(VALU_DEP_3)
	v_lshlrev_b32_e32 v6, 20, v6
	v_lshlrev_b32_e32 v7, 24, v9
	v_lshl_add_u32 v104, v104, 23, 0x3c000000
	v_and_b32_e32 v6, 0x700000, v6
	s_delay_alu instid0(VALU_DEP_3) | instskip(NEXT) | instid1(VALU_DEP_1)
	v_and_b32_e32 v7, 0x80000000, v7
	v_or3_b32 v6, v6, v7, v104
.LBB460_2891:                           ;   in Loop: Header=BB460_1375 Depth=1
	s_or_b32 exec_lo, exec_lo, s13
.LBB460_2892:                           ;   in Loop: Header=BB460_1375 Depth=1
	s_delay_alu instid0(SALU_CYCLE_1)
	s_or_b32 exec_lo, exec_lo, s12
.LBB460_2893:                           ;   in Loop: Header=BB460_1375 Depth=1
	s_delay_alu instid0(SALU_CYCLE_1) | instskip(NEXT) | instid1(VALU_DEP_1)
	s_or_b32 exec_lo, exec_lo, s9
	v_mul_f32_e32 v6, v26, v6
                                        ; implicit-def: $vgpr104
	s_delay_alu instid0(VALU_DEP_1) | instskip(NEXT) | instid1(VALU_DEP_1)
	v_and_b32_e32 v7, 0x7f800000, v6
	v_cmp_ne_u32_e64 s0, 0x7f800000, v7
	s_delay_alu instid0(VALU_DEP_1) | instskip(NEXT) | instid1(SALU_CYCLE_1)
	s_and_saveexec_b32 s9, s0
	s_xor_b32 s0, exec_lo, s9
; %bb.2894:                             ;   in Loop: Header=BB460_1375 Depth=1
	v_bfe_u32 v7, v6, 16, 1
	s_delay_alu instid0(VALU_DEP_1)
	v_add3_u32 v104, v6, v7, 0x7fff
                                        ; implicit-def: $vgpr6
; %bb.2895:                             ;   in Loop: Header=BB460_1375 Depth=1
	s_and_not1_saveexec_b32 s9, s0
; %bb.2896:                             ;   in Loop: Header=BB460_1375 Depth=1
	v_and_b32_e32 v7, 0xffff, v6
	v_or_b32_e32 v104, 0x10000, v6
	s_delay_alu instid0(VALU_DEP_2) | instskip(NEXT) | instid1(VALU_DEP_1)
	v_cmp_eq_u32_e64 s0, 0, v7
	v_cndmask_b32_e64 v104, v104, v6, s0
; %bb.2897:                             ;   in Loop: Header=BB460_1375 Depth=1
	s_or_b32 exec_lo, exec_lo, s9
	v_lshrrev_b16 v7, 8, v9
	v_mov_b32_e32 v6, 0
	s_mov_b32 s9, exec_lo
	s_delay_alu instid0(VALU_DEP_2)
	v_cmpx_ne_u16_e32 0, v7
	s_cbranch_execz .LBB460_2905
; %bb.2898:                             ;   in Loop: Header=BB460_1375 Depth=1
	v_bfrev_b32_e32 v6, 1
	s_mov_b32 s12, exec_lo
	v_cmpx_ne_u16_e32 0x80, v7
	s_cbranch_execz .LBB460_2904
; %bb.2899:                             ;   in Loop: Header=BB460_1375 Depth=1
	v_and_b32_e32 v7, 0xffff, v7
	v_mov_b32_e32 v6, 0x7f800001
	s_mov_b32 s13, exec_lo
	s_delay_alu instid0(VALU_DEP_2) | instskip(NEXT) | instid1(VALU_DEP_1)
	v_and_b32_e32 v106, 0x7f, v7
	v_cmpx_ne_u32_e32 0x7f, v106
	s_cbranch_execz .LBB460_2903
; %bb.2900:                             ;   in Loop: Header=BB460_1375 Depth=1
	v_dual_mov_b32 v7, v10 :: v_dual_and_b32 v6, 7, v7
	v_lshrrev_b32_e32 v105, 3, v106
	s_mov_b32 s15, exec_lo
	v_cmpx_gt_u32_e32 8, v106
; %bb.2901:                             ;   in Loop: Header=BB460_1375 Depth=1
	s_delay_alu instid0(VALU_DEP_3) | instskip(NEXT) | instid1(VALU_DEP_1)
	v_clz_i32_u32_e32 v105, v6
	v_min_u32_e32 v105, 32, v105
	s_delay_alu instid0(VALU_DEP_1) | instskip(SKIP_1) | instid1(VALU_DEP_2)
	v_subrev_nc_u32_e32 v106, 28, v105
	v_sub_nc_u32_e32 v105, 29, v105
	v_lshlrev_b64 v[6:7], v106, v[6:7]
	s_delay_alu instid0(VALU_DEP_1)
	v_and_b32_e32 v6, 7, v6
; %bb.2902:                             ;   in Loop: Header=BB460_1375 Depth=1
	s_or_b32 exec_lo, exec_lo, s15
	v_lshlrev_b32_e32 v7, 16, v9
	s_delay_alu instid0(VALU_DEP_2) | instskip(SKIP_1) | instid1(VALU_DEP_3)
	v_lshlrev_b32_e32 v6, 20, v6
	v_lshl_add_u32 v9, v105, 23, 0x3c000000
	v_and_b32_e32 v7, 0x80000000, v7
	s_delay_alu instid0(VALU_DEP_1)
	v_or3_b32 v6, v6, v7, v9
.LBB460_2903:                           ;   in Loop: Header=BB460_1375 Depth=1
	s_or_b32 exec_lo, exec_lo, s13
.LBB460_2904:                           ;   in Loop: Header=BB460_1375 Depth=1
	s_delay_alu instid0(SALU_CYCLE_1)
	s_or_b32 exec_lo, exec_lo, s12
.LBB460_2905:                           ;   in Loop: Header=BB460_1375 Depth=1
	s_delay_alu instid0(SALU_CYCLE_1) | instskip(NEXT) | instid1(VALU_DEP_1)
	s_or_b32 exec_lo, exec_lo, s9
	v_mul_f32_e32 v6, v26, v6
                                        ; implicit-def: $vgpr105
	s_delay_alu instid0(VALU_DEP_1) | instskip(NEXT) | instid1(VALU_DEP_1)
	v_and_b32_e32 v7, 0x7f800000, v6
	v_cmp_ne_u32_e64 s0, 0x7f800000, v7
	s_delay_alu instid0(VALU_DEP_1) | instskip(NEXT) | instid1(SALU_CYCLE_1)
	s_and_saveexec_b32 s9, s0
	s_xor_b32 s0, exec_lo, s9
; %bb.2906:                             ;   in Loop: Header=BB460_1375 Depth=1
	v_bfe_u32 v7, v6, 16, 1
	s_delay_alu instid0(VALU_DEP_1)
	v_add3_u32 v105, v6, v7, 0x7fff
                                        ; implicit-def: $vgpr6
; %bb.2907:                             ;   in Loop: Header=BB460_1375 Depth=1
	s_and_not1_saveexec_b32 s9, s0
; %bb.2908:                             ;   in Loop: Header=BB460_1375 Depth=1
	v_and_b32_e32 v7, 0xffff, v6
	v_or_b32_e32 v9, 0x10000, v6
	s_delay_alu instid0(VALU_DEP_2) | instskip(NEXT) | instid1(VALU_DEP_1)
	v_cmp_eq_u32_e64 s0, 0, v7
	v_cndmask_b32_e64 v105, v9, v6, s0
; %bb.2909:                             ;   in Loop: Header=BB460_1375 Depth=1
	s_or_b32 exec_lo, exec_lo, s9
	v_lshrrev_b32_e32 v106, 16, v3
	s_mov_b32 s9, exec_lo
	s_delay_alu instid0(VALU_DEP_1) | instskip(NEXT) | instid1(VALU_DEP_1)
	v_dual_mov_b32 v6, 0 :: v_dual_and_b32 v7, 0xff, v106
	v_cmpx_ne_u16_e32 0, v7
	s_cbranch_execz .LBB460_2917
; %bb.2910:                             ;   in Loop: Header=BB460_1375 Depth=1
	v_bfrev_b32_e32 v6, 1
	s_mov_b32 s12, exec_lo
	v_cmpx_ne_u16_e32 0x80, v7
	s_cbranch_execz .LBB460_2916
; %bb.2911:                             ;   in Loop: Header=BB460_1375 Depth=1
	v_bfe_u32 v7, v3, 16, 7
	v_mov_b32_e32 v6, 0x7f800001
	s_mov_b32 s13, exec_lo
	s_delay_alu instid0(VALU_DEP_2)
	v_cmpx_ne_u32_e32 0x7f, v7
	s_cbranch_execz .LBB460_2915
; %bb.2912:                             ;   in Loop: Header=BB460_1375 Depth=1
	v_and_b32_e32 v9, 7, v106
	v_lshrrev_b32_e32 v107, 3, v7
	v_cmp_gt_u32_e64 s0, 8, v7
	s_delay_alu instid0(VALU_DEP_3) | instskip(NEXT) | instid1(VALU_DEP_2)
	v_dual_mov_b32 v6, v9 :: v_dual_mov_b32 v7, v10
	s_and_saveexec_b32 s15, s0
; %bb.2913:                             ;   in Loop: Header=BB460_1375 Depth=1
	v_clz_i32_u32_e32 v6, v9
	s_delay_alu instid0(VALU_DEP_1) | instskip(NEXT) | instid1(VALU_DEP_1)
	v_min_u32_e32 v107, 32, v6
	v_subrev_nc_u32_e32 v6, 28, v107
	v_sub_nc_u32_e32 v107, 29, v107
	s_delay_alu instid0(VALU_DEP_2) | instskip(NEXT) | instid1(VALU_DEP_1)
	v_lshlrev_b64 v[6:7], v6, v[9:10]
	v_and_b32_e32 v6, 7, v6
; %bb.2914:                             ;   in Loop: Header=BB460_1375 Depth=1
	s_or_b32 exec_lo, exec_lo, s15
	v_lshlrev_b32_e32 v7, 24, v106
	s_delay_alu instid0(VALU_DEP_2) | instskip(SKIP_1) | instid1(VALU_DEP_3)
	v_lshlrev_b32_e32 v6, 20, v6
	v_lshl_add_u32 v9, v107, 23, 0x3c000000
	v_and_b32_e32 v7, 0x80000000, v7
	s_delay_alu instid0(VALU_DEP_1)
	v_or3_b32 v6, v6, v7, v9
.LBB460_2915:                           ;   in Loop: Header=BB460_1375 Depth=1
	s_or_b32 exec_lo, exec_lo, s13
.LBB460_2916:                           ;   in Loop: Header=BB460_1375 Depth=1
	s_delay_alu instid0(SALU_CYCLE_1)
	s_or_b32 exec_lo, exec_lo, s12
.LBB460_2917:                           ;   in Loop: Header=BB460_1375 Depth=1
	s_delay_alu instid0(SALU_CYCLE_1) | instskip(NEXT) | instid1(VALU_DEP_1)
	s_or_b32 exec_lo, exec_lo, s9
	v_mul_f32_e32 v6, v26, v6
                                        ; implicit-def: $vgpr106
	s_delay_alu instid0(VALU_DEP_1) | instskip(NEXT) | instid1(VALU_DEP_1)
	v_and_b32_e32 v7, 0x7f800000, v6
	v_cmp_ne_u32_e64 s0, 0x7f800000, v7
	s_delay_alu instid0(VALU_DEP_1) | instskip(NEXT) | instid1(SALU_CYCLE_1)
	s_and_saveexec_b32 s9, s0
	s_xor_b32 s0, exec_lo, s9
; %bb.2918:                             ;   in Loop: Header=BB460_1375 Depth=1
	v_bfe_u32 v7, v6, 16, 1
	s_delay_alu instid0(VALU_DEP_1)
	v_add3_u32 v106, v6, v7, 0x7fff
                                        ; implicit-def: $vgpr6
; %bb.2919:                             ;   in Loop: Header=BB460_1375 Depth=1
	s_and_not1_saveexec_b32 s9, s0
; %bb.2920:                             ;   in Loop: Header=BB460_1375 Depth=1
	v_and_b32_e32 v7, 0xffff, v6
	v_or_b32_e32 v9, 0x10000, v6
	s_delay_alu instid0(VALU_DEP_2) | instskip(NEXT) | instid1(VALU_DEP_1)
	v_cmp_eq_u32_e64 s0, 0, v7
	v_cndmask_b32_e64 v106, v9, v6, s0
; %bb.2921:                             ;   in Loop: Header=BB460_1375 Depth=1
	s_or_b32 exec_lo, exec_lo, s9
	v_cmp_lt_u64_e64 s0, s[2:3], v[2:3]
	v_mov_b32_e32 v2, 0
	s_delay_alu instid0(VALU_DEP_2)
	s_and_saveexec_b32 s9, s0
	s_cbranch_execz .LBB460_2929
; %bb.2922:                             ;   in Loop: Header=BB460_1375 Depth=1
	v_lshrrev_b32_e32 v6, 24, v3
	v_bfrev_b32_e32 v2, 1
	s_mov_b32 s12, exec_lo
	s_delay_alu instid0(VALU_DEP_2)
	v_cmpx_ne_u32_e32 0x80, v6
	s_cbranch_execz .LBB460_2928
; %bb.2923:                             ;   in Loop: Header=BB460_1375 Depth=1
	v_bfe_u32 v3, v3, 24, 7
	v_mov_b32_e32 v2, 0x7f800001
	s_mov_b32 s13, exec_lo
	s_delay_alu instid0(VALU_DEP_2)
	v_cmpx_ne_u32_e32 0x7f, v3
	s_cbranch_execz .LBB460_2927
; %bb.2924:                             ;   in Loop: Header=BB460_1375 Depth=1
	v_and_b32_e32 v9, 7, v6
	v_lshrrev_b32_e32 v7, 3, v3
	v_cmp_gt_u32_e64 s0, 8, v3
	s_delay_alu instid0(VALU_DEP_3) | instskip(NEXT) | instid1(VALU_DEP_2)
	v_dual_mov_b32 v2, v9 :: v_dual_mov_b32 v3, v10
	s_and_saveexec_b32 s15, s0
; %bb.2925:                             ;   in Loop: Header=BB460_1375 Depth=1
	v_clz_i32_u32_e32 v2, v9
	s_delay_alu instid0(VALU_DEP_1) | instskip(NEXT) | instid1(VALU_DEP_1)
	v_min_u32_e32 v7, 32, v2
	v_subrev_nc_u32_e32 v2, 28, v7
	v_sub_nc_u32_e32 v7, 29, v7
	s_delay_alu instid0(VALU_DEP_2) | instskip(NEXT) | instid1(VALU_DEP_1)
	v_lshlrev_b64 v[2:3], v2, v[9:10]
	v_and_b32_e32 v2, 7, v2
; %bb.2926:                             ;   in Loop: Header=BB460_1375 Depth=1
	s_or_b32 exec_lo, exec_lo, s15
	v_lshlrev_b32_e32 v3, 24, v6
	s_delay_alu instid0(VALU_DEP_2) | instskip(SKIP_1) | instid1(VALU_DEP_3)
	v_lshlrev_b32_e32 v2, 20, v2
	v_lshl_add_u32 v6, v7, 23, 0x3c000000
	v_and_b32_e32 v3, 0x80000000, v3
	s_delay_alu instid0(VALU_DEP_1)
	v_or3_b32 v2, v2, v3, v6
.LBB460_2927:                           ;   in Loop: Header=BB460_1375 Depth=1
	s_or_b32 exec_lo, exec_lo, s13
.LBB460_2928:                           ;   in Loop: Header=BB460_1375 Depth=1
	s_delay_alu instid0(SALU_CYCLE_1)
	s_or_b32 exec_lo, exec_lo, s12
.LBB460_2929:                           ;   in Loop: Header=BB460_1375 Depth=1
	s_delay_alu instid0(SALU_CYCLE_1) | instskip(NEXT) | instid1(VALU_DEP_1)
	s_or_b32 exec_lo, exec_lo, s9
	v_mul_f32_e32 v3, v26, v2
	s_delay_alu instid0(VALU_DEP_1) | instskip(NEXT) | instid1(VALU_DEP_1)
	v_and_b32_e32 v2, 0x7f800000, v3
	v_cmp_ne_u32_e64 s0, 0x7f800000, v2
                                        ; implicit-def: $vgpr2
	s_delay_alu instid0(VALU_DEP_1) | instskip(NEXT) | instid1(SALU_CYCLE_1)
	s_and_saveexec_b32 s9, s0
	s_xor_b32 s0, exec_lo, s9
; %bb.2930:                             ;   in Loop: Header=BB460_1375 Depth=1
	v_bfe_u32 v2, v3, 16, 1
	s_delay_alu instid0(VALU_DEP_1)
	v_add3_u32 v2, v3, v2, 0x7fff
                                        ; implicit-def: $vgpr3
; %bb.2931:                             ;   in Loop: Header=BB460_1375 Depth=1
	s_and_not1_saveexec_b32 s9, s0
; %bb.2932:                             ;   in Loop: Header=BB460_1375 Depth=1
	v_and_b32_e32 v2, 0xffff, v3
	v_or_b32_e32 v6, 0x10000, v3
	s_delay_alu instid0(VALU_DEP_2) | instskip(NEXT) | instid1(VALU_DEP_1)
	v_cmp_eq_u32_e64 s0, 0, v2
	v_cndmask_b32_e64 v2, v6, v3, s0
; %bb.2933:                             ;   in Loop: Header=BB460_1375 Depth=1
	s_or_b32 exec_lo, exec_lo, s9
	v_lshrrev_b32_e32 v6, 16, v105
	v_lshrrev_b32_e32 v7, 16, v104
	;; [unrolled: 1-line block ×8, first 2 shown]
	s_and_saveexec_b32 s9, vcc_lo
	s_cbranch_execz .LBB460_2935
; %bb.2934:                             ;   in Loop: Header=BB460_1375 Depth=1
	v_cmp_lt_i32_e64 s0, v66, v36
	s_delay_alu instid0(VALU_DEP_1) | instskip(SKIP_1) | instid1(VALU_DEP_1)
	v_cndmask_b32_e64 v92, 0, v92, s0
	v_cmp_lt_i32_e64 s0, v80, v36
	v_cndmask_b32_e64 v93, 0, v93, s0
	v_cmp_lt_i32_e64 s0, v71, v36
	s_delay_alu instid0(VALU_DEP_1) | instskip(SKIP_1) | instid1(VALU_DEP_1)
	v_cndmask_b32_e64 v94, 0, v94, s0
	v_cmp_lt_i32_e64 s0, v70, v36
	v_cndmask_b32_e64 v9, 0, v9, s0
	v_cmp_lt_i32_e64 s0, v69, v36
	s_delay_alu instid0(VALU_DEP_1) | instskip(SKIP_1) | instid1(VALU_DEP_1)
	v_cndmask_b32_e64 v7, 0, v7, s0
	v_cmp_lt_i32_e64 s0, v68, v36
	v_cndmask_b32_e64 v6, 0, v6, s0
	v_cmp_lt_i32_e64 s0, v67, v36
	s_delay_alu instid0(VALU_DEP_1) | instskip(SKIP_1) | instid1(VALU_DEP_1)
	v_cndmask_b32_e64 v3, 0, v3, s0
	v_cmp_lt_i32_e64 s0, v15, v36
	v_cndmask_b32_e64 v2, 0, v2, s0
.LBB460_2935:                           ;   in Loop: Header=BB460_1375 Depth=1
	s_or_b32 exec_lo, exec_lo, s9
	v_lshlrev_b32_e32 v92, 16, v92
	s_delay_alu instid0(VALU_DEP_1) | instskip(NEXT) | instid1(VALU_DEP_1)
	v_mul_f32_e32 v95, v81, v92
	v_and_b32_e32 v92, 0x7f800000, v95
	s_delay_alu instid0(VALU_DEP_1) | instskip(NEXT) | instid1(VALU_DEP_1)
	v_cmp_ne_u32_e64 s0, 0x7f800000, v92
                                        ; implicit-def: $vgpr92
	s_and_saveexec_b32 s9, s0
	s_delay_alu instid0(SALU_CYCLE_1)
	s_xor_b32 s0, exec_lo, s9
; %bb.2936:                             ;   in Loop: Header=BB460_1375 Depth=1
	v_bfe_u32 v92, v95, 16, 1
	s_delay_alu instid0(VALU_DEP_1)
	v_add3_u32 v92, v95, v92, 0x7fff
                                        ; implicit-def: $vgpr95
; %bb.2937:                             ;   in Loop: Header=BB460_1375 Depth=1
	s_and_not1_saveexec_b32 s9, s0
; %bb.2938:                             ;   in Loop: Header=BB460_1375 Depth=1
	v_and_b32_e32 v92, 0xffff, v95
	v_or_b32_e32 v104, 0x10000, v95
	s_delay_alu instid0(VALU_DEP_2) | instskip(NEXT) | instid1(VALU_DEP_1)
	v_cmp_eq_u32_e64 s0, 0, v92
	v_cndmask_b32_e64 v92, v104, v95, s0
; %bb.2939:                             ;   in Loop: Header=BB460_1375 Depth=1
	s_or_b32 exec_lo, exec_lo, s9
	v_lshlrev_b32_e32 v93, 16, v93
	s_delay_alu instid0(VALU_DEP_1) | instskip(NEXT) | instid1(VALU_DEP_1)
	v_mul_f32_e32 v95, v82, v93
	v_and_b32_e32 v93, 0x7f800000, v95
	s_delay_alu instid0(VALU_DEP_1) | instskip(NEXT) | instid1(VALU_DEP_1)
	v_cmp_ne_u32_e64 s0, 0x7f800000, v93
                                        ; implicit-def: $vgpr93
	s_and_saveexec_b32 s9, s0
	s_delay_alu instid0(SALU_CYCLE_1)
	s_xor_b32 s0, exec_lo, s9
; %bb.2940:                             ;   in Loop: Header=BB460_1375 Depth=1
	v_bfe_u32 v93, v95, 16, 1
	s_delay_alu instid0(VALU_DEP_1)
	v_add3_u32 v93, v95, v93, 0x7fff
                                        ; implicit-def: $vgpr95
; %bb.2941:                             ;   in Loop: Header=BB460_1375 Depth=1
	s_and_not1_saveexec_b32 s9, s0
; %bb.2942:                             ;   in Loop: Header=BB460_1375 Depth=1
	v_and_b32_e32 v93, 0xffff, v95
	v_or_b32_e32 v104, 0x10000, v95
	s_delay_alu instid0(VALU_DEP_2) | instskip(NEXT) | instid1(VALU_DEP_1)
	v_cmp_eq_u32_e64 s0, 0, v93
	v_cndmask_b32_e64 v93, v104, v95, s0
; %bb.2943:                             ;   in Loop: Header=BB460_1375 Depth=1
	s_or_b32 exec_lo, exec_lo, s9
	v_lshlrev_b32_e32 v94, 16, v94
	s_delay_alu instid0(VALU_DEP_1) | instskip(NEXT) | instid1(VALU_DEP_1)
	v_mul_f32_e32 v95, v83, v94
	v_and_b32_e32 v94, 0x7f800000, v95
	s_delay_alu instid0(VALU_DEP_1) | instskip(NEXT) | instid1(VALU_DEP_1)
	v_cmp_ne_u32_e64 s0, 0x7f800000, v94
                                        ; implicit-def: $vgpr94
	s_and_saveexec_b32 s9, s0
	s_delay_alu instid0(SALU_CYCLE_1)
	s_xor_b32 s0, exec_lo, s9
; %bb.2944:                             ;   in Loop: Header=BB460_1375 Depth=1
	v_bfe_u32 v94, v95, 16, 1
	s_delay_alu instid0(VALU_DEP_1)
	v_add3_u32 v94, v95, v94, 0x7fff
                                        ; implicit-def: $vgpr95
; %bb.2945:                             ;   in Loop: Header=BB460_1375 Depth=1
	s_and_not1_saveexec_b32 s9, s0
; %bb.2946:                             ;   in Loop: Header=BB460_1375 Depth=1
	v_and_b32_e32 v94, 0xffff, v95
	v_or_b32_e32 v104, 0x10000, v95
	s_delay_alu instid0(VALU_DEP_2) | instskip(NEXT) | instid1(VALU_DEP_1)
	v_cmp_eq_u32_e64 s0, 0, v94
	v_cndmask_b32_e64 v94, v104, v95, s0
; %bb.2947:                             ;   in Loop: Header=BB460_1375 Depth=1
	s_or_b32 exec_lo, exec_lo, s9
	v_lshlrev_b32_e32 v9, 16, v9
	s_delay_alu instid0(VALU_DEP_1) | instskip(NEXT) | instid1(VALU_DEP_1)
	v_mul_f32_e32 v9, v84, v9
	v_and_b32_e32 v95, 0x7f800000, v9
	s_delay_alu instid0(VALU_DEP_1) | instskip(NEXT) | instid1(VALU_DEP_1)
	v_cmp_ne_u32_e64 s0, 0x7f800000, v95
                                        ; implicit-def: $vgpr95
	s_and_saveexec_b32 s9, s0
	s_delay_alu instid0(SALU_CYCLE_1)
	s_xor_b32 s0, exec_lo, s9
; %bb.2948:                             ;   in Loop: Header=BB460_1375 Depth=1
	v_bfe_u32 v95, v9, 16, 1
	s_delay_alu instid0(VALU_DEP_1)
	v_add3_u32 v95, v9, v95, 0x7fff
                                        ; implicit-def: $vgpr9
; %bb.2949:                             ;   in Loop: Header=BB460_1375 Depth=1
	s_and_not1_saveexec_b32 s9, s0
; %bb.2950:                             ;   in Loop: Header=BB460_1375 Depth=1
	v_and_b32_e32 v95, 0xffff, v9
	v_or_b32_e32 v104, 0x10000, v9
	s_delay_alu instid0(VALU_DEP_2) | instskip(NEXT) | instid1(VALU_DEP_1)
	v_cmp_eq_u32_e64 s0, 0, v95
	v_cndmask_b32_e64 v95, v104, v9, s0
; %bb.2951:                             ;   in Loop: Header=BB460_1375 Depth=1
	s_or_b32 exec_lo, exec_lo, s9
	v_lshlrev_b32_e32 v7, 16, v7
                                        ; implicit-def: $vgpr104
	s_delay_alu instid0(VALU_DEP_1) | instskip(NEXT) | instid1(VALU_DEP_1)
	v_mul_f32_e32 v7, v85, v7
	v_and_b32_e32 v9, 0x7f800000, v7
	s_delay_alu instid0(VALU_DEP_1) | instskip(NEXT) | instid1(VALU_DEP_1)
	v_cmp_ne_u32_e64 s0, 0x7f800000, v9
	s_and_saveexec_b32 s9, s0
	s_delay_alu instid0(SALU_CYCLE_1)
	s_xor_b32 s0, exec_lo, s9
; %bb.2952:                             ;   in Loop: Header=BB460_1375 Depth=1
	v_bfe_u32 v9, v7, 16, 1
	s_delay_alu instid0(VALU_DEP_1)
	v_add3_u32 v104, v7, v9, 0x7fff
                                        ; implicit-def: $vgpr7
; %bb.2953:                             ;   in Loop: Header=BB460_1375 Depth=1
	s_and_not1_saveexec_b32 s9, s0
; %bb.2954:                             ;   in Loop: Header=BB460_1375 Depth=1
	v_and_b32_e32 v9, 0xffff, v7
	v_or_b32_e32 v104, 0x10000, v7
	s_delay_alu instid0(VALU_DEP_2) | instskip(NEXT) | instid1(VALU_DEP_1)
	v_cmp_eq_u32_e64 s0, 0, v9
	v_cndmask_b32_e64 v104, v104, v7, s0
; %bb.2955:                             ;   in Loop: Header=BB460_1375 Depth=1
	s_or_b32 exec_lo, exec_lo, s9
	v_lshlrev_b32_e32 v6, 16, v6
                                        ; implicit-def: $vgpr105
	s_delay_alu instid0(VALU_DEP_1) | instskip(NEXT) | instid1(VALU_DEP_1)
	v_mul_f32_e32 v6, v86, v6
	v_and_b32_e32 v7, 0x7f800000, v6
	s_delay_alu instid0(VALU_DEP_1) | instskip(NEXT) | instid1(VALU_DEP_1)
	v_cmp_ne_u32_e64 s0, 0x7f800000, v7
	s_and_saveexec_b32 s9, s0
	s_delay_alu instid0(SALU_CYCLE_1)
	s_xor_b32 s0, exec_lo, s9
; %bb.2956:                             ;   in Loop: Header=BB460_1375 Depth=1
	v_bfe_u32 v7, v6, 16, 1
	s_delay_alu instid0(VALU_DEP_1)
	v_add3_u32 v105, v6, v7, 0x7fff
                                        ; implicit-def: $vgpr6
; %bb.2957:                             ;   in Loop: Header=BB460_1375 Depth=1
	s_and_not1_saveexec_b32 s9, s0
; %bb.2958:                             ;   in Loop: Header=BB460_1375 Depth=1
	v_and_b32_e32 v7, 0xffff, v6
	v_or_b32_e32 v9, 0x10000, v6
	s_delay_alu instid0(VALU_DEP_2) | instskip(NEXT) | instid1(VALU_DEP_1)
	v_cmp_eq_u32_e64 s0, 0, v7
	v_cndmask_b32_e64 v105, v9, v6, s0
; %bb.2959:                             ;   in Loop: Header=BB460_1375 Depth=1
	s_or_b32 exec_lo, exec_lo, s9
	v_lshlrev_b32_e32 v3, 16, v3
                                        ; implicit-def: $vgpr106
	s_delay_alu instid0(VALU_DEP_1) | instskip(NEXT) | instid1(VALU_DEP_1)
	v_mul_f32_e32 v3, v87, v3
	v_and_b32_e32 v6, 0x7f800000, v3
	s_delay_alu instid0(VALU_DEP_1) | instskip(NEXT) | instid1(VALU_DEP_1)
	v_cmp_ne_u32_e64 s0, 0x7f800000, v6
	s_and_saveexec_b32 s9, s0
	s_delay_alu instid0(SALU_CYCLE_1)
	s_xor_b32 s0, exec_lo, s9
; %bb.2960:                             ;   in Loop: Header=BB460_1375 Depth=1
	v_bfe_u32 v6, v3, 16, 1
	s_delay_alu instid0(VALU_DEP_1)
	v_add3_u32 v106, v3, v6, 0x7fff
                                        ; implicit-def: $vgpr3
; %bb.2961:                             ;   in Loop: Header=BB460_1375 Depth=1
	s_and_not1_saveexec_b32 s9, s0
; %bb.2962:                             ;   in Loop: Header=BB460_1375 Depth=1
	v_and_b32_e32 v6, 0xffff, v3
	v_or_b32_e32 v7, 0x10000, v3
	s_delay_alu instid0(VALU_DEP_2) | instskip(NEXT) | instid1(VALU_DEP_1)
	v_cmp_eq_u32_e64 s0, 0, v6
	v_cndmask_b32_e64 v106, v7, v3, s0
; %bb.2963:                             ;   in Loop: Header=BB460_1375 Depth=1
	s_or_b32 exec_lo, exec_lo, s9
	v_lshlrev_b32_e32 v2, 16, v2
                                        ; implicit-def: $vgpr107
	s_delay_alu instid0(VALU_DEP_1) | instskip(NEXT) | instid1(VALU_DEP_1)
	v_mul_f32_e32 v2, v96, v2
	v_and_b32_e32 v3, 0x7f800000, v2
	s_delay_alu instid0(VALU_DEP_1) | instskip(NEXT) | instid1(VALU_DEP_1)
	v_cmp_ne_u32_e64 s0, 0x7f800000, v3
	s_and_saveexec_b32 s9, s0
	s_delay_alu instid0(SALU_CYCLE_1)
	s_xor_b32 s0, exec_lo, s9
; %bb.2964:                             ;   in Loop: Header=BB460_1375 Depth=1
	v_bfe_u32 v3, v2, 16, 1
	s_delay_alu instid0(VALU_DEP_1)
	v_add3_u32 v107, v2, v3, 0x7fff
                                        ; implicit-def: $vgpr2
; %bb.2965:                             ;   in Loop: Header=BB460_1375 Depth=1
	s_and_not1_saveexec_b32 s9, s0
; %bb.2966:                             ;   in Loop: Header=BB460_1375 Depth=1
	v_and_b32_e32 v3, 0xffff, v2
	v_or_b32_e32 v6, 0x10000, v2
	s_delay_alu instid0(VALU_DEP_2) | instskip(NEXT) | instid1(VALU_DEP_1)
	v_cmp_eq_u32_e64 s0, 0, v3
	v_cndmask_b32_e64 v107, v6, v2, s0
; %bb.2967:                             ;   in Loop: Header=BB460_1375 Depth=1
	s_or_b32 exec_lo, exec_lo, s9
	flat_load_b64 v[2:3], v[0:1] offset:3072
	s_mov_b32 s9, exec_lo
	s_waitcnt vmcnt(0) lgkmcnt(0)
	v_dual_mov_b32 v6, 0 :: v_dual_and_b32 v7, 0xff, v2
	s_delay_alu instid0(VALU_DEP_1)
	v_cmpx_ne_u16_e32 0, v7
	s_cbranch_execz .LBB460_2975
; %bb.2968:                             ;   in Loop: Header=BB460_1375 Depth=1
	v_bfrev_b32_e32 v6, 1
	s_mov_b32 s12, exec_lo
	v_cmpx_ne_u16_e32 0x80, v7
	s_cbranch_execz .LBB460_2974
; %bb.2969:                             ;   in Loop: Header=BB460_1375 Depth=1
	v_and_b32_e32 v7, 0x7f, v2
	v_mov_b32_e32 v6, 0x7f800001
	s_mov_b32 s13, exec_lo
	s_delay_alu instid0(VALU_DEP_2)
	v_cmpx_ne_u32_e32 0x7f, v7
	s_cbranch_execz .LBB460_2973
; %bb.2970:                             ;   in Loop: Header=BB460_1375 Depth=1
	v_lshrrev_b32_e32 v9, 3, v7
	v_cmp_gt_u32_e64 s0, 8, v7
	v_dual_mov_b32 v7, v3 :: v_dual_mov_b32 v6, v2
	s_delay_alu instid0(VALU_DEP_2)
	s_and_saveexec_b32 s15, s0
; %bb.2971:                             ;   in Loop: Header=BB460_1375 Depth=1
	v_and_b32_e32 v6, 7, v2
	s_delay_alu instid0(VALU_DEP_1) | instskip(NEXT) | instid1(VALU_DEP_1)
	v_clz_i32_u32_e32 v6, v6
	v_min_u32_e32 v9, 32, v6
	s_delay_alu instid0(VALU_DEP_1) | instskip(SKIP_1) | instid1(VALU_DEP_2)
	v_subrev_nc_u32_e32 v6, 28, v9
	v_sub_nc_u32_e32 v9, 29, v9
	v_lshlrev_b64 v[6:7], v6, v[2:3]
; %bb.2972:                             ;   in Loop: Header=BB460_1375 Depth=1
	s_or_b32 exec_lo, exec_lo, s15
	s_delay_alu instid0(VALU_DEP_1) | instskip(SKIP_2) | instid1(VALU_DEP_3)
	v_lshlrev_b32_e32 v6, 20, v6
	v_lshlrev_b32_e32 v7, 24, v2
	v_lshl_add_u32 v9, v9, 23, 0x3c000000
	v_and_b32_e32 v6, 0x700000, v6
	s_delay_alu instid0(VALU_DEP_3) | instskip(NEXT) | instid1(VALU_DEP_1)
	v_and_b32_e32 v7, 0x80000000, v7
	v_or3_b32 v6, v6, v7, v9
.LBB460_2973:                           ;   in Loop: Header=BB460_1375 Depth=1
	s_or_b32 exec_lo, exec_lo, s13
.LBB460_2974:                           ;   in Loop: Header=BB460_1375 Depth=1
	s_delay_alu instid0(SALU_CYCLE_1)
	s_or_b32 exec_lo, exec_lo, s12
.LBB460_2975:                           ;   in Loop: Header=BB460_1375 Depth=1
	s_delay_alu instid0(SALU_CYCLE_1) | instskip(NEXT) | instid1(VALU_DEP_1)
	s_or_b32 exec_lo, exec_lo, s9
	v_mul_f32_e32 v6, v26, v6
                                        ; implicit-def: $vgpr108
	s_delay_alu instid0(VALU_DEP_1) | instskip(NEXT) | instid1(VALU_DEP_1)
	v_and_b32_e32 v7, 0x7f800000, v6
	v_cmp_ne_u32_e64 s0, 0x7f800000, v7
	s_delay_alu instid0(VALU_DEP_1) | instskip(NEXT) | instid1(SALU_CYCLE_1)
	s_and_saveexec_b32 s9, s0
	s_xor_b32 s0, exec_lo, s9
; %bb.2976:                             ;   in Loop: Header=BB460_1375 Depth=1
	v_bfe_u32 v7, v6, 16, 1
	s_delay_alu instid0(VALU_DEP_1)
	v_add3_u32 v108, v6, v7, 0x7fff
                                        ; implicit-def: $vgpr6
; %bb.2977:                             ;   in Loop: Header=BB460_1375 Depth=1
	s_and_not1_saveexec_b32 s9, s0
; %bb.2978:                             ;   in Loop: Header=BB460_1375 Depth=1
	v_and_b32_e32 v7, 0xffff, v6
	v_or_b32_e32 v9, 0x10000, v6
	s_delay_alu instid0(VALU_DEP_2) | instskip(NEXT) | instid1(VALU_DEP_1)
	v_cmp_eq_u32_e64 s0, 0, v7
	v_cndmask_b32_e64 v108, v9, v6, s0
; %bb.2979:                             ;   in Loop: Header=BB460_1375 Depth=1
	s_or_b32 exec_lo, exec_lo, s9
	v_lshrrev_b16 v7, 8, v2
	v_mov_b32_e32 v6, 0
	s_mov_b32 s9, exec_lo
	s_delay_alu instid0(VALU_DEP_2)
	v_cmpx_ne_u16_e32 0, v7
	s_cbranch_execz .LBB460_2987
; %bb.2980:                             ;   in Loop: Header=BB460_1375 Depth=1
	v_bfrev_b32_e32 v6, 1
	s_mov_b32 s12, exec_lo
	v_cmpx_ne_u16_e32 0x80, v7
	s_cbranch_execz .LBB460_2986
; %bb.2981:                             ;   in Loop: Header=BB460_1375 Depth=1
	v_and_b32_e32 v9, 0xffff, v7
	v_mov_b32_e32 v6, 0x7f800001
	s_mov_b32 s13, exec_lo
	s_delay_alu instid0(VALU_DEP_2) | instskip(NEXT) | instid1(VALU_DEP_1)
	v_and_b32_e32 v7, 0x7f, v9
	v_cmpx_ne_u32_e32 0x7f, v7
	s_cbranch_execz .LBB460_2985
; %bb.2982:                             ;   in Loop: Header=BB460_1375 Depth=1
	v_and_b32_e32 v9, 7, v9
	v_lshrrev_b32_e32 v109, 3, v7
	v_cmp_gt_u32_e64 s0, 8, v7
	s_delay_alu instid0(VALU_DEP_3) | instskip(NEXT) | instid1(VALU_DEP_2)
	v_dual_mov_b32 v6, v9 :: v_dual_mov_b32 v7, v10
	s_and_saveexec_b32 s15, s0
; %bb.2983:                             ;   in Loop: Header=BB460_1375 Depth=1
	v_clz_i32_u32_e32 v6, v9
	s_delay_alu instid0(VALU_DEP_1) | instskip(NEXT) | instid1(VALU_DEP_1)
	v_min_u32_e32 v109, 32, v6
	v_subrev_nc_u32_e32 v6, 28, v109
	v_sub_nc_u32_e32 v109, 29, v109
	s_delay_alu instid0(VALU_DEP_2) | instskip(NEXT) | instid1(VALU_DEP_1)
	v_lshlrev_b64 v[6:7], v6, v[9:10]
	v_and_b32_e32 v6, 7, v6
; %bb.2984:                             ;   in Loop: Header=BB460_1375 Depth=1
	s_or_b32 exec_lo, exec_lo, s15
	v_lshlrev_b32_e32 v7, 16, v2
	s_delay_alu instid0(VALU_DEP_2) | instskip(SKIP_1) | instid1(VALU_DEP_3)
	v_lshlrev_b32_e32 v6, 20, v6
	v_lshl_add_u32 v9, v109, 23, 0x3c000000
	v_and_b32_e32 v7, 0x80000000, v7
	s_delay_alu instid0(VALU_DEP_1)
	v_or3_b32 v6, v6, v7, v9
.LBB460_2985:                           ;   in Loop: Header=BB460_1375 Depth=1
	s_or_b32 exec_lo, exec_lo, s13
.LBB460_2986:                           ;   in Loop: Header=BB460_1375 Depth=1
	s_delay_alu instid0(SALU_CYCLE_1)
	s_or_b32 exec_lo, exec_lo, s12
.LBB460_2987:                           ;   in Loop: Header=BB460_1375 Depth=1
	s_delay_alu instid0(SALU_CYCLE_1) | instskip(NEXT) | instid1(VALU_DEP_1)
	s_or_b32 exec_lo, exec_lo, s9
	v_mul_f32_e32 v6, v26, v6
                                        ; implicit-def: $vgpr109
	s_delay_alu instid0(VALU_DEP_1) | instskip(NEXT) | instid1(VALU_DEP_1)
	v_and_b32_e32 v7, 0x7f800000, v6
	v_cmp_ne_u32_e64 s0, 0x7f800000, v7
	s_delay_alu instid0(VALU_DEP_1) | instskip(NEXT) | instid1(SALU_CYCLE_1)
	s_and_saveexec_b32 s9, s0
	s_xor_b32 s0, exec_lo, s9
; %bb.2988:                             ;   in Loop: Header=BB460_1375 Depth=1
	v_bfe_u32 v7, v6, 16, 1
	s_delay_alu instid0(VALU_DEP_1)
	v_add3_u32 v109, v6, v7, 0x7fff
                                        ; implicit-def: $vgpr6
; %bb.2989:                             ;   in Loop: Header=BB460_1375 Depth=1
	s_and_not1_saveexec_b32 s9, s0
; %bb.2990:                             ;   in Loop: Header=BB460_1375 Depth=1
	v_and_b32_e32 v7, 0xffff, v6
	v_or_b32_e32 v9, 0x10000, v6
	s_delay_alu instid0(VALU_DEP_2) | instskip(NEXT) | instid1(VALU_DEP_1)
	v_cmp_eq_u32_e64 s0, 0, v7
	v_cndmask_b32_e64 v109, v9, v6, s0
; %bb.2991:                             ;   in Loop: Header=BB460_1375 Depth=1
	s_or_b32 exec_lo, exec_lo, s9
	v_lshrrev_b32_e32 v110, 16, v2
	s_mov_b32 s9, exec_lo
	s_delay_alu instid0(VALU_DEP_1) | instskip(NEXT) | instid1(VALU_DEP_1)
	v_dual_mov_b32 v6, 0 :: v_dual_and_b32 v7, 0xff, v110
	v_cmpx_ne_u16_e32 0, v7
	s_cbranch_execz .LBB460_2999
; %bb.2992:                             ;   in Loop: Header=BB460_1375 Depth=1
	v_bfrev_b32_e32 v6, 1
	s_mov_b32 s12, exec_lo
	v_cmpx_ne_u16_e32 0x80, v7
	s_cbranch_execz .LBB460_2998
; %bb.2993:                             ;   in Loop: Header=BB460_1375 Depth=1
	v_bfe_u32 v7, v2, 16, 7
	v_mov_b32_e32 v6, 0x7f800001
	s_mov_b32 s13, exec_lo
	s_delay_alu instid0(VALU_DEP_2)
	v_cmpx_ne_u32_e32 0x7f, v7
	s_cbranch_execz .LBB460_2997
; %bb.2994:                             ;   in Loop: Header=BB460_1375 Depth=1
	v_and_b32_e32 v9, 7, v110
	v_lshrrev_b32_e32 v111, 3, v7
	v_cmp_gt_u32_e64 s0, 8, v7
	s_delay_alu instid0(VALU_DEP_3) | instskip(NEXT) | instid1(VALU_DEP_2)
	v_dual_mov_b32 v6, v9 :: v_dual_mov_b32 v7, v10
	s_and_saveexec_b32 s15, s0
; %bb.2995:                             ;   in Loop: Header=BB460_1375 Depth=1
	v_clz_i32_u32_e32 v6, v9
	s_delay_alu instid0(VALU_DEP_1) | instskip(NEXT) | instid1(VALU_DEP_1)
	v_min_u32_e32 v111, 32, v6
	v_subrev_nc_u32_e32 v6, 28, v111
	v_sub_nc_u32_e32 v111, 29, v111
	s_delay_alu instid0(VALU_DEP_2) | instskip(NEXT) | instid1(VALU_DEP_1)
	v_lshlrev_b64 v[6:7], v6, v[9:10]
	v_and_b32_e32 v6, 7, v6
; %bb.2996:                             ;   in Loop: Header=BB460_1375 Depth=1
	s_or_b32 exec_lo, exec_lo, s15
	v_lshlrev_b32_e32 v7, 24, v110
	s_delay_alu instid0(VALU_DEP_2) | instskip(SKIP_1) | instid1(VALU_DEP_3)
	v_lshlrev_b32_e32 v6, 20, v6
	v_lshl_add_u32 v9, v111, 23, 0x3c000000
	v_and_b32_e32 v7, 0x80000000, v7
	s_delay_alu instid0(VALU_DEP_1)
	v_or3_b32 v6, v6, v7, v9
.LBB460_2997:                           ;   in Loop: Header=BB460_1375 Depth=1
	s_or_b32 exec_lo, exec_lo, s13
.LBB460_2998:                           ;   in Loop: Header=BB460_1375 Depth=1
	s_delay_alu instid0(SALU_CYCLE_1)
	s_or_b32 exec_lo, exec_lo, s12
.LBB460_2999:                           ;   in Loop: Header=BB460_1375 Depth=1
	s_delay_alu instid0(SALU_CYCLE_1) | instskip(NEXT) | instid1(VALU_DEP_1)
	s_or_b32 exec_lo, exec_lo, s9
	v_mul_f32_e32 v6, v26, v6
                                        ; implicit-def: $vgpr110
	s_delay_alu instid0(VALU_DEP_1) | instskip(NEXT) | instid1(VALU_DEP_1)
	v_and_b32_e32 v7, 0x7f800000, v6
	v_cmp_ne_u32_e64 s0, 0x7f800000, v7
	s_delay_alu instid0(VALU_DEP_1) | instskip(NEXT) | instid1(SALU_CYCLE_1)
	s_and_saveexec_b32 s9, s0
	s_xor_b32 s0, exec_lo, s9
; %bb.3000:                             ;   in Loop: Header=BB460_1375 Depth=1
	v_bfe_u32 v7, v6, 16, 1
	s_delay_alu instid0(VALU_DEP_1)
	v_add3_u32 v110, v6, v7, 0x7fff
                                        ; implicit-def: $vgpr6
; %bb.3001:                             ;   in Loop: Header=BB460_1375 Depth=1
	s_and_not1_saveexec_b32 s9, s0
; %bb.3002:                             ;   in Loop: Header=BB460_1375 Depth=1
	v_and_b32_e32 v7, 0xffff, v6
	v_or_b32_e32 v9, 0x10000, v6
	s_delay_alu instid0(VALU_DEP_2) | instskip(NEXT) | instid1(VALU_DEP_1)
	v_cmp_eq_u32_e64 s0, 0, v7
	v_cndmask_b32_e64 v110, v9, v6, s0
; %bb.3003:                             ;   in Loop: Header=BB460_1375 Depth=1
	s_or_b32 exec_lo, exec_lo, s9
	v_mov_b32_e32 v6, 0
	s_mov_b32 s9, exec_lo
	v_cmpx_lt_u32_e32 0xffffff, v2
	s_cbranch_execz .LBB460_3011
; %bb.3004:                             ;   in Loop: Header=BB460_1375 Depth=1
	v_lshrrev_b32_e32 v111, 24, v2
	v_bfrev_b32_e32 v6, 1
	s_mov_b32 s12, exec_lo
	s_delay_alu instid0(VALU_DEP_2)
	v_cmpx_ne_u32_e32 0x80, v111
	s_cbranch_execz .LBB460_3010
; %bb.3005:                             ;   in Loop: Header=BB460_1375 Depth=1
	v_bfe_u32 v7, v2, 24, 7
	v_mov_b32_e32 v6, 0x7f800001
	s_mov_b32 s13, exec_lo
	s_delay_alu instid0(VALU_DEP_2)
	v_cmpx_ne_u32_e32 0x7f, v7
	s_cbranch_execz .LBB460_3009
; %bb.3006:                             ;   in Loop: Header=BB460_1375 Depth=1
	v_and_b32_e32 v9, 7, v111
	v_lshrrev_b32_e32 v120, 3, v7
	v_cmp_gt_u32_e64 s0, 8, v7
	s_delay_alu instid0(VALU_DEP_3) | instskip(NEXT) | instid1(VALU_DEP_2)
	v_dual_mov_b32 v6, v9 :: v_dual_mov_b32 v7, v10
	s_and_saveexec_b32 s15, s0
; %bb.3007:                             ;   in Loop: Header=BB460_1375 Depth=1
	v_clz_i32_u32_e32 v6, v9
	s_delay_alu instid0(VALU_DEP_1) | instskip(NEXT) | instid1(VALU_DEP_1)
	v_min_u32_e32 v120, 32, v6
	v_subrev_nc_u32_e32 v6, 28, v120
	v_sub_nc_u32_e32 v120, 29, v120
	s_delay_alu instid0(VALU_DEP_2) | instskip(NEXT) | instid1(VALU_DEP_1)
	v_lshlrev_b64 v[6:7], v6, v[9:10]
	v_and_b32_e32 v6, 7, v6
; %bb.3008:                             ;   in Loop: Header=BB460_1375 Depth=1
	s_or_b32 exec_lo, exec_lo, s15
	v_lshlrev_b32_e32 v7, 24, v111
	s_delay_alu instid0(VALU_DEP_2) | instskip(SKIP_1) | instid1(VALU_DEP_3)
	v_lshlrev_b32_e32 v6, 20, v6
	v_lshl_add_u32 v9, v120, 23, 0x3c000000
	v_and_b32_e32 v7, 0x80000000, v7
	s_delay_alu instid0(VALU_DEP_1)
	v_or3_b32 v6, v6, v7, v9
.LBB460_3009:                           ;   in Loop: Header=BB460_1375 Depth=1
	s_or_b32 exec_lo, exec_lo, s13
.LBB460_3010:                           ;   in Loop: Header=BB460_1375 Depth=1
	s_delay_alu instid0(SALU_CYCLE_1)
	s_or_b32 exec_lo, exec_lo, s12
.LBB460_3011:                           ;   in Loop: Header=BB460_1375 Depth=1
	s_delay_alu instid0(SALU_CYCLE_1) | instskip(NEXT) | instid1(VALU_DEP_1)
	s_or_b32 exec_lo, exec_lo, s9
	v_mul_f32_e32 v6, v26, v6
                                        ; implicit-def: $vgpr111
	s_delay_alu instid0(VALU_DEP_1) | instskip(NEXT) | instid1(VALU_DEP_1)
	v_and_b32_e32 v7, 0x7f800000, v6
	v_cmp_ne_u32_e64 s0, 0x7f800000, v7
	s_delay_alu instid0(VALU_DEP_1) | instskip(NEXT) | instid1(SALU_CYCLE_1)
	s_and_saveexec_b32 s9, s0
	s_xor_b32 s0, exec_lo, s9
; %bb.3012:                             ;   in Loop: Header=BB460_1375 Depth=1
	v_bfe_u32 v7, v6, 16, 1
	s_delay_alu instid0(VALU_DEP_1)
	v_add3_u32 v111, v6, v7, 0x7fff
                                        ; implicit-def: $vgpr6
; %bb.3013:                             ;   in Loop: Header=BB460_1375 Depth=1
	s_and_not1_saveexec_b32 s9, s0
; %bb.3014:                             ;   in Loop: Header=BB460_1375 Depth=1
	v_and_b32_e32 v7, 0xffff, v6
	v_or_b32_e32 v9, 0x10000, v6
	s_delay_alu instid0(VALU_DEP_2) | instskip(NEXT) | instid1(VALU_DEP_1)
	v_cmp_eq_u32_e64 s0, 0, v7
	v_cndmask_b32_e64 v111, v9, v6, s0
; %bb.3015:                             ;   in Loop: Header=BB460_1375 Depth=1
	s_or_b32 exec_lo, exec_lo, s9
	v_dual_mov_b32 v6, 0 :: v_dual_and_b32 v7, 0xff, v3
	v_mov_b32_e32 v9, v3
	s_mov_b32 s9, exec_lo
	s_delay_alu instid0(VALU_DEP_2)
	v_cmpx_ne_u16_e32 0, v7
	s_cbranch_execz .LBB460_3023
; %bb.3016:                             ;   in Loop: Header=BB460_1375 Depth=1
	v_bfrev_b32_e32 v6, 1
	s_mov_b32 s12, exec_lo
	v_cmpx_ne_u16_e32 0x80, v7
	s_cbranch_execz .LBB460_3022
; %bb.3017:                             ;   in Loop: Header=BB460_1375 Depth=1
	v_and_b32_e32 v7, 0x7f, v3
	v_mov_b32_e32 v6, 0x7f800001
	s_mov_b32 s13, exec_lo
	s_delay_alu instid0(VALU_DEP_2)
	v_cmpx_ne_u32_e32 0x7f, v7
	s_cbranch_execz .LBB460_3021
; %bb.3018:                             ;   in Loop: Header=BB460_1375 Depth=1
	v_lshrrev_b32_e32 v120, 3, v7
	v_cmp_gt_u32_e64 s0, 8, v7
	v_dual_mov_b32 v6, v9 :: v_dual_mov_b32 v7, v10
	s_delay_alu instid0(VALU_DEP_2)
	s_and_saveexec_b32 s15, s0
; %bb.3019:                             ;   in Loop: Header=BB460_1375 Depth=1
	v_and_b32_e32 v6, 7, v3
	s_delay_alu instid0(VALU_DEP_1) | instskip(NEXT) | instid1(VALU_DEP_1)
	v_clz_i32_u32_e32 v6, v6
	v_min_u32_e32 v120, 32, v6
	s_delay_alu instid0(VALU_DEP_1) | instskip(SKIP_1) | instid1(VALU_DEP_2)
	v_subrev_nc_u32_e32 v6, 28, v120
	v_sub_nc_u32_e32 v120, 29, v120
	v_lshlrev_b64 v[6:7], v6, v[9:10]
; %bb.3020:                             ;   in Loop: Header=BB460_1375 Depth=1
	s_or_b32 exec_lo, exec_lo, s15
	s_delay_alu instid0(VALU_DEP_1) | instskip(SKIP_2) | instid1(VALU_DEP_3)
	v_lshlrev_b32_e32 v6, 20, v6
	v_lshlrev_b32_e32 v7, 24, v9
	v_lshl_add_u32 v120, v120, 23, 0x3c000000
	v_and_b32_e32 v6, 0x700000, v6
	s_delay_alu instid0(VALU_DEP_3) | instskip(NEXT) | instid1(VALU_DEP_1)
	v_and_b32_e32 v7, 0x80000000, v7
	v_or3_b32 v6, v6, v7, v120
.LBB460_3021:                           ;   in Loop: Header=BB460_1375 Depth=1
	s_or_b32 exec_lo, exec_lo, s13
.LBB460_3022:                           ;   in Loop: Header=BB460_1375 Depth=1
	s_delay_alu instid0(SALU_CYCLE_1)
	s_or_b32 exec_lo, exec_lo, s12
.LBB460_3023:                           ;   in Loop: Header=BB460_1375 Depth=1
	s_delay_alu instid0(SALU_CYCLE_1) | instskip(NEXT) | instid1(VALU_DEP_1)
	s_or_b32 exec_lo, exec_lo, s9
	v_mul_f32_e32 v6, v26, v6
                                        ; implicit-def: $vgpr120
	s_delay_alu instid0(VALU_DEP_1) | instskip(NEXT) | instid1(VALU_DEP_1)
	v_and_b32_e32 v7, 0x7f800000, v6
	v_cmp_ne_u32_e64 s0, 0x7f800000, v7
	s_delay_alu instid0(VALU_DEP_1) | instskip(NEXT) | instid1(SALU_CYCLE_1)
	s_and_saveexec_b32 s9, s0
	s_xor_b32 s0, exec_lo, s9
; %bb.3024:                             ;   in Loop: Header=BB460_1375 Depth=1
	v_bfe_u32 v7, v6, 16, 1
	s_delay_alu instid0(VALU_DEP_1)
	v_add3_u32 v120, v6, v7, 0x7fff
                                        ; implicit-def: $vgpr6
; %bb.3025:                             ;   in Loop: Header=BB460_1375 Depth=1
	s_and_not1_saveexec_b32 s9, s0
; %bb.3026:                             ;   in Loop: Header=BB460_1375 Depth=1
	v_and_b32_e32 v7, 0xffff, v6
	v_or_b32_e32 v120, 0x10000, v6
	s_delay_alu instid0(VALU_DEP_2) | instskip(NEXT) | instid1(VALU_DEP_1)
	v_cmp_eq_u32_e64 s0, 0, v7
	v_cndmask_b32_e64 v120, v120, v6, s0
; %bb.3027:                             ;   in Loop: Header=BB460_1375 Depth=1
	s_or_b32 exec_lo, exec_lo, s9
	v_lshrrev_b16 v7, 8, v9
	v_mov_b32_e32 v6, 0
	s_mov_b32 s9, exec_lo
	s_delay_alu instid0(VALU_DEP_2)
	v_cmpx_ne_u16_e32 0, v7
	s_cbranch_execz .LBB460_3035
; %bb.3028:                             ;   in Loop: Header=BB460_1375 Depth=1
	v_bfrev_b32_e32 v6, 1
	s_mov_b32 s12, exec_lo
	v_cmpx_ne_u16_e32 0x80, v7
	s_cbranch_execz .LBB460_3034
; %bb.3029:                             ;   in Loop: Header=BB460_1375 Depth=1
	v_and_b32_e32 v7, 0xffff, v7
	v_mov_b32_e32 v6, 0x7f800001
	s_mov_b32 s13, exec_lo
	s_delay_alu instid0(VALU_DEP_2) | instskip(NEXT) | instid1(VALU_DEP_1)
	v_and_b32_e32 v122, 0x7f, v7
	v_cmpx_ne_u32_e32 0x7f, v122
	s_cbranch_execz .LBB460_3033
; %bb.3030:                             ;   in Loop: Header=BB460_1375 Depth=1
	v_dual_mov_b32 v7, v10 :: v_dual_and_b32 v6, 7, v7
	v_lshrrev_b32_e32 v121, 3, v122
	s_mov_b32 s15, exec_lo
	v_cmpx_gt_u32_e32 8, v122
; %bb.3031:                             ;   in Loop: Header=BB460_1375 Depth=1
	s_delay_alu instid0(VALU_DEP_3) | instskip(NEXT) | instid1(VALU_DEP_1)
	v_clz_i32_u32_e32 v121, v6
	v_min_u32_e32 v121, 32, v121
	s_delay_alu instid0(VALU_DEP_1) | instskip(SKIP_1) | instid1(VALU_DEP_2)
	v_subrev_nc_u32_e32 v122, 28, v121
	v_sub_nc_u32_e32 v121, 29, v121
	v_lshlrev_b64 v[6:7], v122, v[6:7]
	s_delay_alu instid0(VALU_DEP_1)
	v_and_b32_e32 v6, 7, v6
; %bb.3032:                             ;   in Loop: Header=BB460_1375 Depth=1
	s_or_b32 exec_lo, exec_lo, s15
	v_lshlrev_b32_e32 v7, 16, v9
	s_delay_alu instid0(VALU_DEP_2) | instskip(SKIP_1) | instid1(VALU_DEP_3)
	v_lshlrev_b32_e32 v6, 20, v6
	v_lshl_add_u32 v9, v121, 23, 0x3c000000
	v_and_b32_e32 v7, 0x80000000, v7
	s_delay_alu instid0(VALU_DEP_1)
	v_or3_b32 v6, v6, v7, v9
.LBB460_3033:                           ;   in Loop: Header=BB460_1375 Depth=1
	s_or_b32 exec_lo, exec_lo, s13
.LBB460_3034:                           ;   in Loop: Header=BB460_1375 Depth=1
	s_delay_alu instid0(SALU_CYCLE_1)
	s_or_b32 exec_lo, exec_lo, s12
.LBB460_3035:                           ;   in Loop: Header=BB460_1375 Depth=1
	s_delay_alu instid0(SALU_CYCLE_1) | instskip(NEXT) | instid1(VALU_DEP_1)
	s_or_b32 exec_lo, exec_lo, s9
	v_mul_f32_e32 v6, v26, v6
                                        ; implicit-def: $vgpr121
	s_delay_alu instid0(VALU_DEP_1) | instskip(NEXT) | instid1(VALU_DEP_1)
	v_and_b32_e32 v7, 0x7f800000, v6
	v_cmp_ne_u32_e64 s0, 0x7f800000, v7
	s_delay_alu instid0(VALU_DEP_1) | instskip(NEXT) | instid1(SALU_CYCLE_1)
	s_and_saveexec_b32 s9, s0
	s_xor_b32 s0, exec_lo, s9
; %bb.3036:                             ;   in Loop: Header=BB460_1375 Depth=1
	v_bfe_u32 v7, v6, 16, 1
	s_delay_alu instid0(VALU_DEP_1)
	v_add3_u32 v121, v6, v7, 0x7fff
                                        ; implicit-def: $vgpr6
; %bb.3037:                             ;   in Loop: Header=BB460_1375 Depth=1
	s_and_not1_saveexec_b32 s9, s0
; %bb.3038:                             ;   in Loop: Header=BB460_1375 Depth=1
	v_and_b32_e32 v7, 0xffff, v6
	v_or_b32_e32 v9, 0x10000, v6
	s_delay_alu instid0(VALU_DEP_2) | instskip(NEXT) | instid1(VALU_DEP_1)
	v_cmp_eq_u32_e64 s0, 0, v7
	v_cndmask_b32_e64 v121, v9, v6, s0
; %bb.3039:                             ;   in Loop: Header=BB460_1375 Depth=1
	s_or_b32 exec_lo, exec_lo, s9
	v_lshrrev_b32_e32 v122, 16, v3
	s_mov_b32 s9, exec_lo
	s_delay_alu instid0(VALU_DEP_1) | instskip(NEXT) | instid1(VALU_DEP_1)
	v_dual_mov_b32 v6, 0 :: v_dual_and_b32 v7, 0xff, v122
	v_cmpx_ne_u16_e32 0, v7
	s_cbranch_execz .LBB460_3047
; %bb.3040:                             ;   in Loop: Header=BB460_1375 Depth=1
	v_bfrev_b32_e32 v6, 1
	s_mov_b32 s12, exec_lo
	v_cmpx_ne_u16_e32 0x80, v7
	s_cbranch_execz .LBB460_3046
; %bb.3041:                             ;   in Loop: Header=BB460_1375 Depth=1
	v_bfe_u32 v7, v3, 16, 7
	v_mov_b32_e32 v6, 0x7f800001
	s_mov_b32 s13, exec_lo
	s_delay_alu instid0(VALU_DEP_2)
	v_cmpx_ne_u32_e32 0x7f, v7
	s_cbranch_execz .LBB460_3045
; %bb.3042:                             ;   in Loop: Header=BB460_1375 Depth=1
	v_and_b32_e32 v9, 7, v122
	v_lshrrev_b32_e32 v123, 3, v7
	v_cmp_gt_u32_e64 s0, 8, v7
	s_delay_alu instid0(VALU_DEP_3) | instskip(NEXT) | instid1(VALU_DEP_2)
	v_dual_mov_b32 v6, v9 :: v_dual_mov_b32 v7, v10
	s_and_saveexec_b32 s15, s0
; %bb.3043:                             ;   in Loop: Header=BB460_1375 Depth=1
	v_clz_i32_u32_e32 v6, v9
	s_delay_alu instid0(VALU_DEP_1) | instskip(NEXT) | instid1(VALU_DEP_1)
	v_min_u32_e32 v123, 32, v6
	v_subrev_nc_u32_e32 v6, 28, v123
	v_sub_nc_u32_e32 v123, 29, v123
	s_delay_alu instid0(VALU_DEP_2) | instskip(NEXT) | instid1(VALU_DEP_1)
	v_lshlrev_b64 v[6:7], v6, v[9:10]
	v_and_b32_e32 v6, 7, v6
; %bb.3044:                             ;   in Loop: Header=BB460_1375 Depth=1
	s_or_b32 exec_lo, exec_lo, s15
	v_lshlrev_b32_e32 v7, 24, v122
	s_delay_alu instid0(VALU_DEP_2) | instskip(SKIP_1) | instid1(VALU_DEP_3)
	v_lshlrev_b32_e32 v6, 20, v6
	v_lshl_add_u32 v9, v123, 23, 0x3c000000
	v_and_b32_e32 v7, 0x80000000, v7
	s_delay_alu instid0(VALU_DEP_1)
	v_or3_b32 v6, v6, v7, v9
.LBB460_3045:                           ;   in Loop: Header=BB460_1375 Depth=1
	s_or_b32 exec_lo, exec_lo, s13
.LBB460_3046:                           ;   in Loop: Header=BB460_1375 Depth=1
	s_delay_alu instid0(SALU_CYCLE_1)
	s_or_b32 exec_lo, exec_lo, s12
.LBB460_3047:                           ;   in Loop: Header=BB460_1375 Depth=1
	s_delay_alu instid0(SALU_CYCLE_1) | instskip(NEXT) | instid1(VALU_DEP_1)
	s_or_b32 exec_lo, exec_lo, s9
	v_mul_f32_e32 v7, v26, v6
	s_delay_alu instid0(VALU_DEP_1) | instskip(NEXT) | instid1(VALU_DEP_1)
	v_and_b32_e32 v6, 0x7f800000, v7
	v_cmp_ne_u32_e64 s0, 0x7f800000, v6
                                        ; implicit-def: $vgpr6
	s_delay_alu instid0(VALU_DEP_1) | instskip(NEXT) | instid1(SALU_CYCLE_1)
	s_and_saveexec_b32 s9, s0
	s_xor_b32 s0, exec_lo, s9
; %bb.3048:                             ;   in Loop: Header=BB460_1375 Depth=1
	v_bfe_u32 v6, v7, 16, 1
	s_delay_alu instid0(VALU_DEP_1)
	v_add3_u32 v6, v7, v6, 0x7fff
                                        ; implicit-def: $vgpr7
; %bb.3049:                             ;   in Loop: Header=BB460_1375 Depth=1
	s_and_not1_saveexec_b32 s9, s0
; %bb.3050:                             ;   in Loop: Header=BB460_1375 Depth=1
	v_and_b32_e32 v6, 0xffff, v7
	v_or_b32_e32 v9, 0x10000, v7
	s_delay_alu instid0(VALU_DEP_2) | instskip(NEXT) | instid1(VALU_DEP_1)
	v_cmp_eq_u32_e64 s0, 0, v6
	v_cndmask_b32_e64 v6, v9, v7, s0
; %bb.3051:                             ;   in Loop: Header=BB460_1375 Depth=1
	s_or_b32 exec_lo, exec_lo, s9
	v_cmp_lt_u64_e64 s0, s[2:3], v[2:3]
	v_mov_b32_e32 v2, 0
	s_delay_alu instid0(VALU_DEP_2)
	s_and_saveexec_b32 s9, s0
	s_cbranch_execz .LBB460_3059
; %bb.3052:                             ;   in Loop: Header=BB460_1375 Depth=1
	v_lshrrev_b32_e32 v7, 24, v3
	v_bfrev_b32_e32 v2, 1
	s_mov_b32 s12, exec_lo
	s_delay_alu instid0(VALU_DEP_2)
	v_cmpx_ne_u32_e32 0x80, v7
	s_cbranch_execz .LBB460_3058
; %bb.3053:                             ;   in Loop: Header=BB460_1375 Depth=1
	v_bfe_u32 v3, v3, 24, 7
	v_mov_b32_e32 v2, 0x7f800001
	s_mov_b32 s13, exec_lo
	s_delay_alu instid0(VALU_DEP_2)
	v_cmpx_ne_u32_e32 0x7f, v3
	s_cbranch_execz .LBB460_3057
; %bb.3054:                             ;   in Loop: Header=BB460_1375 Depth=1
	v_and_b32_e32 v9, 7, v7
	v_lshrrev_b32_e32 v122, 3, v3
	v_cmp_gt_u32_e64 s0, 8, v3
	s_delay_alu instid0(VALU_DEP_3) | instskip(NEXT) | instid1(VALU_DEP_2)
	v_dual_mov_b32 v2, v9 :: v_dual_mov_b32 v3, v10
	s_and_saveexec_b32 s15, s0
; %bb.3055:                             ;   in Loop: Header=BB460_1375 Depth=1
	v_clz_i32_u32_e32 v2, v9
	s_delay_alu instid0(VALU_DEP_1) | instskip(NEXT) | instid1(VALU_DEP_1)
	v_min_u32_e32 v122, 32, v2
	v_subrev_nc_u32_e32 v2, 28, v122
	v_sub_nc_u32_e32 v122, 29, v122
	s_delay_alu instid0(VALU_DEP_2) | instskip(NEXT) | instid1(VALU_DEP_1)
	v_lshlrev_b64 v[2:3], v2, v[9:10]
	v_and_b32_e32 v2, 7, v2
; %bb.3056:                             ;   in Loop: Header=BB460_1375 Depth=1
	s_or_b32 exec_lo, exec_lo, s15
	v_lshlrev_b32_e32 v3, 24, v7
	s_delay_alu instid0(VALU_DEP_2) | instskip(SKIP_1) | instid1(VALU_DEP_3)
	v_lshlrev_b32_e32 v2, 20, v2
	v_lshl_add_u32 v7, v122, 23, 0x3c000000
	v_and_b32_e32 v3, 0x80000000, v3
	s_delay_alu instid0(VALU_DEP_1)
	v_or3_b32 v2, v2, v3, v7
.LBB460_3057:                           ;   in Loop: Header=BB460_1375 Depth=1
	s_or_b32 exec_lo, exec_lo, s13
.LBB460_3058:                           ;   in Loop: Header=BB460_1375 Depth=1
	s_delay_alu instid0(SALU_CYCLE_1)
	s_or_b32 exec_lo, exec_lo, s12
.LBB460_3059:                           ;   in Loop: Header=BB460_1375 Depth=1
	s_delay_alu instid0(SALU_CYCLE_1) | instskip(NEXT) | instid1(VALU_DEP_1)
	s_or_b32 exec_lo, exec_lo, s9
	v_mul_f32_e32 v3, v26, v2
	s_delay_alu instid0(VALU_DEP_1) | instskip(NEXT) | instid1(VALU_DEP_1)
	v_and_b32_e32 v2, 0x7f800000, v3
	v_cmp_ne_u32_e64 s0, 0x7f800000, v2
                                        ; implicit-def: $vgpr2
	s_delay_alu instid0(VALU_DEP_1) | instskip(NEXT) | instid1(SALU_CYCLE_1)
	s_and_saveexec_b32 s9, s0
	s_xor_b32 s0, exec_lo, s9
; %bb.3060:                             ;   in Loop: Header=BB460_1375 Depth=1
	v_bfe_u32 v2, v3, 16, 1
	s_delay_alu instid0(VALU_DEP_1)
	v_add3_u32 v2, v3, v2, 0x7fff
                                        ; implicit-def: $vgpr3
; %bb.3061:                             ;   in Loop: Header=BB460_1375 Depth=1
	s_and_not1_saveexec_b32 s9, s0
; %bb.3062:                             ;   in Loop: Header=BB460_1375 Depth=1
	v_and_b32_e32 v2, 0xffff, v3
	v_or_b32_e32 v7, 0x10000, v3
	s_delay_alu instid0(VALU_DEP_2) | instskip(NEXT) | instid1(VALU_DEP_1)
	v_cmp_eq_u32_e64 s0, 0, v2
	v_cndmask_b32_e64 v2, v7, v3, s0
; %bb.3063:                             ;   in Loop: Header=BB460_1375 Depth=1
	s_or_b32 exec_lo, exec_lo, s9
	v_lshrrev_b32_e32 v9, 16, v121
	v_lshrrev_b32_e32 v120, 16, v120
	;; [unrolled: 1-line block ×8, first 2 shown]
	s_and_saveexec_b32 s9, vcc_lo
	s_cbranch_execz .LBB460_3065
; %bb.3064:                             ;   in Loop: Header=BB460_1375 Depth=1
	v_cmp_lt_i32_e64 s0, v66, v36
	s_delay_alu instid0(VALU_DEP_1) | instskip(SKIP_1) | instid1(VALU_DEP_1)
	v_cndmask_b32_e64 v108, 0, v108, s0
	v_cmp_lt_i32_e64 s0, v80, v36
	v_cndmask_b32_e64 v7, 0, v7, s0
	v_cmp_lt_i32_e64 s0, v71, v36
	s_delay_alu instid0(VALU_DEP_1) | instskip(SKIP_1) | instid1(VALU_DEP_1)
	v_cndmask_b32_e64 v110, 0, v110, s0
	v_cmp_lt_i32_e64 s0, v70, v36
	v_cndmask_b32_e64 v111, 0, v111, s0
	;; [unrolled: 5-line block ×4, first 2 shown]
.LBB460_3065:                           ;   in Loop: Header=BB460_1375 Depth=1
	s_or_b32 exec_lo, exec_lo, s9
	v_lshlrev_b32_e32 v6, 16, v108
	s_delay_alu instid0(VALU_DEP_1) | instskip(NEXT) | instid1(VALU_DEP_1)
	v_mul_f32_e32 v108, v81, v6
	v_and_b32_e32 v6, 0x7f800000, v108
	s_delay_alu instid0(VALU_DEP_1) | instskip(NEXT) | instid1(VALU_DEP_1)
	v_cmp_ne_u32_e64 s0, 0x7f800000, v6
                                        ; implicit-def: $vgpr6
	s_and_saveexec_b32 s9, s0
	s_delay_alu instid0(SALU_CYCLE_1)
	s_xor_b32 s0, exec_lo, s9
; %bb.3066:                             ;   in Loop: Header=BB460_1375 Depth=1
	v_bfe_u32 v6, v108, 16, 1
	s_delay_alu instid0(VALU_DEP_1)
	v_add3_u32 v6, v108, v6, 0x7fff
                                        ; implicit-def: $vgpr108
; %bb.3067:                             ;   in Loop: Header=BB460_1375 Depth=1
	s_and_not1_saveexec_b32 s9, s0
; %bb.3068:                             ;   in Loop: Header=BB460_1375 Depth=1
	v_and_b32_e32 v6, 0xffff, v108
	v_or_b32_e32 v109, 0x10000, v108
	s_delay_alu instid0(VALU_DEP_2) | instskip(NEXT) | instid1(VALU_DEP_1)
	v_cmp_eq_u32_e64 s0, 0, v6
	v_cndmask_b32_e64 v6, v109, v108, s0
; %bb.3069:                             ;   in Loop: Header=BB460_1375 Depth=1
	s_or_b32 exec_lo, exec_lo, s9
	v_lshlrev_b32_e32 v7, 16, v7
	s_delay_alu instid0(VALU_DEP_1) | instskip(NEXT) | instid1(VALU_DEP_1)
	v_mul_f32_e32 v108, v82, v7
	v_and_b32_e32 v7, 0x7f800000, v108
	s_delay_alu instid0(VALU_DEP_1) | instskip(NEXT) | instid1(VALU_DEP_1)
	v_cmp_ne_u32_e64 s0, 0x7f800000, v7
                                        ; implicit-def: $vgpr7
	s_and_saveexec_b32 s9, s0
	s_delay_alu instid0(SALU_CYCLE_1)
	s_xor_b32 s0, exec_lo, s9
; %bb.3070:                             ;   in Loop: Header=BB460_1375 Depth=1
	v_bfe_u32 v7, v108, 16, 1
	s_delay_alu instid0(VALU_DEP_1)
	v_add3_u32 v7, v108, v7, 0x7fff
                                        ; implicit-def: $vgpr108
; %bb.3071:                             ;   in Loop: Header=BB460_1375 Depth=1
	s_and_not1_saveexec_b32 s9, s0
; %bb.3072:                             ;   in Loop: Header=BB460_1375 Depth=1
	v_and_b32_e32 v7, 0xffff, v108
	v_or_b32_e32 v109, 0x10000, v108
	s_delay_alu instid0(VALU_DEP_2) | instskip(NEXT) | instid1(VALU_DEP_1)
	v_cmp_eq_u32_e64 s0, 0, v7
	v_cndmask_b32_e64 v7, v109, v108, s0
; %bb.3073:                             ;   in Loop: Header=BB460_1375 Depth=1
	s_or_b32 exec_lo, exec_lo, s9
	v_lshlrev_b32_e32 v108, 16, v110
	s_delay_alu instid0(VALU_DEP_1) | instskip(NEXT) | instid1(VALU_DEP_1)
	v_mul_f32_e32 v109, v83, v108
	v_and_b32_e32 v108, 0x7f800000, v109
	s_delay_alu instid0(VALU_DEP_1) | instskip(NEXT) | instid1(VALU_DEP_1)
	v_cmp_ne_u32_e64 s0, 0x7f800000, v108
                                        ; implicit-def: $vgpr108
	s_and_saveexec_b32 s9, s0
	s_delay_alu instid0(SALU_CYCLE_1)
	s_xor_b32 s0, exec_lo, s9
; %bb.3074:                             ;   in Loop: Header=BB460_1375 Depth=1
	v_bfe_u32 v108, v109, 16, 1
	s_delay_alu instid0(VALU_DEP_1)
	v_add3_u32 v108, v109, v108, 0x7fff
                                        ; implicit-def: $vgpr109
; %bb.3075:                             ;   in Loop: Header=BB460_1375 Depth=1
	s_and_not1_saveexec_b32 s9, s0
; %bb.3076:                             ;   in Loop: Header=BB460_1375 Depth=1
	v_and_b32_e32 v108, 0xffff, v109
	v_or_b32_e32 v110, 0x10000, v109
	s_delay_alu instid0(VALU_DEP_2) | instskip(NEXT) | instid1(VALU_DEP_1)
	v_cmp_eq_u32_e64 s0, 0, v108
	v_cndmask_b32_e64 v108, v110, v109, s0
; %bb.3077:                             ;   in Loop: Header=BB460_1375 Depth=1
	s_or_b32 exec_lo, exec_lo, s9
	v_lshlrev_b32_e32 v109, 16, v111
	s_delay_alu instid0(VALU_DEP_1) | instskip(NEXT) | instid1(VALU_DEP_1)
	v_mul_f32_e32 v110, v84, v109
	v_and_b32_e32 v109, 0x7f800000, v110
	s_delay_alu instid0(VALU_DEP_1) | instskip(NEXT) | instid1(VALU_DEP_1)
	v_cmp_ne_u32_e64 s0, 0x7f800000, v109
                                        ; implicit-def: $vgpr109
	s_and_saveexec_b32 s9, s0
	s_delay_alu instid0(SALU_CYCLE_1)
	s_xor_b32 s0, exec_lo, s9
; %bb.3078:                             ;   in Loop: Header=BB460_1375 Depth=1
	v_bfe_u32 v109, v110, 16, 1
	s_delay_alu instid0(VALU_DEP_1)
	v_add3_u32 v109, v110, v109, 0x7fff
                                        ; implicit-def: $vgpr110
; %bb.3079:                             ;   in Loop: Header=BB460_1375 Depth=1
	s_and_not1_saveexec_b32 s9, s0
; %bb.3080:                             ;   in Loop: Header=BB460_1375 Depth=1
	v_and_b32_e32 v109, 0xffff, v110
	v_or_b32_e32 v111, 0x10000, v110
	s_delay_alu instid0(VALU_DEP_2) | instskip(NEXT) | instid1(VALU_DEP_1)
	v_cmp_eq_u32_e64 s0, 0, v109
	v_cndmask_b32_e64 v109, v111, v110, s0
; %bb.3081:                             ;   in Loop: Header=BB460_1375 Depth=1
	s_or_b32 exec_lo, exec_lo, s9
	v_lshlrev_b32_e32 v110, 16, v120
	s_delay_alu instid0(VALU_DEP_1) | instskip(NEXT) | instid1(VALU_DEP_1)
	v_mul_f32_e32 v111, v85, v110
	v_and_b32_e32 v110, 0x7f800000, v111
	s_delay_alu instid0(VALU_DEP_1) | instskip(NEXT) | instid1(VALU_DEP_1)
	v_cmp_ne_u32_e64 s0, 0x7f800000, v110
                                        ; implicit-def: $vgpr110
	s_and_saveexec_b32 s9, s0
	s_delay_alu instid0(SALU_CYCLE_1)
	s_xor_b32 s0, exec_lo, s9
; %bb.3082:                             ;   in Loop: Header=BB460_1375 Depth=1
	v_bfe_u32 v110, v111, 16, 1
	s_delay_alu instid0(VALU_DEP_1)
	v_add3_u32 v110, v111, v110, 0x7fff
                                        ; implicit-def: $vgpr111
; %bb.3083:                             ;   in Loop: Header=BB460_1375 Depth=1
	s_and_not1_saveexec_b32 s9, s0
; %bb.3084:                             ;   in Loop: Header=BB460_1375 Depth=1
	v_and_b32_e32 v110, 0xffff, v111
	v_or_b32_e32 v120, 0x10000, v111
	s_delay_alu instid0(VALU_DEP_2) | instskip(NEXT) | instid1(VALU_DEP_1)
	v_cmp_eq_u32_e64 s0, 0, v110
	v_cndmask_b32_e64 v110, v120, v111, s0
; %bb.3085:                             ;   in Loop: Header=BB460_1375 Depth=1
	s_or_b32 exec_lo, exec_lo, s9
	v_lshlrev_b32_e32 v9, 16, v9
	s_delay_alu instid0(VALU_DEP_1) | instskip(NEXT) | instid1(VALU_DEP_1)
	v_mul_f32_e32 v9, v86, v9
	v_and_b32_e32 v111, 0x7f800000, v9
	s_delay_alu instid0(VALU_DEP_1) | instskip(NEXT) | instid1(VALU_DEP_1)
	v_cmp_ne_u32_e64 s0, 0x7f800000, v111
                                        ; implicit-def: $vgpr111
	s_and_saveexec_b32 s9, s0
	s_delay_alu instid0(SALU_CYCLE_1)
	s_xor_b32 s0, exec_lo, s9
; %bb.3086:                             ;   in Loop: Header=BB460_1375 Depth=1
	v_bfe_u32 v111, v9, 16, 1
	s_delay_alu instid0(VALU_DEP_1)
	v_add3_u32 v111, v9, v111, 0x7fff
                                        ; implicit-def: $vgpr9
; %bb.3087:                             ;   in Loop: Header=BB460_1375 Depth=1
	s_and_not1_saveexec_b32 s9, s0
; %bb.3088:                             ;   in Loop: Header=BB460_1375 Depth=1
	v_and_b32_e32 v111, 0xffff, v9
	v_or_b32_e32 v120, 0x10000, v9
	s_delay_alu instid0(VALU_DEP_2) | instskip(NEXT) | instid1(VALU_DEP_1)
	v_cmp_eq_u32_e64 s0, 0, v111
	v_cndmask_b32_e64 v111, v120, v9, s0
; %bb.3089:                             ;   in Loop: Header=BB460_1375 Depth=1
	s_or_b32 exec_lo, exec_lo, s9
	v_lshlrev_b32_e32 v3, 16, v3
                                        ; implicit-def: $vgpr120
	s_delay_alu instid0(VALU_DEP_1) | instskip(NEXT) | instid1(VALU_DEP_1)
	v_mul_f32_e32 v3, v87, v3
	v_and_b32_e32 v9, 0x7f800000, v3
	s_delay_alu instid0(VALU_DEP_1) | instskip(NEXT) | instid1(VALU_DEP_1)
	v_cmp_ne_u32_e64 s0, 0x7f800000, v9
	s_and_saveexec_b32 s9, s0
	s_delay_alu instid0(SALU_CYCLE_1)
	s_xor_b32 s0, exec_lo, s9
; %bb.3090:                             ;   in Loop: Header=BB460_1375 Depth=1
	v_bfe_u32 v9, v3, 16, 1
	s_delay_alu instid0(VALU_DEP_1)
	v_add3_u32 v120, v3, v9, 0x7fff
                                        ; implicit-def: $vgpr3
; %bb.3091:                             ;   in Loop: Header=BB460_1375 Depth=1
	s_and_not1_saveexec_b32 s9, s0
; %bb.3092:                             ;   in Loop: Header=BB460_1375 Depth=1
	v_and_b32_e32 v9, 0xffff, v3
	v_or_b32_e32 v120, 0x10000, v3
	s_delay_alu instid0(VALU_DEP_2) | instskip(NEXT) | instid1(VALU_DEP_1)
	v_cmp_eq_u32_e64 s0, 0, v9
	v_cndmask_b32_e64 v120, v120, v3, s0
; %bb.3093:                             ;   in Loop: Header=BB460_1375 Depth=1
	s_or_b32 exec_lo, exec_lo, s9
	v_lshlrev_b32_e32 v2, 16, v2
                                        ; implicit-def: $vgpr121
	s_delay_alu instid0(VALU_DEP_1) | instskip(NEXT) | instid1(VALU_DEP_1)
	v_mul_f32_e32 v2, v96, v2
	v_and_b32_e32 v3, 0x7f800000, v2
	s_delay_alu instid0(VALU_DEP_1) | instskip(NEXT) | instid1(VALU_DEP_1)
	v_cmp_ne_u32_e64 s0, 0x7f800000, v3
	s_and_saveexec_b32 s9, s0
	s_delay_alu instid0(SALU_CYCLE_1)
	s_xor_b32 s0, exec_lo, s9
; %bb.3094:                             ;   in Loop: Header=BB460_1375 Depth=1
	v_bfe_u32 v3, v2, 16, 1
	s_delay_alu instid0(VALU_DEP_1)
	v_add3_u32 v121, v2, v3, 0x7fff
                                        ; implicit-def: $vgpr2
; %bb.3095:                             ;   in Loop: Header=BB460_1375 Depth=1
	s_and_not1_saveexec_b32 s9, s0
; %bb.3096:                             ;   in Loop: Header=BB460_1375 Depth=1
	v_and_b32_e32 v3, 0xffff, v2
	v_or_b32_e32 v9, 0x10000, v2
	s_delay_alu instid0(VALU_DEP_2) | instskip(NEXT) | instid1(VALU_DEP_1)
	v_cmp_eq_u32_e64 s0, 0, v3
	v_cndmask_b32_e64 v121, v9, v2, s0
; %bb.3097:                             ;   in Loop: Header=BB460_1375 Depth=1
	s_or_b32 exec_lo, exec_lo, s9
	flat_load_b64 v[0:1], v[0:1] offset:3328
	s_mov_b32 s9, exec_lo
	s_waitcnt vmcnt(0) lgkmcnt(0)
	v_dual_mov_b32 v2, 0 :: v_dual_and_b32 v3, 0xff, v0
	s_delay_alu instid0(VALU_DEP_1)
	v_cmpx_ne_u16_e32 0, v3
	s_cbranch_execz .LBB460_3105
; %bb.3098:                             ;   in Loop: Header=BB460_1375 Depth=1
	v_bfrev_b32_e32 v2, 1
	s_mov_b32 s12, exec_lo
	v_cmpx_ne_u16_e32 0x80, v3
	s_cbranch_execz .LBB460_3104
; %bb.3099:                             ;   in Loop: Header=BB460_1375 Depth=1
	v_and_b32_e32 v3, 0x7f, v0
	v_mov_b32_e32 v2, 0x7f800001
	s_mov_b32 s13, exec_lo
	s_delay_alu instid0(VALU_DEP_2)
	v_cmpx_ne_u32_e32 0x7f, v3
	s_cbranch_execz .LBB460_3103
; %bb.3100:                             ;   in Loop: Header=BB460_1375 Depth=1
	v_lshrrev_b32_e32 v9, 3, v3
	v_cmp_gt_u32_e64 s0, 8, v3
	v_dual_mov_b32 v3, v1 :: v_dual_mov_b32 v2, v0
	s_delay_alu instid0(VALU_DEP_2)
	s_and_saveexec_b32 s15, s0
; %bb.3101:                             ;   in Loop: Header=BB460_1375 Depth=1
	v_and_b32_e32 v2, 7, v0
	s_delay_alu instid0(VALU_DEP_1) | instskip(NEXT) | instid1(VALU_DEP_1)
	v_clz_i32_u32_e32 v2, v2
	v_min_u32_e32 v9, 32, v2
	s_delay_alu instid0(VALU_DEP_1) | instskip(SKIP_1) | instid1(VALU_DEP_2)
	v_subrev_nc_u32_e32 v2, 28, v9
	v_sub_nc_u32_e32 v9, 29, v9
	v_lshlrev_b64 v[2:3], v2, v[0:1]
; %bb.3102:                             ;   in Loop: Header=BB460_1375 Depth=1
	s_or_b32 exec_lo, exec_lo, s15
	s_delay_alu instid0(VALU_DEP_1) | instskip(SKIP_2) | instid1(VALU_DEP_3)
	v_lshlrev_b32_e32 v2, 20, v2
	v_lshlrev_b32_e32 v3, 24, v0
	v_lshl_add_u32 v9, v9, 23, 0x3c000000
	v_and_b32_e32 v2, 0x700000, v2
	s_delay_alu instid0(VALU_DEP_3) | instskip(NEXT) | instid1(VALU_DEP_1)
	v_and_b32_e32 v3, 0x80000000, v3
	v_or3_b32 v2, v2, v3, v9
.LBB460_3103:                           ;   in Loop: Header=BB460_1375 Depth=1
	s_or_b32 exec_lo, exec_lo, s13
.LBB460_3104:                           ;   in Loop: Header=BB460_1375 Depth=1
	s_delay_alu instid0(SALU_CYCLE_1)
	s_or_b32 exec_lo, exec_lo, s12
.LBB460_3105:                           ;   in Loop: Header=BB460_1375 Depth=1
	s_delay_alu instid0(SALU_CYCLE_1) | instskip(NEXT) | instid1(VALU_DEP_1)
	s_or_b32 exec_lo, exec_lo, s9
	v_mul_f32_e32 v2, v26, v2
                                        ; implicit-def: $vgpr122
	s_delay_alu instid0(VALU_DEP_1) | instskip(NEXT) | instid1(VALU_DEP_1)
	v_and_b32_e32 v3, 0x7f800000, v2
	v_cmp_ne_u32_e64 s0, 0x7f800000, v3
	s_delay_alu instid0(VALU_DEP_1) | instskip(NEXT) | instid1(SALU_CYCLE_1)
	s_and_saveexec_b32 s9, s0
	s_xor_b32 s0, exec_lo, s9
; %bb.3106:                             ;   in Loop: Header=BB460_1375 Depth=1
	v_bfe_u32 v3, v2, 16, 1
	s_delay_alu instid0(VALU_DEP_1)
	v_add3_u32 v122, v2, v3, 0x7fff
                                        ; implicit-def: $vgpr2
; %bb.3107:                             ;   in Loop: Header=BB460_1375 Depth=1
	s_and_not1_saveexec_b32 s9, s0
; %bb.3108:                             ;   in Loop: Header=BB460_1375 Depth=1
	v_and_b32_e32 v3, 0xffff, v2
	v_or_b32_e32 v9, 0x10000, v2
	s_delay_alu instid0(VALU_DEP_2) | instskip(NEXT) | instid1(VALU_DEP_1)
	v_cmp_eq_u32_e64 s0, 0, v3
	v_cndmask_b32_e64 v122, v9, v2, s0
; %bb.3109:                             ;   in Loop: Header=BB460_1375 Depth=1
	s_or_b32 exec_lo, exec_lo, s9
	v_lshrrev_b16 v3, 8, v0
	v_mov_b32_e32 v2, 0
	s_mov_b32 s9, exec_lo
	s_delay_alu instid0(VALU_DEP_2)
	v_cmpx_ne_u16_e32 0, v3
	s_cbranch_execz .LBB460_3117
; %bb.3110:                             ;   in Loop: Header=BB460_1375 Depth=1
	v_bfrev_b32_e32 v2, 1
	s_mov_b32 s12, exec_lo
	v_cmpx_ne_u16_e32 0x80, v3
	s_cbranch_execz .LBB460_3116
; %bb.3111:                             ;   in Loop: Header=BB460_1375 Depth=1
	v_and_b32_e32 v9, 0xffff, v3
	v_mov_b32_e32 v2, 0x7f800001
	s_mov_b32 s13, exec_lo
	s_delay_alu instid0(VALU_DEP_2) | instskip(NEXT) | instid1(VALU_DEP_1)
	v_and_b32_e32 v3, 0x7f, v9
	v_cmpx_ne_u32_e32 0x7f, v3
	s_cbranch_execz .LBB460_3115
; %bb.3112:                             ;   in Loop: Header=BB460_1375 Depth=1
	v_and_b32_e32 v9, 7, v9
	v_lshrrev_b32_e32 v123, 3, v3
	v_cmp_gt_u32_e64 s0, 8, v3
	s_delay_alu instid0(VALU_DEP_3) | instskip(NEXT) | instid1(VALU_DEP_2)
	v_dual_mov_b32 v2, v9 :: v_dual_mov_b32 v3, v10
	s_and_saveexec_b32 s15, s0
; %bb.3113:                             ;   in Loop: Header=BB460_1375 Depth=1
	v_clz_i32_u32_e32 v2, v9
	s_delay_alu instid0(VALU_DEP_1) | instskip(NEXT) | instid1(VALU_DEP_1)
	v_min_u32_e32 v123, 32, v2
	v_subrev_nc_u32_e32 v2, 28, v123
	v_sub_nc_u32_e32 v123, 29, v123
	s_delay_alu instid0(VALU_DEP_2) | instskip(NEXT) | instid1(VALU_DEP_1)
	v_lshlrev_b64 v[2:3], v2, v[9:10]
	v_and_b32_e32 v2, 7, v2
; %bb.3114:                             ;   in Loop: Header=BB460_1375 Depth=1
	s_or_b32 exec_lo, exec_lo, s15
	v_lshlrev_b32_e32 v3, 16, v0
	s_delay_alu instid0(VALU_DEP_2) | instskip(SKIP_1) | instid1(VALU_DEP_3)
	v_lshlrev_b32_e32 v2, 20, v2
	v_lshl_add_u32 v9, v123, 23, 0x3c000000
	v_and_b32_e32 v3, 0x80000000, v3
	s_delay_alu instid0(VALU_DEP_1)
	v_or3_b32 v2, v2, v3, v9
.LBB460_3115:                           ;   in Loop: Header=BB460_1375 Depth=1
	s_or_b32 exec_lo, exec_lo, s13
.LBB460_3116:                           ;   in Loop: Header=BB460_1375 Depth=1
	s_delay_alu instid0(SALU_CYCLE_1)
	s_or_b32 exec_lo, exec_lo, s12
.LBB460_3117:                           ;   in Loop: Header=BB460_1375 Depth=1
	s_delay_alu instid0(SALU_CYCLE_1) | instskip(NEXT) | instid1(VALU_DEP_1)
	s_or_b32 exec_lo, exec_lo, s9
	v_mul_f32_e32 v2, v26, v2
                                        ; implicit-def: $vgpr123
	s_delay_alu instid0(VALU_DEP_1) | instskip(NEXT) | instid1(VALU_DEP_1)
	v_and_b32_e32 v3, 0x7f800000, v2
	v_cmp_ne_u32_e64 s0, 0x7f800000, v3
	s_delay_alu instid0(VALU_DEP_1) | instskip(NEXT) | instid1(SALU_CYCLE_1)
	s_and_saveexec_b32 s9, s0
	s_xor_b32 s0, exec_lo, s9
; %bb.3118:                             ;   in Loop: Header=BB460_1375 Depth=1
	v_bfe_u32 v3, v2, 16, 1
	s_delay_alu instid0(VALU_DEP_1)
	v_add3_u32 v123, v2, v3, 0x7fff
                                        ; implicit-def: $vgpr2
; %bb.3119:                             ;   in Loop: Header=BB460_1375 Depth=1
	s_and_not1_saveexec_b32 s9, s0
; %bb.3120:                             ;   in Loop: Header=BB460_1375 Depth=1
	v_and_b32_e32 v3, 0xffff, v2
	v_or_b32_e32 v9, 0x10000, v2
	s_delay_alu instid0(VALU_DEP_2) | instskip(NEXT) | instid1(VALU_DEP_1)
	v_cmp_eq_u32_e64 s0, 0, v3
	v_cndmask_b32_e64 v123, v9, v2, s0
; %bb.3121:                             ;   in Loop: Header=BB460_1375 Depth=1
	s_or_b32 exec_lo, exec_lo, s9
	v_lshrrev_b32_e32 v124, 16, v0
	s_mov_b32 s9, exec_lo
	s_delay_alu instid0(VALU_DEP_1) | instskip(NEXT) | instid1(VALU_DEP_1)
	v_dual_mov_b32 v2, 0 :: v_dual_and_b32 v3, 0xff, v124
	v_cmpx_ne_u16_e32 0, v3
	s_cbranch_execz .LBB460_3129
; %bb.3122:                             ;   in Loop: Header=BB460_1375 Depth=1
	v_bfrev_b32_e32 v2, 1
	s_mov_b32 s12, exec_lo
	v_cmpx_ne_u16_e32 0x80, v3
	s_cbranch_execz .LBB460_3128
; %bb.3123:                             ;   in Loop: Header=BB460_1375 Depth=1
	v_bfe_u32 v3, v0, 16, 7
	v_mov_b32_e32 v2, 0x7f800001
	s_mov_b32 s13, exec_lo
	s_delay_alu instid0(VALU_DEP_2)
	v_cmpx_ne_u32_e32 0x7f, v3
	s_cbranch_execz .LBB460_3127
; %bb.3124:                             ;   in Loop: Header=BB460_1375 Depth=1
	v_and_b32_e32 v9, 7, v124
	v_lshrrev_b32_e32 v125, 3, v3
	v_cmp_gt_u32_e64 s0, 8, v3
	s_delay_alu instid0(VALU_DEP_3) | instskip(NEXT) | instid1(VALU_DEP_2)
	v_dual_mov_b32 v2, v9 :: v_dual_mov_b32 v3, v10
	s_and_saveexec_b32 s15, s0
; %bb.3125:                             ;   in Loop: Header=BB460_1375 Depth=1
	v_clz_i32_u32_e32 v2, v9
	s_delay_alu instid0(VALU_DEP_1) | instskip(NEXT) | instid1(VALU_DEP_1)
	v_min_u32_e32 v125, 32, v2
	v_subrev_nc_u32_e32 v2, 28, v125
	v_sub_nc_u32_e32 v125, 29, v125
	s_delay_alu instid0(VALU_DEP_2) | instskip(NEXT) | instid1(VALU_DEP_1)
	v_lshlrev_b64 v[2:3], v2, v[9:10]
	v_and_b32_e32 v2, 7, v2
; %bb.3126:                             ;   in Loop: Header=BB460_1375 Depth=1
	s_or_b32 exec_lo, exec_lo, s15
	v_lshlrev_b32_e32 v3, 24, v124
	s_delay_alu instid0(VALU_DEP_2) | instskip(SKIP_1) | instid1(VALU_DEP_3)
	v_lshlrev_b32_e32 v2, 20, v2
	v_lshl_add_u32 v9, v125, 23, 0x3c000000
	v_and_b32_e32 v3, 0x80000000, v3
	s_delay_alu instid0(VALU_DEP_1)
	v_or3_b32 v2, v2, v3, v9
.LBB460_3127:                           ;   in Loop: Header=BB460_1375 Depth=1
	s_or_b32 exec_lo, exec_lo, s13
.LBB460_3128:                           ;   in Loop: Header=BB460_1375 Depth=1
	s_delay_alu instid0(SALU_CYCLE_1)
	s_or_b32 exec_lo, exec_lo, s12
.LBB460_3129:                           ;   in Loop: Header=BB460_1375 Depth=1
	s_delay_alu instid0(SALU_CYCLE_1) | instskip(NEXT) | instid1(VALU_DEP_1)
	s_or_b32 exec_lo, exec_lo, s9
	v_mul_f32_e32 v2, v26, v2
                                        ; implicit-def: $vgpr124
	s_delay_alu instid0(VALU_DEP_1) | instskip(NEXT) | instid1(VALU_DEP_1)
	v_and_b32_e32 v3, 0x7f800000, v2
	v_cmp_ne_u32_e64 s0, 0x7f800000, v3
	s_delay_alu instid0(VALU_DEP_1) | instskip(NEXT) | instid1(SALU_CYCLE_1)
	s_and_saveexec_b32 s9, s0
	s_xor_b32 s0, exec_lo, s9
; %bb.3130:                             ;   in Loop: Header=BB460_1375 Depth=1
	v_bfe_u32 v3, v2, 16, 1
	s_delay_alu instid0(VALU_DEP_1)
	v_add3_u32 v124, v2, v3, 0x7fff
                                        ; implicit-def: $vgpr2
; %bb.3131:                             ;   in Loop: Header=BB460_1375 Depth=1
	s_and_not1_saveexec_b32 s9, s0
; %bb.3132:                             ;   in Loop: Header=BB460_1375 Depth=1
	v_and_b32_e32 v3, 0xffff, v2
	v_or_b32_e32 v9, 0x10000, v2
	s_delay_alu instid0(VALU_DEP_2) | instskip(NEXT) | instid1(VALU_DEP_1)
	v_cmp_eq_u32_e64 s0, 0, v3
	v_cndmask_b32_e64 v124, v9, v2, s0
; %bb.3133:                             ;   in Loop: Header=BB460_1375 Depth=1
	s_or_b32 exec_lo, exec_lo, s9
	v_mov_b32_e32 v2, 0
	s_mov_b32 s9, exec_lo
	v_cmpx_lt_u32_e32 0xffffff, v0
	s_cbranch_execz .LBB460_3141
; %bb.3134:                             ;   in Loop: Header=BB460_1375 Depth=1
	v_lshrrev_b32_e32 v125, 24, v0
	v_bfrev_b32_e32 v2, 1
	s_mov_b32 s12, exec_lo
	s_delay_alu instid0(VALU_DEP_2)
	v_cmpx_ne_u32_e32 0x80, v125
	s_cbranch_execz .LBB460_3140
; %bb.3135:                             ;   in Loop: Header=BB460_1375 Depth=1
	v_bfe_u32 v3, v0, 24, 7
	v_mov_b32_e32 v2, 0x7f800001
	s_mov_b32 s13, exec_lo
	s_delay_alu instid0(VALU_DEP_2)
	v_cmpx_ne_u32_e32 0x7f, v3
	s_cbranch_execz .LBB460_3139
; %bb.3136:                             ;   in Loop: Header=BB460_1375 Depth=1
	v_and_b32_e32 v9, 7, v125
	v_lshrrev_b32_e32 v126, 3, v3
	v_cmp_gt_u32_e64 s0, 8, v3
	s_delay_alu instid0(VALU_DEP_3) | instskip(NEXT) | instid1(VALU_DEP_2)
	v_dual_mov_b32 v2, v9 :: v_dual_mov_b32 v3, v10
	s_and_saveexec_b32 s15, s0
; %bb.3137:                             ;   in Loop: Header=BB460_1375 Depth=1
	v_clz_i32_u32_e32 v2, v9
	s_delay_alu instid0(VALU_DEP_1) | instskip(NEXT) | instid1(VALU_DEP_1)
	v_min_u32_e32 v126, 32, v2
	v_subrev_nc_u32_e32 v2, 28, v126
	v_sub_nc_u32_e32 v126, 29, v126
	s_delay_alu instid0(VALU_DEP_2) | instskip(NEXT) | instid1(VALU_DEP_1)
	v_lshlrev_b64 v[2:3], v2, v[9:10]
	v_and_b32_e32 v2, 7, v2
; %bb.3138:                             ;   in Loop: Header=BB460_1375 Depth=1
	s_or_b32 exec_lo, exec_lo, s15
	v_lshlrev_b32_e32 v3, 24, v125
	s_delay_alu instid0(VALU_DEP_2) | instskip(SKIP_1) | instid1(VALU_DEP_3)
	v_lshlrev_b32_e32 v2, 20, v2
	v_lshl_add_u32 v9, v126, 23, 0x3c000000
	v_and_b32_e32 v3, 0x80000000, v3
	s_delay_alu instid0(VALU_DEP_1)
	v_or3_b32 v2, v2, v3, v9
.LBB460_3139:                           ;   in Loop: Header=BB460_1375 Depth=1
	s_or_b32 exec_lo, exec_lo, s13
.LBB460_3140:                           ;   in Loop: Header=BB460_1375 Depth=1
	s_delay_alu instid0(SALU_CYCLE_1)
	s_or_b32 exec_lo, exec_lo, s12
.LBB460_3141:                           ;   in Loop: Header=BB460_1375 Depth=1
	s_delay_alu instid0(SALU_CYCLE_1) | instskip(NEXT) | instid1(VALU_DEP_1)
	s_or_b32 exec_lo, exec_lo, s9
	v_mul_f32_e32 v2, v26, v2
                                        ; implicit-def: $vgpr125
	s_delay_alu instid0(VALU_DEP_1) | instskip(NEXT) | instid1(VALU_DEP_1)
	v_and_b32_e32 v3, 0x7f800000, v2
	v_cmp_ne_u32_e64 s0, 0x7f800000, v3
	s_delay_alu instid0(VALU_DEP_1) | instskip(NEXT) | instid1(SALU_CYCLE_1)
	s_and_saveexec_b32 s9, s0
	s_xor_b32 s0, exec_lo, s9
; %bb.3142:                             ;   in Loop: Header=BB460_1375 Depth=1
	v_bfe_u32 v3, v2, 16, 1
	s_delay_alu instid0(VALU_DEP_1)
	v_add3_u32 v125, v2, v3, 0x7fff
                                        ; implicit-def: $vgpr2
; %bb.3143:                             ;   in Loop: Header=BB460_1375 Depth=1
	s_and_not1_saveexec_b32 s9, s0
; %bb.3144:                             ;   in Loop: Header=BB460_1375 Depth=1
	v_and_b32_e32 v3, 0xffff, v2
	v_or_b32_e32 v9, 0x10000, v2
	s_delay_alu instid0(VALU_DEP_2) | instskip(NEXT) | instid1(VALU_DEP_1)
	v_cmp_eq_u32_e64 s0, 0, v3
	v_cndmask_b32_e64 v125, v9, v2, s0
; %bb.3145:                             ;   in Loop: Header=BB460_1375 Depth=1
	s_or_b32 exec_lo, exec_lo, s9
	v_dual_mov_b32 v2, 0 :: v_dual_and_b32 v3, 0xff, v1
	v_mov_b32_e32 v9, v1
	s_mov_b32 s9, exec_lo
	s_delay_alu instid0(VALU_DEP_2)
	v_cmpx_ne_u16_e32 0, v3
	s_cbranch_execz .LBB460_3153
; %bb.3146:                             ;   in Loop: Header=BB460_1375 Depth=1
	v_bfrev_b32_e32 v2, 1
	s_mov_b32 s12, exec_lo
	v_cmpx_ne_u16_e32 0x80, v3
	s_cbranch_execz .LBB460_3152
; %bb.3147:                             ;   in Loop: Header=BB460_1375 Depth=1
	v_and_b32_e32 v3, 0x7f, v1
	v_mov_b32_e32 v2, 0x7f800001
	s_mov_b32 s13, exec_lo
	s_delay_alu instid0(VALU_DEP_2)
	v_cmpx_ne_u32_e32 0x7f, v3
	s_cbranch_execz .LBB460_3151
; %bb.3148:                             ;   in Loop: Header=BB460_1375 Depth=1
	v_lshrrev_b32_e32 v126, 3, v3
	v_cmp_gt_u32_e64 s0, 8, v3
	v_dual_mov_b32 v2, v9 :: v_dual_mov_b32 v3, v10
	s_delay_alu instid0(VALU_DEP_2)
	s_and_saveexec_b32 s15, s0
; %bb.3149:                             ;   in Loop: Header=BB460_1375 Depth=1
	v_and_b32_e32 v2, 7, v1
	s_delay_alu instid0(VALU_DEP_1) | instskip(NEXT) | instid1(VALU_DEP_1)
	v_clz_i32_u32_e32 v2, v2
	v_min_u32_e32 v126, 32, v2
	s_delay_alu instid0(VALU_DEP_1) | instskip(SKIP_1) | instid1(VALU_DEP_2)
	v_subrev_nc_u32_e32 v2, 28, v126
	v_sub_nc_u32_e32 v126, 29, v126
	v_lshlrev_b64 v[2:3], v2, v[9:10]
; %bb.3150:                             ;   in Loop: Header=BB460_1375 Depth=1
	s_or_b32 exec_lo, exec_lo, s15
	s_delay_alu instid0(VALU_DEP_1) | instskip(SKIP_2) | instid1(VALU_DEP_3)
	v_lshlrev_b32_e32 v2, 20, v2
	v_lshlrev_b32_e32 v3, 24, v9
	v_lshl_add_u32 v126, v126, 23, 0x3c000000
	v_and_b32_e32 v2, 0x700000, v2
	s_delay_alu instid0(VALU_DEP_3) | instskip(NEXT) | instid1(VALU_DEP_1)
	v_and_b32_e32 v3, 0x80000000, v3
	v_or3_b32 v2, v2, v3, v126
.LBB460_3151:                           ;   in Loop: Header=BB460_1375 Depth=1
	s_or_b32 exec_lo, exec_lo, s13
.LBB460_3152:                           ;   in Loop: Header=BB460_1375 Depth=1
	s_delay_alu instid0(SALU_CYCLE_1)
	s_or_b32 exec_lo, exec_lo, s12
.LBB460_3153:                           ;   in Loop: Header=BB460_1375 Depth=1
	s_delay_alu instid0(SALU_CYCLE_1) | instskip(NEXT) | instid1(VALU_DEP_1)
	s_or_b32 exec_lo, exec_lo, s9
	v_mul_f32_e32 v2, v26, v2
                                        ; implicit-def: $vgpr126
	s_delay_alu instid0(VALU_DEP_1) | instskip(NEXT) | instid1(VALU_DEP_1)
	v_and_b32_e32 v3, 0x7f800000, v2
	v_cmp_ne_u32_e64 s0, 0x7f800000, v3
	s_delay_alu instid0(VALU_DEP_1) | instskip(NEXT) | instid1(SALU_CYCLE_1)
	s_and_saveexec_b32 s9, s0
	s_xor_b32 s0, exec_lo, s9
; %bb.3154:                             ;   in Loop: Header=BB460_1375 Depth=1
	v_bfe_u32 v3, v2, 16, 1
	s_delay_alu instid0(VALU_DEP_1)
	v_add3_u32 v126, v2, v3, 0x7fff
                                        ; implicit-def: $vgpr2
; %bb.3155:                             ;   in Loop: Header=BB460_1375 Depth=1
	s_and_not1_saveexec_b32 s9, s0
; %bb.3156:                             ;   in Loop: Header=BB460_1375 Depth=1
	v_and_b32_e32 v3, 0xffff, v2
	v_or_b32_e32 v126, 0x10000, v2
	s_delay_alu instid0(VALU_DEP_2) | instskip(NEXT) | instid1(VALU_DEP_1)
	v_cmp_eq_u32_e64 s0, 0, v3
	v_cndmask_b32_e64 v126, v126, v2, s0
; %bb.3157:                             ;   in Loop: Header=BB460_1375 Depth=1
	s_or_b32 exec_lo, exec_lo, s9
	v_lshrrev_b16 v3, 8, v9
	v_mov_b32_e32 v2, 0
	s_mov_b32 s9, exec_lo
	s_delay_alu instid0(VALU_DEP_2)
	v_cmpx_ne_u16_e32 0, v3
	s_cbranch_execz .LBB460_3165
; %bb.3158:                             ;   in Loop: Header=BB460_1375 Depth=1
	v_bfrev_b32_e32 v2, 1
	s_mov_b32 s12, exec_lo
	v_cmpx_ne_u16_e32 0x80, v3
	s_cbranch_execz .LBB460_3164
; %bb.3159:                             ;   in Loop: Header=BB460_1375 Depth=1
	v_and_b32_e32 v3, 0xffff, v3
	v_mov_b32_e32 v2, 0x7f800001
	s_mov_b32 s13, exec_lo
	s_delay_alu instid0(VALU_DEP_2) | instskip(NEXT) | instid1(VALU_DEP_1)
	v_and_b32_e32 v136, 0x7f, v3
	v_cmpx_ne_u32_e32 0x7f, v136
	s_cbranch_execz .LBB460_3163
; %bb.3160:                             ;   in Loop: Header=BB460_1375 Depth=1
	v_dual_mov_b32 v3, v10 :: v_dual_and_b32 v2, 7, v3
	v_lshrrev_b32_e32 v127, 3, v136
	s_mov_b32 s15, exec_lo
	v_cmpx_gt_u32_e32 8, v136
; %bb.3161:                             ;   in Loop: Header=BB460_1375 Depth=1
	s_delay_alu instid0(VALU_DEP_3) | instskip(NEXT) | instid1(VALU_DEP_1)
	v_clz_i32_u32_e32 v127, v2
	v_min_u32_e32 v127, 32, v127
	s_delay_alu instid0(VALU_DEP_1) | instskip(SKIP_1) | instid1(VALU_DEP_2)
	v_subrev_nc_u32_e32 v136, 28, v127
	v_sub_nc_u32_e32 v127, 29, v127
	v_lshlrev_b64 v[2:3], v136, v[2:3]
	s_delay_alu instid0(VALU_DEP_1)
	v_and_b32_e32 v2, 7, v2
; %bb.3162:                             ;   in Loop: Header=BB460_1375 Depth=1
	s_or_b32 exec_lo, exec_lo, s15
	v_lshlrev_b32_e32 v3, 16, v9
	s_delay_alu instid0(VALU_DEP_2) | instskip(SKIP_1) | instid1(VALU_DEP_3)
	v_lshlrev_b32_e32 v2, 20, v2
	v_lshl_add_u32 v9, v127, 23, 0x3c000000
	v_and_b32_e32 v3, 0x80000000, v3
	s_delay_alu instid0(VALU_DEP_1)
	v_or3_b32 v2, v2, v3, v9
.LBB460_3163:                           ;   in Loop: Header=BB460_1375 Depth=1
	s_or_b32 exec_lo, exec_lo, s13
.LBB460_3164:                           ;   in Loop: Header=BB460_1375 Depth=1
	s_delay_alu instid0(SALU_CYCLE_1)
	s_or_b32 exec_lo, exec_lo, s12
.LBB460_3165:                           ;   in Loop: Header=BB460_1375 Depth=1
	s_delay_alu instid0(SALU_CYCLE_1) | instskip(NEXT) | instid1(VALU_DEP_1)
	s_or_b32 exec_lo, exec_lo, s9
	v_mul_f32_e32 v2, v26, v2
                                        ; implicit-def: $vgpr127
	s_delay_alu instid0(VALU_DEP_1) | instskip(NEXT) | instid1(VALU_DEP_1)
	v_and_b32_e32 v3, 0x7f800000, v2
	v_cmp_ne_u32_e64 s0, 0x7f800000, v3
	s_delay_alu instid0(VALU_DEP_1) | instskip(NEXT) | instid1(SALU_CYCLE_1)
	s_and_saveexec_b32 s9, s0
	s_xor_b32 s0, exec_lo, s9
; %bb.3166:                             ;   in Loop: Header=BB460_1375 Depth=1
	v_bfe_u32 v3, v2, 16, 1
	s_delay_alu instid0(VALU_DEP_1)
	v_add3_u32 v127, v2, v3, 0x7fff
                                        ; implicit-def: $vgpr2
; %bb.3167:                             ;   in Loop: Header=BB460_1375 Depth=1
	s_and_not1_saveexec_b32 s9, s0
; %bb.3168:                             ;   in Loop: Header=BB460_1375 Depth=1
	v_and_b32_e32 v3, 0xffff, v2
	v_or_b32_e32 v9, 0x10000, v2
	s_delay_alu instid0(VALU_DEP_2) | instskip(NEXT) | instid1(VALU_DEP_1)
	v_cmp_eq_u32_e64 s0, 0, v3
	v_cndmask_b32_e64 v127, v9, v2, s0
; %bb.3169:                             ;   in Loop: Header=BB460_1375 Depth=1
	s_or_b32 exec_lo, exec_lo, s9
	v_lshrrev_b32_e32 v136, 16, v1
	s_mov_b32 s9, exec_lo
	s_delay_alu instid0(VALU_DEP_1) | instskip(NEXT) | instid1(VALU_DEP_1)
	v_dual_mov_b32 v2, 0 :: v_dual_and_b32 v3, 0xff, v136
	v_cmpx_ne_u16_e32 0, v3
	s_cbranch_execz .LBB460_3177
; %bb.3170:                             ;   in Loop: Header=BB460_1375 Depth=1
	v_bfrev_b32_e32 v2, 1
	s_mov_b32 s12, exec_lo
	v_cmpx_ne_u16_e32 0x80, v3
	s_cbranch_execz .LBB460_3176
; %bb.3171:                             ;   in Loop: Header=BB460_1375 Depth=1
	v_bfe_u32 v3, v1, 16, 7
	v_mov_b32_e32 v2, 0x7f800001
	s_mov_b32 s13, exec_lo
	s_delay_alu instid0(VALU_DEP_2)
	v_cmpx_ne_u32_e32 0x7f, v3
	s_cbranch_execz .LBB460_3175
; %bb.3172:                             ;   in Loop: Header=BB460_1375 Depth=1
	v_and_b32_e32 v9, 7, v136
	v_lshrrev_b32_e32 v137, 3, v3
	v_cmp_gt_u32_e64 s0, 8, v3
	s_delay_alu instid0(VALU_DEP_3) | instskip(NEXT) | instid1(VALU_DEP_2)
	v_dual_mov_b32 v2, v9 :: v_dual_mov_b32 v3, v10
	s_and_saveexec_b32 s15, s0
; %bb.3173:                             ;   in Loop: Header=BB460_1375 Depth=1
	v_clz_i32_u32_e32 v2, v9
	s_delay_alu instid0(VALU_DEP_1) | instskip(NEXT) | instid1(VALU_DEP_1)
	v_min_u32_e32 v137, 32, v2
	v_subrev_nc_u32_e32 v2, 28, v137
	v_sub_nc_u32_e32 v137, 29, v137
	s_delay_alu instid0(VALU_DEP_2) | instskip(NEXT) | instid1(VALU_DEP_1)
	v_lshlrev_b64 v[2:3], v2, v[9:10]
	v_and_b32_e32 v2, 7, v2
; %bb.3174:                             ;   in Loop: Header=BB460_1375 Depth=1
	s_or_b32 exec_lo, exec_lo, s15
	v_lshlrev_b32_e32 v3, 24, v136
	s_delay_alu instid0(VALU_DEP_2) | instskip(SKIP_1) | instid1(VALU_DEP_3)
	v_lshlrev_b32_e32 v2, 20, v2
	v_lshl_add_u32 v9, v137, 23, 0x3c000000
	v_and_b32_e32 v3, 0x80000000, v3
	s_delay_alu instid0(VALU_DEP_1)
	v_or3_b32 v2, v2, v3, v9
.LBB460_3175:                           ;   in Loop: Header=BB460_1375 Depth=1
	s_or_b32 exec_lo, exec_lo, s13
.LBB460_3176:                           ;   in Loop: Header=BB460_1375 Depth=1
	s_delay_alu instid0(SALU_CYCLE_1)
	s_or_b32 exec_lo, exec_lo, s12
.LBB460_3177:                           ;   in Loop: Header=BB460_1375 Depth=1
	s_delay_alu instid0(SALU_CYCLE_1) | instskip(NEXT) | instid1(VALU_DEP_1)
	s_or_b32 exec_lo, exec_lo, s9
	v_mul_f32_e32 v3, v26, v2
	s_delay_alu instid0(VALU_DEP_1) | instskip(NEXT) | instid1(VALU_DEP_1)
	v_and_b32_e32 v2, 0x7f800000, v3
	v_cmp_ne_u32_e64 s0, 0x7f800000, v2
                                        ; implicit-def: $vgpr2
	s_delay_alu instid0(VALU_DEP_1) | instskip(NEXT) | instid1(SALU_CYCLE_1)
	s_and_saveexec_b32 s9, s0
	s_xor_b32 s0, exec_lo, s9
; %bb.3178:                             ;   in Loop: Header=BB460_1375 Depth=1
	v_bfe_u32 v2, v3, 16, 1
	s_delay_alu instid0(VALU_DEP_1)
	v_add3_u32 v2, v3, v2, 0x7fff
                                        ; implicit-def: $vgpr3
; %bb.3179:                             ;   in Loop: Header=BB460_1375 Depth=1
	s_and_not1_saveexec_b32 s9, s0
; %bb.3180:                             ;   in Loop: Header=BB460_1375 Depth=1
	v_and_b32_e32 v2, 0xffff, v3
	v_or_b32_e32 v9, 0x10000, v3
	s_delay_alu instid0(VALU_DEP_2) | instskip(NEXT) | instid1(VALU_DEP_1)
	v_cmp_eq_u32_e64 s0, 0, v2
	v_cndmask_b32_e64 v2, v9, v3, s0
; %bb.3181:                             ;   in Loop: Header=BB460_1375 Depth=1
	s_or_b32 exec_lo, exec_lo, s9
	v_cmp_lt_u64_e64 s0, s[2:3], v[0:1]
	v_mov_b32_e32 v0, 0
	s_delay_alu instid0(VALU_DEP_2)
	s_and_saveexec_b32 s9, s0
	s_cbranch_execz .LBB460_3189
; %bb.3182:                             ;   in Loop: Header=BB460_1375 Depth=1
	v_lshrrev_b32_e32 v3, 24, v1
	v_bfrev_b32_e32 v0, 1
	s_mov_b32 s12, exec_lo
	s_delay_alu instid0(VALU_DEP_2)
	v_cmpx_ne_u32_e32 0x80, v3
	s_cbranch_execz .LBB460_3188
; %bb.3183:                             ;   in Loop: Header=BB460_1375 Depth=1
	v_bfe_u32 v1, v1, 24, 7
	v_mov_b32_e32 v0, 0x7f800001
	s_mov_b32 s13, exec_lo
	s_delay_alu instid0(VALU_DEP_2)
	v_cmpx_ne_u32_e32 0x7f, v1
	s_cbranch_execz .LBB460_3187
; %bb.3184:                             ;   in Loop: Header=BB460_1375 Depth=1
	v_and_b32_e32 v9, 7, v3
	v_lshrrev_b32_e32 v136, 3, v1
	v_cmp_gt_u32_e64 s0, 8, v1
	s_delay_alu instid0(VALU_DEP_3) | instskip(NEXT) | instid1(VALU_DEP_2)
	v_dual_mov_b32 v0, v9 :: v_dual_mov_b32 v1, v10
	s_and_saveexec_b32 s15, s0
; %bb.3185:                             ;   in Loop: Header=BB460_1375 Depth=1
	v_clz_i32_u32_e32 v0, v9
	s_delay_alu instid0(VALU_DEP_1) | instskip(NEXT) | instid1(VALU_DEP_1)
	v_min_u32_e32 v136, 32, v0
	v_subrev_nc_u32_e32 v0, 28, v136
	v_sub_nc_u32_e32 v136, 29, v136
	s_delay_alu instid0(VALU_DEP_2) | instskip(NEXT) | instid1(VALU_DEP_1)
	v_lshlrev_b64 v[0:1], v0, v[9:10]
	v_and_b32_e32 v0, 7, v0
; %bb.3186:                             ;   in Loop: Header=BB460_1375 Depth=1
	s_or_b32 exec_lo, exec_lo, s15
	v_lshlrev_b32_e32 v1, 24, v3
	s_delay_alu instid0(VALU_DEP_2) | instskip(SKIP_1) | instid1(VALU_DEP_3)
	v_lshlrev_b32_e32 v0, 20, v0
	v_lshl_add_u32 v3, v136, 23, 0x3c000000
	v_and_b32_e32 v1, 0x80000000, v1
	s_delay_alu instid0(VALU_DEP_1)
	v_or3_b32 v0, v0, v1, v3
.LBB460_3187:                           ;   in Loop: Header=BB460_1375 Depth=1
	s_or_b32 exec_lo, exec_lo, s13
.LBB460_3188:                           ;   in Loop: Header=BB460_1375 Depth=1
	s_delay_alu instid0(SALU_CYCLE_1)
	s_or_b32 exec_lo, exec_lo, s12
.LBB460_3189:                           ;   in Loop: Header=BB460_1375 Depth=1
	s_delay_alu instid0(SALU_CYCLE_1) | instskip(NEXT) | instid1(VALU_DEP_1)
	s_or_b32 exec_lo, exec_lo, s9
	v_mul_f32_e32 v0, v26, v0
                                        ; implicit-def: $vgpr136
	s_delay_alu instid0(VALU_DEP_1) | instskip(NEXT) | instid1(VALU_DEP_1)
	v_and_b32_e32 v1, 0x7f800000, v0
	v_cmp_ne_u32_e64 s0, 0x7f800000, v1
	s_delay_alu instid0(VALU_DEP_1) | instskip(NEXT) | instid1(SALU_CYCLE_1)
	s_and_saveexec_b32 s9, s0
	s_xor_b32 s0, exec_lo, s9
; %bb.3190:                             ;   in Loop: Header=BB460_1375 Depth=1
	v_bfe_u32 v1, v0, 16, 1
	s_delay_alu instid0(VALU_DEP_1)
	v_add3_u32 v136, v0, v1, 0x7fff
                                        ; implicit-def: $vgpr0
; %bb.3191:                             ;   in Loop: Header=BB460_1375 Depth=1
	s_and_not1_saveexec_b32 s9, s0
; %bb.3192:                             ;   in Loop: Header=BB460_1375 Depth=1
	v_and_b32_e32 v1, 0xffff, v0
	v_or_b32_e32 v3, 0x10000, v0
	s_delay_alu instid0(VALU_DEP_2) | instskip(NEXT) | instid1(VALU_DEP_1)
	v_cmp_eq_u32_e64 s0, 0, v1
	v_cndmask_b32_e64 v136, v3, v0, s0
; %bb.3193:                             ;   in Loop: Header=BB460_1375 Depth=1
	s_or_b32 exec_lo, exec_lo, s9
	v_lshrrev_b32_e32 v127, 16, v127
	v_lshrrev_b32_e32 v9, 16, v126
	;; [unrolled: 1-line block ×8, first 2 shown]
	s_and_saveexec_b32 s0, vcc_lo
	s_cbranch_execz .LBB460_3195
; %bb.3194:                             ;   in Loop: Header=BB460_1375 Depth=1
	v_cmp_lt_i32_e32 vcc_lo, v66, v36
	v_cndmask_b32_e32 v0, 0, v0, vcc_lo
	v_cmp_lt_i32_e32 vcc_lo, v80, v36
	v_cndmask_b32_e32 v1, 0, v1, vcc_lo
	;; [unrolled: 2-line block ×8, first 2 shown]
.LBB460_3195:                           ;   in Loop: Header=BB460_1375 Depth=1
	s_or_b32 exec_lo, exec_lo, s0
	v_lshlrev_b32_e32 v0, 16, v0
	s_delay_alu instid0(VALU_DEP_1) | instskip(NEXT) | instid1(VALU_DEP_1)
	v_mul_f32_e32 v2, v81, v0
	v_and_b32_e32 v0, 0x7f800000, v2
	s_delay_alu instid0(VALU_DEP_1) | instskip(SKIP_1) | instid1(SALU_CYCLE_1)
	v_cmp_ne_u32_e32 vcc_lo, 0x7f800000, v0
                                        ; implicit-def: $vgpr0
	s_and_saveexec_b32 s0, vcc_lo
	s_xor_b32 s0, exec_lo, s0
; %bb.3196:                             ;   in Loop: Header=BB460_1375 Depth=1
	v_bfe_u32 v0, v2, 16, 1
	s_delay_alu instid0(VALU_DEP_1)
	v_add3_u32 v0, v2, v0, 0x7fff
                                        ; implicit-def: $vgpr2
; %bb.3197:                             ;   in Loop: Header=BB460_1375 Depth=1
	s_and_not1_saveexec_b32 s0, s0
; %bb.3198:                             ;   in Loop: Header=BB460_1375 Depth=1
	v_and_b32_e32 v0, 0xffff, v2
	v_or_b32_e32 v66, 0x10000, v2
	s_delay_alu instid0(VALU_DEP_2) | instskip(NEXT) | instid1(VALU_DEP_2)
	v_cmp_eq_u32_e32 vcc_lo, 0, v0
	v_cndmask_b32_e32 v0, v66, v2, vcc_lo
; %bb.3199:                             ;   in Loop: Header=BB460_1375 Depth=1
	s_or_b32 exec_lo, exec_lo, s0
	v_lshlrev_b32_e32 v1, 16, v1
	s_delay_alu instid0(VALU_DEP_1) | instskip(NEXT) | instid1(VALU_DEP_1)
	v_mul_f32_e32 v2, v82, v1
	v_and_b32_e32 v1, 0x7f800000, v2
	s_delay_alu instid0(VALU_DEP_1) | instskip(SKIP_1) | instid1(SALU_CYCLE_1)
	v_cmp_ne_u32_e32 vcc_lo, 0x7f800000, v1
                                        ; implicit-def: $vgpr1
	s_and_saveexec_b32 s0, vcc_lo
	s_xor_b32 s0, exec_lo, s0
; %bb.3200:                             ;   in Loop: Header=BB460_1375 Depth=1
	v_bfe_u32 v1, v2, 16, 1
	s_delay_alu instid0(VALU_DEP_1)
	v_add3_u32 v1, v2, v1, 0x7fff
                                        ; implicit-def: $vgpr2
; %bb.3201:                             ;   in Loop: Header=BB460_1375 Depth=1
	s_and_not1_saveexec_b32 s0, s0
; %bb.3202:                             ;   in Loop: Header=BB460_1375 Depth=1
	v_and_b32_e32 v1, 0xffff, v2
	v_or_b32_e32 v66, 0x10000, v2
	s_delay_alu instid0(VALU_DEP_2) | instskip(NEXT) | instid1(VALU_DEP_2)
	v_cmp_eq_u32_e32 vcc_lo, 0, v1
	v_cndmask_b32_e32 v1, v66, v2, vcc_lo
; %bb.3203:                             ;   in Loop: Header=BB460_1375 Depth=1
	s_or_b32 exec_lo, exec_lo, s0
	v_lshlrev_b32_e32 v2, 16, v124
	s_delay_alu instid0(VALU_DEP_1) | instskip(NEXT) | instid1(VALU_DEP_1)
	v_mul_f32_e32 v66, v83, v2
	v_and_b32_e32 v2, 0x7f800000, v66
	s_delay_alu instid0(VALU_DEP_1) | instskip(SKIP_1) | instid1(SALU_CYCLE_1)
	v_cmp_ne_u32_e32 vcc_lo, 0x7f800000, v2
                                        ; implicit-def: $vgpr2
	s_and_saveexec_b32 s0, vcc_lo
	s_xor_b32 s0, exec_lo, s0
; %bb.3204:                             ;   in Loop: Header=BB460_1375 Depth=1
	v_bfe_u32 v2, v66, 16, 1
	s_delay_alu instid0(VALU_DEP_1)
	v_add3_u32 v2, v66, v2, 0x7fff
                                        ; implicit-def: $vgpr66
; %bb.3205:                             ;   in Loop: Header=BB460_1375 Depth=1
	s_and_not1_saveexec_b32 s0, s0
; %bb.3206:                             ;   in Loop: Header=BB460_1375 Depth=1
	v_and_b32_e32 v2, 0xffff, v66
	v_or_b32_e32 v67, 0x10000, v66
	s_delay_alu instid0(VALU_DEP_2) | instskip(NEXT) | instid1(VALU_DEP_2)
	v_cmp_eq_u32_e32 vcc_lo, 0, v2
	v_cndmask_b32_e32 v2, v67, v66, vcc_lo
; %bb.3207:                             ;   in Loop: Header=BB460_1375 Depth=1
	s_or_b32 exec_lo, exec_lo, s0
	v_lshlrev_b32_e32 v3, 16, v3
	s_delay_alu instid0(VALU_DEP_1) | instskip(NEXT) | instid1(VALU_DEP_1)
	v_mul_f32_e32 v66, v84, v3
	v_and_b32_e32 v3, 0x7f800000, v66
	s_delay_alu instid0(VALU_DEP_1) | instskip(SKIP_1) | instid1(SALU_CYCLE_1)
	v_cmp_ne_u32_e32 vcc_lo, 0x7f800000, v3
                                        ; implicit-def: $vgpr3
	s_and_saveexec_b32 s0, vcc_lo
	s_xor_b32 s0, exec_lo, s0
; %bb.3208:                             ;   in Loop: Header=BB460_1375 Depth=1
	v_bfe_u32 v3, v66, 16, 1
	s_delay_alu instid0(VALU_DEP_1)
	v_add3_u32 v3, v66, v3, 0x7fff
                                        ; implicit-def: $vgpr66
; %bb.3209:                             ;   in Loop: Header=BB460_1375 Depth=1
	s_and_not1_saveexec_b32 s0, s0
; %bb.3210:                             ;   in Loop: Header=BB460_1375 Depth=1
	v_and_b32_e32 v3, 0xffff, v66
	v_or_b32_e32 v67, 0x10000, v66
	s_delay_alu instid0(VALU_DEP_2) | instskip(NEXT) | instid1(VALU_DEP_2)
	v_cmp_eq_u32_e32 vcc_lo, 0, v3
	v_cndmask_b32_e32 v3, v67, v66, vcc_lo
; %bb.3211:                             ;   in Loop: Header=BB460_1375 Depth=1
	s_or_b32 exec_lo, exec_lo, s0
	v_lshlrev_b32_e32 v9, 16, v9
	s_delay_alu instid0(VALU_DEP_1) | instskip(NEXT) | instid1(VALU_DEP_1)
	v_mul_f32_e32 v66, v85, v9
	v_and_b32_e32 v9, 0x7f800000, v66
	s_delay_alu instid0(VALU_DEP_1) | instskip(SKIP_1) | instid1(SALU_CYCLE_1)
	v_cmp_ne_u32_e32 vcc_lo, 0x7f800000, v9
                                        ; implicit-def: $vgpr9
	s_and_saveexec_b32 s0, vcc_lo
	s_xor_b32 s0, exec_lo, s0
; %bb.3212:                             ;   in Loop: Header=BB460_1375 Depth=1
	v_bfe_u32 v9, v66, 16, 1
	s_delay_alu instid0(VALU_DEP_1)
	v_add3_u32 v9, v66, v9, 0x7fff
                                        ; implicit-def: $vgpr66
; %bb.3213:                             ;   in Loop: Header=BB460_1375 Depth=1
	s_and_not1_saveexec_b32 s0, s0
; %bb.3214:                             ;   in Loop: Header=BB460_1375 Depth=1
	v_and_b32_e32 v9, 0xffff, v66
	v_or_b32_e32 v67, 0x10000, v66
	s_delay_alu instid0(VALU_DEP_2) | instskip(NEXT) | instid1(VALU_DEP_2)
	v_cmp_eq_u32_e32 vcc_lo, 0, v9
	v_cndmask_b32_e32 v9, v67, v66, vcc_lo
; %bb.3215:                             ;   in Loop: Header=BB460_1375 Depth=1
	s_or_b32 exec_lo, exec_lo, s0
	v_lshlrev_b32_e32 v66, 16, v127
	s_delay_alu instid0(VALU_DEP_1) | instskip(NEXT) | instid1(VALU_DEP_1)
	v_mul_f32_e32 v67, v86, v66
	v_and_b32_e32 v66, 0x7f800000, v67
	s_delay_alu instid0(VALU_DEP_1) | instskip(SKIP_1) | instid1(SALU_CYCLE_1)
	v_cmp_ne_u32_e32 vcc_lo, 0x7f800000, v66
                                        ; implicit-def: $vgpr66
	s_and_saveexec_b32 s0, vcc_lo
	s_xor_b32 s0, exec_lo, s0
; %bb.3216:                             ;   in Loop: Header=BB460_1375 Depth=1
	v_bfe_u32 v66, v67, 16, 1
	s_delay_alu instid0(VALU_DEP_1)
	v_add3_u32 v66, v67, v66, 0x7fff
                                        ; implicit-def: $vgpr67
; %bb.3217:                             ;   in Loop: Header=BB460_1375 Depth=1
	s_and_not1_saveexec_b32 s0, s0
; %bb.3218:                             ;   in Loop: Header=BB460_1375 Depth=1
	v_and_b32_e32 v66, 0xffff, v67
	v_or_b32_e32 v68, 0x10000, v67
	s_delay_alu instid0(VALU_DEP_2) | instskip(NEXT) | instid1(VALU_DEP_2)
	v_cmp_eq_u32_e32 vcc_lo, 0, v66
	v_cndmask_b32_e32 v66, v68, v67, vcc_lo
; %bb.3219:                             ;   in Loop: Header=BB460_1375 Depth=1
	s_or_b32 exec_lo, exec_lo, s0
	v_lshlrev_b32_e32 v67, 16, v123
	s_delay_alu instid0(VALU_DEP_1) | instskip(NEXT) | instid1(VALU_DEP_1)
	v_mul_f32_e32 v68, v87, v67
	v_and_b32_e32 v67, 0x7f800000, v68
	s_delay_alu instid0(VALU_DEP_1) | instskip(SKIP_1) | instid1(SALU_CYCLE_1)
	v_cmp_ne_u32_e32 vcc_lo, 0x7f800000, v67
                                        ; implicit-def: $vgpr67
	s_and_saveexec_b32 s0, vcc_lo
	s_xor_b32 s0, exec_lo, s0
; %bb.3220:                             ;   in Loop: Header=BB460_1375 Depth=1
	v_bfe_u32 v67, v68, 16, 1
	s_delay_alu instid0(VALU_DEP_1)
	v_add3_u32 v67, v68, v67, 0x7fff
                                        ; implicit-def: $vgpr68
; %bb.3221:                             ;   in Loop: Header=BB460_1375 Depth=1
	s_and_not1_saveexec_b32 s0, s0
; %bb.3222:                             ;   in Loop: Header=BB460_1375 Depth=1
	v_and_b32_e32 v67, 0xffff, v68
	v_or_b32_e32 v69, 0x10000, v68
	s_delay_alu instid0(VALU_DEP_2) | instskip(NEXT) | instid1(VALU_DEP_2)
	v_cmp_eq_u32_e32 vcc_lo, 0, v67
	v_cndmask_b32_e32 v67, v69, v68, vcc_lo
; %bb.3223:                             ;   in Loop: Header=BB460_1375 Depth=1
	s_or_b32 exec_lo, exec_lo, s0
	v_lshlrev_b32_e32 v68, 16, v122
	s_delay_alu instid0(VALU_DEP_1) | instskip(NEXT) | instid1(VALU_DEP_1)
	v_mul_f32_e32 v69, v96, v68
	v_and_b32_e32 v68, 0x7f800000, v69
	s_delay_alu instid0(VALU_DEP_1) | instskip(SKIP_1) | instid1(SALU_CYCLE_1)
	v_cmp_ne_u32_e32 vcc_lo, 0x7f800000, v68
                                        ; implicit-def: $vgpr68
	s_and_saveexec_b32 s0, vcc_lo
	s_xor_b32 s0, exec_lo, s0
; %bb.3224:                             ;   in Loop: Header=BB460_1375 Depth=1
	v_bfe_u32 v68, v69, 16, 1
	s_delay_alu instid0(VALU_DEP_1)
	v_add3_u32 v68, v69, v68, 0x7fff
                                        ; implicit-def: $vgpr69
; %bb.3225:                             ;   in Loop: Header=BB460_1375 Depth=1
	s_and_not1_saveexec_b32 s0, s0
	s_cbranch_execz .LBB460_1374
; %bb.3226:                             ;   in Loop: Header=BB460_1375 Depth=1
	v_and_b32_e32 v68, 0xffff, v69
	v_or_b32_e32 v70, 0x10000, v69
	s_delay_alu instid0(VALU_DEP_2) | instskip(NEXT) | instid1(VALU_DEP_2)
	v_cmp_eq_u32_e32 vcc_lo, 0, v68
	v_cndmask_b32_e32 v68, v70, v69, vcc_lo
	s_branch .LBB460_1374
.LBB460_3227:
	s_or_b32 exec_lo, exec_lo, s8
	v_dual_mov_b32 v0, s10 :: v_dual_mov_b32 v1, s11
.LBB460_3228:
	s_or_b32 exec_lo, exec_lo, s7
	s_delay_alu instid0(VALU_DEP_1)
	v_lshlrev_b64 v[0:1], 2, v[0:1]
	s_getpc_b64 s[2:3]
	s_add_u32 s2, s2, llvm.amdgcn.dynlds.offset.table@rel32@lo+4
	s_addc_u32 s3, s3, llvm.amdgcn.dynlds.offset.table@rel32@hi+12
	s_waitcnt lgkmcnt(0)
	s_waitcnt_vscnt null, 0x0
	s_barrier
	buffer_gl0_inv
	ds_bpermute_b32 v2, v19, v49
	v_add_co_u32 v0, vcc_lo, v0, s2
	v_add_co_ci_u32_e32 v1, vcc_lo, s3, v1, vcc_lo
	ds_bpermute_b32 v3, v19, v48
	ds_bpermute_b32 v7, v19, v31
	ds_bpermute_b32 v8, v19, v30
	global_load_b32 v15, v[0:1], off
	ds_bpermute_b32 v0, v19, v39
	ds_bpermute_b32 v1, v19, v50
	ds_bpermute_b32 v10, v19, v28
	ds_bpermute_b32 v11, v19, v25
	ds_bpermute_b32 v12, v19, v24
	ds_bpermute_b32 v6, v19, v32
	ds_bpermute_b32 v13, v19, v21
	ds_bpermute_b32 v4, v19, v38
	ds_bpermute_b32 v5, v19, v33
	ds_bpermute_b32 v9, v19, v29
	s_waitcnt lgkmcnt(12)
	v_dual_add_f32 v2, v49, v2 :: v_dual_add_f32 v3, v48, v3
	s_waitcnt lgkmcnt(10)
	v_dual_add_f32 v7, v31, v7 :: v_dual_add_f32 v16, v30, v8
	s_waitcnt lgkmcnt(9)
	v_add_f32_e32 v0, v39, v0
	s_waitcnt lgkmcnt(7)
	v_dual_add_f32 v14, v50, v1 :: v_dual_add_f32 v19, v28, v10
	ds_bpermute_b32 v28, v18, v16
	s_waitcnt lgkmcnt(6)
	v_add_f32_e32 v23, v24, v12
	ds_bpermute_b32 v8, v18, v0
	ds_bpermute_b32 v10, v18, v2
	v_add_f32_e32 v22, v25, v11
	ds_bpermute_b32 v11, v18, v3
	ds_bpermute_b32 v27, v18, v7
	s_waitcnt lgkmcnt(5)
	v_dual_add_f32 v6, v32, v6 :: v_dual_add_f32 v17, v29, v9
	v_dual_add_f32 v21, v21, v13 :: v_dual_and_b32 v12, 0x3c3, v138
	scratch_load_b32 v1, off, s32 offset:548 ; 4-byte Folded Reload
	ds_bpermute_b32 v26, v18, v6
	v_dual_add_f32 v4, v38, v4 :: v_dual_add_f32 v5, v33, v5
	v_cmp_eq_u32_e32 vcc_lo, 64, v12
	ds_bpermute_b32 v9, v18, v14
	ds_bpermute_b32 v29, v18, v17
	;; [unrolled: 1-line block ×6, first 2 shown]
	s_waitcnt lgkmcnt(9)
	v_dual_add_f32 v0, v0, v8 :: v_dual_add_f32 v13, v2, v10
	ds_bpermute_b32 v31, v18, v22
	s_waitcnt lgkmcnt(9)
	v_add_f32_e32 v12, v3, v11
	s_waitcnt lgkmcnt(8)
	v_dual_add_f32 v8, v7, v27 :: v_dual_add_f32 v7, v16, v28
	scratch_load_b32 v16, off, s32 offset:552 ; 4-byte Folded Reload
	ds_bpermute_b32 v18, v18, v21
	s_waitcnt lgkmcnt(7)
	v_add_f32_e32 v14, v14, v9
	v_add_f32_e32 v9, v6, v26
	s_waitcnt lgkmcnt(4)
	v_dual_add_f32 v11, v4, v24 :: v_dual_add_f32 v10, v5, v25
	s_waitcnt lgkmcnt(3)
	v_dual_add_f32 v5, v19, v30 :: v_dual_add_f32 v6, v17, v29
	;; [unrolled: 2-line block ×3, first 2 shown]
	s_waitcnt lgkmcnt(0)
	v_add_f32_e32 v2, v21, v18
	s_waitcnt vmcnt(1)
	v_lshrrev_b32_e32 v1, 2, v1
	s_waitcnt vmcnt(0)
	v_mad_u32_u24 v15, 0x1c0, v16, v15
	s_delay_alu instid0(VALU_DEP_2)
	v_lshlrev_b32_e32 v16, 2, v1
	s_and_saveexec_b32 s0, vcc_lo
	s_cbranch_execz .LBB460_3230
; %bb.3229:
	s_delay_alu instid0(VALU_DEP_1)
	v_add3_u32 v17, v15, v16, 0xfffffc80
	ds_store_2addr_b32 v17, v0, v14 offset1:8
	ds_store_2addr_b32 v17, v13, v12 offset0:16 offset1:24
	ds_store_2addr_b32 v17, v11, v10 offset0:32 offset1:40
	;; [unrolled: 1-line block ×6, first 2 shown]
.LBB460_3230:
	s_or_b32 exec_lo, exec_lo, s0
	v_cmp_eq_u32_e32 vcc_lo, 0, v20
	v_cmp_gt_u32_e64 s0, 64, v138
	s_waitcnt lgkmcnt(0)
	s_barrier
	buffer_gl0_inv
	s_mov_b32 s2, exec_lo
	s_clause 0x1
	scratch_load_b32 v18, off, s32 offset:556
	scratch_load_b32 v19, off, s32 offset:560
	s_and_b32 s0, s2, s0
	s_delay_alu instid0(SALU_CYCLE_1)
	s_mov_b32 exec_lo, s0
	s_cbranch_execz .LBB460_3247
; %bb.3231:
	s_and_saveexec_b32 s0, vcc_lo
	s_cbranch_execnz .LBB460_3326
; %bb.3232:
	s_or_b32 exec_lo, exec_lo, s0
	s_and_saveexec_b32 s0, vcc_lo
	s_cbranch_execnz .LBB460_3327
.LBB460_3233:
	s_or_b32 exec_lo, exec_lo, s0
	s_and_saveexec_b32 s0, vcc_lo
	s_cbranch_execnz .LBB460_3328
.LBB460_3234:
	s_or_b32 exec_lo, exec_lo, s0
	s_and_saveexec_b32 s0, vcc_lo
	s_cbranch_execnz .LBB460_3329
.LBB460_3235:
	s_or_b32 exec_lo, exec_lo, s0
	s_and_saveexec_b32 s0, vcc_lo
	s_cbranch_execnz .LBB460_3330
.LBB460_3236:
	s_or_b32 exec_lo, exec_lo, s0
	s_and_saveexec_b32 s0, vcc_lo
	s_cbranch_execnz .LBB460_3331
.LBB460_3237:
	s_or_b32 exec_lo, exec_lo, s0
	s_and_saveexec_b32 s0, vcc_lo
	s_cbranch_execnz .LBB460_3332
.LBB460_3238:
	s_or_b32 exec_lo, exec_lo, s0
	s_and_saveexec_b32 s0, vcc_lo
	s_cbranch_execnz .LBB460_3333
.LBB460_3239:
	s_or_b32 exec_lo, exec_lo, s0
	s_and_saveexec_b32 s0, vcc_lo
	s_cbranch_execnz .LBB460_3334
.LBB460_3240:
	s_or_b32 exec_lo, exec_lo, s0
	s_and_saveexec_b32 s0, vcc_lo
	s_cbranch_execnz .LBB460_3335
.LBB460_3241:
	s_or_b32 exec_lo, exec_lo, s0
	s_and_saveexec_b32 s0, vcc_lo
	s_cbranch_execnz .LBB460_3336
.LBB460_3242:
	s_or_b32 exec_lo, exec_lo, s0
	s_and_saveexec_b32 s0, vcc_lo
	s_cbranch_execnz .LBB460_3337
.LBB460_3243:
	s_or_b32 exec_lo, exec_lo, s0
	s_and_saveexec_b32 s0, vcc_lo
	s_cbranch_execnz .LBB460_3338
.LBB460_3244:
	s_or_b32 exec_lo, exec_lo, s0
	s_and_saveexec_b32 s0, vcc_lo
	s_cbranch_execz .LBB460_3246
.LBB460_3245:
	v_lshl_add_u32 v17, v1, 2, v15
	ds_load_b32 v17, v17 offset:416
	s_waitcnt lgkmcnt(0)
	v_add_f32_e32 v2, v17, v2
.LBB460_3246:
	s_or_b32 exec_lo, exec_lo, s0
.LBB460_3247:
	s_delay_alu instid0(SALU_CYCLE_1)
	s_or_b32 exec_lo, exec_lo, s2
	v_and_b32_e32 v17, 0x3e3, v138
	s_mov_b32 s2, exec_lo
	s_waitcnt vmcnt(0)
	s_barrier
	buffer_gl0_inv
	v_cmpx_eq_u32_e32 32, v17
	s_cbranch_execz .LBB460_3249
; %bb.3248:
	v_add3_u32 v16, v15, v16, 0xfffffe40
	ds_store_2addr_b32 v16, v0, v14 offset1:8
	ds_store_2addr_b32 v16, v13, v12 offset0:16 offset1:24
	ds_store_2addr_b32 v16, v11, v10 offset0:32 offset1:40
	;; [unrolled: 1-line block ×6, first 2 shown]
.LBB460_3249:
	s_or_b32 exec_lo, exec_lo, s2
	v_cmp_gt_u32_e64 s0, 32, v138
	s_waitcnt lgkmcnt(0)
	s_barrier
	buffer_gl0_inv
	s_and_saveexec_b32 s2, s0
	s_cbranch_execz .LBB460_3266
; %bb.3250:
	v_lshl_add_u32 v1, v1, 2, v15
	s_and_saveexec_b32 s3, vcc_lo
	s_cbranch_execnz .LBB460_3339
; %bb.3251:
	s_or_b32 exec_lo, exec_lo, s3
	s_and_saveexec_b32 s3, vcc_lo
	s_cbranch_execnz .LBB460_3340
.LBB460_3252:
	s_or_b32 exec_lo, exec_lo, s3
	s_and_saveexec_b32 s3, vcc_lo
	s_cbranch_execnz .LBB460_3341
.LBB460_3253:
	s_or_b32 exec_lo, exec_lo, s3
	s_and_saveexec_b32 s3, vcc_lo
	s_cbranch_execnz .LBB460_3342
.LBB460_3254:
	s_or_b32 exec_lo, exec_lo, s3
	s_and_saveexec_b32 s3, vcc_lo
	s_cbranch_execnz .LBB460_3343
.LBB460_3255:
	s_or_b32 exec_lo, exec_lo, s3
	s_and_saveexec_b32 s3, vcc_lo
	s_cbranch_execnz .LBB460_3344
.LBB460_3256:
	s_or_b32 exec_lo, exec_lo, s3
	s_and_saveexec_b32 s3, vcc_lo
	s_cbranch_execnz .LBB460_3345
.LBB460_3257:
	s_or_b32 exec_lo, exec_lo, s3
	s_and_saveexec_b32 s3, vcc_lo
	s_cbranch_execnz .LBB460_3346
.LBB460_3258:
	s_or_b32 exec_lo, exec_lo, s3
	s_and_saveexec_b32 s3, vcc_lo
	s_cbranch_execnz .LBB460_3347
.LBB460_3259:
	s_or_b32 exec_lo, exec_lo, s3
	s_and_saveexec_b32 s3, vcc_lo
	s_cbranch_execnz .LBB460_3348
.LBB460_3260:
	s_or_b32 exec_lo, exec_lo, s3
	s_and_saveexec_b32 s3, vcc_lo
	s_cbranch_execnz .LBB460_3349
.LBB460_3261:
	s_or_b32 exec_lo, exec_lo, s3
	s_and_saveexec_b32 s3, vcc_lo
	s_cbranch_execnz .LBB460_3350
.LBB460_3262:
	s_or_b32 exec_lo, exec_lo, s3
	s_and_saveexec_b32 s3, vcc_lo
	s_cbranch_execnz .LBB460_3351
.LBB460_3263:
	s_or_b32 exec_lo, exec_lo, s3
	s_and_saveexec_b32 s3, vcc_lo
	s_cbranch_execz .LBB460_3265
.LBB460_3264:
	ds_load_b32 v1, v1 offset:416
	s_waitcnt lgkmcnt(0)
	v_add_f32_e32 v2, v1, v2
.LBB460_3265:
	s_or_b32 exec_lo, exec_lo, s3
.LBB460_3266:
	s_delay_alu instid0(SALU_CYCLE_1)
	s_or_b32 exec_lo, exec_lo, s2
	s_barrier
	buffer_gl0_inv
	s_and_b32 exec_lo, exec_lo, s0
	s_cbranch_execz .LBB460_3325
; %bb.3267:
	s_and_b32 exec_lo, exec_lo, vcc_lo
	s_cbranch_execz .LBB460_3325
; %bb.3268:
	v_and_b32_e32 v1, 0x7f800000, v0
	s_mov_b32 s0, exec_lo
                                        ; implicit-def: $vgpr15
	s_delay_alu instid0(VALU_DEP_1)
	v_cmpx_ne_u32_e32 0x7f800000, v1
	s_xor_b32 s0, exec_lo, s0
; %bb.3269:
	v_bfe_u32 v1, v0, 16, 1
	s_delay_alu instid0(VALU_DEP_1)
	v_add3_u32 v15, v0, v1, 0x7fff
                                        ; implicit-def: $vgpr0
; %bb.3270:
	s_and_not1_saveexec_b32 s0, s0
; %bb.3271:
	v_and_b32_e32 v1, 0xffff, v0
	v_or_b32_e32 v15, 0x10000, v0
	s_delay_alu instid0(VALU_DEP_2) | instskip(NEXT) | instid1(VALU_DEP_2)
	v_cmp_eq_u32_e32 vcc_lo, 0, v1
	v_cndmask_b32_e32 v15, v15, v0, vcc_lo
; %bb.3272:
	s_or_b32 exec_lo, exec_lo, s0
	s_mul_i32 s2, s1, s4
	s_mul_i32 s0, s6, s1
	;; [unrolled: 1-line block ×5, first 2 shown]
	s_ashr_i32 s1, s0, 31
	s_ashr_i32 s3, s2, 31
	;; [unrolled: 1-line block ×3, first 2 shown]
	s_lshl_b64 s[0:1], s[0:1], 1
	s_lshl_b64 s[2:3], s[2:3], 1
	;; [unrolled: 1-line block ×3, first 2 shown]
	v_lshrrev_b32_e32 v0, 1, v138
	s_add_u32 s0, s2, s0
	s_addc_u32 s1, s3, s1
	s_add_u32 s0, s0, s6
	s_addc_u32 s1, s1, s7
	v_and_b32_e32 v0, 0x1fe, v0
	v_add_co_u32 v1, vcc_lo, s0, v19
	v_add_co_ci_u32_e32 v16, vcc_lo, s1, v18, vcc_lo
	v_and_b32_e32 v17, 0x7f800000, v14
	s_delay_alu instid0(VALU_DEP_3) | instskip(NEXT) | instid1(VALU_DEP_3)
	v_add_co_u32 v0, vcc_lo, v1, v0
	v_add_co_ci_u32_e32 v1, vcc_lo, 0, v16, vcc_lo
	s_mov_b32 s0, exec_lo
	flat_store_d16_hi_b16 v[0:1], v15
                                        ; implicit-def: $vgpr15
	v_cmpx_ne_u32_e32 0x7f800000, v17
	s_xor_b32 s0, exec_lo, s0
; %bb.3273:
	v_bfe_u32 v15, v14, 16, 1
	s_delay_alu instid0(VALU_DEP_1)
	v_add3_u32 v15, v14, v15, 0x7fff
                                        ; implicit-def: $vgpr14
; %bb.3274:
	s_and_not1_saveexec_b32 s0, s0
; %bb.3275:
	v_and_b32_e32 v15, 0xffff, v14
	v_or_b32_e32 v16, 0x10000, v14
	s_delay_alu instid0(VALU_DEP_2) | instskip(NEXT) | instid1(VALU_DEP_2)
	v_cmp_eq_u32_e32 vcc_lo, 0, v15
	v_cndmask_b32_e32 v15, v16, v14, vcc_lo
; %bb.3276:
	s_or_b32 exec_lo, exec_lo, s0
	v_and_b32_e32 v14, 0x7f800000, v13
	flat_store_d16_hi_b16 v[0:1], v15 offset:16
	v_cmp_ne_u32_e32 vcc_lo, 0x7f800000, v14
                                        ; implicit-def: $vgpr14
	s_and_saveexec_b32 s0, vcc_lo
	s_delay_alu instid0(SALU_CYCLE_1)
	s_xor_b32 s0, exec_lo, s0
; %bb.3277:
	v_bfe_u32 v14, v13, 16, 1
	s_delay_alu instid0(VALU_DEP_1)
	v_add3_u32 v14, v13, v14, 0x7fff
                                        ; implicit-def: $vgpr13
; %bb.3278:
	s_and_not1_saveexec_b32 s0, s0
; %bb.3279:
	v_and_b32_e32 v14, 0xffff, v13
	v_or_b32_e32 v15, 0x10000, v13
	s_delay_alu instid0(VALU_DEP_2) | instskip(NEXT) | instid1(VALU_DEP_2)
	v_cmp_eq_u32_e32 vcc_lo, 0, v14
	v_cndmask_b32_e32 v14, v15, v13, vcc_lo
; %bb.3280:
	s_or_b32 exec_lo, exec_lo, s0
	v_and_b32_e32 v13, 0x7f800000, v12
	flat_store_d16_hi_b16 v[0:1], v14 offset:32
	v_cmp_ne_u32_e32 vcc_lo, 0x7f800000, v13
                                        ; implicit-def: $vgpr13
	s_and_saveexec_b32 s0, vcc_lo
	s_delay_alu instid0(SALU_CYCLE_1)
	s_xor_b32 s0, exec_lo, s0
; %bb.3281:
	v_bfe_u32 v13, v12, 16, 1
	s_delay_alu instid0(VALU_DEP_1)
	v_add3_u32 v13, v12, v13, 0x7fff
                                        ; implicit-def: $vgpr12
; %bb.3282:
	s_and_not1_saveexec_b32 s0, s0
; %bb.3283:
	v_and_b32_e32 v13, 0xffff, v12
	v_or_b32_e32 v14, 0x10000, v12
	s_delay_alu instid0(VALU_DEP_2) | instskip(NEXT) | instid1(VALU_DEP_2)
	v_cmp_eq_u32_e32 vcc_lo, 0, v13
	v_cndmask_b32_e32 v13, v14, v12, vcc_lo
; %bb.3284:
	s_or_b32 exec_lo, exec_lo, s0
	v_and_b32_e32 v12, 0x7f800000, v11
	flat_store_d16_hi_b16 v[0:1], v13 offset:48
	v_cmp_ne_u32_e32 vcc_lo, 0x7f800000, v12
                                        ; implicit-def: $vgpr12
	s_and_saveexec_b32 s0, vcc_lo
	s_delay_alu instid0(SALU_CYCLE_1)
	s_xor_b32 s0, exec_lo, s0
; %bb.3285:
	v_bfe_u32 v12, v11, 16, 1
	s_delay_alu instid0(VALU_DEP_1)
	v_add3_u32 v12, v11, v12, 0x7fff
                                        ; implicit-def: $vgpr11
; %bb.3286:
	s_and_not1_saveexec_b32 s0, s0
; %bb.3287:
	v_and_b32_e32 v12, 0xffff, v11
	v_or_b32_e32 v13, 0x10000, v11
	s_delay_alu instid0(VALU_DEP_2) | instskip(NEXT) | instid1(VALU_DEP_2)
	v_cmp_eq_u32_e32 vcc_lo, 0, v12
	v_cndmask_b32_e32 v12, v13, v11, vcc_lo
; %bb.3288:
	s_or_b32 exec_lo, exec_lo, s0
	v_and_b32_e32 v11, 0x7f800000, v10
	flat_store_d16_hi_b16 v[0:1], v12 offset:64
	v_cmp_ne_u32_e32 vcc_lo, 0x7f800000, v11
                                        ; implicit-def: $vgpr11
	s_and_saveexec_b32 s0, vcc_lo
	s_delay_alu instid0(SALU_CYCLE_1)
	s_xor_b32 s0, exec_lo, s0
; %bb.3289:
	v_bfe_u32 v11, v10, 16, 1
	s_delay_alu instid0(VALU_DEP_1)
	v_add3_u32 v11, v10, v11, 0x7fff
                                        ; implicit-def: $vgpr10
; %bb.3290:
	s_and_not1_saveexec_b32 s0, s0
; %bb.3291:
	v_and_b32_e32 v11, 0xffff, v10
	v_or_b32_e32 v12, 0x10000, v10
	s_delay_alu instid0(VALU_DEP_2) | instskip(NEXT) | instid1(VALU_DEP_2)
	v_cmp_eq_u32_e32 vcc_lo, 0, v11
	v_cndmask_b32_e32 v11, v12, v10, vcc_lo
; %bb.3292:
	s_or_b32 exec_lo, exec_lo, s0
	v_and_b32_e32 v10, 0x7f800000, v9
	flat_store_d16_hi_b16 v[0:1], v11 offset:80
	v_cmp_ne_u32_e32 vcc_lo, 0x7f800000, v10
                                        ; implicit-def: $vgpr10
	s_and_saveexec_b32 s0, vcc_lo
	s_delay_alu instid0(SALU_CYCLE_1)
	s_xor_b32 s0, exec_lo, s0
; %bb.3293:
	v_bfe_u32 v10, v9, 16, 1
	s_delay_alu instid0(VALU_DEP_1)
	v_add3_u32 v10, v9, v10, 0x7fff
                                        ; implicit-def: $vgpr9
; %bb.3294:
	s_and_not1_saveexec_b32 s0, s0
; %bb.3295:
	v_and_b32_e32 v10, 0xffff, v9
	v_or_b32_e32 v11, 0x10000, v9
	s_delay_alu instid0(VALU_DEP_2) | instskip(NEXT) | instid1(VALU_DEP_2)
	v_cmp_eq_u32_e32 vcc_lo, 0, v10
	v_cndmask_b32_e32 v10, v11, v9, vcc_lo
; %bb.3296:
	s_or_b32 exec_lo, exec_lo, s0
	v_and_b32_e32 v9, 0x7f800000, v8
	flat_store_d16_hi_b16 v[0:1], v10 offset:96
	v_cmp_ne_u32_e32 vcc_lo, 0x7f800000, v9
                                        ; implicit-def: $vgpr9
	s_and_saveexec_b32 s0, vcc_lo
	s_delay_alu instid0(SALU_CYCLE_1)
	s_xor_b32 s0, exec_lo, s0
; %bb.3297:
	v_bfe_u32 v9, v8, 16, 1
	s_delay_alu instid0(VALU_DEP_1)
	v_add3_u32 v9, v8, v9, 0x7fff
                                        ; implicit-def: $vgpr8
; %bb.3298:
	s_and_not1_saveexec_b32 s0, s0
; %bb.3299:
	v_and_b32_e32 v9, 0xffff, v8
	v_or_b32_e32 v10, 0x10000, v8
	s_delay_alu instid0(VALU_DEP_2) | instskip(NEXT) | instid1(VALU_DEP_2)
	v_cmp_eq_u32_e32 vcc_lo, 0, v9
	v_cndmask_b32_e32 v9, v10, v8, vcc_lo
; %bb.3300:
	s_or_b32 exec_lo, exec_lo, s0
	v_and_b32_e32 v8, 0x7f800000, v7
	flat_store_d16_hi_b16 v[0:1], v9 offset:112
	v_cmp_ne_u32_e32 vcc_lo, 0x7f800000, v8
                                        ; implicit-def: $vgpr8
	s_and_saveexec_b32 s0, vcc_lo
	s_delay_alu instid0(SALU_CYCLE_1)
	s_xor_b32 s0, exec_lo, s0
; %bb.3301:
	v_bfe_u32 v8, v7, 16, 1
	s_delay_alu instid0(VALU_DEP_1)
	v_add3_u32 v8, v7, v8, 0x7fff
                                        ; implicit-def: $vgpr7
; %bb.3302:
	s_and_not1_saveexec_b32 s0, s0
; %bb.3303:
	v_and_b32_e32 v8, 0xffff, v7
	v_or_b32_e32 v9, 0x10000, v7
	s_delay_alu instid0(VALU_DEP_2) | instskip(NEXT) | instid1(VALU_DEP_2)
	v_cmp_eq_u32_e32 vcc_lo, 0, v8
	v_cndmask_b32_e32 v8, v9, v7, vcc_lo
; %bb.3304:
	s_or_b32 exec_lo, exec_lo, s0
	v_and_b32_e32 v7, 0x7f800000, v6
	flat_store_d16_hi_b16 v[0:1], v8 offset:128
	v_cmp_ne_u32_e32 vcc_lo, 0x7f800000, v7
                                        ; implicit-def: $vgpr7
	s_and_saveexec_b32 s0, vcc_lo
	s_delay_alu instid0(SALU_CYCLE_1)
	s_xor_b32 s0, exec_lo, s0
; %bb.3305:
	v_bfe_u32 v7, v6, 16, 1
	s_delay_alu instid0(VALU_DEP_1)
	v_add3_u32 v7, v6, v7, 0x7fff
                                        ; implicit-def: $vgpr6
; %bb.3306:
	s_and_not1_saveexec_b32 s0, s0
; %bb.3307:
	v_and_b32_e32 v7, 0xffff, v6
	v_or_b32_e32 v8, 0x10000, v6
	s_delay_alu instid0(VALU_DEP_2) | instskip(NEXT) | instid1(VALU_DEP_2)
	v_cmp_eq_u32_e32 vcc_lo, 0, v7
	v_cndmask_b32_e32 v7, v8, v6, vcc_lo
; %bb.3308:
	s_or_b32 exec_lo, exec_lo, s0
	v_and_b32_e32 v6, 0x7f800000, v5
	flat_store_d16_hi_b16 v[0:1], v7 offset:144
	v_cmp_ne_u32_e32 vcc_lo, 0x7f800000, v6
                                        ; implicit-def: $vgpr6
	s_and_saveexec_b32 s0, vcc_lo
	s_delay_alu instid0(SALU_CYCLE_1)
	s_xor_b32 s0, exec_lo, s0
; %bb.3309:
	v_bfe_u32 v6, v5, 16, 1
	s_delay_alu instid0(VALU_DEP_1)
	v_add3_u32 v6, v5, v6, 0x7fff
                                        ; implicit-def: $vgpr5
; %bb.3310:
	s_and_not1_saveexec_b32 s0, s0
; %bb.3311:
	v_and_b32_e32 v6, 0xffff, v5
	v_or_b32_e32 v7, 0x10000, v5
	s_delay_alu instid0(VALU_DEP_2) | instskip(NEXT) | instid1(VALU_DEP_2)
	v_cmp_eq_u32_e32 vcc_lo, 0, v6
	v_cndmask_b32_e32 v6, v7, v5, vcc_lo
; %bb.3312:
	s_or_b32 exec_lo, exec_lo, s0
	v_and_b32_e32 v5, 0x7f800000, v4
	flat_store_d16_hi_b16 v[0:1], v6 offset:160
	v_cmp_ne_u32_e32 vcc_lo, 0x7f800000, v5
                                        ; implicit-def: $vgpr5
	s_and_saveexec_b32 s0, vcc_lo
	s_delay_alu instid0(SALU_CYCLE_1)
	s_xor_b32 s0, exec_lo, s0
; %bb.3313:
	v_bfe_u32 v5, v4, 16, 1
	s_delay_alu instid0(VALU_DEP_1)
	v_add3_u32 v5, v4, v5, 0x7fff
                                        ; implicit-def: $vgpr4
; %bb.3314:
	s_and_not1_saveexec_b32 s0, s0
; %bb.3315:
	v_and_b32_e32 v5, 0xffff, v4
	v_or_b32_e32 v6, 0x10000, v4
	s_delay_alu instid0(VALU_DEP_2) | instskip(NEXT) | instid1(VALU_DEP_2)
	v_cmp_eq_u32_e32 vcc_lo, 0, v5
	v_cndmask_b32_e32 v5, v6, v4, vcc_lo
; %bb.3316:
	s_or_b32 exec_lo, exec_lo, s0
	v_and_b32_e32 v4, 0x7f800000, v3
	flat_store_d16_hi_b16 v[0:1], v5 offset:176
	v_cmp_ne_u32_e32 vcc_lo, 0x7f800000, v4
                                        ; implicit-def: $vgpr4
	s_and_saveexec_b32 s0, vcc_lo
	s_delay_alu instid0(SALU_CYCLE_1)
	s_xor_b32 s0, exec_lo, s0
; %bb.3317:
	v_bfe_u32 v4, v3, 16, 1
	s_delay_alu instid0(VALU_DEP_1)
	v_add3_u32 v4, v3, v4, 0x7fff
                                        ; implicit-def: $vgpr3
; %bb.3318:
	s_and_not1_saveexec_b32 s0, s0
; %bb.3319:
	v_and_b32_e32 v4, 0xffff, v3
	v_or_b32_e32 v5, 0x10000, v3
	s_delay_alu instid0(VALU_DEP_2) | instskip(NEXT) | instid1(VALU_DEP_2)
	v_cmp_eq_u32_e32 vcc_lo, 0, v4
	v_cndmask_b32_e32 v4, v5, v3, vcc_lo
; %bb.3320:
	s_or_b32 exec_lo, exec_lo, s0
	v_and_b32_e32 v3, 0x7f800000, v2
	flat_store_d16_hi_b16 v[0:1], v4 offset:192
	v_cmp_ne_u32_e32 vcc_lo, 0x7f800000, v3
                                        ; implicit-def: $vgpr3
	s_and_saveexec_b32 s0, vcc_lo
	s_delay_alu instid0(SALU_CYCLE_1)
	s_xor_b32 s0, exec_lo, s0
; %bb.3321:
	v_bfe_u32 v3, v2, 16, 1
	s_delay_alu instid0(VALU_DEP_1)
	v_add3_u32 v3, v2, v3, 0x7fff
                                        ; implicit-def: $vgpr2
; %bb.3322:
	s_and_not1_saveexec_b32 s0, s0
; %bb.3323:
	v_and_b32_e32 v3, 0xffff, v2
	v_or_b32_e32 v4, 0x10000, v2
	s_delay_alu instid0(VALU_DEP_2) | instskip(NEXT) | instid1(VALU_DEP_2)
	v_cmp_eq_u32_e32 vcc_lo, 0, v3
	v_cndmask_b32_e32 v3, v4, v2, vcc_lo
; %bb.3324:
	s_or_b32 exec_lo, exec_lo, s0
	flat_store_d16_hi_b16 v[0:1], v3 offset:208
.LBB460_3325:
	s_or_b32 exec_lo, exec_lo, s5
	s_clause 0x1f
	scratch_load_b32 v191, off, s32
	scratch_load_b32 v190, off, s32 offset:4
	scratch_load_b32 v189, off, s32 offset:8
	;; [unrolled: 1-line block ×31, first 2 shown]
	s_clause 0x1f
	scratch_load_b32 v127, off, s32 offset:128
	scratch_load_b32 v126, off, s32 offset:132
	;; [unrolled: 1-line block ×32, first 2 shown]
	s_clause 0xf
	scratch_load_b32 v63, off, s32 offset:256
	scratch_load_b32 v62, off, s32 offset:260
	;; [unrolled: 1-line block ×16, first 2 shown]
	s_waitcnt vmcnt(0) lgkmcnt(0)
	s_setpc_b64 s[30:31]
.LBB460_3326:
	v_lshl_add_u32 v17, v1, 2, v15
	ds_load_b32 v17, v17
	s_waitcnt lgkmcnt(0)
	v_add_f32_e32 v0, v17, v0
	s_or_b32 exec_lo, exec_lo, s0
	s_and_saveexec_b32 s0, vcc_lo
	s_cbranch_execz .LBB460_3233
.LBB460_3327:
	v_lshl_add_u32 v17, v1, 2, v15
	ds_load_b32 v17, v17 offset:32
	s_waitcnt lgkmcnt(0)
	v_add_f32_e32 v14, v17, v14
	s_or_b32 exec_lo, exec_lo, s0
	s_and_saveexec_b32 s0, vcc_lo
	s_cbranch_execz .LBB460_3234
.LBB460_3328:
	v_lshl_add_u32 v17, v1, 2, v15
	ds_load_b32 v17, v17 offset:64
	s_waitcnt lgkmcnt(0)
	v_add_f32_e32 v13, v17, v13
	s_or_b32 exec_lo, exec_lo, s0
	s_and_saveexec_b32 s0, vcc_lo
	s_cbranch_execz .LBB460_3235
.LBB460_3329:
	v_lshl_add_u32 v17, v1, 2, v15
	ds_load_b32 v17, v17 offset:96
	s_waitcnt lgkmcnt(0)
	v_add_f32_e32 v12, v17, v12
	s_or_b32 exec_lo, exec_lo, s0
	s_and_saveexec_b32 s0, vcc_lo
	s_cbranch_execz .LBB460_3236
.LBB460_3330:
	v_lshl_add_u32 v17, v1, 2, v15
	ds_load_b32 v17, v17 offset:128
	s_waitcnt lgkmcnt(0)
	v_add_f32_e32 v11, v17, v11
	s_or_b32 exec_lo, exec_lo, s0
	s_and_saveexec_b32 s0, vcc_lo
	s_cbranch_execz .LBB460_3237
.LBB460_3331:
	v_lshl_add_u32 v17, v1, 2, v15
	ds_load_b32 v17, v17 offset:160
	s_waitcnt lgkmcnt(0)
	v_add_f32_e32 v10, v17, v10
	s_or_b32 exec_lo, exec_lo, s0
	s_and_saveexec_b32 s0, vcc_lo
	s_cbranch_execz .LBB460_3238
.LBB460_3332:
	v_lshl_add_u32 v17, v1, 2, v15
	ds_load_b32 v17, v17 offset:192
	s_waitcnt lgkmcnt(0)
	v_add_f32_e32 v9, v17, v9
	s_or_b32 exec_lo, exec_lo, s0
	s_and_saveexec_b32 s0, vcc_lo
	s_cbranch_execz .LBB460_3239
.LBB460_3333:
	v_lshl_add_u32 v17, v1, 2, v15
	ds_load_b32 v17, v17 offset:224
	s_waitcnt lgkmcnt(0)
	v_add_f32_e32 v8, v17, v8
	s_or_b32 exec_lo, exec_lo, s0
	s_and_saveexec_b32 s0, vcc_lo
	s_cbranch_execz .LBB460_3240
.LBB460_3334:
	v_lshl_add_u32 v17, v1, 2, v15
	ds_load_b32 v17, v17 offset:256
	s_waitcnt lgkmcnt(0)
	v_add_f32_e32 v7, v17, v7
	s_or_b32 exec_lo, exec_lo, s0
	s_and_saveexec_b32 s0, vcc_lo
	s_cbranch_execz .LBB460_3241
.LBB460_3335:
	v_lshl_add_u32 v17, v1, 2, v15
	ds_load_b32 v17, v17 offset:288
	s_waitcnt lgkmcnt(0)
	v_add_f32_e32 v6, v17, v6
	s_or_b32 exec_lo, exec_lo, s0
	s_and_saveexec_b32 s0, vcc_lo
	s_cbranch_execz .LBB460_3242
.LBB460_3336:
	v_lshl_add_u32 v17, v1, 2, v15
	ds_load_b32 v17, v17 offset:320
	s_waitcnt lgkmcnt(0)
	v_add_f32_e32 v5, v17, v5
	s_or_b32 exec_lo, exec_lo, s0
	s_and_saveexec_b32 s0, vcc_lo
	s_cbranch_execz .LBB460_3243
.LBB460_3337:
	v_lshl_add_u32 v17, v1, 2, v15
	ds_load_b32 v17, v17 offset:352
	s_waitcnt lgkmcnt(0)
	v_add_f32_e32 v4, v17, v4
	s_or_b32 exec_lo, exec_lo, s0
	s_and_saveexec_b32 s0, vcc_lo
	s_cbranch_execz .LBB460_3244
.LBB460_3338:
	v_lshl_add_u32 v17, v1, 2, v15
	ds_load_b32 v17, v17 offset:384
	s_waitcnt lgkmcnt(0)
	v_add_f32_e32 v3, v17, v3
	s_or_b32 exec_lo, exec_lo, s0
	s_and_saveexec_b32 s0, vcc_lo
	s_cbranch_execnz .LBB460_3245
	s_branch .LBB460_3246
.LBB460_3339:
	ds_load_b32 v15, v1
	s_waitcnt lgkmcnt(0)
	v_add_f32_e32 v0, v15, v0
	s_or_b32 exec_lo, exec_lo, s3
	s_and_saveexec_b32 s3, vcc_lo
	s_cbranch_execz .LBB460_3252
.LBB460_3340:
	ds_load_b32 v15, v1 offset:32
	s_waitcnt lgkmcnt(0)
	v_add_f32_e32 v14, v15, v14
	s_or_b32 exec_lo, exec_lo, s3
	s_and_saveexec_b32 s3, vcc_lo
	s_cbranch_execz .LBB460_3253
.LBB460_3341:
	ds_load_b32 v15, v1 offset:64
	s_waitcnt lgkmcnt(0)
	v_add_f32_e32 v13, v15, v13
	s_or_b32 exec_lo, exec_lo, s3
	s_and_saveexec_b32 s3, vcc_lo
	s_cbranch_execz .LBB460_3254
.LBB460_3342:
	ds_load_b32 v15, v1 offset:96
	s_waitcnt lgkmcnt(0)
	v_add_f32_e32 v12, v15, v12
	s_or_b32 exec_lo, exec_lo, s3
	s_and_saveexec_b32 s3, vcc_lo
	s_cbranch_execz .LBB460_3255
.LBB460_3343:
	ds_load_b32 v15, v1 offset:128
	s_waitcnt lgkmcnt(0)
	v_add_f32_e32 v11, v15, v11
	s_or_b32 exec_lo, exec_lo, s3
	s_and_saveexec_b32 s3, vcc_lo
	s_cbranch_execz .LBB460_3256
.LBB460_3344:
	ds_load_b32 v15, v1 offset:160
	s_waitcnt lgkmcnt(0)
	v_add_f32_e32 v10, v15, v10
	s_or_b32 exec_lo, exec_lo, s3
	s_and_saveexec_b32 s3, vcc_lo
	s_cbranch_execz .LBB460_3257
.LBB460_3345:
	ds_load_b32 v15, v1 offset:192
	s_waitcnt lgkmcnt(0)
	v_add_f32_e32 v9, v15, v9
	s_or_b32 exec_lo, exec_lo, s3
	s_and_saveexec_b32 s3, vcc_lo
	s_cbranch_execz .LBB460_3258
.LBB460_3346:
	ds_load_b32 v15, v1 offset:224
	s_waitcnt lgkmcnt(0)
	v_add_f32_e32 v8, v15, v8
	s_or_b32 exec_lo, exec_lo, s3
	s_and_saveexec_b32 s3, vcc_lo
	s_cbranch_execz .LBB460_3259
.LBB460_3347:
	ds_load_b32 v15, v1 offset:256
	s_waitcnt lgkmcnt(0)
	v_add_f32_e32 v7, v15, v7
	s_or_b32 exec_lo, exec_lo, s3
	s_and_saveexec_b32 s3, vcc_lo
	s_cbranch_execz .LBB460_3260
.LBB460_3348:
	ds_load_b32 v15, v1 offset:288
	s_waitcnt lgkmcnt(0)
	v_add_f32_e32 v6, v15, v6
	s_or_b32 exec_lo, exec_lo, s3
	s_and_saveexec_b32 s3, vcc_lo
	s_cbranch_execz .LBB460_3261
.LBB460_3349:
	ds_load_b32 v15, v1 offset:320
	s_waitcnt lgkmcnt(0)
	v_add_f32_e32 v5, v15, v5
	s_or_b32 exec_lo, exec_lo, s3
	s_and_saveexec_b32 s3, vcc_lo
	s_cbranch_execz .LBB460_3262
.LBB460_3350:
	ds_load_b32 v15, v1 offset:352
	s_waitcnt lgkmcnt(0)
	v_add_f32_e32 v4, v15, v4
	s_or_b32 exec_lo, exec_lo, s3
	s_and_saveexec_b32 s3, vcc_lo
	s_cbranch_execz .LBB460_3263
.LBB460_3351:
	ds_load_b32 v15, v1 offset:384
	s_waitcnt lgkmcnt(0)
	v_add_f32_e32 v3, v15, v3
	s_or_b32 exec_lo, exec_lo, s3
	s_and_saveexec_b32 s3, vcc_lo
	s_cbranch_execnz .LBB460_3264
	s_branch .LBB460_3265
.Lfunc_end460:
	.size	_ZN4vllm22paged_attention_kernelI14__hip_bfloat16hLi112ELi32ELi128ELNS_18Fp8KVCacheDataTypeE1ELb0ELi512EEEvPfS3_PT_PKS4_PKT0_SA_ifPKiSC_iPKfiiiSE_SE_iiiii, .Lfunc_end460-_ZN4vllm22paged_attention_kernelI14__hip_bfloat16hLi112ELi32ELi128ELNS_18Fp8KVCacheDataTypeE1ELb0ELi512EEEvPfS3_PT_PKS4_PKT0_SA_ifPKiSC_iPKfiiiSE_SE_iiiii
                                        ; -- End function
	.section	.AMDGPU.csdata,"",@progbits
; Function info:
; codeLenInByte = 103524
; NumSgprs: 35
; NumVgprs: 192
; ScratchSize: 636
; MemoryBound: 0
	.section	.text._ZN4vllm25paged_attention_v2_kernelI14__hip_bfloat16hLi112ELi32ELi128ELNS_18Fp8KVCacheDataTypeE1ELb0ELi512EEEvPfS3_PT_PKS4_PKT0_SA_ifPKiSC_iPKfiiiSE_SE_iiiii,"axG",@progbits,_ZN4vllm25paged_attention_v2_kernelI14__hip_bfloat16hLi112ELi32ELi128ELNS_18Fp8KVCacheDataTypeE1ELb0ELi512EEEvPfS3_PT_PKS4_PKT0_SA_ifPKiSC_iPKfiiiSE_SE_iiiii,comdat
	.protected	_ZN4vllm25paged_attention_v2_kernelI14__hip_bfloat16hLi112ELi32ELi128ELNS_18Fp8KVCacheDataTypeE1ELb0ELi512EEEvPfS3_PT_PKS4_PKT0_SA_ifPKiSC_iPKfiiiSE_SE_iiiii ; -- Begin function _ZN4vllm25paged_attention_v2_kernelI14__hip_bfloat16hLi112ELi32ELi128ELNS_18Fp8KVCacheDataTypeE1ELb0ELi512EEEvPfS3_PT_PKS4_PKT0_SA_ifPKiSC_iPKfiiiSE_SE_iiiii
	.globl	_ZN4vllm25paged_attention_v2_kernelI14__hip_bfloat16hLi112ELi32ELi128ELNS_18Fp8KVCacheDataTypeE1ELb0ELi512EEEvPfS3_PT_PKS4_PKT0_SA_ifPKiSC_iPKfiiiSE_SE_iiiii
	.p2align	8
	.type	_ZN4vllm25paged_attention_v2_kernelI14__hip_bfloat16hLi112ELi32ELi128ELNS_18Fp8KVCacheDataTypeE1ELb0ELi512EEEvPfS3_PT_PKS4_PKT0_SA_ifPKiSC_iPKfiiiSE_SE_iiiii,@function
_ZN4vllm25paged_attention_v2_kernelI14__hip_bfloat16hLi112ELi32ELi128ELNS_18Fp8KVCacheDataTypeE1ELb0ELi512EEEvPfS3_PT_PKS4_PKT0_SA_ifPKiSC_iPKfiiiSE_SE_iiiii: ; @_ZN4vllm25paged_attention_v2_kernelI14__hip_bfloat16hLi112ELi32ELi128ELNS_18Fp8KVCacheDataTypeE1ELb0ELi512EEEvPfS3_PT_PKS4_PKT0_SA_ifPKiSC_iPKfiiiSE_SE_iiiii
; %bb.0:
	s_clause 0x5
	s_load_b256 s[24:31], s[0:1], 0x0
	s_load_b256 s[16:23], s[0:1], 0x20
	s_load_b64 s[2:3], s[0:1], 0x40
	s_load_b64 s[4:5], s[0:1], 0x50
	s_load_b32 s6, s[0:1], 0x48
	s_load_b256 s[36:43], s[0:1], 0x58
	v_mov_b32_e32 v31, v0
	s_add_u32 s8, s0, 0x90
	s_mov_b32 s12, s13
	s_addc_u32 s9, s1, 0
	s_mov_b32 s13, s14
	s_mov_b32 s14, s15
	;; [unrolled: 1-line block ×4, first 2 shown]
	s_getpc_b64 s[0:1]
	s_add_u32 s0, s0, _ZN4vllm22paged_attention_kernelI14__hip_bfloat16hLi112ELi32ELi128ELNS_18Fp8KVCacheDataTypeE1ELb0ELi512EEEvPfS3_PT_PKS4_PKT0_SA_ifPKiSC_iPKfiiiSE_SE_iiiii@rel32@lo+4
	s_addc_u32 s1, s1, _ZN4vllm22paged_attention_kernelI14__hip_bfloat16hLi112ELi32ELi128ELNS_18Fp8KVCacheDataTypeE1ELb0ELi512EEEvPfS3_PT_PKS4_PKT0_SA_ifPKiSC_iPKfiiiSE_SE_iiiii@rel32@hi+12
	s_waitcnt lgkmcnt(0)
	v_dual_mov_b32 v0, s24 :: v_dual_mov_b32 v1, s25
	v_dual_mov_b32 v2, s26 :: v_dual_mov_b32 v3, s27
	;; [unrolled: 1-line block ×14, first 2 shown]
	s_swappc_b64 s[30:31], s[0:1]
	s_endpgm
	.section	.rodata,"a",@progbits
	.p2align	6, 0x0
	.amdhsa_kernel _ZN4vllm25paged_attention_v2_kernelI14__hip_bfloat16hLi112ELi32ELi128ELNS_18Fp8KVCacheDataTypeE1ELb0ELi512EEEvPfS3_PT_PKS4_PKT0_SA_ifPKiSC_iPKfiiiSE_SE_iiiii
		.amdhsa_group_segment_fixed_size 256
		.amdhsa_private_segment_fixed_size 636
		.amdhsa_kernarg_size 400
		.amdhsa_user_sgpr_count 13
		.amdhsa_user_sgpr_dispatch_ptr 0
		.amdhsa_user_sgpr_queue_ptr 0
		.amdhsa_user_sgpr_kernarg_segment_ptr 1
		.amdhsa_user_sgpr_dispatch_id 0
		.amdhsa_user_sgpr_private_segment_size 0
		.amdhsa_wavefront_size32 1
		.amdhsa_uses_dynamic_stack 0
		.amdhsa_enable_private_segment 1
		.amdhsa_system_sgpr_workgroup_id_x 1
		.amdhsa_system_sgpr_workgroup_id_y 1
		.amdhsa_system_sgpr_workgroup_id_z 1
		.amdhsa_system_sgpr_workgroup_info 0
		.amdhsa_system_vgpr_workitem_id 0
		.amdhsa_next_free_vgpr 192
		.amdhsa_next_free_sgpr 44
		.amdhsa_reserve_vcc 1
		.amdhsa_float_round_mode_32 0
		.amdhsa_float_round_mode_16_64 0
		.amdhsa_float_denorm_mode_32 3
		.amdhsa_float_denorm_mode_16_64 3
		.amdhsa_dx10_clamp 1
		.amdhsa_ieee_mode 1
		.amdhsa_fp16_overflow 0
		.amdhsa_workgroup_processor_mode 1
		.amdhsa_memory_ordered 1
		.amdhsa_forward_progress 0
		.amdhsa_shared_vgpr_count 0
		.amdhsa_exception_fp_ieee_invalid_op 0
		.amdhsa_exception_fp_denorm_src 0
		.amdhsa_exception_fp_ieee_div_zero 0
		.amdhsa_exception_fp_ieee_overflow 0
		.amdhsa_exception_fp_ieee_underflow 0
		.amdhsa_exception_fp_ieee_inexact 0
		.amdhsa_exception_int_div_zero 0
	.end_amdhsa_kernel
	.section	.text._ZN4vllm25paged_attention_v2_kernelI14__hip_bfloat16hLi112ELi32ELi128ELNS_18Fp8KVCacheDataTypeE1ELb0ELi512EEEvPfS3_PT_PKS4_PKT0_SA_ifPKiSC_iPKfiiiSE_SE_iiiii,"axG",@progbits,_ZN4vllm25paged_attention_v2_kernelI14__hip_bfloat16hLi112ELi32ELi128ELNS_18Fp8KVCacheDataTypeE1ELb0ELi512EEEvPfS3_PT_PKS4_PKT0_SA_ifPKiSC_iPKfiiiSE_SE_iiiii,comdat
.Lfunc_end461:
	.size	_ZN4vllm25paged_attention_v2_kernelI14__hip_bfloat16hLi112ELi32ELi128ELNS_18Fp8KVCacheDataTypeE1ELb0ELi512EEEvPfS3_PT_PKS4_PKT0_SA_ifPKiSC_iPKfiiiSE_SE_iiiii, .Lfunc_end461-_ZN4vllm25paged_attention_v2_kernelI14__hip_bfloat16hLi112ELi32ELi128ELNS_18Fp8KVCacheDataTypeE1ELb0ELi512EEEvPfS3_PT_PKS4_PKT0_SA_ifPKiSC_iPKfiiiSE_SE_iiiii
                                        ; -- End function
	.section	.AMDGPU.csdata,"",@progbits
; Kernel info:
; codeLenInByte = 232
; NumSgprs: 46
; NumVgprs: 192
; ScratchSize: 636
; MemoryBound: 0
; FloatMode: 240
; IeeeMode: 1
; LDSByteSize: 256 bytes/workgroup (compile time only)
; SGPRBlocks: 5
; VGPRBlocks: 23
; NumSGPRsForWavesPerEU: 46
; NumVGPRsForWavesPerEU: 192
; Occupancy: 8
; WaveLimiterHint : 1
; COMPUTE_PGM_RSRC2:SCRATCH_EN: 1
; COMPUTE_PGM_RSRC2:USER_SGPR: 13
; COMPUTE_PGM_RSRC2:TRAP_HANDLER: 0
; COMPUTE_PGM_RSRC2:TGID_X_EN: 1
; COMPUTE_PGM_RSRC2:TGID_Y_EN: 1
; COMPUTE_PGM_RSRC2:TGID_Z_EN: 1
; COMPUTE_PGM_RSRC2:TIDIG_COMP_CNT: 0
	.text
	.p2align	2                               ; -- Begin function _ZN4vllm22paged_attention_kernelI14__hip_bfloat16hLi120ELi32ELi128ELNS_18Fp8KVCacheDataTypeE1ELb0ELi512EEEvPfS3_PT_PKS4_PKT0_SA_ifPKiSC_iPKfiiiSE_SE_iiiii
	.type	_ZN4vllm22paged_attention_kernelI14__hip_bfloat16hLi120ELi32ELi128ELNS_18Fp8KVCacheDataTypeE1ELb0ELi512EEEvPfS3_PT_PKS4_PKT0_SA_ifPKiSC_iPKfiiiSE_SE_iiiii,@function
_ZN4vllm22paged_attention_kernelI14__hip_bfloat16hLi120ELi32ELi128ELNS_18Fp8KVCacheDataTypeE1ELb0ELi512EEEvPfS3_PT_PKS4_PKT0_SA_ifPKiSC_iPKfiiiSE_SE_iiiii: ; @_ZN4vllm22paged_attention_kernelI14__hip_bfloat16hLi120ELi32ELi128ELNS_18Fp8KVCacheDataTypeE1ELb0ELi512EEEvPfS3_PT_PKS4_PKT0_SA_ifPKiSC_iPKfiiiSE_SE_iiiii
; %bb.0:
	s_waitcnt vmcnt(0) expcnt(0) lgkmcnt(0)
	s_clause 0x1f
	scratch_store_b32 off, v40, s32 offset:316
	; meta instruction
	scratch_store_b32 off, v41, s32 offset:312
	; meta instruction
	;; [unrolled: 2-line block ×31, first 2 shown]
	scratch_store_b32 off, v95, s32 offset:192
	s_clause 0x1f
	scratch_store_b32 off, v104, s32 offset:188
	; meta instruction
	scratch_store_b32 off, v105, s32 offset:184
	; meta instruction
	;; [unrolled: 2-line block ×31, first 2 shown]
	scratch_store_b32 off, v159, s32 offset:64
	s_clause 0xf
	scratch_store_b32 off, v168, s32 offset:60
	; meta instruction
	scratch_store_b32 off, v169, s32 offset:56
	; meta instruction
	scratch_store_b32 off, v170, s32 offset:52
	; meta instruction
	scratch_store_b32 off, v171, s32 offset:48
	; meta instruction
	scratch_store_b32 off, v172, s32 offset:44
	; meta instruction
	scratch_store_b32 off, v173, s32 offset:40
	; meta instruction
	scratch_store_b32 off, v174, s32 offset:36
	; meta instruction
	scratch_store_b32 off, v175, s32 offset:32
	; meta instruction
	scratch_store_b32 off, v184, s32 offset:28
	; meta instruction
	scratch_store_b32 off, v185, s32 offset:24
	; meta instruction
	scratch_store_b32 off, v186, s32 offset:20
	; meta instruction
	scratch_store_b32 off, v187, s32 offset:16
	; meta instruction
	scratch_store_b32 off, v188, s32 offset:12
	; meta instruction
	scratch_store_b32 off, v189, s32 offset:8
	; meta instruction
	scratch_store_b32 off, v190, s32 offset:4
	; meta instruction
	scratch_store_b32 off, v191, s32
	s_mov_b32 s4, s13
	s_ashr_i32 s5, s13, 31
	v_dual_mov_b32 v30, v3 :: v_dual_mov_b32 v29, v0
	s_lshl_b64 s[0:1], s[4:5], 2
	v_mov_b32_e32 v28, v1
	v_add_co_u32 v0, vcc_lo, v16, s0
	v_add_co_ci_u32_e32 v1, vcc_lo, s1, v17, vcc_lo
	v_mov_b32_e32 v32, v2
	s_lshl_b32 s17, s14, 9
	s_mov_b32 s5, exec_lo
	flat_load_b32 v36, v[0:1]
	s_waitcnt vmcnt(0) lgkmcnt(0)
	v_cmpx_lt_i32_e64 s17, v36
	s_cbranch_execz .LBB462_3557
; %bb.1:
	v_sub_nc_u32_e32 v0, 0, v12
	s_clause 0x1
	scratch_store_b32 off, v4, s32 offset:624
	scratch_store_b32 off, v5, s32 offset:620
	s_clause 0x1
	s_load_b32 s0, s[8:9], 0x10
	s_load_b32 s1, s[8:9], 0x0
	s_mov_b32 s10, s15
	v_max_i32_e32 v0, v12, v0
	v_mov_b32_e32 v39, 0
	s_delay_alu instid0(VALU_DEP_2) | instskip(SKIP_1) | instid1(VALU_DEP_2)
	v_cvt_f32_u32_e32 v1, v0
	v_sub_nc_u32_e32 v2, 0, v0
	v_rcp_iflag_f32_e32 v1, v1
	s_waitcnt lgkmcnt(0)
	s_lshr_b32 s0, s0, 16
	s_delay_alu instid0(SALU_CYCLE_1) | instskip(SKIP_3) | instid1(SALU_CYCLE_1)
	s_cmp_lg_u32 s0, 0
	s_waitcnt_depctr 0xfff
	v_mul_f32_e32 v1, 0x4f7ffffe, v1
	s_cselect_b32 s0, -1, 0
	s_cmp_lg_u32 s0, 0
	s_delay_alu instid0(VALU_DEP_1) | instskip(SKIP_3) | instid1(VALU_DEP_1)
	v_cvt_u32_f32_e32 v1, v1
	s_addc_u32 s16, s1, 0
	s_mov_b32 s1, exec_lo
	s_abs_i32 s0, s16
	v_mul_lo_u32 v2, v2, v1
	s_delay_alu instid0(VALU_DEP_1) | instskip(NEXT) | instid1(VALU_DEP_1)
	v_mul_hi_u32 v2, v1, v2
	v_add_nc_u32_e32 v1, v1, v2
	s_delay_alu instid0(VALU_DEP_1) | instskip(NEXT) | instid1(VALU_DEP_1)
	v_mul_hi_u32 v1, s0, v1
	v_mul_lo_u32 v2, v1, v0
	v_add_nc_u32_e32 v3, 1, v1
	s_delay_alu instid0(VALU_DEP_2) | instskip(SKIP_1) | instid1(VALU_DEP_1)
	v_sub_nc_u32_e32 v2, s0, v2
	s_abs_i32 s0, s12
	v_sub_nc_u32_e32 v4, v2, v0
	v_cmp_ge_u32_e32 vcc_lo, v2, v0
	s_delay_alu instid0(VALU_DEP_2) | instskip(SKIP_1) | instid1(VALU_DEP_2)
	v_dual_cndmask_b32 v1, v1, v3 :: v_dual_cndmask_b32 v2, v2, v4
	v_xor_b32_e32 v3, s16, v12
	v_add_nc_u32_e32 v4, 1, v1
	s_delay_alu instid0(VALU_DEP_3) | instskip(NEXT) | instid1(VALU_DEP_3)
	v_cmp_ge_u32_e32 vcc_lo, v2, v0
	v_ashrrev_i32_e32 v3, 31, v3
	s_delay_alu instid0(VALU_DEP_3) | instskip(NEXT) | instid1(VALU_DEP_1)
	v_cndmask_b32_e32 v0, v1, v4, vcc_lo
	v_xor_b32_e32 v0, v0, v3
	s_delay_alu instid0(VALU_DEP_1) | instskip(NEXT) | instid1(VALU_DEP_1)
	v_sub_nc_u32_e32 v1, v0, v3
	v_sub_nc_u32_e32 v0, 0, v1
	s_delay_alu instid0(VALU_DEP_1) | instskip(NEXT) | instid1(VALU_DEP_1)
	v_max_i32_e32 v0, v1, v0
	v_cvt_f32_u32_e32 v2, v0
	v_sub_nc_u32_e32 v3, 0, v0
	s_delay_alu instid0(VALU_DEP_2) | instskip(SKIP_2) | instid1(VALU_DEP_1)
	v_rcp_iflag_f32_e32 v2, v2
	s_waitcnt_depctr 0xfff
	v_mul_f32_e32 v2, 0x4f7ffffe, v2
	v_cvt_u32_f32_e32 v2, v2
	s_delay_alu instid0(VALU_DEP_1) | instskip(NEXT) | instid1(VALU_DEP_1)
	v_mul_lo_u32 v3, v3, v2
	v_mul_hi_u32 v3, v2, v3
	s_delay_alu instid0(VALU_DEP_1) | instskip(NEXT) | instid1(VALU_DEP_1)
	v_add_nc_u32_e32 v2, v2, v3
	v_mad_u64_u32 v[16:17], null, s0, v2, 0
	v_cmpx_ne_u64_e32 0, v[19:20]
	s_cbranch_execz .LBB462_3
; %bb.2:
	s_ashr_i32 s13, s12, 31
	s_delay_alu instid0(SALU_CYCLE_1) | instskip(NEXT) | instid1(SALU_CYCLE_1)
	s_lshl_b64 s[2:3], s[12:13], 2
	v_add_co_u32 v2, vcc_lo, v19, s2
	v_add_co_ci_u32_e32 v3, vcc_lo, s3, v20, vcc_lo
	flat_load_b32 v39, v[2:3]
.LBB462_3:
	s_or_b32 exec_lo, exec_lo, s1
	v_and_b32_e32 v12, 0x3ff, v31
	v_ashrrev_i32_e32 v1, 31, v1
	s_ashr_i32 s1, s12, 31
	s_mul_i32 s6, s12, 0x78
	s_mov_b32 s2, exec_lo
	v_cmpx_gt_u32_e32 15, v12
	s_cbranch_execz .LBB462_5
; %bb.4:
	v_mul_lo_u32 v2, s4, v21
	s_ashr_i32 s7, s6, 31
	v_lshlrev_b32_e32 v16, 4, v12
	s_lshl_b64 s[18:19], s[6:7], 1
	s_delay_alu instid0(VALU_DEP_2) | instskip(NEXT) | instid1(VALU_DEP_1)
	v_ashrrev_i32_e32 v3, 31, v2
	v_lshlrev_b64 v[2:3], 1, v[2:3]
	s_delay_alu instid0(VALU_DEP_1) | instskip(NEXT) | instid1(VALU_DEP_2)
	v_add_co_u32 v2, vcc_lo, v6, v2
	v_add_co_ci_u32_e32 v3, vcc_lo, v7, v3, vcc_lo
	s_delay_alu instid0(VALU_DEP_2) | instskip(NEXT) | instid1(VALU_DEP_2)
	v_add_co_u32 v2, vcc_lo, v2, s18
	v_add_co_ci_u32_e32 v3, vcc_lo, s19, v3, vcc_lo
	s_delay_alu instid0(VALU_DEP_2) | instskip(NEXT) | instid1(VALU_DEP_2)
	v_add_co_u32 v2, vcc_lo, v2, v16
	v_add_co_ci_u32_e32 v3, vcc_lo, 0, v3, vcc_lo
	flat_load_b128 v[2:5], v[2:3]
	s_waitcnt vmcnt(0) lgkmcnt(0)
	ds_store_b128 v16, v[2:5]
.LBB462_5:
	s_or_b32 exec_lo, exec_lo, s2
	v_mul_lo_u32 v2, v17, v0
	v_dual_mov_b32 v136, 0xff7fffff :: v_dual_add_nc_u32 v3, 1, v17
	v_xor_b32_e32 v1, s1, v1
	s_clause 0x1
	s_load_b32 s13, s[8:9], 0x14
	s_load_b32 s7, s[8:9], 0x8
	s_lshl_b32 s3, s14, 4
	s_mov_b32 s15, exec_lo
	v_sub_nc_u32_e32 v2, s0, v2
	s_add_i32 s0, s3, 16
	s_delay_alu instid0(VALU_DEP_1) | instskip(SKIP_2) | instid1(VALU_DEP_3)
	v_sub_nc_u32_e32 v5, v2, v0
	v_cmp_ge_u32_e32 vcc_lo, v2, v0
	v_dual_cndmask_b32 v3, v17, v3 :: v_dual_add_nc_u32 v4, 31, v36
	v_cndmask_b32_e32 v2, v2, v5, vcc_lo
	s_delay_alu instid0(VALU_DEP_2) | instskip(NEXT) | instid1(VALU_DEP_3)
	v_ashrrev_i32_e32 v6, 31, v4
	v_add_nc_u32_e32 v5, 1, v3
	s_delay_alu instid0(VALU_DEP_3) | instskip(NEXT) | instid1(VALU_DEP_3)
	v_cmp_ge_u32_e32 vcc_lo, v2, v0
	v_lshrrev_b32_e32 v6, 27, v6
	v_mul_lo_u32 v0, s4, v18
	s_delay_alu instid0(VALU_DEP_2) | instskip(SKIP_1) | instid1(VALU_DEP_2)
	v_dual_cndmask_b32 v2, v3, v5 :: v_dual_add_nc_u32 v3, v4, v6
	v_lshrrev_b32_e32 v4, 5, v12
	v_xor_b32_e32 v2, v2, v1
	s_delay_alu instid0(VALU_DEP_3) | instskip(NEXT) | instid1(VALU_DEP_3)
	v_ashrrev_i32_e32 v34, 5, v3
	v_add_nc_u32_e32 v16, s3, v4
	s_delay_alu instid0(VALU_DEP_3) | instskip(SKIP_1) | instid1(VALU_DEP_4)
	v_sub_nc_u32_e32 v2, v2, v1
	v_ashrrev_i32_e32 v1, 31, v0
	v_min_i32_e32 v37, s0, v34
	s_delay_alu instid0(VALU_DEP_4) | instskip(NEXT) | instid1(VALU_DEP_4)
	v_ashrrev_i32_e32 v17, 31, v16
	v_mul_lo_u32 v23, v2, v23
	v_and_b32_e32 v2, 31, v12
	v_lshlrev_b64 v[52:53], 2, v[0:1]
	v_cmp_ge_i32_e64 s0, v16, v37
	s_clause 0x1
	scratch_store_b32 off, v4, s32 offset:616
	scratch_store_b32 off, v2, s32 offset:612
	v_lshlrev_b32_e32 v20, 2, v2
	v_ashrrev_i32_e32 v35, 31, v23
	s_waitcnt vmcnt(0) lgkmcnt(0)
	s_waitcnt_vscnt null, 0x0
	s_barrier
	buffer_gl0_inv
	v_cmpx_lt_i32_e64 v16, v37
	s_cbranch_execz .LBB462_1449
; %bb.6:
	v_mov_b32_e32 v19, 0
	s_clause 0x8
	scratch_store_b32 off, v34, s32 offset:672
	scratch_store_b32 off, v32, s32 offset:668
	;; [unrolled: 1-line block ×7, first 2 shown]
	scratch_store_b64 off, v[26:27], s32 offset:640
	scratch_store_b32 off, v12, s32 offset:628
	s_getpc_b64 s[8:9]
	s_add_u32 s8, s8, llvm.amdgcn.dynlds.offset.table@rel32@lo+4
	s_addc_u32 s9, s9, llvm.amdgcn.dynlds.offset.table@rel32@hi+12
	s_ashr_i32 s11, s10, 31
	v_sub_nc_u32_e32 v141, 1, v36
	ds_load_b128 v[0:3], v19
	ds_load_b128 v[4:7], v19 offset:16
	ds_load_b128 v[26:29], v19 offset:32
	;; [unrolled: 1-line block ×3, first 2 shown]
	s_lshl_b64 s[18:19], s[10:11], 2
	s_mov_b32 s11, 0
	s_add_u32 s8, s18, s8
	s_addc_u32 s9, s19, s9
	scratch_store_b32 off, v15, s32 offset:632 ; 4-byte Folded Spill
	s_load_b32 s1, s[8:9], 0x0
	s_mov_b32 s8, -1
	s_mov_b32 s9, 0xffffff
	s_clause 0x4
	scratch_store_b32 off, v14, s32 offset:636
	scratch_store_b64 off, v[52:53], s32 offset:676
	scratch_store_b32 off, v23, s32 offset:684
	scratch_store_b32 off, v35, s32 offset:688
	;; [unrolled: 1-line block ×3, first 2 shown]
	v_mov_b32_e32 v142, v16
	v_mov_b32_e32 v136, 0xff7fffff
	s_waitcnt lgkmcnt(0)
	v_lshlrev_b32_e32 v10, 16, v0
	v_and_b32_e32 v0, 0xffff0000, v0
	scratch_store_b32 off, v10, s32 offset:320 ; 4-byte Folded Spill
	v_and_b32_e32 v10, 0xffff0000, v29
	scratch_store_b32 off, v0, s32 offset:324 ; 4-byte Folded Spill
	v_lshlrev_b32_e32 v0, 16, v1
	scratch_store_b32 off, v10, s32 offset:412 ; 4-byte Folded Spill
	v_lshlrev_b32_e32 v10, 16, v30
	scratch_store_b32 off, v0, s32 offset:328 ; 4-byte Folded Spill
	v_and_b32_e32 v0, 0xffff0000, v1
	scratch_store_b32 off, v10, s32 offset:416 ; 4-byte Folded Spill
	v_and_b32_e32 v10, 0xffff0000, v30
	scratch_store_b32 off, v0, s32 offset:332 ; 4-byte Folded Spill
	v_lshlrev_b32_e32 v0, 16, v2
	scratch_store_b32 off, v10, s32 offset:420 ; 4-byte Folded Spill
	v_lshlrev_b32_e32 v10, 16, v31
	scratch_store_b32 off, v0, s32 offset:336 ; 4-byte Folded Spill
	;; [unrolled: 8-line block ×4, first 2 shown]
	v_and_b32_e32 v0, 0xffff0000, v4
	v_and_b32_e32 v4, 0xffff0000, v7
	scratch_store_b32 off, v10, s32 offset:440 ; 4-byte Folded Spill
	v_and_b32_e32 v10, 0xffff0000, v33
	s_clause 0x1
	scratch_store_b32 off, v0, s32 offset:356
	scratch_store_b32 off, v4, s32 offset:380
	v_lshlrev_b32_e32 v0, 16, v5
	v_lshlrev_b32_e32 v4, 16, v26
	scratch_store_b32 off, v10, s32 offset:444 ; 4-byte Folded Spill
	ds_load_b128 v[30:33], v19 offset:112
	s_clause 0x1
	scratch_store_b32 off, v0, s32 offset:360
	scratch_store_b32 off, v4, s32 offset:384
	v_and_b32_e32 v0, 0xffff0000, v5
	v_and_b32_e32 v4, 0xffff0000, v26
	s_clause 0x1
	scratch_store_b32 off, v0, s32 offset:364
	scratch_store_b32 off, v4, s32 offset:388
	v_lshlrev_b32_e32 v0, 16, v6
	v_lshlrev_b32_e32 v4, 16, v27
	s_clause 0x1
	scratch_store_b32 off, v0, s32 offset:368
	scratch_store_b32 off, v4, s32 offset:392
	v_and_b32_e32 v0, 0xffff0000, v6
	v_and_b32_e32 v4, 0xffff0000, v27
	s_clause 0x1
	scratch_store_b32 off, v0, s32 offset:372
	scratch_store_b32 off, v4, s32 offset:396
	v_lshlrev_b32_e32 v0, 16, v7
	v_lshlrev_b32_e32 v4, 16, v28
	s_clause 0x1
	scratch_store_b32 off, v0, s32 offset:376
	scratch_store_b32 off, v4, s32 offset:400
	ds_load_b128 v[0:3], v19 offset:64
	v_and_b32_e32 v4, 0xffff0000, v28
	scratch_store_b32 off, v4, s32 offset:404 ; 4-byte Folded Spill
	v_lshlrev_b32_e32 v4, 16, v29
	ds_load_b128 v[26:29], v19 offset:96
	scratch_store_b32 off, v4, s32 offset:408 ; 4-byte Folded Spill
	ds_load_b128 v[4:7], v19 offset:80
	s_waitcnt lgkmcnt(2)
	v_lshlrev_b32_e32 v10, 16, v0
	v_and_b32_e32 v0, 0xffff0000, v0
	scratch_store_b32 off, v10, s32 offset:448 ; 4-byte Folded Spill
	s_waitcnt lgkmcnt(1)
	v_and_b32_e32 v10, 0xffff0000, v28
	scratch_store_b32 off, v0, s32 offset:452 ; 4-byte Folded Spill
	v_lshlrev_b32_e32 v0, 16, v1
	scratch_store_b32 off, v10, s32 offset:532 ; 4-byte Folded Spill
	v_lshlrev_b32_e32 v10, 16, v29
	scratch_store_b32 off, v0, s32 offset:456 ; 4-byte Folded Spill
	v_and_b32_e32 v0, 0xffff0000, v1
	scratch_store_b32 off, v10, s32 offset:536 ; 4-byte Folded Spill
	v_and_b32_e32 v10, 0xffff0000, v29
	scratch_store_b32 off, v0, s32 offset:460 ; 4-byte Folded Spill
	v_lshlrev_b32_e32 v0, 16, v2
	scratch_store_b32 off, v10, s32 offset:540 ; 4-byte Folded Spill
	v_lshlrev_b32_e32 v10, 16, v30
	scratch_store_b32 off, v0, s32 offset:464 ; 4-byte Folded Spill
	v_and_b32_e32 v0, 0xffff0000, v2
	scratch_store_b32 off, v10, s32 offset:544 ; 4-byte Folded Spill
	;; [unrolled: 8-line block ×3, first 2 shown]
	v_and_b32_e32 v10, 0xffff0000, v31
	scratch_store_b32 off, v0, s32 offset:476 ; 4-byte Folded Spill
	s_waitcnt lgkmcnt(0)
	v_lshlrev_b32_e32 v0, 16, v4
	scratch_store_b32 off, v10, s32 offset:556 ; 4-byte Folded Spill
	v_lshlrev_b32_e32 v10, 16, v32
	scratch_store_b32 off, v0, s32 offset:480 ; 4-byte Folded Spill
	v_and_b32_e32 v0, 0xffff0000, v4
	v_and_b32_e32 v4, 0xffff0000, v7
	scratch_store_b32 off, v10, s32 offset:560 ; 4-byte Folded Spill
	v_and_b32_e32 v10, 0xffff0000, v32
	s_clause 0x1
	scratch_store_b32 off, v0, s32 offset:484
	scratch_store_b32 off, v4, s32 offset:508
	v_lshlrev_b32_e32 v0, 16, v5
	v_lshlrev_b32_e32 v4, 16, v26
	scratch_store_b32 off, v10, s32 offset:564 ; 4-byte Folded Spill
	v_lshlrev_b32_e32 v10, 16, v33
	s_clause 0x1
	scratch_store_b32 off, v0, s32 offset:488
	scratch_store_b32 off, v4, s32 offset:512
	v_and_b32_e32 v0, 0xffff0000, v5
	scratch_store_b32 off, v10, s32 offset:568 ; 4-byte Folded Spill
	v_and_b32_e32 v4, 0xffff0000, v26
	v_and_b32_e32 v10, 0xffff0000, v33
	ds_load_b128 v[30:33], v19 offset:176
	scratch_store_b32 off, v0, s32 offset:492 ; 4-byte Folded Spill
	v_lshlrev_b32_e32 v0, 16, v6
	s_clause 0x1
	scratch_store_b32 off, v4, s32 offset:516
	scratch_store_b32 off, v10, s32 offset:572
	v_lshlrev_b32_e32 v4, 16, v27
	scratch_store_b32 off, v0, s32 offset:496 ; 4-byte Folded Spill
	v_and_b32_e32 v0, 0xffff0000, v6
	scratch_store_b32 off, v4, s32 offset:520 ; 4-byte Folded Spill
	v_and_b32_e32 v4, 0xffff0000, v27
	scratch_store_b32 off, v0, s32 offset:500 ; 4-byte Folded Spill
	v_lshlrev_b32_e32 v0, 16, v7
	scratch_store_b32 off, v4, s32 offset:524 ; 4-byte Folded Spill
	v_lshlrev_b32_e32 v4, 16, v28
	ds_load_b128 v[26:29], v19 offset:160
	scratch_store_b32 off, v0, s32 offset:504 ; 4-byte Folded Spill
	ds_load_b128 v[0:3], v19 offset:128
	s_waitcnt lgkmcnt(2)
	v_lshlrev_b32_e32 v74, 16, v30
	scratch_store_b32 off, v4, s32 offset:528 ; 4-byte Folded Spill
	ds_load_b128 v[4:7], v19 offset:144
	v_and_b32_e32 v75, 0xffff0000, v30
	v_lshlrev_b32_e32 v76, 16, v31
	v_and_b32_e32 v77, 0xffff0000, v31
	v_lshlrev_b32_e32 v78, 16, v32
	;; [unrolled: 2-line block ×3, first 2 shown]
	v_and_b32_e32 v89, 0xffff0000, v33
	s_waitcnt lgkmcnt(2)
	v_lshlrev_b32_e32 v58, 16, v26
	v_and_b32_e32 v59, 0xffff0000, v26
	s_waitcnt lgkmcnt(1)
	v_lshlrev_b32_e32 v10, 16, v0
	v_and_b32_e32 v0, 0xffff0000, v0
	v_lshlrev_b32_e32 v60, 16, v27
	s_waitcnt lgkmcnt(0)
	v_and_b32_e32 v43, 0xffff0000, v4
	v_lshlrev_b32_e32 v44, 16, v5
	s_clause 0x1
	scratch_store_b32 off, v10, s32 offset:576
	scratch_store_b32 off, v0, s32 offset:580
	v_lshlrev_b32_e32 v0, 16, v1
	v_and_b32_e32 v45, 0xffff0000, v5
	v_lshlrev_b32_e32 v46, 16, v6
	v_and_b32_e32 v47, 0xffff0000, v6
	v_lshlrev_b32_e32 v56, 16, v7
	scratch_store_b32 off, v0, s32 offset:584 ; 4-byte Folded Spill
	v_and_b32_e32 v0, 0xffff0000, v1
	v_and_b32_e32 v57, 0xffff0000, v7
	;; [unrolled: 1-line block ×3, first 2 shown]
	v_lshlrev_b32_e32 v62, 16, v28
	v_and_b32_e32 v63, 0xffff0000, v28
	scratch_store_b32 off, v0, s32 offset:588 ; 4-byte Folded Spill
	v_lshlrev_b32_e32 v0, 16, v2
	v_lshlrev_b32_e32 v72, 16, v29
	v_and_b32_e32 v73, 0xffff0000, v29
	ds_load_b128 v[26:29], v19 offset:224
	scratch_store_b32 off, v0, s32 offset:592 ; 4-byte Folded Spill
	v_and_b32_e32 v0, 0xffff0000, v2
	scratch_store_b32 off, v0, s32 offset:596 ; 4-byte Folded Spill
	v_lshlrev_b32_e32 v0, 16, v3
	scratch_store_b32 off, v0, s32 offset:600 ; 4-byte Folded Spill
	v_and_b32_e32 v0, 0xffff0000, v3
	scratch_store_b32 off, v0, s32 offset:604 ; 4-byte Folded Spill
	v_lshlrev_b32_e32 v0, 16, v4
	ds_load_b128 v[4:7], v19 offset:208
	s_waitcnt lgkmcnt(1)
	v_lshlrev_b32_e32 v122, 16, v26
	v_and_b32_e32 v123, 0xffff0000, v26
	v_lshlrev_b32_e32 v124, 16, v27
	scratch_store_b32 off, v0, s32 offset:608 ; 4-byte Folded Spill
	ds_load_b128 v[0:3], v19 offset:192
	v_and_b32_e32 v125, 0xffff0000, v27
	v_lshlrev_b32_e32 v126, 16, v28
	v_and_b32_e32 v127, 0xffff0000, v28
	v_lshlrev_b32_e32 v137, 16, v29
	v_and_b32_e32 v138, 0xffff0000, v29
	s_waitcnt lgkmcnt(1)
	v_lshlrev_b32_e32 v108, 16, v5
	v_and_b32_e32 v109, 0xffff0000, v5
	scratch_load_b32 v5, off, s32 offset:612 ; 4-byte Folded Reload
	v_lshlrev_b32_e32 v106, 16, v4
	v_and_b32_e32 v107, 0xffff0000, v4
	s_waitcnt lgkmcnt(0)
	v_lshlrev_b32_e32 v90, 16, v0
	v_and_b32_e32 v91, 0xffff0000, v0
	v_lshlrev_b32_e32 v92, 16, v1
	v_and_b32_e32 v93, 0xffff0000, v1
	v_lshlrev_b64 v[0:1], 2, v[16:17]
	v_lshlrev_b32_e32 v94, 16, v2
	v_and_b32_e32 v95, 0xffff0000, v2
	v_add_co_u32 v2, vcc_lo, v8, v23
	v_lshlrev_b32_e32 v104, 16, v3
	v_and_b32_e32 v105, 0xffff0000, v3
	v_add_co_ci_u32_e32 v3, vcc_lo, v9, v35, vcc_lo
	v_add_co_u32 v0, vcc_lo, v52, v0
	v_add_co_ci_u32_e32 v1, vcc_lo, v53, v1, vcc_lo
	v_lshlrev_b32_e32 v110, 16, v6
	v_and_b32_e32 v111, 0xffff0000, v6
	v_lshlrev_b32_e32 v120, 16, v7
	v_and_b32_e32 v121, 0xffff0000, v7
	s_waitcnt vmcnt(0)
	v_lshlrev_b32_e32 v4, 4, v5
	s_delay_alu instid0(VALU_DEP_1)
	v_add_co_u32 v8, vcc_lo, v2, v4
	v_add_co_ci_u32_e32 v9, vcc_lo, 0, v3, vcc_lo
	scratch_load_b32 v3, off, s32 offset:616 ; 4-byte Folded Reload
	s_waitcnt vmcnt(0)
	v_lshlrev_b32_e32 v2, 5, v3
	v_lshl_or_b32 v3, v3, 7, v20
	v_add_co_u32 v20, vcc_lo, v14, v0
	v_add_co_ci_u32_e32 v21, vcc_lo, v15, v1, vcc_lo
	v_cmp_neq_f32_e32 vcc_lo, 0, v39
	v_add3_u32 v139, s17, v2, v5
	v_add_nc_u32_e32 v140, s1, v3
	s_branch .LBB462_8
.LBB462_7:                              ;   in Loop: Header=BB462_8 Depth=1
	s_or_b32 exec_lo, exec_lo, s2
	scratch_load_b32 v31, off, s32 offset:352 ; 4-byte Folded Reload
	v_and_b32_e32 v28, 0xffff0000, v168
	v_and_b32_e32 v29, 0xffff0000, v143
	;; [unrolled: 1-line block ×8, first 2 shown]
	v_cmp_lt_i32_e64 s1, v139, v36
	v_add_nc_u32_e32 v142, 4, v142
	v_add_co_u32 v20, s2, v20, 16
	s_delay_alu instid0(VALU_DEP_1)
	v_add_co_ci_u32_e64 v21, s2, 0, v21, s2
	s_clause 0x1
	scratch_load_b32 v41, off, s32 offset:376
	scratch_load_b32 v42, off, s32 offset:380
	s_waitcnt vmcnt(2)
	v_mul_f32_e32 v168, v31, v28
	s_clause 0x1
	scratch_load_b32 v28, off, s32 offset:320
	scratch_load_b32 v31, off, s32 offset:356
	s_waitcnt vmcnt(1)
	v_fmac_f32_e32 v168, v28, v29
	v_and_b32_e32 v28, 0xffff0000, v169
	v_and_b32_e32 v29, 0xffff0000, v153
	s_waitcnt vmcnt(0)
	s_delay_alu instid0(VALU_DEP_2)
	v_mul_f32_e32 v169, v31, v28
	s_clause 0x1
	scratch_load_b32 v28, off, s32 offset:324
	scratch_load_b32 v31, off, s32 offset:360
	s_waitcnt vmcnt(1)
	v_dual_fmac_f32 v169, v28, v29 :: v_dual_and_b32 v28, 0xffff0000, v170
	v_and_b32_e32 v29, 0xffff0000, v154
	s_waitcnt vmcnt(0)
	s_delay_alu instid0(VALU_DEP_2)
	v_mul_f32_e32 v153, v31, v28
	s_clause 0x1
	scratch_load_b32 v28, off, s32 offset:328
	scratch_load_b32 v31, off, s32 offset:364
	s_waitcnt vmcnt(1)
	v_dual_fmac_f32 v153, v28, v29 :: v_dual_and_b32 v28, 0xffff0000, v171
	s_waitcnt vmcnt(0)
	s_delay_alu instid0(VALU_DEP_1)
	v_dual_mul_f32 v152, v31, v28 :: v_dual_and_b32 v29, 0xffff0000, v155
	s_clause 0x1
	scratch_load_b32 v28, off, s32 offset:332
	scratch_load_b32 v31, off, s32 offset:368
	s_waitcnt vmcnt(1)
	v_dual_fmac_f32 v152, v28, v29 :: v_dual_and_b32 v29, 0xffff0000, v156
	v_and_b32_e32 v28, 0xffff0000, v172
	s_waitcnt vmcnt(0)
	s_delay_alu instid0(VALU_DEP_1)
	v_mul_f32_e32 v143, v31, v28
	scratch_load_b32 v28, off, s32 offset:336 ; 4-byte Folded Reload
	v_and_b32_e32 v31, 0xffff0000, v157
	s_waitcnt vmcnt(0)
	v_fmac_f32_e32 v143, v28, v29
	scratch_load_b32 v29, off, s32 offset:372 ; 4-byte Folded Reload
	v_and_b32_e32 v28, 0xffff0000, v173
	s_waitcnt vmcnt(0)
	s_delay_alu instid0(VALU_DEP_1) | instskip(SKIP_3) | instid1(VALU_DEP_1)
	v_mul_f32_e32 v29, v29, v28
	scratch_load_b32 v28, off, s32 offset:340 ; 4-byte Folded Reload
	s_waitcnt vmcnt(0)
	v_dual_fmac_f32 v29, v28, v31 :: v_dual_and_b32 v28, 0xffff0000, v174
	v_dual_mul_f32 v28, v41, v28 :: v_dual_and_b32 v31, 0xffff0000, v158
	scratch_load_b32 v41, off, s32 offset:344 ; 4-byte Folded Reload
	s_waitcnt vmcnt(0)
	v_fmac_f32_e32 v28, v41, v31
	v_and_b32_e32 v31, 0xffff0000, v175
	v_and_b32_e32 v41, 0xffff0000, v159
	s_delay_alu instid0(VALU_DEP_2)
	v_mul_f32_e32 v31, v42, v31
	scratch_load_b32 v42, off, s32 offset:348 ; 4-byte Folded Reload
	s_waitcnt vmcnt(0)
	v_fmac_f32_e32 v31, v42, v41
	scratch_load_b32 v42, off, s32 offset:384 ; 4-byte Folded Reload
	v_and_b32_e32 v41, 0xffff0000, v184
	s_waitcnt vmcnt(0)
	s_delay_alu instid0(VALU_DEP_1) | instskip(SKIP_3) | instid1(VALU_DEP_1)
	v_fmac_f32_e32 v168, v42, v41
	scratch_load_b32 v42, off, s32 offset:388 ; 4-byte Folded Reload
	v_and_b32_e32 v41, 0xffff0000, v185
	s_waitcnt vmcnt(0)
	v_fmac_f32_e32 v169, v42, v41
	scratch_load_b32 v42, off, s32 offset:392 ; 4-byte Folded Reload
	v_and_b32_e32 v41, 0xffff0000, v186
	s_waitcnt vmcnt(0)
	s_delay_alu instid0(VALU_DEP_1) | instskip(SKIP_3) | instid1(VALU_DEP_1)
	v_fmac_f32_e32 v153, v42, v41
	scratch_load_b32 v42, off, s32 offset:396 ; 4-byte Folded Reload
	v_and_b32_e32 v41, 0xffff0000, v187
	;; [unrolled: 9-line block ×4, first 2 shown]
	s_waitcnt vmcnt(0)
	v_fmac_f32_e32 v31, v42, v41
	scratch_load_b32 v41, off, s32 offset:416 ; 4-byte Folded Reload
	s_waitcnt vmcnt(0)
	v_fmac_f32_e32 v168, v41, v38
	scratch_load_b32 v38, off, s32 offset:420 ; 4-byte Folded Reload
	s_waitcnt vmcnt(0)
	v_fmac_f32_e32 v169, v38, v5
	scratch_load_b32 v5, off, s32 offset:424 ; 4-byte Folded Reload
	s_waitcnt vmcnt(0)
	v_fmac_f32_e32 v153, v5, v4
	scratch_load_b32 v5, off, s32 offset:428 ; 4-byte Folded Reload
	v_and_b32_e32 v4, 0xffff0000, v35
	s_waitcnt vmcnt(0)
	s_delay_alu instid0(VALU_DEP_1) | instskip(SKIP_3) | instid1(VALU_DEP_1)
	v_fmac_f32_e32 v152, v5, v4
	scratch_load_b32 v5, off, s32 offset:432 ; 4-byte Folded Reload
	v_and_b32_e32 v4, 0xffff0000, v23
	s_waitcnt vmcnt(0)
	v_fmac_f32_e32 v143, v5, v4
	scratch_load_b32 v5, off, s32 offset:436 ; 4-byte Folded Reload
	v_and_b32_e32 v4, 0xffff0000, v53
	s_waitcnt vmcnt(0)
	s_delay_alu instid0(VALU_DEP_1) | instskip(SKIP_3) | instid1(VALU_DEP_1)
	v_fmac_f32_e32 v29, v5, v4
	scratch_load_b32 v5, off, s32 offset:440 ; 4-byte Folded Reload
	v_and_b32_e32 v4, 0xffff0000, v12
	s_waitcnt vmcnt(0)
	v_fmac_f32_e32 v28, v5, v4
	scratch_load_b32 v5, off, s32 offset:444 ; 4-byte Folded Reload
	;; [unrolled: 9-line block ×4, first 2 shown]
	s_waitcnt vmcnt(0)
	v_fmac_f32_e32 v152, v4, v2
	v_and_b32_e32 v2, 0xffff0000, v3
	scratch_load_b32 v3, off, s32 offset:464 ; 4-byte Folded Reload
	s_waitcnt vmcnt(0)
	v_fmac_f32_e32 v143, v3, v2
	scratch_load_b32 v3, off, s32 offset:468 ; 4-byte Folded Reload
	v_and_b32_e32 v2, 0xffff0000, v14
	s_waitcnt vmcnt(0)
	s_delay_alu instid0(VALU_DEP_1)
	v_dual_fmac_f32 v29, v3, v2 :: v_dual_and_b32 v2, 0xffff0000, v15
	scratch_load_b32 v3, off, s32 offset:472 ; 4-byte Folded Reload
	s_waitcnt vmcnt(0)
	v_fmac_f32_e32 v28, v3, v2
	scratch_load_b32 v3, off, s32 offset:476 ; 4-byte Folded Reload
	v_and_b32_e32 v2, 0xffff0000, v52
	s_waitcnt vmcnt(0)
	s_delay_alu instid0(VALU_DEP_1) | instskip(SKIP_3) | instid1(VALU_DEP_1)
	v_fmac_f32_e32 v31, v3, v2
	scratch_load_b32 v3, off, s32 offset:480 ; 4-byte Folded Reload
	v_and_b32_e32 v2, 0xffff0000, v34
	s_waitcnt vmcnt(0)
	v_fmac_f32_e32 v168, v3, v2
	scratch_load_b32 v3, off, s32 offset:484 ; 4-byte Folded Reload
	v_and_b32_e32 v2, 0xffff0000, v48
	s_waitcnt vmcnt(0)
	s_delay_alu instid0(VALU_DEP_1)
	v_fmac_f32_e32 v169, v3, v2
	scratch_load_b32 v2, off, s32 offset:488 ; 4-byte Folded Reload
	s_waitcnt vmcnt(0)
	v_fmac_f32_e32 v153, v2, v1
	scratch_load_b32 v1, off, s32 offset:492 ; 4-byte Folded Reload
	s_waitcnt vmcnt(0)
	v_fmac_f32_e32 v152, v1, v0
	scratch_load_b32 v1, off, s32 offset:496 ; 4-byte Folded Reload
	v_and_b32_e32 v0, 0xffff0000, v27
	s_waitcnt vmcnt(0)
	s_delay_alu instid0(VALU_DEP_1)
	v_dual_fmac_f32 v143, v1, v0 :: v_dual_and_b32 v0, 0xffff0000, v26
	scratch_load_b32 v1, off, s32 offset:500 ; 4-byte Folded Reload
	s_waitcnt vmcnt(0)
	v_fmac_f32_e32 v29, v1, v0
	scratch_load_b32 v1, off, s32 offset:504 ; 4-byte Folded Reload
	v_and_b32_e32 v0, 0xffff0000, v49
	s_waitcnt vmcnt(0)
	s_delay_alu instid0(VALU_DEP_1) | instskip(SKIP_3) | instid1(VALU_DEP_1)
	v_fmac_f32_e32 v28, v1, v0
	scratch_load_b32 v1, off, s32 offset:508 ; 4-byte Folded Reload
	v_and_b32_e32 v0, 0xffff0000, v50
	s_waitcnt vmcnt(0)
	v_dual_fmac_f32 v31, v1, v0 :: v_dual_and_b32 v0, 0xffff0000, v51
	scratch_load_b32 v1, off, s32 offset:512 ; 4-byte Folded Reload
	s_waitcnt vmcnt(0)
	v_fmac_f32_e32 v168, v1, v0
	scratch_load_b32 v1, off, s32 offset:516 ; 4-byte Folded Reload
	v_and_b32_e32 v0, 0xffff0000, v54
	s_waitcnt vmcnt(0)
	s_delay_alu instid0(VALU_DEP_1)
	v_dual_fmac_f32 v169, v1, v0 :: v_dual_and_b32 v0, 0xffff0000, v55
	scratch_load_b32 v1, off, s32 offset:520 ; 4-byte Folded Reload
	s_waitcnt vmcnt(0)
	v_fmac_f32_e32 v153, v1, v0
	scratch_load_b32 v1, off, s32 offset:524 ; 4-byte Folded Reload
	v_and_b32_e32 v0, 0xffff0000, v64
	s_waitcnt vmcnt(0)
	s_delay_alu instid0(VALU_DEP_1) | instskip(SKIP_3) | instid1(VALU_DEP_1)
	v_fmac_f32_e32 v152, v1, v0
	scratch_load_b32 v1, off, s32 offset:528 ; 4-byte Folded Reload
	v_and_b32_e32 v0, 0xffff0000, v65
	s_waitcnt vmcnt(0)
	v_dual_fmac_f32 v143, v1, v0 :: v_dual_and_b32 v0, 0xffff0000, v66
	scratch_load_b32 v1, off, s32 offset:532 ; 4-byte Folded Reload
	s_waitcnt vmcnt(0)
	v_dual_fmac_f32 v29, v1, v0 :: v_dual_and_b32 v0, 0xffff0000, v67
	scratch_load_b32 v1, off, s32 offset:536 ; 4-byte Folded Reload
	s_waitcnt vmcnt(0)
	v_fmac_f32_e32 v28, v1, v0
	scratch_load_b32 v1, off, s32 offset:540 ; 4-byte Folded Reload
	v_and_b32_e32 v0, 0xffff0000, v68
	s_waitcnt vmcnt(0)
	s_delay_alu instid0(VALU_DEP_1)
	v_dual_fmac_f32 v31, v1, v0 :: v_dual_and_b32 v0, 0xffff0000, v69
	scratch_load_b32 v1, off, s32 offset:544 ; 4-byte Folded Reload
	s_waitcnt vmcnt(0)
	v_fmac_f32_e32 v168, v1, v0
	scratch_load_b32 v1, off, s32 offset:548 ; 4-byte Folded Reload
	v_and_b32_e32 v0, 0xffff0000, v70
	s_waitcnt vmcnt(0)
	s_delay_alu instid0(VALU_DEP_1)
	v_dual_fmac_f32 v169, v1, v0 :: v_dual_and_b32 v0, 0xffff0000, v71
	scratch_load_b32 v1, off, s32 offset:552 ; 4-byte Folded Reload
	s_waitcnt vmcnt(0)
	v_fmac_f32_e32 v153, v1, v0
	scratch_load_b32 v1, off, s32 offset:556 ; 4-byte Folded Reload
	v_and_b32_e32 v0, 0xffff0000, v80
	s_waitcnt vmcnt(0)
	s_delay_alu instid0(VALU_DEP_1) | instskip(SKIP_3) | instid1(VALU_DEP_1)
	v_fmac_f32_e32 v152, v1, v0
	scratch_load_b32 v1, off, s32 offset:560 ; 4-byte Folded Reload
	v_and_b32_e32 v0, 0xffff0000, v81
	s_waitcnt vmcnt(0)
	v_dual_fmac_f32 v143, v1, v0 :: v_dual_and_b32 v0, 0xffff0000, v82
	scratch_load_b32 v1, off, s32 offset:564 ; 4-byte Folded Reload
	s_waitcnt vmcnt(0)
	v_dual_fmac_f32 v29, v1, v0 :: v_dual_and_b32 v0, 0xffff0000, v83
	scratch_load_b32 v1, off, s32 offset:568 ; 4-byte Folded Reload
	s_waitcnt vmcnt(0)
	v_fmac_f32_e32 v28, v1, v0
	scratch_load_b32 v1, off, s32 offset:572 ; 4-byte Folded Reload
	v_and_b32_e32 v0, 0xffff0000, v84
	s_waitcnt vmcnt(0)
	s_delay_alu instid0(VALU_DEP_1)
	;; [unrolled: 31-line block ×3, first 2 shown]
	v_dual_fmac_f32 v31, v1, v0 :: v_dual_and_b32 v0, 0xffff0000, v101
	scratch_load_b32 v1, off, s32 offset:608 ; 4-byte Folded Reload
	s_waitcnt vmcnt(0)
	v_fmac_f32_e32 v168, v1, v0
	v_and_b32_e32 v0, 0xffff0000, v102
	v_and_b32_e32 v1, 0xffff0000, v147
	s_delay_alu instid0(VALU_DEP_2) | instskip(NEXT) | instid1(VALU_DEP_1)
	v_dual_fmac_f32 v169, v43, v0 :: v_dual_and_b32 v0, 0xffff0000, v103
	v_fmac_f32_e32 v153, v44, v0
	v_and_b32_e32 v0, 0xffff0000, v112
	s_delay_alu instid0(VALU_DEP_1) | instskip(SKIP_1) | instid1(VALU_DEP_1)
	v_fmac_f32_e32 v152, v45, v0
	v_and_b32_e32 v0, 0xffff0000, v113
	v_dual_fmac_f32 v143, v46, v0 :: v_dual_and_b32 v0, 0xffff0000, v114
	s_delay_alu instid0(VALU_DEP_1) | instskip(NEXT) | instid1(VALU_DEP_1)
	v_dual_fmac_f32 v29, v47, v0 :: v_dual_and_b32 v0, 0xffff0000, v115
	v_fmac_f32_e32 v28, v56, v0
	v_and_b32_e32 v0, 0xffff0000, v116
	s_delay_alu instid0(VALU_DEP_1) | instskip(NEXT) | instid1(VALU_DEP_1)
	v_dual_fmac_f32 v31, v57, v0 :: v_dual_and_b32 v0, 0xffff0000, v117
	v_fmac_f32_e32 v168, v58, v0
	v_and_b32_e32 v0, 0xffff0000, v118
	;; [unrolled: 4-line block ×3, first 2 shown]
	s_delay_alu instid0(VALU_DEP_1) | instskip(SKIP_1) | instid1(VALU_DEP_1)
	v_fmac_f32_e32 v152, v61, v0
	v_and_b32_e32 v0, 0xffff0000, v129
	v_dual_fmac_f32 v143, v62, v0 :: v_dual_and_b32 v0, 0xffff0000, v133
	s_delay_alu instid0(VALU_DEP_1) | instskip(SKIP_1) | instid1(VALU_DEP_1)
	v_fmac_f32_e32 v168, v74, v0
	v_and_b32_e32 v0, 0xffff0000, v134
	v_dual_fmac_f32 v169, v75, v0 :: v_dual_and_b32 v0, 0xffff0000, v130
	s_delay_alu instid0(VALU_DEP_1) | instskip(NEXT) | instid1(VALU_DEP_1)
	v_dual_fmac_f32 v29, v63, v0 :: v_dual_and_b32 v0, 0xffff0000, v131
	v_fmac_f32_e32 v28, v72, v0
	v_and_b32_e32 v0, 0xffff0000, v135
	s_delay_alu instid0(VALU_DEP_2) | instskip(NEXT) | instid1(VALU_DEP_2)
	v_fmac_f32_e32 v28, v88, v1
	v_dual_fmac_f32 v153, v76, v0 :: v_dual_and_b32 v0, 0xffff0000, v149
	s_delay_alu instid0(VALU_DEP_1) | instskip(SKIP_1) | instid1(VALU_DEP_1)
	v_dual_fmac_f32 v168, v90, v0 :: v_dual_and_b32 v1, 0xffff0000, v162
	v_and_b32_e32 v0, 0xffff0000, v150
	v_fmac_f32_e32 v169, v91, v0
	v_and_b32_e32 v0, 0xffff0000, v132
	s_delay_alu instid0(VALU_DEP_1) | instskip(SKIP_1) | instid1(VALU_DEP_1)
	v_fmac_f32_e32 v31, v73, v0
	v_and_b32_e32 v0, 0xffff0000, v144
	v_fmac_f32_e32 v152, v77, v0
	v_and_b32_e32 v0, 0xffff0000, v151
	s_delay_alu instid0(VALU_DEP_1) | instskip(NEXT) | instid1(VALU_DEP_1)
	v_dual_fmac_f32 v153, v92, v0 :: v_dual_and_b32 v0, 0xffff0000, v165
	v_fmac_f32_e32 v168, v106, v0
	v_and_b32_e32 v0, 0xffff0000, v166
	s_delay_alu instid0(VALU_DEP_1) | instskip(NEXT) | instid1(VALU_DEP_1)
	v_dual_fmac_f32 v169, v107, v0 :: v_dual_and_b32 v0, 0xffff0000, v145
	v_fmac_f32_e32 v143, v78, v0
	v_and_b32_e32 v0, 0xffff0000, v160
	s_delay_alu instid0(VALU_DEP_1) | instskip(SKIP_1) | instid1(VALU_DEP_1)
	v_fmac_f32_e32 v152, v93, v0
	v_and_b32_e32 v0, 0xffff0000, v167
	v_dual_fmac_f32 v153, v108, v0 :: v_dual_and_b32 v0, 0xffff0000, v179
	s_delay_alu instid0(VALU_DEP_1) | instskip(SKIP_1) | instid1(VALU_DEP_1)
	v_fmac_f32_e32 v168, v122, v0
	v_and_b32_e32 v0, 0xffff0000, v180
	v_dual_fmac_f32 v169, v123, v0 :: v_dual_and_b32 v0, 0xffff0000, v146
	s_delay_alu instid0(VALU_DEP_1) | instskip(NEXT) | instid1(VALU_DEP_1)
	v_dual_fmac_f32 v29, v79, v0 :: v_dual_and_b32 v0, 0xffff0000, v161
	v_fmac_f32_e32 v29, v95, v1
	s_delay_alu instid0(VALU_DEP_2) | instskip(SKIP_1) | instid1(VALU_DEP_1)
	v_fmac_f32_e32 v143, v94, v0
	v_and_b32_e32 v0, 0xffff0000, v176
	v_dual_fmac_f32 v152, v109, v0 :: v_dual_and_b32 v1, 0xffff0000, v177
	v_and_b32_e32 v0, 0xffff0000, v181
	s_delay_alu instid0(VALU_DEP_2) | instskip(SKIP_1) | instid1(VALU_DEP_3)
	v_fmac_f32_e32 v143, v110, v1
	v_and_b32_e32 v1, 0xffff0000, v182
	v_fmac_f32_e32 v153, v124, v0
	v_add_f32_e32 v0, v168, v169
	s_delay_alu instid0(VALU_DEP_3) | instskip(NEXT) | instid1(VALU_DEP_2)
	v_dual_fmac_f32 v152, v125, v1 :: v_dual_and_b32 v1, 0xffff0000, v148
	v_add_f32_e32 v0, v0, v153
	s_delay_alu instid0(VALU_DEP_2) | instskip(SKIP_1) | instid1(VALU_DEP_1)
	v_fmac_f32_e32 v31, v89, v1
	v_and_b32_e32 v1, 0xffff0000, v163
	v_dual_fmac_f32 v28, v104, v1 :: v_dual_and_b32 v1, 0xffff0000, v178
	s_delay_alu instid0(VALU_DEP_1) | instskip(SKIP_1) | instid1(VALU_DEP_1)
	v_fmac_f32_e32 v29, v111, v1
	v_and_b32_e32 v1, 0xffff0000, v183
	v_fmac_f32_e32 v143, v126, v1
	v_and_b32_e32 v1, 0xffff0000, v164
	s_delay_alu instid0(VALU_DEP_1) | instskip(SKIP_1) | instid1(VALU_DEP_2)
	v_dual_add_f32 v0, v152, v0 :: v_dual_fmac_f32 v31, v105, v1
	v_and_b32_e32 v1, 0xffff0000, v32
	v_add_f32_e32 v0, v143, v0
	s_delay_alu instid0(VALU_DEP_2) | instskip(NEXT) | instid1(VALU_DEP_1)
	v_dual_fmac_f32 v28, v120, v1 :: v_dual_and_b32 v1, 0xffff0000, v40
	v_fmac_f32_e32 v29, v127, v1
	s_delay_alu instid0(VALU_DEP_1) | instskip(NEXT) | instid1(VALU_DEP_1)
	v_dual_add_f32 v0, v29, v0 :: v_dual_and_b32 v1, 0xffff0000, v33
	v_fmac_f32_e32 v31, v121, v1
	v_and_b32_e32 v1, 0xffff0000, v30
	s_delay_alu instid0(VALU_DEP_1) | instskip(NEXT) | instid1(VALU_DEP_1)
	v_dual_fmac_f32 v28, v137, v1 :: v_dual_and_b32 v1, 0xffff0000, v18
	v_dual_add_f32 v0, v28, v0 :: v_dual_fmac_f32 v31, v138, v1
	v_add_nc_u32_e32 v1, v141, v139
	s_delay_alu instid0(VALU_DEP_2) | instskip(NEXT) | instid1(VALU_DEP_2)
	v_dual_add_f32 v0, v31, v0 :: v_dual_add_nc_u32 v139, 0x80, v139
	v_cvt_f32_i32_e32 v1, v1
	s_delay_alu instid0(VALU_DEP_1) | instskip(NEXT) | instid1(VALU_DEP_1)
	v_mul_f32_e32 v1, v39, v1
	v_cndmask_b32_e32 v1, 0, v1, vcc_lo
	s_delay_alu instid0(VALU_DEP_1) | instskip(SKIP_1) | instid1(VALU_DEP_1)
	v_fmac_f32_e32 v1, v0, v13
	v_max_f32_e32 v0, v136, v136
	v_max_f32_e32 v0, v0, v1
	v_cndmask_b32_e64 v1, 0, v1, s1
	s_delay_alu instid0(VALU_DEP_2) | instskip(SKIP_4) | instid1(SALU_CYCLE_1)
	v_cndmask_b32_e64 v136, v136, v0, s1
	v_cmp_ge_i32_e64 s1, v142, v37
	ds_store_b32 v140, v1
	v_add_nc_u32_e32 v140, 0x200, v140
	s_or_b32 s11, s1, s11
	s_and_not1_b32 exec_lo, exec_lo, s11
	s_cbranch_execz .LBB462_1448
.LBB462_8:                              ; =>This Inner Loop Header: Depth=1
	flat_load_b32 v0, v[20:21]
	s_mov_b32 s2, exec_lo
	s_waitcnt vmcnt(0) lgkmcnt(0)
	v_mad_i64_i32 v[28:29], null, v0, v22, v[8:9]
	flat_load_b64 v[30:31], v[28:29]
	flat_load_b32 v152, v[24:25]
	s_waitcnt vmcnt(1) lgkmcnt(1)
	v_dual_mov_b32 v0, 0 :: v_dual_and_b32 v1, 0xff, v30
	s_delay_alu instid0(VALU_DEP_1)
	v_cmpx_ne_u16_e32 0, v1
	s_cbranch_execz .LBB462_16
; %bb.9:                                ;   in Loop: Header=BB462_8 Depth=1
	v_bfrev_b32_e32 v0, 1
	s_mov_b32 s18, exec_lo
	v_cmpx_ne_u16_e32 0x80, v1
	s_cbranch_execz .LBB462_15
; %bb.10:                               ;   in Loop: Header=BB462_8 Depth=1
	v_and_b32_e32 v1, 0x7f, v30
	v_mov_b32_e32 v0, 0x7f800001
	s_mov_b32 s19, exec_lo
	s_delay_alu instid0(VALU_DEP_2)
	v_cmpx_ne_u32_e32 0x7f, v1
	s_cbranch_execz .LBB462_14
; %bb.11:                               ;   in Loop: Header=BB462_8 Depth=1
	v_lshrrev_b32_e32 v0, 3, v1
	v_dual_mov_b32 v33, v31 :: v_dual_mov_b32 v32, v30
	s_mov_b32 s20, exec_lo
	v_cmpx_gt_u32_e32 8, v1
; %bb.12:                               ;   in Loop: Header=BB462_8 Depth=1
	v_and_b32_e32 v0, 7, v30
	s_delay_alu instid0(VALU_DEP_1) | instskip(NEXT) | instid1(VALU_DEP_1)
	v_clz_i32_u32_e32 v0, v0
	v_min_u32_e32 v0, 32, v0
	s_delay_alu instid0(VALU_DEP_1) | instskip(SKIP_1) | instid1(VALU_DEP_2)
	v_subrev_nc_u32_e32 v1, 28, v0
	v_sub_nc_u32_e32 v0, 29, v0
	v_lshlrev_b64 v[32:33], v1, v[30:31]
; %bb.13:                               ;   in Loop: Header=BB462_8 Depth=1
	s_or_b32 exec_lo, exec_lo, s20
	s_delay_alu instid0(VALU_DEP_1) | instskip(SKIP_2) | instid1(VALU_DEP_3)
	v_lshlrev_b32_e32 v1, 20, v32
	v_lshlrev_b32_e32 v2, 24, v30
	v_lshl_add_u32 v0, v0, 23, 0x3c000000
	v_and_b32_e32 v1, 0x700000, v1
	s_delay_alu instid0(VALU_DEP_3) | instskip(NEXT) | instid1(VALU_DEP_1)
	v_and_b32_e32 v2, 0x80000000, v2
	v_or3_b32 v0, v1, v2, v0
.LBB462_14:                             ;   in Loop: Header=BB462_8 Depth=1
	s_or_b32 exec_lo, exec_lo, s19
.LBB462_15:                             ;   in Loop: Header=BB462_8 Depth=1
	s_delay_alu instid0(SALU_CYCLE_1)
	s_or_b32 exec_lo, exec_lo, s18
.LBB462_16:                             ;   in Loop: Header=BB462_8 Depth=1
	s_delay_alu instid0(SALU_CYCLE_1) | instskip(SKIP_2) | instid1(VALU_DEP_1)
	s_or_b32 exec_lo, exec_lo, s2
	s_waitcnt vmcnt(0) lgkmcnt(0)
	v_mul_f32_e32 v0, v152, v0
                                        ; implicit-def: $vgpr143
	v_and_b32_e32 v1, 0x7f800000, v0
	s_delay_alu instid0(VALU_DEP_1) | instskip(NEXT) | instid1(VALU_DEP_1)
	v_cmp_ne_u32_e64 s1, 0x7f800000, v1
	s_and_saveexec_b32 s2, s1
	s_delay_alu instid0(SALU_CYCLE_1)
	s_xor_b32 s1, exec_lo, s2
; %bb.17:                               ;   in Loop: Header=BB462_8 Depth=1
	v_bfe_u32 v1, v0, 16, 1
	s_delay_alu instid0(VALU_DEP_1)
	v_add3_u32 v143, v0, v1, 0x7fff
                                        ; implicit-def: $vgpr0
; %bb.18:                               ;   in Loop: Header=BB462_8 Depth=1
	s_and_not1_saveexec_b32 s2, s1
; %bb.19:                               ;   in Loop: Header=BB462_8 Depth=1
	v_and_b32_e32 v1, 0xffff, v0
	v_or_b32_e32 v2, 0x10000, v0
	s_delay_alu instid0(VALU_DEP_2) | instskip(NEXT) | instid1(VALU_DEP_1)
	v_cmp_eq_u32_e64 s1, 0, v1
	v_cndmask_b32_e64 v143, v2, v0, s1
; %bb.20:                               ;   in Loop: Header=BB462_8 Depth=1
	s_or_b32 exec_lo, exec_lo, s2
	v_lshrrev_b16 v1, 8, v30
	v_mov_b32_e32 v0, 0
	s_mov_b32 s2, exec_lo
	s_delay_alu instid0(VALU_DEP_2)
	v_cmpx_ne_u16_e32 0, v1
	s_cbranch_execz .LBB462_28
; %bb.21:                               ;   in Loop: Header=BB462_8 Depth=1
	v_bfrev_b32_e32 v0, 1
	s_mov_b32 s18, exec_lo
	v_cmpx_ne_u16_e32 0x80, v1
	s_cbranch_execz .LBB462_27
; %bb.22:                               ;   in Loop: Header=BB462_8 Depth=1
	v_and_b32_e32 v2, 0xffff, v1
	v_mov_b32_e32 v0, 0x7f800001
	s_mov_b32 s19, exec_lo
	s_delay_alu instid0(VALU_DEP_2) | instskip(NEXT) | instid1(VALU_DEP_1)
	v_and_b32_e32 v1, 0x7f, v2
	v_cmpx_ne_u32_e32 0x7f, v1
	s_cbranch_execz .LBB462_26
; %bb.23:                               ;   in Loop: Header=BB462_8 Depth=1
	v_and_b32_e32 v18, 7, v2
	v_lshrrev_b32_e32 v0, 3, v1
	v_mov_b32_e32 v33, v19
	s_mov_b32 s20, exec_lo
	s_delay_alu instid0(VALU_DEP_3)
	v_mov_b32_e32 v32, v18
	v_cmpx_gt_u32_e32 8, v1
; %bb.24:                               ;   in Loop: Header=BB462_8 Depth=1
	v_clz_i32_u32_e32 v0, v18
	s_delay_alu instid0(VALU_DEP_1) | instskip(NEXT) | instid1(VALU_DEP_1)
	v_min_u32_e32 v0, 32, v0
	v_subrev_nc_u32_e32 v1, 28, v0
	v_sub_nc_u32_e32 v0, 29, v0
	s_delay_alu instid0(VALU_DEP_2) | instskip(NEXT) | instid1(VALU_DEP_1)
	v_lshlrev_b64 v[1:2], v1, v[18:19]
	v_and_b32_e32 v32, 7, v1
; %bb.25:                               ;   in Loop: Header=BB462_8 Depth=1
	s_or_b32 exec_lo, exec_lo, s20
	v_lshlrev_b32_e32 v1, 16, v30
	s_delay_alu instid0(VALU_DEP_2) | instskip(SKIP_1) | instid1(VALU_DEP_3)
	v_lshlrev_b32_e32 v2, 20, v32
	v_lshl_add_u32 v0, v0, 23, 0x3c000000
	v_and_b32_e32 v1, 0x80000000, v1
	s_delay_alu instid0(VALU_DEP_1)
	v_or3_b32 v0, v2, v1, v0
.LBB462_26:                             ;   in Loop: Header=BB462_8 Depth=1
	s_or_b32 exec_lo, exec_lo, s19
.LBB462_27:                             ;   in Loop: Header=BB462_8 Depth=1
	s_delay_alu instid0(SALU_CYCLE_1)
	s_or_b32 exec_lo, exec_lo, s18
.LBB462_28:                             ;   in Loop: Header=BB462_8 Depth=1
	s_delay_alu instid0(SALU_CYCLE_1) | instskip(NEXT) | instid1(VALU_DEP_1)
	s_or_b32 exec_lo, exec_lo, s2
	v_mul_f32_e32 v0, v152, v0
                                        ; implicit-def: $vgpr153
	s_delay_alu instid0(VALU_DEP_1) | instskip(NEXT) | instid1(VALU_DEP_1)
	v_and_b32_e32 v1, 0x7f800000, v0
	v_cmp_ne_u32_e64 s1, 0x7f800000, v1
	s_delay_alu instid0(VALU_DEP_1) | instskip(NEXT) | instid1(SALU_CYCLE_1)
	s_and_saveexec_b32 s2, s1
	s_xor_b32 s1, exec_lo, s2
; %bb.29:                               ;   in Loop: Header=BB462_8 Depth=1
	v_bfe_u32 v1, v0, 16, 1
	s_delay_alu instid0(VALU_DEP_1)
	v_add3_u32 v153, v0, v1, 0x7fff
                                        ; implicit-def: $vgpr0
; %bb.30:                               ;   in Loop: Header=BB462_8 Depth=1
	s_and_not1_saveexec_b32 s2, s1
; %bb.31:                               ;   in Loop: Header=BB462_8 Depth=1
	v_and_b32_e32 v1, 0xffff, v0
	v_or_b32_e32 v2, 0x10000, v0
	s_delay_alu instid0(VALU_DEP_2) | instskip(NEXT) | instid1(VALU_DEP_1)
	v_cmp_eq_u32_e64 s1, 0, v1
	v_cndmask_b32_e64 v153, v2, v0, s1
; %bb.32:                               ;   in Loop: Header=BB462_8 Depth=1
	s_or_b32 exec_lo, exec_lo, s2
	v_lshrrev_b32_e32 v0, 16, v30
	s_mov_b32 s2, exec_lo
	s_delay_alu instid0(VALU_DEP_1) | instskip(NEXT) | instid1(VALU_DEP_1)
	v_dual_mov_b32 v1, 0 :: v_dual_and_b32 v2, 0xff, v0
	v_cmpx_ne_u16_e32 0, v2
	s_cbranch_execz .LBB462_40
; %bb.33:                               ;   in Loop: Header=BB462_8 Depth=1
	v_bfrev_b32_e32 v1, 1
	s_mov_b32 s18, exec_lo
	v_cmpx_ne_u16_e32 0x80, v2
	s_cbranch_execz .LBB462_39
; %bb.34:                               ;   in Loop: Header=BB462_8 Depth=1
	v_bfe_u32 v2, v30, 16, 7
	v_mov_b32_e32 v1, 0x7f800001
	s_mov_b32 s19, exec_lo
	s_delay_alu instid0(VALU_DEP_2)
	v_cmpx_ne_u32_e32 0x7f, v2
	s_cbranch_execz .LBB462_38
; %bb.35:                               ;   in Loop: Header=BB462_8 Depth=1
	v_and_b32_e32 v18, 7, v0
	v_lshrrev_b32_e32 v1, 3, v2
	v_mov_b32_e32 v33, v19
	s_mov_b32 s20, exec_lo
	s_delay_alu instid0(VALU_DEP_3)
	v_mov_b32_e32 v32, v18
	v_cmpx_gt_u32_e32 8, v2
; %bb.36:                               ;   in Loop: Header=BB462_8 Depth=1
	v_clz_i32_u32_e32 v1, v18
	s_delay_alu instid0(VALU_DEP_1) | instskip(NEXT) | instid1(VALU_DEP_1)
	v_min_u32_e32 v1, 32, v1
	v_subrev_nc_u32_e32 v2, 28, v1
	v_sub_nc_u32_e32 v1, 29, v1
	s_delay_alu instid0(VALU_DEP_2) | instskip(NEXT) | instid1(VALU_DEP_1)
	v_lshlrev_b64 v[2:3], v2, v[18:19]
	v_and_b32_e32 v32, 7, v2
; %bb.37:                               ;   in Loop: Header=BB462_8 Depth=1
	s_or_b32 exec_lo, exec_lo, s20
	v_lshlrev_b32_e32 v0, 24, v0
	s_delay_alu instid0(VALU_DEP_2) | instskip(SKIP_1) | instid1(VALU_DEP_3)
	v_lshlrev_b32_e32 v2, 20, v32
	v_lshl_add_u32 v1, v1, 23, 0x3c000000
	v_and_b32_e32 v0, 0x80000000, v0
	s_delay_alu instid0(VALU_DEP_1)
	v_or3_b32 v1, v2, v0, v1
.LBB462_38:                             ;   in Loop: Header=BB462_8 Depth=1
	s_or_b32 exec_lo, exec_lo, s19
.LBB462_39:                             ;   in Loop: Header=BB462_8 Depth=1
	s_delay_alu instid0(SALU_CYCLE_1)
	s_or_b32 exec_lo, exec_lo, s18
.LBB462_40:                             ;   in Loop: Header=BB462_8 Depth=1
	s_delay_alu instid0(SALU_CYCLE_1) | instskip(NEXT) | instid1(VALU_DEP_1)
	s_or_b32 exec_lo, exec_lo, s2
	v_mul_f32_e32 v0, v152, v1
                                        ; implicit-def: $vgpr154
	s_delay_alu instid0(VALU_DEP_1) | instskip(NEXT) | instid1(VALU_DEP_1)
	v_and_b32_e32 v1, 0x7f800000, v0
	v_cmp_ne_u32_e64 s1, 0x7f800000, v1
	s_delay_alu instid0(VALU_DEP_1) | instskip(NEXT) | instid1(SALU_CYCLE_1)
	s_and_saveexec_b32 s2, s1
	s_xor_b32 s1, exec_lo, s2
; %bb.41:                               ;   in Loop: Header=BB462_8 Depth=1
	v_bfe_u32 v1, v0, 16, 1
	s_delay_alu instid0(VALU_DEP_1)
	v_add3_u32 v154, v0, v1, 0x7fff
                                        ; implicit-def: $vgpr0
; %bb.42:                               ;   in Loop: Header=BB462_8 Depth=1
	s_and_not1_saveexec_b32 s2, s1
; %bb.43:                               ;   in Loop: Header=BB462_8 Depth=1
	v_and_b32_e32 v1, 0xffff, v0
	v_or_b32_e32 v2, 0x10000, v0
	s_delay_alu instid0(VALU_DEP_2) | instskip(NEXT) | instid1(VALU_DEP_1)
	v_cmp_eq_u32_e64 s1, 0, v1
	v_cndmask_b32_e64 v154, v2, v0, s1
; %bb.44:                               ;   in Loop: Header=BB462_8 Depth=1
	s_or_b32 exec_lo, exec_lo, s2
	v_mov_b32_e32 v1, 0
	s_mov_b32 s2, exec_lo
	v_cmpx_lt_u32_e32 0xffffff, v30
	s_cbranch_execz .LBB462_52
; %bb.45:                               ;   in Loop: Header=BB462_8 Depth=1
	v_lshrrev_b32_e32 v0, 24, v30
	v_bfrev_b32_e32 v1, 1
	s_mov_b32 s18, exec_lo
	s_delay_alu instid0(VALU_DEP_2)
	v_cmpx_ne_u32_e32 0x80, v0
	s_cbranch_execz .LBB462_51
; %bb.46:                               ;   in Loop: Header=BB462_8 Depth=1
	v_bfe_u32 v2, v30, 24, 7
	v_mov_b32_e32 v1, 0x7f800001
	s_mov_b32 s19, exec_lo
	s_delay_alu instid0(VALU_DEP_2)
	v_cmpx_ne_u32_e32 0x7f, v2
	s_cbranch_execz .LBB462_50
; %bb.47:                               ;   in Loop: Header=BB462_8 Depth=1
	v_and_b32_e32 v18, 7, v0
	v_lshrrev_b32_e32 v1, 3, v2
	v_mov_b32_e32 v33, v19
	s_mov_b32 s20, exec_lo
	s_delay_alu instid0(VALU_DEP_3)
	v_mov_b32_e32 v32, v18
	v_cmpx_gt_u32_e32 8, v2
; %bb.48:                               ;   in Loop: Header=BB462_8 Depth=1
	v_clz_i32_u32_e32 v1, v18
	s_delay_alu instid0(VALU_DEP_1) | instskip(NEXT) | instid1(VALU_DEP_1)
	v_min_u32_e32 v1, 32, v1
	v_subrev_nc_u32_e32 v2, 28, v1
	v_sub_nc_u32_e32 v1, 29, v1
	s_delay_alu instid0(VALU_DEP_2) | instskip(NEXT) | instid1(VALU_DEP_1)
	v_lshlrev_b64 v[2:3], v2, v[18:19]
	v_and_b32_e32 v32, 7, v2
; %bb.49:                               ;   in Loop: Header=BB462_8 Depth=1
	s_or_b32 exec_lo, exec_lo, s20
	v_lshlrev_b32_e32 v0, 24, v0
	s_delay_alu instid0(VALU_DEP_2) | instskip(SKIP_1) | instid1(VALU_DEP_3)
	v_lshlrev_b32_e32 v2, 20, v32
	v_lshl_add_u32 v1, v1, 23, 0x3c000000
	v_and_b32_e32 v0, 0x80000000, v0
	s_delay_alu instid0(VALU_DEP_1)
	v_or3_b32 v1, v2, v0, v1
.LBB462_50:                             ;   in Loop: Header=BB462_8 Depth=1
	s_or_b32 exec_lo, exec_lo, s19
.LBB462_51:                             ;   in Loop: Header=BB462_8 Depth=1
	s_delay_alu instid0(SALU_CYCLE_1)
	s_or_b32 exec_lo, exec_lo, s18
.LBB462_52:                             ;   in Loop: Header=BB462_8 Depth=1
	s_delay_alu instid0(SALU_CYCLE_1) | instskip(NEXT) | instid1(VALU_DEP_1)
	s_or_b32 exec_lo, exec_lo, s2
	v_mul_f32_e32 v0, v152, v1
                                        ; implicit-def: $vgpr155
	s_delay_alu instid0(VALU_DEP_1) | instskip(NEXT) | instid1(VALU_DEP_1)
	v_and_b32_e32 v1, 0x7f800000, v0
	v_cmp_ne_u32_e64 s1, 0x7f800000, v1
	s_delay_alu instid0(VALU_DEP_1) | instskip(NEXT) | instid1(SALU_CYCLE_1)
	s_and_saveexec_b32 s2, s1
	s_xor_b32 s1, exec_lo, s2
; %bb.53:                               ;   in Loop: Header=BB462_8 Depth=1
	v_bfe_u32 v1, v0, 16, 1
	s_delay_alu instid0(VALU_DEP_1)
	v_add3_u32 v155, v0, v1, 0x7fff
                                        ; implicit-def: $vgpr0
; %bb.54:                               ;   in Loop: Header=BB462_8 Depth=1
	s_and_not1_saveexec_b32 s2, s1
; %bb.55:                               ;   in Loop: Header=BB462_8 Depth=1
	v_and_b32_e32 v1, 0xffff, v0
	v_or_b32_e32 v2, 0x10000, v0
	s_delay_alu instid0(VALU_DEP_2) | instskip(NEXT) | instid1(VALU_DEP_1)
	v_cmp_eq_u32_e64 s1, 0, v1
	v_cndmask_b32_e64 v155, v2, v0, s1
; %bb.56:                               ;   in Loop: Header=BB462_8 Depth=1
	s_or_b32 exec_lo, exec_lo, s2
	v_dual_mov_b32 v18, v31 :: v_dual_and_b32 v1, 0xff, v31
	v_mov_b32_e32 v0, 0
	s_mov_b32 s2, exec_lo
	s_delay_alu instid0(VALU_DEP_2)
	v_cmpx_ne_u16_e32 0, v1
	s_cbranch_execz .LBB462_64
; %bb.57:                               ;   in Loop: Header=BB462_8 Depth=1
	v_bfrev_b32_e32 v0, 1
	s_mov_b32 s18, exec_lo
	v_cmpx_ne_u16_e32 0x80, v1
	s_cbranch_execz .LBB462_63
; %bb.58:                               ;   in Loop: Header=BB462_8 Depth=1
	v_and_b32_e32 v1, 0x7f, v31
	v_mov_b32_e32 v0, 0x7f800001
	s_mov_b32 s19, exec_lo
	s_delay_alu instid0(VALU_DEP_2)
	v_cmpx_ne_u32_e32 0x7f, v1
	s_cbranch_execz .LBB462_62
; %bb.59:                               ;   in Loop: Header=BB462_8 Depth=1
	v_lshrrev_b32_e32 v0, 3, v1
	v_dual_mov_b32 v33, v19 :: v_dual_mov_b32 v32, v18
	s_mov_b32 s20, exec_lo
	v_cmpx_gt_u32_e32 8, v1
; %bb.60:                               ;   in Loop: Header=BB462_8 Depth=1
	v_and_b32_e32 v0, 7, v31
	s_delay_alu instid0(VALU_DEP_1) | instskip(NEXT) | instid1(VALU_DEP_1)
	v_clz_i32_u32_e32 v0, v0
	v_min_u32_e32 v0, 32, v0
	s_delay_alu instid0(VALU_DEP_1) | instskip(SKIP_1) | instid1(VALU_DEP_2)
	v_subrev_nc_u32_e32 v1, 28, v0
	v_sub_nc_u32_e32 v0, 29, v0
	v_lshlrev_b64 v[32:33], v1, v[18:19]
; %bb.61:                               ;   in Loop: Header=BB462_8 Depth=1
	s_or_b32 exec_lo, exec_lo, s20
	s_delay_alu instid0(VALU_DEP_1) | instskip(SKIP_2) | instid1(VALU_DEP_3)
	v_lshlrev_b32_e32 v1, 20, v32
	v_lshlrev_b32_e32 v2, 24, v18
	v_lshl_add_u32 v0, v0, 23, 0x3c000000
	v_and_b32_e32 v1, 0x700000, v1
	s_delay_alu instid0(VALU_DEP_3) | instskip(NEXT) | instid1(VALU_DEP_1)
	v_and_b32_e32 v2, 0x80000000, v2
	v_or3_b32 v0, v1, v2, v0
.LBB462_62:                             ;   in Loop: Header=BB462_8 Depth=1
	s_or_b32 exec_lo, exec_lo, s19
.LBB462_63:                             ;   in Loop: Header=BB462_8 Depth=1
	s_delay_alu instid0(SALU_CYCLE_1)
	s_or_b32 exec_lo, exec_lo, s18
.LBB462_64:                             ;   in Loop: Header=BB462_8 Depth=1
	s_delay_alu instid0(SALU_CYCLE_1) | instskip(NEXT) | instid1(VALU_DEP_1)
	s_or_b32 exec_lo, exec_lo, s2
	v_mul_f32_e32 v0, v152, v0
                                        ; implicit-def: $vgpr156
	s_delay_alu instid0(VALU_DEP_1) | instskip(NEXT) | instid1(VALU_DEP_1)
	v_and_b32_e32 v1, 0x7f800000, v0
	v_cmp_ne_u32_e64 s1, 0x7f800000, v1
	s_delay_alu instid0(VALU_DEP_1) | instskip(NEXT) | instid1(SALU_CYCLE_1)
	s_and_saveexec_b32 s2, s1
	s_xor_b32 s1, exec_lo, s2
; %bb.65:                               ;   in Loop: Header=BB462_8 Depth=1
	v_bfe_u32 v1, v0, 16, 1
	s_delay_alu instid0(VALU_DEP_1)
	v_add3_u32 v156, v0, v1, 0x7fff
                                        ; implicit-def: $vgpr0
; %bb.66:                               ;   in Loop: Header=BB462_8 Depth=1
	s_and_not1_saveexec_b32 s2, s1
; %bb.67:                               ;   in Loop: Header=BB462_8 Depth=1
	v_and_b32_e32 v1, 0xffff, v0
	v_or_b32_e32 v2, 0x10000, v0
	s_delay_alu instid0(VALU_DEP_2) | instskip(NEXT) | instid1(VALU_DEP_1)
	v_cmp_eq_u32_e64 s1, 0, v1
	v_cndmask_b32_e64 v156, v2, v0, s1
; %bb.68:                               ;   in Loop: Header=BB462_8 Depth=1
	s_or_b32 exec_lo, exec_lo, s2
	v_lshrrev_b16 v1, 8, v18
	v_mov_b32_e32 v0, 0
	s_mov_b32 s2, exec_lo
	s_delay_alu instid0(VALU_DEP_2)
	v_cmpx_ne_u16_e32 0, v1
	s_cbranch_execz .LBB462_76
; %bb.69:                               ;   in Loop: Header=BB462_8 Depth=1
	v_bfrev_b32_e32 v0, 1
	s_mov_b32 s18, exec_lo
	v_cmpx_ne_u16_e32 0x80, v1
	s_cbranch_execz .LBB462_75
; %bb.70:                               ;   in Loop: Header=BB462_8 Depth=1
	v_and_b32_e32 v2, 0xffff, v1
	v_mov_b32_e32 v0, 0x7f800001
	s_mov_b32 s19, exec_lo
	s_delay_alu instid0(VALU_DEP_2) | instskip(NEXT) | instid1(VALU_DEP_1)
	v_and_b32_e32 v1, 0x7f, v2
	v_cmpx_ne_u32_e32 0x7f, v1
	s_cbranch_execz .LBB462_74
; %bb.71:                               ;   in Loop: Header=BB462_8 Depth=1
	v_dual_mov_b32 v33, v19 :: v_dual_and_b32 v32, 7, v2
	v_lshrrev_b32_e32 v0, 3, v1
	s_mov_b32 s20, exec_lo
	v_cmpx_gt_u32_e32 8, v1
; %bb.72:                               ;   in Loop: Header=BB462_8 Depth=1
	s_delay_alu instid0(VALU_DEP_3) | instskip(NEXT) | instid1(VALU_DEP_1)
	v_clz_i32_u32_e32 v0, v32
	v_min_u32_e32 v0, 32, v0
	s_delay_alu instid0(VALU_DEP_1) | instskip(SKIP_1) | instid1(VALU_DEP_2)
	v_subrev_nc_u32_e32 v1, 28, v0
	v_sub_nc_u32_e32 v0, 29, v0
	v_lshlrev_b64 v[1:2], v1, v[32:33]
	s_delay_alu instid0(VALU_DEP_1)
	v_and_b32_e32 v32, 7, v1
; %bb.73:                               ;   in Loop: Header=BB462_8 Depth=1
	s_or_b32 exec_lo, exec_lo, s20
	v_lshlrev_b32_e32 v1, 16, v18
	s_delay_alu instid0(VALU_DEP_2) | instskip(SKIP_1) | instid1(VALU_DEP_3)
	v_lshlrev_b32_e32 v2, 20, v32
	v_lshl_add_u32 v0, v0, 23, 0x3c000000
	v_and_b32_e32 v1, 0x80000000, v1
	s_delay_alu instid0(VALU_DEP_1)
	v_or3_b32 v0, v2, v1, v0
.LBB462_74:                             ;   in Loop: Header=BB462_8 Depth=1
	s_or_b32 exec_lo, exec_lo, s19
.LBB462_75:                             ;   in Loop: Header=BB462_8 Depth=1
	s_delay_alu instid0(SALU_CYCLE_1)
	s_or_b32 exec_lo, exec_lo, s18
.LBB462_76:                             ;   in Loop: Header=BB462_8 Depth=1
	s_delay_alu instid0(SALU_CYCLE_1) | instskip(NEXT) | instid1(VALU_DEP_1)
	s_or_b32 exec_lo, exec_lo, s2
	v_mul_f32_e32 v0, v152, v0
                                        ; implicit-def: $vgpr157
	s_delay_alu instid0(VALU_DEP_1) | instskip(NEXT) | instid1(VALU_DEP_1)
	v_and_b32_e32 v1, 0x7f800000, v0
	v_cmp_ne_u32_e64 s1, 0x7f800000, v1
	s_delay_alu instid0(VALU_DEP_1) | instskip(NEXT) | instid1(SALU_CYCLE_1)
	s_and_saveexec_b32 s2, s1
	s_xor_b32 s1, exec_lo, s2
; %bb.77:                               ;   in Loop: Header=BB462_8 Depth=1
	v_bfe_u32 v1, v0, 16, 1
	s_delay_alu instid0(VALU_DEP_1)
	v_add3_u32 v157, v0, v1, 0x7fff
                                        ; implicit-def: $vgpr0
; %bb.78:                               ;   in Loop: Header=BB462_8 Depth=1
	s_and_not1_saveexec_b32 s2, s1
; %bb.79:                               ;   in Loop: Header=BB462_8 Depth=1
	v_and_b32_e32 v1, 0xffff, v0
	v_or_b32_e32 v2, 0x10000, v0
	s_delay_alu instid0(VALU_DEP_2) | instskip(NEXT) | instid1(VALU_DEP_1)
	v_cmp_eq_u32_e64 s1, 0, v1
	v_cndmask_b32_e64 v157, v2, v0, s1
; %bb.80:                               ;   in Loop: Header=BB462_8 Depth=1
	s_or_b32 exec_lo, exec_lo, s2
	v_lshrrev_b32_e32 v0, 16, v31
	s_mov_b32 s2, exec_lo
	s_delay_alu instid0(VALU_DEP_1) | instskip(NEXT) | instid1(VALU_DEP_1)
	v_dual_mov_b32 v1, 0 :: v_dual_and_b32 v2, 0xff, v0
	v_cmpx_ne_u16_e32 0, v2
	s_cbranch_execz .LBB462_88
; %bb.81:                               ;   in Loop: Header=BB462_8 Depth=1
	v_bfrev_b32_e32 v1, 1
	s_mov_b32 s18, exec_lo
	v_cmpx_ne_u16_e32 0x80, v2
	s_cbranch_execz .LBB462_87
; %bb.82:                               ;   in Loop: Header=BB462_8 Depth=1
	v_bfe_u32 v2, v31, 16, 7
	v_mov_b32_e32 v1, 0x7f800001
	s_mov_b32 s19, exec_lo
	s_delay_alu instid0(VALU_DEP_2)
	v_cmpx_ne_u32_e32 0x7f, v2
	s_cbranch_execz .LBB462_86
; %bb.83:                               ;   in Loop: Header=BB462_8 Depth=1
	v_and_b32_e32 v18, 7, v0
	v_lshrrev_b32_e32 v1, 3, v2
	v_mov_b32_e32 v33, v19
	s_mov_b32 s20, exec_lo
	s_delay_alu instid0(VALU_DEP_3)
	v_mov_b32_e32 v32, v18
	v_cmpx_gt_u32_e32 8, v2
; %bb.84:                               ;   in Loop: Header=BB462_8 Depth=1
	v_clz_i32_u32_e32 v1, v18
	s_delay_alu instid0(VALU_DEP_1) | instskip(NEXT) | instid1(VALU_DEP_1)
	v_min_u32_e32 v1, 32, v1
	v_subrev_nc_u32_e32 v2, 28, v1
	v_sub_nc_u32_e32 v1, 29, v1
	s_delay_alu instid0(VALU_DEP_2) | instskip(NEXT) | instid1(VALU_DEP_1)
	v_lshlrev_b64 v[2:3], v2, v[18:19]
	v_and_b32_e32 v32, 7, v2
; %bb.85:                               ;   in Loop: Header=BB462_8 Depth=1
	s_or_b32 exec_lo, exec_lo, s20
	v_lshlrev_b32_e32 v0, 24, v0
	s_delay_alu instid0(VALU_DEP_2) | instskip(SKIP_1) | instid1(VALU_DEP_3)
	v_lshlrev_b32_e32 v2, 20, v32
	v_lshl_add_u32 v1, v1, 23, 0x3c000000
	v_and_b32_e32 v0, 0x80000000, v0
	s_delay_alu instid0(VALU_DEP_1)
	v_or3_b32 v1, v2, v0, v1
.LBB462_86:                             ;   in Loop: Header=BB462_8 Depth=1
	s_or_b32 exec_lo, exec_lo, s19
.LBB462_87:                             ;   in Loop: Header=BB462_8 Depth=1
	s_delay_alu instid0(SALU_CYCLE_1)
	s_or_b32 exec_lo, exec_lo, s18
.LBB462_88:                             ;   in Loop: Header=BB462_8 Depth=1
	s_delay_alu instid0(SALU_CYCLE_1) | instskip(NEXT) | instid1(VALU_DEP_1)
	s_or_b32 exec_lo, exec_lo, s2
	v_mul_f32_e32 v0, v152, v1
                                        ; implicit-def: $vgpr158
	s_delay_alu instid0(VALU_DEP_1) | instskip(NEXT) | instid1(VALU_DEP_1)
	v_and_b32_e32 v1, 0x7f800000, v0
	v_cmp_ne_u32_e64 s1, 0x7f800000, v1
	s_delay_alu instid0(VALU_DEP_1) | instskip(NEXT) | instid1(SALU_CYCLE_1)
	s_and_saveexec_b32 s2, s1
	s_xor_b32 s1, exec_lo, s2
; %bb.89:                               ;   in Loop: Header=BB462_8 Depth=1
	v_bfe_u32 v1, v0, 16, 1
	s_delay_alu instid0(VALU_DEP_1)
	v_add3_u32 v158, v0, v1, 0x7fff
                                        ; implicit-def: $vgpr0
; %bb.90:                               ;   in Loop: Header=BB462_8 Depth=1
	s_and_not1_saveexec_b32 s2, s1
; %bb.91:                               ;   in Loop: Header=BB462_8 Depth=1
	v_and_b32_e32 v1, 0xffff, v0
	v_or_b32_e32 v2, 0x10000, v0
	s_delay_alu instid0(VALU_DEP_2) | instskip(NEXT) | instid1(VALU_DEP_1)
	v_cmp_eq_u32_e64 s1, 0, v1
	v_cndmask_b32_e64 v158, v2, v0, s1
; %bb.92:                               ;   in Loop: Header=BB462_8 Depth=1
	s_or_b32 exec_lo, exec_lo, s2
	v_mov_b32_e32 v1, 0
	s_mov_b32 s2, exec_lo
	v_cmpx_lt_u64_e64 s[8:9], v[30:31]
	s_cbranch_execz .LBB462_100
; %bb.93:                               ;   in Loop: Header=BB462_8 Depth=1
	v_lshrrev_b32_e32 v0, 24, v31
	v_bfrev_b32_e32 v1, 1
	s_mov_b32 s18, exec_lo
	s_delay_alu instid0(VALU_DEP_2)
	v_cmpx_ne_u32_e32 0x80, v0
	s_cbranch_execz .LBB462_99
; %bb.94:                               ;   in Loop: Header=BB462_8 Depth=1
	v_bfe_u32 v2, v31, 24, 7
	v_mov_b32_e32 v1, 0x7f800001
	s_mov_b32 s19, exec_lo
	s_delay_alu instid0(VALU_DEP_2)
	v_cmpx_ne_u32_e32 0x7f, v2
	s_cbranch_execz .LBB462_98
; %bb.95:                               ;   in Loop: Header=BB462_8 Depth=1
	v_and_b32_e32 v18, 7, v0
	v_lshrrev_b32_e32 v1, 3, v2
	v_mov_b32_e32 v31, v19
	s_mov_b32 s20, exec_lo
	s_delay_alu instid0(VALU_DEP_3)
	v_mov_b32_e32 v30, v18
	v_cmpx_gt_u32_e32 8, v2
; %bb.96:                               ;   in Loop: Header=BB462_8 Depth=1
	v_clz_i32_u32_e32 v1, v18
	s_delay_alu instid0(VALU_DEP_1) | instskip(NEXT) | instid1(VALU_DEP_1)
	v_min_u32_e32 v1, 32, v1
	v_subrev_nc_u32_e32 v2, 28, v1
	v_sub_nc_u32_e32 v1, 29, v1
	s_delay_alu instid0(VALU_DEP_2) | instskip(NEXT) | instid1(VALU_DEP_1)
	v_lshlrev_b64 v[2:3], v2, v[18:19]
	v_and_b32_e32 v30, 7, v2
; %bb.97:                               ;   in Loop: Header=BB462_8 Depth=1
	s_or_b32 exec_lo, exec_lo, s20
	v_lshlrev_b32_e32 v0, 24, v0
	s_delay_alu instid0(VALU_DEP_2) | instskip(SKIP_1) | instid1(VALU_DEP_3)
	v_lshlrev_b32_e32 v2, 20, v30
	v_lshl_add_u32 v1, v1, 23, 0x3c000000
	v_and_b32_e32 v0, 0x80000000, v0
	s_delay_alu instid0(VALU_DEP_1)
	v_or3_b32 v1, v2, v0, v1
.LBB462_98:                             ;   in Loop: Header=BB462_8 Depth=1
	s_or_b32 exec_lo, exec_lo, s19
.LBB462_99:                             ;   in Loop: Header=BB462_8 Depth=1
	s_delay_alu instid0(SALU_CYCLE_1)
	s_or_b32 exec_lo, exec_lo, s18
.LBB462_100:                            ;   in Loop: Header=BB462_8 Depth=1
	s_delay_alu instid0(SALU_CYCLE_1) | instskip(NEXT) | instid1(VALU_DEP_1)
	s_or_b32 exec_lo, exec_lo, s2
	v_mul_f32_e32 v0, v152, v1
                                        ; implicit-def: $vgpr159
	s_delay_alu instid0(VALU_DEP_1) | instskip(NEXT) | instid1(VALU_DEP_1)
	v_and_b32_e32 v1, 0x7f800000, v0
	v_cmp_ne_u32_e64 s1, 0x7f800000, v1
	s_delay_alu instid0(VALU_DEP_1) | instskip(NEXT) | instid1(SALU_CYCLE_1)
	s_and_saveexec_b32 s2, s1
	s_xor_b32 s1, exec_lo, s2
; %bb.101:                              ;   in Loop: Header=BB462_8 Depth=1
	v_bfe_u32 v1, v0, 16, 1
	s_delay_alu instid0(VALU_DEP_1)
	v_add3_u32 v159, v0, v1, 0x7fff
                                        ; implicit-def: $vgpr0
; %bb.102:                              ;   in Loop: Header=BB462_8 Depth=1
	s_and_not1_saveexec_b32 s2, s1
; %bb.103:                              ;   in Loop: Header=BB462_8 Depth=1
	v_and_b32_e32 v1, 0xffff, v0
	v_or_b32_e32 v2, 0x10000, v0
	s_delay_alu instid0(VALU_DEP_2) | instskip(NEXT) | instid1(VALU_DEP_1)
	v_cmp_eq_u32_e64 s1, 0, v1
	v_cndmask_b32_e64 v159, v2, v0, s1
; %bb.104:                              ;   in Loop: Header=BB462_8 Depth=1
	s_or_b32 exec_lo, exec_lo, s2
	flat_load_b64 v[30:31], v[28:29] offset:8
	s_mov_b32 s2, exec_lo
	s_waitcnt vmcnt(0) lgkmcnt(0)
	v_dual_mov_b32 v0, 0 :: v_dual_and_b32 v1, 0xff, v30
	s_delay_alu instid0(VALU_DEP_1)
	v_cmpx_ne_u16_e32 0, v1
	s_cbranch_execz .LBB462_112
; %bb.105:                              ;   in Loop: Header=BB462_8 Depth=1
	v_bfrev_b32_e32 v0, 1
	s_mov_b32 s18, exec_lo
	v_cmpx_ne_u16_e32 0x80, v1
	s_cbranch_execz .LBB462_111
; %bb.106:                              ;   in Loop: Header=BB462_8 Depth=1
	v_and_b32_e32 v1, 0x7f, v30
	v_mov_b32_e32 v0, 0x7f800001
	s_mov_b32 s19, exec_lo
	s_delay_alu instid0(VALU_DEP_2)
	v_cmpx_ne_u32_e32 0x7f, v1
	s_cbranch_execz .LBB462_110
; %bb.107:                              ;   in Loop: Header=BB462_8 Depth=1
	v_lshrrev_b32_e32 v0, 3, v1
	v_dual_mov_b32 v33, v31 :: v_dual_mov_b32 v32, v30
	s_mov_b32 s20, exec_lo
	v_cmpx_gt_u32_e32 8, v1
; %bb.108:                              ;   in Loop: Header=BB462_8 Depth=1
	v_and_b32_e32 v0, 7, v30
	s_delay_alu instid0(VALU_DEP_1) | instskip(NEXT) | instid1(VALU_DEP_1)
	v_clz_i32_u32_e32 v0, v0
	v_min_u32_e32 v0, 32, v0
	s_delay_alu instid0(VALU_DEP_1) | instskip(SKIP_1) | instid1(VALU_DEP_2)
	v_subrev_nc_u32_e32 v1, 28, v0
	v_sub_nc_u32_e32 v0, 29, v0
	v_lshlrev_b64 v[32:33], v1, v[30:31]
; %bb.109:                              ;   in Loop: Header=BB462_8 Depth=1
	s_or_b32 exec_lo, exec_lo, s20
	s_delay_alu instid0(VALU_DEP_1) | instskip(SKIP_2) | instid1(VALU_DEP_3)
	v_lshlrev_b32_e32 v1, 20, v32
	v_lshlrev_b32_e32 v2, 24, v30
	v_lshl_add_u32 v0, v0, 23, 0x3c000000
	v_and_b32_e32 v1, 0x700000, v1
	s_delay_alu instid0(VALU_DEP_3) | instskip(NEXT) | instid1(VALU_DEP_1)
	v_and_b32_e32 v2, 0x80000000, v2
	v_or3_b32 v0, v1, v2, v0
.LBB462_110:                            ;   in Loop: Header=BB462_8 Depth=1
	s_or_b32 exec_lo, exec_lo, s19
.LBB462_111:                            ;   in Loop: Header=BB462_8 Depth=1
	s_delay_alu instid0(SALU_CYCLE_1)
	s_or_b32 exec_lo, exec_lo, s18
.LBB462_112:                            ;   in Loop: Header=BB462_8 Depth=1
	s_delay_alu instid0(SALU_CYCLE_1) | instskip(NEXT) | instid1(VALU_DEP_1)
	s_or_b32 exec_lo, exec_lo, s2
	v_mul_f32_e32 v0, v152, v0
                                        ; implicit-def: $vgpr168
	s_delay_alu instid0(VALU_DEP_1) | instskip(NEXT) | instid1(VALU_DEP_1)
	v_and_b32_e32 v1, 0x7f800000, v0
	v_cmp_ne_u32_e64 s1, 0x7f800000, v1
	s_delay_alu instid0(VALU_DEP_1) | instskip(NEXT) | instid1(SALU_CYCLE_1)
	s_and_saveexec_b32 s2, s1
	s_xor_b32 s1, exec_lo, s2
; %bb.113:                              ;   in Loop: Header=BB462_8 Depth=1
	v_bfe_u32 v1, v0, 16, 1
	s_delay_alu instid0(VALU_DEP_1)
	v_add3_u32 v168, v0, v1, 0x7fff
                                        ; implicit-def: $vgpr0
; %bb.114:                              ;   in Loop: Header=BB462_8 Depth=1
	s_and_not1_saveexec_b32 s2, s1
; %bb.115:                              ;   in Loop: Header=BB462_8 Depth=1
	v_and_b32_e32 v1, 0xffff, v0
	v_or_b32_e32 v2, 0x10000, v0
	s_delay_alu instid0(VALU_DEP_2) | instskip(NEXT) | instid1(VALU_DEP_1)
	v_cmp_eq_u32_e64 s1, 0, v1
	v_cndmask_b32_e64 v168, v2, v0, s1
; %bb.116:                              ;   in Loop: Header=BB462_8 Depth=1
	s_or_b32 exec_lo, exec_lo, s2
	v_lshrrev_b16 v1, 8, v30
	v_mov_b32_e32 v0, 0
	s_mov_b32 s2, exec_lo
	s_delay_alu instid0(VALU_DEP_2)
	v_cmpx_ne_u16_e32 0, v1
	s_cbranch_execz .LBB462_124
; %bb.117:                              ;   in Loop: Header=BB462_8 Depth=1
	v_bfrev_b32_e32 v0, 1
	s_mov_b32 s18, exec_lo
	v_cmpx_ne_u16_e32 0x80, v1
	s_cbranch_execz .LBB462_123
; %bb.118:                              ;   in Loop: Header=BB462_8 Depth=1
	v_and_b32_e32 v2, 0xffff, v1
	v_mov_b32_e32 v0, 0x7f800001
	s_mov_b32 s19, exec_lo
	s_delay_alu instid0(VALU_DEP_2) | instskip(NEXT) | instid1(VALU_DEP_1)
	v_and_b32_e32 v1, 0x7f, v2
	v_cmpx_ne_u32_e32 0x7f, v1
	s_cbranch_execz .LBB462_122
; %bb.119:                              ;   in Loop: Header=BB462_8 Depth=1
	v_and_b32_e32 v18, 7, v2
	v_lshrrev_b32_e32 v0, 3, v1
	v_mov_b32_e32 v33, v19
	s_mov_b32 s20, exec_lo
	s_delay_alu instid0(VALU_DEP_3)
	v_mov_b32_e32 v32, v18
	v_cmpx_gt_u32_e32 8, v1
; %bb.120:                              ;   in Loop: Header=BB462_8 Depth=1
	v_clz_i32_u32_e32 v0, v18
	s_delay_alu instid0(VALU_DEP_1) | instskip(NEXT) | instid1(VALU_DEP_1)
	v_min_u32_e32 v0, 32, v0
	v_subrev_nc_u32_e32 v1, 28, v0
	v_sub_nc_u32_e32 v0, 29, v0
	s_delay_alu instid0(VALU_DEP_2) | instskip(NEXT) | instid1(VALU_DEP_1)
	v_lshlrev_b64 v[1:2], v1, v[18:19]
	v_and_b32_e32 v32, 7, v1
; %bb.121:                              ;   in Loop: Header=BB462_8 Depth=1
	s_or_b32 exec_lo, exec_lo, s20
	v_lshlrev_b32_e32 v1, 16, v30
	s_delay_alu instid0(VALU_DEP_2) | instskip(SKIP_1) | instid1(VALU_DEP_3)
	v_lshlrev_b32_e32 v2, 20, v32
	v_lshl_add_u32 v0, v0, 23, 0x3c000000
	v_and_b32_e32 v1, 0x80000000, v1
	s_delay_alu instid0(VALU_DEP_1)
	v_or3_b32 v0, v2, v1, v0
.LBB462_122:                            ;   in Loop: Header=BB462_8 Depth=1
	s_or_b32 exec_lo, exec_lo, s19
.LBB462_123:                            ;   in Loop: Header=BB462_8 Depth=1
	s_delay_alu instid0(SALU_CYCLE_1)
	s_or_b32 exec_lo, exec_lo, s18
.LBB462_124:                            ;   in Loop: Header=BB462_8 Depth=1
	s_delay_alu instid0(SALU_CYCLE_1) | instskip(NEXT) | instid1(VALU_DEP_1)
	s_or_b32 exec_lo, exec_lo, s2
	v_mul_f32_e32 v0, v152, v0
                                        ; implicit-def: $vgpr169
	s_delay_alu instid0(VALU_DEP_1) | instskip(NEXT) | instid1(VALU_DEP_1)
	v_and_b32_e32 v1, 0x7f800000, v0
	v_cmp_ne_u32_e64 s1, 0x7f800000, v1
	s_delay_alu instid0(VALU_DEP_1) | instskip(NEXT) | instid1(SALU_CYCLE_1)
	s_and_saveexec_b32 s2, s1
	s_xor_b32 s1, exec_lo, s2
; %bb.125:                              ;   in Loop: Header=BB462_8 Depth=1
	v_bfe_u32 v1, v0, 16, 1
	s_delay_alu instid0(VALU_DEP_1)
	v_add3_u32 v169, v0, v1, 0x7fff
                                        ; implicit-def: $vgpr0
; %bb.126:                              ;   in Loop: Header=BB462_8 Depth=1
	s_and_not1_saveexec_b32 s2, s1
; %bb.127:                              ;   in Loop: Header=BB462_8 Depth=1
	v_and_b32_e32 v1, 0xffff, v0
	v_or_b32_e32 v2, 0x10000, v0
	s_delay_alu instid0(VALU_DEP_2) | instskip(NEXT) | instid1(VALU_DEP_1)
	v_cmp_eq_u32_e64 s1, 0, v1
	v_cndmask_b32_e64 v169, v2, v0, s1
; %bb.128:                              ;   in Loop: Header=BB462_8 Depth=1
	s_or_b32 exec_lo, exec_lo, s2
	v_lshrrev_b32_e32 v0, 16, v30
	s_mov_b32 s2, exec_lo
	s_delay_alu instid0(VALU_DEP_1) | instskip(NEXT) | instid1(VALU_DEP_1)
	v_dual_mov_b32 v1, 0 :: v_dual_and_b32 v2, 0xff, v0
	v_cmpx_ne_u16_e32 0, v2
	s_cbranch_execz .LBB462_136
; %bb.129:                              ;   in Loop: Header=BB462_8 Depth=1
	v_bfrev_b32_e32 v1, 1
	s_mov_b32 s18, exec_lo
	v_cmpx_ne_u16_e32 0x80, v2
	s_cbranch_execz .LBB462_135
; %bb.130:                              ;   in Loop: Header=BB462_8 Depth=1
	v_bfe_u32 v2, v30, 16, 7
	v_mov_b32_e32 v1, 0x7f800001
	s_mov_b32 s19, exec_lo
	s_delay_alu instid0(VALU_DEP_2)
	v_cmpx_ne_u32_e32 0x7f, v2
	s_cbranch_execz .LBB462_134
; %bb.131:                              ;   in Loop: Header=BB462_8 Depth=1
	v_and_b32_e32 v18, 7, v0
	v_lshrrev_b32_e32 v1, 3, v2
	v_mov_b32_e32 v33, v19
	s_mov_b32 s20, exec_lo
	s_delay_alu instid0(VALU_DEP_3)
	v_mov_b32_e32 v32, v18
	v_cmpx_gt_u32_e32 8, v2
; %bb.132:                              ;   in Loop: Header=BB462_8 Depth=1
	v_clz_i32_u32_e32 v1, v18
	s_delay_alu instid0(VALU_DEP_1) | instskip(NEXT) | instid1(VALU_DEP_1)
	v_min_u32_e32 v1, 32, v1
	v_subrev_nc_u32_e32 v2, 28, v1
	v_sub_nc_u32_e32 v1, 29, v1
	s_delay_alu instid0(VALU_DEP_2) | instskip(NEXT) | instid1(VALU_DEP_1)
	v_lshlrev_b64 v[2:3], v2, v[18:19]
	v_and_b32_e32 v32, 7, v2
; %bb.133:                              ;   in Loop: Header=BB462_8 Depth=1
	s_or_b32 exec_lo, exec_lo, s20
	v_lshlrev_b32_e32 v0, 24, v0
	s_delay_alu instid0(VALU_DEP_2) | instskip(SKIP_1) | instid1(VALU_DEP_3)
	v_lshlrev_b32_e32 v2, 20, v32
	v_lshl_add_u32 v1, v1, 23, 0x3c000000
	v_and_b32_e32 v0, 0x80000000, v0
	s_delay_alu instid0(VALU_DEP_1)
	v_or3_b32 v1, v2, v0, v1
.LBB462_134:                            ;   in Loop: Header=BB462_8 Depth=1
	s_or_b32 exec_lo, exec_lo, s19
.LBB462_135:                            ;   in Loop: Header=BB462_8 Depth=1
	s_delay_alu instid0(SALU_CYCLE_1)
	s_or_b32 exec_lo, exec_lo, s18
.LBB462_136:                            ;   in Loop: Header=BB462_8 Depth=1
	s_delay_alu instid0(SALU_CYCLE_1) | instskip(NEXT) | instid1(VALU_DEP_1)
	s_or_b32 exec_lo, exec_lo, s2
	v_mul_f32_e32 v0, v152, v1
                                        ; implicit-def: $vgpr170
	s_delay_alu instid0(VALU_DEP_1) | instskip(NEXT) | instid1(VALU_DEP_1)
	v_and_b32_e32 v1, 0x7f800000, v0
	v_cmp_ne_u32_e64 s1, 0x7f800000, v1
	s_delay_alu instid0(VALU_DEP_1) | instskip(NEXT) | instid1(SALU_CYCLE_1)
	s_and_saveexec_b32 s2, s1
	s_xor_b32 s1, exec_lo, s2
; %bb.137:                              ;   in Loop: Header=BB462_8 Depth=1
	v_bfe_u32 v1, v0, 16, 1
	s_delay_alu instid0(VALU_DEP_1)
	v_add3_u32 v170, v0, v1, 0x7fff
                                        ; implicit-def: $vgpr0
; %bb.138:                              ;   in Loop: Header=BB462_8 Depth=1
	s_and_not1_saveexec_b32 s2, s1
; %bb.139:                              ;   in Loop: Header=BB462_8 Depth=1
	v_and_b32_e32 v1, 0xffff, v0
	v_or_b32_e32 v2, 0x10000, v0
	s_delay_alu instid0(VALU_DEP_2) | instskip(NEXT) | instid1(VALU_DEP_1)
	v_cmp_eq_u32_e64 s1, 0, v1
	v_cndmask_b32_e64 v170, v2, v0, s1
; %bb.140:                              ;   in Loop: Header=BB462_8 Depth=1
	s_or_b32 exec_lo, exec_lo, s2
	v_mov_b32_e32 v1, 0
	s_mov_b32 s2, exec_lo
	v_cmpx_lt_u32_e32 0xffffff, v30
	s_cbranch_execz .LBB462_148
; %bb.141:                              ;   in Loop: Header=BB462_8 Depth=1
	v_lshrrev_b32_e32 v0, 24, v30
	v_bfrev_b32_e32 v1, 1
	s_mov_b32 s18, exec_lo
	s_delay_alu instid0(VALU_DEP_2)
	v_cmpx_ne_u32_e32 0x80, v0
	s_cbranch_execz .LBB462_147
; %bb.142:                              ;   in Loop: Header=BB462_8 Depth=1
	v_bfe_u32 v2, v30, 24, 7
	v_mov_b32_e32 v1, 0x7f800001
	s_mov_b32 s19, exec_lo
	s_delay_alu instid0(VALU_DEP_2)
	v_cmpx_ne_u32_e32 0x7f, v2
	s_cbranch_execz .LBB462_146
; %bb.143:                              ;   in Loop: Header=BB462_8 Depth=1
	v_and_b32_e32 v18, 7, v0
	v_lshrrev_b32_e32 v1, 3, v2
	v_mov_b32_e32 v33, v19
	s_mov_b32 s20, exec_lo
	s_delay_alu instid0(VALU_DEP_3)
	v_mov_b32_e32 v32, v18
	v_cmpx_gt_u32_e32 8, v2
; %bb.144:                              ;   in Loop: Header=BB462_8 Depth=1
	v_clz_i32_u32_e32 v1, v18
	s_delay_alu instid0(VALU_DEP_1) | instskip(NEXT) | instid1(VALU_DEP_1)
	v_min_u32_e32 v1, 32, v1
	v_subrev_nc_u32_e32 v2, 28, v1
	v_sub_nc_u32_e32 v1, 29, v1
	s_delay_alu instid0(VALU_DEP_2) | instskip(NEXT) | instid1(VALU_DEP_1)
	v_lshlrev_b64 v[2:3], v2, v[18:19]
	v_and_b32_e32 v32, 7, v2
; %bb.145:                              ;   in Loop: Header=BB462_8 Depth=1
	s_or_b32 exec_lo, exec_lo, s20
	v_lshlrev_b32_e32 v0, 24, v0
	s_delay_alu instid0(VALU_DEP_2) | instskip(SKIP_1) | instid1(VALU_DEP_3)
	v_lshlrev_b32_e32 v2, 20, v32
	v_lshl_add_u32 v1, v1, 23, 0x3c000000
	v_and_b32_e32 v0, 0x80000000, v0
	s_delay_alu instid0(VALU_DEP_1)
	v_or3_b32 v1, v2, v0, v1
.LBB462_146:                            ;   in Loop: Header=BB462_8 Depth=1
	s_or_b32 exec_lo, exec_lo, s19
.LBB462_147:                            ;   in Loop: Header=BB462_8 Depth=1
	s_delay_alu instid0(SALU_CYCLE_1)
	s_or_b32 exec_lo, exec_lo, s18
.LBB462_148:                            ;   in Loop: Header=BB462_8 Depth=1
	s_delay_alu instid0(SALU_CYCLE_1) | instskip(NEXT) | instid1(VALU_DEP_1)
	s_or_b32 exec_lo, exec_lo, s2
	v_mul_f32_e32 v0, v152, v1
                                        ; implicit-def: $vgpr171
	s_delay_alu instid0(VALU_DEP_1) | instskip(NEXT) | instid1(VALU_DEP_1)
	v_and_b32_e32 v1, 0x7f800000, v0
	v_cmp_ne_u32_e64 s1, 0x7f800000, v1
	s_delay_alu instid0(VALU_DEP_1) | instskip(NEXT) | instid1(SALU_CYCLE_1)
	s_and_saveexec_b32 s2, s1
	s_xor_b32 s1, exec_lo, s2
; %bb.149:                              ;   in Loop: Header=BB462_8 Depth=1
	v_bfe_u32 v1, v0, 16, 1
	s_delay_alu instid0(VALU_DEP_1)
	v_add3_u32 v171, v0, v1, 0x7fff
                                        ; implicit-def: $vgpr0
; %bb.150:                              ;   in Loop: Header=BB462_8 Depth=1
	s_and_not1_saveexec_b32 s2, s1
; %bb.151:                              ;   in Loop: Header=BB462_8 Depth=1
	v_and_b32_e32 v1, 0xffff, v0
	v_or_b32_e32 v2, 0x10000, v0
	s_delay_alu instid0(VALU_DEP_2) | instskip(NEXT) | instid1(VALU_DEP_1)
	v_cmp_eq_u32_e64 s1, 0, v1
	v_cndmask_b32_e64 v171, v2, v0, s1
; %bb.152:                              ;   in Loop: Header=BB462_8 Depth=1
	s_or_b32 exec_lo, exec_lo, s2
	v_dual_mov_b32 v18, v31 :: v_dual_and_b32 v1, 0xff, v31
	v_mov_b32_e32 v0, 0
	s_mov_b32 s2, exec_lo
	s_delay_alu instid0(VALU_DEP_2)
	v_cmpx_ne_u16_e32 0, v1
	s_cbranch_execz .LBB462_160
; %bb.153:                              ;   in Loop: Header=BB462_8 Depth=1
	v_bfrev_b32_e32 v0, 1
	s_mov_b32 s18, exec_lo
	v_cmpx_ne_u16_e32 0x80, v1
	s_cbranch_execz .LBB462_159
; %bb.154:                              ;   in Loop: Header=BB462_8 Depth=1
	v_and_b32_e32 v1, 0x7f, v31
	v_mov_b32_e32 v0, 0x7f800001
	s_mov_b32 s19, exec_lo
	s_delay_alu instid0(VALU_DEP_2)
	v_cmpx_ne_u32_e32 0x7f, v1
	s_cbranch_execz .LBB462_158
; %bb.155:                              ;   in Loop: Header=BB462_8 Depth=1
	v_lshrrev_b32_e32 v0, 3, v1
	v_dual_mov_b32 v33, v19 :: v_dual_mov_b32 v32, v18
	s_mov_b32 s20, exec_lo
	v_cmpx_gt_u32_e32 8, v1
; %bb.156:                              ;   in Loop: Header=BB462_8 Depth=1
	v_and_b32_e32 v0, 7, v31
	s_delay_alu instid0(VALU_DEP_1) | instskip(NEXT) | instid1(VALU_DEP_1)
	v_clz_i32_u32_e32 v0, v0
	v_min_u32_e32 v0, 32, v0
	s_delay_alu instid0(VALU_DEP_1) | instskip(SKIP_1) | instid1(VALU_DEP_2)
	v_subrev_nc_u32_e32 v1, 28, v0
	v_sub_nc_u32_e32 v0, 29, v0
	v_lshlrev_b64 v[32:33], v1, v[18:19]
; %bb.157:                              ;   in Loop: Header=BB462_8 Depth=1
	s_or_b32 exec_lo, exec_lo, s20
	s_delay_alu instid0(VALU_DEP_1) | instskip(SKIP_2) | instid1(VALU_DEP_3)
	v_lshlrev_b32_e32 v1, 20, v32
	v_lshlrev_b32_e32 v2, 24, v18
	v_lshl_add_u32 v0, v0, 23, 0x3c000000
	v_and_b32_e32 v1, 0x700000, v1
	s_delay_alu instid0(VALU_DEP_3) | instskip(NEXT) | instid1(VALU_DEP_1)
	v_and_b32_e32 v2, 0x80000000, v2
	v_or3_b32 v0, v1, v2, v0
.LBB462_158:                            ;   in Loop: Header=BB462_8 Depth=1
	s_or_b32 exec_lo, exec_lo, s19
.LBB462_159:                            ;   in Loop: Header=BB462_8 Depth=1
	s_delay_alu instid0(SALU_CYCLE_1)
	s_or_b32 exec_lo, exec_lo, s18
.LBB462_160:                            ;   in Loop: Header=BB462_8 Depth=1
	s_delay_alu instid0(SALU_CYCLE_1) | instskip(NEXT) | instid1(VALU_DEP_1)
	s_or_b32 exec_lo, exec_lo, s2
	v_mul_f32_e32 v0, v152, v0
                                        ; implicit-def: $vgpr172
	s_delay_alu instid0(VALU_DEP_1) | instskip(NEXT) | instid1(VALU_DEP_1)
	v_and_b32_e32 v1, 0x7f800000, v0
	v_cmp_ne_u32_e64 s1, 0x7f800000, v1
	s_delay_alu instid0(VALU_DEP_1) | instskip(NEXT) | instid1(SALU_CYCLE_1)
	s_and_saveexec_b32 s2, s1
	s_xor_b32 s1, exec_lo, s2
; %bb.161:                              ;   in Loop: Header=BB462_8 Depth=1
	v_bfe_u32 v1, v0, 16, 1
	s_delay_alu instid0(VALU_DEP_1)
	v_add3_u32 v172, v0, v1, 0x7fff
                                        ; implicit-def: $vgpr0
; %bb.162:                              ;   in Loop: Header=BB462_8 Depth=1
	s_and_not1_saveexec_b32 s2, s1
; %bb.163:                              ;   in Loop: Header=BB462_8 Depth=1
	v_and_b32_e32 v1, 0xffff, v0
	v_or_b32_e32 v2, 0x10000, v0
	s_delay_alu instid0(VALU_DEP_2) | instskip(NEXT) | instid1(VALU_DEP_1)
	v_cmp_eq_u32_e64 s1, 0, v1
	v_cndmask_b32_e64 v172, v2, v0, s1
; %bb.164:                              ;   in Loop: Header=BB462_8 Depth=1
	s_or_b32 exec_lo, exec_lo, s2
	v_lshrrev_b16 v1, 8, v18
	v_mov_b32_e32 v0, 0
	s_mov_b32 s2, exec_lo
	s_delay_alu instid0(VALU_DEP_2)
	v_cmpx_ne_u16_e32 0, v1
	s_cbranch_execz .LBB462_172
; %bb.165:                              ;   in Loop: Header=BB462_8 Depth=1
	v_bfrev_b32_e32 v0, 1
	s_mov_b32 s18, exec_lo
	v_cmpx_ne_u16_e32 0x80, v1
	s_cbranch_execz .LBB462_171
; %bb.166:                              ;   in Loop: Header=BB462_8 Depth=1
	v_and_b32_e32 v2, 0xffff, v1
	v_mov_b32_e32 v0, 0x7f800001
	s_mov_b32 s19, exec_lo
	s_delay_alu instid0(VALU_DEP_2) | instskip(NEXT) | instid1(VALU_DEP_1)
	v_and_b32_e32 v1, 0x7f, v2
	v_cmpx_ne_u32_e32 0x7f, v1
	s_cbranch_execz .LBB462_170
; %bb.167:                              ;   in Loop: Header=BB462_8 Depth=1
	v_dual_mov_b32 v33, v19 :: v_dual_and_b32 v32, 7, v2
	v_lshrrev_b32_e32 v0, 3, v1
	s_mov_b32 s20, exec_lo
	v_cmpx_gt_u32_e32 8, v1
; %bb.168:                              ;   in Loop: Header=BB462_8 Depth=1
	s_delay_alu instid0(VALU_DEP_3) | instskip(NEXT) | instid1(VALU_DEP_1)
	v_clz_i32_u32_e32 v0, v32
	v_min_u32_e32 v0, 32, v0
	s_delay_alu instid0(VALU_DEP_1) | instskip(SKIP_1) | instid1(VALU_DEP_2)
	v_subrev_nc_u32_e32 v1, 28, v0
	v_sub_nc_u32_e32 v0, 29, v0
	v_lshlrev_b64 v[1:2], v1, v[32:33]
	s_delay_alu instid0(VALU_DEP_1)
	v_and_b32_e32 v32, 7, v1
; %bb.169:                              ;   in Loop: Header=BB462_8 Depth=1
	s_or_b32 exec_lo, exec_lo, s20
	v_lshlrev_b32_e32 v1, 16, v18
	s_delay_alu instid0(VALU_DEP_2) | instskip(SKIP_1) | instid1(VALU_DEP_3)
	v_lshlrev_b32_e32 v2, 20, v32
	v_lshl_add_u32 v0, v0, 23, 0x3c000000
	v_and_b32_e32 v1, 0x80000000, v1
	s_delay_alu instid0(VALU_DEP_1)
	v_or3_b32 v0, v2, v1, v0
.LBB462_170:                            ;   in Loop: Header=BB462_8 Depth=1
	s_or_b32 exec_lo, exec_lo, s19
.LBB462_171:                            ;   in Loop: Header=BB462_8 Depth=1
	s_delay_alu instid0(SALU_CYCLE_1)
	s_or_b32 exec_lo, exec_lo, s18
.LBB462_172:                            ;   in Loop: Header=BB462_8 Depth=1
	s_delay_alu instid0(SALU_CYCLE_1) | instskip(NEXT) | instid1(VALU_DEP_1)
	s_or_b32 exec_lo, exec_lo, s2
	v_mul_f32_e32 v0, v152, v0
                                        ; implicit-def: $vgpr173
	s_delay_alu instid0(VALU_DEP_1) | instskip(NEXT) | instid1(VALU_DEP_1)
	v_and_b32_e32 v1, 0x7f800000, v0
	v_cmp_ne_u32_e64 s1, 0x7f800000, v1
	s_delay_alu instid0(VALU_DEP_1) | instskip(NEXT) | instid1(SALU_CYCLE_1)
	s_and_saveexec_b32 s2, s1
	s_xor_b32 s1, exec_lo, s2
; %bb.173:                              ;   in Loop: Header=BB462_8 Depth=1
	v_bfe_u32 v1, v0, 16, 1
	s_delay_alu instid0(VALU_DEP_1)
	v_add3_u32 v173, v0, v1, 0x7fff
                                        ; implicit-def: $vgpr0
; %bb.174:                              ;   in Loop: Header=BB462_8 Depth=1
	s_and_not1_saveexec_b32 s2, s1
; %bb.175:                              ;   in Loop: Header=BB462_8 Depth=1
	v_and_b32_e32 v1, 0xffff, v0
	v_or_b32_e32 v2, 0x10000, v0
	s_delay_alu instid0(VALU_DEP_2) | instskip(NEXT) | instid1(VALU_DEP_1)
	v_cmp_eq_u32_e64 s1, 0, v1
	v_cndmask_b32_e64 v173, v2, v0, s1
; %bb.176:                              ;   in Loop: Header=BB462_8 Depth=1
	s_or_b32 exec_lo, exec_lo, s2
	v_lshrrev_b32_e32 v0, 16, v31
	s_mov_b32 s2, exec_lo
	s_delay_alu instid0(VALU_DEP_1) | instskip(NEXT) | instid1(VALU_DEP_1)
	v_dual_mov_b32 v1, 0 :: v_dual_and_b32 v2, 0xff, v0
	v_cmpx_ne_u16_e32 0, v2
	s_cbranch_execz .LBB462_184
; %bb.177:                              ;   in Loop: Header=BB462_8 Depth=1
	v_bfrev_b32_e32 v1, 1
	s_mov_b32 s18, exec_lo
	v_cmpx_ne_u16_e32 0x80, v2
	s_cbranch_execz .LBB462_183
; %bb.178:                              ;   in Loop: Header=BB462_8 Depth=1
	v_bfe_u32 v2, v31, 16, 7
	v_mov_b32_e32 v1, 0x7f800001
	s_mov_b32 s19, exec_lo
	s_delay_alu instid0(VALU_DEP_2)
	v_cmpx_ne_u32_e32 0x7f, v2
	s_cbranch_execz .LBB462_182
; %bb.179:                              ;   in Loop: Header=BB462_8 Depth=1
	v_and_b32_e32 v18, 7, v0
	v_lshrrev_b32_e32 v1, 3, v2
	v_mov_b32_e32 v33, v19
	s_mov_b32 s20, exec_lo
	s_delay_alu instid0(VALU_DEP_3)
	v_mov_b32_e32 v32, v18
	v_cmpx_gt_u32_e32 8, v2
; %bb.180:                              ;   in Loop: Header=BB462_8 Depth=1
	v_clz_i32_u32_e32 v1, v18
	s_delay_alu instid0(VALU_DEP_1) | instskip(NEXT) | instid1(VALU_DEP_1)
	v_min_u32_e32 v1, 32, v1
	v_subrev_nc_u32_e32 v2, 28, v1
	v_sub_nc_u32_e32 v1, 29, v1
	s_delay_alu instid0(VALU_DEP_2) | instskip(NEXT) | instid1(VALU_DEP_1)
	v_lshlrev_b64 v[2:3], v2, v[18:19]
	v_and_b32_e32 v32, 7, v2
; %bb.181:                              ;   in Loop: Header=BB462_8 Depth=1
	s_or_b32 exec_lo, exec_lo, s20
	v_lshlrev_b32_e32 v0, 24, v0
	s_delay_alu instid0(VALU_DEP_2) | instskip(SKIP_1) | instid1(VALU_DEP_3)
	v_lshlrev_b32_e32 v2, 20, v32
	v_lshl_add_u32 v1, v1, 23, 0x3c000000
	v_and_b32_e32 v0, 0x80000000, v0
	s_delay_alu instid0(VALU_DEP_1)
	v_or3_b32 v1, v2, v0, v1
.LBB462_182:                            ;   in Loop: Header=BB462_8 Depth=1
	s_or_b32 exec_lo, exec_lo, s19
.LBB462_183:                            ;   in Loop: Header=BB462_8 Depth=1
	s_delay_alu instid0(SALU_CYCLE_1)
	s_or_b32 exec_lo, exec_lo, s18
.LBB462_184:                            ;   in Loop: Header=BB462_8 Depth=1
	s_delay_alu instid0(SALU_CYCLE_1) | instskip(NEXT) | instid1(VALU_DEP_1)
	s_or_b32 exec_lo, exec_lo, s2
	v_mul_f32_e32 v0, v152, v1
                                        ; implicit-def: $vgpr174
	s_delay_alu instid0(VALU_DEP_1) | instskip(NEXT) | instid1(VALU_DEP_1)
	v_and_b32_e32 v1, 0x7f800000, v0
	v_cmp_ne_u32_e64 s1, 0x7f800000, v1
	s_delay_alu instid0(VALU_DEP_1) | instskip(NEXT) | instid1(SALU_CYCLE_1)
	s_and_saveexec_b32 s2, s1
	s_xor_b32 s1, exec_lo, s2
; %bb.185:                              ;   in Loop: Header=BB462_8 Depth=1
	v_bfe_u32 v1, v0, 16, 1
	s_delay_alu instid0(VALU_DEP_1)
	v_add3_u32 v174, v0, v1, 0x7fff
                                        ; implicit-def: $vgpr0
; %bb.186:                              ;   in Loop: Header=BB462_8 Depth=1
	s_and_not1_saveexec_b32 s2, s1
; %bb.187:                              ;   in Loop: Header=BB462_8 Depth=1
	v_and_b32_e32 v1, 0xffff, v0
	v_or_b32_e32 v2, 0x10000, v0
	s_delay_alu instid0(VALU_DEP_2) | instskip(NEXT) | instid1(VALU_DEP_1)
	v_cmp_eq_u32_e64 s1, 0, v1
	v_cndmask_b32_e64 v174, v2, v0, s1
; %bb.188:                              ;   in Loop: Header=BB462_8 Depth=1
	s_or_b32 exec_lo, exec_lo, s2
	v_mov_b32_e32 v1, 0
	s_mov_b32 s2, exec_lo
	v_cmpx_lt_u64_e64 s[8:9], v[30:31]
	s_cbranch_execz .LBB462_196
; %bb.189:                              ;   in Loop: Header=BB462_8 Depth=1
	v_lshrrev_b32_e32 v0, 24, v31
	v_bfrev_b32_e32 v1, 1
	s_mov_b32 s18, exec_lo
	s_delay_alu instid0(VALU_DEP_2)
	v_cmpx_ne_u32_e32 0x80, v0
	s_cbranch_execz .LBB462_195
; %bb.190:                              ;   in Loop: Header=BB462_8 Depth=1
	v_bfe_u32 v2, v31, 24, 7
	v_mov_b32_e32 v1, 0x7f800001
	s_mov_b32 s19, exec_lo
	s_delay_alu instid0(VALU_DEP_2)
	v_cmpx_ne_u32_e32 0x7f, v2
	s_cbranch_execz .LBB462_194
; %bb.191:                              ;   in Loop: Header=BB462_8 Depth=1
	v_and_b32_e32 v18, 7, v0
	v_lshrrev_b32_e32 v1, 3, v2
	v_mov_b32_e32 v31, v19
	s_mov_b32 s20, exec_lo
	s_delay_alu instid0(VALU_DEP_3)
	v_mov_b32_e32 v30, v18
	v_cmpx_gt_u32_e32 8, v2
; %bb.192:                              ;   in Loop: Header=BB462_8 Depth=1
	v_clz_i32_u32_e32 v1, v18
	s_delay_alu instid0(VALU_DEP_1) | instskip(NEXT) | instid1(VALU_DEP_1)
	v_min_u32_e32 v1, 32, v1
	v_subrev_nc_u32_e32 v2, 28, v1
	v_sub_nc_u32_e32 v1, 29, v1
	s_delay_alu instid0(VALU_DEP_2) | instskip(NEXT) | instid1(VALU_DEP_1)
	v_lshlrev_b64 v[2:3], v2, v[18:19]
	v_and_b32_e32 v30, 7, v2
; %bb.193:                              ;   in Loop: Header=BB462_8 Depth=1
	s_or_b32 exec_lo, exec_lo, s20
	v_lshlrev_b32_e32 v0, 24, v0
	s_delay_alu instid0(VALU_DEP_2) | instskip(SKIP_1) | instid1(VALU_DEP_3)
	v_lshlrev_b32_e32 v2, 20, v30
	v_lshl_add_u32 v1, v1, 23, 0x3c000000
	v_and_b32_e32 v0, 0x80000000, v0
	s_delay_alu instid0(VALU_DEP_1)
	v_or3_b32 v1, v2, v0, v1
.LBB462_194:                            ;   in Loop: Header=BB462_8 Depth=1
	s_or_b32 exec_lo, exec_lo, s19
.LBB462_195:                            ;   in Loop: Header=BB462_8 Depth=1
	s_delay_alu instid0(SALU_CYCLE_1)
	s_or_b32 exec_lo, exec_lo, s18
.LBB462_196:                            ;   in Loop: Header=BB462_8 Depth=1
	s_delay_alu instid0(SALU_CYCLE_1) | instskip(NEXT) | instid1(VALU_DEP_1)
	s_or_b32 exec_lo, exec_lo, s2
	v_mul_f32_e32 v0, v152, v1
                                        ; implicit-def: $vgpr175
	s_delay_alu instid0(VALU_DEP_1) | instskip(NEXT) | instid1(VALU_DEP_1)
	v_and_b32_e32 v1, 0x7f800000, v0
	v_cmp_ne_u32_e64 s1, 0x7f800000, v1
	s_delay_alu instid0(VALU_DEP_1) | instskip(NEXT) | instid1(SALU_CYCLE_1)
	s_and_saveexec_b32 s2, s1
	s_xor_b32 s1, exec_lo, s2
; %bb.197:                              ;   in Loop: Header=BB462_8 Depth=1
	v_bfe_u32 v1, v0, 16, 1
	s_delay_alu instid0(VALU_DEP_1)
	v_add3_u32 v175, v0, v1, 0x7fff
                                        ; implicit-def: $vgpr0
; %bb.198:                              ;   in Loop: Header=BB462_8 Depth=1
	s_and_not1_saveexec_b32 s2, s1
; %bb.199:                              ;   in Loop: Header=BB462_8 Depth=1
	v_and_b32_e32 v1, 0xffff, v0
	v_or_b32_e32 v2, 0x10000, v0
	s_delay_alu instid0(VALU_DEP_2) | instskip(NEXT) | instid1(VALU_DEP_1)
	v_cmp_eq_u32_e64 s1, 0, v1
	v_cndmask_b32_e64 v175, v2, v0, s1
; %bb.200:                              ;   in Loop: Header=BB462_8 Depth=1
	s_or_b32 exec_lo, exec_lo, s2
	flat_load_b64 v[30:31], v[28:29] offset:512
	s_mov_b32 s2, exec_lo
	s_waitcnt vmcnt(0) lgkmcnt(0)
	v_dual_mov_b32 v0, 0 :: v_dual_and_b32 v1, 0xff, v30
	s_delay_alu instid0(VALU_DEP_1)
	v_cmpx_ne_u16_e32 0, v1
	s_cbranch_execz .LBB462_208
; %bb.201:                              ;   in Loop: Header=BB462_8 Depth=1
	v_bfrev_b32_e32 v0, 1
	s_mov_b32 s18, exec_lo
	v_cmpx_ne_u16_e32 0x80, v1
	s_cbranch_execz .LBB462_207
; %bb.202:                              ;   in Loop: Header=BB462_8 Depth=1
	v_and_b32_e32 v1, 0x7f, v30
	v_mov_b32_e32 v0, 0x7f800001
	s_mov_b32 s19, exec_lo
	s_delay_alu instid0(VALU_DEP_2)
	v_cmpx_ne_u32_e32 0x7f, v1
	s_cbranch_execz .LBB462_206
; %bb.203:                              ;   in Loop: Header=BB462_8 Depth=1
	v_lshrrev_b32_e32 v0, 3, v1
	v_dual_mov_b32 v33, v31 :: v_dual_mov_b32 v32, v30
	s_mov_b32 s20, exec_lo
	v_cmpx_gt_u32_e32 8, v1
; %bb.204:                              ;   in Loop: Header=BB462_8 Depth=1
	v_and_b32_e32 v0, 7, v30
	s_delay_alu instid0(VALU_DEP_1) | instskip(NEXT) | instid1(VALU_DEP_1)
	v_clz_i32_u32_e32 v0, v0
	v_min_u32_e32 v0, 32, v0
	s_delay_alu instid0(VALU_DEP_1) | instskip(SKIP_1) | instid1(VALU_DEP_2)
	v_subrev_nc_u32_e32 v1, 28, v0
	v_sub_nc_u32_e32 v0, 29, v0
	v_lshlrev_b64 v[32:33], v1, v[30:31]
; %bb.205:                              ;   in Loop: Header=BB462_8 Depth=1
	s_or_b32 exec_lo, exec_lo, s20
	s_delay_alu instid0(VALU_DEP_1) | instskip(SKIP_2) | instid1(VALU_DEP_3)
	v_lshlrev_b32_e32 v1, 20, v32
	v_lshlrev_b32_e32 v2, 24, v30
	v_lshl_add_u32 v0, v0, 23, 0x3c000000
	v_and_b32_e32 v1, 0x700000, v1
	s_delay_alu instid0(VALU_DEP_3) | instskip(NEXT) | instid1(VALU_DEP_1)
	v_and_b32_e32 v2, 0x80000000, v2
	v_or3_b32 v0, v1, v2, v0
.LBB462_206:                            ;   in Loop: Header=BB462_8 Depth=1
	s_or_b32 exec_lo, exec_lo, s19
.LBB462_207:                            ;   in Loop: Header=BB462_8 Depth=1
	s_delay_alu instid0(SALU_CYCLE_1)
	s_or_b32 exec_lo, exec_lo, s18
.LBB462_208:                            ;   in Loop: Header=BB462_8 Depth=1
	s_delay_alu instid0(SALU_CYCLE_1) | instskip(NEXT) | instid1(VALU_DEP_1)
	s_or_b32 exec_lo, exec_lo, s2
	v_mul_f32_e32 v0, v152, v0
                                        ; implicit-def: $vgpr184
	s_delay_alu instid0(VALU_DEP_1) | instskip(NEXT) | instid1(VALU_DEP_1)
	v_and_b32_e32 v1, 0x7f800000, v0
	v_cmp_ne_u32_e64 s1, 0x7f800000, v1
	s_delay_alu instid0(VALU_DEP_1) | instskip(NEXT) | instid1(SALU_CYCLE_1)
	s_and_saveexec_b32 s2, s1
	s_xor_b32 s1, exec_lo, s2
; %bb.209:                              ;   in Loop: Header=BB462_8 Depth=1
	v_bfe_u32 v1, v0, 16, 1
	s_delay_alu instid0(VALU_DEP_1)
	v_add3_u32 v184, v0, v1, 0x7fff
                                        ; implicit-def: $vgpr0
; %bb.210:                              ;   in Loop: Header=BB462_8 Depth=1
	s_and_not1_saveexec_b32 s2, s1
; %bb.211:                              ;   in Loop: Header=BB462_8 Depth=1
	v_and_b32_e32 v1, 0xffff, v0
	v_or_b32_e32 v2, 0x10000, v0
	s_delay_alu instid0(VALU_DEP_2) | instskip(NEXT) | instid1(VALU_DEP_1)
	v_cmp_eq_u32_e64 s1, 0, v1
	v_cndmask_b32_e64 v184, v2, v0, s1
; %bb.212:                              ;   in Loop: Header=BB462_8 Depth=1
	s_or_b32 exec_lo, exec_lo, s2
	v_lshrrev_b16 v1, 8, v30
	v_mov_b32_e32 v0, 0
	s_mov_b32 s2, exec_lo
	s_delay_alu instid0(VALU_DEP_2)
	v_cmpx_ne_u16_e32 0, v1
	s_cbranch_execz .LBB462_220
; %bb.213:                              ;   in Loop: Header=BB462_8 Depth=1
	v_bfrev_b32_e32 v0, 1
	s_mov_b32 s18, exec_lo
	v_cmpx_ne_u16_e32 0x80, v1
	s_cbranch_execz .LBB462_219
; %bb.214:                              ;   in Loop: Header=BB462_8 Depth=1
	v_and_b32_e32 v2, 0xffff, v1
	v_mov_b32_e32 v0, 0x7f800001
	s_mov_b32 s19, exec_lo
	s_delay_alu instid0(VALU_DEP_2) | instskip(NEXT) | instid1(VALU_DEP_1)
	v_and_b32_e32 v1, 0x7f, v2
	v_cmpx_ne_u32_e32 0x7f, v1
	s_cbranch_execz .LBB462_218
; %bb.215:                              ;   in Loop: Header=BB462_8 Depth=1
	v_and_b32_e32 v18, 7, v2
	v_lshrrev_b32_e32 v0, 3, v1
	v_mov_b32_e32 v33, v19
	s_mov_b32 s20, exec_lo
	s_delay_alu instid0(VALU_DEP_3)
	v_mov_b32_e32 v32, v18
	v_cmpx_gt_u32_e32 8, v1
; %bb.216:                              ;   in Loop: Header=BB462_8 Depth=1
	v_clz_i32_u32_e32 v0, v18
	s_delay_alu instid0(VALU_DEP_1) | instskip(NEXT) | instid1(VALU_DEP_1)
	v_min_u32_e32 v0, 32, v0
	v_subrev_nc_u32_e32 v1, 28, v0
	v_sub_nc_u32_e32 v0, 29, v0
	s_delay_alu instid0(VALU_DEP_2) | instskip(NEXT) | instid1(VALU_DEP_1)
	v_lshlrev_b64 v[1:2], v1, v[18:19]
	v_and_b32_e32 v32, 7, v1
; %bb.217:                              ;   in Loop: Header=BB462_8 Depth=1
	s_or_b32 exec_lo, exec_lo, s20
	v_lshlrev_b32_e32 v1, 16, v30
	s_delay_alu instid0(VALU_DEP_2) | instskip(SKIP_1) | instid1(VALU_DEP_3)
	v_lshlrev_b32_e32 v2, 20, v32
	v_lshl_add_u32 v0, v0, 23, 0x3c000000
	v_and_b32_e32 v1, 0x80000000, v1
	s_delay_alu instid0(VALU_DEP_1)
	v_or3_b32 v0, v2, v1, v0
.LBB462_218:                            ;   in Loop: Header=BB462_8 Depth=1
	s_or_b32 exec_lo, exec_lo, s19
.LBB462_219:                            ;   in Loop: Header=BB462_8 Depth=1
	s_delay_alu instid0(SALU_CYCLE_1)
	s_or_b32 exec_lo, exec_lo, s18
.LBB462_220:                            ;   in Loop: Header=BB462_8 Depth=1
	s_delay_alu instid0(SALU_CYCLE_1) | instskip(NEXT) | instid1(VALU_DEP_1)
	s_or_b32 exec_lo, exec_lo, s2
	v_mul_f32_e32 v0, v152, v0
                                        ; implicit-def: $vgpr185
	s_delay_alu instid0(VALU_DEP_1) | instskip(NEXT) | instid1(VALU_DEP_1)
	v_and_b32_e32 v1, 0x7f800000, v0
	v_cmp_ne_u32_e64 s1, 0x7f800000, v1
	s_delay_alu instid0(VALU_DEP_1) | instskip(NEXT) | instid1(SALU_CYCLE_1)
	s_and_saveexec_b32 s2, s1
	s_xor_b32 s1, exec_lo, s2
; %bb.221:                              ;   in Loop: Header=BB462_8 Depth=1
	v_bfe_u32 v1, v0, 16, 1
	s_delay_alu instid0(VALU_DEP_1)
	v_add3_u32 v185, v0, v1, 0x7fff
                                        ; implicit-def: $vgpr0
; %bb.222:                              ;   in Loop: Header=BB462_8 Depth=1
	s_and_not1_saveexec_b32 s2, s1
; %bb.223:                              ;   in Loop: Header=BB462_8 Depth=1
	v_and_b32_e32 v1, 0xffff, v0
	v_or_b32_e32 v2, 0x10000, v0
	s_delay_alu instid0(VALU_DEP_2) | instskip(NEXT) | instid1(VALU_DEP_1)
	v_cmp_eq_u32_e64 s1, 0, v1
	v_cndmask_b32_e64 v185, v2, v0, s1
; %bb.224:                              ;   in Loop: Header=BB462_8 Depth=1
	s_or_b32 exec_lo, exec_lo, s2
	v_lshrrev_b32_e32 v0, 16, v30
	s_mov_b32 s2, exec_lo
	s_delay_alu instid0(VALU_DEP_1) | instskip(NEXT) | instid1(VALU_DEP_1)
	v_dual_mov_b32 v1, 0 :: v_dual_and_b32 v2, 0xff, v0
	v_cmpx_ne_u16_e32 0, v2
	s_cbranch_execz .LBB462_232
; %bb.225:                              ;   in Loop: Header=BB462_8 Depth=1
	v_bfrev_b32_e32 v1, 1
	s_mov_b32 s18, exec_lo
	v_cmpx_ne_u16_e32 0x80, v2
	s_cbranch_execz .LBB462_231
; %bb.226:                              ;   in Loop: Header=BB462_8 Depth=1
	v_bfe_u32 v2, v30, 16, 7
	v_mov_b32_e32 v1, 0x7f800001
	s_mov_b32 s19, exec_lo
	s_delay_alu instid0(VALU_DEP_2)
	v_cmpx_ne_u32_e32 0x7f, v2
	s_cbranch_execz .LBB462_230
; %bb.227:                              ;   in Loop: Header=BB462_8 Depth=1
	v_and_b32_e32 v18, 7, v0
	v_lshrrev_b32_e32 v1, 3, v2
	v_mov_b32_e32 v33, v19
	s_mov_b32 s20, exec_lo
	s_delay_alu instid0(VALU_DEP_3)
	v_mov_b32_e32 v32, v18
	v_cmpx_gt_u32_e32 8, v2
; %bb.228:                              ;   in Loop: Header=BB462_8 Depth=1
	v_clz_i32_u32_e32 v1, v18
	s_delay_alu instid0(VALU_DEP_1) | instskip(NEXT) | instid1(VALU_DEP_1)
	v_min_u32_e32 v1, 32, v1
	v_subrev_nc_u32_e32 v2, 28, v1
	v_sub_nc_u32_e32 v1, 29, v1
	s_delay_alu instid0(VALU_DEP_2) | instskip(NEXT) | instid1(VALU_DEP_1)
	v_lshlrev_b64 v[2:3], v2, v[18:19]
	v_and_b32_e32 v32, 7, v2
; %bb.229:                              ;   in Loop: Header=BB462_8 Depth=1
	s_or_b32 exec_lo, exec_lo, s20
	v_lshlrev_b32_e32 v0, 24, v0
	s_delay_alu instid0(VALU_DEP_2) | instskip(SKIP_1) | instid1(VALU_DEP_3)
	v_lshlrev_b32_e32 v2, 20, v32
	v_lshl_add_u32 v1, v1, 23, 0x3c000000
	v_and_b32_e32 v0, 0x80000000, v0
	s_delay_alu instid0(VALU_DEP_1)
	v_or3_b32 v1, v2, v0, v1
.LBB462_230:                            ;   in Loop: Header=BB462_8 Depth=1
	s_or_b32 exec_lo, exec_lo, s19
.LBB462_231:                            ;   in Loop: Header=BB462_8 Depth=1
	s_delay_alu instid0(SALU_CYCLE_1)
	s_or_b32 exec_lo, exec_lo, s18
.LBB462_232:                            ;   in Loop: Header=BB462_8 Depth=1
	s_delay_alu instid0(SALU_CYCLE_1) | instskip(NEXT) | instid1(VALU_DEP_1)
	s_or_b32 exec_lo, exec_lo, s2
	v_mul_f32_e32 v0, v152, v1
                                        ; implicit-def: $vgpr186
	s_delay_alu instid0(VALU_DEP_1) | instskip(NEXT) | instid1(VALU_DEP_1)
	v_and_b32_e32 v1, 0x7f800000, v0
	v_cmp_ne_u32_e64 s1, 0x7f800000, v1
	s_delay_alu instid0(VALU_DEP_1) | instskip(NEXT) | instid1(SALU_CYCLE_1)
	s_and_saveexec_b32 s2, s1
	s_xor_b32 s1, exec_lo, s2
; %bb.233:                              ;   in Loop: Header=BB462_8 Depth=1
	v_bfe_u32 v1, v0, 16, 1
	s_delay_alu instid0(VALU_DEP_1)
	v_add3_u32 v186, v0, v1, 0x7fff
                                        ; implicit-def: $vgpr0
; %bb.234:                              ;   in Loop: Header=BB462_8 Depth=1
	s_and_not1_saveexec_b32 s2, s1
; %bb.235:                              ;   in Loop: Header=BB462_8 Depth=1
	v_and_b32_e32 v1, 0xffff, v0
	v_or_b32_e32 v2, 0x10000, v0
	s_delay_alu instid0(VALU_DEP_2) | instskip(NEXT) | instid1(VALU_DEP_1)
	v_cmp_eq_u32_e64 s1, 0, v1
	v_cndmask_b32_e64 v186, v2, v0, s1
; %bb.236:                              ;   in Loop: Header=BB462_8 Depth=1
	s_or_b32 exec_lo, exec_lo, s2
	v_mov_b32_e32 v1, 0
	s_mov_b32 s2, exec_lo
	v_cmpx_lt_u32_e32 0xffffff, v30
	s_cbranch_execz .LBB462_244
; %bb.237:                              ;   in Loop: Header=BB462_8 Depth=1
	v_lshrrev_b32_e32 v0, 24, v30
	v_bfrev_b32_e32 v1, 1
	s_mov_b32 s18, exec_lo
	s_delay_alu instid0(VALU_DEP_2)
	v_cmpx_ne_u32_e32 0x80, v0
	s_cbranch_execz .LBB462_243
; %bb.238:                              ;   in Loop: Header=BB462_8 Depth=1
	v_bfe_u32 v2, v30, 24, 7
	v_mov_b32_e32 v1, 0x7f800001
	s_mov_b32 s19, exec_lo
	s_delay_alu instid0(VALU_DEP_2)
	v_cmpx_ne_u32_e32 0x7f, v2
	s_cbranch_execz .LBB462_242
; %bb.239:                              ;   in Loop: Header=BB462_8 Depth=1
	v_and_b32_e32 v18, 7, v0
	v_lshrrev_b32_e32 v1, 3, v2
	v_mov_b32_e32 v33, v19
	s_mov_b32 s20, exec_lo
	s_delay_alu instid0(VALU_DEP_3)
	v_mov_b32_e32 v32, v18
	v_cmpx_gt_u32_e32 8, v2
; %bb.240:                              ;   in Loop: Header=BB462_8 Depth=1
	v_clz_i32_u32_e32 v1, v18
	s_delay_alu instid0(VALU_DEP_1) | instskip(NEXT) | instid1(VALU_DEP_1)
	v_min_u32_e32 v1, 32, v1
	v_subrev_nc_u32_e32 v2, 28, v1
	v_sub_nc_u32_e32 v1, 29, v1
	s_delay_alu instid0(VALU_DEP_2) | instskip(NEXT) | instid1(VALU_DEP_1)
	v_lshlrev_b64 v[2:3], v2, v[18:19]
	v_and_b32_e32 v32, 7, v2
; %bb.241:                              ;   in Loop: Header=BB462_8 Depth=1
	s_or_b32 exec_lo, exec_lo, s20
	v_lshlrev_b32_e32 v0, 24, v0
	s_delay_alu instid0(VALU_DEP_2) | instskip(SKIP_1) | instid1(VALU_DEP_3)
	v_lshlrev_b32_e32 v2, 20, v32
	v_lshl_add_u32 v1, v1, 23, 0x3c000000
	v_and_b32_e32 v0, 0x80000000, v0
	s_delay_alu instid0(VALU_DEP_1)
	v_or3_b32 v1, v2, v0, v1
.LBB462_242:                            ;   in Loop: Header=BB462_8 Depth=1
	s_or_b32 exec_lo, exec_lo, s19
.LBB462_243:                            ;   in Loop: Header=BB462_8 Depth=1
	s_delay_alu instid0(SALU_CYCLE_1)
	s_or_b32 exec_lo, exec_lo, s18
.LBB462_244:                            ;   in Loop: Header=BB462_8 Depth=1
	s_delay_alu instid0(SALU_CYCLE_1) | instskip(NEXT) | instid1(VALU_DEP_1)
	s_or_b32 exec_lo, exec_lo, s2
	v_mul_f32_e32 v0, v152, v1
                                        ; implicit-def: $vgpr187
	s_delay_alu instid0(VALU_DEP_1) | instskip(NEXT) | instid1(VALU_DEP_1)
	v_and_b32_e32 v1, 0x7f800000, v0
	v_cmp_ne_u32_e64 s1, 0x7f800000, v1
	s_delay_alu instid0(VALU_DEP_1) | instskip(NEXT) | instid1(SALU_CYCLE_1)
	s_and_saveexec_b32 s2, s1
	s_xor_b32 s1, exec_lo, s2
; %bb.245:                              ;   in Loop: Header=BB462_8 Depth=1
	v_bfe_u32 v1, v0, 16, 1
	s_delay_alu instid0(VALU_DEP_1)
	v_add3_u32 v187, v0, v1, 0x7fff
                                        ; implicit-def: $vgpr0
; %bb.246:                              ;   in Loop: Header=BB462_8 Depth=1
	s_and_not1_saveexec_b32 s2, s1
; %bb.247:                              ;   in Loop: Header=BB462_8 Depth=1
	v_and_b32_e32 v1, 0xffff, v0
	v_or_b32_e32 v2, 0x10000, v0
	s_delay_alu instid0(VALU_DEP_2) | instskip(NEXT) | instid1(VALU_DEP_1)
	v_cmp_eq_u32_e64 s1, 0, v1
	v_cndmask_b32_e64 v187, v2, v0, s1
; %bb.248:                              ;   in Loop: Header=BB462_8 Depth=1
	s_or_b32 exec_lo, exec_lo, s2
	v_dual_mov_b32 v18, v31 :: v_dual_and_b32 v1, 0xff, v31
	v_mov_b32_e32 v0, 0
	s_mov_b32 s2, exec_lo
	s_delay_alu instid0(VALU_DEP_2)
	v_cmpx_ne_u16_e32 0, v1
	s_cbranch_execz .LBB462_256
; %bb.249:                              ;   in Loop: Header=BB462_8 Depth=1
	v_bfrev_b32_e32 v0, 1
	s_mov_b32 s18, exec_lo
	v_cmpx_ne_u16_e32 0x80, v1
	s_cbranch_execz .LBB462_255
; %bb.250:                              ;   in Loop: Header=BB462_8 Depth=1
	v_and_b32_e32 v1, 0x7f, v31
	v_mov_b32_e32 v0, 0x7f800001
	s_mov_b32 s19, exec_lo
	s_delay_alu instid0(VALU_DEP_2)
	v_cmpx_ne_u32_e32 0x7f, v1
	s_cbranch_execz .LBB462_254
; %bb.251:                              ;   in Loop: Header=BB462_8 Depth=1
	v_lshrrev_b32_e32 v0, 3, v1
	v_dual_mov_b32 v33, v19 :: v_dual_mov_b32 v32, v18
	s_mov_b32 s20, exec_lo
	v_cmpx_gt_u32_e32 8, v1
; %bb.252:                              ;   in Loop: Header=BB462_8 Depth=1
	v_and_b32_e32 v0, 7, v31
	s_delay_alu instid0(VALU_DEP_1) | instskip(NEXT) | instid1(VALU_DEP_1)
	v_clz_i32_u32_e32 v0, v0
	v_min_u32_e32 v0, 32, v0
	s_delay_alu instid0(VALU_DEP_1) | instskip(SKIP_1) | instid1(VALU_DEP_2)
	v_subrev_nc_u32_e32 v1, 28, v0
	v_sub_nc_u32_e32 v0, 29, v0
	v_lshlrev_b64 v[32:33], v1, v[18:19]
; %bb.253:                              ;   in Loop: Header=BB462_8 Depth=1
	s_or_b32 exec_lo, exec_lo, s20
	s_delay_alu instid0(VALU_DEP_1) | instskip(SKIP_2) | instid1(VALU_DEP_3)
	v_lshlrev_b32_e32 v1, 20, v32
	v_lshlrev_b32_e32 v2, 24, v18
	v_lshl_add_u32 v0, v0, 23, 0x3c000000
	v_and_b32_e32 v1, 0x700000, v1
	s_delay_alu instid0(VALU_DEP_3) | instskip(NEXT) | instid1(VALU_DEP_1)
	v_and_b32_e32 v2, 0x80000000, v2
	v_or3_b32 v0, v1, v2, v0
.LBB462_254:                            ;   in Loop: Header=BB462_8 Depth=1
	s_or_b32 exec_lo, exec_lo, s19
.LBB462_255:                            ;   in Loop: Header=BB462_8 Depth=1
	s_delay_alu instid0(SALU_CYCLE_1)
	s_or_b32 exec_lo, exec_lo, s18
.LBB462_256:                            ;   in Loop: Header=BB462_8 Depth=1
	s_delay_alu instid0(SALU_CYCLE_1) | instskip(NEXT) | instid1(VALU_DEP_1)
	s_or_b32 exec_lo, exec_lo, s2
	v_mul_f32_e32 v0, v152, v0
                                        ; implicit-def: $vgpr188
	s_delay_alu instid0(VALU_DEP_1) | instskip(NEXT) | instid1(VALU_DEP_1)
	v_and_b32_e32 v1, 0x7f800000, v0
	v_cmp_ne_u32_e64 s1, 0x7f800000, v1
	s_delay_alu instid0(VALU_DEP_1) | instskip(NEXT) | instid1(SALU_CYCLE_1)
	s_and_saveexec_b32 s2, s1
	s_xor_b32 s1, exec_lo, s2
; %bb.257:                              ;   in Loop: Header=BB462_8 Depth=1
	v_bfe_u32 v1, v0, 16, 1
	s_delay_alu instid0(VALU_DEP_1)
	v_add3_u32 v188, v0, v1, 0x7fff
                                        ; implicit-def: $vgpr0
; %bb.258:                              ;   in Loop: Header=BB462_8 Depth=1
	s_and_not1_saveexec_b32 s2, s1
; %bb.259:                              ;   in Loop: Header=BB462_8 Depth=1
	v_and_b32_e32 v1, 0xffff, v0
	v_or_b32_e32 v2, 0x10000, v0
	s_delay_alu instid0(VALU_DEP_2) | instskip(NEXT) | instid1(VALU_DEP_1)
	v_cmp_eq_u32_e64 s1, 0, v1
	v_cndmask_b32_e64 v188, v2, v0, s1
; %bb.260:                              ;   in Loop: Header=BB462_8 Depth=1
	s_or_b32 exec_lo, exec_lo, s2
	v_lshrrev_b16 v1, 8, v18
	v_mov_b32_e32 v0, 0
	s_mov_b32 s2, exec_lo
	s_delay_alu instid0(VALU_DEP_2)
	v_cmpx_ne_u16_e32 0, v1
	s_cbranch_execz .LBB462_268
; %bb.261:                              ;   in Loop: Header=BB462_8 Depth=1
	v_bfrev_b32_e32 v0, 1
	s_mov_b32 s18, exec_lo
	v_cmpx_ne_u16_e32 0x80, v1
	s_cbranch_execz .LBB462_267
; %bb.262:                              ;   in Loop: Header=BB462_8 Depth=1
	v_and_b32_e32 v2, 0xffff, v1
	v_mov_b32_e32 v0, 0x7f800001
	s_mov_b32 s19, exec_lo
	s_delay_alu instid0(VALU_DEP_2) | instskip(NEXT) | instid1(VALU_DEP_1)
	v_and_b32_e32 v1, 0x7f, v2
	v_cmpx_ne_u32_e32 0x7f, v1
	s_cbranch_execz .LBB462_266
; %bb.263:                              ;   in Loop: Header=BB462_8 Depth=1
	v_dual_mov_b32 v33, v19 :: v_dual_and_b32 v32, 7, v2
	v_lshrrev_b32_e32 v0, 3, v1
	s_mov_b32 s20, exec_lo
	v_cmpx_gt_u32_e32 8, v1
; %bb.264:                              ;   in Loop: Header=BB462_8 Depth=1
	s_delay_alu instid0(VALU_DEP_3) | instskip(NEXT) | instid1(VALU_DEP_1)
	v_clz_i32_u32_e32 v0, v32
	v_min_u32_e32 v0, 32, v0
	s_delay_alu instid0(VALU_DEP_1) | instskip(SKIP_1) | instid1(VALU_DEP_2)
	v_subrev_nc_u32_e32 v1, 28, v0
	v_sub_nc_u32_e32 v0, 29, v0
	v_lshlrev_b64 v[1:2], v1, v[32:33]
	s_delay_alu instid0(VALU_DEP_1)
	v_and_b32_e32 v32, 7, v1
; %bb.265:                              ;   in Loop: Header=BB462_8 Depth=1
	s_or_b32 exec_lo, exec_lo, s20
	v_lshlrev_b32_e32 v1, 16, v18
	s_delay_alu instid0(VALU_DEP_2) | instskip(SKIP_1) | instid1(VALU_DEP_3)
	v_lshlrev_b32_e32 v2, 20, v32
	v_lshl_add_u32 v0, v0, 23, 0x3c000000
	v_and_b32_e32 v1, 0x80000000, v1
	s_delay_alu instid0(VALU_DEP_1)
	v_or3_b32 v0, v2, v1, v0
.LBB462_266:                            ;   in Loop: Header=BB462_8 Depth=1
	s_or_b32 exec_lo, exec_lo, s19
.LBB462_267:                            ;   in Loop: Header=BB462_8 Depth=1
	s_delay_alu instid0(SALU_CYCLE_1)
	s_or_b32 exec_lo, exec_lo, s18
.LBB462_268:                            ;   in Loop: Header=BB462_8 Depth=1
	s_delay_alu instid0(SALU_CYCLE_1) | instskip(NEXT) | instid1(VALU_DEP_1)
	s_or_b32 exec_lo, exec_lo, s2
	v_mul_f32_e32 v0, v152, v0
                                        ; implicit-def: $vgpr189
	s_delay_alu instid0(VALU_DEP_1) | instskip(NEXT) | instid1(VALU_DEP_1)
	v_and_b32_e32 v1, 0x7f800000, v0
	v_cmp_ne_u32_e64 s1, 0x7f800000, v1
	s_delay_alu instid0(VALU_DEP_1) | instskip(NEXT) | instid1(SALU_CYCLE_1)
	s_and_saveexec_b32 s2, s1
	s_xor_b32 s1, exec_lo, s2
; %bb.269:                              ;   in Loop: Header=BB462_8 Depth=1
	v_bfe_u32 v1, v0, 16, 1
	s_delay_alu instid0(VALU_DEP_1)
	v_add3_u32 v189, v0, v1, 0x7fff
                                        ; implicit-def: $vgpr0
; %bb.270:                              ;   in Loop: Header=BB462_8 Depth=1
	s_and_not1_saveexec_b32 s2, s1
; %bb.271:                              ;   in Loop: Header=BB462_8 Depth=1
	v_and_b32_e32 v1, 0xffff, v0
	v_or_b32_e32 v2, 0x10000, v0
	s_delay_alu instid0(VALU_DEP_2) | instskip(NEXT) | instid1(VALU_DEP_1)
	v_cmp_eq_u32_e64 s1, 0, v1
	v_cndmask_b32_e64 v189, v2, v0, s1
; %bb.272:                              ;   in Loop: Header=BB462_8 Depth=1
	s_or_b32 exec_lo, exec_lo, s2
	v_lshrrev_b32_e32 v0, 16, v31
	s_mov_b32 s2, exec_lo
	s_delay_alu instid0(VALU_DEP_1) | instskip(NEXT) | instid1(VALU_DEP_1)
	v_dual_mov_b32 v1, 0 :: v_dual_and_b32 v2, 0xff, v0
	v_cmpx_ne_u16_e32 0, v2
	s_cbranch_execz .LBB462_280
; %bb.273:                              ;   in Loop: Header=BB462_8 Depth=1
	v_bfrev_b32_e32 v1, 1
	s_mov_b32 s18, exec_lo
	v_cmpx_ne_u16_e32 0x80, v2
	s_cbranch_execz .LBB462_279
; %bb.274:                              ;   in Loop: Header=BB462_8 Depth=1
	v_bfe_u32 v2, v31, 16, 7
	v_mov_b32_e32 v1, 0x7f800001
	s_mov_b32 s19, exec_lo
	s_delay_alu instid0(VALU_DEP_2)
	v_cmpx_ne_u32_e32 0x7f, v2
	s_cbranch_execz .LBB462_278
; %bb.275:                              ;   in Loop: Header=BB462_8 Depth=1
	v_and_b32_e32 v18, 7, v0
	v_lshrrev_b32_e32 v1, 3, v2
	v_mov_b32_e32 v33, v19
	s_mov_b32 s20, exec_lo
	s_delay_alu instid0(VALU_DEP_3)
	v_mov_b32_e32 v32, v18
	v_cmpx_gt_u32_e32 8, v2
; %bb.276:                              ;   in Loop: Header=BB462_8 Depth=1
	v_clz_i32_u32_e32 v1, v18
	s_delay_alu instid0(VALU_DEP_1) | instskip(NEXT) | instid1(VALU_DEP_1)
	v_min_u32_e32 v1, 32, v1
	v_subrev_nc_u32_e32 v2, 28, v1
	v_sub_nc_u32_e32 v1, 29, v1
	s_delay_alu instid0(VALU_DEP_2) | instskip(NEXT) | instid1(VALU_DEP_1)
	v_lshlrev_b64 v[2:3], v2, v[18:19]
	v_and_b32_e32 v32, 7, v2
; %bb.277:                              ;   in Loop: Header=BB462_8 Depth=1
	s_or_b32 exec_lo, exec_lo, s20
	v_lshlrev_b32_e32 v0, 24, v0
	s_delay_alu instid0(VALU_DEP_2) | instskip(SKIP_1) | instid1(VALU_DEP_3)
	v_lshlrev_b32_e32 v2, 20, v32
	v_lshl_add_u32 v1, v1, 23, 0x3c000000
	v_and_b32_e32 v0, 0x80000000, v0
	s_delay_alu instid0(VALU_DEP_1)
	v_or3_b32 v1, v2, v0, v1
.LBB462_278:                            ;   in Loop: Header=BB462_8 Depth=1
	s_or_b32 exec_lo, exec_lo, s19
.LBB462_279:                            ;   in Loop: Header=BB462_8 Depth=1
	s_delay_alu instid0(SALU_CYCLE_1)
	s_or_b32 exec_lo, exec_lo, s18
.LBB462_280:                            ;   in Loop: Header=BB462_8 Depth=1
	s_delay_alu instid0(SALU_CYCLE_1) | instskip(NEXT) | instid1(VALU_DEP_1)
	s_or_b32 exec_lo, exec_lo, s2
	v_mul_f32_e32 v0, v152, v1
                                        ; implicit-def: $vgpr190
	s_delay_alu instid0(VALU_DEP_1) | instskip(NEXT) | instid1(VALU_DEP_1)
	v_and_b32_e32 v1, 0x7f800000, v0
	v_cmp_ne_u32_e64 s1, 0x7f800000, v1
	s_delay_alu instid0(VALU_DEP_1) | instskip(NEXT) | instid1(SALU_CYCLE_1)
	s_and_saveexec_b32 s2, s1
	s_xor_b32 s1, exec_lo, s2
; %bb.281:                              ;   in Loop: Header=BB462_8 Depth=1
	v_bfe_u32 v1, v0, 16, 1
	s_delay_alu instid0(VALU_DEP_1)
	v_add3_u32 v190, v0, v1, 0x7fff
                                        ; implicit-def: $vgpr0
; %bb.282:                              ;   in Loop: Header=BB462_8 Depth=1
	s_and_not1_saveexec_b32 s2, s1
; %bb.283:                              ;   in Loop: Header=BB462_8 Depth=1
	v_and_b32_e32 v1, 0xffff, v0
	v_or_b32_e32 v2, 0x10000, v0
	s_delay_alu instid0(VALU_DEP_2) | instskip(NEXT) | instid1(VALU_DEP_1)
	v_cmp_eq_u32_e64 s1, 0, v1
	v_cndmask_b32_e64 v190, v2, v0, s1
; %bb.284:                              ;   in Loop: Header=BB462_8 Depth=1
	s_or_b32 exec_lo, exec_lo, s2
	v_mov_b32_e32 v1, 0
	s_mov_b32 s2, exec_lo
	v_cmpx_lt_u64_e64 s[8:9], v[30:31]
	s_cbranch_execz .LBB462_292
; %bb.285:                              ;   in Loop: Header=BB462_8 Depth=1
	v_lshrrev_b32_e32 v0, 24, v31
	v_bfrev_b32_e32 v1, 1
	s_mov_b32 s18, exec_lo
	s_delay_alu instid0(VALU_DEP_2)
	v_cmpx_ne_u32_e32 0x80, v0
	s_cbranch_execz .LBB462_291
; %bb.286:                              ;   in Loop: Header=BB462_8 Depth=1
	v_bfe_u32 v2, v31, 24, 7
	v_mov_b32_e32 v1, 0x7f800001
	s_mov_b32 s19, exec_lo
	s_delay_alu instid0(VALU_DEP_2)
	v_cmpx_ne_u32_e32 0x7f, v2
	s_cbranch_execz .LBB462_290
; %bb.287:                              ;   in Loop: Header=BB462_8 Depth=1
	v_and_b32_e32 v18, 7, v0
	v_lshrrev_b32_e32 v1, 3, v2
	v_mov_b32_e32 v31, v19
	s_mov_b32 s20, exec_lo
	s_delay_alu instid0(VALU_DEP_3)
	v_mov_b32_e32 v30, v18
	v_cmpx_gt_u32_e32 8, v2
; %bb.288:                              ;   in Loop: Header=BB462_8 Depth=1
	v_clz_i32_u32_e32 v1, v18
	s_delay_alu instid0(VALU_DEP_1) | instskip(NEXT) | instid1(VALU_DEP_1)
	v_min_u32_e32 v1, 32, v1
	v_subrev_nc_u32_e32 v2, 28, v1
	v_sub_nc_u32_e32 v1, 29, v1
	s_delay_alu instid0(VALU_DEP_2) | instskip(NEXT) | instid1(VALU_DEP_1)
	v_lshlrev_b64 v[2:3], v2, v[18:19]
	v_and_b32_e32 v30, 7, v2
; %bb.289:                              ;   in Loop: Header=BB462_8 Depth=1
	s_or_b32 exec_lo, exec_lo, s20
	v_lshlrev_b32_e32 v0, 24, v0
	s_delay_alu instid0(VALU_DEP_2) | instskip(SKIP_1) | instid1(VALU_DEP_3)
	v_lshlrev_b32_e32 v2, 20, v30
	v_lshl_add_u32 v1, v1, 23, 0x3c000000
	v_and_b32_e32 v0, 0x80000000, v0
	s_delay_alu instid0(VALU_DEP_1)
	v_or3_b32 v1, v2, v0, v1
.LBB462_290:                            ;   in Loop: Header=BB462_8 Depth=1
	s_or_b32 exec_lo, exec_lo, s19
.LBB462_291:                            ;   in Loop: Header=BB462_8 Depth=1
	s_delay_alu instid0(SALU_CYCLE_1)
	s_or_b32 exec_lo, exec_lo, s18
.LBB462_292:                            ;   in Loop: Header=BB462_8 Depth=1
	s_delay_alu instid0(SALU_CYCLE_1) | instskip(NEXT) | instid1(VALU_DEP_1)
	s_or_b32 exec_lo, exec_lo, s2
	v_mul_f32_e32 v0, v152, v1
                                        ; implicit-def: $vgpr191
	s_delay_alu instid0(VALU_DEP_1) | instskip(NEXT) | instid1(VALU_DEP_1)
	v_and_b32_e32 v1, 0x7f800000, v0
	v_cmp_ne_u32_e64 s1, 0x7f800000, v1
	s_delay_alu instid0(VALU_DEP_1) | instskip(NEXT) | instid1(SALU_CYCLE_1)
	s_and_saveexec_b32 s2, s1
	s_xor_b32 s1, exec_lo, s2
; %bb.293:                              ;   in Loop: Header=BB462_8 Depth=1
	v_bfe_u32 v1, v0, 16, 1
	s_delay_alu instid0(VALU_DEP_1)
	v_add3_u32 v191, v0, v1, 0x7fff
                                        ; implicit-def: $vgpr0
; %bb.294:                              ;   in Loop: Header=BB462_8 Depth=1
	s_and_not1_saveexec_b32 s2, s1
; %bb.295:                              ;   in Loop: Header=BB462_8 Depth=1
	v_and_b32_e32 v1, 0xffff, v0
	v_or_b32_e32 v2, 0x10000, v0
	s_delay_alu instid0(VALU_DEP_2) | instskip(NEXT) | instid1(VALU_DEP_1)
	v_cmp_eq_u32_e64 s1, 0, v1
	v_cndmask_b32_e64 v191, v2, v0, s1
; %bb.296:                              ;   in Loop: Header=BB462_8 Depth=1
	s_or_b32 exec_lo, exec_lo, s2
	flat_load_b64 v[30:31], v[28:29] offset:520
	s_mov_b32 s2, exec_lo
	s_waitcnt vmcnt(0) lgkmcnt(0)
	v_dual_mov_b32 v0, 0 :: v_dual_and_b32 v1, 0xff, v30
	s_delay_alu instid0(VALU_DEP_1)
	v_cmpx_ne_u16_e32 0, v1
	s_cbranch_execz .LBB462_304
; %bb.297:                              ;   in Loop: Header=BB462_8 Depth=1
	v_bfrev_b32_e32 v0, 1
	s_mov_b32 s18, exec_lo
	v_cmpx_ne_u16_e32 0x80, v1
	s_cbranch_execz .LBB462_303
; %bb.298:                              ;   in Loop: Header=BB462_8 Depth=1
	v_and_b32_e32 v1, 0x7f, v30
	v_mov_b32_e32 v0, 0x7f800001
	s_mov_b32 s19, exec_lo
	s_delay_alu instid0(VALU_DEP_2)
	v_cmpx_ne_u32_e32 0x7f, v1
	s_cbranch_execz .LBB462_302
; %bb.299:                              ;   in Loop: Header=BB462_8 Depth=1
	v_lshrrev_b32_e32 v0, 3, v1
	v_dual_mov_b32 v33, v31 :: v_dual_mov_b32 v32, v30
	s_mov_b32 s20, exec_lo
	v_cmpx_gt_u32_e32 8, v1
; %bb.300:                              ;   in Loop: Header=BB462_8 Depth=1
	v_and_b32_e32 v0, 7, v30
	s_delay_alu instid0(VALU_DEP_1) | instskip(NEXT) | instid1(VALU_DEP_1)
	v_clz_i32_u32_e32 v0, v0
	v_min_u32_e32 v0, 32, v0
	s_delay_alu instid0(VALU_DEP_1) | instskip(SKIP_1) | instid1(VALU_DEP_2)
	v_subrev_nc_u32_e32 v1, 28, v0
	v_sub_nc_u32_e32 v0, 29, v0
	v_lshlrev_b64 v[32:33], v1, v[30:31]
; %bb.301:                              ;   in Loop: Header=BB462_8 Depth=1
	s_or_b32 exec_lo, exec_lo, s20
	s_delay_alu instid0(VALU_DEP_1) | instskip(SKIP_2) | instid1(VALU_DEP_3)
	v_lshlrev_b32_e32 v1, 20, v32
	v_lshlrev_b32_e32 v2, 24, v30
	v_lshl_add_u32 v0, v0, 23, 0x3c000000
	v_and_b32_e32 v1, 0x700000, v1
	s_delay_alu instid0(VALU_DEP_3) | instskip(NEXT) | instid1(VALU_DEP_1)
	v_and_b32_e32 v2, 0x80000000, v2
	v_or3_b32 v0, v1, v2, v0
.LBB462_302:                            ;   in Loop: Header=BB462_8 Depth=1
	s_or_b32 exec_lo, exec_lo, s19
.LBB462_303:                            ;   in Loop: Header=BB462_8 Depth=1
	s_delay_alu instid0(SALU_CYCLE_1)
	s_or_b32 exec_lo, exec_lo, s18
.LBB462_304:                            ;   in Loop: Header=BB462_8 Depth=1
	s_delay_alu instid0(SALU_CYCLE_1) | instskip(NEXT) | instid1(VALU_DEP_1)
	s_or_b32 exec_lo, exec_lo, s2
	v_mul_f32_e32 v0, v152, v0
                                        ; implicit-def: $vgpr38
	s_delay_alu instid0(VALU_DEP_1) | instskip(NEXT) | instid1(VALU_DEP_1)
	v_and_b32_e32 v1, 0x7f800000, v0
	v_cmp_ne_u32_e64 s1, 0x7f800000, v1
	s_delay_alu instid0(VALU_DEP_1) | instskip(NEXT) | instid1(SALU_CYCLE_1)
	s_and_saveexec_b32 s2, s1
	s_xor_b32 s1, exec_lo, s2
; %bb.305:                              ;   in Loop: Header=BB462_8 Depth=1
	v_bfe_u32 v1, v0, 16, 1
	s_delay_alu instid0(VALU_DEP_1)
	v_add3_u32 v38, v0, v1, 0x7fff
                                        ; implicit-def: $vgpr0
; %bb.306:                              ;   in Loop: Header=BB462_8 Depth=1
	s_and_not1_saveexec_b32 s2, s1
; %bb.307:                              ;   in Loop: Header=BB462_8 Depth=1
	v_and_b32_e32 v1, 0xffff, v0
	v_or_b32_e32 v2, 0x10000, v0
	s_delay_alu instid0(VALU_DEP_2) | instskip(NEXT) | instid1(VALU_DEP_1)
	v_cmp_eq_u32_e64 s1, 0, v1
	v_cndmask_b32_e64 v38, v2, v0, s1
; %bb.308:                              ;   in Loop: Header=BB462_8 Depth=1
	s_or_b32 exec_lo, exec_lo, s2
	v_lshrrev_b16 v1, 8, v30
	v_mov_b32_e32 v0, 0
	s_mov_b32 s2, exec_lo
	s_delay_alu instid0(VALU_DEP_2)
	v_cmpx_ne_u16_e32 0, v1
	s_cbranch_execz .LBB462_316
; %bb.309:                              ;   in Loop: Header=BB462_8 Depth=1
	v_bfrev_b32_e32 v0, 1
	s_mov_b32 s18, exec_lo
	v_cmpx_ne_u16_e32 0x80, v1
	s_cbranch_execz .LBB462_315
; %bb.310:                              ;   in Loop: Header=BB462_8 Depth=1
	v_and_b32_e32 v2, 0xffff, v1
	v_mov_b32_e32 v0, 0x7f800001
	s_mov_b32 s19, exec_lo
	s_delay_alu instid0(VALU_DEP_2) | instskip(NEXT) | instid1(VALU_DEP_1)
	v_and_b32_e32 v1, 0x7f, v2
	v_cmpx_ne_u32_e32 0x7f, v1
	s_cbranch_execz .LBB462_314
; %bb.311:                              ;   in Loop: Header=BB462_8 Depth=1
	v_and_b32_e32 v18, 7, v2
	v_lshrrev_b32_e32 v0, 3, v1
	v_mov_b32_e32 v33, v19
	s_mov_b32 s20, exec_lo
	s_delay_alu instid0(VALU_DEP_3)
	v_mov_b32_e32 v32, v18
	v_cmpx_gt_u32_e32 8, v1
; %bb.312:                              ;   in Loop: Header=BB462_8 Depth=1
	v_clz_i32_u32_e32 v0, v18
	s_delay_alu instid0(VALU_DEP_1) | instskip(NEXT) | instid1(VALU_DEP_1)
	v_min_u32_e32 v0, 32, v0
	v_subrev_nc_u32_e32 v1, 28, v0
	v_sub_nc_u32_e32 v0, 29, v0
	s_delay_alu instid0(VALU_DEP_2) | instskip(NEXT) | instid1(VALU_DEP_1)
	v_lshlrev_b64 v[1:2], v1, v[18:19]
	v_and_b32_e32 v32, 7, v1
; %bb.313:                              ;   in Loop: Header=BB462_8 Depth=1
	s_or_b32 exec_lo, exec_lo, s20
	v_lshlrev_b32_e32 v1, 16, v30
	s_delay_alu instid0(VALU_DEP_2) | instskip(SKIP_1) | instid1(VALU_DEP_3)
	v_lshlrev_b32_e32 v2, 20, v32
	v_lshl_add_u32 v0, v0, 23, 0x3c000000
	v_and_b32_e32 v1, 0x80000000, v1
	s_delay_alu instid0(VALU_DEP_1)
	v_or3_b32 v0, v2, v1, v0
.LBB462_314:                            ;   in Loop: Header=BB462_8 Depth=1
	s_or_b32 exec_lo, exec_lo, s19
.LBB462_315:                            ;   in Loop: Header=BB462_8 Depth=1
	s_delay_alu instid0(SALU_CYCLE_1)
	s_or_b32 exec_lo, exec_lo, s18
.LBB462_316:                            ;   in Loop: Header=BB462_8 Depth=1
	s_delay_alu instid0(SALU_CYCLE_1) | instskip(NEXT) | instid1(VALU_DEP_1)
	s_or_b32 exec_lo, exec_lo, s2
	v_mul_f32_e32 v0, v152, v0
                                        ; implicit-def: $vgpr5
	s_delay_alu instid0(VALU_DEP_1) | instskip(NEXT) | instid1(VALU_DEP_1)
	v_and_b32_e32 v1, 0x7f800000, v0
	v_cmp_ne_u32_e64 s1, 0x7f800000, v1
	s_delay_alu instid0(VALU_DEP_1) | instskip(NEXT) | instid1(SALU_CYCLE_1)
	s_and_saveexec_b32 s2, s1
	s_xor_b32 s1, exec_lo, s2
; %bb.317:                              ;   in Loop: Header=BB462_8 Depth=1
	v_bfe_u32 v1, v0, 16, 1
	s_delay_alu instid0(VALU_DEP_1)
	v_add3_u32 v5, v0, v1, 0x7fff
                                        ; implicit-def: $vgpr0
; %bb.318:                              ;   in Loop: Header=BB462_8 Depth=1
	s_and_not1_saveexec_b32 s2, s1
; %bb.319:                              ;   in Loop: Header=BB462_8 Depth=1
	v_and_b32_e32 v1, 0xffff, v0
	v_or_b32_e32 v2, 0x10000, v0
	s_delay_alu instid0(VALU_DEP_2) | instskip(NEXT) | instid1(VALU_DEP_1)
	v_cmp_eq_u32_e64 s1, 0, v1
	v_cndmask_b32_e64 v5, v2, v0, s1
; %bb.320:                              ;   in Loop: Header=BB462_8 Depth=1
	s_or_b32 exec_lo, exec_lo, s2
	v_lshrrev_b32_e32 v0, 16, v30
	s_mov_b32 s2, exec_lo
	s_delay_alu instid0(VALU_DEP_1) | instskip(NEXT) | instid1(VALU_DEP_1)
	v_dual_mov_b32 v1, 0 :: v_dual_and_b32 v2, 0xff, v0
	v_cmpx_ne_u16_e32 0, v2
	s_cbranch_execz .LBB462_328
; %bb.321:                              ;   in Loop: Header=BB462_8 Depth=1
	v_bfrev_b32_e32 v1, 1
	s_mov_b32 s18, exec_lo
	v_cmpx_ne_u16_e32 0x80, v2
	s_cbranch_execz .LBB462_327
; %bb.322:                              ;   in Loop: Header=BB462_8 Depth=1
	v_bfe_u32 v2, v30, 16, 7
	v_mov_b32_e32 v1, 0x7f800001
	s_mov_b32 s19, exec_lo
	s_delay_alu instid0(VALU_DEP_2)
	v_cmpx_ne_u32_e32 0x7f, v2
	s_cbranch_execz .LBB462_326
; %bb.323:                              ;   in Loop: Header=BB462_8 Depth=1
	v_and_b32_e32 v18, 7, v0
	v_lshrrev_b32_e32 v1, 3, v2
	v_mov_b32_e32 v33, v19
	s_mov_b32 s20, exec_lo
	s_delay_alu instid0(VALU_DEP_3)
	v_mov_b32_e32 v32, v18
	v_cmpx_gt_u32_e32 8, v2
; %bb.324:                              ;   in Loop: Header=BB462_8 Depth=1
	v_clz_i32_u32_e32 v1, v18
	s_delay_alu instid0(VALU_DEP_1) | instskip(NEXT) | instid1(VALU_DEP_1)
	v_min_u32_e32 v1, 32, v1
	v_subrev_nc_u32_e32 v2, 28, v1
	v_sub_nc_u32_e32 v1, 29, v1
	s_delay_alu instid0(VALU_DEP_2) | instskip(NEXT) | instid1(VALU_DEP_1)
	v_lshlrev_b64 v[2:3], v2, v[18:19]
	v_and_b32_e32 v32, 7, v2
; %bb.325:                              ;   in Loop: Header=BB462_8 Depth=1
	s_or_b32 exec_lo, exec_lo, s20
	v_lshlrev_b32_e32 v0, 24, v0
	s_delay_alu instid0(VALU_DEP_2) | instskip(SKIP_1) | instid1(VALU_DEP_3)
	v_lshlrev_b32_e32 v2, 20, v32
	v_lshl_add_u32 v1, v1, 23, 0x3c000000
	v_and_b32_e32 v0, 0x80000000, v0
	s_delay_alu instid0(VALU_DEP_1)
	v_or3_b32 v1, v2, v0, v1
.LBB462_326:                            ;   in Loop: Header=BB462_8 Depth=1
	s_or_b32 exec_lo, exec_lo, s19
.LBB462_327:                            ;   in Loop: Header=BB462_8 Depth=1
	s_delay_alu instid0(SALU_CYCLE_1)
	s_or_b32 exec_lo, exec_lo, s18
.LBB462_328:                            ;   in Loop: Header=BB462_8 Depth=1
	s_delay_alu instid0(SALU_CYCLE_1) | instskip(NEXT) | instid1(VALU_DEP_1)
	s_or_b32 exec_lo, exec_lo, s2
	v_mul_f32_e32 v0, v152, v1
                                        ; implicit-def: $vgpr4
	s_delay_alu instid0(VALU_DEP_1) | instskip(NEXT) | instid1(VALU_DEP_1)
	v_and_b32_e32 v1, 0x7f800000, v0
	v_cmp_ne_u32_e64 s1, 0x7f800000, v1
	s_delay_alu instid0(VALU_DEP_1) | instskip(NEXT) | instid1(SALU_CYCLE_1)
	s_and_saveexec_b32 s2, s1
	s_xor_b32 s1, exec_lo, s2
; %bb.329:                              ;   in Loop: Header=BB462_8 Depth=1
	v_bfe_u32 v1, v0, 16, 1
	s_delay_alu instid0(VALU_DEP_1)
	v_add3_u32 v4, v0, v1, 0x7fff
                                        ; implicit-def: $vgpr0
; %bb.330:                              ;   in Loop: Header=BB462_8 Depth=1
	s_and_not1_saveexec_b32 s2, s1
; %bb.331:                              ;   in Loop: Header=BB462_8 Depth=1
	v_and_b32_e32 v1, 0xffff, v0
	v_or_b32_e32 v2, 0x10000, v0
	s_delay_alu instid0(VALU_DEP_2) | instskip(NEXT) | instid1(VALU_DEP_1)
	v_cmp_eq_u32_e64 s1, 0, v1
	v_cndmask_b32_e64 v4, v2, v0, s1
; %bb.332:                              ;   in Loop: Header=BB462_8 Depth=1
	s_or_b32 exec_lo, exec_lo, s2
	v_mov_b32_e32 v1, 0
	s_mov_b32 s2, exec_lo
	v_cmpx_lt_u32_e32 0xffffff, v30
	s_cbranch_execz .LBB462_340
; %bb.333:                              ;   in Loop: Header=BB462_8 Depth=1
	v_lshrrev_b32_e32 v0, 24, v30
	v_bfrev_b32_e32 v1, 1
	s_mov_b32 s18, exec_lo
	s_delay_alu instid0(VALU_DEP_2)
	v_cmpx_ne_u32_e32 0x80, v0
	s_cbranch_execz .LBB462_339
; %bb.334:                              ;   in Loop: Header=BB462_8 Depth=1
	v_bfe_u32 v2, v30, 24, 7
	v_mov_b32_e32 v1, 0x7f800001
	s_mov_b32 s19, exec_lo
	s_delay_alu instid0(VALU_DEP_2)
	v_cmpx_ne_u32_e32 0x7f, v2
	s_cbranch_execz .LBB462_338
; %bb.335:                              ;   in Loop: Header=BB462_8 Depth=1
	v_and_b32_e32 v18, 7, v0
	v_lshrrev_b32_e32 v1, 3, v2
	v_mov_b32_e32 v33, v19
	s_mov_b32 s20, exec_lo
	s_delay_alu instid0(VALU_DEP_3)
	v_mov_b32_e32 v32, v18
	v_cmpx_gt_u32_e32 8, v2
; %bb.336:                              ;   in Loop: Header=BB462_8 Depth=1
	v_clz_i32_u32_e32 v1, v18
	s_delay_alu instid0(VALU_DEP_1) | instskip(NEXT) | instid1(VALU_DEP_1)
	v_min_u32_e32 v1, 32, v1
	v_subrev_nc_u32_e32 v2, 28, v1
	v_sub_nc_u32_e32 v1, 29, v1
	s_delay_alu instid0(VALU_DEP_2) | instskip(NEXT) | instid1(VALU_DEP_1)
	v_lshlrev_b64 v[2:3], v2, v[18:19]
	v_and_b32_e32 v32, 7, v2
; %bb.337:                              ;   in Loop: Header=BB462_8 Depth=1
	s_or_b32 exec_lo, exec_lo, s20
	v_lshlrev_b32_e32 v0, 24, v0
	s_delay_alu instid0(VALU_DEP_2) | instskip(SKIP_1) | instid1(VALU_DEP_3)
	v_lshlrev_b32_e32 v2, 20, v32
	v_lshl_add_u32 v1, v1, 23, 0x3c000000
	v_and_b32_e32 v0, 0x80000000, v0
	s_delay_alu instid0(VALU_DEP_1)
	v_or3_b32 v1, v2, v0, v1
.LBB462_338:                            ;   in Loop: Header=BB462_8 Depth=1
	s_or_b32 exec_lo, exec_lo, s19
.LBB462_339:                            ;   in Loop: Header=BB462_8 Depth=1
	s_delay_alu instid0(SALU_CYCLE_1)
	s_or_b32 exec_lo, exec_lo, s18
.LBB462_340:                            ;   in Loop: Header=BB462_8 Depth=1
	s_delay_alu instid0(SALU_CYCLE_1) | instskip(NEXT) | instid1(VALU_DEP_1)
	s_or_b32 exec_lo, exec_lo, s2
	v_mul_f32_e32 v0, v152, v1
                                        ; implicit-def: $vgpr35
	s_delay_alu instid0(VALU_DEP_1) | instskip(NEXT) | instid1(VALU_DEP_1)
	v_and_b32_e32 v1, 0x7f800000, v0
	v_cmp_ne_u32_e64 s1, 0x7f800000, v1
	s_delay_alu instid0(VALU_DEP_1) | instskip(NEXT) | instid1(SALU_CYCLE_1)
	s_and_saveexec_b32 s2, s1
	s_xor_b32 s1, exec_lo, s2
; %bb.341:                              ;   in Loop: Header=BB462_8 Depth=1
	v_bfe_u32 v1, v0, 16, 1
	s_delay_alu instid0(VALU_DEP_1)
	v_add3_u32 v35, v0, v1, 0x7fff
                                        ; implicit-def: $vgpr0
; %bb.342:                              ;   in Loop: Header=BB462_8 Depth=1
	s_and_not1_saveexec_b32 s2, s1
; %bb.343:                              ;   in Loop: Header=BB462_8 Depth=1
	v_and_b32_e32 v1, 0xffff, v0
	v_or_b32_e32 v2, 0x10000, v0
	s_delay_alu instid0(VALU_DEP_2) | instskip(NEXT) | instid1(VALU_DEP_1)
	v_cmp_eq_u32_e64 s1, 0, v1
	v_cndmask_b32_e64 v35, v2, v0, s1
; %bb.344:                              ;   in Loop: Header=BB462_8 Depth=1
	s_or_b32 exec_lo, exec_lo, s2
	v_dual_mov_b32 v18, v31 :: v_dual_and_b32 v1, 0xff, v31
	v_mov_b32_e32 v0, 0
	s_mov_b32 s2, exec_lo
	s_delay_alu instid0(VALU_DEP_2)
	v_cmpx_ne_u16_e32 0, v1
	s_cbranch_execz .LBB462_352
; %bb.345:                              ;   in Loop: Header=BB462_8 Depth=1
	v_bfrev_b32_e32 v0, 1
	s_mov_b32 s18, exec_lo
	v_cmpx_ne_u16_e32 0x80, v1
	s_cbranch_execz .LBB462_351
; %bb.346:                              ;   in Loop: Header=BB462_8 Depth=1
	v_and_b32_e32 v1, 0x7f, v31
	v_mov_b32_e32 v0, 0x7f800001
	s_mov_b32 s19, exec_lo
	s_delay_alu instid0(VALU_DEP_2)
	v_cmpx_ne_u32_e32 0x7f, v1
	s_cbranch_execz .LBB462_350
; %bb.347:                              ;   in Loop: Header=BB462_8 Depth=1
	v_lshrrev_b32_e32 v0, 3, v1
	v_dual_mov_b32 v33, v19 :: v_dual_mov_b32 v32, v18
	s_mov_b32 s20, exec_lo
	v_cmpx_gt_u32_e32 8, v1
; %bb.348:                              ;   in Loop: Header=BB462_8 Depth=1
	v_and_b32_e32 v0, 7, v31
	s_delay_alu instid0(VALU_DEP_1) | instskip(NEXT) | instid1(VALU_DEP_1)
	v_clz_i32_u32_e32 v0, v0
	v_min_u32_e32 v0, 32, v0
	s_delay_alu instid0(VALU_DEP_1) | instskip(SKIP_1) | instid1(VALU_DEP_2)
	v_subrev_nc_u32_e32 v1, 28, v0
	v_sub_nc_u32_e32 v0, 29, v0
	v_lshlrev_b64 v[32:33], v1, v[18:19]
; %bb.349:                              ;   in Loop: Header=BB462_8 Depth=1
	s_or_b32 exec_lo, exec_lo, s20
	s_delay_alu instid0(VALU_DEP_1) | instskip(SKIP_2) | instid1(VALU_DEP_3)
	v_lshlrev_b32_e32 v1, 20, v32
	v_lshlrev_b32_e32 v2, 24, v18
	v_lshl_add_u32 v0, v0, 23, 0x3c000000
	v_and_b32_e32 v1, 0x700000, v1
	s_delay_alu instid0(VALU_DEP_3) | instskip(NEXT) | instid1(VALU_DEP_1)
	v_and_b32_e32 v2, 0x80000000, v2
	v_or3_b32 v0, v1, v2, v0
.LBB462_350:                            ;   in Loop: Header=BB462_8 Depth=1
	s_or_b32 exec_lo, exec_lo, s19
.LBB462_351:                            ;   in Loop: Header=BB462_8 Depth=1
	s_delay_alu instid0(SALU_CYCLE_1)
	s_or_b32 exec_lo, exec_lo, s18
.LBB462_352:                            ;   in Loop: Header=BB462_8 Depth=1
	s_delay_alu instid0(SALU_CYCLE_1) | instskip(NEXT) | instid1(VALU_DEP_1)
	s_or_b32 exec_lo, exec_lo, s2
	v_mul_f32_e32 v0, v152, v0
                                        ; implicit-def: $vgpr23
	s_delay_alu instid0(VALU_DEP_1) | instskip(NEXT) | instid1(VALU_DEP_1)
	v_and_b32_e32 v1, 0x7f800000, v0
	v_cmp_ne_u32_e64 s1, 0x7f800000, v1
	s_delay_alu instid0(VALU_DEP_1) | instskip(NEXT) | instid1(SALU_CYCLE_1)
	s_and_saveexec_b32 s2, s1
	s_xor_b32 s1, exec_lo, s2
; %bb.353:                              ;   in Loop: Header=BB462_8 Depth=1
	v_bfe_u32 v1, v0, 16, 1
	s_delay_alu instid0(VALU_DEP_1)
	v_add3_u32 v23, v0, v1, 0x7fff
                                        ; implicit-def: $vgpr0
; %bb.354:                              ;   in Loop: Header=BB462_8 Depth=1
	s_and_not1_saveexec_b32 s2, s1
; %bb.355:                              ;   in Loop: Header=BB462_8 Depth=1
	v_and_b32_e32 v1, 0xffff, v0
	v_or_b32_e32 v2, 0x10000, v0
	s_delay_alu instid0(VALU_DEP_2) | instskip(NEXT) | instid1(VALU_DEP_1)
	v_cmp_eq_u32_e64 s1, 0, v1
	v_cndmask_b32_e64 v23, v2, v0, s1
; %bb.356:                              ;   in Loop: Header=BB462_8 Depth=1
	s_or_b32 exec_lo, exec_lo, s2
	v_lshrrev_b16 v1, 8, v18
	v_mov_b32_e32 v0, 0
	s_mov_b32 s2, exec_lo
	s_delay_alu instid0(VALU_DEP_2)
	v_cmpx_ne_u16_e32 0, v1
	s_cbranch_execz .LBB462_364
; %bb.357:                              ;   in Loop: Header=BB462_8 Depth=1
	v_bfrev_b32_e32 v0, 1
	s_mov_b32 s18, exec_lo
	v_cmpx_ne_u16_e32 0x80, v1
	s_cbranch_execz .LBB462_363
; %bb.358:                              ;   in Loop: Header=BB462_8 Depth=1
	v_and_b32_e32 v2, 0xffff, v1
	v_mov_b32_e32 v0, 0x7f800001
	s_mov_b32 s19, exec_lo
	s_delay_alu instid0(VALU_DEP_2) | instskip(NEXT) | instid1(VALU_DEP_1)
	v_and_b32_e32 v1, 0x7f, v2
	v_cmpx_ne_u32_e32 0x7f, v1
	s_cbranch_execz .LBB462_362
; %bb.359:                              ;   in Loop: Header=BB462_8 Depth=1
	v_dual_mov_b32 v33, v19 :: v_dual_and_b32 v32, 7, v2
	v_lshrrev_b32_e32 v0, 3, v1
	s_mov_b32 s20, exec_lo
	v_cmpx_gt_u32_e32 8, v1
; %bb.360:                              ;   in Loop: Header=BB462_8 Depth=1
	s_delay_alu instid0(VALU_DEP_3) | instskip(NEXT) | instid1(VALU_DEP_1)
	v_clz_i32_u32_e32 v0, v32
	v_min_u32_e32 v0, 32, v0
	s_delay_alu instid0(VALU_DEP_1) | instskip(SKIP_1) | instid1(VALU_DEP_2)
	v_subrev_nc_u32_e32 v1, 28, v0
	v_sub_nc_u32_e32 v0, 29, v0
	v_lshlrev_b64 v[1:2], v1, v[32:33]
	s_delay_alu instid0(VALU_DEP_1)
	v_and_b32_e32 v32, 7, v1
; %bb.361:                              ;   in Loop: Header=BB462_8 Depth=1
	s_or_b32 exec_lo, exec_lo, s20
	v_lshlrev_b32_e32 v1, 16, v18
	s_delay_alu instid0(VALU_DEP_2) | instskip(SKIP_1) | instid1(VALU_DEP_3)
	v_lshlrev_b32_e32 v2, 20, v32
	v_lshl_add_u32 v0, v0, 23, 0x3c000000
	v_and_b32_e32 v1, 0x80000000, v1
	s_delay_alu instid0(VALU_DEP_1)
	v_or3_b32 v0, v2, v1, v0
.LBB462_362:                            ;   in Loop: Header=BB462_8 Depth=1
	s_or_b32 exec_lo, exec_lo, s19
.LBB462_363:                            ;   in Loop: Header=BB462_8 Depth=1
	s_delay_alu instid0(SALU_CYCLE_1)
	s_or_b32 exec_lo, exec_lo, s18
.LBB462_364:                            ;   in Loop: Header=BB462_8 Depth=1
	s_delay_alu instid0(SALU_CYCLE_1) | instskip(NEXT) | instid1(VALU_DEP_1)
	s_or_b32 exec_lo, exec_lo, s2
	v_mul_f32_e32 v0, v152, v0
                                        ; implicit-def: $vgpr53
	s_delay_alu instid0(VALU_DEP_1) | instskip(NEXT) | instid1(VALU_DEP_1)
	v_and_b32_e32 v1, 0x7f800000, v0
	v_cmp_ne_u32_e64 s1, 0x7f800000, v1
	s_delay_alu instid0(VALU_DEP_1) | instskip(NEXT) | instid1(SALU_CYCLE_1)
	s_and_saveexec_b32 s2, s1
	s_xor_b32 s1, exec_lo, s2
; %bb.365:                              ;   in Loop: Header=BB462_8 Depth=1
	v_bfe_u32 v1, v0, 16, 1
	s_delay_alu instid0(VALU_DEP_1)
	v_add3_u32 v53, v0, v1, 0x7fff
                                        ; implicit-def: $vgpr0
; %bb.366:                              ;   in Loop: Header=BB462_8 Depth=1
	s_and_not1_saveexec_b32 s2, s1
; %bb.367:                              ;   in Loop: Header=BB462_8 Depth=1
	v_and_b32_e32 v1, 0xffff, v0
	v_or_b32_e32 v2, 0x10000, v0
	s_delay_alu instid0(VALU_DEP_2) | instskip(NEXT) | instid1(VALU_DEP_1)
	v_cmp_eq_u32_e64 s1, 0, v1
	v_cndmask_b32_e64 v53, v2, v0, s1
; %bb.368:                              ;   in Loop: Header=BB462_8 Depth=1
	s_or_b32 exec_lo, exec_lo, s2
	v_lshrrev_b32_e32 v0, 16, v31
	s_mov_b32 s2, exec_lo
	s_delay_alu instid0(VALU_DEP_1) | instskip(NEXT) | instid1(VALU_DEP_1)
	v_dual_mov_b32 v1, 0 :: v_dual_and_b32 v2, 0xff, v0
	v_cmpx_ne_u16_e32 0, v2
	s_cbranch_execz .LBB462_376
; %bb.369:                              ;   in Loop: Header=BB462_8 Depth=1
	v_bfrev_b32_e32 v1, 1
	s_mov_b32 s18, exec_lo
	v_cmpx_ne_u16_e32 0x80, v2
	s_cbranch_execz .LBB462_375
; %bb.370:                              ;   in Loop: Header=BB462_8 Depth=1
	v_bfe_u32 v2, v31, 16, 7
	v_mov_b32_e32 v1, 0x7f800001
	s_mov_b32 s19, exec_lo
	s_delay_alu instid0(VALU_DEP_2)
	v_cmpx_ne_u32_e32 0x7f, v2
	s_cbranch_execz .LBB462_374
; %bb.371:                              ;   in Loop: Header=BB462_8 Depth=1
	v_and_b32_e32 v18, 7, v0
	v_lshrrev_b32_e32 v1, 3, v2
	v_mov_b32_e32 v33, v19
	s_mov_b32 s20, exec_lo
	s_delay_alu instid0(VALU_DEP_3)
	v_mov_b32_e32 v32, v18
	v_cmpx_gt_u32_e32 8, v2
; %bb.372:                              ;   in Loop: Header=BB462_8 Depth=1
	v_clz_i32_u32_e32 v1, v18
	s_delay_alu instid0(VALU_DEP_1) | instskip(NEXT) | instid1(VALU_DEP_1)
	v_min_u32_e32 v1, 32, v1
	v_subrev_nc_u32_e32 v2, 28, v1
	v_sub_nc_u32_e32 v1, 29, v1
	s_delay_alu instid0(VALU_DEP_2) | instskip(NEXT) | instid1(VALU_DEP_1)
	v_lshlrev_b64 v[2:3], v2, v[18:19]
	v_and_b32_e32 v32, 7, v2
; %bb.373:                              ;   in Loop: Header=BB462_8 Depth=1
	s_or_b32 exec_lo, exec_lo, s20
	v_lshlrev_b32_e32 v0, 24, v0
	s_delay_alu instid0(VALU_DEP_2) | instskip(SKIP_1) | instid1(VALU_DEP_3)
	v_lshlrev_b32_e32 v2, 20, v32
	v_lshl_add_u32 v1, v1, 23, 0x3c000000
	v_and_b32_e32 v0, 0x80000000, v0
	s_delay_alu instid0(VALU_DEP_1)
	v_or3_b32 v1, v2, v0, v1
.LBB462_374:                            ;   in Loop: Header=BB462_8 Depth=1
	s_or_b32 exec_lo, exec_lo, s19
.LBB462_375:                            ;   in Loop: Header=BB462_8 Depth=1
	s_delay_alu instid0(SALU_CYCLE_1)
	s_or_b32 exec_lo, exec_lo, s18
.LBB462_376:                            ;   in Loop: Header=BB462_8 Depth=1
	s_delay_alu instid0(SALU_CYCLE_1) | instskip(NEXT) | instid1(VALU_DEP_1)
	s_or_b32 exec_lo, exec_lo, s2
	v_mul_f32_e32 v0, v152, v1
                                        ; implicit-def: $vgpr12
	s_delay_alu instid0(VALU_DEP_1) | instskip(NEXT) | instid1(VALU_DEP_1)
	v_and_b32_e32 v1, 0x7f800000, v0
	v_cmp_ne_u32_e64 s1, 0x7f800000, v1
	s_delay_alu instid0(VALU_DEP_1) | instskip(NEXT) | instid1(SALU_CYCLE_1)
	s_and_saveexec_b32 s2, s1
	s_xor_b32 s1, exec_lo, s2
; %bb.377:                              ;   in Loop: Header=BB462_8 Depth=1
	v_bfe_u32 v1, v0, 16, 1
	s_delay_alu instid0(VALU_DEP_1)
	v_add3_u32 v12, v0, v1, 0x7fff
                                        ; implicit-def: $vgpr0
; %bb.378:                              ;   in Loop: Header=BB462_8 Depth=1
	s_and_not1_saveexec_b32 s2, s1
; %bb.379:                              ;   in Loop: Header=BB462_8 Depth=1
	v_and_b32_e32 v1, 0xffff, v0
	v_or_b32_e32 v2, 0x10000, v0
	s_delay_alu instid0(VALU_DEP_2) | instskip(NEXT) | instid1(VALU_DEP_1)
	v_cmp_eq_u32_e64 s1, 0, v1
	v_cndmask_b32_e64 v12, v2, v0, s1
; %bb.380:                              ;   in Loop: Header=BB462_8 Depth=1
	s_or_b32 exec_lo, exec_lo, s2
	v_mov_b32_e32 v1, 0
	s_mov_b32 s2, exec_lo
	v_cmpx_lt_u64_e64 s[8:9], v[30:31]
	s_cbranch_execz .LBB462_388
; %bb.381:                              ;   in Loop: Header=BB462_8 Depth=1
	v_lshrrev_b32_e32 v0, 24, v31
	v_bfrev_b32_e32 v1, 1
	s_mov_b32 s18, exec_lo
	s_delay_alu instid0(VALU_DEP_2)
	v_cmpx_ne_u32_e32 0x80, v0
	s_cbranch_execz .LBB462_387
; %bb.382:                              ;   in Loop: Header=BB462_8 Depth=1
	v_bfe_u32 v2, v31, 24, 7
	v_mov_b32_e32 v1, 0x7f800001
	s_mov_b32 s19, exec_lo
	s_delay_alu instid0(VALU_DEP_2)
	v_cmpx_ne_u32_e32 0x7f, v2
	s_cbranch_execz .LBB462_386
; %bb.383:                              ;   in Loop: Header=BB462_8 Depth=1
	v_and_b32_e32 v18, 7, v0
	v_lshrrev_b32_e32 v1, 3, v2
	v_mov_b32_e32 v31, v19
	s_mov_b32 s20, exec_lo
	s_delay_alu instid0(VALU_DEP_3)
	v_mov_b32_e32 v30, v18
	v_cmpx_gt_u32_e32 8, v2
; %bb.384:                              ;   in Loop: Header=BB462_8 Depth=1
	v_clz_i32_u32_e32 v1, v18
	s_delay_alu instid0(VALU_DEP_1) | instskip(NEXT) | instid1(VALU_DEP_1)
	v_min_u32_e32 v1, 32, v1
	v_subrev_nc_u32_e32 v2, 28, v1
	v_sub_nc_u32_e32 v1, 29, v1
	s_delay_alu instid0(VALU_DEP_2) | instskip(NEXT) | instid1(VALU_DEP_1)
	v_lshlrev_b64 v[2:3], v2, v[18:19]
	v_and_b32_e32 v30, 7, v2
; %bb.385:                              ;   in Loop: Header=BB462_8 Depth=1
	s_or_b32 exec_lo, exec_lo, s20
	v_lshlrev_b32_e32 v0, 24, v0
	s_delay_alu instid0(VALU_DEP_2) | instskip(SKIP_1) | instid1(VALU_DEP_3)
	v_lshlrev_b32_e32 v2, 20, v30
	v_lshl_add_u32 v1, v1, 23, 0x3c000000
	v_and_b32_e32 v0, 0x80000000, v0
	s_delay_alu instid0(VALU_DEP_1)
	v_or3_b32 v1, v2, v0, v1
.LBB462_386:                            ;   in Loop: Header=BB462_8 Depth=1
	s_or_b32 exec_lo, exec_lo, s19
.LBB462_387:                            ;   in Loop: Header=BB462_8 Depth=1
	s_delay_alu instid0(SALU_CYCLE_1)
	s_or_b32 exec_lo, exec_lo, s18
.LBB462_388:                            ;   in Loop: Header=BB462_8 Depth=1
	s_delay_alu instid0(SALU_CYCLE_1) | instskip(NEXT) | instid1(VALU_DEP_1)
	s_or_b32 exec_lo, exec_lo, s2
	v_mul_f32_e32 v0, v152, v1
                                        ; implicit-def: $vgpr11
	s_delay_alu instid0(VALU_DEP_1) | instskip(NEXT) | instid1(VALU_DEP_1)
	v_and_b32_e32 v1, 0x7f800000, v0
	v_cmp_ne_u32_e64 s1, 0x7f800000, v1
	s_delay_alu instid0(VALU_DEP_1) | instskip(NEXT) | instid1(SALU_CYCLE_1)
	s_and_saveexec_b32 s2, s1
	s_xor_b32 s1, exec_lo, s2
; %bb.389:                              ;   in Loop: Header=BB462_8 Depth=1
	v_bfe_u32 v1, v0, 16, 1
	s_delay_alu instid0(VALU_DEP_1)
	v_add3_u32 v11, v0, v1, 0x7fff
                                        ; implicit-def: $vgpr0
; %bb.390:                              ;   in Loop: Header=BB462_8 Depth=1
	s_and_not1_saveexec_b32 s2, s1
; %bb.391:                              ;   in Loop: Header=BB462_8 Depth=1
	v_and_b32_e32 v1, 0xffff, v0
	v_or_b32_e32 v2, 0x10000, v0
	s_delay_alu instid0(VALU_DEP_2) | instskip(NEXT) | instid1(VALU_DEP_1)
	v_cmp_eq_u32_e64 s1, 0, v1
	v_cndmask_b32_e64 v11, v2, v0, s1
; %bb.392:                              ;   in Loop: Header=BB462_8 Depth=1
	s_or_b32 exec_lo, exec_lo, s2
	flat_load_b64 v[30:31], v[28:29] offset:1024
	s_mov_b32 s2, exec_lo
	s_waitcnt vmcnt(0) lgkmcnt(0)
	v_dual_mov_b32 v0, 0 :: v_dual_and_b32 v1, 0xff, v30
	s_delay_alu instid0(VALU_DEP_1)
	v_cmpx_ne_u16_e32 0, v1
	s_cbranch_execz .LBB462_400
; %bb.393:                              ;   in Loop: Header=BB462_8 Depth=1
	v_bfrev_b32_e32 v0, 1
	s_mov_b32 s18, exec_lo
	v_cmpx_ne_u16_e32 0x80, v1
	s_cbranch_execz .LBB462_399
; %bb.394:                              ;   in Loop: Header=BB462_8 Depth=1
	v_and_b32_e32 v1, 0x7f, v30
	v_mov_b32_e32 v0, 0x7f800001
	s_mov_b32 s19, exec_lo
	s_delay_alu instid0(VALU_DEP_2)
	v_cmpx_ne_u32_e32 0x7f, v1
	s_cbranch_execz .LBB462_398
; %bb.395:                              ;   in Loop: Header=BB462_8 Depth=1
	v_lshrrev_b32_e32 v0, 3, v1
	v_dual_mov_b32 v33, v31 :: v_dual_mov_b32 v32, v30
	s_mov_b32 s20, exec_lo
	v_cmpx_gt_u32_e32 8, v1
; %bb.396:                              ;   in Loop: Header=BB462_8 Depth=1
	v_and_b32_e32 v0, 7, v30
	s_delay_alu instid0(VALU_DEP_1) | instskip(NEXT) | instid1(VALU_DEP_1)
	v_clz_i32_u32_e32 v0, v0
	v_min_u32_e32 v0, 32, v0
	s_delay_alu instid0(VALU_DEP_1) | instskip(SKIP_1) | instid1(VALU_DEP_2)
	v_subrev_nc_u32_e32 v1, 28, v0
	v_sub_nc_u32_e32 v0, 29, v0
	v_lshlrev_b64 v[32:33], v1, v[30:31]
; %bb.397:                              ;   in Loop: Header=BB462_8 Depth=1
	s_or_b32 exec_lo, exec_lo, s20
	s_delay_alu instid0(VALU_DEP_1) | instskip(SKIP_2) | instid1(VALU_DEP_3)
	v_lshlrev_b32_e32 v1, 20, v32
	v_lshlrev_b32_e32 v2, 24, v30
	v_lshl_add_u32 v0, v0, 23, 0x3c000000
	v_and_b32_e32 v1, 0x700000, v1
	s_delay_alu instid0(VALU_DEP_3) | instskip(NEXT) | instid1(VALU_DEP_1)
	v_and_b32_e32 v2, 0x80000000, v2
	v_or3_b32 v0, v1, v2, v0
.LBB462_398:                            ;   in Loop: Header=BB462_8 Depth=1
	s_or_b32 exec_lo, exec_lo, s19
.LBB462_399:                            ;   in Loop: Header=BB462_8 Depth=1
	s_delay_alu instid0(SALU_CYCLE_1)
	s_or_b32 exec_lo, exec_lo, s18
.LBB462_400:                            ;   in Loop: Header=BB462_8 Depth=1
	s_delay_alu instid0(SALU_CYCLE_1) | instskip(NEXT) | instid1(VALU_DEP_1)
	s_or_b32 exec_lo, exec_lo, s2
	v_mul_f32_e32 v0, v152, v0
                                        ; implicit-def: $vgpr10
	s_delay_alu instid0(VALU_DEP_1) | instskip(NEXT) | instid1(VALU_DEP_1)
	v_and_b32_e32 v1, 0x7f800000, v0
	v_cmp_ne_u32_e64 s1, 0x7f800000, v1
	s_delay_alu instid0(VALU_DEP_1) | instskip(NEXT) | instid1(SALU_CYCLE_1)
	s_and_saveexec_b32 s2, s1
	s_xor_b32 s1, exec_lo, s2
; %bb.401:                              ;   in Loop: Header=BB462_8 Depth=1
	v_bfe_u32 v1, v0, 16, 1
	s_delay_alu instid0(VALU_DEP_1)
	v_add3_u32 v10, v0, v1, 0x7fff
                                        ; implicit-def: $vgpr0
; %bb.402:                              ;   in Loop: Header=BB462_8 Depth=1
	s_and_not1_saveexec_b32 s2, s1
; %bb.403:                              ;   in Loop: Header=BB462_8 Depth=1
	v_and_b32_e32 v1, 0xffff, v0
	v_or_b32_e32 v2, 0x10000, v0
	s_delay_alu instid0(VALU_DEP_2) | instskip(NEXT) | instid1(VALU_DEP_1)
	v_cmp_eq_u32_e64 s1, 0, v1
	v_cndmask_b32_e64 v10, v2, v0, s1
; %bb.404:                              ;   in Loop: Header=BB462_8 Depth=1
	s_or_b32 exec_lo, exec_lo, s2
	v_lshrrev_b16 v1, 8, v30
	v_mov_b32_e32 v0, 0
	s_mov_b32 s2, exec_lo
	s_delay_alu instid0(VALU_DEP_2)
	v_cmpx_ne_u16_e32 0, v1
	s_cbranch_execz .LBB462_412
; %bb.405:                              ;   in Loop: Header=BB462_8 Depth=1
	v_bfrev_b32_e32 v0, 1
	s_mov_b32 s18, exec_lo
	v_cmpx_ne_u16_e32 0x80, v1
	s_cbranch_execz .LBB462_411
; %bb.406:                              ;   in Loop: Header=BB462_8 Depth=1
	v_and_b32_e32 v2, 0xffff, v1
	v_mov_b32_e32 v0, 0x7f800001
	s_mov_b32 s19, exec_lo
	s_delay_alu instid0(VALU_DEP_2) | instskip(NEXT) | instid1(VALU_DEP_1)
	v_and_b32_e32 v1, 0x7f, v2
	v_cmpx_ne_u32_e32 0x7f, v1
	s_cbranch_execz .LBB462_410
; %bb.407:                              ;   in Loop: Header=BB462_8 Depth=1
	v_and_b32_e32 v18, 7, v2
	v_lshrrev_b32_e32 v0, 3, v1
	v_mov_b32_e32 v33, v19
	s_mov_b32 s20, exec_lo
	s_delay_alu instid0(VALU_DEP_3)
	v_mov_b32_e32 v32, v18
	v_cmpx_gt_u32_e32 8, v1
; %bb.408:                              ;   in Loop: Header=BB462_8 Depth=1
	v_clz_i32_u32_e32 v0, v18
	s_delay_alu instid0(VALU_DEP_1) | instskip(NEXT) | instid1(VALU_DEP_1)
	v_min_u32_e32 v0, 32, v0
	v_subrev_nc_u32_e32 v1, 28, v0
	v_sub_nc_u32_e32 v0, 29, v0
	s_delay_alu instid0(VALU_DEP_2) | instskip(NEXT) | instid1(VALU_DEP_1)
	v_lshlrev_b64 v[1:2], v1, v[18:19]
	v_and_b32_e32 v32, 7, v1
; %bb.409:                              ;   in Loop: Header=BB462_8 Depth=1
	s_or_b32 exec_lo, exec_lo, s20
	v_lshlrev_b32_e32 v1, 16, v30
	s_delay_alu instid0(VALU_DEP_2) | instskip(SKIP_1) | instid1(VALU_DEP_3)
	v_lshlrev_b32_e32 v2, 20, v32
	v_lshl_add_u32 v0, v0, 23, 0x3c000000
	v_and_b32_e32 v1, 0x80000000, v1
	s_delay_alu instid0(VALU_DEP_1)
	v_or3_b32 v0, v2, v1, v0
.LBB462_410:                            ;   in Loop: Header=BB462_8 Depth=1
	s_or_b32 exec_lo, exec_lo, s19
.LBB462_411:                            ;   in Loop: Header=BB462_8 Depth=1
	s_delay_alu instid0(SALU_CYCLE_1)
	s_or_b32 exec_lo, exec_lo, s18
.LBB462_412:                            ;   in Loop: Header=BB462_8 Depth=1
	s_delay_alu instid0(SALU_CYCLE_1) | instskip(NEXT) | instid1(VALU_DEP_1)
	s_or_b32 exec_lo, exec_lo, s2
	v_mul_f32_e32 v0, v152, v0
                                        ; implicit-def: $vgpr6
	s_delay_alu instid0(VALU_DEP_1) | instskip(NEXT) | instid1(VALU_DEP_1)
	v_and_b32_e32 v1, 0x7f800000, v0
	v_cmp_ne_u32_e64 s1, 0x7f800000, v1
	s_delay_alu instid0(VALU_DEP_1) | instskip(NEXT) | instid1(SALU_CYCLE_1)
	s_and_saveexec_b32 s2, s1
	s_xor_b32 s1, exec_lo, s2
; %bb.413:                              ;   in Loop: Header=BB462_8 Depth=1
	v_bfe_u32 v1, v0, 16, 1
	s_delay_alu instid0(VALU_DEP_1)
	v_add3_u32 v6, v0, v1, 0x7fff
                                        ; implicit-def: $vgpr0
; %bb.414:                              ;   in Loop: Header=BB462_8 Depth=1
	s_and_not1_saveexec_b32 s2, s1
; %bb.415:                              ;   in Loop: Header=BB462_8 Depth=1
	v_and_b32_e32 v1, 0xffff, v0
	v_or_b32_e32 v2, 0x10000, v0
	s_delay_alu instid0(VALU_DEP_2) | instskip(NEXT) | instid1(VALU_DEP_1)
	v_cmp_eq_u32_e64 s1, 0, v1
	v_cndmask_b32_e64 v6, v2, v0, s1
; %bb.416:                              ;   in Loop: Header=BB462_8 Depth=1
	s_or_b32 exec_lo, exec_lo, s2
	v_lshrrev_b32_e32 v0, 16, v30
	s_mov_b32 s2, exec_lo
	s_delay_alu instid0(VALU_DEP_1) | instskip(NEXT) | instid1(VALU_DEP_1)
	v_dual_mov_b32 v1, 0 :: v_dual_and_b32 v2, 0xff, v0
	v_cmpx_ne_u16_e32 0, v2
	s_cbranch_execz .LBB462_424
; %bb.417:                              ;   in Loop: Header=BB462_8 Depth=1
	v_bfrev_b32_e32 v1, 1
	s_mov_b32 s18, exec_lo
	v_cmpx_ne_u16_e32 0x80, v2
	s_cbranch_execz .LBB462_423
; %bb.418:                              ;   in Loop: Header=BB462_8 Depth=1
	v_bfe_u32 v2, v30, 16, 7
	v_mov_b32_e32 v1, 0x7f800001
	s_mov_b32 s19, exec_lo
	s_delay_alu instid0(VALU_DEP_2)
	v_cmpx_ne_u32_e32 0x7f, v2
	s_cbranch_execz .LBB462_422
; %bb.419:                              ;   in Loop: Header=BB462_8 Depth=1
	v_and_b32_e32 v18, 7, v0
	v_lshrrev_b32_e32 v1, 3, v2
	v_mov_b32_e32 v33, v19
	s_mov_b32 s20, exec_lo
	s_delay_alu instid0(VALU_DEP_3)
	v_mov_b32_e32 v32, v18
	v_cmpx_gt_u32_e32 8, v2
; %bb.420:                              ;   in Loop: Header=BB462_8 Depth=1
	v_clz_i32_u32_e32 v1, v18
	s_delay_alu instid0(VALU_DEP_1) | instskip(NEXT) | instid1(VALU_DEP_1)
	v_min_u32_e32 v1, 32, v1
	v_subrev_nc_u32_e32 v2, 28, v1
	v_sub_nc_u32_e32 v1, 29, v1
	s_delay_alu instid0(VALU_DEP_2) | instskip(NEXT) | instid1(VALU_DEP_1)
	v_lshlrev_b64 v[2:3], v2, v[18:19]
	v_and_b32_e32 v32, 7, v2
; %bb.421:                              ;   in Loop: Header=BB462_8 Depth=1
	s_or_b32 exec_lo, exec_lo, s20
	v_lshlrev_b32_e32 v0, 24, v0
	s_delay_alu instid0(VALU_DEP_2) | instskip(SKIP_1) | instid1(VALU_DEP_3)
	v_lshlrev_b32_e32 v2, 20, v32
	v_lshl_add_u32 v1, v1, 23, 0x3c000000
	v_and_b32_e32 v0, 0x80000000, v0
	s_delay_alu instid0(VALU_DEP_1)
	v_or3_b32 v1, v2, v0, v1
.LBB462_422:                            ;   in Loop: Header=BB462_8 Depth=1
	s_or_b32 exec_lo, exec_lo, s19
.LBB462_423:                            ;   in Loop: Header=BB462_8 Depth=1
	s_delay_alu instid0(SALU_CYCLE_1)
	s_or_b32 exec_lo, exec_lo, s18
.LBB462_424:                            ;   in Loop: Header=BB462_8 Depth=1
	s_delay_alu instid0(SALU_CYCLE_1) | instskip(NEXT) | instid1(VALU_DEP_1)
	s_or_b32 exec_lo, exec_lo, s2
	v_mul_f32_e32 v0, v152, v1
                                        ; implicit-def: $vgpr7
	s_delay_alu instid0(VALU_DEP_1) | instskip(NEXT) | instid1(VALU_DEP_1)
	v_and_b32_e32 v1, 0x7f800000, v0
	v_cmp_ne_u32_e64 s1, 0x7f800000, v1
	s_delay_alu instid0(VALU_DEP_1) | instskip(NEXT) | instid1(SALU_CYCLE_1)
	s_and_saveexec_b32 s2, s1
	s_xor_b32 s1, exec_lo, s2
; %bb.425:                              ;   in Loop: Header=BB462_8 Depth=1
	v_bfe_u32 v1, v0, 16, 1
	s_delay_alu instid0(VALU_DEP_1)
	v_add3_u32 v7, v0, v1, 0x7fff
                                        ; implicit-def: $vgpr0
; %bb.426:                              ;   in Loop: Header=BB462_8 Depth=1
	s_and_not1_saveexec_b32 s2, s1
; %bb.427:                              ;   in Loop: Header=BB462_8 Depth=1
	v_and_b32_e32 v1, 0xffff, v0
	v_or_b32_e32 v2, 0x10000, v0
	s_delay_alu instid0(VALU_DEP_2) | instskip(NEXT) | instid1(VALU_DEP_1)
	v_cmp_eq_u32_e64 s1, 0, v1
	v_cndmask_b32_e64 v7, v2, v0, s1
; %bb.428:                              ;   in Loop: Header=BB462_8 Depth=1
	s_or_b32 exec_lo, exec_lo, s2
	v_mov_b32_e32 v1, 0
	s_mov_b32 s2, exec_lo
	v_cmpx_lt_u32_e32 0xffffff, v30
	s_cbranch_execz .LBB462_436
; %bb.429:                              ;   in Loop: Header=BB462_8 Depth=1
	v_lshrrev_b32_e32 v0, 24, v30
	v_bfrev_b32_e32 v1, 1
	s_mov_b32 s18, exec_lo
	s_delay_alu instid0(VALU_DEP_2)
	v_cmpx_ne_u32_e32 0x80, v0
	s_cbranch_execz .LBB462_435
; %bb.430:                              ;   in Loop: Header=BB462_8 Depth=1
	v_bfe_u32 v2, v30, 24, 7
	v_mov_b32_e32 v1, 0x7f800001
	s_mov_b32 s19, exec_lo
	s_delay_alu instid0(VALU_DEP_2)
	v_cmpx_ne_u32_e32 0x7f, v2
	s_cbranch_execz .LBB462_434
; %bb.431:                              ;   in Loop: Header=BB462_8 Depth=1
	v_and_b32_e32 v18, 7, v0
	v_lshrrev_b32_e32 v1, 3, v2
	v_mov_b32_e32 v33, v19
	s_mov_b32 s20, exec_lo
	s_delay_alu instid0(VALU_DEP_3)
	v_mov_b32_e32 v32, v18
	v_cmpx_gt_u32_e32 8, v2
; %bb.432:                              ;   in Loop: Header=BB462_8 Depth=1
	v_clz_i32_u32_e32 v1, v18
	s_delay_alu instid0(VALU_DEP_1) | instskip(NEXT) | instid1(VALU_DEP_1)
	v_min_u32_e32 v1, 32, v1
	v_subrev_nc_u32_e32 v2, 28, v1
	v_sub_nc_u32_e32 v1, 29, v1
	s_delay_alu instid0(VALU_DEP_2) | instskip(NEXT) | instid1(VALU_DEP_1)
	v_lshlrev_b64 v[2:3], v2, v[18:19]
	v_and_b32_e32 v32, 7, v2
; %bb.433:                              ;   in Loop: Header=BB462_8 Depth=1
	s_or_b32 exec_lo, exec_lo, s20
	v_lshlrev_b32_e32 v0, 24, v0
	s_delay_alu instid0(VALU_DEP_2) | instskip(SKIP_1) | instid1(VALU_DEP_3)
	v_lshlrev_b32_e32 v2, 20, v32
	v_lshl_add_u32 v1, v1, 23, 0x3c000000
	v_and_b32_e32 v0, 0x80000000, v0
	s_delay_alu instid0(VALU_DEP_1)
	v_or3_b32 v1, v2, v0, v1
.LBB462_434:                            ;   in Loop: Header=BB462_8 Depth=1
	s_or_b32 exec_lo, exec_lo, s19
.LBB462_435:                            ;   in Loop: Header=BB462_8 Depth=1
	s_delay_alu instid0(SALU_CYCLE_1)
	s_or_b32 exec_lo, exec_lo, s18
.LBB462_436:                            ;   in Loop: Header=BB462_8 Depth=1
	s_delay_alu instid0(SALU_CYCLE_1) | instskip(NEXT) | instid1(VALU_DEP_1)
	s_or_b32 exec_lo, exec_lo, s2
	v_mul_f32_e32 v0, v152, v1
                                        ; implicit-def: $vgpr2
	s_delay_alu instid0(VALU_DEP_1) | instskip(NEXT) | instid1(VALU_DEP_1)
	v_and_b32_e32 v1, 0x7f800000, v0
	v_cmp_ne_u32_e64 s1, 0x7f800000, v1
	s_delay_alu instid0(VALU_DEP_1) | instskip(NEXT) | instid1(SALU_CYCLE_1)
	s_and_saveexec_b32 s2, s1
	s_xor_b32 s1, exec_lo, s2
; %bb.437:                              ;   in Loop: Header=BB462_8 Depth=1
	v_bfe_u32 v1, v0, 16, 1
	s_delay_alu instid0(VALU_DEP_1)
	v_add3_u32 v2, v0, v1, 0x7fff
                                        ; implicit-def: $vgpr0
; %bb.438:                              ;   in Loop: Header=BB462_8 Depth=1
	s_and_not1_saveexec_b32 s2, s1
; %bb.439:                              ;   in Loop: Header=BB462_8 Depth=1
	v_and_b32_e32 v1, 0xffff, v0
	v_or_b32_e32 v2, 0x10000, v0
	s_delay_alu instid0(VALU_DEP_2) | instskip(NEXT) | instid1(VALU_DEP_1)
	v_cmp_eq_u32_e64 s1, 0, v1
	v_cndmask_b32_e64 v2, v2, v0, s1
; %bb.440:                              ;   in Loop: Header=BB462_8 Depth=1
	s_or_b32 exec_lo, exec_lo, s2
	v_dual_mov_b32 v18, v31 :: v_dual_and_b32 v1, 0xff, v31
	v_mov_b32_e32 v0, 0
	s_mov_b32 s2, exec_lo
	s_delay_alu instid0(VALU_DEP_2)
	v_cmpx_ne_u16_e32 0, v1
	s_cbranch_execz .LBB462_448
; %bb.441:                              ;   in Loop: Header=BB462_8 Depth=1
	v_bfrev_b32_e32 v0, 1
	s_mov_b32 s18, exec_lo
	v_cmpx_ne_u16_e32 0x80, v1
	s_cbranch_execz .LBB462_447
; %bb.442:                              ;   in Loop: Header=BB462_8 Depth=1
	v_and_b32_e32 v1, 0x7f, v31
	v_mov_b32_e32 v0, 0x7f800001
	s_mov_b32 s19, exec_lo
	s_delay_alu instid0(VALU_DEP_2)
	v_cmpx_ne_u32_e32 0x7f, v1
	s_cbranch_execz .LBB462_446
; %bb.443:                              ;   in Loop: Header=BB462_8 Depth=1
	v_lshrrev_b32_e32 v0, 3, v1
	v_dual_mov_b32 v33, v19 :: v_dual_mov_b32 v32, v18
	s_mov_b32 s20, exec_lo
	v_cmpx_gt_u32_e32 8, v1
; %bb.444:                              ;   in Loop: Header=BB462_8 Depth=1
	v_and_b32_e32 v0, 7, v31
	s_delay_alu instid0(VALU_DEP_1) | instskip(NEXT) | instid1(VALU_DEP_1)
	v_clz_i32_u32_e32 v0, v0
	v_min_u32_e32 v0, 32, v0
	s_delay_alu instid0(VALU_DEP_1) | instskip(SKIP_1) | instid1(VALU_DEP_2)
	v_subrev_nc_u32_e32 v1, 28, v0
	v_sub_nc_u32_e32 v0, 29, v0
	v_lshlrev_b64 v[32:33], v1, v[18:19]
; %bb.445:                              ;   in Loop: Header=BB462_8 Depth=1
	s_or_b32 exec_lo, exec_lo, s20
	s_delay_alu instid0(VALU_DEP_1) | instskip(SKIP_2) | instid1(VALU_DEP_3)
	v_lshlrev_b32_e32 v1, 20, v32
	v_lshlrev_b32_e32 v3, 24, v18
	v_lshl_add_u32 v0, v0, 23, 0x3c000000
	v_and_b32_e32 v1, 0x700000, v1
	s_delay_alu instid0(VALU_DEP_3) | instskip(NEXT) | instid1(VALU_DEP_1)
	v_and_b32_e32 v3, 0x80000000, v3
	v_or3_b32 v0, v1, v3, v0
.LBB462_446:                            ;   in Loop: Header=BB462_8 Depth=1
	s_or_b32 exec_lo, exec_lo, s19
.LBB462_447:                            ;   in Loop: Header=BB462_8 Depth=1
	s_delay_alu instid0(SALU_CYCLE_1)
	s_or_b32 exec_lo, exec_lo, s18
.LBB462_448:                            ;   in Loop: Header=BB462_8 Depth=1
	s_delay_alu instid0(SALU_CYCLE_1) | instskip(NEXT) | instid1(VALU_DEP_1)
	s_or_b32 exec_lo, exec_lo, s2
	v_mul_f32_e32 v0, v152, v0
                                        ; implicit-def: $vgpr3
	s_delay_alu instid0(VALU_DEP_1) | instskip(NEXT) | instid1(VALU_DEP_1)
	v_and_b32_e32 v1, 0x7f800000, v0
	v_cmp_ne_u32_e64 s1, 0x7f800000, v1
	s_delay_alu instid0(VALU_DEP_1) | instskip(NEXT) | instid1(SALU_CYCLE_1)
	s_and_saveexec_b32 s2, s1
	s_xor_b32 s1, exec_lo, s2
; %bb.449:                              ;   in Loop: Header=BB462_8 Depth=1
	v_bfe_u32 v1, v0, 16, 1
	s_delay_alu instid0(VALU_DEP_1)
	v_add3_u32 v3, v0, v1, 0x7fff
                                        ; implicit-def: $vgpr0
; %bb.450:                              ;   in Loop: Header=BB462_8 Depth=1
	s_and_not1_saveexec_b32 s2, s1
; %bb.451:                              ;   in Loop: Header=BB462_8 Depth=1
	v_and_b32_e32 v1, 0xffff, v0
	v_or_b32_e32 v3, 0x10000, v0
	s_delay_alu instid0(VALU_DEP_2) | instskip(NEXT) | instid1(VALU_DEP_1)
	v_cmp_eq_u32_e64 s1, 0, v1
	v_cndmask_b32_e64 v3, v3, v0, s1
; %bb.452:                              ;   in Loop: Header=BB462_8 Depth=1
	s_or_b32 exec_lo, exec_lo, s2
	v_lshrrev_b16 v1, 8, v18
	v_mov_b32_e32 v0, 0
	s_mov_b32 s2, exec_lo
	s_delay_alu instid0(VALU_DEP_2)
	v_cmpx_ne_u16_e32 0, v1
	s_cbranch_execz .LBB462_460
; %bb.453:                              ;   in Loop: Header=BB462_8 Depth=1
	v_bfrev_b32_e32 v0, 1
	s_mov_b32 s18, exec_lo
	v_cmpx_ne_u16_e32 0x80, v1
	s_cbranch_execz .LBB462_459
; %bb.454:                              ;   in Loop: Header=BB462_8 Depth=1
	v_and_b32_e32 v14, 0xffff, v1
	v_mov_b32_e32 v0, 0x7f800001
	s_mov_b32 s19, exec_lo
	s_delay_alu instid0(VALU_DEP_2) | instskip(NEXT) | instid1(VALU_DEP_1)
	v_and_b32_e32 v1, 0x7f, v14
	v_cmpx_ne_u32_e32 0x7f, v1
	s_cbranch_execz .LBB462_458
; %bb.455:                              ;   in Loop: Header=BB462_8 Depth=1
	v_dual_mov_b32 v33, v19 :: v_dual_and_b32 v32, 7, v14
	v_lshrrev_b32_e32 v0, 3, v1
	s_mov_b32 s20, exec_lo
	v_cmpx_gt_u32_e32 8, v1
; %bb.456:                              ;   in Loop: Header=BB462_8 Depth=1
	s_delay_alu instid0(VALU_DEP_3) | instskip(NEXT) | instid1(VALU_DEP_1)
	v_clz_i32_u32_e32 v0, v32
	v_min_u32_e32 v0, 32, v0
	s_delay_alu instid0(VALU_DEP_1) | instskip(SKIP_1) | instid1(VALU_DEP_2)
	v_subrev_nc_u32_e32 v1, 28, v0
	v_sub_nc_u32_e32 v0, 29, v0
	v_lshlrev_b64 v[14:15], v1, v[32:33]
	s_delay_alu instid0(VALU_DEP_1)
	v_and_b32_e32 v32, 7, v14
; %bb.457:                              ;   in Loop: Header=BB462_8 Depth=1
	s_or_b32 exec_lo, exec_lo, s20
	v_lshlrev_b32_e32 v1, 16, v18
	s_delay_alu instid0(VALU_DEP_2) | instskip(SKIP_1) | instid1(VALU_DEP_3)
	v_lshlrev_b32_e32 v14, 20, v32
	v_lshl_add_u32 v0, v0, 23, 0x3c000000
	v_and_b32_e32 v1, 0x80000000, v1
	s_delay_alu instid0(VALU_DEP_1)
	v_or3_b32 v0, v14, v1, v0
.LBB462_458:                            ;   in Loop: Header=BB462_8 Depth=1
	s_or_b32 exec_lo, exec_lo, s19
.LBB462_459:                            ;   in Loop: Header=BB462_8 Depth=1
	s_delay_alu instid0(SALU_CYCLE_1)
	s_or_b32 exec_lo, exec_lo, s18
.LBB462_460:                            ;   in Loop: Header=BB462_8 Depth=1
	s_delay_alu instid0(SALU_CYCLE_1) | instskip(NEXT) | instid1(VALU_DEP_1)
	s_or_b32 exec_lo, exec_lo, s2
	v_mul_f32_e32 v0, v152, v0
                                        ; implicit-def: $vgpr14
	s_delay_alu instid0(VALU_DEP_1) | instskip(NEXT) | instid1(VALU_DEP_1)
	v_and_b32_e32 v1, 0x7f800000, v0
	v_cmp_ne_u32_e64 s1, 0x7f800000, v1
	s_delay_alu instid0(VALU_DEP_1) | instskip(NEXT) | instid1(SALU_CYCLE_1)
	s_and_saveexec_b32 s2, s1
	s_xor_b32 s1, exec_lo, s2
; %bb.461:                              ;   in Loop: Header=BB462_8 Depth=1
	v_bfe_u32 v1, v0, 16, 1
	s_delay_alu instid0(VALU_DEP_1)
	v_add3_u32 v14, v0, v1, 0x7fff
                                        ; implicit-def: $vgpr0
; %bb.462:                              ;   in Loop: Header=BB462_8 Depth=1
	s_and_not1_saveexec_b32 s2, s1
; %bb.463:                              ;   in Loop: Header=BB462_8 Depth=1
	v_and_b32_e32 v1, 0xffff, v0
	v_or_b32_e32 v14, 0x10000, v0
	s_delay_alu instid0(VALU_DEP_2) | instskip(NEXT) | instid1(VALU_DEP_1)
	v_cmp_eq_u32_e64 s1, 0, v1
	v_cndmask_b32_e64 v14, v14, v0, s1
; %bb.464:                              ;   in Loop: Header=BB462_8 Depth=1
	s_or_b32 exec_lo, exec_lo, s2
	v_lshrrev_b32_e32 v0, 16, v31
	v_mov_b32_e32 v1, 0
	s_mov_b32 s2, exec_lo
	s_delay_alu instid0(VALU_DEP_2) | instskip(NEXT) | instid1(VALU_DEP_1)
	v_and_b32_e32 v15, 0xff, v0
	v_cmpx_ne_u16_e32 0, v15
	s_cbranch_execz .LBB462_472
; %bb.465:                              ;   in Loop: Header=BB462_8 Depth=1
	v_bfrev_b32_e32 v1, 1
	s_mov_b32 s18, exec_lo
	v_cmpx_ne_u16_e32 0x80, v15
	s_cbranch_execz .LBB462_471
; %bb.466:                              ;   in Loop: Header=BB462_8 Depth=1
	v_bfe_u32 v15, v31, 16, 7
	v_mov_b32_e32 v1, 0x7f800001
	s_mov_b32 s19, exec_lo
	s_delay_alu instid0(VALU_DEP_2)
	v_cmpx_ne_u32_e32 0x7f, v15
	s_cbranch_execz .LBB462_470
; %bb.467:                              ;   in Loop: Header=BB462_8 Depth=1
	v_and_b32_e32 v18, 7, v0
	v_lshrrev_b32_e32 v1, 3, v15
	v_mov_b32_e32 v33, v19
	s_mov_b32 s20, exec_lo
	s_delay_alu instid0(VALU_DEP_3)
	v_mov_b32_e32 v32, v18
	v_cmpx_gt_u32_e32 8, v15
; %bb.468:                              ;   in Loop: Header=BB462_8 Depth=1
	v_clz_i32_u32_e32 v1, v18
	s_delay_alu instid0(VALU_DEP_1) | instskip(NEXT) | instid1(VALU_DEP_1)
	v_min_u32_e32 v1, 32, v1
	v_subrev_nc_u32_e32 v15, 28, v1
	v_sub_nc_u32_e32 v1, 29, v1
	s_delay_alu instid0(VALU_DEP_2) | instskip(NEXT) | instid1(VALU_DEP_1)
	v_lshlrev_b64 v[26:27], v15, v[18:19]
	v_and_b32_e32 v32, 7, v26
; %bb.469:                              ;   in Loop: Header=BB462_8 Depth=1
	s_or_b32 exec_lo, exec_lo, s20
	v_lshlrev_b32_e32 v0, 24, v0
	s_delay_alu instid0(VALU_DEP_2) | instskip(SKIP_1) | instid1(VALU_DEP_3)
	v_lshlrev_b32_e32 v15, 20, v32
	v_lshl_add_u32 v1, v1, 23, 0x3c000000
	v_and_b32_e32 v0, 0x80000000, v0
	s_delay_alu instid0(VALU_DEP_1)
	v_or3_b32 v1, v15, v0, v1
.LBB462_470:                            ;   in Loop: Header=BB462_8 Depth=1
	s_or_b32 exec_lo, exec_lo, s19
.LBB462_471:                            ;   in Loop: Header=BB462_8 Depth=1
	s_delay_alu instid0(SALU_CYCLE_1)
	s_or_b32 exec_lo, exec_lo, s18
.LBB462_472:                            ;   in Loop: Header=BB462_8 Depth=1
	s_delay_alu instid0(SALU_CYCLE_1) | instskip(NEXT) | instid1(VALU_DEP_1)
	s_or_b32 exec_lo, exec_lo, s2
	v_mul_f32_e32 v0, v152, v1
                                        ; implicit-def: $vgpr15
	s_delay_alu instid0(VALU_DEP_1) | instskip(NEXT) | instid1(VALU_DEP_1)
	v_and_b32_e32 v1, 0x7f800000, v0
	v_cmp_ne_u32_e64 s1, 0x7f800000, v1
	s_delay_alu instid0(VALU_DEP_1) | instskip(NEXT) | instid1(SALU_CYCLE_1)
	s_and_saveexec_b32 s2, s1
	s_xor_b32 s1, exec_lo, s2
; %bb.473:                              ;   in Loop: Header=BB462_8 Depth=1
	v_bfe_u32 v1, v0, 16, 1
	s_delay_alu instid0(VALU_DEP_1)
	v_add3_u32 v15, v0, v1, 0x7fff
                                        ; implicit-def: $vgpr0
; %bb.474:                              ;   in Loop: Header=BB462_8 Depth=1
	s_and_not1_saveexec_b32 s2, s1
; %bb.475:                              ;   in Loop: Header=BB462_8 Depth=1
	v_and_b32_e32 v1, 0xffff, v0
	v_or_b32_e32 v15, 0x10000, v0
	s_delay_alu instid0(VALU_DEP_2) | instskip(NEXT) | instid1(VALU_DEP_1)
	v_cmp_eq_u32_e64 s1, 0, v1
	v_cndmask_b32_e64 v15, v15, v0, s1
; %bb.476:                              ;   in Loop: Header=BB462_8 Depth=1
	s_or_b32 exec_lo, exec_lo, s2
	v_mov_b32_e32 v1, 0
	s_mov_b32 s2, exec_lo
	v_cmpx_lt_u64_e64 s[8:9], v[30:31]
	s_cbranch_execz .LBB462_484
; %bb.477:                              ;   in Loop: Header=BB462_8 Depth=1
	v_lshrrev_b32_e32 v0, 24, v31
	v_bfrev_b32_e32 v1, 1
	s_mov_b32 s18, exec_lo
	s_delay_alu instid0(VALU_DEP_2)
	v_cmpx_ne_u32_e32 0x80, v0
	s_cbranch_execz .LBB462_483
; %bb.478:                              ;   in Loop: Header=BB462_8 Depth=1
	v_bfe_u32 v26, v31, 24, 7
	v_mov_b32_e32 v1, 0x7f800001
	s_mov_b32 s19, exec_lo
	s_delay_alu instid0(VALU_DEP_2)
	v_cmpx_ne_u32_e32 0x7f, v26
	s_cbranch_execz .LBB462_482
; %bb.479:                              ;   in Loop: Header=BB462_8 Depth=1
	v_and_b32_e32 v18, 7, v0
	v_lshrrev_b32_e32 v1, 3, v26
	v_mov_b32_e32 v31, v19
	s_mov_b32 s20, exec_lo
	s_delay_alu instid0(VALU_DEP_3)
	v_mov_b32_e32 v30, v18
	v_cmpx_gt_u32_e32 8, v26
; %bb.480:                              ;   in Loop: Header=BB462_8 Depth=1
	v_clz_i32_u32_e32 v1, v18
	s_delay_alu instid0(VALU_DEP_1) | instskip(NEXT) | instid1(VALU_DEP_1)
	v_min_u32_e32 v1, 32, v1
	v_subrev_nc_u32_e32 v26, 28, v1
	v_sub_nc_u32_e32 v1, 29, v1
	s_delay_alu instid0(VALU_DEP_2) | instskip(NEXT) | instid1(VALU_DEP_1)
	v_lshlrev_b64 v[26:27], v26, v[18:19]
	v_and_b32_e32 v30, 7, v26
; %bb.481:                              ;   in Loop: Header=BB462_8 Depth=1
	s_or_b32 exec_lo, exec_lo, s20
	v_lshlrev_b32_e32 v0, 24, v0
	s_delay_alu instid0(VALU_DEP_2) | instskip(SKIP_1) | instid1(VALU_DEP_3)
	v_lshlrev_b32_e32 v18, 20, v30
	v_lshl_add_u32 v1, v1, 23, 0x3c000000
	v_and_b32_e32 v0, 0x80000000, v0
	s_delay_alu instid0(VALU_DEP_1)
	v_or3_b32 v1, v18, v0, v1
.LBB462_482:                            ;   in Loop: Header=BB462_8 Depth=1
	s_or_b32 exec_lo, exec_lo, s19
.LBB462_483:                            ;   in Loop: Header=BB462_8 Depth=1
	s_delay_alu instid0(SALU_CYCLE_1)
	s_or_b32 exec_lo, exec_lo, s18
.LBB462_484:                            ;   in Loop: Header=BB462_8 Depth=1
	s_delay_alu instid0(SALU_CYCLE_1) | instskip(NEXT) | instid1(VALU_DEP_1)
	s_or_b32 exec_lo, exec_lo, s2
	v_mul_f32_e32 v0, v152, v1
                                        ; implicit-def: $vgpr52
	s_delay_alu instid0(VALU_DEP_1) | instskip(NEXT) | instid1(VALU_DEP_1)
	v_and_b32_e32 v1, 0x7f800000, v0
	v_cmp_ne_u32_e64 s1, 0x7f800000, v1
	s_delay_alu instid0(VALU_DEP_1) | instskip(NEXT) | instid1(SALU_CYCLE_1)
	s_and_saveexec_b32 s2, s1
	s_xor_b32 s1, exec_lo, s2
; %bb.485:                              ;   in Loop: Header=BB462_8 Depth=1
	v_bfe_u32 v1, v0, 16, 1
	s_delay_alu instid0(VALU_DEP_1)
	v_add3_u32 v52, v0, v1, 0x7fff
                                        ; implicit-def: $vgpr0
; %bb.486:                              ;   in Loop: Header=BB462_8 Depth=1
	s_and_not1_saveexec_b32 s2, s1
; %bb.487:                              ;   in Loop: Header=BB462_8 Depth=1
	v_and_b32_e32 v1, 0xffff, v0
	v_or_b32_e32 v18, 0x10000, v0
	s_delay_alu instid0(VALU_DEP_2) | instskip(NEXT) | instid1(VALU_DEP_1)
	v_cmp_eq_u32_e64 s1, 0, v1
	v_cndmask_b32_e64 v52, v18, v0, s1
; %bb.488:                              ;   in Loop: Header=BB462_8 Depth=1
	s_or_b32 exec_lo, exec_lo, s2
	flat_load_b64 v[30:31], v[28:29] offset:1032
	s_mov_b32 s2, exec_lo
	s_waitcnt vmcnt(0) lgkmcnt(0)
	v_dual_mov_b32 v0, 0 :: v_dual_and_b32 v1, 0xff, v30
	s_delay_alu instid0(VALU_DEP_1)
	v_cmpx_ne_u16_e32 0, v1
	s_cbranch_execz .LBB462_496
; %bb.489:                              ;   in Loop: Header=BB462_8 Depth=1
	v_bfrev_b32_e32 v0, 1
	s_mov_b32 s18, exec_lo
	v_cmpx_ne_u16_e32 0x80, v1
	s_cbranch_execz .LBB462_495
; %bb.490:                              ;   in Loop: Header=BB462_8 Depth=1
	v_and_b32_e32 v1, 0x7f, v30
	v_mov_b32_e32 v0, 0x7f800001
	s_mov_b32 s19, exec_lo
	s_delay_alu instid0(VALU_DEP_2)
	v_cmpx_ne_u32_e32 0x7f, v1
	s_cbranch_execz .LBB462_494
; %bb.491:                              ;   in Loop: Header=BB462_8 Depth=1
	v_lshrrev_b32_e32 v0, 3, v1
	v_dual_mov_b32 v33, v31 :: v_dual_mov_b32 v32, v30
	s_mov_b32 s20, exec_lo
	v_cmpx_gt_u32_e32 8, v1
; %bb.492:                              ;   in Loop: Header=BB462_8 Depth=1
	v_and_b32_e32 v0, 7, v30
	s_delay_alu instid0(VALU_DEP_1) | instskip(NEXT) | instid1(VALU_DEP_1)
	v_clz_i32_u32_e32 v0, v0
	v_min_u32_e32 v0, 32, v0
	s_delay_alu instid0(VALU_DEP_1) | instskip(SKIP_1) | instid1(VALU_DEP_2)
	v_subrev_nc_u32_e32 v1, 28, v0
	v_sub_nc_u32_e32 v0, 29, v0
	v_lshlrev_b64 v[32:33], v1, v[30:31]
; %bb.493:                              ;   in Loop: Header=BB462_8 Depth=1
	s_or_b32 exec_lo, exec_lo, s20
	s_delay_alu instid0(VALU_DEP_1) | instskip(SKIP_2) | instid1(VALU_DEP_3)
	v_lshlrev_b32_e32 v1, 20, v32
	v_lshlrev_b32_e32 v18, 24, v30
	v_lshl_add_u32 v0, v0, 23, 0x3c000000
	v_and_b32_e32 v1, 0x700000, v1
	s_delay_alu instid0(VALU_DEP_3) | instskip(NEXT) | instid1(VALU_DEP_1)
	v_and_b32_e32 v18, 0x80000000, v18
	v_or3_b32 v0, v1, v18, v0
.LBB462_494:                            ;   in Loop: Header=BB462_8 Depth=1
	s_or_b32 exec_lo, exec_lo, s19
.LBB462_495:                            ;   in Loop: Header=BB462_8 Depth=1
	s_delay_alu instid0(SALU_CYCLE_1)
	s_or_b32 exec_lo, exec_lo, s18
.LBB462_496:                            ;   in Loop: Header=BB462_8 Depth=1
	s_delay_alu instid0(SALU_CYCLE_1) | instskip(NEXT) | instid1(VALU_DEP_1)
	s_or_b32 exec_lo, exec_lo, s2
	v_mul_f32_e32 v0, v152, v0
                                        ; implicit-def: $vgpr34
	s_delay_alu instid0(VALU_DEP_1) | instskip(NEXT) | instid1(VALU_DEP_1)
	v_and_b32_e32 v1, 0x7f800000, v0
	v_cmp_ne_u32_e64 s1, 0x7f800000, v1
	s_delay_alu instid0(VALU_DEP_1) | instskip(NEXT) | instid1(SALU_CYCLE_1)
	s_and_saveexec_b32 s2, s1
	s_xor_b32 s1, exec_lo, s2
; %bb.497:                              ;   in Loop: Header=BB462_8 Depth=1
	v_bfe_u32 v1, v0, 16, 1
	s_delay_alu instid0(VALU_DEP_1)
	v_add3_u32 v34, v0, v1, 0x7fff
                                        ; implicit-def: $vgpr0
; %bb.498:                              ;   in Loop: Header=BB462_8 Depth=1
	s_and_not1_saveexec_b32 s2, s1
; %bb.499:                              ;   in Loop: Header=BB462_8 Depth=1
	v_and_b32_e32 v1, 0xffff, v0
	v_or_b32_e32 v18, 0x10000, v0
	s_delay_alu instid0(VALU_DEP_2) | instskip(NEXT) | instid1(VALU_DEP_1)
	v_cmp_eq_u32_e64 s1, 0, v1
	v_cndmask_b32_e64 v34, v18, v0, s1
; %bb.500:                              ;   in Loop: Header=BB462_8 Depth=1
	s_or_b32 exec_lo, exec_lo, s2
	v_lshrrev_b16 v1, 8, v30
	v_mov_b32_e32 v0, 0
	s_mov_b32 s2, exec_lo
	s_delay_alu instid0(VALU_DEP_2)
	v_cmpx_ne_u16_e32 0, v1
	s_cbranch_execz .LBB462_508
; %bb.501:                              ;   in Loop: Header=BB462_8 Depth=1
	v_bfrev_b32_e32 v0, 1
	s_mov_b32 s18, exec_lo
	v_cmpx_ne_u16_e32 0x80, v1
	s_cbranch_execz .LBB462_507
; %bb.502:                              ;   in Loop: Header=BB462_8 Depth=1
	v_and_b32_e32 v18, 0xffff, v1
	v_mov_b32_e32 v0, 0x7f800001
	s_mov_b32 s19, exec_lo
	s_delay_alu instid0(VALU_DEP_2) | instskip(NEXT) | instid1(VALU_DEP_1)
	v_and_b32_e32 v1, 0x7f, v18
	v_cmpx_ne_u32_e32 0x7f, v1
	s_cbranch_execz .LBB462_506
; %bb.503:                              ;   in Loop: Header=BB462_8 Depth=1
	v_and_b32_e32 v18, 7, v18
	v_lshrrev_b32_e32 v0, 3, v1
	v_mov_b32_e32 v33, v19
	s_mov_b32 s20, exec_lo
	s_delay_alu instid0(VALU_DEP_3)
	v_mov_b32_e32 v32, v18
	v_cmpx_gt_u32_e32 8, v1
; %bb.504:                              ;   in Loop: Header=BB462_8 Depth=1
	v_clz_i32_u32_e32 v0, v18
	s_delay_alu instid0(VALU_DEP_1) | instskip(NEXT) | instid1(VALU_DEP_1)
	v_min_u32_e32 v0, 32, v0
	v_subrev_nc_u32_e32 v1, 28, v0
	v_sub_nc_u32_e32 v0, 29, v0
	s_delay_alu instid0(VALU_DEP_2) | instskip(NEXT) | instid1(VALU_DEP_1)
	v_lshlrev_b64 v[26:27], v1, v[18:19]
	v_and_b32_e32 v32, 7, v26
; %bb.505:                              ;   in Loop: Header=BB462_8 Depth=1
	s_or_b32 exec_lo, exec_lo, s20
	v_lshlrev_b32_e32 v1, 16, v30
	s_delay_alu instid0(VALU_DEP_2) | instskip(SKIP_1) | instid1(VALU_DEP_3)
	v_lshlrev_b32_e32 v18, 20, v32
	v_lshl_add_u32 v0, v0, 23, 0x3c000000
	v_and_b32_e32 v1, 0x80000000, v1
	s_delay_alu instid0(VALU_DEP_1)
	v_or3_b32 v0, v18, v1, v0
.LBB462_506:                            ;   in Loop: Header=BB462_8 Depth=1
	s_or_b32 exec_lo, exec_lo, s19
.LBB462_507:                            ;   in Loop: Header=BB462_8 Depth=1
	s_delay_alu instid0(SALU_CYCLE_1)
	s_or_b32 exec_lo, exec_lo, s18
.LBB462_508:                            ;   in Loop: Header=BB462_8 Depth=1
	s_delay_alu instid0(SALU_CYCLE_1) | instskip(NEXT) | instid1(VALU_DEP_1)
	s_or_b32 exec_lo, exec_lo, s2
	v_mul_f32_e32 v0, v152, v0
                                        ; implicit-def: $vgpr48
	s_delay_alu instid0(VALU_DEP_1) | instskip(NEXT) | instid1(VALU_DEP_1)
	v_and_b32_e32 v1, 0x7f800000, v0
	v_cmp_ne_u32_e64 s1, 0x7f800000, v1
	s_delay_alu instid0(VALU_DEP_1) | instskip(NEXT) | instid1(SALU_CYCLE_1)
	s_and_saveexec_b32 s2, s1
	s_xor_b32 s1, exec_lo, s2
; %bb.509:                              ;   in Loop: Header=BB462_8 Depth=1
	v_bfe_u32 v1, v0, 16, 1
	s_delay_alu instid0(VALU_DEP_1)
	v_add3_u32 v48, v0, v1, 0x7fff
                                        ; implicit-def: $vgpr0
; %bb.510:                              ;   in Loop: Header=BB462_8 Depth=1
	s_and_not1_saveexec_b32 s2, s1
; %bb.511:                              ;   in Loop: Header=BB462_8 Depth=1
	v_and_b32_e32 v1, 0xffff, v0
	v_or_b32_e32 v18, 0x10000, v0
	s_delay_alu instid0(VALU_DEP_2) | instskip(NEXT) | instid1(VALU_DEP_1)
	v_cmp_eq_u32_e64 s1, 0, v1
	v_cndmask_b32_e64 v48, v18, v0, s1
; %bb.512:                              ;   in Loop: Header=BB462_8 Depth=1
	s_or_b32 exec_lo, exec_lo, s2
	v_lshrrev_b32_e32 v0, 16, v30
	s_mov_b32 s2, exec_lo
	s_delay_alu instid0(VALU_DEP_1) | instskip(NEXT) | instid1(VALU_DEP_1)
	v_dual_mov_b32 v1, 0 :: v_dual_and_b32 v18, 0xff, v0
	v_cmpx_ne_u16_e32 0, v18
	s_cbranch_execz .LBB462_520
; %bb.513:                              ;   in Loop: Header=BB462_8 Depth=1
	v_bfrev_b32_e32 v1, 1
	s_mov_b32 s18, exec_lo
	v_cmpx_ne_u16_e32 0x80, v18
	s_cbranch_execz .LBB462_519
; %bb.514:                              ;   in Loop: Header=BB462_8 Depth=1
	v_bfe_u32 v26, v30, 16, 7
	v_mov_b32_e32 v1, 0x7f800001
	s_mov_b32 s19, exec_lo
	s_delay_alu instid0(VALU_DEP_2)
	v_cmpx_ne_u32_e32 0x7f, v26
	s_cbranch_execz .LBB462_518
; %bb.515:                              ;   in Loop: Header=BB462_8 Depth=1
	v_and_b32_e32 v18, 7, v0
	v_lshrrev_b32_e32 v1, 3, v26
	v_mov_b32_e32 v33, v19
	s_mov_b32 s20, exec_lo
	s_delay_alu instid0(VALU_DEP_3)
	v_mov_b32_e32 v32, v18
	v_cmpx_gt_u32_e32 8, v26
; %bb.516:                              ;   in Loop: Header=BB462_8 Depth=1
	v_clz_i32_u32_e32 v1, v18
	s_delay_alu instid0(VALU_DEP_1) | instskip(NEXT) | instid1(VALU_DEP_1)
	v_min_u32_e32 v1, 32, v1
	v_subrev_nc_u32_e32 v26, 28, v1
	v_sub_nc_u32_e32 v1, 29, v1
	s_delay_alu instid0(VALU_DEP_2) | instskip(NEXT) | instid1(VALU_DEP_1)
	v_lshlrev_b64 v[26:27], v26, v[18:19]
	v_and_b32_e32 v32, 7, v26
; %bb.517:                              ;   in Loop: Header=BB462_8 Depth=1
	s_or_b32 exec_lo, exec_lo, s20
	v_lshlrev_b32_e32 v0, 24, v0
	s_delay_alu instid0(VALU_DEP_2) | instskip(SKIP_1) | instid1(VALU_DEP_3)
	v_lshlrev_b32_e32 v18, 20, v32
	v_lshl_add_u32 v1, v1, 23, 0x3c000000
	v_and_b32_e32 v0, 0x80000000, v0
	s_delay_alu instid0(VALU_DEP_1)
	v_or3_b32 v1, v18, v0, v1
.LBB462_518:                            ;   in Loop: Header=BB462_8 Depth=1
	s_or_b32 exec_lo, exec_lo, s19
.LBB462_519:                            ;   in Loop: Header=BB462_8 Depth=1
	s_delay_alu instid0(SALU_CYCLE_1)
	s_or_b32 exec_lo, exec_lo, s18
.LBB462_520:                            ;   in Loop: Header=BB462_8 Depth=1
	s_delay_alu instid0(SALU_CYCLE_1) | instskip(NEXT) | instid1(VALU_DEP_1)
	s_or_b32 exec_lo, exec_lo, s2
	v_mul_f32_e32 v0, v152, v1
	s_delay_alu instid0(VALU_DEP_1) | instskip(NEXT) | instid1(VALU_DEP_1)
	v_and_b32_e32 v1, 0x7f800000, v0
	v_cmp_ne_u32_e64 s1, 0x7f800000, v1
                                        ; implicit-def: $vgpr1
	s_delay_alu instid0(VALU_DEP_1) | instskip(NEXT) | instid1(SALU_CYCLE_1)
	s_and_saveexec_b32 s2, s1
	s_xor_b32 s1, exec_lo, s2
; %bb.521:                              ;   in Loop: Header=BB462_8 Depth=1
	v_bfe_u32 v1, v0, 16, 1
	s_delay_alu instid0(VALU_DEP_1)
	v_add3_u32 v1, v0, v1, 0x7fff
                                        ; implicit-def: $vgpr0
; %bb.522:                              ;   in Loop: Header=BB462_8 Depth=1
	s_and_not1_saveexec_b32 s2, s1
; %bb.523:                              ;   in Loop: Header=BB462_8 Depth=1
	v_and_b32_e32 v1, 0xffff, v0
	v_or_b32_e32 v18, 0x10000, v0
	s_delay_alu instid0(VALU_DEP_2) | instskip(NEXT) | instid1(VALU_DEP_1)
	v_cmp_eq_u32_e64 s1, 0, v1
	v_cndmask_b32_e64 v1, v18, v0, s1
; %bb.524:                              ;   in Loop: Header=BB462_8 Depth=1
	s_or_b32 exec_lo, exec_lo, s2
	v_mov_b32_e32 v18, 0
	s_mov_b32 s2, exec_lo
	v_cmpx_lt_u32_e32 0xffffff, v30
	s_cbranch_execz .LBB462_532
; %bb.525:                              ;   in Loop: Header=BB462_8 Depth=1
	v_lshrrev_b32_e32 v0, 24, v30
	v_bfrev_b32_e32 v18, 1
	s_mov_b32 s18, exec_lo
	s_delay_alu instid0(VALU_DEP_2)
	v_cmpx_ne_u32_e32 0x80, v0
	s_cbranch_execz .LBB462_531
; %bb.526:                              ;   in Loop: Header=BB462_8 Depth=1
	v_bfe_u32 v27, v30, 24, 7
	v_mov_b32_e32 v18, 0x7f800001
	s_mov_b32 s19, exec_lo
	s_delay_alu instid0(VALU_DEP_2)
	v_cmpx_ne_u32_e32 0x7f, v27
	s_cbranch_execz .LBB462_530
; %bb.527:                              ;   in Loop: Header=BB462_8 Depth=1
	v_and_b32_e32 v18, 7, v0
	v_lshrrev_b32_e32 v26, 3, v27
	v_mov_b32_e32 v33, v19
	s_mov_b32 s20, exec_lo
	s_delay_alu instid0(VALU_DEP_3)
	v_mov_b32_e32 v32, v18
	v_cmpx_gt_u32_e32 8, v27
; %bb.528:                              ;   in Loop: Header=BB462_8 Depth=1
	v_clz_i32_u32_e32 v26, v18
	s_delay_alu instid0(VALU_DEP_1) | instskip(NEXT) | instid1(VALU_DEP_1)
	v_min_u32_e32 v26, 32, v26
	v_subrev_nc_u32_e32 v27, 28, v26
	v_sub_nc_u32_e32 v26, 29, v26
	s_delay_alu instid0(VALU_DEP_2) | instskip(NEXT) | instid1(VALU_DEP_1)
	v_lshlrev_b64 v[32:33], v27, v[18:19]
	v_and_b32_e32 v32, 7, v32
; %bb.529:                              ;   in Loop: Header=BB462_8 Depth=1
	s_or_b32 exec_lo, exec_lo, s20
	v_lshlrev_b32_e32 v0, 24, v0
	s_delay_alu instid0(VALU_DEP_2) | instskip(SKIP_1) | instid1(VALU_DEP_3)
	v_lshlrev_b32_e32 v18, 20, v32
	v_lshl_add_u32 v26, v26, 23, 0x3c000000
	v_and_b32_e32 v0, 0x80000000, v0
	s_delay_alu instid0(VALU_DEP_1)
	v_or3_b32 v18, v18, v0, v26
.LBB462_530:                            ;   in Loop: Header=BB462_8 Depth=1
	s_or_b32 exec_lo, exec_lo, s19
.LBB462_531:                            ;   in Loop: Header=BB462_8 Depth=1
	s_delay_alu instid0(SALU_CYCLE_1)
	s_or_b32 exec_lo, exec_lo, s18
.LBB462_532:                            ;   in Loop: Header=BB462_8 Depth=1
	s_delay_alu instid0(SALU_CYCLE_1) | instskip(NEXT) | instid1(VALU_DEP_1)
	s_or_b32 exec_lo, exec_lo, s2
	v_mul_f32_e32 v18, v152, v18
	s_delay_alu instid0(VALU_DEP_1) | instskip(NEXT) | instid1(VALU_DEP_1)
	v_and_b32_e32 v0, 0x7f800000, v18
	v_cmp_ne_u32_e64 s1, 0x7f800000, v0
                                        ; implicit-def: $vgpr0
	s_delay_alu instid0(VALU_DEP_1) | instskip(NEXT) | instid1(SALU_CYCLE_1)
	s_and_saveexec_b32 s2, s1
	s_xor_b32 s1, exec_lo, s2
; %bb.533:                              ;   in Loop: Header=BB462_8 Depth=1
	v_bfe_u32 v0, v18, 16, 1
	s_delay_alu instid0(VALU_DEP_1)
	v_add3_u32 v0, v18, v0, 0x7fff
                                        ; implicit-def: $vgpr18
; %bb.534:                              ;   in Loop: Header=BB462_8 Depth=1
	s_and_not1_saveexec_b32 s2, s1
; %bb.535:                              ;   in Loop: Header=BB462_8 Depth=1
	v_and_b32_e32 v0, 0xffff, v18
	v_or_b32_e32 v26, 0x10000, v18
	s_delay_alu instid0(VALU_DEP_2) | instskip(NEXT) | instid1(VALU_DEP_1)
	v_cmp_eq_u32_e64 s1, 0, v0
	v_cndmask_b32_e64 v0, v26, v18, s1
; %bb.536:                              ;   in Loop: Header=BB462_8 Depth=1
	s_or_b32 exec_lo, exec_lo, s2
	v_dual_mov_b32 v18, v31 :: v_dual_and_b32 v27, 0xff, v31
	v_mov_b32_e32 v26, 0
	s_mov_b32 s2, exec_lo
	s_delay_alu instid0(VALU_DEP_2)
	v_cmpx_ne_u16_e32 0, v27
	s_cbranch_execz .LBB462_544
; %bb.537:                              ;   in Loop: Header=BB462_8 Depth=1
	v_bfrev_b32_e32 v26, 1
	s_mov_b32 s18, exec_lo
	v_cmpx_ne_u16_e32 0x80, v27
	s_cbranch_execz .LBB462_543
; %bb.538:                              ;   in Loop: Header=BB462_8 Depth=1
	v_and_b32_e32 v27, 0x7f, v31
	v_mov_b32_e32 v26, 0x7f800001
	s_mov_b32 s19, exec_lo
	s_delay_alu instid0(VALU_DEP_2)
	v_cmpx_ne_u32_e32 0x7f, v27
	s_cbranch_execz .LBB462_542
; %bb.539:                              ;   in Loop: Header=BB462_8 Depth=1
	v_lshrrev_b32_e32 v26, 3, v27
	v_dual_mov_b32 v33, v19 :: v_dual_mov_b32 v32, v18
	s_mov_b32 s20, exec_lo
	v_cmpx_gt_u32_e32 8, v27
; %bb.540:                              ;   in Loop: Header=BB462_8 Depth=1
	v_and_b32_e32 v26, 7, v31
	s_delay_alu instid0(VALU_DEP_1) | instskip(NEXT) | instid1(VALU_DEP_1)
	v_clz_i32_u32_e32 v26, v26
	v_min_u32_e32 v26, 32, v26
	s_delay_alu instid0(VALU_DEP_1) | instskip(SKIP_1) | instid1(VALU_DEP_2)
	v_subrev_nc_u32_e32 v27, 28, v26
	v_sub_nc_u32_e32 v26, 29, v26
	v_lshlrev_b64 v[32:33], v27, v[18:19]
; %bb.541:                              ;   in Loop: Header=BB462_8 Depth=1
	s_or_b32 exec_lo, exec_lo, s20
	s_delay_alu instid0(VALU_DEP_1) | instskip(SKIP_2) | instid1(VALU_DEP_3)
	v_lshlrev_b32_e32 v27, 20, v32
	v_lshlrev_b32_e32 v32, 24, v18
	v_lshl_add_u32 v26, v26, 23, 0x3c000000
	v_and_b32_e32 v27, 0x700000, v27
	s_delay_alu instid0(VALU_DEP_3) | instskip(NEXT) | instid1(VALU_DEP_1)
	v_and_b32_e32 v32, 0x80000000, v32
	v_or3_b32 v26, v27, v32, v26
.LBB462_542:                            ;   in Loop: Header=BB462_8 Depth=1
	s_or_b32 exec_lo, exec_lo, s19
.LBB462_543:                            ;   in Loop: Header=BB462_8 Depth=1
	s_delay_alu instid0(SALU_CYCLE_1)
	s_or_b32 exec_lo, exec_lo, s18
.LBB462_544:                            ;   in Loop: Header=BB462_8 Depth=1
	s_delay_alu instid0(SALU_CYCLE_1) | instskip(NEXT) | instid1(VALU_DEP_1)
	s_or_b32 exec_lo, exec_lo, s2
	v_mul_f32_e32 v26, v152, v26
	s_delay_alu instid0(VALU_DEP_1) | instskip(NEXT) | instid1(VALU_DEP_1)
	v_and_b32_e32 v27, 0x7f800000, v26
	v_cmp_ne_u32_e64 s1, 0x7f800000, v27
                                        ; implicit-def: $vgpr27
	s_delay_alu instid0(VALU_DEP_1) | instskip(NEXT) | instid1(SALU_CYCLE_1)
	s_and_saveexec_b32 s2, s1
	s_xor_b32 s1, exec_lo, s2
; %bb.545:                              ;   in Loop: Header=BB462_8 Depth=1
	v_bfe_u32 v27, v26, 16, 1
	s_delay_alu instid0(VALU_DEP_1)
	v_add3_u32 v27, v26, v27, 0x7fff
                                        ; implicit-def: $vgpr26
; %bb.546:                              ;   in Loop: Header=BB462_8 Depth=1
	s_and_not1_saveexec_b32 s2, s1
; %bb.547:                              ;   in Loop: Header=BB462_8 Depth=1
	v_and_b32_e32 v27, 0xffff, v26
	v_or_b32_e32 v32, 0x10000, v26
	s_delay_alu instid0(VALU_DEP_2) | instskip(NEXT) | instid1(VALU_DEP_1)
	v_cmp_eq_u32_e64 s1, 0, v27
	v_cndmask_b32_e64 v27, v32, v26, s1
; %bb.548:                              ;   in Loop: Header=BB462_8 Depth=1
	s_or_b32 exec_lo, exec_lo, s2
	v_lshrrev_b16 v32, 8, v18
	v_mov_b32_e32 v26, 0
	s_mov_b32 s2, exec_lo
	s_delay_alu instid0(VALU_DEP_2)
	v_cmpx_ne_u16_e32 0, v32
	s_cbranch_execz .LBB462_556
; %bb.549:                              ;   in Loop: Header=BB462_8 Depth=1
	v_bfrev_b32_e32 v26, 1
	s_mov_b32 s18, exec_lo
	v_cmpx_ne_u16_e32 0x80, v32
	s_cbranch_execz .LBB462_555
; %bb.550:                              ;   in Loop: Header=BB462_8 Depth=1
	v_and_b32_e32 v32, 0xffff, v32
	v_mov_b32_e32 v26, 0x7f800001
	s_mov_b32 s19, exec_lo
	s_delay_alu instid0(VALU_DEP_2) | instskip(NEXT) | instid1(VALU_DEP_1)
	v_and_b32_e32 v49, 0x7f, v32
	v_cmpx_ne_u32_e32 0x7f, v49
	s_cbranch_execz .LBB462_554
; %bb.551:                              ;   in Loop: Header=BB462_8 Depth=1
	v_dual_mov_b32 v33, v19 :: v_dual_and_b32 v32, 7, v32
	v_lshrrev_b32_e32 v26, 3, v49
	s_mov_b32 s20, exec_lo
	v_cmpx_gt_u32_e32 8, v49
; %bb.552:                              ;   in Loop: Header=BB462_8 Depth=1
	s_delay_alu instid0(VALU_DEP_3) | instskip(NEXT) | instid1(VALU_DEP_1)
	v_clz_i32_u32_e32 v26, v32
	v_min_u32_e32 v26, 32, v26
	s_delay_alu instid0(VALU_DEP_1) | instskip(SKIP_1) | instid1(VALU_DEP_2)
	v_subrev_nc_u32_e32 v49, 28, v26
	v_sub_nc_u32_e32 v26, 29, v26
	v_lshlrev_b64 v[32:33], v49, v[32:33]
	s_delay_alu instid0(VALU_DEP_1)
	v_and_b32_e32 v32, 7, v32
; %bb.553:                              ;   in Loop: Header=BB462_8 Depth=1
	s_or_b32 exec_lo, exec_lo, s20
	v_lshlrev_b32_e32 v18, 16, v18
	s_delay_alu instid0(VALU_DEP_2) | instskip(SKIP_1) | instid1(VALU_DEP_3)
	v_lshlrev_b32_e32 v32, 20, v32
	v_lshl_add_u32 v26, v26, 23, 0x3c000000
	v_and_b32_e32 v18, 0x80000000, v18
	s_delay_alu instid0(VALU_DEP_1)
	v_or3_b32 v26, v32, v18, v26
.LBB462_554:                            ;   in Loop: Header=BB462_8 Depth=1
	s_or_b32 exec_lo, exec_lo, s19
.LBB462_555:                            ;   in Loop: Header=BB462_8 Depth=1
	s_delay_alu instid0(SALU_CYCLE_1)
	s_or_b32 exec_lo, exec_lo, s18
.LBB462_556:                            ;   in Loop: Header=BB462_8 Depth=1
	s_delay_alu instid0(SALU_CYCLE_1) | instskip(NEXT) | instid1(VALU_DEP_1)
	s_or_b32 exec_lo, exec_lo, s2
	v_mul_f32_e32 v18, v152, v26
	s_delay_alu instid0(VALU_DEP_1) | instskip(NEXT) | instid1(VALU_DEP_1)
	v_and_b32_e32 v26, 0x7f800000, v18
	v_cmp_ne_u32_e64 s1, 0x7f800000, v26
                                        ; implicit-def: $vgpr26
	s_delay_alu instid0(VALU_DEP_1) | instskip(NEXT) | instid1(SALU_CYCLE_1)
	s_and_saveexec_b32 s2, s1
	s_xor_b32 s1, exec_lo, s2
; %bb.557:                              ;   in Loop: Header=BB462_8 Depth=1
	v_bfe_u32 v26, v18, 16, 1
	s_delay_alu instid0(VALU_DEP_1)
	v_add3_u32 v26, v18, v26, 0x7fff
                                        ; implicit-def: $vgpr18
; %bb.558:                              ;   in Loop: Header=BB462_8 Depth=1
	s_and_not1_saveexec_b32 s2, s1
; %bb.559:                              ;   in Loop: Header=BB462_8 Depth=1
	v_and_b32_e32 v26, 0xffff, v18
	v_or_b32_e32 v32, 0x10000, v18
	s_delay_alu instid0(VALU_DEP_2) | instskip(NEXT) | instid1(VALU_DEP_1)
	v_cmp_eq_u32_e64 s1, 0, v26
	v_cndmask_b32_e64 v26, v32, v18, s1
; %bb.560:                              ;   in Loop: Header=BB462_8 Depth=1
	s_or_b32 exec_lo, exec_lo, s2
	v_lshrrev_b32_e32 v49, 16, v31
	v_mov_b32_e32 v18, 0
	s_mov_b32 s2, exec_lo
	s_delay_alu instid0(VALU_DEP_2) | instskip(NEXT) | instid1(VALU_DEP_1)
	v_and_b32_e32 v32, 0xff, v49
	v_cmpx_ne_u16_e32 0, v32
	s_cbranch_execz .LBB462_568
; %bb.561:                              ;   in Loop: Header=BB462_8 Depth=1
	v_bfrev_b32_e32 v18, 1
	s_mov_b32 s18, exec_lo
	v_cmpx_ne_u16_e32 0x80, v32
	s_cbranch_execz .LBB462_567
; %bb.562:                              ;   in Loop: Header=BB462_8 Depth=1
	v_bfe_u32 v32, v31, 16, 7
	v_mov_b32_e32 v18, 0x7f800001
	s_mov_b32 s19, exec_lo
	s_delay_alu instid0(VALU_DEP_2)
	v_cmpx_ne_u32_e32 0x7f, v32
	s_cbranch_execz .LBB462_566
; %bb.563:                              ;   in Loop: Header=BB462_8 Depth=1
	v_and_b32_e32 v18, 7, v49
	v_lshrrev_b32_e32 v50, 3, v32
	v_cmp_gt_u32_e64 s1, 8, v32
	s_delay_alu instid0(VALU_DEP_3) | instskip(NEXT) | instid1(VALU_DEP_2)
	v_dual_mov_b32 v33, v19 :: v_dual_mov_b32 v32, v18
	s_and_saveexec_b32 s20, s1
; %bb.564:                              ;   in Loop: Header=BB462_8 Depth=1
	v_clz_i32_u32_e32 v32, v18
	s_delay_alu instid0(VALU_DEP_1) | instskip(NEXT) | instid1(VALU_DEP_1)
	v_min_u32_e32 v50, 32, v32
	v_subrev_nc_u32_e32 v32, 28, v50
	v_sub_nc_u32_e32 v50, 29, v50
	s_delay_alu instid0(VALU_DEP_2) | instskip(NEXT) | instid1(VALU_DEP_1)
	v_lshlrev_b64 v[32:33], v32, v[18:19]
	v_and_b32_e32 v32, 7, v32
; %bb.565:                              ;   in Loop: Header=BB462_8 Depth=1
	s_or_b32 exec_lo, exec_lo, s20
	v_lshlrev_b32_e32 v18, 24, v49
	s_delay_alu instid0(VALU_DEP_2) | instskip(SKIP_1) | instid1(VALU_DEP_3)
	v_lshlrev_b32_e32 v32, 20, v32
	v_lshl_add_u32 v33, v50, 23, 0x3c000000
	v_and_b32_e32 v18, 0x80000000, v18
	s_delay_alu instid0(VALU_DEP_1)
	v_or3_b32 v18, v32, v18, v33
.LBB462_566:                            ;   in Loop: Header=BB462_8 Depth=1
	s_or_b32 exec_lo, exec_lo, s19
.LBB462_567:                            ;   in Loop: Header=BB462_8 Depth=1
	s_delay_alu instid0(SALU_CYCLE_1)
	s_or_b32 exec_lo, exec_lo, s18
.LBB462_568:                            ;   in Loop: Header=BB462_8 Depth=1
	s_delay_alu instid0(SALU_CYCLE_1) | instskip(NEXT) | instid1(VALU_DEP_1)
	s_or_b32 exec_lo, exec_lo, s2
	v_mul_f32_e32 v18, v152, v18
                                        ; implicit-def: $vgpr49
	s_delay_alu instid0(VALU_DEP_1) | instskip(NEXT) | instid1(VALU_DEP_1)
	v_and_b32_e32 v32, 0x7f800000, v18
	v_cmp_ne_u32_e64 s1, 0x7f800000, v32
	s_delay_alu instid0(VALU_DEP_1) | instskip(NEXT) | instid1(SALU_CYCLE_1)
	s_and_saveexec_b32 s2, s1
	s_xor_b32 s1, exec_lo, s2
; %bb.569:                              ;   in Loop: Header=BB462_8 Depth=1
	v_bfe_u32 v32, v18, 16, 1
	s_delay_alu instid0(VALU_DEP_1)
	v_add3_u32 v49, v18, v32, 0x7fff
                                        ; implicit-def: $vgpr18
; %bb.570:                              ;   in Loop: Header=BB462_8 Depth=1
	s_and_not1_saveexec_b32 s2, s1
; %bb.571:                              ;   in Loop: Header=BB462_8 Depth=1
	v_and_b32_e32 v32, 0xffff, v18
	v_or_b32_e32 v33, 0x10000, v18
	s_delay_alu instid0(VALU_DEP_2) | instskip(NEXT) | instid1(VALU_DEP_1)
	v_cmp_eq_u32_e64 s1, 0, v32
	v_cndmask_b32_e64 v49, v33, v18, s1
; %bb.572:                              ;   in Loop: Header=BB462_8 Depth=1
	s_or_b32 exec_lo, exec_lo, s2
	v_mov_b32_e32 v18, 0
	s_mov_b32 s2, exec_lo
	v_cmpx_lt_u64_e64 s[8:9], v[30:31]
	s_cbranch_execz .LBB462_580
; %bb.573:                              ;   in Loop: Header=BB462_8 Depth=1
	v_lshrrev_b32_e32 v32, 24, v31
	v_bfrev_b32_e32 v18, 1
	s_mov_b32 s18, exec_lo
	s_delay_alu instid0(VALU_DEP_2)
	v_cmpx_ne_u32_e32 0x80, v32
	s_cbranch_execz .LBB462_579
; %bb.574:                              ;   in Loop: Header=BB462_8 Depth=1
	v_bfe_u32 v30, v31, 24, 7
	v_mov_b32_e32 v18, 0x7f800001
	s_mov_b32 s19, exec_lo
	s_delay_alu instid0(VALU_DEP_2)
	v_cmpx_ne_u32_e32 0x7f, v30
	s_cbranch_execz .LBB462_578
; %bb.575:                              ;   in Loop: Header=BB462_8 Depth=1
	v_and_b32_e32 v18, 7, v32
	v_lshrrev_b32_e32 v33, 3, v30
	v_cmp_gt_u32_e64 s1, 8, v30
	s_delay_alu instid0(VALU_DEP_3) | instskip(NEXT) | instid1(VALU_DEP_2)
	v_dual_mov_b32 v31, v19 :: v_dual_mov_b32 v30, v18
	s_and_saveexec_b32 s20, s1
; %bb.576:                              ;   in Loop: Header=BB462_8 Depth=1
	v_clz_i32_u32_e32 v30, v18
	s_delay_alu instid0(VALU_DEP_1) | instskip(NEXT) | instid1(VALU_DEP_1)
	v_min_u32_e32 v33, 32, v30
	v_subrev_nc_u32_e32 v30, 28, v33
	v_sub_nc_u32_e32 v33, 29, v33
	s_delay_alu instid0(VALU_DEP_2) | instskip(NEXT) | instid1(VALU_DEP_1)
	v_lshlrev_b64 v[30:31], v30, v[18:19]
	v_and_b32_e32 v30, 7, v30
; %bb.577:                              ;   in Loop: Header=BB462_8 Depth=1
	s_or_b32 exec_lo, exec_lo, s20
	v_lshlrev_b32_e32 v18, 24, v32
	s_delay_alu instid0(VALU_DEP_2) | instskip(SKIP_1) | instid1(VALU_DEP_3)
	v_lshlrev_b32_e32 v30, 20, v30
	v_lshl_add_u32 v31, v33, 23, 0x3c000000
	v_and_b32_e32 v18, 0x80000000, v18
	s_delay_alu instid0(VALU_DEP_1)
	v_or3_b32 v18, v30, v18, v31
.LBB462_578:                            ;   in Loop: Header=BB462_8 Depth=1
	s_or_b32 exec_lo, exec_lo, s19
.LBB462_579:                            ;   in Loop: Header=BB462_8 Depth=1
	s_delay_alu instid0(SALU_CYCLE_1)
	s_or_b32 exec_lo, exec_lo, s18
.LBB462_580:                            ;   in Loop: Header=BB462_8 Depth=1
	s_delay_alu instid0(SALU_CYCLE_1) | instskip(NEXT) | instid1(VALU_DEP_1)
	s_or_b32 exec_lo, exec_lo, s2
	v_mul_f32_e32 v18, v152, v18
                                        ; implicit-def: $vgpr50
	s_delay_alu instid0(VALU_DEP_1) | instskip(NEXT) | instid1(VALU_DEP_1)
	v_and_b32_e32 v30, 0x7f800000, v18
	v_cmp_ne_u32_e64 s1, 0x7f800000, v30
	s_delay_alu instid0(VALU_DEP_1) | instskip(NEXT) | instid1(SALU_CYCLE_1)
	s_and_saveexec_b32 s2, s1
	s_xor_b32 s1, exec_lo, s2
; %bb.581:                              ;   in Loop: Header=BB462_8 Depth=1
	v_bfe_u32 v30, v18, 16, 1
	s_delay_alu instid0(VALU_DEP_1)
	v_add3_u32 v50, v18, v30, 0x7fff
                                        ; implicit-def: $vgpr18
; %bb.582:                              ;   in Loop: Header=BB462_8 Depth=1
	s_and_not1_saveexec_b32 s2, s1
; %bb.583:                              ;   in Loop: Header=BB462_8 Depth=1
	v_and_b32_e32 v30, 0xffff, v18
	v_or_b32_e32 v31, 0x10000, v18
	s_delay_alu instid0(VALU_DEP_2) | instskip(NEXT) | instid1(VALU_DEP_1)
	v_cmp_eq_u32_e64 s1, 0, v30
	v_cndmask_b32_e64 v50, v31, v18, s1
; %bb.584:                              ;   in Loop: Header=BB462_8 Depth=1
	s_or_b32 exec_lo, exec_lo, s2
	flat_load_b64 v[30:31], v[28:29] offset:1536
	v_mov_b32_e32 v18, 0
	s_mov_b32 s2, exec_lo
	s_waitcnt vmcnt(0) lgkmcnt(0)
	v_and_b32_e32 v32, 0xff, v30
	s_delay_alu instid0(VALU_DEP_1)
	v_cmpx_ne_u16_e32 0, v32
	s_cbranch_execz .LBB462_592
; %bb.585:                              ;   in Loop: Header=BB462_8 Depth=1
	v_bfrev_b32_e32 v18, 1
	s_mov_b32 s18, exec_lo
	v_cmpx_ne_u16_e32 0x80, v32
	s_cbranch_execz .LBB462_591
; %bb.586:                              ;   in Loop: Header=BB462_8 Depth=1
	v_and_b32_e32 v32, 0x7f, v30
	v_mov_b32_e32 v18, 0x7f800001
	s_mov_b32 s19, exec_lo
	s_delay_alu instid0(VALU_DEP_2)
	v_cmpx_ne_u32_e32 0x7f, v32
	s_cbranch_execz .LBB462_590
; %bb.587:                              ;   in Loop: Header=BB462_8 Depth=1
	v_lshrrev_b32_e32 v18, 3, v32
	v_cmp_gt_u32_e64 s1, 8, v32
	v_dual_mov_b32 v33, v31 :: v_dual_mov_b32 v32, v30
	s_delay_alu instid0(VALU_DEP_2)
	s_and_saveexec_b32 s20, s1
; %bb.588:                              ;   in Loop: Header=BB462_8 Depth=1
	v_and_b32_e32 v18, 7, v30
	s_delay_alu instid0(VALU_DEP_1) | instskip(NEXT) | instid1(VALU_DEP_1)
	v_clz_i32_u32_e32 v18, v18
	v_min_u32_e32 v18, 32, v18
	s_delay_alu instid0(VALU_DEP_1) | instskip(SKIP_1) | instid1(VALU_DEP_2)
	v_subrev_nc_u32_e32 v32, 28, v18
	v_sub_nc_u32_e32 v18, 29, v18
	v_lshlrev_b64 v[32:33], v32, v[30:31]
; %bb.589:                              ;   in Loop: Header=BB462_8 Depth=1
	s_or_b32 exec_lo, exec_lo, s20
	s_delay_alu instid0(VALU_DEP_1) | instskip(SKIP_2) | instid1(VALU_DEP_3)
	v_lshlrev_b32_e32 v32, 20, v32
	v_lshlrev_b32_e32 v33, 24, v30
	v_lshl_add_u32 v18, v18, 23, 0x3c000000
	v_and_b32_e32 v32, 0x700000, v32
	s_delay_alu instid0(VALU_DEP_3) | instskip(NEXT) | instid1(VALU_DEP_1)
	v_and_b32_e32 v33, 0x80000000, v33
	v_or3_b32 v18, v32, v33, v18
.LBB462_590:                            ;   in Loop: Header=BB462_8 Depth=1
	s_or_b32 exec_lo, exec_lo, s19
.LBB462_591:                            ;   in Loop: Header=BB462_8 Depth=1
	s_delay_alu instid0(SALU_CYCLE_1)
	s_or_b32 exec_lo, exec_lo, s18
.LBB462_592:                            ;   in Loop: Header=BB462_8 Depth=1
	s_delay_alu instid0(SALU_CYCLE_1) | instskip(NEXT) | instid1(VALU_DEP_1)
	s_or_b32 exec_lo, exec_lo, s2
	v_mul_f32_e32 v18, v152, v18
                                        ; implicit-def: $vgpr51
	s_delay_alu instid0(VALU_DEP_1) | instskip(NEXT) | instid1(VALU_DEP_1)
	v_and_b32_e32 v32, 0x7f800000, v18
	v_cmp_ne_u32_e64 s1, 0x7f800000, v32
	s_delay_alu instid0(VALU_DEP_1) | instskip(NEXT) | instid1(SALU_CYCLE_1)
	s_and_saveexec_b32 s2, s1
	s_xor_b32 s1, exec_lo, s2
; %bb.593:                              ;   in Loop: Header=BB462_8 Depth=1
	v_bfe_u32 v32, v18, 16, 1
	s_delay_alu instid0(VALU_DEP_1)
	v_add3_u32 v51, v18, v32, 0x7fff
                                        ; implicit-def: $vgpr18
; %bb.594:                              ;   in Loop: Header=BB462_8 Depth=1
	s_and_not1_saveexec_b32 s2, s1
; %bb.595:                              ;   in Loop: Header=BB462_8 Depth=1
	v_and_b32_e32 v32, 0xffff, v18
	v_or_b32_e32 v33, 0x10000, v18
	s_delay_alu instid0(VALU_DEP_2) | instskip(NEXT) | instid1(VALU_DEP_1)
	v_cmp_eq_u32_e64 s1, 0, v32
	v_cndmask_b32_e64 v51, v33, v18, s1
; %bb.596:                              ;   in Loop: Header=BB462_8 Depth=1
	s_or_b32 exec_lo, exec_lo, s2
	v_lshrrev_b16 v32, 8, v30
	v_mov_b32_e32 v18, 0
	s_mov_b32 s2, exec_lo
	s_delay_alu instid0(VALU_DEP_2)
	v_cmpx_ne_u16_e32 0, v32
	s_cbranch_execz .LBB462_604
; %bb.597:                              ;   in Loop: Header=BB462_8 Depth=1
	v_bfrev_b32_e32 v18, 1
	s_mov_b32 s18, exec_lo
	v_cmpx_ne_u16_e32 0x80, v32
	s_cbranch_execz .LBB462_603
; %bb.598:                              ;   in Loop: Header=BB462_8 Depth=1
	v_and_b32_e32 v33, 0xffff, v32
	v_mov_b32_e32 v18, 0x7f800001
	s_mov_b32 s19, exec_lo
	s_delay_alu instid0(VALU_DEP_2) | instskip(NEXT) | instid1(VALU_DEP_1)
	v_and_b32_e32 v32, 0x7f, v33
	v_cmpx_ne_u32_e32 0x7f, v32
	s_cbranch_execz .LBB462_602
; %bb.599:                              ;   in Loop: Header=BB462_8 Depth=1
	v_and_b32_e32 v18, 7, v33
	v_lshrrev_b32_e32 v54, 3, v32
	v_cmp_gt_u32_e64 s1, 8, v32
	s_delay_alu instid0(VALU_DEP_3) | instskip(NEXT) | instid1(VALU_DEP_2)
	v_dual_mov_b32 v33, v19 :: v_dual_mov_b32 v32, v18
	s_and_saveexec_b32 s20, s1
; %bb.600:                              ;   in Loop: Header=BB462_8 Depth=1
	v_clz_i32_u32_e32 v32, v18
	s_delay_alu instid0(VALU_DEP_1) | instskip(NEXT) | instid1(VALU_DEP_1)
	v_min_u32_e32 v54, 32, v32
	v_subrev_nc_u32_e32 v32, 28, v54
	v_sub_nc_u32_e32 v54, 29, v54
	s_delay_alu instid0(VALU_DEP_2) | instskip(NEXT) | instid1(VALU_DEP_1)
	v_lshlrev_b64 v[32:33], v32, v[18:19]
	v_and_b32_e32 v32, 7, v32
; %bb.601:                              ;   in Loop: Header=BB462_8 Depth=1
	s_or_b32 exec_lo, exec_lo, s20
	v_lshlrev_b32_e32 v18, 16, v30
	s_delay_alu instid0(VALU_DEP_2) | instskip(SKIP_1) | instid1(VALU_DEP_3)
	v_lshlrev_b32_e32 v32, 20, v32
	v_lshl_add_u32 v33, v54, 23, 0x3c000000
	v_and_b32_e32 v18, 0x80000000, v18
	s_delay_alu instid0(VALU_DEP_1)
	v_or3_b32 v18, v32, v18, v33
.LBB462_602:                            ;   in Loop: Header=BB462_8 Depth=1
	s_or_b32 exec_lo, exec_lo, s19
.LBB462_603:                            ;   in Loop: Header=BB462_8 Depth=1
	s_delay_alu instid0(SALU_CYCLE_1)
	s_or_b32 exec_lo, exec_lo, s18
.LBB462_604:                            ;   in Loop: Header=BB462_8 Depth=1
	s_delay_alu instid0(SALU_CYCLE_1) | instskip(NEXT) | instid1(VALU_DEP_1)
	s_or_b32 exec_lo, exec_lo, s2
	v_mul_f32_e32 v18, v152, v18
                                        ; implicit-def: $vgpr54
	s_delay_alu instid0(VALU_DEP_1) | instskip(NEXT) | instid1(VALU_DEP_1)
	v_and_b32_e32 v32, 0x7f800000, v18
	v_cmp_ne_u32_e64 s1, 0x7f800000, v32
	s_delay_alu instid0(VALU_DEP_1) | instskip(NEXT) | instid1(SALU_CYCLE_1)
	s_and_saveexec_b32 s2, s1
	s_xor_b32 s1, exec_lo, s2
; %bb.605:                              ;   in Loop: Header=BB462_8 Depth=1
	v_bfe_u32 v32, v18, 16, 1
	s_delay_alu instid0(VALU_DEP_1)
	v_add3_u32 v54, v18, v32, 0x7fff
                                        ; implicit-def: $vgpr18
; %bb.606:                              ;   in Loop: Header=BB462_8 Depth=1
	s_and_not1_saveexec_b32 s2, s1
; %bb.607:                              ;   in Loop: Header=BB462_8 Depth=1
	v_and_b32_e32 v32, 0xffff, v18
	v_or_b32_e32 v33, 0x10000, v18
	s_delay_alu instid0(VALU_DEP_2) | instskip(NEXT) | instid1(VALU_DEP_1)
	v_cmp_eq_u32_e64 s1, 0, v32
	v_cndmask_b32_e64 v54, v33, v18, s1
; %bb.608:                              ;   in Loop: Header=BB462_8 Depth=1
	s_or_b32 exec_lo, exec_lo, s2
	v_lshrrev_b32_e32 v55, 16, v30
	v_mov_b32_e32 v18, 0
	s_mov_b32 s2, exec_lo
	s_delay_alu instid0(VALU_DEP_2) | instskip(NEXT) | instid1(VALU_DEP_1)
	v_and_b32_e32 v32, 0xff, v55
	v_cmpx_ne_u16_e32 0, v32
	s_cbranch_execz .LBB462_616
; %bb.609:                              ;   in Loop: Header=BB462_8 Depth=1
	v_bfrev_b32_e32 v18, 1
	s_mov_b32 s18, exec_lo
	v_cmpx_ne_u16_e32 0x80, v32
	s_cbranch_execz .LBB462_615
; %bb.610:                              ;   in Loop: Header=BB462_8 Depth=1
	v_bfe_u32 v32, v30, 16, 7
	v_mov_b32_e32 v18, 0x7f800001
	s_mov_b32 s19, exec_lo
	s_delay_alu instid0(VALU_DEP_2)
	v_cmpx_ne_u32_e32 0x7f, v32
	s_cbranch_execz .LBB462_614
; %bb.611:                              ;   in Loop: Header=BB462_8 Depth=1
	v_and_b32_e32 v18, 7, v55
	v_lshrrev_b32_e32 v64, 3, v32
	v_cmp_gt_u32_e64 s1, 8, v32
	s_delay_alu instid0(VALU_DEP_3) | instskip(NEXT) | instid1(VALU_DEP_2)
	v_dual_mov_b32 v33, v19 :: v_dual_mov_b32 v32, v18
	s_and_saveexec_b32 s20, s1
; %bb.612:                              ;   in Loop: Header=BB462_8 Depth=1
	v_clz_i32_u32_e32 v32, v18
	s_delay_alu instid0(VALU_DEP_1) | instskip(NEXT) | instid1(VALU_DEP_1)
	v_min_u32_e32 v64, 32, v32
	v_subrev_nc_u32_e32 v32, 28, v64
	v_sub_nc_u32_e32 v64, 29, v64
	s_delay_alu instid0(VALU_DEP_2) | instskip(NEXT) | instid1(VALU_DEP_1)
	v_lshlrev_b64 v[32:33], v32, v[18:19]
	v_and_b32_e32 v32, 7, v32
; %bb.613:                              ;   in Loop: Header=BB462_8 Depth=1
	s_or_b32 exec_lo, exec_lo, s20
	v_lshlrev_b32_e32 v18, 24, v55
	s_delay_alu instid0(VALU_DEP_2) | instskip(SKIP_1) | instid1(VALU_DEP_3)
	v_lshlrev_b32_e32 v32, 20, v32
	v_lshl_add_u32 v33, v64, 23, 0x3c000000
	v_and_b32_e32 v18, 0x80000000, v18
	s_delay_alu instid0(VALU_DEP_1)
	v_or3_b32 v18, v32, v18, v33
.LBB462_614:                            ;   in Loop: Header=BB462_8 Depth=1
	s_or_b32 exec_lo, exec_lo, s19
.LBB462_615:                            ;   in Loop: Header=BB462_8 Depth=1
	s_delay_alu instid0(SALU_CYCLE_1)
	s_or_b32 exec_lo, exec_lo, s18
.LBB462_616:                            ;   in Loop: Header=BB462_8 Depth=1
	s_delay_alu instid0(SALU_CYCLE_1) | instskip(NEXT) | instid1(VALU_DEP_1)
	s_or_b32 exec_lo, exec_lo, s2
	v_mul_f32_e32 v18, v152, v18
                                        ; implicit-def: $vgpr55
	s_delay_alu instid0(VALU_DEP_1) | instskip(NEXT) | instid1(VALU_DEP_1)
	v_and_b32_e32 v32, 0x7f800000, v18
	v_cmp_ne_u32_e64 s1, 0x7f800000, v32
	s_delay_alu instid0(VALU_DEP_1) | instskip(NEXT) | instid1(SALU_CYCLE_1)
	s_and_saveexec_b32 s2, s1
	s_xor_b32 s1, exec_lo, s2
; %bb.617:                              ;   in Loop: Header=BB462_8 Depth=1
	v_bfe_u32 v32, v18, 16, 1
	s_delay_alu instid0(VALU_DEP_1)
	v_add3_u32 v55, v18, v32, 0x7fff
                                        ; implicit-def: $vgpr18
; %bb.618:                              ;   in Loop: Header=BB462_8 Depth=1
	s_and_not1_saveexec_b32 s2, s1
; %bb.619:                              ;   in Loop: Header=BB462_8 Depth=1
	v_and_b32_e32 v32, 0xffff, v18
	v_or_b32_e32 v33, 0x10000, v18
	s_delay_alu instid0(VALU_DEP_2) | instskip(NEXT) | instid1(VALU_DEP_1)
	v_cmp_eq_u32_e64 s1, 0, v32
	v_cndmask_b32_e64 v55, v33, v18, s1
; %bb.620:                              ;   in Loop: Header=BB462_8 Depth=1
	s_or_b32 exec_lo, exec_lo, s2
	v_mov_b32_e32 v18, 0
	s_mov_b32 s2, exec_lo
	v_cmpx_lt_u32_e32 0xffffff, v30
	s_cbranch_execz .LBB462_628
; %bb.621:                              ;   in Loop: Header=BB462_8 Depth=1
	v_lshrrev_b32_e32 v64, 24, v30
	v_bfrev_b32_e32 v18, 1
	s_mov_b32 s18, exec_lo
	s_delay_alu instid0(VALU_DEP_2)
	v_cmpx_ne_u32_e32 0x80, v64
	s_cbranch_execz .LBB462_627
; %bb.622:                              ;   in Loop: Header=BB462_8 Depth=1
	v_bfe_u32 v32, v30, 24, 7
	v_mov_b32_e32 v18, 0x7f800001
	s_mov_b32 s19, exec_lo
	s_delay_alu instid0(VALU_DEP_2)
	v_cmpx_ne_u32_e32 0x7f, v32
	s_cbranch_execz .LBB462_626
; %bb.623:                              ;   in Loop: Header=BB462_8 Depth=1
	v_and_b32_e32 v18, 7, v64
	v_lshrrev_b32_e32 v65, 3, v32
	v_cmp_gt_u32_e64 s1, 8, v32
	s_delay_alu instid0(VALU_DEP_3) | instskip(NEXT) | instid1(VALU_DEP_2)
	v_dual_mov_b32 v33, v19 :: v_dual_mov_b32 v32, v18
	s_and_saveexec_b32 s20, s1
; %bb.624:                              ;   in Loop: Header=BB462_8 Depth=1
	v_clz_i32_u32_e32 v32, v18
	s_delay_alu instid0(VALU_DEP_1) | instskip(NEXT) | instid1(VALU_DEP_1)
	v_min_u32_e32 v65, 32, v32
	v_subrev_nc_u32_e32 v32, 28, v65
	v_sub_nc_u32_e32 v65, 29, v65
	s_delay_alu instid0(VALU_DEP_2) | instskip(NEXT) | instid1(VALU_DEP_1)
	v_lshlrev_b64 v[32:33], v32, v[18:19]
	v_and_b32_e32 v32, 7, v32
; %bb.625:                              ;   in Loop: Header=BB462_8 Depth=1
	s_or_b32 exec_lo, exec_lo, s20
	v_lshlrev_b32_e32 v18, 24, v64
	s_delay_alu instid0(VALU_DEP_2) | instskip(SKIP_1) | instid1(VALU_DEP_3)
	v_lshlrev_b32_e32 v32, 20, v32
	v_lshl_add_u32 v33, v65, 23, 0x3c000000
	v_and_b32_e32 v18, 0x80000000, v18
	s_delay_alu instid0(VALU_DEP_1)
	v_or3_b32 v18, v32, v18, v33
.LBB462_626:                            ;   in Loop: Header=BB462_8 Depth=1
	s_or_b32 exec_lo, exec_lo, s19
.LBB462_627:                            ;   in Loop: Header=BB462_8 Depth=1
	s_delay_alu instid0(SALU_CYCLE_1)
	s_or_b32 exec_lo, exec_lo, s18
.LBB462_628:                            ;   in Loop: Header=BB462_8 Depth=1
	s_delay_alu instid0(SALU_CYCLE_1) | instskip(NEXT) | instid1(VALU_DEP_1)
	s_or_b32 exec_lo, exec_lo, s2
	v_mul_f32_e32 v18, v152, v18
                                        ; implicit-def: $vgpr64
	s_delay_alu instid0(VALU_DEP_1) | instskip(NEXT) | instid1(VALU_DEP_1)
	v_and_b32_e32 v32, 0x7f800000, v18
	v_cmp_ne_u32_e64 s1, 0x7f800000, v32
	s_delay_alu instid0(VALU_DEP_1) | instskip(NEXT) | instid1(SALU_CYCLE_1)
	s_and_saveexec_b32 s2, s1
	s_xor_b32 s1, exec_lo, s2
; %bb.629:                              ;   in Loop: Header=BB462_8 Depth=1
	v_bfe_u32 v32, v18, 16, 1
	s_delay_alu instid0(VALU_DEP_1)
	v_add3_u32 v64, v18, v32, 0x7fff
                                        ; implicit-def: $vgpr18
; %bb.630:                              ;   in Loop: Header=BB462_8 Depth=1
	s_and_not1_saveexec_b32 s2, s1
; %bb.631:                              ;   in Loop: Header=BB462_8 Depth=1
	v_and_b32_e32 v32, 0xffff, v18
	v_or_b32_e32 v33, 0x10000, v18
	s_delay_alu instid0(VALU_DEP_2) | instskip(NEXT) | instid1(VALU_DEP_1)
	v_cmp_eq_u32_e64 s1, 0, v32
	v_cndmask_b32_e64 v64, v33, v18, s1
; %bb.632:                              ;   in Loop: Header=BB462_8 Depth=1
	s_or_b32 exec_lo, exec_lo, s2
	v_dual_mov_b32 v18, v31 :: v_dual_and_b32 v33, 0xff, v31
	v_mov_b32_e32 v32, 0
	s_mov_b32 s2, exec_lo
	s_delay_alu instid0(VALU_DEP_2)
	v_cmpx_ne_u16_e32 0, v33
	s_cbranch_execz .LBB462_640
; %bb.633:                              ;   in Loop: Header=BB462_8 Depth=1
	v_bfrev_b32_e32 v32, 1
	s_mov_b32 s18, exec_lo
	v_cmpx_ne_u16_e32 0x80, v33
	s_cbranch_execz .LBB462_639
; %bb.634:                              ;   in Loop: Header=BB462_8 Depth=1
	v_and_b32_e32 v33, 0x7f, v31
	v_mov_b32_e32 v32, 0x7f800001
	s_mov_b32 s19, exec_lo
	s_delay_alu instid0(VALU_DEP_2)
	v_cmpx_ne_u32_e32 0x7f, v33
	s_cbranch_execz .LBB462_638
; %bb.635:                              ;   in Loop: Header=BB462_8 Depth=1
	v_lshrrev_b32_e32 v65, 3, v33
	v_cmp_gt_u32_e64 s1, 8, v33
	v_dual_mov_b32 v33, v19 :: v_dual_mov_b32 v32, v18
	s_delay_alu instid0(VALU_DEP_2)
	s_and_saveexec_b32 s20, s1
; %bb.636:                              ;   in Loop: Header=BB462_8 Depth=1
	v_and_b32_e32 v32, 7, v31
	s_delay_alu instid0(VALU_DEP_1) | instskip(NEXT) | instid1(VALU_DEP_1)
	v_clz_i32_u32_e32 v32, v32
	v_min_u32_e32 v65, 32, v32
	s_delay_alu instid0(VALU_DEP_1) | instskip(SKIP_1) | instid1(VALU_DEP_2)
	v_subrev_nc_u32_e32 v32, 28, v65
	v_sub_nc_u32_e32 v65, 29, v65
	v_lshlrev_b64 v[32:33], v32, v[18:19]
; %bb.637:                              ;   in Loop: Header=BB462_8 Depth=1
	s_or_b32 exec_lo, exec_lo, s20
	s_delay_alu instid0(VALU_DEP_1) | instskip(SKIP_2) | instid1(VALU_DEP_3)
	v_lshlrev_b32_e32 v32, 20, v32
	v_lshlrev_b32_e32 v33, 24, v18
	v_lshl_add_u32 v65, v65, 23, 0x3c000000
	v_and_b32_e32 v32, 0x700000, v32
	s_delay_alu instid0(VALU_DEP_3) | instskip(NEXT) | instid1(VALU_DEP_1)
	v_and_b32_e32 v33, 0x80000000, v33
	v_or3_b32 v32, v32, v33, v65
.LBB462_638:                            ;   in Loop: Header=BB462_8 Depth=1
	s_or_b32 exec_lo, exec_lo, s19
.LBB462_639:                            ;   in Loop: Header=BB462_8 Depth=1
	s_delay_alu instid0(SALU_CYCLE_1)
	s_or_b32 exec_lo, exec_lo, s18
.LBB462_640:                            ;   in Loop: Header=BB462_8 Depth=1
	s_delay_alu instid0(SALU_CYCLE_1) | instskip(NEXT) | instid1(VALU_DEP_1)
	s_or_b32 exec_lo, exec_lo, s2
	v_mul_f32_e32 v32, v152, v32
                                        ; implicit-def: $vgpr65
	s_delay_alu instid0(VALU_DEP_1) | instskip(NEXT) | instid1(VALU_DEP_1)
	v_and_b32_e32 v33, 0x7f800000, v32
	v_cmp_ne_u32_e64 s1, 0x7f800000, v33
	s_delay_alu instid0(VALU_DEP_1) | instskip(NEXT) | instid1(SALU_CYCLE_1)
	s_and_saveexec_b32 s2, s1
	s_xor_b32 s1, exec_lo, s2
; %bb.641:                              ;   in Loop: Header=BB462_8 Depth=1
	v_bfe_u32 v33, v32, 16, 1
	s_delay_alu instid0(VALU_DEP_1)
	v_add3_u32 v65, v32, v33, 0x7fff
                                        ; implicit-def: $vgpr32
; %bb.642:                              ;   in Loop: Header=BB462_8 Depth=1
	s_and_not1_saveexec_b32 s2, s1
; %bb.643:                              ;   in Loop: Header=BB462_8 Depth=1
	v_and_b32_e32 v33, 0xffff, v32
	v_or_b32_e32 v65, 0x10000, v32
	s_delay_alu instid0(VALU_DEP_2) | instskip(NEXT) | instid1(VALU_DEP_1)
	v_cmp_eq_u32_e64 s1, 0, v33
	v_cndmask_b32_e64 v65, v65, v32, s1
; %bb.644:                              ;   in Loop: Header=BB462_8 Depth=1
	s_or_b32 exec_lo, exec_lo, s2
	v_lshrrev_b16 v33, 8, v18
	v_mov_b32_e32 v32, 0
	s_mov_b32 s2, exec_lo
	s_delay_alu instid0(VALU_DEP_2)
	v_cmpx_ne_u16_e32 0, v33
	s_cbranch_execz .LBB462_652
; %bb.645:                              ;   in Loop: Header=BB462_8 Depth=1
	v_bfrev_b32_e32 v32, 1
	s_mov_b32 s18, exec_lo
	v_cmpx_ne_u16_e32 0x80, v33
	s_cbranch_execz .LBB462_651
; %bb.646:                              ;   in Loop: Header=BB462_8 Depth=1
	v_and_b32_e32 v33, 0xffff, v33
	v_mov_b32_e32 v32, 0x7f800001
	s_mov_b32 s19, exec_lo
	s_delay_alu instid0(VALU_DEP_2) | instskip(NEXT) | instid1(VALU_DEP_1)
	v_and_b32_e32 v67, 0x7f, v33
	v_cmpx_ne_u32_e32 0x7f, v67
	s_cbranch_execz .LBB462_650
; %bb.647:                              ;   in Loop: Header=BB462_8 Depth=1
	v_dual_mov_b32 v33, v19 :: v_dual_and_b32 v32, 7, v33
	v_lshrrev_b32_e32 v66, 3, v67
	s_mov_b32 s20, exec_lo
	v_cmpx_gt_u32_e32 8, v67
; %bb.648:                              ;   in Loop: Header=BB462_8 Depth=1
	s_delay_alu instid0(VALU_DEP_3) | instskip(NEXT) | instid1(VALU_DEP_1)
	v_clz_i32_u32_e32 v66, v32
	v_min_u32_e32 v66, 32, v66
	s_delay_alu instid0(VALU_DEP_1) | instskip(SKIP_1) | instid1(VALU_DEP_2)
	v_subrev_nc_u32_e32 v67, 28, v66
	v_sub_nc_u32_e32 v66, 29, v66
	v_lshlrev_b64 v[32:33], v67, v[32:33]
	s_delay_alu instid0(VALU_DEP_1)
	v_and_b32_e32 v32, 7, v32
; %bb.649:                              ;   in Loop: Header=BB462_8 Depth=1
	s_or_b32 exec_lo, exec_lo, s20
	v_lshlrev_b32_e32 v18, 16, v18
	s_delay_alu instid0(VALU_DEP_2) | instskip(SKIP_1) | instid1(VALU_DEP_3)
	v_lshlrev_b32_e32 v32, 20, v32
	v_lshl_add_u32 v33, v66, 23, 0x3c000000
	v_and_b32_e32 v18, 0x80000000, v18
	s_delay_alu instid0(VALU_DEP_1)
	v_or3_b32 v32, v32, v18, v33
.LBB462_650:                            ;   in Loop: Header=BB462_8 Depth=1
	s_or_b32 exec_lo, exec_lo, s19
.LBB462_651:                            ;   in Loop: Header=BB462_8 Depth=1
	s_delay_alu instid0(SALU_CYCLE_1)
	s_or_b32 exec_lo, exec_lo, s18
.LBB462_652:                            ;   in Loop: Header=BB462_8 Depth=1
	s_delay_alu instid0(SALU_CYCLE_1) | instskip(NEXT) | instid1(VALU_DEP_1)
	s_or_b32 exec_lo, exec_lo, s2
	v_mul_f32_e32 v18, v152, v32
                                        ; implicit-def: $vgpr66
	s_delay_alu instid0(VALU_DEP_1) | instskip(NEXT) | instid1(VALU_DEP_1)
	v_and_b32_e32 v32, 0x7f800000, v18
	v_cmp_ne_u32_e64 s1, 0x7f800000, v32
	s_delay_alu instid0(VALU_DEP_1) | instskip(NEXT) | instid1(SALU_CYCLE_1)
	s_and_saveexec_b32 s2, s1
	s_xor_b32 s1, exec_lo, s2
; %bb.653:                              ;   in Loop: Header=BB462_8 Depth=1
	v_bfe_u32 v32, v18, 16, 1
	s_delay_alu instid0(VALU_DEP_1)
	v_add3_u32 v66, v18, v32, 0x7fff
                                        ; implicit-def: $vgpr18
; %bb.654:                              ;   in Loop: Header=BB462_8 Depth=1
	s_and_not1_saveexec_b32 s2, s1
; %bb.655:                              ;   in Loop: Header=BB462_8 Depth=1
	v_and_b32_e32 v32, 0xffff, v18
	v_or_b32_e32 v33, 0x10000, v18
	s_delay_alu instid0(VALU_DEP_2) | instskip(NEXT) | instid1(VALU_DEP_1)
	v_cmp_eq_u32_e64 s1, 0, v32
	v_cndmask_b32_e64 v66, v33, v18, s1
; %bb.656:                              ;   in Loop: Header=BB462_8 Depth=1
	s_or_b32 exec_lo, exec_lo, s2
	v_lshrrev_b32_e32 v67, 16, v31
	v_mov_b32_e32 v18, 0
	s_mov_b32 s2, exec_lo
	s_delay_alu instid0(VALU_DEP_2) | instskip(NEXT) | instid1(VALU_DEP_1)
	v_and_b32_e32 v32, 0xff, v67
	v_cmpx_ne_u16_e32 0, v32
	s_cbranch_execz .LBB462_664
; %bb.657:                              ;   in Loop: Header=BB462_8 Depth=1
	v_bfrev_b32_e32 v18, 1
	s_mov_b32 s18, exec_lo
	v_cmpx_ne_u16_e32 0x80, v32
	s_cbranch_execz .LBB462_663
; %bb.658:                              ;   in Loop: Header=BB462_8 Depth=1
	v_bfe_u32 v32, v31, 16, 7
	v_mov_b32_e32 v18, 0x7f800001
	s_mov_b32 s19, exec_lo
	s_delay_alu instid0(VALU_DEP_2)
	v_cmpx_ne_u32_e32 0x7f, v32
	s_cbranch_execz .LBB462_662
; %bb.659:                              ;   in Loop: Header=BB462_8 Depth=1
	v_and_b32_e32 v18, 7, v67
	v_lshrrev_b32_e32 v68, 3, v32
	v_cmp_gt_u32_e64 s1, 8, v32
	s_delay_alu instid0(VALU_DEP_3) | instskip(NEXT) | instid1(VALU_DEP_2)
	v_dual_mov_b32 v33, v19 :: v_dual_mov_b32 v32, v18
	s_and_saveexec_b32 s20, s1
; %bb.660:                              ;   in Loop: Header=BB462_8 Depth=1
	v_clz_i32_u32_e32 v32, v18
	s_delay_alu instid0(VALU_DEP_1) | instskip(NEXT) | instid1(VALU_DEP_1)
	v_min_u32_e32 v68, 32, v32
	v_subrev_nc_u32_e32 v32, 28, v68
	v_sub_nc_u32_e32 v68, 29, v68
	s_delay_alu instid0(VALU_DEP_2) | instskip(NEXT) | instid1(VALU_DEP_1)
	v_lshlrev_b64 v[32:33], v32, v[18:19]
	v_and_b32_e32 v32, 7, v32
; %bb.661:                              ;   in Loop: Header=BB462_8 Depth=1
	s_or_b32 exec_lo, exec_lo, s20
	v_lshlrev_b32_e32 v18, 24, v67
	s_delay_alu instid0(VALU_DEP_2) | instskip(SKIP_1) | instid1(VALU_DEP_3)
	v_lshlrev_b32_e32 v32, 20, v32
	v_lshl_add_u32 v33, v68, 23, 0x3c000000
	v_and_b32_e32 v18, 0x80000000, v18
	s_delay_alu instid0(VALU_DEP_1)
	v_or3_b32 v18, v32, v18, v33
.LBB462_662:                            ;   in Loop: Header=BB462_8 Depth=1
	s_or_b32 exec_lo, exec_lo, s19
.LBB462_663:                            ;   in Loop: Header=BB462_8 Depth=1
	s_delay_alu instid0(SALU_CYCLE_1)
	s_or_b32 exec_lo, exec_lo, s18
.LBB462_664:                            ;   in Loop: Header=BB462_8 Depth=1
	s_delay_alu instid0(SALU_CYCLE_1) | instskip(NEXT) | instid1(VALU_DEP_1)
	s_or_b32 exec_lo, exec_lo, s2
	v_mul_f32_e32 v18, v152, v18
                                        ; implicit-def: $vgpr67
	s_delay_alu instid0(VALU_DEP_1) | instskip(NEXT) | instid1(VALU_DEP_1)
	v_and_b32_e32 v32, 0x7f800000, v18
	v_cmp_ne_u32_e64 s1, 0x7f800000, v32
	s_delay_alu instid0(VALU_DEP_1) | instskip(NEXT) | instid1(SALU_CYCLE_1)
	s_and_saveexec_b32 s2, s1
	s_xor_b32 s1, exec_lo, s2
; %bb.665:                              ;   in Loop: Header=BB462_8 Depth=1
	v_bfe_u32 v32, v18, 16, 1
	s_delay_alu instid0(VALU_DEP_1)
	v_add3_u32 v67, v18, v32, 0x7fff
                                        ; implicit-def: $vgpr18
; %bb.666:                              ;   in Loop: Header=BB462_8 Depth=1
	s_and_not1_saveexec_b32 s2, s1
; %bb.667:                              ;   in Loop: Header=BB462_8 Depth=1
	v_and_b32_e32 v32, 0xffff, v18
	v_or_b32_e32 v33, 0x10000, v18
	s_delay_alu instid0(VALU_DEP_2) | instskip(NEXT) | instid1(VALU_DEP_1)
	v_cmp_eq_u32_e64 s1, 0, v32
	v_cndmask_b32_e64 v67, v33, v18, s1
; %bb.668:                              ;   in Loop: Header=BB462_8 Depth=1
	s_or_b32 exec_lo, exec_lo, s2
	v_mov_b32_e32 v18, 0
	s_mov_b32 s2, exec_lo
	v_cmpx_lt_u64_e64 s[8:9], v[30:31]
	s_cbranch_execz .LBB462_676
; %bb.669:                              ;   in Loop: Header=BB462_8 Depth=1
	v_lshrrev_b32_e32 v32, 24, v31
	v_bfrev_b32_e32 v18, 1
	s_mov_b32 s18, exec_lo
	s_delay_alu instid0(VALU_DEP_2)
	v_cmpx_ne_u32_e32 0x80, v32
	s_cbranch_execz .LBB462_675
; %bb.670:                              ;   in Loop: Header=BB462_8 Depth=1
	v_bfe_u32 v30, v31, 24, 7
	v_mov_b32_e32 v18, 0x7f800001
	s_mov_b32 s19, exec_lo
	s_delay_alu instid0(VALU_DEP_2)
	v_cmpx_ne_u32_e32 0x7f, v30
	s_cbranch_execz .LBB462_674
; %bb.671:                              ;   in Loop: Header=BB462_8 Depth=1
	v_and_b32_e32 v18, 7, v32
	v_lshrrev_b32_e32 v33, 3, v30
	v_cmp_gt_u32_e64 s1, 8, v30
	s_delay_alu instid0(VALU_DEP_3) | instskip(NEXT) | instid1(VALU_DEP_2)
	v_dual_mov_b32 v31, v19 :: v_dual_mov_b32 v30, v18
	s_and_saveexec_b32 s20, s1
; %bb.672:                              ;   in Loop: Header=BB462_8 Depth=1
	v_clz_i32_u32_e32 v30, v18
	s_delay_alu instid0(VALU_DEP_1) | instskip(NEXT) | instid1(VALU_DEP_1)
	v_min_u32_e32 v33, 32, v30
	v_subrev_nc_u32_e32 v30, 28, v33
	v_sub_nc_u32_e32 v33, 29, v33
	s_delay_alu instid0(VALU_DEP_2) | instskip(NEXT) | instid1(VALU_DEP_1)
	v_lshlrev_b64 v[30:31], v30, v[18:19]
	v_and_b32_e32 v30, 7, v30
; %bb.673:                              ;   in Loop: Header=BB462_8 Depth=1
	s_or_b32 exec_lo, exec_lo, s20
	v_lshlrev_b32_e32 v18, 24, v32
	s_delay_alu instid0(VALU_DEP_2) | instskip(SKIP_1) | instid1(VALU_DEP_3)
	v_lshlrev_b32_e32 v30, 20, v30
	v_lshl_add_u32 v31, v33, 23, 0x3c000000
	v_and_b32_e32 v18, 0x80000000, v18
	s_delay_alu instid0(VALU_DEP_1)
	v_or3_b32 v18, v30, v18, v31
.LBB462_674:                            ;   in Loop: Header=BB462_8 Depth=1
	s_or_b32 exec_lo, exec_lo, s19
.LBB462_675:                            ;   in Loop: Header=BB462_8 Depth=1
	s_delay_alu instid0(SALU_CYCLE_1)
	s_or_b32 exec_lo, exec_lo, s18
.LBB462_676:                            ;   in Loop: Header=BB462_8 Depth=1
	s_delay_alu instid0(SALU_CYCLE_1) | instskip(NEXT) | instid1(VALU_DEP_1)
	s_or_b32 exec_lo, exec_lo, s2
	v_mul_f32_e32 v18, v152, v18
                                        ; implicit-def: $vgpr68
	s_delay_alu instid0(VALU_DEP_1) | instskip(NEXT) | instid1(VALU_DEP_1)
	v_and_b32_e32 v30, 0x7f800000, v18
	v_cmp_ne_u32_e64 s1, 0x7f800000, v30
	s_delay_alu instid0(VALU_DEP_1) | instskip(NEXT) | instid1(SALU_CYCLE_1)
	s_and_saveexec_b32 s2, s1
	s_xor_b32 s1, exec_lo, s2
; %bb.677:                              ;   in Loop: Header=BB462_8 Depth=1
	v_bfe_u32 v30, v18, 16, 1
	s_delay_alu instid0(VALU_DEP_1)
	v_add3_u32 v68, v18, v30, 0x7fff
                                        ; implicit-def: $vgpr18
; %bb.678:                              ;   in Loop: Header=BB462_8 Depth=1
	s_and_not1_saveexec_b32 s2, s1
; %bb.679:                              ;   in Loop: Header=BB462_8 Depth=1
	v_and_b32_e32 v30, 0xffff, v18
	v_or_b32_e32 v31, 0x10000, v18
	s_delay_alu instid0(VALU_DEP_2) | instskip(NEXT) | instid1(VALU_DEP_1)
	v_cmp_eq_u32_e64 s1, 0, v30
	v_cndmask_b32_e64 v68, v31, v18, s1
; %bb.680:                              ;   in Loop: Header=BB462_8 Depth=1
	s_or_b32 exec_lo, exec_lo, s2
	flat_load_b64 v[30:31], v[28:29] offset:1544
	v_mov_b32_e32 v18, 0
	s_mov_b32 s2, exec_lo
	s_waitcnt vmcnt(0) lgkmcnt(0)
	v_and_b32_e32 v32, 0xff, v30
	s_delay_alu instid0(VALU_DEP_1)
	v_cmpx_ne_u16_e32 0, v32
	s_cbranch_execz .LBB462_688
; %bb.681:                              ;   in Loop: Header=BB462_8 Depth=1
	v_bfrev_b32_e32 v18, 1
	s_mov_b32 s18, exec_lo
	v_cmpx_ne_u16_e32 0x80, v32
	s_cbranch_execz .LBB462_687
; %bb.682:                              ;   in Loop: Header=BB462_8 Depth=1
	v_and_b32_e32 v32, 0x7f, v30
	v_mov_b32_e32 v18, 0x7f800001
	s_mov_b32 s19, exec_lo
	s_delay_alu instid0(VALU_DEP_2)
	v_cmpx_ne_u32_e32 0x7f, v32
	s_cbranch_execz .LBB462_686
; %bb.683:                              ;   in Loop: Header=BB462_8 Depth=1
	v_lshrrev_b32_e32 v18, 3, v32
	v_cmp_gt_u32_e64 s1, 8, v32
	v_dual_mov_b32 v33, v31 :: v_dual_mov_b32 v32, v30
	s_delay_alu instid0(VALU_DEP_2)
	s_and_saveexec_b32 s20, s1
; %bb.684:                              ;   in Loop: Header=BB462_8 Depth=1
	v_and_b32_e32 v18, 7, v30
	s_delay_alu instid0(VALU_DEP_1) | instskip(NEXT) | instid1(VALU_DEP_1)
	v_clz_i32_u32_e32 v18, v18
	v_min_u32_e32 v18, 32, v18
	s_delay_alu instid0(VALU_DEP_1) | instskip(SKIP_1) | instid1(VALU_DEP_2)
	v_subrev_nc_u32_e32 v32, 28, v18
	v_sub_nc_u32_e32 v18, 29, v18
	v_lshlrev_b64 v[32:33], v32, v[30:31]
; %bb.685:                              ;   in Loop: Header=BB462_8 Depth=1
	s_or_b32 exec_lo, exec_lo, s20
	s_delay_alu instid0(VALU_DEP_1) | instskip(SKIP_2) | instid1(VALU_DEP_3)
	v_lshlrev_b32_e32 v32, 20, v32
	v_lshlrev_b32_e32 v33, 24, v30
	v_lshl_add_u32 v18, v18, 23, 0x3c000000
	v_and_b32_e32 v32, 0x700000, v32
	s_delay_alu instid0(VALU_DEP_3) | instskip(NEXT) | instid1(VALU_DEP_1)
	v_and_b32_e32 v33, 0x80000000, v33
	v_or3_b32 v18, v32, v33, v18
.LBB462_686:                            ;   in Loop: Header=BB462_8 Depth=1
	s_or_b32 exec_lo, exec_lo, s19
.LBB462_687:                            ;   in Loop: Header=BB462_8 Depth=1
	s_delay_alu instid0(SALU_CYCLE_1)
	s_or_b32 exec_lo, exec_lo, s18
.LBB462_688:                            ;   in Loop: Header=BB462_8 Depth=1
	s_delay_alu instid0(SALU_CYCLE_1) | instskip(NEXT) | instid1(VALU_DEP_1)
	s_or_b32 exec_lo, exec_lo, s2
	v_mul_f32_e32 v18, v152, v18
                                        ; implicit-def: $vgpr69
	s_delay_alu instid0(VALU_DEP_1) | instskip(NEXT) | instid1(VALU_DEP_1)
	v_and_b32_e32 v32, 0x7f800000, v18
	v_cmp_ne_u32_e64 s1, 0x7f800000, v32
	s_delay_alu instid0(VALU_DEP_1) | instskip(NEXT) | instid1(SALU_CYCLE_1)
	s_and_saveexec_b32 s2, s1
	s_xor_b32 s1, exec_lo, s2
; %bb.689:                              ;   in Loop: Header=BB462_8 Depth=1
	v_bfe_u32 v32, v18, 16, 1
	s_delay_alu instid0(VALU_DEP_1)
	v_add3_u32 v69, v18, v32, 0x7fff
                                        ; implicit-def: $vgpr18
; %bb.690:                              ;   in Loop: Header=BB462_8 Depth=1
	s_and_not1_saveexec_b32 s2, s1
; %bb.691:                              ;   in Loop: Header=BB462_8 Depth=1
	v_and_b32_e32 v32, 0xffff, v18
	v_or_b32_e32 v33, 0x10000, v18
	s_delay_alu instid0(VALU_DEP_2) | instskip(NEXT) | instid1(VALU_DEP_1)
	v_cmp_eq_u32_e64 s1, 0, v32
	v_cndmask_b32_e64 v69, v33, v18, s1
; %bb.692:                              ;   in Loop: Header=BB462_8 Depth=1
	s_or_b32 exec_lo, exec_lo, s2
	v_lshrrev_b16 v32, 8, v30
	v_mov_b32_e32 v18, 0
	s_mov_b32 s2, exec_lo
	s_delay_alu instid0(VALU_DEP_2)
	v_cmpx_ne_u16_e32 0, v32
	s_cbranch_execz .LBB462_700
; %bb.693:                              ;   in Loop: Header=BB462_8 Depth=1
	v_bfrev_b32_e32 v18, 1
	s_mov_b32 s18, exec_lo
	v_cmpx_ne_u16_e32 0x80, v32
	s_cbranch_execz .LBB462_699
; %bb.694:                              ;   in Loop: Header=BB462_8 Depth=1
	v_and_b32_e32 v33, 0xffff, v32
	v_mov_b32_e32 v18, 0x7f800001
	s_mov_b32 s19, exec_lo
	s_delay_alu instid0(VALU_DEP_2) | instskip(NEXT) | instid1(VALU_DEP_1)
	v_and_b32_e32 v32, 0x7f, v33
	v_cmpx_ne_u32_e32 0x7f, v32
	s_cbranch_execz .LBB462_698
; %bb.695:                              ;   in Loop: Header=BB462_8 Depth=1
	v_and_b32_e32 v18, 7, v33
	v_lshrrev_b32_e32 v70, 3, v32
	v_cmp_gt_u32_e64 s1, 8, v32
	s_delay_alu instid0(VALU_DEP_3) | instskip(NEXT) | instid1(VALU_DEP_2)
	v_dual_mov_b32 v33, v19 :: v_dual_mov_b32 v32, v18
	s_and_saveexec_b32 s20, s1
; %bb.696:                              ;   in Loop: Header=BB462_8 Depth=1
	v_clz_i32_u32_e32 v32, v18
	s_delay_alu instid0(VALU_DEP_1) | instskip(NEXT) | instid1(VALU_DEP_1)
	v_min_u32_e32 v70, 32, v32
	v_subrev_nc_u32_e32 v32, 28, v70
	v_sub_nc_u32_e32 v70, 29, v70
	s_delay_alu instid0(VALU_DEP_2) | instskip(NEXT) | instid1(VALU_DEP_1)
	v_lshlrev_b64 v[32:33], v32, v[18:19]
	v_and_b32_e32 v32, 7, v32
; %bb.697:                              ;   in Loop: Header=BB462_8 Depth=1
	s_or_b32 exec_lo, exec_lo, s20
	v_lshlrev_b32_e32 v18, 16, v30
	s_delay_alu instid0(VALU_DEP_2) | instskip(SKIP_1) | instid1(VALU_DEP_3)
	v_lshlrev_b32_e32 v32, 20, v32
	v_lshl_add_u32 v33, v70, 23, 0x3c000000
	v_and_b32_e32 v18, 0x80000000, v18
	s_delay_alu instid0(VALU_DEP_1)
	v_or3_b32 v18, v32, v18, v33
.LBB462_698:                            ;   in Loop: Header=BB462_8 Depth=1
	s_or_b32 exec_lo, exec_lo, s19
.LBB462_699:                            ;   in Loop: Header=BB462_8 Depth=1
	s_delay_alu instid0(SALU_CYCLE_1)
	s_or_b32 exec_lo, exec_lo, s18
.LBB462_700:                            ;   in Loop: Header=BB462_8 Depth=1
	s_delay_alu instid0(SALU_CYCLE_1) | instskip(NEXT) | instid1(VALU_DEP_1)
	s_or_b32 exec_lo, exec_lo, s2
	v_mul_f32_e32 v18, v152, v18
                                        ; implicit-def: $vgpr70
	s_delay_alu instid0(VALU_DEP_1) | instskip(NEXT) | instid1(VALU_DEP_1)
	v_and_b32_e32 v32, 0x7f800000, v18
	v_cmp_ne_u32_e64 s1, 0x7f800000, v32
	s_delay_alu instid0(VALU_DEP_1) | instskip(NEXT) | instid1(SALU_CYCLE_1)
	s_and_saveexec_b32 s2, s1
	s_xor_b32 s1, exec_lo, s2
; %bb.701:                              ;   in Loop: Header=BB462_8 Depth=1
	v_bfe_u32 v32, v18, 16, 1
	s_delay_alu instid0(VALU_DEP_1)
	v_add3_u32 v70, v18, v32, 0x7fff
                                        ; implicit-def: $vgpr18
; %bb.702:                              ;   in Loop: Header=BB462_8 Depth=1
	s_and_not1_saveexec_b32 s2, s1
; %bb.703:                              ;   in Loop: Header=BB462_8 Depth=1
	v_and_b32_e32 v32, 0xffff, v18
	v_or_b32_e32 v33, 0x10000, v18
	s_delay_alu instid0(VALU_DEP_2) | instskip(NEXT) | instid1(VALU_DEP_1)
	v_cmp_eq_u32_e64 s1, 0, v32
	v_cndmask_b32_e64 v70, v33, v18, s1
; %bb.704:                              ;   in Loop: Header=BB462_8 Depth=1
	s_or_b32 exec_lo, exec_lo, s2
	v_lshrrev_b32_e32 v71, 16, v30
	v_mov_b32_e32 v18, 0
	s_mov_b32 s2, exec_lo
	s_delay_alu instid0(VALU_DEP_2) | instskip(NEXT) | instid1(VALU_DEP_1)
	v_and_b32_e32 v32, 0xff, v71
	v_cmpx_ne_u16_e32 0, v32
	s_cbranch_execz .LBB462_712
; %bb.705:                              ;   in Loop: Header=BB462_8 Depth=1
	v_bfrev_b32_e32 v18, 1
	s_mov_b32 s18, exec_lo
	v_cmpx_ne_u16_e32 0x80, v32
	s_cbranch_execz .LBB462_711
; %bb.706:                              ;   in Loop: Header=BB462_8 Depth=1
	v_bfe_u32 v32, v30, 16, 7
	v_mov_b32_e32 v18, 0x7f800001
	s_mov_b32 s19, exec_lo
	s_delay_alu instid0(VALU_DEP_2)
	v_cmpx_ne_u32_e32 0x7f, v32
	s_cbranch_execz .LBB462_710
; %bb.707:                              ;   in Loop: Header=BB462_8 Depth=1
	v_and_b32_e32 v18, 7, v71
	v_lshrrev_b32_e32 v80, 3, v32
	v_cmp_gt_u32_e64 s1, 8, v32
	s_delay_alu instid0(VALU_DEP_3) | instskip(NEXT) | instid1(VALU_DEP_2)
	v_dual_mov_b32 v33, v19 :: v_dual_mov_b32 v32, v18
	s_and_saveexec_b32 s20, s1
; %bb.708:                              ;   in Loop: Header=BB462_8 Depth=1
	v_clz_i32_u32_e32 v32, v18
	s_delay_alu instid0(VALU_DEP_1) | instskip(NEXT) | instid1(VALU_DEP_1)
	v_min_u32_e32 v80, 32, v32
	v_subrev_nc_u32_e32 v32, 28, v80
	v_sub_nc_u32_e32 v80, 29, v80
	s_delay_alu instid0(VALU_DEP_2) | instskip(NEXT) | instid1(VALU_DEP_1)
	v_lshlrev_b64 v[32:33], v32, v[18:19]
	v_and_b32_e32 v32, 7, v32
; %bb.709:                              ;   in Loop: Header=BB462_8 Depth=1
	s_or_b32 exec_lo, exec_lo, s20
	v_lshlrev_b32_e32 v18, 24, v71
	s_delay_alu instid0(VALU_DEP_2) | instskip(SKIP_1) | instid1(VALU_DEP_3)
	v_lshlrev_b32_e32 v32, 20, v32
	v_lshl_add_u32 v33, v80, 23, 0x3c000000
	v_and_b32_e32 v18, 0x80000000, v18
	s_delay_alu instid0(VALU_DEP_1)
	v_or3_b32 v18, v32, v18, v33
.LBB462_710:                            ;   in Loop: Header=BB462_8 Depth=1
	s_or_b32 exec_lo, exec_lo, s19
.LBB462_711:                            ;   in Loop: Header=BB462_8 Depth=1
	s_delay_alu instid0(SALU_CYCLE_1)
	s_or_b32 exec_lo, exec_lo, s18
.LBB462_712:                            ;   in Loop: Header=BB462_8 Depth=1
	s_delay_alu instid0(SALU_CYCLE_1) | instskip(NEXT) | instid1(VALU_DEP_1)
	s_or_b32 exec_lo, exec_lo, s2
	v_mul_f32_e32 v18, v152, v18
                                        ; implicit-def: $vgpr71
	s_delay_alu instid0(VALU_DEP_1) | instskip(NEXT) | instid1(VALU_DEP_1)
	v_and_b32_e32 v32, 0x7f800000, v18
	v_cmp_ne_u32_e64 s1, 0x7f800000, v32
	s_delay_alu instid0(VALU_DEP_1) | instskip(NEXT) | instid1(SALU_CYCLE_1)
	s_and_saveexec_b32 s2, s1
	s_xor_b32 s1, exec_lo, s2
; %bb.713:                              ;   in Loop: Header=BB462_8 Depth=1
	v_bfe_u32 v32, v18, 16, 1
	s_delay_alu instid0(VALU_DEP_1)
	v_add3_u32 v71, v18, v32, 0x7fff
                                        ; implicit-def: $vgpr18
; %bb.714:                              ;   in Loop: Header=BB462_8 Depth=1
	s_and_not1_saveexec_b32 s2, s1
; %bb.715:                              ;   in Loop: Header=BB462_8 Depth=1
	v_and_b32_e32 v32, 0xffff, v18
	v_or_b32_e32 v33, 0x10000, v18
	s_delay_alu instid0(VALU_DEP_2) | instskip(NEXT) | instid1(VALU_DEP_1)
	v_cmp_eq_u32_e64 s1, 0, v32
	v_cndmask_b32_e64 v71, v33, v18, s1
; %bb.716:                              ;   in Loop: Header=BB462_8 Depth=1
	s_or_b32 exec_lo, exec_lo, s2
	v_mov_b32_e32 v18, 0
	s_mov_b32 s2, exec_lo
	v_cmpx_lt_u32_e32 0xffffff, v30
	s_cbranch_execz .LBB462_724
; %bb.717:                              ;   in Loop: Header=BB462_8 Depth=1
	v_lshrrev_b32_e32 v80, 24, v30
	v_bfrev_b32_e32 v18, 1
	s_mov_b32 s18, exec_lo
	s_delay_alu instid0(VALU_DEP_2)
	v_cmpx_ne_u32_e32 0x80, v80
	s_cbranch_execz .LBB462_723
; %bb.718:                              ;   in Loop: Header=BB462_8 Depth=1
	v_bfe_u32 v32, v30, 24, 7
	v_mov_b32_e32 v18, 0x7f800001
	s_mov_b32 s19, exec_lo
	s_delay_alu instid0(VALU_DEP_2)
	v_cmpx_ne_u32_e32 0x7f, v32
	s_cbranch_execz .LBB462_722
; %bb.719:                              ;   in Loop: Header=BB462_8 Depth=1
	v_and_b32_e32 v18, 7, v80
	v_lshrrev_b32_e32 v81, 3, v32
	v_cmp_gt_u32_e64 s1, 8, v32
	s_delay_alu instid0(VALU_DEP_3) | instskip(NEXT) | instid1(VALU_DEP_2)
	v_dual_mov_b32 v33, v19 :: v_dual_mov_b32 v32, v18
	s_and_saveexec_b32 s20, s1
; %bb.720:                              ;   in Loop: Header=BB462_8 Depth=1
	v_clz_i32_u32_e32 v32, v18
	s_delay_alu instid0(VALU_DEP_1) | instskip(NEXT) | instid1(VALU_DEP_1)
	v_min_u32_e32 v81, 32, v32
	v_subrev_nc_u32_e32 v32, 28, v81
	v_sub_nc_u32_e32 v81, 29, v81
	s_delay_alu instid0(VALU_DEP_2) | instskip(NEXT) | instid1(VALU_DEP_1)
	v_lshlrev_b64 v[32:33], v32, v[18:19]
	v_and_b32_e32 v32, 7, v32
; %bb.721:                              ;   in Loop: Header=BB462_8 Depth=1
	s_or_b32 exec_lo, exec_lo, s20
	v_lshlrev_b32_e32 v18, 24, v80
	s_delay_alu instid0(VALU_DEP_2) | instskip(SKIP_1) | instid1(VALU_DEP_3)
	v_lshlrev_b32_e32 v32, 20, v32
	v_lshl_add_u32 v33, v81, 23, 0x3c000000
	v_and_b32_e32 v18, 0x80000000, v18
	s_delay_alu instid0(VALU_DEP_1)
	v_or3_b32 v18, v32, v18, v33
.LBB462_722:                            ;   in Loop: Header=BB462_8 Depth=1
	s_or_b32 exec_lo, exec_lo, s19
.LBB462_723:                            ;   in Loop: Header=BB462_8 Depth=1
	s_delay_alu instid0(SALU_CYCLE_1)
	s_or_b32 exec_lo, exec_lo, s18
.LBB462_724:                            ;   in Loop: Header=BB462_8 Depth=1
	s_delay_alu instid0(SALU_CYCLE_1) | instskip(NEXT) | instid1(VALU_DEP_1)
	s_or_b32 exec_lo, exec_lo, s2
	v_mul_f32_e32 v18, v152, v18
                                        ; implicit-def: $vgpr80
	s_delay_alu instid0(VALU_DEP_1) | instskip(NEXT) | instid1(VALU_DEP_1)
	v_and_b32_e32 v32, 0x7f800000, v18
	v_cmp_ne_u32_e64 s1, 0x7f800000, v32
	s_delay_alu instid0(VALU_DEP_1) | instskip(NEXT) | instid1(SALU_CYCLE_1)
	s_and_saveexec_b32 s2, s1
	s_xor_b32 s1, exec_lo, s2
; %bb.725:                              ;   in Loop: Header=BB462_8 Depth=1
	v_bfe_u32 v32, v18, 16, 1
	s_delay_alu instid0(VALU_DEP_1)
	v_add3_u32 v80, v18, v32, 0x7fff
                                        ; implicit-def: $vgpr18
; %bb.726:                              ;   in Loop: Header=BB462_8 Depth=1
	s_and_not1_saveexec_b32 s2, s1
; %bb.727:                              ;   in Loop: Header=BB462_8 Depth=1
	v_and_b32_e32 v32, 0xffff, v18
	v_or_b32_e32 v33, 0x10000, v18
	s_delay_alu instid0(VALU_DEP_2) | instskip(NEXT) | instid1(VALU_DEP_1)
	v_cmp_eq_u32_e64 s1, 0, v32
	v_cndmask_b32_e64 v80, v33, v18, s1
; %bb.728:                              ;   in Loop: Header=BB462_8 Depth=1
	s_or_b32 exec_lo, exec_lo, s2
	v_dual_mov_b32 v18, v31 :: v_dual_and_b32 v33, 0xff, v31
	v_mov_b32_e32 v32, 0
	s_mov_b32 s2, exec_lo
	s_delay_alu instid0(VALU_DEP_2)
	v_cmpx_ne_u16_e32 0, v33
	s_cbranch_execz .LBB462_736
; %bb.729:                              ;   in Loop: Header=BB462_8 Depth=1
	v_bfrev_b32_e32 v32, 1
	s_mov_b32 s18, exec_lo
	v_cmpx_ne_u16_e32 0x80, v33
	s_cbranch_execz .LBB462_735
; %bb.730:                              ;   in Loop: Header=BB462_8 Depth=1
	v_and_b32_e32 v33, 0x7f, v31
	v_mov_b32_e32 v32, 0x7f800001
	s_mov_b32 s19, exec_lo
	s_delay_alu instid0(VALU_DEP_2)
	v_cmpx_ne_u32_e32 0x7f, v33
	s_cbranch_execz .LBB462_734
; %bb.731:                              ;   in Loop: Header=BB462_8 Depth=1
	v_lshrrev_b32_e32 v81, 3, v33
	v_cmp_gt_u32_e64 s1, 8, v33
	v_dual_mov_b32 v33, v19 :: v_dual_mov_b32 v32, v18
	s_delay_alu instid0(VALU_DEP_2)
	s_and_saveexec_b32 s20, s1
; %bb.732:                              ;   in Loop: Header=BB462_8 Depth=1
	v_and_b32_e32 v32, 7, v31
	s_delay_alu instid0(VALU_DEP_1) | instskip(NEXT) | instid1(VALU_DEP_1)
	v_clz_i32_u32_e32 v32, v32
	v_min_u32_e32 v81, 32, v32
	s_delay_alu instid0(VALU_DEP_1) | instskip(SKIP_1) | instid1(VALU_DEP_2)
	v_subrev_nc_u32_e32 v32, 28, v81
	v_sub_nc_u32_e32 v81, 29, v81
	v_lshlrev_b64 v[32:33], v32, v[18:19]
; %bb.733:                              ;   in Loop: Header=BB462_8 Depth=1
	s_or_b32 exec_lo, exec_lo, s20
	s_delay_alu instid0(VALU_DEP_1) | instskip(SKIP_2) | instid1(VALU_DEP_3)
	v_lshlrev_b32_e32 v32, 20, v32
	v_lshlrev_b32_e32 v33, 24, v18
	v_lshl_add_u32 v81, v81, 23, 0x3c000000
	v_and_b32_e32 v32, 0x700000, v32
	s_delay_alu instid0(VALU_DEP_3) | instskip(NEXT) | instid1(VALU_DEP_1)
	v_and_b32_e32 v33, 0x80000000, v33
	v_or3_b32 v32, v32, v33, v81
.LBB462_734:                            ;   in Loop: Header=BB462_8 Depth=1
	s_or_b32 exec_lo, exec_lo, s19
.LBB462_735:                            ;   in Loop: Header=BB462_8 Depth=1
	s_delay_alu instid0(SALU_CYCLE_1)
	s_or_b32 exec_lo, exec_lo, s18
.LBB462_736:                            ;   in Loop: Header=BB462_8 Depth=1
	s_delay_alu instid0(SALU_CYCLE_1) | instskip(NEXT) | instid1(VALU_DEP_1)
	s_or_b32 exec_lo, exec_lo, s2
	v_mul_f32_e32 v32, v152, v32
                                        ; implicit-def: $vgpr81
	s_delay_alu instid0(VALU_DEP_1) | instskip(NEXT) | instid1(VALU_DEP_1)
	v_and_b32_e32 v33, 0x7f800000, v32
	v_cmp_ne_u32_e64 s1, 0x7f800000, v33
	s_delay_alu instid0(VALU_DEP_1) | instskip(NEXT) | instid1(SALU_CYCLE_1)
	s_and_saveexec_b32 s2, s1
	s_xor_b32 s1, exec_lo, s2
; %bb.737:                              ;   in Loop: Header=BB462_8 Depth=1
	v_bfe_u32 v33, v32, 16, 1
	s_delay_alu instid0(VALU_DEP_1)
	v_add3_u32 v81, v32, v33, 0x7fff
                                        ; implicit-def: $vgpr32
; %bb.738:                              ;   in Loop: Header=BB462_8 Depth=1
	s_and_not1_saveexec_b32 s2, s1
; %bb.739:                              ;   in Loop: Header=BB462_8 Depth=1
	v_and_b32_e32 v33, 0xffff, v32
	v_or_b32_e32 v81, 0x10000, v32
	s_delay_alu instid0(VALU_DEP_2) | instskip(NEXT) | instid1(VALU_DEP_1)
	v_cmp_eq_u32_e64 s1, 0, v33
	v_cndmask_b32_e64 v81, v81, v32, s1
; %bb.740:                              ;   in Loop: Header=BB462_8 Depth=1
	s_or_b32 exec_lo, exec_lo, s2
	v_lshrrev_b16 v33, 8, v18
	v_mov_b32_e32 v32, 0
	s_mov_b32 s2, exec_lo
	s_delay_alu instid0(VALU_DEP_2)
	v_cmpx_ne_u16_e32 0, v33
	s_cbranch_execz .LBB462_748
; %bb.741:                              ;   in Loop: Header=BB462_8 Depth=1
	v_bfrev_b32_e32 v32, 1
	s_mov_b32 s18, exec_lo
	v_cmpx_ne_u16_e32 0x80, v33
	s_cbranch_execz .LBB462_747
; %bb.742:                              ;   in Loop: Header=BB462_8 Depth=1
	v_and_b32_e32 v33, 0xffff, v33
	v_mov_b32_e32 v32, 0x7f800001
	s_mov_b32 s19, exec_lo
	s_delay_alu instid0(VALU_DEP_2) | instskip(NEXT) | instid1(VALU_DEP_1)
	v_and_b32_e32 v83, 0x7f, v33
	v_cmpx_ne_u32_e32 0x7f, v83
	s_cbranch_execz .LBB462_746
; %bb.743:                              ;   in Loop: Header=BB462_8 Depth=1
	v_dual_mov_b32 v33, v19 :: v_dual_and_b32 v32, 7, v33
	v_lshrrev_b32_e32 v82, 3, v83
	s_mov_b32 s20, exec_lo
	v_cmpx_gt_u32_e32 8, v83
; %bb.744:                              ;   in Loop: Header=BB462_8 Depth=1
	s_delay_alu instid0(VALU_DEP_3) | instskip(NEXT) | instid1(VALU_DEP_1)
	v_clz_i32_u32_e32 v82, v32
	v_min_u32_e32 v82, 32, v82
	s_delay_alu instid0(VALU_DEP_1) | instskip(SKIP_1) | instid1(VALU_DEP_2)
	v_subrev_nc_u32_e32 v83, 28, v82
	v_sub_nc_u32_e32 v82, 29, v82
	v_lshlrev_b64 v[32:33], v83, v[32:33]
	s_delay_alu instid0(VALU_DEP_1)
	v_and_b32_e32 v32, 7, v32
; %bb.745:                              ;   in Loop: Header=BB462_8 Depth=1
	s_or_b32 exec_lo, exec_lo, s20
	v_lshlrev_b32_e32 v18, 16, v18
	s_delay_alu instid0(VALU_DEP_2) | instskip(SKIP_1) | instid1(VALU_DEP_3)
	v_lshlrev_b32_e32 v32, 20, v32
	v_lshl_add_u32 v33, v82, 23, 0x3c000000
	v_and_b32_e32 v18, 0x80000000, v18
	s_delay_alu instid0(VALU_DEP_1)
	v_or3_b32 v32, v32, v18, v33
.LBB462_746:                            ;   in Loop: Header=BB462_8 Depth=1
	s_or_b32 exec_lo, exec_lo, s19
.LBB462_747:                            ;   in Loop: Header=BB462_8 Depth=1
	s_delay_alu instid0(SALU_CYCLE_1)
	s_or_b32 exec_lo, exec_lo, s18
.LBB462_748:                            ;   in Loop: Header=BB462_8 Depth=1
	s_delay_alu instid0(SALU_CYCLE_1) | instskip(NEXT) | instid1(VALU_DEP_1)
	s_or_b32 exec_lo, exec_lo, s2
	v_mul_f32_e32 v18, v152, v32
                                        ; implicit-def: $vgpr82
	s_delay_alu instid0(VALU_DEP_1) | instskip(NEXT) | instid1(VALU_DEP_1)
	v_and_b32_e32 v32, 0x7f800000, v18
	v_cmp_ne_u32_e64 s1, 0x7f800000, v32
	s_delay_alu instid0(VALU_DEP_1) | instskip(NEXT) | instid1(SALU_CYCLE_1)
	s_and_saveexec_b32 s2, s1
	s_xor_b32 s1, exec_lo, s2
; %bb.749:                              ;   in Loop: Header=BB462_8 Depth=1
	v_bfe_u32 v32, v18, 16, 1
	s_delay_alu instid0(VALU_DEP_1)
	v_add3_u32 v82, v18, v32, 0x7fff
                                        ; implicit-def: $vgpr18
; %bb.750:                              ;   in Loop: Header=BB462_8 Depth=1
	s_and_not1_saveexec_b32 s2, s1
; %bb.751:                              ;   in Loop: Header=BB462_8 Depth=1
	v_and_b32_e32 v32, 0xffff, v18
	v_or_b32_e32 v33, 0x10000, v18
	s_delay_alu instid0(VALU_DEP_2) | instskip(NEXT) | instid1(VALU_DEP_1)
	v_cmp_eq_u32_e64 s1, 0, v32
	v_cndmask_b32_e64 v82, v33, v18, s1
; %bb.752:                              ;   in Loop: Header=BB462_8 Depth=1
	s_or_b32 exec_lo, exec_lo, s2
	v_lshrrev_b32_e32 v83, 16, v31
	v_mov_b32_e32 v18, 0
	s_mov_b32 s2, exec_lo
	s_delay_alu instid0(VALU_DEP_2) | instskip(NEXT) | instid1(VALU_DEP_1)
	v_and_b32_e32 v32, 0xff, v83
	v_cmpx_ne_u16_e32 0, v32
	s_cbranch_execz .LBB462_760
; %bb.753:                              ;   in Loop: Header=BB462_8 Depth=1
	v_bfrev_b32_e32 v18, 1
	s_mov_b32 s18, exec_lo
	v_cmpx_ne_u16_e32 0x80, v32
	s_cbranch_execz .LBB462_759
; %bb.754:                              ;   in Loop: Header=BB462_8 Depth=1
	v_bfe_u32 v32, v31, 16, 7
	v_mov_b32_e32 v18, 0x7f800001
	s_mov_b32 s19, exec_lo
	s_delay_alu instid0(VALU_DEP_2)
	v_cmpx_ne_u32_e32 0x7f, v32
	s_cbranch_execz .LBB462_758
; %bb.755:                              ;   in Loop: Header=BB462_8 Depth=1
	v_and_b32_e32 v18, 7, v83
	v_lshrrev_b32_e32 v84, 3, v32
	v_cmp_gt_u32_e64 s1, 8, v32
	s_delay_alu instid0(VALU_DEP_3) | instskip(NEXT) | instid1(VALU_DEP_2)
	v_dual_mov_b32 v33, v19 :: v_dual_mov_b32 v32, v18
	s_and_saveexec_b32 s20, s1
; %bb.756:                              ;   in Loop: Header=BB462_8 Depth=1
	v_clz_i32_u32_e32 v32, v18
	s_delay_alu instid0(VALU_DEP_1) | instskip(NEXT) | instid1(VALU_DEP_1)
	v_min_u32_e32 v84, 32, v32
	v_subrev_nc_u32_e32 v32, 28, v84
	v_sub_nc_u32_e32 v84, 29, v84
	s_delay_alu instid0(VALU_DEP_2) | instskip(NEXT) | instid1(VALU_DEP_1)
	v_lshlrev_b64 v[32:33], v32, v[18:19]
	v_and_b32_e32 v32, 7, v32
; %bb.757:                              ;   in Loop: Header=BB462_8 Depth=1
	s_or_b32 exec_lo, exec_lo, s20
	v_lshlrev_b32_e32 v18, 24, v83
	s_delay_alu instid0(VALU_DEP_2) | instskip(SKIP_1) | instid1(VALU_DEP_3)
	v_lshlrev_b32_e32 v32, 20, v32
	v_lshl_add_u32 v33, v84, 23, 0x3c000000
	v_and_b32_e32 v18, 0x80000000, v18
	s_delay_alu instid0(VALU_DEP_1)
	v_or3_b32 v18, v32, v18, v33
.LBB462_758:                            ;   in Loop: Header=BB462_8 Depth=1
	s_or_b32 exec_lo, exec_lo, s19
.LBB462_759:                            ;   in Loop: Header=BB462_8 Depth=1
	s_delay_alu instid0(SALU_CYCLE_1)
	s_or_b32 exec_lo, exec_lo, s18
.LBB462_760:                            ;   in Loop: Header=BB462_8 Depth=1
	s_delay_alu instid0(SALU_CYCLE_1) | instskip(NEXT) | instid1(VALU_DEP_1)
	s_or_b32 exec_lo, exec_lo, s2
	v_mul_f32_e32 v18, v152, v18
                                        ; implicit-def: $vgpr83
	s_delay_alu instid0(VALU_DEP_1) | instskip(NEXT) | instid1(VALU_DEP_1)
	v_and_b32_e32 v32, 0x7f800000, v18
	v_cmp_ne_u32_e64 s1, 0x7f800000, v32
	s_delay_alu instid0(VALU_DEP_1) | instskip(NEXT) | instid1(SALU_CYCLE_1)
	s_and_saveexec_b32 s2, s1
	s_xor_b32 s1, exec_lo, s2
; %bb.761:                              ;   in Loop: Header=BB462_8 Depth=1
	v_bfe_u32 v32, v18, 16, 1
	s_delay_alu instid0(VALU_DEP_1)
	v_add3_u32 v83, v18, v32, 0x7fff
                                        ; implicit-def: $vgpr18
; %bb.762:                              ;   in Loop: Header=BB462_8 Depth=1
	s_and_not1_saveexec_b32 s2, s1
; %bb.763:                              ;   in Loop: Header=BB462_8 Depth=1
	v_and_b32_e32 v32, 0xffff, v18
	v_or_b32_e32 v33, 0x10000, v18
	s_delay_alu instid0(VALU_DEP_2) | instskip(NEXT) | instid1(VALU_DEP_1)
	v_cmp_eq_u32_e64 s1, 0, v32
	v_cndmask_b32_e64 v83, v33, v18, s1
; %bb.764:                              ;   in Loop: Header=BB462_8 Depth=1
	s_or_b32 exec_lo, exec_lo, s2
	v_mov_b32_e32 v18, 0
	s_mov_b32 s2, exec_lo
	v_cmpx_lt_u64_e64 s[8:9], v[30:31]
	s_cbranch_execz .LBB462_772
; %bb.765:                              ;   in Loop: Header=BB462_8 Depth=1
	v_lshrrev_b32_e32 v32, 24, v31
	v_bfrev_b32_e32 v18, 1
	s_mov_b32 s18, exec_lo
	s_delay_alu instid0(VALU_DEP_2)
	v_cmpx_ne_u32_e32 0x80, v32
	s_cbranch_execz .LBB462_771
; %bb.766:                              ;   in Loop: Header=BB462_8 Depth=1
	v_bfe_u32 v30, v31, 24, 7
	v_mov_b32_e32 v18, 0x7f800001
	s_mov_b32 s19, exec_lo
	s_delay_alu instid0(VALU_DEP_2)
	v_cmpx_ne_u32_e32 0x7f, v30
	s_cbranch_execz .LBB462_770
; %bb.767:                              ;   in Loop: Header=BB462_8 Depth=1
	v_and_b32_e32 v18, 7, v32
	v_lshrrev_b32_e32 v33, 3, v30
	v_cmp_gt_u32_e64 s1, 8, v30
	s_delay_alu instid0(VALU_DEP_3) | instskip(NEXT) | instid1(VALU_DEP_2)
	v_dual_mov_b32 v31, v19 :: v_dual_mov_b32 v30, v18
	s_and_saveexec_b32 s20, s1
; %bb.768:                              ;   in Loop: Header=BB462_8 Depth=1
	v_clz_i32_u32_e32 v30, v18
	s_delay_alu instid0(VALU_DEP_1) | instskip(NEXT) | instid1(VALU_DEP_1)
	v_min_u32_e32 v33, 32, v30
	v_subrev_nc_u32_e32 v30, 28, v33
	v_sub_nc_u32_e32 v33, 29, v33
	s_delay_alu instid0(VALU_DEP_2) | instskip(NEXT) | instid1(VALU_DEP_1)
	v_lshlrev_b64 v[30:31], v30, v[18:19]
	v_and_b32_e32 v30, 7, v30
; %bb.769:                              ;   in Loop: Header=BB462_8 Depth=1
	s_or_b32 exec_lo, exec_lo, s20
	v_lshlrev_b32_e32 v18, 24, v32
	s_delay_alu instid0(VALU_DEP_2) | instskip(SKIP_1) | instid1(VALU_DEP_3)
	v_lshlrev_b32_e32 v30, 20, v30
	v_lshl_add_u32 v31, v33, 23, 0x3c000000
	v_and_b32_e32 v18, 0x80000000, v18
	s_delay_alu instid0(VALU_DEP_1)
	v_or3_b32 v18, v30, v18, v31
.LBB462_770:                            ;   in Loop: Header=BB462_8 Depth=1
	s_or_b32 exec_lo, exec_lo, s19
.LBB462_771:                            ;   in Loop: Header=BB462_8 Depth=1
	s_delay_alu instid0(SALU_CYCLE_1)
	s_or_b32 exec_lo, exec_lo, s18
.LBB462_772:                            ;   in Loop: Header=BB462_8 Depth=1
	s_delay_alu instid0(SALU_CYCLE_1) | instskip(NEXT) | instid1(VALU_DEP_1)
	s_or_b32 exec_lo, exec_lo, s2
	v_mul_f32_e32 v18, v152, v18
                                        ; implicit-def: $vgpr84
	s_delay_alu instid0(VALU_DEP_1) | instskip(NEXT) | instid1(VALU_DEP_1)
	v_and_b32_e32 v30, 0x7f800000, v18
	v_cmp_ne_u32_e64 s1, 0x7f800000, v30
	s_delay_alu instid0(VALU_DEP_1) | instskip(NEXT) | instid1(SALU_CYCLE_1)
	s_and_saveexec_b32 s2, s1
	s_xor_b32 s1, exec_lo, s2
; %bb.773:                              ;   in Loop: Header=BB462_8 Depth=1
	v_bfe_u32 v30, v18, 16, 1
	s_delay_alu instid0(VALU_DEP_1)
	v_add3_u32 v84, v18, v30, 0x7fff
                                        ; implicit-def: $vgpr18
; %bb.774:                              ;   in Loop: Header=BB462_8 Depth=1
	s_and_not1_saveexec_b32 s2, s1
; %bb.775:                              ;   in Loop: Header=BB462_8 Depth=1
	v_and_b32_e32 v30, 0xffff, v18
	v_or_b32_e32 v31, 0x10000, v18
	s_delay_alu instid0(VALU_DEP_2) | instskip(NEXT) | instid1(VALU_DEP_1)
	v_cmp_eq_u32_e64 s1, 0, v30
	v_cndmask_b32_e64 v84, v31, v18, s1
; %bb.776:                              ;   in Loop: Header=BB462_8 Depth=1
	s_or_b32 exec_lo, exec_lo, s2
	flat_load_b64 v[30:31], v[28:29] offset:2048
	v_mov_b32_e32 v18, 0
	s_mov_b32 s2, exec_lo
	s_waitcnt vmcnt(0) lgkmcnt(0)
	v_and_b32_e32 v32, 0xff, v30
	s_delay_alu instid0(VALU_DEP_1)
	v_cmpx_ne_u16_e32 0, v32
	s_cbranch_execz .LBB462_784
; %bb.777:                              ;   in Loop: Header=BB462_8 Depth=1
	v_bfrev_b32_e32 v18, 1
	s_mov_b32 s18, exec_lo
	v_cmpx_ne_u16_e32 0x80, v32
	s_cbranch_execz .LBB462_783
; %bb.778:                              ;   in Loop: Header=BB462_8 Depth=1
	v_and_b32_e32 v32, 0x7f, v30
	v_mov_b32_e32 v18, 0x7f800001
	s_mov_b32 s19, exec_lo
	s_delay_alu instid0(VALU_DEP_2)
	v_cmpx_ne_u32_e32 0x7f, v32
	s_cbranch_execz .LBB462_782
; %bb.779:                              ;   in Loop: Header=BB462_8 Depth=1
	v_lshrrev_b32_e32 v18, 3, v32
	v_cmp_gt_u32_e64 s1, 8, v32
	v_dual_mov_b32 v33, v31 :: v_dual_mov_b32 v32, v30
	s_delay_alu instid0(VALU_DEP_2)
	s_and_saveexec_b32 s20, s1
; %bb.780:                              ;   in Loop: Header=BB462_8 Depth=1
	v_and_b32_e32 v18, 7, v30
	s_delay_alu instid0(VALU_DEP_1) | instskip(NEXT) | instid1(VALU_DEP_1)
	v_clz_i32_u32_e32 v18, v18
	v_min_u32_e32 v18, 32, v18
	s_delay_alu instid0(VALU_DEP_1) | instskip(SKIP_1) | instid1(VALU_DEP_2)
	v_subrev_nc_u32_e32 v32, 28, v18
	v_sub_nc_u32_e32 v18, 29, v18
	v_lshlrev_b64 v[32:33], v32, v[30:31]
; %bb.781:                              ;   in Loop: Header=BB462_8 Depth=1
	s_or_b32 exec_lo, exec_lo, s20
	s_delay_alu instid0(VALU_DEP_1) | instskip(SKIP_2) | instid1(VALU_DEP_3)
	v_lshlrev_b32_e32 v32, 20, v32
	v_lshlrev_b32_e32 v33, 24, v30
	v_lshl_add_u32 v18, v18, 23, 0x3c000000
	v_and_b32_e32 v32, 0x700000, v32
	s_delay_alu instid0(VALU_DEP_3) | instskip(NEXT) | instid1(VALU_DEP_1)
	v_and_b32_e32 v33, 0x80000000, v33
	v_or3_b32 v18, v32, v33, v18
.LBB462_782:                            ;   in Loop: Header=BB462_8 Depth=1
	s_or_b32 exec_lo, exec_lo, s19
.LBB462_783:                            ;   in Loop: Header=BB462_8 Depth=1
	s_delay_alu instid0(SALU_CYCLE_1)
	s_or_b32 exec_lo, exec_lo, s18
.LBB462_784:                            ;   in Loop: Header=BB462_8 Depth=1
	s_delay_alu instid0(SALU_CYCLE_1) | instskip(NEXT) | instid1(VALU_DEP_1)
	s_or_b32 exec_lo, exec_lo, s2
	v_mul_f32_e32 v18, v152, v18
                                        ; implicit-def: $vgpr85
	s_delay_alu instid0(VALU_DEP_1) | instskip(NEXT) | instid1(VALU_DEP_1)
	v_and_b32_e32 v32, 0x7f800000, v18
	v_cmp_ne_u32_e64 s1, 0x7f800000, v32
	s_delay_alu instid0(VALU_DEP_1) | instskip(NEXT) | instid1(SALU_CYCLE_1)
	s_and_saveexec_b32 s2, s1
	s_xor_b32 s1, exec_lo, s2
; %bb.785:                              ;   in Loop: Header=BB462_8 Depth=1
	v_bfe_u32 v32, v18, 16, 1
	s_delay_alu instid0(VALU_DEP_1)
	v_add3_u32 v85, v18, v32, 0x7fff
                                        ; implicit-def: $vgpr18
; %bb.786:                              ;   in Loop: Header=BB462_8 Depth=1
	s_and_not1_saveexec_b32 s2, s1
; %bb.787:                              ;   in Loop: Header=BB462_8 Depth=1
	v_and_b32_e32 v32, 0xffff, v18
	v_or_b32_e32 v33, 0x10000, v18
	s_delay_alu instid0(VALU_DEP_2) | instskip(NEXT) | instid1(VALU_DEP_1)
	v_cmp_eq_u32_e64 s1, 0, v32
	v_cndmask_b32_e64 v85, v33, v18, s1
; %bb.788:                              ;   in Loop: Header=BB462_8 Depth=1
	s_or_b32 exec_lo, exec_lo, s2
	v_lshrrev_b16 v32, 8, v30
	v_mov_b32_e32 v18, 0
	s_mov_b32 s2, exec_lo
	s_delay_alu instid0(VALU_DEP_2)
	v_cmpx_ne_u16_e32 0, v32
	s_cbranch_execz .LBB462_796
; %bb.789:                              ;   in Loop: Header=BB462_8 Depth=1
	v_bfrev_b32_e32 v18, 1
	s_mov_b32 s18, exec_lo
	v_cmpx_ne_u16_e32 0x80, v32
	s_cbranch_execz .LBB462_795
; %bb.790:                              ;   in Loop: Header=BB462_8 Depth=1
	v_and_b32_e32 v33, 0xffff, v32
	v_mov_b32_e32 v18, 0x7f800001
	s_mov_b32 s19, exec_lo
	s_delay_alu instid0(VALU_DEP_2) | instskip(NEXT) | instid1(VALU_DEP_1)
	v_and_b32_e32 v32, 0x7f, v33
	v_cmpx_ne_u32_e32 0x7f, v32
	s_cbranch_execz .LBB462_794
; %bb.791:                              ;   in Loop: Header=BB462_8 Depth=1
	v_and_b32_e32 v18, 7, v33
	v_lshrrev_b32_e32 v86, 3, v32
	v_cmp_gt_u32_e64 s1, 8, v32
	s_delay_alu instid0(VALU_DEP_3) | instskip(NEXT) | instid1(VALU_DEP_2)
	v_dual_mov_b32 v33, v19 :: v_dual_mov_b32 v32, v18
	s_and_saveexec_b32 s20, s1
; %bb.792:                              ;   in Loop: Header=BB462_8 Depth=1
	v_clz_i32_u32_e32 v32, v18
	s_delay_alu instid0(VALU_DEP_1) | instskip(NEXT) | instid1(VALU_DEP_1)
	v_min_u32_e32 v86, 32, v32
	v_subrev_nc_u32_e32 v32, 28, v86
	v_sub_nc_u32_e32 v86, 29, v86
	s_delay_alu instid0(VALU_DEP_2) | instskip(NEXT) | instid1(VALU_DEP_1)
	v_lshlrev_b64 v[32:33], v32, v[18:19]
	v_and_b32_e32 v32, 7, v32
; %bb.793:                              ;   in Loop: Header=BB462_8 Depth=1
	s_or_b32 exec_lo, exec_lo, s20
	v_lshlrev_b32_e32 v18, 16, v30
	s_delay_alu instid0(VALU_DEP_2) | instskip(SKIP_1) | instid1(VALU_DEP_3)
	v_lshlrev_b32_e32 v32, 20, v32
	v_lshl_add_u32 v33, v86, 23, 0x3c000000
	v_and_b32_e32 v18, 0x80000000, v18
	s_delay_alu instid0(VALU_DEP_1)
	v_or3_b32 v18, v32, v18, v33
.LBB462_794:                            ;   in Loop: Header=BB462_8 Depth=1
	s_or_b32 exec_lo, exec_lo, s19
.LBB462_795:                            ;   in Loop: Header=BB462_8 Depth=1
	s_delay_alu instid0(SALU_CYCLE_1)
	s_or_b32 exec_lo, exec_lo, s18
.LBB462_796:                            ;   in Loop: Header=BB462_8 Depth=1
	s_delay_alu instid0(SALU_CYCLE_1) | instskip(NEXT) | instid1(VALU_DEP_1)
	s_or_b32 exec_lo, exec_lo, s2
	v_mul_f32_e32 v18, v152, v18
                                        ; implicit-def: $vgpr86
	s_delay_alu instid0(VALU_DEP_1) | instskip(NEXT) | instid1(VALU_DEP_1)
	v_and_b32_e32 v32, 0x7f800000, v18
	v_cmp_ne_u32_e64 s1, 0x7f800000, v32
	s_delay_alu instid0(VALU_DEP_1) | instskip(NEXT) | instid1(SALU_CYCLE_1)
	s_and_saveexec_b32 s2, s1
	s_xor_b32 s1, exec_lo, s2
; %bb.797:                              ;   in Loop: Header=BB462_8 Depth=1
	v_bfe_u32 v32, v18, 16, 1
	s_delay_alu instid0(VALU_DEP_1)
	v_add3_u32 v86, v18, v32, 0x7fff
                                        ; implicit-def: $vgpr18
; %bb.798:                              ;   in Loop: Header=BB462_8 Depth=1
	s_and_not1_saveexec_b32 s2, s1
; %bb.799:                              ;   in Loop: Header=BB462_8 Depth=1
	v_and_b32_e32 v32, 0xffff, v18
	v_or_b32_e32 v33, 0x10000, v18
	s_delay_alu instid0(VALU_DEP_2) | instskip(NEXT) | instid1(VALU_DEP_1)
	v_cmp_eq_u32_e64 s1, 0, v32
	v_cndmask_b32_e64 v86, v33, v18, s1
; %bb.800:                              ;   in Loop: Header=BB462_8 Depth=1
	s_or_b32 exec_lo, exec_lo, s2
	v_lshrrev_b32_e32 v87, 16, v30
	v_mov_b32_e32 v18, 0
	s_mov_b32 s2, exec_lo
	s_delay_alu instid0(VALU_DEP_2) | instskip(NEXT) | instid1(VALU_DEP_1)
	v_and_b32_e32 v32, 0xff, v87
	v_cmpx_ne_u16_e32 0, v32
	s_cbranch_execz .LBB462_808
; %bb.801:                              ;   in Loop: Header=BB462_8 Depth=1
	v_bfrev_b32_e32 v18, 1
	s_mov_b32 s18, exec_lo
	v_cmpx_ne_u16_e32 0x80, v32
	s_cbranch_execz .LBB462_807
; %bb.802:                              ;   in Loop: Header=BB462_8 Depth=1
	v_bfe_u32 v32, v30, 16, 7
	v_mov_b32_e32 v18, 0x7f800001
	s_mov_b32 s19, exec_lo
	s_delay_alu instid0(VALU_DEP_2)
	v_cmpx_ne_u32_e32 0x7f, v32
	s_cbranch_execz .LBB462_806
; %bb.803:                              ;   in Loop: Header=BB462_8 Depth=1
	v_and_b32_e32 v18, 7, v87
	v_lshrrev_b32_e32 v96, 3, v32
	v_cmp_gt_u32_e64 s1, 8, v32
	s_delay_alu instid0(VALU_DEP_3) | instskip(NEXT) | instid1(VALU_DEP_2)
	v_dual_mov_b32 v33, v19 :: v_dual_mov_b32 v32, v18
	s_and_saveexec_b32 s20, s1
; %bb.804:                              ;   in Loop: Header=BB462_8 Depth=1
	v_clz_i32_u32_e32 v32, v18
	s_delay_alu instid0(VALU_DEP_1) | instskip(NEXT) | instid1(VALU_DEP_1)
	v_min_u32_e32 v96, 32, v32
	v_subrev_nc_u32_e32 v32, 28, v96
	v_sub_nc_u32_e32 v96, 29, v96
	s_delay_alu instid0(VALU_DEP_2) | instskip(NEXT) | instid1(VALU_DEP_1)
	v_lshlrev_b64 v[32:33], v32, v[18:19]
	v_and_b32_e32 v32, 7, v32
; %bb.805:                              ;   in Loop: Header=BB462_8 Depth=1
	s_or_b32 exec_lo, exec_lo, s20
	v_lshlrev_b32_e32 v18, 24, v87
	s_delay_alu instid0(VALU_DEP_2) | instskip(SKIP_1) | instid1(VALU_DEP_3)
	v_lshlrev_b32_e32 v32, 20, v32
	v_lshl_add_u32 v33, v96, 23, 0x3c000000
	v_and_b32_e32 v18, 0x80000000, v18
	s_delay_alu instid0(VALU_DEP_1)
	v_or3_b32 v18, v32, v18, v33
.LBB462_806:                            ;   in Loop: Header=BB462_8 Depth=1
	s_or_b32 exec_lo, exec_lo, s19
.LBB462_807:                            ;   in Loop: Header=BB462_8 Depth=1
	s_delay_alu instid0(SALU_CYCLE_1)
	s_or_b32 exec_lo, exec_lo, s18
.LBB462_808:                            ;   in Loop: Header=BB462_8 Depth=1
	s_delay_alu instid0(SALU_CYCLE_1) | instskip(NEXT) | instid1(VALU_DEP_1)
	s_or_b32 exec_lo, exec_lo, s2
	v_mul_f32_e32 v18, v152, v18
                                        ; implicit-def: $vgpr87
	s_delay_alu instid0(VALU_DEP_1) | instskip(NEXT) | instid1(VALU_DEP_1)
	v_and_b32_e32 v32, 0x7f800000, v18
	v_cmp_ne_u32_e64 s1, 0x7f800000, v32
	s_delay_alu instid0(VALU_DEP_1) | instskip(NEXT) | instid1(SALU_CYCLE_1)
	s_and_saveexec_b32 s2, s1
	s_xor_b32 s1, exec_lo, s2
; %bb.809:                              ;   in Loop: Header=BB462_8 Depth=1
	v_bfe_u32 v32, v18, 16, 1
	s_delay_alu instid0(VALU_DEP_1)
	v_add3_u32 v87, v18, v32, 0x7fff
                                        ; implicit-def: $vgpr18
; %bb.810:                              ;   in Loop: Header=BB462_8 Depth=1
	s_and_not1_saveexec_b32 s2, s1
; %bb.811:                              ;   in Loop: Header=BB462_8 Depth=1
	v_and_b32_e32 v32, 0xffff, v18
	v_or_b32_e32 v33, 0x10000, v18
	s_delay_alu instid0(VALU_DEP_2) | instskip(NEXT) | instid1(VALU_DEP_1)
	v_cmp_eq_u32_e64 s1, 0, v32
	v_cndmask_b32_e64 v87, v33, v18, s1
; %bb.812:                              ;   in Loop: Header=BB462_8 Depth=1
	s_or_b32 exec_lo, exec_lo, s2
	v_mov_b32_e32 v18, 0
	s_mov_b32 s2, exec_lo
	v_cmpx_lt_u32_e32 0xffffff, v30
	s_cbranch_execz .LBB462_820
; %bb.813:                              ;   in Loop: Header=BB462_8 Depth=1
	v_lshrrev_b32_e32 v96, 24, v30
	v_bfrev_b32_e32 v18, 1
	s_mov_b32 s18, exec_lo
	s_delay_alu instid0(VALU_DEP_2)
	v_cmpx_ne_u32_e32 0x80, v96
	s_cbranch_execz .LBB462_819
; %bb.814:                              ;   in Loop: Header=BB462_8 Depth=1
	v_bfe_u32 v32, v30, 24, 7
	v_mov_b32_e32 v18, 0x7f800001
	s_mov_b32 s19, exec_lo
	s_delay_alu instid0(VALU_DEP_2)
	v_cmpx_ne_u32_e32 0x7f, v32
	s_cbranch_execz .LBB462_818
; %bb.815:                              ;   in Loop: Header=BB462_8 Depth=1
	v_and_b32_e32 v18, 7, v96
	v_lshrrev_b32_e32 v97, 3, v32
	v_cmp_gt_u32_e64 s1, 8, v32
	s_delay_alu instid0(VALU_DEP_3) | instskip(NEXT) | instid1(VALU_DEP_2)
	v_dual_mov_b32 v33, v19 :: v_dual_mov_b32 v32, v18
	s_and_saveexec_b32 s20, s1
; %bb.816:                              ;   in Loop: Header=BB462_8 Depth=1
	v_clz_i32_u32_e32 v32, v18
	s_delay_alu instid0(VALU_DEP_1) | instskip(NEXT) | instid1(VALU_DEP_1)
	v_min_u32_e32 v97, 32, v32
	v_subrev_nc_u32_e32 v32, 28, v97
	v_sub_nc_u32_e32 v97, 29, v97
	s_delay_alu instid0(VALU_DEP_2) | instskip(NEXT) | instid1(VALU_DEP_1)
	v_lshlrev_b64 v[32:33], v32, v[18:19]
	v_and_b32_e32 v32, 7, v32
; %bb.817:                              ;   in Loop: Header=BB462_8 Depth=1
	s_or_b32 exec_lo, exec_lo, s20
	v_lshlrev_b32_e32 v18, 24, v96
	s_delay_alu instid0(VALU_DEP_2) | instskip(SKIP_1) | instid1(VALU_DEP_3)
	v_lshlrev_b32_e32 v32, 20, v32
	v_lshl_add_u32 v33, v97, 23, 0x3c000000
	v_and_b32_e32 v18, 0x80000000, v18
	s_delay_alu instid0(VALU_DEP_1)
	v_or3_b32 v18, v32, v18, v33
.LBB462_818:                            ;   in Loop: Header=BB462_8 Depth=1
	s_or_b32 exec_lo, exec_lo, s19
.LBB462_819:                            ;   in Loop: Header=BB462_8 Depth=1
	s_delay_alu instid0(SALU_CYCLE_1)
	s_or_b32 exec_lo, exec_lo, s18
.LBB462_820:                            ;   in Loop: Header=BB462_8 Depth=1
	s_delay_alu instid0(SALU_CYCLE_1) | instskip(NEXT) | instid1(VALU_DEP_1)
	s_or_b32 exec_lo, exec_lo, s2
	v_mul_f32_e32 v18, v152, v18
                                        ; implicit-def: $vgpr96
	s_delay_alu instid0(VALU_DEP_1) | instskip(NEXT) | instid1(VALU_DEP_1)
	v_and_b32_e32 v32, 0x7f800000, v18
	v_cmp_ne_u32_e64 s1, 0x7f800000, v32
	s_delay_alu instid0(VALU_DEP_1) | instskip(NEXT) | instid1(SALU_CYCLE_1)
	s_and_saveexec_b32 s2, s1
	s_xor_b32 s1, exec_lo, s2
; %bb.821:                              ;   in Loop: Header=BB462_8 Depth=1
	v_bfe_u32 v32, v18, 16, 1
	s_delay_alu instid0(VALU_DEP_1)
	v_add3_u32 v96, v18, v32, 0x7fff
                                        ; implicit-def: $vgpr18
; %bb.822:                              ;   in Loop: Header=BB462_8 Depth=1
	s_and_not1_saveexec_b32 s2, s1
; %bb.823:                              ;   in Loop: Header=BB462_8 Depth=1
	v_and_b32_e32 v32, 0xffff, v18
	v_or_b32_e32 v33, 0x10000, v18
	s_delay_alu instid0(VALU_DEP_2) | instskip(NEXT) | instid1(VALU_DEP_1)
	v_cmp_eq_u32_e64 s1, 0, v32
	v_cndmask_b32_e64 v96, v33, v18, s1
; %bb.824:                              ;   in Loop: Header=BB462_8 Depth=1
	s_or_b32 exec_lo, exec_lo, s2
	v_dual_mov_b32 v18, v31 :: v_dual_and_b32 v33, 0xff, v31
	v_mov_b32_e32 v32, 0
	s_mov_b32 s2, exec_lo
	s_delay_alu instid0(VALU_DEP_2)
	v_cmpx_ne_u16_e32 0, v33
	s_cbranch_execz .LBB462_832
; %bb.825:                              ;   in Loop: Header=BB462_8 Depth=1
	v_bfrev_b32_e32 v32, 1
	s_mov_b32 s18, exec_lo
	v_cmpx_ne_u16_e32 0x80, v33
	s_cbranch_execz .LBB462_831
; %bb.826:                              ;   in Loop: Header=BB462_8 Depth=1
	v_and_b32_e32 v33, 0x7f, v31
	v_mov_b32_e32 v32, 0x7f800001
	s_mov_b32 s19, exec_lo
	s_delay_alu instid0(VALU_DEP_2)
	v_cmpx_ne_u32_e32 0x7f, v33
	s_cbranch_execz .LBB462_830
; %bb.827:                              ;   in Loop: Header=BB462_8 Depth=1
	v_lshrrev_b32_e32 v97, 3, v33
	v_cmp_gt_u32_e64 s1, 8, v33
	v_dual_mov_b32 v33, v19 :: v_dual_mov_b32 v32, v18
	s_delay_alu instid0(VALU_DEP_2)
	s_and_saveexec_b32 s20, s1
; %bb.828:                              ;   in Loop: Header=BB462_8 Depth=1
	v_and_b32_e32 v32, 7, v31
	s_delay_alu instid0(VALU_DEP_1) | instskip(NEXT) | instid1(VALU_DEP_1)
	v_clz_i32_u32_e32 v32, v32
	v_min_u32_e32 v97, 32, v32
	s_delay_alu instid0(VALU_DEP_1) | instskip(SKIP_1) | instid1(VALU_DEP_2)
	v_subrev_nc_u32_e32 v32, 28, v97
	v_sub_nc_u32_e32 v97, 29, v97
	v_lshlrev_b64 v[32:33], v32, v[18:19]
; %bb.829:                              ;   in Loop: Header=BB462_8 Depth=1
	s_or_b32 exec_lo, exec_lo, s20
	s_delay_alu instid0(VALU_DEP_1) | instskip(SKIP_2) | instid1(VALU_DEP_3)
	v_lshlrev_b32_e32 v32, 20, v32
	v_lshlrev_b32_e32 v33, 24, v18
	v_lshl_add_u32 v97, v97, 23, 0x3c000000
	v_and_b32_e32 v32, 0x700000, v32
	s_delay_alu instid0(VALU_DEP_3) | instskip(NEXT) | instid1(VALU_DEP_1)
	v_and_b32_e32 v33, 0x80000000, v33
	v_or3_b32 v32, v32, v33, v97
.LBB462_830:                            ;   in Loop: Header=BB462_8 Depth=1
	s_or_b32 exec_lo, exec_lo, s19
.LBB462_831:                            ;   in Loop: Header=BB462_8 Depth=1
	s_delay_alu instid0(SALU_CYCLE_1)
	s_or_b32 exec_lo, exec_lo, s18
.LBB462_832:                            ;   in Loop: Header=BB462_8 Depth=1
	s_delay_alu instid0(SALU_CYCLE_1) | instskip(NEXT) | instid1(VALU_DEP_1)
	s_or_b32 exec_lo, exec_lo, s2
	v_mul_f32_e32 v32, v152, v32
                                        ; implicit-def: $vgpr97
	s_delay_alu instid0(VALU_DEP_1) | instskip(NEXT) | instid1(VALU_DEP_1)
	v_and_b32_e32 v33, 0x7f800000, v32
	v_cmp_ne_u32_e64 s1, 0x7f800000, v33
	s_delay_alu instid0(VALU_DEP_1) | instskip(NEXT) | instid1(SALU_CYCLE_1)
	s_and_saveexec_b32 s2, s1
	s_xor_b32 s1, exec_lo, s2
; %bb.833:                              ;   in Loop: Header=BB462_8 Depth=1
	v_bfe_u32 v33, v32, 16, 1
	s_delay_alu instid0(VALU_DEP_1)
	v_add3_u32 v97, v32, v33, 0x7fff
                                        ; implicit-def: $vgpr32
; %bb.834:                              ;   in Loop: Header=BB462_8 Depth=1
	s_and_not1_saveexec_b32 s2, s1
; %bb.835:                              ;   in Loop: Header=BB462_8 Depth=1
	v_and_b32_e32 v33, 0xffff, v32
	v_or_b32_e32 v97, 0x10000, v32
	s_delay_alu instid0(VALU_DEP_2) | instskip(NEXT) | instid1(VALU_DEP_1)
	v_cmp_eq_u32_e64 s1, 0, v33
	v_cndmask_b32_e64 v97, v97, v32, s1
; %bb.836:                              ;   in Loop: Header=BB462_8 Depth=1
	s_or_b32 exec_lo, exec_lo, s2
	v_lshrrev_b16 v33, 8, v18
	v_mov_b32_e32 v32, 0
	s_mov_b32 s2, exec_lo
	s_delay_alu instid0(VALU_DEP_2)
	v_cmpx_ne_u16_e32 0, v33
	s_cbranch_execz .LBB462_844
; %bb.837:                              ;   in Loop: Header=BB462_8 Depth=1
	v_bfrev_b32_e32 v32, 1
	s_mov_b32 s18, exec_lo
	v_cmpx_ne_u16_e32 0x80, v33
	s_cbranch_execz .LBB462_843
; %bb.838:                              ;   in Loop: Header=BB462_8 Depth=1
	v_and_b32_e32 v33, 0xffff, v33
	v_mov_b32_e32 v32, 0x7f800001
	s_mov_b32 s19, exec_lo
	s_delay_alu instid0(VALU_DEP_2) | instskip(NEXT) | instid1(VALU_DEP_1)
	v_and_b32_e32 v99, 0x7f, v33
	v_cmpx_ne_u32_e32 0x7f, v99
	s_cbranch_execz .LBB462_842
; %bb.839:                              ;   in Loop: Header=BB462_8 Depth=1
	v_dual_mov_b32 v33, v19 :: v_dual_and_b32 v32, 7, v33
	v_lshrrev_b32_e32 v98, 3, v99
	s_mov_b32 s20, exec_lo
	v_cmpx_gt_u32_e32 8, v99
; %bb.840:                              ;   in Loop: Header=BB462_8 Depth=1
	s_delay_alu instid0(VALU_DEP_3) | instskip(NEXT) | instid1(VALU_DEP_1)
	v_clz_i32_u32_e32 v98, v32
	v_min_u32_e32 v98, 32, v98
	s_delay_alu instid0(VALU_DEP_1) | instskip(SKIP_1) | instid1(VALU_DEP_2)
	v_subrev_nc_u32_e32 v99, 28, v98
	v_sub_nc_u32_e32 v98, 29, v98
	v_lshlrev_b64 v[32:33], v99, v[32:33]
	s_delay_alu instid0(VALU_DEP_1)
	v_and_b32_e32 v32, 7, v32
; %bb.841:                              ;   in Loop: Header=BB462_8 Depth=1
	s_or_b32 exec_lo, exec_lo, s20
	v_lshlrev_b32_e32 v18, 16, v18
	s_delay_alu instid0(VALU_DEP_2) | instskip(SKIP_1) | instid1(VALU_DEP_3)
	v_lshlrev_b32_e32 v32, 20, v32
	v_lshl_add_u32 v33, v98, 23, 0x3c000000
	v_and_b32_e32 v18, 0x80000000, v18
	s_delay_alu instid0(VALU_DEP_1)
	v_or3_b32 v32, v32, v18, v33
.LBB462_842:                            ;   in Loop: Header=BB462_8 Depth=1
	s_or_b32 exec_lo, exec_lo, s19
.LBB462_843:                            ;   in Loop: Header=BB462_8 Depth=1
	s_delay_alu instid0(SALU_CYCLE_1)
	s_or_b32 exec_lo, exec_lo, s18
.LBB462_844:                            ;   in Loop: Header=BB462_8 Depth=1
	s_delay_alu instid0(SALU_CYCLE_1) | instskip(NEXT) | instid1(VALU_DEP_1)
	s_or_b32 exec_lo, exec_lo, s2
	v_mul_f32_e32 v18, v152, v32
                                        ; implicit-def: $vgpr98
	s_delay_alu instid0(VALU_DEP_1) | instskip(NEXT) | instid1(VALU_DEP_1)
	v_and_b32_e32 v32, 0x7f800000, v18
	v_cmp_ne_u32_e64 s1, 0x7f800000, v32
	s_delay_alu instid0(VALU_DEP_1) | instskip(NEXT) | instid1(SALU_CYCLE_1)
	s_and_saveexec_b32 s2, s1
	s_xor_b32 s1, exec_lo, s2
; %bb.845:                              ;   in Loop: Header=BB462_8 Depth=1
	v_bfe_u32 v32, v18, 16, 1
	s_delay_alu instid0(VALU_DEP_1)
	v_add3_u32 v98, v18, v32, 0x7fff
                                        ; implicit-def: $vgpr18
; %bb.846:                              ;   in Loop: Header=BB462_8 Depth=1
	s_and_not1_saveexec_b32 s2, s1
; %bb.847:                              ;   in Loop: Header=BB462_8 Depth=1
	v_and_b32_e32 v32, 0xffff, v18
	v_or_b32_e32 v33, 0x10000, v18
	s_delay_alu instid0(VALU_DEP_2) | instskip(NEXT) | instid1(VALU_DEP_1)
	v_cmp_eq_u32_e64 s1, 0, v32
	v_cndmask_b32_e64 v98, v33, v18, s1
; %bb.848:                              ;   in Loop: Header=BB462_8 Depth=1
	s_or_b32 exec_lo, exec_lo, s2
	v_lshrrev_b32_e32 v99, 16, v31
	v_mov_b32_e32 v18, 0
	s_mov_b32 s2, exec_lo
	s_delay_alu instid0(VALU_DEP_2) | instskip(NEXT) | instid1(VALU_DEP_1)
	v_and_b32_e32 v32, 0xff, v99
	v_cmpx_ne_u16_e32 0, v32
	s_cbranch_execz .LBB462_856
; %bb.849:                              ;   in Loop: Header=BB462_8 Depth=1
	v_bfrev_b32_e32 v18, 1
	s_mov_b32 s18, exec_lo
	v_cmpx_ne_u16_e32 0x80, v32
	s_cbranch_execz .LBB462_855
; %bb.850:                              ;   in Loop: Header=BB462_8 Depth=1
	v_bfe_u32 v32, v31, 16, 7
	v_mov_b32_e32 v18, 0x7f800001
	s_mov_b32 s19, exec_lo
	s_delay_alu instid0(VALU_DEP_2)
	v_cmpx_ne_u32_e32 0x7f, v32
	s_cbranch_execz .LBB462_854
; %bb.851:                              ;   in Loop: Header=BB462_8 Depth=1
	v_and_b32_e32 v18, 7, v99
	v_lshrrev_b32_e32 v100, 3, v32
	v_cmp_gt_u32_e64 s1, 8, v32
	s_delay_alu instid0(VALU_DEP_3) | instskip(NEXT) | instid1(VALU_DEP_2)
	v_dual_mov_b32 v33, v19 :: v_dual_mov_b32 v32, v18
	s_and_saveexec_b32 s20, s1
; %bb.852:                              ;   in Loop: Header=BB462_8 Depth=1
	v_clz_i32_u32_e32 v32, v18
	s_delay_alu instid0(VALU_DEP_1) | instskip(NEXT) | instid1(VALU_DEP_1)
	v_min_u32_e32 v100, 32, v32
	v_subrev_nc_u32_e32 v32, 28, v100
	v_sub_nc_u32_e32 v100, 29, v100
	s_delay_alu instid0(VALU_DEP_2) | instskip(NEXT) | instid1(VALU_DEP_1)
	v_lshlrev_b64 v[32:33], v32, v[18:19]
	v_and_b32_e32 v32, 7, v32
; %bb.853:                              ;   in Loop: Header=BB462_8 Depth=1
	s_or_b32 exec_lo, exec_lo, s20
	v_lshlrev_b32_e32 v18, 24, v99
	s_delay_alu instid0(VALU_DEP_2) | instskip(SKIP_1) | instid1(VALU_DEP_3)
	v_lshlrev_b32_e32 v32, 20, v32
	v_lshl_add_u32 v33, v100, 23, 0x3c000000
	v_and_b32_e32 v18, 0x80000000, v18
	s_delay_alu instid0(VALU_DEP_1)
	v_or3_b32 v18, v32, v18, v33
.LBB462_854:                            ;   in Loop: Header=BB462_8 Depth=1
	s_or_b32 exec_lo, exec_lo, s19
.LBB462_855:                            ;   in Loop: Header=BB462_8 Depth=1
	s_delay_alu instid0(SALU_CYCLE_1)
	s_or_b32 exec_lo, exec_lo, s18
.LBB462_856:                            ;   in Loop: Header=BB462_8 Depth=1
	s_delay_alu instid0(SALU_CYCLE_1) | instskip(NEXT) | instid1(VALU_DEP_1)
	s_or_b32 exec_lo, exec_lo, s2
	v_mul_f32_e32 v18, v152, v18
                                        ; implicit-def: $vgpr99
	s_delay_alu instid0(VALU_DEP_1) | instskip(NEXT) | instid1(VALU_DEP_1)
	v_and_b32_e32 v32, 0x7f800000, v18
	v_cmp_ne_u32_e64 s1, 0x7f800000, v32
	s_delay_alu instid0(VALU_DEP_1) | instskip(NEXT) | instid1(SALU_CYCLE_1)
	s_and_saveexec_b32 s2, s1
	s_xor_b32 s1, exec_lo, s2
; %bb.857:                              ;   in Loop: Header=BB462_8 Depth=1
	v_bfe_u32 v32, v18, 16, 1
	s_delay_alu instid0(VALU_DEP_1)
	v_add3_u32 v99, v18, v32, 0x7fff
                                        ; implicit-def: $vgpr18
; %bb.858:                              ;   in Loop: Header=BB462_8 Depth=1
	s_and_not1_saveexec_b32 s2, s1
; %bb.859:                              ;   in Loop: Header=BB462_8 Depth=1
	v_and_b32_e32 v32, 0xffff, v18
	v_or_b32_e32 v33, 0x10000, v18
	s_delay_alu instid0(VALU_DEP_2) | instskip(NEXT) | instid1(VALU_DEP_1)
	v_cmp_eq_u32_e64 s1, 0, v32
	v_cndmask_b32_e64 v99, v33, v18, s1
; %bb.860:                              ;   in Loop: Header=BB462_8 Depth=1
	s_or_b32 exec_lo, exec_lo, s2
	v_mov_b32_e32 v18, 0
	s_mov_b32 s2, exec_lo
	v_cmpx_lt_u64_e64 s[8:9], v[30:31]
	s_cbranch_execz .LBB462_868
; %bb.861:                              ;   in Loop: Header=BB462_8 Depth=1
	v_lshrrev_b32_e32 v32, 24, v31
	v_bfrev_b32_e32 v18, 1
	s_mov_b32 s18, exec_lo
	s_delay_alu instid0(VALU_DEP_2)
	v_cmpx_ne_u32_e32 0x80, v32
	s_cbranch_execz .LBB462_867
; %bb.862:                              ;   in Loop: Header=BB462_8 Depth=1
	v_bfe_u32 v30, v31, 24, 7
	v_mov_b32_e32 v18, 0x7f800001
	s_mov_b32 s19, exec_lo
	s_delay_alu instid0(VALU_DEP_2)
	v_cmpx_ne_u32_e32 0x7f, v30
	s_cbranch_execz .LBB462_866
; %bb.863:                              ;   in Loop: Header=BB462_8 Depth=1
	v_and_b32_e32 v18, 7, v32
	v_lshrrev_b32_e32 v33, 3, v30
	v_cmp_gt_u32_e64 s1, 8, v30
	s_delay_alu instid0(VALU_DEP_3) | instskip(NEXT) | instid1(VALU_DEP_2)
	v_dual_mov_b32 v31, v19 :: v_dual_mov_b32 v30, v18
	s_and_saveexec_b32 s20, s1
; %bb.864:                              ;   in Loop: Header=BB462_8 Depth=1
	v_clz_i32_u32_e32 v30, v18
	s_delay_alu instid0(VALU_DEP_1) | instskip(NEXT) | instid1(VALU_DEP_1)
	v_min_u32_e32 v33, 32, v30
	v_subrev_nc_u32_e32 v30, 28, v33
	v_sub_nc_u32_e32 v33, 29, v33
	s_delay_alu instid0(VALU_DEP_2) | instskip(NEXT) | instid1(VALU_DEP_1)
	v_lshlrev_b64 v[30:31], v30, v[18:19]
	v_and_b32_e32 v30, 7, v30
; %bb.865:                              ;   in Loop: Header=BB462_8 Depth=1
	s_or_b32 exec_lo, exec_lo, s20
	v_lshlrev_b32_e32 v18, 24, v32
	s_delay_alu instid0(VALU_DEP_2) | instskip(SKIP_1) | instid1(VALU_DEP_3)
	v_lshlrev_b32_e32 v30, 20, v30
	v_lshl_add_u32 v31, v33, 23, 0x3c000000
	v_and_b32_e32 v18, 0x80000000, v18
	s_delay_alu instid0(VALU_DEP_1)
	v_or3_b32 v18, v30, v18, v31
.LBB462_866:                            ;   in Loop: Header=BB462_8 Depth=1
	s_or_b32 exec_lo, exec_lo, s19
.LBB462_867:                            ;   in Loop: Header=BB462_8 Depth=1
	s_delay_alu instid0(SALU_CYCLE_1)
	s_or_b32 exec_lo, exec_lo, s18
.LBB462_868:                            ;   in Loop: Header=BB462_8 Depth=1
	s_delay_alu instid0(SALU_CYCLE_1) | instskip(NEXT) | instid1(VALU_DEP_1)
	s_or_b32 exec_lo, exec_lo, s2
	v_mul_f32_e32 v18, v152, v18
                                        ; implicit-def: $vgpr100
	s_delay_alu instid0(VALU_DEP_1) | instskip(NEXT) | instid1(VALU_DEP_1)
	v_and_b32_e32 v30, 0x7f800000, v18
	v_cmp_ne_u32_e64 s1, 0x7f800000, v30
	s_delay_alu instid0(VALU_DEP_1) | instskip(NEXT) | instid1(SALU_CYCLE_1)
	s_and_saveexec_b32 s2, s1
	s_xor_b32 s1, exec_lo, s2
; %bb.869:                              ;   in Loop: Header=BB462_8 Depth=1
	v_bfe_u32 v30, v18, 16, 1
	s_delay_alu instid0(VALU_DEP_1)
	v_add3_u32 v100, v18, v30, 0x7fff
                                        ; implicit-def: $vgpr18
; %bb.870:                              ;   in Loop: Header=BB462_8 Depth=1
	s_and_not1_saveexec_b32 s2, s1
; %bb.871:                              ;   in Loop: Header=BB462_8 Depth=1
	v_and_b32_e32 v30, 0xffff, v18
	v_or_b32_e32 v31, 0x10000, v18
	s_delay_alu instid0(VALU_DEP_2) | instskip(NEXT) | instid1(VALU_DEP_1)
	v_cmp_eq_u32_e64 s1, 0, v30
	v_cndmask_b32_e64 v100, v31, v18, s1
; %bb.872:                              ;   in Loop: Header=BB462_8 Depth=1
	s_or_b32 exec_lo, exec_lo, s2
	flat_load_b64 v[30:31], v[28:29] offset:2056
	v_mov_b32_e32 v18, 0
	s_mov_b32 s2, exec_lo
	s_waitcnt vmcnt(0) lgkmcnt(0)
	v_and_b32_e32 v32, 0xff, v30
	s_delay_alu instid0(VALU_DEP_1)
	v_cmpx_ne_u16_e32 0, v32
	s_cbranch_execz .LBB462_880
; %bb.873:                              ;   in Loop: Header=BB462_8 Depth=1
	v_bfrev_b32_e32 v18, 1
	s_mov_b32 s18, exec_lo
	v_cmpx_ne_u16_e32 0x80, v32
	s_cbranch_execz .LBB462_879
; %bb.874:                              ;   in Loop: Header=BB462_8 Depth=1
	v_and_b32_e32 v32, 0x7f, v30
	v_mov_b32_e32 v18, 0x7f800001
	s_mov_b32 s19, exec_lo
	s_delay_alu instid0(VALU_DEP_2)
	v_cmpx_ne_u32_e32 0x7f, v32
	s_cbranch_execz .LBB462_878
; %bb.875:                              ;   in Loop: Header=BB462_8 Depth=1
	v_lshrrev_b32_e32 v18, 3, v32
	v_cmp_gt_u32_e64 s1, 8, v32
	v_dual_mov_b32 v33, v31 :: v_dual_mov_b32 v32, v30
	s_delay_alu instid0(VALU_DEP_2)
	s_and_saveexec_b32 s20, s1
; %bb.876:                              ;   in Loop: Header=BB462_8 Depth=1
	v_and_b32_e32 v18, 7, v30
	s_delay_alu instid0(VALU_DEP_1) | instskip(NEXT) | instid1(VALU_DEP_1)
	v_clz_i32_u32_e32 v18, v18
	v_min_u32_e32 v18, 32, v18
	s_delay_alu instid0(VALU_DEP_1) | instskip(SKIP_1) | instid1(VALU_DEP_2)
	v_subrev_nc_u32_e32 v32, 28, v18
	v_sub_nc_u32_e32 v18, 29, v18
	v_lshlrev_b64 v[32:33], v32, v[30:31]
; %bb.877:                              ;   in Loop: Header=BB462_8 Depth=1
	s_or_b32 exec_lo, exec_lo, s20
	s_delay_alu instid0(VALU_DEP_1) | instskip(SKIP_2) | instid1(VALU_DEP_3)
	v_lshlrev_b32_e32 v32, 20, v32
	v_lshlrev_b32_e32 v33, 24, v30
	v_lshl_add_u32 v18, v18, 23, 0x3c000000
	v_and_b32_e32 v32, 0x700000, v32
	s_delay_alu instid0(VALU_DEP_3) | instskip(NEXT) | instid1(VALU_DEP_1)
	v_and_b32_e32 v33, 0x80000000, v33
	v_or3_b32 v18, v32, v33, v18
.LBB462_878:                            ;   in Loop: Header=BB462_8 Depth=1
	s_or_b32 exec_lo, exec_lo, s19
.LBB462_879:                            ;   in Loop: Header=BB462_8 Depth=1
	s_delay_alu instid0(SALU_CYCLE_1)
	s_or_b32 exec_lo, exec_lo, s18
.LBB462_880:                            ;   in Loop: Header=BB462_8 Depth=1
	s_delay_alu instid0(SALU_CYCLE_1) | instskip(NEXT) | instid1(VALU_DEP_1)
	s_or_b32 exec_lo, exec_lo, s2
	v_mul_f32_e32 v18, v152, v18
                                        ; implicit-def: $vgpr101
	s_delay_alu instid0(VALU_DEP_1) | instskip(NEXT) | instid1(VALU_DEP_1)
	v_and_b32_e32 v32, 0x7f800000, v18
	v_cmp_ne_u32_e64 s1, 0x7f800000, v32
	s_delay_alu instid0(VALU_DEP_1) | instskip(NEXT) | instid1(SALU_CYCLE_1)
	s_and_saveexec_b32 s2, s1
	s_xor_b32 s1, exec_lo, s2
; %bb.881:                              ;   in Loop: Header=BB462_8 Depth=1
	v_bfe_u32 v32, v18, 16, 1
	s_delay_alu instid0(VALU_DEP_1)
	v_add3_u32 v101, v18, v32, 0x7fff
                                        ; implicit-def: $vgpr18
; %bb.882:                              ;   in Loop: Header=BB462_8 Depth=1
	s_and_not1_saveexec_b32 s2, s1
; %bb.883:                              ;   in Loop: Header=BB462_8 Depth=1
	v_and_b32_e32 v32, 0xffff, v18
	v_or_b32_e32 v33, 0x10000, v18
	s_delay_alu instid0(VALU_DEP_2) | instskip(NEXT) | instid1(VALU_DEP_1)
	v_cmp_eq_u32_e64 s1, 0, v32
	v_cndmask_b32_e64 v101, v33, v18, s1
; %bb.884:                              ;   in Loop: Header=BB462_8 Depth=1
	s_or_b32 exec_lo, exec_lo, s2
	v_lshrrev_b16 v32, 8, v30
	v_mov_b32_e32 v18, 0
	s_mov_b32 s2, exec_lo
	s_delay_alu instid0(VALU_DEP_2)
	v_cmpx_ne_u16_e32 0, v32
	s_cbranch_execz .LBB462_892
; %bb.885:                              ;   in Loop: Header=BB462_8 Depth=1
	v_bfrev_b32_e32 v18, 1
	s_mov_b32 s18, exec_lo
	v_cmpx_ne_u16_e32 0x80, v32
	s_cbranch_execz .LBB462_891
; %bb.886:                              ;   in Loop: Header=BB462_8 Depth=1
	v_and_b32_e32 v33, 0xffff, v32
	v_mov_b32_e32 v18, 0x7f800001
	s_mov_b32 s19, exec_lo
	s_delay_alu instid0(VALU_DEP_2) | instskip(NEXT) | instid1(VALU_DEP_1)
	v_and_b32_e32 v32, 0x7f, v33
	v_cmpx_ne_u32_e32 0x7f, v32
	s_cbranch_execz .LBB462_890
; %bb.887:                              ;   in Loop: Header=BB462_8 Depth=1
	v_and_b32_e32 v18, 7, v33
	v_lshrrev_b32_e32 v102, 3, v32
	v_cmp_gt_u32_e64 s1, 8, v32
	s_delay_alu instid0(VALU_DEP_3) | instskip(NEXT) | instid1(VALU_DEP_2)
	v_dual_mov_b32 v33, v19 :: v_dual_mov_b32 v32, v18
	s_and_saveexec_b32 s20, s1
; %bb.888:                              ;   in Loop: Header=BB462_8 Depth=1
	v_clz_i32_u32_e32 v32, v18
	s_delay_alu instid0(VALU_DEP_1) | instskip(NEXT) | instid1(VALU_DEP_1)
	v_min_u32_e32 v102, 32, v32
	v_subrev_nc_u32_e32 v32, 28, v102
	v_sub_nc_u32_e32 v102, 29, v102
	s_delay_alu instid0(VALU_DEP_2) | instskip(NEXT) | instid1(VALU_DEP_1)
	v_lshlrev_b64 v[32:33], v32, v[18:19]
	v_and_b32_e32 v32, 7, v32
; %bb.889:                              ;   in Loop: Header=BB462_8 Depth=1
	s_or_b32 exec_lo, exec_lo, s20
	v_lshlrev_b32_e32 v18, 16, v30
	s_delay_alu instid0(VALU_DEP_2) | instskip(SKIP_1) | instid1(VALU_DEP_3)
	v_lshlrev_b32_e32 v32, 20, v32
	v_lshl_add_u32 v33, v102, 23, 0x3c000000
	v_and_b32_e32 v18, 0x80000000, v18
	s_delay_alu instid0(VALU_DEP_1)
	v_or3_b32 v18, v32, v18, v33
.LBB462_890:                            ;   in Loop: Header=BB462_8 Depth=1
	s_or_b32 exec_lo, exec_lo, s19
.LBB462_891:                            ;   in Loop: Header=BB462_8 Depth=1
	s_delay_alu instid0(SALU_CYCLE_1)
	s_or_b32 exec_lo, exec_lo, s18
.LBB462_892:                            ;   in Loop: Header=BB462_8 Depth=1
	s_delay_alu instid0(SALU_CYCLE_1) | instskip(NEXT) | instid1(VALU_DEP_1)
	s_or_b32 exec_lo, exec_lo, s2
	v_mul_f32_e32 v18, v152, v18
                                        ; implicit-def: $vgpr102
	s_delay_alu instid0(VALU_DEP_1) | instskip(NEXT) | instid1(VALU_DEP_1)
	v_and_b32_e32 v32, 0x7f800000, v18
	v_cmp_ne_u32_e64 s1, 0x7f800000, v32
	s_delay_alu instid0(VALU_DEP_1) | instskip(NEXT) | instid1(SALU_CYCLE_1)
	s_and_saveexec_b32 s2, s1
	s_xor_b32 s1, exec_lo, s2
; %bb.893:                              ;   in Loop: Header=BB462_8 Depth=1
	v_bfe_u32 v32, v18, 16, 1
	s_delay_alu instid0(VALU_DEP_1)
	v_add3_u32 v102, v18, v32, 0x7fff
                                        ; implicit-def: $vgpr18
; %bb.894:                              ;   in Loop: Header=BB462_8 Depth=1
	s_and_not1_saveexec_b32 s2, s1
; %bb.895:                              ;   in Loop: Header=BB462_8 Depth=1
	v_and_b32_e32 v32, 0xffff, v18
	v_or_b32_e32 v33, 0x10000, v18
	s_delay_alu instid0(VALU_DEP_2) | instskip(NEXT) | instid1(VALU_DEP_1)
	v_cmp_eq_u32_e64 s1, 0, v32
	v_cndmask_b32_e64 v102, v33, v18, s1
; %bb.896:                              ;   in Loop: Header=BB462_8 Depth=1
	s_or_b32 exec_lo, exec_lo, s2
	v_lshrrev_b32_e32 v103, 16, v30
	v_mov_b32_e32 v18, 0
	s_mov_b32 s2, exec_lo
	s_delay_alu instid0(VALU_DEP_2) | instskip(NEXT) | instid1(VALU_DEP_1)
	v_and_b32_e32 v32, 0xff, v103
	v_cmpx_ne_u16_e32 0, v32
	s_cbranch_execz .LBB462_904
; %bb.897:                              ;   in Loop: Header=BB462_8 Depth=1
	v_bfrev_b32_e32 v18, 1
	s_mov_b32 s18, exec_lo
	v_cmpx_ne_u16_e32 0x80, v32
	s_cbranch_execz .LBB462_903
; %bb.898:                              ;   in Loop: Header=BB462_8 Depth=1
	v_bfe_u32 v32, v30, 16, 7
	v_mov_b32_e32 v18, 0x7f800001
	s_mov_b32 s19, exec_lo
	s_delay_alu instid0(VALU_DEP_2)
	v_cmpx_ne_u32_e32 0x7f, v32
	s_cbranch_execz .LBB462_902
; %bb.899:                              ;   in Loop: Header=BB462_8 Depth=1
	v_and_b32_e32 v18, 7, v103
	v_lshrrev_b32_e32 v112, 3, v32
	v_cmp_gt_u32_e64 s1, 8, v32
	s_delay_alu instid0(VALU_DEP_3) | instskip(NEXT) | instid1(VALU_DEP_2)
	v_dual_mov_b32 v33, v19 :: v_dual_mov_b32 v32, v18
	s_and_saveexec_b32 s20, s1
; %bb.900:                              ;   in Loop: Header=BB462_8 Depth=1
	v_clz_i32_u32_e32 v32, v18
	s_delay_alu instid0(VALU_DEP_1) | instskip(NEXT) | instid1(VALU_DEP_1)
	v_min_u32_e32 v112, 32, v32
	v_subrev_nc_u32_e32 v32, 28, v112
	v_sub_nc_u32_e32 v112, 29, v112
	s_delay_alu instid0(VALU_DEP_2) | instskip(NEXT) | instid1(VALU_DEP_1)
	v_lshlrev_b64 v[32:33], v32, v[18:19]
	v_and_b32_e32 v32, 7, v32
; %bb.901:                              ;   in Loop: Header=BB462_8 Depth=1
	s_or_b32 exec_lo, exec_lo, s20
	v_lshlrev_b32_e32 v18, 24, v103
	s_delay_alu instid0(VALU_DEP_2) | instskip(SKIP_1) | instid1(VALU_DEP_3)
	v_lshlrev_b32_e32 v32, 20, v32
	v_lshl_add_u32 v33, v112, 23, 0x3c000000
	v_and_b32_e32 v18, 0x80000000, v18
	s_delay_alu instid0(VALU_DEP_1)
	v_or3_b32 v18, v32, v18, v33
.LBB462_902:                            ;   in Loop: Header=BB462_8 Depth=1
	s_or_b32 exec_lo, exec_lo, s19
.LBB462_903:                            ;   in Loop: Header=BB462_8 Depth=1
	s_delay_alu instid0(SALU_CYCLE_1)
	s_or_b32 exec_lo, exec_lo, s18
.LBB462_904:                            ;   in Loop: Header=BB462_8 Depth=1
	s_delay_alu instid0(SALU_CYCLE_1) | instskip(NEXT) | instid1(VALU_DEP_1)
	s_or_b32 exec_lo, exec_lo, s2
	v_mul_f32_e32 v18, v152, v18
                                        ; implicit-def: $vgpr103
	s_delay_alu instid0(VALU_DEP_1) | instskip(NEXT) | instid1(VALU_DEP_1)
	v_and_b32_e32 v32, 0x7f800000, v18
	v_cmp_ne_u32_e64 s1, 0x7f800000, v32
	s_delay_alu instid0(VALU_DEP_1) | instskip(NEXT) | instid1(SALU_CYCLE_1)
	s_and_saveexec_b32 s2, s1
	s_xor_b32 s1, exec_lo, s2
; %bb.905:                              ;   in Loop: Header=BB462_8 Depth=1
	v_bfe_u32 v32, v18, 16, 1
	s_delay_alu instid0(VALU_DEP_1)
	v_add3_u32 v103, v18, v32, 0x7fff
                                        ; implicit-def: $vgpr18
; %bb.906:                              ;   in Loop: Header=BB462_8 Depth=1
	s_and_not1_saveexec_b32 s2, s1
; %bb.907:                              ;   in Loop: Header=BB462_8 Depth=1
	v_and_b32_e32 v32, 0xffff, v18
	v_or_b32_e32 v33, 0x10000, v18
	s_delay_alu instid0(VALU_DEP_2) | instskip(NEXT) | instid1(VALU_DEP_1)
	v_cmp_eq_u32_e64 s1, 0, v32
	v_cndmask_b32_e64 v103, v33, v18, s1
; %bb.908:                              ;   in Loop: Header=BB462_8 Depth=1
	s_or_b32 exec_lo, exec_lo, s2
	v_mov_b32_e32 v18, 0
	s_mov_b32 s2, exec_lo
	v_cmpx_lt_u32_e32 0xffffff, v30
	s_cbranch_execz .LBB462_916
; %bb.909:                              ;   in Loop: Header=BB462_8 Depth=1
	v_lshrrev_b32_e32 v112, 24, v30
	v_bfrev_b32_e32 v18, 1
	s_mov_b32 s18, exec_lo
	s_delay_alu instid0(VALU_DEP_2)
	v_cmpx_ne_u32_e32 0x80, v112
	s_cbranch_execz .LBB462_915
; %bb.910:                              ;   in Loop: Header=BB462_8 Depth=1
	v_bfe_u32 v32, v30, 24, 7
	v_mov_b32_e32 v18, 0x7f800001
	s_mov_b32 s19, exec_lo
	s_delay_alu instid0(VALU_DEP_2)
	v_cmpx_ne_u32_e32 0x7f, v32
	s_cbranch_execz .LBB462_914
; %bb.911:                              ;   in Loop: Header=BB462_8 Depth=1
	v_and_b32_e32 v18, 7, v112
	v_lshrrev_b32_e32 v113, 3, v32
	v_cmp_gt_u32_e64 s1, 8, v32
	s_delay_alu instid0(VALU_DEP_3) | instskip(NEXT) | instid1(VALU_DEP_2)
	v_dual_mov_b32 v33, v19 :: v_dual_mov_b32 v32, v18
	s_and_saveexec_b32 s20, s1
; %bb.912:                              ;   in Loop: Header=BB462_8 Depth=1
	v_clz_i32_u32_e32 v32, v18
	s_delay_alu instid0(VALU_DEP_1) | instskip(NEXT) | instid1(VALU_DEP_1)
	v_min_u32_e32 v113, 32, v32
	v_subrev_nc_u32_e32 v32, 28, v113
	v_sub_nc_u32_e32 v113, 29, v113
	s_delay_alu instid0(VALU_DEP_2) | instskip(NEXT) | instid1(VALU_DEP_1)
	v_lshlrev_b64 v[32:33], v32, v[18:19]
	v_and_b32_e32 v32, 7, v32
; %bb.913:                              ;   in Loop: Header=BB462_8 Depth=1
	s_or_b32 exec_lo, exec_lo, s20
	v_lshlrev_b32_e32 v18, 24, v112
	s_delay_alu instid0(VALU_DEP_2) | instskip(SKIP_1) | instid1(VALU_DEP_3)
	v_lshlrev_b32_e32 v32, 20, v32
	v_lshl_add_u32 v33, v113, 23, 0x3c000000
	v_and_b32_e32 v18, 0x80000000, v18
	s_delay_alu instid0(VALU_DEP_1)
	v_or3_b32 v18, v32, v18, v33
.LBB462_914:                            ;   in Loop: Header=BB462_8 Depth=1
	s_or_b32 exec_lo, exec_lo, s19
.LBB462_915:                            ;   in Loop: Header=BB462_8 Depth=1
	s_delay_alu instid0(SALU_CYCLE_1)
	s_or_b32 exec_lo, exec_lo, s18
.LBB462_916:                            ;   in Loop: Header=BB462_8 Depth=1
	s_delay_alu instid0(SALU_CYCLE_1) | instskip(NEXT) | instid1(VALU_DEP_1)
	s_or_b32 exec_lo, exec_lo, s2
	v_mul_f32_e32 v18, v152, v18
                                        ; implicit-def: $vgpr112
	s_delay_alu instid0(VALU_DEP_1) | instskip(NEXT) | instid1(VALU_DEP_1)
	v_and_b32_e32 v32, 0x7f800000, v18
	v_cmp_ne_u32_e64 s1, 0x7f800000, v32
	s_delay_alu instid0(VALU_DEP_1) | instskip(NEXT) | instid1(SALU_CYCLE_1)
	s_and_saveexec_b32 s2, s1
	s_xor_b32 s1, exec_lo, s2
; %bb.917:                              ;   in Loop: Header=BB462_8 Depth=1
	v_bfe_u32 v32, v18, 16, 1
	s_delay_alu instid0(VALU_DEP_1)
	v_add3_u32 v112, v18, v32, 0x7fff
                                        ; implicit-def: $vgpr18
; %bb.918:                              ;   in Loop: Header=BB462_8 Depth=1
	s_and_not1_saveexec_b32 s2, s1
; %bb.919:                              ;   in Loop: Header=BB462_8 Depth=1
	v_and_b32_e32 v32, 0xffff, v18
	v_or_b32_e32 v33, 0x10000, v18
	s_delay_alu instid0(VALU_DEP_2) | instskip(NEXT) | instid1(VALU_DEP_1)
	v_cmp_eq_u32_e64 s1, 0, v32
	v_cndmask_b32_e64 v112, v33, v18, s1
; %bb.920:                              ;   in Loop: Header=BB462_8 Depth=1
	s_or_b32 exec_lo, exec_lo, s2
	v_dual_mov_b32 v18, v31 :: v_dual_and_b32 v33, 0xff, v31
	v_mov_b32_e32 v32, 0
	s_mov_b32 s2, exec_lo
	s_delay_alu instid0(VALU_DEP_2)
	v_cmpx_ne_u16_e32 0, v33
	s_cbranch_execz .LBB462_928
; %bb.921:                              ;   in Loop: Header=BB462_8 Depth=1
	v_bfrev_b32_e32 v32, 1
	s_mov_b32 s18, exec_lo
	v_cmpx_ne_u16_e32 0x80, v33
	s_cbranch_execz .LBB462_927
; %bb.922:                              ;   in Loop: Header=BB462_8 Depth=1
	v_and_b32_e32 v33, 0x7f, v31
	v_mov_b32_e32 v32, 0x7f800001
	s_mov_b32 s19, exec_lo
	s_delay_alu instid0(VALU_DEP_2)
	v_cmpx_ne_u32_e32 0x7f, v33
	s_cbranch_execz .LBB462_926
; %bb.923:                              ;   in Loop: Header=BB462_8 Depth=1
	v_lshrrev_b32_e32 v113, 3, v33
	v_cmp_gt_u32_e64 s1, 8, v33
	v_dual_mov_b32 v33, v19 :: v_dual_mov_b32 v32, v18
	s_delay_alu instid0(VALU_DEP_2)
	s_and_saveexec_b32 s20, s1
; %bb.924:                              ;   in Loop: Header=BB462_8 Depth=1
	v_and_b32_e32 v32, 7, v31
	s_delay_alu instid0(VALU_DEP_1) | instskip(NEXT) | instid1(VALU_DEP_1)
	v_clz_i32_u32_e32 v32, v32
	v_min_u32_e32 v113, 32, v32
	s_delay_alu instid0(VALU_DEP_1) | instskip(SKIP_1) | instid1(VALU_DEP_2)
	v_subrev_nc_u32_e32 v32, 28, v113
	v_sub_nc_u32_e32 v113, 29, v113
	v_lshlrev_b64 v[32:33], v32, v[18:19]
; %bb.925:                              ;   in Loop: Header=BB462_8 Depth=1
	s_or_b32 exec_lo, exec_lo, s20
	s_delay_alu instid0(VALU_DEP_1) | instskip(SKIP_2) | instid1(VALU_DEP_3)
	v_lshlrev_b32_e32 v32, 20, v32
	v_lshlrev_b32_e32 v33, 24, v18
	v_lshl_add_u32 v113, v113, 23, 0x3c000000
	v_and_b32_e32 v32, 0x700000, v32
	s_delay_alu instid0(VALU_DEP_3) | instskip(NEXT) | instid1(VALU_DEP_1)
	v_and_b32_e32 v33, 0x80000000, v33
	v_or3_b32 v32, v32, v33, v113
.LBB462_926:                            ;   in Loop: Header=BB462_8 Depth=1
	s_or_b32 exec_lo, exec_lo, s19
.LBB462_927:                            ;   in Loop: Header=BB462_8 Depth=1
	s_delay_alu instid0(SALU_CYCLE_1)
	s_or_b32 exec_lo, exec_lo, s18
.LBB462_928:                            ;   in Loop: Header=BB462_8 Depth=1
	s_delay_alu instid0(SALU_CYCLE_1) | instskip(NEXT) | instid1(VALU_DEP_1)
	s_or_b32 exec_lo, exec_lo, s2
	v_mul_f32_e32 v32, v152, v32
                                        ; implicit-def: $vgpr113
	s_delay_alu instid0(VALU_DEP_1) | instskip(NEXT) | instid1(VALU_DEP_1)
	v_and_b32_e32 v33, 0x7f800000, v32
	v_cmp_ne_u32_e64 s1, 0x7f800000, v33
	s_delay_alu instid0(VALU_DEP_1) | instskip(NEXT) | instid1(SALU_CYCLE_1)
	s_and_saveexec_b32 s2, s1
	s_xor_b32 s1, exec_lo, s2
; %bb.929:                              ;   in Loop: Header=BB462_8 Depth=1
	v_bfe_u32 v33, v32, 16, 1
	s_delay_alu instid0(VALU_DEP_1)
	v_add3_u32 v113, v32, v33, 0x7fff
                                        ; implicit-def: $vgpr32
; %bb.930:                              ;   in Loop: Header=BB462_8 Depth=1
	s_and_not1_saveexec_b32 s2, s1
; %bb.931:                              ;   in Loop: Header=BB462_8 Depth=1
	v_and_b32_e32 v33, 0xffff, v32
	v_or_b32_e32 v113, 0x10000, v32
	s_delay_alu instid0(VALU_DEP_2) | instskip(NEXT) | instid1(VALU_DEP_1)
	v_cmp_eq_u32_e64 s1, 0, v33
	v_cndmask_b32_e64 v113, v113, v32, s1
; %bb.932:                              ;   in Loop: Header=BB462_8 Depth=1
	s_or_b32 exec_lo, exec_lo, s2
	v_lshrrev_b16 v33, 8, v18
	v_mov_b32_e32 v32, 0
	s_mov_b32 s2, exec_lo
	s_delay_alu instid0(VALU_DEP_2)
	v_cmpx_ne_u16_e32 0, v33
	s_cbranch_execz .LBB462_940
; %bb.933:                              ;   in Loop: Header=BB462_8 Depth=1
	v_bfrev_b32_e32 v32, 1
	s_mov_b32 s18, exec_lo
	v_cmpx_ne_u16_e32 0x80, v33
	s_cbranch_execz .LBB462_939
; %bb.934:                              ;   in Loop: Header=BB462_8 Depth=1
	v_and_b32_e32 v33, 0xffff, v33
	v_mov_b32_e32 v32, 0x7f800001
	s_mov_b32 s19, exec_lo
	s_delay_alu instid0(VALU_DEP_2) | instskip(NEXT) | instid1(VALU_DEP_1)
	v_and_b32_e32 v115, 0x7f, v33
	v_cmpx_ne_u32_e32 0x7f, v115
	s_cbranch_execz .LBB462_938
; %bb.935:                              ;   in Loop: Header=BB462_8 Depth=1
	v_dual_mov_b32 v33, v19 :: v_dual_and_b32 v32, 7, v33
	v_lshrrev_b32_e32 v114, 3, v115
	s_mov_b32 s20, exec_lo
	v_cmpx_gt_u32_e32 8, v115
; %bb.936:                              ;   in Loop: Header=BB462_8 Depth=1
	s_delay_alu instid0(VALU_DEP_3) | instskip(NEXT) | instid1(VALU_DEP_1)
	v_clz_i32_u32_e32 v114, v32
	v_min_u32_e32 v114, 32, v114
	s_delay_alu instid0(VALU_DEP_1) | instskip(SKIP_1) | instid1(VALU_DEP_2)
	v_subrev_nc_u32_e32 v115, 28, v114
	v_sub_nc_u32_e32 v114, 29, v114
	v_lshlrev_b64 v[32:33], v115, v[32:33]
	s_delay_alu instid0(VALU_DEP_1)
	v_and_b32_e32 v32, 7, v32
; %bb.937:                              ;   in Loop: Header=BB462_8 Depth=1
	s_or_b32 exec_lo, exec_lo, s20
	v_lshlrev_b32_e32 v18, 16, v18
	s_delay_alu instid0(VALU_DEP_2) | instskip(SKIP_1) | instid1(VALU_DEP_3)
	v_lshlrev_b32_e32 v32, 20, v32
	v_lshl_add_u32 v33, v114, 23, 0x3c000000
	v_and_b32_e32 v18, 0x80000000, v18
	s_delay_alu instid0(VALU_DEP_1)
	v_or3_b32 v32, v32, v18, v33
.LBB462_938:                            ;   in Loop: Header=BB462_8 Depth=1
	s_or_b32 exec_lo, exec_lo, s19
.LBB462_939:                            ;   in Loop: Header=BB462_8 Depth=1
	s_delay_alu instid0(SALU_CYCLE_1)
	s_or_b32 exec_lo, exec_lo, s18
.LBB462_940:                            ;   in Loop: Header=BB462_8 Depth=1
	s_delay_alu instid0(SALU_CYCLE_1) | instskip(NEXT) | instid1(VALU_DEP_1)
	s_or_b32 exec_lo, exec_lo, s2
	v_mul_f32_e32 v18, v152, v32
                                        ; implicit-def: $vgpr114
	s_delay_alu instid0(VALU_DEP_1) | instskip(NEXT) | instid1(VALU_DEP_1)
	v_and_b32_e32 v32, 0x7f800000, v18
	v_cmp_ne_u32_e64 s1, 0x7f800000, v32
	s_delay_alu instid0(VALU_DEP_1) | instskip(NEXT) | instid1(SALU_CYCLE_1)
	s_and_saveexec_b32 s2, s1
	s_xor_b32 s1, exec_lo, s2
; %bb.941:                              ;   in Loop: Header=BB462_8 Depth=1
	v_bfe_u32 v32, v18, 16, 1
	s_delay_alu instid0(VALU_DEP_1)
	v_add3_u32 v114, v18, v32, 0x7fff
                                        ; implicit-def: $vgpr18
; %bb.942:                              ;   in Loop: Header=BB462_8 Depth=1
	s_and_not1_saveexec_b32 s2, s1
; %bb.943:                              ;   in Loop: Header=BB462_8 Depth=1
	v_and_b32_e32 v32, 0xffff, v18
	v_or_b32_e32 v33, 0x10000, v18
	s_delay_alu instid0(VALU_DEP_2) | instskip(NEXT) | instid1(VALU_DEP_1)
	v_cmp_eq_u32_e64 s1, 0, v32
	v_cndmask_b32_e64 v114, v33, v18, s1
; %bb.944:                              ;   in Loop: Header=BB462_8 Depth=1
	s_or_b32 exec_lo, exec_lo, s2
	v_lshrrev_b32_e32 v115, 16, v31
	v_mov_b32_e32 v18, 0
	s_mov_b32 s2, exec_lo
	s_delay_alu instid0(VALU_DEP_2) | instskip(NEXT) | instid1(VALU_DEP_1)
	v_and_b32_e32 v32, 0xff, v115
	v_cmpx_ne_u16_e32 0, v32
	s_cbranch_execz .LBB462_952
; %bb.945:                              ;   in Loop: Header=BB462_8 Depth=1
	v_bfrev_b32_e32 v18, 1
	s_mov_b32 s18, exec_lo
	v_cmpx_ne_u16_e32 0x80, v32
	s_cbranch_execz .LBB462_951
; %bb.946:                              ;   in Loop: Header=BB462_8 Depth=1
	v_bfe_u32 v32, v31, 16, 7
	v_mov_b32_e32 v18, 0x7f800001
	s_mov_b32 s19, exec_lo
	s_delay_alu instid0(VALU_DEP_2)
	v_cmpx_ne_u32_e32 0x7f, v32
	s_cbranch_execz .LBB462_950
; %bb.947:                              ;   in Loop: Header=BB462_8 Depth=1
	v_and_b32_e32 v18, 7, v115
	v_lshrrev_b32_e32 v116, 3, v32
	v_cmp_gt_u32_e64 s1, 8, v32
	s_delay_alu instid0(VALU_DEP_3) | instskip(NEXT) | instid1(VALU_DEP_2)
	v_dual_mov_b32 v33, v19 :: v_dual_mov_b32 v32, v18
	s_and_saveexec_b32 s20, s1
; %bb.948:                              ;   in Loop: Header=BB462_8 Depth=1
	v_clz_i32_u32_e32 v32, v18
	s_delay_alu instid0(VALU_DEP_1) | instskip(NEXT) | instid1(VALU_DEP_1)
	v_min_u32_e32 v116, 32, v32
	v_subrev_nc_u32_e32 v32, 28, v116
	v_sub_nc_u32_e32 v116, 29, v116
	s_delay_alu instid0(VALU_DEP_2) | instskip(NEXT) | instid1(VALU_DEP_1)
	v_lshlrev_b64 v[32:33], v32, v[18:19]
	v_and_b32_e32 v32, 7, v32
; %bb.949:                              ;   in Loop: Header=BB462_8 Depth=1
	s_or_b32 exec_lo, exec_lo, s20
	v_lshlrev_b32_e32 v18, 24, v115
	s_delay_alu instid0(VALU_DEP_2) | instskip(SKIP_1) | instid1(VALU_DEP_3)
	v_lshlrev_b32_e32 v32, 20, v32
	v_lshl_add_u32 v33, v116, 23, 0x3c000000
	v_and_b32_e32 v18, 0x80000000, v18
	s_delay_alu instid0(VALU_DEP_1)
	v_or3_b32 v18, v32, v18, v33
.LBB462_950:                            ;   in Loop: Header=BB462_8 Depth=1
	s_or_b32 exec_lo, exec_lo, s19
.LBB462_951:                            ;   in Loop: Header=BB462_8 Depth=1
	s_delay_alu instid0(SALU_CYCLE_1)
	s_or_b32 exec_lo, exec_lo, s18
.LBB462_952:                            ;   in Loop: Header=BB462_8 Depth=1
	s_delay_alu instid0(SALU_CYCLE_1) | instskip(NEXT) | instid1(VALU_DEP_1)
	s_or_b32 exec_lo, exec_lo, s2
	v_mul_f32_e32 v18, v152, v18
                                        ; implicit-def: $vgpr115
	s_delay_alu instid0(VALU_DEP_1) | instskip(NEXT) | instid1(VALU_DEP_1)
	v_and_b32_e32 v32, 0x7f800000, v18
	v_cmp_ne_u32_e64 s1, 0x7f800000, v32
	s_delay_alu instid0(VALU_DEP_1) | instskip(NEXT) | instid1(SALU_CYCLE_1)
	s_and_saveexec_b32 s2, s1
	s_xor_b32 s1, exec_lo, s2
; %bb.953:                              ;   in Loop: Header=BB462_8 Depth=1
	v_bfe_u32 v32, v18, 16, 1
	s_delay_alu instid0(VALU_DEP_1)
	v_add3_u32 v115, v18, v32, 0x7fff
                                        ; implicit-def: $vgpr18
; %bb.954:                              ;   in Loop: Header=BB462_8 Depth=1
	s_and_not1_saveexec_b32 s2, s1
; %bb.955:                              ;   in Loop: Header=BB462_8 Depth=1
	v_and_b32_e32 v32, 0xffff, v18
	v_or_b32_e32 v33, 0x10000, v18
	s_delay_alu instid0(VALU_DEP_2) | instskip(NEXT) | instid1(VALU_DEP_1)
	v_cmp_eq_u32_e64 s1, 0, v32
	v_cndmask_b32_e64 v115, v33, v18, s1
; %bb.956:                              ;   in Loop: Header=BB462_8 Depth=1
	s_or_b32 exec_lo, exec_lo, s2
	v_mov_b32_e32 v18, 0
	s_mov_b32 s2, exec_lo
	v_cmpx_lt_u64_e64 s[8:9], v[30:31]
	s_cbranch_execz .LBB462_964
; %bb.957:                              ;   in Loop: Header=BB462_8 Depth=1
	v_lshrrev_b32_e32 v32, 24, v31
	v_bfrev_b32_e32 v18, 1
	s_mov_b32 s18, exec_lo
	s_delay_alu instid0(VALU_DEP_2)
	v_cmpx_ne_u32_e32 0x80, v32
	s_cbranch_execz .LBB462_963
; %bb.958:                              ;   in Loop: Header=BB462_8 Depth=1
	v_bfe_u32 v30, v31, 24, 7
	v_mov_b32_e32 v18, 0x7f800001
	s_mov_b32 s19, exec_lo
	s_delay_alu instid0(VALU_DEP_2)
	v_cmpx_ne_u32_e32 0x7f, v30
	s_cbranch_execz .LBB462_962
; %bb.959:                              ;   in Loop: Header=BB462_8 Depth=1
	v_and_b32_e32 v18, 7, v32
	v_lshrrev_b32_e32 v33, 3, v30
	v_cmp_gt_u32_e64 s1, 8, v30
	s_delay_alu instid0(VALU_DEP_3) | instskip(NEXT) | instid1(VALU_DEP_2)
	v_dual_mov_b32 v31, v19 :: v_dual_mov_b32 v30, v18
	s_and_saveexec_b32 s20, s1
; %bb.960:                              ;   in Loop: Header=BB462_8 Depth=1
	v_clz_i32_u32_e32 v30, v18
	s_delay_alu instid0(VALU_DEP_1) | instskip(NEXT) | instid1(VALU_DEP_1)
	v_min_u32_e32 v33, 32, v30
	v_subrev_nc_u32_e32 v30, 28, v33
	v_sub_nc_u32_e32 v33, 29, v33
	s_delay_alu instid0(VALU_DEP_2) | instskip(NEXT) | instid1(VALU_DEP_1)
	v_lshlrev_b64 v[30:31], v30, v[18:19]
	v_and_b32_e32 v30, 7, v30
; %bb.961:                              ;   in Loop: Header=BB462_8 Depth=1
	s_or_b32 exec_lo, exec_lo, s20
	v_lshlrev_b32_e32 v18, 24, v32
	s_delay_alu instid0(VALU_DEP_2) | instskip(SKIP_1) | instid1(VALU_DEP_3)
	v_lshlrev_b32_e32 v30, 20, v30
	v_lshl_add_u32 v31, v33, 23, 0x3c000000
	v_and_b32_e32 v18, 0x80000000, v18
	s_delay_alu instid0(VALU_DEP_1)
	v_or3_b32 v18, v30, v18, v31
.LBB462_962:                            ;   in Loop: Header=BB462_8 Depth=1
	s_or_b32 exec_lo, exec_lo, s19
.LBB462_963:                            ;   in Loop: Header=BB462_8 Depth=1
	s_delay_alu instid0(SALU_CYCLE_1)
	s_or_b32 exec_lo, exec_lo, s18
.LBB462_964:                            ;   in Loop: Header=BB462_8 Depth=1
	s_delay_alu instid0(SALU_CYCLE_1) | instskip(NEXT) | instid1(VALU_DEP_1)
	s_or_b32 exec_lo, exec_lo, s2
	v_mul_f32_e32 v18, v152, v18
                                        ; implicit-def: $vgpr116
	s_delay_alu instid0(VALU_DEP_1) | instskip(NEXT) | instid1(VALU_DEP_1)
	v_and_b32_e32 v30, 0x7f800000, v18
	v_cmp_ne_u32_e64 s1, 0x7f800000, v30
	s_delay_alu instid0(VALU_DEP_1) | instskip(NEXT) | instid1(SALU_CYCLE_1)
	s_and_saveexec_b32 s2, s1
	s_xor_b32 s1, exec_lo, s2
; %bb.965:                              ;   in Loop: Header=BB462_8 Depth=1
	v_bfe_u32 v30, v18, 16, 1
	s_delay_alu instid0(VALU_DEP_1)
	v_add3_u32 v116, v18, v30, 0x7fff
                                        ; implicit-def: $vgpr18
; %bb.966:                              ;   in Loop: Header=BB462_8 Depth=1
	s_and_not1_saveexec_b32 s2, s1
; %bb.967:                              ;   in Loop: Header=BB462_8 Depth=1
	v_and_b32_e32 v30, 0xffff, v18
	v_or_b32_e32 v31, 0x10000, v18
	s_delay_alu instid0(VALU_DEP_2) | instskip(NEXT) | instid1(VALU_DEP_1)
	v_cmp_eq_u32_e64 s1, 0, v30
	v_cndmask_b32_e64 v116, v31, v18, s1
; %bb.968:                              ;   in Loop: Header=BB462_8 Depth=1
	s_or_b32 exec_lo, exec_lo, s2
	flat_load_b64 v[30:31], v[28:29] offset:2560
	v_mov_b32_e32 v18, 0
	s_mov_b32 s2, exec_lo
	s_waitcnt vmcnt(0) lgkmcnt(0)
	v_and_b32_e32 v32, 0xff, v30
	s_delay_alu instid0(VALU_DEP_1)
	v_cmpx_ne_u16_e32 0, v32
	s_cbranch_execz .LBB462_976
; %bb.969:                              ;   in Loop: Header=BB462_8 Depth=1
	v_bfrev_b32_e32 v18, 1
	s_mov_b32 s18, exec_lo
	v_cmpx_ne_u16_e32 0x80, v32
	s_cbranch_execz .LBB462_975
; %bb.970:                              ;   in Loop: Header=BB462_8 Depth=1
	v_and_b32_e32 v32, 0x7f, v30
	v_mov_b32_e32 v18, 0x7f800001
	s_mov_b32 s19, exec_lo
	s_delay_alu instid0(VALU_DEP_2)
	v_cmpx_ne_u32_e32 0x7f, v32
	s_cbranch_execz .LBB462_974
; %bb.971:                              ;   in Loop: Header=BB462_8 Depth=1
	v_lshrrev_b32_e32 v18, 3, v32
	v_cmp_gt_u32_e64 s1, 8, v32
	v_dual_mov_b32 v33, v31 :: v_dual_mov_b32 v32, v30
	s_delay_alu instid0(VALU_DEP_2)
	s_and_saveexec_b32 s20, s1
; %bb.972:                              ;   in Loop: Header=BB462_8 Depth=1
	v_and_b32_e32 v18, 7, v30
	s_delay_alu instid0(VALU_DEP_1) | instskip(NEXT) | instid1(VALU_DEP_1)
	v_clz_i32_u32_e32 v18, v18
	v_min_u32_e32 v18, 32, v18
	s_delay_alu instid0(VALU_DEP_1) | instskip(SKIP_1) | instid1(VALU_DEP_2)
	v_subrev_nc_u32_e32 v32, 28, v18
	v_sub_nc_u32_e32 v18, 29, v18
	v_lshlrev_b64 v[32:33], v32, v[30:31]
; %bb.973:                              ;   in Loop: Header=BB462_8 Depth=1
	s_or_b32 exec_lo, exec_lo, s20
	s_delay_alu instid0(VALU_DEP_1) | instskip(SKIP_2) | instid1(VALU_DEP_3)
	v_lshlrev_b32_e32 v32, 20, v32
	v_lshlrev_b32_e32 v33, 24, v30
	v_lshl_add_u32 v18, v18, 23, 0x3c000000
	v_and_b32_e32 v32, 0x700000, v32
	s_delay_alu instid0(VALU_DEP_3) | instskip(NEXT) | instid1(VALU_DEP_1)
	v_and_b32_e32 v33, 0x80000000, v33
	v_or3_b32 v18, v32, v33, v18
.LBB462_974:                            ;   in Loop: Header=BB462_8 Depth=1
	s_or_b32 exec_lo, exec_lo, s19
.LBB462_975:                            ;   in Loop: Header=BB462_8 Depth=1
	s_delay_alu instid0(SALU_CYCLE_1)
	s_or_b32 exec_lo, exec_lo, s18
.LBB462_976:                            ;   in Loop: Header=BB462_8 Depth=1
	s_delay_alu instid0(SALU_CYCLE_1) | instskip(NEXT) | instid1(VALU_DEP_1)
	s_or_b32 exec_lo, exec_lo, s2
	v_mul_f32_e32 v18, v152, v18
                                        ; implicit-def: $vgpr117
	s_delay_alu instid0(VALU_DEP_1) | instskip(NEXT) | instid1(VALU_DEP_1)
	v_and_b32_e32 v32, 0x7f800000, v18
	v_cmp_ne_u32_e64 s1, 0x7f800000, v32
	s_delay_alu instid0(VALU_DEP_1) | instskip(NEXT) | instid1(SALU_CYCLE_1)
	s_and_saveexec_b32 s2, s1
	s_xor_b32 s1, exec_lo, s2
; %bb.977:                              ;   in Loop: Header=BB462_8 Depth=1
	v_bfe_u32 v32, v18, 16, 1
	s_delay_alu instid0(VALU_DEP_1)
	v_add3_u32 v117, v18, v32, 0x7fff
                                        ; implicit-def: $vgpr18
; %bb.978:                              ;   in Loop: Header=BB462_8 Depth=1
	s_and_not1_saveexec_b32 s2, s1
; %bb.979:                              ;   in Loop: Header=BB462_8 Depth=1
	v_and_b32_e32 v32, 0xffff, v18
	v_or_b32_e32 v33, 0x10000, v18
	s_delay_alu instid0(VALU_DEP_2) | instskip(NEXT) | instid1(VALU_DEP_1)
	v_cmp_eq_u32_e64 s1, 0, v32
	v_cndmask_b32_e64 v117, v33, v18, s1
; %bb.980:                              ;   in Loop: Header=BB462_8 Depth=1
	s_or_b32 exec_lo, exec_lo, s2
	v_lshrrev_b16 v32, 8, v30
	v_mov_b32_e32 v18, 0
	s_mov_b32 s2, exec_lo
	s_delay_alu instid0(VALU_DEP_2)
	v_cmpx_ne_u16_e32 0, v32
	s_cbranch_execz .LBB462_988
; %bb.981:                              ;   in Loop: Header=BB462_8 Depth=1
	v_bfrev_b32_e32 v18, 1
	s_mov_b32 s18, exec_lo
	v_cmpx_ne_u16_e32 0x80, v32
	s_cbranch_execz .LBB462_987
; %bb.982:                              ;   in Loop: Header=BB462_8 Depth=1
	v_and_b32_e32 v33, 0xffff, v32
	v_mov_b32_e32 v18, 0x7f800001
	s_mov_b32 s19, exec_lo
	s_delay_alu instid0(VALU_DEP_2) | instskip(NEXT) | instid1(VALU_DEP_1)
	v_and_b32_e32 v32, 0x7f, v33
	v_cmpx_ne_u32_e32 0x7f, v32
	s_cbranch_execz .LBB462_986
; %bb.983:                              ;   in Loop: Header=BB462_8 Depth=1
	v_and_b32_e32 v18, 7, v33
	v_lshrrev_b32_e32 v118, 3, v32
	v_cmp_gt_u32_e64 s1, 8, v32
	s_delay_alu instid0(VALU_DEP_3) | instskip(NEXT) | instid1(VALU_DEP_2)
	v_dual_mov_b32 v33, v19 :: v_dual_mov_b32 v32, v18
	s_and_saveexec_b32 s20, s1
; %bb.984:                              ;   in Loop: Header=BB462_8 Depth=1
	v_clz_i32_u32_e32 v32, v18
	s_delay_alu instid0(VALU_DEP_1) | instskip(NEXT) | instid1(VALU_DEP_1)
	v_min_u32_e32 v118, 32, v32
	v_subrev_nc_u32_e32 v32, 28, v118
	v_sub_nc_u32_e32 v118, 29, v118
	s_delay_alu instid0(VALU_DEP_2) | instskip(NEXT) | instid1(VALU_DEP_1)
	v_lshlrev_b64 v[32:33], v32, v[18:19]
	v_and_b32_e32 v32, 7, v32
; %bb.985:                              ;   in Loop: Header=BB462_8 Depth=1
	s_or_b32 exec_lo, exec_lo, s20
	v_lshlrev_b32_e32 v18, 16, v30
	s_delay_alu instid0(VALU_DEP_2) | instskip(SKIP_1) | instid1(VALU_DEP_3)
	v_lshlrev_b32_e32 v32, 20, v32
	v_lshl_add_u32 v33, v118, 23, 0x3c000000
	v_and_b32_e32 v18, 0x80000000, v18
	s_delay_alu instid0(VALU_DEP_1)
	v_or3_b32 v18, v32, v18, v33
.LBB462_986:                            ;   in Loop: Header=BB462_8 Depth=1
	s_or_b32 exec_lo, exec_lo, s19
.LBB462_987:                            ;   in Loop: Header=BB462_8 Depth=1
	s_delay_alu instid0(SALU_CYCLE_1)
	s_or_b32 exec_lo, exec_lo, s18
.LBB462_988:                            ;   in Loop: Header=BB462_8 Depth=1
	s_delay_alu instid0(SALU_CYCLE_1) | instskip(NEXT) | instid1(VALU_DEP_1)
	s_or_b32 exec_lo, exec_lo, s2
	v_mul_f32_e32 v18, v152, v18
                                        ; implicit-def: $vgpr118
	s_delay_alu instid0(VALU_DEP_1) | instskip(NEXT) | instid1(VALU_DEP_1)
	v_and_b32_e32 v32, 0x7f800000, v18
	v_cmp_ne_u32_e64 s1, 0x7f800000, v32
	s_delay_alu instid0(VALU_DEP_1) | instskip(NEXT) | instid1(SALU_CYCLE_1)
	s_and_saveexec_b32 s2, s1
	s_xor_b32 s1, exec_lo, s2
; %bb.989:                              ;   in Loop: Header=BB462_8 Depth=1
	v_bfe_u32 v32, v18, 16, 1
	s_delay_alu instid0(VALU_DEP_1)
	v_add3_u32 v118, v18, v32, 0x7fff
                                        ; implicit-def: $vgpr18
; %bb.990:                              ;   in Loop: Header=BB462_8 Depth=1
	s_and_not1_saveexec_b32 s2, s1
; %bb.991:                              ;   in Loop: Header=BB462_8 Depth=1
	v_and_b32_e32 v32, 0xffff, v18
	v_or_b32_e32 v33, 0x10000, v18
	s_delay_alu instid0(VALU_DEP_2) | instskip(NEXT) | instid1(VALU_DEP_1)
	v_cmp_eq_u32_e64 s1, 0, v32
	v_cndmask_b32_e64 v118, v33, v18, s1
; %bb.992:                              ;   in Loop: Header=BB462_8 Depth=1
	s_or_b32 exec_lo, exec_lo, s2
	v_lshrrev_b32_e32 v119, 16, v30
	v_mov_b32_e32 v18, 0
	s_mov_b32 s2, exec_lo
	s_delay_alu instid0(VALU_DEP_2) | instskip(NEXT) | instid1(VALU_DEP_1)
	v_and_b32_e32 v32, 0xff, v119
	v_cmpx_ne_u16_e32 0, v32
	s_cbranch_execz .LBB462_1000
; %bb.993:                              ;   in Loop: Header=BB462_8 Depth=1
	v_bfrev_b32_e32 v18, 1
	s_mov_b32 s18, exec_lo
	v_cmpx_ne_u16_e32 0x80, v32
	s_cbranch_execz .LBB462_999
; %bb.994:                              ;   in Loop: Header=BB462_8 Depth=1
	v_bfe_u32 v32, v30, 16, 7
	v_mov_b32_e32 v18, 0x7f800001
	s_mov_b32 s19, exec_lo
	s_delay_alu instid0(VALU_DEP_2)
	v_cmpx_ne_u32_e32 0x7f, v32
	s_cbranch_execz .LBB462_998
; %bb.995:                              ;   in Loop: Header=BB462_8 Depth=1
	v_and_b32_e32 v18, 7, v119
	v_lshrrev_b32_e32 v128, 3, v32
	v_cmp_gt_u32_e64 s1, 8, v32
	s_delay_alu instid0(VALU_DEP_3) | instskip(NEXT) | instid1(VALU_DEP_2)
	v_dual_mov_b32 v33, v19 :: v_dual_mov_b32 v32, v18
	s_and_saveexec_b32 s20, s1
; %bb.996:                              ;   in Loop: Header=BB462_8 Depth=1
	v_clz_i32_u32_e32 v32, v18
	s_delay_alu instid0(VALU_DEP_1) | instskip(NEXT) | instid1(VALU_DEP_1)
	v_min_u32_e32 v128, 32, v32
	v_subrev_nc_u32_e32 v32, 28, v128
	v_sub_nc_u32_e32 v128, 29, v128
	s_delay_alu instid0(VALU_DEP_2) | instskip(NEXT) | instid1(VALU_DEP_1)
	v_lshlrev_b64 v[32:33], v32, v[18:19]
	v_and_b32_e32 v32, 7, v32
; %bb.997:                              ;   in Loop: Header=BB462_8 Depth=1
	s_or_b32 exec_lo, exec_lo, s20
	v_lshlrev_b32_e32 v18, 24, v119
	s_delay_alu instid0(VALU_DEP_2) | instskip(SKIP_1) | instid1(VALU_DEP_3)
	v_lshlrev_b32_e32 v32, 20, v32
	v_lshl_add_u32 v33, v128, 23, 0x3c000000
	v_and_b32_e32 v18, 0x80000000, v18
	s_delay_alu instid0(VALU_DEP_1)
	v_or3_b32 v18, v32, v18, v33
.LBB462_998:                            ;   in Loop: Header=BB462_8 Depth=1
	s_or_b32 exec_lo, exec_lo, s19
.LBB462_999:                            ;   in Loop: Header=BB462_8 Depth=1
	s_delay_alu instid0(SALU_CYCLE_1)
	s_or_b32 exec_lo, exec_lo, s18
.LBB462_1000:                           ;   in Loop: Header=BB462_8 Depth=1
	s_delay_alu instid0(SALU_CYCLE_1) | instskip(NEXT) | instid1(VALU_DEP_1)
	s_or_b32 exec_lo, exec_lo, s2
	v_mul_f32_e32 v18, v152, v18
                                        ; implicit-def: $vgpr119
	s_delay_alu instid0(VALU_DEP_1) | instskip(NEXT) | instid1(VALU_DEP_1)
	v_and_b32_e32 v32, 0x7f800000, v18
	v_cmp_ne_u32_e64 s1, 0x7f800000, v32
	s_delay_alu instid0(VALU_DEP_1) | instskip(NEXT) | instid1(SALU_CYCLE_1)
	s_and_saveexec_b32 s2, s1
	s_xor_b32 s1, exec_lo, s2
; %bb.1001:                             ;   in Loop: Header=BB462_8 Depth=1
	v_bfe_u32 v32, v18, 16, 1
	s_delay_alu instid0(VALU_DEP_1)
	v_add3_u32 v119, v18, v32, 0x7fff
                                        ; implicit-def: $vgpr18
; %bb.1002:                             ;   in Loop: Header=BB462_8 Depth=1
	s_and_not1_saveexec_b32 s2, s1
; %bb.1003:                             ;   in Loop: Header=BB462_8 Depth=1
	v_and_b32_e32 v32, 0xffff, v18
	v_or_b32_e32 v33, 0x10000, v18
	s_delay_alu instid0(VALU_DEP_2) | instskip(NEXT) | instid1(VALU_DEP_1)
	v_cmp_eq_u32_e64 s1, 0, v32
	v_cndmask_b32_e64 v119, v33, v18, s1
; %bb.1004:                             ;   in Loop: Header=BB462_8 Depth=1
	s_or_b32 exec_lo, exec_lo, s2
	v_mov_b32_e32 v18, 0
	s_mov_b32 s2, exec_lo
	v_cmpx_lt_u32_e32 0xffffff, v30
	s_cbranch_execz .LBB462_1012
; %bb.1005:                             ;   in Loop: Header=BB462_8 Depth=1
	v_lshrrev_b32_e32 v128, 24, v30
	v_bfrev_b32_e32 v18, 1
	s_mov_b32 s18, exec_lo
	s_delay_alu instid0(VALU_DEP_2)
	v_cmpx_ne_u32_e32 0x80, v128
	s_cbranch_execz .LBB462_1011
; %bb.1006:                             ;   in Loop: Header=BB462_8 Depth=1
	v_bfe_u32 v32, v30, 24, 7
	v_mov_b32_e32 v18, 0x7f800001
	s_mov_b32 s19, exec_lo
	s_delay_alu instid0(VALU_DEP_2)
	v_cmpx_ne_u32_e32 0x7f, v32
	s_cbranch_execz .LBB462_1010
; %bb.1007:                             ;   in Loop: Header=BB462_8 Depth=1
	v_and_b32_e32 v18, 7, v128
	v_lshrrev_b32_e32 v129, 3, v32
	v_cmp_gt_u32_e64 s1, 8, v32
	s_delay_alu instid0(VALU_DEP_3) | instskip(NEXT) | instid1(VALU_DEP_2)
	v_dual_mov_b32 v33, v19 :: v_dual_mov_b32 v32, v18
	s_and_saveexec_b32 s20, s1
; %bb.1008:                             ;   in Loop: Header=BB462_8 Depth=1
	v_clz_i32_u32_e32 v32, v18
	s_delay_alu instid0(VALU_DEP_1) | instskip(NEXT) | instid1(VALU_DEP_1)
	v_min_u32_e32 v129, 32, v32
	v_subrev_nc_u32_e32 v32, 28, v129
	v_sub_nc_u32_e32 v129, 29, v129
	s_delay_alu instid0(VALU_DEP_2) | instskip(NEXT) | instid1(VALU_DEP_1)
	v_lshlrev_b64 v[32:33], v32, v[18:19]
	v_and_b32_e32 v32, 7, v32
; %bb.1009:                             ;   in Loop: Header=BB462_8 Depth=1
	s_or_b32 exec_lo, exec_lo, s20
	v_lshlrev_b32_e32 v18, 24, v128
	s_delay_alu instid0(VALU_DEP_2) | instskip(SKIP_1) | instid1(VALU_DEP_3)
	v_lshlrev_b32_e32 v32, 20, v32
	v_lshl_add_u32 v33, v129, 23, 0x3c000000
	v_and_b32_e32 v18, 0x80000000, v18
	s_delay_alu instid0(VALU_DEP_1)
	v_or3_b32 v18, v32, v18, v33
.LBB462_1010:                           ;   in Loop: Header=BB462_8 Depth=1
	s_or_b32 exec_lo, exec_lo, s19
.LBB462_1011:                           ;   in Loop: Header=BB462_8 Depth=1
	s_delay_alu instid0(SALU_CYCLE_1)
	s_or_b32 exec_lo, exec_lo, s18
.LBB462_1012:                           ;   in Loop: Header=BB462_8 Depth=1
	s_delay_alu instid0(SALU_CYCLE_1) | instskip(NEXT) | instid1(VALU_DEP_1)
	s_or_b32 exec_lo, exec_lo, s2
	v_mul_f32_e32 v18, v152, v18
                                        ; implicit-def: $vgpr128
	s_delay_alu instid0(VALU_DEP_1) | instskip(NEXT) | instid1(VALU_DEP_1)
	v_and_b32_e32 v32, 0x7f800000, v18
	v_cmp_ne_u32_e64 s1, 0x7f800000, v32
	s_delay_alu instid0(VALU_DEP_1) | instskip(NEXT) | instid1(SALU_CYCLE_1)
	s_and_saveexec_b32 s2, s1
	s_xor_b32 s1, exec_lo, s2
; %bb.1013:                             ;   in Loop: Header=BB462_8 Depth=1
	v_bfe_u32 v32, v18, 16, 1
	s_delay_alu instid0(VALU_DEP_1)
	v_add3_u32 v128, v18, v32, 0x7fff
                                        ; implicit-def: $vgpr18
; %bb.1014:                             ;   in Loop: Header=BB462_8 Depth=1
	s_and_not1_saveexec_b32 s2, s1
; %bb.1015:                             ;   in Loop: Header=BB462_8 Depth=1
	v_and_b32_e32 v32, 0xffff, v18
	v_or_b32_e32 v33, 0x10000, v18
	s_delay_alu instid0(VALU_DEP_2) | instskip(NEXT) | instid1(VALU_DEP_1)
	v_cmp_eq_u32_e64 s1, 0, v32
	v_cndmask_b32_e64 v128, v33, v18, s1
; %bb.1016:                             ;   in Loop: Header=BB462_8 Depth=1
	s_or_b32 exec_lo, exec_lo, s2
	v_dual_mov_b32 v18, v31 :: v_dual_and_b32 v33, 0xff, v31
	v_mov_b32_e32 v32, 0
	s_mov_b32 s2, exec_lo
	s_delay_alu instid0(VALU_DEP_2)
	v_cmpx_ne_u16_e32 0, v33
	s_cbranch_execz .LBB462_1024
; %bb.1017:                             ;   in Loop: Header=BB462_8 Depth=1
	v_bfrev_b32_e32 v32, 1
	s_mov_b32 s18, exec_lo
	v_cmpx_ne_u16_e32 0x80, v33
	s_cbranch_execz .LBB462_1023
; %bb.1018:                             ;   in Loop: Header=BB462_8 Depth=1
	v_and_b32_e32 v33, 0x7f, v31
	v_mov_b32_e32 v32, 0x7f800001
	s_mov_b32 s19, exec_lo
	s_delay_alu instid0(VALU_DEP_2)
	v_cmpx_ne_u32_e32 0x7f, v33
	s_cbranch_execz .LBB462_1022
; %bb.1019:                             ;   in Loop: Header=BB462_8 Depth=1
	v_lshrrev_b32_e32 v129, 3, v33
	v_cmp_gt_u32_e64 s1, 8, v33
	v_dual_mov_b32 v33, v19 :: v_dual_mov_b32 v32, v18
	s_delay_alu instid0(VALU_DEP_2)
	s_and_saveexec_b32 s20, s1
; %bb.1020:                             ;   in Loop: Header=BB462_8 Depth=1
	v_and_b32_e32 v32, 7, v31
	s_delay_alu instid0(VALU_DEP_1) | instskip(NEXT) | instid1(VALU_DEP_1)
	v_clz_i32_u32_e32 v32, v32
	v_min_u32_e32 v129, 32, v32
	s_delay_alu instid0(VALU_DEP_1) | instskip(SKIP_1) | instid1(VALU_DEP_2)
	v_subrev_nc_u32_e32 v32, 28, v129
	v_sub_nc_u32_e32 v129, 29, v129
	v_lshlrev_b64 v[32:33], v32, v[18:19]
; %bb.1021:                             ;   in Loop: Header=BB462_8 Depth=1
	s_or_b32 exec_lo, exec_lo, s20
	s_delay_alu instid0(VALU_DEP_1) | instskip(SKIP_2) | instid1(VALU_DEP_3)
	v_lshlrev_b32_e32 v32, 20, v32
	v_lshlrev_b32_e32 v33, 24, v18
	v_lshl_add_u32 v129, v129, 23, 0x3c000000
	v_and_b32_e32 v32, 0x700000, v32
	s_delay_alu instid0(VALU_DEP_3) | instskip(NEXT) | instid1(VALU_DEP_1)
	v_and_b32_e32 v33, 0x80000000, v33
	v_or3_b32 v32, v32, v33, v129
.LBB462_1022:                           ;   in Loop: Header=BB462_8 Depth=1
	s_or_b32 exec_lo, exec_lo, s19
.LBB462_1023:                           ;   in Loop: Header=BB462_8 Depth=1
	s_delay_alu instid0(SALU_CYCLE_1)
	s_or_b32 exec_lo, exec_lo, s18
.LBB462_1024:                           ;   in Loop: Header=BB462_8 Depth=1
	s_delay_alu instid0(SALU_CYCLE_1) | instskip(NEXT) | instid1(VALU_DEP_1)
	s_or_b32 exec_lo, exec_lo, s2
	v_mul_f32_e32 v32, v152, v32
                                        ; implicit-def: $vgpr129
	s_delay_alu instid0(VALU_DEP_1) | instskip(NEXT) | instid1(VALU_DEP_1)
	v_and_b32_e32 v33, 0x7f800000, v32
	v_cmp_ne_u32_e64 s1, 0x7f800000, v33
	s_delay_alu instid0(VALU_DEP_1) | instskip(NEXT) | instid1(SALU_CYCLE_1)
	s_and_saveexec_b32 s2, s1
	s_xor_b32 s1, exec_lo, s2
; %bb.1025:                             ;   in Loop: Header=BB462_8 Depth=1
	v_bfe_u32 v33, v32, 16, 1
	s_delay_alu instid0(VALU_DEP_1)
	v_add3_u32 v129, v32, v33, 0x7fff
                                        ; implicit-def: $vgpr32
; %bb.1026:                             ;   in Loop: Header=BB462_8 Depth=1
	s_and_not1_saveexec_b32 s2, s1
; %bb.1027:                             ;   in Loop: Header=BB462_8 Depth=1
	v_and_b32_e32 v33, 0xffff, v32
	v_or_b32_e32 v129, 0x10000, v32
	s_delay_alu instid0(VALU_DEP_2) | instskip(NEXT) | instid1(VALU_DEP_1)
	v_cmp_eq_u32_e64 s1, 0, v33
	v_cndmask_b32_e64 v129, v129, v32, s1
; %bb.1028:                             ;   in Loop: Header=BB462_8 Depth=1
	s_or_b32 exec_lo, exec_lo, s2
	v_lshrrev_b16 v33, 8, v18
	v_mov_b32_e32 v32, 0
	s_mov_b32 s2, exec_lo
	s_delay_alu instid0(VALU_DEP_2)
	v_cmpx_ne_u16_e32 0, v33
	s_cbranch_execz .LBB462_1036
; %bb.1029:                             ;   in Loop: Header=BB462_8 Depth=1
	v_bfrev_b32_e32 v32, 1
	s_mov_b32 s18, exec_lo
	v_cmpx_ne_u16_e32 0x80, v33
	s_cbranch_execz .LBB462_1035
; %bb.1030:                             ;   in Loop: Header=BB462_8 Depth=1
	v_and_b32_e32 v33, 0xffff, v33
	v_mov_b32_e32 v32, 0x7f800001
	s_mov_b32 s19, exec_lo
	s_delay_alu instid0(VALU_DEP_2) | instskip(NEXT) | instid1(VALU_DEP_1)
	v_and_b32_e32 v131, 0x7f, v33
	v_cmpx_ne_u32_e32 0x7f, v131
	s_cbranch_execz .LBB462_1034
; %bb.1031:                             ;   in Loop: Header=BB462_8 Depth=1
	v_dual_mov_b32 v33, v19 :: v_dual_and_b32 v32, 7, v33
	v_lshrrev_b32_e32 v130, 3, v131
	s_mov_b32 s20, exec_lo
	v_cmpx_gt_u32_e32 8, v131
; %bb.1032:                             ;   in Loop: Header=BB462_8 Depth=1
	s_delay_alu instid0(VALU_DEP_3) | instskip(NEXT) | instid1(VALU_DEP_1)
	v_clz_i32_u32_e32 v130, v32
	v_min_u32_e32 v130, 32, v130
	s_delay_alu instid0(VALU_DEP_1) | instskip(SKIP_1) | instid1(VALU_DEP_2)
	v_subrev_nc_u32_e32 v131, 28, v130
	v_sub_nc_u32_e32 v130, 29, v130
	v_lshlrev_b64 v[32:33], v131, v[32:33]
	s_delay_alu instid0(VALU_DEP_1)
	v_and_b32_e32 v32, 7, v32
; %bb.1033:                             ;   in Loop: Header=BB462_8 Depth=1
	s_or_b32 exec_lo, exec_lo, s20
	v_lshlrev_b32_e32 v18, 16, v18
	s_delay_alu instid0(VALU_DEP_2) | instskip(SKIP_1) | instid1(VALU_DEP_3)
	v_lshlrev_b32_e32 v32, 20, v32
	v_lshl_add_u32 v33, v130, 23, 0x3c000000
	v_and_b32_e32 v18, 0x80000000, v18
	s_delay_alu instid0(VALU_DEP_1)
	v_or3_b32 v32, v32, v18, v33
.LBB462_1034:                           ;   in Loop: Header=BB462_8 Depth=1
	s_or_b32 exec_lo, exec_lo, s19
.LBB462_1035:                           ;   in Loop: Header=BB462_8 Depth=1
	s_delay_alu instid0(SALU_CYCLE_1)
	s_or_b32 exec_lo, exec_lo, s18
.LBB462_1036:                           ;   in Loop: Header=BB462_8 Depth=1
	s_delay_alu instid0(SALU_CYCLE_1) | instskip(NEXT) | instid1(VALU_DEP_1)
	s_or_b32 exec_lo, exec_lo, s2
	v_mul_f32_e32 v18, v152, v32
                                        ; implicit-def: $vgpr130
	s_delay_alu instid0(VALU_DEP_1) | instskip(NEXT) | instid1(VALU_DEP_1)
	v_and_b32_e32 v32, 0x7f800000, v18
	v_cmp_ne_u32_e64 s1, 0x7f800000, v32
	s_delay_alu instid0(VALU_DEP_1) | instskip(NEXT) | instid1(SALU_CYCLE_1)
	s_and_saveexec_b32 s2, s1
	s_xor_b32 s1, exec_lo, s2
; %bb.1037:                             ;   in Loop: Header=BB462_8 Depth=1
	v_bfe_u32 v32, v18, 16, 1
	s_delay_alu instid0(VALU_DEP_1)
	v_add3_u32 v130, v18, v32, 0x7fff
                                        ; implicit-def: $vgpr18
; %bb.1038:                             ;   in Loop: Header=BB462_8 Depth=1
	s_and_not1_saveexec_b32 s2, s1
; %bb.1039:                             ;   in Loop: Header=BB462_8 Depth=1
	v_and_b32_e32 v32, 0xffff, v18
	v_or_b32_e32 v33, 0x10000, v18
	s_delay_alu instid0(VALU_DEP_2) | instskip(NEXT) | instid1(VALU_DEP_1)
	v_cmp_eq_u32_e64 s1, 0, v32
	v_cndmask_b32_e64 v130, v33, v18, s1
; %bb.1040:                             ;   in Loop: Header=BB462_8 Depth=1
	s_or_b32 exec_lo, exec_lo, s2
	v_lshrrev_b32_e32 v131, 16, v31
	v_mov_b32_e32 v18, 0
	s_mov_b32 s2, exec_lo
	s_delay_alu instid0(VALU_DEP_2) | instskip(NEXT) | instid1(VALU_DEP_1)
	v_and_b32_e32 v32, 0xff, v131
	v_cmpx_ne_u16_e32 0, v32
	s_cbranch_execz .LBB462_1048
; %bb.1041:                             ;   in Loop: Header=BB462_8 Depth=1
	v_bfrev_b32_e32 v18, 1
	s_mov_b32 s18, exec_lo
	v_cmpx_ne_u16_e32 0x80, v32
	s_cbranch_execz .LBB462_1047
; %bb.1042:                             ;   in Loop: Header=BB462_8 Depth=1
	v_bfe_u32 v32, v31, 16, 7
	v_mov_b32_e32 v18, 0x7f800001
	s_mov_b32 s19, exec_lo
	s_delay_alu instid0(VALU_DEP_2)
	v_cmpx_ne_u32_e32 0x7f, v32
	s_cbranch_execz .LBB462_1046
; %bb.1043:                             ;   in Loop: Header=BB462_8 Depth=1
	v_and_b32_e32 v18, 7, v131
	v_lshrrev_b32_e32 v132, 3, v32
	v_cmp_gt_u32_e64 s1, 8, v32
	s_delay_alu instid0(VALU_DEP_3) | instskip(NEXT) | instid1(VALU_DEP_2)
	v_dual_mov_b32 v33, v19 :: v_dual_mov_b32 v32, v18
	s_and_saveexec_b32 s20, s1
; %bb.1044:                             ;   in Loop: Header=BB462_8 Depth=1
	v_clz_i32_u32_e32 v32, v18
	s_delay_alu instid0(VALU_DEP_1) | instskip(NEXT) | instid1(VALU_DEP_1)
	v_min_u32_e32 v132, 32, v32
	v_subrev_nc_u32_e32 v32, 28, v132
	v_sub_nc_u32_e32 v132, 29, v132
	s_delay_alu instid0(VALU_DEP_2) | instskip(NEXT) | instid1(VALU_DEP_1)
	v_lshlrev_b64 v[32:33], v32, v[18:19]
	v_and_b32_e32 v32, 7, v32
; %bb.1045:                             ;   in Loop: Header=BB462_8 Depth=1
	s_or_b32 exec_lo, exec_lo, s20
	v_lshlrev_b32_e32 v18, 24, v131
	s_delay_alu instid0(VALU_DEP_2) | instskip(SKIP_1) | instid1(VALU_DEP_3)
	v_lshlrev_b32_e32 v32, 20, v32
	v_lshl_add_u32 v33, v132, 23, 0x3c000000
	v_and_b32_e32 v18, 0x80000000, v18
	s_delay_alu instid0(VALU_DEP_1)
	v_or3_b32 v18, v32, v18, v33
.LBB462_1046:                           ;   in Loop: Header=BB462_8 Depth=1
	s_or_b32 exec_lo, exec_lo, s19
.LBB462_1047:                           ;   in Loop: Header=BB462_8 Depth=1
	s_delay_alu instid0(SALU_CYCLE_1)
	s_or_b32 exec_lo, exec_lo, s18
.LBB462_1048:                           ;   in Loop: Header=BB462_8 Depth=1
	s_delay_alu instid0(SALU_CYCLE_1) | instskip(NEXT) | instid1(VALU_DEP_1)
	s_or_b32 exec_lo, exec_lo, s2
	v_mul_f32_e32 v18, v152, v18
                                        ; implicit-def: $vgpr131
	s_delay_alu instid0(VALU_DEP_1) | instskip(NEXT) | instid1(VALU_DEP_1)
	v_and_b32_e32 v32, 0x7f800000, v18
	v_cmp_ne_u32_e64 s1, 0x7f800000, v32
	s_delay_alu instid0(VALU_DEP_1) | instskip(NEXT) | instid1(SALU_CYCLE_1)
	s_and_saveexec_b32 s2, s1
	s_xor_b32 s1, exec_lo, s2
; %bb.1049:                             ;   in Loop: Header=BB462_8 Depth=1
	v_bfe_u32 v32, v18, 16, 1
	s_delay_alu instid0(VALU_DEP_1)
	v_add3_u32 v131, v18, v32, 0x7fff
                                        ; implicit-def: $vgpr18
; %bb.1050:                             ;   in Loop: Header=BB462_8 Depth=1
	s_and_not1_saveexec_b32 s2, s1
; %bb.1051:                             ;   in Loop: Header=BB462_8 Depth=1
	v_and_b32_e32 v32, 0xffff, v18
	v_or_b32_e32 v33, 0x10000, v18
	s_delay_alu instid0(VALU_DEP_2) | instskip(NEXT) | instid1(VALU_DEP_1)
	v_cmp_eq_u32_e64 s1, 0, v32
	v_cndmask_b32_e64 v131, v33, v18, s1
; %bb.1052:                             ;   in Loop: Header=BB462_8 Depth=1
	s_or_b32 exec_lo, exec_lo, s2
	v_mov_b32_e32 v18, 0
	s_mov_b32 s2, exec_lo
	v_cmpx_lt_u64_e64 s[8:9], v[30:31]
	s_cbranch_execz .LBB462_1060
; %bb.1053:                             ;   in Loop: Header=BB462_8 Depth=1
	v_lshrrev_b32_e32 v32, 24, v31
	v_bfrev_b32_e32 v18, 1
	s_mov_b32 s18, exec_lo
	s_delay_alu instid0(VALU_DEP_2)
	v_cmpx_ne_u32_e32 0x80, v32
	s_cbranch_execz .LBB462_1059
; %bb.1054:                             ;   in Loop: Header=BB462_8 Depth=1
	v_bfe_u32 v30, v31, 24, 7
	v_mov_b32_e32 v18, 0x7f800001
	s_mov_b32 s19, exec_lo
	s_delay_alu instid0(VALU_DEP_2)
	v_cmpx_ne_u32_e32 0x7f, v30
	s_cbranch_execz .LBB462_1058
; %bb.1055:                             ;   in Loop: Header=BB462_8 Depth=1
	v_and_b32_e32 v18, 7, v32
	v_lshrrev_b32_e32 v33, 3, v30
	v_cmp_gt_u32_e64 s1, 8, v30
	s_delay_alu instid0(VALU_DEP_3) | instskip(NEXT) | instid1(VALU_DEP_2)
	v_dual_mov_b32 v31, v19 :: v_dual_mov_b32 v30, v18
	s_and_saveexec_b32 s20, s1
; %bb.1056:                             ;   in Loop: Header=BB462_8 Depth=1
	v_clz_i32_u32_e32 v30, v18
	s_delay_alu instid0(VALU_DEP_1) | instskip(NEXT) | instid1(VALU_DEP_1)
	v_min_u32_e32 v33, 32, v30
	v_subrev_nc_u32_e32 v30, 28, v33
	v_sub_nc_u32_e32 v33, 29, v33
	s_delay_alu instid0(VALU_DEP_2) | instskip(NEXT) | instid1(VALU_DEP_1)
	v_lshlrev_b64 v[30:31], v30, v[18:19]
	v_and_b32_e32 v30, 7, v30
; %bb.1057:                             ;   in Loop: Header=BB462_8 Depth=1
	s_or_b32 exec_lo, exec_lo, s20
	v_lshlrev_b32_e32 v18, 24, v32
	s_delay_alu instid0(VALU_DEP_2) | instskip(SKIP_1) | instid1(VALU_DEP_3)
	v_lshlrev_b32_e32 v30, 20, v30
	v_lshl_add_u32 v31, v33, 23, 0x3c000000
	v_and_b32_e32 v18, 0x80000000, v18
	s_delay_alu instid0(VALU_DEP_1)
	v_or3_b32 v18, v30, v18, v31
.LBB462_1058:                           ;   in Loop: Header=BB462_8 Depth=1
	s_or_b32 exec_lo, exec_lo, s19
.LBB462_1059:                           ;   in Loop: Header=BB462_8 Depth=1
	s_delay_alu instid0(SALU_CYCLE_1)
	s_or_b32 exec_lo, exec_lo, s18
.LBB462_1060:                           ;   in Loop: Header=BB462_8 Depth=1
	s_delay_alu instid0(SALU_CYCLE_1) | instskip(NEXT) | instid1(VALU_DEP_1)
	s_or_b32 exec_lo, exec_lo, s2
	v_mul_f32_e32 v18, v152, v18
                                        ; implicit-def: $vgpr132
	s_delay_alu instid0(VALU_DEP_1) | instskip(NEXT) | instid1(VALU_DEP_1)
	v_and_b32_e32 v30, 0x7f800000, v18
	v_cmp_ne_u32_e64 s1, 0x7f800000, v30
	s_delay_alu instid0(VALU_DEP_1) | instskip(NEXT) | instid1(SALU_CYCLE_1)
	s_and_saveexec_b32 s2, s1
	s_xor_b32 s1, exec_lo, s2
; %bb.1061:                             ;   in Loop: Header=BB462_8 Depth=1
	v_bfe_u32 v30, v18, 16, 1
	s_delay_alu instid0(VALU_DEP_1)
	v_add3_u32 v132, v18, v30, 0x7fff
                                        ; implicit-def: $vgpr18
; %bb.1062:                             ;   in Loop: Header=BB462_8 Depth=1
	s_and_not1_saveexec_b32 s2, s1
; %bb.1063:                             ;   in Loop: Header=BB462_8 Depth=1
	v_and_b32_e32 v30, 0xffff, v18
	v_or_b32_e32 v31, 0x10000, v18
	s_delay_alu instid0(VALU_DEP_2) | instskip(NEXT) | instid1(VALU_DEP_1)
	v_cmp_eq_u32_e64 s1, 0, v30
	v_cndmask_b32_e64 v132, v31, v18, s1
; %bb.1064:                             ;   in Loop: Header=BB462_8 Depth=1
	s_or_b32 exec_lo, exec_lo, s2
	flat_load_b64 v[30:31], v[28:29] offset:2568
	v_mov_b32_e32 v18, 0
	s_mov_b32 s2, exec_lo
	s_waitcnt vmcnt(0) lgkmcnt(0)
	v_and_b32_e32 v32, 0xff, v30
	s_delay_alu instid0(VALU_DEP_1)
	v_cmpx_ne_u16_e32 0, v32
	s_cbranch_execz .LBB462_1072
; %bb.1065:                             ;   in Loop: Header=BB462_8 Depth=1
	v_bfrev_b32_e32 v18, 1
	s_mov_b32 s18, exec_lo
	v_cmpx_ne_u16_e32 0x80, v32
	s_cbranch_execz .LBB462_1071
; %bb.1066:                             ;   in Loop: Header=BB462_8 Depth=1
	v_and_b32_e32 v32, 0x7f, v30
	v_mov_b32_e32 v18, 0x7f800001
	s_mov_b32 s19, exec_lo
	s_delay_alu instid0(VALU_DEP_2)
	v_cmpx_ne_u32_e32 0x7f, v32
	s_cbranch_execz .LBB462_1070
; %bb.1067:                             ;   in Loop: Header=BB462_8 Depth=1
	v_lshrrev_b32_e32 v18, 3, v32
	v_cmp_gt_u32_e64 s1, 8, v32
	v_dual_mov_b32 v33, v31 :: v_dual_mov_b32 v32, v30
	s_delay_alu instid0(VALU_DEP_2)
	s_and_saveexec_b32 s20, s1
; %bb.1068:                             ;   in Loop: Header=BB462_8 Depth=1
	v_and_b32_e32 v18, 7, v30
	s_delay_alu instid0(VALU_DEP_1) | instskip(NEXT) | instid1(VALU_DEP_1)
	v_clz_i32_u32_e32 v18, v18
	v_min_u32_e32 v18, 32, v18
	s_delay_alu instid0(VALU_DEP_1) | instskip(SKIP_1) | instid1(VALU_DEP_2)
	v_subrev_nc_u32_e32 v32, 28, v18
	v_sub_nc_u32_e32 v18, 29, v18
	v_lshlrev_b64 v[32:33], v32, v[30:31]
; %bb.1069:                             ;   in Loop: Header=BB462_8 Depth=1
	s_or_b32 exec_lo, exec_lo, s20
	s_delay_alu instid0(VALU_DEP_1) | instskip(SKIP_2) | instid1(VALU_DEP_3)
	v_lshlrev_b32_e32 v32, 20, v32
	v_lshlrev_b32_e32 v33, 24, v30
	v_lshl_add_u32 v18, v18, 23, 0x3c000000
	v_and_b32_e32 v32, 0x700000, v32
	s_delay_alu instid0(VALU_DEP_3) | instskip(NEXT) | instid1(VALU_DEP_1)
	v_and_b32_e32 v33, 0x80000000, v33
	v_or3_b32 v18, v32, v33, v18
.LBB462_1070:                           ;   in Loop: Header=BB462_8 Depth=1
	s_or_b32 exec_lo, exec_lo, s19
.LBB462_1071:                           ;   in Loop: Header=BB462_8 Depth=1
	s_delay_alu instid0(SALU_CYCLE_1)
	s_or_b32 exec_lo, exec_lo, s18
.LBB462_1072:                           ;   in Loop: Header=BB462_8 Depth=1
	s_delay_alu instid0(SALU_CYCLE_1) | instskip(NEXT) | instid1(VALU_DEP_1)
	s_or_b32 exec_lo, exec_lo, s2
	v_mul_f32_e32 v18, v152, v18
                                        ; implicit-def: $vgpr133
	s_delay_alu instid0(VALU_DEP_1) | instskip(NEXT) | instid1(VALU_DEP_1)
	v_and_b32_e32 v32, 0x7f800000, v18
	v_cmp_ne_u32_e64 s1, 0x7f800000, v32
	s_delay_alu instid0(VALU_DEP_1) | instskip(NEXT) | instid1(SALU_CYCLE_1)
	s_and_saveexec_b32 s2, s1
	s_xor_b32 s1, exec_lo, s2
; %bb.1073:                             ;   in Loop: Header=BB462_8 Depth=1
	v_bfe_u32 v32, v18, 16, 1
	s_delay_alu instid0(VALU_DEP_1)
	v_add3_u32 v133, v18, v32, 0x7fff
                                        ; implicit-def: $vgpr18
; %bb.1074:                             ;   in Loop: Header=BB462_8 Depth=1
	s_and_not1_saveexec_b32 s2, s1
; %bb.1075:                             ;   in Loop: Header=BB462_8 Depth=1
	v_and_b32_e32 v32, 0xffff, v18
	v_or_b32_e32 v33, 0x10000, v18
	s_delay_alu instid0(VALU_DEP_2) | instskip(NEXT) | instid1(VALU_DEP_1)
	v_cmp_eq_u32_e64 s1, 0, v32
	v_cndmask_b32_e64 v133, v33, v18, s1
; %bb.1076:                             ;   in Loop: Header=BB462_8 Depth=1
	s_or_b32 exec_lo, exec_lo, s2
	v_lshrrev_b16 v32, 8, v30
	v_mov_b32_e32 v18, 0
	s_mov_b32 s2, exec_lo
	s_delay_alu instid0(VALU_DEP_2)
	v_cmpx_ne_u16_e32 0, v32
	s_cbranch_execz .LBB462_1084
; %bb.1077:                             ;   in Loop: Header=BB462_8 Depth=1
	v_bfrev_b32_e32 v18, 1
	s_mov_b32 s18, exec_lo
	v_cmpx_ne_u16_e32 0x80, v32
	s_cbranch_execz .LBB462_1083
; %bb.1078:                             ;   in Loop: Header=BB462_8 Depth=1
	v_and_b32_e32 v33, 0xffff, v32
	v_mov_b32_e32 v18, 0x7f800001
	s_mov_b32 s19, exec_lo
	s_delay_alu instid0(VALU_DEP_2) | instskip(NEXT) | instid1(VALU_DEP_1)
	v_and_b32_e32 v32, 0x7f, v33
	v_cmpx_ne_u32_e32 0x7f, v32
	s_cbranch_execz .LBB462_1082
; %bb.1079:                             ;   in Loop: Header=BB462_8 Depth=1
	v_and_b32_e32 v18, 7, v33
	v_lshrrev_b32_e32 v134, 3, v32
	v_cmp_gt_u32_e64 s1, 8, v32
	s_delay_alu instid0(VALU_DEP_3) | instskip(NEXT) | instid1(VALU_DEP_2)
	v_dual_mov_b32 v33, v19 :: v_dual_mov_b32 v32, v18
	s_and_saveexec_b32 s20, s1
; %bb.1080:                             ;   in Loop: Header=BB462_8 Depth=1
	v_clz_i32_u32_e32 v32, v18
	s_delay_alu instid0(VALU_DEP_1) | instskip(NEXT) | instid1(VALU_DEP_1)
	v_min_u32_e32 v134, 32, v32
	v_subrev_nc_u32_e32 v32, 28, v134
	v_sub_nc_u32_e32 v134, 29, v134
	s_delay_alu instid0(VALU_DEP_2) | instskip(NEXT) | instid1(VALU_DEP_1)
	v_lshlrev_b64 v[32:33], v32, v[18:19]
	v_and_b32_e32 v32, 7, v32
; %bb.1081:                             ;   in Loop: Header=BB462_8 Depth=1
	s_or_b32 exec_lo, exec_lo, s20
	v_lshlrev_b32_e32 v18, 16, v30
	s_delay_alu instid0(VALU_DEP_2) | instskip(SKIP_1) | instid1(VALU_DEP_3)
	v_lshlrev_b32_e32 v32, 20, v32
	v_lshl_add_u32 v33, v134, 23, 0x3c000000
	v_and_b32_e32 v18, 0x80000000, v18
	s_delay_alu instid0(VALU_DEP_1)
	v_or3_b32 v18, v32, v18, v33
.LBB462_1082:                           ;   in Loop: Header=BB462_8 Depth=1
	s_or_b32 exec_lo, exec_lo, s19
.LBB462_1083:                           ;   in Loop: Header=BB462_8 Depth=1
	s_delay_alu instid0(SALU_CYCLE_1)
	s_or_b32 exec_lo, exec_lo, s18
.LBB462_1084:                           ;   in Loop: Header=BB462_8 Depth=1
	s_delay_alu instid0(SALU_CYCLE_1) | instskip(NEXT) | instid1(VALU_DEP_1)
	s_or_b32 exec_lo, exec_lo, s2
	v_mul_f32_e32 v18, v152, v18
                                        ; implicit-def: $vgpr134
	s_delay_alu instid0(VALU_DEP_1) | instskip(NEXT) | instid1(VALU_DEP_1)
	v_and_b32_e32 v32, 0x7f800000, v18
	v_cmp_ne_u32_e64 s1, 0x7f800000, v32
	s_delay_alu instid0(VALU_DEP_1) | instskip(NEXT) | instid1(SALU_CYCLE_1)
	s_and_saveexec_b32 s2, s1
	s_xor_b32 s1, exec_lo, s2
; %bb.1085:                             ;   in Loop: Header=BB462_8 Depth=1
	v_bfe_u32 v32, v18, 16, 1
	s_delay_alu instid0(VALU_DEP_1)
	v_add3_u32 v134, v18, v32, 0x7fff
                                        ; implicit-def: $vgpr18
; %bb.1086:                             ;   in Loop: Header=BB462_8 Depth=1
	s_and_not1_saveexec_b32 s2, s1
; %bb.1087:                             ;   in Loop: Header=BB462_8 Depth=1
	v_and_b32_e32 v32, 0xffff, v18
	v_or_b32_e32 v33, 0x10000, v18
	s_delay_alu instid0(VALU_DEP_2) | instskip(NEXT) | instid1(VALU_DEP_1)
	v_cmp_eq_u32_e64 s1, 0, v32
	v_cndmask_b32_e64 v134, v33, v18, s1
; %bb.1088:                             ;   in Loop: Header=BB462_8 Depth=1
	s_or_b32 exec_lo, exec_lo, s2
	v_lshrrev_b32_e32 v135, 16, v30
	v_mov_b32_e32 v18, 0
	s_mov_b32 s2, exec_lo
	s_delay_alu instid0(VALU_DEP_2) | instskip(NEXT) | instid1(VALU_DEP_1)
	v_and_b32_e32 v32, 0xff, v135
	v_cmpx_ne_u16_e32 0, v32
	s_cbranch_execz .LBB462_1096
; %bb.1089:                             ;   in Loop: Header=BB462_8 Depth=1
	v_bfrev_b32_e32 v18, 1
	s_mov_b32 s18, exec_lo
	v_cmpx_ne_u16_e32 0x80, v32
	s_cbranch_execz .LBB462_1095
; %bb.1090:                             ;   in Loop: Header=BB462_8 Depth=1
	v_bfe_u32 v32, v30, 16, 7
	v_mov_b32_e32 v18, 0x7f800001
	s_mov_b32 s19, exec_lo
	s_delay_alu instid0(VALU_DEP_2)
	v_cmpx_ne_u32_e32 0x7f, v32
	s_cbranch_execz .LBB462_1094
; %bb.1091:                             ;   in Loop: Header=BB462_8 Depth=1
	v_and_b32_e32 v18, 7, v135
	v_lshrrev_b32_e32 v144, 3, v32
	v_cmp_gt_u32_e64 s1, 8, v32
	s_delay_alu instid0(VALU_DEP_3) | instskip(NEXT) | instid1(VALU_DEP_2)
	v_dual_mov_b32 v33, v19 :: v_dual_mov_b32 v32, v18
	s_and_saveexec_b32 s20, s1
; %bb.1092:                             ;   in Loop: Header=BB462_8 Depth=1
	v_clz_i32_u32_e32 v32, v18
	s_delay_alu instid0(VALU_DEP_1) | instskip(NEXT) | instid1(VALU_DEP_1)
	v_min_u32_e32 v144, 32, v32
	v_subrev_nc_u32_e32 v32, 28, v144
	v_sub_nc_u32_e32 v144, 29, v144
	s_delay_alu instid0(VALU_DEP_2) | instskip(NEXT) | instid1(VALU_DEP_1)
	v_lshlrev_b64 v[32:33], v32, v[18:19]
	v_and_b32_e32 v32, 7, v32
; %bb.1093:                             ;   in Loop: Header=BB462_8 Depth=1
	s_or_b32 exec_lo, exec_lo, s20
	v_lshlrev_b32_e32 v18, 24, v135
	s_delay_alu instid0(VALU_DEP_2) | instskip(SKIP_1) | instid1(VALU_DEP_3)
	v_lshlrev_b32_e32 v32, 20, v32
	v_lshl_add_u32 v33, v144, 23, 0x3c000000
	v_and_b32_e32 v18, 0x80000000, v18
	s_delay_alu instid0(VALU_DEP_1)
	v_or3_b32 v18, v32, v18, v33
.LBB462_1094:                           ;   in Loop: Header=BB462_8 Depth=1
	s_or_b32 exec_lo, exec_lo, s19
.LBB462_1095:                           ;   in Loop: Header=BB462_8 Depth=1
	s_delay_alu instid0(SALU_CYCLE_1)
	s_or_b32 exec_lo, exec_lo, s18
.LBB462_1096:                           ;   in Loop: Header=BB462_8 Depth=1
	s_delay_alu instid0(SALU_CYCLE_1) | instskip(NEXT) | instid1(VALU_DEP_1)
	s_or_b32 exec_lo, exec_lo, s2
	v_mul_f32_e32 v18, v152, v18
                                        ; implicit-def: $vgpr135
	s_delay_alu instid0(VALU_DEP_1) | instskip(NEXT) | instid1(VALU_DEP_1)
	v_and_b32_e32 v32, 0x7f800000, v18
	v_cmp_ne_u32_e64 s1, 0x7f800000, v32
	s_delay_alu instid0(VALU_DEP_1) | instskip(NEXT) | instid1(SALU_CYCLE_1)
	s_and_saveexec_b32 s2, s1
	s_xor_b32 s1, exec_lo, s2
; %bb.1097:                             ;   in Loop: Header=BB462_8 Depth=1
	v_bfe_u32 v32, v18, 16, 1
	s_delay_alu instid0(VALU_DEP_1)
	v_add3_u32 v135, v18, v32, 0x7fff
                                        ; implicit-def: $vgpr18
; %bb.1098:                             ;   in Loop: Header=BB462_8 Depth=1
	s_and_not1_saveexec_b32 s2, s1
; %bb.1099:                             ;   in Loop: Header=BB462_8 Depth=1
	v_and_b32_e32 v32, 0xffff, v18
	v_or_b32_e32 v33, 0x10000, v18
	s_delay_alu instid0(VALU_DEP_2) | instskip(NEXT) | instid1(VALU_DEP_1)
	v_cmp_eq_u32_e64 s1, 0, v32
	v_cndmask_b32_e64 v135, v33, v18, s1
; %bb.1100:                             ;   in Loop: Header=BB462_8 Depth=1
	s_or_b32 exec_lo, exec_lo, s2
	v_mov_b32_e32 v18, 0
	s_mov_b32 s2, exec_lo
	v_cmpx_lt_u32_e32 0xffffff, v30
	s_cbranch_execz .LBB462_1108
; %bb.1101:                             ;   in Loop: Header=BB462_8 Depth=1
	v_lshrrev_b32_e32 v144, 24, v30
	v_bfrev_b32_e32 v18, 1
	s_mov_b32 s18, exec_lo
	s_delay_alu instid0(VALU_DEP_2)
	v_cmpx_ne_u32_e32 0x80, v144
	s_cbranch_execz .LBB462_1107
; %bb.1102:                             ;   in Loop: Header=BB462_8 Depth=1
	v_bfe_u32 v32, v30, 24, 7
	v_mov_b32_e32 v18, 0x7f800001
	s_mov_b32 s19, exec_lo
	s_delay_alu instid0(VALU_DEP_2)
	v_cmpx_ne_u32_e32 0x7f, v32
	s_cbranch_execz .LBB462_1106
; %bb.1103:                             ;   in Loop: Header=BB462_8 Depth=1
	v_and_b32_e32 v18, 7, v144
	v_lshrrev_b32_e32 v145, 3, v32
	v_cmp_gt_u32_e64 s1, 8, v32
	s_delay_alu instid0(VALU_DEP_3) | instskip(NEXT) | instid1(VALU_DEP_2)
	v_dual_mov_b32 v33, v19 :: v_dual_mov_b32 v32, v18
	s_and_saveexec_b32 s20, s1
; %bb.1104:                             ;   in Loop: Header=BB462_8 Depth=1
	v_clz_i32_u32_e32 v32, v18
	s_delay_alu instid0(VALU_DEP_1) | instskip(NEXT) | instid1(VALU_DEP_1)
	v_min_u32_e32 v145, 32, v32
	v_subrev_nc_u32_e32 v32, 28, v145
	v_sub_nc_u32_e32 v145, 29, v145
	s_delay_alu instid0(VALU_DEP_2) | instskip(NEXT) | instid1(VALU_DEP_1)
	v_lshlrev_b64 v[32:33], v32, v[18:19]
	v_and_b32_e32 v32, 7, v32
; %bb.1105:                             ;   in Loop: Header=BB462_8 Depth=1
	s_or_b32 exec_lo, exec_lo, s20
	v_lshlrev_b32_e32 v18, 24, v144
	s_delay_alu instid0(VALU_DEP_2) | instskip(SKIP_1) | instid1(VALU_DEP_3)
	v_lshlrev_b32_e32 v32, 20, v32
	v_lshl_add_u32 v33, v145, 23, 0x3c000000
	v_and_b32_e32 v18, 0x80000000, v18
	s_delay_alu instid0(VALU_DEP_1)
	v_or3_b32 v18, v32, v18, v33
.LBB462_1106:                           ;   in Loop: Header=BB462_8 Depth=1
	s_or_b32 exec_lo, exec_lo, s19
.LBB462_1107:                           ;   in Loop: Header=BB462_8 Depth=1
	s_delay_alu instid0(SALU_CYCLE_1)
	s_or_b32 exec_lo, exec_lo, s18
.LBB462_1108:                           ;   in Loop: Header=BB462_8 Depth=1
	s_delay_alu instid0(SALU_CYCLE_1) | instskip(NEXT) | instid1(VALU_DEP_1)
	s_or_b32 exec_lo, exec_lo, s2
	v_mul_f32_e32 v18, v152, v18
                                        ; implicit-def: $vgpr144
	s_delay_alu instid0(VALU_DEP_1) | instskip(NEXT) | instid1(VALU_DEP_1)
	v_and_b32_e32 v32, 0x7f800000, v18
	v_cmp_ne_u32_e64 s1, 0x7f800000, v32
	s_delay_alu instid0(VALU_DEP_1) | instskip(NEXT) | instid1(SALU_CYCLE_1)
	s_and_saveexec_b32 s2, s1
	s_xor_b32 s1, exec_lo, s2
; %bb.1109:                             ;   in Loop: Header=BB462_8 Depth=1
	v_bfe_u32 v32, v18, 16, 1
	s_delay_alu instid0(VALU_DEP_1)
	v_add3_u32 v144, v18, v32, 0x7fff
                                        ; implicit-def: $vgpr18
; %bb.1110:                             ;   in Loop: Header=BB462_8 Depth=1
	s_and_not1_saveexec_b32 s2, s1
; %bb.1111:                             ;   in Loop: Header=BB462_8 Depth=1
	v_and_b32_e32 v32, 0xffff, v18
	v_or_b32_e32 v33, 0x10000, v18
	s_delay_alu instid0(VALU_DEP_2) | instskip(NEXT) | instid1(VALU_DEP_1)
	v_cmp_eq_u32_e64 s1, 0, v32
	v_cndmask_b32_e64 v144, v33, v18, s1
; %bb.1112:                             ;   in Loop: Header=BB462_8 Depth=1
	s_or_b32 exec_lo, exec_lo, s2
	v_dual_mov_b32 v18, v31 :: v_dual_and_b32 v33, 0xff, v31
	v_mov_b32_e32 v32, 0
	s_mov_b32 s2, exec_lo
	s_delay_alu instid0(VALU_DEP_2)
	v_cmpx_ne_u16_e32 0, v33
	s_cbranch_execz .LBB462_1120
; %bb.1113:                             ;   in Loop: Header=BB462_8 Depth=1
	v_bfrev_b32_e32 v32, 1
	s_mov_b32 s18, exec_lo
	v_cmpx_ne_u16_e32 0x80, v33
	s_cbranch_execz .LBB462_1119
; %bb.1114:                             ;   in Loop: Header=BB462_8 Depth=1
	v_and_b32_e32 v33, 0x7f, v31
	v_mov_b32_e32 v32, 0x7f800001
	s_mov_b32 s19, exec_lo
	s_delay_alu instid0(VALU_DEP_2)
	v_cmpx_ne_u32_e32 0x7f, v33
	s_cbranch_execz .LBB462_1118
; %bb.1115:                             ;   in Loop: Header=BB462_8 Depth=1
	v_lshrrev_b32_e32 v145, 3, v33
	v_cmp_gt_u32_e64 s1, 8, v33
	v_dual_mov_b32 v33, v19 :: v_dual_mov_b32 v32, v18
	s_delay_alu instid0(VALU_DEP_2)
	s_and_saveexec_b32 s20, s1
; %bb.1116:                             ;   in Loop: Header=BB462_8 Depth=1
	v_and_b32_e32 v32, 7, v31
	s_delay_alu instid0(VALU_DEP_1) | instskip(NEXT) | instid1(VALU_DEP_1)
	v_clz_i32_u32_e32 v32, v32
	v_min_u32_e32 v145, 32, v32
	s_delay_alu instid0(VALU_DEP_1) | instskip(SKIP_1) | instid1(VALU_DEP_2)
	v_subrev_nc_u32_e32 v32, 28, v145
	v_sub_nc_u32_e32 v145, 29, v145
	v_lshlrev_b64 v[32:33], v32, v[18:19]
; %bb.1117:                             ;   in Loop: Header=BB462_8 Depth=1
	s_or_b32 exec_lo, exec_lo, s20
	s_delay_alu instid0(VALU_DEP_1) | instskip(SKIP_2) | instid1(VALU_DEP_3)
	v_lshlrev_b32_e32 v32, 20, v32
	v_lshlrev_b32_e32 v33, 24, v18
	v_lshl_add_u32 v145, v145, 23, 0x3c000000
	v_and_b32_e32 v32, 0x700000, v32
	s_delay_alu instid0(VALU_DEP_3) | instskip(NEXT) | instid1(VALU_DEP_1)
	v_and_b32_e32 v33, 0x80000000, v33
	v_or3_b32 v32, v32, v33, v145
.LBB462_1118:                           ;   in Loop: Header=BB462_8 Depth=1
	s_or_b32 exec_lo, exec_lo, s19
.LBB462_1119:                           ;   in Loop: Header=BB462_8 Depth=1
	s_delay_alu instid0(SALU_CYCLE_1)
	s_or_b32 exec_lo, exec_lo, s18
.LBB462_1120:                           ;   in Loop: Header=BB462_8 Depth=1
	s_delay_alu instid0(SALU_CYCLE_1) | instskip(NEXT) | instid1(VALU_DEP_1)
	s_or_b32 exec_lo, exec_lo, s2
	v_mul_f32_e32 v32, v152, v32
                                        ; implicit-def: $vgpr145
	s_delay_alu instid0(VALU_DEP_1) | instskip(NEXT) | instid1(VALU_DEP_1)
	v_and_b32_e32 v33, 0x7f800000, v32
	v_cmp_ne_u32_e64 s1, 0x7f800000, v33
	s_delay_alu instid0(VALU_DEP_1) | instskip(NEXT) | instid1(SALU_CYCLE_1)
	s_and_saveexec_b32 s2, s1
	s_xor_b32 s1, exec_lo, s2
; %bb.1121:                             ;   in Loop: Header=BB462_8 Depth=1
	v_bfe_u32 v33, v32, 16, 1
	s_delay_alu instid0(VALU_DEP_1)
	v_add3_u32 v145, v32, v33, 0x7fff
                                        ; implicit-def: $vgpr32
; %bb.1122:                             ;   in Loop: Header=BB462_8 Depth=1
	s_and_not1_saveexec_b32 s2, s1
; %bb.1123:                             ;   in Loop: Header=BB462_8 Depth=1
	v_and_b32_e32 v33, 0xffff, v32
	v_or_b32_e32 v145, 0x10000, v32
	s_delay_alu instid0(VALU_DEP_2) | instskip(NEXT) | instid1(VALU_DEP_1)
	v_cmp_eq_u32_e64 s1, 0, v33
	v_cndmask_b32_e64 v145, v145, v32, s1
; %bb.1124:                             ;   in Loop: Header=BB462_8 Depth=1
	s_or_b32 exec_lo, exec_lo, s2
	v_lshrrev_b16 v33, 8, v18
	v_mov_b32_e32 v32, 0
	s_mov_b32 s2, exec_lo
	s_delay_alu instid0(VALU_DEP_2)
	v_cmpx_ne_u16_e32 0, v33
	s_cbranch_execz .LBB462_1132
; %bb.1125:                             ;   in Loop: Header=BB462_8 Depth=1
	v_bfrev_b32_e32 v32, 1
	s_mov_b32 s18, exec_lo
	v_cmpx_ne_u16_e32 0x80, v33
	s_cbranch_execz .LBB462_1131
; %bb.1126:                             ;   in Loop: Header=BB462_8 Depth=1
	v_and_b32_e32 v33, 0xffff, v33
	v_mov_b32_e32 v32, 0x7f800001
	s_mov_b32 s19, exec_lo
	s_delay_alu instid0(VALU_DEP_2) | instskip(NEXT) | instid1(VALU_DEP_1)
	v_and_b32_e32 v147, 0x7f, v33
	v_cmpx_ne_u32_e32 0x7f, v147
	s_cbranch_execz .LBB462_1130
; %bb.1127:                             ;   in Loop: Header=BB462_8 Depth=1
	v_dual_mov_b32 v33, v19 :: v_dual_and_b32 v32, 7, v33
	v_lshrrev_b32_e32 v146, 3, v147
	s_mov_b32 s20, exec_lo
	v_cmpx_gt_u32_e32 8, v147
; %bb.1128:                             ;   in Loop: Header=BB462_8 Depth=1
	s_delay_alu instid0(VALU_DEP_3) | instskip(NEXT) | instid1(VALU_DEP_1)
	v_clz_i32_u32_e32 v146, v32
	v_min_u32_e32 v146, 32, v146
	s_delay_alu instid0(VALU_DEP_1) | instskip(SKIP_1) | instid1(VALU_DEP_2)
	v_subrev_nc_u32_e32 v147, 28, v146
	v_sub_nc_u32_e32 v146, 29, v146
	v_lshlrev_b64 v[32:33], v147, v[32:33]
	s_delay_alu instid0(VALU_DEP_1)
	v_and_b32_e32 v32, 7, v32
; %bb.1129:                             ;   in Loop: Header=BB462_8 Depth=1
	s_or_b32 exec_lo, exec_lo, s20
	v_lshlrev_b32_e32 v18, 16, v18
	s_delay_alu instid0(VALU_DEP_2) | instskip(SKIP_1) | instid1(VALU_DEP_3)
	v_lshlrev_b32_e32 v32, 20, v32
	v_lshl_add_u32 v33, v146, 23, 0x3c000000
	v_and_b32_e32 v18, 0x80000000, v18
	s_delay_alu instid0(VALU_DEP_1)
	v_or3_b32 v32, v32, v18, v33
.LBB462_1130:                           ;   in Loop: Header=BB462_8 Depth=1
	s_or_b32 exec_lo, exec_lo, s19
.LBB462_1131:                           ;   in Loop: Header=BB462_8 Depth=1
	s_delay_alu instid0(SALU_CYCLE_1)
	s_or_b32 exec_lo, exec_lo, s18
.LBB462_1132:                           ;   in Loop: Header=BB462_8 Depth=1
	s_delay_alu instid0(SALU_CYCLE_1) | instskip(NEXT) | instid1(VALU_DEP_1)
	s_or_b32 exec_lo, exec_lo, s2
	v_mul_f32_e32 v18, v152, v32
                                        ; implicit-def: $vgpr146
	s_delay_alu instid0(VALU_DEP_1) | instskip(NEXT) | instid1(VALU_DEP_1)
	v_and_b32_e32 v32, 0x7f800000, v18
	v_cmp_ne_u32_e64 s1, 0x7f800000, v32
	s_delay_alu instid0(VALU_DEP_1) | instskip(NEXT) | instid1(SALU_CYCLE_1)
	s_and_saveexec_b32 s2, s1
	s_xor_b32 s1, exec_lo, s2
; %bb.1133:                             ;   in Loop: Header=BB462_8 Depth=1
	v_bfe_u32 v32, v18, 16, 1
	s_delay_alu instid0(VALU_DEP_1)
	v_add3_u32 v146, v18, v32, 0x7fff
                                        ; implicit-def: $vgpr18
; %bb.1134:                             ;   in Loop: Header=BB462_8 Depth=1
	s_and_not1_saveexec_b32 s2, s1
; %bb.1135:                             ;   in Loop: Header=BB462_8 Depth=1
	v_and_b32_e32 v32, 0xffff, v18
	v_or_b32_e32 v33, 0x10000, v18
	s_delay_alu instid0(VALU_DEP_2) | instskip(NEXT) | instid1(VALU_DEP_1)
	v_cmp_eq_u32_e64 s1, 0, v32
	v_cndmask_b32_e64 v146, v33, v18, s1
; %bb.1136:                             ;   in Loop: Header=BB462_8 Depth=1
	s_or_b32 exec_lo, exec_lo, s2
	v_lshrrev_b32_e32 v147, 16, v31
	v_mov_b32_e32 v18, 0
	s_mov_b32 s2, exec_lo
	s_delay_alu instid0(VALU_DEP_2) | instskip(NEXT) | instid1(VALU_DEP_1)
	v_and_b32_e32 v32, 0xff, v147
	v_cmpx_ne_u16_e32 0, v32
	s_cbranch_execz .LBB462_1144
; %bb.1137:                             ;   in Loop: Header=BB462_8 Depth=1
	v_bfrev_b32_e32 v18, 1
	s_mov_b32 s18, exec_lo
	v_cmpx_ne_u16_e32 0x80, v32
	s_cbranch_execz .LBB462_1143
; %bb.1138:                             ;   in Loop: Header=BB462_8 Depth=1
	v_bfe_u32 v32, v31, 16, 7
	v_mov_b32_e32 v18, 0x7f800001
	s_mov_b32 s19, exec_lo
	s_delay_alu instid0(VALU_DEP_2)
	v_cmpx_ne_u32_e32 0x7f, v32
	s_cbranch_execz .LBB462_1142
; %bb.1139:                             ;   in Loop: Header=BB462_8 Depth=1
	v_and_b32_e32 v18, 7, v147
	v_lshrrev_b32_e32 v148, 3, v32
	v_cmp_gt_u32_e64 s1, 8, v32
	s_delay_alu instid0(VALU_DEP_3) | instskip(NEXT) | instid1(VALU_DEP_2)
	v_dual_mov_b32 v33, v19 :: v_dual_mov_b32 v32, v18
	s_and_saveexec_b32 s20, s1
; %bb.1140:                             ;   in Loop: Header=BB462_8 Depth=1
	v_clz_i32_u32_e32 v32, v18
	s_delay_alu instid0(VALU_DEP_1) | instskip(NEXT) | instid1(VALU_DEP_1)
	v_min_u32_e32 v148, 32, v32
	v_subrev_nc_u32_e32 v32, 28, v148
	v_sub_nc_u32_e32 v148, 29, v148
	s_delay_alu instid0(VALU_DEP_2) | instskip(NEXT) | instid1(VALU_DEP_1)
	v_lshlrev_b64 v[32:33], v32, v[18:19]
	v_and_b32_e32 v32, 7, v32
; %bb.1141:                             ;   in Loop: Header=BB462_8 Depth=1
	s_or_b32 exec_lo, exec_lo, s20
	v_lshlrev_b32_e32 v18, 24, v147
	s_delay_alu instid0(VALU_DEP_2) | instskip(SKIP_1) | instid1(VALU_DEP_3)
	v_lshlrev_b32_e32 v32, 20, v32
	v_lshl_add_u32 v33, v148, 23, 0x3c000000
	v_and_b32_e32 v18, 0x80000000, v18
	s_delay_alu instid0(VALU_DEP_1)
	v_or3_b32 v18, v32, v18, v33
.LBB462_1142:                           ;   in Loop: Header=BB462_8 Depth=1
	s_or_b32 exec_lo, exec_lo, s19
.LBB462_1143:                           ;   in Loop: Header=BB462_8 Depth=1
	s_delay_alu instid0(SALU_CYCLE_1)
	s_or_b32 exec_lo, exec_lo, s18
.LBB462_1144:                           ;   in Loop: Header=BB462_8 Depth=1
	s_delay_alu instid0(SALU_CYCLE_1) | instskip(NEXT) | instid1(VALU_DEP_1)
	s_or_b32 exec_lo, exec_lo, s2
	v_mul_f32_e32 v18, v152, v18
                                        ; implicit-def: $vgpr147
	s_delay_alu instid0(VALU_DEP_1) | instskip(NEXT) | instid1(VALU_DEP_1)
	v_and_b32_e32 v32, 0x7f800000, v18
	v_cmp_ne_u32_e64 s1, 0x7f800000, v32
	s_delay_alu instid0(VALU_DEP_1) | instskip(NEXT) | instid1(SALU_CYCLE_1)
	s_and_saveexec_b32 s2, s1
	s_xor_b32 s1, exec_lo, s2
; %bb.1145:                             ;   in Loop: Header=BB462_8 Depth=1
	v_bfe_u32 v32, v18, 16, 1
	s_delay_alu instid0(VALU_DEP_1)
	v_add3_u32 v147, v18, v32, 0x7fff
                                        ; implicit-def: $vgpr18
; %bb.1146:                             ;   in Loop: Header=BB462_8 Depth=1
	s_and_not1_saveexec_b32 s2, s1
; %bb.1147:                             ;   in Loop: Header=BB462_8 Depth=1
	v_and_b32_e32 v32, 0xffff, v18
	v_or_b32_e32 v33, 0x10000, v18
	s_delay_alu instid0(VALU_DEP_2) | instskip(NEXT) | instid1(VALU_DEP_1)
	v_cmp_eq_u32_e64 s1, 0, v32
	v_cndmask_b32_e64 v147, v33, v18, s1
; %bb.1148:                             ;   in Loop: Header=BB462_8 Depth=1
	s_or_b32 exec_lo, exec_lo, s2
	v_mov_b32_e32 v18, 0
	s_mov_b32 s2, exec_lo
	v_cmpx_lt_u64_e64 s[8:9], v[30:31]
	s_cbranch_execz .LBB462_1156
; %bb.1149:                             ;   in Loop: Header=BB462_8 Depth=1
	v_lshrrev_b32_e32 v32, 24, v31
	v_bfrev_b32_e32 v18, 1
	s_mov_b32 s18, exec_lo
	s_delay_alu instid0(VALU_DEP_2)
	v_cmpx_ne_u32_e32 0x80, v32
	s_cbranch_execz .LBB462_1155
; %bb.1150:                             ;   in Loop: Header=BB462_8 Depth=1
	v_bfe_u32 v30, v31, 24, 7
	v_mov_b32_e32 v18, 0x7f800001
	s_mov_b32 s19, exec_lo
	s_delay_alu instid0(VALU_DEP_2)
	v_cmpx_ne_u32_e32 0x7f, v30
	s_cbranch_execz .LBB462_1154
; %bb.1151:                             ;   in Loop: Header=BB462_8 Depth=1
	v_and_b32_e32 v18, 7, v32
	v_lshrrev_b32_e32 v33, 3, v30
	v_cmp_gt_u32_e64 s1, 8, v30
	s_delay_alu instid0(VALU_DEP_3) | instskip(NEXT) | instid1(VALU_DEP_2)
	v_dual_mov_b32 v31, v19 :: v_dual_mov_b32 v30, v18
	s_and_saveexec_b32 s20, s1
; %bb.1152:                             ;   in Loop: Header=BB462_8 Depth=1
	v_clz_i32_u32_e32 v30, v18
	s_delay_alu instid0(VALU_DEP_1) | instskip(NEXT) | instid1(VALU_DEP_1)
	v_min_u32_e32 v33, 32, v30
	v_subrev_nc_u32_e32 v30, 28, v33
	v_sub_nc_u32_e32 v33, 29, v33
	s_delay_alu instid0(VALU_DEP_2) | instskip(NEXT) | instid1(VALU_DEP_1)
	v_lshlrev_b64 v[30:31], v30, v[18:19]
	v_and_b32_e32 v30, 7, v30
; %bb.1153:                             ;   in Loop: Header=BB462_8 Depth=1
	s_or_b32 exec_lo, exec_lo, s20
	v_lshlrev_b32_e32 v18, 24, v32
	s_delay_alu instid0(VALU_DEP_2) | instskip(SKIP_1) | instid1(VALU_DEP_3)
	v_lshlrev_b32_e32 v30, 20, v30
	v_lshl_add_u32 v31, v33, 23, 0x3c000000
	v_and_b32_e32 v18, 0x80000000, v18
	s_delay_alu instid0(VALU_DEP_1)
	v_or3_b32 v18, v30, v18, v31
.LBB462_1154:                           ;   in Loop: Header=BB462_8 Depth=1
	s_or_b32 exec_lo, exec_lo, s19
.LBB462_1155:                           ;   in Loop: Header=BB462_8 Depth=1
	s_delay_alu instid0(SALU_CYCLE_1)
	s_or_b32 exec_lo, exec_lo, s18
.LBB462_1156:                           ;   in Loop: Header=BB462_8 Depth=1
	s_delay_alu instid0(SALU_CYCLE_1) | instskip(NEXT) | instid1(VALU_DEP_1)
	s_or_b32 exec_lo, exec_lo, s2
	v_mul_f32_e32 v18, v152, v18
                                        ; implicit-def: $vgpr148
	s_delay_alu instid0(VALU_DEP_1) | instskip(NEXT) | instid1(VALU_DEP_1)
	v_and_b32_e32 v30, 0x7f800000, v18
	v_cmp_ne_u32_e64 s1, 0x7f800000, v30
	s_delay_alu instid0(VALU_DEP_1) | instskip(NEXT) | instid1(SALU_CYCLE_1)
	s_and_saveexec_b32 s2, s1
	s_xor_b32 s1, exec_lo, s2
; %bb.1157:                             ;   in Loop: Header=BB462_8 Depth=1
	v_bfe_u32 v30, v18, 16, 1
	s_delay_alu instid0(VALU_DEP_1)
	v_add3_u32 v148, v18, v30, 0x7fff
                                        ; implicit-def: $vgpr18
; %bb.1158:                             ;   in Loop: Header=BB462_8 Depth=1
	s_and_not1_saveexec_b32 s2, s1
; %bb.1159:                             ;   in Loop: Header=BB462_8 Depth=1
	v_and_b32_e32 v30, 0xffff, v18
	v_or_b32_e32 v31, 0x10000, v18
	s_delay_alu instid0(VALU_DEP_2) | instskip(NEXT) | instid1(VALU_DEP_1)
	v_cmp_eq_u32_e64 s1, 0, v30
	v_cndmask_b32_e64 v148, v31, v18, s1
; %bb.1160:                             ;   in Loop: Header=BB462_8 Depth=1
	s_or_b32 exec_lo, exec_lo, s2
	flat_load_b64 v[30:31], v[28:29] offset:3072
	v_mov_b32_e32 v18, 0
	s_mov_b32 s2, exec_lo
	s_waitcnt vmcnt(0) lgkmcnt(0)
	v_and_b32_e32 v32, 0xff, v30
	s_delay_alu instid0(VALU_DEP_1)
	v_cmpx_ne_u16_e32 0, v32
	s_cbranch_execz .LBB462_1168
; %bb.1161:                             ;   in Loop: Header=BB462_8 Depth=1
	v_bfrev_b32_e32 v18, 1
	s_mov_b32 s18, exec_lo
	v_cmpx_ne_u16_e32 0x80, v32
	s_cbranch_execz .LBB462_1167
; %bb.1162:                             ;   in Loop: Header=BB462_8 Depth=1
	v_and_b32_e32 v32, 0x7f, v30
	v_mov_b32_e32 v18, 0x7f800001
	s_mov_b32 s19, exec_lo
	s_delay_alu instid0(VALU_DEP_2)
	v_cmpx_ne_u32_e32 0x7f, v32
	s_cbranch_execz .LBB462_1166
; %bb.1163:                             ;   in Loop: Header=BB462_8 Depth=1
	v_lshrrev_b32_e32 v18, 3, v32
	v_cmp_gt_u32_e64 s1, 8, v32
	v_dual_mov_b32 v33, v31 :: v_dual_mov_b32 v32, v30
	s_delay_alu instid0(VALU_DEP_2)
	s_and_saveexec_b32 s20, s1
; %bb.1164:                             ;   in Loop: Header=BB462_8 Depth=1
	v_and_b32_e32 v18, 7, v30
	s_delay_alu instid0(VALU_DEP_1) | instskip(NEXT) | instid1(VALU_DEP_1)
	v_clz_i32_u32_e32 v18, v18
	v_min_u32_e32 v18, 32, v18
	s_delay_alu instid0(VALU_DEP_1) | instskip(SKIP_1) | instid1(VALU_DEP_2)
	v_subrev_nc_u32_e32 v32, 28, v18
	v_sub_nc_u32_e32 v18, 29, v18
	v_lshlrev_b64 v[32:33], v32, v[30:31]
; %bb.1165:                             ;   in Loop: Header=BB462_8 Depth=1
	s_or_b32 exec_lo, exec_lo, s20
	s_delay_alu instid0(VALU_DEP_1) | instskip(SKIP_2) | instid1(VALU_DEP_3)
	v_lshlrev_b32_e32 v32, 20, v32
	v_lshlrev_b32_e32 v33, 24, v30
	v_lshl_add_u32 v18, v18, 23, 0x3c000000
	v_and_b32_e32 v32, 0x700000, v32
	s_delay_alu instid0(VALU_DEP_3) | instskip(NEXT) | instid1(VALU_DEP_1)
	v_and_b32_e32 v33, 0x80000000, v33
	v_or3_b32 v18, v32, v33, v18
.LBB462_1166:                           ;   in Loop: Header=BB462_8 Depth=1
	s_or_b32 exec_lo, exec_lo, s19
.LBB462_1167:                           ;   in Loop: Header=BB462_8 Depth=1
	s_delay_alu instid0(SALU_CYCLE_1)
	s_or_b32 exec_lo, exec_lo, s18
.LBB462_1168:                           ;   in Loop: Header=BB462_8 Depth=1
	s_delay_alu instid0(SALU_CYCLE_1) | instskip(NEXT) | instid1(VALU_DEP_1)
	s_or_b32 exec_lo, exec_lo, s2
	v_mul_f32_e32 v18, v152, v18
                                        ; implicit-def: $vgpr149
	s_delay_alu instid0(VALU_DEP_1) | instskip(NEXT) | instid1(VALU_DEP_1)
	v_and_b32_e32 v32, 0x7f800000, v18
	v_cmp_ne_u32_e64 s1, 0x7f800000, v32
	s_delay_alu instid0(VALU_DEP_1) | instskip(NEXT) | instid1(SALU_CYCLE_1)
	s_and_saveexec_b32 s2, s1
	s_xor_b32 s1, exec_lo, s2
; %bb.1169:                             ;   in Loop: Header=BB462_8 Depth=1
	v_bfe_u32 v32, v18, 16, 1
	s_delay_alu instid0(VALU_DEP_1)
	v_add3_u32 v149, v18, v32, 0x7fff
                                        ; implicit-def: $vgpr18
; %bb.1170:                             ;   in Loop: Header=BB462_8 Depth=1
	s_and_not1_saveexec_b32 s2, s1
; %bb.1171:                             ;   in Loop: Header=BB462_8 Depth=1
	v_and_b32_e32 v32, 0xffff, v18
	v_or_b32_e32 v33, 0x10000, v18
	s_delay_alu instid0(VALU_DEP_2) | instskip(NEXT) | instid1(VALU_DEP_1)
	v_cmp_eq_u32_e64 s1, 0, v32
	v_cndmask_b32_e64 v149, v33, v18, s1
; %bb.1172:                             ;   in Loop: Header=BB462_8 Depth=1
	s_or_b32 exec_lo, exec_lo, s2
	v_lshrrev_b16 v32, 8, v30
	v_mov_b32_e32 v18, 0
	s_mov_b32 s2, exec_lo
	s_delay_alu instid0(VALU_DEP_2)
	v_cmpx_ne_u16_e32 0, v32
	s_cbranch_execz .LBB462_1180
; %bb.1173:                             ;   in Loop: Header=BB462_8 Depth=1
	v_bfrev_b32_e32 v18, 1
	s_mov_b32 s18, exec_lo
	v_cmpx_ne_u16_e32 0x80, v32
	s_cbranch_execz .LBB462_1179
; %bb.1174:                             ;   in Loop: Header=BB462_8 Depth=1
	v_and_b32_e32 v33, 0xffff, v32
	v_mov_b32_e32 v18, 0x7f800001
	s_mov_b32 s19, exec_lo
	s_delay_alu instid0(VALU_DEP_2) | instskip(NEXT) | instid1(VALU_DEP_1)
	v_and_b32_e32 v32, 0x7f, v33
	v_cmpx_ne_u32_e32 0x7f, v32
	s_cbranch_execz .LBB462_1178
; %bb.1175:                             ;   in Loop: Header=BB462_8 Depth=1
	v_and_b32_e32 v18, 7, v33
	v_lshrrev_b32_e32 v150, 3, v32
	v_cmp_gt_u32_e64 s1, 8, v32
	s_delay_alu instid0(VALU_DEP_3) | instskip(NEXT) | instid1(VALU_DEP_2)
	v_dual_mov_b32 v33, v19 :: v_dual_mov_b32 v32, v18
	s_and_saveexec_b32 s20, s1
; %bb.1176:                             ;   in Loop: Header=BB462_8 Depth=1
	v_clz_i32_u32_e32 v32, v18
	s_delay_alu instid0(VALU_DEP_1) | instskip(NEXT) | instid1(VALU_DEP_1)
	v_min_u32_e32 v150, 32, v32
	v_subrev_nc_u32_e32 v32, 28, v150
	v_sub_nc_u32_e32 v150, 29, v150
	s_delay_alu instid0(VALU_DEP_2) | instskip(NEXT) | instid1(VALU_DEP_1)
	v_lshlrev_b64 v[32:33], v32, v[18:19]
	v_and_b32_e32 v32, 7, v32
; %bb.1177:                             ;   in Loop: Header=BB462_8 Depth=1
	s_or_b32 exec_lo, exec_lo, s20
	v_lshlrev_b32_e32 v18, 16, v30
	s_delay_alu instid0(VALU_DEP_2) | instskip(SKIP_1) | instid1(VALU_DEP_3)
	v_lshlrev_b32_e32 v32, 20, v32
	v_lshl_add_u32 v33, v150, 23, 0x3c000000
	v_and_b32_e32 v18, 0x80000000, v18
	s_delay_alu instid0(VALU_DEP_1)
	v_or3_b32 v18, v32, v18, v33
.LBB462_1178:                           ;   in Loop: Header=BB462_8 Depth=1
	s_or_b32 exec_lo, exec_lo, s19
.LBB462_1179:                           ;   in Loop: Header=BB462_8 Depth=1
	s_delay_alu instid0(SALU_CYCLE_1)
	s_or_b32 exec_lo, exec_lo, s18
.LBB462_1180:                           ;   in Loop: Header=BB462_8 Depth=1
	s_delay_alu instid0(SALU_CYCLE_1) | instskip(NEXT) | instid1(VALU_DEP_1)
	s_or_b32 exec_lo, exec_lo, s2
	v_mul_f32_e32 v18, v152, v18
                                        ; implicit-def: $vgpr150
	s_delay_alu instid0(VALU_DEP_1) | instskip(NEXT) | instid1(VALU_DEP_1)
	v_and_b32_e32 v32, 0x7f800000, v18
	v_cmp_ne_u32_e64 s1, 0x7f800000, v32
	s_delay_alu instid0(VALU_DEP_1) | instskip(NEXT) | instid1(SALU_CYCLE_1)
	s_and_saveexec_b32 s2, s1
	s_xor_b32 s1, exec_lo, s2
; %bb.1181:                             ;   in Loop: Header=BB462_8 Depth=1
	v_bfe_u32 v32, v18, 16, 1
	s_delay_alu instid0(VALU_DEP_1)
	v_add3_u32 v150, v18, v32, 0x7fff
                                        ; implicit-def: $vgpr18
; %bb.1182:                             ;   in Loop: Header=BB462_8 Depth=1
	s_and_not1_saveexec_b32 s2, s1
; %bb.1183:                             ;   in Loop: Header=BB462_8 Depth=1
	v_and_b32_e32 v32, 0xffff, v18
	v_or_b32_e32 v33, 0x10000, v18
	s_delay_alu instid0(VALU_DEP_2) | instskip(NEXT) | instid1(VALU_DEP_1)
	v_cmp_eq_u32_e64 s1, 0, v32
	v_cndmask_b32_e64 v150, v33, v18, s1
; %bb.1184:                             ;   in Loop: Header=BB462_8 Depth=1
	s_or_b32 exec_lo, exec_lo, s2
	v_lshrrev_b32_e32 v151, 16, v30
	v_mov_b32_e32 v18, 0
	s_mov_b32 s2, exec_lo
	s_delay_alu instid0(VALU_DEP_2) | instskip(NEXT) | instid1(VALU_DEP_1)
	v_and_b32_e32 v32, 0xff, v151
	v_cmpx_ne_u16_e32 0, v32
	s_cbranch_execz .LBB462_1192
; %bb.1185:                             ;   in Loop: Header=BB462_8 Depth=1
	v_bfrev_b32_e32 v18, 1
	s_mov_b32 s18, exec_lo
	v_cmpx_ne_u16_e32 0x80, v32
	s_cbranch_execz .LBB462_1191
; %bb.1186:                             ;   in Loop: Header=BB462_8 Depth=1
	v_bfe_u32 v32, v30, 16, 7
	v_mov_b32_e32 v18, 0x7f800001
	s_mov_b32 s19, exec_lo
	s_delay_alu instid0(VALU_DEP_2)
	v_cmpx_ne_u32_e32 0x7f, v32
	s_cbranch_execz .LBB462_1190
; %bb.1187:                             ;   in Loop: Header=BB462_8 Depth=1
	v_and_b32_e32 v18, 7, v151
	v_lshrrev_b32_e32 v160, 3, v32
	v_cmp_gt_u32_e64 s1, 8, v32
	s_delay_alu instid0(VALU_DEP_3) | instskip(NEXT) | instid1(VALU_DEP_2)
	v_dual_mov_b32 v33, v19 :: v_dual_mov_b32 v32, v18
	s_and_saveexec_b32 s20, s1
; %bb.1188:                             ;   in Loop: Header=BB462_8 Depth=1
	v_clz_i32_u32_e32 v32, v18
	s_delay_alu instid0(VALU_DEP_1) | instskip(NEXT) | instid1(VALU_DEP_1)
	v_min_u32_e32 v160, 32, v32
	v_subrev_nc_u32_e32 v32, 28, v160
	v_sub_nc_u32_e32 v160, 29, v160
	s_delay_alu instid0(VALU_DEP_2) | instskip(NEXT) | instid1(VALU_DEP_1)
	v_lshlrev_b64 v[32:33], v32, v[18:19]
	v_and_b32_e32 v32, 7, v32
; %bb.1189:                             ;   in Loop: Header=BB462_8 Depth=1
	s_or_b32 exec_lo, exec_lo, s20
	v_lshlrev_b32_e32 v18, 24, v151
	s_delay_alu instid0(VALU_DEP_2) | instskip(SKIP_1) | instid1(VALU_DEP_3)
	v_lshlrev_b32_e32 v32, 20, v32
	v_lshl_add_u32 v33, v160, 23, 0x3c000000
	v_and_b32_e32 v18, 0x80000000, v18
	s_delay_alu instid0(VALU_DEP_1)
	v_or3_b32 v18, v32, v18, v33
.LBB462_1190:                           ;   in Loop: Header=BB462_8 Depth=1
	s_or_b32 exec_lo, exec_lo, s19
.LBB462_1191:                           ;   in Loop: Header=BB462_8 Depth=1
	s_delay_alu instid0(SALU_CYCLE_1)
	s_or_b32 exec_lo, exec_lo, s18
.LBB462_1192:                           ;   in Loop: Header=BB462_8 Depth=1
	s_delay_alu instid0(SALU_CYCLE_1) | instskip(NEXT) | instid1(VALU_DEP_1)
	s_or_b32 exec_lo, exec_lo, s2
	v_mul_f32_e32 v18, v152, v18
                                        ; implicit-def: $vgpr151
	s_delay_alu instid0(VALU_DEP_1) | instskip(NEXT) | instid1(VALU_DEP_1)
	v_and_b32_e32 v32, 0x7f800000, v18
	v_cmp_ne_u32_e64 s1, 0x7f800000, v32
	s_delay_alu instid0(VALU_DEP_1) | instskip(NEXT) | instid1(SALU_CYCLE_1)
	s_and_saveexec_b32 s2, s1
	s_xor_b32 s1, exec_lo, s2
; %bb.1193:                             ;   in Loop: Header=BB462_8 Depth=1
	v_bfe_u32 v32, v18, 16, 1
	s_delay_alu instid0(VALU_DEP_1)
	v_add3_u32 v151, v18, v32, 0x7fff
                                        ; implicit-def: $vgpr18
; %bb.1194:                             ;   in Loop: Header=BB462_8 Depth=1
	s_and_not1_saveexec_b32 s2, s1
; %bb.1195:                             ;   in Loop: Header=BB462_8 Depth=1
	v_and_b32_e32 v32, 0xffff, v18
	v_or_b32_e32 v33, 0x10000, v18
	s_delay_alu instid0(VALU_DEP_2) | instskip(NEXT) | instid1(VALU_DEP_1)
	v_cmp_eq_u32_e64 s1, 0, v32
	v_cndmask_b32_e64 v151, v33, v18, s1
; %bb.1196:                             ;   in Loop: Header=BB462_8 Depth=1
	s_or_b32 exec_lo, exec_lo, s2
	v_mov_b32_e32 v18, 0
	s_mov_b32 s2, exec_lo
	v_cmpx_lt_u32_e32 0xffffff, v30
	s_cbranch_execz .LBB462_1204
; %bb.1197:                             ;   in Loop: Header=BB462_8 Depth=1
	v_lshrrev_b32_e32 v160, 24, v30
	v_bfrev_b32_e32 v18, 1
	s_mov_b32 s18, exec_lo
	s_delay_alu instid0(VALU_DEP_2)
	v_cmpx_ne_u32_e32 0x80, v160
	s_cbranch_execz .LBB462_1203
; %bb.1198:                             ;   in Loop: Header=BB462_8 Depth=1
	v_bfe_u32 v32, v30, 24, 7
	v_mov_b32_e32 v18, 0x7f800001
	s_mov_b32 s19, exec_lo
	s_delay_alu instid0(VALU_DEP_2)
	v_cmpx_ne_u32_e32 0x7f, v32
	s_cbranch_execz .LBB462_1202
; %bb.1199:                             ;   in Loop: Header=BB462_8 Depth=1
	v_and_b32_e32 v18, 7, v160
	v_lshrrev_b32_e32 v161, 3, v32
	v_cmp_gt_u32_e64 s1, 8, v32
	s_delay_alu instid0(VALU_DEP_3) | instskip(NEXT) | instid1(VALU_DEP_2)
	v_dual_mov_b32 v33, v19 :: v_dual_mov_b32 v32, v18
	s_and_saveexec_b32 s20, s1
; %bb.1200:                             ;   in Loop: Header=BB462_8 Depth=1
	v_clz_i32_u32_e32 v32, v18
	s_delay_alu instid0(VALU_DEP_1) | instskip(NEXT) | instid1(VALU_DEP_1)
	v_min_u32_e32 v161, 32, v32
	v_subrev_nc_u32_e32 v32, 28, v161
	v_sub_nc_u32_e32 v161, 29, v161
	s_delay_alu instid0(VALU_DEP_2) | instskip(NEXT) | instid1(VALU_DEP_1)
	v_lshlrev_b64 v[32:33], v32, v[18:19]
	v_and_b32_e32 v32, 7, v32
; %bb.1201:                             ;   in Loop: Header=BB462_8 Depth=1
	s_or_b32 exec_lo, exec_lo, s20
	v_lshlrev_b32_e32 v18, 24, v160
	s_delay_alu instid0(VALU_DEP_2) | instskip(SKIP_1) | instid1(VALU_DEP_3)
	v_lshlrev_b32_e32 v32, 20, v32
	v_lshl_add_u32 v33, v161, 23, 0x3c000000
	v_and_b32_e32 v18, 0x80000000, v18
	s_delay_alu instid0(VALU_DEP_1)
	v_or3_b32 v18, v32, v18, v33
.LBB462_1202:                           ;   in Loop: Header=BB462_8 Depth=1
	s_or_b32 exec_lo, exec_lo, s19
.LBB462_1203:                           ;   in Loop: Header=BB462_8 Depth=1
	s_delay_alu instid0(SALU_CYCLE_1)
	s_or_b32 exec_lo, exec_lo, s18
.LBB462_1204:                           ;   in Loop: Header=BB462_8 Depth=1
	s_delay_alu instid0(SALU_CYCLE_1) | instskip(NEXT) | instid1(VALU_DEP_1)
	s_or_b32 exec_lo, exec_lo, s2
	v_mul_f32_e32 v18, v152, v18
                                        ; implicit-def: $vgpr160
	s_delay_alu instid0(VALU_DEP_1) | instskip(NEXT) | instid1(VALU_DEP_1)
	v_and_b32_e32 v32, 0x7f800000, v18
	v_cmp_ne_u32_e64 s1, 0x7f800000, v32
	s_delay_alu instid0(VALU_DEP_1) | instskip(NEXT) | instid1(SALU_CYCLE_1)
	s_and_saveexec_b32 s2, s1
	s_xor_b32 s1, exec_lo, s2
; %bb.1205:                             ;   in Loop: Header=BB462_8 Depth=1
	v_bfe_u32 v32, v18, 16, 1
	s_delay_alu instid0(VALU_DEP_1)
	v_add3_u32 v160, v18, v32, 0x7fff
                                        ; implicit-def: $vgpr18
; %bb.1206:                             ;   in Loop: Header=BB462_8 Depth=1
	s_and_not1_saveexec_b32 s2, s1
; %bb.1207:                             ;   in Loop: Header=BB462_8 Depth=1
	v_and_b32_e32 v32, 0xffff, v18
	v_or_b32_e32 v33, 0x10000, v18
	s_delay_alu instid0(VALU_DEP_2) | instskip(NEXT) | instid1(VALU_DEP_1)
	v_cmp_eq_u32_e64 s1, 0, v32
	v_cndmask_b32_e64 v160, v33, v18, s1
; %bb.1208:                             ;   in Loop: Header=BB462_8 Depth=1
	s_or_b32 exec_lo, exec_lo, s2
	v_dual_mov_b32 v18, v31 :: v_dual_and_b32 v33, 0xff, v31
	v_mov_b32_e32 v32, 0
	s_mov_b32 s2, exec_lo
	s_delay_alu instid0(VALU_DEP_2)
	v_cmpx_ne_u16_e32 0, v33
	s_cbranch_execz .LBB462_1216
; %bb.1209:                             ;   in Loop: Header=BB462_8 Depth=1
	v_bfrev_b32_e32 v32, 1
	s_mov_b32 s18, exec_lo
	v_cmpx_ne_u16_e32 0x80, v33
	s_cbranch_execz .LBB462_1215
; %bb.1210:                             ;   in Loop: Header=BB462_8 Depth=1
	v_and_b32_e32 v33, 0x7f, v31
	v_mov_b32_e32 v32, 0x7f800001
	s_mov_b32 s19, exec_lo
	s_delay_alu instid0(VALU_DEP_2)
	v_cmpx_ne_u32_e32 0x7f, v33
	s_cbranch_execz .LBB462_1214
; %bb.1211:                             ;   in Loop: Header=BB462_8 Depth=1
	v_lshrrev_b32_e32 v161, 3, v33
	v_cmp_gt_u32_e64 s1, 8, v33
	v_dual_mov_b32 v33, v19 :: v_dual_mov_b32 v32, v18
	s_delay_alu instid0(VALU_DEP_2)
	s_and_saveexec_b32 s20, s1
; %bb.1212:                             ;   in Loop: Header=BB462_8 Depth=1
	v_and_b32_e32 v32, 7, v31
	s_delay_alu instid0(VALU_DEP_1) | instskip(NEXT) | instid1(VALU_DEP_1)
	v_clz_i32_u32_e32 v32, v32
	v_min_u32_e32 v161, 32, v32
	s_delay_alu instid0(VALU_DEP_1) | instskip(SKIP_1) | instid1(VALU_DEP_2)
	v_subrev_nc_u32_e32 v32, 28, v161
	v_sub_nc_u32_e32 v161, 29, v161
	v_lshlrev_b64 v[32:33], v32, v[18:19]
; %bb.1213:                             ;   in Loop: Header=BB462_8 Depth=1
	s_or_b32 exec_lo, exec_lo, s20
	s_delay_alu instid0(VALU_DEP_1) | instskip(SKIP_2) | instid1(VALU_DEP_3)
	v_lshlrev_b32_e32 v32, 20, v32
	v_lshlrev_b32_e32 v33, 24, v18
	v_lshl_add_u32 v161, v161, 23, 0x3c000000
	v_and_b32_e32 v32, 0x700000, v32
	s_delay_alu instid0(VALU_DEP_3) | instskip(NEXT) | instid1(VALU_DEP_1)
	v_and_b32_e32 v33, 0x80000000, v33
	v_or3_b32 v32, v32, v33, v161
.LBB462_1214:                           ;   in Loop: Header=BB462_8 Depth=1
	s_or_b32 exec_lo, exec_lo, s19
.LBB462_1215:                           ;   in Loop: Header=BB462_8 Depth=1
	s_delay_alu instid0(SALU_CYCLE_1)
	s_or_b32 exec_lo, exec_lo, s18
.LBB462_1216:                           ;   in Loop: Header=BB462_8 Depth=1
	s_delay_alu instid0(SALU_CYCLE_1) | instskip(NEXT) | instid1(VALU_DEP_1)
	s_or_b32 exec_lo, exec_lo, s2
	v_mul_f32_e32 v32, v152, v32
                                        ; implicit-def: $vgpr161
	s_delay_alu instid0(VALU_DEP_1) | instskip(NEXT) | instid1(VALU_DEP_1)
	v_and_b32_e32 v33, 0x7f800000, v32
	v_cmp_ne_u32_e64 s1, 0x7f800000, v33
	s_delay_alu instid0(VALU_DEP_1) | instskip(NEXT) | instid1(SALU_CYCLE_1)
	s_and_saveexec_b32 s2, s1
	s_xor_b32 s1, exec_lo, s2
; %bb.1217:                             ;   in Loop: Header=BB462_8 Depth=1
	v_bfe_u32 v33, v32, 16, 1
	s_delay_alu instid0(VALU_DEP_1)
	v_add3_u32 v161, v32, v33, 0x7fff
                                        ; implicit-def: $vgpr32
; %bb.1218:                             ;   in Loop: Header=BB462_8 Depth=1
	s_and_not1_saveexec_b32 s2, s1
; %bb.1219:                             ;   in Loop: Header=BB462_8 Depth=1
	v_and_b32_e32 v33, 0xffff, v32
	v_or_b32_e32 v161, 0x10000, v32
	s_delay_alu instid0(VALU_DEP_2) | instskip(NEXT) | instid1(VALU_DEP_1)
	v_cmp_eq_u32_e64 s1, 0, v33
	v_cndmask_b32_e64 v161, v161, v32, s1
; %bb.1220:                             ;   in Loop: Header=BB462_8 Depth=1
	s_or_b32 exec_lo, exec_lo, s2
	v_lshrrev_b16 v33, 8, v18
	v_mov_b32_e32 v32, 0
	s_mov_b32 s2, exec_lo
	s_delay_alu instid0(VALU_DEP_2)
	v_cmpx_ne_u16_e32 0, v33
	s_cbranch_execz .LBB462_1228
; %bb.1221:                             ;   in Loop: Header=BB462_8 Depth=1
	v_bfrev_b32_e32 v32, 1
	s_mov_b32 s18, exec_lo
	v_cmpx_ne_u16_e32 0x80, v33
	s_cbranch_execz .LBB462_1227
; %bb.1222:                             ;   in Loop: Header=BB462_8 Depth=1
	v_and_b32_e32 v33, 0xffff, v33
	v_mov_b32_e32 v32, 0x7f800001
	s_mov_b32 s19, exec_lo
	s_delay_alu instid0(VALU_DEP_2) | instskip(NEXT) | instid1(VALU_DEP_1)
	v_and_b32_e32 v163, 0x7f, v33
	v_cmpx_ne_u32_e32 0x7f, v163
	s_cbranch_execz .LBB462_1226
; %bb.1223:                             ;   in Loop: Header=BB462_8 Depth=1
	v_dual_mov_b32 v33, v19 :: v_dual_and_b32 v32, 7, v33
	v_lshrrev_b32_e32 v162, 3, v163
	s_mov_b32 s20, exec_lo
	v_cmpx_gt_u32_e32 8, v163
; %bb.1224:                             ;   in Loop: Header=BB462_8 Depth=1
	s_delay_alu instid0(VALU_DEP_3) | instskip(NEXT) | instid1(VALU_DEP_1)
	v_clz_i32_u32_e32 v162, v32
	v_min_u32_e32 v162, 32, v162
	s_delay_alu instid0(VALU_DEP_1) | instskip(SKIP_1) | instid1(VALU_DEP_2)
	v_subrev_nc_u32_e32 v163, 28, v162
	v_sub_nc_u32_e32 v162, 29, v162
	v_lshlrev_b64 v[32:33], v163, v[32:33]
	s_delay_alu instid0(VALU_DEP_1)
	v_and_b32_e32 v32, 7, v32
; %bb.1225:                             ;   in Loop: Header=BB462_8 Depth=1
	s_or_b32 exec_lo, exec_lo, s20
	v_lshlrev_b32_e32 v18, 16, v18
	s_delay_alu instid0(VALU_DEP_2) | instskip(SKIP_1) | instid1(VALU_DEP_3)
	v_lshlrev_b32_e32 v32, 20, v32
	v_lshl_add_u32 v33, v162, 23, 0x3c000000
	v_and_b32_e32 v18, 0x80000000, v18
	s_delay_alu instid0(VALU_DEP_1)
	v_or3_b32 v32, v32, v18, v33
.LBB462_1226:                           ;   in Loop: Header=BB462_8 Depth=1
	s_or_b32 exec_lo, exec_lo, s19
.LBB462_1227:                           ;   in Loop: Header=BB462_8 Depth=1
	s_delay_alu instid0(SALU_CYCLE_1)
	s_or_b32 exec_lo, exec_lo, s18
.LBB462_1228:                           ;   in Loop: Header=BB462_8 Depth=1
	s_delay_alu instid0(SALU_CYCLE_1) | instskip(NEXT) | instid1(VALU_DEP_1)
	s_or_b32 exec_lo, exec_lo, s2
	v_mul_f32_e32 v18, v152, v32
                                        ; implicit-def: $vgpr162
	s_delay_alu instid0(VALU_DEP_1) | instskip(NEXT) | instid1(VALU_DEP_1)
	v_and_b32_e32 v32, 0x7f800000, v18
	v_cmp_ne_u32_e64 s1, 0x7f800000, v32
	s_delay_alu instid0(VALU_DEP_1) | instskip(NEXT) | instid1(SALU_CYCLE_1)
	s_and_saveexec_b32 s2, s1
	s_xor_b32 s1, exec_lo, s2
; %bb.1229:                             ;   in Loop: Header=BB462_8 Depth=1
	v_bfe_u32 v32, v18, 16, 1
	s_delay_alu instid0(VALU_DEP_1)
	v_add3_u32 v162, v18, v32, 0x7fff
                                        ; implicit-def: $vgpr18
; %bb.1230:                             ;   in Loop: Header=BB462_8 Depth=1
	s_and_not1_saveexec_b32 s2, s1
; %bb.1231:                             ;   in Loop: Header=BB462_8 Depth=1
	v_and_b32_e32 v32, 0xffff, v18
	v_or_b32_e32 v33, 0x10000, v18
	s_delay_alu instid0(VALU_DEP_2) | instskip(NEXT) | instid1(VALU_DEP_1)
	v_cmp_eq_u32_e64 s1, 0, v32
	v_cndmask_b32_e64 v162, v33, v18, s1
; %bb.1232:                             ;   in Loop: Header=BB462_8 Depth=1
	s_or_b32 exec_lo, exec_lo, s2
	v_lshrrev_b32_e32 v163, 16, v31
	v_mov_b32_e32 v18, 0
	s_mov_b32 s2, exec_lo
	s_delay_alu instid0(VALU_DEP_2) | instskip(NEXT) | instid1(VALU_DEP_1)
	v_and_b32_e32 v32, 0xff, v163
	v_cmpx_ne_u16_e32 0, v32
	s_cbranch_execz .LBB462_1240
; %bb.1233:                             ;   in Loop: Header=BB462_8 Depth=1
	v_bfrev_b32_e32 v18, 1
	s_mov_b32 s18, exec_lo
	v_cmpx_ne_u16_e32 0x80, v32
	s_cbranch_execz .LBB462_1239
; %bb.1234:                             ;   in Loop: Header=BB462_8 Depth=1
	v_bfe_u32 v32, v31, 16, 7
	v_mov_b32_e32 v18, 0x7f800001
	s_mov_b32 s19, exec_lo
	s_delay_alu instid0(VALU_DEP_2)
	v_cmpx_ne_u32_e32 0x7f, v32
	s_cbranch_execz .LBB462_1238
; %bb.1235:                             ;   in Loop: Header=BB462_8 Depth=1
	v_and_b32_e32 v18, 7, v163
	v_lshrrev_b32_e32 v164, 3, v32
	v_cmp_gt_u32_e64 s1, 8, v32
	s_delay_alu instid0(VALU_DEP_3) | instskip(NEXT) | instid1(VALU_DEP_2)
	v_dual_mov_b32 v33, v19 :: v_dual_mov_b32 v32, v18
	s_and_saveexec_b32 s20, s1
; %bb.1236:                             ;   in Loop: Header=BB462_8 Depth=1
	v_clz_i32_u32_e32 v32, v18
	s_delay_alu instid0(VALU_DEP_1) | instskip(NEXT) | instid1(VALU_DEP_1)
	v_min_u32_e32 v164, 32, v32
	v_subrev_nc_u32_e32 v32, 28, v164
	v_sub_nc_u32_e32 v164, 29, v164
	s_delay_alu instid0(VALU_DEP_2) | instskip(NEXT) | instid1(VALU_DEP_1)
	v_lshlrev_b64 v[32:33], v32, v[18:19]
	v_and_b32_e32 v32, 7, v32
; %bb.1237:                             ;   in Loop: Header=BB462_8 Depth=1
	s_or_b32 exec_lo, exec_lo, s20
	v_lshlrev_b32_e32 v18, 24, v163
	s_delay_alu instid0(VALU_DEP_2) | instskip(SKIP_1) | instid1(VALU_DEP_3)
	v_lshlrev_b32_e32 v32, 20, v32
	v_lshl_add_u32 v33, v164, 23, 0x3c000000
	v_and_b32_e32 v18, 0x80000000, v18
	s_delay_alu instid0(VALU_DEP_1)
	v_or3_b32 v18, v32, v18, v33
.LBB462_1238:                           ;   in Loop: Header=BB462_8 Depth=1
	s_or_b32 exec_lo, exec_lo, s19
.LBB462_1239:                           ;   in Loop: Header=BB462_8 Depth=1
	s_delay_alu instid0(SALU_CYCLE_1)
	s_or_b32 exec_lo, exec_lo, s18
.LBB462_1240:                           ;   in Loop: Header=BB462_8 Depth=1
	s_delay_alu instid0(SALU_CYCLE_1) | instskip(NEXT) | instid1(VALU_DEP_1)
	s_or_b32 exec_lo, exec_lo, s2
	v_mul_f32_e32 v18, v152, v18
                                        ; implicit-def: $vgpr163
	s_delay_alu instid0(VALU_DEP_1) | instskip(NEXT) | instid1(VALU_DEP_1)
	v_and_b32_e32 v32, 0x7f800000, v18
	v_cmp_ne_u32_e64 s1, 0x7f800000, v32
	s_delay_alu instid0(VALU_DEP_1) | instskip(NEXT) | instid1(SALU_CYCLE_1)
	s_and_saveexec_b32 s2, s1
	s_xor_b32 s1, exec_lo, s2
; %bb.1241:                             ;   in Loop: Header=BB462_8 Depth=1
	v_bfe_u32 v32, v18, 16, 1
	s_delay_alu instid0(VALU_DEP_1)
	v_add3_u32 v163, v18, v32, 0x7fff
                                        ; implicit-def: $vgpr18
; %bb.1242:                             ;   in Loop: Header=BB462_8 Depth=1
	s_and_not1_saveexec_b32 s2, s1
; %bb.1243:                             ;   in Loop: Header=BB462_8 Depth=1
	v_and_b32_e32 v32, 0xffff, v18
	v_or_b32_e32 v33, 0x10000, v18
	s_delay_alu instid0(VALU_DEP_2) | instskip(NEXT) | instid1(VALU_DEP_1)
	v_cmp_eq_u32_e64 s1, 0, v32
	v_cndmask_b32_e64 v163, v33, v18, s1
; %bb.1244:                             ;   in Loop: Header=BB462_8 Depth=1
	s_or_b32 exec_lo, exec_lo, s2
	v_mov_b32_e32 v18, 0
	s_mov_b32 s2, exec_lo
	v_cmpx_lt_u64_e64 s[8:9], v[30:31]
	s_cbranch_execz .LBB462_1252
; %bb.1245:                             ;   in Loop: Header=BB462_8 Depth=1
	v_lshrrev_b32_e32 v32, 24, v31
	v_bfrev_b32_e32 v18, 1
	s_mov_b32 s18, exec_lo
	s_delay_alu instid0(VALU_DEP_2)
	v_cmpx_ne_u32_e32 0x80, v32
	s_cbranch_execz .LBB462_1251
; %bb.1246:                             ;   in Loop: Header=BB462_8 Depth=1
	v_bfe_u32 v30, v31, 24, 7
	v_mov_b32_e32 v18, 0x7f800001
	s_mov_b32 s19, exec_lo
	s_delay_alu instid0(VALU_DEP_2)
	v_cmpx_ne_u32_e32 0x7f, v30
	s_cbranch_execz .LBB462_1250
; %bb.1247:                             ;   in Loop: Header=BB462_8 Depth=1
	v_and_b32_e32 v18, 7, v32
	v_lshrrev_b32_e32 v33, 3, v30
	v_cmp_gt_u32_e64 s1, 8, v30
	s_delay_alu instid0(VALU_DEP_3) | instskip(NEXT) | instid1(VALU_DEP_2)
	v_dual_mov_b32 v31, v19 :: v_dual_mov_b32 v30, v18
	s_and_saveexec_b32 s20, s1
; %bb.1248:                             ;   in Loop: Header=BB462_8 Depth=1
	v_clz_i32_u32_e32 v30, v18
	s_delay_alu instid0(VALU_DEP_1) | instskip(NEXT) | instid1(VALU_DEP_1)
	v_min_u32_e32 v33, 32, v30
	v_subrev_nc_u32_e32 v30, 28, v33
	v_sub_nc_u32_e32 v33, 29, v33
	s_delay_alu instid0(VALU_DEP_2) | instskip(NEXT) | instid1(VALU_DEP_1)
	v_lshlrev_b64 v[30:31], v30, v[18:19]
	v_and_b32_e32 v30, 7, v30
; %bb.1249:                             ;   in Loop: Header=BB462_8 Depth=1
	s_or_b32 exec_lo, exec_lo, s20
	v_lshlrev_b32_e32 v18, 24, v32
	s_delay_alu instid0(VALU_DEP_2) | instskip(SKIP_1) | instid1(VALU_DEP_3)
	v_lshlrev_b32_e32 v30, 20, v30
	v_lshl_add_u32 v31, v33, 23, 0x3c000000
	v_and_b32_e32 v18, 0x80000000, v18
	s_delay_alu instid0(VALU_DEP_1)
	v_or3_b32 v18, v30, v18, v31
.LBB462_1250:                           ;   in Loop: Header=BB462_8 Depth=1
	s_or_b32 exec_lo, exec_lo, s19
.LBB462_1251:                           ;   in Loop: Header=BB462_8 Depth=1
	s_delay_alu instid0(SALU_CYCLE_1)
	s_or_b32 exec_lo, exec_lo, s18
.LBB462_1252:                           ;   in Loop: Header=BB462_8 Depth=1
	s_delay_alu instid0(SALU_CYCLE_1) | instskip(NEXT) | instid1(VALU_DEP_1)
	s_or_b32 exec_lo, exec_lo, s2
	v_mul_f32_e32 v18, v152, v18
                                        ; implicit-def: $vgpr164
	s_delay_alu instid0(VALU_DEP_1) | instskip(NEXT) | instid1(VALU_DEP_1)
	v_and_b32_e32 v30, 0x7f800000, v18
	v_cmp_ne_u32_e64 s1, 0x7f800000, v30
	s_delay_alu instid0(VALU_DEP_1) | instskip(NEXT) | instid1(SALU_CYCLE_1)
	s_and_saveexec_b32 s2, s1
	s_xor_b32 s1, exec_lo, s2
; %bb.1253:                             ;   in Loop: Header=BB462_8 Depth=1
	v_bfe_u32 v30, v18, 16, 1
	s_delay_alu instid0(VALU_DEP_1)
	v_add3_u32 v164, v18, v30, 0x7fff
                                        ; implicit-def: $vgpr18
; %bb.1254:                             ;   in Loop: Header=BB462_8 Depth=1
	s_and_not1_saveexec_b32 s2, s1
; %bb.1255:                             ;   in Loop: Header=BB462_8 Depth=1
	v_and_b32_e32 v30, 0xffff, v18
	v_or_b32_e32 v31, 0x10000, v18
	s_delay_alu instid0(VALU_DEP_2) | instskip(NEXT) | instid1(VALU_DEP_1)
	v_cmp_eq_u32_e64 s1, 0, v30
	v_cndmask_b32_e64 v164, v31, v18, s1
; %bb.1256:                             ;   in Loop: Header=BB462_8 Depth=1
	s_or_b32 exec_lo, exec_lo, s2
	flat_load_b64 v[30:31], v[28:29] offset:3080
	v_mov_b32_e32 v18, 0
	s_mov_b32 s2, exec_lo
	s_waitcnt vmcnt(0) lgkmcnt(0)
	v_and_b32_e32 v32, 0xff, v30
	s_delay_alu instid0(VALU_DEP_1)
	v_cmpx_ne_u16_e32 0, v32
	s_cbranch_execz .LBB462_1264
; %bb.1257:                             ;   in Loop: Header=BB462_8 Depth=1
	v_bfrev_b32_e32 v18, 1
	s_mov_b32 s18, exec_lo
	v_cmpx_ne_u16_e32 0x80, v32
	s_cbranch_execz .LBB462_1263
; %bb.1258:                             ;   in Loop: Header=BB462_8 Depth=1
	v_and_b32_e32 v32, 0x7f, v30
	v_mov_b32_e32 v18, 0x7f800001
	s_mov_b32 s19, exec_lo
	s_delay_alu instid0(VALU_DEP_2)
	v_cmpx_ne_u32_e32 0x7f, v32
	s_cbranch_execz .LBB462_1262
; %bb.1259:                             ;   in Loop: Header=BB462_8 Depth=1
	v_lshrrev_b32_e32 v18, 3, v32
	v_cmp_gt_u32_e64 s1, 8, v32
	v_dual_mov_b32 v33, v31 :: v_dual_mov_b32 v32, v30
	s_delay_alu instid0(VALU_DEP_2)
	s_and_saveexec_b32 s20, s1
; %bb.1260:                             ;   in Loop: Header=BB462_8 Depth=1
	v_and_b32_e32 v18, 7, v30
	s_delay_alu instid0(VALU_DEP_1) | instskip(NEXT) | instid1(VALU_DEP_1)
	v_clz_i32_u32_e32 v18, v18
	v_min_u32_e32 v18, 32, v18
	s_delay_alu instid0(VALU_DEP_1) | instskip(SKIP_1) | instid1(VALU_DEP_2)
	v_subrev_nc_u32_e32 v32, 28, v18
	v_sub_nc_u32_e32 v18, 29, v18
	v_lshlrev_b64 v[32:33], v32, v[30:31]
; %bb.1261:                             ;   in Loop: Header=BB462_8 Depth=1
	s_or_b32 exec_lo, exec_lo, s20
	s_delay_alu instid0(VALU_DEP_1) | instskip(SKIP_2) | instid1(VALU_DEP_3)
	v_lshlrev_b32_e32 v32, 20, v32
	v_lshlrev_b32_e32 v33, 24, v30
	v_lshl_add_u32 v18, v18, 23, 0x3c000000
	v_and_b32_e32 v32, 0x700000, v32
	s_delay_alu instid0(VALU_DEP_3) | instskip(NEXT) | instid1(VALU_DEP_1)
	v_and_b32_e32 v33, 0x80000000, v33
	v_or3_b32 v18, v32, v33, v18
.LBB462_1262:                           ;   in Loop: Header=BB462_8 Depth=1
	s_or_b32 exec_lo, exec_lo, s19
.LBB462_1263:                           ;   in Loop: Header=BB462_8 Depth=1
	s_delay_alu instid0(SALU_CYCLE_1)
	s_or_b32 exec_lo, exec_lo, s18
.LBB462_1264:                           ;   in Loop: Header=BB462_8 Depth=1
	s_delay_alu instid0(SALU_CYCLE_1) | instskip(NEXT) | instid1(VALU_DEP_1)
	s_or_b32 exec_lo, exec_lo, s2
	v_mul_f32_e32 v18, v152, v18
                                        ; implicit-def: $vgpr165
	s_delay_alu instid0(VALU_DEP_1) | instskip(NEXT) | instid1(VALU_DEP_1)
	v_and_b32_e32 v32, 0x7f800000, v18
	v_cmp_ne_u32_e64 s1, 0x7f800000, v32
	s_delay_alu instid0(VALU_DEP_1) | instskip(NEXT) | instid1(SALU_CYCLE_1)
	s_and_saveexec_b32 s2, s1
	s_xor_b32 s1, exec_lo, s2
; %bb.1265:                             ;   in Loop: Header=BB462_8 Depth=1
	v_bfe_u32 v32, v18, 16, 1
	s_delay_alu instid0(VALU_DEP_1)
	v_add3_u32 v165, v18, v32, 0x7fff
                                        ; implicit-def: $vgpr18
; %bb.1266:                             ;   in Loop: Header=BB462_8 Depth=1
	s_and_not1_saveexec_b32 s2, s1
; %bb.1267:                             ;   in Loop: Header=BB462_8 Depth=1
	v_and_b32_e32 v32, 0xffff, v18
	v_or_b32_e32 v33, 0x10000, v18
	s_delay_alu instid0(VALU_DEP_2) | instskip(NEXT) | instid1(VALU_DEP_1)
	v_cmp_eq_u32_e64 s1, 0, v32
	v_cndmask_b32_e64 v165, v33, v18, s1
; %bb.1268:                             ;   in Loop: Header=BB462_8 Depth=1
	s_or_b32 exec_lo, exec_lo, s2
	v_lshrrev_b16 v32, 8, v30
	v_mov_b32_e32 v18, 0
	s_mov_b32 s2, exec_lo
	s_delay_alu instid0(VALU_DEP_2)
	v_cmpx_ne_u16_e32 0, v32
	s_cbranch_execz .LBB462_1276
; %bb.1269:                             ;   in Loop: Header=BB462_8 Depth=1
	v_bfrev_b32_e32 v18, 1
	s_mov_b32 s18, exec_lo
	v_cmpx_ne_u16_e32 0x80, v32
	s_cbranch_execz .LBB462_1275
; %bb.1270:                             ;   in Loop: Header=BB462_8 Depth=1
	v_and_b32_e32 v33, 0xffff, v32
	v_mov_b32_e32 v18, 0x7f800001
	s_mov_b32 s19, exec_lo
	s_delay_alu instid0(VALU_DEP_2) | instskip(NEXT) | instid1(VALU_DEP_1)
	v_and_b32_e32 v32, 0x7f, v33
	v_cmpx_ne_u32_e32 0x7f, v32
	s_cbranch_execz .LBB462_1274
; %bb.1271:                             ;   in Loop: Header=BB462_8 Depth=1
	v_and_b32_e32 v18, 7, v33
	v_lshrrev_b32_e32 v166, 3, v32
	v_cmp_gt_u32_e64 s1, 8, v32
	s_delay_alu instid0(VALU_DEP_3) | instskip(NEXT) | instid1(VALU_DEP_2)
	v_dual_mov_b32 v33, v19 :: v_dual_mov_b32 v32, v18
	s_and_saveexec_b32 s20, s1
; %bb.1272:                             ;   in Loop: Header=BB462_8 Depth=1
	v_clz_i32_u32_e32 v32, v18
	s_delay_alu instid0(VALU_DEP_1) | instskip(NEXT) | instid1(VALU_DEP_1)
	v_min_u32_e32 v166, 32, v32
	v_subrev_nc_u32_e32 v32, 28, v166
	v_sub_nc_u32_e32 v166, 29, v166
	s_delay_alu instid0(VALU_DEP_2) | instskip(NEXT) | instid1(VALU_DEP_1)
	v_lshlrev_b64 v[32:33], v32, v[18:19]
	v_and_b32_e32 v32, 7, v32
; %bb.1273:                             ;   in Loop: Header=BB462_8 Depth=1
	s_or_b32 exec_lo, exec_lo, s20
	v_lshlrev_b32_e32 v18, 16, v30
	s_delay_alu instid0(VALU_DEP_2) | instskip(SKIP_1) | instid1(VALU_DEP_3)
	v_lshlrev_b32_e32 v32, 20, v32
	v_lshl_add_u32 v33, v166, 23, 0x3c000000
	v_and_b32_e32 v18, 0x80000000, v18
	s_delay_alu instid0(VALU_DEP_1)
	v_or3_b32 v18, v32, v18, v33
.LBB462_1274:                           ;   in Loop: Header=BB462_8 Depth=1
	s_or_b32 exec_lo, exec_lo, s19
.LBB462_1275:                           ;   in Loop: Header=BB462_8 Depth=1
	s_delay_alu instid0(SALU_CYCLE_1)
	s_or_b32 exec_lo, exec_lo, s18
.LBB462_1276:                           ;   in Loop: Header=BB462_8 Depth=1
	s_delay_alu instid0(SALU_CYCLE_1) | instskip(NEXT) | instid1(VALU_DEP_1)
	s_or_b32 exec_lo, exec_lo, s2
	v_mul_f32_e32 v18, v152, v18
                                        ; implicit-def: $vgpr166
	s_delay_alu instid0(VALU_DEP_1) | instskip(NEXT) | instid1(VALU_DEP_1)
	v_and_b32_e32 v32, 0x7f800000, v18
	v_cmp_ne_u32_e64 s1, 0x7f800000, v32
	s_delay_alu instid0(VALU_DEP_1) | instskip(NEXT) | instid1(SALU_CYCLE_1)
	s_and_saveexec_b32 s2, s1
	s_xor_b32 s1, exec_lo, s2
; %bb.1277:                             ;   in Loop: Header=BB462_8 Depth=1
	v_bfe_u32 v32, v18, 16, 1
	s_delay_alu instid0(VALU_DEP_1)
	v_add3_u32 v166, v18, v32, 0x7fff
                                        ; implicit-def: $vgpr18
; %bb.1278:                             ;   in Loop: Header=BB462_8 Depth=1
	s_and_not1_saveexec_b32 s2, s1
; %bb.1279:                             ;   in Loop: Header=BB462_8 Depth=1
	v_and_b32_e32 v32, 0xffff, v18
	v_or_b32_e32 v33, 0x10000, v18
	s_delay_alu instid0(VALU_DEP_2) | instskip(NEXT) | instid1(VALU_DEP_1)
	v_cmp_eq_u32_e64 s1, 0, v32
	v_cndmask_b32_e64 v166, v33, v18, s1
; %bb.1280:                             ;   in Loop: Header=BB462_8 Depth=1
	s_or_b32 exec_lo, exec_lo, s2
	v_lshrrev_b32_e32 v167, 16, v30
	v_mov_b32_e32 v18, 0
	s_mov_b32 s2, exec_lo
	s_delay_alu instid0(VALU_DEP_2) | instskip(NEXT) | instid1(VALU_DEP_1)
	v_and_b32_e32 v32, 0xff, v167
	v_cmpx_ne_u16_e32 0, v32
	s_cbranch_execz .LBB462_1288
; %bb.1281:                             ;   in Loop: Header=BB462_8 Depth=1
	v_bfrev_b32_e32 v18, 1
	s_mov_b32 s18, exec_lo
	v_cmpx_ne_u16_e32 0x80, v32
	s_cbranch_execz .LBB462_1287
; %bb.1282:                             ;   in Loop: Header=BB462_8 Depth=1
	v_bfe_u32 v32, v30, 16, 7
	v_mov_b32_e32 v18, 0x7f800001
	s_mov_b32 s19, exec_lo
	s_delay_alu instid0(VALU_DEP_2)
	v_cmpx_ne_u32_e32 0x7f, v32
	s_cbranch_execz .LBB462_1286
; %bb.1283:                             ;   in Loop: Header=BB462_8 Depth=1
	v_and_b32_e32 v18, 7, v167
	v_lshrrev_b32_e32 v176, 3, v32
	v_cmp_gt_u32_e64 s1, 8, v32
	s_delay_alu instid0(VALU_DEP_3) | instskip(NEXT) | instid1(VALU_DEP_2)
	v_dual_mov_b32 v33, v19 :: v_dual_mov_b32 v32, v18
	s_and_saveexec_b32 s20, s1
; %bb.1284:                             ;   in Loop: Header=BB462_8 Depth=1
	v_clz_i32_u32_e32 v32, v18
	s_delay_alu instid0(VALU_DEP_1) | instskip(NEXT) | instid1(VALU_DEP_1)
	v_min_u32_e32 v176, 32, v32
	v_subrev_nc_u32_e32 v32, 28, v176
	v_sub_nc_u32_e32 v176, 29, v176
	s_delay_alu instid0(VALU_DEP_2) | instskip(NEXT) | instid1(VALU_DEP_1)
	v_lshlrev_b64 v[32:33], v32, v[18:19]
	v_and_b32_e32 v32, 7, v32
; %bb.1285:                             ;   in Loop: Header=BB462_8 Depth=1
	s_or_b32 exec_lo, exec_lo, s20
	v_lshlrev_b32_e32 v18, 24, v167
	s_delay_alu instid0(VALU_DEP_2) | instskip(SKIP_1) | instid1(VALU_DEP_3)
	v_lshlrev_b32_e32 v32, 20, v32
	v_lshl_add_u32 v33, v176, 23, 0x3c000000
	v_and_b32_e32 v18, 0x80000000, v18
	s_delay_alu instid0(VALU_DEP_1)
	v_or3_b32 v18, v32, v18, v33
.LBB462_1286:                           ;   in Loop: Header=BB462_8 Depth=1
	s_or_b32 exec_lo, exec_lo, s19
.LBB462_1287:                           ;   in Loop: Header=BB462_8 Depth=1
	s_delay_alu instid0(SALU_CYCLE_1)
	s_or_b32 exec_lo, exec_lo, s18
.LBB462_1288:                           ;   in Loop: Header=BB462_8 Depth=1
	s_delay_alu instid0(SALU_CYCLE_1) | instskip(NEXT) | instid1(VALU_DEP_1)
	s_or_b32 exec_lo, exec_lo, s2
	v_mul_f32_e32 v18, v152, v18
                                        ; implicit-def: $vgpr167
	s_delay_alu instid0(VALU_DEP_1) | instskip(NEXT) | instid1(VALU_DEP_1)
	v_and_b32_e32 v32, 0x7f800000, v18
	v_cmp_ne_u32_e64 s1, 0x7f800000, v32
	s_delay_alu instid0(VALU_DEP_1) | instskip(NEXT) | instid1(SALU_CYCLE_1)
	s_and_saveexec_b32 s2, s1
	s_xor_b32 s1, exec_lo, s2
; %bb.1289:                             ;   in Loop: Header=BB462_8 Depth=1
	v_bfe_u32 v32, v18, 16, 1
	s_delay_alu instid0(VALU_DEP_1)
	v_add3_u32 v167, v18, v32, 0x7fff
                                        ; implicit-def: $vgpr18
; %bb.1290:                             ;   in Loop: Header=BB462_8 Depth=1
	s_and_not1_saveexec_b32 s2, s1
; %bb.1291:                             ;   in Loop: Header=BB462_8 Depth=1
	v_and_b32_e32 v32, 0xffff, v18
	v_or_b32_e32 v33, 0x10000, v18
	s_delay_alu instid0(VALU_DEP_2) | instskip(NEXT) | instid1(VALU_DEP_1)
	v_cmp_eq_u32_e64 s1, 0, v32
	v_cndmask_b32_e64 v167, v33, v18, s1
; %bb.1292:                             ;   in Loop: Header=BB462_8 Depth=1
	s_or_b32 exec_lo, exec_lo, s2
	v_mov_b32_e32 v18, 0
	s_mov_b32 s2, exec_lo
	v_cmpx_lt_u32_e32 0xffffff, v30
	s_cbranch_execz .LBB462_1300
; %bb.1293:                             ;   in Loop: Header=BB462_8 Depth=1
	v_lshrrev_b32_e32 v176, 24, v30
	v_bfrev_b32_e32 v18, 1
	s_mov_b32 s18, exec_lo
	s_delay_alu instid0(VALU_DEP_2)
	v_cmpx_ne_u32_e32 0x80, v176
	s_cbranch_execz .LBB462_1299
; %bb.1294:                             ;   in Loop: Header=BB462_8 Depth=1
	v_bfe_u32 v32, v30, 24, 7
	v_mov_b32_e32 v18, 0x7f800001
	s_mov_b32 s19, exec_lo
	s_delay_alu instid0(VALU_DEP_2)
	v_cmpx_ne_u32_e32 0x7f, v32
	s_cbranch_execz .LBB462_1298
; %bb.1295:                             ;   in Loop: Header=BB462_8 Depth=1
	v_and_b32_e32 v18, 7, v176
	v_lshrrev_b32_e32 v177, 3, v32
	v_cmp_gt_u32_e64 s1, 8, v32
	s_delay_alu instid0(VALU_DEP_3) | instskip(NEXT) | instid1(VALU_DEP_2)
	v_dual_mov_b32 v33, v19 :: v_dual_mov_b32 v32, v18
	s_and_saveexec_b32 s20, s1
; %bb.1296:                             ;   in Loop: Header=BB462_8 Depth=1
	v_clz_i32_u32_e32 v32, v18
	s_delay_alu instid0(VALU_DEP_1) | instskip(NEXT) | instid1(VALU_DEP_1)
	v_min_u32_e32 v177, 32, v32
	v_subrev_nc_u32_e32 v32, 28, v177
	v_sub_nc_u32_e32 v177, 29, v177
	s_delay_alu instid0(VALU_DEP_2) | instskip(NEXT) | instid1(VALU_DEP_1)
	v_lshlrev_b64 v[32:33], v32, v[18:19]
	v_and_b32_e32 v32, 7, v32
; %bb.1297:                             ;   in Loop: Header=BB462_8 Depth=1
	s_or_b32 exec_lo, exec_lo, s20
	v_lshlrev_b32_e32 v18, 24, v176
	s_delay_alu instid0(VALU_DEP_2) | instskip(SKIP_1) | instid1(VALU_DEP_3)
	v_lshlrev_b32_e32 v32, 20, v32
	v_lshl_add_u32 v33, v177, 23, 0x3c000000
	v_and_b32_e32 v18, 0x80000000, v18
	s_delay_alu instid0(VALU_DEP_1)
	v_or3_b32 v18, v32, v18, v33
.LBB462_1298:                           ;   in Loop: Header=BB462_8 Depth=1
	s_or_b32 exec_lo, exec_lo, s19
.LBB462_1299:                           ;   in Loop: Header=BB462_8 Depth=1
	s_delay_alu instid0(SALU_CYCLE_1)
	s_or_b32 exec_lo, exec_lo, s18
.LBB462_1300:                           ;   in Loop: Header=BB462_8 Depth=1
	s_delay_alu instid0(SALU_CYCLE_1) | instskip(NEXT) | instid1(VALU_DEP_1)
	s_or_b32 exec_lo, exec_lo, s2
	v_mul_f32_e32 v18, v152, v18
                                        ; implicit-def: $vgpr176
	s_delay_alu instid0(VALU_DEP_1) | instskip(NEXT) | instid1(VALU_DEP_1)
	v_and_b32_e32 v32, 0x7f800000, v18
	v_cmp_ne_u32_e64 s1, 0x7f800000, v32
	s_delay_alu instid0(VALU_DEP_1) | instskip(NEXT) | instid1(SALU_CYCLE_1)
	s_and_saveexec_b32 s2, s1
	s_xor_b32 s1, exec_lo, s2
; %bb.1301:                             ;   in Loop: Header=BB462_8 Depth=1
	v_bfe_u32 v32, v18, 16, 1
	s_delay_alu instid0(VALU_DEP_1)
	v_add3_u32 v176, v18, v32, 0x7fff
                                        ; implicit-def: $vgpr18
; %bb.1302:                             ;   in Loop: Header=BB462_8 Depth=1
	s_and_not1_saveexec_b32 s2, s1
; %bb.1303:                             ;   in Loop: Header=BB462_8 Depth=1
	v_and_b32_e32 v32, 0xffff, v18
	v_or_b32_e32 v33, 0x10000, v18
	s_delay_alu instid0(VALU_DEP_2) | instskip(NEXT) | instid1(VALU_DEP_1)
	v_cmp_eq_u32_e64 s1, 0, v32
	v_cndmask_b32_e64 v176, v33, v18, s1
; %bb.1304:                             ;   in Loop: Header=BB462_8 Depth=1
	s_or_b32 exec_lo, exec_lo, s2
	v_dual_mov_b32 v18, v31 :: v_dual_and_b32 v33, 0xff, v31
	v_mov_b32_e32 v32, 0
	s_mov_b32 s2, exec_lo
	s_delay_alu instid0(VALU_DEP_2)
	v_cmpx_ne_u16_e32 0, v33
	s_cbranch_execz .LBB462_1312
; %bb.1305:                             ;   in Loop: Header=BB462_8 Depth=1
	v_bfrev_b32_e32 v32, 1
	s_mov_b32 s18, exec_lo
	v_cmpx_ne_u16_e32 0x80, v33
	s_cbranch_execz .LBB462_1311
; %bb.1306:                             ;   in Loop: Header=BB462_8 Depth=1
	v_and_b32_e32 v33, 0x7f, v31
	v_mov_b32_e32 v32, 0x7f800001
	s_mov_b32 s19, exec_lo
	s_delay_alu instid0(VALU_DEP_2)
	v_cmpx_ne_u32_e32 0x7f, v33
	s_cbranch_execz .LBB462_1310
; %bb.1307:                             ;   in Loop: Header=BB462_8 Depth=1
	v_lshrrev_b32_e32 v177, 3, v33
	v_cmp_gt_u32_e64 s1, 8, v33
	v_dual_mov_b32 v33, v19 :: v_dual_mov_b32 v32, v18
	s_delay_alu instid0(VALU_DEP_2)
	s_and_saveexec_b32 s20, s1
; %bb.1308:                             ;   in Loop: Header=BB462_8 Depth=1
	v_and_b32_e32 v32, 7, v31
	s_delay_alu instid0(VALU_DEP_1) | instskip(NEXT) | instid1(VALU_DEP_1)
	v_clz_i32_u32_e32 v32, v32
	v_min_u32_e32 v177, 32, v32
	s_delay_alu instid0(VALU_DEP_1) | instskip(SKIP_1) | instid1(VALU_DEP_2)
	v_subrev_nc_u32_e32 v32, 28, v177
	v_sub_nc_u32_e32 v177, 29, v177
	v_lshlrev_b64 v[32:33], v32, v[18:19]
; %bb.1309:                             ;   in Loop: Header=BB462_8 Depth=1
	s_or_b32 exec_lo, exec_lo, s20
	s_delay_alu instid0(VALU_DEP_1) | instskip(SKIP_2) | instid1(VALU_DEP_3)
	v_lshlrev_b32_e32 v32, 20, v32
	v_lshlrev_b32_e32 v33, 24, v18
	v_lshl_add_u32 v177, v177, 23, 0x3c000000
	v_and_b32_e32 v32, 0x700000, v32
	s_delay_alu instid0(VALU_DEP_3) | instskip(NEXT) | instid1(VALU_DEP_1)
	v_and_b32_e32 v33, 0x80000000, v33
	v_or3_b32 v32, v32, v33, v177
.LBB462_1310:                           ;   in Loop: Header=BB462_8 Depth=1
	s_or_b32 exec_lo, exec_lo, s19
.LBB462_1311:                           ;   in Loop: Header=BB462_8 Depth=1
	s_delay_alu instid0(SALU_CYCLE_1)
	s_or_b32 exec_lo, exec_lo, s18
.LBB462_1312:                           ;   in Loop: Header=BB462_8 Depth=1
	s_delay_alu instid0(SALU_CYCLE_1) | instskip(NEXT) | instid1(VALU_DEP_1)
	s_or_b32 exec_lo, exec_lo, s2
	v_mul_f32_e32 v32, v152, v32
                                        ; implicit-def: $vgpr177
	s_delay_alu instid0(VALU_DEP_1) | instskip(NEXT) | instid1(VALU_DEP_1)
	v_and_b32_e32 v33, 0x7f800000, v32
	v_cmp_ne_u32_e64 s1, 0x7f800000, v33
	s_delay_alu instid0(VALU_DEP_1) | instskip(NEXT) | instid1(SALU_CYCLE_1)
	s_and_saveexec_b32 s2, s1
	s_xor_b32 s1, exec_lo, s2
; %bb.1313:                             ;   in Loop: Header=BB462_8 Depth=1
	v_bfe_u32 v33, v32, 16, 1
	s_delay_alu instid0(VALU_DEP_1)
	v_add3_u32 v177, v32, v33, 0x7fff
                                        ; implicit-def: $vgpr32
; %bb.1314:                             ;   in Loop: Header=BB462_8 Depth=1
	s_and_not1_saveexec_b32 s2, s1
; %bb.1315:                             ;   in Loop: Header=BB462_8 Depth=1
	v_and_b32_e32 v33, 0xffff, v32
	v_or_b32_e32 v177, 0x10000, v32
	s_delay_alu instid0(VALU_DEP_2) | instskip(NEXT) | instid1(VALU_DEP_1)
	v_cmp_eq_u32_e64 s1, 0, v33
	v_cndmask_b32_e64 v177, v177, v32, s1
; %bb.1316:                             ;   in Loop: Header=BB462_8 Depth=1
	s_or_b32 exec_lo, exec_lo, s2
	v_lshrrev_b16 v33, 8, v18
	v_mov_b32_e32 v32, 0
	s_mov_b32 s2, exec_lo
	s_delay_alu instid0(VALU_DEP_2)
	v_cmpx_ne_u16_e32 0, v33
	s_cbranch_execz .LBB462_1324
; %bb.1317:                             ;   in Loop: Header=BB462_8 Depth=1
	v_bfrev_b32_e32 v32, 1
	s_mov_b32 s18, exec_lo
	v_cmpx_ne_u16_e32 0x80, v33
	s_cbranch_execz .LBB462_1323
; %bb.1318:                             ;   in Loop: Header=BB462_8 Depth=1
	v_and_b32_e32 v33, 0xffff, v33
	v_mov_b32_e32 v32, 0x7f800001
	s_mov_b32 s19, exec_lo
	s_delay_alu instid0(VALU_DEP_2) | instskip(NEXT) | instid1(VALU_DEP_1)
	v_and_b32_e32 v179, 0x7f, v33
	v_cmpx_ne_u32_e32 0x7f, v179
	s_cbranch_execz .LBB462_1322
; %bb.1319:                             ;   in Loop: Header=BB462_8 Depth=1
	v_dual_mov_b32 v33, v19 :: v_dual_and_b32 v32, 7, v33
	v_lshrrev_b32_e32 v178, 3, v179
	s_mov_b32 s20, exec_lo
	v_cmpx_gt_u32_e32 8, v179
; %bb.1320:                             ;   in Loop: Header=BB462_8 Depth=1
	s_delay_alu instid0(VALU_DEP_3) | instskip(NEXT) | instid1(VALU_DEP_1)
	v_clz_i32_u32_e32 v178, v32
	v_min_u32_e32 v178, 32, v178
	s_delay_alu instid0(VALU_DEP_1) | instskip(SKIP_1) | instid1(VALU_DEP_2)
	v_subrev_nc_u32_e32 v179, 28, v178
	v_sub_nc_u32_e32 v178, 29, v178
	v_lshlrev_b64 v[32:33], v179, v[32:33]
	s_delay_alu instid0(VALU_DEP_1)
	v_and_b32_e32 v32, 7, v32
; %bb.1321:                             ;   in Loop: Header=BB462_8 Depth=1
	s_or_b32 exec_lo, exec_lo, s20
	v_lshlrev_b32_e32 v18, 16, v18
	s_delay_alu instid0(VALU_DEP_2) | instskip(SKIP_1) | instid1(VALU_DEP_3)
	v_lshlrev_b32_e32 v32, 20, v32
	v_lshl_add_u32 v33, v178, 23, 0x3c000000
	v_and_b32_e32 v18, 0x80000000, v18
	s_delay_alu instid0(VALU_DEP_1)
	v_or3_b32 v32, v32, v18, v33
.LBB462_1322:                           ;   in Loop: Header=BB462_8 Depth=1
	s_or_b32 exec_lo, exec_lo, s19
.LBB462_1323:                           ;   in Loop: Header=BB462_8 Depth=1
	s_delay_alu instid0(SALU_CYCLE_1)
	s_or_b32 exec_lo, exec_lo, s18
.LBB462_1324:                           ;   in Loop: Header=BB462_8 Depth=1
	s_delay_alu instid0(SALU_CYCLE_1) | instskip(NEXT) | instid1(VALU_DEP_1)
	s_or_b32 exec_lo, exec_lo, s2
	v_mul_f32_e32 v18, v152, v32
                                        ; implicit-def: $vgpr178
	s_delay_alu instid0(VALU_DEP_1) | instskip(NEXT) | instid1(VALU_DEP_1)
	v_and_b32_e32 v32, 0x7f800000, v18
	v_cmp_ne_u32_e64 s1, 0x7f800000, v32
	s_delay_alu instid0(VALU_DEP_1) | instskip(NEXT) | instid1(SALU_CYCLE_1)
	s_and_saveexec_b32 s2, s1
	s_xor_b32 s1, exec_lo, s2
; %bb.1325:                             ;   in Loop: Header=BB462_8 Depth=1
	v_bfe_u32 v32, v18, 16, 1
	s_delay_alu instid0(VALU_DEP_1)
	v_add3_u32 v178, v18, v32, 0x7fff
                                        ; implicit-def: $vgpr18
; %bb.1326:                             ;   in Loop: Header=BB462_8 Depth=1
	s_and_not1_saveexec_b32 s2, s1
; %bb.1327:                             ;   in Loop: Header=BB462_8 Depth=1
	v_and_b32_e32 v32, 0xffff, v18
	v_or_b32_e32 v33, 0x10000, v18
	s_delay_alu instid0(VALU_DEP_2) | instskip(NEXT) | instid1(VALU_DEP_1)
	v_cmp_eq_u32_e64 s1, 0, v32
	v_cndmask_b32_e64 v178, v33, v18, s1
; %bb.1328:                             ;   in Loop: Header=BB462_8 Depth=1
	s_or_b32 exec_lo, exec_lo, s2
	v_lshrrev_b32_e32 v179, 16, v31
	v_mov_b32_e32 v18, 0
	s_mov_b32 s2, exec_lo
	s_delay_alu instid0(VALU_DEP_2) | instskip(NEXT) | instid1(VALU_DEP_1)
	v_and_b32_e32 v32, 0xff, v179
	v_cmpx_ne_u16_e32 0, v32
	s_cbranch_execz .LBB462_1336
; %bb.1329:                             ;   in Loop: Header=BB462_8 Depth=1
	v_bfrev_b32_e32 v18, 1
	s_mov_b32 s18, exec_lo
	v_cmpx_ne_u16_e32 0x80, v32
	s_cbranch_execz .LBB462_1335
; %bb.1330:                             ;   in Loop: Header=BB462_8 Depth=1
	v_bfe_u32 v32, v31, 16, 7
	v_mov_b32_e32 v18, 0x7f800001
	s_mov_b32 s19, exec_lo
	s_delay_alu instid0(VALU_DEP_2)
	v_cmpx_ne_u32_e32 0x7f, v32
	s_cbranch_execz .LBB462_1334
; %bb.1331:                             ;   in Loop: Header=BB462_8 Depth=1
	v_and_b32_e32 v18, 7, v179
	v_lshrrev_b32_e32 v180, 3, v32
	v_cmp_gt_u32_e64 s1, 8, v32
	s_delay_alu instid0(VALU_DEP_3) | instskip(NEXT) | instid1(VALU_DEP_2)
	v_dual_mov_b32 v33, v19 :: v_dual_mov_b32 v32, v18
	s_and_saveexec_b32 s20, s1
; %bb.1332:                             ;   in Loop: Header=BB462_8 Depth=1
	v_clz_i32_u32_e32 v32, v18
	s_delay_alu instid0(VALU_DEP_1) | instskip(NEXT) | instid1(VALU_DEP_1)
	v_min_u32_e32 v180, 32, v32
	v_subrev_nc_u32_e32 v32, 28, v180
	v_sub_nc_u32_e32 v180, 29, v180
	s_delay_alu instid0(VALU_DEP_2) | instskip(NEXT) | instid1(VALU_DEP_1)
	v_lshlrev_b64 v[32:33], v32, v[18:19]
	v_and_b32_e32 v32, 7, v32
; %bb.1333:                             ;   in Loop: Header=BB462_8 Depth=1
	s_or_b32 exec_lo, exec_lo, s20
	v_lshlrev_b32_e32 v18, 24, v179
	s_delay_alu instid0(VALU_DEP_2) | instskip(SKIP_1) | instid1(VALU_DEP_3)
	v_lshlrev_b32_e32 v32, 20, v32
	v_lshl_add_u32 v33, v180, 23, 0x3c000000
	v_and_b32_e32 v18, 0x80000000, v18
	s_delay_alu instid0(VALU_DEP_1)
	v_or3_b32 v18, v32, v18, v33
.LBB462_1334:                           ;   in Loop: Header=BB462_8 Depth=1
	s_or_b32 exec_lo, exec_lo, s19
.LBB462_1335:                           ;   in Loop: Header=BB462_8 Depth=1
	s_delay_alu instid0(SALU_CYCLE_1)
	s_or_b32 exec_lo, exec_lo, s18
.LBB462_1336:                           ;   in Loop: Header=BB462_8 Depth=1
	s_delay_alu instid0(SALU_CYCLE_1) | instskip(NEXT) | instid1(VALU_DEP_1)
	s_or_b32 exec_lo, exec_lo, s2
	v_mul_f32_e32 v18, v152, v18
	s_delay_alu instid0(VALU_DEP_1) | instskip(NEXT) | instid1(VALU_DEP_1)
	v_and_b32_e32 v32, 0x7f800000, v18
	v_cmp_ne_u32_e64 s1, 0x7f800000, v32
                                        ; implicit-def: $vgpr32
	s_delay_alu instid0(VALU_DEP_1) | instskip(NEXT) | instid1(SALU_CYCLE_1)
	s_and_saveexec_b32 s2, s1
	s_xor_b32 s1, exec_lo, s2
; %bb.1337:                             ;   in Loop: Header=BB462_8 Depth=1
	v_bfe_u32 v32, v18, 16, 1
	s_delay_alu instid0(VALU_DEP_1)
	v_add3_u32 v32, v18, v32, 0x7fff
                                        ; implicit-def: $vgpr18
; %bb.1338:                             ;   in Loop: Header=BB462_8 Depth=1
	s_and_not1_saveexec_b32 s2, s1
; %bb.1339:                             ;   in Loop: Header=BB462_8 Depth=1
	v_and_b32_e32 v32, 0xffff, v18
	v_or_b32_e32 v33, 0x10000, v18
	s_delay_alu instid0(VALU_DEP_2) | instskip(NEXT) | instid1(VALU_DEP_1)
	v_cmp_eq_u32_e64 s1, 0, v32
	v_cndmask_b32_e64 v32, v33, v18, s1
; %bb.1340:                             ;   in Loop: Header=BB462_8 Depth=1
	s_or_b32 exec_lo, exec_lo, s2
	v_mov_b32_e32 v18, 0
	s_mov_b32 s2, exec_lo
	v_cmpx_lt_u64_e64 s[8:9], v[30:31]
	s_cbranch_execz .LBB462_1348
; %bb.1341:                             ;   in Loop: Header=BB462_8 Depth=1
	v_lshrrev_b32_e32 v33, 24, v31
	v_bfrev_b32_e32 v18, 1
	s_mov_b32 s18, exec_lo
	s_delay_alu instid0(VALU_DEP_2)
	v_cmpx_ne_u32_e32 0x80, v33
	s_cbranch_execz .LBB462_1347
; %bb.1342:                             ;   in Loop: Header=BB462_8 Depth=1
	v_bfe_u32 v30, v31, 24, 7
	v_mov_b32_e32 v18, 0x7f800001
	s_mov_b32 s19, exec_lo
	s_delay_alu instid0(VALU_DEP_2)
	v_cmpx_ne_u32_e32 0x7f, v30
	s_cbranch_execz .LBB462_1346
; %bb.1343:                             ;   in Loop: Header=BB462_8 Depth=1
	v_and_b32_e32 v18, 7, v33
	v_lshrrev_b32_e32 v179, 3, v30
	v_cmp_gt_u32_e64 s1, 8, v30
	s_delay_alu instid0(VALU_DEP_3) | instskip(NEXT) | instid1(VALU_DEP_2)
	v_dual_mov_b32 v31, v19 :: v_dual_mov_b32 v30, v18
	s_and_saveexec_b32 s20, s1
; %bb.1344:                             ;   in Loop: Header=BB462_8 Depth=1
	v_clz_i32_u32_e32 v30, v18
	s_delay_alu instid0(VALU_DEP_1) | instskip(NEXT) | instid1(VALU_DEP_1)
	v_min_u32_e32 v179, 32, v30
	v_subrev_nc_u32_e32 v30, 28, v179
	v_sub_nc_u32_e32 v179, 29, v179
	s_delay_alu instid0(VALU_DEP_2) | instskip(NEXT) | instid1(VALU_DEP_1)
	v_lshlrev_b64 v[30:31], v30, v[18:19]
	v_and_b32_e32 v30, 7, v30
; %bb.1345:                             ;   in Loop: Header=BB462_8 Depth=1
	s_or_b32 exec_lo, exec_lo, s20
	v_lshlrev_b32_e32 v18, 24, v33
	s_delay_alu instid0(VALU_DEP_2) | instskip(SKIP_1) | instid1(VALU_DEP_3)
	v_lshlrev_b32_e32 v30, 20, v30
	v_lshl_add_u32 v31, v179, 23, 0x3c000000
	v_and_b32_e32 v18, 0x80000000, v18
	s_delay_alu instid0(VALU_DEP_1)
	v_or3_b32 v18, v30, v18, v31
.LBB462_1346:                           ;   in Loop: Header=BB462_8 Depth=1
	s_or_b32 exec_lo, exec_lo, s19
.LBB462_1347:                           ;   in Loop: Header=BB462_8 Depth=1
	s_delay_alu instid0(SALU_CYCLE_1)
	s_or_b32 exec_lo, exec_lo, s18
.LBB462_1348:                           ;   in Loop: Header=BB462_8 Depth=1
	s_delay_alu instid0(SALU_CYCLE_1) | instskip(NEXT) | instid1(VALU_DEP_1)
	s_or_b32 exec_lo, exec_lo, s2
	v_mul_f32_e32 v18, v152, v18
                                        ; implicit-def: $vgpr33
	s_delay_alu instid0(VALU_DEP_1) | instskip(NEXT) | instid1(VALU_DEP_1)
	v_and_b32_e32 v30, 0x7f800000, v18
	v_cmp_ne_u32_e64 s1, 0x7f800000, v30
	s_delay_alu instid0(VALU_DEP_1) | instskip(NEXT) | instid1(SALU_CYCLE_1)
	s_and_saveexec_b32 s2, s1
	s_xor_b32 s1, exec_lo, s2
; %bb.1349:                             ;   in Loop: Header=BB462_8 Depth=1
	v_bfe_u32 v30, v18, 16, 1
	s_delay_alu instid0(VALU_DEP_1)
	v_add3_u32 v33, v18, v30, 0x7fff
                                        ; implicit-def: $vgpr18
; %bb.1350:                             ;   in Loop: Header=BB462_8 Depth=1
	s_and_not1_saveexec_b32 s2, s1
; %bb.1351:                             ;   in Loop: Header=BB462_8 Depth=1
	v_and_b32_e32 v30, 0xffff, v18
	v_or_b32_e32 v31, 0x10000, v18
	s_delay_alu instid0(VALU_DEP_2) | instskip(NEXT) | instid1(VALU_DEP_1)
	v_cmp_eq_u32_e64 s1, 0, v30
	v_cndmask_b32_e64 v33, v31, v18, s1
; %bb.1352:                             ;   in Loop: Header=BB462_8 Depth=1
	s_or_b32 exec_lo, exec_lo, s2
	flat_load_b64 v[28:29], v[28:29] offset:3584
	v_mov_b32_e32 v18, 0
	s_mov_b32 s2, exec_lo
	s_waitcnt vmcnt(0) lgkmcnt(0)
	v_and_b32_e32 v30, 0xff, v28
	s_delay_alu instid0(VALU_DEP_1)
	v_cmpx_ne_u16_e32 0, v30
	s_cbranch_execz .LBB462_1360
; %bb.1353:                             ;   in Loop: Header=BB462_8 Depth=1
	v_bfrev_b32_e32 v18, 1
	s_mov_b32 s18, exec_lo
	v_cmpx_ne_u16_e32 0x80, v30
	s_cbranch_execz .LBB462_1359
; %bb.1354:                             ;   in Loop: Header=BB462_8 Depth=1
	v_and_b32_e32 v30, 0x7f, v28
	v_mov_b32_e32 v18, 0x7f800001
	s_mov_b32 s19, exec_lo
	s_delay_alu instid0(VALU_DEP_2)
	v_cmpx_ne_u32_e32 0x7f, v30
	s_cbranch_execz .LBB462_1358
; %bb.1355:                             ;   in Loop: Header=BB462_8 Depth=1
	v_lshrrev_b32_e32 v18, 3, v30
	v_cmp_gt_u32_e64 s1, 8, v30
	v_dual_mov_b32 v31, v29 :: v_dual_mov_b32 v30, v28
	s_delay_alu instid0(VALU_DEP_2)
	s_and_saveexec_b32 s20, s1
; %bb.1356:                             ;   in Loop: Header=BB462_8 Depth=1
	v_and_b32_e32 v18, 7, v28
	s_delay_alu instid0(VALU_DEP_1) | instskip(NEXT) | instid1(VALU_DEP_1)
	v_clz_i32_u32_e32 v18, v18
	v_min_u32_e32 v18, 32, v18
	s_delay_alu instid0(VALU_DEP_1) | instskip(SKIP_1) | instid1(VALU_DEP_2)
	v_subrev_nc_u32_e32 v30, 28, v18
	v_sub_nc_u32_e32 v18, 29, v18
	v_lshlrev_b64 v[30:31], v30, v[28:29]
; %bb.1357:                             ;   in Loop: Header=BB462_8 Depth=1
	s_or_b32 exec_lo, exec_lo, s20
	s_delay_alu instid0(VALU_DEP_1) | instskip(SKIP_2) | instid1(VALU_DEP_3)
	v_lshlrev_b32_e32 v30, 20, v30
	v_lshlrev_b32_e32 v31, 24, v28
	v_lshl_add_u32 v18, v18, 23, 0x3c000000
	v_and_b32_e32 v30, 0x700000, v30
	s_delay_alu instid0(VALU_DEP_3) | instskip(NEXT) | instid1(VALU_DEP_1)
	v_and_b32_e32 v31, 0x80000000, v31
	v_or3_b32 v18, v30, v31, v18
.LBB462_1358:                           ;   in Loop: Header=BB462_8 Depth=1
	s_or_b32 exec_lo, exec_lo, s19
.LBB462_1359:                           ;   in Loop: Header=BB462_8 Depth=1
	s_delay_alu instid0(SALU_CYCLE_1)
	s_or_b32 exec_lo, exec_lo, s18
.LBB462_1360:                           ;   in Loop: Header=BB462_8 Depth=1
	s_delay_alu instid0(SALU_CYCLE_1) | instskip(NEXT) | instid1(VALU_DEP_1)
	s_or_b32 exec_lo, exec_lo, s2
	v_mul_f32_e32 v18, v152, v18
                                        ; implicit-def: $vgpr179
	s_delay_alu instid0(VALU_DEP_1) | instskip(NEXT) | instid1(VALU_DEP_1)
	v_and_b32_e32 v30, 0x7f800000, v18
	v_cmp_ne_u32_e64 s1, 0x7f800000, v30
	s_delay_alu instid0(VALU_DEP_1) | instskip(NEXT) | instid1(SALU_CYCLE_1)
	s_and_saveexec_b32 s2, s1
	s_xor_b32 s1, exec_lo, s2
; %bb.1361:                             ;   in Loop: Header=BB462_8 Depth=1
	v_bfe_u32 v30, v18, 16, 1
	s_delay_alu instid0(VALU_DEP_1)
	v_add3_u32 v179, v18, v30, 0x7fff
                                        ; implicit-def: $vgpr18
; %bb.1362:                             ;   in Loop: Header=BB462_8 Depth=1
	s_and_not1_saveexec_b32 s2, s1
; %bb.1363:                             ;   in Loop: Header=BB462_8 Depth=1
	v_and_b32_e32 v30, 0xffff, v18
	v_or_b32_e32 v31, 0x10000, v18
	s_delay_alu instid0(VALU_DEP_2) | instskip(NEXT) | instid1(VALU_DEP_1)
	v_cmp_eq_u32_e64 s1, 0, v30
	v_cndmask_b32_e64 v179, v31, v18, s1
; %bb.1364:                             ;   in Loop: Header=BB462_8 Depth=1
	s_or_b32 exec_lo, exec_lo, s2
	v_lshrrev_b16 v30, 8, v28
	v_mov_b32_e32 v18, 0
	s_mov_b32 s2, exec_lo
	s_delay_alu instid0(VALU_DEP_2)
	v_cmpx_ne_u16_e32 0, v30
	s_cbranch_execz .LBB462_1372
; %bb.1365:                             ;   in Loop: Header=BB462_8 Depth=1
	v_bfrev_b32_e32 v18, 1
	s_mov_b32 s18, exec_lo
	v_cmpx_ne_u16_e32 0x80, v30
	s_cbranch_execz .LBB462_1371
; %bb.1366:                             ;   in Loop: Header=BB462_8 Depth=1
	v_and_b32_e32 v31, 0xffff, v30
	v_mov_b32_e32 v18, 0x7f800001
	s_mov_b32 s19, exec_lo
	s_delay_alu instid0(VALU_DEP_2) | instskip(NEXT) | instid1(VALU_DEP_1)
	v_and_b32_e32 v30, 0x7f, v31
	v_cmpx_ne_u32_e32 0x7f, v30
	s_cbranch_execz .LBB462_1370
; %bb.1367:                             ;   in Loop: Header=BB462_8 Depth=1
	v_and_b32_e32 v18, 7, v31
	v_lshrrev_b32_e32 v180, 3, v30
	v_cmp_gt_u32_e64 s1, 8, v30
	s_delay_alu instid0(VALU_DEP_3) | instskip(NEXT) | instid1(VALU_DEP_2)
	v_dual_mov_b32 v31, v19 :: v_dual_mov_b32 v30, v18
	s_and_saveexec_b32 s20, s1
; %bb.1368:                             ;   in Loop: Header=BB462_8 Depth=1
	v_clz_i32_u32_e32 v30, v18
	s_delay_alu instid0(VALU_DEP_1) | instskip(NEXT) | instid1(VALU_DEP_1)
	v_min_u32_e32 v180, 32, v30
	v_subrev_nc_u32_e32 v30, 28, v180
	v_sub_nc_u32_e32 v180, 29, v180
	s_delay_alu instid0(VALU_DEP_2) | instskip(NEXT) | instid1(VALU_DEP_1)
	v_lshlrev_b64 v[30:31], v30, v[18:19]
	v_and_b32_e32 v30, 7, v30
; %bb.1369:                             ;   in Loop: Header=BB462_8 Depth=1
	s_or_b32 exec_lo, exec_lo, s20
	v_lshlrev_b32_e32 v18, 16, v28
	s_delay_alu instid0(VALU_DEP_2) | instskip(SKIP_1) | instid1(VALU_DEP_3)
	v_lshlrev_b32_e32 v30, 20, v30
	v_lshl_add_u32 v31, v180, 23, 0x3c000000
	v_and_b32_e32 v18, 0x80000000, v18
	s_delay_alu instid0(VALU_DEP_1)
	v_or3_b32 v18, v30, v18, v31
.LBB462_1370:                           ;   in Loop: Header=BB462_8 Depth=1
	s_or_b32 exec_lo, exec_lo, s19
.LBB462_1371:                           ;   in Loop: Header=BB462_8 Depth=1
	s_delay_alu instid0(SALU_CYCLE_1)
	s_or_b32 exec_lo, exec_lo, s18
.LBB462_1372:                           ;   in Loop: Header=BB462_8 Depth=1
	s_delay_alu instid0(SALU_CYCLE_1) | instskip(NEXT) | instid1(VALU_DEP_1)
	s_or_b32 exec_lo, exec_lo, s2
	v_mul_f32_e32 v18, v152, v18
                                        ; implicit-def: $vgpr180
	s_delay_alu instid0(VALU_DEP_1) | instskip(NEXT) | instid1(VALU_DEP_1)
	v_and_b32_e32 v30, 0x7f800000, v18
	v_cmp_ne_u32_e64 s1, 0x7f800000, v30
	s_delay_alu instid0(VALU_DEP_1) | instskip(NEXT) | instid1(SALU_CYCLE_1)
	s_and_saveexec_b32 s2, s1
	s_xor_b32 s1, exec_lo, s2
; %bb.1373:                             ;   in Loop: Header=BB462_8 Depth=1
	v_bfe_u32 v30, v18, 16, 1
	s_delay_alu instid0(VALU_DEP_1)
	v_add3_u32 v180, v18, v30, 0x7fff
                                        ; implicit-def: $vgpr18
; %bb.1374:                             ;   in Loop: Header=BB462_8 Depth=1
	s_and_not1_saveexec_b32 s2, s1
; %bb.1375:                             ;   in Loop: Header=BB462_8 Depth=1
	v_and_b32_e32 v30, 0xffff, v18
	v_or_b32_e32 v31, 0x10000, v18
	s_delay_alu instid0(VALU_DEP_2) | instskip(NEXT) | instid1(VALU_DEP_1)
	v_cmp_eq_u32_e64 s1, 0, v30
	v_cndmask_b32_e64 v180, v31, v18, s1
; %bb.1376:                             ;   in Loop: Header=BB462_8 Depth=1
	s_or_b32 exec_lo, exec_lo, s2
	v_lshrrev_b32_e32 v181, 16, v28
	v_mov_b32_e32 v18, 0
	s_mov_b32 s2, exec_lo
	s_delay_alu instid0(VALU_DEP_2) | instskip(NEXT) | instid1(VALU_DEP_1)
	v_and_b32_e32 v30, 0xff, v181
	v_cmpx_ne_u16_e32 0, v30
	s_cbranch_execz .LBB462_1384
; %bb.1377:                             ;   in Loop: Header=BB462_8 Depth=1
	v_bfrev_b32_e32 v18, 1
	s_mov_b32 s18, exec_lo
	v_cmpx_ne_u16_e32 0x80, v30
	s_cbranch_execz .LBB462_1383
; %bb.1378:                             ;   in Loop: Header=BB462_8 Depth=1
	v_bfe_u32 v30, v28, 16, 7
	v_mov_b32_e32 v18, 0x7f800001
	s_mov_b32 s19, exec_lo
	s_delay_alu instid0(VALU_DEP_2)
	v_cmpx_ne_u32_e32 0x7f, v30
	s_cbranch_execz .LBB462_1382
; %bb.1379:                             ;   in Loop: Header=BB462_8 Depth=1
	v_and_b32_e32 v18, 7, v181
	v_lshrrev_b32_e32 v182, 3, v30
	v_cmp_gt_u32_e64 s1, 8, v30
	s_delay_alu instid0(VALU_DEP_3) | instskip(NEXT) | instid1(VALU_DEP_2)
	v_dual_mov_b32 v31, v19 :: v_dual_mov_b32 v30, v18
	s_and_saveexec_b32 s20, s1
; %bb.1380:                             ;   in Loop: Header=BB462_8 Depth=1
	v_clz_i32_u32_e32 v30, v18
	s_delay_alu instid0(VALU_DEP_1) | instskip(NEXT) | instid1(VALU_DEP_1)
	v_min_u32_e32 v182, 32, v30
	v_subrev_nc_u32_e32 v30, 28, v182
	v_sub_nc_u32_e32 v182, 29, v182
	s_delay_alu instid0(VALU_DEP_2) | instskip(NEXT) | instid1(VALU_DEP_1)
	v_lshlrev_b64 v[30:31], v30, v[18:19]
	v_and_b32_e32 v30, 7, v30
; %bb.1381:                             ;   in Loop: Header=BB462_8 Depth=1
	s_or_b32 exec_lo, exec_lo, s20
	v_lshlrev_b32_e32 v18, 24, v181
	s_delay_alu instid0(VALU_DEP_2) | instskip(SKIP_1) | instid1(VALU_DEP_3)
	v_lshlrev_b32_e32 v30, 20, v30
	v_lshl_add_u32 v31, v182, 23, 0x3c000000
	v_and_b32_e32 v18, 0x80000000, v18
	s_delay_alu instid0(VALU_DEP_1)
	v_or3_b32 v18, v30, v18, v31
.LBB462_1382:                           ;   in Loop: Header=BB462_8 Depth=1
	s_or_b32 exec_lo, exec_lo, s19
.LBB462_1383:                           ;   in Loop: Header=BB462_8 Depth=1
	s_delay_alu instid0(SALU_CYCLE_1)
	s_or_b32 exec_lo, exec_lo, s18
.LBB462_1384:                           ;   in Loop: Header=BB462_8 Depth=1
	s_delay_alu instid0(SALU_CYCLE_1) | instskip(NEXT) | instid1(VALU_DEP_1)
	s_or_b32 exec_lo, exec_lo, s2
	v_mul_f32_e32 v18, v152, v18
                                        ; implicit-def: $vgpr181
	s_delay_alu instid0(VALU_DEP_1) | instskip(NEXT) | instid1(VALU_DEP_1)
	v_and_b32_e32 v30, 0x7f800000, v18
	v_cmp_ne_u32_e64 s1, 0x7f800000, v30
	s_delay_alu instid0(VALU_DEP_1) | instskip(NEXT) | instid1(SALU_CYCLE_1)
	s_and_saveexec_b32 s2, s1
	s_xor_b32 s1, exec_lo, s2
; %bb.1385:                             ;   in Loop: Header=BB462_8 Depth=1
	v_bfe_u32 v30, v18, 16, 1
	s_delay_alu instid0(VALU_DEP_1)
	v_add3_u32 v181, v18, v30, 0x7fff
                                        ; implicit-def: $vgpr18
; %bb.1386:                             ;   in Loop: Header=BB462_8 Depth=1
	s_and_not1_saveexec_b32 s2, s1
; %bb.1387:                             ;   in Loop: Header=BB462_8 Depth=1
	v_and_b32_e32 v30, 0xffff, v18
	v_or_b32_e32 v31, 0x10000, v18
	s_delay_alu instid0(VALU_DEP_2) | instskip(NEXT) | instid1(VALU_DEP_1)
	v_cmp_eq_u32_e64 s1, 0, v30
	v_cndmask_b32_e64 v181, v31, v18, s1
; %bb.1388:                             ;   in Loop: Header=BB462_8 Depth=1
	s_or_b32 exec_lo, exec_lo, s2
	v_mov_b32_e32 v18, 0
	s_mov_b32 s2, exec_lo
	v_cmpx_lt_u32_e32 0xffffff, v28
	s_cbranch_execz .LBB462_1396
; %bb.1389:                             ;   in Loop: Header=BB462_8 Depth=1
	v_lshrrev_b32_e32 v182, 24, v28
	v_bfrev_b32_e32 v18, 1
	s_mov_b32 s18, exec_lo
	s_delay_alu instid0(VALU_DEP_2)
	v_cmpx_ne_u32_e32 0x80, v182
	s_cbranch_execz .LBB462_1395
; %bb.1390:                             ;   in Loop: Header=BB462_8 Depth=1
	v_bfe_u32 v30, v28, 24, 7
	v_mov_b32_e32 v18, 0x7f800001
	s_mov_b32 s19, exec_lo
	s_delay_alu instid0(VALU_DEP_2)
	v_cmpx_ne_u32_e32 0x7f, v30
	s_cbranch_execz .LBB462_1394
; %bb.1391:                             ;   in Loop: Header=BB462_8 Depth=1
	v_and_b32_e32 v18, 7, v182
	v_lshrrev_b32_e32 v183, 3, v30
	v_cmp_gt_u32_e64 s1, 8, v30
	s_delay_alu instid0(VALU_DEP_3) | instskip(NEXT) | instid1(VALU_DEP_2)
	v_dual_mov_b32 v31, v19 :: v_dual_mov_b32 v30, v18
	s_and_saveexec_b32 s20, s1
; %bb.1392:                             ;   in Loop: Header=BB462_8 Depth=1
	v_clz_i32_u32_e32 v30, v18
	s_delay_alu instid0(VALU_DEP_1) | instskip(NEXT) | instid1(VALU_DEP_1)
	v_min_u32_e32 v183, 32, v30
	v_subrev_nc_u32_e32 v30, 28, v183
	v_sub_nc_u32_e32 v183, 29, v183
	s_delay_alu instid0(VALU_DEP_2) | instskip(NEXT) | instid1(VALU_DEP_1)
	v_lshlrev_b64 v[30:31], v30, v[18:19]
	v_and_b32_e32 v30, 7, v30
; %bb.1393:                             ;   in Loop: Header=BB462_8 Depth=1
	s_or_b32 exec_lo, exec_lo, s20
	v_lshlrev_b32_e32 v18, 24, v182
	s_delay_alu instid0(VALU_DEP_2) | instskip(SKIP_1) | instid1(VALU_DEP_3)
	v_lshlrev_b32_e32 v30, 20, v30
	v_lshl_add_u32 v31, v183, 23, 0x3c000000
	v_and_b32_e32 v18, 0x80000000, v18
	s_delay_alu instid0(VALU_DEP_1)
	v_or3_b32 v18, v30, v18, v31
.LBB462_1394:                           ;   in Loop: Header=BB462_8 Depth=1
	s_or_b32 exec_lo, exec_lo, s19
.LBB462_1395:                           ;   in Loop: Header=BB462_8 Depth=1
	s_delay_alu instid0(SALU_CYCLE_1)
	s_or_b32 exec_lo, exec_lo, s18
.LBB462_1396:                           ;   in Loop: Header=BB462_8 Depth=1
	s_delay_alu instid0(SALU_CYCLE_1) | instskip(NEXT) | instid1(VALU_DEP_1)
	s_or_b32 exec_lo, exec_lo, s2
	v_mul_f32_e32 v18, v152, v18
                                        ; implicit-def: $vgpr182
	s_delay_alu instid0(VALU_DEP_1) | instskip(NEXT) | instid1(VALU_DEP_1)
	v_and_b32_e32 v30, 0x7f800000, v18
	v_cmp_ne_u32_e64 s1, 0x7f800000, v30
	s_delay_alu instid0(VALU_DEP_1) | instskip(NEXT) | instid1(SALU_CYCLE_1)
	s_and_saveexec_b32 s2, s1
	s_xor_b32 s1, exec_lo, s2
; %bb.1397:                             ;   in Loop: Header=BB462_8 Depth=1
	v_bfe_u32 v30, v18, 16, 1
	s_delay_alu instid0(VALU_DEP_1)
	v_add3_u32 v182, v18, v30, 0x7fff
                                        ; implicit-def: $vgpr18
; %bb.1398:                             ;   in Loop: Header=BB462_8 Depth=1
	s_and_not1_saveexec_b32 s2, s1
; %bb.1399:                             ;   in Loop: Header=BB462_8 Depth=1
	v_and_b32_e32 v30, 0xffff, v18
	v_or_b32_e32 v31, 0x10000, v18
	s_delay_alu instid0(VALU_DEP_2) | instskip(NEXT) | instid1(VALU_DEP_1)
	v_cmp_eq_u32_e64 s1, 0, v30
	v_cndmask_b32_e64 v182, v31, v18, s1
; %bb.1400:                             ;   in Loop: Header=BB462_8 Depth=1
	s_or_b32 exec_lo, exec_lo, s2
	v_dual_mov_b32 v18, v29 :: v_dual_and_b32 v31, 0xff, v29
	v_mov_b32_e32 v30, 0
	s_mov_b32 s2, exec_lo
	s_delay_alu instid0(VALU_DEP_2)
	v_cmpx_ne_u16_e32 0, v31
	s_cbranch_execz .LBB462_1408
; %bb.1401:                             ;   in Loop: Header=BB462_8 Depth=1
	v_bfrev_b32_e32 v30, 1
	s_mov_b32 s18, exec_lo
	v_cmpx_ne_u16_e32 0x80, v31
	s_cbranch_execz .LBB462_1407
; %bb.1402:                             ;   in Loop: Header=BB462_8 Depth=1
	v_and_b32_e32 v31, 0x7f, v29
	v_mov_b32_e32 v30, 0x7f800001
	s_mov_b32 s19, exec_lo
	s_delay_alu instid0(VALU_DEP_2)
	v_cmpx_ne_u32_e32 0x7f, v31
	s_cbranch_execz .LBB462_1406
; %bb.1403:                             ;   in Loop: Header=BB462_8 Depth=1
	v_lshrrev_b32_e32 v183, 3, v31
	v_cmp_gt_u32_e64 s1, 8, v31
	v_dual_mov_b32 v31, v19 :: v_dual_mov_b32 v30, v18
	s_delay_alu instid0(VALU_DEP_2)
	s_and_saveexec_b32 s20, s1
; %bb.1404:                             ;   in Loop: Header=BB462_8 Depth=1
	v_and_b32_e32 v30, 7, v29
	s_delay_alu instid0(VALU_DEP_1) | instskip(NEXT) | instid1(VALU_DEP_1)
	v_clz_i32_u32_e32 v30, v30
	v_min_u32_e32 v183, 32, v30
	s_delay_alu instid0(VALU_DEP_1) | instskip(SKIP_1) | instid1(VALU_DEP_2)
	v_subrev_nc_u32_e32 v30, 28, v183
	v_sub_nc_u32_e32 v183, 29, v183
	v_lshlrev_b64 v[30:31], v30, v[18:19]
; %bb.1405:                             ;   in Loop: Header=BB462_8 Depth=1
	s_or_b32 exec_lo, exec_lo, s20
	s_delay_alu instid0(VALU_DEP_1) | instskip(SKIP_2) | instid1(VALU_DEP_3)
	v_lshlrev_b32_e32 v30, 20, v30
	v_lshlrev_b32_e32 v31, 24, v18
	v_lshl_add_u32 v183, v183, 23, 0x3c000000
	v_and_b32_e32 v30, 0x700000, v30
	s_delay_alu instid0(VALU_DEP_3) | instskip(NEXT) | instid1(VALU_DEP_1)
	v_and_b32_e32 v31, 0x80000000, v31
	v_or3_b32 v30, v30, v31, v183
.LBB462_1406:                           ;   in Loop: Header=BB462_8 Depth=1
	s_or_b32 exec_lo, exec_lo, s19
.LBB462_1407:                           ;   in Loop: Header=BB462_8 Depth=1
	s_delay_alu instid0(SALU_CYCLE_1)
	s_or_b32 exec_lo, exec_lo, s18
.LBB462_1408:                           ;   in Loop: Header=BB462_8 Depth=1
	s_delay_alu instid0(SALU_CYCLE_1) | instskip(NEXT) | instid1(VALU_DEP_1)
	s_or_b32 exec_lo, exec_lo, s2
	v_mul_f32_e32 v30, v152, v30
                                        ; implicit-def: $vgpr183
	s_delay_alu instid0(VALU_DEP_1) | instskip(NEXT) | instid1(VALU_DEP_1)
	v_and_b32_e32 v31, 0x7f800000, v30
	v_cmp_ne_u32_e64 s1, 0x7f800000, v31
	s_delay_alu instid0(VALU_DEP_1) | instskip(NEXT) | instid1(SALU_CYCLE_1)
	s_and_saveexec_b32 s2, s1
	s_xor_b32 s1, exec_lo, s2
; %bb.1409:                             ;   in Loop: Header=BB462_8 Depth=1
	v_bfe_u32 v31, v30, 16, 1
	s_delay_alu instid0(VALU_DEP_1)
	v_add3_u32 v183, v30, v31, 0x7fff
                                        ; implicit-def: $vgpr30
; %bb.1410:                             ;   in Loop: Header=BB462_8 Depth=1
	s_and_not1_saveexec_b32 s2, s1
; %bb.1411:                             ;   in Loop: Header=BB462_8 Depth=1
	v_and_b32_e32 v31, 0xffff, v30
	v_or_b32_e32 v183, 0x10000, v30
	s_delay_alu instid0(VALU_DEP_2) | instskip(NEXT) | instid1(VALU_DEP_1)
	v_cmp_eq_u32_e64 s1, 0, v31
	v_cndmask_b32_e64 v183, v183, v30, s1
; %bb.1412:                             ;   in Loop: Header=BB462_8 Depth=1
	s_or_b32 exec_lo, exec_lo, s2
	v_lshrrev_b16 v31, 8, v18
	v_mov_b32_e32 v30, 0
	s_mov_b32 s2, exec_lo
	s_delay_alu instid0(VALU_DEP_2)
	v_cmpx_ne_u16_e32 0, v31
	s_cbranch_execz .LBB462_1420
; %bb.1413:                             ;   in Loop: Header=BB462_8 Depth=1
	v_bfrev_b32_e32 v30, 1
	s_mov_b32 s18, exec_lo
	v_cmpx_ne_u16_e32 0x80, v31
	s_cbranch_execz .LBB462_1419
; %bb.1414:                             ;   in Loop: Header=BB462_8 Depth=1
	v_and_b32_e32 v31, 0xffff, v31
	v_mov_b32_e32 v30, 0x7f800001
	s_mov_b32 s19, exec_lo
	s_delay_alu instid0(VALU_DEP_2) | instskip(NEXT) | instid1(VALU_DEP_1)
	v_and_b32_e32 v41, 0x7f, v31
	v_cmpx_ne_u32_e32 0x7f, v41
	s_cbranch_execz .LBB462_1418
; %bb.1415:                             ;   in Loop: Header=BB462_8 Depth=1
	v_dual_mov_b32 v31, v19 :: v_dual_and_b32 v30, 7, v31
	v_lshrrev_b32_e32 v40, 3, v41
	s_mov_b32 s20, exec_lo
	v_cmpx_gt_u32_e32 8, v41
; %bb.1416:                             ;   in Loop: Header=BB462_8 Depth=1
	s_delay_alu instid0(VALU_DEP_3) | instskip(NEXT) | instid1(VALU_DEP_1)
	v_clz_i32_u32_e32 v40, v30
	v_min_u32_e32 v40, 32, v40
	s_delay_alu instid0(VALU_DEP_1) | instskip(SKIP_1) | instid1(VALU_DEP_2)
	v_subrev_nc_u32_e32 v41, 28, v40
	v_sub_nc_u32_e32 v40, 29, v40
	v_lshlrev_b64 v[30:31], v41, v[30:31]
	s_delay_alu instid0(VALU_DEP_1)
	v_and_b32_e32 v30, 7, v30
; %bb.1417:                             ;   in Loop: Header=BB462_8 Depth=1
	s_or_b32 exec_lo, exec_lo, s20
	v_lshlrev_b32_e32 v18, 16, v18
	s_delay_alu instid0(VALU_DEP_2) | instskip(SKIP_1) | instid1(VALU_DEP_3)
	v_lshlrev_b32_e32 v30, 20, v30
	v_lshl_add_u32 v31, v40, 23, 0x3c000000
	v_and_b32_e32 v18, 0x80000000, v18
	s_delay_alu instid0(VALU_DEP_1)
	v_or3_b32 v30, v30, v18, v31
.LBB462_1418:                           ;   in Loop: Header=BB462_8 Depth=1
	s_or_b32 exec_lo, exec_lo, s19
.LBB462_1419:                           ;   in Loop: Header=BB462_8 Depth=1
	s_delay_alu instid0(SALU_CYCLE_1)
	s_or_b32 exec_lo, exec_lo, s18
.LBB462_1420:                           ;   in Loop: Header=BB462_8 Depth=1
	s_delay_alu instid0(SALU_CYCLE_1) | instskip(NEXT) | instid1(VALU_DEP_1)
	s_or_b32 exec_lo, exec_lo, s2
	v_mul_f32_e32 v18, v152, v30
                                        ; implicit-def: $vgpr40
	s_delay_alu instid0(VALU_DEP_1) | instskip(NEXT) | instid1(VALU_DEP_1)
	v_and_b32_e32 v30, 0x7f800000, v18
	v_cmp_ne_u32_e64 s1, 0x7f800000, v30
	s_delay_alu instid0(VALU_DEP_1) | instskip(NEXT) | instid1(SALU_CYCLE_1)
	s_and_saveexec_b32 s2, s1
	s_xor_b32 s1, exec_lo, s2
; %bb.1421:                             ;   in Loop: Header=BB462_8 Depth=1
	v_bfe_u32 v30, v18, 16, 1
	s_delay_alu instid0(VALU_DEP_1)
	v_add3_u32 v40, v18, v30, 0x7fff
                                        ; implicit-def: $vgpr18
; %bb.1422:                             ;   in Loop: Header=BB462_8 Depth=1
	s_and_not1_saveexec_b32 s2, s1
; %bb.1423:                             ;   in Loop: Header=BB462_8 Depth=1
	v_and_b32_e32 v30, 0xffff, v18
	v_or_b32_e32 v31, 0x10000, v18
	s_delay_alu instid0(VALU_DEP_2) | instskip(NEXT) | instid1(VALU_DEP_1)
	v_cmp_eq_u32_e64 s1, 0, v30
	v_cndmask_b32_e64 v40, v31, v18, s1
; %bb.1424:                             ;   in Loop: Header=BB462_8 Depth=1
	s_or_b32 exec_lo, exec_lo, s2
	v_lshrrev_b32_e32 v41, 16, v29
	v_mov_b32_e32 v18, 0
	s_mov_b32 s2, exec_lo
	s_delay_alu instid0(VALU_DEP_2) | instskip(NEXT) | instid1(VALU_DEP_1)
	v_and_b32_e32 v30, 0xff, v41
	v_cmpx_ne_u16_e32 0, v30
	s_cbranch_execz .LBB462_1432
; %bb.1425:                             ;   in Loop: Header=BB462_8 Depth=1
	v_bfrev_b32_e32 v18, 1
	s_mov_b32 s18, exec_lo
	v_cmpx_ne_u16_e32 0x80, v30
	s_cbranch_execz .LBB462_1431
; %bb.1426:                             ;   in Loop: Header=BB462_8 Depth=1
	v_bfe_u32 v30, v29, 16, 7
	v_mov_b32_e32 v18, 0x7f800001
	s_mov_b32 s19, exec_lo
	s_delay_alu instid0(VALU_DEP_2)
	v_cmpx_ne_u32_e32 0x7f, v30
	s_cbranch_execz .LBB462_1430
; %bb.1427:                             ;   in Loop: Header=BB462_8 Depth=1
	v_and_b32_e32 v18, 7, v41
	v_lshrrev_b32_e32 v42, 3, v30
	v_cmp_gt_u32_e64 s1, 8, v30
	s_delay_alu instid0(VALU_DEP_3) | instskip(NEXT) | instid1(VALU_DEP_2)
	v_dual_mov_b32 v31, v19 :: v_dual_mov_b32 v30, v18
	s_and_saveexec_b32 s20, s1
; %bb.1428:                             ;   in Loop: Header=BB462_8 Depth=1
	v_clz_i32_u32_e32 v30, v18
	s_delay_alu instid0(VALU_DEP_1) | instskip(NEXT) | instid1(VALU_DEP_1)
	v_min_u32_e32 v42, 32, v30
	v_subrev_nc_u32_e32 v30, 28, v42
	v_sub_nc_u32_e32 v42, 29, v42
	s_delay_alu instid0(VALU_DEP_2) | instskip(NEXT) | instid1(VALU_DEP_1)
	v_lshlrev_b64 v[30:31], v30, v[18:19]
	v_and_b32_e32 v30, 7, v30
; %bb.1429:                             ;   in Loop: Header=BB462_8 Depth=1
	s_or_b32 exec_lo, exec_lo, s20
	v_lshlrev_b32_e32 v18, 24, v41
	s_delay_alu instid0(VALU_DEP_2) | instskip(SKIP_1) | instid1(VALU_DEP_3)
	v_lshlrev_b32_e32 v30, 20, v30
	v_lshl_add_u32 v31, v42, 23, 0x3c000000
	v_and_b32_e32 v18, 0x80000000, v18
	s_delay_alu instid0(VALU_DEP_1)
	v_or3_b32 v18, v30, v18, v31
.LBB462_1430:                           ;   in Loop: Header=BB462_8 Depth=1
	s_or_b32 exec_lo, exec_lo, s19
.LBB462_1431:                           ;   in Loop: Header=BB462_8 Depth=1
	s_delay_alu instid0(SALU_CYCLE_1)
	s_or_b32 exec_lo, exec_lo, s18
.LBB462_1432:                           ;   in Loop: Header=BB462_8 Depth=1
	s_delay_alu instid0(SALU_CYCLE_1) | instskip(NEXT) | instid1(VALU_DEP_1)
	s_or_b32 exec_lo, exec_lo, s2
	v_mul_f32_e32 v18, v152, v18
	s_delay_alu instid0(VALU_DEP_1) | instskip(NEXT) | instid1(VALU_DEP_1)
	v_and_b32_e32 v30, 0x7f800000, v18
	v_cmp_ne_u32_e64 s1, 0x7f800000, v30
                                        ; implicit-def: $vgpr30
	s_delay_alu instid0(VALU_DEP_1) | instskip(NEXT) | instid1(SALU_CYCLE_1)
	s_and_saveexec_b32 s2, s1
	s_xor_b32 s1, exec_lo, s2
; %bb.1433:                             ;   in Loop: Header=BB462_8 Depth=1
	v_bfe_u32 v30, v18, 16, 1
	s_delay_alu instid0(VALU_DEP_1)
	v_add3_u32 v30, v18, v30, 0x7fff
                                        ; implicit-def: $vgpr18
; %bb.1434:                             ;   in Loop: Header=BB462_8 Depth=1
	s_and_not1_saveexec_b32 s2, s1
; %bb.1435:                             ;   in Loop: Header=BB462_8 Depth=1
	v_and_b32_e32 v30, 0xffff, v18
	v_or_b32_e32 v31, 0x10000, v18
	s_delay_alu instid0(VALU_DEP_2) | instskip(NEXT) | instid1(VALU_DEP_1)
	v_cmp_eq_u32_e64 s1, 0, v30
	v_cndmask_b32_e64 v30, v31, v18, s1
; %bb.1436:                             ;   in Loop: Header=BB462_8 Depth=1
	s_or_b32 exec_lo, exec_lo, s2
	v_mov_b32_e32 v18, 0
	s_mov_b32 s2, exec_lo
	v_cmpx_lt_u64_e64 s[8:9], v[28:29]
	s_cbranch_execz .LBB462_1444
; %bb.1437:                             ;   in Loop: Header=BB462_8 Depth=1
	v_lshrrev_b32_e32 v31, 24, v29
	v_bfrev_b32_e32 v18, 1
	s_mov_b32 s18, exec_lo
	s_delay_alu instid0(VALU_DEP_2)
	v_cmpx_ne_u32_e32 0x80, v31
	s_cbranch_execz .LBB462_1443
; %bb.1438:                             ;   in Loop: Header=BB462_8 Depth=1
	v_bfe_u32 v28, v29, 24, 7
	v_mov_b32_e32 v18, 0x7f800001
	s_mov_b32 s19, exec_lo
	s_delay_alu instid0(VALU_DEP_2)
	v_cmpx_ne_u32_e32 0x7f, v28
	s_cbranch_execz .LBB462_1442
; %bb.1439:                             ;   in Loop: Header=BB462_8 Depth=1
	v_and_b32_e32 v18, 7, v31
	v_lshrrev_b32_e32 v41, 3, v28
	v_cmp_gt_u32_e64 s1, 8, v28
	s_delay_alu instid0(VALU_DEP_3) | instskip(NEXT) | instid1(VALU_DEP_2)
	v_dual_mov_b32 v29, v19 :: v_dual_mov_b32 v28, v18
	s_and_saveexec_b32 s20, s1
; %bb.1440:                             ;   in Loop: Header=BB462_8 Depth=1
	v_clz_i32_u32_e32 v28, v18
	s_delay_alu instid0(VALU_DEP_1) | instskip(NEXT) | instid1(VALU_DEP_1)
	v_min_u32_e32 v41, 32, v28
	v_subrev_nc_u32_e32 v28, 28, v41
	v_sub_nc_u32_e32 v41, 29, v41
	s_delay_alu instid0(VALU_DEP_2) | instskip(NEXT) | instid1(VALU_DEP_1)
	v_lshlrev_b64 v[28:29], v28, v[18:19]
	v_and_b32_e32 v28, 7, v28
; %bb.1441:                             ;   in Loop: Header=BB462_8 Depth=1
	s_or_b32 exec_lo, exec_lo, s20
	v_lshlrev_b32_e32 v18, 24, v31
	s_delay_alu instid0(VALU_DEP_2) | instskip(SKIP_1) | instid1(VALU_DEP_3)
	v_lshlrev_b32_e32 v28, 20, v28
	v_lshl_add_u32 v29, v41, 23, 0x3c000000
	v_and_b32_e32 v18, 0x80000000, v18
	s_delay_alu instid0(VALU_DEP_1)
	v_or3_b32 v18, v28, v18, v29
.LBB462_1442:                           ;   in Loop: Header=BB462_8 Depth=1
	s_or_b32 exec_lo, exec_lo, s19
.LBB462_1443:                           ;   in Loop: Header=BB462_8 Depth=1
	s_delay_alu instid0(SALU_CYCLE_1)
	s_or_b32 exec_lo, exec_lo, s18
.LBB462_1444:                           ;   in Loop: Header=BB462_8 Depth=1
	s_delay_alu instid0(SALU_CYCLE_1) | instskip(NEXT) | instid1(VALU_DEP_1)
	s_or_b32 exec_lo, exec_lo, s2
	v_mul_f32_e32 v28, v152, v18
	s_delay_alu instid0(VALU_DEP_1) | instskip(NEXT) | instid1(VALU_DEP_1)
	v_and_b32_e32 v18, 0x7f800000, v28
	v_cmp_ne_u32_e64 s1, 0x7f800000, v18
                                        ; implicit-def: $vgpr18
	s_delay_alu instid0(VALU_DEP_1) | instskip(NEXT) | instid1(SALU_CYCLE_1)
	s_and_saveexec_b32 s2, s1
	s_xor_b32 s1, exec_lo, s2
; %bb.1445:                             ;   in Loop: Header=BB462_8 Depth=1
	v_bfe_u32 v18, v28, 16, 1
	s_delay_alu instid0(VALU_DEP_1)
	v_add3_u32 v18, v28, v18, 0x7fff
                                        ; implicit-def: $vgpr28
; %bb.1446:                             ;   in Loop: Header=BB462_8 Depth=1
	s_and_not1_saveexec_b32 s2, s1
	s_cbranch_execz .LBB462_7
; %bb.1447:                             ;   in Loop: Header=BB462_8 Depth=1
	v_and_b32_e32 v18, 0xffff, v28
	v_or_b32_e32 v29, 0x10000, v28
	s_delay_alu instid0(VALU_DEP_2) | instskip(NEXT) | instid1(VALU_DEP_1)
	v_cmp_eq_u32_e64 s1, 0, v18
	v_cndmask_b32_e64 v18, v29, v28, s1
	s_branch .LBB462_7
.LBB462_1448:
	s_or_b32 exec_lo, exec_lo, s11
	s_clause 0xe
	scratch_load_b32 v12, off, s32 offset:628
	scratch_load_b32 v15, off, s32 offset:632
	;; [unrolled: 1-line block ×3, first 2 shown]
	scratch_load_b64 v[26:27], off, s32 offset:640
	scratch_load_b32 v11, off, s32 offset:648
	scratch_load_b32 v10, off, s32 offset:652
	;; [unrolled: 1-line block ×7, first 2 shown]
	scratch_load_b64 v[52:53], off, s32 offset:676
	scratch_load_b32 v23, off, s32 offset:684
	scratch_load_b32 v35, off, s32 offset:688
	;; [unrolled: 1-line block ×3, first 2 shown]
.LBB462_1449:
	s_or_b32 exec_lo, exec_lo, s15
	v_mbcnt_lo_u32_b32 v0, -1, 0
	s_lshr_b32 s8, s13, 16
	s_delay_alu instid0(VALU_DEP_1) | instskip(SKIP_2) | instid1(VALU_DEP_3)
	v_xor_b32_e32 v1, 16, v0
	v_xor_b32_e32 v3, 8, v0
	v_xor_b32_e32 v5, 4, v0
	v_cmp_gt_i32_e32 vcc_lo, 32, v1
	v_cndmask_b32_e32 v1, v0, v1, vcc_lo
	s_delay_alu instid0(VALU_DEP_4) | instskip(NEXT) | instid1(VALU_DEP_2)
	v_cmp_gt_i32_e32 vcc_lo, 32, v3
	v_dual_cndmask_b32 v3, v0, v3 :: v_dual_lshlrev_b32 v2, 2, v1
	v_cmp_gt_i32_e32 vcc_lo, 32, v5
	ds_bpermute_b32 v1, v2, v136
	v_dual_max_f32 v4, v136, v136 :: v_dual_lshlrev_b32 v3, 2, v3
	v_cndmask_b32_e32 v5, v0, v5, vcc_lo
	s_waitcnt lgkmcnt(0)
	v_max_f32_e32 v1, v1, v1
	s_delay_alu instid0(VALU_DEP_1) | instskip(SKIP_3) | instid1(VALU_DEP_1)
	v_max_f32_e32 v1, v4, v1
	ds_bpermute_b32 v4, v3, v1
	s_waitcnt lgkmcnt(0)
	v_max_f32_e32 v6, v4, v4
	v_dual_max_f32 v1, v1, v6 :: v_dual_lshlrev_b32 v4, 2, v5
	v_xor_b32_e32 v6, 2, v0
	ds_bpermute_b32 v5, v4, v1
	v_cmp_gt_i32_e32 vcc_lo, 32, v6
	s_waitcnt lgkmcnt(0)
	v_dual_cndmask_b32 v6, v0, v6 :: v_dual_max_f32 v5, v5, v5
	s_delay_alu instid0(VALU_DEP_1) | instskip(NEXT) | instid1(VALU_DEP_2)
	v_max_f32_e32 v1, v1, v5
	v_lshlrev_b32_e32 v19, 2, v6
	v_xor_b32_e32 v6, 1, v0
	s_delay_alu instid0(VALU_DEP_1) | instskip(SKIP_4) | instid1(VALU_DEP_1)
	v_cmp_gt_i32_e32 vcc_lo, 32, v6
	v_cndmask_b32_e32 v6, v0, v6, vcc_lo
	ds_bpermute_b32 v5, v19, v1
	s_waitcnt lgkmcnt(0)
	v_dual_max_f32 v5, v5, v5 :: v_dual_lshlrev_b32 v18, 2, v6
	v_max_f32_e32 v0, v1, v5
	scratch_load_b32 v5, off, s32 offset:612 ; 4-byte Folded Reload
	ds_bpermute_b32 v1, v18, v0
	s_waitcnt vmcnt(0)
	v_cmp_eq_u32_e32 vcc_lo, 0, v5
	scratch_load_b32 v5, off, s32 offset:616 ; 4-byte Folded Reload
	s_waitcnt vmcnt(0)
	v_lshlrev_b32_e32 v5, 2, v5
	s_and_saveexec_b32 s1, vcc_lo
	s_cbranch_execz .LBB462_1451
; %bb.1450:
	s_waitcnt lgkmcnt(0)
	v_dual_max_f32 v1, v1, v1 :: v_dual_max_f32 v0, v0, v0
	s_delay_alu instid0(VALU_DEP_1)
	v_max_f32_e32 v0, v0, v1
	ds_store_b32 v5, v0 offset:240
.LBB462_1451:
	s_or_b32 exec_lo, exec_lo, s1
	scratch_load_b32 v0, off, s32 offset:612 ; 4-byte Folded Reload
	s_waitcnt vmcnt(0) lgkmcnt(0)
	s_waitcnt_vscnt null, 0x0
	s_barrier
	buffer_gl0_inv
	v_cmp_gt_u32_e64 s1, 4, v0
	v_mov_b32_e32 v0, 0xff7fffff
	s_delay_alu instid0(VALU_DEP_2)
	s_and_saveexec_b32 s2, s1
	s_cbranch_execz .LBB462_1453
; %bb.1452:
	ds_load_b32 v0, v20 offset:240
.LBB462_1453:
	s_or_b32 exec_lo, exec_lo, s2
	s_waitcnt lgkmcnt(0)
	ds_bpermute_b32 v1, v19, v0
	v_max_f32_e32 v0, v0, v0
	v_subrev_nc_u32_e32 v7, s3, v37
	s_waitcnt lgkmcnt(0)
	v_dual_mov_b32 v6, 0 :: v_dual_max_f32 v1, v1, v1
	s_delay_alu instid0(VALU_DEP_1) | instskip(SKIP_3) | instid1(VALU_DEP_1)
	v_max_f32_e32 v0, v0, v1
	ds_bpermute_b32 v1, v18, v0
	s_waitcnt lgkmcnt(0)
	v_max_f32_e32 v1, v1, v1
	v_max_f32_e32 v0, v0, v1
	v_lshl_add_u32 v1, v7, 5, s17
	ds_bpermute_b32 v0, v6, v0
	v_min_i32_e32 v1, v1, v36
	s_delay_alu instid0(VALU_DEP_1) | instskip(NEXT) | instid1(VALU_DEP_1)
	v_subrev_nc_u32_e32 v1, s17, v1
	v_cmp_lt_i32_e64 s2, v12, v1
	s_delay_alu instid0(VALU_DEP_1)
	s_and_saveexec_b32 s9, s2
	s_cbranch_execz .LBB462_1457
; %bb.1454:
	s_getpc_b64 s[18:19]
	s_add_u32 s18, s18, llvm.amdgcn.dynlds.offset.table@rel32@lo+4
	s_addc_u32 s19, s19, llvm.amdgcn.dynlds.offset.table@rel32@hi+12
	s_ashr_i32 s11, s10, 31
	v_mov_b32_e32 v6, 0
	s_lshl_b64 s[20:21], s[10:11], 2
	v_mov_b32_e32 v8, v12
	s_add_u32 s18, s20, s18
	s_addc_u32 s19, s21, s19
	s_mov_b32 s11, 0
	s_load_b32 s3, s[18:19], 0x0
	s_waitcnt lgkmcnt(0)
	v_lshl_add_u32 v7, v12, 2, s3
	.p2align	6
.LBB462_1455:                           ; =>This Inner Loop Header: Depth=1
	ds_load_b32 v9, v7
	v_add_nc_u32_e32 v8, 0x80, v8
	s_delay_alu instid0(VALU_DEP_1) | instskip(NEXT) | instid1(VALU_DEP_1)
	v_cmp_ge_i32_e64 s3, v8, v1
	s_or_b32 s11, s3, s11
	s_waitcnt lgkmcnt(0)
	v_sub_f32_e32 v9, v9, v0
	s_delay_alu instid0(VALU_DEP_1) | instskip(NEXT) | instid1(VALU_DEP_1)
	v_mul_f32_e32 v9, 0x3fb8aa3b, v9
	v_exp_f32_e32 v9, v9
	ds_store_b32 v7, v9
	v_dual_add_f32 v6, v6, v9 :: v_dual_add_nc_u32 v7, 0x200, v7
	s_and_not1_b32 exec_lo, exec_lo, s11
	s_cbranch_execnz .LBB462_1455
; %bb.1456:
	s_or_b32 exec_lo, exec_lo, s11
.LBB462_1457:
	s_delay_alu instid0(SALU_CYCLE_1)
	s_or_b32 exec_lo, exec_lo, s9
	ds_bpermute_b32 v2, v2, v6
	s_waitcnt lgkmcnt(0)
	v_add_f32_e32 v2, v6, v2
	ds_bpermute_b32 v3, v3, v2
	s_waitcnt lgkmcnt(0)
	v_add_f32_e32 v2, v2, v3
	;; [unrolled: 3-line block ×5, first 2 shown]
	s_and_saveexec_b32 s3, vcc_lo
	s_cbranch_execz .LBB462_1459
; %bb.1458:
	ds_store_b32 v5, v2 offset:256
.LBB462_1459:
	s_or_b32 exec_lo, exec_lo, s3
	s_waitcnt lgkmcnt(0)
	s_barrier
	buffer_gl0_inv
	s_and_saveexec_b32 s3, s1
	s_cbranch_execz .LBB462_1461
; %bb.1460:
	ds_load_b32 v2, v20 offset:256
.LBB462_1461:
	s_or_b32 exec_lo, exec_lo, s3
	s_waitcnt lgkmcnt(0)
	ds_bpermute_b32 v3, v19, v2
	s_waitcnt lgkmcnt(0)
	v_add_f32_e32 v2, v2, v3
	ds_bpermute_b32 v3, v18, v2
	s_waitcnt lgkmcnt(0)
	v_dual_add_f32 v2, v2, v3 :: v_dual_mov_b32 v3, 0
	ds_bpermute_b32 v2, v3, v2
	s_and_saveexec_b32 s1, s2
	s_cbranch_execz .LBB462_1464
; %bb.1462:
	s_waitcnt lgkmcnt(0)
	v_add_f32_e32 v4, 0x358637bd, v2
	s_getpc_b64 s[2:3]
	s_add_u32 s2, s2, llvm.amdgcn.dynlds.offset.table@rel32@lo+4
	s_addc_u32 s3, s3, llvm.amdgcn.dynlds.offset.table@rel32@hi+12
	s_ashr_i32 s11, s10, 31
	s_delay_alu instid0(SALU_CYCLE_1) | instskip(SKIP_4) | instid1(VALU_DEP_1)
	s_lshl_b64 s[18:19], s[10:11], 2
	v_div_scale_f32 v3, null, v4, v4, 1.0
	s_add_u32 s2, s18, s2
	s_addc_u32 s3, s19, s3
	s_load_b32 s2, s[2:3], 0x0
	v_rcp_f32_e32 v5, v3
	s_waitcnt_depctr 0xfff
	v_fma_f32 v6, -v3, v5, 1.0
	s_delay_alu instid0(VALU_DEP_1) | instskip(SKIP_1) | instid1(VALU_DEP_1)
	v_fmac_f32_e32 v5, v6, v5
	v_div_scale_f32 v7, vcc_lo, 1.0, v4, 1.0
	v_mul_f32_e32 v6, v7, v5
	s_delay_alu instid0(VALU_DEP_1) | instskip(NEXT) | instid1(VALU_DEP_1)
	v_fma_f32 v8, -v3, v6, v7
	v_fmac_f32_e32 v6, v8, v5
	s_delay_alu instid0(VALU_DEP_1) | instskip(NEXT) | instid1(VALU_DEP_1)
	v_fma_f32 v3, -v3, v6, v7
	v_div_fmas_f32 v5, v3, v5, v6
	s_waitcnt lgkmcnt(0)
	v_lshl_add_u32 v3, v12, 2, s2
	s_mov_b32 s2, 0
	s_delay_alu instid0(VALU_DEP_2)
	v_div_fixup_f32 v4, v5, v4, 1.0
	v_mov_b32_e32 v5, v12
.LBB462_1463:                           ; =>This Inner Loop Header: Depth=1
	ds_load_b32 v6, v3
	s_waitcnt lgkmcnt(0)
	v_dual_mul_f32 v6, v4, v6 :: v_dual_add_nc_u32 v5, 0x80, v5
	s_delay_alu instid0(VALU_DEP_1) | instskip(SKIP_3) | instid1(SALU_CYCLE_1)
	v_cmp_ge_i32_e32 vcc_lo, v5, v1
	ds_store_b32 v3, v6
	v_add_nc_u32_e32 v3, 0x200, v3
	s_or_b32 s2, vcc_lo, s2
	s_and_not1_b32 exec_lo, exec_lo, s2
	s_cbranch_execnz .LBB462_1463
.LBB462_1464:
	s_or_b32 exec_lo, exec_lo, s1
	v_cmp_ne_u16_e64 s1, s8, 0
	s_mov_b32 s2, exec_lo
	s_waitcnt lgkmcnt(0)
	s_barrier
	buffer_gl0_inv
	s_cmp_lg_u32 s1, 0
	s_addc_u32 s1, s7, 0
	v_cmpx_eq_u32_e32 0, v12
	s_cbranch_execz .LBB462_1466
; %bb.1465:
	s_mul_i32 s3, s1, s4
	s_mul_i32 s8, s1, s12
	;; [unrolled: 1-line block ×3, first 2 shown]
	s_ashr_i32 s9, s8, 31
	s_ashr_i32 s15, s14, 31
	;; [unrolled: 1-line block ×3, first 2 shown]
	s_lshl_b64 s[8:9], s[8:9], 2
	s_lshl_b64 s[18:19], s[14:15], 2
	;; [unrolled: 1-line block ×3, first 2 shown]
	s_add_u32 s3, s18, s8
	s_addc_u32 s7, s19, s9
	s_add_u32 s3, s3, s12
	s_addc_u32 s7, s7, s13
	v_add_co_u32 v3, vcc_lo, s3, v32
	v_add_co_ci_u32_e32 v4, vcc_lo, s7, v30, vcc_lo
	v_add_co_u32 v5, vcc_lo, s3, v29
	v_add_co_ci_u32_e32 v6, vcc_lo, s7, v28, vcc_lo
	flat_store_b32 v[3:4], v0
	flat_store_b32 v[5:6], v2
.LBB462_1466:
	s_or_b32 exec_lo, exec_lo, s2
                                        ; implicit-def: $sgpr2
	s_and_saveexec_b32 s3, s0
	s_delay_alu instid0(SALU_CYCLE_1)
	s_xor_b32 s0, exec_lo, s3
; %bb.1467:
	s_ashr_i32 s11, s10, 31
	s_mov_b32 s2, 0
                                        ; implicit-def: $vgpr36
                                        ; implicit-def: $vgpr34
                                        ; implicit-def: $vgpr37
                                        ; implicit-def: $vgpr16
                                        ; implicit-def: $vgpr10
                                        ; implicit-def: $vgpr11
                                        ; implicit-def: $vgpr14
                                        ; implicit-def: $vgpr15
                                        ; implicit-def: $vgpr22
                                        ; implicit-def: $vgpr26_vgpr27
                                        ; implicit-def: $vgpr23
                                        ; implicit-def: $vgpr35
                                        ; implicit-def: $vgpr52_vgpr53
; %bb.1468:
	s_or_saveexec_b32 s7, s0
	v_dual_mov_b32 v0, s10 :: v_dual_mov_b32 v155, v12
	v_dual_mov_b32 v48, s2 :: v_dual_mov_b32 v1, s11
	v_dual_mov_b32 v51, s2 :: v_dual_and_b32 v20, 3, v12
	v_dual_mov_b32 v50, s2 :: v_dual_mov_b32 v49, s2
	v_dual_mov_b32 v39, s2 :: v_dual_mov_b32 v38, s2
	;; [unrolled: 1-line block ×6, first 2 shown]
	v_mov_b32_e32 v21, s2
	s_xor_b32 exec_lo, exec_lo, s7
	s_cbranch_execz .LBB462_3454
; %bb.1469:
	v_dual_mov_b32 v21, 0 :: v_dual_lshlrev_b32 v0, 3, v155
	v_add_co_u32 v3, vcc_lo, v10, v23
	v_add_co_ci_u32_e32 v4, vcc_lo, v11, v35, vcc_lo
	s_delay_alu instid0(VALU_DEP_3)
	v_dual_mov_b32 v10, 0 :: v_dual_and_b32 v5, 0xf8, v0
	flat_load_b32 v26, v[26:27]
	s_getpc_b64 s[2:3]
	s_add_u32 s2, s2, llvm.amdgcn.dynlds.offset.table@rel32@lo+4
	s_addc_u32 s3, s3, llvm.amdgcn.dynlds.offset.table@rel32@hi+12
	s_ashr_i32 s11, s10, 31
	v_add_co_u32 v11, vcc_lo, v3, v5
	scratch_load_b32 v5, off, s32 offset:616 ; 4-byte Folded Reload
	s_lshl_b64 s[8:9], s[10:11], 2
	v_dual_mov_b32 v25, 0 :: v_dual_and_b32 v2, 24, v0
	s_add_u32 s2, s8, s2
	s_addc_u32 s3, s9, s3
	v_lshlrev_b64 v[0:1], 2, v[16:17]
	s_load_b32 s0, s[2:3], 0x0
	v_dual_mov_b32 v28, 0 :: v_dual_lshlrev_b32 v3, 5, v20
	v_add_co_ci_u32_e32 v12, vcc_lo, 0, v4, vcc_lo
	s_delay_alu instid0(VALU_DEP_3) | instskip(NEXT) | instid1(VALU_DEP_4)
	v_add_co_u32 v0, vcc_lo, v52, v0
	v_add_co_ci_u32_e32 v1, vcc_lo, v53, v1, vcc_lo
	v_dual_mov_b32 v24, 0 :: v_dual_add_nc_u32 v27, -1, v34
	s_delay_alu instid0(VALU_DEP_3) | instskip(NEXT) | instid1(VALU_DEP_3)
	v_add_co_u32 v13, vcc_lo, v14, v0
	v_add_co_ci_u32_e32 v14, vcc_lo, v15, v1, vcc_lo
	v_dual_mov_b32 v29, 0 :: v_dual_mov_b32 v32, 0
	v_dual_mov_b32 v31, 0 :: v_dual_mov_b32 v38, 0
	;; [unrolled: 1-line block ×4, first 2 shown]
	v_mov_b32_e32 v49, 0
	v_mov_b32_e32 v51, 0
	s_mov_b32 s2, -1
	s_mov_b32 s3, 0xffffff
	s_mov_b32 s8, 0
	v_mov_b32_e32 v30, 0
	s_waitcnt vmcnt(0)
	v_lshl_add_u32 v4, v5, 5, s17
	v_lshl_or_b32 v3, v5, 7, v3
	s_delay_alu instid0(VALU_DEP_2) | instskip(SKIP_1) | instid1(VALU_DEP_2)
	v_add3_u32 v15, v4, v2, 7
	s_waitcnt lgkmcnt(0)
	v_add_nc_u32_e32 v17, s0, v3
	s_branch .LBB462_1471
.LBB462_1470:                           ;   in Loop: Header=BB462_1471 Depth=1
	s_or_b32 exec_lo, exec_lo, s0
	v_and_b32_e32 v81, 0xffff0000, v127
	v_and_b32_e32 v80, 0xffff0000, v125
	;; [unrolled: 1-line block ×10, first 2 shown]
	v_add_f32_e32 v6, v6, v7
	v_dual_add_f32 v7, v80, v71 :: v_dual_and_b32 v70, 0xffff0000, v136
	v_and_b32_e32 v83, 0xffff0000, v138
	v_and_b32_e32 v35, 0xffff0000, v35
	;; [unrolled: 1-line block ×4, first 2 shown]
	v_add_f32_e32 v6, v6, v7
	v_and_b32_e32 v80, 0xffff0000, v110
	v_add_f32_e32 v7, v81, v70
	v_and_b32_e32 v71, 0xffff0000, v120
	v_dual_add_f32 v4, v4, v5 :: v_dual_and_b32 v23, 0xffff0000, v23
	s_delay_alu instid0(VALU_DEP_4) | instskip(NEXT) | instid1(VALU_DEP_4)
	v_add_f32_e32 v80, v84, v80
	v_dual_add_f32 v6, v6, v7 :: v_dual_and_b32 v81, 0xffff0000, v121
	v_and_b32_e32 v84, 0xffff0000, v93
	v_and_b32_e32 v70, 0xffff0000, v122
	;; [unrolled: 1-line block ×6, first 2 shown]
	v_add_f32_e32 v70, v81, v70
	v_dual_add_f32 v71, v85, v71 :: v_dual_and_b32 v82, 0xffff0000, v137
	v_and_b32_e32 v54, 0xffff0000, v54
	v_and_b32_e32 v53, 0xffff0000, v53
	s_delay_alu instid0(VALU_DEP_3) | instskip(NEXT) | instid1(VALU_DEP_4)
	v_dual_add_f32 v71, v80, v71 :: v_dual_and_b32 v8, 0xffff0000, v8
	v_add_f32_e32 v7, v82, v83
	v_and_b32_e32 v83, 0xffff0000, v94
	v_and_b32_e32 v55, 0xffff0000, v55
	v_add_nc_u32_e32 v16, 4, v16
	v_add_co_u32 v13, s0, v13, 16
	v_dual_add_f32 v6, v6, v7 :: v_dual_add_f32 v7, v71, v70
	v_and_b32_e32 v71, 0xffff0000, v106
	v_dual_add_f32 v83, v84, v83 :: v_dual_add_f32 v84, v97, v96
	v_and_b32_e32 v82, 0xffff0000, v123
	v_and_b32_e32 v96, 0xffff0000, v89
	v_and_b32_e32 v81, 0xffff0000, v104
	v_and_b32_e32 v80, 0xffff0000, v124
	v_dual_add_f32 v24, v24, v6 :: v_dual_and_b32 v87, 0xffff0000, v88
	v_cmp_ge_i32_e32 vcc_lo, v16, v37
	v_add_co_ci_u32_e64 v14, s0, 0, v14, s0
	s_delay_alu instid0(VALU_DEP_4) | instskip(SKIP_2) | instid1(VALU_DEP_3)
	v_add_f32_e32 v70, v82, v80
	v_and_b32_e32 v82, 0xffff0000, v95
	v_dual_add_f32 v87, v77, v87 :: v_dual_and_b32 v80, 0xffff0000, v105
	v_dual_add_f32 v7, v7, v70 :: v_dual_and_b32 v86, 0xffff0000, v108
	s_delay_alu instid0(VALU_DEP_3) | instskip(NEXT) | instid1(VALU_DEP_3)
	v_add_f32_e32 v81, v82, v81
	v_add_f32_e32 v71, v80, v71
	v_add_nc_u32_e32 v15, 0x80, v15
	v_add_nc_u32_e32 v17, 0x200, v17
	v_add_f32_e32 v25, v25, v7
	v_add_f32_e32 v81, v83, v81
	;; [unrolled: 1-line block ×3, first 2 shown]
	v_and_b32_e32 v80, 0xffff0000, v91
	v_and_b32_e32 v84, 0xffff0000, v92
	;; [unrolled: 1-line block ×3, first 2 shown]
	v_add_f32_e32 v70, v81, v71
	v_and_b32_e32 v87, 0xffff0000, v47
	s_or_b32 s8, vcc_lo, s8
	v_add_f32_e32 v80, v80, v84
	v_and_b32_e32 v82, 0xffff0000, v90
	v_dual_add_f32 v71, v85, v86 :: v_dual_and_b32 v84, 0xffff0000, v75
	v_dual_add_f32 v5, v23, v35 :: v_dual_and_b32 v86, 0xffff0000, v45
	s_delay_alu instid0(VALU_DEP_3) | instskip(NEXT) | instid1(VALU_DEP_3)
	v_add_f32_e32 v82, v96, v82
	v_dual_add_f32 v6, v70, v71 :: v_dual_and_b32 v85, 0xffff0000, v76
	v_and_b32_e32 v35, 0xffff0000, v181
	v_and_b32_e32 v34, 0xffff0000, v34
	s_delay_alu instid0(VALU_DEP_4) | instskip(SKIP_2) | instid1(VALU_DEP_3)
	v_add_f32_e32 v81, v83, v82
	v_and_b32_e32 v83, 0xffff0000, v73
	v_dual_add_f32 v28, v28, v6 :: v_dual_and_b32 v71, 0xffff0000, v72
	v_dual_add_f32 v7, v81, v80 :: v_dual_and_b32 v82, 0xffff0000, v63
	v_and_b32_e32 v80, 0xffff0000, v62
	v_dual_add_f32 v4, v4, v5 :: v_dual_and_b32 v23, 0xffff0000, v178
	s_delay_alu instid0(VALU_DEP_3) | instskip(NEXT) | instid1(VALU_DEP_4)
	v_dual_add_f32 v71, v82, v71 :: v_dual_and_b32 v82, 0xffff0000, v46
	v_add_f32_e32 v29, v29, v7
	v_and_b32_e32 v81, 0xffff0000, v61
	v_dual_add_f32 v0, v0, v1 :: v_dual_add_f32 v1, v2, v3
	s_delay_alu instid0(VALU_DEP_4) | instskip(SKIP_1) | instid1(VALU_DEP_4)
	v_add_f32_e32 v82, v86, v82
	v_and_b32_e32 v2, 0xffff0000, v9
	v_add_f32_e32 v80, v81, v80
	v_and_b32_e32 v70, 0xffff0000, v74
	v_and_b32_e32 v52, 0xffff0000, v52
	v_dual_add_f32 v0, v0, v1 :: v_dual_and_b32 v9, 0xffff0000, v68
	s_delay_alu instid0(VALU_DEP_3) | instskip(SKIP_1) | instid1(VALU_DEP_4)
	v_dual_add_f32 v71, v80, v71 :: v_dual_add_f32 v70, v83, v70
	v_and_b32_e32 v80, 0xffff0000, v58
	v_dual_add_f32 v8, v8, v52 :: v_dual_and_b32 v83, 0xffff0000, v57
	v_add_f32_e32 v52, v53, v54
	s_delay_alu instid0(VALU_DEP_4) | instskip(NEXT) | instid1(VALU_DEP_3)
	v_dual_add_f32 v70, v71, v70 :: v_dual_and_b32 v81, 0xffff0000, v56
	v_dual_add_f32 v80, v83, v80 :: v_dual_and_b32 v53, 0xffff0000, v67
	s_delay_alu instid0(VALU_DEP_3) | instskip(NEXT) | instid1(VALU_DEP_3)
	v_add_f32_e32 v3, v8, v52
	v_add_f32_e32 v81, v87, v81
	s_delay_alu instid0(VALU_DEP_3) | instskip(SKIP_1) | instid1(VALU_DEP_3)
	v_add_f32_e32 v1, v2, v53
	v_and_b32_e32 v2, 0xffff0000, v69
	v_add_f32_e32 v81, v82, v81
	v_dual_add_f32 v71, v84, v85 :: v_dual_and_b32 v84, 0xffff0000, v59
	v_and_b32_e32 v82, 0xffff0000, v60
	s_delay_alu instid0(VALU_DEP_3) | instskip(NEXT) | instid1(VALU_DEP_3)
	v_dual_add_f32 v0, v0, v1 :: v_dual_add_f32 v7, v81, v80
	v_dual_add_f32 v6, v70, v71 :: v_dual_and_b32 v71, 0xffff0000, v40
	s_delay_alu instid0(VALU_DEP_3) | instskip(SKIP_1) | instid1(VALU_DEP_3)
	v_add_f32_e32 v70, v84, v82
	v_and_b32_e32 v80, 0xffff0000, v182
	v_dual_add_f32 v30, v30, v6 :: v_dual_and_b32 v81, 0xffff0000, v183
	v_add_f32_e32 v1, v9, v2
	s_delay_alu instid0(VALU_DEP_4) | instskip(NEXT) | instid1(VALU_DEP_4)
	v_add_f32_e32 v6, v7, v70
	v_dual_add_f32 v34, v34, v80 :: v_dual_and_b32 v7, 0xffff0000, v42
	s_delay_alu instid0(VALU_DEP_4) | instskip(NEXT) | instid1(VALU_DEP_3)
	v_dual_add_f32 v70, v81, v71 :: v_dual_and_b32 v71, 0xffff0000, v41
	v_add_f32_e32 v31, v31, v6
	v_dual_add_f32 v0, v0, v1 :: v_dual_and_b32 v81, 0xffff0000, v132
	s_delay_alu instid0(VALU_DEP_3) | instskip(NEXT) | instid1(VALU_DEP_2)
	v_dual_add_f32 v34, v34, v70 :: v_dual_add_f32 v7, v71, v7
	v_add_f32_e32 v21, v21, v0
	s_delay_alu instid0(VALU_DEP_2) | instskip(SKIP_1) | instid1(VALU_DEP_1)
	v_add_f32_e32 v7, v34, v7
	v_and_b32_e32 v34, 0xffff0000, v179
	v_dual_add_f32 v5, v23, v34 :: v_dual_and_b32 v6, 0xffff0000, v43
	v_and_b32_e32 v23, 0xffff0000, v165
	v_and_b32_e32 v71, 0xffff0000, v164
	;; [unrolled: 1-line block ×3, first 2 shown]
	s_delay_alu instid0(VALU_DEP_4) | instskip(NEXT) | instid1(VALU_DEP_3)
	v_add_f32_e32 v4, v4, v5
	v_dual_add_f32 v23, v71, v23 :: v_dual_and_b32 v80, 0xffff0000, v44
	v_and_b32_e32 v71, 0xffff0000, v177
	v_and_b32_e32 v70, 0xffff0000, v162
	s_delay_alu instid0(VALU_DEP_3) | instskip(SKIP_1) | instid1(VALU_DEP_3)
	v_add_f32_e32 v6, v6, v80
	v_and_b32_e32 v80, 0xffff0000, v130
	v_add_f32_e32 v34, v70, v34
	s_delay_alu instid0(VALU_DEP_3) | instskip(NEXT) | instid1(VALU_DEP_1)
	v_dual_add_f32 v6, v7, v6 :: v_dual_and_b32 v7, 0xffff0000, v180
	v_dual_add_f32 v32, v32, v6 :: v_dual_add_f32 v5, v7, v35
	v_and_b32_e32 v7, 0xffff0000, v167
	s_delay_alu instid0(VALU_DEP_4) | instskip(SKIP_1) | instid1(VALU_DEP_2)
	v_dual_add_f32 v6, v34, v23 :: v_dual_and_b32 v35, 0xffff0000, v166
	v_and_b32_e32 v34, 0xffff0000, v147
	v_dual_add_f32 v4, v4, v5 :: v_dual_add_f32 v7, v35, v7
	v_and_b32_e32 v35, 0xffff0000, v146
	v_and_b32_e32 v23, 0xffff0000, v149
	v_and_b32_e32 v5, 0xffff0000, v176
	s_delay_alu instid0(VALU_DEP_4) | instskip(NEXT) | instid1(VALU_DEP_4)
	v_dual_add_f32 v33, v33, v4 :: v_dual_add_f32 v6, v6, v7
	v_add_f32_e32 v34, v35, v34
	v_and_b32_e32 v70, 0xffff0000, v148
	s_delay_alu instid0(VALU_DEP_1) | instskip(NEXT) | instid1(VALU_DEP_1)
	v_dual_add_f32 v23, v70, v23 :: v_dual_and_b32 v70, 0xffff0000, v160
	v_dual_add_f32 v23, v34, v23 :: v_dual_and_b32 v34, 0xffff0000, v133
	s_delay_alu instid0(VALU_DEP_1) | instskip(SKIP_2) | instid1(VALU_DEP_2)
	v_add_f32_e32 v34, v81, v34
	v_add_f32_e32 v5, v5, v71
	v_and_b32_e32 v7, 0xffff0000, v151
	v_add_f32_e32 v5, v6, v5
	s_delay_alu instid0(VALU_DEP_1) | instskip(NEXT) | instid1(VALU_DEP_1)
	v_dual_add_f32 v38, v38, v5 :: v_dual_and_b32 v35, 0xffff0000, v150
	v_add_f32_e32 v7, v35, v7
	v_and_b32_e32 v35, 0xffff0000, v131
	v_and_b32_e32 v5, 0xffff0000, v144
	s_delay_alu instid0(VALU_DEP_3) | instskip(NEXT) | instid1(VALU_DEP_3)
	v_add_f32_e32 v7, v23, v7
	v_add_f32_e32 v35, v80, v35
	s_delay_alu instid0(VALU_DEP_1) | instskip(SKIP_3) | instid1(VALU_DEP_2)
	v_add_f32_e32 v4, v35, v34
	v_and_b32_e32 v34, 0xffff0000, v114
	v_and_b32_e32 v71, 0xffff0000, v161
	;; [unrolled: 1-line block ×3, first 2 shown]
	v_add_f32_e32 v23, v70, v71
	s_delay_alu instid0(VALU_DEP_1) | instskip(SKIP_2) | instid1(VALU_DEP_3)
	v_add_f32_e32 v6, v7, v23
	v_and_b32_e32 v70, 0xffff0000, v135
	v_and_b32_e32 v23, 0xffff0000, v115
	v_dual_add_f32 v39, v39, v6 :: v_dual_and_b32 v6, 0xffff0000, v145
	s_delay_alu instid0(VALU_DEP_2) | instskip(NEXT) | instid1(VALU_DEP_2)
	v_dual_add_f32 v23, v34, v23 :: v_dual_and_b32 v34, 0xffff0000, v101
	v_dual_add_f32 v5, v5, v6 :: v_dual_and_b32 v6, 0xffff0000, v119
	v_and_b32_e32 v71, 0xffff0000, v134
	s_delay_alu instid0(VALU_DEP_1) | instskip(SKIP_1) | instid1(VALU_DEP_2)
	v_add_f32_e32 v7, v71, v70
	v_and_b32_e32 v70, 0xffff0000, v118
	v_dual_add_f32 v4, v4, v7 :: v_dual_and_b32 v71, 0xffff0000, v98
	s_delay_alu instid0(VALU_DEP_2) | instskip(SKIP_1) | instid1(VALU_DEP_2)
	v_dual_add_f32 v6, v70, v6 :: v_dual_and_b32 v7, 0xffff0000, v117
	v_and_b32_e32 v70, 0xffff0000, v129
	v_dual_add_f32 v4, v4, v5 :: v_dual_add_f32 v7, v35, v7
	v_and_b32_e32 v35, 0xffff0000, v99
	v_and_b32_e32 v80, 0xffff0000, v100
	s_delay_alu instid0(VALU_DEP_3) | instskip(NEXT) | instid1(VALU_DEP_4)
	v_add_f32_e32 v49, v49, v4
	v_add_f32_e32 v7, v23, v7
	v_and_b32_e32 v23, 0xffff0000, v103
	s_delay_alu instid0(VALU_DEP_4) | instskip(NEXT) | instid1(VALU_DEP_3)
	v_dual_add_f32 v35, v71, v35 :: v_dual_add_f32 v34, v80, v34
	v_add_f32_e32 v6, v7, v6
	v_and_b32_e32 v71, 0xffff0000, v102
	s_delay_alu instid0(VALU_DEP_3) | instskip(NEXT) | instid1(VALU_DEP_2)
	v_dual_add_f32 v5, v35, v34 :: v_dual_and_b32 v34, 0xffff0000, v112
	v_add_f32_e32 v23, v71, v23
	s_delay_alu instid0(VALU_DEP_1) | instskip(SKIP_4) | instid1(VALU_DEP_4)
	v_add_f32_e32 v5, v5, v23
	v_and_b32_e32 v23, 0xffff0000, v64
	v_and_b32_e32 v64, 0xffff0000, v65
	;; [unrolled: 1-line block ×4, first 2 shown]
	v_dual_add_f32 v8, v55, v23 :: v_dual_and_b32 v35, 0xffff0000, v113
	s_delay_alu instid0(VALU_DEP_1) | instskip(NEXT) | instid1(VALU_DEP_2)
	v_add_f32_e32 v23, v34, v35
	v_dual_add_f32 v3, v3, v8 :: v_dual_add_f32 v8, v64, v65
	s_delay_alu instid0(VALU_DEP_4) | instskip(NEXT) | instid1(VALU_DEP_2)
	v_add_f32_e32 v7, v81, v70
	v_dual_add_f32 v4, v5, v23 :: v_dual_add_f32 v3, v3, v8
	s_delay_alu instid0(VALU_DEP_1) | instskip(NEXT) | instid1(VALU_DEP_2)
	v_dual_add_f32 v2, v6, v7 :: v_dual_add_f32 v51, v51, v4
	v_add_f32_e32 v48, v48, v3
	s_delay_alu instid0(VALU_DEP_2)
	v_add_f32_e32 v50, v50, v2
	s_and_not1_b32 exec_lo, exec_lo, s8
	s_cbranch_execz .LBB462_3453
.LBB462_1471:                           ; =>This Inner Loop Header: Depth=1
	flat_load_b32 v55, v[13:14]
	ds_load_2addr_b64 v[6:9], v17 offset1:1
	ds_load_2addr_b64 v[0:3], v17 offset0:2 offset1:3
	s_mov_b32 s0, exec_lo
                                        ; implicit-def: $vgpr54
	s_waitcnt lgkmcnt(1)
	v_and_b32_e32 v4, 0x7f800000, v6
	s_delay_alu instid0(VALU_DEP_1)
	v_cmpx_ne_u32_e32 0x7f800000, v4
	s_xor_b32 s0, exec_lo, s0
; %bb.1472:                             ;   in Loop: Header=BB462_1471 Depth=1
	v_bfe_u32 v4, v6, 16, 1
	s_delay_alu instid0(VALU_DEP_1)
	v_add3_u32 v54, v6, v4, 0x7fff
; %bb.1473:                             ;   in Loop: Header=BB462_1471 Depth=1
	s_and_not1_saveexec_b32 s0, s0
; %bb.1474:                             ;   in Loop: Header=BB462_1471 Depth=1
	v_and_b32_e32 v4, 0xffff, v6
	v_or_b32_e32 v5, 0x10000, v6
	s_delay_alu instid0(VALU_DEP_2) | instskip(NEXT) | instid1(VALU_DEP_2)
	v_cmp_eq_u32_e32 vcc_lo, 0, v4
	v_cndmask_b32_e32 v54, v5, v6, vcc_lo
; %bb.1475:                             ;   in Loop: Header=BB462_1471 Depth=1
	s_or_b32 exec_lo, exec_lo, s0
	v_and_b32_e32 v4, 0x7f800000, v7
	s_mov_b32 s0, exec_lo
                                        ; implicit-def: $vgpr52
	s_delay_alu instid0(VALU_DEP_1)
	v_cmpx_ne_u32_e32 0x7f800000, v4
	s_xor_b32 s0, exec_lo, s0
; %bb.1476:                             ;   in Loop: Header=BB462_1471 Depth=1
	v_bfe_u32 v4, v7, 16, 1
	s_delay_alu instid0(VALU_DEP_1)
	v_add3_u32 v52, v7, v4, 0x7fff
; %bb.1477:                             ;   in Loop: Header=BB462_1471 Depth=1
	s_and_not1_saveexec_b32 s0, s0
; %bb.1478:                             ;   in Loop: Header=BB462_1471 Depth=1
	v_and_b32_e32 v4, 0xffff, v7
	v_or_b32_e32 v5, 0x10000, v7
	s_delay_alu instid0(VALU_DEP_2) | instskip(NEXT) | instid1(VALU_DEP_2)
	v_cmp_eq_u32_e32 vcc_lo, 0, v4
	v_cndmask_b32_e32 v52, v5, v7, vcc_lo
; %bb.1479:                             ;   in Loop: Header=BB462_1471 Depth=1
	s_or_b32 exec_lo, exec_lo, s0
	v_and_b32_e32 v4, 0x7f800000, v8
	s_mov_b32 s0, exec_lo
                                        ; implicit-def: $vgpr53
	s_delay_alu instid0(VALU_DEP_1)
	v_cmpx_ne_u32_e32 0x7f800000, v4
	s_xor_b32 s0, exec_lo, s0
; %bb.1480:                             ;   in Loop: Header=BB462_1471 Depth=1
	v_bfe_u32 v4, v8, 16, 1
	s_delay_alu instid0(VALU_DEP_1)
	v_add3_u32 v53, v8, v4, 0x7fff
; %bb.1481:                             ;   in Loop: Header=BB462_1471 Depth=1
	s_and_not1_saveexec_b32 s0, s0
; %bb.1482:                             ;   in Loop: Header=BB462_1471 Depth=1
	v_and_b32_e32 v4, 0xffff, v8
	v_or_b32_e32 v5, 0x10000, v8
	s_delay_alu instid0(VALU_DEP_2) | instskip(NEXT) | instid1(VALU_DEP_2)
	v_cmp_eq_u32_e32 vcc_lo, 0, v4
	v_cndmask_b32_e32 v53, v5, v8, vcc_lo
; %bb.1483:                             ;   in Loop: Header=BB462_1471 Depth=1
	s_or_b32 exec_lo, exec_lo, s0
	v_and_b32_e32 v4, 0x7f800000, v9
	s_mov_b32 s0, exec_lo
                                        ; implicit-def: $vgpr35
	s_delay_alu instid0(VALU_DEP_1)
	v_cmpx_ne_u32_e32 0x7f800000, v4
	s_xor_b32 s0, exec_lo, s0
; %bb.1484:                             ;   in Loop: Header=BB462_1471 Depth=1
	v_bfe_u32 v4, v9, 16, 1
	s_delay_alu instid0(VALU_DEP_1)
	v_add3_u32 v35, v9, v4, 0x7fff
                                        ; implicit-def: $vgpr6_vgpr7_vgpr8_vgpr9
; %bb.1485:                             ;   in Loop: Header=BB462_1471 Depth=1
	s_and_not1_saveexec_b32 s0, s0
; %bb.1486:                             ;   in Loop: Header=BB462_1471 Depth=1
	v_and_b32_e32 v4, 0xffff, v9
	v_or_b32_e32 v5, 0x10000, v9
	s_delay_alu instid0(VALU_DEP_2) | instskip(NEXT) | instid1(VALU_DEP_2)
	v_cmp_eq_u32_e32 vcc_lo, 0, v4
	v_cndmask_b32_e32 v35, v5, v9, vcc_lo
; %bb.1487:                             ;   in Loop: Header=BB462_1471 Depth=1
	s_or_b32 exec_lo, exec_lo, s0
	s_waitcnt lgkmcnt(0)
	v_and_b32_e32 v4, 0x7f800000, v0
	s_mov_b32 s0, exec_lo
                                        ; implicit-def: $vgpr34
	s_delay_alu instid0(VALU_DEP_1)
	v_cmpx_ne_u32_e32 0x7f800000, v4
	s_xor_b32 s0, exec_lo, s0
; %bb.1488:                             ;   in Loop: Header=BB462_1471 Depth=1
	v_bfe_u32 v4, v0, 16, 1
	s_delay_alu instid0(VALU_DEP_1)
	v_add3_u32 v34, v0, v4, 0x7fff
; %bb.1489:                             ;   in Loop: Header=BB462_1471 Depth=1
	s_and_not1_saveexec_b32 s0, s0
; %bb.1490:                             ;   in Loop: Header=BB462_1471 Depth=1
	v_and_b32_e32 v4, 0xffff, v0
	v_or_b32_e32 v5, 0x10000, v0
	s_delay_alu instid0(VALU_DEP_2) | instskip(NEXT) | instid1(VALU_DEP_2)
	v_cmp_eq_u32_e32 vcc_lo, 0, v4
	v_cndmask_b32_e32 v34, v5, v0, vcc_lo
; %bb.1491:                             ;   in Loop: Header=BB462_1471 Depth=1
	s_or_b32 exec_lo, exec_lo, s0
	v_and_b32_e32 v0, 0x7f800000, v1
	s_mov_b32 s0, exec_lo
                                        ; implicit-def: $vgpr23
	s_delay_alu instid0(VALU_DEP_1)
	v_cmpx_ne_u32_e32 0x7f800000, v0
	s_xor_b32 s0, exec_lo, s0
; %bb.1492:                             ;   in Loop: Header=BB462_1471 Depth=1
	v_bfe_u32 v0, v1, 16, 1
	s_delay_alu instid0(VALU_DEP_1)
	v_add3_u32 v23, v1, v0, 0x7fff
; %bb.1493:                             ;   in Loop: Header=BB462_1471 Depth=1
	s_and_not1_saveexec_b32 s0, s0
; %bb.1494:                             ;   in Loop: Header=BB462_1471 Depth=1
	v_and_b32_e32 v0, 0xffff, v1
	v_or_b32_e32 v4, 0x10000, v1
	s_delay_alu instid0(VALU_DEP_2) | instskip(NEXT) | instid1(VALU_DEP_2)
	v_cmp_eq_u32_e32 vcc_lo, 0, v0
	v_cndmask_b32_e32 v23, v4, v1, vcc_lo
; %bb.1495:                             ;   in Loop: Header=BB462_1471 Depth=1
	s_or_b32 exec_lo, exec_lo, s0
	v_and_b32_e32 v0, 0x7f800000, v2
	s_mov_b32 s0, exec_lo
                                        ; implicit-def: $vgpr5
	s_delay_alu instid0(VALU_DEP_1)
	v_cmpx_ne_u32_e32 0x7f800000, v0
	s_xor_b32 s0, exec_lo, s0
; %bb.1496:                             ;   in Loop: Header=BB462_1471 Depth=1
	v_bfe_u32 v0, v2, 16, 1
	s_delay_alu instid0(VALU_DEP_1)
	v_add3_u32 v5, v2, v0, 0x7fff
; %bb.1497:                             ;   in Loop: Header=BB462_1471 Depth=1
	s_and_not1_saveexec_b32 s0, s0
; %bb.1498:                             ;   in Loop: Header=BB462_1471 Depth=1
	v_and_b32_e32 v0, 0xffff, v2
	v_or_b32_e32 v1, 0x10000, v2
	s_delay_alu instid0(VALU_DEP_2) | instskip(NEXT) | instid1(VALU_DEP_2)
	v_cmp_eq_u32_e32 vcc_lo, 0, v0
	v_cndmask_b32_e32 v5, v1, v2, vcc_lo
; %bb.1499:                             ;   in Loop: Header=BB462_1471 Depth=1
	s_or_b32 exec_lo, exec_lo, s0
	v_and_b32_e32 v0, 0x7f800000, v3
	s_mov_b32 s0, exec_lo
                                        ; implicit-def: $vgpr4
	s_delay_alu instid0(VALU_DEP_1)
	v_cmpx_ne_u32_e32 0x7f800000, v0
	s_xor_b32 s0, exec_lo, s0
; %bb.1500:                             ;   in Loop: Header=BB462_1471 Depth=1
	v_bfe_u32 v0, v3, 16, 1
	s_delay_alu instid0(VALU_DEP_1)
	v_add3_u32 v4, v3, v0, 0x7fff
                                        ; implicit-def: $vgpr0_vgpr1_vgpr2_vgpr3
; %bb.1501:                             ;   in Loop: Header=BB462_1471 Depth=1
	s_and_not1_saveexec_b32 s0, s0
; %bb.1502:                             ;   in Loop: Header=BB462_1471 Depth=1
	v_and_b32_e32 v0, 0xffff, v3
	v_or_b32_e32 v1, 0x10000, v3
	s_delay_alu instid0(VALU_DEP_2) | instskip(NEXT) | instid1(VALU_DEP_2)
	v_cmp_eq_u32_e32 vcc_lo, 0, v0
	v_cndmask_b32_e32 v4, v1, v3, vcc_lo
; %bb.1503:                             ;   in Loop: Header=BB462_1471 Depth=1
	s_or_b32 exec_lo, exec_lo, s0
	s_waitcnt vmcnt(0)
	v_mad_i64_i32 v[0:1], null, v55, v22, v[11:12]
	s_mov_b32 s0, exec_lo
	v_mov_b32_e32 v6, 0
	flat_load_b64 v[2:3], v[0:1]
	s_waitcnt vmcnt(0) lgkmcnt(0)
	v_and_b32_e32 v7, 0xff, v2
	s_delay_alu instid0(VALU_DEP_1)
	v_cmpx_ne_u16_e32 0, v7
	s_cbranch_execz .LBB462_1511
; %bb.1504:                             ;   in Loop: Header=BB462_1471 Depth=1
	v_bfrev_b32_e32 v6, 1
	s_mov_b32 s9, exec_lo
	v_cmpx_ne_u16_e32 0x80, v7
	s_cbranch_execz .LBB462_1510
; %bb.1505:                             ;   in Loop: Header=BB462_1471 Depth=1
	v_and_b32_e32 v7, 0x7f, v2
	v_mov_b32_e32 v6, 0x7f800001
	s_mov_b32 s12, exec_lo
	s_delay_alu instid0(VALU_DEP_2)
	v_cmpx_ne_u32_e32 0x7f, v7
	s_cbranch_execz .LBB462_1509
; %bb.1506:                             ;   in Loop: Header=BB462_1471 Depth=1
	v_lshrrev_b32_e32 v8, 3, v7
	v_cmp_gt_u32_e32 vcc_lo, 8, v7
	v_dual_mov_b32 v7, v3 :: v_dual_mov_b32 v6, v2
	s_and_saveexec_b32 s13, vcc_lo
; %bb.1507:                             ;   in Loop: Header=BB462_1471 Depth=1
	v_and_b32_e32 v6, 7, v2
	s_delay_alu instid0(VALU_DEP_1) | instskip(NEXT) | instid1(VALU_DEP_1)
	v_clz_i32_u32_e32 v6, v6
	v_min_u32_e32 v8, 32, v6
	s_delay_alu instid0(VALU_DEP_1) | instskip(SKIP_1) | instid1(VALU_DEP_2)
	v_subrev_nc_u32_e32 v6, 28, v8
	v_sub_nc_u32_e32 v8, 29, v8
	v_lshlrev_b64 v[6:7], v6, v[2:3]
; %bb.1508:                             ;   in Loop: Header=BB462_1471 Depth=1
	s_or_b32 exec_lo, exec_lo, s13
	s_delay_alu instid0(VALU_DEP_1) | instskip(SKIP_2) | instid1(VALU_DEP_3)
	v_lshlrev_b32_e32 v6, 20, v6
	v_lshlrev_b32_e32 v7, 24, v2
	v_lshl_add_u32 v8, v8, 23, 0x3c000000
	v_and_b32_e32 v6, 0x700000, v6
	s_delay_alu instid0(VALU_DEP_3) | instskip(NEXT) | instid1(VALU_DEP_1)
	v_and_b32_e32 v7, 0x80000000, v7
	v_or3_b32 v6, v6, v7, v8
.LBB462_1509:                           ;   in Loop: Header=BB462_1471 Depth=1
	s_or_b32 exec_lo, exec_lo, s12
.LBB462_1510:                           ;   in Loop: Header=BB462_1471 Depth=1
	s_delay_alu instid0(SALU_CYCLE_1)
	s_or_b32 exec_lo, exec_lo, s9
.LBB462_1511:                           ;   in Loop: Header=BB462_1471 Depth=1
	s_delay_alu instid0(SALU_CYCLE_1) | instskip(NEXT) | instid1(VALU_DEP_1)
	s_or_b32 exec_lo, exec_lo, s0
	v_mul_f32_e32 v6, v26, v6
	s_mov_b32 s0, exec_lo
                                        ; implicit-def: $vgpr8
	s_delay_alu instid0(VALU_DEP_1) | instskip(NEXT) | instid1(VALU_DEP_1)
	v_and_b32_e32 v7, 0x7f800000, v6
	v_cmpx_ne_u32_e32 0x7f800000, v7
	s_xor_b32 s0, exec_lo, s0
; %bb.1512:                             ;   in Loop: Header=BB462_1471 Depth=1
	v_bfe_u32 v7, v6, 16, 1
	s_delay_alu instid0(VALU_DEP_1)
	v_add3_u32 v8, v6, v7, 0x7fff
                                        ; implicit-def: $vgpr6
; %bb.1513:                             ;   in Loop: Header=BB462_1471 Depth=1
	s_and_not1_saveexec_b32 s0, s0
; %bb.1514:                             ;   in Loop: Header=BB462_1471 Depth=1
	v_and_b32_e32 v7, 0xffff, v6
	v_or_b32_e32 v8, 0x10000, v6
	s_delay_alu instid0(VALU_DEP_2) | instskip(NEXT) | instid1(VALU_DEP_2)
	v_cmp_eq_u32_e32 vcc_lo, 0, v7
	v_cndmask_b32_e32 v8, v8, v6, vcc_lo
; %bb.1515:                             ;   in Loop: Header=BB462_1471 Depth=1
	s_or_b32 exec_lo, exec_lo, s0
	v_lshrrev_b16 v7, 8, v2
	v_mov_b32_e32 v6, 0
	s_mov_b32 s0, exec_lo
	s_delay_alu instid0(VALU_DEP_2)
	v_cmpx_ne_u16_e32 0, v7
	s_cbranch_execz .LBB462_1523
; %bb.1516:                             ;   in Loop: Header=BB462_1471 Depth=1
	v_bfrev_b32_e32 v6, 1
	s_mov_b32 s9, exec_lo
	v_cmpx_ne_u16_e32 0x80, v7
	s_cbranch_execz .LBB462_1522
; %bb.1517:                             ;   in Loop: Header=BB462_1471 Depth=1
	v_and_b32_e32 v9, 0xffff, v7
	v_mov_b32_e32 v6, 0x7f800001
	s_mov_b32 s12, exec_lo
	s_delay_alu instid0(VALU_DEP_2) | instskip(NEXT) | instid1(VALU_DEP_1)
	v_and_b32_e32 v7, 0x7f, v9
	v_cmpx_ne_u32_e32 0x7f, v7
	s_cbranch_execz .LBB462_1521
; %bb.1518:                             ;   in Loop: Header=BB462_1471 Depth=1
	v_and_b32_e32 v9, 7, v9
	v_lshrrev_b32_e32 v55, 3, v7
	v_cmp_gt_u32_e32 vcc_lo, 8, v7
	s_delay_alu instid0(VALU_DEP_3)
	v_dual_mov_b32 v6, v9 :: v_dual_mov_b32 v7, v10
	s_and_saveexec_b32 s13, vcc_lo
; %bb.1519:                             ;   in Loop: Header=BB462_1471 Depth=1
	v_clz_i32_u32_e32 v6, v9
	s_delay_alu instid0(VALU_DEP_1) | instskip(NEXT) | instid1(VALU_DEP_1)
	v_min_u32_e32 v55, 32, v6
	v_subrev_nc_u32_e32 v6, 28, v55
	v_sub_nc_u32_e32 v55, 29, v55
	s_delay_alu instid0(VALU_DEP_2) | instskip(NEXT) | instid1(VALU_DEP_1)
	v_lshlrev_b64 v[6:7], v6, v[9:10]
	v_and_b32_e32 v6, 7, v6
; %bb.1520:                             ;   in Loop: Header=BB462_1471 Depth=1
	s_or_b32 exec_lo, exec_lo, s13
	v_lshlrev_b32_e32 v7, 16, v2
	s_delay_alu instid0(VALU_DEP_2) | instskip(SKIP_1) | instid1(VALU_DEP_3)
	v_lshlrev_b32_e32 v6, 20, v6
	v_lshl_add_u32 v9, v55, 23, 0x3c000000
	v_and_b32_e32 v7, 0x80000000, v7
	s_delay_alu instid0(VALU_DEP_1)
	v_or3_b32 v6, v6, v7, v9
.LBB462_1521:                           ;   in Loop: Header=BB462_1471 Depth=1
	s_or_b32 exec_lo, exec_lo, s12
.LBB462_1522:                           ;   in Loop: Header=BB462_1471 Depth=1
	s_delay_alu instid0(SALU_CYCLE_1)
	s_or_b32 exec_lo, exec_lo, s9
.LBB462_1523:                           ;   in Loop: Header=BB462_1471 Depth=1
	s_delay_alu instid0(SALU_CYCLE_1) | instskip(NEXT) | instid1(VALU_DEP_1)
	s_or_b32 exec_lo, exec_lo, s0
	v_mul_f32_e32 v6, v26, v6
	s_mov_b32 s0, exec_lo
                                        ; implicit-def: $vgpr55
	s_delay_alu instid0(VALU_DEP_1) | instskip(NEXT) | instid1(VALU_DEP_1)
	v_and_b32_e32 v7, 0x7f800000, v6
	v_cmpx_ne_u32_e32 0x7f800000, v7
	s_xor_b32 s0, exec_lo, s0
; %bb.1524:                             ;   in Loop: Header=BB462_1471 Depth=1
	v_bfe_u32 v7, v6, 16, 1
	s_delay_alu instid0(VALU_DEP_1)
	v_add3_u32 v55, v6, v7, 0x7fff
                                        ; implicit-def: $vgpr6
; %bb.1525:                             ;   in Loop: Header=BB462_1471 Depth=1
	s_and_not1_saveexec_b32 s0, s0
; %bb.1526:                             ;   in Loop: Header=BB462_1471 Depth=1
	v_and_b32_e32 v7, 0xffff, v6
	v_or_b32_e32 v9, 0x10000, v6
	s_delay_alu instid0(VALU_DEP_2) | instskip(NEXT) | instid1(VALU_DEP_2)
	v_cmp_eq_u32_e32 vcc_lo, 0, v7
	v_cndmask_b32_e32 v55, v9, v6, vcc_lo
; %bb.1527:                             ;   in Loop: Header=BB462_1471 Depth=1
	s_or_b32 exec_lo, exec_lo, s0
	v_lshrrev_b32_e32 v64, 16, v2
	s_mov_b32 s0, exec_lo
	s_delay_alu instid0(VALU_DEP_1) | instskip(NEXT) | instid1(VALU_DEP_1)
	v_dual_mov_b32 v6, 0 :: v_dual_and_b32 v7, 0xff, v64
	v_cmpx_ne_u16_e32 0, v7
	s_cbranch_execz .LBB462_1535
; %bb.1528:                             ;   in Loop: Header=BB462_1471 Depth=1
	v_bfrev_b32_e32 v6, 1
	s_mov_b32 s9, exec_lo
	v_cmpx_ne_u16_e32 0x80, v7
	s_cbranch_execz .LBB462_1534
; %bb.1529:                             ;   in Loop: Header=BB462_1471 Depth=1
	v_bfe_u32 v7, v2, 16, 7
	v_mov_b32_e32 v6, 0x7f800001
	s_mov_b32 s12, exec_lo
	s_delay_alu instid0(VALU_DEP_2)
	v_cmpx_ne_u32_e32 0x7f, v7
	s_cbranch_execz .LBB462_1533
; %bb.1530:                             ;   in Loop: Header=BB462_1471 Depth=1
	v_and_b32_e32 v9, 7, v64
	v_lshrrev_b32_e32 v65, 3, v7
	v_cmp_gt_u32_e32 vcc_lo, 8, v7
	s_delay_alu instid0(VALU_DEP_3)
	v_dual_mov_b32 v6, v9 :: v_dual_mov_b32 v7, v10
	s_and_saveexec_b32 s13, vcc_lo
; %bb.1531:                             ;   in Loop: Header=BB462_1471 Depth=1
	v_clz_i32_u32_e32 v6, v9
	s_delay_alu instid0(VALU_DEP_1) | instskip(NEXT) | instid1(VALU_DEP_1)
	v_min_u32_e32 v65, 32, v6
	v_subrev_nc_u32_e32 v6, 28, v65
	v_sub_nc_u32_e32 v65, 29, v65
	s_delay_alu instid0(VALU_DEP_2) | instskip(NEXT) | instid1(VALU_DEP_1)
	v_lshlrev_b64 v[6:7], v6, v[9:10]
	v_and_b32_e32 v6, 7, v6
; %bb.1532:                             ;   in Loop: Header=BB462_1471 Depth=1
	s_or_b32 exec_lo, exec_lo, s13
	v_lshlrev_b32_e32 v7, 24, v64
	s_delay_alu instid0(VALU_DEP_2) | instskip(SKIP_1) | instid1(VALU_DEP_3)
	v_lshlrev_b32_e32 v6, 20, v6
	v_lshl_add_u32 v9, v65, 23, 0x3c000000
	v_and_b32_e32 v7, 0x80000000, v7
	s_delay_alu instid0(VALU_DEP_1)
	v_or3_b32 v6, v6, v7, v9
.LBB462_1533:                           ;   in Loop: Header=BB462_1471 Depth=1
	s_or_b32 exec_lo, exec_lo, s12
.LBB462_1534:                           ;   in Loop: Header=BB462_1471 Depth=1
	s_delay_alu instid0(SALU_CYCLE_1)
	s_or_b32 exec_lo, exec_lo, s9
.LBB462_1535:                           ;   in Loop: Header=BB462_1471 Depth=1
	s_delay_alu instid0(SALU_CYCLE_1) | instskip(NEXT) | instid1(VALU_DEP_1)
	s_or_b32 exec_lo, exec_lo, s0
	v_mul_f32_e32 v6, v26, v6
	s_mov_b32 s0, exec_lo
                                        ; implicit-def: $vgpr64
	s_delay_alu instid0(VALU_DEP_1) | instskip(NEXT) | instid1(VALU_DEP_1)
	v_and_b32_e32 v7, 0x7f800000, v6
	v_cmpx_ne_u32_e32 0x7f800000, v7
	s_xor_b32 s0, exec_lo, s0
; %bb.1536:                             ;   in Loop: Header=BB462_1471 Depth=1
	v_bfe_u32 v7, v6, 16, 1
	s_delay_alu instid0(VALU_DEP_1)
	v_add3_u32 v64, v6, v7, 0x7fff
                                        ; implicit-def: $vgpr6
; %bb.1537:                             ;   in Loop: Header=BB462_1471 Depth=1
	s_and_not1_saveexec_b32 s0, s0
; %bb.1538:                             ;   in Loop: Header=BB462_1471 Depth=1
	v_and_b32_e32 v7, 0xffff, v6
	v_or_b32_e32 v9, 0x10000, v6
	s_delay_alu instid0(VALU_DEP_2) | instskip(NEXT) | instid1(VALU_DEP_2)
	v_cmp_eq_u32_e32 vcc_lo, 0, v7
	v_cndmask_b32_e32 v64, v9, v6, vcc_lo
; %bb.1539:                             ;   in Loop: Header=BB462_1471 Depth=1
	s_or_b32 exec_lo, exec_lo, s0
	v_mov_b32_e32 v6, 0
	s_mov_b32 s0, exec_lo
	v_cmpx_lt_u32_e32 0xffffff, v2
	s_cbranch_execz .LBB462_1547
; %bb.1540:                             ;   in Loop: Header=BB462_1471 Depth=1
	v_lshrrev_b32_e32 v65, 24, v2
	v_bfrev_b32_e32 v6, 1
	s_mov_b32 s9, exec_lo
	s_delay_alu instid0(VALU_DEP_2)
	v_cmpx_ne_u32_e32 0x80, v65
	s_cbranch_execz .LBB462_1546
; %bb.1541:                             ;   in Loop: Header=BB462_1471 Depth=1
	v_bfe_u32 v7, v2, 24, 7
	v_mov_b32_e32 v6, 0x7f800001
	s_mov_b32 s12, exec_lo
	s_delay_alu instid0(VALU_DEP_2)
	v_cmpx_ne_u32_e32 0x7f, v7
	s_cbranch_execz .LBB462_1545
; %bb.1542:                             ;   in Loop: Header=BB462_1471 Depth=1
	v_and_b32_e32 v9, 7, v65
	v_lshrrev_b32_e32 v66, 3, v7
	v_cmp_gt_u32_e32 vcc_lo, 8, v7
	s_delay_alu instid0(VALU_DEP_3)
	v_dual_mov_b32 v6, v9 :: v_dual_mov_b32 v7, v10
	s_and_saveexec_b32 s13, vcc_lo
; %bb.1543:                             ;   in Loop: Header=BB462_1471 Depth=1
	v_clz_i32_u32_e32 v6, v9
	s_delay_alu instid0(VALU_DEP_1) | instskip(NEXT) | instid1(VALU_DEP_1)
	v_min_u32_e32 v66, 32, v6
	v_subrev_nc_u32_e32 v6, 28, v66
	v_sub_nc_u32_e32 v66, 29, v66
	s_delay_alu instid0(VALU_DEP_2) | instskip(NEXT) | instid1(VALU_DEP_1)
	v_lshlrev_b64 v[6:7], v6, v[9:10]
	v_and_b32_e32 v6, 7, v6
; %bb.1544:                             ;   in Loop: Header=BB462_1471 Depth=1
	s_or_b32 exec_lo, exec_lo, s13
	v_lshlrev_b32_e32 v7, 24, v65
	s_delay_alu instid0(VALU_DEP_2) | instskip(SKIP_1) | instid1(VALU_DEP_3)
	v_lshlrev_b32_e32 v6, 20, v6
	v_lshl_add_u32 v9, v66, 23, 0x3c000000
	v_and_b32_e32 v7, 0x80000000, v7
	s_delay_alu instid0(VALU_DEP_1)
	v_or3_b32 v6, v6, v7, v9
.LBB462_1545:                           ;   in Loop: Header=BB462_1471 Depth=1
	s_or_b32 exec_lo, exec_lo, s12
.LBB462_1546:                           ;   in Loop: Header=BB462_1471 Depth=1
	s_delay_alu instid0(SALU_CYCLE_1)
	s_or_b32 exec_lo, exec_lo, s9
.LBB462_1547:                           ;   in Loop: Header=BB462_1471 Depth=1
	s_delay_alu instid0(SALU_CYCLE_1) | instskip(NEXT) | instid1(VALU_DEP_1)
	s_or_b32 exec_lo, exec_lo, s0
	v_mul_f32_e32 v6, v26, v6
	s_mov_b32 s0, exec_lo
                                        ; implicit-def: $vgpr65
	s_delay_alu instid0(VALU_DEP_1) | instskip(NEXT) | instid1(VALU_DEP_1)
	v_and_b32_e32 v7, 0x7f800000, v6
	v_cmpx_ne_u32_e32 0x7f800000, v7
	s_xor_b32 s0, exec_lo, s0
; %bb.1548:                             ;   in Loop: Header=BB462_1471 Depth=1
	v_bfe_u32 v7, v6, 16, 1
	s_delay_alu instid0(VALU_DEP_1)
	v_add3_u32 v65, v6, v7, 0x7fff
                                        ; implicit-def: $vgpr6
; %bb.1549:                             ;   in Loop: Header=BB462_1471 Depth=1
	s_and_not1_saveexec_b32 s0, s0
; %bb.1550:                             ;   in Loop: Header=BB462_1471 Depth=1
	v_and_b32_e32 v7, 0xffff, v6
	v_or_b32_e32 v9, 0x10000, v6
	s_delay_alu instid0(VALU_DEP_2) | instskip(NEXT) | instid1(VALU_DEP_2)
	v_cmp_eq_u32_e32 vcc_lo, 0, v7
	v_cndmask_b32_e32 v65, v9, v6, vcc_lo
; %bb.1551:                             ;   in Loop: Header=BB462_1471 Depth=1
	s_or_b32 exec_lo, exec_lo, s0
	v_dual_mov_b32 v6, 0 :: v_dual_and_b32 v7, 0xff, v3
	v_mov_b32_e32 v9, v3
	s_mov_b32 s0, exec_lo
	s_delay_alu instid0(VALU_DEP_2)
	v_cmpx_ne_u16_e32 0, v7
	s_cbranch_execz .LBB462_1559
; %bb.1552:                             ;   in Loop: Header=BB462_1471 Depth=1
	v_bfrev_b32_e32 v6, 1
	s_mov_b32 s9, exec_lo
	v_cmpx_ne_u16_e32 0x80, v7
	s_cbranch_execz .LBB462_1558
; %bb.1553:                             ;   in Loop: Header=BB462_1471 Depth=1
	v_and_b32_e32 v7, 0x7f, v3
	v_mov_b32_e32 v6, 0x7f800001
	s_mov_b32 s12, exec_lo
	s_delay_alu instid0(VALU_DEP_2)
	v_cmpx_ne_u32_e32 0x7f, v7
	s_cbranch_execz .LBB462_1557
; %bb.1554:                             ;   in Loop: Header=BB462_1471 Depth=1
	v_lshrrev_b32_e32 v66, 3, v7
	v_cmp_gt_u32_e32 vcc_lo, 8, v7
	v_dual_mov_b32 v6, v9 :: v_dual_mov_b32 v7, v10
	s_and_saveexec_b32 s13, vcc_lo
; %bb.1555:                             ;   in Loop: Header=BB462_1471 Depth=1
	v_and_b32_e32 v6, 7, v3
	s_delay_alu instid0(VALU_DEP_1) | instskip(NEXT) | instid1(VALU_DEP_1)
	v_clz_i32_u32_e32 v6, v6
	v_min_u32_e32 v66, 32, v6
	s_delay_alu instid0(VALU_DEP_1) | instskip(SKIP_1) | instid1(VALU_DEP_2)
	v_subrev_nc_u32_e32 v6, 28, v66
	v_sub_nc_u32_e32 v66, 29, v66
	v_lshlrev_b64 v[6:7], v6, v[9:10]
; %bb.1556:                             ;   in Loop: Header=BB462_1471 Depth=1
	s_or_b32 exec_lo, exec_lo, s13
	s_delay_alu instid0(VALU_DEP_1) | instskip(SKIP_2) | instid1(VALU_DEP_3)
	v_lshlrev_b32_e32 v6, 20, v6
	v_lshlrev_b32_e32 v7, 24, v9
	v_lshl_add_u32 v66, v66, 23, 0x3c000000
	v_and_b32_e32 v6, 0x700000, v6
	s_delay_alu instid0(VALU_DEP_3) | instskip(NEXT) | instid1(VALU_DEP_1)
	v_and_b32_e32 v7, 0x80000000, v7
	v_or3_b32 v6, v6, v7, v66
.LBB462_1557:                           ;   in Loop: Header=BB462_1471 Depth=1
	s_or_b32 exec_lo, exec_lo, s12
.LBB462_1558:                           ;   in Loop: Header=BB462_1471 Depth=1
	s_delay_alu instid0(SALU_CYCLE_1)
	s_or_b32 exec_lo, exec_lo, s9
.LBB462_1559:                           ;   in Loop: Header=BB462_1471 Depth=1
	s_delay_alu instid0(SALU_CYCLE_1) | instskip(NEXT) | instid1(VALU_DEP_1)
	s_or_b32 exec_lo, exec_lo, s0
	v_mul_f32_e32 v6, v26, v6
	s_mov_b32 s0, exec_lo
                                        ; implicit-def: $vgpr66
	s_delay_alu instid0(VALU_DEP_1) | instskip(NEXT) | instid1(VALU_DEP_1)
	v_and_b32_e32 v7, 0x7f800000, v6
	v_cmpx_ne_u32_e32 0x7f800000, v7
	s_xor_b32 s0, exec_lo, s0
; %bb.1560:                             ;   in Loop: Header=BB462_1471 Depth=1
	v_bfe_u32 v7, v6, 16, 1
	s_delay_alu instid0(VALU_DEP_1)
	v_add3_u32 v66, v6, v7, 0x7fff
                                        ; implicit-def: $vgpr6
; %bb.1561:                             ;   in Loop: Header=BB462_1471 Depth=1
	s_and_not1_saveexec_b32 s0, s0
; %bb.1562:                             ;   in Loop: Header=BB462_1471 Depth=1
	v_and_b32_e32 v7, 0xffff, v6
	v_or_b32_e32 v66, 0x10000, v6
	s_delay_alu instid0(VALU_DEP_2) | instskip(NEXT) | instid1(VALU_DEP_2)
	v_cmp_eq_u32_e32 vcc_lo, 0, v7
	v_cndmask_b32_e32 v66, v66, v6, vcc_lo
; %bb.1563:                             ;   in Loop: Header=BB462_1471 Depth=1
	s_or_b32 exec_lo, exec_lo, s0
	v_lshrrev_b16 v7, 8, v9
	v_mov_b32_e32 v6, 0
	s_mov_b32 s0, exec_lo
	s_delay_alu instid0(VALU_DEP_2)
	v_cmpx_ne_u16_e32 0, v7
	s_cbranch_execz .LBB462_1571
; %bb.1564:                             ;   in Loop: Header=BB462_1471 Depth=1
	v_bfrev_b32_e32 v6, 1
	s_mov_b32 s9, exec_lo
	v_cmpx_ne_u16_e32 0x80, v7
	s_cbranch_execz .LBB462_1570
; %bb.1565:                             ;   in Loop: Header=BB462_1471 Depth=1
	v_and_b32_e32 v7, 0xffff, v7
	v_mov_b32_e32 v6, 0x7f800001
	s_mov_b32 s12, exec_lo
	s_delay_alu instid0(VALU_DEP_2) | instskip(NEXT) | instid1(VALU_DEP_1)
	v_and_b32_e32 v68, 0x7f, v7
	v_cmpx_ne_u32_e32 0x7f, v68
	s_cbranch_execz .LBB462_1569
; %bb.1566:                             ;   in Loop: Header=BB462_1471 Depth=1
	v_dual_mov_b32 v7, v10 :: v_dual_and_b32 v6, 7, v7
	v_lshrrev_b32_e32 v67, 3, v68
	s_mov_b32 s13, exec_lo
	v_cmpx_gt_u32_e32 8, v68
; %bb.1567:                             ;   in Loop: Header=BB462_1471 Depth=1
	s_delay_alu instid0(VALU_DEP_3) | instskip(NEXT) | instid1(VALU_DEP_1)
	v_clz_i32_u32_e32 v67, v6
	v_min_u32_e32 v67, 32, v67
	s_delay_alu instid0(VALU_DEP_1) | instskip(SKIP_1) | instid1(VALU_DEP_2)
	v_subrev_nc_u32_e32 v68, 28, v67
	v_sub_nc_u32_e32 v67, 29, v67
	v_lshlrev_b64 v[6:7], v68, v[6:7]
	s_delay_alu instid0(VALU_DEP_1)
	v_and_b32_e32 v6, 7, v6
; %bb.1568:                             ;   in Loop: Header=BB462_1471 Depth=1
	s_or_b32 exec_lo, exec_lo, s13
	v_lshlrev_b32_e32 v7, 16, v9
	s_delay_alu instid0(VALU_DEP_2) | instskip(SKIP_1) | instid1(VALU_DEP_3)
	v_lshlrev_b32_e32 v6, 20, v6
	v_lshl_add_u32 v9, v67, 23, 0x3c000000
	v_and_b32_e32 v7, 0x80000000, v7
	s_delay_alu instid0(VALU_DEP_1)
	v_or3_b32 v6, v6, v7, v9
.LBB462_1569:                           ;   in Loop: Header=BB462_1471 Depth=1
	s_or_b32 exec_lo, exec_lo, s12
.LBB462_1570:                           ;   in Loop: Header=BB462_1471 Depth=1
	s_delay_alu instid0(SALU_CYCLE_1)
	s_or_b32 exec_lo, exec_lo, s9
.LBB462_1571:                           ;   in Loop: Header=BB462_1471 Depth=1
	s_delay_alu instid0(SALU_CYCLE_1) | instskip(NEXT) | instid1(VALU_DEP_1)
	s_or_b32 exec_lo, exec_lo, s0
	v_mul_f32_e32 v6, v26, v6
	s_mov_b32 s0, exec_lo
                                        ; implicit-def: $vgpr68
	s_delay_alu instid0(VALU_DEP_1) | instskip(NEXT) | instid1(VALU_DEP_1)
	v_and_b32_e32 v7, 0x7f800000, v6
	v_cmpx_ne_u32_e32 0x7f800000, v7
	s_xor_b32 s0, exec_lo, s0
; %bb.1572:                             ;   in Loop: Header=BB462_1471 Depth=1
	v_bfe_u32 v7, v6, 16, 1
	s_delay_alu instid0(VALU_DEP_1)
	v_add3_u32 v68, v6, v7, 0x7fff
                                        ; implicit-def: $vgpr6
; %bb.1573:                             ;   in Loop: Header=BB462_1471 Depth=1
	s_and_not1_saveexec_b32 s0, s0
; %bb.1574:                             ;   in Loop: Header=BB462_1471 Depth=1
	v_and_b32_e32 v7, 0xffff, v6
	v_or_b32_e32 v9, 0x10000, v6
	s_delay_alu instid0(VALU_DEP_2) | instskip(NEXT) | instid1(VALU_DEP_2)
	v_cmp_eq_u32_e32 vcc_lo, 0, v7
	v_cndmask_b32_e32 v68, v9, v6, vcc_lo
; %bb.1575:                             ;   in Loop: Header=BB462_1471 Depth=1
	s_or_b32 exec_lo, exec_lo, s0
	v_lshrrev_b32_e32 v67, 16, v3
	s_mov_b32 s0, exec_lo
	s_delay_alu instid0(VALU_DEP_1) | instskip(NEXT) | instid1(VALU_DEP_1)
	v_dual_mov_b32 v6, 0 :: v_dual_and_b32 v7, 0xff, v67
	v_cmpx_ne_u16_e32 0, v7
	s_cbranch_execz .LBB462_1583
; %bb.1576:                             ;   in Loop: Header=BB462_1471 Depth=1
	v_bfrev_b32_e32 v6, 1
	s_mov_b32 s9, exec_lo
	v_cmpx_ne_u16_e32 0x80, v7
	s_cbranch_execz .LBB462_1582
; %bb.1577:                             ;   in Loop: Header=BB462_1471 Depth=1
	v_bfe_u32 v7, v3, 16, 7
	v_mov_b32_e32 v6, 0x7f800001
	s_mov_b32 s12, exec_lo
	s_delay_alu instid0(VALU_DEP_2)
	v_cmpx_ne_u32_e32 0x7f, v7
	s_cbranch_execz .LBB462_1581
; %bb.1578:                             ;   in Loop: Header=BB462_1471 Depth=1
	v_and_b32_e32 v9, 7, v67
	v_lshrrev_b32_e32 v69, 3, v7
	v_cmp_gt_u32_e32 vcc_lo, 8, v7
	s_delay_alu instid0(VALU_DEP_3)
	v_dual_mov_b32 v6, v9 :: v_dual_mov_b32 v7, v10
	s_and_saveexec_b32 s13, vcc_lo
; %bb.1579:                             ;   in Loop: Header=BB462_1471 Depth=1
	v_clz_i32_u32_e32 v6, v9
	s_delay_alu instid0(VALU_DEP_1) | instskip(NEXT) | instid1(VALU_DEP_1)
	v_min_u32_e32 v69, 32, v6
	v_subrev_nc_u32_e32 v6, 28, v69
	v_sub_nc_u32_e32 v69, 29, v69
	s_delay_alu instid0(VALU_DEP_2) | instskip(NEXT) | instid1(VALU_DEP_1)
	v_lshlrev_b64 v[6:7], v6, v[9:10]
	v_and_b32_e32 v6, 7, v6
; %bb.1580:                             ;   in Loop: Header=BB462_1471 Depth=1
	s_or_b32 exec_lo, exec_lo, s13
	v_lshlrev_b32_e32 v7, 24, v67
	s_delay_alu instid0(VALU_DEP_2) | instskip(SKIP_1) | instid1(VALU_DEP_3)
	v_lshlrev_b32_e32 v6, 20, v6
	v_lshl_add_u32 v9, v69, 23, 0x3c000000
	v_and_b32_e32 v7, 0x80000000, v7
	s_delay_alu instid0(VALU_DEP_1)
	v_or3_b32 v6, v6, v7, v9
.LBB462_1581:                           ;   in Loop: Header=BB462_1471 Depth=1
	s_or_b32 exec_lo, exec_lo, s12
.LBB462_1582:                           ;   in Loop: Header=BB462_1471 Depth=1
	s_delay_alu instid0(SALU_CYCLE_1)
	s_or_b32 exec_lo, exec_lo, s9
.LBB462_1583:                           ;   in Loop: Header=BB462_1471 Depth=1
	s_delay_alu instid0(SALU_CYCLE_1) | instskip(NEXT) | instid1(VALU_DEP_1)
	s_or_b32 exec_lo, exec_lo, s0
	v_mul_f32_e32 v6, v26, v6
	s_mov_b32 s0, exec_lo
                                        ; implicit-def: $vgpr69
	s_delay_alu instid0(VALU_DEP_1) | instskip(NEXT) | instid1(VALU_DEP_1)
	v_and_b32_e32 v7, 0x7f800000, v6
	v_cmpx_ne_u32_e32 0x7f800000, v7
	s_xor_b32 s0, exec_lo, s0
; %bb.1584:                             ;   in Loop: Header=BB462_1471 Depth=1
	v_bfe_u32 v7, v6, 16, 1
	s_delay_alu instid0(VALU_DEP_1)
	v_add3_u32 v69, v6, v7, 0x7fff
                                        ; implicit-def: $vgpr6
; %bb.1585:                             ;   in Loop: Header=BB462_1471 Depth=1
	s_and_not1_saveexec_b32 s0, s0
; %bb.1586:                             ;   in Loop: Header=BB462_1471 Depth=1
	v_and_b32_e32 v7, 0xffff, v6
	v_or_b32_e32 v9, 0x10000, v6
	s_delay_alu instid0(VALU_DEP_2) | instskip(NEXT) | instid1(VALU_DEP_2)
	v_cmp_eq_u32_e32 vcc_lo, 0, v7
	v_cndmask_b32_e32 v69, v9, v6, vcc_lo
; %bb.1587:                             ;   in Loop: Header=BB462_1471 Depth=1
	s_or_b32 exec_lo, exec_lo, s0
	v_cmp_lt_u64_e32 vcc_lo, s[2:3], v[2:3]
	v_mov_b32_e32 v2, 0
	s_and_saveexec_b32 s0, vcc_lo
	s_cbranch_execz .LBB462_1595
; %bb.1588:                             ;   in Loop: Header=BB462_1471 Depth=1
	v_lshrrev_b32_e32 v6, 24, v3
	v_bfrev_b32_e32 v2, 1
	s_mov_b32 s9, exec_lo
	s_delay_alu instid0(VALU_DEP_2)
	v_cmpx_ne_u32_e32 0x80, v6
	s_cbranch_execz .LBB462_1594
; %bb.1589:                             ;   in Loop: Header=BB462_1471 Depth=1
	v_bfe_u32 v3, v3, 24, 7
	v_mov_b32_e32 v2, 0x7f800001
	s_mov_b32 s12, exec_lo
	s_delay_alu instid0(VALU_DEP_2)
	v_cmpx_ne_u32_e32 0x7f, v3
	s_cbranch_execz .LBB462_1593
; %bb.1590:                             ;   in Loop: Header=BB462_1471 Depth=1
	v_and_b32_e32 v9, 7, v6
	v_lshrrev_b32_e32 v7, 3, v3
	v_cmp_gt_u32_e32 vcc_lo, 8, v3
	s_delay_alu instid0(VALU_DEP_3)
	v_dual_mov_b32 v2, v9 :: v_dual_mov_b32 v3, v10
	s_and_saveexec_b32 s13, vcc_lo
; %bb.1591:                             ;   in Loop: Header=BB462_1471 Depth=1
	v_clz_i32_u32_e32 v2, v9
	s_delay_alu instid0(VALU_DEP_1) | instskip(NEXT) | instid1(VALU_DEP_1)
	v_min_u32_e32 v7, 32, v2
	v_subrev_nc_u32_e32 v2, 28, v7
	v_sub_nc_u32_e32 v7, 29, v7
	s_delay_alu instid0(VALU_DEP_2) | instskip(NEXT) | instid1(VALU_DEP_1)
	v_lshlrev_b64 v[2:3], v2, v[9:10]
	v_and_b32_e32 v2, 7, v2
; %bb.1592:                             ;   in Loop: Header=BB462_1471 Depth=1
	s_or_b32 exec_lo, exec_lo, s13
	v_lshlrev_b32_e32 v3, 24, v6
	s_delay_alu instid0(VALU_DEP_2) | instskip(SKIP_1) | instid1(VALU_DEP_3)
	v_lshlrev_b32_e32 v2, 20, v2
	v_lshl_add_u32 v6, v7, 23, 0x3c000000
	v_and_b32_e32 v3, 0x80000000, v3
	s_delay_alu instid0(VALU_DEP_1)
	v_or3_b32 v2, v2, v3, v6
.LBB462_1593:                           ;   in Loop: Header=BB462_1471 Depth=1
	s_or_b32 exec_lo, exec_lo, s12
.LBB462_1594:                           ;   in Loop: Header=BB462_1471 Depth=1
	s_delay_alu instid0(SALU_CYCLE_1)
	s_or_b32 exec_lo, exec_lo, s9
.LBB462_1595:                           ;   in Loop: Header=BB462_1471 Depth=1
	s_delay_alu instid0(SALU_CYCLE_1) | instskip(NEXT) | instid1(VALU_DEP_1)
	s_or_b32 exec_lo, exec_lo, s0
	v_mul_f32_e32 v3, v26, v2
	s_delay_alu instid0(VALU_DEP_1) | instskip(NEXT) | instid1(VALU_DEP_1)
	v_and_b32_e32 v2, 0x7f800000, v3
	v_cmp_ne_u32_e32 vcc_lo, 0x7f800000, v2
                                        ; implicit-def: $vgpr2
	s_and_saveexec_b32 s0, vcc_lo
	s_delay_alu instid0(SALU_CYCLE_1)
	s_xor_b32 s0, exec_lo, s0
; %bb.1596:                             ;   in Loop: Header=BB462_1471 Depth=1
	v_bfe_u32 v2, v3, 16, 1
	s_delay_alu instid0(VALU_DEP_1)
	v_add3_u32 v2, v3, v2, 0x7fff
                                        ; implicit-def: $vgpr3
; %bb.1597:                             ;   in Loop: Header=BB462_1471 Depth=1
	s_and_not1_saveexec_b32 s0, s0
; %bb.1598:                             ;   in Loop: Header=BB462_1471 Depth=1
	v_and_b32_e32 v2, 0xffff, v3
	v_or_b32_e32 v6, 0x10000, v3
	s_delay_alu instid0(VALU_DEP_2) | instskip(NEXT) | instid1(VALU_DEP_2)
	v_cmp_eq_u32_e32 vcc_lo, 0, v2
	v_cndmask_b32_e32 v2, v6, v3, vcc_lo
; %bb.1599:                             ;   in Loop: Header=BB462_1471 Depth=1
	s_or_b32 exec_lo, exec_lo, s0
	v_cmp_eq_u32_e32 vcc_lo, v27, v16
	v_add_nc_u32_e32 v67, -7, v15
	v_lshrrev_b32_e32 v6, 16, v68
	v_lshrrev_b32_e32 v7, 16, v66
	;; [unrolled: 1-line block ×8, first 2 shown]
	v_add_nc_u32_e32 v81, -6, v15
	v_add_nc_u32_e32 v80, -5, v15
	v_add_nc_u32_e32 v71, -4, v15
	v_add_nc_u32_e32 v70, -3, v15
	v_add_nc_u32_e32 v69, -2, v15
	v_add_nc_u32_e32 v68, -1, v15
	s_and_saveexec_b32 s9, vcc_lo
	s_cbranch_execz .LBB462_1601
; %bb.1600:                             ;   in Loop: Header=BB462_1471 Depth=1
	v_cmp_lt_i32_e64 s0, v67, v36
	s_delay_alu instid0(VALU_DEP_1) | instskip(SKIP_1) | instid1(VALU_DEP_1)
	v_cndmask_b32_e64 v8, 0, v8, s0
	v_cmp_lt_i32_e64 s0, v81, v36
	v_cndmask_b32_e64 v55, 0, v55, s0
	v_cmp_lt_i32_e64 s0, v80, v36
	s_delay_alu instid0(VALU_DEP_1) | instskip(SKIP_1) | instid1(VALU_DEP_1)
	v_cndmask_b32_e64 v64, 0, v64, s0
	v_cmp_lt_i32_e64 s0, v71, v36
	v_cndmask_b32_e64 v9, 0, v9, s0
	;; [unrolled: 5-line block ×4, first 2 shown]
.LBB462_1601:                           ;   in Loop: Header=BB462_1471 Depth=1
	s_or_b32 exec_lo, exec_lo, s9
	v_and_b32_e32 v82, 0xffff0000, v54
	v_lshlrev_b32_e32 v8, 16, v8
	s_delay_alu instid0(VALU_DEP_1) | instskip(NEXT) | instid1(VALU_DEP_1)
	v_mul_f32_e32 v54, v82, v8
	v_and_b32_e32 v8, 0x7f800000, v54
	s_delay_alu instid0(VALU_DEP_1) | instskip(NEXT) | instid1(VALU_DEP_1)
	v_cmp_ne_u32_e64 s0, 0x7f800000, v8
                                        ; implicit-def: $vgpr8
	s_and_saveexec_b32 s9, s0
	s_delay_alu instid0(SALU_CYCLE_1)
	s_xor_b32 s0, exec_lo, s9
; %bb.1602:                             ;   in Loop: Header=BB462_1471 Depth=1
	v_bfe_u32 v8, v54, 16, 1
	s_delay_alu instid0(VALU_DEP_1)
	v_add3_u32 v8, v54, v8, 0x7fff
                                        ; implicit-def: $vgpr54
; %bb.1603:                             ;   in Loop: Header=BB462_1471 Depth=1
	s_and_not1_saveexec_b32 s9, s0
; %bb.1604:                             ;   in Loop: Header=BB462_1471 Depth=1
	v_and_b32_e32 v8, 0xffff, v54
	v_or_b32_e32 v65, 0x10000, v54
	s_delay_alu instid0(VALU_DEP_2) | instskip(NEXT) | instid1(VALU_DEP_1)
	v_cmp_eq_u32_e64 s0, 0, v8
	v_cndmask_b32_e64 v8, v65, v54, s0
; %bb.1605:                             ;   in Loop: Header=BB462_1471 Depth=1
	s_or_b32 exec_lo, exec_lo, s9
	v_and_b32_e32 v83, 0xffff0000, v52
	v_lshlrev_b32_e32 v52, 16, v55
	s_delay_alu instid0(VALU_DEP_1) | instskip(NEXT) | instid1(VALU_DEP_1)
	v_mul_f32_e32 v54, v83, v52
	v_and_b32_e32 v52, 0x7f800000, v54
	s_delay_alu instid0(VALU_DEP_1) | instskip(NEXT) | instid1(VALU_DEP_1)
	v_cmp_ne_u32_e64 s0, 0x7f800000, v52
                                        ; implicit-def: $vgpr52
	s_and_saveexec_b32 s9, s0
	s_delay_alu instid0(SALU_CYCLE_1)
	s_xor_b32 s0, exec_lo, s9
; %bb.1606:                             ;   in Loop: Header=BB462_1471 Depth=1
	v_bfe_u32 v52, v54, 16, 1
	s_delay_alu instid0(VALU_DEP_1)
	v_add3_u32 v52, v54, v52, 0x7fff
                                        ; implicit-def: $vgpr54
; %bb.1607:                             ;   in Loop: Header=BB462_1471 Depth=1
	s_and_not1_saveexec_b32 s9, s0
; %bb.1608:                             ;   in Loop: Header=BB462_1471 Depth=1
	v_and_b32_e32 v52, 0xffff, v54
	v_or_b32_e32 v55, 0x10000, v54
	s_delay_alu instid0(VALU_DEP_2) | instskip(NEXT) | instid1(VALU_DEP_1)
	v_cmp_eq_u32_e64 s0, 0, v52
	v_cndmask_b32_e64 v52, v55, v54, s0
; %bb.1609:                             ;   in Loop: Header=BB462_1471 Depth=1
	s_or_b32 exec_lo, exec_lo, s9
	v_and_b32_e32 v84, 0xffff0000, v53
	v_lshlrev_b32_e32 v53, 16, v64
	s_delay_alu instid0(VALU_DEP_1) | instskip(NEXT) | instid1(VALU_DEP_1)
	v_mul_f32_e32 v54, v84, v53
	v_and_b32_e32 v53, 0x7f800000, v54
	s_delay_alu instid0(VALU_DEP_1) | instskip(NEXT) | instid1(VALU_DEP_1)
	v_cmp_ne_u32_e64 s0, 0x7f800000, v53
                                        ; implicit-def: $vgpr53
	s_and_saveexec_b32 s9, s0
	s_delay_alu instid0(SALU_CYCLE_1)
	s_xor_b32 s0, exec_lo, s9
; %bb.1610:                             ;   in Loop: Header=BB462_1471 Depth=1
	v_bfe_u32 v53, v54, 16, 1
	s_delay_alu instid0(VALU_DEP_1)
	v_add3_u32 v53, v54, v53, 0x7fff
                                        ; implicit-def: $vgpr54
; %bb.1611:                             ;   in Loop: Header=BB462_1471 Depth=1
	s_and_not1_saveexec_b32 s9, s0
; %bb.1612:                             ;   in Loop: Header=BB462_1471 Depth=1
	v_and_b32_e32 v53, 0xffff, v54
	v_or_b32_e32 v55, 0x10000, v54
	s_delay_alu instid0(VALU_DEP_2) | instskip(NEXT) | instid1(VALU_DEP_1)
	v_cmp_eq_u32_e64 s0, 0, v53
	v_cndmask_b32_e64 v53, v55, v54, s0
; %bb.1613:                             ;   in Loop: Header=BB462_1471 Depth=1
	s_or_b32 exec_lo, exec_lo, s9
	v_and_b32_e32 v85, 0xffff0000, v35
	v_lshlrev_b32_e32 v9, 16, v9
                                        ; implicit-def: $vgpr54
	s_delay_alu instid0(VALU_DEP_1) | instskip(NEXT) | instid1(VALU_DEP_1)
	v_mul_f32_e32 v9, v85, v9
	v_and_b32_e32 v35, 0x7f800000, v9
	s_delay_alu instid0(VALU_DEP_1) | instskip(NEXT) | instid1(VALU_DEP_1)
	v_cmp_ne_u32_e64 s0, 0x7f800000, v35
	s_and_saveexec_b32 s9, s0
	s_delay_alu instid0(SALU_CYCLE_1)
	s_xor_b32 s0, exec_lo, s9
; %bb.1614:                             ;   in Loop: Header=BB462_1471 Depth=1
	v_bfe_u32 v35, v9, 16, 1
	s_delay_alu instid0(VALU_DEP_1)
	v_add3_u32 v54, v9, v35, 0x7fff
                                        ; implicit-def: $vgpr9
; %bb.1615:                             ;   in Loop: Header=BB462_1471 Depth=1
	s_and_not1_saveexec_b32 s9, s0
; %bb.1616:                             ;   in Loop: Header=BB462_1471 Depth=1
	v_and_b32_e32 v35, 0xffff, v9
	v_or_b32_e32 v54, 0x10000, v9
	s_delay_alu instid0(VALU_DEP_2) | instskip(NEXT) | instid1(VALU_DEP_1)
	v_cmp_eq_u32_e64 s0, 0, v35
	v_cndmask_b32_e64 v54, v54, v9, s0
; %bb.1617:                             ;   in Loop: Header=BB462_1471 Depth=1
	s_or_b32 exec_lo, exec_lo, s9
	v_and_b32_e32 v86, 0xffff0000, v34
	v_lshlrev_b32_e32 v7, 16, v7
                                        ; implicit-def: $vgpr55
	s_delay_alu instid0(VALU_DEP_1) | instskip(NEXT) | instid1(VALU_DEP_1)
	v_mul_f32_e32 v7, v86, v7
	v_and_b32_e32 v9, 0x7f800000, v7
	s_delay_alu instid0(VALU_DEP_1) | instskip(NEXT) | instid1(VALU_DEP_1)
	v_cmp_ne_u32_e64 s0, 0x7f800000, v9
	s_and_saveexec_b32 s9, s0
	s_delay_alu instid0(SALU_CYCLE_1)
	s_xor_b32 s0, exec_lo, s9
; %bb.1618:                             ;   in Loop: Header=BB462_1471 Depth=1
	v_bfe_u32 v9, v7, 16, 1
	s_delay_alu instid0(VALU_DEP_1)
	v_add3_u32 v55, v7, v9, 0x7fff
                                        ; implicit-def: $vgpr7
; %bb.1619:                             ;   in Loop: Header=BB462_1471 Depth=1
	s_and_not1_saveexec_b32 s9, s0
; %bb.1620:                             ;   in Loop: Header=BB462_1471 Depth=1
	v_and_b32_e32 v9, 0xffff, v7
	v_or_b32_e32 v34, 0x10000, v7
	s_delay_alu instid0(VALU_DEP_2) | instskip(NEXT) | instid1(VALU_DEP_1)
	v_cmp_eq_u32_e64 s0, 0, v9
	v_cndmask_b32_e64 v55, v34, v7, s0
; %bb.1621:                             ;   in Loop: Header=BB462_1471 Depth=1
	s_or_b32 exec_lo, exec_lo, s9
	v_and_b32_e32 v87, 0xffff0000, v23
	v_lshlrev_b32_e32 v6, 16, v6
                                        ; implicit-def: $vgpr64
	s_delay_alu instid0(VALU_DEP_1) | instskip(NEXT) | instid1(VALU_DEP_1)
	v_mul_f32_e32 v6, v87, v6
	v_and_b32_e32 v7, 0x7f800000, v6
	s_delay_alu instid0(VALU_DEP_1) | instskip(NEXT) | instid1(VALU_DEP_1)
	v_cmp_ne_u32_e64 s0, 0x7f800000, v7
	s_and_saveexec_b32 s9, s0
	s_delay_alu instid0(SALU_CYCLE_1)
	s_xor_b32 s0, exec_lo, s9
; %bb.1622:                             ;   in Loop: Header=BB462_1471 Depth=1
	v_bfe_u32 v7, v6, 16, 1
	s_delay_alu instid0(VALU_DEP_1)
	v_add3_u32 v64, v6, v7, 0x7fff
                                        ; implicit-def: $vgpr6
; %bb.1623:                             ;   in Loop: Header=BB462_1471 Depth=1
	s_and_not1_saveexec_b32 s9, s0
; %bb.1624:                             ;   in Loop: Header=BB462_1471 Depth=1
	v_and_b32_e32 v7, 0xffff, v6
	v_or_b32_e32 v9, 0x10000, v6
	s_delay_alu instid0(VALU_DEP_2) | instskip(NEXT) | instid1(VALU_DEP_1)
	v_cmp_eq_u32_e64 s0, 0, v7
	v_cndmask_b32_e64 v64, v9, v6, s0
; %bb.1625:                             ;   in Loop: Header=BB462_1471 Depth=1
	s_or_b32 exec_lo, exec_lo, s9
	v_and_b32_e32 v96, 0xffff0000, v5
	v_lshlrev_b32_e32 v3, 16, v3
                                        ; implicit-def: $vgpr65
	s_delay_alu instid0(VALU_DEP_1) | instskip(NEXT) | instid1(VALU_DEP_1)
	v_mul_f32_e32 v3, v96, v3
	v_and_b32_e32 v5, 0x7f800000, v3
	s_delay_alu instid0(VALU_DEP_1) | instskip(NEXT) | instid1(VALU_DEP_1)
	v_cmp_ne_u32_e64 s0, 0x7f800000, v5
	s_and_saveexec_b32 s9, s0
	s_delay_alu instid0(SALU_CYCLE_1)
	s_xor_b32 s0, exec_lo, s9
; %bb.1626:                             ;   in Loop: Header=BB462_1471 Depth=1
	v_bfe_u32 v5, v3, 16, 1
	s_delay_alu instid0(VALU_DEP_1)
	v_add3_u32 v65, v3, v5, 0x7fff
                                        ; implicit-def: $vgpr3
; %bb.1627:                             ;   in Loop: Header=BB462_1471 Depth=1
	s_and_not1_saveexec_b32 s9, s0
; %bb.1628:                             ;   in Loop: Header=BB462_1471 Depth=1
	v_and_b32_e32 v5, 0xffff, v3
	v_or_b32_e32 v6, 0x10000, v3
	s_delay_alu instid0(VALU_DEP_2) | instskip(NEXT) | instid1(VALU_DEP_1)
	v_cmp_eq_u32_e64 s0, 0, v5
	v_cndmask_b32_e64 v65, v6, v3, s0
; %bb.1629:                             ;   in Loop: Header=BB462_1471 Depth=1
	s_or_b32 exec_lo, exec_lo, s9
	v_and_b32_e32 v97, 0xffff0000, v4
	v_lshlrev_b32_e32 v2, 16, v2
                                        ; implicit-def: $vgpr66
	s_delay_alu instid0(VALU_DEP_1) | instskip(NEXT) | instid1(VALU_DEP_1)
	v_mul_f32_e32 v2, v97, v2
	v_and_b32_e32 v3, 0x7f800000, v2
	s_delay_alu instid0(VALU_DEP_1) | instskip(NEXT) | instid1(VALU_DEP_1)
	v_cmp_ne_u32_e64 s0, 0x7f800000, v3
	s_and_saveexec_b32 s9, s0
	s_delay_alu instid0(SALU_CYCLE_1)
	s_xor_b32 s0, exec_lo, s9
; %bb.1630:                             ;   in Loop: Header=BB462_1471 Depth=1
	v_bfe_u32 v3, v2, 16, 1
	s_delay_alu instid0(VALU_DEP_1)
	v_add3_u32 v66, v2, v3, 0x7fff
                                        ; implicit-def: $vgpr2
; %bb.1631:                             ;   in Loop: Header=BB462_1471 Depth=1
	s_and_not1_saveexec_b32 s9, s0
; %bb.1632:                             ;   in Loop: Header=BB462_1471 Depth=1
	v_and_b32_e32 v3, 0xffff, v2
	v_or_b32_e32 v4, 0x10000, v2
	s_delay_alu instid0(VALU_DEP_2) | instskip(NEXT) | instid1(VALU_DEP_1)
	v_cmp_eq_u32_e64 s0, 0, v3
	v_cndmask_b32_e64 v66, v4, v2, s0
; %bb.1633:                             ;   in Loop: Header=BB462_1471 Depth=1
	s_or_b32 exec_lo, exec_lo, s9
	flat_load_b64 v[2:3], v[0:1] offset:256
	s_mov_b32 s9, exec_lo
	s_waitcnt vmcnt(0) lgkmcnt(0)
	v_dual_mov_b32 v4, 0 :: v_dual_and_b32 v5, 0xff, v2
	s_delay_alu instid0(VALU_DEP_1)
	v_cmpx_ne_u16_e32 0, v5
	s_cbranch_execz .LBB462_1641
; %bb.1634:                             ;   in Loop: Header=BB462_1471 Depth=1
	v_bfrev_b32_e32 v4, 1
	s_mov_b32 s12, exec_lo
	v_cmpx_ne_u16_e32 0x80, v5
	s_cbranch_execz .LBB462_1640
; %bb.1635:                             ;   in Loop: Header=BB462_1471 Depth=1
	v_and_b32_e32 v5, 0x7f, v2
	v_mov_b32_e32 v4, 0x7f800001
	s_mov_b32 s13, exec_lo
	s_delay_alu instid0(VALU_DEP_2)
	v_cmpx_ne_u32_e32 0x7f, v5
	s_cbranch_execz .LBB462_1639
; %bb.1636:                             ;   in Loop: Header=BB462_1471 Depth=1
	v_lshrrev_b32_e32 v4, 3, v5
	v_dual_mov_b32 v7, v3 :: v_dual_mov_b32 v6, v2
	s_mov_b32 s15, exec_lo
	v_cmpx_gt_u32_e32 8, v5
; %bb.1637:                             ;   in Loop: Header=BB462_1471 Depth=1
	v_and_b32_e32 v4, 7, v2
	s_delay_alu instid0(VALU_DEP_1) | instskip(NEXT) | instid1(VALU_DEP_1)
	v_clz_i32_u32_e32 v4, v4
	v_min_u32_e32 v4, 32, v4
	s_delay_alu instid0(VALU_DEP_1) | instskip(SKIP_1) | instid1(VALU_DEP_2)
	v_subrev_nc_u32_e32 v5, 28, v4
	v_sub_nc_u32_e32 v4, 29, v4
	v_lshlrev_b64 v[6:7], v5, v[2:3]
; %bb.1638:                             ;   in Loop: Header=BB462_1471 Depth=1
	s_or_b32 exec_lo, exec_lo, s15
	s_delay_alu instid0(VALU_DEP_1) | instskip(SKIP_2) | instid1(VALU_DEP_3)
	v_lshlrev_b32_e32 v5, 20, v6
	v_lshlrev_b32_e32 v6, 24, v2
	v_lshl_add_u32 v4, v4, 23, 0x3c000000
	v_and_b32_e32 v5, 0x700000, v5
	s_delay_alu instid0(VALU_DEP_3) | instskip(NEXT) | instid1(VALU_DEP_1)
	v_and_b32_e32 v6, 0x80000000, v6
	v_or3_b32 v4, v5, v6, v4
.LBB462_1639:                           ;   in Loop: Header=BB462_1471 Depth=1
	s_or_b32 exec_lo, exec_lo, s13
.LBB462_1640:                           ;   in Loop: Header=BB462_1471 Depth=1
	s_delay_alu instid0(SALU_CYCLE_1)
	s_or_b32 exec_lo, exec_lo, s12
.LBB462_1641:                           ;   in Loop: Header=BB462_1471 Depth=1
	s_delay_alu instid0(SALU_CYCLE_1) | instskip(NEXT) | instid1(VALU_DEP_1)
	s_or_b32 exec_lo, exec_lo, s9
	v_mul_f32_e32 v5, v26, v4
	s_delay_alu instid0(VALU_DEP_1) | instskip(NEXT) | instid1(VALU_DEP_1)
	v_and_b32_e32 v4, 0x7f800000, v5
	v_cmp_ne_u32_e64 s0, 0x7f800000, v4
                                        ; implicit-def: $vgpr4
	s_delay_alu instid0(VALU_DEP_1) | instskip(NEXT) | instid1(SALU_CYCLE_1)
	s_and_saveexec_b32 s9, s0
	s_xor_b32 s0, exec_lo, s9
; %bb.1642:                             ;   in Loop: Header=BB462_1471 Depth=1
	v_bfe_u32 v4, v5, 16, 1
	s_delay_alu instid0(VALU_DEP_1)
	v_add3_u32 v4, v5, v4, 0x7fff
                                        ; implicit-def: $vgpr5
; %bb.1643:                             ;   in Loop: Header=BB462_1471 Depth=1
	s_and_not1_saveexec_b32 s9, s0
; %bb.1644:                             ;   in Loop: Header=BB462_1471 Depth=1
	v_and_b32_e32 v4, 0xffff, v5
	v_or_b32_e32 v6, 0x10000, v5
	s_delay_alu instid0(VALU_DEP_2) | instskip(NEXT) | instid1(VALU_DEP_1)
	v_cmp_eq_u32_e64 s0, 0, v4
	v_cndmask_b32_e64 v4, v6, v5, s0
; %bb.1645:                             ;   in Loop: Header=BB462_1471 Depth=1
	s_or_b32 exec_lo, exec_lo, s9
	v_lshrrev_b16 v6, 8, v2
	v_mov_b32_e32 v5, 0
	s_mov_b32 s9, exec_lo
	s_delay_alu instid0(VALU_DEP_2)
	v_cmpx_ne_u16_e32 0, v6
	s_cbranch_execz .LBB462_1653
; %bb.1646:                             ;   in Loop: Header=BB462_1471 Depth=1
	v_bfrev_b32_e32 v5, 1
	s_mov_b32 s12, exec_lo
	v_cmpx_ne_u16_e32 0x80, v6
	s_cbranch_execz .LBB462_1652
; %bb.1647:                             ;   in Loop: Header=BB462_1471 Depth=1
	v_and_b32_e32 v7, 0xffff, v6
	v_mov_b32_e32 v5, 0x7f800001
	s_mov_b32 s13, exec_lo
	s_delay_alu instid0(VALU_DEP_2) | instskip(NEXT) | instid1(VALU_DEP_1)
	v_and_b32_e32 v6, 0x7f, v7
	v_cmpx_ne_u32_e32 0x7f, v6
	s_cbranch_execz .LBB462_1651
; %bb.1648:                             ;   in Loop: Header=BB462_1471 Depth=1
	v_and_b32_e32 v9, 7, v7
	v_lshrrev_b32_e32 v5, 3, v6
	v_cmp_gt_u32_e64 s0, 8, v6
	s_delay_alu instid0(VALU_DEP_3) | instskip(NEXT) | instid1(VALU_DEP_2)
	v_dual_mov_b32 v6, v9 :: v_dual_mov_b32 v7, v10
	s_and_saveexec_b32 s15, s0
; %bb.1649:                             ;   in Loop: Header=BB462_1471 Depth=1
	v_clz_i32_u32_e32 v5, v9
	s_delay_alu instid0(VALU_DEP_1) | instskip(NEXT) | instid1(VALU_DEP_1)
	v_min_u32_e32 v5, 32, v5
	v_subrev_nc_u32_e32 v6, 28, v5
	v_sub_nc_u32_e32 v5, 29, v5
	s_delay_alu instid0(VALU_DEP_2) | instskip(NEXT) | instid1(VALU_DEP_1)
	v_lshlrev_b64 v[6:7], v6, v[9:10]
	v_and_b32_e32 v6, 7, v6
; %bb.1650:                             ;   in Loop: Header=BB462_1471 Depth=1
	s_or_b32 exec_lo, exec_lo, s15
	v_lshlrev_b32_e32 v7, 16, v2
	s_delay_alu instid0(VALU_DEP_2) | instskip(SKIP_1) | instid1(VALU_DEP_3)
	v_lshlrev_b32_e32 v6, 20, v6
	v_lshl_add_u32 v5, v5, 23, 0x3c000000
	v_and_b32_e32 v7, 0x80000000, v7
	s_delay_alu instid0(VALU_DEP_1)
	v_or3_b32 v5, v6, v7, v5
.LBB462_1651:                           ;   in Loop: Header=BB462_1471 Depth=1
	s_or_b32 exec_lo, exec_lo, s13
.LBB462_1652:                           ;   in Loop: Header=BB462_1471 Depth=1
	s_delay_alu instid0(SALU_CYCLE_1)
	s_or_b32 exec_lo, exec_lo, s12
.LBB462_1653:                           ;   in Loop: Header=BB462_1471 Depth=1
	s_delay_alu instid0(SALU_CYCLE_1) | instskip(NEXT) | instid1(VALU_DEP_1)
	s_or_b32 exec_lo, exec_lo, s9
	v_mul_f32_e32 v6, v26, v5
	s_delay_alu instid0(VALU_DEP_1) | instskip(NEXT) | instid1(VALU_DEP_1)
	v_and_b32_e32 v5, 0x7f800000, v6
	v_cmp_ne_u32_e64 s0, 0x7f800000, v5
                                        ; implicit-def: $vgpr5
	s_delay_alu instid0(VALU_DEP_1) | instskip(NEXT) | instid1(SALU_CYCLE_1)
	s_and_saveexec_b32 s9, s0
	s_xor_b32 s0, exec_lo, s9
; %bb.1654:                             ;   in Loop: Header=BB462_1471 Depth=1
	v_bfe_u32 v5, v6, 16, 1
	s_delay_alu instid0(VALU_DEP_1)
	v_add3_u32 v5, v6, v5, 0x7fff
                                        ; implicit-def: $vgpr6
; %bb.1655:                             ;   in Loop: Header=BB462_1471 Depth=1
	s_and_not1_saveexec_b32 s9, s0
; %bb.1656:                             ;   in Loop: Header=BB462_1471 Depth=1
	v_and_b32_e32 v5, 0xffff, v6
	v_or_b32_e32 v7, 0x10000, v6
	s_delay_alu instid0(VALU_DEP_2) | instskip(NEXT) | instid1(VALU_DEP_1)
	v_cmp_eq_u32_e64 s0, 0, v5
	v_cndmask_b32_e64 v5, v7, v6, s0
; %bb.1657:                             ;   in Loop: Header=BB462_1471 Depth=1
	s_or_b32 exec_lo, exec_lo, s9
	v_lshrrev_b32_e32 v23, 16, v2
	s_mov_b32 s9, exec_lo
	s_delay_alu instid0(VALU_DEP_1) | instskip(NEXT) | instid1(VALU_DEP_1)
	v_dual_mov_b32 v6, 0 :: v_dual_and_b32 v7, 0xff, v23
	v_cmpx_ne_u16_e32 0, v7
	s_cbranch_execz .LBB462_1665
; %bb.1658:                             ;   in Loop: Header=BB462_1471 Depth=1
	v_bfrev_b32_e32 v6, 1
	s_mov_b32 s12, exec_lo
	v_cmpx_ne_u16_e32 0x80, v7
	s_cbranch_execz .LBB462_1664
; %bb.1659:                             ;   in Loop: Header=BB462_1471 Depth=1
	v_bfe_u32 v7, v2, 16, 7
	v_mov_b32_e32 v6, 0x7f800001
	s_mov_b32 s13, exec_lo
	s_delay_alu instid0(VALU_DEP_2)
	v_cmpx_ne_u32_e32 0x7f, v7
	s_cbranch_execz .LBB462_1663
; %bb.1660:                             ;   in Loop: Header=BB462_1471 Depth=1
	v_and_b32_e32 v9, 7, v23
	v_lshrrev_b32_e32 v34, 3, v7
	v_cmp_gt_u32_e64 s0, 8, v7
	s_delay_alu instid0(VALU_DEP_3) | instskip(NEXT) | instid1(VALU_DEP_2)
	v_dual_mov_b32 v6, v9 :: v_dual_mov_b32 v7, v10
	s_and_saveexec_b32 s15, s0
; %bb.1661:                             ;   in Loop: Header=BB462_1471 Depth=1
	v_clz_i32_u32_e32 v6, v9
	s_delay_alu instid0(VALU_DEP_1) | instskip(NEXT) | instid1(VALU_DEP_1)
	v_min_u32_e32 v34, 32, v6
	v_subrev_nc_u32_e32 v6, 28, v34
	v_sub_nc_u32_e32 v34, 29, v34
	s_delay_alu instid0(VALU_DEP_2) | instskip(NEXT) | instid1(VALU_DEP_1)
	v_lshlrev_b64 v[6:7], v6, v[9:10]
	v_and_b32_e32 v6, 7, v6
; %bb.1662:                             ;   in Loop: Header=BB462_1471 Depth=1
	s_or_b32 exec_lo, exec_lo, s15
	v_lshlrev_b32_e32 v7, 24, v23
	s_delay_alu instid0(VALU_DEP_2) | instskip(SKIP_1) | instid1(VALU_DEP_3)
	v_lshlrev_b32_e32 v6, 20, v6
	v_lshl_add_u32 v9, v34, 23, 0x3c000000
	v_and_b32_e32 v7, 0x80000000, v7
	s_delay_alu instid0(VALU_DEP_1)
	v_or3_b32 v6, v6, v7, v9
.LBB462_1663:                           ;   in Loop: Header=BB462_1471 Depth=1
	s_or_b32 exec_lo, exec_lo, s13
.LBB462_1664:                           ;   in Loop: Header=BB462_1471 Depth=1
	s_delay_alu instid0(SALU_CYCLE_1)
	s_or_b32 exec_lo, exec_lo, s12
.LBB462_1665:                           ;   in Loop: Header=BB462_1471 Depth=1
	s_delay_alu instid0(SALU_CYCLE_1) | instskip(NEXT) | instid1(VALU_DEP_1)
	s_or_b32 exec_lo, exec_lo, s9
	v_mul_f32_e32 v6, v26, v6
                                        ; implicit-def: $vgpr23
	s_delay_alu instid0(VALU_DEP_1) | instskip(NEXT) | instid1(VALU_DEP_1)
	v_and_b32_e32 v7, 0x7f800000, v6
	v_cmp_ne_u32_e64 s0, 0x7f800000, v7
	s_delay_alu instid0(VALU_DEP_1) | instskip(NEXT) | instid1(SALU_CYCLE_1)
	s_and_saveexec_b32 s9, s0
	s_xor_b32 s0, exec_lo, s9
; %bb.1666:                             ;   in Loop: Header=BB462_1471 Depth=1
	v_bfe_u32 v7, v6, 16, 1
	s_delay_alu instid0(VALU_DEP_1)
	v_add3_u32 v23, v6, v7, 0x7fff
                                        ; implicit-def: $vgpr6
; %bb.1667:                             ;   in Loop: Header=BB462_1471 Depth=1
	s_and_not1_saveexec_b32 s9, s0
; %bb.1668:                             ;   in Loop: Header=BB462_1471 Depth=1
	v_and_b32_e32 v7, 0xffff, v6
	v_or_b32_e32 v9, 0x10000, v6
	s_delay_alu instid0(VALU_DEP_2) | instskip(NEXT) | instid1(VALU_DEP_1)
	v_cmp_eq_u32_e64 s0, 0, v7
	v_cndmask_b32_e64 v23, v9, v6, s0
; %bb.1669:                             ;   in Loop: Header=BB462_1471 Depth=1
	s_or_b32 exec_lo, exec_lo, s9
	v_mov_b32_e32 v6, 0
	s_mov_b32 s9, exec_lo
	v_cmpx_lt_u32_e32 0xffffff, v2
	s_cbranch_execz .LBB462_1677
; %bb.1670:                             ;   in Loop: Header=BB462_1471 Depth=1
	v_lshrrev_b32_e32 v34, 24, v2
	v_bfrev_b32_e32 v6, 1
	s_mov_b32 s12, exec_lo
	s_delay_alu instid0(VALU_DEP_2)
	v_cmpx_ne_u32_e32 0x80, v34
	s_cbranch_execz .LBB462_1676
; %bb.1671:                             ;   in Loop: Header=BB462_1471 Depth=1
	v_bfe_u32 v7, v2, 24, 7
	v_mov_b32_e32 v6, 0x7f800001
	s_mov_b32 s13, exec_lo
	s_delay_alu instid0(VALU_DEP_2)
	v_cmpx_ne_u32_e32 0x7f, v7
	s_cbranch_execz .LBB462_1675
; %bb.1672:                             ;   in Loop: Header=BB462_1471 Depth=1
	v_and_b32_e32 v9, 7, v34
	v_lshrrev_b32_e32 v35, 3, v7
	v_cmp_gt_u32_e64 s0, 8, v7
	s_delay_alu instid0(VALU_DEP_3) | instskip(NEXT) | instid1(VALU_DEP_2)
	v_dual_mov_b32 v6, v9 :: v_dual_mov_b32 v7, v10
	s_and_saveexec_b32 s15, s0
; %bb.1673:                             ;   in Loop: Header=BB462_1471 Depth=1
	v_clz_i32_u32_e32 v6, v9
	s_delay_alu instid0(VALU_DEP_1) | instskip(NEXT) | instid1(VALU_DEP_1)
	v_min_u32_e32 v35, 32, v6
	v_subrev_nc_u32_e32 v6, 28, v35
	v_sub_nc_u32_e32 v35, 29, v35
	s_delay_alu instid0(VALU_DEP_2) | instskip(NEXT) | instid1(VALU_DEP_1)
	v_lshlrev_b64 v[6:7], v6, v[9:10]
	v_and_b32_e32 v6, 7, v6
; %bb.1674:                             ;   in Loop: Header=BB462_1471 Depth=1
	s_or_b32 exec_lo, exec_lo, s15
	v_lshlrev_b32_e32 v7, 24, v34
	s_delay_alu instid0(VALU_DEP_2) | instskip(SKIP_1) | instid1(VALU_DEP_3)
	v_lshlrev_b32_e32 v6, 20, v6
	v_lshl_add_u32 v9, v35, 23, 0x3c000000
	v_and_b32_e32 v7, 0x80000000, v7
	s_delay_alu instid0(VALU_DEP_1)
	v_or3_b32 v6, v6, v7, v9
.LBB462_1675:                           ;   in Loop: Header=BB462_1471 Depth=1
	s_or_b32 exec_lo, exec_lo, s13
.LBB462_1676:                           ;   in Loop: Header=BB462_1471 Depth=1
	s_delay_alu instid0(SALU_CYCLE_1)
	s_or_b32 exec_lo, exec_lo, s12
.LBB462_1677:                           ;   in Loop: Header=BB462_1471 Depth=1
	s_delay_alu instid0(SALU_CYCLE_1) | instskip(NEXT) | instid1(VALU_DEP_1)
	s_or_b32 exec_lo, exec_lo, s9
	v_mul_f32_e32 v6, v26, v6
                                        ; implicit-def: $vgpr34
	s_delay_alu instid0(VALU_DEP_1) | instskip(NEXT) | instid1(VALU_DEP_1)
	v_and_b32_e32 v7, 0x7f800000, v6
	v_cmp_ne_u32_e64 s0, 0x7f800000, v7
	s_delay_alu instid0(VALU_DEP_1) | instskip(NEXT) | instid1(SALU_CYCLE_1)
	s_and_saveexec_b32 s9, s0
	s_xor_b32 s0, exec_lo, s9
; %bb.1678:                             ;   in Loop: Header=BB462_1471 Depth=1
	v_bfe_u32 v7, v6, 16, 1
	s_delay_alu instid0(VALU_DEP_1)
	v_add3_u32 v34, v6, v7, 0x7fff
                                        ; implicit-def: $vgpr6
; %bb.1679:                             ;   in Loop: Header=BB462_1471 Depth=1
	s_and_not1_saveexec_b32 s9, s0
; %bb.1680:                             ;   in Loop: Header=BB462_1471 Depth=1
	v_and_b32_e32 v7, 0xffff, v6
	v_or_b32_e32 v9, 0x10000, v6
	s_delay_alu instid0(VALU_DEP_2) | instskip(NEXT) | instid1(VALU_DEP_1)
	v_cmp_eq_u32_e64 s0, 0, v7
	v_cndmask_b32_e64 v34, v9, v6, s0
; %bb.1681:                             ;   in Loop: Header=BB462_1471 Depth=1
	s_or_b32 exec_lo, exec_lo, s9
	v_dual_mov_b32 v6, 0 :: v_dual_and_b32 v7, 0xff, v3
	v_mov_b32_e32 v9, v3
	s_mov_b32 s9, exec_lo
	s_delay_alu instid0(VALU_DEP_2)
	v_cmpx_ne_u16_e32 0, v7
	s_cbranch_execz .LBB462_1689
; %bb.1682:                             ;   in Loop: Header=BB462_1471 Depth=1
	v_bfrev_b32_e32 v6, 1
	s_mov_b32 s12, exec_lo
	v_cmpx_ne_u16_e32 0x80, v7
	s_cbranch_execz .LBB462_1688
; %bb.1683:                             ;   in Loop: Header=BB462_1471 Depth=1
	v_and_b32_e32 v7, 0x7f, v3
	v_mov_b32_e32 v6, 0x7f800001
	s_mov_b32 s13, exec_lo
	s_delay_alu instid0(VALU_DEP_2)
	v_cmpx_ne_u32_e32 0x7f, v7
	s_cbranch_execz .LBB462_1687
; %bb.1684:                             ;   in Loop: Header=BB462_1471 Depth=1
	v_lshrrev_b32_e32 v35, 3, v7
	v_cmp_gt_u32_e64 s0, 8, v7
	v_dual_mov_b32 v6, v9 :: v_dual_mov_b32 v7, v10
	s_delay_alu instid0(VALU_DEP_2)
	s_and_saveexec_b32 s15, s0
; %bb.1685:                             ;   in Loop: Header=BB462_1471 Depth=1
	v_and_b32_e32 v6, 7, v3
	s_delay_alu instid0(VALU_DEP_1) | instskip(NEXT) | instid1(VALU_DEP_1)
	v_clz_i32_u32_e32 v6, v6
	v_min_u32_e32 v35, 32, v6
	s_delay_alu instid0(VALU_DEP_1) | instskip(SKIP_1) | instid1(VALU_DEP_2)
	v_subrev_nc_u32_e32 v6, 28, v35
	v_sub_nc_u32_e32 v35, 29, v35
	v_lshlrev_b64 v[6:7], v6, v[9:10]
; %bb.1686:                             ;   in Loop: Header=BB462_1471 Depth=1
	s_or_b32 exec_lo, exec_lo, s15
	s_delay_alu instid0(VALU_DEP_1) | instskip(SKIP_2) | instid1(VALU_DEP_3)
	v_lshlrev_b32_e32 v6, 20, v6
	v_lshlrev_b32_e32 v7, 24, v9
	v_lshl_add_u32 v35, v35, 23, 0x3c000000
	v_and_b32_e32 v6, 0x700000, v6
	s_delay_alu instid0(VALU_DEP_3) | instskip(NEXT) | instid1(VALU_DEP_1)
	v_and_b32_e32 v7, 0x80000000, v7
	v_or3_b32 v6, v6, v7, v35
.LBB462_1687:                           ;   in Loop: Header=BB462_1471 Depth=1
	s_or_b32 exec_lo, exec_lo, s13
.LBB462_1688:                           ;   in Loop: Header=BB462_1471 Depth=1
	s_delay_alu instid0(SALU_CYCLE_1)
	s_or_b32 exec_lo, exec_lo, s12
.LBB462_1689:                           ;   in Loop: Header=BB462_1471 Depth=1
	s_delay_alu instid0(SALU_CYCLE_1) | instskip(NEXT) | instid1(VALU_DEP_1)
	s_or_b32 exec_lo, exec_lo, s9
	v_mul_f32_e32 v6, v26, v6
                                        ; implicit-def: $vgpr35
	s_delay_alu instid0(VALU_DEP_1) | instskip(NEXT) | instid1(VALU_DEP_1)
	v_and_b32_e32 v7, 0x7f800000, v6
	v_cmp_ne_u32_e64 s0, 0x7f800000, v7
	s_delay_alu instid0(VALU_DEP_1) | instskip(NEXT) | instid1(SALU_CYCLE_1)
	s_and_saveexec_b32 s9, s0
	s_xor_b32 s0, exec_lo, s9
; %bb.1690:                             ;   in Loop: Header=BB462_1471 Depth=1
	v_bfe_u32 v7, v6, 16, 1
	s_delay_alu instid0(VALU_DEP_1)
	v_add3_u32 v35, v6, v7, 0x7fff
                                        ; implicit-def: $vgpr6
; %bb.1691:                             ;   in Loop: Header=BB462_1471 Depth=1
	s_and_not1_saveexec_b32 s9, s0
; %bb.1692:                             ;   in Loop: Header=BB462_1471 Depth=1
	v_and_b32_e32 v7, 0xffff, v6
	v_or_b32_e32 v35, 0x10000, v6
	s_delay_alu instid0(VALU_DEP_2) | instskip(NEXT) | instid1(VALU_DEP_1)
	v_cmp_eq_u32_e64 s0, 0, v7
	v_cndmask_b32_e64 v35, v35, v6, s0
; %bb.1693:                             ;   in Loop: Header=BB462_1471 Depth=1
	s_or_b32 exec_lo, exec_lo, s9
	v_lshrrev_b16 v7, 8, v9
	v_mov_b32_e32 v6, 0
	s_mov_b32 s9, exec_lo
	s_delay_alu instid0(VALU_DEP_2)
	v_cmpx_ne_u16_e32 0, v7
	s_cbranch_execz .LBB462_1701
; %bb.1694:                             ;   in Loop: Header=BB462_1471 Depth=1
	v_bfrev_b32_e32 v6, 1
	s_mov_b32 s12, exec_lo
	v_cmpx_ne_u16_e32 0x80, v7
	s_cbranch_execz .LBB462_1700
; %bb.1695:                             ;   in Loop: Header=BB462_1471 Depth=1
	v_and_b32_e32 v7, 0xffff, v7
	v_mov_b32_e32 v6, 0x7f800001
	s_mov_b32 s13, exec_lo
	s_delay_alu instid0(VALU_DEP_2) | instskip(NEXT) | instid1(VALU_DEP_1)
	v_and_b32_e32 v99, 0x7f, v7
	v_cmpx_ne_u32_e32 0x7f, v99
	s_cbranch_execz .LBB462_1699
; %bb.1696:                             ;   in Loop: Header=BB462_1471 Depth=1
	v_dual_mov_b32 v7, v10 :: v_dual_and_b32 v6, 7, v7
	v_lshrrev_b32_e32 v98, 3, v99
	s_mov_b32 s15, exec_lo
	v_cmpx_gt_u32_e32 8, v99
; %bb.1697:                             ;   in Loop: Header=BB462_1471 Depth=1
	s_delay_alu instid0(VALU_DEP_3) | instskip(NEXT) | instid1(VALU_DEP_1)
	v_clz_i32_u32_e32 v98, v6
	v_min_u32_e32 v98, 32, v98
	s_delay_alu instid0(VALU_DEP_1) | instskip(SKIP_1) | instid1(VALU_DEP_2)
	v_subrev_nc_u32_e32 v99, 28, v98
	v_sub_nc_u32_e32 v98, 29, v98
	v_lshlrev_b64 v[6:7], v99, v[6:7]
	s_delay_alu instid0(VALU_DEP_1)
	v_and_b32_e32 v6, 7, v6
; %bb.1698:                             ;   in Loop: Header=BB462_1471 Depth=1
	s_or_b32 exec_lo, exec_lo, s15
	v_lshlrev_b32_e32 v7, 16, v9
	s_delay_alu instid0(VALU_DEP_2) | instskip(SKIP_1) | instid1(VALU_DEP_3)
	v_lshlrev_b32_e32 v6, 20, v6
	v_lshl_add_u32 v9, v98, 23, 0x3c000000
	v_and_b32_e32 v7, 0x80000000, v7
	s_delay_alu instid0(VALU_DEP_1)
	v_or3_b32 v6, v6, v7, v9
.LBB462_1699:                           ;   in Loop: Header=BB462_1471 Depth=1
	s_or_b32 exec_lo, exec_lo, s13
.LBB462_1700:                           ;   in Loop: Header=BB462_1471 Depth=1
	s_delay_alu instid0(SALU_CYCLE_1)
	s_or_b32 exec_lo, exec_lo, s12
.LBB462_1701:                           ;   in Loop: Header=BB462_1471 Depth=1
	s_delay_alu instid0(SALU_CYCLE_1) | instskip(NEXT) | instid1(VALU_DEP_1)
	s_or_b32 exec_lo, exec_lo, s9
	v_mul_f32_e32 v6, v26, v6
                                        ; implicit-def: $vgpr98
	s_delay_alu instid0(VALU_DEP_1) | instskip(NEXT) | instid1(VALU_DEP_1)
	v_and_b32_e32 v7, 0x7f800000, v6
	v_cmp_ne_u32_e64 s0, 0x7f800000, v7
	s_delay_alu instid0(VALU_DEP_1) | instskip(NEXT) | instid1(SALU_CYCLE_1)
	s_and_saveexec_b32 s9, s0
	s_xor_b32 s0, exec_lo, s9
; %bb.1702:                             ;   in Loop: Header=BB462_1471 Depth=1
	v_bfe_u32 v7, v6, 16, 1
	s_delay_alu instid0(VALU_DEP_1)
	v_add3_u32 v98, v6, v7, 0x7fff
                                        ; implicit-def: $vgpr6
; %bb.1703:                             ;   in Loop: Header=BB462_1471 Depth=1
	s_and_not1_saveexec_b32 s9, s0
; %bb.1704:                             ;   in Loop: Header=BB462_1471 Depth=1
	v_and_b32_e32 v7, 0xffff, v6
	v_or_b32_e32 v9, 0x10000, v6
	s_delay_alu instid0(VALU_DEP_2) | instskip(NEXT) | instid1(VALU_DEP_1)
	v_cmp_eq_u32_e64 s0, 0, v7
	v_cndmask_b32_e64 v98, v9, v6, s0
; %bb.1705:                             ;   in Loop: Header=BB462_1471 Depth=1
	s_or_b32 exec_lo, exec_lo, s9
	v_lshrrev_b32_e32 v99, 16, v3
	s_mov_b32 s9, exec_lo
	s_delay_alu instid0(VALU_DEP_1) | instskip(NEXT) | instid1(VALU_DEP_1)
	v_dual_mov_b32 v6, 0 :: v_dual_and_b32 v7, 0xff, v99
	v_cmpx_ne_u16_e32 0, v7
	s_cbranch_execz .LBB462_1713
; %bb.1706:                             ;   in Loop: Header=BB462_1471 Depth=1
	v_bfrev_b32_e32 v6, 1
	s_mov_b32 s12, exec_lo
	v_cmpx_ne_u16_e32 0x80, v7
	s_cbranch_execz .LBB462_1712
; %bb.1707:                             ;   in Loop: Header=BB462_1471 Depth=1
	v_bfe_u32 v7, v3, 16, 7
	v_mov_b32_e32 v6, 0x7f800001
	s_mov_b32 s13, exec_lo
	s_delay_alu instid0(VALU_DEP_2)
	v_cmpx_ne_u32_e32 0x7f, v7
	s_cbranch_execz .LBB462_1711
; %bb.1708:                             ;   in Loop: Header=BB462_1471 Depth=1
	v_and_b32_e32 v9, 7, v99
	v_lshrrev_b32_e32 v100, 3, v7
	v_cmp_gt_u32_e64 s0, 8, v7
	s_delay_alu instid0(VALU_DEP_3) | instskip(NEXT) | instid1(VALU_DEP_2)
	v_dual_mov_b32 v6, v9 :: v_dual_mov_b32 v7, v10
	s_and_saveexec_b32 s15, s0
; %bb.1709:                             ;   in Loop: Header=BB462_1471 Depth=1
	v_clz_i32_u32_e32 v6, v9
	s_delay_alu instid0(VALU_DEP_1) | instskip(NEXT) | instid1(VALU_DEP_1)
	v_min_u32_e32 v100, 32, v6
	v_subrev_nc_u32_e32 v6, 28, v100
	v_sub_nc_u32_e32 v100, 29, v100
	s_delay_alu instid0(VALU_DEP_2) | instskip(NEXT) | instid1(VALU_DEP_1)
	v_lshlrev_b64 v[6:7], v6, v[9:10]
	v_and_b32_e32 v6, 7, v6
; %bb.1710:                             ;   in Loop: Header=BB462_1471 Depth=1
	s_or_b32 exec_lo, exec_lo, s15
	v_lshlrev_b32_e32 v7, 24, v99
	s_delay_alu instid0(VALU_DEP_2) | instskip(SKIP_1) | instid1(VALU_DEP_3)
	v_lshlrev_b32_e32 v6, 20, v6
	v_lshl_add_u32 v9, v100, 23, 0x3c000000
	v_and_b32_e32 v7, 0x80000000, v7
	s_delay_alu instid0(VALU_DEP_1)
	v_or3_b32 v6, v6, v7, v9
.LBB462_1711:                           ;   in Loop: Header=BB462_1471 Depth=1
	s_or_b32 exec_lo, exec_lo, s13
.LBB462_1712:                           ;   in Loop: Header=BB462_1471 Depth=1
	s_delay_alu instid0(SALU_CYCLE_1)
	s_or_b32 exec_lo, exec_lo, s12
.LBB462_1713:                           ;   in Loop: Header=BB462_1471 Depth=1
	s_delay_alu instid0(SALU_CYCLE_1) | instskip(NEXT) | instid1(VALU_DEP_1)
	s_or_b32 exec_lo, exec_lo, s9
	v_mul_f32_e32 v6, v26, v6
                                        ; implicit-def: $vgpr99
	s_delay_alu instid0(VALU_DEP_1) | instskip(NEXT) | instid1(VALU_DEP_1)
	v_and_b32_e32 v7, 0x7f800000, v6
	v_cmp_ne_u32_e64 s0, 0x7f800000, v7
	s_delay_alu instid0(VALU_DEP_1) | instskip(NEXT) | instid1(SALU_CYCLE_1)
	s_and_saveexec_b32 s9, s0
	s_xor_b32 s0, exec_lo, s9
; %bb.1714:                             ;   in Loop: Header=BB462_1471 Depth=1
	v_bfe_u32 v7, v6, 16, 1
	s_delay_alu instid0(VALU_DEP_1)
	v_add3_u32 v99, v6, v7, 0x7fff
                                        ; implicit-def: $vgpr6
; %bb.1715:                             ;   in Loop: Header=BB462_1471 Depth=1
	s_and_not1_saveexec_b32 s9, s0
; %bb.1716:                             ;   in Loop: Header=BB462_1471 Depth=1
	v_and_b32_e32 v7, 0xffff, v6
	v_or_b32_e32 v9, 0x10000, v6
	s_delay_alu instid0(VALU_DEP_2) | instskip(NEXT) | instid1(VALU_DEP_1)
	v_cmp_eq_u32_e64 s0, 0, v7
	v_cndmask_b32_e64 v99, v9, v6, s0
; %bb.1717:                             ;   in Loop: Header=BB462_1471 Depth=1
	s_or_b32 exec_lo, exec_lo, s9
	v_cmp_lt_u64_e64 s0, s[2:3], v[2:3]
	v_mov_b32_e32 v2, 0
	s_delay_alu instid0(VALU_DEP_2)
	s_and_saveexec_b32 s9, s0
	s_cbranch_execz .LBB462_1725
; %bb.1718:                             ;   in Loop: Header=BB462_1471 Depth=1
	v_lshrrev_b32_e32 v6, 24, v3
	v_bfrev_b32_e32 v2, 1
	s_mov_b32 s12, exec_lo
	s_delay_alu instid0(VALU_DEP_2)
	v_cmpx_ne_u32_e32 0x80, v6
	s_cbranch_execz .LBB462_1724
; %bb.1719:                             ;   in Loop: Header=BB462_1471 Depth=1
	v_bfe_u32 v3, v3, 24, 7
	v_mov_b32_e32 v2, 0x7f800001
	s_mov_b32 s13, exec_lo
	s_delay_alu instid0(VALU_DEP_2)
	v_cmpx_ne_u32_e32 0x7f, v3
	s_cbranch_execz .LBB462_1723
; %bb.1720:                             ;   in Loop: Header=BB462_1471 Depth=1
	v_and_b32_e32 v9, 7, v6
	v_lshrrev_b32_e32 v7, 3, v3
	v_cmp_gt_u32_e64 s0, 8, v3
	s_delay_alu instid0(VALU_DEP_3) | instskip(NEXT) | instid1(VALU_DEP_2)
	v_dual_mov_b32 v2, v9 :: v_dual_mov_b32 v3, v10
	s_and_saveexec_b32 s15, s0
; %bb.1721:                             ;   in Loop: Header=BB462_1471 Depth=1
	v_clz_i32_u32_e32 v2, v9
	s_delay_alu instid0(VALU_DEP_1) | instskip(NEXT) | instid1(VALU_DEP_1)
	v_min_u32_e32 v7, 32, v2
	v_subrev_nc_u32_e32 v2, 28, v7
	v_sub_nc_u32_e32 v7, 29, v7
	s_delay_alu instid0(VALU_DEP_2) | instskip(NEXT) | instid1(VALU_DEP_1)
	v_lshlrev_b64 v[2:3], v2, v[9:10]
	v_and_b32_e32 v2, 7, v2
; %bb.1722:                             ;   in Loop: Header=BB462_1471 Depth=1
	s_or_b32 exec_lo, exec_lo, s15
	v_lshlrev_b32_e32 v3, 24, v6
	s_delay_alu instid0(VALU_DEP_2) | instskip(SKIP_1) | instid1(VALU_DEP_3)
	v_lshlrev_b32_e32 v2, 20, v2
	v_lshl_add_u32 v6, v7, 23, 0x3c000000
	v_and_b32_e32 v3, 0x80000000, v3
	s_delay_alu instid0(VALU_DEP_1)
	v_or3_b32 v2, v2, v3, v6
.LBB462_1723:                           ;   in Loop: Header=BB462_1471 Depth=1
	s_or_b32 exec_lo, exec_lo, s13
.LBB462_1724:                           ;   in Loop: Header=BB462_1471 Depth=1
	s_delay_alu instid0(SALU_CYCLE_1)
	s_or_b32 exec_lo, exec_lo, s12
.LBB462_1725:                           ;   in Loop: Header=BB462_1471 Depth=1
	s_delay_alu instid0(SALU_CYCLE_1) | instskip(NEXT) | instid1(VALU_DEP_1)
	s_or_b32 exec_lo, exec_lo, s9
	v_mul_f32_e32 v3, v26, v2
	s_delay_alu instid0(VALU_DEP_1) | instskip(NEXT) | instid1(VALU_DEP_1)
	v_and_b32_e32 v2, 0x7f800000, v3
	v_cmp_ne_u32_e64 s0, 0x7f800000, v2
                                        ; implicit-def: $vgpr2
	s_delay_alu instid0(VALU_DEP_1) | instskip(NEXT) | instid1(SALU_CYCLE_1)
	s_and_saveexec_b32 s9, s0
	s_xor_b32 s0, exec_lo, s9
; %bb.1726:                             ;   in Loop: Header=BB462_1471 Depth=1
	v_bfe_u32 v2, v3, 16, 1
	s_delay_alu instid0(VALU_DEP_1)
	v_add3_u32 v2, v3, v2, 0x7fff
                                        ; implicit-def: $vgpr3
; %bb.1727:                             ;   in Loop: Header=BB462_1471 Depth=1
	s_and_not1_saveexec_b32 s9, s0
; %bb.1728:                             ;   in Loop: Header=BB462_1471 Depth=1
	v_and_b32_e32 v2, 0xffff, v3
	v_or_b32_e32 v6, 0x10000, v3
	s_delay_alu instid0(VALU_DEP_2) | instskip(NEXT) | instid1(VALU_DEP_1)
	v_cmp_eq_u32_e64 s0, 0, v2
	v_cndmask_b32_e64 v2, v6, v3, s0
; %bb.1729:                             ;   in Loop: Header=BB462_1471 Depth=1
	s_or_b32 exec_lo, exec_lo, s9
	v_lshrrev_b32_e32 v6, 16, v98
	v_lshrrev_b32_e32 v7, 16, v35
	;; [unrolled: 1-line block ×8, first 2 shown]
	s_and_saveexec_b32 s9, vcc_lo
	s_cbranch_execz .LBB462_1731
; %bb.1730:                             ;   in Loop: Header=BB462_1471 Depth=1
	v_cmp_lt_i32_e64 s0, v67, v36
	s_delay_alu instid0(VALU_DEP_1) | instskip(SKIP_1) | instid1(VALU_DEP_1)
	v_cndmask_b32_e64 v4, 0, v4, s0
	v_cmp_lt_i32_e64 s0, v81, v36
	v_cndmask_b32_e64 v5, 0, v5, s0
	v_cmp_lt_i32_e64 s0, v80, v36
	s_delay_alu instid0(VALU_DEP_1) | instskip(SKIP_1) | instid1(VALU_DEP_1)
	v_cndmask_b32_e64 v23, 0, v23, s0
	v_cmp_lt_i32_e64 s0, v71, v36
	v_cndmask_b32_e64 v9, 0, v9, s0
	;; [unrolled: 5-line block ×4, first 2 shown]
.LBB462_1731:                           ;   in Loop: Header=BB462_1471 Depth=1
	s_or_b32 exec_lo, exec_lo, s9
	v_lshlrev_b32_e32 v4, 16, v4
                                        ; implicit-def: $vgpr98
	s_delay_alu instid0(VALU_DEP_1) | instskip(NEXT) | instid1(VALU_DEP_1)
	v_mul_f32_e32 v4, v82, v4
	v_and_b32_e32 v34, 0x7f800000, v4
	s_delay_alu instid0(VALU_DEP_1) | instskip(NEXT) | instid1(VALU_DEP_1)
	v_cmp_ne_u32_e64 s0, 0x7f800000, v34
	s_and_saveexec_b32 s9, s0
	s_delay_alu instid0(SALU_CYCLE_1)
	s_xor_b32 s0, exec_lo, s9
; %bb.1732:                             ;   in Loop: Header=BB462_1471 Depth=1
	v_bfe_u32 v34, v4, 16, 1
	s_delay_alu instid0(VALU_DEP_1)
	v_add3_u32 v98, v4, v34, 0x7fff
                                        ; implicit-def: $vgpr4
; %bb.1733:                             ;   in Loop: Header=BB462_1471 Depth=1
	s_and_not1_saveexec_b32 s9, s0
; %bb.1734:                             ;   in Loop: Header=BB462_1471 Depth=1
	v_and_b32_e32 v34, 0xffff, v4
	v_or_b32_e32 v35, 0x10000, v4
	s_delay_alu instid0(VALU_DEP_2) | instskip(NEXT) | instid1(VALU_DEP_1)
	v_cmp_eq_u32_e64 s0, 0, v34
	v_cndmask_b32_e64 v98, v35, v4, s0
; %bb.1735:                             ;   in Loop: Header=BB462_1471 Depth=1
	s_or_b32 exec_lo, exec_lo, s9
	v_lshlrev_b32_e32 v4, 16, v5
                                        ; implicit-def: $vgpr99
	s_delay_alu instid0(VALU_DEP_1) | instskip(NEXT) | instid1(VALU_DEP_1)
	v_mul_f32_e32 v4, v83, v4
	v_and_b32_e32 v5, 0x7f800000, v4
	s_delay_alu instid0(VALU_DEP_1) | instskip(NEXT) | instid1(VALU_DEP_1)
	v_cmp_ne_u32_e64 s0, 0x7f800000, v5
	s_and_saveexec_b32 s9, s0
	s_delay_alu instid0(SALU_CYCLE_1)
	s_xor_b32 s0, exec_lo, s9
; %bb.1736:                             ;   in Loop: Header=BB462_1471 Depth=1
	v_bfe_u32 v5, v4, 16, 1
	s_delay_alu instid0(VALU_DEP_1)
	v_add3_u32 v99, v4, v5, 0x7fff
                                        ; implicit-def: $vgpr4
; %bb.1737:                             ;   in Loop: Header=BB462_1471 Depth=1
	s_and_not1_saveexec_b32 s9, s0
; %bb.1738:                             ;   in Loop: Header=BB462_1471 Depth=1
	v_and_b32_e32 v5, 0xffff, v4
	v_or_b32_e32 v34, 0x10000, v4
	s_delay_alu instid0(VALU_DEP_2) | instskip(NEXT) | instid1(VALU_DEP_1)
	v_cmp_eq_u32_e64 s0, 0, v5
	v_cndmask_b32_e64 v99, v34, v4, s0
; %bb.1739:                             ;   in Loop: Header=BB462_1471 Depth=1
	s_or_b32 exec_lo, exec_lo, s9
	v_lshlrev_b32_e32 v4, 16, v23
                                        ; implicit-def: $vgpr100
	s_delay_alu instid0(VALU_DEP_1) | instskip(NEXT) | instid1(VALU_DEP_1)
	v_mul_f32_e32 v4, v84, v4
	v_and_b32_e32 v5, 0x7f800000, v4
	s_delay_alu instid0(VALU_DEP_1) | instskip(NEXT) | instid1(VALU_DEP_1)
	v_cmp_ne_u32_e64 s0, 0x7f800000, v5
	s_and_saveexec_b32 s9, s0
	s_delay_alu instid0(SALU_CYCLE_1)
	s_xor_b32 s0, exec_lo, s9
; %bb.1740:                             ;   in Loop: Header=BB462_1471 Depth=1
	v_bfe_u32 v5, v4, 16, 1
	s_delay_alu instid0(VALU_DEP_1)
	v_add3_u32 v100, v4, v5, 0x7fff
                                        ; implicit-def: $vgpr4
; %bb.1741:                             ;   in Loop: Header=BB462_1471 Depth=1
	s_and_not1_saveexec_b32 s9, s0
; %bb.1742:                             ;   in Loop: Header=BB462_1471 Depth=1
	v_and_b32_e32 v5, 0xffff, v4
	v_or_b32_e32 v23, 0x10000, v4
	s_delay_alu instid0(VALU_DEP_2) | instskip(NEXT) | instid1(VALU_DEP_1)
	v_cmp_eq_u32_e64 s0, 0, v5
	v_cndmask_b32_e64 v100, v23, v4, s0
; %bb.1743:                             ;   in Loop: Header=BB462_1471 Depth=1
	s_or_b32 exec_lo, exec_lo, s9
	v_lshlrev_b32_e32 v4, 16, v9
                                        ; implicit-def: $vgpr101
	s_delay_alu instid0(VALU_DEP_1) | instskip(NEXT) | instid1(VALU_DEP_1)
	v_mul_f32_e32 v4, v85, v4
	v_and_b32_e32 v5, 0x7f800000, v4
	s_delay_alu instid0(VALU_DEP_1) | instskip(NEXT) | instid1(VALU_DEP_1)
	v_cmp_ne_u32_e64 s0, 0x7f800000, v5
	s_and_saveexec_b32 s9, s0
	s_delay_alu instid0(SALU_CYCLE_1)
	s_xor_b32 s0, exec_lo, s9
; %bb.1744:                             ;   in Loop: Header=BB462_1471 Depth=1
	v_bfe_u32 v5, v4, 16, 1
	s_delay_alu instid0(VALU_DEP_1)
	v_add3_u32 v101, v4, v5, 0x7fff
                                        ; implicit-def: $vgpr4
; %bb.1745:                             ;   in Loop: Header=BB462_1471 Depth=1
	s_and_not1_saveexec_b32 s9, s0
; %bb.1746:                             ;   in Loop: Header=BB462_1471 Depth=1
	v_and_b32_e32 v5, 0xffff, v4
	v_or_b32_e32 v9, 0x10000, v4
	s_delay_alu instid0(VALU_DEP_2) | instskip(NEXT) | instid1(VALU_DEP_1)
	v_cmp_eq_u32_e64 s0, 0, v5
	v_cndmask_b32_e64 v101, v9, v4, s0
; %bb.1747:                             ;   in Loop: Header=BB462_1471 Depth=1
	s_or_b32 exec_lo, exec_lo, s9
	v_lshlrev_b32_e32 v4, 16, v7
                                        ; implicit-def: $vgpr102
	s_delay_alu instid0(VALU_DEP_1) | instskip(NEXT) | instid1(VALU_DEP_1)
	v_mul_f32_e32 v4, v86, v4
	v_and_b32_e32 v5, 0x7f800000, v4
	s_delay_alu instid0(VALU_DEP_1) | instskip(NEXT) | instid1(VALU_DEP_1)
	v_cmp_ne_u32_e64 s0, 0x7f800000, v5
	s_and_saveexec_b32 s9, s0
	s_delay_alu instid0(SALU_CYCLE_1)
	s_xor_b32 s0, exec_lo, s9
; %bb.1748:                             ;   in Loop: Header=BB462_1471 Depth=1
	v_bfe_u32 v5, v4, 16, 1
	s_delay_alu instid0(VALU_DEP_1)
	v_add3_u32 v102, v4, v5, 0x7fff
                                        ; implicit-def: $vgpr4
; %bb.1749:                             ;   in Loop: Header=BB462_1471 Depth=1
	s_and_not1_saveexec_b32 s9, s0
; %bb.1750:                             ;   in Loop: Header=BB462_1471 Depth=1
	v_and_b32_e32 v5, 0xffff, v4
	v_or_b32_e32 v7, 0x10000, v4
	s_delay_alu instid0(VALU_DEP_2) | instskip(NEXT) | instid1(VALU_DEP_1)
	v_cmp_eq_u32_e64 s0, 0, v5
	v_cndmask_b32_e64 v102, v7, v4, s0
; %bb.1751:                             ;   in Loop: Header=BB462_1471 Depth=1
	s_or_b32 exec_lo, exec_lo, s9
	v_lshlrev_b32_e32 v4, 16, v6
                                        ; implicit-def: $vgpr103
	s_delay_alu instid0(VALU_DEP_1) | instskip(NEXT) | instid1(VALU_DEP_1)
	v_mul_f32_e32 v4, v87, v4
	v_and_b32_e32 v5, 0x7f800000, v4
	s_delay_alu instid0(VALU_DEP_1) | instskip(NEXT) | instid1(VALU_DEP_1)
	v_cmp_ne_u32_e64 s0, 0x7f800000, v5
	s_and_saveexec_b32 s9, s0
	s_delay_alu instid0(SALU_CYCLE_1)
	s_xor_b32 s0, exec_lo, s9
; %bb.1752:                             ;   in Loop: Header=BB462_1471 Depth=1
	v_bfe_u32 v5, v4, 16, 1
	s_delay_alu instid0(VALU_DEP_1)
	v_add3_u32 v103, v4, v5, 0x7fff
                                        ; implicit-def: $vgpr4
; %bb.1753:                             ;   in Loop: Header=BB462_1471 Depth=1
	s_and_not1_saveexec_b32 s9, s0
; %bb.1754:                             ;   in Loop: Header=BB462_1471 Depth=1
	v_and_b32_e32 v5, 0xffff, v4
	v_or_b32_e32 v6, 0x10000, v4
	s_delay_alu instid0(VALU_DEP_2) | instskip(NEXT) | instid1(VALU_DEP_1)
	v_cmp_eq_u32_e64 s0, 0, v5
	v_cndmask_b32_e64 v103, v6, v4, s0
; %bb.1755:                             ;   in Loop: Header=BB462_1471 Depth=1
	s_or_b32 exec_lo, exec_lo, s9
	v_lshlrev_b32_e32 v3, 16, v3
                                        ; implicit-def: $vgpr112
	s_delay_alu instid0(VALU_DEP_1) | instskip(NEXT) | instid1(VALU_DEP_1)
	v_mul_f32_e32 v3, v96, v3
	v_and_b32_e32 v4, 0x7f800000, v3
	s_delay_alu instid0(VALU_DEP_1) | instskip(NEXT) | instid1(VALU_DEP_1)
	v_cmp_ne_u32_e64 s0, 0x7f800000, v4
	s_and_saveexec_b32 s9, s0
	s_delay_alu instid0(SALU_CYCLE_1)
	s_xor_b32 s0, exec_lo, s9
; %bb.1756:                             ;   in Loop: Header=BB462_1471 Depth=1
	v_bfe_u32 v4, v3, 16, 1
	s_delay_alu instid0(VALU_DEP_1)
	v_add3_u32 v112, v3, v4, 0x7fff
                                        ; implicit-def: $vgpr3
; %bb.1757:                             ;   in Loop: Header=BB462_1471 Depth=1
	s_and_not1_saveexec_b32 s9, s0
; %bb.1758:                             ;   in Loop: Header=BB462_1471 Depth=1
	v_and_b32_e32 v4, 0xffff, v3
	v_or_b32_e32 v5, 0x10000, v3
	s_delay_alu instid0(VALU_DEP_2) | instskip(NEXT) | instid1(VALU_DEP_1)
	v_cmp_eq_u32_e64 s0, 0, v4
	v_cndmask_b32_e64 v112, v5, v3, s0
; %bb.1759:                             ;   in Loop: Header=BB462_1471 Depth=1
	s_or_b32 exec_lo, exec_lo, s9
	v_lshlrev_b32_e32 v2, 16, v2
                                        ; implicit-def: $vgpr113
	s_delay_alu instid0(VALU_DEP_1) | instskip(NEXT) | instid1(VALU_DEP_1)
	v_mul_f32_e32 v2, v97, v2
	v_and_b32_e32 v3, 0x7f800000, v2
	s_delay_alu instid0(VALU_DEP_1) | instskip(NEXT) | instid1(VALU_DEP_1)
	v_cmp_ne_u32_e64 s0, 0x7f800000, v3
	s_and_saveexec_b32 s9, s0
	s_delay_alu instid0(SALU_CYCLE_1)
	s_xor_b32 s0, exec_lo, s9
; %bb.1760:                             ;   in Loop: Header=BB462_1471 Depth=1
	v_bfe_u32 v3, v2, 16, 1
	s_delay_alu instid0(VALU_DEP_1)
	v_add3_u32 v113, v2, v3, 0x7fff
                                        ; implicit-def: $vgpr2
; %bb.1761:                             ;   in Loop: Header=BB462_1471 Depth=1
	s_and_not1_saveexec_b32 s9, s0
; %bb.1762:                             ;   in Loop: Header=BB462_1471 Depth=1
	v_and_b32_e32 v3, 0xffff, v2
	v_or_b32_e32 v4, 0x10000, v2
	s_delay_alu instid0(VALU_DEP_2) | instskip(NEXT) | instid1(VALU_DEP_1)
	v_cmp_eq_u32_e64 s0, 0, v3
	v_cndmask_b32_e64 v113, v4, v2, s0
; %bb.1763:                             ;   in Loop: Header=BB462_1471 Depth=1
	s_or_b32 exec_lo, exec_lo, s9
	flat_load_b64 v[2:3], v[0:1] offset:512
	s_mov_b32 s9, exec_lo
	s_waitcnt vmcnt(0) lgkmcnt(0)
	v_dual_mov_b32 v4, 0 :: v_dual_and_b32 v5, 0xff, v2
	s_delay_alu instid0(VALU_DEP_1)
	v_cmpx_ne_u16_e32 0, v5
	s_cbranch_execz .LBB462_1771
; %bb.1764:                             ;   in Loop: Header=BB462_1471 Depth=1
	v_bfrev_b32_e32 v4, 1
	s_mov_b32 s12, exec_lo
	v_cmpx_ne_u16_e32 0x80, v5
	s_cbranch_execz .LBB462_1770
; %bb.1765:                             ;   in Loop: Header=BB462_1471 Depth=1
	v_and_b32_e32 v5, 0x7f, v2
	v_mov_b32_e32 v4, 0x7f800001
	s_mov_b32 s13, exec_lo
	s_delay_alu instid0(VALU_DEP_2)
	v_cmpx_ne_u32_e32 0x7f, v5
	s_cbranch_execz .LBB462_1769
; %bb.1766:                             ;   in Loop: Header=BB462_1471 Depth=1
	v_lshrrev_b32_e32 v4, 3, v5
	v_dual_mov_b32 v7, v3 :: v_dual_mov_b32 v6, v2
	s_mov_b32 s15, exec_lo
	v_cmpx_gt_u32_e32 8, v5
; %bb.1767:                             ;   in Loop: Header=BB462_1471 Depth=1
	v_and_b32_e32 v4, 7, v2
	s_delay_alu instid0(VALU_DEP_1) | instskip(NEXT) | instid1(VALU_DEP_1)
	v_clz_i32_u32_e32 v4, v4
	v_min_u32_e32 v4, 32, v4
	s_delay_alu instid0(VALU_DEP_1) | instskip(SKIP_1) | instid1(VALU_DEP_2)
	v_subrev_nc_u32_e32 v5, 28, v4
	v_sub_nc_u32_e32 v4, 29, v4
	v_lshlrev_b64 v[6:7], v5, v[2:3]
; %bb.1768:                             ;   in Loop: Header=BB462_1471 Depth=1
	s_or_b32 exec_lo, exec_lo, s15
	s_delay_alu instid0(VALU_DEP_1) | instskip(SKIP_2) | instid1(VALU_DEP_3)
	v_lshlrev_b32_e32 v5, 20, v6
	v_lshlrev_b32_e32 v6, 24, v2
	v_lshl_add_u32 v4, v4, 23, 0x3c000000
	v_and_b32_e32 v5, 0x700000, v5
	s_delay_alu instid0(VALU_DEP_3) | instskip(NEXT) | instid1(VALU_DEP_1)
	v_and_b32_e32 v6, 0x80000000, v6
	v_or3_b32 v4, v5, v6, v4
.LBB462_1769:                           ;   in Loop: Header=BB462_1471 Depth=1
	s_or_b32 exec_lo, exec_lo, s13
.LBB462_1770:                           ;   in Loop: Header=BB462_1471 Depth=1
	s_delay_alu instid0(SALU_CYCLE_1)
	s_or_b32 exec_lo, exec_lo, s12
.LBB462_1771:                           ;   in Loop: Header=BB462_1471 Depth=1
	s_delay_alu instid0(SALU_CYCLE_1) | instskip(NEXT) | instid1(VALU_DEP_1)
	s_or_b32 exec_lo, exec_lo, s9
	v_mul_f32_e32 v5, v26, v4
	s_delay_alu instid0(VALU_DEP_1) | instskip(NEXT) | instid1(VALU_DEP_1)
	v_and_b32_e32 v4, 0x7f800000, v5
	v_cmp_ne_u32_e64 s0, 0x7f800000, v4
                                        ; implicit-def: $vgpr4
	s_delay_alu instid0(VALU_DEP_1) | instskip(NEXT) | instid1(SALU_CYCLE_1)
	s_and_saveexec_b32 s9, s0
	s_xor_b32 s0, exec_lo, s9
; %bb.1772:                             ;   in Loop: Header=BB462_1471 Depth=1
	v_bfe_u32 v4, v5, 16, 1
	s_delay_alu instid0(VALU_DEP_1)
	v_add3_u32 v4, v5, v4, 0x7fff
                                        ; implicit-def: $vgpr5
; %bb.1773:                             ;   in Loop: Header=BB462_1471 Depth=1
	s_and_not1_saveexec_b32 s9, s0
; %bb.1774:                             ;   in Loop: Header=BB462_1471 Depth=1
	v_and_b32_e32 v4, 0xffff, v5
	v_or_b32_e32 v6, 0x10000, v5
	s_delay_alu instid0(VALU_DEP_2) | instskip(NEXT) | instid1(VALU_DEP_1)
	v_cmp_eq_u32_e64 s0, 0, v4
	v_cndmask_b32_e64 v4, v6, v5, s0
; %bb.1775:                             ;   in Loop: Header=BB462_1471 Depth=1
	s_or_b32 exec_lo, exec_lo, s9
	v_lshrrev_b16 v6, 8, v2
	v_mov_b32_e32 v5, 0
	s_mov_b32 s9, exec_lo
	s_delay_alu instid0(VALU_DEP_2)
	v_cmpx_ne_u16_e32 0, v6
	s_cbranch_execz .LBB462_1783
; %bb.1776:                             ;   in Loop: Header=BB462_1471 Depth=1
	v_bfrev_b32_e32 v5, 1
	s_mov_b32 s12, exec_lo
	v_cmpx_ne_u16_e32 0x80, v6
	s_cbranch_execz .LBB462_1782
; %bb.1777:                             ;   in Loop: Header=BB462_1471 Depth=1
	v_and_b32_e32 v7, 0xffff, v6
	v_mov_b32_e32 v5, 0x7f800001
	s_mov_b32 s13, exec_lo
	s_delay_alu instid0(VALU_DEP_2) | instskip(NEXT) | instid1(VALU_DEP_1)
	v_and_b32_e32 v6, 0x7f, v7
	v_cmpx_ne_u32_e32 0x7f, v6
	s_cbranch_execz .LBB462_1781
; %bb.1778:                             ;   in Loop: Header=BB462_1471 Depth=1
	v_and_b32_e32 v9, 7, v7
	v_lshrrev_b32_e32 v5, 3, v6
	v_cmp_gt_u32_e64 s0, 8, v6
	s_delay_alu instid0(VALU_DEP_3) | instskip(NEXT) | instid1(VALU_DEP_2)
	v_dual_mov_b32 v6, v9 :: v_dual_mov_b32 v7, v10
	s_and_saveexec_b32 s15, s0
; %bb.1779:                             ;   in Loop: Header=BB462_1471 Depth=1
	v_clz_i32_u32_e32 v5, v9
	s_delay_alu instid0(VALU_DEP_1) | instskip(NEXT) | instid1(VALU_DEP_1)
	v_min_u32_e32 v5, 32, v5
	v_subrev_nc_u32_e32 v6, 28, v5
	v_sub_nc_u32_e32 v5, 29, v5
	s_delay_alu instid0(VALU_DEP_2) | instskip(NEXT) | instid1(VALU_DEP_1)
	v_lshlrev_b64 v[6:7], v6, v[9:10]
	v_and_b32_e32 v6, 7, v6
; %bb.1780:                             ;   in Loop: Header=BB462_1471 Depth=1
	s_or_b32 exec_lo, exec_lo, s15
	v_lshlrev_b32_e32 v7, 16, v2
	s_delay_alu instid0(VALU_DEP_2) | instskip(SKIP_1) | instid1(VALU_DEP_3)
	v_lshlrev_b32_e32 v6, 20, v6
	v_lshl_add_u32 v5, v5, 23, 0x3c000000
	v_and_b32_e32 v7, 0x80000000, v7
	s_delay_alu instid0(VALU_DEP_1)
	v_or3_b32 v5, v6, v7, v5
.LBB462_1781:                           ;   in Loop: Header=BB462_1471 Depth=1
	s_or_b32 exec_lo, exec_lo, s13
.LBB462_1782:                           ;   in Loop: Header=BB462_1471 Depth=1
	s_delay_alu instid0(SALU_CYCLE_1)
	s_or_b32 exec_lo, exec_lo, s12
.LBB462_1783:                           ;   in Loop: Header=BB462_1471 Depth=1
	s_delay_alu instid0(SALU_CYCLE_1) | instskip(NEXT) | instid1(VALU_DEP_1)
	s_or_b32 exec_lo, exec_lo, s9
	v_mul_f32_e32 v6, v26, v5
	s_delay_alu instid0(VALU_DEP_1) | instskip(NEXT) | instid1(VALU_DEP_1)
	v_and_b32_e32 v5, 0x7f800000, v6
	v_cmp_ne_u32_e64 s0, 0x7f800000, v5
                                        ; implicit-def: $vgpr5
	s_delay_alu instid0(VALU_DEP_1) | instskip(NEXT) | instid1(SALU_CYCLE_1)
	s_and_saveexec_b32 s9, s0
	s_xor_b32 s0, exec_lo, s9
; %bb.1784:                             ;   in Loop: Header=BB462_1471 Depth=1
	v_bfe_u32 v5, v6, 16, 1
	s_delay_alu instid0(VALU_DEP_1)
	v_add3_u32 v5, v6, v5, 0x7fff
                                        ; implicit-def: $vgpr6
; %bb.1785:                             ;   in Loop: Header=BB462_1471 Depth=1
	s_and_not1_saveexec_b32 s9, s0
; %bb.1786:                             ;   in Loop: Header=BB462_1471 Depth=1
	v_and_b32_e32 v5, 0xffff, v6
	v_or_b32_e32 v7, 0x10000, v6
	s_delay_alu instid0(VALU_DEP_2) | instskip(NEXT) | instid1(VALU_DEP_1)
	v_cmp_eq_u32_e64 s0, 0, v5
	v_cndmask_b32_e64 v5, v7, v6, s0
; %bb.1787:                             ;   in Loop: Header=BB462_1471 Depth=1
	s_or_b32 exec_lo, exec_lo, s9
	v_lshrrev_b32_e32 v23, 16, v2
	s_mov_b32 s9, exec_lo
	s_delay_alu instid0(VALU_DEP_1) | instskip(NEXT) | instid1(VALU_DEP_1)
	v_dual_mov_b32 v6, 0 :: v_dual_and_b32 v7, 0xff, v23
	v_cmpx_ne_u16_e32 0, v7
	s_cbranch_execz .LBB462_1795
; %bb.1788:                             ;   in Loop: Header=BB462_1471 Depth=1
	v_bfrev_b32_e32 v6, 1
	s_mov_b32 s12, exec_lo
	v_cmpx_ne_u16_e32 0x80, v7
	s_cbranch_execz .LBB462_1794
; %bb.1789:                             ;   in Loop: Header=BB462_1471 Depth=1
	v_bfe_u32 v7, v2, 16, 7
	v_mov_b32_e32 v6, 0x7f800001
	s_mov_b32 s13, exec_lo
	s_delay_alu instid0(VALU_DEP_2)
	v_cmpx_ne_u32_e32 0x7f, v7
	s_cbranch_execz .LBB462_1793
; %bb.1790:                             ;   in Loop: Header=BB462_1471 Depth=1
	v_and_b32_e32 v9, 7, v23
	v_lshrrev_b32_e32 v34, 3, v7
	v_cmp_gt_u32_e64 s0, 8, v7
	s_delay_alu instid0(VALU_DEP_3) | instskip(NEXT) | instid1(VALU_DEP_2)
	v_dual_mov_b32 v6, v9 :: v_dual_mov_b32 v7, v10
	s_and_saveexec_b32 s15, s0
; %bb.1791:                             ;   in Loop: Header=BB462_1471 Depth=1
	v_clz_i32_u32_e32 v6, v9
	s_delay_alu instid0(VALU_DEP_1) | instskip(NEXT) | instid1(VALU_DEP_1)
	v_min_u32_e32 v34, 32, v6
	v_subrev_nc_u32_e32 v6, 28, v34
	v_sub_nc_u32_e32 v34, 29, v34
	s_delay_alu instid0(VALU_DEP_2) | instskip(NEXT) | instid1(VALU_DEP_1)
	v_lshlrev_b64 v[6:7], v6, v[9:10]
	v_and_b32_e32 v6, 7, v6
; %bb.1792:                             ;   in Loop: Header=BB462_1471 Depth=1
	s_or_b32 exec_lo, exec_lo, s15
	v_lshlrev_b32_e32 v7, 24, v23
	s_delay_alu instid0(VALU_DEP_2) | instskip(SKIP_1) | instid1(VALU_DEP_3)
	v_lshlrev_b32_e32 v6, 20, v6
	v_lshl_add_u32 v9, v34, 23, 0x3c000000
	v_and_b32_e32 v7, 0x80000000, v7
	s_delay_alu instid0(VALU_DEP_1)
	v_or3_b32 v6, v6, v7, v9
.LBB462_1793:                           ;   in Loop: Header=BB462_1471 Depth=1
	s_or_b32 exec_lo, exec_lo, s13
.LBB462_1794:                           ;   in Loop: Header=BB462_1471 Depth=1
	s_delay_alu instid0(SALU_CYCLE_1)
	s_or_b32 exec_lo, exec_lo, s12
.LBB462_1795:                           ;   in Loop: Header=BB462_1471 Depth=1
	s_delay_alu instid0(SALU_CYCLE_1) | instskip(NEXT) | instid1(VALU_DEP_1)
	s_or_b32 exec_lo, exec_lo, s9
	v_mul_f32_e32 v6, v26, v6
                                        ; implicit-def: $vgpr23
	s_delay_alu instid0(VALU_DEP_1) | instskip(NEXT) | instid1(VALU_DEP_1)
	v_and_b32_e32 v7, 0x7f800000, v6
	v_cmp_ne_u32_e64 s0, 0x7f800000, v7
	s_delay_alu instid0(VALU_DEP_1) | instskip(NEXT) | instid1(SALU_CYCLE_1)
	s_and_saveexec_b32 s9, s0
	s_xor_b32 s0, exec_lo, s9
; %bb.1796:                             ;   in Loop: Header=BB462_1471 Depth=1
	v_bfe_u32 v7, v6, 16, 1
	s_delay_alu instid0(VALU_DEP_1)
	v_add3_u32 v23, v6, v7, 0x7fff
                                        ; implicit-def: $vgpr6
; %bb.1797:                             ;   in Loop: Header=BB462_1471 Depth=1
	s_and_not1_saveexec_b32 s9, s0
; %bb.1798:                             ;   in Loop: Header=BB462_1471 Depth=1
	v_and_b32_e32 v7, 0xffff, v6
	v_or_b32_e32 v9, 0x10000, v6
	s_delay_alu instid0(VALU_DEP_2) | instskip(NEXT) | instid1(VALU_DEP_1)
	v_cmp_eq_u32_e64 s0, 0, v7
	v_cndmask_b32_e64 v23, v9, v6, s0
; %bb.1799:                             ;   in Loop: Header=BB462_1471 Depth=1
	s_or_b32 exec_lo, exec_lo, s9
	v_mov_b32_e32 v6, 0
	s_mov_b32 s9, exec_lo
	v_cmpx_lt_u32_e32 0xffffff, v2
	s_cbranch_execz .LBB462_1807
; %bb.1800:                             ;   in Loop: Header=BB462_1471 Depth=1
	v_lshrrev_b32_e32 v34, 24, v2
	v_bfrev_b32_e32 v6, 1
	s_mov_b32 s12, exec_lo
	s_delay_alu instid0(VALU_DEP_2)
	v_cmpx_ne_u32_e32 0x80, v34
	s_cbranch_execz .LBB462_1806
; %bb.1801:                             ;   in Loop: Header=BB462_1471 Depth=1
	v_bfe_u32 v7, v2, 24, 7
	v_mov_b32_e32 v6, 0x7f800001
	s_mov_b32 s13, exec_lo
	s_delay_alu instid0(VALU_DEP_2)
	v_cmpx_ne_u32_e32 0x7f, v7
	s_cbranch_execz .LBB462_1805
; %bb.1802:                             ;   in Loop: Header=BB462_1471 Depth=1
	v_and_b32_e32 v9, 7, v34
	v_lshrrev_b32_e32 v35, 3, v7
	v_cmp_gt_u32_e64 s0, 8, v7
	s_delay_alu instid0(VALU_DEP_3) | instskip(NEXT) | instid1(VALU_DEP_2)
	v_dual_mov_b32 v6, v9 :: v_dual_mov_b32 v7, v10
	s_and_saveexec_b32 s15, s0
; %bb.1803:                             ;   in Loop: Header=BB462_1471 Depth=1
	v_clz_i32_u32_e32 v6, v9
	s_delay_alu instid0(VALU_DEP_1) | instskip(NEXT) | instid1(VALU_DEP_1)
	v_min_u32_e32 v35, 32, v6
	v_subrev_nc_u32_e32 v6, 28, v35
	v_sub_nc_u32_e32 v35, 29, v35
	s_delay_alu instid0(VALU_DEP_2) | instskip(NEXT) | instid1(VALU_DEP_1)
	v_lshlrev_b64 v[6:7], v6, v[9:10]
	v_and_b32_e32 v6, 7, v6
; %bb.1804:                             ;   in Loop: Header=BB462_1471 Depth=1
	s_or_b32 exec_lo, exec_lo, s15
	v_lshlrev_b32_e32 v7, 24, v34
	s_delay_alu instid0(VALU_DEP_2) | instskip(SKIP_1) | instid1(VALU_DEP_3)
	v_lshlrev_b32_e32 v6, 20, v6
	v_lshl_add_u32 v9, v35, 23, 0x3c000000
	v_and_b32_e32 v7, 0x80000000, v7
	s_delay_alu instid0(VALU_DEP_1)
	v_or3_b32 v6, v6, v7, v9
.LBB462_1805:                           ;   in Loop: Header=BB462_1471 Depth=1
	s_or_b32 exec_lo, exec_lo, s13
.LBB462_1806:                           ;   in Loop: Header=BB462_1471 Depth=1
	s_delay_alu instid0(SALU_CYCLE_1)
	s_or_b32 exec_lo, exec_lo, s12
.LBB462_1807:                           ;   in Loop: Header=BB462_1471 Depth=1
	s_delay_alu instid0(SALU_CYCLE_1) | instskip(NEXT) | instid1(VALU_DEP_1)
	s_or_b32 exec_lo, exec_lo, s9
	v_mul_f32_e32 v6, v26, v6
                                        ; implicit-def: $vgpr34
	s_delay_alu instid0(VALU_DEP_1) | instskip(NEXT) | instid1(VALU_DEP_1)
	v_and_b32_e32 v7, 0x7f800000, v6
	v_cmp_ne_u32_e64 s0, 0x7f800000, v7
	s_delay_alu instid0(VALU_DEP_1) | instskip(NEXT) | instid1(SALU_CYCLE_1)
	s_and_saveexec_b32 s9, s0
	s_xor_b32 s0, exec_lo, s9
; %bb.1808:                             ;   in Loop: Header=BB462_1471 Depth=1
	v_bfe_u32 v7, v6, 16, 1
	s_delay_alu instid0(VALU_DEP_1)
	v_add3_u32 v34, v6, v7, 0x7fff
                                        ; implicit-def: $vgpr6
; %bb.1809:                             ;   in Loop: Header=BB462_1471 Depth=1
	s_and_not1_saveexec_b32 s9, s0
; %bb.1810:                             ;   in Loop: Header=BB462_1471 Depth=1
	v_and_b32_e32 v7, 0xffff, v6
	v_or_b32_e32 v9, 0x10000, v6
	s_delay_alu instid0(VALU_DEP_2) | instskip(NEXT) | instid1(VALU_DEP_1)
	v_cmp_eq_u32_e64 s0, 0, v7
	v_cndmask_b32_e64 v34, v9, v6, s0
; %bb.1811:                             ;   in Loop: Header=BB462_1471 Depth=1
	s_or_b32 exec_lo, exec_lo, s9
	v_dual_mov_b32 v6, 0 :: v_dual_and_b32 v7, 0xff, v3
	v_mov_b32_e32 v9, v3
	s_mov_b32 s9, exec_lo
	s_delay_alu instid0(VALU_DEP_2)
	v_cmpx_ne_u16_e32 0, v7
	s_cbranch_execz .LBB462_1819
; %bb.1812:                             ;   in Loop: Header=BB462_1471 Depth=1
	v_bfrev_b32_e32 v6, 1
	s_mov_b32 s12, exec_lo
	v_cmpx_ne_u16_e32 0x80, v7
	s_cbranch_execz .LBB462_1818
; %bb.1813:                             ;   in Loop: Header=BB462_1471 Depth=1
	v_and_b32_e32 v7, 0x7f, v3
	v_mov_b32_e32 v6, 0x7f800001
	s_mov_b32 s13, exec_lo
	s_delay_alu instid0(VALU_DEP_2)
	v_cmpx_ne_u32_e32 0x7f, v7
	s_cbranch_execz .LBB462_1817
; %bb.1814:                             ;   in Loop: Header=BB462_1471 Depth=1
	v_lshrrev_b32_e32 v35, 3, v7
	v_cmp_gt_u32_e64 s0, 8, v7
	v_dual_mov_b32 v6, v9 :: v_dual_mov_b32 v7, v10
	s_delay_alu instid0(VALU_DEP_2)
	s_and_saveexec_b32 s15, s0
; %bb.1815:                             ;   in Loop: Header=BB462_1471 Depth=1
	v_and_b32_e32 v6, 7, v3
	s_delay_alu instid0(VALU_DEP_1) | instskip(NEXT) | instid1(VALU_DEP_1)
	v_clz_i32_u32_e32 v6, v6
	v_min_u32_e32 v35, 32, v6
	s_delay_alu instid0(VALU_DEP_1) | instskip(SKIP_1) | instid1(VALU_DEP_2)
	v_subrev_nc_u32_e32 v6, 28, v35
	v_sub_nc_u32_e32 v35, 29, v35
	v_lshlrev_b64 v[6:7], v6, v[9:10]
; %bb.1816:                             ;   in Loop: Header=BB462_1471 Depth=1
	s_or_b32 exec_lo, exec_lo, s15
	s_delay_alu instid0(VALU_DEP_1) | instskip(SKIP_2) | instid1(VALU_DEP_3)
	v_lshlrev_b32_e32 v6, 20, v6
	v_lshlrev_b32_e32 v7, 24, v9
	v_lshl_add_u32 v35, v35, 23, 0x3c000000
	v_and_b32_e32 v6, 0x700000, v6
	s_delay_alu instid0(VALU_DEP_3) | instskip(NEXT) | instid1(VALU_DEP_1)
	v_and_b32_e32 v7, 0x80000000, v7
	v_or3_b32 v6, v6, v7, v35
.LBB462_1817:                           ;   in Loop: Header=BB462_1471 Depth=1
	s_or_b32 exec_lo, exec_lo, s13
.LBB462_1818:                           ;   in Loop: Header=BB462_1471 Depth=1
	s_delay_alu instid0(SALU_CYCLE_1)
	s_or_b32 exec_lo, exec_lo, s12
.LBB462_1819:                           ;   in Loop: Header=BB462_1471 Depth=1
	s_delay_alu instid0(SALU_CYCLE_1) | instskip(NEXT) | instid1(VALU_DEP_1)
	s_or_b32 exec_lo, exec_lo, s9
	v_mul_f32_e32 v6, v26, v6
                                        ; implicit-def: $vgpr35
	s_delay_alu instid0(VALU_DEP_1) | instskip(NEXT) | instid1(VALU_DEP_1)
	v_and_b32_e32 v7, 0x7f800000, v6
	v_cmp_ne_u32_e64 s0, 0x7f800000, v7
	s_delay_alu instid0(VALU_DEP_1) | instskip(NEXT) | instid1(SALU_CYCLE_1)
	s_and_saveexec_b32 s9, s0
	s_xor_b32 s0, exec_lo, s9
; %bb.1820:                             ;   in Loop: Header=BB462_1471 Depth=1
	v_bfe_u32 v7, v6, 16, 1
	s_delay_alu instid0(VALU_DEP_1)
	v_add3_u32 v35, v6, v7, 0x7fff
                                        ; implicit-def: $vgpr6
; %bb.1821:                             ;   in Loop: Header=BB462_1471 Depth=1
	s_and_not1_saveexec_b32 s9, s0
; %bb.1822:                             ;   in Loop: Header=BB462_1471 Depth=1
	v_and_b32_e32 v7, 0xffff, v6
	v_or_b32_e32 v35, 0x10000, v6
	s_delay_alu instid0(VALU_DEP_2) | instskip(NEXT) | instid1(VALU_DEP_1)
	v_cmp_eq_u32_e64 s0, 0, v7
	v_cndmask_b32_e64 v35, v35, v6, s0
; %bb.1823:                             ;   in Loop: Header=BB462_1471 Depth=1
	s_or_b32 exec_lo, exec_lo, s9
	v_lshrrev_b16 v7, 8, v9
	v_mov_b32_e32 v6, 0
	s_mov_b32 s9, exec_lo
	s_delay_alu instid0(VALU_DEP_2)
	v_cmpx_ne_u16_e32 0, v7
	s_cbranch_execz .LBB462_1831
; %bb.1824:                             ;   in Loop: Header=BB462_1471 Depth=1
	v_bfrev_b32_e32 v6, 1
	s_mov_b32 s12, exec_lo
	v_cmpx_ne_u16_e32 0x80, v7
	s_cbranch_execz .LBB462_1830
; %bb.1825:                             ;   in Loop: Header=BB462_1471 Depth=1
	v_and_b32_e32 v7, 0xffff, v7
	v_mov_b32_e32 v6, 0x7f800001
	s_mov_b32 s13, exec_lo
	s_delay_alu instid0(VALU_DEP_2) | instskip(NEXT) | instid1(VALU_DEP_1)
	v_and_b32_e32 v115, 0x7f, v7
	v_cmpx_ne_u32_e32 0x7f, v115
	s_cbranch_execz .LBB462_1829
; %bb.1826:                             ;   in Loop: Header=BB462_1471 Depth=1
	v_dual_mov_b32 v7, v10 :: v_dual_and_b32 v6, 7, v7
	v_lshrrev_b32_e32 v114, 3, v115
	s_mov_b32 s15, exec_lo
	v_cmpx_gt_u32_e32 8, v115
; %bb.1827:                             ;   in Loop: Header=BB462_1471 Depth=1
	s_delay_alu instid0(VALU_DEP_3) | instskip(NEXT) | instid1(VALU_DEP_1)
	v_clz_i32_u32_e32 v114, v6
	v_min_u32_e32 v114, 32, v114
	s_delay_alu instid0(VALU_DEP_1) | instskip(SKIP_1) | instid1(VALU_DEP_2)
	v_subrev_nc_u32_e32 v115, 28, v114
	v_sub_nc_u32_e32 v114, 29, v114
	v_lshlrev_b64 v[6:7], v115, v[6:7]
	s_delay_alu instid0(VALU_DEP_1)
	v_and_b32_e32 v6, 7, v6
; %bb.1828:                             ;   in Loop: Header=BB462_1471 Depth=1
	s_or_b32 exec_lo, exec_lo, s15
	v_lshlrev_b32_e32 v7, 16, v9
	s_delay_alu instid0(VALU_DEP_2) | instskip(SKIP_1) | instid1(VALU_DEP_3)
	v_lshlrev_b32_e32 v6, 20, v6
	v_lshl_add_u32 v9, v114, 23, 0x3c000000
	v_and_b32_e32 v7, 0x80000000, v7
	s_delay_alu instid0(VALU_DEP_1)
	v_or3_b32 v6, v6, v7, v9
.LBB462_1829:                           ;   in Loop: Header=BB462_1471 Depth=1
	s_or_b32 exec_lo, exec_lo, s13
.LBB462_1830:                           ;   in Loop: Header=BB462_1471 Depth=1
	s_delay_alu instid0(SALU_CYCLE_1)
	s_or_b32 exec_lo, exec_lo, s12
.LBB462_1831:                           ;   in Loop: Header=BB462_1471 Depth=1
	s_delay_alu instid0(SALU_CYCLE_1) | instskip(NEXT) | instid1(VALU_DEP_1)
	s_or_b32 exec_lo, exec_lo, s9
	v_mul_f32_e32 v6, v26, v6
                                        ; implicit-def: $vgpr114
	s_delay_alu instid0(VALU_DEP_1) | instskip(NEXT) | instid1(VALU_DEP_1)
	v_and_b32_e32 v7, 0x7f800000, v6
	v_cmp_ne_u32_e64 s0, 0x7f800000, v7
	s_delay_alu instid0(VALU_DEP_1) | instskip(NEXT) | instid1(SALU_CYCLE_1)
	s_and_saveexec_b32 s9, s0
	s_xor_b32 s0, exec_lo, s9
; %bb.1832:                             ;   in Loop: Header=BB462_1471 Depth=1
	v_bfe_u32 v7, v6, 16, 1
	s_delay_alu instid0(VALU_DEP_1)
	v_add3_u32 v114, v6, v7, 0x7fff
                                        ; implicit-def: $vgpr6
; %bb.1833:                             ;   in Loop: Header=BB462_1471 Depth=1
	s_and_not1_saveexec_b32 s9, s0
; %bb.1834:                             ;   in Loop: Header=BB462_1471 Depth=1
	v_and_b32_e32 v7, 0xffff, v6
	v_or_b32_e32 v9, 0x10000, v6
	s_delay_alu instid0(VALU_DEP_2) | instskip(NEXT) | instid1(VALU_DEP_1)
	v_cmp_eq_u32_e64 s0, 0, v7
	v_cndmask_b32_e64 v114, v9, v6, s0
; %bb.1835:                             ;   in Loop: Header=BB462_1471 Depth=1
	s_or_b32 exec_lo, exec_lo, s9
	v_lshrrev_b32_e32 v115, 16, v3
	s_mov_b32 s9, exec_lo
	s_delay_alu instid0(VALU_DEP_1) | instskip(NEXT) | instid1(VALU_DEP_1)
	v_dual_mov_b32 v6, 0 :: v_dual_and_b32 v7, 0xff, v115
	v_cmpx_ne_u16_e32 0, v7
	s_cbranch_execz .LBB462_1843
; %bb.1836:                             ;   in Loop: Header=BB462_1471 Depth=1
	v_bfrev_b32_e32 v6, 1
	s_mov_b32 s12, exec_lo
	v_cmpx_ne_u16_e32 0x80, v7
	s_cbranch_execz .LBB462_1842
; %bb.1837:                             ;   in Loop: Header=BB462_1471 Depth=1
	v_bfe_u32 v7, v3, 16, 7
	v_mov_b32_e32 v6, 0x7f800001
	s_mov_b32 s13, exec_lo
	s_delay_alu instid0(VALU_DEP_2)
	v_cmpx_ne_u32_e32 0x7f, v7
	s_cbranch_execz .LBB462_1841
; %bb.1838:                             ;   in Loop: Header=BB462_1471 Depth=1
	v_and_b32_e32 v9, 7, v115
	v_lshrrev_b32_e32 v116, 3, v7
	v_cmp_gt_u32_e64 s0, 8, v7
	s_delay_alu instid0(VALU_DEP_3) | instskip(NEXT) | instid1(VALU_DEP_2)
	v_dual_mov_b32 v6, v9 :: v_dual_mov_b32 v7, v10
	s_and_saveexec_b32 s15, s0
; %bb.1839:                             ;   in Loop: Header=BB462_1471 Depth=1
	v_clz_i32_u32_e32 v6, v9
	s_delay_alu instid0(VALU_DEP_1) | instskip(NEXT) | instid1(VALU_DEP_1)
	v_min_u32_e32 v116, 32, v6
	v_subrev_nc_u32_e32 v6, 28, v116
	v_sub_nc_u32_e32 v116, 29, v116
	s_delay_alu instid0(VALU_DEP_2) | instskip(NEXT) | instid1(VALU_DEP_1)
	v_lshlrev_b64 v[6:7], v6, v[9:10]
	v_and_b32_e32 v6, 7, v6
; %bb.1840:                             ;   in Loop: Header=BB462_1471 Depth=1
	s_or_b32 exec_lo, exec_lo, s15
	v_lshlrev_b32_e32 v7, 24, v115
	s_delay_alu instid0(VALU_DEP_2) | instskip(SKIP_1) | instid1(VALU_DEP_3)
	v_lshlrev_b32_e32 v6, 20, v6
	v_lshl_add_u32 v9, v116, 23, 0x3c000000
	v_and_b32_e32 v7, 0x80000000, v7
	s_delay_alu instid0(VALU_DEP_1)
	v_or3_b32 v6, v6, v7, v9
.LBB462_1841:                           ;   in Loop: Header=BB462_1471 Depth=1
	s_or_b32 exec_lo, exec_lo, s13
.LBB462_1842:                           ;   in Loop: Header=BB462_1471 Depth=1
	s_delay_alu instid0(SALU_CYCLE_1)
	s_or_b32 exec_lo, exec_lo, s12
.LBB462_1843:                           ;   in Loop: Header=BB462_1471 Depth=1
	s_delay_alu instid0(SALU_CYCLE_1) | instskip(NEXT) | instid1(VALU_DEP_1)
	s_or_b32 exec_lo, exec_lo, s9
	v_mul_f32_e32 v6, v26, v6
                                        ; implicit-def: $vgpr115
	s_delay_alu instid0(VALU_DEP_1) | instskip(NEXT) | instid1(VALU_DEP_1)
	v_and_b32_e32 v7, 0x7f800000, v6
	v_cmp_ne_u32_e64 s0, 0x7f800000, v7
	s_delay_alu instid0(VALU_DEP_1) | instskip(NEXT) | instid1(SALU_CYCLE_1)
	s_and_saveexec_b32 s9, s0
	s_xor_b32 s0, exec_lo, s9
; %bb.1844:                             ;   in Loop: Header=BB462_1471 Depth=1
	v_bfe_u32 v7, v6, 16, 1
	s_delay_alu instid0(VALU_DEP_1)
	v_add3_u32 v115, v6, v7, 0x7fff
                                        ; implicit-def: $vgpr6
; %bb.1845:                             ;   in Loop: Header=BB462_1471 Depth=1
	s_and_not1_saveexec_b32 s9, s0
; %bb.1846:                             ;   in Loop: Header=BB462_1471 Depth=1
	v_and_b32_e32 v7, 0xffff, v6
	v_or_b32_e32 v9, 0x10000, v6
	s_delay_alu instid0(VALU_DEP_2) | instskip(NEXT) | instid1(VALU_DEP_1)
	v_cmp_eq_u32_e64 s0, 0, v7
	v_cndmask_b32_e64 v115, v9, v6, s0
; %bb.1847:                             ;   in Loop: Header=BB462_1471 Depth=1
	s_or_b32 exec_lo, exec_lo, s9
	v_cmp_lt_u64_e64 s0, s[2:3], v[2:3]
	v_mov_b32_e32 v2, 0
	s_delay_alu instid0(VALU_DEP_2)
	s_and_saveexec_b32 s9, s0
	s_cbranch_execz .LBB462_1855
; %bb.1848:                             ;   in Loop: Header=BB462_1471 Depth=1
	v_lshrrev_b32_e32 v6, 24, v3
	v_bfrev_b32_e32 v2, 1
	s_mov_b32 s12, exec_lo
	s_delay_alu instid0(VALU_DEP_2)
	v_cmpx_ne_u32_e32 0x80, v6
	s_cbranch_execz .LBB462_1854
; %bb.1849:                             ;   in Loop: Header=BB462_1471 Depth=1
	v_bfe_u32 v3, v3, 24, 7
	v_mov_b32_e32 v2, 0x7f800001
	s_mov_b32 s13, exec_lo
	s_delay_alu instid0(VALU_DEP_2)
	v_cmpx_ne_u32_e32 0x7f, v3
	s_cbranch_execz .LBB462_1853
; %bb.1850:                             ;   in Loop: Header=BB462_1471 Depth=1
	v_and_b32_e32 v9, 7, v6
	v_lshrrev_b32_e32 v7, 3, v3
	v_cmp_gt_u32_e64 s0, 8, v3
	s_delay_alu instid0(VALU_DEP_3) | instskip(NEXT) | instid1(VALU_DEP_2)
	v_dual_mov_b32 v2, v9 :: v_dual_mov_b32 v3, v10
	s_and_saveexec_b32 s15, s0
; %bb.1851:                             ;   in Loop: Header=BB462_1471 Depth=1
	v_clz_i32_u32_e32 v2, v9
	s_delay_alu instid0(VALU_DEP_1) | instskip(NEXT) | instid1(VALU_DEP_1)
	v_min_u32_e32 v7, 32, v2
	v_subrev_nc_u32_e32 v2, 28, v7
	v_sub_nc_u32_e32 v7, 29, v7
	s_delay_alu instid0(VALU_DEP_2) | instskip(NEXT) | instid1(VALU_DEP_1)
	v_lshlrev_b64 v[2:3], v2, v[9:10]
	v_and_b32_e32 v2, 7, v2
; %bb.1852:                             ;   in Loop: Header=BB462_1471 Depth=1
	s_or_b32 exec_lo, exec_lo, s15
	v_lshlrev_b32_e32 v3, 24, v6
	s_delay_alu instid0(VALU_DEP_2) | instskip(SKIP_1) | instid1(VALU_DEP_3)
	v_lshlrev_b32_e32 v2, 20, v2
	v_lshl_add_u32 v6, v7, 23, 0x3c000000
	v_and_b32_e32 v3, 0x80000000, v3
	s_delay_alu instid0(VALU_DEP_1)
	v_or3_b32 v2, v2, v3, v6
.LBB462_1853:                           ;   in Loop: Header=BB462_1471 Depth=1
	s_or_b32 exec_lo, exec_lo, s13
.LBB462_1854:                           ;   in Loop: Header=BB462_1471 Depth=1
	s_delay_alu instid0(SALU_CYCLE_1)
	s_or_b32 exec_lo, exec_lo, s12
.LBB462_1855:                           ;   in Loop: Header=BB462_1471 Depth=1
	s_delay_alu instid0(SALU_CYCLE_1) | instskip(NEXT) | instid1(VALU_DEP_1)
	s_or_b32 exec_lo, exec_lo, s9
	v_mul_f32_e32 v3, v26, v2
	s_delay_alu instid0(VALU_DEP_1) | instskip(NEXT) | instid1(VALU_DEP_1)
	v_and_b32_e32 v2, 0x7f800000, v3
	v_cmp_ne_u32_e64 s0, 0x7f800000, v2
                                        ; implicit-def: $vgpr2
	s_delay_alu instid0(VALU_DEP_1) | instskip(NEXT) | instid1(SALU_CYCLE_1)
	s_and_saveexec_b32 s9, s0
	s_xor_b32 s0, exec_lo, s9
; %bb.1856:                             ;   in Loop: Header=BB462_1471 Depth=1
	v_bfe_u32 v2, v3, 16, 1
	s_delay_alu instid0(VALU_DEP_1)
	v_add3_u32 v2, v3, v2, 0x7fff
                                        ; implicit-def: $vgpr3
; %bb.1857:                             ;   in Loop: Header=BB462_1471 Depth=1
	s_and_not1_saveexec_b32 s9, s0
; %bb.1858:                             ;   in Loop: Header=BB462_1471 Depth=1
	v_and_b32_e32 v2, 0xffff, v3
	v_or_b32_e32 v6, 0x10000, v3
	s_delay_alu instid0(VALU_DEP_2) | instskip(NEXT) | instid1(VALU_DEP_1)
	v_cmp_eq_u32_e64 s0, 0, v2
	v_cndmask_b32_e64 v2, v6, v3, s0
; %bb.1859:                             ;   in Loop: Header=BB462_1471 Depth=1
	s_or_b32 exec_lo, exec_lo, s9
	v_lshrrev_b32_e32 v6, 16, v114
	v_lshrrev_b32_e32 v7, 16, v35
	;; [unrolled: 1-line block ×8, first 2 shown]
	s_and_saveexec_b32 s9, vcc_lo
	s_cbranch_execz .LBB462_1861
; %bb.1860:                             ;   in Loop: Header=BB462_1471 Depth=1
	v_cmp_lt_i32_e64 s0, v67, v36
	s_delay_alu instid0(VALU_DEP_1) | instskip(SKIP_1) | instid1(VALU_DEP_1)
	v_cndmask_b32_e64 v4, 0, v4, s0
	v_cmp_lt_i32_e64 s0, v81, v36
	v_cndmask_b32_e64 v5, 0, v5, s0
	v_cmp_lt_i32_e64 s0, v80, v36
	s_delay_alu instid0(VALU_DEP_1) | instskip(SKIP_1) | instid1(VALU_DEP_1)
	v_cndmask_b32_e64 v23, 0, v23, s0
	v_cmp_lt_i32_e64 s0, v71, v36
	v_cndmask_b32_e64 v9, 0, v9, s0
	v_cmp_lt_i32_e64 s0, v70, v36
	s_delay_alu instid0(VALU_DEP_1) | instskip(SKIP_1) | instid1(VALU_DEP_1)
	v_cndmask_b32_e64 v7, 0, v7, s0
	v_cmp_lt_i32_e64 s0, v69, v36
	v_cndmask_b32_e64 v6, 0, v6, s0
	v_cmp_lt_i32_e64 s0, v68, v36
	s_delay_alu instid0(VALU_DEP_1) | instskip(SKIP_1) | instid1(VALU_DEP_1)
	v_cndmask_b32_e64 v3, 0, v3, s0
	v_cmp_lt_i32_e64 s0, v15, v36
	v_cndmask_b32_e64 v2, 0, v2, s0
.LBB462_1861:                           ;   in Loop: Header=BB462_1471 Depth=1
	s_or_b32 exec_lo, exec_lo, s9
	v_lshlrev_b32_e32 v4, 16, v4
                                        ; implicit-def: $vgpr114
	s_delay_alu instid0(VALU_DEP_1) | instskip(NEXT) | instid1(VALU_DEP_1)
	v_mul_f32_e32 v4, v82, v4
	v_and_b32_e32 v34, 0x7f800000, v4
	s_delay_alu instid0(VALU_DEP_1) | instskip(NEXT) | instid1(VALU_DEP_1)
	v_cmp_ne_u32_e64 s0, 0x7f800000, v34
	s_and_saveexec_b32 s9, s0
	s_delay_alu instid0(SALU_CYCLE_1)
	s_xor_b32 s0, exec_lo, s9
; %bb.1862:                             ;   in Loop: Header=BB462_1471 Depth=1
	v_bfe_u32 v34, v4, 16, 1
	s_delay_alu instid0(VALU_DEP_1)
	v_add3_u32 v114, v4, v34, 0x7fff
                                        ; implicit-def: $vgpr4
; %bb.1863:                             ;   in Loop: Header=BB462_1471 Depth=1
	s_and_not1_saveexec_b32 s9, s0
; %bb.1864:                             ;   in Loop: Header=BB462_1471 Depth=1
	v_and_b32_e32 v34, 0xffff, v4
	v_or_b32_e32 v35, 0x10000, v4
	s_delay_alu instid0(VALU_DEP_2) | instskip(NEXT) | instid1(VALU_DEP_1)
	v_cmp_eq_u32_e64 s0, 0, v34
	v_cndmask_b32_e64 v114, v35, v4, s0
; %bb.1865:                             ;   in Loop: Header=BB462_1471 Depth=1
	s_or_b32 exec_lo, exec_lo, s9
	v_lshlrev_b32_e32 v4, 16, v5
                                        ; implicit-def: $vgpr115
	s_delay_alu instid0(VALU_DEP_1) | instskip(NEXT) | instid1(VALU_DEP_1)
	v_mul_f32_e32 v4, v83, v4
	v_and_b32_e32 v5, 0x7f800000, v4
	s_delay_alu instid0(VALU_DEP_1) | instskip(NEXT) | instid1(VALU_DEP_1)
	v_cmp_ne_u32_e64 s0, 0x7f800000, v5
	s_and_saveexec_b32 s9, s0
	s_delay_alu instid0(SALU_CYCLE_1)
	s_xor_b32 s0, exec_lo, s9
; %bb.1866:                             ;   in Loop: Header=BB462_1471 Depth=1
	v_bfe_u32 v5, v4, 16, 1
	s_delay_alu instid0(VALU_DEP_1)
	v_add3_u32 v115, v4, v5, 0x7fff
                                        ; implicit-def: $vgpr4
; %bb.1867:                             ;   in Loop: Header=BB462_1471 Depth=1
	s_and_not1_saveexec_b32 s9, s0
; %bb.1868:                             ;   in Loop: Header=BB462_1471 Depth=1
	v_and_b32_e32 v5, 0xffff, v4
	v_or_b32_e32 v34, 0x10000, v4
	s_delay_alu instid0(VALU_DEP_2) | instskip(NEXT) | instid1(VALU_DEP_1)
	v_cmp_eq_u32_e64 s0, 0, v5
	v_cndmask_b32_e64 v115, v34, v4, s0
; %bb.1869:                             ;   in Loop: Header=BB462_1471 Depth=1
	s_or_b32 exec_lo, exec_lo, s9
	v_lshlrev_b32_e32 v4, 16, v23
                                        ; implicit-def: $vgpr116
	s_delay_alu instid0(VALU_DEP_1) | instskip(NEXT) | instid1(VALU_DEP_1)
	v_mul_f32_e32 v4, v84, v4
	v_and_b32_e32 v5, 0x7f800000, v4
	s_delay_alu instid0(VALU_DEP_1) | instskip(NEXT) | instid1(VALU_DEP_1)
	v_cmp_ne_u32_e64 s0, 0x7f800000, v5
	s_and_saveexec_b32 s9, s0
	s_delay_alu instid0(SALU_CYCLE_1)
	s_xor_b32 s0, exec_lo, s9
; %bb.1870:                             ;   in Loop: Header=BB462_1471 Depth=1
	v_bfe_u32 v5, v4, 16, 1
	s_delay_alu instid0(VALU_DEP_1)
	v_add3_u32 v116, v4, v5, 0x7fff
                                        ; implicit-def: $vgpr4
; %bb.1871:                             ;   in Loop: Header=BB462_1471 Depth=1
	s_and_not1_saveexec_b32 s9, s0
; %bb.1872:                             ;   in Loop: Header=BB462_1471 Depth=1
	v_and_b32_e32 v5, 0xffff, v4
	v_or_b32_e32 v23, 0x10000, v4
	s_delay_alu instid0(VALU_DEP_2) | instskip(NEXT) | instid1(VALU_DEP_1)
	v_cmp_eq_u32_e64 s0, 0, v5
	v_cndmask_b32_e64 v116, v23, v4, s0
; %bb.1873:                             ;   in Loop: Header=BB462_1471 Depth=1
	s_or_b32 exec_lo, exec_lo, s9
	v_lshlrev_b32_e32 v4, 16, v9
                                        ; implicit-def: $vgpr117
	s_delay_alu instid0(VALU_DEP_1) | instskip(NEXT) | instid1(VALU_DEP_1)
	v_mul_f32_e32 v4, v85, v4
	v_and_b32_e32 v5, 0x7f800000, v4
	s_delay_alu instid0(VALU_DEP_1) | instskip(NEXT) | instid1(VALU_DEP_1)
	v_cmp_ne_u32_e64 s0, 0x7f800000, v5
	s_and_saveexec_b32 s9, s0
	s_delay_alu instid0(SALU_CYCLE_1)
	s_xor_b32 s0, exec_lo, s9
; %bb.1874:                             ;   in Loop: Header=BB462_1471 Depth=1
	v_bfe_u32 v5, v4, 16, 1
	s_delay_alu instid0(VALU_DEP_1)
	v_add3_u32 v117, v4, v5, 0x7fff
                                        ; implicit-def: $vgpr4
; %bb.1875:                             ;   in Loop: Header=BB462_1471 Depth=1
	s_and_not1_saveexec_b32 s9, s0
; %bb.1876:                             ;   in Loop: Header=BB462_1471 Depth=1
	v_and_b32_e32 v5, 0xffff, v4
	v_or_b32_e32 v9, 0x10000, v4
	s_delay_alu instid0(VALU_DEP_2) | instskip(NEXT) | instid1(VALU_DEP_1)
	v_cmp_eq_u32_e64 s0, 0, v5
	v_cndmask_b32_e64 v117, v9, v4, s0
; %bb.1877:                             ;   in Loop: Header=BB462_1471 Depth=1
	s_or_b32 exec_lo, exec_lo, s9
	v_lshlrev_b32_e32 v4, 16, v7
                                        ; implicit-def: $vgpr118
	s_delay_alu instid0(VALU_DEP_1) | instskip(NEXT) | instid1(VALU_DEP_1)
	v_mul_f32_e32 v4, v86, v4
	v_and_b32_e32 v5, 0x7f800000, v4
	s_delay_alu instid0(VALU_DEP_1) | instskip(NEXT) | instid1(VALU_DEP_1)
	v_cmp_ne_u32_e64 s0, 0x7f800000, v5
	s_and_saveexec_b32 s9, s0
	s_delay_alu instid0(SALU_CYCLE_1)
	s_xor_b32 s0, exec_lo, s9
; %bb.1878:                             ;   in Loop: Header=BB462_1471 Depth=1
	v_bfe_u32 v5, v4, 16, 1
	s_delay_alu instid0(VALU_DEP_1)
	v_add3_u32 v118, v4, v5, 0x7fff
                                        ; implicit-def: $vgpr4
; %bb.1879:                             ;   in Loop: Header=BB462_1471 Depth=1
	s_and_not1_saveexec_b32 s9, s0
; %bb.1880:                             ;   in Loop: Header=BB462_1471 Depth=1
	v_and_b32_e32 v5, 0xffff, v4
	v_or_b32_e32 v7, 0x10000, v4
	s_delay_alu instid0(VALU_DEP_2) | instskip(NEXT) | instid1(VALU_DEP_1)
	v_cmp_eq_u32_e64 s0, 0, v5
	v_cndmask_b32_e64 v118, v7, v4, s0
; %bb.1881:                             ;   in Loop: Header=BB462_1471 Depth=1
	s_or_b32 exec_lo, exec_lo, s9
	v_lshlrev_b32_e32 v4, 16, v6
                                        ; implicit-def: $vgpr119
	s_delay_alu instid0(VALU_DEP_1) | instskip(NEXT) | instid1(VALU_DEP_1)
	v_mul_f32_e32 v4, v87, v4
	v_and_b32_e32 v5, 0x7f800000, v4
	s_delay_alu instid0(VALU_DEP_1) | instskip(NEXT) | instid1(VALU_DEP_1)
	v_cmp_ne_u32_e64 s0, 0x7f800000, v5
	s_and_saveexec_b32 s9, s0
	s_delay_alu instid0(SALU_CYCLE_1)
	s_xor_b32 s0, exec_lo, s9
; %bb.1882:                             ;   in Loop: Header=BB462_1471 Depth=1
	v_bfe_u32 v5, v4, 16, 1
	s_delay_alu instid0(VALU_DEP_1)
	v_add3_u32 v119, v4, v5, 0x7fff
                                        ; implicit-def: $vgpr4
; %bb.1883:                             ;   in Loop: Header=BB462_1471 Depth=1
	s_and_not1_saveexec_b32 s9, s0
; %bb.1884:                             ;   in Loop: Header=BB462_1471 Depth=1
	v_and_b32_e32 v5, 0xffff, v4
	v_or_b32_e32 v6, 0x10000, v4
	s_delay_alu instid0(VALU_DEP_2) | instskip(NEXT) | instid1(VALU_DEP_1)
	v_cmp_eq_u32_e64 s0, 0, v5
	v_cndmask_b32_e64 v119, v6, v4, s0
; %bb.1885:                             ;   in Loop: Header=BB462_1471 Depth=1
	s_or_b32 exec_lo, exec_lo, s9
	v_lshlrev_b32_e32 v3, 16, v3
                                        ; implicit-def: $vgpr128
	s_delay_alu instid0(VALU_DEP_1) | instskip(NEXT) | instid1(VALU_DEP_1)
	v_mul_f32_e32 v3, v96, v3
	v_and_b32_e32 v4, 0x7f800000, v3
	s_delay_alu instid0(VALU_DEP_1) | instskip(NEXT) | instid1(VALU_DEP_1)
	v_cmp_ne_u32_e64 s0, 0x7f800000, v4
	s_and_saveexec_b32 s9, s0
	s_delay_alu instid0(SALU_CYCLE_1)
	s_xor_b32 s0, exec_lo, s9
; %bb.1886:                             ;   in Loop: Header=BB462_1471 Depth=1
	v_bfe_u32 v4, v3, 16, 1
	s_delay_alu instid0(VALU_DEP_1)
	v_add3_u32 v128, v3, v4, 0x7fff
                                        ; implicit-def: $vgpr3
; %bb.1887:                             ;   in Loop: Header=BB462_1471 Depth=1
	s_and_not1_saveexec_b32 s9, s0
; %bb.1888:                             ;   in Loop: Header=BB462_1471 Depth=1
	v_and_b32_e32 v4, 0xffff, v3
	v_or_b32_e32 v5, 0x10000, v3
	s_delay_alu instid0(VALU_DEP_2) | instskip(NEXT) | instid1(VALU_DEP_1)
	v_cmp_eq_u32_e64 s0, 0, v4
	v_cndmask_b32_e64 v128, v5, v3, s0
; %bb.1889:                             ;   in Loop: Header=BB462_1471 Depth=1
	s_or_b32 exec_lo, exec_lo, s9
	v_lshlrev_b32_e32 v2, 16, v2
                                        ; implicit-def: $vgpr129
	s_delay_alu instid0(VALU_DEP_1) | instskip(NEXT) | instid1(VALU_DEP_1)
	v_mul_f32_e32 v2, v97, v2
	v_and_b32_e32 v3, 0x7f800000, v2
	s_delay_alu instid0(VALU_DEP_1) | instskip(NEXT) | instid1(VALU_DEP_1)
	v_cmp_ne_u32_e64 s0, 0x7f800000, v3
	s_and_saveexec_b32 s9, s0
	s_delay_alu instid0(SALU_CYCLE_1)
	s_xor_b32 s0, exec_lo, s9
; %bb.1890:                             ;   in Loop: Header=BB462_1471 Depth=1
	v_bfe_u32 v3, v2, 16, 1
	s_delay_alu instid0(VALU_DEP_1)
	v_add3_u32 v129, v2, v3, 0x7fff
                                        ; implicit-def: $vgpr2
; %bb.1891:                             ;   in Loop: Header=BB462_1471 Depth=1
	s_and_not1_saveexec_b32 s9, s0
; %bb.1892:                             ;   in Loop: Header=BB462_1471 Depth=1
	v_and_b32_e32 v3, 0xffff, v2
	v_or_b32_e32 v4, 0x10000, v2
	s_delay_alu instid0(VALU_DEP_2) | instskip(NEXT) | instid1(VALU_DEP_1)
	v_cmp_eq_u32_e64 s0, 0, v3
	v_cndmask_b32_e64 v129, v4, v2, s0
; %bb.1893:                             ;   in Loop: Header=BB462_1471 Depth=1
	s_or_b32 exec_lo, exec_lo, s9
	flat_load_b64 v[2:3], v[0:1] offset:768
	s_mov_b32 s9, exec_lo
	s_waitcnt vmcnt(0) lgkmcnt(0)
	v_dual_mov_b32 v4, 0 :: v_dual_and_b32 v5, 0xff, v2
	s_delay_alu instid0(VALU_DEP_1)
	v_cmpx_ne_u16_e32 0, v5
	s_cbranch_execz .LBB462_1901
; %bb.1894:                             ;   in Loop: Header=BB462_1471 Depth=1
	v_bfrev_b32_e32 v4, 1
	s_mov_b32 s12, exec_lo
	v_cmpx_ne_u16_e32 0x80, v5
	s_cbranch_execz .LBB462_1900
; %bb.1895:                             ;   in Loop: Header=BB462_1471 Depth=1
	v_and_b32_e32 v5, 0x7f, v2
	v_mov_b32_e32 v4, 0x7f800001
	s_mov_b32 s13, exec_lo
	s_delay_alu instid0(VALU_DEP_2)
	v_cmpx_ne_u32_e32 0x7f, v5
	s_cbranch_execz .LBB462_1899
; %bb.1896:                             ;   in Loop: Header=BB462_1471 Depth=1
	v_lshrrev_b32_e32 v4, 3, v5
	v_dual_mov_b32 v7, v3 :: v_dual_mov_b32 v6, v2
	s_mov_b32 s15, exec_lo
	v_cmpx_gt_u32_e32 8, v5
; %bb.1897:                             ;   in Loop: Header=BB462_1471 Depth=1
	v_and_b32_e32 v4, 7, v2
	s_delay_alu instid0(VALU_DEP_1) | instskip(NEXT) | instid1(VALU_DEP_1)
	v_clz_i32_u32_e32 v4, v4
	v_min_u32_e32 v4, 32, v4
	s_delay_alu instid0(VALU_DEP_1) | instskip(SKIP_1) | instid1(VALU_DEP_2)
	v_subrev_nc_u32_e32 v5, 28, v4
	v_sub_nc_u32_e32 v4, 29, v4
	v_lshlrev_b64 v[6:7], v5, v[2:3]
; %bb.1898:                             ;   in Loop: Header=BB462_1471 Depth=1
	s_or_b32 exec_lo, exec_lo, s15
	s_delay_alu instid0(VALU_DEP_1) | instskip(SKIP_2) | instid1(VALU_DEP_3)
	v_lshlrev_b32_e32 v5, 20, v6
	v_lshlrev_b32_e32 v6, 24, v2
	v_lshl_add_u32 v4, v4, 23, 0x3c000000
	v_and_b32_e32 v5, 0x700000, v5
	s_delay_alu instid0(VALU_DEP_3) | instskip(NEXT) | instid1(VALU_DEP_1)
	v_and_b32_e32 v6, 0x80000000, v6
	v_or3_b32 v4, v5, v6, v4
.LBB462_1899:                           ;   in Loop: Header=BB462_1471 Depth=1
	s_or_b32 exec_lo, exec_lo, s13
.LBB462_1900:                           ;   in Loop: Header=BB462_1471 Depth=1
	s_delay_alu instid0(SALU_CYCLE_1)
	s_or_b32 exec_lo, exec_lo, s12
.LBB462_1901:                           ;   in Loop: Header=BB462_1471 Depth=1
	s_delay_alu instid0(SALU_CYCLE_1) | instskip(NEXT) | instid1(VALU_DEP_1)
	s_or_b32 exec_lo, exec_lo, s9
	v_mul_f32_e32 v5, v26, v4
	s_delay_alu instid0(VALU_DEP_1) | instskip(NEXT) | instid1(VALU_DEP_1)
	v_and_b32_e32 v4, 0x7f800000, v5
	v_cmp_ne_u32_e64 s0, 0x7f800000, v4
                                        ; implicit-def: $vgpr4
	s_delay_alu instid0(VALU_DEP_1) | instskip(NEXT) | instid1(SALU_CYCLE_1)
	s_and_saveexec_b32 s9, s0
	s_xor_b32 s0, exec_lo, s9
; %bb.1902:                             ;   in Loop: Header=BB462_1471 Depth=1
	v_bfe_u32 v4, v5, 16, 1
	s_delay_alu instid0(VALU_DEP_1)
	v_add3_u32 v4, v5, v4, 0x7fff
                                        ; implicit-def: $vgpr5
; %bb.1903:                             ;   in Loop: Header=BB462_1471 Depth=1
	s_and_not1_saveexec_b32 s9, s0
; %bb.1904:                             ;   in Loop: Header=BB462_1471 Depth=1
	v_and_b32_e32 v4, 0xffff, v5
	v_or_b32_e32 v6, 0x10000, v5
	s_delay_alu instid0(VALU_DEP_2) | instskip(NEXT) | instid1(VALU_DEP_1)
	v_cmp_eq_u32_e64 s0, 0, v4
	v_cndmask_b32_e64 v4, v6, v5, s0
; %bb.1905:                             ;   in Loop: Header=BB462_1471 Depth=1
	s_or_b32 exec_lo, exec_lo, s9
	v_lshrrev_b16 v6, 8, v2
	v_mov_b32_e32 v5, 0
	s_mov_b32 s9, exec_lo
	s_delay_alu instid0(VALU_DEP_2)
	v_cmpx_ne_u16_e32 0, v6
	s_cbranch_execz .LBB462_1913
; %bb.1906:                             ;   in Loop: Header=BB462_1471 Depth=1
	v_bfrev_b32_e32 v5, 1
	s_mov_b32 s12, exec_lo
	v_cmpx_ne_u16_e32 0x80, v6
	s_cbranch_execz .LBB462_1912
; %bb.1907:                             ;   in Loop: Header=BB462_1471 Depth=1
	v_and_b32_e32 v7, 0xffff, v6
	v_mov_b32_e32 v5, 0x7f800001
	s_mov_b32 s13, exec_lo
	s_delay_alu instid0(VALU_DEP_2) | instskip(NEXT) | instid1(VALU_DEP_1)
	v_and_b32_e32 v6, 0x7f, v7
	v_cmpx_ne_u32_e32 0x7f, v6
	s_cbranch_execz .LBB462_1911
; %bb.1908:                             ;   in Loop: Header=BB462_1471 Depth=1
	v_and_b32_e32 v9, 7, v7
	v_lshrrev_b32_e32 v5, 3, v6
	v_cmp_gt_u32_e64 s0, 8, v6
	s_delay_alu instid0(VALU_DEP_3) | instskip(NEXT) | instid1(VALU_DEP_2)
	v_dual_mov_b32 v6, v9 :: v_dual_mov_b32 v7, v10
	s_and_saveexec_b32 s15, s0
; %bb.1909:                             ;   in Loop: Header=BB462_1471 Depth=1
	v_clz_i32_u32_e32 v5, v9
	s_delay_alu instid0(VALU_DEP_1) | instskip(NEXT) | instid1(VALU_DEP_1)
	v_min_u32_e32 v5, 32, v5
	v_subrev_nc_u32_e32 v6, 28, v5
	v_sub_nc_u32_e32 v5, 29, v5
	s_delay_alu instid0(VALU_DEP_2) | instskip(NEXT) | instid1(VALU_DEP_1)
	v_lshlrev_b64 v[6:7], v6, v[9:10]
	v_and_b32_e32 v6, 7, v6
; %bb.1910:                             ;   in Loop: Header=BB462_1471 Depth=1
	s_or_b32 exec_lo, exec_lo, s15
	v_lshlrev_b32_e32 v7, 16, v2
	s_delay_alu instid0(VALU_DEP_2) | instskip(SKIP_1) | instid1(VALU_DEP_3)
	v_lshlrev_b32_e32 v6, 20, v6
	v_lshl_add_u32 v5, v5, 23, 0x3c000000
	v_and_b32_e32 v7, 0x80000000, v7
	s_delay_alu instid0(VALU_DEP_1)
	v_or3_b32 v5, v6, v7, v5
.LBB462_1911:                           ;   in Loop: Header=BB462_1471 Depth=1
	s_or_b32 exec_lo, exec_lo, s13
.LBB462_1912:                           ;   in Loop: Header=BB462_1471 Depth=1
	s_delay_alu instid0(SALU_CYCLE_1)
	s_or_b32 exec_lo, exec_lo, s12
.LBB462_1913:                           ;   in Loop: Header=BB462_1471 Depth=1
	s_delay_alu instid0(SALU_CYCLE_1) | instskip(NEXT) | instid1(VALU_DEP_1)
	s_or_b32 exec_lo, exec_lo, s9
	v_mul_f32_e32 v6, v26, v5
	s_delay_alu instid0(VALU_DEP_1) | instskip(NEXT) | instid1(VALU_DEP_1)
	v_and_b32_e32 v5, 0x7f800000, v6
	v_cmp_ne_u32_e64 s0, 0x7f800000, v5
                                        ; implicit-def: $vgpr5
	s_delay_alu instid0(VALU_DEP_1) | instskip(NEXT) | instid1(SALU_CYCLE_1)
	s_and_saveexec_b32 s9, s0
	s_xor_b32 s0, exec_lo, s9
; %bb.1914:                             ;   in Loop: Header=BB462_1471 Depth=1
	v_bfe_u32 v5, v6, 16, 1
	s_delay_alu instid0(VALU_DEP_1)
	v_add3_u32 v5, v6, v5, 0x7fff
                                        ; implicit-def: $vgpr6
; %bb.1915:                             ;   in Loop: Header=BB462_1471 Depth=1
	s_and_not1_saveexec_b32 s9, s0
; %bb.1916:                             ;   in Loop: Header=BB462_1471 Depth=1
	v_and_b32_e32 v5, 0xffff, v6
	v_or_b32_e32 v7, 0x10000, v6
	s_delay_alu instid0(VALU_DEP_2) | instskip(NEXT) | instid1(VALU_DEP_1)
	v_cmp_eq_u32_e64 s0, 0, v5
	v_cndmask_b32_e64 v5, v7, v6, s0
; %bb.1917:                             ;   in Loop: Header=BB462_1471 Depth=1
	s_or_b32 exec_lo, exec_lo, s9
	v_lshrrev_b32_e32 v23, 16, v2
	s_mov_b32 s9, exec_lo
	s_delay_alu instid0(VALU_DEP_1) | instskip(NEXT) | instid1(VALU_DEP_1)
	v_dual_mov_b32 v6, 0 :: v_dual_and_b32 v7, 0xff, v23
	v_cmpx_ne_u16_e32 0, v7
	s_cbranch_execz .LBB462_1925
; %bb.1918:                             ;   in Loop: Header=BB462_1471 Depth=1
	v_bfrev_b32_e32 v6, 1
	s_mov_b32 s12, exec_lo
	v_cmpx_ne_u16_e32 0x80, v7
	s_cbranch_execz .LBB462_1924
; %bb.1919:                             ;   in Loop: Header=BB462_1471 Depth=1
	v_bfe_u32 v7, v2, 16, 7
	v_mov_b32_e32 v6, 0x7f800001
	s_mov_b32 s13, exec_lo
	s_delay_alu instid0(VALU_DEP_2)
	v_cmpx_ne_u32_e32 0x7f, v7
	s_cbranch_execz .LBB462_1923
; %bb.1920:                             ;   in Loop: Header=BB462_1471 Depth=1
	v_and_b32_e32 v9, 7, v23
	v_lshrrev_b32_e32 v34, 3, v7
	v_cmp_gt_u32_e64 s0, 8, v7
	s_delay_alu instid0(VALU_DEP_3) | instskip(NEXT) | instid1(VALU_DEP_2)
	v_dual_mov_b32 v6, v9 :: v_dual_mov_b32 v7, v10
	s_and_saveexec_b32 s15, s0
; %bb.1921:                             ;   in Loop: Header=BB462_1471 Depth=1
	v_clz_i32_u32_e32 v6, v9
	s_delay_alu instid0(VALU_DEP_1) | instskip(NEXT) | instid1(VALU_DEP_1)
	v_min_u32_e32 v34, 32, v6
	v_subrev_nc_u32_e32 v6, 28, v34
	v_sub_nc_u32_e32 v34, 29, v34
	s_delay_alu instid0(VALU_DEP_2) | instskip(NEXT) | instid1(VALU_DEP_1)
	v_lshlrev_b64 v[6:7], v6, v[9:10]
	v_and_b32_e32 v6, 7, v6
; %bb.1922:                             ;   in Loop: Header=BB462_1471 Depth=1
	s_or_b32 exec_lo, exec_lo, s15
	v_lshlrev_b32_e32 v7, 24, v23
	s_delay_alu instid0(VALU_DEP_2) | instskip(SKIP_1) | instid1(VALU_DEP_3)
	v_lshlrev_b32_e32 v6, 20, v6
	v_lshl_add_u32 v9, v34, 23, 0x3c000000
	v_and_b32_e32 v7, 0x80000000, v7
	s_delay_alu instid0(VALU_DEP_1)
	v_or3_b32 v6, v6, v7, v9
.LBB462_1923:                           ;   in Loop: Header=BB462_1471 Depth=1
	s_or_b32 exec_lo, exec_lo, s13
.LBB462_1924:                           ;   in Loop: Header=BB462_1471 Depth=1
	s_delay_alu instid0(SALU_CYCLE_1)
	s_or_b32 exec_lo, exec_lo, s12
.LBB462_1925:                           ;   in Loop: Header=BB462_1471 Depth=1
	s_delay_alu instid0(SALU_CYCLE_1) | instskip(NEXT) | instid1(VALU_DEP_1)
	s_or_b32 exec_lo, exec_lo, s9
	v_mul_f32_e32 v6, v26, v6
                                        ; implicit-def: $vgpr23
	s_delay_alu instid0(VALU_DEP_1) | instskip(NEXT) | instid1(VALU_DEP_1)
	v_and_b32_e32 v7, 0x7f800000, v6
	v_cmp_ne_u32_e64 s0, 0x7f800000, v7
	s_delay_alu instid0(VALU_DEP_1) | instskip(NEXT) | instid1(SALU_CYCLE_1)
	s_and_saveexec_b32 s9, s0
	s_xor_b32 s0, exec_lo, s9
; %bb.1926:                             ;   in Loop: Header=BB462_1471 Depth=1
	v_bfe_u32 v7, v6, 16, 1
	s_delay_alu instid0(VALU_DEP_1)
	v_add3_u32 v23, v6, v7, 0x7fff
                                        ; implicit-def: $vgpr6
; %bb.1927:                             ;   in Loop: Header=BB462_1471 Depth=1
	s_and_not1_saveexec_b32 s9, s0
; %bb.1928:                             ;   in Loop: Header=BB462_1471 Depth=1
	v_and_b32_e32 v7, 0xffff, v6
	v_or_b32_e32 v9, 0x10000, v6
	s_delay_alu instid0(VALU_DEP_2) | instskip(NEXT) | instid1(VALU_DEP_1)
	v_cmp_eq_u32_e64 s0, 0, v7
	v_cndmask_b32_e64 v23, v9, v6, s0
; %bb.1929:                             ;   in Loop: Header=BB462_1471 Depth=1
	s_or_b32 exec_lo, exec_lo, s9
	v_mov_b32_e32 v6, 0
	s_mov_b32 s9, exec_lo
	v_cmpx_lt_u32_e32 0xffffff, v2
	s_cbranch_execz .LBB462_1937
; %bb.1930:                             ;   in Loop: Header=BB462_1471 Depth=1
	v_lshrrev_b32_e32 v34, 24, v2
	v_bfrev_b32_e32 v6, 1
	s_mov_b32 s12, exec_lo
	s_delay_alu instid0(VALU_DEP_2)
	v_cmpx_ne_u32_e32 0x80, v34
	s_cbranch_execz .LBB462_1936
; %bb.1931:                             ;   in Loop: Header=BB462_1471 Depth=1
	v_bfe_u32 v7, v2, 24, 7
	v_mov_b32_e32 v6, 0x7f800001
	s_mov_b32 s13, exec_lo
	s_delay_alu instid0(VALU_DEP_2)
	v_cmpx_ne_u32_e32 0x7f, v7
	s_cbranch_execz .LBB462_1935
; %bb.1932:                             ;   in Loop: Header=BB462_1471 Depth=1
	v_and_b32_e32 v9, 7, v34
	v_lshrrev_b32_e32 v35, 3, v7
	v_cmp_gt_u32_e64 s0, 8, v7
	s_delay_alu instid0(VALU_DEP_3) | instskip(NEXT) | instid1(VALU_DEP_2)
	v_dual_mov_b32 v6, v9 :: v_dual_mov_b32 v7, v10
	s_and_saveexec_b32 s15, s0
; %bb.1933:                             ;   in Loop: Header=BB462_1471 Depth=1
	v_clz_i32_u32_e32 v6, v9
	s_delay_alu instid0(VALU_DEP_1) | instskip(NEXT) | instid1(VALU_DEP_1)
	v_min_u32_e32 v35, 32, v6
	v_subrev_nc_u32_e32 v6, 28, v35
	v_sub_nc_u32_e32 v35, 29, v35
	s_delay_alu instid0(VALU_DEP_2) | instskip(NEXT) | instid1(VALU_DEP_1)
	v_lshlrev_b64 v[6:7], v6, v[9:10]
	v_and_b32_e32 v6, 7, v6
; %bb.1934:                             ;   in Loop: Header=BB462_1471 Depth=1
	s_or_b32 exec_lo, exec_lo, s15
	v_lshlrev_b32_e32 v7, 24, v34
	s_delay_alu instid0(VALU_DEP_2) | instskip(SKIP_1) | instid1(VALU_DEP_3)
	v_lshlrev_b32_e32 v6, 20, v6
	v_lshl_add_u32 v9, v35, 23, 0x3c000000
	v_and_b32_e32 v7, 0x80000000, v7
	s_delay_alu instid0(VALU_DEP_1)
	v_or3_b32 v6, v6, v7, v9
.LBB462_1935:                           ;   in Loop: Header=BB462_1471 Depth=1
	s_or_b32 exec_lo, exec_lo, s13
.LBB462_1936:                           ;   in Loop: Header=BB462_1471 Depth=1
	s_delay_alu instid0(SALU_CYCLE_1)
	s_or_b32 exec_lo, exec_lo, s12
.LBB462_1937:                           ;   in Loop: Header=BB462_1471 Depth=1
	s_delay_alu instid0(SALU_CYCLE_1) | instskip(NEXT) | instid1(VALU_DEP_1)
	s_or_b32 exec_lo, exec_lo, s9
	v_mul_f32_e32 v6, v26, v6
                                        ; implicit-def: $vgpr34
	s_delay_alu instid0(VALU_DEP_1) | instskip(NEXT) | instid1(VALU_DEP_1)
	v_and_b32_e32 v7, 0x7f800000, v6
	v_cmp_ne_u32_e64 s0, 0x7f800000, v7
	s_delay_alu instid0(VALU_DEP_1) | instskip(NEXT) | instid1(SALU_CYCLE_1)
	s_and_saveexec_b32 s9, s0
	s_xor_b32 s0, exec_lo, s9
; %bb.1938:                             ;   in Loop: Header=BB462_1471 Depth=1
	v_bfe_u32 v7, v6, 16, 1
	s_delay_alu instid0(VALU_DEP_1)
	v_add3_u32 v34, v6, v7, 0x7fff
                                        ; implicit-def: $vgpr6
; %bb.1939:                             ;   in Loop: Header=BB462_1471 Depth=1
	s_and_not1_saveexec_b32 s9, s0
; %bb.1940:                             ;   in Loop: Header=BB462_1471 Depth=1
	v_and_b32_e32 v7, 0xffff, v6
	v_or_b32_e32 v9, 0x10000, v6
	s_delay_alu instid0(VALU_DEP_2) | instskip(NEXT) | instid1(VALU_DEP_1)
	v_cmp_eq_u32_e64 s0, 0, v7
	v_cndmask_b32_e64 v34, v9, v6, s0
; %bb.1941:                             ;   in Loop: Header=BB462_1471 Depth=1
	s_or_b32 exec_lo, exec_lo, s9
	v_dual_mov_b32 v6, 0 :: v_dual_and_b32 v7, 0xff, v3
	v_mov_b32_e32 v9, v3
	s_mov_b32 s9, exec_lo
	s_delay_alu instid0(VALU_DEP_2)
	v_cmpx_ne_u16_e32 0, v7
	s_cbranch_execz .LBB462_1949
; %bb.1942:                             ;   in Loop: Header=BB462_1471 Depth=1
	v_bfrev_b32_e32 v6, 1
	s_mov_b32 s12, exec_lo
	v_cmpx_ne_u16_e32 0x80, v7
	s_cbranch_execz .LBB462_1948
; %bb.1943:                             ;   in Loop: Header=BB462_1471 Depth=1
	v_and_b32_e32 v7, 0x7f, v3
	v_mov_b32_e32 v6, 0x7f800001
	s_mov_b32 s13, exec_lo
	s_delay_alu instid0(VALU_DEP_2)
	v_cmpx_ne_u32_e32 0x7f, v7
	s_cbranch_execz .LBB462_1947
; %bb.1944:                             ;   in Loop: Header=BB462_1471 Depth=1
	v_lshrrev_b32_e32 v35, 3, v7
	v_cmp_gt_u32_e64 s0, 8, v7
	v_dual_mov_b32 v6, v9 :: v_dual_mov_b32 v7, v10
	s_delay_alu instid0(VALU_DEP_2)
	s_and_saveexec_b32 s15, s0
; %bb.1945:                             ;   in Loop: Header=BB462_1471 Depth=1
	v_and_b32_e32 v6, 7, v3
	s_delay_alu instid0(VALU_DEP_1) | instskip(NEXT) | instid1(VALU_DEP_1)
	v_clz_i32_u32_e32 v6, v6
	v_min_u32_e32 v35, 32, v6
	s_delay_alu instid0(VALU_DEP_1) | instskip(SKIP_1) | instid1(VALU_DEP_2)
	v_subrev_nc_u32_e32 v6, 28, v35
	v_sub_nc_u32_e32 v35, 29, v35
	v_lshlrev_b64 v[6:7], v6, v[9:10]
; %bb.1946:                             ;   in Loop: Header=BB462_1471 Depth=1
	s_or_b32 exec_lo, exec_lo, s15
	s_delay_alu instid0(VALU_DEP_1) | instskip(SKIP_2) | instid1(VALU_DEP_3)
	v_lshlrev_b32_e32 v6, 20, v6
	v_lshlrev_b32_e32 v7, 24, v9
	v_lshl_add_u32 v35, v35, 23, 0x3c000000
	v_and_b32_e32 v6, 0x700000, v6
	s_delay_alu instid0(VALU_DEP_3) | instskip(NEXT) | instid1(VALU_DEP_1)
	v_and_b32_e32 v7, 0x80000000, v7
	v_or3_b32 v6, v6, v7, v35
.LBB462_1947:                           ;   in Loop: Header=BB462_1471 Depth=1
	s_or_b32 exec_lo, exec_lo, s13
.LBB462_1948:                           ;   in Loop: Header=BB462_1471 Depth=1
	s_delay_alu instid0(SALU_CYCLE_1)
	s_or_b32 exec_lo, exec_lo, s12
.LBB462_1949:                           ;   in Loop: Header=BB462_1471 Depth=1
	s_delay_alu instid0(SALU_CYCLE_1) | instskip(NEXT) | instid1(VALU_DEP_1)
	s_or_b32 exec_lo, exec_lo, s9
	v_mul_f32_e32 v6, v26, v6
                                        ; implicit-def: $vgpr35
	s_delay_alu instid0(VALU_DEP_1) | instskip(NEXT) | instid1(VALU_DEP_1)
	v_and_b32_e32 v7, 0x7f800000, v6
	v_cmp_ne_u32_e64 s0, 0x7f800000, v7
	s_delay_alu instid0(VALU_DEP_1) | instskip(NEXT) | instid1(SALU_CYCLE_1)
	s_and_saveexec_b32 s9, s0
	s_xor_b32 s0, exec_lo, s9
; %bb.1950:                             ;   in Loop: Header=BB462_1471 Depth=1
	v_bfe_u32 v7, v6, 16, 1
	s_delay_alu instid0(VALU_DEP_1)
	v_add3_u32 v35, v6, v7, 0x7fff
                                        ; implicit-def: $vgpr6
; %bb.1951:                             ;   in Loop: Header=BB462_1471 Depth=1
	s_and_not1_saveexec_b32 s9, s0
; %bb.1952:                             ;   in Loop: Header=BB462_1471 Depth=1
	v_and_b32_e32 v7, 0xffff, v6
	v_or_b32_e32 v35, 0x10000, v6
	s_delay_alu instid0(VALU_DEP_2) | instskip(NEXT) | instid1(VALU_DEP_1)
	v_cmp_eq_u32_e64 s0, 0, v7
	v_cndmask_b32_e64 v35, v35, v6, s0
; %bb.1953:                             ;   in Loop: Header=BB462_1471 Depth=1
	s_or_b32 exec_lo, exec_lo, s9
	v_lshrrev_b16 v7, 8, v9
	v_mov_b32_e32 v6, 0
	s_mov_b32 s9, exec_lo
	s_delay_alu instid0(VALU_DEP_2)
	v_cmpx_ne_u16_e32 0, v7
	s_cbranch_execz .LBB462_1961
; %bb.1954:                             ;   in Loop: Header=BB462_1471 Depth=1
	v_bfrev_b32_e32 v6, 1
	s_mov_b32 s12, exec_lo
	v_cmpx_ne_u16_e32 0x80, v7
	s_cbranch_execz .LBB462_1960
; %bb.1955:                             ;   in Loop: Header=BB462_1471 Depth=1
	v_and_b32_e32 v7, 0xffff, v7
	v_mov_b32_e32 v6, 0x7f800001
	s_mov_b32 s13, exec_lo
	s_delay_alu instid0(VALU_DEP_2) | instskip(NEXT) | instid1(VALU_DEP_1)
	v_and_b32_e32 v131, 0x7f, v7
	v_cmpx_ne_u32_e32 0x7f, v131
	s_cbranch_execz .LBB462_1959
; %bb.1956:                             ;   in Loop: Header=BB462_1471 Depth=1
	v_dual_mov_b32 v7, v10 :: v_dual_and_b32 v6, 7, v7
	v_lshrrev_b32_e32 v130, 3, v131
	s_mov_b32 s15, exec_lo
	v_cmpx_gt_u32_e32 8, v131
; %bb.1957:                             ;   in Loop: Header=BB462_1471 Depth=1
	s_delay_alu instid0(VALU_DEP_3) | instskip(NEXT) | instid1(VALU_DEP_1)
	v_clz_i32_u32_e32 v130, v6
	v_min_u32_e32 v130, 32, v130
	s_delay_alu instid0(VALU_DEP_1) | instskip(SKIP_1) | instid1(VALU_DEP_2)
	v_subrev_nc_u32_e32 v131, 28, v130
	v_sub_nc_u32_e32 v130, 29, v130
	v_lshlrev_b64 v[6:7], v131, v[6:7]
	s_delay_alu instid0(VALU_DEP_1)
	v_and_b32_e32 v6, 7, v6
; %bb.1958:                             ;   in Loop: Header=BB462_1471 Depth=1
	s_or_b32 exec_lo, exec_lo, s15
	v_lshlrev_b32_e32 v7, 16, v9
	s_delay_alu instid0(VALU_DEP_2) | instskip(SKIP_1) | instid1(VALU_DEP_3)
	v_lshlrev_b32_e32 v6, 20, v6
	v_lshl_add_u32 v9, v130, 23, 0x3c000000
	v_and_b32_e32 v7, 0x80000000, v7
	s_delay_alu instid0(VALU_DEP_1)
	v_or3_b32 v6, v6, v7, v9
.LBB462_1959:                           ;   in Loop: Header=BB462_1471 Depth=1
	s_or_b32 exec_lo, exec_lo, s13
.LBB462_1960:                           ;   in Loop: Header=BB462_1471 Depth=1
	s_delay_alu instid0(SALU_CYCLE_1)
	s_or_b32 exec_lo, exec_lo, s12
.LBB462_1961:                           ;   in Loop: Header=BB462_1471 Depth=1
	s_delay_alu instid0(SALU_CYCLE_1) | instskip(NEXT) | instid1(VALU_DEP_1)
	s_or_b32 exec_lo, exec_lo, s9
	v_mul_f32_e32 v6, v26, v6
                                        ; implicit-def: $vgpr130
	s_delay_alu instid0(VALU_DEP_1) | instskip(NEXT) | instid1(VALU_DEP_1)
	v_and_b32_e32 v7, 0x7f800000, v6
	v_cmp_ne_u32_e64 s0, 0x7f800000, v7
	s_delay_alu instid0(VALU_DEP_1) | instskip(NEXT) | instid1(SALU_CYCLE_1)
	s_and_saveexec_b32 s9, s0
	s_xor_b32 s0, exec_lo, s9
; %bb.1962:                             ;   in Loop: Header=BB462_1471 Depth=1
	v_bfe_u32 v7, v6, 16, 1
	s_delay_alu instid0(VALU_DEP_1)
	v_add3_u32 v130, v6, v7, 0x7fff
                                        ; implicit-def: $vgpr6
; %bb.1963:                             ;   in Loop: Header=BB462_1471 Depth=1
	s_and_not1_saveexec_b32 s9, s0
; %bb.1964:                             ;   in Loop: Header=BB462_1471 Depth=1
	v_and_b32_e32 v7, 0xffff, v6
	v_or_b32_e32 v9, 0x10000, v6
	s_delay_alu instid0(VALU_DEP_2) | instskip(NEXT) | instid1(VALU_DEP_1)
	v_cmp_eq_u32_e64 s0, 0, v7
	v_cndmask_b32_e64 v130, v9, v6, s0
; %bb.1965:                             ;   in Loop: Header=BB462_1471 Depth=1
	s_or_b32 exec_lo, exec_lo, s9
	v_lshrrev_b32_e32 v131, 16, v3
	s_mov_b32 s9, exec_lo
	s_delay_alu instid0(VALU_DEP_1) | instskip(NEXT) | instid1(VALU_DEP_1)
	v_dual_mov_b32 v6, 0 :: v_dual_and_b32 v7, 0xff, v131
	v_cmpx_ne_u16_e32 0, v7
	s_cbranch_execz .LBB462_1973
; %bb.1966:                             ;   in Loop: Header=BB462_1471 Depth=1
	v_bfrev_b32_e32 v6, 1
	s_mov_b32 s12, exec_lo
	v_cmpx_ne_u16_e32 0x80, v7
	s_cbranch_execz .LBB462_1972
; %bb.1967:                             ;   in Loop: Header=BB462_1471 Depth=1
	v_bfe_u32 v7, v3, 16, 7
	v_mov_b32_e32 v6, 0x7f800001
	s_mov_b32 s13, exec_lo
	s_delay_alu instid0(VALU_DEP_2)
	v_cmpx_ne_u32_e32 0x7f, v7
	s_cbranch_execz .LBB462_1971
; %bb.1968:                             ;   in Loop: Header=BB462_1471 Depth=1
	v_and_b32_e32 v9, 7, v131
	v_lshrrev_b32_e32 v132, 3, v7
	v_cmp_gt_u32_e64 s0, 8, v7
	s_delay_alu instid0(VALU_DEP_3) | instskip(NEXT) | instid1(VALU_DEP_2)
	v_dual_mov_b32 v6, v9 :: v_dual_mov_b32 v7, v10
	s_and_saveexec_b32 s15, s0
; %bb.1969:                             ;   in Loop: Header=BB462_1471 Depth=1
	v_clz_i32_u32_e32 v6, v9
	s_delay_alu instid0(VALU_DEP_1) | instskip(NEXT) | instid1(VALU_DEP_1)
	v_min_u32_e32 v132, 32, v6
	v_subrev_nc_u32_e32 v6, 28, v132
	v_sub_nc_u32_e32 v132, 29, v132
	s_delay_alu instid0(VALU_DEP_2) | instskip(NEXT) | instid1(VALU_DEP_1)
	v_lshlrev_b64 v[6:7], v6, v[9:10]
	v_and_b32_e32 v6, 7, v6
; %bb.1970:                             ;   in Loop: Header=BB462_1471 Depth=1
	s_or_b32 exec_lo, exec_lo, s15
	v_lshlrev_b32_e32 v7, 24, v131
	s_delay_alu instid0(VALU_DEP_2) | instskip(SKIP_1) | instid1(VALU_DEP_3)
	v_lshlrev_b32_e32 v6, 20, v6
	v_lshl_add_u32 v9, v132, 23, 0x3c000000
	v_and_b32_e32 v7, 0x80000000, v7
	s_delay_alu instid0(VALU_DEP_1)
	v_or3_b32 v6, v6, v7, v9
.LBB462_1971:                           ;   in Loop: Header=BB462_1471 Depth=1
	s_or_b32 exec_lo, exec_lo, s13
.LBB462_1972:                           ;   in Loop: Header=BB462_1471 Depth=1
	s_delay_alu instid0(SALU_CYCLE_1)
	s_or_b32 exec_lo, exec_lo, s12
.LBB462_1973:                           ;   in Loop: Header=BB462_1471 Depth=1
	s_delay_alu instid0(SALU_CYCLE_1) | instskip(NEXT) | instid1(VALU_DEP_1)
	s_or_b32 exec_lo, exec_lo, s9
	v_mul_f32_e32 v6, v26, v6
                                        ; implicit-def: $vgpr131
	s_delay_alu instid0(VALU_DEP_1) | instskip(NEXT) | instid1(VALU_DEP_1)
	v_and_b32_e32 v7, 0x7f800000, v6
	v_cmp_ne_u32_e64 s0, 0x7f800000, v7
	s_delay_alu instid0(VALU_DEP_1) | instskip(NEXT) | instid1(SALU_CYCLE_1)
	s_and_saveexec_b32 s9, s0
	s_xor_b32 s0, exec_lo, s9
; %bb.1974:                             ;   in Loop: Header=BB462_1471 Depth=1
	v_bfe_u32 v7, v6, 16, 1
	s_delay_alu instid0(VALU_DEP_1)
	v_add3_u32 v131, v6, v7, 0x7fff
                                        ; implicit-def: $vgpr6
; %bb.1975:                             ;   in Loop: Header=BB462_1471 Depth=1
	s_and_not1_saveexec_b32 s9, s0
; %bb.1976:                             ;   in Loop: Header=BB462_1471 Depth=1
	v_and_b32_e32 v7, 0xffff, v6
	v_or_b32_e32 v9, 0x10000, v6
	s_delay_alu instid0(VALU_DEP_2) | instskip(NEXT) | instid1(VALU_DEP_1)
	v_cmp_eq_u32_e64 s0, 0, v7
	v_cndmask_b32_e64 v131, v9, v6, s0
; %bb.1977:                             ;   in Loop: Header=BB462_1471 Depth=1
	s_or_b32 exec_lo, exec_lo, s9
	v_cmp_lt_u64_e64 s0, s[2:3], v[2:3]
	v_mov_b32_e32 v2, 0
	s_delay_alu instid0(VALU_DEP_2)
	s_and_saveexec_b32 s9, s0
	s_cbranch_execz .LBB462_1985
; %bb.1978:                             ;   in Loop: Header=BB462_1471 Depth=1
	v_lshrrev_b32_e32 v6, 24, v3
	v_bfrev_b32_e32 v2, 1
	s_mov_b32 s12, exec_lo
	s_delay_alu instid0(VALU_DEP_2)
	v_cmpx_ne_u32_e32 0x80, v6
	s_cbranch_execz .LBB462_1984
; %bb.1979:                             ;   in Loop: Header=BB462_1471 Depth=1
	v_bfe_u32 v3, v3, 24, 7
	v_mov_b32_e32 v2, 0x7f800001
	s_mov_b32 s13, exec_lo
	s_delay_alu instid0(VALU_DEP_2)
	v_cmpx_ne_u32_e32 0x7f, v3
	s_cbranch_execz .LBB462_1983
; %bb.1980:                             ;   in Loop: Header=BB462_1471 Depth=1
	v_and_b32_e32 v9, 7, v6
	v_lshrrev_b32_e32 v7, 3, v3
	v_cmp_gt_u32_e64 s0, 8, v3
	s_delay_alu instid0(VALU_DEP_3) | instskip(NEXT) | instid1(VALU_DEP_2)
	v_dual_mov_b32 v2, v9 :: v_dual_mov_b32 v3, v10
	s_and_saveexec_b32 s15, s0
; %bb.1981:                             ;   in Loop: Header=BB462_1471 Depth=1
	v_clz_i32_u32_e32 v2, v9
	s_delay_alu instid0(VALU_DEP_1) | instskip(NEXT) | instid1(VALU_DEP_1)
	v_min_u32_e32 v7, 32, v2
	v_subrev_nc_u32_e32 v2, 28, v7
	v_sub_nc_u32_e32 v7, 29, v7
	s_delay_alu instid0(VALU_DEP_2) | instskip(NEXT) | instid1(VALU_DEP_1)
	v_lshlrev_b64 v[2:3], v2, v[9:10]
	v_and_b32_e32 v2, 7, v2
; %bb.1982:                             ;   in Loop: Header=BB462_1471 Depth=1
	s_or_b32 exec_lo, exec_lo, s15
	v_lshlrev_b32_e32 v3, 24, v6
	s_delay_alu instid0(VALU_DEP_2) | instskip(SKIP_1) | instid1(VALU_DEP_3)
	v_lshlrev_b32_e32 v2, 20, v2
	v_lshl_add_u32 v6, v7, 23, 0x3c000000
	v_and_b32_e32 v3, 0x80000000, v3
	s_delay_alu instid0(VALU_DEP_1)
	v_or3_b32 v2, v2, v3, v6
.LBB462_1983:                           ;   in Loop: Header=BB462_1471 Depth=1
	s_or_b32 exec_lo, exec_lo, s13
.LBB462_1984:                           ;   in Loop: Header=BB462_1471 Depth=1
	s_delay_alu instid0(SALU_CYCLE_1)
	s_or_b32 exec_lo, exec_lo, s12
.LBB462_1985:                           ;   in Loop: Header=BB462_1471 Depth=1
	s_delay_alu instid0(SALU_CYCLE_1) | instskip(NEXT) | instid1(VALU_DEP_1)
	s_or_b32 exec_lo, exec_lo, s9
	v_mul_f32_e32 v3, v26, v2
	s_delay_alu instid0(VALU_DEP_1) | instskip(NEXT) | instid1(VALU_DEP_1)
	v_and_b32_e32 v2, 0x7f800000, v3
	v_cmp_ne_u32_e64 s0, 0x7f800000, v2
                                        ; implicit-def: $vgpr2
	s_delay_alu instid0(VALU_DEP_1) | instskip(NEXT) | instid1(SALU_CYCLE_1)
	s_and_saveexec_b32 s9, s0
	s_xor_b32 s0, exec_lo, s9
; %bb.1986:                             ;   in Loop: Header=BB462_1471 Depth=1
	v_bfe_u32 v2, v3, 16, 1
	s_delay_alu instid0(VALU_DEP_1)
	v_add3_u32 v2, v3, v2, 0x7fff
                                        ; implicit-def: $vgpr3
; %bb.1987:                             ;   in Loop: Header=BB462_1471 Depth=1
	s_and_not1_saveexec_b32 s9, s0
; %bb.1988:                             ;   in Loop: Header=BB462_1471 Depth=1
	v_and_b32_e32 v2, 0xffff, v3
	v_or_b32_e32 v6, 0x10000, v3
	s_delay_alu instid0(VALU_DEP_2) | instskip(NEXT) | instid1(VALU_DEP_1)
	v_cmp_eq_u32_e64 s0, 0, v2
	v_cndmask_b32_e64 v2, v6, v3, s0
; %bb.1989:                             ;   in Loop: Header=BB462_1471 Depth=1
	s_or_b32 exec_lo, exec_lo, s9
	v_lshrrev_b32_e32 v6, 16, v130
	v_lshrrev_b32_e32 v7, 16, v35
	;; [unrolled: 1-line block ×8, first 2 shown]
	s_and_saveexec_b32 s9, vcc_lo
	s_cbranch_execz .LBB462_1991
; %bb.1990:                             ;   in Loop: Header=BB462_1471 Depth=1
	v_cmp_lt_i32_e64 s0, v67, v36
	s_delay_alu instid0(VALU_DEP_1) | instskip(SKIP_1) | instid1(VALU_DEP_1)
	v_cndmask_b32_e64 v4, 0, v4, s0
	v_cmp_lt_i32_e64 s0, v81, v36
	v_cndmask_b32_e64 v5, 0, v5, s0
	v_cmp_lt_i32_e64 s0, v80, v36
	s_delay_alu instid0(VALU_DEP_1) | instskip(SKIP_1) | instid1(VALU_DEP_1)
	v_cndmask_b32_e64 v23, 0, v23, s0
	v_cmp_lt_i32_e64 s0, v71, v36
	v_cndmask_b32_e64 v9, 0, v9, s0
	v_cmp_lt_i32_e64 s0, v70, v36
	s_delay_alu instid0(VALU_DEP_1) | instskip(SKIP_1) | instid1(VALU_DEP_1)
	v_cndmask_b32_e64 v7, 0, v7, s0
	v_cmp_lt_i32_e64 s0, v69, v36
	v_cndmask_b32_e64 v6, 0, v6, s0
	v_cmp_lt_i32_e64 s0, v68, v36
	s_delay_alu instid0(VALU_DEP_1) | instskip(SKIP_1) | instid1(VALU_DEP_1)
	v_cndmask_b32_e64 v3, 0, v3, s0
	v_cmp_lt_i32_e64 s0, v15, v36
	v_cndmask_b32_e64 v2, 0, v2, s0
.LBB462_1991:                           ;   in Loop: Header=BB462_1471 Depth=1
	s_or_b32 exec_lo, exec_lo, s9
	v_lshlrev_b32_e32 v4, 16, v4
                                        ; implicit-def: $vgpr130
	s_delay_alu instid0(VALU_DEP_1) | instskip(NEXT) | instid1(VALU_DEP_1)
	v_mul_f32_e32 v4, v82, v4
	v_and_b32_e32 v34, 0x7f800000, v4
	s_delay_alu instid0(VALU_DEP_1) | instskip(NEXT) | instid1(VALU_DEP_1)
	v_cmp_ne_u32_e64 s0, 0x7f800000, v34
	s_and_saveexec_b32 s9, s0
	s_delay_alu instid0(SALU_CYCLE_1)
	s_xor_b32 s0, exec_lo, s9
; %bb.1992:                             ;   in Loop: Header=BB462_1471 Depth=1
	v_bfe_u32 v34, v4, 16, 1
	s_delay_alu instid0(VALU_DEP_1)
	v_add3_u32 v130, v4, v34, 0x7fff
                                        ; implicit-def: $vgpr4
; %bb.1993:                             ;   in Loop: Header=BB462_1471 Depth=1
	s_and_not1_saveexec_b32 s9, s0
; %bb.1994:                             ;   in Loop: Header=BB462_1471 Depth=1
	v_and_b32_e32 v34, 0xffff, v4
	v_or_b32_e32 v35, 0x10000, v4
	s_delay_alu instid0(VALU_DEP_2) | instskip(NEXT) | instid1(VALU_DEP_1)
	v_cmp_eq_u32_e64 s0, 0, v34
	v_cndmask_b32_e64 v130, v35, v4, s0
; %bb.1995:                             ;   in Loop: Header=BB462_1471 Depth=1
	s_or_b32 exec_lo, exec_lo, s9
	v_lshlrev_b32_e32 v4, 16, v5
                                        ; implicit-def: $vgpr131
	s_delay_alu instid0(VALU_DEP_1) | instskip(NEXT) | instid1(VALU_DEP_1)
	v_mul_f32_e32 v4, v83, v4
	v_and_b32_e32 v5, 0x7f800000, v4
	s_delay_alu instid0(VALU_DEP_1) | instskip(NEXT) | instid1(VALU_DEP_1)
	v_cmp_ne_u32_e64 s0, 0x7f800000, v5
	s_and_saveexec_b32 s9, s0
	s_delay_alu instid0(SALU_CYCLE_1)
	s_xor_b32 s0, exec_lo, s9
; %bb.1996:                             ;   in Loop: Header=BB462_1471 Depth=1
	v_bfe_u32 v5, v4, 16, 1
	s_delay_alu instid0(VALU_DEP_1)
	v_add3_u32 v131, v4, v5, 0x7fff
                                        ; implicit-def: $vgpr4
; %bb.1997:                             ;   in Loop: Header=BB462_1471 Depth=1
	s_and_not1_saveexec_b32 s9, s0
; %bb.1998:                             ;   in Loop: Header=BB462_1471 Depth=1
	v_and_b32_e32 v5, 0xffff, v4
	v_or_b32_e32 v34, 0x10000, v4
	s_delay_alu instid0(VALU_DEP_2) | instskip(NEXT) | instid1(VALU_DEP_1)
	v_cmp_eq_u32_e64 s0, 0, v5
	v_cndmask_b32_e64 v131, v34, v4, s0
; %bb.1999:                             ;   in Loop: Header=BB462_1471 Depth=1
	s_or_b32 exec_lo, exec_lo, s9
	v_lshlrev_b32_e32 v4, 16, v23
                                        ; implicit-def: $vgpr132
	s_delay_alu instid0(VALU_DEP_1) | instskip(NEXT) | instid1(VALU_DEP_1)
	v_mul_f32_e32 v4, v84, v4
	v_and_b32_e32 v5, 0x7f800000, v4
	s_delay_alu instid0(VALU_DEP_1) | instskip(NEXT) | instid1(VALU_DEP_1)
	v_cmp_ne_u32_e64 s0, 0x7f800000, v5
	s_and_saveexec_b32 s9, s0
	s_delay_alu instid0(SALU_CYCLE_1)
	s_xor_b32 s0, exec_lo, s9
; %bb.2000:                             ;   in Loop: Header=BB462_1471 Depth=1
	v_bfe_u32 v5, v4, 16, 1
	s_delay_alu instid0(VALU_DEP_1)
	v_add3_u32 v132, v4, v5, 0x7fff
                                        ; implicit-def: $vgpr4
; %bb.2001:                             ;   in Loop: Header=BB462_1471 Depth=1
	s_and_not1_saveexec_b32 s9, s0
; %bb.2002:                             ;   in Loop: Header=BB462_1471 Depth=1
	v_and_b32_e32 v5, 0xffff, v4
	v_or_b32_e32 v23, 0x10000, v4
	s_delay_alu instid0(VALU_DEP_2) | instskip(NEXT) | instid1(VALU_DEP_1)
	v_cmp_eq_u32_e64 s0, 0, v5
	v_cndmask_b32_e64 v132, v23, v4, s0
; %bb.2003:                             ;   in Loop: Header=BB462_1471 Depth=1
	s_or_b32 exec_lo, exec_lo, s9
	v_lshlrev_b32_e32 v4, 16, v9
                                        ; implicit-def: $vgpr133
	s_delay_alu instid0(VALU_DEP_1) | instskip(NEXT) | instid1(VALU_DEP_1)
	v_mul_f32_e32 v4, v85, v4
	v_and_b32_e32 v5, 0x7f800000, v4
	s_delay_alu instid0(VALU_DEP_1) | instskip(NEXT) | instid1(VALU_DEP_1)
	v_cmp_ne_u32_e64 s0, 0x7f800000, v5
	s_and_saveexec_b32 s9, s0
	s_delay_alu instid0(SALU_CYCLE_1)
	s_xor_b32 s0, exec_lo, s9
; %bb.2004:                             ;   in Loop: Header=BB462_1471 Depth=1
	v_bfe_u32 v5, v4, 16, 1
	s_delay_alu instid0(VALU_DEP_1)
	v_add3_u32 v133, v4, v5, 0x7fff
                                        ; implicit-def: $vgpr4
; %bb.2005:                             ;   in Loop: Header=BB462_1471 Depth=1
	s_and_not1_saveexec_b32 s9, s0
; %bb.2006:                             ;   in Loop: Header=BB462_1471 Depth=1
	v_and_b32_e32 v5, 0xffff, v4
	v_or_b32_e32 v9, 0x10000, v4
	s_delay_alu instid0(VALU_DEP_2) | instskip(NEXT) | instid1(VALU_DEP_1)
	v_cmp_eq_u32_e64 s0, 0, v5
	v_cndmask_b32_e64 v133, v9, v4, s0
; %bb.2007:                             ;   in Loop: Header=BB462_1471 Depth=1
	s_or_b32 exec_lo, exec_lo, s9
	v_lshlrev_b32_e32 v4, 16, v7
                                        ; implicit-def: $vgpr134
	s_delay_alu instid0(VALU_DEP_1) | instskip(NEXT) | instid1(VALU_DEP_1)
	v_mul_f32_e32 v4, v86, v4
	v_and_b32_e32 v5, 0x7f800000, v4
	s_delay_alu instid0(VALU_DEP_1) | instskip(NEXT) | instid1(VALU_DEP_1)
	v_cmp_ne_u32_e64 s0, 0x7f800000, v5
	s_and_saveexec_b32 s9, s0
	s_delay_alu instid0(SALU_CYCLE_1)
	s_xor_b32 s0, exec_lo, s9
; %bb.2008:                             ;   in Loop: Header=BB462_1471 Depth=1
	v_bfe_u32 v5, v4, 16, 1
	s_delay_alu instid0(VALU_DEP_1)
	v_add3_u32 v134, v4, v5, 0x7fff
                                        ; implicit-def: $vgpr4
; %bb.2009:                             ;   in Loop: Header=BB462_1471 Depth=1
	s_and_not1_saveexec_b32 s9, s0
; %bb.2010:                             ;   in Loop: Header=BB462_1471 Depth=1
	v_and_b32_e32 v5, 0xffff, v4
	v_or_b32_e32 v7, 0x10000, v4
	s_delay_alu instid0(VALU_DEP_2) | instskip(NEXT) | instid1(VALU_DEP_1)
	v_cmp_eq_u32_e64 s0, 0, v5
	v_cndmask_b32_e64 v134, v7, v4, s0
; %bb.2011:                             ;   in Loop: Header=BB462_1471 Depth=1
	s_or_b32 exec_lo, exec_lo, s9
	v_lshlrev_b32_e32 v4, 16, v6
                                        ; implicit-def: $vgpr135
	s_delay_alu instid0(VALU_DEP_1) | instskip(NEXT) | instid1(VALU_DEP_1)
	v_mul_f32_e32 v4, v87, v4
	v_and_b32_e32 v5, 0x7f800000, v4
	s_delay_alu instid0(VALU_DEP_1) | instskip(NEXT) | instid1(VALU_DEP_1)
	v_cmp_ne_u32_e64 s0, 0x7f800000, v5
	s_and_saveexec_b32 s9, s0
	s_delay_alu instid0(SALU_CYCLE_1)
	s_xor_b32 s0, exec_lo, s9
; %bb.2012:                             ;   in Loop: Header=BB462_1471 Depth=1
	v_bfe_u32 v5, v4, 16, 1
	s_delay_alu instid0(VALU_DEP_1)
	v_add3_u32 v135, v4, v5, 0x7fff
                                        ; implicit-def: $vgpr4
; %bb.2013:                             ;   in Loop: Header=BB462_1471 Depth=1
	s_and_not1_saveexec_b32 s9, s0
; %bb.2014:                             ;   in Loop: Header=BB462_1471 Depth=1
	v_and_b32_e32 v5, 0xffff, v4
	v_or_b32_e32 v6, 0x10000, v4
	s_delay_alu instid0(VALU_DEP_2) | instskip(NEXT) | instid1(VALU_DEP_1)
	v_cmp_eq_u32_e64 s0, 0, v5
	v_cndmask_b32_e64 v135, v6, v4, s0
; %bb.2015:                             ;   in Loop: Header=BB462_1471 Depth=1
	s_or_b32 exec_lo, exec_lo, s9
	v_lshlrev_b32_e32 v3, 16, v3
                                        ; implicit-def: $vgpr144
	s_delay_alu instid0(VALU_DEP_1) | instskip(NEXT) | instid1(VALU_DEP_1)
	v_mul_f32_e32 v3, v96, v3
	v_and_b32_e32 v4, 0x7f800000, v3
	s_delay_alu instid0(VALU_DEP_1) | instskip(NEXT) | instid1(VALU_DEP_1)
	v_cmp_ne_u32_e64 s0, 0x7f800000, v4
	s_and_saveexec_b32 s9, s0
	s_delay_alu instid0(SALU_CYCLE_1)
	s_xor_b32 s0, exec_lo, s9
; %bb.2016:                             ;   in Loop: Header=BB462_1471 Depth=1
	v_bfe_u32 v4, v3, 16, 1
	s_delay_alu instid0(VALU_DEP_1)
	v_add3_u32 v144, v3, v4, 0x7fff
                                        ; implicit-def: $vgpr3
; %bb.2017:                             ;   in Loop: Header=BB462_1471 Depth=1
	s_and_not1_saveexec_b32 s9, s0
; %bb.2018:                             ;   in Loop: Header=BB462_1471 Depth=1
	v_and_b32_e32 v4, 0xffff, v3
	v_or_b32_e32 v5, 0x10000, v3
	s_delay_alu instid0(VALU_DEP_2) | instskip(NEXT) | instid1(VALU_DEP_1)
	v_cmp_eq_u32_e64 s0, 0, v4
	v_cndmask_b32_e64 v144, v5, v3, s0
; %bb.2019:                             ;   in Loop: Header=BB462_1471 Depth=1
	s_or_b32 exec_lo, exec_lo, s9
	v_lshlrev_b32_e32 v2, 16, v2
                                        ; implicit-def: $vgpr145
	s_delay_alu instid0(VALU_DEP_1) | instskip(NEXT) | instid1(VALU_DEP_1)
	v_mul_f32_e32 v2, v97, v2
	v_and_b32_e32 v3, 0x7f800000, v2
	s_delay_alu instid0(VALU_DEP_1) | instskip(NEXT) | instid1(VALU_DEP_1)
	v_cmp_ne_u32_e64 s0, 0x7f800000, v3
	s_and_saveexec_b32 s9, s0
	s_delay_alu instid0(SALU_CYCLE_1)
	s_xor_b32 s0, exec_lo, s9
; %bb.2020:                             ;   in Loop: Header=BB462_1471 Depth=1
	v_bfe_u32 v3, v2, 16, 1
	s_delay_alu instid0(VALU_DEP_1)
	v_add3_u32 v145, v2, v3, 0x7fff
                                        ; implicit-def: $vgpr2
; %bb.2021:                             ;   in Loop: Header=BB462_1471 Depth=1
	s_and_not1_saveexec_b32 s9, s0
; %bb.2022:                             ;   in Loop: Header=BB462_1471 Depth=1
	v_and_b32_e32 v3, 0xffff, v2
	v_or_b32_e32 v4, 0x10000, v2
	s_delay_alu instid0(VALU_DEP_2) | instskip(NEXT) | instid1(VALU_DEP_1)
	v_cmp_eq_u32_e64 s0, 0, v3
	v_cndmask_b32_e64 v145, v4, v2, s0
; %bb.2023:                             ;   in Loop: Header=BB462_1471 Depth=1
	s_or_b32 exec_lo, exec_lo, s9
	flat_load_b64 v[2:3], v[0:1] offset:1024
	s_mov_b32 s9, exec_lo
	s_waitcnt vmcnt(0) lgkmcnt(0)
	v_dual_mov_b32 v4, 0 :: v_dual_and_b32 v5, 0xff, v2
	s_delay_alu instid0(VALU_DEP_1)
	v_cmpx_ne_u16_e32 0, v5
	s_cbranch_execz .LBB462_2031
; %bb.2024:                             ;   in Loop: Header=BB462_1471 Depth=1
	v_bfrev_b32_e32 v4, 1
	s_mov_b32 s12, exec_lo
	v_cmpx_ne_u16_e32 0x80, v5
	s_cbranch_execz .LBB462_2030
; %bb.2025:                             ;   in Loop: Header=BB462_1471 Depth=1
	v_and_b32_e32 v5, 0x7f, v2
	v_mov_b32_e32 v4, 0x7f800001
	s_mov_b32 s13, exec_lo
	s_delay_alu instid0(VALU_DEP_2)
	v_cmpx_ne_u32_e32 0x7f, v5
	s_cbranch_execz .LBB462_2029
; %bb.2026:                             ;   in Loop: Header=BB462_1471 Depth=1
	v_lshrrev_b32_e32 v4, 3, v5
	v_dual_mov_b32 v7, v3 :: v_dual_mov_b32 v6, v2
	s_mov_b32 s15, exec_lo
	v_cmpx_gt_u32_e32 8, v5
; %bb.2027:                             ;   in Loop: Header=BB462_1471 Depth=1
	v_and_b32_e32 v4, 7, v2
	s_delay_alu instid0(VALU_DEP_1) | instskip(NEXT) | instid1(VALU_DEP_1)
	v_clz_i32_u32_e32 v4, v4
	v_min_u32_e32 v4, 32, v4
	s_delay_alu instid0(VALU_DEP_1) | instskip(SKIP_1) | instid1(VALU_DEP_2)
	v_subrev_nc_u32_e32 v5, 28, v4
	v_sub_nc_u32_e32 v4, 29, v4
	v_lshlrev_b64 v[6:7], v5, v[2:3]
; %bb.2028:                             ;   in Loop: Header=BB462_1471 Depth=1
	s_or_b32 exec_lo, exec_lo, s15
	s_delay_alu instid0(VALU_DEP_1) | instskip(SKIP_2) | instid1(VALU_DEP_3)
	v_lshlrev_b32_e32 v5, 20, v6
	v_lshlrev_b32_e32 v6, 24, v2
	v_lshl_add_u32 v4, v4, 23, 0x3c000000
	v_and_b32_e32 v5, 0x700000, v5
	s_delay_alu instid0(VALU_DEP_3) | instskip(NEXT) | instid1(VALU_DEP_1)
	v_and_b32_e32 v6, 0x80000000, v6
	v_or3_b32 v4, v5, v6, v4
.LBB462_2029:                           ;   in Loop: Header=BB462_1471 Depth=1
	s_or_b32 exec_lo, exec_lo, s13
.LBB462_2030:                           ;   in Loop: Header=BB462_1471 Depth=1
	s_delay_alu instid0(SALU_CYCLE_1)
	s_or_b32 exec_lo, exec_lo, s12
.LBB462_2031:                           ;   in Loop: Header=BB462_1471 Depth=1
	s_delay_alu instid0(SALU_CYCLE_1) | instskip(NEXT) | instid1(VALU_DEP_1)
	s_or_b32 exec_lo, exec_lo, s9
	v_mul_f32_e32 v5, v26, v4
	s_delay_alu instid0(VALU_DEP_1) | instskip(NEXT) | instid1(VALU_DEP_1)
	v_and_b32_e32 v4, 0x7f800000, v5
	v_cmp_ne_u32_e64 s0, 0x7f800000, v4
                                        ; implicit-def: $vgpr4
	s_delay_alu instid0(VALU_DEP_1) | instskip(NEXT) | instid1(SALU_CYCLE_1)
	s_and_saveexec_b32 s9, s0
	s_xor_b32 s0, exec_lo, s9
; %bb.2032:                             ;   in Loop: Header=BB462_1471 Depth=1
	v_bfe_u32 v4, v5, 16, 1
	s_delay_alu instid0(VALU_DEP_1)
	v_add3_u32 v4, v5, v4, 0x7fff
                                        ; implicit-def: $vgpr5
; %bb.2033:                             ;   in Loop: Header=BB462_1471 Depth=1
	s_and_not1_saveexec_b32 s9, s0
; %bb.2034:                             ;   in Loop: Header=BB462_1471 Depth=1
	v_and_b32_e32 v4, 0xffff, v5
	v_or_b32_e32 v6, 0x10000, v5
	s_delay_alu instid0(VALU_DEP_2) | instskip(NEXT) | instid1(VALU_DEP_1)
	v_cmp_eq_u32_e64 s0, 0, v4
	v_cndmask_b32_e64 v4, v6, v5, s0
; %bb.2035:                             ;   in Loop: Header=BB462_1471 Depth=1
	s_or_b32 exec_lo, exec_lo, s9
	v_lshrrev_b16 v6, 8, v2
	v_mov_b32_e32 v5, 0
	s_mov_b32 s9, exec_lo
	s_delay_alu instid0(VALU_DEP_2)
	v_cmpx_ne_u16_e32 0, v6
	s_cbranch_execz .LBB462_2043
; %bb.2036:                             ;   in Loop: Header=BB462_1471 Depth=1
	v_bfrev_b32_e32 v5, 1
	s_mov_b32 s12, exec_lo
	v_cmpx_ne_u16_e32 0x80, v6
	s_cbranch_execz .LBB462_2042
; %bb.2037:                             ;   in Loop: Header=BB462_1471 Depth=1
	v_and_b32_e32 v7, 0xffff, v6
	v_mov_b32_e32 v5, 0x7f800001
	s_mov_b32 s13, exec_lo
	s_delay_alu instid0(VALU_DEP_2) | instskip(NEXT) | instid1(VALU_DEP_1)
	v_and_b32_e32 v6, 0x7f, v7
	v_cmpx_ne_u32_e32 0x7f, v6
	s_cbranch_execz .LBB462_2041
; %bb.2038:                             ;   in Loop: Header=BB462_1471 Depth=1
	v_and_b32_e32 v9, 7, v7
	v_lshrrev_b32_e32 v5, 3, v6
	v_cmp_gt_u32_e64 s0, 8, v6
	s_delay_alu instid0(VALU_DEP_3) | instskip(NEXT) | instid1(VALU_DEP_2)
	v_dual_mov_b32 v6, v9 :: v_dual_mov_b32 v7, v10
	s_and_saveexec_b32 s15, s0
; %bb.2039:                             ;   in Loop: Header=BB462_1471 Depth=1
	v_clz_i32_u32_e32 v5, v9
	s_delay_alu instid0(VALU_DEP_1) | instskip(NEXT) | instid1(VALU_DEP_1)
	v_min_u32_e32 v5, 32, v5
	v_subrev_nc_u32_e32 v6, 28, v5
	v_sub_nc_u32_e32 v5, 29, v5
	s_delay_alu instid0(VALU_DEP_2) | instskip(NEXT) | instid1(VALU_DEP_1)
	v_lshlrev_b64 v[6:7], v6, v[9:10]
	v_and_b32_e32 v6, 7, v6
; %bb.2040:                             ;   in Loop: Header=BB462_1471 Depth=1
	s_or_b32 exec_lo, exec_lo, s15
	v_lshlrev_b32_e32 v7, 16, v2
	s_delay_alu instid0(VALU_DEP_2) | instskip(SKIP_1) | instid1(VALU_DEP_3)
	v_lshlrev_b32_e32 v6, 20, v6
	v_lshl_add_u32 v5, v5, 23, 0x3c000000
	v_and_b32_e32 v7, 0x80000000, v7
	s_delay_alu instid0(VALU_DEP_1)
	v_or3_b32 v5, v6, v7, v5
.LBB462_2041:                           ;   in Loop: Header=BB462_1471 Depth=1
	s_or_b32 exec_lo, exec_lo, s13
.LBB462_2042:                           ;   in Loop: Header=BB462_1471 Depth=1
	s_delay_alu instid0(SALU_CYCLE_1)
	s_or_b32 exec_lo, exec_lo, s12
.LBB462_2043:                           ;   in Loop: Header=BB462_1471 Depth=1
	s_delay_alu instid0(SALU_CYCLE_1) | instskip(NEXT) | instid1(VALU_DEP_1)
	s_or_b32 exec_lo, exec_lo, s9
	v_mul_f32_e32 v6, v26, v5
	s_delay_alu instid0(VALU_DEP_1) | instskip(NEXT) | instid1(VALU_DEP_1)
	v_and_b32_e32 v5, 0x7f800000, v6
	v_cmp_ne_u32_e64 s0, 0x7f800000, v5
                                        ; implicit-def: $vgpr5
	s_delay_alu instid0(VALU_DEP_1) | instskip(NEXT) | instid1(SALU_CYCLE_1)
	s_and_saveexec_b32 s9, s0
	s_xor_b32 s0, exec_lo, s9
; %bb.2044:                             ;   in Loop: Header=BB462_1471 Depth=1
	v_bfe_u32 v5, v6, 16, 1
	s_delay_alu instid0(VALU_DEP_1)
	v_add3_u32 v5, v6, v5, 0x7fff
                                        ; implicit-def: $vgpr6
; %bb.2045:                             ;   in Loop: Header=BB462_1471 Depth=1
	s_and_not1_saveexec_b32 s9, s0
; %bb.2046:                             ;   in Loop: Header=BB462_1471 Depth=1
	v_and_b32_e32 v5, 0xffff, v6
	v_or_b32_e32 v7, 0x10000, v6
	s_delay_alu instid0(VALU_DEP_2) | instskip(NEXT) | instid1(VALU_DEP_1)
	v_cmp_eq_u32_e64 s0, 0, v5
	v_cndmask_b32_e64 v5, v7, v6, s0
; %bb.2047:                             ;   in Loop: Header=BB462_1471 Depth=1
	s_or_b32 exec_lo, exec_lo, s9
	v_lshrrev_b32_e32 v23, 16, v2
	s_mov_b32 s9, exec_lo
	s_delay_alu instid0(VALU_DEP_1) | instskip(NEXT) | instid1(VALU_DEP_1)
	v_dual_mov_b32 v6, 0 :: v_dual_and_b32 v7, 0xff, v23
	v_cmpx_ne_u16_e32 0, v7
	s_cbranch_execz .LBB462_2055
; %bb.2048:                             ;   in Loop: Header=BB462_1471 Depth=1
	v_bfrev_b32_e32 v6, 1
	s_mov_b32 s12, exec_lo
	v_cmpx_ne_u16_e32 0x80, v7
	s_cbranch_execz .LBB462_2054
; %bb.2049:                             ;   in Loop: Header=BB462_1471 Depth=1
	v_bfe_u32 v7, v2, 16, 7
	v_mov_b32_e32 v6, 0x7f800001
	s_mov_b32 s13, exec_lo
	s_delay_alu instid0(VALU_DEP_2)
	v_cmpx_ne_u32_e32 0x7f, v7
	s_cbranch_execz .LBB462_2053
; %bb.2050:                             ;   in Loop: Header=BB462_1471 Depth=1
	v_and_b32_e32 v9, 7, v23
	v_lshrrev_b32_e32 v34, 3, v7
	v_cmp_gt_u32_e64 s0, 8, v7
	s_delay_alu instid0(VALU_DEP_3) | instskip(NEXT) | instid1(VALU_DEP_2)
	v_dual_mov_b32 v6, v9 :: v_dual_mov_b32 v7, v10
	s_and_saveexec_b32 s15, s0
; %bb.2051:                             ;   in Loop: Header=BB462_1471 Depth=1
	v_clz_i32_u32_e32 v6, v9
	s_delay_alu instid0(VALU_DEP_1) | instskip(NEXT) | instid1(VALU_DEP_1)
	v_min_u32_e32 v34, 32, v6
	v_subrev_nc_u32_e32 v6, 28, v34
	v_sub_nc_u32_e32 v34, 29, v34
	s_delay_alu instid0(VALU_DEP_2) | instskip(NEXT) | instid1(VALU_DEP_1)
	v_lshlrev_b64 v[6:7], v6, v[9:10]
	v_and_b32_e32 v6, 7, v6
; %bb.2052:                             ;   in Loop: Header=BB462_1471 Depth=1
	s_or_b32 exec_lo, exec_lo, s15
	v_lshlrev_b32_e32 v7, 24, v23
	s_delay_alu instid0(VALU_DEP_2) | instskip(SKIP_1) | instid1(VALU_DEP_3)
	v_lshlrev_b32_e32 v6, 20, v6
	v_lshl_add_u32 v9, v34, 23, 0x3c000000
	v_and_b32_e32 v7, 0x80000000, v7
	s_delay_alu instid0(VALU_DEP_1)
	v_or3_b32 v6, v6, v7, v9
.LBB462_2053:                           ;   in Loop: Header=BB462_1471 Depth=1
	s_or_b32 exec_lo, exec_lo, s13
.LBB462_2054:                           ;   in Loop: Header=BB462_1471 Depth=1
	s_delay_alu instid0(SALU_CYCLE_1)
	s_or_b32 exec_lo, exec_lo, s12
.LBB462_2055:                           ;   in Loop: Header=BB462_1471 Depth=1
	s_delay_alu instid0(SALU_CYCLE_1) | instskip(NEXT) | instid1(VALU_DEP_1)
	s_or_b32 exec_lo, exec_lo, s9
	v_mul_f32_e32 v6, v26, v6
                                        ; implicit-def: $vgpr23
	s_delay_alu instid0(VALU_DEP_1) | instskip(NEXT) | instid1(VALU_DEP_1)
	v_and_b32_e32 v7, 0x7f800000, v6
	v_cmp_ne_u32_e64 s0, 0x7f800000, v7
	s_delay_alu instid0(VALU_DEP_1) | instskip(NEXT) | instid1(SALU_CYCLE_1)
	s_and_saveexec_b32 s9, s0
	s_xor_b32 s0, exec_lo, s9
; %bb.2056:                             ;   in Loop: Header=BB462_1471 Depth=1
	v_bfe_u32 v7, v6, 16, 1
	s_delay_alu instid0(VALU_DEP_1)
	v_add3_u32 v23, v6, v7, 0x7fff
                                        ; implicit-def: $vgpr6
; %bb.2057:                             ;   in Loop: Header=BB462_1471 Depth=1
	s_and_not1_saveexec_b32 s9, s0
; %bb.2058:                             ;   in Loop: Header=BB462_1471 Depth=1
	v_and_b32_e32 v7, 0xffff, v6
	v_or_b32_e32 v9, 0x10000, v6
	s_delay_alu instid0(VALU_DEP_2) | instskip(NEXT) | instid1(VALU_DEP_1)
	v_cmp_eq_u32_e64 s0, 0, v7
	v_cndmask_b32_e64 v23, v9, v6, s0
; %bb.2059:                             ;   in Loop: Header=BB462_1471 Depth=1
	s_or_b32 exec_lo, exec_lo, s9
	v_mov_b32_e32 v6, 0
	s_mov_b32 s9, exec_lo
	v_cmpx_lt_u32_e32 0xffffff, v2
	s_cbranch_execz .LBB462_2067
; %bb.2060:                             ;   in Loop: Header=BB462_1471 Depth=1
	v_lshrrev_b32_e32 v34, 24, v2
	v_bfrev_b32_e32 v6, 1
	s_mov_b32 s12, exec_lo
	s_delay_alu instid0(VALU_DEP_2)
	v_cmpx_ne_u32_e32 0x80, v34
	s_cbranch_execz .LBB462_2066
; %bb.2061:                             ;   in Loop: Header=BB462_1471 Depth=1
	v_bfe_u32 v7, v2, 24, 7
	v_mov_b32_e32 v6, 0x7f800001
	s_mov_b32 s13, exec_lo
	s_delay_alu instid0(VALU_DEP_2)
	v_cmpx_ne_u32_e32 0x7f, v7
	s_cbranch_execz .LBB462_2065
; %bb.2062:                             ;   in Loop: Header=BB462_1471 Depth=1
	v_and_b32_e32 v9, 7, v34
	v_lshrrev_b32_e32 v35, 3, v7
	v_cmp_gt_u32_e64 s0, 8, v7
	s_delay_alu instid0(VALU_DEP_3) | instskip(NEXT) | instid1(VALU_DEP_2)
	v_dual_mov_b32 v6, v9 :: v_dual_mov_b32 v7, v10
	s_and_saveexec_b32 s15, s0
; %bb.2063:                             ;   in Loop: Header=BB462_1471 Depth=1
	v_clz_i32_u32_e32 v6, v9
	s_delay_alu instid0(VALU_DEP_1) | instskip(NEXT) | instid1(VALU_DEP_1)
	v_min_u32_e32 v35, 32, v6
	v_subrev_nc_u32_e32 v6, 28, v35
	v_sub_nc_u32_e32 v35, 29, v35
	s_delay_alu instid0(VALU_DEP_2) | instskip(NEXT) | instid1(VALU_DEP_1)
	v_lshlrev_b64 v[6:7], v6, v[9:10]
	v_and_b32_e32 v6, 7, v6
; %bb.2064:                             ;   in Loop: Header=BB462_1471 Depth=1
	s_or_b32 exec_lo, exec_lo, s15
	v_lshlrev_b32_e32 v7, 24, v34
	s_delay_alu instid0(VALU_DEP_2) | instskip(SKIP_1) | instid1(VALU_DEP_3)
	v_lshlrev_b32_e32 v6, 20, v6
	v_lshl_add_u32 v9, v35, 23, 0x3c000000
	v_and_b32_e32 v7, 0x80000000, v7
	s_delay_alu instid0(VALU_DEP_1)
	v_or3_b32 v6, v6, v7, v9
.LBB462_2065:                           ;   in Loop: Header=BB462_1471 Depth=1
	s_or_b32 exec_lo, exec_lo, s13
.LBB462_2066:                           ;   in Loop: Header=BB462_1471 Depth=1
	s_delay_alu instid0(SALU_CYCLE_1)
	s_or_b32 exec_lo, exec_lo, s12
.LBB462_2067:                           ;   in Loop: Header=BB462_1471 Depth=1
	s_delay_alu instid0(SALU_CYCLE_1) | instskip(NEXT) | instid1(VALU_DEP_1)
	s_or_b32 exec_lo, exec_lo, s9
	v_mul_f32_e32 v6, v26, v6
                                        ; implicit-def: $vgpr34
	s_delay_alu instid0(VALU_DEP_1) | instskip(NEXT) | instid1(VALU_DEP_1)
	v_and_b32_e32 v7, 0x7f800000, v6
	v_cmp_ne_u32_e64 s0, 0x7f800000, v7
	s_delay_alu instid0(VALU_DEP_1) | instskip(NEXT) | instid1(SALU_CYCLE_1)
	s_and_saveexec_b32 s9, s0
	s_xor_b32 s0, exec_lo, s9
; %bb.2068:                             ;   in Loop: Header=BB462_1471 Depth=1
	v_bfe_u32 v7, v6, 16, 1
	s_delay_alu instid0(VALU_DEP_1)
	v_add3_u32 v34, v6, v7, 0x7fff
                                        ; implicit-def: $vgpr6
; %bb.2069:                             ;   in Loop: Header=BB462_1471 Depth=1
	s_and_not1_saveexec_b32 s9, s0
; %bb.2070:                             ;   in Loop: Header=BB462_1471 Depth=1
	v_and_b32_e32 v7, 0xffff, v6
	v_or_b32_e32 v9, 0x10000, v6
	s_delay_alu instid0(VALU_DEP_2) | instskip(NEXT) | instid1(VALU_DEP_1)
	v_cmp_eq_u32_e64 s0, 0, v7
	v_cndmask_b32_e64 v34, v9, v6, s0
; %bb.2071:                             ;   in Loop: Header=BB462_1471 Depth=1
	s_or_b32 exec_lo, exec_lo, s9
	v_dual_mov_b32 v6, 0 :: v_dual_and_b32 v7, 0xff, v3
	v_mov_b32_e32 v9, v3
	s_mov_b32 s9, exec_lo
	s_delay_alu instid0(VALU_DEP_2)
	v_cmpx_ne_u16_e32 0, v7
	s_cbranch_execz .LBB462_2079
; %bb.2072:                             ;   in Loop: Header=BB462_1471 Depth=1
	v_bfrev_b32_e32 v6, 1
	s_mov_b32 s12, exec_lo
	v_cmpx_ne_u16_e32 0x80, v7
	s_cbranch_execz .LBB462_2078
; %bb.2073:                             ;   in Loop: Header=BB462_1471 Depth=1
	v_and_b32_e32 v7, 0x7f, v3
	v_mov_b32_e32 v6, 0x7f800001
	s_mov_b32 s13, exec_lo
	s_delay_alu instid0(VALU_DEP_2)
	v_cmpx_ne_u32_e32 0x7f, v7
	s_cbranch_execz .LBB462_2077
; %bb.2074:                             ;   in Loop: Header=BB462_1471 Depth=1
	v_lshrrev_b32_e32 v35, 3, v7
	v_cmp_gt_u32_e64 s0, 8, v7
	v_dual_mov_b32 v6, v9 :: v_dual_mov_b32 v7, v10
	s_delay_alu instid0(VALU_DEP_2)
	s_and_saveexec_b32 s15, s0
; %bb.2075:                             ;   in Loop: Header=BB462_1471 Depth=1
	v_and_b32_e32 v6, 7, v3
	s_delay_alu instid0(VALU_DEP_1) | instskip(NEXT) | instid1(VALU_DEP_1)
	v_clz_i32_u32_e32 v6, v6
	v_min_u32_e32 v35, 32, v6
	s_delay_alu instid0(VALU_DEP_1) | instskip(SKIP_1) | instid1(VALU_DEP_2)
	v_subrev_nc_u32_e32 v6, 28, v35
	v_sub_nc_u32_e32 v35, 29, v35
	v_lshlrev_b64 v[6:7], v6, v[9:10]
; %bb.2076:                             ;   in Loop: Header=BB462_1471 Depth=1
	s_or_b32 exec_lo, exec_lo, s15
	s_delay_alu instid0(VALU_DEP_1) | instskip(SKIP_2) | instid1(VALU_DEP_3)
	v_lshlrev_b32_e32 v6, 20, v6
	v_lshlrev_b32_e32 v7, 24, v9
	v_lshl_add_u32 v35, v35, 23, 0x3c000000
	v_and_b32_e32 v6, 0x700000, v6
	s_delay_alu instid0(VALU_DEP_3) | instskip(NEXT) | instid1(VALU_DEP_1)
	v_and_b32_e32 v7, 0x80000000, v7
	v_or3_b32 v6, v6, v7, v35
.LBB462_2077:                           ;   in Loop: Header=BB462_1471 Depth=1
	s_or_b32 exec_lo, exec_lo, s13
.LBB462_2078:                           ;   in Loop: Header=BB462_1471 Depth=1
	s_delay_alu instid0(SALU_CYCLE_1)
	s_or_b32 exec_lo, exec_lo, s12
.LBB462_2079:                           ;   in Loop: Header=BB462_1471 Depth=1
	s_delay_alu instid0(SALU_CYCLE_1) | instskip(NEXT) | instid1(VALU_DEP_1)
	s_or_b32 exec_lo, exec_lo, s9
	v_mul_f32_e32 v6, v26, v6
                                        ; implicit-def: $vgpr35
	s_delay_alu instid0(VALU_DEP_1) | instskip(NEXT) | instid1(VALU_DEP_1)
	v_and_b32_e32 v7, 0x7f800000, v6
	v_cmp_ne_u32_e64 s0, 0x7f800000, v7
	s_delay_alu instid0(VALU_DEP_1) | instskip(NEXT) | instid1(SALU_CYCLE_1)
	s_and_saveexec_b32 s9, s0
	s_xor_b32 s0, exec_lo, s9
; %bb.2080:                             ;   in Loop: Header=BB462_1471 Depth=1
	v_bfe_u32 v7, v6, 16, 1
	s_delay_alu instid0(VALU_DEP_1)
	v_add3_u32 v35, v6, v7, 0x7fff
                                        ; implicit-def: $vgpr6
; %bb.2081:                             ;   in Loop: Header=BB462_1471 Depth=1
	s_and_not1_saveexec_b32 s9, s0
; %bb.2082:                             ;   in Loop: Header=BB462_1471 Depth=1
	v_and_b32_e32 v7, 0xffff, v6
	v_or_b32_e32 v35, 0x10000, v6
	s_delay_alu instid0(VALU_DEP_2) | instskip(NEXT) | instid1(VALU_DEP_1)
	v_cmp_eq_u32_e64 s0, 0, v7
	v_cndmask_b32_e64 v35, v35, v6, s0
; %bb.2083:                             ;   in Loop: Header=BB462_1471 Depth=1
	s_or_b32 exec_lo, exec_lo, s9
	v_lshrrev_b16 v7, 8, v9
	v_mov_b32_e32 v6, 0
	s_mov_b32 s9, exec_lo
	s_delay_alu instid0(VALU_DEP_2)
	v_cmpx_ne_u16_e32 0, v7
	s_cbranch_execz .LBB462_2091
; %bb.2084:                             ;   in Loop: Header=BB462_1471 Depth=1
	v_bfrev_b32_e32 v6, 1
	s_mov_b32 s12, exec_lo
	v_cmpx_ne_u16_e32 0x80, v7
	s_cbranch_execz .LBB462_2090
; %bb.2085:                             ;   in Loop: Header=BB462_1471 Depth=1
	v_and_b32_e32 v7, 0xffff, v7
	v_mov_b32_e32 v6, 0x7f800001
	s_mov_b32 s13, exec_lo
	s_delay_alu instid0(VALU_DEP_2) | instskip(NEXT) | instid1(VALU_DEP_1)
	v_and_b32_e32 v147, 0x7f, v7
	v_cmpx_ne_u32_e32 0x7f, v147
	s_cbranch_execz .LBB462_2089
; %bb.2086:                             ;   in Loop: Header=BB462_1471 Depth=1
	v_dual_mov_b32 v7, v10 :: v_dual_and_b32 v6, 7, v7
	v_lshrrev_b32_e32 v146, 3, v147
	s_mov_b32 s15, exec_lo
	v_cmpx_gt_u32_e32 8, v147
; %bb.2087:                             ;   in Loop: Header=BB462_1471 Depth=1
	s_delay_alu instid0(VALU_DEP_3) | instskip(NEXT) | instid1(VALU_DEP_1)
	v_clz_i32_u32_e32 v146, v6
	v_min_u32_e32 v146, 32, v146
	s_delay_alu instid0(VALU_DEP_1) | instskip(SKIP_1) | instid1(VALU_DEP_2)
	v_subrev_nc_u32_e32 v147, 28, v146
	v_sub_nc_u32_e32 v146, 29, v146
	v_lshlrev_b64 v[6:7], v147, v[6:7]
	s_delay_alu instid0(VALU_DEP_1)
	v_and_b32_e32 v6, 7, v6
; %bb.2088:                             ;   in Loop: Header=BB462_1471 Depth=1
	s_or_b32 exec_lo, exec_lo, s15
	v_lshlrev_b32_e32 v7, 16, v9
	s_delay_alu instid0(VALU_DEP_2) | instskip(SKIP_1) | instid1(VALU_DEP_3)
	v_lshlrev_b32_e32 v6, 20, v6
	v_lshl_add_u32 v9, v146, 23, 0x3c000000
	v_and_b32_e32 v7, 0x80000000, v7
	s_delay_alu instid0(VALU_DEP_1)
	v_or3_b32 v6, v6, v7, v9
.LBB462_2089:                           ;   in Loop: Header=BB462_1471 Depth=1
	s_or_b32 exec_lo, exec_lo, s13
.LBB462_2090:                           ;   in Loop: Header=BB462_1471 Depth=1
	s_delay_alu instid0(SALU_CYCLE_1)
	s_or_b32 exec_lo, exec_lo, s12
.LBB462_2091:                           ;   in Loop: Header=BB462_1471 Depth=1
	s_delay_alu instid0(SALU_CYCLE_1) | instskip(NEXT) | instid1(VALU_DEP_1)
	s_or_b32 exec_lo, exec_lo, s9
	v_mul_f32_e32 v6, v26, v6
                                        ; implicit-def: $vgpr146
	s_delay_alu instid0(VALU_DEP_1) | instskip(NEXT) | instid1(VALU_DEP_1)
	v_and_b32_e32 v7, 0x7f800000, v6
	v_cmp_ne_u32_e64 s0, 0x7f800000, v7
	s_delay_alu instid0(VALU_DEP_1) | instskip(NEXT) | instid1(SALU_CYCLE_1)
	s_and_saveexec_b32 s9, s0
	s_xor_b32 s0, exec_lo, s9
; %bb.2092:                             ;   in Loop: Header=BB462_1471 Depth=1
	v_bfe_u32 v7, v6, 16, 1
	s_delay_alu instid0(VALU_DEP_1)
	v_add3_u32 v146, v6, v7, 0x7fff
                                        ; implicit-def: $vgpr6
; %bb.2093:                             ;   in Loop: Header=BB462_1471 Depth=1
	s_and_not1_saveexec_b32 s9, s0
; %bb.2094:                             ;   in Loop: Header=BB462_1471 Depth=1
	v_and_b32_e32 v7, 0xffff, v6
	v_or_b32_e32 v9, 0x10000, v6
	s_delay_alu instid0(VALU_DEP_2) | instskip(NEXT) | instid1(VALU_DEP_1)
	v_cmp_eq_u32_e64 s0, 0, v7
	v_cndmask_b32_e64 v146, v9, v6, s0
; %bb.2095:                             ;   in Loop: Header=BB462_1471 Depth=1
	s_or_b32 exec_lo, exec_lo, s9
	v_lshrrev_b32_e32 v147, 16, v3
	s_mov_b32 s9, exec_lo
	s_delay_alu instid0(VALU_DEP_1) | instskip(NEXT) | instid1(VALU_DEP_1)
	v_dual_mov_b32 v6, 0 :: v_dual_and_b32 v7, 0xff, v147
	v_cmpx_ne_u16_e32 0, v7
	s_cbranch_execz .LBB462_2103
; %bb.2096:                             ;   in Loop: Header=BB462_1471 Depth=1
	v_bfrev_b32_e32 v6, 1
	s_mov_b32 s12, exec_lo
	v_cmpx_ne_u16_e32 0x80, v7
	s_cbranch_execz .LBB462_2102
; %bb.2097:                             ;   in Loop: Header=BB462_1471 Depth=1
	v_bfe_u32 v7, v3, 16, 7
	v_mov_b32_e32 v6, 0x7f800001
	s_mov_b32 s13, exec_lo
	s_delay_alu instid0(VALU_DEP_2)
	v_cmpx_ne_u32_e32 0x7f, v7
	s_cbranch_execz .LBB462_2101
; %bb.2098:                             ;   in Loop: Header=BB462_1471 Depth=1
	v_and_b32_e32 v9, 7, v147
	v_lshrrev_b32_e32 v148, 3, v7
	v_cmp_gt_u32_e64 s0, 8, v7
	s_delay_alu instid0(VALU_DEP_3) | instskip(NEXT) | instid1(VALU_DEP_2)
	v_dual_mov_b32 v6, v9 :: v_dual_mov_b32 v7, v10
	s_and_saveexec_b32 s15, s0
; %bb.2099:                             ;   in Loop: Header=BB462_1471 Depth=1
	v_clz_i32_u32_e32 v6, v9
	s_delay_alu instid0(VALU_DEP_1) | instskip(NEXT) | instid1(VALU_DEP_1)
	v_min_u32_e32 v148, 32, v6
	v_subrev_nc_u32_e32 v6, 28, v148
	v_sub_nc_u32_e32 v148, 29, v148
	s_delay_alu instid0(VALU_DEP_2) | instskip(NEXT) | instid1(VALU_DEP_1)
	v_lshlrev_b64 v[6:7], v6, v[9:10]
	v_and_b32_e32 v6, 7, v6
; %bb.2100:                             ;   in Loop: Header=BB462_1471 Depth=1
	s_or_b32 exec_lo, exec_lo, s15
	v_lshlrev_b32_e32 v7, 24, v147
	s_delay_alu instid0(VALU_DEP_2) | instskip(SKIP_1) | instid1(VALU_DEP_3)
	v_lshlrev_b32_e32 v6, 20, v6
	v_lshl_add_u32 v9, v148, 23, 0x3c000000
	v_and_b32_e32 v7, 0x80000000, v7
	s_delay_alu instid0(VALU_DEP_1)
	v_or3_b32 v6, v6, v7, v9
.LBB462_2101:                           ;   in Loop: Header=BB462_1471 Depth=1
	s_or_b32 exec_lo, exec_lo, s13
.LBB462_2102:                           ;   in Loop: Header=BB462_1471 Depth=1
	s_delay_alu instid0(SALU_CYCLE_1)
	s_or_b32 exec_lo, exec_lo, s12
.LBB462_2103:                           ;   in Loop: Header=BB462_1471 Depth=1
	s_delay_alu instid0(SALU_CYCLE_1) | instskip(NEXT) | instid1(VALU_DEP_1)
	s_or_b32 exec_lo, exec_lo, s9
	v_mul_f32_e32 v6, v26, v6
                                        ; implicit-def: $vgpr147
	s_delay_alu instid0(VALU_DEP_1) | instskip(NEXT) | instid1(VALU_DEP_1)
	v_and_b32_e32 v7, 0x7f800000, v6
	v_cmp_ne_u32_e64 s0, 0x7f800000, v7
	s_delay_alu instid0(VALU_DEP_1) | instskip(NEXT) | instid1(SALU_CYCLE_1)
	s_and_saveexec_b32 s9, s0
	s_xor_b32 s0, exec_lo, s9
; %bb.2104:                             ;   in Loop: Header=BB462_1471 Depth=1
	v_bfe_u32 v7, v6, 16, 1
	s_delay_alu instid0(VALU_DEP_1)
	v_add3_u32 v147, v6, v7, 0x7fff
                                        ; implicit-def: $vgpr6
; %bb.2105:                             ;   in Loop: Header=BB462_1471 Depth=1
	s_and_not1_saveexec_b32 s9, s0
; %bb.2106:                             ;   in Loop: Header=BB462_1471 Depth=1
	v_and_b32_e32 v7, 0xffff, v6
	v_or_b32_e32 v9, 0x10000, v6
	s_delay_alu instid0(VALU_DEP_2) | instskip(NEXT) | instid1(VALU_DEP_1)
	v_cmp_eq_u32_e64 s0, 0, v7
	v_cndmask_b32_e64 v147, v9, v6, s0
; %bb.2107:                             ;   in Loop: Header=BB462_1471 Depth=1
	s_or_b32 exec_lo, exec_lo, s9
	v_cmp_lt_u64_e64 s0, s[2:3], v[2:3]
	v_mov_b32_e32 v2, 0
	s_delay_alu instid0(VALU_DEP_2)
	s_and_saveexec_b32 s9, s0
	s_cbranch_execz .LBB462_2115
; %bb.2108:                             ;   in Loop: Header=BB462_1471 Depth=1
	v_lshrrev_b32_e32 v6, 24, v3
	v_bfrev_b32_e32 v2, 1
	s_mov_b32 s12, exec_lo
	s_delay_alu instid0(VALU_DEP_2)
	v_cmpx_ne_u32_e32 0x80, v6
	s_cbranch_execz .LBB462_2114
; %bb.2109:                             ;   in Loop: Header=BB462_1471 Depth=1
	v_bfe_u32 v3, v3, 24, 7
	v_mov_b32_e32 v2, 0x7f800001
	s_mov_b32 s13, exec_lo
	s_delay_alu instid0(VALU_DEP_2)
	v_cmpx_ne_u32_e32 0x7f, v3
	s_cbranch_execz .LBB462_2113
; %bb.2110:                             ;   in Loop: Header=BB462_1471 Depth=1
	v_and_b32_e32 v9, 7, v6
	v_lshrrev_b32_e32 v7, 3, v3
	v_cmp_gt_u32_e64 s0, 8, v3
	s_delay_alu instid0(VALU_DEP_3) | instskip(NEXT) | instid1(VALU_DEP_2)
	v_dual_mov_b32 v2, v9 :: v_dual_mov_b32 v3, v10
	s_and_saveexec_b32 s15, s0
; %bb.2111:                             ;   in Loop: Header=BB462_1471 Depth=1
	v_clz_i32_u32_e32 v2, v9
	s_delay_alu instid0(VALU_DEP_1) | instskip(NEXT) | instid1(VALU_DEP_1)
	v_min_u32_e32 v7, 32, v2
	v_subrev_nc_u32_e32 v2, 28, v7
	v_sub_nc_u32_e32 v7, 29, v7
	s_delay_alu instid0(VALU_DEP_2) | instskip(NEXT) | instid1(VALU_DEP_1)
	v_lshlrev_b64 v[2:3], v2, v[9:10]
	v_and_b32_e32 v2, 7, v2
; %bb.2112:                             ;   in Loop: Header=BB462_1471 Depth=1
	s_or_b32 exec_lo, exec_lo, s15
	v_lshlrev_b32_e32 v3, 24, v6
	s_delay_alu instid0(VALU_DEP_2) | instskip(SKIP_1) | instid1(VALU_DEP_3)
	v_lshlrev_b32_e32 v2, 20, v2
	v_lshl_add_u32 v6, v7, 23, 0x3c000000
	v_and_b32_e32 v3, 0x80000000, v3
	s_delay_alu instid0(VALU_DEP_1)
	v_or3_b32 v2, v2, v3, v6
.LBB462_2113:                           ;   in Loop: Header=BB462_1471 Depth=1
	s_or_b32 exec_lo, exec_lo, s13
.LBB462_2114:                           ;   in Loop: Header=BB462_1471 Depth=1
	s_delay_alu instid0(SALU_CYCLE_1)
	s_or_b32 exec_lo, exec_lo, s12
.LBB462_2115:                           ;   in Loop: Header=BB462_1471 Depth=1
	s_delay_alu instid0(SALU_CYCLE_1) | instskip(NEXT) | instid1(VALU_DEP_1)
	s_or_b32 exec_lo, exec_lo, s9
	v_mul_f32_e32 v3, v26, v2
	s_delay_alu instid0(VALU_DEP_1) | instskip(NEXT) | instid1(VALU_DEP_1)
	v_and_b32_e32 v2, 0x7f800000, v3
	v_cmp_ne_u32_e64 s0, 0x7f800000, v2
                                        ; implicit-def: $vgpr2
	s_delay_alu instid0(VALU_DEP_1) | instskip(NEXT) | instid1(SALU_CYCLE_1)
	s_and_saveexec_b32 s9, s0
	s_xor_b32 s0, exec_lo, s9
; %bb.2116:                             ;   in Loop: Header=BB462_1471 Depth=1
	v_bfe_u32 v2, v3, 16, 1
	s_delay_alu instid0(VALU_DEP_1)
	v_add3_u32 v2, v3, v2, 0x7fff
                                        ; implicit-def: $vgpr3
; %bb.2117:                             ;   in Loop: Header=BB462_1471 Depth=1
	s_and_not1_saveexec_b32 s9, s0
; %bb.2118:                             ;   in Loop: Header=BB462_1471 Depth=1
	v_and_b32_e32 v2, 0xffff, v3
	v_or_b32_e32 v6, 0x10000, v3
	s_delay_alu instid0(VALU_DEP_2) | instskip(NEXT) | instid1(VALU_DEP_1)
	v_cmp_eq_u32_e64 s0, 0, v2
	v_cndmask_b32_e64 v2, v6, v3, s0
; %bb.2119:                             ;   in Loop: Header=BB462_1471 Depth=1
	s_or_b32 exec_lo, exec_lo, s9
	v_lshrrev_b32_e32 v6, 16, v146
	v_lshrrev_b32_e32 v7, 16, v35
	;; [unrolled: 1-line block ×8, first 2 shown]
	s_and_saveexec_b32 s9, vcc_lo
	s_cbranch_execz .LBB462_2121
; %bb.2120:                             ;   in Loop: Header=BB462_1471 Depth=1
	v_cmp_lt_i32_e64 s0, v67, v36
	s_delay_alu instid0(VALU_DEP_1) | instskip(SKIP_1) | instid1(VALU_DEP_1)
	v_cndmask_b32_e64 v4, 0, v4, s0
	v_cmp_lt_i32_e64 s0, v81, v36
	v_cndmask_b32_e64 v5, 0, v5, s0
	v_cmp_lt_i32_e64 s0, v80, v36
	s_delay_alu instid0(VALU_DEP_1) | instskip(SKIP_1) | instid1(VALU_DEP_1)
	v_cndmask_b32_e64 v23, 0, v23, s0
	v_cmp_lt_i32_e64 s0, v71, v36
	v_cndmask_b32_e64 v9, 0, v9, s0
	;; [unrolled: 5-line block ×4, first 2 shown]
.LBB462_2121:                           ;   in Loop: Header=BB462_1471 Depth=1
	s_or_b32 exec_lo, exec_lo, s9
	v_lshlrev_b32_e32 v4, 16, v4
                                        ; implicit-def: $vgpr146
	s_delay_alu instid0(VALU_DEP_1) | instskip(NEXT) | instid1(VALU_DEP_1)
	v_mul_f32_e32 v4, v82, v4
	v_and_b32_e32 v34, 0x7f800000, v4
	s_delay_alu instid0(VALU_DEP_1) | instskip(NEXT) | instid1(VALU_DEP_1)
	v_cmp_ne_u32_e64 s0, 0x7f800000, v34
	s_and_saveexec_b32 s9, s0
	s_delay_alu instid0(SALU_CYCLE_1)
	s_xor_b32 s0, exec_lo, s9
; %bb.2122:                             ;   in Loop: Header=BB462_1471 Depth=1
	v_bfe_u32 v34, v4, 16, 1
	s_delay_alu instid0(VALU_DEP_1)
	v_add3_u32 v146, v4, v34, 0x7fff
                                        ; implicit-def: $vgpr4
; %bb.2123:                             ;   in Loop: Header=BB462_1471 Depth=1
	s_and_not1_saveexec_b32 s9, s0
; %bb.2124:                             ;   in Loop: Header=BB462_1471 Depth=1
	v_and_b32_e32 v34, 0xffff, v4
	v_or_b32_e32 v35, 0x10000, v4
	s_delay_alu instid0(VALU_DEP_2) | instskip(NEXT) | instid1(VALU_DEP_1)
	v_cmp_eq_u32_e64 s0, 0, v34
	v_cndmask_b32_e64 v146, v35, v4, s0
; %bb.2125:                             ;   in Loop: Header=BB462_1471 Depth=1
	s_or_b32 exec_lo, exec_lo, s9
	v_lshlrev_b32_e32 v4, 16, v5
                                        ; implicit-def: $vgpr147
	s_delay_alu instid0(VALU_DEP_1) | instskip(NEXT) | instid1(VALU_DEP_1)
	v_mul_f32_e32 v4, v83, v4
	v_and_b32_e32 v5, 0x7f800000, v4
	s_delay_alu instid0(VALU_DEP_1) | instskip(NEXT) | instid1(VALU_DEP_1)
	v_cmp_ne_u32_e64 s0, 0x7f800000, v5
	s_and_saveexec_b32 s9, s0
	s_delay_alu instid0(SALU_CYCLE_1)
	s_xor_b32 s0, exec_lo, s9
; %bb.2126:                             ;   in Loop: Header=BB462_1471 Depth=1
	v_bfe_u32 v5, v4, 16, 1
	s_delay_alu instid0(VALU_DEP_1)
	v_add3_u32 v147, v4, v5, 0x7fff
                                        ; implicit-def: $vgpr4
; %bb.2127:                             ;   in Loop: Header=BB462_1471 Depth=1
	s_and_not1_saveexec_b32 s9, s0
; %bb.2128:                             ;   in Loop: Header=BB462_1471 Depth=1
	v_and_b32_e32 v5, 0xffff, v4
	v_or_b32_e32 v34, 0x10000, v4
	s_delay_alu instid0(VALU_DEP_2) | instskip(NEXT) | instid1(VALU_DEP_1)
	v_cmp_eq_u32_e64 s0, 0, v5
	v_cndmask_b32_e64 v147, v34, v4, s0
; %bb.2129:                             ;   in Loop: Header=BB462_1471 Depth=1
	s_or_b32 exec_lo, exec_lo, s9
	v_lshlrev_b32_e32 v4, 16, v23
                                        ; implicit-def: $vgpr148
	s_delay_alu instid0(VALU_DEP_1) | instskip(NEXT) | instid1(VALU_DEP_1)
	v_mul_f32_e32 v4, v84, v4
	v_and_b32_e32 v5, 0x7f800000, v4
	s_delay_alu instid0(VALU_DEP_1) | instskip(NEXT) | instid1(VALU_DEP_1)
	v_cmp_ne_u32_e64 s0, 0x7f800000, v5
	s_and_saveexec_b32 s9, s0
	s_delay_alu instid0(SALU_CYCLE_1)
	s_xor_b32 s0, exec_lo, s9
; %bb.2130:                             ;   in Loop: Header=BB462_1471 Depth=1
	v_bfe_u32 v5, v4, 16, 1
	s_delay_alu instid0(VALU_DEP_1)
	v_add3_u32 v148, v4, v5, 0x7fff
                                        ; implicit-def: $vgpr4
; %bb.2131:                             ;   in Loop: Header=BB462_1471 Depth=1
	s_and_not1_saveexec_b32 s9, s0
; %bb.2132:                             ;   in Loop: Header=BB462_1471 Depth=1
	v_and_b32_e32 v5, 0xffff, v4
	v_or_b32_e32 v23, 0x10000, v4
	s_delay_alu instid0(VALU_DEP_2) | instskip(NEXT) | instid1(VALU_DEP_1)
	v_cmp_eq_u32_e64 s0, 0, v5
	v_cndmask_b32_e64 v148, v23, v4, s0
; %bb.2133:                             ;   in Loop: Header=BB462_1471 Depth=1
	s_or_b32 exec_lo, exec_lo, s9
	v_lshlrev_b32_e32 v4, 16, v9
                                        ; implicit-def: $vgpr149
	s_delay_alu instid0(VALU_DEP_1) | instskip(NEXT) | instid1(VALU_DEP_1)
	v_mul_f32_e32 v4, v85, v4
	v_and_b32_e32 v5, 0x7f800000, v4
	s_delay_alu instid0(VALU_DEP_1) | instskip(NEXT) | instid1(VALU_DEP_1)
	v_cmp_ne_u32_e64 s0, 0x7f800000, v5
	s_and_saveexec_b32 s9, s0
	s_delay_alu instid0(SALU_CYCLE_1)
	s_xor_b32 s0, exec_lo, s9
; %bb.2134:                             ;   in Loop: Header=BB462_1471 Depth=1
	v_bfe_u32 v5, v4, 16, 1
	s_delay_alu instid0(VALU_DEP_1)
	v_add3_u32 v149, v4, v5, 0x7fff
                                        ; implicit-def: $vgpr4
; %bb.2135:                             ;   in Loop: Header=BB462_1471 Depth=1
	s_and_not1_saveexec_b32 s9, s0
; %bb.2136:                             ;   in Loop: Header=BB462_1471 Depth=1
	v_and_b32_e32 v5, 0xffff, v4
	v_or_b32_e32 v9, 0x10000, v4
	s_delay_alu instid0(VALU_DEP_2) | instskip(NEXT) | instid1(VALU_DEP_1)
	v_cmp_eq_u32_e64 s0, 0, v5
	v_cndmask_b32_e64 v149, v9, v4, s0
; %bb.2137:                             ;   in Loop: Header=BB462_1471 Depth=1
	s_or_b32 exec_lo, exec_lo, s9
	v_lshlrev_b32_e32 v4, 16, v7
                                        ; implicit-def: $vgpr150
	s_delay_alu instid0(VALU_DEP_1) | instskip(NEXT) | instid1(VALU_DEP_1)
	v_mul_f32_e32 v4, v86, v4
	v_and_b32_e32 v5, 0x7f800000, v4
	s_delay_alu instid0(VALU_DEP_1) | instskip(NEXT) | instid1(VALU_DEP_1)
	v_cmp_ne_u32_e64 s0, 0x7f800000, v5
	s_and_saveexec_b32 s9, s0
	s_delay_alu instid0(SALU_CYCLE_1)
	s_xor_b32 s0, exec_lo, s9
; %bb.2138:                             ;   in Loop: Header=BB462_1471 Depth=1
	v_bfe_u32 v5, v4, 16, 1
	s_delay_alu instid0(VALU_DEP_1)
	v_add3_u32 v150, v4, v5, 0x7fff
                                        ; implicit-def: $vgpr4
; %bb.2139:                             ;   in Loop: Header=BB462_1471 Depth=1
	s_and_not1_saveexec_b32 s9, s0
; %bb.2140:                             ;   in Loop: Header=BB462_1471 Depth=1
	v_and_b32_e32 v5, 0xffff, v4
	v_or_b32_e32 v7, 0x10000, v4
	s_delay_alu instid0(VALU_DEP_2) | instskip(NEXT) | instid1(VALU_DEP_1)
	v_cmp_eq_u32_e64 s0, 0, v5
	v_cndmask_b32_e64 v150, v7, v4, s0
; %bb.2141:                             ;   in Loop: Header=BB462_1471 Depth=1
	s_or_b32 exec_lo, exec_lo, s9
	v_lshlrev_b32_e32 v4, 16, v6
                                        ; implicit-def: $vgpr151
	s_delay_alu instid0(VALU_DEP_1) | instskip(NEXT) | instid1(VALU_DEP_1)
	v_mul_f32_e32 v4, v87, v4
	v_and_b32_e32 v5, 0x7f800000, v4
	s_delay_alu instid0(VALU_DEP_1) | instskip(NEXT) | instid1(VALU_DEP_1)
	v_cmp_ne_u32_e64 s0, 0x7f800000, v5
	s_and_saveexec_b32 s9, s0
	s_delay_alu instid0(SALU_CYCLE_1)
	s_xor_b32 s0, exec_lo, s9
; %bb.2142:                             ;   in Loop: Header=BB462_1471 Depth=1
	v_bfe_u32 v5, v4, 16, 1
	s_delay_alu instid0(VALU_DEP_1)
	v_add3_u32 v151, v4, v5, 0x7fff
                                        ; implicit-def: $vgpr4
; %bb.2143:                             ;   in Loop: Header=BB462_1471 Depth=1
	s_and_not1_saveexec_b32 s9, s0
; %bb.2144:                             ;   in Loop: Header=BB462_1471 Depth=1
	v_and_b32_e32 v5, 0xffff, v4
	v_or_b32_e32 v6, 0x10000, v4
	s_delay_alu instid0(VALU_DEP_2) | instskip(NEXT) | instid1(VALU_DEP_1)
	v_cmp_eq_u32_e64 s0, 0, v5
	v_cndmask_b32_e64 v151, v6, v4, s0
; %bb.2145:                             ;   in Loop: Header=BB462_1471 Depth=1
	s_or_b32 exec_lo, exec_lo, s9
	v_lshlrev_b32_e32 v3, 16, v3
                                        ; implicit-def: $vgpr160
	s_delay_alu instid0(VALU_DEP_1) | instskip(NEXT) | instid1(VALU_DEP_1)
	v_mul_f32_e32 v3, v96, v3
	v_and_b32_e32 v4, 0x7f800000, v3
	s_delay_alu instid0(VALU_DEP_1) | instskip(NEXT) | instid1(VALU_DEP_1)
	v_cmp_ne_u32_e64 s0, 0x7f800000, v4
	s_and_saveexec_b32 s9, s0
	s_delay_alu instid0(SALU_CYCLE_1)
	s_xor_b32 s0, exec_lo, s9
; %bb.2146:                             ;   in Loop: Header=BB462_1471 Depth=1
	v_bfe_u32 v4, v3, 16, 1
	s_delay_alu instid0(VALU_DEP_1)
	v_add3_u32 v160, v3, v4, 0x7fff
                                        ; implicit-def: $vgpr3
; %bb.2147:                             ;   in Loop: Header=BB462_1471 Depth=1
	s_and_not1_saveexec_b32 s9, s0
; %bb.2148:                             ;   in Loop: Header=BB462_1471 Depth=1
	v_and_b32_e32 v4, 0xffff, v3
	v_or_b32_e32 v5, 0x10000, v3
	s_delay_alu instid0(VALU_DEP_2) | instskip(NEXT) | instid1(VALU_DEP_1)
	v_cmp_eq_u32_e64 s0, 0, v4
	v_cndmask_b32_e64 v160, v5, v3, s0
; %bb.2149:                             ;   in Loop: Header=BB462_1471 Depth=1
	s_or_b32 exec_lo, exec_lo, s9
	v_lshlrev_b32_e32 v2, 16, v2
                                        ; implicit-def: $vgpr161
	s_delay_alu instid0(VALU_DEP_1) | instskip(NEXT) | instid1(VALU_DEP_1)
	v_mul_f32_e32 v2, v97, v2
	v_and_b32_e32 v3, 0x7f800000, v2
	s_delay_alu instid0(VALU_DEP_1) | instskip(NEXT) | instid1(VALU_DEP_1)
	v_cmp_ne_u32_e64 s0, 0x7f800000, v3
	s_and_saveexec_b32 s9, s0
	s_delay_alu instid0(SALU_CYCLE_1)
	s_xor_b32 s0, exec_lo, s9
; %bb.2150:                             ;   in Loop: Header=BB462_1471 Depth=1
	v_bfe_u32 v3, v2, 16, 1
	s_delay_alu instid0(VALU_DEP_1)
	v_add3_u32 v161, v2, v3, 0x7fff
                                        ; implicit-def: $vgpr2
; %bb.2151:                             ;   in Loop: Header=BB462_1471 Depth=1
	s_and_not1_saveexec_b32 s9, s0
; %bb.2152:                             ;   in Loop: Header=BB462_1471 Depth=1
	v_and_b32_e32 v3, 0xffff, v2
	v_or_b32_e32 v4, 0x10000, v2
	s_delay_alu instid0(VALU_DEP_2) | instskip(NEXT) | instid1(VALU_DEP_1)
	v_cmp_eq_u32_e64 s0, 0, v3
	v_cndmask_b32_e64 v161, v4, v2, s0
; %bb.2153:                             ;   in Loop: Header=BB462_1471 Depth=1
	s_or_b32 exec_lo, exec_lo, s9
	flat_load_b64 v[2:3], v[0:1] offset:1280
	s_mov_b32 s9, exec_lo
	s_waitcnt vmcnt(0) lgkmcnt(0)
	v_dual_mov_b32 v4, 0 :: v_dual_and_b32 v5, 0xff, v2
	s_delay_alu instid0(VALU_DEP_1)
	v_cmpx_ne_u16_e32 0, v5
	s_cbranch_execz .LBB462_2161
; %bb.2154:                             ;   in Loop: Header=BB462_1471 Depth=1
	v_bfrev_b32_e32 v4, 1
	s_mov_b32 s12, exec_lo
	v_cmpx_ne_u16_e32 0x80, v5
	s_cbranch_execz .LBB462_2160
; %bb.2155:                             ;   in Loop: Header=BB462_1471 Depth=1
	v_and_b32_e32 v5, 0x7f, v2
	v_mov_b32_e32 v4, 0x7f800001
	s_mov_b32 s13, exec_lo
	s_delay_alu instid0(VALU_DEP_2)
	v_cmpx_ne_u32_e32 0x7f, v5
	s_cbranch_execz .LBB462_2159
; %bb.2156:                             ;   in Loop: Header=BB462_1471 Depth=1
	v_lshrrev_b32_e32 v4, 3, v5
	v_dual_mov_b32 v7, v3 :: v_dual_mov_b32 v6, v2
	s_mov_b32 s15, exec_lo
	v_cmpx_gt_u32_e32 8, v5
; %bb.2157:                             ;   in Loop: Header=BB462_1471 Depth=1
	v_and_b32_e32 v4, 7, v2
	s_delay_alu instid0(VALU_DEP_1) | instskip(NEXT) | instid1(VALU_DEP_1)
	v_clz_i32_u32_e32 v4, v4
	v_min_u32_e32 v4, 32, v4
	s_delay_alu instid0(VALU_DEP_1) | instskip(SKIP_1) | instid1(VALU_DEP_2)
	v_subrev_nc_u32_e32 v5, 28, v4
	v_sub_nc_u32_e32 v4, 29, v4
	v_lshlrev_b64 v[6:7], v5, v[2:3]
; %bb.2158:                             ;   in Loop: Header=BB462_1471 Depth=1
	s_or_b32 exec_lo, exec_lo, s15
	s_delay_alu instid0(VALU_DEP_1) | instskip(SKIP_2) | instid1(VALU_DEP_3)
	v_lshlrev_b32_e32 v5, 20, v6
	v_lshlrev_b32_e32 v6, 24, v2
	v_lshl_add_u32 v4, v4, 23, 0x3c000000
	v_and_b32_e32 v5, 0x700000, v5
	s_delay_alu instid0(VALU_DEP_3) | instskip(NEXT) | instid1(VALU_DEP_1)
	v_and_b32_e32 v6, 0x80000000, v6
	v_or3_b32 v4, v5, v6, v4
.LBB462_2159:                           ;   in Loop: Header=BB462_1471 Depth=1
	s_or_b32 exec_lo, exec_lo, s13
.LBB462_2160:                           ;   in Loop: Header=BB462_1471 Depth=1
	s_delay_alu instid0(SALU_CYCLE_1)
	s_or_b32 exec_lo, exec_lo, s12
.LBB462_2161:                           ;   in Loop: Header=BB462_1471 Depth=1
	s_delay_alu instid0(SALU_CYCLE_1) | instskip(NEXT) | instid1(VALU_DEP_1)
	s_or_b32 exec_lo, exec_lo, s9
	v_mul_f32_e32 v5, v26, v4
	s_delay_alu instid0(VALU_DEP_1) | instskip(NEXT) | instid1(VALU_DEP_1)
	v_and_b32_e32 v4, 0x7f800000, v5
	v_cmp_ne_u32_e64 s0, 0x7f800000, v4
                                        ; implicit-def: $vgpr4
	s_delay_alu instid0(VALU_DEP_1) | instskip(NEXT) | instid1(SALU_CYCLE_1)
	s_and_saveexec_b32 s9, s0
	s_xor_b32 s0, exec_lo, s9
; %bb.2162:                             ;   in Loop: Header=BB462_1471 Depth=1
	v_bfe_u32 v4, v5, 16, 1
	s_delay_alu instid0(VALU_DEP_1)
	v_add3_u32 v4, v5, v4, 0x7fff
                                        ; implicit-def: $vgpr5
; %bb.2163:                             ;   in Loop: Header=BB462_1471 Depth=1
	s_and_not1_saveexec_b32 s9, s0
; %bb.2164:                             ;   in Loop: Header=BB462_1471 Depth=1
	v_and_b32_e32 v4, 0xffff, v5
	v_or_b32_e32 v6, 0x10000, v5
	s_delay_alu instid0(VALU_DEP_2) | instskip(NEXT) | instid1(VALU_DEP_1)
	v_cmp_eq_u32_e64 s0, 0, v4
	v_cndmask_b32_e64 v4, v6, v5, s0
; %bb.2165:                             ;   in Loop: Header=BB462_1471 Depth=1
	s_or_b32 exec_lo, exec_lo, s9
	v_lshrrev_b16 v6, 8, v2
	v_mov_b32_e32 v5, 0
	s_mov_b32 s9, exec_lo
	s_delay_alu instid0(VALU_DEP_2)
	v_cmpx_ne_u16_e32 0, v6
	s_cbranch_execz .LBB462_2173
; %bb.2166:                             ;   in Loop: Header=BB462_1471 Depth=1
	v_bfrev_b32_e32 v5, 1
	s_mov_b32 s12, exec_lo
	v_cmpx_ne_u16_e32 0x80, v6
	s_cbranch_execz .LBB462_2172
; %bb.2167:                             ;   in Loop: Header=BB462_1471 Depth=1
	v_and_b32_e32 v7, 0xffff, v6
	v_mov_b32_e32 v5, 0x7f800001
	s_mov_b32 s13, exec_lo
	s_delay_alu instid0(VALU_DEP_2) | instskip(NEXT) | instid1(VALU_DEP_1)
	v_and_b32_e32 v6, 0x7f, v7
	v_cmpx_ne_u32_e32 0x7f, v6
	s_cbranch_execz .LBB462_2171
; %bb.2168:                             ;   in Loop: Header=BB462_1471 Depth=1
	v_and_b32_e32 v9, 7, v7
	v_lshrrev_b32_e32 v5, 3, v6
	v_cmp_gt_u32_e64 s0, 8, v6
	s_delay_alu instid0(VALU_DEP_3) | instskip(NEXT) | instid1(VALU_DEP_2)
	v_dual_mov_b32 v6, v9 :: v_dual_mov_b32 v7, v10
	s_and_saveexec_b32 s15, s0
; %bb.2169:                             ;   in Loop: Header=BB462_1471 Depth=1
	v_clz_i32_u32_e32 v5, v9
	s_delay_alu instid0(VALU_DEP_1) | instskip(NEXT) | instid1(VALU_DEP_1)
	v_min_u32_e32 v5, 32, v5
	v_subrev_nc_u32_e32 v6, 28, v5
	v_sub_nc_u32_e32 v5, 29, v5
	s_delay_alu instid0(VALU_DEP_2) | instskip(NEXT) | instid1(VALU_DEP_1)
	v_lshlrev_b64 v[6:7], v6, v[9:10]
	v_and_b32_e32 v6, 7, v6
; %bb.2170:                             ;   in Loop: Header=BB462_1471 Depth=1
	s_or_b32 exec_lo, exec_lo, s15
	v_lshlrev_b32_e32 v7, 16, v2
	s_delay_alu instid0(VALU_DEP_2) | instskip(SKIP_1) | instid1(VALU_DEP_3)
	v_lshlrev_b32_e32 v6, 20, v6
	v_lshl_add_u32 v5, v5, 23, 0x3c000000
	v_and_b32_e32 v7, 0x80000000, v7
	s_delay_alu instid0(VALU_DEP_1)
	v_or3_b32 v5, v6, v7, v5
.LBB462_2171:                           ;   in Loop: Header=BB462_1471 Depth=1
	s_or_b32 exec_lo, exec_lo, s13
.LBB462_2172:                           ;   in Loop: Header=BB462_1471 Depth=1
	s_delay_alu instid0(SALU_CYCLE_1)
	s_or_b32 exec_lo, exec_lo, s12
.LBB462_2173:                           ;   in Loop: Header=BB462_1471 Depth=1
	s_delay_alu instid0(SALU_CYCLE_1) | instskip(NEXT) | instid1(VALU_DEP_1)
	s_or_b32 exec_lo, exec_lo, s9
	v_mul_f32_e32 v6, v26, v5
	s_delay_alu instid0(VALU_DEP_1) | instskip(NEXT) | instid1(VALU_DEP_1)
	v_and_b32_e32 v5, 0x7f800000, v6
	v_cmp_ne_u32_e64 s0, 0x7f800000, v5
                                        ; implicit-def: $vgpr5
	s_delay_alu instid0(VALU_DEP_1) | instskip(NEXT) | instid1(SALU_CYCLE_1)
	s_and_saveexec_b32 s9, s0
	s_xor_b32 s0, exec_lo, s9
; %bb.2174:                             ;   in Loop: Header=BB462_1471 Depth=1
	v_bfe_u32 v5, v6, 16, 1
	s_delay_alu instid0(VALU_DEP_1)
	v_add3_u32 v5, v6, v5, 0x7fff
                                        ; implicit-def: $vgpr6
; %bb.2175:                             ;   in Loop: Header=BB462_1471 Depth=1
	s_and_not1_saveexec_b32 s9, s0
; %bb.2176:                             ;   in Loop: Header=BB462_1471 Depth=1
	v_and_b32_e32 v5, 0xffff, v6
	v_or_b32_e32 v7, 0x10000, v6
	s_delay_alu instid0(VALU_DEP_2) | instskip(NEXT) | instid1(VALU_DEP_1)
	v_cmp_eq_u32_e64 s0, 0, v5
	v_cndmask_b32_e64 v5, v7, v6, s0
; %bb.2177:                             ;   in Loop: Header=BB462_1471 Depth=1
	s_or_b32 exec_lo, exec_lo, s9
	v_lshrrev_b32_e32 v23, 16, v2
	s_mov_b32 s9, exec_lo
	s_delay_alu instid0(VALU_DEP_1) | instskip(NEXT) | instid1(VALU_DEP_1)
	v_dual_mov_b32 v6, 0 :: v_dual_and_b32 v7, 0xff, v23
	v_cmpx_ne_u16_e32 0, v7
	s_cbranch_execz .LBB462_2185
; %bb.2178:                             ;   in Loop: Header=BB462_1471 Depth=1
	v_bfrev_b32_e32 v6, 1
	s_mov_b32 s12, exec_lo
	v_cmpx_ne_u16_e32 0x80, v7
	s_cbranch_execz .LBB462_2184
; %bb.2179:                             ;   in Loop: Header=BB462_1471 Depth=1
	v_bfe_u32 v7, v2, 16, 7
	v_mov_b32_e32 v6, 0x7f800001
	s_mov_b32 s13, exec_lo
	s_delay_alu instid0(VALU_DEP_2)
	v_cmpx_ne_u32_e32 0x7f, v7
	s_cbranch_execz .LBB462_2183
; %bb.2180:                             ;   in Loop: Header=BB462_1471 Depth=1
	v_and_b32_e32 v9, 7, v23
	v_lshrrev_b32_e32 v34, 3, v7
	v_cmp_gt_u32_e64 s0, 8, v7
	s_delay_alu instid0(VALU_DEP_3) | instskip(NEXT) | instid1(VALU_DEP_2)
	v_dual_mov_b32 v6, v9 :: v_dual_mov_b32 v7, v10
	s_and_saveexec_b32 s15, s0
; %bb.2181:                             ;   in Loop: Header=BB462_1471 Depth=1
	v_clz_i32_u32_e32 v6, v9
	s_delay_alu instid0(VALU_DEP_1) | instskip(NEXT) | instid1(VALU_DEP_1)
	v_min_u32_e32 v34, 32, v6
	v_subrev_nc_u32_e32 v6, 28, v34
	v_sub_nc_u32_e32 v34, 29, v34
	s_delay_alu instid0(VALU_DEP_2) | instskip(NEXT) | instid1(VALU_DEP_1)
	v_lshlrev_b64 v[6:7], v6, v[9:10]
	v_and_b32_e32 v6, 7, v6
; %bb.2182:                             ;   in Loop: Header=BB462_1471 Depth=1
	s_or_b32 exec_lo, exec_lo, s15
	v_lshlrev_b32_e32 v7, 24, v23
	s_delay_alu instid0(VALU_DEP_2) | instskip(SKIP_1) | instid1(VALU_DEP_3)
	v_lshlrev_b32_e32 v6, 20, v6
	v_lshl_add_u32 v9, v34, 23, 0x3c000000
	v_and_b32_e32 v7, 0x80000000, v7
	s_delay_alu instid0(VALU_DEP_1)
	v_or3_b32 v6, v6, v7, v9
.LBB462_2183:                           ;   in Loop: Header=BB462_1471 Depth=1
	s_or_b32 exec_lo, exec_lo, s13
.LBB462_2184:                           ;   in Loop: Header=BB462_1471 Depth=1
	s_delay_alu instid0(SALU_CYCLE_1)
	s_or_b32 exec_lo, exec_lo, s12
.LBB462_2185:                           ;   in Loop: Header=BB462_1471 Depth=1
	s_delay_alu instid0(SALU_CYCLE_1) | instskip(NEXT) | instid1(VALU_DEP_1)
	s_or_b32 exec_lo, exec_lo, s9
	v_mul_f32_e32 v6, v26, v6
                                        ; implicit-def: $vgpr23
	s_delay_alu instid0(VALU_DEP_1) | instskip(NEXT) | instid1(VALU_DEP_1)
	v_and_b32_e32 v7, 0x7f800000, v6
	v_cmp_ne_u32_e64 s0, 0x7f800000, v7
	s_delay_alu instid0(VALU_DEP_1) | instskip(NEXT) | instid1(SALU_CYCLE_1)
	s_and_saveexec_b32 s9, s0
	s_xor_b32 s0, exec_lo, s9
; %bb.2186:                             ;   in Loop: Header=BB462_1471 Depth=1
	v_bfe_u32 v7, v6, 16, 1
	s_delay_alu instid0(VALU_DEP_1)
	v_add3_u32 v23, v6, v7, 0x7fff
                                        ; implicit-def: $vgpr6
; %bb.2187:                             ;   in Loop: Header=BB462_1471 Depth=1
	s_and_not1_saveexec_b32 s9, s0
; %bb.2188:                             ;   in Loop: Header=BB462_1471 Depth=1
	v_and_b32_e32 v7, 0xffff, v6
	v_or_b32_e32 v9, 0x10000, v6
	s_delay_alu instid0(VALU_DEP_2) | instskip(NEXT) | instid1(VALU_DEP_1)
	v_cmp_eq_u32_e64 s0, 0, v7
	v_cndmask_b32_e64 v23, v9, v6, s0
; %bb.2189:                             ;   in Loop: Header=BB462_1471 Depth=1
	s_or_b32 exec_lo, exec_lo, s9
	v_mov_b32_e32 v6, 0
	s_mov_b32 s9, exec_lo
	v_cmpx_lt_u32_e32 0xffffff, v2
	s_cbranch_execz .LBB462_2197
; %bb.2190:                             ;   in Loop: Header=BB462_1471 Depth=1
	v_lshrrev_b32_e32 v34, 24, v2
	v_bfrev_b32_e32 v6, 1
	s_mov_b32 s12, exec_lo
	s_delay_alu instid0(VALU_DEP_2)
	v_cmpx_ne_u32_e32 0x80, v34
	s_cbranch_execz .LBB462_2196
; %bb.2191:                             ;   in Loop: Header=BB462_1471 Depth=1
	v_bfe_u32 v7, v2, 24, 7
	v_mov_b32_e32 v6, 0x7f800001
	s_mov_b32 s13, exec_lo
	s_delay_alu instid0(VALU_DEP_2)
	v_cmpx_ne_u32_e32 0x7f, v7
	s_cbranch_execz .LBB462_2195
; %bb.2192:                             ;   in Loop: Header=BB462_1471 Depth=1
	v_and_b32_e32 v9, 7, v34
	v_lshrrev_b32_e32 v35, 3, v7
	v_cmp_gt_u32_e64 s0, 8, v7
	s_delay_alu instid0(VALU_DEP_3) | instskip(NEXT) | instid1(VALU_DEP_2)
	v_dual_mov_b32 v6, v9 :: v_dual_mov_b32 v7, v10
	s_and_saveexec_b32 s15, s0
; %bb.2193:                             ;   in Loop: Header=BB462_1471 Depth=1
	v_clz_i32_u32_e32 v6, v9
	s_delay_alu instid0(VALU_DEP_1) | instskip(NEXT) | instid1(VALU_DEP_1)
	v_min_u32_e32 v35, 32, v6
	v_subrev_nc_u32_e32 v6, 28, v35
	v_sub_nc_u32_e32 v35, 29, v35
	s_delay_alu instid0(VALU_DEP_2) | instskip(NEXT) | instid1(VALU_DEP_1)
	v_lshlrev_b64 v[6:7], v6, v[9:10]
	v_and_b32_e32 v6, 7, v6
; %bb.2194:                             ;   in Loop: Header=BB462_1471 Depth=1
	s_or_b32 exec_lo, exec_lo, s15
	v_lshlrev_b32_e32 v7, 24, v34
	s_delay_alu instid0(VALU_DEP_2) | instskip(SKIP_1) | instid1(VALU_DEP_3)
	v_lshlrev_b32_e32 v6, 20, v6
	v_lshl_add_u32 v9, v35, 23, 0x3c000000
	v_and_b32_e32 v7, 0x80000000, v7
	s_delay_alu instid0(VALU_DEP_1)
	v_or3_b32 v6, v6, v7, v9
.LBB462_2195:                           ;   in Loop: Header=BB462_1471 Depth=1
	s_or_b32 exec_lo, exec_lo, s13
.LBB462_2196:                           ;   in Loop: Header=BB462_1471 Depth=1
	s_delay_alu instid0(SALU_CYCLE_1)
	s_or_b32 exec_lo, exec_lo, s12
.LBB462_2197:                           ;   in Loop: Header=BB462_1471 Depth=1
	s_delay_alu instid0(SALU_CYCLE_1) | instskip(NEXT) | instid1(VALU_DEP_1)
	s_or_b32 exec_lo, exec_lo, s9
	v_mul_f32_e32 v6, v26, v6
                                        ; implicit-def: $vgpr34
	s_delay_alu instid0(VALU_DEP_1) | instskip(NEXT) | instid1(VALU_DEP_1)
	v_and_b32_e32 v7, 0x7f800000, v6
	v_cmp_ne_u32_e64 s0, 0x7f800000, v7
	s_delay_alu instid0(VALU_DEP_1) | instskip(NEXT) | instid1(SALU_CYCLE_1)
	s_and_saveexec_b32 s9, s0
	s_xor_b32 s0, exec_lo, s9
; %bb.2198:                             ;   in Loop: Header=BB462_1471 Depth=1
	v_bfe_u32 v7, v6, 16, 1
	s_delay_alu instid0(VALU_DEP_1)
	v_add3_u32 v34, v6, v7, 0x7fff
                                        ; implicit-def: $vgpr6
; %bb.2199:                             ;   in Loop: Header=BB462_1471 Depth=1
	s_and_not1_saveexec_b32 s9, s0
; %bb.2200:                             ;   in Loop: Header=BB462_1471 Depth=1
	v_and_b32_e32 v7, 0xffff, v6
	v_or_b32_e32 v9, 0x10000, v6
	s_delay_alu instid0(VALU_DEP_2) | instskip(NEXT) | instid1(VALU_DEP_1)
	v_cmp_eq_u32_e64 s0, 0, v7
	v_cndmask_b32_e64 v34, v9, v6, s0
; %bb.2201:                             ;   in Loop: Header=BB462_1471 Depth=1
	s_or_b32 exec_lo, exec_lo, s9
	v_dual_mov_b32 v6, 0 :: v_dual_and_b32 v7, 0xff, v3
	v_mov_b32_e32 v9, v3
	s_mov_b32 s9, exec_lo
	s_delay_alu instid0(VALU_DEP_2)
	v_cmpx_ne_u16_e32 0, v7
	s_cbranch_execz .LBB462_2209
; %bb.2202:                             ;   in Loop: Header=BB462_1471 Depth=1
	v_bfrev_b32_e32 v6, 1
	s_mov_b32 s12, exec_lo
	v_cmpx_ne_u16_e32 0x80, v7
	s_cbranch_execz .LBB462_2208
; %bb.2203:                             ;   in Loop: Header=BB462_1471 Depth=1
	v_and_b32_e32 v7, 0x7f, v3
	v_mov_b32_e32 v6, 0x7f800001
	s_mov_b32 s13, exec_lo
	s_delay_alu instid0(VALU_DEP_2)
	v_cmpx_ne_u32_e32 0x7f, v7
	s_cbranch_execz .LBB462_2207
; %bb.2204:                             ;   in Loop: Header=BB462_1471 Depth=1
	v_lshrrev_b32_e32 v35, 3, v7
	v_cmp_gt_u32_e64 s0, 8, v7
	v_dual_mov_b32 v6, v9 :: v_dual_mov_b32 v7, v10
	s_delay_alu instid0(VALU_DEP_2)
	s_and_saveexec_b32 s15, s0
; %bb.2205:                             ;   in Loop: Header=BB462_1471 Depth=1
	v_and_b32_e32 v6, 7, v3
	s_delay_alu instid0(VALU_DEP_1) | instskip(NEXT) | instid1(VALU_DEP_1)
	v_clz_i32_u32_e32 v6, v6
	v_min_u32_e32 v35, 32, v6
	s_delay_alu instid0(VALU_DEP_1) | instskip(SKIP_1) | instid1(VALU_DEP_2)
	v_subrev_nc_u32_e32 v6, 28, v35
	v_sub_nc_u32_e32 v35, 29, v35
	v_lshlrev_b64 v[6:7], v6, v[9:10]
; %bb.2206:                             ;   in Loop: Header=BB462_1471 Depth=1
	s_or_b32 exec_lo, exec_lo, s15
	s_delay_alu instid0(VALU_DEP_1) | instskip(SKIP_2) | instid1(VALU_DEP_3)
	v_lshlrev_b32_e32 v6, 20, v6
	v_lshlrev_b32_e32 v7, 24, v9
	v_lshl_add_u32 v35, v35, 23, 0x3c000000
	v_and_b32_e32 v6, 0x700000, v6
	s_delay_alu instid0(VALU_DEP_3) | instskip(NEXT) | instid1(VALU_DEP_1)
	v_and_b32_e32 v7, 0x80000000, v7
	v_or3_b32 v6, v6, v7, v35
.LBB462_2207:                           ;   in Loop: Header=BB462_1471 Depth=1
	s_or_b32 exec_lo, exec_lo, s13
.LBB462_2208:                           ;   in Loop: Header=BB462_1471 Depth=1
	s_delay_alu instid0(SALU_CYCLE_1)
	s_or_b32 exec_lo, exec_lo, s12
.LBB462_2209:                           ;   in Loop: Header=BB462_1471 Depth=1
	s_delay_alu instid0(SALU_CYCLE_1) | instskip(NEXT) | instid1(VALU_DEP_1)
	s_or_b32 exec_lo, exec_lo, s9
	v_mul_f32_e32 v6, v26, v6
                                        ; implicit-def: $vgpr35
	s_delay_alu instid0(VALU_DEP_1) | instskip(NEXT) | instid1(VALU_DEP_1)
	v_and_b32_e32 v7, 0x7f800000, v6
	v_cmp_ne_u32_e64 s0, 0x7f800000, v7
	s_delay_alu instid0(VALU_DEP_1) | instskip(NEXT) | instid1(SALU_CYCLE_1)
	s_and_saveexec_b32 s9, s0
	s_xor_b32 s0, exec_lo, s9
; %bb.2210:                             ;   in Loop: Header=BB462_1471 Depth=1
	v_bfe_u32 v7, v6, 16, 1
	s_delay_alu instid0(VALU_DEP_1)
	v_add3_u32 v35, v6, v7, 0x7fff
                                        ; implicit-def: $vgpr6
; %bb.2211:                             ;   in Loop: Header=BB462_1471 Depth=1
	s_and_not1_saveexec_b32 s9, s0
; %bb.2212:                             ;   in Loop: Header=BB462_1471 Depth=1
	v_and_b32_e32 v7, 0xffff, v6
	v_or_b32_e32 v35, 0x10000, v6
	s_delay_alu instid0(VALU_DEP_2) | instskip(NEXT) | instid1(VALU_DEP_1)
	v_cmp_eq_u32_e64 s0, 0, v7
	v_cndmask_b32_e64 v35, v35, v6, s0
; %bb.2213:                             ;   in Loop: Header=BB462_1471 Depth=1
	s_or_b32 exec_lo, exec_lo, s9
	v_lshrrev_b16 v7, 8, v9
	v_mov_b32_e32 v6, 0
	s_mov_b32 s9, exec_lo
	s_delay_alu instid0(VALU_DEP_2)
	v_cmpx_ne_u16_e32 0, v7
	s_cbranch_execz .LBB462_2221
; %bb.2214:                             ;   in Loop: Header=BB462_1471 Depth=1
	v_bfrev_b32_e32 v6, 1
	s_mov_b32 s12, exec_lo
	v_cmpx_ne_u16_e32 0x80, v7
	s_cbranch_execz .LBB462_2220
; %bb.2215:                             ;   in Loop: Header=BB462_1471 Depth=1
	v_and_b32_e32 v7, 0xffff, v7
	v_mov_b32_e32 v6, 0x7f800001
	s_mov_b32 s13, exec_lo
	s_delay_alu instid0(VALU_DEP_2) | instskip(NEXT) | instid1(VALU_DEP_1)
	v_and_b32_e32 v163, 0x7f, v7
	v_cmpx_ne_u32_e32 0x7f, v163
	s_cbranch_execz .LBB462_2219
; %bb.2216:                             ;   in Loop: Header=BB462_1471 Depth=1
	v_dual_mov_b32 v7, v10 :: v_dual_and_b32 v6, 7, v7
	v_lshrrev_b32_e32 v162, 3, v163
	s_mov_b32 s15, exec_lo
	v_cmpx_gt_u32_e32 8, v163
; %bb.2217:                             ;   in Loop: Header=BB462_1471 Depth=1
	s_delay_alu instid0(VALU_DEP_3) | instskip(NEXT) | instid1(VALU_DEP_1)
	v_clz_i32_u32_e32 v162, v6
	v_min_u32_e32 v162, 32, v162
	s_delay_alu instid0(VALU_DEP_1) | instskip(SKIP_1) | instid1(VALU_DEP_2)
	v_subrev_nc_u32_e32 v163, 28, v162
	v_sub_nc_u32_e32 v162, 29, v162
	v_lshlrev_b64 v[6:7], v163, v[6:7]
	s_delay_alu instid0(VALU_DEP_1)
	v_and_b32_e32 v6, 7, v6
; %bb.2218:                             ;   in Loop: Header=BB462_1471 Depth=1
	s_or_b32 exec_lo, exec_lo, s15
	v_lshlrev_b32_e32 v7, 16, v9
	s_delay_alu instid0(VALU_DEP_2) | instskip(SKIP_1) | instid1(VALU_DEP_3)
	v_lshlrev_b32_e32 v6, 20, v6
	v_lshl_add_u32 v9, v162, 23, 0x3c000000
	v_and_b32_e32 v7, 0x80000000, v7
	s_delay_alu instid0(VALU_DEP_1)
	v_or3_b32 v6, v6, v7, v9
.LBB462_2219:                           ;   in Loop: Header=BB462_1471 Depth=1
	s_or_b32 exec_lo, exec_lo, s13
.LBB462_2220:                           ;   in Loop: Header=BB462_1471 Depth=1
	s_delay_alu instid0(SALU_CYCLE_1)
	s_or_b32 exec_lo, exec_lo, s12
.LBB462_2221:                           ;   in Loop: Header=BB462_1471 Depth=1
	s_delay_alu instid0(SALU_CYCLE_1) | instskip(NEXT) | instid1(VALU_DEP_1)
	s_or_b32 exec_lo, exec_lo, s9
	v_mul_f32_e32 v6, v26, v6
                                        ; implicit-def: $vgpr162
	s_delay_alu instid0(VALU_DEP_1) | instskip(NEXT) | instid1(VALU_DEP_1)
	v_and_b32_e32 v7, 0x7f800000, v6
	v_cmp_ne_u32_e64 s0, 0x7f800000, v7
	s_delay_alu instid0(VALU_DEP_1) | instskip(NEXT) | instid1(SALU_CYCLE_1)
	s_and_saveexec_b32 s9, s0
	s_xor_b32 s0, exec_lo, s9
; %bb.2222:                             ;   in Loop: Header=BB462_1471 Depth=1
	v_bfe_u32 v7, v6, 16, 1
	s_delay_alu instid0(VALU_DEP_1)
	v_add3_u32 v162, v6, v7, 0x7fff
                                        ; implicit-def: $vgpr6
; %bb.2223:                             ;   in Loop: Header=BB462_1471 Depth=1
	s_and_not1_saveexec_b32 s9, s0
; %bb.2224:                             ;   in Loop: Header=BB462_1471 Depth=1
	v_and_b32_e32 v7, 0xffff, v6
	v_or_b32_e32 v9, 0x10000, v6
	s_delay_alu instid0(VALU_DEP_2) | instskip(NEXT) | instid1(VALU_DEP_1)
	v_cmp_eq_u32_e64 s0, 0, v7
	v_cndmask_b32_e64 v162, v9, v6, s0
; %bb.2225:                             ;   in Loop: Header=BB462_1471 Depth=1
	s_or_b32 exec_lo, exec_lo, s9
	v_lshrrev_b32_e32 v163, 16, v3
	s_mov_b32 s9, exec_lo
	s_delay_alu instid0(VALU_DEP_1) | instskip(NEXT) | instid1(VALU_DEP_1)
	v_dual_mov_b32 v6, 0 :: v_dual_and_b32 v7, 0xff, v163
	v_cmpx_ne_u16_e32 0, v7
	s_cbranch_execz .LBB462_2233
; %bb.2226:                             ;   in Loop: Header=BB462_1471 Depth=1
	v_bfrev_b32_e32 v6, 1
	s_mov_b32 s12, exec_lo
	v_cmpx_ne_u16_e32 0x80, v7
	s_cbranch_execz .LBB462_2232
; %bb.2227:                             ;   in Loop: Header=BB462_1471 Depth=1
	v_bfe_u32 v7, v3, 16, 7
	v_mov_b32_e32 v6, 0x7f800001
	s_mov_b32 s13, exec_lo
	s_delay_alu instid0(VALU_DEP_2)
	v_cmpx_ne_u32_e32 0x7f, v7
	s_cbranch_execz .LBB462_2231
; %bb.2228:                             ;   in Loop: Header=BB462_1471 Depth=1
	v_and_b32_e32 v9, 7, v163
	v_lshrrev_b32_e32 v164, 3, v7
	v_cmp_gt_u32_e64 s0, 8, v7
	s_delay_alu instid0(VALU_DEP_3) | instskip(NEXT) | instid1(VALU_DEP_2)
	v_dual_mov_b32 v6, v9 :: v_dual_mov_b32 v7, v10
	s_and_saveexec_b32 s15, s0
; %bb.2229:                             ;   in Loop: Header=BB462_1471 Depth=1
	v_clz_i32_u32_e32 v6, v9
	s_delay_alu instid0(VALU_DEP_1) | instskip(NEXT) | instid1(VALU_DEP_1)
	v_min_u32_e32 v164, 32, v6
	v_subrev_nc_u32_e32 v6, 28, v164
	v_sub_nc_u32_e32 v164, 29, v164
	s_delay_alu instid0(VALU_DEP_2) | instskip(NEXT) | instid1(VALU_DEP_1)
	v_lshlrev_b64 v[6:7], v6, v[9:10]
	v_and_b32_e32 v6, 7, v6
; %bb.2230:                             ;   in Loop: Header=BB462_1471 Depth=1
	s_or_b32 exec_lo, exec_lo, s15
	v_lshlrev_b32_e32 v7, 24, v163
	s_delay_alu instid0(VALU_DEP_2) | instskip(SKIP_1) | instid1(VALU_DEP_3)
	v_lshlrev_b32_e32 v6, 20, v6
	v_lshl_add_u32 v9, v164, 23, 0x3c000000
	v_and_b32_e32 v7, 0x80000000, v7
	s_delay_alu instid0(VALU_DEP_1)
	v_or3_b32 v6, v6, v7, v9
.LBB462_2231:                           ;   in Loop: Header=BB462_1471 Depth=1
	s_or_b32 exec_lo, exec_lo, s13
.LBB462_2232:                           ;   in Loop: Header=BB462_1471 Depth=1
	s_delay_alu instid0(SALU_CYCLE_1)
	s_or_b32 exec_lo, exec_lo, s12
.LBB462_2233:                           ;   in Loop: Header=BB462_1471 Depth=1
	s_delay_alu instid0(SALU_CYCLE_1) | instskip(NEXT) | instid1(VALU_DEP_1)
	s_or_b32 exec_lo, exec_lo, s9
	v_mul_f32_e32 v6, v26, v6
                                        ; implicit-def: $vgpr163
	s_delay_alu instid0(VALU_DEP_1) | instskip(NEXT) | instid1(VALU_DEP_1)
	v_and_b32_e32 v7, 0x7f800000, v6
	v_cmp_ne_u32_e64 s0, 0x7f800000, v7
	s_delay_alu instid0(VALU_DEP_1) | instskip(NEXT) | instid1(SALU_CYCLE_1)
	s_and_saveexec_b32 s9, s0
	s_xor_b32 s0, exec_lo, s9
; %bb.2234:                             ;   in Loop: Header=BB462_1471 Depth=1
	v_bfe_u32 v7, v6, 16, 1
	s_delay_alu instid0(VALU_DEP_1)
	v_add3_u32 v163, v6, v7, 0x7fff
                                        ; implicit-def: $vgpr6
; %bb.2235:                             ;   in Loop: Header=BB462_1471 Depth=1
	s_and_not1_saveexec_b32 s9, s0
; %bb.2236:                             ;   in Loop: Header=BB462_1471 Depth=1
	v_and_b32_e32 v7, 0xffff, v6
	v_or_b32_e32 v9, 0x10000, v6
	s_delay_alu instid0(VALU_DEP_2) | instskip(NEXT) | instid1(VALU_DEP_1)
	v_cmp_eq_u32_e64 s0, 0, v7
	v_cndmask_b32_e64 v163, v9, v6, s0
; %bb.2237:                             ;   in Loop: Header=BB462_1471 Depth=1
	s_or_b32 exec_lo, exec_lo, s9
	v_cmp_lt_u64_e64 s0, s[2:3], v[2:3]
	v_mov_b32_e32 v2, 0
	s_delay_alu instid0(VALU_DEP_2)
	s_and_saveexec_b32 s9, s0
	s_cbranch_execz .LBB462_2245
; %bb.2238:                             ;   in Loop: Header=BB462_1471 Depth=1
	v_lshrrev_b32_e32 v6, 24, v3
	v_bfrev_b32_e32 v2, 1
	s_mov_b32 s12, exec_lo
	s_delay_alu instid0(VALU_DEP_2)
	v_cmpx_ne_u32_e32 0x80, v6
	s_cbranch_execz .LBB462_2244
; %bb.2239:                             ;   in Loop: Header=BB462_1471 Depth=1
	v_bfe_u32 v3, v3, 24, 7
	v_mov_b32_e32 v2, 0x7f800001
	s_mov_b32 s13, exec_lo
	s_delay_alu instid0(VALU_DEP_2)
	v_cmpx_ne_u32_e32 0x7f, v3
	s_cbranch_execz .LBB462_2243
; %bb.2240:                             ;   in Loop: Header=BB462_1471 Depth=1
	v_and_b32_e32 v9, 7, v6
	v_lshrrev_b32_e32 v7, 3, v3
	v_cmp_gt_u32_e64 s0, 8, v3
	s_delay_alu instid0(VALU_DEP_3) | instskip(NEXT) | instid1(VALU_DEP_2)
	v_dual_mov_b32 v2, v9 :: v_dual_mov_b32 v3, v10
	s_and_saveexec_b32 s15, s0
; %bb.2241:                             ;   in Loop: Header=BB462_1471 Depth=1
	v_clz_i32_u32_e32 v2, v9
	s_delay_alu instid0(VALU_DEP_1) | instskip(NEXT) | instid1(VALU_DEP_1)
	v_min_u32_e32 v7, 32, v2
	v_subrev_nc_u32_e32 v2, 28, v7
	v_sub_nc_u32_e32 v7, 29, v7
	s_delay_alu instid0(VALU_DEP_2) | instskip(NEXT) | instid1(VALU_DEP_1)
	v_lshlrev_b64 v[2:3], v2, v[9:10]
	v_and_b32_e32 v2, 7, v2
; %bb.2242:                             ;   in Loop: Header=BB462_1471 Depth=1
	s_or_b32 exec_lo, exec_lo, s15
	v_lshlrev_b32_e32 v3, 24, v6
	s_delay_alu instid0(VALU_DEP_2) | instskip(SKIP_1) | instid1(VALU_DEP_3)
	v_lshlrev_b32_e32 v2, 20, v2
	v_lshl_add_u32 v6, v7, 23, 0x3c000000
	v_and_b32_e32 v3, 0x80000000, v3
	s_delay_alu instid0(VALU_DEP_1)
	v_or3_b32 v2, v2, v3, v6
.LBB462_2243:                           ;   in Loop: Header=BB462_1471 Depth=1
	s_or_b32 exec_lo, exec_lo, s13
.LBB462_2244:                           ;   in Loop: Header=BB462_1471 Depth=1
	s_delay_alu instid0(SALU_CYCLE_1)
	s_or_b32 exec_lo, exec_lo, s12
.LBB462_2245:                           ;   in Loop: Header=BB462_1471 Depth=1
	s_delay_alu instid0(SALU_CYCLE_1) | instskip(NEXT) | instid1(VALU_DEP_1)
	s_or_b32 exec_lo, exec_lo, s9
	v_mul_f32_e32 v3, v26, v2
	s_delay_alu instid0(VALU_DEP_1) | instskip(NEXT) | instid1(VALU_DEP_1)
	v_and_b32_e32 v2, 0x7f800000, v3
	v_cmp_ne_u32_e64 s0, 0x7f800000, v2
                                        ; implicit-def: $vgpr2
	s_delay_alu instid0(VALU_DEP_1) | instskip(NEXT) | instid1(SALU_CYCLE_1)
	s_and_saveexec_b32 s9, s0
	s_xor_b32 s0, exec_lo, s9
; %bb.2246:                             ;   in Loop: Header=BB462_1471 Depth=1
	v_bfe_u32 v2, v3, 16, 1
	s_delay_alu instid0(VALU_DEP_1)
	v_add3_u32 v2, v3, v2, 0x7fff
                                        ; implicit-def: $vgpr3
; %bb.2247:                             ;   in Loop: Header=BB462_1471 Depth=1
	s_and_not1_saveexec_b32 s9, s0
; %bb.2248:                             ;   in Loop: Header=BB462_1471 Depth=1
	v_and_b32_e32 v2, 0xffff, v3
	v_or_b32_e32 v6, 0x10000, v3
	s_delay_alu instid0(VALU_DEP_2) | instskip(NEXT) | instid1(VALU_DEP_1)
	v_cmp_eq_u32_e64 s0, 0, v2
	v_cndmask_b32_e64 v2, v6, v3, s0
; %bb.2249:                             ;   in Loop: Header=BB462_1471 Depth=1
	s_or_b32 exec_lo, exec_lo, s9
	v_lshrrev_b32_e32 v6, 16, v162
	v_lshrrev_b32_e32 v7, 16, v35
	;; [unrolled: 1-line block ×8, first 2 shown]
	s_and_saveexec_b32 s9, vcc_lo
	s_cbranch_execz .LBB462_2251
; %bb.2250:                             ;   in Loop: Header=BB462_1471 Depth=1
	v_cmp_lt_i32_e64 s0, v67, v36
	s_delay_alu instid0(VALU_DEP_1) | instskip(SKIP_1) | instid1(VALU_DEP_1)
	v_cndmask_b32_e64 v4, 0, v4, s0
	v_cmp_lt_i32_e64 s0, v81, v36
	v_cndmask_b32_e64 v5, 0, v5, s0
	v_cmp_lt_i32_e64 s0, v80, v36
	s_delay_alu instid0(VALU_DEP_1) | instskip(SKIP_1) | instid1(VALU_DEP_1)
	v_cndmask_b32_e64 v23, 0, v23, s0
	v_cmp_lt_i32_e64 s0, v71, v36
	v_cndmask_b32_e64 v9, 0, v9, s0
	;; [unrolled: 5-line block ×4, first 2 shown]
.LBB462_2251:                           ;   in Loop: Header=BB462_1471 Depth=1
	s_or_b32 exec_lo, exec_lo, s9
	v_lshlrev_b32_e32 v4, 16, v4
                                        ; implicit-def: $vgpr162
	s_delay_alu instid0(VALU_DEP_1) | instskip(NEXT) | instid1(VALU_DEP_1)
	v_mul_f32_e32 v4, v82, v4
	v_and_b32_e32 v34, 0x7f800000, v4
	s_delay_alu instid0(VALU_DEP_1) | instskip(NEXT) | instid1(VALU_DEP_1)
	v_cmp_ne_u32_e64 s0, 0x7f800000, v34
	s_and_saveexec_b32 s9, s0
	s_delay_alu instid0(SALU_CYCLE_1)
	s_xor_b32 s0, exec_lo, s9
; %bb.2252:                             ;   in Loop: Header=BB462_1471 Depth=1
	v_bfe_u32 v34, v4, 16, 1
	s_delay_alu instid0(VALU_DEP_1)
	v_add3_u32 v162, v4, v34, 0x7fff
                                        ; implicit-def: $vgpr4
; %bb.2253:                             ;   in Loop: Header=BB462_1471 Depth=1
	s_and_not1_saveexec_b32 s9, s0
; %bb.2254:                             ;   in Loop: Header=BB462_1471 Depth=1
	v_and_b32_e32 v34, 0xffff, v4
	v_or_b32_e32 v35, 0x10000, v4
	s_delay_alu instid0(VALU_DEP_2) | instskip(NEXT) | instid1(VALU_DEP_1)
	v_cmp_eq_u32_e64 s0, 0, v34
	v_cndmask_b32_e64 v162, v35, v4, s0
; %bb.2255:                             ;   in Loop: Header=BB462_1471 Depth=1
	s_or_b32 exec_lo, exec_lo, s9
	v_lshlrev_b32_e32 v4, 16, v5
                                        ; implicit-def: $vgpr163
	s_delay_alu instid0(VALU_DEP_1) | instskip(NEXT) | instid1(VALU_DEP_1)
	v_mul_f32_e32 v4, v83, v4
	v_and_b32_e32 v5, 0x7f800000, v4
	s_delay_alu instid0(VALU_DEP_1) | instskip(NEXT) | instid1(VALU_DEP_1)
	v_cmp_ne_u32_e64 s0, 0x7f800000, v5
	s_and_saveexec_b32 s9, s0
	s_delay_alu instid0(SALU_CYCLE_1)
	s_xor_b32 s0, exec_lo, s9
; %bb.2256:                             ;   in Loop: Header=BB462_1471 Depth=1
	v_bfe_u32 v5, v4, 16, 1
	s_delay_alu instid0(VALU_DEP_1)
	v_add3_u32 v163, v4, v5, 0x7fff
                                        ; implicit-def: $vgpr4
; %bb.2257:                             ;   in Loop: Header=BB462_1471 Depth=1
	s_and_not1_saveexec_b32 s9, s0
; %bb.2258:                             ;   in Loop: Header=BB462_1471 Depth=1
	v_and_b32_e32 v5, 0xffff, v4
	v_or_b32_e32 v34, 0x10000, v4
	s_delay_alu instid0(VALU_DEP_2) | instskip(NEXT) | instid1(VALU_DEP_1)
	v_cmp_eq_u32_e64 s0, 0, v5
	v_cndmask_b32_e64 v163, v34, v4, s0
; %bb.2259:                             ;   in Loop: Header=BB462_1471 Depth=1
	s_or_b32 exec_lo, exec_lo, s9
	v_lshlrev_b32_e32 v4, 16, v23
                                        ; implicit-def: $vgpr164
	s_delay_alu instid0(VALU_DEP_1) | instskip(NEXT) | instid1(VALU_DEP_1)
	v_mul_f32_e32 v4, v84, v4
	v_and_b32_e32 v5, 0x7f800000, v4
	s_delay_alu instid0(VALU_DEP_1) | instskip(NEXT) | instid1(VALU_DEP_1)
	v_cmp_ne_u32_e64 s0, 0x7f800000, v5
	s_and_saveexec_b32 s9, s0
	s_delay_alu instid0(SALU_CYCLE_1)
	s_xor_b32 s0, exec_lo, s9
; %bb.2260:                             ;   in Loop: Header=BB462_1471 Depth=1
	v_bfe_u32 v5, v4, 16, 1
	s_delay_alu instid0(VALU_DEP_1)
	v_add3_u32 v164, v4, v5, 0x7fff
                                        ; implicit-def: $vgpr4
; %bb.2261:                             ;   in Loop: Header=BB462_1471 Depth=1
	s_and_not1_saveexec_b32 s9, s0
; %bb.2262:                             ;   in Loop: Header=BB462_1471 Depth=1
	v_and_b32_e32 v5, 0xffff, v4
	v_or_b32_e32 v23, 0x10000, v4
	s_delay_alu instid0(VALU_DEP_2) | instskip(NEXT) | instid1(VALU_DEP_1)
	v_cmp_eq_u32_e64 s0, 0, v5
	v_cndmask_b32_e64 v164, v23, v4, s0
; %bb.2263:                             ;   in Loop: Header=BB462_1471 Depth=1
	s_or_b32 exec_lo, exec_lo, s9
	v_lshlrev_b32_e32 v4, 16, v9
                                        ; implicit-def: $vgpr165
	s_delay_alu instid0(VALU_DEP_1) | instskip(NEXT) | instid1(VALU_DEP_1)
	v_mul_f32_e32 v4, v85, v4
	v_and_b32_e32 v5, 0x7f800000, v4
	s_delay_alu instid0(VALU_DEP_1) | instskip(NEXT) | instid1(VALU_DEP_1)
	v_cmp_ne_u32_e64 s0, 0x7f800000, v5
	s_and_saveexec_b32 s9, s0
	s_delay_alu instid0(SALU_CYCLE_1)
	s_xor_b32 s0, exec_lo, s9
; %bb.2264:                             ;   in Loop: Header=BB462_1471 Depth=1
	v_bfe_u32 v5, v4, 16, 1
	s_delay_alu instid0(VALU_DEP_1)
	v_add3_u32 v165, v4, v5, 0x7fff
                                        ; implicit-def: $vgpr4
; %bb.2265:                             ;   in Loop: Header=BB462_1471 Depth=1
	s_and_not1_saveexec_b32 s9, s0
; %bb.2266:                             ;   in Loop: Header=BB462_1471 Depth=1
	v_and_b32_e32 v5, 0xffff, v4
	v_or_b32_e32 v9, 0x10000, v4
	s_delay_alu instid0(VALU_DEP_2) | instskip(NEXT) | instid1(VALU_DEP_1)
	v_cmp_eq_u32_e64 s0, 0, v5
	v_cndmask_b32_e64 v165, v9, v4, s0
; %bb.2267:                             ;   in Loop: Header=BB462_1471 Depth=1
	s_or_b32 exec_lo, exec_lo, s9
	v_lshlrev_b32_e32 v4, 16, v7
                                        ; implicit-def: $vgpr166
	s_delay_alu instid0(VALU_DEP_1) | instskip(NEXT) | instid1(VALU_DEP_1)
	v_mul_f32_e32 v4, v86, v4
	v_and_b32_e32 v5, 0x7f800000, v4
	s_delay_alu instid0(VALU_DEP_1) | instskip(NEXT) | instid1(VALU_DEP_1)
	v_cmp_ne_u32_e64 s0, 0x7f800000, v5
	s_and_saveexec_b32 s9, s0
	s_delay_alu instid0(SALU_CYCLE_1)
	s_xor_b32 s0, exec_lo, s9
; %bb.2268:                             ;   in Loop: Header=BB462_1471 Depth=1
	v_bfe_u32 v5, v4, 16, 1
	s_delay_alu instid0(VALU_DEP_1)
	v_add3_u32 v166, v4, v5, 0x7fff
                                        ; implicit-def: $vgpr4
; %bb.2269:                             ;   in Loop: Header=BB462_1471 Depth=1
	s_and_not1_saveexec_b32 s9, s0
; %bb.2270:                             ;   in Loop: Header=BB462_1471 Depth=1
	v_and_b32_e32 v5, 0xffff, v4
	v_or_b32_e32 v7, 0x10000, v4
	s_delay_alu instid0(VALU_DEP_2) | instskip(NEXT) | instid1(VALU_DEP_1)
	v_cmp_eq_u32_e64 s0, 0, v5
	v_cndmask_b32_e64 v166, v7, v4, s0
; %bb.2271:                             ;   in Loop: Header=BB462_1471 Depth=1
	s_or_b32 exec_lo, exec_lo, s9
	v_lshlrev_b32_e32 v4, 16, v6
                                        ; implicit-def: $vgpr167
	s_delay_alu instid0(VALU_DEP_1) | instskip(NEXT) | instid1(VALU_DEP_1)
	v_mul_f32_e32 v4, v87, v4
	v_and_b32_e32 v5, 0x7f800000, v4
	s_delay_alu instid0(VALU_DEP_1) | instskip(NEXT) | instid1(VALU_DEP_1)
	v_cmp_ne_u32_e64 s0, 0x7f800000, v5
	s_and_saveexec_b32 s9, s0
	s_delay_alu instid0(SALU_CYCLE_1)
	s_xor_b32 s0, exec_lo, s9
; %bb.2272:                             ;   in Loop: Header=BB462_1471 Depth=1
	v_bfe_u32 v5, v4, 16, 1
	s_delay_alu instid0(VALU_DEP_1)
	v_add3_u32 v167, v4, v5, 0x7fff
                                        ; implicit-def: $vgpr4
; %bb.2273:                             ;   in Loop: Header=BB462_1471 Depth=1
	s_and_not1_saveexec_b32 s9, s0
; %bb.2274:                             ;   in Loop: Header=BB462_1471 Depth=1
	v_and_b32_e32 v5, 0xffff, v4
	v_or_b32_e32 v6, 0x10000, v4
	s_delay_alu instid0(VALU_DEP_2) | instskip(NEXT) | instid1(VALU_DEP_1)
	v_cmp_eq_u32_e64 s0, 0, v5
	v_cndmask_b32_e64 v167, v6, v4, s0
; %bb.2275:                             ;   in Loop: Header=BB462_1471 Depth=1
	s_or_b32 exec_lo, exec_lo, s9
	v_lshlrev_b32_e32 v3, 16, v3
                                        ; implicit-def: $vgpr176
	s_delay_alu instid0(VALU_DEP_1) | instskip(NEXT) | instid1(VALU_DEP_1)
	v_mul_f32_e32 v3, v96, v3
	v_and_b32_e32 v4, 0x7f800000, v3
	s_delay_alu instid0(VALU_DEP_1) | instskip(NEXT) | instid1(VALU_DEP_1)
	v_cmp_ne_u32_e64 s0, 0x7f800000, v4
	s_and_saveexec_b32 s9, s0
	s_delay_alu instid0(SALU_CYCLE_1)
	s_xor_b32 s0, exec_lo, s9
; %bb.2276:                             ;   in Loop: Header=BB462_1471 Depth=1
	v_bfe_u32 v4, v3, 16, 1
	s_delay_alu instid0(VALU_DEP_1)
	v_add3_u32 v176, v3, v4, 0x7fff
                                        ; implicit-def: $vgpr3
; %bb.2277:                             ;   in Loop: Header=BB462_1471 Depth=1
	s_and_not1_saveexec_b32 s9, s0
; %bb.2278:                             ;   in Loop: Header=BB462_1471 Depth=1
	v_and_b32_e32 v4, 0xffff, v3
	v_or_b32_e32 v5, 0x10000, v3
	s_delay_alu instid0(VALU_DEP_2) | instskip(NEXT) | instid1(VALU_DEP_1)
	v_cmp_eq_u32_e64 s0, 0, v4
	v_cndmask_b32_e64 v176, v5, v3, s0
; %bb.2279:                             ;   in Loop: Header=BB462_1471 Depth=1
	s_or_b32 exec_lo, exec_lo, s9
	v_lshlrev_b32_e32 v2, 16, v2
                                        ; implicit-def: $vgpr177
	s_delay_alu instid0(VALU_DEP_1) | instskip(NEXT) | instid1(VALU_DEP_1)
	v_mul_f32_e32 v2, v97, v2
	v_and_b32_e32 v3, 0x7f800000, v2
	s_delay_alu instid0(VALU_DEP_1) | instskip(NEXT) | instid1(VALU_DEP_1)
	v_cmp_ne_u32_e64 s0, 0x7f800000, v3
	s_and_saveexec_b32 s9, s0
	s_delay_alu instid0(SALU_CYCLE_1)
	s_xor_b32 s0, exec_lo, s9
; %bb.2280:                             ;   in Loop: Header=BB462_1471 Depth=1
	v_bfe_u32 v3, v2, 16, 1
	s_delay_alu instid0(VALU_DEP_1)
	v_add3_u32 v177, v2, v3, 0x7fff
                                        ; implicit-def: $vgpr2
; %bb.2281:                             ;   in Loop: Header=BB462_1471 Depth=1
	s_and_not1_saveexec_b32 s9, s0
; %bb.2282:                             ;   in Loop: Header=BB462_1471 Depth=1
	v_and_b32_e32 v3, 0xffff, v2
	v_or_b32_e32 v4, 0x10000, v2
	s_delay_alu instid0(VALU_DEP_2) | instskip(NEXT) | instid1(VALU_DEP_1)
	v_cmp_eq_u32_e64 s0, 0, v3
	v_cndmask_b32_e64 v177, v4, v2, s0
; %bb.2283:                             ;   in Loop: Header=BB462_1471 Depth=1
	s_or_b32 exec_lo, exec_lo, s9
	flat_load_b64 v[2:3], v[0:1] offset:1536
	s_mov_b32 s9, exec_lo
	s_waitcnt vmcnt(0) lgkmcnt(0)
	v_dual_mov_b32 v4, 0 :: v_dual_and_b32 v5, 0xff, v2
	s_delay_alu instid0(VALU_DEP_1)
	v_cmpx_ne_u16_e32 0, v5
	s_cbranch_execz .LBB462_2291
; %bb.2284:                             ;   in Loop: Header=BB462_1471 Depth=1
	v_bfrev_b32_e32 v4, 1
	s_mov_b32 s12, exec_lo
	v_cmpx_ne_u16_e32 0x80, v5
	s_cbranch_execz .LBB462_2290
; %bb.2285:                             ;   in Loop: Header=BB462_1471 Depth=1
	v_and_b32_e32 v5, 0x7f, v2
	v_mov_b32_e32 v4, 0x7f800001
	s_mov_b32 s13, exec_lo
	s_delay_alu instid0(VALU_DEP_2)
	v_cmpx_ne_u32_e32 0x7f, v5
	s_cbranch_execz .LBB462_2289
; %bb.2286:                             ;   in Loop: Header=BB462_1471 Depth=1
	v_lshrrev_b32_e32 v4, 3, v5
	v_dual_mov_b32 v7, v3 :: v_dual_mov_b32 v6, v2
	s_mov_b32 s15, exec_lo
	v_cmpx_gt_u32_e32 8, v5
; %bb.2287:                             ;   in Loop: Header=BB462_1471 Depth=1
	v_and_b32_e32 v4, 7, v2
	s_delay_alu instid0(VALU_DEP_1) | instskip(NEXT) | instid1(VALU_DEP_1)
	v_clz_i32_u32_e32 v4, v4
	v_min_u32_e32 v4, 32, v4
	s_delay_alu instid0(VALU_DEP_1) | instskip(SKIP_1) | instid1(VALU_DEP_2)
	v_subrev_nc_u32_e32 v5, 28, v4
	v_sub_nc_u32_e32 v4, 29, v4
	v_lshlrev_b64 v[6:7], v5, v[2:3]
; %bb.2288:                             ;   in Loop: Header=BB462_1471 Depth=1
	s_or_b32 exec_lo, exec_lo, s15
	s_delay_alu instid0(VALU_DEP_1) | instskip(SKIP_2) | instid1(VALU_DEP_3)
	v_lshlrev_b32_e32 v5, 20, v6
	v_lshlrev_b32_e32 v6, 24, v2
	v_lshl_add_u32 v4, v4, 23, 0x3c000000
	v_and_b32_e32 v5, 0x700000, v5
	s_delay_alu instid0(VALU_DEP_3) | instskip(NEXT) | instid1(VALU_DEP_1)
	v_and_b32_e32 v6, 0x80000000, v6
	v_or3_b32 v4, v5, v6, v4
.LBB462_2289:                           ;   in Loop: Header=BB462_1471 Depth=1
	s_or_b32 exec_lo, exec_lo, s13
.LBB462_2290:                           ;   in Loop: Header=BB462_1471 Depth=1
	s_delay_alu instid0(SALU_CYCLE_1)
	s_or_b32 exec_lo, exec_lo, s12
.LBB462_2291:                           ;   in Loop: Header=BB462_1471 Depth=1
	s_delay_alu instid0(SALU_CYCLE_1) | instskip(NEXT) | instid1(VALU_DEP_1)
	s_or_b32 exec_lo, exec_lo, s9
	v_mul_f32_e32 v5, v26, v4
	s_delay_alu instid0(VALU_DEP_1) | instskip(NEXT) | instid1(VALU_DEP_1)
	v_and_b32_e32 v4, 0x7f800000, v5
	v_cmp_ne_u32_e64 s0, 0x7f800000, v4
                                        ; implicit-def: $vgpr4
	s_delay_alu instid0(VALU_DEP_1) | instskip(NEXT) | instid1(SALU_CYCLE_1)
	s_and_saveexec_b32 s9, s0
	s_xor_b32 s0, exec_lo, s9
; %bb.2292:                             ;   in Loop: Header=BB462_1471 Depth=1
	v_bfe_u32 v4, v5, 16, 1
	s_delay_alu instid0(VALU_DEP_1)
	v_add3_u32 v4, v5, v4, 0x7fff
                                        ; implicit-def: $vgpr5
; %bb.2293:                             ;   in Loop: Header=BB462_1471 Depth=1
	s_and_not1_saveexec_b32 s9, s0
; %bb.2294:                             ;   in Loop: Header=BB462_1471 Depth=1
	v_and_b32_e32 v4, 0xffff, v5
	v_or_b32_e32 v6, 0x10000, v5
	s_delay_alu instid0(VALU_DEP_2) | instskip(NEXT) | instid1(VALU_DEP_1)
	v_cmp_eq_u32_e64 s0, 0, v4
	v_cndmask_b32_e64 v4, v6, v5, s0
; %bb.2295:                             ;   in Loop: Header=BB462_1471 Depth=1
	s_or_b32 exec_lo, exec_lo, s9
	v_lshrrev_b16 v6, 8, v2
	v_mov_b32_e32 v5, 0
	s_mov_b32 s9, exec_lo
	s_delay_alu instid0(VALU_DEP_2)
	v_cmpx_ne_u16_e32 0, v6
	s_cbranch_execz .LBB462_2303
; %bb.2296:                             ;   in Loop: Header=BB462_1471 Depth=1
	v_bfrev_b32_e32 v5, 1
	s_mov_b32 s12, exec_lo
	v_cmpx_ne_u16_e32 0x80, v6
	s_cbranch_execz .LBB462_2302
; %bb.2297:                             ;   in Loop: Header=BB462_1471 Depth=1
	v_and_b32_e32 v7, 0xffff, v6
	v_mov_b32_e32 v5, 0x7f800001
	s_mov_b32 s13, exec_lo
	s_delay_alu instid0(VALU_DEP_2) | instskip(NEXT) | instid1(VALU_DEP_1)
	v_and_b32_e32 v6, 0x7f, v7
	v_cmpx_ne_u32_e32 0x7f, v6
	s_cbranch_execz .LBB462_2301
; %bb.2298:                             ;   in Loop: Header=BB462_1471 Depth=1
	v_and_b32_e32 v9, 7, v7
	v_lshrrev_b32_e32 v5, 3, v6
	v_cmp_gt_u32_e64 s0, 8, v6
	s_delay_alu instid0(VALU_DEP_3) | instskip(NEXT) | instid1(VALU_DEP_2)
	v_dual_mov_b32 v6, v9 :: v_dual_mov_b32 v7, v10
	s_and_saveexec_b32 s15, s0
; %bb.2299:                             ;   in Loop: Header=BB462_1471 Depth=1
	v_clz_i32_u32_e32 v5, v9
	s_delay_alu instid0(VALU_DEP_1) | instskip(NEXT) | instid1(VALU_DEP_1)
	v_min_u32_e32 v5, 32, v5
	v_subrev_nc_u32_e32 v6, 28, v5
	v_sub_nc_u32_e32 v5, 29, v5
	s_delay_alu instid0(VALU_DEP_2) | instskip(NEXT) | instid1(VALU_DEP_1)
	v_lshlrev_b64 v[6:7], v6, v[9:10]
	v_and_b32_e32 v6, 7, v6
; %bb.2300:                             ;   in Loop: Header=BB462_1471 Depth=1
	s_or_b32 exec_lo, exec_lo, s15
	v_lshlrev_b32_e32 v7, 16, v2
	s_delay_alu instid0(VALU_DEP_2) | instskip(SKIP_1) | instid1(VALU_DEP_3)
	v_lshlrev_b32_e32 v6, 20, v6
	v_lshl_add_u32 v5, v5, 23, 0x3c000000
	v_and_b32_e32 v7, 0x80000000, v7
	s_delay_alu instid0(VALU_DEP_1)
	v_or3_b32 v5, v6, v7, v5
.LBB462_2301:                           ;   in Loop: Header=BB462_1471 Depth=1
	s_or_b32 exec_lo, exec_lo, s13
.LBB462_2302:                           ;   in Loop: Header=BB462_1471 Depth=1
	s_delay_alu instid0(SALU_CYCLE_1)
	s_or_b32 exec_lo, exec_lo, s12
.LBB462_2303:                           ;   in Loop: Header=BB462_1471 Depth=1
	s_delay_alu instid0(SALU_CYCLE_1) | instskip(NEXT) | instid1(VALU_DEP_1)
	s_or_b32 exec_lo, exec_lo, s9
	v_mul_f32_e32 v6, v26, v5
	s_delay_alu instid0(VALU_DEP_1) | instskip(NEXT) | instid1(VALU_DEP_1)
	v_and_b32_e32 v5, 0x7f800000, v6
	v_cmp_ne_u32_e64 s0, 0x7f800000, v5
                                        ; implicit-def: $vgpr5
	s_delay_alu instid0(VALU_DEP_1) | instskip(NEXT) | instid1(SALU_CYCLE_1)
	s_and_saveexec_b32 s9, s0
	s_xor_b32 s0, exec_lo, s9
; %bb.2304:                             ;   in Loop: Header=BB462_1471 Depth=1
	v_bfe_u32 v5, v6, 16, 1
	s_delay_alu instid0(VALU_DEP_1)
	v_add3_u32 v5, v6, v5, 0x7fff
                                        ; implicit-def: $vgpr6
; %bb.2305:                             ;   in Loop: Header=BB462_1471 Depth=1
	s_and_not1_saveexec_b32 s9, s0
; %bb.2306:                             ;   in Loop: Header=BB462_1471 Depth=1
	v_and_b32_e32 v5, 0xffff, v6
	v_or_b32_e32 v7, 0x10000, v6
	s_delay_alu instid0(VALU_DEP_2) | instskip(NEXT) | instid1(VALU_DEP_1)
	v_cmp_eq_u32_e64 s0, 0, v5
	v_cndmask_b32_e64 v5, v7, v6, s0
; %bb.2307:                             ;   in Loop: Header=BB462_1471 Depth=1
	s_or_b32 exec_lo, exec_lo, s9
	v_lshrrev_b32_e32 v23, 16, v2
	s_mov_b32 s9, exec_lo
	s_delay_alu instid0(VALU_DEP_1) | instskip(NEXT) | instid1(VALU_DEP_1)
	v_dual_mov_b32 v6, 0 :: v_dual_and_b32 v7, 0xff, v23
	v_cmpx_ne_u16_e32 0, v7
	s_cbranch_execz .LBB462_2315
; %bb.2308:                             ;   in Loop: Header=BB462_1471 Depth=1
	v_bfrev_b32_e32 v6, 1
	s_mov_b32 s12, exec_lo
	v_cmpx_ne_u16_e32 0x80, v7
	s_cbranch_execz .LBB462_2314
; %bb.2309:                             ;   in Loop: Header=BB462_1471 Depth=1
	v_bfe_u32 v7, v2, 16, 7
	v_mov_b32_e32 v6, 0x7f800001
	s_mov_b32 s13, exec_lo
	s_delay_alu instid0(VALU_DEP_2)
	v_cmpx_ne_u32_e32 0x7f, v7
	s_cbranch_execz .LBB462_2313
; %bb.2310:                             ;   in Loop: Header=BB462_1471 Depth=1
	v_and_b32_e32 v9, 7, v23
	v_lshrrev_b32_e32 v34, 3, v7
	v_cmp_gt_u32_e64 s0, 8, v7
	s_delay_alu instid0(VALU_DEP_3) | instskip(NEXT) | instid1(VALU_DEP_2)
	v_dual_mov_b32 v6, v9 :: v_dual_mov_b32 v7, v10
	s_and_saveexec_b32 s15, s0
; %bb.2311:                             ;   in Loop: Header=BB462_1471 Depth=1
	v_clz_i32_u32_e32 v6, v9
	s_delay_alu instid0(VALU_DEP_1) | instskip(NEXT) | instid1(VALU_DEP_1)
	v_min_u32_e32 v34, 32, v6
	v_subrev_nc_u32_e32 v6, 28, v34
	v_sub_nc_u32_e32 v34, 29, v34
	s_delay_alu instid0(VALU_DEP_2) | instskip(NEXT) | instid1(VALU_DEP_1)
	v_lshlrev_b64 v[6:7], v6, v[9:10]
	v_and_b32_e32 v6, 7, v6
; %bb.2312:                             ;   in Loop: Header=BB462_1471 Depth=1
	s_or_b32 exec_lo, exec_lo, s15
	v_lshlrev_b32_e32 v7, 24, v23
	s_delay_alu instid0(VALU_DEP_2) | instskip(SKIP_1) | instid1(VALU_DEP_3)
	v_lshlrev_b32_e32 v6, 20, v6
	v_lshl_add_u32 v9, v34, 23, 0x3c000000
	v_and_b32_e32 v7, 0x80000000, v7
	s_delay_alu instid0(VALU_DEP_1)
	v_or3_b32 v6, v6, v7, v9
.LBB462_2313:                           ;   in Loop: Header=BB462_1471 Depth=1
	s_or_b32 exec_lo, exec_lo, s13
.LBB462_2314:                           ;   in Loop: Header=BB462_1471 Depth=1
	s_delay_alu instid0(SALU_CYCLE_1)
	s_or_b32 exec_lo, exec_lo, s12
.LBB462_2315:                           ;   in Loop: Header=BB462_1471 Depth=1
	s_delay_alu instid0(SALU_CYCLE_1) | instskip(NEXT) | instid1(VALU_DEP_1)
	s_or_b32 exec_lo, exec_lo, s9
	v_mul_f32_e32 v6, v26, v6
                                        ; implicit-def: $vgpr23
	s_delay_alu instid0(VALU_DEP_1) | instskip(NEXT) | instid1(VALU_DEP_1)
	v_and_b32_e32 v7, 0x7f800000, v6
	v_cmp_ne_u32_e64 s0, 0x7f800000, v7
	s_delay_alu instid0(VALU_DEP_1) | instskip(NEXT) | instid1(SALU_CYCLE_1)
	s_and_saveexec_b32 s9, s0
	s_xor_b32 s0, exec_lo, s9
; %bb.2316:                             ;   in Loop: Header=BB462_1471 Depth=1
	v_bfe_u32 v7, v6, 16, 1
	s_delay_alu instid0(VALU_DEP_1)
	v_add3_u32 v23, v6, v7, 0x7fff
                                        ; implicit-def: $vgpr6
; %bb.2317:                             ;   in Loop: Header=BB462_1471 Depth=1
	s_and_not1_saveexec_b32 s9, s0
; %bb.2318:                             ;   in Loop: Header=BB462_1471 Depth=1
	v_and_b32_e32 v7, 0xffff, v6
	v_or_b32_e32 v9, 0x10000, v6
	s_delay_alu instid0(VALU_DEP_2) | instskip(NEXT) | instid1(VALU_DEP_1)
	v_cmp_eq_u32_e64 s0, 0, v7
	v_cndmask_b32_e64 v23, v9, v6, s0
; %bb.2319:                             ;   in Loop: Header=BB462_1471 Depth=1
	s_or_b32 exec_lo, exec_lo, s9
	v_mov_b32_e32 v6, 0
	s_mov_b32 s9, exec_lo
	v_cmpx_lt_u32_e32 0xffffff, v2
	s_cbranch_execz .LBB462_2327
; %bb.2320:                             ;   in Loop: Header=BB462_1471 Depth=1
	v_lshrrev_b32_e32 v34, 24, v2
	v_bfrev_b32_e32 v6, 1
	s_mov_b32 s12, exec_lo
	s_delay_alu instid0(VALU_DEP_2)
	v_cmpx_ne_u32_e32 0x80, v34
	s_cbranch_execz .LBB462_2326
; %bb.2321:                             ;   in Loop: Header=BB462_1471 Depth=1
	v_bfe_u32 v7, v2, 24, 7
	v_mov_b32_e32 v6, 0x7f800001
	s_mov_b32 s13, exec_lo
	s_delay_alu instid0(VALU_DEP_2)
	v_cmpx_ne_u32_e32 0x7f, v7
	s_cbranch_execz .LBB462_2325
; %bb.2322:                             ;   in Loop: Header=BB462_1471 Depth=1
	v_and_b32_e32 v9, 7, v34
	v_lshrrev_b32_e32 v35, 3, v7
	v_cmp_gt_u32_e64 s0, 8, v7
	s_delay_alu instid0(VALU_DEP_3) | instskip(NEXT) | instid1(VALU_DEP_2)
	v_dual_mov_b32 v6, v9 :: v_dual_mov_b32 v7, v10
	s_and_saveexec_b32 s15, s0
; %bb.2323:                             ;   in Loop: Header=BB462_1471 Depth=1
	v_clz_i32_u32_e32 v6, v9
	s_delay_alu instid0(VALU_DEP_1) | instskip(NEXT) | instid1(VALU_DEP_1)
	v_min_u32_e32 v35, 32, v6
	v_subrev_nc_u32_e32 v6, 28, v35
	v_sub_nc_u32_e32 v35, 29, v35
	s_delay_alu instid0(VALU_DEP_2) | instskip(NEXT) | instid1(VALU_DEP_1)
	v_lshlrev_b64 v[6:7], v6, v[9:10]
	v_and_b32_e32 v6, 7, v6
; %bb.2324:                             ;   in Loop: Header=BB462_1471 Depth=1
	s_or_b32 exec_lo, exec_lo, s15
	v_lshlrev_b32_e32 v7, 24, v34
	s_delay_alu instid0(VALU_DEP_2) | instskip(SKIP_1) | instid1(VALU_DEP_3)
	v_lshlrev_b32_e32 v6, 20, v6
	v_lshl_add_u32 v9, v35, 23, 0x3c000000
	v_and_b32_e32 v7, 0x80000000, v7
	s_delay_alu instid0(VALU_DEP_1)
	v_or3_b32 v6, v6, v7, v9
.LBB462_2325:                           ;   in Loop: Header=BB462_1471 Depth=1
	s_or_b32 exec_lo, exec_lo, s13
.LBB462_2326:                           ;   in Loop: Header=BB462_1471 Depth=1
	s_delay_alu instid0(SALU_CYCLE_1)
	s_or_b32 exec_lo, exec_lo, s12
.LBB462_2327:                           ;   in Loop: Header=BB462_1471 Depth=1
	s_delay_alu instid0(SALU_CYCLE_1) | instskip(NEXT) | instid1(VALU_DEP_1)
	s_or_b32 exec_lo, exec_lo, s9
	v_mul_f32_e32 v6, v26, v6
                                        ; implicit-def: $vgpr34
	s_delay_alu instid0(VALU_DEP_1) | instskip(NEXT) | instid1(VALU_DEP_1)
	v_and_b32_e32 v7, 0x7f800000, v6
	v_cmp_ne_u32_e64 s0, 0x7f800000, v7
	s_delay_alu instid0(VALU_DEP_1) | instskip(NEXT) | instid1(SALU_CYCLE_1)
	s_and_saveexec_b32 s9, s0
	s_xor_b32 s0, exec_lo, s9
; %bb.2328:                             ;   in Loop: Header=BB462_1471 Depth=1
	v_bfe_u32 v7, v6, 16, 1
	s_delay_alu instid0(VALU_DEP_1)
	v_add3_u32 v34, v6, v7, 0x7fff
                                        ; implicit-def: $vgpr6
; %bb.2329:                             ;   in Loop: Header=BB462_1471 Depth=1
	s_and_not1_saveexec_b32 s9, s0
; %bb.2330:                             ;   in Loop: Header=BB462_1471 Depth=1
	v_and_b32_e32 v7, 0xffff, v6
	v_or_b32_e32 v9, 0x10000, v6
	s_delay_alu instid0(VALU_DEP_2) | instskip(NEXT) | instid1(VALU_DEP_1)
	v_cmp_eq_u32_e64 s0, 0, v7
	v_cndmask_b32_e64 v34, v9, v6, s0
; %bb.2331:                             ;   in Loop: Header=BB462_1471 Depth=1
	s_or_b32 exec_lo, exec_lo, s9
	v_dual_mov_b32 v6, 0 :: v_dual_and_b32 v7, 0xff, v3
	v_mov_b32_e32 v9, v3
	s_mov_b32 s9, exec_lo
	s_delay_alu instid0(VALU_DEP_2)
	v_cmpx_ne_u16_e32 0, v7
	s_cbranch_execz .LBB462_2339
; %bb.2332:                             ;   in Loop: Header=BB462_1471 Depth=1
	v_bfrev_b32_e32 v6, 1
	s_mov_b32 s12, exec_lo
	v_cmpx_ne_u16_e32 0x80, v7
	s_cbranch_execz .LBB462_2338
; %bb.2333:                             ;   in Loop: Header=BB462_1471 Depth=1
	v_and_b32_e32 v7, 0x7f, v3
	v_mov_b32_e32 v6, 0x7f800001
	s_mov_b32 s13, exec_lo
	s_delay_alu instid0(VALU_DEP_2)
	v_cmpx_ne_u32_e32 0x7f, v7
	s_cbranch_execz .LBB462_2337
; %bb.2334:                             ;   in Loop: Header=BB462_1471 Depth=1
	v_lshrrev_b32_e32 v35, 3, v7
	v_cmp_gt_u32_e64 s0, 8, v7
	v_dual_mov_b32 v6, v9 :: v_dual_mov_b32 v7, v10
	s_delay_alu instid0(VALU_DEP_2)
	s_and_saveexec_b32 s15, s0
; %bb.2335:                             ;   in Loop: Header=BB462_1471 Depth=1
	v_and_b32_e32 v6, 7, v3
	s_delay_alu instid0(VALU_DEP_1) | instskip(NEXT) | instid1(VALU_DEP_1)
	v_clz_i32_u32_e32 v6, v6
	v_min_u32_e32 v35, 32, v6
	s_delay_alu instid0(VALU_DEP_1) | instskip(SKIP_1) | instid1(VALU_DEP_2)
	v_subrev_nc_u32_e32 v6, 28, v35
	v_sub_nc_u32_e32 v35, 29, v35
	v_lshlrev_b64 v[6:7], v6, v[9:10]
; %bb.2336:                             ;   in Loop: Header=BB462_1471 Depth=1
	s_or_b32 exec_lo, exec_lo, s15
	s_delay_alu instid0(VALU_DEP_1) | instskip(SKIP_2) | instid1(VALU_DEP_3)
	v_lshlrev_b32_e32 v6, 20, v6
	v_lshlrev_b32_e32 v7, 24, v9
	v_lshl_add_u32 v35, v35, 23, 0x3c000000
	v_and_b32_e32 v6, 0x700000, v6
	s_delay_alu instid0(VALU_DEP_3) | instskip(NEXT) | instid1(VALU_DEP_1)
	v_and_b32_e32 v7, 0x80000000, v7
	v_or3_b32 v6, v6, v7, v35
.LBB462_2337:                           ;   in Loop: Header=BB462_1471 Depth=1
	s_or_b32 exec_lo, exec_lo, s13
.LBB462_2338:                           ;   in Loop: Header=BB462_1471 Depth=1
	s_delay_alu instid0(SALU_CYCLE_1)
	s_or_b32 exec_lo, exec_lo, s12
.LBB462_2339:                           ;   in Loop: Header=BB462_1471 Depth=1
	s_delay_alu instid0(SALU_CYCLE_1) | instskip(NEXT) | instid1(VALU_DEP_1)
	s_or_b32 exec_lo, exec_lo, s9
	v_mul_f32_e32 v6, v26, v6
                                        ; implicit-def: $vgpr35
	s_delay_alu instid0(VALU_DEP_1) | instskip(NEXT) | instid1(VALU_DEP_1)
	v_and_b32_e32 v7, 0x7f800000, v6
	v_cmp_ne_u32_e64 s0, 0x7f800000, v7
	s_delay_alu instid0(VALU_DEP_1) | instskip(NEXT) | instid1(SALU_CYCLE_1)
	s_and_saveexec_b32 s9, s0
	s_xor_b32 s0, exec_lo, s9
; %bb.2340:                             ;   in Loop: Header=BB462_1471 Depth=1
	v_bfe_u32 v7, v6, 16, 1
	s_delay_alu instid0(VALU_DEP_1)
	v_add3_u32 v35, v6, v7, 0x7fff
                                        ; implicit-def: $vgpr6
; %bb.2341:                             ;   in Loop: Header=BB462_1471 Depth=1
	s_and_not1_saveexec_b32 s9, s0
; %bb.2342:                             ;   in Loop: Header=BB462_1471 Depth=1
	v_and_b32_e32 v7, 0xffff, v6
	v_or_b32_e32 v35, 0x10000, v6
	s_delay_alu instid0(VALU_DEP_2) | instskip(NEXT) | instid1(VALU_DEP_1)
	v_cmp_eq_u32_e64 s0, 0, v7
	v_cndmask_b32_e64 v35, v35, v6, s0
; %bb.2343:                             ;   in Loop: Header=BB462_1471 Depth=1
	s_or_b32 exec_lo, exec_lo, s9
	v_lshrrev_b16 v7, 8, v9
	v_mov_b32_e32 v6, 0
	s_mov_b32 s9, exec_lo
	s_delay_alu instid0(VALU_DEP_2)
	v_cmpx_ne_u16_e32 0, v7
	s_cbranch_execz .LBB462_2351
; %bb.2344:                             ;   in Loop: Header=BB462_1471 Depth=1
	v_bfrev_b32_e32 v6, 1
	s_mov_b32 s12, exec_lo
	v_cmpx_ne_u16_e32 0x80, v7
	s_cbranch_execz .LBB462_2350
; %bb.2345:                             ;   in Loop: Header=BB462_1471 Depth=1
	v_and_b32_e32 v7, 0xffff, v7
	v_mov_b32_e32 v6, 0x7f800001
	s_mov_b32 s13, exec_lo
	s_delay_alu instid0(VALU_DEP_2) | instskip(NEXT) | instid1(VALU_DEP_1)
	v_and_b32_e32 v179, 0x7f, v7
	v_cmpx_ne_u32_e32 0x7f, v179
	s_cbranch_execz .LBB462_2349
; %bb.2346:                             ;   in Loop: Header=BB462_1471 Depth=1
	v_dual_mov_b32 v7, v10 :: v_dual_and_b32 v6, 7, v7
	v_lshrrev_b32_e32 v178, 3, v179
	s_mov_b32 s15, exec_lo
	v_cmpx_gt_u32_e32 8, v179
; %bb.2347:                             ;   in Loop: Header=BB462_1471 Depth=1
	s_delay_alu instid0(VALU_DEP_3) | instskip(NEXT) | instid1(VALU_DEP_1)
	v_clz_i32_u32_e32 v178, v6
	v_min_u32_e32 v178, 32, v178
	s_delay_alu instid0(VALU_DEP_1) | instskip(SKIP_1) | instid1(VALU_DEP_2)
	v_subrev_nc_u32_e32 v179, 28, v178
	v_sub_nc_u32_e32 v178, 29, v178
	v_lshlrev_b64 v[6:7], v179, v[6:7]
	s_delay_alu instid0(VALU_DEP_1)
	v_and_b32_e32 v6, 7, v6
; %bb.2348:                             ;   in Loop: Header=BB462_1471 Depth=1
	s_or_b32 exec_lo, exec_lo, s15
	v_lshlrev_b32_e32 v7, 16, v9
	s_delay_alu instid0(VALU_DEP_2) | instskip(SKIP_1) | instid1(VALU_DEP_3)
	v_lshlrev_b32_e32 v6, 20, v6
	v_lshl_add_u32 v9, v178, 23, 0x3c000000
	v_and_b32_e32 v7, 0x80000000, v7
	s_delay_alu instid0(VALU_DEP_1)
	v_or3_b32 v6, v6, v7, v9
.LBB462_2349:                           ;   in Loop: Header=BB462_1471 Depth=1
	s_or_b32 exec_lo, exec_lo, s13
.LBB462_2350:                           ;   in Loop: Header=BB462_1471 Depth=1
	s_delay_alu instid0(SALU_CYCLE_1)
	s_or_b32 exec_lo, exec_lo, s12
.LBB462_2351:                           ;   in Loop: Header=BB462_1471 Depth=1
	s_delay_alu instid0(SALU_CYCLE_1) | instskip(NEXT) | instid1(VALU_DEP_1)
	s_or_b32 exec_lo, exec_lo, s9
	v_mul_f32_e32 v6, v26, v6
                                        ; implicit-def: $vgpr178
	s_delay_alu instid0(VALU_DEP_1) | instskip(NEXT) | instid1(VALU_DEP_1)
	v_and_b32_e32 v7, 0x7f800000, v6
	v_cmp_ne_u32_e64 s0, 0x7f800000, v7
	s_delay_alu instid0(VALU_DEP_1) | instskip(NEXT) | instid1(SALU_CYCLE_1)
	s_and_saveexec_b32 s9, s0
	s_xor_b32 s0, exec_lo, s9
; %bb.2352:                             ;   in Loop: Header=BB462_1471 Depth=1
	v_bfe_u32 v7, v6, 16, 1
	s_delay_alu instid0(VALU_DEP_1)
	v_add3_u32 v178, v6, v7, 0x7fff
                                        ; implicit-def: $vgpr6
; %bb.2353:                             ;   in Loop: Header=BB462_1471 Depth=1
	s_and_not1_saveexec_b32 s9, s0
; %bb.2354:                             ;   in Loop: Header=BB462_1471 Depth=1
	v_and_b32_e32 v7, 0xffff, v6
	v_or_b32_e32 v9, 0x10000, v6
	s_delay_alu instid0(VALU_DEP_2) | instskip(NEXT) | instid1(VALU_DEP_1)
	v_cmp_eq_u32_e64 s0, 0, v7
	v_cndmask_b32_e64 v178, v9, v6, s0
; %bb.2355:                             ;   in Loop: Header=BB462_1471 Depth=1
	s_or_b32 exec_lo, exec_lo, s9
	v_lshrrev_b32_e32 v179, 16, v3
	s_mov_b32 s9, exec_lo
	s_delay_alu instid0(VALU_DEP_1) | instskip(NEXT) | instid1(VALU_DEP_1)
	v_dual_mov_b32 v6, 0 :: v_dual_and_b32 v7, 0xff, v179
	v_cmpx_ne_u16_e32 0, v7
	s_cbranch_execz .LBB462_2363
; %bb.2356:                             ;   in Loop: Header=BB462_1471 Depth=1
	v_bfrev_b32_e32 v6, 1
	s_mov_b32 s12, exec_lo
	v_cmpx_ne_u16_e32 0x80, v7
	s_cbranch_execz .LBB462_2362
; %bb.2357:                             ;   in Loop: Header=BB462_1471 Depth=1
	v_bfe_u32 v7, v3, 16, 7
	v_mov_b32_e32 v6, 0x7f800001
	s_mov_b32 s13, exec_lo
	s_delay_alu instid0(VALU_DEP_2)
	v_cmpx_ne_u32_e32 0x7f, v7
	s_cbranch_execz .LBB462_2361
; %bb.2358:                             ;   in Loop: Header=BB462_1471 Depth=1
	v_and_b32_e32 v9, 7, v179
	v_lshrrev_b32_e32 v180, 3, v7
	v_cmp_gt_u32_e64 s0, 8, v7
	s_delay_alu instid0(VALU_DEP_3) | instskip(NEXT) | instid1(VALU_DEP_2)
	v_dual_mov_b32 v6, v9 :: v_dual_mov_b32 v7, v10
	s_and_saveexec_b32 s15, s0
; %bb.2359:                             ;   in Loop: Header=BB462_1471 Depth=1
	v_clz_i32_u32_e32 v6, v9
	s_delay_alu instid0(VALU_DEP_1) | instskip(NEXT) | instid1(VALU_DEP_1)
	v_min_u32_e32 v180, 32, v6
	v_subrev_nc_u32_e32 v6, 28, v180
	v_sub_nc_u32_e32 v180, 29, v180
	s_delay_alu instid0(VALU_DEP_2) | instskip(NEXT) | instid1(VALU_DEP_1)
	v_lshlrev_b64 v[6:7], v6, v[9:10]
	v_and_b32_e32 v6, 7, v6
; %bb.2360:                             ;   in Loop: Header=BB462_1471 Depth=1
	s_or_b32 exec_lo, exec_lo, s15
	v_lshlrev_b32_e32 v7, 24, v179
	s_delay_alu instid0(VALU_DEP_2) | instskip(SKIP_1) | instid1(VALU_DEP_3)
	v_lshlrev_b32_e32 v6, 20, v6
	v_lshl_add_u32 v9, v180, 23, 0x3c000000
	v_and_b32_e32 v7, 0x80000000, v7
	s_delay_alu instid0(VALU_DEP_1)
	v_or3_b32 v6, v6, v7, v9
.LBB462_2361:                           ;   in Loop: Header=BB462_1471 Depth=1
	s_or_b32 exec_lo, exec_lo, s13
.LBB462_2362:                           ;   in Loop: Header=BB462_1471 Depth=1
	s_delay_alu instid0(SALU_CYCLE_1)
	s_or_b32 exec_lo, exec_lo, s12
.LBB462_2363:                           ;   in Loop: Header=BB462_1471 Depth=1
	s_delay_alu instid0(SALU_CYCLE_1) | instskip(NEXT) | instid1(VALU_DEP_1)
	s_or_b32 exec_lo, exec_lo, s9
	v_mul_f32_e32 v6, v26, v6
                                        ; implicit-def: $vgpr179
	s_delay_alu instid0(VALU_DEP_1) | instskip(NEXT) | instid1(VALU_DEP_1)
	v_and_b32_e32 v7, 0x7f800000, v6
	v_cmp_ne_u32_e64 s0, 0x7f800000, v7
	s_delay_alu instid0(VALU_DEP_1) | instskip(NEXT) | instid1(SALU_CYCLE_1)
	s_and_saveexec_b32 s9, s0
	s_xor_b32 s0, exec_lo, s9
; %bb.2364:                             ;   in Loop: Header=BB462_1471 Depth=1
	v_bfe_u32 v7, v6, 16, 1
	s_delay_alu instid0(VALU_DEP_1)
	v_add3_u32 v179, v6, v7, 0x7fff
                                        ; implicit-def: $vgpr6
; %bb.2365:                             ;   in Loop: Header=BB462_1471 Depth=1
	s_and_not1_saveexec_b32 s9, s0
; %bb.2366:                             ;   in Loop: Header=BB462_1471 Depth=1
	v_and_b32_e32 v7, 0xffff, v6
	v_or_b32_e32 v9, 0x10000, v6
	s_delay_alu instid0(VALU_DEP_2) | instskip(NEXT) | instid1(VALU_DEP_1)
	v_cmp_eq_u32_e64 s0, 0, v7
	v_cndmask_b32_e64 v179, v9, v6, s0
; %bb.2367:                             ;   in Loop: Header=BB462_1471 Depth=1
	s_or_b32 exec_lo, exec_lo, s9
	v_cmp_lt_u64_e64 s0, s[2:3], v[2:3]
	v_mov_b32_e32 v2, 0
	s_delay_alu instid0(VALU_DEP_2)
	s_and_saveexec_b32 s9, s0
	s_cbranch_execz .LBB462_2375
; %bb.2368:                             ;   in Loop: Header=BB462_1471 Depth=1
	v_lshrrev_b32_e32 v6, 24, v3
	v_bfrev_b32_e32 v2, 1
	s_mov_b32 s12, exec_lo
	s_delay_alu instid0(VALU_DEP_2)
	v_cmpx_ne_u32_e32 0x80, v6
	s_cbranch_execz .LBB462_2374
; %bb.2369:                             ;   in Loop: Header=BB462_1471 Depth=1
	v_bfe_u32 v3, v3, 24, 7
	v_mov_b32_e32 v2, 0x7f800001
	s_mov_b32 s13, exec_lo
	s_delay_alu instid0(VALU_DEP_2)
	v_cmpx_ne_u32_e32 0x7f, v3
	s_cbranch_execz .LBB462_2373
; %bb.2370:                             ;   in Loop: Header=BB462_1471 Depth=1
	v_and_b32_e32 v9, 7, v6
	v_lshrrev_b32_e32 v7, 3, v3
	v_cmp_gt_u32_e64 s0, 8, v3
	s_delay_alu instid0(VALU_DEP_3) | instskip(NEXT) | instid1(VALU_DEP_2)
	v_dual_mov_b32 v2, v9 :: v_dual_mov_b32 v3, v10
	s_and_saveexec_b32 s15, s0
; %bb.2371:                             ;   in Loop: Header=BB462_1471 Depth=1
	v_clz_i32_u32_e32 v2, v9
	s_delay_alu instid0(VALU_DEP_1) | instskip(NEXT) | instid1(VALU_DEP_1)
	v_min_u32_e32 v7, 32, v2
	v_subrev_nc_u32_e32 v2, 28, v7
	v_sub_nc_u32_e32 v7, 29, v7
	s_delay_alu instid0(VALU_DEP_2) | instskip(NEXT) | instid1(VALU_DEP_1)
	v_lshlrev_b64 v[2:3], v2, v[9:10]
	v_and_b32_e32 v2, 7, v2
; %bb.2372:                             ;   in Loop: Header=BB462_1471 Depth=1
	s_or_b32 exec_lo, exec_lo, s15
	v_lshlrev_b32_e32 v3, 24, v6
	s_delay_alu instid0(VALU_DEP_2) | instskip(SKIP_1) | instid1(VALU_DEP_3)
	v_lshlrev_b32_e32 v2, 20, v2
	v_lshl_add_u32 v6, v7, 23, 0x3c000000
	v_and_b32_e32 v3, 0x80000000, v3
	s_delay_alu instid0(VALU_DEP_1)
	v_or3_b32 v2, v2, v3, v6
.LBB462_2373:                           ;   in Loop: Header=BB462_1471 Depth=1
	s_or_b32 exec_lo, exec_lo, s13
.LBB462_2374:                           ;   in Loop: Header=BB462_1471 Depth=1
	s_delay_alu instid0(SALU_CYCLE_1)
	s_or_b32 exec_lo, exec_lo, s12
.LBB462_2375:                           ;   in Loop: Header=BB462_1471 Depth=1
	s_delay_alu instid0(SALU_CYCLE_1) | instskip(NEXT) | instid1(VALU_DEP_1)
	s_or_b32 exec_lo, exec_lo, s9
	v_mul_f32_e32 v3, v26, v2
	s_delay_alu instid0(VALU_DEP_1) | instskip(NEXT) | instid1(VALU_DEP_1)
	v_and_b32_e32 v2, 0x7f800000, v3
	v_cmp_ne_u32_e64 s0, 0x7f800000, v2
                                        ; implicit-def: $vgpr2
	s_delay_alu instid0(VALU_DEP_1) | instskip(NEXT) | instid1(SALU_CYCLE_1)
	s_and_saveexec_b32 s9, s0
	s_xor_b32 s0, exec_lo, s9
; %bb.2376:                             ;   in Loop: Header=BB462_1471 Depth=1
	v_bfe_u32 v2, v3, 16, 1
	s_delay_alu instid0(VALU_DEP_1)
	v_add3_u32 v2, v3, v2, 0x7fff
                                        ; implicit-def: $vgpr3
; %bb.2377:                             ;   in Loop: Header=BB462_1471 Depth=1
	s_and_not1_saveexec_b32 s9, s0
; %bb.2378:                             ;   in Loop: Header=BB462_1471 Depth=1
	v_and_b32_e32 v2, 0xffff, v3
	v_or_b32_e32 v6, 0x10000, v3
	s_delay_alu instid0(VALU_DEP_2) | instskip(NEXT) | instid1(VALU_DEP_1)
	v_cmp_eq_u32_e64 s0, 0, v2
	v_cndmask_b32_e64 v2, v6, v3, s0
; %bb.2379:                             ;   in Loop: Header=BB462_1471 Depth=1
	s_or_b32 exec_lo, exec_lo, s9
	v_lshrrev_b32_e32 v6, 16, v178
	v_lshrrev_b32_e32 v7, 16, v35
	;; [unrolled: 1-line block ×8, first 2 shown]
	s_and_saveexec_b32 s9, vcc_lo
	s_cbranch_execz .LBB462_2381
; %bb.2380:                             ;   in Loop: Header=BB462_1471 Depth=1
	v_cmp_lt_i32_e64 s0, v67, v36
	s_delay_alu instid0(VALU_DEP_1) | instskip(SKIP_1) | instid1(VALU_DEP_1)
	v_cndmask_b32_e64 v4, 0, v4, s0
	v_cmp_lt_i32_e64 s0, v81, v36
	v_cndmask_b32_e64 v5, 0, v5, s0
	v_cmp_lt_i32_e64 s0, v80, v36
	s_delay_alu instid0(VALU_DEP_1) | instskip(SKIP_1) | instid1(VALU_DEP_1)
	v_cndmask_b32_e64 v23, 0, v23, s0
	v_cmp_lt_i32_e64 s0, v71, v36
	v_cndmask_b32_e64 v9, 0, v9, s0
	;; [unrolled: 5-line block ×4, first 2 shown]
.LBB462_2381:                           ;   in Loop: Header=BB462_1471 Depth=1
	s_or_b32 exec_lo, exec_lo, s9
	v_lshlrev_b32_e32 v4, 16, v4
	s_delay_alu instid0(VALU_DEP_1) | instskip(NEXT) | instid1(VALU_DEP_1)
	v_mul_f32_e32 v34, v82, v4
	v_and_b32_e32 v4, 0x7f800000, v34
	s_delay_alu instid0(VALU_DEP_1) | instskip(NEXT) | instid1(VALU_DEP_1)
	v_cmp_ne_u32_e64 s0, 0x7f800000, v4
                                        ; implicit-def: $vgpr4
	s_and_saveexec_b32 s9, s0
	s_delay_alu instid0(SALU_CYCLE_1)
	s_xor_b32 s0, exec_lo, s9
; %bb.2382:                             ;   in Loop: Header=BB462_1471 Depth=1
	v_bfe_u32 v4, v34, 16, 1
	s_delay_alu instid0(VALU_DEP_1)
	v_add3_u32 v4, v34, v4, 0x7fff
                                        ; implicit-def: $vgpr34
; %bb.2383:                             ;   in Loop: Header=BB462_1471 Depth=1
	s_and_not1_saveexec_b32 s9, s0
; %bb.2384:                             ;   in Loop: Header=BB462_1471 Depth=1
	v_and_b32_e32 v4, 0xffff, v34
	v_or_b32_e32 v35, 0x10000, v34
	s_delay_alu instid0(VALU_DEP_2) | instskip(NEXT) | instid1(VALU_DEP_1)
	v_cmp_eq_u32_e64 s0, 0, v4
	v_cndmask_b32_e64 v4, v35, v34, s0
; %bb.2385:                             ;   in Loop: Header=BB462_1471 Depth=1
	s_or_b32 exec_lo, exec_lo, s9
	v_lshlrev_b32_e32 v5, 16, v5
	s_delay_alu instid0(VALU_DEP_1) | instskip(NEXT) | instid1(VALU_DEP_1)
	v_mul_f32_e32 v34, v83, v5
	v_and_b32_e32 v5, 0x7f800000, v34
	s_delay_alu instid0(VALU_DEP_1) | instskip(NEXT) | instid1(VALU_DEP_1)
	v_cmp_ne_u32_e64 s0, 0x7f800000, v5
                                        ; implicit-def: $vgpr5
	s_and_saveexec_b32 s9, s0
	s_delay_alu instid0(SALU_CYCLE_1)
	s_xor_b32 s0, exec_lo, s9
; %bb.2386:                             ;   in Loop: Header=BB462_1471 Depth=1
	v_bfe_u32 v5, v34, 16, 1
	s_delay_alu instid0(VALU_DEP_1)
	v_add3_u32 v5, v34, v5, 0x7fff
                                        ; implicit-def: $vgpr34
; %bb.2387:                             ;   in Loop: Header=BB462_1471 Depth=1
	s_and_not1_saveexec_b32 s9, s0
; %bb.2388:                             ;   in Loop: Header=BB462_1471 Depth=1
	v_and_b32_e32 v5, 0xffff, v34
	v_or_b32_e32 v35, 0x10000, v34
	s_delay_alu instid0(VALU_DEP_2) | instskip(NEXT) | instid1(VALU_DEP_1)
	v_cmp_eq_u32_e64 s0, 0, v5
	v_cndmask_b32_e64 v5, v35, v34, s0
; %bb.2389:                             ;   in Loop: Header=BB462_1471 Depth=1
	s_or_b32 exec_lo, exec_lo, s9
	v_lshlrev_b32_e32 v23, 16, v23
	s_delay_alu instid0(VALU_DEP_1) | instskip(NEXT) | instid1(VALU_DEP_1)
	v_mul_f32_e32 v34, v84, v23
	v_and_b32_e32 v23, 0x7f800000, v34
	s_delay_alu instid0(VALU_DEP_1) | instskip(NEXT) | instid1(VALU_DEP_1)
	v_cmp_ne_u32_e64 s0, 0x7f800000, v23
                                        ; implicit-def: $vgpr23
	s_and_saveexec_b32 s9, s0
	s_delay_alu instid0(SALU_CYCLE_1)
	s_xor_b32 s0, exec_lo, s9
; %bb.2390:                             ;   in Loop: Header=BB462_1471 Depth=1
	v_bfe_u32 v23, v34, 16, 1
	s_delay_alu instid0(VALU_DEP_1)
	v_add3_u32 v23, v34, v23, 0x7fff
                                        ; implicit-def: $vgpr34
; %bb.2391:                             ;   in Loop: Header=BB462_1471 Depth=1
	s_and_not1_saveexec_b32 s9, s0
; %bb.2392:                             ;   in Loop: Header=BB462_1471 Depth=1
	v_and_b32_e32 v23, 0xffff, v34
	v_or_b32_e32 v35, 0x10000, v34
	s_delay_alu instid0(VALU_DEP_2) | instskip(NEXT) | instid1(VALU_DEP_1)
	v_cmp_eq_u32_e64 s0, 0, v23
	v_cndmask_b32_e64 v23, v35, v34, s0
; %bb.2393:                             ;   in Loop: Header=BB462_1471 Depth=1
	s_or_b32 exec_lo, exec_lo, s9
	v_lshlrev_b32_e32 v9, 16, v9
                                        ; implicit-def: $vgpr35
	s_delay_alu instid0(VALU_DEP_1) | instskip(NEXT) | instid1(VALU_DEP_1)
	v_mul_f32_e32 v9, v85, v9
	v_and_b32_e32 v34, 0x7f800000, v9
	s_delay_alu instid0(VALU_DEP_1) | instskip(NEXT) | instid1(VALU_DEP_1)
	v_cmp_ne_u32_e64 s0, 0x7f800000, v34
	s_and_saveexec_b32 s9, s0
	s_delay_alu instid0(SALU_CYCLE_1)
	s_xor_b32 s0, exec_lo, s9
; %bb.2394:                             ;   in Loop: Header=BB462_1471 Depth=1
	v_bfe_u32 v34, v9, 16, 1
	s_delay_alu instid0(VALU_DEP_1)
	v_add3_u32 v35, v9, v34, 0x7fff
                                        ; implicit-def: $vgpr9
; %bb.2395:                             ;   in Loop: Header=BB462_1471 Depth=1
	s_and_not1_saveexec_b32 s9, s0
; %bb.2396:                             ;   in Loop: Header=BB462_1471 Depth=1
	v_and_b32_e32 v34, 0xffff, v9
	v_or_b32_e32 v35, 0x10000, v9
	s_delay_alu instid0(VALU_DEP_2) | instskip(NEXT) | instid1(VALU_DEP_1)
	v_cmp_eq_u32_e64 s0, 0, v34
	v_cndmask_b32_e64 v35, v35, v9, s0
; %bb.2397:                             ;   in Loop: Header=BB462_1471 Depth=1
	s_or_b32 exec_lo, exec_lo, s9
	v_lshlrev_b32_e32 v7, 16, v7
                                        ; implicit-def: $vgpr178
	s_delay_alu instid0(VALU_DEP_1) | instskip(NEXT) | instid1(VALU_DEP_1)
	v_mul_f32_e32 v7, v86, v7
	v_and_b32_e32 v9, 0x7f800000, v7
	s_delay_alu instid0(VALU_DEP_1) | instskip(NEXT) | instid1(VALU_DEP_1)
	v_cmp_ne_u32_e64 s0, 0x7f800000, v9
	s_and_saveexec_b32 s9, s0
	s_delay_alu instid0(SALU_CYCLE_1)
	s_xor_b32 s0, exec_lo, s9
; %bb.2398:                             ;   in Loop: Header=BB462_1471 Depth=1
	v_bfe_u32 v9, v7, 16, 1
	s_delay_alu instid0(VALU_DEP_1)
	v_add3_u32 v178, v7, v9, 0x7fff
                                        ; implicit-def: $vgpr7
; %bb.2399:                             ;   in Loop: Header=BB462_1471 Depth=1
	s_and_not1_saveexec_b32 s9, s0
; %bb.2400:                             ;   in Loop: Header=BB462_1471 Depth=1
	v_and_b32_e32 v9, 0xffff, v7
	v_or_b32_e32 v34, 0x10000, v7
	s_delay_alu instid0(VALU_DEP_2) | instskip(NEXT) | instid1(VALU_DEP_1)
	v_cmp_eq_u32_e64 s0, 0, v9
	v_cndmask_b32_e64 v178, v34, v7, s0
; %bb.2401:                             ;   in Loop: Header=BB462_1471 Depth=1
	s_or_b32 exec_lo, exec_lo, s9
	v_lshlrev_b32_e32 v6, 16, v6
                                        ; implicit-def: $vgpr179
	s_delay_alu instid0(VALU_DEP_1) | instskip(NEXT) | instid1(VALU_DEP_1)
	v_mul_f32_e32 v6, v87, v6
	v_and_b32_e32 v7, 0x7f800000, v6
	s_delay_alu instid0(VALU_DEP_1) | instskip(NEXT) | instid1(VALU_DEP_1)
	v_cmp_ne_u32_e64 s0, 0x7f800000, v7
	s_and_saveexec_b32 s9, s0
	s_delay_alu instid0(SALU_CYCLE_1)
	s_xor_b32 s0, exec_lo, s9
; %bb.2402:                             ;   in Loop: Header=BB462_1471 Depth=1
	v_bfe_u32 v7, v6, 16, 1
	s_delay_alu instid0(VALU_DEP_1)
	v_add3_u32 v179, v6, v7, 0x7fff
                                        ; implicit-def: $vgpr6
; %bb.2403:                             ;   in Loop: Header=BB462_1471 Depth=1
	s_and_not1_saveexec_b32 s9, s0
; %bb.2404:                             ;   in Loop: Header=BB462_1471 Depth=1
	v_and_b32_e32 v7, 0xffff, v6
	v_or_b32_e32 v9, 0x10000, v6
	s_delay_alu instid0(VALU_DEP_2) | instskip(NEXT) | instid1(VALU_DEP_1)
	v_cmp_eq_u32_e64 s0, 0, v7
	v_cndmask_b32_e64 v179, v9, v6, s0
; %bb.2405:                             ;   in Loop: Header=BB462_1471 Depth=1
	s_or_b32 exec_lo, exec_lo, s9
	v_lshlrev_b32_e32 v3, 16, v3
                                        ; implicit-def: $vgpr180
	s_delay_alu instid0(VALU_DEP_1) | instskip(NEXT) | instid1(VALU_DEP_1)
	v_mul_f32_e32 v3, v96, v3
	v_and_b32_e32 v6, 0x7f800000, v3
	s_delay_alu instid0(VALU_DEP_1) | instskip(NEXT) | instid1(VALU_DEP_1)
	v_cmp_ne_u32_e64 s0, 0x7f800000, v6
	s_and_saveexec_b32 s9, s0
	s_delay_alu instid0(SALU_CYCLE_1)
	s_xor_b32 s0, exec_lo, s9
; %bb.2406:                             ;   in Loop: Header=BB462_1471 Depth=1
	v_bfe_u32 v6, v3, 16, 1
	s_delay_alu instid0(VALU_DEP_1)
	v_add3_u32 v180, v3, v6, 0x7fff
                                        ; implicit-def: $vgpr3
; %bb.2407:                             ;   in Loop: Header=BB462_1471 Depth=1
	s_and_not1_saveexec_b32 s9, s0
; %bb.2408:                             ;   in Loop: Header=BB462_1471 Depth=1
	v_and_b32_e32 v6, 0xffff, v3
	v_or_b32_e32 v7, 0x10000, v3
	s_delay_alu instid0(VALU_DEP_2) | instskip(NEXT) | instid1(VALU_DEP_1)
	v_cmp_eq_u32_e64 s0, 0, v6
	v_cndmask_b32_e64 v180, v7, v3, s0
; %bb.2409:                             ;   in Loop: Header=BB462_1471 Depth=1
	s_or_b32 exec_lo, exec_lo, s9
	v_lshlrev_b32_e32 v2, 16, v2
                                        ; implicit-def: $vgpr181
	s_delay_alu instid0(VALU_DEP_1) | instskip(NEXT) | instid1(VALU_DEP_1)
	v_mul_f32_e32 v2, v97, v2
	v_and_b32_e32 v3, 0x7f800000, v2
	s_delay_alu instid0(VALU_DEP_1) | instskip(NEXT) | instid1(VALU_DEP_1)
	v_cmp_ne_u32_e64 s0, 0x7f800000, v3
	s_and_saveexec_b32 s9, s0
	s_delay_alu instid0(SALU_CYCLE_1)
	s_xor_b32 s0, exec_lo, s9
; %bb.2410:                             ;   in Loop: Header=BB462_1471 Depth=1
	v_bfe_u32 v3, v2, 16, 1
	s_delay_alu instid0(VALU_DEP_1)
	v_add3_u32 v181, v2, v3, 0x7fff
                                        ; implicit-def: $vgpr2
; %bb.2411:                             ;   in Loop: Header=BB462_1471 Depth=1
	s_and_not1_saveexec_b32 s9, s0
; %bb.2412:                             ;   in Loop: Header=BB462_1471 Depth=1
	v_and_b32_e32 v3, 0xffff, v2
	v_or_b32_e32 v6, 0x10000, v2
	s_delay_alu instid0(VALU_DEP_2) | instskip(NEXT) | instid1(VALU_DEP_1)
	v_cmp_eq_u32_e64 s0, 0, v3
	v_cndmask_b32_e64 v181, v6, v2, s0
; %bb.2413:                             ;   in Loop: Header=BB462_1471 Depth=1
	s_or_b32 exec_lo, exec_lo, s9
	flat_load_b64 v[2:3], v[0:1] offset:1792
	s_mov_b32 s9, exec_lo
	s_waitcnt vmcnt(0) lgkmcnt(0)
	v_dual_mov_b32 v6, 0 :: v_dual_and_b32 v7, 0xff, v2
	s_delay_alu instid0(VALU_DEP_1)
	v_cmpx_ne_u16_e32 0, v7
	s_cbranch_execz .LBB462_2421
; %bb.2414:                             ;   in Loop: Header=BB462_1471 Depth=1
	v_bfrev_b32_e32 v6, 1
	s_mov_b32 s12, exec_lo
	v_cmpx_ne_u16_e32 0x80, v7
	s_cbranch_execz .LBB462_2420
; %bb.2415:                             ;   in Loop: Header=BB462_1471 Depth=1
	v_and_b32_e32 v7, 0x7f, v2
	v_mov_b32_e32 v6, 0x7f800001
	s_mov_b32 s13, exec_lo
	s_delay_alu instid0(VALU_DEP_2)
	v_cmpx_ne_u32_e32 0x7f, v7
	s_cbranch_execz .LBB462_2419
; %bb.2416:                             ;   in Loop: Header=BB462_1471 Depth=1
	v_lshrrev_b32_e32 v9, 3, v7
	v_cmp_gt_u32_e64 s0, 8, v7
	v_dual_mov_b32 v7, v3 :: v_dual_mov_b32 v6, v2
	s_delay_alu instid0(VALU_DEP_2)
	s_and_saveexec_b32 s15, s0
; %bb.2417:                             ;   in Loop: Header=BB462_1471 Depth=1
	v_and_b32_e32 v6, 7, v2
	s_delay_alu instid0(VALU_DEP_1) | instskip(NEXT) | instid1(VALU_DEP_1)
	v_clz_i32_u32_e32 v6, v6
	v_min_u32_e32 v9, 32, v6
	s_delay_alu instid0(VALU_DEP_1) | instskip(SKIP_1) | instid1(VALU_DEP_2)
	v_subrev_nc_u32_e32 v6, 28, v9
	v_sub_nc_u32_e32 v9, 29, v9
	v_lshlrev_b64 v[6:7], v6, v[2:3]
; %bb.2418:                             ;   in Loop: Header=BB462_1471 Depth=1
	s_or_b32 exec_lo, exec_lo, s15
	s_delay_alu instid0(VALU_DEP_1) | instskip(SKIP_2) | instid1(VALU_DEP_3)
	v_lshlrev_b32_e32 v6, 20, v6
	v_lshlrev_b32_e32 v7, 24, v2
	v_lshl_add_u32 v9, v9, 23, 0x3c000000
	v_and_b32_e32 v6, 0x700000, v6
	s_delay_alu instid0(VALU_DEP_3) | instskip(NEXT) | instid1(VALU_DEP_1)
	v_and_b32_e32 v7, 0x80000000, v7
	v_or3_b32 v6, v6, v7, v9
.LBB462_2419:                           ;   in Loop: Header=BB462_1471 Depth=1
	s_or_b32 exec_lo, exec_lo, s13
.LBB462_2420:                           ;   in Loop: Header=BB462_1471 Depth=1
	s_delay_alu instid0(SALU_CYCLE_1)
	s_or_b32 exec_lo, exec_lo, s12
.LBB462_2421:                           ;   in Loop: Header=BB462_1471 Depth=1
	s_delay_alu instid0(SALU_CYCLE_1) | instskip(NEXT) | instid1(VALU_DEP_1)
	s_or_b32 exec_lo, exec_lo, s9
	v_mul_f32_e32 v6, v26, v6
                                        ; implicit-def: $vgpr34
	s_delay_alu instid0(VALU_DEP_1) | instskip(NEXT) | instid1(VALU_DEP_1)
	v_and_b32_e32 v7, 0x7f800000, v6
	v_cmp_ne_u32_e64 s0, 0x7f800000, v7
	s_delay_alu instid0(VALU_DEP_1) | instskip(NEXT) | instid1(SALU_CYCLE_1)
	s_and_saveexec_b32 s9, s0
	s_xor_b32 s0, exec_lo, s9
; %bb.2422:                             ;   in Loop: Header=BB462_1471 Depth=1
	v_bfe_u32 v7, v6, 16, 1
	s_delay_alu instid0(VALU_DEP_1)
	v_add3_u32 v34, v6, v7, 0x7fff
                                        ; implicit-def: $vgpr6
; %bb.2423:                             ;   in Loop: Header=BB462_1471 Depth=1
	s_and_not1_saveexec_b32 s9, s0
; %bb.2424:                             ;   in Loop: Header=BB462_1471 Depth=1
	v_and_b32_e32 v7, 0xffff, v6
	v_or_b32_e32 v9, 0x10000, v6
	s_delay_alu instid0(VALU_DEP_2) | instskip(NEXT) | instid1(VALU_DEP_1)
	v_cmp_eq_u32_e64 s0, 0, v7
	v_cndmask_b32_e64 v34, v9, v6, s0
; %bb.2425:                             ;   in Loop: Header=BB462_1471 Depth=1
	s_or_b32 exec_lo, exec_lo, s9
	v_lshrrev_b16 v7, 8, v2
	v_mov_b32_e32 v6, 0
	s_mov_b32 s9, exec_lo
	s_delay_alu instid0(VALU_DEP_2)
	v_cmpx_ne_u16_e32 0, v7
	s_cbranch_execz .LBB462_2433
; %bb.2426:                             ;   in Loop: Header=BB462_1471 Depth=1
	v_bfrev_b32_e32 v6, 1
	s_mov_b32 s12, exec_lo
	v_cmpx_ne_u16_e32 0x80, v7
	s_cbranch_execz .LBB462_2432
; %bb.2427:                             ;   in Loop: Header=BB462_1471 Depth=1
	v_and_b32_e32 v9, 0xffff, v7
	v_mov_b32_e32 v6, 0x7f800001
	s_mov_b32 s13, exec_lo
	s_delay_alu instid0(VALU_DEP_2) | instskip(NEXT) | instid1(VALU_DEP_1)
	v_and_b32_e32 v7, 0x7f, v9
	v_cmpx_ne_u32_e32 0x7f, v7
	s_cbranch_execz .LBB462_2431
; %bb.2428:                             ;   in Loop: Header=BB462_1471 Depth=1
	v_and_b32_e32 v9, 7, v9
	v_lshrrev_b32_e32 v182, 3, v7
	v_cmp_gt_u32_e64 s0, 8, v7
	s_delay_alu instid0(VALU_DEP_3) | instskip(NEXT) | instid1(VALU_DEP_2)
	v_dual_mov_b32 v6, v9 :: v_dual_mov_b32 v7, v10
	s_and_saveexec_b32 s15, s0
; %bb.2429:                             ;   in Loop: Header=BB462_1471 Depth=1
	v_clz_i32_u32_e32 v6, v9
	s_delay_alu instid0(VALU_DEP_1) | instskip(NEXT) | instid1(VALU_DEP_1)
	v_min_u32_e32 v182, 32, v6
	v_subrev_nc_u32_e32 v6, 28, v182
	v_sub_nc_u32_e32 v182, 29, v182
	s_delay_alu instid0(VALU_DEP_2) | instskip(NEXT) | instid1(VALU_DEP_1)
	v_lshlrev_b64 v[6:7], v6, v[9:10]
	v_and_b32_e32 v6, 7, v6
; %bb.2430:                             ;   in Loop: Header=BB462_1471 Depth=1
	s_or_b32 exec_lo, exec_lo, s15
	v_lshlrev_b32_e32 v7, 16, v2
	s_delay_alu instid0(VALU_DEP_2) | instskip(SKIP_1) | instid1(VALU_DEP_3)
	v_lshlrev_b32_e32 v6, 20, v6
	v_lshl_add_u32 v9, v182, 23, 0x3c000000
	v_and_b32_e32 v7, 0x80000000, v7
	s_delay_alu instid0(VALU_DEP_1)
	v_or3_b32 v6, v6, v7, v9
.LBB462_2431:                           ;   in Loop: Header=BB462_1471 Depth=1
	s_or_b32 exec_lo, exec_lo, s13
.LBB462_2432:                           ;   in Loop: Header=BB462_1471 Depth=1
	s_delay_alu instid0(SALU_CYCLE_1)
	s_or_b32 exec_lo, exec_lo, s12
.LBB462_2433:                           ;   in Loop: Header=BB462_1471 Depth=1
	s_delay_alu instid0(SALU_CYCLE_1) | instskip(NEXT) | instid1(VALU_DEP_1)
	s_or_b32 exec_lo, exec_lo, s9
	v_mul_f32_e32 v6, v26, v6
                                        ; implicit-def: $vgpr182
	s_delay_alu instid0(VALU_DEP_1) | instskip(NEXT) | instid1(VALU_DEP_1)
	v_and_b32_e32 v7, 0x7f800000, v6
	v_cmp_ne_u32_e64 s0, 0x7f800000, v7
	s_delay_alu instid0(VALU_DEP_1) | instskip(NEXT) | instid1(SALU_CYCLE_1)
	s_and_saveexec_b32 s9, s0
	s_xor_b32 s0, exec_lo, s9
; %bb.2434:                             ;   in Loop: Header=BB462_1471 Depth=1
	v_bfe_u32 v7, v6, 16, 1
	s_delay_alu instid0(VALU_DEP_1)
	v_add3_u32 v182, v6, v7, 0x7fff
                                        ; implicit-def: $vgpr6
; %bb.2435:                             ;   in Loop: Header=BB462_1471 Depth=1
	s_and_not1_saveexec_b32 s9, s0
; %bb.2436:                             ;   in Loop: Header=BB462_1471 Depth=1
	v_and_b32_e32 v7, 0xffff, v6
	v_or_b32_e32 v9, 0x10000, v6
	s_delay_alu instid0(VALU_DEP_2) | instskip(NEXT) | instid1(VALU_DEP_1)
	v_cmp_eq_u32_e64 s0, 0, v7
	v_cndmask_b32_e64 v182, v9, v6, s0
; %bb.2437:                             ;   in Loop: Header=BB462_1471 Depth=1
	s_or_b32 exec_lo, exec_lo, s9
	v_lshrrev_b32_e32 v183, 16, v2
	s_mov_b32 s9, exec_lo
	s_delay_alu instid0(VALU_DEP_1) | instskip(NEXT) | instid1(VALU_DEP_1)
	v_dual_mov_b32 v6, 0 :: v_dual_and_b32 v7, 0xff, v183
	v_cmpx_ne_u16_e32 0, v7
	s_cbranch_execz .LBB462_2445
; %bb.2438:                             ;   in Loop: Header=BB462_1471 Depth=1
	v_bfrev_b32_e32 v6, 1
	s_mov_b32 s12, exec_lo
	v_cmpx_ne_u16_e32 0x80, v7
	s_cbranch_execz .LBB462_2444
; %bb.2439:                             ;   in Loop: Header=BB462_1471 Depth=1
	v_bfe_u32 v7, v2, 16, 7
	v_mov_b32_e32 v6, 0x7f800001
	s_mov_b32 s13, exec_lo
	s_delay_alu instid0(VALU_DEP_2)
	v_cmpx_ne_u32_e32 0x7f, v7
	s_cbranch_execz .LBB462_2443
; %bb.2440:                             ;   in Loop: Header=BB462_1471 Depth=1
	v_and_b32_e32 v9, 7, v183
	v_lshrrev_b32_e32 v40, 3, v7
	v_cmp_gt_u32_e64 s0, 8, v7
	s_delay_alu instid0(VALU_DEP_3) | instskip(NEXT) | instid1(VALU_DEP_2)
	v_dual_mov_b32 v6, v9 :: v_dual_mov_b32 v7, v10
	s_and_saveexec_b32 s15, s0
; %bb.2441:                             ;   in Loop: Header=BB462_1471 Depth=1
	v_clz_i32_u32_e32 v6, v9
	s_delay_alu instid0(VALU_DEP_1) | instskip(NEXT) | instid1(VALU_DEP_1)
	v_min_u32_e32 v40, 32, v6
	v_subrev_nc_u32_e32 v6, 28, v40
	v_sub_nc_u32_e32 v40, 29, v40
	s_delay_alu instid0(VALU_DEP_2) | instskip(NEXT) | instid1(VALU_DEP_1)
	v_lshlrev_b64 v[6:7], v6, v[9:10]
	v_and_b32_e32 v6, 7, v6
; %bb.2442:                             ;   in Loop: Header=BB462_1471 Depth=1
	s_or_b32 exec_lo, exec_lo, s15
	v_lshlrev_b32_e32 v7, 24, v183
	s_delay_alu instid0(VALU_DEP_2) | instskip(SKIP_1) | instid1(VALU_DEP_3)
	v_lshlrev_b32_e32 v6, 20, v6
	v_lshl_add_u32 v9, v40, 23, 0x3c000000
	v_and_b32_e32 v7, 0x80000000, v7
	s_delay_alu instid0(VALU_DEP_1)
	v_or3_b32 v6, v6, v7, v9
.LBB462_2443:                           ;   in Loop: Header=BB462_1471 Depth=1
	s_or_b32 exec_lo, exec_lo, s13
.LBB462_2444:                           ;   in Loop: Header=BB462_1471 Depth=1
	s_delay_alu instid0(SALU_CYCLE_1)
	s_or_b32 exec_lo, exec_lo, s12
.LBB462_2445:                           ;   in Loop: Header=BB462_1471 Depth=1
	s_delay_alu instid0(SALU_CYCLE_1) | instskip(NEXT) | instid1(VALU_DEP_1)
	s_or_b32 exec_lo, exec_lo, s9
	v_mul_f32_e32 v6, v26, v6
                                        ; implicit-def: $vgpr183
	s_delay_alu instid0(VALU_DEP_1) | instskip(NEXT) | instid1(VALU_DEP_1)
	v_and_b32_e32 v7, 0x7f800000, v6
	v_cmp_ne_u32_e64 s0, 0x7f800000, v7
	s_delay_alu instid0(VALU_DEP_1) | instskip(NEXT) | instid1(SALU_CYCLE_1)
	s_and_saveexec_b32 s9, s0
	s_xor_b32 s0, exec_lo, s9
; %bb.2446:                             ;   in Loop: Header=BB462_1471 Depth=1
	v_bfe_u32 v7, v6, 16, 1
	s_delay_alu instid0(VALU_DEP_1)
	v_add3_u32 v183, v6, v7, 0x7fff
                                        ; implicit-def: $vgpr6
; %bb.2447:                             ;   in Loop: Header=BB462_1471 Depth=1
	s_and_not1_saveexec_b32 s9, s0
; %bb.2448:                             ;   in Loop: Header=BB462_1471 Depth=1
	v_and_b32_e32 v7, 0xffff, v6
	v_or_b32_e32 v9, 0x10000, v6
	s_delay_alu instid0(VALU_DEP_2) | instskip(NEXT) | instid1(VALU_DEP_1)
	v_cmp_eq_u32_e64 s0, 0, v7
	v_cndmask_b32_e64 v183, v9, v6, s0
; %bb.2449:                             ;   in Loop: Header=BB462_1471 Depth=1
	s_or_b32 exec_lo, exec_lo, s9
	v_mov_b32_e32 v6, 0
	s_mov_b32 s9, exec_lo
	v_cmpx_lt_u32_e32 0xffffff, v2
	s_cbranch_execz .LBB462_2457
; %bb.2450:                             ;   in Loop: Header=BB462_1471 Depth=1
	v_lshrrev_b32_e32 v40, 24, v2
	v_bfrev_b32_e32 v6, 1
	s_mov_b32 s12, exec_lo
	s_delay_alu instid0(VALU_DEP_2)
	v_cmpx_ne_u32_e32 0x80, v40
	s_cbranch_execz .LBB462_2456
; %bb.2451:                             ;   in Loop: Header=BB462_1471 Depth=1
	v_bfe_u32 v7, v2, 24, 7
	v_mov_b32_e32 v6, 0x7f800001
	s_mov_b32 s13, exec_lo
	s_delay_alu instid0(VALU_DEP_2)
	v_cmpx_ne_u32_e32 0x7f, v7
	s_cbranch_execz .LBB462_2455
; %bb.2452:                             ;   in Loop: Header=BB462_1471 Depth=1
	v_and_b32_e32 v9, 7, v40
	v_lshrrev_b32_e32 v41, 3, v7
	v_cmp_gt_u32_e64 s0, 8, v7
	s_delay_alu instid0(VALU_DEP_3) | instskip(NEXT) | instid1(VALU_DEP_2)
	v_dual_mov_b32 v6, v9 :: v_dual_mov_b32 v7, v10
	s_and_saveexec_b32 s15, s0
; %bb.2453:                             ;   in Loop: Header=BB462_1471 Depth=1
	v_clz_i32_u32_e32 v6, v9
	s_delay_alu instid0(VALU_DEP_1) | instskip(NEXT) | instid1(VALU_DEP_1)
	v_min_u32_e32 v41, 32, v6
	v_subrev_nc_u32_e32 v6, 28, v41
	v_sub_nc_u32_e32 v41, 29, v41
	s_delay_alu instid0(VALU_DEP_2) | instskip(NEXT) | instid1(VALU_DEP_1)
	v_lshlrev_b64 v[6:7], v6, v[9:10]
	v_and_b32_e32 v6, 7, v6
; %bb.2454:                             ;   in Loop: Header=BB462_1471 Depth=1
	s_or_b32 exec_lo, exec_lo, s15
	v_lshlrev_b32_e32 v7, 24, v40
	s_delay_alu instid0(VALU_DEP_2) | instskip(SKIP_1) | instid1(VALU_DEP_3)
	v_lshlrev_b32_e32 v6, 20, v6
	v_lshl_add_u32 v9, v41, 23, 0x3c000000
	v_and_b32_e32 v7, 0x80000000, v7
	s_delay_alu instid0(VALU_DEP_1)
	v_or3_b32 v6, v6, v7, v9
.LBB462_2455:                           ;   in Loop: Header=BB462_1471 Depth=1
	s_or_b32 exec_lo, exec_lo, s13
.LBB462_2456:                           ;   in Loop: Header=BB462_1471 Depth=1
	s_delay_alu instid0(SALU_CYCLE_1)
	s_or_b32 exec_lo, exec_lo, s12
.LBB462_2457:                           ;   in Loop: Header=BB462_1471 Depth=1
	s_delay_alu instid0(SALU_CYCLE_1) | instskip(NEXT) | instid1(VALU_DEP_1)
	s_or_b32 exec_lo, exec_lo, s9
	v_mul_f32_e32 v6, v26, v6
                                        ; implicit-def: $vgpr40
	s_delay_alu instid0(VALU_DEP_1) | instskip(NEXT) | instid1(VALU_DEP_1)
	v_and_b32_e32 v7, 0x7f800000, v6
	v_cmp_ne_u32_e64 s0, 0x7f800000, v7
	s_delay_alu instid0(VALU_DEP_1) | instskip(NEXT) | instid1(SALU_CYCLE_1)
	s_and_saveexec_b32 s9, s0
	s_xor_b32 s0, exec_lo, s9
; %bb.2458:                             ;   in Loop: Header=BB462_1471 Depth=1
	v_bfe_u32 v7, v6, 16, 1
	s_delay_alu instid0(VALU_DEP_1)
	v_add3_u32 v40, v6, v7, 0x7fff
                                        ; implicit-def: $vgpr6
; %bb.2459:                             ;   in Loop: Header=BB462_1471 Depth=1
	s_and_not1_saveexec_b32 s9, s0
; %bb.2460:                             ;   in Loop: Header=BB462_1471 Depth=1
	v_and_b32_e32 v7, 0xffff, v6
	v_or_b32_e32 v9, 0x10000, v6
	s_delay_alu instid0(VALU_DEP_2) | instskip(NEXT) | instid1(VALU_DEP_1)
	v_cmp_eq_u32_e64 s0, 0, v7
	v_cndmask_b32_e64 v40, v9, v6, s0
; %bb.2461:                             ;   in Loop: Header=BB462_1471 Depth=1
	s_or_b32 exec_lo, exec_lo, s9
	v_dual_mov_b32 v6, 0 :: v_dual_and_b32 v7, 0xff, v3
	v_mov_b32_e32 v9, v3
	s_mov_b32 s9, exec_lo
	s_delay_alu instid0(VALU_DEP_2)
	v_cmpx_ne_u16_e32 0, v7
	s_cbranch_execz .LBB462_2469
; %bb.2462:                             ;   in Loop: Header=BB462_1471 Depth=1
	v_bfrev_b32_e32 v6, 1
	s_mov_b32 s12, exec_lo
	v_cmpx_ne_u16_e32 0x80, v7
	s_cbranch_execz .LBB462_2468
; %bb.2463:                             ;   in Loop: Header=BB462_1471 Depth=1
	v_and_b32_e32 v7, 0x7f, v3
	v_mov_b32_e32 v6, 0x7f800001
	s_mov_b32 s13, exec_lo
	s_delay_alu instid0(VALU_DEP_2)
	v_cmpx_ne_u32_e32 0x7f, v7
	s_cbranch_execz .LBB462_2467
; %bb.2464:                             ;   in Loop: Header=BB462_1471 Depth=1
	v_lshrrev_b32_e32 v41, 3, v7
	v_cmp_gt_u32_e64 s0, 8, v7
	v_dual_mov_b32 v6, v9 :: v_dual_mov_b32 v7, v10
	s_delay_alu instid0(VALU_DEP_2)
	s_and_saveexec_b32 s15, s0
; %bb.2465:                             ;   in Loop: Header=BB462_1471 Depth=1
	v_and_b32_e32 v6, 7, v3
	s_delay_alu instid0(VALU_DEP_1) | instskip(NEXT) | instid1(VALU_DEP_1)
	v_clz_i32_u32_e32 v6, v6
	v_min_u32_e32 v41, 32, v6
	s_delay_alu instid0(VALU_DEP_1) | instskip(SKIP_1) | instid1(VALU_DEP_2)
	v_subrev_nc_u32_e32 v6, 28, v41
	v_sub_nc_u32_e32 v41, 29, v41
	v_lshlrev_b64 v[6:7], v6, v[9:10]
; %bb.2466:                             ;   in Loop: Header=BB462_1471 Depth=1
	s_or_b32 exec_lo, exec_lo, s15
	s_delay_alu instid0(VALU_DEP_1) | instskip(SKIP_2) | instid1(VALU_DEP_3)
	v_lshlrev_b32_e32 v6, 20, v6
	v_lshlrev_b32_e32 v7, 24, v9
	v_lshl_add_u32 v41, v41, 23, 0x3c000000
	v_and_b32_e32 v6, 0x700000, v6
	s_delay_alu instid0(VALU_DEP_3) | instskip(NEXT) | instid1(VALU_DEP_1)
	v_and_b32_e32 v7, 0x80000000, v7
	v_or3_b32 v6, v6, v7, v41
.LBB462_2467:                           ;   in Loop: Header=BB462_1471 Depth=1
	s_or_b32 exec_lo, exec_lo, s13
.LBB462_2468:                           ;   in Loop: Header=BB462_1471 Depth=1
	s_delay_alu instid0(SALU_CYCLE_1)
	s_or_b32 exec_lo, exec_lo, s12
.LBB462_2469:                           ;   in Loop: Header=BB462_1471 Depth=1
	s_delay_alu instid0(SALU_CYCLE_1) | instskip(NEXT) | instid1(VALU_DEP_1)
	s_or_b32 exec_lo, exec_lo, s9
	v_mul_f32_e32 v6, v26, v6
                                        ; implicit-def: $vgpr41
	s_delay_alu instid0(VALU_DEP_1) | instskip(NEXT) | instid1(VALU_DEP_1)
	v_and_b32_e32 v7, 0x7f800000, v6
	v_cmp_ne_u32_e64 s0, 0x7f800000, v7
	s_delay_alu instid0(VALU_DEP_1) | instskip(NEXT) | instid1(SALU_CYCLE_1)
	s_and_saveexec_b32 s9, s0
	s_xor_b32 s0, exec_lo, s9
; %bb.2470:                             ;   in Loop: Header=BB462_1471 Depth=1
	v_bfe_u32 v7, v6, 16, 1
	s_delay_alu instid0(VALU_DEP_1)
	v_add3_u32 v41, v6, v7, 0x7fff
                                        ; implicit-def: $vgpr6
; %bb.2471:                             ;   in Loop: Header=BB462_1471 Depth=1
	s_and_not1_saveexec_b32 s9, s0
; %bb.2472:                             ;   in Loop: Header=BB462_1471 Depth=1
	v_and_b32_e32 v7, 0xffff, v6
	v_or_b32_e32 v41, 0x10000, v6
	s_delay_alu instid0(VALU_DEP_2) | instskip(NEXT) | instid1(VALU_DEP_1)
	v_cmp_eq_u32_e64 s0, 0, v7
	v_cndmask_b32_e64 v41, v41, v6, s0
; %bb.2473:                             ;   in Loop: Header=BB462_1471 Depth=1
	s_or_b32 exec_lo, exec_lo, s9
	v_lshrrev_b16 v7, 8, v9
	v_mov_b32_e32 v6, 0
	s_mov_b32 s9, exec_lo
	s_delay_alu instid0(VALU_DEP_2)
	v_cmpx_ne_u16_e32 0, v7
	s_cbranch_execz .LBB462_2481
; %bb.2474:                             ;   in Loop: Header=BB462_1471 Depth=1
	v_bfrev_b32_e32 v6, 1
	s_mov_b32 s12, exec_lo
	v_cmpx_ne_u16_e32 0x80, v7
	s_cbranch_execz .LBB462_2480
; %bb.2475:                             ;   in Loop: Header=BB462_1471 Depth=1
	v_and_b32_e32 v7, 0xffff, v7
	v_mov_b32_e32 v6, 0x7f800001
	s_mov_b32 s13, exec_lo
	s_delay_alu instid0(VALU_DEP_2) | instskip(NEXT) | instid1(VALU_DEP_1)
	v_and_b32_e32 v43, 0x7f, v7
	v_cmpx_ne_u32_e32 0x7f, v43
	s_cbranch_execz .LBB462_2479
; %bb.2476:                             ;   in Loop: Header=BB462_1471 Depth=1
	v_dual_mov_b32 v7, v10 :: v_dual_and_b32 v6, 7, v7
	v_lshrrev_b32_e32 v42, 3, v43
	s_mov_b32 s15, exec_lo
	v_cmpx_gt_u32_e32 8, v43
; %bb.2477:                             ;   in Loop: Header=BB462_1471 Depth=1
	s_delay_alu instid0(VALU_DEP_3) | instskip(NEXT) | instid1(VALU_DEP_1)
	v_clz_i32_u32_e32 v42, v6
	v_min_u32_e32 v42, 32, v42
	s_delay_alu instid0(VALU_DEP_1) | instskip(SKIP_1) | instid1(VALU_DEP_2)
	v_subrev_nc_u32_e32 v43, 28, v42
	v_sub_nc_u32_e32 v42, 29, v42
	v_lshlrev_b64 v[6:7], v43, v[6:7]
	s_delay_alu instid0(VALU_DEP_1)
	v_and_b32_e32 v6, 7, v6
; %bb.2478:                             ;   in Loop: Header=BB462_1471 Depth=1
	s_or_b32 exec_lo, exec_lo, s15
	v_lshlrev_b32_e32 v7, 16, v9
	s_delay_alu instid0(VALU_DEP_2) | instskip(SKIP_1) | instid1(VALU_DEP_3)
	v_lshlrev_b32_e32 v6, 20, v6
	v_lshl_add_u32 v9, v42, 23, 0x3c000000
	v_and_b32_e32 v7, 0x80000000, v7
	s_delay_alu instid0(VALU_DEP_1)
	v_or3_b32 v6, v6, v7, v9
.LBB462_2479:                           ;   in Loop: Header=BB462_1471 Depth=1
	s_or_b32 exec_lo, exec_lo, s13
.LBB462_2480:                           ;   in Loop: Header=BB462_1471 Depth=1
	s_delay_alu instid0(SALU_CYCLE_1)
	s_or_b32 exec_lo, exec_lo, s12
.LBB462_2481:                           ;   in Loop: Header=BB462_1471 Depth=1
	s_delay_alu instid0(SALU_CYCLE_1) | instskip(NEXT) | instid1(VALU_DEP_1)
	s_or_b32 exec_lo, exec_lo, s9
	v_mul_f32_e32 v6, v26, v6
                                        ; implicit-def: $vgpr42
	s_delay_alu instid0(VALU_DEP_1) | instskip(NEXT) | instid1(VALU_DEP_1)
	v_and_b32_e32 v7, 0x7f800000, v6
	v_cmp_ne_u32_e64 s0, 0x7f800000, v7
	s_delay_alu instid0(VALU_DEP_1) | instskip(NEXT) | instid1(SALU_CYCLE_1)
	s_and_saveexec_b32 s9, s0
	s_xor_b32 s0, exec_lo, s9
; %bb.2482:                             ;   in Loop: Header=BB462_1471 Depth=1
	v_bfe_u32 v7, v6, 16, 1
	s_delay_alu instid0(VALU_DEP_1)
	v_add3_u32 v42, v6, v7, 0x7fff
                                        ; implicit-def: $vgpr6
; %bb.2483:                             ;   in Loop: Header=BB462_1471 Depth=1
	s_and_not1_saveexec_b32 s9, s0
; %bb.2484:                             ;   in Loop: Header=BB462_1471 Depth=1
	v_and_b32_e32 v7, 0xffff, v6
	v_or_b32_e32 v9, 0x10000, v6
	s_delay_alu instid0(VALU_DEP_2) | instskip(NEXT) | instid1(VALU_DEP_1)
	v_cmp_eq_u32_e64 s0, 0, v7
	v_cndmask_b32_e64 v42, v9, v6, s0
; %bb.2485:                             ;   in Loop: Header=BB462_1471 Depth=1
	s_or_b32 exec_lo, exec_lo, s9
	v_lshrrev_b32_e32 v43, 16, v3
	s_mov_b32 s9, exec_lo
	s_delay_alu instid0(VALU_DEP_1) | instskip(NEXT) | instid1(VALU_DEP_1)
	v_dual_mov_b32 v6, 0 :: v_dual_and_b32 v7, 0xff, v43
	v_cmpx_ne_u16_e32 0, v7
	s_cbranch_execz .LBB462_2493
; %bb.2486:                             ;   in Loop: Header=BB462_1471 Depth=1
	v_bfrev_b32_e32 v6, 1
	s_mov_b32 s12, exec_lo
	v_cmpx_ne_u16_e32 0x80, v7
	s_cbranch_execz .LBB462_2492
; %bb.2487:                             ;   in Loop: Header=BB462_1471 Depth=1
	v_bfe_u32 v7, v3, 16, 7
	v_mov_b32_e32 v6, 0x7f800001
	s_mov_b32 s13, exec_lo
	s_delay_alu instid0(VALU_DEP_2)
	v_cmpx_ne_u32_e32 0x7f, v7
	s_cbranch_execz .LBB462_2491
; %bb.2488:                             ;   in Loop: Header=BB462_1471 Depth=1
	v_and_b32_e32 v9, 7, v43
	v_lshrrev_b32_e32 v44, 3, v7
	v_cmp_gt_u32_e64 s0, 8, v7
	s_delay_alu instid0(VALU_DEP_3) | instskip(NEXT) | instid1(VALU_DEP_2)
	v_dual_mov_b32 v6, v9 :: v_dual_mov_b32 v7, v10
	s_and_saveexec_b32 s15, s0
; %bb.2489:                             ;   in Loop: Header=BB462_1471 Depth=1
	v_clz_i32_u32_e32 v6, v9
	s_delay_alu instid0(VALU_DEP_1) | instskip(NEXT) | instid1(VALU_DEP_1)
	v_min_u32_e32 v44, 32, v6
	v_subrev_nc_u32_e32 v6, 28, v44
	v_sub_nc_u32_e32 v44, 29, v44
	s_delay_alu instid0(VALU_DEP_2) | instskip(NEXT) | instid1(VALU_DEP_1)
	v_lshlrev_b64 v[6:7], v6, v[9:10]
	v_and_b32_e32 v6, 7, v6
; %bb.2490:                             ;   in Loop: Header=BB462_1471 Depth=1
	s_or_b32 exec_lo, exec_lo, s15
	v_lshlrev_b32_e32 v7, 24, v43
	s_delay_alu instid0(VALU_DEP_2) | instskip(SKIP_1) | instid1(VALU_DEP_3)
	v_lshlrev_b32_e32 v6, 20, v6
	v_lshl_add_u32 v9, v44, 23, 0x3c000000
	v_and_b32_e32 v7, 0x80000000, v7
	s_delay_alu instid0(VALU_DEP_1)
	v_or3_b32 v6, v6, v7, v9
.LBB462_2491:                           ;   in Loop: Header=BB462_1471 Depth=1
	s_or_b32 exec_lo, exec_lo, s13
.LBB462_2492:                           ;   in Loop: Header=BB462_1471 Depth=1
	s_delay_alu instid0(SALU_CYCLE_1)
	s_or_b32 exec_lo, exec_lo, s12
.LBB462_2493:                           ;   in Loop: Header=BB462_1471 Depth=1
	s_delay_alu instid0(SALU_CYCLE_1) | instskip(NEXT) | instid1(VALU_DEP_1)
	s_or_b32 exec_lo, exec_lo, s9
	v_mul_f32_e32 v6, v26, v6
                                        ; implicit-def: $vgpr43
	s_delay_alu instid0(VALU_DEP_1) | instskip(NEXT) | instid1(VALU_DEP_1)
	v_and_b32_e32 v7, 0x7f800000, v6
	v_cmp_ne_u32_e64 s0, 0x7f800000, v7
	s_delay_alu instid0(VALU_DEP_1) | instskip(NEXT) | instid1(SALU_CYCLE_1)
	s_and_saveexec_b32 s9, s0
	s_xor_b32 s0, exec_lo, s9
; %bb.2494:                             ;   in Loop: Header=BB462_1471 Depth=1
	v_bfe_u32 v7, v6, 16, 1
	s_delay_alu instid0(VALU_DEP_1)
	v_add3_u32 v43, v6, v7, 0x7fff
                                        ; implicit-def: $vgpr6
; %bb.2495:                             ;   in Loop: Header=BB462_1471 Depth=1
	s_and_not1_saveexec_b32 s9, s0
; %bb.2496:                             ;   in Loop: Header=BB462_1471 Depth=1
	v_and_b32_e32 v7, 0xffff, v6
	v_or_b32_e32 v9, 0x10000, v6
	s_delay_alu instid0(VALU_DEP_2) | instskip(NEXT) | instid1(VALU_DEP_1)
	v_cmp_eq_u32_e64 s0, 0, v7
	v_cndmask_b32_e64 v43, v9, v6, s0
; %bb.2497:                             ;   in Loop: Header=BB462_1471 Depth=1
	s_or_b32 exec_lo, exec_lo, s9
	v_cmp_lt_u64_e64 s0, s[2:3], v[2:3]
	v_mov_b32_e32 v2, 0
	s_delay_alu instid0(VALU_DEP_2)
	s_and_saveexec_b32 s9, s0
	s_cbranch_execz .LBB462_2505
; %bb.2498:                             ;   in Loop: Header=BB462_1471 Depth=1
	v_lshrrev_b32_e32 v6, 24, v3
	v_bfrev_b32_e32 v2, 1
	s_mov_b32 s12, exec_lo
	s_delay_alu instid0(VALU_DEP_2)
	v_cmpx_ne_u32_e32 0x80, v6
	s_cbranch_execz .LBB462_2504
; %bb.2499:                             ;   in Loop: Header=BB462_1471 Depth=1
	v_bfe_u32 v3, v3, 24, 7
	v_mov_b32_e32 v2, 0x7f800001
	s_mov_b32 s13, exec_lo
	s_delay_alu instid0(VALU_DEP_2)
	v_cmpx_ne_u32_e32 0x7f, v3
	s_cbranch_execz .LBB462_2503
; %bb.2500:                             ;   in Loop: Header=BB462_1471 Depth=1
	v_and_b32_e32 v9, 7, v6
	v_lshrrev_b32_e32 v7, 3, v3
	v_cmp_gt_u32_e64 s0, 8, v3
	s_delay_alu instid0(VALU_DEP_3) | instskip(NEXT) | instid1(VALU_DEP_2)
	v_dual_mov_b32 v2, v9 :: v_dual_mov_b32 v3, v10
	s_and_saveexec_b32 s15, s0
; %bb.2501:                             ;   in Loop: Header=BB462_1471 Depth=1
	v_clz_i32_u32_e32 v2, v9
	s_delay_alu instid0(VALU_DEP_1) | instskip(NEXT) | instid1(VALU_DEP_1)
	v_min_u32_e32 v7, 32, v2
	v_subrev_nc_u32_e32 v2, 28, v7
	v_sub_nc_u32_e32 v7, 29, v7
	s_delay_alu instid0(VALU_DEP_2) | instskip(NEXT) | instid1(VALU_DEP_1)
	v_lshlrev_b64 v[2:3], v2, v[9:10]
	v_and_b32_e32 v2, 7, v2
; %bb.2502:                             ;   in Loop: Header=BB462_1471 Depth=1
	s_or_b32 exec_lo, exec_lo, s15
	v_lshlrev_b32_e32 v3, 24, v6
	s_delay_alu instid0(VALU_DEP_2) | instskip(SKIP_1) | instid1(VALU_DEP_3)
	v_lshlrev_b32_e32 v2, 20, v2
	v_lshl_add_u32 v6, v7, 23, 0x3c000000
	v_and_b32_e32 v3, 0x80000000, v3
	s_delay_alu instid0(VALU_DEP_1)
	v_or3_b32 v2, v2, v3, v6
.LBB462_2503:                           ;   in Loop: Header=BB462_1471 Depth=1
	s_or_b32 exec_lo, exec_lo, s13
.LBB462_2504:                           ;   in Loop: Header=BB462_1471 Depth=1
	s_delay_alu instid0(SALU_CYCLE_1)
	s_or_b32 exec_lo, exec_lo, s12
.LBB462_2505:                           ;   in Loop: Header=BB462_1471 Depth=1
	s_delay_alu instid0(SALU_CYCLE_1) | instskip(NEXT) | instid1(VALU_DEP_1)
	s_or_b32 exec_lo, exec_lo, s9
	v_mul_f32_e32 v3, v26, v2
	s_delay_alu instid0(VALU_DEP_1) | instskip(NEXT) | instid1(VALU_DEP_1)
	v_and_b32_e32 v2, 0x7f800000, v3
	v_cmp_ne_u32_e64 s0, 0x7f800000, v2
                                        ; implicit-def: $vgpr2
	s_delay_alu instid0(VALU_DEP_1) | instskip(NEXT) | instid1(SALU_CYCLE_1)
	s_and_saveexec_b32 s9, s0
	s_xor_b32 s0, exec_lo, s9
; %bb.2506:                             ;   in Loop: Header=BB462_1471 Depth=1
	v_bfe_u32 v2, v3, 16, 1
	s_delay_alu instid0(VALU_DEP_1)
	v_add3_u32 v2, v3, v2, 0x7fff
                                        ; implicit-def: $vgpr3
; %bb.2507:                             ;   in Loop: Header=BB462_1471 Depth=1
	s_and_not1_saveexec_b32 s9, s0
; %bb.2508:                             ;   in Loop: Header=BB462_1471 Depth=1
	v_and_b32_e32 v2, 0xffff, v3
	v_or_b32_e32 v6, 0x10000, v3
	s_delay_alu instid0(VALU_DEP_2) | instskip(NEXT) | instid1(VALU_DEP_1)
	v_cmp_eq_u32_e64 s0, 0, v2
	v_cndmask_b32_e64 v2, v6, v3, s0
; %bb.2509:                             ;   in Loop: Header=BB462_1471 Depth=1
	s_or_b32 exec_lo, exec_lo, s9
	v_lshrrev_b32_e32 v6, 16, v42
	v_lshrrev_b32_e32 v7, 16, v41
	;; [unrolled: 1-line block ×8, first 2 shown]
	s_and_saveexec_b32 s9, vcc_lo
	s_cbranch_execz .LBB462_2511
; %bb.2510:                             ;   in Loop: Header=BB462_1471 Depth=1
	v_cmp_lt_i32_e64 s0, v67, v36
	s_delay_alu instid0(VALU_DEP_1) | instskip(SKIP_1) | instid1(VALU_DEP_1)
	v_cndmask_b32_e64 v34, 0, v34, s0
	v_cmp_lt_i32_e64 s0, v81, v36
	v_cndmask_b32_e64 v182, 0, v182, s0
	v_cmp_lt_i32_e64 s0, v80, v36
	s_delay_alu instid0(VALU_DEP_1) | instskip(SKIP_1) | instid1(VALU_DEP_1)
	v_cndmask_b32_e64 v183, 0, v183, s0
	v_cmp_lt_i32_e64 s0, v71, v36
	v_cndmask_b32_e64 v9, 0, v9, s0
	;; [unrolled: 5-line block ×4, first 2 shown]
.LBB462_2511:                           ;   in Loop: Header=BB462_1471 Depth=1
	s_or_b32 exec_lo, exec_lo, s9
	v_lshlrev_b32_e32 v34, 16, v34
	s_delay_alu instid0(VALU_DEP_1) | instskip(NEXT) | instid1(VALU_DEP_1)
	v_mul_f32_e32 v40, v82, v34
	v_and_b32_e32 v34, 0x7f800000, v40
	s_delay_alu instid0(VALU_DEP_1) | instskip(NEXT) | instid1(VALU_DEP_1)
	v_cmp_ne_u32_e64 s0, 0x7f800000, v34
                                        ; implicit-def: $vgpr34
	s_and_saveexec_b32 s9, s0
	s_delay_alu instid0(SALU_CYCLE_1)
	s_xor_b32 s0, exec_lo, s9
; %bb.2512:                             ;   in Loop: Header=BB462_1471 Depth=1
	v_bfe_u32 v34, v40, 16, 1
	s_delay_alu instid0(VALU_DEP_1)
	v_add3_u32 v34, v40, v34, 0x7fff
                                        ; implicit-def: $vgpr40
; %bb.2513:                             ;   in Loop: Header=BB462_1471 Depth=1
	s_and_not1_saveexec_b32 s9, s0
; %bb.2514:                             ;   in Loop: Header=BB462_1471 Depth=1
	v_and_b32_e32 v34, 0xffff, v40
	v_or_b32_e32 v41, 0x10000, v40
	s_delay_alu instid0(VALU_DEP_2) | instskip(NEXT) | instid1(VALU_DEP_1)
	v_cmp_eq_u32_e64 s0, 0, v34
	v_cndmask_b32_e64 v34, v41, v40, s0
; %bb.2515:                             ;   in Loop: Header=BB462_1471 Depth=1
	s_or_b32 exec_lo, exec_lo, s9
	v_lshlrev_b32_e32 v182, 16, v182
	s_delay_alu instid0(VALU_DEP_1) | instskip(NEXT) | instid1(VALU_DEP_1)
	v_mul_f32_e32 v40, v83, v182
	v_and_b32_e32 v182, 0x7f800000, v40
	s_delay_alu instid0(VALU_DEP_1) | instskip(NEXT) | instid1(VALU_DEP_1)
	v_cmp_ne_u32_e64 s0, 0x7f800000, v182
                                        ; implicit-def: $vgpr182
	s_and_saveexec_b32 s9, s0
	s_delay_alu instid0(SALU_CYCLE_1)
	s_xor_b32 s0, exec_lo, s9
; %bb.2516:                             ;   in Loop: Header=BB462_1471 Depth=1
	v_bfe_u32 v182, v40, 16, 1
	s_delay_alu instid0(VALU_DEP_1)
	v_add3_u32 v182, v40, v182, 0x7fff
                                        ; implicit-def: $vgpr40
; %bb.2517:                             ;   in Loop: Header=BB462_1471 Depth=1
	s_and_not1_saveexec_b32 s9, s0
; %bb.2518:                             ;   in Loop: Header=BB462_1471 Depth=1
	v_and_b32_e32 v182, 0xffff, v40
	v_or_b32_e32 v41, 0x10000, v40
	s_delay_alu instid0(VALU_DEP_2) | instskip(NEXT) | instid1(VALU_DEP_1)
	v_cmp_eq_u32_e64 s0, 0, v182
	v_cndmask_b32_e64 v182, v41, v40, s0
; %bb.2519:                             ;   in Loop: Header=BB462_1471 Depth=1
	s_or_b32 exec_lo, exec_lo, s9
	v_lshlrev_b32_e32 v183, 16, v183
	s_delay_alu instid0(VALU_DEP_1) | instskip(NEXT) | instid1(VALU_DEP_1)
	v_mul_f32_e32 v40, v84, v183
	v_and_b32_e32 v183, 0x7f800000, v40
	s_delay_alu instid0(VALU_DEP_1) | instskip(NEXT) | instid1(VALU_DEP_1)
	v_cmp_ne_u32_e64 s0, 0x7f800000, v183
                                        ; implicit-def: $vgpr183
	s_and_saveexec_b32 s9, s0
	s_delay_alu instid0(SALU_CYCLE_1)
	s_xor_b32 s0, exec_lo, s9
; %bb.2520:                             ;   in Loop: Header=BB462_1471 Depth=1
	v_bfe_u32 v183, v40, 16, 1
	s_delay_alu instid0(VALU_DEP_1)
	v_add3_u32 v183, v40, v183, 0x7fff
                                        ; implicit-def: $vgpr40
; %bb.2521:                             ;   in Loop: Header=BB462_1471 Depth=1
	s_and_not1_saveexec_b32 s9, s0
; %bb.2522:                             ;   in Loop: Header=BB462_1471 Depth=1
	v_and_b32_e32 v183, 0xffff, v40
	v_or_b32_e32 v41, 0x10000, v40
	s_delay_alu instid0(VALU_DEP_2) | instskip(NEXT) | instid1(VALU_DEP_1)
	v_cmp_eq_u32_e64 s0, 0, v183
	v_cndmask_b32_e64 v183, v41, v40, s0
; %bb.2523:                             ;   in Loop: Header=BB462_1471 Depth=1
	s_or_b32 exec_lo, exec_lo, s9
	v_lshlrev_b32_e32 v9, 16, v9
	s_delay_alu instid0(VALU_DEP_1) | instskip(NEXT) | instid1(VALU_DEP_1)
	v_mul_f32_e32 v9, v85, v9
	v_and_b32_e32 v40, 0x7f800000, v9
	s_delay_alu instid0(VALU_DEP_1) | instskip(NEXT) | instid1(VALU_DEP_1)
	v_cmp_ne_u32_e64 s0, 0x7f800000, v40
                                        ; implicit-def: $vgpr40
	s_and_saveexec_b32 s9, s0
	s_delay_alu instid0(SALU_CYCLE_1)
	s_xor_b32 s0, exec_lo, s9
; %bb.2524:                             ;   in Loop: Header=BB462_1471 Depth=1
	v_bfe_u32 v40, v9, 16, 1
	s_delay_alu instid0(VALU_DEP_1)
	v_add3_u32 v40, v9, v40, 0x7fff
                                        ; implicit-def: $vgpr9
; %bb.2525:                             ;   in Loop: Header=BB462_1471 Depth=1
	s_and_not1_saveexec_b32 s9, s0
; %bb.2526:                             ;   in Loop: Header=BB462_1471 Depth=1
	v_and_b32_e32 v40, 0xffff, v9
	v_or_b32_e32 v41, 0x10000, v9
	s_delay_alu instid0(VALU_DEP_2) | instskip(NEXT) | instid1(VALU_DEP_1)
	v_cmp_eq_u32_e64 s0, 0, v40
	v_cndmask_b32_e64 v40, v41, v9, s0
; %bb.2527:                             ;   in Loop: Header=BB462_1471 Depth=1
	s_or_b32 exec_lo, exec_lo, s9
	v_lshlrev_b32_e32 v7, 16, v7
                                        ; implicit-def: $vgpr41
	s_delay_alu instid0(VALU_DEP_1) | instskip(NEXT) | instid1(VALU_DEP_1)
	v_mul_f32_e32 v7, v86, v7
	v_and_b32_e32 v9, 0x7f800000, v7
	s_delay_alu instid0(VALU_DEP_1) | instskip(NEXT) | instid1(VALU_DEP_1)
	v_cmp_ne_u32_e64 s0, 0x7f800000, v9
	s_and_saveexec_b32 s9, s0
	s_delay_alu instid0(SALU_CYCLE_1)
	s_xor_b32 s0, exec_lo, s9
; %bb.2528:                             ;   in Loop: Header=BB462_1471 Depth=1
	v_bfe_u32 v9, v7, 16, 1
	s_delay_alu instid0(VALU_DEP_1)
	v_add3_u32 v41, v7, v9, 0x7fff
                                        ; implicit-def: $vgpr7
; %bb.2529:                             ;   in Loop: Header=BB462_1471 Depth=1
	s_and_not1_saveexec_b32 s9, s0
; %bb.2530:                             ;   in Loop: Header=BB462_1471 Depth=1
	v_and_b32_e32 v9, 0xffff, v7
	v_or_b32_e32 v41, 0x10000, v7
	s_delay_alu instid0(VALU_DEP_2) | instskip(NEXT) | instid1(VALU_DEP_1)
	v_cmp_eq_u32_e64 s0, 0, v9
	v_cndmask_b32_e64 v41, v41, v7, s0
; %bb.2531:                             ;   in Loop: Header=BB462_1471 Depth=1
	s_or_b32 exec_lo, exec_lo, s9
	v_lshlrev_b32_e32 v6, 16, v6
                                        ; implicit-def: $vgpr42
	s_delay_alu instid0(VALU_DEP_1) | instskip(NEXT) | instid1(VALU_DEP_1)
	v_mul_f32_e32 v6, v87, v6
	v_and_b32_e32 v7, 0x7f800000, v6
	s_delay_alu instid0(VALU_DEP_1) | instskip(NEXT) | instid1(VALU_DEP_1)
	v_cmp_ne_u32_e64 s0, 0x7f800000, v7
	s_and_saveexec_b32 s9, s0
	s_delay_alu instid0(SALU_CYCLE_1)
	s_xor_b32 s0, exec_lo, s9
; %bb.2532:                             ;   in Loop: Header=BB462_1471 Depth=1
	v_bfe_u32 v7, v6, 16, 1
	s_delay_alu instid0(VALU_DEP_1)
	v_add3_u32 v42, v6, v7, 0x7fff
                                        ; implicit-def: $vgpr6
; %bb.2533:                             ;   in Loop: Header=BB462_1471 Depth=1
	s_and_not1_saveexec_b32 s9, s0
; %bb.2534:                             ;   in Loop: Header=BB462_1471 Depth=1
	v_and_b32_e32 v7, 0xffff, v6
	v_or_b32_e32 v9, 0x10000, v6
	s_delay_alu instid0(VALU_DEP_2) | instskip(NEXT) | instid1(VALU_DEP_1)
	v_cmp_eq_u32_e64 s0, 0, v7
	v_cndmask_b32_e64 v42, v9, v6, s0
; %bb.2535:                             ;   in Loop: Header=BB462_1471 Depth=1
	s_or_b32 exec_lo, exec_lo, s9
	v_lshlrev_b32_e32 v3, 16, v3
                                        ; implicit-def: $vgpr43
	s_delay_alu instid0(VALU_DEP_1) | instskip(NEXT) | instid1(VALU_DEP_1)
	v_mul_f32_e32 v3, v96, v3
	v_and_b32_e32 v6, 0x7f800000, v3
	s_delay_alu instid0(VALU_DEP_1) | instskip(NEXT) | instid1(VALU_DEP_1)
	v_cmp_ne_u32_e64 s0, 0x7f800000, v6
	s_and_saveexec_b32 s9, s0
	s_delay_alu instid0(SALU_CYCLE_1)
	s_xor_b32 s0, exec_lo, s9
; %bb.2536:                             ;   in Loop: Header=BB462_1471 Depth=1
	v_bfe_u32 v6, v3, 16, 1
	s_delay_alu instid0(VALU_DEP_1)
	v_add3_u32 v43, v3, v6, 0x7fff
                                        ; implicit-def: $vgpr3
; %bb.2537:                             ;   in Loop: Header=BB462_1471 Depth=1
	s_and_not1_saveexec_b32 s9, s0
; %bb.2538:                             ;   in Loop: Header=BB462_1471 Depth=1
	v_and_b32_e32 v6, 0xffff, v3
	v_or_b32_e32 v7, 0x10000, v3
	s_delay_alu instid0(VALU_DEP_2) | instskip(NEXT) | instid1(VALU_DEP_1)
	v_cmp_eq_u32_e64 s0, 0, v6
	v_cndmask_b32_e64 v43, v7, v3, s0
; %bb.2539:                             ;   in Loop: Header=BB462_1471 Depth=1
	s_or_b32 exec_lo, exec_lo, s9
	v_lshlrev_b32_e32 v2, 16, v2
                                        ; implicit-def: $vgpr44
	s_delay_alu instid0(VALU_DEP_1) | instskip(NEXT) | instid1(VALU_DEP_1)
	v_mul_f32_e32 v2, v97, v2
	v_and_b32_e32 v3, 0x7f800000, v2
	s_delay_alu instid0(VALU_DEP_1) | instskip(NEXT) | instid1(VALU_DEP_1)
	v_cmp_ne_u32_e64 s0, 0x7f800000, v3
	s_and_saveexec_b32 s9, s0
	s_delay_alu instid0(SALU_CYCLE_1)
	s_xor_b32 s0, exec_lo, s9
; %bb.2540:                             ;   in Loop: Header=BB462_1471 Depth=1
	v_bfe_u32 v3, v2, 16, 1
	s_delay_alu instid0(VALU_DEP_1)
	v_add3_u32 v44, v2, v3, 0x7fff
                                        ; implicit-def: $vgpr2
; %bb.2541:                             ;   in Loop: Header=BB462_1471 Depth=1
	s_and_not1_saveexec_b32 s9, s0
; %bb.2542:                             ;   in Loop: Header=BB462_1471 Depth=1
	v_and_b32_e32 v3, 0xffff, v2
	v_or_b32_e32 v6, 0x10000, v2
	s_delay_alu instid0(VALU_DEP_2) | instskip(NEXT) | instid1(VALU_DEP_1)
	v_cmp_eq_u32_e64 s0, 0, v3
	v_cndmask_b32_e64 v44, v6, v2, s0
; %bb.2543:                             ;   in Loop: Header=BB462_1471 Depth=1
	s_or_b32 exec_lo, exec_lo, s9
	flat_load_b64 v[2:3], v[0:1] offset:2048
	s_mov_b32 s9, exec_lo
	s_waitcnt vmcnt(0) lgkmcnt(0)
	v_dual_mov_b32 v6, 0 :: v_dual_and_b32 v7, 0xff, v2
	s_delay_alu instid0(VALU_DEP_1)
	v_cmpx_ne_u16_e32 0, v7
	s_cbranch_execz .LBB462_2551
; %bb.2544:                             ;   in Loop: Header=BB462_1471 Depth=1
	v_bfrev_b32_e32 v6, 1
	s_mov_b32 s12, exec_lo
	v_cmpx_ne_u16_e32 0x80, v7
	s_cbranch_execz .LBB462_2550
; %bb.2545:                             ;   in Loop: Header=BB462_1471 Depth=1
	v_and_b32_e32 v7, 0x7f, v2
	v_mov_b32_e32 v6, 0x7f800001
	s_mov_b32 s13, exec_lo
	s_delay_alu instid0(VALU_DEP_2)
	v_cmpx_ne_u32_e32 0x7f, v7
	s_cbranch_execz .LBB462_2549
; %bb.2546:                             ;   in Loop: Header=BB462_1471 Depth=1
	v_lshrrev_b32_e32 v9, 3, v7
	v_cmp_gt_u32_e64 s0, 8, v7
	v_dual_mov_b32 v7, v3 :: v_dual_mov_b32 v6, v2
	s_delay_alu instid0(VALU_DEP_2)
	s_and_saveexec_b32 s15, s0
; %bb.2547:                             ;   in Loop: Header=BB462_1471 Depth=1
	v_and_b32_e32 v6, 7, v2
	s_delay_alu instid0(VALU_DEP_1) | instskip(NEXT) | instid1(VALU_DEP_1)
	v_clz_i32_u32_e32 v6, v6
	v_min_u32_e32 v9, 32, v6
	s_delay_alu instid0(VALU_DEP_1) | instskip(SKIP_1) | instid1(VALU_DEP_2)
	v_subrev_nc_u32_e32 v6, 28, v9
	v_sub_nc_u32_e32 v9, 29, v9
	v_lshlrev_b64 v[6:7], v6, v[2:3]
; %bb.2548:                             ;   in Loop: Header=BB462_1471 Depth=1
	s_or_b32 exec_lo, exec_lo, s15
	s_delay_alu instid0(VALU_DEP_1) | instskip(SKIP_2) | instid1(VALU_DEP_3)
	v_lshlrev_b32_e32 v6, 20, v6
	v_lshlrev_b32_e32 v7, 24, v2
	v_lshl_add_u32 v9, v9, 23, 0x3c000000
	v_and_b32_e32 v6, 0x700000, v6
	s_delay_alu instid0(VALU_DEP_3) | instskip(NEXT) | instid1(VALU_DEP_1)
	v_and_b32_e32 v7, 0x80000000, v7
	v_or3_b32 v6, v6, v7, v9
.LBB462_2549:                           ;   in Loop: Header=BB462_1471 Depth=1
	s_or_b32 exec_lo, exec_lo, s13
.LBB462_2550:                           ;   in Loop: Header=BB462_1471 Depth=1
	s_delay_alu instid0(SALU_CYCLE_1)
	s_or_b32 exec_lo, exec_lo, s12
.LBB462_2551:                           ;   in Loop: Header=BB462_1471 Depth=1
	s_delay_alu instid0(SALU_CYCLE_1) | instskip(NEXT) | instid1(VALU_DEP_1)
	s_or_b32 exec_lo, exec_lo, s9
	v_mul_f32_e32 v6, v26, v6
                                        ; implicit-def: $vgpr45
	s_delay_alu instid0(VALU_DEP_1) | instskip(NEXT) | instid1(VALU_DEP_1)
	v_and_b32_e32 v7, 0x7f800000, v6
	v_cmp_ne_u32_e64 s0, 0x7f800000, v7
	s_delay_alu instid0(VALU_DEP_1) | instskip(NEXT) | instid1(SALU_CYCLE_1)
	s_and_saveexec_b32 s9, s0
	s_xor_b32 s0, exec_lo, s9
; %bb.2552:                             ;   in Loop: Header=BB462_1471 Depth=1
	v_bfe_u32 v7, v6, 16, 1
	s_delay_alu instid0(VALU_DEP_1)
	v_add3_u32 v45, v6, v7, 0x7fff
                                        ; implicit-def: $vgpr6
; %bb.2553:                             ;   in Loop: Header=BB462_1471 Depth=1
	s_and_not1_saveexec_b32 s9, s0
; %bb.2554:                             ;   in Loop: Header=BB462_1471 Depth=1
	v_and_b32_e32 v7, 0xffff, v6
	v_or_b32_e32 v9, 0x10000, v6
	s_delay_alu instid0(VALU_DEP_2) | instskip(NEXT) | instid1(VALU_DEP_1)
	v_cmp_eq_u32_e64 s0, 0, v7
	v_cndmask_b32_e64 v45, v9, v6, s0
; %bb.2555:                             ;   in Loop: Header=BB462_1471 Depth=1
	s_or_b32 exec_lo, exec_lo, s9
	v_lshrrev_b16 v7, 8, v2
	v_mov_b32_e32 v6, 0
	s_mov_b32 s9, exec_lo
	s_delay_alu instid0(VALU_DEP_2)
	v_cmpx_ne_u16_e32 0, v7
	s_cbranch_execz .LBB462_2563
; %bb.2556:                             ;   in Loop: Header=BB462_1471 Depth=1
	v_bfrev_b32_e32 v6, 1
	s_mov_b32 s12, exec_lo
	v_cmpx_ne_u16_e32 0x80, v7
	s_cbranch_execz .LBB462_2562
; %bb.2557:                             ;   in Loop: Header=BB462_1471 Depth=1
	v_and_b32_e32 v9, 0xffff, v7
	v_mov_b32_e32 v6, 0x7f800001
	s_mov_b32 s13, exec_lo
	s_delay_alu instid0(VALU_DEP_2) | instskip(NEXT) | instid1(VALU_DEP_1)
	v_and_b32_e32 v7, 0x7f, v9
	v_cmpx_ne_u32_e32 0x7f, v7
	s_cbranch_execz .LBB462_2561
; %bb.2558:                             ;   in Loop: Header=BB462_1471 Depth=1
	v_and_b32_e32 v9, 7, v9
	v_lshrrev_b32_e32 v46, 3, v7
	v_cmp_gt_u32_e64 s0, 8, v7
	s_delay_alu instid0(VALU_DEP_3) | instskip(NEXT) | instid1(VALU_DEP_2)
	v_dual_mov_b32 v6, v9 :: v_dual_mov_b32 v7, v10
	s_and_saveexec_b32 s15, s0
; %bb.2559:                             ;   in Loop: Header=BB462_1471 Depth=1
	v_clz_i32_u32_e32 v6, v9
	s_delay_alu instid0(VALU_DEP_1) | instskip(NEXT) | instid1(VALU_DEP_1)
	v_min_u32_e32 v46, 32, v6
	v_subrev_nc_u32_e32 v6, 28, v46
	v_sub_nc_u32_e32 v46, 29, v46
	s_delay_alu instid0(VALU_DEP_2) | instskip(NEXT) | instid1(VALU_DEP_1)
	v_lshlrev_b64 v[6:7], v6, v[9:10]
	v_and_b32_e32 v6, 7, v6
; %bb.2560:                             ;   in Loop: Header=BB462_1471 Depth=1
	s_or_b32 exec_lo, exec_lo, s15
	v_lshlrev_b32_e32 v7, 16, v2
	s_delay_alu instid0(VALU_DEP_2) | instskip(SKIP_1) | instid1(VALU_DEP_3)
	v_lshlrev_b32_e32 v6, 20, v6
	v_lshl_add_u32 v9, v46, 23, 0x3c000000
	v_and_b32_e32 v7, 0x80000000, v7
	s_delay_alu instid0(VALU_DEP_1)
	v_or3_b32 v6, v6, v7, v9
.LBB462_2561:                           ;   in Loop: Header=BB462_1471 Depth=1
	s_or_b32 exec_lo, exec_lo, s13
.LBB462_2562:                           ;   in Loop: Header=BB462_1471 Depth=1
	s_delay_alu instid0(SALU_CYCLE_1)
	s_or_b32 exec_lo, exec_lo, s12
.LBB462_2563:                           ;   in Loop: Header=BB462_1471 Depth=1
	s_delay_alu instid0(SALU_CYCLE_1) | instskip(NEXT) | instid1(VALU_DEP_1)
	s_or_b32 exec_lo, exec_lo, s9
	v_mul_f32_e32 v6, v26, v6
                                        ; implicit-def: $vgpr46
	s_delay_alu instid0(VALU_DEP_1) | instskip(NEXT) | instid1(VALU_DEP_1)
	v_and_b32_e32 v7, 0x7f800000, v6
	v_cmp_ne_u32_e64 s0, 0x7f800000, v7
	s_delay_alu instid0(VALU_DEP_1) | instskip(NEXT) | instid1(SALU_CYCLE_1)
	s_and_saveexec_b32 s9, s0
	s_xor_b32 s0, exec_lo, s9
; %bb.2564:                             ;   in Loop: Header=BB462_1471 Depth=1
	v_bfe_u32 v7, v6, 16, 1
	s_delay_alu instid0(VALU_DEP_1)
	v_add3_u32 v46, v6, v7, 0x7fff
                                        ; implicit-def: $vgpr6
; %bb.2565:                             ;   in Loop: Header=BB462_1471 Depth=1
	s_and_not1_saveexec_b32 s9, s0
; %bb.2566:                             ;   in Loop: Header=BB462_1471 Depth=1
	v_and_b32_e32 v7, 0xffff, v6
	v_or_b32_e32 v9, 0x10000, v6
	s_delay_alu instid0(VALU_DEP_2) | instskip(NEXT) | instid1(VALU_DEP_1)
	v_cmp_eq_u32_e64 s0, 0, v7
	v_cndmask_b32_e64 v46, v9, v6, s0
; %bb.2567:                             ;   in Loop: Header=BB462_1471 Depth=1
	s_or_b32 exec_lo, exec_lo, s9
	v_lshrrev_b32_e32 v47, 16, v2
	s_mov_b32 s9, exec_lo
	s_delay_alu instid0(VALU_DEP_1) | instskip(NEXT) | instid1(VALU_DEP_1)
	v_dual_mov_b32 v6, 0 :: v_dual_and_b32 v7, 0xff, v47
	v_cmpx_ne_u16_e32 0, v7
	s_cbranch_execz .LBB462_2575
; %bb.2568:                             ;   in Loop: Header=BB462_1471 Depth=1
	v_bfrev_b32_e32 v6, 1
	s_mov_b32 s12, exec_lo
	v_cmpx_ne_u16_e32 0x80, v7
	s_cbranch_execz .LBB462_2574
; %bb.2569:                             ;   in Loop: Header=BB462_1471 Depth=1
	v_bfe_u32 v7, v2, 16, 7
	v_mov_b32_e32 v6, 0x7f800001
	s_mov_b32 s13, exec_lo
	s_delay_alu instid0(VALU_DEP_2)
	v_cmpx_ne_u32_e32 0x7f, v7
	s_cbranch_execz .LBB462_2573
; %bb.2570:                             ;   in Loop: Header=BB462_1471 Depth=1
	v_and_b32_e32 v9, 7, v47
	v_lshrrev_b32_e32 v56, 3, v7
	v_cmp_gt_u32_e64 s0, 8, v7
	s_delay_alu instid0(VALU_DEP_3) | instskip(NEXT) | instid1(VALU_DEP_2)
	v_dual_mov_b32 v6, v9 :: v_dual_mov_b32 v7, v10
	s_and_saveexec_b32 s15, s0
; %bb.2571:                             ;   in Loop: Header=BB462_1471 Depth=1
	v_clz_i32_u32_e32 v6, v9
	s_delay_alu instid0(VALU_DEP_1) | instskip(NEXT) | instid1(VALU_DEP_1)
	v_min_u32_e32 v56, 32, v6
	v_subrev_nc_u32_e32 v6, 28, v56
	v_sub_nc_u32_e32 v56, 29, v56
	s_delay_alu instid0(VALU_DEP_2) | instskip(NEXT) | instid1(VALU_DEP_1)
	v_lshlrev_b64 v[6:7], v6, v[9:10]
	v_and_b32_e32 v6, 7, v6
; %bb.2572:                             ;   in Loop: Header=BB462_1471 Depth=1
	s_or_b32 exec_lo, exec_lo, s15
	v_lshlrev_b32_e32 v7, 24, v47
	s_delay_alu instid0(VALU_DEP_2) | instskip(SKIP_1) | instid1(VALU_DEP_3)
	v_lshlrev_b32_e32 v6, 20, v6
	v_lshl_add_u32 v9, v56, 23, 0x3c000000
	v_and_b32_e32 v7, 0x80000000, v7
	s_delay_alu instid0(VALU_DEP_1)
	v_or3_b32 v6, v6, v7, v9
.LBB462_2573:                           ;   in Loop: Header=BB462_1471 Depth=1
	s_or_b32 exec_lo, exec_lo, s13
.LBB462_2574:                           ;   in Loop: Header=BB462_1471 Depth=1
	s_delay_alu instid0(SALU_CYCLE_1)
	s_or_b32 exec_lo, exec_lo, s12
.LBB462_2575:                           ;   in Loop: Header=BB462_1471 Depth=1
	s_delay_alu instid0(SALU_CYCLE_1) | instskip(NEXT) | instid1(VALU_DEP_1)
	s_or_b32 exec_lo, exec_lo, s9
	v_mul_f32_e32 v6, v26, v6
                                        ; implicit-def: $vgpr47
	s_delay_alu instid0(VALU_DEP_1) | instskip(NEXT) | instid1(VALU_DEP_1)
	v_and_b32_e32 v7, 0x7f800000, v6
	v_cmp_ne_u32_e64 s0, 0x7f800000, v7
	s_delay_alu instid0(VALU_DEP_1) | instskip(NEXT) | instid1(SALU_CYCLE_1)
	s_and_saveexec_b32 s9, s0
	s_xor_b32 s0, exec_lo, s9
; %bb.2576:                             ;   in Loop: Header=BB462_1471 Depth=1
	v_bfe_u32 v7, v6, 16, 1
	s_delay_alu instid0(VALU_DEP_1)
	v_add3_u32 v47, v6, v7, 0x7fff
                                        ; implicit-def: $vgpr6
; %bb.2577:                             ;   in Loop: Header=BB462_1471 Depth=1
	s_and_not1_saveexec_b32 s9, s0
; %bb.2578:                             ;   in Loop: Header=BB462_1471 Depth=1
	v_and_b32_e32 v7, 0xffff, v6
	v_or_b32_e32 v9, 0x10000, v6
	s_delay_alu instid0(VALU_DEP_2) | instskip(NEXT) | instid1(VALU_DEP_1)
	v_cmp_eq_u32_e64 s0, 0, v7
	v_cndmask_b32_e64 v47, v9, v6, s0
; %bb.2579:                             ;   in Loop: Header=BB462_1471 Depth=1
	s_or_b32 exec_lo, exec_lo, s9
	v_mov_b32_e32 v6, 0
	s_mov_b32 s9, exec_lo
	v_cmpx_lt_u32_e32 0xffffff, v2
	s_cbranch_execz .LBB462_2587
; %bb.2580:                             ;   in Loop: Header=BB462_1471 Depth=1
	v_lshrrev_b32_e32 v56, 24, v2
	v_bfrev_b32_e32 v6, 1
	s_mov_b32 s12, exec_lo
	s_delay_alu instid0(VALU_DEP_2)
	v_cmpx_ne_u32_e32 0x80, v56
	s_cbranch_execz .LBB462_2586
; %bb.2581:                             ;   in Loop: Header=BB462_1471 Depth=1
	v_bfe_u32 v7, v2, 24, 7
	v_mov_b32_e32 v6, 0x7f800001
	s_mov_b32 s13, exec_lo
	s_delay_alu instid0(VALU_DEP_2)
	v_cmpx_ne_u32_e32 0x7f, v7
	s_cbranch_execz .LBB462_2585
; %bb.2582:                             ;   in Loop: Header=BB462_1471 Depth=1
	v_and_b32_e32 v9, 7, v56
	v_lshrrev_b32_e32 v57, 3, v7
	v_cmp_gt_u32_e64 s0, 8, v7
	s_delay_alu instid0(VALU_DEP_3) | instskip(NEXT) | instid1(VALU_DEP_2)
	v_dual_mov_b32 v6, v9 :: v_dual_mov_b32 v7, v10
	s_and_saveexec_b32 s15, s0
; %bb.2583:                             ;   in Loop: Header=BB462_1471 Depth=1
	v_clz_i32_u32_e32 v6, v9
	s_delay_alu instid0(VALU_DEP_1) | instskip(NEXT) | instid1(VALU_DEP_1)
	v_min_u32_e32 v57, 32, v6
	v_subrev_nc_u32_e32 v6, 28, v57
	v_sub_nc_u32_e32 v57, 29, v57
	s_delay_alu instid0(VALU_DEP_2) | instskip(NEXT) | instid1(VALU_DEP_1)
	v_lshlrev_b64 v[6:7], v6, v[9:10]
	v_and_b32_e32 v6, 7, v6
; %bb.2584:                             ;   in Loop: Header=BB462_1471 Depth=1
	s_or_b32 exec_lo, exec_lo, s15
	v_lshlrev_b32_e32 v7, 24, v56
	s_delay_alu instid0(VALU_DEP_2) | instskip(SKIP_1) | instid1(VALU_DEP_3)
	v_lshlrev_b32_e32 v6, 20, v6
	v_lshl_add_u32 v9, v57, 23, 0x3c000000
	v_and_b32_e32 v7, 0x80000000, v7
	s_delay_alu instid0(VALU_DEP_1)
	v_or3_b32 v6, v6, v7, v9
.LBB462_2585:                           ;   in Loop: Header=BB462_1471 Depth=1
	s_or_b32 exec_lo, exec_lo, s13
.LBB462_2586:                           ;   in Loop: Header=BB462_1471 Depth=1
	s_delay_alu instid0(SALU_CYCLE_1)
	s_or_b32 exec_lo, exec_lo, s12
.LBB462_2587:                           ;   in Loop: Header=BB462_1471 Depth=1
	s_delay_alu instid0(SALU_CYCLE_1) | instskip(NEXT) | instid1(VALU_DEP_1)
	s_or_b32 exec_lo, exec_lo, s9
	v_mul_f32_e32 v6, v26, v6
                                        ; implicit-def: $vgpr56
	s_delay_alu instid0(VALU_DEP_1) | instskip(NEXT) | instid1(VALU_DEP_1)
	v_and_b32_e32 v7, 0x7f800000, v6
	v_cmp_ne_u32_e64 s0, 0x7f800000, v7
	s_delay_alu instid0(VALU_DEP_1) | instskip(NEXT) | instid1(SALU_CYCLE_1)
	s_and_saveexec_b32 s9, s0
	s_xor_b32 s0, exec_lo, s9
; %bb.2588:                             ;   in Loop: Header=BB462_1471 Depth=1
	v_bfe_u32 v7, v6, 16, 1
	s_delay_alu instid0(VALU_DEP_1)
	v_add3_u32 v56, v6, v7, 0x7fff
                                        ; implicit-def: $vgpr6
; %bb.2589:                             ;   in Loop: Header=BB462_1471 Depth=1
	s_and_not1_saveexec_b32 s9, s0
; %bb.2590:                             ;   in Loop: Header=BB462_1471 Depth=1
	v_and_b32_e32 v7, 0xffff, v6
	v_or_b32_e32 v9, 0x10000, v6
	s_delay_alu instid0(VALU_DEP_2) | instskip(NEXT) | instid1(VALU_DEP_1)
	v_cmp_eq_u32_e64 s0, 0, v7
	v_cndmask_b32_e64 v56, v9, v6, s0
; %bb.2591:                             ;   in Loop: Header=BB462_1471 Depth=1
	s_or_b32 exec_lo, exec_lo, s9
	v_dual_mov_b32 v6, 0 :: v_dual_and_b32 v7, 0xff, v3
	v_mov_b32_e32 v9, v3
	s_mov_b32 s9, exec_lo
	s_delay_alu instid0(VALU_DEP_2)
	v_cmpx_ne_u16_e32 0, v7
	s_cbranch_execz .LBB462_2599
; %bb.2592:                             ;   in Loop: Header=BB462_1471 Depth=1
	v_bfrev_b32_e32 v6, 1
	s_mov_b32 s12, exec_lo
	v_cmpx_ne_u16_e32 0x80, v7
	s_cbranch_execz .LBB462_2598
; %bb.2593:                             ;   in Loop: Header=BB462_1471 Depth=1
	v_and_b32_e32 v7, 0x7f, v3
	v_mov_b32_e32 v6, 0x7f800001
	s_mov_b32 s13, exec_lo
	s_delay_alu instid0(VALU_DEP_2)
	v_cmpx_ne_u32_e32 0x7f, v7
	s_cbranch_execz .LBB462_2597
; %bb.2594:                             ;   in Loop: Header=BB462_1471 Depth=1
	v_lshrrev_b32_e32 v57, 3, v7
	v_cmp_gt_u32_e64 s0, 8, v7
	v_dual_mov_b32 v6, v9 :: v_dual_mov_b32 v7, v10
	s_delay_alu instid0(VALU_DEP_2)
	s_and_saveexec_b32 s15, s0
; %bb.2595:                             ;   in Loop: Header=BB462_1471 Depth=1
	v_and_b32_e32 v6, 7, v3
	s_delay_alu instid0(VALU_DEP_1) | instskip(NEXT) | instid1(VALU_DEP_1)
	v_clz_i32_u32_e32 v6, v6
	v_min_u32_e32 v57, 32, v6
	s_delay_alu instid0(VALU_DEP_1) | instskip(SKIP_1) | instid1(VALU_DEP_2)
	v_subrev_nc_u32_e32 v6, 28, v57
	v_sub_nc_u32_e32 v57, 29, v57
	v_lshlrev_b64 v[6:7], v6, v[9:10]
; %bb.2596:                             ;   in Loop: Header=BB462_1471 Depth=1
	s_or_b32 exec_lo, exec_lo, s15
	s_delay_alu instid0(VALU_DEP_1) | instskip(SKIP_2) | instid1(VALU_DEP_3)
	v_lshlrev_b32_e32 v6, 20, v6
	v_lshlrev_b32_e32 v7, 24, v9
	v_lshl_add_u32 v57, v57, 23, 0x3c000000
	v_and_b32_e32 v6, 0x700000, v6
	s_delay_alu instid0(VALU_DEP_3) | instskip(NEXT) | instid1(VALU_DEP_1)
	v_and_b32_e32 v7, 0x80000000, v7
	v_or3_b32 v6, v6, v7, v57
.LBB462_2597:                           ;   in Loop: Header=BB462_1471 Depth=1
	s_or_b32 exec_lo, exec_lo, s13
.LBB462_2598:                           ;   in Loop: Header=BB462_1471 Depth=1
	s_delay_alu instid0(SALU_CYCLE_1)
	s_or_b32 exec_lo, exec_lo, s12
.LBB462_2599:                           ;   in Loop: Header=BB462_1471 Depth=1
	s_delay_alu instid0(SALU_CYCLE_1) | instskip(NEXT) | instid1(VALU_DEP_1)
	s_or_b32 exec_lo, exec_lo, s9
	v_mul_f32_e32 v6, v26, v6
                                        ; implicit-def: $vgpr57
	s_delay_alu instid0(VALU_DEP_1) | instskip(NEXT) | instid1(VALU_DEP_1)
	v_and_b32_e32 v7, 0x7f800000, v6
	v_cmp_ne_u32_e64 s0, 0x7f800000, v7
	s_delay_alu instid0(VALU_DEP_1) | instskip(NEXT) | instid1(SALU_CYCLE_1)
	s_and_saveexec_b32 s9, s0
	s_xor_b32 s0, exec_lo, s9
; %bb.2600:                             ;   in Loop: Header=BB462_1471 Depth=1
	v_bfe_u32 v7, v6, 16, 1
	s_delay_alu instid0(VALU_DEP_1)
	v_add3_u32 v57, v6, v7, 0x7fff
                                        ; implicit-def: $vgpr6
; %bb.2601:                             ;   in Loop: Header=BB462_1471 Depth=1
	s_and_not1_saveexec_b32 s9, s0
; %bb.2602:                             ;   in Loop: Header=BB462_1471 Depth=1
	v_and_b32_e32 v7, 0xffff, v6
	v_or_b32_e32 v57, 0x10000, v6
	s_delay_alu instid0(VALU_DEP_2) | instskip(NEXT) | instid1(VALU_DEP_1)
	v_cmp_eq_u32_e64 s0, 0, v7
	v_cndmask_b32_e64 v57, v57, v6, s0
; %bb.2603:                             ;   in Loop: Header=BB462_1471 Depth=1
	s_or_b32 exec_lo, exec_lo, s9
	v_lshrrev_b16 v7, 8, v9
	v_mov_b32_e32 v6, 0
	s_mov_b32 s9, exec_lo
	s_delay_alu instid0(VALU_DEP_2)
	v_cmpx_ne_u16_e32 0, v7
	s_cbranch_execz .LBB462_2611
; %bb.2604:                             ;   in Loop: Header=BB462_1471 Depth=1
	v_bfrev_b32_e32 v6, 1
	s_mov_b32 s12, exec_lo
	v_cmpx_ne_u16_e32 0x80, v7
	s_cbranch_execz .LBB462_2610
; %bb.2605:                             ;   in Loop: Header=BB462_1471 Depth=1
	v_and_b32_e32 v7, 0xffff, v7
	v_mov_b32_e32 v6, 0x7f800001
	s_mov_b32 s13, exec_lo
	s_delay_alu instid0(VALU_DEP_2) | instskip(NEXT) | instid1(VALU_DEP_1)
	v_and_b32_e32 v59, 0x7f, v7
	v_cmpx_ne_u32_e32 0x7f, v59
	s_cbranch_execz .LBB462_2609
; %bb.2606:                             ;   in Loop: Header=BB462_1471 Depth=1
	v_dual_mov_b32 v7, v10 :: v_dual_and_b32 v6, 7, v7
	v_lshrrev_b32_e32 v58, 3, v59
	s_mov_b32 s15, exec_lo
	v_cmpx_gt_u32_e32 8, v59
; %bb.2607:                             ;   in Loop: Header=BB462_1471 Depth=1
	s_delay_alu instid0(VALU_DEP_3) | instskip(NEXT) | instid1(VALU_DEP_1)
	v_clz_i32_u32_e32 v58, v6
	v_min_u32_e32 v58, 32, v58
	s_delay_alu instid0(VALU_DEP_1) | instskip(SKIP_1) | instid1(VALU_DEP_2)
	v_subrev_nc_u32_e32 v59, 28, v58
	v_sub_nc_u32_e32 v58, 29, v58
	v_lshlrev_b64 v[6:7], v59, v[6:7]
	s_delay_alu instid0(VALU_DEP_1)
	v_and_b32_e32 v6, 7, v6
; %bb.2608:                             ;   in Loop: Header=BB462_1471 Depth=1
	s_or_b32 exec_lo, exec_lo, s15
	v_lshlrev_b32_e32 v7, 16, v9
	s_delay_alu instid0(VALU_DEP_2) | instskip(SKIP_1) | instid1(VALU_DEP_3)
	v_lshlrev_b32_e32 v6, 20, v6
	v_lshl_add_u32 v9, v58, 23, 0x3c000000
	v_and_b32_e32 v7, 0x80000000, v7
	s_delay_alu instid0(VALU_DEP_1)
	v_or3_b32 v6, v6, v7, v9
.LBB462_2609:                           ;   in Loop: Header=BB462_1471 Depth=1
	s_or_b32 exec_lo, exec_lo, s13
.LBB462_2610:                           ;   in Loop: Header=BB462_1471 Depth=1
	s_delay_alu instid0(SALU_CYCLE_1)
	s_or_b32 exec_lo, exec_lo, s12
.LBB462_2611:                           ;   in Loop: Header=BB462_1471 Depth=1
	s_delay_alu instid0(SALU_CYCLE_1) | instskip(NEXT) | instid1(VALU_DEP_1)
	s_or_b32 exec_lo, exec_lo, s9
	v_mul_f32_e32 v6, v26, v6
                                        ; implicit-def: $vgpr58
	s_delay_alu instid0(VALU_DEP_1) | instskip(NEXT) | instid1(VALU_DEP_1)
	v_and_b32_e32 v7, 0x7f800000, v6
	v_cmp_ne_u32_e64 s0, 0x7f800000, v7
	s_delay_alu instid0(VALU_DEP_1) | instskip(NEXT) | instid1(SALU_CYCLE_1)
	s_and_saveexec_b32 s9, s0
	s_xor_b32 s0, exec_lo, s9
; %bb.2612:                             ;   in Loop: Header=BB462_1471 Depth=1
	v_bfe_u32 v7, v6, 16, 1
	s_delay_alu instid0(VALU_DEP_1)
	v_add3_u32 v58, v6, v7, 0x7fff
                                        ; implicit-def: $vgpr6
; %bb.2613:                             ;   in Loop: Header=BB462_1471 Depth=1
	s_and_not1_saveexec_b32 s9, s0
; %bb.2614:                             ;   in Loop: Header=BB462_1471 Depth=1
	v_and_b32_e32 v7, 0xffff, v6
	v_or_b32_e32 v9, 0x10000, v6
	s_delay_alu instid0(VALU_DEP_2) | instskip(NEXT) | instid1(VALU_DEP_1)
	v_cmp_eq_u32_e64 s0, 0, v7
	v_cndmask_b32_e64 v58, v9, v6, s0
; %bb.2615:                             ;   in Loop: Header=BB462_1471 Depth=1
	s_or_b32 exec_lo, exec_lo, s9
	v_lshrrev_b32_e32 v59, 16, v3
	s_mov_b32 s9, exec_lo
	s_delay_alu instid0(VALU_DEP_1) | instskip(NEXT) | instid1(VALU_DEP_1)
	v_dual_mov_b32 v6, 0 :: v_dual_and_b32 v7, 0xff, v59
	v_cmpx_ne_u16_e32 0, v7
	s_cbranch_execz .LBB462_2623
; %bb.2616:                             ;   in Loop: Header=BB462_1471 Depth=1
	v_bfrev_b32_e32 v6, 1
	s_mov_b32 s12, exec_lo
	v_cmpx_ne_u16_e32 0x80, v7
	s_cbranch_execz .LBB462_2622
; %bb.2617:                             ;   in Loop: Header=BB462_1471 Depth=1
	v_bfe_u32 v7, v3, 16, 7
	v_mov_b32_e32 v6, 0x7f800001
	s_mov_b32 s13, exec_lo
	s_delay_alu instid0(VALU_DEP_2)
	v_cmpx_ne_u32_e32 0x7f, v7
	s_cbranch_execz .LBB462_2621
; %bb.2618:                             ;   in Loop: Header=BB462_1471 Depth=1
	v_and_b32_e32 v9, 7, v59
	v_lshrrev_b32_e32 v60, 3, v7
	v_cmp_gt_u32_e64 s0, 8, v7
	s_delay_alu instid0(VALU_DEP_3) | instskip(NEXT) | instid1(VALU_DEP_2)
	v_dual_mov_b32 v6, v9 :: v_dual_mov_b32 v7, v10
	s_and_saveexec_b32 s15, s0
; %bb.2619:                             ;   in Loop: Header=BB462_1471 Depth=1
	v_clz_i32_u32_e32 v6, v9
	s_delay_alu instid0(VALU_DEP_1) | instskip(NEXT) | instid1(VALU_DEP_1)
	v_min_u32_e32 v60, 32, v6
	v_subrev_nc_u32_e32 v6, 28, v60
	v_sub_nc_u32_e32 v60, 29, v60
	s_delay_alu instid0(VALU_DEP_2) | instskip(NEXT) | instid1(VALU_DEP_1)
	v_lshlrev_b64 v[6:7], v6, v[9:10]
	v_and_b32_e32 v6, 7, v6
; %bb.2620:                             ;   in Loop: Header=BB462_1471 Depth=1
	s_or_b32 exec_lo, exec_lo, s15
	v_lshlrev_b32_e32 v7, 24, v59
	s_delay_alu instid0(VALU_DEP_2) | instskip(SKIP_1) | instid1(VALU_DEP_3)
	v_lshlrev_b32_e32 v6, 20, v6
	v_lshl_add_u32 v9, v60, 23, 0x3c000000
	v_and_b32_e32 v7, 0x80000000, v7
	s_delay_alu instid0(VALU_DEP_1)
	v_or3_b32 v6, v6, v7, v9
.LBB462_2621:                           ;   in Loop: Header=BB462_1471 Depth=1
	s_or_b32 exec_lo, exec_lo, s13
.LBB462_2622:                           ;   in Loop: Header=BB462_1471 Depth=1
	s_delay_alu instid0(SALU_CYCLE_1)
	s_or_b32 exec_lo, exec_lo, s12
.LBB462_2623:                           ;   in Loop: Header=BB462_1471 Depth=1
	s_delay_alu instid0(SALU_CYCLE_1) | instskip(NEXT) | instid1(VALU_DEP_1)
	s_or_b32 exec_lo, exec_lo, s9
	v_mul_f32_e32 v6, v26, v6
                                        ; implicit-def: $vgpr59
	s_delay_alu instid0(VALU_DEP_1) | instskip(NEXT) | instid1(VALU_DEP_1)
	v_and_b32_e32 v7, 0x7f800000, v6
	v_cmp_ne_u32_e64 s0, 0x7f800000, v7
	s_delay_alu instid0(VALU_DEP_1) | instskip(NEXT) | instid1(SALU_CYCLE_1)
	s_and_saveexec_b32 s9, s0
	s_xor_b32 s0, exec_lo, s9
; %bb.2624:                             ;   in Loop: Header=BB462_1471 Depth=1
	v_bfe_u32 v7, v6, 16, 1
	s_delay_alu instid0(VALU_DEP_1)
	v_add3_u32 v59, v6, v7, 0x7fff
                                        ; implicit-def: $vgpr6
; %bb.2625:                             ;   in Loop: Header=BB462_1471 Depth=1
	s_and_not1_saveexec_b32 s9, s0
; %bb.2626:                             ;   in Loop: Header=BB462_1471 Depth=1
	v_and_b32_e32 v7, 0xffff, v6
	v_or_b32_e32 v9, 0x10000, v6
	s_delay_alu instid0(VALU_DEP_2) | instskip(NEXT) | instid1(VALU_DEP_1)
	v_cmp_eq_u32_e64 s0, 0, v7
	v_cndmask_b32_e64 v59, v9, v6, s0
; %bb.2627:                             ;   in Loop: Header=BB462_1471 Depth=1
	s_or_b32 exec_lo, exec_lo, s9
	v_cmp_lt_u64_e64 s0, s[2:3], v[2:3]
	v_mov_b32_e32 v2, 0
	s_delay_alu instid0(VALU_DEP_2)
	s_and_saveexec_b32 s9, s0
	s_cbranch_execz .LBB462_2635
; %bb.2628:                             ;   in Loop: Header=BB462_1471 Depth=1
	v_lshrrev_b32_e32 v6, 24, v3
	v_bfrev_b32_e32 v2, 1
	s_mov_b32 s12, exec_lo
	s_delay_alu instid0(VALU_DEP_2)
	v_cmpx_ne_u32_e32 0x80, v6
	s_cbranch_execz .LBB462_2634
; %bb.2629:                             ;   in Loop: Header=BB462_1471 Depth=1
	v_bfe_u32 v3, v3, 24, 7
	v_mov_b32_e32 v2, 0x7f800001
	s_mov_b32 s13, exec_lo
	s_delay_alu instid0(VALU_DEP_2)
	v_cmpx_ne_u32_e32 0x7f, v3
	s_cbranch_execz .LBB462_2633
; %bb.2630:                             ;   in Loop: Header=BB462_1471 Depth=1
	v_and_b32_e32 v9, 7, v6
	v_lshrrev_b32_e32 v7, 3, v3
	v_cmp_gt_u32_e64 s0, 8, v3
	s_delay_alu instid0(VALU_DEP_3) | instskip(NEXT) | instid1(VALU_DEP_2)
	v_dual_mov_b32 v2, v9 :: v_dual_mov_b32 v3, v10
	s_and_saveexec_b32 s15, s0
; %bb.2631:                             ;   in Loop: Header=BB462_1471 Depth=1
	v_clz_i32_u32_e32 v2, v9
	s_delay_alu instid0(VALU_DEP_1) | instskip(NEXT) | instid1(VALU_DEP_1)
	v_min_u32_e32 v7, 32, v2
	v_subrev_nc_u32_e32 v2, 28, v7
	v_sub_nc_u32_e32 v7, 29, v7
	s_delay_alu instid0(VALU_DEP_2) | instskip(NEXT) | instid1(VALU_DEP_1)
	v_lshlrev_b64 v[2:3], v2, v[9:10]
	v_and_b32_e32 v2, 7, v2
; %bb.2632:                             ;   in Loop: Header=BB462_1471 Depth=1
	s_or_b32 exec_lo, exec_lo, s15
	v_lshlrev_b32_e32 v3, 24, v6
	s_delay_alu instid0(VALU_DEP_2) | instskip(SKIP_1) | instid1(VALU_DEP_3)
	v_lshlrev_b32_e32 v2, 20, v2
	v_lshl_add_u32 v6, v7, 23, 0x3c000000
	v_and_b32_e32 v3, 0x80000000, v3
	s_delay_alu instid0(VALU_DEP_1)
	v_or3_b32 v2, v2, v3, v6
.LBB462_2633:                           ;   in Loop: Header=BB462_1471 Depth=1
	s_or_b32 exec_lo, exec_lo, s13
.LBB462_2634:                           ;   in Loop: Header=BB462_1471 Depth=1
	s_delay_alu instid0(SALU_CYCLE_1)
	s_or_b32 exec_lo, exec_lo, s12
.LBB462_2635:                           ;   in Loop: Header=BB462_1471 Depth=1
	s_delay_alu instid0(SALU_CYCLE_1) | instskip(NEXT) | instid1(VALU_DEP_1)
	s_or_b32 exec_lo, exec_lo, s9
	v_mul_f32_e32 v3, v26, v2
	s_delay_alu instid0(VALU_DEP_1) | instskip(NEXT) | instid1(VALU_DEP_1)
	v_and_b32_e32 v2, 0x7f800000, v3
	v_cmp_ne_u32_e64 s0, 0x7f800000, v2
                                        ; implicit-def: $vgpr2
	s_delay_alu instid0(VALU_DEP_1) | instskip(NEXT) | instid1(SALU_CYCLE_1)
	s_and_saveexec_b32 s9, s0
	s_xor_b32 s0, exec_lo, s9
; %bb.2636:                             ;   in Loop: Header=BB462_1471 Depth=1
	v_bfe_u32 v2, v3, 16, 1
	s_delay_alu instid0(VALU_DEP_1)
	v_add3_u32 v2, v3, v2, 0x7fff
                                        ; implicit-def: $vgpr3
; %bb.2637:                             ;   in Loop: Header=BB462_1471 Depth=1
	s_and_not1_saveexec_b32 s9, s0
; %bb.2638:                             ;   in Loop: Header=BB462_1471 Depth=1
	v_and_b32_e32 v2, 0xffff, v3
	v_or_b32_e32 v6, 0x10000, v3
	s_delay_alu instid0(VALU_DEP_2) | instskip(NEXT) | instid1(VALU_DEP_1)
	v_cmp_eq_u32_e64 s0, 0, v2
	v_cndmask_b32_e64 v2, v6, v3, s0
; %bb.2639:                             ;   in Loop: Header=BB462_1471 Depth=1
	s_or_b32 exec_lo, exec_lo, s9
	v_lshrrev_b32_e32 v6, 16, v58
	v_lshrrev_b32_e32 v7, 16, v57
	;; [unrolled: 1-line block ×8, first 2 shown]
	s_and_saveexec_b32 s9, vcc_lo
	s_cbranch_execz .LBB462_2641
; %bb.2640:                             ;   in Loop: Header=BB462_1471 Depth=1
	v_cmp_lt_i32_e64 s0, v67, v36
	s_delay_alu instid0(VALU_DEP_1) | instskip(SKIP_1) | instid1(VALU_DEP_1)
	v_cndmask_b32_e64 v45, 0, v45, s0
	v_cmp_lt_i32_e64 s0, v81, v36
	v_cndmask_b32_e64 v46, 0, v46, s0
	v_cmp_lt_i32_e64 s0, v80, v36
	s_delay_alu instid0(VALU_DEP_1) | instskip(SKIP_1) | instid1(VALU_DEP_1)
	v_cndmask_b32_e64 v47, 0, v47, s0
	v_cmp_lt_i32_e64 s0, v71, v36
	v_cndmask_b32_e64 v9, 0, v9, s0
	;; [unrolled: 5-line block ×4, first 2 shown]
.LBB462_2641:                           ;   in Loop: Header=BB462_1471 Depth=1
	s_or_b32 exec_lo, exec_lo, s9
	v_lshlrev_b32_e32 v45, 16, v45
	s_delay_alu instid0(VALU_DEP_1) | instskip(NEXT) | instid1(VALU_DEP_1)
	v_mul_f32_e32 v56, v82, v45
	v_and_b32_e32 v45, 0x7f800000, v56
	s_delay_alu instid0(VALU_DEP_1) | instskip(NEXT) | instid1(VALU_DEP_1)
	v_cmp_ne_u32_e64 s0, 0x7f800000, v45
                                        ; implicit-def: $vgpr45
	s_and_saveexec_b32 s9, s0
	s_delay_alu instid0(SALU_CYCLE_1)
	s_xor_b32 s0, exec_lo, s9
; %bb.2642:                             ;   in Loop: Header=BB462_1471 Depth=1
	v_bfe_u32 v45, v56, 16, 1
	s_delay_alu instid0(VALU_DEP_1)
	v_add3_u32 v45, v56, v45, 0x7fff
                                        ; implicit-def: $vgpr56
; %bb.2643:                             ;   in Loop: Header=BB462_1471 Depth=1
	s_and_not1_saveexec_b32 s9, s0
; %bb.2644:                             ;   in Loop: Header=BB462_1471 Depth=1
	v_and_b32_e32 v45, 0xffff, v56
	v_or_b32_e32 v57, 0x10000, v56
	s_delay_alu instid0(VALU_DEP_2) | instskip(NEXT) | instid1(VALU_DEP_1)
	v_cmp_eq_u32_e64 s0, 0, v45
	v_cndmask_b32_e64 v45, v57, v56, s0
; %bb.2645:                             ;   in Loop: Header=BB462_1471 Depth=1
	s_or_b32 exec_lo, exec_lo, s9
	v_lshlrev_b32_e32 v46, 16, v46
	s_delay_alu instid0(VALU_DEP_1) | instskip(NEXT) | instid1(VALU_DEP_1)
	v_mul_f32_e32 v56, v83, v46
	v_and_b32_e32 v46, 0x7f800000, v56
	s_delay_alu instid0(VALU_DEP_1) | instskip(NEXT) | instid1(VALU_DEP_1)
	v_cmp_ne_u32_e64 s0, 0x7f800000, v46
                                        ; implicit-def: $vgpr46
	s_and_saveexec_b32 s9, s0
	s_delay_alu instid0(SALU_CYCLE_1)
	s_xor_b32 s0, exec_lo, s9
; %bb.2646:                             ;   in Loop: Header=BB462_1471 Depth=1
	v_bfe_u32 v46, v56, 16, 1
	s_delay_alu instid0(VALU_DEP_1)
	v_add3_u32 v46, v56, v46, 0x7fff
                                        ; implicit-def: $vgpr56
; %bb.2647:                             ;   in Loop: Header=BB462_1471 Depth=1
	s_and_not1_saveexec_b32 s9, s0
; %bb.2648:                             ;   in Loop: Header=BB462_1471 Depth=1
	v_and_b32_e32 v46, 0xffff, v56
	v_or_b32_e32 v57, 0x10000, v56
	s_delay_alu instid0(VALU_DEP_2) | instskip(NEXT) | instid1(VALU_DEP_1)
	v_cmp_eq_u32_e64 s0, 0, v46
	v_cndmask_b32_e64 v46, v57, v56, s0
; %bb.2649:                             ;   in Loop: Header=BB462_1471 Depth=1
	s_or_b32 exec_lo, exec_lo, s9
	v_lshlrev_b32_e32 v47, 16, v47
	s_delay_alu instid0(VALU_DEP_1) | instskip(NEXT) | instid1(VALU_DEP_1)
	v_mul_f32_e32 v56, v84, v47
	v_and_b32_e32 v47, 0x7f800000, v56
	s_delay_alu instid0(VALU_DEP_1) | instskip(NEXT) | instid1(VALU_DEP_1)
	v_cmp_ne_u32_e64 s0, 0x7f800000, v47
                                        ; implicit-def: $vgpr47
	s_and_saveexec_b32 s9, s0
	s_delay_alu instid0(SALU_CYCLE_1)
	s_xor_b32 s0, exec_lo, s9
; %bb.2650:                             ;   in Loop: Header=BB462_1471 Depth=1
	v_bfe_u32 v47, v56, 16, 1
	s_delay_alu instid0(VALU_DEP_1)
	v_add3_u32 v47, v56, v47, 0x7fff
                                        ; implicit-def: $vgpr56
; %bb.2651:                             ;   in Loop: Header=BB462_1471 Depth=1
	s_and_not1_saveexec_b32 s9, s0
; %bb.2652:                             ;   in Loop: Header=BB462_1471 Depth=1
	v_and_b32_e32 v47, 0xffff, v56
	v_or_b32_e32 v57, 0x10000, v56
	s_delay_alu instid0(VALU_DEP_2) | instskip(NEXT) | instid1(VALU_DEP_1)
	v_cmp_eq_u32_e64 s0, 0, v47
	v_cndmask_b32_e64 v47, v57, v56, s0
; %bb.2653:                             ;   in Loop: Header=BB462_1471 Depth=1
	s_or_b32 exec_lo, exec_lo, s9
	v_lshlrev_b32_e32 v9, 16, v9
	s_delay_alu instid0(VALU_DEP_1) | instskip(NEXT) | instid1(VALU_DEP_1)
	v_mul_f32_e32 v9, v85, v9
	v_and_b32_e32 v56, 0x7f800000, v9
	s_delay_alu instid0(VALU_DEP_1) | instskip(NEXT) | instid1(VALU_DEP_1)
	v_cmp_ne_u32_e64 s0, 0x7f800000, v56
                                        ; implicit-def: $vgpr56
	s_and_saveexec_b32 s9, s0
	s_delay_alu instid0(SALU_CYCLE_1)
	s_xor_b32 s0, exec_lo, s9
; %bb.2654:                             ;   in Loop: Header=BB462_1471 Depth=1
	v_bfe_u32 v56, v9, 16, 1
	s_delay_alu instid0(VALU_DEP_1)
	v_add3_u32 v56, v9, v56, 0x7fff
                                        ; implicit-def: $vgpr9
; %bb.2655:                             ;   in Loop: Header=BB462_1471 Depth=1
	s_and_not1_saveexec_b32 s9, s0
; %bb.2656:                             ;   in Loop: Header=BB462_1471 Depth=1
	v_and_b32_e32 v56, 0xffff, v9
	v_or_b32_e32 v57, 0x10000, v9
	s_delay_alu instid0(VALU_DEP_2) | instskip(NEXT) | instid1(VALU_DEP_1)
	v_cmp_eq_u32_e64 s0, 0, v56
	v_cndmask_b32_e64 v56, v57, v9, s0
; %bb.2657:                             ;   in Loop: Header=BB462_1471 Depth=1
	s_or_b32 exec_lo, exec_lo, s9
	v_lshlrev_b32_e32 v7, 16, v7
                                        ; implicit-def: $vgpr57
	s_delay_alu instid0(VALU_DEP_1) | instskip(NEXT) | instid1(VALU_DEP_1)
	v_mul_f32_e32 v7, v86, v7
	v_and_b32_e32 v9, 0x7f800000, v7
	s_delay_alu instid0(VALU_DEP_1) | instskip(NEXT) | instid1(VALU_DEP_1)
	v_cmp_ne_u32_e64 s0, 0x7f800000, v9
	s_and_saveexec_b32 s9, s0
	s_delay_alu instid0(SALU_CYCLE_1)
	s_xor_b32 s0, exec_lo, s9
; %bb.2658:                             ;   in Loop: Header=BB462_1471 Depth=1
	v_bfe_u32 v9, v7, 16, 1
	s_delay_alu instid0(VALU_DEP_1)
	v_add3_u32 v57, v7, v9, 0x7fff
                                        ; implicit-def: $vgpr7
; %bb.2659:                             ;   in Loop: Header=BB462_1471 Depth=1
	s_and_not1_saveexec_b32 s9, s0
; %bb.2660:                             ;   in Loop: Header=BB462_1471 Depth=1
	v_and_b32_e32 v9, 0xffff, v7
	v_or_b32_e32 v57, 0x10000, v7
	s_delay_alu instid0(VALU_DEP_2) | instskip(NEXT) | instid1(VALU_DEP_1)
	v_cmp_eq_u32_e64 s0, 0, v9
	v_cndmask_b32_e64 v57, v57, v7, s0
; %bb.2661:                             ;   in Loop: Header=BB462_1471 Depth=1
	s_or_b32 exec_lo, exec_lo, s9
	v_lshlrev_b32_e32 v6, 16, v6
                                        ; implicit-def: $vgpr58
	s_delay_alu instid0(VALU_DEP_1) | instskip(NEXT) | instid1(VALU_DEP_1)
	v_mul_f32_e32 v6, v87, v6
	v_and_b32_e32 v7, 0x7f800000, v6
	s_delay_alu instid0(VALU_DEP_1) | instskip(NEXT) | instid1(VALU_DEP_1)
	v_cmp_ne_u32_e64 s0, 0x7f800000, v7
	s_and_saveexec_b32 s9, s0
	s_delay_alu instid0(SALU_CYCLE_1)
	s_xor_b32 s0, exec_lo, s9
; %bb.2662:                             ;   in Loop: Header=BB462_1471 Depth=1
	v_bfe_u32 v7, v6, 16, 1
	s_delay_alu instid0(VALU_DEP_1)
	v_add3_u32 v58, v6, v7, 0x7fff
                                        ; implicit-def: $vgpr6
; %bb.2663:                             ;   in Loop: Header=BB462_1471 Depth=1
	s_and_not1_saveexec_b32 s9, s0
; %bb.2664:                             ;   in Loop: Header=BB462_1471 Depth=1
	v_and_b32_e32 v7, 0xffff, v6
	v_or_b32_e32 v9, 0x10000, v6
	s_delay_alu instid0(VALU_DEP_2) | instskip(NEXT) | instid1(VALU_DEP_1)
	v_cmp_eq_u32_e64 s0, 0, v7
	v_cndmask_b32_e64 v58, v9, v6, s0
; %bb.2665:                             ;   in Loop: Header=BB462_1471 Depth=1
	s_or_b32 exec_lo, exec_lo, s9
	v_lshlrev_b32_e32 v3, 16, v3
                                        ; implicit-def: $vgpr59
	s_delay_alu instid0(VALU_DEP_1) | instskip(NEXT) | instid1(VALU_DEP_1)
	v_mul_f32_e32 v3, v96, v3
	v_and_b32_e32 v6, 0x7f800000, v3
	s_delay_alu instid0(VALU_DEP_1) | instskip(NEXT) | instid1(VALU_DEP_1)
	v_cmp_ne_u32_e64 s0, 0x7f800000, v6
	s_and_saveexec_b32 s9, s0
	s_delay_alu instid0(SALU_CYCLE_1)
	s_xor_b32 s0, exec_lo, s9
; %bb.2666:                             ;   in Loop: Header=BB462_1471 Depth=1
	v_bfe_u32 v6, v3, 16, 1
	s_delay_alu instid0(VALU_DEP_1)
	v_add3_u32 v59, v3, v6, 0x7fff
                                        ; implicit-def: $vgpr3
; %bb.2667:                             ;   in Loop: Header=BB462_1471 Depth=1
	s_and_not1_saveexec_b32 s9, s0
; %bb.2668:                             ;   in Loop: Header=BB462_1471 Depth=1
	v_and_b32_e32 v6, 0xffff, v3
	v_or_b32_e32 v7, 0x10000, v3
	s_delay_alu instid0(VALU_DEP_2) | instskip(NEXT) | instid1(VALU_DEP_1)
	v_cmp_eq_u32_e64 s0, 0, v6
	v_cndmask_b32_e64 v59, v7, v3, s0
; %bb.2669:                             ;   in Loop: Header=BB462_1471 Depth=1
	s_or_b32 exec_lo, exec_lo, s9
	v_lshlrev_b32_e32 v2, 16, v2
                                        ; implicit-def: $vgpr60
	s_delay_alu instid0(VALU_DEP_1) | instskip(NEXT) | instid1(VALU_DEP_1)
	v_mul_f32_e32 v2, v97, v2
	v_and_b32_e32 v3, 0x7f800000, v2
	s_delay_alu instid0(VALU_DEP_1) | instskip(NEXT) | instid1(VALU_DEP_1)
	v_cmp_ne_u32_e64 s0, 0x7f800000, v3
	s_and_saveexec_b32 s9, s0
	s_delay_alu instid0(SALU_CYCLE_1)
	s_xor_b32 s0, exec_lo, s9
; %bb.2670:                             ;   in Loop: Header=BB462_1471 Depth=1
	v_bfe_u32 v3, v2, 16, 1
	s_delay_alu instid0(VALU_DEP_1)
	v_add3_u32 v60, v2, v3, 0x7fff
                                        ; implicit-def: $vgpr2
; %bb.2671:                             ;   in Loop: Header=BB462_1471 Depth=1
	s_and_not1_saveexec_b32 s9, s0
; %bb.2672:                             ;   in Loop: Header=BB462_1471 Depth=1
	v_and_b32_e32 v3, 0xffff, v2
	v_or_b32_e32 v6, 0x10000, v2
	s_delay_alu instid0(VALU_DEP_2) | instskip(NEXT) | instid1(VALU_DEP_1)
	v_cmp_eq_u32_e64 s0, 0, v3
	v_cndmask_b32_e64 v60, v6, v2, s0
; %bb.2673:                             ;   in Loop: Header=BB462_1471 Depth=1
	s_or_b32 exec_lo, exec_lo, s9
	flat_load_b64 v[2:3], v[0:1] offset:2304
	s_mov_b32 s9, exec_lo
	s_waitcnt vmcnt(0) lgkmcnt(0)
	v_dual_mov_b32 v6, 0 :: v_dual_and_b32 v7, 0xff, v2
	s_delay_alu instid0(VALU_DEP_1)
	v_cmpx_ne_u16_e32 0, v7
	s_cbranch_execz .LBB462_2681
; %bb.2674:                             ;   in Loop: Header=BB462_1471 Depth=1
	v_bfrev_b32_e32 v6, 1
	s_mov_b32 s12, exec_lo
	v_cmpx_ne_u16_e32 0x80, v7
	s_cbranch_execz .LBB462_2680
; %bb.2675:                             ;   in Loop: Header=BB462_1471 Depth=1
	v_and_b32_e32 v7, 0x7f, v2
	v_mov_b32_e32 v6, 0x7f800001
	s_mov_b32 s13, exec_lo
	s_delay_alu instid0(VALU_DEP_2)
	v_cmpx_ne_u32_e32 0x7f, v7
	s_cbranch_execz .LBB462_2679
; %bb.2676:                             ;   in Loop: Header=BB462_1471 Depth=1
	v_lshrrev_b32_e32 v9, 3, v7
	v_cmp_gt_u32_e64 s0, 8, v7
	v_dual_mov_b32 v7, v3 :: v_dual_mov_b32 v6, v2
	s_delay_alu instid0(VALU_DEP_2)
	s_and_saveexec_b32 s15, s0
; %bb.2677:                             ;   in Loop: Header=BB462_1471 Depth=1
	v_and_b32_e32 v6, 7, v2
	s_delay_alu instid0(VALU_DEP_1) | instskip(NEXT) | instid1(VALU_DEP_1)
	v_clz_i32_u32_e32 v6, v6
	v_min_u32_e32 v9, 32, v6
	s_delay_alu instid0(VALU_DEP_1) | instskip(SKIP_1) | instid1(VALU_DEP_2)
	v_subrev_nc_u32_e32 v6, 28, v9
	v_sub_nc_u32_e32 v9, 29, v9
	v_lshlrev_b64 v[6:7], v6, v[2:3]
; %bb.2678:                             ;   in Loop: Header=BB462_1471 Depth=1
	s_or_b32 exec_lo, exec_lo, s15
	s_delay_alu instid0(VALU_DEP_1) | instskip(SKIP_2) | instid1(VALU_DEP_3)
	v_lshlrev_b32_e32 v6, 20, v6
	v_lshlrev_b32_e32 v7, 24, v2
	v_lshl_add_u32 v9, v9, 23, 0x3c000000
	v_and_b32_e32 v6, 0x700000, v6
	s_delay_alu instid0(VALU_DEP_3) | instskip(NEXT) | instid1(VALU_DEP_1)
	v_and_b32_e32 v7, 0x80000000, v7
	v_or3_b32 v6, v6, v7, v9
.LBB462_2679:                           ;   in Loop: Header=BB462_1471 Depth=1
	s_or_b32 exec_lo, exec_lo, s13
.LBB462_2680:                           ;   in Loop: Header=BB462_1471 Depth=1
	s_delay_alu instid0(SALU_CYCLE_1)
	s_or_b32 exec_lo, exec_lo, s12
.LBB462_2681:                           ;   in Loop: Header=BB462_1471 Depth=1
	s_delay_alu instid0(SALU_CYCLE_1) | instskip(NEXT) | instid1(VALU_DEP_1)
	s_or_b32 exec_lo, exec_lo, s9
	v_mul_f32_e32 v6, v26, v6
                                        ; implicit-def: $vgpr61
	s_delay_alu instid0(VALU_DEP_1) | instskip(NEXT) | instid1(VALU_DEP_1)
	v_and_b32_e32 v7, 0x7f800000, v6
	v_cmp_ne_u32_e64 s0, 0x7f800000, v7
	s_delay_alu instid0(VALU_DEP_1) | instskip(NEXT) | instid1(SALU_CYCLE_1)
	s_and_saveexec_b32 s9, s0
	s_xor_b32 s0, exec_lo, s9
; %bb.2682:                             ;   in Loop: Header=BB462_1471 Depth=1
	v_bfe_u32 v7, v6, 16, 1
	s_delay_alu instid0(VALU_DEP_1)
	v_add3_u32 v61, v6, v7, 0x7fff
                                        ; implicit-def: $vgpr6
; %bb.2683:                             ;   in Loop: Header=BB462_1471 Depth=1
	s_and_not1_saveexec_b32 s9, s0
; %bb.2684:                             ;   in Loop: Header=BB462_1471 Depth=1
	v_and_b32_e32 v7, 0xffff, v6
	v_or_b32_e32 v9, 0x10000, v6
	s_delay_alu instid0(VALU_DEP_2) | instskip(NEXT) | instid1(VALU_DEP_1)
	v_cmp_eq_u32_e64 s0, 0, v7
	v_cndmask_b32_e64 v61, v9, v6, s0
; %bb.2685:                             ;   in Loop: Header=BB462_1471 Depth=1
	s_or_b32 exec_lo, exec_lo, s9
	v_lshrrev_b16 v7, 8, v2
	v_mov_b32_e32 v6, 0
	s_mov_b32 s9, exec_lo
	s_delay_alu instid0(VALU_DEP_2)
	v_cmpx_ne_u16_e32 0, v7
	s_cbranch_execz .LBB462_2693
; %bb.2686:                             ;   in Loop: Header=BB462_1471 Depth=1
	v_bfrev_b32_e32 v6, 1
	s_mov_b32 s12, exec_lo
	v_cmpx_ne_u16_e32 0x80, v7
	s_cbranch_execz .LBB462_2692
; %bb.2687:                             ;   in Loop: Header=BB462_1471 Depth=1
	v_and_b32_e32 v9, 0xffff, v7
	v_mov_b32_e32 v6, 0x7f800001
	s_mov_b32 s13, exec_lo
	s_delay_alu instid0(VALU_DEP_2) | instskip(NEXT) | instid1(VALU_DEP_1)
	v_and_b32_e32 v7, 0x7f, v9
	v_cmpx_ne_u32_e32 0x7f, v7
	s_cbranch_execz .LBB462_2691
; %bb.2688:                             ;   in Loop: Header=BB462_1471 Depth=1
	v_and_b32_e32 v9, 7, v9
	v_lshrrev_b32_e32 v62, 3, v7
	v_cmp_gt_u32_e64 s0, 8, v7
	s_delay_alu instid0(VALU_DEP_3) | instskip(NEXT) | instid1(VALU_DEP_2)
	v_dual_mov_b32 v6, v9 :: v_dual_mov_b32 v7, v10
	s_and_saveexec_b32 s15, s0
; %bb.2689:                             ;   in Loop: Header=BB462_1471 Depth=1
	v_clz_i32_u32_e32 v6, v9
	s_delay_alu instid0(VALU_DEP_1) | instskip(NEXT) | instid1(VALU_DEP_1)
	v_min_u32_e32 v62, 32, v6
	v_subrev_nc_u32_e32 v6, 28, v62
	v_sub_nc_u32_e32 v62, 29, v62
	s_delay_alu instid0(VALU_DEP_2) | instskip(NEXT) | instid1(VALU_DEP_1)
	v_lshlrev_b64 v[6:7], v6, v[9:10]
	v_and_b32_e32 v6, 7, v6
; %bb.2690:                             ;   in Loop: Header=BB462_1471 Depth=1
	s_or_b32 exec_lo, exec_lo, s15
	v_lshlrev_b32_e32 v7, 16, v2
	s_delay_alu instid0(VALU_DEP_2) | instskip(SKIP_1) | instid1(VALU_DEP_3)
	v_lshlrev_b32_e32 v6, 20, v6
	v_lshl_add_u32 v9, v62, 23, 0x3c000000
	v_and_b32_e32 v7, 0x80000000, v7
	s_delay_alu instid0(VALU_DEP_1)
	v_or3_b32 v6, v6, v7, v9
.LBB462_2691:                           ;   in Loop: Header=BB462_1471 Depth=1
	s_or_b32 exec_lo, exec_lo, s13
.LBB462_2692:                           ;   in Loop: Header=BB462_1471 Depth=1
	s_delay_alu instid0(SALU_CYCLE_1)
	s_or_b32 exec_lo, exec_lo, s12
.LBB462_2693:                           ;   in Loop: Header=BB462_1471 Depth=1
	s_delay_alu instid0(SALU_CYCLE_1) | instskip(NEXT) | instid1(VALU_DEP_1)
	s_or_b32 exec_lo, exec_lo, s9
	v_mul_f32_e32 v6, v26, v6
                                        ; implicit-def: $vgpr62
	s_delay_alu instid0(VALU_DEP_1) | instskip(NEXT) | instid1(VALU_DEP_1)
	v_and_b32_e32 v7, 0x7f800000, v6
	v_cmp_ne_u32_e64 s0, 0x7f800000, v7
	s_delay_alu instid0(VALU_DEP_1) | instskip(NEXT) | instid1(SALU_CYCLE_1)
	s_and_saveexec_b32 s9, s0
	s_xor_b32 s0, exec_lo, s9
; %bb.2694:                             ;   in Loop: Header=BB462_1471 Depth=1
	v_bfe_u32 v7, v6, 16, 1
	s_delay_alu instid0(VALU_DEP_1)
	v_add3_u32 v62, v6, v7, 0x7fff
                                        ; implicit-def: $vgpr6
; %bb.2695:                             ;   in Loop: Header=BB462_1471 Depth=1
	s_and_not1_saveexec_b32 s9, s0
; %bb.2696:                             ;   in Loop: Header=BB462_1471 Depth=1
	v_and_b32_e32 v7, 0xffff, v6
	v_or_b32_e32 v9, 0x10000, v6
	s_delay_alu instid0(VALU_DEP_2) | instskip(NEXT) | instid1(VALU_DEP_1)
	v_cmp_eq_u32_e64 s0, 0, v7
	v_cndmask_b32_e64 v62, v9, v6, s0
; %bb.2697:                             ;   in Loop: Header=BB462_1471 Depth=1
	s_or_b32 exec_lo, exec_lo, s9
	v_lshrrev_b32_e32 v63, 16, v2
	s_mov_b32 s9, exec_lo
	s_delay_alu instid0(VALU_DEP_1) | instskip(NEXT) | instid1(VALU_DEP_1)
	v_dual_mov_b32 v6, 0 :: v_dual_and_b32 v7, 0xff, v63
	v_cmpx_ne_u16_e32 0, v7
	s_cbranch_execz .LBB462_2705
; %bb.2698:                             ;   in Loop: Header=BB462_1471 Depth=1
	v_bfrev_b32_e32 v6, 1
	s_mov_b32 s12, exec_lo
	v_cmpx_ne_u16_e32 0x80, v7
	s_cbranch_execz .LBB462_2704
; %bb.2699:                             ;   in Loop: Header=BB462_1471 Depth=1
	v_bfe_u32 v7, v2, 16, 7
	v_mov_b32_e32 v6, 0x7f800001
	s_mov_b32 s13, exec_lo
	s_delay_alu instid0(VALU_DEP_2)
	v_cmpx_ne_u32_e32 0x7f, v7
	s_cbranch_execz .LBB462_2703
; %bb.2700:                             ;   in Loop: Header=BB462_1471 Depth=1
	v_and_b32_e32 v9, 7, v63
	v_lshrrev_b32_e32 v72, 3, v7
	v_cmp_gt_u32_e64 s0, 8, v7
	s_delay_alu instid0(VALU_DEP_3) | instskip(NEXT) | instid1(VALU_DEP_2)
	v_dual_mov_b32 v6, v9 :: v_dual_mov_b32 v7, v10
	s_and_saveexec_b32 s15, s0
; %bb.2701:                             ;   in Loop: Header=BB462_1471 Depth=1
	v_clz_i32_u32_e32 v6, v9
	s_delay_alu instid0(VALU_DEP_1) | instskip(NEXT) | instid1(VALU_DEP_1)
	v_min_u32_e32 v72, 32, v6
	v_subrev_nc_u32_e32 v6, 28, v72
	v_sub_nc_u32_e32 v72, 29, v72
	s_delay_alu instid0(VALU_DEP_2) | instskip(NEXT) | instid1(VALU_DEP_1)
	v_lshlrev_b64 v[6:7], v6, v[9:10]
	v_and_b32_e32 v6, 7, v6
; %bb.2702:                             ;   in Loop: Header=BB462_1471 Depth=1
	s_or_b32 exec_lo, exec_lo, s15
	v_lshlrev_b32_e32 v7, 24, v63
	s_delay_alu instid0(VALU_DEP_2) | instskip(SKIP_1) | instid1(VALU_DEP_3)
	v_lshlrev_b32_e32 v6, 20, v6
	v_lshl_add_u32 v9, v72, 23, 0x3c000000
	v_and_b32_e32 v7, 0x80000000, v7
	s_delay_alu instid0(VALU_DEP_1)
	v_or3_b32 v6, v6, v7, v9
.LBB462_2703:                           ;   in Loop: Header=BB462_1471 Depth=1
	s_or_b32 exec_lo, exec_lo, s13
.LBB462_2704:                           ;   in Loop: Header=BB462_1471 Depth=1
	s_delay_alu instid0(SALU_CYCLE_1)
	s_or_b32 exec_lo, exec_lo, s12
.LBB462_2705:                           ;   in Loop: Header=BB462_1471 Depth=1
	s_delay_alu instid0(SALU_CYCLE_1) | instskip(NEXT) | instid1(VALU_DEP_1)
	s_or_b32 exec_lo, exec_lo, s9
	v_mul_f32_e32 v6, v26, v6
                                        ; implicit-def: $vgpr63
	s_delay_alu instid0(VALU_DEP_1) | instskip(NEXT) | instid1(VALU_DEP_1)
	v_and_b32_e32 v7, 0x7f800000, v6
	v_cmp_ne_u32_e64 s0, 0x7f800000, v7
	s_delay_alu instid0(VALU_DEP_1) | instskip(NEXT) | instid1(SALU_CYCLE_1)
	s_and_saveexec_b32 s9, s0
	s_xor_b32 s0, exec_lo, s9
; %bb.2706:                             ;   in Loop: Header=BB462_1471 Depth=1
	v_bfe_u32 v7, v6, 16, 1
	s_delay_alu instid0(VALU_DEP_1)
	v_add3_u32 v63, v6, v7, 0x7fff
                                        ; implicit-def: $vgpr6
; %bb.2707:                             ;   in Loop: Header=BB462_1471 Depth=1
	s_and_not1_saveexec_b32 s9, s0
; %bb.2708:                             ;   in Loop: Header=BB462_1471 Depth=1
	v_and_b32_e32 v7, 0xffff, v6
	v_or_b32_e32 v9, 0x10000, v6
	s_delay_alu instid0(VALU_DEP_2) | instskip(NEXT) | instid1(VALU_DEP_1)
	v_cmp_eq_u32_e64 s0, 0, v7
	v_cndmask_b32_e64 v63, v9, v6, s0
; %bb.2709:                             ;   in Loop: Header=BB462_1471 Depth=1
	s_or_b32 exec_lo, exec_lo, s9
	v_mov_b32_e32 v6, 0
	s_mov_b32 s9, exec_lo
	v_cmpx_lt_u32_e32 0xffffff, v2
	s_cbranch_execz .LBB462_2717
; %bb.2710:                             ;   in Loop: Header=BB462_1471 Depth=1
	v_lshrrev_b32_e32 v72, 24, v2
	v_bfrev_b32_e32 v6, 1
	s_mov_b32 s12, exec_lo
	s_delay_alu instid0(VALU_DEP_2)
	v_cmpx_ne_u32_e32 0x80, v72
	s_cbranch_execz .LBB462_2716
; %bb.2711:                             ;   in Loop: Header=BB462_1471 Depth=1
	v_bfe_u32 v7, v2, 24, 7
	v_mov_b32_e32 v6, 0x7f800001
	s_mov_b32 s13, exec_lo
	s_delay_alu instid0(VALU_DEP_2)
	v_cmpx_ne_u32_e32 0x7f, v7
	s_cbranch_execz .LBB462_2715
; %bb.2712:                             ;   in Loop: Header=BB462_1471 Depth=1
	v_and_b32_e32 v9, 7, v72
	v_lshrrev_b32_e32 v73, 3, v7
	v_cmp_gt_u32_e64 s0, 8, v7
	s_delay_alu instid0(VALU_DEP_3) | instskip(NEXT) | instid1(VALU_DEP_2)
	v_dual_mov_b32 v6, v9 :: v_dual_mov_b32 v7, v10
	s_and_saveexec_b32 s15, s0
; %bb.2713:                             ;   in Loop: Header=BB462_1471 Depth=1
	v_clz_i32_u32_e32 v6, v9
	s_delay_alu instid0(VALU_DEP_1) | instskip(NEXT) | instid1(VALU_DEP_1)
	v_min_u32_e32 v73, 32, v6
	v_subrev_nc_u32_e32 v6, 28, v73
	v_sub_nc_u32_e32 v73, 29, v73
	s_delay_alu instid0(VALU_DEP_2) | instskip(NEXT) | instid1(VALU_DEP_1)
	v_lshlrev_b64 v[6:7], v6, v[9:10]
	v_and_b32_e32 v6, 7, v6
; %bb.2714:                             ;   in Loop: Header=BB462_1471 Depth=1
	s_or_b32 exec_lo, exec_lo, s15
	v_lshlrev_b32_e32 v7, 24, v72
	s_delay_alu instid0(VALU_DEP_2) | instskip(SKIP_1) | instid1(VALU_DEP_3)
	v_lshlrev_b32_e32 v6, 20, v6
	v_lshl_add_u32 v9, v73, 23, 0x3c000000
	v_and_b32_e32 v7, 0x80000000, v7
	s_delay_alu instid0(VALU_DEP_1)
	v_or3_b32 v6, v6, v7, v9
.LBB462_2715:                           ;   in Loop: Header=BB462_1471 Depth=1
	s_or_b32 exec_lo, exec_lo, s13
.LBB462_2716:                           ;   in Loop: Header=BB462_1471 Depth=1
	s_delay_alu instid0(SALU_CYCLE_1)
	s_or_b32 exec_lo, exec_lo, s12
.LBB462_2717:                           ;   in Loop: Header=BB462_1471 Depth=1
	s_delay_alu instid0(SALU_CYCLE_1) | instskip(NEXT) | instid1(VALU_DEP_1)
	s_or_b32 exec_lo, exec_lo, s9
	v_mul_f32_e32 v6, v26, v6
                                        ; implicit-def: $vgpr72
	s_delay_alu instid0(VALU_DEP_1) | instskip(NEXT) | instid1(VALU_DEP_1)
	v_and_b32_e32 v7, 0x7f800000, v6
	v_cmp_ne_u32_e64 s0, 0x7f800000, v7
	s_delay_alu instid0(VALU_DEP_1) | instskip(NEXT) | instid1(SALU_CYCLE_1)
	s_and_saveexec_b32 s9, s0
	s_xor_b32 s0, exec_lo, s9
; %bb.2718:                             ;   in Loop: Header=BB462_1471 Depth=1
	v_bfe_u32 v7, v6, 16, 1
	s_delay_alu instid0(VALU_DEP_1)
	v_add3_u32 v72, v6, v7, 0x7fff
                                        ; implicit-def: $vgpr6
; %bb.2719:                             ;   in Loop: Header=BB462_1471 Depth=1
	s_and_not1_saveexec_b32 s9, s0
; %bb.2720:                             ;   in Loop: Header=BB462_1471 Depth=1
	v_and_b32_e32 v7, 0xffff, v6
	v_or_b32_e32 v9, 0x10000, v6
	s_delay_alu instid0(VALU_DEP_2) | instskip(NEXT) | instid1(VALU_DEP_1)
	v_cmp_eq_u32_e64 s0, 0, v7
	v_cndmask_b32_e64 v72, v9, v6, s0
; %bb.2721:                             ;   in Loop: Header=BB462_1471 Depth=1
	s_or_b32 exec_lo, exec_lo, s9
	v_dual_mov_b32 v6, 0 :: v_dual_and_b32 v7, 0xff, v3
	v_mov_b32_e32 v9, v3
	s_mov_b32 s9, exec_lo
	s_delay_alu instid0(VALU_DEP_2)
	v_cmpx_ne_u16_e32 0, v7
	s_cbranch_execz .LBB462_2729
; %bb.2722:                             ;   in Loop: Header=BB462_1471 Depth=1
	v_bfrev_b32_e32 v6, 1
	s_mov_b32 s12, exec_lo
	v_cmpx_ne_u16_e32 0x80, v7
	s_cbranch_execz .LBB462_2728
; %bb.2723:                             ;   in Loop: Header=BB462_1471 Depth=1
	v_and_b32_e32 v7, 0x7f, v3
	v_mov_b32_e32 v6, 0x7f800001
	s_mov_b32 s13, exec_lo
	s_delay_alu instid0(VALU_DEP_2)
	v_cmpx_ne_u32_e32 0x7f, v7
	s_cbranch_execz .LBB462_2727
; %bb.2724:                             ;   in Loop: Header=BB462_1471 Depth=1
	v_lshrrev_b32_e32 v73, 3, v7
	v_cmp_gt_u32_e64 s0, 8, v7
	v_dual_mov_b32 v6, v9 :: v_dual_mov_b32 v7, v10
	s_delay_alu instid0(VALU_DEP_2)
	s_and_saveexec_b32 s15, s0
; %bb.2725:                             ;   in Loop: Header=BB462_1471 Depth=1
	v_and_b32_e32 v6, 7, v3
	s_delay_alu instid0(VALU_DEP_1) | instskip(NEXT) | instid1(VALU_DEP_1)
	v_clz_i32_u32_e32 v6, v6
	v_min_u32_e32 v73, 32, v6
	s_delay_alu instid0(VALU_DEP_1) | instskip(SKIP_1) | instid1(VALU_DEP_2)
	v_subrev_nc_u32_e32 v6, 28, v73
	v_sub_nc_u32_e32 v73, 29, v73
	v_lshlrev_b64 v[6:7], v6, v[9:10]
; %bb.2726:                             ;   in Loop: Header=BB462_1471 Depth=1
	s_or_b32 exec_lo, exec_lo, s15
	s_delay_alu instid0(VALU_DEP_1) | instskip(SKIP_2) | instid1(VALU_DEP_3)
	v_lshlrev_b32_e32 v6, 20, v6
	v_lshlrev_b32_e32 v7, 24, v9
	v_lshl_add_u32 v73, v73, 23, 0x3c000000
	v_and_b32_e32 v6, 0x700000, v6
	s_delay_alu instid0(VALU_DEP_3) | instskip(NEXT) | instid1(VALU_DEP_1)
	v_and_b32_e32 v7, 0x80000000, v7
	v_or3_b32 v6, v6, v7, v73
.LBB462_2727:                           ;   in Loop: Header=BB462_1471 Depth=1
	s_or_b32 exec_lo, exec_lo, s13
.LBB462_2728:                           ;   in Loop: Header=BB462_1471 Depth=1
	s_delay_alu instid0(SALU_CYCLE_1)
	s_or_b32 exec_lo, exec_lo, s12
.LBB462_2729:                           ;   in Loop: Header=BB462_1471 Depth=1
	s_delay_alu instid0(SALU_CYCLE_1) | instskip(NEXT) | instid1(VALU_DEP_1)
	s_or_b32 exec_lo, exec_lo, s9
	v_mul_f32_e32 v6, v26, v6
                                        ; implicit-def: $vgpr73
	s_delay_alu instid0(VALU_DEP_1) | instskip(NEXT) | instid1(VALU_DEP_1)
	v_and_b32_e32 v7, 0x7f800000, v6
	v_cmp_ne_u32_e64 s0, 0x7f800000, v7
	s_delay_alu instid0(VALU_DEP_1) | instskip(NEXT) | instid1(SALU_CYCLE_1)
	s_and_saveexec_b32 s9, s0
	s_xor_b32 s0, exec_lo, s9
; %bb.2730:                             ;   in Loop: Header=BB462_1471 Depth=1
	v_bfe_u32 v7, v6, 16, 1
	s_delay_alu instid0(VALU_DEP_1)
	v_add3_u32 v73, v6, v7, 0x7fff
                                        ; implicit-def: $vgpr6
; %bb.2731:                             ;   in Loop: Header=BB462_1471 Depth=1
	s_and_not1_saveexec_b32 s9, s0
; %bb.2732:                             ;   in Loop: Header=BB462_1471 Depth=1
	v_and_b32_e32 v7, 0xffff, v6
	v_or_b32_e32 v73, 0x10000, v6
	s_delay_alu instid0(VALU_DEP_2) | instskip(NEXT) | instid1(VALU_DEP_1)
	v_cmp_eq_u32_e64 s0, 0, v7
	v_cndmask_b32_e64 v73, v73, v6, s0
; %bb.2733:                             ;   in Loop: Header=BB462_1471 Depth=1
	s_or_b32 exec_lo, exec_lo, s9
	v_lshrrev_b16 v7, 8, v9
	v_mov_b32_e32 v6, 0
	s_mov_b32 s9, exec_lo
	s_delay_alu instid0(VALU_DEP_2)
	v_cmpx_ne_u16_e32 0, v7
	s_cbranch_execz .LBB462_2741
; %bb.2734:                             ;   in Loop: Header=BB462_1471 Depth=1
	v_bfrev_b32_e32 v6, 1
	s_mov_b32 s12, exec_lo
	v_cmpx_ne_u16_e32 0x80, v7
	s_cbranch_execz .LBB462_2740
; %bb.2735:                             ;   in Loop: Header=BB462_1471 Depth=1
	v_and_b32_e32 v7, 0xffff, v7
	v_mov_b32_e32 v6, 0x7f800001
	s_mov_b32 s13, exec_lo
	s_delay_alu instid0(VALU_DEP_2) | instskip(NEXT) | instid1(VALU_DEP_1)
	v_and_b32_e32 v75, 0x7f, v7
	v_cmpx_ne_u32_e32 0x7f, v75
	s_cbranch_execz .LBB462_2739
; %bb.2736:                             ;   in Loop: Header=BB462_1471 Depth=1
	v_dual_mov_b32 v7, v10 :: v_dual_and_b32 v6, 7, v7
	v_lshrrev_b32_e32 v74, 3, v75
	s_mov_b32 s15, exec_lo
	v_cmpx_gt_u32_e32 8, v75
; %bb.2737:                             ;   in Loop: Header=BB462_1471 Depth=1
	s_delay_alu instid0(VALU_DEP_3) | instskip(NEXT) | instid1(VALU_DEP_1)
	v_clz_i32_u32_e32 v74, v6
	v_min_u32_e32 v74, 32, v74
	s_delay_alu instid0(VALU_DEP_1) | instskip(SKIP_1) | instid1(VALU_DEP_2)
	v_subrev_nc_u32_e32 v75, 28, v74
	v_sub_nc_u32_e32 v74, 29, v74
	v_lshlrev_b64 v[6:7], v75, v[6:7]
	s_delay_alu instid0(VALU_DEP_1)
	v_and_b32_e32 v6, 7, v6
; %bb.2738:                             ;   in Loop: Header=BB462_1471 Depth=1
	s_or_b32 exec_lo, exec_lo, s15
	v_lshlrev_b32_e32 v7, 16, v9
	s_delay_alu instid0(VALU_DEP_2) | instskip(SKIP_1) | instid1(VALU_DEP_3)
	v_lshlrev_b32_e32 v6, 20, v6
	v_lshl_add_u32 v9, v74, 23, 0x3c000000
	v_and_b32_e32 v7, 0x80000000, v7
	s_delay_alu instid0(VALU_DEP_1)
	v_or3_b32 v6, v6, v7, v9
.LBB462_2739:                           ;   in Loop: Header=BB462_1471 Depth=1
	s_or_b32 exec_lo, exec_lo, s13
.LBB462_2740:                           ;   in Loop: Header=BB462_1471 Depth=1
	s_delay_alu instid0(SALU_CYCLE_1)
	s_or_b32 exec_lo, exec_lo, s12
.LBB462_2741:                           ;   in Loop: Header=BB462_1471 Depth=1
	s_delay_alu instid0(SALU_CYCLE_1) | instskip(NEXT) | instid1(VALU_DEP_1)
	s_or_b32 exec_lo, exec_lo, s9
	v_mul_f32_e32 v6, v26, v6
                                        ; implicit-def: $vgpr74
	s_delay_alu instid0(VALU_DEP_1) | instskip(NEXT) | instid1(VALU_DEP_1)
	v_and_b32_e32 v7, 0x7f800000, v6
	v_cmp_ne_u32_e64 s0, 0x7f800000, v7
	s_delay_alu instid0(VALU_DEP_1) | instskip(NEXT) | instid1(SALU_CYCLE_1)
	s_and_saveexec_b32 s9, s0
	s_xor_b32 s0, exec_lo, s9
; %bb.2742:                             ;   in Loop: Header=BB462_1471 Depth=1
	v_bfe_u32 v7, v6, 16, 1
	s_delay_alu instid0(VALU_DEP_1)
	v_add3_u32 v74, v6, v7, 0x7fff
                                        ; implicit-def: $vgpr6
; %bb.2743:                             ;   in Loop: Header=BB462_1471 Depth=1
	s_and_not1_saveexec_b32 s9, s0
; %bb.2744:                             ;   in Loop: Header=BB462_1471 Depth=1
	v_and_b32_e32 v7, 0xffff, v6
	v_or_b32_e32 v9, 0x10000, v6
	s_delay_alu instid0(VALU_DEP_2) | instskip(NEXT) | instid1(VALU_DEP_1)
	v_cmp_eq_u32_e64 s0, 0, v7
	v_cndmask_b32_e64 v74, v9, v6, s0
; %bb.2745:                             ;   in Loop: Header=BB462_1471 Depth=1
	s_or_b32 exec_lo, exec_lo, s9
	v_lshrrev_b32_e32 v75, 16, v3
	s_mov_b32 s9, exec_lo
	s_delay_alu instid0(VALU_DEP_1) | instskip(NEXT) | instid1(VALU_DEP_1)
	v_dual_mov_b32 v6, 0 :: v_dual_and_b32 v7, 0xff, v75
	v_cmpx_ne_u16_e32 0, v7
	s_cbranch_execz .LBB462_2753
; %bb.2746:                             ;   in Loop: Header=BB462_1471 Depth=1
	v_bfrev_b32_e32 v6, 1
	s_mov_b32 s12, exec_lo
	v_cmpx_ne_u16_e32 0x80, v7
	s_cbranch_execz .LBB462_2752
; %bb.2747:                             ;   in Loop: Header=BB462_1471 Depth=1
	v_bfe_u32 v7, v3, 16, 7
	v_mov_b32_e32 v6, 0x7f800001
	s_mov_b32 s13, exec_lo
	s_delay_alu instid0(VALU_DEP_2)
	v_cmpx_ne_u32_e32 0x7f, v7
	s_cbranch_execz .LBB462_2751
; %bb.2748:                             ;   in Loop: Header=BB462_1471 Depth=1
	v_and_b32_e32 v9, 7, v75
	v_lshrrev_b32_e32 v76, 3, v7
	v_cmp_gt_u32_e64 s0, 8, v7
	s_delay_alu instid0(VALU_DEP_3) | instskip(NEXT) | instid1(VALU_DEP_2)
	v_dual_mov_b32 v6, v9 :: v_dual_mov_b32 v7, v10
	s_and_saveexec_b32 s15, s0
; %bb.2749:                             ;   in Loop: Header=BB462_1471 Depth=1
	v_clz_i32_u32_e32 v6, v9
	s_delay_alu instid0(VALU_DEP_1) | instskip(NEXT) | instid1(VALU_DEP_1)
	v_min_u32_e32 v76, 32, v6
	v_subrev_nc_u32_e32 v6, 28, v76
	v_sub_nc_u32_e32 v76, 29, v76
	s_delay_alu instid0(VALU_DEP_2) | instskip(NEXT) | instid1(VALU_DEP_1)
	v_lshlrev_b64 v[6:7], v6, v[9:10]
	v_and_b32_e32 v6, 7, v6
; %bb.2750:                             ;   in Loop: Header=BB462_1471 Depth=1
	s_or_b32 exec_lo, exec_lo, s15
	v_lshlrev_b32_e32 v7, 24, v75
	s_delay_alu instid0(VALU_DEP_2) | instskip(SKIP_1) | instid1(VALU_DEP_3)
	v_lshlrev_b32_e32 v6, 20, v6
	v_lshl_add_u32 v9, v76, 23, 0x3c000000
	v_and_b32_e32 v7, 0x80000000, v7
	s_delay_alu instid0(VALU_DEP_1)
	v_or3_b32 v6, v6, v7, v9
.LBB462_2751:                           ;   in Loop: Header=BB462_1471 Depth=1
	s_or_b32 exec_lo, exec_lo, s13
.LBB462_2752:                           ;   in Loop: Header=BB462_1471 Depth=1
	s_delay_alu instid0(SALU_CYCLE_1)
	s_or_b32 exec_lo, exec_lo, s12
.LBB462_2753:                           ;   in Loop: Header=BB462_1471 Depth=1
	s_delay_alu instid0(SALU_CYCLE_1) | instskip(NEXT) | instid1(VALU_DEP_1)
	s_or_b32 exec_lo, exec_lo, s9
	v_mul_f32_e32 v6, v26, v6
                                        ; implicit-def: $vgpr75
	s_delay_alu instid0(VALU_DEP_1) | instskip(NEXT) | instid1(VALU_DEP_1)
	v_and_b32_e32 v7, 0x7f800000, v6
	v_cmp_ne_u32_e64 s0, 0x7f800000, v7
	s_delay_alu instid0(VALU_DEP_1) | instskip(NEXT) | instid1(SALU_CYCLE_1)
	s_and_saveexec_b32 s9, s0
	s_xor_b32 s0, exec_lo, s9
; %bb.2754:                             ;   in Loop: Header=BB462_1471 Depth=1
	v_bfe_u32 v7, v6, 16, 1
	s_delay_alu instid0(VALU_DEP_1)
	v_add3_u32 v75, v6, v7, 0x7fff
                                        ; implicit-def: $vgpr6
; %bb.2755:                             ;   in Loop: Header=BB462_1471 Depth=1
	s_and_not1_saveexec_b32 s9, s0
; %bb.2756:                             ;   in Loop: Header=BB462_1471 Depth=1
	v_and_b32_e32 v7, 0xffff, v6
	v_or_b32_e32 v9, 0x10000, v6
	s_delay_alu instid0(VALU_DEP_2) | instskip(NEXT) | instid1(VALU_DEP_1)
	v_cmp_eq_u32_e64 s0, 0, v7
	v_cndmask_b32_e64 v75, v9, v6, s0
; %bb.2757:                             ;   in Loop: Header=BB462_1471 Depth=1
	s_or_b32 exec_lo, exec_lo, s9
	v_cmp_lt_u64_e64 s0, s[2:3], v[2:3]
	v_mov_b32_e32 v2, 0
	s_delay_alu instid0(VALU_DEP_2)
	s_and_saveexec_b32 s9, s0
	s_cbranch_execz .LBB462_2765
; %bb.2758:                             ;   in Loop: Header=BB462_1471 Depth=1
	v_lshrrev_b32_e32 v6, 24, v3
	v_bfrev_b32_e32 v2, 1
	s_mov_b32 s12, exec_lo
	s_delay_alu instid0(VALU_DEP_2)
	v_cmpx_ne_u32_e32 0x80, v6
	s_cbranch_execz .LBB462_2764
; %bb.2759:                             ;   in Loop: Header=BB462_1471 Depth=1
	v_bfe_u32 v3, v3, 24, 7
	v_mov_b32_e32 v2, 0x7f800001
	s_mov_b32 s13, exec_lo
	s_delay_alu instid0(VALU_DEP_2)
	v_cmpx_ne_u32_e32 0x7f, v3
	s_cbranch_execz .LBB462_2763
; %bb.2760:                             ;   in Loop: Header=BB462_1471 Depth=1
	v_and_b32_e32 v9, 7, v6
	v_lshrrev_b32_e32 v7, 3, v3
	v_cmp_gt_u32_e64 s0, 8, v3
	s_delay_alu instid0(VALU_DEP_3) | instskip(NEXT) | instid1(VALU_DEP_2)
	v_dual_mov_b32 v2, v9 :: v_dual_mov_b32 v3, v10
	s_and_saveexec_b32 s15, s0
; %bb.2761:                             ;   in Loop: Header=BB462_1471 Depth=1
	v_clz_i32_u32_e32 v2, v9
	s_delay_alu instid0(VALU_DEP_1) | instskip(NEXT) | instid1(VALU_DEP_1)
	v_min_u32_e32 v7, 32, v2
	v_subrev_nc_u32_e32 v2, 28, v7
	v_sub_nc_u32_e32 v7, 29, v7
	s_delay_alu instid0(VALU_DEP_2) | instskip(NEXT) | instid1(VALU_DEP_1)
	v_lshlrev_b64 v[2:3], v2, v[9:10]
	v_and_b32_e32 v2, 7, v2
; %bb.2762:                             ;   in Loop: Header=BB462_1471 Depth=1
	s_or_b32 exec_lo, exec_lo, s15
	v_lshlrev_b32_e32 v3, 24, v6
	s_delay_alu instid0(VALU_DEP_2) | instskip(SKIP_1) | instid1(VALU_DEP_3)
	v_lshlrev_b32_e32 v2, 20, v2
	v_lshl_add_u32 v6, v7, 23, 0x3c000000
	v_and_b32_e32 v3, 0x80000000, v3
	s_delay_alu instid0(VALU_DEP_1)
	v_or3_b32 v2, v2, v3, v6
.LBB462_2763:                           ;   in Loop: Header=BB462_1471 Depth=1
	s_or_b32 exec_lo, exec_lo, s13
.LBB462_2764:                           ;   in Loop: Header=BB462_1471 Depth=1
	s_delay_alu instid0(SALU_CYCLE_1)
	s_or_b32 exec_lo, exec_lo, s12
.LBB462_2765:                           ;   in Loop: Header=BB462_1471 Depth=1
	s_delay_alu instid0(SALU_CYCLE_1) | instskip(NEXT) | instid1(VALU_DEP_1)
	s_or_b32 exec_lo, exec_lo, s9
	v_mul_f32_e32 v3, v26, v2
	s_delay_alu instid0(VALU_DEP_1) | instskip(NEXT) | instid1(VALU_DEP_1)
	v_and_b32_e32 v2, 0x7f800000, v3
	v_cmp_ne_u32_e64 s0, 0x7f800000, v2
                                        ; implicit-def: $vgpr2
	s_delay_alu instid0(VALU_DEP_1) | instskip(NEXT) | instid1(SALU_CYCLE_1)
	s_and_saveexec_b32 s9, s0
	s_xor_b32 s0, exec_lo, s9
; %bb.2766:                             ;   in Loop: Header=BB462_1471 Depth=1
	v_bfe_u32 v2, v3, 16, 1
	s_delay_alu instid0(VALU_DEP_1)
	v_add3_u32 v2, v3, v2, 0x7fff
                                        ; implicit-def: $vgpr3
; %bb.2767:                             ;   in Loop: Header=BB462_1471 Depth=1
	s_and_not1_saveexec_b32 s9, s0
; %bb.2768:                             ;   in Loop: Header=BB462_1471 Depth=1
	v_and_b32_e32 v2, 0xffff, v3
	v_or_b32_e32 v6, 0x10000, v3
	s_delay_alu instid0(VALU_DEP_2) | instskip(NEXT) | instid1(VALU_DEP_1)
	v_cmp_eq_u32_e64 s0, 0, v2
	v_cndmask_b32_e64 v2, v6, v3, s0
; %bb.2769:                             ;   in Loop: Header=BB462_1471 Depth=1
	s_or_b32 exec_lo, exec_lo, s9
	v_lshrrev_b32_e32 v6, 16, v74
	v_lshrrev_b32_e32 v7, 16, v73
	;; [unrolled: 1-line block ×8, first 2 shown]
	s_and_saveexec_b32 s9, vcc_lo
	s_cbranch_execz .LBB462_2771
; %bb.2770:                             ;   in Loop: Header=BB462_1471 Depth=1
	v_cmp_lt_i32_e64 s0, v67, v36
	s_delay_alu instid0(VALU_DEP_1) | instskip(SKIP_1) | instid1(VALU_DEP_1)
	v_cndmask_b32_e64 v61, 0, v61, s0
	v_cmp_lt_i32_e64 s0, v81, v36
	v_cndmask_b32_e64 v62, 0, v62, s0
	v_cmp_lt_i32_e64 s0, v80, v36
	s_delay_alu instid0(VALU_DEP_1) | instskip(SKIP_1) | instid1(VALU_DEP_1)
	v_cndmask_b32_e64 v63, 0, v63, s0
	v_cmp_lt_i32_e64 s0, v71, v36
	v_cndmask_b32_e64 v9, 0, v9, s0
	;; [unrolled: 5-line block ×4, first 2 shown]
.LBB462_2771:                           ;   in Loop: Header=BB462_1471 Depth=1
	s_or_b32 exec_lo, exec_lo, s9
	v_lshlrev_b32_e32 v61, 16, v61
	s_delay_alu instid0(VALU_DEP_1) | instskip(NEXT) | instid1(VALU_DEP_1)
	v_mul_f32_e32 v72, v82, v61
	v_and_b32_e32 v61, 0x7f800000, v72
	s_delay_alu instid0(VALU_DEP_1) | instskip(NEXT) | instid1(VALU_DEP_1)
	v_cmp_ne_u32_e64 s0, 0x7f800000, v61
                                        ; implicit-def: $vgpr61
	s_and_saveexec_b32 s9, s0
	s_delay_alu instid0(SALU_CYCLE_1)
	s_xor_b32 s0, exec_lo, s9
; %bb.2772:                             ;   in Loop: Header=BB462_1471 Depth=1
	v_bfe_u32 v61, v72, 16, 1
	s_delay_alu instid0(VALU_DEP_1)
	v_add3_u32 v61, v72, v61, 0x7fff
                                        ; implicit-def: $vgpr72
; %bb.2773:                             ;   in Loop: Header=BB462_1471 Depth=1
	s_and_not1_saveexec_b32 s9, s0
; %bb.2774:                             ;   in Loop: Header=BB462_1471 Depth=1
	v_and_b32_e32 v61, 0xffff, v72
	v_or_b32_e32 v73, 0x10000, v72
	s_delay_alu instid0(VALU_DEP_2) | instskip(NEXT) | instid1(VALU_DEP_1)
	v_cmp_eq_u32_e64 s0, 0, v61
	v_cndmask_b32_e64 v61, v73, v72, s0
; %bb.2775:                             ;   in Loop: Header=BB462_1471 Depth=1
	s_or_b32 exec_lo, exec_lo, s9
	v_lshlrev_b32_e32 v62, 16, v62
	s_delay_alu instid0(VALU_DEP_1) | instskip(NEXT) | instid1(VALU_DEP_1)
	v_mul_f32_e32 v72, v83, v62
	v_and_b32_e32 v62, 0x7f800000, v72
	s_delay_alu instid0(VALU_DEP_1) | instskip(NEXT) | instid1(VALU_DEP_1)
	v_cmp_ne_u32_e64 s0, 0x7f800000, v62
                                        ; implicit-def: $vgpr62
	s_and_saveexec_b32 s9, s0
	s_delay_alu instid0(SALU_CYCLE_1)
	s_xor_b32 s0, exec_lo, s9
; %bb.2776:                             ;   in Loop: Header=BB462_1471 Depth=1
	v_bfe_u32 v62, v72, 16, 1
	s_delay_alu instid0(VALU_DEP_1)
	v_add3_u32 v62, v72, v62, 0x7fff
                                        ; implicit-def: $vgpr72
; %bb.2777:                             ;   in Loop: Header=BB462_1471 Depth=1
	s_and_not1_saveexec_b32 s9, s0
; %bb.2778:                             ;   in Loop: Header=BB462_1471 Depth=1
	v_and_b32_e32 v62, 0xffff, v72
	v_or_b32_e32 v73, 0x10000, v72
	s_delay_alu instid0(VALU_DEP_2) | instskip(NEXT) | instid1(VALU_DEP_1)
	v_cmp_eq_u32_e64 s0, 0, v62
	v_cndmask_b32_e64 v62, v73, v72, s0
; %bb.2779:                             ;   in Loop: Header=BB462_1471 Depth=1
	s_or_b32 exec_lo, exec_lo, s9
	v_lshlrev_b32_e32 v63, 16, v63
	s_delay_alu instid0(VALU_DEP_1) | instskip(NEXT) | instid1(VALU_DEP_1)
	v_mul_f32_e32 v72, v84, v63
	v_and_b32_e32 v63, 0x7f800000, v72
	s_delay_alu instid0(VALU_DEP_1) | instskip(NEXT) | instid1(VALU_DEP_1)
	v_cmp_ne_u32_e64 s0, 0x7f800000, v63
                                        ; implicit-def: $vgpr63
	s_and_saveexec_b32 s9, s0
	s_delay_alu instid0(SALU_CYCLE_1)
	s_xor_b32 s0, exec_lo, s9
; %bb.2780:                             ;   in Loop: Header=BB462_1471 Depth=1
	v_bfe_u32 v63, v72, 16, 1
	s_delay_alu instid0(VALU_DEP_1)
	v_add3_u32 v63, v72, v63, 0x7fff
                                        ; implicit-def: $vgpr72
; %bb.2781:                             ;   in Loop: Header=BB462_1471 Depth=1
	s_and_not1_saveexec_b32 s9, s0
; %bb.2782:                             ;   in Loop: Header=BB462_1471 Depth=1
	v_and_b32_e32 v63, 0xffff, v72
	v_or_b32_e32 v73, 0x10000, v72
	s_delay_alu instid0(VALU_DEP_2) | instskip(NEXT) | instid1(VALU_DEP_1)
	v_cmp_eq_u32_e64 s0, 0, v63
	v_cndmask_b32_e64 v63, v73, v72, s0
; %bb.2783:                             ;   in Loop: Header=BB462_1471 Depth=1
	s_or_b32 exec_lo, exec_lo, s9
	v_lshlrev_b32_e32 v9, 16, v9
	s_delay_alu instid0(VALU_DEP_1) | instskip(NEXT) | instid1(VALU_DEP_1)
	v_mul_f32_e32 v9, v85, v9
	v_and_b32_e32 v72, 0x7f800000, v9
	s_delay_alu instid0(VALU_DEP_1) | instskip(NEXT) | instid1(VALU_DEP_1)
	v_cmp_ne_u32_e64 s0, 0x7f800000, v72
                                        ; implicit-def: $vgpr72
	s_and_saveexec_b32 s9, s0
	s_delay_alu instid0(SALU_CYCLE_1)
	s_xor_b32 s0, exec_lo, s9
; %bb.2784:                             ;   in Loop: Header=BB462_1471 Depth=1
	v_bfe_u32 v72, v9, 16, 1
	s_delay_alu instid0(VALU_DEP_1)
	v_add3_u32 v72, v9, v72, 0x7fff
                                        ; implicit-def: $vgpr9
; %bb.2785:                             ;   in Loop: Header=BB462_1471 Depth=1
	s_and_not1_saveexec_b32 s9, s0
; %bb.2786:                             ;   in Loop: Header=BB462_1471 Depth=1
	v_and_b32_e32 v72, 0xffff, v9
	v_or_b32_e32 v73, 0x10000, v9
	s_delay_alu instid0(VALU_DEP_2) | instskip(NEXT) | instid1(VALU_DEP_1)
	v_cmp_eq_u32_e64 s0, 0, v72
	v_cndmask_b32_e64 v72, v73, v9, s0
; %bb.2787:                             ;   in Loop: Header=BB462_1471 Depth=1
	s_or_b32 exec_lo, exec_lo, s9
	v_lshlrev_b32_e32 v7, 16, v7
                                        ; implicit-def: $vgpr73
	s_delay_alu instid0(VALU_DEP_1) | instskip(NEXT) | instid1(VALU_DEP_1)
	v_mul_f32_e32 v7, v86, v7
	v_and_b32_e32 v9, 0x7f800000, v7
	s_delay_alu instid0(VALU_DEP_1) | instskip(NEXT) | instid1(VALU_DEP_1)
	v_cmp_ne_u32_e64 s0, 0x7f800000, v9
	s_and_saveexec_b32 s9, s0
	s_delay_alu instid0(SALU_CYCLE_1)
	s_xor_b32 s0, exec_lo, s9
; %bb.2788:                             ;   in Loop: Header=BB462_1471 Depth=1
	v_bfe_u32 v9, v7, 16, 1
	s_delay_alu instid0(VALU_DEP_1)
	v_add3_u32 v73, v7, v9, 0x7fff
                                        ; implicit-def: $vgpr7
; %bb.2789:                             ;   in Loop: Header=BB462_1471 Depth=1
	s_and_not1_saveexec_b32 s9, s0
; %bb.2790:                             ;   in Loop: Header=BB462_1471 Depth=1
	v_and_b32_e32 v9, 0xffff, v7
	v_or_b32_e32 v73, 0x10000, v7
	s_delay_alu instid0(VALU_DEP_2) | instskip(NEXT) | instid1(VALU_DEP_1)
	v_cmp_eq_u32_e64 s0, 0, v9
	v_cndmask_b32_e64 v73, v73, v7, s0
; %bb.2791:                             ;   in Loop: Header=BB462_1471 Depth=1
	s_or_b32 exec_lo, exec_lo, s9
	v_lshlrev_b32_e32 v6, 16, v6
                                        ; implicit-def: $vgpr74
	s_delay_alu instid0(VALU_DEP_1) | instskip(NEXT) | instid1(VALU_DEP_1)
	v_mul_f32_e32 v6, v87, v6
	v_and_b32_e32 v7, 0x7f800000, v6
	s_delay_alu instid0(VALU_DEP_1) | instskip(NEXT) | instid1(VALU_DEP_1)
	v_cmp_ne_u32_e64 s0, 0x7f800000, v7
	s_and_saveexec_b32 s9, s0
	s_delay_alu instid0(SALU_CYCLE_1)
	s_xor_b32 s0, exec_lo, s9
; %bb.2792:                             ;   in Loop: Header=BB462_1471 Depth=1
	v_bfe_u32 v7, v6, 16, 1
	s_delay_alu instid0(VALU_DEP_1)
	v_add3_u32 v74, v6, v7, 0x7fff
                                        ; implicit-def: $vgpr6
; %bb.2793:                             ;   in Loop: Header=BB462_1471 Depth=1
	s_and_not1_saveexec_b32 s9, s0
; %bb.2794:                             ;   in Loop: Header=BB462_1471 Depth=1
	v_and_b32_e32 v7, 0xffff, v6
	v_or_b32_e32 v9, 0x10000, v6
	s_delay_alu instid0(VALU_DEP_2) | instskip(NEXT) | instid1(VALU_DEP_1)
	v_cmp_eq_u32_e64 s0, 0, v7
	v_cndmask_b32_e64 v74, v9, v6, s0
; %bb.2795:                             ;   in Loop: Header=BB462_1471 Depth=1
	s_or_b32 exec_lo, exec_lo, s9
	v_lshlrev_b32_e32 v3, 16, v3
                                        ; implicit-def: $vgpr75
	s_delay_alu instid0(VALU_DEP_1) | instskip(NEXT) | instid1(VALU_DEP_1)
	v_mul_f32_e32 v3, v96, v3
	v_and_b32_e32 v6, 0x7f800000, v3
	s_delay_alu instid0(VALU_DEP_1) | instskip(NEXT) | instid1(VALU_DEP_1)
	v_cmp_ne_u32_e64 s0, 0x7f800000, v6
	s_and_saveexec_b32 s9, s0
	s_delay_alu instid0(SALU_CYCLE_1)
	s_xor_b32 s0, exec_lo, s9
; %bb.2796:                             ;   in Loop: Header=BB462_1471 Depth=1
	v_bfe_u32 v6, v3, 16, 1
	s_delay_alu instid0(VALU_DEP_1)
	v_add3_u32 v75, v3, v6, 0x7fff
                                        ; implicit-def: $vgpr3
; %bb.2797:                             ;   in Loop: Header=BB462_1471 Depth=1
	s_and_not1_saveexec_b32 s9, s0
; %bb.2798:                             ;   in Loop: Header=BB462_1471 Depth=1
	v_and_b32_e32 v6, 0xffff, v3
	v_or_b32_e32 v7, 0x10000, v3
	s_delay_alu instid0(VALU_DEP_2) | instskip(NEXT) | instid1(VALU_DEP_1)
	v_cmp_eq_u32_e64 s0, 0, v6
	v_cndmask_b32_e64 v75, v7, v3, s0
; %bb.2799:                             ;   in Loop: Header=BB462_1471 Depth=1
	s_or_b32 exec_lo, exec_lo, s9
	v_lshlrev_b32_e32 v2, 16, v2
                                        ; implicit-def: $vgpr76
	s_delay_alu instid0(VALU_DEP_1) | instskip(NEXT) | instid1(VALU_DEP_1)
	v_mul_f32_e32 v2, v97, v2
	v_and_b32_e32 v3, 0x7f800000, v2
	s_delay_alu instid0(VALU_DEP_1) | instskip(NEXT) | instid1(VALU_DEP_1)
	v_cmp_ne_u32_e64 s0, 0x7f800000, v3
	s_and_saveexec_b32 s9, s0
	s_delay_alu instid0(SALU_CYCLE_1)
	s_xor_b32 s0, exec_lo, s9
; %bb.2800:                             ;   in Loop: Header=BB462_1471 Depth=1
	v_bfe_u32 v3, v2, 16, 1
	s_delay_alu instid0(VALU_DEP_1)
	v_add3_u32 v76, v2, v3, 0x7fff
                                        ; implicit-def: $vgpr2
; %bb.2801:                             ;   in Loop: Header=BB462_1471 Depth=1
	s_and_not1_saveexec_b32 s9, s0
; %bb.2802:                             ;   in Loop: Header=BB462_1471 Depth=1
	v_and_b32_e32 v3, 0xffff, v2
	v_or_b32_e32 v6, 0x10000, v2
	s_delay_alu instid0(VALU_DEP_2) | instskip(NEXT) | instid1(VALU_DEP_1)
	v_cmp_eq_u32_e64 s0, 0, v3
	v_cndmask_b32_e64 v76, v6, v2, s0
; %bb.2803:                             ;   in Loop: Header=BB462_1471 Depth=1
	s_or_b32 exec_lo, exec_lo, s9
	flat_load_b64 v[2:3], v[0:1] offset:2560
	s_mov_b32 s9, exec_lo
	s_waitcnt vmcnt(0) lgkmcnt(0)
	v_dual_mov_b32 v6, 0 :: v_dual_and_b32 v7, 0xff, v2
	s_delay_alu instid0(VALU_DEP_1)
	v_cmpx_ne_u16_e32 0, v7
	s_cbranch_execz .LBB462_2811
; %bb.2804:                             ;   in Loop: Header=BB462_1471 Depth=1
	v_bfrev_b32_e32 v6, 1
	s_mov_b32 s12, exec_lo
	v_cmpx_ne_u16_e32 0x80, v7
	s_cbranch_execz .LBB462_2810
; %bb.2805:                             ;   in Loop: Header=BB462_1471 Depth=1
	v_and_b32_e32 v7, 0x7f, v2
	v_mov_b32_e32 v6, 0x7f800001
	s_mov_b32 s13, exec_lo
	s_delay_alu instid0(VALU_DEP_2)
	v_cmpx_ne_u32_e32 0x7f, v7
	s_cbranch_execz .LBB462_2809
; %bb.2806:                             ;   in Loop: Header=BB462_1471 Depth=1
	v_lshrrev_b32_e32 v9, 3, v7
	v_cmp_gt_u32_e64 s0, 8, v7
	v_dual_mov_b32 v7, v3 :: v_dual_mov_b32 v6, v2
	s_delay_alu instid0(VALU_DEP_2)
	s_and_saveexec_b32 s15, s0
; %bb.2807:                             ;   in Loop: Header=BB462_1471 Depth=1
	v_and_b32_e32 v6, 7, v2
	s_delay_alu instid0(VALU_DEP_1) | instskip(NEXT) | instid1(VALU_DEP_1)
	v_clz_i32_u32_e32 v6, v6
	v_min_u32_e32 v9, 32, v6
	s_delay_alu instid0(VALU_DEP_1) | instskip(SKIP_1) | instid1(VALU_DEP_2)
	v_subrev_nc_u32_e32 v6, 28, v9
	v_sub_nc_u32_e32 v9, 29, v9
	v_lshlrev_b64 v[6:7], v6, v[2:3]
; %bb.2808:                             ;   in Loop: Header=BB462_1471 Depth=1
	s_or_b32 exec_lo, exec_lo, s15
	s_delay_alu instid0(VALU_DEP_1) | instskip(SKIP_2) | instid1(VALU_DEP_3)
	v_lshlrev_b32_e32 v6, 20, v6
	v_lshlrev_b32_e32 v7, 24, v2
	v_lshl_add_u32 v9, v9, 23, 0x3c000000
	v_and_b32_e32 v6, 0x700000, v6
	s_delay_alu instid0(VALU_DEP_3) | instskip(NEXT) | instid1(VALU_DEP_1)
	v_and_b32_e32 v7, 0x80000000, v7
	v_or3_b32 v6, v6, v7, v9
.LBB462_2809:                           ;   in Loop: Header=BB462_1471 Depth=1
	s_or_b32 exec_lo, exec_lo, s13
.LBB462_2810:                           ;   in Loop: Header=BB462_1471 Depth=1
	s_delay_alu instid0(SALU_CYCLE_1)
	s_or_b32 exec_lo, exec_lo, s12
.LBB462_2811:                           ;   in Loop: Header=BB462_1471 Depth=1
	s_delay_alu instid0(SALU_CYCLE_1) | instskip(NEXT) | instid1(VALU_DEP_1)
	s_or_b32 exec_lo, exec_lo, s9
	v_mul_f32_e32 v6, v26, v6
                                        ; implicit-def: $vgpr77
	s_delay_alu instid0(VALU_DEP_1) | instskip(NEXT) | instid1(VALU_DEP_1)
	v_and_b32_e32 v7, 0x7f800000, v6
	v_cmp_ne_u32_e64 s0, 0x7f800000, v7
	s_delay_alu instid0(VALU_DEP_1) | instskip(NEXT) | instid1(SALU_CYCLE_1)
	s_and_saveexec_b32 s9, s0
	s_xor_b32 s0, exec_lo, s9
; %bb.2812:                             ;   in Loop: Header=BB462_1471 Depth=1
	v_bfe_u32 v7, v6, 16, 1
	s_delay_alu instid0(VALU_DEP_1)
	v_add3_u32 v77, v6, v7, 0x7fff
                                        ; implicit-def: $vgpr6
; %bb.2813:                             ;   in Loop: Header=BB462_1471 Depth=1
	s_and_not1_saveexec_b32 s9, s0
; %bb.2814:                             ;   in Loop: Header=BB462_1471 Depth=1
	v_and_b32_e32 v7, 0xffff, v6
	v_or_b32_e32 v9, 0x10000, v6
	s_delay_alu instid0(VALU_DEP_2) | instskip(NEXT) | instid1(VALU_DEP_1)
	v_cmp_eq_u32_e64 s0, 0, v7
	v_cndmask_b32_e64 v77, v9, v6, s0
; %bb.2815:                             ;   in Loop: Header=BB462_1471 Depth=1
	s_or_b32 exec_lo, exec_lo, s9
	v_lshrrev_b16 v7, 8, v2
	v_mov_b32_e32 v6, 0
	s_mov_b32 s9, exec_lo
	s_delay_alu instid0(VALU_DEP_2)
	v_cmpx_ne_u16_e32 0, v7
	s_cbranch_execz .LBB462_2823
; %bb.2816:                             ;   in Loop: Header=BB462_1471 Depth=1
	v_bfrev_b32_e32 v6, 1
	s_mov_b32 s12, exec_lo
	v_cmpx_ne_u16_e32 0x80, v7
	s_cbranch_execz .LBB462_2822
; %bb.2817:                             ;   in Loop: Header=BB462_1471 Depth=1
	v_and_b32_e32 v9, 0xffff, v7
	v_mov_b32_e32 v6, 0x7f800001
	s_mov_b32 s13, exec_lo
	s_delay_alu instid0(VALU_DEP_2) | instskip(NEXT) | instid1(VALU_DEP_1)
	v_and_b32_e32 v7, 0x7f, v9
	v_cmpx_ne_u32_e32 0x7f, v7
	s_cbranch_execz .LBB462_2821
; %bb.2818:                             ;   in Loop: Header=BB462_1471 Depth=1
	v_and_b32_e32 v9, 7, v9
	v_lshrrev_b32_e32 v78, 3, v7
	v_cmp_gt_u32_e64 s0, 8, v7
	s_delay_alu instid0(VALU_DEP_3) | instskip(NEXT) | instid1(VALU_DEP_2)
	v_dual_mov_b32 v6, v9 :: v_dual_mov_b32 v7, v10
	s_and_saveexec_b32 s15, s0
; %bb.2819:                             ;   in Loop: Header=BB462_1471 Depth=1
	v_clz_i32_u32_e32 v6, v9
	s_delay_alu instid0(VALU_DEP_1) | instskip(NEXT) | instid1(VALU_DEP_1)
	v_min_u32_e32 v78, 32, v6
	v_subrev_nc_u32_e32 v6, 28, v78
	v_sub_nc_u32_e32 v78, 29, v78
	s_delay_alu instid0(VALU_DEP_2) | instskip(NEXT) | instid1(VALU_DEP_1)
	v_lshlrev_b64 v[6:7], v6, v[9:10]
	v_and_b32_e32 v6, 7, v6
; %bb.2820:                             ;   in Loop: Header=BB462_1471 Depth=1
	s_or_b32 exec_lo, exec_lo, s15
	v_lshlrev_b32_e32 v7, 16, v2
	s_delay_alu instid0(VALU_DEP_2) | instskip(SKIP_1) | instid1(VALU_DEP_3)
	v_lshlrev_b32_e32 v6, 20, v6
	v_lshl_add_u32 v9, v78, 23, 0x3c000000
	v_and_b32_e32 v7, 0x80000000, v7
	s_delay_alu instid0(VALU_DEP_1)
	v_or3_b32 v6, v6, v7, v9
.LBB462_2821:                           ;   in Loop: Header=BB462_1471 Depth=1
	s_or_b32 exec_lo, exec_lo, s13
.LBB462_2822:                           ;   in Loop: Header=BB462_1471 Depth=1
	s_delay_alu instid0(SALU_CYCLE_1)
	s_or_b32 exec_lo, exec_lo, s12
.LBB462_2823:                           ;   in Loop: Header=BB462_1471 Depth=1
	s_delay_alu instid0(SALU_CYCLE_1) | instskip(NEXT) | instid1(VALU_DEP_1)
	s_or_b32 exec_lo, exec_lo, s9
	v_mul_f32_e32 v6, v26, v6
                                        ; implicit-def: $vgpr78
	s_delay_alu instid0(VALU_DEP_1) | instskip(NEXT) | instid1(VALU_DEP_1)
	v_and_b32_e32 v7, 0x7f800000, v6
	v_cmp_ne_u32_e64 s0, 0x7f800000, v7
	s_delay_alu instid0(VALU_DEP_1) | instskip(NEXT) | instid1(SALU_CYCLE_1)
	s_and_saveexec_b32 s9, s0
	s_xor_b32 s0, exec_lo, s9
; %bb.2824:                             ;   in Loop: Header=BB462_1471 Depth=1
	v_bfe_u32 v7, v6, 16, 1
	s_delay_alu instid0(VALU_DEP_1)
	v_add3_u32 v78, v6, v7, 0x7fff
                                        ; implicit-def: $vgpr6
; %bb.2825:                             ;   in Loop: Header=BB462_1471 Depth=1
	s_and_not1_saveexec_b32 s9, s0
; %bb.2826:                             ;   in Loop: Header=BB462_1471 Depth=1
	v_and_b32_e32 v7, 0xffff, v6
	v_or_b32_e32 v9, 0x10000, v6
	s_delay_alu instid0(VALU_DEP_2) | instskip(NEXT) | instid1(VALU_DEP_1)
	v_cmp_eq_u32_e64 s0, 0, v7
	v_cndmask_b32_e64 v78, v9, v6, s0
; %bb.2827:                             ;   in Loop: Header=BB462_1471 Depth=1
	s_or_b32 exec_lo, exec_lo, s9
	v_lshrrev_b32_e32 v79, 16, v2
	s_mov_b32 s9, exec_lo
	s_delay_alu instid0(VALU_DEP_1) | instskip(NEXT) | instid1(VALU_DEP_1)
	v_dual_mov_b32 v6, 0 :: v_dual_and_b32 v7, 0xff, v79
	v_cmpx_ne_u16_e32 0, v7
	s_cbranch_execz .LBB462_2835
; %bb.2828:                             ;   in Loop: Header=BB462_1471 Depth=1
	v_bfrev_b32_e32 v6, 1
	s_mov_b32 s12, exec_lo
	v_cmpx_ne_u16_e32 0x80, v7
	s_cbranch_execz .LBB462_2834
; %bb.2829:                             ;   in Loop: Header=BB462_1471 Depth=1
	v_bfe_u32 v7, v2, 16, 7
	v_mov_b32_e32 v6, 0x7f800001
	s_mov_b32 s13, exec_lo
	s_delay_alu instid0(VALU_DEP_2)
	v_cmpx_ne_u32_e32 0x7f, v7
	s_cbranch_execz .LBB462_2833
; %bb.2830:                             ;   in Loop: Header=BB462_1471 Depth=1
	v_and_b32_e32 v9, 7, v79
	v_lshrrev_b32_e32 v88, 3, v7
	v_cmp_gt_u32_e64 s0, 8, v7
	s_delay_alu instid0(VALU_DEP_3) | instskip(NEXT) | instid1(VALU_DEP_2)
	v_dual_mov_b32 v6, v9 :: v_dual_mov_b32 v7, v10
	s_and_saveexec_b32 s15, s0
; %bb.2831:                             ;   in Loop: Header=BB462_1471 Depth=1
	v_clz_i32_u32_e32 v6, v9
	s_delay_alu instid0(VALU_DEP_1) | instskip(NEXT) | instid1(VALU_DEP_1)
	v_min_u32_e32 v88, 32, v6
	v_subrev_nc_u32_e32 v6, 28, v88
	v_sub_nc_u32_e32 v88, 29, v88
	s_delay_alu instid0(VALU_DEP_2) | instskip(NEXT) | instid1(VALU_DEP_1)
	v_lshlrev_b64 v[6:7], v6, v[9:10]
	v_and_b32_e32 v6, 7, v6
; %bb.2832:                             ;   in Loop: Header=BB462_1471 Depth=1
	s_or_b32 exec_lo, exec_lo, s15
	v_lshlrev_b32_e32 v7, 24, v79
	s_delay_alu instid0(VALU_DEP_2) | instskip(SKIP_1) | instid1(VALU_DEP_3)
	v_lshlrev_b32_e32 v6, 20, v6
	v_lshl_add_u32 v9, v88, 23, 0x3c000000
	v_and_b32_e32 v7, 0x80000000, v7
	s_delay_alu instid0(VALU_DEP_1)
	v_or3_b32 v6, v6, v7, v9
.LBB462_2833:                           ;   in Loop: Header=BB462_1471 Depth=1
	s_or_b32 exec_lo, exec_lo, s13
.LBB462_2834:                           ;   in Loop: Header=BB462_1471 Depth=1
	s_delay_alu instid0(SALU_CYCLE_1)
	s_or_b32 exec_lo, exec_lo, s12
.LBB462_2835:                           ;   in Loop: Header=BB462_1471 Depth=1
	s_delay_alu instid0(SALU_CYCLE_1) | instskip(NEXT) | instid1(VALU_DEP_1)
	s_or_b32 exec_lo, exec_lo, s9
	v_mul_f32_e32 v6, v26, v6
                                        ; implicit-def: $vgpr79
	s_delay_alu instid0(VALU_DEP_1) | instskip(NEXT) | instid1(VALU_DEP_1)
	v_and_b32_e32 v7, 0x7f800000, v6
	v_cmp_ne_u32_e64 s0, 0x7f800000, v7
	s_delay_alu instid0(VALU_DEP_1) | instskip(NEXT) | instid1(SALU_CYCLE_1)
	s_and_saveexec_b32 s9, s0
	s_xor_b32 s0, exec_lo, s9
; %bb.2836:                             ;   in Loop: Header=BB462_1471 Depth=1
	v_bfe_u32 v7, v6, 16, 1
	s_delay_alu instid0(VALU_DEP_1)
	v_add3_u32 v79, v6, v7, 0x7fff
                                        ; implicit-def: $vgpr6
; %bb.2837:                             ;   in Loop: Header=BB462_1471 Depth=1
	s_and_not1_saveexec_b32 s9, s0
; %bb.2838:                             ;   in Loop: Header=BB462_1471 Depth=1
	v_and_b32_e32 v7, 0xffff, v6
	v_or_b32_e32 v9, 0x10000, v6
	s_delay_alu instid0(VALU_DEP_2) | instskip(NEXT) | instid1(VALU_DEP_1)
	v_cmp_eq_u32_e64 s0, 0, v7
	v_cndmask_b32_e64 v79, v9, v6, s0
; %bb.2839:                             ;   in Loop: Header=BB462_1471 Depth=1
	s_or_b32 exec_lo, exec_lo, s9
	v_mov_b32_e32 v6, 0
	s_mov_b32 s9, exec_lo
	v_cmpx_lt_u32_e32 0xffffff, v2
	s_cbranch_execz .LBB462_2847
; %bb.2840:                             ;   in Loop: Header=BB462_1471 Depth=1
	v_lshrrev_b32_e32 v88, 24, v2
	v_bfrev_b32_e32 v6, 1
	s_mov_b32 s12, exec_lo
	s_delay_alu instid0(VALU_DEP_2)
	v_cmpx_ne_u32_e32 0x80, v88
	s_cbranch_execz .LBB462_2846
; %bb.2841:                             ;   in Loop: Header=BB462_1471 Depth=1
	v_bfe_u32 v7, v2, 24, 7
	v_mov_b32_e32 v6, 0x7f800001
	s_mov_b32 s13, exec_lo
	s_delay_alu instid0(VALU_DEP_2)
	v_cmpx_ne_u32_e32 0x7f, v7
	s_cbranch_execz .LBB462_2845
; %bb.2842:                             ;   in Loop: Header=BB462_1471 Depth=1
	v_and_b32_e32 v9, 7, v88
	v_lshrrev_b32_e32 v89, 3, v7
	v_cmp_gt_u32_e64 s0, 8, v7
	s_delay_alu instid0(VALU_DEP_3) | instskip(NEXT) | instid1(VALU_DEP_2)
	v_dual_mov_b32 v6, v9 :: v_dual_mov_b32 v7, v10
	s_and_saveexec_b32 s15, s0
; %bb.2843:                             ;   in Loop: Header=BB462_1471 Depth=1
	v_clz_i32_u32_e32 v6, v9
	s_delay_alu instid0(VALU_DEP_1) | instskip(NEXT) | instid1(VALU_DEP_1)
	v_min_u32_e32 v89, 32, v6
	v_subrev_nc_u32_e32 v6, 28, v89
	v_sub_nc_u32_e32 v89, 29, v89
	s_delay_alu instid0(VALU_DEP_2) | instskip(NEXT) | instid1(VALU_DEP_1)
	v_lshlrev_b64 v[6:7], v6, v[9:10]
	v_and_b32_e32 v6, 7, v6
; %bb.2844:                             ;   in Loop: Header=BB462_1471 Depth=1
	s_or_b32 exec_lo, exec_lo, s15
	v_lshlrev_b32_e32 v7, 24, v88
	s_delay_alu instid0(VALU_DEP_2) | instskip(SKIP_1) | instid1(VALU_DEP_3)
	v_lshlrev_b32_e32 v6, 20, v6
	v_lshl_add_u32 v9, v89, 23, 0x3c000000
	v_and_b32_e32 v7, 0x80000000, v7
	s_delay_alu instid0(VALU_DEP_1)
	v_or3_b32 v6, v6, v7, v9
.LBB462_2845:                           ;   in Loop: Header=BB462_1471 Depth=1
	s_or_b32 exec_lo, exec_lo, s13
.LBB462_2846:                           ;   in Loop: Header=BB462_1471 Depth=1
	s_delay_alu instid0(SALU_CYCLE_1)
	s_or_b32 exec_lo, exec_lo, s12
.LBB462_2847:                           ;   in Loop: Header=BB462_1471 Depth=1
	s_delay_alu instid0(SALU_CYCLE_1) | instskip(NEXT) | instid1(VALU_DEP_1)
	s_or_b32 exec_lo, exec_lo, s9
	v_mul_f32_e32 v6, v26, v6
                                        ; implicit-def: $vgpr88
	s_delay_alu instid0(VALU_DEP_1) | instskip(NEXT) | instid1(VALU_DEP_1)
	v_and_b32_e32 v7, 0x7f800000, v6
	v_cmp_ne_u32_e64 s0, 0x7f800000, v7
	s_delay_alu instid0(VALU_DEP_1) | instskip(NEXT) | instid1(SALU_CYCLE_1)
	s_and_saveexec_b32 s9, s0
	s_xor_b32 s0, exec_lo, s9
; %bb.2848:                             ;   in Loop: Header=BB462_1471 Depth=1
	v_bfe_u32 v7, v6, 16, 1
	s_delay_alu instid0(VALU_DEP_1)
	v_add3_u32 v88, v6, v7, 0x7fff
                                        ; implicit-def: $vgpr6
; %bb.2849:                             ;   in Loop: Header=BB462_1471 Depth=1
	s_and_not1_saveexec_b32 s9, s0
; %bb.2850:                             ;   in Loop: Header=BB462_1471 Depth=1
	v_and_b32_e32 v7, 0xffff, v6
	v_or_b32_e32 v9, 0x10000, v6
	s_delay_alu instid0(VALU_DEP_2) | instskip(NEXT) | instid1(VALU_DEP_1)
	v_cmp_eq_u32_e64 s0, 0, v7
	v_cndmask_b32_e64 v88, v9, v6, s0
; %bb.2851:                             ;   in Loop: Header=BB462_1471 Depth=1
	s_or_b32 exec_lo, exec_lo, s9
	v_dual_mov_b32 v6, 0 :: v_dual_and_b32 v7, 0xff, v3
	v_mov_b32_e32 v9, v3
	s_mov_b32 s9, exec_lo
	s_delay_alu instid0(VALU_DEP_2)
	v_cmpx_ne_u16_e32 0, v7
	s_cbranch_execz .LBB462_2859
; %bb.2852:                             ;   in Loop: Header=BB462_1471 Depth=1
	v_bfrev_b32_e32 v6, 1
	s_mov_b32 s12, exec_lo
	v_cmpx_ne_u16_e32 0x80, v7
	s_cbranch_execz .LBB462_2858
; %bb.2853:                             ;   in Loop: Header=BB462_1471 Depth=1
	v_and_b32_e32 v7, 0x7f, v3
	v_mov_b32_e32 v6, 0x7f800001
	s_mov_b32 s13, exec_lo
	s_delay_alu instid0(VALU_DEP_2)
	v_cmpx_ne_u32_e32 0x7f, v7
	s_cbranch_execz .LBB462_2857
; %bb.2854:                             ;   in Loop: Header=BB462_1471 Depth=1
	v_lshrrev_b32_e32 v89, 3, v7
	v_cmp_gt_u32_e64 s0, 8, v7
	v_dual_mov_b32 v6, v9 :: v_dual_mov_b32 v7, v10
	s_delay_alu instid0(VALU_DEP_2)
	s_and_saveexec_b32 s15, s0
; %bb.2855:                             ;   in Loop: Header=BB462_1471 Depth=1
	v_and_b32_e32 v6, 7, v3
	s_delay_alu instid0(VALU_DEP_1) | instskip(NEXT) | instid1(VALU_DEP_1)
	v_clz_i32_u32_e32 v6, v6
	v_min_u32_e32 v89, 32, v6
	s_delay_alu instid0(VALU_DEP_1) | instskip(SKIP_1) | instid1(VALU_DEP_2)
	v_subrev_nc_u32_e32 v6, 28, v89
	v_sub_nc_u32_e32 v89, 29, v89
	v_lshlrev_b64 v[6:7], v6, v[9:10]
; %bb.2856:                             ;   in Loop: Header=BB462_1471 Depth=1
	s_or_b32 exec_lo, exec_lo, s15
	s_delay_alu instid0(VALU_DEP_1) | instskip(SKIP_2) | instid1(VALU_DEP_3)
	v_lshlrev_b32_e32 v6, 20, v6
	v_lshlrev_b32_e32 v7, 24, v9
	v_lshl_add_u32 v89, v89, 23, 0x3c000000
	v_and_b32_e32 v6, 0x700000, v6
	s_delay_alu instid0(VALU_DEP_3) | instskip(NEXT) | instid1(VALU_DEP_1)
	v_and_b32_e32 v7, 0x80000000, v7
	v_or3_b32 v6, v6, v7, v89
.LBB462_2857:                           ;   in Loop: Header=BB462_1471 Depth=1
	s_or_b32 exec_lo, exec_lo, s13
.LBB462_2858:                           ;   in Loop: Header=BB462_1471 Depth=1
	s_delay_alu instid0(SALU_CYCLE_1)
	s_or_b32 exec_lo, exec_lo, s12
.LBB462_2859:                           ;   in Loop: Header=BB462_1471 Depth=1
	s_delay_alu instid0(SALU_CYCLE_1) | instskip(NEXT) | instid1(VALU_DEP_1)
	s_or_b32 exec_lo, exec_lo, s9
	v_mul_f32_e32 v6, v26, v6
                                        ; implicit-def: $vgpr89
	s_delay_alu instid0(VALU_DEP_1) | instskip(NEXT) | instid1(VALU_DEP_1)
	v_and_b32_e32 v7, 0x7f800000, v6
	v_cmp_ne_u32_e64 s0, 0x7f800000, v7
	s_delay_alu instid0(VALU_DEP_1) | instskip(NEXT) | instid1(SALU_CYCLE_1)
	s_and_saveexec_b32 s9, s0
	s_xor_b32 s0, exec_lo, s9
; %bb.2860:                             ;   in Loop: Header=BB462_1471 Depth=1
	v_bfe_u32 v7, v6, 16, 1
	s_delay_alu instid0(VALU_DEP_1)
	v_add3_u32 v89, v6, v7, 0x7fff
                                        ; implicit-def: $vgpr6
; %bb.2861:                             ;   in Loop: Header=BB462_1471 Depth=1
	s_and_not1_saveexec_b32 s9, s0
; %bb.2862:                             ;   in Loop: Header=BB462_1471 Depth=1
	v_and_b32_e32 v7, 0xffff, v6
	v_or_b32_e32 v89, 0x10000, v6
	s_delay_alu instid0(VALU_DEP_2) | instskip(NEXT) | instid1(VALU_DEP_1)
	v_cmp_eq_u32_e64 s0, 0, v7
	v_cndmask_b32_e64 v89, v89, v6, s0
; %bb.2863:                             ;   in Loop: Header=BB462_1471 Depth=1
	s_or_b32 exec_lo, exec_lo, s9
	v_lshrrev_b16 v7, 8, v9
	v_mov_b32_e32 v6, 0
	s_mov_b32 s9, exec_lo
	s_delay_alu instid0(VALU_DEP_2)
	v_cmpx_ne_u16_e32 0, v7
	s_cbranch_execz .LBB462_2871
; %bb.2864:                             ;   in Loop: Header=BB462_1471 Depth=1
	v_bfrev_b32_e32 v6, 1
	s_mov_b32 s12, exec_lo
	v_cmpx_ne_u16_e32 0x80, v7
	s_cbranch_execz .LBB462_2870
; %bb.2865:                             ;   in Loop: Header=BB462_1471 Depth=1
	v_and_b32_e32 v7, 0xffff, v7
	v_mov_b32_e32 v6, 0x7f800001
	s_mov_b32 s13, exec_lo
	s_delay_alu instid0(VALU_DEP_2) | instskip(NEXT) | instid1(VALU_DEP_1)
	v_and_b32_e32 v91, 0x7f, v7
	v_cmpx_ne_u32_e32 0x7f, v91
	s_cbranch_execz .LBB462_2869
; %bb.2866:                             ;   in Loop: Header=BB462_1471 Depth=1
	v_dual_mov_b32 v7, v10 :: v_dual_and_b32 v6, 7, v7
	v_lshrrev_b32_e32 v90, 3, v91
	s_mov_b32 s15, exec_lo
	v_cmpx_gt_u32_e32 8, v91
; %bb.2867:                             ;   in Loop: Header=BB462_1471 Depth=1
	s_delay_alu instid0(VALU_DEP_3) | instskip(NEXT) | instid1(VALU_DEP_1)
	v_clz_i32_u32_e32 v90, v6
	v_min_u32_e32 v90, 32, v90
	s_delay_alu instid0(VALU_DEP_1) | instskip(SKIP_1) | instid1(VALU_DEP_2)
	v_subrev_nc_u32_e32 v91, 28, v90
	v_sub_nc_u32_e32 v90, 29, v90
	v_lshlrev_b64 v[6:7], v91, v[6:7]
	s_delay_alu instid0(VALU_DEP_1)
	v_and_b32_e32 v6, 7, v6
; %bb.2868:                             ;   in Loop: Header=BB462_1471 Depth=1
	s_or_b32 exec_lo, exec_lo, s15
	v_lshlrev_b32_e32 v7, 16, v9
	s_delay_alu instid0(VALU_DEP_2) | instskip(SKIP_1) | instid1(VALU_DEP_3)
	v_lshlrev_b32_e32 v6, 20, v6
	v_lshl_add_u32 v9, v90, 23, 0x3c000000
	v_and_b32_e32 v7, 0x80000000, v7
	s_delay_alu instid0(VALU_DEP_1)
	v_or3_b32 v6, v6, v7, v9
.LBB462_2869:                           ;   in Loop: Header=BB462_1471 Depth=1
	s_or_b32 exec_lo, exec_lo, s13
.LBB462_2870:                           ;   in Loop: Header=BB462_1471 Depth=1
	s_delay_alu instid0(SALU_CYCLE_1)
	s_or_b32 exec_lo, exec_lo, s12
.LBB462_2871:                           ;   in Loop: Header=BB462_1471 Depth=1
	s_delay_alu instid0(SALU_CYCLE_1) | instskip(NEXT) | instid1(VALU_DEP_1)
	s_or_b32 exec_lo, exec_lo, s9
	v_mul_f32_e32 v6, v26, v6
                                        ; implicit-def: $vgpr90
	s_delay_alu instid0(VALU_DEP_1) | instskip(NEXT) | instid1(VALU_DEP_1)
	v_and_b32_e32 v7, 0x7f800000, v6
	v_cmp_ne_u32_e64 s0, 0x7f800000, v7
	s_delay_alu instid0(VALU_DEP_1) | instskip(NEXT) | instid1(SALU_CYCLE_1)
	s_and_saveexec_b32 s9, s0
	s_xor_b32 s0, exec_lo, s9
; %bb.2872:                             ;   in Loop: Header=BB462_1471 Depth=1
	v_bfe_u32 v7, v6, 16, 1
	s_delay_alu instid0(VALU_DEP_1)
	v_add3_u32 v90, v6, v7, 0x7fff
                                        ; implicit-def: $vgpr6
; %bb.2873:                             ;   in Loop: Header=BB462_1471 Depth=1
	s_and_not1_saveexec_b32 s9, s0
; %bb.2874:                             ;   in Loop: Header=BB462_1471 Depth=1
	v_and_b32_e32 v7, 0xffff, v6
	v_or_b32_e32 v9, 0x10000, v6
	s_delay_alu instid0(VALU_DEP_2) | instskip(NEXT) | instid1(VALU_DEP_1)
	v_cmp_eq_u32_e64 s0, 0, v7
	v_cndmask_b32_e64 v90, v9, v6, s0
; %bb.2875:                             ;   in Loop: Header=BB462_1471 Depth=1
	s_or_b32 exec_lo, exec_lo, s9
	v_lshrrev_b32_e32 v91, 16, v3
	s_mov_b32 s9, exec_lo
	s_delay_alu instid0(VALU_DEP_1) | instskip(NEXT) | instid1(VALU_DEP_1)
	v_dual_mov_b32 v6, 0 :: v_dual_and_b32 v7, 0xff, v91
	v_cmpx_ne_u16_e32 0, v7
	s_cbranch_execz .LBB462_2883
; %bb.2876:                             ;   in Loop: Header=BB462_1471 Depth=1
	v_bfrev_b32_e32 v6, 1
	s_mov_b32 s12, exec_lo
	v_cmpx_ne_u16_e32 0x80, v7
	s_cbranch_execz .LBB462_2882
; %bb.2877:                             ;   in Loop: Header=BB462_1471 Depth=1
	v_bfe_u32 v7, v3, 16, 7
	v_mov_b32_e32 v6, 0x7f800001
	s_mov_b32 s13, exec_lo
	s_delay_alu instid0(VALU_DEP_2)
	v_cmpx_ne_u32_e32 0x7f, v7
	s_cbranch_execz .LBB462_2881
; %bb.2878:                             ;   in Loop: Header=BB462_1471 Depth=1
	v_and_b32_e32 v9, 7, v91
	v_lshrrev_b32_e32 v92, 3, v7
	v_cmp_gt_u32_e64 s0, 8, v7
	s_delay_alu instid0(VALU_DEP_3) | instskip(NEXT) | instid1(VALU_DEP_2)
	v_dual_mov_b32 v6, v9 :: v_dual_mov_b32 v7, v10
	s_and_saveexec_b32 s15, s0
; %bb.2879:                             ;   in Loop: Header=BB462_1471 Depth=1
	v_clz_i32_u32_e32 v6, v9
	s_delay_alu instid0(VALU_DEP_1) | instskip(NEXT) | instid1(VALU_DEP_1)
	v_min_u32_e32 v92, 32, v6
	v_subrev_nc_u32_e32 v6, 28, v92
	v_sub_nc_u32_e32 v92, 29, v92
	s_delay_alu instid0(VALU_DEP_2) | instskip(NEXT) | instid1(VALU_DEP_1)
	v_lshlrev_b64 v[6:7], v6, v[9:10]
	v_and_b32_e32 v6, 7, v6
; %bb.2880:                             ;   in Loop: Header=BB462_1471 Depth=1
	s_or_b32 exec_lo, exec_lo, s15
	v_lshlrev_b32_e32 v7, 24, v91
	s_delay_alu instid0(VALU_DEP_2) | instskip(SKIP_1) | instid1(VALU_DEP_3)
	v_lshlrev_b32_e32 v6, 20, v6
	v_lshl_add_u32 v9, v92, 23, 0x3c000000
	v_and_b32_e32 v7, 0x80000000, v7
	s_delay_alu instid0(VALU_DEP_1)
	v_or3_b32 v6, v6, v7, v9
.LBB462_2881:                           ;   in Loop: Header=BB462_1471 Depth=1
	s_or_b32 exec_lo, exec_lo, s13
.LBB462_2882:                           ;   in Loop: Header=BB462_1471 Depth=1
	s_delay_alu instid0(SALU_CYCLE_1)
	s_or_b32 exec_lo, exec_lo, s12
.LBB462_2883:                           ;   in Loop: Header=BB462_1471 Depth=1
	s_delay_alu instid0(SALU_CYCLE_1) | instskip(NEXT) | instid1(VALU_DEP_1)
	s_or_b32 exec_lo, exec_lo, s9
	v_mul_f32_e32 v6, v26, v6
                                        ; implicit-def: $vgpr91
	s_delay_alu instid0(VALU_DEP_1) | instskip(NEXT) | instid1(VALU_DEP_1)
	v_and_b32_e32 v7, 0x7f800000, v6
	v_cmp_ne_u32_e64 s0, 0x7f800000, v7
	s_delay_alu instid0(VALU_DEP_1) | instskip(NEXT) | instid1(SALU_CYCLE_1)
	s_and_saveexec_b32 s9, s0
	s_xor_b32 s0, exec_lo, s9
; %bb.2884:                             ;   in Loop: Header=BB462_1471 Depth=1
	v_bfe_u32 v7, v6, 16, 1
	s_delay_alu instid0(VALU_DEP_1)
	v_add3_u32 v91, v6, v7, 0x7fff
                                        ; implicit-def: $vgpr6
; %bb.2885:                             ;   in Loop: Header=BB462_1471 Depth=1
	s_and_not1_saveexec_b32 s9, s0
; %bb.2886:                             ;   in Loop: Header=BB462_1471 Depth=1
	v_and_b32_e32 v7, 0xffff, v6
	v_or_b32_e32 v9, 0x10000, v6
	s_delay_alu instid0(VALU_DEP_2) | instskip(NEXT) | instid1(VALU_DEP_1)
	v_cmp_eq_u32_e64 s0, 0, v7
	v_cndmask_b32_e64 v91, v9, v6, s0
; %bb.2887:                             ;   in Loop: Header=BB462_1471 Depth=1
	s_or_b32 exec_lo, exec_lo, s9
	v_cmp_lt_u64_e64 s0, s[2:3], v[2:3]
	v_mov_b32_e32 v2, 0
	s_delay_alu instid0(VALU_DEP_2)
	s_and_saveexec_b32 s9, s0
	s_cbranch_execz .LBB462_2895
; %bb.2888:                             ;   in Loop: Header=BB462_1471 Depth=1
	v_lshrrev_b32_e32 v6, 24, v3
	v_bfrev_b32_e32 v2, 1
	s_mov_b32 s12, exec_lo
	s_delay_alu instid0(VALU_DEP_2)
	v_cmpx_ne_u32_e32 0x80, v6
	s_cbranch_execz .LBB462_2894
; %bb.2889:                             ;   in Loop: Header=BB462_1471 Depth=1
	v_bfe_u32 v3, v3, 24, 7
	v_mov_b32_e32 v2, 0x7f800001
	s_mov_b32 s13, exec_lo
	s_delay_alu instid0(VALU_DEP_2)
	v_cmpx_ne_u32_e32 0x7f, v3
	s_cbranch_execz .LBB462_2893
; %bb.2890:                             ;   in Loop: Header=BB462_1471 Depth=1
	v_and_b32_e32 v9, 7, v6
	v_lshrrev_b32_e32 v7, 3, v3
	v_cmp_gt_u32_e64 s0, 8, v3
	s_delay_alu instid0(VALU_DEP_3) | instskip(NEXT) | instid1(VALU_DEP_2)
	v_dual_mov_b32 v2, v9 :: v_dual_mov_b32 v3, v10
	s_and_saveexec_b32 s15, s0
; %bb.2891:                             ;   in Loop: Header=BB462_1471 Depth=1
	v_clz_i32_u32_e32 v2, v9
	s_delay_alu instid0(VALU_DEP_1) | instskip(NEXT) | instid1(VALU_DEP_1)
	v_min_u32_e32 v7, 32, v2
	v_subrev_nc_u32_e32 v2, 28, v7
	v_sub_nc_u32_e32 v7, 29, v7
	s_delay_alu instid0(VALU_DEP_2) | instskip(NEXT) | instid1(VALU_DEP_1)
	v_lshlrev_b64 v[2:3], v2, v[9:10]
	v_and_b32_e32 v2, 7, v2
; %bb.2892:                             ;   in Loop: Header=BB462_1471 Depth=1
	s_or_b32 exec_lo, exec_lo, s15
	v_lshlrev_b32_e32 v3, 24, v6
	s_delay_alu instid0(VALU_DEP_2) | instskip(SKIP_1) | instid1(VALU_DEP_3)
	v_lshlrev_b32_e32 v2, 20, v2
	v_lshl_add_u32 v6, v7, 23, 0x3c000000
	v_and_b32_e32 v3, 0x80000000, v3
	s_delay_alu instid0(VALU_DEP_1)
	v_or3_b32 v2, v2, v3, v6
.LBB462_2893:                           ;   in Loop: Header=BB462_1471 Depth=1
	s_or_b32 exec_lo, exec_lo, s13
.LBB462_2894:                           ;   in Loop: Header=BB462_1471 Depth=1
	s_delay_alu instid0(SALU_CYCLE_1)
	s_or_b32 exec_lo, exec_lo, s12
.LBB462_2895:                           ;   in Loop: Header=BB462_1471 Depth=1
	s_delay_alu instid0(SALU_CYCLE_1) | instskip(NEXT) | instid1(VALU_DEP_1)
	s_or_b32 exec_lo, exec_lo, s9
	v_mul_f32_e32 v3, v26, v2
	s_delay_alu instid0(VALU_DEP_1) | instskip(NEXT) | instid1(VALU_DEP_1)
	v_and_b32_e32 v2, 0x7f800000, v3
	v_cmp_ne_u32_e64 s0, 0x7f800000, v2
                                        ; implicit-def: $vgpr2
	s_delay_alu instid0(VALU_DEP_1) | instskip(NEXT) | instid1(SALU_CYCLE_1)
	s_and_saveexec_b32 s9, s0
	s_xor_b32 s0, exec_lo, s9
; %bb.2896:                             ;   in Loop: Header=BB462_1471 Depth=1
	v_bfe_u32 v2, v3, 16, 1
	s_delay_alu instid0(VALU_DEP_1)
	v_add3_u32 v2, v3, v2, 0x7fff
                                        ; implicit-def: $vgpr3
; %bb.2897:                             ;   in Loop: Header=BB462_1471 Depth=1
	s_and_not1_saveexec_b32 s9, s0
; %bb.2898:                             ;   in Loop: Header=BB462_1471 Depth=1
	v_and_b32_e32 v2, 0xffff, v3
	v_or_b32_e32 v6, 0x10000, v3
	s_delay_alu instid0(VALU_DEP_2) | instskip(NEXT) | instid1(VALU_DEP_1)
	v_cmp_eq_u32_e64 s0, 0, v2
	v_cndmask_b32_e64 v2, v6, v3, s0
; %bb.2899:                             ;   in Loop: Header=BB462_1471 Depth=1
	s_or_b32 exec_lo, exec_lo, s9
	v_lshrrev_b32_e32 v6, 16, v90
	v_lshrrev_b32_e32 v7, 16, v89
	;; [unrolled: 1-line block ×8, first 2 shown]
	s_and_saveexec_b32 s9, vcc_lo
	s_cbranch_execz .LBB462_2901
; %bb.2900:                             ;   in Loop: Header=BB462_1471 Depth=1
	v_cmp_lt_i32_e64 s0, v67, v36
	s_delay_alu instid0(VALU_DEP_1) | instskip(SKIP_1) | instid1(VALU_DEP_1)
	v_cndmask_b32_e64 v77, 0, v77, s0
	v_cmp_lt_i32_e64 s0, v81, v36
	v_cndmask_b32_e64 v78, 0, v78, s0
	v_cmp_lt_i32_e64 s0, v80, v36
	s_delay_alu instid0(VALU_DEP_1) | instskip(SKIP_1) | instid1(VALU_DEP_1)
	v_cndmask_b32_e64 v79, 0, v79, s0
	v_cmp_lt_i32_e64 s0, v71, v36
	v_cndmask_b32_e64 v9, 0, v9, s0
	;; [unrolled: 5-line block ×4, first 2 shown]
.LBB462_2901:                           ;   in Loop: Header=BB462_1471 Depth=1
	s_or_b32 exec_lo, exec_lo, s9
	v_lshlrev_b32_e32 v77, 16, v77
	s_delay_alu instid0(VALU_DEP_1) | instskip(NEXT) | instid1(VALU_DEP_1)
	v_mul_f32_e32 v88, v82, v77
	v_and_b32_e32 v77, 0x7f800000, v88
	s_delay_alu instid0(VALU_DEP_1) | instskip(NEXT) | instid1(VALU_DEP_1)
	v_cmp_ne_u32_e64 s0, 0x7f800000, v77
                                        ; implicit-def: $vgpr77
	s_and_saveexec_b32 s9, s0
	s_delay_alu instid0(SALU_CYCLE_1)
	s_xor_b32 s0, exec_lo, s9
; %bb.2902:                             ;   in Loop: Header=BB462_1471 Depth=1
	v_bfe_u32 v77, v88, 16, 1
	s_delay_alu instid0(VALU_DEP_1)
	v_add3_u32 v77, v88, v77, 0x7fff
                                        ; implicit-def: $vgpr88
; %bb.2903:                             ;   in Loop: Header=BB462_1471 Depth=1
	s_and_not1_saveexec_b32 s9, s0
; %bb.2904:                             ;   in Loop: Header=BB462_1471 Depth=1
	v_and_b32_e32 v77, 0xffff, v88
	v_or_b32_e32 v89, 0x10000, v88
	s_delay_alu instid0(VALU_DEP_2) | instskip(NEXT) | instid1(VALU_DEP_1)
	v_cmp_eq_u32_e64 s0, 0, v77
	v_cndmask_b32_e64 v77, v89, v88, s0
; %bb.2905:                             ;   in Loop: Header=BB462_1471 Depth=1
	s_or_b32 exec_lo, exec_lo, s9
	v_lshlrev_b32_e32 v78, 16, v78
	s_delay_alu instid0(VALU_DEP_1) | instskip(NEXT) | instid1(VALU_DEP_1)
	v_mul_f32_e32 v88, v83, v78
	v_and_b32_e32 v78, 0x7f800000, v88
	s_delay_alu instid0(VALU_DEP_1) | instskip(NEXT) | instid1(VALU_DEP_1)
	v_cmp_ne_u32_e64 s0, 0x7f800000, v78
                                        ; implicit-def: $vgpr78
	s_and_saveexec_b32 s9, s0
	s_delay_alu instid0(SALU_CYCLE_1)
	s_xor_b32 s0, exec_lo, s9
; %bb.2906:                             ;   in Loop: Header=BB462_1471 Depth=1
	v_bfe_u32 v78, v88, 16, 1
	s_delay_alu instid0(VALU_DEP_1)
	v_add3_u32 v78, v88, v78, 0x7fff
                                        ; implicit-def: $vgpr88
; %bb.2907:                             ;   in Loop: Header=BB462_1471 Depth=1
	s_and_not1_saveexec_b32 s9, s0
; %bb.2908:                             ;   in Loop: Header=BB462_1471 Depth=1
	v_and_b32_e32 v78, 0xffff, v88
	v_or_b32_e32 v89, 0x10000, v88
	s_delay_alu instid0(VALU_DEP_2) | instskip(NEXT) | instid1(VALU_DEP_1)
	v_cmp_eq_u32_e64 s0, 0, v78
	v_cndmask_b32_e64 v78, v89, v88, s0
; %bb.2909:                             ;   in Loop: Header=BB462_1471 Depth=1
	s_or_b32 exec_lo, exec_lo, s9
	v_lshlrev_b32_e32 v79, 16, v79
	s_delay_alu instid0(VALU_DEP_1) | instskip(NEXT) | instid1(VALU_DEP_1)
	v_mul_f32_e32 v88, v84, v79
	v_and_b32_e32 v79, 0x7f800000, v88
	s_delay_alu instid0(VALU_DEP_1) | instskip(NEXT) | instid1(VALU_DEP_1)
	v_cmp_ne_u32_e64 s0, 0x7f800000, v79
                                        ; implicit-def: $vgpr79
	s_and_saveexec_b32 s9, s0
	s_delay_alu instid0(SALU_CYCLE_1)
	s_xor_b32 s0, exec_lo, s9
; %bb.2910:                             ;   in Loop: Header=BB462_1471 Depth=1
	v_bfe_u32 v79, v88, 16, 1
	s_delay_alu instid0(VALU_DEP_1)
	v_add3_u32 v79, v88, v79, 0x7fff
                                        ; implicit-def: $vgpr88
; %bb.2911:                             ;   in Loop: Header=BB462_1471 Depth=1
	s_and_not1_saveexec_b32 s9, s0
; %bb.2912:                             ;   in Loop: Header=BB462_1471 Depth=1
	v_and_b32_e32 v79, 0xffff, v88
	v_or_b32_e32 v89, 0x10000, v88
	s_delay_alu instid0(VALU_DEP_2) | instskip(NEXT) | instid1(VALU_DEP_1)
	v_cmp_eq_u32_e64 s0, 0, v79
	v_cndmask_b32_e64 v79, v89, v88, s0
; %bb.2913:                             ;   in Loop: Header=BB462_1471 Depth=1
	s_or_b32 exec_lo, exec_lo, s9
	v_lshlrev_b32_e32 v9, 16, v9
	s_delay_alu instid0(VALU_DEP_1) | instskip(NEXT) | instid1(VALU_DEP_1)
	v_mul_f32_e32 v9, v85, v9
	v_and_b32_e32 v88, 0x7f800000, v9
	s_delay_alu instid0(VALU_DEP_1) | instskip(NEXT) | instid1(VALU_DEP_1)
	v_cmp_ne_u32_e64 s0, 0x7f800000, v88
                                        ; implicit-def: $vgpr88
	s_and_saveexec_b32 s9, s0
	s_delay_alu instid0(SALU_CYCLE_1)
	s_xor_b32 s0, exec_lo, s9
; %bb.2914:                             ;   in Loop: Header=BB462_1471 Depth=1
	v_bfe_u32 v88, v9, 16, 1
	s_delay_alu instid0(VALU_DEP_1)
	v_add3_u32 v88, v9, v88, 0x7fff
                                        ; implicit-def: $vgpr9
; %bb.2915:                             ;   in Loop: Header=BB462_1471 Depth=1
	s_and_not1_saveexec_b32 s9, s0
; %bb.2916:                             ;   in Loop: Header=BB462_1471 Depth=1
	v_and_b32_e32 v88, 0xffff, v9
	v_or_b32_e32 v89, 0x10000, v9
	s_delay_alu instid0(VALU_DEP_2) | instskip(NEXT) | instid1(VALU_DEP_1)
	v_cmp_eq_u32_e64 s0, 0, v88
	v_cndmask_b32_e64 v88, v89, v9, s0
; %bb.2917:                             ;   in Loop: Header=BB462_1471 Depth=1
	s_or_b32 exec_lo, exec_lo, s9
	v_lshlrev_b32_e32 v7, 16, v7
                                        ; implicit-def: $vgpr89
	s_delay_alu instid0(VALU_DEP_1) | instskip(NEXT) | instid1(VALU_DEP_1)
	v_mul_f32_e32 v7, v86, v7
	v_and_b32_e32 v9, 0x7f800000, v7
	s_delay_alu instid0(VALU_DEP_1) | instskip(NEXT) | instid1(VALU_DEP_1)
	v_cmp_ne_u32_e64 s0, 0x7f800000, v9
	s_and_saveexec_b32 s9, s0
	s_delay_alu instid0(SALU_CYCLE_1)
	s_xor_b32 s0, exec_lo, s9
; %bb.2918:                             ;   in Loop: Header=BB462_1471 Depth=1
	v_bfe_u32 v9, v7, 16, 1
	s_delay_alu instid0(VALU_DEP_1)
	v_add3_u32 v89, v7, v9, 0x7fff
                                        ; implicit-def: $vgpr7
; %bb.2919:                             ;   in Loop: Header=BB462_1471 Depth=1
	s_and_not1_saveexec_b32 s9, s0
; %bb.2920:                             ;   in Loop: Header=BB462_1471 Depth=1
	v_and_b32_e32 v9, 0xffff, v7
	v_or_b32_e32 v89, 0x10000, v7
	s_delay_alu instid0(VALU_DEP_2) | instskip(NEXT) | instid1(VALU_DEP_1)
	v_cmp_eq_u32_e64 s0, 0, v9
	v_cndmask_b32_e64 v89, v89, v7, s0
; %bb.2921:                             ;   in Loop: Header=BB462_1471 Depth=1
	s_or_b32 exec_lo, exec_lo, s9
	v_lshlrev_b32_e32 v6, 16, v6
                                        ; implicit-def: $vgpr90
	s_delay_alu instid0(VALU_DEP_1) | instskip(NEXT) | instid1(VALU_DEP_1)
	v_mul_f32_e32 v6, v87, v6
	v_and_b32_e32 v7, 0x7f800000, v6
	s_delay_alu instid0(VALU_DEP_1) | instskip(NEXT) | instid1(VALU_DEP_1)
	v_cmp_ne_u32_e64 s0, 0x7f800000, v7
	s_and_saveexec_b32 s9, s0
	s_delay_alu instid0(SALU_CYCLE_1)
	s_xor_b32 s0, exec_lo, s9
; %bb.2922:                             ;   in Loop: Header=BB462_1471 Depth=1
	v_bfe_u32 v7, v6, 16, 1
	s_delay_alu instid0(VALU_DEP_1)
	v_add3_u32 v90, v6, v7, 0x7fff
                                        ; implicit-def: $vgpr6
; %bb.2923:                             ;   in Loop: Header=BB462_1471 Depth=1
	s_and_not1_saveexec_b32 s9, s0
; %bb.2924:                             ;   in Loop: Header=BB462_1471 Depth=1
	v_and_b32_e32 v7, 0xffff, v6
	v_or_b32_e32 v9, 0x10000, v6
	s_delay_alu instid0(VALU_DEP_2) | instskip(NEXT) | instid1(VALU_DEP_1)
	v_cmp_eq_u32_e64 s0, 0, v7
	v_cndmask_b32_e64 v90, v9, v6, s0
; %bb.2925:                             ;   in Loop: Header=BB462_1471 Depth=1
	s_or_b32 exec_lo, exec_lo, s9
	v_lshlrev_b32_e32 v3, 16, v3
                                        ; implicit-def: $vgpr91
	s_delay_alu instid0(VALU_DEP_1) | instskip(NEXT) | instid1(VALU_DEP_1)
	v_mul_f32_e32 v3, v96, v3
	v_and_b32_e32 v6, 0x7f800000, v3
	s_delay_alu instid0(VALU_DEP_1) | instskip(NEXT) | instid1(VALU_DEP_1)
	v_cmp_ne_u32_e64 s0, 0x7f800000, v6
	s_and_saveexec_b32 s9, s0
	s_delay_alu instid0(SALU_CYCLE_1)
	s_xor_b32 s0, exec_lo, s9
; %bb.2926:                             ;   in Loop: Header=BB462_1471 Depth=1
	v_bfe_u32 v6, v3, 16, 1
	s_delay_alu instid0(VALU_DEP_1)
	v_add3_u32 v91, v3, v6, 0x7fff
                                        ; implicit-def: $vgpr3
; %bb.2927:                             ;   in Loop: Header=BB462_1471 Depth=1
	s_and_not1_saveexec_b32 s9, s0
; %bb.2928:                             ;   in Loop: Header=BB462_1471 Depth=1
	v_and_b32_e32 v6, 0xffff, v3
	v_or_b32_e32 v7, 0x10000, v3
	s_delay_alu instid0(VALU_DEP_2) | instskip(NEXT) | instid1(VALU_DEP_1)
	v_cmp_eq_u32_e64 s0, 0, v6
	v_cndmask_b32_e64 v91, v7, v3, s0
; %bb.2929:                             ;   in Loop: Header=BB462_1471 Depth=1
	s_or_b32 exec_lo, exec_lo, s9
	v_lshlrev_b32_e32 v2, 16, v2
                                        ; implicit-def: $vgpr92
	s_delay_alu instid0(VALU_DEP_1) | instskip(NEXT) | instid1(VALU_DEP_1)
	v_mul_f32_e32 v2, v97, v2
	v_and_b32_e32 v3, 0x7f800000, v2
	s_delay_alu instid0(VALU_DEP_1) | instskip(NEXT) | instid1(VALU_DEP_1)
	v_cmp_ne_u32_e64 s0, 0x7f800000, v3
	s_and_saveexec_b32 s9, s0
	s_delay_alu instid0(SALU_CYCLE_1)
	s_xor_b32 s0, exec_lo, s9
; %bb.2930:                             ;   in Loop: Header=BB462_1471 Depth=1
	v_bfe_u32 v3, v2, 16, 1
	s_delay_alu instid0(VALU_DEP_1)
	v_add3_u32 v92, v2, v3, 0x7fff
                                        ; implicit-def: $vgpr2
; %bb.2931:                             ;   in Loop: Header=BB462_1471 Depth=1
	s_and_not1_saveexec_b32 s9, s0
; %bb.2932:                             ;   in Loop: Header=BB462_1471 Depth=1
	v_and_b32_e32 v3, 0xffff, v2
	v_or_b32_e32 v6, 0x10000, v2
	s_delay_alu instid0(VALU_DEP_2) | instskip(NEXT) | instid1(VALU_DEP_1)
	v_cmp_eq_u32_e64 s0, 0, v3
	v_cndmask_b32_e64 v92, v6, v2, s0
; %bb.2933:                             ;   in Loop: Header=BB462_1471 Depth=1
	s_or_b32 exec_lo, exec_lo, s9
	flat_load_b64 v[2:3], v[0:1] offset:2816
	s_mov_b32 s9, exec_lo
	s_waitcnt vmcnt(0) lgkmcnt(0)
	v_dual_mov_b32 v6, 0 :: v_dual_and_b32 v7, 0xff, v2
	s_delay_alu instid0(VALU_DEP_1)
	v_cmpx_ne_u16_e32 0, v7
	s_cbranch_execz .LBB462_2941
; %bb.2934:                             ;   in Loop: Header=BB462_1471 Depth=1
	v_bfrev_b32_e32 v6, 1
	s_mov_b32 s12, exec_lo
	v_cmpx_ne_u16_e32 0x80, v7
	s_cbranch_execz .LBB462_2940
; %bb.2935:                             ;   in Loop: Header=BB462_1471 Depth=1
	v_and_b32_e32 v7, 0x7f, v2
	v_mov_b32_e32 v6, 0x7f800001
	s_mov_b32 s13, exec_lo
	s_delay_alu instid0(VALU_DEP_2)
	v_cmpx_ne_u32_e32 0x7f, v7
	s_cbranch_execz .LBB462_2939
; %bb.2936:                             ;   in Loop: Header=BB462_1471 Depth=1
	v_lshrrev_b32_e32 v9, 3, v7
	v_cmp_gt_u32_e64 s0, 8, v7
	v_dual_mov_b32 v7, v3 :: v_dual_mov_b32 v6, v2
	s_delay_alu instid0(VALU_DEP_2)
	s_and_saveexec_b32 s15, s0
; %bb.2937:                             ;   in Loop: Header=BB462_1471 Depth=1
	v_and_b32_e32 v6, 7, v2
	s_delay_alu instid0(VALU_DEP_1) | instskip(NEXT) | instid1(VALU_DEP_1)
	v_clz_i32_u32_e32 v6, v6
	v_min_u32_e32 v9, 32, v6
	s_delay_alu instid0(VALU_DEP_1) | instskip(SKIP_1) | instid1(VALU_DEP_2)
	v_subrev_nc_u32_e32 v6, 28, v9
	v_sub_nc_u32_e32 v9, 29, v9
	v_lshlrev_b64 v[6:7], v6, v[2:3]
; %bb.2938:                             ;   in Loop: Header=BB462_1471 Depth=1
	s_or_b32 exec_lo, exec_lo, s15
	s_delay_alu instid0(VALU_DEP_1) | instskip(SKIP_2) | instid1(VALU_DEP_3)
	v_lshlrev_b32_e32 v6, 20, v6
	v_lshlrev_b32_e32 v7, 24, v2
	v_lshl_add_u32 v9, v9, 23, 0x3c000000
	v_and_b32_e32 v6, 0x700000, v6
	s_delay_alu instid0(VALU_DEP_3) | instskip(NEXT) | instid1(VALU_DEP_1)
	v_and_b32_e32 v7, 0x80000000, v7
	v_or3_b32 v6, v6, v7, v9
.LBB462_2939:                           ;   in Loop: Header=BB462_1471 Depth=1
	s_or_b32 exec_lo, exec_lo, s13
.LBB462_2940:                           ;   in Loop: Header=BB462_1471 Depth=1
	s_delay_alu instid0(SALU_CYCLE_1)
	s_or_b32 exec_lo, exec_lo, s12
.LBB462_2941:                           ;   in Loop: Header=BB462_1471 Depth=1
	s_delay_alu instid0(SALU_CYCLE_1) | instskip(NEXT) | instid1(VALU_DEP_1)
	s_or_b32 exec_lo, exec_lo, s9
	v_mul_f32_e32 v6, v26, v6
                                        ; implicit-def: $vgpr93
	s_delay_alu instid0(VALU_DEP_1) | instskip(NEXT) | instid1(VALU_DEP_1)
	v_and_b32_e32 v7, 0x7f800000, v6
	v_cmp_ne_u32_e64 s0, 0x7f800000, v7
	s_delay_alu instid0(VALU_DEP_1) | instskip(NEXT) | instid1(SALU_CYCLE_1)
	s_and_saveexec_b32 s9, s0
	s_xor_b32 s0, exec_lo, s9
; %bb.2942:                             ;   in Loop: Header=BB462_1471 Depth=1
	v_bfe_u32 v7, v6, 16, 1
	s_delay_alu instid0(VALU_DEP_1)
	v_add3_u32 v93, v6, v7, 0x7fff
                                        ; implicit-def: $vgpr6
; %bb.2943:                             ;   in Loop: Header=BB462_1471 Depth=1
	s_and_not1_saveexec_b32 s9, s0
; %bb.2944:                             ;   in Loop: Header=BB462_1471 Depth=1
	v_and_b32_e32 v7, 0xffff, v6
	v_or_b32_e32 v9, 0x10000, v6
	s_delay_alu instid0(VALU_DEP_2) | instskip(NEXT) | instid1(VALU_DEP_1)
	v_cmp_eq_u32_e64 s0, 0, v7
	v_cndmask_b32_e64 v93, v9, v6, s0
; %bb.2945:                             ;   in Loop: Header=BB462_1471 Depth=1
	s_or_b32 exec_lo, exec_lo, s9
	v_lshrrev_b16 v7, 8, v2
	v_mov_b32_e32 v6, 0
	s_mov_b32 s9, exec_lo
	s_delay_alu instid0(VALU_DEP_2)
	v_cmpx_ne_u16_e32 0, v7
	s_cbranch_execz .LBB462_2953
; %bb.2946:                             ;   in Loop: Header=BB462_1471 Depth=1
	v_bfrev_b32_e32 v6, 1
	s_mov_b32 s12, exec_lo
	v_cmpx_ne_u16_e32 0x80, v7
	s_cbranch_execz .LBB462_2952
; %bb.2947:                             ;   in Loop: Header=BB462_1471 Depth=1
	v_and_b32_e32 v9, 0xffff, v7
	v_mov_b32_e32 v6, 0x7f800001
	s_mov_b32 s13, exec_lo
	s_delay_alu instid0(VALU_DEP_2) | instskip(NEXT) | instid1(VALU_DEP_1)
	v_and_b32_e32 v7, 0x7f, v9
	v_cmpx_ne_u32_e32 0x7f, v7
	s_cbranch_execz .LBB462_2951
; %bb.2948:                             ;   in Loop: Header=BB462_1471 Depth=1
	v_and_b32_e32 v9, 7, v9
	v_lshrrev_b32_e32 v94, 3, v7
	v_cmp_gt_u32_e64 s0, 8, v7
	s_delay_alu instid0(VALU_DEP_3) | instskip(NEXT) | instid1(VALU_DEP_2)
	v_dual_mov_b32 v6, v9 :: v_dual_mov_b32 v7, v10
	s_and_saveexec_b32 s15, s0
; %bb.2949:                             ;   in Loop: Header=BB462_1471 Depth=1
	v_clz_i32_u32_e32 v6, v9
	s_delay_alu instid0(VALU_DEP_1) | instskip(NEXT) | instid1(VALU_DEP_1)
	v_min_u32_e32 v94, 32, v6
	v_subrev_nc_u32_e32 v6, 28, v94
	v_sub_nc_u32_e32 v94, 29, v94
	s_delay_alu instid0(VALU_DEP_2) | instskip(NEXT) | instid1(VALU_DEP_1)
	v_lshlrev_b64 v[6:7], v6, v[9:10]
	v_and_b32_e32 v6, 7, v6
; %bb.2950:                             ;   in Loop: Header=BB462_1471 Depth=1
	s_or_b32 exec_lo, exec_lo, s15
	v_lshlrev_b32_e32 v7, 16, v2
	s_delay_alu instid0(VALU_DEP_2) | instskip(SKIP_1) | instid1(VALU_DEP_3)
	v_lshlrev_b32_e32 v6, 20, v6
	v_lshl_add_u32 v9, v94, 23, 0x3c000000
	v_and_b32_e32 v7, 0x80000000, v7
	s_delay_alu instid0(VALU_DEP_1)
	v_or3_b32 v6, v6, v7, v9
.LBB462_2951:                           ;   in Loop: Header=BB462_1471 Depth=1
	s_or_b32 exec_lo, exec_lo, s13
.LBB462_2952:                           ;   in Loop: Header=BB462_1471 Depth=1
	s_delay_alu instid0(SALU_CYCLE_1)
	s_or_b32 exec_lo, exec_lo, s12
.LBB462_2953:                           ;   in Loop: Header=BB462_1471 Depth=1
	s_delay_alu instid0(SALU_CYCLE_1) | instskip(NEXT) | instid1(VALU_DEP_1)
	s_or_b32 exec_lo, exec_lo, s9
	v_mul_f32_e32 v6, v26, v6
                                        ; implicit-def: $vgpr94
	s_delay_alu instid0(VALU_DEP_1) | instskip(NEXT) | instid1(VALU_DEP_1)
	v_and_b32_e32 v7, 0x7f800000, v6
	v_cmp_ne_u32_e64 s0, 0x7f800000, v7
	s_delay_alu instid0(VALU_DEP_1) | instskip(NEXT) | instid1(SALU_CYCLE_1)
	s_and_saveexec_b32 s9, s0
	s_xor_b32 s0, exec_lo, s9
; %bb.2954:                             ;   in Loop: Header=BB462_1471 Depth=1
	v_bfe_u32 v7, v6, 16, 1
	s_delay_alu instid0(VALU_DEP_1)
	v_add3_u32 v94, v6, v7, 0x7fff
                                        ; implicit-def: $vgpr6
; %bb.2955:                             ;   in Loop: Header=BB462_1471 Depth=1
	s_and_not1_saveexec_b32 s9, s0
; %bb.2956:                             ;   in Loop: Header=BB462_1471 Depth=1
	v_and_b32_e32 v7, 0xffff, v6
	v_or_b32_e32 v9, 0x10000, v6
	s_delay_alu instid0(VALU_DEP_2) | instskip(NEXT) | instid1(VALU_DEP_1)
	v_cmp_eq_u32_e64 s0, 0, v7
	v_cndmask_b32_e64 v94, v9, v6, s0
; %bb.2957:                             ;   in Loop: Header=BB462_1471 Depth=1
	s_or_b32 exec_lo, exec_lo, s9
	v_lshrrev_b32_e32 v95, 16, v2
	s_mov_b32 s9, exec_lo
	s_delay_alu instid0(VALU_DEP_1) | instskip(NEXT) | instid1(VALU_DEP_1)
	v_dual_mov_b32 v6, 0 :: v_dual_and_b32 v7, 0xff, v95
	v_cmpx_ne_u16_e32 0, v7
	s_cbranch_execz .LBB462_2965
; %bb.2958:                             ;   in Loop: Header=BB462_1471 Depth=1
	v_bfrev_b32_e32 v6, 1
	s_mov_b32 s12, exec_lo
	v_cmpx_ne_u16_e32 0x80, v7
	s_cbranch_execz .LBB462_2964
; %bb.2959:                             ;   in Loop: Header=BB462_1471 Depth=1
	v_bfe_u32 v7, v2, 16, 7
	v_mov_b32_e32 v6, 0x7f800001
	s_mov_b32 s13, exec_lo
	s_delay_alu instid0(VALU_DEP_2)
	v_cmpx_ne_u32_e32 0x7f, v7
	s_cbranch_execz .LBB462_2963
; %bb.2960:                             ;   in Loop: Header=BB462_1471 Depth=1
	v_and_b32_e32 v9, 7, v95
	v_lshrrev_b32_e32 v104, 3, v7
	v_cmp_gt_u32_e64 s0, 8, v7
	s_delay_alu instid0(VALU_DEP_3) | instskip(NEXT) | instid1(VALU_DEP_2)
	v_dual_mov_b32 v6, v9 :: v_dual_mov_b32 v7, v10
	s_and_saveexec_b32 s15, s0
; %bb.2961:                             ;   in Loop: Header=BB462_1471 Depth=1
	v_clz_i32_u32_e32 v6, v9
	s_delay_alu instid0(VALU_DEP_1) | instskip(NEXT) | instid1(VALU_DEP_1)
	v_min_u32_e32 v104, 32, v6
	v_subrev_nc_u32_e32 v6, 28, v104
	v_sub_nc_u32_e32 v104, 29, v104
	s_delay_alu instid0(VALU_DEP_2) | instskip(NEXT) | instid1(VALU_DEP_1)
	v_lshlrev_b64 v[6:7], v6, v[9:10]
	v_and_b32_e32 v6, 7, v6
; %bb.2962:                             ;   in Loop: Header=BB462_1471 Depth=1
	s_or_b32 exec_lo, exec_lo, s15
	v_lshlrev_b32_e32 v7, 24, v95
	s_delay_alu instid0(VALU_DEP_2) | instskip(SKIP_1) | instid1(VALU_DEP_3)
	v_lshlrev_b32_e32 v6, 20, v6
	v_lshl_add_u32 v9, v104, 23, 0x3c000000
	v_and_b32_e32 v7, 0x80000000, v7
	s_delay_alu instid0(VALU_DEP_1)
	v_or3_b32 v6, v6, v7, v9
.LBB462_2963:                           ;   in Loop: Header=BB462_1471 Depth=1
	s_or_b32 exec_lo, exec_lo, s13
.LBB462_2964:                           ;   in Loop: Header=BB462_1471 Depth=1
	s_delay_alu instid0(SALU_CYCLE_1)
	s_or_b32 exec_lo, exec_lo, s12
.LBB462_2965:                           ;   in Loop: Header=BB462_1471 Depth=1
	s_delay_alu instid0(SALU_CYCLE_1) | instskip(NEXT) | instid1(VALU_DEP_1)
	s_or_b32 exec_lo, exec_lo, s9
	v_mul_f32_e32 v6, v26, v6
                                        ; implicit-def: $vgpr95
	s_delay_alu instid0(VALU_DEP_1) | instskip(NEXT) | instid1(VALU_DEP_1)
	v_and_b32_e32 v7, 0x7f800000, v6
	v_cmp_ne_u32_e64 s0, 0x7f800000, v7
	s_delay_alu instid0(VALU_DEP_1) | instskip(NEXT) | instid1(SALU_CYCLE_1)
	s_and_saveexec_b32 s9, s0
	s_xor_b32 s0, exec_lo, s9
; %bb.2966:                             ;   in Loop: Header=BB462_1471 Depth=1
	v_bfe_u32 v7, v6, 16, 1
	s_delay_alu instid0(VALU_DEP_1)
	v_add3_u32 v95, v6, v7, 0x7fff
                                        ; implicit-def: $vgpr6
; %bb.2967:                             ;   in Loop: Header=BB462_1471 Depth=1
	s_and_not1_saveexec_b32 s9, s0
; %bb.2968:                             ;   in Loop: Header=BB462_1471 Depth=1
	v_and_b32_e32 v7, 0xffff, v6
	v_or_b32_e32 v9, 0x10000, v6
	s_delay_alu instid0(VALU_DEP_2) | instskip(NEXT) | instid1(VALU_DEP_1)
	v_cmp_eq_u32_e64 s0, 0, v7
	v_cndmask_b32_e64 v95, v9, v6, s0
; %bb.2969:                             ;   in Loop: Header=BB462_1471 Depth=1
	s_or_b32 exec_lo, exec_lo, s9
	v_mov_b32_e32 v6, 0
	s_mov_b32 s9, exec_lo
	v_cmpx_lt_u32_e32 0xffffff, v2
	s_cbranch_execz .LBB462_2977
; %bb.2970:                             ;   in Loop: Header=BB462_1471 Depth=1
	v_lshrrev_b32_e32 v104, 24, v2
	v_bfrev_b32_e32 v6, 1
	s_mov_b32 s12, exec_lo
	s_delay_alu instid0(VALU_DEP_2)
	v_cmpx_ne_u32_e32 0x80, v104
	s_cbranch_execz .LBB462_2976
; %bb.2971:                             ;   in Loop: Header=BB462_1471 Depth=1
	v_bfe_u32 v7, v2, 24, 7
	v_mov_b32_e32 v6, 0x7f800001
	s_mov_b32 s13, exec_lo
	s_delay_alu instid0(VALU_DEP_2)
	v_cmpx_ne_u32_e32 0x7f, v7
	s_cbranch_execz .LBB462_2975
; %bb.2972:                             ;   in Loop: Header=BB462_1471 Depth=1
	v_and_b32_e32 v9, 7, v104
	v_lshrrev_b32_e32 v105, 3, v7
	v_cmp_gt_u32_e64 s0, 8, v7
	s_delay_alu instid0(VALU_DEP_3) | instskip(NEXT) | instid1(VALU_DEP_2)
	v_dual_mov_b32 v6, v9 :: v_dual_mov_b32 v7, v10
	s_and_saveexec_b32 s15, s0
; %bb.2973:                             ;   in Loop: Header=BB462_1471 Depth=1
	v_clz_i32_u32_e32 v6, v9
	s_delay_alu instid0(VALU_DEP_1) | instskip(NEXT) | instid1(VALU_DEP_1)
	v_min_u32_e32 v105, 32, v6
	v_subrev_nc_u32_e32 v6, 28, v105
	v_sub_nc_u32_e32 v105, 29, v105
	s_delay_alu instid0(VALU_DEP_2) | instskip(NEXT) | instid1(VALU_DEP_1)
	v_lshlrev_b64 v[6:7], v6, v[9:10]
	v_and_b32_e32 v6, 7, v6
; %bb.2974:                             ;   in Loop: Header=BB462_1471 Depth=1
	s_or_b32 exec_lo, exec_lo, s15
	v_lshlrev_b32_e32 v7, 24, v104
	s_delay_alu instid0(VALU_DEP_2) | instskip(SKIP_1) | instid1(VALU_DEP_3)
	v_lshlrev_b32_e32 v6, 20, v6
	v_lshl_add_u32 v9, v105, 23, 0x3c000000
	v_and_b32_e32 v7, 0x80000000, v7
	s_delay_alu instid0(VALU_DEP_1)
	v_or3_b32 v6, v6, v7, v9
.LBB462_2975:                           ;   in Loop: Header=BB462_1471 Depth=1
	s_or_b32 exec_lo, exec_lo, s13
.LBB462_2976:                           ;   in Loop: Header=BB462_1471 Depth=1
	s_delay_alu instid0(SALU_CYCLE_1)
	s_or_b32 exec_lo, exec_lo, s12
.LBB462_2977:                           ;   in Loop: Header=BB462_1471 Depth=1
	s_delay_alu instid0(SALU_CYCLE_1) | instskip(NEXT) | instid1(VALU_DEP_1)
	s_or_b32 exec_lo, exec_lo, s9
	v_mul_f32_e32 v6, v26, v6
                                        ; implicit-def: $vgpr104
	s_delay_alu instid0(VALU_DEP_1) | instskip(NEXT) | instid1(VALU_DEP_1)
	v_and_b32_e32 v7, 0x7f800000, v6
	v_cmp_ne_u32_e64 s0, 0x7f800000, v7
	s_delay_alu instid0(VALU_DEP_1) | instskip(NEXT) | instid1(SALU_CYCLE_1)
	s_and_saveexec_b32 s9, s0
	s_xor_b32 s0, exec_lo, s9
; %bb.2978:                             ;   in Loop: Header=BB462_1471 Depth=1
	v_bfe_u32 v7, v6, 16, 1
	s_delay_alu instid0(VALU_DEP_1)
	v_add3_u32 v104, v6, v7, 0x7fff
                                        ; implicit-def: $vgpr6
; %bb.2979:                             ;   in Loop: Header=BB462_1471 Depth=1
	s_and_not1_saveexec_b32 s9, s0
; %bb.2980:                             ;   in Loop: Header=BB462_1471 Depth=1
	v_and_b32_e32 v7, 0xffff, v6
	v_or_b32_e32 v9, 0x10000, v6
	s_delay_alu instid0(VALU_DEP_2) | instskip(NEXT) | instid1(VALU_DEP_1)
	v_cmp_eq_u32_e64 s0, 0, v7
	v_cndmask_b32_e64 v104, v9, v6, s0
; %bb.2981:                             ;   in Loop: Header=BB462_1471 Depth=1
	s_or_b32 exec_lo, exec_lo, s9
	v_dual_mov_b32 v6, 0 :: v_dual_and_b32 v7, 0xff, v3
	v_mov_b32_e32 v9, v3
	s_mov_b32 s9, exec_lo
	s_delay_alu instid0(VALU_DEP_2)
	v_cmpx_ne_u16_e32 0, v7
	s_cbranch_execz .LBB462_2989
; %bb.2982:                             ;   in Loop: Header=BB462_1471 Depth=1
	v_bfrev_b32_e32 v6, 1
	s_mov_b32 s12, exec_lo
	v_cmpx_ne_u16_e32 0x80, v7
	s_cbranch_execz .LBB462_2988
; %bb.2983:                             ;   in Loop: Header=BB462_1471 Depth=1
	v_and_b32_e32 v7, 0x7f, v3
	v_mov_b32_e32 v6, 0x7f800001
	s_mov_b32 s13, exec_lo
	s_delay_alu instid0(VALU_DEP_2)
	v_cmpx_ne_u32_e32 0x7f, v7
	s_cbranch_execz .LBB462_2987
; %bb.2984:                             ;   in Loop: Header=BB462_1471 Depth=1
	v_lshrrev_b32_e32 v105, 3, v7
	v_cmp_gt_u32_e64 s0, 8, v7
	v_dual_mov_b32 v6, v9 :: v_dual_mov_b32 v7, v10
	s_delay_alu instid0(VALU_DEP_2)
	s_and_saveexec_b32 s15, s0
; %bb.2985:                             ;   in Loop: Header=BB462_1471 Depth=1
	v_and_b32_e32 v6, 7, v3
	s_delay_alu instid0(VALU_DEP_1) | instskip(NEXT) | instid1(VALU_DEP_1)
	v_clz_i32_u32_e32 v6, v6
	v_min_u32_e32 v105, 32, v6
	s_delay_alu instid0(VALU_DEP_1) | instskip(SKIP_1) | instid1(VALU_DEP_2)
	v_subrev_nc_u32_e32 v6, 28, v105
	v_sub_nc_u32_e32 v105, 29, v105
	v_lshlrev_b64 v[6:7], v6, v[9:10]
; %bb.2986:                             ;   in Loop: Header=BB462_1471 Depth=1
	s_or_b32 exec_lo, exec_lo, s15
	s_delay_alu instid0(VALU_DEP_1) | instskip(SKIP_2) | instid1(VALU_DEP_3)
	v_lshlrev_b32_e32 v6, 20, v6
	v_lshlrev_b32_e32 v7, 24, v9
	v_lshl_add_u32 v105, v105, 23, 0x3c000000
	v_and_b32_e32 v6, 0x700000, v6
	s_delay_alu instid0(VALU_DEP_3) | instskip(NEXT) | instid1(VALU_DEP_1)
	v_and_b32_e32 v7, 0x80000000, v7
	v_or3_b32 v6, v6, v7, v105
.LBB462_2987:                           ;   in Loop: Header=BB462_1471 Depth=1
	s_or_b32 exec_lo, exec_lo, s13
.LBB462_2988:                           ;   in Loop: Header=BB462_1471 Depth=1
	s_delay_alu instid0(SALU_CYCLE_1)
	s_or_b32 exec_lo, exec_lo, s12
.LBB462_2989:                           ;   in Loop: Header=BB462_1471 Depth=1
	s_delay_alu instid0(SALU_CYCLE_1) | instskip(NEXT) | instid1(VALU_DEP_1)
	s_or_b32 exec_lo, exec_lo, s9
	v_mul_f32_e32 v6, v26, v6
                                        ; implicit-def: $vgpr105
	s_delay_alu instid0(VALU_DEP_1) | instskip(NEXT) | instid1(VALU_DEP_1)
	v_and_b32_e32 v7, 0x7f800000, v6
	v_cmp_ne_u32_e64 s0, 0x7f800000, v7
	s_delay_alu instid0(VALU_DEP_1) | instskip(NEXT) | instid1(SALU_CYCLE_1)
	s_and_saveexec_b32 s9, s0
	s_xor_b32 s0, exec_lo, s9
; %bb.2990:                             ;   in Loop: Header=BB462_1471 Depth=1
	v_bfe_u32 v7, v6, 16, 1
	s_delay_alu instid0(VALU_DEP_1)
	v_add3_u32 v105, v6, v7, 0x7fff
                                        ; implicit-def: $vgpr6
; %bb.2991:                             ;   in Loop: Header=BB462_1471 Depth=1
	s_and_not1_saveexec_b32 s9, s0
; %bb.2992:                             ;   in Loop: Header=BB462_1471 Depth=1
	v_and_b32_e32 v7, 0xffff, v6
	v_or_b32_e32 v105, 0x10000, v6
	s_delay_alu instid0(VALU_DEP_2) | instskip(NEXT) | instid1(VALU_DEP_1)
	v_cmp_eq_u32_e64 s0, 0, v7
	v_cndmask_b32_e64 v105, v105, v6, s0
; %bb.2993:                             ;   in Loop: Header=BB462_1471 Depth=1
	s_or_b32 exec_lo, exec_lo, s9
	v_lshrrev_b16 v7, 8, v9
	v_mov_b32_e32 v6, 0
	s_mov_b32 s9, exec_lo
	s_delay_alu instid0(VALU_DEP_2)
	v_cmpx_ne_u16_e32 0, v7
	s_cbranch_execz .LBB462_3001
; %bb.2994:                             ;   in Loop: Header=BB462_1471 Depth=1
	v_bfrev_b32_e32 v6, 1
	s_mov_b32 s12, exec_lo
	v_cmpx_ne_u16_e32 0x80, v7
	s_cbranch_execz .LBB462_3000
; %bb.2995:                             ;   in Loop: Header=BB462_1471 Depth=1
	v_and_b32_e32 v7, 0xffff, v7
	v_mov_b32_e32 v6, 0x7f800001
	s_mov_b32 s13, exec_lo
	s_delay_alu instid0(VALU_DEP_2) | instskip(NEXT) | instid1(VALU_DEP_1)
	v_and_b32_e32 v107, 0x7f, v7
	v_cmpx_ne_u32_e32 0x7f, v107
	s_cbranch_execz .LBB462_2999
; %bb.2996:                             ;   in Loop: Header=BB462_1471 Depth=1
	v_dual_mov_b32 v7, v10 :: v_dual_and_b32 v6, 7, v7
	v_lshrrev_b32_e32 v106, 3, v107
	s_mov_b32 s15, exec_lo
	v_cmpx_gt_u32_e32 8, v107
; %bb.2997:                             ;   in Loop: Header=BB462_1471 Depth=1
	s_delay_alu instid0(VALU_DEP_3) | instskip(NEXT) | instid1(VALU_DEP_1)
	v_clz_i32_u32_e32 v106, v6
	v_min_u32_e32 v106, 32, v106
	s_delay_alu instid0(VALU_DEP_1) | instskip(SKIP_1) | instid1(VALU_DEP_2)
	v_subrev_nc_u32_e32 v107, 28, v106
	v_sub_nc_u32_e32 v106, 29, v106
	v_lshlrev_b64 v[6:7], v107, v[6:7]
	s_delay_alu instid0(VALU_DEP_1)
	v_and_b32_e32 v6, 7, v6
; %bb.2998:                             ;   in Loop: Header=BB462_1471 Depth=1
	s_or_b32 exec_lo, exec_lo, s15
	v_lshlrev_b32_e32 v7, 16, v9
	s_delay_alu instid0(VALU_DEP_2) | instskip(SKIP_1) | instid1(VALU_DEP_3)
	v_lshlrev_b32_e32 v6, 20, v6
	v_lshl_add_u32 v9, v106, 23, 0x3c000000
	v_and_b32_e32 v7, 0x80000000, v7
	s_delay_alu instid0(VALU_DEP_1)
	v_or3_b32 v6, v6, v7, v9
.LBB462_2999:                           ;   in Loop: Header=BB462_1471 Depth=1
	s_or_b32 exec_lo, exec_lo, s13
.LBB462_3000:                           ;   in Loop: Header=BB462_1471 Depth=1
	s_delay_alu instid0(SALU_CYCLE_1)
	s_or_b32 exec_lo, exec_lo, s12
.LBB462_3001:                           ;   in Loop: Header=BB462_1471 Depth=1
	s_delay_alu instid0(SALU_CYCLE_1) | instskip(NEXT) | instid1(VALU_DEP_1)
	s_or_b32 exec_lo, exec_lo, s9
	v_mul_f32_e32 v6, v26, v6
                                        ; implicit-def: $vgpr106
	s_delay_alu instid0(VALU_DEP_1) | instskip(NEXT) | instid1(VALU_DEP_1)
	v_and_b32_e32 v7, 0x7f800000, v6
	v_cmp_ne_u32_e64 s0, 0x7f800000, v7
	s_delay_alu instid0(VALU_DEP_1) | instskip(NEXT) | instid1(SALU_CYCLE_1)
	s_and_saveexec_b32 s9, s0
	s_xor_b32 s0, exec_lo, s9
; %bb.3002:                             ;   in Loop: Header=BB462_1471 Depth=1
	v_bfe_u32 v7, v6, 16, 1
	s_delay_alu instid0(VALU_DEP_1)
	v_add3_u32 v106, v6, v7, 0x7fff
                                        ; implicit-def: $vgpr6
; %bb.3003:                             ;   in Loop: Header=BB462_1471 Depth=1
	s_and_not1_saveexec_b32 s9, s0
; %bb.3004:                             ;   in Loop: Header=BB462_1471 Depth=1
	v_and_b32_e32 v7, 0xffff, v6
	v_or_b32_e32 v9, 0x10000, v6
	s_delay_alu instid0(VALU_DEP_2) | instskip(NEXT) | instid1(VALU_DEP_1)
	v_cmp_eq_u32_e64 s0, 0, v7
	v_cndmask_b32_e64 v106, v9, v6, s0
; %bb.3005:                             ;   in Loop: Header=BB462_1471 Depth=1
	s_or_b32 exec_lo, exec_lo, s9
	v_lshrrev_b32_e32 v107, 16, v3
	s_mov_b32 s9, exec_lo
	s_delay_alu instid0(VALU_DEP_1) | instskip(NEXT) | instid1(VALU_DEP_1)
	v_dual_mov_b32 v6, 0 :: v_dual_and_b32 v7, 0xff, v107
	v_cmpx_ne_u16_e32 0, v7
	s_cbranch_execz .LBB462_3013
; %bb.3006:                             ;   in Loop: Header=BB462_1471 Depth=1
	v_bfrev_b32_e32 v6, 1
	s_mov_b32 s12, exec_lo
	v_cmpx_ne_u16_e32 0x80, v7
	s_cbranch_execz .LBB462_3012
; %bb.3007:                             ;   in Loop: Header=BB462_1471 Depth=1
	v_bfe_u32 v7, v3, 16, 7
	v_mov_b32_e32 v6, 0x7f800001
	s_mov_b32 s13, exec_lo
	s_delay_alu instid0(VALU_DEP_2)
	v_cmpx_ne_u32_e32 0x7f, v7
	s_cbranch_execz .LBB462_3011
; %bb.3008:                             ;   in Loop: Header=BB462_1471 Depth=1
	v_and_b32_e32 v9, 7, v107
	v_lshrrev_b32_e32 v108, 3, v7
	v_cmp_gt_u32_e64 s0, 8, v7
	s_delay_alu instid0(VALU_DEP_3) | instskip(NEXT) | instid1(VALU_DEP_2)
	v_dual_mov_b32 v6, v9 :: v_dual_mov_b32 v7, v10
	s_and_saveexec_b32 s15, s0
; %bb.3009:                             ;   in Loop: Header=BB462_1471 Depth=1
	v_clz_i32_u32_e32 v6, v9
	s_delay_alu instid0(VALU_DEP_1) | instskip(NEXT) | instid1(VALU_DEP_1)
	v_min_u32_e32 v108, 32, v6
	v_subrev_nc_u32_e32 v6, 28, v108
	v_sub_nc_u32_e32 v108, 29, v108
	s_delay_alu instid0(VALU_DEP_2) | instskip(NEXT) | instid1(VALU_DEP_1)
	v_lshlrev_b64 v[6:7], v6, v[9:10]
	v_and_b32_e32 v6, 7, v6
; %bb.3010:                             ;   in Loop: Header=BB462_1471 Depth=1
	s_or_b32 exec_lo, exec_lo, s15
	v_lshlrev_b32_e32 v7, 24, v107
	s_delay_alu instid0(VALU_DEP_2) | instskip(SKIP_1) | instid1(VALU_DEP_3)
	v_lshlrev_b32_e32 v6, 20, v6
	v_lshl_add_u32 v9, v108, 23, 0x3c000000
	v_and_b32_e32 v7, 0x80000000, v7
	s_delay_alu instid0(VALU_DEP_1)
	v_or3_b32 v6, v6, v7, v9
.LBB462_3011:                           ;   in Loop: Header=BB462_1471 Depth=1
	s_or_b32 exec_lo, exec_lo, s13
.LBB462_3012:                           ;   in Loop: Header=BB462_1471 Depth=1
	s_delay_alu instid0(SALU_CYCLE_1)
	s_or_b32 exec_lo, exec_lo, s12
.LBB462_3013:                           ;   in Loop: Header=BB462_1471 Depth=1
	s_delay_alu instid0(SALU_CYCLE_1) | instskip(NEXT) | instid1(VALU_DEP_1)
	s_or_b32 exec_lo, exec_lo, s9
	v_mul_f32_e32 v6, v26, v6
                                        ; implicit-def: $vgpr107
	s_delay_alu instid0(VALU_DEP_1) | instskip(NEXT) | instid1(VALU_DEP_1)
	v_and_b32_e32 v7, 0x7f800000, v6
	v_cmp_ne_u32_e64 s0, 0x7f800000, v7
	s_delay_alu instid0(VALU_DEP_1) | instskip(NEXT) | instid1(SALU_CYCLE_1)
	s_and_saveexec_b32 s9, s0
	s_xor_b32 s0, exec_lo, s9
; %bb.3014:                             ;   in Loop: Header=BB462_1471 Depth=1
	v_bfe_u32 v7, v6, 16, 1
	s_delay_alu instid0(VALU_DEP_1)
	v_add3_u32 v107, v6, v7, 0x7fff
                                        ; implicit-def: $vgpr6
; %bb.3015:                             ;   in Loop: Header=BB462_1471 Depth=1
	s_and_not1_saveexec_b32 s9, s0
; %bb.3016:                             ;   in Loop: Header=BB462_1471 Depth=1
	v_and_b32_e32 v7, 0xffff, v6
	v_or_b32_e32 v9, 0x10000, v6
	s_delay_alu instid0(VALU_DEP_2) | instskip(NEXT) | instid1(VALU_DEP_1)
	v_cmp_eq_u32_e64 s0, 0, v7
	v_cndmask_b32_e64 v107, v9, v6, s0
; %bb.3017:                             ;   in Loop: Header=BB462_1471 Depth=1
	s_or_b32 exec_lo, exec_lo, s9
	v_cmp_lt_u64_e64 s0, s[2:3], v[2:3]
	v_mov_b32_e32 v2, 0
	s_delay_alu instid0(VALU_DEP_2)
	s_and_saveexec_b32 s9, s0
	s_cbranch_execz .LBB462_3025
; %bb.3018:                             ;   in Loop: Header=BB462_1471 Depth=1
	v_lshrrev_b32_e32 v6, 24, v3
	v_bfrev_b32_e32 v2, 1
	s_mov_b32 s12, exec_lo
	s_delay_alu instid0(VALU_DEP_2)
	v_cmpx_ne_u32_e32 0x80, v6
	s_cbranch_execz .LBB462_3024
; %bb.3019:                             ;   in Loop: Header=BB462_1471 Depth=1
	v_bfe_u32 v3, v3, 24, 7
	v_mov_b32_e32 v2, 0x7f800001
	s_mov_b32 s13, exec_lo
	s_delay_alu instid0(VALU_DEP_2)
	v_cmpx_ne_u32_e32 0x7f, v3
	s_cbranch_execz .LBB462_3023
; %bb.3020:                             ;   in Loop: Header=BB462_1471 Depth=1
	v_and_b32_e32 v9, 7, v6
	v_lshrrev_b32_e32 v7, 3, v3
	v_cmp_gt_u32_e64 s0, 8, v3
	s_delay_alu instid0(VALU_DEP_3) | instskip(NEXT) | instid1(VALU_DEP_2)
	v_dual_mov_b32 v2, v9 :: v_dual_mov_b32 v3, v10
	s_and_saveexec_b32 s15, s0
; %bb.3021:                             ;   in Loop: Header=BB462_1471 Depth=1
	v_clz_i32_u32_e32 v2, v9
	s_delay_alu instid0(VALU_DEP_1) | instskip(NEXT) | instid1(VALU_DEP_1)
	v_min_u32_e32 v7, 32, v2
	v_subrev_nc_u32_e32 v2, 28, v7
	v_sub_nc_u32_e32 v7, 29, v7
	s_delay_alu instid0(VALU_DEP_2) | instskip(NEXT) | instid1(VALU_DEP_1)
	v_lshlrev_b64 v[2:3], v2, v[9:10]
	v_and_b32_e32 v2, 7, v2
; %bb.3022:                             ;   in Loop: Header=BB462_1471 Depth=1
	s_or_b32 exec_lo, exec_lo, s15
	v_lshlrev_b32_e32 v3, 24, v6
	s_delay_alu instid0(VALU_DEP_2) | instskip(SKIP_1) | instid1(VALU_DEP_3)
	v_lshlrev_b32_e32 v2, 20, v2
	v_lshl_add_u32 v6, v7, 23, 0x3c000000
	v_and_b32_e32 v3, 0x80000000, v3
	s_delay_alu instid0(VALU_DEP_1)
	v_or3_b32 v2, v2, v3, v6
.LBB462_3023:                           ;   in Loop: Header=BB462_1471 Depth=1
	s_or_b32 exec_lo, exec_lo, s13
.LBB462_3024:                           ;   in Loop: Header=BB462_1471 Depth=1
	s_delay_alu instid0(SALU_CYCLE_1)
	s_or_b32 exec_lo, exec_lo, s12
.LBB462_3025:                           ;   in Loop: Header=BB462_1471 Depth=1
	s_delay_alu instid0(SALU_CYCLE_1) | instskip(NEXT) | instid1(VALU_DEP_1)
	s_or_b32 exec_lo, exec_lo, s9
	v_mul_f32_e32 v3, v26, v2
	s_delay_alu instid0(VALU_DEP_1) | instskip(NEXT) | instid1(VALU_DEP_1)
	v_and_b32_e32 v2, 0x7f800000, v3
	v_cmp_ne_u32_e64 s0, 0x7f800000, v2
                                        ; implicit-def: $vgpr2
	s_delay_alu instid0(VALU_DEP_1) | instskip(NEXT) | instid1(SALU_CYCLE_1)
	s_and_saveexec_b32 s9, s0
	s_xor_b32 s0, exec_lo, s9
; %bb.3026:                             ;   in Loop: Header=BB462_1471 Depth=1
	v_bfe_u32 v2, v3, 16, 1
	s_delay_alu instid0(VALU_DEP_1)
	v_add3_u32 v2, v3, v2, 0x7fff
                                        ; implicit-def: $vgpr3
; %bb.3027:                             ;   in Loop: Header=BB462_1471 Depth=1
	s_and_not1_saveexec_b32 s9, s0
; %bb.3028:                             ;   in Loop: Header=BB462_1471 Depth=1
	v_and_b32_e32 v2, 0xffff, v3
	v_or_b32_e32 v6, 0x10000, v3
	s_delay_alu instid0(VALU_DEP_2) | instskip(NEXT) | instid1(VALU_DEP_1)
	v_cmp_eq_u32_e64 s0, 0, v2
	v_cndmask_b32_e64 v2, v6, v3, s0
; %bb.3029:                             ;   in Loop: Header=BB462_1471 Depth=1
	s_or_b32 exec_lo, exec_lo, s9
	v_lshrrev_b32_e32 v6, 16, v106
	v_lshrrev_b32_e32 v7, 16, v105
	;; [unrolled: 1-line block ×8, first 2 shown]
	s_and_saveexec_b32 s9, vcc_lo
	s_cbranch_execz .LBB462_3031
; %bb.3030:                             ;   in Loop: Header=BB462_1471 Depth=1
	v_cmp_lt_i32_e64 s0, v67, v36
	s_delay_alu instid0(VALU_DEP_1) | instskip(SKIP_1) | instid1(VALU_DEP_1)
	v_cndmask_b32_e64 v93, 0, v93, s0
	v_cmp_lt_i32_e64 s0, v81, v36
	v_cndmask_b32_e64 v94, 0, v94, s0
	v_cmp_lt_i32_e64 s0, v80, v36
	s_delay_alu instid0(VALU_DEP_1) | instskip(SKIP_1) | instid1(VALU_DEP_1)
	v_cndmask_b32_e64 v95, 0, v95, s0
	v_cmp_lt_i32_e64 s0, v71, v36
	v_cndmask_b32_e64 v9, 0, v9, s0
	;; [unrolled: 5-line block ×4, first 2 shown]
.LBB462_3031:                           ;   in Loop: Header=BB462_1471 Depth=1
	s_or_b32 exec_lo, exec_lo, s9
	v_lshlrev_b32_e32 v93, 16, v93
	s_delay_alu instid0(VALU_DEP_1) | instskip(NEXT) | instid1(VALU_DEP_1)
	v_mul_f32_e32 v104, v82, v93
	v_and_b32_e32 v93, 0x7f800000, v104
	s_delay_alu instid0(VALU_DEP_1) | instskip(NEXT) | instid1(VALU_DEP_1)
	v_cmp_ne_u32_e64 s0, 0x7f800000, v93
                                        ; implicit-def: $vgpr93
	s_and_saveexec_b32 s9, s0
	s_delay_alu instid0(SALU_CYCLE_1)
	s_xor_b32 s0, exec_lo, s9
; %bb.3032:                             ;   in Loop: Header=BB462_1471 Depth=1
	v_bfe_u32 v93, v104, 16, 1
	s_delay_alu instid0(VALU_DEP_1)
	v_add3_u32 v93, v104, v93, 0x7fff
                                        ; implicit-def: $vgpr104
; %bb.3033:                             ;   in Loop: Header=BB462_1471 Depth=1
	s_and_not1_saveexec_b32 s9, s0
; %bb.3034:                             ;   in Loop: Header=BB462_1471 Depth=1
	v_and_b32_e32 v93, 0xffff, v104
	v_or_b32_e32 v105, 0x10000, v104
	s_delay_alu instid0(VALU_DEP_2) | instskip(NEXT) | instid1(VALU_DEP_1)
	v_cmp_eq_u32_e64 s0, 0, v93
	v_cndmask_b32_e64 v93, v105, v104, s0
; %bb.3035:                             ;   in Loop: Header=BB462_1471 Depth=1
	s_or_b32 exec_lo, exec_lo, s9
	v_lshlrev_b32_e32 v94, 16, v94
	s_delay_alu instid0(VALU_DEP_1) | instskip(NEXT) | instid1(VALU_DEP_1)
	v_mul_f32_e32 v104, v83, v94
	v_and_b32_e32 v94, 0x7f800000, v104
	s_delay_alu instid0(VALU_DEP_1) | instskip(NEXT) | instid1(VALU_DEP_1)
	v_cmp_ne_u32_e64 s0, 0x7f800000, v94
                                        ; implicit-def: $vgpr94
	s_and_saveexec_b32 s9, s0
	s_delay_alu instid0(SALU_CYCLE_1)
	s_xor_b32 s0, exec_lo, s9
; %bb.3036:                             ;   in Loop: Header=BB462_1471 Depth=1
	v_bfe_u32 v94, v104, 16, 1
	s_delay_alu instid0(VALU_DEP_1)
	v_add3_u32 v94, v104, v94, 0x7fff
                                        ; implicit-def: $vgpr104
; %bb.3037:                             ;   in Loop: Header=BB462_1471 Depth=1
	s_and_not1_saveexec_b32 s9, s0
; %bb.3038:                             ;   in Loop: Header=BB462_1471 Depth=1
	v_and_b32_e32 v94, 0xffff, v104
	v_or_b32_e32 v105, 0x10000, v104
	s_delay_alu instid0(VALU_DEP_2) | instskip(NEXT) | instid1(VALU_DEP_1)
	v_cmp_eq_u32_e64 s0, 0, v94
	v_cndmask_b32_e64 v94, v105, v104, s0
; %bb.3039:                             ;   in Loop: Header=BB462_1471 Depth=1
	s_or_b32 exec_lo, exec_lo, s9
	v_lshlrev_b32_e32 v95, 16, v95
	s_delay_alu instid0(VALU_DEP_1) | instskip(NEXT) | instid1(VALU_DEP_1)
	v_mul_f32_e32 v104, v84, v95
	v_and_b32_e32 v95, 0x7f800000, v104
	s_delay_alu instid0(VALU_DEP_1) | instskip(NEXT) | instid1(VALU_DEP_1)
	v_cmp_ne_u32_e64 s0, 0x7f800000, v95
                                        ; implicit-def: $vgpr95
	s_and_saveexec_b32 s9, s0
	s_delay_alu instid0(SALU_CYCLE_1)
	s_xor_b32 s0, exec_lo, s9
; %bb.3040:                             ;   in Loop: Header=BB462_1471 Depth=1
	v_bfe_u32 v95, v104, 16, 1
	s_delay_alu instid0(VALU_DEP_1)
	v_add3_u32 v95, v104, v95, 0x7fff
                                        ; implicit-def: $vgpr104
; %bb.3041:                             ;   in Loop: Header=BB462_1471 Depth=1
	s_and_not1_saveexec_b32 s9, s0
; %bb.3042:                             ;   in Loop: Header=BB462_1471 Depth=1
	v_and_b32_e32 v95, 0xffff, v104
	v_or_b32_e32 v105, 0x10000, v104
	s_delay_alu instid0(VALU_DEP_2) | instskip(NEXT) | instid1(VALU_DEP_1)
	v_cmp_eq_u32_e64 s0, 0, v95
	v_cndmask_b32_e64 v95, v105, v104, s0
; %bb.3043:                             ;   in Loop: Header=BB462_1471 Depth=1
	s_or_b32 exec_lo, exec_lo, s9
	v_lshlrev_b32_e32 v9, 16, v9
	s_delay_alu instid0(VALU_DEP_1) | instskip(NEXT) | instid1(VALU_DEP_1)
	v_mul_f32_e32 v9, v85, v9
	v_and_b32_e32 v104, 0x7f800000, v9
	s_delay_alu instid0(VALU_DEP_1) | instskip(NEXT) | instid1(VALU_DEP_1)
	v_cmp_ne_u32_e64 s0, 0x7f800000, v104
                                        ; implicit-def: $vgpr104
	s_and_saveexec_b32 s9, s0
	s_delay_alu instid0(SALU_CYCLE_1)
	s_xor_b32 s0, exec_lo, s9
; %bb.3044:                             ;   in Loop: Header=BB462_1471 Depth=1
	v_bfe_u32 v104, v9, 16, 1
	s_delay_alu instid0(VALU_DEP_1)
	v_add3_u32 v104, v9, v104, 0x7fff
                                        ; implicit-def: $vgpr9
; %bb.3045:                             ;   in Loop: Header=BB462_1471 Depth=1
	s_and_not1_saveexec_b32 s9, s0
; %bb.3046:                             ;   in Loop: Header=BB462_1471 Depth=1
	v_and_b32_e32 v104, 0xffff, v9
	v_or_b32_e32 v105, 0x10000, v9
	s_delay_alu instid0(VALU_DEP_2) | instskip(NEXT) | instid1(VALU_DEP_1)
	v_cmp_eq_u32_e64 s0, 0, v104
	v_cndmask_b32_e64 v104, v105, v9, s0
; %bb.3047:                             ;   in Loop: Header=BB462_1471 Depth=1
	s_or_b32 exec_lo, exec_lo, s9
	v_lshlrev_b32_e32 v7, 16, v7
                                        ; implicit-def: $vgpr105
	s_delay_alu instid0(VALU_DEP_1) | instskip(NEXT) | instid1(VALU_DEP_1)
	v_mul_f32_e32 v7, v86, v7
	v_and_b32_e32 v9, 0x7f800000, v7
	s_delay_alu instid0(VALU_DEP_1) | instskip(NEXT) | instid1(VALU_DEP_1)
	v_cmp_ne_u32_e64 s0, 0x7f800000, v9
	s_and_saveexec_b32 s9, s0
	s_delay_alu instid0(SALU_CYCLE_1)
	s_xor_b32 s0, exec_lo, s9
; %bb.3048:                             ;   in Loop: Header=BB462_1471 Depth=1
	v_bfe_u32 v9, v7, 16, 1
	s_delay_alu instid0(VALU_DEP_1)
	v_add3_u32 v105, v7, v9, 0x7fff
                                        ; implicit-def: $vgpr7
; %bb.3049:                             ;   in Loop: Header=BB462_1471 Depth=1
	s_and_not1_saveexec_b32 s9, s0
; %bb.3050:                             ;   in Loop: Header=BB462_1471 Depth=1
	v_and_b32_e32 v9, 0xffff, v7
	v_or_b32_e32 v105, 0x10000, v7
	s_delay_alu instid0(VALU_DEP_2) | instskip(NEXT) | instid1(VALU_DEP_1)
	v_cmp_eq_u32_e64 s0, 0, v9
	v_cndmask_b32_e64 v105, v105, v7, s0
; %bb.3051:                             ;   in Loop: Header=BB462_1471 Depth=1
	s_or_b32 exec_lo, exec_lo, s9
	v_lshlrev_b32_e32 v6, 16, v6
                                        ; implicit-def: $vgpr106
	s_delay_alu instid0(VALU_DEP_1) | instskip(NEXT) | instid1(VALU_DEP_1)
	v_mul_f32_e32 v6, v87, v6
	v_and_b32_e32 v7, 0x7f800000, v6
	s_delay_alu instid0(VALU_DEP_1) | instskip(NEXT) | instid1(VALU_DEP_1)
	v_cmp_ne_u32_e64 s0, 0x7f800000, v7
	s_and_saveexec_b32 s9, s0
	s_delay_alu instid0(SALU_CYCLE_1)
	s_xor_b32 s0, exec_lo, s9
; %bb.3052:                             ;   in Loop: Header=BB462_1471 Depth=1
	v_bfe_u32 v7, v6, 16, 1
	s_delay_alu instid0(VALU_DEP_1)
	v_add3_u32 v106, v6, v7, 0x7fff
                                        ; implicit-def: $vgpr6
; %bb.3053:                             ;   in Loop: Header=BB462_1471 Depth=1
	s_and_not1_saveexec_b32 s9, s0
; %bb.3054:                             ;   in Loop: Header=BB462_1471 Depth=1
	v_and_b32_e32 v7, 0xffff, v6
	v_or_b32_e32 v9, 0x10000, v6
	s_delay_alu instid0(VALU_DEP_2) | instskip(NEXT) | instid1(VALU_DEP_1)
	v_cmp_eq_u32_e64 s0, 0, v7
	v_cndmask_b32_e64 v106, v9, v6, s0
; %bb.3055:                             ;   in Loop: Header=BB462_1471 Depth=1
	s_or_b32 exec_lo, exec_lo, s9
	v_lshlrev_b32_e32 v3, 16, v3
                                        ; implicit-def: $vgpr107
	s_delay_alu instid0(VALU_DEP_1) | instskip(NEXT) | instid1(VALU_DEP_1)
	v_mul_f32_e32 v3, v96, v3
	v_and_b32_e32 v6, 0x7f800000, v3
	s_delay_alu instid0(VALU_DEP_1) | instskip(NEXT) | instid1(VALU_DEP_1)
	v_cmp_ne_u32_e64 s0, 0x7f800000, v6
	s_and_saveexec_b32 s9, s0
	s_delay_alu instid0(SALU_CYCLE_1)
	s_xor_b32 s0, exec_lo, s9
; %bb.3056:                             ;   in Loop: Header=BB462_1471 Depth=1
	v_bfe_u32 v6, v3, 16, 1
	s_delay_alu instid0(VALU_DEP_1)
	v_add3_u32 v107, v3, v6, 0x7fff
                                        ; implicit-def: $vgpr3
; %bb.3057:                             ;   in Loop: Header=BB462_1471 Depth=1
	s_and_not1_saveexec_b32 s9, s0
; %bb.3058:                             ;   in Loop: Header=BB462_1471 Depth=1
	v_and_b32_e32 v6, 0xffff, v3
	v_or_b32_e32 v7, 0x10000, v3
	s_delay_alu instid0(VALU_DEP_2) | instskip(NEXT) | instid1(VALU_DEP_1)
	v_cmp_eq_u32_e64 s0, 0, v6
	v_cndmask_b32_e64 v107, v7, v3, s0
; %bb.3059:                             ;   in Loop: Header=BB462_1471 Depth=1
	s_or_b32 exec_lo, exec_lo, s9
	v_lshlrev_b32_e32 v2, 16, v2
                                        ; implicit-def: $vgpr108
	s_delay_alu instid0(VALU_DEP_1) | instskip(NEXT) | instid1(VALU_DEP_1)
	v_mul_f32_e32 v2, v97, v2
	v_and_b32_e32 v3, 0x7f800000, v2
	s_delay_alu instid0(VALU_DEP_1) | instskip(NEXT) | instid1(VALU_DEP_1)
	v_cmp_ne_u32_e64 s0, 0x7f800000, v3
	s_and_saveexec_b32 s9, s0
	s_delay_alu instid0(SALU_CYCLE_1)
	s_xor_b32 s0, exec_lo, s9
; %bb.3060:                             ;   in Loop: Header=BB462_1471 Depth=1
	v_bfe_u32 v3, v2, 16, 1
	s_delay_alu instid0(VALU_DEP_1)
	v_add3_u32 v108, v2, v3, 0x7fff
                                        ; implicit-def: $vgpr2
; %bb.3061:                             ;   in Loop: Header=BB462_1471 Depth=1
	s_and_not1_saveexec_b32 s9, s0
; %bb.3062:                             ;   in Loop: Header=BB462_1471 Depth=1
	v_and_b32_e32 v3, 0xffff, v2
	v_or_b32_e32 v6, 0x10000, v2
	s_delay_alu instid0(VALU_DEP_2) | instskip(NEXT) | instid1(VALU_DEP_1)
	v_cmp_eq_u32_e64 s0, 0, v3
	v_cndmask_b32_e64 v108, v6, v2, s0
; %bb.3063:                             ;   in Loop: Header=BB462_1471 Depth=1
	s_or_b32 exec_lo, exec_lo, s9
	flat_load_b64 v[2:3], v[0:1] offset:3072
	s_mov_b32 s9, exec_lo
	s_waitcnt vmcnt(0) lgkmcnt(0)
	v_dual_mov_b32 v6, 0 :: v_dual_and_b32 v7, 0xff, v2
	s_delay_alu instid0(VALU_DEP_1)
	v_cmpx_ne_u16_e32 0, v7
	s_cbranch_execz .LBB462_3071
; %bb.3064:                             ;   in Loop: Header=BB462_1471 Depth=1
	v_bfrev_b32_e32 v6, 1
	s_mov_b32 s12, exec_lo
	v_cmpx_ne_u16_e32 0x80, v7
	s_cbranch_execz .LBB462_3070
; %bb.3065:                             ;   in Loop: Header=BB462_1471 Depth=1
	v_and_b32_e32 v7, 0x7f, v2
	v_mov_b32_e32 v6, 0x7f800001
	s_mov_b32 s13, exec_lo
	s_delay_alu instid0(VALU_DEP_2)
	v_cmpx_ne_u32_e32 0x7f, v7
	s_cbranch_execz .LBB462_3069
; %bb.3066:                             ;   in Loop: Header=BB462_1471 Depth=1
	v_lshrrev_b32_e32 v9, 3, v7
	v_cmp_gt_u32_e64 s0, 8, v7
	v_dual_mov_b32 v7, v3 :: v_dual_mov_b32 v6, v2
	s_delay_alu instid0(VALU_DEP_2)
	s_and_saveexec_b32 s15, s0
; %bb.3067:                             ;   in Loop: Header=BB462_1471 Depth=1
	v_and_b32_e32 v6, 7, v2
	s_delay_alu instid0(VALU_DEP_1) | instskip(NEXT) | instid1(VALU_DEP_1)
	v_clz_i32_u32_e32 v6, v6
	v_min_u32_e32 v9, 32, v6
	s_delay_alu instid0(VALU_DEP_1) | instskip(SKIP_1) | instid1(VALU_DEP_2)
	v_subrev_nc_u32_e32 v6, 28, v9
	v_sub_nc_u32_e32 v9, 29, v9
	v_lshlrev_b64 v[6:7], v6, v[2:3]
; %bb.3068:                             ;   in Loop: Header=BB462_1471 Depth=1
	s_or_b32 exec_lo, exec_lo, s15
	s_delay_alu instid0(VALU_DEP_1) | instskip(SKIP_2) | instid1(VALU_DEP_3)
	v_lshlrev_b32_e32 v6, 20, v6
	v_lshlrev_b32_e32 v7, 24, v2
	v_lshl_add_u32 v9, v9, 23, 0x3c000000
	v_and_b32_e32 v6, 0x700000, v6
	s_delay_alu instid0(VALU_DEP_3) | instskip(NEXT) | instid1(VALU_DEP_1)
	v_and_b32_e32 v7, 0x80000000, v7
	v_or3_b32 v6, v6, v7, v9
.LBB462_3069:                           ;   in Loop: Header=BB462_1471 Depth=1
	s_or_b32 exec_lo, exec_lo, s13
.LBB462_3070:                           ;   in Loop: Header=BB462_1471 Depth=1
	s_delay_alu instid0(SALU_CYCLE_1)
	s_or_b32 exec_lo, exec_lo, s12
.LBB462_3071:                           ;   in Loop: Header=BB462_1471 Depth=1
	s_delay_alu instid0(SALU_CYCLE_1) | instskip(NEXT) | instid1(VALU_DEP_1)
	s_or_b32 exec_lo, exec_lo, s9
	v_mul_f32_e32 v6, v26, v6
                                        ; implicit-def: $vgpr109
	s_delay_alu instid0(VALU_DEP_1) | instskip(NEXT) | instid1(VALU_DEP_1)
	v_and_b32_e32 v7, 0x7f800000, v6
	v_cmp_ne_u32_e64 s0, 0x7f800000, v7
	s_delay_alu instid0(VALU_DEP_1) | instskip(NEXT) | instid1(SALU_CYCLE_1)
	s_and_saveexec_b32 s9, s0
	s_xor_b32 s0, exec_lo, s9
; %bb.3072:                             ;   in Loop: Header=BB462_1471 Depth=1
	v_bfe_u32 v7, v6, 16, 1
	s_delay_alu instid0(VALU_DEP_1)
	v_add3_u32 v109, v6, v7, 0x7fff
                                        ; implicit-def: $vgpr6
; %bb.3073:                             ;   in Loop: Header=BB462_1471 Depth=1
	s_and_not1_saveexec_b32 s9, s0
; %bb.3074:                             ;   in Loop: Header=BB462_1471 Depth=1
	v_and_b32_e32 v7, 0xffff, v6
	v_or_b32_e32 v9, 0x10000, v6
	s_delay_alu instid0(VALU_DEP_2) | instskip(NEXT) | instid1(VALU_DEP_1)
	v_cmp_eq_u32_e64 s0, 0, v7
	v_cndmask_b32_e64 v109, v9, v6, s0
; %bb.3075:                             ;   in Loop: Header=BB462_1471 Depth=1
	s_or_b32 exec_lo, exec_lo, s9
	v_lshrrev_b16 v7, 8, v2
	v_mov_b32_e32 v6, 0
	s_mov_b32 s9, exec_lo
	s_delay_alu instid0(VALU_DEP_2)
	v_cmpx_ne_u16_e32 0, v7
	s_cbranch_execz .LBB462_3083
; %bb.3076:                             ;   in Loop: Header=BB462_1471 Depth=1
	v_bfrev_b32_e32 v6, 1
	s_mov_b32 s12, exec_lo
	v_cmpx_ne_u16_e32 0x80, v7
	s_cbranch_execz .LBB462_3082
; %bb.3077:                             ;   in Loop: Header=BB462_1471 Depth=1
	v_and_b32_e32 v9, 0xffff, v7
	v_mov_b32_e32 v6, 0x7f800001
	s_mov_b32 s13, exec_lo
	s_delay_alu instid0(VALU_DEP_2) | instskip(NEXT) | instid1(VALU_DEP_1)
	v_and_b32_e32 v7, 0x7f, v9
	v_cmpx_ne_u32_e32 0x7f, v7
	s_cbranch_execz .LBB462_3081
; %bb.3078:                             ;   in Loop: Header=BB462_1471 Depth=1
	v_and_b32_e32 v9, 7, v9
	v_lshrrev_b32_e32 v110, 3, v7
	v_cmp_gt_u32_e64 s0, 8, v7
	s_delay_alu instid0(VALU_DEP_3) | instskip(NEXT) | instid1(VALU_DEP_2)
	v_dual_mov_b32 v6, v9 :: v_dual_mov_b32 v7, v10
	s_and_saveexec_b32 s15, s0
; %bb.3079:                             ;   in Loop: Header=BB462_1471 Depth=1
	v_clz_i32_u32_e32 v6, v9
	s_delay_alu instid0(VALU_DEP_1) | instskip(NEXT) | instid1(VALU_DEP_1)
	v_min_u32_e32 v110, 32, v6
	v_subrev_nc_u32_e32 v6, 28, v110
	v_sub_nc_u32_e32 v110, 29, v110
	s_delay_alu instid0(VALU_DEP_2) | instskip(NEXT) | instid1(VALU_DEP_1)
	v_lshlrev_b64 v[6:7], v6, v[9:10]
	v_and_b32_e32 v6, 7, v6
; %bb.3080:                             ;   in Loop: Header=BB462_1471 Depth=1
	s_or_b32 exec_lo, exec_lo, s15
	v_lshlrev_b32_e32 v7, 16, v2
	s_delay_alu instid0(VALU_DEP_2) | instskip(SKIP_1) | instid1(VALU_DEP_3)
	v_lshlrev_b32_e32 v6, 20, v6
	v_lshl_add_u32 v9, v110, 23, 0x3c000000
	v_and_b32_e32 v7, 0x80000000, v7
	s_delay_alu instid0(VALU_DEP_1)
	v_or3_b32 v6, v6, v7, v9
.LBB462_3081:                           ;   in Loop: Header=BB462_1471 Depth=1
	s_or_b32 exec_lo, exec_lo, s13
.LBB462_3082:                           ;   in Loop: Header=BB462_1471 Depth=1
	s_delay_alu instid0(SALU_CYCLE_1)
	s_or_b32 exec_lo, exec_lo, s12
.LBB462_3083:                           ;   in Loop: Header=BB462_1471 Depth=1
	s_delay_alu instid0(SALU_CYCLE_1) | instskip(NEXT) | instid1(VALU_DEP_1)
	s_or_b32 exec_lo, exec_lo, s9
	v_mul_f32_e32 v6, v26, v6
                                        ; implicit-def: $vgpr110
	s_delay_alu instid0(VALU_DEP_1) | instskip(NEXT) | instid1(VALU_DEP_1)
	v_and_b32_e32 v7, 0x7f800000, v6
	v_cmp_ne_u32_e64 s0, 0x7f800000, v7
	s_delay_alu instid0(VALU_DEP_1) | instskip(NEXT) | instid1(SALU_CYCLE_1)
	s_and_saveexec_b32 s9, s0
	s_xor_b32 s0, exec_lo, s9
; %bb.3084:                             ;   in Loop: Header=BB462_1471 Depth=1
	v_bfe_u32 v7, v6, 16, 1
	s_delay_alu instid0(VALU_DEP_1)
	v_add3_u32 v110, v6, v7, 0x7fff
                                        ; implicit-def: $vgpr6
; %bb.3085:                             ;   in Loop: Header=BB462_1471 Depth=1
	s_and_not1_saveexec_b32 s9, s0
; %bb.3086:                             ;   in Loop: Header=BB462_1471 Depth=1
	v_and_b32_e32 v7, 0xffff, v6
	v_or_b32_e32 v9, 0x10000, v6
	s_delay_alu instid0(VALU_DEP_2) | instskip(NEXT) | instid1(VALU_DEP_1)
	v_cmp_eq_u32_e64 s0, 0, v7
	v_cndmask_b32_e64 v110, v9, v6, s0
; %bb.3087:                             ;   in Loop: Header=BB462_1471 Depth=1
	s_or_b32 exec_lo, exec_lo, s9
	v_lshrrev_b32_e32 v111, 16, v2
	s_mov_b32 s9, exec_lo
	s_delay_alu instid0(VALU_DEP_1) | instskip(NEXT) | instid1(VALU_DEP_1)
	v_dual_mov_b32 v6, 0 :: v_dual_and_b32 v7, 0xff, v111
	v_cmpx_ne_u16_e32 0, v7
	s_cbranch_execz .LBB462_3095
; %bb.3088:                             ;   in Loop: Header=BB462_1471 Depth=1
	v_bfrev_b32_e32 v6, 1
	s_mov_b32 s12, exec_lo
	v_cmpx_ne_u16_e32 0x80, v7
	s_cbranch_execz .LBB462_3094
; %bb.3089:                             ;   in Loop: Header=BB462_1471 Depth=1
	v_bfe_u32 v7, v2, 16, 7
	v_mov_b32_e32 v6, 0x7f800001
	s_mov_b32 s13, exec_lo
	s_delay_alu instid0(VALU_DEP_2)
	v_cmpx_ne_u32_e32 0x7f, v7
	s_cbranch_execz .LBB462_3093
; %bb.3090:                             ;   in Loop: Header=BB462_1471 Depth=1
	v_and_b32_e32 v9, 7, v111
	v_lshrrev_b32_e32 v120, 3, v7
	v_cmp_gt_u32_e64 s0, 8, v7
	s_delay_alu instid0(VALU_DEP_3) | instskip(NEXT) | instid1(VALU_DEP_2)
	v_dual_mov_b32 v6, v9 :: v_dual_mov_b32 v7, v10
	s_and_saveexec_b32 s15, s0
; %bb.3091:                             ;   in Loop: Header=BB462_1471 Depth=1
	v_clz_i32_u32_e32 v6, v9
	s_delay_alu instid0(VALU_DEP_1) | instskip(NEXT) | instid1(VALU_DEP_1)
	v_min_u32_e32 v120, 32, v6
	v_subrev_nc_u32_e32 v6, 28, v120
	v_sub_nc_u32_e32 v120, 29, v120
	s_delay_alu instid0(VALU_DEP_2) | instskip(NEXT) | instid1(VALU_DEP_1)
	v_lshlrev_b64 v[6:7], v6, v[9:10]
	v_and_b32_e32 v6, 7, v6
; %bb.3092:                             ;   in Loop: Header=BB462_1471 Depth=1
	s_or_b32 exec_lo, exec_lo, s15
	v_lshlrev_b32_e32 v7, 24, v111
	s_delay_alu instid0(VALU_DEP_2) | instskip(SKIP_1) | instid1(VALU_DEP_3)
	v_lshlrev_b32_e32 v6, 20, v6
	v_lshl_add_u32 v9, v120, 23, 0x3c000000
	v_and_b32_e32 v7, 0x80000000, v7
	s_delay_alu instid0(VALU_DEP_1)
	v_or3_b32 v6, v6, v7, v9
.LBB462_3093:                           ;   in Loop: Header=BB462_1471 Depth=1
	s_or_b32 exec_lo, exec_lo, s13
.LBB462_3094:                           ;   in Loop: Header=BB462_1471 Depth=1
	s_delay_alu instid0(SALU_CYCLE_1)
	s_or_b32 exec_lo, exec_lo, s12
.LBB462_3095:                           ;   in Loop: Header=BB462_1471 Depth=1
	s_delay_alu instid0(SALU_CYCLE_1) | instskip(NEXT) | instid1(VALU_DEP_1)
	s_or_b32 exec_lo, exec_lo, s9
	v_mul_f32_e32 v6, v26, v6
                                        ; implicit-def: $vgpr111
	s_delay_alu instid0(VALU_DEP_1) | instskip(NEXT) | instid1(VALU_DEP_1)
	v_and_b32_e32 v7, 0x7f800000, v6
	v_cmp_ne_u32_e64 s0, 0x7f800000, v7
	s_delay_alu instid0(VALU_DEP_1) | instskip(NEXT) | instid1(SALU_CYCLE_1)
	s_and_saveexec_b32 s9, s0
	s_xor_b32 s0, exec_lo, s9
; %bb.3096:                             ;   in Loop: Header=BB462_1471 Depth=1
	v_bfe_u32 v7, v6, 16, 1
	s_delay_alu instid0(VALU_DEP_1)
	v_add3_u32 v111, v6, v7, 0x7fff
                                        ; implicit-def: $vgpr6
; %bb.3097:                             ;   in Loop: Header=BB462_1471 Depth=1
	s_and_not1_saveexec_b32 s9, s0
; %bb.3098:                             ;   in Loop: Header=BB462_1471 Depth=1
	v_and_b32_e32 v7, 0xffff, v6
	v_or_b32_e32 v9, 0x10000, v6
	s_delay_alu instid0(VALU_DEP_2) | instskip(NEXT) | instid1(VALU_DEP_1)
	v_cmp_eq_u32_e64 s0, 0, v7
	v_cndmask_b32_e64 v111, v9, v6, s0
; %bb.3099:                             ;   in Loop: Header=BB462_1471 Depth=1
	s_or_b32 exec_lo, exec_lo, s9
	v_mov_b32_e32 v6, 0
	s_mov_b32 s9, exec_lo
	v_cmpx_lt_u32_e32 0xffffff, v2
	s_cbranch_execz .LBB462_3107
; %bb.3100:                             ;   in Loop: Header=BB462_1471 Depth=1
	v_lshrrev_b32_e32 v120, 24, v2
	v_bfrev_b32_e32 v6, 1
	s_mov_b32 s12, exec_lo
	s_delay_alu instid0(VALU_DEP_2)
	v_cmpx_ne_u32_e32 0x80, v120
	s_cbranch_execz .LBB462_3106
; %bb.3101:                             ;   in Loop: Header=BB462_1471 Depth=1
	v_bfe_u32 v7, v2, 24, 7
	v_mov_b32_e32 v6, 0x7f800001
	s_mov_b32 s13, exec_lo
	s_delay_alu instid0(VALU_DEP_2)
	v_cmpx_ne_u32_e32 0x7f, v7
	s_cbranch_execz .LBB462_3105
; %bb.3102:                             ;   in Loop: Header=BB462_1471 Depth=1
	v_and_b32_e32 v9, 7, v120
	v_lshrrev_b32_e32 v121, 3, v7
	v_cmp_gt_u32_e64 s0, 8, v7
	s_delay_alu instid0(VALU_DEP_3) | instskip(NEXT) | instid1(VALU_DEP_2)
	v_dual_mov_b32 v6, v9 :: v_dual_mov_b32 v7, v10
	s_and_saveexec_b32 s15, s0
; %bb.3103:                             ;   in Loop: Header=BB462_1471 Depth=1
	v_clz_i32_u32_e32 v6, v9
	s_delay_alu instid0(VALU_DEP_1) | instskip(NEXT) | instid1(VALU_DEP_1)
	v_min_u32_e32 v121, 32, v6
	v_subrev_nc_u32_e32 v6, 28, v121
	v_sub_nc_u32_e32 v121, 29, v121
	s_delay_alu instid0(VALU_DEP_2) | instskip(NEXT) | instid1(VALU_DEP_1)
	v_lshlrev_b64 v[6:7], v6, v[9:10]
	v_and_b32_e32 v6, 7, v6
; %bb.3104:                             ;   in Loop: Header=BB462_1471 Depth=1
	s_or_b32 exec_lo, exec_lo, s15
	v_lshlrev_b32_e32 v7, 24, v120
	s_delay_alu instid0(VALU_DEP_2) | instskip(SKIP_1) | instid1(VALU_DEP_3)
	v_lshlrev_b32_e32 v6, 20, v6
	v_lshl_add_u32 v9, v121, 23, 0x3c000000
	v_and_b32_e32 v7, 0x80000000, v7
	s_delay_alu instid0(VALU_DEP_1)
	v_or3_b32 v6, v6, v7, v9
.LBB462_3105:                           ;   in Loop: Header=BB462_1471 Depth=1
	s_or_b32 exec_lo, exec_lo, s13
.LBB462_3106:                           ;   in Loop: Header=BB462_1471 Depth=1
	s_delay_alu instid0(SALU_CYCLE_1)
	s_or_b32 exec_lo, exec_lo, s12
.LBB462_3107:                           ;   in Loop: Header=BB462_1471 Depth=1
	s_delay_alu instid0(SALU_CYCLE_1) | instskip(NEXT) | instid1(VALU_DEP_1)
	s_or_b32 exec_lo, exec_lo, s9
	v_mul_f32_e32 v6, v26, v6
                                        ; implicit-def: $vgpr120
	s_delay_alu instid0(VALU_DEP_1) | instskip(NEXT) | instid1(VALU_DEP_1)
	v_and_b32_e32 v7, 0x7f800000, v6
	v_cmp_ne_u32_e64 s0, 0x7f800000, v7
	s_delay_alu instid0(VALU_DEP_1) | instskip(NEXT) | instid1(SALU_CYCLE_1)
	s_and_saveexec_b32 s9, s0
	s_xor_b32 s0, exec_lo, s9
; %bb.3108:                             ;   in Loop: Header=BB462_1471 Depth=1
	v_bfe_u32 v7, v6, 16, 1
	s_delay_alu instid0(VALU_DEP_1)
	v_add3_u32 v120, v6, v7, 0x7fff
                                        ; implicit-def: $vgpr6
; %bb.3109:                             ;   in Loop: Header=BB462_1471 Depth=1
	s_and_not1_saveexec_b32 s9, s0
; %bb.3110:                             ;   in Loop: Header=BB462_1471 Depth=1
	v_and_b32_e32 v7, 0xffff, v6
	v_or_b32_e32 v9, 0x10000, v6
	s_delay_alu instid0(VALU_DEP_2) | instskip(NEXT) | instid1(VALU_DEP_1)
	v_cmp_eq_u32_e64 s0, 0, v7
	v_cndmask_b32_e64 v120, v9, v6, s0
; %bb.3111:                             ;   in Loop: Header=BB462_1471 Depth=1
	s_or_b32 exec_lo, exec_lo, s9
	v_dual_mov_b32 v6, 0 :: v_dual_and_b32 v7, 0xff, v3
	v_mov_b32_e32 v9, v3
	s_mov_b32 s9, exec_lo
	s_delay_alu instid0(VALU_DEP_2)
	v_cmpx_ne_u16_e32 0, v7
	s_cbranch_execz .LBB462_3119
; %bb.3112:                             ;   in Loop: Header=BB462_1471 Depth=1
	v_bfrev_b32_e32 v6, 1
	s_mov_b32 s12, exec_lo
	v_cmpx_ne_u16_e32 0x80, v7
	s_cbranch_execz .LBB462_3118
; %bb.3113:                             ;   in Loop: Header=BB462_1471 Depth=1
	v_and_b32_e32 v7, 0x7f, v3
	v_mov_b32_e32 v6, 0x7f800001
	s_mov_b32 s13, exec_lo
	s_delay_alu instid0(VALU_DEP_2)
	v_cmpx_ne_u32_e32 0x7f, v7
	s_cbranch_execz .LBB462_3117
; %bb.3114:                             ;   in Loop: Header=BB462_1471 Depth=1
	v_lshrrev_b32_e32 v121, 3, v7
	v_cmp_gt_u32_e64 s0, 8, v7
	v_dual_mov_b32 v6, v9 :: v_dual_mov_b32 v7, v10
	s_delay_alu instid0(VALU_DEP_2)
	s_and_saveexec_b32 s15, s0
; %bb.3115:                             ;   in Loop: Header=BB462_1471 Depth=1
	v_and_b32_e32 v6, 7, v3
	s_delay_alu instid0(VALU_DEP_1) | instskip(NEXT) | instid1(VALU_DEP_1)
	v_clz_i32_u32_e32 v6, v6
	v_min_u32_e32 v121, 32, v6
	s_delay_alu instid0(VALU_DEP_1) | instskip(SKIP_1) | instid1(VALU_DEP_2)
	v_subrev_nc_u32_e32 v6, 28, v121
	v_sub_nc_u32_e32 v121, 29, v121
	v_lshlrev_b64 v[6:7], v6, v[9:10]
; %bb.3116:                             ;   in Loop: Header=BB462_1471 Depth=1
	s_or_b32 exec_lo, exec_lo, s15
	s_delay_alu instid0(VALU_DEP_1) | instskip(SKIP_2) | instid1(VALU_DEP_3)
	v_lshlrev_b32_e32 v6, 20, v6
	v_lshlrev_b32_e32 v7, 24, v9
	v_lshl_add_u32 v121, v121, 23, 0x3c000000
	v_and_b32_e32 v6, 0x700000, v6
	s_delay_alu instid0(VALU_DEP_3) | instskip(NEXT) | instid1(VALU_DEP_1)
	v_and_b32_e32 v7, 0x80000000, v7
	v_or3_b32 v6, v6, v7, v121
.LBB462_3117:                           ;   in Loop: Header=BB462_1471 Depth=1
	s_or_b32 exec_lo, exec_lo, s13
.LBB462_3118:                           ;   in Loop: Header=BB462_1471 Depth=1
	s_delay_alu instid0(SALU_CYCLE_1)
	s_or_b32 exec_lo, exec_lo, s12
.LBB462_3119:                           ;   in Loop: Header=BB462_1471 Depth=1
	s_delay_alu instid0(SALU_CYCLE_1) | instskip(NEXT) | instid1(VALU_DEP_1)
	s_or_b32 exec_lo, exec_lo, s9
	v_mul_f32_e32 v6, v26, v6
                                        ; implicit-def: $vgpr121
	s_delay_alu instid0(VALU_DEP_1) | instskip(NEXT) | instid1(VALU_DEP_1)
	v_and_b32_e32 v7, 0x7f800000, v6
	v_cmp_ne_u32_e64 s0, 0x7f800000, v7
	s_delay_alu instid0(VALU_DEP_1) | instskip(NEXT) | instid1(SALU_CYCLE_1)
	s_and_saveexec_b32 s9, s0
	s_xor_b32 s0, exec_lo, s9
; %bb.3120:                             ;   in Loop: Header=BB462_1471 Depth=1
	v_bfe_u32 v7, v6, 16, 1
	s_delay_alu instid0(VALU_DEP_1)
	v_add3_u32 v121, v6, v7, 0x7fff
                                        ; implicit-def: $vgpr6
; %bb.3121:                             ;   in Loop: Header=BB462_1471 Depth=1
	s_and_not1_saveexec_b32 s9, s0
; %bb.3122:                             ;   in Loop: Header=BB462_1471 Depth=1
	v_and_b32_e32 v7, 0xffff, v6
	v_or_b32_e32 v121, 0x10000, v6
	s_delay_alu instid0(VALU_DEP_2) | instskip(NEXT) | instid1(VALU_DEP_1)
	v_cmp_eq_u32_e64 s0, 0, v7
	v_cndmask_b32_e64 v121, v121, v6, s0
; %bb.3123:                             ;   in Loop: Header=BB462_1471 Depth=1
	s_or_b32 exec_lo, exec_lo, s9
	v_lshrrev_b16 v7, 8, v9
	v_mov_b32_e32 v6, 0
	s_mov_b32 s9, exec_lo
	s_delay_alu instid0(VALU_DEP_2)
	v_cmpx_ne_u16_e32 0, v7
	s_cbranch_execz .LBB462_3131
; %bb.3124:                             ;   in Loop: Header=BB462_1471 Depth=1
	v_bfrev_b32_e32 v6, 1
	s_mov_b32 s12, exec_lo
	v_cmpx_ne_u16_e32 0x80, v7
	s_cbranch_execz .LBB462_3130
; %bb.3125:                             ;   in Loop: Header=BB462_1471 Depth=1
	v_and_b32_e32 v7, 0xffff, v7
	v_mov_b32_e32 v6, 0x7f800001
	s_mov_b32 s13, exec_lo
	s_delay_alu instid0(VALU_DEP_2) | instskip(NEXT) | instid1(VALU_DEP_1)
	v_and_b32_e32 v123, 0x7f, v7
	v_cmpx_ne_u32_e32 0x7f, v123
	s_cbranch_execz .LBB462_3129
; %bb.3126:                             ;   in Loop: Header=BB462_1471 Depth=1
	v_dual_mov_b32 v7, v10 :: v_dual_and_b32 v6, 7, v7
	v_lshrrev_b32_e32 v122, 3, v123
	s_mov_b32 s15, exec_lo
	v_cmpx_gt_u32_e32 8, v123
; %bb.3127:                             ;   in Loop: Header=BB462_1471 Depth=1
	s_delay_alu instid0(VALU_DEP_3) | instskip(NEXT) | instid1(VALU_DEP_1)
	v_clz_i32_u32_e32 v122, v6
	v_min_u32_e32 v122, 32, v122
	s_delay_alu instid0(VALU_DEP_1) | instskip(SKIP_1) | instid1(VALU_DEP_2)
	v_subrev_nc_u32_e32 v123, 28, v122
	v_sub_nc_u32_e32 v122, 29, v122
	v_lshlrev_b64 v[6:7], v123, v[6:7]
	s_delay_alu instid0(VALU_DEP_1)
	v_and_b32_e32 v6, 7, v6
; %bb.3128:                             ;   in Loop: Header=BB462_1471 Depth=1
	s_or_b32 exec_lo, exec_lo, s15
	v_lshlrev_b32_e32 v7, 16, v9
	s_delay_alu instid0(VALU_DEP_2) | instskip(SKIP_1) | instid1(VALU_DEP_3)
	v_lshlrev_b32_e32 v6, 20, v6
	v_lshl_add_u32 v9, v122, 23, 0x3c000000
	v_and_b32_e32 v7, 0x80000000, v7
	s_delay_alu instid0(VALU_DEP_1)
	v_or3_b32 v6, v6, v7, v9
.LBB462_3129:                           ;   in Loop: Header=BB462_1471 Depth=1
	s_or_b32 exec_lo, exec_lo, s13
.LBB462_3130:                           ;   in Loop: Header=BB462_1471 Depth=1
	s_delay_alu instid0(SALU_CYCLE_1)
	s_or_b32 exec_lo, exec_lo, s12
.LBB462_3131:                           ;   in Loop: Header=BB462_1471 Depth=1
	s_delay_alu instid0(SALU_CYCLE_1) | instskip(NEXT) | instid1(VALU_DEP_1)
	s_or_b32 exec_lo, exec_lo, s9
	v_mul_f32_e32 v6, v26, v6
                                        ; implicit-def: $vgpr122
	s_delay_alu instid0(VALU_DEP_1) | instskip(NEXT) | instid1(VALU_DEP_1)
	v_and_b32_e32 v7, 0x7f800000, v6
	v_cmp_ne_u32_e64 s0, 0x7f800000, v7
	s_delay_alu instid0(VALU_DEP_1) | instskip(NEXT) | instid1(SALU_CYCLE_1)
	s_and_saveexec_b32 s9, s0
	s_xor_b32 s0, exec_lo, s9
; %bb.3132:                             ;   in Loop: Header=BB462_1471 Depth=1
	v_bfe_u32 v7, v6, 16, 1
	s_delay_alu instid0(VALU_DEP_1)
	v_add3_u32 v122, v6, v7, 0x7fff
                                        ; implicit-def: $vgpr6
; %bb.3133:                             ;   in Loop: Header=BB462_1471 Depth=1
	s_and_not1_saveexec_b32 s9, s0
; %bb.3134:                             ;   in Loop: Header=BB462_1471 Depth=1
	v_and_b32_e32 v7, 0xffff, v6
	v_or_b32_e32 v9, 0x10000, v6
	s_delay_alu instid0(VALU_DEP_2) | instskip(NEXT) | instid1(VALU_DEP_1)
	v_cmp_eq_u32_e64 s0, 0, v7
	v_cndmask_b32_e64 v122, v9, v6, s0
; %bb.3135:                             ;   in Loop: Header=BB462_1471 Depth=1
	s_or_b32 exec_lo, exec_lo, s9
	v_lshrrev_b32_e32 v123, 16, v3
	s_mov_b32 s9, exec_lo
	s_delay_alu instid0(VALU_DEP_1) | instskip(NEXT) | instid1(VALU_DEP_1)
	v_dual_mov_b32 v6, 0 :: v_dual_and_b32 v7, 0xff, v123
	v_cmpx_ne_u16_e32 0, v7
	s_cbranch_execz .LBB462_3143
; %bb.3136:                             ;   in Loop: Header=BB462_1471 Depth=1
	v_bfrev_b32_e32 v6, 1
	s_mov_b32 s12, exec_lo
	v_cmpx_ne_u16_e32 0x80, v7
	s_cbranch_execz .LBB462_3142
; %bb.3137:                             ;   in Loop: Header=BB462_1471 Depth=1
	v_bfe_u32 v7, v3, 16, 7
	v_mov_b32_e32 v6, 0x7f800001
	s_mov_b32 s13, exec_lo
	s_delay_alu instid0(VALU_DEP_2)
	v_cmpx_ne_u32_e32 0x7f, v7
	s_cbranch_execz .LBB462_3141
; %bb.3138:                             ;   in Loop: Header=BB462_1471 Depth=1
	v_and_b32_e32 v9, 7, v123
	v_lshrrev_b32_e32 v124, 3, v7
	v_cmp_gt_u32_e64 s0, 8, v7
	s_delay_alu instid0(VALU_DEP_3) | instskip(NEXT) | instid1(VALU_DEP_2)
	v_dual_mov_b32 v6, v9 :: v_dual_mov_b32 v7, v10
	s_and_saveexec_b32 s15, s0
; %bb.3139:                             ;   in Loop: Header=BB462_1471 Depth=1
	v_clz_i32_u32_e32 v6, v9
	s_delay_alu instid0(VALU_DEP_1) | instskip(NEXT) | instid1(VALU_DEP_1)
	v_min_u32_e32 v124, 32, v6
	v_subrev_nc_u32_e32 v6, 28, v124
	v_sub_nc_u32_e32 v124, 29, v124
	s_delay_alu instid0(VALU_DEP_2) | instskip(NEXT) | instid1(VALU_DEP_1)
	v_lshlrev_b64 v[6:7], v6, v[9:10]
	v_and_b32_e32 v6, 7, v6
; %bb.3140:                             ;   in Loop: Header=BB462_1471 Depth=1
	s_or_b32 exec_lo, exec_lo, s15
	v_lshlrev_b32_e32 v7, 24, v123
	s_delay_alu instid0(VALU_DEP_2) | instskip(SKIP_1) | instid1(VALU_DEP_3)
	v_lshlrev_b32_e32 v6, 20, v6
	v_lshl_add_u32 v9, v124, 23, 0x3c000000
	v_and_b32_e32 v7, 0x80000000, v7
	s_delay_alu instid0(VALU_DEP_1)
	v_or3_b32 v6, v6, v7, v9
.LBB462_3141:                           ;   in Loop: Header=BB462_1471 Depth=1
	s_or_b32 exec_lo, exec_lo, s13
.LBB462_3142:                           ;   in Loop: Header=BB462_1471 Depth=1
	s_delay_alu instid0(SALU_CYCLE_1)
	s_or_b32 exec_lo, exec_lo, s12
.LBB462_3143:                           ;   in Loop: Header=BB462_1471 Depth=1
	s_delay_alu instid0(SALU_CYCLE_1) | instskip(NEXT) | instid1(VALU_DEP_1)
	s_or_b32 exec_lo, exec_lo, s9
	v_mul_f32_e32 v6, v26, v6
                                        ; implicit-def: $vgpr123
	s_delay_alu instid0(VALU_DEP_1) | instskip(NEXT) | instid1(VALU_DEP_1)
	v_and_b32_e32 v7, 0x7f800000, v6
	v_cmp_ne_u32_e64 s0, 0x7f800000, v7
	s_delay_alu instid0(VALU_DEP_1) | instskip(NEXT) | instid1(SALU_CYCLE_1)
	s_and_saveexec_b32 s9, s0
	s_xor_b32 s0, exec_lo, s9
; %bb.3144:                             ;   in Loop: Header=BB462_1471 Depth=1
	v_bfe_u32 v7, v6, 16, 1
	s_delay_alu instid0(VALU_DEP_1)
	v_add3_u32 v123, v6, v7, 0x7fff
                                        ; implicit-def: $vgpr6
; %bb.3145:                             ;   in Loop: Header=BB462_1471 Depth=1
	s_and_not1_saveexec_b32 s9, s0
; %bb.3146:                             ;   in Loop: Header=BB462_1471 Depth=1
	v_and_b32_e32 v7, 0xffff, v6
	v_or_b32_e32 v9, 0x10000, v6
	s_delay_alu instid0(VALU_DEP_2) | instskip(NEXT) | instid1(VALU_DEP_1)
	v_cmp_eq_u32_e64 s0, 0, v7
	v_cndmask_b32_e64 v123, v9, v6, s0
; %bb.3147:                             ;   in Loop: Header=BB462_1471 Depth=1
	s_or_b32 exec_lo, exec_lo, s9
	v_cmp_lt_u64_e64 s0, s[2:3], v[2:3]
	v_mov_b32_e32 v2, 0
	s_delay_alu instid0(VALU_DEP_2)
	s_and_saveexec_b32 s9, s0
	s_cbranch_execz .LBB462_3155
; %bb.3148:                             ;   in Loop: Header=BB462_1471 Depth=1
	v_lshrrev_b32_e32 v6, 24, v3
	v_bfrev_b32_e32 v2, 1
	s_mov_b32 s12, exec_lo
	s_delay_alu instid0(VALU_DEP_2)
	v_cmpx_ne_u32_e32 0x80, v6
	s_cbranch_execz .LBB462_3154
; %bb.3149:                             ;   in Loop: Header=BB462_1471 Depth=1
	v_bfe_u32 v3, v3, 24, 7
	v_mov_b32_e32 v2, 0x7f800001
	s_mov_b32 s13, exec_lo
	s_delay_alu instid0(VALU_DEP_2)
	v_cmpx_ne_u32_e32 0x7f, v3
	s_cbranch_execz .LBB462_3153
; %bb.3150:                             ;   in Loop: Header=BB462_1471 Depth=1
	v_and_b32_e32 v9, 7, v6
	v_lshrrev_b32_e32 v7, 3, v3
	v_cmp_gt_u32_e64 s0, 8, v3
	s_delay_alu instid0(VALU_DEP_3) | instskip(NEXT) | instid1(VALU_DEP_2)
	v_dual_mov_b32 v2, v9 :: v_dual_mov_b32 v3, v10
	s_and_saveexec_b32 s15, s0
; %bb.3151:                             ;   in Loop: Header=BB462_1471 Depth=1
	v_clz_i32_u32_e32 v2, v9
	s_delay_alu instid0(VALU_DEP_1) | instskip(NEXT) | instid1(VALU_DEP_1)
	v_min_u32_e32 v7, 32, v2
	v_subrev_nc_u32_e32 v2, 28, v7
	v_sub_nc_u32_e32 v7, 29, v7
	s_delay_alu instid0(VALU_DEP_2) | instskip(NEXT) | instid1(VALU_DEP_1)
	v_lshlrev_b64 v[2:3], v2, v[9:10]
	v_and_b32_e32 v2, 7, v2
; %bb.3152:                             ;   in Loop: Header=BB462_1471 Depth=1
	s_or_b32 exec_lo, exec_lo, s15
	v_lshlrev_b32_e32 v3, 24, v6
	s_delay_alu instid0(VALU_DEP_2) | instskip(SKIP_1) | instid1(VALU_DEP_3)
	v_lshlrev_b32_e32 v2, 20, v2
	v_lshl_add_u32 v6, v7, 23, 0x3c000000
	v_and_b32_e32 v3, 0x80000000, v3
	s_delay_alu instid0(VALU_DEP_1)
	v_or3_b32 v2, v2, v3, v6
.LBB462_3153:                           ;   in Loop: Header=BB462_1471 Depth=1
	s_or_b32 exec_lo, exec_lo, s13
.LBB462_3154:                           ;   in Loop: Header=BB462_1471 Depth=1
	s_delay_alu instid0(SALU_CYCLE_1)
	s_or_b32 exec_lo, exec_lo, s12
.LBB462_3155:                           ;   in Loop: Header=BB462_1471 Depth=1
	s_delay_alu instid0(SALU_CYCLE_1) | instskip(NEXT) | instid1(VALU_DEP_1)
	s_or_b32 exec_lo, exec_lo, s9
	v_mul_f32_e32 v3, v26, v2
	s_delay_alu instid0(VALU_DEP_1) | instskip(NEXT) | instid1(VALU_DEP_1)
	v_and_b32_e32 v2, 0x7f800000, v3
	v_cmp_ne_u32_e64 s0, 0x7f800000, v2
                                        ; implicit-def: $vgpr2
	s_delay_alu instid0(VALU_DEP_1) | instskip(NEXT) | instid1(SALU_CYCLE_1)
	s_and_saveexec_b32 s9, s0
	s_xor_b32 s0, exec_lo, s9
; %bb.3156:                             ;   in Loop: Header=BB462_1471 Depth=1
	v_bfe_u32 v2, v3, 16, 1
	s_delay_alu instid0(VALU_DEP_1)
	v_add3_u32 v2, v3, v2, 0x7fff
                                        ; implicit-def: $vgpr3
; %bb.3157:                             ;   in Loop: Header=BB462_1471 Depth=1
	s_and_not1_saveexec_b32 s9, s0
; %bb.3158:                             ;   in Loop: Header=BB462_1471 Depth=1
	v_and_b32_e32 v2, 0xffff, v3
	v_or_b32_e32 v6, 0x10000, v3
	s_delay_alu instid0(VALU_DEP_2) | instskip(NEXT) | instid1(VALU_DEP_1)
	v_cmp_eq_u32_e64 s0, 0, v2
	v_cndmask_b32_e64 v2, v6, v3, s0
; %bb.3159:                             ;   in Loop: Header=BB462_1471 Depth=1
	s_or_b32 exec_lo, exec_lo, s9
	v_lshrrev_b32_e32 v6, 16, v122
	v_lshrrev_b32_e32 v7, 16, v121
	v_lshrrev_b32_e32 v9, 16, v120
	v_lshrrev_b32_e32 v111, 16, v111
	v_lshrrev_b32_e32 v110, 16, v110
	v_lshrrev_b32_e32 v109, 16, v109
	v_lshrrev_b32_e32 v3, 16, v123
	v_lshrrev_b32_e32 v2, 16, v2
	s_and_saveexec_b32 s9, vcc_lo
	s_cbranch_execz .LBB462_3161
; %bb.3160:                             ;   in Loop: Header=BB462_1471 Depth=1
	v_cmp_lt_i32_e64 s0, v67, v36
	s_delay_alu instid0(VALU_DEP_1) | instskip(SKIP_1) | instid1(VALU_DEP_1)
	v_cndmask_b32_e64 v109, 0, v109, s0
	v_cmp_lt_i32_e64 s0, v81, v36
	v_cndmask_b32_e64 v110, 0, v110, s0
	v_cmp_lt_i32_e64 s0, v80, v36
	s_delay_alu instid0(VALU_DEP_1) | instskip(SKIP_1) | instid1(VALU_DEP_1)
	v_cndmask_b32_e64 v111, 0, v111, s0
	v_cmp_lt_i32_e64 s0, v71, v36
	v_cndmask_b32_e64 v9, 0, v9, s0
	;; [unrolled: 5-line block ×4, first 2 shown]
.LBB462_3161:                           ;   in Loop: Header=BB462_1471 Depth=1
	s_or_b32 exec_lo, exec_lo, s9
	v_lshlrev_b32_e32 v109, 16, v109
	s_delay_alu instid0(VALU_DEP_1) | instskip(NEXT) | instid1(VALU_DEP_1)
	v_mul_f32_e32 v120, v82, v109
	v_and_b32_e32 v109, 0x7f800000, v120
	s_delay_alu instid0(VALU_DEP_1) | instskip(NEXT) | instid1(VALU_DEP_1)
	v_cmp_ne_u32_e64 s0, 0x7f800000, v109
                                        ; implicit-def: $vgpr109
	s_and_saveexec_b32 s9, s0
	s_delay_alu instid0(SALU_CYCLE_1)
	s_xor_b32 s0, exec_lo, s9
; %bb.3162:                             ;   in Loop: Header=BB462_1471 Depth=1
	v_bfe_u32 v109, v120, 16, 1
	s_delay_alu instid0(VALU_DEP_1)
	v_add3_u32 v109, v120, v109, 0x7fff
                                        ; implicit-def: $vgpr120
; %bb.3163:                             ;   in Loop: Header=BB462_1471 Depth=1
	s_and_not1_saveexec_b32 s9, s0
; %bb.3164:                             ;   in Loop: Header=BB462_1471 Depth=1
	v_and_b32_e32 v109, 0xffff, v120
	v_or_b32_e32 v121, 0x10000, v120
	s_delay_alu instid0(VALU_DEP_2) | instskip(NEXT) | instid1(VALU_DEP_1)
	v_cmp_eq_u32_e64 s0, 0, v109
	v_cndmask_b32_e64 v109, v121, v120, s0
; %bb.3165:                             ;   in Loop: Header=BB462_1471 Depth=1
	s_or_b32 exec_lo, exec_lo, s9
	v_lshlrev_b32_e32 v110, 16, v110
	s_delay_alu instid0(VALU_DEP_1) | instskip(NEXT) | instid1(VALU_DEP_1)
	v_mul_f32_e32 v120, v83, v110
	v_and_b32_e32 v110, 0x7f800000, v120
	s_delay_alu instid0(VALU_DEP_1) | instskip(NEXT) | instid1(VALU_DEP_1)
	v_cmp_ne_u32_e64 s0, 0x7f800000, v110
                                        ; implicit-def: $vgpr110
	s_and_saveexec_b32 s9, s0
	s_delay_alu instid0(SALU_CYCLE_1)
	s_xor_b32 s0, exec_lo, s9
; %bb.3166:                             ;   in Loop: Header=BB462_1471 Depth=1
	v_bfe_u32 v110, v120, 16, 1
	s_delay_alu instid0(VALU_DEP_1)
	v_add3_u32 v110, v120, v110, 0x7fff
                                        ; implicit-def: $vgpr120
; %bb.3167:                             ;   in Loop: Header=BB462_1471 Depth=1
	s_and_not1_saveexec_b32 s9, s0
; %bb.3168:                             ;   in Loop: Header=BB462_1471 Depth=1
	v_and_b32_e32 v110, 0xffff, v120
	v_or_b32_e32 v121, 0x10000, v120
	s_delay_alu instid0(VALU_DEP_2) | instskip(NEXT) | instid1(VALU_DEP_1)
	v_cmp_eq_u32_e64 s0, 0, v110
	v_cndmask_b32_e64 v110, v121, v120, s0
; %bb.3169:                             ;   in Loop: Header=BB462_1471 Depth=1
	s_or_b32 exec_lo, exec_lo, s9
	v_lshlrev_b32_e32 v111, 16, v111
	s_delay_alu instid0(VALU_DEP_1) | instskip(NEXT) | instid1(VALU_DEP_1)
	v_mul_f32_e32 v120, v84, v111
	v_and_b32_e32 v111, 0x7f800000, v120
	s_delay_alu instid0(VALU_DEP_1) | instskip(NEXT) | instid1(VALU_DEP_1)
	v_cmp_ne_u32_e64 s0, 0x7f800000, v111
                                        ; implicit-def: $vgpr111
	s_and_saveexec_b32 s9, s0
	s_delay_alu instid0(SALU_CYCLE_1)
	s_xor_b32 s0, exec_lo, s9
; %bb.3170:                             ;   in Loop: Header=BB462_1471 Depth=1
	v_bfe_u32 v111, v120, 16, 1
	s_delay_alu instid0(VALU_DEP_1)
	v_add3_u32 v111, v120, v111, 0x7fff
                                        ; implicit-def: $vgpr120
; %bb.3171:                             ;   in Loop: Header=BB462_1471 Depth=1
	s_and_not1_saveexec_b32 s9, s0
; %bb.3172:                             ;   in Loop: Header=BB462_1471 Depth=1
	v_and_b32_e32 v111, 0xffff, v120
	v_or_b32_e32 v121, 0x10000, v120
	s_delay_alu instid0(VALU_DEP_2) | instskip(NEXT) | instid1(VALU_DEP_1)
	v_cmp_eq_u32_e64 s0, 0, v111
	v_cndmask_b32_e64 v111, v121, v120, s0
; %bb.3173:                             ;   in Loop: Header=BB462_1471 Depth=1
	s_or_b32 exec_lo, exec_lo, s9
	v_lshlrev_b32_e32 v9, 16, v9
	s_delay_alu instid0(VALU_DEP_1) | instskip(NEXT) | instid1(VALU_DEP_1)
	v_mul_f32_e32 v9, v85, v9
	v_and_b32_e32 v120, 0x7f800000, v9
	s_delay_alu instid0(VALU_DEP_1) | instskip(NEXT) | instid1(VALU_DEP_1)
	v_cmp_ne_u32_e64 s0, 0x7f800000, v120
                                        ; implicit-def: $vgpr120
	s_and_saveexec_b32 s9, s0
	s_delay_alu instid0(SALU_CYCLE_1)
	s_xor_b32 s0, exec_lo, s9
; %bb.3174:                             ;   in Loop: Header=BB462_1471 Depth=1
	v_bfe_u32 v120, v9, 16, 1
	s_delay_alu instid0(VALU_DEP_1)
	v_add3_u32 v120, v9, v120, 0x7fff
                                        ; implicit-def: $vgpr9
; %bb.3175:                             ;   in Loop: Header=BB462_1471 Depth=1
	s_and_not1_saveexec_b32 s9, s0
; %bb.3176:                             ;   in Loop: Header=BB462_1471 Depth=1
	v_and_b32_e32 v120, 0xffff, v9
	v_or_b32_e32 v121, 0x10000, v9
	s_delay_alu instid0(VALU_DEP_2) | instskip(NEXT) | instid1(VALU_DEP_1)
	v_cmp_eq_u32_e64 s0, 0, v120
	v_cndmask_b32_e64 v120, v121, v9, s0
; %bb.3177:                             ;   in Loop: Header=BB462_1471 Depth=1
	s_or_b32 exec_lo, exec_lo, s9
	v_lshlrev_b32_e32 v7, 16, v7
                                        ; implicit-def: $vgpr121
	s_delay_alu instid0(VALU_DEP_1) | instskip(NEXT) | instid1(VALU_DEP_1)
	v_mul_f32_e32 v7, v86, v7
	v_and_b32_e32 v9, 0x7f800000, v7
	s_delay_alu instid0(VALU_DEP_1) | instskip(NEXT) | instid1(VALU_DEP_1)
	v_cmp_ne_u32_e64 s0, 0x7f800000, v9
	s_and_saveexec_b32 s9, s0
	s_delay_alu instid0(SALU_CYCLE_1)
	s_xor_b32 s0, exec_lo, s9
; %bb.3178:                             ;   in Loop: Header=BB462_1471 Depth=1
	v_bfe_u32 v9, v7, 16, 1
	s_delay_alu instid0(VALU_DEP_1)
	v_add3_u32 v121, v7, v9, 0x7fff
                                        ; implicit-def: $vgpr7
; %bb.3179:                             ;   in Loop: Header=BB462_1471 Depth=1
	s_and_not1_saveexec_b32 s9, s0
; %bb.3180:                             ;   in Loop: Header=BB462_1471 Depth=1
	v_and_b32_e32 v9, 0xffff, v7
	v_or_b32_e32 v121, 0x10000, v7
	s_delay_alu instid0(VALU_DEP_2) | instskip(NEXT) | instid1(VALU_DEP_1)
	v_cmp_eq_u32_e64 s0, 0, v9
	v_cndmask_b32_e64 v121, v121, v7, s0
; %bb.3181:                             ;   in Loop: Header=BB462_1471 Depth=1
	s_or_b32 exec_lo, exec_lo, s9
	v_lshlrev_b32_e32 v6, 16, v6
                                        ; implicit-def: $vgpr122
	s_delay_alu instid0(VALU_DEP_1) | instskip(NEXT) | instid1(VALU_DEP_1)
	v_mul_f32_e32 v6, v87, v6
	v_and_b32_e32 v7, 0x7f800000, v6
	s_delay_alu instid0(VALU_DEP_1) | instskip(NEXT) | instid1(VALU_DEP_1)
	v_cmp_ne_u32_e64 s0, 0x7f800000, v7
	s_and_saveexec_b32 s9, s0
	s_delay_alu instid0(SALU_CYCLE_1)
	s_xor_b32 s0, exec_lo, s9
; %bb.3182:                             ;   in Loop: Header=BB462_1471 Depth=1
	v_bfe_u32 v7, v6, 16, 1
	s_delay_alu instid0(VALU_DEP_1)
	v_add3_u32 v122, v6, v7, 0x7fff
                                        ; implicit-def: $vgpr6
; %bb.3183:                             ;   in Loop: Header=BB462_1471 Depth=1
	s_and_not1_saveexec_b32 s9, s0
; %bb.3184:                             ;   in Loop: Header=BB462_1471 Depth=1
	v_and_b32_e32 v7, 0xffff, v6
	v_or_b32_e32 v9, 0x10000, v6
	s_delay_alu instid0(VALU_DEP_2) | instskip(NEXT) | instid1(VALU_DEP_1)
	v_cmp_eq_u32_e64 s0, 0, v7
	v_cndmask_b32_e64 v122, v9, v6, s0
; %bb.3185:                             ;   in Loop: Header=BB462_1471 Depth=1
	s_or_b32 exec_lo, exec_lo, s9
	v_lshlrev_b32_e32 v3, 16, v3
                                        ; implicit-def: $vgpr123
	s_delay_alu instid0(VALU_DEP_1) | instskip(NEXT) | instid1(VALU_DEP_1)
	v_mul_f32_e32 v3, v96, v3
	v_and_b32_e32 v6, 0x7f800000, v3
	s_delay_alu instid0(VALU_DEP_1) | instskip(NEXT) | instid1(VALU_DEP_1)
	v_cmp_ne_u32_e64 s0, 0x7f800000, v6
	s_and_saveexec_b32 s9, s0
	s_delay_alu instid0(SALU_CYCLE_1)
	s_xor_b32 s0, exec_lo, s9
; %bb.3186:                             ;   in Loop: Header=BB462_1471 Depth=1
	v_bfe_u32 v6, v3, 16, 1
	s_delay_alu instid0(VALU_DEP_1)
	v_add3_u32 v123, v3, v6, 0x7fff
                                        ; implicit-def: $vgpr3
; %bb.3187:                             ;   in Loop: Header=BB462_1471 Depth=1
	s_and_not1_saveexec_b32 s9, s0
; %bb.3188:                             ;   in Loop: Header=BB462_1471 Depth=1
	v_and_b32_e32 v6, 0xffff, v3
	v_or_b32_e32 v7, 0x10000, v3
	s_delay_alu instid0(VALU_DEP_2) | instskip(NEXT) | instid1(VALU_DEP_1)
	v_cmp_eq_u32_e64 s0, 0, v6
	v_cndmask_b32_e64 v123, v7, v3, s0
; %bb.3189:                             ;   in Loop: Header=BB462_1471 Depth=1
	s_or_b32 exec_lo, exec_lo, s9
	v_lshlrev_b32_e32 v2, 16, v2
                                        ; implicit-def: $vgpr124
	s_delay_alu instid0(VALU_DEP_1) | instskip(NEXT) | instid1(VALU_DEP_1)
	v_mul_f32_e32 v2, v97, v2
	v_and_b32_e32 v3, 0x7f800000, v2
	s_delay_alu instid0(VALU_DEP_1) | instskip(NEXT) | instid1(VALU_DEP_1)
	v_cmp_ne_u32_e64 s0, 0x7f800000, v3
	s_and_saveexec_b32 s9, s0
	s_delay_alu instid0(SALU_CYCLE_1)
	s_xor_b32 s0, exec_lo, s9
; %bb.3190:                             ;   in Loop: Header=BB462_1471 Depth=1
	v_bfe_u32 v3, v2, 16, 1
	s_delay_alu instid0(VALU_DEP_1)
	v_add3_u32 v124, v2, v3, 0x7fff
                                        ; implicit-def: $vgpr2
; %bb.3191:                             ;   in Loop: Header=BB462_1471 Depth=1
	s_and_not1_saveexec_b32 s9, s0
; %bb.3192:                             ;   in Loop: Header=BB462_1471 Depth=1
	v_and_b32_e32 v3, 0xffff, v2
	v_or_b32_e32 v6, 0x10000, v2
	s_delay_alu instid0(VALU_DEP_2) | instskip(NEXT) | instid1(VALU_DEP_1)
	v_cmp_eq_u32_e64 s0, 0, v3
	v_cndmask_b32_e64 v124, v6, v2, s0
; %bb.3193:                             ;   in Loop: Header=BB462_1471 Depth=1
	s_or_b32 exec_lo, exec_lo, s9
	flat_load_b64 v[2:3], v[0:1] offset:3328
	s_mov_b32 s9, exec_lo
	s_waitcnt vmcnt(0) lgkmcnt(0)
	v_dual_mov_b32 v6, 0 :: v_dual_and_b32 v7, 0xff, v2
	s_delay_alu instid0(VALU_DEP_1)
	v_cmpx_ne_u16_e32 0, v7
	s_cbranch_execz .LBB462_3201
; %bb.3194:                             ;   in Loop: Header=BB462_1471 Depth=1
	v_bfrev_b32_e32 v6, 1
	s_mov_b32 s12, exec_lo
	v_cmpx_ne_u16_e32 0x80, v7
	s_cbranch_execz .LBB462_3200
; %bb.3195:                             ;   in Loop: Header=BB462_1471 Depth=1
	v_and_b32_e32 v7, 0x7f, v2
	v_mov_b32_e32 v6, 0x7f800001
	s_mov_b32 s13, exec_lo
	s_delay_alu instid0(VALU_DEP_2)
	v_cmpx_ne_u32_e32 0x7f, v7
	s_cbranch_execz .LBB462_3199
; %bb.3196:                             ;   in Loop: Header=BB462_1471 Depth=1
	v_lshrrev_b32_e32 v9, 3, v7
	v_cmp_gt_u32_e64 s0, 8, v7
	v_dual_mov_b32 v7, v3 :: v_dual_mov_b32 v6, v2
	s_delay_alu instid0(VALU_DEP_2)
	s_and_saveexec_b32 s15, s0
; %bb.3197:                             ;   in Loop: Header=BB462_1471 Depth=1
	v_and_b32_e32 v6, 7, v2
	s_delay_alu instid0(VALU_DEP_1) | instskip(NEXT) | instid1(VALU_DEP_1)
	v_clz_i32_u32_e32 v6, v6
	v_min_u32_e32 v9, 32, v6
	s_delay_alu instid0(VALU_DEP_1) | instskip(SKIP_1) | instid1(VALU_DEP_2)
	v_subrev_nc_u32_e32 v6, 28, v9
	v_sub_nc_u32_e32 v9, 29, v9
	v_lshlrev_b64 v[6:7], v6, v[2:3]
; %bb.3198:                             ;   in Loop: Header=BB462_1471 Depth=1
	s_or_b32 exec_lo, exec_lo, s15
	s_delay_alu instid0(VALU_DEP_1) | instskip(SKIP_2) | instid1(VALU_DEP_3)
	v_lshlrev_b32_e32 v6, 20, v6
	v_lshlrev_b32_e32 v7, 24, v2
	v_lshl_add_u32 v9, v9, 23, 0x3c000000
	v_and_b32_e32 v6, 0x700000, v6
	s_delay_alu instid0(VALU_DEP_3) | instskip(NEXT) | instid1(VALU_DEP_1)
	v_and_b32_e32 v7, 0x80000000, v7
	v_or3_b32 v6, v6, v7, v9
.LBB462_3199:                           ;   in Loop: Header=BB462_1471 Depth=1
	s_or_b32 exec_lo, exec_lo, s13
.LBB462_3200:                           ;   in Loop: Header=BB462_1471 Depth=1
	s_delay_alu instid0(SALU_CYCLE_1)
	s_or_b32 exec_lo, exec_lo, s12
.LBB462_3201:                           ;   in Loop: Header=BB462_1471 Depth=1
	s_delay_alu instid0(SALU_CYCLE_1) | instskip(NEXT) | instid1(VALU_DEP_1)
	s_or_b32 exec_lo, exec_lo, s9
	v_mul_f32_e32 v6, v26, v6
                                        ; implicit-def: $vgpr125
	s_delay_alu instid0(VALU_DEP_1) | instskip(NEXT) | instid1(VALU_DEP_1)
	v_and_b32_e32 v7, 0x7f800000, v6
	v_cmp_ne_u32_e64 s0, 0x7f800000, v7
	s_delay_alu instid0(VALU_DEP_1) | instskip(NEXT) | instid1(SALU_CYCLE_1)
	s_and_saveexec_b32 s9, s0
	s_xor_b32 s0, exec_lo, s9
; %bb.3202:                             ;   in Loop: Header=BB462_1471 Depth=1
	v_bfe_u32 v7, v6, 16, 1
	s_delay_alu instid0(VALU_DEP_1)
	v_add3_u32 v125, v6, v7, 0x7fff
                                        ; implicit-def: $vgpr6
; %bb.3203:                             ;   in Loop: Header=BB462_1471 Depth=1
	s_and_not1_saveexec_b32 s9, s0
; %bb.3204:                             ;   in Loop: Header=BB462_1471 Depth=1
	v_and_b32_e32 v7, 0xffff, v6
	v_or_b32_e32 v9, 0x10000, v6
	s_delay_alu instid0(VALU_DEP_2) | instskip(NEXT) | instid1(VALU_DEP_1)
	v_cmp_eq_u32_e64 s0, 0, v7
	v_cndmask_b32_e64 v125, v9, v6, s0
; %bb.3205:                             ;   in Loop: Header=BB462_1471 Depth=1
	s_or_b32 exec_lo, exec_lo, s9
	v_lshrrev_b16 v7, 8, v2
	v_mov_b32_e32 v6, 0
	s_mov_b32 s9, exec_lo
	s_delay_alu instid0(VALU_DEP_2)
	v_cmpx_ne_u16_e32 0, v7
	s_cbranch_execz .LBB462_3213
; %bb.3206:                             ;   in Loop: Header=BB462_1471 Depth=1
	v_bfrev_b32_e32 v6, 1
	s_mov_b32 s12, exec_lo
	v_cmpx_ne_u16_e32 0x80, v7
	s_cbranch_execz .LBB462_3212
; %bb.3207:                             ;   in Loop: Header=BB462_1471 Depth=1
	v_and_b32_e32 v9, 0xffff, v7
	v_mov_b32_e32 v6, 0x7f800001
	s_mov_b32 s13, exec_lo
	s_delay_alu instid0(VALU_DEP_2) | instskip(NEXT) | instid1(VALU_DEP_1)
	v_and_b32_e32 v7, 0x7f, v9
	v_cmpx_ne_u32_e32 0x7f, v7
	s_cbranch_execz .LBB462_3211
; %bb.3208:                             ;   in Loop: Header=BB462_1471 Depth=1
	v_and_b32_e32 v9, 7, v9
	v_lshrrev_b32_e32 v126, 3, v7
	v_cmp_gt_u32_e64 s0, 8, v7
	s_delay_alu instid0(VALU_DEP_3) | instskip(NEXT) | instid1(VALU_DEP_2)
	v_dual_mov_b32 v6, v9 :: v_dual_mov_b32 v7, v10
	s_and_saveexec_b32 s15, s0
; %bb.3209:                             ;   in Loop: Header=BB462_1471 Depth=1
	v_clz_i32_u32_e32 v6, v9
	s_delay_alu instid0(VALU_DEP_1) | instskip(NEXT) | instid1(VALU_DEP_1)
	v_min_u32_e32 v126, 32, v6
	v_subrev_nc_u32_e32 v6, 28, v126
	v_sub_nc_u32_e32 v126, 29, v126
	s_delay_alu instid0(VALU_DEP_2) | instskip(NEXT) | instid1(VALU_DEP_1)
	v_lshlrev_b64 v[6:7], v6, v[9:10]
	v_and_b32_e32 v6, 7, v6
; %bb.3210:                             ;   in Loop: Header=BB462_1471 Depth=1
	s_or_b32 exec_lo, exec_lo, s15
	v_lshlrev_b32_e32 v7, 16, v2
	s_delay_alu instid0(VALU_DEP_2) | instskip(SKIP_1) | instid1(VALU_DEP_3)
	v_lshlrev_b32_e32 v6, 20, v6
	v_lshl_add_u32 v9, v126, 23, 0x3c000000
	v_and_b32_e32 v7, 0x80000000, v7
	s_delay_alu instid0(VALU_DEP_1)
	v_or3_b32 v6, v6, v7, v9
.LBB462_3211:                           ;   in Loop: Header=BB462_1471 Depth=1
	s_or_b32 exec_lo, exec_lo, s13
.LBB462_3212:                           ;   in Loop: Header=BB462_1471 Depth=1
	s_delay_alu instid0(SALU_CYCLE_1)
	s_or_b32 exec_lo, exec_lo, s12
.LBB462_3213:                           ;   in Loop: Header=BB462_1471 Depth=1
	s_delay_alu instid0(SALU_CYCLE_1) | instskip(NEXT) | instid1(VALU_DEP_1)
	s_or_b32 exec_lo, exec_lo, s9
	v_mul_f32_e32 v6, v26, v6
                                        ; implicit-def: $vgpr126
	s_delay_alu instid0(VALU_DEP_1) | instskip(NEXT) | instid1(VALU_DEP_1)
	v_and_b32_e32 v7, 0x7f800000, v6
	v_cmp_ne_u32_e64 s0, 0x7f800000, v7
	s_delay_alu instid0(VALU_DEP_1) | instskip(NEXT) | instid1(SALU_CYCLE_1)
	s_and_saveexec_b32 s9, s0
	s_xor_b32 s0, exec_lo, s9
; %bb.3214:                             ;   in Loop: Header=BB462_1471 Depth=1
	v_bfe_u32 v7, v6, 16, 1
	s_delay_alu instid0(VALU_DEP_1)
	v_add3_u32 v126, v6, v7, 0x7fff
                                        ; implicit-def: $vgpr6
; %bb.3215:                             ;   in Loop: Header=BB462_1471 Depth=1
	s_and_not1_saveexec_b32 s9, s0
; %bb.3216:                             ;   in Loop: Header=BB462_1471 Depth=1
	v_and_b32_e32 v7, 0xffff, v6
	v_or_b32_e32 v9, 0x10000, v6
	s_delay_alu instid0(VALU_DEP_2) | instskip(NEXT) | instid1(VALU_DEP_1)
	v_cmp_eq_u32_e64 s0, 0, v7
	v_cndmask_b32_e64 v126, v9, v6, s0
; %bb.3217:                             ;   in Loop: Header=BB462_1471 Depth=1
	s_or_b32 exec_lo, exec_lo, s9
	v_lshrrev_b32_e32 v127, 16, v2
	s_mov_b32 s9, exec_lo
	s_delay_alu instid0(VALU_DEP_1) | instskip(NEXT) | instid1(VALU_DEP_1)
	v_dual_mov_b32 v6, 0 :: v_dual_and_b32 v7, 0xff, v127
	v_cmpx_ne_u16_e32 0, v7
	s_cbranch_execz .LBB462_3225
; %bb.3218:                             ;   in Loop: Header=BB462_1471 Depth=1
	v_bfrev_b32_e32 v6, 1
	s_mov_b32 s12, exec_lo
	v_cmpx_ne_u16_e32 0x80, v7
	s_cbranch_execz .LBB462_3224
; %bb.3219:                             ;   in Loop: Header=BB462_1471 Depth=1
	v_bfe_u32 v7, v2, 16, 7
	v_mov_b32_e32 v6, 0x7f800001
	s_mov_b32 s13, exec_lo
	s_delay_alu instid0(VALU_DEP_2)
	v_cmpx_ne_u32_e32 0x7f, v7
	s_cbranch_execz .LBB462_3223
; %bb.3220:                             ;   in Loop: Header=BB462_1471 Depth=1
	v_and_b32_e32 v9, 7, v127
	v_lshrrev_b32_e32 v136, 3, v7
	v_cmp_gt_u32_e64 s0, 8, v7
	s_delay_alu instid0(VALU_DEP_3) | instskip(NEXT) | instid1(VALU_DEP_2)
	v_dual_mov_b32 v6, v9 :: v_dual_mov_b32 v7, v10
	s_and_saveexec_b32 s15, s0
; %bb.3221:                             ;   in Loop: Header=BB462_1471 Depth=1
	v_clz_i32_u32_e32 v6, v9
	s_delay_alu instid0(VALU_DEP_1) | instskip(NEXT) | instid1(VALU_DEP_1)
	v_min_u32_e32 v136, 32, v6
	v_subrev_nc_u32_e32 v6, 28, v136
	v_sub_nc_u32_e32 v136, 29, v136
	s_delay_alu instid0(VALU_DEP_2) | instskip(NEXT) | instid1(VALU_DEP_1)
	v_lshlrev_b64 v[6:7], v6, v[9:10]
	v_and_b32_e32 v6, 7, v6
; %bb.3222:                             ;   in Loop: Header=BB462_1471 Depth=1
	s_or_b32 exec_lo, exec_lo, s15
	v_lshlrev_b32_e32 v7, 24, v127
	s_delay_alu instid0(VALU_DEP_2) | instskip(SKIP_1) | instid1(VALU_DEP_3)
	v_lshlrev_b32_e32 v6, 20, v6
	v_lshl_add_u32 v9, v136, 23, 0x3c000000
	v_and_b32_e32 v7, 0x80000000, v7
	s_delay_alu instid0(VALU_DEP_1)
	v_or3_b32 v6, v6, v7, v9
.LBB462_3223:                           ;   in Loop: Header=BB462_1471 Depth=1
	s_or_b32 exec_lo, exec_lo, s13
.LBB462_3224:                           ;   in Loop: Header=BB462_1471 Depth=1
	s_delay_alu instid0(SALU_CYCLE_1)
	s_or_b32 exec_lo, exec_lo, s12
.LBB462_3225:                           ;   in Loop: Header=BB462_1471 Depth=1
	s_delay_alu instid0(SALU_CYCLE_1) | instskip(NEXT) | instid1(VALU_DEP_1)
	s_or_b32 exec_lo, exec_lo, s9
	v_mul_f32_e32 v6, v26, v6
                                        ; implicit-def: $vgpr127
	s_delay_alu instid0(VALU_DEP_1) | instskip(NEXT) | instid1(VALU_DEP_1)
	v_and_b32_e32 v7, 0x7f800000, v6
	v_cmp_ne_u32_e64 s0, 0x7f800000, v7
	s_delay_alu instid0(VALU_DEP_1) | instskip(NEXT) | instid1(SALU_CYCLE_1)
	s_and_saveexec_b32 s9, s0
	s_xor_b32 s0, exec_lo, s9
; %bb.3226:                             ;   in Loop: Header=BB462_1471 Depth=1
	v_bfe_u32 v7, v6, 16, 1
	s_delay_alu instid0(VALU_DEP_1)
	v_add3_u32 v127, v6, v7, 0x7fff
                                        ; implicit-def: $vgpr6
; %bb.3227:                             ;   in Loop: Header=BB462_1471 Depth=1
	s_and_not1_saveexec_b32 s9, s0
; %bb.3228:                             ;   in Loop: Header=BB462_1471 Depth=1
	v_and_b32_e32 v7, 0xffff, v6
	v_or_b32_e32 v9, 0x10000, v6
	s_delay_alu instid0(VALU_DEP_2) | instskip(NEXT) | instid1(VALU_DEP_1)
	v_cmp_eq_u32_e64 s0, 0, v7
	v_cndmask_b32_e64 v127, v9, v6, s0
; %bb.3229:                             ;   in Loop: Header=BB462_1471 Depth=1
	s_or_b32 exec_lo, exec_lo, s9
	v_mov_b32_e32 v6, 0
	s_mov_b32 s9, exec_lo
	v_cmpx_lt_u32_e32 0xffffff, v2
	s_cbranch_execz .LBB462_3237
; %bb.3230:                             ;   in Loop: Header=BB462_1471 Depth=1
	v_lshrrev_b32_e32 v136, 24, v2
	v_bfrev_b32_e32 v6, 1
	s_mov_b32 s12, exec_lo
	s_delay_alu instid0(VALU_DEP_2)
	v_cmpx_ne_u32_e32 0x80, v136
	s_cbranch_execz .LBB462_3236
; %bb.3231:                             ;   in Loop: Header=BB462_1471 Depth=1
	v_bfe_u32 v7, v2, 24, 7
	v_mov_b32_e32 v6, 0x7f800001
	s_mov_b32 s13, exec_lo
	s_delay_alu instid0(VALU_DEP_2)
	v_cmpx_ne_u32_e32 0x7f, v7
	s_cbranch_execz .LBB462_3235
; %bb.3232:                             ;   in Loop: Header=BB462_1471 Depth=1
	v_and_b32_e32 v9, 7, v136
	v_lshrrev_b32_e32 v137, 3, v7
	v_cmp_gt_u32_e64 s0, 8, v7
	s_delay_alu instid0(VALU_DEP_3) | instskip(NEXT) | instid1(VALU_DEP_2)
	v_dual_mov_b32 v6, v9 :: v_dual_mov_b32 v7, v10
	s_and_saveexec_b32 s15, s0
; %bb.3233:                             ;   in Loop: Header=BB462_1471 Depth=1
	v_clz_i32_u32_e32 v6, v9
	s_delay_alu instid0(VALU_DEP_1) | instskip(NEXT) | instid1(VALU_DEP_1)
	v_min_u32_e32 v137, 32, v6
	v_subrev_nc_u32_e32 v6, 28, v137
	v_sub_nc_u32_e32 v137, 29, v137
	s_delay_alu instid0(VALU_DEP_2) | instskip(NEXT) | instid1(VALU_DEP_1)
	v_lshlrev_b64 v[6:7], v6, v[9:10]
	v_and_b32_e32 v6, 7, v6
; %bb.3234:                             ;   in Loop: Header=BB462_1471 Depth=1
	s_or_b32 exec_lo, exec_lo, s15
	v_lshlrev_b32_e32 v7, 24, v136
	s_delay_alu instid0(VALU_DEP_2) | instskip(SKIP_1) | instid1(VALU_DEP_3)
	v_lshlrev_b32_e32 v6, 20, v6
	v_lshl_add_u32 v9, v137, 23, 0x3c000000
	v_and_b32_e32 v7, 0x80000000, v7
	s_delay_alu instid0(VALU_DEP_1)
	v_or3_b32 v6, v6, v7, v9
.LBB462_3235:                           ;   in Loop: Header=BB462_1471 Depth=1
	s_or_b32 exec_lo, exec_lo, s13
.LBB462_3236:                           ;   in Loop: Header=BB462_1471 Depth=1
	s_delay_alu instid0(SALU_CYCLE_1)
	s_or_b32 exec_lo, exec_lo, s12
.LBB462_3237:                           ;   in Loop: Header=BB462_1471 Depth=1
	s_delay_alu instid0(SALU_CYCLE_1) | instskip(NEXT) | instid1(VALU_DEP_1)
	s_or_b32 exec_lo, exec_lo, s9
	v_mul_f32_e32 v6, v26, v6
                                        ; implicit-def: $vgpr136
	s_delay_alu instid0(VALU_DEP_1) | instskip(NEXT) | instid1(VALU_DEP_1)
	v_and_b32_e32 v7, 0x7f800000, v6
	v_cmp_ne_u32_e64 s0, 0x7f800000, v7
	s_delay_alu instid0(VALU_DEP_1) | instskip(NEXT) | instid1(SALU_CYCLE_1)
	s_and_saveexec_b32 s9, s0
	s_xor_b32 s0, exec_lo, s9
; %bb.3238:                             ;   in Loop: Header=BB462_1471 Depth=1
	v_bfe_u32 v7, v6, 16, 1
	s_delay_alu instid0(VALU_DEP_1)
	v_add3_u32 v136, v6, v7, 0x7fff
                                        ; implicit-def: $vgpr6
; %bb.3239:                             ;   in Loop: Header=BB462_1471 Depth=1
	s_and_not1_saveexec_b32 s9, s0
; %bb.3240:                             ;   in Loop: Header=BB462_1471 Depth=1
	v_and_b32_e32 v7, 0xffff, v6
	v_or_b32_e32 v9, 0x10000, v6
	s_delay_alu instid0(VALU_DEP_2) | instskip(NEXT) | instid1(VALU_DEP_1)
	v_cmp_eq_u32_e64 s0, 0, v7
	v_cndmask_b32_e64 v136, v9, v6, s0
; %bb.3241:                             ;   in Loop: Header=BB462_1471 Depth=1
	s_or_b32 exec_lo, exec_lo, s9
	v_dual_mov_b32 v6, 0 :: v_dual_and_b32 v7, 0xff, v3
	v_mov_b32_e32 v9, v3
	s_mov_b32 s9, exec_lo
	s_delay_alu instid0(VALU_DEP_2)
	v_cmpx_ne_u16_e32 0, v7
	s_cbranch_execz .LBB462_3249
; %bb.3242:                             ;   in Loop: Header=BB462_1471 Depth=1
	v_bfrev_b32_e32 v6, 1
	s_mov_b32 s12, exec_lo
	v_cmpx_ne_u16_e32 0x80, v7
	s_cbranch_execz .LBB462_3248
; %bb.3243:                             ;   in Loop: Header=BB462_1471 Depth=1
	v_and_b32_e32 v7, 0x7f, v3
	v_mov_b32_e32 v6, 0x7f800001
	s_mov_b32 s13, exec_lo
	s_delay_alu instid0(VALU_DEP_2)
	v_cmpx_ne_u32_e32 0x7f, v7
	s_cbranch_execz .LBB462_3247
; %bb.3244:                             ;   in Loop: Header=BB462_1471 Depth=1
	v_lshrrev_b32_e32 v137, 3, v7
	v_cmp_gt_u32_e64 s0, 8, v7
	v_dual_mov_b32 v6, v9 :: v_dual_mov_b32 v7, v10
	s_delay_alu instid0(VALU_DEP_2)
	s_and_saveexec_b32 s15, s0
; %bb.3245:                             ;   in Loop: Header=BB462_1471 Depth=1
	v_and_b32_e32 v6, 7, v3
	s_delay_alu instid0(VALU_DEP_1) | instskip(NEXT) | instid1(VALU_DEP_1)
	v_clz_i32_u32_e32 v6, v6
	v_min_u32_e32 v137, 32, v6
	s_delay_alu instid0(VALU_DEP_1) | instskip(SKIP_1) | instid1(VALU_DEP_2)
	v_subrev_nc_u32_e32 v6, 28, v137
	v_sub_nc_u32_e32 v137, 29, v137
	v_lshlrev_b64 v[6:7], v6, v[9:10]
; %bb.3246:                             ;   in Loop: Header=BB462_1471 Depth=1
	s_or_b32 exec_lo, exec_lo, s15
	s_delay_alu instid0(VALU_DEP_1) | instskip(SKIP_2) | instid1(VALU_DEP_3)
	v_lshlrev_b32_e32 v6, 20, v6
	v_lshlrev_b32_e32 v7, 24, v9
	v_lshl_add_u32 v137, v137, 23, 0x3c000000
	v_and_b32_e32 v6, 0x700000, v6
	s_delay_alu instid0(VALU_DEP_3) | instskip(NEXT) | instid1(VALU_DEP_1)
	v_and_b32_e32 v7, 0x80000000, v7
	v_or3_b32 v6, v6, v7, v137
.LBB462_3247:                           ;   in Loop: Header=BB462_1471 Depth=1
	s_or_b32 exec_lo, exec_lo, s13
.LBB462_3248:                           ;   in Loop: Header=BB462_1471 Depth=1
	s_delay_alu instid0(SALU_CYCLE_1)
	s_or_b32 exec_lo, exec_lo, s12
.LBB462_3249:                           ;   in Loop: Header=BB462_1471 Depth=1
	s_delay_alu instid0(SALU_CYCLE_1) | instskip(NEXT) | instid1(VALU_DEP_1)
	s_or_b32 exec_lo, exec_lo, s9
	v_mul_f32_e32 v6, v26, v6
                                        ; implicit-def: $vgpr137
	s_delay_alu instid0(VALU_DEP_1) | instskip(NEXT) | instid1(VALU_DEP_1)
	v_and_b32_e32 v7, 0x7f800000, v6
	v_cmp_ne_u32_e64 s0, 0x7f800000, v7
	s_delay_alu instid0(VALU_DEP_1) | instskip(NEXT) | instid1(SALU_CYCLE_1)
	s_and_saveexec_b32 s9, s0
	s_xor_b32 s0, exec_lo, s9
; %bb.3250:                             ;   in Loop: Header=BB462_1471 Depth=1
	v_bfe_u32 v7, v6, 16, 1
	s_delay_alu instid0(VALU_DEP_1)
	v_add3_u32 v137, v6, v7, 0x7fff
                                        ; implicit-def: $vgpr6
; %bb.3251:                             ;   in Loop: Header=BB462_1471 Depth=1
	s_and_not1_saveexec_b32 s9, s0
; %bb.3252:                             ;   in Loop: Header=BB462_1471 Depth=1
	v_and_b32_e32 v7, 0xffff, v6
	v_or_b32_e32 v137, 0x10000, v6
	s_delay_alu instid0(VALU_DEP_2) | instskip(NEXT) | instid1(VALU_DEP_1)
	v_cmp_eq_u32_e64 s0, 0, v7
	v_cndmask_b32_e64 v137, v137, v6, s0
; %bb.3253:                             ;   in Loop: Header=BB462_1471 Depth=1
	s_or_b32 exec_lo, exec_lo, s9
	v_lshrrev_b16 v7, 8, v9
	v_mov_b32_e32 v6, 0
	s_mov_b32 s9, exec_lo
	s_delay_alu instid0(VALU_DEP_2)
	v_cmpx_ne_u16_e32 0, v7
	s_cbranch_execz .LBB462_3261
; %bb.3254:                             ;   in Loop: Header=BB462_1471 Depth=1
	v_bfrev_b32_e32 v6, 1
	s_mov_b32 s12, exec_lo
	v_cmpx_ne_u16_e32 0x80, v7
	s_cbranch_execz .LBB462_3260
; %bb.3255:                             ;   in Loop: Header=BB462_1471 Depth=1
	v_and_b32_e32 v7, 0xffff, v7
	v_mov_b32_e32 v6, 0x7f800001
	s_mov_b32 s13, exec_lo
	s_delay_alu instid0(VALU_DEP_2) | instskip(NEXT) | instid1(VALU_DEP_1)
	v_and_b32_e32 v139, 0x7f, v7
	v_cmpx_ne_u32_e32 0x7f, v139
	s_cbranch_execz .LBB462_3259
; %bb.3256:                             ;   in Loop: Header=BB462_1471 Depth=1
	v_dual_mov_b32 v7, v10 :: v_dual_and_b32 v6, 7, v7
	v_lshrrev_b32_e32 v138, 3, v139
	s_mov_b32 s15, exec_lo
	v_cmpx_gt_u32_e32 8, v139
; %bb.3257:                             ;   in Loop: Header=BB462_1471 Depth=1
	s_delay_alu instid0(VALU_DEP_3) | instskip(NEXT) | instid1(VALU_DEP_1)
	v_clz_i32_u32_e32 v138, v6
	v_min_u32_e32 v138, 32, v138
	s_delay_alu instid0(VALU_DEP_1) | instskip(SKIP_1) | instid1(VALU_DEP_2)
	v_subrev_nc_u32_e32 v139, 28, v138
	v_sub_nc_u32_e32 v138, 29, v138
	v_lshlrev_b64 v[6:7], v139, v[6:7]
	s_delay_alu instid0(VALU_DEP_1)
	v_and_b32_e32 v6, 7, v6
; %bb.3258:                             ;   in Loop: Header=BB462_1471 Depth=1
	s_or_b32 exec_lo, exec_lo, s15
	v_lshlrev_b32_e32 v7, 16, v9
	s_delay_alu instid0(VALU_DEP_2) | instskip(SKIP_1) | instid1(VALU_DEP_3)
	v_lshlrev_b32_e32 v6, 20, v6
	v_lshl_add_u32 v9, v138, 23, 0x3c000000
	v_and_b32_e32 v7, 0x80000000, v7
	s_delay_alu instid0(VALU_DEP_1)
	v_or3_b32 v6, v6, v7, v9
.LBB462_3259:                           ;   in Loop: Header=BB462_1471 Depth=1
	s_or_b32 exec_lo, exec_lo, s13
.LBB462_3260:                           ;   in Loop: Header=BB462_1471 Depth=1
	s_delay_alu instid0(SALU_CYCLE_1)
	s_or_b32 exec_lo, exec_lo, s12
.LBB462_3261:                           ;   in Loop: Header=BB462_1471 Depth=1
	s_delay_alu instid0(SALU_CYCLE_1) | instskip(NEXT) | instid1(VALU_DEP_1)
	s_or_b32 exec_lo, exec_lo, s9
	v_mul_f32_e32 v6, v26, v6
                                        ; implicit-def: $vgpr138
	s_delay_alu instid0(VALU_DEP_1) | instskip(NEXT) | instid1(VALU_DEP_1)
	v_and_b32_e32 v7, 0x7f800000, v6
	v_cmp_ne_u32_e64 s0, 0x7f800000, v7
	s_delay_alu instid0(VALU_DEP_1) | instskip(NEXT) | instid1(SALU_CYCLE_1)
	s_and_saveexec_b32 s9, s0
	s_xor_b32 s0, exec_lo, s9
; %bb.3262:                             ;   in Loop: Header=BB462_1471 Depth=1
	v_bfe_u32 v7, v6, 16, 1
	s_delay_alu instid0(VALU_DEP_1)
	v_add3_u32 v138, v6, v7, 0x7fff
                                        ; implicit-def: $vgpr6
; %bb.3263:                             ;   in Loop: Header=BB462_1471 Depth=1
	s_and_not1_saveexec_b32 s9, s0
; %bb.3264:                             ;   in Loop: Header=BB462_1471 Depth=1
	v_and_b32_e32 v7, 0xffff, v6
	v_or_b32_e32 v9, 0x10000, v6
	s_delay_alu instid0(VALU_DEP_2) | instskip(NEXT) | instid1(VALU_DEP_1)
	v_cmp_eq_u32_e64 s0, 0, v7
	v_cndmask_b32_e64 v138, v9, v6, s0
; %bb.3265:                             ;   in Loop: Header=BB462_1471 Depth=1
	s_or_b32 exec_lo, exec_lo, s9
	v_lshrrev_b32_e32 v139, 16, v3
	s_mov_b32 s9, exec_lo
	s_delay_alu instid0(VALU_DEP_1) | instskip(NEXT) | instid1(VALU_DEP_1)
	v_dual_mov_b32 v6, 0 :: v_dual_and_b32 v7, 0xff, v139
	v_cmpx_ne_u16_e32 0, v7
	s_cbranch_execz .LBB462_3273
; %bb.3266:                             ;   in Loop: Header=BB462_1471 Depth=1
	v_bfrev_b32_e32 v6, 1
	s_mov_b32 s12, exec_lo
	v_cmpx_ne_u16_e32 0x80, v7
	s_cbranch_execz .LBB462_3272
; %bb.3267:                             ;   in Loop: Header=BB462_1471 Depth=1
	v_bfe_u32 v7, v3, 16, 7
	v_mov_b32_e32 v6, 0x7f800001
	s_mov_b32 s13, exec_lo
	s_delay_alu instid0(VALU_DEP_2)
	v_cmpx_ne_u32_e32 0x7f, v7
	s_cbranch_execz .LBB462_3271
; %bb.3268:                             ;   in Loop: Header=BB462_1471 Depth=1
	v_and_b32_e32 v9, 7, v139
	v_lshrrev_b32_e32 v140, 3, v7
	v_cmp_gt_u32_e64 s0, 8, v7
	s_delay_alu instid0(VALU_DEP_3) | instskip(NEXT) | instid1(VALU_DEP_2)
	v_dual_mov_b32 v6, v9 :: v_dual_mov_b32 v7, v10
	s_and_saveexec_b32 s15, s0
; %bb.3269:                             ;   in Loop: Header=BB462_1471 Depth=1
	v_clz_i32_u32_e32 v6, v9
	s_delay_alu instid0(VALU_DEP_1) | instskip(NEXT) | instid1(VALU_DEP_1)
	v_min_u32_e32 v140, 32, v6
	v_subrev_nc_u32_e32 v6, 28, v140
	v_sub_nc_u32_e32 v140, 29, v140
	s_delay_alu instid0(VALU_DEP_2) | instskip(NEXT) | instid1(VALU_DEP_1)
	v_lshlrev_b64 v[6:7], v6, v[9:10]
	v_and_b32_e32 v6, 7, v6
; %bb.3270:                             ;   in Loop: Header=BB462_1471 Depth=1
	s_or_b32 exec_lo, exec_lo, s15
	v_lshlrev_b32_e32 v7, 24, v139
	s_delay_alu instid0(VALU_DEP_2) | instskip(SKIP_1) | instid1(VALU_DEP_3)
	v_lshlrev_b32_e32 v6, 20, v6
	v_lshl_add_u32 v9, v140, 23, 0x3c000000
	v_and_b32_e32 v7, 0x80000000, v7
	s_delay_alu instid0(VALU_DEP_1)
	v_or3_b32 v6, v6, v7, v9
.LBB462_3271:                           ;   in Loop: Header=BB462_1471 Depth=1
	s_or_b32 exec_lo, exec_lo, s13
.LBB462_3272:                           ;   in Loop: Header=BB462_1471 Depth=1
	s_delay_alu instid0(SALU_CYCLE_1)
	s_or_b32 exec_lo, exec_lo, s12
.LBB462_3273:                           ;   in Loop: Header=BB462_1471 Depth=1
	s_delay_alu instid0(SALU_CYCLE_1) | instskip(NEXT) | instid1(VALU_DEP_1)
	s_or_b32 exec_lo, exec_lo, s9
	v_mul_f32_e32 v7, v26, v6
	s_delay_alu instid0(VALU_DEP_1) | instskip(NEXT) | instid1(VALU_DEP_1)
	v_and_b32_e32 v6, 0x7f800000, v7
	v_cmp_ne_u32_e64 s0, 0x7f800000, v6
                                        ; implicit-def: $vgpr6
	s_delay_alu instid0(VALU_DEP_1) | instskip(NEXT) | instid1(SALU_CYCLE_1)
	s_and_saveexec_b32 s9, s0
	s_xor_b32 s0, exec_lo, s9
; %bb.3274:                             ;   in Loop: Header=BB462_1471 Depth=1
	v_bfe_u32 v6, v7, 16, 1
	s_delay_alu instid0(VALU_DEP_1)
	v_add3_u32 v6, v7, v6, 0x7fff
                                        ; implicit-def: $vgpr7
; %bb.3275:                             ;   in Loop: Header=BB462_1471 Depth=1
	s_and_not1_saveexec_b32 s9, s0
; %bb.3276:                             ;   in Loop: Header=BB462_1471 Depth=1
	v_and_b32_e32 v6, 0xffff, v7
	v_or_b32_e32 v9, 0x10000, v7
	s_delay_alu instid0(VALU_DEP_2) | instskip(NEXT) | instid1(VALU_DEP_1)
	v_cmp_eq_u32_e64 s0, 0, v6
	v_cndmask_b32_e64 v6, v9, v7, s0
; %bb.3277:                             ;   in Loop: Header=BB462_1471 Depth=1
	s_or_b32 exec_lo, exec_lo, s9
	v_cmp_lt_u64_e64 s0, s[2:3], v[2:3]
	v_mov_b32_e32 v2, 0
	s_delay_alu instid0(VALU_DEP_2)
	s_and_saveexec_b32 s9, s0
	s_cbranch_execz .LBB462_3285
; %bb.3278:                             ;   in Loop: Header=BB462_1471 Depth=1
	v_lshrrev_b32_e32 v7, 24, v3
	v_bfrev_b32_e32 v2, 1
	s_mov_b32 s12, exec_lo
	s_delay_alu instid0(VALU_DEP_2)
	v_cmpx_ne_u32_e32 0x80, v7
	s_cbranch_execz .LBB462_3284
; %bb.3279:                             ;   in Loop: Header=BB462_1471 Depth=1
	v_bfe_u32 v3, v3, 24, 7
	v_mov_b32_e32 v2, 0x7f800001
	s_mov_b32 s13, exec_lo
	s_delay_alu instid0(VALU_DEP_2)
	v_cmpx_ne_u32_e32 0x7f, v3
	s_cbranch_execz .LBB462_3283
; %bb.3280:                             ;   in Loop: Header=BB462_1471 Depth=1
	v_and_b32_e32 v9, 7, v7
	v_lshrrev_b32_e32 v139, 3, v3
	v_cmp_gt_u32_e64 s0, 8, v3
	s_delay_alu instid0(VALU_DEP_3) | instskip(NEXT) | instid1(VALU_DEP_2)
	v_dual_mov_b32 v2, v9 :: v_dual_mov_b32 v3, v10
	s_and_saveexec_b32 s15, s0
; %bb.3281:                             ;   in Loop: Header=BB462_1471 Depth=1
	v_clz_i32_u32_e32 v2, v9
	s_delay_alu instid0(VALU_DEP_1) | instskip(NEXT) | instid1(VALU_DEP_1)
	v_min_u32_e32 v139, 32, v2
	v_subrev_nc_u32_e32 v2, 28, v139
	v_sub_nc_u32_e32 v139, 29, v139
	s_delay_alu instid0(VALU_DEP_2) | instskip(NEXT) | instid1(VALU_DEP_1)
	v_lshlrev_b64 v[2:3], v2, v[9:10]
	v_and_b32_e32 v2, 7, v2
; %bb.3282:                             ;   in Loop: Header=BB462_1471 Depth=1
	s_or_b32 exec_lo, exec_lo, s15
	v_lshlrev_b32_e32 v3, 24, v7
	s_delay_alu instid0(VALU_DEP_2) | instskip(SKIP_1) | instid1(VALU_DEP_3)
	v_lshlrev_b32_e32 v2, 20, v2
	v_lshl_add_u32 v7, v139, 23, 0x3c000000
	v_and_b32_e32 v3, 0x80000000, v3
	s_delay_alu instid0(VALU_DEP_1)
	v_or3_b32 v2, v2, v3, v7
.LBB462_3283:                           ;   in Loop: Header=BB462_1471 Depth=1
	s_or_b32 exec_lo, exec_lo, s13
.LBB462_3284:                           ;   in Loop: Header=BB462_1471 Depth=1
	s_delay_alu instid0(SALU_CYCLE_1)
	s_or_b32 exec_lo, exec_lo, s12
.LBB462_3285:                           ;   in Loop: Header=BB462_1471 Depth=1
	s_delay_alu instid0(SALU_CYCLE_1) | instskip(NEXT) | instid1(VALU_DEP_1)
	s_or_b32 exec_lo, exec_lo, s9
	v_mul_f32_e32 v3, v26, v2
	s_delay_alu instid0(VALU_DEP_1) | instskip(NEXT) | instid1(VALU_DEP_1)
	v_and_b32_e32 v2, 0x7f800000, v3
	v_cmp_ne_u32_e64 s0, 0x7f800000, v2
                                        ; implicit-def: $vgpr2
	s_delay_alu instid0(VALU_DEP_1) | instskip(NEXT) | instid1(SALU_CYCLE_1)
	s_and_saveexec_b32 s9, s0
	s_xor_b32 s0, exec_lo, s9
; %bb.3286:                             ;   in Loop: Header=BB462_1471 Depth=1
	v_bfe_u32 v2, v3, 16, 1
	s_delay_alu instid0(VALU_DEP_1)
	v_add3_u32 v2, v3, v2, 0x7fff
                                        ; implicit-def: $vgpr3
; %bb.3287:                             ;   in Loop: Header=BB462_1471 Depth=1
	s_and_not1_saveexec_b32 s9, s0
; %bb.3288:                             ;   in Loop: Header=BB462_1471 Depth=1
	v_and_b32_e32 v2, 0xffff, v3
	v_or_b32_e32 v7, 0x10000, v3
	s_delay_alu instid0(VALU_DEP_2) | instskip(NEXT) | instid1(VALU_DEP_1)
	v_cmp_eq_u32_e64 s0, 0, v2
	v_cndmask_b32_e64 v2, v7, v3, s0
; %bb.3289:                             ;   in Loop: Header=BB462_1471 Depth=1
	s_or_b32 exec_lo, exec_lo, s9
	v_lshrrev_b32_e32 v9, 16, v138
	v_lshrrev_b32_e32 v137, 16, v137
	;; [unrolled: 1-line block ×8, first 2 shown]
	s_and_saveexec_b32 s9, vcc_lo
	s_cbranch_execz .LBB462_3291
; %bb.3290:                             ;   in Loop: Header=BB462_1471 Depth=1
	v_cmp_lt_i32_e64 s0, v67, v36
	s_delay_alu instid0(VALU_DEP_1) | instskip(SKIP_1) | instid1(VALU_DEP_1)
	v_cndmask_b32_e64 v125, 0, v125, s0
	v_cmp_lt_i32_e64 s0, v81, v36
	v_cndmask_b32_e64 v7, 0, v7, s0
	v_cmp_lt_i32_e64 s0, v80, v36
	s_delay_alu instid0(VALU_DEP_1) | instskip(SKIP_1) | instid1(VALU_DEP_1)
	v_cndmask_b32_e64 v127, 0, v127, s0
	v_cmp_lt_i32_e64 s0, v71, v36
	v_cndmask_b32_e64 v136, 0, v136, s0
	;; [unrolled: 5-line block ×4, first 2 shown]
.LBB462_3291:                           ;   in Loop: Header=BB462_1471 Depth=1
	s_or_b32 exec_lo, exec_lo, s9
	v_lshlrev_b32_e32 v6, 16, v125
	s_delay_alu instid0(VALU_DEP_1) | instskip(NEXT) | instid1(VALU_DEP_1)
	v_mul_f32_e32 v125, v82, v6
	v_and_b32_e32 v6, 0x7f800000, v125
	s_delay_alu instid0(VALU_DEP_1) | instskip(NEXT) | instid1(VALU_DEP_1)
	v_cmp_ne_u32_e64 s0, 0x7f800000, v6
                                        ; implicit-def: $vgpr6
	s_and_saveexec_b32 s9, s0
	s_delay_alu instid0(SALU_CYCLE_1)
	s_xor_b32 s0, exec_lo, s9
; %bb.3292:                             ;   in Loop: Header=BB462_1471 Depth=1
	v_bfe_u32 v6, v125, 16, 1
	s_delay_alu instid0(VALU_DEP_1)
	v_add3_u32 v6, v125, v6, 0x7fff
                                        ; implicit-def: $vgpr125
; %bb.3293:                             ;   in Loop: Header=BB462_1471 Depth=1
	s_and_not1_saveexec_b32 s9, s0
; %bb.3294:                             ;   in Loop: Header=BB462_1471 Depth=1
	v_and_b32_e32 v6, 0xffff, v125
	v_or_b32_e32 v126, 0x10000, v125
	s_delay_alu instid0(VALU_DEP_2) | instskip(NEXT) | instid1(VALU_DEP_1)
	v_cmp_eq_u32_e64 s0, 0, v6
	v_cndmask_b32_e64 v6, v126, v125, s0
; %bb.3295:                             ;   in Loop: Header=BB462_1471 Depth=1
	s_or_b32 exec_lo, exec_lo, s9
	v_lshlrev_b32_e32 v7, 16, v7
	s_delay_alu instid0(VALU_DEP_1) | instskip(NEXT) | instid1(VALU_DEP_1)
	v_mul_f32_e32 v125, v83, v7
	v_and_b32_e32 v7, 0x7f800000, v125
	s_delay_alu instid0(VALU_DEP_1) | instskip(NEXT) | instid1(VALU_DEP_1)
	v_cmp_ne_u32_e64 s0, 0x7f800000, v7
                                        ; implicit-def: $vgpr7
	s_and_saveexec_b32 s9, s0
	s_delay_alu instid0(SALU_CYCLE_1)
	s_xor_b32 s0, exec_lo, s9
; %bb.3296:                             ;   in Loop: Header=BB462_1471 Depth=1
	v_bfe_u32 v7, v125, 16, 1
	s_delay_alu instid0(VALU_DEP_1)
	v_add3_u32 v7, v125, v7, 0x7fff
                                        ; implicit-def: $vgpr125
; %bb.3297:                             ;   in Loop: Header=BB462_1471 Depth=1
	s_and_not1_saveexec_b32 s9, s0
; %bb.3298:                             ;   in Loop: Header=BB462_1471 Depth=1
	v_and_b32_e32 v7, 0xffff, v125
	v_or_b32_e32 v126, 0x10000, v125
	s_delay_alu instid0(VALU_DEP_2) | instskip(NEXT) | instid1(VALU_DEP_1)
	v_cmp_eq_u32_e64 s0, 0, v7
	v_cndmask_b32_e64 v7, v126, v125, s0
; %bb.3299:                             ;   in Loop: Header=BB462_1471 Depth=1
	s_or_b32 exec_lo, exec_lo, s9
	v_lshlrev_b32_e32 v125, 16, v127
	s_delay_alu instid0(VALU_DEP_1) | instskip(NEXT) | instid1(VALU_DEP_1)
	v_mul_f32_e32 v126, v84, v125
	v_and_b32_e32 v125, 0x7f800000, v126
	s_delay_alu instid0(VALU_DEP_1) | instskip(NEXT) | instid1(VALU_DEP_1)
	v_cmp_ne_u32_e64 s0, 0x7f800000, v125
                                        ; implicit-def: $vgpr125
	s_and_saveexec_b32 s9, s0
	s_delay_alu instid0(SALU_CYCLE_1)
	s_xor_b32 s0, exec_lo, s9
; %bb.3300:                             ;   in Loop: Header=BB462_1471 Depth=1
	v_bfe_u32 v125, v126, 16, 1
	s_delay_alu instid0(VALU_DEP_1)
	v_add3_u32 v125, v126, v125, 0x7fff
                                        ; implicit-def: $vgpr126
; %bb.3301:                             ;   in Loop: Header=BB462_1471 Depth=1
	s_and_not1_saveexec_b32 s9, s0
; %bb.3302:                             ;   in Loop: Header=BB462_1471 Depth=1
	v_and_b32_e32 v125, 0xffff, v126
	v_or_b32_e32 v127, 0x10000, v126
	s_delay_alu instid0(VALU_DEP_2) | instskip(NEXT) | instid1(VALU_DEP_1)
	v_cmp_eq_u32_e64 s0, 0, v125
	v_cndmask_b32_e64 v125, v127, v126, s0
; %bb.3303:                             ;   in Loop: Header=BB462_1471 Depth=1
	s_or_b32 exec_lo, exec_lo, s9
	v_lshlrev_b32_e32 v126, 16, v136
	s_delay_alu instid0(VALU_DEP_1) | instskip(NEXT) | instid1(VALU_DEP_1)
	v_mul_f32_e32 v127, v85, v126
	v_and_b32_e32 v126, 0x7f800000, v127
	s_delay_alu instid0(VALU_DEP_1) | instskip(NEXT) | instid1(VALU_DEP_1)
	v_cmp_ne_u32_e64 s0, 0x7f800000, v126
                                        ; implicit-def: $vgpr126
	s_and_saveexec_b32 s9, s0
	s_delay_alu instid0(SALU_CYCLE_1)
	s_xor_b32 s0, exec_lo, s9
; %bb.3304:                             ;   in Loop: Header=BB462_1471 Depth=1
	v_bfe_u32 v126, v127, 16, 1
	s_delay_alu instid0(VALU_DEP_1)
	v_add3_u32 v126, v127, v126, 0x7fff
                                        ; implicit-def: $vgpr127
; %bb.3305:                             ;   in Loop: Header=BB462_1471 Depth=1
	s_and_not1_saveexec_b32 s9, s0
; %bb.3306:                             ;   in Loop: Header=BB462_1471 Depth=1
	v_and_b32_e32 v126, 0xffff, v127
	v_or_b32_e32 v136, 0x10000, v127
	s_delay_alu instid0(VALU_DEP_2) | instskip(NEXT) | instid1(VALU_DEP_1)
	v_cmp_eq_u32_e64 s0, 0, v126
	v_cndmask_b32_e64 v126, v136, v127, s0
; %bb.3307:                             ;   in Loop: Header=BB462_1471 Depth=1
	s_or_b32 exec_lo, exec_lo, s9
	v_lshlrev_b32_e32 v127, 16, v137
	s_delay_alu instid0(VALU_DEP_1) | instskip(NEXT) | instid1(VALU_DEP_1)
	v_mul_f32_e32 v136, v86, v127
	v_and_b32_e32 v127, 0x7f800000, v136
	s_delay_alu instid0(VALU_DEP_1) | instskip(NEXT) | instid1(VALU_DEP_1)
	v_cmp_ne_u32_e64 s0, 0x7f800000, v127
                                        ; implicit-def: $vgpr127
	s_and_saveexec_b32 s9, s0
	s_delay_alu instid0(SALU_CYCLE_1)
	s_xor_b32 s0, exec_lo, s9
; %bb.3308:                             ;   in Loop: Header=BB462_1471 Depth=1
	v_bfe_u32 v127, v136, 16, 1
	s_delay_alu instid0(VALU_DEP_1)
	v_add3_u32 v127, v136, v127, 0x7fff
                                        ; implicit-def: $vgpr136
; %bb.3309:                             ;   in Loop: Header=BB462_1471 Depth=1
	s_and_not1_saveexec_b32 s9, s0
; %bb.3310:                             ;   in Loop: Header=BB462_1471 Depth=1
	v_and_b32_e32 v127, 0xffff, v136
	v_or_b32_e32 v137, 0x10000, v136
	s_delay_alu instid0(VALU_DEP_2) | instskip(NEXT) | instid1(VALU_DEP_1)
	v_cmp_eq_u32_e64 s0, 0, v127
	v_cndmask_b32_e64 v127, v137, v136, s0
; %bb.3311:                             ;   in Loop: Header=BB462_1471 Depth=1
	s_or_b32 exec_lo, exec_lo, s9
	v_lshlrev_b32_e32 v9, 16, v9
	s_delay_alu instid0(VALU_DEP_1) | instskip(NEXT) | instid1(VALU_DEP_1)
	v_mul_f32_e32 v9, v87, v9
	v_and_b32_e32 v136, 0x7f800000, v9
	s_delay_alu instid0(VALU_DEP_1) | instskip(NEXT) | instid1(VALU_DEP_1)
	v_cmp_ne_u32_e64 s0, 0x7f800000, v136
                                        ; implicit-def: $vgpr136
	s_and_saveexec_b32 s9, s0
	s_delay_alu instid0(SALU_CYCLE_1)
	s_xor_b32 s0, exec_lo, s9
; %bb.3312:                             ;   in Loop: Header=BB462_1471 Depth=1
	v_bfe_u32 v136, v9, 16, 1
	s_delay_alu instid0(VALU_DEP_1)
	v_add3_u32 v136, v9, v136, 0x7fff
                                        ; implicit-def: $vgpr9
; %bb.3313:                             ;   in Loop: Header=BB462_1471 Depth=1
	s_and_not1_saveexec_b32 s9, s0
; %bb.3314:                             ;   in Loop: Header=BB462_1471 Depth=1
	v_and_b32_e32 v136, 0xffff, v9
	v_or_b32_e32 v137, 0x10000, v9
	s_delay_alu instid0(VALU_DEP_2) | instskip(NEXT) | instid1(VALU_DEP_1)
	v_cmp_eq_u32_e64 s0, 0, v136
	v_cndmask_b32_e64 v136, v137, v9, s0
; %bb.3315:                             ;   in Loop: Header=BB462_1471 Depth=1
	s_or_b32 exec_lo, exec_lo, s9
	v_lshlrev_b32_e32 v3, 16, v3
                                        ; implicit-def: $vgpr137
	s_delay_alu instid0(VALU_DEP_1) | instskip(NEXT) | instid1(VALU_DEP_1)
	v_mul_f32_e32 v3, v96, v3
	v_and_b32_e32 v9, 0x7f800000, v3
	s_delay_alu instid0(VALU_DEP_1) | instskip(NEXT) | instid1(VALU_DEP_1)
	v_cmp_ne_u32_e64 s0, 0x7f800000, v9
	s_and_saveexec_b32 s9, s0
	s_delay_alu instid0(SALU_CYCLE_1)
	s_xor_b32 s0, exec_lo, s9
; %bb.3316:                             ;   in Loop: Header=BB462_1471 Depth=1
	v_bfe_u32 v9, v3, 16, 1
	s_delay_alu instid0(VALU_DEP_1)
	v_add3_u32 v137, v3, v9, 0x7fff
                                        ; implicit-def: $vgpr3
; %bb.3317:                             ;   in Loop: Header=BB462_1471 Depth=1
	s_and_not1_saveexec_b32 s9, s0
; %bb.3318:                             ;   in Loop: Header=BB462_1471 Depth=1
	v_and_b32_e32 v9, 0xffff, v3
	v_or_b32_e32 v137, 0x10000, v3
	s_delay_alu instid0(VALU_DEP_2) | instskip(NEXT) | instid1(VALU_DEP_1)
	v_cmp_eq_u32_e64 s0, 0, v9
	v_cndmask_b32_e64 v137, v137, v3, s0
; %bb.3319:                             ;   in Loop: Header=BB462_1471 Depth=1
	s_or_b32 exec_lo, exec_lo, s9
	v_lshlrev_b32_e32 v2, 16, v2
                                        ; implicit-def: $vgpr138
	s_delay_alu instid0(VALU_DEP_1) | instskip(NEXT) | instid1(VALU_DEP_1)
	v_mul_f32_e32 v2, v97, v2
	v_and_b32_e32 v3, 0x7f800000, v2
	s_delay_alu instid0(VALU_DEP_1) | instskip(NEXT) | instid1(VALU_DEP_1)
	v_cmp_ne_u32_e64 s0, 0x7f800000, v3
	s_and_saveexec_b32 s9, s0
	s_delay_alu instid0(SALU_CYCLE_1)
	s_xor_b32 s0, exec_lo, s9
; %bb.3320:                             ;   in Loop: Header=BB462_1471 Depth=1
	v_bfe_u32 v3, v2, 16, 1
	s_delay_alu instid0(VALU_DEP_1)
	v_add3_u32 v138, v2, v3, 0x7fff
                                        ; implicit-def: $vgpr2
; %bb.3321:                             ;   in Loop: Header=BB462_1471 Depth=1
	s_and_not1_saveexec_b32 s9, s0
; %bb.3322:                             ;   in Loop: Header=BB462_1471 Depth=1
	v_and_b32_e32 v3, 0xffff, v2
	v_or_b32_e32 v9, 0x10000, v2
	s_delay_alu instid0(VALU_DEP_2) | instskip(NEXT) | instid1(VALU_DEP_1)
	v_cmp_eq_u32_e64 s0, 0, v3
	v_cndmask_b32_e64 v138, v9, v2, s0
; %bb.3323:                             ;   in Loop: Header=BB462_1471 Depth=1
	s_or_b32 exec_lo, exec_lo, s9
	flat_load_b64 v[0:1], v[0:1] offset:3584
	s_mov_b32 s9, exec_lo
	s_waitcnt vmcnt(0) lgkmcnt(0)
	v_dual_mov_b32 v2, 0 :: v_dual_and_b32 v3, 0xff, v0
	s_delay_alu instid0(VALU_DEP_1)
	v_cmpx_ne_u16_e32 0, v3
	s_cbranch_execz .LBB462_3331
; %bb.3324:                             ;   in Loop: Header=BB462_1471 Depth=1
	v_bfrev_b32_e32 v2, 1
	s_mov_b32 s12, exec_lo
	v_cmpx_ne_u16_e32 0x80, v3
	s_cbranch_execz .LBB462_3330
; %bb.3325:                             ;   in Loop: Header=BB462_1471 Depth=1
	v_and_b32_e32 v3, 0x7f, v0
	v_mov_b32_e32 v2, 0x7f800001
	s_mov_b32 s13, exec_lo
	s_delay_alu instid0(VALU_DEP_2)
	v_cmpx_ne_u32_e32 0x7f, v3
	s_cbranch_execz .LBB462_3329
; %bb.3326:                             ;   in Loop: Header=BB462_1471 Depth=1
	v_lshrrev_b32_e32 v9, 3, v3
	v_cmp_gt_u32_e64 s0, 8, v3
	v_dual_mov_b32 v3, v1 :: v_dual_mov_b32 v2, v0
	s_delay_alu instid0(VALU_DEP_2)
	s_and_saveexec_b32 s15, s0
; %bb.3327:                             ;   in Loop: Header=BB462_1471 Depth=1
	v_and_b32_e32 v2, 7, v0
	s_delay_alu instid0(VALU_DEP_1) | instskip(NEXT) | instid1(VALU_DEP_1)
	v_clz_i32_u32_e32 v2, v2
	v_min_u32_e32 v9, 32, v2
	s_delay_alu instid0(VALU_DEP_1) | instskip(SKIP_1) | instid1(VALU_DEP_2)
	v_subrev_nc_u32_e32 v2, 28, v9
	v_sub_nc_u32_e32 v9, 29, v9
	v_lshlrev_b64 v[2:3], v2, v[0:1]
; %bb.3328:                             ;   in Loop: Header=BB462_1471 Depth=1
	s_or_b32 exec_lo, exec_lo, s15
	s_delay_alu instid0(VALU_DEP_1) | instskip(SKIP_2) | instid1(VALU_DEP_3)
	v_lshlrev_b32_e32 v2, 20, v2
	v_lshlrev_b32_e32 v3, 24, v0
	v_lshl_add_u32 v9, v9, 23, 0x3c000000
	v_and_b32_e32 v2, 0x700000, v2
	s_delay_alu instid0(VALU_DEP_3) | instskip(NEXT) | instid1(VALU_DEP_1)
	v_and_b32_e32 v3, 0x80000000, v3
	v_or3_b32 v2, v2, v3, v9
.LBB462_3329:                           ;   in Loop: Header=BB462_1471 Depth=1
	s_or_b32 exec_lo, exec_lo, s13
.LBB462_3330:                           ;   in Loop: Header=BB462_1471 Depth=1
	s_delay_alu instid0(SALU_CYCLE_1)
	s_or_b32 exec_lo, exec_lo, s12
.LBB462_3331:                           ;   in Loop: Header=BB462_1471 Depth=1
	s_delay_alu instid0(SALU_CYCLE_1) | instskip(NEXT) | instid1(VALU_DEP_1)
	s_or_b32 exec_lo, exec_lo, s9
	v_mul_f32_e32 v2, v26, v2
                                        ; implicit-def: $vgpr139
	s_delay_alu instid0(VALU_DEP_1) | instskip(NEXT) | instid1(VALU_DEP_1)
	v_and_b32_e32 v3, 0x7f800000, v2
	v_cmp_ne_u32_e64 s0, 0x7f800000, v3
	s_delay_alu instid0(VALU_DEP_1) | instskip(NEXT) | instid1(SALU_CYCLE_1)
	s_and_saveexec_b32 s9, s0
	s_xor_b32 s0, exec_lo, s9
; %bb.3332:                             ;   in Loop: Header=BB462_1471 Depth=1
	v_bfe_u32 v3, v2, 16, 1
	s_delay_alu instid0(VALU_DEP_1)
	v_add3_u32 v139, v2, v3, 0x7fff
                                        ; implicit-def: $vgpr2
; %bb.3333:                             ;   in Loop: Header=BB462_1471 Depth=1
	s_and_not1_saveexec_b32 s9, s0
; %bb.3334:                             ;   in Loop: Header=BB462_1471 Depth=1
	v_and_b32_e32 v3, 0xffff, v2
	v_or_b32_e32 v9, 0x10000, v2
	s_delay_alu instid0(VALU_DEP_2) | instskip(NEXT) | instid1(VALU_DEP_1)
	v_cmp_eq_u32_e64 s0, 0, v3
	v_cndmask_b32_e64 v139, v9, v2, s0
; %bb.3335:                             ;   in Loop: Header=BB462_1471 Depth=1
	s_or_b32 exec_lo, exec_lo, s9
	v_lshrrev_b16 v3, 8, v0
	v_mov_b32_e32 v2, 0
	s_mov_b32 s9, exec_lo
	s_delay_alu instid0(VALU_DEP_2)
	v_cmpx_ne_u16_e32 0, v3
	s_cbranch_execz .LBB462_3343
; %bb.3336:                             ;   in Loop: Header=BB462_1471 Depth=1
	v_bfrev_b32_e32 v2, 1
	s_mov_b32 s12, exec_lo
	v_cmpx_ne_u16_e32 0x80, v3
	s_cbranch_execz .LBB462_3342
; %bb.3337:                             ;   in Loop: Header=BB462_1471 Depth=1
	v_and_b32_e32 v9, 0xffff, v3
	v_mov_b32_e32 v2, 0x7f800001
	s_mov_b32 s13, exec_lo
	s_delay_alu instid0(VALU_DEP_2) | instskip(NEXT) | instid1(VALU_DEP_1)
	v_and_b32_e32 v3, 0x7f, v9
	v_cmpx_ne_u32_e32 0x7f, v3
	s_cbranch_execz .LBB462_3341
; %bb.3338:                             ;   in Loop: Header=BB462_1471 Depth=1
	v_and_b32_e32 v9, 7, v9
	v_lshrrev_b32_e32 v140, 3, v3
	v_cmp_gt_u32_e64 s0, 8, v3
	s_delay_alu instid0(VALU_DEP_3) | instskip(NEXT) | instid1(VALU_DEP_2)
	v_dual_mov_b32 v2, v9 :: v_dual_mov_b32 v3, v10
	s_and_saveexec_b32 s15, s0
; %bb.3339:                             ;   in Loop: Header=BB462_1471 Depth=1
	v_clz_i32_u32_e32 v2, v9
	s_delay_alu instid0(VALU_DEP_1) | instskip(NEXT) | instid1(VALU_DEP_1)
	v_min_u32_e32 v140, 32, v2
	v_subrev_nc_u32_e32 v2, 28, v140
	v_sub_nc_u32_e32 v140, 29, v140
	s_delay_alu instid0(VALU_DEP_2) | instskip(NEXT) | instid1(VALU_DEP_1)
	v_lshlrev_b64 v[2:3], v2, v[9:10]
	v_and_b32_e32 v2, 7, v2
; %bb.3340:                             ;   in Loop: Header=BB462_1471 Depth=1
	s_or_b32 exec_lo, exec_lo, s15
	v_lshlrev_b32_e32 v3, 16, v0
	s_delay_alu instid0(VALU_DEP_2) | instskip(SKIP_1) | instid1(VALU_DEP_3)
	v_lshlrev_b32_e32 v2, 20, v2
	v_lshl_add_u32 v9, v140, 23, 0x3c000000
	v_and_b32_e32 v3, 0x80000000, v3
	s_delay_alu instid0(VALU_DEP_1)
	v_or3_b32 v2, v2, v3, v9
.LBB462_3341:                           ;   in Loop: Header=BB462_1471 Depth=1
	s_or_b32 exec_lo, exec_lo, s13
.LBB462_3342:                           ;   in Loop: Header=BB462_1471 Depth=1
	s_delay_alu instid0(SALU_CYCLE_1)
	s_or_b32 exec_lo, exec_lo, s12
.LBB462_3343:                           ;   in Loop: Header=BB462_1471 Depth=1
	s_delay_alu instid0(SALU_CYCLE_1) | instskip(NEXT) | instid1(VALU_DEP_1)
	s_or_b32 exec_lo, exec_lo, s9
	v_mul_f32_e32 v2, v26, v2
                                        ; implicit-def: $vgpr140
	s_delay_alu instid0(VALU_DEP_1) | instskip(NEXT) | instid1(VALU_DEP_1)
	v_and_b32_e32 v3, 0x7f800000, v2
	v_cmp_ne_u32_e64 s0, 0x7f800000, v3
	s_delay_alu instid0(VALU_DEP_1) | instskip(NEXT) | instid1(SALU_CYCLE_1)
	s_and_saveexec_b32 s9, s0
	s_xor_b32 s0, exec_lo, s9
; %bb.3344:                             ;   in Loop: Header=BB462_1471 Depth=1
	v_bfe_u32 v3, v2, 16, 1
	s_delay_alu instid0(VALU_DEP_1)
	v_add3_u32 v140, v2, v3, 0x7fff
                                        ; implicit-def: $vgpr2
; %bb.3345:                             ;   in Loop: Header=BB462_1471 Depth=1
	s_and_not1_saveexec_b32 s9, s0
; %bb.3346:                             ;   in Loop: Header=BB462_1471 Depth=1
	v_and_b32_e32 v3, 0xffff, v2
	v_or_b32_e32 v9, 0x10000, v2
	s_delay_alu instid0(VALU_DEP_2) | instskip(NEXT) | instid1(VALU_DEP_1)
	v_cmp_eq_u32_e64 s0, 0, v3
	v_cndmask_b32_e64 v140, v9, v2, s0
; %bb.3347:                             ;   in Loop: Header=BB462_1471 Depth=1
	s_or_b32 exec_lo, exec_lo, s9
	v_lshrrev_b32_e32 v141, 16, v0
	s_mov_b32 s9, exec_lo
	s_delay_alu instid0(VALU_DEP_1) | instskip(NEXT) | instid1(VALU_DEP_1)
	v_dual_mov_b32 v2, 0 :: v_dual_and_b32 v3, 0xff, v141
	v_cmpx_ne_u16_e32 0, v3
	s_cbranch_execz .LBB462_3355
; %bb.3348:                             ;   in Loop: Header=BB462_1471 Depth=1
	v_bfrev_b32_e32 v2, 1
	s_mov_b32 s12, exec_lo
	v_cmpx_ne_u16_e32 0x80, v3
	s_cbranch_execz .LBB462_3354
; %bb.3349:                             ;   in Loop: Header=BB462_1471 Depth=1
	v_bfe_u32 v3, v0, 16, 7
	v_mov_b32_e32 v2, 0x7f800001
	s_mov_b32 s13, exec_lo
	s_delay_alu instid0(VALU_DEP_2)
	v_cmpx_ne_u32_e32 0x7f, v3
	s_cbranch_execz .LBB462_3353
; %bb.3350:                             ;   in Loop: Header=BB462_1471 Depth=1
	v_and_b32_e32 v9, 7, v141
	v_lshrrev_b32_e32 v142, 3, v3
	v_cmp_gt_u32_e64 s0, 8, v3
	s_delay_alu instid0(VALU_DEP_3) | instskip(NEXT) | instid1(VALU_DEP_2)
	v_dual_mov_b32 v2, v9 :: v_dual_mov_b32 v3, v10
	s_and_saveexec_b32 s15, s0
; %bb.3351:                             ;   in Loop: Header=BB462_1471 Depth=1
	v_clz_i32_u32_e32 v2, v9
	s_delay_alu instid0(VALU_DEP_1) | instskip(NEXT) | instid1(VALU_DEP_1)
	v_min_u32_e32 v142, 32, v2
	v_subrev_nc_u32_e32 v2, 28, v142
	v_sub_nc_u32_e32 v142, 29, v142
	s_delay_alu instid0(VALU_DEP_2) | instskip(NEXT) | instid1(VALU_DEP_1)
	v_lshlrev_b64 v[2:3], v2, v[9:10]
	v_and_b32_e32 v2, 7, v2
; %bb.3352:                             ;   in Loop: Header=BB462_1471 Depth=1
	s_or_b32 exec_lo, exec_lo, s15
	v_lshlrev_b32_e32 v3, 24, v141
	s_delay_alu instid0(VALU_DEP_2) | instskip(SKIP_1) | instid1(VALU_DEP_3)
	v_lshlrev_b32_e32 v2, 20, v2
	v_lshl_add_u32 v9, v142, 23, 0x3c000000
	v_and_b32_e32 v3, 0x80000000, v3
	s_delay_alu instid0(VALU_DEP_1)
	v_or3_b32 v2, v2, v3, v9
.LBB462_3353:                           ;   in Loop: Header=BB462_1471 Depth=1
	s_or_b32 exec_lo, exec_lo, s13
.LBB462_3354:                           ;   in Loop: Header=BB462_1471 Depth=1
	s_delay_alu instid0(SALU_CYCLE_1)
	s_or_b32 exec_lo, exec_lo, s12
.LBB462_3355:                           ;   in Loop: Header=BB462_1471 Depth=1
	s_delay_alu instid0(SALU_CYCLE_1) | instskip(NEXT) | instid1(VALU_DEP_1)
	s_or_b32 exec_lo, exec_lo, s9
	v_mul_f32_e32 v2, v26, v2
                                        ; implicit-def: $vgpr141
	s_delay_alu instid0(VALU_DEP_1) | instskip(NEXT) | instid1(VALU_DEP_1)
	v_and_b32_e32 v3, 0x7f800000, v2
	v_cmp_ne_u32_e64 s0, 0x7f800000, v3
	s_delay_alu instid0(VALU_DEP_1) | instskip(NEXT) | instid1(SALU_CYCLE_1)
	s_and_saveexec_b32 s9, s0
	s_xor_b32 s0, exec_lo, s9
; %bb.3356:                             ;   in Loop: Header=BB462_1471 Depth=1
	v_bfe_u32 v3, v2, 16, 1
	s_delay_alu instid0(VALU_DEP_1)
	v_add3_u32 v141, v2, v3, 0x7fff
                                        ; implicit-def: $vgpr2
; %bb.3357:                             ;   in Loop: Header=BB462_1471 Depth=1
	s_and_not1_saveexec_b32 s9, s0
; %bb.3358:                             ;   in Loop: Header=BB462_1471 Depth=1
	v_and_b32_e32 v3, 0xffff, v2
	v_or_b32_e32 v9, 0x10000, v2
	s_delay_alu instid0(VALU_DEP_2) | instskip(NEXT) | instid1(VALU_DEP_1)
	v_cmp_eq_u32_e64 s0, 0, v3
	v_cndmask_b32_e64 v141, v9, v2, s0
; %bb.3359:                             ;   in Loop: Header=BB462_1471 Depth=1
	s_or_b32 exec_lo, exec_lo, s9
	v_mov_b32_e32 v2, 0
	s_mov_b32 s9, exec_lo
	v_cmpx_lt_u32_e32 0xffffff, v0
	s_cbranch_execz .LBB462_3367
; %bb.3360:                             ;   in Loop: Header=BB462_1471 Depth=1
	v_lshrrev_b32_e32 v142, 24, v0
	v_bfrev_b32_e32 v2, 1
	s_mov_b32 s12, exec_lo
	s_delay_alu instid0(VALU_DEP_2)
	v_cmpx_ne_u32_e32 0x80, v142
	s_cbranch_execz .LBB462_3366
; %bb.3361:                             ;   in Loop: Header=BB462_1471 Depth=1
	v_bfe_u32 v3, v0, 24, 7
	v_mov_b32_e32 v2, 0x7f800001
	s_mov_b32 s13, exec_lo
	s_delay_alu instid0(VALU_DEP_2)
	v_cmpx_ne_u32_e32 0x7f, v3
	s_cbranch_execz .LBB462_3365
; %bb.3362:                             ;   in Loop: Header=BB462_1471 Depth=1
	v_and_b32_e32 v9, 7, v142
	v_lshrrev_b32_e32 v143, 3, v3
	v_cmp_gt_u32_e64 s0, 8, v3
	s_delay_alu instid0(VALU_DEP_3) | instskip(NEXT) | instid1(VALU_DEP_2)
	v_dual_mov_b32 v2, v9 :: v_dual_mov_b32 v3, v10
	s_and_saveexec_b32 s15, s0
; %bb.3363:                             ;   in Loop: Header=BB462_1471 Depth=1
	v_clz_i32_u32_e32 v2, v9
	s_delay_alu instid0(VALU_DEP_1) | instskip(NEXT) | instid1(VALU_DEP_1)
	v_min_u32_e32 v143, 32, v2
	v_subrev_nc_u32_e32 v2, 28, v143
	v_sub_nc_u32_e32 v143, 29, v143
	s_delay_alu instid0(VALU_DEP_2) | instskip(NEXT) | instid1(VALU_DEP_1)
	v_lshlrev_b64 v[2:3], v2, v[9:10]
	v_and_b32_e32 v2, 7, v2
; %bb.3364:                             ;   in Loop: Header=BB462_1471 Depth=1
	s_or_b32 exec_lo, exec_lo, s15
	v_lshlrev_b32_e32 v3, 24, v142
	s_delay_alu instid0(VALU_DEP_2) | instskip(SKIP_1) | instid1(VALU_DEP_3)
	v_lshlrev_b32_e32 v2, 20, v2
	v_lshl_add_u32 v9, v143, 23, 0x3c000000
	v_and_b32_e32 v3, 0x80000000, v3
	s_delay_alu instid0(VALU_DEP_1)
	v_or3_b32 v2, v2, v3, v9
.LBB462_3365:                           ;   in Loop: Header=BB462_1471 Depth=1
	s_or_b32 exec_lo, exec_lo, s13
.LBB462_3366:                           ;   in Loop: Header=BB462_1471 Depth=1
	s_delay_alu instid0(SALU_CYCLE_1)
	s_or_b32 exec_lo, exec_lo, s12
.LBB462_3367:                           ;   in Loop: Header=BB462_1471 Depth=1
	s_delay_alu instid0(SALU_CYCLE_1) | instskip(NEXT) | instid1(VALU_DEP_1)
	s_or_b32 exec_lo, exec_lo, s9
	v_mul_f32_e32 v2, v26, v2
                                        ; implicit-def: $vgpr142
	s_delay_alu instid0(VALU_DEP_1) | instskip(NEXT) | instid1(VALU_DEP_1)
	v_and_b32_e32 v3, 0x7f800000, v2
	v_cmp_ne_u32_e64 s0, 0x7f800000, v3
	s_delay_alu instid0(VALU_DEP_1) | instskip(NEXT) | instid1(SALU_CYCLE_1)
	s_and_saveexec_b32 s9, s0
	s_xor_b32 s0, exec_lo, s9
; %bb.3368:                             ;   in Loop: Header=BB462_1471 Depth=1
	v_bfe_u32 v3, v2, 16, 1
	s_delay_alu instid0(VALU_DEP_1)
	v_add3_u32 v142, v2, v3, 0x7fff
                                        ; implicit-def: $vgpr2
; %bb.3369:                             ;   in Loop: Header=BB462_1471 Depth=1
	s_and_not1_saveexec_b32 s9, s0
; %bb.3370:                             ;   in Loop: Header=BB462_1471 Depth=1
	v_and_b32_e32 v3, 0xffff, v2
	v_or_b32_e32 v9, 0x10000, v2
	s_delay_alu instid0(VALU_DEP_2) | instskip(NEXT) | instid1(VALU_DEP_1)
	v_cmp_eq_u32_e64 s0, 0, v3
	v_cndmask_b32_e64 v142, v9, v2, s0
; %bb.3371:                             ;   in Loop: Header=BB462_1471 Depth=1
	s_or_b32 exec_lo, exec_lo, s9
	v_dual_mov_b32 v2, 0 :: v_dual_and_b32 v3, 0xff, v1
	v_mov_b32_e32 v9, v1
	s_mov_b32 s9, exec_lo
	s_delay_alu instid0(VALU_DEP_2)
	v_cmpx_ne_u16_e32 0, v3
	s_cbranch_execz .LBB462_3379
; %bb.3372:                             ;   in Loop: Header=BB462_1471 Depth=1
	v_bfrev_b32_e32 v2, 1
	s_mov_b32 s12, exec_lo
	v_cmpx_ne_u16_e32 0x80, v3
	s_cbranch_execz .LBB462_3378
; %bb.3373:                             ;   in Loop: Header=BB462_1471 Depth=1
	v_and_b32_e32 v3, 0x7f, v1
	v_mov_b32_e32 v2, 0x7f800001
	s_mov_b32 s13, exec_lo
	s_delay_alu instid0(VALU_DEP_2)
	v_cmpx_ne_u32_e32 0x7f, v3
	s_cbranch_execz .LBB462_3377
; %bb.3374:                             ;   in Loop: Header=BB462_1471 Depth=1
	v_lshrrev_b32_e32 v143, 3, v3
	v_cmp_gt_u32_e64 s0, 8, v3
	v_dual_mov_b32 v2, v9 :: v_dual_mov_b32 v3, v10
	s_delay_alu instid0(VALU_DEP_2)
	s_and_saveexec_b32 s15, s0
; %bb.3375:                             ;   in Loop: Header=BB462_1471 Depth=1
	v_and_b32_e32 v2, 7, v1
	s_delay_alu instid0(VALU_DEP_1) | instskip(NEXT) | instid1(VALU_DEP_1)
	v_clz_i32_u32_e32 v2, v2
	v_min_u32_e32 v143, 32, v2
	s_delay_alu instid0(VALU_DEP_1) | instskip(SKIP_1) | instid1(VALU_DEP_2)
	v_subrev_nc_u32_e32 v2, 28, v143
	v_sub_nc_u32_e32 v143, 29, v143
	v_lshlrev_b64 v[2:3], v2, v[9:10]
; %bb.3376:                             ;   in Loop: Header=BB462_1471 Depth=1
	s_or_b32 exec_lo, exec_lo, s15
	s_delay_alu instid0(VALU_DEP_1) | instskip(SKIP_2) | instid1(VALU_DEP_3)
	v_lshlrev_b32_e32 v2, 20, v2
	v_lshlrev_b32_e32 v3, 24, v9
	v_lshl_add_u32 v143, v143, 23, 0x3c000000
	v_and_b32_e32 v2, 0x700000, v2
	s_delay_alu instid0(VALU_DEP_3) | instskip(NEXT) | instid1(VALU_DEP_1)
	v_and_b32_e32 v3, 0x80000000, v3
	v_or3_b32 v2, v2, v3, v143
.LBB462_3377:                           ;   in Loop: Header=BB462_1471 Depth=1
	s_or_b32 exec_lo, exec_lo, s13
.LBB462_3378:                           ;   in Loop: Header=BB462_1471 Depth=1
	s_delay_alu instid0(SALU_CYCLE_1)
	s_or_b32 exec_lo, exec_lo, s12
.LBB462_3379:                           ;   in Loop: Header=BB462_1471 Depth=1
	s_delay_alu instid0(SALU_CYCLE_1) | instskip(NEXT) | instid1(VALU_DEP_1)
	s_or_b32 exec_lo, exec_lo, s9
	v_mul_f32_e32 v2, v26, v2
                                        ; implicit-def: $vgpr143
	s_delay_alu instid0(VALU_DEP_1) | instskip(NEXT) | instid1(VALU_DEP_1)
	v_and_b32_e32 v3, 0x7f800000, v2
	v_cmp_ne_u32_e64 s0, 0x7f800000, v3
	s_delay_alu instid0(VALU_DEP_1) | instskip(NEXT) | instid1(SALU_CYCLE_1)
	s_and_saveexec_b32 s9, s0
	s_xor_b32 s0, exec_lo, s9
; %bb.3380:                             ;   in Loop: Header=BB462_1471 Depth=1
	v_bfe_u32 v3, v2, 16, 1
	s_delay_alu instid0(VALU_DEP_1)
	v_add3_u32 v143, v2, v3, 0x7fff
                                        ; implicit-def: $vgpr2
; %bb.3381:                             ;   in Loop: Header=BB462_1471 Depth=1
	s_and_not1_saveexec_b32 s9, s0
; %bb.3382:                             ;   in Loop: Header=BB462_1471 Depth=1
	v_and_b32_e32 v3, 0xffff, v2
	v_or_b32_e32 v143, 0x10000, v2
	s_delay_alu instid0(VALU_DEP_2) | instskip(NEXT) | instid1(VALU_DEP_1)
	v_cmp_eq_u32_e64 s0, 0, v3
	v_cndmask_b32_e64 v143, v143, v2, s0
; %bb.3383:                             ;   in Loop: Header=BB462_1471 Depth=1
	s_or_b32 exec_lo, exec_lo, s9
	v_lshrrev_b16 v3, 8, v9
	v_mov_b32_e32 v2, 0
	s_mov_b32 s9, exec_lo
	s_delay_alu instid0(VALU_DEP_2)
	v_cmpx_ne_u16_e32 0, v3
	s_cbranch_execz .LBB462_3391
; %bb.3384:                             ;   in Loop: Header=BB462_1471 Depth=1
	v_bfrev_b32_e32 v2, 1
	s_mov_b32 s12, exec_lo
	v_cmpx_ne_u16_e32 0x80, v3
	s_cbranch_execz .LBB462_3390
; %bb.3385:                             ;   in Loop: Header=BB462_1471 Depth=1
	v_and_b32_e32 v3, 0xffff, v3
	v_mov_b32_e32 v2, 0x7f800001
	s_mov_b32 s13, exec_lo
	s_delay_alu instid0(VALU_DEP_2) | instskip(NEXT) | instid1(VALU_DEP_1)
	v_and_b32_e32 v153, 0x7f, v3
	v_cmpx_ne_u32_e32 0x7f, v153
	s_cbranch_execz .LBB462_3389
; %bb.3386:                             ;   in Loop: Header=BB462_1471 Depth=1
	v_dual_mov_b32 v3, v10 :: v_dual_and_b32 v2, 7, v3
	v_lshrrev_b32_e32 v152, 3, v153
	s_mov_b32 s15, exec_lo
	v_cmpx_gt_u32_e32 8, v153
; %bb.3387:                             ;   in Loop: Header=BB462_1471 Depth=1
	s_delay_alu instid0(VALU_DEP_3) | instskip(NEXT) | instid1(VALU_DEP_1)
	v_clz_i32_u32_e32 v152, v2
	v_min_u32_e32 v152, 32, v152
	s_delay_alu instid0(VALU_DEP_1) | instskip(SKIP_1) | instid1(VALU_DEP_2)
	v_subrev_nc_u32_e32 v153, 28, v152
	v_sub_nc_u32_e32 v152, 29, v152
	v_lshlrev_b64 v[2:3], v153, v[2:3]
	s_delay_alu instid0(VALU_DEP_1)
	v_and_b32_e32 v2, 7, v2
; %bb.3388:                             ;   in Loop: Header=BB462_1471 Depth=1
	s_or_b32 exec_lo, exec_lo, s15
	v_lshlrev_b32_e32 v3, 16, v9
	s_delay_alu instid0(VALU_DEP_2) | instskip(SKIP_1) | instid1(VALU_DEP_3)
	v_lshlrev_b32_e32 v2, 20, v2
	v_lshl_add_u32 v9, v152, 23, 0x3c000000
	v_and_b32_e32 v3, 0x80000000, v3
	s_delay_alu instid0(VALU_DEP_1)
	v_or3_b32 v2, v2, v3, v9
.LBB462_3389:                           ;   in Loop: Header=BB462_1471 Depth=1
	s_or_b32 exec_lo, exec_lo, s13
.LBB462_3390:                           ;   in Loop: Header=BB462_1471 Depth=1
	s_delay_alu instid0(SALU_CYCLE_1)
	s_or_b32 exec_lo, exec_lo, s12
.LBB462_3391:                           ;   in Loop: Header=BB462_1471 Depth=1
	s_delay_alu instid0(SALU_CYCLE_1) | instskip(NEXT) | instid1(VALU_DEP_1)
	s_or_b32 exec_lo, exec_lo, s9
	v_mul_f32_e32 v2, v26, v2
                                        ; implicit-def: $vgpr152
	s_delay_alu instid0(VALU_DEP_1) | instskip(NEXT) | instid1(VALU_DEP_1)
	v_and_b32_e32 v3, 0x7f800000, v2
	v_cmp_ne_u32_e64 s0, 0x7f800000, v3
	s_delay_alu instid0(VALU_DEP_1) | instskip(NEXT) | instid1(SALU_CYCLE_1)
	s_and_saveexec_b32 s9, s0
	s_xor_b32 s0, exec_lo, s9
; %bb.3392:                             ;   in Loop: Header=BB462_1471 Depth=1
	v_bfe_u32 v3, v2, 16, 1
	s_delay_alu instid0(VALU_DEP_1)
	v_add3_u32 v152, v2, v3, 0x7fff
                                        ; implicit-def: $vgpr2
; %bb.3393:                             ;   in Loop: Header=BB462_1471 Depth=1
	s_and_not1_saveexec_b32 s9, s0
; %bb.3394:                             ;   in Loop: Header=BB462_1471 Depth=1
	v_and_b32_e32 v3, 0xffff, v2
	v_or_b32_e32 v9, 0x10000, v2
	s_delay_alu instid0(VALU_DEP_2) | instskip(NEXT) | instid1(VALU_DEP_1)
	v_cmp_eq_u32_e64 s0, 0, v3
	v_cndmask_b32_e64 v152, v9, v2, s0
; %bb.3395:                             ;   in Loop: Header=BB462_1471 Depth=1
	s_or_b32 exec_lo, exec_lo, s9
	v_lshrrev_b32_e32 v153, 16, v1
	s_mov_b32 s9, exec_lo
	s_delay_alu instid0(VALU_DEP_1) | instskip(NEXT) | instid1(VALU_DEP_1)
	v_dual_mov_b32 v2, 0 :: v_dual_and_b32 v3, 0xff, v153
	v_cmpx_ne_u16_e32 0, v3
	s_cbranch_execz .LBB462_3403
; %bb.3396:                             ;   in Loop: Header=BB462_1471 Depth=1
	v_bfrev_b32_e32 v2, 1
	s_mov_b32 s12, exec_lo
	v_cmpx_ne_u16_e32 0x80, v3
	s_cbranch_execz .LBB462_3402
; %bb.3397:                             ;   in Loop: Header=BB462_1471 Depth=1
	v_bfe_u32 v3, v1, 16, 7
	v_mov_b32_e32 v2, 0x7f800001
	s_mov_b32 s13, exec_lo
	s_delay_alu instid0(VALU_DEP_2)
	v_cmpx_ne_u32_e32 0x7f, v3
	s_cbranch_execz .LBB462_3401
; %bb.3398:                             ;   in Loop: Header=BB462_1471 Depth=1
	v_and_b32_e32 v9, 7, v153
	v_lshrrev_b32_e32 v154, 3, v3
	v_cmp_gt_u32_e64 s0, 8, v3
	s_delay_alu instid0(VALU_DEP_3) | instskip(NEXT) | instid1(VALU_DEP_2)
	v_dual_mov_b32 v2, v9 :: v_dual_mov_b32 v3, v10
	s_and_saveexec_b32 s15, s0
; %bb.3399:                             ;   in Loop: Header=BB462_1471 Depth=1
	v_clz_i32_u32_e32 v2, v9
	s_delay_alu instid0(VALU_DEP_1) | instskip(NEXT) | instid1(VALU_DEP_1)
	v_min_u32_e32 v154, 32, v2
	v_subrev_nc_u32_e32 v2, 28, v154
	v_sub_nc_u32_e32 v154, 29, v154
	s_delay_alu instid0(VALU_DEP_2) | instskip(NEXT) | instid1(VALU_DEP_1)
	v_lshlrev_b64 v[2:3], v2, v[9:10]
	v_and_b32_e32 v2, 7, v2
; %bb.3400:                             ;   in Loop: Header=BB462_1471 Depth=1
	s_or_b32 exec_lo, exec_lo, s15
	v_lshlrev_b32_e32 v3, 24, v153
	s_delay_alu instid0(VALU_DEP_2) | instskip(SKIP_1) | instid1(VALU_DEP_3)
	v_lshlrev_b32_e32 v2, 20, v2
	v_lshl_add_u32 v9, v154, 23, 0x3c000000
	v_and_b32_e32 v3, 0x80000000, v3
	s_delay_alu instid0(VALU_DEP_1)
	v_or3_b32 v2, v2, v3, v9
.LBB462_3401:                           ;   in Loop: Header=BB462_1471 Depth=1
	s_or_b32 exec_lo, exec_lo, s13
.LBB462_3402:                           ;   in Loop: Header=BB462_1471 Depth=1
	s_delay_alu instid0(SALU_CYCLE_1)
	s_or_b32 exec_lo, exec_lo, s12
.LBB462_3403:                           ;   in Loop: Header=BB462_1471 Depth=1
	s_delay_alu instid0(SALU_CYCLE_1) | instskip(NEXT) | instid1(VALU_DEP_1)
	s_or_b32 exec_lo, exec_lo, s9
	v_mul_f32_e32 v3, v26, v2
	s_delay_alu instid0(VALU_DEP_1) | instskip(NEXT) | instid1(VALU_DEP_1)
	v_and_b32_e32 v2, 0x7f800000, v3
	v_cmp_ne_u32_e64 s0, 0x7f800000, v2
                                        ; implicit-def: $vgpr2
	s_delay_alu instid0(VALU_DEP_1) | instskip(NEXT) | instid1(SALU_CYCLE_1)
	s_and_saveexec_b32 s9, s0
	s_xor_b32 s0, exec_lo, s9
; %bb.3404:                             ;   in Loop: Header=BB462_1471 Depth=1
	v_bfe_u32 v2, v3, 16, 1
	s_delay_alu instid0(VALU_DEP_1)
	v_add3_u32 v2, v3, v2, 0x7fff
                                        ; implicit-def: $vgpr3
; %bb.3405:                             ;   in Loop: Header=BB462_1471 Depth=1
	s_and_not1_saveexec_b32 s9, s0
; %bb.3406:                             ;   in Loop: Header=BB462_1471 Depth=1
	v_and_b32_e32 v2, 0xffff, v3
	v_or_b32_e32 v9, 0x10000, v3
	s_delay_alu instid0(VALU_DEP_2) | instskip(NEXT) | instid1(VALU_DEP_1)
	v_cmp_eq_u32_e64 s0, 0, v2
	v_cndmask_b32_e64 v2, v9, v3, s0
; %bb.3407:                             ;   in Loop: Header=BB462_1471 Depth=1
	s_or_b32 exec_lo, exec_lo, s9
	v_cmp_lt_u64_e64 s0, s[2:3], v[0:1]
	v_mov_b32_e32 v0, 0
	s_delay_alu instid0(VALU_DEP_2)
	s_and_saveexec_b32 s9, s0
	s_cbranch_execz .LBB462_3415
; %bb.3408:                             ;   in Loop: Header=BB462_1471 Depth=1
	v_lshrrev_b32_e32 v3, 24, v1
	v_bfrev_b32_e32 v0, 1
	s_mov_b32 s12, exec_lo
	s_delay_alu instid0(VALU_DEP_2)
	v_cmpx_ne_u32_e32 0x80, v3
	s_cbranch_execz .LBB462_3414
; %bb.3409:                             ;   in Loop: Header=BB462_1471 Depth=1
	v_bfe_u32 v1, v1, 24, 7
	v_mov_b32_e32 v0, 0x7f800001
	s_mov_b32 s13, exec_lo
	s_delay_alu instid0(VALU_DEP_2)
	v_cmpx_ne_u32_e32 0x7f, v1
	s_cbranch_execz .LBB462_3413
; %bb.3410:                             ;   in Loop: Header=BB462_1471 Depth=1
	v_and_b32_e32 v9, 7, v3
	v_lshrrev_b32_e32 v153, 3, v1
	v_cmp_gt_u32_e64 s0, 8, v1
	s_delay_alu instid0(VALU_DEP_3) | instskip(NEXT) | instid1(VALU_DEP_2)
	v_dual_mov_b32 v0, v9 :: v_dual_mov_b32 v1, v10
	s_and_saveexec_b32 s15, s0
; %bb.3411:                             ;   in Loop: Header=BB462_1471 Depth=1
	v_clz_i32_u32_e32 v0, v9
	s_delay_alu instid0(VALU_DEP_1) | instskip(NEXT) | instid1(VALU_DEP_1)
	v_min_u32_e32 v153, 32, v0
	v_subrev_nc_u32_e32 v0, 28, v153
	v_sub_nc_u32_e32 v153, 29, v153
	s_delay_alu instid0(VALU_DEP_2) | instskip(NEXT) | instid1(VALU_DEP_1)
	v_lshlrev_b64 v[0:1], v0, v[9:10]
	v_and_b32_e32 v0, 7, v0
; %bb.3412:                             ;   in Loop: Header=BB462_1471 Depth=1
	s_or_b32 exec_lo, exec_lo, s15
	v_lshlrev_b32_e32 v1, 24, v3
	s_delay_alu instid0(VALU_DEP_2) | instskip(SKIP_1) | instid1(VALU_DEP_3)
	v_lshlrev_b32_e32 v0, 20, v0
	v_lshl_add_u32 v3, v153, 23, 0x3c000000
	v_and_b32_e32 v1, 0x80000000, v1
	s_delay_alu instid0(VALU_DEP_1)
	v_or3_b32 v0, v0, v1, v3
.LBB462_3413:                           ;   in Loop: Header=BB462_1471 Depth=1
	s_or_b32 exec_lo, exec_lo, s13
.LBB462_3414:                           ;   in Loop: Header=BB462_1471 Depth=1
	s_delay_alu instid0(SALU_CYCLE_1)
	s_or_b32 exec_lo, exec_lo, s12
.LBB462_3415:                           ;   in Loop: Header=BB462_1471 Depth=1
	s_delay_alu instid0(SALU_CYCLE_1) | instskip(NEXT) | instid1(VALU_DEP_1)
	s_or_b32 exec_lo, exec_lo, s9
	v_mul_f32_e32 v0, v26, v0
                                        ; implicit-def: $vgpr153
	s_delay_alu instid0(VALU_DEP_1) | instskip(NEXT) | instid1(VALU_DEP_1)
	v_and_b32_e32 v1, 0x7f800000, v0
	v_cmp_ne_u32_e64 s0, 0x7f800000, v1
	s_delay_alu instid0(VALU_DEP_1) | instskip(NEXT) | instid1(SALU_CYCLE_1)
	s_and_saveexec_b32 s9, s0
	s_xor_b32 s0, exec_lo, s9
; %bb.3416:                             ;   in Loop: Header=BB462_1471 Depth=1
	v_bfe_u32 v1, v0, 16, 1
	s_delay_alu instid0(VALU_DEP_1)
	v_add3_u32 v153, v0, v1, 0x7fff
                                        ; implicit-def: $vgpr0
; %bb.3417:                             ;   in Loop: Header=BB462_1471 Depth=1
	s_and_not1_saveexec_b32 s9, s0
; %bb.3418:                             ;   in Loop: Header=BB462_1471 Depth=1
	v_and_b32_e32 v1, 0xffff, v0
	v_or_b32_e32 v3, 0x10000, v0
	s_delay_alu instid0(VALU_DEP_2) | instskip(NEXT) | instid1(VALU_DEP_1)
	v_cmp_eq_u32_e64 s0, 0, v1
	v_cndmask_b32_e64 v153, v3, v0, s0
; %bb.3419:                             ;   in Loop: Header=BB462_1471 Depth=1
	s_or_b32 exec_lo, exec_lo, s9
	v_lshrrev_b32_e32 v152, 16, v152
	v_lshrrev_b32_e32 v9, 16, v143
	;; [unrolled: 1-line block ×8, first 2 shown]
	s_and_saveexec_b32 s0, vcc_lo
	s_cbranch_execz .LBB462_3421
; %bb.3420:                             ;   in Loop: Header=BB462_1471 Depth=1
	v_cmp_lt_i32_e32 vcc_lo, v67, v36
	v_cndmask_b32_e32 v0, 0, v0, vcc_lo
	v_cmp_lt_i32_e32 vcc_lo, v81, v36
	v_cndmask_b32_e32 v1, 0, v1, vcc_lo
	;; [unrolled: 2-line block ×8, first 2 shown]
.LBB462_3421:                           ;   in Loop: Header=BB462_1471 Depth=1
	s_or_b32 exec_lo, exec_lo, s0
	v_lshlrev_b32_e32 v0, 16, v0
	s_delay_alu instid0(VALU_DEP_1) | instskip(NEXT) | instid1(VALU_DEP_1)
	v_mul_f32_e32 v2, v82, v0
	v_and_b32_e32 v0, 0x7f800000, v2
	s_delay_alu instid0(VALU_DEP_1) | instskip(SKIP_1) | instid1(SALU_CYCLE_1)
	v_cmp_ne_u32_e32 vcc_lo, 0x7f800000, v0
                                        ; implicit-def: $vgpr0
	s_and_saveexec_b32 s0, vcc_lo
	s_xor_b32 s0, exec_lo, s0
; %bb.3422:                             ;   in Loop: Header=BB462_1471 Depth=1
	v_bfe_u32 v0, v2, 16, 1
	s_delay_alu instid0(VALU_DEP_1)
	v_add3_u32 v0, v2, v0, 0x7fff
                                        ; implicit-def: $vgpr2
; %bb.3423:                             ;   in Loop: Header=BB462_1471 Depth=1
	s_and_not1_saveexec_b32 s0, s0
; %bb.3424:                             ;   in Loop: Header=BB462_1471 Depth=1
	v_and_b32_e32 v0, 0xffff, v2
	v_or_b32_e32 v67, 0x10000, v2
	s_delay_alu instid0(VALU_DEP_2) | instskip(NEXT) | instid1(VALU_DEP_2)
	v_cmp_eq_u32_e32 vcc_lo, 0, v0
	v_cndmask_b32_e32 v0, v67, v2, vcc_lo
; %bb.3425:                             ;   in Loop: Header=BB462_1471 Depth=1
	s_or_b32 exec_lo, exec_lo, s0
	v_lshlrev_b32_e32 v1, 16, v1
	s_delay_alu instid0(VALU_DEP_1) | instskip(NEXT) | instid1(VALU_DEP_1)
	v_mul_f32_e32 v2, v83, v1
	v_and_b32_e32 v1, 0x7f800000, v2
	s_delay_alu instid0(VALU_DEP_1) | instskip(SKIP_1) | instid1(SALU_CYCLE_1)
	v_cmp_ne_u32_e32 vcc_lo, 0x7f800000, v1
                                        ; implicit-def: $vgpr1
	s_and_saveexec_b32 s0, vcc_lo
	s_xor_b32 s0, exec_lo, s0
; %bb.3426:                             ;   in Loop: Header=BB462_1471 Depth=1
	v_bfe_u32 v1, v2, 16, 1
	s_delay_alu instid0(VALU_DEP_1)
	v_add3_u32 v1, v2, v1, 0x7fff
                                        ; implicit-def: $vgpr2
; %bb.3427:                             ;   in Loop: Header=BB462_1471 Depth=1
	s_and_not1_saveexec_b32 s0, s0
; %bb.3428:                             ;   in Loop: Header=BB462_1471 Depth=1
	v_and_b32_e32 v1, 0xffff, v2
	v_or_b32_e32 v67, 0x10000, v2
	s_delay_alu instid0(VALU_DEP_2) | instskip(NEXT) | instid1(VALU_DEP_2)
	v_cmp_eq_u32_e32 vcc_lo, 0, v1
	v_cndmask_b32_e32 v1, v67, v2, vcc_lo
; %bb.3429:                             ;   in Loop: Header=BB462_1471 Depth=1
	s_or_b32 exec_lo, exec_lo, s0
	v_lshlrev_b32_e32 v2, 16, v141
	s_delay_alu instid0(VALU_DEP_1) | instskip(NEXT) | instid1(VALU_DEP_1)
	v_mul_f32_e32 v67, v84, v2
	v_and_b32_e32 v2, 0x7f800000, v67
	s_delay_alu instid0(VALU_DEP_1) | instskip(SKIP_1) | instid1(SALU_CYCLE_1)
	v_cmp_ne_u32_e32 vcc_lo, 0x7f800000, v2
                                        ; implicit-def: $vgpr2
	s_and_saveexec_b32 s0, vcc_lo
	s_xor_b32 s0, exec_lo, s0
; %bb.3430:                             ;   in Loop: Header=BB462_1471 Depth=1
	v_bfe_u32 v2, v67, 16, 1
	s_delay_alu instid0(VALU_DEP_1)
	v_add3_u32 v2, v67, v2, 0x7fff
                                        ; implicit-def: $vgpr67
; %bb.3431:                             ;   in Loop: Header=BB462_1471 Depth=1
	s_and_not1_saveexec_b32 s0, s0
; %bb.3432:                             ;   in Loop: Header=BB462_1471 Depth=1
	v_and_b32_e32 v2, 0xffff, v67
	v_or_b32_e32 v68, 0x10000, v67
	s_delay_alu instid0(VALU_DEP_2) | instskip(NEXT) | instid1(VALU_DEP_2)
	v_cmp_eq_u32_e32 vcc_lo, 0, v2
	v_cndmask_b32_e32 v2, v68, v67, vcc_lo
; %bb.3433:                             ;   in Loop: Header=BB462_1471 Depth=1
	s_or_b32 exec_lo, exec_lo, s0
	v_lshlrev_b32_e32 v3, 16, v3
	s_delay_alu instid0(VALU_DEP_1) | instskip(NEXT) | instid1(VALU_DEP_1)
	v_mul_f32_e32 v67, v85, v3
	v_and_b32_e32 v3, 0x7f800000, v67
	s_delay_alu instid0(VALU_DEP_1) | instskip(SKIP_1) | instid1(SALU_CYCLE_1)
	v_cmp_ne_u32_e32 vcc_lo, 0x7f800000, v3
                                        ; implicit-def: $vgpr3
	s_and_saveexec_b32 s0, vcc_lo
	s_xor_b32 s0, exec_lo, s0
; %bb.3434:                             ;   in Loop: Header=BB462_1471 Depth=1
	v_bfe_u32 v3, v67, 16, 1
	s_delay_alu instid0(VALU_DEP_1)
	v_add3_u32 v3, v67, v3, 0x7fff
                                        ; implicit-def: $vgpr67
; %bb.3435:                             ;   in Loop: Header=BB462_1471 Depth=1
	s_and_not1_saveexec_b32 s0, s0
; %bb.3436:                             ;   in Loop: Header=BB462_1471 Depth=1
	v_and_b32_e32 v3, 0xffff, v67
	v_or_b32_e32 v68, 0x10000, v67
	s_delay_alu instid0(VALU_DEP_2) | instskip(NEXT) | instid1(VALU_DEP_2)
	v_cmp_eq_u32_e32 vcc_lo, 0, v3
	v_cndmask_b32_e32 v3, v68, v67, vcc_lo
; %bb.3437:                             ;   in Loop: Header=BB462_1471 Depth=1
	s_or_b32 exec_lo, exec_lo, s0
	v_lshlrev_b32_e32 v9, 16, v9
	s_delay_alu instid0(VALU_DEP_1) | instskip(NEXT) | instid1(VALU_DEP_1)
	v_mul_f32_e32 v67, v86, v9
	v_and_b32_e32 v9, 0x7f800000, v67
	s_delay_alu instid0(VALU_DEP_1) | instskip(SKIP_1) | instid1(SALU_CYCLE_1)
	v_cmp_ne_u32_e32 vcc_lo, 0x7f800000, v9
                                        ; implicit-def: $vgpr9
	s_and_saveexec_b32 s0, vcc_lo
	s_xor_b32 s0, exec_lo, s0
; %bb.3438:                             ;   in Loop: Header=BB462_1471 Depth=1
	v_bfe_u32 v9, v67, 16, 1
	s_delay_alu instid0(VALU_DEP_1)
	v_add3_u32 v9, v67, v9, 0x7fff
                                        ; implicit-def: $vgpr67
; %bb.3439:                             ;   in Loop: Header=BB462_1471 Depth=1
	s_and_not1_saveexec_b32 s0, s0
; %bb.3440:                             ;   in Loop: Header=BB462_1471 Depth=1
	v_and_b32_e32 v9, 0xffff, v67
	v_or_b32_e32 v68, 0x10000, v67
	s_delay_alu instid0(VALU_DEP_2) | instskip(NEXT) | instid1(VALU_DEP_2)
	v_cmp_eq_u32_e32 vcc_lo, 0, v9
	v_cndmask_b32_e32 v9, v68, v67, vcc_lo
; %bb.3441:                             ;   in Loop: Header=BB462_1471 Depth=1
	s_or_b32 exec_lo, exec_lo, s0
	v_lshlrev_b32_e32 v67, 16, v152
	s_delay_alu instid0(VALU_DEP_1) | instskip(NEXT) | instid1(VALU_DEP_1)
	v_mul_f32_e32 v68, v87, v67
	v_and_b32_e32 v67, 0x7f800000, v68
	s_delay_alu instid0(VALU_DEP_1) | instskip(SKIP_1) | instid1(SALU_CYCLE_1)
	v_cmp_ne_u32_e32 vcc_lo, 0x7f800000, v67
                                        ; implicit-def: $vgpr67
	s_and_saveexec_b32 s0, vcc_lo
	s_xor_b32 s0, exec_lo, s0
; %bb.3442:                             ;   in Loop: Header=BB462_1471 Depth=1
	v_bfe_u32 v67, v68, 16, 1
	s_delay_alu instid0(VALU_DEP_1)
	v_add3_u32 v67, v68, v67, 0x7fff
                                        ; implicit-def: $vgpr68
; %bb.3443:                             ;   in Loop: Header=BB462_1471 Depth=1
	s_and_not1_saveexec_b32 s0, s0
; %bb.3444:                             ;   in Loop: Header=BB462_1471 Depth=1
	v_and_b32_e32 v67, 0xffff, v68
	v_or_b32_e32 v69, 0x10000, v68
	s_delay_alu instid0(VALU_DEP_2) | instskip(NEXT) | instid1(VALU_DEP_2)
	v_cmp_eq_u32_e32 vcc_lo, 0, v67
	v_cndmask_b32_e32 v67, v69, v68, vcc_lo
; %bb.3445:                             ;   in Loop: Header=BB462_1471 Depth=1
	s_or_b32 exec_lo, exec_lo, s0
	v_lshlrev_b32_e32 v68, 16, v140
	s_delay_alu instid0(VALU_DEP_1) | instskip(NEXT) | instid1(VALU_DEP_1)
	v_mul_f32_e32 v69, v96, v68
	v_and_b32_e32 v68, 0x7f800000, v69
	s_delay_alu instid0(VALU_DEP_1) | instskip(SKIP_1) | instid1(SALU_CYCLE_1)
	v_cmp_ne_u32_e32 vcc_lo, 0x7f800000, v68
                                        ; implicit-def: $vgpr68
	s_and_saveexec_b32 s0, vcc_lo
	s_xor_b32 s0, exec_lo, s0
; %bb.3446:                             ;   in Loop: Header=BB462_1471 Depth=1
	v_bfe_u32 v68, v69, 16, 1
	s_delay_alu instid0(VALU_DEP_1)
	v_add3_u32 v68, v69, v68, 0x7fff
                                        ; implicit-def: $vgpr69
; %bb.3447:                             ;   in Loop: Header=BB462_1471 Depth=1
	s_and_not1_saveexec_b32 s0, s0
; %bb.3448:                             ;   in Loop: Header=BB462_1471 Depth=1
	v_and_b32_e32 v68, 0xffff, v69
	v_or_b32_e32 v70, 0x10000, v69
	s_delay_alu instid0(VALU_DEP_2) | instskip(NEXT) | instid1(VALU_DEP_2)
	v_cmp_eq_u32_e32 vcc_lo, 0, v68
	v_cndmask_b32_e32 v68, v70, v69, vcc_lo
; %bb.3449:                             ;   in Loop: Header=BB462_1471 Depth=1
	s_or_b32 exec_lo, exec_lo, s0
	v_lshlrev_b32_e32 v69, 16, v139
	s_delay_alu instid0(VALU_DEP_1) | instskip(NEXT) | instid1(VALU_DEP_1)
	v_mul_f32_e32 v70, v97, v69
	v_and_b32_e32 v69, 0x7f800000, v70
	s_delay_alu instid0(VALU_DEP_1) | instskip(SKIP_1) | instid1(SALU_CYCLE_1)
	v_cmp_ne_u32_e32 vcc_lo, 0x7f800000, v69
                                        ; implicit-def: $vgpr69
	s_and_saveexec_b32 s0, vcc_lo
	s_xor_b32 s0, exec_lo, s0
; %bb.3450:                             ;   in Loop: Header=BB462_1471 Depth=1
	v_bfe_u32 v69, v70, 16, 1
	s_delay_alu instid0(VALU_DEP_1)
	v_add3_u32 v69, v70, v69, 0x7fff
                                        ; implicit-def: $vgpr70
; %bb.3451:                             ;   in Loop: Header=BB462_1471 Depth=1
	s_and_not1_saveexec_b32 s0, s0
	s_cbranch_execz .LBB462_1470
; %bb.3452:                             ;   in Loop: Header=BB462_1471 Depth=1
	v_and_b32_e32 v69, 0xffff, v70
	v_or_b32_e32 v71, 0x10000, v70
	s_delay_alu instid0(VALU_DEP_2) | instskip(NEXT) | instid1(VALU_DEP_2)
	v_cmp_eq_u32_e32 vcc_lo, 0, v69
	v_cndmask_b32_e32 v69, v71, v70, vcc_lo
	s_branch .LBB462_1470
.LBB462_3453:
	s_or_b32 exec_lo, exec_lo, s8
	v_dual_mov_b32 v0, s10 :: v_dual_mov_b32 v1, s11
.LBB462_3454:
	s_or_b32 exec_lo, exec_lo, s7
	s_delay_alu instid0(VALU_DEP_1)
	v_lshlrev_b64 v[0:1], 2, v[0:1]
	s_getpc_b64 s[2:3]
	s_add_u32 s2, s2, llvm.amdgcn.dynlds.offset.table@rel32@lo+4
	s_addc_u32 s3, s3, llvm.amdgcn.dynlds.offset.table@rel32@hi+12
	s_waitcnt lgkmcnt(0)
	s_waitcnt_vscnt null, 0x0
	s_barrier
	buffer_gl0_inv
	ds_bpermute_b32 v6, v19, v33
	v_add_co_u32 v0, vcc_lo, v0, s2
	v_add_co_ci_u32_e32 v1, vcc_lo, s3, v1, vcc_lo
	ds_bpermute_b32 v7, v19, v32
	ds_bpermute_b32 v8, v19, v31
	;; [unrolled: 1-line block ×3, first 2 shown]
	global_load_b32 v16, v[0:1], off
	ds_bpermute_b32 v0, v19, v48
	ds_bpermute_b32 v1, v19, v51
	;; [unrolled: 1-line block ×11, first 2 shown]
	s_waitcnt lgkmcnt(13)
	v_dual_add_f32 v6, v33, v6 :: v_dual_add_f32 v7, v32, v7
	s_waitcnt lgkmcnt(11)
	v_dual_add_f32 v8, v31, v8 :: v_dual_add_f32 v17, v30, v9
	ds_bpermute_b32 v27, v18, v6
	s_waitcnt lgkmcnt(10)
	v_dual_add_f32 v0, v48, v0 :: v_dual_add_f32 v15, v51, v1
	s_waitcnt lgkmcnt(8)
	v_dual_add_f32 v19, v29, v10 :: v_dual_add_f32 v22, v28, v11
	ds_bpermute_b32 v28, v18, v7
	ds_bpermute_b32 v9, v18, v0
	;; [unrolled: 1-line block ×3, first 2 shown]
	s_waitcnt lgkmcnt(9)
	v_dual_add_f32 v2, v50, v2 :: v_dual_add_f32 v3, v49, v3
	s_waitcnt lgkmcnt(7)
	v_dual_add_f32 v4, v39, v4 :: v_dual_add_f32 v5, v38, v5
	;; [unrolled: 2-line block ×3, first 2 shown]
	s_waitcnt lgkmcnt(4)
	v_add_f32_e32 v21, v21, v14
	scratch_load_b32 v1, off, s32 offset:612 ; 4-byte Folded Reload
	ds_bpermute_b32 v10, v18, v15
	ds_bpermute_b32 v11, v18, v2
	;; [unrolled: 1-line block ×10, first 2 shown]
	s_waitcnt lgkmcnt(11)
	v_add_f32_e32 v0, v0, v9
	ds_bpermute_b32 v18, v18, v21
	v_add_f32_e32 v9, v7, v28
	s_waitcnt lgkmcnt(11)
	v_add_f32_e32 v7, v17, v30
	scratch_load_b32 v17, off, s32 offset:616 ; 4-byte Folded Reload
	v_and_b32_e32 v13, 0x3c3, v155
	s_delay_alu instid0(VALU_DEP_1)
	v_cmp_eq_u32_e32 vcc_lo, 64, v13
	s_waitcnt lgkmcnt(9)
	v_dual_add_f32 v15, v15, v10 :: v_dual_add_f32 v14, v2, v11
	s_waitcnt lgkmcnt(8)
	v_dual_add_f32 v13, v3, v12 :: v_dual_add_f32 v10, v6, v27
	;; [unrolled: 2-line block ×3, first 2 shown]
	s_waitcnt lgkmcnt(5)
	v_add_f32_e32 v8, v8, v29
	s_waitcnt lgkmcnt(3)
	v_dual_add_f32 v6, v19, v31 :: v_dual_add_f32 v5, v22, v32
	s_waitcnt lgkmcnt(1)
	v_dual_add_f32 v4, v23, v33 :: v_dual_add_f32 v3, v24, v34
	s_waitcnt lgkmcnt(0)
	v_add_f32_e32 v2, v21, v18
	s_waitcnt vmcnt(1)
	v_lshrrev_b32_e32 v1, 2, v1
	s_waitcnt vmcnt(0)
	v_mad_u32_u24 v16, 0x1e0, v17, v16
	s_delay_alu instid0(VALU_DEP_2)
	v_lshlrev_b32_e32 v17, 2, v1
	s_and_saveexec_b32 s0, vcc_lo
	s_cbranch_execz .LBB462_3456
; %bb.3455:
	s_delay_alu instid0(VALU_DEP_1)
	v_add3_u32 v18, v16, v17, 0xfffffc40
	ds_store_2addr_b32 v18, v0, v15 offset1:8
	ds_store_2addr_b32 v18, v14, v13 offset0:16 offset1:24
	ds_store_2addr_b32 v18, v12, v11 offset0:32 offset1:40
	;; [unrolled: 1-line block ×6, first 2 shown]
	ds_store_b32 v18, v2 offset:448
.LBB462_3456:
	s_or_b32 exec_lo, exec_lo, s0
	v_cmp_eq_u32_e32 vcc_lo, 0, v20
	v_cmp_gt_u32_e64 s0, 64, v155
	s_waitcnt lgkmcnt(0)
	s_barrier
	buffer_gl0_inv
	s_mov_b32 s2, exec_lo
	s_clause 0x1
	scratch_load_b32 v19, off, s32 offset:620
	scratch_load_b32 v20, off, s32 offset:624
	s_and_b32 s0, s2, s0
	s_delay_alu instid0(SALU_CYCLE_1)
	s_mov_b32 exec_lo, s0
	s_cbranch_execz .LBB462_3474
; %bb.3457:
	s_and_saveexec_b32 s0, vcc_lo
	s_cbranch_execnz .LBB462_3558
; %bb.3458:
	s_or_b32 exec_lo, exec_lo, s0
	s_and_saveexec_b32 s0, vcc_lo
	s_cbranch_execnz .LBB462_3559
.LBB462_3459:
	s_or_b32 exec_lo, exec_lo, s0
	s_and_saveexec_b32 s0, vcc_lo
	s_cbranch_execnz .LBB462_3560
.LBB462_3460:
	s_or_b32 exec_lo, exec_lo, s0
	s_and_saveexec_b32 s0, vcc_lo
	s_cbranch_execnz .LBB462_3561
.LBB462_3461:
	s_or_b32 exec_lo, exec_lo, s0
	s_and_saveexec_b32 s0, vcc_lo
	s_cbranch_execnz .LBB462_3562
.LBB462_3462:
	s_or_b32 exec_lo, exec_lo, s0
	s_and_saveexec_b32 s0, vcc_lo
	s_cbranch_execnz .LBB462_3563
.LBB462_3463:
	s_or_b32 exec_lo, exec_lo, s0
	s_and_saveexec_b32 s0, vcc_lo
	s_cbranch_execnz .LBB462_3564
.LBB462_3464:
	s_or_b32 exec_lo, exec_lo, s0
	s_and_saveexec_b32 s0, vcc_lo
	s_cbranch_execnz .LBB462_3565
.LBB462_3465:
	s_or_b32 exec_lo, exec_lo, s0
	s_and_saveexec_b32 s0, vcc_lo
	s_cbranch_execnz .LBB462_3566
.LBB462_3466:
	s_or_b32 exec_lo, exec_lo, s0
	s_and_saveexec_b32 s0, vcc_lo
	s_cbranch_execnz .LBB462_3567
.LBB462_3467:
	s_or_b32 exec_lo, exec_lo, s0
	s_and_saveexec_b32 s0, vcc_lo
	s_cbranch_execnz .LBB462_3568
.LBB462_3468:
	s_or_b32 exec_lo, exec_lo, s0
	s_and_saveexec_b32 s0, vcc_lo
	s_cbranch_execnz .LBB462_3569
.LBB462_3469:
	s_or_b32 exec_lo, exec_lo, s0
	s_and_saveexec_b32 s0, vcc_lo
	s_cbranch_execnz .LBB462_3570
.LBB462_3470:
	s_or_b32 exec_lo, exec_lo, s0
	s_and_saveexec_b32 s0, vcc_lo
	s_cbranch_execnz .LBB462_3571
.LBB462_3471:
	s_or_b32 exec_lo, exec_lo, s0
	s_and_saveexec_b32 s0, vcc_lo
	s_cbranch_execz .LBB462_3473
.LBB462_3472:
	v_lshl_add_u32 v18, v1, 2, v16
	ds_load_b32 v18, v18 offset:448
	s_waitcnt lgkmcnt(0)
	v_add_f32_e32 v2, v18, v2
.LBB462_3473:
	s_or_b32 exec_lo, exec_lo, s0
.LBB462_3474:
	s_delay_alu instid0(SALU_CYCLE_1)
	s_or_b32 exec_lo, exec_lo, s2
	v_and_b32_e32 v18, 0x3e3, v155
	s_mov_b32 s2, exec_lo
	s_waitcnt vmcnt(0)
	s_barrier
	buffer_gl0_inv
	v_cmpx_eq_u32_e32 32, v18
	s_cbranch_execz .LBB462_3476
; %bb.3475:
	v_add3_u32 v17, v16, v17, 0xfffffe20
	ds_store_2addr_b32 v17, v0, v15 offset1:8
	ds_store_2addr_b32 v17, v14, v13 offset0:16 offset1:24
	ds_store_2addr_b32 v17, v12, v11 offset0:32 offset1:40
	;; [unrolled: 1-line block ×6, first 2 shown]
	ds_store_b32 v17, v2 offset:448
.LBB462_3476:
	s_or_b32 exec_lo, exec_lo, s2
	v_cmp_gt_u32_e64 s0, 32, v155
	s_waitcnt lgkmcnt(0)
	s_barrier
	buffer_gl0_inv
	s_and_saveexec_b32 s2, s0
	s_cbranch_execz .LBB462_3494
; %bb.3477:
	v_lshl_add_u32 v1, v1, 2, v16
	s_and_saveexec_b32 s3, vcc_lo
	s_cbranch_execnz .LBB462_3572
; %bb.3478:
	s_or_b32 exec_lo, exec_lo, s3
	s_and_saveexec_b32 s3, vcc_lo
	s_cbranch_execnz .LBB462_3573
.LBB462_3479:
	s_or_b32 exec_lo, exec_lo, s3
	s_and_saveexec_b32 s3, vcc_lo
	s_cbranch_execnz .LBB462_3574
.LBB462_3480:
	s_or_b32 exec_lo, exec_lo, s3
	s_and_saveexec_b32 s3, vcc_lo
	s_cbranch_execnz .LBB462_3575
.LBB462_3481:
	s_or_b32 exec_lo, exec_lo, s3
	s_and_saveexec_b32 s3, vcc_lo
	s_cbranch_execnz .LBB462_3576
.LBB462_3482:
	s_or_b32 exec_lo, exec_lo, s3
	s_and_saveexec_b32 s3, vcc_lo
	s_cbranch_execnz .LBB462_3577
.LBB462_3483:
	s_or_b32 exec_lo, exec_lo, s3
	s_and_saveexec_b32 s3, vcc_lo
	s_cbranch_execnz .LBB462_3578
.LBB462_3484:
	s_or_b32 exec_lo, exec_lo, s3
	s_and_saveexec_b32 s3, vcc_lo
	s_cbranch_execnz .LBB462_3579
.LBB462_3485:
	s_or_b32 exec_lo, exec_lo, s3
	s_and_saveexec_b32 s3, vcc_lo
	s_cbranch_execnz .LBB462_3580
.LBB462_3486:
	s_or_b32 exec_lo, exec_lo, s3
	s_and_saveexec_b32 s3, vcc_lo
	s_cbranch_execnz .LBB462_3581
.LBB462_3487:
	s_or_b32 exec_lo, exec_lo, s3
	s_and_saveexec_b32 s3, vcc_lo
	s_cbranch_execnz .LBB462_3582
.LBB462_3488:
	s_or_b32 exec_lo, exec_lo, s3
	s_and_saveexec_b32 s3, vcc_lo
	s_cbranch_execnz .LBB462_3583
.LBB462_3489:
	s_or_b32 exec_lo, exec_lo, s3
	s_and_saveexec_b32 s3, vcc_lo
	s_cbranch_execnz .LBB462_3584
.LBB462_3490:
	s_or_b32 exec_lo, exec_lo, s3
	s_and_saveexec_b32 s3, vcc_lo
	s_cbranch_execnz .LBB462_3585
.LBB462_3491:
	s_or_b32 exec_lo, exec_lo, s3
	s_and_saveexec_b32 s3, vcc_lo
	s_cbranch_execz .LBB462_3493
.LBB462_3492:
	ds_load_b32 v1, v1 offset:448
	s_waitcnt lgkmcnt(0)
	v_add_f32_e32 v2, v1, v2
.LBB462_3493:
	s_or_b32 exec_lo, exec_lo, s3
.LBB462_3494:
	s_delay_alu instid0(SALU_CYCLE_1)
	s_or_b32 exec_lo, exec_lo, s2
	s_barrier
	buffer_gl0_inv
	s_and_b32 exec_lo, exec_lo, s0
	s_cbranch_execz .LBB462_3557
; %bb.3495:
	s_and_b32 exec_lo, exec_lo, vcc_lo
	s_cbranch_execz .LBB462_3557
; %bb.3496:
	v_and_b32_e32 v1, 0x7f800000, v0
	s_mov_b32 s0, exec_lo
                                        ; implicit-def: $vgpr16
	s_delay_alu instid0(VALU_DEP_1)
	v_cmpx_ne_u32_e32 0x7f800000, v1
	s_xor_b32 s0, exec_lo, s0
; %bb.3497:
	v_bfe_u32 v1, v0, 16, 1
	s_delay_alu instid0(VALU_DEP_1)
	v_add3_u32 v16, v0, v1, 0x7fff
                                        ; implicit-def: $vgpr0
; %bb.3498:
	s_and_not1_saveexec_b32 s0, s0
; %bb.3499:
	v_and_b32_e32 v1, 0xffff, v0
	v_or_b32_e32 v16, 0x10000, v0
	s_delay_alu instid0(VALU_DEP_2) | instskip(NEXT) | instid1(VALU_DEP_2)
	v_cmp_eq_u32_e32 vcc_lo, 0, v1
	v_cndmask_b32_e32 v16, v16, v0, vcc_lo
; %bb.3500:
	s_or_b32 exec_lo, exec_lo, s0
	s_mul_i32 s2, s1, s4
	s_mul_i32 s0, s6, s1
	;; [unrolled: 1-line block ×5, first 2 shown]
	s_ashr_i32 s1, s0, 31
	s_ashr_i32 s3, s2, 31
	;; [unrolled: 1-line block ×3, first 2 shown]
	s_lshl_b64 s[0:1], s[0:1], 1
	s_lshl_b64 s[2:3], s[2:3], 1
	s_lshl_b64 s[6:7], s[6:7], 1
	v_lshrrev_b32_e32 v0, 1, v155
	s_add_u32 s0, s2, s0
	s_addc_u32 s1, s3, s1
	s_add_u32 s0, s0, s6
	s_addc_u32 s1, s1, s7
	v_and_b32_e32 v0, 0x1fe, v0
	v_add_co_u32 v1, vcc_lo, s0, v20
	v_add_co_ci_u32_e32 v17, vcc_lo, s1, v19, vcc_lo
	v_and_b32_e32 v18, 0x7f800000, v15
	s_delay_alu instid0(VALU_DEP_3) | instskip(NEXT) | instid1(VALU_DEP_3)
	v_add_co_u32 v0, vcc_lo, v1, v0
	v_add_co_ci_u32_e32 v1, vcc_lo, 0, v17, vcc_lo
	s_mov_b32 s0, exec_lo
	flat_store_d16_hi_b16 v[0:1], v16
                                        ; implicit-def: $vgpr16
	v_cmpx_ne_u32_e32 0x7f800000, v18
	s_xor_b32 s0, exec_lo, s0
; %bb.3501:
	v_bfe_u32 v16, v15, 16, 1
	s_delay_alu instid0(VALU_DEP_1)
	v_add3_u32 v16, v15, v16, 0x7fff
                                        ; implicit-def: $vgpr15
; %bb.3502:
	s_and_not1_saveexec_b32 s0, s0
; %bb.3503:
	v_and_b32_e32 v16, 0xffff, v15
	v_or_b32_e32 v17, 0x10000, v15
	s_delay_alu instid0(VALU_DEP_2) | instskip(NEXT) | instid1(VALU_DEP_2)
	v_cmp_eq_u32_e32 vcc_lo, 0, v16
	v_cndmask_b32_e32 v16, v17, v15, vcc_lo
; %bb.3504:
	s_or_b32 exec_lo, exec_lo, s0
	v_and_b32_e32 v15, 0x7f800000, v14
	flat_store_d16_hi_b16 v[0:1], v16 offset:16
	v_cmp_ne_u32_e32 vcc_lo, 0x7f800000, v15
                                        ; implicit-def: $vgpr15
	s_and_saveexec_b32 s0, vcc_lo
	s_delay_alu instid0(SALU_CYCLE_1)
	s_xor_b32 s0, exec_lo, s0
; %bb.3505:
	v_bfe_u32 v15, v14, 16, 1
	s_delay_alu instid0(VALU_DEP_1)
	v_add3_u32 v15, v14, v15, 0x7fff
                                        ; implicit-def: $vgpr14
; %bb.3506:
	s_and_not1_saveexec_b32 s0, s0
; %bb.3507:
	v_and_b32_e32 v15, 0xffff, v14
	v_or_b32_e32 v16, 0x10000, v14
	s_delay_alu instid0(VALU_DEP_2) | instskip(NEXT) | instid1(VALU_DEP_2)
	v_cmp_eq_u32_e32 vcc_lo, 0, v15
	v_cndmask_b32_e32 v15, v16, v14, vcc_lo
; %bb.3508:
	s_or_b32 exec_lo, exec_lo, s0
	v_and_b32_e32 v14, 0x7f800000, v13
	flat_store_d16_hi_b16 v[0:1], v15 offset:32
	v_cmp_ne_u32_e32 vcc_lo, 0x7f800000, v14
                                        ; implicit-def: $vgpr14
	s_and_saveexec_b32 s0, vcc_lo
	s_delay_alu instid0(SALU_CYCLE_1)
	s_xor_b32 s0, exec_lo, s0
; %bb.3509:
	v_bfe_u32 v14, v13, 16, 1
	s_delay_alu instid0(VALU_DEP_1)
	v_add3_u32 v14, v13, v14, 0x7fff
                                        ; implicit-def: $vgpr13
; %bb.3510:
	s_and_not1_saveexec_b32 s0, s0
; %bb.3511:
	v_and_b32_e32 v14, 0xffff, v13
	v_or_b32_e32 v15, 0x10000, v13
	s_delay_alu instid0(VALU_DEP_2) | instskip(NEXT) | instid1(VALU_DEP_2)
	v_cmp_eq_u32_e32 vcc_lo, 0, v14
	v_cndmask_b32_e32 v14, v15, v13, vcc_lo
; %bb.3512:
	s_or_b32 exec_lo, exec_lo, s0
	v_and_b32_e32 v13, 0x7f800000, v12
	flat_store_d16_hi_b16 v[0:1], v14 offset:48
	v_cmp_ne_u32_e32 vcc_lo, 0x7f800000, v13
                                        ; implicit-def: $vgpr13
	s_and_saveexec_b32 s0, vcc_lo
	s_delay_alu instid0(SALU_CYCLE_1)
	s_xor_b32 s0, exec_lo, s0
; %bb.3513:
	v_bfe_u32 v13, v12, 16, 1
	s_delay_alu instid0(VALU_DEP_1)
	v_add3_u32 v13, v12, v13, 0x7fff
                                        ; implicit-def: $vgpr12
; %bb.3514:
	s_and_not1_saveexec_b32 s0, s0
; %bb.3515:
	v_and_b32_e32 v13, 0xffff, v12
	v_or_b32_e32 v14, 0x10000, v12
	s_delay_alu instid0(VALU_DEP_2) | instskip(NEXT) | instid1(VALU_DEP_2)
	v_cmp_eq_u32_e32 vcc_lo, 0, v13
	v_cndmask_b32_e32 v13, v14, v12, vcc_lo
; %bb.3516:
	s_or_b32 exec_lo, exec_lo, s0
	v_and_b32_e32 v12, 0x7f800000, v11
	flat_store_d16_hi_b16 v[0:1], v13 offset:64
	v_cmp_ne_u32_e32 vcc_lo, 0x7f800000, v12
                                        ; implicit-def: $vgpr12
	s_and_saveexec_b32 s0, vcc_lo
	s_delay_alu instid0(SALU_CYCLE_1)
	s_xor_b32 s0, exec_lo, s0
; %bb.3517:
	v_bfe_u32 v12, v11, 16, 1
	s_delay_alu instid0(VALU_DEP_1)
	v_add3_u32 v12, v11, v12, 0x7fff
                                        ; implicit-def: $vgpr11
; %bb.3518:
	s_and_not1_saveexec_b32 s0, s0
; %bb.3519:
	v_and_b32_e32 v12, 0xffff, v11
	v_or_b32_e32 v13, 0x10000, v11
	s_delay_alu instid0(VALU_DEP_2) | instskip(NEXT) | instid1(VALU_DEP_2)
	v_cmp_eq_u32_e32 vcc_lo, 0, v12
	v_cndmask_b32_e32 v12, v13, v11, vcc_lo
; %bb.3520:
	s_or_b32 exec_lo, exec_lo, s0
	v_and_b32_e32 v11, 0x7f800000, v10
	flat_store_d16_hi_b16 v[0:1], v12 offset:80
	v_cmp_ne_u32_e32 vcc_lo, 0x7f800000, v11
                                        ; implicit-def: $vgpr11
	s_and_saveexec_b32 s0, vcc_lo
	s_delay_alu instid0(SALU_CYCLE_1)
	s_xor_b32 s0, exec_lo, s0
; %bb.3521:
	v_bfe_u32 v11, v10, 16, 1
	s_delay_alu instid0(VALU_DEP_1)
	v_add3_u32 v11, v10, v11, 0x7fff
                                        ; implicit-def: $vgpr10
; %bb.3522:
	s_and_not1_saveexec_b32 s0, s0
; %bb.3523:
	v_and_b32_e32 v11, 0xffff, v10
	v_or_b32_e32 v12, 0x10000, v10
	s_delay_alu instid0(VALU_DEP_2) | instskip(NEXT) | instid1(VALU_DEP_2)
	v_cmp_eq_u32_e32 vcc_lo, 0, v11
	v_cndmask_b32_e32 v11, v12, v10, vcc_lo
; %bb.3524:
	s_or_b32 exec_lo, exec_lo, s0
	v_and_b32_e32 v10, 0x7f800000, v9
	flat_store_d16_hi_b16 v[0:1], v11 offset:96
	v_cmp_ne_u32_e32 vcc_lo, 0x7f800000, v10
                                        ; implicit-def: $vgpr10
	s_and_saveexec_b32 s0, vcc_lo
	s_delay_alu instid0(SALU_CYCLE_1)
	s_xor_b32 s0, exec_lo, s0
; %bb.3525:
	v_bfe_u32 v10, v9, 16, 1
	s_delay_alu instid0(VALU_DEP_1)
	v_add3_u32 v10, v9, v10, 0x7fff
                                        ; implicit-def: $vgpr9
; %bb.3526:
	s_and_not1_saveexec_b32 s0, s0
; %bb.3527:
	v_and_b32_e32 v10, 0xffff, v9
	v_or_b32_e32 v11, 0x10000, v9
	s_delay_alu instid0(VALU_DEP_2) | instskip(NEXT) | instid1(VALU_DEP_2)
	v_cmp_eq_u32_e32 vcc_lo, 0, v10
	v_cndmask_b32_e32 v10, v11, v9, vcc_lo
; %bb.3528:
	s_or_b32 exec_lo, exec_lo, s0
	v_and_b32_e32 v9, 0x7f800000, v8
	flat_store_d16_hi_b16 v[0:1], v10 offset:112
	v_cmp_ne_u32_e32 vcc_lo, 0x7f800000, v9
                                        ; implicit-def: $vgpr9
	s_and_saveexec_b32 s0, vcc_lo
	s_delay_alu instid0(SALU_CYCLE_1)
	s_xor_b32 s0, exec_lo, s0
; %bb.3529:
	v_bfe_u32 v9, v8, 16, 1
	s_delay_alu instid0(VALU_DEP_1)
	v_add3_u32 v9, v8, v9, 0x7fff
                                        ; implicit-def: $vgpr8
; %bb.3530:
	s_and_not1_saveexec_b32 s0, s0
; %bb.3531:
	v_and_b32_e32 v9, 0xffff, v8
	v_or_b32_e32 v10, 0x10000, v8
	s_delay_alu instid0(VALU_DEP_2) | instskip(NEXT) | instid1(VALU_DEP_2)
	v_cmp_eq_u32_e32 vcc_lo, 0, v9
	v_cndmask_b32_e32 v9, v10, v8, vcc_lo
; %bb.3532:
	s_or_b32 exec_lo, exec_lo, s0
	v_and_b32_e32 v8, 0x7f800000, v7
	flat_store_d16_hi_b16 v[0:1], v9 offset:128
	v_cmp_ne_u32_e32 vcc_lo, 0x7f800000, v8
                                        ; implicit-def: $vgpr8
	s_and_saveexec_b32 s0, vcc_lo
	s_delay_alu instid0(SALU_CYCLE_1)
	s_xor_b32 s0, exec_lo, s0
; %bb.3533:
	v_bfe_u32 v8, v7, 16, 1
	s_delay_alu instid0(VALU_DEP_1)
	v_add3_u32 v8, v7, v8, 0x7fff
                                        ; implicit-def: $vgpr7
; %bb.3534:
	s_and_not1_saveexec_b32 s0, s0
; %bb.3535:
	v_and_b32_e32 v8, 0xffff, v7
	v_or_b32_e32 v9, 0x10000, v7
	s_delay_alu instid0(VALU_DEP_2) | instskip(NEXT) | instid1(VALU_DEP_2)
	v_cmp_eq_u32_e32 vcc_lo, 0, v8
	v_cndmask_b32_e32 v8, v9, v7, vcc_lo
; %bb.3536:
	s_or_b32 exec_lo, exec_lo, s0
	v_and_b32_e32 v7, 0x7f800000, v6
	flat_store_d16_hi_b16 v[0:1], v8 offset:144
	v_cmp_ne_u32_e32 vcc_lo, 0x7f800000, v7
                                        ; implicit-def: $vgpr7
	s_and_saveexec_b32 s0, vcc_lo
	s_delay_alu instid0(SALU_CYCLE_1)
	s_xor_b32 s0, exec_lo, s0
; %bb.3537:
	v_bfe_u32 v7, v6, 16, 1
	s_delay_alu instid0(VALU_DEP_1)
	v_add3_u32 v7, v6, v7, 0x7fff
                                        ; implicit-def: $vgpr6
; %bb.3538:
	s_and_not1_saveexec_b32 s0, s0
; %bb.3539:
	v_and_b32_e32 v7, 0xffff, v6
	v_or_b32_e32 v8, 0x10000, v6
	s_delay_alu instid0(VALU_DEP_2) | instskip(NEXT) | instid1(VALU_DEP_2)
	v_cmp_eq_u32_e32 vcc_lo, 0, v7
	v_cndmask_b32_e32 v7, v8, v6, vcc_lo
; %bb.3540:
	s_or_b32 exec_lo, exec_lo, s0
	v_and_b32_e32 v6, 0x7f800000, v5
	flat_store_d16_hi_b16 v[0:1], v7 offset:160
	v_cmp_ne_u32_e32 vcc_lo, 0x7f800000, v6
                                        ; implicit-def: $vgpr6
	s_and_saveexec_b32 s0, vcc_lo
	s_delay_alu instid0(SALU_CYCLE_1)
	s_xor_b32 s0, exec_lo, s0
; %bb.3541:
	v_bfe_u32 v6, v5, 16, 1
	s_delay_alu instid0(VALU_DEP_1)
	v_add3_u32 v6, v5, v6, 0x7fff
                                        ; implicit-def: $vgpr5
; %bb.3542:
	s_and_not1_saveexec_b32 s0, s0
; %bb.3543:
	v_and_b32_e32 v6, 0xffff, v5
	v_or_b32_e32 v7, 0x10000, v5
	s_delay_alu instid0(VALU_DEP_2) | instskip(NEXT) | instid1(VALU_DEP_2)
	v_cmp_eq_u32_e32 vcc_lo, 0, v6
	v_cndmask_b32_e32 v6, v7, v5, vcc_lo
; %bb.3544:
	s_or_b32 exec_lo, exec_lo, s0
	v_and_b32_e32 v5, 0x7f800000, v4
	flat_store_d16_hi_b16 v[0:1], v6 offset:176
	v_cmp_ne_u32_e32 vcc_lo, 0x7f800000, v5
                                        ; implicit-def: $vgpr5
	s_and_saveexec_b32 s0, vcc_lo
	s_delay_alu instid0(SALU_CYCLE_1)
	s_xor_b32 s0, exec_lo, s0
; %bb.3545:
	v_bfe_u32 v5, v4, 16, 1
	s_delay_alu instid0(VALU_DEP_1)
	v_add3_u32 v5, v4, v5, 0x7fff
                                        ; implicit-def: $vgpr4
; %bb.3546:
	s_and_not1_saveexec_b32 s0, s0
; %bb.3547:
	v_and_b32_e32 v5, 0xffff, v4
	v_or_b32_e32 v6, 0x10000, v4
	s_delay_alu instid0(VALU_DEP_2) | instskip(NEXT) | instid1(VALU_DEP_2)
	v_cmp_eq_u32_e32 vcc_lo, 0, v5
	v_cndmask_b32_e32 v5, v6, v4, vcc_lo
; %bb.3548:
	s_or_b32 exec_lo, exec_lo, s0
	v_and_b32_e32 v4, 0x7f800000, v3
	flat_store_d16_hi_b16 v[0:1], v5 offset:192
	v_cmp_ne_u32_e32 vcc_lo, 0x7f800000, v4
                                        ; implicit-def: $vgpr4
	s_and_saveexec_b32 s0, vcc_lo
	s_delay_alu instid0(SALU_CYCLE_1)
	s_xor_b32 s0, exec_lo, s0
; %bb.3549:
	v_bfe_u32 v4, v3, 16, 1
	s_delay_alu instid0(VALU_DEP_1)
	v_add3_u32 v4, v3, v4, 0x7fff
                                        ; implicit-def: $vgpr3
; %bb.3550:
	s_and_not1_saveexec_b32 s0, s0
; %bb.3551:
	v_and_b32_e32 v4, 0xffff, v3
	v_or_b32_e32 v5, 0x10000, v3
	s_delay_alu instid0(VALU_DEP_2) | instskip(NEXT) | instid1(VALU_DEP_2)
	v_cmp_eq_u32_e32 vcc_lo, 0, v4
	v_cndmask_b32_e32 v4, v5, v3, vcc_lo
; %bb.3552:
	s_or_b32 exec_lo, exec_lo, s0
	v_and_b32_e32 v3, 0x7f800000, v2
	flat_store_d16_hi_b16 v[0:1], v4 offset:208
	v_cmp_ne_u32_e32 vcc_lo, 0x7f800000, v3
                                        ; implicit-def: $vgpr3
	s_and_saveexec_b32 s0, vcc_lo
	s_delay_alu instid0(SALU_CYCLE_1)
	s_xor_b32 s0, exec_lo, s0
; %bb.3553:
	v_bfe_u32 v3, v2, 16, 1
	s_delay_alu instid0(VALU_DEP_1)
	v_add3_u32 v3, v2, v3, 0x7fff
                                        ; implicit-def: $vgpr2
; %bb.3554:
	s_and_not1_saveexec_b32 s0, s0
; %bb.3555:
	v_and_b32_e32 v3, 0xffff, v2
	v_or_b32_e32 v4, 0x10000, v2
	s_delay_alu instid0(VALU_DEP_2) | instskip(NEXT) | instid1(VALU_DEP_2)
	v_cmp_eq_u32_e32 vcc_lo, 0, v3
	v_cndmask_b32_e32 v3, v4, v2, vcc_lo
; %bb.3556:
	s_or_b32 exec_lo, exec_lo, s0
	flat_store_d16_hi_b16 v[0:1], v3 offset:224
.LBB462_3557:
	s_or_b32 exec_lo, exec_lo, s5
	s_clause 0x1f
	scratch_load_b32 v191, off, s32
	scratch_load_b32 v190, off, s32 offset:4
	scratch_load_b32 v189, off, s32 offset:8
	;; [unrolled: 1-line block ×31, first 2 shown]
	s_clause 0x1f
	scratch_load_b32 v127, off, s32 offset:128
	scratch_load_b32 v126, off, s32 offset:132
	;; [unrolled: 1-line block ×32, first 2 shown]
	s_clause 0xf
	scratch_load_b32 v63, off, s32 offset:256
	scratch_load_b32 v62, off, s32 offset:260
	;; [unrolled: 1-line block ×16, first 2 shown]
	s_waitcnt vmcnt(0) lgkmcnt(0)
	s_setpc_b64 s[30:31]
.LBB462_3558:
	v_lshl_add_u32 v18, v1, 2, v16
	ds_load_b32 v18, v18
	s_waitcnt lgkmcnt(0)
	v_add_f32_e32 v0, v18, v0
	s_or_b32 exec_lo, exec_lo, s0
	s_and_saveexec_b32 s0, vcc_lo
	s_cbranch_execz .LBB462_3459
.LBB462_3559:
	v_lshl_add_u32 v18, v1, 2, v16
	ds_load_b32 v18, v18 offset:32
	s_waitcnt lgkmcnt(0)
	v_add_f32_e32 v15, v18, v15
	s_or_b32 exec_lo, exec_lo, s0
	s_and_saveexec_b32 s0, vcc_lo
	s_cbranch_execz .LBB462_3460
.LBB462_3560:
	v_lshl_add_u32 v18, v1, 2, v16
	ds_load_b32 v18, v18 offset:64
	s_waitcnt lgkmcnt(0)
	v_add_f32_e32 v14, v18, v14
	s_or_b32 exec_lo, exec_lo, s0
	s_and_saveexec_b32 s0, vcc_lo
	s_cbranch_execz .LBB462_3461
.LBB462_3561:
	v_lshl_add_u32 v18, v1, 2, v16
	ds_load_b32 v18, v18 offset:96
	s_waitcnt lgkmcnt(0)
	v_add_f32_e32 v13, v18, v13
	s_or_b32 exec_lo, exec_lo, s0
	s_and_saveexec_b32 s0, vcc_lo
	s_cbranch_execz .LBB462_3462
.LBB462_3562:
	v_lshl_add_u32 v18, v1, 2, v16
	ds_load_b32 v18, v18 offset:128
	s_waitcnt lgkmcnt(0)
	v_add_f32_e32 v12, v18, v12
	s_or_b32 exec_lo, exec_lo, s0
	s_and_saveexec_b32 s0, vcc_lo
	s_cbranch_execz .LBB462_3463
.LBB462_3563:
	v_lshl_add_u32 v18, v1, 2, v16
	ds_load_b32 v18, v18 offset:160
	s_waitcnt lgkmcnt(0)
	v_add_f32_e32 v11, v18, v11
	s_or_b32 exec_lo, exec_lo, s0
	s_and_saveexec_b32 s0, vcc_lo
	s_cbranch_execz .LBB462_3464
.LBB462_3564:
	v_lshl_add_u32 v18, v1, 2, v16
	ds_load_b32 v18, v18 offset:192
	s_waitcnt lgkmcnt(0)
	v_add_f32_e32 v10, v18, v10
	s_or_b32 exec_lo, exec_lo, s0
	s_and_saveexec_b32 s0, vcc_lo
	s_cbranch_execz .LBB462_3465
.LBB462_3565:
	v_lshl_add_u32 v18, v1, 2, v16
	ds_load_b32 v18, v18 offset:224
	s_waitcnt lgkmcnt(0)
	v_add_f32_e32 v9, v18, v9
	s_or_b32 exec_lo, exec_lo, s0
	s_and_saveexec_b32 s0, vcc_lo
	s_cbranch_execz .LBB462_3466
.LBB462_3566:
	v_lshl_add_u32 v18, v1, 2, v16
	ds_load_b32 v18, v18 offset:256
	s_waitcnt lgkmcnt(0)
	v_add_f32_e32 v8, v18, v8
	s_or_b32 exec_lo, exec_lo, s0
	s_and_saveexec_b32 s0, vcc_lo
	s_cbranch_execz .LBB462_3467
.LBB462_3567:
	v_lshl_add_u32 v18, v1, 2, v16
	ds_load_b32 v18, v18 offset:288
	s_waitcnt lgkmcnt(0)
	v_add_f32_e32 v7, v18, v7
	s_or_b32 exec_lo, exec_lo, s0
	s_and_saveexec_b32 s0, vcc_lo
	s_cbranch_execz .LBB462_3468
.LBB462_3568:
	v_lshl_add_u32 v18, v1, 2, v16
	ds_load_b32 v18, v18 offset:320
	s_waitcnt lgkmcnt(0)
	v_add_f32_e32 v6, v18, v6
	s_or_b32 exec_lo, exec_lo, s0
	s_and_saveexec_b32 s0, vcc_lo
	s_cbranch_execz .LBB462_3469
.LBB462_3569:
	v_lshl_add_u32 v18, v1, 2, v16
	ds_load_b32 v18, v18 offset:352
	s_waitcnt lgkmcnt(0)
	v_add_f32_e32 v5, v18, v5
	s_or_b32 exec_lo, exec_lo, s0
	s_and_saveexec_b32 s0, vcc_lo
	s_cbranch_execz .LBB462_3470
.LBB462_3570:
	v_lshl_add_u32 v18, v1, 2, v16
	ds_load_b32 v18, v18 offset:384
	s_waitcnt lgkmcnt(0)
	v_add_f32_e32 v4, v18, v4
	s_or_b32 exec_lo, exec_lo, s0
	s_and_saveexec_b32 s0, vcc_lo
	s_cbranch_execz .LBB462_3471
.LBB462_3571:
	v_lshl_add_u32 v18, v1, 2, v16
	ds_load_b32 v18, v18 offset:416
	s_waitcnt lgkmcnt(0)
	v_add_f32_e32 v3, v18, v3
	s_or_b32 exec_lo, exec_lo, s0
	s_and_saveexec_b32 s0, vcc_lo
	s_cbranch_execnz .LBB462_3472
	s_branch .LBB462_3473
.LBB462_3572:
	ds_load_b32 v16, v1
	s_waitcnt lgkmcnt(0)
	v_add_f32_e32 v0, v16, v0
	s_or_b32 exec_lo, exec_lo, s3
	s_and_saveexec_b32 s3, vcc_lo
	s_cbranch_execz .LBB462_3479
.LBB462_3573:
	ds_load_b32 v16, v1 offset:32
	s_waitcnt lgkmcnt(0)
	v_add_f32_e32 v15, v16, v15
	s_or_b32 exec_lo, exec_lo, s3
	s_and_saveexec_b32 s3, vcc_lo
	s_cbranch_execz .LBB462_3480
.LBB462_3574:
	ds_load_b32 v16, v1 offset:64
	s_waitcnt lgkmcnt(0)
	v_add_f32_e32 v14, v16, v14
	s_or_b32 exec_lo, exec_lo, s3
	s_and_saveexec_b32 s3, vcc_lo
	s_cbranch_execz .LBB462_3481
.LBB462_3575:
	ds_load_b32 v16, v1 offset:96
	s_waitcnt lgkmcnt(0)
	v_add_f32_e32 v13, v16, v13
	s_or_b32 exec_lo, exec_lo, s3
	s_and_saveexec_b32 s3, vcc_lo
	s_cbranch_execz .LBB462_3482
.LBB462_3576:
	ds_load_b32 v16, v1 offset:128
	s_waitcnt lgkmcnt(0)
	v_add_f32_e32 v12, v16, v12
	s_or_b32 exec_lo, exec_lo, s3
	s_and_saveexec_b32 s3, vcc_lo
	s_cbranch_execz .LBB462_3483
.LBB462_3577:
	ds_load_b32 v16, v1 offset:160
	s_waitcnt lgkmcnt(0)
	v_add_f32_e32 v11, v16, v11
	s_or_b32 exec_lo, exec_lo, s3
	s_and_saveexec_b32 s3, vcc_lo
	s_cbranch_execz .LBB462_3484
.LBB462_3578:
	ds_load_b32 v16, v1 offset:192
	s_waitcnt lgkmcnt(0)
	v_add_f32_e32 v10, v16, v10
	s_or_b32 exec_lo, exec_lo, s3
	s_and_saveexec_b32 s3, vcc_lo
	s_cbranch_execz .LBB462_3485
.LBB462_3579:
	ds_load_b32 v16, v1 offset:224
	s_waitcnt lgkmcnt(0)
	v_add_f32_e32 v9, v16, v9
	s_or_b32 exec_lo, exec_lo, s3
	s_and_saveexec_b32 s3, vcc_lo
	s_cbranch_execz .LBB462_3486
.LBB462_3580:
	ds_load_b32 v16, v1 offset:256
	s_waitcnt lgkmcnt(0)
	v_add_f32_e32 v8, v16, v8
	s_or_b32 exec_lo, exec_lo, s3
	s_and_saveexec_b32 s3, vcc_lo
	s_cbranch_execz .LBB462_3487
.LBB462_3581:
	ds_load_b32 v16, v1 offset:288
	s_waitcnt lgkmcnt(0)
	v_add_f32_e32 v7, v16, v7
	s_or_b32 exec_lo, exec_lo, s3
	s_and_saveexec_b32 s3, vcc_lo
	s_cbranch_execz .LBB462_3488
.LBB462_3582:
	ds_load_b32 v16, v1 offset:320
	s_waitcnt lgkmcnt(0)
	v_add_f32_e32 v6, v16, v6
	s_or_b32 exec_lo, exec_lo, s3
	s_and_saveexec_b32 s3, vcc_lo
	s_cbranch_execz .LBB462_3489
.LBB462_3583:
	ds_load_b32 v16, v1 offset:352
	s_waitcnt lgkmcnt(0)
	v_add_f32_e32 v5, v16, v5
	s_or_b32 exec_lo, exec_lo, s3
	s_and_saveexec_b32 s3, vcc_lo
	s_cbranch_execz .LBB462_3490
.LBB462_3584:
	ds_load_b32 v16, v1 offset:384
	s_waitcnt lgkmcnt(0)
	v_add_f32_e32 v4, v16, v4
	s_or_b32 exec_lo, exec_lo, s3
	s_and_saveexec_b32 s3, vcc_lo
	s_cbranch_execz .LBB462_3491
.LBB462_3585:
	ds_load_b32 v16, v1 offset:416
	s_waitcnt lgkmcnt(0)
	v_add_f32_e32 v3, v16, v3
	s_or_b32 exec_lo, exec_lo, s3
	s_and_saveexec_b32 s3, vcc_lo
	s_cbranch_execnz .LBB462_3492
	s_branch .LBB462_3493
.Lfunc_end462:
	.size	_ZN4vllm22paged_attention_kernelI14__hip_bfloat16hLi120ELi32ELi128ELNS_18Fp8KVCacheDataTypeE1ELb0ELi512EEEvPfS3_PT_PKS4_PKT0_SA_ifPKiSC_iPKfiiiSE_SE_iiiii, .Lfunc_end462-_ZN4vllm22paged_attention_kernelI14__hip_bfloat16hLi120ELi32ELi128ELNS_18Fp8KVCacheDataTypeE1ELb0ELi512EEEvPfS3_PT_PKS4_PKT0_SA_ifPKiSC_iPKfiiiSE_SE_iiiii
                                        ; -- End function
	.section	.AMDGPU.csdata,"",@progbits
; Function info:
; codeLenInByte = 110828
; NumSgprs: 35
; NumVgprs: 192
; ScratchSize: 700
; MemoryBound: 0
	.section	.text._ZN4vllm25paged_attention_v2_kernelI14__hip_bfloat16hLi120ELi32ELi128ELNS_18Fp8KVCacheDataTypeE1ELb0ELi512EEEvPfS3_PT_PKS4_PKT0_SA_ifPKiSC_iPKfiiiSE_SE_iiiii,"axG",@progbits,_ZN4vllm25paged_attention_v2_kernelI14__hip_bfloat16hLi120ELi32ELi128ELNS_18Fp8KVCacheDataTypeE1ELb0ELi512EEEvPfS3_PT_PKS4_PKT0_SA_ifPKiSC_iPKfiiiSE_SE_iiiii,comdat
	.protected	_ZN4vllm25paged_attention_v2_kernelI14__hip_bfloat16hLi120ELi32ELi128ELNS_18Fp8KVCacheDataTypeE1ELb0ELi512EEEvPfS3_PT_PKS4_PKT0_SA_ifPKiSC_iPKfiiiSE_SE_iiiii ; -- Begin function _ZN4vllm25paged_attention_v2_kernelI14__hip_bfloat16hLi120ELi32ELi128ELNS_18Fp8KVCacheDataTypeE1ELb0ELi512EEEvPfS3_PT_PKS4_PKT0_SA_ifPKiSC_iPKfiiiSE_SE_iiiii
	.globl	_ZN4vllm25paged_attention_v2_kernelI14__hip_bfloat16hLi120ELi32ELi128ELNS_18Fp8KVCacheDataTypeE1ELb0ELi512EEEvPfS3_PT_PKS4_PKT0_SA_ifPKiSC_iPKfiiiSE_SE_iiiii
	.p2align	8
	.type	_ZN4vllm25paged_attention_v2_kernelI14__hip_bfloat16hLi120ELi32ELi128ELNS_18Fp8KVCacheDataTypeE1ELb0ELi512EEEvPfS3_PT_PKS4_PKT0_SA_ifPKiSC_iPKfiiiSE_SE_iiiii,@function
_ZN4vllm25paged_attention_v2_kernelI14__hip_bfloat16hLi120ELi32ELi128ELNS_18Fp8KVCacheDataTypeE1ELb0ELi512EEEvPfS3_PT_PKS4_PKT0_SA_ifPKiSC_iPKfiiiSE_SE_iiiii: ; @_ZN4vllm25paged_attention_v2_kernelI14__hip_bfloat16hLi120ELi32ELi128ELNS_18Fp8KVCacheDataTypeE1ELb0ELi512EEEvPfS3_PT_PKS4_PKT0_SA_ifPKiSC_iPKfiiiSE_SE_iiiii
; %bb.0:
	s_clause 0x5
	s_load_b256 s[24:31], s[0:1], 0x0
	s_load_b256 s[16:23], s[0:1], 0x20
	s_load_b64 s[2:3], s[0:1], 0x40
	s_load_b64 s[4:5], s[0:1], 0x50
	s_load_b32 s6, s[0:1], 0x48
	s_load_b256 s[36:43], s[0:1], 0x58
	v_mov_b32_e32 v31, v0
	s_add_u32 s8, s0, 0x90
	s_mov_b32 s12, s13
	s_addc_u32 s9, s1, 0
	s_mov_b32 s13, s14
	s_mov_b32 s14, s15
	;; [unrolled: 1-line block ×4, first 2 shown]
	s_getpc_b64 s[0:1]
	s_add_u32 s0, s0, _ZN4vllm22paged_attention_kernelI14__hip_bfloat16hLi120ELi32ELi128ELNS_18Fp8KVCacheDataTypeE1ELb0ELi512EEEvPfS3_PT_PKS4_PKT0_SA_ifPKiSC_iPKfiiiSE_SE_iiiii@rel32@lo+4
	s_addc_u32 s1, s1, _ZN4vllm22paged_attention_kernelI14__hip_bfloat16hLi120ELi32ELi128ELNS_18Fp8KVCacheDataTypeE1ELb0ELi512EEEvPfS3_PT_PKS4_PKT0_SA_ifPKiSC_iPKfiiiSE_SE_iiiii@rel32@hi+12
	s_waitcnt lgkmcnt(0)
	v_dual_mov_b32 v0, s24 :: v_dual_mov_b32 v1, s25
	v_dual_mov_b32 v2, s26 :: v_dual_mov_b32 v3, s27
	;; [unrolled: 1-line block ×14, first 2 shown]
	s_swappc_b64 s[30:31], s[0:1]
	s_endpgm
	.section	.rodata,"a",@progbits
	.p2align	6, 0x0
	.amdhsa_kernel _ZN4vllm25paged_attention_v2_kernelI14__hip_bfloat16hLi120ELi32ELi128ELNS_18Fp8KVCacheDataTypeE1ELb0ELi512EEEvPfS3_PT_PKS4_PKT0_SA_ifPKiSC_iPKfiiiSE_SE_iiiii
		.amdhsa_group_segment_fixed_size 272
		.amdhsa_private_segment_fixed_size 700
		.amdhsa_kernarg_size 400
		.amdhsa_user_sgpr_count 13
		.amdhsa_user_sgpr_dispatch_ptr 0
		.amdhsa_user_sgpr_queue_ptr 0
		.amdhsa_user_sgpr_kernarg_segment_ptr 1
		.amdhsa_user_sgpr_dispatch_id 0
		.amdhsa_user_sgpr_private_segment_size 0
		.amdhsa_wavefront_size32 1
		.amdhsa_uses_dynamic_stack 0
		.amdhsa_enable_private_segment 1
		.amdhsa_system_sgpr_workgroup_id_x 1
		.amdhsa_system_sgpr_workgroup_id_y 1
		.amdhsa_system_sgpr_workgroup_id_z 1
		.amdhsa_system_sgpr_workgroup_info 0
		.amdhsa_system_vgpr_workitem_id 0
		.amdhsa_next_free_vgpr 192
		.amdhsa_next_free_sgpr 44
		.amdhsa_reserve_vcc 1
		.amdhsa_float_round_mode_32 0
		.amdhsa_float_round_mode_16_64 0
		.amdhsa_float_denorm_mode_32 3
		.amdhsa_float_denorm_mode_16_64 3
		.amdhsa_dx10_clamp 1
		.amdhsa_ieee_mode 1
		.amdhsa_fp16_overflow 0
		.amdhsa_workgroup_processor_mode 1
		.amdhsa_memory_ordered 1
		.amdhsa_forward_progress 0
		.amdhsa_shared_vgpr_count 0
		.amdhsa_exception_fp_ieee_invalid_op 0
		.amdhsa_exception_fp_denorm_src 0
		.amdhsa_exception_fp_ieee_div_zero 0
		.amdhsa_exception_fp_ieee_overflow 0
		.amdhsa_exception_fp_ieee_underflow 0
		.amdhsa_exception_fp_ieee_inexact 0
		.amdhsa_exception_int_div_zero 0
	.end_amdhsa_kernel
	.section	.text._ZN4vllm25paged_attention_v2_kernelI14__hip_bfloat16hLi120ELi32ELi128ELNS_18Fp8KVCacheDataTypeE1ELb0ELi512EEEvPfS3_PT_PKS4_PKT0_SA_ifPKiSC_iPKfiiiSE_SE_iiiii,"axG",@progbits,_ZN4vllm25paged_attention_v2_kernelI14__hip_bfloat16hLi120ELi32ELi128ELNS_18Fp8KVCacheDataTypeE1ELb0ELi512EEEvPfS3_PT_PKS4_PKT0_SA_ifPKiSC_iPKfiiiSE_SE_iiiii,comdat
.Lfunc_end463:
	.size	_ZN4vllm25paged_attention_v2_kernelI14__hip_bfloat16hLi120ELi32ELi128ELNS_18Fp8KVCacheDataTypeE1ELb0ELi512EEEvPfS3_PT_PKS4_PKT0_SA_ifPKiSC_iPKfiiiSE_SE_iiiii, .Lfunc_end463-_ZN4vllm25paged_attention_v2_kernelI14__hip_bfloat16hLi120ELi32ELi128ELNS_18Fp8KVCacheDataTypeE1ELb0ELi512EEEvPfS3_PT_PKS4_PKT0_SA_ifPKiSC_iPKfiiiSE_SE_iiiii
                                        ; -- End function
	.section	.AMDGPU.csdata,"",@progbits
; Kernel info:
; codeLenInByte = 232
; NumSgprs: 46
; NumVgprs: 192
; ScratchSize: 700
; MemoryBound: 0
; FloatMode: 240
; IeeeMode: 1
; LDSByteSize: 272 bytes/workgroup (compile time only)
; SGPRBlocks: 5
; VGPRBlocks: 23
; NumSGPRsForWavesPerEU: 46
; NumVGPRsForWavesPerEU: 192
; Occupancy: 8
; WaveLimiterHint : 1
; COMPUTE_PGM_RSRC2:SCRATCH_EN: 1
; COMPUTE_PGM_RSRC2:USER_SGPR: 13
; COMPUTE_PGM_RSRC2:TRAP_HANDLER: 0
; COMPUTE_PGM_RSRC2:TGID_X_EN: 1
; COMPUTE_PGM_RSRC2:TGID_Y_EN: 1
; COMPUTE_PGM_RSRC2:TGID_Z_EN: 1
; COMPUTE_PGM_RSRC2:TIDIG_COMP_CNT: 0
	.text
	.p2align	2                               ; -- Begin function _ZN4vllm22paged_attention_kernelI14__hip_bfloat16hLi128ELi32ELi128ELNS_18Fp8KVCacheDataTypeE1ELb0ELi512EEEvPfS3_PT_PKS4_PKT0_SA_ifPKiSC_iPKfiiiSE_SE_iiiii
	.type	_ZN4vllm22paged_attention_kernelI14__hip_bfloat16hLi128ELi32ELi128ELNS_18Fp8KVCacheDataTypeE1ELb0ELi512EEEvPfS3_PT_PKS4_PKT0_SA_ifPKiSC_iPKfiiiSE_SE_iiiii,@function
_ZN4vllm22paged_attention_kernelI14__hip_bfloat16hLi128ELi32ELi128ELNS_18Fp8KVCacheDataTypeE1ELb0ELi512EEEvPfS3_PT_PKS4_PKT0_SA_ifPKiSC_iPKfiiiSE_SE_iiiii: ; @_ZN4vllm22paged_attention_kernelI14__hip_bfloat16hLi128ELi32ELi128ELNS_18Fp8KVCacheDataTypeE1ELb0ELi512EEEvPfS3_PT_PKS4_PKT0_SA_ifPKiSC_iPKfiiiSE_SE_iiiii
; %bb.0:
	s_waitcnt vmcnt(0) expcnt(0) lgkmcnt(0)
	s_clause 0x1f
	scratch_store_b32 off, v40, s32 offset:316
	; meta instruction
	scratch_store_b32 off, v41, s32 offset:312
	; meta instruction
	;; [unrolled: 2-line block ×31, first 2 shown]
	scratch_store_b32 off, v95, s32 offset:192
	s_clause 0x1f
	scratch_store_b32 off, v104, s32 offset:188
	; meta instruction
	scratch_store_b32 off, v105, s32 offset:184
	; meta instruction
	;; [unrolled: 2-line block ×31, first 2 shown]
	scratch_store_b32 off, v159, s32 offset:64
	s_clause 0xf
	scratch_store_b32 off, v168, s32 offset:60
	; meta instruction
	scratch_store_b32 off, v169, s32 offset:56
	; meta instruction
	;; [unrolled: 2-line block ×15, first 2 shown]
	scratch_store_b32 off, v191, s32
	s_mov_b32 s4, s13
	s_ashr_i32 s5, s13, 31
	v_dual_mov_b32 v30, v3 :: v_dual_mov_b32 v29, v0
	s_lshl_b64 s[0:1], s[4:5], 2
	v_mov_b32_e32 v28, v1
	v_add_co_u32 v0, vcc_lo, v16, s0
	v_add_co_ci_u32_e32 v1, vcc_lo, s1, v17, vcc_lo
	v_mov_b32_e32 v32, v2
	s_lshl_b32 s17, s14, 9
	s_mov_b32 s5, exec_lo
	flat_load_b32 v36, v[0:1]
	s_waitcnt vmcnt(0) lgkmcnt(0)
	v_cmpx_lt_i32_e64 s17, v36
	s_cbranch_execz .LBB464_3789
; %bb.1:
	v_sub_nc_u32_e32 v0, 0, v12
	s_clause 0x1
	scratch_store_b32 off, v4, s32 offset:688
	scratch_store_b32 off, v5, s32 offset:684
	s_clause 0x1
	s_load_b32 s0, s[8:9], 0x10
	s_load_b32 s1, s[8:9], 0x0
	s_mov_b32 s10, s15
	v_max_i32_e32 v0, v12, v0
	v_mov_b32_e32 v39, 0
	s_delay_alu instid0(VALU_DEP_2) | instskip(SKIP_1) | instid1(VALU_DEP_2)
	v_cvt_f32_u32_e32 v1, v0
	v_sub_nc_u32_e32 v2, 0, v0
	v_rcp_iflag_f32_e32 v1, v1
	s_waitcnt lgkmcnt(0)
	s_lshr_b32 s0, s0, 16
	s_delay_alu instid0(SALU_CYCLE_1) | instskip(SKIP_3) | instid1(SALU_CYCLE_1)
	s_cmp_lg_u32 s0, 0
	s_waitcnt_depctr 0xfff
	v_mul_f32_e32 v1, 0x4f7ffffe, v1
	s_cselect_b32 s0, -1, 0
	s_cmp_lg_u32 s0, 0
	s_delay_alu instid0(VALU_DEP_1) | instskip(SKIP_3) | instid1(VALU_DEP_1)
	v_cvt_u32_f32_e32 v1, v1
	s_addc_u32 s16, s1, 0
	s_mov_b32 s1, exec_lo
	s_abs_i32 s0, s16
	v_mul_lo_u32 v2, v2, v1
	s_delay_alu instid0(VALU_DEP_1) | instskip(NEXT) | instid1(VALU_DEP_1)
	v_mul_hi_u32 v2, v1, v2
	v_add_nc_u32_e32 v1, v1, v2
	s_delay_alu instid0(VALU_DEP_1) | instskip(NEXT) | instid1(VALU_DEP_1)
	v_mul_hi_u32 v1, s0, v1
	v_mul_lo_u32 v2, v1, v0
	v_add_nc_u32_e32 v3, 1, v1
	s_delay_alu instid0(VALU_DEP_2) | instskip(SKIP_1) | instid1(VALU_DEP_1)
	v_sub_nc_u32_e32 v2, s0, v2
	s_abs_i32 s0, s12
	v_sub_nc_u32_e32 v4, v2, v0
	v_cmp_ge_u32_e32 vcc_lo, v2, v0
	s_delay_alu instid0(VALU_DEP_2) | instskip(SKIP_1) | instid1(VALU_DEP_2)
	v_dual_cndmask_b32 v1, v1, v3 :: v_dual_cndmask_b32 v2, v2, v4
	v_xor_b32_e32 v3, s16, v12
	v_add_nc_u32_e32 v4, 1, v1
	s_delay_alu instid0(VALU_DEP_3) | instskip(NEXT) | instid1(VALU_DEP_3)
	v_cmp_ge_u32_e32 vcc_lo, v2, v0
	v_ashrrev_i32_e32 v3, 31, v3
	s_delay_alu instid0(VALU_DEP_3) | instskip(NEXT) | instid1(VALU_DEP_1)
	v_cndmask_b32_e32 v0, v1, v4, vcc_lo
	v_xor_b32_e32 v0, v0, v3
	s_delay_alu instid0(VALU_DEP_1) | instskip(NEXT) | instid1(VALU_DEP_1)
	v_sub_nc_u32_e32 v1, v0, v3
	v_sub_nc_u32_e32 v0, 0, v1
	s_delay_alu instid0(VALU_DEP_1) | instskip(NEXT) | instid1(VALU_DEP_1)
	v_max_i32_e32 v0, v1, v0
	v_cvt_f32_u32_e32 v2, v0
	v_sub_nc_u32_e32 v3, 0, v0
	s_delay_alu instid0(VALU_DEP_2) | instskip(SKIP_2) | instid1(VALU_DEP_1)
	v_rcp_iflag_f32_e32 v2, v2
	s_waitcnt_depctr 0xfff
	v_mul_f32_e32 v2, 0x4f7ffffe, v2
	v_cvt_u32_f32_e32 v2, v2
	s_delay_alu instid0(VALU_DEP_1) | instskip(NEXT) | instid1(VALU_DEP_1)
	v_mul_lo_u32 v3, v3, v2
	v_mul_hi_u32 v3, v2, v3
	s_delay_alu instid0(VALU_DEP_1) | instskip(NEXT) | instid1(VALU_DEP_1)
	v_add_nc_u32_e32 v2, v2, v3
	v_mad_u64_u32 v[16:17], null, s0, v2, 0
	v_cmpx_ne_u64_e32 0, v[19:20]
	s_cbranch_execz .LBB464_3
; %bb.2:
	s_ashr_i32 s13, s12, 31
	s_delay_alu instid0(SALU_CYCLE_1) | instskip(NEXT) | instid1(SALU_CYCLE_1)
	s_lshl_b64 s[2:3], s[12:13], 2
	v_add_co_u32 v2, vcc_lo, v19, s2
	v_add_co_ci_u32_e32 v3, vcc_lo, s3, v20, vcc_lo
	flat_load_b32 v39, v[2:3]
.LBB464_3:
	s_or_b32 exec_lo, exec_lo, s1
	v_and_b32_e32 v12, 0x3ff, v31
	v_ashrrev_i32_e32 v1, 31, v1
	s_ashr_i32 s1, s12, 31
	s_lshl_b32 s6, s12, 7
	s_mov_b32 s2, exec_lo
	v_cmpx_gt_u32_e32 16, v12
	s_cbranch_execz .LBB464_5
; %bb.4:
	v_mul_lo_u32 v2, s4, v21
	s_ashr_i32 s7, s6, 31
	v_lshlrev_b32_e32 v16, 4, v12
	s_lshl_b64 s[18:19], s[6:7], 1
	s_delay_alu instid0(VALU_DEP_2) | instskip(NEXT) | instid1(VALU_DEP_1)
	v_ashrrev_i32_e32 v3, 31, v2
	v_lshlrev_b64 v[2:3], 1, v[2:3]
	s_delay_alu instid0(VALU_DEP_1) | instskip(NEXT) | instid1(VALU_DEP_2)
	v_add_co_u32 v2, vcc_lo, v6, v2
	v_add_co_ci_u32_e32 v3, vcc_lo, v7, v3, vcc_lo
	s_delay_alu instid0(VALU_DEP_2) | instskip(NEXT) | instid1(VALU_DEP_2)
	v_add_co_u32 v2, vcc_lo, v2, s18
	v_add_co_ci_u32_e32 v3, vcc_lo, s19, v3, vcc_lo
	s_delay_alu instid0(VALU_DEP_2) | instskip(NEXT) | instid1(VALU_DEP_2)
	v_add_co_u32 v2, vcc_lo, v2, v16
	v_add_co_ci_u32_e32 v3, vcc_lo, 0, v3, vcc_lo
	flat_load_b128 v[2:5], v[2:3]
	s_waitcnt vmcnt(0) lgkmcnt(0)
	ds_store_b128 v16, v[2:5]
.LBB464_5:
	s_or_b32 exec_lo, exec_lo, s2
	v_mul_lo_u32 v2, v17, v0
	v_dual_mov_b32 v152, 0xff7fffff :: v_dual_add_nc_u32 v3, 1, v17
	v_xor_b32_e32 v1, s1, v1
	s_clause 0x1
	s_load_b32 s13, s[8:9], 0x14
	s_load_b32 s7, s[8:9], 0x8
	s_lshl_b32 s3, s14, 4
	s_mov_b32 s15, exec_lo
	v_sub_nc_u32_e32 v2, s0, v2
	s_add_i32 s0, s3, 16
	s_delay_alu instid0(VALU_DEP_1) | instskip(SKIP_2) | instid1(VALU_DEP_3)
	v_sub_nc_u32_e32 v5, v2, v0
	v_cmp_ge_u32_e32 vcc_lo, v2, v0
	v_dual_cndmask_b32 v3, v17, v3 :: v_dual_add_nc_u32 v4, 31, v36
	v_cndmask_b32_e32 v2, v2, v5, vcc_lo
	s_delay_alu instid0(VALU_DEP_2) | instskip(NEXT) | instid1(VALU_DEP_3)
	v_ashrrev_i32_e32 v6, 31, v4
	v_add_nc_u32_e32 v5, 1, v3
	s_delay_alu instid0(VALU_DEP_3) | instskip(NEXT) | instid1(VALU_DEP_3)
	v_cmp_ge_u32_e32 vcc_lo, v2, v0
	v_lshrrev_b32_e32 v6, 27, v6
	v_mul_lo_u32 v0, s4, v18
	s_delay_alu instid0(VALU_DEP_2) | instskip(SKIP_1) | instid1(VALU_DEP_2)
	v_dual_cndmask_b32 v2, v3, v5 :: v_dual_add_nc_u32 v3, v4, v6
	v_lshrrev_b32_e32 v4, 5, v12
	v_xor_b32_e32 v2, v2, v1
	s_delay_alu instid0(VALU_DEP_3) | instskip(NEXT) | instid1(VALU_DEP_3)
	v_ashrrev_i32_e32 v34, 5, v3
	v_add_nc_u32_e32 v16, s3, v4
	s_delay_alu instid0(VALU_DEP_3) | instskip(SKIP_1) | instid1(VALU_DEP_4)
	v_sub_nc_u32_e32 v2, v2, v1
	v_ashrrev_i32_e32 v1, 31, v0
	v_min_i32_e32 v37, s0, v34
	s_delay_alu instid0(VALU_DEP_4) | instskip(NEXT) | instid1(VALU_DEP_4)
	v_ashrrev_i32_e32 v17, 31, v16
	v_mul_lo_u32 v23, v2, v23
	v_and_b32_e32 v2, 31, v12
	v_lshlrev_b64 v[53:54], 2, v[0:1]
	v_cmp_ge_i32_e64 s0, v16, v37
	s_clause 0x1
	scratch_store_b32 off, v4, s32 offset:680
	scratch_store_b32 off, v2, s32 offset:676
	v_lshlrev_b32_e32 v20, 2, v2
	v_ashrrev_i32_e32 v35, 31, v23
	s_waitcnt vmcnt(0) lgkmcnt(0)
	s_waitcnt_vscnt null, 0x0
	s_barrier
	buffer_gl0_inv
	v_cmpx_lt_i32_e64 v16, v37
	s_cbranch_execz .LBB464_1545
; %bb.6:
	v_mov_b32_e32 v19, 0
	s_clause 0x8
	scratch_store_b32 off, v34, s32 offset:736
	scratch_store_b32 off, v32, s32 offset:732
	;; [unrolled: 1-line block ×7, first 2 shown]
	scratch_store_b64 off, v[26:27], s32 offset:704
	scratch_store_b32 off, v12, s32 offset:692
	s_getpc_b64 s[8:9]
	s_add_u32 s8, s8, llvm.amdgcn.dynlds.offset.table@rel32@lo+4
	s_addc_u32 s9, s9, llvm.amdgcn.dynlds.offset.table@rel32@hi+12
	s_ashr_i32 s11, s10, 31
	v_sub_nc_u32_e32 v157, 1, v36
	ds_load_b128 v[0:3], v19
	ds_load_b128 v[4:7], v19 offset:16
	ds_load_b128 v[26:29], v19 offset:32
	;; [unrolled: 1-line block ×3, first 2 shown]
	s_lshl_b64 s[18:19], s[10:11], 2
	s_mov_b32 s11, 0
	s_add_u32 s8, s18, s8
	s_addc_u32 s9, s19, s9
	scratch_store_b32 off, v15, s32 offset:696 ; 4-byte Folded Spill
	s_load_b32 s1, s[8:9], 0x0
	s_mov_b32 s8, -1
	s_mov_b32 s9, 0xffffff
	s_clause 0x4
	scratch_store_b32 off, v14, s32 offset:700
	scratch_store_b64 off, v[53:54], s32 offset:740
	scratch_store_b32 off, v23, s32 offset:748
	scratch_store_b32 off, v35, s32 offset:752
	;; [unrolled: 1-line block ×3, first 2 shown]
	v_mov_b32_e32 v158, v16
	v_mov_b32_e32 v152, 0xff7fffff
	s_waitcnt lgkmcnt(0)
	v_lshlrev_b32_e32 v74, 16, v0
	v_and_b32_e32 v0, 0xffff0000, v0
	v_and_b32_e32 v10, 0xffff0000, v29
	s_clause 0x1
	scratch_store_b32 off, v0, s32 offset:320
	scratch_store_b32 off, v10, s32 offset:408
	v_lshlrev_b32_e32 v0, 16, v1
	v_lshlrev_b32_e32 v10, 16, v30
	s_clause 0x1
	scratch_store_b32 off, v0, s32 offset:324
	scratch_store_b32 off, v10, s32 offset:412
	v_and_b32_e32 v0, 0xffff0000, v1
	v_and_b32_e32 v10, 0xffff0000, v30
	s_clause 0x1
	scratch_store_b32 off, v0, s32 offset:328
	scratch_store_b32 off, v10, s32 offset:416
	v_lshlrev_b32_e32 v0, 16, v2
	v_lshlrev_b32_e32 v10, 16, v31
	s_clause 0x1
	scratch_store_b32 off, v0, s32 offset:332
	scratch_store_b32 off, v10, s32 offset:420
	;; [unrolled: 10-line block ×4, first 2 shown]
	v_and_b32_e32 v0, 0xffff0000, v4
	v_and_b32_e32 v4, 0xffff0000, v7
	;; [unrolled: 1-line block ×3, first 2 shown]
	ds_load_b128 v[30:33], v19 offset:112
	s_clause 0x2
	scratch_store_b32 off, v0, s32 offset:352
	scratch_store_b32 off, v4, s32 offset:376
	;; [unrolled: 1-line block ×3, first 2 shown]
	v_lshlrev_b32_e32 v0, 16, v5
	v_lshlrev_b32_e32 v4, 16, v26
	s_clause 0x1
	scratch_store_b32 off, v0, s32 offset:356
	scratch_store_b32 off, v4, s32 offset:380
	v_and_b32_e32 v0, 0xffff0000, v5
	v_and_b32_e32 v4, 0xffff0000, v26
	s_clause 0x1
	scratch_store_b32 off, v0, s32 offset:360
	scratch_store_b32 off, v4, s32 offset:384
	v_lshlrev_b32_e32 v0, 16, v6
	v_lshlrev_b32_e32 v4, 16, v27
	s_clause 0x1
	scratch_store_b32 off, v0, s32 offset:364
	scratch_store_b32 off, v4, s32 offset:388
	v_and_b32_e32 v0, 0xffff0000, v6
	v_and_b32_e32 v4, 0xffff0000, v27
	s_clause 0x1
	scratch_store_b32 off, v0, s32 offset:368
	scratch_store_b32 off, v4, s32 offset:392
	v_lshlrev_b32_e32 v0, 16, v7
	v_lshlrev_b32_e32 v4, 16, v28
	s_clause 0x1
	scratch_store_b32 off, v0, s32 offset:372
	scratch_store_b32 off, v4, s32 offset:396
	ds_load_b128 v[0:3], v19 offset:64
	v_and_b32_e32 v4, 0xffff0000, v28
	scratch_store_b32 off, v4, s32 offset:400 ; 4-byte Folded Spill
	v_lshlrev_b32_e32 v4, 16, v29
	ds_load_b128 v[26:29], v19 offset:96
	scratch_store_b32 off, v4, s32 offset:404 ; 4-byte Folded Spill
	ds_load_b128 v[4:7], v19 offset:80
	s_waitcnt lgkmcnt(2)
	v_lshlrev_b32_e32 v10, 16, v0
	v_and_b32_e32 v0, 0xffff0000, v0
	scratch_store_b32 off, v10, s32 offset:444 ; 4-byte Folded Spill
	s_waitcnt lgkmcnt(1)
	v_and_b32_e32 v10, 0xffff0000, v28
	scratch_store_b32 off, v0, s32 offset:448 ; 4-byte Folded Spill
	v_lshlrev_b32_e32 v0, 16, v1
	scratch_store_b32 off, v10, s32 offset:528 ; 4-byte Folded Spill
	v_lshlrev_b32_e32 v10, 16, v29
	scratch_store_b32 off, v0, s32 offset:452 ; 4-byte Folded Spill
	v_and_b32_e32 v0, 0xffff0000, v1
	scratch_store_b32 off, v10, s32 offset:532 ; 4-byte Folded Spill
	v_and_b32_e32 v10, 0xffff0000, v29
	scratch_store_b32 off, v0, s32 offset:456 ; 4-byte Folded Spill
	v_lshlrev_b32_e32 v0, 16, v2
	scratch_store_b32 off, v10, s32 offset:536 ; 4-byte Folded Spill
	v_lshlrev_b32_e32 v10, 16, v30
	scratch_store_b32 off, v0, s32 offset:460 ; 4-byte Folded Spill
	v_and_b32_e32 v0, 0xffff0000, v2
	scratch_store_b32 off, v10, s32 offset:540 ; 4-byte Folded Spill
	;; [unrolled: 8-line block ×3, first 2 shown]
	v_and_b32_e32 v10, 0xffff0000, v31
	scratch_store_b32 off, v0, s32 offset:472 ; 4-byte Folded Spill
	s_waitcnt lgkmcnt(0)
	v_lshlrev_b32_e32 v0, 16, v4
	scratch_store_b32 off, v10, s32 offset:552 ; 4-byte Folded Spill
	v_lshlrev_b32_e32 v10, 16, v32
	scratch_store_b32 off, v0, s32 offset:476 ; 4-byte Folded Spill
	v_and_b32_e32 v0, 0xffff0000, v4
	v_and_b32_e32 v4, 0xffff0000, v7
	scratch_store_b32 off, v10, s32 offset:556 ; 4-byte Folded Spill
	v_and_b32_e32 v10, 0xffff0000, v32
	s_clause 0x1
	scratch_store_b32 off, v0, s32 offset:480
	scratch_store_b32 off, v4, s32 offset:504
	v_lshlrev_b32_e32 v0, 16, v5
	v_lshlrev_b32_e32 v4, 16, v26
	scratch_store_b32 off, v10, s32 offset:560 ; 4-byte Folded Spill
	v_lshlrev_b32_e32 v10, 16, v33
	s_clause 0x1
	scratch_store_b32 off, v0, s32 offset:484
	scratch_store_b32 off, v4, s32 offset:508
	v_and_b32_e32 v0, 0xffff0000, v5
	scratch_store_b32 off, v10, s32 offset:564 ; 4-byte Folded Spill
	v_and_b32_e32 v4, 0xffff0000, v26
	v_and_b32_e32 v10, 0xffff0000, v33
	ds_load_b128 v[30:33], v19 offset:176
	scratch_store_b32 off, v0, s32 offset:488 ; 4-byte Folded Spill
	v_lshlrev_b32_e32 v0, 16, v6
	s_clause 0x1
	scratch_store_b32 off, v4, s32 offset:512
	scratch_store_b32 off, v10, s32 offset:568
	v_lshlrev_b32_e32 v4, 16, v27
	scratch_store_b32 off, v0, s32 offset:492 ; 4-byte Folded Spill
	v_and_b32_e32 v0, 0xffff0000, v6
	scratch_store_b32 off, v4, s32 offset:516 ; 4-byte Folded Spill
	v_and_b32_e32 v4, 0xffff0000, v27
	scratch_store_b32 off, v0, s32 offset:496 ; 4-byte Folded Spill
	v_lshlrev_b32_e32 v0, 16, v7
	scratch_store_b32 off, v4, s32 offset:520 ; 4-byte Folded Spill
	v_lshlrev_b32_e32 v4, 16, v28
	ds_load_b128 v[26:29], v19 offset:160
	scratch_store_b32 off, v0, s32 offset:500 ; 4-byte Folded Spill
	ds_load_b128 v[0:3], v19 offset:128
	s_waitcnt lgkmcnt(2)
	v_lshlrev_b32_e32 v76, 16, v31
	scratch_store_b32 off, v4, s32 offset:524 ; 4-byte Folded Spill
	ds_load_b128 v[4:7], v19 offset:144
	v_and_b32_e32 v77, 0xffff0000, v31
	v_lshlrev_b32_e32 v78, 16, v32
	v_and_b32_e32 v79, 0xffff0000, v32
	v_lshlrev_b32_e32 v88, 16, v33
	v_and_b32_e32 v89, 0xffff0000, v33
	s_waitcnt lgkmcnt(1)
	v_lshlrev_b32_e32 v10, 16, v0
	v_and_b32_e32 v0, 0xffff0000, v0
	scratch_store_b32 off, v10, s32 offset:572 ; 4-byte Folded Spill
	v_and_b32_e32 v10, 0xffff0000, v29
	scratch_store_b32 off, v0, s32 offset:576 ; 4-byte Folded Spill
	v_lshlrev_b32_e32 v0, 16, v1
	scratch_store_b32 off, v10, s32 offset:664 ; 4-byte Folded Spill
	v_lshlrev_b32_e32 v10, 16, v30
	scratch_store_b32 off, v0, s32 offset:580 ; 4-byte Folded Spill
	v_and_b32_e32 v0, 0xffff0000, v1
	scratch_store_b32 off, v10, s32 offset:668 ; 4-byte Folded Spill
	v_and_b32_e32 v10, 0xffff0000, v30
	scratch_store_b32 off, v0, s32 offset:584 ; 4-byte Folded Spill
	v_lshlrev_b32_e32 v0, 16, v2
	ds_load_b128 v[30:33], v19 offset:240
	s_clause 0x1
	scratch_store_b32 off, v10, s32 offset:672
	scratch_store_b32 off, v0, s32 offset:588
	v_and_b32_e32 v0, 0xffff0000, v2
	scratch_store_b32 off, v0, s32 offset:592 ; 4-byte Folded Spill
	v_lshlrev_b32_e32 v0, 16, v3
	scratch_store_b32 off, v0, s32 offset:596 ; 4-byte Folded Spill
	v_and_b32_e32 v0, 0xffff0000, v3
	s_waitcnt lgkmcnt(0)
	v_lshlrev_b32_e32 v138, 16, v30
	v_and_b32_e32 v139, 0xffff0000, v30
	scratch_store_b32 off, v0, s32 offset:600 ; 4-byte Folded Spill
	v_lshlrev_b32_e32 v0, 16, v4
	v_lshlrev_b32_e32 v140, 16, v31
	v_and_b32_e32 v141, 0xffff0000, v31
	v_lshlrev_b32_e32 v142, 16, v32
	v_and_b32_e32 v143, 0xffff0000, v32
	scratch_store_b32 off, v0, s32 offset:604 ; 4-byte Folded Spill
	v_and_b32_e32 v0, 0xffff0000, v4
	v_and_b32_e32 v4, 0xffff0000, v7
	v_lshlrev_b32_e32 v153, 16, v33
	v_and_b32_e32 v154, 0xffff0000, v33
	s_clause 0x1
	scratch_store_b32 off, v0, s32 offset:608
	scratch_store_b32 off, v4, s32 offset:632
	v_lshlrev_b32_e32 v0, 16, v5
	v_lshlrev_b32_e32 v4, 16, v26
	s_clause 0x1
	scratch_store_b32 off, v0, s32 offset:612
	scratch_store_b32 off, v4, s32 offset:636
	v_and_b32_e32 v0, 0xffff0000, v5
	v_and_b32_e32 v4, 0xffff0000, v26
	s_clause 0x1
	scratch_store_b32 off, v0, s32 offset:616
	scratch_store_b32 off, v4, s32 offset:640
	v_lshlrev_b32_e32 v0, 16, v6
	v_lshlrev_b32_e32 v4, 16, v27
	s_clause 0x1
	scratch_store_b32 off, v0, s32 offset:620
	scratch_store_b32 off, v4, s32 offset:644
	v_and_b32_e32 v0, 0xffff0000, v6
	;; [unrolled: 10-line block ×3, first 2 shown]
	ds_load_b128 v[0:3], v19 offset:192
	scratch_store_b32 off, v4, s32 offset:656 ; 4-byte Folded Spill
	v_lshlrev_b32_e32 v4, 16, v29
	ds_load_b128 v[26:29], v19 offset:224
	scratch_store_b32 off, v4, s32 offset:660 ; 4-byte Folded Spill
	ds_load_b128 v[4:7], v19 offset:208
	s_waitcnt lgkmcnt(2)
	v_lshlrev_b32_e32 v90, 16, v0
	v_and_b32_e32 v91, 0xffff0000, v0
	v_lshlrev_b32_e32 v92, 16, v1
	v_and_b32_e32 v93, 0xffff0000, v1
	v_lshlrev_b64 v[0:1], 2, v[16:17]
	v_lshlrev_b32_e32 v94, 16, v2
	v_and_b32_e32 v95, 0xffff0000, v2
	v_add_co_u32 v2, vcc_lo, v8, v23
	v_lshlrev_b32_e32 v104, 16, v3
	v_and_b32_e32 v105, 0xffff0000, v3
	s_waitcnt lgkmcnt(0)
	v_lshlrev_b32_e32 v108, 16, v5
	v_and_b32_e32 v109, 0xffff0000, v5
	scratch_load_b32 v5, off, s32 offset:676 ; 4-byte Folded Reload
	v_lshlrev_b32_e32 v106, 16, v4
	v_and_b32_e32 v107, 0xffff0000, v4
	v_add_co_ci_u32_e32 v3, vcc_lo, v9, v35, vcc_lo
	v_add_co_u32 v0, vcc_lo, v53, v0
	v_add_co_ci_u32_e32 v1, vcc_lo, v54, v1, vcc_lo
	v_lshlrev_b32_e32 v110, 16, v6
	v_and_b32_e32 v111, 0xffff0000, v6
	v_lshlrev_b32_e32 v120, 16, v7
	v_and_b32_e32 v121, 0xffff0000, v7
	;; [unrolled: 2-line block ×6, first 2 shown]
	s_waitcnt vmcnt(0)
	v_lshlrev_b32_e32 v4, 4, v5
	s_delay_alu instid0(VALU_DEP_1)
	v_add_co_u32 v8, vcc_lo, v2, v4
	v_add_co_ci_u32_e32 v9, vcc_lo, 0, v3, vcc_lo
	scratch_load_b32 v3, off, s32 offset:680 ; 4-byte Folded Reload
	s_waitcnt vmcnt(0)
	v_lshlrev_b32_e32 v2, 5, v3
	v_lshl_or_b32 v3, v3, 7, v20
	v_add_co_u32 v20, vcc_lo, v14, v0
	v_add_co_ci_u32_e32 v21, vcc_lo, v15, v1, vcc_lo
	v_cmp_neq_f32_e32 vcc_lo, 0, v39
	v_add3_u32 v155, s17, v2, v5
	v_add_nc_u32_e32 v156, s1, v3
	s_branch .LBB464_8
.LBB464_7:                              ;   in Loop: Header=BB464_8 Depth=1
	s_or_b32 exec_lo, exec_lo, s2
	scratch_load_b32 v31, off, s32 offset:348 ; 4-byte Folded Reload
	v_and_b32_e32 v28, 0xffff0000, v184
	v_and_b32_e32 v29, 0xffff0000, v159
	;; [unrolled: 1-line block ×7, first 2 shown]
	v_cmp_lt_i32_e64 s1, v155, v36
	v_add_nc_u32_e32 v158, 4, v158
	v_add_co_u32 v20, s2, v20, 16
	s_delay_alu instid0(VALU_DEP_1)
	v_add_co_ci_u32_e64 v21, s2, 0, v21, s2
	s_clause 0x1
	scratch_load_b32 v73, off, s32 offset:372
	scratch_load_b32 v75, off, s32 offset:376
	v_and_b32_e32 v0, 0xffff0000, v0
	s_waitcnt vmcnt(2)
	v_mul_f32_e32 v184, v31, v28
	scratch_load_b32 v31, off, s32 offset:352 ; 4-byte Folded Reload
	v_and_b32_e32 v28, 0xffff0000, v185
	v_fmac_f32_e32 v184, v74, v29
	v_and_b32_e32 v29, 0xffff0000, v169
	s_waitcnt vmcnt(0)
	s_delay_alu instid0(VALU_DEP_3)
	v_mul_f32_e32 v185, v31, v28
	s_clause 0x1
	scratch_load_b32 v28, off, s32 offset:320
	scratch_load_b32 v31, off, s32 offset:356
	s_waitcnt vmcnt(1)
	v_dual_fmac_f32 v185, v28, v29 :: v_dual_and_b32 v28, 0xffff0000, v186
	v_and_b32_e32 v29, 0xffff0000, v170
	s_waitcnt vmcnt(0)
	s_delay_alu instid0(VALU_DEP_2)
	v_mul_f32_e32 v169, v31, v28
	s_clause 0x1
	scratch_load_b32 v28, off, s32 offset:324
	scratch_load_b32 v31, off, s32 offset:360
	s_waitcnt vmcnt(1)
	v_dual_fmac_f32 v169, v28, v29 :: v_dual_and_b32 v28, 0xffff0000, v187
	s_waitcnt vmcnt(0)
	s_delay_alu instid0(VALU_DEP_1)
	v_dual_mul_f32 v168, v31, v28 :: v_dual_and_b32 v29, 0xffff0000, v171
	s_clause 0x1
	scratch_load_b32 v28, off, s32 offset:328
	scratch_load_b32 v31, off, s32 offset:364
	s_waitcnt vmcnt(1)
	v_dual_fmac_f32 v168, v28, v29 :: v_dual_and_b32 v29, 0xffff0000, v172
	v_and_b32_e32 v28, 0xffff0000, v188
	s_waitcnt vmcnt(0)
	s_delay_alu instid0(VALU_DEP_1)
	v_mul_f32_e32 v159, v31, v28
	scratch_load_b32 v28, off, s32 offset:332 ; 4-byte Folded Reload
	v_and_b32_e32 v31, 0xffff0000, v173
	s_waitcnt vmcnt(0)
	v_fmac_f32_e32 v159, v28, v29
	scratch_load_b32 v29, off, s32 offset:368 ; 4-byte Folded Reload
	v_and_b32_e32 v28, 0xffff0000, v189
	s_waitcnt vmcnt(0)
	s_delay_alu instid0(VALU_DEP_1) | instskip(SKIP_3) | instid1(VALU_DEP_1)
	v_mul_f32_e32 v29, v29, v28
	scratch_load_b32 v28, off, s32 offset:336 ; 4-byte Folded Reload
	s_waitcnt vmcnt(0)
	v_dual_fmac_f32 v29, v28, v31 :: v_dual_and_b32 v28, 0xffff0000, v190
	v_dual_mul_f32 v28, v73, v28 :: v_dual_and_b32 v31, 0xffff0000, v174
	scratch_load_b32 v73, off, s32 offset:340 ; 4-byte Folded Reload
	s_waitcnt vmcnt(0)
	v_fmac_f32_e32 v28, v73, v31
	v_and_b32_e32 v31, 0xffff0000, v191
	v_and_b32_e32 v73, 0xffff0000, v175
	s_delay_alu instid0(VALU_DEP_2)
	v_mul_f32_e32 v31, v75, v31
	scratch_load_b32 v75, off, s32 offset:344 ; 4-byte Folded Reload
	s_waitcnt vmcnt(0)
	v_fmac_f32_e32 v31, v75, v73
	scratch_load_b32 v73, off, s32 offset:380 ; 4-byte Folded Reload
	s_waitcnt vmcnt(0)
	v_fmac_f32_e32 v184, v73, v38
	;; [unrolled: 3-line block ×4, first 2 shown]
	scratch_load_b32 v5, off, s32 offset:392 ; 4-byte Folded Reload
	v_and_b32_e32 v4, 0xffff0000, v35
	s_waitcnt vmcnt(0)
	s_delay_alu instid0(VALU_DEP_1)
	v_fmac_f32_e32 v168, v5, v4
	v_and_b32_e32 v4, 0xffff0000, v23
	scratch_load_b32 v5, off, s32 offset:396 ; 4-byte Folded Reload
	s_waitcnt vmcnt(0)
	v_fmac_f32_e32 v159, v5, v4
	scratch_load_b32 v5, off, s32 offset:400 ; 4-byte Folded Reload
	v_and_b32_e32 v4, 0xffff0000, v54
	s_waitcnt vmcnt(0)
	s_delay_alu instid0(VALU_DEP_1) | instskip(SKIP_3) | instid1(VALU_DEP_1)
	v_fmac_f32_e32 v29, v5, v4
	scratch_load_b32 v5, off, s32 offset:404 ; 4-byte Folded Reload
	v_and_b32_e32 v4, 0xffff0000, v12
	s_waitcnt vmcnt(0)
	v_fmac_f32_e32 v28, v5, v4
	scratch_load_b32 v5, off, s32 offset:408 ; 4-byte Folded Reload
	v_and_b32_e32 v4, 0xffff0000, v11
	s_waitcnt vmcnt(0)
	s_delay_alu instid0(VALU_DEP_1)
	v_dual_fmac_f32 v31, v5, v4 :: v_dual_and_b32 v4, 0xffff0000, v10
	scratch_load_b32 v5, off, s32 offset:412 ; 4-byte Folded Reload
	s_waitcnt vmcnt(0)
	v_fmac_f32_e32 v184, v5, v4
	scratch_load_b32 v5, off, s32 offset:416 ; 4-byte Folded Reload
	v_and_b32_e32 v4, 0xffff0000, v6
	s_waitcnt vmcnt(0)
	s_delay_alu instid0(VALU_DEP_1)
	v_dual_fmac_f32 v185, v5, v4 :: v_dual_and_b32 v4, 0xffff0000, v7
	scratch_load_b32 v5, off, s32 offset:420 ; 4-byte Folded Reload
	s_waitcnt vmcnt(0)
	v_fmac_f32_e32 v169, v5, v4
	scratch_load_b32 v4, off, s32 offset:424 ; 4-byte Folded Reload
	s_waitcnt vmcnt(0)
	v_fmac_f32_e32 v168, v4, v2
	v_and_b32_e32 v2, 0xffff0000, v3
	scratch_load_b32 v3, off, s32 offset:428 ; 4-byte Folded Reload
	s_waitcnt vmcnt(0)
	v_fmac_f32_e32 v159, v3, v2
	scratch_load_b32 v3, off, s32 offset:432 ; 4-byte Folded Reload
	v_and_b32_e32 v2, 0xffff0000, v14
	s_waitcnt vmcnt(0)
	s_delay_alu instid0(VALU_DEP_1) | instskip(SKIP_3) | instid1(VALU_DEP_1)
	v_fmac_f32_e32 v29, v3, v2
	scratch_load_b32 v3, off, s32 offset:436 ; 4-byte Folded Reload
	v_and_b32_e32 v2, 0xffff0000, v15
	s_waitcnt vmcnt(0)
	v_fmac_f32_e32 v28, v3, v2
	scratch_load_b32 v3, off, s32 offset:440 ; 4-byte Folded Reload
	v_and_b32_e32 v2, 0xffff0000, v53
	s_waitcnt vmcnt(0)
	s_delay_alu instid0(VALU_DEP_1) | instskip(SKIP_3) | instid1(VALU_DEP_1)
	v_fmac_f32_e32 v31, v3, v2
	scratch_load_b32 v3, off, s32 offset:444 ; 4-byte Folded Reload
	v_and_b32_e32 v2, 0xffff0000, v34
	s_waitcnt vmcnt(0)
	v_fmac_f32_e32 v184, v3, v2
	scratch_load_b32 v3, off, s32 offset:448 ; 4-byte Folded Reload
	v_and_b32_e32 v2, 0xffff0000, v48
	s_waitcnt vmcnt(0)
	s_delay_alu instid0(VALU_DEP_1)
	v_fmac_f32_e32 v185, v3, v2
	scratch_load_b32 v2, off, s32 offset:452 ; 4-byte Folded Reload
	s_waitcnt vmcnt(0)
	v_fmac_f32_e32 v169, v2, v1
	scratch_load_b32 v1, off, s32 offset:456 ; 4-byte Folded Reload
	s_waitcnt vmcnt(0)
	v_fmac_f32_e32 v168, v1, v0
	scratch_load_b32 v1, off, s32 offset:460 ; 4-byte Folded Reload
	v_and_b32_e32 v0, 0xffff0000, v27
	s_waitcnt vmcnt(0)
	s_delay_alu instid0(VALU_DEP_1) | instskip(SKIP_3) | instid1(VALU_DEP_1)
	v_fmac_f32_e32 v159, v1, v0
	scratch_load_b32 v1, off, s32 offset:464 ; 4-byte Folded Reload
	v_and_b32_e32 v0, 0xffff0000, v26
	s_waitcnt vmcnt(0)
	v_fmac_f32_e32 v29, v1, v0
	scratch_load_b32 v1, off, s32 offset:468 ; 4-byte Folded Reload
	v_and_b32_e32 v0, 0xffff0000, v49
	s_waitcnt vmcnt(0)
	s_delay_alu instid0(VALU_DEP_1) | instskip(SKIP_3) | instid1(VALU_DEP_1)
	v_fmac_f32_e32 v28, v1, v0
	scratch_load_b32 v1, off, s32 offset:472 ; 4-byte Folded Reload
	v_and_b32_e32 v0, 0xffff0000, v50
	s_waitcnt vmcnt(0)
	v_fmac_f32_e32 v31, v1, v0
	scratch_load_b32 v1, off, s32 offset:476 ; 4-byte Folded Reload
	v_and_b32_e32 v0, 0xffff0000, v51
	s_waitcnt vmcnt(0)
	s_delay_alu instid0(VALU_DEP_1) | instskip(SKIP_3) | instid1(VALU_DEP_1)
	v_fmac_f32_e32 v184, v1, v0
	scratch_load_b32 v1, off, s32 offset:480 ; 4-byte Folded Reload
	v_and_b32_e32 v0, 0xffff0000, v52
	s_waitcnt vmcnt(0)
	v_fmac_f32_e32 v185, v1, v0
	scratch_load_b32 v1, off, s32 offset:484 ; 4-byte Folded Reload
	v_and_b32_e32 v0, 0xffff0000, v55
	s_waitcnt vmcnt(0)
	s_delay_alu instid0(VALU_DEP_1) | instskip(SKIP_3) | instid1(VALU_DEP_1)
	v_fmac_f32_e32 v169, v1, v0
	scratch_load_b32 v1, off, s32 offset:488 ; 4-byte Folded Reload
	v_and_b32_e32 v0, 0xffff0000, v64
	s_waitcnt vmcnt(0)
	v_fmac_f32_e32 v168, v1, v0
	scratch_load_b32 v1, off, s32 offset:492 ; 4-byte Folded Reload
	v_and_b32_e32 v0, 0xffff0000, v65
	s_waitcnt vmcnt(0)
	s_delay_alu instid0(VALU_DEP_1) | instskip(SKIP_3) | instid1(VALU_DEP_1)
	v_fmac_f32_e32 v159, v1, v0
	scratch_load_b32 v1, off, s32 offset:496 ; 4-byte Folded Reload
	v_and_b32_e32 v0, 0xffff0000, v66
	s_waitcnt vmcnt(0)
	v_dual_fmac_f32 v29, v1, v0 :: v_dual_and_b32 v0, 0xffff0000, v67
	scratch_load_b32 v1, off, s32 offset:500 ; 4-byte Folded Reload
	s_waitcnt vmcnt(0)
	v_fmac_f32_e32 v28, v1, v0
	scratch_load_b32 v1, off, s32 offset:504 ; 4-byte Folded Reload
	v_and_b32_e32 v0, 0xffff0000, v68
	s_waitcnt vmcnt(0)
	s_delay_alu instid0(VALU_DEP_1)
	v_dual_fmac_f32 v31, v1, v0 :: v_dual_and_b32 v0, 0xffff0000, v69
	scratch_load_b32 v1, off, s32 offset:508 ; 4-byte Folded Reload
	s_waitcnt vmcnt(0)
	v_fmac_f32_e32 v184, v1, v0
	scratch_load_b32 v1, off, s32 offset:512 ; 4-byte Folded Reload
	v_and_b32_e32 v0, 0xffff0000, v70
	s_waitcnt vmcnt(0)
	s_delay_alu instid0(VALU_DEP_1)
	v_dual_fmac_f32 v185, v1, v0 :: v_dual_and_b32 v0, 0xffff0000, v71
	scratch_load_b32 v1, off, s32 offset:516 ; 4-byte Folded Reload
	s_waitcnt vmcnt(0)
	v_fmac_f32_e32 v169, v1, v0
	scratch_load_b32 v1, off, s32 offset:520 ; 4-byte Folded Reload
	v_and_b32_e32 v0, 0xffff0000, v80
	s_waitcnt vmcnt(0)
	s_delay_alu instid0(VALU_DEP_1) | instskip(SKIP_3) | instid1(VALU_DEP_1)
	v_fmac_f32_e32 v168, v1, v0
	scratch_load_b32 v1, off, s32 offset:524 ; 4-byte Folded Reload
	v_and_b32_e32 v0, 0xffff0000, v81
	s_waitcnt vmcnt(0)
	v_dual_fmac_f32 v159, v1, v0 :: v_dual_and_b32 v0, 0xffff0000, v82
	scratch_load_b32 v1, off, s32 offset:528 ; 4-byte Folded Reload
	s_waitcnt vmcnt(0)
	v_dual_fmac_f32 v29, v1, v0 :: v_dual_and_b32 v0, 0xffff0000, v83
	scratch_load_b32 v1, off, s32 offset:532 ; 4-byte Folded Reload
	s_waitcnt vmcnt(0)
	v_fmac_f32_e32 v28, v1, v0
	scratch_load_b32 v1, off, s32 offset:536 ; 4-byte Folded Reload
	v_and_b32_e32 v0, 0xffff0000, v84
	s_waitcnt vmcnt(0)
	s_delay_alu instid0(VALU_DEP_1)
	v_dual_fmac_f32 v31, v1, v0 :: v_dual_and_b32 v0, 0xffff0000, v85
	scratch_load_b32 v1, off, s32 offset:540 ; 4-byte Folded Reload
	s_waitcnt vmcnt(0)
	v_fmac_f32_e32 v184, v1, v0
	scratch_load_b32 v1, off, s32 offset:544 ; 4-byte Folded Reload
	v_and_b32_e32 v0, 0xffff0000, v86
	s_waitcnt vmcnt(0)
	s_delay_alu instid0(VALU_DEP_1)
	v_dual_fmac_f32 v185, v1, v0 :: v_dual_and_b32 v0, 0xffff0000, v87
	scratch_load_b32 v1, off, s32 offset:548 ; 4-byte Folded Reload
	s_waitcnt vmcnt(0)
	v_fmac_f32_e32 v169, v1, v0
	scratch_load_b32 v1, off, s32 offset:552 ; 4-byte Folded Reload
	v_and_b32_e32 v0, 0xffff0000, v96
	s_waitcnt vmcnt(0)
	s_delay_alu instid0(VALU_DEP_1) | instskip(SKIP_3) | instid1(VALU_DEP_1)
	v_fmac_f32_e32 v168, v1, v0
	scratch_load_b32 v1, off, s32 offset:556 ; 4-byte Folded Reload
	v_and_b32_e32 v0, 0xffff0000, v97
	s_waitcnt vmcnt(0)
	v_dual_fmac_f32 v159, v1, v0 :: v_dual_and_b32 v0, 0xffff0000, v98
	scratch_load_b32 v1, off, s32 offset:560 ; 4-byte Folded Reload
	s_waitcnt vmcnt(0)
	v_dual_fmac_f32 v29, v1, v0 :: v_dual_and_b32 v0, 0xffff0000, v99
	scratch_load_b32 v1, off, s32 offset:564 ; 4-byte Folded Reload
	s_waitcnt vmcnt(0)
	v_fmac_f32_e32 v28, v1, v0
	scratch_load_b32 v1, off, s32 offset:568 ; 4-byte Folded Reload
	v_and_b32_e32 v0, 0xffff0000, v100
	s_waitcnt vmcnt(0)
	s_delay_alu instid0(VALU_DEP_1)
	v_dual_fmac_f32 v31, v1, v0 :: v_dual_and_b32 v0, 0xffff0000, v101
	scratch_load_b32 v1, off, s32 offset:572 ; 4-byte Folded Reload
	s_waitcnt vmcnt(0)
	v_fmac_f32_e32 v184, v1, v0
	scratch_load_b32 v1, off, s32 offset:576 ; 4-byte Folded Reload
	v_and_b32_e32 v0, 0xffff0000, v102
	s_waitcnt vmcnt(0)
	s_delay_alu instid0(VALU_DEP_1)
	v_dual_fmac_f32 v185, v1, v0 :: v_dual_and_b32 v0, 0xffff0000, v103
	scratch_load_b32 v1, off, s32 offset:580 ; 4-byte Folded Reload
	s_waitcnt vmcnt(0)
	v_fmac_f32_e32 v169, v1, v0
	scratch_load_b32 v1, off, s32 offset:584 ; 4-byte Folded Reload
	v_and_b32_e32 v0, 0xffff0000, v112
	s_waitcnt vmcnt(0)
	s_delay_alu instid0(VALU_DEP_1)
	v_fmac_f32_e32 v168, v1, v0
	v_and_b32_e32 v0, 0xffff0000, v113
	scratch_load_b32 v1, off, s32 offset:588 ; 4-byte Folded Reload
	s_waitcnt vmcnt(0)
	v_dual_fmac_f32 v159, v1, v0 :: v_dual_and_b32 v0, 0xffff0000, v114
	scratch_load_b32 v1, off, s32 offset:592 ; 4-byte Folded Reload
	s_waitcnt vmcnt(0)
	v_dual_fmac_f32 v29, v1, v0 :: v_dual_and_b32 v0, 0xffff0000, v115
	scratch_load_b32 v1, off, s32 offset:596 ; 4-byte Folded Reload
	s_waitcnt vmcnt(0)
	v_fmac_f32_e32 v28, v1, v0
	scratch_load_b32 v1, off, s32 offset:600 ; 4-byte Folded Reload
	v_and_b32_e32 v0, 0xffff0000, v116
	s_waitcnt vmcnt(0)
	s_delay_alu instid0(VALU_DEP_1)
	v_dual_fmac_f32 v31, v1, v0 :: v_dual_and_b32 v0, 0xffff0000, v117
	scratch_load_b32 v1, off, s32 offset:604 ; 4-byte Folded Reload
	s_waitcnt vmcnt(0)
	v_fmac_f32_e32 v184, v1, v0
	scratch_load_b32 v1, off, s32 offset:608 ; 4-byte Folded Reload
	v_and_b32_e32 v0, 0xffff0000, v118
	s_waitcnt vmcnt(0)
	s_delay_alu instid0(VALU_DEP_1)
	v_dual_fmac_f32 v185, v1, v0 :: v_dual_and_b32 v0, 0xffff0000, v119
	scratch_load_b32 v1, off, s32 offset:612 ; 4-byte Folded Reload
	s_waitcnt vmcnt(0)
	v_fmac_f32_e32 v169, v1, v0
	scratch_load_b32 v1, off, s32 offset:616 ; 4-byte Folded Reload
	v_and_b32_e32 v0, 0xffff0000, v128
	s_waitcnt vmcnt(0)
	s_delay_alu instid0(VALU_DEP_1)
	v_fmac_f32_e32 v168, v1, v0
	v_and_b32_e32 v0, 0xffff0000, v129
	scratch_load_b32 v1, off, s32 offset:620 ; 4-byte Folded Reload
	;; [unrolled: 31-line block ×3, first 2 shown]
	s_waitcnt vmcnt(0)
	v_dual_fmac_f32 v159, v1, v0 :: v_dual_and_b32 v0, 0xffff0000, v146
	scratch_load_b32 v1, off, s32 offset:656 ; 4-byte Folded Reload
	s_waitcnt vmcnt(0)
	v_dual_fmac_f32 v29, v1, v0 :: v_dual_and_b32 v0, 0xffff0000, v147
	scratch_load_b32 v1, off, s32 offset:660 ; 4-byte Folded Reload
	s_waitcnt vmcnt(0)
	v_fmac_f32_e32 v28, v1, v0
	scratch_load_b32 v1, off, s32 offset:664 ; 4-byte Folded Reload
	v_and_b32_e32 v0, 0xffff0000, v148
	s_waitcnt vmcnt(0)
	s_delay_alu instid0(VALU_DEP_1)
	v_dual_fmac_f32 v31, v1, v0 :: v_dual_and_b32 v0, 0xffff0000, v149
	scratch_load_b32 v1, off, s32 offset:668 ; 4-byte Folded Reload
	s_waitcnt vmcnt(0)
	v_fmac_f32_e32 v184, v1, v0
	scratch_load_b32 v1, off, s32 offset:672 ; 4-byte Folded Reload
	v_and_b32_e32 v0, 0xffff0000, v150
	s_waitcnt vmcnt(0)
	s_delay_alu instid0(VALU_DEP_1) | instskip(SKIP_1) | instid1(VALU_DEP_2)
	v_dual_fmac_f32 v185, v1, v0 :: v_dual_and_b32 v0, 0xffff0000, v151
	v_and_b32_e32 v1, 0xffff0000, v179
	v_fmac_f32_e32 v169, v76, v0
	v_and_b32_e32 v0, 0xffff0000, v160
	s_delay_alu instid0(VALU_DEP_1) | instskip(SKIP_1) | instid1(VALU_DEP_1)
	v_fmac_f32_e32 v168, v77, v0
	v_and_b32_e32 v0, 0xffff0000, v161
	v_dual_fmac_f32 v159, v78, v0 :: v_dual_and_b32 v0, 0xffff0000, v165
	s_delay_alu instid0(VALU_DEP_1) | instskip(SKIP_1) | instid1(VALU_DEP_1)
	v_fmac_f32_e32 v184, v90, v0
	v_and_b32_e32 v0, 0xffff0000, v166
	v_dual_fmac_f32 v185, v91, v0 :: v_dual_and_b32 v0, 0xffff0000, v162
	s_delay_alu instid0(VALU_DEP_1) | instskip(NEXT) | instid1(VALU_DEP_1)
	v_dual_fmac_f32 v29, v79, v0 :: v_dual_and_b32 v0, 0xffff0000, v163
	v_fmac_f32_e32 v28, v88, v0
	v_and_b32_e32 v0, 0xffff0000, v167
	s_delay_alu instid0(VALU_DEP_2) | instskip(NEXT) | instid1(VALU_DEP_2)
	v_fmac_f32_e32 v28, v104, v1
	v_dual_fmac_f32 v169, v92, v0 :: v_dual_and_b32 v0, 0xffff0000, v181
	s_delay_alu instid0(VALU_DEP_1) | instskip(SKIP_1) | instid1(VALU_DEP_1)
	v_dual_fmac_f32 v184, v106, v0 :: v_dual_and_b32 v1, 0xffff0000, v42
	v_and_b32_e32 v0, 0xffff0000, v182
	v_fmac_f32_e32 v185, v107, v0
	v_and_b32_e32 v0, 0xffff0000, v164
	s_delay_alu instid0(VALU_DEP_1) | instskip(SKIP_1) | instid1(VALU_DEP_1)
	v_fmac_f32_e32 v31, v89, v0
	v_and_b32_e32 v0, 0xffff0000, v176
	v_fmac_f32_e32 v168, v93, v0
	v_and_b32_e32 v0, 0xffff0000, v183
	s_delay_alu instid0(VALU_DEP_1) | instskip(NEXT) | instid1(VALU_DEP_1)
	v_dual_fmac_f32 v169, v108, v0 :: v_dual_and_b32 v0, 0xffff0000, v45
	v_fmac_f32_e32 v184, v122, v0
	v_and_b32_e32 v0, 0xffff0000, v46
	s_delay_alu instid0(VALU_DEP_1) | instskip(NEXT) | instid1(VALU_DEP_1)
	v_dual_fmac_f32 v185, v123, v0 :: v_dual_and_b32 v0, 0xffff0000, v177
	v_fmac_f32_e32 v159, v94, v0
	v_and_b32_e32 v0, 0xffff0000, v40
	s_delay_alu instid0(VALU_DEP_1) | instskip(SKIP_1) | instid1(VALU_DEP_1)
	v_fmac_f32_e32 v168, v109, v0
	v_and_b32_e32 v0, 0xffff0000, v47
	v_dual_fmac_f32 v169, v124, v0 :: v_dual_and_b32 v0, 0xffff0000, v59
	s_delay_alu instid0(VALU_DEP_1) | instskip(SKIP_1) | instid1(VALU_DEP_1)
	v_fmac_f32_e32 v184, v138, v0
	v_and_b32_e32 v0, 0xffff0000, v60
	v_dual_fmac_f32 v185, v139, v0 :: v_dual_and_b32 v0, 0xffff0000, v178
	s_delay_alu instid0(VALU_DEP_1) | instskip(NEXT) | instid1(VALU_DEP_1)
	v_dual_fmac_f32 v29, v95, v0 :: v_dual_and_b32 v0, 0xffff0000, v41
	v_fmac_f32_e32 v29, v111, v1
	s_delay_alu instid0(VALU_DEP_2) | instskip(SKIP_1) | instid1(VALU_DEP_1)
	v_fmac_f32_e32 v159, v110, v0
	v_and_b32_e32 v0, 0xffff0000, v56
	v_dual_fmac_f32 v168, v125, v0 :: v_dual_and_b32 v1, 0xffff0000, v57
	v_and_b32_e32 v0, 0xffff0000, v61
	s_delay_alu instid0(VALU_DEP_2) | instskip(SKIP_1) | instid1(VALU_DEP_3)
	v_fmac_f32_e32 v159, v126, v1
	v_and_b32_e32 v1, 0xffff0000, v62
	v_fmac_f32_e32 v169, v140, v0
	v_add_f32_e32 v0, v184, v185
	s_delay_alu instid0(VALU_DEP_3) | instskip(NEXT) | instid1(VALU_DEP_2)
	v_dual_fmac_f32 v168, v141, v1 :: v_dual_and_b32 v1, 0xffff0000, v180
	v_add_f32_e32 v0, v0, v169
	s_delay_alu instid0(VALU_DEP_2) | instskip(SKIP_1) | instid1(VALU_DEP_1)
	v_fmac_f32_e32 v31, v105, v1
	v_and_b32_e32 v1, 0xffff0000, v43
	v_dual_fmac_f32 v28, v120, v1 :: v_dual_and_b32 v1, 0xffff0000, v58
	s_delay_alu instid0(VALU_DEP_1) | instskip(SKIP_1) | instid1(VALU_DEP_1)
	v_fmac_f32_e32 v29, v127, v1
	v_and_b32_e32 v1, 0xffff0000, v63
	v_fmac_f32_e32 v159, v142, v1
	v_and_b32_e32 v1, 0xffff0000, v44
	s_delay_alu instid0(VALU_DEP_1) | instskip(SKIP_2) | instid1(VALU_DEP_2)
	v_fmac_f32_e32 v31, v121, v1
	v_and_b32_e32 v1, 0xffff0000, v32
	v_add_f32_e32 v0, v168, v0
	v_dual_fmac_f32 v28, v136, v1 :: v_dual_and_b32 v1, 0xffff0000, v72
	s_delay_alu instid0(VALU_DEP_2) | instskip(NEXT) | instid1(VALU_DEP_2)
	v_add_f32_e32 v0, v159, v0
	v_fmac_f32_e32 v29, v143, v1
	s_delay_alu instid0(VALU_DEP_1) | instskip(NEXT) | instid1(VALU_DEP_1)
	v_dual_add_f32 v0, v29, v0 :: v_dual_and_b32 v1, 0xffff0000, v33
	v_fmac_f32_e32 v31, v137, v1
	v_and_b32_e32 v1, 0xffff0000, v30
	s_delay_alu instid0(VALU_DEP_1) | instskip(NEXT) | instid1(VALU_DEP_1)
	v_dual_fmac_f32 v28, v153, v1 :: v_dual_and_b32 v1, 0xffff0000, v18
	v_dual_add_f32 v0, v28, v0 :: v_dual_fmac_f32 v31, v154, v1
	v_add_nc_u32_e32 v1, v157, v155
	s_delay_alu instid0(VALU_DEP_2) | instskip(NEXT) | instid1(VALU_DEP_2)
	v_dual_add_f32 v0, v31, v0 :: v_dual_add_nc_u32 v155, 0x80, v155
	v_cvt_f32_i32_e32 v1, v1
	s_delay_alu instid0(VALU_DEP_1) | instskip(NEXT) | instid1(VALU_DEP_1)
	v_mul_f32_e32 v1, v39, v1
	v_cndmask_b32_e32 v1, 0, v1, vcc_lo
	s_delay_alu instid0(VALU_DEP_1) | instskip(SKIP_1) | instid1(VALU_DEP_1)
	v_fmac_f32_e32 v1, v0, v13
	v_max_f32_e32 v0, v152, v152
	v_max_f32_e32 v0, v0, v1
	v_cndmask_b32_e64 v1, 0, v1, s1
	s_delay_alu instid0(VALU_DEP_2) | instskip(SKIP_4) | instid1(SALU_CYCLE_1)
	v_cndmask_b32_e64 v152, v152, v0, s1
	v_cmp_ge_i32_e64 s1, v158, v37
	ds_store_b32 v156, v1
	v_add_nc_u32_e32 v156, 0x200, v156
	s_or_b32 s11, s1, s11
	s_and_not1_b32 exec_lo, exec_lo, s11
	s_cbranch_execz .LBB464_1544
.LBB464_8:                              ; =>This Inner Loop Header: Depth=1
	flat_load_b32 v0, v[20:21]
	s_mov_b32 s2, exec_lo
	s_waitcnt vmcnt(0) lgkmcnt(0)
	v_mad_i64_i32 v[28:29], null, v0, v22, v[8:9]
	flat_load_b64 v[30:31], v[28:29]
	flat_load_b32 v168, v[24:25]
	s_waitcnt vmcnt(1) lgkmcnt(1)
	v_dual_mov_b32 v0, 0 :: v_dual_and_b32 v1, 0xff, v30
	s_delay_alu instid0(VALU_DEP_1)
	v_cmpx_ne_u16_e32 0, v1
	s_cbranch_execz .LBB464_16
; %bb.9:                                ;   in Loop: Header=BB464_8 Depth=1
	v_bfrev_b32_e32 v0, 1
	s_mov_b32 s18, exec_lo
	v_cmpx_ne_u16_e32 0x80, v1
	s_cbranch_execz .LBB464_15
; %bb.10:                               ;   in Loop: Header=BB464_8 Depth=1
	v_and_b32_e32 v1, 0x7f, v30
	v_mov_b32_e32 v0, 0x7f800001
	s_mov_b32 s19, exec_lo
	s_delay_alu instid0(VALU_DEP_2)
	v_cmpx_ne_u32_e32 0x7f, v1
	s_cbranch_execz .LBB464_14
; %bb.11:                               ;   in Loop: Header=BB464_8 Depth=1
	v_lshrrev_b32_e32 v0, 3, v1
	v_dual_mov_b32 v33, v31 :: v_dual_mov_b32 v32, v30
	s_mov_b32 s20, exec_lo
	v_cmpx_gt_u32_e32 8, v1
; %bb.12:                               ;   in Loop: Header=BB464_8 Depth=1
	v_and_b32_e32 v0, 7, v30
	s_delay_alu instid0(VALU_DEP_1) | instskip(NEXT) | instid1(VALU_DEP_1)
	v_clz_i32_u32_e32 v0, v0
	v_min_u32_e32 v0, 32, v0
	s_delay_alu instid0(VALU_DEP_1) | instskip(SKIP_1) | instid1(VALU_DEP_2)
	v_subrev_nc_u32_e32 v1, 28, v0
	v_sub_nc_u32_e32 v0, 29, v0
	v_lshlrev_b64 v[32:33], v1, v[30:31]
; %bb.13:                               ;   in Loop: Header=BB464_8 Depth=1
	s_or_b32 exec_lo, exec_lo, s20
	s_delay_alu instid0(VALU_DEP_1) | instskip(SKIP_2) | instid1(VALU_DEP_3)
	v_lshlrev_b32_e32 v1, 20, v32
	v_lshlrev_b32_e32 v2, 24, v30
	v_lshl_add_u32 v0, v0, 23, 0x3c000000
	v_and_b32_e32 v1, 0x700000, v1
	s_delay_alu instid0(VALU_DEP_3) | instskip(NEXT) | instid1(VALU_DEP_1)
	v_and_b32_e32 v2, 0x80000000, v2
	v_or3_b32 v0, v1, v2, v0
.LBB464_14:                             ;   in Loop: Header=BB464_8 Depth=1
	s_or_b32 exec_lo, exec_lo, s19
.LBB464_15:                             ;   in Loop: Header=BB464_8 Depth=1
	s_delay_alu instid0(SALU_CYCLE_1)
	s_or_b32 exec_lo, exec_lo, s18
.LBB464_16:                             ;   in Loop: Header=BB464_8 Depth=1
	s_delay_alu instid0(SALU_CYCLE_1) | instskip(SKIP_2) | instid1(VALU_DEP_1)
	s_or_b32 exec_lo, exec_lo, s2
	s_waitcnt vmcnt(0) lgkmcnt(0)
	v_mul_f32_e32 v0, v168, v0
                                        ; implicit-def: $vgpr159
	v_and_b32_e32 v1, 0x7f800000, v0
	s_delay_alu instid0(VALU_DEP_1) | instskip(NEXT) | instid1(VALU_DEP_1)
	v_cmp_ne_u32_e64 s1, 0x7f800000, v1
	s_and_saveexec_b32 s2, s1
	s_delay_alu instid0(SALU_CYCLE_1)
	s_xor_b32 s1, exec_lo, s2
; %bb.17:                               ;   in Loop: Header=BB464_8 Depth=1
	v_bfe_u32 v1, v0, 16, 1
	s_delay_alu instid0(VALU_DEP_1)
	v_add3_u32 v159, v0, v1, 0x7fff
                                        ; implicit-def: $vgpr0
; %bb.18:                               ;   in Loop: Header=BB464_8 Depth=1
	s_and_not1_saveexec_b32 s2, s1
; %bb.19:                               ;   in Loop: Header=BB464_8 Depth=1
	v_and_b32_e32 v1, 0xffff, v0
	v_or_b32_e32 v2, 0x10000, v0
	s_delay_alu instid0(VALU_DEP_2) | instskip(NEXT) | instid1(VALU_DEP_1)
	v_cmp_eq_u32_e64 s1, 0, v1
	v_cndmask_b32_e64 v159, v2, v0, s1
; %bb.20:                               ;   in Loop: Header=BB464_8 Depth=1
	s_or_b32 exec_lo, exec_lo, s2
	v_lshrrev_b16 v1, 8, v30
	v_mov_b32_e32 v0, 0
	s_mov_b32 s2, exec_lo
	s_delay_alu instid0(VALU_DEP_2)
	v_cmpx_ne_u16_e32 0, v1
	s_cbranch_execz .LBB464_28
; %bb.21:                               ;   in Loop: Header=BB464_8 Depth=1
	v_bfrev_b32_e32 v0, 1
	s_mov_b32 s18, exec_lo
	v_cmpx_ne_u16_e32 0x80, v1
	s_cbranch_execz .LBB464_27
; %bb.22:                               ;   in Loop: Header=BB464_8 Depth=1
	v_and_b32_e32 v2, 0xffff, v1
	v_mov_b32_e32 v0, 0x7f800001
	s_mov_b32 s19, exec_lo
	s_delay_alu instid0(VALU_DEP_2) | instskip(NEXT) | instid1(VALU_DEP_1)
	v_and_b32_e32 v1, 0x7f, v2
	v_cmpx_ne_u32_e32 0x7f, v1
	s_cbranch_execz .LBB464_26
; %bb.23:                               ;   in Loop: Header=BB464_8 Depth=1
	v_and_b32_e32 v18, 7, v2
	v_lshrrev_b32_e32 v0, 3, v1
	v_mov_b32_e32 v33, v19
	s_mov_b32 s20, exec_lo
	s_delay_alu instid0(VALU_DEP_3)
	v_mov_b32_e32 v32, v18
	v_cmpx_gt_u32_e32 8, v1
; %bb.24:                               ;   in Loop: Header=BB464_8 Depth=1
	v_clz_i32_u32_e32 v0, v18
	s_delay_alu instid0(VALU_DEP_1) | instskip(NEXT) | instid1(VALU_DEP_1)
	v_min_u32_e32 v0, 32, v0
	v_subrev_nc_u32_e32 v1, 28, v0
	v_sub_nc_u32_e32 v0, 29, v0
	s_delay_alu instid0(VALU_DEP_2) | instskip(NEXT) | instid1(VALU_DEP_1)
	v_lshlrev_b64 v[1:2], v1, v[18:19]
	v_and_b32_e32 v32, 7, v1
; %bb.25:                               ;   in Loop: Header=BB464_8 Depth=1
	s_or_b32 exec_lo, exec_lo, s20
	v_lshlrev_b32_e32 v1, 16, v30
	s_delay_alu instid0(VALU_DEP_2) | instskip(SKIP_1) | instid1(VALU_DEP_3)
	v_lshlrev_b32_e32 v2, 20, v32
	v_lshl_add_u32 v0, v0, 23, 0x3c000000
	v_and_b32_e32 v1, 0x80000000, v1
	s_delay_alu instid0(VALU_DEP_1)
	v_or3_b32 v0, v2, v1, v0
.LBB464_26:                             ;   in Loop: Header=BB464_8 Depth=1
	s_or_b32 exec_lo, exec_lo, s19
.LBB464_27:                             ;   in Loop: Header=BB464_8 Depth=1
	s_delay_alu instid0(SALU_CYCLE_1)
	s_or_b32 exec_lo, exec_lo, s18
.LBB464_28:                             ;   in Loop: Header=BB464_8 Depth=1
	s_delay_alu instid0(SALU_CYCLE_1) | instskip(NEXT) | instid1(VALU_DEP_1)
	s_or_b32 exec_lo, exec_lo, s2
	v_mul_f32_e32 v0, v168, v0
                                        ; implicit-def: $vgpr169
	s_delay_alu instid0(VALU_DEP_1) | instskip(NEXT) | instid1(VALU_DEP_1)
	v_and_b32_e32 v1, 0x7f800000, v0
	v_cmp_ne_u32_e64 s1, 0x7f800000, v1
	s_delay_alu instid0(VALU_DEP_1) | instskip(NEXT) | instid1(SALU_CYCLE_1)
	s_and_saveexec_b32 s2, s1
	s_xor_b32 s1, exec_lo, s2
; %bb.29:                               ;   in Loop: Header=BB464_8 Depth=1
	v_bfe_u32 v1, v0, 16, 1
	s_delay_alu instid0(VALU_DEP_1)
	v_add3_u32 v169, v0, v1, 0x7fff
                                        ; implicit-def: $vgpr0
; %bb.30:                               ;   in Loop: Header=BB464_8 Depth=1
	s_and_not1_saveexec_b32 s2, s1
; %bb.31:                               ;   in Loop: Header=BB464_8 Depth=1
	v_and_b32_e32 v1, 0xffff, v0
	v_or_b32_e32 v2, 0x10000, v0
	s_delay_alu instid0(VALU_DEP_2) | instskip(NEXT) | instid1(VALU_DEP_1)
	v_cmp_eq_u32_e64 s1, 0, v1
	v_cndmask_b32_e64 v169, v2, v0, s1
; %bb.32:                               ;   in Loop: Header=BB464_8 Depth=1
	s_or_b32 exec_lo, exec_lo, s2
	v_lshrrev_b32_e32 v0, 16, v30
	s_mov_b32 s2, exec_lo
	s_delay_alu instid0(VALU_DEP_1) | instskip(NEXT) | instid1(VALU_DEP_1)
	v_dual_mov_b32 v1, 0 :: v_dual_and_b32 v2, 0xff, v0
	v_cmpx_ne_u16_e32 0, v2
	s_cbranch_execz .LBB464_40
; %bb.33:                               ;   in Loop: Header=BB464_8 Depth=1
	v_bfrev_b32_e32 v1, 1
	s_mov_b32 s18, exec_lo
	v_cmpx_ne_u16_e32 0x80, v2
	s_cbranch_execz .LBB464_39
; %bb.34:                               ;   in Loop: Header=BB464_8 Depth=1
	v_bfe_u32 v2, v30, 16, 7
	v_mov_b32_e32 v1, 0x7f800001
	s_mov_b32 s19, exec_lo
	s_delay_alu instid0(VALU_DEP_2)
	v_cmpx_ne_u32_e32 0x7f, v2
	s_cbranch_execz .LBB464_38
; %bb.35:                               ;   in Loop: Header=BB464_8 Depth=1
	v_and_b32_e32 v18, 7, v0
	v_lshrrev_b32_e32 v1, 3, v2
	v_mov_b32_e32 v33, v19
	s_mov_b32 s20, exec_lo
	s_delay_alu instid0(VALU_DEP_3)
	v_mov_b32_e32 v32, v18
	v_cmpx_gt_u32_e32 8, v2
; %bb.36:                               ;   in Loop: Header=BB464_8 Depth=1
	v_clz_i32_u32_e32 v1, v18
	s_delay_alu instid0(VALU_DEP_1) | instskip(NEXT) | instid1(VALU_DEP_1)
	v_min_u32_e32 v1, 32, v1
	v_subrev_nc_u32_e32 v2, 28, v1
	v_sub_nc_u32_e32 v1, 29, v1
	s_delay_alu instid0(VALU_DEP_2) | instskip(NEXT) | instid1(VALU_DEP_1)
	v_lshlrev_b64 v[2:3], v2, v[18:19]
	v_and_b32_e32 v32, 7, v2
; %bb.37:                               ;   in Loop: Header=BB464_8 Depth=1
	s_or_b32 exec_lo, exec_lo, s20
	v_lshlrev_b32_e32 v0, 24, v0
	s_delay_alu instid0(VALU_DEP_2) | instskip(SKIP_1) | instid1(VALU_DEP_3)
	v_lshlrev_b32_e32 v2, 20, v32
	v_lshl_add_u32 v1, v1, 23, 0x3c000000
	v_and_b32_e32 v0, 0x80000000, v0
	s_delay_alu instid0(VALU_DEP_1)
	v_or3_b32 v1, v2, v0, v1
.LBB464_38:                             ;   in Loop: Header=BB464_8 Depth=1
	s_or_b32 exec_lo, exec_lo, s19
.LBB464_39:                             ;   in Loop: Header=BB464_8 Depth=1
	s_delay_alu instid0(SALU_CYCLE_1)
	s_or_b32 exec_lo, exec_lo, s18
.LBB464_40:                             ;   in Loop: Header=BB464_8 Depth=1
	s_delay_alu instid0(SALU_CYCLE_1) | instskip(NEXT) | instid1(VALU_DEP_1)
	s_or_b32 exec_lo, exec_lo, s2
	v_mul_f32_e32 v0, v168, v1
                                        ; implicit-def: $vgpr170
	s_delay_alu instid0(VALU_DEP_1) | instskip(NEXT) | instid1(VALU_DEP_1)
	v_and_b32_e32 v1, 0x7f800000, v0
	v_cmp_ne_u32_e64 s1, 0x7f800000, v1
	s_delay_alu instid0(VALU_DEP_1) | instskip(NEXT) | instid1(SALU_CYCLE_1)
	s_and_saveexec_b32 s2, s1
	s_xor_b32 s1, exec_lo, s2
; %bb.41:                               ;   in Loop: Header=BB464_8 Depth=1
	v_bfe_u32 v1, v0, 16, 1
	s_delay_alu instid0(VALU_DEP_1)
	v_add3_u32 v170, v0, v1, 0x7fff
                                        ; implicit-def: $vgpr0
; %bb.42:                               ;   in Loop: Header=BB464_8 Depth=1
	s_and_not1_saveexec_b32 s2, s1
; %bb.43:                               ;   in Loop: Header=BB464_8 Depth=1
	v_and_b32_e32 v1, 0xffff, v0
	v_or_b32_e32 v2, 0x10000, v0
	s_delay_alu instid0(VALU_DEP_2) | instskip(NEXT) | instid1(VALU_DEP_1)
	v_cmp_eq_u32_e64 s1, 0, v1
	v_cndmask_b32_e64 v170, v2, v0, s1
; %bb.44:                               ;   in Loop: Header=BB464_8 Depth=1
	s_or_b32 exec_lo, exec_lo, s2
	v_mov_b32_e32 v1, 0
	s_mov_b32 s2, exec_lo
	v_cmpx_lt_u32_e32 0xffffff, v30
	s_cbranch_execz .LBB464_52
; %bb.45:                               ;   in Loop: Header=BB464_8 Depth=1
	v_lshrrev_b32_e32 v0, 24, v30
	v_bfrev_b32_e32 v1, 1
	s_mov_b32 s18, exec_lo
	s_delay_alu instid0(VALU_DEP_2)
	v_cmpx_ne_u32_e32 0x80, v0
	s_cbranch_execz .LBB464_51
; %bb.46:                               ;   in Loop: Header=BB464_8 Depth=1
	v_bfe_u32 v2, v30, 24, 7
	v_mov_b32_e32 v1, 0x7f800001
	s_mov_b32 s19, exec_lo
	s_delay_alu instid0(VALU_DEP_2)
	v_cmpx_ne_u32_e32 0x7f, v2
	s_cbranch_execz .LBB464_50
; %bb.47:                               ;   in Loop: Header=BB464_8 Depth=1
	v_and_b32_e32 v18, 7, v0
	v_lshrrev_b32_e32 v1, 3, v2
	v_mov_b32_e32 v33, v19
	s_mov_b32 s20, exec_lo
	s_delay_alu instid0(VALU_DEP_3)
	v_mov_b32_e32 v32, v18
	v_cmpx_gt_u32_e32 8, v2
; %bb.48:                               ;   in Loop: Header=BB464_8 Depth=1
	v_clz_i32_u32_e32 v1, v18
	s_delay_alu instid0(VALU_DEP_1) | instskip(NEXT) | instid1(VALU_DEP_1)
	v_min_u32_e32 v1, 32, v1
	v_subrev_nc_u32_e32 v2, 28, v1
	v_sub_nc_u32_e32 v1, 29, v1
	s_delay_alu instid0(VALU_DEP_2) | instskip(NEXT) | instid1(VALU_DEP_1)
	v_lshlrev_b64 v[2:3], v2, v[18:19]
	v_and_b32_e32 v32, 7, v2
; %bb.49:                               ;   in Loop: Header=BB464_8 Depth=1
	s_or_b32 exec_lo, exec_lo, s20
	v_lshlrev_b32_e32 v0, 24, v0
	s_delay_alu instid0(VALU_DEP_2) | instskip(SKIP_1) | instid1(VALU_DEP_3)
	v_lshlrev_b32_e32 v2, 20, v32
	v_lshl_add_u32 v1, v1, 23, 0x3c000000
	v_and_b32_e32 v0, 0x80000000, v0
	s_delay_alu instid0(VALU_DEP_1)
	v_or3_b32 v1, v2, v0, v1
.LBB464_50:                             ;   in Loop: Header=BB464_8 Depth=1
	s_or_b32 exec_lo, exec_lo, s19
.LBB464_51:                             ;   in Loop: Header=BB464_8 Depth=1
	s_delay_alu instid0(SALU_CYCLE_1)
	s_or_b32 exec_lo, exec_lo, s18
.LBB464_52:                             ;   in Loop: Header=BB464_8 Depth=1
	s_delay_alu instid0(SALU_CYCLE_1) | instskip(NEXT) | instid1(VALU_DEP_1)
	s_or_b32 exec_lo, exec_lo, s2
	v_mul_f32_e32 v0, v168, v1
                                        ; implicit-def: $vgpr171
	s_delay_alu instid0(VALU_DEP_1) | instskip(NEXT) | instid1(VALU_DEP_1)
	v_and_b32_e32 v1, 0x7f800000, v0
	v_cmp_ne_u32_e64 s1, 0x7f800000, v1
	s_delay_alu instid0(VALU_DEP_1) | instskip(NEXT) | instid1(SALU_CYCLE_1)
	s_and_saveexec_b32 s2, s1
	s_xor_b32 s1, exec_lo, s2
; %bb.53:                               ;   in Loop: Header=BB464_8 Depth=1
	v_bfe_u32 v1, v0, 16, 1
	s_delay_alu instid0(VALU_DEP_1)
	v_add3_u32 v171, v0, v1, 0x7fff
                                        ; implicit-def: $vgpr0
; %bb.54:                               ;   in Loop: Header=BB464_8 Depth=1
	s_and_not1_saveexec_b32 s2, s1
; %bb.55:                               ;   in Loop: Header=BB464_8 Depth=1
	v_and_b32_e32 v1, 0xffff, v0
	v_or_b32_e32 v2, 0x10000, v0
	s_delay_alu instid0(VALU_DEP_2) | instskip(NEXT) | instid1(VALU_DEP_1)
	v_cmp_eq_u32_e64 s1, 0, v1
	v_cndmask_b32_e64 v171, v2, v0, s1
; %bb.56:                               ;   in Loop: Header=BB464_8 Depth=1
	s_or_b32 exec_lo, exec_lo, s2
	v_dual_mov_b32 v18, v31 :: v_dual_and_b32 v1, 0xff, v31
	v_mov_b32_e32 v0, 0
	s_mov_b32 s2, exec_lo
	s_delay_alu instid0(VALU_DEP_2)
	v_cmpx_ne_u16_e32 0, v1
	s_cbranch_execz .LBB464_64
; %bb.57:                               ;   in Loop: Header=BB464_8 Depth=1
	v_bfrev_b32_e32 v0, 1
	s_mov_b32 s18, exec_lo
	v_cmpx_ne_u16_e32 0x80, v1
	s_cbranch_execz .LBB464_63
; %bb.58:                               ;   in Loop: Header=BB464_8 Depth=1
	v_and_b32_e32 v1, 0x7f, v31
	v_mov_b32_e32 v0, 0x7f800001
	s_mov_b32 s19, exec_lo
	s_delay_alu instid0(VALU_DEP_2)
	v_cmpx_ne_u32_e32 0x7f, v1
	s_cbranch_execz .LBB464_62
; %bb.59:                               ;   in Loop: Header=BB464_8 Depth=1
	v_lshrrev_b32_e32 v0, 3, v1
	v_dual_mov_b32 v33, v19 :: v_dual_mov_b32 v32, v18
	s_mov_b32 s20, exec_lo
	v_cmpx_gt_u32_e32 8, v1
; %bb.60:                               ;   in Loop: Header=BB464_8 Depth=1
	v_and_b32_e32 v0, 7, v31
	s_delay_alu instid0(VALU_DEP_1) | instskip(NEXT) | instid1(VALU_DEP_1)
	v_clz_i32_u32_e32 v0, v0
	v_min_u32_e32 v0, 32, v0
	s_delay_alu instid0(VALU_DEP_1) | instskip(SKIP_1) | instid1(VALU_DEP_2)
	v_subrev_nc_u32_e32 v1, 28, v0
	v_sub_nc_u32_e32 v0, 29, v0
	v_lshlrev_b64 v[32:33], v1, v[18:19]
; %bb.61:                               ;   in Loop: Header=BB464_8 Depth=1
	s_or_b32 exec_lo, exec_lo, s20
	s_delay_alu instid0(VALU_DEP_1) | instskip(SKIP_2) | instid1(VALU_DEP_3)
	v_lshlrev_b32_e32 v1, 20, v32
	v_lshlrev_b32_e32 v2, 24, v18
	v_lshl_add_u32 v0, v0, 23, 0x3c000000
	v_and_b32_e32 v1, 0x700000, v1
	s_delay_alu instid0(VALU_DEP_3) | instskip(NEXT) | instid1(VALU_DEP_1)
	v_and_b32_e32 v2, 0x80000000, v2
	v_or3_b32 v0, v1, v2, v0
.LBB464_62:                             ;   in Loop: Header=BB464_8 Depth=1
	s_or_b32 exec_lo, exec_lo, s19
.LBB464_63:                             ;   in Loop: Header=BB464_8 Depth=1
	s_delay_alu instid0(SALU_CYCLE_1)
	s_or_b32 exec_lo, exec_lo, s18
.LBB464_64:                             ;   in Loop: Header=BB464_8 Depth=1
	s_delay_alu instid0(SALU_CYCLE_1) | instskip(NEXT) | instid1(VALU_DEP_1)
	s_or_b32 exec_lo, exec_lo, s2
	v_mul_f32_e32 v0, v168, v0
                                        ; implicit-def: $vgpr172
	s_delay_alu instid0(VALU_DEP_1) | instskip(NEXT) | instid1(VALU_DEP_1)
	v_and_b32_e32 v1, 0x7f800000, v0
	v_cmp_ne_u32_e64 s1, 0x7f800000, v1
	s_delay_alu instid0(VALU_DEP_1) | instskip(NEXT) | instid1(SALU_CYCLE_1)
	s_and_saveexec_b32 s2, s1
	s_xor_b32 s1, exec_lo, s2
; %bb.65:                               ;   in Loop: Header=BB464_8 Depth=1
	v_bfe_u32 v1, v0, 16, 1
	s_delay_alu instid0(VALU_DEP_1)
	v_add3_u32 v172, v0, v1, 0x7fff
                                        ; implicit-def: $vgpr0
; %bb.66:                               ;   in Loop: Header=BB464_8 Depth=1
	s_and_not1_saveexec_b32 s2, s1
; %bb.67:                               ;   in Loop: Header=BB464_8 Depth=1
	v_and_b32_e32 v1, 0xffff, v0
	v_or_b32_e32 v2, 0x10000, v0
	s_delay_alu instid0(VALU_DEP_2) | instskip(NEXT) | instid1(VALU_DEP_1)
	v_cmp_eq_u32_e64 s1, 0, v1
	v_cndmask_b32_e64 v172, v2, v0, s1
; %bb.68:                               ;   in Loop: Header=BB464_8 Depth=1
	s_or_b32 exec_lo, exec_lo, s2
	v_lshrrev_b16 v1, 8, v18
	v_mov_b32_e32 v0, 0
	s_mov_b32 s2, exec_lo
	s_delay_alu instid0(VALU_DEP_2)
	v_cmpx_ne_u16_e32 0, v1
	s_cbranch_execz .LBB464_76
; %bb.69:                               ;   in Loop: Header=BB464_8 Depth=1
	v_bfrev_b32_e32 v0, 1
	s_mov_b32 s18, exec_lo
	v_cmpx_ne_u16_e32 0x80, v1
	s_cbranch_execz .LBB464_75
; %bb.70:                               ;   in Loop: Header=BB464_8 Depth=1
	v_and_b32_e32 v2, 0xffff, v1
	v_mov_b32_e32 v0, 0x7f800001
	s_mov_b32 s19, exec_lo
	s_delay_alu instid0(VALU_DEP_2) | instskip(NEXT) | instid1(VALU_DEP_1)
	v_and_b32_e32 v1, 0x7f, v2
	v_cmpx_ne_u32_e32 0x7f, v1
	s_cbranch_execz .LBB464_74
; %bb.71:                               ;   in Loop: Header=BB464_8 Depth=1
	v_dual_mov_b32 v33, v19 :: v_dual_and_b32 v32, 7, v2
	v_lshrrev_b32_e32 v0, 3, v1
	s_mov_b32 s20, exec_lo
	v_cmpx_gt_u32_e32 8, v1
; %bb.72:                               ;   in Loop: Header=BB464_8 Depth=1
	s_delay_alu instid0(VALU_DEP_3) | instskip(NEXT) | instid1(VALU_DEP_1)
	v_clz_i32_u32_e32 v0, v32
	v_min_u32_e32 v0, 32, v0
	s_delay_alu instid0(VALU_DEP_1) | instskip(SKIP_1) | instid1(VALU_DEP_2)
	v_subrev_nc_u32_e32 v1, 28, v0
	v_sub_nc_u32_e32 v0, 29, v0
	v_lshlrev_b64 v[1:2], v1, v[32:33]
	s_delay_alu instid0(VALU_DEP_1)
	v_and_b32_e32 v32, 7, v1
; %bb.73:                               ;   in Loop: Header=BB464_8 Depth=1
	s_or_b32 exec_lo, exec_lo, s20
	v_lshlrev_b32_e32 v1, 16, v18
	s_delay_alu instid0(VALU_DEP_2) | instskip(SKIP_1) | instid1(VALU_DEP_3)
	v_lshlrev_b32_e32 v2, 20, v32
	v_lshl_add_u32 v0, v0, 23, 0x3c000000
	v_and_b32_e32 v1, 0x80000000, v1
	s_delay_alu instid0(VALU_DEP_1)
	v_or3_b32 v0, v2, v1, v0
.LBB464_74:                             ;   in Loop: Header=BB464_8 Depth=1
	s_or_b32 exec_lo, exec_lo, s19
.LBB464_75:                             ;   in Loop: Header=BB464_8 Depth=1
	s_delay_alu instid0(SALU_CYCLE_1)
	s_or_b32 exec_lo, exec_lo, s18
.LBB464_76:                             ;   in Loop: Header=BB464_8 Depth=1
	s_delay_alu instid0(SALU_CYCLE_1) | instskip(NEXT) | instid1(VALU_DEP_1)
	s_or_b32 exec_lo, exec_lo, s2
	v_mul_f32_e32 v0, v168, v0
                                        ; implicit-def: $vgpr173
	s_delay_alu instid0(VALU_DEP_1) | instskip(NEXT) | instid1(VALU_DEP_1)
	v_and_b32_e32 v1, 0x7f800000, v0
	v_cmp_ne_u32_e64 s1, 0x7f800000, v1
	s_delay_alu instid0(VALU_DEP_1) | instskip(NEXT) | instid1(SALU_CYCLE_1)
	s_and_saveexec_b32 s2, s1
	s_xor_b32 s1, exec_lo, s2
; %bb.77:                               ;   in Loop: Header=BB464_8 Depth=1
	v_bfe_u32 v1, v0, 16, 1
	s_delay_alu instid0(VALU_DEP_1)
	v_add3_u32 v173, v0, v1, 0x7fff
                                        ; implicit-def: $vgpr0
; %bb.78:                               ;   in Loop: Header=BB464_8 Depth=1
	s_and_not1_saveexec_b32 s2, s1
; %bb.79:                               ;   in Loop: Header=BB464_8 Depth=1
	v_and_b32_e32 v1, 0xffff, v0
	v_or_b32_e32 v2, 0x10000, v0
	s_delay_alu instid0(VALU_DEP_2) | instskip(NEXT) | instid1(VALU_DEP_1)
	v_cmp_eq_u32_e64 s1, 0, v1
	v_cndmask_b32_e64 v173, v2, v0, s1
; %bb.80:                               ;   in Loop: Header=BB464_8 Depth=1
	s_or_b32 exec_lo, exec_lo, s2
	v_lshrrev_b32_e32 v0, 16, v31
	s_mov_b32 s2, exec_lo
	s_delay_alu instid0(VALU_DEP_1) | instskip(NEXT) | instid1(VALU_DEP_1)
	v_dual_mov_b32 v1, 0 :: v_dual_and_b32 v2, 0xff, v0
	v_cmpx_ne_u16_e32 0, v2
	s_cbranch_execz .LBB464_88
; %bb.81:                               ;   in Loop: Header=BB464_8 Depth=1
	v_bfrev_b32_e32 v1, 1
	s_mov_b32 s18, exec_lo
	v_cmpx_ne_u16_e32 0x80, v2
	s_cbranch_execz .LBB464_87
; %bb.82:                               ;   in Loop: Header=BB464_8 Depth=1
	v_bfe_u32 v2, v31, 16, 7
	v_mov_b32_e32 v1, 0x7f800001
	s_mov_b32 s19, exec_lo
	s_delay_alu instid0(VALU_DEP_2)
	v_cmpx_ne_u32_e32 0x7f, v2
	s_cbranch_execz .LBB464_86
; %bb.83:                               ;   in Loop: Header=BB464_8 Depth=1
	v_and_b32_e32 v18, 7, v0
	v_lshrrev_b32_e32 v1, 3, v2
	v_mov_b32_e32 v33, v19
	s_mov_b32 s20, exec_lo
	s_delay_alu instid0(VALU_DEP_3)
	v_mov_b32_e32 v32, v18
	v_cmpx_gt_u32_e32 8, v2
; %bb.84:                               ;   in Loop: Header=BB464_8 Depth=1
	v_clz_i32_u32_e32 v1, v18
	s_delay_alu instid0(VALU_DEP_1) | instskip(NEXT) | instid1(VALU_DEP_1)
	v_min_u32_e32 v1, 32, v1
	v_subrev_nc_u32_e32 v2, 28, v1
	v_sub_nc_u32_e32 v1, 29, v1
	s_delay_alu instid0(VALU_DEP_2) | instskip(NEXT) | instid1(VALU_DEP_1)
	v_lshlrev_b64 v[2:3], v2, v[18:19]
	v_and_b32_e32 v32, 7, v2
; %bb.85:                               ;   in Loop: Header=BB464_8 Depth=1
	s_or_b32 exec_lo, exec_lo, s20
	v_lshlrev_b32_e32 v0, 24, v0
	s_delay_alu instid0(VALU_DEP_2) | instskip(SKIP_1) | instid1(VALU_DEP_3)
	v_lshlrev_b32_e32 v2, 20, v32
	v_lshl_add_u32 v1, v1, 23, 0x3c000000
	v_and_b32_e32 v0, 0x80000000, v0
	s_delay_alu instid0(VALU_DEP_1)
	v_or3_b32 v1, v2, v0, v1
.LBB464_86:                             ;   in Loop: Header=BB464_8 Depth=1
	s_or_b32 exec_lo, exec_lo, s19
.LBB464_87:                             ;   in Loop: Header=BB464_8 Depth=1
	s_delay_alu instid0(SALU_CYCLE_1)
	s_or_b32 exec_lo, exec_lo, s18
.LBB464_88:                             ;   in Loop: Header=BB464_8 Depth=1
	s_delay_alu instid0(SALU_CYCLE_1) | instskip(NEXT) | instid1(VALU_DEP_1)
	s_or_b32 exec_lo, exec_lo, s2
	v_mul_f32_e32 v0, v168, v1
                                        ; implicit-def: $vgpr174
	s_delay_alu instid0(VALU_DEP_1) | instskip(NEXT) | instid1(VALU_DEP_1)
	v_and_b32_e32 v1, 0x7f800000, v0
	v_cmp_ne_u32_e64 s1, 0x7f800000, v1
	s_delay_alu instid0(VALU_DEP_1) | instskip(NEXT) | instid1(SALU_CYCLE_1)
	s_and_saveexec_b32 s2, s1
	s_xor_b32 s1, exec_lo, s2
; %bb.89:                               ;   in Loop: Header=BB464_8 Depth=1
	v_bfe_u32 v1, v0, 16, 1
	s_delay_alu instid0(VALU_DEP_1)
	v_add3_u32 v174, v0, v1, 0x7fff
                                        ; implicit-def: $vgpr0
; %bb.90:                               ;   in Loop: Header=BB464_8 Depth=1
	s_and_not1_saveexec_b32 s2, s1
; %bb.91:                               ;   in Loop: Header=BB464_8 Depth=1
	v_and_b32_e32 v1, 0xffff, v0
	v_or_b32_e32 v2, 0x10000, v0
	s_delay_alu instid0(VALU_DEP_2) | instskip(NEXT) | instid1(VALU_DEP_1)
	v_cmp_eq_u32_e64 s1, 0, v1
	v_cndmask_b32_e64 v174, v2, v0, s1
; %bb.92:                               ;   in Loop: Header=BB464_8 Depth=1
	s_or_b32 exec_lo, exec_lo, s2
	v_mov_b32_e32 v1, 0
	s_mov_b32 s2, exec_lo
	v_cmpx_lt_u64_e64 s[8:9], v[30:31]
	s_cbranch_execz .LBB464_100
; %bb.93:                               ;   in Loop: Header=BB464_8 Depth=1
	v_lshrrev_b32_e32 v0, 24, v31
	v_bfrev_b32_e32 v1, 1
	s_mov_b32 s18, exec_lo
	s_delay_alu instid0(VALU_DEP_2)
	v_cmpx_ne_u32_e32 0x80, v0
	s_cbranch_execz .LBB464_99
; %bb.94:                               ;   in Loop: Header=BB464_8 Depth=1
	v_bfe_u32 v2, v31, 24, 7
	v_mov_b32_e32 v1, 0x7f800001
	s_mov_b32 s19, exec_lo
	s_delay_alu instid0(VALU_DEP_2)
	v_cmpx_ne_u32_e32 0x7f, v2
	s_cbranch_execz .LBB464_98
; %bb.95:                               ;   in Loop: Header=BB464_8 Depth=1
	v_and_b32_e32 v18, 7, v0
	v_lshrrev_b32_e32 v1, 3, v2
	v_mov_b32_e32 v31, v19
	s_mov_b32 s20, exec_lo
	s_delay_alu instid0(VALU_DEP_3)
	v_mov_b32_e32 v30, v18
	v_cmpx_gt_u32_e32 8, v2
; %bb.96:                               ;   in Loop: Header=BB464_8 Depth=1
	v_clz_i32_u32_e32 v1, v18
	s_delay_alu instid0(VALU_DEP_1) | instskip(NEXT) | instid1(VALU_DEP_1)
	v_min_u32_e32 v1, 32, v1
	v_subrev_nc_u32_e32 v2, 28, v1
	v_sub_nc_u32_e32 v1, 29, v1
	s_delay_alu instid0(VALU_DEP_2) | instskip(NEXT) | instid1(VALU_DEP_1)
	v_lshlrev_b64 v[2:3], v2, v[18:19]
	v_and_b32_e32 v30, 7, v2
; %bb.97:                               ;   in Loop: Header=BB464_8 Depth=1
	s_or_b32 exec_lo, exec_lo, s20
	v_lshlrev_b32_e32 v0, 24, v0
	s_delay_alu instid0(VALU_DEP_2) | instskip(SKIP_1) | instid1(VALU_DEP_3)
	v_lshlrev_b32_e32 v2, 20, v30
	v_lshl_add_u32 v1, v1, 23, 0x3c000000
	v_and_b32_e32 v0, 0x80000000, v0
	s_delay_alu instid0(VALU_DEP_1)
	v_or3_b32 v1, v2, v0, v1
.LBB464_98:                             ;   in Loop: Header=BB464_8 Depth=1
	s_or_b32 exec_lo, exec_lo, s19
.LBB464_99:                             ;   in Loop: Header=BB464_8 Depth=1
	s_delay_alu instid0(SALU_CYCLE_1)
	s_or_b32 exec_lo, exec_lo, s18
.LBB464_100:                            ;   in Loop: Header=BB464_8 Depth=1
	s_delay_alu instid0(SALU_CYCLE_1) | instskip(NEXT) | instid1(VALU_DEP_1)
	s_or_b32 exec_lo, exec_lo, s2
	v_mul_f32_e32 v0, v168, v1
                                        ; implicit-def: $vgpr175
	s_delay_alu instid0(VALU_DEP_1) | instskip(NEXT) | instid1(VALU_DEP_1)
	v_and_b32_e32 v1, 0x7f800000, v0
	v_cmp_ne_u32_e64 s1, 0x7f800000, v1
	s_delay_alu instid0(VALU_DEP_1) | instskip(NEXT) | instid1(SALU_CYCLE_1)
	s_and_saveexec_b32 s2, s1
	s_xor_b32 s1, exec_lo, s2
; %bb.101:                              ;   in Loop: Header=BB464_8 Depth=1
	v_bfe_u32 v1, v0, 16, 1
	s_delay_alu instid0(VALU_DEP_1)
	v_add3_u32 v175, v0, v1, 0x7fff
                                        ; implicit-def: $vgpr0
; %bb.102:                              ;   in Loop: Header=BB464_8 Depth=1
	s_and_not1_saveexec_b32 s2, s1
; %bb.103:                              ;   in Loop: Header=BB464_8 Depth=1
	v_and_b32_e32 v1, 0xffff, v0
	v_or_b32_e32 v2, 0x10000, v0
	s_delay_alu instid0(VALU_DEP_2) | instskip(NEXT) | instid1(VALU_DEP_1)
	v_cmp_eq_u32_e64 s1, 0, v1
	v_cndmask_b32_e64 v175, v2, v0, s1
; %bb.104:                              ;   in Loop: Header=BB464_8 Depth=1
	s_or_b32 exec_lo, exec_lo, s2
	flat_load_b64 v[30:31], v[28:29] offset:8
	s_mov_b32 s2, exec_lo
	s_waitcnt vmcnt(0) lgkmcnt(0)
	v_dual_mov_b32 v0, 0 :: v_dual_and_b32 v1, 0xff, v30
	s_delay_alu instid0(VALU_DEP_1)
	v_cmpx_ne_u16_e32 0, v1
	s_cbranch_execz .LBB464_112
; %bb.105:                              ;   in Loop: Header=BB464_8 Depth=1
	v_bfrev_b32_e32 v0, 1
	s_mov_b32 s18, exec_lo
	v_cmpx_ne_u16_e32 0x80, v1
	s_cbranch_execz .LBB464_111
; %bb.106:                              ;   in Loop: Header=BB464_8 Depth=1
	v_and_b32_e32 v1, 0x7f, v30
	v_mov_b32_e32 v0, 0x7f800001
	s_mov_b32 s19, exec_lo
	s_delay_alu instid0(VALU_DEP_2)
	v_cmpx_ne_u32_e32 0x7f, v1
	s_cbranch_execz .LBB464_110
; %bb.107:                              ;   in Loop: Header=BB464_8 Depth=1
	v_lshrrev_b32_e32 v0, 3, v1
	v_dual_mov_b32 v33, v31 :: v_dual_mov_b32 v32, v30
	s_mov_b32 s20, exec_lo
	v_cmpx_gt_u32_e32 8, v1
; %bb.108:                              ;   in Loop: Header=BB464_8 Depth=1
	v_and_b32_e32 v0, 7, v30
	s_delay_alu instid0(VALU_DEP_1) | instskip(NEXT) | instid1(VALU_DEP_1)
	v_clz_i32_u32_e32 v0, v0
	v_min_u32_e32 v0, 32, v0
	s_delay_alu instid0(VALU_DEP_1) | instskip(SKIP_1) | instid1(VALU_DEP_2)
	v_subrev_nc_u32_e32 v1, 28, v0
	v_sub_nc_u32_e32 v0, 29, v0
	v_lshlrev_b64 v[32:33], v1, v[30:31]
; %bb.109:                              ;   in Loop: Header=BB464_8 Depth=1
	s_or_b32 exec_lo, exec_lo, s20
	s_delay_alu instid0(VALU_DEP_1) | instskip(SKIP_2) | instid1(VALU_DEP_3)
	v_lshlrev_b32_e32 v1, 20, v32
	v_lshlrev_b32_e32 v2, 24, v30
	v_lshl_add_u32 v0, v0, 23, 0x3c000000
	v_and_b32_e32 v1, 0x700000, v1
	s_delay_alu instid0(VALU_DEP_3) | instskip(NEXT) | instid1(VALU_DEP_1)
	v_and_b32_e32 v2, 0x80000000, v2
	v_or3_b32 v0, v1, v2, v0
.LBB464_110:                            ;   in Loop: Header=BB464_8 Depth=1
	s_or_b32 exec_lo, exec_lo, s19
.LBB464_111:                            ;   in Loop: Header=BB464_8 Depth=1
	s_delay_alu instid0(SALU_CYCLE_1)
	s_or_b32 exec_lo, exec_lo, s18
.LBB464_112:                            ;   in Loop: Header=BB464_8 Depth=1
	s_delay_alu instid0(SALU_CYCLE_1) | instskip(NEXT) | instid1(VALU_DEP_1)
	s_or_b32 exec_lo, exec_lo, s2
	v_mul_f32_e32 v0, v168, v0
                                        ; implicit-def: $vgpr184
	s_delay_alu instid0(VALU_DEP_1) | instskip(NEXT) | instid1(VALU_DEP_1)
	v_and_b32_e32 v1, 0x7f800000, v0
	v_cmp_ne_u32_e64 s1, 0x7f800000, v1
	s_delay_alu instid0(VALU_DEP_1) | instskip(NEXT) | instid1(SALU_CYCLE_1)
	s_and_saveexec_b32 s2, s1
	s_xor_b32 s1, exec_lo, s2
; %bb.113:                              ;   in Loop: Header=BB464_8 Depth=1
	v_bfe_u32 v1, v0, 16, 1
	s_delay_alu instid0(VALU_DEP_1)
	v_add3_u32 v184, v0, v1, 0x7fff
                                        ; implicit-def: $vgpr0
; %bb.114:                              ;   in Loop: Header=BB464_8 Depth=1
	s_and_not1_saveexec_b32 s2, s1
; %bb.115:                              ;   in Loop: Header=BB464_8 Depth=1
	v_and_b32_e32 v1, 0xffff, v0
	v_or_b32_e32 v2, 0x10000, v0
	s_delay_alu instid0(VALU_DEP_2) | instskip(NEXT) | instid1(VALU_DEP_1)
	v_cmp_eq_u32_e64 s1, 0, v1
	v_cndmask_b32_e64 v184, v2, v0, s1
; %bb.116:                              ;   in Loop: Header=BB464_8 Depth=1
	s_or_b32 exec_lo, exec_lo, s2
	v_lshrrev_b16 v1, 8, v30
	v_mov_b32_e32 v0, 0
	s_mov_b32 s2, exec_lo
	s_delay_alu instid0(VALU_DEP_2)
	v_cmpx_ne_u16_e32 0, v1
	s_cbranch_execz .LBB464_124
; %bb.117:                              ;   in Loop: Header=BB464_8 Depth=1
	v_bfrev_b32_e32 v0, 1
	s_mov_b32 s18, exec_lo
	v_cmpx_ne_u16_e32 0x80, v1
	s_cbranch_execz .LBB464_123
; %bb.118:                              ;   in Loop: Header=BB464_8 Depth=1
	v_and_b32_e32 v2, 0xffff, v1
	v_mov_b32_e32 v0, 0x7f800001
	s_mov_b32 s19, exec_lo
	s_delay_alu instid0(VALU_DEP_2) | instskip(NEXT) | instid1(VALU_DEP_1)
	v_and_b32_e32 v1, 0x7f, v2
	v_cmpx_ne_u32_e32 0x7f, v1
	s_cbranch_execz .LBB464_122
; %bb.119:                              ;   in Loop: Header=BB464_8 Depth=1
	v_and_b32_e32 v18, 7, v2
	v_lshrrev_b32_e32 v0, 3, v1
	v_mov_b32_e32 v33, v19
	s_mov_b32 s20, exec_lo
	s_delay_alu instid0(VALU_DEP_3)
	v_mov_b32_e32 v32, v18
	v_cmpx_gt_u32_e32 8, v1
; %bb.120:                              ;   in Loop: Header=BB464_8 Depth=1
	v_clz_i32_u32_e32 v0, v18
	s_delay_alu instid0(VALU_DEP_1) | instskip(NEXT) | instid1(VALU_DEP_1)
	v_min_u32_e32 v0, 32, v0
	v_subrev_nc_u32_e32 v1, 28, v0
	v_sub_nc_u32_e32 v0, 29, v0
	s_delay_alu instid0(VALU_DEP_2) | instskip(NEXT) | instid1(VALU_DEP_1)
	v_lshlrev_b64 v[1:2], v1, v[18:19]
	v_and_b32_e32 v32, 7, v1
; %bb.121:                              ;   in Loop: Header=BB464_8 Depth=1
	s_or_b32 exec_lo, exec_lo, s20
	v_lshlrev_b32_e32 v1, 16, v30
	s_delay_alu instid0(VALU_DEP_2) | instskip(SKIP_1) | instid1(VALU_DEP_3)
	v_lshlrev_b32_e32 v2, 20, v32
	v_lshl_add_u32 v0, v0, 23, 0x3c000000
	v_and_b32_e32 v1, 0x80000000, v1
	s_delay_alu instid0(VALU_DEP_1)
	v_or3_b32 v0, v2, v1, v0
.LBB464_122:                            ;   in Loop: Header=BB464_8 Depth=1
	s_or_b32 exec_lo, exec_lo, s19
.LBB464_123:                            ;   in Loop: Header=BB464_8 Depth=1
	s_delay_alu instid0(SALU_CYCLE_1)
	s_or_b32 exec_lo, exec_lo, s18
.LBB464_124:                            ;   in Loop: Header=BB464_8 Depth=1
	s_delay_alu instid0(SALU_CYCLE_1) | instskip(NEXT) | instid1(VALU_DEP_1)
	s_or_b32 exec_lo, exec_lo, s2
	v_mul_f32_e32 v0, v168, v0
                                        ; implicit-def: $vgpr185
	s_delay_alu instid0(VALU_DEP_1) | instskip(NEXT) | instid1(VALU_DEP_1)
	v_and_b32_e32 v1, 0x7f800000, v0
	v_cmp_ne_u32_e64 s1, 0x7f800000, v1
	s_delay_alu instid0(VALU_DEP_1) | instskip(NEXT) | instid1(SALU_CYCLE_1)
	s_and_saveexec_b32 s2, s1
	s_xor_b32 s1, exec_lo, s2
; %bb.125:                              ;   in Loop: Header=BB464_8 Depth=1
	v_bfe_u32 v1, v0, 16, 1
	s_delay_alu instid0(VALU_DEP_1)
	v_add3_u32 v185, v0, v1, 0x7fff
                                        ; implicit-def: $vgpr0
; %bb.126:                              ;   in Loop: Header=BB464_8 Depth=1
	s_and_not1_saveexec_b32 s2, s1
; %bb.127:                              ;   in Loop: Header=BB464_8 Depth=1
	v_and_b32_e32 v1, 0xffff, v0
	v_or_b32_e32 v2, 0x10000, v0
	s_delay_alu instid0(VALU_DEP_2) | instskip(NEXT) | instid1(VALU_DEP_1)
	v_cmp_eq_u32_e64 s1, 0, v1
	v_cndmask_b32_e64 v185, v2, v0, s1
; %bb.128:                              ;   in Loop: Header=BB464_8 Depth=1
	s_or_b32 exec_lo, exec_lo, s2
	v_lshrrev_b32_e32 v0, 16, v30
	s_mov_b32 s2, exec_lo
	s_delay_alu instid0(VALU_DEP_1) | instskip(NEXT) | instid1(VALU_DEP_1)
	v_dual_mov_b32 v1, 0 :: v_dual_and_b32 v2, 0xff, v0
	v_cmpx_ne_u16_e32 0, v2
	s_cbranch_execz .LBB464_136
; %bb.129:                              ;   in Loop: Header=BB464_8 Depth=1
	v_bfrev_b32_e32 v1, 1
	s_mov_b32 s18, exec_lo
	v_cmpx_ne_u16_e32 0x80, v2
	s_cbranch_execz .LBB464_135
; %bb.130:                              ;   in Loop: Header=BB464_8 Depth=1
	v_bfe_u32 v2, v30, 16, 7
	v_mov_b32_e32 v1, 0x7f800001
	s_mov_b32 s19, exec_lo
	s_delay_alu instid0(VALU_DEP_2)
	v_cmpx_ne_u32_e32 0x7f, v2
	s_cbranch_execz .LBB464_134
; %bb.131:                              ;   in Loop: Header=BB464_8 Depth=1
	v_and_b32_e32 v18, 7, v0
	v_lshrrev_b32_e32 v1, 3, v2
	v_mov_b32_e32 v33, v19
	s_mov_b32 s20, exec_lo
	s_delay_alu instid0(VALU_DEP_3)
	v_mov_b32_e32 v32, v18
	v_cmpx_gt_u32_e32 8, v2
; %bb.132:                              ;   in Loop: Header=BB464_8 Depth=1
	v_clz_i32_u32_e32 v1, v18
	s_delay_alu instid0(VALU_DEP_1) | instskip(NEXT) | instid1(VALU_DEP_1)
	v_min_u32_e32 v1, 32, v1
	v_subrev_nc_u32_e32 v2, 28, v1
	v_sub_nc_u32_e32 v1, 29, v1
	s_delay_alu instid0(VALU_DEP_2) | instskip(NEXT) | instid1(VALU_DEP_1)
	v_lshlrev_b64 v[2:3], v2, v[18:19]
	v_and_b32_e32 v32, 7, v2
; %bb.133:                              ;   in Loop: Header=BB464_8 Depth=1
	s_or_b32 exec_lo, exec_lo, s20
	v_lshlrev_b32_e32 v0, 24, v0
	s_delay_alu instid0(VALU_DEP_2) | instskip(SKIP_1) | instid1(VALU_DEP_3)
	v_lshlrev_b32_e32 v2, 20, v32
	v_lshl_add_u32 v1, v1, 23, 0x3c000000
	v_and_b32_e32 v0, 0x80000000, v0
	s_delay_alu instid0(VALU_DEP_1)
	v_or3_b32 v1, v2, v0, v1
.LBB464_134:                            ;   in Loop: Header=BB464_8 Depth=1
	s_or_b32 exec_lo, exec_lo, s19
.LBB464_135:                            ;   in Loop: Header=BB464_8 Depth=1
	s_delay_alu instid0(SALU_CYCLE_1)
	s_or_b32 exec_lo, exec_lo, s18
.LBB464_136:                            ;   in Loop: Header=BB464_8 Depth=1
	s_delay_alu instid0(SALU_CYCLE_1) | instskip(NEXT) | instid1(VALU_DEP_1)
	s_or_b32 exec_lo, exec_lo, s2
	v_mul_f32_e32 v0, v168, v1
                                        ; implicit-def: $vgpr186
	s_delay_alu instid0(VALU_DEP_1) | instskip(NEXT) | instid1(VALU_DEP_1)
	v_and_b32_e32 v1, 0x7f800000, v0
	v_cmp_ne_u32_e64 s1, 0x7f800000, v1
	s_delay_alu instid0(VALU_DEP_1) | instskip(NEXT) | instid1(SALU_CYCLE_1)
	s_and_saveexec_b32 s2, s1
	s_xor_b32 s1, exec_lo, s2
; %bb.137:                              ;   in Loop: Header=BB464_8 Depth=1
	v_bfe_u32 v1, v0, 16, 1
	s_delay_alu instid0(VALU_DEP_1)
	v_add3_u32 v186, v0, v1, 0x7fff
                                        ; implicit-def: $vgpr0
; %bb.138:                              ;   in Loop: Header=BB464_8 Depth=1
	s_and_not1_saveexec_b32 s2, s1
; %bb.139:                              ;   in Loop: Header=BB464_8 Depth=1
	v_and_b32_e32 v1, 0xffff, v0
	v_or_b32_e32 v2, 0x10000, v0
	s_delay_alu instid0(VALU_DEP_2) | instskip(NEXT) | instid1(VALU_DEP_1)
	v_cmp_eq_u32_e64 s1, 0, v1
	v_cndmask_b32_e64 v186, v2, v0, s1
; %bb.140:                              ;   in Loop: Header=BB464_8 Depth=1
	s_or_b32 exec_lo, exec_lo, s2
	v_mov_b32_e32 v1, 0
	s_mov_b32 s2, exec_lo
	v_cmpx_lt_u32_e32 0xffffff, v30
	s_cbranch_execz .LBB464_148
; %bb.141:                              ;   in Loop: Header=BB464_8 Depth=1
	v_lshrrev_b32_e32 v0, 24, v30
	v_bfrev_b32_e32 v1, 1
	s_mov_b32 s18, exec_lo
	s_delay_alu instid0(VALU_DEP_2)
	v_cmpx_ne_u32_e32 0x80, v0
	s_cbranch_execz .LBB464_147
; %bb.142:                              ;   in Loop: Header=BB464_8 Depth=1
	v_bfe_u32 v2, v30, 24, 7
	v_mov_b32_e32 v1, 0x7f800001
	s_mov_b32 s19, exec_lo
	s_delay_alu instid0(VALU_DEP_2)
	v_cmpx_ne_u32_e32 0x7f, v2
	s_cbranch_execz .LBB464_146
; %bb.143:                              ;   in Loop: Header=BB464_8 Depth=1
	v_and_b32_e32 v18, 7, v0
	v_lshrrev_b32_e32 v1, 3, v2
	v_mov_b32_e32 v33, v19
	s_mov_b32 s20, exec_lo
	s_delay_alu instid0(VALU_DEP_3)
	v_mov_b32_e32 v32, v18
	v_cmpx_gt_u32_e32 8, v2
; %bb.144:                              ;   in Loop: Header=BB464_8 Depth=1
	v_clz_i32_u32_e32 v1, v18
	s_delay_alu instid0(VALU_DEP_1) | instskip(NEXT) | instid1(VALU_DEP_1)
	v_min_u32_e32 v1, 32, v1
	v_subrev_nc_u32_e32 v2, 28, v1
	v_sub_nc_u32_e32 v1, 29, v1
	s_delay_alu instid0(VALU_DEP_2) | instskip(NEXT) | instid1(VALU_DEP_1)
	v_lshlrev_b64 v[2:3], v2, v[18:19]
	v_and_b32_e32 v32, 7, v2
; %bb.145:                              ;   in Loop: Header=BB464_8 Depth=1
	s_or_b32 exec_lo, exec_lo, s20
	v_lshlrev_b32_e32 v0, 24, v0
	s_delay_alu instid0(VALU_DEP_2) | instskip(SKIP_1) | instid1(VALU_DEP_3)
	v_lshlrev_b32_e32 v2, 20, v32
	v_lshl_add_u32 v1, v1, 23, 0x3c000000
	v_and_b32_e32 v0, 0x80000000, v0
	s_delay_alu instid0(VALU_DEP_1)
	v_or3_b32 v1, v2, v0, v1
.LBB464_146:                            ;   in Loop: Header=BB464_8 Depth=1
	s_or_b32 exec_lo, exec_lo, s19
.LBB464_147:                            ;   in Loop: Header=BB464_8 Depth=1
	s_delay_alu instid0(SALU_CYCLE_1)
	s_or_b32 exec_lo, exec_lo, s18
.LBB464_148:                            ;   in Loop: Header=BB464_8 Depth=1
	s_delay_alu instid0(SALU_CYCLE_1) | instskip(NEXT) | instid1(VALU_DEP_1)
	s_or_b32 exec_lo, exec_lo, s2
	v_mul_f32_e32 v0, v168, v1
                                        ; implicit-def: $vgpr187
	s_delay_alu instid0(VALU_DEP_1) | instskip(NEXT) | instid1(VALU_DEP_1)
	v_and_b32_e32 v1, 0x7f800000, v0
	v_cmp_ne_u32_e64 s1, 0x7f800000, v1
	s_delay_alu instid0(VALU_DEP_1) | instskip(NEXT) | instid1(SALU_CYCLE_1)
	s_and_saveexec_b32 s2, s1
	s_xor_b32 s1, exec_lo, s2
; %bb.149:                              ;   in Loop: Header=BB464_8 Depth=1
	v_bfe_u32 v1, v0, 16, 1
	s_delay_alu instid0(VALU_DEP_1)
	v_add3_u32 v187, v0, v1, 0x7fff
                                        ; implicit-def: $vgpr0
; %bb.150:                              ;   in Loop: Header=BB464_8 Depth=1
	s_and_not1_saveexec_b32 s2, s1
; %bb.151:                              ;   in Loop: Header=BB464_8 Depth=1
	v_and_b32_e32 v1, 0xffff, v0
	v_or_b32_e32 v2, 0x10000, v0
	s_delay_alu instid0(VALU_DEP_2) | instskip(NEXT) | instid1(VALU_DEP_1)
	v_cmp_eq_u32_e64 s1, 0, v1
	v_cndmask_b32_e64 v187, v2, v0, s1
; %bb.152:                              ;   in Loop: Header=BB464_8 Depth=1
	s_or_b32 exec_lo, exec_lo, s2
	v_dual_mov_b32 v18, v31 :: v_dual_and_b32 v1, 0xff, v31
	v_mov_b32_e32 v0, 0
	s_mov_b32 s2, exec_lo
	s_delay_alu instid0(VALU_DEP_2)
	v_cmpx_ne_u16_e32 0, v1
	s_cbranch_execz .LBB464_160
; %bb.153:                              ;   in Loop: Header=BB464_8 Depth=1
	v_bfrev_b32_e32 v0, 1
	s_mov_b32 s18, exec_lo
	v_cmpx_ne_u16_e32 0x80, v1
	s_cbranch_execz .LBB464_159
; %bb.154:                              ;   in Loop: Header=BB464_8 Depth=1
	v_and_b32_e32 v1, 0x7f, v31
	v_mov_b32_e32 v0, 0x7f800001
	s_mov_b32 s19, exec_lo
	s_delay_alu instid0(VALU_DEP_2)
	v_cmpx_ne_u32_e32 0x7f, v1
	s_cbranch_execz .LBB464_158
; %bb.155:                              ;   in Loop: Header=BB464_8 Depth=1
	v_lshrrev_b32_e32 v0, 3, v1
	v_dual_mov_b32 v33, v19 :: v_dual_mov_b32 v32, v18
	s_mov_b32 s20, exec_lo
	v_cmpx_gt_u32_e32 8, v1
; %bb.156:                              ;   in Loop: Header=BB464_8 Depth=1
	v_and_b32_e32 v0, 7, v31
	s_delay_alu instid0(VALU_DEP_1) | instskip(NEXT) | instid1(VALU_DEP_1)
	v_clz_i32_u32_e32 v0, v0
	v_min_u32_e32 v0, 32, v0
	s_delay_alu instid0(VALU_DEP_1) | instskip(SKIP_1) | instid1(VALU_DEP_2)
	v_subrev_nc_u32_e32 v1, 28, v0
	v_sub_nc_u32_e32 v0, 29, v0
	v_lshlrev_b64 v[32:33], v1, v[18:19]
; %bb.157:                              ;   in Loop: Header=BB464_8 Depth=1
	s_or_b32 exec_lo, exec_lo, s20
	s_delay_alu instid0(VALU_DEP_1) | instskip(SKIP_2) | instid1(VALU_DEP_3)
	v_lshlrev_b32_e32 v1, 20, v32
	v_lshlrev_b32_e32 v2, 24, v18
	v_lshl_add_u32 v0, v0, 23, 0x3c000000
	v_and_b32_e32 v1, 0x700000, v1
	s_delay_alu instid0(VALU_DEP_3) | instskip(NEXT) | instid1(VALU_DEP_1)
	v_and_b32_e32 v2, 0x80000000, v2
	v_or3_b32 v0, v1, v2, v0
.LBB464_158:                            ;   in Loop: Header=BB464_8 Depth=1
	s_or_b32 exec_lo, exec_lo, s19
.LBB464_159:                            ;   in Loop: Header=BB464_8 Depth=1
	s_delay_alu instid0(SALU_CYCLE_1)
	s_or_b32 exec_lo, exec_lo, s18
.LBB464_160:                            ;   in Loop: Header=BB464_8 Depth=1
	s_delay_alu instid0(SALU_CYCLE_1) | instskip(NEXT) | instid1(VALU_DEP_1)
	s_or_b32 exec_lo, exec_lo, s2
	v_mul_f32_e32 v0, v168, v0
                                        ; implicit-def: $vgpr188
	s_delay_alu instid0(VALU_DEP_1) | instskip(NEXT) | instid1(VALU_DEP_1)
	v_and_b32_e32 v1, 0x7f800000, v0
	v_cmp_ne_u32_e64 s1, 0x7f800000, v1
	s_delay_alu instid0(VALU_DEP_1) | instskip(NEXT) | instid1(SALU_CYCLE_1)
	s_and_saveexec_b32 s2, s1
	s_xor_b32 s1, exec_lo, s2
; %bb.161:                              ;   in Loop: Header=BB464_8 Depth=1
	v_bfe_u32 v1, v0, 16, 1
	s_delay_alu instid0(VALU_DEP_1)
	v_add3_u32 v188, v0, v1, 0x7fff
                                        ; implicit-def: $vgpr0
; %bb.162:                              ;   in Loop: Header=BB464_8 Depth=1
	s_and_not1_saveexec_b32 s2, s1
; %bb.163:                              ;   in Loop: Header=BB464_8 Depth=1
	v_and_b32_e32 v1, 0xffff, v0
	v_or_b32_e32 v2, 0x10000, v0
	s_delay_alu instid0(VALU_DEP_2) | instskip(NEXT) | instid1(VALU_DEP_1)
	v_cmp_eq_u32_e64 s1, 0, v1
	v_cndmask_b32_e64 v188, v2, v0, s1
; %bb.164:                              ;   in Loop: Header=BB464_8 Depth=1
	s_or_b32 exec_lo, exec_lo, s2
	v_lshrrev_b16 v1, 8, v18
	v_mov_b32_e32 v0, 0
	s_mov_b32 s2, exec_lo
	s_delay_alu instid0(VALU_DEP_2)
	v_cmpx_ne_u16_e32 0, v1
	s_cbranch_execz .LBB464_172
; %bb.165:                              ;   in Loop: Header=BB464_8 Depth=1
	v_bfrev_b32_e32 v0, 1
	s_mov_b32 s18, exec_lo
	v_cmpx_ne_u16_e32 0x80, v1
	s_cbranch_execz .LBB464_171
; %bb.166:                              ;   in Loop: Header=BB464_8 Depth=1
	v_and_b32_e32 v2, 0xffff, v1
	v_mov_b32_e32 v0, 0x7f800001
	s_mov_b32 s19, exec_lo
	s_delay_alu instid0(VALU_DEP_2) | instskip(NEXT) | instid1(VALU_DEP_1)
	v_and_b32_e32 v1, 0x7f, v2
	v_cmpx_ne_u32_e32 0x7f, v1
	s_cbranch_execz .LBB464_170
; %bb.167:                              ;   in Loop: Header=BB464_8 Depth=1
	v_dual_mov_b32 v33, v19 :: v_dual_and_b32 v32, 7, v2
	v_lshrrev_b32_e32 v0, 3, v1
	s_mov_b32 s20, exec_lo
	v_cmpx_gt_u32_e32 8, v1
; %bb.168:                              ;   in Loop: Header=BB464_8 Depth=1
	s_delay_alu instid0(VALU_DEP_3) | instskip(NEXT) | instid1(VALU_DEP_1)
	v_clz_i32_u32_e32 v0, v32
	v_min_u32_e32 v0, 32, v0
	s_delay_alu instid0(VALU_DEP_1) | instskip(SKIP_1) | instid1(VALU_DEP_2)
	v_subrev_nc_u32_e32 v1, 28, v0
	v_sub_nc_u32_e32 v0, 29, v0
	v_lshlrev_b64 v[1:2], v1, v[32:33]
	s_delay_alu instid0(VALU_DEP_1)
	v_and_b32_e32 v32, 7, v1
; %bb.169:                              ;   in Loop: Header=BB464_8 Depth=1
	s_or_b32 exec_lo, exec_lo, s20
	v_lshlrev_b32_e32 v1, 16, v18
	s_delay_alu instid0(VALU_DEP_2) | instskip(SKIP_1) | instid1(VALU_DEP_3)
	v_lshlrev_b32_e32 v2, 20, v32
	v_lshl_add_u32 v0, v0, 23, 0x3c000000
	v_and_b32_e32 v1, 0x80000000, v1
	s_delay_alu instid0(VALU_DEP_1)
	v_or3_b32 v0, v2, v1, v0
.LBB464_170:                            ;   in Loop: Header=BB464_8 Depth=1
	s_or_b32 exec_lo, exec_lo, s19
.LBB464_171:                            ;   in Loop: Header=BB464_8 Depth=1
	s_delay_alu instid0(SALU_CYCLE_1)
	s_or_b32 exec_lo, exec_lo, s18
.LBB464_172:                            ;   in Loop: Header=BB464_8 Depth=1
	s_delay_alu instid0(SALU_CYCLE_1) | instskip(NEXT) | instid1(VALU_DEP_1)
	s_or_b32 exec_lo, exec_lo, s2
	v_mul_f32_e32 v0, v168, v0
                                        ; implicit-def: $vgpr189
	s_delay_alu instid0(VALU_DEP_1) | instskip(NEXT) | instid1(VALU_DEP_1)
	v_and_b32_e32 v1, 0x7f800000, v0
	v_cmp_ne_u32_e64 s1, 0x7f800000, v1
	s_delay_alu instid0(VALU_DEP_1) | instskip(NEXT) | instid1(SALU_CYCLE_1)
	s_and_saveexec_b32 s2, s1
	s_xor_b32 s1, exec_lo, s2
; %bb.173:                              ;   in Loop: Header=BB464_8 Depth=1
	v_bfe_u32 v1, v0, 16, 1
	s_delay_alu instid0(VALU_DEP_1)
	v_add3_u32 v189, v0, v1, 0x7fff
                                        ; implicit-def: $vgpr0
; %bb.174:                              ;   in Loop: Header=BB464_8 Depth=1
	s_and_not1_saveexec_b32 s2, s1
; %bb.175:                              ;   in Loop: Header=BB464_8 Depth=1
	v_and_b32_e32 v1, 0xffff, v0
	v_or_b32_e32 v2, 0x10000, v0
	s_delay_alu instid0(VALU_DEP_2) | instskip(NEXT) | instid1(VALU_DEP_1)
	v_cmp_eq_u32_e64 s1, 0, v1
	v_cndmask_b32_e64 v189, v2, v0, s1
; %bb.176:                              ;   in Loop: Header=BB464_8 Depth=1
	s_or_b32 exec_lo, exec_lo, s2
	v_lshrrev_b32_e32 v0, 16, v31
	s_mov_b32 s2, exec_lo
	s_delay_alu instid0(VALU_DEP_1) | instskip(NEXT) | instid1(VALU_DEP_1)
	v_dual_mov_b32 v1, 0 :: v_dual_and_b32 v2, 0xff, v0
	v_cmpx_ne_u16_e32 0, v2
	s_cbranch_execz .LBB464_184
; %bb.177:                              ;   in Loop: Header=BB464_8 Depth=1
	v_bfrev_b32_e32 v1, 1
	s_mov_b32 s18, exec_lo
	v_cmpx_ne_u16_e32 0x80, v2
	s_cbranch_execz .LBB464_183
; %bb.178:                              ;   in Loop: Header=BB464_8 Depth=1
	v_bfe_u32 v2, v31, 16, 7
	v_mov_b32_e32 v1, 0x7f800001
	s_mov_b32 s19, exec_lo
	s_delay_alu instid0(VALU_DEP_2)
	v_cmpx_ne_u32_e32 0x7f, v2
	s_cbranch_execz .LBB464_182
; %bb.179:                              ;   in Loop: Header=BB464_8 Depth=1
	v_and_b32_e32 v18, 7, v0
	v_lshrrev_b32_e32 v1, 3, v2
	v_mov_b32_e32 v33, v19
	s_mov_b32 s20, exec_lo
	s_delay_alu instid0(VALU_DEP_3)
	v_mov_b32_e32 v32, v18
	v_cmpx_gt_u32_e32 8, v2
; %bb.180:                              ;   in Loop: Header=BB464_8 Depth=1
	v_clz_i32_u32_e32 v1, v18
	s_delay_alu instid0(VALU_DEP_1) | instskip(NEXT) | instid1(VALU_DEP_1)
	v_min_u32_e32 v1, 32, v1
	v_subrev_nc_u32_e32 v2, 28, v1
	v_sub_nc_u32_e32 v1, 29, v1
	s_delay_alu instid0(VALU_DEP_2) | instskip(NEXT) | instid1(VALU_DEP_1)
	v_lshlrev_b64 v[2:3], v2, v[18:19]
	v_and_b32_e32 v32, 7, v2
; %bb.181:                              ;   in Loop: Header=BB464_8 Depth=1
	s_or_b32 exec_lo, exec_lo, s20
	v_lshlrev_b32_e32 v0, 24, v0
	s_delay_alu instid0(VALU_DEP_2) | instskip(SKIP_1) | instid1(VALU_DEP_3)
	v_lshlrev_b32_e32 v2, 20, v32
	v_lshl_add_u32 v1, v1, 23, 0x3c000000
	v_and_b32_e32 v0, 0x80000000, v0
	s_delay_alu instid0(VALU_DEP_1)
	v_or3_b32 v1, v2, v0, v1
.LBB464_182:                            ;   in Loop: Header=BB464_8 Depth=1
	s_or_b32 exec_lo, exec_lo, s19
.LBB464_183:                            ;   in Loop: Header=BB464_8 Depth=1
	s_delay_alu instid0(SALU_CYCLE_1)
	s_or_b32 exec_lo, exec_lo, s18
.LBB464_184:                            ;   in Loop: Header=BB464_8 Depth=1
	s_delay_alu instid0(SALU_CYCLE_1) | instskip(NEXT) | instid1(VALU_DEP_1)
	s_or_b32 exec_lo, exec_lo, s2
	v_mul_f32_e32 v0, v168, v1
                                        ; implicit-def: $vgpr190
	s_delay_alu instid0(VALU_DEP_1) | instskip(NEXT) | instid1(VALU_DEP_1)
	v_and_b32_e32 v1, 0x7f800000, v0
	v_cmp_ne_u32_e64 s1, 0x7f800000, v1
	s_delay_alu instid0(VALU_DEP_1) | instskip(NEXT) | instid1(SALU_CYCLE_1)
	s_and_saveexec_b32 s2, s1
	s_xor_b32 s1, exec_lo, s2
; %bb.185:                              ;   in Loop: Header=BB464_8 Depth=1
	v_bfe_u32 v1, v0, 16, 1
	s_delay_alu instid0(VALU_DEP_1)
	v_add3_u32 v190, v0, v1, 0x7fff
                                        ; implicit-def: $vgpr0
; %bb.186:                              ;   in Loop: Header=BB464_8 Depth=1
	s_and_not1_saveexec_b32 s2, s1
; %bb.187:                              ;   in Loop: Header=BB464_8 Depth=1
	v_and_b32_e32 v1, 0xffff, v0
	v_or_b32_e32 v2, 0x10000, v0
	s_delay_alu instid0(VALU_DEP_2) | instskip(NEXT) | instid1(VALU_DEP_1)
	v_cmp_eq_u32_e64 s1, 0, v1
	v_cndmask_b32_e64 v190, v2, v0, s1
; %bb.188:                              ;   in Loop: Header=BB464_8 Depth=1
	s_or_b32 exec_lo, exec_lo, s2
	v_mov_b32_e32 v1, 0
	s_mov_b32 s2, exec_lo
	v_cmpx_lt_u64_e64 s[8:9], v[30:31]
	s_cbranch_execz .LBB464_196
; %bb.189:                              ;   in Loop: Header=BB464_8 Depth=1
	v_lshrrev_b32_e32 v0, 24, v31
	v_bfrev_b32_e32 v1, 1
	s_mov_b32 s18, exec_lo
	s_delay_alu instid0(VALU_DEP_2)
	v_cmpx_ne_u32_e32 0x80, v0
	s_cbranch_execz .LBB464_195
; %bb.190:                              ;   in Loop: Header=BB464_8 Depth=1
	v_bfe_u32 v2, v31, 24, 7
	v_mov_b32_e32 v1, 0x7f800001
	s_mov_b32 s19, exec_lo
	s_delay_alu instid0(VALU_DEP_2)
	v_cmpx_ne_u32_e32 0x7f, v2
	s_cbranch_execz .LBB464_194
; %bb.191:                              ;   in Loop: Header=BB464_8 Depth=1
	v_and_b32_e32 v18, 7, v0
	v_lshrrev_b32_e32 v1, 3, v2
	v_mov_b32_e32 v31, v19
	s_mov_b32 s20, exec_lo
	s_delay_alu instid0(VALU_DEP_3)
	v_mov_b32_e32 v30, v18
	v_cmpx_gt_u32_e32 8, v2
; %bb.192:                              ;   in Loop: Header=BB464_8 Depth=1
	v_clz_i32_u32_e32 v1, v18
	s_delay_alu instid0(VALU_DEP_1) | instskip(NEXT) | instid1(VALU_DEP_1)
	v_min_u32_e32 v1, 32, v1
	v_subrev_nc_u32_e32 v2, 28, v1
	v_sub_nc_u32_e32 v1, 29, v1
	s_delay_alu instid0(VALU_DEP_2) | instskip(NEXT) | instid1(VALU_DEP_1)
	v_lshlrev_b64 v[2:3], v2, v[18:19]
	v_and_b32_e32 v30, 7, v2
; %bb.193:                              ;   in Loop: Header=BB464_8 Depth=1
	s_or_b32 exec_lo, exec_lo, s20
	v_lshlrev_b32_e32 v0, 24, v0
	s_delay_alu instid0(VALU_DEP_2) | instskip(SKIP_1) | instid1(VALU_DEP_3)
	v_lshlrev_b32_e32 v2, 20, v30
	v_lshl_add_u32 v1, v1, 23, 0x3c000000
	v_and_b32_e32 v0, 0x80000000, v0
	s_delay_alu instid0(VALU_DEP_1)
	v_or3_b32 v1, v2, v0, v1
.LBB464_194:                            ;   in Loop: Header=BB464_8 Depth=1
	s_or_b32 exec_lo, exec_lo, s19
.LBB464_195:                            ;   in Loop: Header=BB464_8 Depth=1
	s_delay_alu instid0(SALU_CYCLE_1)
	s_or_b32 exec_lo, exec_lo, s18
.LBB464_196:                            ;   in Loop: Header=BB464_8 Depth=1
	s_delay_alu instid0(SALU_CYCLE_1) | instskip(NEXT) | instid1(VALU_DEP_1)
	s_or_b32 exec_lo, exec_lo, s2
	v_mul_f32_e32 v0, v168, v1
                                        ; implicit-def: $vgpr191
	s_delay_alu instid0(VALU_DEP_1) | instskip(NEXT) | instid1(VALU_DEP_1)
	v_and_b32_e32 v1, 0x7f800000, v0
	v_cmp_ne_u32_e64 s1, 0x7f800000, v1
	s_delay_alu instid0(VALU_DEP_1) | instskip(NEXT) | instid1(SALU_CYCLE_1)
	s_and_saveexec_b32 s2, s1
	s_xor_b32 s1, exec_lo, s2
; %bb.197:                              ;   in Loop: Header=BB464_8 Depth=1
	v_bfe_u32 v1, v0, 16, 1
	s_delay_alu instid0(VALU_DEP_1)
	v_add3_u32 v191, v0, v1, 0x7fff
                                        ; implicit-def: $vgpr0
; %bb.198:                              ;   in Loop: Header=BB464_8 Depth=1
	s_and_not1_saveexec_b32 s2, s1
; %bb.199:                              ;   in Loop: Header=BB464_8 Depth=1
	v_and_b32_e32 v1, 0xffff, v0
	v_or_b32_e32 v2, 0x10000, v0
	s_delay_alu instid0(VALU_DEP_2) | instskip(NEXT) | instid1(VALU_DEP_1)
	v_cmp_eq_u32_e64 s1, 0, v1
	v_cndmask_b32_e64 v191, v2, v0, s1
; %bb.200:                              ;   in Loop: Header=BB464_8 Depth=1
	s_or_b32 exec_lo, exec_lo, s2
	flat_load_b64 v[30:31], v[28:29] offset:512
	s_mov_b32 s2, exec_lo
	s_waitcnt vmcnt(0) lgkmcnt(0)
	v_dual_mov_b32 v0, 0 :: v_dual_and_b32 v1, 0xff, v30
	s_delay_alu instid0(VALU_DEP_1)
	v_cmpx_ne_u16_e32 0, v1
	s_cbranch_execz .LBB464_208
; %bb.201:                              ;   in Loop: Header=BB464_8 Depth=1
	v_bfrev_b32_e32 v0, 1
	s_mov_b32 s18, exec_lo
	v_cmpx_ne_u16_e32 0x80, v1
	s_cbranch_execz .LBB464_207
; %bb.202:                              ;   in Loop: Header=BB464_8 Depth=1
	v_and_b32_e32 v1, 0x7f, v30
	v_mov_b32_e32 v0, 0x7f800001
	s_mov_b32 s19, exec_lo
	s_delay_alu instid0(VALU_DEP_2)
	v_cmpx_ne_u32_e32 0x7f, v1
	s_cbranch_execz .LBB464_206
; %bb.203:                              ;   in Loop: Header=BB464_8 Depth=1
	v_lshrrev_b32_e32 v0, 3, v1
	v_dual_mov_b32 v33, v31 :: v_dual_mov_b32 v32, v30
	s_mov_b32 s20, exec_lo
	v_cmpx_gt_u32_e32 8, v1
; %bb.204:                              ;   in Loop: Header=BB464_8 Depth=1
	v_and_b32_e32 v0, 7, v30
	s_delay_alu instid0(VALU_DEP_1) | instskip(NEXT) | instid1(VALU_DEP_1)
	v_clz_i32_u32_e32 v0, v0
	v_min_u32_e32 v0, 32, v0
	s_delay_alu instid0(VALU_DEP_1) | instskip(SKIP_1) | instid1(VALU_DEP_2)
	v_subrev_nc_u32_e32 v1, 28, v0
	v_sub_nc_u32_e32 v0, 29, v0
	v_lshlrev_b64 v[32:33], v1, v[30:31]
; %bb.205:                              ;   in Loop: Header=BB464_8 Depth=1
	s_or_b32 exec_lo, exec_lo, s20
	s_delay_alu instid0(VALU_DEP_1) | instskip(SKIP_2) | instid1(VALU_DEP_3)
	v_lshlrev_b32_e32 v1, 20, v32
	v_lshlrev_b32_e32 v2, 24, v30
	v_lshl_add_u32 v0, v0, 23, 0x3c000000
	v_and_b32_e32 v1, 0x700000, v1
	s_delay_alu instid0(VALU_DEP_3) | instskip(NEXT) | instid1(VALU_DEP_1)
	v_and_b32_e32 v2, 0x80000000, v2
	v_or3_b32 v0, v1, v2, v0
.LBB464_206:                            ;   in Loop: Header=BB464_8 Depth=1
	s_or_b32 exec_lo, exec_lo, s19
.LBB464_207:                            ;   in Loop: Header=BB464_8 Depth=1
	s_delay_alu instid0(SALU_CYCLE_1)
	s_or_b32 exec_lo, exec_lo, s18
.LBB464_208:                            ;   in Loop: Header=BB464_8 Depth=1
	s_delay_alu instid0(SALU_CYCLE_1) | instskip(NEXT) | instid1(VALU_DEP_1)
	s_or_b32 exec_lo, exec_lo, s2
	v_mul_f32_e32 v0, v168, v0
                                        ; implicit-def: $vgpr38
	s_delay_alu instid0(VALU_DEP_1) | instskip(NEXT) | instid1(VALU_DEP_1)
	v_and_b32_e32 v1, 0x7f800000, v0
	v_cmp_ne_u32_e64 s1, 0x7f800000, v1
	s_delay_alu instid0(VALU_DEP_1) | instskip(NEXT) | instid1(SALU_CYCLE_1)
	s_and_saveexec_b32 s2, s1
	s_xor_b32 s1, exec_lo, s2
; %bb.209:                              ;   in Loop: Header=BB464_8 Depth=1
	v_bfe_u32 v1, v0, 16, 1
	s_delay_alu instid0(VALU_DEP_1)
	v_add3_u32 v38, v0, v1, 0x7fff
                                        ; implicit-def: $vgpr0
; %bb.210:                              ;   in Loop: Header=BB464_8 Depth=1
	s_and_not1_saveexec_b32 s2, s1
; %bb.211:                              ;   in Loop: Header=BB464_8 Depth=1
	v_and_b32_e32 v1, 0xffff, v0
	v_or_b32_e32 v2, 0x10000, v0
	s_delay_alu instid0(VALU_DEP_2) | instskip(NEXT) | instid1(VALU_DEP_1)
	v_cmp_eq_u32_e64 s1, 0, v1
	v_cndmask_b32_e64 v38, v2, v0, s1
; %bb.212:                              ;   in Loop: Header=BB464_8 Depth=1
	s_or_b32 exec_lo, exec_lo, s2
	v_lshrrev_b16 v1, 8, v30
	v_mov_b32_e32 v0, 0
	s_mov_b32 s2, exec_lo
	s_delay_alu instid0(VALU_DEP_2)
	v_cmpx_ne_u16_e32 0, v1
	s_cbranch_execz .LBB464_220
; %bb.213:                              ;   in Loop: Header=BB464_8 Depth=1
	v_bfrev_b32_e32 v0, 1
	s_mov_b32 s18, exec_lo
	v_cmpx_ne_u16_e32 0x80, v1
	s_cbranch_execz .LBB464_219
; %bb.214:                              ;   in Loop: Header=BB464_8 Depth=1
	v_and_b32_e32 v2, 0xffff, v1
	v_mov_b32_e32 v0, 0x7f800001
	s_mov_b32 s19, exec_lo
	s_delay_alu instid0(VALU_DEP_2) | instskip(NEXT) | instid1(VALU_DEP_1)
	v_and_b32_e32 v1, 0x7f, v2
	v_cmpx_ne_u32_e32 0x7f, v1
	s_cbranch_execz .LBB464_218
; %bb.215:                              ;   in Loop: Header=BB464_8 Depth=1
	v_and_b32_e32 v18, 7, v2
	v_lshrrev_b32_e32 v0, 3, v1
	v_mov_b32_e32 v33, v19
	s_mov_b32 s20, exec_lo
	s_delay_alu instid0(VALU_DEP_3)
	v_mov_b32_e32 v32, v18
	v_cmpx_gt_u32_e32 8, v1
; %bb.216:                              ;   in Loop: Header=BB464_8 Depth=1
	v_clz_i32_u32_e32 v0, v18
	s_delay_alu instid0(VALU_DEP_1) | instskip(NEXT) | instid1(VALU_DEP_1)
	v_min_u32_e32 v0, 32, v0
	v_subrev_nc_u32_e32 v1, 28, v0
	v_sub_nc_u32_e32 v0, 29, v0
	s_delay_alu instid0(VALU_DEP_2) | instskip(NEXT) | instid1(VALU_DEP_1)
	v_lshlrev_b64 v[1:2], v1, v[18:19]
	v_and_b32_e32 v32, 7, v1
; %bb.217:                              ;   in Loop: Header=BB464_8 Depth=1
	s_or_b32 exec_lo, exec_lo, s20
	v_lshlrev_b32_e32 v1, 16, v30
	s_delay_alu instid0(VALU_DEP_2) | instskip(SKIP_1) | instid1(VALU_DEP_3)
	v_lshlrev_b32_e32 v2, 20, v32
	v_lshl_add_u32 v0, v0, 23, 0x3c000000
	v_and_b32_e32 v1, 0x80000000, v1
	s_delay_alu instid0(VALU_DEP_1)
	v_or3_b32 v0, v2, v1, v0
.LBB464_218:                            ;   in Loop: Header=BB464_8 Depth=1
	s_or_b32 exec_lo, exec_lo, s19
.LBB464_219:                            ;   in Loop: Header=BB464_8 Depth=1
	s_delay_alu instid0(SALU_CYCLE_1)
	s_or_b32 exec_lo, exec_lo, s18
.LBB464_220:                            ;   in Loop: Header=BB464_8 Depth=1
	s_delay_alu instid0(SALU_CYCLE_1) | instskip(NEXT) | instid1(VALU_DEP_1)
	s_or_b32 exec_lo, exec_lo, s2
	v_mul_f32_e32 v0, v168, v0
                                        ; implicit-def: $vgpr5
	s_delay_alu instid0(VALU_DEP_1) | instskip(NEXT) | instid1(VALU_DEP_1)
	v_and_b32_e32 v1, 0x7f800000, v0
	v_cmp_ne_u32_e64 s1, 0x7f800000, v1
	s_delay_alu instid0(VALU_DEP_1) | instskip(NEXT) | instid1(SALU_CYCLE_1)
	s_and_saveexec_b32 s2, s1
	s_xor_b32 s1, exec_lo, s2
; %bb.221:                              ;   in Loop: Header=BB464_8 Depth=1
	v_bfe_u32 v1, v0, 16, 1
	s_delay_alu instid0(VALU_DEP_1)
	v_add3_u32 v5, v0, v1, 0x7fff
                                        ; implicit-def: $vgpr0
; %bb.222:                              ;   in Loop: Header=BB464_8 Depth=1
	s_and_not1_saveexec_b32 s2, s1
; %bb.223:                              ;   in Loop: Header=BB464_8 Depth=1
	v_and_b32_e32 v1, 0xffff, v0
	v_or_b32_e32 v2, 0x10000, v0
	s_delay_alu instid0(VALU_DEP_2) | instskip(NEXT) | instid1(VALU_DEP_1)
	v_cmp_eq_u32_e64 s1, 0, v1
	v_cndmask_b32_e64 v5, v2, v0, s1
; %bb.224:                              ;   in Loop: Header=BB464_8 Depth=1
	s_or_b32 exec_lo, exec_lo, s2
	v_lshrrev_b32_e32 v0, 16, v30
	s_mov_b32 s2, exec_lo
	s_delay_alu instid0(VALU_DEP_1) | instskip(NEXT) | instid1(VALU_DEP_1)
	v_dual_mov_b32 v1, 0 :: v_dual_and_b32 v2, 0xff, v0
	v_cmpx_ne_u16_e32 0, v2
	s_cbranch_execz .LBB464_232
; %bb.225:                              ;   in Loop: Header=BB464_8 Depth=1
	v_bfrev_b32_e32 v1, 1
	s_mov_b32 s18, exec_lo
	v_cmpx_ne_u16_e32 0x80, v2
	s_cbranch_execz .LBB464_231
; %bb.226:                              ;   in Loop: Header=BB464_8 Depth=1
	v_bfe_u32 v2, v30, 16, 7
	v_mov_b32_e32 v1, 0x7f800001
	s_mov_b32 s19, exec_lo
	s_delay_alu instid0(VALU_DEP_2)
	v_cmpx_ne_u32_e32 0x7f, v2
	s_cbranch_execz .LBB464_230
; %bb.227:                              ;   in Loop: Header=BB464_8 Depth=1
	v_and_b32_e32 v18, 7, v0
	v_lshrrev_b32_e32 v1, 3, v2
	v_mov_b32_e32 v33, v19
	s_mov_b32 s20, exec_lo
	s_delay_alu instid0(VALU_DEP_3)
	v_mov_b32_e32 v32, v18
	v_cmpx_gt_u32_e32 8, v2
; %bb.228:                              ;   in Loop: Header=BB464_8 Depth=1
	v_clz_i32_u32_e32 v1, v18
	s_delay_alu instid0(VALU_DEP_1) | instskip(NEXT) | instid1(VALU_DEP_1)
	v_min_u32_e32 v1, 32, v1
	v_subrev_nc_u32_e32 v2, 28, v1
	v_sub_nc_u32_e32 v1, 29, v1
	s_delay_alu instid0(VALU_DEP_2) | instskip(NEXT) | instid1(VALU_DEP_1)
	v_lshlrev_b64 v[2:3], v2, v[18:19]
	v_and_b32_e32 v32, 7, v2
; %bb.229:                              ;   in Loop: Header=BB464_8 Depth=1
	s_or_b32 exec_lo, exec_lo, s20
	v_lshlrev_b32_e32 v0, 24, v0
	s_delay_alu instid0(VALU_DEP_2) | instskip(SKIP_1) | instid1(VALU_DEP_3)
	v_lshlrev_b32_e32 v2, 20, v32
	v_lshl_add_u32 v1, v1, 23, 0x3c000000
	v_and_b32_e32 v0, 0x80000000, v0
	s_delay_alu instid0(VALU_DEP_1)
	v_or3_b32 v1, v2, v0, v1
.LBB464_230:                            ;   in Loop: Header=BB464_8 Depth=1
	s_or_b32 exec_lo, exec_lo, s19
.LBB464_231:                            ;   in Loop: Header=BB464_8 Depth=1
	s_delay_alu instid0(SALU_CYCLE_1)
	s_or_b32 exec_lo, exec_lo, s18
.LBB464_232:                            ;   in Loop: Header=BB464_8 Depth=1
	s_delay_alu instid0(SALU_CYCLE_1) | instskip(NEXT) | instid1(VALU_DEP_1)
	s_or_b32 exec_lo, exec_lo, s2
	v_mul_f32_e32 v0, v168, v1
                                        ; implicit-def: $vgpr4
	s_delay_alu instid0(VALU_DEP_1) | instskip(NEXT) | instid1(VALU_DEP_1)
	v_and_b32_e32 v1, 0x7f800000, v0
	v_cmp_ne_u32_e64 s1, 0x7f800000, v1
	s_delay_alu instid0(VALU_DEP_1) | instskip(NEXT) | instid1(SALU_CYCLE_1)
	s_and_saveexec_b32 s2, s1
	s_xor_b32 s1, exec_lo, s2
; %bb.233:                              ;   in Loop: Header=BB464_8 Depth=1
	v_bfe_u32 v1, v0, 16, 1
	s_delay_alu instid0(VALU_DEP_1)
	v_add3_u32 v4, v0, v1, 0x7fff
                                        ; implicit-def: $vgpr0
; %bb.234:                              ;   in Loop: Header=BB464_8 Depth=1
	s_and_not1_saveexec_b32 s2, s1
; %bb.235:                              ;   in Loop: Header=BB464_8 Depth=1
	v_and_b32_e32 v1, 0xffff, v0
	v_or_b32_e32 v2, 0x10000, v0
	s_delay_alu instid0(VALU_DEP_2) | instskip(NEXT) | instid1(VALU_DEP_1)
	v_cmp_eq_u32_e64 s1, 0, v1
	v_cndmask_b32_e64 v4, v2, v0, s1
; %bb.236:                              ;   in Loop: Header=BB464_8 Depth=1
	s_or_b32 exec_lo, exec_lo, s2
	v_mov_b32_e32 v1, 0
	s_mov_b32 s2, exec_lo
	v_cmpx_lt_u32_e32 0xffffff, v30
	s_cbranch_execz .LBB464_244
; %bb.237:                              ;   in Loop: Header=BB464_8 Depth=1
	v_lshrrev_b32_e32 v0, 24, v30
	v_bfrev_b32_e32 v1, 1
	s_mov_b32 s18, exec_lo
	s_delay_alu instid0(VALU_DEP_2)
	v_cmpx_ne_u32_e32 0x80, v0
	s_cbranch_execz .LBB464_243
; %bb.238:                              ;   in Loop: Header=BB464_8 Depth=1
	v_bfe_u32 v2, v30, 24, 7
	v_mov_b32_e32 v1, 0x7f800001
	s_mov_b32 s19, exec_lo
	s_delay_alu instid0(VALU_DEP_2)
	v_cmpx_ne_u32_e32 0x7f, v2
	s_cbranch_execz .LBB464_242
; %bb.239:                              ;   in Loop: Header=BB464_8 Depth=1
	v_and_b32_e32 v18, 7, v0
	v_lshrrev_b32_e32 v1, 3, v2
	v_mov_b32_e32 v33, v19
	s_mov_b32 s20, exec_lo
	s_delay_alu instid0(VALU_DEP_3)
	v_mov_b32_e32 v32, v18
	v_cmpx_gt_u32_e32 8, v2
; %bb.240:                              ;   in Loop: Header=BB464_8 Depth=1
	v_clz_i32_u32_e32 v1, v18
	s_delay_alu instid0(VALU_DEP_1) | instskip(NEXT) | instid1(VALU_DEP_1)
	v_min_u32_e32 v1, 32, v1
	v_subrev_nc_u32_e32 v2, 28, v1
	v_sub_nc_u32_e32 v1, 29, v1
	s_delay_alu instid0(VALU_DEP_2) | instskip(NEXT) | instid1(VALU_DEP_1)
	v_lshlrev_b64 v[2:3], v2, v[18:19]
	v_and_b32_e32 v32, 7, v2
; %bb.241:                              ;   in Loop: Header=BB464_8 Depth=1
	s_or_b32 exec_lo, exec_lo, s20
	v_lshlrev_b32_e32 v0, 24, v0
	s_delay_alu instid0(VALU_DEP_2) | instskip(SKIP_1) | instid1(VALU_DEP_3)
	v_lshlrev_b32_e32 v2, 20, v32
	v_lshl_add_u32 v1, v1, 23, 0x3c000000
	v_and_b32_e32 v0, 0x80000000, v0
	s_delay_alu instid0(VALU_DEP_1)
	v_or3_b32 v1, v2, v0, v1
.LBB464_242:                            ;   in Loop: Header=BB464_8 Depth=1
	s_or_b32 exec_lo, exec_lo, s19
.LBB464_243:                            ;   in Loop: Header=BB464_8 Depth=1
	s_delay_alu instid0(SALU_CYCLE_1)
	s_or_b32 exec_lo, exec_lo, s18
.LBB464_244:                            ;   in Loop: Header=BB464_8 Depth=1
	s_delay_alu instid0(SALU_CYCLE_1) | instskip(NEXT) | instid1(VALU_DEP_1)
	s_or_b32 exec_lo, exec_lo, s2
	v_mul_f32_e32 v0, v168, v1
                                        ; implicit-def: $vgpr35
	s_delay_alu instid0(VALU_DEP_1) | instskip(NEXT) | instid1(VALU_DEP_1)
	v_and_b32_e32 v1, 0x7f800000, v0
	v_cmp_ne_u32_e64 s1, 0x7f800000, v1
	s_delay_alu instid0(VALU_DEP_1) | instskip(NEXT) | instid1(SALU_CYCLE_1)
	s_and_saveexec_b32 s2, s1
	s_xor_b32 s1, exec_lo, s2
; %bb.245:                              ;   in Loop: Header=BB464_8 Depth=1
	v_bfe_u32 v1, v0, 16, 1
	s_delay_alu instid0(VALU_DEP_1)
	v_add3_u32 v35, v0, v1, 0x7fff
                                        ; implicit-def: $vgpr0
; %bb.246:                              ;   in Loop: Header=BB464_8 Depth=1
	s_and_not1_saveexec_b32 s2, s1
; %bb.247:                              ;   in Loop: Header=BB464_8 Depth=1
	v_and_b32_e32 v1, 0xffff, v0
	v_or_b32_e32 v2, 0x10000, v0
	s_delay_alu instid0(VALU_DEP_2) | instskip(NEXT) | instid1(VALU_DEP_1)
	v_cmp_eq_u32_e64 s1, 0, v1
	v_cndmask_b32_e64 v35, v2, v0, s1
; %bb.248:                              ;   in Loop: Header=BB464_8 Depth=1
	s_or_b32 exec_lo, exec_lo, s2
	v_dual_mov_b32 v18, v31 :: v_dual_and_b32 v1, 0xff, v31
	v_mov_b32_e32 v0, 0
	s_mov_b32 s2, exec_lo
	s_delay_alu instid0(VALU_DEP_2)
	v_cmpx_ne_u16_e32 0, v1
	s_cbranch_execz .LBB464_256
; %bb.249:                              ;   in Loop: Header=BB464_8 Depth=1
	v_bfrev_b32_e32 v0, 1
	s_mov_b32 s18, exec_lo
	v_cmpx_ne_u16_e32 0x80, v1
	s_cbranch_execz .LBB464_255
; %bb.250:                              ;   in Loop: Header=BB464_8 Depth=1
	v_and_b32_e32 v1, 0x7f, v31
	v_mov_b32_e32 v0, 0x7f800001
	s_mov_b32 s19, exec_lo
	s_delay_alu instid0(VALU_DEP_2)
	v_cmpx_ne_u32_e32 0x7f, v1
	s_cbranch_execz .LBB464_254
; %bb.251:                              ;   in Loop: Header=BB464_8 Depth=1
	v_lshrrev_b32_e32 v0, 3, v1
	v_dual_mov_b32 v33, v19 :: v_dual_mov_b32 v32, v18
	s_mov_b32 s20, exec_lo
	v_cmpx_gt_u32_e32 8, v1
; %bb.252:                              ;   in Loop: Header=BB464_8 Depth=1
	v_and_b32_e32 v0, 7, v31
	s_delay_alu instid0(VALU_DEP_1) | instskip(NEXT) | instid1(VALU_DEP_1)
	v_clz_i32_u32_e32 v0, v0
	v_min_u32_e32 v0, 32, v0
	s_delay_alu instid0(VALU_DEP_1) | instskip(SKIP_1) | instid1(VALU_DEP_2)
	v_subrev_nc_u32_e32 v1, 28, v0
	v_sub_nc_u32_e32 v0, 29, v0
	v_lshlrev_b64 v[32:33], v1, v[18:19]
; %bb.253:                              ;   in Loop: Header=BB464_8 Depth=1
	s_or_b32 exec_lo, exec_lo, s20
	s_delay_alu instid0(VALU_DEP_1) | instskip(SKIP_2) | instid1(VALU_DEP_3)
	v_lshlrev_b32_e32 v1, 20, v32
	v_lshlrev_b32_e32 v2, 24, v18
	v_lshl_add_u32 v0, v0, 23, 0x3c000000
	v_and_b32_e32 v1, 0x700000, v1
	s_delay_alu instid0(VALU_DEP_3) | instskip(NEXT) | instid1(VALU_DEP_1)
	v_and_b32_e32 v2, 0x80000000, v2
	v_or3_b32 v0, v1, v2, v0
.LBB464_254:                            ;   in Loop: Header=BB464_8 Depth=1
	s_or_b32 exec_lo, exec_lo, s19
.LBB464_255:                            ;   in Loop: Header=BB464_8 Depth=1
	s_delay_alu instid0(SALU_CYCLE_1)
	s_or_b32 exec_lo, exec_lo, s18
.LBB464_256:                            ;   in Loop: Header=BB464_8 Depth=1
	s_delay_alu instid0(SALU_CYCLE_1) | instskip(NEXT) | instid1(VALU_DEP_1)
	s_or_b32 exec_lo, exec_lo, s2
	v_mul_f32_e32 v0, v168, v0
                                        ; implicit-def: $vgpr23
	s_delay_alu instid0(VALU_DEP_1) | instskip(NEXT) | instid1(VALU_DEP_1)
	v_and_b32_e32 v1, 0x7f800000, v0
	v_cmp_ne_u32_e64 s1, 0x7f800000, v1
	s_delay_alu instid0(VALU_DEP_1) | instskip(NEXT) | instid1(SALU_CYCLE_1)
	s_and_saveexec_b32 s2, s1
	s_xor_b32 s1, exec_lo, s2
; %bb.257:                              ;   in Loop: Header=BB464_8 Depth=1
	v_bfe_u32 v1, v0, 16, 1
	s_delay_alu instid0(VALU_DEP_1)
	v_add3_u32 v23, v0, v1, 0x7fff
                                        ; implicit-def: $vgpr0
; %bb.258:                              ;   in Loop: Header=BB464_8 Depth=1
	s_and_not1_saveexec_b32 s2, s1
; %bb.259:                              ;   in Loop: Header=BB464_8 Depth=1
	v_and_b32_e32 v1, 0xffff, v0
	v_or_b32_e32 v2, 0x10000, v0
	s_delay_alu instid0(VALU_DEP_2) | instskip(NEXT) | instid1(VALU_DEP_1)
	v_cmp_eq_u32_e64 s1, 0, v1
	v_cndmask_b32_e64 v23, v2, v0, s1
; %bb.260:                              ;   in Loop: Header=BB464_8 Depth=1
	s_or_b32 exec_lo, exec_lo, s2
	v_lshrrev_b16 v1, 8, v18
	v_mov_b32_e32 v0, 0
	s_mov_b32 s2, exec_lo
	s_delay_alu instid0(VALU_DEP_2)
	v_cmpx_ne_u16_e32 0, v1
	s_cbranch_execz .LBB464_268
; %bb.261:                              ;   in Loop: Header=BB464_8 Depth=1
	v_bfrev_b32_e32 v0, 1
	s_mov_b32 s18, exec_lo
	v_cmpx_ne_u16_e32 0x80, v1
	s_cbranch_execz .LBB464_267
; %bb.262:                              ;   in Loop: Header=BB464_8 Depth=1
	v_and_b32_e32 v2, 0xffff, v1
	v_mov_b32_e32 v0, 0x7f800001
	s_mov_b32 s19, exec_lo
	s_delay_alu instid0(VALU_DEP_2) | instskip(NEXT) | instid1(VALU_DEP_1)
	v_and_b32_e32 v1, 0x7f, v2
	v_cmpx_ne_u32_e32 0x7f, v1
	s_cbranch_execz .LBB464_266
; %bb.263:                              ;   in Loop: Header=BB464_8 Depth=1
	v_dual_mov_b32 v33, v19 :: v_dual_and_b32 v32, 7, v2
	v_lshrrev_b32_e32 v0, 3, v1
	s_mov_b32 s20, exec_lo
	v_cmpx_gt_u32_e32 8, v1
; %bb.264:                              ;   in Loop: Header=BB464_8 Depth=1
	s_delay_alu instid0(VALU_DEP_3) | instskip(NEXT) | instid1(VALU_DEP_1)
	v_clz_i32_u32_e32 v0, v32
	v_min_u32_e32 v0, 32, v0
	s_delay_alu instid0(VALU_DEP_1) | instskip(SKIP_1) | instid1(VALU_DEP_2)
	v_subrev_nc_u32_e32 v1, 28, v0
	v_sub_nc_u32_e32 v0, 29, v0
	v_lshlrev_b64 v[1:2], v1, v[32:33]
	s_delay_alu instid0(VALU_DEP_1)
	v_and_b32_e32 v32, 7, v1
; %bb.265:                              ;   in Loop: Header=BB464_8 Depth=1
	s_or_b32 exec_lo, exec_lo, s20
	v_lshlrev_b32_e32 v1, 16, v18
	s_delay_alu instid0(VALU_DEP_2) | instskip(SKIP_1) | instid1(VALU_DEP_3)
	v_lshlrev_b32_e32 v2, 20, v32
	v_lshl_add_u32 v0, v0, 23, 0x3c000000
	v_and_b32_e32 v1, 0x80000000, v1
	s_delay_alu instid0(VALU_DEP_1)
	v_or3_b32 v0, v2, v1, v0
.LBB464_266:                            ;   in Loop: Header=BB464_8 Depth=1
	s_or_b32 exec_lo, exec_lo, s19
.LBB464_267:                            ;   in Loop: Header=BB464_8 Depth=1
	s_delay_alu instid0(SALU_CYCLE_1)
	s_or_b32 exec_lo, exec_lo, s18
.LBB464_268:                            ;   in Loop: Header=BB464_8 Depth=1
	s_delay_alu instid0(SALU_CYCLE_1) | instskip(NEXT) | instid1(VALU_DEP_1)
	s_or_b32 exec_lo, exec_lo, s2
	v_mul_f32_e32 v0, v168, v0
                                        ; implicit-def: $vgpr54
	s_delay_alu instid0(VALU_DEP_1) | instskip(NEXT) | instid1(VALU_DEP_1)
	v_and_b32_e32 v1, 0x7f800000, v0
	v_cmp_ne_u32_e64 s1, 0x7f800000, v1
	s_delay_alu instid0(VALU_DEP_1) | instskip(NEXT) | instid1(SALU_CYCLE_1)
	s_and_saveexec_b32 s2, s1
	s_xor_b32 s1, exec_lo, s2
; %bb.269:                              ;   in Loop: Header=BB464_8 Depth=1
	v_bfe_u32 v1, v0, 16, 1
	s_delay_alu instid0(VALU_DEP_1)
	v_add3_u32 v54, v0, v1, 0x7fff
                                        ; implicit-def: $vgpr0
; %bb.270:                              ;   in Loop: Header=BB464_8 Depth=1
	s_and_not1_saveexec_b32 s2, s1
; %bb.271:                              ;   in Loop: Header=BB464_8 Depth=1
	v_and_b32_e32 v1, 0xffff, v0
	v_or_b32_e32 v2, 0x10000, v0
	s_delay_alu instid0(VALU_DEP_2) | instskip(NEXT) | instid1(VALU_DEP_1)
	v_cmp_eq_u32_e64 s1, 0, v1
	v_cndmask_b32_e64 v54, v2, v0, s1
; %bb.272:                              ;   in Loop: Header=BB464_8 Depth=1
	s_or_b32 exec_lo, exec_lo, s2
	v_lshrrev_b32_e32 v0, 16, v31
	s_mov_b32 s2, exec_lo
	s_delay_alu instid0(VALU_DEP_1) | instskip(NEXT) | instid1(VALU_DEP_1)
	v_dual_mov_b32 v1, 0 :: v_dual_and_b32 v2, 0xff, v0
	v_cmpx_ne_u16_e32 0, v2
	s_cbranch_execz .LBB464_280
; %bb.273:                              ;   in Loop: Header=BB464_8 Depth=1
	v_bfrev_b32_e32 v1, 1
	s_mov_b32 s18, exec_lo
	v_cmpx_ne_u16_e32 0x80, v2
	s_cbranch_execz .LBB464_279
; %bb.274:                              ;   in Loop: Header=BB464_8 Depth=1
	v_bfe_u32 v2, v31, 16, 7
	v_mov_b32_e32 v1, 0x7f800001
	s_mov_b32 s19, exec_lo
	s_delay_alu instid0(VALU_DEP_2)
	v_cmpx_ne_u32_e32 0x7f, v2
	s_cbranch_execz .LBB464_278
; %bb.275:                              ;   in Loop: Header=BB464_8 Depth=1
	v_and_b32_e32 v18, 7, v0
	v_lshrrev_b32_e32 v1, 3, v2
	v_mov_b32_e32 v33, v19
	s_mov_b32 s20, exec_lo
	s_delay_alu instid0(VALU_DEP_3)
	v_mov_b32_e32 v32, v18
	v_cmpx_gt_u32_e32 8, v2
; %bb.276:                              ;   in Loop: Header=BB464_8 Depth=1
	v_clz_i32_u32_e32 v1, v18
	s_delay_alu instid0(VALU_DEP_1) | instskip(NEXT) | instid1(VALU_DEP_1)
	v_min_u32_e32 v1, 32, v1
	v_subrev_nc_u32_e32 v2, 28, v1
	v_sub_nc_u32_e32 v1, 29, v1
	s_delay_alu instid0(VALU_DEP_2) | instskip(NEXT) | instid1(VALU_DEP_1)
	v_lshlrev_b64 v[2:3], v2, v[18:19]
	v_and_b32_e32 v32, 7, v2
; %bb.277:                              ;   in Loop: Header=BB464_8 Depth=1
	s_or_b32 exec_lo, exec_lo, s20
	v_lshlrev_b32_e32 v0, 24, v0
	s_delay_alu instid0(VALU_DEP_2) | instskip(SKIP_1) | instid1(VALU_DEP_3)
	v_lshlrev_b32_e32 v2, 20, v32
	v_lshl_add_u32 v1, v1, 23, 0x3c000000
	v_and_b32_e32 v0, 0x80000000, v0
	s_delay_alu instid0(VALU_DEP_1)
	v_or3_b32 v1, v2, v0, v1
.LBB464_278:                            ;   in Loop: Header=BB464_8 Depth=1
	s_or_b32 exec_lo, exec_lo, s19
.LBB464_279:                            ;   in Loop: Header=BB464_8 Depth=1
	s_delay_alu instid0(SALU_CYCLE_1)
	s_or_b32 exec_lo, exec_lo, s18
.LBB464_280:                            ;   in Loop: Header=BB464_8 Depth=1
	s_delay_alu instid0(SALU_CYCLE_1) | instskip(NEXT) | instid1(VALU_DEP_1)
	s_or_b32 exec_lo, exec_lo, s2
	v_mul_f32_e32 v0, v168, v1
                                        ; implicit-def: $vgpr12
	s_delay_alu instid0(VALU_DEP_1) | instskip(NEXT) | instid1(VALU_DEP_1)
	v_and_b32_e32 v1, 0x7f800000, v0
	v_cmp_ne_u32_e64 s1, 0x7f800000, v1
	s_delay_alu instid0(VALU_DEP_1) | instskip(NEXT) | instid1(SALU_CYCLE_1)
	s_and_saveexec_b32 s2, s1
	s_xor_b32 s1, exec_lo, s2
; %bb.281:                              ;   in Loop: Header=BB464_8 Depth=1
	v_bfe_u32 v1, v0, 16, 1
	s_delay_alu instid0(VALU_DEP_1)
	v_add3_u32 v12, v0, v1, 0x7fff
                                        ; implicit-def: $vgpr0
; %bb.282:                              ;   in Loop: Header=BB464_8 Depth=1
	s_and_not1_saveexec_b32 s2, s1
; %bb.283:                              ;   in Loop: Header=BB464_8 Depth=1
	v_and_b32_e32 v1, 0xffff, v0
	v_or_b32_e32 v2, 0x10000, v0
	s_delay_alu instid0(VALU_DEP_2) | instskip(NEXT) | instid1(VALU_DEP_1)
	v_cmp_eq_u32_e64 s1, 0, v1
	v_cndmask_b32_e64 v12, v2, v0, s1
; %bb.284:                              ;   in Loop: Header=BB464_8 Depth=1
	s_or_b32 exec_lo, exec_lo, s2
	v_mov_b32_e32 v1, 0
	s_mov_b32 s2, exec_lo
	v_cmpx_lt_u64_e64 s[8:9], v[30:31]
	s_cbranch_execz .LBB464_292
; %bb.285:                              ;   in Loop: Header=BB464_8 Depth=1
	v_lshrrev_b32_e32 v0, 24, v31
	v_bfrev_b32_e32 v1, 1
	s_mov_b32 s18, exec_lo
	s_delay_alu instid0(VALU_DEP_2)
	v_cmpx_ne_u32_e32 0x80, v0
	s_cbranch_execz .LBB464_291
; %bb.286:                              ;   in Loop: Header=BB464_8 Depth=1
	v_bfe_u32 v2, v31, 24, 7
	v_mov_b32_e32 v1, 0x7f800001
	s_mov_b32 s19, exec_lo
	s_delay_alu instid0(VALU_DEP_2)
	v_cmpx_ne_u32_e32 0x7f, v2
	s_cbranch_execz .LBB464_290
; %bb.287:                              ;   in Loop: Header=BB464_8 Depth=1
	v_and_b32_e32 v18, 7, v0
	v_lshrrev_b32_e32 v1, 3, v2
	v_mov_b32_e32 v31, v19
	s_mov_b32 s20, exec_lo
	s_delay_alu instid0(VALU_DEP_3)
	v_mov_b32_e32 v30, v18
	v_cmpx_gt_u32_e32 8, v2
; %bb.288:                              ;   in Loop: Header=BB464_8 Depth=1
	v_clz_i32_u32_e32 v1, v18
	s_delay_alu instid0(VALU_DEP_1) | instskip(NEXT) | instid1(VALU_DEP_1)
	v_min_u32_e32 v1, 32, v1
	v_subrev_nc_u32_e32 v2, 28, v1
	v_sub_nc_u32_e32 v1, 29, v1
	s_delay_alu instid0(VALU_DEP_2) | instskip(NEXT) | instid1(VALU_DEP_1)
	v_lshlrev_b64 v[2:3], v2, v[18:19]
	v_and_b32_e32 v30, 7, v2
; %bb.289:                              ;   in Loop: Header=BB464_8 Depth=1
	s_or_b32 exec_lo, exec_lo, s20
	v_lshlrev_b32_e32 v0, 24, v0
	s_delay_alu instid0(VALU_DEP_2) | instskip(SKIP_1) | instid1(VALU_DEP_3)
	v_lshlrev_b32_e32 v2, 20, v30
	v_lshl_add_u32 v1, v1, 23, 0x3c000000
	v_and_b32_e32 v0, 0x80000000, v0
	s_delay_alu instid0(VALU_DEP_1)
	v_or3_b32 v1, v2, v0, v1
.LBB464_290:                            ;   in Loop: Header=BB464_8 Depth=1
	s_or_b32 exec_lo, exec_lo, s19
.LBB464_291:                            ;   in Loop: Header=BB464_8 Depth=1
	s_delay_alu instid0(SALU_CYCLE_1)
	s_or_b32 exec_lo, exec_lo, s18
.LBB464_292:                            ;   in Loop: Header=BB464_8 Depth=1
	s_delay_alu instid0(SALU_CYCLE_1) | instskip(NEXT) | instid1(VALU_DEP_1)
	s_or_b32 exec_lo, exec_lo, s2
	v_mul_f32_e32 v0, v168, v1
                                        ; implicit-def: $vgpr11
	s_delay_alu instid0(VALU_DEP_1) | instskip(NEXT) | instid1(VALU_DEP_1)
	v_and_b32_e32 v1, 0x7f800000, v0
	v_cmp_ne_u32_e64 s1, 0x7f800000, v1
	s_delay_alu instid0(VALU_DEP_1) | instskip(NEXT) | instid1(SALU_CYCLE_1)
	s_and_saveexec_b32 s2, s1
	s_xor_b32 s1, exec_lo, s2
; %bb.293:                              ;   in Loop: Header=BB464_8 Depth=1
	v_bfe_u32 v1, v0, 16, 1
	s_delay_alu instid0(VALU_DEP_1)
	v_add3_u32 v11, v0, v1, 0x7fff
                                        ; implicit-def: $vgpr0
; %bb.294:                              ;   in Loop: Header=BB464_8 Depth=1
	s_and_not1_saveexec_b32 s2, s1
; %bb.295:                              ;   in Loop: Header=BB464_8 Depth=1
	v_and_b32_e32 v1, 0xffff, v0
	v_or_b32_e32 v2, 0x10000, v0
	s_delay_alu instid0(VALU_DEP_2) | instskip(NEXT) | instid1(VALU_DEP_1)
	v_cmp_eq_u32_e64 s1, 0, v1
	v_cndmask_b32_e64 v11, v2, v0, s1
; %bb.296:                              ;   in Loop: Header=BB464_8 Depth=1
	s_or_b32 exec_lo, exec_lo, s2
	flat_load_b64 v[30:31], v[28:29] offset:520
	s_mov_b32 s2, exec_lo
	s_waitcnt vmcnt(0) lgkmcnt(0)
	v_dual_mov_b32 v0, 0 :: v_dual_and_b32 v1, 0xff, v30
	s_delay_alu instid0(VALU_DEP_1)
	v_cmpx_ne_u16_e32 0, v1
	s_cbranch_execz .LBB464_304
; %bb.297:                              ;   in Loop: Header=BB464_8 Depth=1
	v_bfrev_b32_e32 v0, 1
	s_mov_b32 s18, exec_lo
	v_cmpx_ne_u16_e32 0x80, v1
	s_cbranch_execz .LBB464_303
; %bb.298:                              ;   in Loop: Header=BB464_8 Depth=1
	v_and_b32_e32 v1, 0x7f, v30
	v_mov_b32_e32 v0, 0x7f800001
	s_mov_b32 s19, exec_lo
	s_delay_alu instid0(VALU_DEP_2)
	v_cmpx_ne_u32_e32 0x7f, v1
	s_cbranch_execz .LBB464_302
; %bb.299:                              ;   in Loop: Header=BB464_8 Depth=1
	v_lshrrev_b32_e32 v0, 3, v1
	v_dual_mov_b32 v33, v31 :: v_dual_mov_b32 v32, v30
	s_mov_b32 s20, exec_lo
	v_cmpx_gt_u32_e32 8, v1
; %bb.300:                              ;   in Loop: Header=BB464_8 Depth=1
	v_and_b32_e32 v0, 7, v30
	s_delay_alu instid0(VALU_DEP_1) | instskip(NEXT) | instid1(VALU_DEP_1)
	v_clz_i32_u32_e32 v0, v0
	v_min_u32_e32 v0, 32, v0
	s_delay_alu instid0(VALU_DEP_1) | instskip(SKIP_1) | instid1(VALU_DEP_2)
	v_subrev_nc_u32_e32 v1, 28, v0
	v_sub_nc_u32_e32 v0, 29, v0
	v_lshlrev_b64 v[32:33], v1, v[30:31]
; %bb.301:                              ;   in Loop: Header=BB464_8 Depth=1
	s_or_b32 exec_lo, exec_lo, s20
	s_delay_alu instid0(VALU_DEP_1) | instskip(SKIP_2) | instid1(VALU_DEP_3)
	v_lshlrev_b32_e32 v1, 20, v32
	v_lshlrev_b32_e32 v2, 24, v30
	v_lshl_add_u32 v0, v0, 23, 0x3c000000
	v_and_b32_e32 v1, 0x700000, v1
	s_delay_alu instid0(VALU_DEP_3) | instskip(NEXT) | instid1(VALU_DEP_1)
	v_and_b32_e32 v2, 0x80000000, v2
	v_or3_b32 v0, v1, v2, v0
.LBB464_302:                            ;   in Loop: Header=BB464_8 Depth=1
	s_or_b32 exec_lo, exec_lo, s19
.LBB464_303:                            ;   in Loop: Header=BB464_8 Depth=1
	s_delay_alu instid0(SALU_CYCLE_1)
	s_or_b32 exec_lo, exec_lo, s18
.LBB464_304:                            ;   in Loop: Header=BB464_8 Depth=1
	s_delay_alu instid0(SALU_CYCLE_1) | instskip(NEXT) | instid1(VALU_DEP_1)
	s_or_b32 exec_lo, exec_lo, s2
	v_mul_f32_e32 v0, v168, v0
                                        ; implicit-def: $vgpr10
	s_delay_alu instid0(VALU_DEP_1) | instskip(NEXT) | instid1(VALU_DEP_1)
	v_and_b32_e32 v1, 0x7f800000, v0
	v_cmp_ne_u32_e64 s1, 0x7f800000, v1
	s_delay_alu instid0(VALU_DEP_1) | instskip(NEXT) | instid1(SALU_CYCLE_1)
	s_and_saveexec_b32 s2, s1
	s_xor_b32 s1, exec_lo, s2
; %bb.305:                              ;   in Loop: Header=BB464_8 Depth=1
	v_bfe_u32 v1, v0, 16, 1
	s_delay_alu instid0(VALU_DEP_1)
	v_add3_u32 v10, v0, v1, 0x7fff
                                        ; implicit-def: $vgpr0
; %bb.306:                              ;   in Loop: Header=BB464_8 Depth=1
	s_and_not1_saveexec_b32 s2, s1
; %bb.307:                              ;   in Loop: Header=BB464_8 Depth=1
	v_and_b32_e32 v1, 0xffff, v0
	v_or_b32_e32 v2, 0x10000, v0
	s_delay_alu instid0(VALU_DEP_2) | instskip(NEXT) | instid1(VALU_DEP_1)
	v_cmp_eq_u32_e64 s1, 0, v1
	v_cndmask_b32_e64 v10, v2, v0, s1
; %bb.308:                              ;   in Loop: Header=BB464_8 Depth=1
	s_or_b32 exec_lo, exec_lo, s2
	v_lshrrev_b16 v1, 8, v30
	v_mov_b32_e32 v0, 0
	s_mov_b32 s2, exec_lo
	s_delay_alu instid0(VALU_DEP_2)
	v_cmpx_ne_u16_e32 0, v1
	s_cbranch_execz .LBB464_316
; %bb.309:                              ;   in Loop: Header=BB464_8 Depth=1
	v_bfrev_b32_e32 v0, 1
	s_mov_b32 s18, exec_lo
	v_cmpx_ne_u16_e32 0x80, v1
	s_cbranch_execz .LBB464_315
; %bb.310:                              ;   in Loop: Header=BB464_8 Depth=1
	v_and_b32_e32 v2, 0xffff, v1
	v_mov_b32_e32 v0, 0x7f800001
	s_mov_b32 s19, exec_lo
	s_delay_alu instid0(VALU_DEP_2) | instskip(NEXT) | instid1(VALU_DEP_1)
	v_and_b32_e32 v1, 0x7f, v2
	v_cmpx_ne_u32_e32 0x7f, v1
	s_cbranch_execz .LBB464_314
; %bb.311:                              ;   in Loop: Header=BB464_8 Depth=1
	v_and_b32_e32 v18, 7, v2
	v_lshrrev_b32_e32 v0, 3, v1
	v_mov_b32_e32 v33, v19
	s_mov_b32 s20, exec_lo
	s_delay_alu instid0(VALU_DEP_3)
	v_mov_b32_e32 v32, v18
	v_cmpx_gt_u32_e32 8, v1
; %bb.312:                              ;   in Loop: Header=BB464_8 Depth=1
	v_clz_i32_u32_e32 v0, v18
	s_delay_alu instid0(VALU_DEP_1) | instskip(NEXT) | instid1(VALU_DEP_1)
	v_min_u32_e32 v0, 32, v0
	v_subrev_nc_u32_e32 v1, 28, v0
	v_sub_nc_u32_e32 v0, 29, v0
	s_delay_alu instid0(VALU_DEP_2) | instskip(NEXT) | instid1(VALU_DEP_1)
	v_lshlrev_b64 v[1:2], v1, v[18:19]
	v_and_b32_e32 v32, 7, v1
; %bb.313:                              ;   in Loop: Header=BB464_8 Depth=1
	s_or_b32 exec_lo, exec_lo, s20
	v_lshlrev_b32_e32 v1, 16, v30
	s_delay_alu instid0(VALU_DEP_2) | instskip(SKIP_1) | instid1(VALU_DEP_3)
	v_lshlrev_b32_e32 v2, 20, v32
	v_lshl_add_u32 v0, v0, 23, 0x3c000000
	v_and_b32_e32 v1, 0x80000000, v1
	s_delay_alu instid0(VALU_DEP_1)
	v_or3_b32 v0, v2, v1, v0
.LBB464_314:                            ;   in Loop: Header=BB464_8 Depth=1
	s_or_b32 exec_lo, exec_lo, s19
.LBB464_315:                            ;   in Loop: Header=BB464_8 Depth=1
	s_delay_alu instid0(SALU_CYCLE_1)
	s_or_b32 exec_lo, exec_lo, s18
.LBB464_316:                            ;   in Loop: Header=BB464_8 Depth=1
	s_delay_alu instid0(SALU_CYCLE_1) | instskip(NEXT) | instid1(VALU_DEP_1)
	s_or_b32 exec_lo, exec_lo, s2
	v_mul_f32_e32 v0, v168, v0
                                        ; implicit-def: $vgpr6
	s_delay_alu instid0(VALU_DEP_1) | instskip(NEXT) | instid1(VALU_DEP_1)
	v_and_b32_e32 v1, 0x7f800000, v0
	v_cmp_ne_u32_e64 s1, 0x7f800000, v1
	s_delay_alu instid0(VALU_DEP_1) | instskip(NEXT) | instid1(SALU_CYCLE_1)
	s_and_saveexec_b32 s2, s1
	s_xor_b32 s1, exec_lo, s2
; %bb.317:                              ;   in Loop: Header=BB464_8 Depth=1
	v_bfe_u32 v1, v0, 16, 1
	s_delay_alu instid0(VALU_DEP_1)
	v_add3_u32 v6, v0, v1, 0x7fff
                                        ; implicit-def: $vgpr0
; %bb.318:                              ;   in Loop: Header=BB464_8 Depth=1
	s_and_not1_saveexec_b32 s2, s1
; %bb.319:                              ;   in Loop: Header=BB464_8 Depth=1
	v_and_b32_e32 v1, 0xffff, v0
	v_or_b32_e32 v2, 0x10000, v0
	s_delay_alu instid0(VALU_DEP_2) | instskip(NEXT) | instid1(VALU_DEP_1)
	v_cmp_eq_u32_e64 s1, 0, v1
	v_cndmask_b32_e64 v6, v2, v0, s1
; %bb.320:                              ;   in Loop: Header=BB464_8 Depth=1
	s_or_b32 exec_lo, exec_lo, s2
	v_lshrrev_b32_e32 v0, 16, v30
	s_mov_b32 s2, exec_lo
	s_delay_alu instid0(VALU_DEP_1) | instskip(NEXT) | instid1(VALU_DEP_1)
	v_dual_mov_b32 v1, 0 :: v_dual_and_b32 v2, 0xff, v0
	v_cmpx_ne_u16_e32 0, v2
	s_cbranch_execz .LBB464_328
; %bb.321:                              ;   in Loop: Header=BB464_8 Depth=1
	v_bfrev_b32_e32 v1, 1
	s_mov_b32 s18, exec_lo
	v_cmpx_ne_u16_e32 0x80, v2
	s_cbranch_execz .LBB464_327
; %bb.322:                              ;   in Loop: Header=BB464_8 Depth=1
	v_bfe_u32 v2, v30, 16, 7
	v_mov_b32_e32 v1, 0x7f800001
	s_mov_b32 s19, exec_lo
	s_delay_alu instid0(VALU_DEP_2)
	v_cmpx_ne_u32_e32 0x7f, v2
	s_cbranch_execz .LBB464_326
; %bb.323:                              ;   in Loop: Header=BB464_8 Depth=1
	v_and_b32_e32 v18, 7, v0
	v_lshrrev_b32_e32 v1, 3, v2
	v_mov_b32_e32 v33, v19
	s_mov_b32 s20, exec_lo
	s_delay_alu instid0(VALU_DEP_3)
	v_mov_b32_e32 v32, v18
	v_cmpx_gt_u32_e32 8, v2
; %bb.324:                              ;   in Loop: Header=BB464_8 Depth=1
	v_clz_i32_u32_e32 v1, v18
	s_delay_alu instid0(VALU_DEP_1) | instskip(NEXT) | instid1(VALU_DEP_1)
	v_min_u32_e32 v1, 32, v1
	v_subrev_nc_u32_e32 v2, 28, v1
	v_sub_nc_u32_e32 v1, 29, v1
	s_delay_alu instid0(VALU_DEP_2) | instskip(NEXT) | instid1(VALU_DEP_1)
	v_lshlrev_b64 v[2:3], v2, v[18:19]
	v_and_b32_e32 v32, 7, v2
; %bb.325:                              ;   in Loop: Header=BB464_8 Depth=1
	s_or_b32 exec_lo, exec_lo, s20
	v_lshlrev_b32_e32 v0, 24, v0
	s_delay_alu instid0(VALU_DEP_2) | instskip(SKIP_1) | instid1(VALU_DEP_3)
	v_lshlrev_b32_e32 v2, 20, v32
	v_lshl_add_u32 v1, v1, 23, 0x3c000000
	v_and_b32_e32 v0, 0x80000000, v0
	s_delay_alu instid0(VALU_DEP_1)
	v_or3_b32 v1, v2, v0, v1
.LBB464_326:                            ;   in Loop: Header=BB464_8 Depth=1
	s_or_b32 exec_lo, exec_lo, s19
.LBB464_327:                            ;   in Loop: Header=BB464_8 Depth=1
	s_delay_alu instid0(SALU_CYCLE_1)
	s_or_b32 exec_lo, exec_lo, s18
.LBB464_328:                            ;   in Loop: Header=BB464_8 Depth=1
	s_delay_alu instid0(SALU_CYCLE_1) | instskip(NEXT) | instid1(VALU_DEP_1)
	s_or_b32 exec_lo, exec_lo, s2
	v_mul_f32_e32 v0, v168, v1
                                        ; implicit-def: $vgpr7
	s_delay_alu instid0(VALU_DEP_1) | instskip(NEXT) | instid1(VALU_DEP_1)
	v_and_b32_e32 v1, 0x7f800000, v0
	v_cmp_ne_u32_e64 s1, 0x7f800000, v1
	s_delay_alu instid0(VALU_DEP_1) | instskip(NEXT) | instid1(SALU_CYCLE_1)
	s_and_saveexec_b32 s2, s1
	s_xor_b32 s1, exec_lo, s2
; %bb.329:                              ;   in Loop: Header=BB464_8 Depth=1
	v_bfe_u32 v1, v0, 16, 1
	s_delay_alu instid0(VALU_DEP_1)
	v_add3_u32 v7, v0, v1, 0x7fff
                                        ; implicit-def: $vgpr0
; %bb.330:                              ;   in Loop: Header=BB464_8 Depth=1
	s_and_not1_saveexec_b32 s2, s1
; %bb.331:                              ;   in Loop: Header=BB464_8 Depth=1
	v_and_b32_e32 v1, 0xffff, v0
	v_or_b32_e32 v2, 0x10000, v0
	s_delay_alu instid0(VALU_DEP_2) | instskip(NEXT) | instid1(VALU_DEP_1)
	v_cmp_eq_u32_e64 s1, 0, v1
	v_cndmask_b32_e64 v7, v2, v0, s1
; %bb.332:                              ;   in Loop: Header=BB464_8 Depth=1
	s_or_b32 exec_lo, exec_lo, s2
	v_mov_b32_e32 v1, 0
	s_mov_b32 s2, exec_lo
	v_cmpx_lt_u32_e32 0xffffff, v30
	s_cbranch_execz .LBB464_340
; %bb.333:                              ;   in Loop: Header=BB464_8 Depth=1
	v_lshrrev_b32_e32 v0, 24, v30
	v_bfrev_b32_e32 v1, 1
	s_mov_b32 s18, exec_lo
	s_delay_alu instid0(VALU_DEP_2)
	v_cmpx_ne_u32_e32 0x80, v0
	s_cbranch_execz .LBB464_339
; %bb.334:                              ;   in Loop: Header=BB464_8 Depth=1
	v_bfe_u32 v2, v30, 24, 7
	v_mov_b32_e32 v1, 0x7f800001
	s_mov_b32 s19, exec_lo
	s_delay_alu instid0(VALU_DEP_2)
	v_cmpx_ne_u32_e32 0x7f, v2
	s_cbranch_execz .LBB464_338
; %bb.335:                              ;   in Loop: Header=BB464_8 Depth=1
	v_and_b32_e32 v18, 7, v0
	v_lshrrev_b32_e32 v1, 3, v2
	v_mov_b32_e32 v33, v19
	s_mov_b32 s20, exec_lo
	s_delay_alu instid0(VALU_DEP_3)
	v_mov_b32_e32 v32, v18
	v_cmpx_gt_u32_e32 8, v2
; %bb.336:                              ;   in Loop: Header=BB464_8 Depth=1
	v_clz_i32_u32_e32 v1, v18
	s_delay_alu instid0(VALU_DEP_1) | instskip(NEXT) | instid1(VALU_DEP_1)
	v_min_u32_e32 v1, 32, v1
	v_subrev_nc_u32_e32 v2, 28, v1
	v_sub_nc_u32_e32 v1, 29, v1
	s_delay_alu instid0(VALU_DEP_2) | instskip(NEXT) | instid1(VALU_DEP_1)
	v_lshlrev_b64 v[2:3], v2, v[18:19]
	v_and_b32_e32 v32, 7, v2
; %bb.337:                              ;   in Loop: Header=BB464_8 Depth=1
	s_or_b32 exec_lo, exec_lo, s20
	v_lshlrev_b32_e32 v0, 24, v0
	s_delay_alu instid0(VALU_DEP_2) | instskip(SKIP_1) | instid1(VALU_DEP_3)
	v_lshlrev_b32_e32 v2, 20, v32
	v_lshl_add_u32 v1, v1, 23, 0x3c000000
	v_and_b32_e32 v0, 0x80000000, v0
	s_delay_alu instid0(VALU_DEP_1)
	v_or3_b32 v1, v2, v0, v1
.LBB464_338:                            ;   in Loop: Header=BB464_8 Depth=1
	s_or_b32 exec_lo, exec_lo, s19
.LBB464_339:                            ;   in Loop: Header=BB464_8 Depth=1
	s_delay_alu instid0(SALU_CYCLE_1)
	s_or_b32 exec_lo, exec_lo, s18
.LBB464_340:                            ;   in Loop: Header=BB464_8 Depth=1
	s_delay_alu instid0(SALU_CYCLE_1) | instskip(NEXT) | instid1(VALU_DEP_1)
	s_or_b32 exec_lo, exec_lo, s2
	v_mul_f32_e32 v0, v168, v1
                                        ; implicit-def: $vgpr2
	s_delay_alu instid0(VALU_DEP_1) | instskip(NEXT) | instid1(VALU_DEP_1)
	v_and_b32_e32 v1, 0x7f800000, v0
	v_cmp_ne_u32_e64 s1, 0x7f800000, v1
	s_delay_alu instid0(VALU_DEP_1) | instskip(NEXT) | instid1(SALU_CYCLE_1)
	s_and_saveexec_b32 s2, s1
	s_xor_b32 s1, exec_lo, s2
; %bb.341:                              ;   in Loop: Header=BB464_8 Depth=1
	v_bfe_u32 v1, v0, 16, 1
	s_delay_alu instid0(VALU_DEP_1)
	v_add3_u32 v2, v0, v1, 0x7fff
                                        ; implicit-def: $vgpr0
; %bb.342:                              ;   in Loop: Header=BB464_8 Depth=1
	s_and_not1_saveexec_b32 s2, s1
; %bb.343:                              ;   in Loop: Header=BB464_8 Depth=1
	v_and_b32_e32 v1, 0xffff, v0
	v_or_b32_e32 v2, 0x10000, v0
	s_delay_alu instid0(VALU_DEP_2) | instskip(NEXT) | instid1(VALU_DEP_1)
	v_cmp_eq_u32_e64 s1, 0, v1
	v_cndmask_b32_e64 v2, v2, v0, s1
; %bb.344:                              ;   in Loop: Header=BB464_8 Depth=1
	s_or_b32 exec_lo, exec_lo, s2
	v_dual_mov_b32 v18, v31 :: v_dual_and_b32 v1, 0xff, v31
	v_mov_b32_e32 v0, 0
	s_mov_b32 s2, exec_lo
	s_delay_alu instid0(VALU_DEP_2)
	v_cmpx_ne_u16_e32 0, v1
	s_cbranch_execz .LBB464_352
; %bb.345:                              ;   in Loop: Header=BB464_8 Depth=1
	v_bfrev_b32_e32 v0, 1
	s_mov_b32 s18, exec_lo
	v_cmpx_ne_u16_e32 0x80, v1
	s_cbranch_execz .LBB464_351
; %bb.346:                              ;   in Loop: Header=BB464_8 Depth=1
	v_and_b32_e32 v1, 0x7f, v31
	v_mov_b32_e32 v0, 0x7f800001
	s_mov_b32 s19, exec_lo
	s_delay_alu instid0(VALU_DEP_2)
	v_cmpx_ne_u32_e32 0x7f, v1
	s_cbranch_execz .LBB464_350
; %bb.347:                              ;   in Loop: Header=BB464_8 Depth=1
	v_lshrrev_b32_e32 v0, 3, v1
	v_dual_mov_b32 v33, v19 :: v_dual_mov_b32 v32, v18
	s_mov_b32 s20, exec_lo
	v_cmpx_gt_u32_e32 8, v1
; %bb.348:                              ;   in Loop: Header=BB464_8 Depth=1
	v_and_b32_e32 v0, 7, v31
	s_delay_alu instid0(VALU_DEP_1) | instskip(NEXT) | instid1(VALU_DEP_1)
	v_clz_i32_u32_e32 v0, v0
	v_min_u32_e32 v0, 32, v0
	s_delay_alu instid0(VALU_DEP_1) | instskip(SKIP_1) | instid1(VALU_DEP_2)
	v_subrev_nc_u32_e32 v1, 28, v0
	v_sub_nc_u32_e32 v0, 29, v0
	v_lshlrev_b64 v[32:33], v1, v[18:19]
; %bb.349:                              ;   in Loop: Header=BB464_8 Depth=1
	s_or_b32 exec_lo, exec_lo, s20
	s_delay_alu instid0(VALU_DEP_1) | instskip(SKIP_2) | instid1(VALU_DEP_3)
	v_lshlrev_b32_e32 v1, 20, v32
	v_lshlrev_b32_e32 v3, 24, v18
	v_lshl_add_u32 v0, v0, 23, 0x3c000000
	v_and_b32_e32 v1, 0x700000, v1
	s_delay_alu instid0(VALU_DEP_3) | instskip(NEXT) | instid1(VALU_DEP_1)
	v_and_b32_e32 v3, 0x80000000, v3
	v_or3_b32 v0, v1, v3, v0
.LBB464_350:                            ;   in Loop: Header=BB464_8 Depth=1
	s_or_b32 exec_lo, exec_lo, s19
.LBB464_351:                            ;   in Loop: Header=BB464_8 Depth=1
	s_delay_alu instid0(SALU_CYCLE_1)
	s_or_b32 exec_lo, exec_lo, s18
.LBB464_352:                            ;   in Loop: Header=BB464_8 Depth=1
	s_delay_alu instid0(SALU_CYCLE_1) | instskip(NEXT) | instid1(VALU_DEP_1)
	s_or_b32 exec_lo, exec_lo, s2
	v_mul_f32_e32 v0, v168, v0
                                        ; implicit-def: $vgpr3
	s_delay_alu instid0(VALU_DEP_1) | instskip(NEXT) | instid1(VALU_DEP_1)
	v_and_b32_e32 v1, 0x7f800000, v0
	v_cmp_ne_u32_e64 s1, 0x7f800000, v1
	s_delay_alu instid0(VALU_DEP_1) | instskip(NEXT) | instid1(SALU_CYCLE_1)
	s_and_saveexec_b32 s2, s1
	s_xor_b32 s1, exec_lo, s2
; %bb.353:                              ;   in Loop: Header=BB464_8 Depth=1
	v_bfe_u32 v1, v0, 16, 1
	s_delay_alu instid0(VALU_DEP_1)
	v_add3_u32 v3, v0, v1, 0x7fff
                                        ; implicit-def: $vgpr0
; %bb.354:                              ;   in Loop: Header=BB464_8 Depth=1
	s_and_not1_saveexec_b32 s2, s1
; %bb.355:                              ;   in Loop: Header=BB464_8 Depth=1
	v_and_b32_e32 v1, 0xffff, v0
	v_or_b32_e32 v3, 0x10000, v0
	s_delay_alu instid0(VALU_DEP_2) | instskip(NEXT) | instid1(VALU_DEP_1)
	v_cmp_eq_u32_e64 s1, 0, v1
	v_cndmask_b32_e64 v3, v3, v0, s1
; %bb.356:                              ;   in Loop: Header=BB464_8 Depth=1
	s_or_b32 exec_lo, exec_lo, s2
	v_lshrrev_b16 v1, 8, v18
	v_mov_b32_e32 v0, 0
	s_mov_b32 s2, exec_lo
	s_delay_alu instid0(VALU_DEP_2)
	v_cmpx_ne_u16_e32 0, v1
	s_cbranch_execz .LBB464_364
; %bb.357:                              ;   in Loop: Header=BB464_8 Depth=1
	v_bfrev_b32_e32 v0, 1
	s_mov_b32 s18, exec_lo
	v_cmpx_ne_u16_e32 0x80, v1
	s_cbranch_execz .LBB464_363
; %bb.358:                              ;   in Loop: Header=BB464_8 Depth=1
	v_and_b32_e32 v14, 0xffff, v1
	v_mov_b32_e32 v0, 0x7f800001
	s_mov_b32 s19, exec_lo
	s_delay_alu instid0(VALU_DEP_2) | instskip(NEXT) | instid1(VALU_DEP_1)
	v_and_b32_e32 v1, 0x7f, v14
	v_cmpx_ne_u32_e32 0x7f, v1
	s_cbranch_execz .LBB464_362
; %bb.359:                              ;   in Loop: Header=BB464_8 Depth=1
	v_dual_mov_b32 v33, v19 :: v_dual_and_b32 v32, 7, v14
	v_lshrrev_b32_e32 v0, 3, v1
	s_mov_b32 s20, exec_lo
	v_cmpx_gt_u32_e32 8, v1
; %bb.360:                              ;   in Loop: Header=BB464_8 Depth=1
	s_delay_alu instid0(VALU_DEP_3) | instskip(NEXT) | instid1(VALU_DEP_1)
	v_clz_i32_u32_e32 v0, v32
	v_min_u32_e32 v0, 32, v0
	s_delay_alu instid0(VALU_DEP_1) | instskip(SKIP_1) | instid1(VALU_DEP_2)
	v_subrev_nc_u32_e32 v1, 28, v0
	v_sub_nc_u32_e32 v0, 29, v0
	v_lshlrev_b64 v[14:15], v1, v[32:33]
	s_delay_alu instid0(VALU_DEP_1)
	v_and_b32_e32 v32, 7, v14
; %bb.361:                              ;   in Loop: Header=BB464_8 Depth=1
	s_or_b32 exec_lo, exec_lo, s20
	v_lshlrev_b32_e32 v1, 16, v18
	s_delay_alu instid0(VALU_DEP_2) | instskip(SKIP_1) | instid1(VALU_DEP_3)
	v_lshlrev_b32_e32 v14, 20, v32
	v_lshl_add_u32 v0, v0, 23, 0x3c000000
	v_and_b32_e32 v1, 0x80000000, v1
	s_delay_alu instid0(VALU_DEP_1)
	v_or3_b32 v0, v14, v1, v0
.LBB464_362:                            ;   in Loop: Header=BB464_8 Depth=1
	s_or_b32 exec_lo, exec_lo, s19
.LBB464_363:                            ;   in Loop: Header=BB464_8 Depth=1
	s_delay_alu instid0(SALU_CYCLE_1)
	s_or_b32 exec_lo, exec_lo, s18
.LBB464_364:                            ;   in Loop: Header=BB464_8 Depth=1
	s_delay_alu instid0(SALU_CYCLE_1) | instskip(NEXT) | instid1(VALU_DEP_1)
	s_or_b32 exec_lo, exec_lo, s2
	v_mul_f32_e32 v0, v168, v0
                                        ; implicit-def: $vgpr14
	s_delay_alu instid0(VALU_DEP_1) | instskip(NEXT) | instid1(VALU_DEP_1)
	v_and_b32_e32 v1, 0x7f800000, v0
	v_cmp_ne_u32_e64 s1, 0x7f800000, v1
	s_delay_alu instid0(VALU_DEP_1) | instskip(NEXT) | instid1(SALU_CYCLE_1)
	s_and_saveexec_b32 s2, s1
	s_xor_b32 s1, exec_lo, s2
; %bb.365:                              ;   in Loop: Header=BB464_8 Depth=1
	v_bfe_u32 v1, v0, 16, 1
	s_delay_alu instid0(VALU_DEP_1)
	v_add3_u32 v14, v0, v1, 0x7fff
                                        ; implicit-def: $vgpr0
; %bb.366:                              ;   in Loop: Header=BB464_8 Depth=1
	s_and_not1_saveexec_b32 s2, s1
; %bb.367:                              ;   in Loop: Header=BB464_8 Depth=1
	v_and_b32_e32 v1, 0xffff, v0
	v_or_b32_e32 v14, 0x10000, v0
	s_delay_alu instid0(VALU_DEP_2) | instskip(NEXT) | instid1(VALU_DEP_1)
	v_cmp_eq_u32_e64 s1, 0, v1
	v_cndmask_b32_e64 v14, v14, v0, s1
; %bb.368:                              ;   in Loop: Header=BB464_8 Depth=1
	s_or_b32 exec_lo, exec_lo, s2
	v_lshrrev_b32_e32 v0, 16, v31
	v_mov_b32_e32 v1, 0
	s_mov_b32 s2, exec_lo
	s_delay_alu instid0(VALU_DEP_2) | instskip(NEXT) | instid1(VALU_DEP_1)
	v_and_b32_e32 v15, 0xff, v0
	v_cmpx_ne_u16_e32 0, v15
	s_cbranch_execz .LBB464_376
; %bb.369:                              ;   in Loop: Header=BB464_8 Depth=1
	v_bfrev_b32_e32 v1, 1
	s_mov_b32 s18, exec_lo
	v_cmpx_ne_u16_e32 0x80, v15
	s_cbranch_execz .LBB464_375
; %bb.370:                              ;   in Loop: Header=BB464_8 Depth=1
	v_bfe_u32 v15, v31, 16, 7
	v_mov_b32_e32 v1, 0x7f800001
	s_mov_b32 s19, exec_lo
	s_delay_alu instid0(VALU_DEP_2)
	v_cmpx_ne_u32_e32 0x7f, v15
	s_cbranch_execz .LBB464_374
; %bb.371:                              ;   in Loop: Header=BB464_8 Depth=1
	v_and_b32_e32 v18, 7, v0
	v_lshrrev_b32_e32 v1, 3, v15
	v_mov_b32_e32 v33, v19
	s_mov_b32 s20, exec_lo
	s_delay_alu instid0(VALU_DEP_3)
	v_mov_b32_e32 v32, v18
	v_cmpx_gt_u32_e32 8, v15
; %bb.372:                              ;   in Loop: Header=BB464_8 Depth=1
	v_clz_i32_u32_e32 v1, v18
	s_delay_alu instid0(VALU_DEP_1) | instskip(NEXT) | instid1(VALU_DEP_1)
	v_min_u32_e32 v1, 32, v1
	v_subrev_nc_u32_e32 v15, 28, v1
	v_sub_nc_u32_e32 v1, 29, v1
	s_delay_alu instid0(VALU_DEP_2) | instskip(NEXT) | instid1(VALU_DEP_1)
	v_lshlrev_b64 v[26:27], v15, v[18:19]
	v_and_b32_e32 v32, 7, v26
; %bb.373:                              ;   in Loop: Header=BB464_8 Depth=1
	s_or_b32 exec_lo, exec_lo, s20
	v_lshlrev_b32_e32 v0, 24, v0
	s_delay_alu instid0(VALU_DEP_2) | instskip(SKIP_1) | instid1(VALU_DEP_3)
	v_lshlrev_b32_e32 v15, 20, v32
	v_lshl_add_u32 v1, v1, 23, 0x3c000000
	v_and_b32_e32 v0, 0x80000000, v0
	s_delay_alu instid0(VALU_DEP_1)
	v_or3_b32 v1, v15, v0, v1
.LBB464_374:                            ;   in Loop: Header=BB464_8 Depth=1
	s_or_b32 exec_lo, exec_lo, s19
.LBB464_375:                            ;   in Loop: Header=BB464_8 Depth=1
	s_delay_alu instid0(SALU_CYCLE_1)
	s_or_b32 exec_lo, exec_lo, s18
.LBB464_376:                            ;   in Loop: Header=BB464_8 Depth=1
	s_delay_alu instid0(SALU_CYCLE_1) | instskip(NEXT) | instid1(VALU_DEP_1)
	s_or_b32 exec_lo, exec_lo, s2
	v_mul_f32_e32 v0, v168, v1
                                        ; implicit-def: $vgpr15
	s_delay_alu instid0(VALU_DEP_1) | instskip(NEXT) | instid1(VALU_DEP_1)
	v_and_b32_e32 v1, 0x7f800000, v0
	v_cmp_ne_u32_e64 s1, 0x7f800000, v1
	s_delay_alu instid0(VALU_DEP_1) | instskip(NEXT) | instid1(SALU_CYCLE_1)
	s_and_saveexec_b32 s2, s1
	s_xor_b32 s1, exec_lo, s2
; %bb.377:                              ;   in Loop: Header=BB464_8 Depth=1
	v_bfe_u32 v1, v0, 16, 1
	s_delay_alu instid0(VALU_DEP_1)
	v_add3_u32 v15, v0, v1, 0x7fff
                                        ; implicit-def: $vgpr0
; %bb.378:                              ;   in Loop: Header=BB464_8 Depth=1
	s_and_not1_saveexec_b32 s2, s1
; %bb.379:                              ;   in Loop: Header=BB464_8 Depth=1
	v_and_b32_e32 v1, 0xffff, v0
	v_or_b32_e32 v15, 0x10000, v0
	s_delay_alu instid0(VALU_DEP_2) | instskip(NEXT) | instid1(VALU_DEP_1)
	v_cmp_eq_u32_e64 s1, 0, v1
	v_cndmask_b32_e64 v15, v15, v0, s1
; %bb.380:                              ;   in Loop: Header=BB464_8 Depth=1
	s_or_b32 exec_lo, exec_lo, s2
	v_mov_b32_e32 v1, 0
	s_mov_b32 s2, exec_lo
	v_cmpx_lt_u64_e64 s[8:9], v[30:31]
	s_cbranch_execz .LBB464_388
; %bb.381:                              ;   in Loop: Header=BB464_8 Depth=1
	v_lshrrev_b32_e32 v0, 24, v31
	v_bfrev_b32_e32 v1, 1
	s_mov_b32 s18, exec_lo
	s_delay_alu instid0(VALU_DEP_2)
	v_cmpx_ne_u32_e32 0x80, v0
	s_cbranch_execz .LBB464_387
; %bb.382:                              ;   in Loop: Header=BB464_8 Depth=1
	v_bfe_u32 v26, v31, 24, 7
	v_mov_b32_e32 v1, 0x7f800001
	s_mov_b32 s19, exec_lo
	s_delay_alu instid0(VALU_DEP_2)
	v_cmpx_ne_u32_e32 0x7f, v26
	s_cbranch_execz .LBB464_386
; %bb.383:                              ;   in Loop: Header=BB464_8 Depth=1
	v_and_b32_e32 v18, 7, v0
	v_lshrrev_b32_e32 v1, 3, v26
	v_mov_b32_e32 v31, v19
	s_mov_b32 s20, exec_lo
	s_delay_alu instid0(VALU_DEP_3)
	v_mov_b32_e32 v30, v18
	v_cmpx_gt_u32_e32 8, v26
; %bb.384:                              ;   in Loop: Header=BB464_8 Depth=1
	v_clz_i32_u32_e32 v1, v18
	s_delay_alu instid0(VALU_DEP_1) | instskip(NEXT) | instid1(VALU_DEP_1)
	v_min_u32_e32 v1, 32, v1
	v_subrev_nc_u32_e32 v26, 28, v1
	v_sub_nc_u32_e32 v1, 29, v1
	s_delay_alu instid0(VALU_DEP_2) | instskip(NEXT) | instid1(VALU_DEP_1)
	v_lshlrev_b64 v[26:27], v26, v[18:19]
	v_and_b32_e32 v30, 7, v26
; %bb.385:                              ;   in Loop: Header=BB464_8 Depth=1
	s_or_b32 exec_lo, exec_lo, s20
	v_lshlrev_b32_e32 v0, 24, v0
	s_delay_alu instid0(VALU_DEP_2) | instskip(SKIP_1) | instid1(VALU_DEP_3)
	v_lshlrev_b32_e32 v18, 20, v30
	v_lshl_add_u32 v1, v1, 23, 0x3c000000
	v_and_b32_e32 v0, 0x80000000, v0
	s_delay_alu instid0(VALU_DEP_1)
	v_or3_b32 v1, v18, v0, v1
.LBB464_386:                            ;   in Loop: Header=BB464_8 Depth=1
	s_or_b32 exec_lo, exec_lo, s19
.LBB464_387:                            ;   in Loop: Header=BB464_8 Depth=1
	s_delay_alu instid0(SALU_CYCLE_1)
	s_or_b32 exec_lo, exec_lo, s18
.LBB464_388:                            ;   in Loop: Header=BB464_8 Depth=1
	s_delay_alu instid0(SALU_CYCLE_1) | instskip(NEXT) | instid1(VALU_DEP_1)
	s_or_b32 exec_lo, exec_lo, s2
	v_mul_f32_e32 v0, v168, v1
                                        ; implicit-def: $vgpr53
	s_delay_alu instid0(VALU_DEP_1) | instskip(NEXT) | instid1(VALU_DEP_1)
	v_and_b32_e32 v1, 0x7f800000, v0
	v_cmp_ne_u32_e64 s1, 0x7f800000, v1
	s_delay_alu instid0(VALU_DEP_1) | instskip(NEXT) | instid1(SALU_CYCLE_1)
	s_and_saveexec_b32 s2, s1
	s_xor_b32 s1, exec_lo, s2
; %bb.389:                              ;   in Loop: Header=BB464_8 Depth=1
	v_bfe_u32 v1, v0, 16, 1
	s_delay_alu instid0(VALU_DEP_1)
	v_add3_u32 v53, v0, v1, 0x7fff
                                        ; implicit-def: $vgpr0
; %bb.390:                              ;   in Loop: Header=BB464_8 Depth=1
	s_and_not1_saveexec_b32 s2, s1
; %bb.391:                              ;   in Loop: Header=BB464_8 Depth=1
	v_and_b32_e32 v1, 0xffff, v0
	v_or_b32_e32 v18, 0x10000, v0
	s_delay_alu instid0(VALU_DEP_2) | instskip(NEXT) | instid1(VALU_DEP_1)
	v_cmp_eq_u32_e64 s1, 0, v1
	v_cndmask_b32_e64 v53, v18, v0, s1
; %bb.392:                              ;   in Loop: Header=BB464_8 Depth=1
	s_or_b32 exec_lo, exec_lo, s2
	flat_load_b64 v[30:31], v[28:29] offset:1024
	s_mov_b32 s2, exec_lo
	s_waitcnt vmcnt(0) lgkmcnt(0)
	v_dual_mov_b32 v0, 0 :: v_dual_and_b32 v1, 0xff, v30
	s_delay_alu instid0(VALU_DEP_1)
	v_cmpx_ne_u16_e32 0, v1
	s_cbranch_execz .LBB464_400
; %bb.393:                              ;   in Loop: Header=BB464_8 Depth=1
	v_bfrev_b32_e32 v0, 1
	s_mov_b32 s18, exec_lo
	v_cmpx_ne_u16_e32 0x80, v1
	s_cbranch_execz .LBB464_399
; %bb.394:                              ;   in Loop: Header=BB464_8 Depth=1
	v_and_b32_e32 v1, 0x7f, v30
	v_mov_b32_e32 v0, 0x7f800001
	s_mov_b32 s19, exec_lo
	s_delay_alu instid0(VALU_DEP_2)
	v_cmpx_ne_u32_e32 0x7f, v1
	s_cbranch_execz .LBB464_398
; %bb.395:                              ;   in Loop: Header=BB464_8 Depth=1
	v_lshrrev_b32_e32 v0, 3, v1
	v_dual_mov_b32 v33, v31 :: v_dual_mov_b32 v32, v30
	s_mov_b32 s20, exec_lo
	v_cmpx_gt_u32_e32 8, v1
; %bb.396:                              ;   in Loop: Header=BB464_8 Depth=1
	v_and_b32_e32 v0, 7, v30
	s_delay_alu instid0(VALU_DEP_1) | instskip(NEXT) | instid1(VALU_DEP_1)
	v_clz_i32_u32_e32 v0, v0
	v_min_u32_e32 v0, 32, v0
	s_delay_alu instid0(VALU_DEP_1) | instskip(SKIP_1) | instid1(VALU_DEP_2)
	v_subrev_nc_u32_e32 v1, 28, v0
	v_sub_nc_u32_e32 v0, 29, v0
	v_lshlrev_b64 v[32:33], v1, v[30:31]
; %bb.397:                              ;   in Loop: Header=BB464_8 Depth=1
	s_or_b32 exec_lo, exec_lo, s20
	s_delay_alu instid0(VALU_DEP_1) | instskip(SKIP_2) | instid1(VALU_DEP_3)
	v_lshlrev_b32_e32 v1, 20, v32
	v_lshlrev_b32_e32 v18, 24, v30
	v_lshl_add_u32 v0, v0, 23, 0x3c000000
	v_and_b32_e32 v1, 0x700000, v1
	s_delay_alu instid0(VALU_DEP_3) | instskip(NEXT) | instid1(VALU_DEP_1)
	v_and_b32_e32 v18, 0x80000000, v18
	v_or3_b32 v0, v1, v18, v0
.LBB464_398:                            ;   in Loop: Header=BB464_8 Depth=1
	s_or_b32 exec_lo, exec_lo, s19
.LBB464_399:                            ;   in Loop: Header=BB464_8 Depth=1
	s_delay_alu instid0(SALU_CYCLE_1)
	s_or_b32 exec_lo, exec_lo, s18
.LBB464_400:                            ;   in Loop: Header=BB464_8 Depth=1
	s_delay_alu instid0(SALU_CYCLE_1) | instskip(NEXT) | instid1(VALU_DEP_1)
	s_or_b32 exec_lo, exec_lo, s2
	v_mul_f32_e32 v0, v168, v0
                                        ; implicit-def: $vgpr34
	s_delay_alu instid0(VALU_DEP_1) | instskip(NEXT) | instid1(VALU_DEP_1)
	v_and_b32_e32 v1, 0x7f800000, v0
	v_cmp_ne_u32_e64 s1, 0x7f800000, v1
	s_delay_alu instid0(VALU_DEP_1) | instskip(NEXT) | instid1(SALU_CYCLE_1)
	s_and_saveexec_b32 s2, s1
	s_xor_b32 s1, exec_lo, s2
; %bb.401:                              ;   in Loop: Header=BB464_8 Depth=1
	v_bfe_u32 v1, v0, 16, 1
	s_delay_alu instid0(VALU_DEP_1)
	v_add3_u32 v34, v0, v1, 0x7fff
                                        ; implicit-def: $vgpr0
; %bb.402:                              ;   in Loop: Header=BB464_8 Depth=1
	s_and_not1_saveexec_b32 s2, s1
; %bb.403:                              ;   in Loop: Header=BB464_8 Depth=1
	v_and_b32_e32 v1, 0xffff, v0
	v_or_b32_e32 v18, 0x10000, v0
	s_delay_alu instid0(VALU_DEP_2) | instskip(NEXT) | instid1(VALU_DEP_1)
	v_cmp_eq_u32_e64 s1, 0, v1
	v_cndmask_b32_e64 v34, v18, v0, s1
; %bb.404:                              ;   in Loop: Header=BB464_8 Depth=1
	s_or_b32 exec_lo, exec_lo, s2
	v_lshrrev_b16 v1, 8, v30
	v_mov_b32_e32 v0, 0
	s_mov_b32 s2, exec_lo
	s_delay_alu instid0(VALU_DEP_2)
	v_cmpx_ne_u16_e32 0, v1
	s_cbranch_execz .LBB464_412
; %bb.405:                              ;   in Loop: Header=BB464_8 Depth=1
	v_bfrev_b32_e32 v0, 1
	s_mov_b32 s18, exec_lo
	v_cmpx_ne_u16_e32 0x80, v1
	s_cbranch_execz .LBB464_411
; %bb.406:                              ;   in Loop: Header=BB464_8 Depth=1
	v_and_b32_e32 v18, 0xffff, v1
	v_mov_b32_e32 v0, 0x7f800001
	s_mov_b32 s19, exec_lo
	s_delay_alu instid0(VALU_DEP_2) | instskip(NEXT) | instid1(VALU_DEP_1)
	v_and_b32_e32 v1, 0x7f, v18
	v_cmpx_ne_u32_e32 0x7f, v1
	s_cbranch_execz .LBB464_410
; %bb.407:                              ;   in Loop: Header=BB464_8 Depth=1
	v_and_b32_e32 v18, 7, v18
	v_lshrrev_b32_e32 v0, 3, v1
	v_mov_b32_e32 v33, v19
	s_mov_b32 s20, exec_lo
	s_delay_alu instid0(VALU_DEP_3)
	v_mov_b32_e32 v32, v18
	v_cmpx_gt_u32_e32 8, v1
; %bb.408:                              ;   in Loop: Header=BB464_8 Depth=1
	v_clz_i32_u32_e32 v0, v18
	s_delay_alu instid0(VALU_DEP_1) | instskip(NEXT) | instid1(VALU_DEP_1)
	v_min_u32_e32 v0, 32, v0
	v_subrev_nc_u32_e32 v1, 28, v0
	v_sub_nc_u32_e32 v0, 29, v0
	s_delay_alu instid0(VALU_DEP_2) | instskip(NEXT) | instid1(VALU_DEP_1)
	v_lshlrev_b64 v[26:27], v1, v[18:19]
	v_and_b32_e32 v32, 7, v26
; %bb.409:                              ;   in Loop: Header=BB464_8 Depth=1
	s_or_b32 exec_lo, exec_lo, s20
	v_lshlrev_b32_e32 v1, 16, v30
	s_delay_alu instid0(VALU_DEP_2) | instskip(SKIP_1) | instid1(VALU_DEP_3)
	v_lshlrev_b32_e32 v18, 20, v32
	v_lshl_add_u32 v0, v0, 23, 0x3c000000
	v_and_b32_e32 v1, 0x80000000, v1
	s_delay_alu instid0(VALU_DEP_1)
	v_or3_b32 v0, v18, v1, v0
.LBB464_410:                            ;   in Loop: Header=BB464_8 Depth=1
	s_or_b32 exec_lo, exec_lo, s19
.LBB464_411:                            ;   in Loop: Header=BB464_8 Depth=1
	s_delay_alu instid0(SALU_CYCLE_1)
	s_or_b32 exec_lo, exec_lo, s18
.LBB464_412:                            ;   in Loop: Header=BB464_8 Depth=1
	s_delay_alu instid0(SALU_CYCLE_1) | instskip(NEXT) | instid1(VALU_DEP_1)
	s_or_b32 exec_lo, exec_lo, s2
	v_mul_f32_e32 v0, v168, v0
                                        ; implicit-def: $vgpr48
	s_delay_alu instid0(VALU_DEP_1) | instskip(NEXT) | instid1(VALU_DEP_1)
	v_and_b32_e32 v1, 0x7f800000, v0
	v_cmp_ne_u32_e64 s1, 0x7f800000, v1
	s_delay_alu instid0(VALU_DEP_1) | instskip(NEXT) | instid1(SALU_CYCLE_1)
	s_and_saveexec_b32 s2, s1
	s_xor_b32 s1, exec_lo, s2
; %bb.413:                              ;   in Loop: Header=BB464_8 Depth=1
	v_bfe_u32 v1, v0, 16, 1
	s_delay_alu instid0(VALU_DEP_1)
	v_add3_u32 v48, v0, v1, 0x7fff
                                        ; implicit-def: $vgpr0
; %bb.414:                              ;   in Loop: Header=BB464_8 Depth=1
	s_and_not1_saveexec_b32 s2, s1
; %bb.415:                              ;   in Loop: Header=BB464_8 Depth=1
	v_and_b32_e32 v1, 0xffff, v0
	v_or_b32_e32 v18, 0x10000, v0
	s_delay_alu instid0(VALU_DEP_2) | instskip(NEXT) | instid1(VALU_DEP_1)
	v_cmp_eq_u32_e64 s1, 0, v1
	v_cndmask_b32_e64 v48, v18, v0, s1
; %bb.416:                              ;   in Loop: Header=BB464_8 Depth=1
	s_or_b32 exec_lo, exec_lo, s2
	v_lshrrev_b32_e32 v0, 16, v30
	s_mov_b32 s2, exec_lo
	s_delay_alu instid0(VALU_DEP_1) | instskip(NEXT) | instid1(VALU_DEP_1)
	v_dual_mov_b32 v1, 0 :: v_dual_and_b32 v18, 0xff, v0
	v_cmpx_ne_u16_e32 0, v18
	s_cbranch_execz .LBB464_424
; %bb.417:                              ;   in Loop: Header=BB464_8 Depth=1
	v_bfrev_b32_e32 v1, 1
	s_mov_b32 s18, exec_lo
	v_cmpx_ne_u16_e32 0x80, v18
	s_cbranch_execz .LBB464_423
; %bb.418:                              ;   in Loop: Header=BB464_8 Depth=1
	v_bfe_u32 v26, v30, 16, 7
	v_mov_b32_e32 v1, 0x7f800001
	s_mov_b32 s19, exec_lo
	s_delay_alu instid0(VALU_DEP_2)
	v_cmpx_ne_u32_e32 0x7f, v26
	s_cbranch_execz .LBB464_422
; %bb.419:                              ;   in Loop: Header=BB464_8 Depth=1
	v_and_b32_e32 v18, 7, v0
	v_lshrrev_b32_e32 v1, 3, v26
	v_mov_b32_e32 v33, v19
	s_mov_b32 s20, exec_lo
	s_delay_alu instid0(VALU_DEP_3)
	v_mov_b32_e32 v32, v18
	v_cmpx_gt_u32_e32 8, v26
; %bb.420:                              ;   in Loop: Header=BB464_8 Depth=1
	v_clz_i32_u32_e32 v1, v18
	s_delay_alu instid0(VALU_DEP_1) | instskip(NEXT) | instid1(VALU_DEP_1)
	v_min_u32_e32 v1, 32, v1
	v_subrev_nc_u32_e32 v26, 28, v1
	v_sub_nc_u32_e32 v1, 29, v1
	s_delay_alu instid0(VALU_DEP_2) | instskip(NEXT) | instid1(VALU_DEP_1)
	v_lshlrev_b64 v[26:27], v26, v[18:19]
	v_and_b32_e32 v32, 7, v26
; %bb.421:                              ;   in Loop: Header=BB464_8 Depth=1
	s_or_b32 exec_lo, exec_lo, s20
	v_lshlrev_b32_e32 v0, 24, v0
	s_delay_alu instid0(VALU_DEP_2) | instskip(SKIP_1) | instid1(VALU_DEP_3)
	v_lshlrev_b32_e32 v18, 20, v32
	v_lshl_add_u32 v1, v1, 23, 0x3c000000
	v_and_b32_e32 v0, 0x80000000, v0
	s_delay_alu instid0(VALU_DEP_1)
	v_or3_b32 v1, v18, v0, v1
.LBB464_422:                            ;   in Loop: Header=BB464_8 Depth=1
	s_or_b32 exec_lo, exec_lo, s19
.LBB464_423:                            ;   in Loop: Header=BB464_8 Depth=1
	s_delay_alu instid0(SALU_CYCLE_1)
	s_or_b32 exec_lo, exec_lo, s18
.LBB464_424:                            ;   in Loop: Header=BB464_8 Depth=1
	s_delay_alu instid0(SALU_CYCLE_1) | instskip(NEXT) | instid1(VALU_DEP_1)
	s_or_b32 exec_lo, exec_lo, s2
	v_mul_f32_e32 v0, v168, v1
	s_delay_alu instid0(VALU_DEP_1) | instskip(NEXT) | instid1(VALU_DEP_1)
	v_and_b32_e32 v1, 0x7f800000, v0
	v_cmp_ne_u32_e64 s1, 0x7f800000, v1
                                        ; implicit-def: $vgpr1
	s_delay_alu instid0(VALU_DEP_1) | instskip(NEXT) | instid1(SALU_CYCLE_1)
	s_and_saveexec_b32 s2, s1
	s_xor_b32 s1, exec_lo, s2
; %bb.425:                              ;   in Loop: Header=BB464_8 Depth=1
	v_bfe_u32 v1, v0, 16, 1
	s_delay_alu instid0(VALU_DEP_1)
	v_add3_u32 v1, v0, v1, 0x7fff
                                        ; implicit-def: $vgpr0
; %bb.426:                              ;   in Loop: Header=BB464_8 Depth=1
	s_and_not1_saveexec_b32 s2, s1
; %bb.427:                              ;   in Loop: Header=BB464_8 Depth=1
	v_and_b32_e32 v1, 0xffff, v0
	v_or_b32_e32 v18, 0x10000, v0
	s_delay_alu instid0(VALU_DEP_2) | instskip(NEXT) | instid1(VALU_DEP_1)
	v_cmp_eq_u32_e64 s1, 0, v1
	v_cndmask_b32_e64 v1, v18, v0, s1
; %bb.428:                              ;   in Loop: Header=BB464_8 Depth=1
	s_or_b32 exec_lo, exec_lo, s2
	v_mov_b32_e32 v18, 0
	s_mov_b32 s2, exec_lo
	v_cmpx_lt_u32_e32 0xffffff, v30
	s_cbranch_execz .LBB464_436
; %bb.429:                              ;   in Loop: Header=BB464_8 Depth=1
	v_lshrrev_b32_e32 v0, 24, v30
	v_bfrev_b32_e32 v18, 1
	s_mov_b32 s18, exec_lo
	s_delay_alu instid0(VALU_DEP_2)
	v_cmpx_ne_u32_e32 0x80, v0
	s_cbranch_execz .LBB464_435
; %bb.430:                              ;   in Loop: Header=BB464_8 Depth=1
	v_bfe_u32 v27, v30, 24, 7
	v_mov_b32_e32 v18, 0x7f800001
	s_mov_b32 s19, exec_lo
	s_delay_alu instid0(VALU_DEP_2)
	v_cmpx_ne_u32_e32 0x7f, v27
	s_cbranch_execz .LBB464_434
; %bb.431:                              ;   in Loop: Header=BB464_8 Depth=1
	v_and_b32_e32 v18, 7, v0
	v_lshrrev_b32_e32 v26, 3, v27
	v_mov_b32_e32 v33, v19
	s_mov_b32 s20, exec_lo
	s_delay_alu instid0(VALU_DEP_3)
	v_mov_b32_e32 v32, v18
	v_cmpx_gt_u32_e32 8, v27
; %bb.432:                              ;   in Loop: Header=BB464_8 Depth=1
	v_clz_i32_u32_e32 v26, v18
	s_delay_alu instid0(VALU_DEP_1) | instskip(NEXT) | instid1(VALU_DEP_1)
	v_min_u32_e32 v26, 32, v26
	v_subrev_nc_u32_e32 v27, 28, v26
	v_sub_nc_u32_e32 v26, 29, v26
	s_delay_alu instid0(VALU_DEP_2) | instskip(NEXT) | instid1(VALU_DEP_1)
	v_lshlrev_b64 v[32:33], v27, v[18:19]
	v_and_b32_e32 v32, 7, v32
; %bb.433:                              ;   in Loop: Header=BB464_8 Depth=1
	s_or_b32 exec_lo, exec_lo, s20
	v_lshlrev_b32_e32 v0, 24, v0
	s_delay_alu instid0(VALU_DEP_2) | instskip(SKIP_1) | instid1(VALU_DEP_3)
	v_lshlrev_b32_e32 v18, 20, v32
	v_lshl_add_u32 v26, v26, 23, 0x3c000000
	v_and_b32_e32 v0, 0x80000000, v0
	s_delay_alu instid0(VALU_DEP_1)
	v_or3_b32 v18, v18, v0, v26
.LBB464_434:                            ;   in Loop: Header=BB464_8 Depth=1
	s_or_b32 exec_lo, exec_lo, s19
.LBB464_435:                            ;   in Loop: Header=BB464_8 Depth=1
	s_delay_alu instid0(SALU_CYCLE_1)
	s_or_b32 exec_lo, exec_lo, s18
.LBB464_436:                            ;   in Loop: Header=BB464_8 Depth=1
	s_delay_alu instid0(SALU_CYCLE_1) | instskip(NEXT) | instid1(VALU_DEP_1)
	s_or_b32 exec_lo, exec_lo, s2
	v_mul_f32_e32 v18, v168, v18
	s_delay_alu instid0(VALU_DEP_1) | instskip(NEXT) | instid1(VALU_DEP_1)
	v_and_b32_e32 v0, 0x7f800000, v18
	v_cmp_ne_u32_e64 s1, 0x7f800000, v0
                                        ; implicit-def: $vgpr0
	s_delay_alu instid0(VALU_DEP_1) | instskip(NEXT) | instid1(SALU_CYCLE_1)
	s_and_saveexec_b32 s2, s1
	s_xor_b32 s1, exec_lo, s2
; %bb.437:                              ;   in Loop: Header=BB464_8 Depth=1
	v_bfe_u32 v0, v18, 16, 1
	s_delay_alu instid0(VALU_DEP_1)
	v_add3_u32 v0, v18, v0, 0x7fff
                                        ; implicit-def: $vgpr18
; %bb.438:                              ;   in Loop: Header=BB464_8 Depth=1
	s_and_not1_saveexec_b32 s2, s1
; %bb.439:                              ;   in Loop: Header=BB464_8 Depth=1
	v_and_b32_e32 v0, 0xffff, v18
	v_or_b32_e32 v26, 0x10000, v18
	s_delay_alu instid0(VALU_DEP_2) | instskip(NEXT) | instid1(VALU_DEP_1)
	v_cmp_eq_u32_e64 s1, 0, v0
	v_cndmask_b32_e64 v0, v26, v18, s1
; %bb.440:                              ;   in Loop: Header=BB464_8 Depth=1
	s_or_b32 exec_lo, exec_lo, s2
	v_dual_mov_b32 v18, v31 :: v_dual_and_b32 v27, 0xff, v31
	v_mov_b32_e32 v26, 0
	s_mov_b32 s2, exec_lo
	s_delay_alu instid0(VALU_DEP_2)
	v_cmpx_ne_u16_e32 0, v27
	s_cbranch_execz .LBB464_448
; %bb.441:                              ;   in Loop: Header=BB464_8 Depth=1
	v_bfrev_b32_e32 v26, 1
	s_mov_b32 s18, exec_lo
	v_cmpx_ne_u16_e32 0x80, v27
	s_cbranch_execz .LBB464_447
; %bb.442:                              ;   in Loop: Header=BB464_8 Depth=1
	v_and_b32_e32 v27, 0x7f, v31
	v_mov_b32_e32 v26, 0x7f800001
	s_mov_b32 s19, exec_lo
	s_delay_alu instid0(VALU_DEP_2)
	v_cmpx_ne_u32_e32 0x7f, v27
	s_cbranch_execz .LBB464_446
; %bb.443:                              ;   in Loop: Header=BB464_8 Depth=1
	v_lshrrev_b32_e32 v26, 3, v27
	v_dual_mov_b32 v33, v19 :: v_dual_mov_b32 v32, v18
	s_mov_b32 s20, exec_lo
	v_cmpx_gt_u32_e32 8, v27
; %bb.444:                              ;   in Loop: Header=BB464_8 Depth=1
	v_and_b32_e32 v26, 7, v31
	s_delay_alu instid0(VALU_DEP_1) | instskip(NEXT) | instid1(VALU_DEP_1)
	v_clz_i32_u32_e32 v26, v26
	v_min_u32_e32 v26, 32, v26
	s_delay_alu instid0(VALU_DEP_1) | instskip(SKIP_1) | instid1(VALU_DEP_2)
	v_subrev_nc_u32_e32 v27, 28, v26
	v_sub_nc_u32_e32 v26, 29, v26
	v_lshlrev_b64 v[32:33], v27, v[18:19]
; %bb.445:                              ;   in Loop: Header=BB464_8 Depth=1
	s_or_b32 exec_lo, exec_lo, s20
	s_delay_alu instid0(VALU_DEP_1) | instskip(SKIP_2) | instid1(VALU_DEP_3)
	v_lshlrev_b32_e32 v27, 20, v32
	v_lshlrev_b32_e32 v32, 24, v18
	v_lshl_add_u32 v26, v26, 23, 0x3c000000
	v_and_b32_e32 v27, 0x700000, v27
	s_delay_alu instid0(VALU_DEP_3) | instskip(NEXT) | instid1(VALU_DEP_1)
	v_and_b32_e32 v32, 0x80000000, v32
	v_or3_b32 v26, v27, v32, v26
.LBB464_446:                            ;   in Loop: Header=BB464_8 Depth=1
	s_or_b32 exec_lo, exec_lo, s19
.LBB464_447:                            ;   in Loop: Header=BB464_8 Depth=1
	s_delay_alu instid0(SALU_CYCLE_1)
	s_or_b32 exec_lo, exec_lo, s18
.LBB464_448:                            ;   in Loop: Header=BB464_8 Depth=1
	s_delay_alu instid0(SALU_CYCLE_1) | instskip(NEXT) | instid1(VALU_DEP_1)
	s_or_b32 exec_lo, exec_lo, s2
	v_mul_f32_e32 v26, v168, v26
	s_delay_alu instid0(VALU_DEP_1) | instskip(NEXT) | instid1(VALU_DEP_1)
	v_and_b32_e32 v27, 0x7f800000, v26
	v_cmp_ne_u32_e64 s1, 0x7f800000, v27
                                        ; implicit-def: $vgpr27
	s_delay_alu instid0(VALU_DEP_1) | instskip(NEXT) | instid1(SALU_CYCLE_1)
	s_and_saveexec_b32 s2, s1
	s_xor_b32 s1, exec_lo, s2
; %bb.449:                              ;   in Loop: Header=BB464_8 Depth=1
	v_bfe_u32 v27, v26, 16, 1
	s_delay_alu instid0(VALU_DEP_1)
	v_add3_u32 v27, v26, v27, 0x7fff
                                        ; implicit-def: $vgpr26
; %bb.450:                              ;   in Loop: Header=BB464_8 Depth=1
	s_and_not1_saveexec_b32 s2, s1
; %bb.451:                              ;   in Loop: Header=BB464_8 Depth=1
	v_and_b32_e32 v27, 0xffff, v26
	v_or_b32_e32 v32, 0x10000, v26
	s_delay_alu instid0(VALU_DEP_2) | instskip(NEXT) | instid1(VALU_DEP_1)
	v_cmp_eq_u32_e64 s1, 0, v27
	v_cndmask_b32_e64 v27, v32, v26, s1
; %bb.452:                              ;   in Loop: Header=BB464_8 Depth=1
	s_or_b32 exec_lo, exec_lo, s2
	v_lshrrev_b16 v32, 8, v18
	v_mov_b32_e32 v26, 0
	s_mov_b32 s2, exec_lo
	s_delay_alu instid0(VALU_DEP_2)
	v_cmpx_ne_u16_e32 0, v32
	s_cbranch_execz .LBB464_460
; %bb.453:                              ;   in Loop: Header=BB464_8 Depth=1
	v_bfrev_b32_e32 v26, 1
	s_mov_b32 s18, exec_lo
	v_cmpx_ne_u16_e32 0x80, v32
	s_cbranch_execz .LBB464_459
; %bb.454:                              ;   in Loop: Header=BB464_8 Depth=1
	v_and_b32_e32 v32, 0xffff, v32
	v_mov_b32_e32 v26, 0x7f800001
	s_mov_b32 s19, exec_lo
	s_delay_alu instid0(VALU_DEP_2) | instskip(NEXT) | instid1(VALU_DEP_1)
	v_and_b32_e32 v49, 0x7f, v32
	v_cmpx_ne_u32_e32 0x7f, v49
	s_cbranch_execz .LBB464_458
; %bb.455:                              ;   in Loop: Header=BB464_8 Depth=1
	v_dual_mov_b32 v33, v19 :: v_dual_and_b32 v32, 7, v32
	v_lshrrev_b32_e32 v26, 3, v49
	s_mov_b32 s20, exec_lo
	v_cmpx_gt_u32_e32 8, v49
; %bb.456:                              ;   in Loop: Header=BB464_8 Depth=1
	s_delay_alu instid0(VALU_DEP_3) | instskip(NEXT) | instid1(VALU_DEP_1)
	v_clz_i32_u32_e32 v26, v32
	v_min_u32_e32 v26, 32, v26
	s_delay_alu instid0(VALU_DEP_1) | instskip(SKIP_1) | instid1(VALU_DEP_2)
	v_subrev_nc_u32_e32 v49, 28, v26
	v_sub_nc_u32_e32 v26, 29, v26
	v_lshlrev_b64 v[32:33], v49, v[32:33]
	s_delay_alu instid0(VALU_DEP_1)
	v_and_b32_e32 v32, 7, v32
; %bb.457:                              ;   in Loop: Header=BB464_8 Depth=1
	s_or_b32 exec_lo, exec_lo, s20
	v_lshlrev_b32_e32 v18, 16, v18
	s_delay_alu instid0(VALU_DEP_2) | instskip(SKIP_1) | instid1(VALU_DEP_3)
	v_lshlrev_b32_e32 v32, 20, v32
	v_lshl_add_u32 v26, v26, 23, 0x3c000000
	v_and_b32_e32 v18, 0x80000000, v18
	s_delay_alu instid0(VALU_DEP_1)
	v_or3_b32 v26, v32, v18, v26
.LBB464_458:                            ;   in Loop: Header=BB464_8 Depth=1
	s_or_b32 exec_lo, exec_lo, s19
.LBB464_459:                            ;   in Loop: Header=BB464_8 Depth=1
	s_delay_alu instid0(SALU_CYCLE_1)
	s_or_b32 exec_lo, exec_lo, s18
.LBB464_460:                            ;   in Loop: Header=BB464_8 Depth=1
	s_delay_alu instid0(SALU_CYCLE_1) | instskip(NEXT) | instid1(VALU_DEP_1)
	s_or_b32 exec_lo, exec_lo, s2
	v_mul_f32_e32 v18, v168, v26
	s_delay_alu instid0(VALU_DEP_1) | instskip(NEXT) | instid1(VALU_DEP_1)
	v_and_b32_e32 v26, 0x7f800000, v18
	v_cmp_ne_u32_e64 s1, 0x7f800000, v26
                                        ; implicit-def: $vgpr26
	s_delay_alu instid0(VALU_DEP_1) | instskip(NEXT) | instid1(SALU_CYCLE_1)
	s_and_saveexec_b32 s2, s1
	s_xor_b32 s1, exec_lo, s2
; %bb.461:                              ;   in Loop: Header=BB464_8 Depth=1
	v_bfe_u32 v26, v18, 16, 1
	s_delay_alu instid0(VALU_DEP_1)
	v_add3_u32 v26, v18, v26, 0x7fff
                                        ; implicit-def: $vgpr18
; %bb.462:                              ;   in Loop: Header=BB464_8 Depth=1
	s_and_not1_saveexec_b32 s2, s1
; %bb.463:                              ;   in Loop: Header=BB464_8 Depth=1
	v_and_b32_e32 v26, 0xffff, v18
	v_or_b32_e32 v32, 0x10000, v18
	s_delay_alu instid0(VALU_DEP_2) | instskip(NEXT) | instid1(VALU_DEP_1)
	v_cmp_eq_u32_e64 s1, 0, v26
	v_cndmask_b32_e64 v26, v32, v18, s1
; %bb.464:                              ;   in Loop: Header=BB464_8 Depth=1
	s_or_b32 exec_lo, exec_lo, s2
	v_lshrrev_b32_e32 v49, 16, v31
	v_mov_b32_e32 v18, 0
	s_mov_b32 s2, exec_lo
	s_delay_alu instid0(VALU_DEP_2) | instskip(NEXT) | instid1(VALU_DEP_1)
	v_and_b32_e32 v32, 0xff, v49
	v_cmpx_ne_u16_e32 0, v32
	s_cbranch_execz .LBB464_472
; %bb.465:                              ;   in Loop: Header=BB464_8 Depth=1
	v_bfrev_b32_e32 v18, 1
	s_mov_b32 s18, exec_lo
	v_cmpx_ne_u16_e32 0x80, v32
	s_cbranch_execz .LBB464_471
; %bb.466:                              ;   in Loop: Header=BB464_8 Depth=1
	v_bfe_u32 v32, v31, 16, 7
	v_mov_b32_e32 v18, 0x7f800001
	s_mov_b32 s19, exec_lo
	s_delay_alu instid0(VALU_DEP_2)
	v_cmpx_ne_u32_e32 0x7f, v32
	s_cbranch_execz .LBB464_470
; %bb.467:                              ;   in Loop: Header=BB464_8 Depth=1
	v_and_b32_e32 v18, 7, v49
	v_lshrrev_b32_e32 v50, 3, v32
	v_cmp_gt_u32_e64 s1, 8, v32
	s_delay_alu instid0(VALU_DEP_3) | instskip(NEXT) | instid1(VALU_DEP_2)
	v_dual_mov_b32 v33, v19 :: v_dual_mov_b32 v32, v18
	s_and_saveexec_b32 s20, s1
; %bb.468:                              ;   in Loop: Header=BB464_8 Depth=1
	v_clz_i32_u32_e32 v32, v18
	s_delay_alu instid0(VALU_DEP_1) | instskip(NEXT) | instid1(VALU_DEP_1)
	v_min_u32_e32 v50, 32, v32
	v_subrev_nc_u32_e32 v32, 28, v50
	v_sub_nc_u32_e32 v50, 29, v50
	s_delay_alu instid0(VALU_DEP_2) | instskip(NEXT) | instid1(VALU_DEP_1)
	v_lshlrev_b64 v[32:33], v32, v[18:19]
	v_and_b32_e32 v32, 7, v32
; %bb.469:                              ;   in Loop: Header=BB464_8 Depth=1
	s_or_b32 exec_lo, exec_lo, s20
	v_lshlrev_b32_e32 v18, 24, v49
	s_delay_alu instid0(VALU_DEP_2) | instskip(SKIP_1) | instid1(VALU_DEP_3)
	v_lshlrev_b32_e32 v32, 20, v32
	v_lshl_add_u32 v33, v50, 23, 0x3c000000
	v_and_b32_e32 v18, 0x80000000, v18
	s_delay_alu instid0(VALU_DEP_1)
	v_or3_b32 v18, v32, v18, v33
.LBB464_470:                            ;   in Loop: Header=BB464_8 Depth=1
	s_or_b32 exec_lo, exec_lo, s19
.LBB464_471:                            ;   in Loop: Header=BB464_8 Depth=1
	s_delay_alu instid0(SALU_CYCLE_1)
	s_or_b32 exec_lo, exec_lo, s18
.LBB464_472:                            ;   in Loop: Header=BB464_8 Depth=1
	s_delay_alu instid0(SALU_CYCLE_1) | instskip(NEXT) | instid1(VALU_DEP_1)
	s_or_b32 exec_lo, exec_lo, s2
	v_mul_f32_e32 v18, v168, v18
                                        ; implicit-def: $vgpr49
	s_delay_alu instid0(VALU_DEP_1) | instskip(NEXT) | instid1(VALU_DEP_1)
	v_and_b32_e32 v32, 0x7f800000, v18
	v_cmp_ne_u32_e64 s1, 0x7f800000, v32
	s_delay_alu instid0(VALU_DEP_1) | instskip(NEXT) | instid1(SALU_CYCLE_1)
	s_and_saveexec_b32 s2, s1
	s_xor_b32 s1, exec_lo, s2
; %bb.473:                              ;   in Loop: Header=BB464_8 Depth=1
	v_bfe_u32 v32, v18, 16, 1
	s_delay_alu instid0(VALU_DEP_1)
	v_add3_u32 v49, v18, v32, 0x7fff
                                        ; implicit-def: $vgpr18
; %bb.474:                              ;   in Loop: Header=BB464_8 Depth=1
	s_and_not1_saveexec_b32 s2, s1
; %bb.475:                              ;   in Loop: Header=BB464_8 Depth=1
	v_and_b32_e32 v32, 0xffff, v18
	v_or_b32_e32 v33, 0x10000, v18
	s_delay_alu instid0(VALU_DEP_2) | instskip(NEXT) | instid1(VALU_DEP_1)
	v_cmp_eq_u32_e64 s1, 0, v32
	v_cndmask_b32_e64 v49, v33, v18, s1
; %bb.476:                              ;   in Loop: Header=BB464_8 Depth=1
	s_or_b32 exec_lo, exec_lo, s2
	v_mov_b32_e32 v18, 0
	s_mov_b32 s2, exec_lo
	v_cmpx_lt_u64_e64 s[8:9], v[30:31]
	s_cbranch_execz .LBB464_484
; %bb.477:                              ;   in Loop: Header=BB464_8 Depth=1
	v_lshrrev_b32_e32 v32, 24, v31
	v_bfrev_b32_e32 v18, 1
	s_mov_b32 s18, exec_lo
	s_delay_alu instid0(VALU_DEP_2)
	v_cmpx_ne_u32_e32 0x80, v32
	s_cbranch_execz .LBB464_483
; %bb.478:                              ;   in Loop: Header=BB464_8 Depth=1
	v_bfe_u32 v30, v31, 24, 7
	v_mov_b32_e32 v18, 0x7f800001
	s_mov_b32 s19, exec_lo
	s_delay_alu instid0(VALU_DEP_2)
	v_cmpx_ne_u32_e32 0x7f, v30
	s_cbranch_execz .LBB464_482
; %bb.479:                              ;   in Loop: Header=BB464_8 Depth=1
	v_and_b32_e32 v18, 7, v32
	v_lshrrev_b32_e32 v33, 3, v30
	v_cmp_gt_u32_e64 s1, 8, v30
	s_delay_alu instid0(VALU_DEP_3) | instskip(NEXT) | instid1(VALU_DEP_2)
	v_dual_mov_b32 v31, v19 :: v_dual_mov_b32 v30, v18
	s_and_saveexec_b32 s20, s1
; %bb.480:                              ;   in Loop: Header=BB464_8 Depth=1
	v_clz_i32_u32_e32 v30, v18
	s_delay_alu instid0(VALU_DEP_1) | instskip(NEXT) | instid1(VALU_DEP_1)
	v_min_u32_e32 v33, 32, v30
	v_subrev_nc_u32_e32 v30, 28, v33
	v_sub_nc_u32_e32 v33, 29, v33
	s_delay_alu instid0(VALU_DEP_2) | instskip(NEXT) | instid1(VALU_DEP_1)
	v_lshlrev_b64 v[30:31], v30, v[18:19]
	v_and_b32_e32 v30, 7, v30
; %bb.481:                              ;   in Loop: Header=BB464_8 Depth=1
	s_or_b32 exec_lo, exec_lo, s20
	v_lshlrev_b32_e32 v18, 24, v32
	s_delay_alu instid0(VALU_DEP_2) | instskip(SKIP_1) | instid1(VALU_DEP_3)
	v_lshlrev_b32_e32 v30, 20, v30
	v_lshl_add_u32 v31, v33, 23, 0x3c000000
	v_and_b32_e32 v18, 0x80000000, v18
	s_delay_alu instid0(VALU_DEP_1)
	v_or3_b32 v18, v30, v18, v31
.LBB464_482:                            ;   in Loop: Header=BB464_8 Depth=1
	s_or_b32 exec_lo, exec_lo, s19
.LBB464_483:                            ;   in Loop: Header=BB464_8 Depth=1
	s_delay_alu instid0(SALU_CYCLE_1)
	s_or_b32 exec_lo, exec_lo, s18
.LBB464_484:                            ;   in Loop: Header=BB464_8 Depth=1
	s_delay_alu instid0(SALU_CYCLE_1) | instskip(NEXT) | instid1(VALU_DEP_1)
	s_or_b32 exec_lo, exec_lo, s2
	v_mul_f32_e32 v18, v168, v18
                                        ; implicit-def: $vgpr50
	s_delay_alu instid0(VALU_DEP_1) | instskip(NEXT) | instid1(VALU_DEP_1)
	v_and_b32_e32 v30, 0x7f800000, v18
	v_cmp_ne_u32_e64 s1, 0x7f800000, v30
	s_delay_alu instid0(VALU_DEP_1) | instskip(NEXT) | instid1(SALU_CYCLE_1)
	s_and_saveexec_b32 s2, s1
	s_xor_b32 s1, exec_lo, s2
; %bb.485:                              ;   in Loop: Header=BB464_8 Depth=1
	v_bfe_u32 v30, v18, 16, 1
	s_delay_alu instid0(VALU_DEP_1)
	v_add3_u32 v50, v18, v30, 0x7fff
                                        ; implicit-def: $vgpr18
; %bb.486:                              ;   in Loop: Header=BB464_8 Depth=1
	s_and_not1_saveexec_b32 s2, s1
; %bb.487:                              ;   in Loop: Header=BB464_8 Depth=1
	v_and_b32_e32 v30, 0xffff, v18
	v_or_b32_e32 v31, 0x10000, v18
	s_delay_alu instid0(VALU_DEP_2) | instskip(NEXT) | instid1(VALU_DEP_1)
	v_cmp_eq_u32_e64 s1, 0, v30
	v_cndmask_b32_e64 v50, v31, v18, s1
; %bb.488:                              ;   in Loop: Header=BB464_8 Depth=1
	s_or_b32 exec_lo, exec_lo, s2
	flat_load_b64 v[30:31], v[28:29] offset:1032
	v_mov_b32_e32 v18, 0
	s_mov_b32 s2, exec_lo
	s_waitcnt vmcnt(0) lgkmcnt(0)
	v_and_b32_e32 v32, 0xff, v30
	s_delay_alu instid0(VALU_DEP_1)
	v_cmpx_ne_u16_e32 0, v32
	s_cbranch_execz .LBB464_496
; %bb.489:                              ;   in Loop: Header=BB464_8 Depth=1
	v_bfrev_b32_e32 v18, 1
	s_mov_b32 s18, exec_lo
	v_cmpx_ne_u16_e32 0x80, v32
	s_cbranch_execz .LBB464_495
; %bb.490:                              ;   in Loop: Header=BB464_8 Depth=1
	v_and_b32_e32 v32, 0x7f, v30
	v_mov_b32_e32 v18, 0x7f800001
	s_mov_b32 s19, exec_lo
	s_delay_alu instid0(VALU_DEP_2)
	v_cmpx_ne_u32_e32 0x7f, v32
	s_cbranch_execz .LBB464_494
; %bb.491:                              ;   in Loop: Header=BB464_8 Depth=1
	v_lshrrev_b32_e32 v18, 3, v32
	v_cmp_gt_u32_e64 s1, 8, v32
	v_dual_mov_b32 v33, v31 :: v_dual_mov_b32 v32, v30
	s_delay_alu instid0(VALU_DEP_2)
	s_and_saveexec_b32 s20, s1
; %bb.492:                              ;   in Loop: Header=BB464_8 Depth=1
	v_and_b32_e32 v18, 7, v30
	s_delay_alu instid0(VALU_DEP_1) | instskip(NEXT) | instid1(VALU_DEP_1)
	v_clz_i32_u32_e32 v18, v18
	v_min_u32_e32 v18, 32, v18
	s_delay_alu instid0(VALU_DEP_1) | instskip(SKIP_1) | instid1(VALU_DEP_2)
	v_subrev_nc_u32_e32 v32, 28, v18
	v_sub_nc_u32_e32 v18, 29, v18
	v_lshlrev_b64 v[32:33], v32, v[30:31]
; %bb.493:                              ;   in Loop: Header=BB464_8 Depth=1
	s_or_b32 exec_lo, exec_lo, s20
	s_delay_alu instid0(VALU_DEP_1) | instskip(SKIP_2) | instid1(VALU_DEP_3)
	v_lshlrev_b32_e32 v32, 20, v32
	v_lshlrev_b32_e32 v33, 24, v30
	v_lshl_add_u32 v18, v18, 23, 0x3c000000
	v_and_b32_e32 v32, 0x700000, v32
	s_delay_alu instid0(VALU_DEP_3) | instskip(NEXT) | instid1(VALU_DEP_1)
	v_and_b32_e32 v33, 0x80000000, v33
	v_or3_b32 v18, v32, v33, v18
.LBB464_494:                            ;   in Loop: Header=BB464_8 Depth=1
	s_or_b32 exec_lo, exec_lo, s19
.LBB464_495:                            ;   in Loop: Header=BB464_8 Depth=1
	s_delay_alu instid0(SALU_CYCLE_1)
	s_or_b32 exec_lo, exec_lo, s18
.LBB464_496:                            ;   in Loop: Header=BB464_8 Depth=1
	s_delay_alu instid0(SALU_CYCLE_1) | instskip(NEXT) | instid1(VALU_DEP_1)
	s_or_b32 exec_lo, exec_lo, s2
	v_mul_f32_e32 v18, v168, v18
                                        ; implicit-def: $vgpr51
	s_delay_alu instid0(VALU_DEP_1) | instskip(NEXT) | instid1(VALU_DEP_1)
	v_and_b32_e32 v32, 0x7f800000, v18
	v_cmp_ne_u32_e64 s1, 0x7f800000, v32
	s_delay_alu instid0(VALU_DEP_1) | instskip(NEXT) | instid1(SALU_CYCLE_1)
	s_and_saveexec_b32 s2, s1
	s_xor_b32 s1, exec_lo, s2
; %bb.497:                              ;   in Loop: Header=BB464_8 Depth=1
	v_bfe_u32 v32, v18, 16, 1
	s_delay_alu instid0(VALU_DEP_1)
	v_add3_u32 v51, v18, v32, 0x7fff
                                        ; implicit-def: $vgpr18
; %bb.498:                              ;   in Loop: Header=BB464_8 Depth=1
	s_and_not1_saveexec_b32 s2, s1
; %bb.499:                              ;   in Loop: Header=BB464_8 Depth=1
	v_and_b32_e32 v32, 0xffff, v18
	v_or_b32_e32 v33, 0x10000, v18
	s_delay_alu instid0(VALU_DEP_2) | instskip(NEXT) | instid1(VALU_DEP_1)
	v_cmp_eq_u32_e64 s1, 0, v32
	v_cndmask_b32_e64 v51, v33, v18, s1
; %bb.500:                              ;   in Loop: Header=BB464_8 Depth=1
	s_or_b32 exec_lo, exec_lo, s2
	v_lshrrev_b16 v32, 8, v30
	v_mov_b32_e32 v18, 0
	s_mov_b32 s2, exec_lo
	s_delay_alu instid0(VALU_DEP_2)
	v_cmpx_ne_u16_e32 0, v32
	s_cbranch_execz .LBB464_508
; %bb.501:                              ;   in Loop: Header=BB464_8 Depth=1
	v_bfrev_b32_e32 v18, 1
	s_mov_b32 s18, exec_lo
	v_cmpx_ne_u16_e32 0x80, v32
	s_cbranch_execz .LBB464_507
; %bb.502:                              ;   in Loop: Header=BB464_8 Depth=1
	v_and_b32_e32 v33, 0xffff, v32
	v_mov_b32_e32 v18, 0x7f800001
	s_mov_b32 s19, exec_lo
	s_delay_alu instid0(VALU_DEP_2) | instskip(NEXT) | instid1(VALU_DEP_1)
	v_and_b32_e32 v32, 0x7f, v33
	v_cmpx_ne_u32_e32 0x7f, v32
	s_cbranch_execz .LBB464_506
; %bb.503:                              ;   in Loop: Header=BB464_8 Depth=1
	v_and_b32_e32 v18, 7, v33
	v_lshrrev_b32_e32 v52, 3, v32
	v_cmp_gt_u32_e64 s1, 8, v32
	s_delay_alu instid0(VALU_DEP_3) | instskip(NEXT) | instid1(VALU_DEP_2)
	v_dual_mov_b32 v33, v19 :: v_dual_mov_b32 v32, v18
	s_and_saveexec_b32 s20, s1
; %bb.504:                              ;   in Loop: Header=BB464_8 Depth=1
	v_clz_i32_u32_e32 v32, v18
	s_delay_alu instid0(VALU_DEP_1) | instskip(NEXT) | instid1(VALU_DEP_1)
	v_min_u32_e32 v52, 32, v32
	v_subrev_nc_u32_e32 v32, 28, v52
	v_sub_nc_u32_e32 v52, 29, v52
	s_delay_alu instid0(VALU_DEP_2) | instskip(NEXT) | instid1(VALU_DEP_1)
	v_lshlrev_b64 v[32:33], v32, v[18:19]
	v_and_b32_e32 v32, 7, v32
; %bb.505:                              ;   in Loop: Header=BB464_8 Depth=1
	s_or_b32 exec_lo, exec_lo, s20
	v_lshlrev_b32_e32 v18, 16, v30
	s_delay_alu instid0(VALU_DEP_2) | instskip(SKIP_1) | instid1(VALU_DEP_3)
	v_lshlrev_b32_e32 v32, 20, v32
	v_lshl_add_u32 v33, v52, 23, 0x3c000000
	v_and_b32_e32 v18, 0x80000000, v18
	s_delay_alu instid0(VALU_DEP_1)
	v_or3_b32 v18, v32, v18, v33
.LBB464_506:                            ;   in Loop: Header=BB464_8 Depth=1
	s_or_b32 exec_lo, exec_lo, s19
.LBB464_507:                            ;   in Loop: Header=BB464_8 Depth=1
	s_delay_alu instid0(SALU_CYCLE_1)
	s_or_b32 exec_lo, exec_lo, s18
.LBB464_508:                            ;   in Loop: Header=BB464_8 Depth=1
	s_delay_alu instid0(SALU_CYCLE_1) | instskip(NEXT) | instid1(VALU_DEP_1)
	s_or_b32 exec_lo, exec_lo, s2
	v_mul_f32_e32 v18, v168, v18
                                        ; implicit-def: $vgpr52
	s_delay_alu instid0(VALU_DEP_1) | instskip(NEXT) | instid1(VALU_DEP_1)
	v_and_b32_e32 v32, 0x7f800000, v18
	v_cmp_ne_u32_e64 s1, 0x7f800000, v32
	s_delay_alu instid0(VALU_DEP_1) | instskip(NEXT) | instid1(SALU_CYCLE_1)
	s_and_saveexec_b32 s2, s1
	s_xor_b32 s1, exec_lo, s2
; %bb.509:                              ;   in Loop: Header=BB464_8 Depth=1
	v_bfe_u32 v32, v18, 16, 1
	s_delay_alu instid0(VALU_DEP_1)
	v_add3_u32 v52, v18, v32, 0x7fff
                                        ; implicit-def: $vgpr18
; %bb.510:                              ;   in Loop: Header=BB464_8 Depth=1
	s_and_not1_saveexec_b32 s2, s1
; %bb.511:                              ;   in Loop: Header=BB464_8 Depth=1
	v_and_b32_e32 v32, 0xffff, v18
	v_or_b32_e32 v33, 0x10000, v18
	s_delay_alu instid0(VALU_DEP_2) | instskip(NEXT) | instid1(VALU_DEP_1)
	v_cmp_eq_u32_e64 s1, 0, v32
	v_cndmask_b32_e64 v52, v33, v18, s1
; %bb.512:                              ;   in Loop: Header=BB464_8 Depth=1
	s_or_b32 exec_lo, exec_lo, s2
	v_lshrrev_b32_e32 v55, 16, v30
	v_mov_b32_e32 v18, 0
	s_mov_b32 s2, exec_lo
	s_delay_alu instid0(VALU_DEP_2) | instskip(NEXT) | instid1(VALU_DEP_1)
	v_and_b32_e32 v32, 0xff, v55
	v_cmpx_ne_u16_e32 0, v32
	s_cbranch_execz .LBB464_520
; %bb.513:                              ;   in Loop: Header=BB464_8 Depth=1
	v_bfrev_b32_e32 v18, 1
	s_mov_b32 s18, exec_lo
	v_cmpx_ne_u16_e32 0x80, v32
	s_cbranch_execz .LBB464_519
; %bb.514:                              ;   in Loop: Header=BB464_8 Depth=1
	v_bfe_u32 v32, v30, 16, 7
	v_mov_b32_e32 v18, 0x7f800001
	s_mov_b32 s19, exec_lo
	s_delay_alu instid0(VALU_DEP_2)
	v_cmpx_ne_u32_e32 0x7f, v32
	s_cbranch_execz .LBB464_518
; %bb.515:                              ;   in Loop: Header=BB464_8 Depth=1
	v_and_b32_e32 v18, 7, v55
	v_lshrrev_b32_e32 v64, 3, v32
	v_cmp_gt_u32_e64 s1, 8, v32
	s_delay_alu instid0(VALU_DEP_3) | instskip(NEXT) | instid1(VALU_DEP_2)
	v_dual_mov_b32 v33, v19 :: v_dual_mov_b32 v32, v18
	s_and_saveexec_b32 s20, s1
; %bb.516:                              ;   in Loop: Header=BB464_8 Depth=1
	v_clz_i32_u32_e32 v32, v18
	s_delay_alu instid0(VALU_DEP_1) | instskip(NEXT) | instid1(VALU_DEP_1)
	v_min_u32_e32 v64, 32, v32
	v_subrev_nc_u32_e32 v32, 28, v64
	v_sub_nc_u32_e32 v64, 29, v64
	s_delay_alu instid0(VALU_DEP_2) | instskip(NEXT) | instid1(VALU_DEP_1)
	v_lshlrev_b64 v[32:33], v32, v[18:19]
	v_and_b32_e32 v32, 7, v32
; %bb.517:                              ;   in Loop: Header=BB464_8 Depth=1
	s_or_b32 exec_lo, exec_lo, s20
	v_lshlrev_b32_e32 v18, 24, v55
	s_delay_alu instid0(VALU_DEP_2) | instskip(SKIP_1) | instid1(VALU_DEP_3)
	v_lshlrev_b32_e32 v32, 20, v32
	v_lshl_add_u32 v33, v64, 23, 0x3c000000
	v_and_b32_e32 v18, 0x80000000, v18
	s_delay_alu instid0(VALU_DEP_1)
	v_or3_b32 v18, v32, v18, v33
.LBB464_518:                            ;   in Loop: Header=BB464_8 Depth=1
	s_or_b32 exec_lo, exec_lo, s19
.LBB464_519:                            ;   in Loop: Header=BB464_8 Depth=1
	s_delay_alu instid0(SALU_CYCLE_1)
	s_or_b32 exec_lo, exec_lo, s18
.LBB464_520:                            ;   in Loop: Header=BB464_8 Depth=1
	s_delay_alu instid0(SALU_CYCLE_1) | instskip(NEXT) | instid1(VALU_DEP_1)
	s_or_b32 exec_lo, exec_lo, s2
	v_mul_f32_e32 v18, v168, v18
                                        ; implicit-def: $vgpr55
	s_delay_alu instid0(VALU_DEP_1) | instskip(NEXT) | instid1(VALU_DEP_1)
	v_and_b32_e32 v32, 0x7f800000, v18
	v_cmp_ne_u32_e64 s1, 0x7f800000, v32
	s_delay_alu instid0(VALU_DEP_1) | instskip(NEXT) | instid1(SALU_CYCLE_1)
	s_and_saveexec_b32 s2, s1
	s_xor_b32 s1, exec_lo, s2
; %bb.521:                              ;   in Loop: Header=BB464_8 Depth=1
	v_bfe_u32 v32, v18, 16, 1
	s_delay_alu instid0(VALU_DEP_1)
	v_add3_u32 v55, v18, v32, 0x7fff
                                        ; implicit-def: $vgpr18
; %bb.522:                              ;   in Loop: Header=BB464_8 Depth=1
	s_and_not1_saveexec_b32 s2, s1
; %bb.523:                              ;   in Loop: Header=BB464_8 Depth=1
	v_and_b32_e32 v32, 0xffff, v18
	v_or_b32_e32 v33, 0x10000, v18
	s_delay_alu instid0(VALU_DEP_2) | instskip(NEXT) | instid1(VALU_DEP_1)
	v_cmp_eq_u32_e64 s1, 0, v32
	v_cndmask_b32_e64 v55, v33, v18, s1
; %bb.524:                              ;   in Loop: Header=BB464_8 Depth=1
	s_or_b32 exec_lo, exec_lo, s2
	v_mov_b32_e32 v18, 0
	s_mov_b32 s2, exec_lo
	v_cmpx_lt_u32_e32 0xffffff, v30
	s_cbranch_execz .LBB464_532
; %bb.525:                              ;   in Loop: Header=BB464_8 Depth=1
	v_lshrrev_b32_e32 v64, 24, v30
	v_bfrev_b32_e32 v18, 1
	s_mov_b32 s18, exec_lo
	s_delay_alu instid0(VALU_DEP_2)
	v_cmpx_ne_u32_e32 0x80, v64
	s_cbranch_execz .LBB464_531
; %bb.526:                              ;   in Loop: Header=BB464_8 Depth=1
	v_bfe_u32 v32, v30, 24, 7
	v_mov_b32_e32 v18, 0x7f800001
	s_mov_b32 s19, exec_lo
	s_delay_alu instid0(VALU_DEP_2)
	v_cmpx_ne_u32_e32 0x7f, v32
	s_cbranch_execz .LBB464_530
; %bb.527:                              ;   in Loop: Header=BB464_8 Depth=1
	v_and_b32_e32 v18, 7, v64
	v_lshrrev_b32_e32 v65, 3, v32
	v_cmp_gt_u32_e64 s1, 8, v32
	s_delay_alu instid0(VALU_DEP_3) | instskip(NEXT) | instid1(VALU_DEP_2)
	v_dual_mov_b32 v33, v19 :: v_dual_mov_b32 v32, v18
	s_and_saveexec_b32 s20, s1
; %bb.528:                              ;   in Loop: Header=BB464_8 Depth=1
	v_clz_i32_u32_e32 v32, v18
	s_delay_alu instid0(VALU_DEP_1) | instskip(NEXT) | instid1(VALU_DEP_1)
	v_min_u32_e32 v65, 32, v32
	v_subrev_nc_u32_e32 v32, 28, v65
	v_sub_nc_u32_e32 v65, 29, v65
	s_delay_alu instid0(VALU_DEP_2) | instskip(NEXT) | instid1(VALU_DEP_1)
	v_lshlrev_b64 v[32:33], v32, v[18:19]
	v_and_b32_e32 v32, 7, v32
; %bb.529:                              ;   in Loop: Header=BB464_8 Depth=1
	s_or_b32 exec_lo, exec_lo, s20
	v_lshlrev_b32_e32 v18, 24, v64
	s_delay_alu instid0(VALU_DEP_2) | instskip(SKIP_1) | instid1(VALU_DEP_3)
	v_lshlrev_b32_e32 v32, 20, v32
	v_lshl_add_u32 v33, v65, 23, 0x3c000000
	v_and_b32_e32 v18, 0x80000000, v18
	s_delay_alu instid0(VALU_DEP_1)
	v_or3_b32 v18, v32, v18, v33
.LBB464_530:                            ;   in Loop: Header=BB464_8 Depth=1
	s_or_b32 exec_lo, exec_lo, s19
.LBB464_531:                            ;   in Loop: Header=BB464_8 Depth=1
	s_delay_alu instid0(SALU_CYCLE_1)
	s_or_b32 exec_lo, exec_lo, s18
.LBB464_532:                            ;   in Loop: Header=BB464_8 Depth=1
	s_delay_alu instid0(SALU_CYCLE_1) | instskip(NEXT) | instid1(VALU_DEP_1)
	s_or_b32 exec_lo, exec_lo, s2
	v_mul_f32_e32 v18, v168, v18
                                        ; implicit-def: $vgpr64
	s_delay_alu instid0(VALU_DEP_1) | instskip(NEXT) | instid1(VALU_DEP_1)
	v_and_b32_e32 v32, 0x7f800000, v18
	v_cmp_ne_u32_e64 s1, 0x7f800000, v32
	s_delay_alu instid0(VALU_DEP_1) | instskip(NEXT) | instid1(SALU_CYCLE_1)
	s_and_saveexec_b32 s2, s1
	s_xor_b32 s1, exec_lo, s2
; %bb.533:                              ;   in Loop: Header=BB464_8 Depth=1
	v_bfe_u32 v32, v18, 16, 1
	s_delay_alu instid0(VALU_DEP_1)
	v_add3_u32 v64, v18, v32, 0x7fff
                                        ; implicit-def: $vgpr18
; %bb.534:                              ;   in Loop: Header=BB464_8 Depth=1
	s_and_not1_saveexec_b32 s2, s1
; %bb.535:                              ;   in Loop: Header=BB464_8 Depth=1
	v_and_b32_e32 v32, 0xffff, v18
	v_or_b32_e32 v33, 0x10000, v18
	s_delay_alu instid0(VALU_DEP_2) | instskip(NEXT) | instid1(VALU_DEP_1)
	v_cmp_eq_u32_e64 s1, 0, v32
	v_cndmask_b32_e64 v64, v33, v18, s1
; %bb.536:                              ;   in Loop: Header=BB464_8 Depth=1
	s_or_b32 exec_lo, exec_lo, s2
	v_dual_mov_b32 v18, v31 :: v_dual_and_b32 v33, 0xff, v31
	v_mov_b32_e32 v32, 0
	s_mov_b32 s2, exec_lo
	s_delay_alu instid0(VALU_DEP_2)
	v_cmpx_ne_u16_e32 0, v33
	s_cbranch_execz .LBB464_544
; %bb.537:                              ;   in Loop: Header=BB464_8 Depth=1
	v_bfrev_b32_e32 v32, 1
	s_mov_b32 s18, exec_lo
	v_cmpx_ne_u16_e32 0x80, v33
	s_cbranch_execz .LBB464_543
; %bb.538:                              ;   in Loop: Header=BB464_8 Depth=1
	v_and_b32_e32 v33, 0x7f, v31
	v_mov_b32_e32 v32, 0x7f800001
	s_mov_b32 s19, exec_lo
	s_delay_alu instid0(VALU_DEP_2)
	v_cmpx_ne_u32_e32 0x7f, v33
	s_cbranch_execz .LBB464_542
; %bb.539:                              ;   in Loop: Header=BB464_8 Depth=1
	v_lshrrev_b32_e32 v65, 3, v33
	v_cmp_gt_u32_e64 s1, 8, v33
	v_dual_mov_b32 v33, v19 :: v_dual_mov_b32 v32, v18
	s_delay_alu instid0(VALU_DEP_2)
	s_and_saveexec_b32 s20, s1
; %bb.540:                              ;   in Loop: Header=BB464_8 Depth=1
	v_and_b32_e32 v32, 7, v31
	s_delay_alu instid0(VALU_DEP_1) | instskip(NEXT) | instid1(VALU_DEP_1)
	v_clz_i32_u32_e32 v32, v32
	v_min_u32_e32 v65, 32, v32
	s_delay_alu instid0(VALU_DEP_1) | instskip(SKIP_1) | instid1(VALU_DEP_2)
	v_subrev_nc_u32_e32 v32, 28, v65
	v_sub_nc_u32_e32 v65, 29, v65
	v_lshlrev_b64 v[32:33], v32, v[18:19]
; %bb.541:                              ;   in Loop: Header=BB464_8 Depth=1
	s_or_b32 exec_lo, exec_lo, s20
	s_delay_alu instid0(VALU_DEP_1) | instskip(SKIP_2) | instid1(VALU_DEP_3)
	v_lshlrev_b32_e32 v32, 20, v32
	v_lshlrev_b32_e32 v33, 24, v18
	v_lshl_add_u32 v65, v65, 23, 0x3c000000
	v_and_b32_e32 v32, 0x700000, v32
	s_delay_alu instid0(VALU_DEP_3) | instskip(NEXT) | instid1(VALU_DEP_1)
	v_and_b32_e32 v33, 0x80000000, v33
	v_or3_b32 v32, v32, v33, v65
.LBB464_542:                            ;   in Loop: Header=BB464_8 Depth=1
	s_or_b32 exec_lo, exec_lo, s19
.LBB464_543:                            ;   in Loop: Header=BB464_8 Depth=1
	s_delay_alu instid0(SALU_CYCLE_1)
	s_or_b32 exec_lo, exec_lo, s18
.LBB464_544:                            ;   in Loop: Header=BB464_8 Depth=1
	s_delay_alu instid0(SALU_CYCLE_1) | instskip(NEXT) | instid1(VALU_DEP_1)
	s_or_b32 exec_lo, exec_lo, s2
	v_mul_f32_e32 v32, v168, v32
                                        ; implicit-def: $vgpr65
	s_delay_alu instid0(VALU_DEP_1) | instskip(NEXT) | instid1(VALU_DEP_1)
	v_and_b32_e32 v33, 0x7f800000, v32
	v_cmp_ne_u32_e64 s1, 0x7f800000, v33
	s_delay_alu instid0(VALU_DEP_1) | instskip(NEXT) | instid1(SALU_CYCLE_1)
	s_and_saveexec_b32 s2, s1
	s_xor_b32 s1, exec_lo, s2
; %bb.545:                              ;   in Loop: Header=BB464_8 Depth=1
	v_bfe_u32 v33, v32, 16, 1
	s_delay_alu instid0(VALU_DEP_1)
	v_add3_u32 v65, v32, v33, 0x7fff
                                        ; implicit-def: $vgpr32
; %bb.546:                              ;   in Loop: Header=BB464_8 Depth=1
	s_and_not1_saveexec_b32 s2, s1
; %bb.547:                              ;   in Loop: Header=BB464_8 Depth=1
	v_and_b32_e32 v33, 0xffff, v32
	v_or_b32_e32 v65, 0x10000, v32
	s_delay_alu instid0(VALU_DEP_2) | instskip(NEXT) | instid1(VALU_DEP_1)
	v_cmp_eq_u32_e64 s1, 0, v33
	v_cndmask_b32_e64 v65, v65, v32, s1
; %bb.548:                              ;   in Loop: Header=BB464_8 Depth=1
	s_or_b32 exec_lo, exec_lo, s2
	v_lshrrev_b16 v33, 8, v18
	v_mov_b32_e32 v32, 0
	s_mov_b32 s2, exec_lo
	s_delay_alu instid0(VALU_DEP_2)
	v_cmpx_ne_u16_e32 0, v33
	s_cbranch_execz .LBB464_556
; %bb.549:                              ;   in Loop: Header=BB464_8 Depth=1
	v_bfrev_b32_e32 v32, 1
	s_mov_b32 s18, exec_lo
	v_cmpx_ne_u16_e32 0x80, v33
	s_cbranch_execz .LBB464_555
; %bb.550:                              ;   in Loop: Header=BB464_8 Depth=1
	v_and_b32_e32 v33, 0xffff, v33
	v_mov_b32_e32 v32, 0x7f800001
	s_mov_b32 s19, exec_lo
	s_delay_alu instid0(VALU_DEP_2) | instskip(NEXT) | instid1(VALU_DEP_1)
	v_and_b32_e32 v67, 0x7f, v33
	v_cmpx_ne_u32_e32 0x7f, v67
	s_cbranch_execz .LBB464_554
; %bb.551:                              ;   in Loop: Header=BB464_8 Depth=1
	v_dual_mov_b32 v33, v19 :: v_dual_and_b32 v32, 7, v33
	v_lshrrev_b32_e32 v66, 3, v67
	s_mov_b32 s20, exec_lo
	v_cmpx_gt_u32_e32 8, v67
; %bb.552:                              ;   in Loop: Header=BB464_8 Depth=1
	s_delay_alu instid0(VALU_DEP_3) | instskip(NEXT) | instid1(VALU_DEP_1)
	v_clz_i32_u32_e32 v66, v32
	v_min_u32_e32 v66, 32, v66
	s_delay_alu instid0(VALU_DEP_1) | instskip(SKIP_1) | instid1(VALU_DEP_2)
	v_subrev_nc_u32_e32 v67, 28, v66
	v_sub_nc_u32_e32 v66, 29, v66
	v_lshlrev_b64 v[32:33], v67, v[32:33]
	s_delay_alu instid0(VALU_DEP_1)
	v_and_b32_e32 v32, 7, v32
; %bb.553:                              ;   in Loop: Header=BB464_8 Depth=1
	s_or_b32 exec_lo, exec_lo, s20
	v_lshlrev_b32_e32 v18, 16, v18
	s_delay_alu instid0(VALU_DEP_2) | instskip(SKIP_1) | instid1(VALU_DEP_3)
	v_lshlrev_b32_e32 v32, 20, v32
	v_lshl_add_u32 v33, v66, 23, 0x3c000000
	v_and_b32_e32 v18, 0x80000000, v18
	s_delay_alu instid0(VALU_DEP_1)
	v_or3_b32 v32, v32, v18, v33
.LBB464_554:                            ;   in Loop: Header=BB464_8 Depth=1
	s_or_b32 exec_lo, exec_lo, s19
.LBB464_555:                            ;   in Loop: Header=BB464_8 Depth=1
	s_delay_alu instid0(SALU_CYCLE_1)
	s_or_b32 exec_lo, exec_lo, s18
.LBB464_556:                            ;   in Loop: Header=BB464_8 Depth=1
	s_delay_alu instid0(SALU_CYCLE_1) | instskip(NEXT) | instid1(VALU_DEP_1)
	s_or_b32 exec_lo, exec_lo, s2
	v_mul_f32_e32 v18, v168, v32
                                        ; implicit-def: $vgpr66
	s_delay_alu instid0(VALU_DEP_1) | instskip(NEXT) | instid1(VALU_DEP_1)
	v_and_b32_e32 v32, 0x7f800000, v18
	v_cmp_ne_u32_e64 s1, 0x7f800000, v32
	s_delay_alu instid0(VALU_DEP_1) | instskip(NEXT) | instid1(SALU_CYCLE_1)
	s_and_saveexec_b32 s2, s1
	s_xor_b32 s1, exec_lo, s2
; %bb.557:                              ;   in Loop: Header=BB464_8 Depth=1
	v_bfe_u32 v32, v18, 16, 1
	s_delay_alu instid0(VALU_DEP_1)
	v_add3_u32 v66, v18, v32, 0x7fff
                                        ; implicit-def: $vgpr18
; %bb.558:                              ;   in Loop: Header=BB464_8 Depth=1
	s_and_not1_saveexec_b32 s2, s1
; %bb.559:                              ;   in Loop: Header=BB464_8 Depth=1
	v_and_b32_e32 v32, 0xffff, v18
	v_or_b32_e32 v33, 0x10000, v18
	s_delay_alu instid0(VALU_DEP_2) | instskip(NEXT) | instid1(VALU_DEP_1)
	v_cmp_eq_u32_e64 s1, 0, v32
	v_cndmask_b32_e64 v66, v33, v18, s1
; %bb.560:                              ;   in Loop: Header=BB464_8 Depth=1
	s_or_b32 exec_lo, exec_lo, s2
	v_lshrrev_b32_e32 v67, 16, v31
	v_mov_b32_e32 v18, 0
	s_mov_b32 s2, exec_lo
	s_delay_alu instid0(VALU_DEP_2) | instskip(NEXT) | instid1(VALU_DEP_1)
	v_and_b32_e32 v32, 0xff, v67
	v_cmpx_ne_u16_e32 0, v32
	s_cbranch_execz .LBB464_568
; %bb.561:                              ;   in Loop: Header=BB464_8 Depth=1
	v_bfrev_b32_e32 v18, 1
	s_mov_b32 s18, exec_lo
	v_cmpx_ne_u16_e32 0x80, v32
	s_cbranch_execz .LBB464_567
; %bb.562:                              ;   in Loop: Header=BB464_8 Depth=1
	v_bfe_u32 v32, v31, 16, 7
	v_mov_b32_e32 v18, 0x7f800001
	s_mov_b32 s19, exec_lo
	s_delay_alu instid0(VALU_DEP_2)
	v_cmpx_ne_u32_e32 0x7f, v32
	s_cbranch_execz .LBB464_566
; %bb.563:                              ;   in Loop: Header=BB464_8 Depth=1
	v_and_b32_e32 v18, 7, v67
	v_lshrrev_b32_e32 v68, 3, v32
	v_cmp_gt_u32_e64 s1, 8, v32
	s_delay_alu instid0(VALU_DEP_3) | instskip(NEXT) | instid1(VALU_DEP_2)
	v_dual_mov_b32 v33, v19 :: v_dual_mov_b32 v32, v18
	s_and_saveexec_b32 s20, s1
; %bb.564:                              ;   in Loop: Header=BB464_8 Depth=1
	v_clz_i32_u32_e32 v32, v18
	s_delay_alu instid0(VALU_DEP_1) | instskip(NEXT) | instid1(VALU_DEP_1)
	v_min_u32_e32 v68, 32, v32
	v_subrev_nc_u32_e32 v32, 28, v68
	v_sub_nc_u32_e32 v68, 29, v68
	s_delay_alu instid0(VALU_DEP_2) | instskip(NEXT) | instid1(VALU_DEP_1)
	v_lshlrev_b64 v[32:33], v32, v[18:19]
	v_and_b32_e32 v32, 7, v32
; %bb.565:                              ;   in Loop: Header=BB464_8 Depth=1
	s_or_b32 exec_lo, exec_lo, s20
	v_lshlrev_b32_e32 v18, 24, v67
	s_delay_alu instid0(VALU_DEP_2) | instskip(SKIP_1) | instid1(VALU_DEP_3)
	v_lshlrev_b32_e32 v32, 20, v32
	v_lshl_add_u32 v33, v68, 23, 0x3c000000
	v_and_b32_e32 v18, 0x80000000, v18
	s_delay_alu instid0(VALU_DEP_1)
	v_or3_b32 v18, v32, v18, v33
.LBB464_566:                            ;   in Loop: Header=BB464_8 Depth=1
	s_or_b32 exec_lo, exec_lo, s19
.LBB464_567:                            ;   in Loop: Header=BB464_8 Depth=1
	s_delay_alu instid0(SALU_CYCLE_1)
	s_or_b32 exec_lo, exec_lo, s18
.LBB464_568:                            ;   in Loop: Header=BB464_8 Depth=1
	s_delay_alu instid0(SALU_CYCLE_1) | instskip(NEXT) | instid1(VALU_DEP_1)
	s_or_b32 exec_lo, exec_lo, s2
	v_mul_f32_e32 v18, v168, v18
                                        ; implicit-def: $vgpr67
	s_delay_alu instid0(VALU_DEP_1) | instskip(NEXT) | instid1(VALU_DEP_1)
	v_and_b32_e32 v32, 0x7f800000, v18
	v_cmp_ne_u32_e64 s1, 0x7f800000, v32
	s_delay_alu instid0(VALU_DEP_1) | instskip(NEXT) | instid1(SALU_CYCLE_1)
	s_and_saveexec_b32 s2, s1
	s_xor_b32 s1, exec_lo, s2
; %bb.569:                              ;   in Loop: Header=BB464_8 Depth=1
	v_bfe_u32 v32, v18, 16, 1
	s_delay_alu instid0(VALU_DEP_1)
	v_add3_u32 v67, v18, v32, 0x7fff
                                        ; implicit-def: $vgpr18
; %bb.570:                              ;   in Loop: Header=BB464_8 Depth=1
	s_and_not1_saveexec_b32 s2, s1
; %bb.571:                              ;   in Loop: Header=BB464_8 Depth=1
	v_and_b32_e32 v32, 0xffff, v18
	v_or_b32_e32 v33, 0x10000, v18
	s_delay_alu instid0(VALU_DEP_2) | instskip(NEXT) | instid1(VALU_DEP_1)
	v_cmp_eq_u32_e64 s1, 0, v32
	v_cndmask_b32_e64 v67, v33, v18, s1
; %bb.572:                              ;   in Loop: Header=BB464_8 Depth=1
	s_or_b32 exec_lo, exec_lo, s2
	v_mov_b32_e32 v18, 0
	s_mov_b32 s2, exec_lo
	v_cmpx_lt_u64_e64 s[8:9], v[30:31]
	s_cbranch_execz .LBB464_580
; %bb.573:                              ;   in Loop: Header=BB464_8 Depth=1
	v_lshrrev_b32_e32 v32, 24, v31
	v_bfrev_b32_e32 v18, 1
	s_mov_b32 s18, exec_lo
	s_delay_alu instid0(VALU_DEP_2)
	v_cmpx_ne_u32_e32 0x80, v32
	s_cbranch_execz .LBB464_579
; %bb.574:                              ;   in Loop: Header=BB464_8 Depth=1
	v_bfe_u32 v30, v31, 24, 7
	v_mov_b32_e32 v18, 0x7f800001
	s_mov_b32 s19, exec_lo
	s_delay_alu instid0(VALU_DEP_2)
	v_cmpx_ne_u32_e32 0x7f, v30
	s_cbranch_execz .LBB464_578
; %bb.575:                              ;   in Loop: Header=BB464_8 Depth=1
	v_and_b32_e32 v18, 7, v32
	v_lshrrev_b32_e32 v33, 3, v30
	v_cmp_gt_u32_e64 s1, 8, v30
	s_delay_alu instid0(VALU_DEP_3) | instskip(NEXT) | instid1(VALU_DEP_2)
	v_dual_mov_b32 v31, v19 :: v_dual_mov_b32 v30, v18
	s_and_saveexec_b32 s20, s1
; %bb.576:                              ;   in Loop: Header=BB464_8 Depth=1
	v_clz_i32_u32_e32 v30, v18
	s_delay_alu instid0(VALU_DEP_1) | instskip(NEXT) | instid1(VALU_DEP_1)
	v_min_u32_e32 v33, 32, v30
	v_subrev_nc_u32_e32 v30, 28, v33
	v_sub_nc_u32_e32 v33, 29, v33
	s_delay_alu instid0(VALU_DEP_2) | instskip(NEXT) | instid1(VALU_DEP_1)
	v_lshlrev_b64 v[30:31], v30, v[18:19]
	v_and_b32_e32 v30, 7, v30
; %bb.577:                              ;   in Loop: Header=BB464_8 Depth=1
	s_or_b32 exec_lo, exec_lo, s20
	v_lshlrev_b32_e32 v18, 24, v32
	s_delay_alu instid0(VALU_DEP_2) | instskip(SKIP_1) | instid1(VALU_DEP_3)
	v_lshlrev_b32_e32 v30, 20, v30
	v_lshl_add_u32 v31, v33, 23, 0x3c000000
	v_and_b32_e32 v18, 0x80000000, v18
	s_delay_alu instid0(VALU_DEP_1)
	v_or3_b32 v18, v30, v18, v31
.LBB464_578:                            ;   in Loop: Header=BB464_8 Depth=1
	s_or_b32 exec_lo, exec_lo, s19
.LBB464_579:                            ;   in Loop: Header=BB464_8 Depth=1
	s_delay_alu instid0(SALU_CYCLE_1)
	s_or_b32 exec_lo, exec_lo, s18
.LBB464_580:                            ;   in Loop: Header=BB464_8 Depth=1
	s_delay_alu instid0(SALU_CYCLE_1) | instskip(NEXT) | instid1(VALU_DEP_1)
	s_or_b32 exec_lo, exec_lo, s2
	v_mul_f32_e32 v18, v168, v18
                                        ; implicit-def: $vgpr68
	s_delay_alu instid0(VALU_DEP_1) | instskip(NEXT) | instid1(VALU_DEP_1)
	v_and_b32_e32 v30, 0x7f800000, v18
	v_cmp_ne_u32_e64 s1, 0x7f800000, v30
	s_delay_alu instid0(VALU_DEP_1) | instskip(NEXT) | instid1(SALU_CYCLE_1)
	s_and_saveexec_b32 s2, s1
	s_xor_b32 s1, exec_lo, s2
; %bb.581:                              ;   in Loop: Header=BB464_8 Depth=1
	v_bfe_u32 v30, v18, 16, 1
	s_delay_alu instid0(VALU_DEP_1)
	v_add3_u32 v68, v18, v30, 0x7fff
                                        ; implicit-def: $vgpr18
; %bb.582:                              ;   in Loop: Header=BB464_8 Depth=1
	s_and_not1_saveexec_b32 s2, s1
; %bb.583:                              ;   in Loop: Header=BB464_8 Depth=1
	v_and_b32_e32 v30, 0xffff, v18
	v_or_b32_e32 v31, 0x10000, v18
	s_delay_alu instid0(VALU_DEP_2) | instskip(NEXT) | instid1(VALU_DEP_1)
	v_cmp_eq_u32_e64 s1, 0, v30
	v_cndmask_b32_e64 v68, v31, v18, s1
; %bb.584:                              ;   in Loop: Header=BB464_8 Depth=1
	s_or_b32 exec_lo, exec_lo, s2
	flat_load_b64 v[30:31], v[28:29] offset:1536
	v_mov_b32_e32 v18, 0
	s_mov_b32 s2, exec_lo
	s_waitcnt vmcnt(0) lgkmcnt(0)
	v_and_b32_e32 v32, 0xff, v30
	s_delay_alu instid0(VALU_DEP_1)
	v_cmpx_ne_u16_e32 0, v32
	s_cbranch_execz .LBB464_592
; %bb.585:                              ;   in Loop: Header=BB464_8 Depth=1
	v_bfrev_b32_e32 v18, 1
	s_mov_b32 s18, exec_lo
	v_cmpx_ne_u16_e32 0x80, v32
	s_cbranch_execz .LBB464_591
; %bb.586:                              ;   in Loop: Header=BB464_8 Depth=1
	v_and_b32_e32 v32, 0x7f, v30
	v_mov_b32_e32 v18, 0x7f800001
	s_mov_b32 s19, exec_lo
	s_delay_alu instid0(VALU_DEP_2)
	v_cmpx_ne_u32_e32 0x7f, v32
	s_cbranch_execz .LBB464_590
; %bb.587:                              ;   in Loop: Header=BB464_8 Depth=1
	v_lshrrev_b32_e32 v18, 3, v32
	v_cmp_gt_u32_e64 s1, 8, v32
	v_dual_mov_b32 v33, v31 :: v_dual_mov_b32 v32, v30
	s_delay_alu instid0(VALU_DEP_2)
	s_and_saveexec_b32 s20, s1
; %bb.588:                              ;   in Loop: Header=BB464_8 Depth=1
	v_and_b32_e32 v18, 7, v30
	s_delay_alu instid0(VALU_DEP_1) | instskip(NEXT) | instid1(VALU_DEP_1)
	v_clz_i32_u32_e32 v18, v18
	v_min_u32_e32 v18, 32, v18
	s_delay_alu instid0(VALU_DEP_1) | instskip(SKIP_1) | instid1(VALU_DEP_2)
	v_subrev_nc_u32_e32 v32, 28, v18
	v_sub_nc_u32_e32 v18, 29, v18
	v_lshlrev_b64 v[32:33], v32, v[30:31]
; %bb.589:                              ;   in Loop: Header=BB464_8 Depth=1
	s_or_b32 exec_lo, exec_lo, s20
	s_delay_alu instid0(VALU_DEP_1) | instskip(SKIP_2) | instid1(VALU_DEP_3)
	v_lshlrev_b32_e32 v32, 20, v32
	v_lshlrev_b32_e32 v33, 24, v30
	v_lshl_add_u32 v18, v18, 23, 0x3c000000
	v_and_b32_e32 v32, 0x700000, v32
	s_delay_alu instid0(VALU_DEP_3) | instskip(NEXT) | instid1(VALU_DEP_1)
	v_and_b32_e32 v33, 0x80000000, v33
	v_or3_b32 v18, v32, v33, v18
.LBB464_590:                            ;   in Loop: Header=BB464_8 Depth=1
	s_or_b32 exec_lo, exec_lo, s19
.LBB464_591:                            ;   in Loop: Header=BB464_8 Depth=1
	s_delay_alu instid0(SALU_CYCLE_1)
	s_or_b32 exec_lo, exec_lo, s18
.LBB464_592:                            ;   in Loop: Header=BB464_8 Depth=1
	s_delay_alu instid0(SALU_CYCLE_1) | instskip(NEXT) | instid1(VALU_DEP_1)
	s_or_b32 exec_lo, exec_lo, s2
	v_mul_f32_e32 v18, v168, v18
                                        ; implicit-def: $vgpr69
	s_delay_alu instid0(VALU_DEP_1) | instskip(NEXT) | instid1(VALU_DEP_1)
	v_and_b32_e32 v32, 0x7f800000, v18
	v_cmp_ne_u32_e64 s1, 0x7f800000, v32
	s_delay_alu instid0(VALU_DEP_1) | instskip(NEXT) | instid1(SALU_CYCLE_1)
	s_and_saveexec_b32 s2, s1
	s_xor_b32 s1, exec_lo, s2
; %bb.593:                              ;   in Loop: Header=BB464_8 Depth=1
	v_bfe_u32 v32, v18, 16, 1
	s_delay_alu instid0(VALU_DEP_1)
	v_add3_u32 v69, v18, v32, 0x7fff
                                        ; implicit-def: $vgpr18
; %bb.594:                              ;   in Loop: Header=BB464_8 Depth=1
	s_and_not1_saveexec_b32 s2, s1
; %bb.595:                              ;   in Loop: Header=BB464_8 Depth=1
	v_and_b32_e32 v32, 0xffff, v18
	v_or_b32_e32 v33, 0x10000, v18
	s_delay_alu instid0(VALU_DEP_2) | instskip(NEXT) | instid1(VALU_DEP_1)
	v_cmp_eq_u32_e64 s1, 0, v32
	v_cndmask_b32_e64 v69, v33, v18, s1
; %bb.596:                              ;   in Loop: Header=BB464_8 Depth=1
	s_or_b32 exec_lo, exec_lo, s2
	v_lshrrev_b16 v32, 8, v30
	v_mov_b32_e32 v18, 0
	s_mov_b32 s2, exec_lo
	s_delay_alu instid0(VALU_DEP_2)
	v_cmpx_ne_u16_e32 0, v32
	s_cbranch_execz .LBB464_604
; %bb.597:                              ;   in Loop: Header=BB464_8 Depth=1
	v_bfrev_b32_e32 v18, 1
	s_mov_b32 s18, exec_lo
	v_cmpx_ne_u16_e32 0x80, v32
	s_cbranch_execz .LBB464_603
; %bb.598:                              ;   in Loop: Header=BB464_8 Depth=1
	v_and_b32_e32 v33, 0xffff, v32
	v_mov_b32_e32 v18, 0x7f800001
	s_mov_b32 s19, exec_lo
	s_delay_alu instid0(VALU_DEP_2) | instskip(NEXT) | instid1(VALU_DEP_1)
	v_and_b32_e32 v32, 0x7f, v33
	v_cmpx_ne_u32_e32 0x7f, v32
	s_cbranch_execz .LBB464_602
; %bb.599:                              ;   in Loop: Header=BB464_8 Depth=1
	v_and_b32_e32 v18, 7, v33
	v_lshrrev_b32_e32 v70, 3, v32
	v_cmp_gt_u32_e64 s1, 8, v32
	s_delay_alu instid0(VALU_DEP_3) | instskip(NEXT) | instid1(VALU_DEP_2)
	v_dual_mov_b32 v33, v19 :: v_dual_mov_b32 v32, v18
	s_and_saveexec_b32 s20, s1
; %bb.600:                              ;   in Loop: Header=BB464_8 Depth=1
	v_clz_i32_u32_e32 v32, v18
	s_delay_alu instid0(VALU_DEP_1) | instskip(NEXT) | instid1(VALU_DEP_1)
	v_min_u32_e32 v70, 32, v32
	v_subrev_nc_u32_e32 v32, 28, v70
	v_sub_nc_u32_e32 v70, 29, v70
	s_delay_alu instid0(VALU_DEP_2) | instskip(NEXT) | instid1(VALU_DEP_1)
	v_lshlrev_b64 v[32:33], v32, v[18:19]
	v_and_b32_e32 v32, 7, v32
; %bb.601:                              ;   in Loop: Header=BB464_8 Depth=1
	s_or_b32 exec_lo, exec_lo, s20
	v_lshlrev_b32_e32 v18, 16, v30
	s_delay_alu instid0(VALU_DEP_2) | instskip(SKIP_1) | instid1(VALU_DEP_3)
	v_lshlrev_b32_e32 v32, 20, v32
	v_lshl_add_u32 v33, v70, 23, 0x3c000000
	v_and_b32_e32 v18, 0x80000000, v18
	s_delay_alu instid0(VALU_DEP_1)
	v_or3_b32 v18, v32, v18, v33
.LBB464_602:                            ;   in Loop: Header=BB464_8 Depth=1
	s_or_b32 exec_lo, exec_lo, s19
.LBB464_603:                            ;   in Loop: Header=BB464_8 Depth=1
	s_delay_alu instid0(SALU_CYCLE_1)
	s_or_b32 exec_lo, exec_lo, s18
.LBB464_604:                            ;   in Loop: Header=BB464_8 Depth=1
	s_delay_alu instid0(SALU_CYCLE_1) | instskip(NEXT) | instid1(VALU_DEP_1)
	s_or_b32 exec_lo, exec_lo, s2
	v_mul_f32_e32 v18, v168, v18
                                        ; implicit-def: $vgpr70
	s_delay_alu instid0(VALU_DEP_1) | instskip(NEXT) | instid1(VALU_DEP_1)
	v_and_b32_e32 v32, 0x7f800000, v18
	v_cmp_ne_u32_e64 s1, 0x7f800000, v32
	s_delay_alu instid0(VALU_DEP_1) | instskip(NEXT) | instid1(SALU_CYCLE_1)
	s_and_saveexec_b32 s2, s1
	s_xor_b32 s1, exec_lo, s2
; %bb.605:                              ;   in Loop: Header=BB464_8 Depth=1
	v_bfe_u32 v32, v18, 16, 1
	s_delay_alu instid0(VALU_DEP_1)
	v_add3_u32 v70, v18, v32, 0x7fff
                                        ; implicit-def: $vgpr18
; %bb.606:                              ;   in Loop: Header=BB464_8 Depth=1
	s_and_not1_saveexec_b32 s2, s1
; %bb.607:                              ;   in Loop: Header=BB464_8 Depth=1
	v_and_b32_e32 v32, 0xffff, v18
	v_or_b32_e32 v33, 0x10000, v18
	s_delay_alu instid0(VALU_DEP_2) | instskip(NEXT) | instid1(VALU_DEP_1)
	v_cmp_eq_u32_e64 s1, 0, v32
	v_cndmask_b32_e64 v70, v33, v18, s1
; %bb.608:                              ;   in Loop: Header=BB464_8 Depth=1
	s_or_b32 exec_lo, exec_lo, s2
	v_lshrrev_b32_e32 v71, 16, v30
	v_mov_b32_e32 v18, 0
	s_mov_b32 s2, exec_lo
	s_delay_alu instid0(VALU_DEP_2) | instskip(NEXT) | instid1(VALU_DEP_1)
	v_and_b32_e32 v32, 0xff, v71
	v_cmpx_ne_u16_e32 0, v32
	s_cbranch_execz .LBB464_616
; %bb.609:                              ;   in Loop: Header=BB464_8 Depth=1
	v_bfrev_b32_e32 v18, 1
	s_mov_b32 s18, exec_lo
	v_cmpx_ne_u16_e32 0x80, v32
	s_cbranch_execz .LBB464_615
; %bb.610:                              ;   in Loop: Header=BB464_8 Depth=1
	v_bfe_u32 v32, v30, 16, 7
	v_mov_b32_e32 v18, 0x7f800001
	s_mov_b32 s19, exec_lo
	s_delay_alu instid0(VALU_DEP_2)
	v_cmpx_ne_u32_e32 0x7f, v32
	s_cbranch_execz .LBB464_614
; %bb.611:                              ;   in Loop: Header=BB464_8 Depth=1
	v_and_b32_e32 v18, 7, v71
	v_lshrrev_b32_e32 v80, 3, v32
	v_cmp_gt_u32_e64 s1, 8, v32
	s_delay_alu instid0(VALU_DEP_3) | instskip(NEXT) | instid1(VALU_DEP_2)
	v_dual_mov_b32 v33, v19 :: v_dual_mov_b32 v32, v18
	s_and_saveexec_b32 s20, s1
; %bb.612:                              ;   in Loop: Header=BB464_8 Depth=1
	v_clz_i32_u32_e32 v32, v18
	s_delay_alu instid0(VALU_DEP_1) | instskip(NEXT) | instid1(VALU_DEP_1)
	v_min_u32_e32 v80, 32, v32
	v_subrev_nc_u32_e32 v32, 28, v80
	v_sub_nc_u32_e32 v80, 29, v80
	s_delay_alu instid0(VALU_DEP_2) | instskip(NEXT) | instid1(VALU_DEP_1)
	v_lshlrev_b64 v[32:33], v32, v[18:19]
	v_and_b32_e32 v32, 7, v32
; %bb.613:                              ;   in Loop: Header=BB464_8 Depth=1
	s_or_b32 exec_lo, exec_lo, s20
	v_lshlrev_b32_e32 v18, 24, v71
	s_delay_alu instid0(VALU_DEP_2) | instskip(SKIP_1) | instid1(VALU_DEP_3)
	v_lshlrev_b32_e32 v32, 20, v32
	v_lshl_add_u32 v33, v80, 23, 0x3c000000
	v_and_b32_e32 v18, 0x80000000, v18
	s_delay_alu instid0(VALU_DEP_1)
	v_or3_b32 v18, v32, v18, v33
.LBB464_614:                            ;   in Loop: Header=BB464_8 Depth=1
	s_or_b32 exec_lo, exec_lo, s19
.LBB464_615:                            ;   in Loop: Header=BB464_8 Depth=1
	s_delay_alu instid0(SALU_CYCLE_1)
	s_or_b32 exec_lo, exec_lo, s18
.LBB464_616:                            ;   in Loop: Header=BB464_8 Depth=1
	s_delay_alu instid0(SALU_CYCLE_1) | instskip(NEXT) | instid1(VALU_DEP_1)
	s_or_b32 exec_lo, exec_lo, s2
	v_mul_f32_e32 v18, v168, v18
                                        ; implicit-def: $vgpr71
	s_delay_alu instid0(VALU_DEP_1) | instskip(NEXT) | instid1(VALU_DEP_1)
	v_and_b32_e32 v32, 0x7f800000, v18
	v_cmp_ne_u32_e64 s1, 0x7f800000, v32
	s_delay_alu instid0(VALU_DEP_1) | instskip(NEXT) | instid1(SALU_CYCLE_1)
	s_and_saveexec_b32 s2, s1
	s_xor_b32 s1, exec_lo, s2
; %bb.617:                              ;   in Loop: Header=BB464_8 Depth=1
	v_bfe_u32 v32, v18, 16, 1
	s_delay_alu instid0(VALU_DEP_1)
	v_add3_u32 v71, v18, v32, 0x7fff
                                        ; implicit-def: $vgpr18
; %bb.618:                              ;   in Loop: Header=BB464_8 Depth=1
	s_and_not1_saveexec_b32 s2, s1
; %bb.619:                              ;   in Loop: Header=BB464_8 Depth=1
	v_and_b32_e32 v32, 0xffff, v18
	v_or_b32_e32 v33, 0x10000, v18
	s_delay_alu instid0(VALU_DEP_2) | instskip(NEXT) | instid1(VALU_DEP_1)
	v_cmp_eq_u32_e64 s1, 0, v32
	v_cndmask_b32_e64 v71, v33, v18, s1
; %bb.620:                              ;   in Loop: Header=BB464_8 Depth=1
	s_or_b32 exec_lo, exec_lo, s2
	v_mov_b32_e32 v18, 0
	s_mov_b32 s2, exec_lo
	v_cmpx_lt_u32_e32 0xffffff, v30
	s_cbranch_execz .LBB464_628
; %bb.621:                              ;   in Loop: Header=BB464_8 Depth=1
	v_lshrrev_b32_e32 v80, 24, v30
	v_bfrev_b32_e32 v18, 1
	s_mov_b32 s18, exec_lo
	s_delay_alu instid0(VALU_DEP_2)
	v_cmpx_ne_u32_e32 0x80, v80
	s_cbranch_execz .LBB464_627
; %bb.622:                              ;   in Loop: Header=BB464_8 Depth=1
	v_bfe_u32 v32, v30, 24, 7
	v_mov_b32_e32 v18, 0x7f800001
	s_mov_b32 s19, exec_lo
	s_delay_alu instid0(VALU_DEP_2)
	v_cmpx_ne_u32_e32 0x7f, v32
	s_cbranch_execz .LBB464_626
; %bb.623:                              ;   in Loop: Header=BB464_8 Depth=1
	v_and_b32_e32 v18, 7, v80
	v_lshrrev_b32_e32 v81, 3, v32
	v_cmp_gt_u32_e64 s1, 8, v32
	s_delay_alu instid0(VALU_DEP_3) | instskip(NEXT) | instid1(VALU_DEP_2)
	v_dual_mov_b32 v33, v19 :: v_dual_mov_b32 v32, v18
	s_and_saveexec_b32 s20, s1
; %bb.624:                              ;   in Loop: Header=BB464_8 Depth=1
	v_clz_i32_u32_e32 v32, v18
	s_delay_alu instid0(VALU_DEP_1) | instskip(NEXT) | instid1(VALU_DEP_1)
	v_min_u32_e32 v81, 32, v32
	v_subrev_nc_u32_e32 v32, 28, v81
	v_sub_nc_u32_e32 v81, 29, v81
	s_delay_alu instid0(VALU_DEP_2) | instskip(NEXT) | instid1(VALU_DEP_1)
	v_lshlrev_b64 v[32:33], v32, v[18:19]
	v_and_b32_e32 v32, 7, v32
; %bb.625:                              ;   in Loop: Header=BB464_8 Depth=1
	s_or_b32 exec_lo, exec_lo, s20
	v_lshlrev_b32_e32 v18, 24, v80
	s_delay_alu instid0(VALU_DEP_2) | instskip(SKIP_1) | instid1(VALU_DEP_3)
	v_lshlrev_b32_e32 v32, 20, v32
	v_lshl_add_u32 v33, v81, 23, 0x3c000000
	v_and_b32_e32 v18, 0x80000000, v18
	s_delay_alu instid0(VALU_DEP_1)
	v_or3_b32 v18, v32, v18, v33
.LBB464_626:                            ;   in Loop: Header=BB464_8 Depth=1
	s_or_b32 exec_lo, exec_lo, s19
.LBB464_627:                            ;   in Loop: Header=BB464_8 Depth=1
	s_delay_alu instid0(SALU_CYCLE_1)
	s_or_b32 exec_lo, exec_lo, s18
.LBB464_628:                            ;   in Loop: Header=BB464_8 Depth=1
	s_delay_alu instid0(SALU_CYCLE_1) | instskip(NEXT) | instid1(VALU_DEP_1)
	s_or_b32 exec_lo, exec_lo, s2
	v_mul_f32_e32 v18, v168, v18
                                        ; implicit-def: $vgpr80
	s_delay_alu instid0(VALU_DEP_1) | instskip(NEXT) | instid1(VALU_DEP_1)
	v_and_b32_e32 v32, 0x7f800000, v18
	v_cmp_ne_u32_e64 s1, 0x7f800000, v32
	s_delay_alu instid0(VALU_DEP_1) | instskip(NEXT) | instid1(SALU_CYCLE_1)
	s_and_saveexec_b32 s2, s1
	s_xor_b32 s1, exec_lo, s2
; %bb.629:                              ;   in Loop: Header=BB464_8 Depth=1
	v_bfe_u32 v32, v18, 16, 1
	s_delay_alu instid0(VALU_DEP_1)
	v_add3_u32 v80, v18, v32, 0x7fff
                                        ; implicit-def: $vgpr18
; %bb.630:                              ;   in Loop: Header=BB464_8 Depth=1
	s_and_not1_saveexec_b32 s2, s1
; %bb.631:                              ;   in Loop: Header=BB464_8 Depth=1
	v_and_b32_e32 v32, 0xffff, v18
	v_or_b32_e32 v33, 0x10000, v18
	s_delay_alu instid0(VALU_DEP_2) | instskip(NEXT) | instid1(VALU_DEP_1)
	v_cmp_eq_u32_e64 s1, 0, v32
	v_cndmask_b32_e64 v80, v33, v18, s1
; %bb.632:                              ;   in Loop: Header=BB464_8 Depth=1
	s_or_b32 exec_lo, exec_lo, s2
	v_dual_mov_b32 v18, v31 :: v_dual_and_b32 v33, 0xff, v31
	v_mov_b32_e32 v32, 0
	s_mov_b32 s2, exec_lo
	s_delay_alu instid0(VALU_DEP_2)
	v_cmpx_ne_u16_e32 0, v33
	s_cbranch_execz .LBB464_640
; %bb.633:                              ;   in Loop: Header=BB464_8 Depth=1
	v_bfrev_b32_e32 v32, 1
	s_mov_b32 s18, exec_lo
	v_cmpx_ne_u16_e32 0x80, v33
	s_cbranch_execz .LBB464_639
; %bb.634:                              ;   in Loop: Header=BB464_8 Depth=1
	v_and_b32_e32 v33, 0x7f, v31
	v_mov_b32_e32 v32, 0x7f800001
	s_mov_b32 s19, exec_lo
	s_delay_alu instid0(VALU_DEP_2)
	v_cmpx_ne_u32_e32 0x7f, v33
	s_cbranch_execz .LBB464_638
; %bb.635:                              ;   in Loop: Header=BB464_8 Depth=1
	v_lshrrev_b32_e32 v81, 3, v33
	v_cmp_gt_u32_e64 s1, 8, v33
	v_dual_mov_b32 v33, v19 :: v_dual_mov_b32 v32, v18
	s_delay_alu instid0(VALU_DEP_2)
	s_and_saveexec_b32 s20, s1
; %bb.636:                              ;   in Loop: Header=BB464_8 Depth=1
	v_and_b32_e32 v32, 7, v31
	s_delay_alu instid0(VALU_DEP_1) | instskip(NEXT) | instid1(VALU_DEP_1)
	v_clz_i32_u32_e32 v32, v32
	v_min_u32_e32 v81, 32, v32
	s_delay_alu instid0(VALU_DEP_1) | instskip(SKIP_1) | instid1(VALU_DEP_2)
	v_subrev_nc_u32_e32 v32, 28, v81
	v_sub_nc_u32_e32 v81, 29, v81
	v_lshlrev_b64 v[32:33], v32, v[18:19]
; %bb.637:                              ;   in Loop: Header=BB464_8 Depth=1
	s_or_b32 exec_lo, exec_lo, s20
	s_delay_alu instid0(VALU_DEP_1) | instskip(SKIP_2) | instid1(VALU_DEP_3)
	v_lshlrev_b32_e32 v32, 20, v32
	v_lshlrev_b32_e32 v33, 24, v18
	v_lshl_add_u32 v81, v81, 23, 0x3c000000
	v_and_b32_e32 v32, 0x700000, v32
	s_delay_alu instid0(VALU_DEP_3) | instskip(NEXT) | instid1(VALU_DEP_1)
	v_and_b32_e32 v33, 0x80000000, v33
	v_or3_b32 v32, v32, v33, v81
.LBB464_638:                            ;   in Loop: Header=BB464_8 Depth=1
	s_or_b32 exec_lo, exec_lo, s19
.LBB464_639:                            ;   in Loop: Header=BB464_8 Depth=1
	s_delay_alu instid0(SALU_CYCLE_1)
	s_or_b32 exec_lo, exec_lo, s18
.LBB464_640:                            ;   in Loop: Header=BB464_8 Depth=1
	s_delay_alu instid0(SALU_CYCLE_1) | instskip(NEXT) | instid1(VALU_DEP_1)
	s_or_b32 exec_lo, exec_lo, s2
	v_mul_f32_e32 v32, v168, v32
                                        ; implicit-def: $vgpr81
	s_delay_alu instid0(VALU_DEP_1) | instskip(NEXT) | instid1(VALU_DEP_1)
	v_and_b32_e32 v33, 0x7f800000, v32
	v_cmp_ne_u32_e64 s1, 0x7f800000, v33
	s_delay_alu instid0(VALU_DEP_1) | instskip(NEXT) | instid1(SALU_CYCLE_1)
	s_and_saveexec_b32 s2, s1
	s_xor_b32 s1, exec_lo, s2
; %bb.641:                              ;   in Loop: Header=BB464_8 Depth=1
	v_bfe_u32 v33, v32, 16, 1
	s_delay_alu instid0(VALU_DEP_1)
	v_add3_u32 v81, v32, v33, 0x7fff
                                        ; implicit-def: $vgpr32
; %bb.642:                              ;   in Loop: Header=BB464_8 Depth=1
	s_and_not1_saveexec_b32 s2, s1
; %bb.643:                              ;   in Loop: Header=BB464_8 Depth=1
	v_and_b32_e32 v33, 0xffff, v32
	v_or_b32_e32 v81, 0x10000, v32
	s_delay_alu instid0(VALU_DEP_2) | instskip(NEXT) | instid1(VALU_DEP_1)
	v_cmp_eq_u32_e64 s1, 0, v33
	v_cndmask_b32_e64 v81, v81, v32, s1
; %bb.644:                              ;   in Loop: Header=BB464_8 Depth=1
	s_or_b32 exec_lo, exec_lo, s2
	v_lshrrev_b16 v33, 8, v18
	v_mov_b32_e32 v32, 0
	s_mov_b32 s2, exec_lo
	s_delay_alu instid0(VALU_DEP_2)
	v_cmpx_ne_u16_e32 0, v33
	s_cbranch_execz .LBB464_652
; %bb.645:                              ;   in Loop: Header=BB464_8 Depth=1
	v_bfrev_b32_e32 v32, 1
	s_mov_b32 s18, exec_lo
	v_cmpx_ne_u16_e32 0x80, v33
	s_cbranch_execz .LBB464_651
; %bb.646:                              ;   in Loop: Header=BB464_8 Depth=1
	v_and_b32_e32 v33, 0xffff, v33
	v_mov_b32_e32 v32, 0x7f800001
	s_mov_b32 s19, exec_lo
	s_delay_alu instid0(VALU_DEP_2) | instskip(NEXT) | instid1(VALU_DEP_1)
	v_and_b32_e32 v83, 0x7f, v33
	v_cmpx_ne_u32_e32 0x7f, v83
	s_cbranch_execz .LBB464_650
; %bb.647:                              ;   in Loop: Header=BB464_8 Depth=1
	v_dual_mov_b32 v33, v19 :: v_dual_and_b32 v32, 7, v33
	v_lshrrev_b32_e32 v82, 3, v83
	s_mov_b32 s20, exec_lo
	v_cmpx_gt_u32_e32 8, v83
; %bb.648:                              ;   in Loop: Header=BB464_8 Depth=1
	s_delay_alu instid0(VALU_DEP_3) | instskip(NEXT) | instid1(VALU_DEP_1)
	v_clz_i32_u32_e32 v82, v32
	v_min_u32_e32 v82, 32, v82
	s_delay_alu instid0(VALU_DEP_1) | instskip(SKIP_1) | instid1(VALU_DEP_2)
	v_subrev_nc_u32_e32 v83, 28, v82
	v_sub_nc_u32_e32 v82, 29, v82
	v_lshlrev_b64 v[32:33], v83, v[32:33]
	s_delay_alu instid0(VALU_DEP_1)
	v_and_b32_e32 v32, 7, v32
; %bb.649:                              ;   in Loop: Header=BB464_8 Depth=1
	s_or_b32 exec_lo, exec_lo, s20
	v_lshlrev_b32_e32 v18, 16, v18
	s_delay_alu instid0(VALU_DEP_2) | instskip(SKIP_1) | instid1(VALU_DEP_3)
	v_lshlrev_b32_e32 v32, 20, v32
	v_lshl_add_u32 v33, v82, 23, 0x3c000000
	v_and_b32_e32 v18, 0x80000000, v18
	s_delay_alu instid0(VALU_DEP_1)
	v_or3_b32 v32, v32, v18, v33
.LBB464_650:                            ;   in Loop: Header=BB464_8 Depth=1
	s_or_b32 exec_lo, exec_lo, s19
.LBB464_651:                            ;   in Loop: Header=BB464_8 Depth=1
	s_delay_alu instid0(SALU_CYCLE_1)
	s_or_b32 exec_lo, exec_lo, s18
.LBB464_652:                            ;   in Loop: Header=BB464_8 Depth=1
	s_delay_alu instid0(SALU_CYCLE_1) | instskip(NEXT) | instid1(VALU_DEP_1)
	s_or_b32 exec_lo, exec_lo, s2
	v_mul_f32_e32 v18, v168, v32
                                        ; implicit-def: $vgpr82
	s_delay_alu instid0(VALU_DEP_1) | instskip(NEXT) | instid1(VALU_DEP_1)
	v_and_b32_e32 v32, 0x7f800000, v18
	v_cmp_ne_u32_e64 s1, 0x7f800000, v32
	s_delay_alu instid0(VALU_DEP_1) | instskip(NEXT) | instid1(SALU_CYCLE_1)
	s_and_saveexec_b32 s2, s1
	s_xor_b32 s1, exec_lo, s2
; %bb.653:                              ;   in Loop: Header=BB464_8 Depth=1
	v_bfe_u32 v32, v18, 16, 1
	s_delay_alu instid0(VALU_DEP_1)
	v_add3_u32 v82, v18, v32, 0x7fff
                                        ; implicit-def: $vgpr18
; %bb.654:                              ;   in Loop: Header=BB464_8 Depth=1
	s_and_not1_saveexec_b32 s2, s1
; %bb.655:                              ;   in Loop: Header=BB464_8 Depth=1
	v_and_b32_e32 v32, 0xffff, v18
	v_or_b32_e32 v33, 0x10000, v18
	s_delay_alu instid0(VALU_DEP_2) | instskip(NEXT) | instid1(VALU_DEP_1)
	v_cmp_eq_u32_e64 s1, 0, v32
	v_cndmask_b32_e64 v82, v33, v18, s1
; %bb.656:                              ;   in Loop: Header=BB464_8 Depth=1
	s_or_b32 exec_lo, exec_lo, s2
	v_lshrrev_b32_e32 v83, 16, v31
	v_mov_b32_e32 v18, 0
	s_mov_b32 s2, exec_lo
	s_delay_alu instid0(VALU_DEP_2) | instskip(NEXT) | instid1(VALU_DEP_1)
	v_and_b32_e32 v32, 0xff, v83
	v_cmpx_ne_u16_e32 0, v32
	s_cbranch_execz .LBB464_664
; %bb.657:                              ;   in Loop: Header=BB464_8 Depth=1
	v_bfrev_b32_e32 v18, 1
	s_mov_b32 s18, exec_lo
	v_cmpx_ne_u16_e32 0x80, v32
	s_cbranch_execz .LBB464_663
; %bb.658:                              ;   in Loop: Header=BB464_8 Depth=1
	v_bfe_u32 v32, v31, 16, 7
	v_mov_b32_e32 v18, 0x7f800001
	s_mov_b32 s19, exec_lo
	s_delay_alu instid0(VALU_DEP_2)
	v_cmpx_ne_u32_e32 0x7f, v32
	s_cbranch_execz .LBB464_662
; %bb.659:                              ;   in Loop: Header=BB464_8 Depth=1
	v_and_b32_e32 v18, 7, v83
	v_lshrrev_b32_e32 v84, 3, v32
	v_cmp_gt_u32_e64 s1, 8, v32
	s_delay_alu instid0(VALU_DEP_3) | instskip(NEXT) | instid1(VALU_DEP_2)
	v_dual_mov_b32 v33, v19 :: v_dual_mov_b32 v32, v18
	s_and_saveexec_b32 s20, s1
; %bb.660:                              ;   in Loop: Header=BB464_8 Depth=1
	v_clz_i32_u32_e32 v32, v18
	s_delay_alu instid0(VALU_DEP_1) | instskip(NEXT) | instid1(VALU_DEP_1)
	v_min_u32_e32 v84, 32, v32
	v_subrev_nc_u32_e32 v32, 28, v84
	v_sub_nc_u32_e32 v84, 29, v84
	s_delay_alu instid0(VALU_DEP_2) | instskip(NEXT) | instid1(VALU_DEP_1)
	v_lshlrev_b64 v[32:33], v32, v[18:19]
	v_and_b32_e32 v32, 7, v32
; %bb.661:                              ;   in Loop: Header=BB464_8 Depth=1
	s_or_b32 exec_lo, exec_lo, s20
	v_lshlrev_b32_e32 v18, 24, v83
	s_delay_alu instid0(VALU_DEP_2) | instskip(SKIP_1) | instid1(VALU_DEP_3)
	v_lshlrev_b32_e32 v32, 20, v32
	v_lshl_add_u32 v33, v84, 23, 0x3c000000
	v_and_b32_e32 v18, 0x80000000, v18
	s_delay_alu instid0(VALU_DEP_1)
	v_or3_b32 v18, v32, v18, v33
.LBB464_662:                            ;   in Loop: Header=BB464_8 Depth=1
	s_or_b32 exec_lo, exec_lo, s19
.LBB464_663:                            ;   in Loop: Header=BB464_8 Depth=1
	s_delay_alu instid0(SALU_CYCLE_1)
	s_or_b32 exec_lo, exec_lo, s18
.LBB464_664:                            ;   in Loop: Header=BB464_8 Depth=1
	s_delay_alu instid0(SALU_CYCLE_1) | instskip(NEXT) | instid1(VALU_DEP_1)
	s_or_b32 exec_lo, exec_lo, s2
	v_mul_f32_e32 v18, v168, v18
                                        ; implicit-def: $vgpr83
	s_delay_alu instid0(VALU_DEP_1) | instskip(NEXT) | instid1(VALU_DEP_1)
	v_and_b32_e32 v32, 0x7f800000, v18
	v_cmp_ne_u32_e64 s1, 0x7f800000, v32
	s_delay_alu instid0(VALU_DEP_1) | instskip(NEXT) | instid1(SALU_CYCLE_1)
	s_and_saveexec_b32 s2, s1
	s_xor_b32 s1, exec_lo, s2
; %bb.665:                              ;   in Loop: Header=BB464_8 Depth=1
	v_bfe_u32 v32, v18, 16, 1
	s_delay_alu instid0(VALU_DEP_1)
	v_add3_u32 v83, v18, v32, 0x7fff
                                        ; implicit-def: $vgpr18
; %bb.666:                              ;   in Loop: Header=BB464_8 Depth=1
	s_and_not1_saveexec_b32 s2, s1
; %bb.667:                              ;   in Loop: Header=BB464_8 Depth=1
	v_and_b32_e32 v32, 0xffff, v18
	v_or_b32_e32 v33, 0x10000, v18
	s_delay_alu instid0(VALU_DEP_2) | instskip(NEXT) | instid1(VALU_DEP_1)
	v_cmp_eq_u32_e64 s1, 0, v32
	v_cndmask_b32_e64 v83, v33, v18, s1
; %bb.668:                              ;   in Loop: Header=BB464_8 Depth=1
	s_or_b32 exec_lo, exec_lo, s2
	v_mov_b32_e32 v18, 0
	s_mov_b32 s2, exec_lo
	v_cmpx_lt_u64_e64 s[8:9], v[30:31]
	s_cbranch_execz .LBB464_676
; %bb.669:                              ;   in Loop: Header=BB464_8 Depth=1
	v_lshrrev_b32_e32 v32, 24, v31
	v_bfrev_b32_e32 v18, 1
	s_mov_b32 s18, exec_lo
	s_delay_alu instid0(VALU_DEP_2)
	v_cmpx_ne_u32_e32 0x80, v32
	s_cbranch_execz .LBB464_675
; %bb.670:                              ;   in Loop: Header=BB464_8 Depth=1
	v_bfe_u32 v30, v31, 24, 7
	v_mov_b32_e32 v18, 0x7f800001
	s_mov_b32 s19, exec_lo
	s_delay_alu instid0(VALU_DEP_2)
	v_cmpx_ne_u32_e32 0x7f, v30
	s_cbranch_execz .LBB464_674
; %bb.671:                              ;   in Loop: Header=BB464_8 Depth=1
	v_and_b32_e32 v18, 7, v32
	v_lshrrev_b32_e32 v33, 3, v30
	v_cmp_gt_u32_e64 s1, 8, v30
	s_delay_alu instid0(VALU_DEP_3) | instskip(NEXT) | instid1(VALU_DEP_2)
	v_dual_mov_b32 v31, v19 :: v_dual_mov_b32 v30, v18
	s_and_saveexec_b32 s20, s1
; %bb.672:                              ;   in Loop: Header=BB464_8 Depth=1
	v_clz_i32_u32_e32 v30, v18
	s_delay_alu instid0(VALU_DEP_1) | instskip(NEXT) | instid1(VALU_DEP_1)
	v_min_u32_e32 v33, 32, v30
	v_subrev_nc_u32_e32 v30, 28, v33
	v_sub_nc_u32_e32 v33, 29, v33
	s_delay_alu instid0(VALU_DEP_2) | instskip(NEXT) | instid1(VALU_DEP_1)
	v_lshlrev_b64 v[30:31], v30, v[18:19]
	v_and_b32_e32 v30, 7, v30
; %bb.673:                              ;   in Loop: Header=BB464_8 Depth=1
	s_or_b32 exec_lo, exec_lo, s20
	v_lshlrev_b32_e32 v18, 24, v32
	s_delay_alu instid0(VALU_DEP_2) | instskip(SKIP_1) | instid1(VALU_DEP_3)
	v_lshlrev_b32_e32 v30, 20, v30
	v_lshl_add_u32 v31, v33, 23, 0x3c000000
	v_and_b32_e32 v18, 0x80000000, v18
	s_delay_alu instid0(VALU_DEP_1)
	v_or3_b32 v18, v30, v18, v31
.LBB464_674:                            ;   in Loop: Header=BB464_8 Depth=1
	s_or_b32 exec_lo, exec_lo, s19
.LBB464_675:                            ;   in Loop: Header=BB464_8 Depth=1
	s_delay_alu instid0(SALU_CYCLE_1)
	s_or_b32 exec_lo, exec_lo, s18
.LBB464_676:                            ;   in Loop: Header=BB464_8 Depth=1
	s_delay_alu instid0(SALU_CYCLE_1) | instskip(NEXT) | instid1(VALU_DEP_1)
	s_or_b32 exec_lo, exec_lo, s2
	v_mul_f32_e32 v18, v168, v18
                                        ; implicit-def: $vgpr84
	s_delay_alu instid0(VALU_DEP_1) | instskip(NEXT) | instid1(VALU_DEP_1)
	v_and_b32_e32 v30, 0x7f800000, v18
	v_cmp_ne_u32_e64 s1, 0x7f800000, v30
	s_delay_alu instid0(VALU_DEP_1) | instskip(NEXT) | instid1(SALU_CYCLE_1)
	s_and_saveexec_b32 s2, s1
	s_xor_b32 s1, exec_lo, s2
; %bb.677:                              ;   in Loop: Header=BB464_8 Depth=1
	v_bfe_u32 v30, v18, 16, 1
	s_delay_alu instid0(VALU_DEP_1)
	v_add3_u32 v84, v18, v30, 0x7fff
                                        ; implicit-def: $vgpr18
; %bb.678:                              ;   in Loop: Header=BB464_8 Depth=1
	s_and_not1_saveexec_b32 s2, s1
; %bb.679:                              ;   in Loop: Header=BB464_8 Depth=1
	v_and_b32_e32 v30, 0xffff, v18
	v_or_b32_e32 v31, 0x10000, v18
	s_delay_alu instid0(VALU_DEP_2) | instskip(NEXT) | instid1(VALU_DEP_1)
	v_cmp_eq_u32_e64 s1, 0, v30
	v_cndmask_b32_e64 v84, v31, v18, s1
; %bb.680:                              ;   in Loop: Header=BB464_8 Depth=1
	s_or_b32 exec_lo, exec_lo, s2
	flat_load_b64 v[30:31], v[28:29] offset:1544
	v_mov_b32_e32 v18, 0
	s_mov_b32 s2, exec_lo
	s_waitcnt vmcnt(0) lgkmcnt(0)
	v_and_b32_e32 v32, 0xff, v30
	s_delay_alu instid0(VALU_DEP_1)
	v_cmpx_ne_u16_e32 0, v32
	s_cbranch_execz .LBB464_688
; %bb.681:                              ;   in Loop: Header=BB464_8 Depth=1
	v_bfrev_b32_e32 v18, 1
	s_mov_b32 s18, exec_lo
	v_cmpx_ne_u16_e32 0x80, v32
	s_cbranch_execz .LBB464_687
; %bb.682:                              ;   in Loop: Header=BB464_8 Depth=1
	v_and_b32_e32 v32, 0x7f, v30
	v_mov_b32_e32 v18, 0x7f800001
	s_mov_b32 s19, exec_lo
	s_delay_alu instid0(VALU_DEP_2)
	v_cmpx_ne_u32_e32 0x7f, v32
	s_cbranch_execz .LBB464_686
; %bb.683:                              ;   in Loop: Header=BB464_8 Depth=1
	v_lshrrev_b32_e32 v18, 3, v32
	v_cmp_gt_u32_e64 s1, 8, v32
	v_dual_mov_b32 v33, v31 :: v_dual_mov_b32 v32, v30
	s_delay_alu instid0(VALU_DEP_2)
	s_and_saveexec_b32 s20, s1
; %bb.684:                              ;   in Loop: Header=BB464_8 Depth=1
	v_and_b32_e32 v18, 7, v30
	s_delay_alu instid0(VALU_DEP_1) | instskip(NEXT) | instid1(VALU_DEP_1)
	v_clz_i32_u32_e32 v18, v18
	v_min_u32_e32 v18, 32, v18
	s_delay_alu instid0(VALU_DEP_1) | instskip(SKIP_1) | instid1(VALU_DEP_2)
	v_subrev_nc_u32_e32 v32, 28, v18
	v_sub_nc_u32_e32 v18, 29, v18
	v_lshlrev_b64 v[32:33], v32, v[30:31]
; %bb.685:                              ;   in Loop: Header=BB464_8 Depth=1
	s_or_b32 exec_lo, exec_lo, s20
	s_delay_alu instid0(VALU_DEP_1) | instskip(SKIP_2) | instid1(VALU_DEP_3)
	v_lshlrev_b32_e32 v32, 20, v32
	v_lshlrev_b32_e32 v33, 24, v30
	v_lshl_add_u32 v18, v18, 23, 0x3c000000
	v_and_b32_e32 v32, 0x700000, v32
	s_delay_alu instid0(VALU_DEP_3) | instskip(NEXT) | instid1(VALU_DEP_1)
	v_and_b32_e32 v33, 0x80000000, v33
	v_or3_b32 v18, v32, v33, v18
.LBB464_686:                            ;   in Loop: Header=BB464_8 Depth=1
	s_or_b32 exec_lo, exec_lo, s19
.LBB464_687:                            ;   in Loop: Header=BB464_8 Depth=1
	s_delay_alu instid0(SALU_CYCLE_1)
	s_or_b32 exec_lo, exec_lo, s18
.LBB464_688:                            ;   in Loop: Header=BB464_8 Depth=1
	s_delay_alu instid0(SALU_CYCLE_1) | instskip(NEXT) | instid1(VALU_DEP_1)
	s_or_b32 exec_lo, exec_lo, s2
	v_mul_f32_e32 v18, v168, v18
                                        ; implicit-def: $vgpr85
	s_delay_alu instid0(VALU_DEP_1) | instskip(NEXT) | instid1(VALU_DEP_1)
	v_and_b32_e32 v32, 0x7f800000, v18
	v_cmp_ne_u32_e64 s1, 0x7f800000, v32
	s_delay_alu instid0(VALU_DEP_1) | instskip(NEXT) | instid1(SALU_CYCLE_1)
	s_and_saveexec_b32 s2, s1
	s_xor_b32 s1, exec_lo, s2
; %bb.689:                              ;   in Loop: Header=BB464_8 Depth=1
	v_bfe_u32 v32, v18, 16, 1
	s_delay_alu instid0(VALU_DEP_1)
	v_add3_u32 v85, v18, v32, 0x7fff
                                        ; implicit-def: $vgpr18
; %bb.690:                              ;   in Loop: Header=BB464_8 Depth=1
	s_and_not1_saveexec_b32 s2, s1
; %bb.691:                              ;   in Loop: Header=BB464_8 Depth=1
	v_and_b32_e32 v32, 0xffff, v18
	v_or_b32_e32 v33, 0x10000, v18
	s_delay_alu instid0(VALU_DEP_2) | instskip(NEXT) | instid1(VALU_DEP_1)
	v_cmp_eq_u32_e64 s1, 0, v32
	v_cndmask_b32_e64 v85, v33, v18, s1
; %bb.692:                              ;   in Loop: Header=BB464_8 Depth=1
	s_or_b32 exec_lo, exec_lo, s2
	v_lshrrev_b16 v32, 8, v30
	v_mov_b32_e32 v18, 0
	s_mov_b32 s2, exec_lo
	s_delay_alu instid0(VALU_DEP_2)
	v_cmpx_ne_u16_e32 0, v32
	s_cbranch_execz .LBB464_700
; %bb.693:                              ;   in Loop: Header=BB464_8 Depth=1
	v_bfrev_b32_e32 v18, 1
	s_mov_b32 s18, exec_lo
	v_cmpx_ne_u16_e32 0x80, v32
	s_cbranch_execz .LBB464_699
; %bb.694:                              ;   in Loop: Header=BB464_8 Depth=1
	v_and_b32_e32 v33, 0xffff, v32
	v_mov_b32_e32 v18, 0x7f800001
	s_mov_b32 s19, exec_lo
	s_delay_alu instid0(VALU_DEP_2) | instskip(NEXT) | instid1(VALU_DEP_1)
	v_and_b32_e32 v32, 0x7f, v33
	v_cmpx_ne_u32_e32 0x7f, v32
	s_cbranch_execz .LBB464_698
; %bb.695:                              ;   in Loop: Header=BB464_8 Depth=1
	v_and_b32_e32 v18, 7, v33
	v_lshrrev_b32_e32 v86, 3, v32
	v_cmp_gt_u32_e64 s1, 8, v32
	s_delay_alu instid0(VALU_DEP_3) | instskip(NEXT) | instid1(VALU_DEP_2)
	v_dual_mov_b32 v33, v19 :: v_dual_mov_b32 v32, v18
	s_and_saveexec_b32 s20, s1
; %bb.696:                              ;   in Loop: Header=BB464_8 Depth=1
	v_clz_i32_u32_e32 v32, v18
	s_delay_alu instid0(VALU_DEP_1) | instskip(NEXT) | instid1(VALU_DEP_1)
	v_min_u32_e32 v86, 32, v32
	v_subrev_nc_u32_e32 v32, 28, v86
	v_sub_nc_u32_e32 v86, 29, v86
	s_delay_alu instid0(VALU_DEP_2) | instskip(NEXT) | instid1(VALU_DEP_1)
	v_lshlrev_b64 v[32:33], v32, v[18:19]
	v_and_b32_e32 v32, 7, v32
; %bb.697:                              ;   in Loop: Header=BB464_8 Depth=1
	s_or_b32 exec_lo, exec_lo, s20
	v_lshlrev_b32_e32 v18, 16, v30
	s_delay_alu instid0(VALU_DEP_2) | instskip(SKIP_1) | instid1(VALU_DEP_3)
	v_lshlrev_b32_e32 v32, 20, v32
	v_lshl_add_u32 v33, v86, 23, 0x3c000000
	v_and_b32_e32 v18, 0x80000000, v18
	s_delay_alu instid0(VALU_DEP_1)
	v_or3_b32 v18, v32, v18, v33
.LBB464_698:                            ;   in Loop: Header=BB464_8 Depth=1
	s_or_b32 exec_lo, exec_lo, s19
.LBB464_699:                            ;   in Loop: Header=BB464_8 Depth=1
	s_delay_alu instid0(SALU_CYCLE_1)
	s_or_b32 exec_lo, exec_lo, s18
.LBB464_700:                            ;   in Loop: Header=BB464_8 Depth=1
	s_delay_alu instid0(SALU_CYCLE_1) | instskip(NEXT) | instid1(VALU_DEP_1)
	s_or_b32 exec_lo, exec_lo, s2
	v_mul_f32_e32 v18, v168, v18
                                        ; implicit-def: $vgpr86
	s_delay_alu instid0(VALU_DEP_1) | instskip(NEXT) | instid1(VALU_DEP_1)
	v_and_b32_e32 v32, 0x7f800000, v18
	v_cmp_ne_u32_e64 s1, 0x7f800000, v32
	s_delay_alu instid0(VALU_DEP_1) | instskip(NEXT) | instid1(SALU_CYCLE_1)
	s_and_saveexec_b32 s2, s1
	s_xor_b32 s1, exec_lo, s2
; %bb.701:                              ;   in Loop: Header=BB464_8 Depth=1
	v_bfe_u32 v32, v18, 16, 1
	s_delay_alu instid0(VALU_DEP_1)
	v_add3_u32 v86, v18, v32, 0x7fff
                                        ; implicit-def: $vgpr18
; %bb.702:                              ;   in Loop: Header=BB464_8 Depth=1
	s_and_not1_saveexec_b32 s2, s1
; %bb.703:                              ;   in Loop: Header=BB464_8 Depth=1
	v_and_b32_e32 v32, 0xffff, v18
	v_or_b32_e32 v33, 0x10000, v18
	s_delay_alu instid0(VALU_DEP_2) | instskip(NEXT) | instid1(VALU_DEP_1)
	v_cmp_eq_u32_e64 s1, 0, v32
	v_cndmask_b32_e64 v86, v33, v18, s1
; %bb.704:                              ;   in Loop: Header=BB464_8 Depth=1
	s_or_b32 exec_lo, exec_lo, s2
	v_lshrrev_b32_e32 v87, 16, v30
	v_mov_b32_e32 v18, 0
	s_mov_b32 s2, exec_lo
	s_delay_alu instid0(VALU_DEP_2) | instskip(NEXT) | instid1(VALU_DEP_1)
	v_and_b32_e32 v32, 0xff, v87
	v_cmpx_ne_u16_e32 0, v32
	s_cbranch_execz .LBB464_712
; %bb.705:                              ;   in Loop: Header=BB464_8 Depth=1
	v_bfrev_b32_e32 v18, 1
	s_mov_b32 s18, exec_lo
	v_cmpx_ne_u16_e32 0x80, v32
	s_cbranch_execz .LBB464_711
; %bb.706:                              ;   in Loop: Header=BB464_8 Depth=1
	v_bfe_u32 v32, v30, 16, 7
	v_mov_b32_e32 v18, 0x7f800001
	s_mov_b32 s19, exec_lo
	s_delay_alu instid0(VALU_DEP_2)
	v_cmpx_ne_u32_e32 0x7f, v32
	s_cbranch_execz .LBB464_710
; %bb.707:                              ;   in Loop: Header=BB464_8 Depth=1
	v_and_b32_e32 v18, 7, v87
	v_lshrrev_b32_e32 v96, 3, v32
	v_cmp_gt_u32_e64 s1, 8, v32
	s_delay_alu instid0(VALU_DEP_3) | instskip(NEXT) | instid1(VALU_DEP_2)
	v_dual_mov_b32 v33, v19 :: v_dual_mov_b32 v32, v18
	s_and_saveexec_b32 s20, s1
; %bb.708:                              ;   in Loop: Header=BB464_8 Depth=1
	v_clz_i32_u32_e32 v32, v18
	s_delay_alu instid0(VALU_DEP_1) | instskip(NEXT) | instid1(VALU_DEP_1)
	v_min_u32_e32 v96, 32, v32
	v_subrev_nc_u32_e32 v32, 28, v96
	v_sub_nc_u32_e32 v96, 29, v96
	s_delay_alu instid0(VALU_DEP_2) | instskip(NEXT) | instid1(VALU_DEP_1)
	v_lshlrev_b64 v[32:33], v32, v[18:19]
	v_and_b32_e32 v32, 7, v32
; %bb.709:                              ;   in Loop: Header=BB464_8 Depth=1
	s_or_b32 exec_lo, exec_lo, s20
	v_lshlrev_b32_e32 v18, 24, v87
	s_delay_alu instid0(VALU_DEP_2) | instskip(SKIP_1) | instid1(VALU_DEP_3)
	v_lshlrev_b32_e32 v32, 20, v32
	v_lshl_add_u32 v33, v96, 23, 0x3c000000
	v_and_b32_e32 v18, 0x80000000, v18
	s_delay_alu instid0(VALU_DEP_1)
	v_or3_b32 v18, v32, v18, v33
.LBB464_710:                            ;   in Loop: Header=BB464_8 Depth=1
	s_or_b32 exec_lo, exec_lo, s19
.LBB464_711:                            ;   in Loop: Header=BB464_8 Depth=1
	s_delay_alu instid0(SALU_CYCLE_1)
	s_or_b32 exec_lo, exec_lo, s18
.LBB464_712:                            ;   in Loop: Header=BB464_8 Depth=1
	s_delay_alu instid0(SALU_CYCLE_1) | instskip(NEXT) | instid1(VALU_DEP_1)
	s_or_b32 exec_lo, exec_lo, s2
	v_mul_f32_e32 v18, v168, v18
                                        ; implicit-def: $vgpr87
	s_delay_alu instid0(VALU_DEP_1) | instskip(NEXT) | instid1(VALU_DEP_1)
	v_and_b32_e32 v32, 0x7f800000, v18
	v_cmp_ne_u32_e64 s1, 0x7f800000, v32
	s_delay_alu instid0(VALU_DEP_1) | instskip(NEXT) | instid1(SALU_CYCLE_1)
	s_and_saveexec_b32 s2, s1
	s_xor_b32 s1, exec_lo, s2
; %bb.713:                              ;   in Loop: Header=BB464_8 Depth=1
	v_bfe_u32 v32, v18, 16, 1
	s_delay_alu instid0(VALU_DEP_1)
	v_add3_u32 v87, v18, v32, 0x7fff
                                        ; implicit-def: $vgpr18
; %bb.714:                              ;   in Loop: Header=BB464_8 Depth=1
	s_and_not1_saveexec_b32 s2, s1
; %bb.715:                              ;   in Loop: Header=BB464_8 Depth=1
	v_and_b32_e32 v32, 0xffff, v18
	v_or_b32_e32 v33, 0x10000, v18
	s_delay_alu instid0(VALU_DEP_2) | instskip(NEXT) | instid1(VALU_DEP_1)
	v_cmp_eq_u32_e64 s1, 0, v32
	v_cndmask_b32_e64 v87, v33, v18, s1
; %bb.716:                              ;   in Loop: Header=BB464_8 Depth=1
	s_or_b32 exec_lo, exec_lo, s2
	v_mov_b32_e32 v18, 0
	s_mov_b32 s2, exec_lo
	v_cmpx_lt_u32_e32 0xffffff, v30
	s_cbranch_execz .LBB464_724
; %bb.717:                              ;   in Loop: Header=BB464_8 Depth=1
	v_lshrrev_b32_e32 v96, 24, v30
	v_bfrev_b32_e32 v18, 1
	s_mov_b32 s18, exec_lo
	s_delay_alu instid0(VALU_DEP_2)
	v_cmpx_ne_u32_e32 0x80, v96
	s_cbranch_execz .LBB464_723
; %bb.718:                              ;   in Loop: Header=BB464_8 Depth=1
	v_bfe_u32 v32, v30, 24, 7
	v_mov_b32_e32 v18, 0x7f800001
	s_mov_b32 s19, exec_lo
	s_delay_alu instid0(VALU_DEP_2)
	v_cmpx_ne_u32_e32 0x7f, v32
	s_cbranch_execz .LBB464_722
; %bb.719:                              ;   in Loop: Header=BB464_8 Depth=1
	v_and_b32_e32 v18, 7, v96
	v_lshrrev_b32_e32 v97, 3, v32
	v_cmp_gt_u32_e64 s1, 8, v32
	s_delay_alu instid0(VALU_DEP_3) | instskip(NEXT) | instid1(VALU_DEP_2)
	v_dual_mov_b32 v33, v19 :: v_dual_mov_b32 v32, v18
	s_and_saveexec_b32 s20, s1
; %bb.720:                              ;   in Loop: Header=BB464_8 Depth=1
	v_clz_i32_u32_e32 v32, v18
	s_delay_alu instid0(VALU_DEP_1) | instskip(NEXT) | instid1(VALU_DEP_1)
	v_min_u32_e32 v97, 32, v32
	v_subrev_nc_u32_e32 v32, 28, v97
	v_sub_nc_u32_e32 v97, 29, v97
	s_delay_alu instid0(VALU_DEP_2) | instskip(NEXT) | instid1(VALU_DEP_1)
	v_lshlrev_b64 v[32:33], v32, v[18:19]
	v_and_b32_e32 v32, 7, v32
; %bb.721:                              ;   in Loop: Header=BB464_8 Depth=1
	s_or_b32 exec_lo, exec_lo, s20
	v_lshlrev_b32_e32 v18, 24, v96
	s_delay_alu instid0(VALU_DEP_2) | instskip(SKIP_1) | instid1(VALU_DEP_3)
	v_lshlrev_b32_e32 v32, 20, v32
	v_lshl_add_u32 v33, v97, 23, 0x3c000000
	v_and_b32_e32 v18, 0x80000000, v18
	s_delay_alu instid0(VALU_DEP_1)
	v_or3_b32 v18, v32, v18, v33
.LBB464_722:                            ;   in Loop: Header=BB464_8 Depth=1
	s_or_b32 exec_lo, exec_lo, s19
.LBB464_723:                            ;   in Loop: Header=BB464_8 Depth=1
	s_delay_alu instid0(SALU_CYCLE_1)
	s_or_b32 exec_lo, exec_lo, s18
.LBB464_724:                            ;   in Loop: Header=BB464_8 Depth=1
	s_delay_alu instid0(SALU_CYCLE_1) | instskip(NEXT) | instid1(VALU_DEP_1)
	s_or_b32 exec_lo, exec_lo, s2
	v_mul_f32_e32 v18, v168, v18
                                        ; implicit-def: $vgpr96
	s_delay_alu instid0(VALU_DEP_1) | instskip(NEXT) | instid1(VALU_DEP_1)
	v_and_b32_e32 v32, 0x7f800000, v18
	v_cmp_ne_u32_e64 s1, 0x7f800000, v32
	s_delay_alu instid0(VALU_DEP_1) | instskip(NEXT) | instid1(SALU_CYCLE_1)
	s_and_saveexec_b32 s2, s1
	s_xor_b32 s1, exec_lo, s2
; %bb.725:                              ;   in Loop: Header=BB464_8 Depth=1
	v_bfe_u32 v32, v18, 16, 1
	s_delay_alu instid0(VALU_DEP_1)
	v_add3_u32 v96, v18, v32, 0x7fff
                                        ; implicit-def: $vgpr18
; %bb.726:                              ;   in Loop: Header=BB464_8 Depth=1
	s_and_not1_saveexec_b32 s2, s1
; %bb.727:                              ;   in Loop: Header=BB464_8 Depth=1
	v_and_b32_e32 v32, 0xffff, v18
	v_or_b32_e32 v33, 0x10000, v18
	s_delay_alu instid0(VALU_DEP_2) | instskip(NEXT) | instid1(VALU_DEP_1)
	v_cmp_eq_u32_e64 s1, 0, v32
	v_cndmask_b32_e64 v96, v33, v18, s1
; %bb.728:                              ;   in Loop: Header=BB464_8 Depth=1
	s_or_b32 exec_lo, exec_lo, s2
	v_dual_mov_b32 v18, v31 :: v_dual_and_b32 v33, 0xff, v31
	v_mov_b32_e32 v32, 0
	s_mov_b32 s2, exec_lo
	s_delay_alu instid0(VALU_DEP_2)
	v_cmpx_ne_u16_e32 0, v33
	s_cbranch_execz .LBB464_736
; %bb.729:                              ;   in Loop: Header=BB464_8 Depth=1
	v_bfrev_b32_e32 v32, 1
	s_mov_b32 s18, exec_lo
	v_cmpx_ne_u16_e32 0x80, v33
	s_cbranch_execz .LBB464_735
; %bb.730:                              ;   in Loop: Header=BB464_8 Depth=1
	v_and_b32_e32 v33, 0x7f, v31
	v_mov_b32_e32 v32, 0x7f800001
	s_mov_b32 s19, exec_lo
	s_delay_alu instid0(VALU_DEP_2)
	v_cmpx_ne_u32_e32 0x7f, v33
	s_cbranch_execz .LBB464_734
; %bb.731:                              ;   in Loop: Header=BB464_8 Depth=1
	v_lshrrev_b32_e32 v97, 3, v33
	v_cmp_gt_u32_e64 s1, 8, v33
	v_dual_mov_b32 v33, v19 :: v_dual_mov_b32 v32, v18
	s_delay_alu instid0(VALU_DEP_2)
	s_and_saveexec_b32 s20, s1
; %bb.732:                              ;   in Loop: Header=BB464_8 Depth=1
	v_and_b32_e32 v32, 7, v31
	s_delay_alu instid0(VALU_DEP_1) | instskip(NEXT) | instid1(VALU_DEP_1)
	v_clz_i32_u32_e32 v32, v32
	v_min_u32_e32 v97, 32, v32
	s_delay_alu instid0(VALU_DEP_1) | instskip(SKIP_1) | instid1(VALU_DEP_2)
	v_subrev_nc_u32_e32 v32, 28, v97
	v_sub_nc_u32_e32 v97, 29, v97
	v_lshlrev_b64 v[32:33], v32, v[18:19]
; %bb.733:                              ;   in Loop: Header=BB464_8 Depth=1
	s_or_b32 exec_lo, exec_lo, s20
	s_delay_alu instid0(VALU_DEP_1) | instskip(SKIP_2) | instid1(VALU_DEP_3)
	v_lshlrev_b32_e32 v32, 20, v32
	v_lshlrev_b32_e32 v33, 24, v18
	v_lshl_add_u32 v97, v97, 23, 0x3c000000
	v_and_b32_e32 v32, 0x700000, v32
	s_delay_alu instid0(VALU_DEP_3) | instskip(NEXT) | instid1(VALU_DEP_1)
	v_and_b32_e32 v33, 0x80000000, v33
	v_or3_b32 v32, v32, v33, v97
.LBB464_734:                            ;   in Loop: Header=BB464_8 Depth=1
	s_or_b32 exec_lo, exec_lo, s19
.LBB464_735:                            ;   in Loop: Header=BB464_8 Depth=1
	s_delay_alu instid0(SALU_CYCLE_1)
	s_or_b32 exec_lo, exec_lo, s18
.LBB464_736:                            ;   in Loop: Header=BB464_8 Depth=1
	s_delay_alu instid0(SALU_CYCLE_1) | instskip(NEXT) | instid1(VALU_DEP_1)
	s_or_b32 exec_lo, exec_lo, s2
	v_mul_f32_e32 v32, v168, v32
                                        ; implicit-def: $vgpr97
	s_delay_alu instid0(VALU_DEP_1) | instskip(NEXT) | instid1(VALU_DEP_1)
	v_and_b32_e32 v33, 0x7f800000, v32
	v_cmp_ne_u32_e64 s1, 0x7f800000, v33
	s_delay_alu instid0(VALU_DEP_1) | instskip(NEXT) | instid1(SALU_CYCLE_1)
	s_and_saveexec_b32 s2, s1
	s_xor_b32 s1, exec_lo, s2
; %bb.737:                              ;   in Loop: Header=BB464_8 Depth=1
	v_bfe_u32 v33, v32, 16, 1
	s_delay_alu instid0(VALU_DEP_1)
	v_add3_u32 v97, v32, v33, 0x7fff
                                        ; implicit-def: $vgpr32
; %bb.738:                              ;   in Loop: Header=BB464_8 Depth=1
	s_and_not1_saveexec_b32 s2, s1
; %bb.739:                              ;   in Loop: Header=BB464_8 Depth=1
	v_and_b32_e32 v33, 0xffff, v32
	v_or_b32_e32 v97, 0x10000, v32
	s_delay_alu instid0(VALU_DEP_2) | instskip(NEXT) | instid1(VALU_DEP_1)
	v_cmp_eq_u32_e64 s1, 0, v33
	v_cndmask_b32_e64 v97, v97, v32, s1
; %bb.740:                              ;   in Loop: Header=BB464_8 Depth=1
	s_or_b32 exec_lo, exec_lo, s2
	v_lshrrev_b16 v33, 8, v18
	v_mov_b32_e32 v32, 0
	s_mov_b32 s2, exec_lo
	s_delay_alu instid0(VALU_DEP_2)
	v_cmpx_ne_u16_e32 0, v33
	s_cbranch_execz .LBB464_748
; %bb.741:                              ;   in Loop: Header=BB464_8 Depth=1
	v_bfrev_b32_e32 v32, 1
	s_mov_b32 s18, exec_lo
	v_cmpx_ne_u16_e32 0x80, v33
	s_cbranch_execz .LBB464_747
; %bb.742:                              ;   in Loop: Header=BB464_8 Depth=1
	v_and_b32_e32 v33, 0xffff, v33
	v_mov_b32_e32 v32, 0x7f800001
	s_mov_b32 s19, exec_lo
	s_delay_alu instid0(VALU_DEP_2) | instskip(NEXT) | instid1(VALU_DEP_1)
	v_and_b32_e32 v99, 0x7f, v33
	v_cmpx_ne_u32_e32 0x7f, v99
	s_cbranch_execz .LBB464_746
; %bb.743:                              ;   in Loop: Header=BB464_8 Depth=1
	v_dual_mov_b32 v33, v19 :: v_dual_and_b32 v32, 7, v33
	v_lshrrev_b32_e32 v98, 3, v99
	s_mov_b32 s20, exec_lo
	v_cmpx_gt_u32_e32 8, v99
; %bb.744:                              ;   in Loop: Header=BB464_8 Depth=1
	s_delay_alu instid0(VALU_DEP_3) | instskip(NEXT) | instid1(VALU_DEP_1)
	v_clz_i32_u32_e32 v98, v32
	v_min_u32_e32 v98, 32, v98
	s_delay_alu instid0(VALU_DEP_1) | instskip(SKIP_1) | instid1(VALU_DEP_2)
	v_subrev_nc_u32_e32 v99, 28, v98
	v_sub_nc_u32_e32 v98, 29, v98
	v_lshlrev_b64 v[32:33], v99, v[32:33]
	s_delay_alu instid0(VALU_DEP_1)
	v_and_b32_e32 v32, 7, v32
; %bb.745:                              ;   in Loop: Header=BB464_8 Depth=1
	s_or_b32 exec_lo, exec_lo, s20
	v_lshlrev_b32_e32 v18, 16, v18
	s_delay_alu instid0(VALU_DEP_2) | instskip(SKIP_1) | instid1(VALU_DEP_3)
	v_lshlrev_b32_e32 v32, 20, v32
	v_lshl_add_u32 v33, v98, 23, 0x3c000000
	v_and_b32_e32 v18, 0x80000000, v18
	s_delay_alu instid0(VALU_DEP_1)
	v_or3_b32 v32, v32, v18, v33
.LBB464_746:                            ;   in Loop: Header=BB464_8 Depth=1
	s_or_b32 exec_lo, exec_lo, s19
.LBB464_747:                            ;   in Loop: Header=BB464_8 Depth=1
	s_delay_alu instid0(SALU_CYCLE_1)
	s_or_b32 exec_lo, exec_lo, s18
.LBB464_748:                            ;   in Loop: Header=BB464_8 Depth=1
	s_delay_alu instid0(SALU_CYCLE_1) | instskip(NEXT) | instid1(VALU_DEP_1)
	s_or_b32 exec_lo, exec_lo, s2
	v_mul_f32_e32 v18, v168, v32
                                        ; implicit-def: $vgpr98
	s_delay_alu instid0(VALU_DEP_1) | instskip(NEXT) | instid1(VALU_DEP_1)
	v_and_b32_e32 v32, 0x7f800000, v18
	v_cmp_ne_u32_e64 s1, 0x7f800000, v32
	s_delay_alu instid0(VALU_DEP_1) | instskip(NEXT) | instid1(SALU_CYCLE_1)
	s_and_saveexec_b32 s2, s1
	s_xor_b32 s1, exec_lo, s2
; %bb.749:                              ;   in Loop: Header=BB464_8 Depth=1
	v_bfe_u32 v32, v18, 16, 1
	s_delay_alu instid0(VALU_DEP_1)
	v_add3_u32 v98, v18, v32, 0x7fff
                                        ; implicit-def: $vgpr18
; %bb.750:                              ;   in Loop: Header=BB464_8 Depth=1
	s_and_not1_saveexec_b32 s2, s1
; %bb.751:                              ;   in Loop: Header=BB464_8 Depth=1
	v_and_b32_e32 v32, 0xffff, v18
	v_or_b32_e32 v33, 0x10000, v18
	s_delay_alu instid0(VALU_DEP_2) | instskip(NEXT) | instid1(VALU_DEP_1)
	v_cmp_eq_u32_e64 s1, 0, v32
	v_cndmask_b32_e64 v98, v33, v18, s1
; %bb.752:                              ;   in Loop: Header=BB464_8 Depth=1
	s_or_b32 exec_lo, exec_lo, s2
	v_lshrrev_b32_e32 v99, 16, v31
	v_mov_b32_e32 v18, 0
	s_mov_b32 s2, exec_lo
	s_delay_alu instid0(VALU_DEP_2) | instskip(NEXT) | instid1(VALU_DEP_1)
	v_and_b32_e32 v32, 0xff, v99
	v_cmpx_ne_u16_e32 0, v32
	s_cbranch_execz .LBB464_760
; %bb.753:                              ;   in Loop: Header=BB464_8 Depth=1
	v_bfrev_b32_e32 v18, 1
	s_mov_b32 s18, exec_lo
	v_cmpx_ne_u16_e32 0x80, v32
	s_cbranch_execz .LBB464_759
; %bb.754:                              ;   in Loop: Header=BB464_8 Depth=1
	v_bfe_u32 v32, v31, 16, 7
	v_mov_b32_e32 v18, 0x7f800001
	s_mov_b32 s19, exec_lo
	s_delay_alu instid0(VALU_DEP_2)
	v_cmpx_ne_u32_e32 0x7f, v32
	s_cbranch_execz .LBB464_758
; %bb.755:                              ;   in Loop: Header=BB464_8 Depth=1
	v_and_b32_e32 v18, 7, v99
	v_lshrrev_b32_e32 v100, 3, v32
	v_cmp_gt_u32_e64 s1, 8, v32
	s_delay_alu instid0(VALU_DEP_3) | instskip(NEXT) | instid1(VALU_DEP_2)
	v_dual_mov_b32 v33, v19 :: v_dual_mov_b32 v32, v18
	s_and_saveexec_b32 s20, s1
; %bb.756:                              ;   in Loop: Header=BB464_8 Depth=1
	v_clz_i32_u32_e32 v32, v18
	s_delay_alu instid0(VALU_DEP_1) | instskip(NEXT) | instid1(VALU_DEP_1)
	v_min_u32_e32 v100, 32, v32
	v_subrev_nc_u32_e32 v32, 28, v100
	v_sub_nc_u32_e32 v100, 29, v100
	s_delay_alu instid0(VALU_DEP_2) | instskip(NEXT) | instid1(VALU_DEP_1)
	v_lshlrev_b64 v[32:33], v32, v[18:19]
	v_and_b32_e32 v32, 7, v32
; %bb.757:                              ;   in Loop: Header=BB464_8 Depth=1
	s_or_b32 exec_lo, exec_lo, s20
	v_lshlrev_b32_e32 v18, 24, v99
	s_delay_alu instid0(VALU_DEP_2) | instskip(SKIP_1) | instid1(VALU_DEP_3)
	v_lshlrev_b32_e32 v32, 20, v32
	v_lshl_add_u32 v33, v100, 23, 0x3c000000
	v_and_b32_e32 v18, 0x80000000, v18
	s_delay_alu instid0(VALU_DEP_1)
	v_or3_b32 v18, v32, v18, v33
.LBB464_758:                            ;   in Loop: Header=BB464_8 Depth=1
	s_or_b32 exec_lo, exec_lo, s19
.LBB464_759:                            ;   in Loop: Header=BB464_8 Depth=1
	s_delay_alu instid0(SALU_CYCLE_1)
	s_or_b32 exec_lo, exec_lo, s18
.LBB464_760:                            ;   in Loop: Header=BB464_8 Depth=1
	s_delay_alu instid0(SALU_CYCLE_1) | instskip(NEXT) | instid1(VALU_DEP_1)
	s_or_b32 exec_lo, exec_lo, s2
	v_mul_f32_e32 v18, v168, v18
                                        ; implicit-def: $vgpr99
	s_delay_alu instid0(VALU_DEP_1) | instskip(NEXT) | instid1(VALU_DEP_1)
	v_and_b32_e32 v32, 0x7f800000, v18
	v_cmp_ne_u32_e64 s1, 0x7f800000, v32
	s_delay_alu instid0(VALU_DEP_1) | instskip(NEXT) | instid1(SALU_CYCLE_1)
	s_and_saveexec_b32 s2, s1
	s_xor_b32 s1, exec_lo, s2
; %bb.761:                              ;   in Loop: Header=BB464_8 Depth=1
	v_bfe_u32 v32, v18, 16, 1
	s_delay_alu instid0(VALU_DEP_1)
	v_add3_u32 v99, v18, v32, 0x7fff
                                        ; implicit-def: $vgpr18
; %bb.762:                              ;   in Loop: Header=BB464_8 Depth=1
	s_and_not1_saveexec_b32 s2, s1
; %bb.763:                              ;   in Loop: Header=BB464_8 Depth=1
	v_and_b32_e32 v32, 0xffff, v18
	v_or_b32_e32 v33, 0x10000, v18
	s_delay_alu instid0(VALU_DEP_2) | instskip(NEXT) | instid1(VALU_DEP_1)
	v_cmp_eq_u32_e64 s1, 0, v32
	v_cndmask_b32_e64 v99, v33, v18, s1
; %bb.764:                              ;   in Loop: Header=BB464_8 Depth=1
	s_or_b32 exec_lo, exec_lo, s2
	v_mov_b32_e32 v18, 0
	s_mov_b32 s2, exec_lo
	v_cmpx_lt_u64_e64 s[8:9], v[30:31]
	s_cbranch_execz .LBB464_772
; %bb.765:                              ;   in Loop: Header=BB464_8 Depth=1
	v_lshrrev_b32_e32 v32, 24, v31
	v_bfrev_b32_e32 v18, 1
	s_mov_b32 s18, exec_lo
	s_delay_alu instid0(VALU_DEP_2)
	v_cmpx_ne_u32_e32 0x80, v32
	s_cbranch_execz .LBB464_771
; %bb.766:                              ;   in Loop: Header=BB464_8 Depth=1
	v_bfe_u32 v30, v31, 24, 7
	v_mov_b32_e32 v18, 0x7f800001
	s_mov_b32 s19, exec_lo
	s_delay_alu instid0(VALU_DEP_2)
	v_cmpx_ne_u32_e32 0x7f, v30
	s_cbranch_execz .LBB464_770
; %bb.767:                              ;   in Loop: Header=BB464_8 Depth=1
	v_and_b32_e32 v18, 7, v32
	v_lshrrev_b32_e32 v33, 3, v30
	v_cmp_gt_u32_e64 s1, 8, v30
	s_delay_alu instid0(VALU_DEP_3) | instskip(NEXT) | instid1(VALU_DEP_2)
	v_dual_mov_b32 v31, v19 :: v_dual_mov_b32 v30, v18
	s_and_saveexec_b32 s20, s1
; %bb.768:                              ;   in Loop: Header=BB464_8 Depth=1
	v_clz_i32_u32_e32 v30, v18
	s_delay_alu instid0(VALU_DEP_1) | instskip(NEXT) | instid1(VALU_DEP_1)
	v_min_u32_e32 v33, 32, v30
	v_subrev_nc_u32_e32 v30, 28, v33
	v_sub_nc_u32_e32 v33, 29, v33
	s_delay_alu instid0(VALU_DEP_2) | instskip(NEXT) | instid1(VALU_DEP_1)
	v_lshlrev_b64 v[30:31], v30, v[18:19]
	v_and_b32_e32 v30, 7, v30
; %bb.769:                              ;   in Loop: Header=BB464_8 Depth=1
	s_or_b32 exec_lo, exec_lo, s20
	v_lshlrev_b32_e32 v18, 24, v32
	s_delay_alu instid0(VALU_DEP_2) | instskip(SKIP_1) | instid1(VALU_DEP_3)
	v_lshlrev_b32_e32 v30, 20, v30
	v_lshl_add_u32 v31, v33, 23, 0x3c000000
	v_and_b32_e32 v18, 0x80000000, v18
	s_delay_alu instid0(VALU_DEP_1)
	v_or3_b32 v18, v30, v18, v31
.LBB464_770:                            ;   in Loop: Header=BB464_8 Depth=1
	s_or_b32 exec_lo, exec_lo, s19
.LBB464_771:                            ;   in Loop: Header=BB464_8 Depth=1
	s_delay_alu instid0(SALU_CYCLE_1)
	s_or_b32 exec_lo, exec_lo, s18
.LBB464_772:                            ;   in Loop: Header=BB464_8 Depth=1
	s_delay_alu instid0(SALU_CYCLE_1) | instskip(NEXT) | instid1(VALU_DEP_1)
	s_or_b32 exec_lo, exec_lo, s2
	v_mul_f32_e32 v18, v168, v18
                                        ; implicit-def: $vgpr100
	s_delay_alu instid0(VALU_DEP_1) | instskip(NEXT) | instid1(VALU_DEP_1)
	v_and_b32_e32 v30, 0x7f800000, v18
	v_cmp_ne_u32_e64 s1, 0x7f800000, v30
	s_delay_alu instid0(VALU_DEP_1) | instskip(NEXT) | instid1(SALU_CYCLE_1)
	s_and_saveexec_b32 s2, s1
	s_xor_b32 s1, exec_lo, s2
; %bb.773:                              ;   in Loop: Header=BB464_8 Depth=1
	v_bfe_u32 v30, v18, 16, 1
	s_delay_alu instid0(VALU_DEP_1)
	v_add3_u32 v100, v18, v30, 0x7fff
                                        ; implicit-def: $vgpr18
; %bb.774:                              ;   in Loop: Header=BB464_8 Depth=1
	s_and_not1_saveexec_b32 s2, s1
; %bb.775:                              ;   in Loop: Header=BB464_8 Depth=1
	v_and_b32_e32 v30, 0xffff, v18
	v_or_b32_e32 v31, 0x10000, v18
	s_delay_alu instid0(VALU_DEP_2) | instskip(NEXT) | instid1(VALU_DEP_1)
	v_cmp_eq_u32_e64 s1, 0, v30
	v_cndmask_b32_e64 v100, v31, v18, s1
; %bb.776:                              ;   in Loop: Header=BB464_8 Depth=1
	s_or_b32 exec_lo, exec_lo, s2
	flat_load_b64 v[30:31], v[28:29] offset:2048
	v_mov_b32_e32 v18, 0
	s_mov_b32 s2, exec_lo
	s_waitcnt vmcnt(0) lgkmcnt(0)
	v_and_b32_e32 v32, 0xff, v30
	s_delay_alu instid0(VALU_DEP_1)
	v_cmpx_ne_u16_e32 0, v32
	s_cbranch_execz .LBB464_784
; %bb.777:                              ;   in Loop: Header=BB464_8 Depth=1
	v_bfrev_b32_e32 v18, 1
	s_mov_b32 s18, exec_lo
	v_cmpx_ne_u16_e32 0x80, v32
	s_cbranch_execz .LBB464_783
; %bb.778:                              ;   in Loop: Header=BB464_8 Depth=1
	v_and_b32_e32 v32, 0x7f, v30
	v_mov_b32_e32 v18, 0x7f800001
	s_mov_b32 s19, exec_lo
	s_delay_alu instid0(VALU_DEP_2)
	v_cmpx_ne_u32_e32 0x7f, v32
	s_cbranch_execz .LBB464_782
; %bb.779:                              ;   in Loop: Header=BB464_8 Depth=1
	v_lshrrev_b32_e32 v18, 3, v32
	v_cmp_gt_u32_e64 s1, 8, v32
	v_dual_mov_b32 v33, v31 :: v_dual_mov_b32 v32, v30
	s_delay_alu instid0(VALU_DEP_2)
	s_and_saveexec_b32 s20, s1
; %bb.780:                              ;   in Loop: Header=BB464_8 Depth=1
	v_and_b32_e32 v18, 7, v30
	s_delay_alu instid0(VALU_DEP_1) | instskip(NEXT) | instid1(VALU_DEP_1)
	v_clz_i32_u32_e32 v18, v18
	v_min_u32_e32 v18, 32, v18
	s_delay_alu instid0(VALU_DEP_1) | instskip(SKIP_1) | instid1(VALU_DEP_2)
	v_subrev_nc_u32_e32 v32, 28, v18
	v_sub_nc_u32_e32 v18, 29, v18
	v_lshlrev_b64 v[32:33], v32, v[30:31]
; %bb.781:                              ;   in Loop: Header=BB464_8 Depth=1
	s_or_b32 exec_lo, exec_lo, s20
	s_delay_alu instid0(VALU_DEP_1) | instskip(SKIP_2) | instid1(VALU_DEP_3)
	v_lshlrev_b32_e32 v32, 20, v32
	v_lshlrev_b32_e32 v33, 24, v30
	v_lshl_add_u32 v18, v18, 23, 0x3c000000
	v_and_b32_e32 v32, 0x700000, v32
	s_delay_alu instid0(VALU_DEP_3) | instskip(NEXT) | instid1(VALU_DEP_1)
	v_and_b32_e32 v33, 0x80000000, v33
	v_or3_b32 v18, v32, v33, v18
.LBB464_782:                            ;   in Loop: Header=BB464_8 Depth=1
	s_or_b32 exec_lo, exec_lo, s19
.LBB464_783:                            ;   in Loop: Header=BB464_8 Depth=1
	s_delay_alu instid0(SALU_CYCLE_1)
	s_or_b32 exec_lo, exec_lo, s18
.LBB464_784:                            ;   in Loop: Header=BB464_8 Depth=1
	s_delay_alu instid0(SALU_CYCLE_1) | instskip(NEXT) | instid1(VALU_DEP_1)
	s_or_b32 exec_lo, exec_lo, s2
	v_mul_f32_e32 v18, v168, v18
                                        ; implicit-def: $vgpr101
	s_delay_alu instid0(VALU_DEP_1) | instskip(NEXT) | instid1(VALU_DEP_1)
	v_and_b32_e32 v32, 0x7f800000, v18
	v_cmp_ne_u32_e64 s1, 0x7f800000, v32
	s_delay_alu instid0(VALU_DEP_1) | instskip(NEXT) | instid1(SALU_CYCLE_1)
	s_and_saveexec_b32 s2, s1
	s_xor_b32 s1, exec_lo, s2
; %bb.785:                              ;   in Loop: Header=BB464_8 Depth=1
	v_bfe_u32 v32, v18, 16, 1
	s_delay_alu instid0(VALU_DEP_1)
	v_add3_u32 v101, v18, v32, 0x7fff
                                        ; implicit-def: $vgpr18
; %bb.786:                              ;   in Loop: Header=BB464_8 Depth=1
	s_and_not1_saveexec_b32 s2, s1
; %bb.787:                              ;   in Loop: Header=BB464_8 Depth=1
	v_and_b32_e32 v32, 0xffff, v18
	v_or_b32_e32 v33, 0x10000, v18
	s_delay_alu instid0(VALU_DEP_2) | instskip(NEXT) | instid1(VALU_DEP_1)
	v_cmp_eq_u32_e64 s1, 0, v32
	v_cndmask_b32_e64 v101, v33, v18, s1
; %bb.788:                              ;   in Loop: Header=BB464_8 Depth=1
	s_or_b32 exec_lo, exec_lo, s2
	v_lshrrev_b16 v32, 8, v30
	v_mov_b32_e32 v18, 0
	s_mov_b32 s2, exec_lo
	s_delay_alu instid0(VALU_DEP_2)
	v_cmpx_ne_u16_e32 0, v32
	s_cbranch_execz .LBB464_796
; %bb.789:                              ;   in Loop: Header=BB464_8 Depth=1
	v_bfrev_b32_e32 v18, 1
	s_mov_b32 s18, exec_lo
	v_cmpx_ne_u16_e32 0x80, v32
	s_cbranch_execz .LBB464_795
; %bb.790:                              ;   in Loop: Header=BB464_8 Depth=1
	v_and_b32_e32 v33, 0xffff, v32
	v_mov_b32_e32 v18, 0x7f800001
	s_mov_b32 s19, exec_lo
	s_delay_alu instid0(VALU_DEP_2) | instskip(NEXT) | instid1(VALU_DEP_1)
	v_and_b32_e32 v32, 0x7f, v33
	v_cmpx_ne_u32_e32 0x7f, v32
	s_cbranch_execz .LBB464_794
; %bb.791:                              ;   in Loop: Header=BB464_8 Depth=1
	v_and_b32_e32 v18, 7, v33
	v_lshrrev_b32_e32 v102, 3, v32
	v_cmp_gt_u32_e64 s1, 8, v32
	s_delay_alu instid0(VALU_DEP_3) | instskip(NEXT) | instid1(VALU_DEP_2)
	v_dual_mov_b32 v33, v19 :: v_dual_mov_b32 v32, v18
	s_and_saveexec_b32 s20, s1
; %bb.792:                              ;   in Loop: Header=BB464_8 Depth=1
	v_clz_i32_u32_e32 v32, v18
	s_delay_alu instid0(VALU_DEP_1) | instskip(NEXT) | instid1(VALU_DEP_1)
	v_min_u32_e32 v102, 32, v32
	v_subrev_nc_u32_e32 v32, 28, v102
	v_sub_nc_u32_e32 v102, 29, v102
	s_delay_alu instid0(VALU_DEP_2) | instskip(NEXT) | instid1(VALU_DEP_1)
	v_lshlrev_b64 v[32:33], v32, v[18:19]
	v_and_b32_e32 v32, 7, v32
; %bb.793:                              ;   in Loop: Header=BB464_8 Depth=1
	s_or_b32 exec_lo, exec_lo, s20
	v_lshlrev_b32_e32 v18, 16, v30
	s_delay_alu instid0(VALU_DEP_2) | instskip(SKIP_1) | instid1(VALU_DEP_3)
	v_lshlrev_b32_e32 v32, 20, v32
	v_lshl_add_u32 v33, v102, 23, 0x3c000000
	v_and_b32_e32 v18, 0x80000000, v18
	s_delay_alu instid0(VALU_DEP_1)
	v_or3_b32 v18, v32, v18, v33
.LBB464_794:                            ;   in Loop: Header=BB464_8 Depth=1
	s_or_b32 exec_lo, exec_lo, s19
.LBB464_795:                            ;   in Loop: Header=BB464_8 Depth=1
	s_delay_alu instid0(SALU_CYCLE_1)
	s_or_b32 exec_lo, exec_lo, s18
.LBB464_796:                            ;   in Loop: Header=BB464_8 Depth=1
	s_delay_alu instid0(SALU_CYCLE_1) | instskip(NEXT) | instid1(VALU_DEP_1)
	s_or_b32 exec_lo, exec_lo, s2
	v_mul_f32_e32 v18, v168, v18
                                        ; implicit-def: $vgpr102
	s_delay_alu instid0(VALU_DEP_1) | instskip(NEXT) | instid1(VALU_DEP_1)
	v_and_b32_e32 v32, 0x7f800000, v18
	v_cmp_ne_u32_e64 s1, 0x7f800000, v32
	s_delay_alu instid0(VALU_DEP_1) | instskip(NEXT) | instid1(SALU_CYCLE_1)
	s_and_saveexec_b32 s2, s1
	s_xor_b32 s1, exec_lo, s2
; %bb.797:                              ;   in Loop: Header=BB464_8 Depth=1
	v_bfe_u32 v32, v18, 16, 1
	s_delay_alu instid0(VALU_DEP_1)
	v_add3_u32 v102, v18, v32, 0x7fff
                                        ; implicit-def: $vgpr18
; %bb.798:                              ;   in Loop: Header=BB464_8 Depth=1
	s_and_not1_saveexec_b32 s2, s1
; %bb.799:                              ;   in Loop: Header=BB464_8 Depth=1
	v_and_b32_e32 v32, 0xffff, v18
	v_or_b32_e32 v33, 0x10000, v18
	s_delay_alu instid0(VALU_DEP_2) | instskip(NEXT) | instid1(VALU_DEP_1)
	v_cmp_eq_u32_e64 s1, 0, v32
	v_cndmask_b32_e64 v102, v33, v18, s1
; %bb.800:                              ;   in Loop: Header=BB464_8 Depth=1
	s_or_b32 exec_lo, exec_lo, s2
	v_lshrrev_b32_e32 v103, 16, v30
	v_mov_b32_e32 v18, 0
	s_mov_b32 s2, exec_lo
	s_delay_alu instid0(VALU_DEP_2) | instskip(NEXT) | instid1(VALU_DEP_1)
	v_and_b32_e32 v32, 0xff, v103
	v_cmpx_ne_u16_e32 0, v32
	s_cbranch_execz .LBB464_808
; %bb.801:                              ;   in Loop: Header=BB464_8 Depth=1
	v_bfrev_b32_e32 v18, 1
	s_mov_b32 s18, exec_lo
	v_cmpx_ne_u16_e32 0x80, v32
	s_cbranch_execz .LBB464_807
; %bb.802:                              ;   in Loop: Header=BB464_8 Depth=1
	v_bfe_u32 v32, v30, 16, 7
	v_mov_b32_e32 v18, 0x7f800001
	s_mov_b32 s19, exec_lo
	s_delay_alu instid0(VALU_DEP_2)
	v_cmpx_ne_u32_e32 0x7f, v32
	s_cbranch_execz .LBB464_806
; %bb.803:                              ;   in Loop: Header=BB464_8 Depth=1
	v_and_b32_e32 v18, 7, v103
	v_lshrrev_b32_e32 v112, 3, v32
	v_cmp_gt_u32_e64 s1, 8, v32
	s_delay_alu instid0(VALU_DEP_3) | instskip(NEXT) | instid1(VALU_DEP_2)
	v_dual_mov_b32 v33, v19 :: v_dual_mov_b32 v32, v18
	s_and_saveexec_b32 s20, s1
; %bb.804:                              ;   in Loop: Header=BB464_8 Depth=1
	v_clz_i32_u32_e32 v32, v18
	s_delay_alu instid0(VALU_DEP_1) | instskip(NEXT) | instid1(VALU_DEP_1)
	v_min_u32_e32 v112, 32, v32
	v_subrev_nc_u32_e32 v32, 28, v112
	v_sub_nc_u32_e32 v112, 29, v112
	s_delay_alu instid0(VALU_DEP_2) | instskip(NEXT) | instid1(VALU_DEP_1)
	v_lshlrev_b64 v[32:33], v32, v[18:19]
	v_and_b32_e32 v32, 7, v32
; %bb.805:                              ;   in Loop: Header=BB464_8 Depth=1
	s_or_b32 exec_lo, exec_lo, s20
	v_lshlrev_b32_e32 v18, 24, v103
	s_delay_alu instid0(VALU_DEP_2) | instskip(SKIP_1) | instid1(VALU_DEP_3)
	v_lshlrev_b32_e32 v32, 20, v32
	v_lshl_add_u32 v33, v112, 23, 0x3c000000
	v_and_b32_e32 v18, 0x80000000, v18
	s_delay_alu instid0(VALU_DEP_1)
	v_or3_b32 v18, v32, v18, v33
.LBB464_806:                            ;   in Loop: Header=BB464_8 Depth=1
	s_or_b32 exec_lo, exec_lo, s19
.LBB464_807:                            ;   in Loop: Header=BB464_8 Depth=1
	s_delay_alu instid0(SALU_CYCLE_1)
	s_or_b32 exec_lo, exec_lo, s18
.LBB464_808:                            ;   in Loop: Header=BB464_8 Depth=1
	s_delay_alu instid0(SALU_CYCLE_1) | instskip(NEXT) | instid1(VALU_DEP_1)
	s_or_b32 exec_lo, exec_lo, s2
	v_mul_f32_e32 v18, v168, v18
                                        ; implicit-def: $vgpr103
	s_delay_alu instid0(VALU_DEP_1) | instskip(NEXT) | instid1(VALU_DEP_1)
	v_and_b32_e32 v32, 0x7f800000, v18
	v_cmp_ne_u32_e64 s1, 0x7f800000, v32
	s_delay_alu instid0(VALU_DEP_1) | instskip(NEXT) | instid1(SALU_CYCLE_1)
	s_and_saveexec_b32 s2, s1
	s_xor_b32 s1, exec_lo, s2
; %bb.809:                              ;   in Loop: Header=BB464_8 Depth=1
	v_bfe_u32 v32, v18, 16, 1
	s_delay_alu instid0(VALU_DEP_1)
	v_add3_u32 v103, v18, v32, 0x7fff
                                        ; implicit-def: $vgpr18
; %bb.810:                              ;   in Loop: Header=BB464_8 Depth=1
	s_and_not1_saveexec_b32 s2, s1
; %bb.811:                              ;   in Loop: Header=BB464_8 Depth=1
	v_and_b32_e32 v32, 0xffff, v18
	v_or_b32_e32 v33, 0x10000, v18
	s_delay_alu instid0(VALU_DEP_2) | instskip(NEXT) | instid1(VALU_DEP_1)
	v_cmp_eq_u32_e64 s1, 0, v32
	v_cndmask_b32_e64 v103, v33, v18, s1
; %bb.812:                              ;   in Loop: Header=BB464_8 Depth=1
	s_or_b32 exec_lo, exec_lo, s2
	v_mov_b32_e32 v18, 0
	s_mov_b32 s2, exec_lo
	v_cmpx_lt_u32_e32 0xffffff, v30
	s_cbranch_execz .LBB464_820
; %bb.813:                              ;   in Loop: Header=BB464_8 Depth=1
	v_lshrrev_b32_e32 v112, 24, v30
	v_bfrev_b32_e32 v18, 1
	s_mov_b32 s18, exec_lo
	s_delay_alu instid0(VALU_DEP_2)
	v_cmpx_ne_u32_e32 0x80, v112
	s_cbranch_execz .LBB464_819
; %bb.814:                              ;   in Loop: Header=BB464_8 Depth=1
	v_bfe_u32 v32, v30, 24, 7
	v_mov_b32_e32 v18, 0x7f800001
	s_mov_b32 s19, exec_lo
	s_delay_alu instid0(VALU_DEP_2)
	v_cmpx_ne_u32_e32 0x7f, v32
	s_cbranch_execz .LBB464_818
; %bb.815:                              ;   in Loop: Header=BB464_8 Depth=1
	v_and_b32_e32 v18, 7, v112
	v_lshrrev_b32_e32 v113, 3, v32
	v_cmp_gt_u32_e64 s1, 8, v32
	s_delay_alu instid0(VALU_DEP_3) | instskip(NEXT) | instid1(VALU_DEP_2)
	v_dual_mov_b32 v33, v19 :: v_dual_mov_b32 v32, v18
	s_and_saveexec_b32 s20, s1
; %bb.816:                              ;   in Loop: Header=BB464_8 Depth=1
	v_clz_i32_u32_e32 v32, v18
	s_delay_alu instid0(VALU_DEP_1) | instskip(NEXT) | instid1(VALU_DEP_1)
	v_min_u32_e32 v113, 32, v32
	v_subrev_nc_u32_e32 v32, 28, v113
	v_sub_nc_u32_e32 v113, 29, v113
	s_delay_alu instid0(VALU_DEP_2) | instskip(NEXT) | instid1(VALU_DEP_1)
	v_lshlrev_b64 v[32:33], v32, v[18:19]
	v_and_b32_e32 v32, 7, v32
; %bb.817:                              ;   in Loop: Header=BB464_8 Depth=1
	s_or_b32 exec_lo, exec_lo, s20
	v_lshlrev_b32_e32 v18, 24, v112
	s_delay_alu instid0(VALU_DEP_2) | instskip(SKIP_1) | instid1(VALU_DEP_3)
	v_lshlrev_b32_e32 v32, 20, v32
	v_lshl_add_u32 v33, v113, 23, 0x3c000000
	v_and_b32_e32 v18, 0x80000000, v18
	s_delay_alu instid0(VALU_DEP_1)
	v_or3_b32 v18, v32, v18, v33
.LBB464_818:                            ;   in Loop: Header=BB464_8 Depth=1
	s_or_b32 exec_lo, exec_lo, s19
.LBB464_819:                            ;   in Loop: Header=BB464_8 Depth=1
	s_delay_alu instid0(SALU_CYCLE_1)
	s_or_b32 exec_lo, exec_lo, s18
.LBB464_820:                            ;   in Loop: Header=BB464_8 Depth=1
	s_delay_alu instid0(SALU_CYCLE_1) | instskip(NEXT) | instid1(VALU_DEP_1)
	s_or_b32 exec_lo, exec_lo, s2
	v_mul_f32_e32 v18, v168, v18
                                        ; implicit-def: $vgpr112
	s_delay_alu instid0(VALU_DEP_1) | instskip(NEXT) | instid1(VALU_DEP_1)
	v_and_b32_e32 v32, 0x7f800000, v18
	v_cmp_ne_u32_e64 s1, 0x7f800000, v32
	s_delay_alu instid0(VALU_DEP_1) | instskip(NEXT) | instid1(SALU_CYCLE_1)
	s_and_saveexec_b32 s2, s1
	s_xor_b32 s1, exec_lo, s2
; %bb.821:                              ;   in Loop: Header=BB464_8 Depth=1
	v_bfe_u32 v32, v18, 16, 1
	s_delay_alu instid0(VALU_DEP_1)
	v_add3_u32 v112, v18, v32, 0x7fff
                                        ; implicit-def: $vgpr18
; %bb.822:                              ;   in Loop: Header=BB464_8 Depth=1
	s_and_not1_saveexec_b32 s2, s1
; %bb.823:                              ;   in Loop: Header=BB464_8 Depth=1
	v_and_b32_e32 v32, 0xffff, v18
	v_or_b32_e32 v33, 0x10000, v18
	s_delay_alu instid0(VALU_DEP_2) | instskip(NEXT) | instid1(VALU_DEP_1)
	v_cmp_eq_u32_e64 s1, 0, v32
	v_cndmask_b32_e64 v112, v33, v18, s1
; %bb.824:                              ;   in Loop: Header=BB464_8 Depth=1
	s_or_b32 exec_lo, exec_lo, s2
	v_dual_mov_b32 v18, v31 :: v_dual_and_b32 v33, 0xff, v31
	v_mov_b32_e32 v32, 0
	s_mov_b32 s2, exec_lo
	s_delay_alu instid0(VALU_DEP_2)
	v_cmpx_ne_u16_e32 0, v33
	s_cbranch_execz .LBB464_832
; %bb.825:                              ;   in Loop: Header=BB464_8 Depth=1
	v_bfrev_b32_e32 v32, 1
	s_mov_b32 s18, exec_lo
	v_cmpx_ne_u16_e32 0x80, v33
	s_cbranch_execz .LBB464_831
; %bb.826:                              ;   in Loop: Header=BB464_8 Depth=1
	v_and_b32_e32 v33, 0x7f, v31
	v_mov_b32_e32 v32, 0x7f800001
	s_mov_b32 s19, exec_lo
	s_delay_alu instid0(VALU_DEP_2)
	v_cmpx_ne_u32_e32 0x7f, v33
	s_cbranch_execz .LBB464_830
; %bb.827:                              ;   in Loop: Header=BB464_8 Depth=1
	v_lshrrev_b32_e32 v113, 3, v33
	v_cmp_gt_u32_e64 s1, 8, v33
	v_dual_mov_b32 v33, v19 :: v_dual_mov_b32 v32, v18
	s_delay_alu instid0(VALU_DEP_2)
	s_and_saveexec_b32 s20, s1
; %bb.828:                              ;   in Loop: Header=BB464_8 Depth=1
	v_and_b32_e32 v32, 7, v31
	s_delay_alu instid0(VALU_DEP_1) | instskip(NEXT) | instid1(VALU_DEP_1)
	v_clz_i32_u32_e32 v32, v32
	v_min_u32_e32 v113, 32, v32
	s_delay_alu instid0(VALU_DEP_1) | instskip(SKIP_1) | instid1(VALU_DEP_2)
	v_subrev_nc_u32_e32 v32, 28, v113
	v_sub_nc_u32_e32 v113, 29, v113
	v_lshlrev_b64 v[32:33], v32, v[18:19]
; %bb.829:                              ;   in Loop: Header=BB464_8 Depth=1
	s_or_b32 exec_lo, exec_lo, s20
	s_delay_alu instid0(VALU_DEP_1) | instskip(SKIP_2) | instid1(VALU_DEP_3)
	v_lshlrev_b32_e32 v32, 20, v32
	v_lshlrev_b32_e32 v33, 24, v18
	v_lshl_add_u32 v113, v113, 23, 0x3c000000
	v_and_b32_e32 v32, 0x700000, v32
	s_delay_alu instid0(VALU_DEP_3) | instskip(NEXT) | instid1(VALU_DEP_1)
	v_and_b32_e32 v33, 0x80000000, v33
	v_or3_b32 v32, v32, v33, v113
.LBB464_830:                            ;   in Loop: Header=BB464_8 Depth=1
	s_or_b32 exec_lo, exec_lo, s19
.LBB464_831:                            ;   in Loop: Header=BB464_8 Depth=1
	s_delay_alu instid0(SALU_CYCLE_1)
	s_or_b32 exec_lo, exec_lo, s18
.LBB464_832:                            ;   in Loop: Header=BB464_8 Depth=1
	s_delay_alu instid0(SALU_CYCLE_1) | instskip(NEXT) | instid1(VALU_DEP_1)
	s_or_b32 exec_lo, exec_lo, s2
	v_mul_f32_e32 v32, v168, v32
                                        ; implicit-def: $vgpr113
	s_delay_alu instid0(VALU_DEP_1) | instskip(NEXT) | instid1(VALU_DEP_1)
	v_and_b32_e32 v33, 0x7f800000, v32
	v_cmp_ne_u32_e64 s1, 0x7f800000, v33
	s_delay_alu instid0(VALU_DEP_1) | instskip(NEXT) | instid1(SALU_CYCLE_1)
	s_and_saveexec_b32 s2, s1
	s_xor_b32 s1, exec_lo, s2
; %bb.833:                              ;   in Loop: Header=BB464_8 Depth=1
	v_bfe_u32 v33, v32, 16, 1
	s_delay_alu instid0(VALU_DEP_1)
	v_add3_u32 v113, v32, v33, 0x7fff
                                        ; implicit-def: $vgpr32
; %bb.834:                              ;   in Loop: Header=BB464_8 Depth=1
	s_and_not1_saveexec_b32 s2, s1
; %bb.835:                              ;   in Loop: Header=BB464_8 Depth=1
	v_and_b32_e32 v33, 0xffff, v32
	v_or_b32_e32 v113, 0x10000, v32
	s_delay_alu instid0(VALU_DEP_2) | instskip(NEXT) | instid1(VALU_DEP_1)
	v_cmp_eq_u32_e64 s1, 0, v33
	v_cndmask_b32_e64 v113, v113, v32, s1
; %bb.836:                              ;   in Loop: Header=BB464_8 Depth=1
	s_or_b32 exec_lo, exec_lo, s2
	v_lshrrev_b16 v33, 8, v18
	v_mov_b32_e32 v32, 0
	s_mov_b32 s2, exec_lo
	s_delay_alu instid0(VALU_DEP_2)
	v_cmpx_ne_u16_e32 0, v33
	s_cbranch_execz .LBB464_844
; %bb.837:                              ;   in Loop: Header=BB464_8 Depth=1
	v_bfrev_b32_e32 v32, 1
	s_mov_b32 s18, exec_lo
	v_cmpx_ne_u16_e32 0x80, v33
	s_cbranch_execz .LBB464_843
; %bb.838:                              ;   in Loop: Header=BB464_8 Depth=1
	v_and_b32_e32 v33, 0xffff, v33
	v_mov_b32_e32 v32, 0x7f800001
	s_mov_b32 s19, exec_lo
	s_delay_alu instid0(VALU_DEP_2) | instskip(NEXT) | instid1(VALU_DEP_1)
	v_and_b32_e32 v115, 0x7f, v33
	v_cmpx_ne_u32_e32 0x7f, v115
	s_cbranch_execz .LBB464_842
; %bb.839:                              ;   in Loop: Header=BB464_8 Depth=1
	v_dual_mov_b32 v33, v19 :: v_dual_and_b32 v32, 7, v33
	v_lshrrev_b32_e32 v114, 3, v115
	s_mov_b32 s20, exec_lo
	v_cmpx_gt_u32_e32 8, v115
; %bb.840:                              ;   in Loop: Header=BB464_8 Depth=1
	s_delay_alu instid0(VALU_DEP_3) | instskip(NEXT) | instid1(VALU_DEP_1)
	v_clz_i32_u32_e32 v114, v32
	v_min_u32_e32 v114, 32, v114
	s_delay_alu instid0(VALU_DEP_1) | instskip(SKIP_1) | instid1(VALU_DEP_2)
	v_subrev_nc_u32_e32 v115, 28, v114
	v_sub_nc_u32_e32 v114, 29, v114
	v_lshlrev_b64 v[32:33], v115, v[32:33]
	s_delay_alu instid0(VALU_DEP_1)
	v_and_b32_e32 v32, 7, v32
; %bb.841:                              ;   in Loop: Header=BB464_8 Depth=1
	s_or_b32 exec_lo, exec_lo, s20
	v_lshlrev_b32_e32 v18, 16, v18
	s_delay_alu instid0(VALU_DEP_2) | instskip(SKIP_1) | instid1(VALU_DEP_3)
	v_lshlrev_b32_e32 v32, 20, v32
	v_lshl_add_u32 v33, v114, 23, 0x3c000000
	v_and_b32_e32 v18, 0x80000000, v18
	s_delay_alu instid0(VALU_DEP_1)
	v_or3_b32 v32, v32, v18, v33
.LBB464_842:                            ;   in Loop: Header=BB464_8 Depth=1
	s_or_b32 exec_lo, exec_lo, s19
.LBB464_843:                            ;   in Loop: Header=BB464_8 Depth=1
	s_delay_alu instid0(SALU_CYCLE_1)
	s_or_b32 exec_lo, exec_lo, s18
.LBB464_844:                            ;   in Loop: Header=BB464_8 Depth=1
	s_delay_alu instid0(SALU_CYCLE_1) | instskip(NEXT) | instid1(VALU_DEP_1)
	s_or_b32 exec_lo, exec_lo, s2
	v_mul_f32_e32 v18, v168, v32
                                        ; implicit-def: $vgpr114
	s_delay_alu instid0(VALU_DEP_1) | instskip(NEXT) | instid1(VALU_DEP_1)
	v_and_b32_e32 v32, 0x7f800000, v18
	v_cmp_ne_u32_e64 s1, 0x7f800000, v32
	s_delay_alu instid0(VALU_DEP_1) | instskip(NEXT) | instid1(SALU_CYCLE_1)
	s_and_saveexec_b32 s2, s1
	s_xor_b32 s1, exec_lo, s2
; %bb.845:                              ;   in Loop: Header=BB464_8 Depth=1
	v_bfe_u32 v32, v18, 16, 1
	s_delay_alu instid0(VALU_DEP_1)
	v_add3_u32 v114, v18, v32, 0x7fff
                                        ; implicit-def: $vgpr18
; %bb.846:                              ;   in Loop: Header=BB464_8 Depth=1
	s_and_not1_saveexec_b32 s2, s1
; %bb.847:                              ;   in Loop: Header=BB464_8 Depth=1
	v_and_b32_e32 v32, 0xffff, v18
	v_or_b32_e32 v33, 0x10000, v18
	s_delay_alu instid0(VALU_DEP_2) | instskip(NEXT) | instid1(VALU_DEP_1)
	v_cmp_eq_u32_e64 s1, 0, v32
	v_cndmask_b32_e64 v114, v33, v18, s1
; %bb.848:                              ;   in Loop: Header=BB464_8 Depth=1
	s_or_b32 exec_lo, exec_lo, s2
	v_lshrrev_b32_e32 v115, 16, v31
	v_mov_b32_e32 v18, 0
	s_mov_b32 s2, exec_lo
	s_delay_alu instid0(VALU_DEP_2) | instskip(NEXT) | instid1(VALU_DEP_1)
	v_and_b32_e32 v32, 0xff, v115
	v_cmpx_ne_u16_e32 0, v32
	s_cbranch_execz .LBB464_856
; %bb.849:                              ;   in Loop: Header=BB464_8 Depth=1
	v_bfrev_b32_e32 v18, 1
	s_mov_b32 s18, exec_lo
	v_cmpx_ne_u16_e32 0x80, v32
	s_cbranch_execz .LBB464_855
; %bb.850:                              ;   in Loop: Header=BB464_8 Depth=1
	v_bfe_u32 v32, v31, 16, 7
	v_mov_b32_e32 v18, 0x7f800001
	s_mov_b32 s19, exec_lo
	s_delay_alu instid0(VALU_DEP_2)
	v_cmpx_ne_u32_e32 0x7f, v32
	s_cbranch_execz .LBB464_854
; %bb.851:                              ;   in Loop: Header=BB464_8 Depth=1
	v_and_b32_e32 v18, 7, v115
	v_lshrrev_b32_e32 v116, 3, v32
	v_cmp_gt_u32_e64 s1, 8, v32
	s_delay_alu instid0(VALU_DEP_3) | instskip(NEXT) | instid1(VALU_DEP_2)
	v_dual_mov_b32 v33, v19 :: v_dual_mov_b32 v32, v18
	s_and_saveexec_b32 s20, s1
; %bb.852:                              ;   in Loop: Header=BB464_8 Depth=1
	v_clz_i32_u32_e32 v32, v18
	s_delay_alu instid0(VALU_DEP_1) | instskip(NEXT) | instid1(VALU_DEP_1)
	v_min_u32_e32 v116, 32, v32
	v_subrev_nc_u32_e32 v32, 28, v116
	v_sub_nc_u32_e32 v116, 29, v116
	s_delay_alu instid0(VALU_DEP_2) | instskip(NEXT) | instid1(VALU_DEP_1)
	v_lshlrev_b64 v[32:33], v32, v[18:19]
	v_and_b32_e32 v32, 7, v32
; %bb.853:                              ;   in Loop: Header=BB464_8 Depth=1
	s_or_b32 exec_lo, exec_lo, s20
	v_lshlrev_b32_e32 v18, 24, v115
	s_delay_alu instid0(VALU_DEP_2) | instskip(SKIP_1) | instid1(VALU_DEP_3)
	v_lshlrev_b32_e32 v32, 20, v32
	v_lshl_add_u32 v33, v116, 23, 0x3c000000
	v_and_b32_e32 v18, 0x80000000, v18
	s_delay_alu instid0(VALU_DEP_1)
	v_or3_b32 v18, v32, v18, v33
.LBB464_854:                            ;   in Loop: Header=BB464_8 Depth=1
	s_or_b32 exec_lo, exec_lo, s19
.LBB464_855:                            ;   in Loop: Header=BB464_8 Depth=1
	s_delay_alu instid0(SALU_CYCLE_1)
	s_or_b32 exec_lo, exec_lo, s18
.LBB464_856:                            ;   in Loop: Header=BB464_8 Depth=1
	s_delay_alu instid0(SALU_CYCLE_1) | instskip(NEXT) | instid1(VALU_DEP_1)
	s_or_b32 exec_lo, exec_lo, s2
	v_mul_f32_e32 v18, v168, v18
                                        ; implicit-def: $vgpr115
	s_delay_alu instid0(VALU_DEP_1) | instskip(NEXT) | instid1(VALU_DEP_1)
	v_and_b32_e32 v32, 0x7f800000, v18
	v_cmp_ne_u32_e64 s1, 0x7f800000, v32
	s_delay_alu instid0(VALU_DEP_1) | instskip(NEXT) | instid1(SALU_CYCLE_1)
	s_and_saveexec_b32 s2, s1
	s_xor_b32 s1, exec_lo, s2
; %bb.857:                              ;   in Loop: Header=BB464_8 Depth=1
	v_bfe_u32 v32, v18, 16, 1
	s_delay_alu instid0(VALU_DEP_1)
	v_add3_u32 v115, v18, v32, 0x7fff
                                        ; implicit-def: $vgpr18
; %bb.858:                              ;   in Loop: Header=BB464_8 Depth=1
	s_and_not1_saveexec_b32 s2, s1
; %bb.859:                              ;   in Loop: Header=BB464_8 Depth=1
	v_and_b32_e32 v32, 0xffff, v18
	v_or_b32_e32 v33, 0x10000, v18
	s_delay_alu instid0(VALU_DEP_2) | instskip(NEXT) | instid1(VALU_DEP_1)
	v_cmp_eq_u32_e64 s1, 0, v32
	v_cndmask_b32_e64 v115, v33, v18, s1
; %bb.860:                              ;   in Loop: Header=BB464_8 Depth=1
	s_or_b32 exec_lo, exec_lo, s2
	v_mov_b32_e32 v18, 0
	s_mov_b32 s2, exec_lo
	v_cmpx_lt_u64_e64 s[8:9], v[30:31]
	s_cbranch_execz .LBB464_868
; %bb.861:                              ;   in Loop: Header=BB464_8 Depth=1
	v_lshrrev_b32_e32 v32, 24, v31
	v_bfrev_b32_e32 v18, 1
	s_mov_b32 s18, exec_lo
	s_delay_alu instid0(VALU_DEP_2)
	v_cmpx_ne_u32_e32 0x80, v32
	s_cbranch_execz .LBB464_867
; %bb.862:                              ;   in Loop: Header=BB464_8 Depth=1
	v_bfe_u32 v30, v31, 24, 7
	v_mov_b32_e32 v18, 0x7f800001
	s_mov_b32 s19, exec_lo
	s_delay_alu instid0(VALU_DEP_2)
	v_cmpx_ne_u32_e32 0x7f, v30
	s_cbranch_execz .LBB464_866
; %bb.863:                              ;   in Loop: Header=BB464_8 Depth=1
	v_and_b32_e32 v18, 7, v32
	v_lshrrev_b32_e32 v33, 3, v30
	v_cmp_gt_u32_e64 s1, 8, v30
	s_delay_alu instid0(VALU_DEP_3) | instskip(NEXT) | instid1(VALU_DEP_2)
	v_dual_mov_b32 v31, v19 :: v_dual_mov_b32 v30, v18
	s_and_saveexec_b32 s20, s1
; %bb.864:                              ;   in Loop: Header=BB464_8 Depth=1
	v_clz_i32_u32_e32 v30, v18
	s_delay_alu instid0(VALU_DEP_1) | instskip(NEXT) | instid1(VALU_DEP_1)
	v_min_u32_e32 v33, 32, v30
	v_subrev_nc_u32_e32 v30, 28, v33
	v_sub_nc_u32_e32 v33, 29, v33
	s_delay_alu instid0(VALU_DEP_2) | instskip(NEXT) | instid1(VALU_DEP_1)
	v_lshlrev_b64 v[30:31], v30, v[18:19]
	v_and_b32_e32 v30, 7, v30
; %bb.865:                              ;   in Loop: Header=BB464_8 Depth=1
	s_or_b32 exec_lo, exec_lo, s20
	v_lshlrev_b32_e32 v18, 24, v32
	s_delay_alu instid0(VALU_DEP_2) | instskip(SKIP_1) | instid1(VALU_DEP_3)
	v_lshlrev_b32_e32 v30, 20, v30
	v_lshl_add_u32 v31, v33, 23, 0x3c000000
	v_and_b32_e32 v18, 0x80000000, v18
	s_delay_alu instid0(VALU_DEP_1)
	v_or3_b32 v18, v30, v18, v31
.LBB464_866:                            ;   in Loop: Header=BB464_8 Depth=1
	s_or_b32 exec_lo, exec_lo, s19
.LBB464_867:                            ;   in Loop: Header=BB464_8 Depth=1
	s_delay_alu instid0(SALU_CYCLE_1)
	s_or_b32 exec_lo, exec_lo, s18
.LBB464_868:                            ;   in Loop: Header=BB464_8 Depth=1
	s_delay_alu instid0(SALU_CYCLE_1) | instskip(NEXT) | instid1(VALU_DEP_1)
	s_or_b32 exec_lo, exec_lo, s2
	v_mul_f32_e32 v18, v168, v18
                                        ; implicit-def: $vgpr116
	s_delay_alu instid0(VALU_DEP_1) | instskip(NEXT) | instid1(VALU_DEP_1)
	v_and_b32_e32 v30, 0x7f800000, v18
	v_cmp_ne_u32_e64 s1, 0x7f800000, v30
	s_delay_alu instid0(VALU_DEP_1) | instskip(NEXT) | instid1(SALU_CYCLE_1)
	s_and_saveexec_b32 s2, s1
	s_xor_b32 s1, exec_lo, s2
; %bb.869:                              ;   in Loop: Header=BB464_8 Depth=1
	v_bfe_u32 v30, v18, 16, 1
	s_delay_alu instid0(VALU_DEP_1)
	v_add3_u32 v116, v18, v30, 0x7fff
                                        ; implicit-def: $vgpr18
; %bb.870:                              ;   in Loop: Header=BB464_8 Depth=1
	s_and_not1_saveexec_b32 s2, s1
; %bb.871:                              ;   in Loop: Header=BB464_8 Depth=1
	v_and_b32_e32 v30, 0xffff, v18
	v_or_b32_e32 v31, 0x10000, v18
	s_delay_alu instid0(VALU_DEP_2) | instskip(NEXT) | instid1(VALU_DEP_1)
	v_cmp_eq_u32_e64 s1, 0, v30
	v_cndmask_b32_e64 v116, v31, v18, s1
; %bb.872:                              ;   in Loop: Header=BB464_8 Depth=1
	s_or_b32 exec_lo, exec_lo, s2
	flat_load_b64 v[30:31], v[28:29] offset:2056
	v_mov_b32_e32 v18, 0
	s_mov_b32 s2, exec_lo
	s_waitcnt vmcnt(0) lgkmcnt(0)
	v_and_b32_e32 v32, 0xff, v30
	s_delay_alu instid0(VALU_DEP_1)
	v_cmpx_ne_u16_e32 0, v32
	s_cbranch_execz .LBB464_880
; %bb.873:                              ;   in Loop: Header=BB464_8 Depth=1
	v_bfrev_b32_e32 v18, 1
	s_mov_b32 s18, exec_lo
	v_cmpx_ne_u16_e32 0x80, v32
	s_cbranch_execz .LBB464_879
; %bb.874:                              ;   in Loop: Header=BB464_8 Depth=1
	v_and_b32_e32 v32, 0x7f, v30
	v_mov_b32_e32 v18, 0x7f800001
	s_mov_b32 s19, exec_lo
	s_delay_alu instid0(VALU_DEP_2)
	v_cmpx_ne_u32_e32 0x7f, v32
	s_cbranch_execz .LBB464_878
; %bb.875:                              ;   in Loop: Header=BB464_8 Depth=1
	v_lshrrev_b32_e32 v18, 3, v32
	v_cmp_gt_u32_e64 s1, 8, v32
	v_dual_mov_b32 v33, v31 :: v_dual_mov_b32 v32, v30
	s_delay_alu instid0(VALU_DEP_2)
	s_and_saveexec_b32 s20, s1
; %bb.876:                              ;   in Loop: Header=BB464_8 Depth=1
	v_and_b32_e32 v18, 7, v30
	s_delay_alu instid0(VALU_DEP_1) | instskip(NEXT) | instid1(VALU_DEP_1)
	v_clz_i32_u32_e32 v18, v18
	v_min_u32_e32 v18, 32, v18
	s_delay_alu instid0(VALU_DEP_1) | instskip(SKIP_1) | instid1(VALU_DEP_2)
	v_subrev_nc_u32_e32 v32, 28, v18
	v_sub_nc_u32_e32 v18, 29, v18
	v_lshlrev_b64 v[32:33], v32, v[30:31]
; %bb.877:                              ;   in Loop: Header=BB464_8 Depth=1
	s_or_b32 exec_lo, exec_lo, s20
	s_delay_alu instid0(VALU_DEP_1) | instskip(SKIP_2) | instid1(VALU_DEP_3)
	v_lshlrev_b32_e32 v32, 20, v32
	v_lshlrev_b32_e32 v33, 24, v30
	v_lshl_add_u32 v18, v18, 23, 0x3c000000
	v_and_b32_e32 v32, 0x700000, v32
	s_delay_alu instid0(VALU_DEP_3) | instskip(NEXT) | instid1(VALU_DEP_1)
	v_and_b32_e32 v33, 0x80000000, v33
	v_or3_b32 v18, v32, v33, v18
.LBB464_878:                            ;   in Loop: Header=BB464_8 Depth=1
	s_or_b32 exec_lo, exec_lo, s19
.LBB464_879:                            ;   in Loop: Header=BB464_8 Depth=1
	s_delay_alu instid0(SALU_CYCLE_1)
	s_or_b32 exec_lo, exec_lo, s18
.LBB464_880:                            ;   in Loop: Header=BB464_8 Depth=1
	s_delay_alu instid0(SALU_CYCLE_1) | instskip(NEXT) | instid1(VALU_DEP_1)
	s_or_b32 exec_lo, exec_lo, s2
	v_mul_f32_e32 v18, v168, v18
                                        ; implicit-def: $vgpr117
	s_delay_alu instid0(VALU_DEP_1) | instskip(NEXT) | instid1(VALU_DEP_1)
	v_and_b32_e32 v32, 0x7f800000, v18
	v_cmp_ne_u32_e64 s1, 0x7f800000, v32
	s_delay_alu instid0(VALU_DEP_1) | instskip(NEXT) | instid1(SALU_CYCLE_1)
	s_and_saveexec_b32 s2, s1
	s_xor_b32 s1, exec_lo, s2
; %bb.881:                              ;   in Loop: Header=BB464_8 Depth=1
	v_bfe_u32 v32, v18, 16, 1
	s_delay_alu instid0(VALU_DEP_1)
	v_add3_u32 v117, v18, v32, 0x7fff
                                        ; implicit-def: $vgpr18
; %bb.882:                              ;   in Loop: Header=BB464_8 Depth=1
	s_and_not1_saveexec_b32 s2, s1
; %bb.883:                              ;   in Loop: Header=BB464_8 Depth=1
	v_and_b32_e32 v32, 0xffff, v18
	v_or_b32_e32 v33, 0x10000, v18
	s_delay_alu instid0(VALU_DEP_2) | instskip(NEXT) | instid1(VALU_DEP_1)
	v_cmp_eq_u32_e64 s1, 0, v32
	v_cndmask_b32_e64 v117, v33, v18, s1
; %bb.884:                              ;   in Loop: Header=BB464_8 Depth=1
	s_or_b32 exec_lo, exec_lo, s2
	v_lshrrev_b16 v32, 8, v30
	v_mov_b32_e32 v18, 0
	s_mov_b32 s2, exec_lo
	s_delay_alu instid0(VALU_DEP_2)
	v_cmpx_ne_u16_e32 0, v32
	s_cbranch_execz .LBB464_892
; %bb.885:                              ;   in Loop: Header=BB464_8 Depth=1
	v_bfrev_b32_e32 v18, 1
	s_mov_b32 s18, exec_lo
	v_cmpx_ne_u16_e32 0x80, v32
	s_cbranch_execz .LBB464_891
; %bb.886:                              ;   in Loop: Header=BB464_8 Depth=1
	v_and_b32_e32 v33, 0xffff, v32
	v_mov_b32_e32 v18, 0x7f800001
	s_mov_b32 s19, exec_lo
	s_delay_alu instid0(VALU_DEP_2) | instskip(NEXT) | instid1(VALU_DEP_1)
	v_and_b32_e32 v32, 0x7f, v33
	v_cmpx_ne_u32_e32 0x7f, v32
	s_cbranch_execz .LBB464_890
; %bb.887:                              ;   in Loop: Header=BB464_8 Depth=1
	v_and_b32_e32 v18, 7, v33
	v_lshrrev_b32_e32 v118, 3, v32
	v_cmp_gt_u32_e64 s1, 8, v32
	s_delay_alu instid0(VALU_DEP_3) | instskip(NEXT) | instid1(VALU_DEP_2)
	v_dual_mov_b32 v33, v19 :: v_dual_mov_b32 v32, v18
	s_and_saveexec_b32 s20, s1
; %bb.888:                              ;   in Loop: Header=BB464_8 Depth=1
	v_clz_i32_u32_e32 v32, v18
	s_delay_alu instid0(VALU_DEP_1) | instskip(NEXT) | instid1(VALU_DEP_1)
	v_min_u32_e32 v118, 32, v32
	v_subrev_nc_u32_e32 v32, 28, v118
	v_sub_nc_u32_e32 v118, 29, v118
	s_delay_alu instid0(VALU_DEP_2) | instskip(NEXT) | instid1(VALU_DEP_1)
	v_lshlrev_b64 v[32:33], v32, v[18:19]
	v_and_b32_e32 v32, 7, v32
; %bb.889:                              ;   in Loop: Header=BB464_8 Depth=1
	s_or_b32 exec_lo, exec_lo, s20
	v_lshlrev_b32_e32 v18, 16, v30
	s_delay_alu instid0(VALU_DEP_2) | instskip(SKIP_1) | instid1(VALU_DEP_3)
	v_lshlrev_b32_e32 v32, 20, v32
	v_lshl_add_u32 v33, v118, 23, 0x3c000000
	v_and_b32_e32 v18, 0x80000000, v18
	s_delay_alu instid0(VALU_DEP_1)
	v_or3_b32 v18, v32, v18, v33
.LBB464_890:                            ;   in Loop: Header=BB464_8 Depth=1
	s_or_b32 exec_lo, exec_lo, s19
.LBB464_891:                            ;   in Loop: Header=BB464_8 Depth=1
	s_delay_alu instid0(SALU_CYCLE_1)
	s_or_b32 exec_lo, exec_lo, s18
.LBB464_892:                            ;   in Loop: Header=BB464_8 Depth=1
	s_delay_alu instid0(SALU_CYCLE_1) | instskip(NEXT) | instid1(VALU_DEP_1)
	s_or_b32 exec_lo, exec_lo, s2
	v_mul_f32_e32 v18, v168, v18
                                        ; implicit-def: $vgpr118
	s_delay_alu instid0(VALU_DEP_1) | instskip(NEXT) | instid1(VALU_DEP_1)
	v_and_b32_e32 v32, 0x7f800000, v18
	v_cmp_ne_u32_e64 s1, 0x7f800000, v32
	s_delay_alu instid0(VALU_DEP_1) | instskip(NEXT) | instid1(SALU_CYCLE_1)
	s_and_saveexec_b32 s2, s1
	s_xor_b32 s1, exec_lo, s2
; %bb.893:                              ;   in Loop: Header=BB464_8 Depth=1
	v_bfe_u32 v32, v18, 16, 1
	s_delay_alu instid0(VALU_DEP_1)
	v_add3_u32 v118, v18, v32, 0x7fff
                                        ; implicit-def: $vgpr18
; %bb.894:                              ;   in Loop: Header=BB464_8 Depth=1
	s_and_not1_saveexec_b32 s2, s1
; %bb.895:                              ;   in Loop: Header=BB464_8 Depth=1
	v_and_b32_e32 v32, 0xffff, v18
	v_or_b32_e32 v33, 0x10000, v18
	s_delay_alu instid0(VALU_DEP_2) | instskip(NEXT) | instid1(VALU_DEP_1)
	v_cmp_eq_u32_e64 s1, 0, v32
	v_cndmask_b32_e64 v118, v33, v18, s1
; %bb.896:                              ;   in Loop: Header=BB464_8 Depth=1
	s_or_b32 exec_lo, exec_lo, s2
	v_lshrrev_b32_e32 v119, 16, v30
	v_mov_b32_e32 v18, 0
	s_mov_b32 s2, exec_lo
	s_delay_alu instid0(VALU_DEP_2) | instskip(NEXT) | instid1(VALU_DEP_1)
	v_and_b32_e32 v32, 0xff, v119
	v_cmpx_ne_u16_e32 0, v32
	s_cbranch_execz .LBB464_904
; %bb.897:                              ;   in Loop: Header=BB464_8 Depth=1
	v_bfrev_b32_e32 v18, 1
	s_mov_b32 s18, exec_lo
	v_cmpx_ne_u16_e32 0x80, v32
	s_cbranch_execz .LBB464_903
; %bb.898:                              ;   in Loop: Header=BB464_8 Depth=1
	v_bfe_u32 v32, v30, 16, 7
	v_mov_b32_e32 v18, 0x7f800001
	s_mov_b32 s19, exec_lo
	s_delay_alu instid0(VALU_DEP_2)
	v_cmpx_ne_u32_e32 0x7f, v32
	s_cbranch_execz .LBB464_902
; %bb.899:                              ;   in Loop: Header=BB464_8 Depth=1
	v_and_b32_e32 v18, 7, v119
	v_lshrrev_b32_e32 v128, 3, v32
	v_cmp_gt_u32_e64 s1, 8, v32
	s_delay_alu instid0(VALU_DEP_3) | instskip(NEXT) | instid1(VALU_DEP_2)
	v_dual_mov_b32 v33, v19 :: v_dual_mov_b32 v32, v18
	s_and_saveexec_b32 s20, s1
; %bb.900:                              ;   in Loop: Header=BB464_8 Depth=1
	v_clz_i32_u32_e32 v32, v18
	s_delay_alu instid0(VALU_DEP_1) | instskip(NEXT) | instid1(VALU_DEP_1)
	v_min_u32_e32 v128, 32, v32
	v_subrev_nc_u32_e32 v32, 28, v128
	v_sub_nc_u32_e32 v128, 29, v128
	s_delay_alu instid0(VALU_DEP_2) | instskip(NEXT) | instid1(VALU_DEP_1)
	v_lshlrev_b64 v[32:33], v32, v[18:19]
	v_and_b32_e32 v32, 7, v32
; %bb.901:                              ;   in Loop: Header=BB464_8 Depth=1
	s_or_b32 exec_lo, exec_lo, s20
	v_lshlrev_b32_e32 v18, 24, v119
	s_delay_alu instid0(VALU_DEP_2) | instskip(SKIP_1) | instid1(VALU_DEP_3)
	v_lshlrev_b32_e32 v32, 20, v32
	v_lshl_add_u32 v33, v128, 23, 0x3c000000
	v_and_b32_e32 v18, 0x80000000, v18
	s_delay_alu instid0(VALU_DEP_1)
	v_or3_b32 v18, v32, v18, v33
.LBB464_902:                            ;   in Loop: Header=BB464_8 Depth=1
	s_or_b32 exec_lo, exec_lo, s19
.LBB464_903:                            ;   in Loop: Header=BB464_8 Depth=1
	s_delay_alu instid0(SALU_CYCLE_1)
	s_or_b32 exec_lo, exec_lo, s18
.LBB464_904:                            ;   in Loop: Header=BB464_8 Depth=1
	s_delay_alu instid0(SALU_CYCLE_1) | instskip(NEXT) | instid1(VALU_DEP_1)
	s_or_b32 exec_lo, exec_lo, s2
	v_mul_f32_e32 v18, v168, v18
                                        ; implicit-def: $vgpr119
	s_delay_alu instid0(VALU_DEP_1) | instskip(NEXT) | instid1(VALU_DEP_1)
	v_and_b32_e32 v32, 0x7f800000, v18
	v_cmp_ne_u32_e64 s1, 0x7f800000, v32
	s_delay_alu instid0(VALU_DEP_1) | instskip(NEXT) | instid1(SALU_CYCLE_1)
	s_and_saveexec_b32 s2, s1
	s_xor_b32 s1, exec_lo, s2
; %bb.905:                              ;   in Loop: Header=BB464_8 Depth=1
	v_bfe_u32 v32, v18, 16, 1
	s_delay_alu instid0(VALU_DEP_1)
	v_add3_u32 v119, v18, v32, 0x7fff
                                        ; implicit-def: $vgpr18
; %bb.906:                              ;   in Loop: Header=BB464_8 Depth=1
	s_and_not1_saveexec_b32 s2, s1
; %bb.907:                              ;   in Loop: Header=BB464_8 Depth=1
	v_and_b32_e32 v32, 0xffff, v18
	v_or_b32_e32 v33, 0x10000, v18
	s_delay_alu instid0(VALU_DEP_2) | instskip(NEXT) | instid1(VALU_DEP_1)
	v_cmp_eq_u32_e64 s1, 0, v32
	v_cndmask_b32_e64 v119, v33, v18, s1
; %bb.908:                              ;   in Loop: Header=BB464_8 Depth=1
	s_or_b32 exec_lo, exec_lo, s2
	v_mov_b32_e32 v18, 0
	s_mov_b32 s2, exec_lo
	v_cmpx_lt_u32_e32 0xffffff, v30
	s_cbranch_execz .LBB464_916
; %bb.909:                              ;   in Loop: Header=BB464_8 Depth=1
	v_lshrrev_b32_e32 v128, 24, v30
	v_bfrev_b32_e32 v18, 1
	s_mov_b32 s18, exec_lo
	s_delay_alu instid0(VALU_DEP_2)
	v_cmpx_ne_u32_e32 0x80, v128
	s_cbranch_execz .LBB464_915
; %bb.910:                              ;   in Loop: Header=BB464_8 Depth=1
	v_bfe_u32 v32, v30, 24, 7
	v_mov_b32_e32 v18, 0x7f800001
	s_mov_b32 s19, exec_lo
	s_delay_alu instid0(VALU_DEP_2)
	v_cmpx_ne_u32_e32 0x7f, v32
	s_cbranch_execz .LBB464_914
; %bb.911:                              ;   in Loop: Header=BB464_8 Depth=1
	v_and_b32_e32 v18, 7, v128
	v_lshrrev_b32_e32 v129, 3, v32
	v_cmp_gt_u32_e64 s1, 8, v32
	s_delay_alu instid0(VALU_DEP_3) | instskip(NEXT) | instid1(VALU_DEP_2)
	v_dual_mov_b32 v33, v19 :: v_dual_mov_b32 v32, v18
	s_and_saveexec_b32 s20, s1
; %bb.912:                              ;   in Loop: Header=BB464_8 Depth=1
	v_clz_i32_u32_e32 v32, v18
	s_delay_alu instid0(VALU_DEP_1) | instskip(NEXT) | instid1(VALU_DEP_1)
	v_min_u32_e32 v129, 32, v32
	v_subrev_nc_u32_e32 v32, 28, v129
	v_sub_nc_u32_e32 v129, 29, v129
	s_delay_alu instid0(VALU_DEP_2) | instskip(NEXT) | instid1(VALU_DEP_1)
	v_lshlrev_b64 v[32:33], v32, v[18:19]
	v_and_b32_e32 v32, 7, v32
; %bb.913:                              ;   in Loop: Header=BB464_8 Depth=1
	s_or_b32 exec_lo, exec_lo, s20
	v_lshlrev_b32_e32 v18, 24, v128
	s_delay_alu instid0(VALU_DEP_2) | instskip(SKIP_1) | instid1(VALU_DEP_3)
	v_lshlrev_b32_e32 v32, 20, v32
	v_lshl_add_u32 v33, v129, 23, 0x3c000000
	v_and_b32_e32 v18, 0x80000000, v18
	s_delay_alu instid0(VALU_DEP_1)
	v_or3_b32 v18, v32, v18, v33
.LBB464_914:                            ;   in Loop: Header=BB464_8 Depth=1
	s_or_b32 exec_lo, exec_lo, s19
.LBB464_915:                            ;   in Loop: Header=BB464_8 Depth=1
	s_delay_alu instid0(SALU_CYCLE_1)
	s_or_b32 exec_lo, exec_lo, s18
.LBB464_916:                            ;   in Loop: Header=BB464_8 Depth=1
	s_delay_alu instid0(SALU_CYCLE_1) | instskip(NEXT) | instid1(VALU_DEP_1)
	s_or_b32 exec_lo, exec_lo, s2
	v_mul_f32_e32 v18, v168, v18
                                        ; implicit-def: $vgpr128
	s_delay_alu instid0(VALU_DEP_1) | instskip(NEXT) | instid1(VALU_DEP_1)
	v_and_b32_e32 v32, 0x7f800000, v18
	v_cmp_ne_u32_e64 s1, 0x7f800000, v32
	s_delay_alu instid0(VALU_DEP_1) | instskip(NEXT) | instid1(SALU_CYCLE_1)
	s_and_saveexec_b32 s2, s1
	s_xor_b32 s1, exec_lo, s2
; %bb.917:                              ;   in Loop: Header=BB464_8 Depth=1
	v_bfe_u32 v32, v18, 16, 1
	s_delay_alu instid0(VALU_DEP_1)
	v_add3_u32 v128, v18, v32, 0x7fff
                                        ; implicit-def: $vgpr18
; %bb.918:                              ;   in Loop: Header=BB464_8 Depth=1
	s_and_not1_saveexec_b32 s2, s1
; %bb.919:                              ;   in Loop: Header=BB464_8 Depth=1
	v_and_b32_e32 v32, 0xffff, v18
	v_or_b32_e32 v33, 0x10000, v18
	s_delay_alu instid0(VALU_DEP_2) | instskip(NEXT) | instid1(VALU_DEP_1)
	v_cmp_eq_u32_e64 s1, 0, v32
	v_cndmask_b32_e64 v128, v33, v18, s1
; %bb.920:                              ;   in Loop: Header=BB464_8 Depth=1
	s_or_b32 exec_lo, exec_lo, s2
	v_dual_mov_b32 v18, v31 :: v_dual_and_b32 v33, 0xff, v31
	v_mov_b32_e32 v32, 0
	s_mov_b32 s2, exec_lo
	s_delay_alu instid0(VALU_DEP_2)
	v_cmpx_ne_u16_e32 0, v33
	s_cbranch_execz .LBB464_928
; %bb.921:                              ;   in Loop: Header=BB464_8 Depth=1
	v_bfrev_b32_e32 v32, 1
	s_mov_b32 s18, exec_lo
	v_cmpx_ne_u16_e32 0x80, v33
	s_cbranch_execz .LBB464_927
; %bb.922:                              ;   in Loop: Header=BB464_8 Depth=1
	v_and_b32_e32 v33, 0x7f, v31
	v_mov_b32_e32 v32, 0x7f800001
	s_mov_b32 s19, exec_lo
	s_delay_alu instid0(VALU_DEP_2)
	v_cmpx_ne_u32_e32 0x7f, v33
	s_cbranch_execz .LBB464_926
; %bb.923:                              ;   in Loop: Header=BB464_8 Depth=1
	v_lshrrev_b32_e32 v129, 3, v33
	v_cmp_gt_u32_e64 s1, 8, v33
	v_dual_mov_b32 v33, v19 :: v_dual_mov_b32 v32, v18
	s_delay_alu instid0(VALU_DEP_2)
	s_and_saveexec_b32 s20, s1
; %bb.924:                              ;   in Loop: Header=BB464_8 Depth=1
	v_and_b32_e32 v32, 7, v31
	s_delay_alu instid0(VALU_DEP_1) | instskip(NEXT) | instid1(VALU_DEP_1)
	v_clz_i32_u32_e32 v32, v32
	v_min_u32_e32 v129, 32, v32
	s_delay_alu instid0(VALU_DEP_1) | instskip(SKIP_1) | instid1(VALU_DEP_2)
	v_subrev_nc_u32_e32 v32, 28, v129
	v_sub_nc_u32_e32 v129, 29, v129
	v_lshlrev_b64 v[32:33], v32, v[18:19]
; %bb.925:                              ;   in Loop: Header=BB464_8 Depth=1
	s_or_b32 exec_lo, exec_lo, s20
	s_delay_alu instid0(VALU_DEP_1) | instskip(SKIP_2) | instid1(VALU_DEP_3)
	v_lshlrev_b32_e32 v32, 20, v32
	v_lshlrev_b32_e32 v33, 24, v18
	v_lshl_add_u32 v129, v129, 23, 0x3c000000
	v_and_b32_e32 v32, 0x700000, v32
	s_delay_alu instid0(VALU_DEP_3) | instskip(NEXT) | instid1(VALU_DEP_1)
	v_and_b32_e32 v33, 0x80000000, v33
	v_or3_b32 v32, v32, v33, v129
.LBB464_926:                            ;   in Loop: Header=BB464_8 Depth=1
	s_or_b32 exec_lo, exec_lo, s19
.LBB464_927:                            ;   in Loop: Header=BB464_8 Depth=1
	s_delay_alu instid0(SALU_CYCLE_1)
	s_or_b32 exec_lo, exec_lo, s18
.LBB464_928:                            ;   in Loop: Header=BB464_8 Depth=1
	s_delay_alu instid0(SALU_CYCLE_1) | instskip(NEXT) | instid1(VALU_DEP_1)
	s_or_b32 exec_lo, exec_lo, s2
	v_mul_f32_e32 v32, v168, v32
                                        ; implicit-def: $vgpr129
	s_delay_alu instid0(VALU_DEP_1) | instskip(NEXT) | instid1(VALU_DEP_1)
	v_and_b32_e32 v33, 0x7f800000, v32
	v_cmp_ne_u32_e64 s1, 0x7f800000, v33
	s_delay_alu instid0(VALU_DEP_1) | instskip(NEXT) | instid1(SALU_CYCLE_1)
	s_and_saveexec_b32 s2, s1
	s_xor_b32 s1, exec_lo, s2
; %bb.929:                              ;   in Loop: Header=BB464_8 Depth=1
	v_bfe_u32 v33, v32, 16, 1
	s_delay_alu instid0(VALU_DEP_1)
	v_add3_u32 v129, v32, v33, 0x7fff
                                        ; implicit-def: $vgpr32
; %bb.930:                              ;   in Loop: Header=BB464_8 Depth=1
	s_and_not1_saveexec_b32 s2, s1
; %bb.931:                              ;   in Loop: Header=BB464_8 Depth=1
	v_and_b32_e32 v33, 0xffff, v32
	v_or_b32_e32 v129, 0x10000, v32
	s_delay_alu instid0(VALU_DEP_2) | instskip(NEXT) | instid1(VALU_DEP_1)
	v_cmp_eq_u32_e64 s1, 0, v33
	v_cndmask_b32_e64 v129, v129, v32, s1
; %bb.932:                              ;   in Loop: Header=BB464_8 Depth=1
	s_or_b32 exec_lo, exec_lo, s2
	v_lshrrev_b16 v33, 8, v18
	v_mov_b32_e32 v32, 0
	s_mov_b32 s2, exec_lo
	s_delay_alu instid0(VALU_DEP_2)
	v_cmpx_ne_u16_e32 0, v33
	s_cbranch_execz .LBB464_940
; %bb.933:                              ;   in Loop: Header=BB464_8 Depth=1
	v_bfrev_b32_e32 v32, 1
	s_mov_b32 s18, exec_lo
	v_cmpx_ne_u16_e32 0x80, v33
	s_cbranch_execz .LBB464_939
; %bb.934:                              ;   in Loop: Header=BB464_8 Depth=1
	v_and_b32_e32 v33, 0xffff, v33
	v_mov_b32_e32 v32, 0x7f800001
	s_mov_b32 s19, exec_lo
	s_delay_alu instid0(VALU_DEP_2) | instskip(NEXT) | instid1(VALU_DEP_1)
	v_and_b32_e32 v131, 0x7f, v33
	v_cmpx_ne_u32_e32 0x7f, v131
	s_cbranch_execz .LBB464_938
; %bb.935:                              ;   in Loop: Header=BB464_8 Depth=1
	v_dual_mov_b32 v33, v19 :: v_dual_and_b32 v32, 7, v33
	v_lshrrev_b32_e32 v130, 3, v131
	s_mov_b32 s20, exec_lo
	v_cmpx_gt_u32_e32 8, v131
; %bb.936:                              ;   in Loop: Header=BB464_8 Depth=1
	s_delay_alu instid0(VALU_DEP_3) | instskip(NEXT) | instid1(VALU_DEP_1)
	v_clz_i32_u32_e32 v130, v32
	v_min_u32_e32 v130, 32, v130
	s_delay_alu instid0(VALU_DEP_1) | instskip(SKIP_1) | instid1(VALU_DEP_2)
	v_subrev_nc_u32_e32 v131, 28, v130
	v_sub_nc_u32_e32 v130, 29, v130
	v_lshlrev_b64 v[32:33], v131, v[32:33]
	s_delay_alu instid0(VALU_DEP_1)
	v_and_b32_e32 v32, 7, v32
; %bb.937:                              ;   in Loop: Header=BB464_8 Depth=1
	s_or_b32 exec_lo, exec_lo, s20
	v_lshlrev_b32_e32 v18, 16, v18
	s_delay_alu instid0(VALU_DEP_2) | instskip(SKIP_1) | instid1(VALU_DEP_3)
	v_lshlrev_b32_e32 v32, 20, v32
	v_lshl_add_u32 v33, v130, 23, 0x3c000000
	v_and_b32_e32 v18, 0x80000000, v18
	s_delay_alu instid0(VALU_DEP_1)
	v_or3_b32 v32, v32, v18, v33
.LBB464_938:                            ;   in Loop: Header=BB464_8 Depth=1
	s_or_b32 exec_lo, exec_lo, s19
.LBB464_939:                            ;   in Loop: Header=BB464_8 Depth=1
	s_delay_alu instid0(SALU_CYCLE_1)
	s_or_b32 exec_lo, exec_lo, s18
.LBB464_940:                            ;   in Loop: Header=BB464_8 Depth=1
	s_delay_alu instid0(SALU_CYCLE_1) | instskip(NEXT) | instid1(VALU_DEP_1)
	s_or_b32 exec_lo, exec_lo, s2
	v_mul_f32_e32 v18, v168, v32
                                        ; implicit-def: $vgpr130
	s_delay_alu instid0(VALU_DEP_1) | instskip(NEXT) | instid1(VALU_DEP_1)
	v_and_b32_e32 v32, 0x7f800000, v18
	v_cmp_ne_u32_e64 s1, 0x7f800000, v32
	s_delay_alu instid0(VALU_DEP_1) | instskip(NEXT) | instid1(SALU_CYCLE_1)
	s_and_saveexec_b32 s2, s1
	s_xor_b32 s1, exec_lo, s2
; %bb.941:                              ;   in Loop: Header=BB464_8 Depth=1
	v_bfe_u32 v32, v18, 16, 1
	s_delay_alu instid0(VALU_DEP_1)
	v_add3_u32 v130, v18, v32, 0x7fff
                                        ; implicit-def: $vgpr18
; %bb.942:                              ;   in Loop: Header=BB464_8 Depth=1
	s_and_not1_saveexec_b32 s2, s1
; %bb.943:                              ;   in Loop: Header=BB464_8 Depth=1
	v_and_b32_e32 v32, 0xffff, v18
	v_or_b32_e32 v33, 0x10000, v18
	s_delay_alu instid0(VALU_DEP_2) | instskip(NEXT) | instid1(VALU_DEP_1)
	v_cmp_eq_u32_e64 s1, 0, v32
	v_cndmask_b32_e64 v130, v33, v18, s1
; %bb.944:                              ;   in Loop: Header=BB464_8 Depth=1
	s_or_b32 exec_lo, exec_lo, s2
	v_lshrrev_b32_e32 v131, 16, v31
	v_mov_b32_e32 v18, 0
	s_mov_b32 s2, exec_lo
	s_delay_alu instid0(VALU_DEP_2) | instskip(NEXT) | instid1(VALU_DEP_1)
	v_and_b32_e32 v32, 0xff, v131
	v_cmpx_ne_u16_e32 0, v32
	s_cbranch_execz .LBB464_952
; %bb.945:                              ;   in Loop: Header=BB464_8 Depth=1
	v_bfrev_b32_e32 v18, 1
	s_mov_b32 s18, exec_lo
	v_cmpx_ne_u16_e32 0x80, v32
	s_cbranch_execz .LBB464_951
; %bb.946:                              ;   in Loop: Header=BB464_8 Depth=1
	v_bfe_u32 v32, v31, 16, 7
	v_mov_b32_e32 v18, 0x7f800001
	s_mov_b32 s19, exec_lo
	s_delay_alu instid0(VALU_DEP_2)
	v_cmpx_ne_u32_e32 0x7f, v32
	s_cbranch_execz .LBB464_950
; %bb.947:                              ;   in Loop: Header=BB464_8 Depth=1
	v_and_b32_e32 v18, 7, v131
	v_lshrrev_b32_e32 v132, 3, v32
	v_cmp_gt_u32_e64 s1, 8, v32
	s_delay_alu instid0(VALU_DEP_3) | instskip(NEXT) | instid1(VALU_DEP_2)
	v_dual_mov_b32 v33, v19 :: v_dual_mov_b32 v32, v18
	s_and_saveexec_b32 s20, s1
; %bb.948:                              ;   in Loop: Header=BB464_8 Depth=1
	v_clz_i32_u32_e32 v32, v18
	s_delay_alu instid0(VALU_DEP_1) | instskip(NEXT) | instid1(VALU_DEP_1)
	v_min_u32_e32 v132, 32, v32
	v_subrev_nc_u32_e32 v32, 28, v132
	v_sub_nc_u32_e32 v132, 29, v132
	s_delay_alu instid0(VALU_DEP_2) | instskip(NEXT) | instid1(VALU_DEP_1)
	v_lshlrev_b64 v[32:33], v32, v[18:19]
	v_and_b32_e32 v32, 7, v32
; %bb.949:                              ;   in Loop: Header=BB464_8 Depth=1
	s_or_b32 exec_lo, exec_lo, s20
	v_lshlrev_b32_e32 v18, 24, v131
	s_delay_alu instid0(VALU_DEP_2) | instskip(SKIP_1) | instid1(VALU_DEP_3)
	v_lshlrev_b32_e32 v32, 20, v32
	v_lshl_add_u32 v33, v132, 23, 0x3c000000
	v_and_b32_e32 v18, 0x80000000, v18
	s_delay_alu instid0(VALU_DEP_1)
	v_or3_b32 v18, v32, v18, v33
.LBB464_950:                            ;   in Loop: Header=BB464_8 Depth=1
	s_or_b32 exec_lo, exec_lo, s19
.LBB464_951:                            ;   in Loop: Header=BB464_8 Depth=1
	s_delay_alu instid0(SALU_CYCLE_1)
	s_or_b32 exec_lo, exec_lo, s18
.LBB464_952:                            ;   in Loop: Header=BB464_8 Depth=1
	s_delay_alu instid0(SALU_CYCLE_1) | instskip(NEXT) | instid1(VALU_DEP_1)
	s_or_b32 exec_lo, exec_lo, s2
	v_mul_f32_e32 v18, v168, v18
                                        ; implicit-def: $vgpr131
	s_delay_alu instid0(VALU_DEP_1) | instskip(NEXT) | instid1(VALU_DEP_1)
	v_and_b32_e32 v32, 0x7f800000, v18
	v_cmp_ne_u32_e64 s1, 0x7f800000, v32
	s_delay_alu instid0(VALU_DEP_1) | instskip(NEXT) | instid1(SALU_CYCLE_1)
	s_and_saveexec_b32 s2, s1
	s_xor_b32 s1, exec_lo, s2
; %bb.953:                              ;   in Loop: Header=BB464_8 Depth=1
	v_bfe_u32 v32, v18, 16, 1
	s_delay_alu instid0(VALU_DEP_1)
	v_add3_u32 v131, v18, v32, 0x7fff
                                        ; implicit-def: $vgpr18
; %bb.954:                              ;   in Loop: Header=BB464_8 Depth=1
	s_and_not1_saveexec_b32 s2, s1
; %bb.955:                              ;   in Loop: Header=BB464_8 Depth=1
	v_and_b32_e32 v32, 0xffff, v18
	v_or_b32_e32 v33, 0x10000, v18
	s_delay_alu instid0(VALU_DEP_2) | instskip(NEXT) | instid1(VALU_DEP_1)
	v_cmp_eq_u32_e64 s1, 0, v32
	v_cndmask_b32_e64 v131, v33, v18, s1
; %bb.956:                              ;   in Loop: Header=BB464_8 Depth=1
	s_or_b32 exec_lo, exec_lo, s2
	v_mov_b32_e32 v18, 0
	s_mov_b32 s2, exec_lo
	v_cmpx_lt_u64_e64 s[8:9], v[30:31]
	s_cbranch_execz .LBB464_964
; %bb.957:                              ;   in Loop: Header=BB464_8 Depth=1
	v_lshrrev_b32_e32 v32, 24, v31
	v_bfrev_b32_e32 v18, 1
	s_mov_b32 s18, exec_lo
	s_delay_alu instid0(VALU_DEP_2)
	v_cmpx_ne_u32_e32 0x80, v32
	s_cbranch_execz .LBB464_963
; %bb.958:                              ;   in Loop: Header=BB464_8 Depth=1
	v_bfe_u32 v30, v31, 24, 7
	v_mov_b32_e32 v18, 0x7f800001
	s_mov_b32 s19, exec_lo
	s_delay_alu instid0(VALU_DEP_2)
	v_cmpx_ne_u32_e32 0x7f, v30
	s_cbranch_execz .LBB464_962
; %bb.959:                              ;   in Loop: Header=BB464_8 Depth=1
	v_and_b32_e32 v18, 7, v32
	v_lshrrev_b32_e32 v33, 3, v30
	v_cmp_gt_u32_e64 s1, 8, v30
	s_delay_alu instid0(VALU_DEP_3) | instskip(NEXT) | instid1(VALU_DEP_2)
	v_dual_mov_b32 v31, v19 :: v_dual_mov_b32 v30, v18
	s_and_saveexec_b32 s20, s1
; %bb.960:                              ;   in Loop: Header=BB464_8 Depth=1
	v_clz_i32_u32_e32 v30, v18
	s_delay_alu instid0(VALU_DEP_1) | instskip(NEXT) | instid1(VALU_DEP_1)
	v_min_u32_e32 v33, 32, v30
	v_subrev_nc_u32_e32 v30, 28, v33
	v_sub_nc_u32_e32 v33, 29, v33
	s_delay_alu instid0(VALU_DEP_2) | instskip(NEXT) | instid1(VALU_DEP_1)
	v_lshlrev_b64 v[30:31], v30, v[18:19]
	v_and_b32_e32 v30, 7, v30
; %bb.961:                              ;   in Loop: Header=BB464_8 Depth=1
	s_or_b32 exec_lo, exec_lo, s20
	v_lshlrev_b32_e32 v18, 24, v32
	s_delay_alu instid0(VALU_DEP_2) | instskip(SKIP_1) | instid1(VALU_DEP_3)
	v_lshlrev_b32_e32 v30, 20, v30
	v_lshl_add_u32 v31, v33, 23, 0x3c000000
	v_and_b32_e32 v18, 0x80000000, v18
	s_delay_alu instid0(VALU_DEP_1)
	v_or3_b32 v18, v30, v18, v31
.LBB464_962:                            ;   in Loop: Header=BB464_8 Depth=1
	s_or_b32 exec_lo, exec_lo, s19
.LBB464_963:                            ;   in Loop: Header=BB464_8 Depth=1
	s_delay_alu instid0(SALU_CYCLE_1)
	s_or_b32 exec_lo, exec_lo, s18
.LBB464_964:                            ;   in Loop: Header=BB464_8 Depth=1
	s_delay_alu instid0(SALU_CYCLE_1) | instskip(NEXT) | instid1(VALU_DEP_1)
	s_or_b32 exec_lo, exec_lo, s2
	v_mul_f32_e32 v18, v168, v18
                                        ; implicit-def: $vgpr132
	s_delay_alu instid0(VALU_DEP_1) | instskip(NEXT) | instid1(VALU_DEP_1)
	v_and_b32_e32 v30, 0x7f800000, v18
	v_cmp_ne_u32_e64 s1, 0x7f800000, v30
	s_delay_alu instid0(VALU_DEP_1) | instskip(NEXT) | instid1(SALU_CYCLE_1)
	s_and_saveexec_b32 s2, s1
	s_xor_b32 s1, exec_lo, s2
; %bb.965:                              ;   in Loop: Header=BB464_8 Depth=1
	v_bfe_u32 v30, v18, 16, 1
	s_delay_alu instid0(VALU_DEP_1)
	v_add3_u32 v132, v18, v30, 0x7fff
                                        ; implicit-def: $vgpr18
; %bb.966:                              ;   in Loop: Header=BB464_8 Depth=1
	s_and_not1_saveexec_b32 s2, s1
; %bb.967:                              ;   in Loop: Header=BB464_8 Depth=1
	v_and_b32_e32 v30, 0xffff, v18
	v_or_b32_e32 v31, 0x10000, v18
	s_delay_alu instid0(VALU_DEP_2) | instskip(NEXT) | instid1(VALU_DEP_1)
	v_cmp_eq_u32_e64 s1, 0, v30
	v_cndmask_b32_e64 v132, v31, v18, s1
; %bb.968:                              ;   in Loop: Header=BB464_8 Depth=1
	s_or_b32 exec_lo, exec_lo, s2
	flat_load_b64 v[30:31], v[28:29] offset:2560
	v_mov_b32_e32 v18, 0
	s_mov_b32 s2, exec_lo
	s_waitcnt vmcnt(0) lgkmcnt(0)
	v_and_b32_e32 v32, 0xff, v30
	s_delay_alu instid0(VALU_DEP_1)
	v_cmpx_ne_u16_e32 0, v32
	s_cbranch_execz .LBB464_976
; %bb.969:                              ;   in Loop: Header=BB464_8 Depth=1
	v_bfrev_b32_e32 v18, 1
	s_mov_b32 s18, exec_lo
	v_cmpx_ne_u16_e32 0x80, v32
	s_cbranch_execz .LBB464_975
; %bb.970:                              ;   in Loop: Header=BB464_8 Depth=1
	v_and_b32_e32 v32, 0x7f, v30
	v_mov_b32_e32 v18, 0x7f800001
	s_mov_b32 s19, exec_lo
	s_delay_alu instid0(VALU_DEP_2)
	v_cmpx_ne_u32_e32 0x7f, v32
	s_cbranch_execz .LBB464_974
; %bb.971:                              ;   in Loop: Header=BB464_8 Depth=1
	v_lshrrev_b32_e32 v18, 3, v32
	v_cmp_gt_u32_e64 s1, 8, v32
	v_dual_mov_b32 v33, v31 :: v_dual_mov_b32 v32, v30
	s_delay_alu instid0(VALU_DEP_2)
	s_and_saveexec_b32 s20, s1
; %bb.972:                              ;   in Loop: Header=BB464_8 Depth=1
	v_and_b32_e32 v18, 7, v30
	s_delay_alu instid0(VALU_DEP_1) | instskip(NEXT) | instid1(VALU_DEP_1)
	v_clz_i32_u32_e32 v18, v18
	v_min_u32_e32 v18, 32, v18
	s_delay_alu instid0(VALU_DEP_1) | instskip(SKIP_1) | instid1(VALU_DEP_2)
	v_subrev_nc_u32_e32 v32, 28, v18
	v_sub_nc_u32_e32 v18, 29, v18
	v_lshlrev_b64 v[32:33], v32, v[30:31]
; %bb.973:                              ;   in Loop: Header=BB464_8 Depth=1
	s_or_b32 exec_lo, exec_lo, s20
	s_delay_alu instid0(VALU_DEP_1) | instskip(SKIP_2) | instid1(VALU_DEP_3)
	v_lshlrev_b32_e32 v32, 20, v32
	v_lshlrev_b32_e32 v33, 24, v30
	v_lshl_add_u32 v18, v18, 23, 0x3c000000
	v_and_b32_e32 v32, 0x700000, v32
	s_delay_alu instid0(VALU_DEP_3) | instskip(NEXT) | instid1(VALU_DEP_1)
	v_and_b32_e32 v33, 0x80000000, v33
	v_or3_b32 v18, v32, v33, v18
.LBB464_974:                            ;   in Loop: Header=BB464_8 Depth=1
	s_or_b32 exec_lo, exec_lo, s19
.LBB464_975:                            ;   in Loop: Header=BB464_8 Depth=1
	s_delay_alu instid0(SALU_CYCLE_1)
	s_or_b32 exec_lo, exec_lo, s18
.LBB464_976:                            ;   in Loop: Header=BB464_8 Depth=1
	s_delay_alu instid0(SALU_CYCLE_1) | instskip(NEXT) | instid1(VALU_DEP_1)
	s_or_b32 exec_lo, exec_lo, s2
	v_mul_f32_e32 v18, v168, v18
                                        ; implicit-def: $vgpr133
	s_delay_alu instid0(VALU_DEP_1) | instskip(NEXT) | instid1(VALU_DEP_1)
	v_and_b32_e32 v32, 0x7f800000, v18
	v_cmp_ne_u32_e64 s1, 0x7f800000, v32
	s_delay_alu instid0(VALU_DEP_1) | instskip(NEXT) | instid1(SALU_CYCLE_1)
	s_and_saveexec_b32 s2, s1
	s_xor_b32 s1, exec_lo, s2
; %bb.977:                              ;   in Loop: Header=BB464_8 Depth=1
	v_bfe_u32 v32, v18, 16, 1
	s_delay_alu instid0(VALU_DEP_1)
	v_add3_u32 v133, v18, v32, 0x7fff
                                        ; implicit-def: $vgpr18
; %bb.978:                              ;   in Loop: Header=BB464_8 Depth=1
	s_and_not1_saveexec_b32 s2, s1
; %bb.979:                              ;   in Loop: Header=BB464_8 Depth=1
	v_and_b32_e32 v32, 0xffff, v18
	v_or_b32_e32 v33, 0x10000, v18
	s_delay_alu instid0(VALU_DEP_2) | instskip(NEXT) | instid1(VALU_DEP_1)
	v_cmp_eq_u32_e64 s1, 0, v32
	v_cndmask_b32_e64 v133, v33, v18, s1
; %bb.980:                              ;   in Loop: Header=BB464_8 Depth=1
	s_or_b32 exec_lo, exec_lo, s2
	v_lshrrev_b16 v32, 8, v30
	v_mov_b32_e32 v18, 0
	s_mov_b32 s2, exec_lo
	s_delay_alu instid0(VALU_DEP_2)
	v_cmpx_ne_u16_e32 0, v32
	s_cbranch_execz .LBB464_988
; %bb.981:                              ;   in Loop: Header=BB464_8 Depth=1
	v_bfrev_b32_e32 v18, 1
	s_mov_b32 s18, exec_lo
	v_cmpx_ne_u16_e32 0x80, v32
	s_cbranch_execz .LBB464_987
; %bb.982:                              ;   in Loop: Header=BB464_8 Depth=1
	v_and_b32_e32 v33, 0xffff, v32
	v_mov_b32_e32 v18, 0x7f800001
	s_mov_b32 s19, exec_lo
	s_delay_alu instid0(VALU_DEP_2) | instskip(NEXT) | instid1(VALU_DEP_1)
	v_and_b32_e32 v32, 0x7f, v33
	v_cmpx_ne_u32_e32 0x7f, v32
	s_cbranch_execz .LBB464_986
; %bb.983:                              ;   in Loop: Header=BB464_8 Depth=1
	v_and_b32_e32 v18, 7, v33
	v_lshrrev_b32_e32 v134, 3, v32
	v_cmp_gt_u32_e64 s1, 8, v32
	s_delay_alu instid0(VALU_DEP_3) | instskip(NEXT) | instid1(VALU_DEP_2)
	v_dual_mov_b32 v33, v19 :: v_dual_mov_b32 v32, v18
	s_and_saveexec_b32 s20, s1
; %bb.984:                              ;   in Loop: Header=BB464_8 Depth=1
	v_clz_i32_u32_e32 v32, v18
	s_delay_alu instid0(VALU_DEP_1) | instskip(NEXT) | instid1(VALU_DEP_1)
	v_min_u32_e32 v134, 32, v32
	v_subrev_nc_u32_e32 v32, 28, v134
	v_sub_nc_u32_e32 v134, 29, v134
	s_delay_alu instid0(VALU_DEP_2) | instskip(NEXT) | instid1(VALU_DEP_1)
	v_lshlrev_b64 v[32:33], v32, v[18:19]
	v_and_b32_e32 v32, 7, v32
; %bb.985:                              ;   in Loop: Header=BB464_8 Depth=1
	s_or_b32 exec_lo, exec_lo, s20
	v_lshlrev_b32_e32 v18, 16, v30
	s_delay_alu instid0(VALU_DEP_2) | instskip(SKIP_1) | instid1(VALU_DEP_3)
	v_lshlrev_b32_e32 v32, 20, v32
	v_lshl_add_u32 v33, v134, 23, 0x3c000000
	v_and_b32_e32 v18, 0x80000000, v18
	s_delay_alu instid0(VALU_DEP_1)
	v_or3_b32 v18, v32, v18, v33
.LBB464_986:                            ;   in Loop: Header=BB464_8 Depth=1
	s_or_b32 exec_lo, exec_lo, s19
.LBB464_987:                            ;   in Loop: Header=BB464_8 Depth=1
	s_delay_alu instid0(SALU_CYCLE_1)
	s_or_b32 exec_lo, exec_lo, s18
.LBB464_988:                            ;   in Loop: Header=BB464_8 Depth=1
	s_delay_alu instid0(SALU_CYCLE_1) | instskip(NEXT) | instid1(VALU_DEP_1)
	s_or_b32 exec_lo, exec_lo, s2
	v_mul_f32_e32 v18, v168, v18
                                        ; implicit-def: $vgpr134
	s_delay_alu instid0(VALU_DEP_1) | instskip(NEXT) | instid1(VALU_DEP_1)
	v_and_b32_e32 v32, 0x7f800000, v18
	v_cmp_ne_u32_e64 s1, 0x7f800000, v32
	s_delay_alu instid0(VALU_DEP_1) | instskip(NEXT) | instid1(SALU_CYCLE_1)
	s_and_saveexec_b32 s2, s1
	s_xor_b32 s1, exec_lo, s2
; %bb.989:                              ;   in Loop: Header=BB464_8 Depth=1
	v_bfe_u32 v32, v18, 16, 1
	s_delay_alu instid0(VALU_DEP_1)
	v_add3_u32 v134, v18, v32, 0x7fff
                                        ; implicit-def: $vgpr18
; %bb.990:                              ;   in Loop: Header=BB464_8 Depth=1
	s_and_not1_saveexec_b32 s2, s1
; %bb.991:                              ;   in Loop: Header=BB464_8 Depth=1
	v_and_b32_e32 v32, 0xffff, v18
	v_or_b32_e32 v33, 0x10000, v18
	s_delay_alu instid0(VALU_DEP_2) | instskip(NEXT) | instid1(VALU_DEP_1)
	v_cmp_eq_u32_e64 s1, 0, v32
	v_cndmask_b32_e64 v134, v33, v18, s1
; %bb.992:                              ;   in Loop: Header=BB464_8 Depth=1
	s_or_b32 exec_lo, exec_lo, s2
	v_lshrrev_b32_e32 v135, 16, v30
	v_mov_b32_e32 v18, 0
	s_mov_b32 s2, exec_lo
	s_delay_alu instid0(VALU_DEP_2) | instskip(NEXT) | instid1(VALU_DEP_1)
	v_and_b32_e32 v32, 0xff, v135
	v_cmpx_ne_u16_e32 0, v32
	s_cbranch_execz .LBB464_1000
; %bb.993:                              ;   in Loop: Header=BB464_8 Depth=1
	v_bfrev_b32_e32 v18, 1
	s_mov_b32 s18, exec_lo
	v_cmpx_ne_u16_e32 0x80, v32
	s_cbranch_execz .LBB464_999
; %bb.994:                              ;   in Loop: Header=BB464_8 Depth=1
	v_bfe_u32 v32, v30, 16, 7
	v_mov_b32_e32 v18, 0x7f800001
	s_mov_b32 s19, exec_lo
	s_delay_alu instid0(VALU_DEP_2)
	v_cmpx_ne_u32_e32 0x7f, v32
	s_cbranch_execz .LBB464_998
; %bb.995:                              ;   in Loop: Header=BB464_8 Depth=1
	v_and_b32_e32 v18, 7, v135
	v_lshrrev_b32_e32 v144, 3, v32
	v_cmp_gt_u32_e64 s1, 8, v32
	s_delay_alu instid0(VALU_DEP_3) | instskip(NEXT) | instid1(VALU_DEP_2)
	v_dual_mov_b32 v33, v19 :: v_dual_mov_b32 v32, v18
	s_and_saveexec_b32 s20, s1
; %bb.996:                              ;   in Loop: Header=BB464_8 Depth=1
	v_clz_i32_u32_e32 v32, v18
	s_delay_alu instid0(VALU_DEP_1) | instskip(NEXT) | instid1(VALU_DEP_1)
	v_min_u32_e32 v144, 32, v32
	v_subrev_nc_u32_e32 v32, 28, v144
	v_sub_nc_u32_e32 v144, 29, v144
	s_delay_alu instid0(VALU_DEP_2) | instskip(NEXT) | instid1(VALU_DEP_1)
	v_lshlrev_b64 v[32:33], v32, v[18:19]
	v_and_b32_e32 v32, 7, v32
; %bb.997:                              ;   in Loop: Header=BB464_8 Depth=1
	s_or_b32 exec_lo, exec_lo, s20
	v_lshlrev_b32_e32 v18, 24, v135
	s_delay_alu instid0(VALU_DEP_2) | instskip(SKIP_1) | instid1(VALU_DEP_3)
	v_lshlrev_b32_e32 v32, 20, v32
	v_lshl_add_u32 v33, v144, 23, 0x3c000000
	v_and_b32_e32 v18, 0x80000000, v18
	s_delay_alu instid0(VALU_DEP_1)
	v_or3_b32 v18, v32, v18, v33
.LBB464_998:                            ;   in Loop: Header=BB464_8 Depth=1
	s_or_b32 exec_lo, exec_lo, s19
.LBB464_999:                            ;   in Loop: Header=BB464_8 Depth=1
	s_delay_alu instid0(SALU_CYCLE_1)
	s_or_b32 exec_lo, exec_lo, s18
.LBB464_1000:                           ;   in Loop: Header=BB464_8 Depth=1
	s_delay_alu instid0(SALU_CYCLE_1) | instskip(NEXT) | instid1(VALU_DEP_1)
	s_or_b32 exec_lo, exec_lo, s2
	v_mul_f32_e32 v18, v168, v18
                                        ; implicit-def: $vgpr135
	s_delay_alu instid0(VALU_DEP_1) | instskip(NEXT) | instid1(VALU_DEP_1)
	v_and_b32_e32 v32, 0x7f800000, v18
	v_cmp_ne_u32_e64 s1, 0x7f800000, v32
	s_delay_alu instid0(VALU_DEP_1) | instskip(NEXT) | instid1(SALU_CYCLE_1)
	s_and_saveexec_b32 s2, s1
	s_xor_b32 s1, exec_lo, s2
; %bb.1001:                             ;   in Loop: Header=BB464_8 Depth=1
	v_bfe_u32 v32, v18, 16, 1
	s_delay_alu instid0(VALU_DEP_1)
	v_add3_u32 v135, v18, v32, 0x7fff
                                        ; implicit-def: $vgpr18
; %bb.1002:                             ;   in Loop: Header=BB464_8 Depth=1
	s_and_not1_saveexec_b32 s2, s1
; %bb.1003:                             ;   in Loop: Header=BB464_8 Depth=1
	v_and_b32_e32 v32, 0xffff, v18
	v_or_b32_e32 v33, 0x10000, v18
	s_delay_alu instid0(VALU_DEP_2) | instskip(NEXT) | instid1(VALU_DEP_1)
	v_cmp_eq_u32_e64 s1, 0, v32
	v_cndmask_b32_e64 v135, v33, v18, s1
; %bb.1004:                             ;   in Loop: Header=BB464_8 Depth=1
	s_or_b32 exec_lo, exec_lo, s2
	v_mov_b32_e32 v18, 0
	s_mov_b32 s2, exec_lo
	v_cmpx_lt_u32_e32 0xffffff, v30
	s_cbranch_execz .LBB464_1012
; %bb.1005:                             ;   in Loop: Header=BB464_8 Depth=1
	v_lshrrev_b32_e32 v144, 24, v30
	v_bfrev_b32_e32 v18, 1
	s_mov_b32 s18, exec_lo
	s_delay_alu instid0(VALU_DEP_2)
	v_cmpx_ne_u32_e32 0x80, v144
	s_cbranch_execz .LBB464_1011
; %bb.1006:                             ;   in Loop: Header=BB464_8 Depth=1
	v_bfe_u32 v32, v30, 24, 7
	v_mov_b32_e32 v18, 0x7f800001
	s_mov_b32 s19, exec_lo
	s_delay_alu instid0(VALU_DEP_2)
	v_cmpx_ne_u32_e32 0x7f, v32
	s_cbranch_execz .LBB464_1010
; %bb.1007:                             ;   in Loop: Header=BB464_8 Depth=1
	v_and_b32_e32 v18, 7, v144
	v_lshrrev_b32_e32 v145, 3, v32
	v_cmp_gt_u32_e64 s1, 8, v32
	s_delay_alu instid0(VALU_DEP_3) | instskip(NEXT) | instid1(VALU_DEP_2)
	v_dual_mov_b32 v33, v19 :: v_dual_mov_b32 v32, v18
	s_and_saveexec_b32 s20, s1
; %bb.1008:                             ;   in Loop: Header=BB464_8 Depth=1
	v_clz_i32_u32_e32 v32, v18
	s_delay_alu instid0(VALU_DEP_1) | instskip(NEXT) | instid1(VALU_DEP_1)
	v_min_u32_e32 v145, 32, v32
	v_subrev_nc_u32_e32 v32, 28, v145
	v_sub_nc_u32_e32 v145, 29, v145
	s_delay_alu instid0(VALU_DEP_2) | instskip(NEXT) | instid1(VALU_DEP_1)
	v_lshlrev_b64 v[32:33], v32, v[18:19]
	v_and_b32_e32 v32, 7, v32
; %bb.1009:                             ;   in Loop: Header=BB464_8 Depth=1
	s_or_b32 exec_lo, exec_lo, s20
	v_lshlrev_b32_e32 v18, 24, v144
	s_delay_alu instid0(VALU_DEP_2) | instskip(SKIP_1) | instid1(VALU_DEP_3)
	v_lshlrev_b32_e32 v32, 20, v32
	v_lshl_add_u32 v33, v145, 23, 0x3c000000
	v_and_b32_e32 v18, 0x80000000, v18
	s_delay_alu instid0(VALU_DEP_1)
	v_or3_b32 v18, v32, v18, v33
.LBB464_1010:                           ;   in Loop: Header=BB464_8 Depth=1
	s_or_b32 exec_lo, exec_lo, s19
.LBB464_1011:                           ;   in Loop: Header=BB464_8 Depth=1
	s_delay_alu instid0(SALU_CYCLE_1)
	s_or_b32 exec_lo, exec_lo, s18
.LBB464_1012:                           ;   in Loop: Header=BB464_8 Depth=1
	s_delay_alu instid0(SALU_CYCLE_1) | instskip(NEXT) | instid1(VALU_DEP_1)
	s_or_b32 exec_lo, exec_lo, s2
	v_mul_f32_e32 v18, v168, v18
                                        ; implicit-def: $vgpr144
	s_delay_alu instid0(VALU_DEP_1) | instskip(NEXT) | instid1(VALU_DEP_1)
	v_and_b32_e32 v32, 0x7f800000, v18
	v_cmp_ne_u32_e64 s1, 0x7f800000, v32
	s_delay_alu instid0(VALU_DEP_1) | instskip(NEXT) | instid1(SALU_CYCLE_1)
	s_and_saveexec_b32 s2, s1
	s_xor_b32 s1, exec_lo, s2
; %bb.1013:                             ;   in Loop: Header=BB464_8 Depth=1
	v_bfe_u32 v32, v18, 16, 1
	s_delay_alu instid0(VALU_DEP_1)
	v_add3_u32 v144, v18, v32, 0x7fff
                                        ; implicit-def: $vgpr18
; %bb.1014:                             ;   in Loop: Header=BB464_8 Depth=1
	s_and_not1_saveexec_b32 s2, s1
; %bb.1015:                             ;   in Loop: Header=BB464_8 Depth=1
	v_and_b32_e32 v32, 0xffff, v18
	v_or_b32_e32 v33, 0x10000, v18
	s_delay_alu instid0(VALU_DEP_2) | instskip(NEXT) | instid1(VALU_DEP_1)
	v_cmp_eq_u32_e64 s1, 0, v32
	v_cndmask_b32_e64 v144, v33, v18, s1
; %bb.1016:                             ;   in Loop: Header=BB464_8 Depth=1
	s_or_b32 exec_lo, exec_lo, s2
	v_dual_mov_b32 v18, v31 :: v_dual_and_b32 v33, 0xff, v31
	v_mov_b32_e32 v32, 0
	s_mov_b32 s2, exec_lo
	s_delay_alu instid0(VALU_DEP_2)
	v_cmpx_ne_u16_e32 0, v33
	s_cbranch_execz .LBB464_1024
; %bb.1017:                             ;   in Loop: Header=BB464_8 Depth=1
	v_bfrev_b32_e32 v32, 1
	s_mov_b32 s18, exec_lo
	v_cmpx_ne_u16_e32 0x80, v33
	s_cbranch_execz .LBB464_1023
; %bb.1018:                             ;   in Loop: Header=BB464_8 Depth=1
	v_and_b32_e32 v33, 0x7f, v31
	v_mov_b32_e32 v32, 0x7f800001
	s_mov_b32 s19, exec_lo
	s_delay_alu instid0(VALU_DEP_2)
	v_cmpx_ne_u32_e32 0x7f, v33
	s_cbranch_execz .LBB464_1022
; %bb.1019:                             ;   in Loop: Header=BB464_8 Depth=1
	v_lshrrev_b32_e32 v145, 3, v33
	v_cmp_gt_u32_e64 s1, 8, v33
	v_dual_mov_b32 v33, v19 :: v_dual_mov_b32 v32, v18
	s_delay_alu instid0(VALU_DEP_2)
	s_and_saveexec_b32 s20, s1
; %bb.1020:                             ;   in Loop: Header=BB464_8 Depth=1
	v_and_b32_e32 v32, 7, v31
	s_delay_alu instid0(VALU_DEP_1) | instskip(NEXT) | instid1(VALU_DEP_1)
	v_clz_i32_u32_e32 v32, v32
	v_min_u32_e32 v145, 32, v32
	s_delay_alu instid0(VALU_DEP_1) | instskip(SKIP_1) | instid1(VALU_DEP_2)
	v_subrev_nc_u32_e32 v32, 28, v145
	v_sub_nc_u32_e32 v145, 29, v145
	v_lshlrev_b64 v[32:33], v32, v[18:19]
; %bb.1021:                             ;   in Loop: Header=BB464_8 Depth=1
	s_or_b32 exec_lo, exec_lo, s20
	s_delay_alu instid0(VALU_DEP_1) | instskip(SKIP_2) | instid1(VALU_DEP_3)
	v_lshlrev_b32_e32 v32, 20, v32
	v_lshlrev_b32_e32 v33, 24, v18
	v_lshl_add_u32 v145, v145, 23, 0x3c000000
	v_and_b32_e32 v32, 0x700000, v32
	s_delay_alu instid0(VALU_DEP_3) | instskip(NEXT) | instid1(VALU_DEP_1)
	v_and_b32_e32 v33, 0x80000000, v33
	v_or3_b32 v32, v32, v33, v145
.LBB464_1022:                           ;   in Loop: Header=BB464_8 Depth=1
	s_or_b32 exec_lo, exec_lo, s19
.LBB464_1023:                           ;   in Loop: Header=BB464_8 Depth=1
	s_delay_alu instid0(SALU_CYCLE_1)
	s_or_b32 exec_lo, exec_lo, s18
.LBB464_1024:                           ;   in Loop: Header=BB464_8 Depth=1
	s_delay_alu instid0(SALU_CYCLE_1) | instskip(NEXT) | instid1(VALU_DEP_1)
	s_or_b32 exec_lo, exec_lo, s2
	v_mul_f32_e32 v32, v168, v32
                                        ; implicit-def: $vgpr145
	s_delay_alu instid0(VALU_DEP_1) | instskip(NEXT) | instid1(VALU_DEP_1)
	v_and_b32_e32 v33, 0x7f800000, v32
	v_cmp_ne_u32_e64 s1, 0x7f800000, v33
	s_delay_alu instid0(VALU_DEP_1) | instskip(NEXT) | instid1(SALU_CYCLE_1)
	s_and_saveexec_b32 s2, s1
	s_xor_b32 s1, exec_lo, s2
; %bb.1025:                             ;   in Loop: Header=BB464_8 Depth=1
	v_bfe_u32 v33, v32, 16, 1
	s_delay_alu instid0(VALU_DEP_1)
	v_add3_u32 v145, v32, v33, 0x7fff
                                        ; implicit-def: $vgpr32
; %bb.1026:                             ;   in Loop: Header=BB464_8 Depth=1
	s_and_not1_saveexec_b32 s2, s1
; %bb.1027:                             ;   in Loop: Header=BB464_8 Depth=1
	v_and_b32_e32 v33, 0xffff, v32
	v_or_b32_e32 v145, 0x10000, v32
	s_delay_alu instid0(VALU_DEP_2) | instskip(NEXT) | instid1(VALU_DEP_1)
	v_cmp_eq_u32_e64 s1, 0, v33
	v_cndmask_b32_e64 v145, v145, v32, s1
; %bb.1028:                             ;   in Loop: Header=BB464_8 Depth=1
	s_or_b32 exec_lo, exec_lo, s2
	v_lshrrev_b16 v33, 8, v18
	v_mov_b32_e32 v32, 0
	s_mov_b32 s2, exec_lo
	s_delay_alu instid0(VALU_DEP_2)
	v_cmpx_ne_u16_e32 0, v33
	s_cbranch_execz .LBB464_1036
; %bb.1029:                             ;   in Loop: Header=BB464_8 Depth=1
	v_bfrev_b32_e32 v32, 1
	s_mov_b32 s18, exec_lo
	v_cmpx_ne_u16_e32 0x80, v33
	s_cbranch_execz .LBB464_1035
; %bb.1030:                             ;   in Loop: Header=BB464_8 Depth=1
	v_and_b32_e32 v33, 0xffff, v33
	v_mov_b32_e32 v32, 0x7f800001
	s_mov_b32 s19, exec_lo
	s_delay_alu instid0(VALU_DEP_2) | instskip(NEXT) | instid1(VALU_DEP_1)
	v_and_b32_e32 v147, 0x7f, v33
	v_cmpx_ne_u32_e32 0x7f, v147
	s_cbranch_execz .LBB464_1034
; %bb.1031:                             ;   in Loop: Header=BB464_8 Depth=1
	v_dual_mov_b32 v33, v19 :: v_dual_and_b32 v32, 7, v33
	v_lshrrev_b32_e32 v146, 3, v147
	s_mov_b32 s20, exec_lo
	v_cmpx_gt_u32_e32 8, v147
; %bb.1032:                             ;   in Loop: Header=BB464_8 Depth=1
	s_delay_alu instid0(VALU_DEP_3) | instskip(NEXT) | instid1(VALU_DEP_1)
	v_clz_i32_u32_e32 v146, v32
	v_min_u32_e32 v146, 32, v146
	s_delay_alu instid0(VALU_DEP_1) | instskip(SKIP_1) | instid1(VALU_DEP_2)
	v_subrev_nc_u32_e32 v147, 28, v146
	v_sub_nc_u32_e32 v146, 29, v146
	v_lshlrev_b64 v[32:33], v147, v[32:33]
	s_delay_alu instid0(VALU_DEP_1)
	v_and_b32_e32 v32, 7, v32
; %bb.1033:                             ;   in Loop: Header=BB464_8 Depth=1
	s_or_b32 exec_lo, exec_lo, s20
	v_lshlrev_b32_e32 v18, 16, v18
	s_delay_alu instid0(VALU_DEP_2) | instskip(SKIP_1) | instid1(VALU_DEP_3)
	v_lshlrev_b32_e32 v32, 20, v32
	v_lshl_add_u32 v33, v146, 23, 0x3c000000
	v_and_b32_e32 v18, 0x80000000, v18
	s_delay_alu instid0(VALU_DEP_1)
	v_or3_b32 v32, v32, v18, v33
.LBB464_1034:                           ;   in Loop: Header=BB464_8 Depth=1
	s_or_b32 exec_lo, exec_lo, s19
.LBB464_1035:                           ;   in Loop: Header=BB464_8 Depth=1
	s_delay_alu instid0(SALU_CYCLE_1)
	s_or_b32 exec_lo, exec_lo, s18
.LBB464_1036:                           ;   in Loop: Header=BB464_8 Depth=1
	s_delay_alu instid0(SALU_CYCLE_1) | instskip(NEXT) | instid1(VALU_DEP_1)
	s_or_b32 exec_lo, exec_lo, s2
	v_mul_f32_e32 v18, v168, v32
                                        ; implicit-def: $vgpr146
	s_delay_alu instid0(VALU_DEP_1) | instskip(NEXT) | instid1(VALU_DEP_1)
	v_and_b32_e32 v32, 0x7f800000, v18
	v_cmp_ne_u32_e64 s1, 0x7f800000, v32
	s_delay_alu instid0(VALU_DEP_1) | instskip(NEXT) | instid1(SALU_CYCLE_1)
	s_and_saveexec_b32 s2, s1
	s_xor_b32 s1, exec_lo, s2
; %bb.1037:                             ;   in Loop: Header=BB464_8 Depth=1
	v_bfe_u32 v32, v18, 16, 1
	s_delay_alu instid0(VALU_DEP_1)
	v_add3_u32 v146, v18, v32, 0x7fff
                                        ; implicit-def: $vgpr18
; %bb.1038:                             ;   in Loop: Header=BB464_8 Depth=1
	s_and_not1_saveexec_b32 s2, s1
; %bb.1039:                             ;   in Loop: Header=BB464_8 Depth=1
	v_and_b32_e32 v32, 0xffff, v18
	v_or_b32_e32 v33, 0x10000, v18
	s_delay_alu instid0(VALU_DEP_2) | instskip(NEXT) | instid1(VALU_DEP_1)
	v_cmp_eq_u32_e64 s1, 0, v32
	v_cndmask_b32_e64 v146, v33, v18, s1
; %bb.1040:                             ;   in Loop: Header=BB464_8 Depth=1
	s_or_b32 exec_lo, exec_lo, s2
	v_lshrrev_b32_e32 v147, 16, v31
	v_mov_b32_e32 v18, 0
	s_mov_b32 s2, exec_lo
	s_delay_alu instid0(VALU_DEP_2) | instskip(NEXT) | instid1(VALU_DEP_1)
	v_and_b32_e32 v32, 0xff, v147
	v_cmpx_ne_u16_e32 0, v32
	s_cbranch_execz .LBB464_1048
; %bb.1041:                             ;   in Loop: Header=BB464_8 Depth=1
	v_bfrev_b32_e32 v18, 1
	s_mov_b32 s18, exec_lo
	v_cmpx_ne_u16_e32 0x80, v32
	s_cbranch_execz .LBB464_1047
; %bb.1042:                             ;   in Loop: Header=BB464_8 Depth=1
	v_bfe_u32 v32, v31, 16, 7
	v_mov_b32_e32 v18, 0x7f800001
	s_mov_b32 s19, exec_lo
	s_delay_alu instid0(VALU_DEP_2)
	v_cmpx_ne_u32_e32 0x7f, v32
	s_cbranch_execz .LBB464_1046
; %bb.1043:                             ;   in Loop: Header=BB464_8 Depth=1
	v_and_b32_e32 v18, 7, v147
	v_lshrrev_b32_e32 v148, 3, v32
	v_cmp_gt_u32_e64 s1, 8, v32
	s_delay_alu instid0(VALU_DEP_3) | instskip(NEXT) | instid1(VALU_DEP_2)
	v_dual_mov_b32 v33, v19 :: v_dual_mov_b32 v32, v18
	s_and_saveexec_b32 s20, s1
; %bb.1044:                             ;   in Loop: Header=BB464_8 Depth=1
	v_clz_i32_u32_e32 v32, v18
	s_delay_alu instid0(VALU_DEP_1) | instskip(NEXT) | instid1(VALU_DEP_1)
	v_min_u32_e32 v148, 32, v32
	v_subrev_nc_u32_e32 v32, 28, v148
	v_sub_nc_u32_e32 v148, 29, v148
	s_delay_alu instid0(VALU_DEP_2) | instskip(NEXT) | instid1(VALU_DEP_1)
	v_lshlrev_b64 v[32:33], v32, v[18:19]
	v_and_b32_e32 v32, 7, v32
; %bb.1045:                             ;   in Loop: Header=BB464_8 Depth=1
	s_or_b32 exec_lo, exec_lo, s20
	v_lshlrev_b32_e32 v18, 24, v147
	s_delay_alu instid0(VALU_DEP_2) | instskip(SKIP_1) | instid1(VALU_DEP_3)
	v_lshlrev_b32_e32 v32, 20, v32
	v_lshl_add_u32 v33, v148, 23, 0x3c000000
	v_and_b32_e32 v18, 0x80000000, v18
	s_delay_alu instid0(VALU_DEP_1)
	v_or3_b32 v18, v32, v18, v33
.LBB464_1046:                           ;   in Loop: Header=BB464_8 Depth=1
	s_or_b32 exec_lo, exec_lo, s19
.LBB464_1047:                           ;   in Loop: Header=BB464_8 Depth=1
	s_delay_alu instid0(SALU_CYCLE_1)
	s_or_b32 exec_lo, exec_lo, s18
.LBB464_1048:                           ;   in Loop: Header=BB464_8 Depth=1
	s_delay_alu instid0(SALU_CYCLE_1) | instskip(NEXT) | instid1(VALU_DEP_1)
	s_or_b32 exec_lo, exec_lo, s2
	v_mul_f32_e32 v18, v168, v18
                                        ; implicit-def: $vgpr147
	s_delay_alu instid0(VALU_DEP_1) | instskip(NEXT) | instid1(VALU_DEP_1)
	v_and_b32_e32 v32, 0x7f800000, v18
	v_cmp_ne_u32_e64 s1, 0x7f800000, v32
	s_delay_alu instid0(VALU_DEP_1) | instskip(NEXT) | instid1(SALU_CYCLE_1)
	s_and_saveexec_b32 s2, s1
	s_xor_b32 s1, exec_lo, s2
; %bb.1049:                             ;   in Loop: Header=BB464_8 Depth=1
	v_bfe_u32 v32, v18, 16, 1
	s_delay_alu instid0(VALU_DEP_1)
	v_add3_u32 v147, v18, v32, 0x7fff
                                        ; implicit-def: $vgpr18
; %bb.1050:                             ;   in Loop: Header=BB464_8 Depth=1
	s_and_not1_saveexec_b32 s2, s1
; %bb.1051:                             ;   in Loop: Header=BB464_8 Depth=1
	v_and_b32_e32 v32, 0xffff, v18
	v_or_b32_e32 v33, 0x10000, v18
	s_delay_alu instid0(VALU_DEP_2) | instskip(NEXT) | instid1(VALU_DEP_1)
	v_cmp_eq_u32_e64 s1, 0, v32
	v_cndmask_b32_e64 v147, v33, v18, s1
; %bb.1052:                             ;   in Loop: Header=BB464_8 Depth=1
	s_or_b32 exec_lo, exec_lo, s2
	v_mov_b32_e32 v18, 0
	s_mov_b32 s2, exec_lo
	v_cmpx_lt_u64_e64 s[8:9], v[30:31]
	s_cbranch_execz .LBB464_1060
; %bb.1053:                             ;   in Loop: Header=BB464_8 Depth=1
	v_lshrrev_b32_e32 v32, 24, v31
	v_bfrev_b32_e32 v18, 1
	s_mov_b32 s18, exec_lo
	s_delay_alu instid0(VALU_DEP_2)
	v_cmpx_ne_u32_e32 0x80, v32
	s_cbranch_execz .LBB464_1059
; %bb.1054:                             ;   in Loop: Header=BB464_8 Depth=1
	v_bfe_u32 v30, v31, 24, 7
	v_mov_b32_e32 v18, 0x7f800001
	s_mov_b32 s19, exec_lo
	s_delay_alu instid0(VALU_DEP_2)
	v_cmpx_ne_u32_e32 0x7f, v30
	s_cbranch_execz .LBB464_1058
; %bb.1055:                             ;   in Loop: Header=BB464_8 Depth=1
	v_and_b32_e32 v18, 7, v32
	v_lshrrev_b32_e32 v33, 3, v30
	v_cmp_gt_u32_e64 s1, 8, v30
	s_delay_alu instid0(VALU_DEP_3) | instskip(NEXT) | instid1(VALU_DEP_2)
	v_dual_mov_b32 v31, v19 :: v_dual_mov_b32 v30, v18
	s_and_saveexec_b32 s20, s1
; %bb.1056:                             ;   in Loop: Header=BB464_8 Depth=1
	v_clz_i32_u32_e32 v30, v18
	s_delay_alu instid0(VALU_DEP_1) | instskip(NEXT) | instid1(VALU_DEP_1)
	v_min_u32_e32 v33, 32, v30
	v_subrev_nc_u32_e32 v30, 28, v33
	v_sub_nc_u32_e32 v33, 29, v33
	s_delay_alu instid0(VALU_DEP_2) | instskip(NEXT) | instid1(VALU_DEP_1)
	v_lshlrev_b64 v[30:31], v30, v[18:19]
	v_and_b32_e32 v30, 7, v30
; %bb.1057:                             ;   in Loop: Header=BB464_8 Depth=1
	s_or_b32 exec_lo, exec_lo, s20
	v_lshlrev_b32_e32 v18, 24, v32
	s_delay_alu instid0(VALU_DEP_2) | instskip(SKIP_1) | instid1(VALU_DEP_3)
	v_lshlrev_b32_e32 v30, 20, v30
	v_lshl_add_u32 v31, v33, 23, 0x3c000000
	v_and_b32_e32 v18, 0x80000000, v18
	s_delay_alu instid0(VALU_DEP_1)
	v_or3_b32 v18, v30, v18, v31
.LBB464_1058:                           ;   in Loop: Header=BB464_8 Depth=1
	s_or_b32 exec_lo, exec_lo, s19
.LBB464_1059:                           ;   in Loop: Header=BB464_8 Depth=1
	s_delay_alu instid0(SALU_CYCLE_1)
	s_or_b32 exec_lo, exec_lo, s18
.LBB464_1060:                           ;   in Loop: Header=BB464_8 Depth=1
	s_delay_alu instid0(SALU_CYCLE_1) | instskip(NEXT) | instid1(VALU_DEP_1)
	s_or_b32 exec_lo, exec_lo, s2
	v_mul_f32_e32 v18, v168, v18
                                        ; implicit-def: $vgpr148
	s_delay_alu instid0(VALU_DEP_1) | instskip(NEXT) | instid1(VALU_DEP_1)
	v_and_b32_e32 v30, 0x7f800000, v18
	v_cmp_ne_u32_e64 s1, 0x7f800000, v30
	s_delay_alu instid0(VALU_DEP_1) | instskip(NEXT) | instid1(SALU_CYCLE_1)
	s_and_saveexec_b32 s2, s1
	s_xor_b32 s1, exec_lo, s2
; %bb.1061:                             ;   in Loop: Header=BB464_8 Depth=1
	v_bfe_u32 v30, v18, 16, 1
	s_delay_alu instid0(VALU_DEP_1)
	v_add3_u32 v148, v18, v30, 0x7fff
                                        ; implicit-def: $vgpr18
; %bb.1062:                             ;   in Loop: Header=BB464_8 Depth=1
	s_and_not1_saveexec_b32 s2, s1
; %bb.1063:                             ;   in Loop: Header=BB464_8 Depth=1
	v_and_b32_e32 v30, 0xffff, v18
	v_or_b32_e32 v31, 0x10000, v18
	s_delay_alu instid0(VALU_DEP_2) | instskip(NEXT) | instid1(VALU_DEP_1)
	v_cmp_eq_u32_e64 s1, 0, v30
	v_cndmask_b32_e64 v148, v31, v18, s1
; %bb.1064:                             ;   in Loop: Header=BB464_8 Depth=1
	s_or_b32 exec_lo, exec_lo, s2
	flat_load_b64 v[30:31], v[28:29] offset:2568
	v_mov_b32_e32 v18, 0
	s_mov_b32 s2, exec_lo
	s_waitcnt vmcnt(0) lgkmcnt(0)
	v_and_b32_e32 v32, 0xff, v30
	s_delay_alu instid0(VALU_DEP_1)
	v_cmpx_ne_u16_e32 0, v32
	s_cbranch_execz .LBB464_1072
; %bb.1065:                             ;   in Loop: Header=BB464_8 Depth=1
	v_bfrev_b32_e32 v18, 1
	s_mov_b32 s18, exec_lo
	v_cmpx_ne_u16_e32 0x80, v32
	s_cbranch_execz .LBB464_1071
; %bb.1066:                             ;   in Loop: Header=BB464_8 Depth=1
	v_and_b32_e32 v32, 0x7f, v30
	v_mov_b32_e32 v18, 0x7f800001
	s_mov_b32 s19, exec_lo
	s_delay_alu instid0(VALU_DEP_2)
	v_cmpx_ne_u32_e32 0x7f, v32
	s_cbranch_execz .LBB464_1070
; %bb.1067:                             ;   in Loop: Header=BB464_8 Depth=1
	v_lshrrev_b32_e32 v18, 3, v32
	v_cmp_gt_u32_e64 s1, 8, v32
	v_dual_mov_b32 v33, v31 :: v_dual_mov_b32 v32, v30
	s_delay_alu instid0(VALU_DEP_2)
	s_and_saveexec_b32 s20, s1
; %bb.1068:                             ;   in Loop: Header=BB464_8 Depth=1
	v_and_b32_e32 v18, 7, v30
	s_delay_alu instid0(VALU_DEP_1) | instskip(NEXT) | instid1(VALU_DEP_1)
	v_clz_i32_u32_e32 v18, v18
	v_min_u32_e32 v18, 32, v18
	s_delay_alu instid0(VALU_DEP_1) | instskip(SKIP_1) | instid1(VALU_DEP_2)
	v_subrev_nc_u32_e32 v32, 28, v18
	v_sub_nc_u32_e32 v18, 29, v18
	v_lshlrev_b64 v[32:33], v32, v[30:31]
; %bb.1069:                             ;   in Loop: Header=BB464_8 Depth=1
	s_or_b32 exec_lo, exec_lo, s20
	s_delay_alu instid0(VALU_DEP_1) | instskip(SKIP_2) | instid1(VALU_DEP_3)
	v_lshlrev_b32_e32 v32, 20, v32
	v_lshlrev_b32_e32 v33, 24, v30
	v_lshl_add_u32 v18, v18, 23, 0x3c000000
	v_and_b32_e32 v32, 0x700000, v32
	s_delay_alu instid0(VALU_DEP_3) | instskip(NEXT) | instid1(VALU_DEP_1)
	v_and_b32_e32 v33, 0x80000000, v33
	v_or3_b32 v18, v32, v33, v18
.LBB464_1070:                           ;   in Loop: Header=BB464_8 Depth=1
	s_or_b32 exec_lo, exec_lo, s19
.LBB464_1071:                           ;   in Loop: Header=BB464_8 Depth=1
	s_delay_alu instid0(SALU_CYCLE_1)
	s_or_b32 exec_lo, exec_lo, s18
.LBB464_1072:                           ;   in Loop: Header=BB464_8 Depth=1
	s_delay_alu instid0(SALU_CYCLE_1) | instskip(NEXT) | instid1(VALU_DEP_1)
	s_or_b32 exec_lo, exec_lo, s2
	v_mul_f32_e32 v18, v168, v18
                                        ; implicit-def: $vgpr149
	s_delay_alu instid0(VALU_DEP_1) | instskip(NEXT) | instid1(VALU_DEP_1)
	v_and_b32_e32 v32, 0x7f800000, v18
	v_cmp_ne_u32_e64 s1, 0x7f800000, v32
	s_delay_alu instid0(VALU_DEP_1) | instskip(NEXT) | instid1(SALU_CYCLE_1)
	s_and_saveexec_b32 s2, s1
	s_xor_b32 s1, exec_lo, s2
; %bb.1073:                             ;   in Loop: Header=BB464_8 Depth=1
	v_bfe_u32 v32, v18, 16, 1
	s_delay_alu instid0(VALU_DEP_1)
	v_add3_u32 v149, v18, v32, 0x7fff
                                        ; implicit-def: $vgpr18
; %bb.1074:                             ;   in Loop: Header=BB464_8 Depth=1
	s_and_not1_saveexec_b32 s2, s1
; %bb.1075:                             ;   in Loop: Header=BB464_8 Depth=1
	v_and_b32_e32 v32, 0xffff, v18
	v_or_b32_e32 v33, 0x10000, v18
	s_delay_alu instid0(VALU_DEP_2) | instskip(NEXT) | instid1(VALU_DEP_1)
	v_cmp_eq_u32_e64 s1, 0, v32
	v_cndmask_b32_e64 v149, v33, v18, s1
; %bb.1076:                             ;   in Loop: Header=BB464_8 Depth=1
	s_or_b32 exec_lo, exec_lo, s2
	v_lshrrev_b16 v32, 8, v30
	v_mov_b32_e32 v18, 0
	s_mov_b32 s2, exec_lo
	s_delay_alu instid0(VALU_DEP_2)
	v_cmpx_ne_u16_e32 0, v32
	s_cbranch_execz .LBB464_1084
; %bb.1077:                             ;   in Loop: Header=BB464_8 Depth=1
	v_bfrev_b32_e32 v18, 1
	s_mov_b32 s18, exec_lo
	v_cmpx_ne_u16_e32 0x80, v32
	s_cbranch_execz .LBB464_1083
; %bb.1078:                             ;   in Loop: Header=BB464_8 Depth=1
	v_and_b32_e32 v33, 0xffff, v32
	v_mov_b32_e32 v18, 0x7f800001
	s_mov_b32 s19, exec_lo
	s_delay_alu instid0(VALU_DEP_2) | instskip(NEXT) | instid1(VALU_DEP_1)
	v_and_b32_e32 v32, 0x7f, v33
	v_cmpx_ne_u32_e32 0x7f, v32
	s_cbranch_execz .LBB464_1082
; %bb.1079:                             ;   in Loop: Header=BB464_8 Depth=1
	v_and_b32_e32 v18, 7, v33
	v_lshrrev_b32_e32 v150, 3, v32
	v_cmp_gt_u32_e64 s1, 8, v32
	s_delay_alu instid0(VALU_DEP_3) | instskip(NEXT) | instid1(VALU_DEP_2)
	v_dual_mov_b32 v33, v19 :: v_dual_mov_b32 v32, v18
	s_and_saveexec_b32 s20, s1
; %bb.1080:                             ;   in Loop: Header=BB464_8 Depth=1
	v_clz_i32_u32_e32 v32, v18
	s_delay_alu instid0(VALU_DEP_1) | instskip(NEXT) | instid1(VALU_DEP_1)
	v_min_u32_e32 v150, 32, v32
	v_subrev_nc_u32_e32 v32, 28, v150
	v_sub_nc_u32_e32 v150, 29, v150
	s_delay_alu instid0(VALU_DEP_2) | instskip(NEXT) | instid1(VALU_DEP_1)
	v_lshlrev_b64 v[32:33], v32, v[18:19]
	v_and_b32_e32 v32, 7, v32
; %bb.1081:                             ;   in Loop: Header=BB464_8 Depth=1
	s_or_b32 exec_lo, exec_lo, s20
	v_lshlrev_b32_e32 v18, 16, v30
	s_delay_alu instid0(VALU_DEP_2) | instskip(SKIP_1) | instid1(VALU_DEP_3)
	v_lshlrev_b32_e32 v32, 20, v32
	v_lshl_add_u32 v33, v150, 23, 0x3c000000
	v_and_b32_e32 v18, 0x80000000, v18
	s_delay_alu instid0(VALU_DEP_1)
	v_or3_b32 v18, v32, v18, v33
.LBB464_1082:                           ;   in Loop: Header=BB464_8 Depth=1
	s_or_b32 exec_lo, exec_lo, s19
.LBB464_1083:                           ;   in Loop: Header=BB464_8 Depth=1
	s_delay_alu instid0(SALU_CYCLE_1)
	s_or_b32 exec_lo, exec_lo, s18
.LBB464_1084:                           ;   in Loop: Header=BB464_8 Depth=1
	s_delay_alu instid0(SALU_CYCLE_1) | instskip(NEXT) | instid1(VALU_DEP_1)
	s_or_b32 exec_lo, exec_lo, s2
	v_mul_f32_e32 v18, v168, v18
                                        ; implicit-def: $vgpr150
	s_delay_alu instid0(VALU_DEP_1) | instskip(NEXT) | instid1(VALU_DEP_1)
	v_and_b32_e32 v32, 0x7f800000, v18
	v_cmp_ne_u32_e64 s1, 0x7f800000, v32
	s_delay_alu instid0(VALU_DEP_1) | instskip(NEXT) | instid1(SALU_CYCLE_1)
	s_and_saveexec_b32 s2, s1
	s_xor_b32 s1, exec_lo, s2
; %bb.1085:                             ;   in Loop: Header=BB464_8 Depth=1
	v_bfe_u32 v32, v18, 16, 1
	s_delay_alu instid0(VALU_DEP_1)
	v_add3_u32 v150, v18, v32, 0x7fff
                                        ; implicit-def: $vgpr18
; %bb.1086:                             ;   in Loop: Header=BB464_8 Depth=1
	s_and_not1_saveexec_b32 s2, s1
; %bb.1087:                             ;   in Loop: Header=BB464_8 Depth=1
	v_and_b32_e32 v32, 0xffff, v18
	v_or_b32_e32 v33, 0x10000, v18
	s_delay_alu instid0(VALU_DEP_2) | instskip(NEXT) | instid1(VALU_DEP_1)
	v_cmp_eq_u32_e64 s1, 0, v32
	v_cndmask_b32_e64 v150, v33, v18, s1
; %bb.1088:                             ;   in Loop: Header=BB464_8 Depth=1
	s_or_b32 exec_lo, exec_lo, s2
	v_lshrrev_b32_e32 v151, 16, v30
	v_mov_b32_e32 v18, 0
	s_mov_b32 s2, exec_lo
	s_delay_alu instid0(VALU_DEP_2) | instskip(NEXT) | instid1(VALU_DEP_1)
	v_and_b32_e32 v32, 0xff, v151
	v_cmpx_ne_u16_e32 0, v32
	s_cbranch_execz .LBB464_1096
; %bb.1089:                             ;   in Loop: Header=BB464_8 Depth=1
	v_bfrev_b32_e32 v18, 1
	s_mov_b32 s18, exec_lo
	v_cmpx_ne_u16_e32 0x80, v32
	s_cbranch_execz .LBB464_1095
; %bb.1090:                             ;   in Loop: Header=BB464_8 Depth=1
	v_bfe_u32 v32, v30, 16, 7
	v_mov_b32_e32 v18, 0x7f800001
	s_mov_b32 s19, exec_lo
	s_delay_alu instid0(VALU_DEP_2)
	v_cmpx_ne_u32_e32 0x7f, v32
	s_cbranch_execz .LBB464_1094
; %bb.1091:                             ;   in Loop: Header=BB464_8 Depth=1
	v_and_b32_e32 v18, 7, v151
	v_lshrrev_b32_e32 v160, 3, v32
	v_cmp_gt_u32_e64 s1, 8, v32
	s_delay_alu instid0(VALU_DEP_3) | instskip(NEXT) | instid1(VALU_DEP_2)
	v_dual_mov_b32 v33, v19 :: v_dual_mov_b32 v32, v18
	s_and_saveexec_b32 s20, s1
; %bb.1092:                             ;   in Loop: Header=BB464_8 Depth=1
	v_clz_i32_u32_e32 v32, v18
	s_delay_alu instid0(VALU_DEP_1) | instskip(NEXT) | instid1(VALU_DEP_1)
	v_min_u32_e32 v160, 32, v32
	v_subrev_nc_u32_e32 v32, 28, v160
	v_sub_nc_u32_e32 v160, 29, v160
	s_delay_alu instid0(VALU_DEP_2) | instskip(NEXT) | instid1(VALU_DEP_1)
	v_lshlrev_b64 v[32:33], v32, v[18:19]
	v_and_b32_e32 v32, 7, v32
; %bb.1093:                             ;   in Loop: Header=BB464_8 Depth=1
	s_or_b32 exec_lo, exec_lo, s20
	v_lshlrev_b32_e32 v18, 24, v151
	s_delay_alu instid0(VALU_DEP_2) | instskip(SKIP_1) | instid1(VALU_DEP_3)
	v_lshlrev_b32_e32 v32, 20, v32
	v_lshl_add_u32 v33, v160, 23, 0x3c000000
	v_and_b32_e32 v18, 0x80000000, v18
	s_delay_alu instid0(VALU_DEP_1)
	v_or3_b32 v18, v32, v18, v33
.LBB464_1094:                           ;   in Loop: Header=BB464_8 Depth=1
	s_or_b32 exec_lo, exec_lo, s19
.LBB464_1095:                           ;   in Loop: Header=BB464_8 Depth=1
	s_delay_alu instid0(SALU_CYCLE_1)
	s_or_b32 exec_lo, exec_lo, s18
.LBB464_1096:                           ;   in Loop: Header=BB464_8 Depth=1
	s_delay_alu instid0(SALU_CYCLE_1) | instskip(NEXT) | instid1(VALU_DEP_1)
	s_or_b32 exec_lo, exec_lo, s2
	v_mul_f32_e32 v18, v168, v18
                                        ; implicit-def: $vgpr151
	s_delay_alu instid0(VALU_DEP_1) | instskip(NEXT) | instid1(VALU_DEP_1)
	v_and_b32_e32 v32, 0x7f800000, v18
	v_cmp_ne_u32_e64 s1, 0x7f800000, v32
	s_delay_alu instid0(VALU_DEP_1) | instskip(NEXT) | instid1(SALU_CYCLE_1)
	s_and_saveexec_b32 s2, s1
	s_xor_b32 s1, exec_lo, s2
; %bb.1097:                             ;   in Loop: Header=BB464_8 Depth=1
	v_bfe_u32 v32, v18, 16, 1
	s_delay_alu instid0(VALU_DEP_1)
	v_add3_u32 v151, v18, v32, 0x7fff
                                        ; implicit-def: $vgpr18
; %bb.1098:                             ;   in Loop: Header=BB464_8 Depth=1
	s_and_not1_saveexec_b32 s2, s1
; %bb.1099:                             ;   in Loop: Header=BB464_8 Depth=1
	v_and_b32_e32 v32, 0xffff, v18
	v_or_b32_e32 v33, 0x10000, v18
	s_delay_alu instid0(VALU_DEP_2) | instskip(NEXT) | instid1(VALU_DEP_1)
	v_cmp_eq_u32_e64 s1, 0, v32
	v_cndmask_b32_e64 v151, v33, v18, s1
; %bb.1100:                             ;   in Loop: Header=BB464_8 Depth=1
	s_or_b32 exec_lo, exec_lo, s2
	v_mov_b32_e32 v18, 0
	s_mov_b32 s2, exec_lo
	v_cmpx_lt_u32_e32 0xffffff, v30
	s_cbranch_execz .LBB464_1108
; %bb.1101:                             ;   in Loop: Header=BB464_8 Depth=1
	v_lshrrev_b32_e32 v160, 24, v30
	v_bfrev_b32_e32 v18, 1
	s_mov_b32 s18, exec_lo
	s_delay_alu instid0(VALU_DEP_2)
	v_cmpx_ne_u32_e32 0x80, v160
	s_cbranch_execz .LBB464_1107
; %bb.1102:                             ;   in Loop: Header=BB464_8 Depth=1
	v_bfe_u32 v32, v30, 24, 7
	v_mov_b32_e32 v18, 0x7f800001
	s_mov_b32 s19, exec_lo
	s_delay_alu instid0(VALU_DEP_2)
	v_cmpx_ne_u32_e32 0x7f, v32
	s_cbranch_execz .LBB464_1106
; %bb.1103:                             ;   in Loop: Header=BB464_8 Depth=1
	v_and_b32_e32 v18, 7, v160
	v_lshrrev_b32_e32 v161, 3, v32
	v_cmp_gt_u32_e64 s1, 8, v32
	s_delay_alu instid0(VALU_DEP_3) | instskip(NEXT) | instid1(VALU_DEP_2)
	v_dual_mov_b32 v33, v19 :: v_dual_mov_b32 v32, v18
	s_and_saveexec_b32 s20, s1
; %bb.1104:                             ;   in Loop: Header=BB464_8 Depth=1
	v_clz_i32_u32_e32 v32, v18
	s_delay_alu instid0(VALU_DEP_1) | instskip(NEXT) | instid1(VALU_DEP_1)
	v_min_u32_e32 v161, 32, v32
	v_subrev_nc_u32_e32 v32, 28, v161
	v_sub_nc_u32_e32 v161, 29, v161
	s_delay_alu instid0(VALU_DEP_2) | instskip(NEXT) | instid1(VALU_DEP_1)
	v_lshlrev_b64 v[32:33], v32, v[18:19]
	v_and_b32_e32 v32, 7, v32
; %bb.1105:                             ;   in Loop: Header=BB464_8 Depth=1
	s_or_b32 exec_lo, exec_lo, s20
	v_lshlrev_b32_e32 v18, 24, v160
	s_delay_alu instid0(VALU_DEP_2) | instskip(SKIP_1) | instid1(VALU_DEP_3)
	v_lshlrev_b32_e32 v32, 20, v32
	v_lshl_add_u32 v33, v161, 23, 0x3c000000
	v_and_b32_e32 v18, 0x80000000, v18
	s_delay_alu instid0(VALU_DEP_1)
	v_or3_b32 v18, v32, v18, v33
.LBB464_1106:                           ;   in Loop: Header=BB464_8 Depth=1
	s_or_b32 exec_lo, exec_lo, s19
.LBB464_1107:                           ;   in Loop: Header=BB464_8 Depth=1
	s_delay_alu instid0(SALU_CYCLE_1)
	s_or_b32 exec_lo, exec_lo, s18
.LBB464_1108:                           ;   in Loop: Header=BB464_8 Depth=1
	s_delay_alu instid0(SALU_CYCLE_1) | instskip(NEXT) | instid1(VALU_DEP_1)
	s_or_b32 exec_lo, exec_lo, s2
	v_mul_f32_e32 v18, v168, v18
                                        ; implicit-def: $vgpr160
	s_delay_alu instid0(VALU_DEP_1) | instskip(NEXT) | instid1(VALU_DEP_1)
	v_and_b32_e32 v32, 0x7f800000, v18
	v_cmp_ne_u32_e64 s1, 0x7f800000, v32
	s_delay_alu instid0(VALU_DEP_1) | instskip(NEXT) | instid1(SALU_CYCLE_1)
	s_and_saveexec_b32 s2, s1
	s_xor_b32 s1, exec_lo, s2
; %bb.1109:                             ;   in Loop: Header=BB464_8 Depth=1
	v_bfe_u32 v32, v18, 16, 1
	s_delay_alu instid0(VALU_DEP_1)
	v_add3_u32 v160, v18, v32, 0x7fff
                                        ; implicit-def: $vgpr18
; %bb.1110:                             ;   in Loop: Header=BB464_8 Depth=1
	s_and_not1_saveexec_b32 s2, s1
; %bb.1111:                             ;   in Loop: Header=BB464_8 Depth=1
	v_and_b32_e32 v32, 0xffff, v18
	v_or_b32_e32 v33, 0x10000, v18
	s_delay_alu instid0(VALU_DEP_2) | instskip(NEXT) | instid1(VALU_DEP_1)
	v_cmp_eq_u32_e64 s1, 0, v32
	v_cndmask_b32_e64 v160, v33, v18, s1
; %bb.1112:                             ;   in Loop: Header=BB464_8 Depth=1
	s_or_b32 exec_lo, exec_lo, s2
	v_dual_mov_b32 v18, v31 :: v_dual_and_b32 v33, 0xff, v31
	v_mov_b32_e32 v32, 0
	s_mov_b32 s2, exec_lo
	s_delay_alu instid0(VALU_DEP_2)
	v_cmpx_ne_u16_e32 0, v33
	s_cbranch_execz .LBB464_1120
; %bb.1113:                             ;   in Loop: Header=BB464_8 Depth=1
	v_bfrev_b32_e32 v32, 1
	s_mov_b32 s18, exec_lo
	v_cmpx_ne_u16_e32 0x80, v33
	s_cbranch_execz .LBB464_1119
; %bb.1114:                             ;   in Loop: Header=BB464_8 Depth=1
	v_and_b32_e32 v33, 0x7f, v31
	v_mov_b32_e32 v32, 0x7f800001
	s_mov_b32 s19, exec_lo
	s_delay_alu instid0(VALU_DEP_2)
	v_cmpx_ne_u32_e32 0x7f, v33
	s_cbranch_execz .LBB464_1118
; %bb.1115:                             ;   in Loop: Header=BB464_8 Depth=1
	v_lshrrev_b32_e32 v161, 3, v33
	v_cmp_gt_u32_e64 s1, 8, v33
	v_dual_mov_b32 v33, v19 :: v_dual_mov_b32 v32, v18
	s_delay_alu instid0(VALU_DEP_2)
	s_and_saveexec_b32 s20, s1
; %bb.1116:                             ;   in Loop: Header=BB464_8 Depth=1
	v_and_b32_e32 v32, 7, v31
	s_delay_alu instid0(VALU_DEP_1) | instskip(NEXT) | instid1(VALU_DEP_1)
	v_clz_i32_u32_e32 v32, v32
	v_min_u32_e32 v161, 32, v32
	s_delay_alu instid0(VALU_DEP_1) | instskip(SKIP_1) | instid1(VALU_DEP_2)
	v_subrev_nc_u32_e32 v32, 28, v161
	v_sub_nc_u32_e32 v161, 29, v161
	v_lshlrev_b64 v[32:33], v32, v[18:19]
; %bb.1117:                             ;   in Loop: Header=BB464_8 Depth=1
	s_or_b32 exec_lo, exec_lo, s20
	s_delay_alu instid0(VALU_DEP_1) | instskip(SKIP_2) | instid1(VALU_DEP_3)
	v_lshlrev_b32_e32 v32, 20, v32
	v_lshlrev_b32_e32 v33, 24, v18
	v_lshl_add_u32 v161, v161, 23, 0x3c000000
	v_and_b32_e32 v32, 0x700000, v32
	s_delay_alu instid0(VALU_DEP_3) | instskip(NEXT) | instid1(VALU_DEP_1)
	v_and_b32_e32 v33, 0x80000000, v33
	v_or3_b32 v32, v32, v33, v161
.LBB464_1118:                           ;   in Loop: Header=BB464_8 Depth=1
	s_or_b32 exec_lo, exec_lo, s19
.LBB464_1119:                           ;   in Loop: Header=BB464_8 Depth=1
	s_delay_alu instid0(SALU_CYCLE_1)
	s_or_b32 exec_lo, exec_lo, s18
.LBB464_1120:                           ;   in Loop: Header=BB464_8 Depth=1
	s_delay_alu instid0(SALU_CYCLE_1) | instskip(NEXT) | instid1(VALU_DEP_1)
	s_or_b32 exec_lo, exec_lo, s2
	v_mul_f32_e32 v32, v168, v32
                                        ; implicit-def: $vgpr161
	s_delay_alu instid0(VALU_DEP_1) | instskip(NEXT) | instid1(VALU_DEP_1)
	v_and_b32_e32 v33, 0x7f800000, v32
	v_cmp_ne_u32_e64 s1, 0x7f800000, v33
	s_delay_alu instid0(VALU_DEP_1) | instskip(NEXT) | instid1(SALU_CYCLE_1)
	s_and_saveexec_b32 s2, s1
	s_xor_b32 s1, exec_lo, s2
; %bb.1121:                             ;   in Loop: Header=BB464_8 Depth=1
	v_bfe_u32 v33, v32, 16, 1
	s_delay_alu instid0(VALU_DEP_1)
	v_add3_u32 v161, v32, v33, 0x7fff
                                        ; implicit-def: $vgpr32
; %bb.1122:                             ;   in Loop: Header=BB464_8 Depth=1
	s_and_not1_saveexec_b32 s2, s1
; %bb.1123:                             ;   in Loop: Header=BB464_8 Depth=1
	v_and_b32_e32 v33, 0xffff, v32
	v_or_b32_e32 v161, 0x10000, v32
	s_delay_alu instid0(VALU_DEP_2) | instskip(NEXT) | instid1(VALU_DEP_1)
	v_cmp_eq_u32_e64 s1, 0, v33
	v_cndmask_b32_e64 v161, v161, v32, s1
; %bb.1124:                             ;   in Loop: Header=BB464_8 Depth=1
	s_or_b32 exec_lo, exec_lo, s2
	v_lshrrev_b16 v33, 8, v18
	v_mov_b32_e32 v32, 0
	s_mov_b32 s2, exec_lo
	s_delay_alu instid0(VALU_DEP_2)
	v_cmpx_ne_u16_e32 0, v33
	s_cbranch_execz .LBB464_1132
; %bb.1125:                             ;   in Loop: Header=BB464_8 Depth=1
	v_bfrev_b32_e32 v32, 1
	s_mov_b32 s18, exec_lo
	v_cmpx_ne_u16_e32 0x80, v33
	s_cbranch_execz .LBB464_1131
; %bb.1126:                             ;   in Loop: Header=BB464_8 Depth=1
	v_and_b32_e32 v33, 0xffff, v33
	v_mov_b32_e32 v32, 0x7f800001
	s_mov_b32 s19, exec_lo
	s_delay_alu instid0(VALU_DEP_2) | instskip(NEXT) | instid1(VALU_DEP_1)
	v_and_b32_e32 v163, 0x7f, v33
	v_cmpx_ne_u32_e32 0x7f, v163
	s_cbranch_execz .LBB464_1130
; %bb.1127:                             ;   in Loop: Header=BB464_8 Depth=1
	v_dual_mov_b32 v33, v19 :: v_dual_and_b32 v32, 7, v33
	v_lshrrev_b32_e32 v162, 3, v163
	s_mov_b32 s20, exec_lo
	v_cmpx_gt_u32_e32 8, v163
; %bb.1128:                             ;   in Loop: Header=BB464_8 Depth=1
	s_delay_alu instid0(VALU_DEP_3) | instskip(NEXT) | instid1(VALU_DEP_1)
	v_clz_i32_u32_e32 v162, v32
	v_min_u32_e32 v162, 32, v162
	s_delay_alu instid0(VALU_DEP_1) | instskip(SKIP_1) | instid1(VALU_DEP_2)
	v_subrev_nc_u32_e32 v163, 28, v162
	v_sub_nc_u32_e32 v162, 29, v162
	v_lshlrev_b64 v[32:33], v163, v[32:33]
	s_delay_alu instid0(VALU_DEP_1)
	v_and_b32_e32 v32, 7, v32
; %bb.1129:                             ;   in Loop: Header=BB464_8 Depth=1
	s_or_b32 exec_lo, exec_lo, s20
	v_lshlrev_b32_e32 v18, 16, v18
	s_delay_alu instid0(VALU_DEP_2) | instskip(SKIP_1) | instid1(VALU_DEP_3)
	v_lshlrev_b32_e32 v32, 20, v32
	v_lshl_add_u32 v33, v162, 23, 0x3c000000
	v_and_b32_e32 v18, 0x80000000, v18
	s_delay_alu instid0(VALU_DEP_1)
	v_or3_b32 v32, v32, v18, v33
.LBB464_1130:                           ;   in Loop: Header=BB464_8 Depth=1
	s_or_b32 exec_lo, exec_lo, s19
.LBB464_1131:                           ;   in Loop: Header=BB464_8 Depth=1
	s_delay_alu instid0(SALU_CYCLE_1)
	s_or_b32 exec_lo, exec_lo, s18
.LBB464_1132:                           ;   in Loop: Header=BB464_8 Depth=1
	s_delay_alu instid0(SALU_CYCLE_1) | instskip(NEXT) | instid1(VALU_DEP_1)
	s_or_b32 exec_lo, exec_lo, s2
	v_mul_f32_e32 v18, v168, v32
                                        ; implicit-def: $vgpr162
	s_delay_alu instid0(VALU_DEP_1) | instskip(NEXT) | instid1(VALU_DEP_1)
	v_and_b32_e32 v32, 0x7f800000, v18
	v_cmp_ne_u32_e64 s1, 0x7f800000, v32
	s_delay_alu instid0(VALU_DEP_1) | instskip(NEXT) | instid1(SALU_CYCLE_1)
	s_and_saveexec_b32 s2, s1
	s_xor_b32 s1, exec_lo, s2
; %bb.1133:                             ;   in Loop: Header=BB464_8 Depth=1
	v_bfe_u32 v32, v18, 16, 1
	s_delay_alu instid0(VALU_DEP_1)
	v_add3_u32 v162, v18, v32, 0x7fff
                                        ; implicit-def: $vgpr18
; %bb.1134:                             ;   in Loop: Header=BB464_8 Depth=1
	s_and_not1_saveexec_b32 s2, s1
; %bb.1135:                             ;   in Loop: Header=BB464_8 Depth=1
	v_and_b32_e32 v32, 0xffff, v18
	v_or_b32_e32 v33, 0x10000, v18
	s_delay_alu instid0(VALU_DEP_2) | instskip(NEXT) | instid1(VALU_DEP_1)
	v_cmp_eq_u32_e64 s1, 0, v32
	v_cndmask_b32_e64 v162, v33, v18, s1
; %bb.1136:                             ;   in Loop: Header=BB464_8 Depth=1
	s_or_b32 exec_lo, exec_lo, s2
	v_lshrrev_b32_e32 v163, 16, v31
	v_mov_b32_e32 v18, 0
	s_mov_b32 s2, exec_lo
	s_delay_alu instid0(VALU_DEP_2) | instskip(NEXT) | instid1(VALU_DEP_1)
	v_and_b32_e32 v32, 0xff, v163
	v_cmpx_ne_u16_e32 0, v32
	s_cbranch_execz .LBB464_1144
; %bb.1137:                             ;   in Loop: Header=BB464_8 Depth=1
	v_bfrev_b32_e32 v18, 1
	s_mov_b32 s18, exec_lo
	v_cmpx_ne_u16_e32 0x80, v32
	s_cbranch_execz .LBB464_1143
; %bb.1138:                             ;   in Loop: Header=BB464_8 Depth=1
	v_bfe_u32 v32, v31, 16, 7
	v_mov_b32_e32 v18, 0x7f800001
	s_mov_b32 s19, exec_lo
	s_delay_alu instid0(VALU_DEP_2)
	v_cmpx_ne_u32_e32 0x7f, v32
	s_cbranch_execz .LBB464_1142
; %bb.1139:                             ;   in Loop: Header=BB464_8 Depth=1
	v_and_b32_e32 v18, 7, v163
	v_lshrrev_b32_e32 v164, 3, v32
	v_cmp_gt_u32_e64 s1, 8, v32
	s_delay_alu instid0(VALU_DEP_3) | instskip(NEXT) | instid1(VALU_DEP_2)
	v_dual_mov_b32 v33, v19 :: v_dual_mov_b32 v32, v18
	s_and_saveexec_b32 s20, s1
; %bb.1140:                             ;   in Loop: Header=BB464_8 Depth=1
	v_clz_i32_u32_e32 v32, v18
	s_delay_alu instid0(VALU_DEP_1) | instskip(NEXT) | instid1(VALU_DEP_1)
	v_min_u32_e32 v164, 32, v32
	v_subrev_nc_u32_e32 v32, 28, v164
	v_sub_nc_u32_e32 v164, 29, v164
	s_delay_alu instid0(VALU_DEP_2) | instskip(NEXT) | instid1(VALU_DEP_1)
	v_lshlrev_b64 v[32:33], v32, v[18:19]
	v_and_b32_e32 v32, 7, v32
; %bb.1141:                             ;   in Loop: Header=BB464_8 Depth=1
	s_or_b32 exec_lo, exec_lo, s20
	v_lshlrev_b32_e32 v18, 24, v163
	s_delay_alu instid0(VALU_DEP_2) | instskip(SKIP_1) | instid1(VALU_DEP_3)
	v_lshlrev_b32_e32 v32, 20, v32
	v_lshl_add_u32 v33, v164, 23, 0x3c000000
	v_and_b32_e32 v18, 0x80000000, v18
	s_delay_alu instid0(VALU_DEP_1)
	v_or3_b32 v18, v32, v18, v33
.LBB464_1142:                           ;   in Loop: Header=BB464_8 Depth=1
	s_or_b32 exec_lo, exec_lo, s19
.LBB464_1143:                           ;   in Loop: Header=BB464_8 Depth=1
	s_delay_alu instid0(SALU_CYCLE_1)
	s_or_b32 exec_lo, exec_lo, s18
.LBB464_1144:                           ;   in Loop: Header=BB464_8 Depth=1
	s_delay_alu instid0(SALU_CYCLE_1) | instskip(NEXT) | instid1(VALU_DEP_1)
	s_or_b32 exec_lo, exec_lo, s2
	v_mul_f32_e32 v18, v168, v18
                                        ; implicit-def: $vgpr163
	s_delay_alu instid0(VALU_DEP_1) | instskip(NEXT) | instid1(VALU_DEP_1)
	v_and_b32_e32 v32, 0x7f800000, v18
	v_cmp_ne_u32_e64 s1, 0x7f800000, v32
	s_delay_alu instid0(VALU_DEP_1) | instskip(NEXT) | instid1(SALU_CYCLE_1)
	s_and_saveexec_b32 s2, s1
	s_xor_b32 s1, exec_lo, s2
; %bb.1145:                             ;   in Loop: Header=BB464_8 Depth=1
	v_bfe_u32 v32, v18, 16, 1
	s_delay_alu instid0(VALU_DEP_1)
	v_add3_u32 v163, v18, v32, 0x7fff
                                        ; implicit-def: $vgpr18
; %bb.1146:                             ;   in Loop: Header=BB464_8 Depth=1
	s_and_not1_saveexec_b32 s2, s1
; %bb.1147:                             ;   in Loop: Header=BB464_8 Depth=1
	v_and_b32_e32 v32, 0xffff, v18
	v_or_b32_e32 v33, 0x10000, v18
	s_delay_alu instid0(VALU_DEP_2) | instskip(NEXT) | instid1(VALU_DEP_1)
	v_cmp_eq_u32_e64 s1, 0, v32
	v_cndmask_b32_e64 v163, v33, v18, s1
; %bb.1148:                             ;   in Loop: Header=BB464_8 Depth=1
	s_or_b32 exec_lo, exec_lo, s2
	v_mov_b32_e32 v18, 0
	s_mov_b32 s2, exec_lo
	v_cmpx_lt_u64_e64 s[8:9], v[30:31]
	s_cbranch_execz .LBB464_1156
; %bb.1149:                             ;   in Loop: Header=BB464_8 Depth=1
	v_lshrrev_b32_e32 v32, 24, v31
	v_bfrev_b32_e32 v18, 1
	s_mov_b32 s18, exec_lo
	s_delay_alu instid0(VALU_DEP_2)
	v_cmpx_ne_u32_e32 0x80, v32
	s_cbranch_execz .LBB464_1155
; %bb.1150:                             ;   in Loop: Header=BB464_8 Depth=1
	v_bfe_u32 v30, v31, 24, 7
	v_mov_b32_e32 v18, 0x7f800001
	s_mov_b32 s19, exec_lo
	s_delay_alu instid0(VALU_DEP_2)
	v_cmpx_ne_u32_e32 0x7f, v30
	s_cbranch_execz .LBB464_1154
; %bb.1151:                             ;   in Loop: Header=BB464_8 Depth=1
	v_and_b32_e32 v18, 7, v32
	v_lshrrev_b32_e32 v33, 3, v30
	v_cmp_gt_u32_e64 s1, 8, v30
	s_delay_alu instid0(VALU_DEP_3) | instskip(NEXT) | instid1(VALU_DEP_2)
	v_dual_mov_b32 v31, v19 :: v_dual_mov_b32 v30, v18
	s_and_saveexec_b32 s20, s1
; %bb.1152:                             ;   in Loop: Header=BB464_8 Depth=1
	v_clz_i32_u32_e32 v30, v18
	s_delay_alu instid0(VALU_DEP_1) | instskip(NEXT) | instid1(VALU_DEP_1)
	v_min_u32_e32 v33, 32, v30
	v_subrev_nc_u32_e32 v30, 28, v33
	v_sub_nc_u32_e32 v33, 29, v33
	s_delay_alu instid0(VALU_DEP_2) | instskip(NEXT) | instid1(VALU_DEP_1)
	v_lshlrev_b64 v[30:31], v30, v[18:19]
	v_and_b32_e32 v30, 7, v30
; %bb.1153:                             ;   in Loop: Header=BB464_8 Depth=1
	s_or_b32 exec_lo, exec_lo, s20
	v_lshlrev_b32_e32 v18, 24, v32
	s_delay_alu instid0(VALU_DEP_2) | instskip(SKIP_1) | instid1(VALU_DEP_3)
	v_lshlrev_b32_e32 v30, 20, v30
	v_lshl_add_u32 v31, v33, 23, 0x3c000000
	v_and_b32_e32 v18, 0x80000000, v18
	s_delay_alu instid0(VALU_DEP_1)
	v_or3_b32 v18, v30, v18, v31
.LBB464_1154:                           ;   in Loop: Header=BB464_8 Depth=1
	s_or_b32 exec_lo, exec_lo, s19
.LBB464_1155:                           ;   in Loop: Header=BB464_8 Depth=1
	s_delay_alu instid0(SALU_CYCLE_1)
	s_or_b32 exec_lo, exec_lo, s18
.LBB464_1156:                           ;   in Loop: Header=BB464_8 Depth=1
	s_delay_alu instid0(SALU_CYCLE_1) | instskip(NEXT) | instid1(VALU_DEP_1)
	s_or_b32 exec_lo, exec_lo, s2
	v_mul_f32_e32 v18, v168, v18
                                        ; implicit-def: $vgpr164
	s_delay_alu instid0(VALU_DEP_1) | instskip(NEXT) | instid1(VALU_DEP_1)
	v_and_b32_e32 v30, 0x7f800000, v18
	v_cmp_ne_u32_e64 s1, 0x7f800000, v30
	s_delay_alu instid0(VALU_DEP_1) | instskip(NEXT) | instid1(SALU_CYCLE_1)
	s_and_saveexec_b32 s2, s1
	s_xor_b32 s1, exec_lo, s2
; %bb.1157:                             ;   in Loop: Header=BB464_8 Depth=1
	v_bfe_u32 v30, v18, 16, 1
	s_delay_alu instid0(VALU_DEP_1)
	v_add3_u32 v164, v18, v30, 0x7fff
                                        ; implicit-def: $vgpr18
; %bb.1158:                             ;   in Loop: Header=BB464_8 Depth=1
	s_and_not1_saveexec_b32 s2, s1
; %bb.1159:                             ;   in Loop: Header=BB464_8 Depth=1
	v_and_b32_e32 v30, 0xffff, v18
	v_or_b32_e32 v31, 0x10000, v18
	s_delay_alu instid0(VALU_DEP_2) | instskip(NEXT) | instid1(VALU_DEP_1)
	v_cmp_eq_u32_e64 s1, 0, v30
	v_cndmask_b32_e64 v164, v31, v18, s1
; %bb.1160:                             ;   in Loop: Header=BB464_8 Depth=1
	s_or_b32 exec_lo, exec_lo, s2
	flat_load_b64 v[30:31], v[28:29] offset:3072
	v_mov_b32_e32 v18, 0
	s_mov_b32 s2, exec_lo
	s_waitcnt vmcnt(0) lgkmcnt(0)
	v_and_b32_e32 v32, 0xff, v30
	s_delay_alu instid0(VALU_DEP_1)
	v_cmpx_ne_u16_e32 0, v32
	s_cbranch_execz .LBB464_1168
; %bb.1161:                             ;   in Loop: Header=BB464_8 Depth=1
	v_bfrev_b32_e32 v18, 1
	s_mov_b32 s18, exec_lo
	v_cmpx_ne_u16_e32 0x80, v32
	s_cbranch_execz .LBB464_1167
; %bb.1162:                             ;   in Loop: Header=BB464_8 Depth=1
	v_and_b32_e32 v32, 0x7f, v30
	v_mov_b32_e32 v18, 0x7f800001
	s_mov_b32 s19, exec_lo
	s_delay_alu instid0(VALU_DEP_2)
	v_cmpx_ne_u32_e32 0x7f, v32
	s_cbranch_execz .LBB464_1166
; %bb.1163:                             ;   in Loop: Header=BB464_8 Depth=1
	v_lshrrev_b32_e32 v18, 3, v32
	v_cmp_gt_u32_e64 s1, 8, v32
	v_dual_mov_b32 v33, v31 :: v_dual_mov_b32 v32, v30
	s_delay_alu instid0(VALU_DEP_2)
	s_and_saveexec_b32 s20, s1
; %bb.1164:                             ;   in Loop: Header=BB464_8 Depth=1
	v_and_b32_e32 v18, 7, v30
	s_delay_alu instid0(VALU_DEP_1) | instskip(NEXT) | instid1(VALU_DEP_1)
	v_clz_i32_u32_e32 v18, v18
	v_min_u32_e32 v18, 32, v18
	s_delay_alu instid0(VALU_DEP_1) | instskip(SKIP_1) | instid1(VALU_DEP_2)
	v_subrev_nc_u32_e32 v32, 28, v18
	v_sub_nc_u32_e32 v18, 29, v18
	v_lshlrev_b64 v[32:33], v32, v[30:31]
; %bb.1165:                             ;   in Loop: Header=BB464_8 Depth=1
	s_or_b32 exec_lo, exec_lo, s20
	s_delay_alu instid0(VALU_DEP_1) | instskip(SKIP_2) | instid1(VALU_DEP_3)
	v_lshlrev_b32_e32 v32, 20, v32
	v_lshlrev_b32_e32 v33, 24, v30
	v_lshl_add_u32 v18, v18, 23, 0x3c000000
	v_and_b32_e32 v32, 0x700000, v32
	s_delay_alu instid0(VALU_DEP_3) | instskip(NEXT) | instid1(VALU_DEP_1)
	v_and_b32_e32 v33, 0x80000000, v33
	v_or3_b32 v18, v32, v33, v18
.LBB464_1166:                           ;   in Loop: Header=BB464_8 Depth=1
	s_or_b32 exec_lo, exec_lo, s19
.LBB464_1167:                           ;   in Loop: Header=BB464_8 Depth=1
	s_delay_alu instid0(SALU_CYCLE_1)
	s_or_b32 exec_lo, exec_lo, s18
.LBB464_1168:                           ;   in Loop: Header=BB464_8 Depth=1
	s_delay_alu instid0(SALU_CYCLE_1) | instskip(NEXT) | instid1(VALU_DEP_1)
	s_or_b32 exec_lo, exec_lo, s2
	v_mul_f32_e32 v18, v168, v18
                                        ; implicit-def: $vgpr165
	s_delay_alu instid0(VALU_DEP_1) | instskip(NEXT) | instid1(VALU_DEP_1)
	v_and_b32_e32 v32, 0x7f800000, v18
	v_cmp_ne_u32_e64 s1, 0x7f800000, v32
	s_delay_alu instid0(VALU_DEP_1) | instskip(NEXT) | instid1(SALU_CYCLE_1)
	s_and_saveexec_b32 s2, s1
	s_xor_b32 s1, exec_lo, s2
; %bb.1169:                             ;   in Loop: Header=BB464_8 Depth=1
	v_bfe_u32 v32, v18, 16, 1
	s_delay_alu instid0(VALU_DEP_1)
	v_add3_u32 v165, v18, v32, 0x7fff
                                        ; implicit-def: $vgpr18
; %bb.1170:                             ;   in Loop: Header=BB464_8 Depth=1
	s_and_not1_saveexec_b32 s2, s1
; %bb.1171:                             ;   in Loop: Header=BB464_8 Depth=1
	v_and_b32_e32 v32, 0xffff, v18
	v_or_b32_e32 v33, 0x10000, v18
	s_delay_alu instid0(VALU_DEP_2) | instskip(NEXT) | instid1(VALU_DEP_1)
	v_cmp_eq_u32_e64 s1, 0, v32
	v_cndmask_b32_e64 v165, v33, v18, s1
; %bb.1172:                             ;   in Loop: Header=BB464_8 Depth=1
	s_or_b32 exec_lo, exec_lo, s2
	v_lshrrev_b16 v32, 8, v30
	v_mov_b32_e32 v18, 0
	s_mov_b32 s2, exec_lo
	s_delay_alu instid0(VALU_DEP_2)
	v_cmpx_ne_u16_e32 0, v32
	s_cbranch_execz .LBB464_1180
; %bb.1173:                             ;   in Loop: Header=BB464_8 Depth=1
	v_bfrev_b32_e32 v18, 1
	s_mov_b32 s18, exec_lo
	v_cmpx_ne_u16_e32 0x80, v32
	s_cbranch_execz .LBB464_1179
; %bb.1174:                             ;   in Loop: Header=BB464_8 Depth=1
	v_and_b32_e32 v33, 0xffff, v32
	v_mov_b32_e32 v18, 0x7f800001
	s_mov_b32 s19, exec_lo
	s_delay_alu instid0(VALU_DEP_2) | instskip(NEXT) | instid1(VALU_DEP_1)
	v_and_b32_e32 v32, 0x7f, v33
	v_cmpx_ne_u32_e32 0x7f, v32
	s_cbranch_execz .LBB464_1178
; %bb.1175:                             ;   in Loop: Header=BB464_8 Depth=1
	v_and_b32_e32 v18, 7, v33
	v_lshrrev_b32_e32 v166, 3, v32
	v_cmp_gt_u32_e64 s1, 8, v32
	s_delay_alu instid0(VALU_DEP_3) | instskip(NEXT) | instid1(VALU_DEP_2)
	v_dual_mov_b32 v33, v19 :: v_dual_mov_b32 v32, v18
	s_and_saveexec_b32 s20, s1
; %bb.1176:                             ;   in Loop: Header=BB464_8 Depth=1
	v_clz_i32_u32_e32 v32, v18
	s_delay_alu instid0(VALU_DEP_1) | instskip(NEXT) | instid1(VALU_DEP_1)
	v_min_u32_e32 v166, 32, v32
	v_subrev_nc_u32_e32 v32, 28, v166
	v_sub_nc_u32_e32 v166, 29, v166
	s_delay_alu instid0(VALU_DEP_2) | instskip(NEXT) | instid1(VALU_DEP_1)
	v_lshlrev_b64 v[32:33], v32, v[18:19]
	v_and_b32_e32 v32, 7, v32
; %bb.1177:                             ;   in Loop: Header=BB464_8 Depth=1
	s_or_b32 exec_lo, exec_lo, s20
	v_lshlrev_b32_e32 v18, 16, v30
	s_delay_alu instid0(VALU_DEP_2) | instskip(SKIP_1) | instid1(VALU_DEP_3)
	v_lshlrev_b32_e32 v32, 20, v32
	v_lshl_add_u32 v33, v166, 23, 0x3c000000
	v_and_b32_e32 v18, 0x80000000, v18
	s_delay_alu instid0(VALU_DEP_1)
	v_or3_b32 v18, v32, v18, v33
.LBB464_1178:                           ;   in Loop: Header=BB464_8 Depth=1
	s_or_b32 exec_lo, exec_lo, s19
.LBB464_1179:                           ;   in Loop: Header=BB464_8 Depth=1
	s_delay_alu instid0(SALU_CYCLE_1)
	s_or_b32 exec_lo, exec_lo, s18
.LBB464_1180:                           ;   in Loop: Header=BB464_8 Depth=1
	s_delay_alu instid0(SALU_CYCLE_1) | instskip(NEXT) | instid1(VALU_DEP_1)
	s_or_b32 exec_lo, exec_lo, s2
	v_mul_f32_e32 v18, v168, v18
                                        ; implicit-def: $vgpr166
	s_delay_alu instid0(VALU_DEP_1) | instskip(NEXT) | instid1(VALU_DEP_1)
	v_and_b32_e32 v32, 0x7f800000, v18
	v_cmp_ne_u32_e64 s1, 0x7f800000, v32
	s_delay_alu instid0(VALU_DEP_1) | instskip(NEXT) | instid1(SALU_CYCLE_1)
	s_and_saveexec_b32 s2, s1
	s_xor_b32 s1, exec_lo, s2
; %bb.1181:                             ;   in Loop: Header=BB464_8 Depth=1
	v_bfe_u32 v32, v18, 16, 1
	s_delay_alu instid0(VALU_DEP_1)
	v_add3_u32 v166, v18, v32, 0x7fff
                                        ; implicit-def: $vgpr18
; %bb.1182:                             ;   in Loop: Header=BB464_8 Depth=1
	s_and_not1_saveexec_b32 s2, s1
; %bb.1183:                             ;   in Loop: Header=BB464_8 Depth=1
	v_and_b32_e32 v32, 0xffff, v18
	v_or_b32_e32 v33, 0x10000, v18
	s_delay_alu instid0(VALU_DEP_2) | instskip(NEXT) | instid1(VALU_DEP_1)
	v_cmp_eq_u32_e64 s1, 0, v32
	v_cndmask_b32_e64 v166, v33, v18, s1
; %bb.1184:                             ;   in Loop: Header=BB464_8 Depth=1
	s_or_b32 exec_lo, exec_lo, s2
	v_lshrrev_b32_e32 v167, 16, v30
	v_mov_b32_e32 v18, 0
	s_mov_b32 s2, exec_lo
	s_delay_alu instid0(VALU_DEP_2) | instskip(NEXT) | instid1(VALU_DEP_1)
	v_and_b32_e32 v32, 0xff, v167
	v_cmpx_ne_u16_e32 0, v32
	s_cbranch_execz .LBB464_1192
; %bb.1185:                             ;   in Loop: Header=BB464_8 Depth=1
	v_bfrev_b32_e32 v18, 1
	s_mov_b32 s18, exec_lo
	v_cmpx_ne_u16_e32 0x80, v32
	s_cbranch_execz .LBB464_1191
; %bb.1186:                             ;   in Loop: Header=BB464_8 Depth=1
	v_bfe_u32 v32, v30, 16, 7
	v_mov_b32_e32 v18, 0x7f800001
	s_mov_b32 s19, exec_lo
	s_delay_alu instid0(VALU_DEP_2)
	v_cmpx_ne_u32_e32 0x7f, v32
	s_cbranch_execz .LBB464_1190
; %bb.1187:                             ;   in Loop: Header=BB464_8 Depth=1
	v_and_b32_e32 v18, 7, v167
	v_lshrrev_b32_e32 v176, 3, v32
	v_cmp_gt_u32_e64 s1, 8, v32
	s_delay_alu instid0(VALU_DEP_3) | instskip(NEXT) | instid1(VALU_DEP_2)
	v_dual_mov_b32 v33, v19 :: v_dual_mov_b32 v32, v18
	s_and_saveexec_b32 s20, s1
; %bb.1188:                             ;   in Loop: Header=BB464_8 Depth=1
	v_clz_i32_u32_e32 v32, v18
	s_delay_alu instid0(VALU_DEP_1) | instskip(NEXT) | instid1(VALU_DEP_1)
	v_min_u32_e32 v176, 32, v32
	v_subrev_nc_u32_e32 v32, 28, v176
	v_sub_nc_u32_e32 v176, 29, v176
	s_delay_alu instid0(VALU_DEP_2) | instskip(NEXT) | instid1(VALU_DEP_1)
	v_lshlrev_b64 v[32:33], v32, v[18:19]
	v_and_b32_e32 v32, 7, v32
; %bb.1189:                             ;   in Loop: Header=BB464_8 Depth=1
	s_or_b32 exec_lo, exec_lo, s20
	v_lshlrev_b32_e32 v18, 24, v167
	s_delay_alu instid0(VALU_DEP_2) | instskip(SKIP_1) | instid1(VALU_DEP_3)
	v_lshlrev_b32_e32 v32, 20, v32
	v_lshl_add_u32 v33, v176, 23, 0x3c000000
	v_and_b32_e32 v18, 0x80000000, v18
	s_delay_alu instid0(VALU_DEP_1)
	v_or3_b32 v18, v32, v18, v33
.LBB464_1190:                           ;   in Loop: Header=BB464_8 Depth=1
	s_or_b32 exec_lo, exec_lo, s19
.LBB464_1191:                           ;   in Loop: Header=BB464_8 Depth=1
	s_delay_alu instid0(SALU_CYCLE_1)
	s_or_b32 exec_lo, exec_lo, s18
.LBB464_1192:                           ;   in Loop: Header=BB464_8 Depth=1
	s_delay_alu instid0(SALU_CYCLE_1) | instskip(NEXT) | instid1(VALU_DEP_1)
	s_or_b32 exec_lo, exec_lo, s2
	v_mul_f32_e32 v18, v168, v18
                                        ; implicit-def: $vgpr167
	s_delay_alu instid0(VALU_DEP_1) | instskip(NEXT) | instid1(VALU_DEP_1)
	v_and_b32_e32 v32, 0x7f800000, v18
	v_cmp_ne_u32_e64 s1, 0x7f800000, v32
	s_delay_alu instid0(VALU_DEP_1) | instskip(NEXT) | instid1(SALU_CYCLE_1)
	s_and_saveexec_b32 s2, s1
	s_xor_b32 s1, exec_lo, s2
; %bb.1193:                             ;   in Loop: Header=BB464_8 Depth=1
	v_bfe_u32 v32, v18, 16, 1
	s_delay_alu instid0(VALU_DEP_1)
	v_add3_u32 v167, v18, v32, 0x7fff
                                        ; implicit-def: $vgpr18
; %bb.1194:                             ;   in Loop: Header=BB464_8 Depth=1
	s_and_not1_saveexec_b32 s2, s1
; %bb.1195:                             ;   in Loop: Header=BB464_8 Depth=1
	v_and_b32_e32 v32, 0xffff, v18
	v_or_b32_e32 v33, 0x10000, v18
	s_delay_alu instid0(VALU_DEP_2) | instskip(NEXT) | instid1(VALU_DEP_1)
	v_cmp_eq_u32_e64 s1, 0, v32
	v_cndmask_b32_e64 v167, v33, v18, s1
; %bb.1196:                             ;   in Loop: Header=BB464_8 Depth=1
	s_or_b32 exec_lo, exec_lo, s2
	v_mov_b32_e32 v18, 0
	s_mov_b32 s2, exec_lo
	v_cmpx_lt_u32_e32 0xffffff, v30
	s_cbranch_execz .LBB464_1204
; %bb.1197:                             ;   in Loop: Header=BB464_8 Depth=1
	v_lshrrev_b32_e32 v176, 24, v30
	v_bfrev_b32_e32 v18, 1
	s_mov_b32 s18, exec_lo
	s_delay_alu instid0(VALU_DEP_2)
	v_cmpx_ne_u32_e32 0x80, v176
	s_cbranch_execz .LBB464_1203
; %bb.1198:                             ;   in Loop: Header=BB464_8 Depth=1
	v_bfe_u32 v32, v30, 24, 7
	v_mov_b32_e32 v18, 0x7f800001
	s_mov_b32 s19, exec_lo
	s_delay_alu instid0(VALU_DEP_2)
	v_cmpx_ne_u32_e32 0x7f, v32
	s_cbranch_execz .LBB464_1202
; %bb.1199:                             ;   in Loop: Header=BB464_8 Depth=1
	v_and_b32_e32 v18, 7, v176
	v_lshrrev_b32_e32 v177, 3, v32
	v_cmp_gt_u32_e64 s1, 8, v32
	s_delay_alu instid0(VALU_DEP_3) | instskip(NEXT) | instid1(VALU_DEP_2)
	v_dual_mov_b32 v33, v19 :: v_dual_mov_b32 v32, v18
	s_and_saveexec_b32 s20, s1
; %bb.1200:                             ;   in Loop: Header=BB464_8 Depth=1
	v_clz_i32_u32_e32 v32, v18
	s_delay_alu instid0(VALU_DEP_1) | instskip(NEXT) | instid1(VALU_DEP_1)
	v_min_u32_e32 v177, 32, v32
	v_subrev_nc_u32_e32 v32, 28, v177
	v_sub_nc_u32_e32 v177, 29, v177
	s_delay_alu instid0(VALU_DEP_2) | instskip(NEXT) | instid1(VALU_DEP_1)
	v_lshlrev_b64 v[32:33], v32, v[18:19]
	v_and_b32_e32 v32, 7, v32
; %bb.1201:                             ;   in Loop: Header=BB464_8 Depth=1
	s_or_b32 exec_lo, exec_lo, s20
	v_lshlrev_b32_e32 v18, 24, v176
	s_delay_alu instid0(VALU_DEP_2) | instskip(SKIP_1) | instid1(VALU_DEP_3)
	v_lshlrev_b32_e32 v32, 20, v32
	v_lshl_add_u32 v33, v177, 23, 0x3c000000
	v_and_b32_e32 v18, 0x80000000, v18
	s_delay_alu instid0(VALU_DEP_1)
	v_or3_b32 v18, v32, v18, v33
.LBB464_1202:                           ;   in Loop: Header=BB464_8 Depth=1
	s_or_b32 exec_lo, exec_lo, s19
.LBB464_1203:                           ;   in Loop: Header=BB464_8 Depth=1
	s_delay_alu instid0(SALU_CYCLE_1)
	s_or_b32 exec_lo, exec_lo, s18
.LBB464_1204:                           ;   in Loop: Header=BB464_8 Depth=1
	s_delay_alu instid0(SALU_CYCLE_1) | instskip(NEXT) | instid1(VALU_DEP_1)
	s_or_b32 exec_lo, exec_lo, s2
	v_mul_f32_e32 v18, v168, v18
                                        ; implicit-def: $vgpr176
	s_delay_alu instid0(VALU_DEP_1) | instskip(NEXT) | instid1(VALU_DEP_1)
	v_and_b32_e32 v32, 0x7f800000, v18
	v_cmp_ne_u32_e64 s1, 0x7f800000, v32
	s_delay_alu instid0(VALU_DEP_1) | instskip(NEXT) | instid1(SALU_CYCLE_1)
	s_and_saveexec_b32 s2, s1
	s_xor_b32 s1, exec_lo, s2
; %bb.1205:                             ;   in Loop: Header=BB464_8 Depth=1
	v_bfe_u32 v32, v18, 16, 1
	s_delay_alu instid0(VALU_DEP_1)
	v_add3_u32 v176, v18, v32, 0x7fff
                                        ; implicit-def: $vgpr18
; %bb.1206:                             ;   in Loop: Header=BB464_8 Depth=1
	s_and_not1_saveexec_b32 s2, s1
; %bb.1207:                             ;   in Loop: Header=BB464_8 Depth=1
	v_and_b32_e32 v32, 0xffff, v18
	v_or_b32_e32 v33, 0x10000, v18
	s_delay_alu instid0(VALU_DEP_2) | instskip(NEXT) | instid1(VALU_DEP_1)
	v_cmp_eq_u32_e64 s1, 0, v32
	v_cndmask_b32_e64 v176, v33, v18, s1
; %bb.1208:                             ;   in Loop: Header=BB464_8 Depth=1
	s_or_b32 exec_lo, exec_lo, s2
	v_dual_mov_b32 v18, v31 :: v_dual_and_b32 v33, 0xff, v31
	v_mov_b32_e32 v32, 0
	s_mov_b32 s2, exec_lo
	s_delay_alu instid0(VALU_DEP_2)
	v_cmpx_ne_u16_e32 0, v33
	s_cbranch_execz .LBB464_1216
; %bb.1209:                             ;   in Loop: Header=BB464_8 Depth=1
	v_bfrev_b32_e32 v32, 1
	s_mov_b32 s18, exec_lo
	v_cmpx_ne_u16_e32 0x80, v33
	s_cbranch_execz .LBB464_1215
; %bb.1210:                             ;   in Loop: Header=BB464_8 Depth=1
	v_and_b32_e32 v33, 0x7f, v31
	v_mov_b32_e32 v32, 0x7f800001
	s_mov_b32 s19, exec_lo
	s_delay_alu instid0(VALU_DEP_2)
	v_cmpx_ne_u32_e32 0x7f, v33
	s_cbranch_execz .LBB464_1214
; %bb.1211:                             ;   in Loop: Header=BB464_8 Depth=1
	v_lshrrev_b32_e32 v177, 3, v33
	v_cmp_gt_u32_e64 s1, 8, v33
	v_dual_mov_b32 v33, v19 :: v_dual_mov_b32 v32, v18
	s_delay_alu instid0(VALU_DEP_2)
	s_and_saveexec_b32 s20, s1
; %bb.1212:                             ;   in Loop: Header=BB464_8 Depth=1
	v_and_b32_e32 v32, 7, v31
	s_delay_alu instid0(VALU_DEP_1) | instskip(NEXT) | instid1(VALU_DEP_1)
	v_clz_i32_u32_e32 v32, v32
	v_min_u32_e32 v177, 32, v32
	s_delay_alu instid0(VALU_DEP_1) | instskip(SKIP_1) | instid1(VALU_DEP_2)
	v_subrev_nc_u32_e32 v32, 28, v177
	v_sub_nc_u32_e32 v177, 29, v177
	v_lshlrev_b64 v[32:33], v32, v[18:19]
; %bb.1213:                             ;   in Loop: Header=BB464_8 Depth=1
	s_or_b32 exec_lo, exec_lo, s20
	s_delay_alu instid0(VALU_DEP_1) | instskip(SKIP_2) | instid1(VALU_DEP_3)
	v_lshlrev_b32_e32 v32, 20, v32
	v_lshlrev_b32_e32 v33, 24, v18
	v_lshl_add_u32 v177, v177, 23, 0x3c000000
	v_and_b32_e32 v32, 0x700000, v32
	s_delay_alu instid0(VALU_DEP_3) | instskip(NEXT) | instid1(VALU_DEP_1)
	v_and_b32_e32 v33, 0x80000000, v33
	v_or3_b32 v32, v32, v33, v177
.LBB464_1214:                           ;   in Loop: Header=BB464_8 Depth=1
	s_or_b32 exec_lo, exec_lo, s19
.LBB464_1215:                           ;   in Loop: Header=BB464_8 Depth=1
	s_delay_alu instid0(SALU_CYCLE_1)
	s_or_b32 exec_lo, exec_lo, s18
.LBB464_1216:                           ;   in Loop: Header=BB464_8 Depth=1
	s_delay_alu instid0(SALU_CYCLE_1) | instskip(NEXT) | instid1(VALU_DEP_1)
	s_or_b32 exec_lo, exec_lo, s2
	v_mul_f32_e32 v32, v168, v32
                                        ; implicit-def: $vgpr177
	s_delay_alu instid0(VALU_DEP_1) | instskip(NEXT) | instid1(VALU_DEP_1)
	v_and_b32_e32 v33, 0x7f800000, v32
	v_cmp_ne_u32_e64 s1, 0x7f800000, v33
	s_delay_alu instid0(VALU_DEP_1) | instskip(NEXT) | instid1(SALU_CYCLE_1)
	s_and_saveexec_b32 s2, s1
	s_xor_b32 s1, exec_lo, s2
; %bb.1217:                             ;   in Loop: Header=BB464_8 Depth=1
	v_bfe_u32 v33, v32, 16, 1
	s_delay_alu instid0(VALU_DEP_1)
	v_add3_u32 v177, v32, v33, 0x7fff
                                        ; implicit-def: $vgpr32
; %bb.1218:                             ;   in Loop: Header=BB464_8 Depth=1
	s_and_not1_saveexec_b32 s2, s1
; %bb.1219:                             ;   in Loop: Header=BB464_8 Depth=1
	v_and_b32_e32 v33, 0xffff, v32
	v_or_b32_e32 v177, 0x10000, v32
	s_delay_alu instid0(VALU_DEP_2) | instskip(NEXT) | instid1(VALU_DEP_1)
	v_cmp_eq_u32_e64 s1, 0, v33
	v_cndmask_b32_e64 v177, v177, v32, s1
; %bb.1220:                             ;   in Loop: Header=BB464_8 Depth=1
	s_or_b32 exec_lo, exec_lo, s2
	v_lshrrev_b16 v33, 8, v18
	v_mov_b32_e32 v32, 0
	s_mov_b32 s2, exec_lo
	s_delay_alu instid0(VALU_DEP_2)
	v_cmpx_ne_u16_e32 0, v33
	s_cbranch_execz .LBB464_1228
; %bb.1221:                             ;   in Loop: Header=BB464_8 Depth=1
	v_bfrev_b32_e32 v32, 1
	s_mov_b32 s18, exec_lo
	v_cmpx_ne_u16_e32 0x80, v33
	s_cbranch_execz .LBB464_1227
; %bb.1222:                             ;   in Loop: Header=BB464_8 Depth=1
	v_and_b32_e32 v33, 0xffff, v33
	v_mov_b32_e32 v32, 0x7f800001
	s_mov_b32 s19, exec_lo
	s_delay_alu instid0(VALU_DEP_2) | instskip(NEXT) | instid1(VALU_DEP_1)
	v_and_b32_e32 v179, 0x7f, v33
	v_cmpx_ne_u32_e32 0x7f, v179
	s_cbranch_execz .LBB464_1226
; %bb.1223:                             ;   in Loop: Header=BB464_8 Depth=1
	v_dual_mov_b32 v33, v19 :: v_dual_and_b32 v32, 7, v33
	v_lshrrev_b32_e32 v178, 3, v179
	s_mov_b32 s20, exec_lo
	v_cmpx_gt_u32_e32 8, v179
; %bb.1224:                             ;   in Loop: Header=BB464_8 Depth=1
	s_delay_alu instid0(VALU_DEP_3) | instskip(NEXT) | instid1(VALU_DEP_1)
	v_clz_i32_u32_e32 v178, v32
	v_min_u32_e32 v178, 32, v178
	s_delay_alu instid0(VALU_DEP_1) | instskip(SKIP_1) | instid1(VALU_DEP_2)
	v_subrev_nc_u32_e32 v179, 28, v178
	v_sub_nc_u32_e32 v178, 29, v178
	v_lshlrev_b64 v[32:33], v179, v[32:33]
	s_delay_alu instid0(VALU_DEP_1)
	v_and_b32_e32 v32, 7, v32
; %bb.1225:                             ;   in Loop: Header=BB464_8 Depth=1
	s_or_b32 exec_lo, exec_lo, s20
	v_lshlrev_b32_e32 v18, 16, v18
	s_delay_alu instid0(VALU_DEP_2) | instskip(SKIP_1) | instid1(VALU_DEP_3)
	v_lshlrev_b32_e32 v32, 20, v32
	v_lshl_add_u32 v33, v178, 23, 0x3c000000
	v_and_b32_e32 v18, 0x80000000, v18
	s_delay_alu instid0(VALU_DEP_1)
	v_or3_b32 v32, v32, v18, v33
.LBB464_1226:                           ;   in Loop: Header=BB464_8 Depth=1
	s_or_b32 exec_lo, exec_lo, s19
.LBB464_1227:                           ;   in Loop: Header=BB464_8 Depth=1
	s_delay_alu instid0(SALU_CYCLE_1)
	s_or_b32 exec_lo, exec_lo, s18
.LBB464_1228:                           ;   in Loop: Header=BB464_8 Depth=1
	s_delay_alu instid0(SALU_CYCLE_1) | instskip(NEXT) | instid1(VALU_DEP_1)
	s_or_b32 exec_lo, exec_lo, s2
	v_mul_f32_e32 v18, v168, v32
                                        ; implicit-def: $vgpr178
	s_delay_alu instid0(VALU_DEP_1) | instskip(NEXT) | instid1(VALU_DEP_1)
	v_and_b32_e32 v32, 0x7f800000, v18
	v_cmp_ne_u32_e64 s1, 0x7f800000, v32
	s_delay_alu instid0(VALU_DEP_1) | instskip(NEXT) | instid1(SALU_CYCLE_1)
	s_and_saveexec_b32 s2, s1
	s_xor_b32 s1, exec_lo, s2
; %bb.1229:                             ;   in Loop: Header=BB464_8 Depth=1
	v_bfe_u32 v32, v18, 16, 1
	s_delay_alu instid0(VALU_DEP_1)
	v_add3_u32 v178, v18, v32, 0x7fff
                                        ; implicit-def: $vgpr18
; %bb.1230:                             ;   in Loop: Header=BB464_8 Depth=1
	s_and_not1_saveexec_b32 s2, s1
; %bb.1231:                             ;   in Loop: Header=BB464_8 Depth=1
	v_and_b32_e32 v32, 0xffff, v18
	v_or_b32_e32 v33, 0x10000, v18
	s_delay_alu instid0(VALU_DEP_2) | instskip(NEXT) | instid1(VALU_DEP_1)
	v_cmp_eq_u32_e64 s1, 0, v32
	v_cndmask_b32_e64 v178, v33, v18, s1
; %bb.1232:                             ;   in Loop: Header=BB464_8 Depth=1
	s_or_b32 exec_lo, exec_lo, s2
	v_lshrrev_b32_e32 v179, 16, v31
	v_mov_b32_e32 v18, 0
	s_mov_b32 s2, exec_lo
	s_delay_alu instid0(VALU_DEP_2) | instskip(NEXT) | instid1(VALU_DEP_1)
	v_and_b32_e32 v32, 0xff, v179
	v_cmpx_ne_u16_e32 0, v32
	s_cbranch_execz .LBB464_1240
; %bb.1233:                             ;   in Loop: Header=BB464_8 Depth=1
	v_bfrev_b32_e32 v18, 1
	s_mov_b32 s18, exec_lo
	v_cmpx_ne_u16_e32 0x80, v32
	s_cbranch_execz .LBB464_1239
; %bb.1234:                             ;   in Loop: Header=BB464_8 Depth=1
	v_bfe_u32 v32, v31, 16, 7
	v_mov_b32_e32 v18, 0x7f800001
	s_mov_b32 s19, exec_lo
	s_delay_alu instid0(VALU_DEP_2)
	v_cmpx_ne_u32_e32 0x7f, v32
	s_cbranch_execz .LBB464_1238
; %bb.1235:                             ;   in Loop: Header=BB464_8 Depth=1
	v_and_b32_e32 v18, 7, v179
	v_lshrrev_b32_e32 v180, 3, v32
	v_cmp_gt_u32_e64 s1, 8, v32
	s_delay_alu instid0(VALU_DEP_3) | instskip(NEXT) | instid1(VALU_DEP_2)
	v_dual_mov_b32 v33, v19 :: v_dual_mov_b32 v32, v18
	s_and_saveexec_b32 s20, s1
; %bb.1236:                             ;   in Loop: Header=BB464_8 Depth=1
	v_clz_i32_u32_e32 v32, v18
	s_delay_alu instid0(VALU_DEP_1) | instskip(NEXT) | instid1(VALU_DEP_1)
	v_min_u32_e32 v180, 32, v32
	v_subrev_nc_u32_e32 v32, 28, v180
	v_sub_nc_u32_e32 v180, 29, v180
	s_delay_alu instid0(VALU_DEP_2) | instskip(NEXT) | instid1(VALU_DEP_1)
	v_lshlrev_b64 v[32:33], v32, v[18:19]
	v_and_b32_e32 v32, 7, v32
; %bb.1237:                             ;   in Loop: Header=BB464_8 Depth=1
	s_or_b32 exec_lo, exec_lo, s20
	v_lshlrev_b32_e32 v18, 24, v179
	s_delay_alu instid0(VALU_DEP_2) | instskip(SKIP_1) | instid1(VALU_DEP_3)
	v_lshlrev_b32_e32 v32, 20, v32
	v_lshl_add_u32 v33, v180, 23, 0x3c000000
	v_and_b32_e32 v18, 0x80000000, v18
	s_delay_alu instid0(VALU_DEP_1)
	v_or3_b32 v18, v32, v18, v33
.LBB464_1238:                           ;   in Loop: Header=BB464_8 Depth=1
	s_or_b32 exec_lo, exec_lo, s19
.LBB464_1239:                           ;   in Loop: Header=BB464_8 Depth=1
	s_delay_alu instid0(SALU_CYCLE_1)
	s_or_b32 exec_lo, exec_lo, s18
.LBB464_1240:                           ;   in Loop: Header=BB464_8 Depth=1
	s_delay_alu instid0(SALU_CYCLE_1) | instskip(NEXT) | instid1(VALU_DEP_1)
	s_or_b32 exec_lo, exec_lo, s2
	v_mul_f32_e32 v18, v168, v18
                                        ; implicit-def: $vgpr179
	s_delay_alu instid0(VALU_DEP_1) | instskip(NEXT) | instid1(VALU_DEP_1)
	v_and_b32_e32 v32, 0x7f800000, v18
	v_cmp_ne_u32_e64 s1, 0x7f800000, v32
	s_delay_alu instid0(VALU_DEP_1) | instskip(NEXT) | instid1(SALU_CYCLE_1)
	s_and_saveexec_b32 s2, s1
	s_xor_b32 s1, exec_lo, s2
; %bb.1241:                             ;   in Loop: Header=BB464_8 Depth=1
	v_bfe_u32 v32, v18, 16, 1
	s_delay_alu instid0(VALU_DEP_1)
	v_add3_u32 v179, v18, v32, 0x7fff
                                        ; implicit-def: $vgpr18
; %bb.1242:                             ;   in Loop: Header=BB464_8 Depth=1
	s_and_not1_saveexec_b32 s2, s1
; %bb.1243:                             ;   in Loop: Header=BB464_8 Depth=1
	v_and_b32_e32 v32, 0xffff, v18
	v_or_b32_e32 v33, 0x10000, v18
	s_delay_alu instid0(VALU_DEP_2) | instskip(NEXT) | instid1(VALU_DEP_1)
	v_cmp_eq_u32_e64 s1, 0, v32
	v_cndmask_b32_e64 v179, v33, v18, s1
; %bb.1244:                             ;   in Loop: Header=BB464_8 Depth=1
	s_or_b32 exec_lo, exec_lo, s2
	v_mov_b32_e32 v18, 0
	s_mov_b32 s2, exec_lo
	v_cmpx_lt_u64_e64 s[8:9], v[30:31]
	s_cbranch_execz .LBB464_1252
; %bb.1245:                             ;   in Loop: Header=BB464_8 Depth=1
	v_lshrrev_b32_e32 v32, 24, v31
	v_bfrev_b32_e32 v18, 1
	s_mov_b32 s18, exec_lo
	s_delay_alu instid0(VALU_DEP_2)
	v_cmpx_ne_u32_e32 0x80, v32
	s_cbranch_execz .LBB464_1251
; %bb.1246:                             ;   in Loop: Header=BB464_8 Depth=1
	v_bfe_u32 v30, v31, 24, 7
	v_mov_b32_e32 v18, 0x7f800001
	s_mov_b32 s19, exec_lo
	s_delay_alu instid0(VALU_DEP_2)
	v_cmpx_ne_u32_e32 0x7f, v30
	s_cbranch_execz .LBB464_1250
; %bb.1247:                             ;   in Loop: Header=BB464_8 Depth=1
	v_and_b32_e32 v18, 7, v32
	v_lshrrev_b32_e32 v33, 3, v30
	v_cmp_gt_u32_e64 s1, 8, v30
	s_delay_alu instid0(VALU_DEP_3) | instskip(NEXT) | instid1(VALU_DEP_2)
	v_dual_mov_b32 v31, v19 :: v_dual_mov_b32 v30, v18
	s_and_saveexec_b32 s20, s1
; %bb.1248:                             ;   in Loop: Header=BB464_8 Depth=1
	v_clz_i32_u32_e32 v30, v18
	s_delay_alu instid0(VALU_DEP_1) | instskip(NEXT) | instid1(VALU_DEP_1)
	v_min_u32_e32 v33, 32, v30
	v_subrev_nc_u32_e32 v30, 28, v33
	v_sub_nc_u32_e32 v33, 29, v33
	s_delay_alu instid0(VALU_DEP_2) | instskip(NEXT) | instid1(VALU_DEP_1)
	v_lshlrev_b64 v[30:31], v30, v[18:19]
	v_and_b32_e32 v30, 7, v30
; %bb.1249:                             ;   in Loop: Header=BB464_8 Depth=1
	s_or_b32 exec_lo, exec_lo, s20
	v_lshlrev_b32_e32 v18, 24, v32
	s_delay_alu instid0(VALU_DEP_2) | instskip(SKIP_1) | instid1(VALU_DEP_3)
	v_lshlrev_b32_e32 v30, 20, v30
	v_lshl_add_u32 v31, v33, 23, 0x3c000000
	v_and_b32_e32 v18, 0x80000000, v18
	s_delay_alu instid0(VALU_DEP_1)
	v_or3_b32 v18, v30, v18, v31
.LBB464_1250:                           ;   in Loop: Header=BB464_8 Depth=1
	s_or_b32 exec_lo, exec_lo, s19
.LBB464_1251:                           ;   in Loop: Header=BB464_8 Depth=1
	s_delay_alu instid0(SALU_CYCLE_1)
	s_or_b32 exec_lo, exec_lo, s18
.LBB464_1252:                           ;   in Loop: Header=BB464_8 Depth=1
	s_delay_alu instid0(SALU_CYCLE_1) | instskip(NEXT) | instid1(VALU_DEP_1)
	s_or_b32 exec_lo, exec_lo, s2
	v_mul_f32_e32 v18, v168, v18
                                        ; implicit-def: $vgpr180
	s_delay_alu instid0(VALU_DEP_1) | instskip(NEXT) | instid1(VALU_DEP_1)
	v_and_b32_e32 v30, 0x7f800000, v18
	v_cmp_ne_u32_e64 s1, 0x7f800000, v30
	s_delay_alu instid0(VALU_DEP_1) | instskip(NEXT) | instid1(SALU_CYCLE_1)
	s_and_saveexec_b32 s2, s1
	s_xor_b32 s1, exec_lo, s2
; %bb.1253:                             ;   in Loop: Header=BB464_8 Depth=1
	v_bfe_u32 v30, v18, 16, 1
	s_delay_alu instid0(VALU_DEP_1)
	v_add3_u32 v180, v18, v30, 0x7fff
                                        ; implicit-def: $vgpr18
; %bb.1254:                             ;   in Loop: Header=BB464_8 Depth=1
	s_and_not1_saveexec_b32 s2, s1
; %bb.1255:                             ;   in Loop: Header=BB464_8 Depth=1
	v_and_b32_e32 v30, 0xffff, v18
	v_or_b32_e32 v31, 0x10000, v18
	s_delay_alu instid0(VALU_DEP_2) | instskip(NEXT) | instid1(VALU_DEP_1)
	v_cmp_eq_u32_e64 s1, 0, v30
	v_cndmask_b32_e64 v180, v31, v18, s1
; %bb.1256:                             ;   in Loop: Header=BB464_8 Depth=1
	s_or_b32 exec_lo, exec_lo, s2
	flat_load_b64 v[30:31], v[28:29] offset:3080
	v_mov_b32_e32 v18, 0
	s_mov_b32 s2, exec_lo
	s_waitcnt vmcnt(0) lgkmcnt(0)
	v_and_b32_e32 v32, 0xff, v30
	s_delay_alu instid0(VALU_DEP_1)
	v_cmpx_ne_u16_e32 0, v32
	s_cbranch_execz .LBB464_1264
; %bb.1257:                             ;   in Loop: Header=BB464_8 Depth=1
	v_bfrev_b32_e32 v18, 1
	s_mov_b32 s18, exec_lo
	v_cmpx_ne_u16_e32 0x80, v32
	s_cbranch_execz .LBB464_1263
; %bb.1258:                             ;   in Loop: Header=BB464_8 Depth=1
	v_and_b32_e32 v32, 0x7f, v30
	v_mov_b32_e32 v18, 0x7f800001
	s_mov_b32 s19, exec_lo
	s_delay_alu instid0(VALU_DEP_2)
	v_cmpx_ne_u32_e32 0x7f, v32
	s_cbranch_execz .LBB464_1262
; %bb.1259:                             ;   in Loop: Header=BB464_8 Depth=1
	v_lshrrev_b32_e32 v18, 3, v32
	v_cmp_gt_u32_e64 s1, 8, v32
	v_dual_mov_b32 v33, v31 :: v_dual_mov_b32 v32, v30
	s_delay_alu instid0(VALU_DEP_2)
	s_and_saveexec_b32 s20, s1
; %bb.1260:                             ;   in Loop: Header=BB464_8 Depth=1
	v_and_b32_e32 v18, 7, v30
	s_delay_alu instid0(VALU_DEP_1) | instskip(NEXT) | instid1(VALU_DEP_1)
	v_clz_i32_u32_e32 v18, v18
	v_min_u32_e32 v18, 32, v18
	s_delay_alu instid0(VALU_DEP_1) | instskip(SKIP_1) | instid1(VALU_DEP_2)
	v_subrev_nc_u32_e32 v32, 28, v18
	v_sub_nc_u32_e32 v18, 29, v18
	v_lshlrev_b64 v[32:33], v32, v[30:31]
; %bb.1261:                             ;   in Loop: Header=BB464_8 Depth=1
	s_or_b32 exec_lo, exec_lo, s20
	s_delay_alu instid0(VALU_DEP_1) | instskip(SKIP_2) | instid1(VALU_DEP_3)
	v_lshlrev_b32_e32 v32, 20, v32
	v_lshlrev_b32_e32 v33, 24, v30
	v_lshl_add_u32 v18, v18, 23, 0x3c000000
	v_and_b32_e32 v32, 0x700000, v32
	s_delay_alu instid0(VALU_DEP_3) | instskip(NEXT) | instid1(VALU_DEP_1)
	v_and_b32_e32 v33, 0x80000000, v33
	v_or3_b32 v18, v32, v33, v18
.LBB464_1262:                           ;   in Loop: Header=BB464_8 Depth=1
	s_or_b32 exec_lo, exec_lo, s19
.LBB464_1263:                           ;   in Loop: Header=BB464_8 Depth=1
	s_delay_alu instid0(SALU_CYCLE_1)
	s_or_b32 exec_lo, exec_lo, s18
.LBB464_1264:                           ;   in Loop: Header=BB464_8 Depth=1
	s_delay_alu instid0(SALU_CYCLE_1) | instskip(NEXT) | instid1(VALU_DEP_1)
	s_or_b32 exec_lo, exec_lo, s2
	v_mul_f32_e32 v18, v168, v18
                                        ; implicit-def: $vgpr181
	s_delay_alu instid0(VALU_DEP_1) | instskip(NEXT) | instid1(VALU_DEP_1)
	v_and_b32_e32 v32, 0x7f800000, v18
	v_cmp_ne_u32_e64 s1, 0x7f800000, v32
	s_delay_alu instid0(VALU_DEP_1) | instskip(NEXT) | instid1(SALU_CYCLE_1)
	s_and_saveexec_b32 s2, s1
	s_xor_b32 s1, exec_lo, s2
; %bb.1265:                             ;   in Loop: Header=BB464_8 Depth=1
	v_bfe_u32 v32, v18, 16, 1
	s_delay_alu instid0(VALU_DEP_1)
	v_add3_u32 v181, v18, v32, 0x7fff
                                        ; implicit-def: $vgpr18
; %bb.1266:                             ;   in Loop: Header=BB464_8 Depth=1
	s_and_not1_saveexec_b32 s2, s1
; %bb.1267:                             ;   in Loop: Header=BB464_8 Depth=1
	v_and_b32_e32 v32, 0xffff, v18
	v_or_b32_e32 v33, 0x10000, v18
	s_delay_alu instid0(VALU_DEP_2) | instskip(NEXT) | instid1(VALU_DEP_1)
	v_cmp_eq_u32_e64 s1, 0, v32
	v_cndmask_b32_e64 v181, v33, v18, s1
; %bb.1268:                             ;   in Loop: Header=BB464_8 Depth=1
	s_or_b32 exec_lo, exec_lo, s2
	v_lshrrev_b16 v32, 8, v30
	v_mov_b32_e32 v18, 0
	s_mov_b32 s2, exec_lo
	s_delay_alu instid0(VALU_DEP_2)
	v_cmpx_ne_u16_e32 0, v32
	s_cbranch_execz .LBB464_1276
; %bb.1269:                             ;   in Loop: Header=BB464_8 Depth=1
	v_bfrev_b32_e32 v18, 1
	s_mov_b32 s18, exec_lo
	v_cmpx_ne_u16_e32 0x80, v32
	s_cbranch_execz .LBB464_1275
; %bb.1270:                             ;   in Loop: Header=BB464_8 Depth=1
	v_and_b32_e32 v33, 0xffff, v32
	v_mov_b32_e32 v18, 0x7f800001
	s_mov_b32 s19, exec_lo
	s_delay_alu instid0(VALU_DEP_2) | instskip(NEXT) | instid1(VALU_DEP_1)
	v_and_b32_e32 v32, 0x7f, v33
	v_cmpx_ne_u32_e32 0x7f, v32
	s_cbranch_execz .LBB464_1274
; %bb.1271:                             ;   in Loop: Header=BB464_8 Depth=1
	v_and_b32_e32 v18, 7, v33
	v_lshrrev_b32_e32 v182, 3, v32
	v_cmp_gt_u32_e64 s1, 8, v32
	s_delay_alu instid0(VALU_DEP_3) | instskip(NEXT) | instid1(VALU_DEP_2)
	v_dual_mov_b32 v33, v19 :: v_dual_mov_b32 v32, v18
	s_and_saveexec_b32 s20, s1
; %bb.1272:                             ;   in Loop: Header=BB464_8 Depth=1
	v_clz_i32_u32_e32 v32, v18
	s_delay_alu instid0(VALU_DEP_1) | instskip(NEXT) | instid1(VALU_DEP_1)
	v_min_u32_e32 v182, 32, v32
	v_subrev_nc_u32_e32 v32, 28, v182
	v_sub_nc_u32_e32 v182, 29, v182
	s_delay_alu instid0(VALU_DEP_2) | instskip(NEXT) | instid1(VALU_DEP_1)
	v_lshlrev_b64 v[32:33], v32, v[18:19]
	v_and_b32_e32 v32, 7, v32
; %bb.1273:                             ;   in Loop: Header=BB464_8 Depth=1
	s_or_b32 exec_lo, exec_lo, s20
	v_lshlrev_b32_e32 v18, 16, v30
	s_delay_alu instid0(VALU_DEP_2) | instskip(SKIP_1) | instid1(VALU_DEP_3)
	v_lshlrev_b32_e32 v32, 20, v32
	v_lshl_add_u32 v33, v182, 23, 0x3c000000
	v_and_b32_e32 v18, 0x80000000, v18
	s_delay_alu instid0(VALU_DEP_1)
	v_or3_b32 v18, v32, v18, v33
.LBB464_1274:                           ;   in Loop: Header=BB464_8 Depth=1
	s_or_b32 exec_lo, exec_lo, s19
.LBB464_1275:                           ;   in Loop: Header=BB464_8 Depth=1
	s_delay_alu instid0(SALU_CYCLE_1)
	s_or_b32 exec_lo, exec_lo, s18
.LBB464_1276:                           ;   in Loop: Header=BB464_8 Depth=1
	s_delay_alu instid0(SALU_CYCLE_1) | instskip(NEXT) | instid1(VALU_DEP_1)
	s_or_b32 exec_lo, exec_lo, s2
	v_mul_f32_e32 v18, v168, v18
                                        ; implicit-def: $vgpr182
	s_delay_alu instid0(VALU_DEP_1) | instskip(NEXT) | instid1(VALU_DEP_1)
	v_and_b32_e32 v32, 0x7f800000, v18
	v_cmp_ne_u32_e64 s1, 0x7f800000, v32
	s_delay_alu instid0(VALU_DEP_1) | instskip(NEXT) | instid1(SALU_CYCLE_1)
	s_and_saveexec_b32 s2, s1
	s_xor_b32 s1, exec_lo, s2
; %bb.1277:                             ;   in Loop: Header=BB464_8 Depth=1
	v_bfe_u32 v32, v18, 16, 1
	s_delay_alu instid0(VALU_DEP_1)
	v_add3_u32 v182, v18, v32, 0x7fff
                                        ; implicit-def: $vgpr18
; %bb.1278:                             ;   in Loop: Header=BB464_8 Depth=1
	s_and_not1_saveexec_b32 s2, s1
; %bb.1279:                             ;   in Loop: Header=BB464_8 Depth=1
	v_and_b32_e32 v32, 0xffff, v18
	v_or_b32_e32 v33, 0x10000, v18
	s_delay_alu instid0(VALU_DEP_2) | instskip(NEXT) | instid1(VALU_DEP_1)
	v_cmp_eq_u32_e64 s1, 0, v32
	v_cndmask_b32_e64 v182, v33, v18, s1
; %bb.1280:                             ;   in Loop: Header=BB464_8 Depth=1
	s_or_b32 exec_lo, exec_lo, s2
	v_lshrrev_b32_e32 v183, 16, v30
	v_mov_b32_e32 v18, 0
	s_mov_b32 s2, exec_lo
	s_delay_alu instid0(VALU_DEP_2) | instskip(NEXT) | instid1(VALU_DEP_1)
	v_and_b32_e32 v32, 0xff, v183
	v_cmpx_ne_u16_e32 0, v32
	s_cbranch_execz .LBB464_1288
; %bb.1281:                             ;   in Loop: Header=BB464_8 Depth=1
	v_bfrev_b32_e32 v18, 1
	s_mov_b32 s18, exec_lo
	v_cmpx_ne_u16_e32 0x80, v32
	s_cbranch_execz .LBB464_1287
; %bb.1282:                             ;   in Loop: Header=BB464_8 Depth=1
	v_bfe_u32 v32, v30, 16, 7
	v_mov_b32_e32 v18, 0x7f800001
	s_mov_b32 s19, exec_lo
	s_delay_alu instid0(VALU_DEP_2)
	v_cmpx_ne_u32_e32 0x7f, v32
	s_cbranch_execz .LBB464_1286
; %bb.1283:                             ;   in Loop: Header=BB464_8 Depth=1
	v_and_b32_e32 v18, 7, v183
	v_lshrrev_b32_e32 v40, 3, v32
	v_cmp_gt_u32_e64 s1, 8, v32
	s_delay_alu instid0(VALU_DEP_3) | instskip(NEXT) | instid1(VALU_DEP_2)
	v_dual_mov_b32 v33, v19 :: v_dual_mov_b32 v32, v18
	s_and_saveexec_b32 s20, s1
; %bb.1284:                             ;   in Loop: Header=BB464_8 Depth=1
	v_clz_i32_u32_e32 v32, v18
	s_delay_alu instid0(VALU_DEP_1) | instskip(NEXT) | instid1(VALU_DEP_1)
	v_min_u32_e32 v40, 32, v32
	v_subrev_nc_u32_e32 v32, 28, v40
	v_sub_nc_u32_e32 v40, 29, v40
	s_delay_alu instid0(VALU_DEP_2) | instskip(NEXT) | instid1(VALU_DEP_1)
	v_lshlrev_b64 v[32:33], v32, v[18:19]
	v_and_b32_e32 v32, 7, v32
; %bb.1285:                             ;   in Loop: Header=BB464_8 Depth=1
	s_or_b32 exec_lo, exec_lo, s20
	v_lshlrev_b32_e32 v18, 24, v183
	s_delay_alu instid0(VALU_DEP_2) | instskip(SKIP_1) | instid1(VALU_DEP_3)
	v_lshlrev_b32_e32 v32, 20, v32
	v_lshl_add_u32 v33, v40, 23, 0x3c000000
	v_and_b32_e32 v18, 0x80000000, v18
	s_delay_alu instid0(VALU_DEP_1)
	v_or3_b32 v18, v32, v18, v33
.LBB464_1286:                           ;   in Loop: Header=BB464_8 Depth=1
	s_or_b32 exec_lo, exec_lo, s19
.LBB464_1287:                           ;   in Loop: Header=BB464_8 Depth=1
	s_delay_alu instid0(SALU_CYCLE_1)
	s_or_b32 exec_lo, exec_lo, s18
.LBB464_1288:                           ;   in Loop: Header=BB464_8 Depth=1
	s_delay_alu instid0(SALU_CYCLE_1) | instskip(NEXT) | instid1(VALU_DEP_1)
	s_or_b32 exec_lo, exec_lo, s2
	v_mul_f32_e32 v18, v168, v18
                                        ; implicit-def: $vgpr183
	s_delay_alu instid0(VALU_DEP_1) | instskip(NEXT) | instid1(VALU_DEP_1)
	v_and_b32_e32 v32, 0x7f800000, v18
	v_cmp_ne_u32_e64 s1, 0x7f800000, v32
	s_delay_alu instid0(VALU_DEP_1) | instskip(NEXT) | instid1(SALU_CYCLE_1)
	s_and_saveexec_b32 s2, s1
	s_xor_b32 s1, exec_lo, s2
; %bb.1289:                             ;   in Loop: Header=BB464_8 Depth=1
	v_bfe_u32 v32, v18, 16, 1
	s_delay_alu instid0(VALU_DEP_1)
	v_add3_u32 v183, v18, v32, 0x7fff
                                        ; implicit-def: $vgpr18
; %bb.1290:                             ;   in Loop: Header=BB464_8 Depth=1
	s_and_not1_saveexec_b32 s2, s1
; %bb.1291:                             ;   in Loop: Header=BB464_8 Depth=1
	v_and_b32_e32 v32, 0xffff, v18
	v_or_b32_e32 v33, 0x10000, v18
	s_delay_alu instid0(VALU_DEP_2) | instskip(NEXT) | instid1(VALU_DEP_1)
	v_cmp_eq_u32_e64 s1, 0, v32
	v_cndmask_b32_e64 v183, v33, v18, s1
; %bb.1292:                             ;   in Loop: Header=BB464_8 Depth=1
	s_or_b32 exec_lo, exec_lo, s2
	v_mov_b32_e32 v18, 0
	s_mov_b32 s2, exec_lo
	v_cmpx_lt_u32_e32 0xffffff, v30
	s_cbranch_execz .LBB464_1300
; %bb.1293:                             ;   in Loop: Header=BB464_8 Depth=1
	v_lshrrev_b32_e32 v40, 24, v30
	v_bfrev_b32_e32 v18, 1
	s_mov_b32 s18, exec_lo
	s_delay_alu instid0(VALU_DEP_2)
	v_cmpx_ne_u32_e32 0x80, v40
	s_cbranch_execz .LBB464_1299
; %bb.1294:                             ;   in Loop: Header=BB464_8 Depth=1
	v_bfe_u32 v32, v30, 24, 7
	v_mov_b32_e32 v18, 0x7f800001
	s_mov_b32 s19, exec_lo
	s_delay_alu instid0(VALU_DEP_2)
	v_cmpx_ne_u32_e32 0x7f, v32
	s_cbranch_execz .LBB464_1298
; %bb.1295:                             ;   in Loop: Header=BB464_8 Depth=1
	v_and_b32_e32 v18, 7, v40
	v_lshrrev_b32_e32 v41, 3, v32
	v_cmp_gt_u32_e64 s1, 8, v32
	s_delay_alu instid0(VALU_DEP_3) | instskip(NEXT) | instid1(VALU_DEP_2)
	v_dual_mov_b32 v33, v19 :: v_dual_mov_b32 v32, v18
	s_and_saveexec_b32 s20, s1
; %bb.1296:                             ;   in Loop: Header=BB464_8 Depth=1
	v_clz_i32_u32_e32 v32, v18
	s_delay_alu instid0(VALU_DEP_1) | instskip(NEXT) | instid1(VALU_DEP_1)
	v_min_u32_e32 v41, 32, v32
	v_subrev_nc_u32_e32 v32, 28, v41
	v_sub_nc_u32_e32 v41, 29, v41
	s_delay_alu instid0(VALU_DEP_2) | instskip(NEXT) | instid1(VALU_DEP_1)
	v_lshlrev_b64 v[32:33], v32, v[18:19]
	v_and_b32_e32 v32, 7, v32
; %bb.1297:                             ;   in Loop: Header=BB464_8 Depth=1
	s_or_b32 exec_lo, exec_lo, s20
	v_lshlrev_b32_e32 v18, 24, v40
	s_delay_alu instid0(VALU_DEP_2) | instskip(SKIP_1) | instid1(VALU_DEP_3)
	v_lshlrev_b32_e32 v32, 20, v32
	v_lshl_add_u32 v33, v41, 23, 0x3c000000
	v_and_b32_e32 v18, 0x80000000, v18
	s_delay_alu instid0(VALU_DEP_1)
	v_or3_b32 v18, v32, v18, v33
.LBB464_1298:                           ;   in Loop: Header=BB464_8 Depth=1
	s_or_b32 exec_lo, exec_lo, s19
.LBB464_1299:                           ;   in Loop: Header=BB464_8 Depth=1
	s_delay_alu instid0(SALU_CYCLE_1)
	s_or_b32 exec_lo, exec_lo, s18
.LBB464_1300:                           ;   in Loop: Header=BB464_8 Depth=1
	s_delay_alu instid0(SALU_CYCLE_1) | instskip(NEXT) | instid1(VALU_DEP_1)
	s_or_b32 exec_lo, exec_lo, s2
	v_mul_f32_e32 v18, v168, v18
                                        ; implicit-def: $vgpr40
	s_delay_alu instid0(VALU_DEP_1) | instskip(NEXT) | instid1(VALU_DEP_1)
	v_and_b32_e32 v32, 0x7f800000, v18
	v_cmp_ne_u32_e64 s1, 0x7f800000, v32
	s_delay_alu instid0(VALU_DEP_1) | instskip(NEXT) | instid1(SALU_CYCLE_1)
	s_and_saveexec_b32 s2, s1
	s_xor_b32 s1, exec_lo, s2
; %bb.1301:                             ;   in Loop: Header=BB464_8 Depth=1
	v_bfe_u32 v32, v18, 16, 1
	s_delay_alu instid0(VALU_DEP_1)
	v_add3_u32 v40, v18, v32, 0x7fff
                                        ; implicit-def: $vgpr18
; %bb.1302:                             ;   in Loop: Header=BB464_8 Depth=1
	s_and_not1_saveexec_b32 s2, s1
; %bb.1303:                             ;   in Loop: Header=BB464_8 Depth=1
	v_and_b32_e32 v32, 0xffff, v18
	v_or_b32_e32 v33, 0x10000, v18
	s_delay_alu instid0(VALU_DEP_2) | instskip(NEXT) | instid1(VALU_DEP_1)
	v_cmp_eq_u32_e64 s1, 0, v32
	v_cndmask_b32_e64 v40, v33, v18, s1
; %bb.1304:                             ;   in Loop: Header=BB464_8 Depth=1
	s_or_b32 exec_lo, exec_lo, s2
	v_dual_mov_b32 v18, v31 :: v_dual_and_b32 v33, 0xff, v31
	v_mov_b32_e32 v32, 0
	s_mov_b32 s2, exec_lo
	s_delay_alu instid0(VALU_DEP_2)
	v_cmpx_ne_u16_e32 0, v33
	s_cbranch_execz .LBB464_1312
; %bb.1305:                             ;   in Loop: Header=BB464_8 Depth=1
	v_bfrev_b32_e32 v32, 1
	s_mov_b32 s18, exec_lo
	v_cmpx_ne_u16_e32 0x80, v33
	s_cbranch_execz .LBB464_1311
; %bb.1306:                             ;   in Loop: Header=BB464_8 Depth=1
	v_and_b32_e32 v33, 0x7f, v31
	v_mov_b32_e32 v32, 0x7f800001
	s_mov_b32 s19, exec_lo
	s_delay_alu instid0(VALU_DEP_2)
	v_cmpx_ne_u32_e32 0x7f, v33
	s_cbranch_execz .LBB464_1310
; %bb.1307:                             ;   in Loop: Header=BB464_8 Depth=1
	v_lshrrev_b32_e32 v41, 3, v33
	v_cmp_gt_u32_e64 s1, 8, v33
	v_dual_mov_b32 v33, v19 :: v_dual_mov_b32 v32, v18
	s_delay_alu instid0(VALU_DEP_2)
	s_and_saveexec_b32 s20, s1
; %bb.1308:                             ;   in Loop: Header=BB464_8 Depth=1
	v_and_b32_e32 v32, 7, v31
	s_delay_alu instid0(VALU_DEP_1) | instskip(NEXT) | instid1(VALU_DEP_1)
	v_clz_i32_u32_e32 v32, v32
	v_min_u32_e32 v41, 32, v32
	s_delay_alu instid0(VALU_DEP_1) | instskip(SKIP_1) | instid1(VALU_DEP_2)
	v_subrev_nc_u32_e32 v32, 28, v41
	v_sub_nc_u32_e32 v41, 29, v41
	v_lshlrev_b64 v[32:33], v32, v[18:19]
; %bb.1309:                             ;   in Loop: Header=BB464_8 Depth=1
	s_or_b32 exec_lo, exec_lo, s20
	s_delay_alu instid0(VALU_DEP_1) | instskip(SKIP_2) | instid1(VALU_DEP_3)
	v_lshlrev_b32_e32 v32, 20, v32
	v_lshlrev_b32_e32 v33, 24, v18
	v_lshl_add_u32 v41, v41, 23, 0x3c000000
	v_and_b32_e32 v32, 0x700000, v32
	s_delay_alu instid0(VALU_DEP_3) | instskip(NEXT) | instid1(VALU_DEP_1)
	v_and_b32_e32 v33, 0x80000000, v33
	v_or3_b32 v32, v32, v33, v41
.LBB464_1310:                           ;   in Loop: Header=BB464_8 Depth=1
	s_or_b32 exec_lo, exec_lo, s19
.LBB464_1311:                           ;   in Loop: Header=BB464_8 Depth=1
	s_delay_alu instid0(SALU_CYCLE_1)
	s_or_b32 exec_lo, exec_lo, s18
.LBB464_1312:                           ;   in Loop: Header=BB464_8 Depth=1
	s_delay_alu instid0(SALU_CYCLE_1) | instskip(NEXT) | instid1(VALU_DEP_1)
	s_or_b32 exec_lo, exec_lo, s2
	v_mul_f32_e32 v32, v168, v32
                                        ; implicit-def: $vgpr41
	s_delay_alu instid0(VALU_DEP_1) | instskip(NEXT) | instid1(VALU_DEP_1)
	v_and_b32_e32 v33, 0x7f800000, v32
	v_cmp_ne_u32_e64 s1, 0x7f800000, v33
	s_delay_alu instid0(VALU_DEP_1) | instskip(NEXT) | instid1(SALU_CYCLE_1)
	s_and_saveexec_b32 s2, s1
	s_xor_b32 s1, exec_lo, s2
; %bb.1313:                             ;   in Loop: Header=BB464_8 Depth=1
	v_bfe_u32 v33, v32, 16, 1
	s_delay_alu instid0(VALU_DEP_1)
	v_add3_u32 v41, v32, v33, 0x7fff
                                        ; implicit-def: $vgpr32
; %bb.1314:                             ;   in Loop: Header=BB464_8 Depth=1
	s_and_not1_saveexec_b32 s2, s1
; %bb.1315:                             ;   in Loop: Header=BB464_8 Depth=1
	v_and_b32_e32 v33, 0xffff, v32
	v_or_b32_e32 v41, 0x10000, v32
	s_delay_alu instid0(VALU_DEP_2) | instskip(NEXT) | instid1(VALU_DEP_1)
	v_cmp_eq_u32_e64 s1, 0, v33
	v_cndmask_b32_e64 v41, v41, v32, s1
; %bb.1316:                             ;   in Loop: Header=BB464_8 Depth=1
	s_or_b32 exec_lo, exec_lo, s2
	v_lshrrev_b16 v33, 8, v18
	v_mov_b32_e32 v32, 0
	s_mov_b32 s2, exec_lo
	s_delay_alu instid0(VALU_DEP_2)
	v_cmpx_ne_u16_e32 0, v33
	s_cbranch_execz .LBB464_1324
; %bb.1317:                             ;   in Loop: Header=BB464_8 Depth=1
	v_bfrev_b32_e32 v32, 1
	s_mov_b32 s18, exec_lo
	v_cmpx_ne_u16_e32 0x80, v33
	s_cbranch_execz .LBB464_1323
; %bb.1318:                             ;   in Loop: Header=BB464_8 Depth=1
	v_and_b32_e32 v33, 0xffff, v33
	v_mov_b32_e32 v32, 0x7f800001
	s_mov_b32 s19, exec_lo
	s_delay_alu instid0(VALU_DEP_2) | instskip(NEXT) | instid1(VALU_DEP_1)
	v_and_b32_e32 v43, 0x7f, v33
	v_cmpx_ne_u32_e32 0x7f, v43
	s_cbranch_execz .LBB464_1322
; %bb.1319:                             ;   in Loop: Header=BB464_8 Depth=1
	v_dual_mov_b32 v33, v19 :: v_dual_and_b32 v32, 7, v33
	v_lshrrev_b32_e32 v42, 3, v43
	s_mov_b32 s20, exec_lo
	v_cmpx_gt_u32_e32 8, v43
; %bb.1320:                             ;   in Loop: Header=BB464_8 Depth=1
	s_delay_alu instid0(VALU_DEP_3) | instskip(NEXT) | instid1(VALU_DEP_1)
	v_clz_i32_u32_e32 v42, v32
	v_min_u32_e32 v42, 32, v42
	s_delay_alu instid0(VALU_DEP_1) | instskip(SKIP_1) | instid1(VALU_DEP_2)
	v_subrev_nc_u32_e32 v43, 28, v42
	v_sub_nc_u32_e32 v42, 29, v42
	v_lshlrev_b64 v[32:33], v43, v[32:33]
	s_delay_alu instid0(VALU_DEP_1)
	v_and_b32_e32 v32, 7, v32
; %bb.1321:                             ;   in Loop: Header=BB464_8 Depth=1
	s_or_b32 exec_lo, exec_lo, s20
	v_lshlrev_b32_e32 v18, 16, v18
	s_delay_alu instid0(VALU_DEP_2) | instskip(SKIP_1) | instid1(VALU_DEP_3)
	v_lshlrev_b32_e32 v32, 20, v32
	v_lshl_add_u32 v33, v42, 23, 0x3c000000
	v_and_b32_e32 v18, 0x80000000, v18
	s_delay_alu instid0(VALU_DEP_1)
	v_or3_b32 v32, v32, v18, v33
.LBB464_1322:                           ;   in Loop: Header=BB464_8 Depth=1
	s_or_b32 exec_lo, exec_lo, s19
.LBB464_1323:                           ;   in Loop: Header=BB464_8 Depth=1
	s_delay_alu instid0(SALU_CYCLE_1)
	s_or_b32 exec_lo, exec_lo, s18
.LBB464_1324:                           ;   in Loop: Header=BB464_8 Depth=1
	s_delay_alu instid0(SALU_CYCLE_1) | instskip(NEXT) | instid1(VALU_DEP_1)
	s_or_b32 exec_lo, exec_lo, s2
	v_mul_f32_e32 v18, v168, v32
                                        ; implicit-def: $vgpr42
	s_delay_alu instid0(VALU_DEP_1) | instskip(NEXT) | instid1(VALU_DEP_1)
	v_and_b32_e32 v32, 0x7f800000, v18
	v_cmp_ne_u32_e64 s1, 0x7f800000, v32
	s_delay_alu instid0(VALU_DEP_1) | instskip(NEXT) | instid1(SALU_CYCLE_1)
	s_and_saveexec_b32 s2, s1
	s_xor_b32 s1, exec_lo, s2
; %bb.1325:                             ;   in Loop: Header=BB464_8 Depth=1
	v_bfe_u32 v32, v18, 16, 1
	s_delay_alu instid0(VALU_DEP_1)
	v_add3_u32 v42, v18, v32, 0x7fff
                                        ; implicit-def: $vgpr18
; %bb.1326:                             ;   in Loop: Header=BB464_8 Depth=1
	s_and_not1_saveexec_b32 s2, s1
; %bb.1327:                             ;   in Loop: Header=BB464_8 Depth=1
	v_and_b32_e32 v32, 0xffff, v18
	v_or_b32_e32 v33, 0x10000, v18
	s_delay_alu instid0(VALU_DEP_2) | instskip(NEXT) | instid1(VALU_DEP_1)
	v_cmp_eq_u32_e64 s1, 0, v32
	v_cndmask_b32_e64 v42, v33, v18, s1
; %bb.1328:                             ;   in Loop: Header=BB464_8 Depth=1
	s_or_b32 exec_lo, exec_lo, s2
	v_lshrrev_b32_e32 v43, 16, v31
	v_mov_b32_e32 v18, 0
	s_mov_b32 s2, exec_lo
	s_delay_alu instid0(VALU_DEP_2) | instskip(NEXT) | instid1(VALU_DEP_1)
	v_and_b32_e32 v32, 0xff, v43
	v_cmpx_ne_u16_e32 0, v32
	s_cbranch_execz .LBB464_1336
; %bb.1329:                             ;   in Loop: Header=BB464_8 Depth=1
	v_bfrev_b32_e32 v18, 1
	s_mov_b32 s18, exec_lo
	v_cmpx_ne_u16_e32 0x80, v32
	s_cbranch_execz .LBB464_1335
; %bb.1330:                             ;   in Loop: Header=BB464_8 Depth=1
	v_bfe_u32 v32, v31, 16, 7
	v_mov_b32_e32 v18, 0x7f800001
	s_mov_b32 s19, exec_lo
	s_delay_alu instid0(VALU_DEP_2)
	v_cmpx_ne_u32_e32 0x7f, v32
	s_cbranch_execz .LBB464_1334
; %bb.1331:                             ;   in Loop: Header=BB464_8 Depth=1
	v_and_b32_e32 v18, 7, v43
	v_lshrrev_b32_e32 v44, 3, v32
	v_cmp_gt_u32_e64 s1, 8, v32
	s_delay_alu instid0(VALU_DEP_3) | instskip(NEXT) | instid1(VALU_DEP_2)
	v_dual_mov_b32 v33, v19 :: v_dual_mov_b32 v32, v18
	s_and_saveexec_b32 s20, s1
; %bb.1332:                             ;   in Loop: Header=BB464_8 Depth=1
	v_clz_i32_u32_e32 v32, v18
	s_delay_alu instid0(VALU_DEP_1) | instskip(NEXT) | instid1(VALU_DEP_1)
	v_min_u32_e32 v44, 32, v32
	v_subrev_nc_u32_e32 v32, 28, v44
	v_sub_nc_u32_e32 v44, 29, v44
	s_delay_alu instid0(VALU_DEP_2) | instskip(NEXT) | instid1(VALU_DEP_1)
	v_lshlrev_b64 v[32:33], v32, v[18:19]
	v_and_b32_e32 v32, 7, v32
; %bb.1333:                             ;   in Loop: Header=BB464_8 Depth=1
	s_or_b32 exec_lo, exec_lo, s20
	v_lshlrev_b32_e32 v18, 24, v43
	s_delay_alu instid0(VALU_DEP_2) | instskip(SKIP_1) | instid1(VALU_DEP_3)
	v_lshlrev_b32_e32 v32, 20, v32
	v_lshl_add_u32 v33, v44, 23, 0x3c000000
	v_and_b32_e32 v18, 0x80000000, v18
	s_delay_alu instid0(VALU_DEP_1)
	v_or3_b32 v18, v32, v18, v33
.LBB464_1334:                           ;   in Loop: Header=BB464_8 Depth=1
	s_or_b32 exec_lo, exec_lo, s19
.LBB464_1335:                           ;   in Loop: Header=BB464_8 Depth=1
	s_delay_alu instid0(SALU_CYCLE_1)
	s_or_b32 exec_lo, exec_lo, s18
.LBB464_1336:                           ;   in Loop: Header=BB464_8 Depth=1
	s_delay_alu instid0(SALU_CYCLE_1) | instskip(NEXT) | instid1(VALU_DEP_1)
	s_or_b32 exec_lo, exec_lo, s2
	v_mul_f32_e32 v18, v168, v18
                                        ; implicit-def: $vgpr43
	s_delay_alu instid0(VALU_DEP_1) | instskip(NEXT) | instid1(VALU_DEP_1)
	v_and_b32_e32 v32, 0x7f800000, v18
	v_cmp_ne_u32_e64 s1, 0x7f800000, v32
	s_delay_alu instid0(VALU_DEP_1) | instskip(NEXT) | instid1(SALU_CYCLE_1)
	s_and_saveexec_b32 s2, s1
	s_xor_b32 s1, exec_lo, s2
; %bb.1337:                             ;   in Loop: Header=BB464_8 Depth=1
	v_bfe_u32 v32, v18, 16, 1
	s_delay_alu instid0(VALU_DEP_1)
	v_add3_u32 v43, v18, v32, 0x7fff
                                        ; implicit-def: $vgpr18
; %bb.1338:                             ;   in Loop: Header=BB464_8 Depth=1
	s_and_not1_saveexec_b32 s2, s1
; %bb.1339:                             ;   in Loop: Header=BB464_8 Depth=1
	v_and_b32_e32 v32, 0xffff, v18
	v_or_b32_e32 v33, 0x10000, v18
	s_delay_alu instid0(VALU_DEP_2) | instskip(NEXT) | instid1(VALU_DEP_1)
	v_cmp_eq_u32_e64 s1, 0, v32
	v_cndmask_b32_e64 v43, v33, v18, s1
; %bb.1340:                             ;   in Loop: Header=BB464_8 Depth=1
	s_or_b32 exec_lo, exec_lo, s2
	v_mov_b32_e32 v18, 0
	s_mov_b32 s2, exec_lo
	v_cmpx_lt_u64_e64 s[8:9], v[30:31]
	s_cbranch_execz .LBB464_1348
; %bb.1341:                             ;   in Loop: Header=BB464_8 Depth=1
	v_lshrrev_b32_e32 v32, 24, v31
	v_bfrev_b32_e32 v18, 1
	s_mov_b32 s18, exec_lo
	s_delay_alu instid0(VALU_DEP_2)
	v_cmpx_ne_u32_e32 0x80, v32
	s_cbranch_execz .LBB464_1347
; %bb.1342:                             ;   in Loop: Header=BB464_8 Depth=1
	v_bfe_u32 v30, v31, 24, 7
	v_mov_b32_e32 v18, 0x7f800001
	s_mov_b32 s19, exec_lo
	s_delay_alu instid0(VALU_DEP_2)
	v_cmpx_ne_u32_e32 0x7f, v30
	s_cbranch_execz .LBB464_1346
; %bb.1343:                             ;   in Loop: Header=BB464_8 Depth=1
	v_and_b32_e32 v18, 7, v32
	v_lshrrev_b32_e32 v33, 3, v30
	v_cmp_gt_u32_e64 s1, 8, v30
	s_delay_alu instid0(VALU_DEP_3) | instskip(NEXT) | instid1(VALU_DEP_2)
	v_dual_mov_b32 v31, v19 :: v_dual_mov_b32 v30, v18
	s_and_saveexec_b32 s20, s1
; %bb.1344:                             ;   in Loop: Header=BB464_8 Depth=1
	v_clz_i32_u32_e32 v30, v18
	s_delay_alu instid0(VALU_DEP_1) | instskip(NEXT) | instid1(VALU_DEP_1)
	v_min_u32_e32 v33, 32, v30
	v_subrev_nc_u32_e32 v30, 28, v33
	v_sub_nc_u32_e32 v33, 29, v33
	s_delay_alu instid0(VALU_DEP_2) | instskip(NEXT) | instid1(VALU_DEP_1)
	v_lshlrev_b64 v[30:31], v30, v[18:19]
	v_and_b32_e32 v30, 7, v30
; %bb.1345:                             ;   in Loop: Header=BB464_8 Depth=1
	s_or_b32 exec_lo, exec_lo, s20
	v_lshlrev_b32_e32 v18, 24, v32
	s_delay_alu instid0(VALU_DEP_2) | instskip(SKIP_1) | instid1(VALU_DEP_3)
	v_lshlrev_b32_e32 v30, 20, v30
	v_lshl_add_u32 v31, v33, 23, 0x3c000000
	v_and_b32_e32 v18, 0x80000000, v18
	s_delay_alu instid0(VALU_DEP_1)
	v_or3_b32 v18, v30, v18, v31
.LBB464_1346:                           ;   in Loop: Header=BB464_8 Depth=1
	s_or_b32 exec_lo, exec_lo, s19
.LBB464_1347:                           ;   in Loop: Header=BB464_8 Depth=1
	s_delay_alu instid0(SALU_CYCLE_1)
	s_or_b32 exec_lo, exec_lo, s18
.LBB464_1348:                           ;   in Loop: Header=BB464_8 Depth=1
	s_delay_alu instid0(SALU_CYCLE_1) | instskip(NEXT) | instid1(VALU_DEP_1)
	s_or_b32 exec_lo, exec_lo, s2
	v_mul_f32_e32 v18, v168, v18
                                        ; implicit-def: $vgpr44
	s_delay_alu instid0(VALU_DEP_1) | instskip(NEXT) | instid1(VALU_DEP_1)
	v_and_b32_e32 v30, 0x7f800000, v18
	v_cmp_ne_u32_e64 s1, 0x7f800000, v30
	s_delay_alu instid0(VALU_DEP_1) | instskip(NEXT) | instid1(SALU_CYCLE_1)
	s_and_saveexec_b32 s2, s1
	s_xor_b32 s1, exec_lo, s2
; %bb.1349:                             ;   in Loop: Header=BB464_8 Depth=1
	v_bfe_u32 v30, v18, 16, 1
	s_delay_alu instid0(VALU_DEP_1)
	v_add3_u32 v44, v18, v30, 0x7fff
                                        ; implicit-def: $vgpr18
; %bb.1350:                             ;   in Loop: Header=BB464_8 Depth=1
	s_and_not1_saveexec_b32 s2, s1
; %bb.1351:                             ;   in Loop: Header=BB464_8 Depth=1
	v_and_b32_e32 v30, 0xffff, v18
	v_or_b32_e32 v31, 0x10000, v18
	s_delay_alu instid0(VALU_DEP_2) | instskip(NEXT) | instid1(VALU_DEP_1)
	v_cmp_eq_u32_e64 s1, 0, v30
	v_cndmask_b32_e64 v44, v31, v18, s1
; %bb.1352:                             ;   in Loop: Header=BB464_8 Depth=1
	s_or_b32 exec_lo, exec_lo, s2
	flat_load_b64 v[30:31], v[28:29] offset:3584
	v_mov_b32_e32 v18, 0
	s_mov_b32 s2, exec_lo
	s_waitcnt vmcnt(0) lgkmcnt(0)
	v_and_b32_e32 v32, 0xff, v30
	s_delay_alu instid0(VALU_DEP_1)
	v_cmpx_ne_u16_e32 0, v32
	s_cbranch_execz .LBB464_1360
; %bb.1353:                             ;   in Loop: Header=BB464_8 Depth=1
	v_bfrev_b32_e32 v18, 1
	s_mov_b32 s18, exec_lo
	v_cmpx_ne_u16_e32 0x80, v32
	s_cbranch_execz .LBB464_1359
; %bb.1354:                             ;   in Loop: Header=BB464_8 Depth=1
	v_and_b32_e32 v32, 0x7f, v30
	v_mov_b32_e32 v18, 0x7f800001
	s_mov_b32 s19, exec_lo
	s_delay_alu instid0(VALU_DEP_2)
	v_cmpx_ne_u32_e32 0x7f, v32
	s_cbranch_execz .LBB464_1358
; %bb.1355:                             ;   in Loop: Header=BB464_8 Depth=1
	v_lshrrev_b32_e32 v18, 3, v32
	v_cmp_gt_u32_e64 s1, 8, v32
	v_dual_mov_b32 v33, v31 :: v_dual_mov_b32 v32, v30
	s_delay_alu instid0(VALU_DEP_2)
	s_and_saveexec_b32 s20, s1
; %bb.1356:                             ;   in Loop: Header=BB464_8 Depth=1
	v_and_b32_e32 v18, 7, v30
	s_delay_alu instid0(VALU_DEP_1) | instskip(NEXT) | instid1(VALU_DEP_1)
	v_clz_i32_u32_e32 v18, v18
	v_min_u32_e32 v18, 32, v18
	s_delay_alu instid0(VALU_DEP_1) | instskip(SKIP_1) | instid1(VALU_DEP_2)
	v_subrev_nc_u32_e32 v32, 28, v18
	v_sub_nc_u32_e32 v18, 29, v18
	v_lshlrev_b64 v[32:33], v32, v[30:31]
; %bb.1357:                             ;   in Loop: Header=BB464_8 Depth=1
	s_or_b32 exec_lo, exec_lo, s20
	s_delay_alu instid0(VALU_DEP_1) | instskip(SKIP_2) | instid1(VALU_DEP_3)
	v_lshlrev_b32_e32 v32, 20, v32
	v_lshlrev_b32_e32 v33, 24, v30
	v_lshl_add_u32 v18, v18, 23, 0x3c000000
	v_and_b32_e32 v32, 0x700000, v32
	s_delay_alu instid0(VALU_DEP_3) | instskip(NEXT) | instid1(VALU_DEP_1)
	v_and_b32_e32 v33, 0x80000000, v33
	v_or3_b32 v18, v32, v33, v18
.LBB464_1358:                           ;   in Loop: Header=BB464_8 Depth=1
	s_or_b32 exec_lo, exec_lo, s19
.LBB464_1359:                           ;   in Loop: Header=BB464_8 Depth=1
	s_delay_alu instid0(SALU_CYCLE_1)
	s_or_b32 exec_lo, exec_lo, s18
.LBB464_1360:                           ;   in Loop: Header=BB464_8 Depth=1
	s_delay_alu instid0(SALU_CYCLE_1) | instskip(NEXT) | instid1(VALU_DEP_1)
	s_or_b32 exec_lo, exec_lo, s2
	v_mul_f32_e32 v18, v168, v18
                                        ; implicit-def: $vgpr45
	s_delay_alu instid0(VALU_DEP_1) | instskip(NEXT) | instid1(VALU_DEP_1)
	v_and_b32_e32 v32, 0x7f800000, v18
	v_cmp_ne_u32_e64 s1, 0x7f800000, v32
	s_delay_alu instid0(VALU_DEP_1) | instskip(NEXT) | instid1(SALU_CYCLE_1)
	s_and_saveexec_b32 s2, s1
	s_xor_b32 s1, exec_lo, s2
; %bb.1361:                             ;   in Loop: Header=BB464_8 Depth=1
	v_bfe_u32 v32, v18, 16, 1
	s_delay_alu instid0(VALU_DEP_1)
	v_add3_u32 v45, v18, v32, 0x7fff
                                        ; implicit-def: $vgpr18
; %bb.1362:                             ;   in Loop: Header=BB464_8 Depth=1
	s_and_not1_saveexec_b32 s2, s1
; %bb.1363:                             ;   in Loop: Header=BB464_8 Depth=1
	v_and_b32_e32 v32, 0xffff, v18
	v_or_b32_e32 v33, 0x10000, v18
	s_delay_alu instid0(VALU_DEP_2) | instskip(NEXT) | instid1(VALU_DEP_1)
	v_cmp_eq_u32_e64 s1, 0, v32
	v_cndmask_b32_e64 v45, v33, v18, s1
; %bb.1364:                             ;   in Loop: Header=BB464_8 Depth=1
	s_or_b32 exec_lo, exec_lo, s2
	v_lshrrev_b16 v32, 8, v30
	v_mov_b32_e32 v18, 0
	s_mov_b32 s2, exec_lo
	s_delay_alu instid0(VALU_DEP_2)
	v_cmpx_ne_u16_e32 0, v32
	s_cbranch_execz .LBB464_1372
; %bb.1365:                             ;   in Loop: Header=BB464_8 Depth=1
	v_bfrev_b32_e32 v18, 1
	s_mov_b32 s18, exec_lo
	v_cmpx_ne_u16_e32 0x80, v32
	s_cbranch_execz .LBB464_1371
; %bb.1366:                             ;   in Loop: Header=BB464_8 Depth=1
	v_and_b32_e32 v33, 0xffff, v32
	v_mov_b32_e32 v18, 0x7f800001
	s_mov_b32 s19, exec_lo
	s_delay_alu instid0(VALU_DEP_2) | instskip(NEXT) | instid1(VALU_DEP_1)
	v_and_b32_e32 v32, 0x7f, v33
	v_cmpx_ne_u32_e32 0x7f, v32
	s_cbranch_execz .LBB464_1370
; %bb.1367:                             ;   in Loop: Header=BB464_8 Depth=1
	v_and_b32_e32 v18, 7, v33
	v_lshrrev_b32_e32 v46, 3, v32
	v_cmp_gt_u32_e64 s1, 8, v32
	s_delay_alu instid0(VALU_DEP_3) | instskip(NEXT) | instid1(VALU_DEP_2)
	v_dual_mov_b32 v33, v19 :: v_dual_mov_b32 v32, v18
	s_and_saveexec_b32 s20, s1
; %bb.1368:                             ;   in Loop: Header=BB464_8 Depth=1
	v_clz_i32_u32_e32 v32, v18
	s_delay_alu instid0(VALU_DEP_1) | instskip(NEXT) | instid1(VALU_DEP_1)
	v_min_u32_e32 v46, 32, v32
	v_subrev_nc_u32_e32 v32, 28, v46
	v_sub_nc_u32_e32 v46, 29, v46
	s_delay_alu instid0(VALU_DEP_2) | instskip(NEXT) | instid1(VALU_DEP_1)
	v_lshlrev_b64 v[32:33], v32, v[18:19]
	v_and_b32_e32 v32, 7, v32
; %bb.1369:                             ;   in Loop: Header=BB464_8 Depth=1
	s_or_b32 exec_lo, exec_lo, s20
	v_lshlrev_b32_e32 v18, 16, v30
	s_delay_alu instid0(VALU_DEP_2) | instskip(SKIP_1) | instid1(VALU_DEP_3)
	v_lshlrev_b32_e32 v32, 20, v32
	v_lshl_add_u32 v33, v46, 23, 0x3c000000
	v_and_b32_e32 v18, 0x80000000, v18
	s_delay_alu instid0(VALU_DEP_1)
	v_or3_b32 v18, v32, v18, v33
.LBB464_1370:                           ;   in Loop: Header=BB464_8 Depth=1
	s_or_b32 exec_lo, exec_lo, s19
.LBB464_1371:                           ;   in Loop: Header=BB464_8 Depth=1
	s_delay_alu instid0(SALU_CYCLE_1)
	s_or_b32 exec_lo, exec_lo, s18
.LBB464_1372:                           ;   in Loop: Header=BB464_8 Depth=1
	s_delay_alu instid0(SALU_CYCLE_1) | instskip(NEXT) | instid1(VALU_DEP_1)
	s_or_b32 exec_lo, exec_lo, s2
	v_mul_f32_e32 v18, v168, v18
                                        ; implicit-def: $vgpr46
	s_delay_alu instid0(VALU_DEP_1) | instskip(NEXT) | instid1(VALU_DEP_1)
	v_and_b32_e32 v32, 0x7f800000, v18
	v_cmp_ne_u32_e64 s1, 0x7f800000, v32
	s_delay_alu instid0(VALU_DEP_1) | instskip(NEXT) | instid1(SALU_CYCLE_1)
	s_and_saveexec_b32 s2, s1
	s_xor_b32 s1, exec_lo, s2
; %bb.1373:                             ;   in Loop: Header=BB464_8 Depth=1
	v_bfe_u32 v32, v18, 16, 1
	s_delay_alu instid0(VALU_DEP_1)
	v_add3_u32 v46, v18, v32, 0x7fff
                                        ; implicit-def: $vgpr18
; %bb.1374:                             ;   in Loop: Header=BB464_8 Depth=1
	s_and_not1_saveexec_b32 s2, s1
; %bb.1375:                             ;   in Loop: Header=BB464_8 Depth=1
	v_and_b32_e32 v32, 0xffff, v18
	v_or_b32_e32 v33, 0x10000, v18
	s_delay_alu instid0(VALU_DEP_2) | instskip(NEXT) | instid1(VALU_DEP_1)
	v_cmp_eq_u32_e64 s1, 0, v32
	v_cndmask_b32_e64 v46, v33, v18, s1
; %bb.1376:                             ;   in Loop: Header=BB464_8 Depth=1
	s_or_b32 exec_lo, exec_lo, s2
	v_lshrrev_b32_e32 v47, 16, v30
	v_mov_b32_e32 v18, 0
	s_mov_b32 s2, exec_lo
	s_delay_alu instid0(VALU_DEP_2) | instskip(NEXT) | instid1(VALU_DEP_1)
	v_and_b32_e32 v32, 0xff, v47
	v_cmpx_ne_u16_e32 0, v32
	s_cbranch_execz .LBB464_1384
; %bb.1377:                             ;   in Loop: Header=BB464_8 Depth=1
	v_bfrev_b32_e32 v18, 1
	s_mov_b32 s18, exec_lo
	v_cmpx_ne_u16_e32 0x80, v32
	s_cbranch_execz .LBB464_1383
; %bb.1378:                             ;   in Loop: Header=BB464_8 Depth=1
	v_bfe_u32 v32, v30, 16, 7
	v_mov_b32_e32 v18, 0x7f800001
	s_mov_b32 s19, exec_lo
	s_delay_alu instid0(VALU_DEP_2)
	v_cmpx_ne_u32_e32 0x7f, v32
	s_cbranch_execz .LBB464_1382
; %bb.1379:                             ;   in Loop: Header=BB464_8 Depth=1
	v_and_b32_e32 v18, 7, v47
	v_lshrrev_b32_e32 v56, 3, v32
	v_cmp_gt_u32_e64 s1, 8, v32
	s_delay_alu instid0(VALU_DEP_3) | instskip(NEXT) | instid1(VALU_DEP_2)
	v_dual_mov_b32 v33, v19 :: v_dual_mov_b32 v32, v18
	s_and_saveexec_b32 s20, s1
; %bb.1380:                             ;   in Loop: Header=BB464_8 Depth=1
	v_clz_i32_u32_e32 v32, v18
	s_delay_alu instid0(VALU_DEP_1) | instskip(NEXT) | instid1(VALU_DEP_1)
	v_min_u32_e32 v56, 32, v32
	v_subrev_nc_u32_e32 v32, 28, v56
	v_sub_nc_u32_e32 v56, 29, v56
	s_delay_alu instid0(VALU_DEP_2) | instskip(NEXT) | instid1(VALU_DEP_1)
	v_lshlrev_b64 v[32:33], v32, v[18:19]
	v_and_b32_e32 v32, 7, v32
; %bb.1381:                             ;   in Loop: Header=BB464_8 Depth=1
	s_or_b32 exec_lo, exec_lo, s20
	v_lshlrev_b32_e32 v18, 24, v47
	s_delay_alu instid0(VALU_DEP_2) | instskip(SKIP_1) | instid1(VALU_DEP_3)
	v_lshlrev_b32_e32 v32, 20, v32
	v_lshl_add_u32 v33, v56, 23, 0x3c000000
	v_and_b32_e32 v18, 0x80000000, v18
	s_delay_alu instid0(VALU_DEP_1)
	v_or3_b32 v18, v32, v18, v33
.LBB464_1382:                           ;   in Loop: Header=BB464_8 Depth=1
	s_or_b32 exec_lo, exec_lo, s19
.LBB464_1383:                           ;   in Loop: Header=BB464_8 Depth=1
	s_delay_alu instid0(SALU_CYCLE_1)
	s_or_b32 exec_lo, exec_lo, s18
.LBB464_1384:                           ;   in Loop: Header=BB464_8 Depth=1
	s_delay_alu instid0(SALU_CYCLE_1) | instskip(NEXT) | instid1(VALU_DEP_1)
	s_or_b32 exec_lo, exec_lo, s2
	v_mul_f32_e32 v18, v168, v18
                                        ; implicit-def: $vgpr47
	s_delay_alu instid0(VALU_DEP_1) | instskip(NEXT) | instid1(VALU_DEP_1)
	v_and_b32_e32 v32, 0x7f800000, v18
	v_cmp_ne_u32_e64 s1, 0x7f800000, v32
	s_delay_alu instid0(VALU_DEP_1) | instskip(NEXT) | instid1(SALU_CYCLE_1)
	s_and_saveexec_b32 s2, s1
	s_xor_b32 s1, exec_lo, s2
; %bb.1385:                             ;   in Loop: Header=BB464_8 Depth=1
	v_bfe_u32 v32, v18, 16, 1
	s_delay_alu instid0(VALU_DEP_1)
	v_add3_u32 v47, v18, v32, 0x7fff
                                        ; implicit-def: $vgpr18
; %bb.1386:                             ;   in Loop: Header=BB464_8 Depth=1
	s_and_not1_saveexec_b32 s2, s1
; %bb.1387:                             ;   in Loop: Header=BB464_8 Depth=1
	v_and_b32_e32 v32, 0xffff, v18
	v_or_b32_e32 v33, 0x10000, v18
	s_delay_alu instid0(VALU_DEP_2) | instskip(NEXT) | instid1(VALU_DEP_1)
	v_cmp_eq_u32_e64 s1, 0, v32
	v_cndmask_b32_e64 v47, v33, v18, s1
; %bb.1388:                             ;   in Loop: Header=BB464_8 Depth=1
	s_or_b32 exec_lo, exec_lo, s2
	v_mov_b32_e32 v18, 0
	s_mov_b32 s2, exec_lo
	v_cmpx_lt_u32_e32 0xffffff, v30
	s_cbranch_execz .LBB464_1396
; %bb.1389:                             ;   in Loop: Header=BB464_8 Depth=1
	v_lshrrev_b32_e32 v56, 24, v30
	v_bfrev_b32_e32 v18, 1
	s_mov_b32 s18, exec_lo
	s_delay_alu instid0(VALU_DEP_2)
	v_cmpx_ne_u32_e32 0x80, v56
	s_cbranch_execz .LBB464_1395
; %bb.1390:                             ;   in Loop: Header=BB464_8 Depth=1
	v_bfe_u32 v32, v30, 24, 7
	v_mov_b32_e32 v18, 0x7f800001
	s_mov_b32 s19, exec_lo
	s_delay_alu instid0(VALU_DEP_2)
	v_cmpx_ne_u32_e32 0x7f, v32
	s_cbranch_execz .LBB464_1394
; %bb.1391:                             ;   in Loop: Header=BB464_8 Depth=1
	v_and_b32_e32 v18, 7, v56
	v_lshrrev_b32_e32 v57, 3, v32
	v_cmp_gt_u32_e64 s1, 8, v32
	s_delay_alu instid0(VALU_DEP_3) | instskip(NEXT) | instid1(VALU_DEP_2)
	v_dual_mov_b32 v33, v19 :: v_dual_mov_b32 v32, v18
	s_and_saveexec_b32 s20, s1
; %bb.1392:                             ;   in Loop: Header=BB464_8 Depth=1
	v_clz_i32_u32_e32 v32, v18
	s_delay_alu instid0(VALU_DEP_1) | instskip(NEXT) | instid1(VALU_DEP_1)
	v_min_u32_e32 v57, 32, v32
	v_subrev_nc_u32_e32 v32, 28, v57
	v_sub_nc_u32_e32 v57, 29, v57
	s_delay_alu instid0(VALU_DEP_2) | instskip(NEXT) | instid1(VALU_DEP_1)
	v_lshlrev_b64 v[32:33], v32, v[18:19]
	v_and_b32_e32 v32, 7, v32
; %bb.1393:                             ;   in Loop: Header=BB464_8 Depth=1
	s_or_b32 exec_lo, exec_lo, s20
	v_lshlrev_b32_e32 v18, 24, v56
	s_delay_alu instid0(VALU_DEP_2) | instskip(SKIP_1) | instid1(VALU_DEP_3)
	v_lshlrev_b32_e32 v32, 20, v32
	v_lshl_add_u32 v33, v57, 23, 0x3c000000
	v_and_b32_e32 v18, 0x80000000, v18
	s_delay_alu instid0(VALU_DEP_1)
	v_or3_b32 v18, v32, v18, v33
.LBB464_1394:                           ;   in Loop: Header=BB464_8 Depth=1
	s_or_b32 exec_lo, exec_lo, s19
.LBB464_1395:                           ;   in Loop: Header=BB464_8 Depth=1
	s_delay_alu instid0(SALU_CYCLE_1)
	s_or_b32 exec_lo, exec_lo, s18
.LBB464_1396:                           ;   in Loop: Header=BB464_8 Depth=1
	s_delay_alu instid0(SALU_CYCLE_1) | instskip(NEXT) | instid1(VALU_DEP_1)
	s_or_b32 exec_lo, exec_lo, s2
	v_mul_f32_e32 v18, v168, v18
                                        ; implicit-def: $vgpr56
	s_delay_alu instid0(VALU_DEP_1) | instskip(NEXT) | instid1(VALU_DEP_1)
	v_and_b32_e32 v32, 0x7f800000, v18
	v_cmp_ne_u32_e64 s1, 0x7f800000, v32
	s_delay_alu instid0(VALU_DEP_1) | instskip(NEXT) | instid1(SALU_CYCLE_1)
	s_and_saveexec_b32 s2, s1
	s_xor_b32 s1, exec_lo, s2
; %bb.1397:                             ;   in Loop: Header=BB464_8 Depth=1
	v_bfe_u32 v32, v18, 16, 1
	s_delay_alu instid0(VALU_DEP_1)
	v_add3_u32 v56, v18, v32, 0x7fff
                                        ; implicit-def: $vgpr18
; %bb.1398:                             ;   in Loop: Header=BB464_8 Depth=1
	s_and_not1_saveexec_b32 s2, s1
; %bb.1399:                             ;   in Loop: Header=BB464_8 Depth=1
	v_and_b32_e32 v32, 0xffff, v18
	v_or_b32_e32 v33, 0x10000, v18
	s_delay_alu instid0(VALU_DEP_2) | instskip(NEXT) | instid1(VALU_DEP_1)
	v_cmp_eq_u32_e64 s1, 0, v32
	v_cndmask_b32_e64 v56, v33, v18, s1
; %bb.1400:                             ;   in Loop: Header=BB464_8 Depth=1
	s_or_b32 exec_lo, exec_lo, s2
	v_dual_mov_b32 v18, v31 :: v_dual_and_b32 v33, 0xff, v31
	v_mov_b32_e32 v32, 0
	s_mov_b32 s2, exec_lo
	s_delay_alu instid0(VALU_DEP_2)
	v_cmpx_ne_u16_e32 0, v33
	s_cbranch_execz .LBB464_1408
; %bb.1401:                             ;   in Loop: Header=BB464_8 Depth=1
	v_bfrev_b32_e32 v32, 1
	s_mov_b32 s18, exec_lo
	v_cmpx_ne_u16_e32 0x80, v33
	s_cbranch_execz .LBB464_1407
; %bb.1402:                             ;   in Loop: Header=BB464_8 Depth=1
	v_and_b32_e32 v33, 0x7f, v31
	v_mov_b32_e32 v32, 0x7f800001
	s_mov_b32 s19, exec_lo
	s_delay_alu instid0(VALU_DEP_2)
	v_cmpx_ne_u32_e32 0x7f, v33
	s_cbranch_execz .LBB464_1406
; %bb.1403:                             ;   in Loop: Header=BB464_8 Depth=1
	v_lshrrev_b32_e32 v57, 3, v33
	v_cmp_gt_u32_e64 s1, 8, v33
	v_dual_mov_b32 v33, v19 :: v_dual_mov_b32 v32, v18
	s_delay_alu instid0(VALU_DEP_2)
	s_and_saveexec_b32 s20, s1
; %bb.1404:                             ;   in Loop: Header=BB464_8 Depth=1
	v_and_b32_e32 v32, 7, v31
	s_delay_alu instid0(VALU_DEP_1) | instskip(NEXT) | instid1(VALU_DEP_1)
	v_clz_i32_u32_e32 v32, v32
	v_min_u32_e32 v57, 32, v32
	s_delay_alu instid0(VALU_DEP_1) | instskip(SKIP_1) | instid1(VALU_DEP_2)
	v_subrev_nc_u32_e32 v32, 28, v57
	v_sub_nc_u32_e32 v57, 29, v57
	v_lshlrev_b64 v[32:33], v32, v[18:19]
; %bb.1405:                             ;   in Loop: Header=BB464_8 Depth=1
	s_or_b32 exec_lo, exec_lo, s20
	s_delay_alu instid0(VALU_DEP_1) | instskip(SKIP_2) | instid1(VALU_DEP_3)
	v_lshlrev_b32_e32 v32, 20, v32
	v_lshlrev_b32_e32 v33, 24, v18
	v_lshl_add_u32 v57, v57, 23, 0x3c000000
	v_and_b32_e32 v32, 0x700000, v32
	s_delay_alu instid0(VALU_DEP_3) | instskip(NEXT) | instid1(VALU_DEP_1)
	v_and_b32_e32 v33, 0x80000000, v33
	v_or3_b32 v32, v32, v33, v57
.LBB464_1406:                           ;   in Loop: Header=BB464_8 Depth=1
	s_or_b32 exec_lo, exec_lo, s19
.LBB464_1407:                           ;   in Loop: Header=BB464_8 Depth=1
	s_delay_alu instid0(SALU_CYCLE_1)
	s_or_b32 exec_lo, exec_lo, s18
.LBB464_1408:                           ;   in Loop: Header=BB464_8 Depth=1
	s_delay_alu instid0(SALU_CYCLE_1) | instskip(NEXT) | instid1(VALU_DEP_1)
	s_or_b32 exec_lo, exec_lo, s2
	v_mul_f32_e32 v32, v168, v32
                                        ; implicit-def: $vgpr57
	s_delay_alu instid0(VALU_DEP_1) | instskip(NEXT) | instid1(VALU_DEP_1)
	v_and_b32_e32 v33, 0x7f800000, v32
	v_cmp_ne_u32_e64 s1, 0x7f800000, v33
	s_delay_alu instid0(VALU_DEP_1) | instskip(NEXT) | instid1(SALU_CYCLE_1)
	s_and_saveexec_b32 s2, s1
	s_xor_b32 s1, exec_lo, s2
; %bb.1409:                             ;   in Loop: Header=BB464_8 Depth=1
	v_bfe_u32 v33, v32, 16, 1
	s_delay_alu instid0(VALU_DEP_1)
	v_add3_u32 v57, v32, v33, 0x7fff
                                        ; implicit-def: $vgpr32
; %bb.1410:                             ;   in Loop: Header=BB464_8 Depth=1
	s_and_not1_saveexec_b32 s2, s1
; %bb.1411:                             ;   in Loop: Header=BB464_8 Depth=1
	v_and_b32_e32 v33, 0xffff, v32
	v_or_b32_e32 v57, 0x10000, v32
	s_delay_alu instid0(VALU_DEP_2) | instskip(NEXT) | instid1(VALU_DEP_1)
	v_cmp_eq_u32_e64 s1, 0, v33
	v_cndmask_b32_e64 v57, v57, v32, s1
; %bb.1412:                             ;   in Loop: Header=BB464_8 Depth=1
	s_or_b32 exec_lo, exec_lo, s2
	v_lshrrev_b16 v33, 8, v18
	v_mov_b32_e32 v32, 0
	s_mov_b32 s2, exec_lo
	s_delay_alu instid0(VALU_DEP_2)
	v_cmpx_ne_u16_e32 0, v33
	s_cbranch_execz .LBB464_1420
; %bb.1413:                             ;   in Loop: Header=BB464_8 Depth=1
	v_bfrev_b32_e32 v32, 1
	s_mov_b32 s18, exec_lo
	v_cmpx_ne_u16_e32 0x80, v33
	s_cbranch_execz .LBB464_1419
; %bb.1414:                             ;   in Loop: Header=BB464_8 Depth=1
	v_and_b32_e32 v33, 0xffff, v33
	v_mov_b32_e32 v32, 0x7f800001
	s_mov_b32 s19, exec_lo
	s_delay_alu instid0(VALU_DEP_2) | instskip(NEXT) | instid1(VALU_DEP_1)
	v_and_b32_e32 v59, 0x7f, v33
	v_cmpx_ne_u32_e32 0x7f, v59
	s_cbranch_execz .LBB464_1418
; %bb.1415:                             ;   in Loop: Header=BB464_8 Depth=1
	v_dual_mov_b32 v33, v19 :: v_dual_and_b32 v32, 7, v33
	v_lshrrev_b32_e32 v58, 3, v59
	s_mov_b32 s20, exec_lo
	v_cmpx_gt_u32_e32 8, v59
; %bb.1416:                             ;   in Loop: Header=BB464_8 Depth=1
	s_delay_alu instid0(VALU_DEP_3) | instskip(NEXT) | instid1(VALU_DEP_1)
	v_clz_i32_u32_e32 v58, v32
	v_min_u32_e32 v58, 32, v58
	s_delay_alu instid0(VALU_DEP_1) | instskip(SKIP_1) | instid1(VALU_DEP_2)
	v_subrev_nc_u32_e32 v59, 28, v58
	v_sub_nc_u32_e32 v58, 29, v58
	v_lshlrev_b64 v[32:33], v59, v[32:33]
	s_delay_alu instid0(VALU_DEP_1)
	v_and_b32_e32 v32, 7, v32
; %bb.1417:                             ;   in Loop: Header=BB464_8 Depth=1
	s_or_b32 exec_lo, exec_lo, s20
	v_lshlrev_b32_e32 v18, 16, v18
	s_delay_alu instid0(VALU_DEP_2) | instskip(SKIP_1) | instid1(VALU_DEP_3)
	v_lshlrev_b32_e32 v32, 20, v32
	v_lshl_add_u32 v33, v58, 23, 0x3c000000
	v_and_b32_e32 v18, 0x80000000, v18
	s_delay_alu instid0(VALU_DEP_1)
	v_or3_b32 v32, v32, v18, v33
.LBB464_1418:                           ;   in Loop: Header=BB464_8 Depth=1
	s_or_b32 exec_lo, exec_lo, s19
.LBB464_1419:                           ;   in Loop: Header=BB464_8 Depth=1
	s_delay_alu instid0(SALU_CYCLE_1)
	s_or_b32 exec_lo, exec_lo, s18
.LBB464_1420:                           ;   in Loop: Header=BB464_8 Depth=1
	s_delay_alu instid0(SALU_CYCLE_1) | instskip(NEXT) | instid1(VALU_DEP_1)
	s_or_b32 exec_lo, exec_lo, s2
	v_mul_f32_e32 v18, v168, v32
                                        ; implicit-def: $vgpr58
	s_delay_alu instid0(VALU_DEP_1) | instskip(NEXT) | instid1(VALU_DEP_1)
	v_and_b32_e32 v32, 0x7f800000, v18
	v_cmp_ne_u32_e64 s1, 0x7f800000, v32
	s_delay_alu instid0(VALU_DEP_1) | instskip(NEXT) | instid1(SALU_CYCLE_1)
	s_and_saveexec_b32 s2, s1
	s_xor_b32 s1, exec_lo, s2
; %bb.1421:                             ;   in Loop: Header=BB464_8 Depth=1
	v_bfe_u32 v32, v18, 16, 1
	s_delay_alu instid0(VALU_DEP_1)
	v_add3_u32 v58, v18, v32, 0x7fff
                                        ; implicit-def: $vgpr18
; %bb.1422:                             ;   in Loop: Header=BB464_8 Depth=1
	s_and_not1_saveexec_b32 s2, s1
; %bb.1423:                             ;   in Loop: Header=BB464_8 Depth=1
	v_and_b32_e32 v32, 0xffff, v18
	v_or_b32_e32 v33, 0x10000, v18
	s_delay_alu instid0(VALU_DEP_2) | instskip(NEXT) | instid1(VALU_DEP_1)
	v_cmp_eq_u32_e64 s1, 0, v32
	v_cndmask_b32_e64 v58, v33, v18, s1
; %bb.1424:                             ;   in Loop: Header=BB464_8 Depth=1
	s_or_b32 exec_lo, exec_lo, s2
	v_lshrrev_b32_e32 v59, 16, v31
	v_mov_b32_e32 v18, 0
	s_mov_b32 s2, exec_lo
	s_delay_alu instid0(VALU_DEP_2) | instskip(NEXT) | instid1(VALU_DEP_1)
	v_and_b32_e32 v32, 0xff, v59
	v_cmpx_ne_u16_e32 0, v32
	s_cbranch_execz .LBB464_1432
; %bb.1425:                             ;   in Loop: Header=BB464_8 Depth=1
	v_bfrev_b32_e32 v18, 1
	s_mov_b32 s18, exec_lo
	v_cmpx_ne_u16_e32 0x80, v32
	s_cbranch_execz .LBB464_1431
; %bb.1426:                             ;   in Loop: Header=BB464_8 Depth=1
	v_bfe_u32 v32, v31, 16, 7
	v_mov_b32_e32 v18, 0x7f800001
	s_mov_b32 s19, exec_lo
	s_delay_alu instid0(VALU_DEP_2)
	v_cmpx_ne_u32_e32 0x7f, v32
	s_cbranch_execz .LBB464_1430
; %bb.1427:                             ;   in Loop: Header=BB464_8 Depth=1
	v_and_b32_e32 v18, 7, v59
	v_lshrrev_b32_e32 v60, 3, v32
	v_cmp_gt_u32_e64 s1, 8, v32
	s_delay_alu instid0(VALU_DEP_3) | instskip(NEXT) | instid1(VALU_DEP_2)
	v_dual_mov_b32 v33, v19 :: v_dual_mov_b32 v32, v18
	s_and_saveexec_b32 s20, s1
; %bb.1428:                             ;   in Loop: Header=BB464_8 Depth=1
	v_clz_i32_u32_e32 v32, v18
	s_delay_alu instid0(VALU_DEP_1) | instskip(NEXT) | instid1(VALU_DEP_1)
	v_min_u32_e32 v60, 32, v32
	v_subrev_nc_u32_e32 v32, 28, v60
	v_sub_nc_u32_e32 v60, 29, v60
	s_delay_alu instid0(VALU_DEP_2) | instskip(NEXT) | instid1(VALU_DEP_1)
	v_lshlrev_b64 v[32:33], v32, v[18:19]
	v_and_b32_e32 v32, 7, v32
; %bb.1429:                             ;   in Loop: Header=BB464_8 Depth=1
	s_or_b32 exec_lo, exec_lo, s20
	v_lshlrev_b32_e32 v18, 24, v59
	s_delay_alu instid0(VALU_DEP_2) | instskip(SKIP_1) | instid1(VALU_DEP_3)
	v_lshlrev_b32_e32 v32, 20, v32
	v_lshl_add_u32 v33, v60, 23, 0x3c000000
	v_and_b32_e32 v18, 0x80000000, v18
	s_delay_alu instid0(VALU_DEP_1)
	v_or3_b32 v18, v32, v18, v33
.LBB464_1430:                           ;   in Loop: Header=BB464_8 Depth=1
	s_or_b32 exec_lo, exec_lo, s19
.LBB464_1431:                           ;   in Loop: Header=BB464_8 Depth=1
	s_delay_alu instid0(SALU_CYCLE_1)
	s_or_b32 exec_lo, exec_lo, s18
.LBB464_1432:                           ;   in Loop: Header=BB464_8 Depth=1
	s_delay_alu instid0(SALU_CYCLE_1) | instskip(NEXT) | instid1(VALU_DEP_1)
	s_or_b32 exec_lo, exec_lo, s2
	v_mul_f32_e32 v18, v168, v18
	s_delay_alu instid0(VALU_DEP_1) | instskip(NEXT) | instid1(VALU_DEP_1)
	v_and_b32_e32 v32, 0x7f800000, v18
	v_cmp_ne_u32_e64 s1, 0x7f800000, v32
                                        ; implicit-def: $vgpr32
	s_delay_alu instid0(VALU_DEP_1) | instskip(NEXT) | instid1(SALU_CYCLE_1)
	s_and_saveexec_b32 s2, s1
	s_xor_b32 s1, exec_lo, s2
; %bb.1433:                             ;   in Loop: Header=BB464_8 Depth=1
	v_bfe_u32 v32, v18, 16, 1
	s_delay_alu instid0(VALU_DEP_1)
	v_add3_u32 v32, v18, v32, 0x7fff
                                        ; implicit-def: $vgpr18
; %bb.1434:                             ;   in Loop: Header=BB464_8 Depth=1
	s_and_not1_saveexec_b32 s2, s1
; %bb.1435:                             ;   in Loop: Header=BB464_8 Depth=1
	v_and_b32_e32 v32, 0xffff, v18
	v_or_b32_e32 v33, 0x10000, v18
	s_delay_alu instid0(VALU_DEP_2) | instskip(NEXT) | instid1(VALU_DEP_1)
	v_cmp_eq_u32_e64 s1, 0, v32
	v_cndmask_b32_e64 v32, v33, v18, s1
; %bb.1436:                             ;   in Loop: Header=BB464_8 Depth=1
	s_or_b32 exec_lo, exec_lo, s2
	v_mov_b32_e32 v18, 0
	s_mov_b32 s2, exec_lo
	v_cmpx_lt_u64_e64 s[8:9], v[30:31]
	s_cbranch_execz .LBB464_1444
; %bb.1437:                             ;   in Loop: Header=BB464_8 Depth=1
	v_lshrrev_b32_e32 v33, 24, v31
	v_bfrev_b32_e32 v18, 1
	s_mov_b32 s18, exec_lo
	s_delay_alu instid0(VALU_DEP_2)
	v_cmpx_ne_u32_e32 0x80, v33
	s_cbranch_execz .LBB464_1443
; %bb.1438:                             ;   in Loop: Header=BB464_8 Depth=1
	v_bfe_u32 v30, v31, 24, 7
	v_mov_b32_e32 v18, 0x7f800001
	s_mov_b32 s19, exec_lo
	s_delay_alu instid0(VALU_DEP_2)
	v_cmpx_ne_u32_e32 0x7f, v30
	s_cbranch_execz .LBB464_1442
; %bb.1439:                             ;   in Loop: Header=BB464_8 Depth=1
	v_and_b32_e32 v18, 7, v33
	v_lshrrev_b32_e32 v59, 3, v30
	v_cmp_gt_u32_e64 s1, 8, v30
	s_delay_alu instid0(VALU_DEP_3) | instskip(NEXT) | instid1(VALU_DEP_2)
	v_dual_mov_b32 v31, v19 :: v_dual_mov_b32 v30, v18
	s_and_saveexec_b32 s20, s1
; %bb.1440:                             ;   in Loop: Header=BB464_8 Depth=1
	v_clz_i32_u32_e32 v30, v18
	s_delay_alu instid0(VALU_DEP_1) | instskip(NEXT) | instid1(VALU_DEP_1)
	v_min_u32_e32 v59, 32, v30
	v_subrev_nc_u32_e32 v30, 28, v59
	v_sub_nc_u32_e32 v59, 29, v59
	s_delay_alu instid0(VALU_DEP_2) | instskip(NEXT) | instid1(VALU_DEP_1)
	v_lshlrev_b64 v[30:31], v30, v[18:19]
	v_and_b32_e32 v30, 7, v30
; %bb.1441:                             ;   in Loop: Header=BB464_8 Depth=1
	s_or_b32 exec_lo, exec_lo, s20
	v_lshlrev_b32_e32 v18, 24, v33
	s_delay_alu instid0(VALU_DEP_2) | instskip(SKIP_1) | instid1(VALU_DEP_3)
	v_lshlrev_b32_e32 v30, 20, v30
	v_lshl_add_u32 v31, v59, 23, 0x3c000000
	v_and_b32_e32 v18, 0x80000000, v18
	s_delay_alu instid0(VALU_DEP_1)
	v_or3_b32 v18, v30, v18, v31
.LBB464_1442:                           ;   in Loop: Header=BB464_8 Depth=1
	s_or_b32 exec_lo, exec_lo, s19
.LBB464_1443:                           ;   in Loop: Header=BB464_8 Depth=1
	s_delay_alu instid0(SALU_CYCLE_1)
	s_or_b32 exec_lo, exec_lo, s18
.LBB464_1444:                           ;   in Loop: Header=BB464_8 Depth=1
	s_delay_alu instid0(SALU_CYCLE_1) | instskip(NEXT) | instid1(VALU_DEP_1)
	s_or_b32 exec_lo, exec_lo, s2
	v_mul_f32_e32 v18, v168, v18
                                        ; implicit-def: $vgpr33
	s_delay_alu instid0(VALU_DEP_1) | instskip(NEXT) | instid1(VALU_DEP_1)
	v_and_b32_e32 v30, 0x7f800000, v18
	v_cmp_ne_u32_e64 s1, 0x7f800000, v30
	s_delay_alu instid0(VALU_DEP_1) | instskip(NEXT) | instid1(SALU_CYCLE_1)
	s_and_saveexec_b32 s2, s1
	s_xor_b32 s1, exec_lo, s2
; %bb.1445:                             ;   in Loop: Header=BB464_8 Depth=1
	v_bfe_u32 v30, v18, 16, 1
	s_delay_alu instid0(VALU_DEP_1)
	v_add3_u32 v33, v18, v30, 0x7fff
                                        ; implicit-def: $vgpr18
; %bb.1446:                             ;   in Loop: Header=BB464_8 Depth=1
	s_and_not1_saveexec_b32 s2, s1
; %bb.1447:                             ;   in Loop: Header=BB464_8 Depth=1
	v_and_b32_e32 v30, 0xffff, v18
	v_or_b32_e32 v31, 0x10000, v18
	s_delay_alu instid0(VALU_DEP_2) | instskip(NEXT) | instid1(VALU_DEP_1)
	v_cmp_eq_u32_e64 s1, 0, v30
	v_cndmask_b32_e64 v33, v31, v18, s1
; %bb.1448:                             ;   in Loop: Header=BB464_8 Depth=1
	s_or_b32 exec_lo, exec_lo, s2
	flat_load_b64 v[28:29], v[28:29] offset:3592
	v_mov_b32_e32 v18, 0
	s_mov_b32 s2, exec_lo
	s_waitcnt vmcnt(0) lgkmcnt(0)
	v_and_b32_e32 v30, 0xff, v28
	s_delay_alu instid0(VALU_DEP_1)
	v_cmpx_ne_u16_e32 0, v30
	s_cbranch_execz .LBB464_1456
; %bb.1449:                             ;   in Loop: Header=BB464_8 Depth=1
	v_bfrev_b32_e32 v18, 1
	s_mov_b32 s18, exec_lo
	v_cmpx_ne_u16_e32 0x80, v30
	s_cbranch_execz .LBB464_1455
; %bb.1450:                             ;   in Loop: Header=BB464_8 Depth=1
	v_and_b32_e32 v30, 0x7f, v28
	v_mov_b32_e32 v18, 0x7f800001
	s_mov_b32 s19, exec_lo
	s_delay_alu instid0(VALU_DEP_2)
	v_cmpx_ne_u32_e32 0x7f, v30
	s_cbranch_execz .LBB464_1454
; %bb.1451:                             ;   in Loop: Header=BB464_8 Depth=1
	v_lshrrev_b32_e32 v18, 3, v30
	v_cmp_gt_u32_e64 s1, 8, v30
	v_dual_mov_b32 v31, v29 :: v_dual_mov_b32 v30, v28
	s_delay_alu instid0(VALU_DEP_2)
	s_and_saveexec_b32 s20, s1
; %bb.1452:                             ;   in Loop: Header=BB464_8 Depth=1
	v_and_b32_e32 v18, 7, v28
	s_delay_alu instid0(VALU_DEP_1) | instskip(NEXT) | instid1(VALU_DEP_1)
	v_clz_i32_u32_e32 v18, v18
	v_min_u32_e32 v18, 32, v18
	s_delay_alu instid0(VALU_DEP_1) | instskip(SKIP_1) | instid1(VALU_DEP_2)
	v_subrev_nc_u32_e32 v30, 28, v18
	v_sub_nc_u32_e32 v18, 29, v18
	v_lshlrev_b64 v[30:31], v30, v[28:29]
; %bb.1453:                             ;   in Loop: Header=BB464_8 Depth=1
	s_or_b32 exec_lo, exec_lo, s20
	s_delay_alu instid0(VALU_DEP_1) | instskip(SKIP_2) | instid1(VALU_DEP_3)
	v_lshlrev_b32_e32 v30, 20, v30
	v_lshlrev_b32_e32 v31, 24, v28
	v_lshl_add_u32 v18, v18, 23, 0x3c000000
	v_and_b32_e32 v30, 0x700000, v30
	s_delay_alu instid0(VALU_DEP_3) | instskip(NEXT) | instid1(VALU_DEP_1)
	v_and_b32_e32 v31, 0x80000000, v31
	v_or3_b32 v18, v30, v31, v18
.LBB464_1454:                           ;   in Loop: Header=BB464_8 Depth=1
	s_or_b32 exec_lo, exec_lo, s19
.LBB464_1455:                           ;   in Loop: Header=BB464_8 Depth=1
	s_delay_alu instid0(SALU_CYCLE_1)
	s_or_b32 exec_lo, exec_lo, s18
.LBB464_1456:                           ;   in Loop: Header=BB464_8 Depth=1
	s_delay_alu instid0(SALU_CYCLE_1) | instskip(NEXT) | instid1(VALU_DEP_1)
	s_or_b32 exec_lo, exec_lo, s2
	v_mul_f32_e32 v18, v168, v18
                                        ; implicit-def: $vgpr59
	s_delay_alu instid0(VALU_DEP_1) | instskip(NEXT) | instid1(VALU_DEP_1)
	v_and_b32_e32 v30, 0x7f800000, v18
	v_cmp_ne_u32_e64 s1, 0x7f800000, v30
	s_delay_alu instid0(VALU_DEP_1) | instskip(NEXT) | instid1(SALU_CYCLE_1)
	s_and_saveexec_b32 s2, s1
	s_xor_b32 s1, exec_lo, s2
; %bb.1457:                             ;   in Loop: Header=BB464_8 Depth=1
	v_bfe_u32 v30, v18, 16, 1
	s_delay_alu instid0(VALU_DEP_1)
	v_add3_u32 v59, v18, v30, 0x7fff
                                        ; implicit-def: $vgpr18
; %bb.1458:                             ;   in Loop: Header=BB464_8 Depth=1
	s_and_not1_saveexec_b32 s2, s1
; %bb.1459:                             ;   in Loop: Header=BB464_8 Depth=1
	v_and_b32_e32 v30, 0xffff, v18
	v_or_b32_e32 v31, 0x10000, v18
	s_delay_alu instid0(VALU_DEP_2) | instskip(NEXT) | instid1(VALU_DEP_1)
	v_cmp_eq_u32_e64 s1, 0, v30
	v_cndmask_b32_e64 v59, v31, v18, s1
; %bb.1460:                             ;   in Loop: Header=BB464_8 Depth=1
	s_or_b32 exec_lo, exec_lo, s2
	v_lshrrev_b16 v30, 8, v28
	v_mov_b32_e32 v18, 0
	s_mov_b32 s2, exec_lo
	s_delay_alu instid0(VALU_DEP_2)
	v_cmpx_ne_u16_e32 0, v30
	s_cbranch_execz .LBB464_1468
; %bb.1461:                             ;   in Loop: Header=BB464_8 Depth=1
	v_bfrev_b32_e32 v18, 1
	s_mov_b32 s18, exec_lo
	v_cmpx_ne_u16_e32 0x80, v30
	s_cbranch_execz .LBB464_1467
; %bb.1462:                             ;   in Loop: Header=BB464_8 Depth=1
	v_and_b32_e32 v30, 0xffff, v30
	v_mov_b32_e32 v18, 0x7f800001
	s_mov_b32 s19, exec_lo
	s_delay_alu instid0(VALU_DEP_2) | instskip(NEXT) | instid1(VALU_DEP_1)
	v_and_b32_e32 v60, 0x7f, v30
	v_cmpx_ne_u32_e32 0x7f, v60
	s_cbranch_execz .LBB464_1466
; %bb.1463:                             ;   in Loop: Header=BB464_8 Depth=1
	v_and_b32_e32 v18, 7, v30
	v_mov_b32_e32 v31, v19
	v_lshrrev_b32_e32 v31, 3, v60
	s_mov_b32 s20, exec_lo
	s_delay_alu instid0(VALU_DEP_3)
	v_mov_b32_e32 v30, v18
	v_cmpx_gt_u32_e32 8, v60
; %bb.1464:                             ;   in Loop: Header=BB464_8 Depth=1
	v_clz_i32_u32_e32 v30, v18
	s_delay_alu instid0(VALU_DEP_1) | instskip(NEXT) | instid1(VALU_DEP_1)
	v_min_u32_e32 v60, 32, v30
	v_subrev_nc_u32_e32 v30, 28, v60
	s_delay_alu instid0(VALU_DEP_1) | instskip(SKIP_1) | instid1(VALU_DEP_2)
	v_lshlrev_b64 v[30:31], v30, v[18:19]
	v_sub_nc_u32_e32 v31, 29, v60
	v_and_b32_e32 v30, 7, v30
; %bb.1465:                             ;   in Loop: Header=BB464_8 Depth=1
	s_or_b32 exec_lo, exec_lo, s20
	v_lshlrev_b32_e32 v18, 16, v28
	s_delay_alu instid0(VALU_DEP_2) | instskip(SKIP_1) | instid1(VALU_DEP_3)
	v_lshlrev_b32_e32 v30, 20, v30
	v_lshl_add_u32 v31, v31, 23, 0x3c000000
	v_and_b32_e32 v18, 0x80000000, v18
	s_delay_alu instid0(VALU_DEP_1)
	v_or3_b32 v18, v30, v18, v31
.LBB464_1466:                           ;   in Loop: Header=BB464_8 Depth=1
	s_or_b32 exec_lo, exec_lo, s19
.LBB464_1467:                           ;   in Loop: Header=BB464_8 Depth=1
	s_delay_alu instid0(SALU_CYCLE_1)
	s_or_b32 exec_lo, exec_lo, s18
.LBB464_1468:                           ;   in Loop: Header=BB464_8 Depth=1
	s_delay_alu instid0(SALU_CYCLE_1) | instskip(NEXT) | instid1(VALU_DEP_1)
	s_or_b32 exec_lo, exec_lo, s2
	v_mul_f32_e32 v18, v168, v18
                                        ; implicit-def: $vgpr60
	s_delay_alu instid0(VALU_DEP_1) | instskip(NEXT) | instid1(VALU_DEP_1)
	v_and_b32_e32 v30, 0x7f800000, v18
	v_cmp_ne_u32_e64 s1, 0x7f800000, v30
	s_delay_alu instid0(VALU_DEP_1) | instskip(NEXT) | instid1(SALU_CYCLE_1)
	s_and_saveexec_b32 s2, s1
	s_xor_b32 s1, exec_lo, s2
; %bb.1469:                             ;   in Loop: Header=BB464_8 Depth=1
	v_bfe_u32 v30, v18, 16, 1
	s_delay_alu instid0(VALU_DEP_1)
	v_add3_u32 v60, v18, v30, 0x7fff
                                        ; implicit-def: $vgpr18
; %bb.1470:                             ;   in Loop: Header=BB464_8 Depth=1
	s_and_not1_saveexec_b32 s2, s1
; %bb.1471:                             ;   in Loop: Header=BB464_8 Depth=1
	v_and_b32_e32 v30, 0xffff, v18
	v_or_b32_e32 v31, 0x10000, v18
	s_delay_alu instid0(VALU_DEP_2) | instskip(NEXT) | instid1(VALU_DEP_1)
	v_cmp_eq_u32_e64 s1, 0, v30
	v_cndmask_b32_e64 v60, v31, v18, s1
; %bb.1472:                             ;   in Loop: Header=BB464_8 Depth=1
	s_or_b32 exec_lo, exec_lo, s2
	v_lshrrev_b32_e32 v61, 16, v28
	v_mov_b32_e32 v18, 0
	s_mov_b32 s2, exec_lo
	s_delay_alu instid0(VALU_DEP_2) | instskip(NEXT) | instid1(VALU_DEP_1)
	v_and_b32_e32 v30, 0xff, v61
	v_cmpx_ne_u16_e32 0, v30
	s_cbranch_execz .LBB464_1480
; %bb.1473:                             ;   in Loop: Header=BB464_8 Depth=1
	v_bfrev_b32_e32 v18, 1
	s_mov_b32 s18, exec_lo
	v_cmpx_ne_u16_e32 0x80, v30
	s_cbranch_execz .LBB464_1479
; %bb.1474:                             ;   in Loop: Header=BB464_8 Depth=1
	v_bfe_u32 v62, v28, 16, 7
	v_mov_b32_e32 v18, 0x7f800001
	s_mov_b32 s19, exec_lo
	s_delay_alu instid0(VALU_DEP_2)
	v_cmpx_ne_u32_e32 0x7f, v62
	s_cbranch_execz .LBB464_1478
; %bb.1475:                             ;   in Loop: Header=BB464_8 Depth=1
	v_and_b32_e32 v18, 7, v61
	v_mov_b32_e32 v31, v19
	v_lshrrev_b32_e32 v31, 3, v62
	s_mov_b32 s20, exec_lo
	s_delay_alu instid0(VALU_DEP_3)
	v_mov_b32_e32 v30, v18
	v_cmpx_gt_u32_e32 8, v62
; %bb.1476:                             ;   in Loop: Header=BB464_8 Depth=1
	v_clz_i32_u32_e32 v30, v18
	s_delay_alu instid0(VALU_DEP_1) | instskip(NEXT) | instid1(VALU_DEP_1)
	v_min_u32_e32 v62, 32, v30
	v_subrev_nc_u32_e32 v30, 28, v62
	s_delay_alu instid0(VALU_DEP_1) | instskip(SKIP_1) | instid1(VALU_DEP_2)
	v_lshlrev_b64 v[30:31], v30, v[18:19]
	v_sub_nc_u32_e32 v31, 29, v62
	v_and_b32_e32 v30, 7, v30
; %bb.1477:                             ;   in Loop: Header=BB464_8 Depth=1
	s_or_b32 exec_lo, exec_lo, s20
	v_lshlrev_b32_e32 v18, 24, v61
	s_delay_alu instid0(VALU_DEP_2) | instskip(SKIP_1) | instid1(VALU_DEP_3)
	v_lshlrev_b32_e32 v30, 20, v30
	v_lshl_add_u32 v31, v31, 23, 0x3c000000
	v_and_b32_e32 v18, 0x80000000, v18
	s_delay_alu instid0(VALU_DEP_1)
	v_or3_b32 v18, v30, v18, v31
.LBB464_1478:                           ;   in Loop: Header=BB464_8 Depth=1
	s_or_b32 exec_lo, exec_lo, s19
.LBB464_1479:                           ;   in Loop: Header=BB464_8 Depth=1
	s_delay_alu instid0(SALU_CYCLE_1)
	s_or_b32 exec_lo, exec_lo, s18
.LBB464_1480:                           ;   in Loop: Header=BB464_8 Depth=1
	s_delay_alu instid0(SALU_CYCLE_1) | instskip(NEXT) | instid1(VALU_DEP_1)
	s_or_b32 exec_lo, exec_lo, s2
	v_mul_f32_e32 v18, v168, v18
                                        ; implicit-def: $vgpr61
	s_delay_alu instid0(VALU_DEP_1) | instskip(NEXT) | instid1(VALU_DEP_1)
	v_and_b32_e32 v30, 0x7f800000, v18
	v_cmp_ne_u32_e64 s1, 0x7f800000, v30
	s_delay_alu instid0(VALU_DEP_1) | instskip(NEXT) | instid1(SALU_CYCLE_1)
	s_and_saveexec_b32 s2, s1
	s_xor_b32 s1, exec_lo, s2
; %bb.1481:                             ;   in Loop: Header=BB464_8 Depth=1
	v_bfe_u32 v30, v18, 16, 1
	s_delay_alu instid0(VALU_DEP_1)
	v_add3_u32 v61, v18, v30, 0x7fff
                                        ; implicit-def: $vgpr18
; %bb.1482:                             ;   in Loop: Header=BB464_8 Depth=1
	s_and_not1_saveexec_b32 s2, s1
; %bb.1483:                             ;   in Loop: Header=BB464_8 Depth=1
	v_and_b32_e32 v30, 0xffff, v18
	v_or_b32_e32 v31, 0x10000, v18
	s_delay_alu instid0(VALU_DEP_2) | instskip(NEXT) | instid1(VALU_DEP_1)
	v_cmp_eq_u32_e64 s1, 0, v30
	v_cndmask_b32_e64 v61, v31, v18, s1
; %bb.1484:                             ;   in Loop: Header=BB464_8 Depth=1
	s_or_b32 exec_lo, exec_lo, s2
	v_mov_b32_e32 v18, 0
	s_mov_b32 s2, exec_lo
	v_cmpx_lt_u32_e32 0xffffff, v28
	s_cbranch_execz .LBB464_1492
; %bb.1485:                             ;   in Loop: Header=BB464_8 Depth=1
	v_lshrrev_b32_e32 v62, 24, v28
	v_bfrev_b32_e32 v18, 1
	s_mov_b32 s18, exec_lo
	s_delay_alu instid0(VALU_DEP_2)
	v_cmpx_ne_u32_e32 0x80, v62
	s_cbranch_execz .LBB464_1491
; %bb.1486:                             ;   in Loop: Header=BB464_8 Depth=1
	v_bfe_u32 v63, v28, 24, 7
	v_mov_b32_e32 v18, 0x7f800001
	s_mov_b32 s19, exec_lo
	s_delay_alu instid0(VALU_DEP_2)
	v_cmpx_ne_u32_e32 0x7f, v63
	s_cbranch_execz .LBB464_1490
; %bb.1487:                             ;   in Loop: Header=BB464_8 Depth=1
	v_and_b32_e32 v18, 7, v62
	v_mov_b32_e32 v31, v19
	v_lshrrev_b32_e32 v31, 3, v63
	s_mov_b32 s20, exec_lo
	s_delay_alu instid0(VALU_DEP_3)
	v_mov_b32_e32 v30, v18
	v_cmpx_gt_u32_e32 8, v63
; %bb.1488:                             ;   in Loop: Header=BB464_8 Depth=1
	v_clz_i32_u32_e32 v30, v18
	s_delay_alu instid0(VALU_DEP_1) | instskip(NEXT) | instid1(VALU_DEP_1)
	v_min_u32_e32 v63, 32, v30
	v_subrev_nc_u32_e32 v30, 28, v63
	s_delay_alu instid0(VALU_DEP_1) | instskip(SKIP_1) | instid1(VALU_DEP_2)
	v_lshlrev_b64 v[30:31], v30, v[18:19]
	v_sub_nc_u32_e32 v31, 29, v63
	v_and_b32_e32 v30, 7, v30
; %bb.1489:                             ;   in Loop: Header=BB464_8 Depth=1
	s_or_b32 exec_lo, exec_lo, s20
	v_lshlrev_b32_e32 v18, 24, v62
	s_delay_alu instid0(VALU_DEP_2) | instskip(SKIP_1) | instid1(VALU_DEP_3)
	v_lshlrev_b32_e32 v30, 20, v30
	v_lshl_add_u32 v31, v31, 23, 0x3c000000
	v_and_b32_e32 v18, 0x80000000, v18
	s_delay_alu instid0(VALU_DEP_1)
	v_or3_b32 v18, v30, v18, v31
.LBB464_1490:                           ;   in Loop: Header=BB464_8 Depth=1
	s_or_b32 exec_lo, exec_lo, s19
.LBB464_1491:                           ;   in Loop: Header=BB464_8 Depth=1
	s_delay_alu instid0(SALU_CYCLE_1)
	s_or_b32 exec_lo, exec_lo, s18
.LBB464_1492:                           ;   in Loop: Header=BB464_8 Depth=1
	s_delay_alu instid0(SALU_CYCLE_1) | instskip(NEXT) | instid1(VALU_DEP_1)
	s_or_b32 exec_lo, exec_lo, s2
	v_mul_f32_e32 v18, v168, v18
                                        ; implicit-def: $vgpr62
	s_delay_alu instid0(VALU_DEP_1) | instskip(NEXT) | instid1(VALU_DEP_1)
	v_and_b32_e32 v30, 0x7f800000, v18
	v_cmp_ne_u32_e64 s1, 0x7f800000, v30
	s_delay_alu instid0(VALU_DEP_1) | instskip(NEXT) | instid1(SALU_CYCLE_1)
	s_and_saveexec_b32 s2, s1
	s_xor_b32 s1, exec_lo, s2
; %bb.1493:                             ;   in Loop: Header=BB464_8 Depth=1
	v_bfe_u32 v30, v18, 16, 1
	s_delay_alu instid0(VALU_DEP_1)
	v_add3_u32 v62, v18, v30, 0x7fff
                                        ; implicit-def: $vgpr18
; %bb.1494:                             ;   in Loop: Header=BB464_8 Depth=1
	s_and_not1_saveexec_b32 s2, s1
; %bb.1495:                             ;   in Loop: Header=BB464_8 Depth=1
	v_and_b32_e32 v30, 0xffff, v18
	v_or_b32_e32 v31, 0x10000, v18
	s_delay_alu instid0(VALU_DEP_2) | instskip(NEXT) | instid1(VALU_DEP_1)
	v_cmp_eq_u32_e64 s1, 0, v30
	v_cndmask_b32_e64 v62, v31, v18, s1
; %bb.1496:                             ;   in Loop: Header=BB464_8 Depth=1
	s_or_b32 exec_lo, exec_lo, s2
	v_dual_mov_b32 v18, v29 :: v_dual_and_b32 v31, 0xff, v29
	v_mov_b32_e32 v30, 0
	s_mov_b32 s2, exec_lo
	s_delay_alu instid0(VALU_DEP_2)
	v_cmpx_ne_u16_e32 0, v31
	s_cbranch_execz .LBB464_1504
; %bb.1497:                             ;   in Loop: Header=BB464_8 Depth=1
	v_bfrev_b32_e32 v30, 1
	s_mov_b32 s18, exec_lo
	v_cmpx_ne_u16_e32 0x80, v31
	s_cbranch_execz .LBB464_1503
; %bb.1498:                             ;   in Loop: Header=BB464_8 Depth=1
	v_and_b32_e32 v63, 0x7f, v29
	v_mov_b32_e32 v30, 0x7f800001
	s_mov_b32 s19, exec_lo
	s_delay_alu instid0(VALU_DEP_2)
	v_cmpx_ne_u32_e32 0x7f, v63
	s_cbranch_execz .LBB464_1502
; %bb.1499:                             ;   in Loop: Header=BB464_8 Depth=1
	v_dual_mov_b32 v31, v19 :: v_dual_mov_b32 v30, v18
	v_lshrrev_b32_e32 v31, 3, v63
	s_mov_b32 s20, exec_lo
	v_cmpx_gt_u32_e32 8, v63
; %bb.1500:                             ;   in Loop: Header=BB464_8 Depth=1
	v_and_b32_e32 v30, 7, v29
	s_delay_alu instid0(VALU_DEP_1) | instskip(NEXT) | instid1(VALU_DEP_1)
	v_clz_i32_u32_e32 v30, v30
	v_min_u32_e32 v63, 32, v30
	s_delay_alu instid0(VALU_DEP_1) | instskip(NEXT) | instid1(VALU_DEP_1)
	v_subrev_nc_u32_e32 v30, 28, v63
	v_lshlrev_b64 v[30:31], v30, v[18:19]
	v_sub_nc_u32_e32 v31, 29, v63
; %bb.1501:                             ;   in Loop: Header=BB464_8 Depth=1
	s_or_b32 exec_lo, exec_lo, s20
	s_delay_alu instid0(VALU_DEP_2) | instskip(SKIP_1) | instid1(VALU_DEP_3)
	v_lshlrev_b32_e32 v30, 20, v30
	v_lshlrev_b32_e32 v63, 24, v18
	v_lshl_add_u32 v31, v31, 23, 0x3c000000
	s_delay_alu instid0(VALU_DEP_3) | instskip(NEXT) | instid1(VALU_DEP_3)
	v_and_b32_e32 v30, 0x700000, v30
	v_and_b32_e32 v63, 0x80000000, v63
	s_delay_alu instid0(VALU_DEP_1)
	v_or3_b32 v30, v30, v63, v31
.LBB464_1502:                           ;   in Loop: Header=BB464_8 Depth=1
	s_or_b32 exec_lo, exec_lo, s19
.LBB464_1503:                           ;   in Loop: Header=BB464_8 Depth=1
	s_delay_alu instid0(SALU_CYCLE_1)
	s_or_b32 exec_lo, exec_lo, s18
.LBB464_1504:                           ;   in Loop: Header=BB464_8 Depth=1
	s_delay_alu instid0(SALU_CYCLE_1) | instskip(NEXT) | instid1(VALU_DEP_1)
	s_or_b32 exec_lo, exec_lo, s2
	v_mul_f32_e32 v30, v168, v30
                                        ; implicit-def: $vgpr63
	s_delay_alu instid0(VALU_DEP_1) | instskip(NEXT) | instid1(VALU_DEP_1)
	v_and_b32_e32 v31, 0x7f800000, v30
	v_cmp_ne_u32_e64 s1, 0x7f800000, v31
	s_delay_alu instid0(VALU_DEP_1) | instskip(NEXT) | instid1(SALU_CYCLE_1)
	s_and_saveexec_b32 s2, s1
	s_xor_b32 s1, exec_lo, s2
; %bb.1505:                             ;   in Loop: Header=BB464_8 Depth=1
	v_bfe_u32 v31, v30, 16, 1
	s_delay_alu instid0(VALU_DEP_1)
	v_add3_u32 v63, v30, v31, 0x7fff
                                        ; implicit-def: $vgpr30
; %bb.1506:                             ;   in Loop: Header=BB464_8 Depth=1
	s_and_not1_saveexec_b32 s2, s1
; %bb.1507:                             ;   in Loop: Header=BB464_8 Depth=1
	v_and_b32_e32 v31, 0xffff, v30
	v_or_b32_e32 v63, 0x10000, v30
	s_delay_alu instid0(VALU_DEP_2) | instskip(NEXT) | instid1(VALU_DEP_1)
	v_cmp_eq_u32_e64 s1, 0, v31
	v_cndmask_b32_e64 v63, v63, v30, s1
; %bb.1508:                             ;   in Loop: Header=BB464_8 Depth=1
	s_or_b32 exec_lo, exec_lo, s2
	v_lshrrev_b16 v31, 8, v18
	v_mov_b32_e32 v30, 0
	s_mov_b32 s2, exec_lo
	s_delay_alu instid0(VALU_DEP_2)
	v_cmpx_ne_u16_e32 0, v31
	s_cbranch_execz .LBB464_1516
; %bb.1509:                             ;   in Loop: Header=BB464_8 Depth=1
	v_bfrev_b32_e32 v30, 1
	s_mov_b32 s18, exec_lo
	v_cmpx_ne_u16_e32 0x80, v31
	s_cbranch_execz .LBB464_1515
; %bb.1510:                             ;   in Loop: Header=BB464_8 Depth=1
	v_and_b32_e32 v31, 0xffff, v31
	v_mov_b32_e32 v30, 0x7f800001
	s_mov_b32 s19, exec_lo
	s_delay_alu instid0(VALU_DEP_2) | instskip(NEXT) | instid1(VALU_DEP_1)
	v_and_b32_e32 v73, 0x7f, v31
	v_cmpx_ne_u32_e32 0x7f, v73
	s_cbranch_execz .LBB464_1514
; %bb.1511:                             ;   in Loop: Header=BB464_8 Depth=1
	v_dual_mov_b32 v31, v19 :: v_dual_and_b32 v30, 7, v31
	v_lshrrev_b32_e32 v72, 3, v73
	s_mov_b32 s20, exec_lo
	v_cmpx_gt_u32_e32 8, v73
; %bb.1512:                             ;   in Loop: Header=BB464_8 Depth=1
	s_delay_alu instid0(VALU_DEP_3) | instskip(NEXT) | instid1(VALU_DEP_1)
	v_clz_i32_u32_e32 v72, v30
	v_min_u32_e32 v72, 32, v72
	s_delay_alu instid0(VALU_DEP_1) | instskip(SKIP_1) | instid1(VALU_DEP_2)
	v_subrev_nc_u32_e32 v73, 28, v72
	v_sub_nc_u32_e32 v72, 29, v72
	v_lshlrev_b64 v[30:31], v73, v[30:31]
	s_delay_alu instid0(VALU_DEP_1)
	v_and_b32_e32 v30, 7, v30
; %bb.1513:                             ;   in Loop: Header=BB464_8 Depth=1
	s_or_b32 exec_lo, exec_lo, s20
	v_lshlrev_b32_e32 v18, 16, v18
	s_delay_alu instid0(VALU_DEP_2) | instskip(SKIP_1) | instid1(VALU_DEP_3)
	v_lshlrev_b32_e32 v30, 20, v30
	v_lshl_add_u32 v31, v72, 23, 0x3c000000
	v_and_b32_e32 v18, 0x80000000, v18
	s_delay_alu instid0(VALU_DEP_1)
	v_or3_b32 v30, v30, v18, v31
.LBB464_1514:                           ;   in Loop: Header=BB464_8 Depth=1
	s_or_b32 exec_lo, exec_lo, s19
.LBB464_1515:                           ;   in Loop: Header=BB464_8 Depth=1
	s_delay_alu instid0(SALU_CYCLE_1)
	s_or_b32 exec_lo, exec_lo, s18
.LBB464_1516:                           ;   in Loop: Header=BB464_8 Depth=1
	s_delay_alu instid0(SALU_CYCLE_1) | instskip(NEXT) | instid1(VALU_DEP_1)
	s_or_b32 exec_lo, exec_lo, s2
	v_mul_f32_e32 v18, v168, v30
                                        ; implicit-def: $vgpr72
	s_delay_alu instid0(VALU_DEP_1) | instskip(NEXT) | instid1(VALU_DEP_1)
	v_and_b32_e32 v30, 0x7f800000, v18
	v_cmp_ne_u32_e64 s1, 0x7f800000, v30
	s_delay_alu instid0(VALU_DEP_1) | instskip(NEXT) | instid1(SALU_CYCLE_1)
	s_and_saveexec_b32 s2, s1
	s_xor_b32 s1, exec_lo, s2
; %bb.1517:                             ;   in Loop: Header=BB464_8 Depth=1
	v_bfe_u32 v30, v18, 16, 1
	s_delay_alu instid0(VALU_DEP_1)
	v_add3_u32 v72, v18, v30, 0x7fff
                                        ; implicit-def: $vgpr18
; %bb.1518:                             ;   in Loop: Header=BB464_8 Depth=1
	s_and_not1_saveexec_b32 s2, s1
; %bb.1519:                             ;   in Loop: Header=BB464_8 Depth=1
	v_and_b32_e32 v30, 0xffff, v18
	v_or_b32_e32 v31, 0x10000, v18
	s_delay_alu instid0(VALU_DEP_2) | instskip(NEXT) | instid1(VALU_DEP_1)
	v_cmp_eq_u32_e64 s1, 0, v30
	v_cndmask_b32_e64 v72, v31, v18, s1
; %bb.1520:                             ;   in Loop: Header=BB464_8 Depth=1
	s_or_b32 exec_lo, exec_lo, s2
	v_lshrrev_b32_e32 v73, 16, v29
	v_mov_b32_e32 v18, 0
	s_mov_b32 s2, exec_lo
	s_delay_alu instid0(VALU_DEP_2) | instskip(NEXT) | instid1(VALU_DEP_1)
	v_and_b32_e32 v30, 0xff, v73
	v_cmpx_ne_u16_e32 0, v30
	s_cbranch_execz .LBB464_1528
; %bb.1521:                             ;   in Loop: Header=BB464_8 Depth=1
	v_bfrev_b32_e32 v18, 1
	s_mov_b32 s18, exec_lo
	v_cmpx_ne_u16_e32 0x80, v30
	s_cbranch_execz .LBB464_1527
; %bb.1522:                             ;   in Loop: Header=BB464_8 Depth=1
	v_dual_mov_b32 v75, v74 :: v_dual_mov_b32 v18, 0x7f800001
	v_bfe_u32 v74, v29, 16, 7
	s_mov_b32 s19, exec_lo
	s_delay_alu instid0(VALU_DEP_1)
	v_cmpx_ne_u32_e32 0x7f, v74
	s_cbranch_execz .LBB464_1526
; %bb.1523:                             ;   in Loop: Header=BB464_8 Depth=1
	v_and_b32_e32 v18, 7, v73
	v_mov_b32_e32 v31, v19
	v_lshrrev_b32_e32 v31, 3, v74
	s_mov_b32 s20, exec_lo
	s_delay_alu instid0(VALU_DEP_3)
	v_mov_b32_e32 v30, v18
	v_cmpx_gt_u32_e32 8, v74
; %bb.1524:                             ;   in Loop: Header=BB464_8 Depth=1
	v_clz_i32_u32_e32 v30, v18
	s_delay_alu instid0(VALU_DEP_1) | instskip(NEXT) | instid1(VALU_DEP_1)
	v_min_u32_e32 v74, 32, v30
	v_subrev_nc_u32_e32 v30, 28, v74
	s_delay_alu instid0(VALU_DEP_1) | instskip(SKIP_1) | instid1(VALU_DEP_2)
	v_lshlrev_b64 v[30:31], v30, v[18:19]
	v_sub_nc_u32_e32 v31, 29, v74
	v_and_b32_e32 v30, 7, v30
; %bb.1525:                             ;   in Loop: Header=BB464_8 Depth=1
	s_or_b32 exec_lo, exec_lo, s20
	v_lshlrev_b32_e32 v18, 24, v73
	s_delay_alu instid0(VALU_DEP_2) | instskip(SKIP_1) | instid1(VALU_DEP_3)
	v_lshlrev_b32_e32 v30, 20, v30
	v_lshl_add_u32 v31, v31, 23, 0x3c000000
	v_and_b32_e32 v18, 0x80000000, v18
	s_delay_alu instid0(VALU_DEP_1)
	v_or3_b32 v18, v30, v18, v31
.LBB464_1526:                           ;   in Loop: Header=BB464_8 Depth=1
	s_or_b32 exec_lo, exec_lo, s19
	v_mov_b32_e32 v74, v75
.LBB464_1527:                           ;   in Loop: Header=BB464_8 Depth=1
	s_or_b32 exec_lo, exec_lo, s18
.LBB464_1528:                           ;   in Loop: Header=BB464_8 Depth=1
	s_delay_alu instid0(SALU_CYCLE_1) | instskip(SKIP_1) | instid1(VALU_DEP_1)
	s_or_b32 exec_lo, exec_lo, s2
	v_mul_f32_e32 v18, v168, v18
	v_and_b32_e32 v30, 0x7f800000, v18
	s_delay_alu instid0(VALU_DEP_1) | instskip(NEXT) | instid1(VALU_DEP_1)
	v_cmp_ne_u32_e64 s1, 0x7f800000, v30
                                        ; implicit-def: $vgpr30
	s_and_saveexec_b32 s2, s1
	s_delay_alu instid0(SALU_CYCLE_1)
	s_xor_b32 s1, exec_lo, s2
; %bb.1529:                             ;   in Loop: Header=BB464_8 Depth=1
	v_bfe_u32 v30, v18, 16, 1
	s_delay_alu instid0(VALU_DEP_1)
	v_add3_u32 v30, v18, v30, 0x7fff
                                        ; implicit-def: $vgpr18
; %bb.1530:                             ;   in Loop: Header=BB464_8 Depth=1
	s_and_not1_saveexec_b32 s2, s1
; %bb.1531:                             ;   in Loop: Header=BB464_8 Depth=1
	v_and_b32_e32 v30, 0xffff, v18
	v_or_b32_e32 v31, 0x10000, v18
	s_delay_alu instid0(VALU_DEP_2) | instskip(NEXT) | instid1(VALU_DEP_1)
	v_cmp_eq_u32_e64 s1, 0, v30
	v_cndmask_b32_e64 v30, v31, v18, s1
; %bb.1532:                             ;   in Loop: Header=BB464_8 Depth=1
	s_or_b32 exec_lo, exec_lo, s2
	v_mov_b32_e32 v18, 0
	s_mov_b32 s2, exec_lo
	v_cmpx_lt_u64_e64 s[8:9], v[28:29]
	s_cbranch_execz .LBB464_1540
; %bb.1533:                             ;   in Loop: Header=BB464_8 Depth=1
	v_lshrrev_b32_e32 v31, 24, v29
	v_bfrev_b32_e32 v18, 1
	s_mov_b32 s18, exec_lo
	s_delay_alu instid0(VALU_DEP_2)
	v_cmpx_ne_u32_e32 0x80, v31
	s_cbranch_execz .LBB464_1539
; %bb.1534:                             ;   in Loop: Header=BB464_8 Depth=1
	v_bfe_u32 v73, v29, 24, 7
	v_mov_b32_e32 v18, 0x7f800001
	s_mov_b32 s19, exec_lo
	s_delay_alu instid0(VALU_DEP_2)
	v_cmpx_ne_u32_e32 0x7f, v73
	s_cbranch_execz .LBB464_1538
; %bb.1535:                             ;   in Loop: Header=BB464_8 Depth=1
	v_and_b32_e32 v18, 7, v31
	v_mov_b32_e32 v29, v19
	v_lshrrev_b32_e32 v29, 3, v73
	s_mov_b32 s20, exec_lo
	s_delay_alu instid0(VALU_DEP_3)
	v_mov_b32_e32 v28, v18
	v_cmpx_gt_u32_e32 8, v73
; %bb.1536:                             ;   in Loop: Header=BB464_8 Depth=1
	v_clz_i32_u32_e32 v28, v18
	s_delay_alu instid0(VALU_DEP_1) | instskip(NEXT) | instid1(VALU_DEP_1)
	v_min_u32_e32 v73, 32, v28
	v_subrev_nc_u32_e32 v28, 28, v73
	s_delay_alu instid0(VALU_DEP_1) | instskip(SKIP_1) | instid1(VALU_DEP_2)
	v_lshlrev_b64 v[28:29], v28, v[18:19]
	v_sub_nc_u32_e32 v29, 29, v73
	v_and_b32_e32 v28, 7, v28
; %bb.1537:                             ;   in Loop: Header=BB464_8 Depth=1
	s_or_b32 exec_lo, exec_lo, s20
	v_lshlrev_b32_e32 v18, 24, v31
	s_delay_alu instid0(VALU_DEP_2) | instskip(SKIP_1) | instid1(VALU_DEP_3)
	v_lshlrev_b32_e32 v28, 20, v28
	v_lshl_add_u32 v29, v29, 23, 0x3c000000
	v_and_b32_e32 v18, 0x80000000, v18
	s_delay_alu instid0(VALU_DEP_1)
	v_or3_b32 v18, v28, v18, v29
.LBB464_1538:                           ;   in Loop: Header=BB464_8 Depth=1
	s_or_b32 exec_lo, exec_lo, s19
.LBB464_1539:                           ;   in Loop: Header=BB464_8 Depth=1
	s_delay_alu instid0(SALU_CYCLE_1)
	s_or_b32 exec_lo, exec_lo, s18
.LBB464_1540:                           ;   in Loop: Header=BB464_8 Depth=1
	s_delay_alu instid0(SALU_CYCLE_1) | instskip(NEXT) | instid1(VALU_DEP_1)
	s_or_b32 exec_lo, exec_lo, s2
	v_mul_f32_e32 v28, v168, v18
	s_delay_alu instid0(VALU_DEP_1) | instskip(NEXT) | instid1(VALU_DEP_1)
	v_and_b32_e32 v18, 0x7f800000, v28
	v_cmp_ne_u32_e64 s1, 0x7f800000, v18
                                        ; implicit-def: $vgpr18
	s_delay_alu instid0(VALU_DEP_1) | instskip(NEXT) | instid1(SALU_CYCLE_1)
	s_and_saveexec_b32 s2, s1
	s_xor_b32 s1, exec_lo, s2
; %bb.1541:                             ;   in Loop: Header=BB464_8 Depth=1
	v_bfe_u32 v18, v28, 16, 1
	s_delay_alu instid0(VALU_DEP_1)
	v_add3_u32 v18, v28, v18, 0x7fff
                                        ; implicit-def: $vgpr28
; %bb.1542:                             ;   in Loop: Header=BB464_8 Depth=1
	s_and_not1_saveexec_b32 s2, s1
	s_cbranch_execz .LBB464_7
; %bb.1543:                             ;   in Loop: Header=BB464_8 Depth=1
	v_and_b32_e32 v18, 0xffff, v28
	v_or_b32_e32 v29, 0x10000, v28
	s_delay_alu instid0(VALU_DEP_2) | instskip(NEXT) | instid1(VALU_DEP_1)
	v_cmp_eq_u32_e64 s1, 0, v18
	v_cndmask_b32_e64 v18, v29, v28, s1
	s_branch .LBB464_7
.LBB464_1544:
	s_or_b32 exec_lo, exec_lo, s11
	s_clause 0xe
	scratch_load_b32 v12, off, s32 offset:692
	scratch_load_b32 v15, off, s32 offset:696
	;; [unrolled: 1-line block ×3, first 2 shown]
	scratch_load_b64 v[26:27], off, s32 offset:704
	scratch_load_b32 v11, off, s32 offset:712
	scratch_load_b32 v10, off, s32 offset:716
	;; [unrolled: 1-line block ×7, first 2 shown]
	scratch_load_b64 v[53:54], off, s32 offset:740
	scratch_load_b32 v23, off, s32 offset:748
	scratch_load_b32 v35, off, s32 offset:752
	;; [unrolled: 1-line block ×3, first 2 shown]
.LBB464_1545:
	s_or_b32 exec_lo, exec_lo, s15
	v_mbcnt_lo_u32_b32 v0, -1, 0
	s_lshr_b32 s8, s13, 16
	s_delay_alu instid0(VALU_DEP_1) | instskip(SKIP_2) | instid1(VALU_DEP_3)
	v_xor_b32_e32 v1, 16, v0
	v_xor_b32_e32 v3, 8, v0
	;; [unrolled: 1-line block ×3, first 2 shown]
	v_cmp_gt_i32_e32 vcc_lo, 32, v1
	v_cndmask_b32_e32 v1, v0, v1, vcc_lo
	s_delay_alu instid0(VALU_DEP_4) | instskip(NEXT) | instid1(VALU_DEP_2)
	v_cmp_gt_i32_e32 vcc_lo, 32, v3
	v_dual_cndmask_b32 v3, v0, v3 :: v_dual_lshlrev_b32 v2, 2, v1
	v_cmp_gt_i32_e32 vcc_lo, 32, v5
	ds_bpermute_b32 v1, v2, v152
	v_dual_max_f32 v4, v152, v152 :: v_dual_lshlrev_b32 v3, 2, v3
	v_cndmask_b32_e32 v5, v0, v5, vcc_lo
	s_waitcnt lgkmcnt(0)
	v_max_f32_e32 v1, v1, v1
	s_delay_alu instid0(VALU_DEP_1) | instskip(SKIP_3) | instid1(VALU_DEP_1)
	v_max_f32_e32 v1, v4, v1
	ds_bpermute_b32 v4, v3, v1
	s_waitcnt lgkmcnt(0)
	v_max_f32_e32 v6, v4, v4
	v_dual_max_f32 v1, v1, v6 :: v_dual_lshlrev_b32 v4, 2, v5
	v_xor_b32_e32 v6, 2, v0
	ds_bpermute_b32 v5, v4, v1
	v_cmp_gt_i32_e32 vcc_lo, 32, v6
	s_waitcnt lgkmcnt(0)
	v_dual_cndmask_b32 v6, v0, v6 :: v_dual_max_f32 v5, v5, v5
	s_delay_alu instid0(VALU_DEP_1) | instskip(NEXT) | instid1(VALU_DEP_2)
	v_max_f32_e32 v1, v1, v5
	v_lshlrev_b32_e32 v19, 2, v6
	v_xor_b32_e32 v6, 1, v0
	s_delay_alu instid0(VALU_DEP_1) | instskip(SKIP_4) | instid1(VALU_DEP_1)
	v_cmp_gt_i32_e32 vcc_lo, 32, v6
	v_cndmask_b32_e32 v6, v0, v6, vcc_lo
	ds_bpermute_b32 v5, v19, v1
	s_waitcnt lgkmcnt(0)
	v_dual_max_f32 v5, v5, v5 :: v_dual_lshlrev_b32 v18, 2, v6
	v_max_f32_e32 v0, v1, v5
	scratch_load_b32 v5, off, s32 offset:676 ; 4-byte Folded Reload
	ds_bpermute_b32 v1, v18, v0
	s_waitcnt vmcnt(0)
	v_cmp_eq_u32_e32 vcc_lo, 0, v5
	scratch_load_b32 v5, off, s32 offset:680 ; 4-byte Folded Reload
	s_waitcnt vmcnt(0)
	v_lshlrev_b32_e32 v5, 2, v5
	s_and_saveexec_b32 s1, vcc_lo
	s_cbranch_execz .LBB464_1547
; %bb.1546:
	s_waitcnt lgkmcnt(0)
	v_dual_max_f32 v1, v1, v1 :: v_dual_max_f32 v0, v0, v0
	s_delay_alu instid0(VALU_DEP_1)
	v_max_f32_e32 v0, v0, v1
	ds_store_b32 v5, v0 offset:256
.LBB464_1547:
	s_or_b32 exec_lo, exec_lo, s1
	scratch_load_b32 v0, off, s32 offset:676 ; 4-byte Folded Reload
	s_waitcnt vmcnt(0) lgkmcnt(0)
	s_waitcnt_vscnt null, 0x0
	s_barrier
	buffer_gl0_inv
	v_cmp_gt_u32_e64 s1, 4, v0
	v_mov_b32_e32 v0, 0xff7fffff
	s_delay_alu instid0(VALU_DEP_2)
	s_and_saveexec_b32 s2, s1
	s_cbranch_execz .LBB464_1549
; %bb.1548:
	ds_load_b32 v0, v20 offset:256
.LBB464_1549:
	s_or_b32 exec_lo, exec_lo, s2
	s_waitcnt lgkmcnt(0)
	ds_bpermute_b32 v1, v19, v0
	v_max_f32_e32 v0, v0, v0
	v_subrev_nc_u32_e32 v7, s3, v37
	s_waitcnt lgkmcnt(0)
	v_dual_mov_b32 v6, 0 :: v_dual_max_f32 v1, v1, v1
	s_delay_alu instid0(VALU_DEP_1) | instskip(SKIP_3) | instid1(VALU_DEP_1)
	v_max_f32_e32 v0, v0, v1
	ds_bpermute_b32 v1, v18, v0
	s_waitcnt lgkmcnt(0)
	v_max_f32_e32 v1, v1, v1
	v_max_f32_e32 v0, v0, v1
	v_lshl_add_u32 v1, v7, 5, s17
	ds_bpermute_b32 v0, v6, v0
	v_min_i32_e32 v1, v1, v36
	s_delay_alu instid0(VALU_DEP_1) | instskip(NEXT) | instid1(VALU_DEP_1)
	v_subrev_nc_u32_e32 v1, s17, v1
	v_cmp_lt_i32_e64 s2, v12, v1
	s_delay_alu instid0(VALU_DEP_1)
	s_and_saveexec_b32 s9, s2
	s_cbranch_execz .LBB464_1553
; %bb.1550:
	s_getpc_b64 s[18:19]
	s_add_u32 s18, s18, llvm.amdgcn.dynlds.offset.table@rel32@lo+4
	s_addc_u32 s19, s19, llvm.amdgcn.dynlds.offset.table@rel32@hi+12
	s_ashr_i32 s11, s10, 31
	v_mov_b32_e32 v6, 0
	s_lshl_b64 s[20:21], s[10:11], 2
	v_mov_b32_e32 v8, v12
	s_add_u32 s18, s20, s18
	s_addc_u32 s19, s21, s19
	s_mov_b32 s11, 0
	s_load_b32 s3, s[18:19], 0x0
	s_waitcnt lgkmcnt(0)
	v_lshl_add_u32 v7, v12, 2, s3
	.p2align	6
.LBB464_1551:                           ; =>This Inner Loop Header: Depth=1
	ds_load_b32 v9, v7
	v_add_nc_u32_e32 v8, 0x80, v8
	s_delay_alu instid0(VALU_DEP_1) | instskip(NEXT) | instid1(VALU_DEP_1)
	v_cmp_ge_i32_e64 s3, v8, v1
	s_or_b32 s11, s3, s11
	s_waitcnt lgkmcnt(0)
	v_sub_f32_e32 v9, v9, v0
	s_delay_alu instid0(VALU_DEP_1) | instskip(NEXT) | instid1(VALU_DEP_1)
	v_mul_f32_e32 v9, 0x3fb8aa3b, v9
	v_exp_f32_e32 v9, v9
	ds_store_b32 v7, v9
	v_dual_add_f32 v6, v6, v9 :: v_dual_add_nc_u32 v7, 0x200, v7
	s_and_not1_b32 exec_lo, exec_lo, s11
	s_cbranch_execnz .LBB464_1551
; %bb.1552:
	s_or_b32 exec_lo, exec_lo, s11
.LBB464_1553:
	s_delay_alu instid0(SALU_CYCLE_1)
	s_or_b32 exec_lo, exec_lo, s9
	ds_bpermute_b32 v2, v2, v6
	s_waitcnt lgkmcnt(0)
	v_add_f32_e32 v2, v6, v2
	ds_bpermute_b32 v3, v3, v2
	s_waitcnt lgkmcnt(0)
	v_add_f32_e32 v2, v2, v3
	;; [unrolled: 3-line block ×5, first 2 shown]
	s_and_saveexec_b32 s3, vcc_lo
	s_cbranch_execz .LBB464_1555
; %bb.1554:
	ds_store_b32 v5, v2 offset:272
.LBB464_1555:
	s_or_b32 exec_lo, exec_lo, s3
	s_waitcnt lgkmcnt(0)
	s_barrier
	buffer_gl0_inv
	s_and_saveexec_b32 s3, s1
	s_cbranch_execz .LBB464_1557
; %bb.1556:
	ds_load_b32 v2, v20 offset:272
.LBB464_1557:
	s_or_b32 exec_lo, exec_lo, s3
	s_waitcnt lgkmcnt(0)
	ds_bpermute_b32 v3, v19, v2
	s_waitcnt lgkmcnt(0)
	v_add_f32_e32 v2, v2, v3
	ds_bpermute_b32 v3, v18, v2
	s_waitcnt lgkmcnt(0)
	v_dual_add_f32 v2, v2, v3 :: v_dual_mov_b32 v3, 0
	ds_bpermute_b32 v2, v3, v2
	s_and_saveexec_b32 s1, s2
	s_cbranch_execz .LBB464_1560
; %bb.1558:
	s_waitcnt lgkmcnt(0)
	v_add_f32_e32 v4, 0x358637bd, v2
	s_getpc_b64 s[2:3]
	s_add_u32 s2, s2, llvm.amdgcn.dynlds.offset.table@rel32@lo+4
	s_addc_u32 s3, s3, llvm.amdgcn.dynlds.offset.table@rel32@hi+12
	s_ashr_i32 s11, s10, 31
	s_delay_alu instid0(SALU_CYCLE_1) | instskip(SKIP_4) | instid1(VALU_DEP_1)
	s_lshl_b64 s[18:19], s[10:11], 2
	v_div_scale_f32 v3, null, v4, v4, 1.0
	s_add_u32 s2, s18, s2
	s_addc_u32 s3, s19, s3
	s_load_b32 s2, s[2:3], 0x0
	v_rcp_f32_e32 v5, v3
	s_waitcnt_depctr 0xfff
	v_fma_f32 v6, -v3, v5, 1.0
	s_delay_alu instid0(VALU_DEP_1) | instskip(SKIP_1) | instid1(VALU_DEP_1)
	v_fmac_f32_e32 v5, v6, v5
	v_div_scale_f32 v7, vcc_lo, 1.0, v4, 1.0
	v_mul_f32_e32 v6, v7, v5
	s_delay_alu instid0(VALU_DEP_1) | instskip(NEXT) | instid1(VALU_DEP_1)
	v_fma_f32 v8, -v3, v6, v7
	v_fmac_f32_e32 v6, v8, v5
	s_delay_alu instid0(VALU_DEP_1) | instskip(NEXT) | instid1(VALU_DEP_1)
	v_fma_f32 v3, -v3, v6, v7
	v_div_fmas_f32 v5, v3, v5, v6
	s_waitcnt lgkmcnt(0)
	v_lshl_add_u32 v3, v12, 2, s2
	s_mov_b32 s2, 0
	s_delay_alu instid0(VALU_DEP_2)
	v_div_fixup_f32 v4, v5, v4, 1.0
	v_mov_b32_e32 v5, v12
.LBB464_1559:                           ; =>This Inner Loop Header: Depth=1
	ds_load_b32 v6, v3
	s_waitcnt lgkmcnt(0)
	v_dual_mul_f32 v6, v4, v6 :: v_dual_add_nc_u32 v5, 0x80, v5
	s_delay_alu instid0(VALU_DEP_1) | instskip(SKIP_3) | instid1(SALU_CYCLE_1)
	v_cmp_ge_i32_e32 vcc_lo, v5, v1
	ds_store_b32 v3, v6
	v_add_nc_u32_e32 v3, 0x200, v3
	s_or_b32 s2, vcc_lo, s2
	s_and_not1_b32 exec_lo, exec_lo, s2
	s_cbranch_execnz .LBB464_1559
.LBB464_1560:
	s_or_b32 exec_lo, exec_lo, s1
	v_cmp_ne_u16_e64 s1, s8, 0
	s_mov_b32 s2, exec_lo
	s_waitcnt lgkmcnt(0)
	s_barrier
	buffer_gl0_inv
	s_cmp_lg_u32 s1, 0
	s_addc_u32 s1, s7, 0
	v_cmpx_eq_u32_e32 0, v12
	s_cbranch_execz .LBB464_1562
; %bb.1561:
	s_mul_i32 s3, s1, s4
	s_mul_i32 s8, s1, s12
	;; [unrolled: 1-line block ×3, first 2 shown]
	s_ashr_i32 s9, s8, 31
	s_ashr_i32 s15, s14, 31
	;; [unrolled: 1-line block ×3, first 2 shown]
	s_lshl_b64 s[8:9], s[8:9], 2
	s_lshl_b64 s[18:19], s[14:15], 2
	;; [unrolled: 1-line block ×3, first 2 shown]
	s_add_u32 s3, s18, s8
	s_addc_u32 s7, s19, s9
	s_add_u32 s3, s3, s12
	s_addc_u32 s7, s7, s13
	v_add_co_u32 v3, vcc_lo, s3, v32
	v_add_co_ci_u32_e32 v4, vcc_lo, s7, v30, vcc_lo
	v_add_co_u32 v5, vcc_lo, s3, v29
	v_add_co_ci_u32_e32 v6, vcc_lo, s7, v28, vcc_lo
	flat_store_b32 v[3:4], v0
	flat_store_b32 v[5:6], v2
.LBB464_1562:
	s_or_b32 exec_lo, exec_lo, s2
                                        ; implicit-def: $sgpr2
	s_and_saveexec_b32 s3, s0
	s_delay_alu instid0(SALU_CYCLE_1)
	s_xor_b32 s0, exec_lo, s3
; %bb.1563:
	s_ashr_i32 s11, s10, 31
	s_mov_b32 s2, 0
                                        ; implicit-def: $vgpr36
                                        ; implicit-def: $vgpr34
                                        ; implicit-def: $vgpr37
                                        ; implicit-def: $vgpr16
                                        ; implicit-def: $vgpr10
                                        ; implicit-def: $vgpr11
                                        ; implicit-def: $vgpr14
                                        ; implicit-def: $vgpr15
                                        ; implicit-def: $vgpr22
                                        ; implicit-def: $vgpr26_vgpr27
                                        ; implicit-def: $vgpr23
                                        ; implicit-def: $vgpr35
                                        ; implicit-def: $vgpr53_vgpr54
; %bb.1564:
	s_or_saveexec_b32 s7, s0
	v_dual_mov_b32 v49, s2 :: v_dual_mov_b32 v0, s10
	v_dual_mov_b32 v1, s11 :: v_dual_and_b32 v20, 3, v12
	v_dual_mov_b32 v173, v12 :: v_dual_mov_b32 v52, s2
	v_dual_mov_b32 v51, s2 :: v_dual_mov_b32 v50, s2
	v_dual_mov_b32 v48, s2 :: v_dual_mov_b32 v39, s2
	v_dual_mov_b32 v38, s2 :: v_dual_mov_b32 v33, s2
	v_dual_mov_b32 v32, s2 :: v_dual_mov_b32 v31, s2
	v_dual_mov_b32 v30, s2 :: v_dual_mov_b32 v29, s2
	v_dual_mov_b32 v28, s2 :: v_dual_mov_b32 v25, s2
	v_dual_mov_b32 v24, s2 :: v_dual_mov_b32 v21, s2
	s_xor_b32 exec_lo, exec_lo, s7
	s_cbranch_execz .LBB464_3680
; %bb.1565:
	v_dual_mov_b32 v21, 0 :: v_dual_lshlrev_b32 v0, 3, v173
	v_add_co_u32 v3, vcc_lo, v10, v23
	v_add_co_ci_u32_e32 v4, vcc_lo, v11, v35, vcc_lo
	s_delay_alu instid0(VALU_DEP_3)
	v_dual_mov_b32 v10, 0 :: v_dual_and_b32 v5, 0xf8, v0
	flat_load_b32 v26, v[26:27]
	s_getpc_b64 s[2:3]
	s_add_u32 s2, s2, llvm.amdgcn.dynlds.offset.table@rel32@lo+4
	s_addc_u32 s3, s3, llvm.amdgcn.dynlds.offset.table@rel32@hi+12
	s_ashr_i32 s11, s10, 31
	v_add_co_u32 v11, vcc_lo, v3, v5
	scratch_load_b32 v5, off, s32 offset:680 ; 4-byte Folded Reload
	s_lshl_b64 s[8:9], s[10:11], 2
	v_dual_mov_b32 v25, 0 :: v_dual_and_b32 v2, 24, v0
	s_add_u32 s2, s8, s2
	s_addc_u32 s3, s9, s3
	v_lshlrev_b64 v[0:1], 2, v[16:17]
	s_load_b32 s0, s[2:3], 0x0
	v_dual_mov_b32 v28, 0 :: v_dual_lshlrev_b32 v3, 5, v20
	v_add_co_ci_u32_e32 v12, vcc_lo, 0, v4, vcc_lo
	s_delay_alu instid0(VALU_DEP_3) | instskip(NEXT) | instid1(VALU_DEP_4)
	v_add_co_u32 v0, vcc_lo, v53, v0
	v_add_co_ci_u32_e32 v1, vcc_lo, v54, v1, vcc_lo
	v_dual_mov_b32 v24, 0 :: v_dual_add_nc_u32 v27, -1, v34
	s_delay_alu instid0(VALU_DEP_3) | instskip(NEXT) | instid1(VALU_DEP_3)
	v_add_co_u32 v13, vcc_lo, v14, v0
	v_add_co_ci_u32_e32 v14, vcc_lo, v15, v1, vcc_lo
	v_dual_mov_b32 v29, 0 :: v_dual_mov_b32 v32, 0
	v_dual_mov_b32 v31, 0 :: v_dual_mov_b32 v38, 0
	;; [unrolled: 1-line block ×5, first 2 shown]
	v_mov_b32_e32 v49, 0
	s_mov_b32 s2, -1
	s_mov_b32 s3, 0xffffff
	s_mov_b32 s8, 0
	v_mov_b32_e32 v30, 0
	s_waitcnt vmcnt(0)
	v_lshl_add_u32 v4, v5, 5, s17
	v_lshl_or_b32 v3, v5, 7, v3
	s_delay_alu instid0(VALU_DEP_2) | instskip(SKIP_1) | instid1(VALU_DEP_2)
	v_add3_u32 v15, v4, v2, 7
	s_waitcnt lgkmcnt(0)
	v_add_nc_u32_e32 v17, s0, v3
	s_branch .LBB464_1567
.LBB464_1566:                           ;   in Loop: Header=BB464_1567 Depth=1
	s_or_b32 exec_lo, exec_lo, s0
	v_and_b32_e32 v7, 0xffff0000, v7
	v_and_b32_e32 v81, 0xffff0000, v153
	;; [unrolled: 1-line block ×8, first 2 shown]
	s_delay_alu instid0(VALU_DEP_4)
	v_dual_add_f32 v81, v82, v81 :: v_dual_and_b32 v98, 0xffff0000, v79
	v_and_b32_e32 v71, 0xffff0000, v143
	v_and_b32_e32 v6, 0xffff0000, v6
	;; [unrolled: 1-line block ×6, first 2 shown]
	v_add_f32_e32 v6, v6, v7
	v_add_f32_e32 v7, v80, v71
	v_and_b32_e32 v71, 0xffff0000, v154
	v_and_b32_e32 v35, 0xffff0000, v35
	;; [unrolled: 1-line block ×3, first 2 shown]
	s_delay_alu instid0(VALU_DEP_4)
	v_dual_add_f32 v6, v6, v7 :: v_dual_and_b32 v5, 0xffff0000, v5
	v_and_b32_e32 v82, 0xffff0000, v137
	v_and_b32_e32 v80, 0xffff0000, v155
	;; [unrolled: 1-line block ×4, first 2 shown]
	v_add_f32_e32 v6, v6, v81
	v_and_b32_e32 v0, 0xffff0000, v0
	v_dual_add_f32 v71, v71, v80 :: v_dual_and_b32 v80, 0xffff0000, v127
	v_and_b32_e32 v81, 0xffff0000, v126
	v_and_b32_e32 v2, 0xffff0000, v2
	s_delay_alu instid0(VALU_DEP_3) | instskip(SKIP_1) | instid1(VALU_DEP_4)
	v_dual_add_f32 v6, v6, v71 :: v_dual_and_b32 v53, 0xffff0000, v53
	v_and_b32_e32 v8, 0xffff0000, v8
	v_dual_add_f32 v80, v81, v80 :: v_dual_add_f32 v81, v83, v82
	v_and_b32_e32 v7, 0xffff0000, v139
	v_and_b32_e32 v83, 0xffff0000, v111
	;; [unrolled: 1-line block ×4, first 2 shown]
	v_dual_add_f32 v80, v80, v81 :: v_dual_and_b32 v81, 0xffff0000, v123
	s_delay_alu instid0(VALU_DEP_4) | instskip(SKIP_2) | instid1(VALU_DEP_1)
	v_add_f32_e32 v83, v87, v83
	v_dual_add_f32 v7, v84, v7 :: v_dual_and_b32 v86, 0xffff0000, v141
	v_add_co_u32 v13, s0, v13, 16
	v_add_co_ci_u32_e64 v14, s0, 0, v14, s0
	s_delay_alu instid0(VALU_DEP_3) | instskip(SKIP_2) | instid1(VALU_DEP_3)
	v_dual_add_f32 v7, v80, v7 :: v_dual_and_b32 v82, 0xffff0000, v121
	v_dual_add_f32 v24, v24, v6 :: v_dual_add_nc_u32 v15, 0x80, v15
	v_add_f32_e32 v97, v79, v97
	v_dual_add_f32 v82, v96, v82 :: v_dual_add_nc_u32 v17, 0x200, v17
	v_dual_add_f32 v4, v4, v23 :: v_dual_and_b32 v85, 0xffff0000, v140
	v_dual_add_f32 v0, v0, v1 :: v_dual_add_f32 v1, v2, v3
	s_delay_alu instid0(VALU_DEP_3) | instskip(NEXT) | instid1(VALU_DEP_3)
	v_add_f32_e32 v82, v83, v82
	v_dual_add_f32 v80, v85, v86 :: v_dual_and_b32 v85, 0xffff0000, v124
	v_and_b32_e32 v83, 0xffff0000, v125
	v_and_b32_e32 v86, 0xffff0000, v94
	s_delay_alu instid0(VALU_DEP_3) | instskip(SKIP_1) | instid1(VALU_DEP_4)
	v_dual_add_f32 v8, v8, v53 :: v_dual_add_f32 v7, v7, v80
	v_add_f32_e32 v0, v0, v1
	v_add_f32_e32 v80, v85, v83
	v_and_b32_e32 v85, 0xffff0000, v95
	v_and_b32_e32 v84, 0xffff0000, v122
	;; [unrolled: 1-line block ×3, first 2 shown]
	v_dual_add_f32 v25, v25, v7 :: v_dual_and_b32 v54, 0xffff0000, v54
	s_delay_alu instid0(VALU_DEP_4) | instskip(NEXT) | instid1(VALU_DEP_4)
	v_add_f32_e32 v85, v86, v85
	v_dual_add_f32 v86, v78, v98 :: v_dual_add_f32 v81, v84, v81
	s_delay_alu instid0(VALU_DEP_3) | instskip(SKIP_2) | instid1(VALU_DEP_4)
	v_dual_add_f32 v53, v54, v55 :: v_dual_and_b32 v84, 0xffff0000, v104
	v_and_b32_e32 v2, 0xffff0000, v9
	v_and_b32_e32 v9, 0xffff0000, v69
	v_dual_add_f32 v71, v82, v81 :: v_dual_and_b32 v82, 0xffff0000, v106
	s_delay_alu instid0(VALU_DEP_4) | instskip(SKIP_1) | instid1(VALU_DEP_3)
	v_dual_add_f32 v83, v84, v83 :: v_dual_and_b32 v96, 0xffff0000, v109
	v_and_b32_e32 v54, 0xffff0000, v68
	v_add_f32_e32 v71, v71, v80
	v_and_b32_e32 v87, 0xffff0000, v108
	s_delay_alu instid0(VALU_DEP_4)
	v_add_f32_e32 v83, v85, v83
	v_add_f32_e32 v85, v86, v97
	v_and_b32_e32 v86, 0xffff0000, v93
	v_and_b32_e32 v81, 0xffff0000, v107
	;; [unrolled: 1-line block ×3, first 2 shown]
	v_add_f32_e32 v28, v28, v71
	v_dual_add_f32 v1, v2, v54 :: v_dual_and_b32 v84, 0xffff0000, v91
	s_delay_alu instid0(VALU_DEP_4) | instskip(SKIP_2) | instid1(VALU_DEP_4)
	v_dual_add_f32 v81, v82, v81 :: v_dual_and_b32 v82, 0xffff0000, v92
	v_and_b32_e32 v2, 0xffff0000, v70
	v_add_nc_u32_e32 v16, 4, v16
	v_add_f32_e32 v0, v0, v1
	s_delay_alu instid0(VALU_DEP_4) | instskip(SKIP_4) | instid1(VALU_DEP_4)
	v_add_f32_e32 v80, v83, v81
	v_add_f32_e32 v81, v87, v96
	;; [unrolled: 1-line block ×4, first 2 shown]
	v_and_b32_e32 v86, 0xffff0000, v77
	v_dual_add_f32 v6, v80, v81 :: v_dual_and_b32 v87, 0xffff0000, v46
	s_delay_alu instid0(VALU_DEP_4) | instskip(SKIP_3) | instid1(VALU_DEP_4)
	v_add_f32_e32 v83, v85, v84
	v_and_b32_e32 v85, 0xffff0000, v76
	v_and_b32_e32 v81, 0xffff0000, v63
	;; [unrolled: 1-line block ×3, first 2 shown]
	v_dual_add_f32 v7, v83, v82 :: v_dual_and_b32 v80, 0xffff0000, v73
	v_and_b32_e32 v83, 0xffff0000, v72
	v_add_f32_e32 v29, v29, v6
	v_add_f32_e32 v1, v9, v2
	s_delay_alu instid0(VALU_DEP_4) | instskip(NEXT) | instid1(VALU_DEP_4)
	v_dual_add_f32 v3, v8, v53 :: v_dual_add_f32 v30, v30, v7
	v_dual_add_f32 v80, v83, v80 :: v_dual_and_b32 v83, 0xffff0000, v47
	v_and_b32_e32 v82, 0xffff0000, v62
	s_delay_alu instid0(VALU_DEP_4) | instskip(SKIP_1) | instid1(VALU_DEP_4)
	v_add_f32_e32 v0, v0, v1
	v_cmp_ge_i32_e32 vcc_lo, v16, v37
	v_add_f32_e32 v83, v87, v83
	s_delay_alu instid0(VALU_DEP_4) | instskip(SKIP_3) | instid1(VALU_DEP_2)
	v_add_f32_e32 v81, v82, v81
	v_and_b32_e32 v71, 0xffff0000, v75
	v_dual_add_f32 v21, v21, v0 :: v_dual_and_b32 v82, 0xffff0000, v57
	s_or_b32 s8, vcc_lo, s8
	v_dual_add_f32 v80, v81, v80 :: v_dual_add_f32 v71, v84, v71
	v_and_b32_e32 v81, 0xffff0000, v59
	v_and_b32_e32 v84, 0xffff0000, v58
	s_delay_alu instid0(VALU_DEP_3) | instskip(NEXT) | instid1(VALU_DEP_2)
	v_dual_add_f32 v71, v80, v71 :: v_dual_and_b32 v96, 0xffff0000, v56
	v_add_f32_e32 v81, v84, v81
	s_delay_alu instid0(VALU_DEP_2) | instskip(NEXT) | instid1(VALU_DEP_1)
	v_add_f32_e32 v82, v96, v82
	v_add_f32_e32 v82, v83, v82
	s_delay_alu instid0(VALU_DEP_1) | instskip(NEXT) | instid1(VALU_DEP_1)
	v_dual_add_f32 v80, v85, v86 :: v_dual_add_f32 v7, v82, v81
	v_dual_add_f32 v6, v71, v80 :: v_dual_and_b32 v81, 0xffff0000, v183
	v_and_b32_e32 v82, 0xffff0000, v40
	s_delay_alu instid0(VALU_DEP_2) | instskip(SKIP_1) | instid1(VALU_DEP_1)
	v_dual_add_f32 v31, v31, v6 :: v_dual_and_b32 v80, 0xffff0000, v41
	v_and_b32_e32 v34, 0xffff0000, v34
	v_dual_add_f32 v34, v34, v81 :: v_dual_and_b32 v85, 0xffff0000, v60
	v_and_b32_e32 v83, 0xffff0000, v61
	v_and_b32_e32 v81, 0xffff0000, v45
	s_delay_alu instid0(VALU_DEP_2) | instskip(NEXT) | instid1(VALU_DEP_1)
	v_add_f32_e32 v71, v85, v83
	v_dual_add_f32 v6, v7, v71 :: v_dual_add_f32 v71, v82, v80
	v_and_b32_e32 v82, 0xffff0000, v133
	s_delay_alu instid0(VALU_DEP_2) | instskip(NEXT) | instid1(VALU_DEP_3)
	v_add_f32_e32 v32, v32, v6
	v_add_f32_e32 v34, v34, v71
	v_and_b32_e32 v80, 0xffff0000, v42
	v_and_b32_e32 v6, 0xffff0000, v44
	;; [unrolled: 1-line block ×3, first 2 shown]
	s_delay_alu instid0(VALU_DEP_2) | instskip(NEXT) | instid1(VALU_DEP_2)
	v_dual_add_f32 v6, v6, v81 :: v_dual_and_b32 v71, 0xffff0000, v178
	v_add_f32_e32 v7, v80, v7
	s_delay_alu instid0(VALU_DEP_2)
	v_add_f32_e32 v23, v35, v71
	v_and_b32_e32 v71, 0xffff0000, v182
	v_and_b32_e32 v80, 0xffff0000, v163
	;; [unrolled: 1-line block ×3, first 2 shown]
	v_add_f32_e32 v7, v34, v7
	v_add_f32_e32 v4, v4, v23
	s_delay_alu instid0(VALU_DEP_2) | instskip(NEXT) | instid1(VALU_DEP_1)
	v_dual_add_f32 v6, v7, v6 :: v_dual_and_b32 v7, 0xffff0000, v181
	v_dual_add_f32 v33, v33, v6 :: v_dual_and_b32 v34, 0xffff0000, v180
	s_delay_alu instid0(VALU_DEP_2) | instskip(NEXT) | instid1(VALU_DEP_1)
	v_dual_add_f32 v7, v7, v71 :: v_dual_and_b32 v6, 0xffff0000, v177
	v_add_f32_e32 v5, v6, v5
	v_and_b32_e32 v6, 0xffff0000, v161
	v_and_b32_e32 v35, 0xffff0000, v179
	s_delay_alu instid0(VALU_DEP_1) | instskip(SKIP_2) | instid1(VALU_DEP_3)
	v_add_f32_e32 v23, v35, v34
	v_and_b32_e32 v35, 0xffff0000, v164
	v_and_b32_e32 v34, 0xffff0000, v166
	v_add_f32_e32 v4, v4, v23
	s_delay_alu instid0(VALU_DEP_3) | instskip(NEXT) | instid1(VALU_DEP_3)
	v_add_f32_e32 v35, v80, v35
	v_dual_add_f32 v34, v81, v34 :: v_dual_and_b32 v23, 0xffff0000, v176
	v_and_b32_e32 v80, 0xffff0000, v149
	s_delay_alu instid0(VALU_DEP_4)
	v_add_f32_e32 v4, v4, v7
	v_and_b32_e32 v71, 0xffff0000, v167
	v_and_b32_e32 v81, 0xffff0000, v131
	v_add_f32_e32 v7, v35, v34
	v_and_b32_e32 v34, 0xffff0000, v150
	v_and_b32_e32 v35, 0xffff0000, v148
	v_dual_add_f32 v38, v38, v4 :: v_dual_add_f32 v23, v71, v23
	s_delay_alu instid0(VALU_DEP_3) | instskip(NEXT) | instid1(VALU_DEP_2)
	v_dual_add_f32 v34, v80, v34 :: v_dual_and_b32 v71, 0xffff0000, v147
	v_dual_add_f32 v7, v7, v23 :: v_dual_and_b32 v80, 0xffff0000, v162
	v_and_b32_e32 v23, 0xffff0000, v160
	s_delay_alu instid0(VALU_DEP_3) | instskip(NEXT) | instid1(VALU_DEP_1)
	v_add_f32_e32 v35, v71, v35
	v_dual_add_f32 v34, v35, v34 :: v_dual_and_b32 v71, 0xffff0000, v151
	s_delay_alu instid0(VALU_DEP_1) | instskip(SKIP_2) | instid1(VALU_DEP_3)
	v_dual_add_f32 v23, v71, v23 :: v_dual_add_f32 v6, v6, v80
	v_and_b32_e32 v35, 0xffff0000, v134
	v_and_b32_e32 v71, 0xffff0000, v132
	v_dual_add_f32 v23, v34, v23 :: v_dual_and_b32 v34, 0xffff0000, v144
	v_dual_add_f32 v5, v7, v5 :: v_dual_and_b32 v80, 0xffff0000, v135
	s_delay_alu instid0(VALU_DEP_2) | instskip(SKIP_1) | instid1(VALU_DEP_3)
	v_dual_add_f32 v71, v81, v71 :: v_dual_add_f32 v6, v23, v6
	v_add_f32_e32 v35, v82, v35
	v_dual_add_f32 v7, v80, v34 :: v_dual_and_b32 v34, 0xffff0000, v115
	s_delay_alu instid0(VALU_DEP_4) | instskip(NEXT) | instid1(VALU_DEP_4)
	v_dual_add_f32 v39, v39, v5 :: v_dual_and_b32 v80, 0xffff0000, v99
	v_dual_add_f32 v48, v48, v6 :: v_dual_and_b32 v5, 0xffff0000, v145
	v_and_b32_e32 v6, 0xffff0000, v146
	v_and_b32_e32 v23, 0xffff0000, v116
	;; [unrolled: 1-line block ×4, first 2 shown]
	s_delay_alu instid0(VALU_DEP_4) | instskip(NEXT) | instid1(VALU_DEP_4)
	v_dual_add_f32 v5, v5, v6 :: v_dual_and_b32 v6, 0xffff0000, v128
	v_dual_add_f32 v23, v34, v23 :: v_dual_and_b32 v34, 0xffff0000, v102
	v_add_f32_e32 v4, v71, v35
	s_delay_alu instid0(VALU_DEP_2) | instskip(NEXT) | instid1(VALU_DEP_2)
	v_dual_add_f32 v34, v81, v34 :: v_dual_and_b32 v71, 0xffff0000, v119
	v_dual_add_f32 v4, v4, v7 :: v_dual_and_b32 v7, 0xffff0000, v118
	s_delay_alu instid0(VALU_DEP_2) | instskip(NEXT) | instid1(VALU_DEP_2)
	v_add_f32_e32 v6, v71, v6
	v_add_f32_e32 v4, v4, v5
	s_delay_alu instid0(VALU_DEP_1) | instskip(NEXT) | instid1(VALU_DEP_1)
	v_dual_add_f32 v50, v50, v4 :: v_dual_and_b32 v35, 0xffff0000, v117
	v_add_f32_e32 v7, v35, v7
	v_and_b32_e32 v35, 0xffff0000, v100
	s_delay_alu instid0(VALU_DEP_1) | instskip(NEXT) | instid1(VALU_DEP_1)
	v_add_f32_e32 v35, v80, v35
	v_dual_add_f32 v5, v35, v34 :: v_dual_and_b32 v80, 0xffff0000, v103
	s_delay_alu instid0(VALU_DEP_4) | instskip(SKIP_2) | instid1(VALU_DEP_2)
	v_dual_add_f32 v7, v23, v7 :: v_dual_and_b32 v34, 0xffff0000, v113
	v_and_b32_e32 v23, 0xffff0000, v112
	v_and_b32_e32 v35, 0xffff0000, v114
	v_dual_add_f32 v6, v7, v6 :: v_dual_add_f32 v23, v80, v23
	s_delay_alu instid0(VALU_DEP_1) | instskip(SKIP_3) | instid1(VALU_DEP_3)
	v_add_f32_e32 v5, v5, v23
	v_and_b32_e32 v23, 0xffff0000, v65
	v_and_b32_e32 v65, 0xffff0000, v66
	;; [unrolled: 1-line block ×3, first 2 shown]
	v_add_f32_e32 v8, v64, v23
	v_add_f32_e32 v23, v34, v35
	s_delay_alu instid0(VALU_DEP_1) | instskip(SKIP_2) | instid1(VALU_DEP_2)
	v_dual_add_f32 v3, v3, v8 :: v_dual_add_f32 v4, v5, v23
	v_and_b32_e32 v71, 0xffff0000, v130
	v_add_f32_e32 v8, v65, v66
	v_dual_add_f32 v52, v52, v4 :: v_dual_add_f32 v7, v82, v71
	s_delay_alu instid0(VALU_DEP_1) | instskip(NEXT) | instid1(VALU_DEP_1)
	v_dual_add_f32 v3, v3, v8 :: v_dual_add_f32 v2, v6, v7
	v_add_f32_e32 v49, v49, v3
	s_delay_alu instid0(VALU_DEP_2)
	v_add_f32_e32 v51, v51, v2
	s_and_not1_b32 exec_lo, exec_lo, s8
	s_cbranch_execz .LBB464_3679
.LBB464_1567:                           ; =>This Inner Loop Header: Depth=1
	flat_load_b32 v64, v[13:14]
	ds_load_2addr_b64 v[6:9], v17 offset1:1
	ds_load_2addr_b64 v[0:3], v17 offset0:2 offset1:3
	s_mov_b32 s0, exec_lo
                                        ; implicit-def: $vgpr55
	s_waitcnt lgkmcnt(1)
	v_and_b32_e32 v4, 0x7f800000, v6
	s_delay_alu instid0(VALU_DEP_1)
	v_cmpx_ne_u32_e32 0x7f800000, v4
	s_xor_b32 s0, exec_lo, s0
; %bb.1568:                             ;   in Loop: Header=BB464_1567 Depth=1
	v_bfe_u32 v4, v6, 16, 1
	s_delay_alu instid0(VALU_DEP_1)
	v_add3_u32 v55, v6, v4, 0x7fff
; %bb.1569:                             ;   in Loop: Header=BB464_1567 Depth=1
	s_and_not1_saveexec_b32 s0, s0
; %bb.1570:                             ;   in Loop: Header=BB464_1567 Depth=1
	v_and_b32_e32 v4, 0xffff, v6
	v_or_b32_e32 v5, 0x10000, v6
	s_delay_alu instid0(VALU_DEP_2) | instskip(NEXT) | instid1(VALU_DEP_2)
	v_cmp_eq_u32_e32 vcc_lo, 0, v4
	v_cndmask_b32_e32 v55, v5, v6, vcc_lo
; %bb.1571:                             ;   in Loop: Header=BB464_1567 Depth=1
	s_or_b32 exec_lo, exec_lo, s0
	v_and_b32_e32 v4, 0x7f800000, v7
	s_mov_b32 s0, exec_lo
                                        ; implicit-def: $vgpr53
	s_delay_alu instid0(VALU_DEP_1)
	v_cmpx_ne_u32_e32 0x7f800000, v4
	s_xor_b32 s0, exec_lo, s0
; %bb.1572:                             ;   in Loop: Header=BB464_1567 Depth=1
	v_bfe_u32 v4, v7, 16, 1
	s_delay_alu instid0(VALU_DEP_1)
	v_add3_u32 v53, v7, v4, 0x7fff
; %bb.1573:                             ;   in Loop: Header=BB464_1567 Depth=1
	s_and_not1_saveexec_b32 s0, s0
; %bb.1574:                             ;   in Loop: Header=BB464_1567 Depth=1
	v_and_b32_e32 v4, 0xffff, v7
	v_or_b32_e32 v5, 0x10000, v7
	s_delay_alu instid0(VALU_DEP_2) | instskip(NEXT) | instid1(VALU_DEP_2)
	v_cmp_eq_u32_e32 vcc_lo, 0, v4
	v_cndmask_b32_e32 v53, v5, v7, vcc_lo
; %bb.1575:                             ;   in Loop: Header=BB464_1567 Depth=1
	s_or_b32 exec_lo, exec_lo, s0
	v_and_b32_e32 v4, 0x7f800000, v8
	s_mov_b32 s0, exec_lo
                                        ; implicit-def: $vgpr54
	s_delay_alu instid0(VALU_DEP_1)
	v_cmpx_ne_u32_e32 0x7f800000, v4
	s_xor_b32 s0, exec_lo, s0
; %bb.1576:                             ;   in Loop: Header=BB464_1567 Depth=1
	v_bfe_u32 v4, v8, 16, 1
	s_delay_alu instid0(VALU_DEP_1)
	v_add3_u32 v54, v8, v4, 0x7fff
; %bb.1577:                             ;   in Loop: Header=BB464_1567 Depth=1
	s_and_not1_saveexec_b32 s0, s0
; %bb.1578:                             ;   in Loop: Header=BB464_1567 Depth=1
	v_and_b32_e32 v4, 0xffff, v8
	v_or_b32_e32 v5, 0x10000, v8
	s_delay_alu instid0(VALU_DEP_2) | instskip(NEXT) | instid1(VALU_DEP_2)
	v_cmp_eq_u32_e32 vcc_lo, 0, v4
	v_cndmask_b32_e32 v54, v5, v8, vcc_lo
; %bb.1579:                             ;   in Loop: Header=BB464_1567 Depth=1
	s_or_b32 exec_lo, exec_lo, s0
	v_and_b32_e32 v4, 0x7f800000, v9
	s_mov_b32 s0, exec_lo
                                        ; implicit-def: $vgpr35
	s_delay_alu instid0(VALU_DEP_1)
	v_cmpx_ne_u32_e32 0x7f800000, v4
	s_xor_b32 s0, exec_lo, s0
; %bb.1580:                             ;   in Loop: Header=BB464_1567 Depth=1
	v_bfe_u32 v4, v9, 16, 1
	s_delay_alu instid0(VALU_DEP_1)
	v_add3_u32 v35, v9, v4, 0x7fff
                                        ; implicit-def: $vgpr6_vgpr7_vgpr8_vgpr9
; %bb.1581:                             ;   in Loop: Header=BB464_1567 Depth=1
	s_and_not1_saveexec_b32 s0, s0
; %bb.1582:                             ;   in Loop: Header=BB464_1567 Depth=1
	v_and_b32_e32 v4, 0xffff, v9
	v_or_b32_e32 v5, 0x10000, v9
	s_delay_alu instid0(VALU_DEP_2) | instskip(NEXT) | instid1(VALU_DEP_2)
	v_cmp_eq_u32_e32 vcc_lo, 0, v4
	v_cndmask_b32_e32 v35, v5, v9, vcc_lo
; %bb.1583:                             ;   in Loop: Header=BB464_1567 Depth=1
	s_or_b32 exec_lo, exec_lo, s0
	s_waitcnt lgkmcnt(0)
	v_and_b32_e32 v4, 0x7f800000, v0
	s_mov_b32 s0, exec_lo
                                        ; implicit-def: $vgpr34
	s_delay_alu instid0(VALU_DEP_1)
	v_cmpx_ne_u32_e32 0x7f800000, v4
	s_xor_b32 s0, exec_lo, s0
; %bb.1584:                             ;   in Loop: Header=BB464_1567 Depth=1
	v_bfe_u32 v4, v0, 16, 1
	s_delay_alu instid0(VALU_DEP_1)
	v_add3_u32 v34, v0, v4, 0x7fff
; %bb.1585:                             ;   in Loop: Header=BB464_1567 Depth=1
	s_and_not1_saveexec_b32 s0, s0
; %bb.1586:                             ;   in Loop: Header=BB464_1567 Depth=1
	v_and_b32_e32 v4, 0xffff, v0
	v_or_b32_e32 v5, 0x10000, v0
	s_delay_alu instid0(VALU_DEP_2) | instskip(NEXT) | instid1(VALU_DEP_2)
	v_cmp_eq_u32_e32 vcc_lo, 0, v4
	v_cndmask_b32_e32 v34, v5, v0, vcc_lo
; %bb.1587:                             ;   in Loop: Header=BB464_1567 Depth=1
	s_or_b32 exec_lo, exec_lo, s0
	v_and_b32_e32 v0, 0x7f800000, v1
	s_mov_b32 s0, exec_lo
                                        ; implicit-def: $vgpr23
	s_delay_alu instid0(VALU_DEP_1)
	v_cmpx_ne_u32_e32 0x7f800000, v0
	s_xor_b32 s0, exec_lo, s0
; %bb.1588:                             ;   in Loop: Header=BB464_1567 Depth=1
	v_bfe_u32 v0, v1, 16, 1
	s_delay_alu instid0(VALU_DEP_1)
	v_add3_u32 v23, v1, v0, 0x7fff
; %bb.1589:                             ;   in Loop: Header=BB464_1567 Depth=1
	s_and_not1_saveexec_b32 s0, s0
; %bb.1590:                             ;   in Loop: Header=BB464_1567 Depth=1
	v_and_b32_e32 v0, 0xffff, v1
	v_or_b32_e32 v4, 0x10000, v1
	s_delay_alu instid0(VALU_DEP_2) | instskip(NEXT) | instid1(VALU_DEP_2)
	v_cmp_eq_u32_e32 vcc_lo, 0, v0
	v_cndmask_b32_e32 v23, v4, v1, vcc_lo
; %bb.1591:                             ;   in Loop: Header=BB464_1567 Depth=1
	s_or_b32 exec_lo, exec_lo, s0
	v_and_b32_e32 v0, 0x7f800000, v2
	s_mov_b32 s0, exec_lo
                                        ; implicit-def: $vgpr5
	s_delay_alu instid0(VALU_DEP_1)
	v_cmpx_ne_u32_e32 0x7f800000, v0
	s_xor_b32 s0, exec_lo, s0
; %bb.1592:                             ;   in Loop: Header=BB464_1567 Depth=1
	v_bfe_u32 v0, v2, 16, 1
	s_delay_alu instid0(VALU_DEP_1)
	v_add3_u32 v5, v2, v0, 0x7fff
; %bb.1593:                             ;   in Loop: Header=BB464_1567 Depth=1
	s_and_not1_saveexec_b32 s0, s0
; %bb.1594:                             ;   in Loop: Header=BB464_1567 Depth=1
	v_and_b32_e32 v0, 0xffff, v2
	v_or_b32_e32 v1, 0x10000, v2
	s_delay_alu instid0(VALU_DEP_2) | instskip(NEXT) | instid1(VALU_DEP_2)
	v_cmp_eq_u32_e32 vcc_lo, 0, v0
	v_cndmask_b32_e32 v5, v1, v2, vcc_lo
; %bb.1595:                             ;   in Loop: Header=BB464_1567 Depth=1
	s_or_b32 exec_lo, exec_lo, s0
	v_and_b32_e32 v0, 0x7f800000, v3
	s_mov_b32 s0, exec_lo
                                        ; implicit-def: $vgpr4
	s_delay_alu instid0(VALU_DEP_1)
	v_cmpx_ne_u32_e32 0x7f800000, v0
	s_xor_b32 s0, exec_lo, s0
; %bb.1596:                             ;   in Loop: Header=BB464_1567 Depth=1
	v_bfe_u32 v0, v3, 16, 1
	s_delay_alu instid0(VALU_DEP_1)
	v_add3_u32 v4, v3, v0, 0x7fff
                                        ; implicit-def: $vgpr0_vgpr1_vgpr2_vgpr3
; %bb.1597:                             ;   in Loop: Header=BB464_1567 Depth=1
	s_and_not1_saveexec_b32 s0, s0
; %bb.1598:                             ;   in Loop: Header=BB464_1567 Depth=1
	v_and_b32_e32 v0, 0xffff, v3
	v_or_b32_e32 v1, 0x10000, v3
	s_delay_alu instid0(VALU_DEP_2) | instskip(NEXT) | instid1(VALU_DEP_2)
	v_cmp_eq_u32_e32 vcc_lo, 0, v0
	v_cndmask_b32_e32 v4, v1, v3, vcc_lo
; %bb.1599:                             ;   in Loop: Header=BB464_1567 Depth=1
	s_or_b32 exec_lo, exec_lo, s0
	s_waitcnt vmcnt(0)
	v_mad_i64_i32 v[0:1], null, v64, v22, v[11:12]
	s_mov_b32 s0, exec_lo
	v_mov_b32_e32 v6, 0
	flat_load_b64 v[2:3], v[0:1]
	s_waitcnt vmcnt(0) lgkmcnt(0)
	v_and_b32_e32 v7, 0xff, v2
	s_delay_alu instid0(VALU_DEP_1)
	v_cmpx_ne_u16_e32 0, v7
	s_cbranch_execz .LBB464_1607
; %bb.1600:                             ;   in Loop: Header=BB464_1567 Depth=1
	v_bfrev_b32_e32 v6, 1
	s_mov_b32 s9, exec_lo
	v_cmpx_ne_u16_e32 0x80, v7
	s_cbranch_execz .LBB464_1606
; %bb.1601:                             ;   in Loop: Header=BB464_1567 Depth=1
	v_and_b32_e32 v7, 0x7f, v2
	v_mov_b32_e32 v6, 0x7f800001
	s_mov_b32 s12, exec_lo
	s_delay_alu instid0(VALU_DEP_2)
	v_cmpx_ne_u32_e32 0x7f, v7
	s_cbranch_execz .LBB464_1605
; %bb.1602:                             ;   in Loop: Header=BB464_1567 Depth=1
	v_lshrrev_b32_e32 v8, 3, v7
	v_cmp_gt_u32_e32 vcc_lo, 8, v7
	v_dual_mov_b32 v7, v3 :: v_dual_mov_b32 v6, v2
	s_and_saveexec_b32 s13, vcc_lo
; %bb.1603:                             ;   in Loop: Header=BB464_1567 Depth=1
	v_and_b32_e32 v6, 7, v2
	s_delay_alu instid0(VALU_DEP_1) | instskip(NEXT) | instid1(VALU_DEP_1)
	v_clz_i32_u32_e32 v6, v6
	v_min_u32_e32 v8, 32, v6
	s_delay_alu instid0(VALU_DEP_1) | instskip(SKIP_1) | instid1(VALU_DEP_2)
	v_subrev_nc_u32_e32 v6, 28, v8
	v_sub_nc_u32_e32 v8, 29, v8
	v_lshlrev_b64 v[6:7], v6, v[2:3]
; %bb.1604:                             ;   in Loop: Header=BB464_1567 Depth=1
	s_or_b32 exec_lo, exec_lo, s13
	s_delay_alu instid0(VALU_DEP_1) | instskip(SKIP_2) | instid1(VALU_DEP_3)
	v_lshlrev_b32_e32 v6, 20, v6
	v_lshlrev_b32_e32 v7, 24, v2
	v_lshl_add_u32 v8, v8, 23, 0x3c000000
	v_and_b32_e32 v6, 0x700000, v6
	s_delay_alu instid0(VALU_DEP_3) | instskip(NEXT) | instid1(VALU_DEP_1)
	v_and_b32_e32 v7, 0x80000000, v7
	v_or3_b32 v6, v6, v7, v8
.LBB464_1605:                           ;   in Loop: Header=BB464_1567 Depth=1
	s_or_b32 exec_lo, exec_lo, s12
.LBB464_1606:                           ;   in Loop: Header=BB464_1567 Depth=1
	s_delay_alu instid0(SALU_CYCLE_1)
	s_or_b32 exec_lo, exec_lo, s9
.LBB464_1607:                           ;   in Loop: Header=BB464_1567 Depth=1
	s_delay_alu instid0(SALU_CYCLE_1) | instskip(NEXT) | instid1(VALU_DEP_1)
	s_or_b32 exec_lo, exec_lo, s0
	v_mul_f32_e32 v6, v26, v6
	s_mov_b32 s0, exec_lo
                                        ; implicit-def: $vgpr8
	s_delay_alu instid0(VALU_DEP_1) | instskip(NEXT) | instid1(VALU_DEP_1)
	v_and_b32_e32 v7, 0x7f800000, v6
	v_cmpx_ne_u32_e32 0x7f800000, v7
	s_xor_b32 s0, exec_lo, s0
; %bb.1608:                             ;   in Loop: Header=BB464_1567 Depth=1
	v_bfe_u32 v7, v6, 16, 1
	s_delay_alu instid0(VALU_DEP_1)
	v_add3_u32 v8, v6, v7, 0x7fff
                                        ; implicit-def: $vgpr6
; %bb.1609:                             ;   in Loop: Header=BB464_1567 Depth=1
	s_and_not1_saveexec_b32 s0, s0
; %bb.1610:                             ;   in Loop: Header=BB464_1567 Depth=1
	v_and_b32_e32 v7, 0xffff, v6
	v_or_b32_e32 v8, 0x10000, v6
	s_delay_alu instid0(VALU_DEP_2) | instskip(NEXT) | instid1(VALU_DEP_2)
	v_cmp_eq_u32_e32 vcc_lo, 0, v7
	v_cndmask_b32_e32 v8, v8, v6, vcc_lo
; %bb.1611:                             ;   in Loop: Header=BB464_1567 Depth=1
	s_or_b32 exec_lo, exec_lo, s0
	v_lshrrev_b16 v7, 8, v2
	v_mov_b32_e32 v6, 0
	s_mov_b32 s0, exec_lo
	s_delay_alu instid0(VALU_DEP_2)
	v_cmpx_ne_u16_e32 0, v7
	s_cbranch_execz .LBB464_1619
; %bb.1612:                             ;   in Loop: Header=BB464_1567 Depth=1
	v_bfrev_b32_e32 v6, 1
	s_mov_b32 s9, exec_lo
	v_cmpx_ne_u16_e32 0x80, v7
	s_cbranch_execz .LBB464_1618
; %bb.1613:                             ;   in Loop: Header=BB464_1567 Depth=1
	v_and_b32_e32 v9, 0xffff, v7
	v_mov_b32_e32 v6, 0x7f800001
	s_mov_b32 s12, exec_lo
	s_delay_alu instid0(VALU_DEP_2) | instskip(NEXT) | instid1(VALU_DEP_1)
	v_and_b32_e32 v7, 0x7f, v9
	v_cmpx_ne_u32_e32 0x7f, v7
	s_cbranch_execz .LBB464_1617
; %bb.1614:                             ;   in Loop: Header=BB464_1567 Depth=1
	v_and_b32_e32 v9, 7, v9
	v_lshrrev_b32_e32 v64, 3, v7
	v_cmp_gt_u32_e32 vcc_lo, 8, v7
	s_delay_alu instid0(VALU_DEP_3)
	v_dual_mov_b32 v6, v9 :: v_dual_mov_b32 v7, v10
	s_and_saveexec_b32 s13, vcc_lo
; %bb.1615:                             ;   in Loop: Header=BB464_1567 Depth=1
	v_clz_i32_u32_e32 v6, v9
	s_delay_alu instid0(VALU_DEP_1) | instskip(NEXT) | instid1(VALU_DEP_1)
	v_min_u32_e32 v64, 32, v6
	v_subrev_nc_u32_e32 v6, 28, v64
	v_sub_nc_u32_e32 v64, 29, v64
	s_delay_alu instid0(VALU_DEP_2) | instskip(NEXT) | instid1(VALU_DEP_1)
	v_lshlrev_b64 v[6:7], v6, v[9:10]
	v_and_b32_e32 v6, 7, v6
; %bb.1616:                             ;   in Loop: Header=BB464_1567 Depth=1
	s_or_b32 exec_lo, exec_lo, s13
	v_lshlrev_b32_e32 v7, 16, v2
	s_delay_alu instid0(VALU_DEP_2) | instskip(SKIP_1) | instid1(VALU_DEP_3)
	v_lshlrev_b32_e32 v6, 20, v6
	v_lshl_add_u32 v9, v64, 23, 0x3c000000
	v_and_b32_e32 v7, 0x80000000, v7
	s_delay_alu instid0(VALU_DEP_1)
	v_or3_b32 v6, v6, v7, v9
.LBB464_1617:                           ;   in Loop: Header=BB464_1567 Depth=1
	s_or_b32 exec_lo, exec_lo, s12
.LBB464_1618:                           ;   in Loop: Header=BB464_1567 Depth=1
	s_delay_alu instid0(SALU_CYCLE_1)
	s_or_b32 exec_lo, exec_lo, s9
.LBB464_1619:                           ;   in Loop: Header=BB464_1567 Depth=1
	s_delay_alu instid0(SALU_CYCLE_1) | instskip(NEXT) | instid1(VALU_DEP_1)
	s_or_b32 exec_lo, exec_lo, s0
	v_mul_f32_e32 v6, v26, v6
	s_mov_b32 s0, exec_lo
                                        ; implicit-def: $vgpr64
	s_delay_alu instid0(VALU_DEP_1) | instskip(NEXT) | instid1(VALU_DEP_1)
	v_and_b32_e32 v7, 0x7f800000, v6
	v_cmpx_ne_u32_e32 0x7f800000, v7
	s_xor_b32 s0, exec_lo, s0
; %bb.1620:                             ;   in Loop: Header=BB464_1567 Depth=1
	v_bfe_u32 v7, v6, 16, 1
	s_delay_alu instid0(VALU_DEP_1)
	v_add3_u32 v64, v6, v7, 0x7fff
                                        ; implicit-def: $vgpr6
; %bb.1621:                             ;   in Loop: Header=BB464_1567 Depth=1
	s_and_not1_saveexec_b32 s0, s0
; %bb.1622:                             ;   in Loop: Header=BB464_1567 Depth=1
	v_and_b32_e32 v7, 0xffff, v6
	v_or_b32_e32 v9, 0x10000, v6
	s_delay_alu instid0(VALU_DEP_2) | instskip(NEXT) | instid1(VALU_DEP_2)
	v_cmp_eq_u32_e32 vcc_lo, 0, v7
	v_cndmask_b32_e32 v64, v9, v6, vcc_lo
; %bb.1623:                             ;   in Loop: Header=BB464_1567 Depth=1
	s_or_b32 exec_lo, exec_lo, s0
	v_lshrrev_b32_e32 v65, 16, v2
	s_mov_b32 s0, exec_lo
	s_delay_alu instid0(VALU_DEP_1) | instskip(NEXT) | instid1(VALU_DEP_1)
	v_dual_mov_b32 v6, 0 :: v_dual_and_b32 v7, 0xff, v65
	v_cmpx_ne_u16_e32 0, v7
	s_cbranch_execz .LBB464_1631
; %bb.1624:                             ;   in Loop: Header=BB464_1567 Depth=1
	v_bfrev_b32_e32 v6, 1
	s_mov_b32 s9, exec_lo
	v_cmpx_ne_u16_e32 0x80, v7
	s_cbranch_execz .LBB464_1630
; %bb.1625:                             ;   in Loop: Header=BB464_1567 Depth=1
	v_bfe_u32 v7, v2, 16, 7
	v_mov_b32_e32 v6, 0x7f800001
	s_mov_b32 s12, exec_lo
	s_delay_alu instid0(VALU_DEP_2)
	v_cmpx_ne_u32_e32 0x7f, v7
	s_cbranch_execz .LBB464_1629
; %bb.1626:                             ;   in Loop: Header=BB464_1567 Depth=1
	v_and_b32_e32 v9, 7, v65
	v_lshrrev_b32_e32 v66, 3, v7
	v_cmp_gt_u32_e32 vcc_lo, 8, v7
	s_delay_alu instid0(VALU_DEP_3)
	v_dual_mov_b32 v6, v9 :: v_dual_mov_b32 v7, v10
	s_and_saveexec_b32 s13, vcc_lo
; %bb.1627:                             ;   in Loop: Header=BB464_1567 Depth=1
	v_clz_i32_u32_e32 v6, v9
	s_delay_alu instid0(VALU_DEP_1) | instskip(NEXT) | instid1(VALU_DEP_1)
	v_min_u32_e32 v66, 32, v6
	v_subrev_nc_u32_e32 v6, 28, v66
	v_sub_nc_u32_e32 v66, 29, v66
	s_delay_alu instid0(VALU_DEP_2) | instskip(NEXT) | instid1(VALU_DEP_1)
	v_lshlrev_b64 v[6:7], v6, v[9:10]
	v_and_b32_e32 v6, 7, v6
; %bb.1628:                             ;   in Loop: Header=BB464_1567 Depth=1
	s_or_b32 exec_lo, exec_lo, s13
	v_lshlrev_b32_e32 v7, 24, v65
	s_delay_alu instid0(VALU_DEP_2) | instskip(SKIP_1) | instid1(VALU_DEP_3)
	v_lshlrev_b32_e32 v6, 20, v6
	v_lshl_add_u32 v9, v66, 23, 0x3c000000
	v_and_b32_e32 v7, 0x80000000, v7
	s_delay_alu instid0(VALU_DEP_1)
	v_or3_b32 v6, v6, v7, v9
.LBB464_1629:                           ;   in Loop: Header=BB464_1567 Depth=1
	s_or_b32 exec_lo, exec_lo, s12
.LBB464_1630:                           ;   in Loop: Header=BB464_1567 Depth=1
	s_delay_alu instid0(SALU_CYCLE_1)
	s_or_b32 exec_lo, exec_lo, s9
.LBB464_1631:                           ;   in Loop: Header=BB464_1567 Depth=1
	s_delay_alu instid0(SALU_CYCLE_1) | instskip(NEXT) | instid1(VALU_DEP_1)
	s_or_b32 exec_lo, exec_lo, s0
	v_mul_f32_e32 v6, v26, v6
	s_mov_b32 s0, exec_lo
                                        ; implicit-def: $vgpr65
	s_delay_alu instid0(VALU_DEP_1) | instskip(NEXT) | instid1(VALU_DEP_1)
	v_and_b32_e32 v7, 0x7f800000, v6
	v_cmpx_ne_u32_e32 0x7f800000, v7
	s_xor_b32 s0, exec_lo, s0
; %bb.1632:                             ;   in Loop: Header=BB464_1567 Depth=1
	v_bfe_u32 v7, v6, 16, 1
	s_delay_alu instid0(VALU_DEP_1)
	v_add3_u32 v65, v6, v7, 0x7fff
                                        ; implicit-def: $vgpr6
; %bb.1633:                             ;   in Loop: Header=BB464_1567 Depth=1
	s_and_not1_saveexec_b32 s0, s0
; %bb.1634:                             ;   in Loop: Header=BB464_1567 Depth=1
	v_and_b32_e32 v7, 0xffff, v6
	v_or_b32_e32 v9, 0x10000, v6
	s_delay_alu instid0(VALU_DEP_2) | instskip(NEXT) | instid1(VALU_DEP_2)
	v_cmp_eq_u32_e32 vcc_lo, 0, v7
	v_cndmask_b32_e32 v65, v9, v6, vcc_lo
; %bb.1635:                             ;   in Loop: Header=BB464_1567 Depth=1
	s_or_b32 exec_lo, exec_lo, s0
	v_mov_b32_e32 v6, 0
	s_mov_b32 s0, exec_lo
	v_cmpx_lt_u32_e32 0xffffff, v2
	s_cbranch_execz .LBB464_1643
; %bb.1636:                             ;   in Loop: Header=BB464_1567 Depth=1
	v_lshrrev_b32_e32 v66, 24, v2
	v_bfrev_b32_e32 v6, 1
	s_mov_b32 s9, exec_lo
	s_delay_alu instid0(VALU_DEP_2)
	v_cmpx_ne_u32_e32 0x80, v66
	s_cbranch_execz .LBB464_1642
; %bb.1637:                             ;   in Loop: Header=BB464_1567 Depth=1
	v_bfe_u32 v7, v2, 24, 7
	v_mov_b32_e32 v6, 0x7f800001
	s_mov_b32 s12, exec_lo
	s_delay_alu instid0(VALU_DEP_2)
	v_cmpx_ne_u32_e32 0x7f, v7
	s_cbranch_execz .LBB464_1641
; %bb.1638:                             ;   in Loop: Header=BB464_1567 Depth=1
	v_and_b32_e32 v9, 7, v66
	v_lshrrev_b32_e32 v67, 3, v7
	v_cmp_gt_u32_e32 vcc_lo, 8, v7
	s_delay_alu instid0(VALU_DEP_3)
	v_dual_mov_b32 v6, v9 :: v_dual_mov_b32 v7, v10
	s_and_saveexec_b32 s13, vcc_lo
; %bb.1639:                             ;   in Loop: Header=BB464_1567 Depth=1
	v_clz_i32_u32_e32 v6, v9
	s_delay_alu instid0(VALU_DEP_1) | instskip(NEXT) | instid1(VALU_DEP_1)
	v_min_u32_e32 v67, 32, v6
	v_subrev_nc_u32_e32 v6, 28, v67
	v_sub_nc_u32_e32 v67, 29, v67
	s_delay_alu instid0(VALU_DEP_2) | instskip(NEXT) | instid1(VALU_DEP_1)
	v_lshlrev_b64 v[6:7], v6, v[9:10]
	v_and_b32_e32 v6, 7, v6
; %bb.1640:                             ;   in Loop: Header=BB464_1567 Depth=1
	s_or_b32 exec_lo, exec_lo, s13
	v_lshlrev_b32_e32 v7, 24, v66
	s_delay_alu instid0(VALU_DEP_2) | instskip(SKIP_1) | instid1(VALU_DEP_3)
	v_lshlrev_b32_e32 v6, 20, v6
	v_lshl_add_u32 v9, v67, 23, 0x3c000000
	v_and_b32_e32 v7, 0x80000000, v7
	s_delay_alu instid0(VALU_DEP_1)
	v_or3_b32 v6, v6, v7, v9
.LBB464_1641:                           ;   in Loop: Header=BB464_1567 Depth=1
	s_or_b32 exec_lo, exec_lo, s12
.LBB464_1642:                           ;   in Loop: Header=BB464_1567 Depth=1
	s_delay_alu instid0(SALU_CYCLE_1)
	s_or_b32 exec_lo, exec_lo, s9
.LBB464_1643:                           ;   in Loop: Header=BB464_1567 Depth=1
	s_delay_alu instid0(SALU_CYCLE_1) | instskip(NEXT) | instid1(VALU_DEP_1)
	s_or_b32 exec_lo, exec_lo, s0
	v_mul_f32_e32 v6, v26, v6
	s_mov_b32 s0, exec_lo
                                        ; implicit-def: $vgpr66
	s_delay_alu instid0(VALU_DEP_1) | instskip(NEXT) | instid1(VALU_DEP_1)
	v_and_b32_e32 v7, 0x7f800000, v6
	v_cmpx_ne_u32_e32 0x7f800000, v7
	s_xor_b32 s0, exec_lo, s0
; %bb.1644:                             ;   in Loop: Header=BB464_1567 Depth=1
	v_bfe_u32 v7, v6, 16, 1
	s_delay_alu instid0(VALU_DEP_1)
	v_add3_u32 v66, v6, v7, 0x7fff
                                        ; implicit-def: $vgpr6
; %bb.1645:                             ;   in Loop: Header=BB464_1567 Depth=1
	s_and_not1_saveexec_b32 s0, s0
; %bb.1646:                             ;   in Loop: Header=BB464_1567 Depth=1
	v_and_b32_e32 v7, 0xffff, v6
	v_or_b32_e32 v9, 0x10000, v6
	s_delay_alu instid0(VALU_DEP_2) | instskip(NEXT) | instid1(VALU_DEP_2)
	v_cmp_eq_u32_e32 vcc_lo, 0, v7
	v_cndmask_b32_e32 v66, v9, v6, vcc_lo
; %bb.1647:                             ;   in Loop: Header=BB464_1567 Depth=1
	s_or_b32 exec_lo, exec_lo, s0
	v_dual_mov_b32 v6, 0 :: v_dual_and_b32 v7, 0xff, v3
	v_mov_b32_e32 v9, v3
	s_mov_b32 s0, exec_lo
	s_delay_alu instid0(VALU_DEP_2)
	v_cmpx_ne_u16_e32 0, v7
	s_cbranch_execz .LBB464_1655
; %bb.1648:                             ;   in Loop: Header=BB464_1567 Depth=1
	v_bfrev_b32_e32 v6, 1
	s_mov_b32 s9, exec_lo
	v_cmpx_ne_u16_e32 0x80, v7
	s_cbranch_execz .LBB464_1654
; %bb.1649:                             ;   in Loop: Header=BB464_1567 Depth=1
	v_and_b32_e32 v7, 0x7f, v3
	v_mov_b32_e32 v6, 0x7f800001
	s_mov_b32 s12, exec_lo
	s_delay_alu instid0(VALU_DEP_2)
	v_cmpx_ne_u32_e32 0x7f, v7
	s_cbranch_execz .LBB464_1653
; %bb.1650:                             ;   in Loop: Header=BB464_1567 Depth=1
	v_lshrrev_b32_e32 v67, 3, v7
	v_cmp_gt_u32_e32 vcc_lo, 8, v7
	v_dual_mov_b32 v6, v9 :: v_dual_mov_b32 v7, v10
	s_and_saveexec_b32 s13, vcc_lo
; %bb.1651:                             ;   in Loop: Header=BB464_1567 Depth=1
	v_and_b32_e32 v6, 7, v3
	s_delay_alu instid0(VALU_DEP_1) | instskip(NEXT) | instid1(VALU_DEP_1)
	v_clz_i32_u32_e32 v6, v6
	v_min_u32_e32 v67, 32, v6
	s_delay_alu instid0(VALU_DEP_1) | instskip(SKIP_1) | instid1(VALU_DEP_2)
	v_subrev_nc_u32_e32 v6, 28, v67
	v_sub_nc_u32_e32 v67, 29, v67
	v_lshlrev_b64 v[6:7], v6, v[9:10]
; %bb.1652:                             ;   in Loop: Header=BB464_1567 Depth=1
	s_or_b32 exec_lo, exec_lo, s13
	s_delay_alu instid0(VALU_DEP_1) | instskip(SKIP_2) | instid1(VALU_DEP_3)
	v_lshlrev_b32_e32 v6, 20, v6
	v_lshlrev_b32_e32 v7, 24, v9
	v_lshl_add_u32 v67, v67, 23, 0x3c000000
	v_and_b32_e32 v6, 0x700000, v6
	s_delay_alu instid0(VALU_DEP_3) | instskip(NEXT) | instid1(VALU_DEP_1)
	v_and_b32_e32 v7, 0x80000000, v7
	v_or3_b32 v6, v6, v7, v67
.LBB464_1653:                           ;   in Loop: Header=BB464_1567 Depth=1
	s_or_b32 exec_lo, exec_lo, s12
.LBB464_1654:                           ;   in Loop: Header=BB464_1567 Depth=1
	s_delay_alu instid0(SALU_CYCLE_1)
	s_or_b32 exec_lo, exec_lo, s9
.LBB464_1655:                           ;   in Loop: Header=BB464_1567 Depth=1
	s_delay_alu instid0(SALU_CYCLE_1) | instskip(NEXT) | instid1(VALU_DEP_1)
	s_or_b32 exec_lo, exec_lo, s0
	v_mul_f32_e32 v6, v26, v6
	s_mov_b32 s0, exec_lo
                                        ; implicit-def: $vgpr67
	s_delay_alu instid0(VALU_DEP_1) | instskip(NEXT) | instid1(VALU_DEP_1)
	v_and_b32_e32 v7, 0x7f800000, v6
	v_cmpx_ne_u32_e32 0x7f800000, v7
	s_xor_b32 s0, exec_lo, s0
; %bb.1656:                             ;   in Loop: Header=BB464_1567 Depth=1
	v_bfe_u32 v7, v6, 16, 1
	s_delay_alu instid0(VALU_DEP_1)
	v_add3_u32 v67, v6, v7, 0x7fff
                                        ; implicit-def: $vgpr6
; %bb.1657:                             ;   in Loop: Header=BB464_1567 Depth=1
	s_and_not1_saveexec_b32 s0, s0
; %bb.1658:                             ;   in Loop: Header=BB464_1567 Depth=1
	v_and_b32_e32 v7, 0xffff, v6
	v_or_b32_e32 v67, 0x10000, v6
	s_delay_alu instid0(VALU_DEP_2) | instskip(NEXT) | instid1(VALU_DEP_2)
	v_cmp_eq_u32_e32 vcc_lo, 0, v7
	v_cndmask_b32_e32 v67, v67, v6, vcc_lo
; %bb.1659:                             ;   in Loop: Header=BB464_1567 Depth=1
	s_or_b32 exec_lo, exec_lo, s0
	v_lshrrev_b16 v7, 8, v9
	v_mov_b32_e32 v6, 0
	s_mov_b32 s0, exec_lo
	s_delay_alu instid0(VALU_DEP_2)
	v_cmpx_ne_u16_e32 0, v7
	s_cbranch_execz .LBB464_1667
; %bb.1660:                             ;   in Loop: Header=BB464_1567 Depth=1
	v_bfrev_b32_e32 v6, 1
	s_mov_b32 s9, exec_lo
	v_cmpx_ne_u16_e32 0x80, v7
	s_cbranch_execz .LBB464_1666
; %bb.1661:                             ;   in Loop: Header=BB464_1567 Depth=1
	v_and_b32_e32 v7, 0xffff, v7
	v_mov_b32_e32 v6, 0x7f800001
	s_mov_b32 s12, exec_lo
	s_delay_alu instid0(VALU_DEP_2) | instskip(NEXT) | instid1(VALU_DEP_1)
	v_and_b32_e32 v69, 0x7f, v7
	v_cmpx_ne_u32_e32 0x7f, v69
	s_cbranch_execz .LBB464_1665
; %bb.1662:                             ;   in Loop: Header=BB464_1567 Depth=1
	v_dual_mov_b32 v7, v10 :: v_dual_and_b32 v6, 7, v7
	v_lshrrev_b32_e32 v68, 3, v69
	s_mov_b32 s13, exec_lo
	v_cmpx_gt_u32_e32 8, v69
; %bb.1663:                             ;   in Loop: Header=BB464_1567 Depth=1
	s_delay_alu instid0(VALU_DEP_3) | instskip(NEXT) | instid1(VALU_DEP_1)
	v_clz_i32_u32_e32 v68, v6
	v_min_u32_e32 v68, 32, v68
	s_delay_alu instid0(VALU_DEP_1) | instskip(SKIP_1) | instid1(VALU_DEP_2)
	v_subrev_nc_u32_e32 v69, 28, v68
	v_sub_nc_u32_e32 v68, 29, v68
	v_lshlrev_b64 v[6:7], v69, v[6:7]
	s_delay_alu instid0(VALU_DEP_1)
	v_and_b32_e32 v6, 7, v6
; %bb.1664:                             ;   in Loop: Header=BB464_1567 Depth=1
	s_or_b32 exec_lo, exec_lo, s13
	v_lshlrev_b32_e32 v7, 16, v9
	s_delay_alu instid0(VALU_DEP_2) | instskip(SKIP_1) | instid1(VALU_DEP_3)
	v_lshlrev_b32_e32 v6, 20, v6
	v_lshl_add_u32 v9, v68, 23, 0x3c000000
	v_and_b32_e32 v7, 0x80000000, v7
	s_delay_alu instid0(VALU_DEP_1)
	v_or3_b32 v6, v6, v7, v9
.LBB464_1665:                           ;   in Loop: Header=BB464_1567 Depth=1
	s_or_b32 exec_lo, exec_lo, s12
.LBB464_1666:                           ;   in Loop: Header=BB464_1567 Depth=1
	s_delay_alu instid0(SALU_CYCLE_1)
	s_or_b32 exec_lo, exec_lo, s9
.LBB464_1667:                           ;   in Loop: Header=BB464_1567 Depth=1
	s_delay_alu instid0(SALU_CYCLE_1) | instskip(NEXT) | instid1(VALU_DEP_1)
	s_or_b32 exec_lo, exec_lo, s0
	v_mul_f32_e32 v6, v26, v6
	s_mov_b32 s0, exec_lo
                                        ; implicit-def: $vgpr69
	s_delay_alu instid0(VALU_DEP_1) | instskip(NEXT) | instid1(VALU_DEP_1)
	v_and_b32_e32 v7, 0x7f800000, v6
	v_cmpx_ne_u32_e32 0x7f800000, v7
	s_xor_b32 s0, exec_lo, s0
; %bb.1668:                             ;   in Loop: Header=BB464_1567 Depth=1
	v_bfe_u32 v7, v6, 16, 1
	s_delay_alu instid0(VALU_DEP_1)
	v_add3_u32 v69, v6, v7, 0x7fff
                                        ; implicit-def: $vgpr6
; %bb.1669:                             ;   in Loop: Header=BB464_1567 Depth=1
	s_and_not1_saveexec_b32 s0, s0
; %bb.1670:                             ;   in Loop: Header=BB464_1567 Depth=1
	v_and_b32_e32 v7, 0xffff, v6
	v_or_b32_e32 v9, 0x10000, v6
	s_delay_alu instid0(VALU_DEP_2) | instskip(NEXT) | instid1(VALU_DEP_2)
	v_cmp_eq_u32_e32 vcc_lo, 0, v7
	v_cndmask_b32_e32 v69, v9, v6, vcc_lo
; %bb.1671:                             ;   in Loop: Header=BB464_1567 Depth=1
	s_or_b32 exec_lo, exec_lo, s0
	v_lshrrev_b32_e32 v68, 16, v3
	s_mov_b32 s0, exec_lo
	s_delay_alu instid0(VALU_DEP_1) | instskip(NEXT) | instid1(VALU_DEP_1)
	v_dual_mov_b32 v6, 0 :: v_dual_and_b32 v7, 0xff, v68
	v_cmpx_ne_u16_e32 0, v7
	s_cbranch_execz .LBB464_1679
; %bb.1672:                             ;   in Loop: Header=BB464_1567 Depth=1
	v_bfrev_b32_e32 v6, 1
	s_mov_b32 s9, exec_lo
	v_cmpx_ne_u16_e32 0x80, v7
	s_cbranch_execz .LBB464_1678
; %bb.1673:                             ;   in Loop: Header=BB464_1567 Depth=1
	v_bfe_u32 v7, v3, 16, 7
	v_mov_b32_e32 v6, 0x7f800001
	s_mov_b32 s12, exec_lo
	s_delay_alu instid0(VALU_DEP_2)
	v_cmpx_ne_u32_e32 0x7f, v7
	s_cbranch_execz .LBB464_1677
; %bb.1674:                             ;   in Loop: Header=BB464_1567 Depth=1
	v_and_b32_e32 v9, 7, v68
	v_lshrrev_b32_e32 v70, 3, v7
	v_cmp_gt_u32_e32 vcc_lo, 8, v7
	s_delay_alu instid0(VALU_DEP_3)
	v_dual_mov_b32 v6, v9 :: v_dual_mov_b32 v7, v10
	s_and_saveexec_b32 s13, vcc_lo
; %bb.1675:                             ;   in Loop: Header=BB464_1567 Depth=1
	v_clz_i32_u32_e32 v6, v9
	s_delay_alu instid0(VALU_DEP_1) | instskip(NEXT) | instid1(VALU_DEP_1)
	v_min_u32_e32 v70, 32, v6
	v_subrev_nc_u32_e32 v6, 28, v70
	v_sub_nc_u32_e32 v70, 29, v70
	s_delay_alu instid0(VALU_DEP_2) | instskip(NEXT) | instid1(VALU_DEP_1)
	v_lshlrev_b64 v[6:7], v6, v[9:10]
	v_and_b32_e32 v6, 7, v6
; %bb.1676:                             ;   in Loop: Header=BB464_1567 Depth=1
	s_or_b32 exec_lo, exec_lo, s13
	v_lshlrev_b32_e32 v7, 24, v68
	s_delay_alu instid0(VALU_DEP_2) | instskip(SKIP_1) | instid1(VALU_DEP_3)
	v_lshlrev_b32_e32 v6, 20, v6
	v_lshl_add_u32 v9, v70, 23, 0x3c000000
	v_and_b32_e32 v7, 0x80000000, v7
	s_delay_alu instid0(VALU_DEP_1)
	v_or3_b32 v6, v6, v7, v9
.LBB464_1677:                           ;   in Loop: Header=BB464_1567 Depth=1
	s_or_b32 exec_lo, exec_lo, s12
.LBB464_1678:                           ;   in Loop: Header=BB464_1567 Depth=1
	s_delay_alu instid0(SALU_CYCLE_1)
	s_or_b32 exec_lo, exec_lo, s9
.LBB464_1679:                           ;   in Loop: Header=BB464_1567 Depth=1
	s_delay_alu instid0(SALU_CYCLE_1) | instskip(NEXT) | instid1(VALU_DEP_1)
	s_or_b32 exec_lo, exec_lo, s0
	v_mul_f32_e32 v6, v26, v6
	s_mov_b32 s0, exec_lo
                                        ; implicit-def: $vgpr70
	s_delay_alu instid0(VALU_DEP_1) | instskip(NEXT) | instid1(VALU_DEP_1)
	v_and_b32_e32 v7, 0x7f800000, v6
	v_cmpx_ne_u32_e32 0x7f800000, v7
	s_xor_b32 s0, exec_lo, s0
; %bb.1680:                             ;   in Loop: Header=BB464_1567 Depth=1
	v_bfe_u32 v7, v6, 16, 1
	s_delay_alu instid0(VALU_DEP_1)
	v_add3_u32 v70, v6, v7, 0x7fff
                                        ; implicit-def: $vgpr6
; %bb.1681:                             ;   in Loop: Header=BB464_1567 Depth=1
	s_and_not1_saveexec_b32 s0, s0
; %bb.1682:                             ;   in Loop: Header=BB464_1567 Depth=1
	v_and_b32_e32 v7, 0xffff, v6
	v_or_b32_e32 v9, 0x10000, v6
	s_delay_alu instid0(VALU_DEP_2) | instskip(NEXT) | instid1(VALU_DEP_2)
	v_cmp_eq_u32_e32 vcc_lo, 0, v7
	v_cndmask_b32_e32 v70, v9, v6, vcc_lo
; %bb.1683:                             ;   in Loop: Header=BB464_1567 Depth=1
	s_or_b32 exec_lo, exec_lo, s0
	v_cmp_lt_u64_e32 vcc_lo, s[2:3], v[2:3]
	v_mov_b32_e32 v2, 0
	s_and_saveexec_b32 s0, vcc_lo
	s_cbranch_execz .LBB464_1691
; %bb.1684:                             ;   in Loop: Header=BB464_1567 Depth=1
	v_lshrrev_b32_e32 v6, 24, v3
	v_bfrev_b32_e32 v2, 1
	s_mov_b32 s9, exec_lo
	s_delay_alu instid0(VALU_DEP_2)
	v_cmpx_ne_u32_e32 0x80, v6
	s_cbranch_execz .LBB464_1690
; %bb.1685:                             ;   in Loop: Header=BB464_1567 Depth=1
	v_bfe_u32 v3, v3, 24, 7
	v_mov_b32_e32 v2, 0x7f800001
	s_mov_b32 s12, exec_lo
	s_delay_alu instid0(VALU_DEP_2)
	v_cmpx_ne_u32_e32 0x7f, v3
	s_cbranch_execz .LBB464_1689
; %bb.1686:                             ;   in Loop: Header=BB464_1567 Depth=1
	v_and_b32_e32 v9, 7, v6
	v_lshrrev_b32_e32 v7, 3, v3
	v_cmp_gt_u32_e32 vcc_lo, 8, v3
	s_delay_alu instid0(VALU_DEP_3)
	v_dual_mov_b32 v2, v9 :: v_dual_mov_b32 v3, v10
	s_and_saveexec_b32 s13, vcc_lo
; %bb.1687:                             ;   in Loop: Header=BB464_1567 Depth=1
	v_clz_i32_u32_e32 v2, v9
	s_delay_alu instid0(VALU_DEP_1) | instskip(NEXT) | instid1(VALU_DEP_1)
	v_min_u32_e32 v7, 32, v2
	v_subrev_nc_u32_e32 v2, 28, v7
	v_sub_nc_u32_e32 v7, 29, v7
	s_delay_alu instid0(VALU_DEP_2) | instskip(NEXT) | instid1(VALU_DEP_1)
	v_lshlrev_b64 v[2:3], v2, v[9:10]
	v_and_b32_e32 v2, 7, v2
; %bb.1688:                             ;   in Loop: Header=BB464_1567 Depth=1
	s_or_b32 exec_lo, exec_lo, s13
	v_lshlrev_b32_e32 v3, 24, v6
	s_delay_alu instid0(VALU_DEP_2) | instskip(SKIP_1) | instid1(VALU_DEP_3)
	v_lshlrev_b32_e32 v2, 20, v2
	v_lshl_add_u32 v6, v7, 23, 0x3c000000
	v_and_b32_e32 v3, 0x80000000, v3
	s_delay_alu instid0(VALU_DEP_1)
	v_or3_b32 v2, v2, v3, v6
.LBB464_1689:                           ;   in Loop: Header=BB464_1567 Depth=1
	s_or_b32 exec_lo, exec_lo, s12
.LBB464_1690:                           ;   in Loop: Header=BB464_1567 Depth=1
	s_delay_alu instid0(SALU_CYCLE_1)
	s_or_b32 exec_lo, exec_lo, s9
.LBB464_1691:                           ;   in Loop: Header=BB464_1567 Depth=1
	s_delay_alu instid0(SALU_CYCLE_1) | instskip(NEXT) | instid1(VALU_DEP_1)
	s_or_b32 exec_lo, exec_lo, s0
	v_mul_f32_e32 v3, v26, v2
	s_delay_alu instid0(VALU_DEP_1) | instskip(NEXT) | instid1(VALU_DEP_1)
	v_and_b32_e32 v2, 0x7f800000, v3
	v_cmp_ne_u32_e32 vcc_lo, 0x7f800000, v2
                                        ; implicit-def: $vgpr2
	s_and_saveexec_b32 s0, vcc_lo
	s_delay_alu instid0(SALU_CYCLE_1)
	s_xor_b32 s0, exec_lo, s0
; %bb.1692:                             ;   in Loop: Header=BB464_1567 Depth=1
	v_bfe_u32 v2, v3, 16, 1
	s_delay_alu instid0(VALU_DEP_1)
	v_add3_u32 v2, v3, v2, 0x7fff
                                        ; implicit-def: $vgpr3
; %bb.1693:                             ;   in Loop: Header=BB464_1567 Depth=1
	s_and_not1_saveexec_b32 s0, s0
; %bb.1694:                             ;   in Loop: Header=BB464_1567 Depth=1
	v_and_b32_e32 v2, 0xffff, v3
	v_or_b32_e32 v6, 0x10000, v3
	s_delay_alu instid0(VALU_DEP_2) | instskip(NEXT) | instid1(VALU_DEP_2)
	v_cmp_eq_u32_e32 vcc_lo, 0, v2
	v_cndmask_b32_e32 v2, v6, v3, vcc_lo
; %bb.1695:                             ;   in Loop: Header=BB464_1567 Depth=1
	s_or_b32 exec_lo, exec_lo, s0
	v_cmp_eq_u32_e32 vcc_lo, v27, v16
	v_add_nc_u32_e32 v68, -7, v15
	v_lshrrev_b32_e32 v6, 16, v69
	v_lshrrev_b32_e32 v7, 16, v67
	v_lshrrev_b32_e32 v9, 16, v66
	v_lshrrev_b32_e32 v65, 16, v65
	v_lshrrev_b32_e32 v64, 16, v64
	v_lshrrev_b32_e32 v8, 16, v8
	v_lshrrev_b32_e32 v3, 16, v70
	v_lshrrev_b32_e32 v2, 16, v2
	v_add_nc_u32_e32 v82, -6, v15
	v_add_nc_u32_e32 v81, -5, v15
	;; [unrolled: 1-line block ×6, first 2 shown]
	s_and_saveexec_b32 s9, vcc_lo
	s_cbranch_execz .LBB464_1697
; %bb.1696:                             ;   in Loop: Header=BB464_1567 Depth=1
	v_cmp_lt_i32_e64 s0, v68, v36
	s_delay_alu instid0(VALU_DEP_1) | instskip(SKIP_1) | instid1(VALU_DEP_1)
	v_cndmask_b32_e64 v8, 0, v8, s0
	v_cmp_lt_i32_e64 s0, v82, v36
	v_cndmask_b32_e64 v64, 0, v64, s0
	v_cmp_lt_i32_e64 s0, v81, v36
	s_delay_alu instid0(VALU_DEP_1) | instskip(SKIP_1) | instid1(VALU_DEP_1)
	v_cndmask_b32_e64 v65, 0, v65, s0
	v_cmp_lt_i32_e64 s0, v80, v36
	v_cndmask_b32_e64 v9, 0, v9, s0
	;; [unrolled: 5-line block ×4, first 2 shown]
.LBB464_1697:                           ;   in Loop: Header=BB464_1567 Depth=1
	s_or_b32 exec_lo, exec_lo, s9
	v_and_b32_e32 v83, 0xffff0000, v55
	v_lshlrev_b32_e32 v8, 16, v8
	s_delay_alu instid0(VALU_DEP_1) | instskip(NEXT) | instid1(VALU_DEP_1)
	v_mul_f32_e32 v55, v83, v8
	v_and_b32_e32 v8, 0x7f800000, v55
	s_delay_alu instid0(VALU_DEP_1) | instskip(NEXT) | instid1(VALU_DEP_1)
	v_cmp_ne_u32_e64 s0, 0x7f800000, v8
                                        ; implicit-def: $vgpr8
	s_and_saveexec_b32 s9, s0
	s_delay_alu instid0(SALU_CYCLE_1)
	s_xor_b32 s0, exec_lo, s9
; %bb.1698:                             ;   in Loop: Header=BB464_1567 Depth=1
	v_bfe_u32 v8, v55, 16, 1
	s_delay_alu instid0(VALU_DEP_1)
	v_add3_u32 v8, v55, v8, 0x7fff
                                        ; implicit-def: $vgpr55
; %bb.1699:                             ;   in Loop: Header=BB464_1567 Depth=1
	s_and_not1_saveexec_b32 s9, s0
; %bb.1700:                             ;   in Loop: Header=BB464_1567 Depth=1
	v_and_b32_e32 v8, 0xffff, v55
	v_or_b32_e32 v66, 0x10000, v55
	s_delay_alu instid0(VALU_DEP_2) | instskip(NEXT) | instid1(VALU_DEP_1)
	v_cmp_eq_u32_e64 s0, 0, v8
	v_cndmask_b32_e64 v8, v66, v55, s0
; %bb.1701:                             ;   in Loop: Header=BB464_1567 Depth=1
	s_or_b32 exec_lo, exec_lo, s9
	v_and_b32_e32 v84, 0xffff0000, v53
	v_lshlrev_b32_e32 v53, 16, v64
	s_delay_alu instid0(VALU_DEP_1) | instskip(NEXT) | instid1(VALU_DEP_1)
	v_mul_f32_e32 v55, v84, v53
	v_and_b32_e32 v53, 0x7f800000, v55
	s_delay_alu instid0(VALU_DEP_1) | instskip(NEXT) | instid1(VALU_DEP_1)
	v_cmp_ne_u32_e64 s0, 0x7f800000, v53
                                        ; implicit-def: $vgpr53
	s_and_saveexec_b32 s9, s0
	s_delay_alu instid0(SALU_CYCLE_1)
	s_xor_b32 s0, exec_lo, s9
; %bb.1702:                             ;   in Loop: Header=BB464_1567 Depth=1
	v_bfe_u32 v53, v55, 16, 1
	s_delay_alu instid0(VALU_DEP_1)
	v_add3_u32 v53, v55, v53, 0x7fff
                                        ; implicit-def: $vgpr55
; %bb.1703:                             ;   in Loop: Header=BB464_1567 Depth=1
	s_and_not1_saveexec_b32 s9, s0
; %bb.1704:                             ;   in Loop: Header=BB464_1567 Depth=1
	v_and_b32_e32 v53, 0xffff, v55
	v_or_b32_e32 v64, 0x10000, v55
	s_delay_alu instid0(VALU_DEP_2) | instskip(NEXT) | instid1(VALU_DEP_1)
	v_cmp_eq_u32_e64 s0, 0, v53
	v_cndmask_b32_e64 v53, v64, v55, s0
; %bb.1705:                             ;   in Loop: Header=BB464_1567 Depth=1
	s_or_b32 exec_lo, exec_lo, s9
	v_and_b32_e32 v85, 0xffff0000, v54
	v_lshlrev_b32_e32 v54, 16, v65
	s_delay_alu instid0(VALU_DEP_1) | instskip(NEXT) | instid1(VALU_DEP_1)
	v_mul_f32_e32 v55, v85, v54
	v_and_b32_e32 v54, 0x7f800000, v55
	s_delay_alu instid0(VALU_DEP_1) | instskip(NEXT) | instid1(VALU_DEP_1)
	v_cmp_ne_u32_e64 s0, 0x7f800000, v54
                                        ; implicit-def: $vgpr54
	s_and_saveexec_b32 s9, s0
	s_delay_alu instid0(SALU_CYCLE_1)
	s_xor_b32 s0, exec_lo, s9
; %bb.1706:                             ;   in Loop: Header=BB464_1567 Depth=1
	v_bfe_u32 v54, v55, 16, 1
	s_delay_alu instid0(VALU_DEP_1)
	v_add3_u32 v54, v55, v54, 0x7fff
                                        ; implicit-def: $vgpr55
; %bb.1707:                             ;   in Loop: Header=BB464_1567 Depth=1
	s_and_not1_saveexec_b32 s9, s0
; %bb.1708:                             ;   in Loop: Header=BB464_1567 Depth=1
	v_and_b32_e32 v54, 0xffff, v55
	v_or_b32_e32 v64, 0x10000, v55
	s_delay_alu instid0(VALU_DEP_2) | instskip(NEXT) | instid1(VALU_DEP_1)
	v_cmp_eq_u32_e64 s0, 0, v54
	v_cndmask_b32_e64 v54, v64, v55, s0
; %bb.1709:                             ;   in Loop: Header=BB464_1567 Depth=1
	s_or_b32 exec_lo, exec_lo, s9
	v_and_b32_e32 v86, 0xffff0000, v35
	v_lshlrev_b32_e32 v9, 16, v9
                                        ; implicit-def: $vgpr55
	s_delay_alu instid0(VALU_DEP_1) | instskip(NEXT) | instid1(VALU_DEP_1)
	v_mul_f32_e32 v9, v86, v9
	v_and_b32_e32 v35, 0x7f800000, v9
	s_delay_alu instid0(VALU_DEP_1) | instskip(NEXT) | instid1(VALU_DEP_1)
	v_cmp_ne_u32_e64 s0, 0x7f800000, v35
	s_and_saveexec_b32 s9, s0
	s_delay_alu instid0(SALU_CYCLE_1)
	s_xor_b32 s0, exec_lo, s9
; %bb.1710:                             ;   in Loop: Header=BB464_1567 Depth=1
	v_bfe_u32 v35, v9, 16, 1
	s_delay_alu instid0(VALU_DEP_1)
	v_add3_u32 v55, v9, v35, 0x7fff
                                        ; implicit-def: $vgpr9
; %bb.1711:                             ;   in Loop: Header=BB464_1567 Depth=1
	s_and_not1_saveexec_b32 s9, s0
; %bb.1712:                             ;   in Loop: Header=BB464_1567 Depth=1
	v_and_b32_e32 v35, 0xffff, v9
	v_or_b32_e32 v55, 0x10000, v9
	s_delay_alu instid0(VALU_DEP_2) | instskip(NEXT) | instid1(VALU_DEP_1)
	v_cmp_eq_u32_e64 s0, 0, v35
	v_cndmask_b32_e64 v55, v55, v9, s0
; %bb.1713:                             ;   in Loop: Header=BB464_1567 Depth=1
	s_or_b32 exec_lo, exec_lo, s9
	v_and_b32_e32 v87, 0xffff0000, v34
	v_lshlrev_b32_e32 v7, 16, v7
                                        ; implicit-def: $vgpr64
	s_delay_alu instid0(VALU_DEP_1) | instskip(NEXT) | instid1(VALU_DEP_1)
	v_mul_f32_e32 v7, v87, v7
	v_and_b32_e32 v9, 0x7f800000, v7
	s_delay_alu instid0(VALU_DEP_1) | instskip(NEXT) | instid1(VALU_DEP_1)
	v_cmp_ne_u32_e64 s0, 0x7f800000, v9
	s_and_saveexec_b32 s9, s0
	s_delay_alu instid0(SALU_CYCLE_1)
	s_xor_b32 s0, exec_lo, s9
; %bb.1714:                             ;   in Loop: Header=BB464_1567 Depth=1
	v_bfe_u32 v9, v7, 16, 1
	s_delay_alu instid0(VALU_DEP_1)
	v_add3_u32 v64, v7, v9, 0x7fff
                                        ; implicit-def: $vgpr7
; %bb.1715:                             ;   in Loop: Header=BB464_1567 Depth=1
	s_and_not1_saveexec_b32 s9, s0
; %bb.1716:                             ;   in Loop: Header=BB464_1567 Depth=1
	v_and_b32_e32 v9, 0xffff, v7
	v_or_b32_e32 v34, 0x10000, v7
	s_delay_alu instid0(VALU_DEP_2) | instskip(NEXT) | instid1(VALU_DEP_1)
	v_cmp_eq_u32_e64 s0, 0, v9
	v_cndmask_b32_e64 v64, v34, v7, s0
; %bb.1717:                             ;   in Loop: Header=BB464_1567 Depth=1
	s_or_b32 exec_lo, exec_lo, s9
	v_and_b32_e32 v96, 0xffff0000, v23
	v_lshlrev_b32_e32 v6, 16, v6
                                        ; implicit-def: $vgpr65
	s_delay_alu instid0(VALU_DEP_1) | instskip(NEXT) | instid1(VALU_DEP_1)
	v_mul_f32_e32 v6, v96, v6
	v_and_b32_e32 v7, 0x7f800000, v6
	s_delay_alu instid0(VALU_DEP_1) | instskip(NEXT) | instid1(VALU_DEP_1)
	v_cmp_ne_u32_e64 s0, 0x7f800000, v7
	s_and_saveexec_b32 s9, s0
	s_delay_alu instid0(SALU_CYCLE_1)
	s_xor_b32 s0, exec_lo, s9
; %bb.1718:                             ;   in Loop: Header=BB464_1567 Depth=1
	v_bfe_u32 v7, v6, 16, 1
	s_delay_alu instid0(VALU_DEP_1)
	v_add3_u32 v65, v6, v7, 0x7fff
                                        ; implicit-def: $vgpr6
; %bb.1719:                             ;   in Loop: Header=BB464_1567 Depth=1
	s_and_not1_saveexec_b32 s9, s0
; %bb.1720:                             ;   in Loop: Header=BB464_1567 Depth=1
	v_and_b32_e32 v7, 0xffff, v6
	v_or_b32_e32 v9, 0x10000, v6
	s_delay_alu instid0(VALU_DEP_2) | instskip(NEXT) | instid1(VALU_DEP_1)
	v_cmp_eq_u32_e64 s0, 0, v7
	v_cndmask_b32_e64 v65, v9, v6, s0
; %bb.1721:                             ;   in Loop: Header=BB464_1567 Depth=1
	s_or_b32 exec_lo, exec_lo, s9
	v_and_b32_e32 v97, 0xffff0000, v5
	v_lshlrev_b32_e32 v3, 16, v3
                                        ; implicit-def: $vgpr66
	s_delay_alu instid0(VALU_DEP_1) | instskip(NEXT) | instid1(VALU_DEP_1)
	v_mul_f32_e32 v3, v97, v3
	v_and_b32_e32 v5, 0x7f800000, v3
	s_delay_alu instid0(VALU_DEP_1) | instskip(NEXT) | instid1(VALU_DEP_1)
	v_cmp_ne_u32_e64 s0, 0x7f800000, v5
	s_and_saveexec_b32 s9, s0
	s_delay_alu instid0(SALU_CYCLE_1)
	s_xor_b32 s0, exec_lo, s9
; %bb.1722:                             ;   in Loop: Header=BB464_1567 Depth=1
	v_bfe_u32 v5, v3, 16, 1
	s_delay_alu instid0(VALU_DEP_1)
	v_add3_u32 v66, v3, v5, 0x7fff
                                        ; implicit-def: $vgpr3
; %bb.1723:                             ;   in Loop: Header=BB464_1567 Depth=1
	s_and_not1_saveexec_b32 s9, s0
; %bb.1724:                             ;   in Loop: Header=BB464_1567 Depth=1
	v_and_b32_e32 v5, 0xffff, v3
	v_or_b32_e32 v6, 0x10000, v3
	s_delay_alu instid0(VALU_DEP_2) | instskip(NEXT) | instid1(VALU_DEP_1)
	v_cmp_eq_u32_e64 s0, 0, v5
	v_cndmask_b32_e64 v66, v6, v3, s0
; %bb.1725:                             ;   in Loop: Header=BB464_1567 Depth=1
	s_or_b32 exec_lo, exec_lo, s9
	v_and_b32_e32 v98, 0xffff0000, v4
	v_lshlrev_b32_e32 v2, 16, v2
                                        ; implicit-def: $vgpr67
	s_delay_alu instid0(VALU_DEP_1) | instskip(NEXT) | instid1(VALU_DEP_1)
	v_mul_f32_e32 v2, v98, v2
	v_and_b32_e32 v3, 0x7f800000, v2
	s_delay_alu instid0(VALU_DEP_1) | instskip(NEXT) | instid1(VALU_DEP_1)
	v_cmp_ne_u32_e64 s0, 0x7f800000, v3
	s_and_saveexec_b32 s9, s0
	s_delay_alu instid0(SALU_CYCLE_1)
	s_xor_b32 s0, exec_lo, s9
; %bb.1726:                             ;   in Loop: Header=BB464_1567 Depth=1
	v_bfe_u32 v3, v2, 16, 1
	s_delay_alu instid0(VALU_DEP_1)
	v_add3_u32 v67, v2, v3, 0x7fff
                                        ; implicit-def: $vgpr2
; %bb.1727:                             ;   in Loop: Header=BB464_1567 Depth=1
	s_and_not1_saveexec_b32 s9, s0
; %bb.1728:                             ;   in Loop: Header=BB464_1567 Depth=1
	v_and_b32_e32 v3, 0xffff, v2
	v_or_b32_e32 v4, 0x10000, v2
	s_delay_alu instid0(VALU_DEP_2) | instskip(NEXT) | instid1(VALU_DEP_1)
	v_cmp_eq_u32_e64 s0, 0, v3
	v_cndmask_b32_e64 v67, v4, v2, s0
; %bb.1729:                             ;   in Loop: Header=BB464_1567 Depth=1
	s_or_b32 exec_lo, exec_lo, s9
	flat_load_b64 v[2:3], v[0:1] offset:256
	s_mov_b32 s9, exec_lo
	s_waitcnt vmcnt(0) lgkmcnt(0)
	v_dual_mov_b32 v4, 0 :: v_dual_and_b32 v5, 0xff, v2
	s_delay_alu instid0(VALU_DEP_1)
	v_cmpx_ne_u16_e32 0, v5
	s_cbranch_execz .LBB464_1737
; %bb.1730:                             ;   in Loop: Header=BB464_1567 Depth=1
	v_bfrev_b32_e32 v4, 1
	s_mov_b32 s12, exec_lo
	v_cmpx_ne_u16_e32 0x80, v5
	s_cbranch_execz .LBB464_1736
; %bb.1731:                             ;   in Loop: Header=BB464_1567 Depth=1
	v_and_b32_e32 v5, 0x7f, v2
	v_mov_b32_e32 v4, 0x7f800001
	s_mov_b32 s13, exec_lo
	s_delay_alu instid0(VALU_DEP_2)
	v_cmpx_ne_u32_e32 0x7f, v5
	s_cbranch_execz .LBB464_1735
; %bb.1732:                             ;   in Loop: Header=BB464_1567 Depth=1
	v_lshrrev_b32_e32 v4, 3, v5
	v_dual_mov_b32 v7, v3 :: v_dual_mov_b32 v6, v2
	s_mov_b32 s15, exec_lo
	v_cmpx_gt_u32_e32 8, v5
; %bb.1733:                             ;   in Loop: Header=BB464_1567 Depth=1
	v_and_b32_e32 v4, 7, v2
	s_delay_alu instid0(VALU_DEP_1) | instskip(NEXT) | instid1(VALU_DEP_1)
	v_clz_i32_u32_e32 v4, v4
	v_min_u32_e32 v4, 32, v4
	s_delay_alu instid0(VALU_DEP_1) | instskip(SKIP_1) | instid1(VALU_DEP_2)
	v_subrev_nc_u32_e32 v5, 28, v4
	v_sub_nc_u32_e32 v4, 29, v4
	v_lshlrev_b64 v[6:7], v5, v[2:3]
; %bb.1734:                             ;   in Loop: Header=BB464_1567 Depth=1
	s_or_b32 exec_lo, exec_lo, s15
	s_delay_alu instid0(VALU_DEP_1) | instskip(SKIP_2) | instid1(VALU_DEP_3)
	v_lshlrev_b32_e32 v5, 20, v6
	v_lshlrev_b32_e32 v6, 24, v2
	v_lshl_add_u32 v4, v4, 23, 0x3c000000
	v_and_b32_e32 v5, 0x700000, v5
	s_delay_alu instid0(VALU_DEP_3) | instskip(NEXT) | instid1(VALU_DEP_1)
	v_and_b32_e32 v6, 0x80000000, v6
	v_or3_b32 v4, v5, v6, v4
.LBB464_1735:                           ;   in Loop: Header=BB464_1567 Depth=1
	s_or_b32 exec_lo, exec_lo, s13
.LBB464_1736:                           ;   in Loop: Header=BB464_1567 Depth=1
	s_delay_alu instid0(SALU_CYCLE_1)
	s_or_b32 exec_lo, exec_lo, s12
.LBB464_1737:                           ;   in Loop: Header=BB464_1567 Depth=1
	s_delay_alu instid0(SALU_CYCLE_1) | instskip(NEXT) | instid1(VALU_DEP_1)
	s_or_b32 exec_lo, exec_lo, s9
	v_mul_f32_e32 v5, v26, v4
	s_delay_alu instid0(VALU_DEP_1) | instskip(NEXT) | instid1(VALU_DEP_1)
	v_and_b32_e32 v4, 0x7f800000, v5
	v_cmp_ne_u32_e64 s0, 0x7f800000, v4
                                        ; implicit-def: $vgpr4
	s_delay_alu instid0(VALU_DEP_1) | instskip(NEXT) | instid1(SALU_CYCLE_1)
	s_and_saveexec_b32 s9, s0
	s_xor_b32 s0, exec_lo, s9
; %bb.1738:                             ;   in Loop: Header=BB464_1567 Depth=1
	v_bfe_u32 v4, v5, 16, 1
	s_delay_alu instid0(VALU_DEP_1)
	v_add3_u32 v4, v5, v4, 0x7fff
                                        ; implicit-def: $vgpr5
; %bb.1739:                             ;   in Loop: Header=BB464_1567 Depth=1
	s_and_not1_saveexec_b32 s9, s0
; %bb.1740:                             ;   in Loop: Header=BB464_1567 Depth=1
	v_and_b32_e32 v4, 0xffff, v5
	v_or_b32_e32 v6, 0x10000, v5
	s_delay_alu instid0(VALU_DEP_2) | instskip(NEXT) | instid1(VALU_DEP_1)
	v_cmp_eq_u32_e64 s0, 0, v4
	v_cndmask_b32_e64 v4, v6, v5, s0
; %bb.1741:                             ;   in Loop: Header=BB464_1567 Depth=1
	s_or_b32 exec_lo, exec_lo, s9
	v_lshrrev_b16 v6, 8, v2
	v_mov_b32_e32 v5, 0
	s_mov_b32 s9, exec_lo
	s_delay_alu instid0(VALU_DEP_2)
	v_cmpx_ne_u16_e32 0, v6
	s_cbranch_execz .LBB464_1749
; %bb.1742:                             ;   in Loop: Header=BB464_1567 Depth=1
	v_bfrev_b32_e32 v5, 1
	s_mov_b32 s12, exec_lo
	v_cmpx_ne_u16_e32 0x80, v6
	s_cbranch_execz .LBB464_1748
; %bb.1743:                             ;   in Loop: Header=BB464_1567 Depth=1
	v_and_b32_e32 v7, 0xffff, v6
	v_mov_b32_e32 v5, 0x7f800001
	s_mov_b32 s13, exec_lo
	s_delay_alu instid0(VALU_DEP_2) | instskip(NEXT) | instid1(VALU_DEP_1)
	v_and_b32_e32 v6, 0x7f, v7
	v_cmpx_ne_u32_e32 0x7f, v6
	s_cbranch_execz .LBB464_1747
; %bb.1744:                             ;   in Loop: Header=BB464_1567 Depth=1
	v_and_b32_e32 v9, 7, v7
	v_lshrrev_b32_e32 v5, 3, v6
	v_cmp_gt_u32_e64 s0, 8, v6
	s_delay_alu instid0(VALU_DEP_3) | instskip(NEXT) | instid1(VALU_DEP_2)
	v_dual_mov_b32 v6, v9 :: v_dual_mov_b32 v7, v10
	s_and_saveexec_b32 s15, s0
; %bb.1745:                             ;   in Loop: Header=BB464_1567 Depth=1
	v_clz_i32_u32_e32 v5, v9
	s_delay_alu instid0(VALU_DEP_1) | instskip(NEXT) | instid1(VALU_DEP_1)
	v_min_u32_e32 v5, 32, v5
	v_subrev_nc_u32_e32 v6, 28, v5
	v_sub_nc_u32_e32 v5, 29, v5
	s_delay_alu instid0(VALU_DEP_2) | instskip(NEXT) | instid1(VALU_DEP_1)
	v_lshlrev_b64 v[6:7], v6, v[9:10]
	v_and_b32_e32 v6, 7, v6
; %bb.1746:                             ;   in Loop: Header=BB464_1567 Depth=1
	s_or_b32 exec_lo, exec_lo, s15
	v_lshlrev_b32_e32 v7, 16, v2
	s_delay_alu instid0(VALU_DEP_2) | instskip(SKIP_1) | instid1(VALU_DEP_3)
	v_lshlrev_b32_e32 v6, 20, v6
	v_lshl_add_u32 v5, v5, 23, 0x3c000000
	v_and_b32_e32 v7, 0x80000000, v7
	s_delay_alu instid0(VALU_DEP_1)
	v_or3_b32 v5, v6, v7, v5
.LBB464_1747:                           ;   in Loop: Header=BB464_1567 Depth=1
	s_or_b32 exec_lo, exec_lo, s13
.LBB464_1748:                           ;   in Loop: Header=BB464_1567 Depth=1
	s_delay_alu instid0(SALU_CYCLE_1)
	s_or_b32 exec_lo, exec_lo, s12
.LBB464_1749:                           ;   in Loop: Header=BB464_1567 Depth=1
	s_delay_alu instid0(SALU_CYCLE_1) | instskip(NEXT) | instid1(VALU_DEP_1)
	s_or_b32 exec_lo, exec_lo, s9
	v_mul_f32_e32 v6, v26, v5
	s_delay_alu instid0(VALU_DEP_1) | instskip(NEXT) | instid1(VALU_DEP_1)
	v_and_b32_e32 v5, 0x7f800000, v6
	v_cmp_ne_u32_e64 s0, 0x7f800000, v5
                                        ; implicit-def: $vgpr5
	s_delay_alu instid0(VALU_DEP_1) | instskip(NEXT) | instid1(SALU_CYCLE_1)
	s_and_saveexec_b32 s9, s0
	s_xor_b32 s0, exec_lo, s9
; %bb.1750:                             ;   in Loop: Header=BB464_1567 Depth=1
	v_bfe_u32 v5, v6, 16, 1
	s_delay_alu instid0(VALU_DEP_1)
	v_add3_u32 v5, v6, v5, 0x7fff
                                        ; implicit-def: $vgpr6
; %bb.1751:                             ;   in Loop: Header=BB464_1567 Depth=1
	s_and_not1_saveexec_b32 s9, s0
; %bb.1752:                             ;   in Loop: Header=BB464_1567 Depth=1
	v_and_b32_e32 v5, 0xffff, v6
	v_or_b32_e32 v7, 0x10000, v6
	s_delay_alu instid0(VALU_DEP_2) | instskip(NEXT) | instid1(VALU_DEP_1)
	v_cmp_eq_u32_e64 s0, 0, v5
	v_cndmask_b32_e64 v5, v7, v6, s0
; %bb.1753:                             ;   in Loop: Header=BB464_1567 Depth=1
	s_or_b32 exec_lo, exec_lo, s9
	v_lshrrev_b32_e32 v23, 16, v2
	s_mov_b32 s9, exec_lo
	s_delay_alu instid0(VALU_DEP_1) | instskip(NEXT) | instid1(VALU_DEP_1)
	v_dual_mov_b32 v6, 0 :: v_dual_and_b32 v7, 0xff, v23
	v_cmpx_ne_u16_e32 0, v7
	s_cbranch_execz .LBB464_1761
; %bb.1754:                             ;   in Loop: Header=BB464_1567 Depth=1
	v_bfrev_b32_e32 v6, 1
	s_mov_b32 s12, exec_lo
	v_cmpx_ne_u16_e32 0x80, v7
	s_cbranch_execz .LBB464_1760
; %bb.1755:                             ;   in Loop: Header=BB464_1567 Depth=1
	v_bfe_u32 v7, v2, 16, 7
	v_mov_b32_e32 v6, 0x7f800001
	s_mov_b32 s13, exec_lo
	s_delay_alu instid0(VALU_DEP_2)
	v_cmpx_ne_u32_e32 0x7f, v7
	s_cbranch_execz .LBB464_1759
; %bb.1756:                             ;   in Loop: Header=BB464_1567 Depth=1
	v_and_b32_e32 v9, 7, v23
	v_lshrrev_b32_e32 v34, 3, v7
	v_cmp_gt_u32_e64 s0, 8, v7
	s_delay_alu instid0(VALU_DEP_3) | instskip(NEXT) | instid1(VALU_DEP_2)
	v_dual_mov_b32 v6, v9 :: v_dual_mov_b32 v7, v10
	s_and_saveexec_b32 s15, s0
; %bb.1757:                             ;   in Loop: Header=BB464_1567 Depth=1
	v_clz_i32_u32_e32 v6, v9
	s_delay_alu instid0(VALU_DEP_1) | instskip(NEXT) | instid1(VALU_DEP_1)
	v_min_u32_e32 v34, 32, v6
	v_subrev_nc_u32_e32 v6, 28, v34
	v_sub_nc_u32_e32 v34, 29, v34
	s_delay_alu instid0(VALU_DEP_2) | instskip(NEXT) | instid1(VALU_DEP_1)
	v_lshlrev_b64 v[6:7], v6, v[9:10]
	v_and_b32_e32 v6, 7, v6
; %bb.1758:                             ;   in Loop: Header=BB464_1567 Depth=1
	s_or_b32 exec_lo, exec_lo, s15
	v_lshlrev_b32_e32 v7, 24, v23
	s_delay_alu instid0(VALU_DEP_2) | instskip(SKIP_1) | instid1(VALU_DEP_3)
	v_lshlrev_b32_e32 v6, 20, v6
	v_lshl_add_u32 v9, v34, 23, 0x3c000000
	v_and_b32_e32 v7, 0x80000000, v7
	s_delay_alu instid0(VALU_DEP_1)
	v_or3_b32 v6, v6, v7, v9
.LBB464_1759:                           ;   in Loop: Header=BB464_1567 Depth=1
	s_or_b32 exec_lo, exec_lo, s13
.LBB464_1760:                           ;   in Loop: Header=BB464_1567 Depth=1
	s_delay_alu instid0(SALU_CYCLE_1)
	s_or_b32 exec_lo, exec_lo, s12
.LBB464_1761:                           ;   in Loop: Header=BB464_1567 Depth=1
	s_delay_alu instid0(SALU_CYCLE_1) | instskip(NEXT) | instid1(VALU_DEP_1)
	s_or_b32 exec_lo, exec_lo, s9
	v_mul_f32_e32 v6, v26, v6
                                        ; implicit-def: $vgpr23
	s_delay_alu instid0(VALU_DEP_1) | instskip(NEXT) | instid1(VALU_DEP_1)
	v_and_b32_e32 v7, 0x7f800000, v6
	v_cmp_ne_u32_e64 s0, 0x7f800000, v7
	s_delay_alu instid0(VALU_DEP_1) | instskip(NEXT) | instid1(SALU_CYCLE_1)
	s_and_saveexec_b32 s9, s0
	s_xor_b32 s0, exec_lo, s9
; %bb.1762:                             ;   in Loop: Header=BB464_1567 Depth=1
	v_bfe_u32 v7, v6, 16, 1
	s_delay_alu instid0(VALU_DEP_1)
	v_add3_u32 v23, v6, v7, 0x7fff
                                        ; implicit-def: $vgpr6
; %bb.1763:                             ;   in Loop: Header=BB464_1567 Depth=1
	s_and_not1_saveexec_b32 s9, s0
; %bb.1764:                             ;   in Loop: Header=BB464_1567 Depth=1
	v_and_b32_e32 v7, 0xffff, v6
	v_or_b32_e32 v9, 0x10000, v6
	s_delay_alu instid0(VALU_DEP_2) | instskip(NEXT) | instid1(VALU_DEP_1)
	v_cmp_eq_u32_e64 s0, 0, v7
	v_cndmask_b32_e64 v23, v9, v6, s0
; %bb.1765:                             ;   in Loop: Header=BB464_1567 Depth=1
	s_or_b32 exec_lo, exec_lo, s9
	v_mov_b32_e32 v6, 0
	s_mov_b32 s9, exec_lo
	v_cmpx_lt_u32_e32 0xffffff, v2
	s_cbranch_execz .LBB464_1773
; %bb.1766:                             ;   in Loop: Header=BB464_1567 Depth=1
	v_lshrrev_b32_e32 v34, 24, v2
	v_bfrev_b32_e32 v6, 1
	s_mov_b32 s12, exec_lo
	s_delay_alu instid0(VALU_DEP_2)
	v_cmpx_ne_u32_e32 0x80, v34
	s_cbranch_execz .LBB464_1772
; %bb.1767:                             ;   in Loop: Header=BB464_1567 Depth=1
	v_bfe_u32 v7, v2, 24, 7
	v_mov_b32_e32 v6, 0x7f800001
	s_mov_b32 s13, exec_lo
	s_delay_alu instid0(VALU_DEP_2)
	v_cmpx_ne_u32_e32 0x7f, v7
	s_cbranch_execz .LBB464_1771
; %bb.1768:                             ;   in Loop: Header=BB464_1567 Depth=1
	v_and_b32_e32 v9, 7, v34
	v_lshrrev_b32_e32 v35, 3, v7
	v_cmp_gt_u32_e64 s0, 8, v7
	s_delay_alu instid0(VALU_DEP_3) | instskip(NEXT) | instid1(VALU_DEP_2)
	v_dual_mov_b32 v6, v9 :: v_dual_mov_b32 v7, v10
	s_and_saveexec_b32 s15, s0
; %bb.1769:                             ;   in Loop: Header=BB464_1567 Depth=1
	v_clz_i32_u32_e32 v6, v9
	s_delay_alu instid0(VALU_DEP_1) | instskip(NEXT) | instid1(VALU_DEP_1)
	v_min_u32_e32 v35, 32, v6
	v_subrev_nc_u32_e32 v6, 28, v35
	v_sub_nc_u32_e32 v35, 29, v35
	s_delay_alu instid0(VALU_DEP_2) | instskip(NEXT) | instid1(VALU_DEP_1)
	v_lshlrev_b64 v[6:7], v6, v[9:10]
	v_and_b32_e32 v6, 7, v6
; %bb.1770:                             ;   in Loop: Header=BB464_1567 Depth=1
	s_or_b32 exec_lo, exec_lo, s15
	v_lshlrev_b32_e32 v7, 24, v34
	s_delay_alu instid0(VALU_DEP_2) | instskip(SKIP_1) | instid1(VALU_DEP_3)
	v_lshlrev_b32_e32 v6, 20, v6
	v_lshl_add_u32 v9, v35, 23, 0x3c000000
	v_and_b32_e32 v7, 0x80000000, v7
	s_delay_alu instid0(VALU_DEP_1)
	v_or3_b32 v6, v6, v7, v9
.LBB464_1771:                           ;   in Loop: Header=BB464_1567 Depth=1
	s_or_b32 exec_lo, exec_lo, s13
.LBB464_1772:                           ;   in Loop: Header=BB464_1567 Depth=1
	s_delay_alu instid0(SALU_CYCLE_1)
	s_or_b32 exec_lo, exec_lo, s12
.LBB464_1773:                           ;   in Loop: Header=BB464_1567 Depth=1
	s_delay_alu instid0(SALU_CYCLE_1) | instskip(NEXT) | instid1(VALU_DEP_1)
	s_or_b32 exec_lo, exec_lo, s9
	v_mul_f32_e32 v6, v26, v6
                                        ; implicit-def: $vgpr34
	s_delay_alu instid0(VALU_DEP_1) | instskip(NEXT) | instid1(VALU_DEP_1)
	v_and_b32_e32 v7, 0x7f800000, v6
	v_cmp_ne_u32_e64 s0, 0x7f800000, v7
	s_delay_alu instid0(VALU_DEP_1) | instskip(NEXT) | instid1(SALU_CYCLE_1)
	s_and_saveexec_b32 s9, s0
	s_xor_b32 s0, exec_lo, s9
; %bb.1774:                             ;   in Loop: Header=BB464_1567 Depth=1
	v_bfe_u32 v7, v6, 16, 1
	s_delay_alu instid0(VALU_DEP_1)
	v_add3_u32 v34, v6, v7, 0x7fff
                                        ; implicit-def: $vgpr6
; %bb.1775:                             ;   in Loop: Header=BB464_1567 Depth=1
	s_and_not1_saveexec_b32 s9, s0
; %bb.1776:                             ;   in Loop: Header=BB464_1567 Depth=1
	v_and_b32_e32 v7, 0xffff, v6
	v_or_b32_e32 v9, 0x10000, v6
	s_delay_alu instid0(VALU_DEP_2) | instskip(NEXT) | instid1(VALU_DEP_1)
	v_cmp_eq_u32_e64 s0, 0, v7
	v_cndmask_b32_e64 v34, v9, v6, s0
; %bb.1777:                             ;   in Loop: Header=BB464_1567 Depth=1
	s_or_b32 exec_lo, exec_lo, s9
	v_dual_mov_b32 v6, 0 :: v_dual_and_b32 v7, 0xff, v3
	v_mov_b32_e32 v9, v3
	s_mov_b32 s9, exec_lo
	s_delay_alu instid0(VALU_DEP_2)
	v_cmpx_ne_u16_e32 0, v7
	s_cbranch_execz .LBB464_1785
; %bb.1778:                             ;   in Loop: Header=BB464_1567 Depth=1
	v_bfrev_b32_e32 v6, 1
	s_mov_b32 s12, exec_lo
	v_cmpx_ne_u16_e32 0x80, v7
	s_cbranch_execz .LBB464_1784
; %bb.1779:                             ;   in Loop: Header=BB464_1567 Depth=1
	v_and_b32_e32 v7, 0x7f, v3
	v_mov_b32_e32 v6, 0x7f800001
	s_mov_b32 s13, exec_lo
	s_delay_alu instid0(VALU_DEP_2)
	v_cmpx_ne_u32_e32 0x7f, v7
	s_cbranch_execz .LBB464_1783
; %bb.1780:                             ;   in Loop: Header=BB464_1567 Depth=1
	v_lshrrev_b32_e32 v35, 3, v7
	v_cmp_gt_u32_e64 s0, 8, v7
	v_dual_mov_b32 v6, v9 :: v_dual_mov_b32 v7, v10
	s_delay_alu instid0(VALU_DEP_2)
	s_and_saveexec_b32 s15, s0
; %bb.1781:                             ;   in Loop: Header=BB464_1567 Depth=1
	v_and_b32_e32 v6, 7, v3
	s_delay_alu instid0(VALU_DEP_1) | instskip(NEXT) | instid1(VALU_DEP_1)
	v_clz_i32_u32_e32 v6, v6
	v_min_u32_e32 v35, 32, v6
	s_delay_alu instid0(VALU_DEP_1) | instskip(SKIP_1) | instid1(VALU_DEP_2)
	v_subrev_nc_u32_e32 v6, 28, v35
	v_sub_nc_u32_e32 v35, 29, v35
	v_lshlrev_b64 v[6:7], v6, v[9:10]
; %bb.1782:                             ;   in Loop: Header=BB464_1567 Depth=1
	s_or_b32 exec_lo, exec_lo, s15
	s_delay_alu instid0(VALU_DEP_1) | instskip(SKIP_2) | instid1(VALU_DEP_3)
	v_lshlrev_b32_e32 v6, 20, v6
	v_lshlrev_b32_e32 v7, 24, v9
	v_lshl_add_u32 v35, v35, 23, 0x3c000000
	v_and_b32_e32 v6, 0x700000, v6
	s_delay_alu instid0(VALU_DEP_3) | instskip(NEXT) | instid1(VALU_DEP_1)
	v_and_b32_e32 v7, 0x80000000, v7
	v_or3_b32 v6, v6, v7, v35
.LBB464_1783:                           ;   in Loop: Header=BB464_1567 Depth=1
	s_or_b32 exec_lo, exec_lo, s13
.LBB464_1784:                           ;   in Loop: Header=BB464_1567 Depth=1
	s_delay_alu instid0(SALU_CYCLE_1)
	s_or_b32 exec_lo, exec_lo, s12
.LBB464_1785:                           ;   in Loop: Header=BB464_1567 Depth=1
	s_delay_alu instid0(SALU_CYCLE_1) | instskip(NEXT) | instid1(VALU_DEP_1)
	s_or_b32 exec_lo, exec_lo, s9
	v_mul_f32_e32 v6, v26, v6
                                        ; implicit-def: $vgpr35
	s_delay_alu instid0(VALU_DEP_1) | instskip(NEXT) | instid1(VALU_DEP_1)
	v_and_b32_e32 v7, 0x7f800000, v6
	v_cmp_ne_u32_e64 s0, 0x7f800000, v7
	s_delay_alu instid0(VALU_DEP_1) | instskip(NEXT) | instid1(SALU_CYCLE_1)
	s_and_saveexec_b32 s9, s0
	s_xor_b32 s0, exec_lo, s9
; %bb.1786:                             ;   in Loop: Header=BB464_1567 Depth=1
	v_bfe_u32 v7, v6, 16, 1
	s_delay_alu instid0(VALU_DEP_1)
	v_add3_u32 v35, v6, v7, 0x7fff
                                        ; implicit-def: $vgpr6
; %bb.1787:                             ;   in Loop: Header=BB464_1567 Depth=1
	s_and_not1_saveexec_b32 s9, s0
; %bb.1788:                             ;   in Loop: Header=BB464_1567 Depth=1
	v_and_b32_e32 v7, 0xffff, v6
	v_or_b32_e32 v35, 0x10000, v6
	s_delay_alu instid0(VALU_DEP_2) | instskip(NEXT) | instid1(VALU_DEP_1)
	v_cmp_eq_u32_e64 s0, 0, v7
	v_cndmask_b32_e64 v35, v35, v6, s0
; %bb.1789:                             ;   in Loop: Header=BB464_1567 Depth=1
	s_or_b32 exec_lo, exec_lo, s9
	v_lshrrev_b16 v7, 8, v9
	v_mov_b32_e32 v6, 0
	s_mov_b32 s9, exec_lo
	s_delay_alu instid0(VALU_DEP_2)
	v_cmpx_ne_u16_e32 0, v7
	s_cbranch_execz .LBB464_1797
; %bb.1790:                             ;   in Loop: Header=BB464_1567 Depth=1
	v_bfrev_b32_e32 v6, 1
	s_mov_b32 s12, exec_lo
	v_cmpx_ne_u16_e32 0x80, v7
	s_cbranch_execz .LBB464_1796
; %bb.1791:                             ;   in Loop: Header=BB464_1567 Depth=1
	v_and_b32_e32 v7, 0xffff, v7
	v_mov_b32_e32 v6, 0x7f800001
	s_mov_b32 s13, exec_lo
	s_delay_alu instid0(VALU_DEP_2) | instskip(NEXT) | instid1(VALU_DEP_1)
	v_and_b32_e32 v100, 0x7f, v7
	v_cmpx_ne_u32_e32 0x7f, v100
	s_cbranch_execz .LBB464_1795
; %bb.1792:                             ;   in Loop: Header=BB464_1567 Depth=1
	v_dual_mov_b32 v7, v10 :: v_dual_and_b32 v6, 7, v7
	v_lshrrev_b32_e32 v99, 3, v100
	s_mov_b32 s15, exec_lo
	v_cmpx_gt_u32_e32 8, v100
; %bb.1793:                             ;   in Loop: Header=BB464_1567 Depth=1
	s_delay_alu instid0(VALU_DEP_3) | instskip(NEXT) | instid1(VALU_DEP_1)
	v_clz_i32_u32_e32 v99, v6
	v_min_u32_e32 v99, 32, v99
	s_delay_alu instid0(VALU_DEP_1) | instskip(SKIP_1) | instid1(VALU_DEP_2)
	v_subrev_nc_u32_e32 v100, 28, v99
	v_sub_nc_u32_e32 v99, 29, v99
	v_lshlrev_b64 v[6:7], v100, v[6:7]
	s_delay_alu instid0(VALU_DEP_1)
	v_and_b32_e32 v6, 7, v6
; %bb.1794:                             ;   in Loop: Header=BB464_1567 Depth=1
	s_or_b32 exec_lo, exec_lo, s15
	v_lshlrev_b32_e32 v7, 16, v9
	s_delay_alu instid0(VALU_DEP_2) | instskip(SKIP_1) | instid1(VALU_DEP_3)
	v_lshlrev_b32_e32 v6, 20, v6
	v_lshl_add_u32 v9, v99, 23, 0x3c000000
	v_and_b32_e32 v7, 0x80000000, v7
	s_delay_alu instid0(VALU_DEP_1)
	v_or3_b32 v6, v6, v7, v9
.LBB464_1795:                           ;   in Loop: Header=BB464_1567 Depth=1
	s_or_b32 exec_lo, exec_lo, s13
.LBB464_1796:                           ;   in Loop: Header=BB464_1567 Depth=1
	s_delay_alu instid0(SALU_CYCLE_1)
	s_or_b32 exec_lo, exec_lo, s12
.LBB464_1797:                           ;   in Loop: Header=BB464_1567 Depth=1
	s_delay_alu instid0(SALU_CYCLE_1) | instskip(NEXT) | instid1(VALU_DEP_1)
	s_or_b32 exec_lo, exec_lo, s9
	v_mul_f32_e32 v6, v26, v6
                                        ; implicit-def: $vgpr99
	s_delay_alu instid0(VALU_DEP_1) | instskip(NEXT) | instid1(VALU_DEP_1)
	v_and_b32_e32 v7, 0x7f800000, v6
	v_cmp_ne_u32_e64 s0, 0x7f800000, v7
	s_delay_alu instid0(VALU_DEP_1) | instskip(NEXT) | instid1(SALU_CYCLE_1)
	s_and_saveexec_b32 s9, s0
	s_xor_b32 s0, exec_lo, s9
; %bb.1798:                             ;   in Loop: Header=BB464_1567 Depth=1
	v_bfe_u32 v7, v6, 16, 1
	s_delay_alu instid0(VALU_DEP_1)
	v_add3_u32 v99, v6, v7, 0x7fff
                                        ; implicit-def: $vgpr6
; %bb.1799:                             ;   in Loop: Header=BB464_1567 Depth=1
	s_and_not1_saveexec_b32 s9, s0
; %bb.1800:                             ;   in Loop: Header=BB464_1567 Depth=1
	v_and_b32_e32 v7, 0xffff, v6
	v_or_b32_e32 v9, 0x10000, v6
	s_delay_alu instid0(VALU_DEP_2) | instskip(NEXT) | instid1(VALU_DEP_1)
	v_cmp_eq_u32_e64 s0, 0, v7
	v_cndmask_b32_e64 v99, v9, v6, s0
; %bb.1801:                             ;   in Loop: Header=BB464_1567 Depth=1
	s_or_b32 exec_lo, exec_lo, s9
	v_lshrrev_b32_e32 v100, 16, v3
	s_mov_b32 s9, exec_lo
	s_delay_alu instid0(VALU_DEP_1) | instskip(NEXT) | instid1(VALU_DEP_1)
	v_dual_mov_b32 v6, 0 :: v_dual_and_b32 v7, 0xff, v100
	v_cmpx_ne_u16_e32 0, v7
	s_cbranch_execz .LBB464_1809
; %bb.1802:                             ;   in Loop: Header=BB464_1567 Depth=1
	v_bfrev_b32_e32 v6, 1
	s_mov_b32 s12, exec_lo
	v_cmpx_ne_u16_e32 0x80, v7
	s_cbranch_execz .LBB464_1808
; %bb.1803:                             ;   in Loop: Header=BB464_1567 Depth=1
	v_bfe_u32 v7, v3, 16, 7
	v_mov_b32_e32 v6, 0x7f800001
	s_mov_b32 s13, exec_lo
	s_delay_alu instid0(VALU_DEP_2)
	v_cmpx_ne_u32_e32 0x7f, v7
	s_cbranch_execz .LBB464_1807
; %bb.1804:                             ;   in Loop: Header=BB464_1567 Depth=1
	v_and_b32_e32 v9, 7, v100
	v_lshrrev_b32_e32 v101, 3, v7
	v_cmp_gt_u32_e64 s0, 8, v7
	s_delay_alu instid0(VALU_DEP_3) | instskip(NEXT) | instid1(VALU_DEP_2)
	v_dual_mov_b32 v6, v9 :: v_dual_mov_b32 v7, v10
	s_and_saveexec_b32 s15, s0
; %bb.1805:                             ;   in Loop: Header=BB464_1567 Depth=1
	v_clz_i32_u32_e32 v6, v9
	s_delay_alu instid0(VALU_DEP_1) | instskip(NEXT) | instid1(VALU_DEP_1)
	v_min_u32_e32 v101, 32, v6
	v_subrev_nc_u32_e32 v6, 28, v101
	v_sub_nc_u32_e32 v101, 29, v101
	s_delay_alu instid0(VALU_DEP_2) | instskip(NEXT) | instid1(VALU_DEP_1)
	v_lshlrev_b64 v[6:7], v6, v[9:10]
	v_and_b32_e32 v6, 7, v6
; %bb.1806:                             ;   in Loop: Header=BB464_1567 Depth=1
	s_or_b32 exec_lo, exec_lo, s15
	v_lshlrev_b32_e32 v7, 24, v100
	s_delay_alu instid0(VALU_DEP_2) | instskip(SKIP_1) | instid1(VALU_DEP_3)
	v_lshlrev_b32_e32 v6, 20, v6
	v_lshl_add_u32 v9, v101, 23, 0x3c000000
	v_and_b32_e32 v7, 0x80000000, v7
	s_delay_alu instid0(VALU_DEP_1)
	v_or3_b32 v6, v6, v7, v9
.LBB464_1807:                           ;   in Loop: Header=BB464_1567 Depth=1
	s_or_b32 exec_lo, exec_lo, s13
.LBB464_1808:                           ;   in Loop: Header=BB464_1567 Depth=1
	s_delay_alu instid0(SALU_CYCLE_1)
	s_or_b32 exec_lo, exec_lo, s12
.LBB464_1809:                           ;   in Loop: Header=BB464_1567 Depth=1
	s_delay_alu instid0(SALU_CYCLE_1) | instskip(NEXT) | instid1(VALU_DEP_1)
	s_or_b32 exec_lo, exec_lo, s9
	v_mul_f32_e32 v6, v26, v6
                                        ; implicit-def: $vgpr100
	s_delay_alu instid0(VALU_DEP_1) | instskip(NEXT) | instid1(VALU_DEP_1)
	v_and_b32_e32 v7, 0x7f800000, v6
	v_cmp_ne_u32_e64 s0, 0x7f800000, v7
	s_delay_alu instid0(VALU_DEP_1) | instskip(NEXT) | instid1(SALU_CYCLE_1)
	s_and_saveexec_b32 s9, s0
	s_xor_b32 s0, exec_lo, s9
; %bb.1810:                             ;   in Loop: Header=BB464_1567 Depth=1
	v_bfe_u32 v7, v6, 16, 1
	s_delay_alu instid0(VALU_DEP_1)
	v_add3_u32 v100, v6, v7, 0x7fff
                                        ; implicit-def: $vgpr6
; %bb.1811:                             ;   in Loop: Header=BB464_1567 Depth=1
	s_and_not1_saveexec_b32 s9, s0
; %bb.1812:                             ;   in Loop: Header=BB464_1567 Depth=1
	v_and_b32_e32 v7, 0xffff, v6
	v_or_b32_e32 v9, 0x10000, v6
	s_delay_alu instid0(VALU_DEP_2) | instskip(NEXT) | instid1(VALU_DEP_1)
	v_cmp_eq_u32_e64 s0, 0, v7
	v_cndmask_b32_e64 v100, v9, v6, s0
; %bb.1813:                             ;   in Loop: Header=BB464_1567 Depth=1
	s_or_b32 exec_lo, exec_lo, s9
	v_cmp_lt_u64_e64 s0, s[2:3], v[2:3]
	v_mov_b32_e32 v2, 0
	s_delay_alu instid0(VALU_DEP_2)
	s_and_saveexec_b32 s9, s0
	s_cbranch_execz .LBB464_1821
; %bb.1814:                             ;   in Loop: Header=BB464_1567 Depth=1
	v_lshrrev_b32_e32 v6, 24, v3
	v_bfrev_b32_e32 v2, 1
	s_mov_b32 s12, exec_lo
	s_delay_alu instid0(VALU_DEP_2)
	v_cmpx_ne_u32_e32 0x80, v6
	s_cbranch_execz .LBB464_1820
; %bb.1815:                             ;   in Loop: Header=BB464_1567 Depth=1
	v_bfe_u32 v3, v3, 24, 7
	v_mov_b32_e32 v2, 0x7f800001
	s_mov_b32 s13, exec_lo
	s_delay_alu instid0(VALU_DEP_2)
	v_cmpx_ne_u32_e32 0x7f, v3
	s_cbranch_execz .LBB464_1819
; %bb.1816:                             ;   in Loop: Header=BB464_1567 Depth=1
	v_and_b32_e32 v9, 7, v6
	v_lshrrev_b32_e32 v7, 3, v3
	v_cmp_gt_u32_e64 s0, 8, v3
	s_delay_alu instid0(VALU_DEP_3) | instskip(NEXT) | instid1(VALU_DEP_2)
	v_dual_mov_b32 v2, v9 :: v_dual_mov_b32 v3, v10
	s_and_saveexec_b32 s15, s0
; %bb.1817:                             ;   in Loop: Header=BB464_1567 Depth=1
	v_clz_i32_u32_e32 v2, v9
	s_delay_alu instid0(VALU_DEP_1) | instskip(NEXT) | instid1(VALU_DEP_1)
	v_min_u32_e32 v7, 32, v2
	v_subrev_nc_u32_e32 v2, 28, v7
	v_sub_nc_u32_e32 v7, 29, v7
	s_delay_alu instid0(VALU_DEP_2) | instskip(NEXT) | instid1(VALU_DEP_1)
	v_lshlrev_b64 v[2:3], v2, v[9:10]
	v_and_b32_e32 v2, 7, v2
; %bb.1818:                             ;   in Loop: Header=BB464_1567 Depth=1
	s_or_b32 exec_lo, exec_lo, s15
	v_lshlrev_b32_e32 v3, 24, v6
	s_delay_alu instid0(VALU_DEP_2) | instskip(SKIP_1) | instid1(VALU_DEP_3)
	v_lshlrev_b32_e32 v2, 20, v2
	v_lshl_add_u32 v6, v7, 23, 0x3c000000
	v_and_b32_e32 v3, 0x80000000, v3
	s_delay_alu instid0(VALU_DEP_1)
	v_or3_b32 v2, v2, v3, v6
.LBB464_1819:                           ;   in Loop: Header=BB464_1567 Depth=1
	s_or_b32 exec_lo, exec_lo, s13
.LBB464_1820:                           ;   in Loop: Header=BB464_1567 Depth=1
	s_delay_alu instid0(SALU_CYCLE_1)
	s_or_b32 exec_lo, exec_lo, s12
.LBB464_1821:                           ;   in Loop: Header=BB464_1567 Depth=1
	s_delay_alu instid0(SALU_CYCLE_1) | instskip(NEXT) | instid1(VALU_DEP_1)
	s_or_b32 exec_lo, exec_lo, s9
	v_mul_f32_e32 v3, v26, v2
	s_delay_alu instid0(VALU_DEP_1) | instskip(NEXT) | instid1(VALU_DEP_1)
	v_and_b32_e32 v2, 0x7f800000, v3
	v_cmp_ne_u32_e64 s0, 0x7f800000, v2
                                        ; implicit-def: $vgpr2
	s_delay_alu instid0(VALU_DEP_1) | instskip(NEXT) | instid1(SALU_CYCLE_1)
	s_and_saveexec_b32 s9, s0
	s_xor_b32 s0, exec_lo, s9
; %bb.1822:                             ;   in Loop: Header=BB464_1567 Depth=1
	v_bfe_u32 v2, v3, 16, 1
	s_delay_alu instid0(VALU_DEP_1)
	v_add3_u32 v2, v3, v2, 0x7fff
                                        ; implicit-def: $vgpr3
; %bb.1823:                             ;   in Loop: Header=BB464_1567 Depth=1
	s_and_not1_saveexec_b32 s9, s0
; %bb.1824:                             ;   in Loop: Header=BB464_1567 Depth=1
	v_and_b32_e32 v2, 0xffff, v3
	v_or_b32_e32 v6, 0x10000, v3
	s_delay_alu instid0(VALU_DEP_2) | instskip(NEXT) | instid1(VALU_DEP_1)
	v_cmp_eq_u32_e64 s0, 0, v2
	v_cndmask_b32_e64 v2, v6, v3, s0
; %bb.1825:                             ;   in Loop: Header=BB464_1567 Depth=1
	s_or_b32 exec_lo, exec_lo, s9
	v_lshrrev_b32_e32 v6, 16, v99
	v_lshrrev_b32_e32 v7, 16, v35
	;; [unrolled: 1-line block ×8, first 2 shown]
	s_and_saveexec_b32 s9, vcc_lo
	s_cbranch_execz .LBB464_1827
; %bb.1826:                             ;   in Loop: Header=BB464_1567 Depth=1
	v_cmp_lt_i32_e64 s0, v68, v36
	s_delay_alu instid0(VALU_DEP_1) | instskip(SKIP_1) | instid1(VALU_DEP_1)
	v_cndmask_b32_e64 v4, 0, v4, s0
	v_cmp_lt_i32_e64 s0, v82, v36
	v_cndmask_b32_e64 v5, 0, v5, s0
	v_cmp_lt_i32_e64 s0, v81, v36
	s_delay_alu instid0(VALU_DEP_1) | instskip(SKIP_1) | instid1(VALU_DEP_1)
	v_cndmask_b32_e64 v23, 0, v23, s0
	v_cmp_lt_i32_e64 s0, v80, v36
	v_cndmask_b32_e64 v9, 0, v9, s0
	;; [unrolled: 5-line block ×4, first 2 shown]
.LBB464_1827:                           ;   in Loop: Header=BB464_1567 Depth=1
	s_or_b32 exec_lo, exec_lo, s9
	v_lshlrev_b32_e32 v4, 16, v4
                                        ; implicit-def: $vgpr99
	s_delay_alu instid0(VALU_DEP_1) | instskip(NEXT) | instid1(VALU_DEP_1)
	v_mul_f32_e32 v4, v83, v4
	v_and_b32_e32 v34, 0x7f800000, v4
	s_delay_alu instid0(VALU_DEP_1) | instskip(NEXT) | instid1(VALU_DEP_1)
	v_cmp_ne_u32_e64 s0, 0x7f800000, v34
	s_and_saveexec_b32 s9, s0
	s_delay_alu instid0(SALU_CYCLE_1)
	s_xor_b32 s0, exec_lo, s9
; %bb.1828:                             ;   in Loop: Header=BB464_1567 Depth=1
	v_bfe_u32 v34, v4, 16, 1
	s_delay_alu instid0(VALU_DEP_1)
	v_add3_u32 v99, v4, v34, 0x7fff
                                        ; implicit-def: $vgpr4
; %bb.1829:                             ;   in Loop: Header=BB464_1567 Depth=1
	s_and_not1_saveexec_b32 s9, s0
; %bb.1830:                             ;   in Loop: Header=BB464_1567 Depth=1
	v_and_b32_e32 v34, 0xffff, v4
	v_or_b32_e32 v35, 0x10000, v4
	s_delay_alu instid0(VALU_DEP_2) | instskip(NEXT) | instid1(VALU_DEP_1)
	v_cmp_eq_u32_e64 s0, 0, v34
	v_cndmask_b32_e64 v99, v35, v4, s0
; %bb.1831:                             ;   in Loop: Header=BB464_1567 Depth=1
	s_or_b32 exec_lo, exec_lo, s9
	v_lshlrev_b32_e32 v4, 16, v5
                                        ; implicit-def: $vgpr100
	s_delay_alu instid0(VALU_DEP_1) | instskip(NEXT) | instid1(VALU_DEP_1)
	v_mul_f32_e32 v4, v84, v4
	v_and_b32_e32 v5, 0x7f800000, v4
	s_delay_alu instid0(VALU_DEP_1) | instskip(NEXT) | instid1(VALU_DEP_1)
	v_cmp_ne_u32_e64 s0, 0x7f800000, v5
	s_and_saveexec_b32 s9, s0
	s_delay_alu instid0(SALU_CYCLE_1)
	s_xor_b32 s0, exec_lo, s9
; %bb.1832:                             ;   in Loop: Header=BB464_1567 Depth=1
	v_bfe_u32 v5, v4, 16, 1
	s_delay_alu instid0(VALU_DEP_1)
	v_add3_u32 v100, v4, v5, 0x7fff
                                        ; implicit-def: $vgpr4
; %bb.1833:                             ;   in Loop: Header=BB464_1567 Depth=1
	s_and_not1_saveexec_b32 s9, s0
; %bb.1834:                             ;   in Loop: Header=BB464_1567 Depth=1
	v_and_b32_e32 v5, 0xffff, v4
	v_or_b32_e32 v34, 0x10000, v4
	s_delay_alu instid0(VALU_DEP_2) | instskip(NEXT) | instid1(VALU_DEP_1)
	v_cmp_eq_u32_e64 s0, 0, v5
	v_cndmask_b32_e64 v100, v34, v4, s0
; %bb.1835:                             ;   in Loop: Header=BB464_1567 Depth=1
	s_or_b32 exec_lo, exec_lo, s9
	v_lshlrev_b32_e32 v4, 16, v23
                                        ; implicit-def: $vgpr101
	s_delay_alu instid0(VALU_DEP_1) | instskip(NEXT) | instid1(VALU_DEP_1)
	v_mul_f32_e32 v4, v85, v4
	v_and_b32_e32 v5, 0x7f800000, v4
	s_delay_alu instid0(VALU_DEP_1) | instskip(NEXT) | instid1(VALU_DEP_1)
	v_cmp_ne_u32_e64 s0, 0x7f800000, v5
	s_and_saveexec_b32 s9, s0
	s_delay_alu instid0(SALU_CYCLE_1)
	s_xor_b32 s0, exec_lo, s9
; %bb.1836:                             ;   in Loop: Header=BB464_1567 Depth=1
	v_bfe_u32 v5, v4, 16, 1
	s_delay_alu instid0(VALU_DEP_1)
	v_add3_u32 v101, v4, v5, 0x7fff
                                        ; implicit-def: $vgpr4
; %bb.1837:                             ;   in Loop: Header=BB464_1567 Depth=1
	s_and_not1_saveexec_b32 s9, s0
; %bb.1838:                             ;   in Loop: Header=BB464_1567 Depth=1
	v_and_b32_e32 v5, 0xffff, v4
	v_or_b32_e32 v23, 0x10000, v4
	s_delay_alu instid0(VALU_DEP_2) | instskip(NEXT) | instid1(VALU_DEP_1)
	v_cmp_eq_u32_e64 s0, 0, v5
	v_cndmask_b32_e64 v101, v23, v4, s0
; %bb.1839:                             ;   in Loop: Header=BB464_1567 Depth=1
	s_or_b32 exec_lo, exec_lo, s9
	v_lshlrev_b32_e32 v4, 16, v9
                                        ; implicit-def: $vgpr102
	s_delay_alu instid0(VALU_DEP_1) | instskip(NEXT) | instid1(VALU_DEP_1)
	v_mul_f32_e32 v4, v86, v4
	v_and_b32_e32 v5, 0x7f800000, v4
	s_delay_alu instid0(VALU_DEP_1) | instskip(NEXT) | instid1(VALU_DEP_1)
	v_cmp_ne_u32_e64 s0, 0x7f800000, v5
	s_and_saveexec_b32 s9, s0
	s_delay_alu instid0(SALU_CYCLE_1)
	s_xor_b32 s0, exec_lo, s9
; %bb.1840:                             ;   in Loop: Header=BB464_1567 Depth=1
	v_bfe_u32 v5, v4, 16, 1
	s_delay_alu instid0(VALU_DEP_1)
	v_add3_u32 v102, v4, v5, 0x7fff
                                        ; implicit-def: $vgpr4
; %bb.1841:                             ;   in Loop: Header=BB464_1567 Depth=1
	s_and_not1_saveexec_b32 s9, s0
; %bb.1842:                             ;   in Loop: Header=BB464_1567 Depth=1
	v_and_b32_e32 v5, 0xffff, v4
	v_or_b32_e32 v9, 0x10000, v4
	s_delay_alu instid0(VALU_DEP_2) | instskip(NEXT) | instid1(VALU_DEP_1)
	v_cmp_eq_u32_e64 s0, 0, v5
	v_cndmask_b32_e64 v102, v9, v4, s0
; %bb.1843:                             ;   in Loop: Header=BB464_1567 Depth=1
	s_or_b32 exec_lo, exec_lo, s9
	v_lshlrev_b32_e32 v4, 16, v7
                                        ; implicit-def: $vgpr103
	s_delay_alu instid0(VALU_DEP_1) | instskip(NEXT) | instid1(VALU_DEP_1)
	v_mul_f32_e32 v4, v87, v4
	v_and_b32_e32 v5, 0x7f800000, v4
	s_delay_alu instid0(VALU_DEP_1) | instskip(NEXT) | instid1(VALU_DEP_1)
	v_cmp_ne_u32_e64 s0, 0x7f800000, v5
	s_and_saveexec_b32 s9, s0
	s_delay_alu instid0(SALU_CYCLE_1)
	s_xor_b32 s0, exec_lo, s9
; %bb.1844:                             ;   in Loop: Header=BB464_1567 Depth=1
	v_bfe_u32 v5, v4, 16, 1
	s_delay_alu instid0(VALU_DEP_1)
	v_add3_u32 v103, v4, v5, 0x7fff
                                        ; implicit-def: $vgpr4
; %bb.1845:                             ;   in Loop: Header=BB464_1567 Depth=1
	s_and_not1_saveexec_b32 s9, s0
; %bb.1846:                             ;   in Loop: Header=BB464_1567 Depth=1
	v_and_b32_e32 v5, 0xffff, v4
	v_or_b32_e32 v7, 0x10000, v4
	s_delay_alu instid0(VALU_DEP_2) | instskip(NEXT) | instid1(VALU_DEP_1)
	v_cmp_eq_u32_e64 s0, 0, v5
	v_cndmask_b32_e64 v103, v7, v4, s0
; %bb.1847:                             ;   in Loop: Header=BB464_1567 Depth=1
	s_or_b32 exec_lo, exec_lo, s9
	v_lshlrev_b32_e32 v4, 16, v6
                                        ; implicit-def: $vgpr112
	s_delay_alu instid0(VALU_DEP_1) | instskip(NEXT) | instid1(VALU_DEP_1)
	v_mul_f32_e32 v4, v96, v4
	v_and_b32_e32 v5, 0x7f800000, v4
	s_delay_alu instid0(VALU_DEP_1) | instskip(NEXT) | instid1(VALU_DEP_1)
	v_cmp_ne_u32_e64 s0, 0x7f800000, v5
	s_and_saveexec_b32 s9, s0
	s_delay_alu instid0(SALU_CYCLE_1)
	s_xor_b32 s0, exec_lo, s9
; %bb.1848:                             ;   in Loop: Header=BB464_1567 Depth=1
	v_bfe_u32 v5, v4, 16, 1
	s_delay_alu instid0(VALU_DEP_1)
	v_add3_u32 v112, v4, v5, 0x7fff
                                        ; implicit-def: $vgpr4
; %bb.1849:                             ;   in Loop: Header=BB464_1567 Depth=1
	s_and_not1_saveexec_b32 s9, s0
; %bb.1850:                             ;   in Loop: Header=BB464_1567 Depth=1
	v_and_b32_e32 v5, 0xffff, v4
	v_or_b32_e32 v6, 0x10000, v4
	s_delay_alu instid0(VALU_DEP_2) | instskip(NEXT) | instid1(VALU_DEP_1)
	v_cmp_eq_u32_e64 s0, 0, v5
	v_cndmask_b32_e64 v112, v6, v4, s0
; %bb.1851:                             ;   in Loop: Header=BB464_1567 Depth=1
	s_or_b32 exec_lo, exec_lo, s9
	v_lshlrev_b32_e32 v3, 16, v3
                                        ; implicit-def: $vgpr113
	s_delay_alu instid0(VALU_DEP_1) | instskip(NEXT) | instid1(VALU_DEP_1)
	v_mul_f32_e32 v3, v97, v3
	v_and_b32_e32 v4, 0x7f800000, v3
	s_delay_alu instid0(VALU_DEP_1) | instskip(NEXT) | instid1(VALU_DEP_1)
	v_cmp_ne_u32_e64 s0, 0x7f800000, v4
	s_and_saveexec_b32 s9, s0
	s_delay_alu instid0(SALU_CYCLE_1)
	s_xor_b32 s0, exec_lo, s9
; %bb.1852:                             ;   in Loop: Header=BB464_1567 Depth=1
	v_bfe_u32 v4, v3, 16, 1
	s_delay_alu instid0(VALU_DEP_1)
	v_add3_u32 v113, v3, v4, 0x7fff
                                        ; implicit-def: $vgpr3
; %bb.1853:                             ;   in Loop: Header=BB464_1567 Depth=1
	s_and_not1_saveexec_b32 s9, s0
; %bb.1854:                             ;   in Loop: Header=BB464_1567 Depth=1
	v_and_b32_e32 v4, 0xffff, v3
	v_or_b32_e32 v5, 0x10000, v3
	s_delay_alu instid0(VALU_DEP_2) | instskip(NEXT) | instid1(VALU_DEP_1)
	v_cmp_eq_u32_e64 s0, 0, v4
	v_cndmask_b32_e64 v113, v5, v3, s0
; %bb.1855:                             ;   in Loop: Header=BB464_1567 Depth=1
	s_or_b32 exec_lo, exec_lo, s9
	v_lshlrev_b32_e32 v2, 16, v2
                                        ; implicit-def: $vgpr114
	s_delay_alu instid0(VALU_DEP_1) | instskip(NEXT) | instid1(VALU_DEP_1)
	v_mul_f32_e32 v2, v98, v2
	v_and_b32_e32 v3, 0x7f800000, v2
	s_delay_alu instid0(VALU_DEP_1) | instskip(NEXT) | instid1(VALU_DEP_1)
	v_cmp_ne_u32_e64 s0, 0x7f800000, v3
	s_and_saveexec_b32 s9, s0
	s_delay_alu instid0(SALU_CYCLE_1)
	s_xor_b32 s0, exec_lo, s9
; %bb.1856:                             ;   in Loop: Header=BB464_1567 Depth=1
	v_bfe_u32 v3, v2, 16, 1
	s_delay_alu instid0(VALU_DEP_1)
	v_add3_u32 v114, v2, v3, 0x7fff
                                        ; implicit-def: $vgpr2
; %bb.1857:                             ;   in Loop: Header=BB464_1567 Depth=1
	s_and_not1_saveexec_b32 s9, s0
; %bb.1858:                             ;   in Loop: Header=BB464_1567 Depth=1
	v_and_b32_e32 v3, 0xffff, v2
	v_or_b32_e32 v4, 0x10000, v2
	s_delay_alu instid0(VALU_DEP_2) | instskip(NEXT) | instid1(VALU_DEP_1)
	v_cmp_eq_u32_e64 s0, 0, v3
	v_cndmask_b32_e64 v114, v4, v2, s0
; %bb.1859:                             ;   in Loop: Header=BB464_1567 Depth=1
	s_or_b32 exec_lo, exec_lo, s9
	flat_load_b64 v[2:3], v[0:1] offset:512
	s_mov_b32 s9, exec_lo
	s_waitcnt vmcnt(0) lgkmcnt(0)
	v_dual_mov_b32 v4, 0 :: v_dual_and_b32 v5, 0xff, v2
	s_delay_alu instid0(VALU_DEP_1)
	v_cmpx_ne_u16_e32 0, v5
	s_cbranch_execz .LBB464_1867
; %bb.1860:                             ;   in Loop: Header=BB464_1567 Depth=1
	v_bfrev_b32_e32 v4, 1
	s_mov_b32 s12, exec_lo
	v_cmpx_ne_u16_e32 0x80, v5
	s_cbranch_execz .LBB464_1866
; %bb.1861:                             ;   in Loop: Header=BB464_1567 Depth=1
	v_and_b32_e32 v5, 0x7f, v2
	v_mov_b32_e32 v4, 0x7f800001
	s_mov_b32 s13, exec_lo
	s_delay_alu instid0(VALU_DEP_2)
	v_cmpx_ne_u32_e32 0x7f, v5
	s_cbranch_execz .LBB464_1865
; %bb.1862:                             ;   in Loop: Header=BB464_1567 Depth=1
	v_lshrrev_b32_e32 v4, 3, v5
	v_dual_mov_b32 v7, v3 :: v_dual_mov_b32 v6, v2
	s_mov_b32 s15, exec_lo
	v_cmpx_gt_u32_e32 8, v5
; %bb.1863:                             ;   in Loop: Header=BB464_1567 Depth=1
	v_and_b32_e32 v4, 7, v2
	s_delay_alu instid0(VALU_DEP_1) | instskip(NEXT) | instid1(VALU_DEP_1)
	v_clz_i32_u32_e32 v4, v4
	v_min_u32_e32 v4, 32, v4
	s_delay_alu instid0(VALU_DEP_1) | instskip(SKIP_1) | instid1(VALU_DEP_2)
	v_subrev_nc_u32_e32 v5, 28, v4
	v_sub_nc_u32_e32 v4, 29, v4
	v_lshlrev_b64 v[6:7], v5, v[2:3]
; %bb.1864:                             ;   in Loop: Header=BB464_1567 Depth=1
	s_or_b32 exec_lo, exec_lo, s15
	s_delay_alu instid0(VALU_DEP_1) | instskip(SKIP_2) | instid1(VALU_DEP_3)
	v_lshlrev_b32_e32 v5, 20, v6
	v_lshlrev_b32_e32 v6, 24, v2
	v_lshl_add_u32 v4, v4, 23, 0x3c000000
	v_and_b32_e32 v5, 0x700000, v5
	s_delay_alu instid0(VALU_DEP_3) | instskip(NEXT) | instid1(VALU_DEP_1)
	v_and_b32_e32 v6, 0x80000000, v6
	v_or3_b32 v4, v5, v6, v4
.LBB464_1865:                           ;   in Loop: Header=BB464_1567 Depth=1
	s_or_b32 exec_lo, exec_lo, s13
.LBB464_1866:                           ;   in Loop: Header=BB464_1567 Depth=1
	s_delay_alu instid0(SALU_CYCLE_1)
	s_or_b32 exec_lo, exec_lo, s12
.LBB464_1867:                           ;   in Loop: Header=BB464_1567 Depth=1
	s_delay_alu instid0(SALU_CYCLE_1) | instskip(NEXT) | instid1(VALU_DEP_1)
	s_or_b32 exec_lo, exec_lo, s9
	v_mul_f32_e32 v5, v26, v4
	s_delay_alu instid0(VALU_DEP_1) | instskip(NEXT) | instid1(VALU_DEP_1)
	v_and_b32_e32 v4, 0x7f800000, v5
	v_cmp_ne_u32_e64 s0, 0x7f800000, v4
                                        ; implicit-def: $vgpr4
	s_delay_alu instid0(VALU_DEP_1) | instskip(NEXT) | instid1(SALU_CYCLE_1)
	s_and_saveexec_b32 s9, s0
	s_xor_b32 s0, exec_lo, s9
; %bb.1868:                             ;   in Loop: Header=BB464_1567 Depth=1
	v_bfe_u32 v4, v5, 16, 1
	s_delay_alu instid0(VALU_DEP_1)
	v_add3_u32 v4, v5, v4, 0x7fff
                                        ; implicit-def: $vgpr5
; %bb.1869:                             ;   in Loop: Header=BB464_1567 Depth=1
	s_and_not1_saveexec_b32 s9, s0
; %bb.1870:                             ;   in Loop: Header=BB464_1567 Depth=1
	v_and_b32_e32 v4, 0xffff, v5
	v_or_b32_e32 v6, 0x10000, v5
	s_delay_alu instid0(VALU_DEP_2) | instskip(NEXT) | instid1(VALU_DEP_1)
	v_cmp_eq_u32_e64 s0, 0, v4
	v_cndmask_b32_e64 v4, v6, v5, s0
; %bb.1871:                             ;   in Loop: Header=BB464_1567 Depth=1
	s_or_b32 exec_lo, exec_lo, s9
	v_lshrrev_b16 v6, 8, v2
	v_mov_b32_e32 v5, 0
	s_mov_b32 s9, exec_lo
	s_delay_alu instid0(VALU_DEP_2)
	v_cmpx_ne_u16_e32 0, v6
	s_cbranch_execz .LBB464_1879
; %bb.1872:                             ;   in Loop: Header=BB464_1567 Depth=1
	v_bfrev_b32_e32 v5, 1
	s_mov_b32 s12, exec_lo
	v_cmpx_ne_u16_e32 0x80, v6
	s_cbranch_execz .LBB464_1878
; %bb.1873:                             ;   in Loop: Header=BB464_1567 Depth=1
	v_and_b32_e32 v7, 0xffff, v6
	v_mov_b32_e32 v5, 0x7f800001
	s_mov_b32 s13, exec_lo
	s_delay_alu instid0(VALU_DEP_2) | instskip(NEXT) | instid1(VALU_DEP_1)
	v_and_b32_e32 v6, 0x7f, v7
	v_cmpx_ne_u32_e32 0x7f, v6
	s_cbranch_execz .LBB464_1877
; %bb.1874:                             ;   in Loop: Header=BB464_1567 Depth=1
	v_and_b32_e32 v9, 7, v7
	v_lshrrev_b32_e32 v5, 3, v6
	v_cmp_gt_u32_e64 s0, 8, v6
	s_delay_alu instid0(VALU_DEP_3) | instskip(NEXT) | instid1(VALU_DEP_2)
	v_dual_mov_b32 v6, v9 :: v_dual_mov_b32 v7, v10
	s_and_saveexec_b32 s15, s0
; %bb.1875:                             ;   in Loop: Header=BB464_1567 Depth=1
	v_clz_i32_u32_e32 v5, v9
	s_delay_alu instid0(VALU_DEP_1) | instskip(NEXT) | instid1(VALU_DEP_1)
	v_min_u32_e32 v5, 32, v5
	v_subrev_nc_u32_e32 v6, 28, v5
	v_sub_nc_u32_e32 v5, 29, v5
	s_delay_alu instid0(VALU_DEP_2) | instskip(NEXT) | instid1(VALU_DEP_1)
	v_lshlrev_b64 v[6:7], v6, v[9:10]
	v_and_b32_e32 v6, 7, v6
; %bb.1876:                             ;   in Loop: Header=BB464_1567 Depth=1
	s_or_b32 exec_lo, exec_lo, s15
	v_lshlrev_b32_e32 v7, 16, v2
	s_delay_alu instid0(VALU_DEP_2) | instskip(SKIP_1) | instid1(VALU_DEP_3)
	v_lshlrev_b32_e32 v6, 20, v6
	v_lshl_add_u32 v5, v5, 23, 0x3c000000
	v_and_b32_e32 v7, 0x80000000, v7
	s_delay_alu instid0(VALU_DEP_1)
	v_or3_b32 v5, v6, v7, v5
.LBB464_1877:                           ;   in Loop: Header=BB464_1567 Depth=1
	s_or_b32 exec_lo, exec_lo, s13
.LBB464_1878:                           ;   in Loop: Header=BB464_1567 Depth=1
	s_delay_alu instid0(SALU_CYCLE_1)
	s_or_b32 exec_lo, exec_lo, s12
.LBB464_1879:                           ;   in Loop: Header=BB464_1567 Depth=1
	s_delay_alu instid0(SALU_CYCLE_1) | instskip(NEXT) | instid1(VALU_DEP_1)
	s_or_b32 exec_lo, exec_lo, s9
	v_mul_f32_e32 v6, v26, v5
	s_delay_alu instid0(VALU_DEP_1) | instskip(NEXT) | instid1(VALU_DEP_1)
	v_and_b32_e32 v5, 0x7f800000, v6
	v_cmp_ne_u32_e64 s0, 0x7f800000, v5
                                        ; implicit-def: $vgpr5
	s_delay_alu instid0(VALU_DEP_1) | instskip(NEXT) | instid1(SALU_CYCLE_1)
	s_and_saveexec_b32 s9, s0
	s_xor_b32 s0, exec_lo, s9
; %bb.1880:                             ;   in Loop: Header=BB464_1567 Depth=1
	v_bfe_u32 v5, v6, 16, 1
	s_delay_alu instid0(VALU_DEP_1)
	v_add3_u32 v5, v6, v5, 0x7fff
                                        ; implicit-def: $vgpr6
; %bb.1881:                             ;   in Loop: Header=BB464_1567 Depth=1
	s_and_not1_saveexec_b32 s9, s0
; %bb.1882:                             ;   in Loop: Header=BB464_1567 Depth=1
	v_and_b32_e32 v5, 0xffff, v6
	v_or_b32_e32 v7, 0x10000, v6
	s_delay_alu instid0(VALU_DEP_2) | instskip(NEXT) | instid1(VALU_DEP_1)
	v_cmp_eq_u32_e64 s0, 0, v5
	v_cndmask_b32_e64 v5, v7, v6, s0
; %bb.1883:                             ;   in Loop: Header=BB464_1567 Depth=1
	s_or_b32 exec_lo, exec_lo, s9
	v_lshrrev_b32_e32 v23, 16, v2
	s_mov_b32 s9, exec_lo
	s_delay_alu instid0(VALU_DEP_1) | instskip(NEXT) | instid1(VALU_DEP_1)
	v_dual_mov_b32 v6, 0 :: v_dual_and_b32 v7, 0xff, v23
	v_cmpx_ne_u16_e32 0, v7
	s_cbranch_execz .LBB464_1891
; %bb.1884:                             ;   in Loop: Header=BB464_1567 Depth=1
	v_bfrev_b32_e32 v6, 1
	s_mov_b32 s12, exec_lo
	v_cmpx_ne_u16_e32 0x80, v7
	s_cbranch_execz .LBB464_1890
; %bb.1885:                             ;   in Loop: Header=BB464_1567 Depth=1
	v_bfe_u32 v7, v2, 16, 7
	v_mov_b32_e32 v6, 0x7f800001
	s_mov_b32 s13, exec_lo
	s_delay_alu instid0(VALU_DEP_2)
	v_cmpx_ne_u32_e32 0x7f, v7
	s_cbranch_execz .LBB464_1889
; %bb.1886:                             ;   in Loop: Header=BB464_1567 Depth=1
	v_and_b32_e32 v9, 7, v23
	v_lshrrev_b32_e32 v34, 3, v7
	v_cmp_gt_u32_e64 s0, 8, v7
	s_delay_alu instid0(VALU_DEP_3) | instskip(NEXT) | instid1(VALU_DEP_2)
	v_dual_mov_b32 v6, v9 :: v_dual_mov_b32 v7, v10
	s_and_saveexec_b32 s15, s0
; %bb.1887:                             ;   in Loop: Header=BB464_1567 Depth=1
	v_clz_i32_u32_e32 v6, v9
	s_delay_alu instid0(VALU_DEP_1) | instskip(NEXT) | instid1(VALU_DEP_1)
	v_min_u32_e32 v34, 32, v6
	v_subrev_nc_u32_e32 v6, 28, v34
	v_sub_nc_u32_e32 v34, 29, v34
	s_delay_alu instid0(VALU_DEP_2) | instskip(NEXT) | instid1(VALU_DEP_1)
	v_lshlrev_b64 v[6:7], v6, v[9:10]
	v_and_b32_e32 v6, 7, v6
; %bb.1888:                             ;   in Loop: Header=BB464_1567 Depth=1
	s_or_b32 exec_lo, exec_lo, s15
	v_lshlrev_b32_e32 v7, 24, v23
	s_delay_alu instid0(VALU_DEP_2) | instskip(SKIP_1) | instid1(VALU_DEP_3)
	v_lshlrev_b32_e32 v6, 20, v6
	v_lshl_add_u32 v9, v34, 23, 0x3c000000
	v_and_b32_e32 v7, 0x80000000, v7
	s_delay_alu instid0(VALU_DEP_1)
	v_or3_b32 v6, v6, v7, v9
.LBB464_1889:                           ;   in Loop: Header=BB464_1567 Depth=1
	s_or_b32 exec_lo, exec_lo, s13
.LBB464_1890:                           ;   in Loop: Header=BB464_1567 Depth=1
	s_delay_alu instid0(SALU_CYCLE_1)
	s_or_b32 exec_lo, exec_lo, s12
.LBB464_1891:                           ;   in Loop: Header=BB464_1567 Depth=1
	s_delay_alu instid0(SALU_CYCLE_1) | instskip(NEXT) | instid1(VALU_DEP_1)
	s_or_b32 exec_lo, exec_lo, s9
	v_mul_f32_e32 v6, v26, v6
                                        ; implicit-def: $vgpr23
	s_delay_alu instid0(VALU_DEP_1) | instskip(NEXT) | instid1(VALU_DEP_1)
	v_and_b32_e32 v7, 0x7f800000, v6
	v_cmp_ne_u32_e64 s0, 0x7f800000, v7
	s_delay_alu instid0(VALU_DEP_1) | instskip(NEXT) | instid1(SALU_CYCLE_1)
	s_and_saveexec_b32 s9, s0
	s_xor_b32 s0, exec_lo, s9
; %bb.1892:                             ;   in Loop: Header=BB464_1567 Depth=1
	v_bfe_u32 v7, v6, 16, 1
	s_delay_alu instid0(VALU_DEP_1)
	v_add3_u32 v23, v6, v7, 0x7fff
                                        ; implicit-def: $vgpr6
; %bb.1893:                             ;   in Loop: Header=BB464_1567 Depth=1
	s_and_not1_saveexec_b32 s9, s0
; %bb.1894:                             ;   in Loop: Header=BB464_1567 Depth=1
	v_and_b32_e32 v7, 0xffff, v6
	v_or_b32_e32 v9, 0x10000, v6
	s_delay_alu instid0(VALU_DEP_2) | instskip(NEXT) | instid1(VALU_DEP_1)
	v_cmp_eq_u32_e64 s0, 0, v7
	v_cndmask_b32_e64 v23, v9, v6, s0
; %bb.1895:                             ;   in Loop: Header=BB464_1567 Depth=1
	s_or_b32 exec_lo, exec_lo, s9
	v_mov_b32_e32 v6, 0
	s_mov_b32 s9, exec_lo
	v_cmpx_lt_u32_e32 0xffffff, v2
	s_cbranch_execz .LBB464_1903
; %bb.1896:                             ;   in Loop: Header=BB464_1567 Depth=1
	v_lshrrev_b32_e32 v34, 24, v2
	v_bfrev_b32_e32 v6, 1
	s_mov_b32 s12, exec_lo
	s_delay_alu instid0(VALU_DEP_2)
	v_cmpx_ne_u32_e32 0x80, v34
	s_cbranch_execz .LBB464_1902
; %bb.1897:                             ;   in Loop: Header=BB464_1567 Depth=1
	v_bfe_u32 v7, v2, 24, 7
	v_mov_b32_e32 v6, 0x7f800001
	s_mov_b32 s13, exec_lo
	s_delay_alu instid0(VALU_DEP_2)
	v_cmpx_ne_u32_e32 0x7f, v7
	s_cbranch_execz .LBB464_1901
; %bb.1898:                             ;   in Loop: Header=BB464_1567 Depth=1
	v_and_b32_e32 v9, 7, v34
	v_lshrrev_b32_e32 v35, 3, v7
	v_cmp_gt_u32_e64 s0, 8, v7
	s_delay_alu instid0(VALU_DEP_3) | instskip(NEXT) | instid1(VALU_DEP_2)
	v_dual_mov_b32 v6, v9 :: v_dual_mov_b32 v7, v10
	s_and_saveexec_b32 s15, s0
; %bb.1899:                             ;   in Loop: Header=BB464_1567 Depth=1
	v_clz_i32_u32_e32 v6, v9
	s_delay_alu instid0(VALU_DEP_1) | instskip(NEXT) | instid1(VALU_DEP_1)
	v_min_u32_e32 v35, 32, v6
	v_subrev_nc_u32_e32 v6, 28, v35
	v_sub_nc_u32_e32 v35, 29, v35
	s_delay_alu instid0(VALU_DEP_2) | instskip(NEXT) | instid1(VALU_DEP_1)
	v_lshlrev_b64 v[6:7], v6, v[9:10]
	v_and_b32_e32 v6, 7, v6
; %bb.1900:                             ;   in Loop: Header=BB464_1567 Depth=1
	s_or_b32 exec_lo, exec_lo, s15
	v_lshlrev_b32_e32 v7, 24, v34
	s_delay_alu instid0(VALU_DEP_2) | instskip(SKIP_1) | instid1(VALU_DEP_3)
	v_lshlrev_b32_e32 v6, 20, v6
	v_lshl_add_u32 v9, v35, 23, 0x3c000000
	v_and_b32_e32 v7, 0x80000000, v7
	s_delay_alu instid0(VALU_DEP_1)
	v_or3_b32 v6, v6, v7, v9
.LBB464_1901:                           ;   in Loop: Header=BB464_1567 Depth=1
	s_or_b32 exec_lo, exec_lo, s13
.LBB464_1902:                           ;   in Loop: Header=BB464_1567 Depth=1
	s_delay_alu instid0(SALU_CYCLE_1)
	s_or_b32 exec_lo, exec_lo, s12
.LBB464_1903:                           ;   in Loop: Header=BB464_1567 Depth=1
	s_delay_alu instid0(SALU_CYCLE_1) | instskip(NEXT) | instid1(VALU_DEP_1)
	s_or_b32 exec_lo, exec_lo, s9
	v_mul_f32_e32 v6, v26, v6
                                        ; implicit-def: $vgpr34
	s_delay_alu instid0(VALU_DEP_1) | instskip(NEXT) | instid1(VALU_DEP_1)
	v_and_b32_e32 v7, 0x7f800000, v6
	v_cmp_ne_u32_e64 s0, 0x7f800000, v7
	s_delay_alu instid0(VALU_DEP_1) | instskip(NEXT) | instid1(SALU_CYCLE_1)
	s_and_saveexec_b32 s9, s0
	s_xor_b32 s0, exec_lo, s9
; %bb.1904:                             ;   in Loop: Header=BB464_1567 Depth=1
	v_bfe_u32 v7, v6, 16, 1
	s_delay_alu instid0(VALU_DEP_1)
	v_add3_u32 v34, v6, v7, 0x7fff
                                        ; implicit-def: $vgpr6
; %bb.1905:                             ;   in Loop: Header=BB464_1567 Depth=1
	s_and_not1_saveexec_b32 s9, s0
; %bb.1906:                             ;   in Loop: Header=BB464_1567 Depth=1
	v_and_b32_e32 v7, 0xffff, v6
	v_or_b32_e32 v9, 0x10000, v6
	s_delay_alu instid0(VALU_DEP_2) | instskip(NEXT) | instid1(VALU_DEP_1)
	v_cmp_eq_u32_e64 s0, 0, v7
	v_cndmask_b32_e64 v34, v9, v6, s0
; %bb.1907:                             ;   in Loop: Header=BB464_1567 Depth=1
	s_or_b32 exec_lo, exec_lo, s9
	v_dual_mov_b32 v6, 0 :: v_dual_and_b32 v7, 0xff, v3
	v_mov_b32_e32 v9, v3
	s_mov_b32 s9, exec_lo
	s_delay_alu instid0(VALU_DEP_2)
	v_cmpx_ne_u16_e32 0, v7
	s_cbranch_execz .LBB464_1915
; %bb.1908:                             ;   in Loop: Header=BB464_1567 Depth=1
	v_bfrev_b32_e32 v6, 1
	s_mov_b32 s12, exec_lo
	v_cmpx_ne_u16_e32 0x80, v7
	s_cbranch_execz .LBB464_1914
; %bb.1909:                             ;   in Loop: Header=BB464_1567 Depth=1
	v_and_b32_e32 v7, 0x7f, v3
	v_mov_b32_e32 v6, 0x7f800001
	s_mov_b32 s13, exec_lo
	s_delay_alu instid0(VALU_DEP_2)
	v_cmpx_ne_u32_e32 0x7f, v7
	s_cbranch_execz .LBB464_1913
; %bb.1910:                             ;   in Loop: Header=BB464_1567 Depth=1
	v_lshrrev_b32_e32 v35, 3, v7
	v_cmp_gt_u32_e64 s0, 8, v7
	v_dual_mov_b32 v6, v9 :: v_dual_mov_b32 v7, v10
	s_delay_alu instid0(VALU_DEP_2)
	s_and_saveexec_b32 s15, s0
; %bb.1911:                             ;   in Loop: Header=BB464_1567 Depth=1
	v_and_b32_e32 v6, 7, v3
	s_delay_alu instid0(VALU_DEP_1) | instskip(NEXT) | instid1(VALU_DEP_1)
	v_clz_i32_u32_e32 v6, v6
	v_min_u32_e32 v35, 32, v6
	s_delay_alu instid0(VALU_DEP_1) | instskip(SKIP_1) | instid1(VALU_DEP_2)
	v_subrev_nc_u32_e32 v6, 28, v35
	v_sub_nc_u32_e32 v35, 29, v35
	v_lshlrev_b64 v[6:7], v6, v[9:10]
; %bb.1912:                             ;   in Loop: Header=BB464_1567 Depth=1
	s_or_b32 exec_lo, exec_lo, s15
	s_delay_alu instid0(VALU_DEP_1) | instskip(SKIP_2) | instid1(VALU_DEP_3)
	v_lshlrev_b32_e32 v6, 20, v6
	v_lshlrev_b32_e32 v7, 24, v9
	v_lshl_add_u32 v35, v35, 23, 0x3c000000
	v_and_b32_e32 v6, 0x700000, v6
	s_delay_alu instid0(VALU_DEP_3) | instskip(NEXT) | instid1(VALU_DEP_1)
	v_and_b32_e32 v7, 0x80000000, v7
	v_or3_b32 v6, v6, v7, v35
.LBB464_1913:                           ;   in Loop: Header=BB464_1567 Depth=1
	s_or_b32 exec_lo, exec_lo, s13
.LBB464_1914:                           ;   in Loop: Header=BB464_1567 Depth=1
	s_delay_alu instid0(SALU_CYCLE_1)
	s_or_b32 exec_lo, exec_lo, s12
.LBB464_1915:                           ;   in Loop: Header=BB464_1567 Depth=1
	s_delay_alu instid0(SALU_CYCLE_1) | instskip(NEXT) | instid1(VALU_DEP_1)
	s_or_b32 exec_lo, exec_lo, s9
	v_mul_f32_e32 v6, v26, v6
                                        ; implicit-def: $vgpr35
	s_delay_alu instid0(VALU_DEP_1) | instskip(NEXT) | instid1(VALU_DEP_1)
	v_and_b32_e32 v7, 0x7f800000, v6
	v_cmp_ne_u32_e64 s0, 0x7f800000, v7
	s_delay_alu instid0(VALU_DEP_1) | instskip(NEXT) | instid1(SALU_CYCLE_1)
	s_and_saveexec_b32 s9, s0
	s_xor_b32 s0, exec_lo, s9
; %bb.1916:                             ;   in Loop: Header=BB464_1567 Depth=1
	v_bfe_u32 v7, v6, 16, 1
	s_delay_alu instid0(VALU_DEP_1)
	v_add3_u32 v35, v6, v7, 0x7fff
                                        ; implicit-def: $vgpr6
; %bb.1917:                             ;   in Loop: Header=BB464_1567 Depth=1
	s_and_not1_saveexec_b32 s9, s0
; %bb.1918:                             ;   in Loop: Header=BB464_1567 Depth=1
	v_and_b32_e32 v7, 0xffff, v6
	v_or_b32_e32 v35, 0x10000, v6
	s_delay_alu instid0(VALU_DEP_2) | instskip(NEXT) | instid1(VALU_DEP_1)
	v_cmp_eq_u32_e64 s0, 0, v7
	v_cndmask_b32_e64 v35, v35, v6, s0
; %bb.1919:                             ;   in Loop: Header=BB464_1567 Depth=1
	s_or_b32 exec_lo, exec_lo, s9
	v_lshrrev_b16 v7, 8, v9
	v_mov_b32_e32 v6, 0
	s_mov_b32 s9, exec_lo
	s_delay_alu instid0(VALU_DEP_2)
	v_cmpx_ne_u16_e32 0, v7
	s_cbranch_execz .LBB464_1927
; %bb.1920:                             ;   in Loop: Header=BB464_1567 Depth=1
	v_bfrev_b32_e32 v6, 1
	s_mov_b32 s12, exec_lo
	v_cmpx_ne_u16_e32 0x80, v7
	s_cbranch_execz .LBB464_1926
; %bb.1921:                             ;   in Loop: Header=BB464_1567 Depth=1
	v_and_b32_e32 v7, 0xffff, v7
	v_mov_b32_e32 v6, 0x7f800001
	s_mov_b32 s13, exec_lo
	s_delay_alu instid0(VALU_DEP_2) | instskip(NEXT) | instid1(VALU_DEP_1)
	v_and_b32_e32 v116, 0x7f, v7
	v_cmpx_ne_u32_e32 0x7f, v116
	s_cbranch_execz .LBB464_1925
; %bb.1922:                             ;   in Loop: Header=BB464_1567 Depth=1
	v_dual_mov_b32 v7, v10 :: v_dual_and_b32 v6, 7, v7
	v_lshrrev_b32_e32 v115, 3, v116
	s_mov_b32 s15, exec_lo
	v_cmpx_gt_u32_e32 8, v116
; %bb.1923:                             ;   in Loop: Header=BB464_1567 Depth=1
	s_delay_alu instid0(VALU_DEP_3) | instskip(NEXT) | instid1(VALU_DEP_1)
	v_clz_i32_u32_e32 v115, v6
	v_min_u32_e32 v115, 32, v115
	s_delay_alu instid0(VALU_DEP_1) | instskip(SKIP_1) | instid1(VALU_DEP_2)
	v_subrev_nc_u32_e32 v116, 28, v115
	v_sub_nc_u32_e32 v115, 29, v115
	v_lshlrev_b64 v[6:7], v116, v[6:7]
	s_delay_alu instid0(VALU_DEP_1)
	v_and_b32_e32 v6, 7, v6
; %bb.1924:                             ;   in Loop: Header=BB464_1567 Depth=1
	s_or_b32 exec_lo, exec_lo, s15
	v_lshlrev_b32_e32 v7, 16, v9
	s_delay_alu instid0(VALU_DEP_2) | instskip(SKIP_1) | instid1(VALU_DEP_3)
	v_lshlrev_b32_e32 v6, 20, v6
	v_lshl_add_u32 v9, v115, 23, 0x3c000000
	v_and_b32_e32 v7, 0x80000000, v7
	s_delay_alu instid0(VALU_DEP_1)
	v_or3_b32 v6, v6, v7, v9
.LBB464_1925:                           ;   in Loop: Header=BB464_1567 Depth=1
	s_or_b32 exec_lo, exec_lo, s13
.LBB464_1926:                           ;   in Loop: Header=BB464_1567 Depth=1
	s_delay_alu instid0(SALU_CYCLE_1)
	s_or_b32 exec_lo, exec_lo, s12
.LBB464_1927:                           ;   in Loop: Header=BB464_1567 Depth=1
	s_delay_alu instid0(SALU_CYCLE_1) | instskip(NEXT) | instid1(VALU_DEP_1)
	s_or_b32 exec_lo, exec_lo, s9
	v_mul_f32_e32 v6, v26, v6
                                        ; implicit-def: $vgpr115
	s_delay_alu instid0(VALU_DEP_1) | instskip(NEXT) | instid1(VALU_DEP_1)
	v_and_b32_e32 v7, 0x7f800000, v6
	v_cmp_ne_u32_e64 s0, 0x7f800000, v7
	s_delay_alu instid0(VALU_DEP_1) | instskip(NEXT) | instid1(SALU_CYCLE_1)
	s_and_saveexec_b32 s9, s0
	s_xor_b32 s0, exec_lo, s9
; %bb.1928:                             ;   in Loop: Header=BB464_1567 Depth=1
	v_bfe_u32 v7, v6, 16, 1
	s_delay_alu instid0(VALU_DEP_1)
	v_add3_u32 v115, v6, v7, 0x7fff
                                        ; implicit-def: $vgpr6
; %bb.1929:                             ;   in Loop: Header=BB464_1567 Depth=1
	s_and_not1_saveexec_b32 s9, s0
; %bb.1930:                             ;   in Loop: Header=BB464_1567 Depth=1
	v_and_b32_e32 v7, 0xffff, v6
	v_or_b32_e32 v9, 0x10000, v6
	s_delay_alu instid0(VALU_DEP_2) | instskip(NEXT) | instid1(VALU_DEP_1)
	v_cmp_eq_u32_e64 s0, 0, v7
	v_cndmask_b32_e64 v115, v9, v6, s0
; %bb.1931:                             ;   in Loop: Header=BB464_1567 Depth=1
	s_or_b32 exec_lo, exec_lo, s9
	v_lshrrev_b32_e32 v116, 16, v3
	s_mov_b32 s9, exec_lo
	s_delay_alu instid0(VALU_DEP_1) | instskip(NEXT) | instid1(VALU_DEP_1)
	v_dual_mov_b32 v6, 0 :: v_dual_and_b32 v7, 0xff, v116
	v_cmpx_ne_u16_e32 0, v7
	s_cbranch_execz .LBB464_1939
; %bb.1932:                             ;   in Loop: Header=BB464_1567 Depth=1
	v_bfrev_b32_e32 v6, 1
	s_mov_b32 s12, exec_lo
	v_cmpx_ne_u16_e32 0x80, v7
	s_cbranch_execz .LBB464_1938
; %bb.1933:                             ;   in Loop: Header=BB464_1567 Depth=1
	v_bfe_u32 v7, v3, 16, 7
	v_mov_b32_e32 v6, 0x7f800001
	s_mov_b32 s13, exec_lo
	s_delay_alu instid0(VALU_DEP_2)
	v_cmpx_ne_u32_e32 0x7f, v7
	s_cbranch_execz .LBB464_1937
; %bb.1934:                             ;   in Loop: Header=BB464_1567 Depth=1
	v_and_b32_e32 v9, 7, v116
	v_lshrrev_b32_e32 v117, 3, v7
	v_cmp_gt_u32_e64 s0, 8, v7
	s_delay_alu instid0(VALU_DEP_3) | instskip(NEXT) | instid1(VALU_DEP_2)
	v_dual_mov_b32 v6, v9 :: v_dual_mov_b32 v7, v10
	s_and_saveexec_b32 s15, s0
; %bb.1935:                             ;   in Loop: Header=BB464_1567 Depth=1
	v_clz_i32_u32_e32 v6, v9
	s_delay_alu instid0(VALU_DEP_1) | instskip(NEXT) | instid1(VALU_DEP_1)
	v_min_u32_e32 v117, 32, v6
	v_subrev_nc_u32_e32 v6, 28, v117
	v_sub_nc_u32_e32 v117, 29, v117
	s_delay_alu instid0(VALU_DEP_2) | instskip(NEXT) | instid1(VALU_DEP_1)
	v_lshlrev_b64 v[6:7], v6, v[9:10]
	v_and_b32_e32 v6, 7, v6
; %bb.1936:                             ;   in Loop: Header=BB464_1567 Depth=1
	s_or_b32 exec_lo, exec_lo, s15
	v_lshlrev_b32_e32 v7, 24, v116
	s_delay_alu instid0(VALU_DEP_2) | instskip(SKIP_1) | instid1(VALU_DEP_3)
	v_lshlrev_b32_e32 v6, 20, v6
	v_lshl_add_u32 v9, v117, 23, 0x3c000000
	v_and_b32_e32 v7, 0x80000000, v7
	s_delay_alu instid0(VALU_DEP_1)
	v_or3_b32 v6, v6, v7, v9
.LBB464_1937:                           ;   in Loop: Header=BB464_1567 Depth=1
	s_or_b32 exec_lo, exec_lo, s13
.LBB464_1938:                           ;   in Loop: Header=BB464_1567 Depth=1
	s_delay_alu instid0(SALU_CYCLE_1)
	s_or_b32 exec_lo, exec_lo, s12
.LBB464_1939:                           ;   in Loop: Header=BB464_1567 Depth=1
	s_delay_alu instid0(SALU_CYCLE_1) | instskip(NEXT) | instid1(VALU_DEP_1)
	s_or_b32 exec_lo, exec_lo, s9
	v_mul_f32_e32 v6, v26, v6
                                        ; implicit-def: $vgpr116
	s_delay_alu instid0(VALU_DEP_1) | instskip(NEXT) | instid1(VALU_DEP_1)
	v_and_b32_e32 v7, 0x7f800000, v6
	v_cmp_ne_u32_e64 s0, 0x7f800000, v7
	s_delay_alu instid0(VALU_DEP_1) | instskip(NEXT) | instid1(SALU_CYCLE_1)
	s_and_saveexec_b32 s9, s0
	s_xor_b32 s0, exec_lo, s9
; %bb.1940:                             ;   in Loop: Header=BB464_1567 Depth=1
	v_bfe_u32 v7, v6, 16, 1
	s_delay_alu instid0(VALU_DEP_1)
	v_add3_u32 v116, v6, v7, 0x7fff
                                        ; implicit-def: $vgpr6
; %bb.1941:                             ;   in Loop: Header=BB464_1567 Depth=1
	s_and_not1_saveexec_b32 s9, s0
; %bb.1942:                             ;   in Loop: Header=BB464_1567 Depth=1
	v_and_b32_e32 v7, 0xffff, v6
	v_or_b32_e32 v9, 0x10000, v6
	s_delay_alu instid0(VALU_DEP_2) | instskip(NEXT) | instid1(VALU_DEP_1)
	v_cmp_eq_u32_e64 s0, 0, v7
	v_cndmask_b32_e64 v116, v9, v6, s0
; %bb.1943:                             ;   in Loop: Header=BB464_1567 Depth=1
	s_or_b32 exec_lo, exec_lo, s9
	v_cmp_lt_u64_e64 s0, s[2:3], v[2:3]
	v_mov_b32_e32 v2, 0
	s_delay_alu instid0(VALU_DEP_2)
	s_and_saveexec_b32 s9, s0
	s_cbranch_execz .LBB464_1951
; %bb.1944:                             ;   in Loop: Header=BB464_1567 Depth=1
	v_lshrrev_b32_e32 v6, 24, v3
	v_bfrev_b32_e32 v2, 1
	s_mov_b32 s12, exec_lo
	s_delay_alu instid0(VALU_DEP_2)
	v_cmpx_ne_u32_e32 0x80, v6
	s_cbranch_execz .LBB464_1950
; %bb.1945:                             ;   in Loop: Header=BB464_1567 Depth=1
	v_bfe_u32 v3, v3, 24, 7
	v_mov_b32_e32 v2, 0x7f800001
	s_mov_b32 s13, exec_lo
	s_delay_alu instid0(VALU_DEP_2)
	v_cmpx_ne_u32_e32 0x7f, v3
	s_cbranch_execz .LBB464_1949
; %bb.1946:                             ;   in Loop: Header=BB464_1567 Depth=1
	v_and_b32_e32 v9, 7, v6
	v_lshrrev_b32_e32 v7, 3, v3
	v_cmp_gt_u32_e64 s0, 8, v3
	s_delay_alu instid0(VALU_DEP_3) | instskip(NEXT) | instid1(VALU_DEP_2)
	v_dual_mov_b32 v2, v9 :: v_dual_mov_b32 v3, v10
	s_and_saveexec_b32 s15, s0
; %bb.1947:                             ;   in Loop: Header=BB464_1567 Depth=1
	v_clz_i32_u32_e32 v2, v9
	s_delay_alu instid0(VALU_DEP_1) | instskip(NEXT) | instid1(VALU_DEP_1)
	v_min_u32_e32 v7, 32, v2
	v_subrev_nc_u32_e32 v2, 28, v7
	v_sub_nc_u32_e32 v7, 29, v7
	s_delay_alu instid0(VALU_DEP_2) | instskip(NEXT) | instid1(VALU_DEP_1)
	v_lshlrev_b64 v[2:3], v2, v[9:10]
	v_and_b32_e32 v2, 7, v2
; %bb.1948:                             ;   in Loop: Header=BB464_1567 Depth=1
	s_or_b32 exec_lo, exec_lo, s15
	v_lshlrev_b32_e32 v3, 24, v6
	s_delay_alu instid0(VALU_DEP_2) | instskip(SKIP_1) | instid1(VALU_DEP_3)
	v_lshlrev_b32_e32 v2, 20, v2
	v_lshl_add_u32 v6, v7, 23, 0x3c000000
	v_and_b32_e32 v3, 0x80000000, v3
	s_delay_alu instid0(VALU_DEP_1)
	v_or3_b32 v2, v2, v3, v6
.LBB464_1949:                           ;   in Loop: Header=BB464_1567 Depth=1
	s_or_b32 exec_lo, exec_lo, s13
.LBB464_1950:                           ;   in Loop: Header=BB464_1567 Depth=1
	s_delay_alu instid0(SALU_CYCLE_1)
	s_or_b32 exec_lo, exec_lo, s12
.LBB464_1951:                           ;   in Loop: Header=BB464_1567 Depth=1
	s_delay_alu instid0(SALU_CYCLE_1) | instskip(NEXT) | instid1(VALU_DEP_1)
	s_or_b32 exec_lo, exec_lo, s9
	v_mul_f32_e32 v3, v26, v2
	s_delay_alu instid0(VALU_DEP_1) | instskip(NEXT) | instid1(VALU_DEP_1)
	v_and_b32_e32 v2, 0x7f800000, v3
	v_cmp_ne_u32_e64 s0, 0x7f800000, v2
                                        ; implicit-def: $vgpr2
	s_delay_alu instid0(VALU_DEP_1) | instskip(NEXT) | instid1(SALU_CYCLE_1)
	s_and_saveexec_b32 s9, s0
	s_xor_b32 s0, exec_lo, s9
; %bb.1952:                             ;   in Loop: Header=BB464_1567 Depth=1
	v_bfe_u32 v2, v3, 16, 1
	s_delay_alu instid0(VALU_DEP_1)
	v_add3_u32 v2, v3, v2, 0x7fff
                                        ; implicit-def: $vgpr3
; %bb.1953:                             ;   in Loop: Header=BB464_1567 Depth=1
	s_and_not1_saveexec_b32 s9, s0
; %bb.1954:                             ;   in Loop: Header=BB464_1567 Depth=1
	v_and_b32_e32 v2, 0xffff, v3
	v_or_b32_e32 v6, 0x10000, v3
	s_delay_alu instid0(VALU_DEP_2) | instskip(NEXT) | instid1(VALU_DEP_1)
	v_cmp_eq_u32_e64 s0, 0, v2
	v_cndmask_b32_e64 v2, v6, v3, s0
; %bb.1955:                             ;   in Loop: Header=BB464_1567 Depth=1
	s_or_b32 exec_lo, exec_lo, s9
	v_lshrrev_b32_e32 v6, 16, v115
	v_lshrrev_b32_e32 v7, 16, v35
	;; [unrolled: 1-line block ×8, first 2 shown]
	s_and_saveexec_b32 s9, vcc_lo
	s_cbranch_execz .LBB464_1957
; %bb.1956:                             ;   in Loop: Header=BB464_1567 Depth=1
	v_cmp_lt_i32_e64 s0, v68, v36
	s_delay_alu instid0(VALU_DEP_1) | instskip(SKIP_1) | instid1(VALU_DEP_1)
	v_cndmask_b32_e64 v4, 0, v4, s0
	v_cmp_lt_i32_e64 s0, v82, v36
	v_cndmask_b32_e64 v5, 0, v5, s0
	v_cmp_lt_i32_e64 s0, v81, v36
	s_delay_alu instid0(VALU_DEP_1) | instskip(SKIP_1) | instid1(VALU_DEP_1)
	v_cndmask_b32_e64 v23, 0, v23, s0
	v_cmp_lt_i32_e64 s0, v80, v36
	v_cndmask_b32_e64 v9, 0, v9, s0
	;; [unrolled: 5-line block ×4, first 2 shown]
.LBB464_1957:                           ;   in Loop: Header=BB464_1567 Depth=1
	s_or_b32 exec_lo, exec_lo, s9
	v_lshlrev_b32_e32 v4, 16, v4
                                        ; implicit-def: $vgpr115
	s_delay_alu instid0(VALU_DEP_1) | instskip(NEXT) | instid1(VALU_DEP_1)
	v_mul_f32_e32 v4, v83, v4
	v_and_b32_e32 v34, 0x7f800000, v4
	s_delay_alu instid0(VALU_DEP_1) | instskip(NEXT) | instid1(VALU_DEP_1)
	v_cmp_ne_u32_e64 s0, 0x7f800000, v34
	s_and_saveexec_b32 s9, s0
	s_delay_alu instid0(SALU_CYCLE_1)
	s_xor_b32 s0, exec_lo, s9
; %bb.1958:                             ;   in Loop: Header=BB464_1567 Depth=1
	v_bfe_u32 v34, v4, 16, 1
	s_delay_alu instid0(VALU_DEP_1)
	v_add3_u32 v115, v4, v34, 0x7fff
                                        ; implicit-def: $vgpr4
; %bb.1959:                             ;   in Loop: Header=BB464_1567 Depth=1
	s_and_not1_saveexec_b32 s9, s0
; %bb.1960:                             ;   in Loop: Header=BB464_1567 Depth=1
	v_and_b32_e32 v34, 0xffff, v4
	v_or_b32_e32 v35, 0x10000, v4
	s_delay_alu instid0(VALU_DEP_2) | instskip(NEXT) | instid1(VALU_DEP_1)
	v_cmp_eq_u32_e64 s0, 0, v34
	v_cndmask_b32_e64 v115, v35, v4, s0
; %bb.1961:                             ;   in Loop: Header=BB464_1567 Depth=1
	s_or_b32 exec_lo, exec_lo, s9
	v_lshlrev_b32_e32 v4, 16, v5
                                        ; implicit-def: $vgpr116
	s_delay_alu instid0(VALU_DEP_1) | instskip(NEXT) | instid1(VALU_DEP_1)
	v_mul_f32_e32 v4, v84, v4
	v_and_b32_e32 v5, 0x7f800000, v4
	s_delay_alu instid0(VALU_DEP_1) | instskip(NEXT) | instid1(VALU_DEP_1)
	v_cmp_ne_u32_e64 s0, 0x7f800000, v5
	s_and_saveexec_b32 s9, s0
	s_delay_alu instid0(SALU_CYCLE_1)
	s_xor_b32 s0, exec_lo, s9
; %bb.1962:                             ;   in Loop: Header=BB464_1567 Depth=1
	v_bfe_u32 v5, v4, 16, 1
	s_delay_alu instid0(VALU_DEP_1)
	v_add3_u32 v116, v4, v5, 0x7fff
                                        ; implicit-def: $vgpr4
; %bb.1963:                             ;   in Loop: Header=BB464_1567 Depth=1
	s_and_not1_saveexec_b32 s9, s0
; %bb.1964:                             ;   in Loop: Header=BB464_1567 Depth=1
	v_and_b32_e32 v5, 0xffff, v4
	v_or_b32_e32 v34, 0x10000, v4
	s_delay_alu instid0(VALU_DEP_2) | instskip(NEXT) | instid1(VALU_DEP_1)
	v_cmp_eq_u32_e64 s0, 0, v5
	v_cndmask_b32_e64 v116, v34, v4, s0
; %bb.1965:                             ;   in Loop: Header=BB464_1567 Depth=1
	s_or_b32 exec_lo, exec_lo, s9
	v_lshlrev_b32_e32 v4, 16, v23
                                        ; implicit-def: $vgpr117
	s_delay_alu instid0(VALU_DEP_1) | instskip(NEXT) | instid1(VALU_DEP_1)
	v_mul_f32_e32 v4, v85, v4
	v_and_b32_e32 v5, 0x7f800000, v4
	s_delay_alu instid0(VALU_DEP_1) | instskip(NEXT) | instid1(VALU_DEP_1)
	v_cmp_ne_u32_e64 s0, 0x7f800000, v5
	s_and_saveexec_b32 s9, s0
	s_delay_alu instid0(SALU_CYCLE_1)
	s_xor_b32 s0, exec_lo, s9
; %bb.1966:                             ;   in Loop: Header=BB464_1567 Depth=1
	v_bfe_u32 v5, v4, 16, 1
	s_delay_alu instid0(VALU_DEP_1)
	v_add3_u32 v117, v4, v5, 0x7fff
                                        ; implicit-def: $vgpr4
; %bb.1967:                             ;   in Loop: Header=BB464_1567 Depth=1
	s_and_not1_saveexec_b32 s9, s0
; %bb.1968:                             ;   in Loop: Header=BB464_1567 Depth=1
	v_and_b32_e32 v5, 0xffff, v4
	v_or_b32_e32 v23, 0x10000, v4
	s_delay_alu instid0(VALU_DEP_2) | instskip(NEXT) | instid1(VALU_DEP_1)
	v_cmp_eq_u32_e64 s0, 0, v5
	v_cndmask_b32_e64 v117, v23, v4, s0
; %bb.1969:                             ;   in Loop: Header=BB464_1567 Depth=1
	s_or_b32 exec_lo, exec_lo, s9
	v_lshlrev_b32_e32 v4, 16, v9
                                        ; implicit-def: $vgpr118
	s_delay_alu instid0(VALU_DEP_1) | instskip(NEXT) | instid1(VALU_DEP_1)
	v_mul_f32_e32 v4, v86, v4
	v_and_b32_e32 v5, 0x7f800000, v4
	s_delay_alu instid0(VALU_DEP_1) | instskip(NEXT) | instid1(VALU_DEP_1)
	v_cmp_ne_u32_e64 s0, 0x7f800000, v5
	s_and_saveexec_b32 s9, s0
	s_delay_alu instid0(SALU_CYCLE_1)
	s_xor_b32 s0, exec_lo, s9
; %bb.1970:                             ;   in Loop: Header=BB464_1567 Depth=1
	v_bfe_u32 v5, v4, 16, 1
	s_delay_alu instid0(VALU_DEP_1)
	v_add3_u32 v118, v4, v5, 0x7fff
                                        ; implicit-def: $vgpr4
; %bb.1971:                             ;   in Loop: Header=BB464_1567 Depth=1
	s_and_not1_saveexec_b32 s9, s0
; %bb.1972:                             ;   in Loop: Header=BB464_1567 Depth=1
	v_and_b32_e32 v5, 0xffff, v4
	v_or_b32_e32 v9, 0x10000, v4
	s_delay_alu instid0(VALU_DEP_2) | instskip(NEXT) | instid1(VALU_DEP_1)
	v_cmp_eq_u32_e64 s0, 0, v5
	v_cndmask_b32_e64 v118, v9, v4, s0
; %bb.1973:                             ;   in Loop: Header=BB464_1567 Depth=1
	s_or_b32 exec_lo, exec_lo, s9
	v_lshlrev_b32_e32 v4, 16, v7
                                        ; implicit-def: $vgpr119
	s_delay_alu instid0(VALU_DEP_1) | instskip(NEXT) | instid1(VALU_DEP_1)
	v_mul_f32_e32 v4, v87, v4
	v_and_b32_e32 v5, 0x7f800000, v4
	s_delay_alu instid0(VALU_DEP_1) | instskip(NEXT) | instid1(VALU_DEP_1)
	v_cmp_ne_u32_e64 s0, 0x7f800000, v5
	s_and_saveexec_b32 s9, s0
	s_delay_alu instid0(SALU_CYCLE_1)
	s_xor_b32 s0, exec_lo, s9
; %bb.1974:                             ;   in Loop: Header=BB464_1567 Depth=1
	v_bfe_u32 v5, v4, 16, 1
	s_delay_alu instid0(VALU_DEP_1)
	v_add3_u32 v119, v4, v5, 0x7fff
                                        ; implicit-def: $vgpr4
; %bb.1975:                             ;   in Loop: Header=BB464_1567 Depth=1
	s_and_not1_saveexec_b32 s9, s0
; %bb.1976:                             ;   in Loop: Header=BB464_1567 Depth=1
	v_and_b32_e32 v5, 0xffff, v4
	v_or_b32_e32 v7, 0x10000, v4
	s_delay_alu instid0(VALU_DEP_2) | instskip(NEXT) | instid1(VALU_DEP_1)
	v_cmp_eq_u32_e64 s0, 0, v5
	v_cndmask_b32_e64 v119, v7, v4, s0
; %bb.1977:                             ;   in Loop: Header=BB464_1567 Depth=1
	s_or_b32 exec_lo, exec_lo, s9
	v_lshlrev_b32_e32 v4, 16, v6
                                        ; implicit-def: $vgpr128
	s_delay_alu instid0(VALU_DEP_1) | instskip(NEXT) | instid1(VALU_DEP_1)
	v_mul_f32_e32 v4, v96, v4
	v_and_b32_e32 v5, 0x7f800000, v4
	s_delay_alu instid0(VALU_DEP_1) | instskip(NEXT) | instid1(VALU_DEP_1)
	v_cmp_ne_u32_e64 s0, 0x7f800000, v5
	s_and_saveexec_b32 s9, s0
	s_delay_alu instid0(SALU_CYCLE_1)
	s_xor_b32 s0, exec_lo, s9
; %bb.1978:                             ;   in Loop: Header=BB464_1567 Depth=1
	v_bfe_u32 v5, v4, 16, 1
	s_delay_alu instid0(VALU_DEP_1)
	v_add3_u32 v128, v4, v5, 0x7fff
                                        ; implicit-def: $vgpr4
; %bb.1979:                             ;   in Loop: Header=BB464_1567 Depth=1
	s_and_not1_saveexec_b32 s9, s0
; %bb.1980:                             ;   in Loop: Header=BB464_1567 Depth=1
	v_and_b32_e32 v5, 0xffff, v4
	v_or_b32_e32 v6, 0x10000, v4
	s_delay_alu instid0(VALU_DEP_2) | instskip(NEXT) | instid1(VALU_DEP_1)
	v_cmp_eq_u32_e64 s0, 0, v5
	v_cndmask_b32_e64 v128, v6, v4, s0
; %bb.1981:                             ;   in Loop: Header=BB464_1567 Depth=1
	s_or_b32 exec_lo, exec_lo, s9
	v_lshlrev_b32_e32 v3, 16, v3
                                        ; implicit-def: $vgpr129
	s_delay_alu instid0(VALU_DEP_1) | instskip(NEXT) | instid1(VALU_DEP_1)
	v_mul_f32_e32 v3, v97, v3
	v_and_b32_e32 v4, 0x7f800000, v3
	s_delay_alu instid0(VALU_DEP_1) | instskip(NEXT) | instid1(VALU_DEP_1)
	v_cmp_ne_u32_e64 s0, 0x7f800000, v4
	s_and_saveexec_b32 s9, s0
	s_delay_alu instid0(SALU_CYCLE_1)
	s_xor_b32 s0, exec_lo, s9
; %bb.1982:                             ;   in Loop: Header=BB464_1567 Depth=1
	v_bfe_u32 v4, v3, 16, 1
	s_delay_alu instid0(VALU_DEP_1)
	v_add3_u32 v129, v3, v4, 0x7fff
                                        ; implicit-def: $vgpr3
; %bb.1983:                             ;   in Loop: Header=BB464_1567 Depth=1
	s_and_not1_saveexec_b32 s9, s0
; %bb.1984:                             ;   in Loop: Header=BB464_1567 Depth=1
	v_and_b32_e32 v4, 0xffff, v3
	v_or_b32_e32 v5, 0x10000, v3
	s_delay_alu instid0(VALU_DEP_2) | instskip(NEXT) | instid1(VALU_DEP_1)
	v_cmp_eq_u32_e64 s0, 0, v4
	v_cndmask_b32_e64 v129, v5, v3, s0
; %bb.1985:                             ;   in Loop: Header=BB464_1567 Depth=1
	s_or_b32 exec_lo, exec_lo, s9
	v_lshlrev_b32_e32 v2, 16, v2
                                        ; implicit-def: $vgpr130
	s_delay_alu instid0(VALU_DEP_1) | instskip(NEXT) | instid1(VALU_DEP_1)
	v_mul_f32_e32 v2, v98, v2
	v_and_b32_e32 v3, 0x7f800000, v2
	s_delay_alu instid0(VALU_DEP_1) | instskip(NEXT) | instid1(VALU_DEP_1)
	v_cmp_ne_u32_e64 s0, 0x7f800000, v3
	s_and_saveexec_b32 s9, s0
	s_delay_alu instid0(SALU_CYCLE_1)
	s_xor_b32 s0, exec_lo, s9
; %bb.1986:                             ;   in Loop: Header=BB464_1567 Depth=1
	v_bfe_u32 v3, v2, 16, 1
	s_delay_alu instid0(VALU_DEP_1)
	v_add3_u32 v130, v2, v3, 0x7fff
                                        ; implicit-def: $vgpr2
; %bb.1987:                             ;   in Loop: Header=BB464_1567 Depth=1
	s_and_not1_saveexec_b32 s9, s0
; %bb.1988:                             ;   in Loop: Header=BB464_1567 Depth=1
	v_and_b32_e32 v3, 0xffff, v2
	v_or_b32_e32 v4, 0x10000, v2
	s_delay_alu instid0(VALU_DEP_2) | instskip(NEXT) | instid1(VALU_DEP_1)
	v_cmp_eq_u32_e64 s0, 0, v3
	v_cndmask_b32_e64 v130, v4, v2, s0
; %bb.1989:                             ;   in Loop: Header=BB464_1567 Depth=1
	s_or_b32 exec_lo, exec_lo, s9
	flat_load_b64 v[2:3], v[0:1] offset:768
	s_mov_b32 s9, exec_lo
	s_waitcnt vmcnt(0) lgkmcnt(0)
	v_dual_mov_b32 v4, 0 :: v_dual_and_b32 v5, 0xff, v2
	s_delay_alu instid0(VALU_DEP_1)
	v_cmpx_ne_u16_e32 0, v5
	s_cbranch_execz .LBB464_1997
; %bb.1990:                             ;   in Loop: Header=BB464_1567 Depth=1
	v_bfrev_b32_e32 v4, 1
	s_mov_b32 s12, exec_lo
	v_cmpx_ne_u16_e32 0x80, v5
	s_cbranch_execz .LBB464_1996
; %bb.1991:                             ;   in Loop: Header=BB464_1567 Depth=1
	v_and_b32_e32 v5, 0x7f, v2
	v_mov_b32_e32 v4, 0x7f800001
	s_mov_b32 s13, exec_lo
	s_delay_alu instid0(VALU_DEP_2)
	v_cmpx_ne_u32_e32 0x7f, v5
	s_cbranch_execz .LBB464_1995
; %bb.1992:                             ;   in Loop: Header=BB464_1567 Depth=1
	v_lshrrev_b32_e32 v4, 3, v5
	v_dual_mov_b32 v7, v3 :: v_dual_mov_b32 v6, v2
	s_mov_b32 s15, exec_lo
	v_cmpx_gt_u32_e32 8, v5
; %bb.1993:                             ;   in Loop: Header=BB464_1567 Depth=1
	v_and_b32_e32 v4, 7, v2
	s_delay_alu instid0(VALU_DEP_1) | instskip(NEXT) | instid1(VALU_DEP_1)
	v_clz_i32_u32_e32 v4, v4
	v_min_u32_e32 v4, 32, v4
	s_delay_alu instid0(VALU_DEP_1) | instskip(SKIP_1) | instid1(VALU_DEP_2)
	v_subrev_nc_u32_e32 v5, 28, v4
	v_sub_nc_u32_e32 v4, 29, v4
	v_lshlrev_b64 v[6:7], v5, v[2:3]
; %bb.1994:                             ;   in Loop: Header=BB464_1567 Depth=1
	s_or_b32 exec_lo, exec_lo, s15
	s_delay_alu instid0(VALU_DEP_1) | instskip(SKIP_2) | instid1(VALU_DEP_3)
	v_lshlrev_b32_e32 v5, 20, v6
	v_lshlrev_b32_e32 v6, 24, v2
	v_lshl_add_u32 v4, v4, 23, 0x3c000000
	v_and_b32_e32 v5, 0x700000, v5
	s_delay_alu instid0(VALU_DEP_3) | instskip(NEXT) | instid1(VALU_DEP_1)
	v_and_b32_e32 v6, 0x80000000, v6
	v_or3_b32 v4, v5, v6, v4
.LBB464_1995:                           ;   in Loop: Header=BB464_1567 Depth=1
	s_or_b32 exec_lo, exec_lo, s13
.LBB464_1996:                           ;   in Loop: Header=BB464_1567 Depth=1
	s_delay_alu instid0(SALU_CYCLE_1)
	s_or_b32 exec_lo, exec_lo, s12
.LBB464_1997:                           ;   in Loop: Header=BB464_1567 Depth=1
	s_delay_alu instid0(SALU_CYCLE_1) | instskip(NEXT) | instid1(VALU_DEP_1)
	s_or_b32 exec_lo, exec_lo, s9
	v_mul_f32_e32 v5, v26, v4
	s_delay_alu instid0(VALU_DEP_1) | instskip(NEXT) | instid1(VALU_DEP_1)
	v_and_b32_e32 v4, 0x7f800000, v5
	v_cmp_ne_u32_e64 s0, 0x7f800000, v4
                                        ; implicit-def: $vgpr4
	s_delay_alu instid0(VALU_DEP_1) | instskip(NEXT) | instid1(SALU_CYCLE_1)
	s_and_saveexec_b32 s9, s0
	s_xor_b32 s0, exec_lo, s9
; %bb.1998:                             ;   in Loop: Header=BB464_1567 Depth=1
	v_bfe_u32 v4, v5, 16, 1
	s_delay_alu instid0(VALU_DEP_1)
	v_add3_u32 v4, v5, v4, 0x7fff
                                        ; implicit-def: $vgpr5
; %bb.1999:                             ;   in Loop: Header=BB464_1567 Depth=1
	s_and_not1_saveexec_b32 s9, s0
; %bb.2000:                             ;   in Loop: Header=BB464_1567 Depth=1
	v_and_b32_e32 v4, 0xffff, v5
	v_or_b32_e32 v6, 0x10000, v5
	s_delay_alu instid0(VALU_DEP_2) | instskip(NEXT) | instid1(VALU_DEP_1)
	v_cmp_eq_u32_e64 s0, 0, v4
	v_cndmask_b32_e64 v4, v6, v5, s0
; %bb.2001:                             ;   in Loop: Header=BB464_1567 Depth=1
	s_or_b32 exec_lo, exec_lo, s9
	v_lshrrev_b16 v6, 8, v2
	v_mov_b32_e32 v5, 0
	s_mov_b32 s9, exec_lo
	s_delay_alu instid0(VALU_DEP_2)
	v_cmpx_ne_u16_e32 0, v6
	s_cbranch_execz .LBB464_2009
; %bb.2002:                             ;   in Loop: Header=BB464_1567 Depth=1
	v_bfrev_b32_e32 v5, 1
	s_mov_b32 s12, exec_lo
	v_cmpx_ne_u16_e32 0x80, v6
	s_cbranch_execz .LBB464_2008
; %bb.2003:                             ;   in Loop: Header=BB464_1567 Depth=1
	v_and_b32_e32 v7, 0xffff, v6
	v_mov_b32_e32 v5, 0x7f800001
	s_mov_b32 s13, exec_lo
	s_delay_alu instid0(VALU_DEP_2) | instskip(NEXT) | instid1(VALU_DEP_1)
	v_and_b32_e32 v6, 0x7f, v7
	v_cmpx_ne_u32_e32 0x7f, v6
	s_cbranch_execz .LBB464_2007
; %bb.2004:                             ;   in Loop: Header=BB464_1567 Depth=1
	v_and_b32_e32 v9, 7, v7
	v_lshrrev_b32_e32 v5, 3, v6
	v_cmp_gt_u32_e64 s0, 8, v6
	s_delay_alu instid0(VALU_DEP_3) | instskip(NEXT) | instid1(VALU_DEP_2)
	v_dual_mov_b32 v6, v9 :: v_dual_mov_b32 v7, v10
	s_and_saveexec_b32 s15, s0
; %bb.2005:                             ;   in Loop: Header=BB464_1567 Depth=1
	v_clz_i32_u32_e32 v5, v9
	s_delay_alu instid0(VALU_DEP_1) | instskip(NEXT) | instid1(VALU_DEP_1)
	v_min_u32_e32 v5, 32, v5
	v_subrev_nc_u32_e32 v6, 28, v5
	v_sub_nc_u32_e32 v5, 29, v5
	s_delay_alu instid0(VALU_DEP_2) | instskip(NEXT) | instid1(VALU_DEP_1)
	v_lshlrev_b64 v[6:7], v6, v[9:10]
	v_and_b32_e32 v6, 7, v6
; %bb.2006:                             ;   in Loop: Header=BB464_1567 Depth=1
	s_or_b32 exec_lo, exec_lo, s15
	v_lshlrev_b32_e32 v7, 16, v2
	s_delay_alu instid0(VALU_DEP_2) | instskip(SKIP_1) | instid1(VALU_DEP_3)
	v_lshlrev_b32_e32 v6, 20, v6
	v_lshl_add_u32 v5, v5, 23, 0x3c000000
	v_and_b32_e32 v7, 0x80000000, v7
	s_delay_alu instid0(VALU_DEP_1)
	v_or3_b32 v5, v6, v7, v5
.LBB464_2007:                           ;   in Loop: Header=BB464_1567 Depth=1
	s_or_b32 exec_lo, exec_lo, s13
.LBB464_2008:                           ;   in Loop: Header=BB464_1567 Depth=1
	s_delay_alu instid0(SALU_CYCLE_1)
	s_or_b32 exec_lo, exec_lo, s12
.LBB464_2009:                           ;   in Loop: Header=BB464_1567 Depth=1
	s_delay_alu instid0(SALU_CYCLE_1) | instskip(NEXT) | instid1(VALU_DEP_1)
	s_or_b32 exec_lo, exec_lo, s9
	v_mul_f32_e32 v6, v26, v5
	s_delay_alu instid0(VALU_DEP_1) | instskip(NEXT) | instid1(VALU_DEP_1)
	v_and_b32_e32 v5, 0x7f800000, v6
	v_cmp_ne_u32_e64 s0, 0x7f800000, v5
                                        ; implicit-def: $vgpr5
	s_delay_alu instid0(VALU_DEP_1) | instskip(NEXT) | instid1(SALU_CYCLE_1)
	s_and_saveexec_b32 s9, s0
	s_xor_b32 s0, exec_lo, s9
; %bb.2010:                             ;   in Loop: Header=BB464_1567 Depth=1
	v_bfe_u32 v5, v6, 16, 1
	s_delay_alu instid0(VALU_DEP_1)
	v_add3_u32 v5, v6, v5, 0x7fff
                                        ; implicit-def: $vgpr6
; %bb.2011:                             ;   in Loop: Header=BB464_1567 Depth=1
	s_and_not1_saveexec_b32 s9, s0
; %bb.2012:                             ;   in Loop: Header=BB464_1567 Depth=1
	v_and_b32_e32 v5, 0xffff, v6
	v_or_b32_e32 v7, 0x10000, v6
	s_delay_alu instid0(VALU_DEP_2) | instskip(NEXT) | instid1(VALU_DEP_1)
	v_cmp_eq_u32_e64 s0, 0, v5
	v_cndmask_b32_e64 v5, v7, v6, s0
; %bb.2013:                             ;   in Loop: Header=BB464_1567 Depth=1
	s_or_b32 exec_lo, exec_lo, s9
	v_lshrrev_b32_e32 v23, 16, v2
	s_mov_b32 s9, exec_lo
	s_delay_alu instid0(VALU_DEP_1) | instskip(NEXT) | instid1(VALU_DEP_1)
	v_dual_mov_b32 v6, 0 :: v_dual_and_b32 v7, 0xff, v23
	v_cmpx_ne_u16_e32 0, v7
	s_cbranch_execz .LBB464_2021
; %bb.2014:                             ;   in Loop: Header=BB464_1567 Depth=1
	v_bfrev_b32_e32 v6, 1
	s_mov_b32 s12, exec_lo
	v_cmpx_ne_u16_e32 0x80, v7
	s_cbranch_execz .LBB464_2020
; %bb.2015:                             ;   in Loop: Header=BB464_1567 Depth=1
	v_bfe_u32 v7, v2, 16, 7
	v_mov_b32_e32 v6, 0x7f800001
	s_mov_b32 s13, exec_lo
	s_delay_alu instid0(VALU_DEP_2)
	v_cmpx_ne_u32_e32 0x7f, v7
	s_cbranch_execz .LBB464_2019
; %bb.2016:                             ;   in Loop: Header=BB464_1567 Depth=1
	v_and_b32_e32 v9, 7, v23
	v_lshrrev_b32_e32 v34, 3, v7
	v_cmp_gt_u32_e64 s0, 8, v7
	s_delay_alu instid0(VALU_DEP_3) | instskip(NEXT) | instid1(VALU_DEP_2)
	v_dual_mov_b32 v6, v9 :: v_dual_mov_b32 v7, v10
	s_and_saveexec_b32 s15, s0
; %bb.2017:                             ;   in Loop: Header=BB464_1567 Depth=1
	v_clz_i32_u32_e32 v6, v9
	s_delay_alu instid0(VALU_DEP_1) | instskip(NEXT) | instid1(VALU_DEP_1)
	v_min_u32_e32 v34, 32, v6
	v_subrev_nc_u32_e32 v6, 28, v34
	v_sub_nc_u32_e32 v34, 29, v34
	s_delay_alu instid0(VALU_DEP_2) | instskip(NEXT) | instid1(VALU_DEP_1)
	v_lshlrev_b64 v[6:7], v6, v[9:10]
	v_and_b32_e32 v6, 7, v6
; %bb.2018:                             ;   in Loop: Header=BB464_1567 Depth=1
	s_or_b32 exec_lo, exec_lo, s15
	v_lshlrev_b32_e32 v7, 24, v23
	s_delay_alu instid0(VALU_DEP_2) | instskip(SKIP_1) | instid1(VALU_DEP_3)
	v_lshlrev_b32_e32 v6, 20, v6
	v_lshl_add_u32 v9, v34, 23, 0x3c000000
	v_and_b32_e32 v7, 0x80000000, v7
	s_delay_alu instid0(VALU_DEP_1)
	v_or3_b32 v6, v6, v7, v9
.LBB464_2019:                           ;   in Loop: Header=BB464_1567 Depth=1
	s_or_b32 exec_lo, exec_lo, s13
.LBB464_2020:                           ;   in Loop: Header=BB464_1567 Depth=1
	s_delay_alu instid0(SALU_CYCLE_1)
	s_or_b32 exec_lo, exec_lo, s12
.LBB464_2021:                           ;   in Loop: Header=BB464_1567 Depth=1
	s_delay_alu instid0(SALU_CYCLE_1) | instskip(NEXT) | instid1(VALU_DEP_1)
	s_or_b32 exec_lo, exec_lo, s9
	v_mul_f32_e32 v6, v26, v6
                                        ; implicit-def: $vgpr23
	s_delay_alu instid0(VALU_DEP_1) | instskip(NEXT) | instid1(VALU_DEP_1)
	v_and_b32_e32 v7, 0x7f800000, v6
	v_cmp_ne_u32_e64 s0, 0x7f800000, v7
	s_delay_alu instid0(VALU_DEP_1) | instskip(NEXT) | instid1(SALU_CYCLE_1)
	s_and_saveexec_b32 s9, s0
	s_xor_b32 s0, exec_lo, s9
; %bb.2022:                             ;   in Loop: Header=BB464_1567 Depth=1
	v_bfe_u32 v7, v6, 16, 1
	s_delay_alu instid0(VALU_DEP_1)
	v_add3_u32 v23, v6, v7, 0x7fff
                                        ; implicit-def: $vgpr6
; %bb.2023:                             ;   in Loop: Header=BB464_1567 Depth=1
	s_and_not1_saveexec_b32 s9, s0
; %bb.2024:                             ;   in Loop: Header=BB464_1567 Depth=1
	v_and_b32_e32 v7, 0xffff, v6
	v_or_b32_e32 v9, 0x10000, v6
	s_delay_alu instid0(VALU_DEP_2) | instskip(NEXT) | instid1(VALU_DEP_1)
	v_cmp_eq_u32_e64 s0, 0, v7
	v_cndmask_b32_e64 v23, v9, v6, s0
; %bb.2025:                             ;   in Loop: Header=BB464_1567 Depth=1
	s_or_b32 exec_lo, exec_lo, s9
	v_mov_b32_e32 v6, 0
	s_mov_b32 s9, exec_lo
	v_cmpx_lt_u32_e32 0xffffff, v2
	s_cbranch_execz .LBB464_2033
; %bb.2026:                             ;   in Loop: Header=BB464_1567 Depth=1
	v_lshrrev_b32_e32 v34, 24, v2
	v_bfrev_b32_e32 v6, 1
	s_mov_b32 s12, exec_lo
	s_delay_alu instid0(VALU_DEP_2)
	v_cmpx_ne_u32_e32 0x80, v34
	s_cbranch_execz .LBB464_2032
; %bb.2027:                             ;   in Loop: Header=BB464_1567 Depth=1
	v_bfe_u32 v7, v2, 24, 7
	v_mov_b32_e32 v6, 0x7f800001
	s_mov_b32 s13, exec_lo
	s_delay_alu instid0(VALU_DEP_2)
	v_cmpx_ne_u32_e32 0x7f, v7
	s_cbranch_execz .LBB464_2031
; %bb.2028:                             ;   in Loop: Header=BB464_1567 Depth=1
	v_and_b32_e32 v9, 7, v34
	v_lshrrev_b32_e32 v35, 3, v7
	v_cmp_gt_u32_e64 s0, 8, v7
	s_delay_alu instid0(VALU_DEP_3) | instskip(NEXT) | instid1(VALU_DEP_2)
	v_dual_mov_b32 v6, v9 :: v_dual_mov_b32 v7, v10
	s_and_saveexec_b32 s15, s0
; %bb.2029:                             ;   in Loop: Header=BB464_1567 Depth=1
	v_clz_i32_u32_e32 v6, v9
	s_delay_alu instid0(VALU_DEP_1) | instskip(NEXT) | instid1(VALU_DEP_1)
	v_min_u32_e32 v35, 32, v6
	v_subrev_nc_u32_e32 v6, 28, v35
	v_sub_nc_u32_e32 v35, 29, v35
	s_delay_alu instid0(VALU_DEP_2) | instskip(NEXT) | instid1(VALU_DEP_1)
	v_lshlrev_b64 v[6:7], v6, v[9:10]
	v_and_b32_e32 v6, 7, v6
; %bb.2030:                             ;   in Loop: Header=BB464_1567 Depth=1
	s_or_b32 exec_lo, exec_lo, s15
	v_lshlrev_b32_e32 v7, 24, v34
	s_delay_alu instid0(VALU_DEP_2) | instskip(SKIP_1) | instid1(VALU_DEP_3)
	v_lshlrev_b32_e32 v6, 20, v6
	v_lshl_add_u32 v9, v35, 23, 0x3c000000
	v_and_b32_e32 v7, 0x80000000, v7
	s_delay_alu instid0(VALU_DEP_1)
	v_or3_b32 v6, v6, v7, v9
.LBB464_2031:                           ;   in Loop: Header=BB464_1567 Depth=1
	s_or_b32 exec_lo, exec_lo, s13
.LBB464_2032:                           ;   in Loop: Header=BB464_1567 Depth=1
	s_delay_alu instid0(SALU_CYCLE_1)
	s_or_b32 exec_lo, exec_lo, s12
.LBB464_2033:                           ;   in Loop: Header=BB464_1567 Depth=1
	s_delay_alu instid0(SALU_CYCLE_1) | instskip(NEXT) | instid1(VALU_DEP_1)
	s_or_b32 exec_lo, exec_lo, s9
	v_mul_f32_e32 v6, v26, v6
                                        ; implicit-def: $vgpr34
	s_delay_alu instid0(VALU_DEP_1) | instskip(NEXT) | instid1(VALU_DEP_1)
	v_and_b32_e32 v7, 0x7f800000, v6
	v_cmp_ne_u32_e64 s0, 0x7f800000, v7
	s_delay_alu instid0(VALU_DEP_1) | instskip(NEXT) | instid1(SALU_CYCLE_1)
	s_and_saveexec_b32 s9, s0
	s_xor_b32 s0, exec_lo, s9
; %bb.2034:                             ;   in Loop: Header=BB464_1567 Depth=1
	v_bfe_u32 v7, v6, 16, 1
	s_delay_alu instid0(VALU_DEP_1)
	v_add3_u32 v34, v6, v7, 0x7fff
                                        ; implicit-def: $vgpr6
; %bb.2035:                             ;   in Loop: Header=BB464_1567 Depth=1
	s_and_not1_saveexec_b32 s9, s0
; %bb.2036:                             ;   in Loop: Header=BB464_1567 Depth=1
	v_and_b32_e32 v7, 0xffff, v6
	v_or_b32_e32 v9, 0x10000, v6
	s_delay_alu instid0(VALU_DEP_2) | instskip(NEXT) | instid1(VALU_DEP_1)
	v_cmp_eq_u32_e64 s0, 0, v7
	v_cndmask_b32_e64 v34, v9, v6, s0
; %bb.2037:                             ;   in Loop: Header=BB464_1567 Depth=1
	s_or_b32 exec_lo, exec_lo, s9
	v_dual_mov_b32 v6, 0 :: v_dual_and_b32 v7, 0xff, v3
	v_mov_b32_e32 v9, v3
	s_mov_b32 s9, exec_lo
	s_delay_alu instid0(VALU_DEP_2)
	v_cmpx_ne_u16_e32 0, v7
	s_cbranch_execz .LBB464_2045
; %bb.2038:                             ;   in Loop: Header=BB464_1567 Depth=1
	v_bfrev_b32_e32 v6, 1
	s_mov_b32 s12, exec_lo
	v_cmpx_ne_u16_e32 0x80, v7
	s_cbranch_execz .LBB464_2044
; %bb.2039:                             ;   in Loop: Header=BB464_1567 Depth=1
	v_and_b32_e32 v7, 0x7f, v3
	v_mov_b32_e32 v6, 0x7f800001
	s_mov_b32 s13, exec_lo
	s_delay_alu instid0(VALU_DEP_2)
	v_cmpx_ne_u32_e32 0x7f, v7
	s_cbranch_execz .LBB464_2043
; %bb.2040:                             ;   in Loop: Header=BB464_1567 Depth=1
	v_lshrrev_b32_e32 v35, 3, v7
	v_cmp_gt_u32_e64 s0, 8, v7
	v_dual_mov_b32 v6, v9 :: v_dual_mov_b32 v7, v10
	s_delay_alu instid0(VALU_DEP_2)
	s_and_saveexec_b32 s15, s0
; %bb.2041:                             ;   in Loop: Header=BB464_1567 Depth=1
	v_and_b32_e32 v6, 7, v3
	s_delay_alu instid0(VALU_DEP_1) | instskip(NEXT) | instid1(VALU_DEP_1)
	v_clz_i32_u32_e32 v6, v6
	v_min_u32_e32 v35, 32, v6
	s_delay_alu instid0(VALU_DEP_1) | instskip(SKIP_1) | instid1(VALU_DEP_2)
	v_subrev_nc_u32_e32 v6, 28, v35
	v_sub_nc_u32_e32 v35, 29, v35
	v_lshlrev_b64 v[6:7], v6, v[9:10]
; %bb.2042:                             ;   in Loop: Header=BB464_1567 Depth=1
	s_or_b32 exec_lo, exec_lo, s15
	s_delay_alu instid0(VALU_DEP_1) | instskip(SKIP_2) | instid1(VALU_DEP_3)
	v_lshlrev_b32_e32 v6, 20, v6
	v_lshlrev_b32_e32 v7, 24, v9
	v_lshl_add_u32 v35, v35, 23, 0x3c000000
	v_and_b32_e32 v6, 0x700000, v6
	s_delay_alu instid0(VALU_DEP_3) | instskip(NEXT) | instid1(VALU_DEP_1)
	v_and_b32_e32 v7, 0x80000000, v7
	v_or3_b32 v6, v6, v7, v35
.LBB464_2043:                           ;   in Loop: Header=BB464_1567 Depth=1
	s_or_b32 exec_lo, exec_lo, s13
.LBB464_2044:                           ;   in Loop: Header=BB464_1567 Depth=1
	s_delay_alu instid0(SALU_CYCLE_1)
	s_or_b32 exec_lo, exec_lo, s12
.LBB464_2045:                           ;   in Loop: Header=BB464_1567 Depth=1
	s_delay_alu instid0(SALU_CYCLE_1) | instskip(NEXT) | instid1(VALU_DEP_1)
	s_or_b32 exec_lo, exec_lo, s9
	v_mul_f32_e32 v6, v26, v6
                                        ; implicit-def: $vgpr35
	s_delay_alu instid0(VALU_DEP_1) | instskip(NEXT) | instid1(VALU_DEP_1)
	v_and_b32_e32 v7, 0x7f800000, v6
	v_cmp_ne_u32_e64 s0, 0x7f800000, v7
	s_delay_alu instid0(VALU_DEP_1) | instskip(NEXT) | instid1(SALU_CYCLE_1)
	s_and_saveexec_b32 s9, s0
	s_xor_b32 s0, exec_lo, s9
; %bb.2046:                             ;   in Loop: Header=BB464_1567 Depth=1
	v_bfe_u32 v7, v6, 16, 1
	s_delay_alu instid0(VALU_DEP_1)
	v_add3_u32 v35, v6, v7, 0x7fff
                                        ; implicit-def: $vgpr6
; %bb.2047:                             ;   in Loop: Header=BB464_1567 Depth=1
	s_and_not1_saveexec_b32 s9, s0
; %bb.2048:                             ;   in Loop: Header=BB464_1567 Depth=1
	v_and_b32_e32 v7, 0xffff, v6
	v_or_b32_e32 v35, 0x10000, v6
	s_delay_alu instid0(VALU_DEP_2) | instskip(NEXT) | instid1(VALU_DEP_1)
	v_cmp_eq_u32_e64 s0, 0, v7
	v_cndmask_b32_e64 v35, v35, v6, s0
; %bb.2049:                             ;   in Loop: Header=BB464_1567 Depth=1
	s_or_b32 exec_lo, exec_lo, s9
	v_lshrrev_b16 v7, 8, v9
	v_mov_b32_e32 v6, 0
	s_mov_b32 s9, exec_lo
	s_delay_alu instid0(VALU_DEP_2)
	v_cmpx_ne_u16_e32 0, v7
	s_cbranch_execz .LBB464_2057
; %bb.2050:                             ;   in Loop: Header=BB464_1567 Depth=1
	v_bfrev_b32_e32 v6, 1
	s_mov_b32 s12, exec_lo
	v_cmpx_ne_u16_e32 0x80, v7
	s_cbranch_execz .LBB464_2056
; %bb.2051:                             ;   in Loop: Header=BB464_1567 Depth=1
	v_and_b32_e32 v7, 0xffff, v7
	v_mov_b32_e32 v6, 0x7f800001
	s_mov_b32 s13, exec_lo
	s_delay_alu instid0(VALU_DEP_2) | instskip(NEXT) | instid1(VALU_DEP_1)
	v_and_b32_e32 v132, 0x7f, v7
	v_cmpx_ne_u32_e32 0x7f, v132
	s_cbranch_execz .LBB464_2055
; %bb.2052:                             ;   in Loop: Header=BB464_1567 Depth=1
	v_dual_mov_b32 v7, v10 :: v_dual_and_b32 v6, 7, v7
	v_lshrrev_b32_e32 v131, 3, v132
	s_mov_b32 s15, exec_lo
	v_cmpx_gt_u32_e32 8, v132
; %bb.2053:                             ;   in Loop: Header=BB464_1567 Depth=1
	s_delay_alu instid0(VALU_DEP_3) | instskip(NEXT) | instid1(VALU_DEP_1)
	v_clz_i32_u32_e32 v131, v6
	v_min_u32_e32 v131, 32, v131
	s_delay_alu instid0(VALU_DEP_1) | instskip(SKIP_1) | instid1(VALU_DEP_2)
	v_subrev_nc_u32_e32 v132, 28, v131
	v_sub_nc_u32_e32 v131, 29, v131
	v_lshlrev_b64 v[6:7], v132, v[6:7]
	s_delay_alu instid0(VALU_DEP_1)
	v_and_b32_e32 v6, 7, v6
; %bb.2054:                             ;   in Loop: Header=BB464_1567 Depth=1
	s_or_b32 exec_lo, exec_lo, s15
	v_lshlrev_b32_e32 v7, 16, v9
	s_delay_alu instid0(VALU_DEP_2) | instskip(SKIP_1) | instid1(VALU_DEP_3)
	v_lshlrev_b32_e32 v6, 20, v6
	v_lshl_add_u32 v9, v131, 23, 0x3c000000
	v_and_b32_e32 v7, 0x80000000, v7
	s_delay_alu instid0(VALU_DEP_1)
	v_or3_b32 v6, v6, v7, v9
.LBB464_2055:                           ;   in Loop: Header=BB464_1567 Depth=1
	s_or_b32 exec_lo, exec_lo, s13
.LBB464_2056:                           ;   in Loop: Header=BB464_1567 Depth=1
	s_delay_alu instid0(SALU_CYCLE_1)
	s_or_b32 exec_lo, exec_lo, s12
.LBB464_2057:                           ;   in Loop: Header=BB464_1567 Depth=1
	s_delay_alu instid0(SALU_CYCLE_1) | instskip(NEXT) | instid1(VALU_DEP_1)
	s_or_b32 exec_lo, exec_lo, s9
	v_mul_f32_e32 v6, v26, v6
                                        ; implicit-def: $vgpr131
	s_delay_alu instid0(VALU_DEP_1) | instskip(NEXT) | instid1(VALU_DEP_1)
	v_and_b32_e32 v7, 0x7f800000, v6
	v_cmp_ne_u32_e64 s0, 0x7f800000, v7
	s_delay_alu instid0(VALU_DEP_1) | instskip(NEXT) | instid1(SALU_CYCLE_1)
	s_and_saveexec_b32 s9, s0
	s_xor_b32 s0, exec_lo, s9
; %bb.2058:                             ;   in Loop: Header=BB464_1567 Depth=1
	v_bfe_u32 v7, v6, 16, 1
	s_delay_alu instid0(VALU_DEP_1)
	v_add3_u32 v131, v6, v7, 0x7fff
                                        ; implicit-def: $vgpr6
; %bb.2059:                             ;   in Loop: Header=BB464_1567 Depth=1
	s_and_not1_saveexec_b32 s9, s0
; %bb.2060:                             ;   in Loop: Header=BB464_1567 Depth=1
	v_and_b32_e32 v7, 0xffff, v6
	v_or_b32_e32 v9, 0x10000, v6
	s_delay_alu instid0(VALU_DEP_2) | instskip(NEXT) | instid1(VALU_DEP_1)
	v_cmp_eq_u32_e64 s0, 0, v7
	v_cndmask_b32_e64 v131, v9, v6, s0
; %bb.2061:                             ;   in Loop: Header=BB464_1567 Depth=1
	s_or_b32 exec_lo, exec_lo, s9
	v_lshrrev_b32_e32 v132, 16, v3
	s_mov_b32 s9, exec_lo
	s_delay_alu instid0(VALU_DEP_1) | instskip(NEXT) | instid1(VALU_DEP_1)
	v_dual_mov_b32 v6, 0 :: v_dual_and_b32 v7, 0xff, v132
	v_cmpx_ne_u16_e32 0, v7
	s_cbranch_execz .LBB464_2069
; %bb.2062:                             ;   in Loop: Header=BB464_1567 Depth=1
	v_bfrev_b32_e32 v6, 1
	s_mov_b32 s12, exec_lo
	v_cmpx_ne_u16_e32 0x80, v7
	s_cbranch_execz .LBB464_2068
; %bb.2063:                             ;   in Loop: Header=BB464_1567 Depth=1
	v_bfe_u32 v7, v3, 16, 7
	v_mov_b32_e32 v6, 0x7f800001
	s_mov_b32 s13, exec_lo
	s_delay_alu instid0(VALU_DEP_2)
	v_cmpx_ne_u32_e32 0x7f, v7
	s_cbranch_execz .LBB464_2067
; %bb.2064:                             ;   in Loop: Header=BB464_1567 Depth=1
	v_and_b32_e32 v9, 7, v132
	v_lshrrev_b32_e32 v133, 3, v7
	v_cmp_gt_u32_e64 s0, 8, v7
	s_delay_alu instid0(VALU_DEP_3) | instskip(NEXT) | instid1(VALU_DEP_2)
	v_dual_mov_b32 v6, v9 :: v_dual_mov_b32 v7, v10
	s_and_saveexec_b32 s15, s0
; %bb.2065:                             ;   in Loop: Header=BB464_1567 Depth=1
	v_clz_i32_u32_e32 v6, v9
	s_delay_alu instid0(VALU_DEP_1) | instskip(NEXT) | instid1(VALU_DEP_1)
	v_min_u32_e32 v133, 32, v6
	v_subrev_nc_u32_e32 v6, 28, v133
	v_sub_nc_u32_e32 v133, 29, v133
	s_delay_alu instid0(VALU_DEP_2) | instskip(NEXT) | instid1(VALU_DEP_1)
	v_lshlrev_b64 v[6:7], v6, v[9:10]
	v_and_b32_e32 v6, 7, v6
; %bb.2066:                             ;   in Loop: Header=BB464_1567 Depth=1
	s_or_b32 exec_lo, exec_lo, s15
	v_lshlrev_b32_e32 v7, 24, v132
	s_delay_alu instid0(VALU_DEP_2) | instskip(SKIP_1) | instid1(VALU_DEP_3)
	v_lshlrev_b32_e32 v6, 20, v6
	v_lshl_add_u32 v9, v133, 23, 0x3c000000
	v_and_b32_e32 v7, 0x80000000, v7
	s_delay_alu instid0(VALU_DEP_1)
	v_or3_b32 v6, v6, v7, v9
.LBB464_2067:                           ;   in Loop: Header=BB464_1567 Depth=1
	s_or_b32 exec_lo, exec_lo, s13
.LBB464_2068:                           ;   in Loop: Header=BB464_1567 Depth=1
	s_delay_alu instid0(SALU_CYCLE_1)
	s_or_b32 exec_lo, exec_lo, s12
.LBB464_2069:                           ;   in Loop: Header=BB464_1567 Depth=1
	s_delay_alu instid0(SALU_CYCLE_1) | instskip(NEXT) | instid1(VALU_DEP_1)
	s_or_b32 exec_lo, exec_lo, s9
	v_mul_f32_e32 v6, v26, v6
                                        ; implicit-def: $vgpr132
	s_delay_alu instid0(VALU_DEP_1) | instskip(NEXT) | instid1(VALU_DEP_1)
	v_and_b32_e32 v7, 0x7f800000, v6
	v_cmp_ne_u32_e64 s0, 0x7f800000, v7
	s_delay_alu instid0(VALU_DEP_1) | instskip(NEXT) | instid1(SALU_CYCLE_1)
	s_and_saveexec_b32 s9, s0
	s_xor_b32 s0, exec_lo, s9
; %bb.2070:                             ;   in Loop: Header=BB464_1567 Depth=1
	v_bfe_u32 v7, v6, 16, 1
	s_delay_alu instid0(VALU_DEP_1)
	v_add3_u32 v132, v6, v7, 0x7fff
                                        ; implicit-def: $vgpr6
; %bb.2071:                             ;   in Loop: Header=BB464_1567 Depth=1
	s_and_not1_saveexec_b32 s9, s0
; %bb.2072:                             ;   in Loop: Header=BB464_1567 Depth=1
	v_and_b32_e32 v7, 0xffff, v6
	v_or_b32_e32 v9, 0x10000, v6
	s_delay_alu instid0(VALU_DEP_2) | instskip(NEXT) | instid1(VALU_DEP_1)
	v_cmp_eq_u32_e64 s0, 0, v7
	v_cndmask_b32_e64 v132, v9, v6, s0
; %bb.2073:                             ;   in Loop: Header=BB464_1567 Depth=1
	s_or_b32 exec_lo, exec_lo, s9
	v_cmp_lt_u64_e64 s0, s[2:3], v[2:3]
	v_mov_b32_e32 v2, 0
	s_delay_alu instid0(VALU_DEP_2)
	s_and_saveexec_b32 s9, s0
	s_cbranch_execz .LBB464_2081
; %bb.2074:                             ;   in Loop: Header=BB464_1567 Depth=1
	v_lshrrev_b32_e32 v6, 24, v3
	v_bfrev_b32_e32 v2, 1
	s_mov_b32 s12, exec_lo
	s_delay_alu instid0(VALU_DEP_2)
	v_cmpx_ne_u32_e32 0x80, v6
	s_cbranch_execz .LBB464_2080
; %bb.2075:                             ;   in Loop: Header=BB464_1567 Depth=1
	v_bfe_u32 v3, v3, 24, 7
	v_mov_b32_e32 v2, 0x7f800001
	s_mov_b32 s13, exec_lo
	s_delay_alu instid0(VALU_DEP_2)
	v_cmpx_ne_u32_e32 0x7f, v3
	s_cbranch_execz .LBB464_2079
; %bb.2076:                             ;   in Loop: Header=BB464_1567 Depth=1
	v_and_b32_e32 v9, 7, v6
	v_lshrrev_b32_e32 v7, 3, v3
	v_cmp_gt_u32_e64 s0, 8, v3
	s_delay_alu instid0(VALU_DEP_3) | instskip(NEXT) | instid1(VALU_DEP_2)
	v_dual_mov_b32 v2, v9 :: v_dual_mov_b32 v3, v10
	s_and_saveexec_b32 s15, s0
; %bb.2077:                             ;   in Loop: Header=BB464_1567 Depth=1
	v_clz_i32_u32_e32 v2, v9
	s_delay_alu instid0(VALU_DEP_1) | instskip(NEXT) | instid1(VALU_DEP_1)
	v_min_u32_e32 v7, 32, v2
	v_subrev_nc_u32_e32 v2, 28, v7
	v_sub_nc_u32_e32 v7, 29, v7
	s_delay_alu instid0(VALU_DEP_2) | instskip(NEXT) | instid1(VALU_DEP_1)
	v_lshlrev_b64 v[2:3], v2, v[9:10]
	v_and_b32_e32 v2, 7, v2
; %bb.2078:                             ;   in Loop: Header=BB464_1567 Depth=1
	s_or_b32 exec_lo, exec_lo, s15
	v_lshlrev_b32_e32 v3, 24, v6
	s_delay_alu instid0(VALU_DEP_2) | instskip(SKIP_1) | instid1(VALU_DEP_3)
	v_lshlrev_b32_e32 v2, 20, v2
	v_lshl_add_u32 v6, v7, 23, 0x3c000000
	v_and_b32_e32 v3, 0x80000000, v3
	s_delay_alu instid0(VALU_DEP_1)
	v_or3_b32 v2, v2, v3, v6
.LBB464_2079:                           ;   in Loop: Header=BB464_1567 Depth=1
	s_or_b32 exec_lo, exec_lo, s13
.LBB464_2080:                           ;   in Loop: Header=BB464_1567 Depth=1
	s_delay_alu instid0(SALU_CYCLE_1)
	s_or_b32 exec_lo, exec_lo, s12
.LBB464_2081:                           ;   in Loop: Header=BB464_1567 Depth=1
	s_delay_alu instid0(SALU_CYCLE_1) | instskip(NEXT) | instid1(VALU_DEP_1)
	s_or_b32 exec_lo, exec_lo, s9
	v_mul_f32_e32 v3, v26, v2
	s_delay_alu instid0(VALU_DEP_1) | instskip(NEXT) | instid1(VALU_DEP_1)
	v_and_b32_e32 v2, 0x7f800000, v3
	v_cmp_ne_u32_e64 s0, 0x7f800000, v2
                                        ; implicit-def: $vgpr2
	s_delay_alu instid0(VALU_DEP_1) | instskip(NEXT) | instid1(SALU_CYCLE_1)
	s_and_saveexec_b32 s9, s0
	s_xor_b32 s0, exec_lo, s9
; %bb.2082:                             ;   in Loop: Header=BB464_1567 Depth=1
	v_bfe_u32 v2, v3, 16, 1
	s_delay_alu instid0(VALU_DEP_1)
	v_add3_u32 v2, v3, v2, 0x7fff
                                        ; implicit-def: $vgpr3
; %bb.2083:                             ;   in Loop: Header=BB464_1567 Depth=1
	s_and_not1_saveexec_b32 s9, s0
; %bb.2084:                             ;   in Loop: Header=BB464_1567 Depth=1
	v_and_b32_e32 v2, 0xffff, v3
	v_or_b32_e32 v6, 0x10000, v3
	s_delay_alu instid0(VALU_DEP_2) | instskip(NEXT) | instid1(VALU_DEP_1)
	v_cmp_eq_u32_e64 s0, 0, v2
	v_cndmask_b32_e64 v2, v6, v3, s0
; %bb.2085:                             ;   in Loop: Header=BB464_1567 Depth=1
	s_or_b32 exec_lo, exec_lo, s9
	v_lshrrev_b32_e32 v6, 16, v131
	v_lshrrev_b32_e32 v7, 16, v35
	;; [unrolled: 1-line block ×8, first 2 shown]
	s_and_saveexec_b32 s9, vcc_lo
	s_cbranch_execz .LBB464_2087
; %bb.2086:                             ;   in Loop: Header=BB464_1567 Depth=1
	v_cmp_lt_i32_e64 s0, v68, v36
	s_delay_alu instid0(VALU_DEP_1) | instskip(SKIP_1) | instid1(VALU_DEP_1)
	v_cndmask_b32_e64 v4, 0, v4, s0
	v_cmp_lt_i32_e64 s0, v82, v36
	v_cndmask_b32_e64 v5, 0, v5, s0
	v_cmp_lt_i32_e64 s0, v81, v36
	s_delay_alu instid0(VALU_DEP_1) | instskip(SKIP_1) | instid1(VALU_DEP_1)
	v_cndmask_b32_e64 v23, 0, v23, s0
	v_cmp_lt_i32_e64 s0, v80, v36
	v_cndmask_b32_e64 v9, 0, v9, s0
	v_cmp_lt_i32_e64 s0, v71, v36
	s_delay_alu instid0(VALU_DEP_1) | instskip(SKIP_1) | instid1(VALU_DEP_1)
	v_cndmask_b32_e64 v7, 0, v7, s0
	v_cmp_lt_i32_e64 s0, v70, v36
	v_cndmask_b32_e64 v6, 0, v6, s0
	v_cmp_lt_i32_e64 s0, v69, v36
	s_delay_alu instid0(VALU_DEP_1) | instskip(SKIP_1) | instid1(VALU_DEP_1)
	v_cndmask_b32_e64 v3, 0, v3, s0
	v_cmp_lt_i32_e64 s0, v15, v36
	v_cndmask_b32_e64 v2, 0, v2, s0
.LBB464_2087:                           ;   in Loop: Header=BB464_1567 Depth=1
	s_or_b32 exec_lo, exec_lo, s9
	v_lshlrev_b32_e32 v4, 16, v4
                                        ; implicit-def: $vgpr131
	s_delay_alu instid0(VALU_DEP_1) | instskip(NEXT) | instid1(VALU_DEP_1)
	v_mul_f32_e32 v4, v83, v4
	v_and_b32_e32 v34, 0x7f800000, v4
	s_delay_alu instid0(VALU_DEP_1) | instskip(NEXT) | instid1(VALU_DEP_1)
	v_cmp_ne_u32_e64 s0, 0x7f800000, v34
	s_and_saveexec_b32 s9, s0
	s_delay_alu instid0(SALU_CYCLE_1)
	s_xor_b32 s0, exec_lo, s9
; %bb.2088:                             ;   in Loop: Header=BB464_1567 Depth=1
	v_bfe_u32 v34, v4, 16, 1
	s_delay_alu instid0(VALU_DEP_1)
	v_add3_u32 v131, v4, v34, 0x7fff
                                        ; implicit-def: $vgpr4
; %bb.2089:                             ;   in Loop: Header=BB464_1567 Depth=1
	s_and_not1_saveexec_b32 s9, s0
; %bb.2090:                             ;   in Loop: Header=BB464_1567 Depth=1
	v_and_b32_e32 v34, 0xffff, v4
	v_or_b32_e32 v35, 0x10000, v4
	s_delay_alu instid0(VALU_DEP_2) | instskip(NEXT) | instid1(VALU_DEP_1)
	v_cmp_eq_u32_e64 s0, 0, v34
	v_cndmask_b32_e64 v131, v35, v4, s0
; %bb.2091:                             ;   in Loop: Header=BB464_1567 Depth=1
	s_or_b32 exec_lo, exec_lo, s9
	v_lshlrev_b32_e32 v4, 16, v5
                                        ; implicit-def: $vgpr132
	s_delay_alu instid0(VALU_DEP_1) | instskip(NEXT) | instid1(VALU_DEP_1)
	v_mul_f32_e32 v4, v84, v4
	v_and_b32_e32 v5, 0x7f800000, v4
	s_delay_alu instid0(VALU_DEP_1) | instskip(NEXT) | instid1(VALU_DEP_1)
	v_cmp_ne_u32_e64 s0, 0x7f800000, v5
	s_and_saveexec_b32 s9, s0
	s_delay_alu instid0(SALU_CYCLE_1)
	s_xor_b32 s0, exec_lo, s9
; %bb.2092:                             ;   in Loop: Header=BB464_1567 Depth=1
	v_bfe_u32 v5, v4, 16, 1
	s_delay_alu instid0(VALU_DEP_1)
	v_add3_u32 v132, v4, v5, 0x7fff
                                        ; implicit-def: $vgpr4
; %bb.2093:                             ;   in Loop: Header=BB464_1567 Depth=1
	s_and_not1_saveexec_b32 s9, s0
; %bb.2094:                             ;   in Loop: Header=BB464_1567 Depth=1
	v_and_b32_e32 v5, 0xffff, v4
	v_or_b32_e32 v34, 0x10000, v4
	s_delay_alu instid0(VALU_DEP_2) | instskip(NEXT) | instid1(VALU_DEP_1)
	v_cmp_eq_u32_e64 s0, 0, v5
	v_cndmask_b32_e64 v132, v34, v4, s0
; %bb.2095:                             ;   in Loop: Header=BB464_1567 Depth=1
	s_or_b32 exec_lo, exec_lo, s9
	v_lshlrev_b32_e32 v4, 16, v23
                                        ; implicit-def: $vgpr133
	s_delay_alu instid0(VALU_DEP_1) | instskip(NEXT) | instid1(VALU_DEP_1)
	v_mul_f32_e32 v4, v85, v4
	v_and_b32_e32 v5, 0x7f800000, v4
	s_delay_alu instid0(VALU_DEP_1) | instskip(NEXT) | instid1(VALU_DEP_1)
	v_cmp_ne_u32_e64 s0, 0x7f800000, v5
	s_and_saveexec_b32 s9, s0
	s_delay_alu instid0(SALU_CYCLE_1)
	s_xor_b32 s0, exec_lo, s9
; %bb.2096:                             ;   in Loop: Header=BB464_1567 Depth=1
	v_bfe_u32 v5, v4, 16, 1
	s_delay_alu instid0(VALU_DEP_1)
	v_add3_u32 v133, v4, v5, 0x7fff
                                        ; implicit-def: $vgpr4
; %bb.2097:                             ;   in Loop: Header=BB464_1567 Depth=1
	s_and_not1_saveexec_b32 s9, s0
; %bb.2098:                             ;   in Loop: Header=BB464_1567 Depth=1
	v_and_b32_e32 v5, 0xffff, v4
	v_or_b32_e32 v23, 0x10000, v4
	s_delay_alu instid0(VALU_DEP_2) | instskip(NEXT) | instid1(VALU_DEP_1)
	v_cmp_eq_u32_e64 s0, 0, v5
	v_cndmask_b32_e64 v133, v23, v4, s0
; %bb.2099:                             ;   in Loop: Header=BB464_1567 Depth=1
	s_or_b32 exec_lo, exec_lo, s9
	v_lshlrev_b32_e32 v4, 16, v9
                                        ; implicit-def: $vgpr134
	s_delay_alu instid0(VALU_DEP_1) | instskip(NEXT) | instid1(VALU_DEP_1)
	v_mul_f32_e32 v4, v86, v4
	v_and_b32_e32 v5, 0x7f800000, v4
	s_delay_alu instid0(VALU_DEP_1) | instskip(NEXT) | instid1(VALU_DEP_1)
	v_cmp_ne_u32_e64 s0, 0x7f800000, v5
	s_and_saveexec_b32 s9, s0
	s_delay_alu instid0(SALU_CYCLE_1)
	s_xor_b32 s0, exec_lo, s9
; %bb.2100:                             ;   in Loop: Header=BB464_1567 Depth=1
	v_bfe_u32 v5, v4, 16, 1
	s_delay_alu instid0(VALU_DEP_1)
	v_add3_u32 v134, v4, v5, 0x7fff
                                        ; implicit-def: $vgpr4
; %bb.2101:                             ;   in Loop: Header=BB464_1567 Depth=1
	s_and_not1_saveexec_b32 s9, s0
; %bb.2102:                             ;   in Loop: Header=BB464_1567 Depth=1
	v_and_b32_e32 v5, 0xffff, v4
	v_or_b32_e32 v9, 0x10000, v4
	s_delay_alu instid0(VALU_DEP_2) | instskip(NEXT) | instid1(VALU_DEP_1)
	v_cmp_eq_u32_e64 s0, 0, v5
	v_cndmask_b32_e64 v134, v9, v4, s0
; %bb.2103:                             ;   in Loop: Header=BB464_1567 Depth=1
	s_or_b32 exec_lo, exec_lo, s9
	v_lshlrev_b32_e32 v4, 16, v7
                                        ; implicit-def: $vgpr135
	s_delay_alu instid0(VALU_DEP_1) | instskip(NEXT) | instid1(VALU_DEP_1)
	v_mul_f32_e32 v4, v87, v4
	v_and_b32_e32 v5, 0x7f800000, v4
	s_delay_alu instid0(VALU_DEP_1) | instskip(NEXT) | instid1(VALU_DEP_1)
	v_cmp_ne_u32_e64 s0, 0x7f800000, v5
	s_and_saveexec_b32 s9, s0
	s_delay_alu instid0(SALU_CYCLE_1)
	s_xor_b32 s0, exec_lo, s9
; %bb.2104:                             ;   in Loop: Header=BB464_1567 Depth=1
	v_bfe_u32 v5, v4, 16, 1
	s_delay_alu instid0(VALU_DEP_1)
	v_add3_u32 v135, v4, v5, 0x7fff
                                        ; implicit-def: $vgpr4
; %bb.2105:                             ;   in Loop: Header=BB464_1567 Depth=1
	s_and_not1_saveexec_b32 s9, s0
; %bb.2106:                             ;   in Loop: Header=BB464_1567 Depth=1
	v_and_b32_e32 v5, 0xffff, v4
	v_or_b32_e32 v7, 0x10000, v4
	s_delay_alu instid0(VALU_DEP_2) | instskip(NEXT) | instid1(VALU_DEP_1)
	v_cmp_eq_u32_e64 s0, 0, v5
	v_cndmask_b32_e64 v135, v7, v4, s0
; %bb.2107:                             ;   in Loop: Header=BB464_1567 Depth=1
	s_or_b32 exec_lo, exec_lo, s9
	v_lshlrev_b32_e32 v4, 16, v6
                                        ; implicit-def: $vgpr144
	s_delay_alu instid0(VALU_DEP_1) | instskip(NEXT) | instid1(VALU_DEP_1)
	v_mul_f32_e32 v4, v96, v4
	v_and_b32_e32 v5, 0x7f800000, v4
	s_delay_alu instid0(VALU_DEP_1) | instskip(NEXT) | instid1(VALU_DEP_1)
	v_cmp_ne_u32_e64 s0, 0x7f800000, v5
	s_and_saveexec_b32 s9, s0
	s_delay_alu instid0(SALU_CYCLE_1)
	s_xor_b32 s0, exec_lo, s9
; %bb.2108:                             ;   in Loop: Header=BB464_1567 Depth=1
	v_bfe_u32 v5, v4, 16, 1
	s_delay_alu instid0(VALU_DEP_1)
	v_add3_u32 v144, v4, v5, 0x7fff
                                        ; implicit-def: $vgpr4
; %bb.2109:                             ;   in Loop: Header=BB464_1567 Depth=1
	s_and_not1_saveexec_b32 s9, s0
; %bb.2110:                             ;   in Loop: Header=BB464_1567 Depth=1
	v_and_b32_e32 v5, 0xffff, v4
	v_or_b32_e32 v6, 0x10000, v4
	s_delay_alu instid0(VALU_DEP_2) | instskip(NEXT) | instid1(VALU_DEP_1)
	v_cmp_eq_u32_e64 s0, 0, v5
	v_cndmask_b32_e64 v144, v6, v4, s0
; %bb.2111:                             ;   in Loop: Header=BB464_1567 Depth=1
	s_or_b32 exec_lo, exec_lo, s9
	v_lshlrev_b32_e32 v3, 16, v3
                                        ; implicit-def: $vgpr145
	s_delay_alu instid0(VALU_DEP_1) | instskip(NEXT) | instid1(VALU_DEP_1)
	v_mul_f32_e32 v3, v97, v3
	v_and_b32_e32 v4, 0x7f800000, v3
	s_delay_alu instid0(VALU_DEP_1) | instskip(NEXT) | instid1(VALU_DEP_1)
	v_cmp_ne_u32_e64 s0, 0x7f800000, v4
	s_and_saveexec_b32 s9, s0
	s_delay_alu instid0(SALU_CYCLE_1)
	s_xor_b32 s0, exec_lo, s9
; %bb.2112:                             ;   in Loop: Header=BB464_1567 Depth=1
	v_bfe_u32 v4, v3, 16, 1
	s_delay_alu instid0(VALU_DEP_1)
	v_add3_u32 v145, v3, v4, 0x7fff
                                        ; implicit-def: $vgpr3
; %bb.2113:                             ;   in Loop: Header=BB464_1567 Depth=1
	s_and_not1_saveexec_b32 s9, s0
; %bb.2114:                             ;   in Loop: Header=BB464_1567 Depth=1
	v_and_b32_e32 v4, 0xffff, v3
	v_or_b32_e32 v5, 0x10000, v3
	s_delay_alu instid0(VALU_DEP_2) | instskip(NEXT) | instid1(VALU_DEP_1)
	v_cmp_eq_u32_e64 s0, 0, v4
	v_cndmask_b32_e64 v145, v5, v3, s0
; %bb.2115:                             ;   in Loop: Header=BB464_1567 Depth=1
	s_or_b32 exec_lo, exec_lo, s9
	v_lshlrev_b32_e32 v2, 16, v2
                                        ; implicit-def: $vgpr146
	s_delay_alu instid0(VALU_DEP_1) | instskip(NEXT) | instid1(VALU_DEP_1)
	v_mul_f32_e32 v2, v98, v2
	v_and_b32_e32 v3, 0x7f800000, v2
	s_delay_alu instid0(VALU_DEP_1) | instskip(NEXT) | instid1(VALU_DEP_1)
	v_cmp_ne_u32_e64 s0, 0x7f800000, v3
	s_and_saveexec_b32 s9, s0
	s_delay_alu instid0(SALU_CYCLE_1)
	s_xor_b32 s0, exec_lo, s9
; %bb.2116:                             ;   in Loop: Header=BB464_1567 Depth=1
	v_bfe_u32 v3, v2, 16, 1
	s_delay_alu instid0(VALU_DEP_1)
	v_add3_u32 v146, v2, v3, 0x7fff
                                        ; implicit-def: $vgpr2
; %bb.2117:                             ;   in Loop: Header=BB464_1567 Depth=1
	s_and_not1_saveexec_b32 s9, s0
; %bb.2118:                             ;   in Loop: Header=BB464_1567 Depth=1
	v_and_b32_e32 v3, 0xffff, v2
	v_or_b32_e32 v4, 0x10000, v2
	s_delay_alu instid0(VALU_DEP_2) | instskip(NEXT) | instid1(VALU_DEP_1)
	v_cmp_eq_u32_e64 s0, 0, v3
	v_cndmask_b32_e64 v146, v4, v2, s0
; %bb.2119:                             ;   in Loop: Header=BB464_1567 Depth=1
	s_or_b32 exec_lo, exec_lo, s9
	flat_load_b64 v[2:3], v[0:1] offset:1024
	s_mov_b32 s9, exec_lo
	s_waitcnt vmcnt(0) lgkmcnt(0)
	v_dual_mov_b32 v4, 0 :: v_dual_and_b32 v5, 0xff, v2
	s_delay_alu instid0(VALU_DEP_1)
	v_cmpx_ne_u16_e32 0, v5
	s_cbranch_execz .LBB464_2127
; %bb.2120:                             ;   in Loop: Header=BB464_1567 Depth=1
	v_bfrev_b32_e32 v4, 1
	s_mov_b32 s12, exec_lo
	v_cmpx_ne_u16_e32 0x80, v5
	s_cbranch_execz .LBB464_2126
; %bb.2121:                             ;   in Loop: Header=BB464_1567 Depth=1
	v_and_b32_e32 v5, 0x7f, v2
	v_mov_b32_e32 v4, 0x7f800001
	s_mov_b32 s13, exec_lo
	s_delay_alu instid0(VALU_DEP_2)
	v_cmpx_ne_u32_e32 0x7f, v5
	s_cbranch_execz .LBB464_2125
; %bb.2122:                             ;   in Loop: Header=BB464_1567 Depth=1
	v_lshrrev_b32_e32 v4, 3, v5
	v_dual_mov_b32 v7, v3 :: v_dual_mov_b32 v6, v2
	s_mov_b32 s15, exec_lo
	v_cmpx_gt_u32_e32 8, v5
; %bb.2123:                             ;   in Loop: Header=BB464_1567 Depth=1
	v_and_b32_e32 v4, 7, v2
	s_delay_alu instid0(VALU_DEP_1) | instskip(NEXT) | instid1(VALU_DEP_1)
	v_clz_i32_u32_e32 v4, v4
	v_min_u32_e32 v4, 32, v4
	s_delay_alu instid0(VALU_DEP_1) | instskip(SKIP_1) | instid1(VALU_DEP_2)
	v_subrev_nc_u32_e32 v5, 28, v4
	v_sub_nc_u32_e32 v4, 29, v4
	v_lshlrev_b64 v[6:7], v5, v[2:3]
; %bb.2124:                             ;   in Loop: Header=BB464_1567 Depth=1
	s_or_b32 exec_lo, exec_lo, s15
	s_delay_alu instid0(VALU_DEP_1) | instskip(SKIP_2) | instid1(VALU_DEP_3)
	v_lshlrev_b32_e32 v5, 20, v6
	v_lshlrev_b32_e32 v6, 24, v2
	v_lshl_add_u32 v4, v4, 23, 0x3c000000
	v_and_b32_e32 v5, 0x700000, v5
	s_delay_alu instid0(VALU_DEP_3) | instskip(NEXT) | instid1(VALU_DEP_1)
	v_and_b32_e32 v6, 0x80000000, v6
	v_or3_b32 v4, v5, v6, v4
.LBB464_2125:                           ;   in Loop: Header=BB464_1567 Depth=1
	s_or_b32 exec_lo, exec_lo, s13
.LBB464_2126:                           ;   in Loop: Header=BB464_1567 Depth=1
	s_delay_alu instid0(SALU_CYCLE_1)
	s_or_b32 exec_lo, exec_lo, s12
.LBB464_2127:                           ;   in Loop: Header=BB464_1567 Depth=1
	s_delay_alu instid0(SALU_CYCLE_1) | instskip(NEXT) | instid1(VALU_DEP_1)
	s_or_b32 exec_lo, exec_lo, s9
	v_mul_f32_e32 v5, v26, v4
	s_delay_alu instid0(VALU_DEP_1) | instskip(NEXT) | instid1(VALU_DEP_1)
	v_and_b32_e32 v4, 0x7f800000, v5
	v_cmp_ne_u32_e64 s0, 0x7f800000, v4
                                        ; implicit-def: $vgpr4
	s_delay_alu instid0(VALU_DEP_1) | instskip(NEXT) | instid1(SALU_CYCLE_1)
	s_and_saveexec_b32 s9, s0
	s_xor_b32 s0, exec_lo, s9
; %bb.2128:                             ;   in Loop: Header=BB464_1567 Depth=1
	v_bfe_u32 v4, v5, 16, 1
	s_delay_alu instid0(VALU_DEP_1)
	v_add3_u32 v4, v5, v4, 0x7fff
                                        ; implicit-def: $vgpr5
; %bb.2129:                             ;   in Loop: Header=BB464_1567 Depth=1
	s_and_not1_saveexec_b32 s9, s0
; %bb.2130:                             ;   in Loop: Header=BB464_1567 Depth=1
	v_and_b32_e32 v4, 0xffff, v5
	v_or_b32_e32 v6, 0x10000, v5
	s_delay_alu instid0(VALU_DEP_2) | instskip(NEXT) | instid1(VALU_DEP_1)
	v_cmp_eq_u32_e64 s0, 0, v4
	v_cndmask_b32_e64 v4, v6, v5, s0
; %bb.2131:                             ;   in Loop: Header=BB464_1567 Depth=1
	s_or_b32 exec_lo, exec_lo, s9
	v_lshrrev_b16 v6, 8, v2
	v_mov_b32_e32 v5, 0
	s_mov_b32 s9, exec_lo
	s_delay_alu instid0(VALU_DEP_2)
	v_cmpx_ne_u16_e32 0, v6
	s_cbranch_execz .LBB464_2139
; %bb.2132:                             ;   in Loop: Header=BB464_1567 Depth=1
	v_bfrev_b32_e32 v5, 1
	s_mov_b32 s12, exec_lo
	v_cmpx_ne_u16_e32 0x80, v6
	s_cbranch_execz .LBB464_2138
; %bb.2133:                             ;   in Loop: Header=BB464_1567 Depth=1
	v_and_b32_e32 v7, 0xffff, v6
	v_mov_b32_e32 v5, 0x7f800001
	s_mov_b32 s13, exec_lo
	s_delay_alu instid0(VALU_DEP_2) | instskip(NEXT) | instid1(VALU_DEP_1)
	v_and_b32_e32 v6, 0x7f, v7
	v_cmpx_ne_u32_e32 0x7f, v6
	s_cbranch_execz .LBB464_2137
; %bb.2134:                             ;   in Loop: Header=BB464_1567 Depth=1
	v_and_b32_e32 v9, 7, v7
	v_lshrrev_b32_e32 v5, 3, v6
	v_cmp_gt_u32_e64 s0, 8, v6
	s_delay_alu instid0(VALU_DEP_3) | instskip(NEXT) | instid1(VALU_DEP_2)
	v_dual_mov_b32 v6, v9 :: v_dual_mov_b32 v7, v10
	s_and_saveexec_b32 s15, s0
; %bb.2135:                             ;   in Loop: Header=BB464_1567 Depth=1
	v_clz_i32_u32_e32 v5, v9
	s_delay_alu instid0(VALU_DEP_1) | instskip(NEXT) | instid1(VALU_DEP_1)
	v_min_u32_e32 v5, 32, v5
	v_subrev_nc_u32_e32 v6, 28, v5
	v_sub_nc_u32_e32 v5, 29, v5
	s_delay_alu instid0(VALU_DEP_2) | instskip(NEXT) | instid1(VALU_DEP_1)
	v_lshlrev_b64 v[6:7], v6, v[9:10]
	v_and_b32_e32 v6, 7, v6
; %bb.2136:                             ;   in Loop: Header=BB464_1567 Depth=1
	s_or_b32 exec_lo, exec_lo, s15
	v_lshlrev_b32_e32 v7, 16, v2
	s_delay_alu instid0(VALU_DEP_2) | instskip(SKIP_1) | instid1(VALU_DEP_3)
	v_lshlrev_b32_e32 v6, 20, v6
	v_lshl_add_u32 v5, v5, 23, 0x3c000000
	v_and_b32_e32 v7, 0x80000000, v7
	s_delay_alu instid0(VALU_DEP_1)
	v_or3_b32 v5, v6, v7, v5
.LBB464_2137:                           ;   in Loop: Header=BB464_1567 Depth=1
	s_or_b32 exec_lo, exec_lo, s13
.LBB464_2138:                           ;   in Loop: Header=BB464_1567 Depth=1
	s_delay_alu instid0(SALU_CYCLE_1)
	s_or_b32 exec_lo, exec_lo, s12
.LBB464_2139:                           ;   in Loop: Header=BB464_1567 Depth=1
	s_delay_alu instid0(SALU_CYCLE_1) | instskip(NEXT) | instid1(VALU_DEP_1)
	s_or_b32 exec_lo, exec_lo, s9
	v_mul_f32_e32 v6, v26, v5
	s_delay_alu instid0(VALU_DEP_1) | instskip(NEXT) | instid1(VALU_DEP_1)
	v_and_b32_e32 v5, 0x7f800000, v6
	v_cmp_ne_u32_e64 s0, 0x7f800000, v5
                                        ; implicit-def: $vgpr5
	s_delay_alu instid0(VALU_DEP_1) | instskip(NEXT) | instid1(SALU_CYCLE_1)
	s_and_saveexec_b32 s9, s0
	s_xor_b32 s0, exec_lo, s9
; %bb.2140:                             ;   in Loop: Header=BB464_1567 Depth=1
	v_bfe_u32 v5, v6, 16, 1
	s_delay_alu instid0(VALU_DEP_1)
	v_add3_u32 v5, v6, v5, 0x7fff
                                        ; implicit-def: $vgpr6
; %bb.2141:                             ;   in Loop: Header=BB464_1567 Depth=1
	s_and_not1_saveexec_b32 s9, s0
; %bb.2142:                             ;   in Loop: Header=BB464_1567 Depth=1
	v_and_b32_e32 v5, 0xffff, v6
	v_or_b32_e32 v7, 0x10000, v6
	s_delay_alu instid0(VALU_DEP_2) | instskip(NEXT) | instid1(VALU_DEP_1)
	v_cmp_eq_u32_e64 s0, 0, v5
	v_cndmask_b32_e64 v5, v7, v6, s0
; %bb.2143:                             ;   in Loop: Header=BB464_1567 Depth=1
	s_or_b32 exec_lo, exec_lo, s9
	v_lshrrev_b32_e32 v23, 16, v2
	s_mov_b32 s9, exec_lo
	s_delay_alu instid0(VALU_DEP_1) | instskip(NEXT) | instid1(VALU_DEP_1)
	v_dual_mov_b32 v6, 0 :: v_dual_and_b32 v7, 0xff, v23
	v_cmpx_ne_u16_e32 0, v7
	s_cbranch_execz .LBB464_2151
; %bb.2144:                             ;   in Loop: Header=BB464_1567 Depth=1
	v_bfrev_b32_e32 v6, 1
	s_mov_b32 s12, exec_lo
	v_cmpx_ne_u16_e32 0x80, v7
	s_cbranch_execz .LBB464_2150
; %bb.2145:                             ;   in Loop: Header=BB464_1567 Depth=1
	v_bfe_u32 v7, v2, 16, 7
	v_mov_b32_e32 v6, 0x7f800001
	s_mov_b32 s13, exec_lo
	s_delay_alu instid0(VALU_DEP_2)
	v_cmpx_ne_u32_e32 0x7f, v7
	s_cbranch_execz .LBB464_2149
; %bb.2146:                             ;   in Loop: Header=BB464_1567 Depth=1
	v_and_b32_e32 v9, 7, v23
	v_lshrrev_b32_e32 v34, 3, v7
	v_cmp_gt_u32_e64 s0, 8, v7
	s_delay_alu instid0(VALU_DEP_3) | instskip(NEXT) | instid1(VALU_DEP_2)
	v_dual_mov_b32 v6, v9 :: v_dual_mov_b32 v7, v10
	s_and_saveexec_b32 s15, s0
; %bb.2147:                             ;   in Loop: Header=BB464_1567 Depth=1
	v_clz_i32_u32_e32 v6, v9
	s_delay_alu instid0(VALU_DEP_1) | instskip(NEXT) | instid1(VALU_DEP_1)
	v_min_u32_e32 v34, 32, v6
	v_subrev_nc_u32_e32 v6, 28, v34
	v_sub_nc_u32_e32 v34, 29, v34
	s_delay_alu instid0(VALU_DEP_2) | instskip(NEXT) | instid1(VALU_DEP_1)
	v_lshlrev_b64 v[6:7], v6, v[9:10]
	v_and_b32_e32 v6, 7, v6
; %bb.2148:                             ;   in Loop: Header=BB464_1567 Depth=1
	s_or_b32 exec_lo, exec_lo, s15
	v_lshlrev_b32_e32 v7, 24, v23
	s_delay_alu instid0(VALU_DEP_2) | instskip(SKIP_1) | instid1(VALU_DEP_3)
	v_lshlrev_b32_e32 v6, 20, v6
	v_lshl_add_u32 v9, v34, 23, 0x3c000000
	v_and_b32_e32 v7, 0x80000000, v7
	s_delay_alu instid0(VALU_DEP_1)
	v_or3_b32 v6, v6, v7, v9
.LBB464_2149:                           ;   in Loop: Header=BB464_1567 Depth=1
	s_or_b32 exec_lo, exec_lo, s13
.LBB464_2150:                           ;   in Loop: Header=BB464_1567 Depth=1
	s_delay_alu instid0(SALU_CYCLE_1)
	s_or_b32 exec_lo, exec_lo, s12
.LBB464_2151:                           ;   in Loop: Header=BB464_1567 Depth=1
	s_delay_alu instid0(SALU_CYCLE_1) | instskip(NEXT) | instid1(VALU_DEP_1)
	s_or_b32 exec_lo, exec_lo, s9
	v_mul_f32_e32 v6, v26, v6
                                        ; implicit-def: $vgpr23
	s_delay_alu instid0(VALU_DEP_1) | instskip(NEXT) | instid1(VALU_DEP_1)
	v_and_b32_e32 v7, 0x7f800000, v6
	v_cmp_ne_u32_e64 s0, 0x7f800000, v7
	s_delay_alu instid0(VALU_DEP_1) | instskip(NEXT) | instid1(SALU_CYCLE_1)
	s_and_saveexec_b32 s9, s0
	s_xor_b32 s0, exec_lo, s9
; %bb.2152:                             ;   in Loop: Header=BB464_1567 Depth=1
	v_bfe_u32 v7, v6, 16, 1
	s_delay_alu instid0(VALU_DEP_1)
	v_add3_u32 v23, v6, v7, 0x7fff
                                        ; implicit-def: $vgpr6
; %bb.2153:                             ;   in Loop: Header=BB464_1567 Depth=1
	s_and_not1_saveexec_b32 s9, s0
; %bb.2154:                             ;   in Loop: Header=BB464_1567 Depth=1
	v_and_b32_e32 v7, 0xffff, v6
	v_or_b32_e32 v9, 0x10000, v6
	s_delay_alu instid0(VALU_DEP_2) | instskip(NEXT) | instid1(VALU_DEP_1)
	v_cmp_eq_u32_e64 s0, 0, v7
	v_cndmask_b32_e64 v23, v9, v6, s0
; %bb.2155:                             ;   in Loop: Header=BB464_1567 Depth=1
	s_or_b32 exec_lo, exec_lo, s9
	v_mov_b32_e32 v6, 0
	s_mov_b32 s9, exec_lo
	v_cmpx_lt_u32_e32 0xffffff, v2
	s_cbranch_execz .LBB464_2163
; %bb.2156:                             ;   in Loop: Header=BB464_1567 Depth=1
	v_lshrrev_b32_e32 v34, 24, v2
	v_bfrev_b32_e32 v6, 1
	s_mov_b32 s12, exec_lo
	s_delay_alu instid0(VALU_DEP_2)
	v_cmpx_ne_u32_e32 0x80, v34
	s_cbranch_execz .LBB464_2162
; %bb.2157:                             ;   in Loop: Header=BB464_1567 Depth=1
	v_bfe_u32 v7, v2, 24, 7
	v_mov_b32_e32 v6, 0x7f800001
	s_mov_b32 s13, exec_lo
	s_delay_alu instid0(VALU_DEP_2)
	v_cmpx_ne_u32_e32 0x7f, v7
	s_cbranch_execz .LBB464_2161
; %bb.2158:                             ;   in Loop: Header=BB464_1567 Depth=1
	v_and_b32_e32 v9, 7, v34
	v_lshrrev_b32_e32 v35, 3, v7
	v_cmp_gt_u32_e64 s0, 8, v7
	s_delay_alu instid0(VALU_DEP_3) | instskip(NEXT) | instid1(VALU_DEP_2)
	v_dual_mov_b32 v6, v9 :: v_dual_mov_b32 v7, v10
	s_and_saveexec_b32 s15, s0
; %bb.2159:                             ;   in Loop: Header=BB464_1567 Depth=1
	v_clz_i32_u32_e32 v6, v9
	s_delay_alu instid0(VALU_DEP_1) | instskip(NEXT) | instid1(VALU_DEP_1)
	v_min_u32_e32 v35, 32, v6
	v_subrev_nc_u32_e32 v6, 28, v35
	v_sub_nc_u32_e32 v35, 29, v35
	s_delay_alu instid0(VALU_DEP_2) | instskip(NEXT) | instid1(VALU_DEP_1)
	v_lshlrev_b64 v[6:7], v6, v[9:10]
	v_and_b32_e32 v6, 7, v6
; %bb.2160:                             ;   in Loop: Header=BB464_1567 Depth=1
	s_or_b32 exec_lo, exec_lo, s15
	v_lshlrev_b32_e32 v7, 24, v34
	s_delay_alu instid0(VALU_DEP_2) | instskip(SKIP_1) | instid1(VALU_DEP_3)
	v_lshlrev_b32_e32 v6, 20, v6
	v_lshl_add_u32 v9, v35, 23, 0x3c000000
	v_and_b32_e32 v7, 0x80000000, v7
	s_delay_alu instid0(VALU_DEP_1)
	v_or3_b32 v6, v6, v7, v9
.LBB464_2161:                           ;   in Loop: Header=BB464_1567 Depth=1
	s_or_b32 exec_lo, exec_lo, s13
.LBB464_2162:                           ;   in Loop: Header=BB464_1567 Depth=1
	s_delay_alu instid0(SALU_CYCLE_1)
	s_or_b32 exec_lo, exec_lo, s12
.LBB464_2163:                           ;   in Loop: Header=BB464_1567 Depth=1
	s_delay_alu instid0(SALU_CYCLE_1) | instskip(NEXT) | instid1(VALU_DEP_1)
	s_or_b32 exec_lo, exec_lo, s9
	v_mul_f32_e32 v6, v26, v6
                                        ; implicit-def: $vgpr34
	s_delay_alu instid0(VALU_DEP_1) | instskip(NEXT) | instid1(VALU_DEP_1)
	v_and_b32_e32 v7, 0x7f800000, v6
	v_cmp_ne_u32_e64 s0, 0x7f800000, v7
	s_delay_alu instid0(VALU_DEP_1) | instskip(NEXT) | instid1(SALU_CYCLE_1)
	s_and_saveexec_b32 s9, s0
	s_xor_b32 s0, exec_lo, s9
; %bb.2164:                             ;   in Loop: Header=BB464_1567 Depth=1
	v_bfe_u32 v7, v6, 16, 1
	s_delay_alu instid0(VALU_DEP_1)
	v_add3_u32 v34, v6, v7, 0x7fff
                                        ; implicit-def: $vgpr6
; %bb.2165:                             ;   in Loop: Header=BB464_1567 Depth=1
	s_and_not1_saveexec_b32 s9, s0
; %bb.2166:                             ;   in Loop: Header=BB464_1567 Depth=1
	v_and_b32_e32 v7, 0xffff, v6
	v_or_b32_e32 v9, 0x10000, v6
	s_delay_alu instid0(VALU_DEP_2) | instskip(NEXT) | instid1(VALU_DEP_1)
	v_cmp_eq_u32_e64 s0, 0, v7
	v_cndmask_b32_e64 v34, v9, v6, s0
; %bb.2167:                             ;   in Loop: Header=BB464_1567 Depth=1
	s_or_b32 exec_lo, exec_lo, s9
	v_dual_mov_b32 v6, 0 :: v_dual_and_b32 v7, 0xff, v3
	v_mov_b32_e32 v9, v3
	s_mov_b32 s9, exec_lo
	s_delay_alu instid0(VALU_DEP_2)
	v_cmpx_ne_u16_e32 0, v7
	s_cbranch_execz .LBB464_2175
; %bb.2168:                             ;   in Loop: Header=BB464_1567 Depth=1
	v_bfrev_b32_e32 v6, 1
	s_mov_b32 s12, exec_lo
	v_cmpx_ne_u16_e32 0x80, v7
	s_cbranch_execz .LBB464_2174
; %bb.2169:                             ;   in Loop: Header=BB464_1567 Depth=1
	v_and_b32_e32 v7, 0x7f, v3
	v_mov_b32_e32 v6, 0x7f800001
	s_mov_b32 s13, exec_lo
	s_delay_alu instid0(VALU_DEP_2)
	v_cmpx_ne_u32_e32 0x7f, v7
	s_cbranch_execz .LBB464_2173
; %bb.2170:                             ;   in Loop: Header=BB464_1567 Depth=1
	v_lshrrev_b32_e32 v35, 3, v7
	v_cmp_gt_u32_e64 s0, 8, v7
	v_dual_mov_b32 v6, v9 :: v_dual_mov_b32 v7, v10
	s_delay_alu instid0(VALU_DEP_2)
	s_and_saveexec_b32 s15, s0
; %bb.2171:                             ;   in Loop: Header=BB464_1567 Depth=1
	v_and_b32_e32 v6, 7, v3
	s_delay_alu instid0(VALU_DEP_1) | instskip(NEXT) | instid1(VALU_DEP_1)
	v_clz_i32_u32_e32 v6, v6
	v_min_u32_e32 v35, 32, v6
	s_delay_alu instid0(VALU_DEP_1) | instskip(SKIP_1) | instid1(VALU_DEP_2)
	v_subrev_nc_u32_e32 v6, 28, v35
	v_sub_nc_u32_e32 v35, 29, v35
	v_lshlrev_b64 v[6:7], v6, v[9:10]
; %bb.2172:                             ;   in Loop: Header=BB464_1567 Depth=1
	s_or_b32 exec_lo, exec_lo, s15
	s_delay_alu instid0(VALU_DEP_1) | instskip(SKIP_2) | instid1(VALU_DEP_3)
	v_lshlrev_b32_e32 v6, 20, v6
	v_lshlrev_b32_e32 v7, 24, v9
	v_lshl_add_u32 v35, v35, 23, 0x3c000000
	v_and_b32_e32 v6, 0x700000, v6
	s_delay_alu instid0(VALU_DEP_3) | instskip(NEXT) | instid1(VALU_DEP_1)
	v_and_b32_e32 v7, 0x80000000, v7
	v_or3_b32 v6, v6, v7, v35
.LBB464_2173:                           ;   in Loop: Header=BB464_1567 Depth=1
	s_or_b32 exec_lo, exec_lo, s13
.LBB464_2174:                           ;   in Loop: Header=BB464_1567 Depth=1
	s_delay_alu instid0(SALU_CYCLE_1)
	s_or_b32 exec_lo, exec_lo, s12
.LBB464_2175:                           ;   in Loop: Header=BB464_1567 Depth=1
	s_delay_alu instid0(SALU_CYCLE_1) | instskip(NEXT) | instid1(VALU_DEP_1)
	s_or_b32 exec_lo, exec_lo, s9
	v_mul_f32_e32 v6, v26, v6
                                        ; implicit-def: $vgpr35
	s_delay_alu instid0(VALU_DEP_1) | instskip(NEXT) | instid1(VALU_DEP_1)
	v_and_b32_e32 v7, 0x7f800000, v6
	v_cmp_ne_u32_e64 s0, 0x7f800000, v7
	s_delay_alu instid0(VALU_DEP_1) | instskip(NEXT) | instid1(SALU_CYCLE_1)
	s_and_saveexec_b32 s9, s0
	s_xor_b32 s0, exec_lo, s9
; %bb.2176:                             ;   in Loop: Header=BB464_1567 Depth=1
	v_bfe_u32 v7, v6, 16, 1
	s_delay_alu instid0(VALU_DEP_1)
	v_add3_u32 v35, v6, v7, 0x7fff
                                        ; implicit-def: $vgpr6
; %bb.2177:                             ;   in Loop: Header=BB464_1567 Depth=1
	s_and_not1_saveexec_b32 s9, s0
; %bb.2178:                             ;   in Loop: Header=BB464_1567 Depth=1
	v_and_b32_e32 v7, 0xffff, v6
	v_or_b32_e32 v35, 0x10000, v6
	s_delay_alu instid0(VALU_DEP_2) | instskip(NEXT) | instid1(VALU_DEP_1)
	v_cmp_eq_u32_e64 s0, 0, v7
	v_cndmask_b32_e64 v35, v35, v6, s0
; %bb.2179:                             ;   in Loop: Header=BB464_1567 Depth=1
	s_or_b32 exec_lo, exec_lo, s9
	v_lshrrev_b16 v7, 8, v9
	v_mov_b32_e32 v6, 0
	s_mov_b32 s9, exec_lo
	s_delay_alu instid0(VALU_DEP_2)
	v_cmpx_ne_u16_e32 0, v7
	s_cbranch_execz .LBB464_2187
; %bb.2180:                             ;   in Loop: Header=BB464_1567 Depth=1
	v_bfrev_b32_e32 v6, 1
	s_mov_b32 s12, exec_lo
	v_cmpx_ne_u16_e32 0x80, v7
	s_cbranch_execz .LBB464_2186
; %bb.2181:                             ;   in Loop: Header=BB464_1567 Depth=1
	v_and_b32_e32 v7, 0xffff, v7
	v_mov_b32_e32 v6, 0x7f800001
	s_mov_b32 s13, exec_lo
	s_delay_alu instid0(VALU_DEP_2) | instskip(NEXT) | instid1(VALU_DEP_1)
	v_and_b32_e32 v148, 0x7f, v7
	v_cmpx_ne_u32_e32 0x7f, v148
	s_cbranch_execz .LBB464_2185
; %bb.2182:                             ;   in Loop: Header=BB464_1567 Depth=1
	v_dual_mov_b32 v7, v10 :: v_dual_and_b32 v6, 7, v7
	v_lshrrev_b32_e32 v147, 3, v148
	s_mov_b32 s15, exec_lo
	v_cmpx_gt_u32_e32 8, v148
; %bb.2183:                             ;   in Loop: Header=BB464_1567 Depth=1
	s_delay_alu instid0(VALU_DEP_3) | instskip(NEXT) | instid1(VALU_DEP_1)
	v_clz_i32_u32_e32 v147, v6
	v_min_u32_e32 v147, 32, v147
	s_delay_alu instid0(VALU_DEP_1) | instskip(SKIP_1) | instid1(VALU_DEP_2)
	v_subrev_nc_u32_e32 v148, 28, v147
	v_sub_nc_u32_e32 v147, 29, v147
	v_lshlrev_b64 v[6:7], v148, v[6:7]
	s_delay_alu instid0(VALU_DEP_1)
	v_and_b32_e32 v6, 7, v6
; %bb.2184:                             ;   in Loop: Header=BB464_1567 Depth=1
	s_or_b32 exec_lo, exec_lo, s15
	v_lshlrev_b32_e32 v7, 16, v9
	s_delay_alu instid0(VALU_DEP_2) | instskip(SKIP_1) | instid1(VALU_DEP_3)
	v_lshlrev_b32_e32 v6, 20, v6
	v_lshl_add_u32 v9, v147, 23, 0x3c000000
	v_and_b32_e32 v7, 0x80000000, v7
	s_delay_alu instid0(VALU_DEP_1)
	v_or3_b32 v6, v6, v7, v9
.LBB464_2185:                           ;   in Loop: Header=BB464_1567 Depth=1
	s_or_b32 exec_lo, exec_lo, s13
.LBB464_2186:                           ;   in Loop: Header=BB464_1567 Depth=1
	s_delay_alu instid0(SALU_CYCLE_1)
	s_or_b32 exec_lo, exec_lo, s12
.LBB464_2187:                           ;   in Loop: Header=BB464_1567 Depth=1
	s_delay_alu instid0(SALU_CYCLE_1) | instskip(NEXT) | instid1(VALU_DEP_1)
	s_or_b32 exec_lo, exec_lo, s9
	v_mul_f32_e32 v6, v26, v6
                                        ; implicit-def: $vgpr147
	s_delay_alu instid0(VALU_DEP_1) | instskip(NEXT) | instid1(VALU_DEP_1)
	v_and_b32_e32 v7, 0x7f800000, v6
	v_cmp_ne_u32_e64 s0, 0x7f800000, v7
	s_delay_alu instid0(VALU_DEP_1) | instskip(NEXT) | instid1(SALU_CYCLE_1)
	s_and_saveexec_b32 s9, s0
	s_xor_b32 s0, exec_lo, s9
; %bb.2188:                             ;   in Loop: Header=BB464_1567 Depth=1
	v_bfe_u32 v7, v6, 16, 1
	s_delay_alu instid0(VALU_DEP_1)
	v_add3_u32 v147, v6, v7, 0x7fff
                                        ; implicit-def: $vgpr6
; %bb.2189:                             ;   in Loop: Header=BB464_1567 Depth=1
	s_and_not1_saveexec_b32 s9, s0
; %bb.2190:                             ;   in Loop: Header=BB464_1567 Depth=1
	v_and_b32_e32 v7, 0xffff, v6
	v_or_b32_e32 v9, 0x10000, v6
	s_delay_alu instid0(VALU_DEP_2) | instskip(NEXT) | instid1(VALU_DEP_1)
	v_cmp_eq_u32_e64 s0, 0, v7
	v_cndmask_b32_e64 v147, v9, v6, s0
; %bb.2191:                             ;   in Loop: Header=BB464_1567 Depth=1
	s_or_b32 exec_lo, exec_lo, s9
	v_lshrrev_b32_e32 v148, 16, v3
	s_mov_b32 s9, exec_lo
	s_delay_alu instid0(VALU_DEP_1) | instskip(NEXT) | instid1(VALU_DEP_1)
	v_dual_mov_b32 v6, 0 :: v_dual_and_b32 v7, 0xff, v148
	v_cmpx_ne_u16_e32 0, v7
	s_cbranch_execz .LBB464_2199
; %bb.2192:                             ;   in Loop: Header=BB464_1567 Depth=1
	v_bfrev_b32_e32 v6, 1
	s_mov_b32 s12, exec_lo
	v_cmpx_ne_u16_e32 0x80, v7
	s_cbranch_execz .LBB464_2198
; %bb.2193:                             ;   in Loop: Header=BB464_1567 Depth=1
	v_bfe_u32 v7, v3, 16, 7
	v_mov_b32_e32 v6, 0x7f800001
	s_mov_b32 s13, exec_lo
	s_delay_alu instid0(VALU_DEP_2)
	v_cmpx_ne_u32_e32 0x7f, v7
	s_cbranch_execz .LBB464_2197
; %bb.2194:                             ;   in Loop: Header=BB464_1567 Depth=1
	v_and_b32_e32 v9, 7, v148
	v_lshrrev_b32_e32 v149, 3, v7
	v_cmp_gt_u32_e64 s0, 8, v7
	s_delay_alu instid0(VALU_DEP_3) | instskip(NEXT) | instid1(VALU_DEP_2)
	v_dual_mov_b32 v6, v9 :: v_dual_mov_b32 v7, v10
	s_and_saveexec_b32 s15, s0
; %bb.2195:                             ;   in Loop: Header=BB464_1567 Depth=1
	v_clz_i32_u32_e32 v6, v9
	s_delay_alu instid0(VALU_DEP_1) | instskip(NEXT) | instid1(VALU_DEP_1)
	v_min_u32_e32 v149, 32, v6
	v_subrev_nc_u32_e32 v6, 28, v149
	v_sub_nc_u32_e32 v149, 29, v149
	s_delay_alu instid0(VALU_DEP_2) | instskip(NEXT) | instid1(VALU_DEP_1)
	v_lshlrev_b64 v[6:7], v6, v[9:10]
	v_and_b32_e32 v6, 7, v6
; %bb.2196:                             ;   in Loop: Header=BB464_1567 Depth=1
	s_or_b32 exec_lo, exec_lo, s15
	v_lshlrev_b32_e32 v7, 24, v148
	s_delay_alu instid0(VALU_DEP_2) | instskip(SKIP_1) | instid1(VALU_DEP_3)
	v_lshlrev_b32_e32 v6, 20, v6
	v_lshl_add_u32 v9, v149, 23, 0x3c000000
	v_and_b32_e32 v7, 0x80000000, v7
	s_delay_alu instid0(VALU_DEP_1)
	v_or3_b32 v6, v6, v7, v9
.LBB464_2197:                           ;   in Loop: Header=BB464_1567 Depth=1
	s_or_b32 exec_lo, exec_lo, s13
.LBB464_2198:                           ;   in Loop: Header=BB464_1567 Depth=1
	s_delay_alu instid0(SALU_CYCLE_1)
	s_or_b32 exec_lo, exec_lo, s12
.LBB464_2199:                           ;   in Loop: Header=BB464_1567 Depth=1
	s_delay_alu instid0(SALU_CYCLE_1) | instskip(NEXT) | instid1(VALU_DEP_1)
	s_or_b32 exec_lo, exec_lo, s9
	v_mul_f32_e32 v6, v26, v6
                                        ; implicit-def: $vgpr148
	s_delay_alu instid0(VALU_DEP_1) | instskip(NEXT) | instid1(VALU_DEP_1)
	v_and_b32_e32 v7, 0x7f800000, v6
	v_cmp_ne_u32_e64 s0, 0x7f800000, v7
	s_delay_alu instid0(VALU_DEP_1) | instskip(NEXT) | instid1(SALU_CYCLE_1)
	s_and_saveexec_b32 s9, s0
	s_xor_b32 s0, exec_lo, s9
; %bb.2200:                             ;   in Loop: Header=BB464_1567 Depth=1
	v_bfe_u32 v7, v6, 16, 1
	s_delay_alu instid0(VALU_DEP_1)
	v_add3_u32 v148, v6, v7, 0x7fff
                                        ; implicit-def: $vgpr6
; %bb.2201:                             ;   in Loop: Header=BB464_1567 Depth=1
	s_and_not1_saveexec_b32 s9, s0
; %bb.2202:                             ;   in Loop: Header=BB464_1567 Depth=1
	v_and_b32_e32 v7, 0xffff, v6
	v_or_b32_e32 v9, 0x10000, v6
	s_delay_alu instid0(VALU_DEP_2) | instskip(NEXT) | instid1(VALU_DEP_1)
	v_cmp_eq_u32_e64 s0, 0, v7
	v_cndmask_b32_e64 v148, v9, v6, s0
; %bb.2203:                             ;   in Loop: Header=BB464_1567 Depth=1
	s_or_b32 exec_lo, exec_lo, s9
	v_cmp_lt_u64_e64 s0, s[2:3], v[2:3]
	v_mov_b32_e32 v2, 0
	s_delay_alu instid0(VALU_DEP_2)
	s_and_saveexec_b32 s9, s0
	s_cbranch_execz .LBB464_2211
; %bb.2204:                             ;   in Loop: Header=BB464_1567 Depth=1
	v_lshrrev_b32_e32 v6, 24, v3
	v_bfrev_b32_e32 v2, 1
	s_mov_b32 s12, exec_lo
	s_delay_alu instid0(VALU_DEP_2)
	v_cmpx_ne_u32_e32 0x80, v6
	s_cbranch_execz .LBB464_2210
; %bb.2205:                             ;   in Loop: Header=BB464_1567 Depth=1
	v_bfe_u32 v3, v3, 24, 7
	v_mov_b32_e32 v2, 0x7f800001
	s_mov_b32 s13, exec_lo
	s_delay_alu instid0(VALU_DEP_2)
	v_cmpx_ne_u32_e32 0x7f, v3
	s_cbranch_execz .LBB464_2209
; %bb.2206:                             ;   in Loop: Header=BB464_1567 Depth=1
	v_and_b32_e32 v9, 7, v6
	v_lshrrev_b32_e32 v7, 3, v3
	v_cmp_gt_u32_e64 s0, 8, v3
	s_delay_alu instid0(VALU_DEP_3) | instskip(NEXT) | instid1(VALU_DEP_2)
	v_dual_mov_b32 v2, v9 :: v_dual_mov_b32 v3, v10
	s_and_saveexec_b32 s15, s0
; %bb.2207:                             ;   in Loop: Header=BB464_1567 Depth=1
	v_clz_i32_u32_e32 v2, v9
	s_delay_alu instid0(VALU_DEP_1) | instskip(NEXT) | instid1(VALU_DEP_1)
	v_min_u32_e32 v7, 32, v2
	v_subrev_nc_u32_e32 v2, 28, v7
	v_sub_nc_u32_e32 v7, 29, v7
	s_delay_alu instid0(VALU_DEP_2) | instskip(NEXT) | instid1(VALU_DEP_1)
	v_lshlrev_b64 v[2:3], v2, v[9:10]
	v_and_b32_e32 v2, 7, v2
; %bb.2208:                             ;   in Loop: Header=BB464_1567 Depth=1
	s_or_b32 exec_lo, exec_lo, s15
	v_lshlrev_b32_e32 v3, 24, v6
	s_delay_alu instid0(VALU_DEP_2) | instskip(SKIP_1) | instid1(VALU_DEP_3)
	v_lshlrev_b32_e32 v2, 20, v2
	v_lshl_add_u32 v6, v7, 23, 0x3c000000
	v_and_b32_e32 v3, 0x80000000, v3
	s_delay_alu instid0(VALU_DEP_1)
	v_or3_b32 v2, v2, v3, v6
.LBB464_2209:                           ;   in Loop: Header=BB464_1567 Depth=1
	s_or_b32 exec_lo, exec_lo, s13
.LBB464_2210:                           ;   in Loop: Header=BB464_1567 Depth=1
	s_delay_alu instid0(SALU_CYCLE_1)
	s_or_b32 exec_lo, exec_lo, s12
.LBB464_2211:                           ;   in Loop: Header=BB464_1567 Depth=1
	s_delay_alu instid0(SALU_CYCLE_1) | instskip(NEXT) | instid1(VALU_DEP_1)
	s_or_b32 exec_lo, exec_lo, s9
	v_mul_f32_e32 v3, v26, v2
	s_delay_alu instid0(VALU_DEP_1) | instskip(NEXT) | instid1(VALU_DEP_1)
	v_and_b32_e32 v2, 0x7f800000, v3
	v_cmp_ne_u32_e64 s0, 0x7f800000, v2
                                        ; implicit-def: $vgpr2
	s_delay_alu instid0(VALU_DEP_1) | instskip(NEXT) | instid1(SALU_CYCLE_1)
	s_and_saveexec_b32 s9, s0
	s_xor_b32 s0, exec_lo, s9
; %bb.2212:                             ;   in Loop: Header=BB464_1567 Depth=1
	v_bfe_u32 v2, v3, 16, 1
	s_delay_alu instid0(VALU_DEP_1)
	v_add3_u32 v2, v3, v2, 0x7fff
                                        ; implicit-def: $vgpr3
; %bb.2213:                             ;   in Loop: Header=BB464_1567 Depth=1
	s_and_not1_saveexec_b32 s9, s0
; %bb.2214:                             ;   in Loop: Header=BB464_1567 Depth=1
	v_and_b32_e32 v2, 0xffff, v3
	v_or_b32_e32 v6, 0x10000, v3
	s_delay_alu instid0(VALU_DEP_2) | instskip(NEXT) | instid1(VALU_DEP_1)
	v_cmp_eq_u32_e64 s0, 0, v2
	v_cndmask_b32_e64 v2, v6, v3, s0
; %bb.2215:                             ;   in Loop: Header=BB464_1567 Depth=1
	s_or_b32 exec_lo, exec_lo, s9
	v_lshrrev_b32_e32 v6, 16, v147
	v_lshrrev_b32_e32 v7, 16, v35
	;; [unrolled: 1-line block ×8, first 2 shown]
	s_and_saveexec_b32 s9, vcc_lo
	s_cbranch_execz .LBB464_2217
; %bb.2216:                             ;   in Loop: Header=BB464_1567 Depth=1
	v_cmp_lt_i32_e64 s0, v68, v36
	s_delay_alu instid0(VALU_DEP_1) | instskip(SKIP_1) | instid1(VALU_DEP_1)
	v_cndmask_b32_e64 v4, 0, v4, s0
	v_cmp_lt_i32_e64 s0, v82, v36
	v_cndmask_b32_e64 v5, 0, v5, s0
	v_cmp_lt_i32_e64 s0, v81, v36
	s_delay_alu instid0(VALU_DEP_1) | instskip(SKIP_1) | instid1(VALU_DEP_1)
	v_cndmask_b32_e64 v23, 0, v23, s0
	v_cmp_lt_i32_e64 s0, v80, v36
	v_cndmask_b32_e64 v9, 0, v9, s0
	;; [unrolled: 5-line block ×4, first 2 shown]
.LBB464_2217:                           ;   in Loop: Header=BB464_1567 Depth=1
	s_or_b32 exec_lo, exec_lo, s9
	v_lshlrev_b32_e32 v4, 16, v4
                                        ; implicit-def: $vgpr147
	s_delay_alu instid0(VALU_DEP_1) | instskip(NEXT) | instid1(VALU_DEP_1)
	v_mul_f32_e32 v4, v83, v4
	v_and_b32_e32 v34, 0x7f800000, v4
	s_delay_alu instid0(VALU_DEP_1) | instskip(NEXT) | instid1(VALU_DEP_1)
	v_cmp_ne_u32_e64 s0, 0x7f800000, v34
	s_and_saveexec_b32 s9, s0
	s_delay_alu instid0(SALU_CYCLE_1)
	s_xor_b32 s0, exec_lo, s9
; %bb.2218:                             ;   in Loop: Header=BB464_1567 Depth=1
	v_bfe_u32 v34, v4, 16, 1
	s_delay_alu instid0(VALU_DEP_1)
	v_add3_u32 v147, v4, v34, 0x7fff
                                        ; implicit-def: $vgpr4
; %bb.2219:                             ;   in Loop: Header=BB464_1567 Depth=1
	s_and_not1_saveexec_b32 s9, s0
; %bb.2220:                             ;   in Loop: Header=BB464_1567 Depth=1
	v_and_b32_e32 v34, 0xffff, v4
	v_or_b32_e32 v35, 0x10000, v4
	s_delay_alu instid0(VALU_DEP_2) | instskip(NEXT) | instid1(VALU_DEP_1)
	v_cmp_eq_u32_e64 s0, 0, v34
	v_cndmask_b32_e64 v147, v35, v4, s0
; %bb.2221:                             ;   in Loop: Header=BB464_1567 Depth=1
	s_or_b32 exec_lo, exec_lo, s9
	v_lshlrev_b32_e32 v4, 16, v5
                                        ; implicit-def: $vgpr148
	s_delay_alu instid0(VALU_DEP_1) | instskip(NEXT) | instid1(VALU_DEP_1)
	v_mul_f32_e32 v4, v84, v4
	v_and_b32_e32 v5, 0x7f800000, v4
	s_delay_alu instid0(VALU_DEP_1) | instskip(NEXT) | instid1(VALU_DEP_1)
	v_cmp_ne_u32_e64 s0, 0x7f800000, v5
	s_and_saveexec_b32 s9, s0
	s_delay_alu instid0(SALU_CYCLE_1)
	s_xor_b32 s0, exec_lo, s9
; %bb.2222:                             ;   in Loop: Header=BB464_1567 Depth=1
	v_bfe_u32 v5, v4, 16, 1
	s_delay_alu instid0(VALU_DEP_1)
	v_add3_u32 v148, v4, v5, 0x7fff
                                        ; implicit-def: $vgpr4
; %bb.2223:                             ;   in Loop: Header=BB464_1567 Depth=1
	s_and_not1_saveexec_b32 s9, s0
; %bb.2224:                             ;   in Loop: Header=BB464_1567 Depth=1
	v_and_b32_e32 v5, 0xffff, v4
	v_or_b32_e32 v34, 0x10000, v4
	s_delay_alu instid0(VALU_DEP_2) | instskip(NEXT) | instid1(VALU_DEP_1)
	v_cmp_eq_u32_e64 s0, 0, v5
	v_cndmask_b32_e64 v148, v34, v4, s0
; %bb.2225:                             ;   in Loop: Header=BB464_1567 Depth=1
	s_or_b32 exec_lo, exec_lo, s9
	v_lshlrev_b32_e32 v4, 16, v23
                                        ; implicit-def: $vgpr149
	s_delay_alu instid0(VALU_DEP_1) | instskip(NEXT) | instid1(VALU_DEP_1)
	v_mul_f32_e32 v4, v85, v4
	v_and_b32_e32 v5, 0x7f800000, v4
	s_delay_alu instid0(VALU_DEP_1) | instskip(NEXT) | instid1(VALU_DEP_1)
	v_cmp_ne_u32_e64 s0, 0x7f800000, v5
	s_and_saveexec_b32 s9, s0
	s_delay_alu instid0(SALU_CYCLE_1)
	s_xor_b32 s0, exec_lo, s9
; %bb.2226:                             ;   in Loop: Header=BB464_1567 Depth=1
	v_bfe_u32 v5, v4, 16, 1
	s_delay_alu instid0(VALU_DEP_1)
	v_add3_u32 v149, v4, v5, 0x7fff
                                        ; implicit-def: $vgpr4
; %bb.2227:                             ;   in Loop: Header=BB464_1567 Depth=1
	s_and_not1_saveexec_b32 s9, s0
; %bb.2228:                             ;   in Loop: Header=BB464_1567 Depth=1
	v_and_b32_e32 v5, 0xffff, v4
	v_or_b32_e32 v23, 0x10000, v4
	s_delay_alu instid0(VALU_DEP_2) | instskip(NEXT) | instid1(VALU_DEP_1)
	v_cmp_eq_u32_e64 s0, 0, v5
	v_cndmask_b32_e64 v149, v23, v4, s0
; %bb.2229:                             ;   in Loop: Header=BB464_1567 Depth=1
	s_or_b32 exec_lo, exec_lo, s9
	v_lshlrev_b32_e32 v4, 16, v9
                                        ; implicit-def: $vgpr150
	s_delay_alu instid0(VALU_DEP_1) | instskip(NEXT) | instid1(VALU_DEP_1)
	v_mul_f32_e32 v4, v86, v4
	v_and_b32_e32 v5, 0x7f800000, v4
	s_delay_alu instid0(VALU_DEP_1) | instskip(NEXT) | instid1(VALU_DEP_1)
	v_cmp_ne_u32_e64 s0, 0x7f800000, v5
	s_and_saveexec_b32 s9, s0
	s_delay_alu instid0(SALU_CYCLE_1)
	s_xor_b32 s0, exec_lo, s9
; %bb.2230:                             ;   in Loop: Header=BB464_1567 Depth=1
	v_bfe_u32 v5, v4, 16, 1
	s_delay_alu instid0(VALU_DEP_1)
	v_add3_u32 v150, v4, v5, 0x7fff
                                        ; implicit-def: $vgpr4
; %bb.2231:                             ;   in Loop: Header=BB464_1567 Depth=1
	s_and_not1_saveexec_b32 s9, s0
; %bb.2232:                             ;   in Loop: Header=BB464_1567 Depth=1
	v_and_b32_e32 v5, 0xffff, v4
	v_or_b32_e32 v9, 0x10000, v4
	s_delay_alu instid0(VALU_DEP_2) | instskip(NEXT) | instid1(VALU_DEP_1)
	v_cmp_eq_u32_e64 s0, 0, v5
	v_cndmask_b32_e64 v150, v9, v4, s0
; %bb.2233:                             ;   in Loop: Header=BB464_1567 Depth=1
	s_or_b32 exec_lo, exec_lo, s9
	v_lshlrev_b32_e32 v4, 16, v7
                                        ; implicit-def: $vgpr151
	s_delay_alu instid0(VALU_DEP_1) | instskip(NEXT) | instid1(VALU_DEP_1)
	v_mul_f32_e32 v4, v87, v4
	v_and_b32_e32 v5, 0x7f800000, v4
	s_delay_alu instid0(VALU_DEP_1) | instskip(NEXT) | instid1(VALU_DEP_1)
	v_cmp_ne_u32_e64 s0, 0x7f800000, v5
	s_and_saveexec_b32 s9, s0
	s_delay_alu instid0(SALU_CYCLE_1)
	s_xor_b32 s0, exec_lo, s9
; %bb.2234:                             ;   in Loop: Header=BB464_1567 Depth=1
	v_bfe_u32 v5, v4, 16, 1
	s_delay_alu instid0(VALU_DEP_1)
	v_add3_u32 v151, v4, v5, 0x7fff
                                        ; implicit-def: $vgpr4
; %bb.2235:                             ;   in Loop: Header=BB464_1567 Depth=1
	s_and_not1_saveexec_b32 s9, s0
; %bb.2236:                             ;   in Loop: Header=BB464_1567 Depth=1
	v_and_b32_e32 v5, 0xffff, v4
	v_or_b32_e32 v7, 0x10000, v4
	s_delay_alu instid0(VALU_DEP_2) | instskip(NEXT) | instid1(VALU_DEP_1)
	v_cmp_eq_u32_e64 s0, 0, v5
	v_cndmask_b32_e64 v151, v7, v4, s0
; %bb.2237:                             ;   in Loop: Header=BB464_1567 Depth=1
	s_or_b32 exec_lo, exec_lo, s9
	v_lshlrev_b32_e32 v4, 16, v6
                                        ; implicit-def: $vgpr160
	s_delay_alu instid0(VALU_DEP_1) | instskip(NEXT) | instid1(VALU_DEP_1)
	v_mul_f32_e32 v4, v96, v4
	v_and_b32_e32 v5, 0x7f800000, v4
	s_delay_alu instid0(VALU_DEP_1) | instskip(NEXT) | instid1(VALU_DEP_1)
	v_cmp_ne_u32_e64 s0, 0x7f800000, v5
	s_and_saveexec_b32 s9, s0
	s_delay_alu instid0(SALU_CYCLE_1)
	s_xor_b32 s0, exec_lo, s9
; %bb.2238:                             ;   in Loop: Header=BB464_1567 Depth=1
	v_bfe_u32 v5, v4, 16, 1
	s_delay_alu instid0(VALU_DEP_1)
	v_add3_u32 v160, v4, v5, 0x7fff
                                        ; implicit-def: $vgpr4
; %bb.2239:                             ;   in Loop: Header=BB464_1567 Depth=1
	s_and_not1_saveexec_b32 s9, s0
; %bb.2240:                             ;   in Loop: Header=BB464_1567 Depth=1
	v_and_b32_e32 v5, 0xffff, v4
	v_or_b32_e32 v6, 0x10000, v4
	s_delay_alu instid0(VALU_DEP_2) | instskip(NEXT) | instid1(VALU_DEP_1)
	v_cmp_eq_u32_e64 s0, 0, v5
	v_cndmask_b32_e64 v160, v6, v4, s0
; %bb.2241:                             ;   in Loop: Header=BB464_1567 Depth=1
	s_or_b32 exec_lo, exec_lo, s9
	v_lshlrev_b32_e32 v3, 16, v3
                                        ; implicit-def: $vgpr161
	s_delay_alu instid0(VALU_DEP_1) | instskip(NEXT) | instid1(VALU_DEP_1)
	v_mul_f32_e32 v3, v97, v3
	v_and_b32_e32 v4, 0x7f800000, v3
	s_delay_alu instid0(VALU_DEP_1) | instskip(NEXT) | instid1(VALU_DEP_1)
	v_cmp_ne_u32_e64 s0, 0x7f800000, v4
	s_and_saveexec_b32 s9, s0
	s_delay_alu instid0(SALU_CYCLE_1)
	s_xor_b32 s0, exec_lo, s9
; %bb.2242:                             ;   in Loop: Header=BB464_1567 Depth=1
	v_bfe_u32 v4, v3, 16, 1
	s_delay_alu instid0(VALU_DEP_1)
	v_add3_u32 v161, v3, v4, 0x7fff
                                        ; implicit-def: $vgpr3
; %bb.2243:                             ;   in Loop: Header=BB464_1567 Depth=1
	s_and_not1_saveexec_b32 s9, s0
; %bb.2244:                             ;   in Loop: Header=BB464_1567 Depth=1
	v_and_b32_e32 v4, 0xffff, v3
	v_or_b32_e32 v5, 0x10000, v3
	s_delay_alu instid0(VALU_DEP_2) | instskip(NEXT) | instid1(VALU_DEP_1)
	v_cmp_eq_u32_e64 s0, 0, v4
	v_cndmask_b32_e64 v161, v5, v3, s0
; %bb.2245:                             ;   in Loop: Header=BB464_1567 Depth=1
	s_or_b32 exec_lo, exec_lo, s9
	v_lshlrev_b32_e32 v2, 16, v2
                                        ; implicit-def: $vgpr162
	s_delay_alu instid0(VALU_DEP_1) | instskip(NEXT) | instid1(VALU_DEP_1)
	v_mul_f32_e32 v2, v98, v2
	v_and_b32_e32 v3, 0x7f800000, v2
	s_delay_alu instid0(VALU_DEP_1) | instskip(NEXT) | instid1(VALU_DEP_1)
	v_cmp_ne_u32_e64 s0, 0x7f800000, v3
	s_and_saveexec_b32 s9, s0
	s_delay_alu instid0(SALU_CYCLE_1)
	s_xor_b32 s0, exec_lo, s9
; %bb.2246:                             ;   in Loop: Header=BB464_1567 Depth=1
	v_bfe_u32 v3, v2, 16, 1
	s_delay_alu instid0(VALU_DEP_1)
	v_add3_u32 v162, v2, v3, 0x7fff
                                        ; implicit-def: $vgpr2
; %bb.2247:                             ;   in Loop: Header=BB464_1567 Depth=1
	s_and_not1_saveexec_b32 s9, s0
; %bb.2248:                             ;   in Loop: Header=BB464_1567 Depth=1
	v_and_b32_e32 v3, 0xffff, v2
	v_or_b32_e32 v4, 0x10000, v2
	s_delay_alu instid0(VALU_DEP_2) | instskip(NEXT) | instid1(VALU_DEP_1)
	v_cmp_eq_u32_e64 s0, 0, v3
	v_cndmask_b32_e64 v162, v4, v2, s0
; %bb.2249:                             ;   in Loop: Header=BB464_1567 Depth=1
	s_or_b32 exec_lo, exec_lo, s9
	flat_load_b64 v[2:3], v[0:1] offset:1280
	s_mov_b32 s9, exec_lo
	s_waitcnt vmcnt(0) lgkmcnt(0)
	v_dual_mov_b32 v4, 0 :: v_dual_and_b32 v5, 0xff, v2
	s_delay_alu instid0(VALU_DEP_1)
	v_cmpx_ne_u16_e32 0, v5
	s_cbranch_execz .LBB464_2257
; %bb.2250:                             ;   in Loop: Header=BB464_1567 Depth=1
	v_bfrev_b32_e32 v4, 1
	s_mov_b32 s12, exec_lo
	v_cmpx_ne_u16_e32 0x80, v5
	s_cbranch_execz .LBB464_2256
; %bb.2251:                             ;   in Loop: Header=BB464_1567 Depth=1
	v_and_b32_e32 v5, 0x7f, v2
	v_mov_b32_e32 v4, 0x7f800001
	s_mov_b32 s13, exec_lo
	s_delay_alu instid0(VALU_DEP_2)
	v_cmpx_ne_u32_e32 0x7f, v5
	s_cbranch_execz .LBB464_2255
; %bb.2252:                             ;   in Loop: Header=BB464_1567 Depth=1
	v_lshrrev_b32_e32 v4, 3, v5
	v_dual_mov_b32 v7, v3 :: v_dual_mov_b32 v6, v2
	s_mov_b32 s15, exec_lo
	v_cmpx_gt_u32_e32 8, v5
; %bb.2253:                             ;   in Loop: Header=BB464_1567 Depth=1
	v_and_b32_e32 v4, 7, v2
	s_delay_alu instid0(VALU_DEP_1) | instskip(NEXT) | instid1(VALU_DEP_1)
	v_clz_i32_u32_e32 v4, v4
	v_min_u32_e32 v4, 32, v4
	s_delay_alu instid0(VALU_DEP_1) | instskip(SKIP_1) | instid1(VALU_DEP_2)
	v_subrev_nc_u32_e32 v5, 28, v4
	v_sub_nc_u32_e32 v4, 29, v4
	v_lshlrev_b64 v[6:7], v5, v[2:3]
; %bb.2254:                             ;   in Loop: Header=BB464_1567 Depth=1
	s_or_b32 exec_lo, exec_lo, s15
	s_delay_alu instid0(VALU_DEP_1) | instskip(SKIP_2) | instid1(VALU_DEP_3)
	v_lshlrev_b32_e32 v5, 20, v6
	v_lshlrev_b32_e32 v6, 24, v2
	v_lshl_add_u32 v4, v4, 23, 0x3c000000
	v_and_b32_e32 v5, 0x700000, v5
	s_delay_alu instid0(VALU_DEP_3) | instskip(NEXT) | instid1(VALU_DEP_1)
	v_and_b32_e32 v6, 0x80000000, v6
	v_or3_b32 v4, v5, v6, v4
.LBB464_2255:                           ;   in Loop: Header=BB464_1567 Depth=1
	s_or_b32 exec_lo, exec_lo, s13
.LBB464_2256:                           ;   in Loop: Header=BB464_1567 Depth=1
	s_delay_alu instid0(SALU_CYCLE_1)
	s_or_b32 exec_lo, exec_lo, s12
.LBB464_2257:                           ;   in Loop: Header=BB464_1567 Depth=1
	s_delay_alu instid0(SALU_CYCLE_1) | instskip(NEXT) | instid1(VALU_DEP_1)
	s_or_b32 exec_lo, exec_lo, s9
	v_mul_f32_e32 v5, v26, v4
	s_delay_alu instid0(VALU_DEP_1) | instskip(NEXT) | instid1(VALU_DEP_1)
	v_and_b32_e32 v4, 0x7f800000, v5
	v_cmp_ne_u32_e64 s0, 0x7f800000, v4
                                        ; implicit-def: $vgpr4
	s_delay_alu instid0(VALU_DEP_1) | instskip(NEXT) | instid1(SALU_CYCLE_1)
	s_and_saveexec_b32 s9, s0
	s_xor_b32 s0, exec_lo, s9
; %bb.2258:                             ;   in Loop: Header=BB464_1567 Depth=1
	v_bfe_u32 v4, v5, 16, 1
	s_delay_alu instid0(VALU_DEP_1)
	v_add3_u32 v4, v5, v4, 0x7fff
                                        ; implicit-def: $vgpr5
; %bb.2259:                             ;   in Loop: Header=BB464_1567 Depth=1
	s_and_not1_saveexec_b32 s9, s0
; %bb.2260:                             ;   in Loop: Header=BB464_1567 Depth=1
	v_and_b32_e32 v4, 0xffff, v5
	v_or_b32_e32 v6, 0x10000, v5
	s_delay_alu instid0(VALU_DEP_2) | instskip(NEXT) | instid1(VALU_DEP_1)
	v_cmp_eq_u32_e64 s0, 0, v4
	v_cndmask_b32_e64 v4, v6, v5, s0
; %bb.2261:                             ;   in Loop: Header=BB464_1567 Depth=1
	s_or_b32 exec_lo, exec_lo, s9
	v_lshrrev_b16 v6, 8, v2
	v_mov_b32_e32 v5, 0
	s_mov_b32 s9, exec_lo
	s_delay_alu instid0(VALU_DEP_2)
	v_cmpx_ne_u16_e32 0, v6
	s_cbranch_execz .LBB464_2269
; %bb.2262:                             ;   in Loop: Header=BB464_1567 Depth=1
	v_bfrev_b32_e32 v5, 1
	s_mov_b32 s12, exec_lo
	v_cmpx_ne_u16_e32 0x80, v6
	s_cbranch_execz .LBB464_2268
; %bb.2263:                             ;   in Loop: Header=BB464_1567 Depth=1
	v_and_b32_e32 v7, 0xffff, v6
	v_mov_b32_e32 v5, 0x7f800001
	s_mov_b32 s13, exec_lo
	s_delay_alu instid0(VALU_DEP_2) | instskip(NEXT) | instid1(VALU_DEP_1)
	v_and_b32_e32 v6, 0x7f, v7
	v_cmpx_ne_u32_e32 0x7f, v6
	s_cbranch_execz .LBB464_2267
; %bb.2264:                             ;   in Loop: Header=BB464_1567 Depth=1
	v_and_b32_e32 v9, 7, v7
	v_lshrrev_b32_e32 v5, 3, v6
	v_cmp_gt_u32_e64 s0, 8, v6
	s_delay_alu instid0(VALU_DEP_3) | instskip(NEXT) | instid1(VALU_DEP_2)
	v_dual_mov_b32 v6, v9 :: v_dual_mov_b32 v7, v10
	s_and_saveexec_b32 s15, s0
; %bb.2265:                             ;   in Loop: Header=BB464_1567 Depth=1
	v_clz_i32_u32_e32 v5, v9
	s_delay_alu instid0(VALU_DEP_1) | instskip(NEXT) | instid1(VALU_DEP_1)
	v_min_u32_e32 v5, 32, v5
	v_subrev_nc_u32_e32 v6, 28, v5
	v_sub_nc_u32_e32 v5, 29, v5
	s_delay_alu instid0(VALU_DEP_2) | instskip(NEXT) | instid1(VALU_DEP_1)
	v_lshlrev_b64 v[6:7], v6, v[9:10]
	v_and_b32_e32 v6, 7, v6
; %bb.2266:                             ;   in Loop: Header=BB464_1567 Depth=1
	s_or_b32 exec_lo, exec_lo, s15
	v_lshlrev_b32_e32 v7, 16, v2
	s_delay_alu instid0(VALU_DEP_2) | instskip(SKIP_1) | instid1(VALU_DEP_3)
	v_lshlrev_b32_e32 v6, 20, v6
	v_lshl_add_u32 v5, v5, 23, 0x3c000000
	v_and_b32_e32 v7, 0x80000000, v7
	s_delay_alu instid0(VALU_DEP_1)
	v_or3_b32 v5, v6, v7, v5
.LBB464_2267:                           ;   in Loop: Header=BB464_1567 Depth=1
	s_or_b32 exec_lo, exec_lo, s13
.LBB464_2268:                           ;   in Loop: Header=BB464_1567 Depth=1
	s_delay_alu instid0(SALU_CYCLE_1)
	s_or_b32 exec_lo, exec_lo, s12
.LBB464_2269:                           ;   in Loop: Header=BB464_1567 Depth=1
	s_delay_alu instid0(SALU_CYCLE_1) | instskip(NEXT) | instid1(VALU_DEP_1)
	s_or_b32 exec_lo, exec_lo, s9
	v_mul_f32_e32 v6, v26, v5
	s_delay_alu instid0(VALU_DEP_1) | instskip(NEXT) | instid1(VALU_DEP_1)
	v_and_b32_e32 v5, 0x7f800000, v6
	v_cmp_ne_u32_e64 s0, 0x7f800000, v5
                                        ; implicit-def: $vgpr5
	s_delay_alu instid0(VALU_DEP_1) | instskip(NEXT) | instid1(SALU_CYCLE_1)
	s_and_saveexec_b32 s9, s0
	s_xor_b32 s0, exec_lo, s9
; %bb.2270:                             ;   in Loop: Header=BB464_1567 Depth=1
	v_bfe_u32 v5, v6, 16, 1
	s_delay_alu instid0(VALU_DEP_1)
	v_add3_u32 v5, v6, v5, 0x7fff
                                        ; implicit-def: $vgpr6
; %bb.2271:                             ;   in Loop: Header=BB464_1567 Depth=1
	s_and_not1_saveexec_b32 s9, s0
; %bb.2272:                             ;   in Loop: Header=BB464_1567 Depth=1
	v_and_b32_e32 v5, 0xffff, v6
	v_or_b32_e32 v7, 0x10000, v6
	s_delay_alu instid0(VALU_DEP_2) | instskip(NEXT) | instid1(VALU_DEP_1)
	v_cmp_eq_u32_e64 s0, 0, v5
	v_cndmask_b32_e64 v5, v7, v6, s0
; %bb.2273:                             ;   in Loop: Header=BB464_1567 Depth=1
	s_or_b32 exec_lo, exec_lo, s9
	v_lshrrev_b32_e32 v23, 16, v2
	s_mov_b32 s9, exec_lo
	s_delay_alu instid0(VALU_DEP_1) | instskip(NEXT) | instid1(VALU_DEP_1)
	v_dual_mov_b32 v6, 0 :: v_dual_and_b32 v7, 0xff, v23
	v_cmpx_ne_u16_e32 0, v7
	s_cbranch_execz .LBB464_2281
; %bb.2274:                             ;   in Loop: Header=BB464_1567 Depth=1
	v_bfrev_b32_e32 v6, 1
	s_mov_b32 s12, exec_lo
	v_cmpx_ne_u16_e32 0x80, v7
	s_cbranch_execz .LBB464_2280
; %bb.2275:                             ;   in Loop: Header=BB464_1567 Depth=1
	v_bfe_u32 v7, v2, 16, 7
	v_mov_b32_e32 v6, 0x7f800001
	s_mov_b32 s13, exec_lo
	s_delay_alu instid0(VALU_DEP_2)
	v_cmpx_ne_u32_e32 0x7f, v7
	s_cbranch_execz .LBB464_2279
; %bb.2276:                             ;   in Loop: Header=BB464_1567 Depth=1
	v_and_b32_e32 v9, 7, v23
	v_lshrrev_b32_e32 v34, 3, v7
	v_cmp_gt_u32_e64 s0, 8, v7
	s_delay_alu instid0(VALU_DEP_3) | instskip(NEXT) | instid1(VALU_DEP_2)
	v_dual_mov_b32 v6, v9 :: v_dual_mov_b32 v7, v10
	s_and_saveexec_b32 s15, s0
; %bb.2277:                             ;   in Loop: Header=BB464_1567 Depth=1
	v_clz_i32_u32_e32 v6, v9
	s_delay_alu instid0(VALU_DEP_1) | instskip(NEXT) | instid1(VALU_DEP_1)
	v_min_u32_e32 v34, 32, v6
	v_subrev_nc_u32_e32 v6, 28, v34
	v_sub_nc_u32_e32 v34, 29, v34
	s_delay_alu instid0(VALU_DEP_2) | instskip(NEXT) | instid1(VALU_DEP_1)
	v_lshlrev_b64 v[6:7], v6, v[9:10]
	v_and_b32_e32 v6, 7, v6
; %bb.2278:                             ;   in Loop: Header=BB464_1567 Depth=1
	s_or_b32 exec_lo, exec_lo, s15
	v_lshlrev_b32_e32 v7, 24, v23
	s_delay_alu instid0(VALU_DEP_2) | instskip(SKIP_1) | instid1(VALU_DEP_3)
	v_lshlrev_b32_e32 v6, 20, v6
	v_lshl_add_u32 v9, v34, 23, 0x3c000000
	v_and_b32_e32 v7, 0x80000000, v7
	s_delay_alu instid0(VALU_DEP_1)
	v_or3_b32 v6, v6, v7, v9
.LBB464_2279:                           ;   in Loop: Header=BB464_1567 Depth=1
	s_or_b32 exec_lo, exec_lo, s13
.LBB464_2280:                           ;   in Loop: Header=BB464_1567 Depth=1
	s_delay_alu instid0(SALU_CYCLE_1)
	s_or_b32 exec_lo, exec_lo, s12
.LBB464_2281:                           ;   in Loop: Header=BB464_1567 Depth=1
	s_delay_alu instid0(SALU_CYCLE_1) | instskip(NEXT) | instid1(VALU_DEP_1)
	s_or_b32 exec_lo, exec_lo, s9
	v_mul_f32_e32 v6, v26, v6
                                        ; implicit-def: $vgpr23
	s_delay_alu instid0(VALU_DEP_1) | instskip(NEXT) | instid1(VALU_DEP_1)
	v_and_b32_e32 v7, 0x7f800000, v6
	v_cmp_ne_u32_e64 s0, 0x7f800000, v7
	s_delay_alu instid0(VALU_DEP_1) | instskip(NEXT) | instid1(SALU_CYCLE_1)
	s_and_saveexec_b32 s9, s0
	s_xor_b32 s0, exec_lo, s9
; %bb.2282:                             ;   in Loop: Header=BB464_1567 Depth=1
	v_bfe_u32 v7, v6, 16, 1
	s_delay_alu instid0(VALU_DEP_1)
	v_add3_u32 v23, v6, v7, 0x7fff
                                        ; implicit-def: $vgpr6
; %bb.2283:                             ;   in Loop: Header=BB464_1567 Depth=1
	s_and_not1_saveexec_b32 s9, s0
; %bb.2284:                             ;   in Loop: Header=BB464_1567 Depth=1
	v_and_b32_e32 v7, 0xffff, v6
	v_or_b32_e32 v9, 0x10000, v6
	s_delay_alu instid0(VALU_DEP_2) | instskip(NEXT) | instid1(VALU_DEP_1)
	v_cmp_eq_u32_e64 s0, 0, v7
	v_cndmask_b32_e64 v23, v9, v6, s0
; %bb.2285:                             ;   in Loop: Header=BB464_1567 Depth=1
	s_or_b32 exec_lo, exec_lo, s9
	v_mov_b32_e32 v6, 0
	s_mov_b32 s9, exec_lo
	v_cmpx_lt_u32_e32 0xffffff, v2
	s_cbranch_execz .LBB464_2293
; %bb.2286:                             ;   in Loop: Header=BB464_1567 Depth=1
	v_lshrrev_b32_e32 v34, 24, v2
	v_bfrev_b32_e32 v6, 1
	s_mov_b32 s12, exec_lo
	s_delay_alu instid0(VALU_DEP_2)
	v_cmpx_ne_u32_e32 0x80, v34
	s_cbranch_execz .LBB464_2292
; %bb.2287:                             ;   in Loop: Header=BB464_1567 Depth=1
	v_bfe_u32 v7, v2, 24, 7
	v_mov_b32_e32 v6, 0x7f800001
	s_mov_b32 s13, exec_lo
	s_delay_alu instid0(VALU_DEP_2)
	v_cmpx_ne_u32_e32 0x7f, v7
	s_cbranch_execz .LBB464_2291
; %bb.2288:                             ;   in Loop: Header=BB464_1567 Depth=1
	v_and_b32_e32 v9, 7, v34
	v_lshrrev_b32_e32 v35, 3, v7
	v_cmp_gt_u32_e64 s0, 8, v7
	s_delay_alu instid0(VALU_DEP_3) | instskip(NEXT) | instid1(VALU_DEP_2)
	v_dual_mov_b32 v6, v9 :: v_dual_mov_b32 v7, v10
	s_and_saveexec_b32 s15, s0
; %bb.2289:                             ;   in Loop: Header=BB464_1567 Depth=1
	v_clz_i32_u32_e32 v6, v9
	s_delay_alu instid0(VALU_DEP_1) | instskip(NEXT) | instid1(VALU_DEP_1)
	v_min_u32_e32 v35, 32, v6
	v_subrev_nc_u32_e32 v6, 28, v35
	v_sub_nc_u32_e32 v35, 29, v35
	s_delay_alu instid0(VALU_DEP_2) | instskip(NEXT) | instid1(VALU_DEP_1)
	v_lshlrev_b64 v[6:7], v6, v[9:10]
	v_and_b32_e32 v6, 7, v6
; %bb.2290:                             ;   in Loop: Header=BB464_1567 Depth=1
	s_or_b32 exec_lo, exec_lo, s15
	v_lshlrev_b32_e32 v7, 24, v34
	s_delay_alu instid0(VALU_DEP_2) | instskip(SKIP_1) | instid1(VALU_DEP_3)
	v_lshlrev_b32_e32 v6, 20, v6
	v_lshl_add_u32 v9, v35, 23, 0x3c000000
	v_and_b32_e32 v7, 0x80000000, v7
	s_delay_alu instid0(VALU_DEP_1)
	v_or3_b32 v6, v6, v7, v9
.LBB464_2291:                           ;   in Loop: Header=BB464_1567 Depth=1
	s_or_b32 exec_lo, exec_lo, s13
.LBB464_2292:                           ;   in Loop: Header=BB464_1567 Depth=1
	s_delay_alu instid0(SALU_CYCLE_1)
	s_or_b32 exec_lo, exec_lo, s12
.LBB464_2293:                           ;   in Loop: Header=BB464_1567 Depth=1
	s_delay_alu instid0(SALU_CYCLE_1) | instskip(NEXT) | instid1(VALU_DEP_1)
	s_or_b32 exec_lo, exec_lo, s9
	v_mul_f32_e32 v6, v26, v6
                                        ; implicit-def: $vgpr34
	s_delay_alu instid0(VALU_DEP_1) | instskip(NEXT) | instid1(VALU_DEP_1)
	v_and_b32_e32 v7, 0x7f800000, v6
	v_cmp_ne_u32_e64 s0, 0x7f800000, v7
	s_delay_alu instid0(VALU_DEP_1) | instskip(NEXT) | instid1(SALU_CYCLE_1)
	s_and_saveexec_b32 s9, s0
	s_xor_b32 s0, exec_lo, s9
; %bb.2294:                             ;   in Loop: Header=BB464_1567 Depth=1
	v_bfe_u32 v7, v6, 16, 1
	s_delay_alu instid0(VALU_DEP_1)
	v_add3_u32 v34, v6, v7, 0x7fff
                                        ; implicit-def: $vgpr6
; %bb.2295:                             ;   in Loop: Header=BB464_1567 Depth=1
	s_and_not1_saveexec_b32 s9, s0
; %bb.2296:                             ;   in Loop: Header=BB464_1567 Depth=1
	v_and_b32_e32 v7, 0xffff, v6
	v_or_b32_e32 v9, 0x10000, v6
	s_delay_alu instid0(VALU_DEP_2) | instskip(NEXT) | instid1(VALU_DEP_1)
	v_cmp_eq_u32_e64 s0, 0, v7
	v_cndmask_b32_e64 v34, v9, v6, s0
; %bb.2297:                             ;   in Loop: Header=BB464_1567 Depth=1
	s_or_b32 exec_lo, exec_lo, s9
	v_dual_mov_b32 v6, 0 :: v_dual_and_b32 v7, 0xff, v3
	v_mov_b32_e32 v9, v3
	s_mov_b32 s9, exec_lo
	s_delay_alu instid0(VALU_DEP_2)
	v_cmpx_ne_u16_e32 0, v7
	s_cbranch_execz .LBB464_2305
; %bb.2298:                             ;   in Loop: Header=BB464_1567 Depth=1
	v_bfrev_b32_e32 v6, 1
	s_mov_b32 s12, exec_lo
	v_cmpx_ne_u16_e32 0x80, v7
	s_cbranch_execz .LBB464_2304
; %bb.2299:                             ;   in Loop: Header=BB464_1567 Depth=1
	v_and_b32_e32 v7, 0x7f, v3
	v_mov_b32_e32 v6, 0x7f800001
	s_mov_b32 s13, exec_lo
	s_delay_alu instid0(VALU_DEP_2)
	v_cmpx_ne_u32_e32 0x7f, v7
	s_cbranch_execz .LBB464_2303
; %bb.2300:                             ;   in Loop: Header=BB464_1567 Depth=1
	v_lshrrev_b32_e32 v35, 3, v7
	v_cmp_gt_u32_e64 s0, 8, v7
	v_dual_mov_b32 v6, v9 :: v_dual_mov_b32 v7, v10
	s_delay_alu instid0(VALU_DEP_2)
	s_and_saveexec_b32 s15, s0
; %bb.2301:                             ;   in Loop: Header=BB464_1567 Depth=1
	v_and_b32_e32 v6, 7, v3
	s_delay_alu instid0(VALU_DEP_1) | instskip(NEXT) | instid1(VALU_DEP_1)
	v_clz_i32_u32_e32 v6, v6
	v_min_u32_e32 v35, 32, v6
	s_delay_alu instid0(VALU_DEP_1) | instskip(SKIP_1) | instid1(VALU_DEP_2)
	v_subrev_nc_u32_e32 v6, 28, v35
	v_sub_nc_u32_e32 v35, 29, v35
	v_lshlrev_b64 v[6:7], v6, v[9:10]
; %bb.2302:                             ;   in Loop: Header=BB464_1567 Depth=1
	s_or_b32 exec_lo, exec_lo, s15
	s_delay_alu instid0(VALU_DEP_1) | instskip(SKIP_2) | instid1(VALU_DEP_3)
	v_lshlrev_b32_e32 v6, 20, v6
	v_lshlrev_b32_e32 v7, 24, v9
	v_lshl_add_u32 v35, v35, 23, 0x3c000000
	v_and_b32_e32 v6, 0x700000, v6
	s_delay_alu instid0(VALU_DEP_3) | instskip(NEXT) | instid1(VALU_DEP_1)
	v_and_b32_e32 v7, 0x80000000, v7
	v_or3_b32 v6, v6, v7, v35
.LBB464_2303:                           ;   in Loop: Header=BB464_1567 Depth=1
	s_or_b32 exec_lo, exec_lo, s13
.LBB464_2304:                           ;   in Loop: Header=BB464_1567 Depth=1
	s_delay_alu instid0(SALU_CYCLE_1)
	s_or_b32 exec_lo, exec_lo, s12
.LBB464_2305:                           ;   in Loop: Header=BB464_1567 Depth=1
	s_delay_alu instid0(SALU_CYCLE_1) | instskip(NEXT) | instid1(VALU_DEP_1)
	s_or_b32 exec_lo, exec_lo, s9
	v_mul_f32_e32 v6, v26, v6
                                        ; implicit-def: $vgpr35
	s_delay_alu instid0(VALU_DEP_1) | instskip(NEXT) | instid1(VALU_DEP_1)
	v_and_b32_e32 v7, 0x7f800000, v6
	v_cmp_ne_u32_e64 s0, 0x7f800000, v7
	s_delay_alu instid0(VALU_DEP_1) | instskip(NEXT) | instid1(SALU_CYCLE_1)
	s_and_saveexec_b32 s9, s0
	s_xor_b32 s0, exec_lo, s9
; %bb.2306:                             ;   in Loop: Header=BB464_1567 Depth=1
	v_bfe_u32 v7, v6, 16, 1
	s_delay_alu instid0(VALU_DEP_1)
	v_add3_u32 v35, v6, v7, 0x7fff
                                        ; implicit-def: $vgpr6
; %bb.2307:                             ;   in Loop: Header=BB464_1567 Depth=1
	s_and_not1_saveexec_b32 s9, s0
; %bb.2308:                             ;   in Loop: Header=BB464_1567 Depth=1
	v_and_b32_e32 v7, 0xffff, v6
	v_or_b32_e32 v35, 0x10000, v6
	s_delay_alu instid0(VALU_DEP_2) | instskip(NEXT) | instid1(VALU_DEP_1)
	v_cmp_eq_u32_e64 s0, 0, v7
	v_cndmask_b32_e64 v35, v35, v6, s0
; %bb.2309:                             ;   in Loop: Header=BB464_1567 Depth=1
	s_or_b32 exec_lo, exec_lo, s9
	v_lshrrev_b16 v7, 8, v9
	v_mov_b32_e32 v6, 0
	s_mov_b32 s9, exec_lo
	s_delay_alu instid0(VALU_DEP_2)
	v_cmpx_ne_u16_e32 0, v7
	s_cbranch_execz .LBB464_2317
; %bb.2310:                             ;   in Loop: Header=BB464_1567 Depth=1
	v_bfrev_b32_e32 v6, 1
	s_mov_b32 s12, exec_lo
	v_cmpx_ne_u16_e32 0x80, v7
	s_cbranch_execz .LBB464_2316
; %bb.2311:                             ;   in Loop: Header=BB464_1567 Depth=1
	v_and_b32_e32 v7, 0xffff, v7
	v_mov_b32_e32 v6, 0x7f800001
	s_mov_b32 s13, exec_lo
	s_delay_alu instid0(VALU_DEP_2) | instskip(NEXT) | instid1(VALU_DEP_1)
	v_and_b32_e32 v164, 0x7f, v7
	v_cmpx_ne_u32_e32 0x7f, v164
	s_cbranch_execz .LBB464_2315
; %bb.2312:                             ;   in Loop: Header=BB464_1567 Depth=1
	v_dual_mov_b32 v7, v10 :: v_dual_and_b32 v6, 7, v7
	v_lshrrev_b32_e32 v163, 3, v164
	s_mov_b32 s15, exec_lo
	v_cmpx_gt_u32_e32 8, v164
; %bb.2313:                             ;   in Loop: Header=BB464_1567 Depth=1
	s_delay_alu instid0(VALU_DEP_3) | instskip(NEXT) | instid1(VALU_DEP_1)
	v_clz_i32_u32_e32 v163, v6
	v_min_u32_e32 v163, 32, v163
	s_delay_alu instid0(VALU_DEP_1) | instskip(SKIP_1) | instid1(VALU_DEP_2)
	v_subrev_nc_u32_e32 v164, 28, v163
	v_sub_nc_u32_e32 v163, 29, v163
	v_lshlrev_b64 v[6:7], v164, v[6:7]
	s_delay_alu instid0(VALU_DEP_1)
	v_and_b32_e32 v6, 7, v6
; %bb.2314:                             ;   in Loop: Header=BB464_1567 Depth=1
	s_or_b32 exec_lo, exec_lo, s15
	v_lshlrev_b32_e32 v7, 16, v9
	s_delay_alu instid0(VALU_DEP_2) | instskip(SKIP_1) | instid1(VALU_DEP_3)
	v_lshlrev_b32_e32 v6, 20, v6
	v_lshl_add_u32 v9, v163, 23, 0x3c000000
	v_and_b32_e32 v7, 0x80000000, v7
	s_delay_alu instid0(VALU_DEP_1)
	v_or3_b32 v6, v6, v7, v9
.LBB464_2315:                           ;   in Loop: Header=BB464_1567 Depth=1
	s_or_b32 exec_lo, exec_lo, s13
.LBB464_2316:                           ;   in Loop: Header=BB464_1567 Depth=1
	s_delay_alu instid0(SALU_CYCLE_1)
	s_or_b32 exec_lo, exec_lo, s12
.LBB464_2317:                           ;   in Loop: Header=BB464_1567 Depth=1
	s_delay_alu instid0(SALU_CYCLE_1) | instskip(NEXT) | instid1(VALU_DEP_1)
	s_or_b32 exec_lo, exec_lo, s9
	v_mul_f32_e32 v6, v26, v6
                                        ; implicit-def: $vgpr163
	s_delay_alu instid0(VALU_DEP_1) | instskip(NEXT) | instid1(VALU_DEP_1)
	v_and_b32_e32 v7, 0x7f800000, v6
	v_cmp_ne_u32_e64 s0, 0x7f800000, v7
	s_delay_alu instid0(VALU_DEP_1) | instskip(NEXT) | instid1(SALU_CYCLE_1)
	s_and_saveexec_b32 s9, s0
	s_xor_b32 s0, exec_lo, s9
; %bb.2318:                             ;   in Loop: Header=BB464_1567 Depth=1
	v_bfe_u32 v7, v6, 16, 1
	s_delay_alu instid0(VALU_DEP_1)
	v_add3_u32 v163, v6, v7, 0x7fff
                                        ; implicit-def: $vgpr6
; %bb.2319:                             ;   in Loop: Header=BB464_1567 Depth=1
	s_and_not1_saveexec_b32 s9, s0
; %bb.2320:                             ;   in Loop: Header=BB464_1567 Depth=1
	v_and_b32_e32 v7, 0xffff, v6
	v_or_b32_e32 v9, 0x10000, v6
	s_delay_alu instid0(VALU_DEP_2) | instskip(NEXT) | instid1(VALU_DEP_1)
	v_cmp_eq_u32_e64 s0, 0, v7
	v_cndmask_b32_e64 v163, v9, v6, s0
; %bb.2321:                             ;   in Loop: Header=BB464_1567 Depth=1
	s_or_b32 exec_lo, exec_lo, s9
	v_lshrrev_b32_e32 v164, 16, v3
	s_mov_b32 s9, exec_lo
	s_delay_alu instid0(VALU_DEP_1) | instskip(NEXT) | instid1(VALU_DEP_1)
	v_dual_mov_b32 v6, 0 :: v_dual_and_b32 v7, 0xff, v164
	v_cmpx_ne_u16_e32 0, v7
	s_cbranch_execz .LBB464_2329
; %bb.2322:                             ;   in Loop: Header=BB464_1567 Depth=1
	v_bfrev_b32_e32 v6, 1
	s_mov_b32 s12, exec_lo
	v_cmpx_ne_u16_e32 0x80, v7
	s_cbranch_execz .LBB464_2328
; %bb.2323:                             ;   in Loop: Header=BB464_1567 Depth=1
	v_bfe_u32 v7, v3, 16, 7
	v_mov_b32_e32 v6, 0x7f800001
	s_mov_b32 s13, exec_lo
	s_delay_alu instid0(VALU_DEP_2)
	v_cmpx_ne_u32_e32 0x7f, v7
	s_cbranch_execz .LBB464_2327
; %bb.2324:                             ;   in Loop: Header=BB464_1567 Depth=1
	v_and_b32_e32 v9, 7, v164
	v_lshrrev_b32_e32 v165, 3, v7
	v_cmp_gt_u32_e64 s0, 8, v7
	s_delay_alu instid0(VALU_DEP_3) | instskip(NEXT) | instid1(VALU_DEP_2)
	v_dual_mov_b32 v6, v9 :: v_dual_mov_b32 v7, v10
	s_and_saveexec_b32 s15, s0
; %bb.2325:                             ;   in Loop: Header=BB464_1567 Depth=1
	v_clz_i32_u32_e32 v6, v9
	s_delay_alu instid0(VALU_DEP_1) | instskip(NEXT) | instid1(VALU_DEP_1)
	v_min_u32_e32 v165, 32, v6
	v_subrev_nc_u32_e32 v6, 28, v165
	v_sub_nc_u32_e32 v165, 29, v165
	s_delay_alu instid0(VALU_DEP_2) | instskip(NEXT) | instid1(VALU_DEP_1)
	v_lshlrev_b64 v[6:7], v6, v[9:10]
	v_and_b32_e32 v6, 7, v6
; %bb.2326:                             ;   in Loop: Header=BB464_1567 Depth=1
	s_or_b32 exec_lo, exec_lo, s15
	v_lshlrev_b32_e32 v7, 24, v164
	s_delay_alu instid0(VALU_DEP_2) | instskip(SKIP_1) | instid1(VALU_DEP_3)
	v_lshlrev_b32_e32 v6, 20, v6
	v_lshl_add_u32 v9, v165, 23, 0x3c000000
	v_and_b32_e32 v7, 0x80000000, v7
	s_delay_alu instid0(VALU_DEP_1)
	v_or3_b32 v6, v6, v7, v9
.LBB464_2327:                           ;   in Loop: Header=BB464_1567 Depth=1
	s_or_b32 exec_lo, exec_lo, s13
.LBB464_2328:                           ;   in Loop: Header=BB464_1567 Depth=1
	s_delay_alu instid0(SALU_CYCLE_1)
	s_or_b32 exec_lo, exec_lo, s12
.LBB464_2329:                           ;   in Loop: Header=BB464_1567 Depth=1
	s_delay_alu instid0(SALU_CYCLE_1) | instskip(NEXT) | instid1(VALU_DEP_1)
	s_or_b32 exec_lo, exec_lo, s9
	v_mul_f32_e32 v6, v26, v6
                                        ; implicit-def: $vgpr164
	s_delay_alu instid0(VALU_DEP_1) | instskip(NEXT) | instid1(VALU_DEP_1)
	v_and_b32_e32 v7, 0x7f800000, v6
	v_cmp_ne_u32_e64 s0, 0x7f800000, v7
	s_delay_alu instid0(VALU_DEP_1) | instskip(NEXT) | instid1(SALU_CYCLE_1)
	s_and_saveexec_b32 s9, s0
	s_xor_b32 s0, exec_lo, s9
; %bb.2330:                             ;   in Loop: Header=BB464_1567 Depth=1
	v_bfe_u32 v7, v6, 16, 1
	s_delay_alu instid0(VALU_DEP_1)
	v_add3_u32 v164, v6, v7, 0x7fff
                                        ; implicit-def: $vgpr6
; %bb.2331:                             ;   in Loop: Header=BB464_1567 Depth=1
	s_and_not1_saveexec_b32 s9, s0
; %bb.2332:                             ;   in Loop: Header=BB464_1567 Depth=1
	v_and_b32_e32 v7, 0xffff, v6
	v_or_b32_e32 v9, 0x10000, v6
	s_delay_alu instid0(VALU_DEP_2) | instskip(NEXT) | instid1(VALU_DEP_1)
	v_cmp_eq_u32_e64 s0, 0, v7
	v_cndmask_b32_e64 v164, v9, v6, s0
; %bb.2333:                             ;   in Loop: Header=BB464_1567 Depth=1
	s_or_b32 exec_lo, exec_lo, s9
	v_cmp_lt_u64_e64 s0, s[2:3], v[2:3]
	v_mov_b32_e32 v2, 0
	s_delay_alu instid0(VALU_DEP_2)
	s_and_saveexec_b32 s9, s0
	s_cbranch_execz .LBB464_2341
; %bb.2334:                             ;   in Loop: Header=BB464_1567 Depth=1
	v_lshrrev_b32_e32 v6, 24, v3
	v_bfrev_b32_e32 v2, 1
	s_mov_b32 s12, exec_lo
	s_delay_alu instid0(VALU_DEP_2)
	v_cmpx_ne_u32_e32 0x80, v6
	s_cbranch_execz .LBB464_2340
; %bb.2335:                             ;   in Loop: Header=BB464_1567 Depth=1
	v_bfe_u32 v3, v3, 24, 7
	v_mov_b32_e32 v2, 0x7f800001
	s_mov_b32 s13, exec_lo
	s_delay_alu instid0(VALU_DEP_2)
	v_cmpx_ne_u32_e32 0x7f, v3
	s_cbranch_execz .LBB464_2339
; %bb.2336:                             ;   in Loop: Header=BB464_1567 Depth=1
	v_and_b32_e32 v9, 7, v6
	v_lshrrev_b32_e32 v7, 3, v3
	v_cmp_gt_u32_e64 s0, 8, v3
	s_delay_alu instid0(VALU_DEP_3) | instskip(NEXT) | instid1(VALU_DEP_2)
	v_dual_mov_b32 v2, v9 :: v_dual_mov_b32 v3, v10
	s_and_saveexec_b32 s15, s0
; %bb.2337:                             ;   in Loop: Header=BB464_1567 Depth=1
	v_clz_i32_u32_e32 v2, v9
	s_delay_alu instid0(VALU_DEP_1) | instskip(NEXT) | instid1(VALU_DEP_1)
	v_min_u32_e32 v7, 32, v2
	v_subrev_nc_u32_e32 v2, 28, v7
	v_sub_nc_u32_e32 v7, 29, v7
	s_delay_alu instid0(VALU_DEP_2) | instskip(NEXT) | instid1(VALU_DEP_1)
	v_lshlrev_b64 v[2:3], v2, v[9:10]
	v_and_b32_e32 v2, 7, v2
; %bb.2338:                             ;   in Loop: Header=BB464_1567 Depth=1
	s_or_b32 exec_lo, exec_lo, s15
	v_lshlrev_b32_e32 v3, 24, v6
	s_delay_alu instid0(VALU_DEP_2) | instskip(SKIP_1) | instid1(VALU_DEP_3)
	v_lshlrev_b32_e32 v2, 20, v2
	v_lshl_add_u32 v6, v7, 23, 0x3c000000
	v_and_b32_e32 v3, 0x80000000, v3
	s_delay_alu instid0(VALU_DEP_1)
	v_or3_b32 v2, v2, v3, v6
.LBB464_2339:                           ;   in Loop: Header=BB464_1567 Depth=1
	s_or_b32 exec_lo, exec_lo, s13
.LBB464_2340:                           ;   in Loop: Header=BB464_1567 Depth=1
	s_delay_alu instid0(SALU_CYCLE_1)
	s_or_b32 exec_lo, exec_lo, s12
.LBB464_2341:                           ;   in Loop: Header=BB464_1567 Depth=1
	s_delay_alu instid0(SALU_CYCLE_1) | instskip(NEXT) | instid1(VALU_DEP_1)
	s_or_b32 exec_lo, exec_lo, s9
	v_mul_f32_e32 v3, v26, v2
	s_delay_alu instid0(VALU_DEP_1) | instskip(NEXT) | instid1(VALU_DEP_1)
	v_and_b32_e32 v2, 0x7f800000, v3
	v_cmp_ne_u32_e64 s0, 0x7f800000, v2
                                        ; implicit-def: $vgpr2
	s_delay_alu instid0(VALU_DEP_1) | instskip(NEXT) | instid1(SALU_CYCLE_1)
	s_and_saveexec_b32 s9, s0
	s_xor_b32 s0, exec_lo, s9
; %bb.2342:                             ;   in Loop: Header=BB464_1567 Depth=1
	v_bfe_u32 v2, v3, 16, 1
	s_delay_alu instid0(VALU_DEP_1)
	v_add3_u32 v2, v3, v2, 0x7fff
                                        ; implicit-def: $vgpr3
; %bb.2343:                             ;   in Loop: Header=BB464_1567 Depth=1
	s_and_not1_saveexec_b32 s9, s0
; %bb.2344:                             ;   in Loop: Header=BB464_1567 Depth=1
	v_and_b32_e32 v2, 0xffff, v3
	v_or_b32_e32 v6, 0x10000, v3
	s_delay_alu instid0(VALU_DEP_2) | instskip(NEXT) | instid1(VALU_DEP_1)
	v_cmp_eq_u32_e64 s0, 0, v2
	v_cndmask_b32_e64 v2, v6, v3, s0
; %bb.2345:                             ;   in Loop: Header=BB464_1567 Depth=1
	s_or_b32 exec_lo, exec_lo, s9
	v_lshrrev_b32_e32 v6, 16, v163
	v_lshrrev_b32_e32 v7, 16, v35
	;; [unrolled: 1-line block ×8, first 2 shown]
	s_and_saveexec_b32 s9, vcc_lo
	s_cbranch_execz .LBB464_2347
; %bb.2346:                             ;   in Loop: Header=BB464_1567 Depth=1
	v_cmp_lt_i32_e64 s0, v68, v36
	s_delay_alu instid0(VALU_DEP_1) | instskip(SKIP_1) | instid1(VALU_DEP_1)
	v_cndmask_b32_e64 v4, 0, v4, s0
	v_cmp_lt_i32_e64 s0, v82, v36
	v_cndmask_b32_e64 v5, 0, v5, s0
	v_cmp_lt_i32_e64 s0, v81, v36
	s_delay_alu instid0(VALU_DEP_1) | instskip(SKIP_1) | instid1(VALU_DEP_1)
	v_cndmask_b32_e64 v23, 0, v23, s0
	v_cmp_lt_i32_e64 s0, v80, v36
	v_cndmask_b32_e64 v9, 0, v9, s0
	v_cmp_lt_i32_e64 s0, v71, v36
	s_delay_alu instid0(VALU_DEP_1) | instskip(SKIP_1) | instid1(VALU_DEP_1)
	v_cndmask_b32_e64 v7, 0, v7, s0
	v_cmp_lt_i32_e64 s0, v70, v36
	v_cndmask_b32_e64 v6, 0, v6, s0
	v_cmp_lt_i32_e64 s0, v69, v36
	s_delay_alu instid0(VALU_DEP_1) | instskip(SKIP_1) | instid1(VALU_DEP_1)
	v_cndmask_b32_e64 v3, 0, v3, s0
	v_cmp_lt_i32_e64 s0, v15, v36
	v_cndmask_b32_e64 v2, 0, v2, s0
.LBB464_2347:                           ;   in Loop: Header=BB464_1567 Depth=1
	s_or_b32 exec_lo, exec_lo, s9
	v_lshlrev_b32_e32 v4, 16, v4
                                        ; implicit-def: $vgpr163
	s_delay_alu instid0(VALU_DEP_1) | instskip(NEXT) | instid1(VALU_DEP_1)
	v_mul_f32_e32 v4, v83, v4
	v_and_b32_e32 v34, 0x7f800000, v4
	s_delay_alu instid0(VALU_DEP_1) | instskip(NEXT) | instid1(VALU_DEP_1)
	v_cmp_ne_u32_e64 s0, 0x7f800000, v34
	s_and_saveexec_b32 s9, s0
	s_delay_alu instid0(SALU_CYCLE_1)
	s_xor_b32 s0, exec_lo, s9
; %bb.2348:                             ;   in Loop: Header=BB464_1567 Depth=1
	v_bfe_u32 v34, v4, 16, 1
	s_delay_alu instid0(VALU_DEP_1)
	v_add3_u32 v163, v4, v34, 0x7fff
                                        ; implicit-def: $vgpr4
; %bb.2349:                             ;   in Loop: Header=BB464_1567 Depth=1
	s_and_not1_saveexec_b32 s9, s0
; %bb.2350:                             ;   in Loop: Header=BB464_1567 Depth=1
	v_and_b32_e32 v34, 0xffff, v4
	v_or_b32_e32 v35, 0x10000, v4
	s_delay_alu instid0(VALU_DEP_2) | instskip(NEXT) | instid1(VALU_DEP_1)
	v_cmp_eq_u32_e64 s0, 0, v34
	v_cndmask_b32_e64 v163, v35, v4, s0
; %bb.2351:                             ;   in Loop: Header=BB464_1567 Depth=1
	s_or_b32 exec_lo, exec_lo, s9
	v_lshlrev_b32_e32 v4, 16, v5
                                        ; implicit-def: $vgpr164
	s_delay_alu instid0(VALU_DEP_1) | instskip(NEXT) | instid1(VALU_DEP_1)
	v_mul_f32_e32 v4, v84, v4
	v_and_b32_e32 v5, 0x7f800000, v4
	s_delay_alu instid0(VALU_DEP_1) | instskip(NEXT) | instid1(VALU_DEP_1)
	v_cmp_ne_u32_e64 s0, 0x7f800000, v5
	s_and_saveexec_b32 s9, s0
	s_delay_alu instid0(SALU_CYCLE_1)
	s_xor_b32 s0, exec_lo, s9
; %bb.2352:                             ;   in Loop: Header=BB464_1567 Depth=1
	v_bfe_u32 v5, v4, 16, 1
	s_delay_alu instid0(VALU_DEP_1)
	v_add3_u32 v164, v4, v5, 0x7fff
                                        ; implicit-def: $vgpr4
; %bb.2353:                             ;   in Loop: Header=BB464_1567 Depth=1
	s_and_not1_saveexec_b32 s9, s0
; %bb.2354:                             ;   in Loop: Header=BB464_1567 Depth=1
	v_and_b32_e32 v5, 0xffff, v4
	v_or_b32_e32 v34, 0x10000, v4
	s_delay_alu instid0(VALU_DEP_2) | instskip(NEXT) | instid1(VALU_DEP_1)
	v_cmp_eq_u32_e64 s0, 0, v5
	v_cndmask_b32_e64 v164, v34, v4, s0
; %bb.2355:                             ;   in Loop: Header=BB464_1567 Depth=1
	s_or_b32 exec_lo, exec_lo, s9
	v_lshlrev_b32_e32 v4, 16, v23
                                        ; implicit-def: $vgpr165
	s_delay_alu instid0(VALU_DEP_1) | instskip(NEXT) | instid1(VALU_DEP_1)
	v_mul_f32_e32 v4, v85, v4
	v_and_b32_e32 v5, 0x7f800000, v4
	s_delay_alu instid0(VALU_DEP_1) | instskip(NEXT) | instid1(VALU_DEP_1)
	v_cmp_ne_u32_e64 s0, 0x7f800000, v5
	s_and_saveexec_b32 s9, s0
	s_delay_alu instid0(SALU_CYCLE_1)
	s_xor_b32 s0, exec_lo, s9
; %bb.2356:                             ;   in Loop: Header=BB464_1567 Depth=1
	v_bfe_u32 v5, v4, 16, 1
	s_delay_alu instid0(VALU_DEP_1)
	v_add3_u32 v165, v4, v5, 0x7fff
                                        ; implicit-def: $vgpr4
; %bb.2357:                             ;   in Loop: Header=BB464_1567 Depth=1
	s_and_not1_saveexec_b32 s9, s0
; %bb.2358:                             ;   in Loop: Header=BB464_1567 Depth=1
	v_and_b32_e32 v5, 0xffff, v4
	v_or_b32_e32 v23, 0x10000, v4
	s_delay_alu instid0(VALU_DEP_2) | instskip(NEXT) | instid1(VALU_DEP_1)
	v_cmp_eq_u32_e64 s0, 0, v5
	v_cndmask_b32_e64 v165, v23, v4, s0
; %bb.2359:                             ;   in Loop: Header=BB464_1567 Depth=1
	s_or_b32 exec_lo, exec_lo, s9
	v_lshlrev_b32_e32 v4, 16, v9
                                        ; implicit-def: $vgpr166
	s_delay_alu instid0(VALU_DEP_1) | instskip(NEXT) | instid1(VALU_DEP_1)
	v_mul_f32_e32 v4, v86, v4
	v_and_b32_e32 v5, 0x7f800000, v4
	s_delay_alu instid0(VALU_DEP_1) | instskip(NEXT) | instid1(VALU_DEP_1)
	v_cmp_ne_u32_e64 s0, 0x7f800000, v5
	s_and_saveexec_b32 s9, s0
	s_delay_alu instid0(SALU_CYCLE_1)
	s_xor_b32 s0, exec_lo, s9
; %bb.2360:                             ;   in Loop: Header=BB464_1567 Depth=1
	v_bfe_u32 v5, v4, 16, 1
	s_delay_alu instid0(VALU_DEP_1)
	v_add3_u32 v166, v4, v5, 0x7fff
                                        ; implicit-def: $vgpr4
; %bb.2361:                             ;   in Loop: Header=BB464_1567 Depth=1
	s_and_not1_saveexec_b32 s9, s0
; %bb.2362:                             ;   in Loop: Header=BB464_1567 Depth=1
	v_and_b32_e32 v5, 0xffff, v4
	v_or_b32_e32 v9, 0x10000, v4
	s_delay_alu instid0(VALU_DEP_2) | instskip(NEXT) | instid1(VALU_DEP_1)
	v_cmp_eq_u32_e64 s0, 0, v5
	v_cndmask_b32_e64 v166, v9, v4, s0
; %bb.2363:                             ;   in Loop: Header=BB464_1567 Depth=1
	s_or_b32 exec_lo, exec_lo, s9
	v_lshlrev_b32_e32 v4, 16, v7
                                        ; implicit-def: $vgpr167
	s_delay_alu instid0(VALU_DEP_1) | instskip(NEXT) | instid1(VALU_DEP_1)
	v_mul_f32_e32 v4, v87, v4
	v_and_b32_e32 v5, 0x7f800000, v4
	s_delay_alu instid0(VALU_DEP_1) | instskip(NEXT) | instid1(VALU_DEP_1)
	v_cmp_ne_u32_e64 s0, 0x7f800000, v5
	s_and_saveexec_b32 s9, s0
	s_delay_alu instid0(SALU_CYCLE_1)
	s_xor_b32 s0, exec_lo, s9
; %bb.2364:                             ;   in Loop: Header=BB464_1567 Depth=1
	v_bfe_u32 v5, v4, 16, 1
	s_delay_alu instid0(VALU_DEP_1)
	v_add3_u32 v167, v4, v5, 0x7fff
                                        ; implicit-def: $vgpr4
; %bb.2365:                             ;   in Loop: Header=BB464_1567 Depth=1
	s_and_not1_saveexec_b32 s9, s0
; %bb.2366:                             ;   in Loop: Header=BB464_1567 Depth=1
	v_and_b32_e32 v5, 0xffff, v4
	v_or_b32_e32 v7, 0x10000, v4
	s_delay_alu instid0(VALU_DEP_2) | instskip(NEXT) | instid1(VALU_DEP_1)
	v_cmp_eq_u32_e64 s0, 0, v5
	v_cndmask_b32_e64 v167, v7, v4, s0
; %bb.2367:                             ;   in Loop: Header=BB464_1567 Depth=1
	s_or_b32 exec_lo, exec_lo, s9
	v_lshlrev_b32_e32 v4, 16, v6
                                        ; implicit-def: $vgpr176
	s_delay_alu instid0(VALU_DEP_1) | instskip(NEXT) | instid1(VALU_DEP_1)
	v_mul_f32_e32 v4, v96, v4
	v_and_b32_e32 v5, 0x7f800000, v4
	s_delay_alu instid0(VALU_DEP_1) | instskip(NEXT) | instid1(VALU_DEP_1)
	v_cmp_ne_u32_e64 s0, 0x7f800000, v5
	s_and_saveexec_b32 s9, s0
	s_delay_alu instid0(SALU_CYCLE_1)
	s_xor_b32 s0, exec_lo, s9
; %bb.2368:                             ;   in Loop: Header=BB464_1567 Depth=1
	v_bfe_u32 v5, v4, 16, 1
	s_delay_alu instid0(VALU_DEP_1)
	v_add3_u32 v176, v4, v5, 0x7fff
                                        ; implicit-def: $vgpr4
; %bb.2369:                             ;   in Loop: Header=BB464_1567 Depth=1
	s_and_not1_saveexec_b32 s9, s0
; %bb.2370:                             ;   in Loop: Header=BB464_1567 Depth=1
	v_and_b32_e32 v5, 0xffff, v4
	v_or_b32_e32 v6, 0x10000, v4
	s_delay_alu instid0(VALU_DEP_2) | instskip(NEXT) | instid1(VALU_DEP_1)
	v_cmp_eq_u32_e64 s0, 0, v5
	v_cndmask_b32_e64 v176, v6, v4, s0
; %bb.2371:                             ;   in Loop: Header=BB464_1567 Depth=1
	s_or_b32 exec_lo, exec_lo, s9
	v_lshlrev_b32_e32 v3, 16, v3
                                        ; implicit-def: $vgpr177
	s_delay_alu instid0(VALU_DEP_1) | instskip(NEXT) | instid1(VALU_DEP_1)
	v_mul_f32_e32 v3, v97, v3
	v_and_b32_e32 v4, 0x7f800000, v3
	s_delay_alu instid0(VALU_DEP_1) | instskip(NEXT) | instid1(VALU_DEP_1)
	v_cmp_ne_u32_e64 s0, 0x7f800000, v4
	s_and_saveexec_b32 s9, s0
	s_delay_alu instid0(SALU_CYCLE_1)
	s_xor_b32 s0, exec_lo, s9
; %bb.2372:                             ;   in Loop: Header=BB464_1567 Depth=1
	v_bfe_u32 v4, v3, 16, 1
	s_delay_alu instid0(VALU_DEP_1)
	v_add3_u32 v177, v3, v4, 0x7fff
                                        ; implicit-def: $vgpr3
; %bb.2373:                             ;   in Loop: Header=BB464_1567 Depth=1
	s_and_not1_saveexec_b32 s9, s0
; %bb.2374:                             ;   in Loop: Header=BB464_1567 Depth=1
	v_and_b32_e32 v4, 0xffff, v3
	v_or_b32_e32 v5, 0x10000, v3
	s_delay_alu instid0(VALU_DEP_2) | instskip(NEXT) | instid1(VALU_DEP_1)
	v_cmp_eq_u32_e64 s0, 0, v4
	v_cndmask_b32_e64 v177, v5, v3, s0
; %bb.2375:                             ;   in Loop: Header=BB464_1567 Depth=1
	s_or_b32 exec_lo, exec_lo, s9
	v_lshlrev_b32_e32 v2, 16, v2
                                        ; implicit-def: $vgpr5
	s_delay_alu instid0(VALU_DEP_1) | instskip(NEXT) | instid1(VALU_DEP_1)
	v_mul_f32_e32 v2, v98, v2
	v_and_b32_e32 v3, 0x7f800000, v2
	s_delay_alu instid0(VALU_DEP_1) | instskip(NEXT) | instid1(VALU_DEP_1)
	v_cmp_ne_u32_e64 s0, 0x7f800000, v3
	s_and_saveexec_b32 s9, s0
	s_delay_alu instid0(SALU_CYCLE_1)
	s_xor_b32 s0, exec_lo, s9
; %bb.2376:                             ;   in Loop: Header=BB464_1567 Depth=1
	v_bfe_u32 v3, v2, 16, 1
	s_delay_alu instid0(VALU_DEP_1)
	v_add3_u32 v5, v2, v3, 0x7fff
                                        ; implicit-def: $vgpr2
; %bb.2377:                             ;   in Loop: Header=BB464_1567 Depth=1
	s_and_not1_saveexec_b32 s9, s0
; %bb.2378:                             ;   in Loop: Header=BB464_1567 Depth=1
	v_and_b32_e32 v3, 0xffff, v2
	v_or_b32_e32 v4, 0x10000, v2
	s_delay_alu instid0(VALU_DEP_2) | instskip(NEXT) | instid1(VALU_DEP_1)
	v_cmp_eq_u32_e64 s0, 0, v3
	v_cndmask_b32_e64 v5, v4, v2, s0
; %bb.2379:                             ;   in Loop: Header=BB464_1567 Depth=1
	s_or_b32 exec_lo, exec_lo, s9
	flat_load_b64 v[2:3], v[0:1] offset:1536
	v_mov_b32_e32 v4, 0
	s_mov_b32 s9, exec_lo
	s_waitcnt vmcnt(0) lgkmcnt(0)
	v_and_b32_e32 v6, 0xff, v2
	s_delay_alu instid0(VALU_DEP_1)
	v_cmpx_ne_u16_e32 0, v6
	s_cbranch_execz .LBB464_2387
; %bb.2380:                             ;   in Loop: Header=BB464_1567 Depth=1
	v_bfrev_b32_e32 v4, 1
	s_mov_b32 s12, exec_lo
	v_cmpx_ne_u16_e32 0x80, v6
	s_cbranch_execz .LBB464_2386
; %bb.2381:                             ;   in Loop: Header=BB464_1567 Depth=1
	v_and_b32_e32 v6, 0x7f, v2
	v_mov_b32_e32 v4, 0x7f800001
	s_mov_b32 s13, exec_lo
	s_delay_alu instid0(VALU_DEP_2)
	v_cmpx_ne_u32_e32 0x7f, v6
	s_cbranch_execz .LBB464_2385
; %bb.2382:                             ;   in Loop: Header=BB464_1567 Depth=1
	v_lshrrev_b32_e32 v4, 3, v6
	v_cmp_gt_u32_e64 s0, 8, v6
	v_dual_mov_b32 v7, v3 :: v_dual_mov_b32 v6, v2
	s_delay_alu instid0(VALU_DEP_2)
	s_and_saveexec_b32 s15, s0
; %bb.2383:                             ;   in Loop: Header=BB464_1567 Depth=1
	v_and_b32_e32 v4, 7, v2
	s_delay_alu instid0(VALU_DEP_1) | instskip(NEXT) | instid1(VALU_DEP_1)
	v_clz_i32_u32_e32 v4, v4
	v_min_u32_e32 v4, 32, v4
	s_delay_alu instid0(VALU_DEP_1) | instskip(SKIP_1) | instid1(VALU_DEP_2)
	v_subrev_nc_u32_e32 v6, 28, v4
	v_sub_nc_u32_e32 v4, 29, v4
	v_lshlrev_b64 v[6:7], v6, v[2:3]
; %bb.2384:                             ;   in Loop: Header=BB464_1567 Depth=1
	s_or_b32 exec_lo, exec_lo, s15
	s_delay_alu instid0(VALU_DEP_1) | instskip(SKIP_2) | instid1(VALU_DEP_3)
	v_lshlrev_b32_e32 v6, 20, v6
	v_lshlrev_b32_e32 v7, 24, v2
	v_lshl_add_u32 v4, v4, 23, 0x3c000000
	v_and_b32_e32 v6, 0x700000, v6
	s_delay_alu instid0(VALU_DEP_3) | instskip(NEXT) | instid1(VALU_DEP_1)
	v_and_b32_e32 v7, 0x80000000, v7
	v_or3_b32 v4, v6, v7, v4
.LBB464_2385:                           ;   in Loop: Header=BB464_1567 Depth=1
	s_or_b32 exec_lo, exec_lo, s13
.LBB464_2386:                           ;   in Loop: Header=BB464_1567 Depth=1
	s_delay_alu instid0(SALU_CYCLE_1)
	s_or_b32 exec_lo, exec_lo, s12
.LBB464_2387:                           ;   in Loop: Header=BB464_1567 Depth=1
	s_delay_alu instid0(SALU_CYCLE_1) | instskip(NEXT) | instid1(VALU_DEP_1)
	s_or_b32 exec_lo, exec_lo, s9
	v_mul_f32_e32 v6, v26, v4
	s_delay_alu instid0(VALU_DEP_1) | instskip(NEXT) | instid1(VALU_DEP_1)
	v_and_b32_e32 v4, 0x7f800000, v6
	v_cmp_ne_u32_e64 s0, 0x7f800000, v4
                                        ; implicit-def: $vgpr4
	s_delay_alu instid0(VALU_DEP_1) | instskip(NEXT) | instid1(SALU_CYCLE_1)
	s_and_saveexec_b32 s9, s0
	s_xor_b32 s0, exec_lo, s9
; %bb.2388:                             ;   in Loop: Header=BB464_1567 Depth=1
	v_bfe_u32 v4, v6, 16, 1
	s_delay_alu instid0(VALU_DEP_1)
	v_add3_u32 v4, v6, v4, 0x7fff
                                        ; implicit-def: $vgpr6
; %bb.2389:                             ;   in Loop: Header=BB464_1567 Depth=1
	s_and_not1_saveexec_b32 s9, s0
; %bb.2390:                             ;   in Loop: Header=BB464_1567 Depth=1
	v_and_b32_e32 v4, 0xffff, v6
	v_or_b32_e32 v7, 0x10000, v6
	s_delay_alu instid0(VALU_DEP_2) | instskip(NEXT) | instid1(VALU_DEP_1)
	v_cmp_eq_u32_e64 s0, 0, v4
	v_cndmask_b32_e64 v4, v7, v6, s0
; %bb.2391:                             ;   in Loop: Header=BB464_1567 Depth=1
	s_or_b32 exec_lo, exec_lo, s9
	v_lshrrev_b16 v7, 8, v2
	v_mov_b32_e32 v6, 0
	s_mov_b32 s9, exec_lo
	s_delay_alu instid0(VALU_DEP_2)
	v_cmpx_ne_u16_e32 0, v7
	s_cbranch_execz .LBB464_2399
; %bb.2392:                             ;   in Loop: Header=BB464_1567 Depth=1
	v_bfrev_b32_e32 v6, 1
	s_mov_b32 s12, exec_lo
	v_cmpx_ne_u16_e32 0x80, v7
	s_cbranch_execz .LBB464_2398
; %bb.2393:                             ;   in Loop: Header=BB464_1567 Depth=1
	v_and_b32_e32 v9, 0xffff, v7
	v_mov_b32_e32 v6, 0x7f800001
	s_mov_b32 s13, exec_lo
	s_delay_alu instid0(VALU_DEP_2) | instskip(NEXT) | instid1(VALU_DEP_1)
	v_and_b32_e32 v7, 0x7f, v9
	v_cmpx_ne_u32_e32 0x7f, v7
	s_cbranch_execz .LBB464_2397
; %bb.2394:                             ;   in Loop: Header=BB464_1567 Depth=1
	v_and_b32_e32 v9, 7, v9
	v_lshrrev_b32_e32 v23, 3, v7
	v_cmp_gt_u32_e64 s0, 8, v7
	s_delay_alu instid0(VALU_DEP_3) | instskip(NEXT) | instid1(VALU_DEP_2)
	v_dual_mov_b32 v6, v9 :: v_dual_mov_b32 v7, v10
	s_and_saveexec_b32 s15, s0
; %bb.2395:                             ;   in Loop: Header=BB464_1567 Depth=1
	v_clz_i32_u32_e32 v6, v9
	s_delay_alu instid0(VALU_DEP_1) | instskip(NEXT) | instid1(VALU_DEP_1)
	v_min_u32_e32 v23, 32, v6
	v_subrev_nc_u32_e32 v6, 28, v23
	v_sub_nc_u32_e32 v23, 29, v23
	s_delay_alu instid0(VALU_DEP_2) | instskip(NEXT) | instid1(VALU_DEP_1)
	v_lshlrev_b64 v[6:7], v6, v[9:10]
	v_and_b32_e32 v6, 7, v6
; %bb.2396:                             ;   in Loop: Header=BB464_1567 Depth=1
	s_or_b32 exec_lo, exec_lo, s15
	v_lshlrev_b32_e32 v7, 16, v2
	s_delay_alu instid0(VALU_DEP_2) | instskip(SKIP_1) | instid1(VALU_DEP_3)
	v_lshlrev_b32_e32 v6, 20, v6
	v_lshl_add_u32 v9, v23, 23, 0x3c000000
	v_and_b32_e32 v7, 0x80000000, v7
	s_delay_alu instid0(VALU_DEP_1)
	v_or3_b32 v6, v6, v7, v9
.LBB464_2397:                           ;   in Loop: Header=BB464_1567 Depth=1
	s_or_b32 exec_lo, exec_lo, s13
.LBB464_2398:                           ;   in Loop: Header=BB464_1567 Depth=1
	s_delay_alu instid0(SALU_CYCLE_1)
	s_or_b32 exec_lo, exec_lo, s12
.LBB464_2399:                           ;   in Loop: Header=BB464_1567 Depth=1
	s_delay_alu instid0(SALU_CYCLE_1) | instskip(NEXT) | instid1(VALU_DEP_1)
	s_or_b32 exec_lo, exec_lo, s9
	v_mul_f32_e32 v6, v26, v6
                                        ; implicit-def: $vgpr23
	s_delay_alu instid0(VALU_DEP_1) | instskip(NEXT) | instid1(VALU_DEP_1)
	v_and_b32_e32 v7, 0x7f800000, v6
	v_cmp_ne_u32_e64 s0, 0x7f800000, v7
	s_delay_alu instid0(VALU_DEP_1) | instskip(NEXT) | instid1(SALU_CYCLE_1)
	s_and_saveexec_b32 s9, s0
	s_xor_b32 s0, exec_lo, s9
; %bb.2400:                             ;   in Loop: Header=BB464_1567 Depth=1
	v_bfe_u32 v7, v6, 16, 1
	s_delay_alu instid0(VALU_DEP_1)
	v_add3_u32 v23, v6, v7, 0x7fff
                                        ; implicit-def: $vgpr6
; %bb.2401:                             ;   in Loop: Header=BB464_1567 Depth=1
	s_and_not1_saveexec_b32 s9, s0
; %bb.2402:                             ;   in Loop: Header=BB464_1567 Depth=1
	v_and_b32_e32 v7, 0xffff, v6
	v_or_b32_e32 v9, 0x10000, v6
	s_delay_alu instid0(VALU_DEP_2) | instskip(NEXT) | instid1(VALU_DEP_1)
	v_cmp_eq_u32_e64 s0, 0, v7
	v_cndmask_b32_e64 v23, v9, v6, s0
; %bb.2403:                             ;   in Loop: Header=BB464_1567 Depth=1
	s_or_b32 exec_lo, exec_lo, s9
	v_lshrrev_b32_e32 v34, 16, v2
	s_mov_b32 s9, exec_lo
	s_delay_alu instid0(VALU_DEP_1) | instskip(NEXT) | instid1(VALU_DEP_1)
	v_dual_mov_b32 v6, 0 :: v_dual_and_b32 v7, 0xff, v34
	v_cmpx_ne_u16_e32 0, v7
	s_cbranch_execz .LBB464_2411
; %bb.2404:                             ;   in Loop: Header=BB464_1567 Depth=1
	v_bfrev_b32_e32 v6, 1
	s_mov_b32 s12, exec_lo
	v_cmpx_ne_u16_e32 0x80, v7
	s_cbranch_execz .LBB464_2410
; %bb.2405:                             ;   in Loop: Header=BB464_1567 Depth=1
	v_bfe_u32 v7, v2, 16, 7
	v_mov_b32_e32 v6, 0x7f800001
	s_mov_b32 s13, exec_lo
	s_delay_alu instid0(VALU_DEP_2)
	v_cmpx_ne_u32_e32 0x7f, v7
	s_cbranch_execz .LBB464_2409
; %bb.2406:                             ;   in Loop: Header=BB464_1567 Depth=1
	v_and_b32_e32 v9, 7, v34
	v_lshrrev_b32_e32 v35, 3, v7
	v_cmp_gt_u32_e64 s0, 8, v7
	s_delay_alu instid0(VALU_DEP_3) | instskip(NEXT) | instid1(VALU_DEP_2)
	v_dual_mov_b32 v6, v9 :: v_dual_mov_b32 v7, v10
	s_and_saveexec_b32 s15, s0
; %bb.2407:                             ;   in Loop: Header=BB464_1567 Depth=1
	v_clz_i32_u32_e32 v6, v9
	s_delay_alu instid0(VALU_DEP_1) | instskip(NEXT) | instid1(VALU_DEP_1)
	v_min_u32_e32 v35, 32, v6
	v_subrev_nc_u32_e32 v6, 28, v35
	v_sub_nc_u32_e32 v35, 29, v35
	s_delay_alu instid0(VALU_DEP_2) | instskip(NEXT) | instid1(VALU_DEP_1)
	v_lshlrev_b64 v[6:7], v6, v[9:10]
	v_and_b32_e32 v6, 7, v6
; %bb.2408:                             ;   in Loop: Header=BB464_1567 Depth=1
	s_or_b32 exec_lo, exec_lo, s15
	v_lshlrev_b32_e32 v7, 24, v34
	s_delay_alu instid0(VALU_DEP_2) | instskip(SKIP_1) | instid1(VALU_DEP_3)
	v_lshlrev_b32_e32 v6, 20, v6
	v_lshl_add_u32 v9, v35, 23, 0x3c000000
	v_and_b32_e32 v7, 0x80000000, v7
	s_delay_alu instid0(VALU_DEP_1)
	v_or3_b32 v6, v6, v7, v9
.LBB464_2409:                           ;   in Loop: Header=BB464_1567 Depth=1
	s_or_b32 exec_lo, exec_lo, s13
.LBB464_2410:                           ;   in Loop: Header=BB464_1567 Depth=1
	s_delay_alu instid0(SALU_CYCLE_1)
	s_or_b32 exec_lo, exec_lo, s12
.LBB464_2411:                           ;   in Loop: Header=BB464_1567 Depth=1
	s_delay_alu instid0(SALU_CYCLE_1) | instskip(NEXT) | instid1(VALU_DEP_1)
	s_or_b32 exec_lo, exec_lo, s9
	v_mul_f32_e32 v6, v26, v6
                                        ; implicit-def: $vgpr34
	s_delay_alu instid0(VALU_DEP_1) | instskip(NEXT) | instid1(VALU_DEP_1)
	v_and_b32_e32 v7, 0x7f800000, v6
	v_cmp_ne_u32_e64 s0, 0x7f800000, v7
	s_delay_alu instid0(VALU_DEP_1) | instskip(NEXT) | instid1(SALU_CYCLE_1)
	s_and_saveexec_b32 s9, s0
	s_xor_b32 s0, exec_lo, s9
; %bb.2412:                             ;   in Loop: Header=BB464_1567 Depth=1
	v_bfe_u32 v7, v6, 16, 1
	s_delay_alu instid0(VALU_DEP_1)
	v_add3_u32 v34, v6, v7, 0x7fff
                                        ; implicit-def: $vgpr6
; %bb.2413:                             ;   in Loop: Header=BB464_1567 Depth=1
	s_and_not1_saveexec_b32 s9, s0
; %bb.2414:                             ;   in Loop: Header=BB464_1567 Depth=1
	v_and_b32_e32 v7, 0xffff, v6
	v_or_b32_e32 v9, 0x10000, v6
	s_delay_alu instid0(VALU_DEP_2) | instskip(NEXT) | instid1(VALU_DEP_1)
	v_cmp_eq_u32_e64 s0, 0, v7
	v_cndmask_b32_e64 v34, v9, v6, s0
; %bb.2415:                             ;   in Loop: Header=BB464_1567 Depth=1
	s_or_b32 exec_lo, exec_lo, s9
	v_mov_b32_e32 v6, 0
	s_mov_b32 s9, exec_lo
	v_cmpx_lt_u32_e32 0xffffff, v2
	s_cbranch_execz .LBB464_2423
; %bb.2416:                             ;   in Loop: Header=BB464_1567 Depth=1
	v_lshrrev_b32_e32 v35, 24, v2
	v_bfrev_b32_e32 v6, 1
	s_mov_b32 s12, exec_lo
	s_delay_alu instid0(VALU_DEP_2)
	v_cmpx_ne_u32_e32 0x80, v35
	s_cbranch_execz .LBB464_2422
; %bb.2417:                             ;   in Loop: Header=BB464_1567 Depth=1
	v_bfe_u32 v7, v2, 24, 7
	v_mov_b32_e32 v6, 0x7f800001
	s_mov_b32 s13, exec_lo
	s_delay_alu instid0(VALU_DEP_2)
	v_cmpx_ne_u32_e32 0x7f, v7
	s_cbranch_execz .LBB464_2421
; %bb.2418:                             ;   in Loop: Header=BB464_1567 Depth=1
	v_and_b32_e32 v9, 7, v35
	v_lshrrev_b32_e32 v178, 3, v7
	v_cmp_gt_u32_e64 s0, 8, v7
	s_delay_alu instid0(VALU_DEP_3) | instskip(NEXT) | instid1(VALU_DEP_2)
	v_dual_mov_b32 v6, v9 :: v_dual_mov_b32 v7, v10
	s_and_saveexec_b32 s15, s0
; %bb.2419:                             ;   in Loop: Header=BB464_1567 Depth=1
	v_clz_i32_u32_e32 v6, v9
	s_delay_alu instid0(VALU_DEP_1) | instskip(NEXT) | instid1(VALU_DEP_1)
	v_min_u32_e32 v178, 32, v6
	v_subrev_nc_u32_e32 v6, 28, v178
	v_sub_nc_u32_e32 v178, 29, v178
	s_delay_alu instid0(VALU_DEP_2) | instskip(NEXT) | instid1(VALU_DEP_1)
	v_lshlrev_b64 v[6:7], v6, v[9:10]
	v_and_b32_e32 v6, 7, v6
; %bb.2420:                             ;   in Loop: Header=BB464_1567 Depth=1
	s_or_b32 exec_lo, exec_lo, s15
	v_lshlrev_b32_e32 v7, 24, v35
	s_delay_alu instid0(VALU_DEP_2) | instskip(SKIP_1) | instid1(VALU_DEP_3)
	v_lshlrev_b32_e32 v6, 20, v6
	v_lshl_add_u32 v9, v178, 23, 0x3c000000
	v_and_b32_e32 v7, 0x80000000, v7
	s_delay_alu instid0(VALU_DEP_1)
	v_or3_b32 v6, v6, v7, v9
.LBB464_2421:                           ;   in Loop: Header=BB464_1567 Depth=1
	s_or_b32 exec_lo, exec_lo, s13
.LBB464_2422:                           ;   in Loop: Header=BB464_1567 Depth=1
	s_delay_alu instid0(SALU_CYCLE_1)
	s_or_b32 exec_lo, exec_lo, s12
.LBB464_2423:                           ;   in Loop: Header=BB464_1567 Depth=1
	s_delay_alu instid0(SALU_CYCLE_1) | instskip(NEXT) | instid1(VALU_DEP_1)
	s_or_b32 exec_lo, exec_lo, s9
	v_mul_f32_e32 v6, v26, v6
                                        ; implicit-def: $vgpr35
	s_delay_alu instid0(VALU_DEP_1) | instskip(NEXT) | instid1(VALU_DEP_1)
	v_and_b32_e32 v7, 0x7f800000, v6
	v_cmp_ne_u32_e64 s0, 0x7f800000, v7
	s_delay_alu instid0(VALU_DEP_1) | instskip(NEXT) | instid1(SALU_CYCLE_1)
	s_and_saveexec_b32 s9, s0
	s_xor_b32 s0, exec_lo, s9
; %bb.2424:                             ;   in Loop: Header=BB464_1567 Depth=1
	v_bfe_u32 v7, v6, 16, 1
	s_delay_alu instid0(VALU_DEP_1)
	v_add3_u32 v35, v6, v7, 0x7fff
                                        ; implicit-def: $vgpr6
; %bb.2425:                             ;   in Loop: Header=BB464_1567 Depth=1
	s_and_not1_saveexec_b32 s9, s0
; %bb.2426:                             ;   in Loop: Header=BB464_1567 Depth=1
	v_and_b32_e32 v7, 0xffff, v6
	v_or_b32_e32 v9, 0x10000, v6
	s_delay_alu instid0(VALU_DEP_2) | instskip(NEXT) | instid1(VALU_DEP_1)
	v_cmp_eq_u32_e64 s0, 0, v7
	v_cndmask_b32_e64 v35, v9, v6, s0
; %bb.2427:                             ;   in Loop: Header=BB464_1567 Depth=1
	s_or_b32 exec_lo, exec_lo, s9
	v_dual_mov_b32 v6, 0 :: v_dual_and_b32 v7, 0xff, v3
	v_mov_b32_e32 v9, v3
	s_mov_b32 s9, exec_lo
	s_delay_alu instid0(VALU_DEP_2)
	v_cmpx_ne_u16_e32 0, v7
	s_cbranch_execz .LBB464_2435
; %bb.2428:                             ;   in Loop: Header=BB464_1567 Depth=1
	v_bfrev_b32_e32 v6, 1
	s_mov_b32 s12, exec_lo
	v_cmpx_ne_u16_e32 0x80, v7
	s_cbranch_execz .LBB464_2434
; %bb.2429:                             ;   in Loop: Header=BB464_1567 Depth=1
	v_and_b32_e32 v7, 0x7f, v3
	v_mov_b32_e32 v6, 0x7f800001
	s_mov_b32 s13, exec_lo
	s_delay_alu instid0(VALU_DEP_2)
	v_cmpx_ne_u32_e32 0x7f, v7
	s_cbranch_execz .LBB464_2433
; %bb.2430:                             ;   in Loop: Header=BB464_1567 Depth=1
	v_lshrrev_b32_e32 v178, 3, v7
	v_cmp_gt_u32_e64 s0, 8, v7
	v_dual_mov_b32 v6, v9 :: v_dual_mov_b32 v7, v10
	s_delay_alu instid0(VALU_DEP_2)
	s_and_saveexec_b32 s15, s0
; %bb.2431:                             ;   in Loop: Header=BB464_1567 Depth=1
	v_and_b32_e32 v6, 7, v3
	s_delay_alu instid0(VALU_DEP_1) | instskip(NEXT) | instid1(VALU_DEP_1)
	v_clz_i32_u32_e32 v6, v6
	v_min_u32_e32 v178, 32, v6
	s_delay_alu instid0(VALU_DEP_1) | instskip(SKIP_1) | instid1(VALU_DEP_2)
	v_subrev_nc_u32_e32 v6, 28, v178
	v_sub_nc_u32_e32 v178, 29, v178
	v_lshlrev_b64 v[6:7], v6, v[9:10]
; %bb.2432:                             ;   in Loop: Header=BB464_1567 Depth=1
	s_or_b32 exec_lo, exec_lo, s15
	s_delay_alu instid0(VALU_DEP_1) | instskip(SKIP_2) | instid1(VALU_DEP_3)
	v_lshlrev_b32_e32 v6, 20, v6
	v_lshlrev_b32_e32 v7, 24, v9
	v_lshl_add_u32 v178, v178, 23, 0x3c000000
	v_and_b32_e32 v6, 0x700000, v6
	s_delay_alu instid0(VALU_DEP_3) | instskip(NEXT) | instid1(VALU_DEP_1)
	v_and_b32_e32 v7, 0x80000000, v7
	v_or3_b32 v6, v6, v7, v178
.LBB464_2433:                           ;   in Loop: Header=BB464_1567 Depth=1
	s_or_b32 exec_lo, exec_lo, s13
.LBB464_2434:                           ;   in Loop: Header=BB464_1567 Depth=1
	s_delay_alu instid0(SALU_CYCLE_1)
	s_or_b32 exec_lo, exec_lo, s12
.LBB464_2435:                           ;   in Loop: Header=BB464_1567 Depth=1
	s_delay_alu instid0(SALU_CYCLE_1) | instskip(NEXT) | instid1(VALU_DEP_1)
	s_or_b32 exec_lo, exec_lo, s9
	v_mul_f32_e32 v6, v26, v6
                                        ; implicit-def: $vgpr178
	s_delay_alu instid0(VALU_DEP_1) | instskip(NEXT) | instid1(VALU_DEP_1)
	v_and_b32_e32 v7, 0x7f800000, v6
	v_cmp_ne_u32_e64 s0, 0x7f800000, v7
	s_delay_alu instid0(VALU_DEP_1) | instskip(NEXT) | instid1(SALU_CYCLE_1)
	s_and_saveexec_b32 s9, s0
	s_xor_b32 s0, exec_lo, s9
; %bb.2436:                             ;   in Loop: Header=BB464_1567 Depth=1
	v_bfe_u32 v7, v6, 16, 1
	s_delay_alu instid0(VALU_DEP_1)
	v_add3_u32 v178, v6, v7, 0x7fff
                                        ; implicit-def: $vgpr6
; %bb.2437:                             ;   in Loop: Header=BB464_1567 Depth=1
	s_and_not1_saveexec_b32 s9, s0
; %bb.2438:                             ;   in Loop: Header=BB464_1567 Depth=1
	v_and_b32_e32 v7, 0xffff, v6
	v_or_b32_e32 v178, 0x10000, v6
	s_delay_alu instid0(VALU_DEP_2) | instskip(NEXT) | instid1(VALU_DEP_1)
	v_cmp_eq_u32_e64 s0, 0, v7
	v_cndmask_b32_e64 v178, v178, v6, s0
; %bb.2439:                             ;   in Loop: Header=BB464_1567 Depth=1
	s_or_b32 exec_lo, exec_lo, s9
	v_lshrrev_b16 v7, 8, v9
	v_mov_b32_e32 v6, 0
	s_mov_b32 s9, exec_lo
	s_delay_alu instid0(VALU_DEP_2)
	v_cmpx_ne_u16_e32 0, v7
	s_cbranch_execz .LBB464_2447
; %bb.2440:                             ;   in Loop: Header=BB464_1567 Depth=1
	v_bfrev_b32_e32 v6, 1
	s_mov_b32 s12, exec_lo
	v_cmpx_ne_u16_e32 0x80, v7
	s_cbranch_execz .LBB464_2446
; %bb.2441:                             ;   in Loop: Header=BB464_1567 Depth=1
	v_and_b32_e32 v7, 0xffff, v7
	v_mov_b32_e32 v6, 0x7f800001
	s_mov_b32 s13, exec_lo
	s_delay_alu instid0(VALU_DEP_2) | instskip(NEXT) | instid1(VALU_DEP_1)
	v_and_b32_e32 v180, 0x7f, v7
	v_cmpx_ne_u32_e32 0x7f, v180
	s_cbranch_execz .LBB464_2445
; %bb.2442:                             ;   in Loop: Header=BB464_1567 Depth=1
	v_dual_mov_b32 v7, v10 :: v_dual_and_b32 v6, 7, v7
	v_lshrrev_b32_e32 v179, 3, v180
	s_mov_b32 s15, exec_lo
	v_cmpx_gt_u32_e32 8, v180
; %bb.2443:                             ;   in Loop: Header=BB464_1567 Depth=1
	s_delay_alu instid0(VALU_DEP_3) | instskip(NEXT) | instid1(VALU_DEP_1)
	v_clz_i32_u32_e32 v179, v6
	v_min_u32_e32 v179, 32, v179
	s_delay_alu instid0(VALU_DEP_1) | instskip(SKIP_1) | instid1(VALU_DEP_2)
	v_subrev_nc_u32_e32 v180, 28, v179
	v_sub_nc_u32_e32 v179, 29, v179
	v_lshlrev_b64 v[6:7], v180, v[6:7]
	s_delay_alu instid0(VALU_DEP_1)
	v_and_b32_e32 v6, 7, v6
; %bb.2444:                             ;   in Loop: Header=BB464_1567 Depth=1
	s_or_b32 exec_lo, exec_lo, s15
	v_lshlrev_b32_e32 v7, 16, v9
	s_delay_alu instid0(VALU_DEP_2) | instskip(SKIP_1) | instid1(VALU_DEP_3)
	v_lshlrev_b32_e32 v6, 20, v6
	v_lshl_add_u32 v9, v179, 23, 0x3c000000
	v_and_b32_e32 v7, 0x80000000, v7
	s_delay_alu instid0(VALU_DEP_1)
	v_or3_b32 v6, v6, v7, v9
.LBB464_2445:                           ;   in Loop: Header=BB464_1567 Depth=1
	s_or_b32 exec_lo, exec_lo, s13
.LBB464_2446:                           ;   in Loop: Header=BB464_1567 Depth=1
	s_delay_alu instid0(SALU_CYCLE_1)
	s_or_b32 exec_lo, exec_lo, s12
.LBB464_2447:                           ;   in Loop: Header=BB464_1567 Depth=1
	s_delay_alu instid0(SALU_CYCLE_1) | instskip(NEXT) | instid1(VALU_DEP_1)
	s_or_b32 exec_lo, exec_lo, s9
	v_mul_f32_e32 v6, v26, v6
                                        ; implicit-def: $vgpr179
	s_delay_alu instid0(VALU_DEP_1) | instskip(NEXT) | instid1(VALU_DEP_1)
	v_and_b32_e32 v7, 0x7f800000, v6
	v_cmp_ne_u32_e64 s0, 0x7f800000, v7
	s_delay_alu instid0(VALU_DEP_1) | instskip(NEXT) | instid1(SALU_CYCLE_1)
	s_and_saveexec_b32 s9, s0
	s_xor_b32 s0, exec_lo, s9
; %bb.2448:                             ;   in Loop: Header=BB464_1567 Depth=1
	v_bfe_u32 v7, v6, 16, 1
	s_delay_alu instid0(VALU_DEP_1)
	v_add3_u32 v179, v6, v7, 0x7fff
                                        ; implicit-def: $vgpr6
; %bb.2449:                             ;   in Loop: Header=BB464_1567 Depth=1
	s_and_not1_saveexec_b32 s9, s0
; %bb.2450:                             ;   in Loop: Header=BB464_1567 Depth=1
	v_and_b32_e32 v7, 0xffff, v6
	v_or_b32_e32 v9, 0x10000, v6
	s_delay_alu instid0(VALU_DEP_2) | instskip(NEXT) | instid1(VALU_DEP_1)
	v_cmp_eq_u32_e64 s0, 0, v7
	v_cndmask_b32_e64 v179, v9, v6, s0
; %bb.2451:                             ;   in Loop: Header=BB464_1567 Depth=1
	s_or_b32 exec_lo, exec_lo, s9
	v_lshrrev_b32_e32 v180, 16, v3
	s_mov_b32 s9, exec_lo
	s_delay_alu instid0(VALU_DEP_1) | instskip(NEXT) | instid1(VALU_DEP_1)
	v_dual_mov_b32 v6, 0 :: v_dual_and_b32 v7, 0xff, v180
	v_cmpx_ne_u16_e32 0, v7
	s_cbranch_execz .LBB464_2459
; %bb.2452:                             ;   in Loop: Header=BB464_1567 Depth=1
	v_bfrev_b32_e32 v6, 1
	s_mov_b32 s12, exec_lo
	v_cmpx_ne_u16_e32 0x80, v7
	s_cbranch_execz .LBB464_2458
; %bb.2453:                             ;   in Loop: Header=BB464_1567 Depth=1
	v_bfe_u32 v7, v3, 16, 7
	v_mov_b32_e32 v6, 0x7f800001
	s_mov_b32 s13, exec_lo
	s_delay_alu instid0(VALU_DEP_2)
	v_cmpx_ne_u32_e32 0x7f, v7
	s_cbranch_execz .LBB464_2457
; %bb.2454:                             ;   in Loop: Header=BB464_1567 Depth=1
	v_and_b32_e32 v9, 7, v180
	v_lshrrev_b32_e32 v181, 3, v7
	v_cmp_gt_u32_e64 s0, 8, v7
	s_delay_alu instid0(VALU_DEP_3) | instskip(NEXT) | instid1(VALU_DEP_2)
	v_dual_mov_b32 v6, v9 :: v_dual_mov_b32 v7, v10
	s_and_saveexec_b32 s15, s0
; %bb.2455:                             ;   in Loop: Header=BB464_1567 Depth=1
	v_clz_i32_u32_e32 v6, v9
	s_delay_alu instid0(VALU_DEP_1) | instskip(NEXT) | instid1(VALU_DEP_1)
	v_min_u32_e32 v181, 32, v6
	v_subrev_nc_u32_e32 v6, 28, v181
	v_sub_nc_u32_e32 v181, 29, v181
	s_delay_alu instid0(VALU_DEP_2) | instskip(NEXT) | instid1(VALU_DEP_1)
	v_lshlrev_b64 v[6:7], v6, v[9:10]
	v_and_b32_e32 v6, 7, v6
; %bb.2456:                             ;   in Loop: Header=BB464_1567 Depth=1
	s_or_b32 exec_lo, exec_lo, s15
	v_lshlrev_b32_e32 v7, 24, v180
	s_delay_alu instid0(VALU_DEP_2) | instskip(SKIP_1) | instid1(VALU_DEP_3)
	v_lshlrev_b32_e32 v6, 20, v6
	v_lshl_add_u32 v9, v181, 23, 0x3c000000
	v_and_b32_e32 v7, 0x80000000, v7
	s_delay_alu instid0(VALU_DEP_1)
	v_or3_b32 v6, v6, v7, v9
.LBB464_2457:                           ;   in Loop: Header=BB464_1567 Depth=1
	s_or_b32 exec_lo, exec_lo, s13
.LBB464_2458:                           ;   in Loop: Header=BB464_1567 Depth=1
	s_delay_alu instid0(SALU_CYCLE_1)
	s_or_b32 exec_lo, exec_lo, s12
.LBB464_2459:                           ;   in Loop: Header=BB464_1567 Depth=1
	s_delay_alu instid0(SALU_CYCLE_1) | instskip(NEXT) | instid1(VALU_DEP_1)
	s_or_b32 exec_lo, exec_lo, s9
	v_mul_f32_e32 v6, v26, v6
                                        ; implicit-def: $vgpr180
	s_delay_alu instid0(VALU_DEP_1) | instskip(NEXT) | instid1(VALU_DEP_1)
	v_and_b32_e32 v7, 0x7f800000, v6
	v_cmp_ne_u32_e64 s0, 0x7f800000, v7
	s_delay_alu instid0(VALU_DEP_1) | instskip(NEXT) | instid1(SALU_CYCLE_1)
	s_and_saveexec_b32 s9, s0
	s_xor_b32 s0, exec_lo, s9
; %bb.2460:                             ;   in Loop: Header=BB464_1567 Depth=1
	v_bfe_u32 v7, v6, 16, 1
	s_delay_alu instid0(VALU_DEP_1)
	v_add3_u32 v180, v6, v7, 0x7fff
                                        ; implicit-def: $vgpr6
; %bb.2461:                             ;   in Loop: Header=BB464_1567 Depth=1
	s_and_not1_saveexec_b32 s9, s0
; %bb.2462:                             ;   in Loop: Header=BB464_1567 Depth=1
	v_and_b32_e32 v7, 0xffff, v6
	v_or_b32_e32 v9, 0x10000, v6
	s_delay_alu instid0(VALU_DEP_2) | instskip(NEXT) | instid1(VALU_DEP_1)
	v_cmp_eq_u32_e64 s0, 0, v7
	v_cndmask_b32_e64 v180, v9, v6, s0
; %bb.2463:                             ;   in Loop: Header=BB464_1567 Depth=1
	s_or_b32 exec_lo, exec_lo, s9
	v_cmp_lt_u64_e64 s0, s[2:3], v[2:3]
	v_mov_b32_e32 v2, 0
	s_delay_alu instid0(VALU_DEP_2)
	s_and_saveexec_b32 s9, s0
	s_cbranch_execz .LBB464_2471
; %bb.2464:                             ;   in Loop: Header=BB464_1567 Depth=1
	v_lshrrev_b32_e32 v6, 24, v3
	v_bfrev_b32_e32 v2, 1
	s_mov_b32 s12, exec_lo
	s_delay_alu instid0(VALU_DEP_2)
	v_cmpx_ne_u32_e32 0x80, v6
	s_cbranch_execz .LBB464_2470
; %bb.2465:                             ;   in Loop: Header=BB464_1567 Depth=1
	v_bfe_u32 v3, v3, 24, 7
	v_mov_b32_e32 v2, 0x7f800001
	s_mov_b32 s13, exec_lo
	s_delay_alu instid0(VALU_DEP_2)
	v_cmpx_ne_u32_e32 0x7f, v3
	s_cbranch_execz .LBB464_2469
; %bb.2466:                             ;   in Loop: Header=BB464_1567 Depth=1
	v_and_b32_e32 v9, 7, v6
	v_lshrrev_b32_e32 v7, 3, v3
	v_cmp_gt_u32_e64 s0, 8, v3
	s_delay_alu instid0(VALU_DEP_3) | instskip(NEXT) | instid1(VALU_DEP_2)
	v_dual_mov_b32 v2, v9 :: v_dual_mov_b32 v3, v10
	s_and_saveexec_b32 s15, s0
; %bb.2467:                             ;   in Loop: Header=BB464_1567 Depth=1
	v_clz_i32_u32_e32 v2, v9
	s_delay_alu instid0(VALU_DEP_1) | instskip(NEXT) | instid1(VALU_DEP_1)
	v_min_u32_e32 v7, 32, v2
	v_subrev_nc_u32_e32 v2, 28, v7
	v_sub_nc_u32_e32 v7, 29, v7
	s_delay_alu instid0(VALU_DEP_2) | instskip(NEXT) | instid1(VALU_DEP_1)
	v_lshlrev_b64 v[2:3], v2, v[9:10]
	v_and_b32_e32 v2, 7, v2
; %bb.2468:                             ;   in Loop: Header=BB464_1567 Depth=1
	s_or_b32 exec_lo, exec_lo, s15
	v_lshlrev_b32_e32 v3, 24, v6
	s_delay_alu instid0(VALU_DEP_2) | instskip(SKIP_1) | instid1(VALU_DEP_3)
	v_lshlrev_b32_e32 v2, 20, v2
	v_lshl_add_u32 v6, v7, 23, 0x3c000000
	v_and_b32_e32 v3, 0x80000000, v3
	s_delay_alu instid0(VALU_DEP_1)
	v_or3_b32 v2, v2, v3, v6
.LBB464_2469:                           ;   in Loop: Header=BB464_1567 Depth=1
	s_or_b32 exec_lo, exec_lo, s13
.LBB464_2470:                           ;   in Loop: Header=BB464_1567 Depth=1
	s_delay_alu instid0(SALU_CYCLE_1)
	s_or_b32 exec_lo, exec_lo, s12
.LBB464_2471:                           ;   in Loop: Header=BB464_1567 Depth=1
	s_delay_alu instid0(SALU_CYCLE_1) | instskip(NEXT) | instid1(VALU_DEP_1)
	s_or_b32 exec_lo, exec_lo, s9
	v_mul_f32_e32 v3, v26, v2
	s_delay_alu instid0(VALU_DEP_1) | instskip(NEXT) | instid1(VALU_DEP_1)
	v_and_b32_e32 v2, 0x7f800000, v3
	v_cmp_ne_u32_e64 s0, 0x7f800000, v2
                                        ; implicit-def: $vgpr2
	s_delay_alu instid0(VALU_DEP_1) | instskip(NEXT) | instid1(SALU_CYCLE_1)
	s_and_saveexec_b32 s9, s0
	s_xor_b32 s0, exec_lo, s9
; %bb.2472:                             ;   in Loop: Header=BB464_1567 Depth=1
	v_bfe_u32 v2, v3, 16, 1
	s_delay_alu instid0(VALU_DEP_1)
	v_add3_u32 v2, v3, v2, 0x7fff
                                        ; implicit-def: $vgpr3
; %bb.2473:                             ;   in Loop: Header=BB464_1567 Depth=1
	s_and_not1_saveexec_b32 s9, s0
; %bb.2474:                             ;   in Loop: Header=BB464_1567 Depth=1
	v_and_b32_e32 v2, 0xffff, v3
	v_or_b32_e32 v6, 0x10000, v3
	s_delay_alu instid0(VALU_DEP_2) | instskip(NEXT) | instid1(VALU_DEP_1)
	v_cmp_eq_u32_e64 s0, 0, v2
	v_cndmask_b32_e64 v2, v6, v3, s0
; %bb.2475:                             ;   in Loop: Header=BB464_1567 Depth=1
	s_or_b32 exec_lo, exec_lo, s9
	v_lshrrev_b32_e32 v6, 16, v179
	v_lshrrev_b32_e32 v7, 16, v178
	;; [unrolled: 1-line block ×8, first 2 shown]
	s_and_saveexec_b32 s9, vcc_lo
	s_cbranch_execz .LBB464_2477
; %bb.2476:                             ;   in Loop: Header=BB464_1567 Depth=1
	v_cmp_lt_i32_e64 s0, v68, v36
	s_delay_alu instid0(VALU_DEP_1) | instskip(SKIP_1) | instid1(VALU_DEP_1)
	v_cndmask_b32_e64 v4, 0, v4, s0
	v_cmp_lt_i32_e64 s0, v82, v36
	v_cndmask_b32_e64 v23, 0, v23, s0
	v_cmp_lt_i32_e64 s0, v81, v36
	s_delay_alu instid0(VALU_DEP_1) | instskip(SKIP_1) | instid1(VALU_DEP_1)
	v_cndmask_b32_e64 v34, 0, v34, s0
	v_cmp_lt_i32_e64 s0, v80, v36
	v_cndmask_b32_e64 v9, 0, v9, s0
	;; [unrolled: 5-line block ×4, first 2 shown]
.LBB464_2477:                           ;   in Loop: Header=BB464_1567 Depth=1
	s_or_b32 exec_lo, exec_lo, s9
	v_lshlrev_b32_e32 v4, 16, v4
	s_delay_alu instid0(VALU_DEP_1) | instskip(NEXT) | instid1(VALU_DEP_1)
	v_mul_f32_e32 v35, v83, v4
	v_and_b32_e32 v4, 0x7f800000, v35
	s_delay_alu instid0(VALU_DEP_1) | instskip(NEXT) | instid1(VALU_DEP_1)
	v_cmp_ne_u32_e64 s0, 0x7f800000, v4
                                        ; implicit-def: $vgpr4
	s_and_saveexec_b32 s9, s0
	s_delay_alu instid0(SALU_CYCLE_1)
	s_xor_b32 s0, exec_lo, s9
; %bb.2478:                             ;   in Loop: Header=BB464_1567 Depth=1
	v_bfe_u32 v4, v35, 16, 1
	s_delay_alu instid0(VALU_DEP_1)
	v_add3_u32 v4, v35, v4, 0x7fff
                                        ; implicit-def: $vgpr35
; %bb.2479:                             ;   in Loop: Header=BB464_1567 Depth=1
	s_and_not1_saveexec_b32 s9, s0
; %bb.2480:                             ;   in Loop: Header=BB464_1567 Depth=1
	v_and_b32_e32 v4, 0xffff, v35
	v_or_b32_e32 v178, 0x10000, v35
	s_delay_alu instid0(VALU_DEP_2) | instskip(NEXT) | instid1(VALU_DEP_1)
	v_cmp_eq_u32_e64 s0, 0, v4
	v_cndmask_b32_e64 v4, v178, v35, s0
; %bb.2481:                             ;   in Loop: Header=BB464_1567 Depth=1
	s_or_b32 exec_lo, exec_lo, s9
	v_lshlrev_b32_e32 v23, 16, v23
	s_delay_alu instid0(VALU_DEP_1) | instskip(NEXT) | instid1(VALU_DEP_1)
	v_mul_f32_e32 v35, v84, v23
	v_and_b32_e32 v23, 0x7f800000, v35
	s_delay_alu instid0(VALU_DEP_1) | instskip(NEXT) | instid1(VALU_DEP_1)
	v_cmp_ne_u32_e64 s0, 0x7f800000, v23
                                        ; implicit-def: $vgpr23
	s_and_saveexec_b32 s9, s0
	s_delay_alu instid0(SALU_CYCLE_1)
	s_xor_b32 s0, exec_lo, s9
; %bb.2482:                             ;   in Loop: Header=BB464_1567 Depth=1
	v_bfe_u32 v23, v35, 16, 1
	s_delay_alu instid0(VALU_DEP_1)
	v_add3_u32 v23, v35, v23, 0x7fff
                                        ; implicit-def: $vgpr35
; %bb.2483:                             ;   in Loop: Header=BB464_1567 Depth=1
	s_and_not1_saveexec_b32 s9, s0
; %bb.2484:                             ;   in Loop: Header=BB464_1567 Depth=1
	v_and_b32_e32 v23, 0xffff, v35
	v_or_b32_e32 v178, 0x10000, v35
	s_delay_alu instid0(VALU_DEP_2) | instskip(NEXT) | instid1(VALU_DEP_1)
	v_cmp_eq_u32_e64 s0, 0, v23
	v_cndmask_b32_e64 v23, v178, v35, s0
; %bb.2485:                             ;   in Loop: Header=BB464_1567 Depth=1
	s_or_b32 exec_lo, exec_lo, s9
	v_lshlrev_b32_e32 v34, 16, v34
	s_delay_alu instid0(VALU_DEP_1) | instskip(NEXT) | instid1(VALU_DEP_1)
	v_mul_f32_e32 v34, v85, v34
	v_and_b32_e32 v35, 0x7f800000, v34
	s_delay_alu instid0(VALU_DEP_1) | instskip(NEXT) | instid1(VALU_DEP_1)
	v_cmp_ne_u32_e64 s0, 0x7f800000, v35
                                        ; implicit-def: $vgpr35
	s_and_saveexec_b32 s9, s0
	s_delay_alu instid0(SALU_CYCLE_1)
	s_xor_b32 s0, exec_lo, s9
; %bb.2486:                             ;   in Loop: Header=BB464_1567 Depth=1
	v_bfe_u32 v35, v34, 16, 1
	s_delay_alu instid0(VALU_DEP_1)
	v_add3_u32 v35, v34, v35, 0x7fff
                                        ; implicit-def: $vgpr34
; %bb.2487:                             ;   in Loop: Header=BB464_1567 Depth=1
	s_and_not1_saveexec_b32 s9, s0
; %bb.2488:                             ;   in Loop: Header=BB464_1567 Depth=1
	v_and_b32_e32 v35, 0xffff, v34
	v_or_b32_e32 v178, 0x10000, v34
	s_delay_alu instid0(VALU_DEP_2) | instskip(NEXT) | instid1(VALU_DEP_1)
	v_cmp_eq_u32_e64 s0, 0, v35
	v_cndmask_b32_e64 v35, v178, v34, s0
; %bb.2489:                             ;   in Loop: Header=BB464_1567 Depth=1
	s_or_b32 exec_lo, exec_lo, s9
	v_lshlrev_b32_e32 v9, 16, v9
                                        ; implicit-def: $vgpr178
	s_delay_alu instid0(VALU_DEP_1) | instskip(NEXT) | instid1(VALU_DEP_1)
	v_mul_f32_e32 v9, v86, v9
	v_and_b32_e32 v34, 0x7f800000, v9
	s_delay_alu instid0(VALU_DEP_1) | instskip(NEXT) | instid1(VALU_DEP_1)
	v_cmp_ne_u32_e64 s0, 0x7f800000, v34
	s_and_saveexec_b32 s9, s0
	s_delay_alu instid0(SALU_CYCLE_1)
	s_xor_b32 s0, exec_lo, s9
; %bb.2490:                             ;   in Loop: Header=BB464_1567 Depth=1
	v_bfe_u32 v34, v9, 16, 1
	s_delay_alu instid0(VALU_DEP_1)
	v_add3_u32 v178, v9, v34, 0x7fff
                                        ; implicit-def: $vgpr9
; %bb.2491:                             ;   in Loop: Header=BB464_1567 Depth=1
	s_and_not1_saveexec_b32 s9, s0
; %bb.2492:                             ;   in Loop: Header=BB464_1567 Depth=1
	v_and_b32_e32 v34, 0xffff, v9
	v_or_b32_e32 v178, 0x10000, v9
	s_delay_alu instid0(VALU_DEP_2) | instskip(NEXT) | instid1(VALU_DEP_1)
	v_cmp_eq_u32_e64 s0, 0, v34
	v_cndmask_b32_e64 v178, v178, v9, s0
; %bb.2493:                             ;   in Loop: Header=BB464_1567 Depth=1
	s_or_b32 exec_lo, exec_lo, s9
	v_lshlrev_b32_e32 v7, 16, v7
                                        ; implicit-def: $vgpr179
	s_delay_alu instid0(VALU_DEP_1) | instskip(NEXT) | instid1(VALU_DEP_1)
	v_mul_f32_e32 v7, v87, v7
	v_and_b32_e32 v9, 0x7f800000, v7
	s_delay_alu instid0(VALU_DEP_1) | instskip(NEXT) | instid1(VALU_DEP_1)
	v_cmp_ne_u32_e64 s0, 0x7f800000, v9
	s_and_saveexec_b32 s9, s0
	s_delay_alu instid0(SALU_CYCLE_1)
	s_xor_b32 s0, exec_lo, s9
; %bb.2494:                             ;   in Loop: Header=BB464_1567 Depth=1
	v_bfe_u32 v9, v7, 16, 1
	s_delay_alu instid0(VALU_DEP_1)
	v_add3_u32 v179, v7, v9, 0x7fff
                                        ; implicit-def: $vgpr7
; %bb.2495:                             ;   in Loop: Header=BB464_1567 Depth=1
	s_and_not1_saveexec_b32 s9, s0
; %bb.2496:                             ;   in Loop: Header=BB464_1567 Depth=1
	v_and_b32_e32 v9, 0xffff, v7
	v_or_b32_e32 v34, 0x10000, v7
	s_delay_alu instid0(VALU_DEP_2) | instskip(NEXT) | instid1(VALU_DEP_1)
	v_cmp_eq_u32_e64 s0, 0, v9
	v_cndmask_b32_e64 v179, v34, v7, s0
; %bb.2497:                             ;   in Loop: Header=BB464_1567 Depth=1
	s_or_b32 exec_lo, exec_lo, s9
	v_lshlrev_b32_e32 v6, 16, v6
                                        ; implicit-def: $vgpr180
	s_delay_alu instid0(VALU_DEP_1) | instskip(NEXT) | instid1(VALU_DEP_1)
	v_mul_f32_e32 v6, v96, v6
	v_and_b32_e32 v7, 0x7f800000, v6
	s_delay_alu instid0(VALU_DEP_1) | instskip(NEXT) | instid1(VALU_DEP_1)
	v_cmp_ne_u32_e64 s0, 0x7f800000, v7
	s_and_saveexec_b32 s9, s0
	s_delay_alu instid0(SALU_CYCLE_1)
	s_xor_b32 s0, exec_lo, s9
; %bb.2498:                             ;   in Loop: Header=BB464_1567 Depth=1
	v_bfe_u32 v7, v6, 16, 1
	s_delay_alu instid0(VALU_DEP_1)
	v_add3_u32 v180, v6, v7, 0x7fff
                                        ; implicit-def: $vgpr6
; %bb.2499:                             ;   in Loop: Header=BB464_1567 Depth=1
	s_and_not1_saveexec_b32 s9, s0
; %bb.2500:                             ;   in Loop: Header=BB464_1567 Depth=1
	v_and_b32_e32 v7, 0xffff, v6
	v_or_b32_e32 v9, 0x10000, v6
	s_delay_alu instid0(VALU_DEP_2) | instskip(NEXT) | instid1(VALU_DEP_1)
	v_cmp_eq_u32_e64 s0, 0, v7
	v_cndmask_b32_e64 v180, v9, v6, s0
; %bb.2501:                             ;   in Loop: Header=BB464_1567 Depth=1
	s_or_b32 exec_lo, exec_lo, s9
	v_lshlrev_b32_e32 v3, 16, v3
                                        ; implicit-def: $vgpr181
	s_delay_alu instid0(VALU_DEP_1) | instskip(NEXT) | instid1(VALU_DEP_1)
	v_mul_f32_e32 v3, v97, v3
	v_and_b32_e32 v6, 0x7f800000, v3
	s_delay_alu instid0(VALU_DEP_1) | instskip(NEXT) | instid1(VALU_DEP_1)
	v_cmp_ne_u32_e64 s0, 0x7f800000, v6
	s_and_saveexec_b32 s9, s0
	s_delay_alu instid0(SALU_CYCLE_1)
	s_xor_b32 s0, exec_lo, s9
; %bb.2502:                             ;   in Loop: Header=BB464_1567 Depth=1
	v_bfe_u32 v6, v3, 16, 1
	s_delay_alu instid0(VALU_DEP_1)
	v_add3_u32 v181, v3, v6, 0x7fff
                                        ; implicit-def: $vgpr3
; %bb.2503:                             ;   in Loop: Header=BB464_1567 Depth=1
	s_and_not1_saveexec_b32 s9, s0
; %bb.2504:                             ;   in Loop: Header=BB464_1567 Depth=1
	v_and_b32_e32 v6, 0xffff, v3
	v_or_b32_e32 v7, 0x10000, v3
	s_delay_alu instid0(VALU_DEP_2) | instskip(NEXT) | instid1(VALU_DEP_1)
	v_cmp_eq_u32_e64 s0, 0, v6
	v_cndmask_b32_e64 v181, v7, v3, s0
; %bb.2505:                             ;   in Loop: Header=BB464_1567 Depth=1
	s_or_b32 exec_lo, exec_lo, s9
	v_lshlrev_b32_e32 v2, 16, v2
                                        ; implicit-def: $vgpr182
	s_delay_alu instid0(VALU_DEP_1) | instskip(NEXT) | instid1(VALU_DEP_1)
	v_mul_f32_e32 v2, v98, v2
	v_and_b32_e32 v3, 0x7f800000, v2
	s_delay_alu instid0(VALU_DEP_1) | instskip(NEXT) | instid1(VALU_DEP_1)
	v_cmp_ne_u32_e64 s0, 0x7f800000, v3
	s_and_saveexec_b32 s9, s0
	s_delay_alu instid0(SALU_CYCLE_1)
	s_xor_b32 s0, exec_lo, s9
; %bb.2506:                             ;   in Loop: Header=BB464_1567 Depth=1
	v_bfe_u32 v3, v2, 16, 1
	s_delay_alu instid0(VALU_DEP_1)
	v_add3_u32 v182, v2, v3, 0x7fff
                                        ; implicit-def: $vgpr2
; %bb.2507:                             ;   in Loop: Header=BB464_1567 Depth=1
	s_and_not1_saveexec_b32 s9, s0
; %bb.2508:                             ;   in Loop: Header=BB464_1567 Depth=1
	v_and_b32_e32 v3, 0xffff, v2
	v_or_b32_e32 v6, 0x10000, v2
	s_delay_alu instid0(VALU_DEP_2) | instskip(NEXT) | instid1(VALU_DEP_1)
	v_cmp_eq_u32_e64 s0, 0, v3
	v_cndmask_b32_e64 v182, v6, v2, s0
; %bb.2509:                             ;   in Loop: Header=BB464_1567 Depth=1
	s_or_b32 exec_lo, exec_lo, s9
	flat_load_b64 v[2:3], v[0:1] offset:1792
	s_mov_b32 s9, exec_lo
	s_waitcnt vmcnt(0) lgkmcnt(0)
	v_dual_mov_b32 v6, 0 :: v_dual_and_b32 v7, 0xff, v2
	s_delay_alu instid0(VALU_DEP_1)
	v_cmpx_ne_u16_e32 0, v7
	s_cbranch_execz .LBB464_2517
; %bb.2510:                             ;   in Loop: Header=BB464_1567 Depth=1
	v_bfrev_b32_e32 v6, 1
	s_mov_b32 s12, exec_lo
	v_cmpx_ne_u16_e32 0x80, v7
	s_cbranch_execz .LBB464_2516
; %bb.2511:                             ;   in Loop: Header=BB464_1567 Depth=1
	v_and_b32_e32 v7, 0x7f, v2
	v_mov_b32_e32 v6, 0x7f800001
	s_mov_b32 s13, exec_lo
	s_delay_alu instid0(VALU_DEP_2)
	v_cmpx_ne_u32_e32 0x7f, v7
	s_cbranch_execz .LBB464_2515
; %bb.2512:                             ;   in Loop: Header=BB464_1567 Depth=1
	v_lshrrev_b32_e32 v9, 3, v7
	v_cmp_gt_u32_e64 s0, 8, v7
	v_dual_mov_b32 v7, v3 :: v_dual_mov_b32 v6, v2
	s_delay_alu instid0(VALU_DEP_2)
	s_and_saveexec_b32 s15, s0
; %bb.2513:                             ;   in Loop: Header=BB464_1567 Depth=1
	v_and_b32_e32 v6, 7, v2
	s_delay_alu instid0(VALU_DEP_1) | instskip(NEXT) | instid1(VALU_DEP_1)
	v_clz_i32_u32_e32 v6, v6
	v_min_u32_e32 v9, 32, v6
	s_delay_alu instid0(VALU_DEP_1) | instskip(SKIP_1) | instid1(VALU_DEP_2)
	v_subrev_nc_u32_e32 v6, 28, v9
	v_sub_nc_u32_e32 v9, 29, v9
	v_lshlrev_b64 v[6:7], v6, v[2:3]
; %bb.2514:                             ;   in Loop: Header=BB464_1567 Depth=1
	s_or_b32 exec_lo, exec_lo, s15
	s_delay_alu instid0(VALU_DEP_1) | instskip(SKIP_2) | instid1(VALU_DEP_3)
	v_lshlrev_b32_e32 v6, 20, v6
	v_lshlrev_b32_e32 v7, 24, v2
	v_lshl_add_u32 v9, v9, 23, 0x3c000000
	v_and_b32_e32 v6, 0x700000, v6
	s_delay_alu instid0(VALU_DEP_3) | instskip(NEXT) | instid1(VALU_DEP_1)
	v_and_b32_e32 v7, 0x80000000, v7
	v_or3_b32 v6, v6, v7, v9
.LBB464_2515:                           ;   in Loop: Header=BB464_1567 Depth=1
	s_or_b32 exec_lo, exec_lo, s13
.LBB464_2516:                           ;   in Loop: Header=BB464_1567 Depth=1
	s_delay_alu instid0(SALU_CYCLE_1)
	s_or_b32 exec_lo, exec_lo, s12
.LBB464_2517:                           ;   in Loop: Header=BB464_1567 Depth=1
	s_delay_alu instid0(SALU_CYCLE_1) | instskip(NEXT) | instid1(VALU_DEP_1)
	s_or_b32 exec_lo, exec_lo, s9
	v_mul_f32_e32 v6, v26, v6
                                        ; implicit-def: $vgpr34
	s_delay_alu instid0(VALU_DEP_1) | instskip(NEXT) | instid1(VALU_DEP_1)
	v_and_b32_e32 v7, 0x7f800000, v6
	v_cmp_ne_u32_e64 s0, 0x7f800000, v7
	s_delay_alu instid0(VALU_DEP_1) | instskip(NEXT) | instid1(SALU_CYCLE_1)
	s_and_saveexec_b32 s9, s0
	s_xor_b32 s0, exec_lo, s9
; %bb.2518:                             ;   in Loop: Header=BB464_1567 Depth=1
	v_bfe_u32 v7, v6, 16, 1
	s_delay_alu instid0(VALU_DEP_1)
	v_add3_u32 v34, v6, v7, 0x7fff
                                        ; implicit-def: $vgpr6
; %bb.2519:                             ;   in Loop: Header=BB464_1567 Depth=1
	s_and_not1_saveexec_b32 s9, s0
; %bb.2520:                             ;   in Loop: Header=BB464_1567 Depth=1
	v_and_b32_e32 v7, 0xffff, v6
	v_or_b32_e32 v9, 0x10000, v6
	s_delay_alu instid0(VALU_DEP_2) | instskip(NEXT) | instid1(VALU_DEP_1)
	v_cmp_eq_u32_e64 s0, 0, v7
	v_cndmask_b32_e64 v34, v9, v6, s0
; %bb.2521:                             ;   in Loop: Header=BB464_1567 Depth=1
	s_or_b32 exec_lo, exec_lo, s9
	v_lshrrev_b16 v7, 8, v2
	v_mov_b32_e32 v6, 0
	s_mov_b32 s9, exec_lo
	s_delay_alu instid0(VALU_DEP_2)
	v_cmpx_ne_u16_e32 0, v7
	s_cbranch_execz .LBB464_2529
; %bb.2522:                             ;   in Loop: Header=BB464_1567 Depth=1
	v_bfrev_b32_e32 v6, 1
	s_mov_b32 s12, exec_lo
	v_cmpx_ne_u16_e32 0x80, v7
	s_cbranch_execz .LBB464_2528
; %bb.2523:                             ;   in Loop: Header=BB464_1567 Depth=1
	v_and_b32_e32 v9, 0xffff, v7
	v_mov_b32_e32 v6, 0x7f800001
	s_mov_b32 s13, exec_lo
	s_delay_alu instid0(VALU_DEP_2) | instskip(NEXT) | instid1(VALU_DEP_1)
	v_and_b32_e32 v7, 0x7f, v9
	v_cmpx_ne_u32_e32 0x7f, v7
	s_cbranch_execz .LBB464_2527
; %bb.2524:                             ;   in Loop: Header=BB464_1567 Depth=1
	v_and_b32_e32 v9, 7, v9
	v_lshrrev_b32_e32 v183, 3, v7
	v_cmp_gt_u32_e64 s0, 8, v7
	s_delay_alu instid0(VALU_DEP_3) | instskip(NEXT) | instid1(VALU_DEP_2)
	v_dual_mov_b32 v6, v9 :: v_dual_mov_b32 v7, v10
	s_and_saveexec_b32 s15, s0
; %bb.2525:                             ;   in Loop: Header=BB464_1567 Depth=1
	v_clz_i32_u32_e32 v6, v9
	s_delay_alu instid0(VALU_DEP_1) | instskip(NEXT) | instid1(VALU_DEP_1)
	v_min_u32_e32 v183, 32, v6
	v_subrev_nc_u32_e32 v6, 28, v183
	v_sub_nc_u32_e32 v183, 29, v183
	s_delay_alu instid0(VALU_DEP_2) | instskip(NEXT) | instid1(VALU_DEP_1)
	v_lshlrev_b64 v[6:7], v6, v[9:10]
	v_and_b32_e32 v6, 7, v6
; %bb.2526:                             ;   in Loop: Header=BB464_1567 Depth=1
	s_or_b32 exec_lo, exec_lo, s15
	v_lshlrev_b32_e32 v7, 16, v2
	s_delay_alu instid0(VALU_DEP_2) | instskip(SKIP_1) | instid1(VALU_DEP_3)
	v_lshlrev_b32_e32 v6, 20, v6
	v_lshl_add_u32 v9, v183, 23, 0x3c000000
	v_and_b32_e32 v7, 0x80000000, v7
	s_delay_alu instid0(VALU_DEP_1)
	v_or3_b32 v6, v6, v7, v9
.LBB464_2527:                           ;   in Loop: Header=BB464_1567 Depth=1
	s_or_b32 exec_lo, exec_lo, s13
.LBB464_2528:                           ;   in Loop: Header=BB464_1567 Depth=1
	s_delay_alu instid0(SALU_CYCLE_1)
	s_or_b32 exec_lo, exec_lo, s12
.LBB464_2529:                           ;   in Loop: Header=BB464_1567 Depth=1
	s_delay_alu instid0(SALU_CYCLE_1) | instskip(NEXT) | instid1(VALU_DEP_1)
	s_or_b32 exec_lo, exec_lo, s9
	v_mul_f32_e32 v6, v26, v6
                                        ; implicit-def: $vgpr183
	s_delay_alu instid0(VALU_DEP_1) | instskip(NEXT) | instid1(VALU_DEP_1)
	v_and_b32_e32 v7, 0x7f800000, v6
	v_cmp_ne_u32_e64 s0, 0x7f800000, v7
	s_delay_alu instid0(VALU_DEP_1) | instskip(NEXT) | instid1(SALU_CYCLE_1)
	s_and_saveexec_b32 s9, s0
	s_xor_b32 s0, exec_lo, s9
; %bb.2530:                             ;   in Loop: Header=BB464_1567 Depth=1
	v_bfe_u32 v7, v6, 16, 1
	s_delay_alu instid0(VALU_DEP_1)
	v_add3_u32 v183, v6, v7, 0x7fff
                                        ; implicit-def: $vgpr6
; %bb.2531:                             ;   in Loop: Header=BB464_1567 Depth=1
	s_and_not1_saveexec_b32 s9, s0
; %bb.2532:                             ;   in Loop: Header=BB464_1567 Depth=1
	v_and_b32_e32 v7, 0xffff, v6
	v_or_b32_e32 v9, 0x10000, v6
	s_delay_alu instid0(VALU_DEP_2) | instskip(NEXT) | instid1(VALU_DEP_1)
	v_cmp_eq_u32_e64 s0, 0, v7
	v_cndmask_b32_e64 v183, v9, v6, s0
; %bb.2533:                             ;   in Loop: Header=BB464_1567 Depth=1
	s_or_b32 exec_lo, exec_lo, s9
	v_lshrrev_b32_e32 v40, 16, v2
	s_mov_b32 s9, exec_lo
	s_delay_alu instid0(VALU_DEP_1) | instskip(NEXT) | instid1(VALU_DEP_1)
	v_dual_mov_b32 v6, 0 :: v_dual_and_b32 v7, 0xff, v40
	v_cmpx_ne_u16_e32 0, v7
	s_cbranch_execz .LBB464_2541
; %bb.2534:                             ;   in Loop: Header=BB464_1567 Depth=1
	v_bfrev_b32_e32 v6, 1
	s_mov_b32 s12, exec_lo
	v_cmpx_ne_u16_e32 0x80, v7
	s_cbranch_execz .LBB464_2540
; %bb.2535:                             ;   in Loop: Header=BB464_1567 Depth=1
	v_bfe_u32 v7, v2, 16, 7
	v_mov_b32_e32 v6, 0x7f800001
	s_mov_b32 s13, exec_lo
	s_delay_alu instid0(VALU_DEP_2)
	v_cmpx_ne_u32_e32 0x7f, v7
	s_cbranch_execz .LBB464_2539
; %bb.2536:                             ;   in Loop: Header=BB464_1567 Depth=1
	v_and_b32_e32 v9, 7, v40
	v_lshrrev_b32_e32 v41, 3, v7
	v_cmp_gt_u32_e64 s0, 8, v7
	s_delay_alu instid0(VALU_DEP_3) | instskip(NEXT) | instid1(VALU_DEP_2)
	v_dual_mov_b32 v6, v9 :: v_dual_mov_b32 v7, v10
	s_and_saveexec_b32 s15, s0
; %bb.2537:                             ;   in Loop: Header=BB464_1567 Depth=1
	v_clz_i32_u32_e32 v6, v9
	s_delay_alu instid0(VALU_DEP_1) | instskip(NEXT) | instid1(VALU_DEP_1)
	v_min_u32_e32 v41, 32, v6
	v_subrev_nc_u32_e32 v6, 28, v41
	v_sub_nc_u32_e32 v41, 29, v41
	s_delay_alu instid0(VALU_DEP_2) | instskip(NEXT) | instid1(VALU_DEP_1)
	v_lshlrev_b64 v[6:7], v6, v[9:10]
	v_and_b32_e32 v6, 7, v6
; %bb.2538:                             ;   in Loop: Header=BB464_1567 Depth=1
	s_or_b32 exec_lo, exec_lo, s15
	v_lshlrev_b32_e32 v7, 24, v40
	s_delay_alu instid0(VALU_DEP_2) | instskip(SKIP_1) | instid1(VALU_DEP_3)
	v_lshlrev_b32_e32 v6, 20, v6
	v_lshl_add_u32 v9, v41, 23, 0x3c000000
	v_and_b32_e32 v7, 0x80000000, v7
	s_delay_alu instid0(VALU_DEP_1)
	v_or3_b32 v6, v6, v7, v9
.LBB464_2539:                           ;   in Loop: Header=BB464_1567 Depth=1
	s_or_b32 exec_lo, exec_lo, s13
.LBB464_2540:                           ;   in Loop: Header=BB464_1567 Depth=1
	s_delay_alu instid0(SALU_CYCLE_1)
	s_or_b32 exec_lo, exec_lo, s12
.LBB464_2541:                           ;   in Loop: Header=BB464_1567 Depth=1
	s_delay_alu instid0(SALU_CYCLE_1) | instskip(NEXT) | instid1(VALU_DEP_1)
	s_or_b32 exec_lo, exec_lo, s9
	v_mul_f32_e32 v6, v26, v6
                                        ; implicit-def: $vgpr40
	s_delay_alu instid0(VALU_DEP_1) | instskip(NEXT) | instid1(VALU_DEP_1)
	v_and_b32_e32 v7, 0x7f800000, v6
	v_cmp_ne_u32_e64 s0, 0x7f800000, v7
	s_delay_alu instid0(VALU_DEP_1) | instskip(NEXT) | instid1(SALU_CYCLE_1)
	s_and_saveexec_b32 s9, s0
	s_xor_b32 s0, exec_lo, s9
; %bb.2542:                             ;   in Loop: Header=BB464_1567 Depth=1
	v_bfe_u32 v7, v6, 16, 1
	s_delay_alu instid0(VALU_DEP_1)
	v_add3_u32 v40, v6, v7, 0x7fff
                                        ; implicit-def: $vgpr6
; %bb.2543:                             ;   in Loop: Header=BB464_1567 Depth=1
	s_and_not1_saveexec_b32 s9, s0
; %bb.2544:                             ;   in Loop: Header=BB464_1567 Depth=1
	v_and_b32_e32 v7, 0xffff, v6
	v_or_b32_e32 v9, 0x10000, v6
	s_delay_alu instid0(VALU_DEP_2) | instskip(NEXT) | instid1(VALU_DEP_1)
	v_cmp_eq_u32_e64 s0, 0, v7
	v_cndmask_b32_e64 v40, v9, v6, s0
; %bb.2545:                             ;   in Loop: Header=BB464_1567 Depth=1
	s_or_b32 exec_lo, exec_lo, s9
	v_mov_b32_e32 v6, 0
	s_mov_b32 s9, exec_lo
	v_cmpx_lt_u32_e32 0xffffff, v2
	s_cbranch_execz .LBB464_2553
; %bb.2546:                             ;   in Loop: Header=BB464_1567 Depth=1
	v_lshrrev_b32_e32 v41, 24, v2
	v_bfrev_b32_e32 v6, 1
	s_mov_b32 s12, exec_lo
	s_delay_alu instid0(VALU_DEP_2)
	v_cmpx_ne_u32_e32 0x80, v41
	s_cbranch_execz .LBB464_2552
; %bb.2547:                             ;   in Loop: Header=BB464_1567 Depth=1
	v_bfe_u32 v7, v2, 24, 7
	v_mov_b32_e32 v6, 0x7f800001
	s_mov_b32 s13, exec_lo
	s_delay_alu instid0(VALU_DEP_2)
	v_cmpx_ne_u32_e32 0x7f, v7
	s_cbranch_execz .LBB464_2551
; %bb.2548:                             ;   in Loop: Header=BB464_1567 Depth=1
	v_and_b32_e32 v9, 7, v41
	v_lshrrev_b32_e32 v42, 3, v7
	v_cmp_gt_u32_e64 s0, 8, v7
	s_delay_alu instid0(VALU_DEP_3) | instskip(NEXT) | instid1(VALU_DEP_2)
	v_dual_mov_b32 v6, v9 :: v_dual_mov_b32 v7, v10
	s_and_saveexec_b32 s15, s0
; %bb.2549:                             ;   in Loop: Header=BB464_1567 Depth=1
	v_clz_i32_u32_e32 v6, v9
	s_delay_alu instid0(VALU_DEP_1) | instskip(NEXT) | instid1(VALU_DEP_1)
	v_min_u32_e32 v42, 32, v6
	v_subrev_nc_u32_e32 v6, 28, v42
	v_sub_nc_u32_e32 v42, 29, v42
	s_delay_alu instid0(VALU_DEP_2) | instskip(NEXT) | instid1(VALU_DEP_1)
	v_lshlrev_b64 v[6:7], v6, v[9:10]
	v_and_b32_e32 v6, 7, v6
; %bb.2550:                             ;   in Loop: Header=BB464_1567 Depth=1
	s_or_b32 exec_lo, exec_lo, s15
	v_lshlrev_b32_e32 v7, 24, v41
	s_delay_alu instid0(VALU_DEP_2) | instskip(SKIP_1) | instid1(VALU_DEP_3)
	v_lshlrev_b32_e32 v6, 20, v6
	v_lshl_add_u32 v9, v42, 23, 0x3c000000
	v_and_b32_e32 v7, 0x80000000, v7
	s_delay_alu instid0(VALU_DEP_1)
	v_or3_b32 v6, v6, v7, v9
.LBB464_2551:                           ;   in Loop: Header=BB464_1567 Depth=1
	s_or_b32 exec_lo, exec_lo, s13
.LBB464_2552:                           ;   in Loop: Header=BB464_1567 Depth=1
	s_delay_alu instid0(SALU_CYCLE_1)
	s_or_b32 exec_lo, exec_lo, s12
.LBB464_2553:                           ;   in Loop: Header=BB464_1567 Depth=1
	s_delay_alu instid0(SALU_CYCLE_1) | instskip(NEXT) | instid1(VALU_DEP_1)
	s_or_b32 exec_lo, exec_lo, s9
	v_mul_f32_e32 v6, v26, v6
                                        ; implicit-def: $vgpr41
	s_delay_alu instid0(VALU_DEP_1) | instskip(NEXT) | instid1(VALU_DEP_1)
	v_and_b32_e32 v7, 0x7f800000, v6
	v_cmp_ne_u32_e64 s0, 0x7f800000, v7
	s_delay_alu instid0(VALU_DEP_1) | instskip(NEXT) | instid1(SALU_CYCLE_1)
	s_and_saveexec_b32 s9, s0
	s_xor_b32 s0, exec_lo, s9
; %bb.2554:                             ;   in Loop: Header=BB464_1567 Depth=1
	v_bfe_u32 v7, v6, 16, 1
	s_delay_alu instid0(VALU_DEP_1)
	v_add3_u32 v41, v6, v7, 0x7fff
                                        ; implicit-def: $vgpr6
; %bb.2555:                             ;   in Loop: Header=BB464_1567 Depth=1
	s_and_not1_saveexec_b32 s9, s0
; %bb.2556:                             ;   in Loop: Header=BB464_1567 Depth=1
	v_and_b32_e32 v7, 0xffff, v6
	v_or_b32_e32 v9, 0x10000, v6
	s_delay_alu instid0(VALU_DEP_2) | instskip(NEXT) | instid1(VALU_DEP_1)
	v_cmp_eq_u32_e64 s0, 0, v7
	v_cndmask_b32_e64 v41, v9, v6, s0
; %bb.2557:                             ;   in Loop: Header=BB464_1567 Depth=1
	s_or_b32 exec_lo, exec_lo, s9
	v_dual_mov_b32 v6, 0 :: v_dual_and_b32 v7, 0xff, v3
	v_mov_b32_e32 v9, v3
	s_mov_b32 s9, exec_lo
	s_delay_alu instid0(VALU_DEP_2)
	v_cmpx_ne_u16_e32 0, v7
	s_cbranch_execz .LBB464_2565
; %bb.2558:                             ;   in Loop: Header=BB464_1567 Depth=1
	v_bfrev_b32_e32 v6, 1
	s_mov_b32 s12, exec_lo
	v_cmpx_ne_u16_e32 0x80, v7
	s_cbranch_execz .LBB464_2564
; %bb.2559:                             ;   in Loop: Header=BB464_1567 Depth=1
	v_and_b32_e32 v7, 0x7f, v3
	v_mov_b32_e32 v6, 0x7f800001
	s_mov_b32 s13, exec_lo
	s_delay_alu instid0(VALU_DEP_2)
	v_cmpx_ne_u32_e32 0x7f, v7
	s_cbranch_execz .LBB464_2563
; %bb.2560:                             ;   in Loop: Header=BB464_1567 Depth=1
	v_lshrrev_b32_e32 v42, 3, v7
	v_cmp_gt_u32_e64 s0, 8, v7
	v_dual_mov_b32 v6, v9 :: v_dual_mov_b32 v7, v10
	s_delay_alu instid0(VALU_DEP_2)
	s_and_saveexec_b32 s15, s0
; %bb.2561:                             ;   in Loop: Header=BB464_1567 Depth=1
	v_and_b32_e32 v6, 7, v3
	s_delay_alu instid0(VALU_DEP_1) | instskip(NEXT) | instid1(VALU_DEP_1)
	v_clz_i32_u32_e32 v6, v6
	v_min_u32_e32 v42, 32, v6
	s_delay_alu instid0(VALU_DEP_1) | instskip(SKIP_1) | instid1(VALU_DEP_2)
	v_subrev_nc_u32_e32 v6, 28, v42
	v_sub_nc_u32_e32 v42, 29, v42
	v_lshlrev_b64 v[6:7], v6, v[9:10]
; %bb.2562:                             ;   in Loop: Header=BB464_1567 Depth=1
	s_or_b32 exec_lo, exec_lo, s15
	s_delay_alu instid0(VALU_DEP_1) | instskip(SKIP_2) | instid1(VALU_DEP_3)
	v_lshlrev_b32_e32 v6, 20, v6
	v_lshlrev_b32_e32 v7, 24, v9
	v_lshl_add_u32 v42, v42, 23, 0x3c000000
	v_and_b32_e32 v6, 0x700000, v6
	s_delay_alu instid0(VALU_DEP_3) | instskip(NEXT) | instid1(VALU_DEP_1)
	v_and_b32_e32 v7, 0x80000000, v7
	v_or3_b32 v6, v6, v7, v42
.LBB464_2563:                           ;   in Loop: Header=BB464_1567 Depth=1
	s_or_b32 exec_lo, exec_lo, s13
.LBB464_2564:                           ;   in Loop: Header=BB464_1567 Depth=1
	s_delay_alu instid0(SALU_CYCLE_1)
	s_or_b32 exec_lo, exec_lo, s12
.LBB464_2565:                           ;   in Loop: Header=BB464_1567 Depth=1
	s_delay_alu instid0(SALU_CYCLE_1) | instskip(NEXT) | instid1(VALU_DEP_1)
	s_or_b32 exec_lo, exec_lo, s9
	v_mul_f32_e32 v6, v26, v6
                                        ; implicit-def: $vgpr42
	s_delay_alu instid0(VALU_DEP_1) | instskip(NEXT) | instid1(VALU_DEP_1)
	v_and_b32_e32 v7, 0x7f800000, v6
	v_cmp_ne_u32_e64 s0, 0x7f800000, v7
	s_delay_alu instid0(VALU_DEP_1) | instskip(NEXT) | instid1(SALU_CYCLE_1)
	s_and_saveexec_b32 s9, s0
	s_xor_b32 s0, exec_lo, s9
; %bb.2566:                             ;   in Loop: Header=BB464_1567 Depth=1
	v_bfe_u32 v7, v6, 16, 1
	s_delay_alu instid0(VALU_DEP_1)
	v_add3_u32 v42, v6, v7, 0x7fff
                                        ; implicit-def: $vgpr6
; %bb.2567:                             ;   in Loop: Header=BB464_1567 Depth=1
	s_and_not1_saveexec_b32 s9, s0
; %bb.2568:                             ;   in Loop: Header=BB464_1567 Depth=1
	v_and_b32_e32 v7, 0xffff, v6
	v_or_b32_e32 v42, 0x10000, v6
	s_delay_alu instid0(VALU_DEP_2) | instskip(NEXT) | instid1(VALU_DEP_1)
	v_cmp_eq_u32_e64 s0, 0, v7
	v_cndmask_b32_e64 v42, v42, v6, s0
; %bb.2569:                             ;   in Loop: Header=BB464_1567 Depth=1
	s_or_b32 exec_lo, exec_lo, s9
	v_lshrrev_b16 v7, 8, v9
	v_mov_b32_e32 v6, 0
	s_mov_b32 s9, exec_lo
	s_delay_alu instid0(VALU_DEP_2)
	v_cmpx_ne_u16_e32 0, v7
	s_cbranch_execz .LBB464_2577
; %bb.2570:                             ;   in Loop: Header=BB464_1567 Depth=1
	v_bfrev_b32_e32 v6, 1
	s_mov_b32 s12, exec_lo
	v_cmpx_ne_u16_e32 0x80, v7
	s_cbranch_execz .LBB464_2576
; %bb.2571:                             ;   in Loop: Header=BB464_1567 Depth=1
	v_and_b32_e32 v7, 0xffff, v7
	v_mov_b32_e32 v6, 0x7f800001
	s_mov_b32 s13, exec_lo
	s_delay_alu instid0(VALU_DEP_2) | instskip(NEXT) | instid1(VALU_DEP_1)
	v_and_b32_e32 v44, 0x7f, v7
	v_cmpx_ne_u32_e32 0x7f, v44
	s_cbranch_execz .LBB464_2575
; %bb.2572:                             ;   in Loop: Header=BB464_1567 Depth=1
	v_dual_mov_b32 v7, v10 :: v_dual_and_b32 v6, 7, v7
	v_lshrrev_b32_e32 v43, 3, v44
	s_mov_b32 s15, exec_lo
	v_cmpx_gt_u32_e32 8, v44
; %bb.2573:                             ;   in Loop: Header=BB464_1567 Depth=1
	s_delay_alu instid0(VALU_DEP_3) | instskip(NEXT) | instid1(VALU_DEP_1)
	v_clz_i32_u32_e32 v43, v6
	v_min_u32_e32 v43, 32, v43
	s_delay_alu instid0(VALU_DEP_1) | instskip(SKIP_1) | instid1(VALU_DEP_2)
	v_subrev_nc_u32_e32 v44, 28, v43
	v_sub_nc_u32_e32 v43, 29, v43
	v_lshlrev_b64 v[6:7], v44, v[6:7]
	s_delay_alu instid0(VALU_DEP_1)
	v_and_b32_e32 v6, 7, v6
; %bb.2574:                             ;   in Loop: Header=BB464_1567 Depth=1
	s_or_b32 exec_lo, exec_lo, s15
	v_lshlrev_b32_e32 v7, 16, v9
	s_delay_alu instid0(VALU_DEP_2) | instskip(SKIP_1) | instid1(VALU_DEP_3)
	v_lshlrev_b32_e32 v6, 20, v6
	v_lshl_add_u32 v9, v43, 23, 0x3c000000
	v_and_b32_e32 v7, 0x80000000, v7
	s_delay_alu instid0(VALU_DEP_1)
	v_or3_b32 v6, v6, v7, v9
.LBB464_2575:                           ;   in Loop: Header=BB464_1567 Depth=1
	s_or_b32 exec_lo, exec_lo, s13
.LBB464_2576:                           ;   in Loop: Header=BB464_1567 Depth=1
	s_delay_alu instid0(SALU_CYCLE_1)
	s_or_b32 exec_lo, exec_lo, s12
.LBB464_2577:                           ;   in Loop: Header=BB464_1567 Depth=1
	s_delay_alu instid0(SALU_CYCLE_1) | instskip(NEXT) | instid1(VALU_DEP_1)
	s_or_b32 exec_lo, exec_lo, s9
	v_mul_f32_e32 v6, v26, v6
                                        ; implicit-def: $vgpr43
	s_delay_alu instid0(VALU_DEP_1) | instskip(NEXT) | instid1(VALU_DEP_1)
	v_and_b32_e32 v7, 0x7f800000, v6
	v_cmp_ne_u32_e64 s0, 0x7f800000, v7
	s_delay_alu instid0(VALU_DEP_1) | instskip(NEXT) | instid1(SALU_CYCLE_1)
	s_and_saveexec_b32 s9, s0
	s_xor_b32 s0, exec_lo, s9
; %bb.2578:                             ;   in Loop: Header=BB464_1567 Depth=1
	v_bfe_u32 v7, v6, 16, 1
	s_delay_alu instid0(VALU_DEP_1)
	v_add3_u32 v43, v6, v7, 0x7fff
                                        ; implicit-def: $vgpr6
; %bb.2579:                             ;   in Loop: Header=BB464_1567 Depth=1
	s_and_not1_saveexec_b32 s9, s0
; %bb.2580:                             ;   in Loop: Header=BB464_1567 Depth=1
	v_and_b32_e32 v7, 0xffff, v6
	v_or_b32_e32 v9, 0x10000, v6
	s_delay_alu instid0(VALU_DEP_2) | instskip(NEXT) | instid1(VALU_DEP_1)
	v_cmp_eq_u32_e64 s0, 0, v7
	v_cndmask_b32_e64 v43, v9, v6, s0
; %bb.2581:                             ;   in Loop: Header=BB464_1567 Depth=1
	s_or_b32 exec_lo, exec_lo, s9
	v_lshrrev_b32_e32 v44, 16, v3
	s_mov_b32 s9, exec_lo
	s_delay_alu instid0(VALU_DEP_1) | instskip(NEXT) | instid1(VALU_DEP_1)
	v_dual_mov_b32 v6, 0 :: v_dual_and_b32 v7, 0xff, v44
	v_cmpx_ne_u16_e32 0, v7
	s_cbranch_execz .LBB464_2589
; %bb.2582:                             ;   in Loop: Header=BB464_1567 Depth=1
	v_bfrev_b32_e32 v6, 1
	s_mov_b32 s12, exec_lo
	v_cmpx_ne_u16_e32 0x80, v7
	s_cbranch_execz .LBB464_2588
; %bb.2583:                             ;   in Loop: Header=BB464_1567 Depth=1
	v_bfe_u32 v7, v3, 16, 7
	v_mov_b32_e32 v6, 0x7f800001
	s_mov_b32 s13, exec_lo
	s_delay_alu instid0(VALU_DEP_2)
	v_cmpx_ne_u32_e32 0x7f, v7
	s_cbranch_execz .LBB464_2587
; %bb.2584:                             ;   in Loop: Header=BB464_1567 Depth=1
	v_and_b32_e32 v9, 7, v44
	v_lshrrev_b32_e32 v45, 3, v7
	v_cmp_gt_u32_e64 s0, 8, v7
	s_delay_alu instid0(VALU_DEP_3) | instskip(NEXT) | instid1(VALU_DEP_2)
	v_dual_mov_b32 v6, v9 :: v_dual_mov_b32 v7, v10
	s_and_saveexec_b32 s15, s0
; %bb.2585:                             ;   in Loop: Header=BB464_1567 Depth=1
	v_clz_i32_u32_e32 v6, v9
	s_delay_alu instid0(VALU_DEP_1) | instskip(NEXT) | instid1(VALU_DEP_1)
	v_min_u32_e32 v45, 32, v6
	v_subrev_nc_u32_e32 v6, 28, v45
	v_sub_nc_u32_e32 v45, 29, v45
	s_delay_alu instid0(VALU_DEP_2) | instskip(NEXT) | instid1(VALU_DEP_1)
	v_lshlrev_b64 v[6:7], v6, v[9:10]
	v_and_b32_e32 v6, 7, v6
; %bb.2586:                             ;   in Loop: Header=BB464_1567 Depth=1
	s_or_b32 exec_lo, exec_lo, s15
	v_lshlrev_b32_e32 v7, 24, v44
	s_delay_alu instid0(VALU_DEP_2) | instskip(SKIP_1) | instid1(VALU_DEP_3)
	v_lshlrev_b32_e32 v6, 20, v6
	v_lshl_add_u32 v9, v45, 23, 0x3c000000
	v_and_b32_e32 v7, 0x80000000, v7
	s_delay_alu instid0(VALU_DEP_1)
	v_or3_b32 v6, v6, v7, v9
.LBB464_2587:                           ;   in Loop: Header=BB464_1567 Depth=1
	s_or_b32 exec_lo, exec_lo, s13
.LBB464_2588:                           ;   in Loop: Header=BB464_1567 Depth=1
	s_delay_alu instid0(SALU_CYCLE_1)
	s_or_b32 exec_lo, exec_lo, s12
.LBB464_2589:                           ;   in Loop: Header=BB464_1567 Depth=1
	s_delay_alu instid0(SALU_CYCLE_1) | instskip(NEXT) | instid1(VALU_DEP_1)
	s_or_b32 exec_lo, exec_lo, s9
	v_mul_f32_e32 v6, v26, v6
                                        ; implicit-def: $vgpr44
	s_delay_alu instid0(VALU_DEP_1) | instskip(NEXT) | instid1(VALU_DEP_1)
	v_and_b32_e32 v7, 0x7f800000, v6
	v_cmp_ne_u32_e64 s0, 0x7f800000, v7
	s_delay_alu instid0(VALU_DEP_1) | instskip(NEXT) | instid1(SALU_CYCLE_1)
	s_and_saveexec_b32 s9, s0
	s_xor_b32 s0, exec_lo, s9
; %bb.2590:                             ;   in Loop: Header=BB464_1567 Depth=1
	v_bfe_u32 v7, v6, 16, 1
	s_delay_alu instid0(VALU_DEP_1)
	v_add3_u32 v44, v6, v7, 0x7fff
                                        ; implicit-def: $vgpr6
; %bb.2591:                             ;   in Loop: Header=BB464_1567 Depth=1
	s_and_not1_saveexec_b32 s9, s0
; %bb.2592:                             ;   in Loop: Header=BB464_1567 Depth=1
	v_and_b32_e32 v7, 0xffff, v6
	v_or_b32_e32 v9, 0x10000, v6
	s_delay_alu instid0(VALU_DEP_2) | instskip(NEXT) | instid1(VALU_DEP_1)
	v_cmp_eq_u32_e64 s0, 0, v7
	v_cndmask_b32_e64 v44, v9, v6, s0
; %bb.2593:                             ;   in Loop: Header=BB464_1567 Depth=1
	s_or_b32 exec_lo, exec_lo, s9
	v_cmp_lt_u64_e64 s0, s[2:3], v[2:3]
	v_mov_b32_e32 v2, 0
	s_delay_alu instid0(VALU_DEP_2)
	s_and_saveexec_b32 s9, s0
	s_cbranch_execz .LBB464_2601
; %bb.2594:                             ;   in Loop: Header=BB464_1567 Depth=1
	v_lshrrev_b32_e32 v6, 24, v3
	v_bfrev_b32_e32 v2, 1
	s_mov_b32 s12, exec_lo
	s_delay_alu instid0(VALU_DEP_2)
	v_cmpx_ne_u32_e32 0x80, v6
	s_cbranch_execz .LBB464_2600
; %bb.2595:                             ;   in Loop: Header=BB464_1567 Depth=1
	v_bfe_u32 v3, v3, 24, 7
	v_mov_b32_e32 v2, 0x7f800001
	s_mov_b32 s13, exec_lo
	s_delay_alu instid0(VALU_DEP_2)
	v_cmpx_ne_u32_e32 0x7f, v3
	s_cbranch_execz .LBB464_2599
; %bb.2596:                             ;   in Loop: Header=BB464_1567 Depth=1
	v_and_b32_e32 v9, 7, v6
	v_lshrrev_b32_e32 v7, 3, v3
	v_cmp_gt_u32_e64 s0, 8, v3
	s_delay_alu instid0(VALU_DEP_3) | instskip(NEXT) | instid1(VALU_DEP_2)
	v_dual_mov_b32 v2, v9 :: v_dual_mov_b32 v3, v10
	s_and_saveexec_b32 s15, s0
; %bb.2597:                             ;   in Loop: Header=BB464_1567 Depth=1
	v_clz_i32_u32_e32 v2, v9
	s_delay_alu instid0(VALU_DEP_1) | instskip(NEXT) | instid1(VALU_DEP_1)
	v_min_u32_e32 v7, 32, v2
	v_subrev_nc_u32_e32 v2, 28, v7
	v_sub_nc_u32_e32 v7, 29, v7
	s_delay_alu instid0(VALU_DEP_2) | instskip(NEXT) | instid1(VALU_DEP_1)
	v_lshlrev_b64 v[2:3], v2, v[9:10]
	v_and_b32_e32 v2, 7, v2
; %bb.2598:                             ;   in Loop: Header=BB464_1567 Depth=1
	s_or_b32 exec_lo, exec_lo, s15
	v_lshlrev_b32_e32 v3, 24, v6
	s_delay_alu instid0(VALU_DEP_2) | instskip(SKIP_1) | instid1(VALU_DEP_3)
	v_lshlrev_b32_e32 v2, 20, v2
	v_lshl_add_u32 v6, v7, 23, 0x3c000000
	v_and_b32_e32 v3, 0x80000000, v3
	s_delay_alu instid0(VALU_DEP_1)
	v_or3_b32 v2, v2, v3, v6
.LBB464_2599:                           ;   in Loop: Header=BB464_1567 Depth=1
	s_or_b32 exec_lo, exec_lo, s13
.LBB464_2600:                           ;   in Loop: Header=BB464_1567 Depth=1
	s_delay_alu instid0(SALU_CYCLE_1)
	s_or_b32 exec_lo, exec_lo, s12
.LBB464_2601:                           ;   in Loop: Header=BB464_1567 Depth=1
	s_delay_alu instid0(SALU_CYCLE_1) | instskip(NEXT) | instid1(VALU_DEP_1)
	s_or_b32 exec_lo, exec_lo, s9
	v_mul_f32_e32 v3, v26, v2
	s_delay_alu instid0(VALU_DEP_1) | instskip(NEXT) | instid1(VALU_DEP_1)
	v_and_b32_e32 v2, 0x7f800000, v3
	v_cmp_ne_u32_e64 s0, 0x7f800000, v2
                                        ; implicit-def: $vgpr2
	s_delay_alu instid0(VALU_DEP_1) | instskip(NEXT) | instid1(SALU_CYCLE_1)
	s_and_saveexec_b32 s9, s0
	s_xor_b32 s0, exec_lo, s9
; %bb.2602:                             ;   in Loop: Header=BB464_1567 Depth=1
	v_bfe_u32 v2, v3, 16, 1
	s_delay_alu instid0(VALU_DEP_1)
	v_add3_u32 v2, v3, v2, 0x7fff
                                        ; implicit-def: $vgpr3
; %bb.2603:                             ;   in Loop: Header=BB464_1567 Depth=1
	s_and_not1_saveexec_b32 s9, s0
; %bb.2604:                             ;   in Loop: Header=BB464_1567 Depth=1
	v_and_b32_e32 v2, 0xffff, v3
	v_or_b32_e32 v6, 0x10000, v3
	s_delay_alu instid0(VALU_DEP_2) | instskip(NEXT) | instid1(VALU_DEP_1)
	v_cmp_eq_u32_e64 s0, 0, v2
	v_cndmask_b32_e64 v2, v6, v3, s0
; %bb.2605:                             ;   in Loop: Header=BB464_1567 Depth=1
	s_or_b32 exec_lo, exec_lo, s9
	v_lshrrev_b32_e32 v6, 16, v43
	v_lshrrev_b32_e32 v7, 16, v42
	;; [unrolled: 1-line block ×8, first 2 shown]
	s_and_saveexec_b32 s9, vcc_lo
	s_cbranch_execz .LBB464_2607
; %bb.2606:                             ;   in Loop: Header=BB464_1567 Depth=1
	v_cmp_lt_i32_e64 s0, v68, v36
	s_delay_alu instid0(VALU_DEP_1) | instskip(SKIP_1) | instid1(VALU_DEP_1)
	v_cndmask_b32_e64 v34, 0, v34, s0
	v_cmp_lt_i32_e64 s0, v82, v36
	v_cndmask_b32_e64 v183, 0, v183, s0
	v_cmp_lt_i32_e64 s0, v81, v36
	s_delay_alu instid0(VALU_DEP_1) | instskip(SKIP_1) | instid1(VALU_DEP_1)
	v_cndmask_b32_e64 v40, 0, v40, s0
	v_cmp_lt_i32_e64 s0, v80, v36
	v_cndmask_b32_e64 v9, 0, v9, s0
	v_cmp_lt_i32_e64 s0, v71, v36
	s_delay_alu instid0(VALU_DEP_1) | instskip(SKIP_1) | instid1(VALU_DEP_1)
	v_cndmask_b32_e64 v7, 0, v7, s0
	v_cmp_lt_i32_e64 s0, v70, v36
	v_cndmask_b32_e64 v6, 0, v6, s0
	v_cmp_lt_i32_e64 s0, v69, v36
	s_delay_alu instid0(VALU_DEP_1) | instskip(SKIP_1) | instid1(VALU_DEP_1)
	v_cndmask_b32_e64 v3, 0, v3, s0
	v_cmp_lt_i32_e64 s0, v15, v36
	v_cndmask_b32_e64 v2, 0, v2, s0
.LBB464_2607:                           ;   in Loop: Header=BB464_1567 Depth=1
	s_or_b32 exec_lo, exec_lo, s9
	v_lshlrev_b32_e32 v34, 16, v34
	s_delay_alu instid0(VALU_DEP_1) | instskip(NEXT) | instid1(VALU_DEP_1)
	v_mul_f32_e32 v41, v83, v34
	v_and_b32_e32 v34, 0x7f800000, v41
	s_delay_alu instid0(VALU_DEP_1) | instskip(NEXT) | instid1(VALU_DEP_1)
	v_cmp_ne_u32_e64 s0, 0x7f800000, v34
                                        ; implicit-def: $vgpr34
	s_and_saveexec_b32 s9, s0
	s_delay_alu instid0(SALU_CYCLE_1)
	s_xor_b32 s0, exec_lo, s9
; %bb.2608:                             ;   in Loop: Header=BB464_1567 Depth=1
	v_bfe_u32 v34, v41, 16, 1
	s_delay_alu instid0(VALU_DEP_1)
	v_add3_u32 v34, v41, v34, 0x7fff
                                        ; implicit-def: $vgpr41
; %bb.2609:                             ;   in Loop: Header=BB464_1567 Depth=1
	s_and_not1_saveexec_b32 s9, s0
; %bb.2610:                             ;   in Loop: Header=BB464_1567 Depth=1
	v_and_b32_e32 v34, 0xffff, v41
	v_or_b32_e32 v42, 0x10000, v41
	s_delay_alu instid0(VALU_DEP_2) | instskip(NEXT) | instid1(VALU_DEP_1)
	v_cmp_eq_u32_e64 s0, 0, v34
	v_cndmask_b32_e64 v34, v42, v41, s0
; %bb.2611:                             ;   in Loop: Header=BB464_1567 Depth=1
	s_or_b32 exec_lo, exec_lo, s9
	v_lshlrev_b32_e32 v183, 16, v183
	s_delay_alu instid0(VALU_DEP_1) | instskip(NEXT) | instid1(VALU_DEP_1)
	v_mul_f32_e32 v41, v84, v183
	v_and_b32_e32 v183, 0x7f800000, v41
	s_delay_alu instid0(VALU_DEP_1) | instskip(NEXT) | instid1(VALU_DEP_1)
	v_cmp_ne_u32_e64 s0, 0x7f800000, v183
                                        ; implicit-def: $vgpr183
	s_and_saveexec_b32 s9, s0
	s_delay_alu instid0(SALU_CYCLE_1)
	s_xor_b32 s0, exec_lo, s9
; %bb.2612:                             ;   in Loop: Header=BB464_1567 Depth=1
	v_bfe_u32 v183, v41, 16, 1
	s_delay_alu instid0(VALU_DEP_1)
	v_add3_u32 v183, v41, v183, 0x7fff
                                        ; implicit-def: $vgpr41
; %bb.2613:                             ;   in Loop: Header=BB464_1567 Depth=1
	s_and_not1_saveexec_b32 s9, s0
; %bb.2614:                             ;   in Loop: Header=BB464_1567 Depth=1
	v_and_b32_e32 v183, 0xffff, v41
	v_or_b32_e32 v42, 0x10000, v41
	s_delay_alu instid0(VALU_DEP_2) | instskip(NEXT) | instid1(VALU_DEP_1)
	v_cmp_eq_u32_e64 s0, 0, v183
	v_cndmask_b32_e64 v183, v42, v41, s0
; %bb.2615:                             ;   in Loop: Header=BB464_1567 Depth=1
	s_or_b32 exec_lo, exec_lo, s9
	v_lshlrev_b32_e32 v40, 16, v40
	s_delay_alu instid0(VALU_DEP_1) | instskip(NEXT) | instid1(VALU_DEP_1)
	v_mul_f32_e32 v41, v85, v40
	v_and_b32_e32 v40, 0x7f800000, v41
	s_delay_alu instid0(VALU_DEP_1) | instskip(NEXT) | instid1(VALU_DEP_1)
	v_cmp_ne_u32_e64 s0, 0x7f800000, v40
                                        ; implicit-def: $vgpr40
	s_and_saveexec_b32 s9, s0
	s_delay_alu instid0(SALU_CYCLE_1)
	s_xor_b32 s0, exec_lo, s9
; %bb.2616:                             ;   in Loop: Header=BB464_1567 Depth=1
	v_bfe_u32 v40, v41, 16, 1
	s_delay_alu instid0(VALU_DEP_1)
	v_add3_u32 v40, v41, v40, 0x7fff
                                        ; implicit-def: $vgpr41
; %bb.2617:                             ;   in Loop: Header=BB464_1567 Depth=1
	s_and_not1_saveexec_b32 s9, s0
; %bb.2618:                             ;   in Loop: Header=BB464_1567 Depth=1
	v_and_b32_e32 v40, 0xffff, v41
	v_or_b32_e32 v42, 0x10000, v41
	s_delay_alu instid0(VALU_DEP_2) | instskip(NEXT) | instid1(VALU_DEP_1)
	v_cmp_eq_u32_e64 s0, 0, v40
	v_cndmask_b32_e64 v40, v42, v41, s0
; %bb.2619:                             ;   in Loop: Header=BB464_1567 Depth=1
	s_or_b32 exec_lo, exec_lo, s9
	v_lshlrev_b32_e32 v9, 16, v9
	s_delay_alu instid0(VALU_DEP_1) | instskip(NEXT) | instid1(VALU_DEP_1)
	v_mul_f32_e32 v9, v86, v9
	v_and_b32_e32 v41, 0x7f800000, v9
	s_delay_alu instid0(VALU_DEP_1) | instskip(NEXT) | instid1(VALU_DEP_1)
	v_cmp_ne_u32_e64 s0, 0x7f800000, v41
                                        ; implicit-def: $vgpr41
	s_and_saveexec_b32 s9, s0
	s_delay_alu instid0(SALU_CYCLE_1)
	s_xor_b32 s0, exec_lo, s9
; %bb.2620:                             ;   in Loop: Header=BB464_1567 Depth=1
	v_bfe_u32 v41, v9, 16, 1
	s_delay_alu instid0(VALU_DEP_1)
	v_add3_u32 v41, v9, v41, 0x7fff
                                        ; implicit-def: $vgpr9
; %bb.2621:                             ;   in Loop: Header=BB464_1567 Depth=1
	s_and_not1_saveexec_b32 s9, s0
; %bb.2622:                             ;   in Loop: Header=BB464_1567 Depth=1
	v_and_b32_e32 v41, 0xffff, v9
	v_or_b32_e32 v42, 0x10000, v9
	s_delay_alu instid0(VALU_DEP_2) | instskip(NEXT) | instid1(VALU_DEP_1)
	v_cmp_eq_u32_e64 s0, 0, v41
	v_cndmask_b32_e64 v41, v42, v9, s0
; %bb.2623:                             ;   in Loop: Header=BB464_1567 Depth=1
	s_or_b32 exec_lo, exec_lo, s9
	v_lshlrev_b32_e32 v7, 16, v7
                                        ; implicit-def: $vgpr42
	s_delay_alu instid0(VALU_DEP_1) | instskip(NEXT) | instid1(VALU_DEP_1)
	v_mul_f32_e32 v7, v87, v7
	v_and_b32_e32 v9, 0x7f800000, v7
	s_delay_alu instid0(VALU_DEP_1) | instskip(NEXT) | instid1(VALU_DEP_1)
	v_cmp_ne_u32_e64 s0, 0x7f800000, v9
	s_and_saveexec_b32 s9, s0
	s_delay_alu instid0(SALU_CYCLE_1)
	s_xor_b32 s0, exec_lo, s9
; %bb.2624:                             ;   in Loop: Header=BB464_1567 Depth=1
	v_bfe_u32 v9, v7, 16, 1
	s_delay_alu instid0(VALU_DEP_1)
	v_add3_u32 v42, v7, v9, 0x7fff
                                        ; implicit-def: $vgpr7
; %bb.2625:                             ;   in Loop: Header=BB464_1567 Depth=1
	s_and_not1_saveexec_b32 s9, s0
; %bb.2626:                             ;   in Loop: Header=BB464_1567 Depth=1
	v_and_b32_e32 v9, 0xffff, v7
	v_or_b32_e32 v42, 0x10000, v7
	s_delay_alu instid0(VALU_DEP_2) | instskip(NEXT) | instid1(VALU_DEP_1)
	v_cmp_eq_u32_e64 s0, 0, v9
	v_cndmask_b32_e64 v42, v42, v7, s0
; %bb.2627:                             ;   in Loop: Header=BB464_1567 Depth=1
	s_or_b32 exec_lo, exec_lo, s9
	v_lshlrev_b32_e32 v6, 16, v6
                                        ; implicit-def: $vgpr43
	s_delay_alu instid0(VALU_DEP_1) | instskip(NEXT) | instid1(VALU_DEP_1)
	v_mul_f32_e32 v6, v96, v6
	v_and_b32_e32 v7, 0x7f800000, v6
	s_delay_alu instid0(VALU_DEP_1) | instskip(NEXT) | instid1(VALU_DEP_1)
	v_cmp_ne_u32_e64 s0, 0x7f800000, v7
	s_and_saveexec_b32 s9, s0
	s_delay_alu instid0(SALU_CYCLE_1)
	s_xor_b32 s0, exec_lo, s9
; %bb.2628:                             ;   in Loop: Header=BB464_1567 Depth=1
	v_bfe_u32 v7, v6, 16, 1
	s_delay_alu instid0(VALU_DEP_1)
	v_add3_u32 v43, v6, v7, 0x7fff
                                        ; implicit-def: $vgpr6
; %bb.2629:                             ;   in Loop: Header=BB464_1567 Depth=1
	s_and_not1_saveexec_b32 s9, s0
; %bb.2630:                             ;   in Loop: Header=BB464_1567 Depth=1
	v_and_b32_e32 v7, 0xffff, v6
	v_or_b32_e32 v9, 0x10000, v6
	s_delay_alu instid0(VALU_DEP_2) | instskip(NEXT) | instid1(VALU_DEP_1)
	v_cmp_eq_u32_e64 s0, 0, v7
	v_cndmask_b32_e64 v43, v9, v6, s0
; %bb.2631:                             ;   in Loop: Header=BB464_1567 Depth=1
	s_or_b32 exec_lo, exec_lo, s9
	v_lshlrev_b32_e32 v3, 16, v3
                                        ; implicit-def: $vgpr44
	s_delay_alu instid0(VALU_DEP_1) | instskip(NEXT) | instid1(VALU_DEP_1)
	v_mul_f32_e32 v3, v97, v3
	v_and_b32_e32 v6, 0x7f800000, v3
	s_delay_alu instid0(VALU_DEP_1) | instskip(NEXT) | instid1(VALU_DEP_1)
	v_cmp_ne_u32_e64 s0, 0x7f800000, v6
	s_and_saveexec_b32 s9, s0
	s_delay_alu instid0(SALU_CYCLE_1)
	s_xor_b32 s0, exec_lo, s9
; %bb.2632:                             ;   in Loop: Header=BB464_1567 Depth=1
	v_bfe_u32 v6, v3, 16, 1
	s_delay_alu instid0(VALU_DEP_1)
	v_add3_u32 v44, v3, v6, 0x7fff
                                        ; implicit-def: $vgpr3
; %bb.2633:                             ;   in Loop: Header=BB464_1567 Depth=1
	s_and_not1_saveexec_b32 s9, s0
; %bb.2634:                             ;   in Loop: Header=BB464_1567 Depth=1
	v_and_b32_e32 v6, 0xffff, v3
	v_or_b32_e32 v7, 0x10000, v3
	s_delay_alu instid0(VALU_DEP_2) | instskip(NEXT) | instid1(VALU_DEP_1)
	v_cmp_eq_u32_e64 s0, 0, v6
	v_cndmask_b32_e64 v44, v7, v3, s0
; %bb.2635:                             ;   in Loop: Header=BB464_1567 Depth=1
	s_or_b32 exec_lo, exec_lo, s9
	v_lshlrev_b32_e32 v2, 16, v2
                                        ; implicit-def: $vgpr45
	s_delay_alu instid0(VALU_DEP_1) | instskip(NEXT) | instid1(VALU_DEP_1)
	v_mul_f32_e32 v2, v98, v2
	v_and_b32_e32 v3, 0x7f800000, v2
	s_delay_alu instid0(VALU_DEP_1) | instskip(NEXT) | instid1(VALU_DEP_1)
	v_cmp_ne_u32_e64 s0, 0x7f800000, v3
	s_and_saveexec_b32 s9, s0
	s_delay_alu instid0(SALU_CYCLE_1)
	s_xor_b32 s0, exec_lo, s9
; %bb.2636:                             ;   in Loop: Header=BB464_1567 Depth=1
	v_bfe_u32 v3, v2, 16, 1
	s_delay_alu instid0(VALU_DEP_1)
	v_add3_u32 v45, v2, v3, 0x7fff
                                        ; implicit-def: $vgpr2
; %bb.2637:                             ;   in Loop: Header=BB464_1567 Depth=1
	s_and_not1_saveexec_b32 s9, s0
; %bb.2638:                             ;   in Loop: Header=BB464_1567 Depth=1
	v_and_b32_e32 v3, 0xffff, v2
	v_or_b32_e32 v6, 0x10000, v2
	s_delay_alu instid0(VALU_DEP_2) | instskip(NEXT) | instid1(VALU_DEP_1)
	v_cmp_eq_u32_e64 s0, 0, v3
	v_cndmask_b32_e64 v45, v6, v2, s0
; %bb.2639:                             ;   in Loop: Header=BB464_1567 Depth=1
	s_or_b32 exec_lo, exec_lo, s9
	flat_load_b64 v[2:3], v[0:1] offset:2048
	s_mov_b32 s9, exec_lo
	s_waitcnt vmcnt(0) lgkmcnt(0)
	v_dual_mov_b32 v6, 0 :: v_dual_and_b32 v7, 0xff, v2
	s_delay_alu instid0(VALU_DEP_1)
	v_cmpx_ne_u16_e32 0, v7
	s_cbranch_execz .LBB464_2647
; %bb.2640:                             ;   in Loop: Header=BB464_1567 Depth=1
	v_bfrev_b32_e32 v6, 1
	s_mov_b32 s12, exec_lo
	v_cmpx_ne_u16_e32 0x80, v7
	s_cbranch_execz .LBB464_2646
; %bb.2641:                             ;   in Loop: Header=BB464_1567 Depth=1
	v_and_b32_e32 v7, 0x7f, v2
	v_mov_b32_e32 v6, 0x7f800001
	s_mov_b32 s13, exec_lo
	s_delay_alu instid0(VALU_DEP_2)
	v_cmpx_ne_u32_e32 0x7f, v7
	s_cbranch_execz .LBB464_2645
; %bb.2642:                             ;   in Loop: Header=BB464_1567 Depth=1
	v_lshrrev_b32_e32 v9, 3, v7
	v_cmp_gt_u32_e64 s0, 8, v7
	v_dual_mov_b32 v7, v3 :: v_dual_mov_b32 v6, v2
	s_delay_alu instid0(VALU_DEP_2)
	s_and_saveexec_b32 s15, s0
; %bb.2643:                             ;   in Loop: Header=BB464_1567 Depth=1
	v_and_b32_e32 v6, 7, v2
	s_delay_alu instid0(VALU_DEP_1) | instskip(NEXT) | instid1(VALU_DEP_1)
	v_clz_i32_u32_e32 v6, v6
	v_min_u32_e32 v9, 32, v6
	s_delay_alu instid0(VALU_DEP_1) | instskip(SKIP_1) | instid1(VALU_DEP_2)
	v_subrev_nc_u32_e32 v6, 28, v9
	v_sub_nc_u32_e32 v9, 29, v9
	v_lshlrev_b64 v[6:7], v6, v[2:3]
; %bb.2644:                             ;   in Loop: Header=BB464_1567 Depth=1
	s_or_b32 exec_lo, exec_lo, s15
	s_delay_alu instid0(VALU_DEP_1) | instskip(SKIP_2) | instid1(VALU_DEP_3)
	v_lshlrev_b32_e32 v6, 20, v6
	v_lshlrev_b32_e32 v7, 24, v2
	v_lshl_add_u32 v9, v9, 23, 0x3c000000
	v_and_b32_e32 v6, 0x700000, v6
	s_delay_alu instid0(VALU_DEP_3) | instskip(NEXT) | instid1(VALU_DEP_1)
	v_and_b32_e32 v7, 0x80000000, v7
	v_or3_b32 v6, v6, v7, v9
.LBB464_2645:                           ;   in Loop: Header=BB464_1567 Depth=1
	s_or_b32 exec_lo, exec_lo, s13
.LBB464_2646:                           ;   in Loop: Header=BB464_1567 Depth=1
	s_delay_alu instid0(SALU_CYCLE_1)
	s_or_b32 exec_lo, exec_lo, s12
.LBB464_2647:                           ;   in Loop: Header=BB464_1567 Depth=1
	s_delay_alu instid0(SALU_CYCLE_1) | instskip(NEXT) | instid1(VALU_DEP_1)
	s_or_b32 exec_lo, exec_lo, s9
	v_mul_f32_e32 v6, v26, v6
                                        ; implicit-def: $vgpr46
	s_delay_alu instid0(VALU_DEP_1) | instskip(NEXT) | instid1(VALU_DEP_1)
	v_and_b32_e32 v7, 0x7f800000, v6
	v_cmp_ne_u32_e64 s0, 0x7f800000, v7
	s_delay_alu instid0(VALU_DEP_1) | instskip(NEXT) | instid1(SALU_CYCLE_1)
	s_and_saveexec_b32 s9, s0
	s_xor_b32 s0, exec_lo, s9
; %bb.2648:                             ;   in Loop: Header=BB464_1567 Depth=1
	v_bfe_u32 v7, v6, 16, 1
	s_delay_alu instid0(VALU_DEP_1)
	v_add3_u32 v46, v6, v7, 0x7fff
                                        ; implicit-def: $vgpr6
; %bb.2649:                             ;   in Loop: Header=BB464_1567 Depth=1
	s_and_not1_saveexec_b32 s9, s0
; %bb.2650:                             ;   in Loop: Header=BB464_1567 Depth=1
	v_and_b32_e32 v7, 0xffff, v6
	v_or_b32_e32 v9, 0x10000, v6
	s_delay_alu instid0(VALU_DEP_2) | instskip(NEXT) | instid1(VALU_DEP_1)
	v_cmp_eq_u32_e64 s0, 0, v7
	v_cndmask_b32_e64 v46, v9, v6, s0
; %bb.2651:                             ;   in Loop: Header=BB464_1567 Depth=1
	s_or_b32 exec_lo, exec_lo, s9
	v_lshrrev_b16 v7, 8, v2
	v_mov_b32_e32 v6, 0
	s_mov_b32 s9, exec_lo
	s_delay_alu instid0(VALU_DEP_2)
	v_cmpx_ne_u16_e32 0, v7
	s_cbranch_execz .LBB464_2659
; %bb.2652:                             ;   in Loop: Header=BB464_1567 Depth=1
	v_bfrev_b32_e32 v6, 1
	s_mov_b32 s12, exec_lo
	v_cmpx_ne_u16_e32 0x80, v7
	s_cbranch_execz .LBB464_2658
; %bb.2653:                             ;   in Loop: Header=BB464_1567 Depth=1
	v_and_b32_e32 v9, 0xffff, v7
	v_mov_b32_e32 v6, 0x7f800001
	s_mov_b32 s13, exec_lo
	s_delay_alu instid0(VALU_DEP_2) | instskip(NEXT) | instid1(VALU_DEP_1)
	v_and_b32_e32 v7, 0x7f, v9
	v_cmpx_ne_u32_e32 0x7f, v7
	s_cbranch_execz .LBB464_2657
; %bb.2654:                             ;   in Loop: Header=BB464_1567 Depth=1
	v_and_b32_e32 v9, 7, v9
	v_lshrrev_b32_e32 v47, 3, v7
	v_cmp_gt_u32_e64 s0, 8, v7
	s_delay_alu instid0(VALU_DEP_3) | instskip(NEXT) | instid1(VALU_DEP_2)
	v_dual_mov_b32 v6, v9 :: v_dual_mov_b32 v7, v10
	s_and_saveexec_b32 s15, s0
; %bb.2655:                             ;   in Loop: Header=BB464_1567 Depth=1
	v_clz_i32_u32_e32 v6, v9
	s_delay_alu instid0(VALU_DEP_1) | instskip(NEXT) | instid1(VALU_DEP_1)
	v_min_u32_e32 v47, 32, v6
	v_subrev_nc_u32_e32 v6, 28, v47
	v_sub_nc_u32_e32 v47, 29, v47
	s_delay_alu instid0(VALU_DEP_2) | instskip(NEXT) | instid1(VALU_DEP_1)
	v_lshlrev_b64 v[6:7], v6, v[9:10]
	v_and_b32_e32 v6, 7, v6
; %bb.2656:                             ;   in Loop: Header=BB464_1567 Depth=1
	s_or_b32 exec_lo, exec_lo, s15
	v_lshlrev_b32_e32 v7, 16, v2
	s_delay_alu instid0(VALU_DEP_2) | instskip(SKIP_1) | instid1(VALU_DEP_3)
	v_lshlrev_b32_e32 v6, 20, v6
	v_lshl_add_u32 v9, v47, 23, 0x3c000000
	v_and_b32_e32 v7, 0x80000000, v7
	s_delay_alu instid0(VALU_DEP_1)
	v_or3_b32 v6, v6, v7, v9
.LBB464_2657:                           ;   in Loop: Header=BB464_1567 Depth=1
	s_or_b32 exec_lo, exec_lo, s13
.LBB464_2658:                           ;   in Loop: Header=BB464_1567 Depth=1
	s_delay_alu instid0(SALU_CYCLE_1)
	s_or_b32 exec_lo, exec_lo, s12
.LBB464_2659:                           ;   in Loop: Header=BB464_1567 Depth=1
	s_delay_alu instid0(SALU_CYCLE_1) | instskip(NEXT) | instid1(VALU_DEP_1)
	s_or_b32 exec_lo, exec_lo, s9
	v_mul_f32_e32 v6, v26, v6
                                        ; implicit-def: $vgpr47
	s_delay_alu instid0(VALU_DEP_1) | instskip(NEXT) | instid1(VALU_DEP_1)
	v_and_b32_e32 v7, 0x7f800000, v6
	v_cmp_ne_u32_e64 s0, 0x7f800000, v7
	s_delay_alu instid0(VALU_DEP_1) | instskip(NEXT) | instid1(SALU_CYCLE_1)
	s_and_saveexec_b32 s9, s0
	s_xor_b32 s0, exec_lo, s9
; %bb.2660:                             ;   in Loop: Header=BB464_1567 Depth=1
	v_bfe_u32 v7, v6, 16, 1
	s_delay_alu instid0(VALU_DEP_1)
	v_add3_u32 v47, v6, v7, 0x7fff
                                        ; implicit-def: $vgpr6
; %bb.2661:                             ;   in Loop: Header=BB464_1567 Depth=1
	s_and_not1_saveexec_b32 s9, s0
; %bb.2662:                             ;   in Loop: Header=BB464_1567 Depth=1
	v_and_b32_e32 v7, 0xffff, v6
	v_or_b32_e32 v9, 0x10000, v6
	s_delay_alu instid0(VALU_DEP_2) | instskip(NEXT) | instid1(VALU_DEP_1)
	v_cmp_eq_u32_e64 s0, 0, v7
	v_cndmask_b32_e64 v47, v9, v6, s0
; %bb.2663:                             ;   in Loop: Header=BB464_1567 Depth=1
	s_or_b32 exec_lo, exec_lo, s9
	v_lshrrev_b32_e32 v56, 16, v2
	s_mov_b32 s9, exec_lo
	s_delay_alu instid0(VALU_DEP_1) | instskip(NEXT) | instid1(VALU_DEP_1)
	v_dual_mov_b32 v6, 0 :: v_dual_and_b32 v7, 0xff, v56
	v_cmpx_ne_u16_e32 0, v7
	s_cbranch_execz .LBB464_2671
; %bb.2664:                             ;   in Loop: Header=BB464_1567 Depth=1
	v_bfrev_b32_e32 v6, 1
	s_mov_b32 s12, exec_lo
	v_cmpx_ne_u16_e32 0x80, v7
	s_cbranch_execz .LBB464_2670
; %bb.2665:                             ;   in Loop: Header=BB464_1567 Depth=1
	v_bfe_u32 v7, v2, 16, 7
	v_mov_b32_e32 v6, 0x7f800001
	s_mov_b32 s13, exec_lo
	s_delay_alu instid0(VALU_DEP_2)
	v_cmpx_ne_u32_e32 0x7f, v7
	s_cbranch_execz .LBB464_2669
; %bb.2666:                             ;   in Loop: Header=BB464_1567 Depth=1
	v_and_b32_e32 v9, 7, v56
	v_lshrrev_b32_e32 v57, 3, v7
	v_cmp_gt_u32_e64 s0, 8, v7
	s_delay_alu instid0(VALU_DEP_3) | instskip(NEXT) | instid1(VALU_DEP_2)
	v_dual_mov_b32 v6, v9 :: v_dual_mov_b32 v7, v10
	s_and_saveexec_b32 s15, s0
; %bb.2667:                             ;   in Loop: Header=BB464_1567 Depth=1
	v_clz_i32_u32_e32 v6, v9
	s_delay_alu instid0(VALU_DEP_1) | instskip(NEXT) | instid1(VALU_DEP_1)
	v_min_u32_e32 v57, 32, v6
	v_subrev_nc_u32_e32 v6, 28, v57
	v_sub_nc_u32_e32 v57, 29, v57
	s_delay_alu instid0(VALU_DEP_2) | instskip(NEXT) | instid1(VALU_DEP_1)
	v_lshlrev_b64 v[6:7], v6, v[9:10]
	v_and_b32_e32 v6, 7, v6
; %bb.2668:                             ;   in Loop: Header=BB464_1567 Depth=1
	s_or_b32 exec_lo, exec_lo, s15
	v_lshlrev_b32_e32 v7, 24, v56
	s_delay_alu instid0(VALU_DEP_2) | instskip(SKIP_1) | instid1(VALU_DEP_3)
	v_lshlrev_b32_e32 v6, 20, v6
	v_lshl_add_u32 v9, v57, 23, 0x3c000000
	v_and_b32_e32 v7, 0x80000000, v7
	s_delay_alu instid0(VALU_DEP_1)
	v_or3_b32 v6, v6, v7, v9
.LBB464_2669:                           ;   in Loop: Header=BB464_1567 Depth=1
	s_or_b32 exec_lo, exec_lo, s13
.LBB464_2670:                           ;   in Loop: Header=BB464_1567 Depth=1
	s_delay_alu instid0(SALU_CYCLE_1)
	s_or_b32 exec_lo, exec_lo, s12
.LBB464_2671:                           ;   in Loop: Header=BB464_1567 Depth=1
	s_delay_alu instid0(SALU_CYCLE_1) | instskip(NEXT) | instid1(VALU_DEP_1)
	s_or_b32 exec_lo, exec_lo, s9
	v_mul_f32_e32 v6, v26, v6
                                        ; implicit-def: $vgpr56
	s_delay_alu instid0(VALU_DEP_1) | instskip(NEXT) | instid1(VALU_DEP_1)
	v_and_b32_e32 v7, 0x7f800000, v6
	v_cmp_ne_u32_e64 s0, 0x7f800000, v7
	s_delay_alu instid0(VALU_DEP_1) | instskip(NEXT) | instid1(SALU_CYCLE_1)
	s_and_saveexec_b32 s9, s0
	s_xor_b32 s0, exec_lo, s9
; %bb.2672:                             ;   in Loop: Header=BB464_1567 Depth=1
	v_bfe_u32 v7, v6, 16, 1
	s_delay_alu instid0(VALU_DEP_1)
	v_add3_u32 v56, v6, v7, 0x7fff
                                        ; implicit-def: $vgpr6
; %bb.2673:                             ;   in Loop: Header=BB464_1567 Depth=1
	s_and_not1_saveexec_b32 s9, s0
; %bb.2674:                             ;   in Loop: Header=BB464_1567 Depth=1
	v_and_b32_e32 v7, 0xffff, v6
	v_or_b32_e32 v9, 0x10000, v6
	s_delay_alu instid0(VALU_DEP_2) | instskip(NEXT) | instid1(VALU_DEP_1)
	v_cmp_eq_u32_e64 s0, 0, v7
	v_cndmask_b32_e64 v56, v9, v6, s0
; %bb.2675:                             ;   in Loop: Header=BB464_1567 Depth=1
	s_or_b32 exec_lo, exec_lo, s9
	v_mov_b32_e32 v6, 0
	s_mov_b32 s9, exec_lo
	v_cmpx_lt_u32_e32 0xffffff, v2
	s_cbranch_execz .LBB464_2683
; %bb.2676:                             ;   in Loop: Header=BB464_1567 Depth=1
	v_lshrrev_b32_e32 v57, 24, v2
	v_bfrev_b32_e32 v6, 1
	s_mov_b32 s12, exec_lo
	s_delay_alu instid0(VALU_DEP_2)
	v_cmpx_ne_u32_e32 0x80, v57
	s_cbranch_execz .LBB464_2682
; %bb.2677:                             ;   in Loop: Header=BB464_1567 Depth=1
	v_bfe_u32 v7, v2, 24, 7
	v_mov_b32_e32 v6, 0x7f800001
	s_mov_b32 s13, exec_lo
	s_delay_alu instid0(VALU_DEP_2)
	v_cmpx_ne_u32_e32 0x7f, v7
	s_cbranch_execz .LBB464_2681
; %bb.2678:                             ;   in Loop: Header=BB464_1567 Depth=1
	v_and_b32_e32 v9, 7, v57
	v_lshrrev_b32_e32 v58, 3, v7
	v_cmp_gt_u32_e64 s0, 8, v7
	s_delay_alu instid0(VALU_DEP_3) | instskip(NEXT) | instid1(VALU_DEP_2)
	v_dual_mov_b32 v6, v9 :: v_dual_mov_b32 v7, v10
	s_and_saveexec_b32 s15, s0
; %bb.2679:                             ;   in Loop: Header=BB464_1567 Depth=1
	v_clz_i32_u32_e32 v6, v9
	s_delay_alu instid0(VALU_DEP_1) | instskip(NEXT) | instid1(VALU_DEP_1)
	v_min_u32_e32 v58, 32, v6
	v_subrev_nc_u32_e32 v6, 28, v58
	v_sub_nc_u32_e32 v58, 29, v58
	s_delay_alu instid0(VALU_DEP_2) | instskip(NEXT) | instid1(VALU_DEP_1)
	v_lshlrev_b64 v[6:7], v6, v[9:10]
	v_and_b32_e32 v6, 7, v6
; %bb.2680:                             ;   in Loop: Header=BB464_1567 Depth=1
	s_or_b32 exec_lo, exec_lo, s15
	v_lshlrev_b32_e32 v7, 24, v57
	s_delay_alu instid0(VALU_DEP_2) | instskip(SKIP_1) | instid1(VALU_DEP_3)
	v_lshlrev_b32_e32 v6, 20, v6
	v_lshl_add_u32 v9, v58, 23, 0x3c000000
	v_and_b32_e32 v7, 0x80000000, v7
	s_delay_alu instid0(VALU_DEP_1)
	v_or3_b32 v6, v6, v7, v9
.LBB464_2681:                           ;   in Loop: Header=BB464_1567 Depth=1
	s_or_b32 exec_lo, exec_lo, s13
.LBB464_2682:                           ;   in Loop: Header=BB464_1567 Depth=1
	s_delay_alu instid0(SALU_CYCLE_1)
	s_or_b32 exec_lo, exec_lo, s12
.LBB464_2683:                           ;   in Loop: Header=BB464_1567 Depth=1
	s_delay_alu instid0(SALU_CYCLE_1) | instskip(NEXT) | instid1(VALU_DEP_1)
	s_or_b32 exec_lo, exec_lo, s9
	v_mul_f32_e32 v6, v26, v6
                                        ; implicit-def: $vgpr57
	s_delay_alu instid0(VALU_DEP_1) | instskip(NEXT) | instid1(VALU_DEP_1)
	v_and_b32_e32 v7, 0x7f800000, v6
	v_cmp_ne_u32_e64 s0, 0x7f800000, v7
	s_delay_alu instid0(VALU_DEP_1) | instskip(NEXT) | instid1(SALU_CYCLE_1)
	s_and_saveexec_b32 s9, s0
	s_xor_b32 s0, exec_lo, s9
; %bb.2684:                             ;   in Loop: Header=BB464_1567 Depth=1
	v_bfe_u32 v7, v6, 16, 1
	s_delay_alu instid0(VALU_DEP_1)
	v_add3_u32 v57, v6, v7, 0x7fff
                                        ; implicit-def: $vgpr6
; %bb.2685:                             ;   in Loop: Header=BB464_1567 Depth=1
	s_and_not1_saveexec_b32 s9, s0
; %bb.2686:                             ;   in Loop: Header=BB464_1567 Depth=1
	v_and_b32_e32 v7, 0xffff, v6
	v_or_b32_e32 v9, 0x10000, v6
	s_delay_alu instid0(VALU_DEP_2) | instskip(NEXT) | instid1(VALU_DEP_1)
	v_cmp_eq_u32_e64 s0, 0, v7
	v_cndmask_b32_e64 v57, v9, v6, s0
; %bb.2687:                             ;   in Loop: Header=BB464_1567 Depth=1
	s_or_b32 exec_lo, exec_lo, s9
	v_dual_mov_b32 v6, 0 :: v_dual_and_b32 v7, 0xff, v3
	v_mov_b32_e32 v9, v3
	s_mov_b32 s9, exec_lo
	s_delay_alu instid0(VALU_DEP_2)
	v_cmpx_ne_u16_e32 0, v7
	s_cbranch_execz .LBB464_2695
; %bb.2688:                             ;   in Loop: Header=BB464_1567 Depth=1
	v_bfrev_b32_e32 v6, 1
	s_mov_b32 s12, exec_lo
	v_cmpx_ne_u16_e32 0x80, v7
	s_cbranch_execz .LBB464_2694
; %bb.2689:                             ;   in Loop: Header=BB464_1567 Depth=1
	v_and_b32_e32 v7, 0x7f, v3
	v_mov_b32_e32 v6, 0x7f800001
	s_mov_b32 s13, exec_lo
	s_delay_alu instid0(VALU_DEP_2)
	v_cmpx_ne_u32_e32 0x7f, v7
	s_cbranch_execz .LBB464_2693
; %bb.2690:                             ;   in Loop: Header=BB464_1567 Depth=1
	v_lshrrev_b32_e32 v58, 3, v7
	v_cmp_gt_u32_e64 s0, 8, v7
	v_dual_mov_b32 v6, v9 :: v_dual_mov_b32 v7, v10
	s_delay_alu instid0(VALU_DEP_2)
	s_and_saveexec_b32 s15, s0
; %bb.2691:                             ;   in Loop: Header=BB464_1567 Depth=1
	v_and_b32_e32 v6, 7, v3
	s_delay_alu instid0(VALU_DEP_1) | instskip(NEXT) | instid1(VALU_DEP_1)
	v_clz_i32_u32_e32 v6, v6
	v_min_u32_e32 v58, 32, v6
	s_delay_alu instid0(VALU_DEP_1) | instskip(SKIP_1) | instid1(VALU_DEP_2)
	v_subrev_nc_u32_e32 v6, 28, v58
	v_sub_nc_u32_e32 v58, 29, v58
	v_lshlrev_b64 v[6:7], v6, v[9:10]
; %bb.2692:                             ;   in Loop: Header=BB464_1567 Depth=1
	s_or_b32 exec_lo, exec_lo, s15
	s_delay_alu instid0(VALU_DEP_1) | instskip(SKIP_2) | instid1(VALU_DEP_3)
	v_lshlrev_b32_e32 v6, 20, v6
	v_lshlrev_b32_e32 v7, 24, v9
	v_lshl_add_u32 v58, v58, 23, 0x3c000000
	v_and_b32_e32 v6, 0x700000, v6
	s_delay_alu instid0(VALU_DEP_3) | instskip(NEXT) | instid1(VALU_DEP_1)
	v_and_b32_e32 v7, 0x80000000, v7
	v_or3_b32 v6, v6, v7, v58
.LBB464_2693:                           ;   in Loop: Header=BB464_1567 Depth=1
	s_or_b32 exec_lo, exec_lo, s13
.LBB464_2694:                           ;   in Loop: Header=BB464_1567 Depth=1
	s_delay_alu instid0(SALU_CYCLE_1)
	s_or_b32 exec_lo, exec_lo, s12
.LBB464_2695:                           ;   in Loop: Header=BB464_1567 Depth=1
	s_delay_alu instid0(SALU_CYCLE_1) | instskip(NEXT) | instid1(VALU_DEP_1)
	s_or_b32 exec_lo, exec_lo, s9
	v_mul_f32_e32 v6, v26, v6
                                        ; implicit-def: $vgpr58
	s_delay_alu instid0(VALU_DEP_1) | instskip(NEXT) | instid1(VALU_DEP_1)
	v_and_b32_e32 v7, 0x7f800000, v6
	v_cmp_ne_u32_e64 s0, 0x7f800000, v7
	s_delay_alu instid0(VALU_DEP_1) | instskip(NEXT) | instid1(SALU_CYCLE_1)
	s_and_saveexec_b32 s9, s0
	s_xor_b32 s0, exec_lo, s9
; %bb.2696:                             ;   in Loop: Header=BB464_1567 Depth=1
	v_bfe_u32 v7, v6, 16, 1
	s_delay_alu instid0(VALU_DEP_1)
	v_add3_u32 v58, v6, v7, 0x7fff
                                        ; implicit-def: $vgpr6
; %bb.2697:                             ;   in Loop: Header=BB464_1567 Depth=1
	s_and_not1_saveexec_b32 s9, s0
; %bb.2698:                             ;   in Loop: Header=BB464_1567 Depth=1
	v_and_b32_e32 v7, 0xffff, v6
	v_or_b32_e32 v58, 0x10000, v6
	s_delay_alu instid0(VALU_DEP_2) | instskip(NEXT) | instid1(VALU_DEP_1)
	v_cmp_eq_u32_e64 s0, 0, v7
	v_cndmask_b32_e64 v58, v58, v6, s0
; %bb.2699:                             ;   in Loop: Header=BB464_1567 Depth=1
	s_or_b32 exec_lo, exec_lo, s9
	v_lshrrev_b16 v7, 8, v9
	v_mov_b32_e32 v6, 0
	s_mov_b32 s9, exec_lo
	s_delay_alu instid0(VALU_DEP_2)
	v_cmpx_ne_u16_e32 0, v7
	s_cbranch_execz .LBB464_2707
; %bb.2700:                             ;   in Loop: Header=BB464_1567 Depth=1
	v_bfrev_b32_e32 v6, 1
	s_mov_b32 s12, exec_lo
	v_cmpx_ne_u16_e32 0x80, v7
	s_cbranch_execz .LBB464_2706
; %bb.2701:                             ;   in Loop: Header=BB464_1567 Depth=1
	v_and_b32_e32 v7, 0xffff, v7
	v_mov_b32_e32 v6, 0x7f800001
	s_mov_b32 s13, exec_lo
	s_delay_alu instid0(VALU_DEP_2) | instskip(NEXT) | instid1(VALU_DEP_1)
	v_and_b32_e32 v60, 0x7f, v7
	v_cmpx_ne_u32_e32 0x7f, v60
	s_cbranch_execz .LBB464_2705
; %bb.2702:                             ;   in Loop: Header=BB464_1567 Depth=1
	v_dual_mov_b32 v7, v10 :: v_dual_and_b32 v6, 7, v7
	v_lshrrev_b32_e32 v59, 3, v60
	s_mov_b32 s15, exec_lo
	v_cmpx_gt_u32_e32 8, v60
; %bb.2703:                             ;   in Loop: Header=BB464_1567 Depth=1
	s_delay_alu instid0(VALU_DEP_3) | instskip(NEXT) | instid1(VALU_DEP_1)
	v_clz_i32_u32_e32 v59, v6
	v_min_u32_e32 v59, 32, v59
	s_delay_alu instid0(VALU_DEP_1) | instskip(SKIP_1) | instid1(VALU_DEP_2)
	v_subrev_nc_u32_e32 v60, 28, v59
	v_sub_nc_u32_e32 v59, 29, v59
	v_lshlrev_b64 v[6:7], v60, v[6:7]
	s_delay_alu instid0(VALU_DEP_1)
	v_and_b32_e32 v6, 7, v6
; %bb.2704:                             ;   in Loop: Header=BB464_1567 Depth=1
	s_or_b32 exec_lo, exec_lo, s15
	v_lshlrev_b32_e32 v7, 16, v9
	s_delay_alu instid0(VALU_DEP_2) | instskip(SKIP_1) | instid1(VALU_DEP_3)
	v_lshlrev_b32_e32 v6, 20, v6
	v_lshl_add_u32 v9, v59, 23, 0x3c000000
	v_and_b32_e32 v7, 0x80000000, v7
	s_delay_alu instid0(VALU_DEP_1)
	v_or3_b32 v6, v6, v7, v9
.LBB464_2705:                           ;   in Loop: Header=BB464_1567 Depth=1
	s_or_b32 exec_lo, exec_lo, s13
.LBB464_2706:                           ;   in Loop: Header=BB464_1567 Depth=1
	s_delay_alu instid0(SALU_CYCLE_1)
	s_or_b32 exec_lo, exec_lo, s12
.LBB464_2707:                           ;   in Loop: Header=BB464_1567 Depth=1
	s_delay_alu instid0(SALU_CYCLE_1) | instskip(NEXT) | instid1(VALU_DEP_1)
	s_or_b32 exec_lo, exec_lo, s9
	v_mul_f32_e32 v6, v26, v6
                                        ; implicit-def: $vgpr59
	s_delay_alu instid0(VALU_DEP_1) | instskip(NEXT) | instid1(VALU_DEP_1)
	v_and_b32_e32 v7, 0x7f800000, v6
	v_cmp_ne_u32_e64 s0, 0x7f800000, v7
	s_delay_alu instid0(VALU_DEP_1) | instskip(NEXT) | instid1(SALU_CYCLE_1)
	s_and_saveexec_b32 s9, s0
	s_xor_b32 s0, exec_lo, s9
; %bb.2708:                             ;   in Loop: Header=BB464_1567 Depth=1
	v_bfe_u32 v7, v6, 16, 1
	s_delay_alu instid0(VALU_DEP_1)
	v_add3_u32 v59, v6, v7, 0x7fff
                                        ; implicit-def: $vgpr6
; %bb.2709:                             ;   in Loop: Header=BB464_1567 Depth=1
	s_and_not1_saveexec_b32 s9, s0
; %bb.2710:                             ;   in Loop: Header=BB464_1567 Depth=1
	v_and_b32_e32 v7, 0xffff, v6
	v_or_b32_e32 v9, 0x10000, v6
	s_delay_alu instid0(VALU_DEP_2) | instskip(NEXT) | instid1(VALU_DEP_1)
	v_cmp_eq_u32_e64 s0, 0, v7
	v_cndmask_b32_e64 v59, v9, v6, s0
; %bb.2711:                             ;   in Loop: Header=BB464_1567 Depth=1
	s_or_b32 exec_lo, exec_lo, s9
	v_lshrrev_b32_e32 v60, 16, v3
	s_mov_b32 s9, exec_lo
	s_delay_alu instid0(VALU_DEP_1) | instskip(NEXT) | instid1(VALU_DEP_1)
	v_dual_mov_b32 v6, 0 :: v_dual_and_b32 v7, 0xff, v60
	v_cmpx_ne_u16_e32 0, v7
	s_cbranch_execz .LBB464_2719
; %bb.2712:                             ;   in Loop: Header=BB464_1567 Depth=1
	v_bfrev_b32_e32 v6, 1
	s_mov_b32 s12, exec_lo
	v_cmpx_ne_u16_e32 0x80, v7
	s_cbranch_execz .LBB464_2718
; %bb.2713:                             ;   in Loop: Header=BB464_1567 Depth=1
	v_bfe_u32 v7, v3, 16, 7
	v_mov_b32_e32 v6, 0x7f800001
	s_mov_b32 s13, exec_lo
	s_delay_alu instid0(VALU_DEP_2)
	v_cmpx_ne_u32_e32 0x7f, v7
	s_cbranch_execz .LBB464_2717
; %bb.2714:                             ;   in Loop: Header=BB464_1567 Depth=1
	v_and_b32_e32 v9, 7, v60
	v_lshrrev_b32_e32 v61, 3, v7
	v_cmp_gt_u32_e64 s0, 8, v7
	s_delay_alu instid0(VALU_DEP_3) | instskip(NEXT) | instid1(VALU_DEP_2)
	v_dual_mov_b32 v6, v9 :: v_dual_mov_b32 v7, v10
	s_and_saveexec_b32 s15, s0
; %bb.2715:                             ;   in Loop: Header=BB464_1567 Depth=1
	v_clz_i32_u32_e32 v6, v9
	s_delay_alu instid0(VALU_DEP_1) | instskip(NEXT) | instid1(VALU_DEP_1)
	v_min_u32_e32 v61, 32, v6
	v_subrev_nc_u32_e32 v6, 28, v61
	v_sub_nc_u32_e32 v61, 29, v61
	s_delay_alu instid0(VALU_DEP_2) | instskip(NEXT) | instid1(VALU_DEP_1)
	v_lshlrev_b64 v[6:7], v6, v[9:10]
	v_and_b32_e32 v6, 7, v6
; %bb.2716:                             ;   in Loop: Header=BB464_1567 Depth=1
	s_or_b32 exec_lo, exec_lo, s15
	v_lshlrev_b32_e32 v7, 24, v60
	s_delay_alu instid0(VALU_DEP_2) | instskip(SKIP_1) | instid1(VALU_DEP_3)
	v_lshlrev_b32_e32 v6, 20, v6
	v_lshl_add_u32 v9, v61, 23, 0x3c000000
	v_and_b32_e32 v7, 0x80000000, v7
	s_delay_alu instid0(VALU_DEP_1)
	v_or3_b32 v6, v6, v7, v9
.LBB464_2717:                           ;   in Loop: Header=BB464_1567 Depth=1
	s_or_b32 exec_lo, exec_lo, s13
.LBB464_2718:                           ;   in Loop: Header=BB464_1567 Depth=1
	s_delay_alu instid0(SALU_CYCLE_1)
	s_or_b32 exec_lo, exec_lo, s12
.LBB464_2719:                           ;   in Loop: Header=BB464_1567 Depth=1
	s_delay_alu instid0(SALU_CYCLE_1) | instskip(NEXT) | instid1(VALU_DEP_1)
	s_or_b32 exec_lo, exec_lo, s9
	v_mul_f32_e32 v6, v26, v6
                                        ; implicit-def: $vgpr60
	s_delay_alu instid0(VALU_DEP_1) | instskip(NEXT) | instid1(VALU_DEP_1)
	v_and_b32_e32 v7, 0x7f800000, v6
	v_cmp_ne_u32_e64 s0, 0x7f800000, v7
	s_delay_alu instid0(VALU_DEP_1) | instskip(NEXT) | instid1(SALU_CYCLE_1)
	s_and_saveexec_b32 s9, s0
	s_xor_b32 s0, exec_lo, s9
; %bb.2720:                             ;   in Loop: Header=BB464_1567 Depth=1
	v_bfe_u32 v7, v6, 16, 1
	s_delay_alu instid0(VALU_DEP_1)
	v_add3_u32 v60, v6, v7, 0x7fff
                                        ; implicit-def: $vgpr6
; %bb.2721:                             ;   in Loop: Header=BB464_1567 Depth=1
	s_and_not1_saveexec_b32 s9, s0
; %bb.2722:                             ;   in Loop: Header=BB464_1567 Depth=1
	v_and_b32_e32 v7, 0xffff, v6
	v_or_b32_e32 v9, 0x10000, v6
	s_delay_alu instid0(VALU_DEP_2) | instskip(NEXT) | instid1(VALU_DEP_1)
	v_cmp_eq_u32_e64 s0, 0, v7
	v_cndmask_b32_e64 v60, v9, v6, s0
; %bb.2723:                             ;   in Loop: Header=BB464_1567 Depth=1
	s_or_b32 exec_lo, exec_lo, s9
	v_cmp_lt_u64_e64 s0, s[2:3], v[2:3]
	v_mov_b32_e32 v2, 0
	s_delay_alu instid0(VALU_DEP_2)
	s_and_saveexec_b32 s9, s0
	s_cbranch_execz .LBB464_2731
; %bb.2724:                             ;   in Loop: Header=BB464_1567 Depth=1
	v_lshrrev_b32_e32 v6, 24, v3
	v_bfrev_b32_e32 v2, 1
	s_mov_b32 s12, exec_lo
	s_delay_alu instid0(VALU_DEP_2)
	v_cmpx_ne_u32_e32 0x80, v6
	s_cbranch_execz .LBB464_2730
; %bb.2725:                             ;   in Loop: Header=BB464_1567 Depth=1
	v_bfe_u32 v3, v3, 24, 7
	v_mov_b32_e32 v2, 0x7f800001
	s_mov_b32 s13, exec_lo
	s_delay_alu instid0(VALU_DEP_2)
	v_cmpx_ne_u32_e32 0x7f, v3
	s_cbranch_execz .LBB464_2729
; %bb.2726:                             ;   in Loop: Header=BB464_1567 Depth=1
	v_and_b32_e32 v9, 7, v6
	v_lshrrev_b32_e32 v7, 3, v3
	v_cmp_gt_u32_e64 s0, 8, v3
	s_delay_alu instid0(VALU_DEP_3) | instskip(NEXT) | instid1(VALU_DEP_2)
	v_dual_mov_b32 v2, v9 :: v_dual_mov_b32 v3, v10
	s_and_saveexec_b32 s15, s0
; %bb.2727:                             ;   in Loop: Header=BB464_1567 Depth=1
	v_clz_i32_u32_e32 v2, v9
	s_delay_alu instid0(VALU_DEP_1) | instskip(NEXT) | instid1(VALU_DEP_1)
	v_min_u32_e32 v7, 32, v2
	v_subrev_nc_u32_e32 v2, 28, v7
	v_sub_nc_u32_e32 v7, 29, v7
	s_delay_alu instid0(VALU_DEP_2) | instskip(NEXT) | instid1(VALU_DEP_1)
	v_lshlrev_b64 v[2:3], v2, v[9:10]
	v_and_b32_e32 v2, 7, v2
; %bb.2728:                             ;   in Loop: Header=BB464_1567 Depth=1
	s_or_b32 exec_lo, exec_lo, s15
	v_lshlrev_b32_e32 v3, 24, v6
	s_delay_alu instid0(VALU_DEP_2) | instskip(SKIP_1) | instid1(VALU_DEP_3)
	v_lshlrev_b32_e32 v2, 20, v2
	v_lshl_add_u32 v6, v7, 23, 0x3c000000
	v_and_b32_e32 v3, 0x80000000, v3
	s_delay_alu instid0(VALU_DEP_1)
	v_or3_b32 v2, v2, v3, v6
.LBB464_2729:                           ;   in Loop: Header=BB464_1567 Depth=1
	s_or_b32 exec_lo, exec_lo, s13
.LBB464_2730:                           ;   in Loop: Header=BB464_1567 Depth=1
	s_delay_alu instid0(SALU_CYCLE_1)
	s_or_b32 exec_lo, exec_lo, s12
.LBB464_2731:                           ;   in Loop: Header=BB464_1567 Depth=1
	s_delay_alu instid0(SALU_CYCLE_1) | instskip(NEXT) | instid1(VALU_DEP_1)
	s_or_b32 exec_lo, exec_lo, s9
	v_mul_f32_e32 v3, v26, v2
	s_delay_alu instid0(VALU_DEP_1) | instskip(NEXT) | instid1(VALU_DEP_1)
	v_and_b32_e32 v2, 0x7f800000, v3
	v_cmp_ne_u32_e64 s0, 0x7f800000, v2
                                        ; implicit-def: $vgpr2
	s_delay_alu instid0(VALU_DEP_1) | instskip(NEXT) | instid1(SALU_CYCLE_1)
	s_and_saveexec_b32 s9, s0
	s_xor_b32 s0, exec_lo, s9
; %bb.2732:                             ;   in Loop: Header=BB464_1567 Depth=1
	v_bfe_u32 v2, v3, 16, 1
	s_delay_alu instid0(VALU_DEP_1)
	v_add3_u32 v2, v3, v2, 0x7fff
                                        ; implicit-def: $vgpr3
; %bb.2733:                             ;   in Loop: Header=BB464_1567 Depth=1
	s_and_not1_saveexec_b32 s9, s0
; %bb.2734:                             ;   in Loop: Header=BB464_1567 Depth=1
	v_and_b32_e32 v2, 0xffff, v3
	v_or_b32_e32 v6, 0x10000, v3
	s_delay_alu instid0(VALU_DEP_2) | instskip(NEXT) | instid1(VALU_DEP_1)
	v_cmp_eq_u32_e64 s0, 0, v2
	v_cndmask_b32_e64 v2, v6, v3, s0
; %bb.2735:                             ;   in Loop: Header=BB464_1567 Depth=1
	s_or_b32 exec_lo, exec_lo, s9
	v_lshrrev_b32_e32 v6, 16, v59
	v_lshrrev_b32_e32 v7, 16, v58
	;; [unrolled: 1-line block ×8, first 2 shown]
	s_and_saveexec_b32 s9, vcc_lo
	s_cbranch_execz .LBB464_2737
; %bb.2736:                             ;   in Loop: Header=BB464_1567 Depth=1
	v_cmp_lt_i32_e64 s0, v68, v36
	s_delay_alu instid0(VALU_DEP_1) | instskip(SKIP_1) | instid1(VALU_DEP_1)
	v_cndmask_b32_e64 v46, 0, v46, s0
	v_cmp_lt_i32_e64 s0, v82, v36
	v_cndmask_b32_e64 v47, 0, v47, s0
	v_cmp_lt_i32_e64 s0, v81, v36
	s_delay_alu instid0(VALU_DEP_1) | instskip(SKIP_1) | instid1(VALU_DEP_1)
	v_cndmask_b32_e64 v56, 0, v56, s0
	v_cmp_lt_i32_e64 s0, v80, v36
	v_cndmask_b32_e64 v9, 0, v9, s0
	v_cmp_lt_i32_e64 s0, v71, v36
	s_delay_alu instid0(VALU_DEP_1) | instskip(SKIP_1) | instid1(VALU_DEP_1)
	v_cndmask_b32_e64 v7, 0, v7, s0
	v_cmp_lt_i32_e64 s0, v70, v36
	v_cndmask_b32_e64 v6, 0, v6, s0
	v_cmp_lt_i32_e64 s0, v69, v36
	s_delay_alu instid0(VALU_DEP_1) | instskip(SKIP_1) | instid1(VALU_DEP_1)
	v_cndmask_b32_e64 v3, 0, v3, s0
	v_cmp_lt_i32_e64 s0, v15, v36
	v_cndmask_b32_e64 v2, 0, v2, s0
.LBB464_2737:                           ;   in Loop: Header=BB464_1567 Depth=1
	s_or_b32 exec_lo, exec_lo, s9
	v_lshlrev_b32_e32 v46, 16, v46
	s_delay_alu instid0(VALU_DEP_1) | instskip(NEXT) | instid1(VALU_DEP_1)
	v_mul_f32_e32 v57, v83, v46
	v_and_b32_e32 v46, 0x7f800000, v57
	s_delay_alu instid0(VALU_DEP_1) | instskip(NEXT) | instid1(VALU_DEP_1)
	v_cmp_ne_u32_e64 s0, 0x7f800000, v46
                                        ; implicit-def: $vgpr46
	s_and_saveexec_b32 s9, s0
	s_delay_alu instid0(SALU_CYCLE_1)
	s_xor_b32 s0, exec_lo, s9
; %bb.2738:                             ;   in Loop: Header=BB464_1567 Depth=1
	v_bfe_u32 v46, v57, 16, 1
	s_delay_alu instid0(VALU_DEP_1)
	v_add3_u32 v46, v57, v46, 0x7fff
                                        ; implicit-def: $vgpr57
; %bb.2739:                             ;   in Loop: Header=BB464_1567 Depth=1
	s_and_not1_saveexec_b32 s9, s0
; %bb.2740:                             ;   in Loop: Header=BB464_1567 Depth=1
	v_and_b32_e32 v46, 0xffff, v57
	v_or_b32_e32 v58, 0x10000, v57
	s_delay_alu instid0(VALU_DEP_2) | instskip(NEXT) | instid1(VALU_DEP_1)
	v_cmp_eq_u32_e64 s0, 0, v46
	v_cndmask_b32_e64 v46, v58, v57, s0
; %bb.2741:                             ;   in Loop: Header=BB464_1567 Depth=1
	s_or_b32 exec_lo, exec_lo, s9
	v_lshlrev_b32_e32 v47, 16, v47
	s_delay_alu instid0(VALU_DEP_1) | instskip(NEXT) | instid1(VALU_DEP_1)
	v_mul_f32_e32 v57, v84, v47
	v_and_b32_e32 v47, 0x7f800000, v57
	s_delay_alu instid0(VALU_DEP_1) | instskip(NEXT) | instid1(VALU_DEP_1)
	v_cmp_ne_u32_e64 s0, 0x7f800000, v47
                                        ; implicit-def: $vgpr47
	s_and_saveexec_b32 s9, s0
	s_delay_alu instid0(SALU_CYCLE_1)
	s_xor_b32 s0, exec_lo, s9
; %bb.2742:                             ;   in Loop: Header=BB464_1567 Depth=1
	v_bfe_u32 v47, v57, 16, 1
	s_delay_alu instid0(VALU_DEP_1)
	v_add3_u32 v47, v57, v47, 0x7fff
                                        ; implicit-def: $vgpr57
; %bb.2743:                             ;   in Loop: Header=BB464_1567 Depth=1
	s_and_not1_saveexec_b32 s9, s0
; %bb.2744:                             ;   in Loop: Header=BB464_1567 Depth=1
	v_and_b32_e32 v47, 0xffff, v57
	v_or_b32_e32 v58, 0x10000, v57
	s_delay_alu instid0(VALU_DEP_2) | instskip(NEXT) | instid1(VALU_DEP_1)
	v_cmp_eq_u32_e64 s0, 0, v47
	v_cndmask_b32_e64 v47, v58, v57, s0
; %bb.2745:                             ;   in Loop: Header=BB464_1567 Depth=1
	s_or_b32 exec_lo, exec_lo, s9
	v_lshlrev_b32_e32 v56, 16, v56
	s_delay_alu instid0(VALU_DEP_1) | instskip(NEXT) | instid1(VALU_DEP_1)
	v_mul_f32_e32 v57, v85, v56
	v_and_b32_e32 v56, 0x7f800000, v57
	s_delay_alu instid0(VALU_DEP_1) | instskip(NEXT) | instid1(VALU_DEP_1)
	v_cmp_ne_u32_e64 s0, 0x7f800000, v56
                                        ; implicit-def: $vgpr56
	s_and_saveexec_b32 s9, s0
	s_delay_alu instid0(SALU_CYCLE_1)
	s_xor_b32 s0, exec_lo, s9
; %bb.2746:                             ;   in Loop: Header=BB464_1567 Depth=1
	v_bfe_u32 v56, v57, 16, 1
	s_delay_alu instid0(VALU_DEP_1)
	v_add3_u32 v56, v57, v56, 0x7fff
                                        ; implicit-def: $vgpr57
; %bb.2747:                             ;   in Loop: Header=BB464_1567 Depth=1
	s_and_not1_saveexec_b32 s9, s0
; %bb.2748:                             ;   in Loop: Header=BB464_1567 Depth=1
	v_and_b32_e32 v56, 0xffff, v57
	v_or_b32_e32 v58, 0x10000, v57
	s_delay_alu instid0(VALU_DEP_2) | instskip(NEXT) | instid1(VALU_DEP_1)
	v_cmp_eq_u32_e64 s0, 0, v56
	v_cndmask_b32_e64 v56, v58, v57, s0
; %bb.2749:                             ;   in Loop: Header=BB464_1567 Depth=1
	s_or_b32 exec_lo, exec_lo, s9
	v_lshlrev_b32_e32 v9, 16, v9
	s_delay_alu instid0(VALU_DEP_1) | instskip(NEXT) | instid1(VALU_DEP_1)
	v_mul_f32_e32 v9, v86, v9
	v_and_b32_e32 v57, 0x7f800000, v9
	s_delay_alu instid0(VALU_DEP_1) | instskip(NEXT) | instid1(VALU_DEP_1)
	v_cmp_ne_u32_e64 s0, 0x7f800000, v57
                                        ; implicit-def: $vgpr57
	s_and_saveexec_b32 s9, s0
	s_delay_alu instid0(SALU_CYCLE_1)
	s_xor_b32 s0, exec_lo, s9
; %bb.2750:                             ;   in Loop: Header=BB464_1567 Depth=1
	v_bfe_u32 v57, v9, 16, 1
	s_delay_alu instid0(VALU_DEP_1)
	v_add3_u32 v57, v9, v57, 0x7fff
                                        ; implicit-def: $vgpr9
; %bb.2751:                             ;   in Loop: Header=BB464_1567 Depth=1
	s_and_not1_saveexec_b32 s9, s0
; %bb.2752:                             ;   in Loop: Header=BB464_1567 Depth=1
	v_and_b32_e32 v57, 0xffff, v9
	v_or_b32_e32 v58, 0x10000, v9
	s_delay_alu instid0(VALU_DEP_2) | instskip(NEXT) | instid1(VALU_DEP_1)
	v_cmp_eq_u32_e64 s0, 0, v57
	v_cndmask_b32_e64 v57, v58, v9, s0
; %bb.2753:                             ;   in Loop: Header=BB464_1567 Depth=1
	s_or_b32 exec_lo, exec_lo, s9
	v_lshlrev_b32_e32 v7, 16, v7
                                        ; implicit-def: $vgpr58
	s_delay_alu instid0(VALU_DEP_1) | instskip(NEXT) | instid1(VALU_DEP_1)
	v_mul_f32_e32 v7, v87, v7
	v_and_b32_e32 v9, 0x7f800000, v7
	s_delay_alu instid0(VALU_DEP_1) | instskip(NEXT) | instid1(VALU_DEP_1)
	v_cmp_ne_u32_e64 s0, 0x7f800000, v9
	s_and_saveexec_b32 s9, s0
	s_delay_alu instid0(SALU_CYCLE_1)
	s_xor_b32 s0, exec_lo, s9
; %bb.2754:                             ;   in Loop: Header=BB464_1567 Depth=1
	v_bfe_u32 v9, v7, 16, 1
	s_delay_alu instid0(VALU_DEP_1)
	v_add3_u32 v58, v7, v9, 0x7fff
                                        ; implicit-def: $vgpr7
; %bb.2755:                             ;   in Loop: Header=BB464_1567 Depth=1
	s_and_not1_saveexec_b32 s9, s0
; %bb.2756:                             ;   in Loop: Header=BB464_1567 Depth=1
	v_and_b32_e32 v9, 0xffff, v7
	v_or_b32_e32 v58, 0x10000, v7
	s_delay_alu instid0(VALU_DEP_2) | instskip(NEXT) | instid1(VALU_DEP_1)
	v_cmp_eq_u32_e64 s0, 0, v9
	v_cndmask_b32_e64 v58, v58, v7, s0
; %bb.2757:                             ;   in Loop: Header=BB464_1567 Depth=1
	s_or_b32 exec_lo, exec_lo, s9
	v_lshlrev_b32_e32 v6, 16, v6
                                        ; implicit-def: $vgpr59
	s_delay_alu instid0(VALU_DEP_1) | instskip(NEXT) | instid1(VALU_DEP_1)
	v_mul_f32_e32 v6, v96, v6
	v_and_b32_e32 v7, 0x7f800000, v6
	s_delay_alu instid0(VALU_DEP_1) | instskip(NEXT) | instid1(VALU_DEP_1)
	v_cmp_ne_u32_e64 s0, 0x7f800000, v7
	s_and_saveexec_b32 s9, s0
	s_delay_alu instid0(SALU_CYCLE_1)
	s_xor_b32 s0, exec_lo, s9
; %bb.2758:                             ;   in Loop: Header=BB464_1567 Depth=1
	v_bfe_u32 v7, v6, 16, 1
	s_delay_alu instid0(VALU_DEP_1)
	v_add3_u32 v59, v6, v7, 0x7fff
                                        ; implicit-def: $vgpr6
; %bb.2759:                             ;   in Loop: Header=BB464_1567 Depth=1
	s_and_not1_saveexec_b32 s9, s0
; %bb.2760:                             ;   in Loop: Header=BB464_1567 Depth=1
	v_and_b32_e32 v7, 0xffff, v6
	v_or_b32_e32 v9, 0x10000, v6
	s_delay_alu instid0(VALU_DEP_2) | instskip(NEXT) | instid1(VALU_DEP_1)
	v_cmp_eq_u32_e64 s0, 0, v7
	v_cndmask_b32_e64 v59, v9, v6, s0
; %bb.2761:                             ;   in Loop: Header=BB464_1567 Depth=1
	s_or_b32 exec_lo, exec_lo, s9
	v_lshlrev_b32_e32 v3, 16, v3
                                        ; implicit-def: $vgpr60
	s_delay_alu instid0(VALU_DEP_1) | instskip(NEXT) | instid1(VALU_DEP_1)
	v_mul_f32_e32 v3, v97, v3
	v_and_b32_e32 v6, 0x7f800000, v3
	s_delay_alu instid0(VALU_DEP_1) | instskip(NEXT) | instid1(VALU_DEP_1)
	v_cmp_ne_u32_e64 s0, 0x7f800000, v6
	s_and_saveexec_b32 s9, s0
	s_delay_alu instid0(SALU_CYCLE_1)
	s_xor_b32 s0, exec_lo, s9
; %bb.2762:                             ;   in Loop: Header=BB464_1567 Depth=1
	v_bfe_u32 v6, v3, 16, 1
	s_delay_alu instid0(VALU_DEP_1)
	v_add3_u32 v60, v3, v6, 0x7fff
                                        ; implicit-def: $vgpr3
; %bb.2763:                             ;   in Loop: Header=BB464_1567 Depth=1
	s_and_not1_saveexec_b32 s9, s0
; %bb.2764:                             ;   in Loop: Header=BB464_1567 Depth=1
	v_and_b32_e32 v6, 0xffff, v3
	v_or_b32_e32 v7, 0x10000, v3
	s_delay_alu instid0(VALU_DEP_2) | instskip(NEXT) | instid1(VALU_DEP_1)
	v_cmp_eq_u32_e64 s0, 0, v6
	v_cndmask_b32_e64 v60, v7, v3, s0
; %bb.2765:                             ;   in Loop: Header=BB464_1567 Depth=1
	s_or_b32 exec_lo, exec_lo, s9
	v_lshlrev_b32_e32 v2, 16, v2
                                        ; implicit-def: $vgpr61
	s_delay_alu instid0(VALU_DEP_1) | instskip(NEXT) | instid1(VALU_DEP_1)
	v_mul_f32_e32 v2, v98, v2
	v_and_b32_e32 v3, 0x7f800000, v2
	s_delay_alu instid0(VALU_DEP_1) | instskip(NEXT) | instid1(VALU_DEP_1)
	v_cmp_ne_u32_e64 s0, 0x7f800000, v3
	s_and_saveexec_b32 s9, s0
	s_delay_alu instid0(SALU_CYCLE_1)
	s_xor_b32 s0, exec_lo, s9
; %bb.2766:                             ;   in Loop: Header=BB464_1567 Depth=1
	v_bfe_u32 v3, v2, 16, 1
	s_delay_alu instid0(VALU_DEP_1)
	v_add3_u32 v61, v2, v3, 0x7fff
                                        ; implicit-def: $vgpr2
; %bb.2767:                             ;   in Loop: Header=BB464_1567 Depth=1
	s_and_not1_saveexec_b32 s9, s0
; %bb.2768:                             ;   in Loop: Header=BB464_1567 Depth=1
	v_and_b32_e32 v3, 0xffff, v2
	v_or_b32_e32 v6, 0x10000, v2
	s_delay_alu instid0(VALU_DEP_2) | instskip(NEXT) | instid1(VALU_DEP_1)
	v_cmp_eq_u32_e64 s0, 0, v3
	v_cndmask_b32_e64 v61, v6, v2, s0
; %bb.2769:                             ;   in Loop: Header=BB464_1567 Depth=1
	s_or_b32 exec_lo, exec_lo, s9
	flat_load_b64 v[2:3], v[0:1] offset:2304
	s_mov_b32 s9, exec_lo
	s_waitcnt vmcnt(0) lgkmcnt(0)
	v_dual_mov_b32 v6, 0 :: v_dual_and_b32 v7, 0xff, v2
	s_delay_alu instid0(VALU_DEP_1)
	v_cmpx_ne_u16_e32 0, v7
	s_cbranch_execz .LBB464_2777
; %bb.2770:                             ;   in Loop: Header=BB464_1567 Depth=1
	v_bfrev_b32_e32 v6, 1
	s_mov_b32 s12, exec_lo
	v_cmpx_ne_u16_e32 0x80, v7
	s_cbranch_execz .LBB464_2776
; %bb.2771:                             ;   in Loop: Header=BB464_1567 Depth=1
	v_and_b32_e32 v7, 0x7f, v2
	v_mov_b32_e32 v6, 0x7f800001
	s_mov_b32 s13, exec_lo
	s_delay_alu instid0(VALU_DEP_2)
	v_cmpx_ne_u32_e32 0x7f, v7
	s_cbranch_execz .LBB464_2775
; %bb.2772:                             ;   in Loop: Header=BB464_1567 Depth=1
	v_lshrrev_b32_e32 v9, 3, v7
	v_cmp_gt_u32_e64 s0, 8, v7
	v_dual_mov_b32 v7, v3 :: v_dual_mov_b32 v6, v2
	s_delay_alu instid0(VALU_DEP_2)
	s_and_saveexec_b32 s15, s0
; %bb.2773:                             ;   in Loop: Header=BB464_1567 Depth=1
	v_and_b32_e32 v6, 7, v2
	s_delay_alu instid0(VALU_DEP_1) | instskip(NEXT) | instid1(VALU_DEP_1)
	v_clz_i32_u32_e32 v6, v6
	v_min_u32_e32 v9, 32, v6
	s_delay_alu instid0(VALU_DEP_1) | instskip(SKIP_1) | instid1(VALU_DEP_2)
	v_subrev_nc_u32_e32 v6, 28, v9
	v_sub_nc_u32_e32 v9, 29, v9
	v_lshlrev_b64 v[6:7], v6, v[2:3]
; %bb.2774:                             ;   in Loop: Header=BB464_1567 Depth=1
	s_or_b32 exec_lo, exec_lo, s15
	s_delay_alu instid0(VALU_DEP_1) | instskip(SKIP_2) | instid1(VALU_DEP_3)
	v_lshlrev_b32_e32 v6, 20, v6
	v_lshlrev_b32_e32 v7, 24, v2
	v_lshl_add_u32 v9, v9, 23, 0x3c000000
	v_and_b32_e32 v6, 0x700000, v6
	s_delay_alu instid0(VALU_DEP_3) | instskip(NEXT) | instid1(VALU_DEP_1)
	v_and_b32_e32 v7, 0x80000000, v7
	v_or3_b32 v6, v6, v7, v9
.LBB464_2775:                           ;   in Loop: Header=BB464_1567 Depth=1
	s_or_b32 exec_lo, exec_lo, s13
.LBB464_2776:                           ;   in Loop: Header=BB464_1567 Depth=1
	s_delay_alu instid0(SALU_CYCLE_1)
	s_or_b32 exec_lo, exec_lo, s12
.LBB464_2777:                           ;   in Loop: Header=BB464_1567 Depth=1
	s_delay_alu instid0(SALU_CYCLE_1) | instskip(NEXT) | instid1(VALU_DEP_1)
	s_or_b32 exec_lo, exec_lo, s9
	v_mul_f32_e32 v6, v26, v6
                                        ; implicit-def: $vgpr62
	s_delay_alu instid0(VALU_DEP_1) | instskip(NEXT) | instid1(VALU_DEP_1)
	v_and_b32_e32 v7, 0x7f800000, v6
	v_cmp_ne_u32_e64 s0, 0x7f800000, v7
	s_delay_alu instid0(VALU_DEP_1) | instskip(NEXT) | instid1(SALU_CYCLE_1)
	s_and_saveexec_b32 s9, s0
	s_xor_b32 s0, exec_lo, s9
; %bb.2778:                             ;   in Loop: Header=BB464_1567 Depth=1
	v_bfe_u32 v7, v6, 16, 1
	s_delay_alu instid0(VALU_DEP_1)
	v_add3_u32 v62, v6, v7, 0x7fff
                                        ; implicit-def: $vgpr6
; %bb.2779:                             ;   in Loop: Header=BB464_1567 Depth=1
	s_and_not1_saveexec_b32 s9, s0
; %bb.2780:                             ;   in Loop: Header=BB464_1567 Depth=1
	v_and_b32_e32 v7, 0xffff, v6
	v_or_b32_e32 v9, 0x10000, v6
	s_delay_alu instid0(VALU_DEP_2) | instskip(NEXT) | instid1(VALU_DEP_1)
	v_cmp_eq_u32_e64 s0, 0, v7
	v_cndmask_b32_e64 v62, v9, v6, s0
; %bb.2781:                             ;   in Loop: Header=BB464_1567 Depth=1
	s_or_b32 exec_lo, exec_lo, s9
	v_lshrrev_b16 v7, 8, v2
	v_mov_b32_e32 v6, 0
	s_mov_b32 s9, exec_lo
	s_delay_alu instid0(VALU_DEP_2)
	v_cmpx_ne_u16_e32 0, v7
	s_cbranch_execz .LBB464_2789
; %bb.2782:                             ;   in Loop: Header=BB464_1567 Depth=1
	v_bfrev_b32_e32 v6, 1
	s_mov_b32 s12, exec_lo
	v_cmpx_ne_u16_e32 0x80, v7
	s_cbranch_execz .LBB464_2788
; %bb.2783:                             ;   in Loop: Header=BB464_1567 Depth=1
	v_and_b32_e32 v9, 0xffff, v7
	v_mov_b32_e32 v6, 0x7f800001
	s_mov_b32 s13, exec_lo
	s_delay_alu instid0(VALU_DEP_2) | instskip(NEXT) | instid1(VALU_DEP_1)
	v_and_b32_e32 v7, 0x7f, v9
	v_cmpx_ne_u32_e32 0x7f, v7
	s_cbranch_execz .LBB464_2787
; %bb.2784:                             ;   in Loop: Header=BB464_1567 Depth=1
	v_and_b32_e32 v9, 7, v9
	v_lshrrev_b32_e32 v63, 3, v7
	v_cmp_gt_u32_e64 s0, 8, v7
	s_delay_alu instid0(VALU_DEP_3) | instskip(NEXT) | instid1(VALU_DEP_2)
	v_dual_mov_b32 v6, v9 :: v_dual_mov_b32 v7, v10
	s_and_saveexec_b32 s15, s0
; %bb.2785:                             ;   in Loop: Header=BB464_1567 Depth=1
	v_clz_i32_u32_e32 v6, v9
	s_delay_alu instid0(VALU_DEP_1) | instskip(NEXT) | instid1(VALU_DEP_1)
	v_min_u32_e32 v63, 32, v6
	v_subrev_nc_u32_e32 v6, 28, v63
	v_sub_nc_u32_e32 v63, 29, v63
	s_delay_alu instid0(VALU_DEP_2) | instskip(NEXT) | instid1(VALU_DEP_1)
	v_lshlrev_b64 v[6:7], v6, v[9:10]
	v_and_b32_e32 v6, 7, v6
; %bb.2786:                             ;   in Loop: Header=BB464_1567 Depth=1
	s_or_b32 exec_lo, exec_lo, s15
	v_lshlrev_b32_e32 v7, 16, v2
	s_delay_alu instid0(VALU_DEP_2) | instskip(SKIP_1) | instid1(VALU_DEP_3)
	v_lshlrev_b32_e32 v6, 20, v6
	v_lshl_add_u32 v9, v63, 23, 0x3c000000
	v_and_b32_e32 v7, 0x80000000, v7
	s_delay_alu instid0(VALU_DEP_1)
	v_or3_b32 v6, v6, v7, v9
.LBB464_2787:                           ;   in Loop: Header=BB464_1567 Depth=1
	s_or_b32 exec_lo, exec_lo, s13
.LBB464_2788:                           ;   in Loop: Header=BB464_1567 Depth=1
	s_delay_alu instid0(SALU_CYCLE_1)
	s_or_b32 exec_lo, exec_lo, s12
.LBB464_2789:                           ;   in Loop: Header=BB464_1567 Depth=1
	s_delay_alu instid0(SALU_CYCLE_1) | instskip(NEXT) | instid1(VALU_DEP_1)
	s_or_b32 exec_lo, exec_lo, s9
	v_mul_f32_e32 v6, v26, v6
                                        ; implicit-def: $vgpr63
	s_delay_alu instid0(VALU_DEP_1) | instskip(NEXT) | instid1(VALU_DEP_1)
	v_and_b32_e32 v7, 0x7f800000, v6
	v_cmp_ne_u32_e64 s0, 0x7f800000, v7
	s_delay_alu instid0(VALU_DEP_1) | instskip(NEXT) | instid1(SALU_CYCLE_1)
	s_and_saveexec_b32 s9, s0
	s_xor_b32 s0, exec_lo, s9
; %bb.2790:                             ;   in Loop: Header=BB464_1567 Depth=1
	v_bfe_u32 v7, v6, 16, 1
	s_delay_alu instid0(VALU_DEP_1)
	v_add3_u32 v63, v6, v7, 0x7fff
                                        ; implicit-def: $vgpr6
; %bb.2791:                             ;   in Loop: Header=BB464_1567 Depth=1
	s_and_not1_saveexec_b32 s9, s0
; %bb.2792:                             ;   in Loop: Header=BB464_1567 Depth=1
	v_and_b32_e32 v7, 0xffff, v6
	v_or_b32_e32 v9, 0x10000, v6
	s_delay_alu instid0(VALU_DEP_2) | instskip(NEXT) | instid1(VALU_DEP_1)
	v_cmp_eq_u32_e64 s0, 0, v7
	v_cndmask_b32_e64 v63, v9, v6, s0
; %bb.2793:                             ;   in Loop: Header=BB464_1567 Depth=1
	s_or_b32 exec_lo, exec_lo, s9
	v_lshrrev_b32_e32 v72, 16, v2
	s_mov_b32 s9, exec_lo
	s_delay_alu instid0(VALU_DEP_1) | instskip(NEXT) | instid1(VALU_DEP_1)
	v_dual_mov_b32 v6, 0 :: v_dual_and_b32 v7, 0xff, v72
	v_cmpx_ne_u16_e32 0, v7
	s_cbranch_execz .LBB464_2801
; %bb.2794:                             ;   in Loop: Header=BB464_1567 Depth=1
	v_bfrev_b32_e32 v6, 1
	s_mov_b32 s12, exec_lo
	v_cmpx_ne_u16_e32 0x80, v7
	s_cbranch_execz .LBB464_2800
; %bb.2795:                             ;   in Loop: Header=BB464_1567 Depth=1
	v_bfe_u32 v7, v2, 16, 7
	v_mov_b32_e32 v6, 0x7f800001
	s_mov_b32 s13, exec_lo
	s_delay_alu instid0(VALU_DEP_2)
	v_cmpx_ne_u32_e32 0x7f, v7
	s_cbranch_execz .LBB464_2799
; %bb.2796:                             ;   in Loop: Header=BB464_1567 Depth=1
	v_and_b32_e32 v9, 7, v72
	v_lshrrev_b32_e32 v73, 3, v7
	v_cmp_gt_u32_e64 s0, 8, v7
	s_delay_alu instid0(VALU_DEP_3) | instskip(NEXT) | instid1(VALU_DEP_2)
	v_dual_mov_b32 v6, v9 :: v_dual_mov_b32 v7, v10
	s_and_saveexec_b32 s15, s0
; %bb.2797:                             ;   in Loop: Header=BB464_1567 Depth=1
	v_clz_i32_u32_e32 v6, v9
	s_delay_alu instid0(VALU_DEP_1) | instskip(NEXT) | instid1(VALU_DEP_1)
	v_min_u32_e32 v73, 32, v6
	v_subrev_nc_u32_e32 v6, 28, v73
	v_sub_nc_u32_e32 v73, 29, v73
	s_delay_alu instid0(VALU_DEP_2) | instskip(NEXT) | instid1(VALU_DEP_1)
	v_lshlrev_b64 v[6:7], v6, v[9:10]
	v_and_b32_e32 v6, 7, v6
; %bb.2798:                             ;   in Loop: Header=BB464_1567 Depth=1
	s_or_b32 exec_lo, exec_lo, s15
	v_lshlrev_b32_e32 v7, 24, v72
	s_delay_alu instid0(VALU_DEP_2) | instskip(SKIP_1) | instid1(VALU_DEP_3)
	v_lshlrev_b32_e32 v6, 20, v6
	v_lshl_add_u32 v9, v73, 23, 0x3c000000
	v_and_b32_e32 v7, 0x80000000, v7
	s_delay_alu instid0(VALU_DEP_1)
	v_or3_b32 v6, v6, v7, v9
.LBB464_2799:                           ;   in Loop: Header=BB464_1567 Depth=1
	s_or_b32 exec_lo, exec_lo, s13
.LBB464_2800:                           ;   in Loop: Header=BB464_1567 Depth=1
	s_delay_alu instid0(SALU_CYCLE_1)
	s_or_b32 exec_lo, exec_lo, s12
.LBB464_2801:                           ;   in Loop: Header=BB464_1567 Depth=1
	s_delay_alu instid0(SALU_CYCLE_1) | instskip(NEXT) | instid1(VALU_DEP_1)
	s_or_b32 exec_lo, exec_lo, s9
	v_mul_f32_e32 v6, v26, v6
                                        ; implicit-def: $vgpr72
	s_delay_alu instid0(VALU_DEP_1) | instskip(NEXT) | instid1(VALU_DEP_1)
	v_and_b32_e32 v7, 0x7f800000, v6
	v_cmp_ne_u32_e64 s0, 0x7f800000, v7
	s_delay_alu instid0(VALU_DEP_1) | instskip(NEXT) | instid1(SALU_CYCLE_1)
	s_and_saveexec_b32 s9, s0
	s_xor_b32 s0, exec_lo, s9
; %bb.2802:                             ;   in Loop: Header=BB464_1567 Depth=1
	v_bfe_u32 v7, v6, 16, 1
	s_delay_alu instid0(VALU_DEP_1)
	v_add3_u32 v72, v6, v7, 0x7fff
                                        ; implicit-def: $vgpr6
; %bb.2803:                             ;   in Loop: Header=BB464_1567 Depth=1
	s_and_not1_saveexec_b32 s9, s0
; %bb.2804:                             ;   in Loop: Header=BB464_1567 Depth=1
	v_and_b32_e32 v7, 0xffff, v6
	v_or_b32_e32 v9, 0x10000, v6
	s_delay_alu instid0(VALU_DEP_2) | instskip(NEXT) | instid1(VALU_DEP_1)
	v_cmp_eq_u32_e64 s0, 0, v7
	v_cndmask_b32_e64 v72, v9, v6, s0
; %bb.2805:                             ;   in Loop: Header=BB464_1567 Depth=1
	s_or_b32 exec_lo, exec_lo, s9
	v_mov_b32_e32 v6, 0
	s_mov_b32 s9, exec_lo
	v_cmpx_lt_u32_e32 0xffffff, v2
	s_cbranch_execz .LBB464_2813
; %bb.2806:                             ;   in Loop: Header=BB464_1567 Depth=1
	v_lshrrev_b32_e32 v73, 24, v2
	v_bfrev_b32_e32 v6, 1
	s_mov_b32 s12, exec_lo
	s_delay_alu instid0(VALU_DEP_2)
	v_cmpx_ne_u32_e32 0x80, v73
	s_cbranch_execz .LBB464_2812
; %bb.2807:                             ;   in Loop: Header=BB464_1567 Depth=1
	v_bfe_u32 v7, v2, 24, 7
	v_mov_b32_e32 v6, 0x7f800001
	s_mov_b32 s13, exec_lo
	s_delay_alu instid0(VALU_DEP_2)
	v_cmpx_ne_u32_e32 0x7f, v7
	s_cbranch_execz .LBB464_2811
; %bb.2808:                             ;   in Loop: Header=BB464_1567 Depth=1
	v_and_b32_e32 v9, 7, v73
	v_lshrrev_b32_e32 v74, 3, v7
	v_cmp_gt_u32_e64 s0, 8, v7
	s_delay_alu instid0(VALU_DEP_3) | instskip(NEXT) | instid1(VALU_DEP_2)
	v_dual_mov_b32 v6, v9 :: v_dual_mov_b32 v7, v10
	s_and_saveexec_b32 s15, s0
; %bb.2809:                             ;   in Loop: Header=BB464_1567 Depth=1
	v_clz_i32_u32_e32 v6, v9
	s_delay_alu instid0(VALU_DEP_1) | instskip(NEXT) | instid1(VALU_DEP_1)
	v_min_u32_e32 v74, 32, v6
	v_subrev_nc_u32_e32 v6, 28, v74
	v_sub_nc_u32_e32 v74, 29, v74
	s_delay_alu instid0(VALU_DEP_2) | instskip(NEXT) | instid1(VALU_DEP_1)
	v_lshlrev_b64 v[6:7], v6, v[9:10]
	v_and_b32_e32 v6, 7, v6
; %bb.2810:                             ;   in Loop: Header=BB464_1567 Depth=1
	s_or_b32 exec_lo, exec_lo, s15
	v_lshlrev_b32_e32 v7, 24, v73
	s_delay_alu instid0(VALU_DEP_2) | instskip(SKIP_1) | instid1(VALU_DEP_3)
	v_lshlrev_b32_e32 v6, 20, v6
	v_lshl_add_u32 v9, v74, 23, 0x3c000000
	v_and_b32_e32 v7, 0x80000000, v7
	s_delay_alu instid0(VALU_DEP_1)
	v_or3_b32 v6, v6, v7, v9
.LBB464_2811:                           ;   in Loop: Header=BB464_1567 Depth=1
	s_or_b32 exec_lo, exec_lo, s13
.LBB464_2812:                           ;   in Loop: Header=BB464_1567 Depth=1
	s_delay_alu instid0(SALU_CYCLE_1)
	s_or_b32 exec_lo, exec_lo, s12
.LBB464_2813:                           ;   in Loop: Header=BB464_1567 Depth=1
	s_delay_alu instid0(SALU_CYCLE_1) | instskip(NEXT) | instid1(VALU_DEP_1)
	s_or_b32 exec_lo, exec_lo, s9
	v_mul_f32_e32 v6, v26, v6
                                        ; implicit-def: $vgpr73
	s_delay_alu instid0(VALU_DEP_1) | instskip(NEXT) | instid1(VALU_DEP_1)
	v_and_b32_e32 v7, 0x7f800000, v6
	v_cmp_ne_u32_e64 s0, 0x7f800000, v7
	s_delay_alu instid0(VALU_DEP_1) | instskip(NEXT) | instid1(SALU_CYCLE_1)
	s_and_saveexec_b32 s9, s0
	s_xor_b32 s0, exec_lo, s9
; %bb.2814:                             ;   in Loop: Header=BB464_1567 Depth=1
	v_bfe_u32 v7, v6, 16, 1
	s_delay_alu instid0(VALU_DEP_1)
	v_add3_u32 v73, v6, v7, 0x7fff
                                        ; implicit-def: $vgpr6
; %bb.2815:                             ;   in Loop: Header=BB464_1567 Depth=1
	s_and_not1_saveexec_b32 s9, s0
; %bb.2816:                             ;   in Loop: Header=BB464_1567 Depth=1
	v_and_b32_e32 v7, 0xffff, v6
	v_or_b32_e32 v9, 0x10000, v6
	s_delay_alu instid0(VALU_DEP_2) | instskip(NEXT) | instid1(VALU_DEP_1)
	v_cmp_eq_u32_e64 s0, 0, v7
	v_cndmask_b32_e64 v73, v9, v6, s0
; %bb.2817:                             ;   in Loop: Header=BB464_1567 Depth=1
	s_or_b32 exec_lo, exec_lo, s9
	v_dual_mov_b32 v6, 0 :: v_dual_and_b32 v7, 0xff, v3
	v_mov_b32_e32 v9, v3
	s_mov_b32 s9, exec_lo
	s_delay_alu instid0(VALU_DEP_2)
	v_cmpx_ne_u16_e32 0, v7
	s_cbranch_execz .LBB464_2825
; %bb.2818:                             ;   in Loop: Header=BB464_1567 Depth=1
	v_bfrev_b32_e32 v6, 1
	s_mov_b32 s12, exec_lo
	v_cmpx_ne_u16_e32 0x80, v7
	s_cbranch_execz .LBB464_2824
; %bb.2819:                             ;   in Loop: Header=BB464_1567 Depth=1
	v_and_b32_e32 v7, 0x7f, v3
	v_mov_b32_e32 v6, 0x7f800001
	s_mov_b32 s13, exec_lo
	s_delay_alu instid0(VALU_DEP_2)
	v_cmpx_ne_u32_e32 0x7f, v7
	s_cbranch_execz .LBB464_2823
; %bb.2820:                             ;   in Loop: Header=BB464_1567 Depth=1
	v_lshrrev_b32_e32 v74, 3, v7
	v_cmp_gt_u32_e64 s0, 8, v7
	v_dual_mov_b32 v6, v9 :: v_dual_mov_b32 v7, v10
	s_delay_alu instid0(VALU_DEP_2)
	s_and_saveexec_b32 s15, s0
; %bb.2821:                             ;   in Loop: Header=BB464_1567 Depth=1
	v_and_b32_e32 v6, 7, v3
	s_delay_alu instid0(VALU_DEP_1) | instskip(NEXT) | instid1(VALU_DEP_1)
	v_clz_i32_u32_e32 v6, v6
	v_min_u32_e32 v74, 32, v6
	s_delay_alu instid0(VALU_DEP_1) | instskip(SKIP_1) | instid1(VALU_DEP_2)
	v_subrev_nc_u32_e32 v6, 28, v74
	v_sub_nc_u32_e32 v74, 29, v74
	v_lshlrev_b64 v[6:7], v6, v[9:10]
; %bb.2822:                             ;   in Loop: Header=BB464_1567 Depth=1
	s_or_b32 exec_lo, exec_lo, s15
	s_delay_alu instid0(VALU_DEP_1) | instskip(SKIP_2) | instid1(VALU_DEP_3)
	v_lshlrev_b32_e32 v6, 20, v6
	v_lshlrev_b32_e32 v7, 24, v9
	v_lshl_add_u32 v74, v74, 23, 0x3c000000
	v_and_b32_e32 v6, 0x700000, v6
	s_delay_alu instid0(VALU_DEP_3) | instskip(NEXT) | instid1(VALU_DEP_1)
	v_and_b32_e32 v7, 0x80000000, v7
	v_or3_b32 v6, v6, v7, v74
.LBB464_2823:                           ;   in Loop: Header=BB464_1567 Depth=1
	s_or_b32 exec_lo, exec_lo, s13
.LBB464_2824:                           ;   in Loop: Header=BB464_1567 Depth=1
	s_delay_alu instid0(SALU_CYCLE_1)
	s_or_b32 exec_lo, exec_lo, s12
.LBB464_2825:                           ;   in Loop: Header=BB464_1567 Depth=1
	s_delay_alu instid0(SALU_CYCLE_1) | instskip(NEXT) | instid1(VALU_DEP_1)
	s_or_b32 exec_lo, exec_lo, s9
	v_mul_f32_e32 v6, v26, v6
                                        ; implicit-def: $vgpr74
	s_delay_alu instid0(VALU_DEP_1) | instskip(NEXT) | instid1(VALU_DEP_1)
	v_and_b32_e32 v7, 0x7f800000, v6
	v_cmp_ne_u32_e64 s0, 0x7f800000, v7
	s_delay_alu instid0(VALU_DEP_1) | instskip(NEXT) | instid1(SALU_CYCLE_1)
	s_and_saveexec_b32 s9, s0
	s_xor_b32 s0, exec_lo, s9
; %bb.2826:                             ;   in Loop: Header=BB464_1567 Depth=1
	v_bfe_u32 v7, v6, 16, 1
	s_delay_alu instid0(VALU_DEP_1)
	v_add3_u32 v74, v6, v7, 0x7fff
                                        ; implicit-def: $vgpr6
; %bb.2827:                             ;   in Loop: Header=BB464_1567 Depth=1
	s_and_not1_saveexec_b32 s9, s0
; %bb.2828:                             ;   in Loop: Header=BB464_1567 Depth=1
	v_and_b32_e32 v7, 0xffff, v6
	v_or_b32_e32 v74, 0x10000, v6
	s_delay_alu instid0(VALU_DEP_2) | instskip(NEXT) | instid1(VALU_DEP_1)
	v_cmp_eq_u32_e64 s0, 0, v7
	v_cndmask_b32_e64 v74, v74, v6, s0
; %bb.2829:                             ;   in Loop: Header=BB464_1567 Depth=1
	s_or_b32 exec_lo, exec_lo, s9
	v_lshrrev_b16 v7, 8, v9
	v_mov_b32_e32 v6, 0
	s_mov_b32 s9, exec_lo
	s_delay_alu instid0(VALU_DEP_2)
	v_cmpx_ne_u16_e32 0, v7
	s_cbranch_execz .LBB464_2837
; %bb.2830:                             ;   in Loop: Header=BB464_1567 Depth=1
	v_bfrev_b32_e32 v6, 1
	s_mov_b32 s12, exec_lo
	v_cmpx_ne_u16_e32 0x80, v7
	s_cbranch_execz .LBB464_2836
; %bb.2831:                             ;   in Loop: Header=BB464_1567 Depth=1
	v_and_b32_e32 v7, 0xffff, v7
	v_mov_b32_e32 v6, 0x7f800001
	s_mov_b32 s13, exec_lo
	s_delay_alu instid0(VALU_DEP_2) | instskip(NEXT) | instid1(VALU_DEP_1)
	v_and_b32_e32 v76, 0x7f, v7
	v_cmpx_ne_u32_e32 0x7f, v76
	s_cbranch_execz .LBB464_2835
; %bb.2832:                             ;   in Loop: Header=BB464_1567 Depth=1
	v_dual_mov_b32 v7, v10 :: v_dual_and_b32 v6, 7, v7
	v_lshrrev_b32_e32 v75, 3, v76
	s_mov_b32 s15, exec_lo
	v_cmpx_gt_u32_e32 8, v76
; %bb.2833:                             ;   in Loop: Header=BB464_1567 Depth=1
	s_delay_alu instid0(VALU_DEP_3) | instskip(NEXT) | instid1(VALU_DEP_1)
	v_clz_i32_u32_e32 v75, v6
	v_min_u32_e32 v75, 32, v75
	s_delay_alu instid0(VALU_DEP_1) | instskip(SKIP_1) | instid1(VALU_DEP_2)
	v_subrev_nc_u32_e32 v76, 28, v75
	v_sub_nc_u32_e32 v75, 29, v75
	v_lshlrev_b64 v[6:7], v76, v[6:7]
	s_delay_alu instid0(VALU_DEP_1)
	v_and_b32_e32 v6, 7, v6
; %bb.2834:                             ;   in Loop: Header=BB464_1567 Depth=1
	s_or_b32 exec_lo, exec_lo, s15
	v_lshlrev_b32_e32 v7, 16, v9
	s_delay_alu instid0(VALU_DEP_2) | instskip(SKIP_1) | instid1(VALU_DEP_3)
	v_lshlrev_b32_e32 v6, 20, v6
	v_lshl_add_u32 v9, v75, 23, 0x3c000000
	v_and_b32_e32 v7, 0x80000000, v7
	s_delay_alu instid0(VALU_DEP_1)
	v_or3_b32 v6, v6, v7, v9
.LBB464_2835:                           ;   in Loop: Header=BB464_1567 Depth=1
	s_or_b32 exec_lo, exec_lo, s13
.LBB464_2836:                           ;   in Loop: Header=BB464_1567 Depth=1
	s_delay_alu instid0(SALU_CYCLE_1)
	s_or_b32 exec_lo, exec_lo, s12
.LBB464_2837:                           ;   in Loop: Header=BB464_1567 Depth=1
	s_delay_alu instid0(SALU_CYCLE_1) | instskip(NEXT) | instid1(VALU_DEP_1)
	s_or_b32 exec_lo, exec_lo, s9
	v_mul_f32_e32 v6, v26, v6
                                        ; implicit-def: $vgpr75
	s_delay_alu instid0(VALU_DEP_1) | instskip(NEXT) | instid1(VALU_DEP_1)
	v_and_b32_e32 v7, 0x7f800000, v6
	v_cmp_ne_u32_e64 s0, 0x7f800000, v7
	s_delay_alu instid0(VALU_DEP_1) | instskip(NEXT) | instid1(SALU_CYCLE_1)
	s_and_saveexec_b32 s9, s0
	s_xor_b32 s0, exec_lo, s9
; %bb.2838:                             ;   in Loop: Header=BB464_1567 Depth=1
	v_bfe_u32 v7, v6, 16, 1
	s_delay_alu instid0(VALU_DEP_1)
	v_add3_u32 v75, v6, v7, 0x7fff
                                        ; implicit-def: $vgpr6
; %bb.2839:                             ;   in Loop: Header=BB464_1567 Depth=1
	s_and_not1_saveexec_b32 s9, s0
; %bb.2840:                             ;   in Loop: Header=BB464_1567 Depth=1
	v_and_b32_e32 v7, 0xffff, v6
	v_or_b32_e32 v9, 0x10000, v6
	s_delay_alu instid0(VALU_DEP_2) | instskip(NEXT) | instid1(VALU_DEP_1)
	v_cmp_eq_u32_e64 s0, 0, v7
	v_cndmask_b32_e64 v75, v9, v6, s0
; %bb.2841:                             ;   in Loop: Header=BB464_1567 Depth=1
	s_or_b32 exec_lo, exec_lo, s9
	v_lshrrev_b32_e32 v76, 16, v3
	s_mov_b32 s9, exec_lo
	s_delay_alu instid0(VALU_DEP_1) | instskip(NEXT) | instid1(VALU_DEP_1)
	v_dual_mov_b32 v6, 0 :: v_dual_and_b32 v7, 0xff, v76
	v_cmpx_ne_u16_e32 0, v7
	s_cbranch_execz .LBB464_2849
; %bb.2842:                             ;   in Loop: Header=BB464_1567 Depth=1
	v_bfrev_b32_e32 v6, 1
	s_mov_b32 s12, exec_lo
	v_cmpx_ne_u16_e32 0x80, v7
	s_cbranch_execz .LBB464_2848
; %bb.2843:                             ;   in Loop: Header=BB464_1567 Depth=1
	v_bfe_u32 v7, v3, 16, 7
	v_mov_b32_e32 v6, 0x7f800001
	s_mov_b32 s13, exec_lo
	s_delay_alu instid0(VALU_DEP_2)
	v_cmpx_ne_u32_e32 0x7f, v7
	s_cbranch_execz .LBB464_2847
; %bb.2844:                             ;   in Loop: Header=BB464_1567 Depth=1
	v_and_b32_e32 v9, 7, v76
	v_lshrrev_b32_e32 v77, 3, v7
	v_cmp_gt_u32_e64 s0, 8, v7
	s_delay_alu instid0(VALU_DEP_3) | instskip(NEXT) | instid1(VALU_DEP_2)
	v_dual_mov_b32 v6, v9 :: v_dual_mov_b32 v7, v10
	s_and_saveexec_b32 s15, s0
; %bb.2845:                             ;   in Loop: Header=BB464_1567 Depth=1
	v_clz_i32_u32_e32 v6, v9
	s_delay_alu instid0(VALU_DEP_1) | instskip(NEXT) | instid1(VALU_DEP_1)
	v_min_u32_e32 v77, 32, v6
	v_subrev_nc_u32_e32 v6, 28, v77
	v_sub_nc_u32_e32 v77, 29, v77
	s_delay_alu instid0(VALU_DEP_2) | instskip(NEXT) | instid1(VALU_DEP_1)
	v_lshlrev_b64 v[6:7], v6, v[9:10]
	v_and_b32_e32 v6, 7, v6
; %bb.2846:                             ;   in Loop: Header=BB464_1567 Depth=1
	s_or_b32 exec_lo, exec_lo, s15
	v_lshlrev_b32_e32 v7, 24, v76
	s_delay_alu instid0(VALU_DEP_2) | instskip(SKIP_1) | instid1(VALU_DEP_3)
	v_lshlrev_b32_e32 v6, 20, v6
	v_lshl_add_u32 v9, v77, 23, 0x3c000000
	v_and_b32_e32 v7, 0x80000000, v7
	s_delay_alu instid0(VALU_DEP_1)
	v_or3_b32 v6, v6, v7, v9
.LBB464_2847:                           ;   in Loop: Header=BB464_1567 Depth=1
	s_or_b32 exec_lo, exec_lo, s13
.LBB464_2848:                           ;   in Loop: Header=BB464_1567 Depth=1
	s_delay_alu instid0(SALU_CYCLE_1)
	s_or_b32 exec_lo, exec_lo, s12
.LBB464_2849:                           ;   in Loop: Header=BB464_1567 Depth=1
	s_delay_alu instid0(SALU_CYCLE_1) | instskip(NEXT) | instid1(VALU_DEP_1)
	s_or_b32 exec_lo, exec_lo, s9
	v_mul_f32_e32 v6, v26, v6
                                        ; implicit-def: $vgpr76
	s_delay_alu instid0(VALU_DEP_1) | instskip(NEXT) | instid1(VALU_DEP_1)
	v_and_b32_e32 v7, 0x7f800000, v6
	v_cmp_ne_u32_e64 s0, 0x7f800000, v7
	s_delay_alu instid0(VALU_DEP_1) | instskip(NEXT) | instid1(SALU_CYCLE_1)
	s_and_saveexec_b32 s9, s0
	s_xor_b32 s0, exec_lo, s9
; %bb.2850:                             ;   in Loop: Header=BB464_1567 Depth=1
	v_bfe_u32 v7, v6, 16, 1
	s_delay_alu instid0(VALU_DEP_1)
	v_add3_u32 v76, v6, v7, 0x7fff
                                        ; implicit-def: $vgpr6
; %bb.2851:                             ;   in Loop: Header=BB464_1567 Depth=1
	s_and_not1_saveexec_b32 s9, s0
; %bb.2852:                             ;   in Loop: Header=BB464_1567 Depth=1
	v_and_b32_e32 v7, 0xffff, v6
	v_or_b32_e32 v9, 0x10000, v6
	s_delay_alu instid0(VALU_DEP_2) | instskip(NEXT) | instid1(VALU_DEP_1)
	v_cmp_eq_u32_e64 s0, 0, v7
	v_cndmask_b32_e64 v76, v9, v6, s0
; %bb.2853:                             ;   in Loop: Header=BB464_1567 Depth=1
	s_or_b32 exec_lo, exec_lo, s9
	v_cmp_lt_u64_e64 s0, s[2:3], v[2:3]
	v_mov_b32_e32 v2, 0
	s_delay_alu instid0(VALU_DEP_2)
	s_and_saveexec_b32 s9, s0
	s_cbranch_execz .LBB464_2861
; %bb.2854:                             ;   in Loop: Header=BB464_1567 Depth=1
	v_lshrrev_b32_e32 v6, 24, v3
	v_bfrev_b32_e32 v2, 1
	s_mov_b32 s12, exec_lo
	s_delay_alu instid0(VALU_DEP_2)
	v_cmpx_ne_u32_e32 0x80, v6
	s_cbranch_execz .LBB464_2860
; %bb.2855:                             ;   in Loop: Header=BB464_1567 Depth=1
	v_bfe_u32 v3, v3, 24, 7
	v_mov_b32_e32 v2, 0x7f800001
	s_mov_b32 s13, exec_lo
	s_delay_alu instid0(VALU_DEP_2)
	v_cmpx_ne_u32_e32 0x7f, v3
	s_cbranch_execz .LBB464_2859
; %bb.2856:                             ;   in Loop: Header=BB464_1567 Depth=1
	v_and_b32_e32 v9, 7, v6
	v_lshrrev_b32_e32 v7, 3, v3
	v_cmp_gt_u32_e64 s0, 8, v3
	s_delay_alu instid0(VALU_DEP_3) | instskip(NEXT) | instid1(VALU_DEP_2)
	v_dual_mov_b32 v2, v9 :: v_dual_mov_b32 v3, v10
	s_and_saveexec_b32 s15, s0
; %bb.2857:                             ;   in Loop: Header=BB464_1567 Depth=1
	v_clz_i32_u32_e32 v2, v9
	s_delay_alu instid0(VALU_DEP_1) | instskip(NEXT) | instid1(VALU_DEP_1)
	v_min_u32_e32 v7, 32, v2
	v_subrev_nc_u32_e32 v2, 28, v7
	v_sub_nc_u32_e32 v7, 29, v7
	s_delay_alu instid0(VALU_DEP_2) | instskip(NEXT) | instid1(VALU_DEP_1)
	v_lshlrev_b64 v[2:3], v2, v[9:10]
	v_and_b32_e32 v2, 7, v2
; %bb.2858:                             ;   in Loop: Header=BB464_1567 Depth=1
	s_or_b32 exec_lo, exec_lo, s15
	v_lshlrev_b32_e32 v3, 24, v6
	s_delay_alu instid0(VALU_DEP_2) | instskip(SKIP_1) | instid1(VALU_DEP_3)
	v_lshlrev_b32_e32 v2, 20, v2
	v_lshl_add_u32 v6, v7, 23, 0x3c000000
	v_and_b32_e32 v3, 0x80000000, v3
	s_delay_alu instid0(VALU_DEP_1)
	v_or3_b32 v2, v2, v3, v6
.LBB464_2859:                           ;   in Loop: Header=BB464_1567 Depth=1
	s_or_b32 exec_lo, exec_lo, s13
.LBB464_2860:                           ;   in Loop: Header=BB464_1567 Depth=1
	s_delay_alu instid0(SALU_CYCLE_1)
	s_or_b32 exec_lo, exec_lo, s12
.LBB464_2861:                           ;   in Loop: Header=BB464_1567 Depth=1
	s_delay_alu instid0(SALU_CYCLE_1) | instskip(NEXT) | instid1(VALU_DEP_1)
	s_or_b32 exec_lo, exec_lo, s9
	v_mul_f32_e32 v3, v26, v2
	s_delay_alu instid0(VALU_DEP_1) | instskip(NEXT) | instid1(VALU_DEP_1)
	v_and_b32_e32 v2, 0x7f800000, v3
	v_cmp_ne_u32_e64 s0, 0x7f800000, v2
                                        ; implicit-def: $vgpr2
	s_delay_alu instid0(VALU_DEP_1) | instskip(NEXT) | instid1(SALU_CYCLE_1)
	s_and_saveexec_b32 s9, s0
	s_xor_b32 s0, exec_lo, s9
; %bb.2862:                             ;   in Loop: Header=BB464_1567 Depth=1
	v_bfe_u32 v2, v3, 16, 1
	s_delay_alu instid0(VALU_DEP_1)
	v_add3_u32 v2, v3, v2, 0x7fff
                                        ; implicit-def: $vgpr3
; %bb.2863:                             ;   in Loop: Header=BB464_1567 Depth=1
	s_and_not1_saveexec_b32 s9, s0
; %bb.2864:                             ;   in Loop: Header=BB464_1567 Depth=1
	v_and_b32_e32 v2, 0xffff, v3
	v_or_b32_e32 v6, 0x10000, v3
	s_delay_alu instid0(VALU_DEP_2) | instskip(NEXT) | instid1(VALU_DEP_1)
	v_cmp_eq_u32_e64 s0, 0, v2
	v_cndmask_b32_e64 v2, v6, v3, s0
; %bb.2865:                             ;   in Loop: Header=BB464_1567 Depth=1
	s_or_b32 exec_lo, exec_lo, s9
	v_lshrrev_b32_e32 v6, 16, v75
	v_lshrrev_b32_e32 v7, 16, v74
	;; [unrolled: 1-line block ×8, first 2 shown]
	s_and_saveexec_b32 s9, vcc_lo
	s_cbranch_execz .LBB464_2867
; %bb.2866:                             ;   in Loop: Header=BB464_1567 Depth=1
	v_cmp_lt_i32_e64 s0, v68, v36
	s_delay_alu instid0(VALU_DEP_1) | instskip(SKIP_1) | instid1(VALU_DEP_1)
	v_cndmask_b32_e64 v62, 0, v62, s0
	v_cmp_lt_i32_e64 s0, v82, v36
	v_cndmask_b32_e64 v63, 0, v63, s0
	v_cmp_lt_i32_e64 s0, v81, v36
	s_delay_alu instid0(VALU_DEP_1) | instskip(SKIP_1) | instid1(VALU_DEP_1)
	v_cndmask_b32_e64 v72, 0, v72, s0
	v_cmp_lt_i32_e64 s0, v80, v36
	v_cndmask_b32_e64 v9, 0, v9, s0
	;; [unrolled: 5-line block ×4, first 2 shown]
.LBB464_2867:                           ;   in Loop: Header=BB464_1567 Depth=1
	s_or_b32 exec_lo, exec_lo, s9
	v_lshlrev_b32_e32 v62, 16, v62
	s_delay_alu instid0(VALU_DEP_1) | instskip(NEXT) | instid1(VALU_DEP_1)
	v_mul_f32_e32 v73, v83, v62
	v_and_b32_e32 v62, 0x7f800000, v73
	s_delay_alu instid0(VALU_DEP_1) | instskip(NEXT) | instid1(VALU_DEP_1)
	v_cmp_ne_u32_e64 s0, 0x7f800000, v62
                                        ; implicit-def: $vgpr62
	s_and_saveexec_b32 s9, s0
	s_delay_alu instid0(SALU_CYCLE_1)
	s_xor_b32 s0, exec_lo, s9
; %bb.2868:                             ;   in Loop: Header=BB464_1567 Depth=1
	v_bfe_u32 v62, v73, 16, 1
	s_delay_alu instid0(VALU_DEP_1)
	v_add3_u32 v62, v73, v62, 0x7fff
                                        ; implicit-def: $vgpr73
; %bb.2869:                             ;   in Loop: Header=BB464_1567 Depth=1
	s_and_not1_saveexec_b32 s9, s0
; %bb.2870:                             ;   in Loop: Header=BB464_1567 Depth=1
	v_and_b32_e32 v62, 0xffff, v73
	v_or_b32_e32 v74, 0x10000, v73
	s_delay_alu instid0(VALU_DEP_2) | instskip(NEXT) | instid1(VALU_DEP_1)
	v_cmp_eq_u32_e64 s0, 0, v62
	v_cndmask_b32_e64 v62, v74, v73, s0
; %bb.2871:                             ;   in Loop: Header=BB464_1567 Depth=1
	s_or_b32 exec_lo, exec_lo, s9
	v_lshlrev_b32_e32 v63, 16, v63
	s_delay_alu instid0(VALU_DEP_1) | instskip(NEXT) | instid1(VALU_DEP_1)
	v_mul_f32_e32 v73, v84, v63
	v_and_b32_e32 v63, 0x7f800000, v73
	s_delay_alu instid0(VALU_DEP_1) | instskip(NEXT) | instid1(VALU_DEP_1)
	v_cmp_ne_u32_e64 s0, 0x7f800000, v63
                                        ; implicit-def: $vgpr63
	s_and_saveexec_b32 s9, s0
	s_delay_alu instid0(SALU_CYCLE_1)
	s_xor_b32 s0, exec_lo, s9
; %bb.2872:                             ;   in Loop: Header=BB464_1567 Depth=1
	v_bfe_u32 v63, v73, 16, 1
	s_delay_alu instid0(VALU_DEP_1)
	v_add3_u32 v63, v73, v63, 0x7fff
                                        ; implicit-def: $vgpr73
; %bb.2873:                             ;   in Loop: Header=BB464_1567 Depth=1
	s_and_not1_saveexec_b32 s9, s0
; %bb.2874:                             ;   in Loop: Header=BB464_1567 Depth=1
	v_and_b32_e32 v63, 0xffff, v73
	v_or_b32_e32 v74, 0x10000, v73
	s_delay_alu instid0(VALU_DEP_2) | instskip(NEXT) | instid1(VALU_DEP_1)
	v_cmp_eq_u32_e64 s0, 0, v63
	v_cndmask_b32_e64 v63, v74, v73, s0
; %bb.2875:                             ;   in Loop: Header=BB464_1567 Depth=1
	s_or_b32 exec_lo, exec_lo, s9
	v_lshlrev_b32_e32 v72, 16, v72
	s_delay_alu instid0(VALU_DEP_1) | instskip(NEXT) | instid1(VALU_DEP_1)
	v_mul_f32_e32 v73, v85, v72
	v_and_b32_e32 v72, 0x7f800000, v73
	s_delay_alu instid0(VALU_DEP_1) | instskip(NEXT) | instid1(VALU_DEP_1)
	v_cmp_ne_u32_e64 s0, 0x7f800000, v72
                                        ; implicit-def: $vgpr72
	s_and_saveexec_b32 s9, s0
	s_delay_alu instid0(SALU_CYCLE_1)
	s_xor_b32 s0, exec_lo, s9
; %bb.2876:                             ;   in Loop: Header=BB464_1567 Depth=1
	v_bfe_u32 v72, v73, 16, 1
	s_delay_alu instid0(VALU_DEP_1)
	v_add3_u32 v72, v73, v72, 0x7fff
                                        ; implicit-def: $vgpr73
; %bb.2877:                             ;   in Loop: Header=BB464_1567 Depth=1
	s_and_not1_saveexec_b32 s9, s0
; %bb.2878:                             ;   in Loop: Header=BB464_1567 Depth=1
	v_and_b32_e32 v72, 0xffff, v73
	v_or_b32_e32 v74, 0x10000, v73
	s_delay_alu instid0(VALU_DEP_2) | instskip(NEXT) | instid1(VALU_DEP_1)
	v_cmp_eq_u32_e64 s0, 0, v72
	v_cndmask_b32_e64 v72, v74, v73, s0
; %bb.2879:                             ;   in Loop: Header=BB464_1567 Depth=1
	s_or_b32 exec_lo, exec_lo, s9
	v_lshlrev_b32_e32 v9, 16, v9
	s_delay_alu instid0(VALU_DEP_1) | instskip(NEXT) | instid1(VALU_DEP_1)
	v_mul_f32_e32 v9, v86, v9
	v_and_b32_e32 v73, 0x7f800000, v9
	s_delay_alu instid0(VALU_DEP_1) | instskip(NEXT) | instid1(VALU_DEP_1)
	v_cmp_ne_u32_e64 s0, 0x7f800000, v73
                                        ; implicit-def: $vgpr73
	s_and_saveexec_b32 s9, s0
	s_delay_alu instid0(SALU_CYCLE_1)
	s_xor_b32 s0, exec_lo, s9
; %bb.2880:                             ;   in Loop: Header=BB464_1567 Depth=1
	v_bfe_u32 v73, v9, 16, 1
	s_delay_alu instid0(VALU_DEP_1)
	v_add3_u32 v73, v9, v73, 0x7fff
                                        ; implicit-def: $vgpr9
; %bb.2881:                             ;   in Loop: Header=BB464_1567 Depth=1
	s_and_not1_saveexec_b32 s9, s0
; %bb.2882:                             ;   in Loop: Header=BB464_1567 Depth=1
	v_and_b32_e32 v73, 0xffff, v9
	v_or_b32_e32 v74, 0x10000, v9
	s_delay_alu instid0(VALU_DEP_2) | instskip(NEXT) | instid1(VALU_DEP_1)
	v_cmp_eq_u32_e64 s0, 0, v73
	v_cndmask_b32_e64 v73, v74, v9, s0
; %bb.2883:                             ;   in Loop: Header=BB464_1567 Depth=1
	s_or_b32 exec_lo, exec_lo, s9
	v_lshlrev_b32_e32 v7, 16, v7
                                        ; implicit-def: $vgpr74
	s_delay_alu instid0(VALU_DEP_1) | instskip(NEXT) | instid1(VALU_DEP_1)
	v_mul_f32_e32 v7, v87, v7
	v_and_b32_e32 v9, 0x7f800000, v7
	s_delay_alu instid0(VALU_DEP_1) | instskip(NEXT) | instid1(VALU_DEP_1)
	v_cmp_ne_u32_e64 s0, 0x7f800000, v9
	s_and_saveexec_b32 s9, s0
	s_delay_alu instid0(SALU_CYCLE_1)
	s_xor_b32 s0, exec_lo, s9
; %bb.2884:                             ;   in Loop: Header=BB464_1567 Depth=1
	v_bfe_u32 v9, v7, 16, 1
	s_delay_alu instid0(VALU_DEP_1)
	v_add3_u32 v74, v7, v9, 0x7fff
                                        ; implicit-def: $vgpr7
; %bb.2885:                             ;   in Loop: Header=BB464_1567 Depth=1
	s_and_not1_saveexec_b32 s9, s0
; %bb.2886:                             ;   in Loop: Header=BB464_1567 Depth=1
	v_and_b32_e32 v9, 0xffff, v7
	v_or_b32_e32 v74, 0x10000, v7
	s_delay_alu instid0(VALU_DEP_2) | instskip(NEXT) | instid1(VALU_DEP_1)
	v_cmp_eq_u32_e64 s0, 0, v9
	v_cndmask_b32_e64 v74, v74, v7, s0
; %bb.2887:                             ;   in Loop: Header=BB464_1567 Depth=1
	s_or_b32 exec_lo, exec_lo, s9
	v_lshlrev_b32_e32 v6, 16, v6
                                        ; implicit-def: $vgpr75
	s_delay_alu instid0(VALU_DEP_1) | instskip(NEXT) | instid1(VALU_DEP_1)
	v_mul_f32_e32 v6, v96, v6
	v_and_b32_e32 v7, 0x7f800000, v6
	s_delay_alu instid0(VALU_DEP_1) | instskip(NEXT) | instid1(VALU_DEP_1)
	v_cmp_ne_u32_e64 s0, 0x7f800000, v7
	s_and_saveexec_b32 s9, s0
	s_delay_alu instid0(SALU_CYCLE_1)
	s_xor_b32 s0, exec_lo, s9
; %bb.2888:                             ;   in Loop: Header=BB464_1567 Depth=1
	v_bfe_u32 v7, v6, 16, 1
	s_delay_alu instid0(VALU_DEP_1)
	v_add3_u32 v75, v6, v7, 0x7fff
                                        ; implicit-def: $vgpr6
; %bb.2889:                             ;   in Loop: Header=BB464_1567 Depth=1
	s_and_not1_saveexec_b32 s9, s0
; %bb.2890:                             ;   in Loop: Header=BB464_1567 Depth=1
	v_and_b32_e32 v7, 0xffff, v6
	v_or_b32_e32 v9, 0x10000, v6
	s_delay_alu instid0(VALU_DEP_2) | instskip(NEXT) | instid1(VALU_DEP_1)
	v_cmp_eq_u32_e64 s0, 0, v7
	v_cndmask_b32_e64 v75, v9, v6, s0
; %bb.2891:                             ;   in Loop: Header=BB464_1567 Depth=1
	s_or_b32 exec_lo, exec_lo, s9
	v_lshlrev_b32_e32 v3, 16, v3
                                        ; implicit-def: $vgpr76
	s_delay_alu instid0(VALU_DEP_1) | instskip(NEXT) | instid1(VALU_DEP_1)
	v_mul_f32_e32 v3, v97, v3
	v_and_b32_e32 v6, 0x7f800000, v3
	s_delay_alu instid0(VALU_DEP_1) | instskip(NEXT) | instid1(VALU_DEP_1)
	v_cmp_ne_u32_e64 s0, 0x7f800000, v6
	s_and_saveexec_b32 s9, s0
	s_delay_alu instid0(SALU_CYCLE_1)
	s_xor_b32 s0, exec_lo, s9
; %bb.2892:                             ;   in Loop: Header=BB464_1567 Depth=1
	v_bfe_u32 v6, v3, 16, 1
	s_delay_alu instid0(VALU_DEP_1)
	v_add3_u32 v76, v3, v6, 0x7fff
                                        ; implicit-def: $vgpr3
; %bb.2893:                             ;   in Loop: Header=BB464_1567 Depth=1
	s_and_not1_saveexec_b32 s9, s0
; %bb.2894:                             ;   in Loop: Header=BB464_1567 Depth=1
	v_and_b32_e32 v6, 0xffff, v3
	v_or_b32_e32 v7, 0x10000, v3
	s_delay_alu instid0(VALU_DEP_2) | instskip(NEXT) | instid1(VALU_DEP_1)
	v_cmp_eq_u32_e64 s0, 0, v6
	v_cndmask_b32_e64 v76, v7, v3, s0
; %bb.2895:                             ;   in Loop: Header=BB464_1567 Depth=1
	s_or_b32 exec_lo, exec_lo, s9
	v_lshlrev_b32_e32 v2, 16, v2
                                        ; implicit-def: $vgpr77
	s_delay_alu instid0(VALU_DEP_1) | instskip(NEXT) | instid1(VALU_DEP_1)
	v_mul_f32_e32 v2, v98, v2
	v_and_b32_e32 v3, 0x7f800000, v2
	s_delay_alu instid0(VALU_DEP_1) | instskip(NEXT) | instid1(VALU_DEP_1)
	v_cmp_ne_u32_e64 s0, 0x7f800000, v3
	s_and_saveexec_b32 s9, s0
	s_delay_alu instid0(SALU_CYCLE_1)
	s_xor_b32 s0, exec_lo, s9
; %bb.2896:                             ;   in Loop: Header=BB464_1567 Depth=1
	v_bfe_u32 v3, v2, 16, 1
	s_delay_alu instid0(VALU_DEP_1)
	v_add3_u32 v77, v2, v3, 0x7fff
                                        ; implicit-def: $vgpr2
; %bb.2897:                             ;   in Loop: Header=BB464_1567 Depth=1
	s_and_not1_saveexec_b32 s9, s0
; %bb.2898:                             ;   in Loop: Header=BB464_1567 Depth=1
	v_and_b32_e32 v3, 0xffff, v2
	v_or_b32_e32 v6, 0x10000, v2
	s_delay_alu instid0(VALU_DEP_2) | instskip(NEXT) | instid1(VALU_DEP_1)
	v_cmp_eq_u32_e64 s0, 0, v3
	v_cndmask_b32_e64 v77, v6, v2, s0
; %bb.2899:                             ;   in Loop: Header=BB464_1567 Depth=1
	s_or_b32 exec_lo, exec_lo, s9
	flat_load_b64 v[2:3], v[0:1] offset:2560
	s_mov_b32 s9, exec_lo
	s_waitcnt vmcnt(0) lgkmcnt(0)
	v_dual_mov_b32 v6, 0 :: v_dual_and_b32 v7, 0xff, v2
	s_delay_alu instid0(VALU_DEP_1)
	v_cmpx_ne_u16_e32 0, v7
	s_cbranch_execz .LBB464_2907
; %bb.2900:                             ;   in Loop: Header=BB464_1567 Depth=1
	v_bfrev_b32_e32 v6, 1
	s_mov_b32 s12, exec_lo
	v_cmpx_ne_u16_e32 0x80, v7
	s_cbranch_execz .LBB464_2906
; %bb.2901:                             ;   in Loop: Header=BB464_1567 Depth=1
	v_and_b32_e32 v7, 0x7f, v2
	v_mov_b32_e32 v6, 0x7f800001
	s_mov_b32 s13, exec_lo
	s_delay_alu instid0(VALU_DEP_2)
	v_cmpx_ne_u32_e32 0x7f, v7
	s_cbranch_execz .LBB464_2905
; %bb.2902:                             ;   in Loop: Header=BB464_1567 Depth=1
	v_lshrrev_b32_e32 v9, 3, v7
	v_cmp_gt_u32_e64 s0, 8, v7
	v_dual_mov_b32 v7, v3 :: v_dual_mov_b32 v6, v2
	s_delay_alu instid0(VALU_DEP_2)
	s_and_saveexec_b32 s15, s0
; %bb.2903:                             ;   in Loop: Header=BB464_1567 Depth=1
	v_and_b32_e32 v6, 7, v2
	s_delay_alu instid0(VALU_DEP_1) | instskip(NEXT) | instid1(VALU_DEP_1)
	v_clz_i32_u32_e32 v6, v6
	v_min_u32_e32 v9, 32, v6
	s_delay_alu instid0(VALU_DEP_1) | instskip(SKIP_1) | instid1(VALU_DEP_2)
	v_subrev_nc_u32_e32 v6, 28, v9
	v_sub_nc_u32_e32 v9, 29, v9
	v_lshlrev_b64 v[6:7], v6, v[2:3]
; %bb.2904:                             ;   in Loop: Header=BB464_1567 Depth=1
	s_or_b32 exec_lo, exec_lo, s15
	s_delay_alu instid0(VALU_DEP_1) | instskip(SKIP_2) | instid1(VALU_DEP_3)
	v_lshlrev_b32_e32 v6, 20, v6
	v_lshlrev_b32_e32 v7, 24, v2
	v_lshl_add_u32 v9, v9, 23, 0x3c000000
	v_and_b32_e32 v6, 0x700000, v6
	s_delay_alu instid0(VALU_DEP_3) | instskip(NEXT) | instid1(VALU_DEP_1)
	v_and_b32_e32 v7, 0x80000000, v7
	v_or3_b32 v6, v6, v7, v9
.LBB464_2905:                           ;   in Loop: Header=BB464_1567 Depth=1
	s_or_b32 exec_lo, exec_lo, s13
.LBB464_2906:                           ;   in Loop: Header=BB464_1567 Depth=1
	s_delay_alu instid0(SALU_CYCLE_1)
	s_or_b32 exec_lo, exec_lo, s12
.LBB464_2907:                           ;   in Loop: Header=BB464_1567 Depth=1
	s_delay_alu instid0(SALU_CYCLE_1) | instskip(NEXT) | instid1(VALU_DEP_1)
	s_or_b32 exec_lo, exec_lo, s9
	v_mul_f32_e32 v6, v26, v6
                                        ; implicit-def: $vgpr78
	s_delay_alu instid0(VALU_DEP_1) | instskip(NEXT) | instid1(VALU_DEP_1)
	v_and_b32_e32 v7, 0x7f800000, v6
	v_cmp_ne_u32_e64 s0, 0x7f800000, v7
	s_delay_alu instid0(VALU_DEP_1) | instskip(NEXT) | instid1(SALU_CYCLE_1)
	s_and_saveexec_b32 s9, s0
	s_xor_b32 s0, exec_lo, s9
; %bb.2908:                             ;   in Loop: Header=BB464_1567 Depth=1
	v_bfe_u32 v7, v6, 16, 1
	s_delay_alu instid0(VALU_DEP_1)
	v_add3_u32 v78, v6, v7, 0x7fff
                                        ; implicit-def: $vgpr6
; %bb.2909:                             ;   in Loop: Header=BB464_1567 Depth=1
	s_and_not1_saveexec_b32 s9, s0
; %bb.2910:                             ;   in Loop: Header=BB464_1567 Depth=1
	v_and_b32_e32 v7, 0xffff, v6
	v_or_b32_e32 v9, 0x10000, v6
	s_delay_alu instid0(VALU_DEP_2) | instskip(NEXT) | instid1(VALU_DEP_1)
	v_cmp_eq_u32_e64 s0, 0, v7
	v_cndmask_b32_e64 v78, v9, v6, s0
; %bb.2911:                             ;   in Loop: Header=BB464_1567 Depth=1
	s_or_b32 exec_lo, exec_lo, s9
	v_lshrrev_b16 v7, 8, v2
	v_mov_b32_e32 v6, 0
	s_mov_b32 s9, exec_lo
	s_delay_alu instid0(VALU_DEP_2)
	v_cmpx_ne_u16_e32 0, v7
	s_cbranch_execz .LBB464_2919
; %bb.2912:                             ;   in Loop: Header=BB464_1567 Depth=1
	v_bfrev_b32_e32 v6, 1
	s_mov_b32 s12, exec_lo
	v_cmpx_ne_u16_e32 0x80, v7
	s_cbranch_execz .LBB464_2918
; %bb.2913:                             ;   in Loop: Header=BB464_1567 Depth=1
	v_and_b32_e32 v9, 0xffff, v7
	v_mov_b32_e32 v6, 0x7f800001
	s_mov_b32 s13, exec_lo
	s_delay_alu instid0(VALU_DEP_2) | instskip(NEXT) | instid1(VALU_DEP_1)
	v_and_b32_e32 v7, 0x7f, v9
	v_cmpx_ne_u32_e32 0x7f, v7
	s_cbranch_execz .LBB464_2917
; %bb.2914:                             ;   in Loop: Header=BB464_1567 Depth=1
	v_and_b32_e32 v9, 7, v9
	v_lshrrev_b32_e32 v79, 3, v7
	v_cmp_gt_u32_e64 s0, 8, v7
	s_delay_alu instid0(VALU_DEP_3) | instskip(NEXT) | instid1(VALU_DEP_2)
	v_dual_mov_b32 v6, v9 :: v_dual_mov_b32 v7, v10
	s_and_saveexec_b32 s15, s0
; %bb.2915:                             ;   in Loop: Header=BB464_1567 Depth=1
	v_clz_i32_u32_e32 v6, v9
	s_delay_alu instid0(VALU_DEP_1) | instskip(NEXT) | instid1(VALU_DEP_1)
	v_min_u32_e32 v79, 32, v6
	v_subrev_nc_u32_e32 v6, 28, v79
	v_sub_nc_u32_e32 v79, 29, v79
	s_delay_alu instid0(VALU_DEP_2) | instskip(NEXT) | instid1(VALU_DEP_1)
	v_lshlrev_b64 v[6:7], v6, v[9:10]
	v_and_b32_e32 v6, 7, v6
; %bb.2916:                             ;   in Loop: Header=BB464_1567 Depth=1
	s_or_b32 exec_lo, exec_lo, s15
	v_lshlrev_b32_e32 v7, 16, v2
	s_delay_alu instid0(VALU_DEP_2) | instskip(SKIP_1) | instid1(VALU_DEP_3)
	v_lshlrev_b32_e32 v6, 20, v6
	v_lshl_add_u32 v9, v79, 23, 0x3c000000
	v_and_b32_e32 v7, 0x80000000, v7
	s_delay_alu instid0(VALU_DEP_1)
	v_or3_b32 v6, v6, v7, v9
.LBB464_2917:                           ;   in Loop: Header=BB464_1567 Depth=1
	s_or_b32 exec_lo, exec_lo, s13
.LBB464_2918:                           ;   in Loop: Header=BB464_1567 Depth=1
	s_delay_alu instid0(SALU_CYCLE_1)
	s_or_b32 exec_lo, exec_lo, s12
.LBB464_2919:                           ;   in Loop: Header=BB464_1567 Depth=1
	s_delay_alu instid0(SALU_CYCLE_1) | instskip(NEXT) | instid1(VALU_DEP_1)
	s_or_b32 exec_lo, exec_lo, s9
	v_mul_f32_e32 v6, v26, v6
                                        ; implicit-def: $vgpr79
	s_delay_alu instid0(VALU_DEP_1) | instskip(NEXT) | instid1(VALU_DEP_1)
	v_and_b32_e32 v7, 0x7f800000, v6
	v_cmp_ne_u32_e64 s0, 0x7f800000, v7
	s_delay_alu instid0(VALU_DEP_1) | instskip(NEXT) | instid1(SALU_CYCLE_1)
	s_and_saveexec_b32 s9, s0
	s_xor_b32 s0, exec_lo, s9
; %bb.2920:                             ;   in Loop: Header=BB464_1567 Depth=1
	v_bfe_u32 v7, v6, 16, 1
	s_delay_alu instid0(VALU_DEP_1)
	v_add3_u32 v79, v6, v7, 0x7fff
                                        ; implicit-def: $vgpr6
; %bb.2921:                             ;   in Loop: Header=BB464_1567 Depth=1
	s_and_not1_saveexec_b32 s9, s0
; %bb.2922:                             ;   in Loop: Header=BB464_1567 Depth=1
	v_and_b32_e32 v7, 0xffff, v6
	v_or_b32_e32 v9, 0x10000, v6
	s_delay_alu instid0(VALU_DEP_2) | instskip(NEXT) | instid1(VALU_DEP_1)
	v_cmp_eq_u32_e64 s0, 0, v7
	v_cndmask_b32_e64 v79, v9, v6, s0
; %bb.2923:                             ;   in Loop: Header=BB464_1567 Depth=1
	s_or_b32 exec_lo, exec_lo, s9
	v_lshrrev_b32_e32 v88, 16, v2
	s_mov_b32 s9, exec_lo
	s_delay_alu instid0(VALU_DEP_1) | instskip(NEXT) | instid1(VALU_DEP_1)
	v_dual_mov_b32 v6, 0 :: v_dual_and_b32 v7, 0xff, v88
	v_cmpx_ne_u16_e32 0, v7
	s_cbranch_execz .LBB464_2931
; %bb.2924:                             ;   in Loop: Header=BB464_1567 Depth=1
	v_bfrev_b32_e32 v6, 1
	s_mov_b32 s12, exec_lo
	v_cmpx_ne_u16_e32 0x80, v7
	s_cbranch_execz .LBB464_2930
; %bb.2925:                             ;   in Loop: Header=BB464_1567 Depth=1
	v_bfe_u32 v7, v2, 16, 7
	v_mov_b32_e32 v6, 0x7f800001
	s_mov_b32 s13, exec_lo
	s_delay_alu instid0(VALU_DEP_2)
	v_cmpx_ne_u32_e32 0x7f, v7
	s_cbranch_execz .LBB464_2929
; %bb.2926:                             ;   in Loop: Header=BB464_1567 Depth=1
	v_and_b32_e32 v9, 7, v88
	v_lshrrev_b32_e32 v89, 3, v7
	v_cmp_gt_u32_e64 s0, 8, v7
	s_delay_alu instid0(VALU_DEP_3) | instskip(NEXT) | instid1(VALU_DEP_2)
	v_dual_mov_b32 v6, v9 :: v_dual_mov_b32 v7, v10
	s_and_saveexec_b32 s15, s0
; %bb.2927:                             ;   in Loop: Header=BB464_1567 Depth=1
	v_clz_i32_u32_e32 v6, v9
	s_delay_alu instid0(VALU_DEP_1) | instskip(NEXT) | instid1(VALU_DEP_1)
	v_min_u32_e32 v89, 32, v6
	v_subrev_nc_u32_e32 v6, 28, v89
	v_sub_nc_u32_e32 v89, 29, v89
	s_delay_alu instid0(VALU_DEP_2) | instskip(NEXT) | instid1(VALU_DEP_1)
	v_lshlrev_b64 v[6:7], v6, v[9:10]
	v_and_b32_e32 v6, 7, v6
; %bb.2928:                             ;   in Loop: Header=BB464_1567 Depth=1
	s_or_b32 exec_lo, exec_lo, s15
	v_lshlrev_b32_e32 v7, 24, v88
	s_delay_alu instid0(VALU_DEP_2) | instskip(SKIP_1) | instid1(VALU_DEP_3)
	v_lshlrev_b32_e32 v6, 20, v6
	v_lshl_add_u32 v9, v89, 23, 0x3c000000
	v_and_b32_e32 v7, 0x80000000, v7
	s_delay_alu instid0(VALU_DEP_1)
	v_or3_b32 v6, v6, v7, v9
.LBB464_2929:                           ;   in Loop: Header=BB464_1567 Depth=1
	s_or_b32 exec_lo, exec_lo, s13
.LBB464_2930:                           ;   in Loop: Header=BB464_1567 Depth=1
	s_delay_alu instid0(SALU_CYCLE_1)
	s_or_b32 exec_lo, exec_lo, s12
.LBB464_2931:                           ;   in Loop: Header=BB464_1567 Depth=1
	s_delay_alu instid0(SALU_CYCLE_1) | instskip(NEXT) | instid1(VALU_DEP_1)
	s_or_b32 exec_lo, exec_lo, s9
	v_mul_f32_e32 v6, v26, v6
                                        ; implicit-def: $vgpr88
	s_delay_alu instid0(VALU_DEP_1) | instskip(NEXT) | instid1(VALU_DEP_1)
	v_and_b32_e32 v7, 0x7f800000, v6
	v_cmp_ne_u32_e64 s0, 0x7f800000, v7
	s_delay_alu instid0(VALU_DEP_1) | instskip(NEXT) | instid1(SALU_CYCLE_1)
	s_and_saveexec_b32 s9, s0
	s_xor_b32 s0, exec_lo, s9
; %bb.2932:                             ;   in Loop: Header=BB464_1567 Depth=1
	v_bfe_u32 v7, v6, 16, 1
	s_delay_alu instid0(VALU_DEP_1)
	v_add3_u32 v88, v6, v7, 0x7fff
                                        ; implicit-def: $vgpr6
; %bb.2933:                             ;   in Loop: Header=BB464_1567 Depth=1
	s_and_not1_saveexec_b32 s9, s0
; %bb.2934:                             ;   in Loop: Header=BB464_1567 Depth=1
	v_and_b32_e32 v7, 0xffff, v6
	v_or_b32_e32 v9, 0x10000, v6
	s_delay_alu instid0(VALU_DEP_2) | instskip(NEXT) | instid1(VALU_DEP_1)
	v_cmp_eq_u32_e64 s0, 0, v7
	v_cndmask_b32_e64 v88, v9, v6, s0
; %bb.2935:                             ;   in Loop: Header=BB464_1567 Depth=1
	s_or_b32 exec_lo, exec_lo, s9
	v_mov_b32_e32 v6, 0
	s_mov_b32 s9, exec_lo
	v_cmpx_lt_u32_e32 0xffffff, v2
	s_cbranch_execz .LBB464_2943
; %bb.2936:                             ;   in Loop: Header=BB464_1567 Depth=1
	v_lshrrev_b32_e32 v89, 24, v2
	v_bfrev_b32_e32 v6, 1
	s_mov_b32 s12, exec_lo
	s_delay_alu instid0(VALU_DEP_2)
	v_cmpx_ne_u32_e32 0x80, v89
	s_cbranch_execz .LBB464_2942
; %bb.2937:                             ;   in Loop: Header=BB464_1567 Depth=1
	v_bfe_u32 v7, v2, 24, 7
	v_mov_b32_e32 v6, 0x7f800001
	s_mov_b32 s13, exec_lo
	s_delay_alu instid0(VALU_DEP_2)
	v_cmpx_ne_u32_e32 0x7f, v7
	s_cbranch_execz .LBB464_2941
; %bb.2938:                             ;   in Loop: Header=BB464_1567 Depth=1
	v_and_b32_e32 v9, 7, v89
	v_lshrrev_b32_e32 v90, 3, v7
	v_cmp_gt_u32_e64 s0, 8, v7
	s_delay_alu instid0(VALU_DEP_3) | instskip(NEXT) | instid1(VALU_DEP_2)
	v_dual_mov_b32 v6, v9 :: v_dual_mov_b32 v7, v10
	s_and_saveexec_b32 s15, s0
; %bb.2939:                             ;   in Loop: Header=BB464_1567 Depth=1
	v_clz_i32_u32_e32 v6, v9
	s_delay_alu instid0(VALU_DEP_1) | instskip(NEXT) | instid1(VALU_DEP_1)
	v_min_u32_e32 v90, 32, v6
	v_subrev_nc_u32_e32 v6, 28, v90
	v_sub_nc_u32_e32 v90, 29, v90
	s_delay_alu instid0(VALU_DEP_2) | instskip(NEXT) | instid1(VALU_DEP_1)
	v_lshlrev_b64 v[6:7], v6, v[9:10]
	v_and_b32_e32 v6, 7, v6
; %bb.2940:                             ;   in Loop: Header=BB464_1567 Depth=1
	s_or_b32 exec_lo, exec_lo, s15
	v_lshlrev_b32_e32 v7, 24, v89
	s_delay_alu instid0(VALU_DEP_2) | instskip(SKIP_1) | instid1(VALU_DEP_3)
	v_lshlrev_b32_e32 v6, 20, v6
	v_lshl_add_u32 v9, v90, 23, 0x3c000000
	v_and_b32_e32 v7, 0x80000000, v7
	s_delay_alu instid0(VALU_DEP_1)
	v_or3_b32 v6, v6, v7, v9
.LBB464_2941:                           ;   in Loop: Header=BB464_1567 Depth=1
	s_or_b32 exec_lo, exec_lo, s13
.LBB464_2942:                           ;   in Loop: Header=BB464_1567 Depth=1
	s_delay_alu instid0(SALU_CYCLE_1)
	s_or_b32 exec_lo, exec_lo, s12
.LBB464_2943:                           ;   in Loop: Header=BB464_1567 Depth=1
	s_delay_alu instid0(SALU_CYCLE_1) | instskip(NEXT) | instid1(VALU_DEP_1)
	s_or_b32 exec_lo, exec_lo, s9
	v_mul_f32_e32 v6, v26, v6
                                        ; implicit-def: $vgpr89
	s_delay_alu instid0(VALU_DEP_1) | instskip(NEXT) | instid1(VALU_DEP_1)
	v_and_b32_e32 v7, 0x7f800000, v6
	v_cmp_ne_u32_e64 s0, 0x7f800000, v7
	s_delay_alu instid0(VALU_DEP_1) | instskip(NEXT) | instid1(SALU_CYCLE_1)
	s_and_saveexec_b32 s9, s0
	s_xor_b32 s0, exec_lo, s9
; %bb.2944:                             ;   in Loop: Header=BB464_1567 Depth=1
	v_bfe_u32 v7, v6, 16, 1
	s_delay_alu instid0(VALU_DEP_1)
	v_add3_u32 v89, v6, v7, 0x7fff
                                        ; implicit-def: $vgpr6
; %bb.2945:                             ;   in Loop: Header=BB464_1567 Depth=1
	s_and_not1_saveexec_b32 s9, s0
; %bb.2946:                             ;   in Loop: Header=BB464_1567 Depth=1
	v_and_b32_e32 v7, 0xffff, v6
	v_or_b32_e32 v9, 0x10000, v6
	s_delay_alu instid0(VALU_DEP_2) | instskip(NEXT) | instid1(VALU_DEP_1)
	v_cmp_eq_u32_e64 s0, 0, v7
	v_cndmask_b32_e64 v89, v9, v6, s0
; %bb.2947:                             ;   in Loop: Header=BB464_1567 Depth=1
	s_or_b32 exec_lo, exec_lo, s9
	v_dual_mov_b32 v6, 0 :: v_dual_and_b32 v7, 0xff, v3
	v_mov_b32_e32 v9, v3
	s_mov_b32 s9, exec_lo
	s_delay_alu instid0(VALU_DEP_2)
	v_cmpx_ne_u16_e32 0, v7
	s_cbranch_execz .LBB464_2955
; %bb.2948:                             ;   in Loop: Header=BB464_1567 Depth=1
	v_bfrev_b32_e32 v6, 1
	s_mov_b32 s12, exec_lo
	v_cmpx_ne_u16_e32 0x80, v7
	s_cbranch_execz .LBB464_2954
; %bb.2949:                             ;   in Loop: Header=BB464_1567 Depth=1
	v_and_b32_e32 v7, 0x7f, v3
	v_mov_b32_e32 v6, 0x7f800001
	s_mov_b32 s13, exec_lo
	s_delay_alu instid0(VALU_DEP_2)
	v_cmpx_ne_u32_e32 0x7f, v7
	s_cbranch_execz .LBB464_2953
; %bb.2950:                             ;   in Loop: Header=BB464_1567 Depth=1
	v_lshrrev_b32_e32 v90, 3, v7
	v_cmp_gt_u32_e64 s0, 8, v7
	v_dual_mov_b32 v6, v9 :: v_dual_mov_b32 v7, v10
	s_delay_alu instid0(VALU_DEP_2)
	s_and_saveexec_b32 s15, s0
; %bb.2951:                             ;   in Loop: Header=BB464_1567 Depth=1
	v_and_b32_e32 v6, 7, v3
	s_delay_alu instid0(VALU_DEP_1) | instskip(NEXT) | instid1(VALU_DEP_1)
	v_clz_i32_u32_e32 v6, v6
	v_min_u32_e32 v90, 32, v6
	s_delay_alu instid0(VALU_DEP_1) | instskip(SKIP_1) | instid1(VALU_DEP_2)
	v_subrev_nc_u32_e32 v6, 28, v90
	v_sub_nc_u32_e32 v90, 29, v90
	v_lshlrev_b64 v[6:7], v6, v[9:10]
; %bb.2952:                             ;   in Loop: Header=BB464_1567 Depth=1
	s_or_b32 exec_lo, exec_lo, s15
	s_delay_alu instid0(VALU_DEP_1) | instskip(SKIP_2) | instid1(VALU_DEP_3)
	v_lshlrev_b32_e32 v6, 20, v6
	v_lshlrev_b32_e32 v7, 24, v9
	v_lshl_add_u32 v90, v90, 23, 0x3c000000
	v_and_b32_e32 v6, 0x700000, v6
	s_delay_alu instid0(VALU_DEP_3) | instskip(NEXT) | instid1(VALU_DEP_1)
	v_and_b32_e32 v7, 0x80000000, v7
	v_or3_b32 v6, v6, v7, v90
.LBB464_2953:                           ;   in Loop: Header=BB464_1567 Depth=1
	s_or_b32 exec_lo, exec_lo, s13
.LBB464_2954:                           ;   in Loop: Header=BB464_1567 Depth=1
	s_delay_alu instid0(SALU_CYCLE_1)
	s_or_b32 exec_lo, exec_lo, s12
.LBB464_2955:                           ;   in Loop: Header=BB464_1567 Depth=1
	s_delay_alu instid0(SALU_CYCLE_1) | instskip(NEXT) | instid1(VALU_DEP_1)
	s_or_b32 exec_lo, exec_lo, s9
	v_mul_f32_e32 v6, v26, v6
                                        ; implicit-def: $vgpr90
	s_delay_alu instid0(VALU_DEP_1) | instskip(NEXT) | instid1(VALU_DEP_1)
	v_and_b32_e32 v7, 0x7f800000, v6
	v_cmp_ne_u32_e64 s0, 0x7f800000, v7
	s_delay_alu instid0(VALU_DEP_1) | instskip(NEXT) | instid1(SALU_CYCLE_1)
	s_and_saveexec_b32 s9, s0
	s_xor_b32 s0, exec_lo, s9
; %bb.2956:                             ;   in Loop: Header=BB464_1567 Depth=1
	v_bfe_u32 v7, v6, 16, 1
	s_delay_alu instid0(VALU_DEP_1)
	v_add3_u32 v90, v6, v7, 0x7fff
                                        ; implicit-def: $vgpr6
; %bb.2957:                             ;   in Loop: Header=BB464_1567 Depth=1
	s_and_not1_saveexec_b32 s9, s0
; %bb.2958:                             ;   in Loop: Header=BB464_1567 Depth=1
	v_and_b32_e32 v7, 0xffff, v6
	v_or_b32_e32 v90, 0x10000, v6
	s_delay_alu instid0(VALU_DEP_2) | instskip(NEXT) | instid1(VALU_DEP_1)
	v_cmp_eq_u32_e64 s0, 0, v7
	v_cndmask_b32_e64 v90, v90, v6, s0
; %bb.2959:                             ;   in Loop: Header=BB464_1567 Depth=1
	s_or_b32 exec_lo, exec_lo, s9
	v_lshrrev_b16 v7, 8, v9
	v_mov_b32_e32 v6, 0
	s_mov_b32 s9, exec_lo
	s_delay_alu instid0(VALU_DEP_2)
	v_cmpx_ne_u16_e32 0, v7
	s_cbranch_execz .LBB464_2967
; %bb.2960:                             ;   in Loop: Header=BB464_1567 Depth=1
	v_bfrev_b32_e32 v6, 1
	s_mov_b32 s12, exec_lo
	v_cmpx_ne_u16_e32 0x80, v7
	s_cbranch_execz .LBB464_2966
; %bb.2961:                             ;   in Loop: Header=BB464_1567 Depth=1
	v_and_b32_e32 v7, 0xffff, v7
	v_mov_b32_e32 v6, 0x7f800001
	s_mov_b32 s13, exec_lo
	s_delay_alu instid0(VALU_DEP_2) | instskip(NEXT) | instid1(VALU_DEP_1)
	v_and_b32_e32 v92, 0x7f, v7
	v_cmpx_ne_u32_e32 0x7f, v92
	s_cbranch_execz .LBB464_2965
; %bb.2962:                             ;   in Loop: Header=BB464_1567 Depth=1
	v_dual_mov_b32 v7, v10 :: v_dual_and_b32 v6, 7, v7
	v_lshrrev_b32_e32 v91, 3, v92
	s_mov_b32 s15, exec_lo
	v_cmpx_gt_u32_e32 8, v92
; %bb.2963:                             ;   in Loop: Header=BB464_1567 Depth=1
	s_delay_alu instid0(VALU_DEP_3) | instskip(NEXT) | instid1(VALU_DEP_1)
	v_clz_i32_u32_e32 v91, v6
	v_min_u32_e32 v91, 32, v91
	s_delay_alu instid0(VALU_DEP_1) | instskip(SKIP_1) | instid1(VALU_DEP_2)
	v_subrev_nc_u32_e32 v92, 28, v91
	v_sub_nc_u32_e32 v91, 29, v91
	v_lshlrev_b64 v[6:7], v92, v[6:7]
	s_delay_alu instid0(VALU_DEP_1)
	v_and_b32_e32 v6, 7, v6
; %bb.2964:                             ;   in Loop: Header=BB464_1567 Depth=1
	s_or_b32 exec_lo, exec_lo, s15
	v_lshlrev_b32_e32 v7, 16, v9
	s_delay_alu instid0(VALU_DEP_2) | instskip(SKIP_1) | instid1(VALU_DEP_3)
	v_lshlrev_b32_e32 v6, 20, v6
	v_lshl_add_u32 v9, v91, 23, 0x3c000000
	v_and_b32_e32 v7, 0x80000000, v7
	s_delay_alu instid0(VALU_DEP_1)
	v_or3_b32 v6, v6, v7, v9
.LBB464_2965:                           ;   in Loop: Header=BB464_1567 Depth=1
	s_or_b32 exec_lo, exec_lo, s13
.LBB464_2966:                           ;   in Loop: Header=BB464_1567 Depth=1
	s_delay_alu instid0(SALU_CYCLE_1)
	s_or_b32 exec_lo, exec_lo, s12
.LBB464_2967:                           ;   in Loop: Header=BB464_1567 Depth=1
	s_delay_alu instid0(SALU_CYCLE_1) | instskip(NEXT) | instid1(VALU_DEP_1)
	s_or_b32 exec_lo, exec_lo, s9
	v_mul_f32_e32 v6, v26, v6
                                        ; implicit-def: $vgpr91
	s_delay_alu instid0(VALU_DEP_1) | instskip(NEXT) | instid1(VALU_DEP_1)
	v_and_b32_e32 v7, 0x7f800000, v6
	v_cmp_ne_u32_e64 s0, 0x7f800000, v7
	s_delay_alu instid0(VALU_DEP_1) | instskip(NEXT) | instid1(SALU_CYCLE_1)
	s_and_saveexec_b32 s9, s0
	s_xor_b32 s0, exec_lo, s9
; %bb.2968:                             ;   in Loop: Header=BB464_1567 Depth=1
	v_bfe_u32 v7, v6, 16, 1
	s_delay_alu instid0(VALU_DEP_1)
	v_add3_u32 v91, v6, v7, 0x7fff
                                        ; implicit-def: $vgpr6
; %bb.2969:                             ;   in Loop: Header=BB464_1567 Depth=1
	s_and_not1_saveexec_b32 s9, s0
; %bb.2970:                             ;   in Loop: Header=BB464_1567 Depth=1
	v_and_b32_e32 v7, 0xffff, v6
	v_or_b32_e32 v9, 0x10000, v6
	s_delay_alu instid0(VALU_DEP_2) | instskip(NEXT) | instid1(VALU_DEP_1)
	v_cmp_eq_u32_e64 s0, 0, v7
	v_cndmask_b32_e64 v91, v9, v6, s0
; %bb.2971:                             ;   in Loop: Header=BB464_1567 Depth=1
	s_or_b32 exec_lo, exec_lo, s9
	v_lshrrev_b32_e32 v92, 16, v3
	s_mov_b32 s9, exec_lo
	s_delay_alu instid0(VALU_DEP_1) | instskip(NEXT) | instid1(VALU_DEP_1)
	v_dual_mov_b32 v6, 0 :: v_dual_and_b32 v7, 0xff, v92
	v_cmpx_ne_u16_e32 0, v7
	s_cbranch_execz .LBB464_2979
; %bb.2972:                             ;   in Loop: Header=BB464_1567 Depth=1
	v_bfrev_b32_e32 v6, 1
	s_mov_b32 s12, exec_lo
	v_cmpx_ne_u16_e32 0x80, v7
	s_cbranch_execz .LBB464_2978
; %bb.2973:                             ;   in Loop: Header=BB464_1567 Depth=1
	v_bfe_u32 v7, v3, 16, 7
	v_mov_b32_e32 v6, 0x7f800001
	s_mov_b32 s13, exec_lo
	s_delay_alu instid0(VALU_DEP_2)
	v_cmpx_ne_u32_e32 0x7f, v7
	s_cbranch_execz .LBB464_2977
; %bb.2974:                             ;   in Loop: Header=BB464_1567 Depth=1
	v_and_b32_e32 v9, 7, v92
	v_lshrrev_b32_e32 v93, 3, v7
	v_cmp_gt_u32_e64 s0, 8, v7
	s_delay_alu instid0(VALU_DEP_3) | instskip(NEXT) | instid1(VALU_DEP_2)
	v_dual_mov_b32 v6, v9 :: v_dual_mov_b32 v7, v10
	s_and_saveexec_b32 s15, s0
; %bb.2975:                             ;   in Loop: Header=BB464_1567 Depth=1
	v_clz_i32_u32_e32 v6, v9
	s_delay_alu instid0(VALU_DEP_1) | instskip(NEXT) | instid1(VALU_DEP_1)
	v_min_u32_e32 v93, 32, v6
	v_subrev_nc_u32_e32 v6, 28, v93
	v_sub_nc_u32_e32 v93, 29, v93
	s_delay_alu instid0(VALU_DEP_2) | instskip(NEXT) | instid1(VALU_DEP_1)
	v_lshlrev_b64 v[6:7], v6, v[9:10]
	v_and_b32_e32 v6, 7, v6
; %bb.2976:                             ;   in Loop: Header=BB464_1567 Depth=1
	s_or_b32 exec_lo, exec_lo, s15
	v_lshlrev_b32_e32 v7, 24, v92
	s_delay_alu instid0(VALU_DEP_2) | instskip(SKIP_1) | instid1(VALU_DEP_3)
	v_lshlrev_b32_e32 v6, 20, v6
	v_lshl_add_u32 v9, v93, 23, 0x3c000000
	v_and_b32_e32 v7, 0x80000000, v7
	s_delay_alu instid0(VALU_DEP_1)
	v_or3_b32 v6, v6, v7, v9
.LBB464_2977:                           ;   in Loop: Header=BB464_1567 Depth=1
	s_or_b32 exec_lo, exec_lo, s13
.LBB464_2978:                           ;   in Loop: Header=BB464_1567 Depth=1
	s_delay_alu instid0(SALU_CYCLE_1)
	s_or_b32 exec_lo, exec_lo, s12
.LBB464_2979:                           ;   in Loop: Header=BB464_1567 Depth=1
	s_delay_alu instid0(SALU_CYCLE_1) | instskip(NEXT) | instid1(VALU_DEP_1)
	s_or_b32 exec_lo, exec_lo, s9
	v_mul_f32_e32 v6, v26, v6
                                        ; implicit-def: $vgpr92
	s_delay_alu instid0(VALU_DEP_1) | instskip(NEXT) | instid1(VALU_DEP_1)
	v_and_b32_e32 v7, 0x7f800000, v6
	v_cmp_ne_u32_e64 s0, 0x7f800000, v7
	s_delay_alu instid0(VALU_DEP_1) | instskip(NEXT) | instid1(SALU_CYCLE_1)
	s_and_saveexec_b32 s9, s0
	s_xor_b32 s0, exec_lo, s9
; %bb.2980:                             ;   in Loop: Header=BB464_1567 Depth=1
	v_bfe_u32 v7, v6, 16, 1
	s_delay_alu instid0(VALU_DEP_1)
	v_add3_u32 v92, v6, v7, 0x7fff
                                        ; implicit-def: $vgpr6
; %bb.2981:                             ;   in Loop: Header=BB464_1567 Depth=1
	s_and_not1_saveexec_b32 s9, s0
; %bb.2982:                             ;   in Loop: Header=BB464_1567 Depth=1
	v_and_b32_e32 v7, 0xffff, v6
	v_or_b32_e32 v9, 0x10000, v6
	s_delay_alu instid0(VALU_DEP_2) | instskip(NEXT) | instid1(VALU_DEP_1)
	v_cmp_eq_u32_e64 s0, 0, v7
	v_cndmask_b32_e64 v92, v9, v6, s0
; %bb.2983:                             ;   in Loop: Header=BB464_1567 Depth=1
	s_or_b32 exec_lo, exec_lo, s9
	v_cmp_lt_u64_e64 s0, s[2:3], v[2:3]
	v_mov_b32_e32 v2, 0
	s_delay_alu instid0(VALU_DEP_2)
	s_and_saveexec_b32 s9, s0
	s_cbranch_execz .LBB464_2991
; %bb.2984:                             ;   in Loop: Header=BB464_1567 Depth=1
	v_lshrrev_b32_e32 v6, 24, v3
	v_bfrev_b32_e32 v2, 1
	s_mov_b32 s12, exec_lo
	s_delay_alu instid0(VALU_DEP_2)
	v_cmpx_ne_u32_e32 0x80, v6
	s_cbranch_execz .LBB464_2990
; %bb.2985:                             ;   in Loop: Header=BB464_1567 Depth=1
	v_bfe_u32 v3, v3, 24, 7
	v_mov_b32_e32 v2, 0x7f800001
	s_mov_b32 s13, exec_lo
	s_delay_alu instid0(VALU_DEP_2)
	v_cmpx_ne_u32_e32 0x7f, v3
	s_cbranch_execz .LBB464_2989
; %bb.2986:                             ;   in Loop: Header=BB464_1567 Depth=1
	v_and_b32_e32 v9, 7, v6
	v_lshrrev_b32_e32 v7, 3, v3
	v_cmp_gt_u32_e64 s0, 8, v3
	s_delay_alu instid0(VALU_DEP_3) | instskip(NEXT) | instid1(VALU_DEP_2)
	v_dual_mov_b32 v2, v9 :: v_dual_mov_b32 v3, v10
	s_and_saveexec_b32 s15, s0
; %bb.2987:                             ;   in Loop: Header=BB464_1567 Depth=1
	v_clz_i32_u32_e32 v2, v9
	s_delay_alu instid0(VALU_DEP_1) | instskip(NEXT) | instid1(VALU_DEP_1)
	v_min_u32_e32 v7, 32, v2
	v_subrev_nc_u32_e32 v2, 28, v7
	v_sub_nc_u32_e32 v7, 29, v7
	s_delay_alu instid0(VALU_DEP_2) | instskip(NEXT) | instid1(VALU_DEP_1)
	v_lshlrev_b64 v[2:3], v2, v[9:10]
	v_and_b32_e32 v2, 7, v2
; %bb.2988:                             ;   in Loop: Header=BB464_1567 Depth=1
	s_or_b32 exec_lo, exec_lo, s15
	v_lshlrev_b32_e32 v3, 24, v6
	s_delay_alu instid0(VALU_DEP_2) | instskip(SKIP_1) | instid1(VALU_DEP_3)
	v_lshlrev_b32_e32 v2, 20, v2
	v_lshl_add_u32 v6, v7, 23, 0x3c000000
	v_and_b32_e32 v3, 0x80000000, v3
	s_delay_alu instid0(VALU_DEP_1)
	v_or3_b32 v2, v2, v3, v6
.LBB464_2989:                           ;   in Loop: Header=BB464_1567 Depth=1
	s_or_b32 exec_lo, exec_lo, s13
.LBB464_2990:                           ;   in Loop: Header=BB464_1567 Depth=1
	s_delay_alu instid0(SALU_CYCLE_1)
	s_or_b32 exec_lo, exec_lo, s12
.LBB464_2991:                           ;   in Loop: Header=BB464_1567 Depth=1
	s_delay_alu instid0(SALU_CYCLE_1) | instskip(NEXT) | instid1(VALU_DEP_1)
	s_or_b32 exec_lo, exec_lo, s9
	v_mul_f32_e32 v3, v26, v2
	s_delay_alu instid0(VALU_DEP_1) | instskip(NEXT) | instid1(VALU_DEP_1)
	v_and_b32_e32 v2, 0x7f800000, v3
	v_cmp_ne_u32_e64 s0, 0x7f800000, v2
                                        ; implicit-def: $vgpr2
	s_delay_alu instid0(VALU_DEP_1) | instskip(NEXT) | instid1(SALU_CYCLE_1)
	s_and_saveexec_b32 s9, s0
	s_xor_b32 s0, exec_lo, s9
; %bb.2992:                             ;   in Loop: Header=BB464_1567 Depth=1
	v_bfe_u32 v2, v3, 16, 1
	s_delay_alu instid0(VALU_DEP_1)
	v_add3_u32 v2, v3, v2, 0x7fff
                                        ; implicit-def: $vgpr3
; %bb.2993:                             ;   in Loop: Header=BB464_1567 Depth=1
	s_and_not1_saveexec_b32 s9, s0
; %bb.2994:                             ;   in Loop: Header=BB464_1567 Depth=1
	v_and_b32_e32 v2, 0xffff, v3
	v_or_b32_e32 v6, 0x10000, v3
	s_delay_alu instid0(VALU_DEP_2) | instskip(NEXT) | instid1(VALU_DEP_1)
	v_cmp_eq_u32_e64 s0, 0, v2
	v_cndmask_b32_e64 v2, v6, v3, s0
; %bb.2995:                             ;   in Loop: Header=BB464_1567 Depth=1
	s_or_b32 exec_lo, exec_lo, s9
	v_lshrrev_b32_e32 v6, 16, v91
	v_lshrrev_b32_e32 v7, 16, v90
	;; [unrolled: 1-line block ×8, first 2 shown]
	s_and_saveexec_b32 s9, vcc_lo
	s_cbranch_execz .LBB464_2997
; %bb.2996:                             ;   in Loop: Header=BB464_1567 Depth=1
	v_cmp_lt_i32_e64 s0, v68, v36
	s_delay_alu instid0(VALU_DEP_1) | instskip(SKIP_1) | instid1(VALU_DEP_1)
	v_cndmask_b32_e64 v78, 0, v78, s0
	v_cmp_lt_i32_e64 s0, v82, v36
	v_cndmask_b32_e64 v79, 0, v79, s0
	v_cmp_lt_i32_e64 s0, v81, v36
	s_delay_alu instid0(VALU_DEP_1) | instskip(SKIP_1) | instid1(VALU_DEP_1)
	v_cndmask_b32_e64 v88, 0, v88, s0
	v_cmp_lt_i32_e64 s0, v80, v36
	v_cndmask_b32_e64 v9, 0, v9, s0
	;; [unrolled: 5-line block ×4, first 2 shown]
.LBB464_2997:                           ;   in Loop: Header=BB464_1567 Depth=1
	s_or_b32 exec_lo, exec_lo, s9
	v_lshlrev_b32_e32 v78, 16, v78
	s_delay_alu instid0(VALU_DEP_1) | instskip(NEXT) | instid1(VALU_DEP_1)
	v_mul_f32_e32 v89, v83, v78
	v_and_b32_e32 v78, 0x7f800000, v89
	s_delay_alu instid0(VALU_DEP_1) | instskip(NEXT) | instid1(VALU_DEP_1)
	v_cmp_ne_u32_e64 s0, 0x7f800000, v78
                                        ; implicit-def: $vgpr78
	s_and_saveexec_b32 s9, s0
	s_delay_alu instid0(SALU_CYCLE_1)
	s_xor_b32 s0, exec_lo, s9
; %bb.2998:                             ;   in Loop: Header=BB464_1567 Depth=1
	v_bfe_u32 v78, v89, 16, 1
	s_delay_alu instid0(VALU_DEP_1)
	v_add3_u32 v78, v89, v78, 0x7fff
                                        ; implicit-def: $vgpr89
; %bb.2999:                             ;   in Loop: Header=BB464_1567 Depth=1
	s_and_not1_saveexec_b32 s9, s0
; %bb.3000:                             ;   in Loop: Header=BB464_1567 Depth=1
	v_and_b32_e32 v78, 0xffff, v89
	v_or_b32_e32 v90, 0x10000, v89
	s_delay_alu instid0(VALU_DEP_2) | instskip(NEXT) | instid1(VALU_DEP_1)
	v_cmp_eq_u32_e64 s0, 0, v78
	v_cndmask_b32_e64 v78, v90, v89, s0
; %bb.3001:                             ;   in Loop: Header=BB464_1567 Depth=1
	s_or_b32 exec_lo, exec_lo, s9
	v_lshlrev_b32_e32 v79, 16, v79
	s_delay_alu instid0(VALU_DEP_1) | instskip(NEXT) | instid1(VALU_DEP_1)
	v_mul_f32_e32 v89, v84, v79
	v_and_b32_e32 v79, 0x7f800000, v89
	s_delay_alu instid0(VALU_DEP_1) | instskip(NEXT) | instid1(VALU_DEP_1)
	v_cmp_ne_u32_e64 s0, 0x7f800000, v79
                                        ; implicit-def: $vgpr79
	s_and_saveexec_b32 s9, s0
	s_delay_alu instid0(SALU_CYCLE_1)
	s_xor_b32 s0, exec_lo, s9
; %bb.3002:                             ;   in Loop: Header=BB464_1567 Depth=1
	v_bfe_u32 v79, v89, 16, 1
	s_delay_alu instid0(VALU_DEP_1)
	v_add3_u32 v79, v89, v79, 0x7fff
                                        ; implicit-def: $vgpr89
; %bb.3003:                             ;   in Loop: Header=BB464_1567 Depth=1
	s_and_not1_saveexec_b32 s9, s0
; %bb.3004:                             ;   in Loop: Header=BB464_1567 Depth=1
	v_and_b32_e32 v79, 0xffff, v89
	v_or_b32_e32 v90, 0x10000, v89
	s_delay_alu instid0(VALU_DEP_2) | instskip(NEXT) | instid1(VALU_DEP_1)
	v_cmp_eq_u32_e64 s0, 0, v79
	v_cndmask_b32_e64 v79, v90, v89, s0
; %bb.3005:                             ;   in Loop: Header=BB464_1567 Depth=1
	s_or_b32 exec_lo, exec_lo, s9
	v_lshlrev_b32_e32 v88, 16, v88
	s_delay_alu instid0(VALU_DEP_1) | instskip(NEXT) | instid1(VALU_DEP_1)
	v_mul_f32_e32 v89, v85, v88
	v_and_b32_e32 v88, 0x7f800000, v89
	s_delay_alu instid0(VALU_DEP_1) | instskip(NEXT) | instid1(VALU_DEP_1)
	v_cmp_ne_u32_e64 s0, 0x7f800000, v88
                                        ; implicit-def: $vgpr88
	s_and_saveexec_b32 s9, s0
	s_delay_alu instid0(SALU_CYCLE_1)
	s_xor_b32 s0, exec_lo, s9
; %bb.3006:                             ;   in Loop: Header=BB464_1567 Depth=1
	v_bfe_u32 v88, v89, 16, 1
	s_delay_alu instid0(VALU_DEP_1)
	v_add3_u32 v88, v89, v88, 0x7fff
                                        ; implicit-def: $vgpr89
; %bb.3007:                             ;   in Loop: Header=BB464_1567 Depth=1
	s_and_not1_saveexec_b32 s9, s0
; %bb.3008:                             ;   in Loop: Header=BB464_1567 Depth=1
	v_and_b32_e32 v88, 0xffff, v89
	v_or_b32_e32 v90, 0x10000, v89
	s_delay_alu instid0(VALU_DEP_2) | instskip(NEXT) | instid1(VALU_DEP_1)
	v_cmp_eq_u32_e64 s0, 0, v88
	v_cndmask_b32_e64 v88, v90, v89, s0
; %bb.3009:                             ;   in Loop: Header=BB464_1567 Depth=1
	s_or_b32 exec_lo, exec_lo, s9
	v_lshlrev_b32_e32 v9, 16, v9
	s_delay_alu instid0(VALU_DEP_1) | instskip(NEXT) | instid1(VALU_DEP_1)
	v_mul_f32_e32 v9, v86, v9
	v_and_b32_e32 v89, 0x7f800000, v9
	s_delay_alu instid0(VALU_DEP_1) | instskip(NEXT) | instid1(VALU_DEP_1)
	v_cmp_ne_u32_e64 s0, 0x7f800000, v89
                                        ; implicit-def: $vgpr89
	s_and_saveexec_b32 s9, s0
	s_delay_alu instid0(SALU_CYCLE_1)
	s_xor_b32 s0, exec_lo, s9
; %bb.3010:                             ;   in Loop: Header=BB464_1567 Depth=1
	v_bfe_u32 v89, v9, 16, 1
	s_delay_alu instid0(VALU_DEP_1)
	v_add3_u32 v89, v9, v89, 0x7fff
                                        ; implicit-def: $vgpr9
; %bb.3011:                             ;   in Loop: Header=BB464_1567 Depth=1
	s_and_not1_saveexec_b32 s9, s0
; %bb.3012:                             ;   in Loop: Header=BB464_1567 Depth=1
	v_and_b32_e32 v89, 0xffff, v9
	v_or_b32_e32 v90, 0x10000, v9
	s_delay_alu instid0(VALU_DEP_2) | instskip(NEXT) | instid1(VALU_DEP_1)
	v_cmp_eq_u32_e64 s0, 0, v89
	v_cndmask_b32_e64 v89, v90, v9, s0
; %bb.3013:                             ;   in Loop: Header=BB464_1567 Depth=1
	s_or_b32 exec_lo, exec_lo, s9
	v_lshlrev_b32_e32 v7, 16, v7
                                        ; implicit-def: $vgpr90
	s_delay_alu instid0(VALU_DEP_1) | instskip(NEXT) | instid1(VALU_DEP_1)
	v_mul_f32_e32 v7, v87, v7
	v_and_b32_e32 v9, 0x7f800000, v7
	s_delay_alu instid0(VALU_DEP_1) | instskip(NEXT) | instid1(VALU_DEP_1)
	v_cmp_ne_u32_e64 s0, 0x7f800000, v9
	s_and_saveexec_b32 s9, s0
	s_delay_alu instid0(SALU_CYCLE_1)
	s_xor_b32 s0, exec_lo, s9
; %bb.3014:                             ;   in Loop: Header=BB464_1567 Depth=1
	v_bfe_u32 v9, v7, 16, 1
	s_delay_alu instid0(VALU_DEP_1)
	v_add3_u32 v90, v7, v9, 0x7fff
                                        ; implicit-def: $vgpr7
; %bb.3015:                             ;   in Loop: Header=BB464_1567 Depth=1
	s_and_not1_saveexec_b32 s9, s0
; %bb.3016:                             ;   in Loop: Header=BB464_1567 Depth=1
	v_and_b32_e32 v9, 0xffff, v7
	v_or_b32_e32 v90, 0x10000, v7
	s_delay_alu instid0(VALU_DEP_2) | instskip(NEXT) | instid1(VALU_DEP_1)
	v_cmp_eq_u32_e64 s0, 0, v9
	v_cndmask_b32_e64 v90, v90, v7, s0
; %bb.3017:                             ;   in Loop: Header=BB464_1567 Depth=1
	s_or_b32 exec_lo, exec_lo, s9
	v_lshlrev_b32_e32 v6, 16, v6
                                        ; implicit-def: $vgpr91
	s_delay_alu instid0(VALU_DEP_1) | instskip(NEXT) | instid1(VALU_DEP_1)
	v_mul_f32_e32 v6, v96, v6
	v_and_b32_e32 v7, 0x7f800000, v6
	s_delay_alu instid0(VALU_DEP_1) | instskip(NEXT) | instid1(VALU_DEP_1)
	v_cmp_ne_u32_e64 s0, 0x7f800000, v7
	s_and_saveexec_b32 s9, s0
	s_delay_alu instid0(SALU_CYCLE_1)
	s_xor_b32 s0, exec_lo, s9
; %bb.3018:                             ;   in Loop: Header=BB464_1567 Depth=1
	v_bfe_u32 v7, v6, 16, 1
	s_delay_alu instid0(VALU_DEP_1)
	v_add3_u32 v91, v6, v7, 0x7fff
                                        ; implicit-def: $vgpr6
; %bb.3019:                             ;   in Loop: Header=BB464_1567 Depth=1
	s_and_not1_saveexec_b32 s9, s0
; %bb.3020:                             ;   in Loop: Header=BB464_1567 Depth=1
	v_and_b32_e32 v7, 0xffff, v6
	v_or_b32_e32 v9, 0x10000, v6
	s_delay_alu instid0(VALU_DEP_2) | instskip(NEXT) | instid1(VALU_DEP_1)
	v_cmp_eq_u32_e64 s0, 0, v7
	v_cndmask_b32_e64 v91, v9, v6, s0
; %bb.3021:                             ;   in Loop: Header=BB464_1567 Depth=1
	s_or_b32 exec_lo, exec_lo, s9
	v_lshlrev_b32_e32 v3, 16, v3
                                        ; implicit-def: $vgpr92
	s_delay_alu instid0(VALU_DEP_1) | instskip(NEXT) | instid1(VALU_DEP_1)
	v_mul_f32_e32 v3, v97, v3
	v_and_b32_e32 v6, 0x7f800000, v3
	s_delay_alu instid0(VALU_DEP_1) | instskip(NEXT) | instid1(VALU_DEP_1)
	v_cmp_ne_u32_e64 s0, 0x7f800000, v6
	s_and_saveexec_b32 s9, s0
	s_delay_alu instid0(SALU_CYCLE_1)
	s_xor_b32 s0, exec_lo, s9
; %bb.3022:                             ;   in Loop: Header=BB464_1567 Depth=1
	v_bfe_u32 v6, v3, 16, 1
	s_delay_alu instid0(VALU_DEP_1)
	v_add3_u32 v92, v3, v6, 0x7fff
                                        ; implicit-def: $vgpr3
; %bb.3023:                             ;   in Loop: Header=BB464_1567 Depth=1
	s_and_not1_saveexec_b32 s9, s0
; %bb.3024:                             ;   in Loop: Header=BB464_1567 Depth=1
	v_and_b32_e32 v6, 0xffff, v3
	v_or_b32_e32 v7, 0x10000, v3
	s_delay_alu instid0(VALU_DEP_2) | instskip(NEXT) | instid1(VALU_DEP_1)
	v_cmp_eq_u32_e64 s0, 0, v6
	v_cndmask_b32_e64 v92, v7, v3, s0
; %bb.3025:                             ;   in Loop: Header=BB464_1567 Depth=1
	s_or_b32 exec_lo, exec_lo, s9
	v_lshlrev_b32_e32 v2, 16, v2
                                        ; implicit-def: $vgpr93
	s_delay_alu instid0(VALU_DEP_1) | instskip(NEXT) | instid1(VALU_DEP_1)
	v_mul_f32_e32 v2, v98, v2
	v_and_b32_e32 v3, 0x7f800000, v2
	s_delay_alu instid0(VALU_DEP_1) | instskip(NEXT) | instid1(VALU_DEP_1)
	v_cmp_ne_u32_e64 s0, 0x7f800000, v3
	s_and_saveexec_b32 s9, s0
	s_delay_alu instid0(SALU_CYCLE_1)
	s_xor_b32 s0, exec_lo, s9
; %bb.3026:                             ;   in Loop: Header=BB464_1567 Depth=1
	v_bfe_u32 v3, v2, 16, 1
	s_delay_alu instid0(VALU_DEP_1)
	v_add3_u32 v93, v2, v3, 0x7fff
                                        ; implicit-def: $vgpr2
; %bb.3027:                             ;   in Loop: Header=BB464_1567 Depth=1
	s_and_not1_saveexec_b32 s9, s0
; %bb.3028:                             ;   in Loop: Header=BB464_1567 Depth=1
	v_and_b32_e32 v3, 0xffff, v2
	v_or_b32_e32 v6, 0x10000, v2
	s_delay_alu instid0(VALU_DEP_2) | instskip(NEXT) | instid1(VALU_DEP_1)
	v_cmp_eq_u32_e64 s0, 0, v3
	v_cndmask_b32_e64 v93, v6, v2, s0
; %bb.3029:                             ;   in Loop: Header=BB464_1567 Depth=1
	s_or_b32 exec_lo, exec_lo, s9
	flat_load_b64 v[2:3], v[0:1] offset:2816
	s_mov_b32 s9, exec_lo
	s_waitcnt vmcnt(0) lgkmcnt(0)
	v_dual_mov_b32 v6, 0 :: v_dual_and_b32 v7, 0xff, v2
	s_delay_alu instid0(VALU_DEP_1)
	v_cmpx_ne_u16_e32 0, v7
	s_cbranch_execz .LBB464_3037
; %bb.3030:                             ;   in Loop: Header=BB464_1567 Depth=1
	v_bfrev_b32_e32 v6, 1
	s_mov_b32 s12, exec_lo
	v_cmpx_ne_u16_e32 0x80, v7
	s_cbranch_execz .LBB464_3036
; %bb.3031:                             ;   in Loop: Header=BB464_1567 Depth=1
	v_and_b32_e32 v7, 0x7f, v2
	v_mov_b32_e32 v6, 0x7f800001
	s_mov_b32 s13, exec_lo
	s_delay_alu instid0(VALU_DEP_2)
	v_cmpx_ne_u32_e32 0x7f, v7
	s_cbranch_execz .LBB464_3035
; %bb.3032:                             ;   in Loop: Header=BB464_1567 Depth=1
	v_lshrrev_b32_e32 v9, 3, v7
	v_cmp_gt_u32_e64 s0, 8, v7
	v_dual_mov_b32 v7, v3 :: v_dual_mov_b32 v6, v2
	s_delay_alu instid0(VALU_DEP_2)
	s_and_saveexec_b32 s15, s0
; %bb.3033:                             ;   in Loop: Header=BB464_1567 Depth=1
	v_and_b32_e32 v6, 7, v2
	s_delay_alu instid0(VALU_DEP_1) | instskip(NEXT) | instid1(VALU_DEP_1)
	v_clz_i32_u32_e32 v6, v6
	v_min_u32_e32 v9, 32, v6
	s_delay_alu instid0(VALU_DEP_1) | instskip(SKIP_1) | instid1(VALU_DEP_2)
	v_subrev_nc_u32_e32 v6, 28, v9
	v_sub_nc_u32_e32 v9, 29, v9
	v_lshlrev_b64 v[6:7], v6, v[2:3]
; %bb.3034:                             ;   in Loop: Header=BB464_1567 Depth=1
	s_or_b32 exec_lo, exec_lo, s15
	s_delay_alu instid0(VALU_DEP_1) | instskip(SKIP_2) | instid1(VALU_DEP_3)
	v_lshlrev_b32_e32 v6, 20, v6
	v_lshlrev_b32_e32 v7, 24, v2
	v_lshl_add_u32 v9, v9, 23, 0x3c000000
	v_and_b32_e32 v6, 0x700000, v6
	s_delay_alu instid0(VALU_DEP_3) | instskip(NEXT) | instid1(VALU_DEP_1)
	v_and_b32_e32 v7, 0x80000000, v7
	v_or3_b32 v6, v6, v7, v9
.LBB464_3035:                           ;   in Loop: Header=BB464_1567 Depth=1
	s_or_b32 exec_lo, exec_lo, s13
.LBB464_3036:                           ;   in Loop: Header=BB464_1567 Depth=1
	s_delay_alu instid0(SALU_CYCLE_1)
	s_or_b32 exec_lo, exec_lo, s12
.LBB464_3037:                           ;   in Loop: Header=BB464_1567 Depth=1
	s_delay_alu instid0(SALU_CYCLE_1) | instskip(NEXT) | instid1(VALU_DEP_1)
	s_or_b32 exec_lo, exec_lo, s9
	v_mul_f32_e32 v6, v26, v6
                                        ; implicit-def: $vgpr94
	s_delay_alu instid0(VALU_DEP_1) | instskip(NEXT) | instid1(VALU_DEP_1)
	v_and_b32_e32 v7, 0x7f800000, v6
	v_cmp_ne_u32_e64 s0, 0x7f800000, v7
	s_delay_alu instid0(VALU_DEP_1) | instskip(NEXT) | instid1(SALU_CYCLE_1)
	s_and_saveexec_b32 s9, s0
	s_xor_b32 s0, exec_lo, s9
; %bb.3038:                             ;   in Loop: Header=BB464_1567 Depth=1
	v_bfe_u32 v7, v6, 16, 1
	s_delay_alu instid0(VALU_DEP_1)
	v_add3_u32 v94, v6, v7, 0x7fff
                                        ; implicit-def: $vgpr6
; %bb.3039:                             ;   in Loop: Header=BB464_1567 Depth=1
	s_and_not1_saveexec_b32 s9, s0
; %bb.3040:                             ;   in Loop: Header=BB464_1567 Depth=1
	v_and_b32_e32 v7, 0xffff, v6
	v_or_b32_e32 v9, 0x10000, v6
	s_delay_alu instid0(VALU_DEP_2) | instskip(NEXT) | instid1(VALU_DEP_1)
	v_cmp_eq_u32_e64 s0, 0, v7
	v_cndmask_b32_e64 v94, v9, v6, s0
; %bb.3041:                             ;   in Loop: Header=BB464_1567 Depth=1
	s_or_b32 exec_lo, exec_lo, s9
	v_lshrrev_b16 v7, 8, v2
	v_mov_b32_e32 v6, 0
	s_mov_b32 s9, exec_lo
	s_delay_alu instid0(VALU_DEP_2)
	v_cmpx_ne_u16_e32 0, v7
	s_cbranch_execz .LBB464_3049
; %bb.3042:                             ;   in Loop: Header=BB464_1567 Depth=1
	v_bfrev_b32_e32 v6, 1
	s_mov_b32 s12, exec_lo
	v_cmpx_ne_u16_e32 0x80, v7
	s_cbranch_execz .LBB464_3048
; %bb.3043:                             ;   in Loop: Header=BB464_1567 Depth=1
	v_and_b32_e32 v9, 0xffff, v7
	v_mov_b32_e32 v6, 0x7f800001
	s_mov_b32 s13, exec_lo
	s_delay_alu instid0(VALU_DEP_2) | instskip(NEXT) | instid1(VALU_DEP_1)
	v_and_b32_e32 v7, 0x7f, v9
	v_cmpx_ne_u32_e32 0x7f, v7
	s_cbranch_execz .LBB464_3047
; %bb.3044:                             ;   in Loop: Header=BB464_1567 Depth=1
	v_and_b32_e32 v9, 7, v9
	v_lshrrev_b32_e32 v95, 3, v7
	v_cmp_gt_u32_e64 s0, 8, v7
	s_delay_alu instid0(VALU_DEP_3) | instskip(NEXT) | instid1(VALU_DEP_2)
	v_dual_mov_b32 v6, v9 :: v_dual_mov_b32 v7, v10
	s_and_saveexec_b32 s15, s0
; %bb.3045:                             ;   in Loop: Header=BB464_1567 Depth=1
	v_clz_i32_u32_e32 v6, v9
	s_delay_alu instid0(VALU_DEP_1) | instskip(NEXT) | instid1(VALU_DEP_1)
	v_min_u32_e32 v95, 32, v6
	v_subrev_nc_u32_e32 v6, 28, v95
	v_sub_nc_u32_e32 v95, 29, v95
	s_delay_alu instid0(VALU_DEP_2) | instskip(NEXT) | instid1(VALU_DEP_1)
	v_lshlrev_b64 v[6:7], v6, v[9:10]
	v_and_b32_e32 v6, 7, v6
; %bb.3046:                             ;   in Loop: Header=BB464_1567 Depth=1
	s_or_b32 exec_lo, exec_lo, s15
	v_lshlrev_b32_e32 v7, 16, v2
	s_delay_alu instid0(VALU_DEP_2) | instskip(SKIP_1) | instid1(VALU_DEP_3)
	v_lshlrev_b32_e32 v6, 20, v6
	v_lshl_add_u32 v9, v95, 23, 0x3c000000
	v_and_b32_e32 v7, 0x80000000, v7
	s_delay_alu instid0(VALU_DEP_1)
	v_or3_b32 v6, v6, v7, v9
.LBB464_3047:                           ;   in Loop: Header=BB464_1567 Depth=1
	s_or_b32 exec_lo, exec_lo, s13
.LBB464_3048:                           ;   in Loop: Header=BB464_1567 Depth=1
	s_delay_alu instid0(SALU_CYCLE_1)
	s_or_b32 exec_lo, exec_lo, s12
.LBB464_3049:                           ;   in Loop: Header=BB464_1567 Depth=1
	s_delay_alu instid0(SALU_CYCLE_1) | instskip(NEXT) | instid1(VALU_DEP_1)
	s_or_b32 exec_lo, exec_lo, s9
	v_mul_f32_e32 v6, v26, v6
                                        ; implicit-def: $vgpr95
	s_delay_alu instid0(VALU_DEP_1) | instskip(NEXT) | instid1(VALU_DEP_1)
	v_and_b32_e32 v7, 0x7f800000, v6
	v_cmp_ne_u32_e64 s0, 0x7f800000, v7
	s_delay_alu instid0(VALU_DEP_1) | instskip(NEXT) | instid1(SALU_CYCLE_1)
	s_and_saveexec_b32 s9, s0
	s_xor_b32 s0, exec_lo, s9
; %bb.3050:                             ;   in Loop: Header=BB464_1567 Depth=1
	v_bfe_u32 v7, v6, 16, 1
	s_delay_alu instid0(VALU_DEP_1)
	v_add3_u32 v95, v6, v7, 0x7fff
                                        ; implicit-def: $vgpr6
; %bb.3051:                             ;   in Loop: Header=BB464_1567 Depth=1
	s_and_not1_saveexec_b32 s9, s0
; %bb.3052:                             ;   in Loop: Header=BB464_1567 Depth=1
	v_and_b32_e32 v7, 0xffff, v6
	v_or_b32_e32 v9, 0x10000, v6
	s_delay_alu instid0(VALU_DEP_2) | instskip(NEXT) | instid1(VALU_DEP_1)
	v_cmp_eq_u32_e64 s0, 0, v7
	v_cndmask_b32_e64 v95, v9, v6, s0
; %bb.3053:                             ;   in Loop: Header=BB464_1567 Depth=1
	s_or_b32 exec_lo, exec_lo, s9
	v_lshrrev_b32_e32 v104, 16, v2
	s_mov_b32 s9, exec_lo
	s_delay_alu instid0(VALU_DEP_1) | instskip(NEXT) | instid1(VALU_DEP_1)
	v_dual_mov_b32 v6, 0 :: v_dual_and_b32 v7, 0xff, v104
	v_cmpx_ne_u16_e32 0, v7
	s_cbranch_execz .LBB464_3061
; %bb.3054:                             ;   in Loop: Header=BB464_1567 Depth=1
	v_bfrev_b32_e32 v6, 1
	s_mov_b32 s12, exec_lo
	v_cmpx_ne_u16_e32 0x80, v7
	s_cbranch_execz .LBB464_3060
; %bb.3055:                             ;   in Loop: Header=BB464_1567 Depth=1
	v_bfe_u32 v7, v2, 16, 7
	v_mov_b32_e32 v6, 0x7f800001
	s_mov_b32 s13, exec_lo
	s_delay_alu instid0(VALU_DEP_2)
	v_cmpx_ne_u32_e32 0x7f, v7
	s_cbranch_execz .LBB464_3059
; %bb.3056:                             ;   in Loop: Header=BB464_1567 Depth=1
	v_and_b32_e32 v9, 7, v104
	v_lshrrev_b32_e32 v105, 3, v7
	v_cmp_gt_u32_e64 s0, 8, v7
	s_delay_alu instid0(VALU_DEP_3) | instskip(NEXT) | instid1(VALU_DEP_2)
	v_dual_mov_b32 v6, v9 :: v_dual_mov_b32 v7, v10
	s_and_saveexec_b32 s15, s0
; %bb.3057:                             ;   in Loop: Header=BB464_1567 Depth=1
	v_clz_i32_u32_e32 v6, v9
	s_delay_alu instid0(VALU_DEP_1) | instskip(NEXT) | instid1(VALU_DEP_1)
	v_min_u32_e32 v105, 32, v6
	v_subrev_nc_u32_e32 v6, 28, v105
	v_sub_nc_u32_e32 v105, 29, v105
	s_delay_alu instid0(VALU_DEP_2) | instskip(NEXT) | instid1(VALU_DEP_1)
	v_lshlrev_b64 v[6:7], v6, v[9:10]
	v_and_b32_e32 v6, 7, v6
; %bb.3058:                             ;   in Loop: Header=BB464_1567 Depth=1
	s_or_b32 exec_lo, exec_lo, s15
	v_lshlrev_b32_e32 v7, 24, v104
	s_delay_alu instid0(VALU_DEP_2) | instskip(SKIP_1) | instid1(VALU_DEP_3)
	v_lshlrev_b32_e32 v6, 20, v6
	v_lshl_add_u32 v9, v105, 23, 0x3c000000
	v_and_b32_e32 v7, 0x80000000, v7
	s_delay_alu instid0(VALU_DEP_1)
	v_or3_b32 v6, v6, v7, v9
.LBB464_3059:                           ;   in Loop: Header=BB464_1567 Depth=1
	s_or_b32 exec_lo, exec_lo, s13
.LBB464_3060:                           ;   in Loop: Header=BB464_1567 Depth=1
	s_delay_alu instid0(SALU_CYCLE_1)
	s_or_b32 exec_lo, exec_lo, s12
.LBB464_3061:                           ;   in Loop: Header=BB464_1567 Depth=1
	s_delay_alu instid0(SALU_CYCLE_1) | instskip(NEXT) | instid1(VALU_DEP_1)
	s_or_b32 exec_lo, exec_lo, s9
	v_mul_f32_e32 v6, v26, v6
                                        ; implicit-def: $vgpr104
	s_delay_alu instid0(VALU_DEP_1) | instskip(NEXT) | instid1(VALU_DEP_1)
	v_and_b32_e32 v7, 0x7f800000, v6
	v_cmp_ne_u32_e64 s0, 0x7f800000, v7
	s_delay_alu instid0(VALU_DEP_1) | instskip(NEXT) | instid1(SALU_CYCLE_1)
	s_and_saveexec_b32 s9, s0
	s_xor_b32 s0, exec_lo, s9
; %bb.3062:                             ;   in Loop: Header=BB464_1567 Depth=1
	v_bfe_u32 v7, v6, 16, 1
	s_delay_alu instid0(VALU_DEP_1)
	v_add3_u32 v104, v6, v7, 0x7fff
                                        ; implicit-def: $vgpr6
; %bb.3063:                             ;   in Loop: Header=BB464_1567 Depth=1
	s_and_not1_saveexec_b32 s9, s0
; %bb.3064:                             ;   in Loop: Header=BB464_1567 Depth=1
	v_and_b32_e32 v7, 0xffff, v6
	v_or_b32_e32 v9, 0x10000, v6
	s_delay_alu instid0(VALU_DEP_2) | instskip(NEXT) | instid1(VALU_DEP_1)
	v_cmp_eq_u32_e64 s0, 0, v7
	v_cndmask_b32_e64 v104, v9, v6, s0
; %bb.3065:                             ;   in Loop: Header=BB464_1567 Depth=1
	s_or_b32 exec_lo, exec_lo, s9
	v_mov_b32_e32 v6, 0
	s_mov_b32 s9, exec_lo
	v_cmpx_lt_u32_e32 0xffffff, v2
	s_cbranch_execz .LBB464_3073
; %bb.3066:                             ;   in Loop: Header=BB464_1567 Depth=1
	v_lshrrev_b32_e32 v105, 24, v2
	v_bfrev_b32_e32 v6, 1
	s_mov_b32 s12, exec_lo
	s_delay_alu instid0(VALU_DEP_2)
	v_cmpx_ne_u32_e32 0x80, v105
	s_cbranch_execz .LBB464_3072
; %bb.3067:                             ;   in Loop: Header=BB464_1567 Depth=1
	v_bfe_u32 v7, v2, 24, 7
	v_mov_b32_e32 v6, 0x7f800001
	s_mov_b32 s13, exec_lo
	s_delay_alu instid0(VALU_DEP_2)
	v_cmpx_ne_u32_e32 0x7f, v7
	s_cbranch_execz .LBB464_3071
; %bb.3068:                             ;   in Loop: Header=BB464_1567 Depth=1
	v_and_b32_e32 v9, 7, v105
	v_lshrrev_b32_e32 v106, 3, v7
	v_cmp_gt_u32_e64 s0, 8, v7
	s_delay_alu instid0(VALU_DEP_3) | instskip(NEXT) | instid1(VALU_DEP_2)
	v_dual_mov_b32 v6, v9 :: v_dual_mov_b32 v7, v10
	s_and_saveexec_b32 s15, s0
; %bb.3069:                             ;   in Loop: Header=BB464_1567 Depth=1
	v_clz_i32_u32_e32 v6, v9
	s_delay_alu instid0(VALU_DEP_1) | instskip(NEXT) | instid1(VALU_DEP_1)
	v_min_u32_e32 v106, 32, v6
	v_subrev_nc_u32_e32 v6, 28, v106
	v_sub_nc_u32_e32 v106, 29, v106
	s_delay_alu instid0(VALU_DEP_2) | instskip(NEXT) | instid1(VALU_DEP_1)
	v_lshlrev_b64 v[6:7], v6, v[9:10]
	v_and_b32_e32 v6, 7, v6
; %bb.3070:                             ;   in Loop: Header=BB464_1567 Depth=1
	s_or_b32 exec_lo, exec_lo, s15
	v_lshlrev_b32_e32 v7, 24, v105
	s_delay_alu instid0(VALU_DEP_2) | instskip(SKIP_1) | instid1(VALU_DEP_3)
	v_lshlrev_b32_e32 v6, 20, v6
	v_lshl_add_u32 v9, v106, 23, 0x3c000000
	v_and_b32_e32 v7, 0x80000000, v7
	s_delay_alu instid0(VALU_DEP_1)
	v_or3_b32 v6, v6, v7, v9
.LBB464_3071:                           ;   in Loop: Header=BB464_1567 Depth=1
	s_or_b32 exec_lo, exec_lo, s13
.LBB464_3072:                           ;   in Loop: Header=BB464_1567 Depth=1
	s_delay_alu instid0(SALU_CYCLE_1)
	s_or_b32 exec_lo, exec_lo, s12
.LBB464_3073:                           ;   in Loop: Header=BB464_1567 Depth=1
	s_delay_alu instid0(SALU_CYCLE_1) | instskip(NEXT) | instid1(VALU_DEP_1)
	s_or_b32 exec_lo, exec_lo, s9
	v_mul_f32_e32 v6, v26, v6
                                        ; implicit-def: $vgpr105
	s_delay_alu instid0(VALU_DEP_1) | instskip(NEXT) | instid1(VALU_DEP_1)
	v_and_b32_e32 v7, 0x7f800000, v6
	v_cmp_ne_u32_e64 s0, 0x7f800000, v7
	s_delay_alu instid0(VALU_DEP_1) | instskip(NEXT) | instid1(SALU_CYCLE_1)
	s_and_saveexec_b32 s9, s0
	s_xor_b32 s0, exec_lo, s9
; %bb.3074:                             ;   in Loop: Header=BB464_1567 Depth=1
	v_bfe_u32 v7, v6, 16, 1
	s_delay_alu instid0(VALU_DEP_1)
	v_add3_u32 v105, v6, v7, 0x7fff
                                        ; implicit-def: $vgpr6
; %bb.3075:                             ;   in Loop: Header=BB464_1567 Depth=1
	s_and_not1_saveexec_b32 s9, s0
; %bb.3076:                             ;   in Loop: Header=BB464_1567 Depth=1
	v_and_b32_e32 v7, 0xffff, v6
	v_or_b32_e32 v9, 0x10000, v6
	s_delay_alu instid0(VALU_DEP_2) | instskip(NEXT) | instid1(VALU_DEP_1)
	v_cmp_eq_u32_e64 s0, 0, v7
	v_cndmask_b32_e64 v105, v9, v6, s0
; %bb.3077:                             ;   in Loop: Header=BB464_1567 Depth=1
	s_or_b32 exec_lo, exec_lo, s9
	v_dual_mov_b32 v6, 0 :: v_dual_and_b32 v7, 0xff, v3
	v_mov_b32_e32 v9, v3
	s_mov_b32 s9, exec_lo
	s_delay_alu instid0(VALU_DEP_2)
	v_cmpx_ne_u16_e32 0, v7
	s_cbranch_execz .LBB464_3085
; %bb.3078:                             ;   in Loop: Header=BB464_1567 Depth=1
	v_bfrev_b32_e32 v6, 1
	s_mov_b32 s12, exec_lo
	v_cmpx_ne_u16_e32 0x80, v7
	s_cbranch_execz .LBB464_3084
; %bb.3079:                             ;   in Loop: Header=BB464_1567 Depth=1
	v_and_b32_e32 v7, 0x7f, v3
	v_mov_b32_e32 v6, 0x7f800001
	s_mov_b32 s13, exec_lo
	s_delay_alu instid0(VALU_DEP_2)
	v_cmpx_ne_u32_e32 0x7f, v7
	s_cbranch_execz .LBB464_3083
; %bb.3080:                             ;   in Loop: Header=BB464_1567 Depth=1
	v_lshrrev_b32_e32 v106, 3, v7
	v_cmp_gt_u32_e64 s0, 8, v7
	v_dual_mov_b32 v6, v9 :: v_dual_mov_b32 v7, v10
	s_delay_alu instid0(VALU_DEP_2)
	s_and_saveexec_b32 s15, s0
; %bb.3081:                             ;   in Loop: Header=BB464_1567 Depth=1
	v_and_b32_e32 v6, 7, v3
	s_delay_alu instid0(VALU_DEP_1) | instskip(NEXT) | instid1(VALU_DEP_1)
	v_clz_i32_u32_e32 v6, v6
	v_min_u32_e32 v106, 32, v6
	s_delay_alu instid0(VALU_DEP_1) | instskip(SKIP_1) | instid1(VALU_DEP_2)
	v_subrev_nc_u32_e32 v6, 28, v106
	v_sub_nc_u32_e32 v106, 29, v106
	v_lshlrev_b64 v[6:7], v6, v[9:10]
; %bb.3082:                             ;   in Loop: Header=BB464_1567 Depth=1
	s_or_b32 exec_lo, exec_lo, s15
	s_delay_alu instid0(VALU_DEP_1) | instskip(SKIP_2) | instid1(VALU_DEP_3)
	v_lshlrev_b32_e32 v6, 20, v6
	v_lshlrev_b32_e32 v7, 24, v9
	v_lshl_add_u32 v106, v106, 23, 0x3c000000
	v_and_b32_e32 v6, 0x700000, v6
	s_delay_alu instid0(VALU_DEP_3) | instskip(NEXT) | instid1(VALU_DEP_1)
	v_and_b32_e32 v7, 0x80000000, v7
	v_or3_b32 v6, v6, v7, v106
.LBB464_3083:                           ;   in Loop: Header=BB464_1567 Depth=1
	s_or_b32 exec_lo, exec_lo, s13
.LBB464_3084:                           ;   in Loop: Header=BB464_1567 Depth=1
	s_delay_alu instid0(SALU_CYCLE_1)
	s_or_b32 exec_lo, exec_lo, s12
.LBB464_3085:                           ;   in Loop: Header=BB464_1567 Depth=1
	s_delay_alu instid0(SALU_CYCLE_1) | instskip(NEXT) | instid1(VALU_DEP_1)
	s_or_b32 exec_lo, exec_lo, s9
	v_mul_f32_e32 v6, v26, v6
                                        ; implicit-def: $vgpr106
	s_delay_alu instid0(VALU_DEP_1) | instskip(NEXT) | instid1(VALU_DEP_1)
	v_and_b32_e32 v7, 0x7f800000, v6
	v_cmp_ne_u32_e64 s0, 0x7f800000, v7
	s_delay_alu instid0(VALU_DEP_1) | instskip(NEXT) | instid1(SALU_CYCLE_1)
	s_and_saveexec_b32 s9, s0
	s_xor_b32 s0, exec_lo, s9
; %bb.3086:                             ;   in Loop: Header=BB464_1567 Depth=1
	v_bfe_u32 v7, v6, 16, 1
	s_delay_alu instid0(VALU_DEP_1)
	v_add3_u32 v106, v6, v7, 0x7fff
                                        ; implicit-def: $vgpr6
; %bb.3087:                             ;   in Loop: Header=BB464_1567 Depth=1
	s_and_not1_saveexec_b32 s9, s0
; %bb.3088:                             ;   in Loop: Header=BB464_1567 Depth=1
	v_and_b32_e32 v7, 0xffff, v6
	v_or_b32_e32 v106, 0x10000, v6
	s_delay_alu instid0(VALU_DEP_2) | instskip(NEXT) | instid1(VALU_DEP_1)
	v_cmp_eq_u32_e64 s0, 0, v7
	v_cndmask_b32_e64 v106, v106, v6, s0
; %bb.3089:                             ;   in Loop: Header=BB464_1567 Depth=1
	s_or_b32 exec_lo, exec_lo, s9
	v_lshrrev_b16 v7, 8, v9
	v_mov_b32_e32 v6, 0
	s_mov_b32 s9, exec_lo
	s_delay_alu instid0(VALU_DEP_2)
	v_cmpx_ne_u16_e32 0, v7
	s_cbranch_execz .LBB464_3097
; %bb.3090:                             ;   in Loop: Header=BB464_1567 Depth=1
	v_bfrev_b32_e32 v6, 1
	s_mov_b32 s12, exec_lo
	v_cmpx_ne_u16_e32 0x80, v7
	s_cbranch_execz .LBB464_3096
; %bb.3091:                             ;   in Loop: Header=BB464_1567 Depth=1
	v_and_b32_e32 v7, 0xffff, v7
	v_mov_b32_e32 v6, 0x7f800001
	s_mov_b32 s13, exec_lo
	s_delay_alu instid0(VALU_DEP_2) | instskip(NEXT) | instid1(VALU_DEP_1)
	v_and_b32_e32 v108, 0x7f, v7
	v_cmpx_ne_u32_e32 0x7f, v108
	s_cbranch_execz .LBB464_3095
; %bb.3092:                             ;   in Loop: Header=BB464_1567 Depth=1
	v_dual_mov_b32 v7, v10 :: v_dual_and_b32 v6, 7, v7
	v_lshrrev_b32_e32 v107, 3, v108
	s_mov_b32 s15, exec_lo
	v_cmpx_gt_u32_e32 8, v108
; %bb.3093:                             ;   in Loop: Header=BB464_1567 Depth=1
	s_delay_alu instid0(VALU_DEP_3) | instskip(NEXT) | instid1(VALU_DEP_1)
	v_clz_i32_u32_e32 v107, v6
	v_min_u32_e32 v107, 32, v107
	s_delay_alu instid0(VALU_DEP_1) | instskip(SKIP_1) | instid1(VALU_DEP_2)
	v_subrev_nc_u32_e32 v108, 28, v107
	v_sub_nc_u32_e32 v107, 29, v107
	v_lshlrev_b64 v[6:7], v108, v[6:7]
	s_delay_alu instid0(VALU_DEP_1)
	v_and_b32_e32 v6, 7, v6
; %bb.3094:                             ;   in Loop: Header=BB464_1567 Depth=1
	s_or_b32 exec_lo, exec_lo, s15
	v_lshlrev_b32_e32 v7, 16, v9
	s_delay_alu instid0(VALU_DEP_2) | instskip(SKIP_1) | instid1(VALU_DEP_3)
	v_lshlrev_b32_e32 v6, 20, v6
	v_lshl_add_u32 v9, v107, 23, 0x3c000000
	v_and_b32_e32 v7, 0x80000000, v7
	s_delay_alu instid0(VALU_DEP_1)
	v_or3_b32 v6, v6, v7, v9
.LBB464_3095:                           ;   in Loop: Header=BB464_1567 Depth=1
	s_or_b32 exec_lo, exec_lo, s13
.LBB464_3096:                           ;   in Loop: Header=BB464_1567 Depth=1
	s_delay_alu instid0(SALU_CYCLE_1)
	s_or_b32 exec_lo, exec_lo, s12
.LBB464_3097:                           ;   in Loop: Header=BB464_1567 Depth=1
	s_delay_alu instid0(SALU_CYCLE_1) | instskip(NEXT) | instid1(VALU_DEP_1)
	s_or_b32 exec_lo, exec_lo, s9
	v_mul_f32_e32 v6, v26, v6
                                        ; implicit-def: $vgpr107
	s_delay_alu instid0(VALU_DEP_1) | instskip(NEXT) | instid1(VALU_DEP_1)
	v_and_b32_e32 v7, 0x7f800000, v6
	v_cmp_ne_u32_e64 s0, 0x7f800000, v7
	s_delay_alu instid0(VALU_DEP_1) | instskip(NEXT) | instid1(SALU_CYCLE_1)
	s_and_saveexec_b32 s9, s0
	s_xor_b32 s0, exec_lo, s9
; %bb.3098:                             ;   in Loop: Header=BB464_1567 Depth=1
	v_bfe_u32 v7, v6, 16, 1
	s_delay_alu instid0(VALU_DEP_1)
	v_add3_u32 v107, v6, v7, 0x7fff
                                        ; implicit-def: $vgpr6
; %bb.3099:                             ;   in Loop: Header=BB464_1567 Depth=1
	s_and_not1_saveexec_b32 s9, s0
; %bb.3100:                             ;   in Loop: Header=BB464_1567 Depth=1
	v_and_b32_e32 v7, 0xffff, v6
	v_or_b32_e32 v9, 0x10000, v6
	s_delay_alu instid0(VALU_DEP_2) | instskip(NEXT) | instid1(VALU_DEP_1)
	v_cmp_eq_u32_e64 s0, 0, v7
	v_cndmask_b32_e64 v107, v9, v6, s0
; %bb.3101:                             ;   in Loop: Header=BB464_1567 Depth=1
	s_or_b32 exec_lo, exec_lo, s9
	v_lshrrev_b32_e32 v108, 16, v3
	s_mov_b32 s9, exec_lo
	s_delay_alu instid0(VALU_DEP_1) | instskip(NEXT) | instid1(VALU_DEP_1)
	v_dual_mov_b32 v6, 0 :: v_dual_and_b32 v7, 0xff, v108
	v_cmpx_ne_u16_e32 0, v7
	s_cbranch_execz .LBB464_3109
; %bb.3102:                             ;   in Loop: Header=BB464_1567 Depth=1
	v_bfrev_b32_e32 v6, 1
	s_mov_b32 s12, exec_lo
	v_cmpx_ne_u16_e32 0x80, v7
	s_cbranch_execz .LBB464_3108
; %bb.3103:                             ;   in Loop: Header=BB464_1567 Depth=1
	v_bfe_u32 v7, v3, 16, 7
	v_mov_b32_e32 v6, 0x7f800001
	s_mov_b32 s13, exec_lo
	s_delay_alu instid0(VALU_DEP_2)
	v_cmpx_ne_u32_e32 0x7f, v7
	s_cbranch_execz .LBB464_3107
; %bb.3104:                             ;   in Loop: Header=BB464_1567 Depth=1
	v_and_b32_e32 v9, 7, v108
	v_lshrrev_b32_e32 v109, 3, v7
	v_cmp_gt_u32_e64 s0, 8, v7
	s_delay_alu instid0(VALU_DEP_3) | instskip(NEXT) | instid1(VALU_DEP_2)
	v_dual_mov_b32 v6, v9 :: v_dual_mov_b32 v7, v10
	s_and_saveexec_b32 s15, s0
; %bb.3105:                             ;   in Loop: Header=BB464_1567 Depth=1
	v_clz_i32_u32_e32 v6, v9
	s_delay_alu instid0(VALU_DEP_1) | instskip(NEXT) | instid1(VALU_DEP_1)
	v_min_u32_e32 v109, 32, v6
	v_subrev_nc_u32_e32 v6, 28, v109
	v_sub_nc_u32_e32 v109, 29, v109
	s_delay_alu instid0(VALU_DEP_2) | instskip(NEXT) | instid1(VALU_DEP_1)
	v_lshlrev_b64 v[6:7], v6, v[9:10]
	v_and_b32_e32 v6, 7, v6
; %bb.3106:                             ;   in Loop: Header=BB464_1567 Depth=1
	s_or_b32 exec_lo, exec_lo, s15
	v_lshlrev_b32_e32 v7, 24, v108
	s_delay_alu instid0(VALU_DEP_2) | instskip(SKIP_1) | instid1(VALU_DEP_3)
	v_lshlrev_b32_e32 v6, 20, v6
	v_lshl_add_u32 v9, v109, 23, 0x3c000000
	v_and_b32_e32 v7, 0x80000000, v7
	s_delay_alu instid0(VALU_DEP_1)
	v_or3_b32 v6, v6, v7, v9
.LBB464_3107:                           ;   in Loop: Header=BB464_1567 Depth=1
	s_or_b32 exec_lo, exec_lo, s13
.LBB464_3108:                           ;   in Loop: Header=BB464_1567 Depth=1
	s_delay_alu instid0(SALU_CYCLE_1)
	s_or_b32 exec_lo, exec_lo, s12
.LBB464_3109:                           ;   in Loop: Header=BB464_1567 Depth=1
	s_delay_alu instid0(SALU_CYCLE_1) | instskip(NEXT) | instid1(VALU_DEP_1)
	s_or_b32 exec_lo, exec_lo, s9
	v_mul_f32_e32 v6, v26, v6
                                        ; implicit-def: $vgpr108
	s_delay_alu instid0(VALU_DEP_1) | instskip(NEXT) | instid1(VALU_DEP_1)
	v_and_b32_e32 v7, 0x7f800000, v6
	v_cmp_ne_u32_e64 s0, 0x7f800000, v7
	s_delay_alu instid0(VALU_DEP_1) | instskip(NEXT) | instid1(SALU_CYCLE_1)
	s_and_saveexec_b32 s9, s0
	s_xor_b32 s0, exec_lo, s9
; %bb.3110:                             ;   in Loop: Header=BB464_1567 Depth=1
	v_bfe_u32 v7, v6, 16, 1
	s_delay_alu instid0(VALU_DEP_1)
	v_add3_u32 v108, v6, v7, 0x7fff
                                        ; implicit-def: $vgpr6
; %bb.3111:                             ;   in Loop: Header=BB464_1567 Depth=1
	s_and_not1_saveexec_b32 s9, s0
; %bb.3112:                             ;   in Loop: Header=BB464_1567 Depth=1
	v_and_b32_e32 v7, 0xffff, v6
	v_or_b32_e32 v9, 0x10000, v6
	s_delay_alu instid0(VALU_DEP_2) | instskip(NEXT) | instid1(VALU_DEP_1)
	v_cmp_eq_u32_e64 s0, 0, v7
	v_cndmask_b32_e64 v108, v9, v6, s0
; %bb.3113:                             ;   in Loop: Header=BB464_1567 Depth=1
	s_or_b32 exec_lo, exec_lo, s9
	v_cmp_lt_u64_e64 s0, s[2:3], v[2:3]
	v_mov_b32_e32 v2, 0
	s_delay_alu instid0(VALU_DEP_2)
	s_and_saveexec_b32 s9, s0
	s_cbranch_execz .LBB464_3121
; %bb.3114:                             ;   in Loop: Header=BB464_1567 Depth=1
	v_lshrrev_b32_e32 v6, 24, v3
	v_bfrev_b32_e32 v2, 1
	s_mov_b32 s12, exec_lo
	s_delay_alu instid0(VALU_DEP_2)
	v_cmpx_ne_u32_e32 0x80, v6
	s_cbranch_execz .LBB464_3120
; %bb.3115:                             ;   in Loop: Header=BB464_1567 Depth=1
	v_bfe_u32 v3, v3, 24, 7
	v_mov_b32_e32 v2, 0x7f800001
	s_mov_b32 s13, exec_lo
	s_delay_alu instid0(VALU_DEP_2)
	v_cmpx_ne_u32_e32 0x7f, v3
	s_cbranch_execz .LBB464_3119
; %bb.3116:                             ;   in Loop: Header=BB464_1567 Depth=1
	v_and_b32_e32 v9, 7, v6
	v_lshrrev_b32_e32 v7, 3, v3
	v_cmp_gt_u32_e64 s0, 8, v3
	s_delay_alu instid0(VALU_DEP_3) | instskip(NEXT) | instid1(VALU_DEP_2)
	v_dual_mov_b32 v2, v9 :: v_dual_mov_b32 v3, v10
	s_and_saveexec_b32 s15, s0
; %bb.3117:                             ;   in Loop: Header=BB464_1567 Depth=1
	v_clz_i32_u32_e32 v2, v9
	s_delay_alu instid0(VALU_DEP_1) | instskip(NEXT) | instid1(VALU_DEP_1)
	v_min_u32_e32 v7, 32, v2
	v_subrev_nc_u32_e32 v2, 28, v7
	v_sub_nc_u32_e32 v7, 29, v7
	s_delay_alu instid0(VALU_DEP_2) | instskip(NEXT) | instid1(VALU_DEP_1)
	v_lshlrev_b64 v[2:3], v2, v[9:10]
	v_and_b32_e32 v2, 7, v2
; %bb.3118:                             ;   in Loop: Header=BB464_1567 Depth=1
	s_or_b32 exec_lo, exec_lo, s15
	v_lshlrev_b32_e32 v3, 24, v6
	s_delay_alu instid0(VALU_DEP_2) | instskip(SKIP_1) | instid1(VALU_DEP_3)
	v_lshlrev_b32_e32 v2, 20, v2
	v_lshl_add_u32 v6, v7, 23, 0x3c000000
	v_and_b32_e32 v3, 0x80000000, v3
	s_delay_alu instid0(VALU_DEP_1)
	v_or3_b32 v2, v2, v3, v6
.LBB464_3119:                           ;   in Loop: Header=BB464_1567 Depth=1
	s_or_b32 exec_lo, exec_lo, s13
.LBB464_3120:                           ;   in Loop: Header=BB464_1567 Depth=1
	s_delay_alu instid0(SALU_CYCLE_1)
	s_or_b32 exec_lo, exec_lo, s12
.LBB464_3121:                           ;   in Loop: Header=BB464_1567 Depth=1
	s_delay_alu instid0(SALU_CYCLE_1) | instskip(NEXT) | instid1(VALU_DEP_1)
	s_or_b32 exec_lo, exec_lo, s9
	v_mul_f32_e32 v3, v26, v2
	s_delay_alu instid0(VALU_DEP_1) | instskip(NEXT) | instid1(VALU_DEP_1)
	v_and_b32_e32 v2, 0x7f800000, v3
	v_cmp_ne_u32_e64 s0, 0x7f800000, v2
                                        ; implicit-def: $vgpr2
	s_delay_alu instid0(VALU_DEP_1) | instskip(NEXT) | instid1(SALU_CYCLE_1)
	s_and_saveexec_b32 s9, s0
	s_xor_b32 s0, exec_lo, s9
; %bb.3122:                             ;   in Loop: Header=BB464_1567 Depth=1
	v_bfe_u32 v2, v3, 16, 1
	s_delay_alu instid0(VALU_DEP_1)
	v_add3_u32 v2, v3, v2, 0x7fff
                                        ; implicit-def: $vgpr3
; %bb.3123:                             ;   in Loop: Header=BB464_1567 Depth=1
	s_and_not1_saveexec_b32 s9, s0
; %bb.3124:                             ;   in Loop: Header=BB464_1567 Depth=1
	v_and_b32_e32 v2, 0xffff, v3
	v_or_b32_e32 v6, 0x10000, v3
	s_delay_alu instid0(VALU_DEP_2) | instskip(NEXT) | instid1(VALU_DEP_1)
	v_cmp_eq_u32_e64 s0, 0, v2
	v_cndmask_b32_e64 v2, v6, v3, s0
; %bb.3125:                             ;   in Loop: Header=BB464_1567 Depth=1
	s_or_b32 exec_lo, exec_lo, s9
	v_lshrrev_b32_e32 v6, 16, v107
	v_lshrrev_b32_e32 v7, 16, v106
	;; [unrolled: 1-line block ×8, first 2 shown]
	s_and_saveexec_b32 s9, vcc_lo
	s_cbranch_execz .LBB464_3127
; %bb.3126:                             ;   in Loop: Header=BB464_1567 Depth=1
	v_cmp_lt_i32_e64 s0, v68, v36
	s_delay_alu instid0(VALU_DEP_1) | instskip(SKIP_1) | instid1(VALU_DEP_1)
	v_cndmask_b32_e64 v94, 0, v94, s0
	v_cmp_lt_i32_e64 s0, v82, v36
	v_cndmask_b32_e64 v95, 0, v95, s0
	v_cmp_lt_i32_e64 s0, v81, v36
	s_delay_alu instid0(VALU_DEP_1) | instskip(SKIP_1) | instid1(VALU_DEP_1)
	v_cndmask_b32_e64 v104, 0, v104, s0
	v_cmp_lt_i32_e64 s0, v80, v36
	v_cndmask_b32_e64 v9, 0, v9, s0
	;; [unrolled: 5-line block ×4, first 2 shown]
.LBB464_3127:                           ;   in Loop: Header=BB464_1567 Depth=1
	s_or_b32 exec_lo, exec_lo, s9
	v_lshlrev_b32_e32 v94, 16, v94
	s_delay_alu instid0(VALU_DEP_1) | instskip(NEXT) | instid1(VALU_DEP_1)
	v_mul_f32_e32 v105, v83, v94
	v_and_b32_e32 v94, 0x7f800000, v105
	s_delay_alu instid0(VALU_DEP_1) | instskip(NEXT) | instid1(VALU_DEP_1)
	v_cmp_ne_u32_e64 s0, 0x7f800000, v94
                                        ; implicit-def: $vgpr94
	s_and_saveexec_b32 s9, s0
	s_delay_alu instid0(SALU_CYCLE_1)
	s_xor_b32 s0, exec_lo, s9
; %bb.3128:                             ;   in Loop: Header=BB464_1567 Depth=1
	v_bfe_u32 v94, v105, 16, 1
	s_delay_alu instid0(VALU_DEP_1)
	v_add3_u32 v94, v105, v94, 0x7fff
                                        ; implicit-def: $vgpr105
; %bb.3129:                             ;   in Loop: Header=BB464_1567 Depth=1
	s_and_not1_saveexec_b32 s9, s0
; %bb.3130:                             ;   in Loop: Header=BB464_1567 Depth=1
	v_and_b32_e32 v94, 0xffff, v105
	v_or_b32_e32 v106, 0x10000, v105
	s_delay_alu instid0(VALU_DEP_2) | instskip(NEXT) | instid1(VALU_DEP_1)
	v_cmp_eq_u32_e64 s0, 0, v94
	v_cndmask_b32_e64 v94, v106, v105, s0
; %bb.3131:                             ;   in Loop: Header=BB464_1567 Depth=1
	s_or_b32 exec_lo, exec_lo, s9
	v_lshlrev_b32_e32 v95, 16, v95
	s_delay_alu instid0(VALU_DEP_1) | instskip(NEXT) | instid1(VALU_DEP_1)
	v_mul_f32_e32 v105, v84, v95
	v_and_b32_e32 v95, 0x7f800000, v105
	s_delay_alu instid0(VALU_DEP_1) | instskip(NEXT) | instid1(VALU_DEP_1)
	v_cmp_ne_u32_e64 s0, 0x7f800000, v95
                                        ; implicit-def: $vgpr95
	s_and_saveexec_b32 s9, s0
	s_delay_alu instid0(SALU_CYCLE_1)
	s_xor_b32 s0, exec_lo, s9
; %bb.3132:                             ;   in Loop: Header=BB464_1567 Depth=1
	v_bfe_u32 v95, v105, 16, 1
	s_delay_alu instid0(VALU_DEP_1)
	v_add3_u32 v95, v105, v95, 0x7fff
                                        ; implicit-def: $vgpr105
; %bb.3133:                             ;   in Loop: Header=BB464_1567 Depth=1
	s_and_not1_saveexec_b32 s9, s0
; %bb.3134:                             ;   in Loop: Header=BB464_1567 Depth=1
	v_and_b32_e32 v95, 0xffff, v105
	v_or_b32_e32 v106, 0x10000, v105
	s_delay_alu instid0(VALU_DEP_2) | instskip(NEXT) | instid1(VALU_DEP_1)
	v_cmp_eq_u32_e64 s0, 0, v95
	v_cndmask_b32_e64 v95, v106, v105, s0
; %bb.3135:                             ;   in Loop: Header=BB464_1567 Depth=1
	s_or_b32 exec_lo, exec_lo, s9
	v_lshlrev_b32_e32 v104, 16, v104
	s_delay_alu instid0(VALU_DEP_1) | instskip(NEXT) | instid1(VALU_DEP_1)
	v_mul_f32_e32 v105, v85, v104
	v_and_b32_e32 v104, 0x7f800000, v105
	s_delay_alu instid0(VALU_DEP_1) | instskip(NEXT) | instid1(VALU_DEP_1)
	v_cmp_ne_u32_e64 s0, 0x7f800000, v104
                                        ; implicit-def: $vgpr104
	s_and_saveexec_b32 s9, s0
	s_delay_alu instid0(SALU_CYCLE_1)
	s_xor_b32 s0, exec_lo, s9
; %bb.3136:                             ;   in Loop: Header=BB464_1567 Depth=1
	v_bfe_u32 v104, v105, 16, 1
	s_delay_alu instid0(VALU_DEP_1)
	v_add3_u32 v104, v105, v104, 0x7fff
                                        ; implicit-def: $vgpr105
; %bb.3137:                             ;   in Loop: Header=BB464_1567 Depth=1
	s_and_not1_saveexec_b32 s9, s0
; %bb.3138:                             ;   in Loop: Header=BB464_1567 Depth=1
	v_and_b32_e32 v104, 0xffff, v105
	v_or_b32_e32 v106, 0x10000, v105
	s_delay_alu instid0(VALU_DEP_2) | instskip(NEXT) | instid1(VALU_DEP_1)
	v_cmp_eq_u32_e64 s0, 0, v104
	v_cndmask_b32_e64 v104, v106, v105, s0
; %bb.3139:                             ;   in Loop: Header=BB464_1567 Depth=1
	s_or_b32 exec_lo, exec_lo, s9
	v_lshlrev_b32_e32 v9, 16, v9
	s_delay_alu instid0(VALU_DEP_1) | instskip(NEXT) | instid1(VALU_DEP_1)
	v_mul_f32_e32 v9, v86, v9
	v_and_b32_e32 v105, 0x7f800000, v9
	s_delay_alu instid0(VALU_DEP_1) | instskip(NEXT) | instid1(VALU_DEP_1)
	v_cmp_ne_u32_e64 s0, 0x7f800000, v105
                                        ; implicit-def: $vgpr105
	s_and_saveexec_b32 s9, s0
	s_delay_alu instid0(SALU_CYCLE_1)
	s_xor_b32 s0, exec_lo, s9
; %bb.3140:                             ;   in Loop: Header=BB464_1567 Depth=1
	v_bfe_u32 v105, v9, 16, 1
	s_delay_alu instid0(VALU_DEP_1)
	v_add3_u32 v105, v9, v105, 0x7fff
                                        ; implicit-def: $vgpr9
; %bb.3141:                             ;   in Loop: Header=BB464_1567 Depth=1
	s_and_not1_saveexec_b32 s9, s0
; %bb.3142:                             ;   in Loop: Header=BB464_1567 Depth=1
	v_and_b32_e32 v105, 0xffff, v9
	v_or_b32_e32 v106, 0x10000, v9
	s_delay_alu instid0(VALU_DEP_2) | instskip(NEXT) | instid1(VALU_DEP_1)
	v_cmp_eq_u32_e64 s0, 0, v105
	v_cndmask_b32_e64 v105, v106, v9, s0
; %bb.3143:                             ;   in Loop: Header=BB464_1567 Depth=1
	s_or_b32 exec_lo, exec_lo, s9
	v_lshlrev_b32_e32 v7, 16, v7
                                        ; implicit-def: $vgpr106
	s_delay_alu instid0(VALU_DEP_1) | instskip(NEXT) | instid1(VALU_DEP_1)
	v_mul_f32_e32 v7, v87, v7
	v_and_b32_e32 v9, 0x7f800000, v7
	s_delay_alu instid0(VALU_DEP_1) | instskip(NEXT) | instid1(VALU_DEP_1)
	v_cmp_ne_u32_e64 s0, 0x7f800000, v9
	s_and_saveexec_b32 s9, s0
	s_delay_alu instid0(SALU_CYCLE_1)
	s_xor_b32 s0, exec_lo, s9
; %bb.3144:                             ;   in Loop: Header=BB464_1567 Depth=1
	v_bfe_u32 v9, v7, 16, 1
	s_delay_alu instid0(VALU_DEP_1)
	v_add3_u32 v106, v7, v9, 0x7fff
                                        ; implicit-def: $vgpr7
; %bb.3145:                             ;   in Loop: Header=BB464_1567 Depth=1
	s_and_not1_saveexec_b32 s9, s0
; %bb.3146:                             ;   in Loop: Header=BB464_1567 Depth=1
	v_and_b32_e32 v9, 0xffff, v7
	v_or_b32_e32 v106, 0x10000, v7
	s_delay_alu instid0(VALU_DEP_2) | instskip(NEXT) | instid1(VALU_DEP_1)
	v_cmp_eq_u32_e64 s0, 0, v9
	v_cndmask_b32_e64 v106, v106, v7, s0
; %bb.3147:                             ;   in Loop: Header=BB464_1567 Depth=1
	s_or_b32 exec_lo, exec_lo, s9
	v_lshlrev_b32_e32 v6, 16, v6
                                        ; implicit-def: $vgpr107
	s_delay_alu instid0(VALU_DEP_1) | instskip(NEXT) | instid1(VALU_DEP_1)
	v_mul_f32_e32 v6, v96, v6
	v_and_b32_e32 v7, 0x7f800000, v6
	s_delay_alu instid0(VALU_DEP_1) | instskip(NEXT) | instid1(VALU_DEP_1)
	v_cmp_ne_u32_e64 s0, 0x7f800000, v7
	s_and_saveexec_b32 s9, s0
	s_delay_alu instid0(SALU_CYCLE_1)
	s_xor_b32 s0, exec_lo, s9
; %bb.3148:                             ;   in Loop: Header=BB464_1567 Depth=1
	v_bfe_u32 v7, v6, 16, 1
	s_delay_alu instid0(VALU_DEP_1)
	v_add3_u32 v107, v6, v7, 0x7fff
                                        ; implicit-def: $vgpr6
; %bb.3149:                             ;   in Loop: Header=BB464_1567 Depth=1
	s_and_not1_saveexec_b32 s9, s0
; %bb.3150:                             ;   in Loop: Header=BB464_1567 Depth=1
	v_and_b32_e32 v7, 0xffff, v6
	v_or_b32_e32 v9, 0x10000, v6
	s_delay_alu instid0(VALU_DEP_2) | instskip(NEXT) | instid1(VALU_DEP_1)
	v_cmp_eq_u32_e64 s0, 0, v7
	v_cndmask_b32_e64 v107, v9, v6, s0
; %bb.3151:                             ;   in Loop: Header=BB464_1567 Depth=1
	s_or_b32 exec_lo, exec_lo, s9
	v_lshlrev_b32_e32 v3, 16, v3
                                        ; implicit-def: $vgpr108
	s_delay_alu instid0(VALU_DEP_1) | instskip(NEXT) | instid1(VALU_DEP_1)
	v_mul_f32_e32 v3, v97, v3
	v_and_b32_e32 v6, 0x7f800000, v3
	s_delay_alu instid0(VALU_DEP_1) | instskip(NEXT) | instid1(VALU_DEP_1)
	v_cmp_ne_u32_e64 s0, 0x7f800000, v6
	s_and_saveexec_b32 s9, s0
	s_delay_alu instid0(SALU_CYCLE_1)
	s_xor_b32 s0, exec_lo, s9
; %bb.3152:                             ;   in Loop: Header=BB464_1567 Depth=1
	v_bfe_u32 v6, v3, 16, 1
	s_delay_alu instid0(VALU_DEP_1)
	v_add3_u32 v108, v3, v6, 0x7fff
                                        ; implicit-def: $vgpr3
; %bb.3153:                             ;   in Loop: Header=BB464_1567 Depth=1
	s_and_not1_saveexec_b32 s9, s0
; %bb.3154:                             ;   in Loop: Header=BB464_1567 Depth=1
	v_and_b32_e32 v6, 0xffff, v3
	v_or_b32_e32 v7, 0x10000, v3
	s_delay_alu instid0(VALU_DEP_2) | instskip(NEXT) | instid1(VALU_DEP_1)
	v_cmp_eq_u32_e64 s0, 0, v6
	v_cndmask_b32_e64 v108, v7, v3, s0
; %bb.3155:                             ;   in Loop: Header=BB464_1567 Depth=1
	s_or_b32 exec_lo, exec_lo, s9
	v_lshlrev_b32_e32 v2, 16, v2
                                        ; implicit-def: $vgpr109
	s_delay_alu instid0(VALU_DEP_1) | instskip(NEXT) | instid1(VALU_DEP_1)
	v_mul_f32_e32 v2, v98, v2
	v_and_b32_e32 v3, 0x7f800000, v2
	s_delay_alu instid0(VALU_DEP_1) | instskip(NEXT) | instid1(VALU_DEP_1)
	v_cmp_ne_u32_e64 s0, 0x7f800000, v3
	s_and_saveexec_b32 s9, s0
	s_delay_alu instid0(SALU_CYCLE_1)
	s_xor_b32 s0, exec_lo, s9
; %bb.3156:                             ;   in Loop: Header=BB464_1567 Depth=1
	v_bfe_u32 v3, v2, 16, 1
	s_delay_alu instid0(VALU_DEP_1)
	v_add3_u32 v109, v2, v3, 0x7fff
                                        ; implicit-def: $vgpr2
; %bb.3157:                             ;   in Loop: Header=BB464_1567 Depth=1
	s_and_not1_saveexec_b32 s9, s0
; %bb.3158:                             ;   in Loop: Header=BB464_1567 Depth=1
	v_and_b32_e32 v3, 0xffff, v2
	v_or_b32_e32 v6, 0x10000, v2
	s_delay_alu instid0(VALU_DEP_2) | instskip(NEXT) | instid1(VALU_DEP_1)
	v_cmp_eq_u32_e64 s0, 0, v3
	v_cndmask_b32_e64 v109, v6, v2, s0
; %bb.3159:                             ;   in Loop: Header=BB464_1567 Depth=1
	s_or_b32 exec_lo, exec_lo, s9
	flat_load_b64 v[2:3], v[0:1] offset:3072
	s_mov_b32 s9, exec_lo
	s_waitcnt vmcnt(0) lgkmcnt(0)
	v_dual_mov_b32 v6, 0 :: v_dual_and_b32 v7, 0xff, v2
	s_delay_alu instid0(VALU_DEP_1)
	v_cmpx_ne_u16_e32 0, v7
	s_cbranch_execz .LBB464_3167
; %bb.3160:                             ;   in Loop: Header=BB464_1567 Depth=1
	v_bfrev_b32_e32 v6, 1
	s_mov_b32 s12, exec_lo
	v_cmpx_ne_u16_e32 0x80, v7
	s_cbranch_execz .LBB464_3166
; %bb.3161:                             ;   in Loop: Header=BB464_1567 Depth=1
	v_and_b32_e32 v7, 0x7f, v2
	v_mov_b32_e32 v6, 0x7f800001
	s_mov_b32 s13, exec_lo
	s_delay_alu instid0(VALU_DEP_2)
	v_cmpx_ne_u32_e32 0x7f, v7
	s_cbranch_execz .LBB464_3165
; %bb.3162:                             ;   in Loop: Header=BB464_1567 Depth=1
	v_lshrrev_b32_e32 v9, 3, v7
	v_cmp_gt_u32_e64 s0, 8, v7
	v_dual_mov_b32 v7, v3 :: v_dual_mov_b32 v6, v2
	s_delay_alu instid0(VALU_DEP_2)
	s_and_saveexec_b32 s15, s0
; %bb.3163:                             ;   in Loop: Header=BB464_1567 Depth=1
	v_and_b32_e32 v6, 7, v2
	s_delay_alu instid0(VALU_DEP_1) | instskip(NEXT) | instid1(VALU_DEP_1)
	v_clz_i32_u32_e32 v6, v6
	v_min_u32_e32 v9, 32, v6
	s_delay_alu instid0(VALU_DEP_1) | instskip(SKIP_1) | instid1(VALU_DEP_2)
	v_subrev_nc_u32_e32 v6, 28, v9
	v_sub_nc_u32_e32 v9, 29, v9
	v_lshlrev_b64 v[6:7], v6, v[2:3]
; %bb.3164:                             ;   in Loop: Header=BB464_1567 Depth=1
	s_or_b32 exec_lo, exec_lo, s15
	s_delay_alu instid0(VALU_DEP_1) | instskip(SKIP_2) | instid1(VALU_DEP_3)
	v_lshlrev_b32_e32 v6, 20, v6
	v_lshlrev_b32_e32 v7, 24, v2
	v_lshl_add_u32 v9, v9, 23, 0x3c000000
	v_and_b32_e32 v6, 0x700000, v6
	s_delay_alu instid0(VALU_DEP_3) | instskip(NEXT) | instid1(VALU_DEP_1)
	v_and_b32_e32 v7, 0x80000000, v7
	v_or3_b32 v6, v6, v7, v9
.LBB464_3165:                           ;   in Loop: Header=BB464_1567 Depth=1
	s_or_b32 exec_lo, exec_lo, s13
.LBB464_3166:                           ;   in Loop: Header=BB464_1567 Depth=1
	s_delay_alu instid0(SALU_CYCLE_1)
	s_or_b32 exec_lo, exec_lo, s12
.LBB464_3167:                           ;   in Loop: Header=BB464_1567 Depth=1
	s_delay_alu instid0(SALU_CYCLE_1) | instskip(NEXT) | instid1(VALU_DEP_1)
	s_or_b32 exec_lo, exec_lo, s9
	v_mul_f32_e32 v6, v26, v6
                                        ; implicit-def: $vgpr110
	s_delay_alu instid0(VALU_DEP_1) | instskip(NEXT) | instid1(VALU_DEP_1)
	v_and_b32_e32 v7, 0x7f800000, v6
	v_cmp_ne_u32_e64 s0, 0x7f800000, v7
	s_delay_alu instid0(VALU_DEP_1) | instskip(NEXT) | instid1(SALU_CYCLE_1)
	s_and_saveexec_b32 s9, s0
	s_xor_b32 s0, exec_lo, s9
; %bb.3168:                             ;   in Loop: Header=BB464_1567 Depth=1
	v_bfe_u32 v7, v6, 16, 1
	s_delay_alu instid0(VALU_DEP_1)
	v_add3_u32 v110, v6, v7, 0x7fff
                                        ; implicit-def: $vgpr6
; %bb.3169:                             ;   in Loop: Header=BB464_1567 Depth=1
	s_and_not1_saveexec_b32 s9, s0
; %bb.3170:                             ;   in Loop: Header=BB464_1567 Depth=1
	v_and_b32_e32 v7, 0xffff, v6
	v_or_b32_e32 v9, 0x10000, v6
	s_delay_alu instid0(VALU_DEP_2) | instskip(NEXT) | instid1(VALU_DEP_1)
	v_cmp_eq_u32_e64 s0, 0, v7
	v_cndmask_b32_e64 v110, v9, v6, s0
; %bb.3171:                             ;   in Loop: Header=BB464_1567 Depth=1
	s_or_b32 exec_lo, exec_lo, s9
	v_lshrrev_b16 v7, 8, v2
	v_mov_b32_e32 v6, 0
	s_mov_b32 s9, exec_lo
	s_delay_alu instid0(VALU_DEP_2)
	v_cmpx_ne_u16_e32 0, v7
	s_cbranch_execz .LBB464_3179
; %bb.3172:                             ;   in Loop: Header=BB464_1567 Depth=1
	v_bfrev_b32_e32 v6, 1
	s_mov_b32 s12, exec_lo
	v_cmpx_ne_u16_e32 0x80, v7
	s_cbranch_execz .LBB464_3178
; %bb.3173:                             ;   in Loop: Header=BB464_1567 Depth=1
	v_and_b32_e32 v9, 0xffff, v7
	v_mov_b32_e32 v6, 0x7f800001
	s_mov_b32 s13, exec_lo
	s_delay_alu instid0(VALU_DEP_2) | instskip(NEXT) | instid1(VALU_DEP_1)
	v_and_b32_e32 v7, 0x7f, v9
	v_cmpx_ne_u32_e32 0x7f, v7
	s_cbranch_execz .LBB464_3177
; %bb.3174:                             ;   in Loop: Header=BB464_1567 Depth=1
	v_and_b32_e32 v9, 7, v9
	v_lshrrev_b32_e32 v111, 3, v7
	v_cmp_gt_u32_e64 s0, 8, v7
	s_delay_alu instid0(VALU_DEP_3) | instskip(NEXT) | instid1(VALU_DEP_2)
	v_dual_mov_b32 v6, v9 :: v_dual_mov_b32 v7, v10
	s_and_saveexec_b32 s15, s0
; %bb.3175:                             ;   in Loop: Header=BB464_1567 Depth=1
	v_clz_i32_u32_e32 v6, v9
	s_delay_alu instid0(VALU_DEP_1) | instskip(NEXT) | instid1(VALU_DEP_1)
	v_min_u32_e32 v111, 32, v6
	v_subrev_nc_u32_e32 v6, 28, v111
	v_sub_nc_u32_e32 v111, 29, v111
	s_delay_alu instid0(VALU_DEP_2) | instskip(NEXT) | instid1(VALU_DEP_1)
	v_lshlrev_b64 v[6:7], v6, v[9:10]
	v_and_b32_e32 v6, 7, v6
; %bb.3176:                             ;   in Loop: Header=BB464_1567 Depth=1
	s_or_b32 exec_lo, exec_lo, s15
	v_lshlrev_b32_e32 v7, 16, v2
	s_delay_alu instid0(VALU_DEP_2) | instskip(SKIP_1) | instid1(VALU_DEP_3)
	v_lshlrev_b32_e32 v6, 20, v6
	v_lshl_add_u32 v9, v111, 23, 0x3c000000
	v_and_b32_e32 v7, 0x80000000, v7
	s_delay_alu instid0(VALU_DEP_1)
	v_or3_b32 v6, v6, v7, v9
.LBB464_3177:                           ;   in Loop: Header=BB464_1567 Depth=1
	s_or_b32 exec_lo, exec_lo, s13
.LBB464_3178:                           ;   in Loop: Header=BB464_1567 Depth=1
	s_delay_alu instid0(SALU_CYCLE_1)
	s_or_b32 exec_lo, exec_lo, s12
.LBB464_3179:                           ;   in Loop: Header=BB464_1567 Depth=1
	s_delay_alu instid0(SALU_CYCLE_1) | instskip(NEXT) | instid1(VALU_DEP_1)
	s_or_b32 exec_lo, exec_lo, s9
	v_mul_f32_e32 v6, v26, v6
                                        ; implicit-def: $vgpr111
	s_delay_alu instid0(VALU_DEP_1) | instskip(NEXT) | instid1(VALU_DEP_1)
	v_and_b32_e32 v7, 0x7f800000, v6
	v_cmp_ne_u32_e64 s0, 0x7f800000, v7
	s_delay_alu instid0(VALU_DEP_1) | instskip(NEXT) | instid1(SALU_CYCLE_1)
	s_and_saveexec_b32 s9, s0
	s_xor_b32 s0, exec_lo, s9
; %bb.3180:                             ;   in Loop: Header=BB464_1567 Depth=1
	v_bfe_u32 v7, v6, 16, 1
	s_delay_alu instid0(VALU_DEP_1)
	v_add3_u32 v111, v6, v7, 0x7fff
                                        ; implicit-def: $vgpr6
; %bb.3181:                             ;   in Loop: Header=BB464_1567 Depth=1
	s_and_not1_saveexec_b32 s9, s0
; %bb.3182:                             ;   in Loop: Header=BB464_1567 Depth=1
	v_and_b32_e32 v7, 0xffff, v6
	v_or_b32_e32 v9, 0x10000, v6
	s_delay_alu instid0(VALU_DEP_2) | instskip(NEXT) | instid1(VALU_DEP_1)
	v_cmp_eq_u32_e64 s0, 0, v7
	v_cndmask_b32_e64 v111, v9, v6, s0
; %bb.3183:                             ;   in Loop: Header=BB464_1567 Depth=1
	s_or_b32 exec_lo, exec_lo, s9
	v_lshrrev_b32_e32 v120, 16, v2
	s_mov_b32 s9, exec_lo
	s_delay_alu instid0(VALU_DEP_1) | instskip(NEXT) | instid1(VALU_DEP_1)
	v_dual_mov_b32 v6, 0 :: v_dual_and_b32 v7, 0xff, v120
	v_cmpx_ne_u16_e32 0, v7
	s_cbranch_execz .LBB464_3191
; %bb.3184:                             ;   in Loop: Header=BB464_1567 Depth=1
	v_bfrev_b32_e32 v6, 1
	s_mov_b32 s12, exec_lo
	v_cmpx_ne_u16_e32 0x80, v7
	s_cbranch_execz .LBB464_3190
; %bb.3185:                             ;   in Loop: Header=BB464_1567 Depth=1
	v_bfe_u32 v7, v2, 16, 7
	v_mov_b32_e32 v6, 0x7f800001
	s_mov_b32 s13, exec_lo
	s_delay_alu instid0(VALU_DEP_2)
	v_cmpx_ne_u32_e32 0x7f, v7
	s_cbranch_execz .LBB464_3189
; %bb.3186:                             ;   in Loop: Header=BB464_1567 Depth=1
	v_and_b32_e32 v9, 7, v120
	v_lshrrev_b32_e32 v121, 3, v7
	v_cmp_gt_u32_e64 s0, 8, v7
	s_delay_alu instid0(VALU_DEP_3) | instskip(NEXT) | instid1(VALU_DEP_2)
	v_dual_mov_b32 v6, v9 :: v_dual_mov_b32 v7, v10
	s_and_saveexec_b32 s15, s0
; %bb.3187:                             ;   in Loop: Header=BB464_1567 Depth=1
	v_clz_i32_u32_e32 v6, v9
	s_delay_alu instid0(VALU_DEP_1) | instskip(NEXT) | instid1(VALU_DEP_1)
	v_min_u32_e32 v121, 32, v6
	v_subrev_nc_u32_e32 v6, 28, v121
	v_sub_nc_u32_e32 v121, 29, v121
	s_delay_alu instid0(VALU_DEP_2) | instskip(NEXT) | instid1(VALU_DEP_1)
	v_lshlrev_b64 v[6:7], v6, v[9:10]
	v_and_b32_e32 v6, 7, v6
; %bb.3188:                             ;   in Loop: Header=BB464_1567 Depth=1
	s_or_b32 exec_lo, exec_lo, s15
	v_lshlrev_b32_e32 v7, 24, v120
	s_delay_alu instid0(VALU_DEP_2) | instskip(SKIP_1) | instid1(VALU_DEP_3)
	v_lshlrev_b32_e32 v6, 20, v6
	v_lshl_add_u32 v9, v121, 23, 0x3c000000
	v_and_b32_e32 v7, 0x80000000, v7
	s_delay_alu instid0(VALU_DEP_1)
	v_or3_b32 v6, v6, v7, v9
.LBB464_3189:                           ;   in Loop: Header=BB464_1567 Depth=1
	s_or_b32 exec_lo, exec_lo, s13
.LBB464_3190:                           ;   in Loop: Header=BB464_1567 Depth=1
	s_delay_alu instid0(SALU_CYCLE_1)
	s_or_b32 exec_lo, exec_lo, s12
.LBB464_3191:                           ;   in Loop: Header=BB464_1567 Depth=1
	s_delay_alu instid0(SALU_CYCLE_1) | instskip(NEXT) | instid1(VALU_DEP_1)
	s_or_b32 exec_lo, exec_lo, s9
	v_mul_f32_e32 v6, v26, v6
                                        ; implicit-def: $vgpr120
	s_delay_alu instid0(VALU_DEP_1) | instskip(NEXT) | instid1(VALU_DEP_1)
	v_and_b32_e32 v7, 0x7f800000, v6
	v_cmp_ne_u32_e64 s0, 0x7f800000, v7
	s_delay_alu instid0(VALU_DEP_1) | instskip(NEXT) | instid1(SALU_CYCLE_1)
	s_and_saveexec_b32 s9, s0
	s_xor_b32 s0, exec_lo, s9
; %bb.3192:                             ;   in Loop: Header=BB464_1567 Depth=1
	v_bfe_u32 v7, v6, 16, 1
	s_delay_alu instid0(VALU_DEP_1)
	v_add3_u32 v120, v6, v7, 0x7fff
                                        ; implicit-def: $vgpr6
; %bb.3193:                             ;   in Loop: Header=BB464_1567 Depth=1
	s_and_not1_saveexec_b32 s9, s0
; %bb.3194:                             ;   in Loop: Header=BB464_1567 Depth=1
	v_and_b32_e32 v7, 0xffff, v6
	v_or_b32_e32 v9, 0x10000, v6
	s_delay_alu instid0(VALU_DEP_2) | instskip(NEXT) | instid1(VALU_DEP_1)
	v_cmp_eq_u32_e64 s0, 0, v7
	v_cndmask_b32_e64 v120, v9, v6, s0
; %bb.3195:                             ;   in Loop: Header=BB464_1567 Depth=1
	s_or_b32 exec_lo, exec_lo, s9
	v_mov_b32_e32 v6, 0
	s_mov_b32 s9, exec_lo
	v_cmpx_lt_u32_e32 0xffffff, v2
	s_cbranch_execz .LBB464_3203
; %bb.3196:                             ;   in Loop: Header=BB464_1567 Depth=1
	v_lshrrev_b32_e32 v121, 24, v2
	v_bfrev_b32_e32 v6, 1
	s_mov_b32 s12, exec_lo
	s_delay_alu instid0(VALU_DEP_2)
	v_cmpx_ne_u32_e32 0x80, v121
	s_cbranch_execz .LBB464_3202
; %bb.3197:                             ;   in Loop: Header=BB464_1567 Depth=1
	v_bfe_u32 v7, v2, 24, 7
	v_mov_b32_e32 v6, 0x7f800001
	s_mov_b32 s13, exec_lo
	s_delay_alu instid0(VALU_DEP_2)
	v_cmpx_ne_u32_e32 0x7f, v7
	s_cbranch_execz .LBB464_3201
; %bb.3198:                             ;   in Loop: Header=BB464_1567 Depth=1
	v_and_b32_e32 v9, 7, v121
	v_lshrrev_b32_e32 v122, 3, v7
	v_cmp_gt_u32_e64 s0, 8, v7
	s_delay_alu instid0(VALU_DEP_3) | instskip(NEXT) | instid1(VALU_DEP_2)
	v_dual_mov_b32 v6, v9 :: v_dual_mov_b32 v7, v10
	s_and_saveexec_b32 s15, s0
; %bb.3199:                             ;   in Loop: Header=BB464_1567 Depth=1
	v_clz_i32_u32_e32 v6, v9
	s_delay_alu instid0(VALU_DEP_1) | instskip(NEXT) | instid1(VALU_DEP_1)
	v_min_u32_e32 v122, 32, v6
	v_subrev_nc_u32_e32 v6, 28, v122
	v_sub_nc_u32_e32 v122, 29, v122
	s_delay_alu instid0(VALU_DEP_2) | instskip(NEXT) | instid1(VALU_DEP_1)
	v_lshlrev_b64 v[6:7], v6, v[9:10]
	v_and_b32_e32 v6, 7, v6
; %bb.3200:                             ;   in Loop: Header=BB464_1567 Depth=1
	s_or_b32 exec_lo, exec_lo, s15
	v_lshlrev_b32_e32 v7, 24, v121
	s_delay_alu instid0(VALU_DEP_2) | instskip(SKIP_1) | instid1(VALU_DEP_3)
	v_lshlrev_b32_e32 v6, 20, v6
	v_lshl_add_u32 v9, v122, 23, 0x3c000000
	v_and_b32_e32 v7, 0x80000000, v7
	s_delay_alu instid0(VALU_DEP_1)
	v_or3_b32 v6, v6, v7, v9
.LBB464_3201:                           ;   in Loop: Header=BB464_1567 Depth=1
	s_or_b32 exec_lo, exec_lo, s13
.LBB464_3202:                           ;   in Loop: Header=BB464_1567 Depth=1
	s_delay_alu instid0(SALU_CYCLE_1)
	s_or_b32 exec_lo, exec_lo, s12
.LBB464_3203:                           ;   in Loop: Header=BB464_1567 Depth=1
	s_delay_alu instid0(SALU_CYCLE_1) | instskip(NEXT) | instid1(VALU_DEP_1)
	s_or_b32 exec_lo, exec_lo, s9
	v_mul_f32_e32 v6, v26, v6
                                        ; implicit-def: $vgpr121
	s_delay_alu instid0(VALU_DEP_1) | instskip(NEXT) | instid1(VALU_DEP_1)
	v_and_b32_e32 v7, 0x7f800000, v6
	v_cmp_ne_u32_e64 s0, 0x7f800000, v7
	s_delay_alu instid0(VALU_DEP_1) | instskip(NEXT) | instid1(SALU_CYCLE_1)
	s_and_saveexec_b32 s9, s0
	s_xor_b32 s0, exec_lo, s9
; %bb.3204:                             ;   in Loop: Header=BB464_1567 Depth=1
	v_bfe_u32 v7, v6, 16, 1
	s_delay_alu instid0(VALU_DEP_1)
	v_add3_u32 v121, v6, v7, 0x7fff
                                        ; implicit-def: $vgpr6
; %bb.3205:                             ;   in Loop: Header=BB464_1567 Depth=1
	s_and_not1_saveexec_b32 s9, s0
; %bb.3206:                             ;   in Loop: Header=BB464_1567 Depth=1
	v_and_b32_e32 v7, 0xffff, v6
	v_or_b32_e32 v9, 0x10000, v6
	s_delay_alu instid0(VALU_DEP_2) | instskip(NEXT) | instid1(VALU_DEP_1)
	v_cmp_eq_u32_e64 s0, 0, v7
	v_cndmask_b32_e64 v121, v9, v6, s0
; %bb.3207:                             ;   in Loop: Header=BB464_1567 Depth=1
	s_or_b32 exec_lo, exec_lo, s9
	v_dual_mov_b32 v6, 0 :: v_dual_and_b32 v7, 0xff, v3
	v_mov_b32_e32 v9, v3
	s_mov_b32 s9, exec_lo
	s_delay_alu instid0(VALU_DEP_2)
	v_cmpx_ne_u16_e32 0, v7
	s_cbranch_execz .LBB464_3215
; %bb.3208:                             ;   in Loop: Header=BB464_1567 Depth=1
	v_bfrev_b32_e32 v6, 1
	s_mov_b32 s12, exec_lo
	v_cmpx_ne_u16_e32 0x80, v7
	s_cbranch_execz .LBB464_3214
; %bb.3209:                             ;   in Loop: Header=BB464_1567 Depth=1
	v_and_b32_e32 v7, 0x7f, v3
	v_mov_b32_e32 v6, 0x7f800001
	s_mov_b32 s13, exec_lo
	s_delay_alu instid0(VALU_DEP_2)
	v_cmpx_ne_u32_e32 0x7f, v7
	s_cbranch_execz .LBB464_3213
; %bb.3210:                             ;   in Loop: Header=BB464_1567 Depth=1
	v_lshrrev_b32_e32 v122, 3, v7
	v_cmp_gt_u32_e64 s0, 8, v7
	v_dual_mov_b32 v6, v9 :: v_dual_mov_b32 v7, v10
	s_delay_alu instid0(VALU_DEP_2)
	s_and_saveexec_b32 s15, s0
; %bb.3211:                             ;   in Loop: Header=BB464_1567 Depth=1
	v_and_b32_e32 v6, 7, v3
	s_delay_alu instid0(VALU_DEP_1) | instskip(NEXT) | instid1(VALU_DEP_1)
	v_clz_i32_u32_e32 v6, v6
	v_min_u32_e32 v122, 32, v6
	s_delay_alu instid0(VALU_DEP_1) | instskip(SKIP_1) | instid1(VALU_DEP_2)
	v_subrev_nc_u32_e32 v6, 28, v122
	v_sub_nc_u32_e32 v122, 29, v122
	v_lshlrev_b64 v[6:7], v6, v[9:10]
; %bb.3212:                             ;   in Loop: Header=BB464_1567 Depth=1
	s_or_b32 exec_lo, exec_lo, s15
	s_delay_alu instid0(VALU_DEP_1) | instskip(SKIP_2) | instid1(VALU_DEP_3)
	v_lshlrev_b32_e32 v6, 20, v6
	v_lshlrev_b32_e32 v7, 24, v9
	v_lshl_add_u32 v122, v122, 23, 0x3c000000
	v_and_b32_e32 v6, 0x700000, v6
	s_delay_alu instid0(VALU_DEP_3) | instskip(NEXT) | instid1(VALU_DEP_1)
	v_and_b32_e32 v7, 0x80000000, v7
	v_or3_b32 v6, v6, v7, v122
.LBB464_3213:                           ;   in Loop: Header=BB464_1567 Depth=1
	s_or_b32 exec_lo, exec_lo, s13
.LBB464_3214:                           ;   in Loop: Header=BB464_1567 Depth=1
	s_delay_alu instid0(SALU_CYCLE_1)
	s_or_b32 exec_lo, exec_lo, s12
.LBB464_3215:                           ;   in Loop: Header=BB464_1567 Depth=1
	s_delay_alu instid0(SALU_CYCLE_1) | instskip(NEXT) | instid1(VALU_DEP_1)
	s_or_b32 exec_lo, exec_lo, s9
	v_mul_f32_e32 v6, v26, v6
                                        ; implicit-def: $vgpr122
	s_delay_alu instid0(VALU_DEP_1) | instskip(NEXT) | instid1(VALU_DEP_1)
	v_and_b32_e32 v7, 0x7f800000, v6
	v_cmp_ne_u32_e64 s0, 0x7f800000, v7
	s_delay_alu instid0(VALU_DEP_1) | instskip(NEXT) | instid1(SALU_CYCLE_1)
	s_and_saveexec_b32 s9, s0
	s_xor_b32 s0, exec_lo, s9
; %bb.3216:                             ;   in Loop: Header=BB464_1567 Depth=1
	v_bfe_u32 v7, v6, 16, 1
	s_delay_alu instid0(VALU_DEP_1)
	v_add3_u32 v122, v6, v7, 0x7fff
                                        ; implicit-def: $vgpr6
; %bb.3217:                             ;   in Loop: Header=BB464_1567 Depth=1
	s_and_not1_saveexec_b32 s9, s0
; %bb.3218:                             ;   in Loop: Header=BB464_1567 Depth=1
	v_and_b32_e32 v7, 0xffff, v6
	v_or_b32_e32 v122, 0x10000, v6
	s_delay_alu instid0(VALU_DEP_2) | instskip(NEXT) | instid1(VALU_DEP_1)
	v_cmp_eq_u32_e64 s0, 0, v7
	v_cndmask_b32_e64 v122, v122, v6, s0
; %bb.3219:                             ;   in Loop: Header=BB464_1567 Depth=1
	s_or_b32 exec_lo, exec_lo, s9
	v_lshrrev_b16 v7, 8, v9
	v_mov_b32_e32 v6, 0
	s_mov_b32 s9, exec_lo
	s_delay_alu instid0(VALU_DEP_2)
	v_cmpx_ne_u16_e32 0, v7
	s_cbranch_execz .LBB464_3227
; %bb.3220:                             ;   in Loop: Header=BB464_1567 Depth=1
	v_bfrev_b32_e32 v6, 1
	s_mov_b32 s12, exec_lo
	v_cmpx_ne_u16_e32 0x80, v7
	s_cbranch_execz .LBB464_3226
; %bb.3221:                             ;   in Loop: Header=BB464_1567 Depth=1
	v_and_b32_e32 v7, 0xffff, v7
	v_mov_b32_e32 v6, 0x7f800001
	s_mov_b32 s13, exec_lo
	s_delay_alu instid0(VALU_DEP_2) | instskip(NEXT) | instid1(VALU_DEP_1)
	v_and_b32_e32 v124, 0x7f, v7
	v_cmpx_ne_u32_e32 0x7f, v124
	s_cbranch_execz .LBB464_3225
; %bb.3222:                             ;   in Loop: Header=BB464_1567 Depth=1
	v_dual_mov_b32 v7, v10 :: v_dual_and_b32 v6, 7, v7
	v_lshrrev_b32_e32 v123, 3, v124
	s_mov_b32 s15, exec_lo
	v_cmpx_gt_u32_e32 8, v124
; %bb.3223:                             ;   in Loop: Header=BB464_1567 Depth=1
	s_delay_alu instid0(VALU_DEP_3) | instskip(NEXT) | instid1(VALU_DEP_1)
	v_clz_i32_u32_e32 v123, v6
	v_min_u32_e32 v123, 32, v123
	s_delay_alu instid0(VALU_DEP_1) | instskip(SKIP_1) | instid1(VALU_DEP_2)
	v_subrev_nc_u32_e32 v124, 28, v123
	v_sub_nc_u32_e32 v123, 29, v123
	v_lshlrev_b64 v[6:7], v124, v[6:7]
	s_delay_alu instid0(VALU_DEP_1)
	v_and_b32_e32 v6, 7, v6
; %bb.3224:                             ;   in Loop: Header=BB464_1567 Depth=1
	s_or_b32 exec_lo, exec_lo, s15
	v_lshlrev_b32_e32 v7, 16, v9
	s_delay_alu instid0(VALU_DEP_2) | instskip(SKIP_1) | instid1(VALU_DEP_3)
	v_lshlrev_b32_e32 v6, 20, v6
	v_lshl_add_u32 v9, v123, 23, 0x3c000000
	v_and_b32_e32 v7, 0x80000000, v7
	s_delay_alu instid0(VALU_DEP_1)
	v_or3_b32 v6, v6, v7, v9
.LBB464_3225:                           ;   in Loop: Header=BB464_1567 Depth=1
	s_or_b32 exec_lo, exec_lo, s13
.LBB464_3226:                           ;   in Loop: Header=BB464_1567 Depth=1
	s_delay_alu instid0(SALU_CYCLE_1)
	s_or_b32 exec_lo, exec_lo, s12
.LBB464_3227:                           ;   in Loop: Header=BB464_1567 Depth=1
	s_delay_alu instid0(SALU_CYCLE_1) | instskip(NEXT) | instid1(VALU_DEP_1)
	s_or_b32 exec_lo, exec_lo, s9
	v_mul_f32_e32 v6, v26, v6
                                        ; implicit-def: $vgpr123
	s_delay_alu instid0(VALU_DEP_1) | instskip(NEXT) | instid1(VALU_DEP_1)
	v_and_b32_e32 v7, 0x7f800000, v6
	v_cmp_ne_u32_e64 s0, 0x7f800000, v7
	s_delay_alu instid0(VALU_DEP_1) | instskip(NEXT) | instid1(SALU_CYCLE_1)
	s_and_saveexec_b32 s9, s0
	s_xor_b32 s0, exec_lo, s9
; %bb.3228:                             ;   in Loop: Header=BB464_1567 Depth=1
	v_bfe_u32 v7, v6, 16, 1
	s_delay_alu instid0(VALU_DEP_1)
	v_add3_u32 v123, v6, v7, 0x7fff
                                        ; implicit-def: $vgpr6
; %bb.3229:                             ;   in Loop: Header=BB464_1567 Depth=1
	s_and_not1_saveexec_b32 s9, s0
; %bb.3230:                             ;   in Loop: Header=BB464_1567 Depth=1
	v_and_b32_e32 v7, 0xffff, v6
	v_or_b32_e32 v9, 0x10000, v6
	s_delay_alu instid0(VALU_DEP_2) | instskip(NEXT) | instid1(VALU_DEP_1)
	v_cmp_eq_u32_e64 s0, 0, v7
	v_cndmask_b32_e64 v123, v9, v6, s0
; %bb.3231:                             ;   in Loop: Header=BB464_1567 Depth=1
	s_or_b32 exec_lo, exec_lo, s9
	v_lshrrev_b32_e32 v124, 16, v3
	s_mov_b32 s9, exec_lo
	s_delay_alu instid0(VALU_DEP_1) | instskip(NEXT) | instid1(VALU_DEP_1)
	v_dual_mov_b32 v6, 0 :: v_dual_and_b32 v7, 0xff, v124
	v_cmpx_ne_u16_e32 0, v7
	s_cbranch_execz .LBB464_3239
; %bb.3232:                             ;   in Loop: Header=BB464_1567 Depth=1
	v_bfrev_b32_e32 v6, 1
	s_mov_b32 s12, exec_lo
	v_cmpx_ne_u16_e32 0x80, v7
	s_cbranch_execz .LBB464_3238
; %bb.3233:                             ;   in Loop: Header=BB464_1567 Depth=1
	v_bfe_u32 v7, v3, 16, 7
	v_mov_b32_e32 v6, 0x7f800001
	s_mov_b32 s13, exec_lo
	s_delay_alu instid0(VALU_DEP_2)
	v_cmpx_ne_u32_e32 0x7f, v7
	s_cbranch_execz .LBB464_3237
; %bb.3234:                             ;   in Loop: Header=BB464_1567 Depth=1
	v_and_b32_e32 v9, 7, v124
	v_lshrrev_b32_e32 v125, 3, v7
	v_cmp_gt_u32_e64 s0, 8, v7
	s_delay_alu instid0(VALU_DEP_3) | instskip(NEXT) | instid1(VALU_DEP_2)
	v_dual_mov_b32 v6, v9 :: v_dual_mov_b32 v7, v10
	s_and_saveexec_b32 s15, s0
; %bb.3235:                             ;   in Loop: Header=BB464_1567 Depth=1
	v_clz_i32_u32_e32 v6, v9
	s_delay_alu instid0(VALU_DEP_1) | instskip(NEXT) | instid1(VALU_DEP_1)
	v_min_u32_e32 v125, 32, v6
	v_subrev_nc_u32_e32 v6, 28, v125
	v_sub_nc_u32_e32 v125, 29, v125
	s_delay_alu instid0(VALU_DEP_2) | instskip(NEXT) | instid1(VALU_DEP_1)
	v_lshlrev_b64 v[6:7], v6, v[9:10]
	v_and_b32_e32 v6, 7, v6
; %bb.3236:                             ;   in Loop: Header=BB464_1567 Depth=1
	s_or_b32 exec_lo, exec_lo, s15
	v_lshlrev_b32_e32 v7, 24, v124
	s_delay_alu instid0(VALU_DEP_2) | instskip(SKIP_1) | instid1(VALU_DEP_3)
	v_lshlrev_b32_e32 v6, 20, v6
	v_lshl_add_u32 v9, v125, 23, 0x3c000000
	v_and_b32_e32 v7, 0x80000000, v7
	s_delay_alu instid0(VALU_DEP_1)
	v_or3_b32 v6, v6, v7, v9
.LBB464_3237:                           ;   in Loop: Header=BB464_1567 Depth=1
	s_or_b32 exec_lo, exec_lo, s13
.LBB464_3238:                           ;   in Loop: Header=BB464_1567 Depth=1
	s_delay_alu instid0(SALU_CYCLE_1)
	s_or_b32 exec_lo, exec_lo, s12
.LBB464_3239:                           ;   in Loop: Header=BB464_1567 Depth=1
	s_delay_alu instid0(SALU_CYCLE_1) | instskip(NEXT) | instid1(VALU_DEP_1)
	s_or_b32 exec_lo, exec_lo, s9
	v_mul_f32_e32 v6, v26, v6
                                        ; implicit-def: $vgpr124
	s_delay_alu instid0(VALU_DEP_1) | instskip(NEXT) | instid1(VALU_DEP_1)
	v_and_b32_e32 v7, 0x7f800000, v6
	v_cmp_ne_u32_e64 s0, 0x7f800000, v7
	s_delay_alu instid0(VALU_DEP_1) | instskip(NEXT) | instid1(SALU_CYCLE_1)
	s_and_saveexec_b32 s9, s0
	s_xor_b32 s0, exec_lo, s9
; %bb.3240:                             ;   in Loop: Header=BB464_1567 Depth=1
	v_bfe_u32 v7, v6, 16, 1
	s_delay_alu instid0(VALU_DEP_1)
	v_add3_u32 v124, v6, v7, 0x7fff
                                        ; implicit-def: $vgpr6
; %bb.3241:                             ;   in Loop: Header=BB464_1567 Depth=1
	s_and_not1_saveexec_b32 s9, s0
; %bb.3242:                             ;   in Loop: Header=BB464_1567 Depth=1
	v_and_b32_e32 v7, 0xffff, v6
	v_or_b32_e32 v9, 0x10000, v6
	s_delay_alu instid0(VALU_DEP_2) | instskip(NEXT) | instid1(VALU_DEP_1)
	v_cmp_eq_u32_e64 s0, 0, v7
	v_cndmask_b32_e64 v124, v9, v6, s0
; %bb.3243:                             ;   in Loop: Header=BB464_1567 Depth=1
	s_or_b32 exec_lo, exec_lo, s9
	v_cmp_lt_u64_e64 s0, s[2:3], v[2:3]
	v_mov_b32_e32 v2, 0
	s_delay_alu instid0(VALU_DEP_2)
	s_and_saveexec_b32 s9, s0
	s_cbranch_execz .LBB464_3251
; %bb.3244:                             ;   in Loop: Header=BB464_1567 Depth=1
	v_lshrrev_b32_e32 v6, 24, v3
	v_bfrev_b32_e32 v2, 1
	s_mov_b32 s12, exec_lo
	s_delay_alu instid0(VALU_DEP_2)
	v_cmpx_ne_u32_e32 0x80, v6
	s_cbranch_execz .LBB464_3250
; %bb.3245:                             ;   in Loop: Header=BB464_1567 Depth=1
	v_bfe_u32 v3, v3, 24, 7
	v_mov_b32_e32 v2, 0x7f800001
	s_mov_b32 s13, exec_lo
	s_delay_alu instid0(VALU_DEP_2)
	v_cmpx_ne_u32_e32 0x7f, v3
	s_cbranch_execz .LBB464_3249
; %bb.3246:                             ;   in Loop: Header=BB464_1567 Depth=1
	v_and_b32_e32 v9, 7, v6
	v_lshrrev_b32_e32 v7, 3, v3
	v_cmp_gt_u32_e64 s0, 8, v3
	s_delay_alu instid0(VALU_DEP_3) | instskip(NEXT) | instid1(VALU_DEP_2)
	v_dual_mov_b32 v2, v9 :: v_dual_mov_b32 v3, v10
	s_and_saveexec_b32 s15, s0
; %bb.3247:                             ;   in Loop: Header=BB464_1567 Depth=1
	v_clz_i32_u32_e32 v2, v9
	s_delay_alu instid0(VALU_DEP_1) | instskip(NEXT) | instid1(VALU_DEP_1)
	v_min_u32_e32 v7, 32, v2
	v_subrev_nc_u32_e32 v2, 28, v7
	v_sub_nc_u32_e32 v7, 29, v7
	s_delay_alu instid0(VALU_DEP_2) | instskip(NEXT) | instid1(VALU_DEP_1)
	v_lshlrev_b64 v[2:3], v2, v[9:10]
	v_and_b32_e32 v2, 7, v2
; %bb.3248:                             ;   in Loop: Header=BB464_1567 Depth=1
	s_or_b32 exec_lo, exec_lo, s15
	v_lshlrev_b32_e32 v3, 24, v6
	s_delay_alu instid0(VALU_DEP_2) | instskip(SKIP_1) | instid1(VALU_DEP_3)
	v_lshlrev_b32_e32 v2, 20, v2
	v_lshl_add_u32 v6, v7, 23, 0x3c000000
	v_and_b32_e32 v3, 0x80000000, v3
	s_delay_alu instid0(VALU_DEP_1)
	v_or3_b32 v2, v2, v3, v6
.LBB464_3249:                           ;   in Loop: Header=BB464_1567 Depth=1
	s_or_b32 exec_lo, exec_lo, s13
.LBB464_3250:                           ;   in Loop: Header=BB464_1567 Depth=1
	s_delay_alu instid0(SALU_CYCLE_1)
	s_or_b32 exec_lo, exec_lo, s12
.LBB464_3251:                           ;   in Loop: Header=BB464_1567 Depth=1
	s_delay_alu instid0(SALU_CYCLE_1) | instskip(NEXT) | instid1(VALU_DEP_1)
	s_or_b32 exec_lo, exec_lo, s9
	v_mul_f32_e32 v3, v26, v2
	s_delay_alu instid0(VALU_DEP_1) | instskip(NEXT) | instid1(VALU_DEP_1)
	v_and_b32_e32 v2, 0x7f800000, v3
	v_cmp_ne_u32_e64 s0, 0x7f800000, v2
                                        ; implicit-def: $vgpr2
	s_delay_alu instid0(VALU_DEP_1) | instskip(NEXT) | instid1(SALU_CYCLE_1)
	s_and_saveexec_b32 s9, s0
	s_xor_b32 s0, exec_lo, s9
; %bb.3252:                             ;   in Loop: Header=BB464_1567 Depth=1
	v_bfe_u32 v2, v3, 16, 1
	s_delay_alu instid0(VALU_DEP_1)
	v_add3_u32 v2, v3, v2, 0x7fff
                                        ; implicit-def: $vgpr3
; %bb.3253:                             ;   in Loop: Header=BB464_1567 Depth=1
	s_and_not1_saveexec_b32 s9, s0
; %bb.3254:                             ;   in Loop: Header=BB464_1567 Depth=1
	v_and_b32_e32 v2, 0xffff, v3
	v_or_b32_e32 v6, 0x10000, v3
	s_delay_alu instid0(VALU_DEP_2) | instskip(NEXT) | instid1(VALU_DEP_1)
	v_cmp_eq_u32_e64 s0, 0, v2
	v_cndmask_b32_e64 v2, v6, v3, s0
; %bb.3255:                             ;   in Loop: Header=BB464_1567 Depth=1
	s_or_b32 exec_lo, exec_lo, s9
	v_lshrrev_b32_e32 v6, 16, v123
	v_lshrrev_b32_e32 v7, 16, v122
	;; [unrolled: 1-line block ×8, first 2 shown]
	s_and_saveexec_b32 s9, vcc_lo
	s_cbranch_execz .LBB464_3257
; %bb.3256:                             ;   in Loop: Header=BB464_1567 Depth=1
	v_cmp_lt_i32_e64 s0, v68, v36
	s_delay_alu instid0(VALU_DEP_1) | instskip(SKIP_1) | instid1(VALU_DEP_1)
	v_cndmask_b32_e64 v110, 0, v110, s0
	v_cmp_lt_i32_e64 s0, v82, v36
	v_cndmask_b32_e64 v111, 0, v111, s0
	v_cmp_lt_i32_e64 s0, v81, v36
	s_delay_alu instid0(VALU_DEP_1) | instskip(SKIP_1) | instid1(VALU_DEP_1)
	v_cndmask_b32_e64 v120, 0, v120, s0
	v_cmp_lt_i32_e64 s0, v80, v36
	v_cndmask_b32_e64 v9, 0, v9, s0
	;; [unrolled: 5-line block ×4, first 2 shown]
.LBB464_3257:                           ;   in Loop: Header=BB464_1567 Depth=1
	s_or_b32 exec_lo, exec_lo, s9
	v_lshlrev_b32_e32 v110, 16, v110
	s_delay_alu instid0(VALU_DEP_1) | instskip(NEXT) | instid1(VALU_DEP_1)
	v_mul_f32_e32 v121, v83, v110
	v_and_b32_e32 v110, 0x7f800000, v121
	s_delay_alu instid0(VALU_DEP_1) | instskip(NEXT) | instid1(VALU_DEP_1)
	v_cmp_ne_u32_e64 s0, 0x7f800000, v110
                                        ; implicit-def: $vgpr110
	s_and_saveexec_b32 s9, s0
	s_delay_alu instid0(SALU_CYCLE_1)
	s_xor_b32 s0, exec_lo, s9
; %bb.3258:                             ;   in Loop: Header=BB464_1567 Depth=1
	v_bfe_u32 v110, v121, 16, 1
	s_delay_alu instid0(VALU_DEP_1)
	v_add3_u32 v110, v121, v110, 0x7fff
                                        ; implicit-def: $vgpr121
; %bb.3259:                             ;   in Loop: Header=BB464_1567 Depth=1
	s_and_not1_saveexec_b32 s9, s0
; %bb.3260:                             ;   in Loop: Header=BB464_1567 Depth=1
	v_and_b32_e32 v110, 0xffff, v121
	v_or_b32_e32 v122, 0x10000, v121
	s_delay_alu instid0(VALU_DEP_2) | instskip(NEXT) | instid1(VALU_DEP_1)
	v_cmp_eq_u32_e64 s0, 0, v110
	v_cndmask_b32_e64 v110, v122, v121, s0
; %bb.3261:                             ;   in Loop: Header=BB464_1567 Depth=1
	s_or_b32 exec_lo, exec_lo, s9
	v_lshlrev_b32_e32 v111, 16, v111
	s_delay_alu instid0(VALU_DEP_1) | instskip(NEXT) | instid1(VALU_DEP_1)
	v_mul_f32_e32 v121, v84, v111
	v_and_b32_e32 v111, 0x7f800000, v121
	s_delay_alu instid0(VALU_DEP_1) | instskip(NEXT) | instid1(VALU_DEP_1)
	v_cmp_ne_u32_e64 s0, 0x7f800000, v111
                                        ; implicit-def: $vgpr111
	s_and_saveexec_b32 s9, s0
	s_delay_alu instid0(SALU_CYCLE_1)
	s_xor_b32 s0, exec_lo, s9
; %bb.3262:                             ;   in Loop: Header=BB464_1567 Depth=1
	v_bfe_u32 v111, v121, 16, 1
	s_delay_alu instid0(VALU_DEP_1)
	v_add3_u32 v111, v121, v111, 0x7fff
                                        ; implicit-def: $vgpr121
; %bb.3263:                             ;   in Loop: Header=BB464_1567 Depth=1
	s_and_not1_saveexec_b32 s9, s0
; %bb.3264:                             ;   in Loop: Header=BB464_1567 Depth=1
	v_and_b32_e32 v111, 0xffff, v121
	v_or_b32_e32 v122, 0x10000, v121
	s_delay_alu instid0(VALU_DEP_2) | instskip(NEXT) | instid1(VALU_DEP_1)
	v_cmp_eq_u32_e64 s0, 0, v111
	v_cndmask_b32_e64 v111, v122, v121, s0
; %bb.3265:                             ;   in Loop: Header=BB464_1567 Depth=1
	s_or_b32 exec_lo, exec_lo, s9
	v_lshlrev_b32_e32 v120, 16, v120
	s_delay_alu instid0(VALU_DEP_1) | instskip(NEXT) | instid1(VALU_DEP_1)
	v_mul_f32_e32 v121, v85, v120
	v_and_b32_e32 v120, 0x7f800000, v121
	s_delay_alu instid0(VALU_DEP_1) | instskip(NEXT) | instid1(VALU_DEP_1)
	v_cmp_ne_u32_e64 s0, 0x7f800000, v120
                                        ; implicit-def: $vgpr120
	s_and_saveexec_b32 s9, s0
	s_delay_alu instid0(SALU_CYCLE_1)
	s_xor_b32 s0, exec_lo, s9
; %bb.3266:                             ;   in Loop: Header=BB464_1567 Depth=1
	v_bfe_u32 v120, v121, 16, 1
	s_delay_alu instid0(VALU_DEP_1)
	v_add3_u32 v120, v121, v120, 0x7fff
                                        ; implicit-def: $vgpr121
; %bb.3267:                             ;   in Loop: Header=BB464_1567 Depth=1
	s_and_not1_saveexec_b32 s9, s0
; %bb.3268:                             ;   in Loop: Header=BB464_1567 Depth=1
	v_and_b32_e32 v120, 0xffff, v121
	v_or_b32_e32 v122, 0x10000, v121
	s_delay_alu instid0(VALU_DEP_2) | instskip(NEXT) | instid1(VALU_DEP_1)
	v_cmp_eq_u32_e64 s0, 0, v120
	v_cndmask_b32_e64 v120, v122, v121, s0
; %bb.3269:                             ;   in Loop: Header=BB464_1567 Depth=1
	s_or_b32 exec_lo, exec_lo, s9
	v_lshlrev_b32_e32 v9, 16, v9
	s_delay_alu instid0(VALU_DEP_1) | instskip(NEXT) | instid1(VALU_DEP_1)
	v_mul_f32_e32 v9, v86, v9
	v_and_b32_e32 v121, 0x7f800000, v9
	s_delay_alu instid0(VALU_DEP_1) | instskip(NEXT) | instid1(VALU_DEP_1)
	v_cmp_ne_u32_e64 s0, 0x7f800000, v121
                                        ; implicit-def: $vgpr121
	s_and_saveexec_b32 s9, s0
	s_delay_alu instid0(SALU_CYCLE_1)
	s_xor_b32 s0, exec_lo, s9
; %bb.3270:                             ;   in Loop: Header=BB464_1567 Depth=1
	v_bfe_u32 v121, v9, 16, 1
	s_delay_alu instid0(VALU_DEP_1)
	v_add3_u32 v121, v9, v121, 0x7fff
                                        ; implicit-def: $vgpr9
; %bb.3271:                             ;   in Loop: Header=BB464_1567 Depth=1
	s_and_not1_saveexec_b32 s9, s0
; %bb.3272:                             ;   in Loop: Header=BB464_1567 Depth=1
	v_and_b32_e32 v121, 0xffff, v9
	v_or_b32_e32 v122, 0x10000, v9
	s_delay_alu instid0(VALU_DEP_2) | instskip(NEXT) | instid1(VALU_DEP_1)
	v_cmp_eq_u32_e64 s0, 0, v121
	v_cndmask_b32_e64 v121, v122, v9, s0
; %bb.3273:                             ;   in Loop: Header=BB464_1567 Depth=1
	s_or_b32 exec_lo, exec_lo, s9
	v_lshlrev_b32_e32 v7, 16, v7
                                        ; implicit-def: $vgpr122
	s_delay_alu instid0(VALU_DEP_1) | instskip(NEXT) | instid1(VALU_DEP_1)
	v_mul_f32_e32 v7, v87, v7
	v_and_b32_e32 v9, 0x7f800000, v7
	s_delay_alu instid0(VALU_DEP_1) | instskip(NEXT) | instid1(VALU_DEP_1)
	v_cmp_ne_u32_e64 s0, 0x7f800000, v9
	s_and_saveexec_b32 s9, s0
	s_delay_alu instid0(SALU_CYCLE_1)
	s_xor_b32 s0, exec_lo, s9
; %bb.3274:                             ;   in Loop: Header=BB464_1567 Depth=1
	v_bfe_u32 v9, v7, 16, 1
	s_delay_alu instid0(VALU_DEP_1)
	v_add3_u32 v122, v7, v9, 0x7fff
                                        ; implicit-def: $vgpr7
; %bb.3275:                             ;   in Loop: Header=BB464_1567 Depth=1
	s_and_not1_saveexec_b32 s9, s0
; %bb.3276:                             ;   in Loop: Header=BB464_1567 Depth=1
	v_and_b32_e32 v9, 0xffff, v7
	v_or_b32_e32 v122, 0x10000, v7
	s_delay_alu instid0(VALU_DEP_2) | instskip(NEXT) | instid1(VALU_DEP_1)
	v_cmp_eq_u32_e64 s0, 0, v9
	v_cndmask_b32_e64 v122, v122, v7, s0
; %bb.3277:                             ;   in Loop: Header=BB464_1567 Depth=1
	s_or_b32 exec_lo, exec_lo, s9
	v_lshlrev_b32_e32 v6, 16, v6
                                        ; implicit-def: $vgpr123
	s_delay_alu instid0(VALU_DEP_1) | instskip(NEXT) | instid1(VALU_DEP_1)
	v_mul_f32_e32 v6, v96, v6
	v_and_b32_e32 v7, 0x7f800000, v6
	s_delay_alu instid0(VALU_DEP_1) | instskip(NEXT) | instid1(VALU_DEP_1)
	v_cmp_ne_u32_e64 s0, 0x7f800000, v7
	s_and_saveexec_b32 s9, s0
	s_delay_alu instid0(SALU_CYCLE_1)
	s_xor_b32 s0, exec_lo, s9
; %bb.3278:                             ;   in Loop: Header=BB464_1567 Depth=1
	v_bfe_u32 v7, v6, 16, 1
	s_delay_alu instid0(VALU_DEP_1)
	v_add3_u32 v123, v6, v7, 0x7fff
                                        ; implicit-def: $vgpr6
; %bb.3279:                             ;   in Loop: Header=BB464_1567 Depth=1
	s_and_not1_saveexec_b32 s9, s0
; %bb.3280:                             ;   in Loop: Header=BB464_1567 Depth=1
	v_and_b32_e32 v7, 0xffff, v6
	v_or_b32_e32 v9, 0x10000, v6
	s_delay_alu instid0(VALU_DEP_2) | instskip(NEXT) | instid1(VALU_DEP_1)
	v_cmp_eq_u32_e64 s0, 0, v7
	v_cndmask_b32_e64 v123, v9, v6, s0
; %bb.3281:                             ;   in Loop: Header=BB464_1567 Depth=1
	s_or_b32 exec_lo, exec_lo, s9
	v_lshlrev_b32_e32 v3, 16, v3
                                        ; implicit-def: $vgpr124
	s_delay_alu instid0(VALU_DEP_1) | instskip(NEXT) | instid1(VALU_DEP_1)
	v_mul_f32_e32 v3, v97, v3
	v_and_b32_e32 v6, 0x7f800000, v3
	s_delay_alu instid0(VALU_DEP_1) | instskip(NEXT) | instid1(VALU_DEP_1)
	v_cmp_ne_u32_e64 s0, 0x7f800000, v6
	s_and_saveexec_b32 s9, s0
	s_delay_alu instid0(SALU_CYCLE_1)
	s_xor_b32 s0, exec_lo, s9
; %bb.3282:                             ;   in Loop: Header=BB464_1567 Depth=1
	v_bfe_u32 v6, v3, 16, 1
	s_delay_alu instid0(VALU_DEP_1)
	v_add3_u32 v124, v3, v6, 0x7fff
                                        ; implicit-def: $vgpr3
; %bb.3283:                             ;   in Loop: Header=BB464_1567 Depth=1
	s_and_not1_saveexec_b32 s9, s0
; %bb.3284:                             ;   in Loop: Header=BB464_1567 Depth=1
	v_and_b32_e32 v6, 0xffff, v3
	v_or_b32_e32 v7, 0x10000, v3
	s_delay_alu instid0(VALU_DEP_2) | instskip(NEXT) | instid1(VALU_DEP_1)
	v_cmp_eq_u32_e64 s0, 0, v6
	v_cndmask_b32_e64 v124, v7, v3, s0
; %bb.3285:                             ;   in Loop: Header=BB464_1567 Depth=1
	s_or_b32 exec_lo, exec_lo, s9
	v_lshlrev_b32_e32 v2, 16, v2
                                        ; implicit-def: $vgpr125
	s_delay_alu instid0(VALU_DEP_1) | instskip(NEXT) | instid1(VALU_DEP_1)
	v_mul_f32_e32 v2, v98, v2
	v_and_b32_e32 v3, 0x7f800000, v2
	s_delay_alu instid0(VALU_DEP_1) | instskip(NEXT) | instid1(VALU_DEP_1)
	v_cmp_ne_u32_e64 s0, 0x7f800000, v3
	s_and_saveexec_b32 s9, s0
	s_delay_alu instid0(SALU_CYCLE_1)
	s_xor_b32 s0, exec_lo, s9
; %bb.3286:                             ;   in Loop: Header=BB464_1567 Depth=1
	v_bfe_u32 v3, v2, 16, 1
	s_delay_alu instid0(VALU_DEP_1)
	v_add3_u32 v125, v2, v3, 0x7fff
                                        ; implicit-def: $vgpr2
; %bb.3287:                             ;   in Loop: Header=BB464_1567 Depth=1
	s_and_not1_saveexec_b32 s9, s0
; %bb.3288:                             ;   in Loop: Header=BB464_1567 Depth=1
	v_and_b32_e32 v3, 0xffff, v2
	v_or_b32_e32 v6, 0x10000, v2
	s_delay_alu instid0(VALU_DEP_2) | instskip(NEXT) | instid1(VALU_DEP_1)
	v_cmp_eq_u32_e64 s0, 0, v3
	v_cndmask_b32_e64 v125, v6, v2, s0
; %bb.3289:                             ;   in Loop: Header=BB464_1567 Depth=1
	s_or_b32 exec_lo, exec_lo, s9
	flat_load_b64 v[2:3], v[0:1] offset:3328
	s_mov_b32 s9, exec_lo
	s_waitcnt vmcnt(0) lgkmcnt(0)
	v_dual_mov_b32 v6, 0 :: v_dual_and_b32 v7, 0xff, v2
	s_delay_alu instid0(VALU_DEP_1)
	v_cmpx_ne_u16_e32 0, v7
	s_cbranch_execz .LBB464_3297
; %bb.3290:                             ;   in Loop: Header=BB464_1567 Depth=1
	v_bfrev_b32_e32 v6, 1
	s_mov_b32 s12, exec_lo
	v_cmpx_ne_u16_e32 0x80, v7
	s_cbranch_execz .LBB464_3296
; %bb.3291:                             ;   in Loop: Header=BB464_1567 Depth=1
	v_and_b32_e32 v7, 0x7f, v2
	v_mov_b32_e32 v6, 0x7f800001
	s_mov_b32 s13, exec_lo
	s_delay_alu instid0(VALU_DEP_2)
	v_cmpx_ne_u32_e32 0x7f, v7
	s_cbranch_execz .LBB464_3295
; %bb.3292:                             ;   in Loop: Header=BB464_1567 Depth=1
	v_lshrrev_b32_e32 v9, 3, v7
	v_cmp_gt_u32_e64 s0, 8, v7
	v_dual_mov_b32 v7, v3 :: v_dual_mov_b32 v6, v2
	s_delay_alu instid0(VALU_DEP_2)
	s_and_saveexec_b32 s15, s0
; %bb.3293:                             ;   in Loop: Header=BB464_1567 Depth=1
	v_and_b32_e32 v6, 7, v2
	s_delay_alu instid0(VALU_DEP_1) | instskip(NEXT) | instid1(VALU_DEP_1)
	v_clz_i32_u32_e32 v6, v6
	v_min_u32_e32 v9, 32, v6
	s_delay_alu instid0(VALU_DEP_1) | instskip(SKIP_1) | instid1(VALU_DEP_2)
	v_subrev_nc_u32_e32 v6, 28, v9
	v_sub_nc_u32_e32 v9, 29, v9
	v_lshlrev_b64 v[6:7], v6, v[2:3]
; %bb.3294:                             ;   in Loop: Header=BB464_1567 Depth=1
	s_or_b32 exec_lo, exec_lo, s15
	s_delay_alu instid0(VALU_DEP_1) | instskip(SKIP_2) | instid1(VALU_DEP_3)
	v_lshlrev_b32_e32 v6, 20, v6
	v_lshlrev_b32_e32 v7, 24, v2
	v_lshl_add_u32 v9, v9, 23, 0x3c000000
	v_and_b32_e32 v6, 0x700000, v6
	s_delay_alu instid0(VALU_DEP_3) | instskip(NEXT) | instid1(VALU_DEP_1)
	v_and_b32_e32 v7, 0x80000000, v7
	v_or3_b32 v6, v6, v7, v9
.LBB464_3295:                           ;   in Loop: Header=BB464_1567 Depth=1
	s_or_b32 exec_lo, exec_lo, s13
.LBB464_3296:                           ;   in Loop: Header=BB464_1567 Depth=1
	s_delay_alu instid0(SALU_CYCLE_1)
	s_or_b32 exec_lo, exec_lo, s12
.LBB464_3297:                           ;   in Loop: Header=BB464_1567 Depth=1
	s_delay_alu instid0(SALU_CYCLE_1) | instskip(NEXT) | instid1(VALU_DEP_1)
	s_or_b32 exec_lo, exec_lo, s9
	v_mul_f32_e32 v6, v26, v6
                                        ; implicit-def: $vgpr126
	s_delay_alu instid0(VALU_DEP_1) | instskip(NEXT) | instid1(VALU_DEP_1)
	v_and_b32_e32 v7, 0x7f800000, v6
	v_cmp_ne_u32_e64 s0, 0x7f800000, v7
	s_delay_alu instid0(VALU_DEP_1) | instskip(NEXT) | instid1(SALU_CYCLE_1)
	s_and_saveexec_b32 s9, s0
	s_xor_b32 s0, exec_lo, s9
; %bb.3298:                             ;   in Loop: Header=BB464_1567 Depth=1
	v_bfe_u32 v7, v6, 16, 1
	s_delay_alu instid0(VALU_DEP_1)
	v_add3_u32 v126, v6, v7, 0x7fff
                                        ; implicit-def: $vgpr6
; %bb.3299:                             ;   in Loop: Header=BB464_1567 Depth=1
	s_and_not1_saveexec_b32 s9, s0
; %bb.3300:                             ;   in Loop: Header=BB464_1567 Depth=1
	v_and_b32_e32 v7, 0xffff, v6
	v_or_b32_e32 v9, 0x10000, v6
	s_delay_alu instid0(VALU_DEP_2) | instskip(NEXT) | instid1(VALU_DEP_1)
	v_cmp_eq_u32_e64 s0, 0, v7
	v_cndmask_b32_e64 v126, v9, v6, s0
; %bb.3301:                             ;   in Loop: Header=BB464_1567 Depth=1
	s_or_b32 exec_lo, exec_lo, s9
	v_lshrrev_b16 v7, 8, v2
	v_mov_b32_e32 v6, 0
	s_mov_b32 s9, exec_lo
	s_delay_alu instid0(VALU_DEP_2)
	v_cmpx_ne_u16_e32 0, v7
	s_cbranch_execz .LBB464_3309
; %bb.3302:                             ;   in Loop: Header=BB464_1567 Depth=1
	v_bfrev_b32_e32 v6, 1
	s_mov_b32 s12, exec_lo
	v_cmpx_ne_u16_e32 0x80, v7
	s_cbranch_execz .LBB464_3308
; %bb.3303:                             ;   in Loop: Header=BB464_1567 Depth=1
	v_and_b32_e32 v9, 0xffff, v7
	v_mov_b32_e32 v6, 0x7f800001
	s_mov_b32 s13, exec_lo
	s_delay_alu instid0(VALU_DEP_2) | instskip(NEXT) | instid1(VALU_DEP_1)
	v_and_b32_e32 v7, 0x7f, v9
	v_cmpx_ne_u32_e32 0x7f, v7
	s_cbranch_execz .LBB464_3307
; %bb.3304:                             ;   in Loop: Header=BB464_1567 Depth=1
	v_and_b32_e32 v9, 7, v9
	v_lshrrev_b32_e32 v127, 3, v7
	v_cmp_gt_u32_e64 s0, 8, v7
	s_delay_alu instid0(VALU_DEP_3) | instskip(NEXT) | instid1(VALU_DEP_2)
	v_dual_mov_b32 v6, v9 :: v_dual_mov_b32 v7, v10
	s_and_saveexec_b32 s15, s0
; %bb.3305:                             ;   in Loop: Header=BB464_1567 Depth=1
	v_clz_i32_u32_e32 v6, v9
	s_delay_alu instid0(VALU_DEP_1) | instskip(NEXT) | instid1(VALU_DEP_1)
	v_min_u32_e32 v127, 32, v6
	v_subrev_nc_u32_e32 v6, 28, v127
	v_sub_nc_u32_e32 v127, 29, v127
	s_delay_alu instid0(VALU_DEP_2) | instskip(NEXT) | instid1(VALU_DEP_1)
	v_lshlrev_b64 v[6:7], v6, v[9:10]
	v_and_b32_e32 v6, 7, v6
; %bb.3306:                             ;   in Loop: Header=BB464_1567 Depth=1
	s_or_b32 exec_lo, exec_lo, s15
	v_lshlrev_b32_e32 v7, 16, v2
	s_delay_alu instid0(VALU_DEP_2) | instskip(SKIP_1) | instid1(VALU_DEP_3)
	v_lshlrev_b32_e32 v6, 20, v6
	v_lshl_add_u32 v9, v127, 23, 0x3c000000
	v_and_b32_e32 v7, 0x80000000, v7
	s_delay_alu instid0(VALU_DEP_1)
	v_or3_b32 v6, v6, v7, v9
.LBB464_3307:                           ;   in Loop: Header=BB464_1567 Depth=1
	s_or_b32 exec_lo, exec_lo, s13
.LBB464_3308:                           ;   in Loop: Header=BB464_1567 Depth=1
	s_delay_alu instid0(SALU_CYCLE_1)
	s_or_b32 exec_lo, exec_lo, s12
.LBB464_3309:                           ;   in Loop: Header=BB464_1567 Depth=1
	s_delay_alu instid0(SALU_CYCLE_1) | instskip(NEXT) | instid1(VALU_DEP_1)
	s_or_b32 exec_lo, exec_lo, s9
	v_mul_f32_e32 v6, v26, v6
                                        ; implicit-def: $vgpr127
	s_delay_alu instid0(VALU_DEP_1) | instskip(NEXT) | instid1(VALU_DEP_1)
	v_and_b32_e32 v7, 0x7f800000, v6
	v_cmp_ne_u32_e64 s0, 0x7f800000, v7
	s_delay_alu instid0(VALU_DEP_1) | instskip(NEXT) | instid1(SALU_CYCLE_1)
	s_and_saveexec_b32 s9, s0
	s_xor_b32 s0, exec_lo, s9
; %bb.3310:                             ;   in Loop: Header=BB464_1567 Depth=1
	v_bfe_u32 v7, v6, 16, 1
	s_delay_alu instid0(VALU_DEP_1)
	v_add3_u32 v127, v6, v7, 0x7fff
                                        ; implicit-def: $vgpr6
; %bb.3311:                             ;   in Loop: Header=BB464_1567 Depth=1
	s_and_not1_saveexec_b32 s9, s0
; %bb.3312:                             ;   in Loop: Header=BB464_1567 Depth=1
	v_and_b32_e32 v7, 0xffff, v6
	v_or_b32_e32 v9, 0x10000, v6
	s_delay_alu instid0(VALU_DEP_2) | instskip(NEXT) | instid1(VALU_DEP_1)
	v_cmp_eq_u32_e64 s0, 0, v7
	v_cndmask_b32_e64 v127, v9, v6, s0
; %bb.3313:                             ;   in Loop: Header=BB464_1567 Depth=1
	s_or_b32 exec_lo, exec_lo, s9
	v_lshrrev_b32_e32 v136, 16, v2
	s_mov_b32 s9, exec_lo
	s_delay_alu instid0(VALU_DEP_1) | instskip(NEXT) | instid1(VALU_DEP_1)
	v_dual_mov_b32 v6, 0 :: v_dual_and_b32 v7, 0xff, v136
	v_cmpx_ne_u16_e32 0, v7
	s_cbranch_execz .LBB464_3321
; %bb.3314:                             ;   in Loop: Header=BB464_1567 Depth=1
	v_bfrev_b32_e32 v6, 1
	s_mov_b32 s12, exec_lo
	v_cmpx_ne_u16_e32 0x80, v7
	s_cbranch_execz .LBB464_3320
; %bb.3315:                             ;   in Loop: Header=BB464_1567 Depth=1
	v_bfe_u32 v7, v2, 16, 7
	v_mov_b32_e32 v6, 0x7f800001
	s_mov_b32 s13, exec_lo
	s_delay_alu instid0(VALU_DEP_2)
	v_cmpx_ne_u32_e32 0x7f, v7
	s_cbranch_execz .LBB464_3319
; %bb.3316:                             ;   in Loop: Header=BB464_1567 Depth=1
	v_and_b32_e32 v9, 7, v136
	v_lshrrev_b32_e32 v137, 3, v7
	v_cmp_gt_u32_e64 s0, 8, v7
	s_delay_alu instid0(VALU_DEP_3) | instskip(NEXT) | instid1(VALU_DEP_2)
	v_dual_mov_b32 v6, v9 :: v_dual_mov_b32 v7, v10
	s_and_saveexec_b32 s15, s0
; %bb.3317:                             ;   in Loop: Header=BB464_1567 Depth=1
	v_clz_i32_u32_e32 v6, v9
	s_delay_alu instid0(VALU_DEP_1) | instskip(NEXT) | instid1(VALU_DEP_1)
	v_min_u32_e32 v137, 32, v6
	v_subrev_nc_u32_e32 v6, 28, v137
	v_sub_nc_u32_e32 v137, 29, v137
	s_delay_alu instid0(VALU_DEP_2) | instskip(NEXT) | instid1(VALU_DEP_1)
	v_lshlrev_b64 v[6:7], v6, v[9:10]
	v_and_b32_e32 v6, 7, v6
; %bb.3318:                             ;   in Loop: Header=BB464_1567 Depth=1
	s_or_b32 exec_lo, exec_lo, s15
	v_lshlrev_b32_e32 v7, 24, v136
	s_delay_alu instid0(VALU_DEP_2) | instskip(SKIP_1) | instid1(VALU_DEP_3)
	v_lshlrev_b32_e32 v6, 20, v6
	v_lshl_add_u32 v9, v137, 23, 0x3c000000
	v_and_b32_e32 v7, 0x80000000, v7
	s_delay_alu instid0(VALU_DEP_1)
	v_or3_b32 v6, v6, v7, v9
.LBB464_3319:                           ;   in Loop: Header=BB464_1567 Depth=1
	s_or_b32 exec_lo, exec_lo, s13
.LBB464_3320:                           ;   in Loop: Header=BB464_1567 Depth=1
	s_delay_alu instid0(SALU_CYCLE_1)
	s_or_b32 exec_lo, exec_lo, s12
.LBB464_3321:                           ;   in Loop: Header=BB464_1567 Depth=1
	s_delay_alu instid0(SALU_CYCLE_1) | instskip(NEXT) | instid1(VALU_DEP_1)
	s_or_b32 exec_lo, exec_lo, s9
	v_mul_f32_e32 v6, v26, v6
                                        ; implicit-def: $vgpr136
	s_delay_alu instid0(VALU_DEP_1) | instskip(NEXT) | instid1(VALU_DEP_1)
	v_and_b32_e32 v7, 0x7f800000, v6
	v_cmp_ne_u32_e64 s0, 0x7f800000, v7
	s_delay_alu instid0(VALU_DEP_1) | instskip(NEXT) | instid1(SALU_CYCLE_1)
	s_and_saveexec_b32 s9, s0
	s_xor_b32 s0, exec_lo, s9
; %bb.3322:                             ;   in Loop: Header=BB464_1567 Depth=1
	v_bfe_u32 v7, v6, 16, 1
	s_delay_alu instid0(VALU_DEP_1)
	v_add3_u32 v136, v6, v7, 0x7fff
                                        ; implicit-def: $vgpr6
; %bb.3323:                             ;   in Loop: Header=BB464_1567 Depth=1
	s_and_not1_saveexec_b32 s9, s0
; %bb.3324:                             ;   in Loop: Header=BB464_1567 Depth=1
	v_and_b32_e32 v7, 0xffff, v6
	v_or_b32_e32 v9, 0x10000, v6
	s_delay_alu instid0(VALU_DEP_2) | instskip(NEXT) | instid1(VALU_DEP_1)
	v_cmp_eq_u32_e64 s0, 0, v7
	v_cndmask_b32_e64 v136, v9, v6, s0
; %bb.3325:                             ;   in Loop: Header=BB464_1567 Depth=1
	s_or_b32 exec_lo, exec_lo, s9
	v_mov_b32_e32 v6, 0
	s_mov_b32 s9, exec_lo
	v_cmpx_lt_u32_e32 0xffffff, v2
	s_cbranch_execz .LBB464_3333
; %bb.3326:                             ;   in Loop: Header=BB464_1567 Depth=1
	v_lshrrev_b32_e32 v137, 24, v2
	v_bfrev_b32_e32 v6, 1
	s_mov_b32 s12, exec_lo
	s_delay_alu instid0(VALU_DEP_2)
	v_cmpx_ne_u32_e32 0x80, v137
	s_cbranch_execz .LBB464_3332
; %bb.3327:                             ;   in Loop: Header=BB464_1567 Depth=1
	v_bfe_u32 v7, v2, 24, 7
	v_mov_b32_e32 v6, 0x7f800001
	s_mov_b32 s13, exec_lo
	s_delay_alu instid0(VALU_DEP_2)
	v_cmpx_ne_u32_e32 0x7f, v7
	s_cbranch_execz .LBB464_3331
; %bb.3328:                             ;   in Loop: Header=BB464_1567 Depth=1
	v_and_b32_e32 v9, 7, v137
	v_lshrrev_b32_e32 v138, 3, v7
	v_cmp_gt_u32_e64 s0, 8, v7
	s_delay_alu instid0(VALU_DEP_3) | instskip(NEXT) | instid1(VALU_DEP_2)
	v_dual_mov_b32 v6, v9 :: v_dual_mov_b32 v7, v10
	s_and_saveexec_b32 s15, s0
; %bb.3329:                             ;   in Loop: Header=BB464_1567 Depth=1
	v_clz_i32_u32_e32 v6, v9
	s_delay_alu instid0(VALU_DEP_1) | instskip(NEXT) | instid1(VALU_DEP_1)
	v_min_u32_e32 v138, 32, v6
	v_subrev_nc_u32_e32 v6, 28, v138
	v_sub_nc_u32_e32 v138, 29, v138
	s_delay_alu instid0(VALU_DEP_2) | instskip(NEXT) | instid1(VALU_DEP_1)
	v_lshlrev_b64 v[6:7], v6, v[9:10]
	v_and_b32_e32 v6, 7, v6
; %bb.3330:                             ;   in Loop: Header=BB464_1567 Depth=1
	s_or_b32 exec_lo, exec_lo, s15
	v_lshlrev_b32_e32 v7, 24, v137
	s_delay_alu instid0(VALU_DEP_2) | instskip(SKIP_1) | instid1(VALU_DEP_3)
	v_lshlrev_b32_e32 v6, 20, v6
	v_lshl_add_u32 v9, v138, 23, 0x3c000000
	v_and_b32_e32 v7, 0x80000000, v7
	s_delay_alu instid0(VALU_DEP_1)
	v_or3_b32 v6, v6, v7, v9
.LBB464_3331:                           ;   in Loop: Header=BB464_1567 Depth=1
	s_or_b32 exec_lo, exec_lo, s13
.LBB464_3332:                           ;   in Loop: Header=BB464_1567 Depth=1
	s_delay_alu instid0(SALU_CYCLE_1)
	s_or_b32 exec_lo, exec_lo, s12
.LBB464_3333:                           ;   in Loop: Header=BB464_1567 Depth=1
	s_delay_alu instid0(SALU_CYCLE_1) | instskip(NEXT) | instid1(VALU_DEP_1)
	s_or_b32 exec_lo, exec_lo, s9
	v_mul_f32_e32 v6, v26, v6
                                        ; implicit-def: $vgpr137
	s_delay_alu instid0(VALU_DEP_1) | instskip(NEXT) | instid1(VALU_DEP_1)
	v_and_b32_e32 v7, 0x7f800000, v6
	v_cmp_ne_u32_e64 s0, 0x7f800000, v7
	s_delay_alu instid0(VALU_DEP_1) | instskip(NEXT) | instid1(SALU_CYCLE_1)
	s_and_saveexec_b32 s9, s0
	s_xor_b32 s0, exec_lo, s9
; %bb.3334:                             ;   in Loop: Header=BB464_1567 Depth=1
	v_bfe_u32 v7, v6, 16, 1
	s_delay_alu instid0(VALU_DEP_1)
	v_add3_u32 v137, v6, v7, 0x7fff
                                        ; implicit-def: $vgpr6
; %bb.3335:                             ;   in Loop: Header=BB464_1567 Depth=1
	s_and_not1_saveexec_b32 s9, s0
; %bb.3336:                             ;   in Loop: Header=BB464_1567 Depth=1
	v_and_b32_e32 v7, 0xffff, v6
	v_or_b32_e32 v9, 0x10000, v6
	s_delay_alu instid0(VALU_DEP_2) | instskip(NEXT) | instid1(VALU_DEP_1)
	v_cmp_eq_u32_e64 s0, 0, v7
	v_cndmask_b32_e64 v137, v9, v6, s0
; %bb.3337:                             ;   in Loop: Header=BB464_1567 Depth=1
	s_or_b32 exec_lo, exec_lo, s9
	v_dual_mov_b32 v6, 0 :: v_dual_and_b32 v7, 0xff, v3
	v_mov_b32_e32 v9, v3
	s_mov_b32 s9, exec_lo
	s_delay_alu instid0(VALU_DEP_2)
	v_cmpx_ne_u16_e32 0, v7
	s_cbranch_execz .LBB464_3345
; %bb.3338:                             ;   in Loop: Header=BB464_1567 Depth=1
	v_bfrev_b32_e32 v6, 1
	s_mov_b32 s12, exec_lo
	v_cmpx_ne_u16_e32 0x80, v7
	s_cbranch_execz .LBB464_3344
; %bb.3339:                             ;   in Loop: Header=BB464_1567 Depth=1
	v_and_b32_e32 v7, 0x7f, v3
	v_mov_b32_e32 v6, 0x7f800001
	s_mov_b32 s13, exec_lo
	s_delay_alu instid0(VALU_DEP_2)
	v_cmpx_ne_u32_e32 0x7f, v7
	s_cbranch_execz .LBB464_3343
; %bb.3340:                             ;   in Loop: Header=BB464_1567 Depth=1
	v_lshrrev_b32_e32 v138, 3, v7
	v_cmp_gt_u32_e64 s0, 8, v7
	v_dual_mov_b32 v6, v9 :: v_dual_mov_b32 v7, v10
	s_delay_alu instid0(VALU_DEP_2)
	s_and_saveexec_b32 s15, s0
; %bb.3341:                             ;   in Loop: Header=BB464_1567 Depth=1
	v_and_b32_e32 v6, 7, v3
	s_delay_alu instid0(VALU_DEP_1) | instskip(NEXT) | instid1(VALU_DEP_1)
	v_clz_i32_u32_e32 v6, v6
	v_min_u32_e32 v138, 32, v6
	s_delay_alu instid0(VALU_DEP_1) | instskip(SKIP_1) | instid1(VALU_DEP_2)
	v_subrev_nc_u32_e32 v6, 28, v138
	v_sub_nc_u32_e32 v138, 29, v138
	v_lshlrev_b64 v[6:7], v6, v[9:10]
; %bb.3342:                             ;   in Loop: Header=BB464_1567 Depth=1
	s_or_b32 exec_lo, exec_lo, s15
	s_delay_alu instid0(VALU_DEP_1) | instskip(SKIP_2) | instid1(VALU_DEP_3)
	v_lshlrev_b32_e32 v6, 20, v6
	v_lshlrev_b32_e32 v7, 24, v9
	v_lshl_add_u32 v138, v138, 23, 0x3c000000
	v_and_b32_e32 v6, 0x700000, v6
	s_delay_alu instid0(VALU_DEP_3) | instskip(NEXT) | instid1(VALU_DEP_1)
	v_and_b32_e32 v7, 0x80000000, v7
	v_or3_b32 v6, v6, v7, v138
.LBB464_3343:                           ;   in Loop: Header=BB464_1567 Depth=1
	s_or_b32 exec_lo, exec_lo, s13
.LBB464_3344:                           ;   in Loop: Header=BB464_1567 Depth=1
	s_delay_alu instid0(SALU_CYCLE_1)
	s_or_b32 exec_lo, exec_lo, s12
.LBB464_3345:                           ;   in Loop: Header=BB464_1567 Depth=1
	s_delay_alu instid0(SALU_CYCLE_1) | instskip(NEXT) | instid1(VALU_DEP_1)
	s_or_b32 exec_lo, exec_lo, s9
	v_mul_f32_e32 v6, v26, v6
                                        ; implicit-def: $vgpr138
	s_delay_alu instid0(VALU_DEP_1) | instskip(NEXT) | instid1(VALU_DEP_1)
	v_and_b32_e32 v7, 0x7f800000, v6
	v_cmp_ne_u32_e64 s0, 0x7f800000, v7
	s_delay_alu instid0(VALU_DEP_1) | instskip(NEXT) | instid1(SALU_CYCLE_1)
	s_and_saveexec_b32 s9, s0
	s_xor_b32 s0, exec_lo, s9
; %bb.3346:                             ;   in Loop: Header=BB464_1567 Depth=1
	v_bfe_u32 v7, v6, 16, 1
	s_delay_alu instid0(VALU_DEP_1)
	v_add3_u32 v138, v6, v7, 0x7fff
                                        ; implicit-def: $vgpr6
; %bb.3347:                             ;   in Loop: Header=BB464_1567 Depth=1
	s_and_not1_saveexec_b32 s9, s0
; %bb.3348:                             ;   in Loop: Header=BB464_1567 Depth=1
	v_and_b32_e32 v7, 0xffff, v6
	v_or_b32_e32 v138, 0x10000, v6
	s_delay_alu instid0(VALU_DEP_2) | instskip(NEXT) | instid1(VALU_DEP_1)
	v_cmp_eq_u32_e64 s0, 0, v7
	v_cndmask_b32_e64 v138, v138, v6, s0
; %bb.3349:                             ;   in Loop: Header=BB464_1567 Depth=1
	s_or_b32 exec_lo, exec_lo, s9
	v_lshrrev_b16 v7, 8, v9
	v_mov_b32_e32 v6, 0
	s_mov_b32 s9, exec_lo
	s_delay_alu instid0(VALU_DEP_2)
	v_cmpx_ne_u16_e32 0, v7
	s_cbranch_execz .LBB464_3357
; %bb.3350:                             ;   in Loop: Header=BB464_1567 Depth=1
	v_bfrev_b32_e32 v6, 1
	s_mov_b32 s12, exec_lo
	v_cmpx_ne_u16_e32 0x80, v7
	s_cbranch_execz .LBB464_3356
; %bb.3351:                             ;   in Loop: Header=BB464_1567 Depth=1
	v_and_b32_e32 v7, 0xffff, v7
	v_mov_b32_e32 v6, 0x7f800001
	s_mov_b32 s13, exec_lo
	s_delay_alu instid0(VALU_DEP_2) | instskip(NEXT) | instid1(VALU_DEP_1)
	v_and_b32_e32 v140, 0x7f, v7
	v_cmpx_ne_u32_e32 0x7f, v140
	s_cbranch_execz .LBB464_3355
; %bb.3352:                             ;   in Loop: Header=BB464_1567 Depth=1
	v_dual_mov_b32 v7, v10 :: v_dual_and_b32 v6, 7, v7
	v_lshrrev_b32_e32 v139, 3, v140
	s_mov_b32 s15, exec_lo
	v_cmpx_gt_u32_e32 8, v140
; %bb.3353:                             ;   in Loop: Header=BB464_1567 Depth=1
	s_delay_alu instid0(VALU_DEP_3) | instskip(NEXT) | instid1(VALU_DEP_1)
	v_clz_i32_u32_e32 v139, v6
	v_min_u32_e32 v139, 32, v139
	s_delay_alu instid0(VALU_DEP_1) | instskip(SKIP_1) | instid1(VALU_DEP_2)
	v_subrev_nc_u32_e32 v140, 28, v139
	v_sub_nc_u32_e32 v139, 29, v139
	v_lshlrev_b64 v[6:7], v140, v[6:7]
	s_delay_alu instid0(VALU_DEP_1)
	v_and_b32_e32 v6, 7, v6
; %bb.3354:                             ;   in Loop: Header=BB464_1567 Depth=1
	s_or_b32 exec_lo, exec_lo, s15
	v_lshlrev_b32_e32 v7, 16, v9
	s_delay_alu instid0(VALU_DEP_2) | instskip(SKIP_1) | instid1(VALU_DEP_3)
	v_lshlrev_b32_e32 v6, 20, v6
	v_lshl_add_u32 v9, v139, 23, 0x3c000000
	v_and_b32_e32 v7, 0x80000000, v7
	s_delay_alu instid0(VALU_DEP_1)
	v_or3_b32 v6, v6, v7, v9
.LBB464_3355:                           ;   in Loop: Header=BB464_1567 Depth=1
	s_or_b32 exec_lo, exec_lo, s13
.LBB464_3356:                           ;   in Loop: Header=BB464_1567 Depth=1
	s_delay_alu instid0(SALU_CYCLE_1)
	s_or_b32 exec_lo, exec_lo, s12
.LBB464_3357:                           ;   in Loop: Header=BB464_1567 Depth=1
	s_delay_alu instid0(SALU_CYCLE_1) | instskip(NEXT) | instid1(VALU_DEP_1)
	s_or_b32 exec_lo, exec_lo, s9
	v_mul_f32_e32 v6, v26, v6
                                        ; implicit-def: $vgpr139
	s_delay_alu instid0(VALU_DEP_1) | instskip(NEXT) | instid1(VALU_DEP_1)
	v_and_b32_e32 v7, 0x7f800000, v6
	v_cmp_ne_u32_e64 s0, 0x7f800000, v7
	s_delay_alu instid0(VALU_DEP_1) | instskip(NEXT) | instid1(SALU_CYCLE_1)
	s_and_saveexec_b32 s9, s0
	s_xor_b32 s0, exec_lo, s9
; %bb.3358:                             ;   in Loop: Header=BB464_1567 Depth=1
	v_bfe_u32 v7, v6, 16, 1
	s_delay_alu instid0(VALU_DEP_1)
	v_add3_u32 v139, v6, v7, 0x7fff
                                        ; implicit-def: $vgpr6
; %bb.3359:                             ;   in Loop: Header=BB464_1567 Depth=1
	s_and_not1_saveexec_b32 s9, s0
; %bb.3360:                             ;   in Loop: Header=BB464_1567 Depth=1
	v_and_b32_e32 v7, 0xffff, v6
	v_or_b32_e32 v9, 0x10000, v6
	s_delay_alu instid0(VALU_DEP_2) | instskip(NEXT) | instid1(VALU_DEP_1)
	v_cmp_eq_u32_e64 s0, 0, v7
	v_cndmask_b32_e64 v139, v9, v6, s0
; %bb.3361:                             ;   in Loop: Header=BB464_1567 Depth=1
	s_or_b32 exec_lo, exec_lo, s9
	v_lshrrev_b32_e32 v140, 16, v3
	s_mov_b32 s9, exec_lo
	s_delay_alu instid0(VALU_DEP_1) | instskip(NEXT) | instid1(VALU_DEP_1)
	v_dual_mov_b32 v6, 0 :: v_dual_and_b32 v7, 0xff, v140
	v_cmpx_ne_u16_e32 0, v7
	s_cbranch_execz .LBB464_3369
; %bb.3362:                             ;   in Loop: Header=BB464_1567 Depth=1
	v_bfrev_b32_e32 v6, 1
	s_mov_b32 s12, exec_lo
	v_cmpx_ne_u16_e32 0x80, v7
	s_cbranch_execz .LBB464_3368
; %bb.3363:                             ;   in Loop: Header=BB464_1567 Depth=1
	v_bfe_u32 v7, v3, 16, 7
	v_mov_b32_e32 v6, 0x7f800001
	s_mov_b32 s13, exec_lo
	s_delay_alu instid0(VALU_DEP_2)
	v_cmpx_ne_u32_e32 0x7f, v7
	s_cbranch_execz .LBB464_3367
; %bb.3364:                             ;   in Loop: Header=BB464_1567 Depth=1
	v_and_b32_e32 v9, 7, v140
	v_lshrrev_b32_e32 v141, 3, v7
	v_cmp_gt_u32_e64 s0, 8, v7
	s_delay_alu instid0(VALU_DEP_3) | instskip(NEXT) | instid1(VALU_DEP_2)
	v_dual_mov_b32 v6, v9 :: v_dual_mov_b32 v7, v10
	s_and_saveexec_b32 s15, s0
; %bb.3365:                             ;   in Loop: Header=BB464_1567 Depth=1
	v_clz_i32_u32_e32 v6, v9
	s_delay_alu instid0(VALU_DEP_1) | instskip(NEXT) | instid1(VALU_DEP_1)
	v_min_u32_e32 v141, 32, v6
	v_subrev_nc_u32_e32 v6, 28, v141
	v_sub_nc_u32_e32 v141, 29, v141
	s_delay_alu instid0(VALU_DEP_2) | instskip(NEXT) | instid1(VALU_DEP_1)
	v_lshlrev_b64 v[6:7], v6, v[9:10]
	v_and_b32_e32 v6, 7, v6
; %bb.3366:                             ;   in Loop: Header=BB464_1567 Depth=1
	s_or_b32 exec_lo, exec_lo, s15
	v_lshlrev_b32_e32 v7, 24, v140
	s_delay_alu instid0(VALU_DEP_2) | instskip(SKIP_1) | instid1(VALU_DEP_3)
	v_lshlrev_b32_e32 v6, 20, v6
	v_lshl_add_u32 v9, v141, 23, 0x3c000000
	v_and_b32_e32 v7, 0x80000000, v7
	s_delay_alu instid0(VALU_DEP_1)
	v_or3_b32 v6, v6, v7, v9
.LBB464_3367:                           ;   in Loop: Header=BB464_1567 Depth=1
	s_or_b32 exec_lo, exec_lo, s13
.LBB464_3368:                           ;   in Loop: Header=BB464_1567 Depth=1
	s_delay_alu instid0(SALU_CYCLE_1)
	s_or_b32 exec_lo, exec_lo, s12
.LBB464_3369:                           ;   in Loop: Header=BB464_1567 Depth=1
	s_delay_alu instid0(SALU_CYCLE_1) | instskip(NEXT) | instid1(VALU_DEP_1)
	s_or_b32 exec_lo, exec_lo, s9
	v_mul_f32_e32 v6, v26, v6
                                        ; implicit-def: $vgpr140
	s_delay_alu instid0(VALU_DEP_1) | instskip(NEXT) | instid1(VALU_DEP_1)
	v_and_b32_e32 v7, 0x7f800000, v6
	v_cmp_ne_u32_e64 s0, 0x7f800000, v7
	s_delay_alu instid0(VALU_DEP_1) | instskip(NEXT) | instid1(SALU_CYCLE_1)
	s_and_saveexec_b32 s9, s0
	s_xor_b32 s0, exec_lo, s9
; %bb.3370:                             ;   in Loop: Header=BB464_1567 Depth=1
	v_bfe_u32 v7, v6, 16, 1
	s_delay_alu instid0(VALU_DEP_1)
	v_add3_u32 v140, v6, v7, 0x7fff
                                        ; implicit-def: $vgpr6
; %bb.3371:                             ;   in Loop: Header=BB464_1567 Depth=1
	s_and_not1_saveexec_b32 s9, s0
; %bb.3372:                             ;   in Loop: Header=BB464_1567 Depth=1
	v_and_b32_e32 v7, 0xffff, v6
	v_or_b32_e32 v9, 0x10000, v6
	s_delay_alu instid0(VALU_DEP_2) | instskip(NEXT) | instid1(VALU_DEP_1)
	v_cmp_eq_u32_e64 s0, 0, v7
	v_cndmask_b32_e64 v140, v9, v6, s0
; %bb.3373:                             ;   in Loop: Header=BB464_1567 Depth=1
	s_or_b32 exec_lo, exec_lo, s9
	v_cmp_lt_u64_e64 s0, s[2:3], v[2:3]
	v_mov_b32_e32 v2, 0
	s_delay_alu instid0(VALU_DEP_2)
	s_and_saveexec_b32 s9, s0
	s_cbranch_execz .LBB464_3381
; %bb.3374:                             ;   in Loop: Header=BB464_1567 Depth=1
	v_lshrrev_b32_e32 v6, 24, v3
	v_bfrev_b32_e32 v2, 1
	s_mov_b32 s12, exec_lo
	s_delay_alu instid0(VALU_DEP_2)
	v_cmpx_ne_u32_e32 0x80, v6
	s_cbranch_execz .LBB464_3380
; %bb.3375:                             ;   in Loop: Header=BB464_1567 Depth=1
	v_bfe_u32 v3, v3, 24, 7
	v_mov_b32_e32 v2, 0x7f800001
	s_mov_b32 s13, exec_lo
	s_delay_alu instid0(VALU_DEP_2)
	v_cmpx_ne_u32_e32 0x7f, v3
	s_cbranch_execz .LBB464_3379
; %bb.3376:                             ;   in Loop: Header=BB464_1567 Depth=1
	v_and_b32_e32 v9, 7, v6
	v_lshrrev_b32_e32 v7, 3, v3
	v_cmp_gt_u32_e64 s0, 8, v3
	s_delay_alu instid0(VALU_DEP_3) | instskip(NEXT) | instid1(VALU_DEP_2)
	v_dual_mov_b32 v2, v9 :: v_dual_mov_b32 v3, v10
	s_and_saveexec_b32 s15, s0
; %bb.3377:                             ;   in Loop: Header=BB464_1567 Depth=1
	v_clz_i32_u32_e32 v2, v9
	s_delay_alu instid0(VALU_DEP_1) | instskip(NEXT) | instid1(VALU_DEP_1)
	v_min_u32_e32 v7, 32, v2
	v_subrev_nc_u32_e32 v2, 28, v7
	v_sub_nc_u32_e32 v7, 29, v7
	s_delay_alu instid0(VALU_DEP_2) | instskip(NEXT) | instid1(VALU_DEP_1)
	v_lshlrev_b64 v[2:3], v2, v[9:10]
	v_and_b32_e32 v2, 7, v2
; %bb.3378:                             ;   in Loop: Header=BB464_1567 Depth=1
	s_or_b32 exec_lo, exec_lo, s15
	v_lshlrev_b32_e32 v3, 24, v6
	s_delay_alu instid0(VALU_DEP_2) | instskip(SKIP_1) | instid1(VALU_DEP_3)
	v_lshlrev_b32_e32 v2, 20, v2
	v_lshl_add_u32 v6, v7, 23, 0x3c000000
	v_and_b32_e32 v3, 0x80000000, v3
	s_delay_alu instid0(VALU_DEP_1)
	v_or3_b32 v2, v2, v3, v6
.LBB464_3379:                           ;   in Loop: Header=BB464_1567 Depth=1
	s_or_b32 exec_lo, exec_lo, s13
.LBB464_3380:                           ;   in Loop: Header=BB464_1567 Depth=1
	s_delay_alu instid0(SALU_CYCLE_1)
	s_or_b32 exec_lo, exec_lo, s12
.LBB464_3381:                           ;   in Loop: Header=BB464_1567 Depth=1
	s_delay_alu instid0(SALU_CYCLE_1) | instskip(NEXT) | instid1(VALU_DEP_1)
	s_or_b32 exec_lo, exec_lo, s9
	v_mul_f32_e32 v3, v26, v2
	s_delay_alu instid0(VALU_DEP_1) | instskip(NEXT) | instid1(VALU_DEP_1)
	v_and_b32_e32 v2, 0x7f800000, v3
	v_cmp_ne_u32_e64 s0, 0x7f800000, v2
                                        ; implicit-def: $vgpr2
	s_delay_alu instid0(VALU_DEP_1) | instskip(NEXT) | instid1(SALU_CYCLE_1)
	s_and_saveexec_b32 s9, s0
	s_xor_b32 s0, exec_lo, s9
; %bb.3382:                             ;   in Loop: Header=BB464_1567 Depth=1
	v_bfe_u32 v2, v3, 16, 1
	s_delay_alu instid0(VALU_DEP_1)
	v_add3_u32 v2, v3, v2, 0x7fff
                                        ; implicit-def: $vgpr3
; %bb.3383:                             ;   in Loop: Header=BB464_1567 Depth=1
	s_and_not1_saveexec_b32 s9, s0
; %bb.3384:                             ;   in Loop: Header=BB464_1567 Depth=1
	v_and_b32_e32 v2, 0xffff, v3
	v_or_b32_e32 v6, 0x10000, v3
	s_delay_alu instid0(VALU_DEP_2) | instskip(NEXT) | instid1(VALU_DEP_1)
	v_cmp_eq_u32_e64 s0, 0, v2
	v_cndmask_b32_e64 v2, v6, v3, s0
; %bb.3385:                             ;   in Loop: Header=BB464_1567 Depth=1
	s_or_b32 exec_lo, exec_lo, s9
	v_lshrrev_b32_e32 v6, 16, v139
	v_lshrrev_b32_e32 v7, 16, v138
	;; [unrolled: 1-line block ×8, first 2 shown]
	s_and_saveexec_b32 s9, vcc_lo
	s_cbranch_execz .LBB464_3387
; %bb.3386:                             ;   in Loop: Header=BB464_1567 Depth=1
	v_cmp_lt_i32_e64 s0, v68, v36
	s_delay_alu instid0(VALU_DEP_1) | instskip(SKIP_1) | instid1(VALU_DEP_1)
	v_cndmask_b32_e64 v126, 0, v126, s0
	v_cmp_lt_i32_e64 s0, v82, v36
	v_cndmask_b32_e64 v127, 0, v127, s0
	v_cmp_lt_i32_e64 s0, v81, v36
	s_delay_alu instid0(VALU_DEP_1) | instskip(SKIP_1) | instid1(VALU_DEP_1)
	v_cndmask_b32_e64 v136, 0, v136, s0
	v_cmp_lt_i32_e64 s0, v80, v36
	v_cndmask_b32_e64 v9, 0, v9, s0
	;; [unrolled: 5-line block ×4, first 2 shown]
.LBB464_3387:                           ;   in Loop: Header=BB464_1567 Depth=1
	s_or_b32 exec_lo, exec_lo, s9
	v_lshlrev_b32_e32 v126, 16, v126
	s_delay_alu instid0(VALU_DEP_1) | instskip(NEXT) | instid1(VALU_DEP_1)
	v_mul_f32_e32 v137, v83, v126
	v_and_b32_e32 v126, 0x7f800000, v137
	s_delay_alu instid0(VALU_DEP_1) | instskip(NEXT) | instid1(VALU_DEP_1)
	v_cmp_ne_u32_e64 s0, 0x7f800000, v126
                                        ; implicit-def: $vgpr126
	s_and_saveexec_b32 s9, s0
	s_delay_alu instid0(SALU_CYCLE_1)
	s_xor_b32 s0, exec_lo, s9
; %bb.3388:                             ;   in Loop: Header=BB464_1567 Depth=1
	v_bfe_u32 v126, v137, 16, 1
	s_delay_alu instid0(VALU_DEP_1)
	v_add3_u32 v126, v137, v126, 0x7fff
                                        ; implicit-def: $vgpr137
; %bb.3389:                             ;   in Loop: Header=BB464_1567 Depth=1
	s_and_not1_saveexec_b32 s9, s0
; %bb.3390:                             ;   in Loop: Header=BB464_1567 Depth=1
	v_and_b32_e32 v126, 0xffff, v137
	v_or_b32_e32 v138, 0x10000, v137
	s_delay_alu instid0(VALU_DEP_2) | instskip(NEXT) | instid1(VALU_DEP_1)
	v_cmp_eq_u32_e64 s0, 0, v126
	v_cndmask_b32_e64 v126, v138, v137, s0
; %bb.3391:                             ;   in Loop: Header=BB464_1567 Depth=1
	s_or_b32 exec_lo, exec_lo, s9
	v_lshlrev_b32_e32 v127, 16, v127
	s_delay_alu instid0(VALU_DEP_1) | instskip(NEXT) | instid1(VALU_DEP_1)
	v_mul_f32_e32 v137, v84, v127
	v_and_b32_e32 v127, 0x7f800000, v137
	s_delay_alu instid0(VALU_DEP_1) | instskip(NEXT) | instid1(VALU_DEP_1)
	v_cmp_ne_u32_e64 s0, 0x7f800000, v127
                                        ; implicit-def: $vgpr127
	s_and_saveexec_b32 s9, s0
	s_delay_alu instid0(SALU_CYCLE_1)
	s_xor_b32 s0, exec_lo, s9
; %bb.3392:                             ;   in Loop: Header=BB464_1567 Depth=1
	v_bfe_u32 v127, v137, 16, 1
	s_delay_alu instid0(VALU_DEP_1)
	v_add3_u32 v127, v137, v127, 0x7fff
                                        ; implicit-def: $vgpr137
; %bb.3393:                             ;   in Loop: Header=BB464_1567 Depth=1
	s_and_not1_saveexec_b32 s9, s0
; %bb.3394:                             ;   in Loop: Header=BB464_1567 Depth=1
	v_and_b32_e32 v127, 0xffff, v137
	v_or_b32_e32 v138, 0x10000, v137
	s_delay_alu instid0(VALU_DEP_2) | instskip(NEXT) | instid1(VALU_DEP_1)
	v_cmp_eq_u32_e64 s0, 0, v127
	v_cndmask_b32_e64 v127, v138, v137, s0
; %bb.3395:                             ;   in Loop: Header=BB464_1567 Depth=1
	s_or_b32 exec_lo, exec_lo, s9
	v_lshlrev_b32_e32 v136, 16, v136
	s_delay_alu instid0(VALU_DEP_1) | instskip(NEXT) | instid1(VALU_DEP_1)
	v_mul_f32_e32 v137, v85, v136
	v_and_b32_e32 v136, 0x7f800000, v137
	s_delay_alu instid0(VALU_DEP_1) | instskip(NEXT) | instid1(VALU_DEP_1)
	v_cmp_ne_u32_e64 s0, 0x7f800000, v136
                                        ; implicit-def: $vgpr136
	s_and_saveexec_b32 s9, s0
	s_delay_alu instid0(SALU_CYCLE_1)
	s_xor_b32 s0, exec_lo, s9
; %bb.3396:                             ;   in Loop: Header=BB464_1567 Depth=1
	v_bfe_u32 v136, v137, 16, 1
	s_delay_alu instid0(VALU_DEP_1)
	v_add3_u32 v136, v137, v136, 0x7fff
                                        ; implicit-def: $vgpr137
; %bb.3397:                             ;   in Loop: Header=BB464_1567 Depth=1
	s_and_not1_saveexec_b32 s9, s0
; %bb.3398:                             ;   in Loop: Header=BB464_1567 Depth=1
	v_and_b32_e32 v136, 0xffff, v137
	v_or_b32_e32 v138, 0x10000, v137
	s_delay_alu instid0(VALU_DEP_2) | instskip(NEXT) | instid1(VALU_DEP_1)
	v_cmp_eq_u32_e64 s0, 0, v136
	v_cndmask_b32_e64 v136, v138, v137, s0
; %bb.3399:                             ;   in Loop: Header=BB464_1567 Depth=1
	s_or_b32 exec_lo, exec_lo, s9
	v_lshlrev_b32_e32 v9, 16, v9
	s_delay_alu instid0(VALU_DEP_1) | instskip(NEXT) | instid1(VALU_DEP_1)
	v_mul_f32_e32 v9, v86, v9
	v_and_b32_e32 v137, 0x7f800000, v9
	s_delay_alu instid0(VALU_DEP_1) | instskip(NEXT) | instid1(VALU_DEP_1)
	v_cmp_ne_u32_e64 s0, 0x7f800000, v137
                                        ; implicit-def: $vgpr137
	s_and_saveexec_b32 s9, s0
	s_delay_alu instid0(SALU_CYCLE_1)
	s_xor_b32 s0, exec_lo, s9
; %bb.3400:                             ;   in Loop: Header=BB464_1567 Depth=1
	v_bfe_u32 v137, v9, 16, 1
	s_delay_alu instid0(VALU_DEP_1)
	v_add3_u32 v137, v9, v137, 0x7fff
                                        ; implicit-def: $vgpr9
; %bb.3401:                             ;   in Loop: Header=BB464_1567 Depth=1
	s_and_not1_saveexec_b32 s9, s0
; %bb.3402:                             ;   in Loop: Header=BB464_1567 Depth=1
	v_and_b32_e32 v137, 0xffff, v9
	v_or_b32_e32 v138, 0x10000, v9
	s_delay_alu instid0(VALU_DEP_2) | instskip(NEXT) | instid1(VALU_DEP_1)
	v_cmp_eq_u32_e64 s0, 0, v137
	v_cndmask_b32_e64 v137, v138, v9, s0
; %bb.3403:                             ;   in Loop: Header=BB464_1567 Depth=1
	s_or_b32 exec_lo, exec_lo, s9
	v_lshlrev_b32_e32 v7, 16, v7
                                        ; implicit-def: $vgpr138
	s_delay_alu instid0(VALU_DEP_1) | instskip(NEXT) | instid1(VALU_DEP_1)
	v_mul_f32_e32 v7, v87, v7
	v_and_b32_e32 v9, 0x7f800000, v7
	s_delay_alu instid0(VALU_DEP_1) | instskip(NEXT) | instid1(VALU_DEP_1)
	v_cmp_ne_u32_e64 s0, 0x7f800000, v9
	s_and_saveexec_b32 s9, s0
	s_delay_alu instid0(SALU_CYCLE_1)
	s_xor_b32 s0, exec_lo, s9
; %bb.3404:                             ;   in Loop: Header=BB464_1567 Depth=1
	v_bfe_u32 v9, v7, 16, 1
	s_delay_alu instid0(VALU_DEP_1)
	v_add3_u32 v138, v7, v9, 0x7fff
                                        ; implicit-def: $vgpr7
; %bb.3405:                             ;   in Loop: Header=BB464_1567 Depth=1
	s_and_not1_saveexec_b32 s9, s0
; %bb.3406:                             ;   in Loop: Header=BB464_1567 Depth=1
	v_and_b32_e32 v9, 0xffff, v7
	v_or_b32_e32 v138, 0x10000, v7
	s_delay_alu instid0(VALU_DEP_2) | instskip(NEXT) | instid1(VALU_DEP_1)
	v_cmp_eq_u32_e64 s0, 0, v9
	v_cndmask_b32_e64 v138, v138, v7, s0
; %bb.3407:                             ;   in Loop: Header=BB464_1567 Depth=1
	s_or_b32 exec_lo, exec_lo, s9
	v_lshlrev_b32_e32 v6, 16, v6
                                        ; implicit-def: $vgpr139
	s_delay_alu instid0(VALU_DEP_1) | instskip(NEXT) | instid1(VALU_DEP_1)
	v_mul_f32_e32 v6, v96, v6
	v_and_b32_e32 v7, 0x7f800000, v6
	s_delay_alu instid0(VALU_DEP_1) | instskip(NEXT) | instid1(VALU_DEP_1)
	v_cmp_ne_u32_e64 s0, 0x7f800000, v7
	s_and_saveexec_b32 s9, s0
	s_delay_alu instid0(SALU_CYCLE_1)
	s_xor_b32 s0, exec_lo, s9
; %bb.3408:                             ;   in Loop: Header=BB464_1567 Depth=1
	v_bfe_u32 v7, v6, 16, 1
	s_delay_alu instid0(VALU_DEP_1)
	v_add3_u32 v139, v6, v7, 0x7fff
                                        ; implicit-def: $vgpr6
; %bb.3409:                             ;   in Loop: Header=BB464_1567 Depth=1
	s_and_not1_saveexec_b32 s9, s0
; %bb.3410:                             ;   in Loop: Header=BB464_1567 Depth=1
	v_and_b32_e32 v7, 0xffff, v6
	v_or_b32_e32 v9, 0x10000, v6
	s_delay_alu instid0(VALU_DEP_2) | instskip(NEXT) | instid1(VALU_DEP_1)
	v_cmp_eq_u32_e64 s0, 0, v7
	v_cndmask_b32_e64 v139, v9, v6, s0
; %bb.3411:                             ;   in Loop: Header=BB464_1567 Depth=1
	s_or_b32 exec_lo, exec_lo, s9
	v_lshlrev_b32_e32 v3, 16, v3
                                        ; implicit-def: $vgpr140
	s_delay_alu instid0(VALU_DEP_1) | instskip(NEXT) | instid1(VALU_DEP_1)
	v_mul_f32_e32 v3, v97, v3
	v_and_b32_e32 v6, 0x7f800000, v3
	s_delay_alu instid0(VALU_DEP_1) | instskip(NEXT) | instid1(VALU_DEP_1)
	v_cmp_ne_u32_e64 s0, 0x7f800000, v6
	s_and_saveexec_b32 s9, s0
	s_delay_alu instid0(SALU_CYCLE_1)
	s_xor_b32 s0, exec_lo, s9
; %bb.3412:                             ;   in Loop: Header=BB464_1567 Depth=1
	v_bfe_u32 v6, v3, 16, 1
	s_delay_alu instid0(VALU_DEP_1)
	v_add3_u32 v140, v3, v6, 0x7fff
                                        ; implicit-def: $vgpr3
; %bb.3413:                             ;   in Loop: Header=BB464_1567 Depth=1
	s_and_not1_saveexec_b32 s9, s0
; %bb.3414:                             ;   in Loop: Header=BB464_1567 Depth=1
	v_and_b32_e32 v6, 0xffff, v3
	v_or_b32_e32 v7, 0x10000, v3
	s_delay_alu instid0(VALU_DEP_2) | instskip(NEXT) | instid1(VALU_DEP_1)
	v_cmp_eq_u32_e64 s0, 0, v6
	v_cndmask_b32_e64 v140, v7, v3, s0
; %bb.3415:                             ;   in Loop: Header=BB464_1567 Depth=1
	s_or_b32 exec_lo, exec_lo, s9
	v_lshlrev_b32_e32 v2, 16, v2
                                        ; implicit-def: $vgpr141
	s_delay_alu instid0(VALU_DEP_1) | instskip(NEXT) | instid1(VALU_DEP_1)
	v_mul_f32_e32 v2, v98, v2
	v_and_b32_e32 v3, 0x7f800000, v2
	s_delay_alu instid0(VALU_DEP_1) | instskip(NEXT) | instid1(VALU_DEP_1)
	v_cmp_ne_u32_e64 s0, 0x7f800000, v3
	s_and_saveexec_b32 s9, s0
	s_delay_alu instid0(SALU_CYCLE_1)
	s_xor_b32 s0, exec_lo, s9
; %bb.3416:                             ;   in Loop: Header=BB464_1567 Depth=1
	v_bfe_u32 v3, v2, 16, 1
	s_delay_alu instid0(VALU_DEP_1)
	v_add3_u32 v141, v2, v3, 0x7fff
                                        ; implicit-def: $vgpr2
; %bb.3417:                             ;   in Loop: Header=BB464_1567 Depth=1
	s_and_not1_saveexec_b32 s9, s0
; %bb.3418:                             ;   in Loop: Header=BB464_1567 Depth=1
	v_and_b32_e32 v3, 0xffff, v2
	v_or_b32_e32 v6, 0x10000, v2
	s_delay_alu instid0(VALU_DEP_2) | instskip(NEXT) | instid1(VALU_DEP_1)
	v_cmp_eq_u32_e64 s0, 0, v3
	v_cndmask_b32_e64 v141, v6, v2, s0
; %bb.3419:                             ;   in Loop: Header=BB464_1567 Depth=1
	s_or_b32 exec_lo, exec_lo, s9
	flat_load_b64 v[2:3], v[0:1] offset:3584
	s_mov_b32 s9, exec_lo
	s_waitcnt vmcnt(0) lgkmcnt(0)
	v_dual_mov_b32 v6, 0 :: v_dual_and_b32 v7, 0xff, v2
	s_delay_alu instid0(VALU_DEP_1)
	v_cmpx_ne_u16_e32 0, v7
	s_cbranch_execz .LBB464_3427
; %bb.3420:                             ;   in Loop: Header=BB464_1567 Depth=1
	v_bfrev_b32_e32 v6, 1
	s_mov_b32 s12, exec_lo
	v_cmpx_ne_u16_e32 0x80, v7
	s_cbranch_execz .LBB464_3426
; %bb.3421:                             ;   in Loop: Header=BB464_1567 Depth=1
	v_and_b32_e32 v7, 0x7f, v2
	v_mov_b32_e32 v6, 0x7f800001
	s_mov_b32 s13, exec_lo
	s_delay_alu instid0(VALU_DEP_2)
	v_cmpx_ne_u32_e32 0x7f, v7
	s_cbranch_execz .LBB464_3425
; %bb.3422:                             ;   in Loop: Header=BB464_1567 Depth=1
	v_lshrrev_b32_e32 v9, 3, v7
	v_cmp_gt_u32_e64 s0, 8, v7
	v_dual_mov_b32 v7, v3 :: v_dual_mov_b32 v6, v2
	s_delay_alu instid0(VALU_DEP_2)
	s_and_saveexec_b32 s15, s0
; %bb.3423:                             ;   in Loop: Header=BB464_1567 Depth=1
	v_and_b32_e32 v6, 7, v2
	s_delay_alu instid0(VALU_DEP_1) | instskip(NEXT) | instid1(VALU_DEP_1)
	v_clz_i32_u32_e32 v6, v6
	v_min_u32_e32 v9, 32, v6
	s_delay_alu instid0(VALU_DEP_1) | instskip(SKIP_1) | instid1(VALU_DEP_2)
	v_subrev_nc_u32_e32 v6, 28, v9
	v_sub_nc_u32_e32 v9, 29, v9
	v_lshlrev_b64 v[6:7], v6, v[2:3]
; %bb.3424:                             ;   in Loop: Header=BB464_1567 Depth=1
	s_or_b32 exec_lo, exec_lo, s15
	s_delay_alu instid0(VALU_DEP_1) | instskip(SKIP_2) | instid1(VALU_DEP_3)
	v_lshlrev_b32_e32 v6, 20, v6
	v_lshlrev_b32_e32 v7, 24, v2
	v_lshl_add_u32 v9, v9, 23, 0x3c000000
	v_and_b32_e32 v6, 0x700000, v6
	s_delay_alu instid0(VALU_DEP_3) | instskip(NEXT) | instid1(VALU_DEP_1)
	v_and_b32_e32 v7, 0x80000000, v7
	v_or3_b32 v6, v6, v7, v9
.LBB464_3425:                           ;   in Loop: Header=BB464_1567 Depth=1
	s_or_b32 exec_lo, exec_lo, s13
.LBB464_3426:                           ;   in Loop: Header=BB464_1567 Depth=1
	s_delay_alu instid0(SALU_CYCLE_1)
	s_or_b32 exec_lo, exec_lo, s12
.LBB464_3427:                           ;   in Loop: Header=BB464_1567 Depth=1
	s_delay_alu instid0(SALU_CYCLE_1) | instskip(NEXT) | instid1(VALU_DEP_1)
	s_or_b32 exec_lo, exec_lo, s9
	v_mul_f32_e32 v6, v26, v6
                                        ; implicit-def: $vgpr142
	s_delay_alu instid0(VALU_DEP_1) | instskip(NEXT) | instid1(VALU_DEP_1)
	v_and_b32_e32 v7, 0x7f800000, v6
	v_cmp_ne_u32_e64 s0, 0x7f800000, v7
	s_delay_alu instid0(VALU_DEP_1) | instskip(NEXT) | instid1(SALU_CYCLE_1)
	s_and_saveexec_b32 s9, s0
	s_xor_b32 s0, exec_lo, s9
; %bb.3428:                             ;   in Loop: Header=BB464_1567 Depth=1
	v_bfe_u32 v7, v6, 16, 1
	s_delay_alu instid0(VALU_DEP_1)
	v_add3_u32 v142, v6, v7, 0x7fff
                                        ; implicit-def: $vgpr6
; %bb.3429:                             ;   in Loop: Header=BB464_1567 Depth=1
	s_and_not1_saveexec_b32 s9, s0
; %bb.3430:                             ;   in Loop: Header=BB464_1567 Depth=1
	v_and_b32_e32 v7, 0xffff, v6
	v_or_b32_e32 v9, 0x10000, v6
	s_delay_alu instid0(VALU_DEP_2) | instskip(NEXT) | instid1(VALU_DEP_1)
	v_cmp_eq_u32_e64 s0, 0, v7
	v_cndmask_b32_e64 v142, v9, v6, s0
; %bb.3431:                             ;   in Loop: Header=BB464_1567 Depth=1
	s_or_b32 exec_lo, exec_lo, s9
	v_lshrrev_b16 v7, 8, v2
	v_mov_b32_e32 v6, 0
	s_mov_b32 s9, exec_lo
	s_delay_alu instid0(VALU_DEP_2)
	v_cmpx_ne_u16_e32 0, v7
	s_cbranch_execz .LBB464_3439
; %bb.3432:                             ;   in Loop: Header=BB464_1567 Depth=1
	v_bfrev_b32_e32 v6, 1
	s_mov_b32 s12, exec_lo
	v_cmpx_ne_u16_e32 0x80, v7
	s_cbranch_execz .LBB464_3438
; %bb.3433:                             ;   in Loop: Header=BB464_1567 Depth=1
	v_and_b32_e32 v9, 0xffff, v7
	v_mov_b32_e32 v6, 0x7f800001
	s_mov_b32 s13, exec_lo
	s_delay_alu instid0(VALU_DEP_2) | instskip(NEXT) | instid1(VALU_DEP_1)
	v_and_b32_e32 v7, 0x7f, v9
	v_cmpx_ne_u32_e32 0x7f, v7
	s_cbranch_execz .LBB464_3437
; %bb.3434:                             ;   in Loop: Header=BB464_1567 Depth=1
	v_and_b32_e32 v9, 7, v9
	v_lshrrev_b32_e32 v143, 3, v7
	v_cmp_gt_u32_e64 s0, 8, v7
	s_delay_alu instid0(VALU_DEP_3) | instskip(NEXT) | instid1(VALU_DEP_2)
	v_dual_mov_b32 v6, v9 :: v_dual_mov_b32 v7, v10
	s_and_saveexec_b32 s15, s0
; %bb.3435:                             ;   in Loop: Header=BB464_1567 Depth=1
	v_clz_i32_u32_e32 v6, v9
	s_delay_alu instid0(VALU_DEP_1) | instskip(NEXT) | instid1(VALU_DEP_1)
	v_min_u32_e32 v143, 32, v6
	v_subrev_nc_u32_e32 v6, 28, v143
	v_sub_nc_u32_e32 v143, 29, v143
	s_delay_alu instid0(VALU_DEP_2) | instskip(NEXT) | instid1(VALU_DEP_1)
	v_lshlrev_b64 v[6:7], v6, v[9:10]
	v_and_b32_e32 v6, 7, v6
; %bb.3436:                             ;   in Loop: Header=BB464_1567 Depth=1
	s_or_b32 exec_lo, exec_lo, s15
	v_lshlrev_b32_e32 v7, 16, v2
	s_delay_alu instid0(VALU_DEP_2) | instskip(SKIP_1) | instid1(VALU_DEP_3)
	v_lshlrev_b32_e32 v6, 20, v6
	v_lshl_add_u32 v9, v143, 23, 0x3c000000
	v_and_b32_e32 v7, 0x80000000, v7
	s_delay_alu instid0(VALU_DEP_1)
	v_or3_b32 v6, v6, v7, v9
.LBB464_3437:                           ;   in Loop: Header=BB464_1567 Depth=1
	s_or_b32 exec_lo, exec_lo, s13
.LBB464_3438:                           ;   in Loop: Header=BB464_1567 Depth=1
	s_delay_alu instid0(SALU_CYCLE_1)
	s_or_b32 exec_lo, exec_lo, s12
.LBB464_3439:                           ;   in Loop: Header=BB464_1567 Depth=1
	s_delay_alu instid0(SALU_CYCLE_1) | instskip(NEXT) | instid1(VALU_DEP_1)
	s_or_b32 exec_lo, exec_lo, s9
	v_mul_f32_e32 v6, v26, v6
                                        ; implicit-def: $vgpr143
	s_delay_alu instid0(VALU_DEP_1) | instskip(NEXT) | instid1(VALU_DEP_1)
	v_and_b32_e32 v7, 0x7f800000, v6
	v_cmp_ne_u32_e64 s0, 0x7f800000, v7
	s_delay_alu instid0(VALU_DEP_1) | instskip(NEXT) | instid1(SALU_CYCLE_1)
	s_and_saveexec_b32 s9, s0
	s_xor_b32 s0, exec_lo, s9
; %bb.3440:                             ;   in Loop: Header=BB464_1567 Depth=1
	v_bfe_u32 v7, v6, 16, 1
	s_delay_alu instid0(VALU_DEP_1)
	v_add3_u32 v143, v6, v7, 0x7fff
                                        ; implicit-def: $vgpr6
; %bb.3441:                             ;   in Loop: Header=BB464_1567 Depth=1
	s_and_not1_saveexec_b32 s9, s0
; %bb.3442:                             ;   in Loop: Header=BB464_1567 Depth=1
	v_and_b32_e32 v7, 0xffff, v6
	v_or_b32_e32 v9, 0x10000, v6
	s_delay_alu instid0(VALU_DEP_2) | instskip(NEXT) | instid1(VALU_DEP_1)
	v_cmp_eq_u32_e64 s0, 0, v7
	v_cndmask_b32_e64 v143, v9, v6, s0
; %bb.3443:                             ;   in Loop: Header=BB464_1567 Depth=1
	s_or_b32 exec_lo, exec_lo, s9
	v_lshrrev_b32_e32 v152, 16, v2
	s_mov_b32 s9, exec_lo
	s_delay_alu instid0(VALU_DEP_1) | instskip(NEXT) | instid1(VALU_DEP_1)
	v_dual_mov_b32 v6, 0 :: v_dual_and_b32 v7, 0xff, v152
	v_cmpx_ne_u16_e32 0, v7
	s_cbranch_execz .LBB464_3451
; %bb.3444:                             ;   in Loop: Header=BB464_1567 Depth=1
	v_bfrev_b32_e32 v6, 1
	s_mov_b32 s12, exec_lo
	v_cmpx_ne_u16_e32 0x80, v7
	s_cbranch_execz .LBB464_3450
; %bb.3445:                             ;   in Loop: Header=BB464_1567 Depth=1
	v_bfe_u32 v7, v2, 16, 7
	v_mov_b32_e32 v6, 0x7f800001
	s_mov_b32 s13, exec_lo
	s_delay_alu instid0(VALU_DEP_2)
	v_cmpx_ne_u32_e32 0x7f, v7
	s_cbranch_execz .LBB464_3449
; %bb.3446:                             ;   in Loop: Header=BB464_1567 Depth=1
	v_and_b32_e32 v9, 7, v152
	v_lshrrev_b32_e32 v153, 3, v7
	v_cmp_gt_u32_e64 s0, 8, v7
	s_delay_alu instid0(VALU_DEP_3) | instskip(NEXT) | instid1(VALU_DEP_2)
	v_dual_mov_b32 v6, v9 :: v_dual_mov_b32 v7, v10
	s_and_saveexec_b32 s15, s0
; %bb.3447:                             ;   in Loop: Header=BB464_1567 Depth=1
	v_clz_i32_u32_e32 v6, v9
	s_delay_alu instid0(VALU_DEP_1) | instskip(NEXT) | instid1(VALU_DEP_1)
	v_min_u32_e32 v153, 32, v6
	v_subrev_nc_u32_e32 v6, 28, v153
	v_sub_nc_u32_e32 v153, 29, v153
	s_delay_alu instid0(VALU_DEP_2) | instskip(NEXT) | instid1(VALU_DEP_1)
	v_lshlrev_b64 v[6:7], v6, v[9:10]
	v_and_b32_e32 v6, 7, v6
; %bb.3448:                             ;   in Loop: Header=BB464_1567 Depth=1
	s_or_b32 exec_lo, exec_lo, s15
	v_lshlrev_b32_e32 v7, 24, v152
	s_delay_alu instid0(VALU_DEP_2) | instskip(SKIP_1) | instid1(VALU_DEP_3)
	v_lshlrev_b32_e32 v6, 20, v6
	v_lshl_add_u32 v9, v153, 23, 0x3c000000
	v_and_b32_e32 v7, 0x80000000, v7
	s_delay_alu instid0(VALU_DEP_1)
	v_or3_b32 v6, v6, v7, v9
.LBB464_3449:                           ;   in Loop: Header=BB464_1567 Depth=1
	s_or_b32 exec_lo, exec_lo, s13
.LBB464_3450:                           ;   in Loop: Header=BB464_1567 Depth=1
	s_delay_alu instid0(SALU_CYCLE_1)
	s_or_b32 exec_lo, exec_lo, s12
.LBB464_3451:                           ;   in Loop: Header=BB464_1567 Depth=1
	s_delay_alu instid0(SALU_CYCLE_1) | instskip(NEXT) | instid1(VALU_DEP_1)
	s_or_b32 exec_lo, exec_lo, s9
	v_mul_f32_e32 v6, v26, v6
                                        ; implicit-def: $vgpr152
	s_delay_alu instid0(VALU_DEP_1) | instskip(NEXT) | instid1(VALU_DEP_1)
	v_and_b32_e32 v7, 0x7f800000, v6
	v_cmp_ne_u32_e64 s0, 0x7f800000, v7
	s_delay_alu instid0(VALU_DEP_1) | instskip(NEXT) | instid1(SALU_CYCLE_1)
	s_and_saveexec_b32 s9, s0
	s_xor_b32 s0, exec_lo, s9
; %bb.3452:                             ;   in Loop: Header=BB464_1567 Depth=1
	v_bfe_u32 v7, v6, 16, 1
	s_delay_alu instid0(VALU_DEP_1)
	v_add3_u32 v152, v6, v7, 0x7fff
                                        ; implicit-def: $vgpr6
; %bb.3453:                             ;   in Loop: Header=BB464_1567 Depth=1
	s_and_not1_saveexec_b32 s9, s0
; %bb.3454:                             ;   in Loop: Header=BB464_1567 Depth=1
	v_and_b32_e32 v7, 0xffff, v6
	v_or_b32_e32 v9, 0x10000, v6
	s_delay_alu instid0(VALU_DEP_2) | instskip(NEXT) | instid1(VALU_DEP_1)
	v_cmp_eq_u32_e64 s0, 0, v7
	v_cndmask_b32_e64 v152, v9, v6, s0
; %bb.3455:                             ;   in Loop: Header=BB464_1567 Depth=1
	s_or_b32 exec_lo, exec_lo, s9
	v_mov_b32_e32 v6, 0
	s_mov_b32 s9, exec_lo
	v_cmpx_lt_u32_e32 0xffffff, v2
	s_cbranch_execz .LBB464_3463
; %bb.3456:                             ;   in Loop: Header=BB464_1567 Depth=1
	v_lshrrev_b32_e32 v153, 24, v2
	v_bfrev_b32_e32 v6, 1
	s_mov_b32 s12, exec_lo
	s_delay_alu instid0(VALU_DEP_2)
	v_cmpx_ne_u32_e32 0x80, v153
	s_cbranch_execz .LBB464_3462
; %bb.3457:                             ;   in Loop: Header=BB464_1567 Depth=1
	v_bfe_u32 v7, v2, 24, 7
	v_mov_b32_e32 v6, 0x7f800001
	s_mov_b32 s13, exec_lo
	s_delay_alu instid0(VALU_DEP_2)
	v_cmpx_ne_u32_e32 0x7f, v7
	s_cbranch_execz .LBB464_3461
; %bb.3458:                             ;   in Loop: Header=BB464_1567 Depth=1
	v_and_b32_e32 v9, 7, v153
	v_lshrrev_b32_e32 v154, 3, v7
	v_cmp_gt_u32_e64 s0, 8, v7
	s_delay_alu instid0(VALU_DEP_3) | instskip(NEXT) | instid1(VALU_DEP_2)
	v_dual_mov_b32 v6, v9 :: v_dual_mov_b32 v7, v10
	s_and_saveexec_b32 s15, s0
; %bb.3459:                             ;   in Loop: Header=BB464_1567 Depth=1
	v_clz_i32_u32_e32 v6, v9
	s_delay_alu instid0(VALU_DEP_1) | instskip(NEXT) | instid1(VALU_DEP_1)
	v_min_u32_e32 v154, 32, v6
	v_subrev_nc_u32_e32 v6, 28, v154
	v_sub_nc_u32_e32 v154, 29, v154
	s_delay_alu instid0(VALU_DEP_2) | instskip(NEXT) | instid1(VALU_DEP_1)
	v_lshlrev_b64 v[6:7], v6, v[9:10]
	v_and_b32_e32 v6, 7, v6
; %bb.3460:                             ;   in Loop: Header=BB464_1567 Depth=1
	s_or_b32 exec_lo, exec_lo, s15
	v_lshlrev_b32_e32 v7, 24, v153
	s_delay_alu instid0(VALU_DEP_2) | instskip(SKIP_1) | instid1(VALU_DEP_3)
	v_lshlrev_b32_e32 v6, 20, v6
	v_lshl_add_u32 v9, v154, 23, 0x3c000000
	v_and_b32_e32 v7, 0x80000000, v7
	s_delay_alu instid0(VALU_DEP_1)
	v_or3_b32 v6, v6, v7, v9
.LBB464_3461:                           ;   in Loop: Header=BB464_1567 Depth=1
	s_or_b32 exec_lo, exec_lo, s13
.LBB464_3462:                           ;   in Loop: Header=BB464_1567 Depth=1
	s_delay_alu instid0(SALU_CYCLE_1)
	s_or_b32 exec_lo, exec_lo, s12
.LBB464_3463:                           ;   in Loop: Header=BB464_1567 Depth=1
	s_delay_alu instid0(SALU_CYCLE_1) | instskip(NEXT) | instid1(VALU_DEP_1)
	s_or_b32 exec_lo, exec_lo, s9
	v_mul_f32_e32 v6, v26, v6
                                        ; implicit-def: $vgpr153
	s_delay_alu instid0(VALU_DEP_1) | instskip(NEXT) | instid1(VALU_DEP_1)
	v_and_b32_e32 v7, 0x7f800000, v6
	v_cmp_ne_u32_e64 s0, 0x7f800000, v7
	s_delay_alu instid0(VALU_DEP_1) | instskip(NEXT) | instid1(SALU_CYCLE_1)
	s_and_saveexec_b32 s9, s0
	s_xor_b32 s0, exec_lo, s9
; %bb.3464:                             ;   in Loop: Header=BB464_1567 Depth=1
	v_bfe_u32 v7, v6, 16, 1
	s_delay_alu instid0(VALU_DEP_1)
	v_add3_u32 v153, v6, v7, 0x7fff
                                        ; implicit-def: $vgpr6
; %bb.3465:                             ;   in Loop: Header=BB464_1567 Depth=1
	s_and_not1_saveexec_b32 s9, s0
; %bb.3466:                             ;   in Loop: Header=BB464_1567 Depth=1
	v_and_b32_e32 v7, 0xffff, v6
	v_or_b32_e32 v9, 0x10000, v6
	s_delay_alu instid0(VALU_DEP_2) | instskip(NEXT) | instid1(VALU_DEP_1)
	v_cmp_eq_u32_e64 s0, 0, v7
	v_cndmask_b32_e64 v153, v9, v6, s0
; %bb.3467:                             ;   in Loop: Header=BB464_1567 Depth=1
	s_or_b32 exec_lo, exec_lo, s9
	v_dual_mov_b32 v6, 0 :: v_dual_and_b32 v7, 0xff, v3
	v_mov_b32_e32 v9, v3
	s_mov_b32 s9, exec_lo
	s_delay_alu instid0(VALU_DEP_2)
	v_cmpx_ne_u16_e32 0, v7
	s_cbranch_execz .LBB464_3475
; %bb.3468:                             ;   in Loop: Header=BB464_1567 Depth=1
	v_bfrev_b32_e32 v6, 1
	s_mov_b32 s12, exec_lo
	v_cmpx_ne_u16_e32 0x80, v7
	s_cbranch_execz .LBB464_3474
; %bb.3469:                             ;   in Loop: Header=BB464_1567 Depth=1
	v_and_b32_e32 v7, 0x7f, v3
	v_mov_b32_e32 v6, 0x7f800001
	s_mov_b32 s13, exec_lo
	s_delay_alu instid0(VALU_DEP_2)
	v_cmpx_ne_u32_e32 0x7f, v7
	s_cbranch_execz .LBB464_3473
; %bb.3470:                             ;   in Loop: Header=BB464_1567 Depth=1
	v_lshrrev_b32_e32 v154, 3, v7
	v_cmp_gt_u32_e64 s0, 8, v7
	v_dual_mov_b32 v6, v9 :: v_dual_mov_b32 v7, v10
	s_delay_alu instid0(VALU_DEP_2)
	s_and_saveexec_b32 s15, s0
; %bb.3471:                             ;   in Loop: Header=BB464_1567 Depth=1
	v_and_b32_e32 v6, 7, v3
	s_delay_alu instid0(VALU_DEP_1) | instskip(NEXT) | instid1(VALU_DEP_1)
	v_clz_i32_u32_e32 v6, v6
	v_min_u32_e32 v154, 32, v6
	s_delay_alu instid0(VALU_DEP_1) | instskip(SKIP_1) | instid1(VALU_DEP_2)
	v_subrev_nc_u32_e32 v6, 28, v154
	v_sub_nc_u32_e32 v154, 29, v154
	v_lshlrev_b64 v[6:7], v6, v[9:10]
; %bb.3472:                             ;   in Loop: Header=BB464_1567 Depth=1
	s_or_b32 exec_lo, exec_lo, s15
	s_delay_alu instid0(VALU_DEP_1) | instskip(SKIP_2) | instid1(VALU_DEP_3)
	v_lshlrev_b32_e32 v6, 20, v6
	v_lshlrev_b32_e32 v7, 24, v9
	v_lshl_add_u32 v154, v154, 23, 0x3c000000
	v_and_b32_e32 v6, 0x700000, v6
	s_delay_alu instid0(VALU_DEP_3) | instskip(NEXT) | instid1(VALU_DEP_1)
	v_and_b32_e32 v7, 0x80000000, v7
	v_or3_b32 v6, v6, v7, v154
.LBB464_3473:                           ;   in Loop: Header=BB464_1567 Depth=1
	s_or_b32 exec_lo, exec_lo, s13
.LBB464_3474:                           ;   in Loop: Header=BB464_1567 Depth=1
	s_delay_alu instid0(SALU_CYCLE_1)
	s_or_b32 exec_lo, exec_lo, s12
.LBB464_3475:                           ;   in Loop: Header=BB464_1567 Depth=1
	s_delay_alu instid0(SALU_CYCLE_1) | instskip(NEXT) | instid1(VALU_DEP_1)
	s_or_b32 exec_lo, exec_lo, s9
	v_mul_f32_e32 v6, v26, v6
                                        ; implicit-def: $vgpr154
	s_delay_alu instid0(VALU_DEP_1) | instskip(NEXT) | instid1(VALU_DEP_1)
	v_and_b32_e32 v7, 0x7f800000, v6
	v_cmp_ne_u32_e64 s0, 0x7f800000, v7
	s_delay_alu instid0(VALU_DEP_1) | instskip(NEXT) | instid1(SALU_CYCLE_1)
	s_and_saveexec_b32 s9, s0
	s_xor_b32 s0, exec_lo, s9
; %bb.3476:                             ;   in Loop: Header=BB464_1567 Depth=1
	v_bfe_u32 v7, v6, 16, 1
	s_delay_alu instid0(VALU_DEP_1)
	v_add3_u32 v154, v6, v7, 0x7fff
                                        ; implicit-def: $vgpr6
; %bb.3477:                             ;   in Loop: Header=BB464_1567 Depth=1
	s_and_not1_saveexec_b32 s9, s0
; %bb.3478:                             ;   in Loop: Header=BB464_1567 Depth=1
	v_and_b32_e32 v7, 0xffff, v6
	v_or_b32_e32 v154, 0x10000, v6
	s_delay_alu instid0(VALU_DEP_2) | instskip(NEXT) | instid1(VALU_DEP_1)
	v_cmp_eq_u32_e64 s0, 0, v7
	v_cndmask_b32_e64 v154, v154, v6, s0
; %bb.3479:                             ;   in Loop: Header=BB464_1567 Depth=1
	s_or_b32 exec_lo, exec_lo, s9
	v_lshrrev_b16 v7, 8, v9
	v_mov_b32_e32 v6, 0
	s_mov_b32 s9, exec_lo
	s_delay_alu instid0(VALU_DEP_2)
	v_cmpx_ne_u16_e32 0, v7
	s_cbranch_execz .LBB464_3487
; %bb.3480:                             ;   in Loop: Header=BB464_1567 Depth=1
	v_bfrev_b32_e32 v6, 1
	s_mov_b32 s12, exec_lo
	v_cmpx_ne_u16_e32 0x80, v7
	s_cbranch_execz .LBB464_3486
; %bb.3481:                             ;   in Loop: Header=BB464_1567 Depth=1
	v_and_b32_e32 v7, 0xffff, v7
	v_mov_b32_e32 v6, 0x7f800001
	s_mov_b32 s13, exec_lo
	s_delay_alu instid0(VALU_DEP_2) | instskip(NEXT) | instid1(VALU_DEP_1)
	v_and_b32_e32 v156, 0x7f, v7
	v_cmpx_ne_u32_e32 0x7f, v156
	s_cbranch_execz .LBB464_3485
; %bb.3482:                             ;   in Loop: Header=BB464_1567 Depth=1
	v_dual_mov_b32 v7, v10 :: v_dual_and_b32 v6, 7, v7
	v_lshrrev_b32_e32 v155, 3, v156
	s_mov_b32 s15, exec_lo
	v_cmpx_gt_u32_e32 8, v156
; %bb.3483:                             ;   in Loop: Header=BB464_1567 Depth=1
	s_delay_alu instid0(VALU_DEP_3) | instskip(NEXT) | instid1(VALU_DEP_1)
	v_clz_i32_u32_e32 v155, v6
	v_min_u32_e32 v155, 32, v155
	s_delay_alu instid0(VALU_DEP_1) | instskip(SKIP_1) | instid1(VALU_DEP_2)
	v_subrev_nc_u32_e32 v156, 28, v155
	v_sub_nc_u32_e32 v155, 29, v155
	v_lshlrev_b64 v[6:7], v156, v[6:7]
	s_delay_alu instid0(VALU_DEP_1)
	v_and_b32_e32 v6, 7, v6
; %bb.3484:                             ;   in Loop: Header=BB464_1567 Depth=1
	s_or_b32 exec_lo, exec_lo, s15
	v_lshlrev_b32_e32 v7, 16, v9
	s_delay_alu instid0(VALU_DEP_2) | instskip(SKIP_1) | instid1(VALU_DEP_3)
	v_lshlrev_b32_e32 v6, 20, v6
	v_lshl_add_u32 v9, v155, 23, 0x3c000000
	v_and_b32_e32 v7, 0x80000000, v7
	s_delay_alu instid0(VALU_DEP_1)
	v_or3_b32 v6, v6, v7, v9
.LBB464_3485:                           ;   in Loop: Header=BB464_1567 Depth=1
	s_or_b32 exec_lo, exec_lo, s13
.LBB464_3486:                           ;   in Loop: Header=BB464_1567 Depth=1
	s_delay_alu instid0(SALU_CYCLE_1)
	s_or_b32 exec_lo, exec_lo, s12
.LBB464_3487:                           ;   in Loop: Header=BB464_1567 Depth=1
	s_delay_alu instid0(SALU_CYCLE_1) | instskip(NEXT) | instid1(VALU_DEP_1)
	s_or_b32 exec_lo, exec_lo, s9
	v_mul_f32_e32 v6, v26, v6
                                        ; implicit-def: $vgpr155
	s_delay_alu instid0(VALU_DEP_1) | instskip(NEXT) | instid1(VALU_DEP_1)
	v_and_b32_e32 v7, 0x7f800000, v6
	v_cmp_ne_u32_e64 s0, 0x7f800000, v7
	s_delay_alu instid0(VALU_DEP_1) | instskip(NEXT) | instid1(SALU_CYCLE_1)
	s_and_saveexec_b32 s9, s0
	s_xor_b32 s0, exec_lo, s9
; %bb.3488:                             ;   in Loop: Header=BB464_1567 Depth=1
	v_bfe_u32 v7, v6, 16, 1
	s_delay_alu instid0(VALU_DEP_1)
	v_add3_u32 v155, v6, v7, 0x7fff
                                        ; implicit-def: $vgpr6
; %bb.3489:                             ;   in Loop: Header=BB464_1567 Depth=1
	s_and_not1_saveexec_b32 s9, s0
; %bb.3490:                             ;   in Loop: Header=BB464_1567 Depth=1
	v_and_b32_e32 v7, 0xffff, v6
	v_or_b32_e32 v9, 0x10000, v6
	s_delay_alu instid0(VALU_DEP_2) | instskip(NEXT) | instid1(VALU_DEP_1)
	v_cmp_eq_u32_e64 s0, 0, v7
	v_cndmask_b32_e64 v155, v9, v6, s0
; %bb.3491:                             ;   in Loop: Header=BB464_1567 Depth=1
	s_or_b32 exec_lo, exec_lo, s9
	v_lshrrev_b32_e32 v156, 16, v3
	s_mov_b32 s9, exec_lo
	s_delay_alu instid0(VALU_DEP_1) | instskip(NEXT) | instid1(VALU_DEP_1)
	v_dual_mov_b32 v6, 0 :: v_dual_and_b32 v7, 0xff, v156
	v_cmpx_ne_u16_e32 0, v7
	s_cbranch_execz .LBB464_3499
; %bb.3492:                             ;   in Loop: Header=BB464_1567 Depth=1
	v_bfrev_b32_e32 v6, 1
	s_mov_b32 s12, exec_lo
	v_cmpx_ne_u16_e32 0x80, v7
	s_cbranch_execz .LBB464_3498
; %bb.3493:                             ;   in Loop: Header=BB464_1567 Depth=1
	v_bfe_u32 v7, v3, 16, 7
	v_mov_b32_e32 v6, 0x7f800001
	s_mov_b32 s13, exec_lo
	s_delay_alu instid0(VALU_DEP_2)
	v_cmpx_ne_u32_e32 0x7f, v7
	s_cbranch_execz .LBB464_3497
; %bb.3494:                             ;   in Loop: Header=BB464_1567 Depth=1
	v_and_b32_e32 v9, 7, v156
	v_lshrrev_b32_e32 v157, 3, v7
	v_cmp_gt_u32_e64 s0, 8, v7
	s_delay_alu instid0(VALU_DEP_3) | instskip(NEXT) | instid1(VALU_DEP_2)
	v_dual_mov_b32 v6, v9 :: v_dual_mov_b32 v7, v10
	s_and_saveexec_b32 s15, s0
; %bb.3495:                             ;   in Loop: Header=BB464_1567 Depth=1
	v_clz_i32_u32_e32 v6, v9
	s_delay_alu instid0(VALU_DEP_1) | instskip(NEXT) | instid1(VALU_DEP_1)
	v_min_u32_e32 v157, 32, v6
	v_subrev_nc_u32_e32 v6, 28, v157
	v_sub_nc_u32_e32 v157, 29, v157
	s_delay_alu instid0(VALU_DEP_2) | instskip(NEXT) | instid1(VALU_DEP_1)
	v_lshlrev_b64 v[6:7], v6, v[9:10]
	v_and_b32_e32 v6, 7, v6
; %bb.3496:                             ;   in Loop: Header=BB464_1567 Depth=1
	s_or_b32 exec_lo, exec_lo, s15
	v_lshlrev_b32_e32 v7, 24, v156
	s_delay_alu instid0(VALU_DEP_2) | instskip(SKIP_1) | instid1(VALU_DEP_3)
	v_lshlrev_b32_e32 v6, 20, v6
	v_lshl_add_u32 v9, v157, 23, 0x3c000000
	v_and_b32_e32 v7, 0x80000000, v7
	s_delay_alu instid0(VALU_DEP_1)
	v_or3_b32 v6, v6, v7, v9
.LBB464_3497:                           ;   in Loop: Header=BB464_1567 Depth=1
	s_or_b32 exec_lo, exec_lo, s13
.LBB464_3498:                           ;   in Loop: Header=BB464_1567 Depth=1
	s_delay_alu instid0(SALU_CYCLE_1)
	s_or_b32 exec_lo, exec_lo, s12
.LBB464_3499:                           ;   in Loop: Header=BB464_1567 Depth=1
	s_delay_alu instid0(SALU_CYCLE_1) | instskip(NEXT) | instid1(VALU_DEP_1)
	s_or_b32 exec_lo, exec_lo, s9
	v_mul_f32_e32 v7, v26, v6
	s_delay_alu instid0(VALU_DEP_1) | instskip(NEXT) | instid1(VALU_DEP_1)
	v_and_b32_e32 v6, 0x7f800000, v7
	v_cmp_ne_u32_e64 s0, 0x7f800000, v6
                                        ; implicit-def: $vgpr6
	s_delay_alu instid0(VALU_DEP_1) | instskip(NEXT) | instid1(SALU_CYCLE_1)
	s_and_saveexec_b32 s9, s0
	s_xor_b32 s0, exec_lo, s9
; %bb.3500:                             ;   in Loop: Header=BB464_1567 Depth=1
	v_bfe_u32 v6, v7, 16, 1
	s_delay_alu instid0(VALU_DEP_1)
	v_add3_u32 v6, v7, v6, 0x7fff
                                        ; implicit-def: $vgpr7
; %bb.3501:                             ;   in Loop: Header=BB464_1567 Depth=1
	s_and_not1_saveexec_b32 s9, s0
; %bb.3502:                             ;   in Loop: Header=BB464_1567 Depth=1
	v_and_b32_e32 v6, 0xffff, v7
	v_or_b32_e32 v9, 0x10000, v7
	s_delay_alu instid0(VALU_DEP_2) | instskip(NEXT) | instid1(VALU_DEP_1)
	v_cmp_eq_u32_e64 s0, 0, v6
	v_cndmask_b32_e64 v6, v9, v7, s0
; %bb.3503:                             ;   in Loop: Header=BB464_1567 Depth=1
	s_or_b32 exec_lo, exec_lo, s9
	v_cmp_lt_u64_e64 s0, s[2:3], v[2:3]
	v_mov_b32_e32 v2, 0
	s_delay_alu instid0(VALU_DEP_2)
	s_and_saveexec_b32 s9, s0
	s_cbranch_execz .LBB464_3511
; %bb.3504:                             ;   in Loop: Header=BB464_1567 Depth=1
	v_lshrrev_b32_e32 v7, 24, v3
	v_bfrev_b32_e32 v2, 1
	s_mov_b32 s12, exec_lo
	s_delay_alu instid0(VALU_DEP_2)
	v_cmpx_ne_u32_e32 0x80, v7
	s_cbranch_execz .LBB464_3510
; %bb.3505:                             ;   in Loop: Header=BB464_1567 Depth=1
	v_bfe_u32 v3, v3, 24, 7
	v_mov_b32_e32 v2, 0x7f800001
	s_mov_b32 s13, exec_lo
	s_delay_alu instid0(VALU_DEP_2)
	v_cmpx_ne_u32_e32 0x7f, v3
	s_cbranch_execz .LBB464_3509
; %bb.3506:                             ;   in Loop: Header=BB464_1567 Depth=1
	v_and_b32_e32 v9, 7, v7
	v_lshrrev_b32_e32 v156, 3, v3
	v_cmp_gt_u32_e64 s0, 8, v3
	s_delay_alu instid0(VALU_DEP_3) | instskip(NEXT) | instid1(VALU_DEP_2)
	v_dual_mov_b32 v2, v9 :: v_dual_mov_b32 v3, v10
	s_and_saveexec_b32 s15, s0
; %bb.3507:                             ;   in Loop: Header=BB464_1567 Depth=1
	v_clz_i32_u32_e32 v2, v9
	s_delay_alu instid0(VALU_DEP_1) | instskip(NEXT) | instid1(VALU_DEP_1)
	v_min_u32_e32 v156, 32, v2
	v_subrev_nc_u32_e32 v2, 28, v156
	v_sub_nc_u32_e32 v156, 29, v156
	s_delay_alu instid0(VALU_DEP_2) | instskip(NEXT) | instid1(VALU_DEP_1)
	v_lshlrev_b64 v[2:3], v2, v[9:10]
	v_and_b32_e32 v2, 7, v2
; %bb.3508:                             ;   in Loop: Header=BB464_1567 Depth=1
	s_or_b32 exec_lo, exec_lo, s15
	v_lshlrev_b32_e32 v3, 24, v7
	s_delay_alu instid0(VALU_DEP_2) | instskip(SKIP_1) | instid1(VALU_DEP_3)
	v_lshlrev_b32_e32 v2, 20, v2
	v_lshl_add_u32 v7, v156, 23, 0x3c000000
	v_and_b32_e32 v3, 0x80000000, v3
	s_delay_alu instid0(VALU_DEP_1)
	v_or3_b32 v2, v2, v3, v7
.LBB464_3509:                           ;   in Loop: Header=BB464_1567 Depth=1
	s_or_b32 exec_lo, exec_lo, s13
.LBB464_3510:                           ;   in Loop: Header=BB464_1567 Depth=1
	s_delay_alu instid0(SALU_CYCLE_1)
	s_or_b32 exec_lo, exec_lo, s12
.LBB464_3511:                           ;   in Loop: Header=BB464_1567 Depth=1
	s_delay_alu instid0(SALU_CYCLE_1) | instskip(NEXT) | instid1(VALU_DEP_1)
	s_or_b32 exec_lo, exec_lo, s9
	v_mul_f32_e32 v3, v26, v2
	s_delay_alu instid0(VALU_DEP_1) | instskip(NEXT) | instid1(VALU_DEP_1)
	v_and_b32_e32 v2, 0x7f800000, v3
	v_cmp_ne_u32_e64 s0, 0x7f800000, v2
                                        ; implicit-def: $vgpr2
	s_delay_alu instid0(VALU_DEP_1) | instskip(NEXT) | instid1(SALU_CYCLE_1)
	s_and_saveexec_b32 s9, s0
	s_xor_b32 s0, exec_lo, s9
; %bb.3512:                             ;   in Loop: Header=BB464_1567 Depth=1
	v_bfe_u32 v2, v3, 16, 1
	s_delay_alu instid0(VALU_DEP_1)
	v_add3_u32 v2, v3, v2, 0x7fff
                                        ; implicit-def: $vgpr3
; %bb.3513:                             ;   in Loop: Header=BB464_1567 Depth=1
	s_and_not1_saveexec_b32 s9, s0
; %bb.3514:                             ;   in Loop: Header=BB464_1567 Depth=1
	v_and_b32_e32 v2, 0xffff, v3
	v_or_b32_e32 v7, 0x10000, v3
	s_delay_alu instid0(VALU_DEP_2) | instskip(NEXT) | instid1(VALU_DEP_1)
	v_cmp_eq_u32_e64 s0, 0, v2
	v_cndmask_b32_e64 v2, v7, v3, s0
; %bb.3515:                             ;   in Loop: Header=BB464_1567 Depth=1
	s_or_b32 exec_lo, exec_lo, s9
	v_lshrrev_b32_e32 v9, 16, v155
	v_lshrrev_b32_e32 v154, 16, v154
	;; [unrolled: 1-line block ×8, first 2 shown]
	s_and_saveexec_b32 s9, vcc_lo
	s_cbranch_execz .LBB464_3517
; %bb.3516:                             ;   in Loop: Header=BB464_1567 Depth=1
	v_cmp_lt_i32_e64 s0, v68, v36
	s_delay_alu instid0(VALU_DEP_1) | instskip(SKIP_1) | instid1(VALU_DEP_1)
	v_cndmask_b32_e64 v142, 0, v142, s0
	v_cmp_lt_i32_e64 s0, v82, v36
	v_cndmask_b32_e64 v7, 0, v7, s0
	v_cmp_lt_i32_e64 s0, v81, v36
	s_delay_alu instid0(VALU_DEP_1) | instskip(SKIP_1) | instid1(VALU_DEP_1)
	v_cndmask_b32_e64 v152, 0, v152, s0
	v_cmp_lt_i32_e64 s0, v80, v36
	v_cndmask_b32_e64 v153, 0, v153, s0
	;; [unrolled: 5-line block ×4, first 2 shown]
.LBB464_3517:                           ;   in Loop: Header=BB464_1567 Depth=1
	s_or_b32 exec_lo, exec_lo, s9
	v_lshlrev_b32_e32 v6, 16, v142
	s_delay_alu instid0(VALU_DEP_1) | instskip(NEXT) | instid1(VALU_DEP_1)
	v_mul_f32_e32 v142, v83, v6
	v_and_b32_e32 v6, 0x7f800000, v142
	s_delay_alu instid0(VALU_DEP_1) | instskip(NEXT) | instid1(VALU_DEP_1)
	v_cmp_ne_u32_e64 s0, 0x7f800000, v6
                                        ; implicit-def: $vgpr6
	s_and_saveexec_b32 s9, s0
	s_delay_alu instid0(SALU_CYCLE_1)
	s_xor_b32 s0, exec_lo, s9
; %bb.3518:                             ;   in Loop: Header=BB464_1567 Depth=1
	v_bfe_u32 v6, v142, 16, 1
	s_delay_alu instid0(VALU_DEP_1)
	v_add3_u32 v6, v142, v6, 0x7fff
                                        ; implicit-def: $vgpr142
; %bb.3519:                             ;   in Loop: Header=BB464_1567 Depth=1
	s_and_not1_saveexec_b32 s9, s0
; %bb.3520:                             ;   in Loop: Header=BB464_1567 Depth=1
	v_and_b32_e32 v6, 0xffff, v142
	v_or_b32_e32 v143, 0x10000, v142
	s_delay_alu instid0(VALU_DEP_2) | instskip(NEXT) | instid1(VALU_DEP_1)
	v_cmp_eq_u32_e64 s0, 0, v6
	v_cndmask_b32_e64 v6, v143, v142, s0
; %bb.3521:                             ;   in Loop: Header=BB464_1567 Depth=1
	s_or_b32 exec_lo, exec_lo, s9
	v_lshlrev_b32_e32 v7, 16, v7
	s_delay_alu instid0(VALU_DEP_1) | instskip(NEXT) | instid1(VALU_DEP_1)
	v_mul_f32_e32 v142, v84, v7
	v_and_b32_e32 v7, 0x7f800000, v142
	s_delay_alu instid0(VALU_DEP_1) | instskip(NEXT) | instid1(VALU_DEP_1)
	v_cmp_ne_u32_e64 s0, 0x7f800000, v7
                                        ; implicit-def: $vgpr7
	s_and_saveexec_b32 s9, s0
	s_delay_alu instid0(SALU_CYCLE_1)
	s_xor_b32 s0, exec_lo, s9
; %bb.3522:                             ;   in Loop: Header=BB464_1567 Depth=1
	v_bfe_u32 v7, v142, 16, 1
	s_delay_alu instid0(VALU_DEP_1)
	v_add3_u32 v7, v142, v7, 0x7fff
                                        ; implicit-def: $vgpr142
; %bb.3523:                             ;   in Loop: Header=BB464_1567 Depth=1
	s_and_not1_saveexec_b32 s9, s0
; %bb.3524:                             ;   in Loop: Header=BB464_1567 Depth=1
	v_and_b32_e32 v7, 0xffff, v142
	v_or_b32_e32 v143, 0x10000, v142
	s_delay_alu instid0(VALU_DEP_2) | instskip(NEXT) | instid1(VALU_DEP_1)
	v_cmp_eq_u32_e64 s0, 0, v7
	v_cndmask_b32_e64 v7, v143, v142, s0
; %bb.3525:                             ;   in Loop: Header=BB464_1567 Depth=1
	s_or_b32 exec_lo, exec_lo, s9
	v_lshlrev_b32_e32 v142, 16, v152
	s_delay_alu instid0(VALU_DEP_1) | instskip(NEXT) | instid1(VALU_DEP_1)
	v_mul_f32_e32 v143, v85, v142
	v_and_b32_e32 v142, 0x7f800000, v143
	s_delay_alu instid0(VALU_DEP_1) | instskip(NEXT) | instid1(VALU_DEP_1)
	v_cmp_ne_u32_e64 s0, 0x7f800000, v142
                                        ; implicit-def: $vgpr142
	s_and_saveexec_b32 s9, s0
	s_delay_alu instid0(SALU_CYCLE_1)
	s_xor_b32 s0, exec_lo, s9
; %bb.3526:                             ;   in Loop: Header=BB464_1567 Depth=1
	v_bfe_u32 v142, v143, 16, 1
	s_delay_alu instid0(VALU_DEP_1)
	v_add3_u32 v142, v143, v142, 0x7fff
                                        ; implicit-def: $vgpr143
; %bb.3527:                             ;   in Loop: Header=BB464_1567 Depth=1
	s_and_not1_saveexec_b32 s9, s0
; %bb.3528:                             ;   in Loop: Header=BB464_1567 Depth=1
	v_and_b32_e32 v142, 0xffff, v143
	v_or_b32_e32 v152, 0x10000, v143
	s_delay_alu instid0(VALU_DEP_2) | instskip(NEXT) | instid1(VALU_DEP_1)
	v_cmp_eq_u32_e64 s0, 0, v142
	v_cndmask_b32_e64 v142, v152, v143, s0
; %bb.3529:                             ;   in Loop: Header=BB464_1567 Depth=1
	s_or_b32 exec_lo, exec_lo, s9
	v_lshlrev_b32_e32 v143, 16, v153
	s_delay_alu instid0(VALU_DEP_1) | instskip(NEXT) | instid1(VALU_DEP_1)
	v_mul_f32_e32 v152, v86, v143
	v_and_b32_e32 v143, 0x7f800000, v152
	s_delay_alu instid0(VALU_DEP_1) | instskip(NEXT) | instid1(VALU_DEP_1)
	v_cmp_ne_u32_e64 s0, 0x7f800000, v143
                                        ; implicit-def: $vgpr143
	s_and_saveexec_b32 s9, s0
	s_delay_alu instid0(SALU_CYCLE_1)
	s_xor_b32 s0, exec_lo, s9
; %bb.3530:                             ;   in Loop: Header=BB464_1567 Depth=1
	v_bfe_u32 v143, v152, 16, 1
	s_delay_alu instid0(VALU_DEP_1)
	v_add3_u32 v143, v152, v143, 0x7fff
                                        ; implicit-def: $vgpr152
; %bb.3531:                             ;   in Loop: Header=BB464_1567 Depth=1
	s_and_not1_saveexec_b32 s9, s0
; %bb.3532:                             ;   in Loop: Header=BB464_1567 Depth=1
	v_and_b32_e32 v143, 0xffff, v152
	v_or_b32_e32 v153, 0x10000, v152
	s_delay_alu instid0(VALU_DEP_2) | instskip(NEXT) | instid1(VALU_DEP_1)
	v_cmp_eq_u32_e64 s0, 0, v143
	v_cndmask_b32_e64 v143, v153, v152, s0
; %bb.3533:                             ;   in Loop: Header=BB464_1567 Depth=1
	s_or_b32 exec_lo, exec_lo, s9
	v_lshlrev_b32_e32 v152, 16, v154
	s_delay_alu instid0(VALU_DEP_1) | instskip(NEXT) | instid1(VALU_DEP_1)
	v_mul_f32_e32 v153, v87, v152
	v_and_b32_e32 v152, 0x7f800000, v153
	s_delay_alu instid0(VALU_DEP_1) | instskip(NEXT) | instid1(VALU_DEP_1)
	v_cmp_ne_u32_e64 s0, 0x7f800000, v152
                                        ; implicit-def: $vgpr152
	s_and_saveexec_b32 s9, s0
	s_delay_alu instid0(SALU_CYCLE_1)
	s_xor_b32 s0, exec_lo, s9
; %bb.3534:                             ;   in Loop: Header=BB464_1567 Depth=1
	v_bfe_u32 v152, v153, 16, 1
	s_delay_alu instid0(VALU_DEP_1)
	v_add3_u32 v152, v153, v152, 0x7fff
                                        ; implicit-def: $vgpr153
; %bb.3535:                             ;   in Loop: Header=BB464_1567 Depth=1
	s_and_not1_saveexec_b32 s9, s0
; %bb.3536:                             ;   in Loop: Header=BB464_1567 Depth=1
	v_and_b32_e32 v152, 0xffff, v153
	v_or_b32_e32 v154, 0x10000, v153
	s_delay_alu instid0(VALU_DEP_2) | instskip(NEXT) | instid1(VALU_DEP_1)
	v_cmp_eq_u32_e64 s0, 0, v152
	v_cndmask_b32_e64 v152, v154, v153, s0
; %bb.3537:                             ;   in Loop: Header=BB464_1567 Depth=1
	s_or_b32 exec_lo, exec_lo, s9
	v_lshlrev_b32_e32 v9, 16, v9
	s_delay_alu instid0(VALU_DEP_1) | instskip(NEXT) | instid1(VALU_DEP_1)
	v_mul_f32_e32 v9, v96, v9
	v_and_b32_e32 v153, 0x7f800000, v9
	s_delay_alu instid0(VALU_DEP_1) | instskip(NEXT) | instid1(VALU_DEP_1)
	v_cmp_ne_u32_e64 s0, 0x7f800000, v153
                                        ; implicit-def: $vgpr153
	s_and_saveexec_b32 s9, s0
	s_delay_alu instid0(SALU_CYCLE_1)
	s_xor_b32 s0, exec_lo, s9
; %bb.3538:                             ;   in Loop: Header=BB464_1567 Depth=1
	v_bfe_u32 v153, v9, 16, 1
	s_delay_alu instid0(VALU_DEP_1)
	v_add3_u32 v153, v9, v153, 0x7fff
                                        ; implicit-def: $vgpr9
; %bb.3539:                             ;   in Loop: Header=BB464_1567 Depth=1
	s_and_not1_saveexec_b32 s9, s0
; %bb.3540:                             ;   in Loop: Header=BB464_1567 Depth=1
	v_and_b32_e32 v153, 0xffff, v9
	v_or_b32_e32 v154, 0x10000, v9
	s_delay_alu instid0(VALU_DEP_2) | instskip(NEXT) | instid1(VALU_DEP_1)
	v_cmp_eq_u32_e64 s0, 0, v153
	v_cndmask_b32_e64 v153, v154, v9, s0
; %bb.3541:                             ;   in Loop: Header=BB464_1567 Depth=1
	s_or_b32 exec_lo, exec_lo, s9
	v_lshlrev_b32_e32 v3, 16, v3
                                        ; implicit-def: $vgpr154
	s_delay_alu instid0(VALU_DEP_1) | instskip(NEXT) | instid1(VALU_DEP_1)
	v_mul_f32_e32 v3, v97, v3
	v_and_b32_e32 v9, 0x7f800000, v3
	s_delay_alu instid0(VALU_DEP_1) | instskip(NEXT) | instid1(VALU_DEP_1)
	v_cmp_ne_u32_e64 s0, 0x7f800000, v9
	s_and_saveexec_b32 s9, s0
	s_delay_alu instid0(SALU_CYCLE_1)
	s_xor_b32 s0, exec_lo, s9
; %bb.3542:                             ;   in Loop: Header=BB464_1567 Depth=1
	v_bfe_u32 v9, v3, 16, 1
	s_delay_alu instid0(VALU_DEP_1)
	v_add3_u32 v154, v3, v9, 0x7fff
                                        ; implicit-def: $vgpr3
; %bb.3543:                             ;   in Loop: Header=BB464_1567 Depth=1
	s_and_not1_saveexec_b32 s9, s0
; %bb.3544:                             ;   in Loop: Header=BB464_1567 Depth=1
	v_and_b32_e32 v9, 0xffff, v3
	v_or_b32_e32 v154, 0x10000, v3
	s_delay_alu instid0(VALU_DEP_2) | instskip(NEXT) | instid1(VALU_DEP_1)
	v_cmp_eq_u32_e64 s0, 0, v9
	v_cndmask_b32_e64 v154, v154, v3, s0
; %bb.3545:                             ;   in Loop: Header=BB464_1567 Depth=1
	s_or_b32 exec_lo, exec_lo, s9
	v_lshlrev_b32_e32 v2, 16, v2
                                        ; implicit-def: $vgpr155
	s_delay_alu instid0(VALU_DEP_1) | instskip(NEXT) | instid1(VALU_DEP_1)
	v_mul_f32_e32 v2, v98, v2
	v_and_b32_e32 v3, 0x7f800000, v2
	s_delay_alu instid0(VALU_DEP_1) | instskip(NEXT) | instid1(VALU_DEP_1)
	v_cmp_ne_u32_e64 s0, 0x7f800000, v3
	s_and_saveexec_b32 s9, s0
	s_delay_alu instid0(SALU_CYCLE_1)
	s_xor_b32 s0, exec_lo, s9
; %bb.3546:                             ;   in Loop: Header=BB464_1567 Depth=1
	v_bfe_u32 v3, v2, 16, 1
	s_delay_alu instid0(VALU_DEP_1)
	v_add3_u32 v155, v2, v3, 0x7fff
                                        ; implicit-def: $vgpr2
; %bb.3547:                             ;   in Loop: Header=BB464_1567 Depth=1
	s_and_not1_saveexec_b32 s9, s0
; %bb.3548:                             ;   in Loop: Header=BB464_1567 Depth=1
	v_and_b32_e32 v3, 0xffff, v2
	v_or_b32_e32 v9, 0x10000, v2
	s_delay_alu instid0(VALU_DEP_2) | instskip(NEXT) | instid1(VALU_DEP_1)
	v_cmp_eq_u32_e64 s0, 0, v3
	v_cndmask_b32_e64 v155, v9, v2, s0
; %bb.3549:                             ;   in Loop: Header=BB464_1567 Depth=1
	s_or_b32 exec_lo, exec_lo, s9
	flat_load_b64 v[0:1], v[0:1] offset:3840
	s_mov_b32 s9, exec_lo
	s_waitcnt vmcnt(0) lgkmcnt(0)
	v_dual_mov_b32 v2, 0 :: v_dual_and_b32 v3, 0xff, v0
	s_delay_alu instid0(VALU_DEP_1)
	v_cmpx_ne_u16_e32 0, v3
	s_cbranch_execz .LBB464_3557
; %bb.3550:                             ;   in Loop: Header=BB464_1567 Depth=1
	v_bfrev_b32_e32 v2, 1
	s_mov_b32 s12, exec_lo
	v_cmpx_ne_u16_e32 0x80, v3
	s_cbranch_execz .LBB464_3556
; %bb.3551:                             ;   in Loop: Header=BB464_1567 Depth=1
	v_and_b32_e32 v3, 0x7f, v0
	v_mov_b32_e32 v2, 0x7f800001
	s_mov_b32 s13, exec_lo
	s_delay_alu instid0(VALU_DEP_2)
	v_cmpx_ne_u32_e32 0x7f, v3
	s_cbranch_execz .LBB464_3555
; %bb.3552:                             ;   in Loop: Header=BB464_1567 Depth=1
	v_lshrrev_b32_e32 v9, 3, v3
	v_cmp_gt_u32_e64 s0, 8, v3
	v_dual_mov_b32 v3, v1 :: v_dual_mov_b32 v2, v0
	s_delay_alu instid0(VALU_DEP_2)
	s_and_saveexec_b32 s15, s0
; %bb.3553:                             ;   in Loop: Header=BB464_1567 Depth=1
	v_and_b32_e32 v2, 7, v0
	s_delay_alu instid0(VALU_DEP_1) | instskip(NEXT) | instid1(VALU_DEP_1)
	v_clz_i32_u32_e32 v2, v2
	v_min_u32_e32 v9, 32, v2
	s_delay_alu instid0(VALU_DEP_1) | instskip(SKIP_1) | instid1(VALU_DEP_2)
	v_subrev_nc_u32_e32 v2, 28, v9
	v_sub_nc_u32_e32 v9, 29, v9
	v_lshlrev_b64 v[2:3], v2, v[0:1]
; %bb.3554:                             ;   in Loop: Header=BB464_1567 Depth=1
	s_or_b32 exec_lo, exec_lo, s15
	s_delay_alu instid0(VALU_DEP_1) | instskip(SKIP_2) | instid1(VALU_DEP_3)
	v_lshlrev_b32_e32 v2, 20, v2
	v_lshlrev_b32_e32 v3, 24, v0
	v_lshl_add_u32 v9, v9, 23, 0x3c000000
	v_and_b32_e32 v2, 0x700000, v2
	s_delay_alu instid0(VALU_DEP_3) | instskip(NEXT) | instid1(VALU_DEP_1)
	v_and_b32_e32 v3, 0x80000000, v3
	v_or3_b32 v2, v2, v3, v9
.LBB464_3555:                           ;   in Loop: Header=BB464_1567 Depth=1
	s_or_b32 exec_lo, exec_lo, s13
.LBB464_3556:                           ;   in Loop: Header=BB464_1567 Depth=1
	s_delay_alu instid0(SALU_CYCLE_1)
	s_or_b32 exec_lo, exec_lo, s12
.LBB464_3557:                           ;   in Loop: Header=BB464_1567 Depth=1
	s_delay_alu instid0(SALU_CYCLE_1) | instskip(NEXT) | instid1(VALU_DEP_1)
	s_or_b32 exec_lo, exec_lo, s9
	v_mul_f32_e32 v2, v26, v2
                                        ; implicit-def: $vgpr156
	s_delay_alu instid0(VALU_DEP_1) | instskip(NEXT) | instid1(VALU_DEP_1)
	v_and_b32_e32 v3, 0x7f800000, v2
	v_cmp_ne_u32_e64 s0, 0x7f800000, v3
	s_delay_alu instid0(VALU_DEP_1) | instskip(NEXT) | instid1(SALU_CYCLE_1)
	s_and_saveexec_b32 s9, s0
	s_xor_b32 s0, exec_lo, s9
; %bb.3558:                             ;   in Loop: Header=BB464_1567 Depth=1
	v_bfe_u32 v3, v2, 16, 1
	s_delay_alu instid0(VALU_DEP_1)
	v_add3_u32 v156, v2, v3, 0x7fff
                                        ; implicit-def: $vgpr2
; %bb.3559:                             ;   in Loop: Header=BB464_1567 Depth=1
	s_and_not1_saveexec_b32 s9, s0
; %bb.3560:                             ;   in Loop: Header=BB464_1567 Depth=1
	v_and_b32_e32 v3, 0xffff, v2
	v_or_b32_e32 v9, 0x10000, v2
	s_delay_alu instid0(VALU_DEP_2) | instskip(NEXT) | instid1(VALU_DEP_1)
	v_cmp_eq_u32_e64 s0, 0, v3
	v_cndmask_b32_e64 v156, v9, v2, s0
; %bb.3561:                             ;   in Loop: Header=BB464_1567 Depth=1
	s_or_b32 exec_lo, exec_lo, s9
	v_lshrrev_b16 v3, 8, v0
	v_mov_b32_e32 v2, 0
	s_mov_b32 s9, exec_lo
	s_delay_alu instid0(VALU_DEP_2)
	v_cmpx_ne_u16_e32 0, v3
	s_cbranch_execz .LBB464_3569
; %bb.3562:                             ;   in Loop: Header=BB464_1567 Depth=1
	v_bfrev_b32_e32 v2, 1
	s_mov_b32 s12, exec_lo
	v_cmpx_ne_u16_e32 0x80, v3
	s_cbranch_execz .LBB464_3568
; %bb.3563:                             ;   in Loop: Header=BB464_1567 Depth=1
	v_and_b32_e32 v3, 0xffff, v3
	v_mov_b32_e32 v2, 0x7f800001
	s_mov_b32 s13, exec_lo
	s_delay_alu instid0(VALU_DEP_2) | instskip(NEXT) | instid1(VALU_DEP_1)
	v_and_b32_e32 v158, 0x7f, v3
	v_cmpx_ne_u32_e32 0x7f, v158
	s_cbranch_execz .LBB464_3567
; %bb.3564:                             ;   in Loop: Header=BB464_1567 Depth=1
	v_and_b32_e32 v9, 7, v3
	v_lshrrev_b32_e32 v157, 3, v158
	s_mov_b32 s15, exec_lo
	s_delay_alu instid0(VALU_DEP_2)
	v_dual_mov_b32 v2, v9 :: v_dual_mov_b32 v3, v10
	v_cmpx_gt_u32_e32 8, v158
; %bb.3565:                             ;   in Loop: Header=BB464_1567 Depth=1
	v_clz_i32_u32_e32 v2, v9
	s_delay_alu instid0(VALU_DEP_1) | instskip(NEXT) | instid1(VALU_DEP_1)
	v_min_u32_e32 v157, 32, v2
	v_subrev_nc_u32_e32 v2, 28, v157
	v_sub_nc_u32_e32 v157, 29, v157
	s_delay_alu instid0(VALU_DEP_2) | instskip(NEXT) | instid1(VALU_DEP_1)
	v_lshlrev_b64 v[2:3], v2, v[9:10]
	v_and_b32_e32 v2, 7, v2
; %bb.3566:                             ;   in Loop: Header=BB464_1567 Depth=1
	s_or_b32 exec_lo, exec_lo, s15
	v_lshlrev_b32_e32 v3, 16, v0
	s_delay_alu instid0(VALU_DEP_2) | instskip(SKIP_1) | instid1(VALU_DEP_3)
	v_lshlrev_b32_e32 v2, 20, v2
	v_lshl_add_u32 v9, v157, 23, 0x3c000000
	v_and_b32_e32 v3, 0x80000000, v3
	s_delay_alu instid0(VALU_DEP_1)
	v_or3_b32 v2, v2, v3, v9
.LBB464_3567:                           ;   in Loop: Header=BB464_1567 Depth=1
	s_or_b32 exec_lo, exec_lo, s13
.LBB464_3568:                           ;   in Loop: Header=BB464_1567 Depth=1
	s_delay_alu instid0(SALU_CYCLE_1)
	s_or_b32 exec_lo, exec_lo, s12
.LBB464_3569:                           ;   in Loop: Header=BB464_1567 Depth=1
	s_delay_alu instid0(SALU_CYCLE_1) | instskip(NEXT) | instid1(VALU_DEP_1)
	s_or_b32 exec_lo, exec_lo, s9
	v_mul_f32_e32 v2, v26, v2
                                        ; implicit-def: $vgpr157
	s_delay_alu instid0(VALU_DEP_1) | instskip(NEXT) | instid1(VALU_DEP_1)
	v_and_b32_e32 v3, 0x7f800000, v2
	v_cmp_ne_u32_e64 s0, 0x7f800000, v3
	s_delay_alu instid0(VALU_DEP_1) | instskip(NEXT) | instid1(SALU_CYCLE_1)
	s_and_saveexec_b32 s9, s0
	s_xor_b32 s0, exec_lo, s9
; %bb.3570:                             ;   in Loop: Header=BB464_1567 Depth=1
	v_bfe_u32 v3, v2, 16, 1
	s_delay_alu instid0(VALU_DEP_1)
	v_add3_u32 v157, v2, v3, 0x7fff
                                        ; implicit-def: $vgpr2
; %bb.3571:                             ;   in Loop: Header=BB464_1567 Depth=1
	s_and_not1_saveexec_b32 s9, s0
; %bb.3572:                             ;   in Loop: Header=BB464_1567 Depth=1
	v_and_b32_e32 v3, 0xffff, v2
	v_or_b32_e32 v9, 0x10000, v2
	s_delay_alu instid0(VALU_DEP_2) | instskip(NEXT) | instid1(VALU_DEP_1)
	v_cmp_eq_u32_e64 s0, 0, v3
	v_cndmask_b32_e64 v157, v9, v2, s0
; %bb.3573:                             ;   in Loop: Header=BB464_1567 Depth=1
	s_or_b32 exec_lo, exec_lo, s9
	v_lshrrev_b32_e32 v158, 16, v0
	s_mov_b32 s9, exec_lo
	s_delay_alu instid0(VALU_DEP_1) | instskip(NEXT) | instid1(VALU_DEP_1)
	v_dual_mov_b32 v2, 0 :: v_dual_and_b32 v3, 0xff, v158
	v_cmpx_ne_u16_e32 0, v3
	s_cbranch_execz .LBB464_3581
; %bb.3574:                             ;   in Loop: Header=BB464_1567 Depth=1
	v_bfrev_b32_e32 v2, 1
	s_mov_b32 s12, exec_lo
	v_cmpx_ne_u16_e32 0x80, v3
	s_cbranch_execz .LBB464_3580
; %bb.3575:                             ;   in Loop: Header=BB464_1567 Depth=1
	v_bfe_u32 v168, v0, 16, 7
	v_mov_b32_e32 v2, 0x7f800001
	s_mov_b32 s13, exec_lo
	s_delay_alu instid0(VALU_DEP_2)
	v_cmpx_ne_u32_e32 0x7f, v168
	s_cbranch_execz .LBB464_3579
; %bb.3576:                             ;   in Loop: Header=BB464_1567 Depth=1
	v_and_b32_e32 v9, 7, v158
	v_lshrrev_b32_e32 v159, 3, v168
	s_mov_b32 s15, exec_lo
	s_delay_alu instid0(VALU_DEP_2)
	v_dual_mov_b32 v2, v9 :: v_dual_mov_b32 v3, v10
	v_cmpx_gt_u32_e32 8, v168
; %bb.3577:                             ;   in Loop: Header=BB464_1567 Depth=1
	v_clz_i32_u32_e32 v2, v9
	s_delay_alu instid0(VALU_DEP_1) | instskip(NEXT) | instid1(VALU_DEP_1)
	v_min_u32_e32 v159, 32, v2
	v_subrev_nc_u32_e32 v2, 28, v159
	v_sub_nc_u32_e32 v159, 29, v159
	s_delay_alu instid0(VALU_DEP_2) | instskip(NEXT) | instid1(VALU_DEP_1)
	v_lshlrev_b64 v[2:3], v2, v[9:10]
	v_and_b32_e32 v2, 7, v2
; %bb.3578:                             ;   in Loop: Header=BB464_1567 Depth=1
	s_or_b32 exec_lo, exec_lo, s15
	v_lshlrev_b32_e32 v3, 24, v158
	s_delay_alu instid0(VALU_DEP_2) | instskip(SKIP_1) | instid1(VALU_DEP_3)
	v_lshlrev_b32_e32 v2, 20, v2
	v_lshl_add_u32 v9, v159, 23, 0x3c000000
	v_and_b32_e32 v3, 0x80000000, v3
	s_delay_alu instid0(VALU_DEP_1)
	v_or3_b32 v2, v2, v3, v9
.LBB464_3579:                           ;   in Loop: Header=BB464_1567 Depth=1
	s_or_b32 exec_lo, exec_lo, s13
.LBB464_3580:                           ;   in Loop: Header=BB464_1567 Depth=1
	s_delay_alu instid0(SALU_CYCLE_1)
	s_or_b32 exec_lo, exec_lo, s12
.LBB464_3581:                           ;   in Loop: Header=BB464_1567 Depth=1
	s_delay_alu instid0(SALU_CYCLE_1) | instskip(NEXT) | instid1(VALU_DEP_1)
	s_or_b32 exec_lo, exec_lo, s9
	v_mul_f32_e32 v2, v26, v2
                                        ; implicit-def: $vgpr158
	s_delay_alu instid0(VALU_DEP_1) | instskip(NEXT) | instid1(VALU_DEP_1)
	v_and_b32_e32 v3, 0x7f800000, v2
	v_cmp_ne_u32_e64 s0, 0x7f800000, v3
	s_delay_alu instid0(VALU_DEP_1) | instskip(NEXT) | instid1(SALU_CYCLE_1)
	s_and_saveexec_b32 s9, s0
	s_xor_b32 s0, exec_lo, s9
; %bb.3582:                             ;   in Loop: Header=BB464_1567 Depth=1
	v_bfe_u32 v3, v2, 16, 1
	s_delay_alu instid0(VALU_DEP_1)
	v_add3_u32 v158, v2, v3, 0x7fff
                                        ; implicit-def: $vgpr2
; %bb.3583:                             ;   in Loop: Header=BB464_1567 Depth=1
	s_and_not1_saveexec_b32 s9, s0
; %bb.3584:                             ;   in Loop: Header=BB464_1567 Depth=1
	v_and_b32_e32 v3, 0xffff, v2
	v_or_b32_e32 v9, 0x10000, v2
	s_delay_alu instid0(VALU_DEP_2) | instskip(NEXT) | instid1(VALU_DEP_1)
	v_cmp_eq_u32_e64 s0, 0, v3
	v_cndmask_b32_e64 v158, v9, v2, s0
; %bb.3585:                             ;   in Loop: Header=BB464_1567 Depth=1
	s_or_b32 exec_lo, exec_lo, s9
	v_mov_b32_e32 v2, 0
	s_mov_b32 s9, exec_lo
	v_cmpx_lt_u32_e32 0xffffff, v0
	s_cbranch_execz .LBB464_3593
; %bb.3586:                             ;   in Loop: Header=BB464_1567 Depth=1
	v_lshrrev_b32_e32 v159, 24, v0
	v_bfrev_b32_e32 v2, 1
	s_mov_b32 s12, exec_lo
	s_delay_alu instid0(VALU_DEP_2)
	v_cmpx_ne_u32_e32 0x80, v159
	s_cbranch_execz .LBB464_3592
; %bb.3587:                             ;   in Loop: Header=BB464_1567 Depth=1
	v_bfe_u32 v169, v0, 24, 7
	v_mov_b32_e32 v2, 0x7f800001
	s_mov_b32 s13, exec_lo
	s_delay_alu instid0(VALU_DEP_2)
	v_cmpx_ne_u32_e32 0x7f, v169
	s_cbranch_execz .LBB464_3591
; %bb.3588:                             ;   in Loop: Header=BB464_1567 Depth=1
	v_and_b32_e32 v9, 7, v159
	v_lshrrev_b32_e32 v168, 3, v169
	s_mov_b32 s15, exec_lo
	s_delay_alu instid0(VALU_DEP_2)
	v_dual_mov_b32 v2, v9 :: v_dual_mov_b32 v3, v10
	v_cmpx_gt_u32_e32 8, v169
; %bb.3589:                             ;   in Loop: Header=BB464_1567 Depth=1
	v_clz_i32_u32_e32 v2, v9
	s_delay_alu instid0(VALU_DEP_1) | instskip(NEXT) | instid1(VALU_DEP_1)
	v_min_u32_e32 v168, 32, v2
	v_subrev_nc_u32_e32 v2, 28, v168
	v_sub_nc_u32_e32 v168, 29, v168
	s_delay_alu instid0(VALU_DEP_2) | instskip(NEXT) | instid1(VALU_DEP_1)
	v_lshlrev_b64 v[2:3], v2, v[9:10]
	v_and_b32_e32 v2, 7, v2
; %bb.3590:                             ;   in Loop: Header=BB464_1567 Depth=1
	s_or_b32 exec_lo, exec_lo, s15
	v_lshlrev_b32_e32 v3, 24, v159
	s_delay_alu instid0(VALU_DEP_2) | instskip(SKIP_1) | instid1(VALU_DEP_3)
	v_lshlrev_b32_e32 v2, 20, v2
	v_lshl_add_u32 v9, v168, 23, 0x3c000000
	v_and_b32_e32 v3, 0x80000000, v3
	s_delay_alu instid0(VALU_DEP_1)
	v_or3_b32 v2, v2, v3, v9
.LBB464_3591:                           ;   in Loop: Header=BB464_1567 Depth=1
	s_or_b32 exec_lo, exec_lo, s13
.LBB464_3592:                           ;   in Loop: Header=BB464_1567 Depth=1
	s_delay_alu instid0(SALU_CYCLE_1)
	s_or_b32 exec_lo, exec_lo, s12
.LBB464_3593:                           ;   in Loop: Header=BB464_1567 Depth=1
	s_delay_alu instid0(SALU_CYCLE_1) | instskip(NEXT) | instid1(VALU_DEP_1)
	s_or_b32 exec_lo, exec_lo, s9
	v_mul_f32_e32 v2, v26, v2
                                        ; implicit-def: $vgpr159
	s_delay_alu instid0(VALU_DEP_1) | instskip(NEXT) | instid1(VALU_DEP_1)
	v_and_b32_e32 v3, 0x7f800000, v2
	v_cmp_ne_u32_e64 s0, 0x7f800000, v3
	s_delay_alu instid0(VALU_DEP_1) | instskip(NEXT) | instid1(SALU_CYCLE_1)
	s_and_saveexec_b32 s9, s0
	s_xor_b32 s0, exec_lo, s9
; %bb.3594:                             ;   in Loop: Header=BB464_1567 Depth=1
	v_bfe_u32 v3, v2, 16, 1
	s_delay_alu instid0(VALU_DEP_1)
	v_add3_u32 v159, v2, v3, 0x7fff
                                        ; implicit-def: $vgpr2
; %bb.3595:                             ;   in Loop: Header=BB464_1567 Depth=1
	s_and_not1_saveexec_b32 s9, s0
; %bb.3596:                             ;   in Loop: Header=BB464_1567 Depth=1
	v_and_b32_e32 v3, 0xffff, v2
	v_or_b32_e32 v9, 0x10000, v2
	s_delay_alu instid0(VALU_DEP_2) | instskip(NEXT) | instid1(VALU_DEP_1)
	v_cmp_eq_u32_e64 s0, 0, v3
	v_cndmask_b32_e64 v159, v9, v2, s0
; %bb.3597:                             ;   in Loop: Header=BB464_1567 Depth=1
	s_or_b32 exec_lo, exec_lo, s9
	v_dual_mov_b32 v2, 0 :: v_dual_and_b32 v3, 0xff, v1
	v_mov_b32_e32 v9, v1
	s_mov_b32 s9, exec_lo
	s_delay_alu instid0(VALU_DEP_2)
	v_cmpx_ne_u16_e32 0, v3
	s_cbranch_execz .LBB464_3605
; %bb.3598:                             ;   in Loop: Header=BB464_1567 Depth=1
	v_bfrev_b32_e32 v2, 1
	s_mov_b32 s12, exec_lo
	v_cmpx_ne_u16_e32 0x80, v3
	s_cbranch_execz .LBB464_3604
; %bb.3599:                             ;   in Loop: Header=BB464_1567 Depth=1
	v_and_b32_e32 v168, 0x7f, v1
	v_mov_b32_e32 v2, 0x7f800001
	s_mov_b32 s13, exec_lo
	s_delay_alu instid0(VALU_DEP_2)
	v_cmpx_ne_u32_e32 0x7f, v168
	s_cbranch_execz .LBB464_3603
; %bb.3600:                             ;   in Loop: Header=BB464_1567 Depth=1
	v_dual_mov_b32 v2, v9 :: v_dual_mov_b32 v3, v10
	v_lshrrev_b32_e32 v3, 3, v168
	s_mov_b32 s15, exec_lo
	v_cmpx_gt_u32_e32 8, v168
; %bb.3601:                             ;   in Loop: Header=BB464_1567 Depth=1
	v_and_b32_e32 v2, 7, v1
	s_delay_alu instid0(VALU_DEP_1) | instskip(NEXT) | instid1(VALU_DEP_1)
	v_clz_i32_u32_e32 v2, v2
	v_min_u32_e32 v168, 32, v2
	s_delay_alu instid0(VALU_DEP_1) | instskip(NEXT) | instid1(VALU_DEP_1)
	v_subrev_nc_u32_e32 v2, 28, v168
	v_lshlrev_b64 v[2:3], v2, v[9:10]
	v_sub_nc_u32_e32 v3, 29, v168
; %bb.3602:                             ;   in Loop: Header=BB464_1567 Depth=1
	s_or_b32 exec_lo, exec_lo, s15
	s_delay_alu instid0(VALU_DEP_2) | instskip(SKIP_1) | instid1(VALU_DEP_3)
	v_lshlrev_b32_e32 v2, 20, v2
	v_lshlrev_b32_e32 v168, 24, v9
	v_lshl_add_u32 v3, v3, 23, 0x3c000000
	s_delay_alu instid0(VALU_DEP_3) | instskip(NEXT) | instid1(VALU_DEP_3)
	v_and_b32_e32 v2, 0x700000, v2
	v_and_b32_e32 v168, 0x80000000, v168
	s_delay_alu instid0(VALU_DEP_1)
	v_or3_b32 v2, v2, v168, v3
.LBB464_3603:                           ;   in Loop: Header=BB464_1567 Depth=1
	s_or_b32 exec_lo, exec_lo, s13
.LBB464_3604:                           ;   in Loop: Header=BB464_1567 Depth=1
	s_delay_alu instid0(SALU_CYCLE_1)
	s_or_b32 exec_lo, exec_lo, s12
.LBB464_3605:                           ;   in Loop: Header=BB464_1567 Depth=1
	s_delay_alu instid0(SALU_CYCLE_1) | instskip(NEXT) | instid1(VALU_DEP_1)
	s_or_b32 exec_lo, exec_lo, s9
	v_mul_f32_e32 v2, v26, v2
                                        ; implicit-def: $vgpr168
	s_delay_alu instid0(VALU_DEP_1) | instskip(NEXT) | instid1(VALU_DEP_1)
	v_and_b32_e32 v3, 0x7f800000, v2
	v_cmp_ne_u32_e64 s0, 0x7f800000, v3
	s_delay_alu instid0(VALU_DEP_1) | instskip(NEXT) | instid1(SALU_CYCLE_1)
	s_and_saveexec_b32 s9, s0
	s_xor_b32 s0, exec_lo, s9
; %bb.3606:                             ;   in Loop: Header=BB464_1567 Depth=1
	v_bfe_u32 v3, v2, 16, 1
	s_delay_alu instid0(VALU_DEP_1)
	v_add3_u32 v168, v2, v3, 0x7fff
                                        ; implicit-def: $vgpr2
; %bb.3607:                             ;   in Loop: Header=BB464_1567 Depth=1
	s_and_not1_saveexec_b32 s9, s0
; %bb.3608:                             ;   in Loop: Header=BB464_1567 Depth=1
	v_and_b32_e32 v3, 0xffff, v2
	v_or_b32_e32 v168, 0x10000, v2
	s_delay_alu instid0(VALU_DEP_2) | instskip(NEXT) | instid1(VALU_DEP_1)
	v_cmp_eq_u32_e64 s0, 0, v3
	v_cndmask_b32_e64 v168, v168, v2, s0
; %bb.3609:                             ;   in Loop: Header=BB464_1567 Depth=1
	s_or_b32 exec_lo, exec_lo, s9
	v_lshrrev_b16 v3, 8, v9
	v_mov_b32_e32 v2, 0
	s_mov_b32 s9, exec_lo
	s_delay_alu instid0(VALU_DEP_2)
	v_cmpx_ne_u16_e32 0, v3
	s_cbranch_execz .LBB464_3617
; %bb.3610:                             ;   in Loop: Header=BB464_1567 Depth=1
	v_bfrev_b32_e32 v2, 1
	s_mov_b32 s12, exec_lo
	v_cmpx_ne_u16_e32 0x80, v3
	s_cbranch_execz .LBB464_3616
; %bb.3611:                             ;   in Loop: Header=BB464_1567 Depth=1
	v_and_b32_e32 v3, 0xffff, v3
	v_mov_b32_e32 v2, 0x7f800001
	s_mov_b32 s13, exec_lo
	s_delay_alu instid0(VALU_DEP_2) | instskip(NEXT) | instid1(VALU_DEP_1)
	v_and_b32_e32 v170, 0x7f, v3
	v_cmpx_ne_u32_e32 0x7f, v170
	s_cbranch_execz .LBB464_3615
; %bb.3612:                             ;   in Loop: Header=BB464_1567 Depth=1
	v_dual_mov_b32 v3, v10 :: v_dual_and_b32 v2, 7, v3
	v_lshrrev_b32_e32 v169, 3, v170
	s_mov_b32 s15, exec_lo
	v_cmpx_gt_u32_e32 8, v170
; %bb.3613:                             ;   in Loop: Header=BB464_1567 Depth=1
	s_delay_alu instid0(VALU_DEP_3) | instskip(NEXT) | instid1(VALU_DEP_1)
	v_clz_i32_u32_e32 v169, v2
	v_min_u32_e32 v169, 32, v169
	s_delay_alu instid0(VALU_DEP_1) | instskip(SKIP_1) | instid1(VALU_DEP_2)
	v_subrev_nc_u32_e32 v170, 28, v169
	v_sub_nc_u32_e32 v169, 29, v169
	v_lshlrev_b64 v[2:3], v170, v[2:3]
	s_delay_alu instid0(VALU_DEP_1)
	v_and_b32_e32 v2, 7, v2
; %bb.3614:                             ;   in Loop: Header=BB464_1567 Depth=1
	s_or_b32 exec_lo, exec_lo, s15
	v_lshlrev_b32_e32 v3, 16, v9
	s_delay_alu instid0(VALU_DEP_2) | instskip(SKIP_1) | instid1(VALU_DEP_3)
	v_lshlrev_b32_e32 v2, 20, v2
	v_lshl_add_u32 v9, v169, 23, 0x3c000000
	v_and_b32_e32 v3, 0x80000000, v3
	s_delay_alu instid0(VALU_DEP_1)
	v_or3_b32 v2, v2, v3, v9
.LBB464_3615:                           ;   in Loop: Header=BB464_1567 Depth=1
	s_or_b32 exec_lo, exec_lo, s13
.LBB464_3616:                           ;   in Loop: Header=BB464_1567 Depth=1
	s_delay_alu instid0(SALU_CYCLE_1)
	s_or_b32 exec_lo, exec_lo, s12
.LBB464_3617:                           ;   in Loop: Header=BB464_1567 Depth=1
	s_delay_alu instid0(SALU_CYCLE_1) | instskip(NEXT) | instid1(VALU_DEP_1)
	s_or_b32 exec_lo, exec_lo, s9
	v_mul_f32_e32 v2, v26, v2
                                        ; implicit-def: $vgpr169
	s_delay_alu instid0(VALU_DEP_1) | instskip(NEXT) | instid1(VALU_DEP_1)
	v_and_b32_e32 v3, 0x7f800000, v2
	v_cmp_ne_u32_e64 s0, 0x7f800000, v3
	s_delay_alu instid0(VALU_DEP_1) | instskip(NEXT) | instid1(SALU_CYCLE_1)
	s_and_saveexec_b32 s9, s0
	s_xor_b32 s0, exec_lo, s9
; %bb.3618:                             ;   in Loop: Header=BB464_1567 Depth=1
	v_bfe_u32 v3, v2, 16, 1
	s_delay_alu instid0(VALU_DEP_1)
	v_add3_u32 v169, v2, v3, 0x7fff
                                        ; implicit-def: $vgpr2
; %bb.3619:                             ;   in Loop: Header=BB464_1567 Depth=1
	s_and_not1_saveexec_b32 s9, s0
; %bb.3620:                             ;   in Loop: Header=BB464_1567 Depth=1
	v_and_b32_e32 v3, 0xffff, v2
	v_or_b32_e32 v9, 0x10000, v2
	s_delay_alu instid0(VALU_DEP_2) | instskip(NEXT) | instid1(VALU_DEP_1)
	v_cmp_eq_u32_e64 s0, 0, v3
	v_cndmask_b32_e64 v169, v9, v2, s0
; %bb.3621:                             ;   in Loop: Header=BB464_1567 Depth=1
	s_or_b32 exec_lo, exec_lo, s9
	v_lshrrev_b32_e32 v170, 16, v1
	s_mov_b32 s9, exec_lo
	s_delay_alu instid0(VALU_DEP_1) | instskip(NEXT) | instid1(VALU_DEP_1)
	v_dual_mov_b32 v2, 0 :: v_dual_and_b32 v3, 0xff, v170
	v_cmpx_ne_u16_e32 0, v3
	s_cbranch_execz .LBB464_3629
; %bb.3622:                             ;   in Loop: Header=BB464_1567 Depth=1
	v_bfrev_b32_e32 v2, 1
	s_mov_b32 s12, exec_lo
	v_cmpx_ne_u16_e32 0x80, v3
	s_cbranch_execz .LBB464_3628
; %bb.3623:                             ;   in Loop: Header=BB464_1567 Depth=1
	v_bfe_u32 v172, v1, 16, 7
	v_mov_b32_e32 v2, 0x7f800001
	s_mov_b32 s13, exec_lo
	s_delay_alu instid0(VALU_DEP_2)
	v_cmpx_ne_u32_e32 0x7f, v172
	s_cbranch_execz .LBB464_3627
; %bb.3624:                             ;   in Loop: Header=BB464_1567 Depth=1
	v_and_b32_e32 v9, 7, v170
	v_lshrrev_b32_e32 v171, 3, v172
	s_mov_b32 s15, exec_lo
	s_delay_alu instid0(VALU_DEP_2)
	v_dual_mov_b32 v2, v9 :: v_dual_mov_b32 v3, v10
	v_cmpx_gt_u32_e32 8, v172
; %bb.3625:                             ;   in Loop: Header=BB464_1567 Depth=1
	v_clz_i32_u32_e32 v2, v9
	s_delay_alu instid0(VALU_DEP_1) | instskip(NEXT) | instid1(VALU_DEP_1)
	v_min_u32_e32 v171, 32, v2
	v_subrev_nc_u32_e32 v2, 28, v171
	v_sub_nc_u32_e32 v171, 29, v171
	s_delay_alu instid0(VALU_DEP_2) | instskip(NEXT) | instid1(VALU_DEP_1)
	v_lshlrev_b64 v[2:3], v2, v[9:10]
	v_and_b32_e32 v2, 7, v2
; %bb.3626:                             ;   in Loop: Header=BB464_1567 Depth=1
	s_or_b32 exec_lo, exec_lo, s15
	v_lshlrev_b32_e32 v3, 24, v170
	s_delay_alu instid0(VALU_DEP_2) | instskip(SKIP_1) | instid1(VALU_DEP_3)
	v_lshlrev_b32_e32 v2, 20, v2
	v_lshl_add_u32 v9, v171, 23, 0x3c000000
	v_and_b32_e32 v3, 0x80000000, v3
	s_delay_alu instid0(VALU_DEP_1)
	v_or3_b32 v2, v2, v3, v9
.LBB464_3627:                           ;   in Loop: Header=BB464_1567 Depth=1
	s_or_b32 exec_lo, exec_lo, s13
.LBB464_3628:                           ;   in Loop: Header=BB464_1567 Depth=1
	s_delay_alu instid0(SALU_CYCLE_1)
	s_or_b32 exec_lo, exec_lo, s12
.LBB464_3629:                           ;   in Loop: Header=BB464_1567 Depth=1
	s_delay_alu instid0(SALU_CYCLE_1) | instskip(NEXT) | instid1(VALU_DEP_1)
	s_or_b32 exec_lo, exec_lo, s9
	v_mul_f32_e32 v3, v26, v2
	s_delay_alu instid0(VALU_DEP_1) | instskip(NEXT) | instid1(VALU_DEP_1)
	v_and_b32_e32 v2, 0x7f800000, v3
	v_cmp_ne_u32_e64 s0, 0x7f800000, v2
                                        ; implicit-def: $vgpr2
	s_delay_alu instid0(VALU_DEP_1) | instskip(NEXT) | instid1(SALU_CYCLE_1)
	s_and_saveexec_b32 s9, s0
	s_xor_b32 s0, exec_lo, s9
; %bb.3630:                             ;   in Loop: Header=BB464_1567 Depth=1
	v_bfe_u32 v2, v3, 16, 1
	s_delay_alu instid0(VALU_DEP_1)
	v_add3_u32 v2, v3, v2, 0x7fff
                                        ; implicit-def: $vgpr3
; %bb.3631:                             ;   in Loop: Header=BB464_1567 Depth=1
	s_and_not1_saveexec_b32 s9, s0
; %bb.3632:                             ;   in Loop: Header=BB464_1567 Depth=1
	v_and_b32_e32 v2, 0xffff, v3
	v_or_b32_e32 v9, 0x10000, v3
	s_delay_alu instid0(VALU_DEP_2) | instskip(NEXT) | instid1(VALU_DEP_1)
	v_cmp_eq_u32_e64 s0, 0, v2
	v_cndmask_b32_e64 v2, v9, v3, s0
; %bb.3633:                             ;   in Loop: Header=BB464_1567 Depth=1
	s_or_b32 exec_lo, exec_lo, s9
	v_cmp_lt_u64_e64 s0, s[2:3], v[0:1]
	v_mov_b32_e32 v0, 0
	s_delay_alu instid0(VALU_DEP_2)
	s_and_saveexec_b32 s9, s0
	s_cbranch_execz .LBB464_3641
; %bb.3634:                             ;   in Loop: Header=BB464_1567 Depth=1
	v_lshrrev_b32_e32 v3, 24, v1
	v_bfrev_b32_e32 v0, 1
	s_mov_b32 s12, exec_lo
	s_delay_alu instid0(VALU_DEP_2)
	v_cmpx_ne_u32_e32 0x80, v3
	s_cbranch_execz .LBB464_3640
; %bb.3635:                             ;   in Loop: Header=BB464_1567 Depth=1
	v_bfe_u32 v171, v1, 24, 7
	v_mov_b32_e32 v0, 0x7f800001
	s_mov_b32 s13, exec_lo
	s_delay_alu instid0(VALU_DEP_2)
	v_cmpx_ne_u32_e32 0x7f, v171
	s_cbranch_execz .LBB464_3639
; %bb.3636:                             ;   in Loop: Header=BB464_1567 Depth=1
	v_and_b32_e32 v9, 7, v3
	v_lshrrev_b32_e32 v170, 3, v171
	s_mov_b32 s15, exec_lo
	s_delay_alu instid0(VALU_DEP_2)
	v_dual_mov_b32 v0, v9 :: v_dual_mov_b32 v1, v10
	v_cmpx_gt_u32_e32 8, v171
; %bb.3637:                             ;   in Loop: Header=BB464_1567 Depth=1
	v_clz_i32_u32_e32 v0, v9
	s_delay_alu instid0(VALU_DEP_1) | instskip(NEXT) | instid1(VALU_DEP_1)
	v_min_u32_e32 v170, 32, v0
	v_subrev_nc_u32_e32 v0, 28, v170
	v_sub_nc_u32_e32 v170, 29, v170
	s_delay_alu instid0(VALU_DEP_2) | instskip(NEXT) | instid1(VALU_DEP_1)
	v_lshlrev_b64 v[0:1], v0, v[9:10]
	v_and_b32_e32 v0, 7, v0
; %bb.3638:                             ;   in Loop: Header=BB464_1567 Depth=1
	s_or_b32 exec_lo, exec_lo, s15
	v_lshlrev_b32_e32 v1, 24, v3
	s_delay_alu instid0(VALU_DEP_2) | instskip(SKIP_1) | instid1(VALU_DEP_3)
	v_lshlrev_b32_e32 v0, 20, v0
	v_lshl_add_u32 v3, v170, 23, 0x3c000000
	v_and_b32_e32 v1, 0x80000000, v1
	s_delay_alu instid0(VALU_DEP_1)
	v_or3_b32 v0, v0, v1, v3
.LBB464_3639:                           ;   in Loop: Header=BB464_1567 Depth=1
	s_or_b32 exec_lo, exec_lo, s13
.LBB464_3640:                           ;   in Loop: Header=BB464_1567 Depth=1
	s_delay_alu instid0(SALU_CYCLE_1)
	s_or_b32 exec_lo, exec_lo, s12
.LBB464_3641:                           ;   in Loop: Header=BB464_1567 Depth=1
	s_delay_alu instid0(SALU_CYCLE_1) | instskip(NEXT) | instid1(VALU_DEP_1)
	s_or_b32 exec_lo, exec_lo, s9
	v_mul_f32_e32 v0, v26, v0
                                        ; implicit-def: $vgpr170
	s_delay_alu instid0(VALU_DEP_1) | instskip(NEXT) | instid1(VALU_DEP_1)
	v_and_b32_e32 v1, 0x7f800000, v0
	v_cmp_ne_u32_e64 s0, 0x7f800000, v1
	s_delay_alu instid0(VALU_DEP_1) | instskip(NEXT) | instid1(SALU_CYCLE_1)
	s_and_saveexec_b32 s9, s0
	s_xor_b32 s0, exec_lo, s9
; %bb.3642:                             ;   in Loop: Header=BB464_1567 Depth=1
	v_bfe_u32 v1, v0, 16, 1
	s_delay_alu instid0(VALU_DEP_1)
	v_add3_u32 v170, v0, v1, 0x7fff
                                        ; implicit-def: $vgpr0
; %bb.3643:                             ;   in Loop: Header=BB464_1567 Depth=1
	s_and_not1_saveexec_b32 s9, s0
; %bb.3644:                             ;   in Loop: Header=BB464_1567 Depth=1
	v_and_b32_e32 v1, 0xffff, v0
	v_or_b32_e32 v3, 0x10000, v0
	s_delay_alu instid0(VALU_DEP_2) | instskip(NEXT) | instid1(VALU_DEP_1)
	v_cmp_eq_u32_e64 s0, 0, v1
	v_cndmask_b32_e64 v170, v3, v0, s0
; %bb.3645:                             ;   in Loop: Header=BB464_1567 Depth=1
	s_or_b32 exec_lo, exec_lo, s9
	v_lshrrev_b32_e32 v169, 16, v169
	v_lshrrev_b32_e32 v9, 16, v168
	;; [unrolled: 1-line block ×8, first 2 shown]
	s_and_saveexec_b32 s0, vcc_lo
	s_cbranch_execz .LBB464_3647
; %bb.3646:                             ;   in Loop: Header=BB464_1567 Depth=1
	v_cmp_lt_i32_e32 vcc_lo, v68, v36
	v_cndmask_b32_e32 v0, 0, v0, vcc_lo
	v_cmp_lt_i32_e32 vcc_lo, v82, v36
	v_cndmask_b32_e32 v1, 0, v1, vcc_lo
	;; [unrolled: 2-line block ×8, first 2 shown]
.LBB464_3647:                           ;   in Loop: Header=BB464_1567 Depth=1
	s_or_b32 exec_lo, exec_lo, s0
	v_lshlrev_b32_e32 v0, 16, v0
	s_delay_alu instid0(VALU_DEP_1) | instskip(NEXT) | instid1(VALU_DEP_1)
	v_mul_f32_e32 v2, v83, v0
	v_and_b32_e32 v0, 0x7f800000, v2
	s_delay_alu instid0(VALU_DEP_1) | instskip(SKIP_1) | instid1(SALU_CYCLE_1)
	v_cmp_ne_u32_e32 vcc_lo, 0x7f800000, v0
                                        ; implicit-def: $vgpr0
	s_and_saveexec_b32 s0, vcc_lo
	s_xor_b32 s0, exec_lo, s0
; %bb.3648:                             ;   in Loop: Header=BB464_1567 Depth=1
	v_bfe_u32 v0, v2, 16, 1
	s_delay_alu instid0(VALU_DEP_1)
	v_add3_u32 v0, v2, v0, 0x7fff
                                        ; implicit-def: $vgpr2
; %bb.3649:                             ;   in Loop: Header=BB464_1567 Depth=1
	s_and_not1_saveexec_b32 s0, s0
; %bb.3650:                             ;   in Loop: Header=BB464_1567 Depth=1
	v_and_b32_e32 v0, 0xffff, v2
	v_or_b32_e32 v68, 0x10000, v2
	s_delay_alu instid0(VALU_DEP_2) | instskip(NEXT) | instid1(VALU_DEP_2)
	v_cmp_eq_u32_e32 vcc_lo, 0, v0
	v_cndmask_b32_e32 v0, v68, v2, vcc_lo
; %bb.3651:                             ;   in Loop: Header=BB464_1567 Depth=1
	s_or_b32 exec_lo, exec_lo, s0
	v_lshlrev_b32_e32 v1, 16, v1
	s_delay_alu instid0(VALU_DEP_1) | instskip(NEXT) | instid1(VALU_DEP_1)
	v_mul_f32_e32 v2, v84, v1
	v_and_b32_e32 v1, 0x7f800000, v2
	s_delay_alu instid0(VALU_DEP_1) | instskip(SKIP_1) | instid1(SALU_CYCLE_1)
	v_cmp_ne_u32_e32 vcc_lo, 0x7f800000, v1
                                        ; implicit-def: $vgpr1
	s_and_saveexec_b32 s0, vcc_lo
	s_xor_b32 s0, exec_lo, s0
; %bb.3652:                             ;   in Loop: Header=BB464_1567 Depth=1
	v_bfe_u32 v1, v2, 16, 1
	s_delay_alu instid0(VALU_DEP_1)
	v_add3_u32 v1, v2, v1, 0x7fff
                                        ; implicit-def: $vgpr2
; %bb.3653:                             ;   in Loop: Header=BB464_1567 Depth=1
	s_and_not1_saveexec_b32 s0, s0
; %bb.3654:                             ;   in Loop: Header=BB464_1567 Depth=1
	v_and_b32_e32 v1, 0xffff, v2
	v_or_b32_e32 v68, 0x10000, v2
	s_delay_alu instid0(VALU_DEP_2) | instskip(NEXT) | instid1(VALU_DEP_2)
	v_cmp_eq_u32_e32 vcc_lo, 0, v1
	v_cndmask_b32_e32 v1, v68, v2, vcc_lo
; %bb.3655:                             ;   in Loop: Header=BB464_1567 Depth=1
	s_or_b32 exec_lo, exec_lo, s0
	v_lshlrev_b32_e32 v2, 16, v158
	s_delay_alu instid0(VALU_DEP_1) | instskip(NEXT) | instid1(VALU_DEP_1)
	v_mul_f32_e32 v68, v85, v2
	v_and_b32_e32 v2, 0x7f800000, v68
	s_delay_alu instid0(VALU_DEP_1) | instskip(SKIP_1) | instid1(SALU_CYCLE_1)
	v_cmp_ne_u32_e32 vcc_lo, 0x7f800000, v2
                                        ; implicit-def: $vgpr2
	s_and_saveexec_b32 s0, vcc_lo
	s_xor_b32 s0, exec_lo, s0
; %bb.3656:                             ;   in Loop: Header=BB464_1567 Depth=1
	v_bfe_u32 v2, v68, 16, 1
	s_delay_alu instid0(VALU_DEP_1)
	v_add3_u32 v2, v68, v2, 0x7fff
                                        ; implicit-def: $vgpr68
; %bb.3657:                             ;   in Loop: Header=BB464_1567 Depth=1
	s_and_not1_saveexec_b32 s0, s0
; %bb.3658:                             ;   in Loop: Header=BB464_1567 Depth=1
	v_and_b32_e32 v2, 0xffff, v68
	v_or_b32_e32 v69, 0x10000, v68
	s_delay_alu instid0(VALU_DEP_2) | instskip(NEXT) | instid1(VALU_DEP_2)
	v_cmp_eq_u32_e32 vcc_lo, 0, v2
	v_cndmask_b32_e32 v2, v69, v68, vcc_lo
; %bb.3659:                             ;   in Loop: Header=BB464_1567 Depth=1
	s_or_b32 exec_lo, exec_lo, s0
	v_lshlrev_b32_e32 v3, 16, v3
	s_delay_alu instid0(VALU_DEP_1) | instskip(NEXT) | instid1(VALU_DEP_1)
	v_mul_f32_e32 v68, v86, v3
	v_and_b32_e32 v3, 0x7f800000, v68
	s_delay_alu instid0(VALU_DEP_1) | instskip(SKIP_1) | instid1(SALU_CYCLE_1)
	v_cmp_ne_u32_e32 vcc_lo, 0x7f800000, v3
                                        ; implicit-def: $vgpr3
	s_and_saveexec_b32 s0, vcc_lo
	s_xor_b32 s0, exec_lo, s0
; %bb.3660:                             ;   in Loop: Header=BB464_1567 Depth=1
	v_bfe_u32 v3, v68, 16, 1
	s_delay_alu instid0(VALU_DEP_1)
	v_add3_u32 v3, v68, v3, 0x7fff
                                        ; implicit-def: $vgpr68
; %bb.3661:                             ;   in Loop: Header=BB464_1567 Depth=1
	s_and_not1_saveexec_b32 s0, s0
; %bb.3662:                             ;   in Loop: Header=BB464_1567 Depth=1
	v_and_b32_e32 v3, 0xffff, v68
	v_or_b32_e32 v69, 0x10000, v68
	s_delay_alu instid0(VALU_DEP_2) | instskip(NEXT) | instid1(VALU_DEP_2)
	v_cmp_eq_u32_e32 vcc_lo, 0, v3
	v_cndmask_b32_e32 v3, v69, v68, vcc_lo
; %bb.3663:                             ;   in Loop: Header=BB464_1567 Depth=1
	s_or_b32 exec_lo, exec_lo, s0
	v_lshlrev_b32_e32 v9, 16, v9
	s_delay_alu instid0(VALU_DEP_1) | instskip(NEXT) | instid1(VALU_DEP_1)
	v_mul_f32_e32 v68, v87, v9
	v_and_b32_e32 v9, 0x7f800000, v68
	s_delay_alu instid0(VALU_DEP_1) | instskip(SKIP_1) | instid1(SALU_CYCLE_1)
	v_cmp_ne_u32_e32 vcc_lo, 0x7f800000, v9
                                        ; implicit-def: $vgpr9
	s_and_saveexec_b32 s0, vcc_lo
	s_xor_b32 s0, exec_lo, s0
; %bb.3664:                             ;   in Loop: Header=BB464_1567 Depth=1
	v_bfe_u32 v9, v68, 16, 1
	s_delay_alu instid0(VALU_DEP_1)
	v_add3_u32 v9, v68, v9, 0x7fff
                                        ; implicit-def: $vgpr68
; %bb.3665:                             ;   in Loop: Header=BB464_1567 Depth=1
	s_and_not1_saveexec_b32 s0, s0
; %bb.3666:                             ;   in Loop: Header=BB464_1567 Depth=1
	v_and_b32_e32 v9, 0xffff, v68
	v_or_b32_e32 v69, 0x10000, v68
	s_delay_alu instid0(VALU_DEP_2) | instskip(NEXT) | instid1(VALU_DEP_2)
	v_cmp_eq_u32_e32 vcc_lo, 0, v9
	v_cndmask_b32_e32 v9, v69, v68, vcc_lo
; %bb.3667:                             ;   in Loop: Header=BB464_1567 Depth=1
	s_or_b32 exec_lo, exec_lo, s0
	v_lshlrev_b32_e32 v68, 16, v169
	s_delay_alu instid0(VALU_DEP_1) | instskip(NEXT) | instid1(VALU_DEP_1)
	v_mul_f32_e32 v69, v96, v68
	v_and_b32_e32 v68, 0x7f800000, v69
	s_delay_alu instid0(VALU_DEP_1) | instskip(SKIP_1) | instid1(SALU_CYCLE_1)
	v_cmp_ne_u32_e32 vcc_lo, 0x7f800000, v68
                                        ; implicit-def: $vgpr68
	s_and_saveexec_b32 s0, vcc_lo
	s_xor_b32 s0, exec_lo, s0
; %bb.3668:                             ;   in Loop: Header=BB464_1567 Depth=1
	v_bfe_u32 v68, v69, 16, 1
	s_delay_alu instid0(VALU_DEP_1)
	v_add3_u32 v68, v69, v68, 0x7fff
                                        ; implicit-def: $vgpr69
; %bb.3669:                             ;   in Loop: Header=BB464_1567 Depth=1
	s_and_not1_saveexec_b32 s0, s0
; %bb.3670:                             ;   in Loop: Header=BB464_1567 Depth=1
	v_and_b32_e32 v68, 0xffff, v69
	v_or_b32_e32 v70, 0x10000, v69
	s_delay_alu instid0(VALU_DEP_2) | instskip(NEXT) | instid1(VALU_DEP_2)
	v_cmp_eq_u32_e32 vcc_lo, 0, v68
	v_cndmask_b32_e32 v68, v70, v69, vcc_lo
; %bb.3671:                             ;   in Loop: Header=BB464_1567 Depth=1
	s_or_b32 exec_lo, exec_lo, s0
	v_lshlrev_b32_e32 v69, 16, v157
	s_delay_alu instid0(VALU_DEP_1) | instskip(NEXT) | instid1(VALU_DEP_1)
	v_mul_f32_e32 v70, v97, v69
	v_and_b32_e32 v69, 0x7f800000, v70
	s_delay_alu instid0(VALU_DEP_1) | instskip(SKIP_1) | instid1(SALU_CYCLE_1)
	v_cmp_ne_u32_e32 vcc_lo, 0x7f800000, v69
                                        ; implicit-def: $vgpr69
	s_and_saveexec_b32 s0, vcc_lo
	s_xor_b32 s0, exec_lo, s0
; %bb.3672:                             ;   in Loop: Header=BB464_1567 Depth=1
	v_bfe_u32 v69, v70, 16, 1
	s_delay_alu instid0(VALU_DEP_1)
	v_add3_u32 v69, v70, v69, 0x7fff
                                        ; implicit-def: $vgpr70
; %bb.3673:                             ;   in Loop: Header=BB464_1567 Depth=1
	s_and_not1_saveexec_b32 s0, s0
; %bb.3674:                             ;   in Loop: Header=BB464_1567 Depth=1
	v_and_b32_e32 v69, 0xffff, v70
	v_or_b32_e32 v71, 0x10000, v70
	s_delay_alu instid0(VALU_DEP_2) | instskip(NEXT) | instid1(VALU_DEP_2)
	v_cmp_eq_u32_e32 vcc_lo, 0, v69
	v_cndmask_b32_e32 v69, v71, v70, vcc_lo
; %bb.3675:                             ;   in Loop: Header=BB464_1567 Depth=1
	s_or_b32 exec_lo, exec_lo, s0
	v_lshlrev_b32_e32 v70, 16, v156
	s_delay_alu instid0(VALU_DEP_1) | instskip(NEXT) | instid1(VALU_DEP_1)
	v_mul_f32_e32 v71, v98, v70
	v_and_b32_e32 v70, 0x7f800000, v71
	s_delay_alu instid0(VALU_DEP_1) | instskip(SKIP_1) | instid1(SALU_CYCLE_1)
	v_cmp_ne_u32_e32 vcc_lo, 0x7f800000, v70
                                        ; implicit-def: $vgpr70
	s_and_saveexec_b32 s0, vcc_lo
	s_xor_b32 s0, exec_lo, s0
; %bb.3676:                             ;   in Loop: Header=BB464_1567 Depth=1
	v_bfe_u32 v70, v71, 16, 1
	s_delay_alu instid0(VALU_DEP_1)
	v_add3_u32 v70, v71, v70, 0x7fff
                                        ; implicit-def: $vgpr71
; %bb.3677:                             ;   in Loop: Header=BB464_1567 Depth=1
	s_and_not1_saveexec_b32 s0, s0
	s_cbranch_execz .LBB464_1566
; %bb.3678:                             ;   in Loop: Header=BB464_1567 Depth=1
	v_and_b32_e32 v70, 0xffff, v71
	v_or_b32_e32 v80, 0x10000, v71
	s_delay_alu instid0(VALU_DEP_2) | instskip(NEXT) | instid1(VALU_DEP_2)
	v_cmp_eq_u32_e32 vcc_lo, 0, v70
	v_cndmask_b32_e32 v70, v80, v71, vcc_lo
	s_branch .LBB464_1566
.LBB464_3679:
	s_or_b32 exec_lo, exec_lo, s8
	v_dual_mov_b32 v0, s10 :: v_dual_mov_b32 v1, s11
.LBB464_3680:
	s_or_b32 exec_lo, exec_lo, s7
	s_delay_alu instid0(VALU_DEP_1)
	v_lshlrev_b64 v[0:1], 2, v[0:1]
	s_getpc_b64 s[2:3]
	s_add_u32 s2, s2, llvm.amdgcn.dynlds.offset.table@rel32@lo+4
	s_addc_u32 s3, s3, llvm.amdgcn.dynlds.offset.table@rel32@hi+12
	s_waitcnt lgkmcnt(0)
	s_waitcnt_vscnt null, 0x0
	s_barrier
	buffer_gl0_inv
	ds_bpermute_b32 v2, v19, v52
	v_add_co_u32 v0, vcc_lo, v0, s2
	v_add_co_ci_u32_e32 v1, vcc_lo, s3, v1, vcc_lo
	ds_bpermute_b32 v3, v19, v51
	ds_bpermute_b32 v4, v19, v50
	;; [unrolled: 1-line block ×3, first 2 shown]
	global_load_b32 v1, v[0:1], off
	ds_bpermute_b32 v0, v19, v49
	ds_bpermute_b32 v6, v19, v39
	;; [unrolled: 1-line block ×12, first 2 shown]
	s_waitcnt lgkmcnt(15)
	v_add_f32_e32 v2, v52, v2
	s_mov_b32 s0, exec_lo
	s_waitcnt lgkmcnt(13)
	v_dual_add_f32 v3, v51, v3 :: v_dual_add_f32 v4, v50, v4
	s_waitcnt lgkmcnt(11)
	v_dual_add_f32 v5, v48, v5 :: v_dual_add_f32 v0, v49, v0
	;; [unrolled: 2-line block ×7, first 2 shown]
	s_waitcnt lgkmcnt(0)
	v_add_f32_e32 v21, v21, v16
	ds_bpermute_b32 v10, v18, v0
	ds_bpermute_b32 v11, v18, v2
	ds_bpermute_b32 v12, v18, v3
	ds_bpermute_b32 v13, v18, v4
	ds_bpermute_b32 v27, v18, v5
	ds_bpermute_b32 v28, v18, v6
	ds_bpermute_b32 v29, v18, v7
	ds_bpermute_b32 v30, v18, v8
	ds_bpermute_b32 v31, v18, v9
	ds_bpermute_b32 v32, v18, v19
	ds_bpermute_b32 v33, v18, v22
	ds_bpermute_b32 v34, v18, v23
	ds_bpermute_b32 v35, v18, v26
	ds_bpermute_b32 v36, v18, v25
	ds_bpermute_b32 v37, v18, v24
	ds_bpermute_b32 v18, v18, v21
	scratch_load_b32 v14, off, s32 offset:676 ; 4-byte Folded Reload
	v_and_b32_e32 v38, 0x3c3, v173
	s_waitcnt lgkmcnt(15)
	v_add_f32_e32 v0, v0, v10
	s_waitcnt lgkmcnt(13)
	v_dual_add_f32 v16, v2, v11 :: v_dual_add_f32 v15, v3, v12
	s_waitcnt lgkmcnt(9)
	v_dual_add_f32 v12, v6, v28 :: v_dual_add_f32 v11, v7, v29
	;; [unrolled: 2-line block ×5, first 2 shown]
	s_waitcnt lgkmcnt(0)
	v_add_f32_e32 v2, v21, v18
	scratch_load_b32 v18, off, s32 offset:680 ; 4-byte Folded Reload
	s_waitcnt vmcnt(1)
	v_lshrrev_b32_e32 v17, 2, v14
	v_dual_add_f32 v14, v4, v13 :: v_dual_add_f32 v13, v5, v27
	v_dual_add_f32 v5, v26, v35 :: v_dual_add_f32 v4, v25, v36
	s_waitcnt vmcnt(0)
	v_lshl_add_u32 v18, v18, 9, v1
	v_cmpx_eq_u32_e32 64, v38
	s_cbranch_execz .LBB464_3682
; %bb.3681:
	v_lshlrev_b32_e32 v19, 2, v17
	s_delay_alu instid0(VALU_DEP_1)
	v_add3_u32 v19, v18, v19, 0xfffffc00
	ds_store_2addr_b32 v19, v0, v16 offset1:8
	ds_store_2addr_b32 v19, v15, v14 offset0:16 offset1:24
	ds_store_2addr_b32 v19, v13, v12 offset0:32 offset1:40
	;; [unrolled: 1-line block ×7, first 2 shown]
.LBB464_3682:
	s_or_b32 exec_lo, exec_lo, s0
	v_cmp_eq_u32_e32 vcc_lo, 0, v20
	v_cmp_gt_u32_e64 s0, 64, v173
	s_waitcnt lgkmcnt(0)
	s_barrier
	buffer_gl0_inv
	s_mov_b32 s2, exec_lo
	s_clause 0x1
	scratch_load_b32 v20, off, s32 offset:684
	scratch_load_b32 v21, off, s32 offset:688
	s_and_b32 s0, s2, s0
	s_delay_alu instid0(SALU_CYCLE_1)
	s_mov_b32 exec_lo, s0
	s_cbranch_execz .LBB464_3701
; %bb.3683:
	s_and_saveexec_b32 s0, vcc_lo
	s_cbranch_execnz .LBB464_3790
; %bb.3684:
	s_or_b32 exec_lo, exec_lo, s0
	s_and_saveexec_b32 s0, vcc_lo
	s_cbranch_execnz .LBB464_3791
.LBB464_3685:
	s_or_b32 exec_lo, exec_lo, s0
	s_and_saveexec_b32 s0, vcc_lo
	s_cbranch_execnz .LBB464_3792
.LBB464_3686:
	s_or_b32 exec_lo, exec_lo, s0
	s_and_saveexec_b32 s0, vcc_lo
	s_cbranch_execnz .LBB464_3793
.LBB464_3687:
	s_or_b32 exec_lo, exec_lo, s0
	s_and_saveexec_b32 s0, vcc_lo
	s_cbranch_execnz .LBB464_3794
.LBB464_3688:
	s_or_b32 exec_lo, exec_lo, s0
	s_and_saveexec_b32 s0, vcc_lo
	s_cbranch_execnz .LBB464_3795
.LBB464_3689:
	s_or_b32 exec_lo, exec_lo, s0
	s_and_saveexec_b32 s0, vcc_lo
	s_cbranch_execnz .LBB464_3796
.LBB464_3690:
	s_or_b32 exec_lo, exec_lo, s0
	s_and_saveexec_b32 s0, vcc_lo
	s_cbranch_execnz .LBB464_3797
.LBB464_3691:
	s_or_b32 exec_lo, exec_lo, s0
	s_and_saveexec_b32 s0, vcc_lo
	s_cbranch_execnz .LBB464_3798
.LBB464_3692:
	s_or_b32 exec_lo, exec_lo, s0
	s_and_saveexec_b32 s0, vcc_lo
	s_cbranch_execnz .LBB464_3799
.LBB464_3693:
	s_or_b32 exec_lo, exec_lo, s0
	s_and_saveexec_b32 s0, vcc_lo
	s_cbranch_execnz .LBB464_3800
.LBB464_3694:
	s_or_b32 exec_lo, exec_lo, s0
	s_and_saveexec_b32 s0, vcc_lo
	s_cbranch_execnz .LBB464_3801
.LBB464_3695:
	s_or_b32 exec_lo, exec_lo, s0
	s_and_saveexec_b32 s0, vcc_lo
	s_cbranch_execnz .LBB464_3802
.LBB464_3696:
	s_or_b32 exec_lo, exec_lo, s0
	s_and_saveexec_b32 s0, vcc_lo
	s_cbranch_execnz .LBB464_3803
.LBB464_3697:
	s_or_b32 exec_lo, exec_lo, s0
	s_and_saveexec_b32 s0, vcc_lo
	s_cbranch_execnz .LBB464_3804
.LBB464_3698:
	s_or_b32 exec_lo, exec_lo, s0
	s_and_saveexec_b32 s0, vcc_lo
	s_cbranch_execz .LBB464_3700
.LBB464_3699:
	v_lshl_add_u32 v19, v17, 2, v18
	ds_load_b32 v19, v19 offset:480
	s_waitcnt lgkmcnt(0)
	v_add_f32_e32 v2, v19, v2
.LBB464_3700:
	s_or_b32 exec_lo, exec_lo, s0
.LBB464_3701:
	s_delay_alu instid0(SALU_CYCLE_1)
	s_or_b32 exec_lo, exec_lo, s2
	v_and_b32_e32 v19, 0x3e3, v173
	s_mov_b32 s2, exec_lo
	s_waitcnt vmcnt(0)
	s_barrier
	buffer_gl0_inv
	v_cmpx_eq_u32_e32 32, v19
	s_cbranch_execz .LBB464_3703
; %bb.3702:
	v_lshl_add_u32 v1, v17, 2, v1
	ds_store_2addr_b32 v1, v0, v16 offset1:8
	ds_store_2addr_b32 v1, v15, v14 offset0:16 offset1:24
	ds_store_2addr_b32 v1, v13, v12 offset0:32 offset1:40
	;; [unrolled: 1-line block ×7, first 2 shown]
.LBB464_3703:
	s_or_b32 exec_lo, exec_lo, s2
	v_cmp_gt_u32_e64 s0, 32, v173
	s_waitcnt lgkmcnt(0)
	s_barrier
	buffer_gl0_inv
	s_and_saveexec_b32 s2, s0
	s_cbranch_execz .LBB464_3722
; %bb.3704:
	v_lshl_add_u32 v1, v17, 2, v18
	s_and_saveexec_b32 s3, vcc_lo
	s_cbranch_execnz .LBB464_3805
; %bb.3705:
	s_or_b32 exec_lo, exec_lo, s3
	s_and_saveexec_b32 s3, vcc_lo
	s_cbranch_execnz .LBB464_3806
.LBB464_3706:
	s_or_b32 exec_lo, exec_lo, s3
	s_and_saveexec_b32 s3, vcc_lo
	s_cbranch_execnz .LBB464_3807
.LBB464_3707:
	s_or_b32 exec_lo, exec_lo, s3
	s_and_saveexec_b32 s3, vcc_lo
	s_cbranch_execnz .LBB464_3808
.LBB464_3708:
	s_or_b32 exec_lo, exec_lo, s3
	s_and_saveexec_b32 s3, vcc_lo
	s_cbranch_execnz .LBB464_3809
.LBB464_3709:
	s_or_b32 exec_lo, exec_lo, s3
	s_and_saveexec_b32 s3, vcc_lo
	s_cbranch_execnz .LBB464_3810
.LBB464_3710:
	s_or_b32 exec_lo, exec_lo, s3
	s_and_saveexec_b32 s3, vcc_lo
	s_cbranch_execnz .LBB464_3811
.LBB464_3711:
	s_or_b32 exec_lo, exec_lo, s3
	s_and_saveexec_b32 s3, vcc_lo
	s_cbranch_execnz .LBB464_3812
.LBB464_3712:
	s_or_b32 exec_lo, exec_lo, s3
	s_and_saveexec_b32 s3, vcc_lo
	s_cbranch_execnz .LBB464_3813
.LBB464_3713:
	s_or_b32 exec_lo, exec_lo, s3
	s_and_saveexec_b32 s3, vcc_lo
	s_cbranch_execnz .LBB464_3814
.LBB464_3714:
	s_or_b32 exec_lo, exec_lo, s3
	s_and_saveexec_b32 s3, vcc_lo
	s_cbranch_execnz .LBB464_3815
.LBB464_3715:
	s_or_b32 exec_lo, exec_lo, s3
	s_and_saveexec_b32 s3, vcc_lo
	s_cbranch_execnz .LBB464_3816
.LBB464_3716:
	s_or_b32 exec_lo, exec_lo, s3
	s_and_saveexec_b32 s3, vcc_lo
	s_cbranch_execnz .LBB464_3817
.LBB464_3717:
	s_or_b32 exec_lo, exec_lo, s3
	s_and_saveexec_b32 s3, vcc_lo
	s_cbranch_execnz .LBB464_3818
.LBB464_3718:
	s_or_b32 exec_lo, exec_lo, s3
	s_and_saveexec_b32 s3, vcc_lo
	s_cbranch_execnz .LBB464_3819
.LBB464_3719:
	s_or_b32 exec_lo, exec_lo, s3
	s_and_saveexec_b32 s3, vcc_lo
	s_cbranch_execz .LBB464_3721
.LBB464_3720:
	ds_load_b32 v1, v1 offset:480
	s_waitcnt lgkmcnt(0)
	v_add_f32_e32 v2, v1, v2
.LBB464_3721:
	s_or_b32 exec_lo, exec_lo, s3
.LBB464_3722:
	s_delay_alu instid0(SALU_CYCLE_1)
	s_or_b32 exec_lo, exec_lo, s2
	s_barrier
	buffer_gl0_inv
	s_and_b32 exec_lo, exec_lo, s0
	s_cbranch_execz .LBB464_3789
; %bb.3723:
	s_and_b32 exec_lo, exec_lo, vcc_lo
	s_cbranch_execz .LBB464_3789
; %bb.3724:
	v_and_b32_e32 v1, 0x7f800000, v0
	s_mov_b32 s0, exec_lo
                                        ; implicit-def: $vgpr17
	s_delay_alu instid0(VALU_DEP_1)
	v_cmpx_ne_u32_e32 0x7f800000, v1
	s_xor_b32 s0, exec_lo, s0
; %bb.3725:
	v_bfe_u32 v1, v0, 16, 1
	s_delay_alu instid0(VALU_DEP_1)
	v_add3_u32 v17, v0, v1, 0x7fff
                                        ; implicit-def: $vgpr0
; %bb.3726:
	s_and_not1_saveexec_b32 s0, s0
; %bb.3727:
	v_and_b32_e32 v1, 0xffff, v0
	v_or_b32_e32 v17, 0x10000, v0
	s_delay_alu instid0(VALU_DEP_2) | instskip(NEXT) | instid1(VALU_DEP_2)
	v_cmp_eq_u32_e32 vcc_lo, 0, v1
	v_cndmask_b32_e32 v17, v17, v0, vcc_lo
; %bb.3728:
	s_or_b32 exec_lo, exec_lo, s0
	s_mul_i32 s2, s1, s4
	s_mul_i32 s0, s6, s1
	;; [unrolled: 1-line block ×3, first 2 shown]
	s_lshl_b32 s2, s14, 7
	s_lshl_b32 s6, s1, 7
	s_ashr_i32 s1, s0, 31
	s_ashr_i32 s3, s2, 31
	;; [unrolled: 1-line block ×3, first 2 shown]
	s_lshl_b64 s[0:1], s[0:1], 1
	s_lshl_b64 s[2:3], s[2:3], 1
	;; [unrolled: 1-line block ×3, first 2 shown]
	v_lshrrev_b32_e32 v0, 1, v173
	s_add_u32 s0, s2, s0
	s_addc_u32 s1, s3, s1
	s_add_u32 s0, s0, s6
	s_addc_u32 s1, s1, s7
	v_and_b32_e32 v0, 0x1fe, v0
	v_add_co_u32 v1, vcc_lo, s0, v21
	v_add_co_ci_u32_e32 v18, vcc_lo, s1, v20, vcc_lo
	v_and_b32_e32 v19, 0x7f800000, v16
	s_delay_alu instid0(VALU_DEP_3) | instskip(NEXT) | instid1(VALU_DEP_3)
	v_add_co_u32 v0, vcc_lo, v1, v0
	v_add_co_ci_u32_e32 v1, vcc_lo, 0, v18, vcc_lo
	s_mov_b32 s0, exec_lo
	flat_store_d16_hi_b16 v[0:1], v17
                                        ; implicit-def: $vgpr17
	v_cmpx_ne_u32_e32 0x7f800000, v19
	s_xor_b32 s0, exec_lo, s0
; %bb.3729:
	v_bfe_u32 v17, v16, 16, 1
	s_delay_alu instid0(VALU_DEP_1)
	v_add3_u32 v17, v16, v17, 0x7fff
                                        ; implicit-def: $vgpr16
; %bb.3730:
	s_and_not1_saveexec_b32 s0, s0
; %bb.3731:
	v_and_b32_e32 v17, 0xffff, v16
	v_or_b32_e32 v18, 0x10000, v16
	s_delay_alu instid0(VALU_DEP_2) | instskip(NEXT) | instid1(VALU_DEP_2)
	v_cmp_eq_u32_e32 vcc_lo, 0, v17
	v_cndmask_b32_e32 v17, v18, v16, vcc_lo
; %bb.3732:
	s_or_b32 exec_lo, exec_lo, s0
	v_and_b32_e32 v16, 0x7f800000, v15
	flat_store_d16_hi_b16 v[0:1], v17 offset:16
	v_cmp_ne_u32_e32 vcc_lo, 0x7f800000, v16
                                        ; implicit-def: $vgpr16
	s_and_saveexec_b32 s0, vcc_lo
	s_delay_alu instid0(SALU_CYCLE_1)
	s_xor_b32 s0, exec_lo, s0
; %bb.3733:
	v_bfe_u32 v16, v15, 16, 1
	s_delay_alu instid0(VALU_DEP_1)
	v_add3_u32 v16, v15, v16, 0x7fff
                                        ; implicit-def: $vgpr15
; %bb.3734:
	s_and_not1_saveexec_b32 s0, s0
; %bb.3735:
	v_and_b32_e32 v16, 0xffff, v15
	v_or_b32_e32 v17, 0x10000, v15
	s_delay_alu instid0(VALU_DEP_2) | instskip(NEXT) | instid1(VALU_DEP_2)
	v_cmp_eq_u32_e32 vcc_lo, 0, v16
	v_cndmask_b32_e32 v16, v17, v15, vcc_lo
; %bb.3736:
	s_or_b32 exec_lo, exec_lo, s0
	v_and_b32_e32 v15, 0x7f800000, v14
	flat_store_d16_hi_b16 v[0:1], v16 offset:32
	v_cmp_ne_u32_e32 vcc_lo, 0x7f800000, v15
                                        ; implicit-def: $vgpr15
	s_and_saveexec_b32 s0, vcc_lo
	s_delay_alu instid0(SALU_CYCLE_1)
	s_xor_b32 s0, exec_lo, s0
; %bb.3737:
	v_bfe_u32 v15, v14, 16, 1
	s_delay_alu instid0(VALU_DEP_1)
	v_add3_u32 v15, v14, v15, 0x7fff
                                        ; implicit-def: $vgpr14
; %bb.3738:
	s_and_not1_saveexec_b32 s0, s0
; %bb.3739:
	v_and_b32_e32 v15, 0xffff, v14
	v_or_b32_e32 v16, 0x10000, v14
	s_delay_alu instid0(VALU_DEP_2) | instskip(NEXT) | instid1(VALU_DEP_2)
	v_cmp_eq_u32_e32 vcc_lo, 0, v15
	v_cndmask_b32_e32 v15, v16, v14, vcc_lo
; %bb.3740:
	s_or_b32 exec_lo, exec_lo, s0
	v_and_b32_e32 v14, 0x7f800000, v13
	flat_store_d16_hi_b16 v[0:1], v15 offset:48
	v_cmp_ne_u32_e32 vcc_lo, 0x7f800000, v14
                                        ; implicit-def: $vgpr14
	s_and_saveexec_b32 s0, vcc_lo
	s_delay_alu instid0(SALU_CYCLE_1)
	s_xor_b32 s0, exec_lo, s0
; %bb.3741:
	v_bfe_u32 v14, v13, 16, 1
	s_delay_alu instid0(VALU_DEP_1)
	v_add3_u32 v14, v13, v14, 0x7fff
                                        ; implicit-def: $vgpr13
; %bb.3742:
	s_and_not1_saveexec_b32 s0, s0
; %bb.3743:
	v_and_b32_e32 v14, 0xffff, v13
	v_or_b32_e32 v15, 0x10000, v13
	s_delay_alu instid0(VALU_DEP_2) | instskip(NEXT) | instid1(VALU_DEP_2)
	v_cmp_eq_u32_e32 vcc_lo, 0, v14
	v_cndmask_b32_e32 v14, v15, v13, vcc_lo
; %bb.3744:
	s_or_b32 exec_lo, exec_lo, s0
	v_and_b32_e32 v13, 0x7f800000, v12
	flat_store_d16_hi_b16 v[0:1], v14 offset:64
	v_cmp_ne_u32_e32 vcc_lo, 0x7f800000, v13
                                        ; implicit-def: $vgpr13
	s_and_saveexec_b32 s0, vcc_lo
	s_delay_alu instid0(SALU_CYCLE_1)
	s_xor_b32 s0, exec_lo, s0
; %bb.3745:
	v_bfe_u32 v13, v12, 16, 1
	s_delay_alu instid0(VALU_DEP_1)
	v_add3_u32 v13, v12, v13, 0x7fff
                                        ; implicit-def: $vgpr12
; %bb.3746:
	s_and_not1_saveexec_b32 s0, s0
; %bb.3747:
	v_and_b32_e32 v13, 0xffff, v12
	v_or_b32_e32 v14, 0x10000, v12
	s_delay_alu instid0(VALU_DEP_2) | instskip(NEXT) | instid1(VALU_DEP_2)
	v_cmp_eq_u32_e32 vcc_lo, 0, v13
	v_cndmask_b32_e32 v13, v14, v12, vcc_lo
; %bb.3748:
	s_or_b32 exec_lo, exec_lo, s0
	v_and_b32_e32 v12, 0x7f800000, v11
	flat_store_d16_hi_b16 v[0:1], v13 offset:80
	v_cmp_ne_u32_e32 vcc_lo, 0x7f800000, v12
                                        ; implicit-def: $vgpr12
	s_and_saveexec_b32 s0, vcc_lo
	s_delay_alu instid0(SALU_CYCLE_1)
	s_xor_b32 s0, exec_lo, s0
; %bb.3749:
	v_bfe_u32 v12, v11, 16, 1
	s_delay_alu instid0(VALU_DEP_1)
	v_add3_u32 v12, v11, v12, 0x7fff
                                        ; implicit-def: $vgpr11
; %bb.3750:
	s_and_not1_saveexec_b32 s0, s0
; %bb.3751:
	v_and_b32_e32 v12, 0xffff, v11
	v_or_b32_e32 v13, 0x10000, v11
	s_delay_alu instid0(VALU_DEP_2) | instskip(NEXT) | instid1(VALU_DEP_2)
	v_cmp_eq_u32_e32 vcc_lo, 0, v12
	v_cndmask_b32_e32 v12, v13, v11, vcc_lo
; %bb.3752:
	s_or_b32 exec_lo, exec_lo, s0
	v_and_b32_e32 v11, 0x7f800000, v10
	flat_store_d16_hi_b16 v[0:1], v12 offset:96
	v_cmp_ne_u32_e32 vcc_lo, 0x7f800000, v11
                                        ; implicit-def: $vgpr11
	s_and_saveexec_b32 s0, vcc_lo
	s_delay_alu instid0(SALU_CYCLE_1)
	s_xor_b32 s0, exec_lo, s0
; %bb.3753:
	v_bfe_u32 v11, v10, 16, 1
	s_delay_alu instid0(VALU_DEP_1)
	v_add3_u32 v11, v10, v11, 0x7fff
                                        ; implicit-def: $vgpr10
; %bb.3754:
	s_and_not1_saveexec_b32 s0, s0
; %bb.3755:
	v_and_b32_e32 v11, 0xffff, v10
	v_or_b32_e32 v12, 0x10000, v10
	s_delay_alu instid0(VALU_DEP_2) | instskip(NEXT) | instid1(VALU_DEP_2)
	v_cmp_eq_u32_e32 vcc_lo, 0, v11
	v_cndmask_b32_e32 v11, v12, v10, vcc_lo
; %bb.3756:
	s_or_b32 exec_lo, exec_lo, s0
	v_and_b32_e32 v10, 0x7f800000, v9
	flat_store_d16_hi_b16 v[0:1], v11 offset:112
	v_cmp_ne_u32_e32 vcc_lo, 0x7f800000, v10
                                        ; implicit-def: $vgpr10
	s_and_saveexec_b32 s0, vcc_lo
	s_delay_alu instid0(SALU_CYCLE_1)
	s_xor_b32 s0, exec_lo, s0
; %bb.3757:
	v_bfe_u32 v10, v9, 16, 1
	s_delay_alu instid0(VALU_DEP_1)
	v_add3_u32 v10, v9, v10, 0x7fff
                                        ; implicit-def: $vgpr9
; %bb.3758:
	s_and_not1_saveexec_b32 s0, s0
; %bb.3759:
	v_and_b32_e32 v10, 0xffff, v9
	v_or_b32_e32 v11, 0x10000, v9
	s_delay_alu instid0(VALU_DEP_2) | instskip(NEXT) | instid1(VALU_DEP_2)
	v_cmp_eq_u32_e32 vcc_lo, 0, v10
	v_cndmask_b32_e32 v10, v11, v9, vcc_lo
; %bb.3760:
	s_or_b32 exec_lo, exec_lo, s0
	v_and_b32_e32 v9, 0x7f800000, v8
	flat_store_d16_hi_b16 v[0:1], v10 offset:128
	v_cmp_ne_u32_e32 vcc_lo, 0x7f800000, v9
                                        ; implicit-def: $vgpr9
	s_and_saveexec_b32 s0, vcc_lo
	s_delay_alu instid0(SALU_CYCLE_1)
	s_xor_b32 s0, exec_lo, s0
; %bb.3761:
	v_bfe_u32 v9, v8, 16, 1
	s_delay_alu instid0(VALU_DEP_1)
	v_add3_u32 v9, v8, v9, 0x7fff
                                        ; implicit-def: $vgpr8
; %bb.3762:
	s_and_not1_saveexec_b32 s0, s0
; %bb.3763:
	v_and_b32_e32 v9, 0xffff, v8
	v_or_b32_e32 v10, 0x10000, v8
	s_delay_alu instid0(VALU_DEP_2) | instskip(NEXT) | instid1(VALU_DEP_2)
	v_cmp_eq_u32_e32 vcc_lo, 0, v9
	v_cndmask_b32_e32 v9, v10, v8, vcc_lo
; %bb.3764:
	s_or_b32 exec_lo, exec_lo, s0
	v_and_b32_e32 v8, 0x7f800000, v7
	flat_store_d16_hi_b16 v[0:1], v9 offset:144
	v_cmp_ne_u32_e32 vcc_lo, 0x7f800000, v8
                                        ; implicit-def: $vgpr8
	s_and_saveexec_b32 s0, vcc_lo
	s_delay_alu instid0(SALU_CYCLE_1)
	s_xor_b32 s0, exec_lo, s0
; %bb.3765:
	v_bfe_u32 v8, v7, 16, 1
	s_delay_alu instid0(VALU_DEP_1)
	v_add3_u32 v8, v7, v8, 0x7fff
                                        ; implicit-def: $vgpr7
; %bb.3766:
	s_and_not1_saveexec_b32 s0, s0
; %bb.3767:
	v_and_b32_e32 v8, 0xffff, v7
	v_or_b32_e32 v9, 0x10000, v7
	s_delay_alu instid0(VALU_DEP_2) | instskip(NEXT) | instid1(VALU_DEP_2)
	v_cmp_eq_u32_e32 vcc_lo, 0, v8
	v_cndmask_b32_e32 v8, v9, v7, vcc_lo
; %bb.3768:
	s_or_b32 exec_lo, exec_lo, s0
	v_and_b32_e32 v7, 0x7f800000, v6
	flat_store_d16_hi_b16 v[0:1], v8 offset:160
	v_cmp_ne_u32_e32 vcc_lo, 0x7f800000, v7
                                        ; implicit-def: $vgpr7
	s_and_saveexec_b32 s0, vcc_lo
	s_delay_alu instid0(SALU_CYCLE_1)
	s_xor_b32 s0, exec_lo, s0
; %bb.3769:
	v_bfe_u32 v7, v6, 16, 1
	s_delay_alu instid0(VALU_DEP_1)
	v_add3_u32 v7, v6, v7, 0x7fff
                                        ; implicit-def: $vgpr6
; %bb.3770:
	s_and_not1_saveexec_b32 s0, s0
; %bb.3771:
	v_and_b32_e32 v7, 0xffff, v6
	v_or_b32_e32 v8, 0x10000, v6
	s_delay_alu instid0(VALU_DEP_2) | instskip(NEXT) | instid1(VALU_DEP_2)
	v_cmp_eq_u32_e32 vcc_lo, 0, v7
	v_cndmask_b32_e32 v7, v8, v6, vcc_lo
; %bb.3772:
	s_or_b32 exec_lo, exec_lo, s0
	v_and_b32_e32 v6, 0x7f800000, v5
	flat_store_d16_hi_b16 v[0:1], v7 offset:176
	v_cmp_ne_u32_e32 vcc_lo, 0x7f800000, v6
                                        ; implicit-def: $vgpr6
	s_and_saveexec_b32 s0, vcc_lo
	s_delay_alu instid0(SALU_CYCLE_1)
	s_xor_b32 s0, exec_lo, s0
; %bb.3773:
	v_bfe_u32 v6, v5, 16, 1
	s_delay_alu instid0(VALU_DEP_1)
	v_add3_u32 v6, v5, v6, 0x7fff
                                        ; implicit-def: $vgpr5
; %bb.3774:
	s_and_not1_saveexec_b32 s0, s0
; %bb.3775:
	v_and_b32_e32 v6, 0xffff, v5
	v_or_b32_e32 v7, 0x10000, v5
	s_delay_alu instid0(VALU_DEP_2) | instskip(NEXT) | instid1(VALU_DEP_2)
	v_cmp_eq_u32_e32 vcc_lo, 0, v6
	v_cndmask_b32_e32 v6, v7, v5, vcc_lo
; %bb.3776:
	s_or_b32 exec_lo, exec_lo, s0
	v_and_b32_e32 v5, 0x7f800000, v4
	flat_store_d16_hi_b16 v[0:1], v6 offset:192
	v_cmp_ne_u32_e32 vcc_lo, 0x7f800000, v5
                                        ; implicit-def: $vgpr5
	s_and_saveexec_b32 s0, vcc_lo
	s_delay_alu instid0(SALU_CYCLE_1)
	s_xor_b32 s0, exec_lo, s0
; %bb.3777:
	v_bfe_u32 v5, v4, 16, 1
	s_delay_alu instid0(VALU_DEP_1)
	v_add3_u32 v5, v4, v5, 0x7fff
                                        ; implicit-def: $vgpr4
; %bb.3778:
	s_and_not1_saveexec_b32 s0, s0
; %bb.3779:
	v_and_b32_e32 v5, 0xffff, v4
	v_or_b32_e32 v6, 0x10000, v4
	s_delay_alu instid0(VALU_DEP_2) | instskip(NEXT) | instid1(VALU_DEP_2)
	v_cmp_eq_u32_e32 vcc_lo, 0, v5
	v_cndmask_b32_e32 v5, v6, v4, vcc_lo
; %bb.3780:
	s_or_b32 exec_lo, exec_lo, s0
	v_and_b32_e32 v4, 0x7f800000, v3
	flat_store_d16_hi_b16 v[0:1], v5 offset:208
	v_cmp_ne_u32_e32 vcc_lo, 0x7f800000, v4
                                        ; implicit-def: $vgpr4
	s_and_saveexec_b32 s0, vcc_lo
	s_delay_alu instid0(SALU_CYCLE_1)
	s_xor_b32 s0, exec_lo, s0
; %bb.3781:
	v_bfe_u32 v4, v3, 16, 1
	s_delay_alu instid0(VALU_DEP_1)
	v_add3_u32 v4, v3, v4, 0x7fff
                                        ; implicit-def: $vgpr3
; %bb.3782:
	s_and_not1_saveexec_b32 s0, s0
; %bb.3783:
	v_and_b32_e32 v4, 0xffff, v3
	v_or_b32_e32 v5, 0x10000, v3
	s_delay_alu instid0(VALU_DEP_2) | instskip(NEXT) | instid1(VALU_DEP_2)
	v_cmp_eq_u32_e32 vcc_lo, 0, v4
	v_cndmask_b32_e32 v4, v5, v3, vcc_lo
; %bb.3784:
	s_or_b32 exec_lo, exec_lo, s0
	v_and_b32_e32 v3, 0x7f800000, v2
	flat_store_d16_hi_b16 v[0:1], v4 offset:224
	v_cmp_ne_u32_e32 vcc_lo, 0x7f800000, v3
                                        ; implicit-def: $vgpr3
	s_and_saveexec_b32 s0, vcc_lo
	s_delay_alu instid0(SALU_CYCLE_1)
	s_xor_b32 s0, exec_lo, s0
; %bb.3785:
	v_bfe_u32 v3, v2, 16, 1
	s_delay_alu instid0(VALU_DEP_1)
	v_add3_u32 v3, v2, v3, 0x7fff
                                        ; implicit-def: $vgpr2
; %bb.3786:
	s_and_not1_saveexec_b32 s0, s0
; %bb.3787:
	v_and_b32_e32 v3, 0xffff, v2
	v_or_b32_e32 v4, 0x10000, v2
	s_delay_alu instid0(VALU_DEP_2) | instskip(NEXT) | instid1(VALU_DEP_2)
	v_cmp_eq_u32_e32 vcc_lo, 0, v3
	v_cndmask_b32_e32 v3, v4, v2, vcc_lo
; %bb.3788:
	s_or_b32 exec_lo, exec_lo, s0
	flat_store_d16_hi_b16 v[0:1], v3 offset:240
.LBB464_3789:
	s_or_b32 exec_lo, exec_lo, s5
	s_clause 0x1f
	scratch_load_b32 v191, off, s32
	scratch_load_b32 v190, off, s32 offset:4
	scratch_load_b32 v189, off, s32 offset:8
	;; [unrolled: 1-line block ×31, first 2 shown]
	s_clause 0x1f
	scratch_load_b32 v127, off, s32 offset:128
	scratch_load_b32 v126, off, s32 offset:132
	;; [unrolled: 1-line block ×32, first 2 shown]
	s_clause 0xf
	scratch_load_b32 v63, off, s32 offset:256
	scratch_load_b32 v62, off, s32 offset:260
	;; [unrolled: 1-line block ×16, first 2 shown]
	s_waitcnt vmcnt(0) lgkmcnt(0)
	s_setpc_b64 s[30:31]
.LBB464_3790:
	v_lshl_add_u32 v19, v17, 2, v18
	ds_load_b32 v19, v19
	s_waitcnt lgkmcnt(0)
	v_add_f32_e32 v0, v19, v0
	s_or_b32 exec_lo, exec_lo, s0
	s_and_saveexec_b32 s0, vcc_lo
	s_cbranch_execz .LBB464_3685
.LBB464_3791:
	v_lshl_add_u32 v19, v17, 2, v18
	ds_load_b32 v19, v19 offset:32
	s_waitcnt lgkmcnt(0)
	v_add_f32_e32 v16, v19, v16
	s_or_b32 exec_lo, exec_lo, s0
	s_and_saveexec_b32 s0, vcc_lo
	s_cbranch_execz .LBB464_3686
.LBB464_3792:
	v_lshl_add_u32 v19, v17, 2, v18
	ds_load_b32 v19, v19 offset:64
	s_waitcnt lgkmcnt(0)
	v_add_f32_e32 v15, v19, v15
	s_or_b32 exec_lo, exec_lo, s0
	s_and_saveexec_b32 s0, vcc_lo
	s_cbranch_execz .LBB464_3687
.LBB464_3793:
	v_lshl_add_u32 v19, v17, 2, v18
	ds_load_b32 v19, v19 offset:96
	s_waitcnt lgkmcnt(0)
	v_add_f32_e32 v14, v19, v14
	s_or_b32 exec_lo, exec_lo, s0
	s_and_saveexec_b32 s0, vcc_lo
	s_cbranch_execz .LBB464_3688
.LBB464_3794:
	v_lshl_add_u32 v19, v17, 2, v18
	ds_load_b32 v19, v19 offset:128
	s_waitcnt lgkmcnt(0)
	v_add_f32_e32 v13, v19, v13
	s_or_b32 exec_lo, exec_lo, s0
	s_and_saveexec_b32 s0, vcc_lo
	s_cbranch_execz .LBB464_3689
.LBB464_3795:
	v_lshl_add_u32 v19, v17, 2, v18
	ds_load_b32 v19, v19 offset:160
	s_waitcnt lgkmcnt(0)
	v_add_f32_e32 v12, v19, v12
	s_or_b32 exec_lo, exec_lo, s0
	s_and_saveexec_b32 s0, vcc_lo
	s_cbranch_execz .LBB464_3690
.LBB464_3796:
	v_lshl_add_u32 v19, v17, 2, v18
	ds_load_b32 v19, v19 offset:192
	s_waitcnt lgkmcnt(0)
	v_add_f32_e32 v11, v19, v11
	s_or_b32 exec_lo, exec_lo, s0
	s_and_saveexec_b32 s0, vcc_lo
	s_cbranch_execz .LBB464_3691
.LBB464_3797:
	v_lshl_add_u32 v19, v17, 2, v18
	ds_load_b32 v19, v19 offset:224
	s_waitcnt lgkmcnt(0)
	v_add_f32_e32 v10, v19, v10
	s_or_b32 exec_lo, exec_lo, s0
	s_and_saveexec_b32 s0, vcc_lo
	s_cbranch_execz .LBB464_3692
.LBB464_3798:
	v_lshl_add_u32 v19, v17, 2, v18
	ds_load_b32 v19, v19 offset:256
	s_waitcnt lgkmcnt(0)
	v_add_f32_e32 v9, v19, v9
	s_or_b32 exec_lo, exec_lo, s0
	s_and_saveexec_b32 s0, vcc_lo
	s_cbranch_execz .LBB464_3693
.LBB464_3799:
	v_lshl_add_u32 v19, v17, 2, v18
	ds_load_b32 v19, v19 offset:288
	s_waitcnt lgkmcnt(0)
	v_add_f32_e32 v8, v19, v8
	s_or_b32 exec_lo, exec_lo, s0
	s_and_saveexec_b32 s0, vcc_lo
	s_cbranch_execz .LBB464_3694
.LBB464_3800:
	v_lshl_add_u32 v19, v17, 2, v18
	ds_load_b32 v19, v19 offset:320
	s_waitcnt lgkmcnt(0)
	v_add_f32_e32 v7, v19, v7
	s_or_b32 exec_lo, exec_lo, s0
	s_and_saveexec_b32 s0, vcc_lo
	s_cbranch_execz .LBB464_3695
.LBB464_3801:
	v_lshl_add_u32 v19, v17, 2, v18
	ds_load_b32 v19, v19 offset:352
	s_waitcnt lgkmcnt(0)
	v_add_f32_e32 v6, v19, v6
	s_or_b32 exec_lo, exec_lo, s0
	s_and_saveexec_b32 s0, vcc_lo
	s_cbranch_execz .LBB464_3696
.LBB464_3802:
	v_lshl_add_u32 v19, v17, 2, v18
	ds_load_b32 v19, v19 offset:384
	s_waitcnt lgkmcnt(0)
	v_add_f32_e32 v5, v19, v5
	s_or_b32 exec_lo, exec_lo, s0
	s_and_saveexec_b32 s0, vcc_lo
	s_cbranch_execz .LBB464_3697
.LBB464_3803:
	v_lshl_add_u32 v19, v17, 2, v18
	ds_load_b32 v19, v19 offset:416
	s_waitcnt lgkmcnt(0)
	v_add_f32_e32 v4, v19, v4
	s_or_b32 exec_lo, exec_lo, s0
	s_and_saveexec_b32 s0, vcc_lo
	s_cbranch_execz .LBB464_3698
.LBB464_3804:
	v_lshl_add_u32 v19, v17, 2, v18
	ds_load_b32 v19, v19 offset:448
	s_waitcnt lgkmcnt(0)
	v_add_f32_e32 v3, v19, v3
	s_or_b32 exec_lo, exec_lo, s0
	s_and_saveexec_b32 s0, vcc_lo
	s_cbranch_execnz .LBB464_3699
	s_branch .LBB464_3700
.LBB464_3805:
	ds_load_b32 v17, v1
	s_waitcnt lgkmcnt(0)
	v_add_f32_e32 v0, v17, v0
	s_or_b32 exec_lo, exec_lo, s3
	s_and_saveexec_b32 s3, vcc_lo
	s_cbranch_execz .LBB464_3706
.LBB464_3806:
	ds_load_b32 v17, v1 offset:32
	s_waitcnt lgkmcnt(0)
	v_add_f32_e32 v16, v17, v16
	s_or_b32 exec_lo, exec_lo, s3
	s_and_saveexec_b32 s3, vcc_lo
	s_cbranch_execz .LBB464_3707
.LBB464_3807:
	ds_load_b32 v17, v1 offset:64
	s_waitcnt lgkmcnt(0)
	v_add_f32_e32 v15, v17, v15
	s_or_b32 exec_lo, exec_lo, s3
	s_and_saveexec_b32 s3, vcc_lo
	s_cbranch_execz .LBB464_3708
.LBB464_3808:
	ds_load_b32 v17, v1 offset:96
	s_waitcnt lgkmcnt(0)
	v_add_f32_e32 v14, v17, v14
	s_or_b32 exec_lo, exec_lo, s3
	s_and_saveexec_b32 s3, vcc_lo
	s_cbranch_execz .LBB464_3709
.LBB464_3809:
	ds_load_b32 v17, v1 offset:128
	s_waitcnt lgkmcnt(0)
	v_add_f32_e32 v13, v17, v13
	s_or_b32 exec_lo, exec_lo, s3
	s_and_saveexec_b32 s3, vcc_lo
	s_cbranch_execz .LBB464_3710
.LBB464_3810:
	ds_load_b32 v17, v1 offset:160
	s_waitcnt lgkmcnt(0)
	v_add_f32_e32 v12, v17, v12
	s_or_b32 exec_lo, exec_lo, s3
	s_and_saveexec_b32 s3, vcc_lo
	s_cbranch_execz .LBB464_3711
.LBB464_3811:
	ds_load_b32 v17, v1 offset:192
	s_waitcnt lgkmcnt(0)
	v_add_f32_e32 v11, v17, v11
	s_or_b32 exec_lo, exec_lo, s3
	s_and_saveexec_b32 s3, vcc_lo
	s_cbranch_execz .LBB464_3712
.LBB464_3812:
	ds_load_b32 v17, v1 offset:224
	s_waitcnt lgkmcnt(0)
	v_add_f32_e32 v10, v17, v10
	s_or_b32 exec_lo, exec_lo, s3
	s_and_saveexec_b32 s3, vcc_lo
	s_cbranch_execz .LBB464_3713
.LBB464_3813:
	ds_load_b32 v17, v1 offset:256
	s_waitcnt lgkmcnt(0)
	v_add_f32_e32 v9, v17, v9
	s_or_b32 exec_lo, exec_lo, s3
	s_and_saveexec_b32 s3, vcc_lo
	s_cbranch_execz .LBB464_3714
.LBB464_3814:
	ds_load_b32 v17, v1 offset:288
	s_waitcnt lgkmcnt(0)
	v_add_f32_e32 v8, v17, v8
	s_or_b32 exec_lo, exec_lo, s3
	s_and_saveexec_b32 s3, vcc_lo
	s_cbranch_execz .LBB464_3715
.LBB464_3815:
	ds_load_b32 v17, v1 offset:320
	s_waitcnt lgkmcnt(0)
	v_add_f32_e32 v7, v17, v7
	s_or_b32 exec_lo, exec_lo, s3
	s_and_saveexec_b32 s3, vcc_lo
	s_cbranch_execz .LBB464_3716
.LBB464_3816:
	ds_load_b32 v17, v1 offset:352
	s_waitcnt lgkmcnt(0)
	v_add_f32_e32 v6, v17, v6
	s_or_b32 exec_lo, exec_lo, s3
	s_and_saveexec_b32 s3, vcc_lo
	s_cbranch_execz .LBB464_3717
.LBB464_3817:
	ds_load_b32 v17, v1 offset:384
	s_waitcnt lgkmcnt(0)
	v_add_f32_e32 v5, v17, v5
	s_or_b32 exec_lo, exec_lo, s3
	s_and_saveexec_b32 s3, vcc_lo
	s_cbranch_execz .LBB464_3718
.LBB464_3818:
	ds_load_b32 v17, v1 offset:416
	s_waitcnt lgkmcnt(0)
	v_add_f32_e32 v4, v17, v4
	s_or_b32 exec_lo, exec_lo, s3
	s_and_saveexec_b32 s3, vcc_lo
	s_cbranch_execz .LBB464_3719
.LBB464_3819:
	ds_load_b32 v17, v1 offset:448
	s_waitcnt lgkmcnt(0)
	v_add_f32_e32 v3, v17, v3
	s_or_b32 exec_lo, exec_lo, s3
	s_and_saveexec_b32 s3, vcc_lo
	s_cbranch_execnz .LBB464_3720
	s_branch .LBB464_3721
.Lfunc_end464:
	.size	_ZN4vllm22paged_attention_kernelI14__hip_bfloat16hLi128ELi32ELi128ELNS_18Fp8KVCacheDataTypeE1ELb0ELi512EEEvPfS3_PT_PKS4_PKT0_SA_ifPKiSC_iPKfiiiSE_SE_iiiii, .Lfunc_end464-_ZN4vllm22paged_attention_kernelI14__hip_bfloat16hLi128ELi32ELi128ELNS_18Fp8KVCacheDataTypeE1ELb0ELi512EEEvPfS3_PT_PKS4_PKT0_SA_ifPKiSC_iPKfiiiSE_SE_iiiii
                                        ; -- End function
	.section	.AMDGPU.csdata,"",@progbits
; Function info:
; codeLenInByte = 118100
; NumSgprs: 35
; NumVgprs: 192
; ScratchSize: 764
; MemoryBound: 0
	.section	.text._ZN4vllm25paged_attention_v2_kernelI14__hip_bfloat16hLi128ELi32ELi128ELNS_18Fp8KVCacheDataTypeE1ELb0ELi512EEEvPfS3_PT_PKS4_PKT0_SA_ifPKiSC_iPKfiiiSE_SE_iiiii,"axG",@progbits,_ZN4vllm25paged_attention_v2_kernelI14__hip_bfloat16hLi128ELi32ELi128ELNS_18Fp8KVCacheDataTypeE1ELb0ELi512EEEvPfS3_PT_PKS4_PKT0_SA_ifPKiSC_iPKfiiiSE_SE_iiiii,comdat
	.protected	_ZN4vllm25paged_attention_v2_kernelI14__hip_bfloat16hLi128ELi32ELi128ELNS_18Fp8KVCacheDataTypeE1ELb0ELi512EEEvPfS3_PT_PKS4_PKT0_SA_ifPKiSC_iPKfiiiSE_SE_iiiii ; -- Begin function _ZN4vllm25paged_attention_v2_kernelI14__hip_bfloat16hLi128ELi32ELi128ELNS_18Fp8KVCacheDataTypeE1ELb0ELi512EEEvPfS3_PT_PKS4_PKT0_SA_ifPKiSC_iPKfiiiSE_SE_iiiii
	.globl	_ZN4vllm25paged_attention_v2_kernelI14__hip_bfloat16hLi128ELi32ELi128ELNS_18Fp8KVCacheDataTypeE1ELb0ELi512EEEvPfS3_PT_PKS4_PKT0_SA_ifPKiSC_iPKfiiiSE_SE_iiiii
	.p2align	8
	.type	_ZN4vllm25paged_attention_v2_kernelI14__hip_bfloat16hLi128ELi32ELi128ELNS_18Fp8KVCacheDataTypeE1ELb0ELi512EEEvPfS3_PT_PKS4_PKT0_SA_ifPKiSC_iPKfiiiSE_SE_iiiii,@function
_ZN4vllm25paged_attention_v2_kernelI14__hip_bfloat16hLi128ELi32ELi128ELNS_18Fp8KVCacheDataTypeE1ELb0ELi512EEEvPfS3_PT_PKS4_PKT0_SA_ifPKiSC_iPKfiiiSE_SE_iiiii: ; @_ZN4vllm25paged_attention_v2_kernelI14__hip_bfloat16hLi128ELi32ELi128ELNS_18Fp8KVCacheDataTypeE1ELb0ELi512EEEvPfS3_PT_PKS4_PKT0_SA_ifPKiSC_iPKfiiiSE_SE_iiiii
; %bb.0:
	s_clause 0x5
	s_load_b256 s[24:31], s[0:1], 0x0
	s_load_b256 s[16:23], s[0:1], 0x20
	s_load_b64 s[2:3], s[0:1], 0x40
	s_load_b64 s[4:5], s[0:1], 0x50
	s_load_b32 s6, s[0:1], 0x48
	s_load_b256 s[36:43], s[0:1], 0x58
	v_mov_b32_e32 v31, v0
	s_add_u32 s8, s0, 0x90
	s_mov_b32 s12, s13
	s_addc_u32 s9, s1, 0
	s_mov_b32 s13, s14
	s_mov_b32 s14, s15
	s_mov_b32 s15, 23
	s_mov_b32 s32, 0
	s_getpc_b64 s[0:1]
	s_add_u32 s0, s0, _ZN4vllm22paged_attention_kernelI14__hip_bfloat16hLi128ELi32ELi128ELNS_18Fp8KVCacheDataTypeE1ELb0ELi512EEEvPfS3_PT_PKS4_PKT0_SA_ifPKiSC_iPKfiiiSE_SE_iiiii@rel32@lo+4
	s_addc_u32 s1, s1, _ZN4vllm22paged_attention_kernelI14__hip_bfloat16hLi128ELi32ELi128ELNS_18Fp8KVCacheDataTypeE1ELb0ELi512EEEvPfS3_PT_PKS4_PKT0_SA_ifPKiSC_iPKfiiiSE_SE_iiiii@rel32@hi+12
	s_waitcnt lgkmcnt(0)
	v_dual_mov_b32 v0, s24 :: v_dual_mov_b32 v1, s25
	v_dual_mov_b32 v2, s26 :: v_dual_mov_b32 v3, s27
	;; [unrolled: 1-line block ×14, first 2 shown]
	s_swappc_b64 s[30:31], s[0:1]
	s_endpgm
	.section	.rodata,"a",@progbits
	.p2align	6, 0x0
	.amdhsa_kernel _ZN4vllm25paged_attention_v2_kernelI14__hip_bfloat16hLi128ELi32ELi128ELNS_18Fp8KVCacheDataTypeE1ELb0ELi512EEEvPfS3_PT_PKS4_PKT0_SA_ifPKiSC_iPKfiiiSE_SE_iiiii
		.amdhsa_group_segment_fixed_size 288
		.amdhsa_private_segment_fixed_size 764
		.amdhsa_kernarg_size 400
		.amdhsa_user_sgpr_count 13
		.amdhsa_user_sgpr_dispatch_ptr 0
		.amdhsa_user_sgpr_queue_ptr 0
		.amdhsa_user_sgpr_kernarg_segment_ptr 1
		.amdhsa_user_sgpr_dispatch_id 0
		.amdhsa_user_sgpr_private_segment_size 0
		.amdhsa_wavefront_size32 1
		.amdhsa_uses_dynamic_stack 0
		.amdhsa_enable_private_segment 1
		.amdhsa_system_sgpr_workgroup_id_x 1
		.amdhsa_system_sgpr_workgroup_id_y 1
		.amdhsa_system_sgpr_workgroup_id_z 1
		.amdhsa_system_sgpr_workgroup_info 0
		.amdhsa_system_vgpr_workitem_id 0
		.amdhsa_next_free_vgpr 192
		.amdhsa_next_free_sgpr 44
		.amdhsa_reserve_vcc 1
		.amdhsa_float_round_mode_32 0
		.amdhsa_float_round_mode_16_64 0
		.amdhsa_float_denorm_mode_32 3
		.amdhsa_float_denorm_mode_16_64 3
		.amdhsa_dx10_clamp 1
		.amdhsa_ieee_mode 1
		.amdhsa_fp16_overflow 0
		.amdhsa_workgroup_processor_mode 1
		.amdhsa_memory_ordered 1
		.amdhsa_forward_progress 0
		.amdhsa_shared_vgpr_count 0
		.amdhsa_exception_fp_ieee_invalid_op 0
		.amdhsa_exception_fp_denorm_src 0
		.amdhsa_exception_fp_ieee_div_zero 0
		.amdhsa_exception_fp_ieee_overflow 0
		.amdhsa_exception_fp_ieee_underflow 0
		.amdhsa_exception_fp_ieee_inexact 0
		.amdhsa_exception_int_div_zero 0
	.end_amdhsa_kernel
	.section	.text._ZN4vllm25paged_attention_v2_kernelI14__hip_bfloat16hLi128ELi32ELi128ELNS_18Fp8KVCacheDataTypeE1ELb0ELi512EEEvPfS3_PT_PKS4_PKT0_SA_ifPKiSC_iPKfiiiSE_SE_iiiii,"axG",@progbits,_ZN4vllm25paged_attention_v2_kernelI14__hip_bfloat16hLi128ELi32ELi128ELNS_18Fp8KVCacheDataTypeE1ELb0ELi512EEEvPfS3_PT_PKS4_PKT0_SA_ifPKiSC_iPKfiiiSE_SE_iiiii,comdat
.Lfunc_end465:
	.size	_ZN4vllm25paged_attention_v2_kernelI14__hip_bfloat16hLi128ELi32ELi128ELNS_18Fp8KVCacheDataTypeE1ELb0ELi512EEEvPfS3_PT_PKS4_PKT0_SA_ifPKiSC_iPKfiiiSE_SE_iiiii, .Lfunc_end465-_ZN4vllm25paged_attention_v2_kernelI14__hip_bfloat16hLi128ELi32ELi128ELNS_18Fp8KVCacheDataTypeE1ELb0ELi512EEEvPfS3_PT_PKS4_PKT0_SA_ifPKiSC_iPKfiiiSE_SE_iiiii
                                        ; -- End function
	.section	.AMDGPU.csdata,"",@progbits
; Kernel info:
; codeLenInByte = 232
; NumSgprs: 46
; NumVgprs: 192
; ScratchSize: 764
; MemoryBound: 0
; FloatMode: 240
; IeeeMode: 1
; LDSByteSize: 288 bytes/workgroup (compile time only)
; SGPRBlocks: 5
; VGPRBlocks: 23
; NumSGPRsForWavesPerEU: 46
; NumVGPRsForWavesPerEU: 192
; Occupancy: 8
; WaveLimiterHint : 1
; COMPUTE_PGM_RSRC2:SCRATCH_EN: 1
; COMPUTE_PGM_RSRC2:USER_SGPR: 13
; COMPUTE_PGM_RSRC2:TRAP_HANDLER: 0
; COMPUTE_PGM_RSRC2:TGID_X_EN: 1
; COMPUTE_PGM_RSRC2:TGID_Y_EN: 1
; COMPUTE_PGM_RSRC2:TGID_Z_EN: 1
; COMPUTE_PGM_RSRC2:TIDIG_COMP_CNT: 0
	.text
	.p2align	2                               ; -- Begin function _ZN4vllm22paged_attention_kernelI14__hip_bfloat16hLi192ELi32ELi128ELNS_18Fp8KVCacheDataTypeE1ELb0ELi512EEEvPfS3_PT_PKS4_PKT0_SA_ifPKiSC_iPKfiiiSE_SE_iiiii
	.type	_ZN4vllm22paged_attention_kernelI14__hip_bfloat16hLi192ELi32ELi128ELNS_18Fp8KVCacheDataTypeE1ELb0ELi512EEEvPfS3_PT_PKS4_PKT0_SA_ifPKiSC_iPKfiiiSE_SE_iiiii,@function
_ZN4vllm22paged_attention_kernelI14__hip_bfloat16hLi192ELi32ELi128ELNS_18Fp8KVCacheDataTypeE1ELb0ELi512EEEvPfS3_PT_PKS4_PKT0_SA_ifPKiSC_iPKfiiiSE_SE_iiiii: ; @_ZN4vllm22paged_attention_kernelI14__hip_bfloat16hLi192ELi32ELi128ELNS_18Fp8KVCacheDataTypeE1ELb0ELi512EEEvPfS3_PT_PKS4_PKT0_SA_ifPKiSC_iPKfiiiSE_SE_iiiii
; %bb.0:
	s_waitcnt vmcnt(0) expcnt(0) lgkmcnt(0)
	s_clause 0x1f
	scratch_store_b32 off, v40, s32 offset:316
	; meta instruction
	scratch_store_b32 off, v41, s32 offset:312
	; meta instruction
	;; [unrolled: 2-line block ×31, first 2 shown]
	scratch_store_b32 off, v95, s32 offset:192
	s_clause 0x1f
	scratch_store_b32 off, v104, s32 offset:188
	; meta instruction
	scratch_store_b32 off, v105, s32 offset:184
	; meta instruction
	;; [unrolled: 2-line block ×31, first 2 shown]
	scratch_store_b32 off, v159, s32 offset:64
	s_clause 0xf
	scratch_store_b32 off, v168, s32 offset:60
	; meta instruction
	scratch_store_b32 off, v169, s32 offset:56
	; meta instruction
	;; [unrolled: 2-line block ×15, first 2 shown]
	scratch_store_b32 off, v191, s32
	s_mov_b32 s4, s13
	s_ashr_i32 s5, s13, 31
	s_clause 0x4
	scratch_store_b64 off, v[24:25], s32 offset:392
	scratch_store_b32 off, v22, s32 offset:320
	scratch_store_b32 off, v13, s32 offset:400
	;; [unrolled: 1-line block ×4, first 2 shown]
	s_lshl_b64 s[0:1], s[4:5], 2
	v_mov_b32_e32 v24, v0
	v_add_co_u32 v0, vcc_lo, v16, s0
	v_mov_b32_e32 v22, v1
	v_add_co_ci_u32_e32 v1, vcc_lo, s1, v17, vcc_lo
	v_dual_mov_b32 v25, v3 :: v_dual_mov_b32 v28, v2
	s_lshl_b32 s17, s14, 9
	flat_load_b32 v36, v[0:1]
	s_mov_b32 s5, exec_lo
	s_waitcnt vmcnt(0) lgkmcnt(0)
	v_cmpx_lt_i32_e64 s17, v36
	s_cbranch_execnz .LBB466_1
; %bb.5692:
	s_getpc_b64 s[22:23]
.Lpost_getpc6:
	s_add_u32 s22, s22, (.LBB466_5645-.Lpost_getpc6)&4294967295
	s_addc_u32 s23, s23, (.LBB466_5645-.Lpost_getpc6)>>32
	s_setpc_b64 s[22:23]
.LBB466_1:
	v_sub_nc_u32_e32 v0, 0, v12
	s_clause 0x1
	s_load_b32 s0, s[8:9], 0x10
	s_load_b32 s1, s[8:9], 0x0
	s_mov_b32 s10, s15
	v_max_i32_e32 v0, v12, v0
	s_delay_alu instid0(VALU_DEP_1) | instskip(SKIP_1) | instid1(VALU_DEP_2)
	v_cvt_f32_u32_e32 v1, v0
	v_sub_nc_u32_e32 v2, 0, v0
	v_rcp_iflag_f32_e32 v1, v1
	s_waitcnt lgkmcnt(0)
	s_lshr_b32 s0, s0, 16
	s_delay_alu instid0(SALU_CYCLE_1)
	s_cmp_lg_u32 s0, 0
	s_cselect_b32 s0, -1, 0
	s_waitcnt_depctr 0xfff
	v_mul_f32_e32 v1, 0x4f7ffffe, v1
	s_cmp_lg_u32 s0, 0
	s_addc_u32 s16, s1, 0
	s_mov_b32 s1, exec_lo
	s_delay_alu instid0(VALU_DEP_1) | instskip(SKIP_1) | instid1(VALU_DEP_1)
	v_cvt_u32_f32_e32 v1, v1
	s_abs_i32 s0, s16
	v_mul_lo_u32 v2, v2, v1
	s_delay_alu instid0(VALU_DEP_1) | instskip(NEXT) | instid1(VALU_DEP_1)
	v_mul_hi_u32 v2, v1, v2
	v_add_nc_u32_e32 v1, v1, v2
	s_delay_alu instid0(VALU_DEP_1) | instskip(NEXT) | instid1(VALU_DEP_1)
	v_mul_hi_u32 v1, s0, v1
	v_mul_lo_u32 v2, v1, v0
	v_add_nc_u32_e32 v3, 1, v1
	s_delay_alu instid0(VALU_DEP_2) | instskip(SKIP_1) | instid1(VALU_DEP_1)
	v_sub_nc_u32_e32 v2, s0, v2
	s_abs_i32 s0, s12
	v_sub_nc_u32_e32 v4, v2, v0
	v_cmp_ge_u32_e32 vcc_lo, v2, v0
	s_delay_alu instid0(VALU_DEP_2) | instskip(SKIP_1) | instid1(VALU_DEP_2)
	v_dual_cndmask_b32 v1, v1, v3 :: v_dual_cndmask_b32 v2, v2, v4
	v_xor_b32_e32 v3, s16, v12
	v_add_nc_u32_e32 v4, 1, v1
	s_delay_alu instid0(VALU_DEP_3) | instskip(NEXT) | instid1(VALU_DEP_3)
	v_cmp_ge_u32_e32 vcc_lo, v2, v0
	v_ashrrev_i32_e32 v3, 31, v3
	s_delay_alu instid0(VALU_DEP_3) | instskip(NEXT) | instid1(VALU_DEP_1)
	v_cndmask_b32_e32 v0, v1, v4, vcc_lo
	v_xor_b32_e32 v0, v0, v3
	s_delay_alu instid0(VALU_DEP_1) | instskip(NEXT) | instid1(VALU_DEP_1)
	v_sub_nc_u32_e32 v1, v0, v3
	v_sub_nc_u32_e32 v0, 0, v1
	s_delay_alu instid0(VALU_DEP_1) | instskip(NEXT) | instid1(VALU_DEP_1)
	v_max_i32_e32 v0, v1, v0
	v_cvt_f32_u32_e32 v2, v0
	v_sub_nc_u32_e32 v3, 0, v0
	s_delay_alu instid0(VALU_DEP_2) | instskip(SKIP_2) | instid1(VALU_DEP_1)
	v_rcp_iflag_f32_e32 v2, v2
	s_waitcnt_depctr 0xfff
	v_mul_f32_e32 v2, 0x4f7ffffe, v2
	v_cvt_u32_f32_e32 v2, v2
	s_delay_alu instid0(VALU_DEP_1) | instskip(NEXT) | instid1(VALU_DEP_1)
	v_mul_lo_u32 v3, v3, v2
	v_mul_hi_u32 v3, v2, v3
	s_delay_alu instid0(VALU_DEP_1) | instskip(NEXT) | instid1(VALU_DEP_1)
	v_add_nc_u32_e32 v2, v2, v3
	v_mad_u64_u32 v[16:17], null, s0, v2, 0
	v_mov_b32_e32 v2, 0
	scratch_store_b32 off, v2, s32 offset:404 ; 4-byte Folded Spill
	v_cmpx_ne_u64_e32 0, v[19:20]
	s_cbranch_execz .LBB466_3
; %bb.2:
	s_ashr_i32 s13, s12, 31
	s_delay_alu instid0(SALU_CYCLE_1) | instskip(NEXT) | instid1(SALU_CYCLE_1)
	s_lshl_b64 s[2:3], s[12:13], 2
	v_add_co_u32 v2, vcc_lo, v19, s2
	v_add_co_ci_u32_e32 v3, vcc_lo, s3, v20, vcc_lo
	flat_load_b32 v2, v[2:3]
	s_waitcnt vmcnt(0) lgkmcnt(0)
	scratch_store_b32 off, v2, s32 offset:404 ; 4-byte Folded Spill
.LBB466_3:
	s_or_b32 exec_lo, exec_lo, s1
	v_and_b32_e32 v12, 0x3ff, v31
	v_ashrrev_i32_e32 v1, 31, v1
	s_ashr_i32 s1, s12, 31
	s_mul_i32 s6, s12, 0xc0
	s_mov_b32 s2, exec_lo
	v_cmpx_gt_u32_e32 24, v12
	s_cbranch_execz .LBB466_5
; %bb.4:
	v_mul_lo_u32 v2, s4, v21
	s_ashr_i32 s7, s6, 31
	v_lshlrev_b32_e32 v13, 4, v12
	s_lshl_b64 s[18:19], s[6:7], 1
	s_delay_alu instid0(VALU_DEP_2) | instskip(NEXT) | instid1(VALU_DEP_1)
	v_ashrrev_i32_e32 v3, 31, v2
	v_lshlrev_b64 v[2:3], 1, v[2:3]
	s_delay_alu instid0(VALU_DEP_1) | instskip(NEXT) | instid1(VALU_DEP_2)
	v_add_co_u32 v2, vcc_lo, v6, v2
	v_add_co_ci_u32_e32 v3, vcc_lo, v7, v3, vcc_lo
	s_delay_alu instid0(VALU_DEP_2) | instskip(NEXT) | instid1(VALU_DEP_2)
	v_add_co_u32 v2, vcc_lo, v2, s18
	v_add_co_ci_u32_e32 v3, vcc_lo, s19, v3, vcc_lo
	s_delay_alu instid0(VALU_DEP_2) | instskip(NEXT) | instid1(VALU_DEP_2)
	v_add_co_u32 v2, vcc_lo, v2, v13
	v_add_co_ci_u32_e32 v3, vcc_lo, 0, v3, vcc_lo
	flat_load_b128 v[2:5], v[2:3]
	s_waitcnt vmcnt(0) lgkmcnt(0)
	ds_store_b128 v13, v[2:5]
.LBB466_5:
	s_or_b32 exec_lo, exec_lo, s2
	v_mul_lo_u32 v2, v17, v0
	v_add_nc_u32_e32 v3, 1, v17
	v_xor_b32_e32 v1, s1, v1
	s_clause 0x1
	s_load_b32 s13, s[8:9], 0x14
	s_load_b32 s7, s[8:9], 0x8
	s_lshl_b32 s3, s14, 4
	v_mov_b32_e32 v87, 0xff7fffff
	v_sub_nc_u32_e32 v2, s0, v2
	s_add_i32 s0, s3, 16
	s_delay_alu instid0(VALU_DEP_1) | instskip(SKIP_2) | instid1(VALU_DEP_3)
	v_sub_nc_u32_e32 v5, v2, v0
	v_cmp_ge_u32_e32 vcc_lo, v2, v0
	v_dual_cndmask_b32 v3, v17, v3 :: v_dual_add_nc_u32 v4, 31, v36
	v_cndmask_b32_e32 v2, v2, v5, vcc_lo
	s_delay_alu instid0(VALU_DEP_2) | instskip(NEXT) | instid1(VALU_DEP_3)
	v_ashrrev_i32_e32 v6, 31, v4
	v_add_nc_u32_e32 v5, 1, v3
	s_delay_alu instid0(VALU_DEP_3) | instskip(NEXT) | instid1(VALU_DEP_3)
	v_cmp_ge_u32_e32 vcc_lo, v2, v0
	v_lshrrev_b32_e32 v6, 27, v6
	v_mul_lo_u32 v0, s4, v18
	s_delay_alu instid0(VALU_DEP_2) | instskip(SKIP_1) | instid1(VALU_DEP_2)
	v_dual_cndmask_b32 v2, v3, v5 :: v_dual_add_nc_u32 v3, v4, v6
	v_lshrrev_b32_e32 v4, 5, v12
	v_xor_b32_e32 v2, v2, v1
	s_delay_alu instid0(VALU_DEP_3) | instskip(NEXT) | instid1(VALU_DEP_3)
	v_ashrrev_i32_e32 v13, 5, v3
	v_add_nc_u32_e32 v16, s3, v4
	s_delay_alu instid0(VALU_DEP_3) | instskip(SKIP_1) | instid1(VALU_DEP_4)
	v_sub_nc_u32_e32 v2, v2, v1
	v_ashrrev_i32_e32 v1, 31, v0
	v_min_i32_e32 v3, s0, v13
	s_delay_alu instid0(VALU_DEP_4) | instskip(NEXT) | instid1(VALU_DEP_4)
	v_ashrrev_i32_e32 v17, 31, v16
	v_mul_lo_u32 v18, v2, v23
	v_and_b32_e32 v2, 31, v12
	v_lshlrev_b64 v[80:81], 2, v[0:1]
	v_cmp_ge_i32_e64 s0, v16, v3
	s_clause 0x2
	scratch_store_b32 off, v3, s32 offset:324
	scratch_store_b32 off, v4, s32 offset:1196
	;; [unrolled: 1-line block ×3, first 2 shown]
	v_lshlrev_b32_e32 v23, 2, v2
	v_ashrrev_i32_e32 v20, 31, v18
	v_cmp_lt_i32_e32 vcc_lo, v16, v3
	s_waitcnt lgkmcnt(0)
	s_waitcnt_vscnt null, 0x0
	s_barrier
	buffer_gl0_inv
	s_mov_b32 s15, exec_lo
	s_delay_alu instid0(SALU_CYCLE_1)
	s_and_b32 s1, s15, vcc_lo
	scratch_store_b32 off, v12, s32 offset:1188 ; 4-byte Folded Spill
	s_mov_b32 exec_lo, s1
	s_cbranch_execz .LBB466_2313
; %bb.6:
	v_mov_b32_e32 v19, 0
	s_clause 0x7
	scratch_store_b32 off, v13, s32 offset:1256
	scratch_store_b32 off, v28, s32 offset:1244
	;; [unrolled: 1-line block ×7, first 2 shown]
	scratch_store_b64 off, v[26:27], s32 offset:1216
	s_getpc_b64 s[8:9]
	s_add_u32 s8, s8, llvm.amdgcn.dynlds.offset.table@rel32@lo+4
	s_addc_u32 s9, s9, llvm.amdgcn.dynlds.offset.table@rel32@hi+12
	s_ashr_i32 s11, s10, 31
	ds_load_b128 v[0:3], v19
	ds_load_b128 v[4:7], v19 offset:16
	s_lshl_b64 s[18:19], s[10:11], 2
	s_mov_b32 s11, 0
	s_add_u32 s8, s18, s8
	s_addc_u32 s9, s19, s9
	v_mov_b32_e32 v99, v16
	v_mov_b32_e32 v87, 0xff7fffff
	s_clause 0x2
	scratch_store_b64 off, v[80:81], s32 offset:1248
	scratch_store_b32 off, v18, s32 offset:1260
	scratch_store_b32 off, v20, s32 offset:1264
	s_waitcnt lgkmcnt(1)
	v_lshlrev_b32_e32 v10, 16, v0
	v_and_b32_e32 v0, 0xffff0000, v0
	s_clause 0x1
	scratch_store_b32 off, v10, s32 offset:408
	scratch_store_b32 off, v0, s32 offset:412
	v_lshlrev_b32_e32 v0, 16, v1
	scratch_store_b32 off, v0, s32 offset:416 ; 4-byte Folded Spill
	v_and_b32_e32 v0, 0xffff0000, v1
	scratch_store_b32 off, v0, s32 offset:420 ; 4-byte Folded Spill
	v_lshlrev_b32_e32 v0, 16, v2
	scratch_store_b32 off, v0, s32 offset:424 ; 4-byte Folded Spill
	v_and_b32_e32 v0, 0xffff0000, v2
	scratch_store_b32 off, v0, s32 offset:428 ; 4-byte Folded Spill
	;; [unrolled: 4-line block ×3, first 2 shown]
	s_waitcnt lgkmcnt(0)
	v_lshlrev_b32_e32 v0, 16, v4
	scratch_store_b32 off, v0, s32 offset:440 ; 4-byte Folded Spill
	v_and_b32_e32 v0, 0xffff0000, v4
	scratch_store_b32 off, v0, s32 offset:444 ; 4-byte Folded Spill
	v_lshlrev_b32_e32 v0, 16, v5
	scratch_store_b32 off, v0, s32 offset:448 ; 4-byte Folded Spill
	v_and_b32_e32 v0, 0xffff0000, v5
	scratch_load_b32 v5, off, s32 offset:1192 ; 4-byte Folded Reload
	scratch_store_b32 off, v0, s32 offset:452 ; 4-byte Folded Spill
	v_lshlrev_b32_e32 v0, 16, v6
	scratch_store_b32 off, v0, s32 offset:456 ; 4-byte Folded Spill
	v_and_b32_e32 v0, 0xffff0000, v6
	scratch_store_b32 off, v0, s32 offset:460 ; 4-byte Folded Spill
	v_lshlrev_b32_e32 v0, 16, v7
	scratch_store_b32 off, v0, s32 offset:464 ; 4-byte Folded Spill
	v_and_b32_e32 v0, 0xffff0000, v7
	scratch_store_b32 off, v0, s32 offset:468 ; 4-byte Folded Spill
	ds_load_b128 v[0:3], v19 offset:32
	s_waitcnt lgkmcnt(0)
	v_lshlrev_b32_e32 v4, 16, v0
	v_and_b32_e32 v0, 0xffff0000, v0
	s_clause 0x1
	scratch_store_b32 off, v4, s32 offset:472
	scratch_store_b32 off, v0, s32 offset:476
	v_lshlrev_b32_e32 v0, 16, v1
	scratch_store_b32 off, v0, s32 offset:480 ; 4-byte Folded Spill
	v_and_b32_e32 v0, 0xffff0000, v1
	scratch_store_b32 off, v0, s32 offset:484 ; 4-byte Folded Spill
	v_lshlrev_b32_e32 v0, 16, v2
	scratch_store_b32 off, v0, s32 offset:488 ; 4-byte Folded Spill
	v_and_b32_e32 v0, 0xffff0000, v2
	scratch_store_b32 off, v0, s32 offset:492 ; 4-byte Folded Spill
	v_lshlrev_b32_e32 v0, 16, v3
	scratch_store_b32 off, v0, s32 offset:496 ; 4-byte Folded Spill
	v_and_b32_e32 v0, 0xffff0000, v3
	scratch_store_b32 off, v0, s32 offset:500 ; 4-byte Folded Spill
	ds_load_b128 v[0:3], v19 offset:48
	s_waitcnt lgkmcnt(0)
	v_lshlrev_b32_e32 v4, 16, v0
	v_and_b32_e32 v0, 0xffff0000, v0
	s_clause 0x1
	scratch_store_b32 off, v4, s32 offset:504
	scratch_store_b32 off, v0, s32 offset:508
	v_lshlrev_b32_e32 v0, 16, v1
	scratch_store_b32 off, v0, s32 offset:512 ; 4-byte Folded Spill
	v_and_b32_e32 v0, 0xffff0000, v1
	;; [unrolled: 19-line block ×21, first 2 shown]
	scratch_store_b32 off, v0, s32 offset:1128 ; 4-byte Folded Spill
	v_lshlrev_b32_e32 v0, 16, v2
	scratch_store_b32 off, v0, s32 offset:1132 ; 4-byte Folded Spill
	v_and_b32_e32 v0, 0xffff0000, v2
	scratch_store_b32 off, v0, s32 offset:1136 ; 4-byte Folded Spill
	v_lshlrev_b32_e32 v0, 16, v3
	scratch_store_b32 off, v0, s32 offset:1140 ; 4-byte Folded Spill
	v_and_b32_e32 v0, 0xffff0000, v3
	scratch_store_b32 off, v0, s32 offset:1144 ; 4-byte Folded Spill
	ds_load_b128 v[0:3], v19 offset:368
	s_waitcnt lgkmcnt(0)
	v_lshlrev_b32_e32 v4, 16, v0
	v_and_b32_e32 v0, 0xffff0000, v0
	s_clause 0x1
	scratch_store_b32 off, v4, s32 offset:1148
	scratch_store_b32 off, v0, s32 offset:1152
	v_lshlrev_b32_e32 v0, 16, v1
	s_waitcnt vmcnt(0)
	v_lshlrev_b32_e32 v4, 4, v5
	scratch_store_b32 off, v0, s32 offset:1156 ; 4-byte Folded Spill
	v_and_b32_e32 v0, 0xffff0000, v1
	scratch_store_b32 off, v0, s32 offset:1160 ; 4-byte Folded Spill
	v_lshlrev_b32_e32 v0, 16, v2
	scratch_store_b32 off, v0, s32 offset:1164 ; 4-byte Folded Spill
	v_and_b32_e32 v0, 0xffff0000, v2
	scratch_store_b32 off, v0, s32 offset:1168 ; 4-byte Folded Spill
	;; [unrolled: 4-line block ×3, first 2 shown]
	v_lshlrev_b64 v[0:1], 2, v[16:17]
	s_delay_alu instid0(VALU_DEP_1) | instskip(NEXT) | instid1(VALU_DEP_2)
	v_add_co_u32 v0, vcc_lo, v80, v0
	v_add_co_ci_u32_e32 v1, vcc_lo, v81, v1, vcc_lo
	v_add_co_u32 v2, vcc_lo, v8, v18
	v_add_co_ci_u32_e32 v3, vcc_lo, v9, v20, vcc_lo
	s_delay_alu instid0(VALU_DEP_2) | instskip(NEXT) | instid1(VALU_DEP_2)
	v_add_co_u32 v2, vcc_lo, v2, v4
	v_add_co_ci_u32_e32 v3, vcc_lo, 0, v3, vcc_lo
	v_add_co_u32 v20, vcc_lo, v14, v0
	s_clause 0x1
	scratch_store_b64 off, v[2:3], s32 offset:1180
	scratch_store_b32 off, v14, s32 offset:1212
	v_add_co_ci_u32_e32 v21, vcc_lo, v15, v1, vcc_lo
	s_clause 0x1
	scratch_load_b32 v0, off, s32 offset:404
	scratch_load_b32 v1, off, s32 offset:1196
	s_load_b32 s1, s[8:9], 0x0
	s_mov_b32 s8, -1
	s_mov_b32 s9, 0xffffff
	s_clause 0x1
	scratch_store_b32 off, v15, s32 offset:1208
	scratch_store_b32 off, v23, s32 offset:1268
	s_waitcnt vmcnt(1)
	v_cmp_neq_f32_e32 vcc_lo, 0, v0
	s_waitcnt vmcnt(0)
	v_lshlrev_b32_e32 v0, 5, v1
	s_delay_alu instid0(VALU_DEP_1) | instskip(SKIP_2) | instid1(VALU_DEP_1)
	v_add3_u32 v96, s17, v0, v5
	v_lshl_or_b32 v0, v1, 7, v23
	s_waitcnt lgkmcnt(0)
	v_add_nc_u32_e32 v97, s1, v0
	s_branch .LBB466_8
.LBB466_7:                              ;   in Loop: Header=BB466_8 Depth=1
	s_or_b32 exec_lo, exec_lo, s2
	scratch_load_b32 v31, off, s32 offset:440 ; 4-byte Folded Reload
	v_and_b32_e32 v28, 0xffff0000, v133
	scratch_load_b32 v29, off, s32 offset:344 ; 4-byte Folded Reload
	v_and_b32_e32 v4, 0xffff0000, v4
	v_and_b32_e32 v1, 0xffff0000, v1
	;; [unrolled: 1-line block ×4, first 2 shown]
	v_cmp_lt_i32_e64 s1, v96, v36
	v_add_nc_u32_e32 v99, 4, v99
	v_add_co_u32 v20, s2, v20, 16
	s_delay_alu instid0(VALU_DEP_1)
	v_add_co_ci_u32_e64 v21, s2, 0, v21, s2
	s_clause 0x3
	scratch_load_b32 v102, off, s32 offset:444
	scratch_load_b32 v131, off, s32 offset:448
	scratch_load_b32 v132, off, s32 offset:452
	scratch_load_b32 v133, off, s32 offset:456
	v_and_b32_e32 v38, 0xffff0000, v38
	v_and_b32_e32 v2, 0xffff0000, v2
	s_waitcnt vmcnt(5)
	v_mul_f32_e32 v28, v31, v28
	scratch_load_b32 v31, off, s32 offset:408 ; 4-byte Folded Reload
	s_waitcnt vmcnt(5)
	v_and_b32_e32 v29, 0xffff0000, v29
	s_waitcnt vmcnt(0)
	s_delay_alu instid0(VALU_DEP_1)
	v_dual_fmac_f32 v28, v31, v29 :: v_dual_and_b32 v31, 0xffff0000, v134
	s_clause 0x1
	scratch_load_b32 v29, off, s32 offset:348
	scratch_load_b32 v134, off, s32 offset:460
	s_waitcnt vmcnt(1)
	v_and_b32_e32 v29, 0xffff0000, v29
	s_delay_alu instid0(VALU_DEP_1)
	v_mul_f32_e32 v29, v102, v29
	scratch_load_b32 v102, off, s32 offset:412 ; 4-byte Folded Reload
	s_waitcnt vmcnt(0)
	v_fmac_f32_e32 v29, v102, v31
	v_and_b32_e32 v102, 0xffff0000, v135
	s_clause 0x1
	scratch_load_b32 v31, off, s32 offset:352
	scratch_load_b32 v135, off, s32 offset:464
	s_waitcnt vmcnt(1)
	v_and_b32_e32 v31, 0xffff0000, v31
	s_delay_alu instid0(VALU_DEP_1)
	v_mul_f32_e32 v31, v131, v31
	scratch_load_b32 v131, off, s32 offset:416 ; 4-byte Folded Reload
	s_waitcnt vmcnt(0)
	v_fmac_f32_e32 v31, v131, v102
	scratch_load_b32 v102, off, s32 offset:356 ; 4-byte Folded Reload
	v_and_b32_e32 v131, 0xffff0000, v144
	scratch_load_b32 v144, off, s32 offset:468 ; 4-byte Folded Reload
	s_waitcnt vmcnt(1)
	v_and_b32_e32 v102, 0xffff0000, v102
	s_delay_alu instid0(VALU_DEP_1)
	v_mul_f32_e32 v102, v132, v102
	scratch_load_b32 v132, off, s32 offset:420 ; 4-byte Folded Reload
	s_waitcnt vmcnt(0)
	v_fmac_f32_e32 v102, v132, v131
	s_clause 0x1
	scratch_load_b32 v131, off, s32 offset:360
	scratch_load_b32 v132, off, s32 offset:328
	s_waitcnt vmcnt(1)
	v_and_b32_e32 v131, 0xffff0000, v131
	s_waitcnt vmcnt(0)
	s_delay_alu instid0(VALU_DEP_1)
	v_dual_mul_f32 v131, v133, v131 :: v_dual_and_b32 v132, 0xffff0000, v132
	scratch_load_b32 v133, off, s32 offset:424 ; 4-byte Folded Reload
	s_waitcnt vmcnt(0)
	v_fmac_f32_e32 v131, v133, v132
	s_clause 0x1
	scratch_load_b32 v132, off, s32 offset:364
	scratch_load_b32 v133, off, s32 offset:332
	s_waitcnt vmcnt(1)
	v_and_b32_e32 v132, 0xffff0000, v132
	s_waitcnt vmcnt(0)
	s_delay_alu instid0(VALU_DEP_1)
	v_dual_mul_f32 v132, v134, v132 :: v_dual_and_b32 v133, 0xffff0000, v133
	;; [unrolled: 11-line block ×4, first 2 shown]
	scratch_load_b32 v144, off, s32 offset:436 ; 4-byte Folded Reload
	s_waitcnt vmcnt(0)
	v_fmac_f32_e32 v134, v144, v135
	s_clause 0x1
	scratch_load_b32 v135, off, s32 offset:376
	scratch_load_b32 v144, off, s32 offset:472
	s_waitcnt vmcnt(1)
	v_and_b32_e32 v135, 0xffff0000, v135
	s_waitcnt vmcnt(0)
	s_delay_alu instid0(VALU_DEP_1)
	v_fmac_f32_e32 v28, v144, v135
	s_clause 0x1
	scratch_load_b32 v135, off, s32 offset:380
	scratch_load_b32 v144, off, s32 offset:476
	s_waitcnt vmcnt(1)
	v_and_b32_e32 v135, 0xffff0000, v135
	s_waitcnt vmcnt(0)
	s_delay_alu instid0(VALU_DEP_1)
	;; [unrolled: 8-line block ×3, first 2 shown]
	v_fmac_f32_e32 v31, v144, v135
	s_clause 0x1
	scratch_load_b32 v135, off, s32 offset:388
	scratch_load_b32 v144, off, s32 offset:484
	s_waitcnt vmcnt(1)
	v_and_b32_e32 v135, 0xffff0000, v135
	s_waitcnt vmcnt(0)
	s_delay_alu instid0(VALU_DEP_1) | instskip(SKIP_3) | instid1(VALU_DEP_1)
	v_fmac_f32_e32 v102, v144, v135
	scratch_load_b32 v144, off, s32 offset:488 ; 4-byte Folded Reload
	v_and_b32_e32 v135, 0xffff0000, v145
	s_waitcnt vmcnt(0)
	v_fmac_f32_e32 v131, v144, v135
	scratch_load_b32 v144, off, s32 offset:492 ; 4-byte Folded Reload
	v_and_b32_e32 v135, 0xffff0000, v146
	s_waitcnt vmcnt(0)
	s_delay_alu instid0(VALU_DEP_1) | instskip(SKIP_3) | instid1(VALU_DEP_1)
	v_fmac_f32_e32 v132, v144, v135
	scratch_load_b32 v144, off, s32 offset:496 ; 4-byte Folded Reload
	v_and_b32_e32 v135, 0xffff0000, v147
	s_waitcnt vmcnt(0)
	v_fmac_f32_e32 v133, v144, v135
	scratch_load_b32 v144, off, s32 offset:500 ; 4-byte Folded Reload
	v_and_b32_e32 v135, 0xffff0000, v148
	s_waitcnt vmcnt(0)
	s_delay_alu instid0(VALU_DEP_1)
	v_dual_fmac_f32 v134, v144, v135 :: v_dual_and_b32 v135, 0xffff0000, v149
	scratch_load_b32 v144, off, s32 offset:504 ; 4-byte Folded Reload
	s_waitcnt vmcnt(0)
	v_dual_fmac_f32 v28, v144, v135 :: v_dual_and_b32 v135, 0xffff0000, v150
	scratch_load_b32 v144, off, s32 offset:508 ; 4-byte Folded Reload
	s_waitcnt vmcnt(0)
	v_fmac_f32_e32 v29, v144, v135
	scratch_load_b32 v144, off, s32 offset:512 ; 4-byte Folded Reload
	v_and_b32_e32 v135, 0xffff0000, v151
	s_waitcnt vmcnt(0)
	s_delay_alu instid0(VALU_DEP_1) | instskip(SKIP_3) | instid1(VALU_DEP_1)
	v_fmac_f32_e32 v31, v144, v135
	scratch_load_b32 v144, off, s32 offset:516 ; 4-byte Folded Reload
	v_and_b32_e32 v135, 0xffff0000, v160
	s_waitcnt vmcnt(0)
	v_dual_fmac_f32 v102, v144, v135 :: v_dual_and_b32 v135, 0xffff0000, v161
	scratch_load_b32 v144, off, s32 offset:520 ; 4-byte Folded Reload
	s_waitcnt vmcnt(0)
	v_fmac_f32_e32 v131, v144, v135
	scratch_load_b32 v144, off, s32 offset:524 ; 4-byte Folded Reload
	v_and_b32_e32 v135, 0xffff0000, v162
	s_waitcnt vmcnt(0)
	s_delay_alu instid0(VALU_DEP_1) | instskip(SKIP_3) | instid1(VALU_DEP_1)
	v_fmac_f32_e32 v132, v144, v135
	scratch_load_b32 v144, off, s32 offset:528 ; 4-byte Folded Reload
	v_and_b32_e32 v135, 0xffff0000, v163
	s_waitcnt vmcnt(0)
	v_fmac_f32_e32 v133, v144, v135
	scratch_load_b32 v144, off, s32 offset:532 ; 4-byte Folded Reload
	v_and_b32_e32 v135, 0xffff0000, v164
	s_waitcnt vmcnt(0)
	s_delay_alu instid0(VALU_DEP_1)
	v_dual_fmac_f32 v134, v144, v135 :: v_dual_and_b32 v135, 0xffff0000, v165
	scratch_load_b32 v144, off, s32 offset:536 ; 4-byte Folded Reload
	s_waitcnt vmcnt(0)
	v_dual_fmac_f32 v28, v144, v135 :: v_dual_and_b32 v135, 0xffff0000, v166
	scratch_load_b32 v144, off, s32 offset:540 ; 4-byte Folded Reload
	s_waitcnt vmcnt(0)
	v_fmac_f32_e32 v29, v144, v135
	scratch_load_b32 v144, off, s32 offset:548 ; 4-byte Folded Reload
	v_and_b32_e32 v135, 0xffff0000, v167
	s_waitcnt vmcnt(0)
	s_delay_alu instid0(VALU_DEP_1) | instskip(SKIP_3) | instid1(VALU_DEP_1)
	v_fmac_f32_e32 v31, v144, v135
	scratch_load_b32 v144, off, s32 offset:552 ; 4-byte Folded Reload
	v_and_b32_e32 v135, 0xffff0000, v176
	s_waitcnt vmcnt(0)
	v_dual_fmac_f32 v102, v144, v135 :: v_dual_and_b32 v135, 0xffff0000, v177
	scratch_load_b32 v144, off, s32 offset:556 ; 4-byte Folded Reload
	;; [unrolled: 32-line block ×11, first 2 shown]
	s_waitcnt vmcnt(0)
	v_fmac_f32_e32 v131, v144, v135
	scratch_load_b32 v144, off, s32 offset:848 ; 4-byte Folded Reload
	v_and_b32_e32 v135, 0xffff0000, v170
	s_waitcnt vmcnt(0)
	s_delay_alu instid0(VALU_DEP_1) | instskip(SKIP_3) | instid1(VALU_DEP_1)
	v_fmac_f32_e32 v132, v144, v135
	scratch_load_b32 v144, off, s32 offset:852 ; 4-byte Folded Reload
	v_and_b32_e32 v135, 0xffff0000, v171
	s_waitcnt vmcnt(0)
	v_fmac_f32_e32 v133, v144, v135
	v_and_b32_e32 v135, 0xffff0000, v172
	scratch_load_b32 v144, off, s32 offset:856 ; 4-byte Folded Reload
	s_waitcnt vmcnt(0)
	v_dual_fmac_f32 v134, v144, v135 :: v_dual_and_b32 v135, 0xffff0000, v173
	scratch_load_b32 v144, off, s32 offset:860 ; 4-byte Folded Reload
	s_waitcnt vmcnt(0)
	v_dual_fmac_f32 v28, v144, v135 :: v_dual_and_b32 v135, 0xffff0000, v174
	scratch_load_b32 v144, off, s32 offset:864 ; 4-byte Folded Reload
	s_waitcnt vmcnt(0)
	v_fmac_f32_e32 v29, v144, v135
	scratch_load_b32 v144, off, s32 offset:868 ; 4-byte Folded Reload
	v_and_b32_e32 v135, 0xffff0000, v175
	s_waitcnt vmcnt(0)
	s_delay_alu instid0(VALU_DEP_1) | instskip(SKIP_3) | instid1(VALU_DEP_1)
	v_fmac_f32_e32 v31, v144, v135
	scratch_load_b32 v144, off, s32 offset:872 ; 4-byte Folded Reload
	v_and_b32_e32 v135, 0xffff0000, v184
	s_waitcnt vmcnt(0)
	v_dual_fmac_f32 v102, v144, v135 :: v_dual_and_b32 v135, 0xffff0000, v185
	scratch_load_b32 v144, off, s32 offset:876 ; 4-byte Folded Reload
	s_waitcnt vmcnt(0)
	v_fmac_f32_e32 v131, v144, v135
	scratch_load_b32 v144, off, s32 offset:880 ; 4-byte Folded Reload
	v_and_b32_e32 v135, 0xffff0000, v186
	s_waitcnt vmcnt(0)
	s_delay_alu instid0(VALU_DEP_1) | instskip(SKIP_3) | instid1(VALU_DEP_1)
	v_fmac_f32_e32 v132, v144, v135
	scratch_load_b32 v144, off, s32 offset:884 ; 4-byte Folded Reload
	v_and_b32_e32 v135, 0xffff0000, v187
	s_waitcnt vmcnt(0)
	v_fmac_f32_e32 v133, v144, v135
	v_and_b32_e32 v135, 0xffff0000, v188
	scratch_load_b32 v144, off, s32 offset:888 ; 4-byte Folded Reload
	s_waitcnt vmcnt(0)
	v_dual_fmac_f32 v134, v144, v135 :: v_dual_and_b32 v135, 0xffff0000, v189
	scratch_load_b32 v144, off, s32 offset:892 ; 4-byte Folded Reload
	s_waitcnt vmcnt(0)
	v_dual_fmac_f32 v28, v144, v135 :: v_dual_and_b32 v135, 0xffff0000, v190
	scratch_load_b32 v144, off, s32 offset:896 ; 4-byte Folded Reload
	s_waitcnt vmcnt(0)
	v_fmac_f32_e32 v29, v144, v135
	scratch_load_b32 v144, off, s32 offset:900 ; 4-byte Folded Reload
	v_and_b32_e32 v135, 0xffff0000, v191
	s_waitcnt vmcnt(0)
	s_delay_alu instid0(VALU_DEP_1)
	v_fmac_f32_e32 v31, v144, v135
	scratch_load_b32 v135, off, s32 offset:904 ; 4-byte Folded Reload
	s_waitcnt vmcnt(0)
	v_fmac_f32_e32 v102, v135, v38
	scratch_load_b32 v38, off, s32 offset:908 ; 4-byte Folded Reload
	s_waitcnt vmcnt(0)
	v_fmac_f32_e32 v131, v38, v5
	v_and_b32_e32 v5, 0xffff0000, v22
	scratch_load_b32 v22, off, s32 offset:912 ; 4-byte Folded Reload
	s_waitcnt vmcnt(0)
	v_fmac_f32_e32 v132, v22, v5
	scratch_load_b32 v22, off, s32 offset:916 ; 4-byte Folded Reload
	v_and_b32_e32 v5, 0xffff0000, v37
	s_waitcnt vmcnt(0)
	s_delay_alu instid0(VALU_DEP_1)
	v_fmac_f32_e32 v133, v22, v5
	scratch_load_b32 v5, off, s32 offset:920 ; 4-byte Folded Reload
	s_waitcnt vmcnt(0)
	v_fmac_f32_e32 v134, v5, v4
	scratch_load_b32 v5, off, s32 offset:924 ; 4-byte Folded Reload
	v_and_b32_e32 v4, 0xffff0000, v35
	s_waitcnt vmcnt(0)
	s_delay_alu instid0(VALU_DEP_1)
	v_fmac_f32_e32 v28, v5, v4
	v_and_b32_e32 v4, 0xffff0000, v23
	scratch_load_b32 v5, off, s32 offset:928 ; 4-byte Folded Reload
	s_waitcnt vmcnt(0)
	v_fmac_f32_e32 v29, v5, v4
	scratch_load_b32 v5, off, s32 offset:932 ; 4-byte Folded Reload
	v_and_b32_e32 v4, 0xffff0000, v70
	s_waitcnt vmcnt(0)
	s_delay_alu instid0(VALU_DEP_1) | instskip(SKIP_3) | instid1(VALU_DEP_1)
	v_fmac_f32_e32 v31, v5, v4
	scratch_load_b32 v5, off, s32 offset:936 ; 4-byte Folded Reload
	v_and_b32_e32 v4, 0xffff0000, v12
	s_waitcnt vmcnt(0)
	v_fmac_f32_e32 v102, v5, v4
	scratch_load_b32 v5, off, s32 offset:940 ; 4-byte Folded Reload
	v_and_b32_e32 v4, 0xffff0000, v34
	s_waitcnt vmcnt(0)
	s_delay_alu instid0(VALU_DEP_1) | instskip(SKIP_3) | instid1(VALU_DEP_1)
	v_fmac_f32_e32 v131, v5, v4
	scratch_load_b32 v5, off, s32 offset:944 ; 4-byte Folded Reload
	v_and_b32_e32 v4, 0xffff0000, v6
	;; [unrolled: 9-line block ×3, first 2 shown]
	s_waitcnt vmcnt(0)
	v_fmac_f32_e32 v134, v5, v4
	scratch_load_b32 v5, off, s32 offset:956 ; 4-byte Folded Reload
	v_and_b32_e32 v4, 0xffff0000, v10
	s_waitcnt vmcnt(0)
	s_delay_alu instid0(VALU_DEP_1)
	v_fmac_f32_e32 v28, v5, v4
	scratch_load_b32 v4, off, s32 offset:960 ; 4-byte Folded Reload
	s_waitcnt vmcnt(0)
	v_dual_fmac_f32 v29, v4, v2 :: v_dual_and_b32 v2, 0xffff0000, v3
	scratch_load_b32 v3, off, s32 offset:964 ; 4-byte Folded Reload
	s_waitcnt vmcnt(0)
	v_fmac_f32_e32 v31, v3, v2
	scratch_load_b32 v3, off, s32 offset:968 ; 4-byte Folded Reload
	v_and_b32_e32 v2, 0xffff0000, v69
	s_waitcnt vmcnt(0)
	s_delay_alu instid0(VALU_DEP_1) | instskip(SKIP_3) | instid1(VALU_DEP_1)
	v_fmac_f32_e32 v102, v3, v2
	scratch_load_b32 v3, off, s32 offset:972 ; 4-byte Folded Reload
	v_and_b32_e32 v2, 0xffff0000, v15
	s_waitcnt vmcnt(0)
	v_fmac_f32_e32 v131, v3, v2
	scratch_load_b32 v3, off, s32 offset:976 ; 4-byte Folded Reload
	v_and_b32_e32 v2, 0xffff0000, v14
	s_waitcnt vmcnt(0)
	s_delay_alu instid0(VALU_DEP_1) | instskip(SKIP_3) | instid1(VALU_DEP_1)
	v_fmac_f32_e32 v132, v3, v2
	scratch_load_b32 v3, off, s32 offset:980 ; 4-byte Folded Reload
	v_and_b32_e32 v2, 0xffff0000, v48
	s_waitcnt vmcnt(0)
	v_fmac_f32_e32 v133, v3, v2
	scratch_load_b32 v2, off, s32 offset:984 ; 4-byte Folded Reload
	s_waitcnt vmcnt(0)
	v_fmac_f32_e32 v134, v2, v1
	s_clause 0x1
	scratch_load_b32 v1, off, s32 offset:988
	scratch_load_b32 v2, off, s32 offset:1160
	s_waitcnt vmcnt(1)
	v_fmac_f32_e32 v28, v1, v0
	scratch_load_b32 v1, off, s32 offset:992 ; 4-byte Folded Reload
	v_and_b32_e32 v0, 0xffff0000, v27
	s_waitcnt vmcnt(0)
	s_delay_alu instid0(VALU_DEP_1) | instskip(SKIP_3) | instid1(VALU_DEP_1)
	v_fmac_f32_e32 v29, v1, v0
	scratch_load_b32 v1, off, s32 offset:996 ; 4-byte Folded Reload
	v_and_b32_e32 v0, 0xffff0000, v26
	s_waitcnt vmcnt(0)
	v_fmac_f32_e32 v31, v1, v0
	scratch_load_b32 v1, off, s32 offset:1000 ; 4-byte Folded Reload
	v_and_b32_e32 v0, 0xffff0000, v49
	s_waitcnt vmcnt(0)
	s_delay_alu instid0(VALU_DEP_1) | instskip(SKIP_3) | instid1(VALU_DEP_1)
	v_fmac_f32_e32 v102, v1, v0
	scratch_load_b32 v1, off, s32 offset:1004 ; 4-byte Folded Reload
	v_and_b32_e32 v0, 0xffff0000, v50
	;; [unrolled: 9-line block ×20, first 2 shown]
	s_waitcnt vmcnt(0)
	v_fmac_f32_e32 v28, v1, v0
	scratch_load_b32 v1, off, s32 offset:1152 ; 4-byte Folded Reload
	v_and_b32_e32 v0, 0xffff0000, v118
	s_waitcnt vmcnt(0)
	s_delay_alu instid0(VALU_DEP_1) | instskip(SKIP_4) | instid1(VALU_DEP_1)
	v_dual_fmac_f32 v29, v1, v0 :: v_dual_and_b32 v0, 0xffff0000, v119
	scratch_load_b32 v1, off, s32 offset:1156 ; 4-byte Folded Reload
	s_waitcnt vmcnt(0)
	v_fmac_f32_e32 v31, v1, v0
	v_dual_add_f32 v0, v28, v29 :: v_dual_and_b32 v1, 0xffff0000, v128
	v_fmac_f32_e32 v102, v2, v1
	scratch_load_b32 v2, off, s32 offset:1164 ; 4-byte Folded Reload
	v_dual_add_f32 v0, v0, v31 :: v_dual_and_b32 v1, 0xffff0000, v129
	s_delay_alu instid0(VALU_DEP_1) | instskip(SKIP_1) | instid1(VALU_DEP_2)
	v_add_f32_e32 v0, v102, v0
	s_waitcnt vmcnt(0)
	v_fmac_f32_e32 v131, v2, v1
	scratch_load_b32 v2, off, s32 offset:1168 ; 4-byte Folded Reload
	v_dual_add_f32 v0, v131, v0 :: v_dual_and_b32 v1, 0xffff0000, v130
	s_waitcnt vmcnt(0)
	s_delay_alu instid0(VALU_DEP_1) | instskip(SKIP_3) | instid1(VALU_DEP_1)
	v_fmac_f32_e32 v132, v2, v1
	scratch_load_b32 v2, off, s32 offset:1172 ; 4-byte Folded Reload
	v_dual_add_f32 v0, v132, v0 :: v_dual_and_b32 v1, 0xffff0000, v30
	s_waitcnt vmcnt(0)
	v_fmac_f32_e32 v133, v2, v1
	scratch_load_b32 v2, off, s32 offset:1176 ; 4-byte Folded Reload
	v_dual_add_f32 v0, v133, v0 :: v_dual_and_b32 v1, 0xffff0000, v18
	s_waitcnt vmcnt(0)
	s_delay_alu instid0(VALU_DEP_1) | instskip(SKIP_3) | instid1(VALU_DEP_2)
	v_fmac_f32_e32 v134, v2, v1
	scratch_load_b32 v2, off, s32 offset:404 ; 4-byte Folded Reload
	v_sub_nc_u32_e32 v1, 1, v36
	v_add_f32_e32 v0, v134, v0
	v_add_nc_u32_e32 v1, v1, v96
	v_add_nc_u32_e32 v96, 0x80, v96
	s_delay_alu instid0(VALU_DEP_2) | instskip(SKIP_1) | instid1(VALU_DEP_1)
	v_cvt_f32_i32_e32 v1, v1
	s_waitcnt vmcnt(0)
	v_mul_f32_e32 v1, v2, v1
	scratch_load_b32 v2, off, s32 offset:400 ; 4-byte Folded Reload
	v_cndmask_b32_e32 v1, 0, v1, vcc_lo
	s_waitcnt vmcnt(0)
	s_delay_alu instid0(VALU_DEP_1) | instskip(NEXT) | instid1(VALU_DEP_1)
	v_dual_fmac_f32 v1, v0, v2 :: v_dual_max_f32 v0, v87, v87
	v_max_f32_e32 v0, v0, v1
	v_cndmask_b32_e64 v1, 0, v1, s1
	s_delay_alu instid0(VALU_DEP_2)
	v_cndmask_b32_e64 v87, v87, v0, s1
	scratch_load_b32 v0, off, s32 offset:324 ; 4-byte Folded Reload
	ds_store_b32 v97, v1
	v_add_nc_u32_e32 v97, 0x200, v97
	s_waitcnt vmcnt(0)
	v_cmp_ge_i32_e64 s1, v99, v0
	s_delay_alu instid0(VALU_DEP_1) | instskip(NEXT) | instid1(SALU_CYCLE_1)
	s_or_b32 s11, s1, s11
	s_and_not1_b32 exec_lo, exec_lo, s11
	s_cbranch_execz .LBB466_2312
.LBB466_8:                              ; =>This Inner Loop Header: Depth=1
	flat_load_b32 v0, v[20:21]
	s_clause 0x1
	scratch_load_b32 v1, off, s32 offset:320
	scratch_load_b64 v[2:3], off, s32 offset:1180
	s_mov_b32 s2, exec_lo
	s_waitcnt vmcnt(0) lgkmcnt(0)
	v_mad_i64_i32 v[28:29], null, v0, v1, v[2:3]
	flat_load_b64 v[30:31], v[28:29]
	scratch_load_b64 v[0:1], off, s32 offset:392 ; 8-byte Folded Reload
	s_waitcnt vmcnt(0)
	flat_load_b32 v102, v[0:1]
	s_waitcnt lgkmcnt(1)
	v_dual_mov_b32 v0, 0 :: v_dual_and_b32 v1, 0xff, v30
	s_delay_alu instid0(VALU_DEP_1)
	v_cmpx_ne_u16_e32 0, v1
	s_cbranch_execz .LBB466_16
; %bb.9:                                ;   in Loop: Header=BB466_8 Depth=1
	v_bfrev_b32_e32 v0, 1
	s_mov_b32 s18, exec_lo
	v_cmpx_ne_u16_e32 0x80, v1
	s_cbranch_execz .LBB466_15
; %bb.10:                               ;   in Loop: Header=BB466_8 Depth=1
	v_and_b32_e32 v1, 0x7f, v30
	v_mov_b32_e32 v0, 0x7f800001
	s_mov_b32 s19, exec_lo
	s_delay_alu instid0(VALU_DEP_2)
	v_cmpx_ne_u32_e32 0x7f, v1
	s_cbranch_execz .LBB466_14
; %bb.11:                               ;   in Loop: Header=BB466_8 Depth=1
	v_lshrrev_b32_e32 v0, 3, v1
	v_dual_mov_b32 v33, v31 :: v_dual_mov_b32 v32, v30
	s_mov_b32 s20, exec_lo
	v_cmpx_gt_u32_e32 8, v1
; %bb.12:                               ;   in Loop: Header=BB466_8 Depth=1
	v_and_b32_e32 v0, 7, v30
	s_delay_alu instid0(VALU_DEP_1) | instskip(NEXT) | instid1(VALU_DEP_1)
	v_clz_i32_u32_e32 v0, v0
	v_min_u32_e32 v0, 32, v0
	s_delay_alu instid0(VALU_DEP_1) | instskip(SKIP_1) | instid1(VALU_DEP_2)
	v_subrev_nc_u32_e32 v1, 28, v0
	v_sub_nc_u32_e32 v0, 29, v0
	v_lshlrev_b64 v[32:33], v1, v[30:31]
; %bb.13:                               ;   in Loop: Header=BB466_8 Depth=1
	s_or_b32 exec_lo, exec_lo, s20
	s_delay_alu instid0(VALU_DEP_1) | instskip(SKIP_2) | instid1(VALU_DEP_3)
	v_lshlrev_b32_e32 v1, 20, v32
	v_lshlrev_b32_e32 v2, 24, v30
	v_lshl_add_u32 v0, v0, 23, 0x3c000000
	v_and_b32_e32 v1, 0x700000, v1
	s_delay_alu instid0(VALU_DEP_3) | instskip(NEXT) | instid1(VALU_DEP_1)
	v_and_b32_e32 v2, 0x80000000, v2
	v_or3_b32 v0, v1, v2, v0
.LBB466_14:                             ;   in Loop: Header=BB466_8 Depth=1
	s_or_b32 exec_lo, exec_lo, s19
.LBB466_15:                             ;   in Loop: Header=BB466_8 Depth=1
	s_delay_alu instid0(SALU_CYCLE_1)
	s_or_b32 exec_lo, exec_lo, s18
.LBB466_16:                             ;   in Loop: Header=BB466_8 Depth=1
	s_delay_alu instid0(SALU_CYCLE_1) | instskip(SKIP_2) | instid1(VALU_DEP_1)
	s_or_b32 exec_lo, exec_lo, s2
	s_waitcnt vmcnt(0) lgkmcnt(0)
	v_mul_f32_e32 v0, v102, v0
	v_and_b32_e32 v1, 0x7f800000, v0
	s_delay_alu instid0(VALU_DEP_1) | instskip(NEXT) | instid1(VALU_DEP_1)
	v_cmp_ne_u32_e64 s1, 0x7f800000, v1
                                        ; implicit-def: $vgpr1
                                        ; kill: killed $vgpr1
	s_and_saveexec_b32 s2, s1
	s_delay_alu instid0(SALU_CYCLE_1)
	s_xor_b32 s1, exec_lo, s2
	s_cbranch_execz .LBB466_18
; %bb.17:                               ;   in Loop: Header=BB466_8 Depth=1
	v_bfe_u32 v1, v0, 16, 1
	s_delay_alu instid0(VALU_DEP_1)
	v_add3_u32 v0, v0, v1, 0x7fff
	scratch_store_b32 off, v0, s32 offset:344 ; 4-byte Folded Spill
                                        ; implicit-def: $vgpr0
.LBB466_18:                             ;   in Loop: Header=BB466_8 Depth=1
	s_and_not1_saveexec_b32 s2, s1
	s_cbranch_execz .LBB466_20
; %bb.19:                               ;   in Loop: Header=BB466_8 Depth=1
	v_and_b32_e32 v1, 0xffff, v0
	v_or_b32_e32 v2, 0x10000, v0
	s_delay_alu instid0(VALU_DEP_2) | instskip(NEXT) | instid1(VALU_DEP_1)
	v_cmp_eq_u32_e64 s1, 0, v1
	v_cndmask_b32_e64 v0, v2, v0, s1
	scratch_store_b32 off, v0, s32 offset:344 ; 4-byte Folded Spill
.LBB466_20:                             ;   in Loop: Header=BB466_8 Depth=1
	s_or_b32 exec_lo, exec_lo, s2
	v_lshrrev_b16 v1, 8, v30
	v_mov_b32_e32 v0, 0
	s_mov_b32 s2, exec_lo
	s_delay_alu instid0(VALU_DEP_2)
	v_cmpx_ne_u16_e32 0, v1
	s_cbranch_execz .LBB466_28
; %bb.21:                               ;   in Loop: Header=BB466_8 Depth=1
	v_bfrev_b32_e32 v0, 1
	s_mov_b32 s18, exec_lo
	v_cmpx_ne_u16_e32 0x80, v1
	s_cbranch_execz .LBB466_27
; %bb.22:                               ;   in Loop: Header=BB466_8 Depth=1
	v_and_b32_e32 v2, 0xffff, v1
	v_mov_b32_e32 v0, 0x7f800001
	s_mov_b32 s19, exec_lo
	s_delay_alu instid0(VALU_DEP_2) | instskip(NEXT) | instid1(VALU_DEP_1)
	v_and_b32_e32 v1, 0x7f, v2
	v_cmpx_ne_u32_e32 0x7f, v1
	s_cbranch_execz .LBB466_26
; %bb.23:                               ;   in Loop: Header=BB466_8 Depth=1
	v_and_b32_e32 v18, 7, v2
	v_lshrrev_b32_e32 v0, 3, v1
	v_mov_b32_e32 v33, v19
	s_mov_b32 s20, exec_lo
	s_delay_alu instid0(VALU_DEP_3)
	v_mov_b32_e32 v32, v18
	v_cmpx_gt_u32_e32 8, v1
; %bb.24:                               ;   in Loop: Header=BB466_8 Depth=1
	v_clz_i32_u32_e32 v0, v18
	s_delay_alu instid0(VALU_DEP_1) | instskip(NEXT) | instid1(VALU_DEP_1)
	v_min_u32_e32 v0, 32, v0
	v_subrev_nc_u32_e32 v1, 28, v0
	v_sub_nc_u32_e32 v0, 29, v0
	s_delay_alu instid0(VALU_DEP_2) | instskip(NEXT) | instid1(VALU_DEP_1)
	v_lshlrev_b64 v[1:2], v1, v[18:19]
	v_and_b32_e32 v32, 7, v1
; %bb.25:                               ;   in Loop: Header=BB466_8 Depth=1
	s_or_b32 exec_lo, exec_lo, s20
	v_lshlrev_b32_e32 v1, 16, v30
	s_delay_alu instid0(VALU_DEP_2) | instskip(SKIP_1) | instid1(VALU_DEP_3)
	v_lshlrev_b32_e32 v2, 20, v32
	v_lshl_add_u32 v0, v0, 23, 0x3c000000
	v_and_b32_e32 v1, 0x80000000, v1
	s_delay_alu instid0(VALU_DEP_1)
	v_or3_b32 v0, v2, v1, v0
.LBB466_26:                             ;   in Loop: Header=BB466_8 Depth=1
	s_or_b32 exec_lo, exec_lo, s19
.LBB466_27:                             ;   in Loop: Header=BB466_8 Depth=1
	s_delay_alu instid0(SALU_CYCLE_1)
	s_or_b32 exec_lo, exec_lo, s18
.LBB466_28:                             ;   in Loop: Header=BB466_8 Depth=1
	s_delay_alu instid0(SALU_CYCLE_1) | instskip(NEXT) | instid1(VALU_DEP_1)
	s_or_b32 exec_lo, exec_lo, s2
	v_mul_f32_e32 v0, v102, v0
                                        ; implicit-def: $vgpr134
	s_delay_alu instid0(VALU_DEP_1) | instskip(NEXT) | instid1(VALU_DEP_1)
	v_and_b32_e32 v1, 0x7f800000, v0
	v_cmp_ne_u32_e64 s1, 0x7f800000, v1
	s_delay_alu instid0(VALU_DEP_1) | instskip(NEXT) | instid1(SALU_CYCLE_1)
	s_and_saveexec_b32 s2, s1
	s_xor_b32 s1, exec_lo, s2
; %bb.29:                               ;   in Loop: Header=BB466_8 Depth=1
	v_bfe_u32 v1, v0, 16, 1
	s_delay_alu instid0(VALU_DEP_1)
	v_add3_u32 v134, v0, v1, 0x7fff
                                        ; implicit-def: $vgpr0
; %bb.30:                               ;   in Loop: Header=BB466_8 Depth=1
	s_and_not1_saveexec_b32 s2, s1
; %bb.31:                               ;   in Loop: Header=BB466_8 Depth=1
	v_and_b32_e32 v1, 0xffff, v0
	v_or_b32_e32 v2, 0x10000, v0
	s_delay_alu instid0(VALU_DEP_2) | instskip(NEXT) | instid1(VALU_DEP_1)
	v_cmp_eq_u32_e64 s1, 0, v1
	v_cndmask_b32_e64 v134, v2, v0, s1
; %bb.32:                               ;   in Loop: Header=BB466_8 Depth=1
	s_or_b32 exec_lo, exec_lo, s2
	v_lshrrev_b32_e32 v0, 16, v30
	s_mov_b32 s2, exec_lo
	s_delay_alu instid0(VALU_DEP_1) | instskip(NEXT) | instid1(VALU_DEP_1)
	v_dual_mov_b32 v1, 0 :: v_dual_and_b32 v2, 0xff, v0
	v_cmpx_ne_u16_e32 0, v2
	s_cbranch_execz .LBB466_40
; %bb.33:                               ;   in Loop: Header=BB466_8 Depth=1
	v_bfrev_b32_e32 v1, 1
	s_mov_b32 s18, exec_lo
	v_cmpx_ne_u16_e32 0x80, v2
	s_cbranch_execz .LBB466_39
; %bb.34:                               ;   in Loop: Header=BB466_8 Depth=1
	v_bfe_u32 v2, v30, 16, 7
	v_mov_b32_e32 v1, 0x7f800001
	s_mov_b32 s19, exec_lo
	s_delay_alu instid0(VALU_DEP_2)
	v_cmpx_ne_u32_e32 0x7f, v2
	s_cbranch_execz .LBB466_38
; %bb.35:                               ;   in Loop: Header=BB466_8 Depth=1
	v_and_b32_e32 v18, 7, v0
	v_lshrrev_b32_e32 v1, 3, v2
	v_mov_b32_e32 v33, v19
	s_mov_b32 s20, exec_lo
	s_delay_alu instid0(VALU_DEP_3)
	v_mov_b32_e32 v32, v18
	v_cmpx_gt_u32_e32 8, v2
; %bb.36:                               ;   in Loop: Header=BB466_8 Depth=1
	v_clz_i32_u32_e32 v1, v18
	s_delay_alu instid0(VALU_DEP_1) | instskip(NEXT) | instid1(VALU_DEP_1)
	v_min_u32_e32 v1, 32, v1
	v_subrev_nc_u32_e32 v2, 28, v1
	v_sub_nc_u32_e32 v1, 29, v1
	s_delay_alu instid0(VALU_DEP_2) | instskip(NEXT) | instid1(VALU_DEP_1)
	v_lshlrev_b64 v[2:3], v2, v[18:19]
	v_and_b32_e32 v32, 7, v2
; %bb.37:                               ;   in Loop: Header=BB466_8 Depth=1
	s_or_b32 exec_lo, exec_lo, s20
	v_lshlrev_b32_e32 v0, 24, v0
	s_delay_alu instid0(VALU_DEP_2) | instskip(SKIP_1) | instid1(VALU_DEP_3)
	v_lshlrev_b32_e32 v2, 20, v32
	v_lshl_add_u32 v1, v1, 23, 0x3c000000
	v_and_b32_e32 v0, 0x80000000, v0
	s_delay_alu instid0(VALU_DEP_1)
	v_or3_b32 v1, v2, v0, v1
.LBB466_38:                             ;   in Loop: Header=BB466_8 Depth=1
	s_or_b32 exec_lo, exec_lo, s19
.LBB466_39:                             ;   in Loop: Header=BB466_8 Depth=1
	s_delay_alu instid0(SALU_CYCLE_1)
	s_or_b32 exec_lo, exec_lo, s18
.LBB466_40:                             ;   in Loop: Header=BB466_8 Depth=1
	s_delay_alu instid0(SALU_CYCLE_1) | instskip(NEXT) | instid1(VALU_DEP_1)
	s_or_b32 exec_lo, exec_lo, s2
	v_mul_f32_e32 v0, v102, v1
                                        ; implicit-def: $vgpr135
	s_delay_alu instid0(VALU_DEP_1) | instskip(NEXT) | instid1(VALU_DEP_1)
	v_and_b32_e32 v1, 0x7f800000, v0
	v_cmp_ne_u32_e64 s1, 0x7f800000, v1
	s_delay_alu instid0(VALU_DEP_1) | instskip(NEXT) | instid1(SALU_CYCLE_1)
	s_and_saveexec_b32 s2, s1
	s_xor_b32 s1, exec_lo, s2
; %bb.41:                               ;   in Loop: Header=BB466_8 Depth=1
	v_bfe_u32 v1, v0, 16, 1
	s_delay_alu instid0(VALU_DEP_1)
	v_add3_u32 v135, v0, v1, 0x7fff
                                        ; implicit-def: $vgpr0
; %bb.42:                               ;   in Loop: Header=BB466_8 Depth=1
	s_and_not1_saveexec_b32 s2, s1
; %bb.43:                               ;   in Loop: Header=BB466_8 Depth=1
	v_and_b32_e32 v1, 0xffff, v0
	v_or_b32_e32 v2, 0x10000, v0
	s_delay_alu instid0(VALU_DEP_2) | instskip(NEXT) | instid1(VALU_DEP_1)
	v_cmp_eq_u32_e64 s1, 0, v1
	v_cndmask_b32_e64 v135, v2, v0, s1
; %bb.44:                               ;   in Loop: Header=BB466_8 Depth=1
	s_or_b32 exec_lo, exec_lo, s2
	v_mov_b32_e32 v1, 0
	s_mov_b32 s2, exec_lo
	v_cmpx_lt_u32_e32 0xffffff, v30
	s_cbranch_execz .LBB466_52
; %bb.45:                               ;   in Loop: Header=BB466_8 Depth=1
	v_lshrrev_b32_e32 v0, 24, v30
	v_bfrev_b32_e32 v1, 1
	s_mov_b32 s18, exec_lo
	s_delay_alu instid0(VALU_DEP_2)
	v_cmpx_ne_u32_e32 0x80, v0
	s_cbranch_execz .LBB466_51
; %bb.46:                               ;   in Loop: Header=BB466_8 Depth=1
	v_bfe_u32 v2, v30, 24, 7
	v_mov_b32_e32 v1, 0x7f800001
	s_mov_b32 s19, exec_lo
	s_delay_alu instid0(VALU_DEP_2)
	v_cmpx_ne_u32_e32 0x7f, v2
	s_cbranch_execz .LBB466_50
; %bb.47:                               ;   in Loop: Header=BB466_8 Depth=1
	v_and_b32_e32 v18, 7, v0
	v_lshrrev_b32_e32 v1, 3, v2
	v_mov_b32_e32 v33, v19
	s_mov_b32 s20, exec_lo
	s_delay_alu instid0(VALU_DEP_3)
	v_mov_b32_e32 v32, v18
	v_cmpx_gt_u32_e32 8, v2
; %bb.48:                               ;   in Loop: Header=BB466_8 Depth=1
	v_clz_i32_u32_e32 v1, v18
	s_delay_alu instid0(VALU_DEP_1) | instskip(NEXT) | instid1(VALU_DEP_1)
	v_min_u32_e32 v1, 32, v1
	v_subrev_nc_u32_e32 v2, 28, v1
	v_sub_nc_u32_e32 v1, 29, v1
	s_delay_alu instid0(VALU_DEP_2) | instskip(NEXT) | instid1(VALU_DEP_1)
	v_lshlrev_b64 v[2:3], v2, v[18:19]
	v_and_b32_e32 v32, 7, v2
; %bb.49:                               ;   in Loop: Header=BB466_8 Depth=1
	s_or_b32 exec_lo, exec_lo, s20
	v_lshlrev_b32_e32 v0, 24, v0
	s_delay_alu instid0(VALU_DEP_2) | instskip(SKIP_1) | instid1(VALU_DEP_3)
	v_lshlrev_b32_e32 v2, 20, v32
	v_lshl_add_u32 v1, v1, 23, 0x3c000000
	v_and_b32_e32 v0, 0x80000000, v0
	s_delay_alu instid0(VALU_DEP_1)
	v_or3_b32 v1, v2, v0, v1
.LBB466_50:                             ;   in Loop: Header=BB466_8 Depth=1
	s_or_b32 exec_lo, exec_lo, s19
.LBB466_51:                             ;   in Loop: Header=BB466_8 Depth=1
	s_delay_alu instid0(SALU_CYCLE_1)
	s_or_b32 exec_lo, exec_lo, s18
.LBB466_52:                             ;   in Loop: Header=BB466_8 Depth=1
	s_delay_alu instid0(SALU_CYCLE_1) | instskip(NEXT) | instid1(VALU_DEP_1)
	s_or_b32 exec_lo, exec_lo, s2
	v_mul_f32_e32 v0, v102, v1
                                        ; implicit-def: $vgpr144
	s_delay_alu instid0(VALU_DEP_1) | instskip(NEXT) | instid1(VALU_DEP_1)
	v_and_b32_e32 v1, 0x7f800000, v0
	v_cmp_ne_u32_e64 s1, 0x7f800000, v1
	s_delay_alu instid0(VALU_DEP_1) | instskip(NEXT) | instid1(SALU_CYCLE_1)
	s_and_saveexec_b32 s2, s1
	s_xor_b32 s1, exec_lo, s2
; %bb.53:                               ;   in Loop: Header=BB466_8 Depth=1
	v_bfe_u32 v1, v0, 16, 1
	s_delay_alu instid0(VALU_DEP_1)
	v_add3_u32 v144, v0, v1, 0x7fff
                                        ; implicit-def: $vgpr0
; %bb.54:                               ;   in Loop: Header=BB466_8 Depth=1
	s_and_not1_saveexec_b32 s2, s1
; %bb.55:                               ;   in Loop: Header=BB466_8 Depth=1
	v_and_b32_e32 v1, 0xffff, v0
	v_or_b32_e32 v2, 0x10000, v0
	s_delay_alu instid0(VALU_DEP_2) | instskip(NEXT) | instid1(VALU_DEP_1)
	v_cmp_eq_u32_e64 s1, 0, v1
	v_cndmask_b32_e64 v144, v2, v0, s1
; %bb.56:                               ;   in Loop: Header=BB466_8 Depth=1
	s_or_b32 exec_lo, exec_lo, s2
	v_dual_mov_b32 v18, v31 :: v_dual_and_b32 v1, 0xff, v31
	v_mov_b32_e32 v0, 0
	s_mov_b32 s2, exec_lo
	s_delay_alu instid0(VALU_DEP_2)
	v_cmpx_ne_u16_e32 0, v1
	s_cbranch_execz .LBB466_64
; %bb.57:                               ;   in Loop: Header=BB466_8 Depth=1
	v_bfrev_b32_e32 v0, 1
	s_mov_b32 s18, exec_lo
	v_cmpx_ne_u16_e32 0x80, v1
	s_cbranch_execz .LBB466_63
; %bb.58:                               ;   in Loop: Header=BB466_8 Depth=1
	v_and_b32_e32 v1, 0x7f, v31
	v_mov_b32_e32 v0, 0x7f800001
	s_mov_b32 s19, exec_lo
	s_delay_alu instid0(VALU_DEP_2)
	v_cmpx_ne_u32_e32 0x7f, v1
	s_cbranch_execz .LBB466_62
; %bb.59:                               ;   in Loop: Header=BB466_8 Depth=1
	v_lshrrev_b32_e32 v0, 3, v1
	v_dual_mov_b32 v33, v19 :: v_dual_mov_b32 v32, v18
	s_mov_b32 s20, exec_lo
	v_cmpx_gt_u32_e32 8, v1
; %bb.60:                               ;   in Loop: Header=BB466_8 Depth=1
	v_and_b32_e32 v0, 7, v31
	s_delay_alu instid0(VALU_DEP_1) | instskip(NEXT) | instid1(VALU_DEP_1)
	v_clz_i32_u32_e32 v0, v0
	v_min_u32_e32 v0, 32, v0
	s_delay_alu instid0(VALU_DEP_1) | instskip(SKIP_1) | instid1(VALU_DEP_2)
	v_subrev_nc_u32_e32 v1, 28, v0
	v_sub_nc_u32_e32 v0, 29, v0
	v_lshlrev_b64 v[32:33], v1, v[18:19]
; %bb.61:                               ;   in Loop: Header=BB466_8 Depth=1
	s_or_b32 exec_lo, exec_lo, s20
	s_delay_alu instid0(VALU_DEP_1) | instskip(SKIP_2) | instid1(VALU_DEP_3)
	v_lshlrev_b32_e32 v1, 20, v32
	v_lshlrev_b32_e32 v2, 24, v18
	v_lshl_add_u32 v0, v0, 23, 0x3c000000
	v_and_b32_e32 v1, 0x700000, v1
	s_delay_alu instid0(VALU_DEP_3) | instskip(NEXT) | instid1(VALU_DEP_1)
	v_and_b32_e32 v2, 0x80000000, v2
	v_or3_b32 v0, v1, v2, v0
.LBB466_62:                             ;   in Loop: Header=BB466_8 Depth=1
	s_or_b32 exec_lo, exec_lo, s19
.LBB466_63:                             ;   in Loop: Header=BB466_8 Depth=1
	s_delay_alu instid0(SALU_CYCLE_1)
	s_or_b32 exec_lo, exec_lo, s18
.LBB466_64:                             ;   in Loop: Header=BB466_8 Depth=1
	s_delay_alu instid0(SALU_CYCLE_1) | instskip(NEXT) | instid1(VALU_DEP_1)
	s_or_b32 exec_lo, exec_lo, s2
	v_mul_f32_e32 v0, v102, v0
	s_delay_alu instid0(VALU_DEP_1) | instskip(NEXT) | instid1(VALU_DEP_1)
	v_and_b32_e32 v1, 0x7f800000, v0
	v_cmp_ne_u32_e64 s1, 0x7f800000, v1
                                        ; implicit-def: $vgpr1
                                        ; kill: killed $vgpr1
	s_delay_alu instid0(VALU_DEP_1) | instskip(NEXT) | instid1(SALU_CYCLE_1)
	s_and_saveexec_b32 s2, s1
	s_xor_b32 s1, exec_lo, s2
	s_cbranch_execz .LBB466_66
; %bb.65:                               ;   in Loop: Header=BB466_8 Depth=1
	v_bfe_u32 v1, v0, 16, 1
	s_delay_alu instid0(VALU_DEP_1)
	v_add3_u32 v0, v0, v1, 0x7fff
	scratch_store_b32 off, v0, s32 offset:328 ; 4-byte Folded Spill
                                        ; implicit-def: $vgpr0
.LBB466_66:                             ;   in Loop: Header=BB466_8 Depth=1
	s_and_not1_saveexec_b32 s2, s1
	s_cbranch_execz .LBB466_68
; %bb.67:                               ;   in Loop: Header=BB466_8 Depth=1
	v_and_b32_e32 v1, 0xffff, v0
	v_or_b32_e32 v2, 0x10000, v0
	s_delay_alu instid0(VALU_DEP_2) | instskip(NEXT) | instid1(VALU_DEP_1)
	v_cmp_eq_u32_e64 s1, 0, v1
	v_cndmask_b32_e64 v0, v2, v0, s1
	scratch_store_b32 off, v0, s32 offset:328 ; 4-byte Folded Spill
.LBB466_68:                             ;   in Loop: Header=BB466_8 Depth=1
	s_or_b32 exec_lo, exec_lo, s2
	v_lshrrev_b16 v1, 8, v18
	v_mov_b32_e32 v0, 0
	s_mov_b32 s2, exec_lo
	s_delay_alu instid0(VALU_DEP_2)
	v_cmpx_ne_u16_e32 0, v1
	s_cbranch_execz .LBB466_76
; %bb.69:                               ;   in Loop: Header=BB466_8 Depth=1
	v_bfrev_b32_e32 v0, 1
	s_mov_b32 s18, exec_lo
	v_cmpx_ne_u16_e32 0x80, v1
	s_cbranch_execz .LBB466_75
; %bb.70:                               ;   in Loop: Header=BB466_8 Depth=1
	v_and_b32_e32 v2, 0xffff, v1
	v_mov_b32_e32 v0, 0x7f800001
	s_mov_b32 s19, exec_lo
	s_delay_alu instid0(VALU_DEP_2) | instskip(NEXT) | instid1(VALU_DEP_1)
	v_and_b32_e32 v1, 0x7f, v2
	v_cmpx_ne_u32_e32 0x7f, v1
	s_cbranch_execz .LBB466_74
; %bb.71:                               ;   in Loop: Header=BB466_8 Depth=1
	v_dual_mov_b32 v33, v19 :: v_dual_and_b32 v32, 7, v2
	v_lshrrev_b32_e32 v0, 3, v1
	s_mov_b32 s20, exec_lo
	v_cmpx_gt_u32_e32 8, v1
; %bb.72:                               ;   in Loop: Header=BB466_8 Depth=1
	s_delay_alu instid0(VALU_DEP_3) | instskip(NEXT) | instid1(VALU_DEP_1)
	v_clz_i32_u32_e32 v0, v32
	v_min_u32_e32 v0, 32, v0
	s_delay_alu instid0(VALU_DEP_1) | instskip(SKIP_1) | instid1(VALU_DEP_2)
	v_subrev_nc_u32_e32 v1, 28, v0
	v_sub_nc_u32_e32 v0, 29, v0
	v_lshlrev_b64 v[1:2], v1, v[32:33]
	s_delay_alu instid0(VALU_DEP_1)
	v_and_b32_e32 v32, 7, v1
; %bb.73:                               ;   in Loop: Header=BB466_8 Depth=1
	s_or_b32 exec_lo, exec_lo, s20
	v_lshlrev_b32_e32 v1, 16, v18
	s_delay_alu instid0(VALU_DEP_2) | instskip(SKIP_1) | instid1(VALU_DEP_3)
	v_lshlrev_b32_e32 v2, 20, v32
	v_lshl_add_u32 v0, v0, 23, 0x3c000000
	v_and_b32_e32 v1, 0x80000000, v1
	s_delay_alu instid0(VALU_DEP_1)
	v_or3_b32 v0, v2, v1, v0
.LBB466_74:                             ;   in Loop: Header=BB466_8 Depth=1
	s_or_b32 exec_lo, exec_lo, s19
.LBB466_75:                             ;   in Loop: Header=BB466_8 Depth=1
	s_delay_alu instid0(SALU_CYCLE_1)
	s_or_b32 exec_lo, exec_lo, s18
.LBB466_76:                             ;   in Loop: Header=BB466_8 Depth=1
	s_delay_alu instid0(SALU_CYCLE_1) | instskip(NEXT) | instid1(VALU_DEP_1)
	s_or_b32 exec_lo, exec_lo, s2
	v_mul_f32_e32 v0, v102, v0
	s_delay_alu instid0(VALU_DEP_1) | instskip(NEXT) | instid1(VALU_DEP_1)
	v_and_b32_e32 v1, 0x7f800000, v0
	v_cmp_ne_u32_e64 s1, 0x7f800000, v1
                                        ; implicit-def: $vgpr1
                                        ; kill: killed $vgpr1
	s_delay_alu instid0(VALU_DEP_1) | instskip(NEXT) | instid1(SALU_CYCLE_1)
	s_and_saveexec_b32 s2, s1
	s_xor_b32 s1, exec_lo, s2
	s_cbranch_execz .LBB466_78
; %bb.77:                               ;   in Loop: Header=BB466_8 Depth=1
	v_bfe_u32 v1, v0, 16, 1
	s_delay_alu instid0(VALU_DEP_1)
	v_add3_u32 v0, v0, v1, 0x7fff
	scratch_store_b32 off, v0, s32 offset:332 ; 4-byte Folded Spill
                                        ; implicit-def: $vgpr0
.LBB466_78:                             ;   in Loop: Header=BB466_8 Depth=1
	s_and_not1_saveexec_b32 s2, s1
	s_cbranch_execz .LBB466_80
; %bb.79:                               ;   in Loop: Header=BB466_8 Depth=1
	v_and_b32_e32 v1, 0xffff, v0
	v_or_b32_e32 v2, 0x10000, v0
	s_delay_alu instid0(VALU_DEP_2) | instskip(NEXT) | instid1(VALU_DEP_1)
	v_cmp_eq_u32_e64 s1, 0, v1
	v_cndmask_b32_e64 v0, v2, v0, s1
	scratch_store_b32 off, v0, s32 offset:332 ; 4-byte Folded Spill
.LBB466_80:                             ;   in Loop: Header=BB466_8 Depth=1
	s_or_b32 exec_lo, exec_lo, s2
	v_lshrrev_b32_e32 v0, 16, v31
	s_mov_b32 s2, exec_lo
	s_delay_alu instid0(VALU_DEP_1) | instskip(NEXT) | instid1(VALU_DEP_1)
	v_dual_mov_b32 v1, 0 :: v_dual_and_b32 v2, 0xff, v0
	v_cmpx_ne_u16_e32 0, v2
	s_cbranch_execz .LBB466_88
; %bb.81:                               ;   in Loop: Header=BB466_8 Depth=1
	v_bfrev_b32_e32 v1, 1
	s_mov_b32 s18, exec_lo
	v_cmpx_ne_u16_e32 0x80, v2
	s_cbranch_execz .LBB466_87
; %bb.82:                               ;   in Loop: Header=BB466_8 Depth=1
	v_bfe_u32 v2, v31, 16, 7
	v_mov_b32_e32 v1, 0x7f800001
	s_mov_b32 s19, exec_lo
	s_delay_alu instid0(VALU_DEP_2)
	v_cmpx_ne_u32_e32 0x7f, v2
	s_cbranch_execz .LBB466_86
; %bb.83:                               ;   in Loop: Header=BB466_8 Depth=1
	v_and_b32_e32 v18, 7, v0
	v_lshrrev_b32_e32 v1, 3, v2
	v_mov_b32_e32 v33, v19
	s_mov_b32 s20, exec_lo
	s_delay_alu instid0(VALU_DEP_3)
	v_mov_b32_e32 v32, v18
	v_cmpx_gt_u32_e32 8, v2
; %bb.84:                               ;   in Loop: Header=BB466_8 Depth=1
	v_clz_i32_u32_e32 v1, v18
	s_delay_alu instid0(VALU_DEP_1) | instskip(NEXT) | instid1(VALU_DEP_1)
	v_min_u32_e32 v1, 32, v1
	v_subrev_nc_u32_e32 v2, 28, v1
	v_sub_nc_u32_e32 v1, 29, v1
	s_delay_alu instid0(VALU_DEP_2) | instskip(NEXT) | instid1(VALU_DEP_1)
	v_lshlrev_b64 v[2:3], v2, v[18:19]
	v_and_b32_e32 v32, 7, v2
; %bb.85:                               ;   in Loop: Header=BB466_8 Depth=1
	s_or_b32 exec_lo, exec_lo, s20
	v_lshlrev_b32_e32 v0, 24, v0
	s_delay_alu instid0(VALU_DEP_2) | instskip(SKIP_1) | instid1(VALU_DEP_3)
	v_lshlrev_b32_e32 v2, 20, v32
	v_lshl_add_u32 v1, v1, 23, 0x3c000000
	v_and_b32_e32 v0, 0x80000000, v0
	s_delay_alu instid0(VALU_DEP_1)
	v_or3_b32 v1, v2, v0, v1
.LBB466_86:                             ;   in Loop: Header=BB466_8 Depth=1
	s_or_b32 exec_lo, exec_lo, s19
.LBB466_87:                             ;   in Loop: Header=BB466_8 Depth=1
	s_delay_alu instid0(SALU_CYCLE_1)
	s_or_b32 exec_lo, exec_lo, s18
.LBB466_88:                             ;   in Loop: Header=BB466_8 Depth=1
	s_delay_alu instid0(SALU_CYCLE_1) | instskip(NEXT) | instid1(VALU_DEP_1)
	s_or_b32 exec_lo, exec_lo, s2
	v_mul_f32_e32 v0, v102, v1
	s_delay_alu instid0(VALU_DEP_1) | instskip(NEXT) | instid1(VALU_DEP_1)
	v_and_b32_e32 v1, 0x7f800000, v0
	v_cmp_ne_u32_e64 s1, 0x7f800000, v1
                                        ; implicit-def: $vgpr1
                                        ; kill: killed $vgpr1
	s_delay_alu instid0(VALU_DEP_1) | instskip(NEXT) | instid1(SALU_CYCLE_1)
	s_and_saveexec_b32 s2, s1
	s_xor_b32 s1, exec_lo, s2
	s_cbranch_execz .LBB466_90
; %bb.89:                               ;   in Loop: Header=BB466_8 Depth=1
	v_bfe_u32 v1, v0, 16, 1
	s_delay_alu instid0(VALU_DEP_1)
	v_add3_u32 v0, v0, v1, 0x7fff
	scratch_store_b32 off, v0, s32 offset:336 ; 4-byte Folded Spill
                                        ; implicit-def: $vgpr0
.LBB466_90:                             ;   in Loop: Header=BB466_8 Depth=1
	s_and_not1_saveexec_b32 s2, s1
	s_cbranch_execz .LBB466_92
; %bb.91:                               ;   in Loop: Header=BB466_8 Depth=1
	v_and_b32_e32 v1, 0xffff, v0
	v_or_b32_e32 v2, 0x10000, v0
	s_delay_alu instid0(VALU_DEP_2) | instskip(NEXT) | instid1(VALU_DEP_1)
	v_cmp_eq_u32_e64 s1, 0, v1
	v_cndmask_b32_e64 v0, v2, v0, s1
	scratch_store_b32 off, v0, s32 offset:336 ; 4-byte Folded Spill
.LBB466_92:                             ;   in Loop: Header=BB466_8 Depth=1
	s_or_b32 exec_lo, exec_lo, s2
	v_mov_b32_e32 v1, 0
	s_mov_b32 s2, exec_lo
	v_cmpx_lt_u64_e64 s[8:9], v[30:31]
	s_cbranch_execz .LBB466_100
; %bb.93:                               ;   in Loop: Header=BB466_8 Depth=1
	v_lshrrev_b32_e32 v0, 24, v31
	v_bfrev_b32_e32 v1, 1
	s_mov_b32 s18, exec_lo
	s_delay_alu instid0(VALU_DEP_2)
	v_cmpx_ne_u32_e32 0x80, v0
	s_cbranch_execz .LBB466_99
; %bb.94:                               ;   in Loop: Header=BB466_8 Depth=1
	v_bfe_u32 v2, v31, 24, 7
	v_mov_b32_e32 v1, 0x7f800001
	s_mov_b32 s19, exec_lo
	s_delay_alu instid0(VALU_DEP_2)
	v_cmpx_ne_u32_e32 0x7f, v2
	s_cbranch_execz .LBB466_98
; %bb.95:                               ;   in Loop: Header=BB466_8 Depth=1
	v_and_b32_e32 v18, 7, v0
	v_lshrrev_b32_e32 v1, 3, v2
	v_mov_b32_e32 v31, v19
	s_mov_b32 s20, exec_lo
	s_delay_alu instid0(VALU_DEP_3)
	v_mov_b32_e32 v30, v18
	v_cmpx_gt_u32_e32 8, v2
; %bb.96:                               ;   in Loop: Header=BB466_8 Depth=1
	v_clz_i32_u32_e32 v1, v18
	s_delay_alu instid0(VALU_DEP_1) | instskip(NEXT) | instid1(VALU_DEP_1)
	v_min_u32_e32 v1, 32, v1
	v_subrev_nc_u32_e32 v2, 28, v1
	v_sub_nc_u32_e32 v1, 29, v1
	s_delay_alu instid0(VALU_DEP_2) | instskip(NEXT) | instid1(VALU_DEP_1)
	v_lshlrev_b64 v[2:3], v2, v[18:19]
	v_and_b32_e32 v30, 7, v2
; %bb.97:                               ;   in Loop: Header=BB466_8 Depth=1
	s_or_b32 exec_lo, exec_lo, s20
	v_lshlrev_b32_e32 v0, 24, v0
	s_delay_alu instid0(VALU_DEP_2) | instskip(SKIP_1) | instid1(VALU_DEP_3)
	v_lshlrev_b32_e32 v2, 20, v30
	v_lshl_add_u32 v1, v1, 23, 0x3c000000
	v_and_b32_e32 v0, 0x80000000, v0
	s_delay_alu instid0(VALU_DEP_1)
	v_or3_b32 v1, v2, v0, v1
.LBB466_98:                             ;   in Loop: Header=BB466_8 Depth=1
	s_or_b32 exec_lo, exec_lo, s19
.LBB466_99:                             ;   in Loop: Header=BB466_8 Depth=1
	s_delay_alu instid0(SALU_CYCLE_1)
	s_or_b32 exec_lo, exec_lo, s18
.LBB466_100:                            ;   in Loop: Header=BB466_8 Depth=1
	s_delay_alu instid0(SALU_CYCLE_1) | instskip(NEXT) | instid1(VALU_DEP_1)
	s_or_b32 exec_lo, exec_lo, s2
	v_mul_f32_e32 v0, v102, v1
	s_delay_alu instid0(VALU_DEP_1) | instskip(NEXT) | instid1(VALU_DEP_1)
	v_and_b32_e32 v1, 0x7f800000, v0
	v_cmp_ne_u32_e64 s1, 0x7f800000, v1
                                        ; implicit-def: $vgpr1
                                        ; kill: killed $vgpr1
	s_delay_alu instid0(VALU_DEP_1) | instskip(NEXT) | instid1(SALU_CYCLE_1)
	s_and_saveexec_b32 s2, s1
	s_xor_b32 s1, exec_lo, s2
	s_cbranch_execz .LBB466_102
; %bb.101:                              ;   in Loop: Header=BB466_8 Depth=1
	v_bfe_u32 v1, v0, 16, 1
	s_delay_alu instid0(VALU_DEP_1)
	v_add3_u32 v0, v0, v1, 0x7fff
	scratch_store_b32 off, v0, s32 offset:340 ; 4-byte Folded Spill
                                        ; implicit-def: $vgpr0
.LBB466_102:                            ;   in Loop: Header=BB466_8 Depth=1
	s_and_not1_saveexec_b32 s2, s1
	s_cbranch_execz .LBB466_104
; %bb.103:                              ;   in Loop: Header=BB466_8 Depth=1
	v_and_b32_e32 v1, 0xffff, v0
	v_or_b32_e32 v2, 0x10000, v0
	s_delay_alu instid0(VALU_DEP_2) | instskip(NEXT) | instid1(VALU_DEP_1)
	v_cmp_eq_u32_e64 s1, 0, v1
	v_cndmask_b32_e64 v0, v2, v0, s1
	scratch_store_b32 off, v0, s32 offset:340 ; 4-byte Folded Spill
.LBB466_104:                            ;   in Loop: Header=BB466_8 Depth=1
	s_or_b32 exec_lo, exec_lo, s2
	flat_load_b64 v[30:31], v[28:29] offset:8
	s_mov_b32 s2, exec_lo
	s_waitcnt vmcnt(0) lgkmcnt(0)
	v_dual_mov_b32 v0, 0 :: v_dual_and_b32 v1, 0xff, v30
	s_delay_alu instid0(VALU_DEP_1)
	v_cmpx_ne_u16_e32 0, v1
	s_cbranch_execz .LBB466_112
; %bb.105:                              ;   in Loop: Header=BB466_8 Depth=1
	v_bfrev_b32_e32 v0, 1
	s_mov_b32 s18, exec_lo
	v_cmpx_ne_u16_e32 0x80, v1
	s_cbranch_execz .LBB466_111
; %bb.106:                              ;   in Loop: Header=BB466_8 Depth=1
	v_and_b32_e32 v1, 0x7f, v30
	v_mov_b32_e32 v0, 0x7f800001
	s_mov_b32 s19, exec_lo
	s_delay_alu instid0(VALU_DEP_2)
	v_cmpx_ne_u32_e32 0x7f, v1
	s_cbranch_execz .LBB466_110
; %bb.107:                              ;   in Loop: Header=BB466_8 Depth=1
	v_lshrrev_b32_e32 v0, 3, v1
	v_dual_mov_b32 v33, v31 :: v_dual_mov_b32 v32, v30
	s_mov_b32 s20, exec_lo
	v_cmpx_gt_u32_e32 8, v1
; %bb.108:                              ;   in Loop: Header=BB466_8 Depth=1
	v_and_b32_e32 v0, 7, v30
	s_delay_alu instid0(VALU_DEP_1) | instskip(NEXT) | instid1(VALU_DEP_1)
	v_clz_i32_u32_e32 v0, v0
	v_min_u32_e32 v0, 32, v0
	s_delay_alu instid0(VALU_DEP_1) | instskip(SKIP_1) | instid1(VALU_DEP_2)
	v_subrev_nc_u32_e32 v1, 28, v0
	v_sub_nc_u32_e32 v0, 29, v0
	v_lshlrev_b64 v[32:33], v1, v[30:31]
; %bb.109:                              ;   in Loop: Header=BB466_8 Depth=1
	s_or_b32 exec_lo, exec_lo, s20
	s_delay_alu instid0(VALU_DEP_1) | instskip(SKIP_2) | instid1(VALU_DEP_3)
	v_lshlrev_b32_e32 v1, 20, v32
	v_lshlrev_b32_e32 v2, 24, v30
	v_lshl_add_u32 v0, v0, 23, 0x3c000000
	v_and_b32_e32 v1, 0x700000, v1
	s_delay_alu instid0(VALU_DEP_3) | instskip(NEXT) | instid1(VALU_DEP_1)
	v_and_b32_e32 v2, 0x80000000, v2
	v_or3_b32 v0, v1, v2, v0
.LBB466_110:                            ;   in Loop: Header=BB466_8 Depth=1
	s_or_b32 exec_lo, exec_lo, s19
.LBB466_111:                            ;   in Loop: Header=BB466_8 Depth=1
	s_delay_alu instid0(SALU_CYCLE_1)
	s_or_b32 exec_lo, exec_lo, s18
.LBB466_112:                            ;   in Loop: Header=BB466_8 Depth=1
	s_delay_alu instid0(SALU_CYCLE_1) | instskip(NEXT) | instid1(VALU_DEP_1)
	s_or_b32 exec_lo, exec_lo, s2
	v_mul_f32_e32 v0, v102, v0
                                        ; implicit-def: $vgpr133
	s_delay_alu instid0(VALU_DEP_1) | instskip(NEXT) | instid1(VALU_DEP_1)
	v_and_b32_e32 v1, 0x7f800000, v0
	v_cmp_ne_u32_e64 s1, 0x7f800000, v1
	s_delay_alu instid0(VALU_DEP_1) | instskip(NEXT) | instid1(SALU_CYCLE_1)
	s_and_saveexec_b32 s2, s1
	s_xor_b32 s1, exec_lo, s2
; %bb.113:                              ;   in Loop: Header=BB466_8 Depth=1
	v_bfe_u32 v1, v0, 16, 1
	s_delay_alu instid0(VALU_DEP_1)
	v_add3_u32 v133, v0, v1, 0x7fff
                                        ; implicit-def: $vgpr0
; %bb.114:                              ;   in Loop: Header=BB466_8 Depth=1
	s_and_not1_saveexec_b32 s2, s1
; %bb.115:                              ;   in Loop: Header=BB466_8 Depth=1
	v_and_b32_e32 v1, 0xffff, v0
	v_or_b32_e32 v2, 0x10000, v0
	s_delay_alu instid0(VALU_DEP_2) | instskip(NEXT) | instid1(VALU_DEP_1)
	v_cmp_eq_u32_e64 s1, 0, v1
	v_cndmask_b32_e64 v133, v2, v0, s1
; %bb.116:                              ;   in Loop: Header=BB466_8 Depth=1
	s_or_b32 exec_lo, exec_lo, s2
	v_lshrrev_b16 v1, 8, v30
	v_mov_b32_e32 v0, 0
	s_mov_b32 s2, exec_lo
	s_delay_alu instid0(VALU_DEP_2)
	v_cmpx_ne_u16_e32 0, v1
	s_cbranch_execz .LBB466_124
; %bb.117:                              ;   in Loop: Header=BB466_8 Depth=1
	v_bfrev_b32_e32 v0, 1
	s_mov_b32 s18, exec_lo
	v_cmpx_ne_u16_e32 0x80, v1
	s_cbranch_execz .LBB466_123
; %bb.118:                              ;   in Loop: Header=BB466_8 Depth=1
	v_and_b32_e32 v2, 0xffff, v1
	v_mov_b32_e32 v0, 0x7f800001
	s_mov_b32 s19, exec_lo
	s_delay_alu instid0(VALU_DEP_2) | instskip(NEXT) | instid1(VALU_DEP_1)
	v_and_b32_e32 v1, 0x7f, v2
	v_cmpx_ne_u32_e32 0x7f, v1
	s_cbranch_execz .LBB466_122
; %bb.119:                              ;   in Loop: Header=BB466_8 Depth=1
	v_and_b32_e32 v18, 7, v2
	v_lshrrev_b32_e32 v0, 3, v1
	v_mov_b32_e32 v33, v19
	s_mov_b32 s20, exec_lo
	s_delay_alu instid0(VALU_DEP_3)
	v_mov_b32_e32 v32, v18
	v_cmpx_gt_u32_e32 8, v1
; %bb.120:                              ;   in Loop: Header=BB466_8 Depth=1
	v_clz_i32_u32_e32 v0, v18
	s_delay_alu instid0(VALU_DEP_1) | instskip(NEXT) | instid1(VALU_DEP_1)
	v_min_u32_e32 v0, 32, v0
	v_subrev_nc_u32_e32 v1, 28, v0
	v_sub_nc_u32_e32 v0, 29, v0
	s_delay_alu instid0(VALU_DEP_2) | instskip(NEXT) | instid1(VALU_DEP_1)
	v_lshlrev_b64 v[1:2], v1, v[18:19]
	v_and_b32_e32 v32, 7, v1
; %bb.121:                              ;   in Loop: Header=BB466_8 Depth=1
	s_or_b32 exec_lo, exec_lo, s20
	v_lshlrev_b32_e32 v1, 16, v30
	s_delay_alu instid0(VALU_DEP_2) | instskip(SKIP_1) | instid1(VALU_DEP_3)
	v_lshlrev_b32_e32 v2, 20, v32
	v_lshl_add_u32 v0, v0, 23, 0x3c000000
	v_and_b32_e32 v1, 0x80000000, v1
	s_delay_alu instid0(VALU_DEP_1)
	v_or3_b32 v0, v2, v1, v0
.LBB466_122:                            ;   in Loop: Header=BB466_8 Depth=1
	s_or_b32 exec_lo, exec_lo, s19
.LBB466_123:                            ;   in Loop: Header=BB466_8 Depth=1
	s_delay_alu instid0(SALU_CYCLE_1)
	s_or_b32 exec_lo, exec_lo, s18
.LBB466_124:                            ;   in Loop: Header=BB466_8 Depth=1
	s_delay_alu instid0(SALU_CYCLE_1) | instskip(NEXT) | instid1(VALU_DEP_1)
	s_or_b32 exec_lo, exec_lo, s2
	v_mul_f32_e32 v0, v102, v0
	s_delay_alu instid0(VALU_DEP_1) | instskip(NEXT) | instid1(VALU_DEP_1)
	v_and_b32_e32 v1, 0x7f800000, v0
	v_cmp_ne_u32_e64 s1, 0x7f800000, v1
                                        ; implicit-def: $vgpr1
                                        ; kill: killed $vgpr1
	s_delay_alu instid0(VALU_DEP_1) | instskip(NEXT) | instid1(SALU_CYCLE_1)
	s_and_saveexec_b32 s2, s1
	s_xor_b32 s1, exec_lo, s2
	s_cbranch_execz .LBB466_126
; %bb.125:                              ;   in Loop: Header=BB466_8 Depth=1
	v_bfe_u32 v1, v0, 16, 1
	s_delay_alu instid0(VALU_DEP_1)
	v_add3_u32 v0, v0, v1, 0x7fff
	scratch_store_b32 off, v0, s32 offset:348 ; 4-byte Folded Spill
                                        ; implicit-def: $vgpr0
.LBB466_126:                            ;   in Loop: Header=BB466_8 Depth=1
	s_and_not1_saveexec_b32 s2, s1
	s_cbranch_execz .LBB466_128
; %bb.127:                              ;   in Loop: Header=BB466_8 Depth=1
	v_and_b32_e32 v1, 0xffff, v0
	v_or_b32_e32 v2, 0x10000, v0
	s_delay_alu instid0(VALU_DEP_2) | instskip(NEXT) | instid1(VALU_DEP_1)
	v_cmp_eq_u32_e64 s1, 0, v1
	v_cndmask_b32_e64 v0, v2, v0, s1
	scratch_store_b32 off, v0, s32 offset:348 ; 4-byte Folded Spill
.LBB466_128:                            ;   in Loop: Header=BB466_8 Depth=1
	s_or_b32 exec_lo, exec_lo, s2
	v_lshrrev_b32_e32 v0, 16, v30
	s_mov_b32 s2, exec_lo
	s_delay_alu instid0(VALU_DEP_1) | instskip(NEXT) | instid1(VALU_DEP_1)
	v_dual_mov_b32 v1, 0 :: v_dual_and_b32 v2, 0xff, v0
	v_cmpx_ne_u16_e32 0, v2
	s_cbranch_execz .LBB466_136
; %bb.129:                              ;   in Loop: Header=BB466_8 Depth=1
	v_bfrev_b32_e32 v1, 1
	s_mov_b32 s18, exec_lo
	v_cmpx_ne_u16_e32 0x80, v2
	s_cbranch_execz .LBB466_135
; %bb.130:                              ;   in Loop: Header=BB466_8 Depth=1
	v_bfe_u32 v2, v30, 16, 7
	v_mov_b32_e32 v1, 0x7f800001
	s_mov_b32 s19, exec_lo
	s_delay_alu instid0(VALU_DEP_2)
	v_cmpx_ne_u32_e32 0x7f, v2
	s_cbranch_execz .LBB466_134
; %bb.131:                              ;   in Loop: Header=BB466_8 Depth=1
	v_and_b32_e32 v18, 7, v0
	v_lshrrev_b32_e32 v1, 3, v2
	v_mov_b32_e32 v33, v19
	s_mov_b32 s20, exec_lo
	s_delay_alu instid0(VALU_DEP_3)
	v_mov_b32_e32 v32, v18
	v_cmpx_gt_u32_e32 8, v2
; %bb.132:                              ;   in Loop: Header=BB466_8 Depth=1
	v_clz_i32_u32_e32 v1, v18
	s_delay_alu instid0(VALU_DEP_1) | instskip(NEXT) | instid1(VALU_DEP_1)
	v_min_u32_e32 v1, 32, v1
	v_subrev_nc_u32_e32 v2, 28, v1
	v_sub_nc_u32_e32 v1, 29, v1
	s_delay_alu instid0(VALU_DEP_2) | instskip(NEXT) | instid1(VALU_DEP_1)
	v_lshlrev_b64 v[2:3], v2, v[18:19]
	v_and_b32_e32 v32, 7, v2
; %bb.133:                              ;   in Loop: Header=BB466_8 Depth=1
	s_or_b32 exec_lo, exec_lo, s20
	v_lshlrev_b32_e32 v0, 24, v0
	s_delay_alu instid0(VALU_DEP_2) | instskip(SKIP_1) | instid1(VALU_DEP_3)
	v_lshlrev_b32_e32 v2, 20, v32
	v_lshl_add_u32 v1, v1, 23, 0x3c000000
	v_and_b32_e32 v0, 0x80000000, v0
	s_delay_alu instid0(VALU_DEP_1)
	v_or3_b32 v1, v2, v0, v1
.LBB466_134:                            ;   in Loop: Header=BB466_8 Depth=1
	s_or_b32 exec_lo, exec_lo, s19
.LBB466_135:                            ;   in Loop: Header=BB466_8 Depth=1
	s_delay_alu instid0(SALU_CYCLE_1)
	s_or_b32 exec_lo, exec_lo, s18
.LBB466_136:                            ;   in Loop: Header=BB466_8 Depth=1
	s_delay_alu instid0(SALU_CYCLE_1) | instskip(NEXT) | instid1(VALU_DEP_1)
	s_or_b32 exec_lo, exec_lo, s2
	v_mul_f32_e32 v0, v102, v1
	s_delay_alu instid0(VALU_DEP_1) | instskip(NEXT) | instid1(VALU_DEP_1)
	v_and_b32_e32 v1, 0x7f800000, v0
	v_cmp_ne_u32_e64 s1, 0x7f800000, v1
                                        ; implicit-def: $vgpr1
                                        ; kill: killed $vgpr1
	s_delay_alu instid0(VALU_DEP_1) | instskip(NEXT) | instid1(SALU_CYCLE_1)
	s_and_saveexec_b32 s2, s1
	s_xor_b32 s1, exec_lo, s2
	s_cbranch_execz .LBB466_138
; %bb.137:                              ;   in Loop: Header=BB466_8 Depth=1
	v_bfe_u32 v1, v0, 16, 1
	s_delay_alu instid0(VALU_DEP_1)
	v_add3_u32 v0, v0, v1, 0x7fff
	scratch_store_b32 off, v0, s32 offset:352 ; 4-byte Folded Spill
                                        ; implicit-def: $vgpr0
.LBB466_138:                            ;   in Loop: Header=BB466_8 Depth=1
	s_and_not1_saveexec_b32 s2, s1
	s_cbranch_execz .LBB466_140
; %bb.139:                              ;   in Loop: Header=BB466_8 Depth=1
	v_and_b32_e32 v1, 0xffff, v0
	v_or_b32_e32 v2, 0x10000, v0
	s_delay_alu instid0(VALU_DEP_2) | instskip(NEXT) | instid1(VALU_DEP_1)
	v_cmp_eq_u32_e64 s1, 0, v1
	v_cndmask_b32_e64 v0, v2, v0, s1
	scratch_store_b32 off, v0, s32 offset:352 ; 4-byte Folded Spill
.LBB466_140:                            ;   in Loop: Header=BB466_8 Depth=1
	s_or_b32 exec_lo, exec_lo, s2
	v_mov_b32_e32 v1, 0
	s_mov_b32 s2, exec_lo
	v_cmpx_lt_u32_e32 0xffffff, v30
	s_cbranch_execz .LBB466_148
; %bb.141:                              ;   in Loop: Header=BB466_8 Depth=1
	v_lshrrev_b32_e32 v0, 24, v30
	v_bfrev_b32_e32 v1, 1
	s_mov_b32 s18, exec_lo
	s_delay_alu instid0(VALU_DEP_2)
	v_cmpx_ne_u32_e32 0x80, v0
	s_cbranch_execz .LBB466_147
; %bb.142:                              ;   in Loop: Header=BB466_8 Depth=1
	v_bfe_u32 v2, v30, 24, 7
	v_mov_b32_e32 v1, 0x7f800001
	s_mov_b32 s19, exec_lo
	s_delay_alu instid0(VALU_DEP_2)
	v_cmpx_ne_u32_e32 0x7f, v2
	s_cbranch_execz .LBB466_146
; %bb.143:                              ;   in Loop: Header=BB466_8 Depth=1
	v_and_b32_e32 v18, 7, v0
	v_lshrrev_b32_e32 v1, 3, v2
	v_mov_b32_e32 v33, v19
	s_mov_b32 s20, exec_lo
	s_delay_alu instid0(VALU_DEP_3)
	v_mov_b32_e32 v32, v18
	v_cmpx_gt_u32_e32 8, v2
; %bb.144:                              ;   in Loop: Header=BB466_8 Depth=1
	v_clz_i32_u32_e32 v1, v18
	s_delay_alu instid0(VALU_DEP_1) | instskip(NEXT) | instid1(VALU_DEP_1)
	v_min_u32_e32 v1, 32, v1
	v_subrev_nc_u32_e32 v2, 28, v1
	v_sub_nc_u32_e32 v1, 29, v1
	s_delay_alu instid0(VALU_DEP_2) | instskip(NEXT) | instid1(VALU_DEP_1)
	v_lshlrev_b64 v[2:3], v2, v[18:19]
	v_and_b32_e32 v32, 7, v2
; %bb.145:                              ;   in Loop: Header=BB466_8 Depth=1
	s_or_b32 exec_lo, exec_lo, s20
	v_lshlrev_b32_e32 v0, 24, v0
	s_delay_alu instid0(VALU_DEP_2) | instskip(SKIP_1) | instid1(VALU_DEP_3)
	v_lshlrev_b32_e32 v2, 20, v32
	v_lshl_add_u32 v1, v1, 23, 0x3c000000
	v_and_b32_e32 v0, 0x80000000, v0
	s_delay_alu instid0(VALU_DEP_1)
	v_or3_b32 v1, v2, v0, v1
.LBB466_146:                            ;   in Loop: Header=BB466_8 Depth=1
	s_or_b32 exec_lo, exec_lo, s19
.LBB466_147:                            ;   in Loop: Header=BB466_8 Depth=1
	s_delay_alu instid0(SALU_CYCLE_1)
	s_or_b32 exec_lo, exec_lo, s18
.LBB466_148:                            ;   in Loop: Header=BB466_8 Depth=1
	s_delay_alu instid0(SALU_CYCLE_1) | instskip(NEXT) | instid1(VALU_DEP_1)
	s_or_b32 exec_lo, exec_lo, s2
	v_mul_f32_e32 v0, v102, v1
	s_delay_alu instid0(VALU_DEP_1) | instskip(NEXT) | instid1(VALU_DEP_1)
	v_and_b32_e32 v1, 0x7f800000, v0
	v_cmp_ne_u32_e64 s1, 0x7f800000, v1
                                        ; implicit-def: $vgpr1
                                        ; kill: killed $vgpr1
	s_delay_alu instid0(VALU_DEP_1) | instskip(NEXT) | instid1(SALU_CYCLE_1)
	s_and_saveexec_b32 s2, s1
	s_xor_b32 s1, exec_lo, s2
	s_cbranch_execz .LBB466_150
; %bb.149:                              ;   in Loop: Header=BB466_8 Depth=1
	v_bfe_u32 v1, v0, 16, 1
	s_delay_alu instid0(VALU_DEP_1)
	v_add3_u32 v0, v0, v1, 0x7fff
	scratch_store_b32 off, v0, s32 offset:356 ; 4-byte Folded Spill
                                        ; implicit-def: $vgpr0
.LBB466_150:                            ;   in Loop: Header=BB466_8 Depth=1
	s_and_not1_saveexec_b32 s2, s1
	s_cbranch_execz .LBB466_152
; %bb.151:                              ;   in Loop: Header=BB466_8 Depth=1
	v_and_b32_e32 v1, 0xffff, v0
	v_or_b32_e32 v2, 0x10000, v0
	s_delay_alu instid0(VALU_DEP_2) | instskip(NEXT) | instid1(VALU_DEP_1)
	v_cmp_eq_u32_e64 s1, 0, v1
	v_cndmask_b32_e64 v0, v2, v0, s1
	scratch_store_b32 off, v0, s32 offset:356 ; 4-byte Folded Spill
.LBB466_152:                            ;   in Loop: Header=BB466_8 Depth=1
	s_or_b32 exec_lo, exec_lo, s2
	v_dual_mov_b32 v18, v31 :: v_dual_and_b32 v1, 0xff, v31
	v_mov_b32_e32 v0, 0
	s_mov_b32 s2, exec_lo
	s_delay_alu instid0(VALU_DEP_2)
	v_cmpx_ne_u16_e32 0, v1
	s_cbranch_execz .LBB466_160
; %bb.153:                              ;   in Loop: Header=BB466_8 Depth=1
	v_bfrev_b32_e32 v0, 1
	s_mov_b32 s18, exec_lo
	v_cmpx_ne_u16_e32 0x80, v1
	s_cbranch_execz .LBB466_159
; %bb.154:                              ;   in Loop: Header=BB466_8 Depth=1
	v_and_b32_e32 v1, 0x7f, v31
	v_mov_b32_e32 v0, 0x7f800001
	s_mov_b32 s19, exec_lo
	s_delay_alu instid0(VALU_DEP_2)
	v_cmpx_ne_u32_e32 0x7f, v1
	s_cbranch_execz .LBB466_158
; %bb.155:                              ;   in Loop: Header=BB466_8 Depth=1
	v_lshrrev_b32_e32 v0, 3, v1
	v_dual_mov_b32 v33, v19 :: v_dual_mov_b32 v32, v18
	s_mov_b32 s20, exec_lo
	v_cmpx_gt_u32_e32 8, v1
; %bb.156:                              ;   in Loop: Header=BB466_8 Depth=1
	v_and_b32_e32 v0, 7, v31
	s_delay_alu instid0(VALU_DEP_1) | instskip(NEXT) | instid1(VALU_DEP_1)
	v_clz_i32_u32_e32 v0, v0
	v_min_u32_e32 v0, 32, v0
	s_delay_alu instid0(VALU_DEP_1) | instskip(SKIP_1) | instid1(VALU_DEP_2)
	v_subrev_nc_u32_e32 v1, 28, v0
	v_sub_nc_u32_e32 v0, 29, v0
	v_lshlrev_b64 v[32:33], v1, v[18:19]
; %bb.157:                              ;   in Loop: Header=BB466_8 Depth=1
	s_or_b32 exec_lo, exec_lo, s20
	s_delay_alu instid0(VALU_DEP_1) | instskip(SKIP_2) | instid1(VALU_DEP_3)
	v_lshlrev_b32_e32 v1, 20, v32
	v_lshlrev_b32_e32 v2, 24, v18
	v_lshl_add_u32 v0, v0, 23, 0x3c000000
	v_and_b32_e32 v1, 0x700000, v1
	s_delay_alu instid0(VALU_DEP_3) | instskip(NEXT) | instid1(VALU_DEP_1)
	v_and_b32_e32 v2, 0x80000000, v2
	v_or3_b32 v0, v1, v2, v0
.LBB466_158:                            ;   in Loop: Header=BB466_8 Depth=1
	s_or_b32 exec_lo, exec_lo, s19
.LBB466_159:                            ;   in Loop: Header=BB466_8 Depth=1
	s_delay_alu instid0(SALU_CYCLE_1)
	s_or_b32 exec_lo, exec_lo, s18
.LBB466_160:                            ;   in Loop: Header=BB466_8 Depth=1
	s_delay_alu instid0(SALU_CYCLE_1) | instskip(NEXT) | instid1(VALU_DEP_1)
	s_or_b32 exec_lo, exec_lo, s2
	v_mul_f32_e32 v0, v102, v0
	s_delay_alu instid0(VALU_DEP_1) | instskip(NEXT) | instid1(VALU_DEP_1)
	v_and_b32_e32 v1, 0x7f800000, v0
	v_cmp_ne_u32_e64 s1, 0x7f800000, v1
                                        ; implicit-def: $vgpr1
                                        ; kill: killed $vgpr1
	s_delay_alu instid0(VALU_DEP_1) | instskip(NEXT) | instid1(SALU_CYCLE_1)
	s_and_saveexec_b32 s2, s1
	s_xor_b32 s1, exec_lo, s2
	s_cbranch_execz .LBB466_162
; %bb.161:                              ;   in Loop: Header=BB466_8 Depth=1
	v_bfe_u32 v1, v0, 16, 1
	s_delay_alu instid0(VALU_DEP_1)
	v_add3_u32 v0, v0, v1, 0x7fff
	scratch_store_b32 off, v0, s32 offset:360 ; 4-byte Folded Spill
                                        ; implicit-def: $vgpr0
.LBB466_162:                            ;   in Loop: Header=BB466_8 Depth=1
	s_and_not1_saveexec_b32 s2, s1
	s_cbranch_execz .LBB466_164
; %bb.163:                              ;   in Loop: Header=BB466_8 Depth=1
	v_and_b32_e32 v1, 0xffff, v0
	v_or_b32_e32 v2, 0x10000, v0
	s_delay_alu instid0(VALU_DEP_2) | instskip(NEXT) | instid1(VALU_DEP_1)
	v_cmp_eq_u32_e64 s1, 0, v1
	v_cndmask_b32_e64 v0, v2, v0, s1
	scratch_store_b32 off, v0, s32 offset:360 ; 4-byte Folded Spill
.LBB466_164:                            ;   in Loop: Header=BB466_8 Depth=1
	s_or_b32 exec_lo, exec_lo, s2
	v_lshrrev_b16 v1, 8, v18
	v_mov_b32_e32 v0, 0
	s_mov_b32 s2, exec_lo
	s_delay_alu instid0(VALU_DEP_2)
	v_cmpx_ne_u16_e32 0, v1
	s_cbranch_execz .LBB466_172
; %bb.165:                              ;   in Loop: Header=BB466_8 Depth=1
	v_bfrev_b32_e32 v0, 1
	s_mov_b32 s18, exec_lo
	v_cmpx_ne_u16_e32 0x80, v1
	s_cbranch_execz .LBB466_171
; %bb.166:                              ;   in Loop: Header=BB466_8 Depth=1
	v_and_b32_e32 v2, 0xffff, v1
	v_mov_b32_e32 v0, 0x7f800001
	s_mov_b32 s19, exec_lo
	s_delay_alu instid0(VALU_DEP_2) | instskip(NEXT) | instid1(VALU_DEP_1)
	v_and_b32_e32 v1, 0x7f, v2
	v_cmpx_ne_u32_e32 0x7f, v1
	s_cbranch_execz .LBB466_170
; %bb.167:                              ;   in Loop: Header=BB466_8 Depth=1
	v_dual_mov_b32 v33, v19 :: v_dual_and_b32 v32, 7, v2
	v_lshrrev_b32_e32 v0, 3, v1
	s_mov_b32 s20, exec_lo
	v_cmpx_gt_u32_e32 8, v1
; %bb.168:                              ;   in Loop: Header=BB466_8 Depth=1
	s_delay_alu instid0(VALU_DEP_3) | instskip(NEXT) | instid1(VALU_DEP_1)
	v_clz_i32_u32_e32 v0, v32
	v_min_u32_e32 v0, 32, v0
	s_delay_alu instid0(VALU_DEP_1) | instskip(SKIP_1) | instid1(VALU_DEP_2)
	v_subrev_nc_u32_e32 v1, 28, v0
	v_sub_nc_u32_e32 v0, 29, v0
	v_lshlrev_b64 v[1:2], v1, v[32:33]
	s_delay_alu instid0(VALU_DEP_1)
	v_and_b32_e32 v32, 7, v1
; %bb.169:                              ;   in Loop: Header=BB466_8 Depth=1
	s_or_b32 exec_lo, exec_lo, s20
	v_lshlrev_b32_e32 v1, 16, v18
	s_delay_alu instid0(VALU_DEP_2) | instskip(SKIP_1) | instid1(VALU_DEP_3)
	v_lshlrev_b32_e32 v2, 20, v32
	v_lshl_add_u32 v0, v0, 23, 0x3c000000
	v_and_b32_e32 v1, 0x80000000, v1
	s_delay_alu instid0(VALU_DEP_1)
	v_or3_b32 v0, v2, v1, v0
.LBB466_170:                            ;   in Loop: Header=BB466_8 Depth=1
	s_or_b32 exec_lo, exec_lo, s19
.LBB466_171:                            ;   in Loop: Header=BB466_8 Depth=1
	s_delay_alu instid0(SALU_CYCLE_1)
	s_or_b32 exec_lo, exec_lo, s18
.LBB466_172:                            ;   in Loop: Header=BB466_8 Depth=1
	s_delay_alu instid0(SALU_CYCLE_1) | instskip(NEXT) | instid1(VALU_DEP_1)
	s_or_b32 exec_lo, exec_lo, s2
	v_mul_f32_e32 v0, v102, v0
	s_delay_alu instid0(VALU_DEP_1) | instskip(NEXT) | instid1(VALU_DEP_1)
	v_and_b32_e32 v1, 0x7f800000, v0
	v_cmp_ne_u32_e64 s1, 0x7f800000, v1
                                        ; implicit-def: $vgpr1
                                        ; kill: killed $vgpr1
	s_delay_alu instid0(VALU_DEP_1) | instskip(NEXT) | instid1(SALU_CYCLE_1)
	s_and_saveexec_b32 s2, s1
	s_xor_b32 s1, exec_lo, s2
	s_cbranch_execz .LBB466_174
; %bb.173:                              ;   in Loop: Header=BB466_8 Depth=1
	v_bfe_u32 v1, v0, 16, 1
	s_delay_alu instid0(VALU_DEP_1)
	v_add3_u32 v0, v0, v1, 0x7fff
	scratch_store_b32 off, v0, s32 offset:364 ; 4-byte Folded Spill
                                        ; implicit-def: $vgpr0
.LBB466_174:                            ;   in Loop: Header=BB466_8 Depth=1
	s_and_not1_saveexec_b32 s2, s1
	s_cbranch_execz .LBB466_176
; %bb.175:                              ;   in Loop: Header=BB466_8 Depth=1
	v_and_b32_e32 v1, 0xffff, v0
	v_or_b32_e32 v2, 0x10000, v0
	s_delay_alu instid0(VALU_DEP_2) | instskip(NEXT) | instid1(VALU_DEP_1)
	v_cmp_eq_u32_e64 s1, 0, v1
	v_cndmask_b32_e64 v0, v2, v0, s1
	scratch_store_b32 off, v0, s32 offset:364 ; 4-byte Folded Spill
.LBB466_176:                            ;   in Loop: Header=BB466_8 Depth=1
	s_or_b32 exec_lo, exec_lo, s2
	v_lshrrev_b32_e32 v0, 16, v31
	s_mov_b32 s2, exec_lo
	s_delay_alu instid0(VALU_DEP_1) | instskip(NEXT) | instid1(VALU_DEP_1)
	v_dual_mov_b32 v1, 0 :: v_dual_and_b32 v2, 0xff, v0
	v_cmpx_ne_u16_e32 0, v2
	s_cbranch_execz .LBB466_184
; %bb.177:                              ;   in Loop: Header=BB466_8 Depth=1
	v_bfrev_b32_e32 v1, 1
	s_mov_b32 s18, exec_lo
	v_cmpx_ne_u16_e32 0x80, v2
	s_cbranch_execz .LBB466_183
; %bb.178:                              ;   in Loop: Header=BB466_8 Depth=1
	v_bfe_u32 v2, v31, 16, 7
	v_mov_b32_e32 v1, 0x7f800001
	s_mov_b32 s19, exec_lo
	s_delay_alu instid0(VALU_DEP_2)
	v_cmpx_ne_u32_e32 0x7f, v2
	s_cbranch_execz .LBB466_182
; %bb.179:                              ;   in Loop: Header=BB466_8 Depth=1
	v_and_b32_e32 v18, 7, v0
	v_lshrrev_b32_e32 v1, 3, v2
	v_mov_b32_e32 v33, v19
	s_mov_b32 s20, exec_lo
	s_delay_alu instid0(VALU_DEP_3)
	v_mov_b32_e32 v32, v18
	v_cmpx_gt_u32_e32 8, v2
; %bb.180:                              ;   in Loop: Header=BB466_8 Depth=1
	v_clz_i32_u32_e32 v1, v18
	s_delay_alu instid0(VALU_DEP_1) | instskip(NEXT) | instid1(VALU_DEP_1)
	v_min_u32_e32 v1, 32, v1
	v_subrev_nc_u32_e32 v2, 28, v1
	v_sub_nc_u32_e32 v1, 29, v1
	s_delay_alu instid0(VALU_DEP_2) | instskip(NEXT) | instid1(VALU_DEP_1)
	v_lshlrev_b64 v[2:3], v2, v[18:19]
	v_and_b32_e32 v32, 7, v2
; %bb.181:                              ;   in Loop: Header=BB466_8 Depth=1
	s_or_b32 exec_lo, exec_lo, s20
	v_lshlrev_b32_e32 v0, 24, v0
	s_delay_alu instid0(VALU_DEP_2) | instskip(SKIP_1) | instid1(VALU_DEP_3)
	v_lshlrev_b32_e32 v2, 20, v32
	v_lshl_add_u32 v1, v1, 23, 0x3c000000
	v_and_b32_e32 v0, 0x80000000, v0
	s_delay_alu instid0(VALU_DEP_1)
	v_or3_b32 v1, v2, v0, v1
.LBB466_182:                            ;   in Loop: Header=BB466_8 Depth=1
	s_or_b32 exec_lo, exec_lo, s19
.LBB466_183:                            ;   in Loop: Header=BB466_8 Depth=1
	s_delay_alu instid0(SALU_CYCLE_1)
	s_or_b32 exec_lo, exec_lo, s18
.LBB466_184:                            ;   in Loop: Header=BB466_8 Depth=1
	s_delay_alu instid0(SALU_CYCLE_1) | instskip(NEXT) | instid1(VALU_DEP_1)
	s_or_b32 exec_lo, exec_lo, s2
	v_mul_f32_e32 v0, v102, v1
	s_delay_alu instid0(VALU_DEP_1) | instskip(NEXT) | instid1(VALU_DEP_1)
	v_and_b32_e32 v1, 0x7f800000, v0
	v_cmp_ne_u32_e64 s1, 0x7f800000, v1
                                        ; implicit-def: $vgpr1
                                        ; kill: killed $vgpr1
	s_delay_alu instid0(VALU_DEP_1) | instskip(NEXT) | instid1(SALU_CYCLE_1)
	s_and_saveexec_b32 s2, s1
	s_xor_b32 s1, exec_lo, s2
	s_cbranch_execz .LBB466_186
; %bb.185:                              ;   in Loop: Header=BB466_8 Depth=1
	v_bfe_u32 v1, v0, 16, 1
	s_delay_alu instid0(VALU_DEP_1)
	v_add3_u32 v0, v0, v1, 0x7fff
	scratch_store_b32 off, v0, s32 offset:368 ; 4-byte Folded Spill
                                        ; implicit-def: $vgpr0
.LBB466_186:                            ;   in Loop: Header=BB466_8 Depth=1
	s_and_not1_saveexec_b32 s2, s1
	s_cbranch_execz .LBB466_188
; %bb.187:                              ;   in Loop: Header=BB466_8 Depth=1
	v_and_b32_e32 v1, 0xffff, v0
	v_or_b32_e32 v2, 0x10000, v0
	s_delay_alu instid0(VALU_DEP_2) | instskip(NEXT) | instid1(VALU_DEP_1)
	v_cmp_eq_u32_e64 s1, 0, v1
	v_cndmask_b32_e64 v0, v2, v0, s1
	scratch_store_b32 off, v0, s32 offset:368 ; 4-byte Folded Spill
.LBB466_188:                            ;   in Loop: Header=BB466_8 Depth=1
	s_or_b32 exec_lo, exec_lo, s2
	v_mov_b32_e32 v1, 0
	s_mov_b32 s2, exec_lo
	v_cmpx_lt_u64_e64 s[8:9], v[30:31]
	s_cbranch_execz .LBB466_196
; %bb.189:                              ;   in Loop: Header=BB466_8 Depth=1
	v_lshrrev_b32_e32 v0, 24, v31
	v_bfrev_b32_e32 v1, 1
	s_mov_b32 s18, exec_lo
	s_delay_alu instid0(VALU_DEP_2)
	v_cmpx_ne_u32_e32 0x80, v0
	s_cbranch_execz .LBB466_195
; %bb.190:                              ;   in Loop: Header=BB466_8 Depth=1
	v_bfe_u32 v2, v31, 24, 7
	v_mov_b32_e32 v1, 0x7f800001
	s_mov_b32 s19, exec_lo
	s_delay_alu instid0(VALU_DEP_2)
	v_cmpx_ne_u32_e32 0x7f, v2
	s_cbranch_execz .LBB466_194
; %bb.191:                              ;   in Loop: Header=BB466_8 Depth=1
	v_and_b32_e32 v18, 7, v0
	v_lshrrev_b32_e32 v1, 3, v2
	v_mov_b32_e32 v31, v19
	s_mov_b32 s20, exec_lo
	s_delay_alu instid0(VALU_DEP_3)
	v_mov_b32_e32 v30, v18
	v_cmpx_gt_u32_e32 8, v2
; %bb.192:                              ;   in Loop: Header=BB466_8 Depth=1
	v_clz_i32_u32_e32 v1, v18
	s_delay_alu instid0(VALU_DEP_1) | instskip(NEXT) | instid1(VALU_DEP_1)
	v_min_u32_e32 v1, 32, v1
	v_subrev_nc_u32_e32 v2, 28, v1
	v_sub_nc_u32_e32 v1, 29, v1
	s_delay_alu instid0(VALU_DEP_2) | instskip(NEXT) | instid1(VALU_DEP_1)
	v_lshlrev_b64 v[2:3], v2, v[18:19]
	v_and_b32_e32 v30, 7, v2
; %bb.193:                              ;   in Loop: Header=BB466_8 Depth=1
	s_or_b32 exec_lo, exec_lo, s20
	v_lshlrev_b32_e32 v0, 24, v0
	s_delay_alu instid0(VALU_DEP_2) | instskip(SKIP_1) | instid1(VALU_DEP_3)
	v_lshlrev_b32_e32 v2, 20, v30
	v_lshl_add_u32 v1, v1, 23, 0x3c000000
	v_and_b32_e32 v0, 0x80000000, v0
	s_delay_alu instid0(VALU_DEP_1)
	v_or3_b32 v1, v2, v0, v1
.LBB466_194:                            ;   in Loop: Header=BB466_8 Depth=1
	s_or_b32 exec_lo, exec_lo, s19
.LBB466_195:                            ;   in Loop: Header=BB466_8 Depth=1
	s_delay_alu instid0(SALU_CYCLE_1)
	s_or_b32 exec_lo, exec_lo, s18
.LBB466_196:                            ;   in Loop: Header=BB466_8 Depth=1
	s_delay_alu instid0(SALU_CYCLE_1) | instskip(NEXT) | instid1(VALU_DEP_1)
	s_or_b32 exec_lo, exec_lo, s2
	v_mul_f32_e32 v0, v102, v1
	s_delay_alu instid0(VALU_DEP_1) | instskip(NEXT) | instid1(VALU_DEP_1)
	v_and_b32_e32 v1, 0x7f800000, v0
	v_cmp_ne_u32_e64 s1, 0x7f800000, v1
                                        ; implicit-def: $vgpr1
                                        ; kill: killed $vgpr1
	s_delay_alu instid0(VALU_DEP_1) | instskip(NEXT) | instid1(SALU_CYCLE_1)
	s_and_saveexec_b32 s2, s1
	s_xor_b32 s1, exec_lo, s2
	s_cbranch_execz .LBB466_198
; %bb.197:                              ;   in Loop: Header=BB466_8 Depth=1
	v_bfe_u32 v1, v0, 16, 1
	s_delay_alu instid0(VALU_DEP_1)
	v_add3_u32 v0, v0, v1, 0x7fff
	scratch_store_b32 off, v0, s32 offset:372 ; 4-byte Folded Spill
                                        ; implicit-def: $vgpr0
.LBB466_198:                            ;   in Loop: Header=BB466_8 Depth=1
	s_and_not1_saveexec_b32 s2, s1
	s_cbranch_execz .LBB466_200
; %bb.199:                              ;   in Loop: Header=BB466_8 Depth=1
	v_and_b32_e32 v1, 0xffff, v0
	v_or_b32_e32 v2, 0x10000, v0
	s_delay_alu instid0(VALU_DEP_2) | instskip(NEXT) | instid1(VALU_DEP_1)
	v_cmp_eq_u32_e64 s1, 0, v1
	v_cndmask_b32_e64 v0, v2, v0, s1
	scratch_store_b32 off, v0, s32 offset:372 ; 4-byte Folded Spill
.LBB466_200:                            ;   in Loop: Header=BB466_8 Depth=1
	s_or_b32 exec_lo, exec_lo, s2
	flat_load_b64 v[30:31], v[28:29] offset:512
	s_mov_b32 s2, exec_lo
	s_waitcnt vmcnt(0) lgkmcnt(0)
	v_dual_mov_b32 v0, 0 :: v_dual_and_b32 v1, 0xff, v30
	s_delay_alu instid0(VALU_DEP_1)
	v_cmpx_ne_u16_e32 0, v1
	s_cbranch_execz .LBB466_208
; %bb.201:                              ;   in Loop: Header=BB466_8 Depth=1
	v_bfrev_b32_e32 v0, 1
	s_mov_b32 s18, exec_lo
	v_cmpx_ne_u16_e32 0x80, v1
	s_cbranch_execz .LBB466_207
; %bb.202:                              ;   in Loop: Header=BB466_8 Depth=1
	v_and_b32_e32 v1, 0x7f, v30
	v_mov_b32_e32 v0, 0x7f800001
	s_mov_b32 s19, exec_lo
	s_delay_alu instid0(VALU_DEP_2)
	v_cmpx_ne_u32_e32 0x7f, v1
	s_cbranch_execz .LBB466_206
; %bb.203:                              ;   in Loop: Header=BB466_8 Depth=1
	v_lshrrev_b32_e32 v0, 3, v1
	v_dual_mov_b32 v33, v31 :: v_dual_mov_b32 v32, v30
	s_mov_b32 s20, exec_lo
	v_cmpx_gt_u32_e32 8, v1
; %bb.204:                              ;   in Loop: Header=BB466_8 Depth=1
	v_and_b32_e32 v0, 7, v30
	s_delay_alu instid0(VALU_DEP_1) | instskip(NEXT) | instid1(VALU_DEP_1)
	v_clz_i32_u32_e32 v0, v0
	v_min_u32_e32 v0, 32, v0
	s_delay_alu instid0(VALU_DEP_1) | instskip(SKIP_1) | instid1(VALU_DEP_2)
	v_subrev_nc_u32_e32 v1, 28, v0
	v_sub_nc_u32_e32 v0, 29, v0
	v_lshlrev_b64 v[32:33], v1, v[30:31]
; %bb.205:                              ;   in Loop: Header=BB466_8 Depth=1
	s_or_b32 exec_lo, exec_lo, s20
	s_delay_alu instid0(VALU_DEP_1) | instskip(SKIP_2) | instid1(VALU_DEP_3)
	v_lshlrev_b32_e32 v1, 20, v32
	v_lshlrev_b32_e32 v2, 24, v30
	v_lshl_add_u32 v0, v0, 23, 0x3c000000
	v_and_b32_e32 v1, 0x700000, v1
	s_delay_alu instid0(VALU_DEP_3) | instskip(NEXT) | instid1(VALU_DEP_1)
	v_and_b32_e32 v2, 0x80000000, v2
	v_or3_b32 v0, v1, v2, v0
.LBB466_206:                            ;   in Loop: Header=BB466_8 Depth=1
	s_or_b32 exec_lo, exec_lo, s19
.LBB466_207:                            ;   in Loop: Header=BB466_8 Depth=1
	s_delay_alu instid0(SALU_CYCLE_1)
	s_or_b32 exec_lo, exec_lo, s18
.LBB466_208:                            ;   in Loop: Header=BB466_8 Depth=1
	s_delay_alu instid0(SALU_CYCLE_1) | instskip(NEXT) | instid1(VALU_DEP_1)
	s_or_b32 exec_lo, exec_lo, s2
	v_mul_f32_e32 v0, v102, v0
	s_delay_alu instid0(VALU_DEP_1) | instskip(NEXT) | instid1(VALU_DEP_1)
	v_and_b32_e32 v1, 0x7f800000, v0
	v_cmp_ne_u32_e64 s1, 0x7f800000, v1
                                        ; implicit-def: $vgpr1
                                        ; kill: killed $vgpr1
	s_delay_alu instid0(VALU_DEP_1) | instskip(NEXT) | instid1(SALU_CYCLE_1)
	s_and_saveexec_b32 s2, s1
	s_xor_b32 s1, exec_lo, s2
	s_cbranch_execz .LBB466_210
; %bb.209:                              ;   in Loop: Header=BB466_8 Depth=1
	v_bfe_u32 v1, v0, 16, 1
	s_delay_alu instid0(VALU_DEP_1)
	v_add3_u32 v0, v0, v1, 0x7fff
	scratch_store_b32 off, v0, s32 offset:376 ; 4-byte Folded Spill
                                        ; implicit-def: $vgpr0
.LBB466_210:                            ;   in Loop: Header=BB466_8 Depth=1
	s_and_not1_saveexec_b32 s2, s1
	s_cbranch_execz .LBB466_212
; %bb.211:                              ;   in Loop: Header=BB466_8 Depth=1
	v_and_b32_e32 v1, 0xffff, v0
	v_or_b32_e32 v2, 0x10000, v0
	s_delay_alu instid0(VALU_DEP_2) | instskip(NEXT) | instid1(VALU_DEP_1)
	v_cmp_eq_u32_e64 s1, 0, v1
	v_cndmask_b32_e64 v0, v2, v0, s1
	scratch_store_b32 off, v0, s32 offset:376 ; 4-byte Folded Spill
.LBB466_212:                            ;   in Loop: Header=BB466_8 Depth=1
	s_or_b32 exec_lo, exec_lo, s2
	v_lshrrev_b16 v1, 8, v30
	v_mov_b32_e32 v0, 0
	s_mov_b32 s2, exec_lo
	s_delay_alu instid0(VALU_DEP_2)
	v_cmpx_ne_u16_e32 0, v1
	s_cbranch_execz .LBB466_220
; %bb.213:                              ;   in Loop: Header=BB466_8 Depth=1
	v_bfrev_b32_e32 v0, 1
	s_mov_b32 s18, exec_lo
	v_cmpx_ne_u16_e32 0x80, v1
	s_cbranch_execz .LBB466_219
; %bb.214:                              ;   in Loop: Header=BB466_8 Depth=1
	v_and_b32_e32 v2, 0xffff, v1
	v_mov_b32_e32 v0, 0x7f800001
	s_mov_b32 s19, exec_lo
	s_delay_alu instid0(VALU_DEP_2) | instskip(NEXT) | instid1(VALU_DEP_1)
	v_and_b32_e32 v1, 0x7f, v2
	v_cmpx_ne_u32_e32 0x7f, v1
	s_cbranch_execz .LBB466_218
; %bb.215:                              ;   in Loop: Header=BB466_8 Depth=1
	v_and_b32_e32 v18, 7, v2
	v_lshrrev_b32_e32 v0, 3, v1
	v_mov_b32_e32 v33, v19
	s_mov_b32 s20, exec_lo
	s_delay_alu instid0(VALU_DEP_3)
	v_mov_b32_e32 v32, v18
	v_cmpx_gt_u32_e32 8, v1
; %bb.216:                              ;   in Loop: Header=BB466_8 Depth=1
	v_clz_i32_u32_e32 v0, v18
	s_delay_alu instid0(VALU_DEP_1) | instskip(NEXT) | instid1(VALU_DEP_1)
	v_min_u32_e32 v0, 32, v0
	v_subrev_nc_u32_e32 v1, 28, v0
	v_sub_nc_u32_e32 v0, 29, v0
	s_delay_alu instid0(VALU_DEP_2) | instskip(NEXT) | instid1(VALU_DEP_1)
	v_lshlrev_b64 v[1:2], v1, v[18:19]
	v_and_b32_e32 v32, 7, v1
; %bb.217:                              ;   in Loop: Header=BB466_8 Depth=1
	s_or_b32 exec_lo, exec_lo, s20
	v_lshlrev_b32_e32 v1, 16, v30
	s_delay_alu instid0(VALU_DEP_2) | instskip(SKIP_1) | instid1(VALU_DEP_3)
	v_lshlrev_b32_e32 v2, 20, v32
	v_lshl_add_u32 v0, v0, 23, 0x3c000000
	v_and_b32_e32 v1, 0x80000000, v1
	s_delay_alu instid0(VALU_DEP_1)
	v_or3_b32 v0, v2, v1, v0
.LBB466_218:                            ;   in Loop: Header=BB466_8 Depth=1
	s_or_b32 exec_lo, exec_lo, s19
.LBB466_219:                            ;   in Loop: Header=BB466_8 Depth=1
	s_delay_alu instid0(SALU_CYCLE_1)
	s_or_b32 exec_lo, exec_lo, s18
.LBB466_220:                            ;   in Loop: Header=BB466_8 Depth=1
	s_delay_alu instid0(SALU_CYCLE_1) | instskip(NEXT) | instid1(VALU_DEP_1)
	s_or_b32 exec_lo, exec_lo, s2
	v_mul_f32_e32 v0, v102, v0
	s_delay_alu instid0(VALU_DEP_1) | instskip(NEXT) | instid1(VALU_DEP_1)
	v_and_b32_e32 v1, 0x7f800000, v0
	v_cmp_ne_u32_e64 s1, 0x7f800000, v1
                                        ; implicit-def: $vgpr1
                                        ; kill: killed $vgpr1
	s_delay_alu instid0(VALU_DEP_1) | instskip(NEXT) | instid1(SALU_CYCLE_1)
	s_and_saveexec_b32 s2, s1
	s_xor_b32 s1, exec_lo, s2
	s_cbranch_execz .LBB466_222
; %bb.221:                              ;   in Loop: Header=BB466_8 Depth=1
	v_bfe_u32 v1, v0, 16, 1
	s_delay_alu instid0(VALU_DEP_1)
	v_add3_u32 v0, v0, v1, 0x7fff
	scratch_store_b32 off, v0, s32 offset:380 ; 4-byte Folded Spill
                                        ; implicit-def: $vgpr0
.LBB466_222:                            ;   in Loop: Header=BB466_8 Depth=1
	s_and_not1_saveexec_b32 s2, s1
	s_cbranch_execz .LBB466_224
; %bb.223:                              ;   in Loop: Header=BB466_8 Depth=1
	v_and_b32_e32 v1, 0xffff, v0
	v_or_b32_e32 v2, 0x10000, v0
	s_delay_alu instid0(VALU_DEP_2) | instskip(NEXT) | instid1(VALU_DEP_1)
	v_cmp_eq_u32_e64 s1, 0, v1
	v_cndmask_b32_e64 v0, v2, v0, s1
	scratch_store_b32 off, v0, s32 offset:380 ; 4-byte Folded Spill
.LBB466_224:                            ;   in Loop: Header=BB466_8 Depth=1
	s_or_b32 exec_lo, exec_lo, s2
	v_lshrrev_b32_e32 v0, 16, v30
	s_mov_b32 s2, exec_lo
	s_delay_alu instid0(VALU_DEP_1) | instskip(NEXT) | instid1(VALU_DEP_1)
	v_dual_mov_b32 v1, 0 :: v_dual_and_b32 v2, 0xff, v0
	v_cmpx_ne_u16_e32 0, v2
	s_cbranch_execz .LBB466_232
; %bb.225:                              ;   in Loop: Header=BB466_8 Depth=1
	v_bfrev_b32_e32 v1, 1
	s_mov_b32 s18, exec_lo
	v_cmpx_ne_u16_e32 0x80, v2
	s_cbranch_execz .LBB466_231
; %bb.226:                              ;   in Loop: Header=BB466_8 Depth=1
	v_bfe_u32 v2, v30, 16, 7
	v_mov_b32_e32 v1, 0x7f800001
	s_mov_b32 s19, exec_lo
	s_delay_alu instid0(VALU_DEP_2)
	v_cmpx_ne_u32_e32 0x7f, v2
	s_cbranch_execz .LBB466_230
; %bb.227:                              ;   in Loop: Header=BB466_8 Depth=1
	v_and_b32_e32 v18, 7, v0
	v_lshrrev_b32_e32 v1, 3, v2
	v_mov_b32_e32 v33, v19
	s_mov_b32 s20, exec_lo
	s_delay_alu instid0(VALU_DEP_3)
	v_mov_b32_e32 v32, v18
	v_cmpx_gt_u32_e32 8, v2
; %bb.228:                              ;   in Loop: Header=BB466_8 Depth=1
	v_clz_i32_u32_e32 v1, v18
	s_delay_alu instid0(VALU_DEP_1) | instskip(NEXT) | instid1(VALU_DEP_1)
	v_min_u32_e32 v1, 32, v1
	v_subrev_nc_u32_e32 v2, 28, v1
	v_sub_nc_u32_e32 v1, 29, v1
	s_delay_alu instid0(VALU_DEP_2) | instskip(NEXT) | instid1(VALU_DEP_1)
	v_lshlrev_b64 v[2:3], v2, v[18:19]
	v_and_b32_e32 v32, 7, v2
; %bb.229:                              ;   in Loop: Header=BB466_8 Depth=1
	s_or_b32 exec_lo, exec_lo, s20
	v_lshlrev_b32_e32 v0, 24, v0
	s_delay_alu instid0(VALU_DEP_2) | instskip(SKIP_1) | instid1(VALU_DEP_3)
	v_lshlrev_b32_e32 v2, 20, v32
	v_lshl_add_u32 v1, v1, 23, 0x3c000000
	v_and_b32_e32 v0, 0x80000000, v0
	s_delay_alu instid0(VALU_DEP_1)
	v_or3_b32 v1, v2, v0, v1
.LBB466_230:                            ;   in Loop: Header=BB466_8 Depth=1
	s_or_b32 exec_lo, exec_lo, s19
.LBB466_231:                            ;   in Loop: Header=BB466_8 Depth=1
	s_delay_alu instid0(SALU_CYCLE_1)
	s_or_b32 exec_lo, exec_lo, s18
.LBB466_232:                            ;   in Loop: Header=BB466_8 Depth=1
	s_delay_alu instid0(SALU_CYCLE_1) | instskip(NEXT) | instid1(VALU_DEP_1)
	s_or_b32 exec_lo, exec_lo, s2
	v_mul_f32_e32 v0, v102, v1
	s_delay_alu instid0(VALU_DEP_1) | instskip(NEXT) | instid1(VALU_DEP_1)
	v_and_b32_e32 v1, 0x7f800000, v0
	v_cmp_ne_u32_e64 s1, 0x7f800000, v1
                                        ; implicit-def: $vgpr1
                                        ; kill: killed $vgpr1
	s_delay_alu instid0(VALU_DEP_1) | instskip(NEXT) | instid1(SALU_CYCLE_1)
	s_and_saveexec_b32 s2, s1
	s_xor_b32 s1, exec_lo, s2
	s_cbranch_execz .LBB466_234
; %bb.233:                              ;   in Loop: Header=BB466_8 Depth=1
	v_bfe_u32 v1, v0, 16, 1
	s_delay_alu instid0(VALU_DEP_1)
	v_add3_u32 v0, v0, v1, 0x7fff
	scratch_store_b32 off, v0, s32 offset:384 ; 4-byte Folded Spill
                                        ; implicit-def: $vgpr0
.LBB466_234:                            ;   in Loop: Header=BB466_8 Depth=1
	s_and_not1_saveexec_b32 s2, s1
	s_cbranch_execz .LBB466_236
; %bb.235:                              ;   in Loop: Header=BB466_8 Depth=1
	v_and_b32_e32 v1, 0xffff, v0
	v_or_b32_e32 v2, 0x10000, v0
	s_delay_alu instid0(VALU_DEP_2) | instskip(NEXT) | instid1(VALU_DEP_1)
	v_cmp_eq_u32_e64 s1, 0, v1
	v_cndmask_b32_e64 v0, v2, v0, s1
	scratch_store_b32 off, v0, s32 offset:384 ; 4-byte Folded Spill
.LBB466_236:                            ;   in Loop: Header=BB466_8 Depth=1
	s_or_b32 exec_lo, exec_lo, s2
	v_mov_b32_e32 v1, 0
	s_mov_b32 s2, exec_lo
	v_cmpx_lt_u32_e32 0xffffff, v30
	s_cbranch_execz .LBB466_244
; %bb.237:                              ;   in Loop: Header=BB466_8 Depth=1
	v_lshrrev_b32_e32 v0, 24, v30
	v_bfrev_b32_e32 v1, 1
	s_mov_b32 s18, exec_lo
	s_delay_alu instid0(VALU_DEP_2)
	v_cmpx_ne_u32_e32 0x80, v0
	s_cbranch_execz .LBB466_243
; %bb.238:                              ;   in Loop: Header=BB466_8 Depth=1
	v_bfe_u32 v2, v30, 24, 7
	v_mov_b32_e32 v1, 0x7f800001
	s_mov_b32 s19, exec_lo
	s_delay_alu instid0(VALU_DEP_2)
	v_cmpx_ne_u32_e32 0x7f, v2
	s_cbranch_execz .LBB466_242
; %bb.239:                              ;   in Loop: Header=BB466_8 Depth=1
	v_and_b32_e32 v18, 7, v0
	v_lshrrev_b32_e32 v1, 3, v2
	v_mov_b32_e32 v33, v19
	s_mov_b32 s20, exec_lo
	s_delay_alu instid0(VALU_DEP_3)
	v_mov_b32_e32 v32, v18
	v_cmpx_gt_u32_e32 8, v2
; %bb.240:                              ;   in Loop: Header=BB466_8 Depth=1
	v_clz_i32_u32_e32 v1, v18
	s_delay_alu instid0(VALU_DEP_1) | instskip(NEXT) | instid1(VALU_DEP_1)
	v_min_u32_e32 v1, 32, v1
	v_subrev_nc_u32_e32 v2, 28, v1
	v_sub_nc_u32_e32 v1, 29, v1
	s_delay_alu instid0(VALU_DEP_2) | instskip(NEXT) | instid1(VALU_DEP_1)
	v_lshlrev_b64 v[2:3], v2, v[18:19]
	v_and_b32_e32 v32, 7, v2
; %bb.241:                              ;   in Loop: Header=BB466_8 Depth=1
	s_or_b32 exec_lo, exec_lo, s20
	v_lshlrev_b32_e32 v0, 24, v0
	s_delay_alu instid0(VALU_DEP_2) | instskip(SKIP_1) | instid1(VALU_DEP_3)
	v_lshlrev_b32_e32 v2, 20, v32
	v_lshl_add_u32 v1, v1, 23, 0x3c000000
	v_and_b32_e32 v0, 0x80000000, v0
	s_delay_alu instid0(VALU_DEP_1)
	v_or3_b32 v1, v2, v0, v1
.LBB466_242:                            ;   in Loop: Header=BB466_8 Depth=1
	s_or_b32 exec_lo, exec_lo, s19
.LBB466_243:                            ;   in Loop: Header=BB466_8 Depth=1
	s_delay_alu instid0(SALU_CYCLE_1)
	s_or_b32 exec_lo, exec_lo, s18
.LBB466_244:                            ;   in Loop: Header=BB466_8 Depth=1
	s_delay_alu instid0(SALU_CYCLE_1) | instskip(NEXT) | instid1(VALU_DEP_1)
	s_or_b32 exec_lo, exec_lo, s2
	v_mul_f32_e32 v0, v102, v1
	s_delay_alu instid0(VALU_DEP_1) | instskip(NEXT) | instid1(VALU_DEP_1)
	v_and_b32_e32 v1, 0x7f800000, v0
	v_cmp_ne_u32_e64 s1, 0x7f800000, v1
                                        ; implicit-def: $vgpr1
                                        ; kill: killed $vgpr1
	s_delay_alu instid0(VALU_DEP_1) | instskip(NEXT) | instid1(SALU_CYCLE_1)
	s_and_saveexec_b32 s2, s1
	s_xor_b32 s1, exec_lo, s2
	s_cbranch_execz .LBB466_246
; %bb.245:                              ;   in Loop: Header=BB466_8 Depth=1
	v_bfe_u32 v1, v0, 16, 1
	s_delay_alu instid0(VALU_DEP_1)
	v_add3_u32 v0, v0, v1, 0x7fff
	scratch_store_b32 off, v0, s32 offset:388 ; 4-byte Folded Spill
                                        ; implicit-def: $vgpr0
.LBB466_246:                            ;   in Loop: Header=BB466_8 Depth=1
	s_and_not1_saveexec_b32 s2, s1
	s_cbranch_execz .LBB466_248
; %bb.247:                              ;   in Loop: Header=BB466_8 Depth=1
	v_and_b32_e32 v1, 0xffff, v0
	v_or_b32_e32 v2, 0x10000, v0
	s_delay_alu instid0(VALU_DEP_2) | instskip(NEXT) | instid1(VALU_DEP_1)
	v_cmp_eq_u32_e64 s1, 0, v1
	v_cndmask_b32_e64 v0, v2, v0, s1
	scratch_store_b32 off, v0, s32 offset:388 ; 4-byte Folded Spill
.LBB466_248:                            ;   in Loop: Header=BB466_8 Depth=1
	s_or_b32 exec_lo, exec_lo, s2
	v_dual_mov_b32 v18, v31 :: v_dual_and_b32 v1, 0xff, v31
	v_mov_b32_e32 v0, 0
	s_mov_b32 s2, exec_lo
	s_delay_alu instid0(VALU_DEP_2)
	v_cmpx_ne_u16_e32 0, v1
	s_cbranch_execz .LBB466_256
; %bb.249:                              ;   in Loop: Header=BB466_8 Depth=1
	v_bfrev_b32_e32 v0, 1
	s_mov_b32 s18, exec_lo
	v_cmpx_ne_u16_e32 0x80, v1
	s_cbranch_execz .LBB466_255
; %bb.250:                              ;   in Loop: Header=BB466_8 Depth=1
	v_and_b32_e32 v1, 0x7f, v31
	v_mov_b32_e32 v0, 0x7f800001
	s_mov_b32 s19, exec_lo
	s_delay_alu instid0(VALU_DEP_2)
	v_cmpx_ne_u32_e32 0x7f, v1
	s_cbranch_execz .LBB466_254
; %bb.251:                              ;   in Loop: Header=BB466_8 Depth=1
	v_lshrrev_b32_e32 v0, 3, v1
	v_dual_mov_b32 v33, v19 :: v_dual_mov_b32 v32, v18
	s_mov_b32 s20, exec_lo
	v_cmpx_gt_u32_e32 8, v1
; %bb.252:                              ;   in Loop: Header=BB466_8 Depth=1
	v_and_b32_e32 v0, 7, v31
	s_delay_alu instid0(VALU_DEP_1) | instskip(NEXT) | instid1(VALU_DEP_1)
	v_clz_i32_u32_e32 v0, v0
	v_min_u32_e32 v0, 32, v0
	s_delay_alu instid0(VALU_DEP_1) | instskip(SKIP_1) | instid1(VALU_DEP_2)
	v_subrev_nc_u32_e32 v1, 28, v0
	v_sub_nc_u32_e32 v0, 29, v0
	v_lshlrev_b64 v[32:33], v1, v[18:19]
; %bb.253:                              ;   in Loop: Header=BB466_8 Depth=1
	s_or_b32 exec_lo, exec_lo, s20
	s_delay_alu instid0(VALU_DEP_1) | instskip(SKIP_2) | instid1(VALU_DEP_3)
	v_lshlrev_b32_e32 v1, 20, v32
	v_lshlrev_b32_e32 v2, 24, v18
	v_lshl_add_u32 v0, v0, 23, 0x3c000000
	v_and_b32_e32 v1, 0x700000, v1
	s_delay_alu instid0(VALU_DEP_3) | instskip(NEXT) | instid1(VALU_DEP_1)
	v_and_b32_e32 v2, 0x80000000, v2
	v_or3_b32 v0, v1, v2, v0
.LBB466_254:                            ;   in Loop: Header=BB466_8 Depth=1
	s_or_b32 exec_lo, exec_lo, s19
.LBB466_255:                            ;   in Loop: Header=BB466_8 Depth=1
	s_delay_alu instid0(SALU_CYCLE_1)
	s_or_b32 exec_lo, exec_lo, s18
.LBB466_256:                            ;   in Loop: Header=BB466_8 Depth=1
	s_delay_alu instid0(SALU_CYCLE_1) | instskip(NEXT) | instid1(VALU_DEP_1)
	s_or_b32 exec_lo, exec_lo, s2
	v_mul_f32_e32 v0, v102, v0
                                        ; implicit-def: $vgpr145
	s_delay_alu instid0(VALU_DEP_1) | instskip(NEXT) | instid1(VALU_DEP_1)
	v_and_b32_e32 v1, 0x7f800000, v0
	v_cmp_ne_u32_e64 s1, 0x7f800000, v1
	s_delay_alu instid0(VALU_DEP_1) | instskip(NEXT) | instid1(SALU_CYCLE_1)
	s_and_saveexec_b32 s2, s1
	s_xor_b32 s1, exec_lo, s2
; %bb.257:                              ;   in Loop: Header=BB466_8 Depth=1
	v_bfe_u32 v1, v0, 16, 1
	s_delay_alu instid0(VALU_DEP_1)
	v_add3_u32 v145, v0, v1, 0x7fff
                                        ; implicit-def: $vgpr0
; %bb.258:                              ;   in Loop: Header=BB466_8 Depth=1
	s_and_not1_saveexec_b32 s2, s1
; %bb.259:                              ;   in Loop: Header=BB466_8 Depth=1
	v_and_b32_e32 v1, 0xffff, v0
	v_or_b32_e32 v2, 0x10000, v0
	s_delay_alu instid0(VALU_DEP_2) | instskip(NEXT) | instid1(VALU_DEP_1)
	v_cmp_eq_u32_e64 s1, 0, v1
	v_cndmask_b32_e64 v145, v2, v0, s1
; %bb.260:                              ;   in Loop: Header=BB466_8 Depth=1
	s_or_b32 exec_lo, exec_lo, s2
	v_lshrrev_b16 v1, 8, v18
	v_mov_b32_e32 v0, 0
	s_mov_b32 s2, exec_lo
	s_delay_alu instid0(VALU_DEP_2)
	v_cmpx_ne_u16_e32 0, v1
	s_cbranch_execz .LBB466_268
; %bb.261:                              ;   in Loop: Header=BB466_8 Depth=1
	v_bfrev_b32_e32 v0, 1
	s_mov_b32 s18, exec_lo
	v_cmpx_ne_u16_e32 0x80, v1
	s_cbranch_execz .LBB466_267
; %bb.262:                              ;   in Loop: Header=BB466_8 Depth=1
	v_and_b32_e32 v2, 0xffff, v1
	v_mov_b32_e32 v0, 0x7f800001
	s_mov_b32 s19, exec_lo
	s_delay_alu instid0(VALU_DEP_2) | instskip(NEXT) | instid1(VALU_DEP_1)
	v_and_b32_e32 v1, 0x7f, v2
	v_cmpx_ne_u32_e32 0x7f, v1
	s_cbranch_execz .LBB466_266
; %bb.263:                              ;   in Loop: Header=BB466_8 Depth=1
	v_dual_mov_b32 v33, v19 :: v_dual_and_b32 v32, 7, v2
	v_lshrrev_b32_e32 v0, 3, v1
	s_mov_b32 s20, exec_lo
	v_cmpx_gt_u32_e32 8, v1
; %bb.264:                              ;   in Loop: Header=BB466_8 Depth=1
	s_delay_alu instid0(VALU_DEP_3) | instskip(NEXT) | instid1(VALU_DEP_1)
	v_clz_i32_u32_e32 v0, v32
	v_min_u32_e32 v0, 32, v0
	s_delay_alu instid0(VALU_DEP_1) | instskip(SKIP_1) | instid1(VALU_DEP_2)
	v_subrev_nc_u32_e32 v1, 28, v0
	v_sub_nc_u32_e32 v0, 29, v0
	v_lshlrev_b64 v[1:2], v1, v[32:33]
	s_delay_alu instid0(VALU_DEP_1)
	v_and_b32_e32 v32, 7, v1
; %bb.265:                              ;   in Loop: Header=BB466_8 Depth=1
	s_or_b32 exec_lo, exec_lo, s20
	v_lshlrev_b32_e32 v1, 16, v18
	s_delay_alu instid0(VALU_DEP_2) | instskip(SKIP_1) | instid1(VALU_DEP_3)
	v_lshlrev_b32_e32 v2, 20, v32
	v_lshl_add_u32 v0, v0, 23, 0x3c000000
	v_and_b32_e32 v1, 0x80000000, v1
	s_delay_alu instid0(VALU_DEP_1)
	v_or3_b32 v0, v2, v1, v0
.LBB466_266:                            ;   in Loop: Header=BB466_8 Depth=1
	s_or_b32 exec_lo, exec_lo, s19
.LBB466_267:                            ;   in Loop: Header=BB466_8 Depth=1
	s_delay_alu instid0(SALU_CYCLE_1)
	s_or_b32 exec_lo, exec_lo, s18
.LBB466_268:                            ;   in Loop: Header=BB466_8 Depth=1
	s_delay_alu instid0(SALU_CYCLE_1) | instskip(NEXT) | instid1(VALU_DEP_1)
	s_or_b32 exec_lo, exec_lo, s2
	v_mul_f32_e32 v0, v102, v0
                                        ; implicit-def: $vgpr146
	s_delay_alu instid0(VALU_DEP_1) | instskip(NEXT) | instid1(VALU_DEP_1)
	v_and_b32_e32 v1, 0x7f800000, v0
	v_cmp_ne_u32_e64 s1, 0x7f800000, v1
	s_delay_alu instid0(VALU_DEP_1) | instskip(NEXT) | instid1(SALU_CYCLE_1)
	s_and_saveexec_b32 s2, s1
	s_xor_b32 s1, exec_lo, s2
; %bb.269:                              ;   in Loop: Header=BB466_8 Depth=1
	v_bfe_u32 v1, v0, 16, 1
	s_delay_alu instid0(VALU_DEP_1)
	v_add3_u32 v146, v0, v1, 0x7fff
                                        ; implicit-def: $vgpr0
; %bb.270:                              ;   in Loop: Header=BB466_8 Depth=1
	s_and_not1_saveexec_b32 s2, s1
; %bb.271:                              ;   in Loop: Header=BB466_8 Depth=1
	v_and_b32_e32 v1, 0xffff, v0
	v_or_b32_e32 v2, 0x10000, v0
	s_delay_alu instid0(VALU_DEP_2) | instskip(NEXT) | instid1(VALU_DEP_1)
	v_cmp_eq_u32_e64 s1, 0, v1
	v_cndmask_b32_e64 v146, v2, v0, s1
; %bb.272:                              ;   in Loop: Header=BB466_8 Depth=1
	s_or_b32 exec_lo, exec_lo, s2
	v_lshrrev_b32_e32 v0, 16, v31
	s_mov_b32 s2, exec_lo
	s_delay_alu instid0(VALU_DEP_1) | instskip(NEXT) | instid1(VALU_DEP_1)
	v_dual_mov_b32 v1, 0 :: v_dual_and_b32 v2, 0xff, v0
	v_cmpx_ne_u16_e32 0, v2
	s_cbranch_execz .LBB466_280
; %bb.273:                              ;   in Loop: Header=BB466_8 Depth=1
	v_bfrev_b32_e32 v1, 1
	s_mov_b32 s18, exec_lo
	v_cmpx_ne_u16_e32 0x80, v2
	s_cbranch_execz .LBB466_279
; %bb.274:                              ;   in Loop: Header=BB466_8 Depth=1
	v_bfe_u32 v2, v31, 16, 7
	v_mov_b32_e32 v1, 0x7f800001
	s_mov_b32 s19, exec_lo
	s_delay_alu instid0(VALU_DEP_2)
	v_cmpx_ne_u32_e32 0x7f, v2
	s_cbranch_execz .LBB466_278
; %bb.275:                              ;   in Loop: Header=BB466_8 Depth=1
	v_and_b32_e32 v18, 7, v0
	v_lshrrev_b32_e32 v1, 3, v2
	v_mov_b32_e32 v33, v19
	s_mov_b32 s20, exec_lo
	s_delay_alu instid0(VALU_DEP_3)
	v_mov_b32_e32 v32, v18
	v_cmpx_gt_u32_e32 8, v2
; %bb.276:                              ;   in Loop: Header=BB466_8 Depth=1
	v_clz_i32_u32_e32 v1, v18
	s_delay_alu instid0(VALU_DEP_1) | instskip(NEXT) | instid1(VALU_DEP_1)
	v_min_u32_e32 v1, 32, v1
	v_subrev_nc_u32_e32 v2, 28, v1
	v_sub_nc_u32_e32 v1, 29, v1
	s_delay_alu instid0(VALU_DEP_2) | instskip(NEXT) | instid1(VALU_DEP_1)
	v_lshlrev_b64 v[2:3], v2, v[18:19]
	v_and_b32_e32 v32, 7, v2
; %bb.277:                              ;   in Loop: Header=BB466_8 Depth=1
	s_or_b32 exec_lo, exec_lo, s20
	v_lshlrev_b32_e32 v0, 24, v0
	s_delay_alu instid0(VALU_DEP_2) | instskip(SKIP_1) | instid1(VALU_DEP_3)
	v_lshlrev_b32_e32 v2, 20, v32
	v_lshl_add_u32 v1, v1, 23, 0x3c000000
	v_and_b32_e32 v0, 0x80000000, v0
	s_delay_alu instid0(VALU_DEP_1)
	v_or3_b32 v1, v2, v0, v1
.LBB466_278:                            ;   in Loop: Header=BB466_8 Depth=1
	s_or_b32 exec_lo, exec_lo, s19
.LBB466_279:                            ;   in Loop: Header=BB466_8 Depth=1
	s_delay_alu instid0(SALU_CYCLE_1)
	s_or_b32 exec_lo, exec_lo, s18
.LBB466_280:                            ;   in Loop: Header=BB466_8 Depth=1
	s_delay_alu instid0(SALU_CYCLE_1) | instskip(NEXT) | instid1(VALU_DEP_1)
	s_or_b32 exec_lo, exec_lo, s2
	v_mul_f32_e32 v0, v102, v1
                                        ; implicit-def: $vgpr147
	s_delay_alu instid0(VALU_DEP_1) | instskip(NEXT) | instid1(VALU_DEP_1)
	v_and_b32_e32 v1, 0x7f800000, v0
	v_cmp_ne_u32_e64 s1, 0x7f800000, v1
	s_delay_alu instid0(VALU_DEP_1) | instskip(NEXT) | instid1(SALU_CYCLE_1)
	s_and_saveexec_b32 s2, s1
	s_xor_b32 s1, exec_lo, s2
; %bb.281:                              ;   in Loop: Header=BB466_8 Depth=1
	v_bfe_u32 v1, v0, 16, 1
	s_delay_alu instid0(VALU_DEP_1)
	v_add3_u32 v147, v0, v1, 0x7fff
                                        ; implicit-def: $vgpr0
; %bb.282:                              ;   in Loop: Header=BB466_8 Depth=1
	s_and_not1_saveexec_b32 s2, s1
; %bb.283:                              ;   in Loop: Header=BB466_8 Depth=1
	v_and_b32_e32 v1, 0xffff, v0
	v_or_b32_e32 v2, 0x10000, v0
	s_delay_alu instid0(VALU_DEP_2) | instskip(NEXT) | instid1(VALU_DEP_1)
	v_cmp_eq_u32_e64 s1, 0, v1
	v_cndmask_b32_e64 v147, v2, v0, s1
; %bb.284:                              ;   in Loop: Header=BB466_8 Depth=1
	s_or_b32 exec_lo, exec_lo, s2
	v_mov_b32_e32 v1, 0
	s_mov_b32 s2, exec_lo
	v_cmpx_lt_u64_e64 s[8:9], v[30:31]
	s_cbranch_execz .LBB466_292
; %bb.285:                              ;   in Loop: Header=BB466_8 Depth=1
	v_lshrrev_b32_e32 v0, 24, v31
	v_bfrev_b32_e32 v1, 1
	s_mov_b32 s18, exec_lo
	s_delay_alu instid0(VALU_DEP_2)
	v_cmpx_ne_u32_e32 0x80, v0
	s_cbranch_execz .LBB466_291
; %bb.286:                              ;   in Loop: Header=BB466_8 Depth=1
	v_bfe_u32 v2, v31, 24, 7
	v_mov_b32_e32 v1, 0x7f800001
	s_mov_b32 s19, exec_lo
	s_delay_alu instid0(VALU_DEP_2)
	v_cmpx_ne_u32_e32 0x7f, v2
	s_cbranch_execz .LBB466_290
; %bb.287:                              ;   in Loop: Header=BB466_8 Depth=1
	v_and_b32_e32 v18, 7, v0
	v_lshrrev_b32_e32 v1, 3, v2
	v_mov_b32_e32 v31, v19
	s_mov_b32 s20, exec_lo
	s_delay_alu instid0(VALU_DEP_3)
	v_mov_b32_e32 v30, v18
	v_cmpx_gt_u32_e32 8, v2
; %bb.288:                              ;   in Loop: Header=BB466_8 Depth=1
	v_clz_i32_u32_e32 v1, v18
	s_delay_alu instid0(VALU_DEP_1) | instskip(NEXT) | instid1(VALU_DEP_1)
	v_min_u32_e32 v1, 32, v1
	v_subrev_nc_u32_e32 v2, 28, v1
	v_sub_nc_u32_e32 v1, 29, v1
	s_delay_alu instid0(VALU_DEP_2) | instskip(NEXT) | instid1(VALU_DEP_1)
	v_lshlrev_b64 v[2:3], v2, v[18:19]
	v_and_b32_e32 v30, 7, v2
; %bb.289:                              ;   in Loop: Header=BB466_8 Depth=1
	s_or_b32 exec_lo, exec_lo, s20
	v_lshlrev_b32_e32 v0, 24, v0
	s_delay_alu instid0(VALU_DEP_2) | instskip(SKIP_1) | instid1(VALU_DEP_3)
	v_lshlrev_b32_e32 v2, 20, v30
	v_lshl_add_u32 v1, v1, 23, 0x3c000000
	v_and_b32_e32 v0, 0x80000000, v0
	s_delay_alu instid0(VALU_DEP_1)
	v_or3_b32 v1, v2, v0, v1
.LBB466_290:                            ;   in Loop: Header=BB466_8 Depth=1
	s_or_b32 exec_lo, exec_lo, s19
.LBB466_291:                            ;   in Loop: Header=BB466_8 Depth=1
	s_delay_alu instid0(SALU_CYCLE_1)
	s_or_b32 exec_lo, exec_lo, s18
.LBB466_292:                            ;   in Loop: Header=BB466_8 Depth=1
	s_delay_alu instid0(SALU_CYCLE_1) | instskip(NEXT) | instid1(VALU_DEP_1)
	s_or_b32 exec_lo, exec_lo, s2
	v_mul_f32_e32 v0, v102, v1
                                        ; implicit-def: $vgpr148
	s_delay_alu instid0(VALU_DEP_1) | instskip(NEXT) | instid1(VALU_DEP_1)
	v_and_b32_e32 v1, 0x7f800000, v0
	v_cmp_ne_u32_e64 s1, 0x7f800000, v1
	s_delay_alu instid0(VALU_DEP_1) | instskip(NEXT) | instid1(SALU_CYCLE_1)
	s_and_saveexec_b32 s2, s1
	s_xor_b32 s1, exec_lo, s2
; %bb.293:                              ;   in Loop: Header=BB466_8 Depth=1
	v_bfe_u32 v1, v0, 16, 1
	s_delay_alu instid0(VALU_DEP_1)
	v_add3_u32 v148, v0, v1, 0x7fff
                                        ; implicit-def: $vgpr0
; %bb.294:                              ;   in Loop: Header=BB466_8 Depth=1
	s_and_not1_saveexec_b32 s2, s1
; %bb.295:                              ;   in Loop: Header=BB466_8 Depth=1
	v_and_b32_e32 v1, 0xffff, v0
	v_or_b32_e32 v2, 0x10000, v0
	s_delay_alu instid0(VALU_DEP_2) | instskip(NEXT) | instid1(VALU_DEP_1)
	v_cmp_eq_u32_e64 s1, 0, v1
	v_cndmask_b32_e64 v148, v2, v0, s1
; %bb.296:                              ;   in Loop: Header=BB466_8 Depth=1
	s_or_b32 exec_lo, exec_lo, s2
	flat_load_b64 v[30:31], v[28:29] offset:520
	s_mov_b32 s2, exec_lo
	s_waitcnt vmcnt(0) lgkmcnt(0)
	v_dual_mov_b32 v0, 0 :: v_dual_and_b32 v1, 0xff, v30
	s_delay_alu instid0(VALU_DEP_1)
	v_cmpx_ne_u16_e32 0, v1
	s_cbranch_execz .LBB466_304
; %bb.297:                              ;   in Loop: Header=BB466_8 Depth=1
	v_bfrev_b32_e32 v0, 1
	s_mov_b32 s18, exec_lo
	v_cmpx_ne_u16_e32 0x80, v1
	s_cbranch_execz .LBB466_303
; %bb.298:                              ;   in Loop: Header=BB466_8 Depth=1
	v_and_b32_e32 v1, 0x7f, v30
	v_mov_b32_e32 v0, 0x7f800001
	s_mov_b32 s19, exec_lo
	s_delay_alu instid0(VALU_DEP_2)
	v_cmpx_ne_u32_e32 0x7f, v1
	s_cbranch_execz .LBB466_302
; %bb.299:                              ;   in Loop: Header=BB466_8 Depth=1
	v_lshrrev_b32_e32 v0, 3, v1
	v_dual_mov_b32 v33, v31 :: v_dual_mov_b32 v32, v30
	s_mov_b32 s20, exec_lo
	v_cmpx_gt_u32_e32 8, v1
; %bb.300:                              ;   in Loop: Header=BB466_8 Depth=1
	v_and_b32_e32 v0, 7, v30
	s_delay_alu instid0(VALU_DEP_1) | instskip(NEXT) | instid1(VALU_DEP_1)
	v_clz_i32_u32_e32 v0, v0
	v_min_u32_e32 v0, 32, v0
	s_delay_alu instid0(VALU_DEP_1) | instskip(SKIP_1) | instid1(VALU_DEP_2)
	v_subrev_nc_u32_e32 v1, 28, v0
	v_sub_nc_u32_e32 v0, 29, v0
	v_lshlrev_b64 v[32:33], v1, v[30:31]
; %bb.301:                              ;   in Loop: Header=BB466_8 Depth=1
	s_or_b32 exec_lo, exec_lo, s20
	s_delay_alu instid0(VALU_DEP_1) | instskip(SKIP_2) | instid1(VALU_DEP_3)
	v_lshlrev_b32_e32 v1, 20, v32
	v_lshlrev_b32_e32 v2, 24, v30
	v_lshl_add_u32 v0, v0, 23, 0x3c000000
	v_and_b32_e32 v1, 0x700000, v1
	s_delay_alu instid0(VALU_DEP_3) | instskip(NEXT) | instid1(VALU_DEP_1)
	v_and_b32_e32 v2, 0x80000000, v2
	v_or3_b32 v0, v1, v2, v0
.LBB466_302:                            ;   in Loop: Header=BB466_8 Depth=1
	s_or_b32 exec_lo, exec_lo, s19
.LBB466_303:                            ;   in Loop: Header=BB466_8 Depth=1
	s_delay_alu instid0(SALU_CYCLE_1)
	s_or_b32 exec_lo, exec_lo, s18
.LBB466_304:                            ;   in Loop: Header=BB466_8 Depth=1
	s_delay_alu instid0(SALU_CYCLE_1) | instskip(NEXT) | instid1(VALU_DEP_1)
	s_or_b32 exec_lo, exec_lo, s2
	v_mul_f32_e32 v0, v102, v0
                                        ; implicit-def: $vgpr149
	s_delay_alu instid0(VALU_DEP_1) | instskip(NEXT) | instid1(VALU_DEP_1)
	v_and_b32_e32 v1, 0x7f800000, v0
	v_cmp_ne_u32_e64 s1, 0x7f800000, v1
	s_delay_alu instid0(VALU_DEP_1) | instskip(NEXT) | instid1(SALU_CYCLE_1)
	s_and_saveexec_b32 s2, s1
	s_xor_b32 s1, exec_lo, s2
; %bb.305:                              ;   in Loop: Header=BB466_8 Depth=1
	v_bfe_u32 v1, v0, 16, 1
	s_delay_alu instid0(VALU_DEP_1)
	v_add3_u32 v149, v0, v1, 0x7fff
                                        ; implicit-def: $vgpr0
; %bb.306:                              ;   in Loop: Header=BB466_8 Depth=1
	s_and_not1_saveexec_b32 s2, s1
; %bb.307:                              ;   in Loop: Header=BB466_8 Depth=1
	v_and_b32_e32 v1, 0xffff, v0
	v_or_b32_e32 v2, 0x10000, v0
	s_delay_alu instid0(VALU_DEP_2) | instskip(NEXT) | instid1(VALU_DEP_1)
	v_cmp_eq_u32_e64 s1, 0, v1
	v_cndmask_b32_e64 v149, v2, v0, s1
; %bb.308:                              ;   in Loop: Header=BB466_8 Depth=1
	s_or_b32 exec_lo, exec_lo, s2
	v_lshrrev_b16 v1, 8, v30
	v_mov_b32_e32 v0, 0
	s_mov_b32 s2, exec_lo
	s_delay_alu instid0(VALU_DEP_2)
	v_cmpx_ne_u16_e32 0, v1
	s_cbranch_execz .LBB466_316
; %bb.309:                              ;   in Loop: Header=BB466_8 Depth=1
	v_bfrev_b32_e32 v0, 1
	s_mov_b32 s18, exec_lo
	v_cmpx_ne_u16_e32 0x80, v1
	s_cbranch_execz .LBB466_315
; %bb.310:                              ;   in Loop: Header=BB466_8 Depth=1
	v_and_b32_e32 v2, 0xffff, v1
	v_mov_b32_e32 v0, 0x7f800001
	s_mov_b32 s19, exec_lo
	s_delay_alu instid0(VALU_DEP_2) | instskip(NEXT) | instid1(VALU_DEP_1)
	v_and_b32_e32 v1, 0x7f, v2
	v_cmpx_ne_u32_e32 0x7f, v1
	s_cbranch_execz .LBB466_314
; %bb.311:                              ;   in Loop: Header=BB466_8 Depth=1
	v_and_b32_e32 v18, 7, v2
	v_lshrrev_b32_e32 v0, 3, v1
	v_mov_b32_e32 v33, v19
	s_mov_b32 s20, exec_lo
	s_delay_alu instid0(VALU_DEP_3)
	v_mov_b32_e32 v32, v18
	v_cmpx_gt_u32_e32 8, v1
; %bb.312:                              ;   in Loop: Header=BB466_8 Depth=1
	v_clz_i32_u32_e32 v0, v18
	s_delay_alu instid0(VALU_DEP_1) | instskip(NEXT) | instid1(VALU_DEP_1)
	v_min_u32_e32 v0, 32, v0
	v_subrev_nc_u32_e32 v1, 28, v0
	v_sub_nc_u32_e32 v0, 29, v0
	s_delay_alu instid0(VALU_DEP_2) | instskip(NEXT) | instid1(VALU_DEP_1)
	v_lshlrev_b64 v[1:2], v1, v[18:19]
	v_and_b32_e32 v32, 7, v1
; %bb.313:                              ;   in Loop: Header=BB466_8 Depth=1
	s_or_b32 exec_lo, exec_lo, s20
	v_lshlrev_b32_e32 v1, 16, v30
	s_delay_alu instid0(VALU_DEP_2) | instskip(SKIP_1) | instid1(VALU_DEP_3)
	v_lshlrev_b32_e32 v2, 20, v32
	v_lshl_add_u32 v0, v0, 23, 0x3c000000
	v_and_b32_e32 v1, 0x80000000, v1
	s_delay_alu instid0(VALU_DEP_1)
	v_or3_b32 v0, v2, v1, v0
.LBB466_314:                            ;   in Loop: Header=BB466_8 Depth=1
	s_or_b32 exec_lo, exec_lo, s19
.LBB466_315:                            ;   in Loop: Header=BB466_8 Depth=1
	s_delay_alu instid0(SALU_CYCLE_1)
	s_or_b32 exec_lo, exec_lo, s18
.LBB466_316:                            ;   in Loop: Header=BB466_8 Depth=1
	s_delay_alu instid0(SALU_CYCLE_1) | instskip(NEXT) | instid1(VALU_DEP_1)
	s_or_b32 exec_lo, exec_lo, s2
	v_mul_f32_e32 v0, v102, v0
                                        ; implicit-def: $vgpr150
	s_delay_alu instid0(VALU_DEP_1) | instskip(NEXT) | instid1(VALU_DEP_1)
	v_and_b32_e32 v1, 0x7f800000, v0
	v_cmp_ne_u32_e64 s1, 0x7f800000, v1
	s_delay_alu instid0(VALU_DEP_1) | instskip(NEXT) | instid1(SALU_CYCLE_1)
	s_and_saveexec_b32 s2, s1
	s_xor_b32 s1, exec_lo, s2
; %bb.317:                              ;   in Loop: Header=BB466_8 Depth=1
	v_bfe_u32 v1, v0, 16, 1
	s_delay_alu instid0(VALU_DEP_1)
	v_add3_u32 v150, v0, v1, 0x7fff
                                        ; implicit-def: $vgpr0
; %bb.318:                              ;   in Loop: Header=BB466_8 Depth=1
	s_and_not1_saveexec_b32 s2, s1
; %bb.319:                              ;   in Loop: Header=BB466_8 Depth=1
	v_and_b32_e32 v1, 0xffff, v0
	v_or_b32_e32 v2, 0x10000, v0
	s_delay_alu instid0(VALU_DEP_2) | instskip(NEXT) | instid1(VALU_DEP_1)
	v_cmp_eq_u32_e64 s1, 0, v1
	v_cndmask_b32_e64 v150, v2, v0, s1
; %bb.320:                              ;   in Loop: Header=BB466_8 Depth=1
	s_or_b32 exec_lo, exec_lo, s2
	v_lshrrev_b32_e32 v0, 16, v30
	s_mov_b32 s2, exec_lo
	s_delay_alu instid0(VALU_DEP_1) | instskip(NEXT) | instid1(VALU_DEP_1)
	v_dual_mov_b32 v1, 0 :: v_dual_and_b32 v2, 0xff, v0
	v_cmpx_ne_u16_e32 0, v2
	s_cbranch_execz .LBB466_328
; %bb.321:                              ;   in Loop: Header=BB466_8 Depth=1
	v_bfrev_b32_e32 v1, 1
	s_mov_b32 s18, exec_lo
	v_cmpx_ne_u16_e32 0x80, v2
	s_cbranch_execz .LBB466_327
; %bb.322:                              ;   in Loop: Header=BB466_8 Depth=1
	v_bfe_u32 v2, v30, 16, 7
	v_mov_b32_e32 v1, 0x7f800001
	s_mov_b32 s19, exec_lo
	s_delay_alu instid0(VALU_DEP_2)
	v_cmpx_ne_u32_e32 0x7f, v2
	s_cbranch_execz .LBB466_326
; %bb.323:                              ;   in Loop: Header=BB466_8 Depth=1
	v_and_b32_e32 v18, 7, v0
	v_lshrrev_b32_e32 v1, 3, v2
	v_mov_b32_e32 v33, v19
	s_mov_b32 s20, exec_lo
	s_delay_alu instid0(VALU_DEP_3)
	v_mov_b32_e32 v32, v18
	v_cmpx_gt_u32_e32 8, v2
; %bb.324:                              ;   in Loop: Header=BB466_8 Depth=1
	v_clz_i32_u32_e32 v1, v18
	s_delay_alu instid0(VALU_DEP_1) | instskip(NEXT) | instid1(VALU_DEP_1)
	v_min_u32_e32 v1, 32, v1
	v_subrev_nc_u32_e32 v2, 28, v1
	v_sub_nc_u32_e32 v1, 29, v1
	s_delay_alu instid0(VALU_DEP_2) | instskip(NEXT) | instid1(VALU_DEP_1)
	v_lshlrev_b64 v[2:3], v2, v[18:19]
	v_and_b32_e32 v32, 7, v2
; %bb.325:                              ;   in Loop: Header=BB466_8 Depth=1
	s_or_b32 exec_lo, exec_lo, s20
	v_lshlrev_b32_e32 v0, 24, v0
	s_delay_alu instid0(VALU_DEP_2) | instskip(SKIP_1) | instid1(VALU_DEP_3)
	v_lshlrev_b32_e32 v2, 20, v32
	v_lshl_add_u32 v1, v1, 23, 0x3c000000
	v_and_b32_e32 v0, 0x80000000, v0
	s_delay_alu instid0(VALU_DEP_1)
	v_or3_b32 v1, v2, v0, v1
.LBB466_326:                            ;   in Loop: Header=BB466_8 Depth=1
	s_or_b32 exec_lo, exec_lo, s19
.LBB466_327:                            ;   in Loop: Header=BB466_8 Depth=1
	s_delay_alu instid0(SALU_CYCLE_1)
	s_or_b32 exec_lo, exec_lo, s18
.LBB466_328:                            ;   in Loop: Header=BB466_8 Depth=1
	s_delay_alu instid0(SALU_CYCLE_1) | instskip(NEXT) | instid1(VALU_DEP_1)
	s_or_b32 exec_lo, exec_lo, s2
	v_mul_f32_e32 v0, v102, v1
                                        ; implicit-def: $vgpr151
	s_delay_alu instid0(VALU_DEP_1) | instskip(NEXT) | instid1(VALU_DEP_1)
	v_and_b32_e32 v1, 0x7f800000, v0
	v_cmp_ne_u32_e64 s1, 0x7f800000, v1
	s_delay_alu instid0(VALU_DEP_1) | instskip(NEXT) | instid1(SALU_CYCLE_1)
	s_and_saveexec_b32 s2, s1
	s_xor_b32 s1, exec_lo, s2
; %bb.329:                              ;   in Loop: Header=BB466_8 Depth=1
	v_bfe_u32 v1, v0, 16, 1
	s_delay_alu instid0(VALU_DEP_1)
	v_add3_u32 v151, v0, v1, 0x7fff
                                        ; implicit-def: $vgpr0
; %bb.330:                              ;   in Loop: Header=BB466_8 Depth=1
	s_and_not1_saveexec_b32 s2, s1
; %bb.331:                              ;   in Loop: Header=BB466_8 Depth=1
	v_and_b32_e32 v1, 0xffff, v0
	v_or_b32_e32 v2, 0x10000, v0
	s_delay_alu instid0(VALU_DEP_2) | instskip(NEXT) | instid1(VALU_DEP_1)
	v_cmp_eq_u32_e64 s1, 0, v1
	v_cndmask_b32_e64 v151, v2, v0, s1
; %bb.332:                              ;   in Loop: Header=BB466_8 Depth=1
	s_or_b32 exec_lo, exec_lo, s2
	v_mov_b32_e32 v1, 0
	s_mov_b32 s2, exec_lo
	v_cmpx_lt_u32_e32 0xffffff, v30
	s_cbranch_execz .LBB466_340
; %bb.333:                              ;   in Loop: Header=BB466_8 Depth=1
	v_lshrrev_b32_e32 v0, 24, v30
	v_bfrev_b32_e32 v1, 1
	s_mov_b32 s18, exec_lo
	s_delay_alu instid0(VALU_DEP_2)
	v_cmpx_ne_u32_e32 0x80, v0
	s_cbranch_execz .LBB466_339
; %bb.334:                              ;   in Loop: Header=BB466_8 Depth=1
	v_bfe_u32 v2, v30, 24, 7
	v_mov_b32_e32 v1, 0x7f800001
	s_mov_b32 s19, exec_lo
	s_delay_alu instid0(VALU_DEP_2)
	v_cmpx_ne_u32_e32 0x7f, v2
	s_cbranch_execz .LBB466_338
; %bb.335:                              ;   in Loop: Header=BB466_8 Depth=1
	v_and_b32_e32 v18, 7, v0
	v_lshrrev_b32_e32 v1, 3, v2
	v_mov_b32_e32 v33, v19
	s_mov_b32 s20, exec_lo
	s_delay_alu instid0(VALU_DEP_3)
	v_mov_b32_e32 v32, v18
	v_cmpx_gt_u32_e32 8, v2
; %bb.336:                              ;   in Loop: Header=BB466_8 Depth=1
	v_clz_i32_u32_e32 v1, v18
	s_delay_alu instid0(VALU_DEP_1) | instskip(NEXT) | instid1(VALU_DEP_1)
	v_min_u32_e32 v1, 32, v1
	v_subrev_nc_u32_e32 v2, 28, v1
	v_sub_nc_u32_e32 v1, 29, v1
	s_delay_alu instid0(VALU_DEP_2) | instskip(NEXT) | instid1(VALU_DEP_1)
	v_lshlrev_b64 v[2:3], v2, v[18:19]
	v_and_b32_e32 v32, 7, v2
; %bb.337:                              ;   in Loop: Header=BB466_8 Depth=1
	s_or_b32 exec_lo, exec_lo, s20
	v_lshlrev_b32_e32 v0, 24, v0
	s_delay_alu instid0(VALU_DEP_2) | instskip(SKIP_1) | instid1(VALU_DEP_3)
	v_lshlrev_b32_e32 v2, 20, v32
	v_lshl_add_u32 v1, v1, 23, 0x3c000000
	v_and_b32_e32 v0, 0x80000000, v0
	s_delay_alu instid0(VALU_DEP_1)
	v_or3_b32 v1, v2, v0, v1
.LBB466_338:                            ;   in Loop: Header=BB466_8 Depth=1
	s_or_b32 exec_lo, exec_lo, s19
.LBB466_339:                            ;   in Loop: Header=BB466_8 Depth=1
	s_delay_alu instid0(SALU_CYCLE_1)
	s_or_b32 exec_lo, exec_lo, s18
.LBB466_340:                            ;   in Loop: Header=BB466_8 Depth=1
	s_delay_alu instid0(SALU_CYCLE_1) | instskip(NEXT) | instid1(VALU_DEP_1)
	s_or_b32 exec_lo, exec_lo, s2
	v_mul_f32_e32 v0, v102, v1
                                        ; implicit-def: $vgpr160
	s_delay_alu instid0(VALU_DEP_1) | instskip(NEXT) | instid1(VALU_DEP_1)
	v_and_b32_e32 v1, 0x7f800000, v0
	v_cmp_ne_u32_e64 s1, 0x7f800000, v1
	s_delay_alu instid0(VALU_DEP_1) | instskip(NEXT) | instid1(SALU_CYCLE_1)
	s_and_saveexec_b32 s2, s1
	s_xor_b32 s1, exec_lo, s2
; %bb.341:                              ;   in Loop: Header=BB466_8 Depth=1
	v_bfe_u32 v1, v0, 16, 1
	s_delay_alu instid0(VALU_DEP_1)
	v_add3_u32 v160, v0, v1, 0x7fff
                                        ; implicit-def: $vgpr0
; %bb.342:                              ;   in Loop: Header=BB466_8 Depth=1
	s_and_not1_saveexec_b32 s2, s1
; %bb.343:                              ;   in Loop: Header=BB466_8 Depth=1
	v_and_b32_e32 v1, 0xffff, v0
	v_or_b32_e32 v2, 0x10000, v0
	s_delay_alu instid0(VALU_DEP_2) | instskip(NEXT) | instid1(VALU_DEP_1)
	v_cmp_eq_u32_e64 s1, 0, v1
	v_cndmask_b32_e64 v160, v2, v0, s1
; %bb.344:                              ;   in Loop: Header=BB466_8 Depth=1
	s_or_b32 exec_lo, exec_lo, s2
	v_dual_mov_b32 v18, v31 :: v_dual_and_b32 v1, 0xff, v31
	v_mov_b32_e32 v0, 0
	s_mov_b32 s2, exec_lo
	s_delay_alu instid0(VALU_DEP_2)
	v_cmpx_ne_u16_e32 0, v1
	s_cbranch_execz .LBB466_352
; %bb.345:                              ;   in Loop: Header=BB466_8 Depth=1
	v_bfrev_b32_e32 v0, 1
	s_mov_b32 s18, exec_lo
	v_cmpx_ne_u16_e32 0x80, v1
	s_cbranch_execz .LBB466_351
; %bb.346:                              ;   in Loop: Header=BB466_8 Depth=1
	v_and_b32_e32 v1, 0x7f, v31
	v_mov_b32_e32 v0, 0x7f800001
	s_mov_b32 s19, exec_lo
	s_delay_alu instid0(VALU_DEP_2)
	v_cmpx_ne_u32_e32 0x7f, v1
	s_cbranch_execz .LBB466_350
; %bb.347:                              ;   in Loop: Header=BB466_8 Depth=1
	v_lshrrev_b32_e32 v0, 3, v1
	v_dual_mov_b32 v33, v19 :: v_dual_mov_b32 v32, v18
	s_mov_b32 s20, exec_lo
	v_cmpx_gt_u32_e32 8, v1
; %bb.348:                              ;   in Loop: Header=BB466_8 Depth=1
	v_and_b32_e32 v0, 7, v31
	s_delay_alu instid0(VALU_DEP_1) | instskip(NEXT) | instid1(VALU_DEP_1)
	v_clz_i32_u32_e32 v0, v0
	v_min_u32_e32 v0, 32, v0
	s_delay_alu instid0(VALU_DEP_1) | instskip(SKIP_1) | instid1(VALU_DEP_2)
	v_subrev_nc_u32_e32 v1, 28, v0
	v_sub_nc_u32_e32 v0, 29, v0
	v_lshlrev_b64 v[32:33], v1, v[18:19]
; %bb.349:                              ;   in Loop: Header=BB466_8 Depth=1
	s_or_b32 exec_lo, exec_lo, s20
	s_delay_alu instid0(VALU_DEP_1) | instskip(SKIP_2) | instid1(VALU_DEP_3)
	v_lshlrev_b32_e32 v1, 20, v32
	v_lshlrev_b32_e32 v2, 24, v18
	v_lshl_add_u32 v0, v0, 23, 0x3c000000
	v_and_b32_e32 v1, 0x700000, v1
	s_delay_alu instid0(VALU_DEP_3) | instskip(NEXT) | instid1(VALU_DEP_1)
	v_and_b32_e32 v2, 0x80000000, v2
	v_or3_b32 v0, v1, v2, v0
.LBB466_350:                            ;   in Loop: Header=BB466_8 Depth=1
	s_or_b32 exec_lo, exec_lo, s19
.LBB466_351:                            ;   in Loop: Header=BB466_8 Depth=1
	s_delay_alu instid0(SALU_CYCLE_1)
	s_or_b32 exec_lo, exec_lo, s18
.LBB466_352:                            ;   in Loop: Header=BB466_8 Depth=1
	s_delay_alu instid0(SALU_CYCLE_1) | instskip(NEXT) | instid1(VALU_DEP_1)
	s_or_b32 exec_lo, exec_lo, s2
	v_mul_f32_e32 v0, v102, v0
                                        ; implicit-def: $vgpr161
	s_delay_alu instid0(VALU_DEP_1) | instskip(NEXT) | instid1(VALU_DEP_1)
	v_and_b32_e32 v1, 0x7f800000, v0
	v_cmp_ne_u32_e64 s1, 0x7f800000, v1
	s_delay_alu instid0(VALU_DEP_1) | instskip(NEXT) | instid1(SALU_CYCLE_1)
	s_and_saveexec_b32 s2, s1
	s_xor_b32 s1, exec_lo, s2
; %bb.353:                              ;   in Loop: Header=BB466_8 Depth=1
	v_bfe_u32 v1, v0, 16, 1
	s_delay_alu instid0(VALU_DEP_1)
	v_add3_u32 v161, v0, v1, 0x7fff
                                        ; implicit-def: $vgpr0
; %bb.354:                              ;   in Loop: Header=BB466_8 Depth=1
	s_and_not1_saveexec_b32 s2, s1
; %bb.355:                              ;   in Loop: Header=BB466_8 Depth=1
	v_and_b32_e32 v1, 0xffff, v0
	v_or_b32_e32 v2, 0x10000, v0
	s_delay_alu instid0(VALU_DEP_2) | instskip(NEXT) | instid1(VALU_DEP_1)
	v_cmp_eq_u32_e64 s1, 0, v1
	v_cndmask_b32_e64 v161, v2, v0, s1
; %bb.356:                              ;   in Loop: Header=BB466_8 Depth=1
	s_or_b32 exec_lo, exec_lo, s2
	v_lshrrev_b16 v1, 8, v18
	v_mov_b32_e32 v0, 0
	s_mov_b32 s2, exec_lo
	s_delay_alu instid0(VALU_DEP_2)
	v_cmpx_ne_u16_e32 0, v1
	s_cbranch_execz .LBB466_364
; %bb.357:                              ;   in Loop: Header=BB466_8 Depth=1
	v_bfrev_b32_e32 v0, 1
	s_mov_b32 s18, exec_lo
	v_cmpx_ne_u16_e32 0x80, v1
	s_cbranch_execz .LBB466_363
; %bb.358:                              ;   in Loop: Header=BB466_8 Depth=1
	v_and_b32_e32 v2, 0xffff, v1
	v_mov_b32_e32 v0, 0x7f800001
	s_mov_b32 s19, exec_lo
	s_delay_alu instid0(VALU_DEP_2) | instskip(NEXT) | instid1(VALU_DEP_1)
	v_and_b32_e32 v1, 0x7f, v2
	v_cmpx_ne_u32_e32 0x7f, v1
	s_cbranch_execz .LBB466_362
; %bb.359:                              ;   in Loop: Header=BB466_8 Depth=1
	v_dual_mov_b32 v33, v19 :: v_dual_and_b32 v32, 7, v2
	v_lshrrev_b32_e32 v0, 3, v1
	s_mov_b32 s20, exec_lo
	v_cmpx_gt_u32_e32 8, v1
; %bb.360:                              ;   in Loop: Header=BB466_8 Depth=1
	s_delay_alu instid0(VALU_DEP_3) | instskip(NEXT) | instid1(VALU_DEP_1)
	v_clz_i32_u32_e32 v0, v32
	v_min_u32_e32 v0, 32, v0
	s_delay_alu instid0(VALU_DEP_1) | instskip(SKIP_1) | instid1(VALU_DEP_2)
	v_subrev_nc_u32_e32 v1, 28, v0
	v_sub_nc_u32_e32 v0, 29, v0
	v_lshlrev_b64 v[1:2], v1, v[32:33]
	s_delay_alu instid0(VALU_DEP_1)
	v_and_b32_e32 v32, 7, v1
; %bb.361:                              ;   in Loop: Header=BB466_8 Depth=1
	s_or_b32 exec_lo, exec_lo, s20
	v_lshlrev_b32_e32 v1, 16, v18
	s_delay_alu instid0(VALU_DEP_2) | instskip(SKIP_1) | instid1(VALU_DEP_3)
	v_lshlrev_b32_e32 v2, 20, v32
	v_lshl_add_u32 v0, v0, 23, 0x3c000000
	v_and_b32_e32 v1, 0x80000000, v1
	s_delay_alu instid0(VALU_DEP_1)
	v_or3_b32 v0, v2, v1, v0
.LBB466_362:                            ;   in Loop: Header=BB466_8 Depth=1
	s_or_b32 exec_lo, exec_lo, s19
.LBB466_363:                            ;   in Loop: Header=BB466_8 Depth=1
	s_delay_alu instid0(SALU_CYCLE_1)
	s_or_b32 exec_lo, exec_lo, s18
.LBB466_364:                            ;   in Loop: Header=BB466_8 Depth=1
	s_delay_alu instid0(SALU_CYCLE_1) | instskip(NEXT) | instid1(VALU_DEP_1)
	s_or_b32 exec_lo, exec_lo, s2
	v_mul_f32_e32 v0, v102, v0
                                        ; implicit-def: $vgpr162
	s_delay_alu instid0(VALU_DEP_1) | instskip(NEXT) | instid1(VALU_DEP_1)
	v_and_b32_e32 v1, 0x7f800000, v0
	v_cmp_ne_u32_e64 s1, 0x7f800000, v1
	s_delay_alu instid0(VALU_DEP_1) | instskip(NEXT) | instid1(SALU_CYCLE_1)
	s_and_saveexec_b32 s2, s1
	s_xor_b32 s1, exec_lo, s2
; %bb.365:                              ;   in Loop: Header=BB466_8 Depth=1
	v_bfe_u32 v1, v0, 16, 1
	s_delay_alu instid0(VALU_DEP_1)
	v_add3_u32 v162, v0, v1, 0x7fff
                                        ; implicit-def: $vgpr0
; %bb.366:                              ;   in Loop: Header=BB466_8 Depth=1
	s_and_not1_saveexec_b32 s2, s1
; %bb.367:                              ;   in Loop: Header=BB466_8 Depth=1
	v_and_b32_e32 v1, 0xffff, v0
	v_or_b32_e32 v2, 0x10000, v0
	s_delay_alu instid0(VALU_DEP_2) | instskip(NEXT) | instid1(VALU_DEP_1)
	v_cmp_eq_u32_e64 s1, 0, v1
	v_cndmask_b32_e64 v162, v2, v0, s1
; %bb.368:                              ;   in Loop: Header=BB466_8 Depth=1
	s_or_b32 exec_lo, exec_lo, s2
	v_lshrrev_b32_e32 v0, 16, v31
	s_mov_b32 s2, exec_lo
	s_delay_alu instid0(VALU_DEP_1) | instskip(NEXT) | instid1(VALU_DEP_1)
	v_dual_mov_b32 v1, 0 :: v_dual_and_b32 v2, 0xff, v0
	v_cmpx_ne_u16_e32 0, v2
	s_cbranch_execz .LBB466_376
; %bb.369:                              ;   in Loop: Header=BB466_8 Depth=1
	v_bfrev_b32_e32 v1, 1
	s_mov_b32 s18, exec_lo
	v_cmpx_ne_u16_e32 0x80, v2
	s_cbranch_execz .LBB466_375
; %bb.370:                              ;   in Loop: Header=BB466_8 Depth=1
	v_bfe_u32 v2, v31, 16, 7
	v_mov_b32_e32 v1, 0x7f800001
	s_mov_b32 s19, exec_lo
	s_delay_alu instid0(VALU_DEP_2)
	v_cmpx_ne_u32_e32 0x7f, v2
	s_cbranch_execz .LBB466_374
; %bb.371:                              ;   in Loop: Header=BB466_8 Depth=1
	v_and_b32_e32 v18, 7, v0
	v_lshrrev_b32_e32 v1, 3, v2
	v_mov_b32_e32 v33, v19
	s_mov_b32 s20, exec_lo
	s_delay_alu instid0(VALU_DEP_3)
	v_mov_b32_e32 v32, v18
	v_cmpx_gt_u32_e32 8, v2
; %bb.372:                              ;   in Loop: Header=BB466_8 Depth=1
	v_clz_i32_u32_e32 v1, v18
	s_delay_alu instid0(VALU_DEP_1) | instskip(NEXT) | instid1(VALU_DEP_1)
	v_min_u32_e32 v1, 32, v1
	v_subrev_nc_u32_e32 v2, 28, v1
	v_sub_nc_u32_e32 v1, 29, v1
	s_delay_alu instid0(VALU_DEP_2) | instskip(NEXT) | instid1(VALU_DEP_1)
	v_lshlrev_b64 v[2:3], v2, v[18:19]
	v_and_b32_e32 v32, 7, v2
; %bb.373:                              ;   in Loop: Header=BB466_8 Depth=1
	s_or_b32 exec_lo, exec_lo, s20
	v_lshlrev_b32_e32 v0, 24, v0
	s_delay_alu instid0(VALU_DEP_2) | instskip(SKIP_1) | instid1(VALU_DEP_3)
	v_lshlrev_b32_e32 v2, 20, v32
	v_lshl_add_u32 v1, v1, 23, 0x3c000000
	v_and_b32_e32 v0, 0x80000000, v0
	s_delay_alu instid0(VALU_DEP_1)
	v_or3_b32 v1, v2, v0, v1
.LBB466_374:                            ;   in Loop: Header=BB466_8 Depth=1
	s_or_b32 exec_lo, exec_lo, s19
.LBB466_375:                            ;   in Loop: Header=BB466_8 Depth=1
	s_delay_alu instid0(SALU_CYCLE_1)
	s_or_b32 exec_lo, exec_lo, s18
.LBB466_376:                            ;   in Loop: Header=BB466_8 Depth=1
	s_delay_alu instid0(SALU_CYCLE_1) | instskip(NEXT) | instid1(VALU_DEP_1)
	s_or_b32 exec_lo, exec_lo, s2
	v_mul_f32_e32 v0, v102, v1
                                        ; implicit-def: $vgpr163
	s_delay_alu instid0(VALU_DEP_1) | instskip(NEXT) | instid1(VALU_DEP_1)
	v_and_b32_e32 v1, 0x7f800000, v0
	v_cmp_ne_u32_e64 s1, 0x7f800000, v1
	s_delay_alu instid0(VALU_DEP_1) | instskip(NEXT) | instid1(SALU_CYCLE_1)
	s_and_saveexec_b32 s2, s1
	s_xor_b32 s1, exec_lo, s2
; %bb.377:                              ;   in Loop: Header=BB466_8 Depth=1
	v_bfe_u32 v1, v0, 16, 1
	s_delay_alu instid0(VALU_DEP_1)
	v_add3_u32 v163, v0, v1, 0x7fff
                                        ; implicit-def: $vgpr0
; %bb.378:                              ;   in Loop: Header=BB466_8 Depth=1
	s_and_not1_saveexec_b32 s2, s1
; %bb.379:                              ;   in Loop: Header=BB466_8 Depth=1
	v_and_b32_e32 v1, 0xffff, v0
	v_or_b32_e32 v2, 0x10000, v0
	s_delay_alu instid0(VALU_DEP_2) | instskip(NEXT) | instid1(VALU_DEP_1)
	v_cmp_eq_u32_e64 s1, 0, v1
	v_cndmask_b32_e64 v163, v2, v0, s1
; %bb.380:                              ;   in Loop: Header=BB466_8 Depth=1
	s_or_b32 exec_lo, exec_lo, s2
	v_mov_b32_e32 v1, 0
	s_mov_b32 s2, exec_lo
	v_cmpx_lt_u64_e64 s[8:9], v[30:31]
	s_cbranch_execz .LBB466_388
; %bb.381:                              ;   in Loop: Header=BB466_8 Depth=1
	v_lshrrev_b32_e32 v0, 24, v31
	v_bfrev_b32_e32 v1, 1
	s_mov_b32 s18, exec_lo
	s_delay_alu instid0(VALU_DEP_2)
	v_cmpx_ne_u32_e32 0x80, v0
	s_cbranch_execz .LBB466_387
; %bb.382:                              ;   in Loop: Header=BB466_8 Depth=1
	v_bfe_u32 v2, v31, 24, 7
	v_mov_b32_e32 v1, 0x7f800001
	s_mov_b32 s19, exec_lo
	s_delay_alu instid0(VALU_DEP_2)
	v_cmpx_ne_u32_e32 0x7f, v2
	s_cbranch_execz .LBB466_386
; %bb.383:                              ;   in Loop: Header=BB466_8 Depth=1
	v_and_b32_e32 v18, 7, v0
	v_lshrrev_b32_e32 v1, 3, v2
	v_mov_b32_e32 v31, v19
	s_mov_b32 s20, exec_lo
	s_delay_alu instid0(VALU_DEP_3)
	v_mov_b32_e32 v30, v18
	v_cmpx_gt_u32_e32 8, v2
; %bb.384:                              ;   in Loop: Header=BB466_8 Depth=1
	v_clz_i32_u32_e32 v1, v18
	s_delay_alu instid0(VALU_DEP_1) | instskip(NEXT) | instid1(VALU_DEP_1)
	v_min_u32_e32 v1, 32, v1
	v_subrev_nc_u32_e32 v2, 28, v1
	v_sub_nc_u32_e32 v1, 29, v1
	s_delay_alu instid0(VALU_DEP_2) | instskip(NEXT) | instid1(VALU_DEP_1)
	v_lshlrev_b64 v[2:3], v2, v[18:19]
	v_and_b32_e32 v30, 7, v2
; %bb.385:                              ;   in Loop: Header=BB466_8 Depth=1
	s_or_b32 exec_lo, exec_lo, s20
	v_lshlrev_b32_e32 v0, 24, v0
	s_delay_alu instid0(VALU_DEP_2) | instskip(SKIP_1) | instid1(VALU_DEP_3)
	v_lshlrev_b32_e32 v2, 20, v30
	v_lshl_add_u32 v1, v1, 23, 0x3c000000
	v_and_b32_e32 v0, 0x80000000, v0
	s_delay_alu instid0(VALU_DEP_1)
	v_or3_b32 v1, v2, v0, v1
.LBB466_386:                            ;   in Loop: Header=BB466_8 Depth=1
	s_or_b32 exec_lo, exec_lo, s19
.LBB466_387:                            ;   in Loop: Header=BB466_8 Depth=1
	s_delay_alu instid0(SALU_CYCLE_1)
	s_or_b32 exec_lo, exec_lo, s18
.LBB466_388:                            ;   in Loop: Header=BB466_8 Depth=1
	s_delay_alu instid0(SALU_CYCLE_1) | instskip(NEXT) | instid1(VALU_DEP_1)
	s_or_b32 exec_lo, exec_lo, s2
	v_mul_f32_e32 v0, v102, v1
                                        ; implicit-def: $vgpr164
	s_delay_alu instid0(VALU_DEP_1) | instskip(NEXT) | instid1(VALU_DEP_1)
	v_and_b32_e32 v1, 0x7f800000, v0
	v_cmp_ne_u32_e64 s1, 0x7f800000, v1
	s_delay_alu instid0(VALU_DEP_1) | instskip(NEXT) | instid1(SALU_CYCLE_1)
	s_and_saveexec_b32 s2, s1
	s_xor_b32 s1, exec_lo, s2
; %bb.389:                              ;   in Loop: Header=BB466_8 Depth=1
	v_bfe_u32 v1, v0, 16, 1
	s_delay_alu instid0(VALU_DEP_1)
	v_add3_u32 v164, v0, v1, 0x7fff
                                        ; implicit-def: $vgpr0
; %bb.390:                              ;   in Loop: Header=BB466_8 Depth=1
	s_and_not1_saveexec_b32 s2, s1
; %bb.391:                              ;   in Loop: Header=BB466_8 Depth=1
	v_and_b32_e32 v1, 0xffff, v0
	v_or_b32_e32 v2, 0x10000, v0
	s_delay_alu instid0(VALU_DEP_2) | instskip(NEXT) | instid1(VALU_DEP_1)
	v_cmp_eq_u32_e64 s1, 0, v1
	v_cndmask_b32_e64 v164, v2, v0, s1
; %bb.392:                              ;   in Loop: Header=BB466_8 Depth=1
	s_or_b32 exec_lo, exec_lo, s2
	flat_load_b64 v[30:31], v[28:29] offset:1024
	s_mov_b32 s2, exec_lo
	s_waitcnt vmcnt(0) lgkmcnt(0)
	v_dual_mov_b32 v0, 0 :: v_dual_and_b32 v1, 0xff, v30
	s_delay_alu instid0(VALU_DEP_1)
	v_cmpx_ne_u16_e32 0, v1
	s_cbranch_execz .LBB466_400
; %bb.393:                              ;   in Loop: Header=BB466_8 Depth=1
	v_bfrev_b32_e32 v0, 1
	s_mov_b32 s18, exec_lo
	v_cmpx_ne_u16_e32 0x80, v1
	s_cbranch_execz .LBB466_399
; %bb.394:                              ;   in Loop: Header=BB466_8 Depth=1
	v_and_b32_e32 v1, 0x7f, v30
	v_mov_b32_e32 v0, 0x7f800001
	s_mov_b32 s19, exec_lo
	s_delay_alu instid0(VALU_DEP_2)
	v_cmpx_ne_u32_e32 0x7f, v1
	s_cbranch_execz .LBB466_398
; %bb.395:                              ;   in Loop: Header=BB466_8 Depth=1
	v_lshrrev_b32_e32 v0, 3, v1
	v_dual_mov_b32 v33, v31 :: v_dual_mov_b32 v32, v30
	s_mov_b32 s20, exec_lo
	v_cmpx_gt_u32_e32 8, v1
; %bb.396:                              ;   in Loop: Header=BB466_8 Depth=1
	v_and_b32_e32 v0, 7, v30
	s_delay_alu instid0(VALU_DEP_1) | instskip(NEXT) | instid1(VALU_DEP_1)
	v_clz_i32_u32_e32 v0, v0
	v_min_u32_e32 v0, 32, v0
	s_delay_alu instid0(VALU_DEP_1) | instskip(SKIP_1) | instid1(VALU_DEP_2)
	v_subrev_nc_u32_e32 v1, 28, v0
	v_sub_nc_u32_e32 v0, 29, v0
	v_lshlrev_b64 v[32:33], v1, v[30:31]
; %bb.397:                              ;   in Loop: Header=BB466_8 Depth=1
	s_or_b32 exec_lo, exec_lo, s20
	s_delay_alu instid0(VALU_DEP_1) | instskip(SKIP_2) | instid1(VALU_DEP_3)
	v_lshlrev_b32_e32 v1, 20, v32
	v_lshlrev_b32_e32 v2, 24, v30
	v_lshl_add_u32 v0, v0, 23, 0x3c000000
	v_and_b32_e32 v1, 0x700000, v1
	s_delay_alu instid0(VALU_DEP_3) | instskip(NEXT) | instid1(VALU_DEP_1)
	v_and_b32_e32 v2, 0x80000000, v2
	v_or3_b32 v0, v1, v2, v0
.LBB466_398:                            ;   in Loop: Header=BB466_8 Depth=1
	s_or_b32 exec_lo, exec_lo, s19
.LBB466_399:                            ;   in Loop: Header=BB466_8 Depth=1
	s_delay_alu instid0(SALU_CYCLE_1)
	s_or_b32 exec_lo, exec_lo, s18
.LBB466_400:                            ;   in Loop: Header=BB466_8 Depth=1
	s_delay_alu instid0(SALU_CYCLE_1) | instskip(NEXT) | instid1(VALU_DEP_1)
	s_or_b32 exec_lo, exec_lo, s2
	v_mul_f32_e32 v0, v102, v0
                                        ; implicit-def: $vgpr165
	s_delay_alu instid0(VALU_DEP_1) | instskip(NEXT) | instid1(VALU_DEP_1)
	v_and_b32_e32 v1, 0x7f800000, v0
	v_cmp_ne_u32_e64 s1, 0x7f800000, v1
	s_delay_alu instid0(VALU_DEP_1) | instskip(NEXT) | instid1(SALU_CYCLE_1)
	s_and_saveexec_b32 s2, s1
	s_xor_b32 s1, exec_lo, s2
; %bb.401:                              ;   in Loop: Header=BB466_8 Depth=1
	v_bfe_u32 v1, v0, 16, 1
	s_delay_alu instid0(VALU_DEP_1)
	v_add3_u32 v165, v0, v1, 0x7fff
                                        ; implicit-def: $vgpr0
; %bb.402:                              ;   in Loop: Header=BB466_8 Depth=1
	s_and_not1_saveexec_b32 s2, s1
; %bb.403:                              ;   in Loop: Header=BB466_8 Depth=1
	v_and_b32_e32 v1, 0xffff, v0
	v_or_b32_e32 v2, 0x10000, v0
	s_delay_alu instid0(VALU_DEP_2) | instskip(NEXT) | instid1(VALU_DEP_1)
	v_cmp_eq_u32_e64 s1, 0, v1
	v_cndmask_b32_e64 v165, v2, v0, s1
; %bb.404:                              ;   in Loop: Header=BB466_8 Depth=1
	s_or_b32 exec_lo, exec_lo, s2
	v_lshrrev_b16 v1, 8, v30
	v_mov_b32_e32 v0, 0
	s_mov_b32 s2, exec_lo
	s_delay_alu instid0(VALU_DEP_2)
	v_cmpx_ne_u16_e32 0, v1
	s_cbranch_execz .LBB466_412
; %bb.405:                              ;   in Loop: Header=BB466_8 Depth=1
	v_bfrev_b32_e32 v0, 1
	s_mov_b32 s18, exec_lo
	v_cmpx_ne_u16_e32 0x80, v1
	s_cbranch_execz .LBB466_411
; %bb.406:                              ;   in Loop: Header=BB466_8 Depth=1
	v_and_b32_e32 v2, 0xffff, v1
	v_mov_b32_e32 v0, 0x7f800001
	s_mov_b32 s19, exec_lo
	s_delay_alu instid0(VALU_DEP_2) | instskip(NEXT) | instid1(VALU_DEP_1)
	v_and_b32_e32 v1, 0x7f, v2
	v_cmpx_ne_u32_e32 0x7f, v1
	s_cbranch_execz .LBB466_410
; %bb.407:                              ;   in Loop: Header=BB466_8 Depth=1
	v_and_b32_e32 v18, 7, v2
	v_lshrrev_b32_e32 v0, 3, v1
	v_mov_b32_e32 v33, v19
	s_mov_b32 s20, exec_lo
	s_delay_alu instid0(VALU_DEP_3)
	v_mov_b32_e32 v32, v18
	v_cmpx_gt_u32_e32 8, v1
; %bb.408:                              ;   in Loop: Header=BB466_8 Depth=1
	v_clz_i32_u32_e32 v0, v18
	s_delay_alu instid0(VALU_DEP_1) | instskip(NEXT) | instid1(VALU_DEP_1)
	v_min_u32_e32 v0, 32, v0
	v_subrev_nc_u32_e32 v1, 28, v0
	v_sub_nc_u32_e32 v0, 29, v0
	s_delay_alu instid0(VALU_DEP_2) | instskip(NEXT) | instid1(VALU_DEP_1)
	v_lshlrev_b64 v[1:2], v1, v[18:19]
	v_and_b32_e32 v32, 7, v1
; %bb.409:                              ;   in Loop: Header=BB466_8 Depth=1
	s_or_b32 exec_lo, exec_lo, s20
	v_lshlrev_b32_e32 v1, 16, v30
	s_delay_alu instid0(VALU_DEP_2) | instskip(SKIP_1) | instid1(VALU_DEP_3)
	v_lshlrev_b32_e32 v2, 20, v32
	v_lshl_add_u32 v0, v0, 23, 0x3c000000
	v_and_b32_e32 v1, 0x80000000, v1
	s_delay_alu instid0(VALU_DEP_1)
	v_or3_b32 v0, v2, v1, v0
.LBB466_410:                            ;   in Loop: Header=BB466_8 Depth=1
	s_or_b32 exec_lo, exec_lo, s19
.LBB466_411:                            ;   in Loop: Header=BB466_8 Depth=1
	s_delay_alu instid0(SALU_CYCLE_1)
	s_or_b32 exec_lo, exec_lo, s18
.LBB466_412:                            ;   in Loop: Header=BB466_8 Depth=1
	s_delay_alu instid0(SALU_CYCLE_1) | instskip(NEXT) | instid1(VALU_DEP_1)
	s_or_b32 exec_lo, exec_lo, s2
	v_mul_f32_e32 v0, v102, v0
                                        ; implicit-def: $vgpr166
	s_delay_alu instid0(VALU_DEP_1) | instskip(NEXT) | instid1(VALU_DEP_1)
	v_and_b32_e32 v1, 0x7f800000, v0
	v_cmp_ne_u32_e64 s1, 0x7f800000, v1
	s_delay_alu instid0(VALU_DEP_1) | instskip(NEXT) | instid1(SALU_CYCLE_1)
	s_and_saveexec_b32 s2, s1
	s_xor_b32 s1, exec_lo, s2
; %bb.413:                              ;   in Loop: Header=BB466_8 Depth=1
	v_bfe_u32 v1, v0, 16, 1
	s_delay_alu instid0(VALU_DEP_1)
	v_add3_u32 v166, v0, v1, 0x7fff
                                        ; implicit-def: $vgpr0
; %bb.414:                              ;   in Loop: Header=BB466_8 Depth=1
	s_and_not1_saveexec_b32 s2, s1
; %bb.415:                              ;   in Loop: Header=BB466_8 Depth=1
	v_and_b32_e32 v1, 0xffff, v0
	v_or_b32_e32 v2, 0x10000, v0
	s_delay_alu instid0(VALU_DEP_2) | instskip(NEXT) | instid1(VALU_DEP_1)
	v_cmp_eq_u32_e64 s1, 0, v1
	v_cndmask_b32_e64 v166, v2, v0, s1
; %bb.416:                              ;   in Loop: Header=BB466_8 Depth=1
	s_or_b32 exec_lo, exec_lo, s2
	v_lshrrev_b32_e32 v0, 16, v30
	s_mov_b32 s2, exec_lo
	s_delay_alu instid0(VALU_DEP_1) | instskip(NEXT) | instid1(VALU_DEP_1)
	v_dual_mov_b32 v1, 0 :: v_dual_and_b32 v2, 0xff, v0
	v_cmpx_ne_u16_e32 0, v2
	s_cbranch_execz .LBB466_424
; %bb.417:                              ;   in Loop: Header=BB466_8 Depth=1
	v_bfrev_b32_e32 v1, 1
	s_mov_b32 s18, exec_lo
	v_cmpx_ne_u16_e32 0x80, v2
	s_cbranch_execz .LBB466_423
; %bb.418:                              ;   in Loop: Header=BB466_8 Depth=1
	v_bfe_u32 v2, v30, 16, 7
	v_mov_b32_e32 v1, 0x7f800001
	s_mov_b32 s19, exec_lo
	s_delay_alu instid0(VALU_DEP_2)
	v_cmpx_ne_u32_e32 0x7f, v2
	s_cbranch_execz .LBB466_422
; %bb.419:                              ;   in Loop: Header=BB466_8 Depth=1
	v_and_b32_e32 v18, 7, v0
	v_lshrrev_b32_e32 v1, 3, v2
	v_mov_b32_e32 v33, v19
	s_mov_b32 s20, exec_lo
	s_delay_alu instid0(VALU_DEP_3)
	v_mov_b32_e32 v32, v18
	v_cmpx_gt_u32_e32 8, v2
; %bb.420:                              ;   in Loop: Header=BB466_8 Depth=1
	v_clz_i32_u32_e32 v1, v18
	s_delay_alu instid0(VALU_DEP_1) | instskip(NEXT) | instid1(VALU_DEP_1)
	v_min_u32_e32 v1, 32, v1
	v_subrev_nc_u32_e32 v2, 28, v1
	v_sub_nc_u32_e32 v1, 29, v1
	s_delay_alu instid0(VALU_DEP_2) | instskip(NEXT) | instid1(VALU_DEP_1)
	v_lshlrev_b64 v[2:3], v2, v[18:19]
	v_and_b32_e32 v32, 7, v2
; %bb.421:                              ;   in Loop: Header=BB466_8 Depth=1
	s_or_b32 exec_lo, exec_lo, s20
	v_lshlrev_b32_e32 v0, 24, v0
	s_delay_alu instid0(VALU_DEP_2) | instskip(SKIP_1) | instid1(VALU_DEP_3)
	v_lshlrev_b32_e32 v2, 20, v32
	v_lshl_add_u32 v1, v1, 23, 0x3c000000
	v_and_b32_e32 v0, 0x80000000, v0
	s_delay_alu instid0(VALU_DEP_1)
	v_or3_b32 v1, v2, v0, v1
.LBB466_422:                            ;   in Loop: Header=BB466_8 Depth=1
	s_or_b32 exec_lo, exec_lo, s19
.LBB466_423:                            ;   in Loop: Header=BB466_8 Depth=1
	s_delay_alu instid0(SALU_CYCLE_1)
	s_or_b32 exec_lo, exec_lo, s18
.LBB466_424:                            ;   in Loop: Header=BB466_8 Depth=1
	s_delay_alu instid0(SALU_CYCLE_1) | instskip(NEXT) | instid1(VALU_DEP_1)
	s_or_b32 exec_lo, exec_lo, s2
	v_mul_f32_e32 v0, v102, v1
                                        ; implicit-def: $vgpr167
	s_delay_alu instid0(VALU_DEP_1) | instskip(NEXT) | instid1(VALU_DEP_1)
	v_and_b32_e32 v1, 0x7f800000, v0
	v_cmp_ne_u32_e64 s1, 0x7f800000, v1
	s_delay_alu instid0(VALU_DEP_1) | instskip(NEXT) | instid1(SALU_CYCLE_1)
	s_and_saveexec_b32 s2, s1
	s_xor_b32 s1, exec_lo, s2
; %bb.425:                              ;   in Loop: Header=BB466_8 Depth=1
	v_bfe_u32 v1, v0, 16, 1
	s_delay_alu instid0(VALU_DEP_1)
	v_add3_u32 v167, v0, v1, 0x7fff
                                        ; implicit-def: $vgpr0
; %bb.426:                              ;   in Loop: Header=BB466_8 Depth=1
	s_and_not1_saveexec_b32 s2, s1
; %bb.427:                              ;   in Loop: Header=BB466_8 Depth=1
	v_and_b32_e32 v1, 0xffff, v0
	v_or_b32_e32 v2, 0x10000, v0
	s_delay_alu instid0(VALU_DEP_2) | instskip(NEXT) | instid1(VALU_DEP_1)
	v_cmp_eq_u32_e64 s1, 0, v1
	v_cndmask_b32_e64 v167, v2, v0, s1
; %bb.428:                              ;   in Loop: Header=BB466_8 Depth=1
	s_or_b32 exec_lo, exec_lo, s2
	v_mov_b32_e32 v1, 0
	s_mov_b32 s2, exec_lo
	v_cmpx_lt_u32_e32 0xffffff, v30
	s_cbranch_execz .LBB466_436
; %bb.429:                              ;   in Loop: Header=BB466_8 Depth=1
	v_lshrrev_b32_e32 v0, 24, v30
	v_bfrev_b32_e32 v1, 1
	s_mov_b32 s18, exec_lo
	s_delay_alu instid0(VALU_DEP_2)
	v_cmpx_ne_u32_e32 0x80, v0
	s_cbranch_execz .LBB466_435
; %bb.430:                              ;   in Loop: Header=BB466_8 Depth=1
	v_bfe_u32 v2, v30, 24, 7
	v_mov_b32_e32 v1, 0x7f800001
	s_mov_b32 s19, exec_lo
	s_delay_alu instid0(VALU_DEP_2)
	v_cmpx_ne_u32_e32 0x7f, v2
	s_cbranch_execz .LBB466_434
; %bb.431:                              ;   in Loop: Header=BB466_8 Depth=1
	v_and_b32_e32 v18, 7, v0
	v_lshrrev_b32_e32 v1, 3, v2
	v_mov_b32_e32 v33, v19
	s_mov_b32 s20, exec_lo
	s_delay_alu instid0(VALU_DEP_3)
	v_mov_b32_e32 v32, v18
	v_cmpx_gt_u32_e32 8, v2
; %bb.432:                              ;   in Loop: Header=BB466_8 Depth=1
	v_clz_i32_u32_e32 v1, v18
	s_delay_alu instid0(VALU_DEP_1) | instskip(NEXT) | instid1(VALU_DEP_1)
	v_min_u32_e32 v1, 32, v1
	v_subrev_nc_u32_e32 v2, 28, v1
	v_sub_nc_u32_e32 v1, 29, v1
	s_delay_alu instid0(VALU_DEP_2) | instskip(NEXT) | instid1(VALU_DEP_1)
	v_lshlrev_b64 v[2:3], v2, v[18:19]
	v_and_b32_e32 v32, 7, v2
; %bb.433:                              ;   in Loop: Header=BB466_8 Depth=1
	s_or_b32 exec_lo, exec_lo, s20
	v_lshlrev_b32_e32 v0, 24, v0
	s_delay_alu instid0(VALU_DEP_2) | instskip(SKIP_1) | instid1(VALU_DEP_3)
	v_lshlrev_b32_e32 v2, 20, v32
	v_lshl_add_u32 v1, v1, 23, 0x3c000000
	v_and_b32_e32 v0, 0x80000000, v0
	s_delay_alu instid0(VALU_DEP_1)
	v_or3_b32 v1, v2, v0, v1
.LBB466_434:                            ;   in Loop: Header=BB466_8 Depth=1
	s_or_b32 exec_lo, exec_lo, s19
.LBB466_435:                            ;   in Loop: Header=BB466_8 Depth=1
	s_delay_alu instid0(SALU_CYCLE_1)
	s_or_b32 exec_lo, exec_lo, s18
.LBB466_436:                            ;   in Loop: Header=BB466_8 Depth=1
	s_delay_alu instid0(SALU_CYCLE_1) | instskip(NEXT) | instid1(VALU_DEP_1)
	s_or_b32 exec_lo, exec_lo, s2
	v_mul_f32_e32 v0, v102, v1
                                        ; implicit-def: $vgpr176
	s_delay_alu instid0(VALU_DEP_1) | instskip(NEXT) | instid1(VALU_DEP_1)
	v_and_b32_e32 v1, 0x7f800000, v0
	v_cmp_ne_u32_e64 s1, 0x7f800000, v1
	s_delay_alu instid0(VALU_DEP_1) | instskip(NEXT) | instid1(SALU_CYCLE_1)
	s_and_saveexec_b32 s2, s1
	s_xor_b32 s1, exec_lo, s2
; %bb.437:                              ;   in Loop: Header=BB466_8 Depth=1
	v_bfe_u32 v1, v0, 16, 1
	s_delay_alu instid0(VALU_DEP_1)
	v_add3_u32 v176, v0, v1, 0x7fff
                                        ; implicit-def: $vgpr0
; %bb.438:                              ;   in Loop: Header=BB466_8 Depth=1
	s_and_not1_saveexec_b32 s2, s1
; %bb.439:                              ;   in Loop: Header=BB466_8 Depth=1
	v_and_b32_e32 v1, 0xffff, v0
	v_or_b32_e32 v2, 0x10000, v0
	s_delay_alu instid0(VALU_DEP_2) | instskip(NEXT) | instid1(VALU_DEP_1)
	v_cmp_eq_u32_e64 s1, 0, v1
	v_cndmask_b32_e64 v176, v2, v0, s1
; %bb.440:                              ;   in Loop: Header=BB466_8 Depth=1
	s_or_b32 exec_lo, exec_lo, s2
	v_dual_mov_b32 v18, v31 :: v_dual_and_b32 v1, 0xff, v31
	v_mov_b32_e32 v0, 0
	s_mov_b32 s2, exec_lo
	s_delay_alu instid0(VALU_DEP_2)
	v_cmpx_ne_u16_e32 0, v1
	s_cbranch_execz .LBB466_448
; %bb.441:                              ;   in Loop: Header=BB466_8 Depth=1
	v_bfrev_b32_e32 v0, 1
	s_mov_b32 s18, exec_lo
	v_cmpx_ne_u16_e32 0x80, v1
	s_cbranch_execz .LBB466_447
; %bb.442:                              ;   in Loop: Header=BB466_8 Depth=1
	v_and_b32_e32 v1, 0x7f, v31
	v_mov_b32_e32 v0, 0x7f800001
	s_mov_b32 s19, exec_lo
	s_delay_alu instid0(VALU_DEP_2)
	v_cmpx_ne_u32_e32 0x7f, v1
	s_cbranch_execz .LBB466_446
; %bb.443:                              ;   in Loop: Header=BB466_8 Depth=1
	v_lshrrev_b32_e32 v0, 3, v1
	v_dual_mov_b32 v33, v19 :: v_dual_mov_b32 v32, v18
	s_mov_b32 s20, exec_lo
	v_cmpx_gt_u32_e32 8, v1
; %bb.444:                              ;   in Loop: Header=BB466_8 Depth=1
	v_and_b32_e32 v0, 7, v31
	s_delay_alu instid0(VALU_DEP_1) | instskip(NEXT) | instid1(VALU_DEP_1)
	v_clz_i32_u32_e32 v0, v0
	v_min_u32_e32 v0, 32, v0
	s_delay_alu instid0(VALU_DEP_1) | instskip(SKIP_1) | instid1(VALU_DEP_2)
	v_subrev_nc_u32_e32 v1, 28, v0
	v_sub_nc_u32_e32 v0, 29, v0
	v_lshlrev_b64 v[32:33], v1, v[18:19]
; %bb.445:                              ;   in Loop: Header=BB466_8 Depth=1
	s_or_b32 exec_lo, exec_lo, s20
	s_delay_alu instid0(VALU_DEP_1) | instskip(SKIP_2) | instid1(VALU_DEP_3)
	v_lshlrev_b32_e32 v1, 20, v32
	v_lshlrev_b32_e32 v2, 24, v18
	v_lshl_add_u32 v0, v0, 23, 0x3c000000
	v_and_b32_e32 v1, 0x700000, v1
	s_delay_alu instid0(VALU_DEP_3) | instskip(NEXT) | instid1(VALU_DEP_1)
	v_and_b32_e32 v2, 0x80000000, v2
	v_or3_b32 v0, v1, v2, v0
.LBB466_446:                            ;   in Loop: Header=BB466_8 Depth=1
	s_or_b32 exec_lo, exec_lo, s19
.LBB466_447:                            ;   in Loop: Header=BB466_8 Depth=1
	s_delay_alu instid0(SALU_CYCLE_1)
	s_or_b32 exec_lo, exec_lo, s18
.LBB466_448:                            ;   in Loop: Header=BB466_8 Depth=1
	s_delay_alu instid0(SALU_CYCLE_1) | instskip(NEXT) | instid1(VALU_DEP_1)
	s_or_b32 exec_lo, exec_lo, s2
	v_mul_f32_e32 v0, v102, v0
                                        ; implicit-def: $vgpr177
	s_delay_alu instid0(VALU_DEP_1) | instskip(NEXT) | instid1(VALU_DEP_1)
	v_and_b32_e32 v1, 0x7f800000, v0
	v_cmp_ne_u32_e64 s1, 0x7f800000, v1
	s_delay_alu instid0(VALU_DEP_1) | instskip(NEXT) | instid1(SALU_CYCLE_1)
	s_and_saveexec_b32 s2, s1
	s_xor_b32 s1, exec_lo, s2
; %bb.449:                              ;   in Loop: Header=BB466_8 Depth=1
	v_bfe_u32 v1, v0, 16, 1
	s_delay_alu instid0(VALU_DEP_1)
	v_add3_u32 v177, v0, v1, 0x7fff
                                        ; implicit-def: $vgpr0
; %bb.450:                              ;   in Loop: Header=BB466_8 Depth=1
	s_and_not1_saveexec_b32 s2, s1
; %bb.451:                              ;   in Loop: Header=BB466_8 Depth=1
	v_and_b32_e32 v1, 0xffff, v0
	v_or_b32_e32 v2, 0x10000, v0
	s_delay_alu instid0(VALU_DEP_2) | instskip(NEXT) | instid1(VALU_DEP_1)
	v_cmp_eq_u32_e64 s1, 0, v1
	v_cndmask_b32_e64 v177, v2, v0, s1
; %bb.452:                              ;   in Loop: Header=BB466_8 Depth=1
	s_or_b32 exec_lo, exec_lo, s2
	v_lshrrev_b16 v1, 8, v18
	v_mov_b32_e32 v0, 0
	s_mov_b32 s2, exec_lo
	s_delay_alu instid0(VALU_DEP_2)
	v_cmpx_ne_u16_e32 0, v1
	s_cbranch_execz .LBB466_460
; %bb.453:                              ;   in Loop: Header=BB466_8 Depth=1
	v_bfrev_b32_e32 v0, 1
	s_mov_b32 s18, exec_lo
	v_cmpx_ne_u16_e32 0x80, v1
	s_cbranch_execz .LBB466_459
; %bb.454:                              ;   in Loop: Header=BB466_8 Depth=1
	v_and_b32_e32 v2, 0xffff, v1
	v_mov_b32_e32 v0, 0x7f800001
	s_mov_b32 s19, exec_lo
	s_delay_alu instid0(VALU_DEP_2) | instskip(NEXT) | instid1(VALU_DEP_1)
	v_and_b32_e32 v1, 0x7f, v2
	v_cmpx_ne_u32_e32 0x7f, v1
	s_cbranch_execz .LBB466_458
; %bb.455:                              ;   in Loop: Header=BB466_8 Depth=1
	v_dual_mov_b32 v33, v19 :: v_dual_and_b32 v32, 7, v2
	v_lshrrev_b32_e32 v0, 3, v1
	s_mov_b32 s20, exec_lo
	v_cmpx_gt_u32_e32 8, v1
; %bb.456:                              ;   in Loop: Header=BB466_8 Depth=1
	s_delay_alu instid0(VALU_DEP_3) | instskip(NEXT) | instid1(VALU_DEP_1)
	v_clz_i32_u32_e32 v0, v32
	v_min_u32_e32 v0, 32, v0
	s_delay_alu instid0(VALU_DEP_1) | instskip(SKIP_1) | instid1(VALU_DEP_2)
	v_subrev_nc_u32_e32 v1, 28, v0
	v_sub_nc_u32_e32 v0, 29, v0
	v_lshlrev_b64 v[1:2], v1, v[32:33]
	s_delay_alu instid0(VALU_DEP_1)
	v_and_b32_e32 v32, 7, v1
; %bb.457:                              ;   in Loop: Header=BB466_8 Depth=1
	s_or_b32 exec_lo, exec_lo, s20
	v_lshlrev_b32_e32 v1, 16, v18
	s_delay_alu instid0(VALU_DEP_2) | instskip(SKIP_1) | instid1(VALU_DEP_3)
	v_lshlrev_b32_e32 v2, 20, v32
	v_lshl_add_u32 v0, v0, 23, 0x3c000000
	v_and_b32_e32 v1, 0x80000000, v1
	s_delay_alu instid0(VALU_DEP_1)
	v_or3_b32 v0, v2, v1, v0
.LBB466_458:                            ;   in Loop: Header=BB466_8 Depth=1
	s_or_b32 exec_lo, exec_lo, s19
.LBB466_459:                            ;   in Loop: Header=BB466_8 Depth=1
	s_delay_alu instid0(SALU_CYCLE_1)
	s_or_b32 exec_lo, exec_lo, s18
.LBB466_460:                            ;   in Loop: Header=BB466_8 Depth=1
	s_delay_alu instid0(SALU_CYCLE_1) | instskip(NEXT) | instid1(VALU_DEP_1)
	s_or_b32 exec_lo, exec_lo, s2
	v_mul_f32_e32 v0, v102, v0
                                        ; implicit-def: $vgpr178
	s_delay_alu instid0(VALU_DEP_1) | instskip(NEXT) | instid1(VALU_DEP_1)
	v_and_b32_e32 v1, 0x7f800000, v0
	v_cmp_ne_u32_e64 s1, 0x7f800000, v1
	s_delay_alu instid0(VALU_DEP_1) | instskip(NEXT) | instid1(SALU_CYCLE_1)
	s_and_saveexec_b32 s2, s1
	s_xor_b32 s1, exec_lo, s2
; %bb.461:                              ;   in Loop: Header=BB466_8 Depth=1
	v_bfe_u32 v1, v0, 16, 1
	s_delay_alu instid0(VALU_DEP_1)
	v_add3_u32 v178, v0, v1, 0x7fff
                                        ; implicit-def: $vgpr0
; %bb.462:                              ;   in Loop: Header=BB466_8 Depth=1
	s_and_not1_saveexec_b32 s2, s1
; %bb.463:                              ;   in Loop: Header=BB466_8 Depth=1
	v_and_b32_e32 v1, 0xffff, v0
	v_or_b32_e32 v2, 0x10000, v0
	s_delay_alu instid0(VALU_DEP_2) | instskip(NEXT) | instid1(VALU_DEP_1)
	v_cmp_eq_u32_e64 s1, 0, v1
	v_cndmask_b32_e64 v178, v2, v0, s1
; %bb.464:                              ;   in Loop: Header=BB466_8 Depth=1
	s_or_b32 exec_lo, exec_lo, s2
	v_lshrrev_b32_e32 v0, 16, v31
	s_mov_b32 s2, exec_lo
	s_delay_alu instid0(VALU_DEP_1) | instskip(NEXT) | instid1(VALU_DEP_1)
	v_dual_mov_b32 v1, 0 :: v_dual_and_b32 v2, 0xff, v0
	v_cmpx_ne_u16_e32 0, v2
	s_cbranch_execz .LBB466_472
; %bb.465:                              ;   in Loop: Header=BB466_8 Depth=1
	v_bfrev_b32_e32 v1, 1
	s_mov_b32 s18, exec_lo
	v_cmpx_ne_u16_e32 0x80, v2
	s_cbranch_execz .LBB466_471
; %bb.466:                              ;   in Loop: Header=BB466_8 Depth=1
	v_bfe_u32 v2, v31, 16, 7
	v_mov_b32_e32 v1, 0x7f800001
	s_mov_b32 s19, exec_lo
	s_delay_alu instid0(VALU_DEP_2)
	v_cmpx_ne_u32_e32 0x7f, v2
	s_cbranch_execz .LBB466_470
; %bb.467:                              ;   in Loop: Header=BB466_8 Depth=1
	v_and_b32_e32 v18, 7, v0
	v_lshrrev_b32_e32 v1, 3, v2
	v_mov_b32_e32 v33, v19
	s_mov_b32 s20, exec_lo
	s_delay_alu instid0(VALU_DEP_3)
	v_mov_b32_e32 v32, v18
	v_cmpx_gt_u32_e32 8, v2
; %bb.468:                              ;   in Loop: Header=BB466_8 Depth=1
	v_clz_i32_u32_e32 v1, v18
	s_delay_alu instid0(VALU_DEP_1) | instskip(NEXT) | instid1(VALU_DEP_1)
	v_min_u32_e32 v1, 32, v1
	v_subrev_nc_u32_e32 v2, 28, v1
	v_sub_nc_u32_e32 v1, 29, v1
	s_delay_alu instid0(VALU_DEP_2) | instskip(NEXT) | instid1(VALU_DEP_1)
	v_lshlrev_b64 v[2:3], v2, v[18:19]
	v_and_b32_e32 v32, 7, v2
; %bb.469:                              ;   in Loop: Header=BB466_8 Depth=1
	s_or_b32 exec_lo, exec_lo, s20
	v_lshlrev_b32_e32 v0, 24, v0
	s_delay_alu instid0(VALU_DEP_2) | instskip(SKIP_1) | instid1(VALU_DEP_3)
	v_lshlrev_b32_e32 v2, 20, v32
	v_lshl_add_u32 v1, v1, 23, 0x3c000000
	v_and_b32_e32 v0, 0x80000000, v0
	s_delay_alu instid0(VALU_DEP_1)
	v_or3_b32 v1, v2, v0, v1
.LBB466_470:                            ;   in Loop: Header=BB466_8 Depth=1
	s_or_b32 exec_lo, exec_lo, s19
.LBB466_471:                            ;   in Loop: Header=BB466_8 Depth=1
	s_delay_alu instid0(SALU_CYCLE_1)
	s_or_b32 exec_lo, exec_lo, s18
.LBB466_472:                            ;   in Loop: Header=BB466_8 Depth=1
	s_delay_alu instid0(SALU_CYCLE_1) | instskip(NEXT) | instid1(VALU_DEP_1)
	s_or_b32 exec_lo, exec_lo, s2
	v_mul_f32_e32 v0, v102, v1
                                        ; implicit-def: $vgpr179
	s_delay_alu instid0(VALU_DEP_1) | instskip(NEXT) | instid1(VALU_DEP_1)
	v_and_b32_e32 v1, 0x7f800000, v0
	v_cmp_ne_u32_e64 s1, 0x7f800000, v1
	s_delay_alu instid0(VALU_DEP_1) | instskip(NEXT) | instid1(SALU_CYCLE_1)
	s_and_saveexec_b32 s2, s1
	s_xor_b32 s1, exec_lo, s2
; %bb.473:                              ;   in Loop: Header=BB466_8 Depth=1
	v_bfe_u32 v1, v0, 16, 1
	s_delay_alu instid0(VALU_DEP_1)
	v_add3_u32 v179, v0, v1, 0x7fff
                                        ; implicit-def: $vgpr0
; %bb.474:                              ;   in Loop: Header=BB466_8 Depth=1
	s_and_not1_saveexec_b32 s2, s1
; %bb.475:                              ;   in Loop: Header=BB466_8 Depth=1
	v_and_b32_e32 v1, 0xffff, v0
	v_or_b32_e32 v2, 0x10000, v0
	s_delay_alu instid0(VALU_DEP_2) | instskip(NEXT) | instid1(VALU_DEP_1)
	v_cmp_eq_u32_e64 s1, 0, v1
	v_cndmask_b32_e64 v179, v2, v0, s1
; %bb.476:                              ;   in Loop: Header=BB466_8 Depth=1
	s_or_b32 exec_lo, exec_lo, s2
	v_mov_b32_e32 v1, 0
	s_mov_b32 s2, exec_lo
	v_cmpx_lt_u64_e64 s[8:9], v[30:31]
	s_cbranch_execz .LBB466_484
; %bb.477:                              ;   in Loop: Header=BB466_8 Depth=1
	v_lshrrev_b32_e32 v0, 24, v31
	v_bfrev_b32_e32 v1, 1
	s_mov_b32 s18, exec_lo
	s_delay_alu instid0(VALU_DEP_2)
	v_cmpx_ne_u32_e32 0x80, v0
	s_cbranch_execz .LBB466_483
; %bb.478:                              ;   in Loop: Header=BB466_8 Depth=1
	v_bfe_u32 v2, v31, 24, 7
	v_mov_b32_e32 v1, 0x7f800001
	s_mov_b32 s19, exec_lo
	s_delay_alu instid0(VALU_DEP_2)
	v_cmpx_ne_u32_e32 0x7f, v2
	s_cbranch_execz .LBB466_482
; %bb.479:                              ;   in Loop: Header=BB466_8 Depth=1
	v_and_b32_e32 v18, 7, v0
	v_lshrrev_b32_e32 v1, 3, v2
	v_mov_b32_e32 v31, v19
	s_mov_b32 s20, exec_lo
	s_delay_alu instid0(VALU_DEP_3)
	v_mov_b32_e32 v30, v18
	v_cmpx_gt_u32_e32 8, v2
; %bb.480:                              ;   in Loop: Header=BB466_8 Depth=1
	v_clz_i32_u32_e32 v1, v18
	s_delay_alu instid0(VALU_DEP_1) | instskip(NEXT) | instid1(VALU_DEP_1)
	v_min_u32_e32 v1, 32, v1
	v_subrev_nc_u32_e32 v2, 28, v1
	v_sub_nc_u32_e32 v1, 29, v1
	s_delay_alu instid0(VALU_DEP_2) | instskip(NEXT) | instid1(VALU_DEP_1)
	v_lshlrev_b64 v[2:3], v2, v[18:19]
	v_and_b32_e32 v30, 7, v2
; %bb.481:                              ;   in Loop: Header=BB466_8 Depth=1
	s_or_b32 exec_lo, exec_lo, s20
	v_lshlrev_b32_e32 v0, 24, v0
	s_delay_alu instid0(VALU_DEP_2) | instskip(SKIP_1) | instid1(VALU_DEP_3)
	v_lshlrev_b32_e32 v2, 20, v30
	v_lshl_add_u32 v1, v1, 23, 0x3c000000
	v_and_b32_e32 v0, 0x80000000, v0
	s_delay_alu instid0(VALU_DEP_1)
	v_or3_b32 v1, v2, v0, v1
.LBB466_482:                            ;   in Loop: Header=BB466_8 Depth=1
	s_or_b32 exec_lo, exec_lo, s19
.LBB466_483:                            ;   in Loop: Header=BB466_8 Depth=1
	s_delay_alu instid0(SALU_CYCLE_1)
	s_or_b32 exec_lo, exec_lo, s18
.LBB466_484:                            ;   in Loop: Header=BB466_8 Depth=1
	s_delay_alu instid0(SALU_CYCLE_1) | instskip(NEXT) | instid1(VALU_DEP_1)
	s_or_b32 exec_lo, exec_lo, s2
	v_mul_f32_e32 v0, v102, v1
                                        ; implicit-def: $vgpr180
	s_delay_alu instid0(VALU_DEP_1) | instskip(NEXT) | instid1(VALU_DEP_1)
	v_and_b32_e32 v1, 0x7f800000, v0
	v_cmp_ne_u32_e64 s1, 0x7f800000, v1
	s_delay_alu instid0(VALU_DEP_1) | instskip(NEXT) | instid1(SALU_CYCLE_1)
	s_and_saveexec_b32 s2, s1
	s_xor_b32 s1, exec_lo, s2
; %bb.485:                              ;   in Loop: Header=BB466_8 Depth=1
	v_bfe_u32 v1, v0, 16, 1
	s_delay_alu instid0(VALU_DEP_1)
	v_add3_u32 v180, v0, v1, 0x7fff
                                        ; implicit-def: $vgpr0
; %bb.486:                              ;   in Loop: Header=BB466_8 Depth=1
	s_and_not1_saveexec_b32 s2, s1
; %bb.487:                              ;   in Loop: Header=BB466_8 Depth=1
	v_and_b32_e32 v1, 0xffff, v0
	v_or_b32_e32 v2, 0x10000, v0
	s_delay_alu instid0(VALU_DEP_2) | instskip(NEXT) | instid1(VALU_DEP_1)
	v_cmp_eq_u32_e64 s1, 0, v1
	v_cndmask_b32_e64 v180, v2, v0, s1
; %bb.488:                              ;   in Loop: Header=BB466_8 Depth=1
	s_or_b32 exec_lo, exec_lo, s2
	flat_load_b64 v[30:31], v[28:29] offset:1032
	s_mov_b32 s2, exec_lo
	s_waitcnt vmcnt(0) lgkmcnt(0)
	v_dual_mov_b32 v0, 0 :: v_dual_and_b32 v1, 0xff, v30
	s_delay_alu instid0(VALU_DEP_1)
	v_cmpx_ne_u16_e32 0, v1
	s_cbranch_execz .LBB466_496
; %bb.489:                              ;   in Loop: Header=BB466_8 Depth=1
	v_bfrev_b32_e32 v0, 1
	s_mov_b32 s18, exec_lo
	v_cmpx_ne_u16_e32 0x80, v1
	s_cbranch_execz .LBB466_495
; %bb.490:                              ;   in Loop: Header=BB466_8 Depth=1
	v_and_b32_e32 v1, 0x7f, v30
	v_mov_b32_e32 v0, 0x7f800001
	s_mov_b32 s19, exec_lo
	s_delay_alu instid0(VALU_DEP_2)
	v_cmpx_ne_u32_e32 0x7f, v1
	s_cbranch_execz .LBB466_494
; %bb.491:                              ;   in Loop: Header=BB466_8 Depth=1
	v_lshrrev_b32_e32 v0, 3, v1
	v_dual_mov_b32 v33, v31 :: v_dual_mov_b32 v32, v30
	s_mov_b32 s20, exec_lo
	v_cmpx_gt_u32_e32 8, v1
; %bb.492:                              ;   in Loop: Header=BB466_8 Depth=1
	v_and_b32_e32 v0, 7, v30
	s_delay_alu instid0(VALU_DEP_1) | instskip(NEXT) | instid1(VALU_DEP_1)
	v_clz_i32_u32_e32 v0, v0
	v_min_u32_e32 v0, 32, v0
	s_delay_alu instid0(VALU_DEP_1) | instskip(SKIP_1) | instid1(VALU_DEP_2)
	v_subrev_nc_u32_e32 v1, 28, v0
	v_sub_nc_u32_e32 v0, 29, v0
	v_lshlrev_b64 v[32:33], v1, v[30:31]
; %bb.493:                              ;   in Loop: Header=BB466_8 Depth=1
	s_or_b32 exec_lo, exec_lo, s20
	s_delay_alu instid0(VALU_DEP_1) | instskip(SKIP_2) | instid1(VALU_DEP_3)
	v_lshlrev_b32_e32 v1, 20, v32
	v_lshlrev_b32_e32 v2, 24, v30
	v_lshl_add_u32 v0, v0, 23, 0x3c000000
	v_and_b32_e32 v1, 0x700000, v1
	s_delay_alu instid0(VALU_DEP_3) | instskip(NEXT) | instid1(VALU_DEP_1)
	v_and_b32_e32 v2, 0x80000000, v2
	v_or3_b32 v0, v1, v2, v0
.LBB466_494:                            ;   in Loop: Header=BB466_8 Depth=1
	s_or_b32 exec_lo, exec_lo, s19
.LBB466_495:                            ;   in Loop: Header=BB466_8 Depth=1
	s_delay_alu instid0(SALU_CYCLE_1)
	s_or_b32 exec_lo, exec_lo, s18
.LBB466_496:                            ;   in Loop: Header=BB466_8 Depth=1
	s_delay_alu instid0(SALU_CYCLE_1) | instskip(NEXT) | instid1(VALU_DEP_1)
	s_or_b32 exec_lo, exec_lo, s2
	v_mul_f32_e32 v0, v102, v0
                                        ; implicit-def: $vgpr181
	s_delay_alu instid0(VALU_DEP_1) | instskip(NEXT) | instid1(VALU_DEP_1)
	v_and_b32_e32 v1, 0x7f800000, v0
	v_cmp_ne_u32_e64 s1, 0x7f800000, v1
	s_delay_alu instid0(VALU_DEP_1) | instskip(NEXT) | instid1(SALU_CYCLE_1)
	s_and_saveexec_b32 s2, s1
	s_xor_b32 s1, exec_lo, s2
; %bb.497:                              ;   in Loop: Header=BB466_8 Depth=1
	v_bfe_u32 v1, v0, 16, 1
	s_delay_alu instid0(VALU_DEP_1)
	v_add3_u32 v181, v0, v1, 0x7fff
                                        ; implicit-def: $vgpr0
; %bb.498:                              ;   in Loop: Header=BB466_8 Depth=1
	s_and_not1_saveexec_b32 s2, s1
; %bb.499:                              ;   in Loop: Header=BB466_8 Depth=1
	v_and_b32_e32 v1, 0xffff, v0
	v_or_b32_e32 v2, 0x10000, v0
	s_delay_alu instid0(VALU_DEP_2) | instskip(NEXT) | instid1(VALU_DEP_1)
	v_cmp_eq_u32_e64 s1, 0, v1
	v_cndmask_b32_e64 v181, v2, v0, s1
; %bb.500:                              ;   in Loop: Header=BB466_8 Depth=1
	s_or_b32 exec_lo, exec_lo, s2
	v_lshrrev_b16 v1, 8, v30
	v_mov_b32_e32 v0, 0
	s_mov_b32 s2, exec_lo
	s_delay_alu instid0(VALU_DEP_2)
	v_cmpx_ne_u16_e32 0, v1
	s_cbranch_execz .LBB466_508
; %bb.501:                              ;   in Loop: Header=BB466_8 Depth=1
	v_bfrev_b32_e32 v0, 1
	s_mov_b32 s18, exec_lo
	v_cmpx_ne_u16_e32 0x80, v1
	s_cbranch_execz .LBB466_507
; %bb.502:                              ;   in Loop: Header=BB466_8 Depth=1
	v_and_b32_e32 v2, 0xffff, v1
	v_mov_b32_e32 v0, 0x7f800001
	s_mov_b32 s19, exec_lo
	s_delay_alu instid0(VALU_DEP_2) | instskip(NEXT) | instid1(VALU_DEP_1)
	v_and_b32_e32 v1, 0x7f, v2
	v_cmpx_ne_u32_e32 0x7f, v1
	s_cbranch_execz .LBB466_506
; %bb.503:                              ;   in Loop: Header=BB466_8 Depth=1
	v_and_b32_e32 v18, 7, v2
	v_lshrrev_b32_e32 v0, 3, v1
	v_mov_b32_e32 v33, v19
	s_mov_b32 s20, exec_lo
	s_delay_alu instid0(VALU_DEP_3)
	v_mov_b32_e32 v32, v18
	v_cmpx_gt_u32_e32 8, v1
; %bb.504:                              ;   in Loop: Header=BB466_8 Depth=1
	v_clz_i32_u32_e32 v0, v18
	s_delay_alu instid0(VALU_DEP_1) | instskip(NEXT) | instid1(VALU_DEP_1)
	v_min_u32_e32 v0, 32, v0
	v_subrev_nc_u32_e32 v1, 28, v0
	v_sub_nc_u32_e32 v0, 29, v0
	s_delay_alu instid0(VALU_DEP_2) | instskip(NEXT) | instid1(VALU_DEP_1)
	v_lshlrev_b64 v[1:2], v1, v[18:19]
	v_and_b32_e32 v32, 7, v1
; %bb.505:                              ;   in Loop: Header=BB466_8 Depth=1
	s_or_b32 exec_lo, exec_lo, s20
	v_lshlrev_b32_e32 v1, 16, v30
	s_delay_alu instid0(VALU_DEP_2) | instskip(SKIP_1) | instid1(VALU_DEP_3)
	v_lshlrev_b32_e32 v2, 20, v32
	v_lshl_add_u32 v0, v0, 23, 0x3c000000
	v_and_b32_e32 v1, 0x80000000, v1
	s_delay_alu instid0(VALU_DEP_1)
	v_or3_b32 v0, v2, v1, v0
.LBB466_506:                            ;   in Loop: Header=BB466_8 Depth=1
	s_or_b32 exec_lo, exec_lo, s19
.LBB466_507:                            ;   in Loop: Header=BB466_8 Depth=1
	s_delay_alu instid0(SALU_CYCLE_1)
	s_or_b32 exec_lo, exec_lo, s18
.LBB466_508:                            ;   in Loop: Header=BB466_8 Depth=1
	s_delay_alu instid0(SALU_CYCLE_1) | instskip(NEXT) | instid1(VALU_DEP_1)
	s_or_b32 exec_lo, exec_lo, s2
	v_mul_f32_e32 v0, v102, v0
                                        ; implicit-def: $vgpr182
	s_delay_alu instid0(VALU_DEP_1) | instskip(NEXT) | instid1(VALU_DEP_1)
	v_and_b32_e32 v1, 0x7f800000, v0
	v_cmp_ne_u32_e64 s1, 0x7f800000, v1
	s_delay_alu instid0(VALU_DEP_1) | instskip(NEXT) | instid1(SALU_CYCLE_1)
	s_and_saveexec_b32 s2, s1
	s_xor_b32 s1, exec_lo, s2
; %bb.509:                              ;   in Loop: Header=BB466_8 Depth=1
	v_bfe_u32 v1, v0, 16, 1
	s_delay_alu instid0(VALU_DEP_1)
	v_add3_u32 v182, v0, v1, 0x7fff
                                        ; implicit-def: $vgpr0
; %bb.510:                              ;   in Loop: Header=BB466_8 Depth=1
	s_and_not1_saveexec_b32 s2, s1
; %bb.511:                              ;   in Loop: Header=BB466_8 Depth=1
	v_and_b32_e32 v1, 0xffff, v0
	v_or_b32_e32 v2, 0x10000, v0
	s_delay_alu instid0(VALU_DEP_2) | instskip(NEXT) | instid1(VALU_DEP_1)
	v_cmp_eq_u32_e64 s1, 0, v1
	v_cndmask_b32_e64 v182, v2, v0, s1
; %bb.512:                              ;   in Loop: Header=BB466_8 Depth=1
	s_or_b32 exec_lo, exec_lo, s2
	v_lshrrev_b32_e32 v0, 16, v30
	s_mov_b32 s2, exec_lo
	s_delay_alu instid0(VALU_DEP_1) | instskip(NEXT) | instid1(VALU_DEP_1)
	v_dual_mov_b32 v1, 0 :: v_dual_and_b32 v2, 0xff, v0
	v_cmpx_ne_u16_e32 0, v2
	s_cbranch_execz .LBB466_520
; %bb.513:                              ;   in Loop: Header=BB466_8 Depth=1
	v_bfrev_b32_e32 v1, 1
	s_mov_b32 s18, exec_lo
	v_cmpx_ne_u16_e32 0x80, v2
	s_cbranch_execz .LBB466_519
; %bb.514:                              ;   in Loop: Header=BB466_8 Depth=1
	v_bfe_u32 v2, v30, 16, 7
	v_mov_b32_e32 v1, 0x7f800001
	s_mov_b32 s19, exec_lo
	s_delay_alu instid0(VALU_DEP_2)
	v_cmpx_ne_u32_e32 0x7f, v2
	s_cbranch_execz .LBB466_518
; %bb.515:                              ;   in Loop: Header=BB466_8 Depth=1
	v_and_b32_e32 v18, 7, v0
	v_lshrrev_b32_e32 v1, 3, v2
	v_mov_b32_e32 v33, v19
	s_mov_b32 s20, exec_lo
	s_delay_alu instid0(VALU_DEP_3)
	v_mov_b32_e32 v32, v18
	v_cmpx_gt_u32_e32 8, v2
; %bb.516:                              ;   in Loop: Header=BB466_8 Depth=1
	v_clz_i32_u32_e32 v1, v18
	s_delay_alu instid0(VALU_DEP_1) | instskip(NEXT) | instid1(VALU_DEP_1)
	v_min_u32_e32 v1, 32, v1
	v_subrev_nc_u32_e32 v2, 28, v1
	v_sub_nc_u32_e32 v1, 29, v1
	s_delay_alu instid0(VALU_DEP_2) | instskip(NEXT) | instid1(VALU_DEP_1)
	v_lshlrev_b64 v[2:3], v2, v[18:19]
	v_and_b32_e32 v32, 7, v2
; %bb.517:                              ;   in Loop: Header=BB466_8 Depth=1
	s_or_b32 exec_lo, exec_lo, s20
	v_lshlrev_b32_e32 v0, 24, v0
	s_delay_alu instid0(VALU_DEP_2) | instskip(SKIP_1) | instid1(VALU_DEP_3)
	v_lshlrev_b32_e32 v2, 20, v32
	v_lshl_add_u32 v1, v1, 23, 0x3c000000
	v_and_b32_e32 v0, 0x80000000, v0
	s_delay_alu instid0(VALU_DEP_1)
	v_or3_b32 v1, v2, v0, v1
.LBB466_518:                            ;   in Loop: Header=BB466_8 Depth=1
	s_or_b32 exec_lo, exec_lo, s19
.LBB466_519:                            ;   in Loop: Header=BB466_8 Depth=1
	s_delay_alu instid0(SALU_CYCLE_1)
	s_or_b32 exec_lo, exec_lo, s18
.LBB466_520:                            ;   in Loop: Header=BB466_8 Depth=1
	s_delay_alu instid0(SALU_CYCLE_1) | instskip(NEXT) | instid1(VALU_DEP_1)
	s_or_b32 exec_lo, exec_lo, s2
	v_mul_f32_e32 v0, v102, v1
                                        ; implicit-def: $vgpr183
	s_delay_alu instid0(VALU_DEP_1) | instskip(NEXT) | instid1(VALU_DEP_1)
	v_and_b32_e32 v1, 0x7f800000, v0
	v_cmp_ne_u32_e64 s1, 0x7f800000, v1
	s_delay_alu instid0(VALU_DEP_1) | instskip(NEXT) | instid1(SALU_CYCLE_1)
	s_and_saveexec_b32 s2, s1
	s_xor_b32 s1, exec_lo, s2
; %bb.521:                              ;   in Loop: Header=BB466_8 Depth=1
	v_bfe_u32 v1, v0, 16, 1
	s_delay_alu instid0(VALU_DEP_1)
	v_add3_u32 v183, v0, v1, 0x7fff
                                        ; implicit-def: $vgpr0
; %bb.522:                              ;   in Loop: Header=BB466_8 Depth=1
	s_and_not1_saveexec_b32 s2, s1
; %bb.523:                              ;   in Loop: Header=BB466_8 Depth=1
	v_and_b32_e32 v1, 0xffff, v0
	v_or_b32_e32 v2, 0x10000, v0
	s_delay_alu instid0(VALU_DEP_2) | instskip(NEXT) | instid1(VALU_DEP_1)
	v_cmp_eq_u32_e64 s1, 0, v1
	v_cndmask_b32_e64 v183, v2, v0, s1
; %bb.524:                              ;   in Loop: Header=BB466_8 Depth=1
	s_or_b32 exec_lo, exec_lo, s2
	v_mov_b32_e32 v1, 0
	s_mov_b32 s2, exec_lo
	v_cmpx_lt_u32_e32 0xffffff, v30
	s_cbranch_execz .LBB466_532
; %bb.525:                              ;   in Loop: Header=BB466_8 Depth=1
	v_lshrrev_b32_e32 v0, 24, v30
	v_bfrev_b32_e32 v1, 1
	s_mov_b32 s18, exec_lo
	s_delay_alu instid0(VALU_DEP_2)
	v_cmpx_ne_u32_e32 0x80, v0
	s_cbranch_execz .LBB466_531
; %bb.526:                              ;   in Loop: Header=BB466_8 Depth=1
	v_bfe_u32 v2, v30, 24, 7
	v_mov_b32_e32 v1, 0x7f800001
	s_mov_b32 s19, exec_lo
	s_delay_alu instid0(VALU_DEP_2)
	v_cmpx_ne_u32_e32 0x7f, v2
	s_cbranch_execz .LBB466_530
; %bb.527:                              ;   in Loop: Header=BB466_8 Depth=1
	v_and_b32_e32 v18, 7, v0
	v_lshrrev_b32_e32 v1, 3, v2
	v_mov_b32_e32 v33, v19
	s_mov_b32 s20, exec_lo
	s_delay_alu instid0(VALU_DEP_3)
	v_mov_b32_e32 v32, v18
	v_cmpx_gt_u32_e32 8, v2
; %bb.528:                              ;   in Loop: Header=BB466_8 Depth=1
	v_clz_i32_u32_e32 v1, v18
	s_delay_alu instid0(VALU_DEP_1) | instskip(NEXT) | instid1(VALU_DEP_1)
	v_min_u32_e32 v1, 32, v1
	v_subrev_nc_u32_e32 v2, 28, v1
	v_sub_nc_u32_e32 v1, 29, v1
	s_delay_alu instid0(VALU_DEP_2) | instskip(NEXT) | instid1(VALU_DEP_1)
	v_lshlrev_b64 v[2:3], v2, v[18:19]
	v_and_b32_e32 v32, 7, v2
; %bb.529:                              ;   in Loop: Header=BB466_8 Depth=1
	s_or_b32 exec_lo, exec_lo, s20
	v_lshlrev_b32_e32 v0, 24, v0
	s_delay_alu instid0(VALU_DEP_2) | instskip(SKIP_1) | instid1(VALU_DEP_3)
	v_lshlrev_b32_e32 v2, 20, v32
	v_lshl_add_u32 v1, v1, 23, 0x3c000000
	v_and_b32_e32 v0, 0x80000000, v0
	s_delay_alu instid0(VALU_DEP_1)
	v_or3_b32 v1, v2, v0, v1
.LBB466_530:                            ;   in Loop: Header=BB466_8 Depth=1
	s_or_b32 exec_lo, exec_lo, s19
.LBB466_531:                            ;   in Loop: Header=BB466_8 Depth=1
	s_delay_alu instid0(SALU_CYCLE_1)
	s_or_b32 exec_lo, exec_lo, s18
.LBB466_532:                            ;   in Loop: Header=BB466_8 Depth=1
	s_delay_alu instid0(SALU_CYCLE_1) | instskip(NEXT) | instid1(VALU_DEP_1)
	s_or_b32 exec_lo, exec_lo, s2
	v_mul_f32_e32 v0, v102, v1
                                        ; implicit-def: $vgpr40
	s_delay_alu instid0(VALU_DEP_1) | instskip(NEXT) | instid1(VALU_DEP_1)
	v_and_b32_e32 v1, 0x7f800000, v0
	v_cmp_ne_u32_e64 s1, 0x7f800000, v1
	s_delay_alu instid0(VALU_DEP_1) | instskip(NEXT) | instid1(SALU_CYCLE_1)
	s_and_saveexec_b32 s2, s1
	s_xor_b32 s1, exec_lo, s2
; %bb.533:                              ;   in Loop: Header=BB466_8 Depth=1
	v_bfe_u32 v1, v0, 16, 1
	s_delay_alu instid0(VALU_DEP_1)
	v_add3_u32 v40, v0, v1, 0x7fff
                                        ; implicit-def: $vgpr0
; %bb.534:                              ;   in Loop: Header=BB466_8 Depth=1
	s_and_not1_saveexec_b32 s2, s1
; %bb.535:                              ;   in Loop: Header=BB466_8 Depth=1
	v_and_b32_e32 v1, 0xffff, v0
	v_or_b32_e32 v2, 0x10000, v0
	s_delay_alu instid0(VALU_DEP_2) | instskip(NEXT) | instid1(VALU_DEP_1)
	v_cmp_eq_u32_e64 s1, 0, v1
	v_cndmask_b32_e64 v40, v2, v0, s1
; %bb.536:                              ;   in Loop: Header=BB466_8 Depth=1
	s_or_b32 exec_lo, exec_lo, s2
	v_dual_mov_b32 v18, v31 :: v_dual_and_b32 v1, 0xff, v31
	v_mov_b32_e32 v0, 0
	s_mov_b32 s2, exec_lo
	s_delay_alu instid0(VALU_DEP_2)
	v_cmpx_ne_u16_e32 0, v1
	s_cbranch_execz .LBB466_544
; %bb.537:                              ;   in Loop: Header=BB466_8 Depth=1
	v_bfrev_b32_e32 v0, 1
	s_mov_b32 s18, exec_lo
	v_cmpx_ne_u16_e32 0x80, v1
	s_cbranch_execz .LBB466_543
; %bb.538:                              ;   in Loop: Header=BB466_8 Depth=1
	v_and_b32_e32 v1, 0x7f, v31
	v_mov_b32_e32 v0, 0x7f800001
	s_mov_b32 s19, exec_lo
	s_delay_alu instid0(VALU_DEP_2)
	v_cmpx_ne_u32_e32 0x7f, v1
	s_cbranch_execz .LBB466_542
; %bb.539:                              ;   in Loop: Header=BB466_8 Depth=1
	v_lshrrev_b32_e32 v0, 3, v1
	v_dual_mov_b32 v33, v19 :: v_dual_mov_b32 v32, v18
	s_mov_b32 s20, exec_lo
	v_cmpx_gt_u32_e32 8, v1
; %bb.540:                              ;   in Loop: Header=BB466_8 Depth=1
	v_and_b32_e32 v0, 7, v31
	s_delay_alu instid0(VALU_DEP_1) | instskip(NEXT) | instid1(VALU_DEP_1)
	v_clz_i32_u32_e32 v0, v0
	v_min_u32_e32 v0, 32, v0
	s_delay_alu instid0(VALU_DEP_1) | instskip(SKIP_1) | instid1(VALU_DEP_2)
	v_subrev_nc_u32_e32 v1, 28, v0
	v_sub_nc_u32_e32 v0, 29, v0
	v_lshlrev_b64 v[32:33], v1, v[18:19]
; %bb.541:                              ;   in Loop: Header=BB466_8 Depth=1
	s_or_b32 exec_lo, exec_lo, s20
	s_delay_alu instid0(VALU_DEP_1) | instskip(SKIP_2) | instid1(VALU_DEP_3)
	v_lshlrev_b32_e32 v1, 20, v32
	v_lshlrev_b32_e32 v2, 24, v18
	v_lshl_add_u32 v0, v0, 23, 0x3c000000
	v_and_b32_e32 v1, 0x700000, v1
	s_delay_alu instid0(VALU_DEP_3) | instskip(NEXT) | instid1(VALU_DEP_1)
	v_and_b32_e32 v2, 0x80000000, v2
	v_or3_b32 v0, v1, v2, v0
.LBB466_542:                            ;   in Loop: Header=BB466_8 Depth=1
	s_or_b32 exec_lo, exec_lo, s19
.LBB466_543:                            ;   in Loop: Header=BB466_8 Depth=1
	s_delay_alu instid0(SALU_CYCLE_1)
	s_or_b32 exec_lo, exec_lo, s18
.LBB466_544:                            ;   in Loop: Header=BB466_8 Depth=1
	s_delay_alu instid0(SALU_CYCLE_1) | instskip(NEXT) | instid1(VALU_DEP_1)
	s_or_b32 exec_lo, exec_lo, s2
	v_mul_f32_e32 v0, v102, v0
                                        ; implicit-def: $vgpr41
	s_delay_alu instid0(VALU_DEP_1) | instskip(NEXT) | instid1(VALU_DEP_1)
	v_and_b32_e32 v1, 0x7f800000, v0
	v_cmp_ne_u32_e64 s1, 0x7f800000, v1
	s_delay_alu instid0(VALU_DEP_1) | instskip(NEXT) | instid1(SALU_CYCLE_1)
	s_and_saveexec_b32 s2, s1
	s_xor_b32 s1, exec_lo, s2
; %bb.545:                              ;   in Loop: Header=BB466_8 Depth=1
	v_bfe_u32 v1, v0, 16, 1
	s_delay_alu instid0(VALU_DEP_1)
	v_add3_u32 v41, v0, v1, 0x7fff
                                        ; implicit-def: $vgpr0
; %bb.546:                              ;   in Loop: Header=BB466_8 Depth=1
	s_and_not1_saveexec_b32 s2, s1
; %bb.547:                              ;   in Loop: Header=BB466_8 Depth=1
	v_and_b32_e32 v1, 0xffff, v0
	v_or_b32_e32 v2, 0x10000, v0
	s_delay_alu instid0(VALU_DEP_2) | instskip(NEXT) | instid1(VALU_DEP_1)
	v_cmp_eq_u32_e64 s1, 0, v1
	v_cndmask_b32_e64 v41, v2, v0, s1
; %bb.548:                              ;   in Loop: Header=BB466_8 Depth=1
	s_or_b32 exec_lo, exec_lo, s2
	v_lshrrev_b16 v1, 8, v18
	v_mov_b32_e32 v0, 0
	s_mov_b32 s2, exec_lo
	s_delay_alu instid0(VALU_DEP_2)
	v_cmpx_ne_u16_e32 0, v1
	s_cbranch_execz .LBB466_556
; %bb.549:                              ;   in Loop: Header=BB466_8 Depth=1
	v_bfrev_b32_e32 v0, 1
	s_mov_b32 s18, exec_lo
	v_cmpx_ne_u16_e32 0x80, v1
	s_cbranch_execz .LBB466_555
; %bb.550:                              ;   in Loop: Header=BB466_8 Depth=1
	v_and_b32_e32 v2, 0xffff, v1
	v_mov_b32_e32 v0, 0x7f800001
	s_mov_b32 s19, exec_lo
	s_delay_alu instid0(VALU_DEP_2) | instskip(NEXT) | instid1(VALU_DEP_1)
	v_and_b32_e32 v1, 0x7f, v2
	v_cmpx_ne_u32_e32 0x7f, v1
	s_cbranch_execz .LBB466_554
; %bb.551:                              ;   in Loop: Header=BB466_8 Depth=1
	v_dual_mov_b32 v33, v19 :: v_dual_and_b32 v32, 7, v2
	v_lshrrev_b32_e32 v0, 3, v1
	s_mov_b32 s20, exec_lo
	v_cmpx_gt_u32_e32 8, v1
; %bb.552:                              ;   in Loop: Header=BB466_8 Depth=1
	s_delay_alu instid0(VALU_DEP_3) | instskip(NEXT) | instid1(VALU_DEP_1)
	v_clz_i32_u32_e32 v0, v32
	v_min_u32_e32 v0, 32, v0
	s_delay_alu instid0(VALU_DEP_1) | instskip(SKIP_1) | instid1(VALU_DEP_2)
	v_subrev_nc_u32_e32 v1, 28, v0
	v_sub_nc_u32_e32 v0, 29, v0
	v_lshlrev_b64 v[1:2], v1, v[32:33]
	s_delay_alu instid0(VALU_DEP_1)
	v_and_b32_e32 v32, 7, v1
; %bb.553:                              ;   in Loop: Header=BB466_8 Depth=1
	s_or_b32 exec_lo, exec_lo, s20
	v_lshlrev_b32_e32 v1, 16, v18
	s_delay_alu instid0(VALU_DEP_2) | instskip(SKIP_1) | instid1(VALU_DEP_3)
	v_lshlrev_b32_e32 v2, 20, v32
	v_lshl_add_u32 v0, v0, 23, 0x3c000000
	v_and_b32_e32 v1, 0x80000000, v1
	s_delay_alu instid0(VALU_DEP_1)
	v_or3_b32 v0, v2, v1, v0
.LBB466_554:                            ;   in Loop: Header=BB466_8 Depth=1
	s_or_b32 exec_lo, exec_lo, s19
.LBB466_555:                            ;   in Loop: Header=BB466_8 Depth=1
	s_delay_alu instid0(SALU_CYCLE_1)
	s_or_b32 exec_lo, exec_lo, s18
.LBB466_556:                            ;   in Loop: Header=BB466_8 Depth=1
	s_delay_alu instid0(SALU_CYCLE_1) | instskip(NEXT) | instid1(VALU_DEP_1)
	s_or_b32 exec_lo, exec_lo, s2
	v_mul_f32_e32 v0, v102, v0
                                        ; implicit-def: $vgpr42
	s_delay_alu instid0(VALU_DEP_1) | instskip(NEXT) | instid1(VALU_DEP_1)
	v_and_b32_e32 v1, 0x7f800000, v0
	v_cmp_ne_u32_e64 s1, 0x7f800000, v1
	s_delay_alu instid0(VALU_DEP_1) | instskip(NEXT) | instid1(SALU_CYCLE_1)
	s_and_saveexec_b32 s2, s1
	s_xor_b32 s1, exec_lo, s2
; %bb.557:                              ;   in Loop: Header=BB466_8 Depth=1
	v_bfe_u32 v1, v0, 16, 1
	s_delay_alu instid0(VALU_DEP_1)
	v_add3_u32 v42, v0, v1, 0x7fff
                                        ; implicit-def: $vgpr0
; %bb.558:                              ;   in Loop: Header=BB466_8 Depth=1
	s_and_not1_saveexec_b32 s2, s1
; %bb.559:                              ;   in Loop: Header=BB466_8 Depth=1
	v_and_b32_e32 v1, 0xffff, v0
	v_or_b32_e32 v2, 0x10000, v0
	s_delay_alu instid0(VALU_DEP_2) | instskip(NEXT) | instid1(VALU_DEP_1)
	v_cmp_eq_u32_e64 s1, 0, v1
	v_cndmask_b32_e64 v42, v2, v0, s1
; %bb.560:                              ;   in Loop: Header=BB466_8 Depth=1
	s_or_b32 exec_lo, exec_lo, s2
	v_lshrrev_b32_e32 v0, 16, v31
	s_mov_b32 s2, exec_lo
	s_delay_alu instid0(VALU_DEP_1) | instskip(NEXT) | instid1(VALU_DEP_1)
	v_dual_mov_b32 v1, 0 :: v_dual_and_b32 v2, 0xff, v0
	v_cmpx_ne_u16_e32 0, v2
	s_cbranch_execz .LBB466_568
; %bb.561:                              ;   in Loop: Header=BB466_8 Depth=1
	v_bfrev_b32_e32 v1, 1
	s_mov_b32 s18, exec_lo
	v_cmpx_ne_u16_e32 0x80, v2
	s_cbranch_execz .LBB466_567
; %bb.562:                              ;   in Loop: Header=BB466_8 Depth=1
	v_bfe_u32 v2, v31, 16, 7
	v_mov_b32_e32 v1, 0x7f800001
	s_mov_b32 s19, exec_lo
	s_delay_alu instid0(VALU_DEP_2)
	v_cmpx_ne_u32_e32 0x7f, v2
	s_cbranch_execz .LBB466_566
; %bb.563:                              ;   in Loop: Header=BB466_8 Depth=1
	v_and_b32_e32 v18, 7, v0
	v_lshrrev_b32_e32 v1, 3, v2
	v_mov_b32_e32 v33, v19
	s_mov_b32 s20, exec_lo
	s_delay_alu instid0(VALU_DEP_3)
	v_mov_b32_e32 v32, v18
	v_cmpx_gt_u32_e32 8, v2
; %bb.564:                              ;   in Loop: Header=BB466_8 Depth=1
	v_clz_i32_u32_e32 v1, v18
	s_delay_alu instid0(VALU_DEP_1) | instskip(NEXT) | instid1(VALU_DEP_1)
	v_min_u32_e32 v1, 32, v1
	v_subrev_nc_u32_e32 v2, 28, v1
	v_sub_nc_u32_e32 v1, 29, v1
	s_delay_alu instid0(VALU_DEP_2) | instskip(NEXT) | instid1(VALU_DEP_1)
	v_lshlrev_b64 v[2:3], v2, v[18:19]
	v_and_b32_e32 v32, 7, v2
; %bb.565:                              ;   in Loop: Header=BB466_8 Depth=1
	s_or_b32 exec_lo, exec_lo, s20
	v_lshlrev_b32_e32 v0, 24, v0
	s_delay_alu instid0(VALU_DEP_2) | instskip(SKIP_1) | instid1(VALU_DEP_3)
	v_lshlrev_b32_e32 v2, 20, v32
	v_lshl_add_u32 v1, v1, 23, 0x3c000000
	v_and_b32_e32 v0, 0x80000000, v0
	s_delay_alu instid0(VALU_DEP_1)
	v_or3_b32 v1, v2, v0, v1
.LBB466_566:                            ;   in Loop: Header=BB466_8 Depth=1
	s_or_b32 exec_lo, exec_lo, s19
.LBB466_567:                            ;   in Loop: Header=BB466_8 Depth=1
	s_delay_alu instid0(SALU_CYCLE_1)
	s_or_b32 exec_lo, exec_lo, s18
.LBB466_568:                            ;   in Loop: Header=BB466_8 Depth=1
	s_delay_alu instid0(SALU_CYCLE_1) | instskip(NEXT) | instid1(VALU_DEP_1)
	s_or_b32 exec_lo, exec_lo, s2
	v_mul_f32_e32 v0, v102, v1
                                        ; implicit-def: $vgpr43
	s_delay_alu instid0(VALU_DEP_1) | instskip(NEXT) | instid1(VALU_DEP_1)
	v_and_b32_e32 v1, 0x7f800000, v0
	v_cmp_ne_u32_e64 s1, 0x7f800000, v1
	s_delay_alu instid0(VALU_DEP_1) | instskip(NEXT) | instid1(SALU_CYCLE_1)
	s_and_saveexec_b32 s2, s1
	s_xor_b32 s1, exec_lo, s2
; %bb.569:                              ;   in Loop: Header=BB466_8 Depth=1
	v_bfe_u32 v1, v0, 16, 1
	s_delay_alu instid0(VALU_DEP_1)
	v_add3_u32 v43, v0, v1, 0x7fff
                                        ; implicit-def: $vgpr0
; %bb.570:                              ;   in Loop: Header=BB466_8 Depth=1
	s_and_not1_saveexec_b32 s2, s1
; %bb.571:                              ;   in Loop: Header=BB466_8 Depth=1
	v_and_b32_e32 v1, 0xffff, v0
	v_or_b32_e32 v2, 0x10000, v0
	s_delay_alu instid0(VALU_DEP_2) | instskip(NEXT) | instid1(VALU_DEP_1)
	v_cmp_eq_u32_e64 s1, 0, v1
	v_cndmask_b32_e64 v43, v2, v0, s1
; %bb.572:                              ;   in Loop: Header=BB466_8 Depth=1
	s_or_b32 exec_lo, exec_lo, s2
	v_mov_b32_e32 v1, 0
	s_mov_b32 s2, exec_lo
	v_cmpx_lt_u64_e64 s[8:9], v[30:31]
	s_cbranch_execz .LBB466_580
; %bb.573:                              ;   in Loop: Header=BB466_8 Depth=1
	v_lshrrev_b32_e32 v0, 24, v31
	v_bfrev_b32_e32 v1, 1
	s_mov_b32 s18, exec_lo
	s_delay_alu instid0(VALU_DEP_2)
	v_cmpx_ne_u32_e32 0x80, v0
	s_cbranch_execz .LBB466_579
; %bb.574:                              ;   in Loop: Header=BB466_8 Depth=1
	v_bfe_u32 v2, v31, 24, 7
	v_mov_b32_e32 v1, 0x7f800001
	s_mov_b32 s19, exec_lo
	s_delay_alu instid0(VALU_DEP_2)
	v_cmpx_ne_u32_e32 0x7f, v2
	s_cbranch_execz .LBB466_578
; %bb.575:                              ;   in Loop: Header=BB466_8 Depth=1
	v_and_b32_e32 v18, 7, v0
	v_lshrrev_b32_e32 v1, 3, v2
	v_mov_b32_e32 v31, v19
	s_mov_b32 s20, exec_lo
	s_delay_alu instid0(VALU_DEP_3)
	v_mov_b32_e32 v30, v18
	v_cmpx_gt_u32_e32 8, v2
; %bb.576:                              ;   in Loop: Header=BB466_8 Depth=1
	v_clz_i32_u32_e32 v1, v18
	s_delay_alu instid0(VALU_DEP_1) | instskip(NEXT) | instid1(VALU_DEP_1)
	v_min_u32_e32 v1, 32, v1
	v_subrev_nc_u32_e32 v2, 28, v1
	v_sub_nc_u32_e32 v1, 29, v1
	s_delay_alu instid0(VALU_DEP_2) | instskip(NEXT) | instid1(VALU_DEP_1)
	v_lshlrev_b64 v[2:3], v2, v[18:19]
	v_and_b32_e32 v30, 7, v2
; %bb.577:                              ;   in Loop: Header=BB466_8 Depth=1
	s_or_b32 exec_lo, exec_lo, s20
	v_lshlrev_b32_e32 v0, 24, v0
	s_delay_alu instid0(VALU_DEP_2) | instskip(SKIP_1) | instid1(VALU_DEP_3)
	v_lshlrev_b32_e32 v2, 20, v30
	v_lshl_add_u32 v1, v1, 23, 0x3c000000
	v_and_b32_e32 v0, 0x80000000, v0
	s_delay_alu instid0(VALU_DEP_1)
	v_or3_b32 v1, v2, v0, v1
.LBB466_578:                            ;   in Loop: Header=BB466_8 Depth=1
	s_or_b32 exec_lo, exec_lo, s19
.LBB466_579:                            ;   in Loop: Header=BB466_8 Depth=1
	s_delay_alu instid0(SALU_CYCLE_1)
	s_or_b32 exec_lo, exec_lo, s18
.LBB466_580:                            ;   in Loop: Header=BB466_8 Depth=1
	s_delay_alu instid0(SALU_CYCLE_1) | instskip(NEXT) | instid1(VALU_DEP_1)
	s_or_b32 exec_lo, exec_lo, s2
	v_mul_f32_e32 v0, v102, v1
                                        ; implicit-def: $vgpr44
	s_delay_alu instid0(VALU_DEP_1) | instskip(NEXT) | instid1(VALU_DEP_1)
	v_and_b32_e32 v1, 0x7f800000, v0
	v_cmp_ne_u32_e64 s1, 0x7f800000, v1
	s_delay_alu instid0(VALU_DEP_1) | instskip(NEXT) | instid1(SALU_CYCLE_1)
	s_and_saveexec_b32 s2, s1
	s_xor_b32 s1, exec_lo, s2
; %bb.581:                              ;   in Loop: Header=BB466_8 Depth=1
	v_bfe_u32 v1, v0, 16, 1
	s_delay_alu instid0(VALU_DEP_1)
	v_add3_u32 v44, v0, v1, 0x7fff
                                        ; implicit-def: $vgpr0
; %bb.582:                              ;   in Loop: Header=BB466_8 Depth=1
	s_and_not1_saveexec_b32 s2, s1
; %bb.583:                              ;   in Loop: Header=BB466_8 Depth=1
	v_and_b32_e32 v1, 0xffff, v0
	v_or_b32_e32 v2, 0x10000, v0
	s_delay_alu instid0(VALU_DEP_2) | instskip(NEXT) | instid1(VALU_DEP_1)
	v_cmp_eq_u32_e64 s1, 0, v1
	v_cndmask_b32_e64 v44, v2, v0, s1
; %bb.584:                              ;   in Loop: Header=BB466_8 Depth=1
	s_or_b32 exec_lo, exec_lo, s2
	flat_load_b64 v[30:31], v[28:29] offset:1536
	s_mov_b32 s2, exec_lo
	s_waitcnt vmcnt(0) lgkmcnt(0)
	v_dual_mov_b32 v0, 0 :: v_dual_and_b32 v1, 0xff, v30
	s_delay_alu instid0(VALU_DEP_1)
	v_cmpx_ne_u16_e32 0, v1
	s_cbranch_execz .LBB466_592
; %bb.585:                              ;   in Loop: Header=BB466_8 Depth=1
	v_bfrev_b32_e32 v0, 1
	s_mov_b32 s18, exec_lo
	v_cmpx_ne_u16_e32 0x80, v1
	s_cbranch_execz .LBB466_591
; %bb.586:                              ;   in Loop: Header=BB466_8 Depth=1
	v_and_b32_e32 v1, 0x7f, v30
	v_mov_b32_e32 v0, 0x7f800001
	s_mov_b32 s19, exec_lo
	s_delay_alu instid0(VALU_DEP_2)
	v_cmpx_ne_u32_e32 0x7f, v1
	s_cbranch_execz .LBB466_590
; %bb.587:                              ;   in Loop: Header=BB466_8 Depth=1
	v_lshrrev_b32_e32 v0, 3, v1
	v_dual_mov_b32 v33, v31 :: v_dual_mov_b32 v32, v30
	s_mov_b32 s20, exec_lo
	v_cmpx_gt_u32_e32 8, v1
; %bb.588:                              ;   in Loop: Header=BB466_8 Depth=1
	v_and_b32_e32 v0, 7, v30
	s_delay_alu instid0(VALU_DEP_1) | instskip(NEXT) | instid1(VALU_DEP_1)
	v_clz_i32_u32_e32 v0, v0
	v_min_u32_e32 v0, 32, v0
	s_delay_alu instid0(VALU_DEP_1) | instskip(SKIP_1) | instid1(VALU_DEP_2)
	v_subrev_nc_u32_e32 v1, 28, v0
	v_sub_nc_u32_e32 v0, 29, v0
	v_lshlrev_b64 v[32:33], v1, v[30:31]
; %bb.589:                              ;   in Loop: Header=BB466_8 Depth=1
	s_or_b32 exec_lo, exec_lo, s20
	s_delay_alu instid0(VALU_DEP_1) | instskip(SKIP_2) | instid1(VALU_DEP_3)
	v_lshlrev_b32_e32 v1, 20, v32
	v_lshlrev_b32_e32 v2, 24, v30
	v_lshl_add_u32 v0, v0, 23, 0x3c000000
	v_and_b32_e32 v1, 0x700000, v1
	s_delay_alu instid0(VALU_DEP_3) | instskip(NEXT) | instid1(VALU_DEP_1)
	v_and_b32_e32 v2, 0x80000000, v2
	v_or3_b32 v0, v1, v2, v0
.LBB466_590:                            ;   in Loop: Header=BB466_8 Depth=1
	s_or_b32 exec_lo, exec_lo, s19
.LBB466_591:                            ;   in Loop: Header=BB466_8 Depth=1
	s_delay_alu instid0(SALU_CYCLE_1)
	s_or_b32 exec_lo, exec_lo, s18
.LBB466_592:                            ;   in Loop: Header=BB466_8 Depth=1
	s_delay_alu instid0(SALU_CYCLE_1) | instskip(NEXT) | instid1(VALU_DEP_1)
	s_or_b32 exec_lo, exec_lo, s2
	v_mul_f32_e32 v0, v102, v0
                                        ; implicit-def: $vgpr45
	s_delay_alu instid0(VALU_DEP_1) | instskip(NEXT) | instid1(VALU_DEP_1)
	v_and_b32_e32 v1, 0x7f800000, v0
	v_cmp_ne_u32_e64 s1, 0x7f800000, v1
	s_delay_alu instid0(VALU_DEP_1) | instskip(NEXT) | instid1(SALU_CYCLE_1)
	s_and_saveexec_b32 s2, s1
	s_xor_b32 s1, exec_lo, s2
; %bb.593:                              ;   in Loop: Header=BB466_8 Depth=1
	v_bfe_u32 v1, v0, 16, 1
	s_delay_alu instid0(VALU_DEP_1)
	v_add3_u32 v45, v0, v1, 0x7fff
                                        ; implicit-def: $vgpr0
; %bb.594:                              ;   in Loop: Header=BB466_8 Depth=1
	s_and_not1_saveexec_b32 s2, s1
; %bb.595:                              ;   in Loop: Header=BB466_8 Depth=1
	v_and_b32_e32 v1, 0xffff, v0
	v_or_b32_e32 v2, 0x10000, v0
	s_delay_alu instid0(VALU_DEP_2) | instskip(NEXT) | instid1(VALU_DEP_1)
	v_cmp_eq_u32_e64 s1, 0, v1
	v_cndmask_b32_e64 v45, v2, v0, s1
; %bb.596:                              ;   in Loop: Header=BB466_8 Depth=1
	s_or_b32 exec_lo, exec_lo, s2
	v_lshrrev_b16 v1, 8, v30
	v_mov_b32_e32 v0, 0
	s_mov_b32 s2, exec_lo
	s_delay_alu instid0(VALU_DEP_2)
	v_cmpx_ne_u16_e32 0, v1
	s_cbranch_execz .LBB466_604
; %bb.597:                              ;   in Loop: Header=BB466_8 Depth=1
	v_bfrev_b32_e32 v0, 1
	s_mov_b32 s18, exec_lo
	v_cmpx_ne_u16_e32 0x80, v1
	s_cbranch_execz .LBB466_603
; %bb.598:                              ;   in Loop: Header=BB466_8 Depth=1
	v_and_b32_e32 v2, 0xffff, v1
	v_mov_b32_e32 v0, 0x7f800001
	s_mov_b32 s19, exec_lo
	s_delay_alu instid0(VALU_DEP_2) | instskip(NEXT) | instid1(VALU_DEP_1)
	v_and_b32_e32 v1, 0x7f, v2
	v_cmpx_ne_u32_e32 0x7f, v1
	s_cbranch_execz .LBB466_602
; %bb.599:                              ;   in Loop: Header=BB466_8 Depth=1
	v_and_b32_e32 v18, 7, v2
	v_lshrrev_b32_e32 v0, 3, v1
	v_mov_b32_e32 v33, v19
	s_mov_b32 s20, exec_lo
	s_delay_alu instid0(VALU_DEP_3)
	v_mov_b32_e32 v32, v18
	v_cmpx_gt_u32_e32 8, v1
; %bb.600:                              ;   in Loop: Header=BB466_8 Depth=1
	v_clz_i32_u32_e32 v0, v18
	s_delay_alu instid0(VALU_DEP_1) | instskip(NEXT) | instid1(VALU_DEP_1)
	v_min_u32_e32 v0, 32, v0
	v_subrev_nc_u32_e32 v1, 28, v0
	v_sub_nc_u32_e32 v0, 29, v0
	s_delay_alu instid0(VALU_DEP_2) | instskip(NEXT) | instid1(VALU_DEP_1)
	v_lshlrev_b64 v[1:2], v1, v[18:19]
	v_and_b32_e32 v32, 7, v1
; %bb.601:                              ;   in Loop: Header=BB466_8 Depth=1
	s_or_b32 exec_lo, exec_lo, s20
	v_lshlrev_b32_e32 v1, 16, v30
	s_delay_alu instid0(VALU_DEP_2) | instskip(SKIP_1) | instid1(VALU_DEP_3)
	v_lshlrev_b32_e32 v2, 20, v32
	v_lshl_add_u32 v0, v0, 23, 0x3c000000
	v_and_b32_e32 v1, 0x80000000, v1
	s_delay_alu instid0(VALU_DEP_1)
	v_or3_b32 v0, v2, v1, v0
.LBB466_602:                            ;   in Loop: Header=BB466_8 Depth=1
	s_or_b32 exec_lo, exec_lo, s19
.LBB466_603:                            ;   in Loop: Header=BB466_8 Depth=1
	s_delay_alu instid0(SALU_CYCLE_1)
	s_or_b32 exec_lo, exec_lo, s18
.LBB466_604:                            ;   in Loop: Header=BB466_8 Depth=1
	s_delay_alu instid0(SALU_CYCLE_1) | instskip(NEXT) | instid1(VALU_DEP_1)
	s_or_b32 exec_lo, exec_lo, s2
	v_mul_f32_e32 v0, v102, v0
                                        ; implicit-def: $vgpr46
	s_delay_alu instid0(VALU_DEP_1) | instskip(NEXT) | instid1(VALU_DEP_1)
	v_and_b32_e32 v1, 0x7f800000, v0
	v_cmp_ne_u32_e64 s1, 0x7f800000, v1
	s_delay_alu instid0(VALU_DEP_1) | instskip(NEXT) | instid1(SALU_CYCLE_1)
	s_and_saveexec_b32 s2, s1
	s_xor_b32 s1, exec_lo, s2
; %bb.605:                              ;   in Loop: Header=BB466_8 Depth=1
	v_bfe_u32 v1, v0, 16, 1
	s_delay_alu instid0(VALU_DEP_1)
	v_add3_u32 v46, v0, v1, 0x7fff
                                        ; implicit-def: $vgpr0
; %bb.606:                              ;   in Loop: Header=BB466_8 Depth=1
	s_and_not1_saveexec_b32 s2, s1
; %bb.607:                              ;   in Loop: Header=BB466_8 Depth=1
	v_and_b32_e32 v1, 0xffff, v0
	v_or_b32_e32 v2, 0x10000, v0
	s_delay_alu instid0(VALU_DEP_2) | instskip(NEXT) | instid1(VALU_DEP_1)
	v_cmp_eq_u32_e64 s1, 0, v1
	v_cndmask_b32_e64 v46, v2, v0, s1
; %bb.608:                              ;   in Loop: Header=BB466_8 Depth=1
	s_or_b32 exec_lo, exec_lo, s2
	v_lshrrev_b32_e32 v0, 16, v30
	s_mov_b32 s2, exec_lo
	s_delay_alu instid0(VALU_DEP_1) | instskip(NEXT) | instid1(VALU_DEP_1)
	v_dual_mov_b32 v1, 0 :: v_dual_and_b32 v2, 0xff, v0
	v_cmpx_ne_u16_e32 0, v2
	s_cbranch_execz .LBB466_616
; %bb.609:                              ;   in Loop: Header=BB466_8 Depth=1
	v_bfrev_b32_e32 v1, 1
	s_mov_b32 s18, exec_lo
	v_cmpx_ne_u16_e32 0x80, v2
	s_cbranch_execz .LBB466_615
; %bb.610:                              ;   in Loop: Header=BB466_8 Depth=1
	v_bfe_u32 v2, v30, 16, 7
	v_mov_b32_e32 v1, 0x7f800001
	s_mov_b32 s19, exec_lo
	s_delay_alu instid0(VALU_DEP_2)
	v_cmpx_ne_u32_e32 0x7f, v2
	s_cbranch_execz .LBB466_614
; %bb.611:                              ;   in Loop: Header=BB466_8 Depth=1
	v_and_b32_e32 v18, 7, v0
	v_lshrrev_b32_e32 v1, 3, v2
	v_mov_b32_e32 v33, v19
	s_mov_b32 s20, exec_lo
	s_delay_alu instid0(VALU_DEP_3)
	v_mov_b32_e32 v32, v18
	v_cmpx_gt_u32_e32 8, v2
; %bb.612:                              ;   in Loop: Header=BB466_8 Depth=1
	v_clz_i32_u32_e32 v1, v18
	s_delay_alu instid0(VALU_DEP_1) | instskip(NEXT) | instid1(VALU_DEP_1)
	v_min_u32_e32 v1, 32, v1
	v_subrev_nc_u32_e32 v2, 28, v1
	v_sub_nc_u32_e32 v1, 29, v1
	s_delay_alu instid0(VALU_DEP_2) | instskip(NEXT) | instid1(VALU_DEP_1)
	v_lshlrev_b64 v[2:3], v2, v[18:19]
	v_and_b32_e32 v32, 7, v2
; %bb.613:                              ;   in Loop: Header=BB466_8 Depth=1
	s_or_b32 exec_lo, exec_lo, s20
	v_lshlrev_b32_e32 v0, 24, v0
	s_delay_alu instid0(VALU_DEP_2) | instskip(SKIP_1) | instid1(VALU_DEP_3)
	v_lshlrev_b32_e32 v2, 20, v32
	v_lshl_add_u32 v1, v1, 23, 0x3c000000
	v_and_b32_e32 v0, 0x80000000, v0
	s_delay_alu instid0(VALU_DEP_1)
	v_or3_b32 v1, v2, v0, v1
.LBB466_614:                            ;   in Loop: Header=BB466_8 Depth=1
	s_or_b32 exec_lo, exec_lo, s19
.LBB466_615:                            ;   in Loop: Header=BB466_8 Depth=1
	s_delay_alu instid0(SALU_CYCLE_1)
	s_or_b32 exec_lo, exec_lo, s18
.LBB466_616:                            ;   in Loop: Header=BB466_8 Depth=1
	s_delay_alu instid0(SALU_CYCLE_1) | instskip(NEXT) | instid1(VALU_DEP_1)
	s_or_b32 exec_lo, exec_lo, s2
	v_mul_f32_e32 v0, v102, v1
                                        ; implicit-def: $vgpr47
	s_delay_alu instid0(VALU_DEP_1) | instskip(NEXT) | instid1(VALU_DEP_1)
	v_and_b32_e32 v1, 0x7f800000, v0
	v_cmp_ne_u32_e64 s1, 0x7f800000, v1
	s_delay_alu instid0(VALU_DEP_1) | instskip(NEXT) | instid1(SALU_CYCLE_1)
	s_and_saveexec_b32 s2, s1
	s_xor_b32 s1, exec_lo, s2
; %bb.617:                              ;   in Loop: Header=BB466_8 Depth=1
	v_bfe_u32 v1, v0, 16, 1
	s_delay_alu instid0(VALU_DEP_1)
	v_add3_u32 v47, v0, v1, 0x7fff
                                        ; implicit-def: $vgpr0
; %bb.618:                              ;   in Loop: Header=BB466_8 Depth=1
	s_and_not1_saveexec_b32 s2, s1
; %bb.619:                              ;   in Loop: Header=BB466_8 Depth=1
	v_and_b32_e32 v1, 0xffff, v0
	v_or_b32_e32 v2, 0x10000, v0
	s_delay_alu instid0(VALU_DEP_2) | instskip(NEXT) | instid1(VALU_DEP_1)
	v_cmp_eq_u32_e64 s1, 0, v1
	v_cndmask_b32_e64 v47, v2, v0, s1
; %bb.620:                              ;   in Loop: Header=BB466_8 Depth=1
	s_or_b32 exec_lo, exec_lo, s2
	v_mov_b32_e32 v1, 0
	s_mov_b32 s2, exec_lo
	v_cmpx_lt_u32_e32 0xffffff, v30
	s_cbranch_execz .LBB466_628
; %bb.621:                              ;   in Loop: Header=BB466_8 Depth=1
	v_lshrrev_b32_e32 v0, 24, v30
	v_bfrev_b32_e32 v1, 1
	s_mov_b32 s18, exec_lo
	s_delay_alu instid0(VALU_DEP_2)
	v_cmpx_ne_u32_e32 0x80, v0
	s_cbranch_execz .LBB466_627
; %bb.622:                              ;   in Loop: Header=BB466_8 Depth=1
	v_bfe_u32 v2, v30, 24, 7
	v_mov_b32_e32 v1, 0x7f800001
	s_mov_b32 s19, exec_lo
	s_delay_alu instid0(VALU_DEP_2)
	v_cmpx_ne_u32_e32 0x7f, v2
	s_cbranch_execz .LBB466_626
; %bb.623:                              ;   in Loop: Header=BB466_8 Depth=1
	v_and_b32_e32 v18, 7, v0
	v_lshrrev_b32_e32 v1, 3, v2
	v_mov_b32_e32 v33, v19
	s_mov_b32 s20, exec_lo
	s_delay_alu instid0(VALU_DEP_3)
	v_mov_b32_e32 v32, v18
	v_cmpx_gt_u32_e32 8, v2
; %bb.624:                              ;   in Loop: Header=BB466_8 Depth=1
	v_clz_i32_u32_e32 v1, v18
	s_delay_alu instid0(VALU_DEP_1) | instskip(NEXT) | instid1(VALU_DEP_1)
	v_min_u32_e32 v1, 32, v1
	v_subrev_nc_u32_e32 v2, 28, v1
	v_sub_nc_u32_e32 v1, 29, v1
	s_delay_alu instid0(VALU_DEP_2) | instskip(NEXT) | instid1(VALU_DEP_1)
	v_lshlrev_b64 v[2:3], v2, v[18:19]
	v_and_b32_e32 v32, 7, v2
; %bb.625:                              ;   in Loop: Header=BB466_8 Depth=1
	s_or_b32 exec_lo, exec_lo, s20
	v_lshlrev_b32_e32 v0, 24, v0
	s_delay_alu instid0(VALU_DEP_2) | instskip(SKIP_1) | instid1(VALU_DEP_3)
	v_lshlrev_b32_e32 v2, 20, v32
	v_lshl_add_u32 v1, v1, 23, 0x3c000000
	v_and_b32_e32 v0, 0x80000000, v0
	s_delay_alu instid0(VALU_DEP_1)
	v_or3_b32 v1, v2, v0, v1
.LBB466_626:                            ;   in Loop: Header=BB466_8 Depth=1
	s_or_b32 exec_lo, exec_lo, s19
.LBB466_627:                            ;   in Loop: Header=BB466_8 Depth=1
	s_delay_alu instid0(SALU_CYCLE_1)
	s_or_b32 exec_lo, exec_lo, s18
.LBB466_628:                            ;   in Loop: Header=BB466_8 Depth=1
	s_delay_alu instid0(SALU_CYCLE_1) | instskip(NEXT) | instid1(VALU_DEP_1)
	s_or_b32 exec_lo, exec_lo, s2
	v_mul_f32_e32 v0, v102, v1
                                        ; implicit-def: $vgpr56
	s_delay_alu instid0(VALU_DEP_1) | instskip(NEXT) | instid1(VALU_DEP_1)
	v_and_b32_e32 v1, 0x7f800000, v0
	v_cmp_ne_u32_e64 s1, 0x7f800000, v1
	s_delay_alu instid0(VALU_DEP_1) | instskip(NEXT) | instid1(SALU_CYCLE_1)
	s_and_saveexec_b32 s2, s1
	s_xor_b32 s1, exec_lo, s2
; %bb.629:                              ;   in Loop: Header=BB466_8 Depth=1
	v_bfe_u32 v1, v0, 16, 1
	s_delay_alu instid0(VALU_DEP_1)
	v_add3_u32 v56, v0, v1, 0x7fff
                                        ; implicit-def: $vgpr0
; %bb.630:                              ;   in Loop: Header=BB466_8 Depth=1
	s_and_not1_saveexec_b32 s2, s1
; %bb.631:                              ;   in Loop: Header=BB466_8 Depth=1
	v_and_b32_e32 v1, 0xffff, v0
	v_or_b32_e32 v2, 0x10000, v0
	s_delay_alu instid0(VALU_DEP_2) | instskip(NEXT) | instid1(VALU_DEP_1)
	v_cmp_eq_u32_e64 s1, 0, v1
	v_cndmask_b32_e64 v56, v2, v0, s1
; %bb.632:                              ;   in Loop: Header=BB466_8 Depth=1
	s_or_b32 exec_lo, exec_lo, s2
	v_dual_mov_b32 v18, v31 :: v_dual_and_b32 v1, 0xff, v31
	v_mov_b32_e32 v0, 0
	s_mov_b32 s2, exec_lo
	s_delay_alu instid0(VALU_DEP_2)
	v_cmpx_ne_u16_e32 0, v1
	s_cbranch_execz .LBB466_640
; %bb.633:                              ;   in Loop: Header=BB466_8 Depth=1
	v_bfrev_b32_e32 v0, 1
	s_mov_b32 s18, exec_lo
	v_cmpx_ne_u16_e32 0x80, v1
	s_cbranch_execz .LBB466_639
; %bb.634:                              ;   in Loop: Header=BB466_8 Depth=1
	v_and_b32_e32 v1, 0x7f, v31
	v_mov_b32_e32 v0, 0x7f800001
	s_mov_b32 s19, exec_lo
	s_delay_alu instid0(VALU_DEP_2)
	v_cmpx_ne_u32_e32 0x7f, v1
	s_cbranch_execz .LBB466_638
; %bb.635:                              ;   in Loop: Header=BB466_8 Depth=1
	v_lshrrev_b32_e32 v0, 3, v1
	v_dual_mov_b32 v33, v19 :: v_dual_mov_b32 v32, v18
	s_mov_b32 s20, exec_lo
	v_cmpx_gt_u32_e32 8, v1
; %bb.636:                              ;   in Loop: Header=BB466_8 Depth=1
	v_and_b32_e32 v0, 7, v31
	s_delay_alu instid0(VALU_DEP_1) | instskip(NEXT) | instid1(VALU_DEP_1)
	v_clz_i32_u32_e32 v0, v0
	v_min_u32_e32 v0, 32, v0
	s_delay_alu instid0(VALU_DEP_1) | instskip(SKIP_1) | instid1(VALU_DEP_2)
	v_subrev_nc_u32_e32 v1, 28, v0
	v_sub_nc_u32_e32 v0, 29, v0
	v_lshlrev_b64 v[32:33], v1, v[18:19]
; %bb.637:                              ;   in Loop: Header=BB466_8 Depth=1
	s_or_b32 exec_lo, exec_lo, s20
	s_delay_alu instid0(VALU_DEP_1) | instskip(SKIP_2) | instid1(VALU_DEP_3)
	v_lshlrev_b32_e32 v1, 20, v32
	v_lshlrev_b32_e32 v2, 24, v18
	v_lshl_add_u32 v0, v0, 23, 0x3c000000
	v_and_b32_e32 v1, 0x700000, v1
	s_delay_alu instid0(VALU_DEP_3) | instskip(NEXT) | instid1(VALU_DEP_1)
	v_and_b32_e32 v2, 0x80000000, v2
	v_or3_b32 v0, v1, v2, v0
.LBB466_638:                            ;   in Loop: Header=BB466_8 Depth=1
	s_or_b32 exec_lo, exec_lo, s19
.LBB466_639:                            ;   in Loop: Header=BB466_8 Depth=1
	s_delay_alu instid0(SALU_CYCLE_1)
	s_or_b32 exec_lo, exec_lo, s18
.LBB466_640:                            ;   in Loop: Header=BB466_8 Depth=1
	s_delay_alu instid0(SALU_CYCLE_1) | instskip(NEXT) | instid1(VALU_DEP_1)
	s_or_b32 exec_lo, exec_lo, s2
	v_mul_f32_e32 v0, v102, v0
                                        ; implicit-def: $vgpr57
	s_delay_alu instid0(VALU_DEP_1) | instskip(NEXT) | instid1(VALU_DEP_1)
	v_and_b32_e32 v1, 0x7f800000, v0
	v_cmp_ne_u32_e64 s1, 0x7f800000, v1
	s_delay_alu instid0(VALU_DEP_1) | instskip(NEXT) | instid1(SALU_CYCLE_1)
	s_and_saveexec_b32 s2, s1
	s_xor_b32 s1, exec_lo, s2
; %bb.641:                              ;   in Loop: Header=BB466_8 Depth=1
	v_bfe_u32 v1, v0, 16, 1
	s_delay_alu instid0(VALU_DEP_1)
	v_add3_u32 v57, v0, v1, 0x7fff
                                        ; implicit-def: $vgpr0
; %bb.642:                              ;   in Loop: Header=BB466_8 Depth=1
	s_and_not1_saveexec_b32 s2, s1
; %bb.643:                              ;   in Loop: Header=BB466_8 Depth=1
	v_and_b32_e32 v1, 0xffff, v0
	v_or_b32_e32 v2, 0x10000, v0
	s_delay_alu instid0(VALU_DEP_2) | instskip(NEXT) | instid1(VALU_DEP_1)
	v_cmp_eq_u32_e64 s1, 0, v1
	v_cndmask_b32_e64 v57, v2, v0, s1
; %bb.644:                              ;   in Loop: Header=BB466_8 Depth=1
	s_or_b32 exec_lo, exec_lo, s2
	v_lshrrev_b16 v1, 8, v18
	v_mov_b32_e32 v0, 0
	s_mov_b32 s2, exec_lo
	s_delay_alu instid0(VALU_DEP_2)
	v_cmpx_ne_u16_e32 0, v1
	s_cbranch_execz .LBB466_652
; %bb.645:                              ;   in Loop: Header=BB466_8 Depth=1
	v_bfrev_b32_e32 v0, 1
	s_mov_b32 s18, exec_lo
	v_cmpx_ne_u16_e32 0x80, v1
	s_cbranch_execz .LBB466_651
; %bb.646:                              ;   in Loop: Header=BB466_8 Depth=1
	v_and_b32_e32 v2, 0xffff, v1
	v_mov_b32_e32 v0, 0x7f800001
	s_mov_b32 s19, exec_lo
	s_delay_alu instid0(VALU_DEP_2) | instskip(NEXT) | instid1(VALU_DEP_1)
	v_and_b32_e32 v1, 0x7f, v2
	v_cmpx_ne_u32_e32 0x7f, v1
	s_cbranch_execz .LBB466_650
; %bb.647:                              ;   in Loop: Header=BB466_8 Depth=1
	v_dual_mov_b32 v33, v19 :: v_dual_and_b32 v32, 7, v2
	v_lshrrev_b32_e32 v0, 3, v1
	s_mov_b32 s20, exec_lo
	v_cmpx_gt_u32_e32 8, v1
; %bb.648:                              ;   in Loop: Header=BB466_8 Depth=1
	s_delay_alu instid0(VALU_DEP_3) | instskip(NEXT) | instid1(VALU_DEP_1)
	v_clz_i32_u32_e32 v0, v32
	v_min_u32_e32 v0, 32, v0
	s_delay_alu instid0(VALU_DEP_1) | instskip(SKIP_1) | instid1(VALU_DEP_2)
	v_subrev_nc_u32_e32 v1, 28, v0
	v_sub_nc_u32_e32 v0, 29, v0
	v_lshlrev_b64 v[1:2], v1, v[32:33]
	s_delay_alu instid0(VALU_DEP_1)
	v_and_b32_e32 v32, 7, v1
; %bb.649:                              ;   in Loop: Header=BB466_8 Depth=1
	s_or_b32 exec_lo, exec_lo, s20
	v_lshlrev_b32_e32 v1, 16, v18
	s_delay_alu instid0(VALU_DEP_2) | instskip(SKIP_1) | instid1(VALU_DEP_3)
	v_lshlrev_b32_e32 v2, 20, v32
	v_lshl_add_u32 v0, v0, 23, 0x3c000000
	v_and_b32_e32 v1, 0x80000000, v1
	s_delay_alu instid0(VALU_DEP_1)
	v_or3_b32 v0, v2, v1, v0
.LBB466_650:                            ;   in Loop: Header=BB466_8 Depth=1
	s_or_b32 exec_lo, exec_lo, s19
.LBB466_651:                            ;   in Loop: Header=BB466_8 Depth=1
	s_delay_alu instid0(SALU_CYCLE_1)
	s_or_b32 exec_lo, exec_lo, s18
.LBB466_652:                            ;   in Loop: Header=BB466_8 Depth=1
	s_delay_alu instid0(SALU_CYCLE_1) | instskip(NEXT) | instid1(VALU_DEP_1)
	s_or_b32 exec_lo, exec_lo, s2
	v_mul_f32_e32 v0, v102, v0
                                        ; implicit-def: $vgpr58
	s_delay_alu instid0(VALU_DEP_1) | instskip(NEXT) | instid1(VALU_DEP_1)
	v_and_b32_e32 v1, 0x7f800000, v0
	v_cmp_ne_u32_e64 s1, 0x7f800000, v1
	s_delay_alu instid0(VALU_DEP_1) | instskip(NEXT) | instid1(SALU_CYCLE_1)
	s_and_saveexec_b32 s2, s1
	s_xor_b32 s1, exec_lo, s2
; %bb.653:                              ;   in Loop: Header=BB466_8 Depth=1
	v_bfe_u32 v1, v0, 16, 1
	s_delay_alu instid0(VALU_DEP_1)
	v_add3_u32 v58, v0, v1, 0x7fff
                                        ; implicit-def: $vgpr0
; %bb.654:                              ;   in Loop: Header=BB466_8 Depth=1
	s_and_not1_saveexec_b32 s2, s1
; %bb.655:                              ;   in Loop: Header=BB466_8 Depth=1
	v_and_b32_e32 v1, 0xffff, v0
	v_or_b32_e32 v2, 0x10000, v0
	s_delay_alu instid0(VALU_DEP_2) | instskip(NEXT) | instid1(VALU_DEP_1)
	v_cmp_eq_u32_e64 s1, 0, v1
	v_cndmask_b32_e64 v58, v2, v0, s1
; %bb.656:                              ;   in Loop: Header=BB466_8 Depth=1
	s_or_b32 exec_lo, exec_lo, s2
	v_lshrrev_b32_e32 v0, 16, v31
	s_mov_b32 s2, exec_lo
	s_delay_alu instid0(VALU_DEP_1) | instskip(NEXT) | instid1(VALU_DEP_1)
	v_dual_mov_b32 v1, 0 :: v_dual_and_b32 v2, 0xff, v0
	v_cmpx_ne_u16_e32 0, v2
	s_cbranch_execz .LBB466_664
; %bb.657:                              ;   in Loop: Header=BB466_8 Depth=1
	v_bfrev_b32_e32 v1, 1
	s_mov_b32 s18, exec_lo
	v_cmpx_ne_u16_e32 0x80, v2
	s_cbranch_execz .LBB466_663
; %bb.658:                              ;   in Loop: Header=BB466_8 Depth=1
	v_bfe_u32 v2, v31, 16, 7
	v_mov_b32_e32 v1, 0x7f800001
	s_mov_b32 s19, exec_lo
	s_delay_alu instid0(VALU_DEP_2)
	v_cmpx_ne_u32_e32 0x7f, v2
	s_cbranch_execz .LBB466_662
; %bb.659:                              ;   in Loop: Header=BB466_8 Depth=1
	v_and_b32_e32 v18, 7, v0
	v_lshrrev_b32_e32 v1, 3, v2
	v_mov_b32_e32 v33, v19
	s_mov_b32 s20, exec_lo
	s_delay_alu instid0(VALU_DEP_3)
	v_mov_b32_e32 v32, v18
	v_cmpx_gt_u32_e32 8, v2
; %bb.660:                              ;   in Loop: Header=BB466_8 Depth=1
	v_clz_i32_u32_e32 v1, v18
	s_delay_alu instid0(VALU_DEP_1) | instskip(NEXT) | instid1(VALU_DEP_1)
	v_min_u32_e32 v1, 32, v1
	v_subrev_nc_u32_e32 v2, 28, v1
	v_sub_nc_u32_e32 v1, 29, v1
	s_delay_alu instid0(VALU_DEP_2) | instskip(NEXT) | instid1(VALU_DEP_1)
	v_lshlrev_b64 v[2:3], v2, v[18:19]
	v_and_b32_e32 v32, 7, v2
; %bb.661:                              ;   in Loop: Header=BB466_8 Depth=1
	s_or_b32 exec_lo, exec_lo, s20
	v_lshlrev_b32_e32 v0, 24, v0
	s_delay_alu instid0(VALU_DEP_2) | instskip(SKIP_1) | instid1(VALU_DEP_3)
	v_lshlrev_b32_e32 v2, 20, v32
	v_lshl_add_u32 v1, v1, 23, 0x3c000000
	v_and_b32_e32 v0, 0x80000000, v0
	s_delay_alu instid0(VALU_DEP_1)
	v_or3_b32 v1, v2, v0, v1
.LBB466_662:                            ;   in Loop: Header=BB466_8 Depth=1
	s_or_b32 exec_lo, exec_lo, s19
.LBB466_663:                            ;   in Loop: Header=BB466_8 Depth=1
	s_delay_alu instid0(SALU_CYCLE_1)
	s_or_b32 exec_lo, exec_lo, s18
.LBB466_664:                            ;   in Loop: Header=BB466_8 Depth=1
	s_delay_alu instid0(SALU_CYCLE_1) | instskip(NEXT) | instid1(VALU_DEP_1)
	s_or_b32 exec_lo, exec_lo, s2
	v_mul_f32_e32 v0, v102, v1
                                        ; implicit-def: $vgpr59
	s_delay_alu instid0(VALU_DEP_1) | instskip(NEXT) | instid1(VALU_DEP_1)
	v_and_b32_e32 v1, 0x7f800000, v0
	v_cmp_ne_u32_e64 s1, 0x7f800000, v1
	s_delay_alu instid0(VALU_DEP_1) | instskip(NEXT) | instid1(SALU_CYCLE_1)
	s_and_saveexec_b32 s2, s1
	s_xor_b32 s1, exec_lo, s2
; %bb.665:                              ;   in Loop: Header=BB466_8 Depth=1
	v_bfe_u32 v1, v0, 16, 1
	s_delay_alu instid0(VALU_DEP_1)
	v_add3_u32 v59, v0, v1, 0x7fff
                                        ; implicit-def: $vgpr0
; %bb.666:                              ;   in Loop: Header=BB466_8 Depth=1
	s_and_not1_saveexec_b32 s2, s1
; %bb.667:                              ;   in Loop: Header=BB466_8 Depth=1
	v_and_b32_e32 v1, 0xffff, v0
	v_or_b32_e32 v2, 0x10000, v0
	s_delay_alu instid0(VALU_DEP_2) | instskip(NEXT) | instid1(VALU_DEP_1)
	v_cmp_eq_u32_e64 s1, 0, v1
	v_cndmask_b32_e64 v59, v2, v0, s1
; %bb.668:                              ;   in Loop: Header=BB466_8 Depth=1
	s_or_b32 exec_lo, exec_lo, s2
	v_mov_b32_e32 v1, 0
	s_mov_b32 s2, exec_lo
	v_cmpx_lt_u64_e64 s[8:9], v[30:31]
	s_cbranch_execz .LBB466_676
; %bb.669:                              ;   in Loop: Header=BB466_8 Depth=1
	v_lshrrev_b32_e32 v0, 24, v31
	v_bfrev_b32_e32 v1, 1
	s_mov_b32 s18, exec_lo
	s_delay_alu instid0(VALU_DEP_2)
	v_cmpx_ne_u32_e32 0x80, v0
	s_cbranch_execz .LBB466_675
; %bb.670:                              ;   in Loop: Header=BB466_8 Depth=1
	v_bfe_u32 v2, v31, 24, 7
	v_mov_b32_e32 v1, 0x7f800001
	s_mov_b32 s19, exec_lo
	s_delay_alu instid0(VALU_DEP_2)
	v_cmpx_ne_u32_e32 0x7f, v2
	s_cbranch_execz .LBB466_674
; %bb.671:                              ;   in Loop: Header=BB466_8 Depth=1
	v_and_b32_e32 v18, 7, v0
	v_lshrrev_b32_e32 v1, 3, v2
	v_mov_b32_e32 v31, v19
	s_mov_b32 s20, exec_lo
	s_delay_alu instid0(VALU_DEP_3)
	v_mov_b32_e32 v30, v18
	v_cmpx_gt_u32_e32 8, v2
; %bb.672:                              ;   in Loop: Header=BB466_8 Depth=1
	v_clz_i32_u32_e32 v1, v18
	s_delay_alu instid0(VALU_DEP_1) | instskip(NEXT) | instid1(VALU_DEP_1)
	v_min_u32_e32 v1, 32, v1
	v_subrev_nc_u32_e32 v2, 28, v1
	v_sub_nc_u32_e32 v1, 29, v1
	s_delay_alu instid0(VALU_DEP_2) | instskip(NEXT) | instid1(VALU_DEP_1)
	v_lshlrev_b64 v[2:3], v2, v[18:19]
	v_and_b32_e32 v30, 7, v2
; %bb.673:                              ;   in Loop: Header=BB466_8 Depth=1
	s_or_b32 exec_lo, exec_lo, s20
	v_lshlrev_b32_e32 v0, 24, v0
	s_delay_alu instid0(VALU_DEP_2) | instskip(SKIP_1) | instid1(VALU_DEP_3)
	v_lshlrev_b32_e32 v2, 20, v30
	v_lshl_add_u32 v1, v1, 23, 0x3c000000
	v_and_b32_e32 v0, 0x80000000, v0
	s_delay_alu instid0(VALU_DEP_1)
	v_or3_b32 v1, v2, v0, v1
.LBB466_674:                            ;   in Loop: Header=BB466_8 Depth=1
	s_or_b32 exec_lo, exec_lo, s19
.LBB466_675:                            ;   in Loop: Header=BB466_8 Depth=1
	s_delay_alu instid0(SALU_CYCLE_1)
	s_or_b32 exec_lo, exec_lo, s18
.LBB466_676:                            ;   in Loop: Header=BB466_8 Depth=1
	s_delay_alu instid0(SALU_CYCLE_1) | instskip(NEXT) | instid1(VALU_DEP_1)
	s_or_b32 exec_lo, exec_lo, s2
	v_mul_f32_e32 v0, v102, v1
                                        ; implicit-def: $vgpr60
	s_delay_alu instid0(VALU_DEP_1) | instskip(NEXT) | instid1(VALU_DEP_1)
	v_and_b32_e32 v1, 0x7f800000, v0
	v_cmp_ne_u32_e64 s1, 0x7f800000, v1
	s_delay_alu instid0(VALU_DEP_1) | instskip(NEXT) | instid1(SALU_CYCLE_1)
	s_and_saveexec_b32 s2, s1
	s_xor_b32 s1, exec_lo, s2
; %bb.677:                              ;   in Loop: Header=BB466_8 Depth=1
	v_bfe_u32 v1, v0, 16, 1
	s_delay_alu instid0(VALU_DEP_1)
	v_add3_u32 v60, v0, v1, 0x7fff
                                        ; implicit-def: $vgpr0
; %bb.678:                              ;   in Loop: Header=BB466_8 Depth=1
	s_and_not1_saveexec_b32 s2, s1
; %bb.679:                              ;   in Loop: Header=BB466_8 Depth=1
	v_and_b32_e32 v1, 0xffff, v0
	v_or_b32_e32 v2, 0x10000, v0
	s_delay_alu instid0(VALU_DEP_2) | instskip(NEXT) | instid1(VALU_DEP_1)
	v_cmp_eq_u32_e64 s1, 0, v1
	v_cndmask_b32_e64 v60, v2, v0, s1
; %bb.680:                              ;   in Loop: Header=BB466_8 Depth=1
	s_or_b32 exec_lo, exec_lo, s2
	flat_load_b64 v[30:31], v[28:29] offset:1544
	s_mov_b32 s2, exec_lo
	s_waitcnt vmcnt(0) lgkmcnt(0)
	v_dual_mov_b32 v0, 0 :: v_dual_and_b32 v1, 0xff, v30
	s_delay_alu instid0(VALU_DEP_1)
	v_cmpx_ne_u16_e32 0, v1
	s_cbranch_execz .LBB466_688
; %bb.681:                              ;   in Loop: Header=BB466_8 Depth=1
	v_bfrev_b32_e32 v0, 1
	s_mov_b32 s18, exec_lo
	v_cmpx_ne_u16_e32 0x80, v1
	s_cbranch_execz .LBB466_687
; %bb.682:                              ;   in Loop: Header=BB466_8 Depth=1
	v_and_b32_e32 v1, 0x7f, v30
	v_mov_b32_e32 v0, 0x7f800001
	s_mov_b32 s19, exec_lo
	s_delay_alu instid0(VALU_DEP_2)
	v_cmpx_ne_u32_e32 0x7f, v1
	s_cbranch_execz .LBB466_686
; %bb.683:                              ;   in Loop: Header=BB466_8 Depth=1
	v_lshrrev_b32_e32 v0, 3, v1
	v_dual_mov_b32 v33, v31 :: v_dual_mov_b32 v32, v30
	s_mov_b32 s20, exec_lo
	v_cmpx_gt_u32_e32 8, v1
; %bb.684:                              ;   in Loop: Header=BB466_8 Depth=1
	v_and_b32_e32 v0, 7, v30
	s_delay_alu instid0(VALU_DEP_1) | instskip(NEXT) | instid1(VALU_DEP_1)
	v_clz_i32_u32_e32 v0, v0
	v_min_u32_e32 v0, 32, v0
	s_delay_alu instid0(VALU_DEP_1) | instskip(SKIP_1) | instid1(VALU_DEP_2)
	v_subrev_nc_u32_e32 v1, 28, v0
	v_sub_nc_u32_e32 v0, 29, v0
	v_lshlrev_b64 v[32:33], v1, v[30:31]
; %bb.685:                              ;   in Loop: Header=BB466_8 Depth=1
	s_or_b32 exec_lo, exec_lo, s20
	s_delay_alu instid0(VALU_DEP_1) | instskip(SKIP_2) | instid1(VALU_DEP_3)
	v_lshlrev_b32_e32 v1, 20, v32
	v_lshlrev_b32_e32 v2, 24, v30
	v_lshl_add_u32 v0, v0, 23, 0x3c000000
	v_and_b32_e32 v1, 0x700000, v1
	s_delay_alu instid0(VALU_DEP_3) | instskip(NEXT) | instid1(VALU_DEP_1)
	v_and_b32_e32 v2, 0x80000000, v2
	v_or3_b32 v0, v1, v2, v0
.LBB466_686:                            ;   in Loop: Header=BB466_8 Depth=1
	s_or_b32 exec_lo, exec_lo, s19
.LBB466_687:                            ;   in Loop: Header=BB466_8 Depth=1
	s_delay_alu instid0(SALU_CYCLE_1)
	s_or_b32 exec_lo, exec_lo, s18
.LBB466_688:                            ;   in Loop: Header=BB466_8 Depth=1
	s_delay_alu instid0(SALU_CYCLE_1) | instskip(NEXT) | instid1(VALU_DEP_1)
	s_or_b32 exec_lo, exec_lo, s2
	v_mul_f32_e32 v0, v102, v0
                                        ; implicit-def: $vgpr61
	s_delay_alu instid0(VALU_DEP_1) | instskip(NEXT) | instid1(VALU_DEP_1)
	v_and_b32_e32 v1, 0x7f800000, v0
	v_cmp_ne_u32_e64 s1, 0x7f800000, v1
	s_delay_alu instid0(VALU_DEP_1) | instskip(NEXT) | instid1(SALU_CYCLE_1)
	s_and_saveexec_b32 s2, s1
	s_xor_b32 s1, exec_lo, s2
; %bb.689:                              ;   in Loop: Header=BB466_8 Depth=1
	v_bfe_u32 v1, v0, 16, 1
	s_delay_alu instid0(VALU_DEP_1)
	v_add3_u32 v61, v0, v1, 0x7fff
                                        ; implicit-def: $vgpr0
; %bb.690:                              ;   in Loop: Header=BB466_8 Depth=1
	s_and_not1_saveexec_b32 s2, s1
; %bb.691:                              ;   in Loop: Header=BB466_8 Depth=1
	v_and_b32_e32 v1, 0xffff, v0
	v_or_b32_e32 v2, 0x10000, v0
	s_delay_alu instid0(VALU_DEP_2) | instskip(NEXT) | instid1(VALU_DEP_1)
	v_cmp_eq_u32_e64 s1, 0, v1
	v_cndmask_b32_e64 v61, v2, v0, s1
; %bb.692:                              ;   in Loop: Header=BB466_8 Depth=1
	s_or_b32 exec_lo, exec_lo, s2
	v_lshrrev_b16 v1, 8, v30
	v_mov_b32_e32 v0, 0
	s_mov_b32 s2, exec_lo
	s_delay_alu instid0(VALU_DEP_2)
	v_cmpx_ne_u16_e32 0, v1
	s_cbranch_execz .LBB466_700
; %bb.693:                              ;   in Loop: Header=BB466_8 Depth=1
	v_bfrev_b32_e32 v0, 1
	s_mov_b32 s18, exec_lo
	v_cmpx_ne_u16_e32 0x80, v1
	s_cbranch_execz .LBB466_699
; %bb.694:                              ;   in Loop: Header=BB466_8 Depth=1
	v_and_b32_e32 v2, 0xffff, v1
	v_mov_b32_e32 v0, 0x7f800001
	s_mov_b32 s19, exec_lo
	s_delay_alu instid0(VALU_DEP_2) | instskip(NEXT) | instid1(VALU_DEP_1)
	v_and_b32_e32 v1, 0x7f, v2
	v_cmpx_ne_u32_e32 0x7f, v1
	s_cbranch_execz .LBB466_698
; %bb.695:                              ;   in Loop: Header=BB466_8 Depth=1
	v_and_b32_e32 v18, 7, v2
	v_lshrrev_b32_e32 v0, 3, v1
	v_mov_b32_e32 v33, v19
	s_mov_b32 s20, exec_lo
	s_delay_alu instid0(VALU_DEP_3)
	v_mov_b32_e32 v32, v18
	v_cmpx_gt_u32_e32 8, v1
; %bb.696:                              ;   in Loop: Header=BB466_8 Depth=1
	v_clz_i32_u32_e32 v0, v18
	s_delay_alu instid0(VALU_DEP_1) | instskip(NEXT) | instid1(VALU_DEP_1)
	v_min_u32_e32 v0, 32, v0
	v_subrev_nc_u32_e32 v1, 28, v0
	v_sub_nc_u32_e32 v0, 29, v0
	s_delay_alu instid0(VALU_DEP_2) | instskip(NEXT) | instid1(VALU_DEP_1)
	v_lshlrev_b64 v[1:2], v1, v[18:19]
	v_and_b32_e32 v32, 7, v1
; %bb.697:                              ;   in Loop: Header=BB466_8 Depth=1
	s_or_b32 exec_lo, exec_lo, s20
	v_lshlrev_b32_e32 v1, 16, v30
	s_delay_alu instid0(VALU_DEP_2) | instskip(SKIP_1) | instid1(VALU_DEP_3)
	v_lshlrev_b32_e32 v2, 20, v32
	v_lshl_add_u32 v0, v0, 23, 0x3c000000
	v_and_b32_e32 v1, 0x80000000, v1
	s_delay_alu instid0(VALU_DEP_1)
	v_or3_b32 v0, v2, v1, v0
.LBB466_698:                            ;   in Loop: Header=BB466_8 Depth=1
	s_or_b32 exec_lo, exec_lo, s19
.LBB466_699:                            ;   in Loop: Header=BB466_8 Depth=1
	s_delay_alu instid0(SALU_CYCLE_1)
	s_or_b32 exec_lo, exec_lo, s18
.LBB466_700:                            ;   in Loop: Header=BB466_8 Depth=1
	s_delay_alu instid0(SALU_CYCLE_1) | instskip(NEXT) | instid1(VALU_DEP_1)
	s_or_b32 exec_lo, exec_lo, s2
	v_mul_f32_e32 v0, v102, v0
                                        ; implicit-def: $vgpr62
	s_delay_alu instid0(VALU_DEP_1) | instskip(NEXT) | instid1(VALU_DEP_1)
	v_and_b32_e32 v1, 0x7f800000, v0
	v_cmp_ne_u32_e64 s1, 0x7f800000, v1
	s_delay_alu instid0(VALU_DEP_1) | instskip(NEXT) | instid1(SALU_CYCLE_1)
	s_and_saveexec_b32 s2, s1
	s_xor_b32 s1, exec_lo, s2
; %bb.701:                              ;   in Loop: Header=BB466_8 Depth=1
	v_bfe_u32 v1, v0, 16, 1
	s_delay_alu instid0(VALU_DEP_1)
	v_add3_u32 v62, v0, v1, 0x7fff
                                        ; implicit-def: $vgpr0
; %bb.702:                              ;   in Loop: Header=BB466_8 Depth=1
	s_and_not1_saveexec_b32 s2, s1
; %bb.703:                              ;   in Loop: Header=BB466_8 Depth=1
	v_and_b32_e32 v1, 0xffff, v0
	v_or_b32_e32 v2, 0x10000, v0
	s_delay_alu instid0(VALU_DEP_2) | instskip(NEXT) | instid1(VALU_DEP_1)
	v_cmp_eq_u32_e64 s1, 0, v1
	v_cndmask_b32_e64 v62, v2, v0, s1
; %bb.704:                              ;   in Loop: Header=BB466_8 Depth=1
	s_or_b32 exec_lo, exec_lo, s2
	v_lshrrev_b32_e32 v0, 16, v30
	s_mov_b32 s2, exec_lo
	s_delay_alu instid0(VALU_DEP_1) | instskip(NEXT) | instid1(VALU_DEP_1)
	v_dual_mov_b32 v1, 0 :: v_dual_and_b32 v2, 0xff, v0
	v_cmpx_ne_u16_e32 0, v2
	s_cbranch_execz .LBB466_712
; %bb.705:                              ;   in Loop: Header=BB466_8 Depth=1
	v_bfrev_b32_e32 v1, 1
	s_mov_b32 s18, exec_lo
	v_cmpx_ne_u16_e32 0x80, v2
	s_cbranch_execz .LBB466_711
; %bb.706:                              ;   in Loop: Header=BB466_8 Depth=1
	v_bfe_u32 v2, v30, 16, 7
	v_mov_b32_e32 v1, 0x7f800001
	s_mov_b32 s19, exec_lo
	s_delay_alu instid0(VALU_DEP_2)
	v_cmpx_ne_u32_e32 0x7f, v2
	s_cbranch_execz .LBB466_710
; %bb.707:                              ;   in Loop: Header=BB466_8 Depth=1
	v_and_b32_e32 v18, 7, v0
	v_lshrrev_b32_e32 v1, 3, v2
	v_mov_b32_e32 v33, v19
	s_mov_b32 s20, exec_lo
	s_delay_alu instid0(VALU_DEP_3)
	v_mov_b32_e32 v32, v18
	v_cmpx_gt_u32_e32 8, v2
; %bb.708:                              ;   in Loop: Header=BB466_8 Depth=1
	v_clz_i32_u32_e32 v1, v18
	s_delay_alu instid0(VALU_DEP_1) | instskip(NEXT) | instid1(VALU_DEP_1)
	v_min_u32_e32 v1, 32, v1
	v_subrev_nc_u32_e32 v2, 28, v1
	v_sub_nc_u32_e32 v1, 29, v1
	s_delay_alu instid0(VALU_DEP_2) | instskip(NEXT) | instid1(VALU_DEP_1)
	v_lshlrev_b64 v[2:3], v2, v[18:19]
	v_and_b32_e32 v32, 7, v2
; %bb.709:                              ;   in Loop: Header=BB466_8 Depth=1
	s_or_b32 exec_lo, exec_lo, s20
	v_lshlrev_b32_e32 v0, 24, v0
	s_delay_alu instid0(VALU_DEP_2) | instskip(SKIP_1) | instid1(VALU_DEP_3)
	v_lshlrev_b32_e32 v2, 20, v32
	v_lshl_add_u32 v1, v1, 23, 0x3c000000
	v_and_b32_e32 v0, 0x80000000, v0
	s_delay_alu instid0(VALU_DEP_1)
	v_or3_b32 v1, v2, v0, v1
.LBB466_710:                            ;   in Loop: Header=BB466_8 Depth=1
	s_or_b32 exec_lo, exec_lo, s19
.LBB466_711:                            ;   in Loop: Header=BB466_8 Depth=1
	s_delay_alu instid0(SALU_CYCLE_1)
	s_or_b32 exec_lo, exec_lo, s18
.LBB466_712:                            ;   in Loop: Header=BB466_8 Depth=1
	s_delay_alu instid0(SALU_CYCLE_1) | instskip(NEXT) | instid1(VALU_DEP_1)
	s_or_b32 exec_lo, exec_lo, s2
	v_mul_f32_e32 v0, v102, v1
                                        ; implicit-def: $vgpr63
	s_delay_alu instid0(VALU_DEP_1) | instskip(NEXT) | instid1(VALU_DEP_1)
	v_and_b32_e32 v1, 0x7f800000, v0
	v_cmp_ne_u32_e64 s1, 0x7f800000, v1
	s_delay_alu instid0(VALU_DEP_1) | instskip(NEXT) | instid1(SALU_CYCLE_1)
	s_and_saveexec_b32 s2, s1
	s_xor_b32 s1, exec_lo, s2
; %bb.713:                              ;   in Loop: Header=BB466_8 Depth=1
	v_bfe_u32 v1, v0, 16, 1
	s_delay_alu instid0(VALU_DEP_1)
	v_add3_u32 v63, v0, v1, 0x7fff
                                        ; implicit-def: $vgpr0
; %bb.714:                              ;   in Loop: Header=BB466_8 Depth=1
	s_and_not1_saveexec_b32 s2, s1
; %bb.715:                              ;   in Loop: Header=BB466_8 Depth=1
	v_and_b32_e32 v1, 0xffff, v0
	v_or_b32_e32 v2, 0x10000, v0
	s_delay_alu instid0(VALU_DEP_2) | instskip(NEXT) | instid1(VALU_DEP_1)
	v_cmp_eq_u32_e64 s1, 0, v1
	v_cndmask_b32_e64 v63, v2, v0, s1
; %bb.716:                              ;   in Loop: Header=BB466_8 Depth=1
	s_or_b32 exec_lo, exec_lo, s2
	v_mov_b32_e32 v1, 0
	s_mov_b32 s2, exec_lo
	v_cmpx_lt_u32_e32 0xffffff, v30
	s_cbranch_execz .LBB466_724
; %bb.717:                              ;   in Loop: Header=BB466_8 Depth=1
	v_lshrrev_b32_e32 v0, 24, v30
	v_bfrev_b32_e32 v1, 1
	s_mov_b32 s18, exec_lo
	s_delay_alu instid0(VALU_DEP_2)
	v_cmpx_ne_u32_e32 0x80, v0
	s_cbranch_execz .LBB466_723
; %bb.718:                              ;   in Loop: Header=BB466_8 Depth=1
	v_bfe_u32 v2, v30, 24, 7
	v_mov_b32_e32 v1, 0x7f800001
	s_mov_b32 s19, exec_lo
	s_delay_alu instid0(VALU_DEP_2)
	v_cmpx_ne_u32_e32 0x7f, v2
	s_cbranch_execz .LBB466_722
; %bb.719:                              ;   in Loop: Header=BB466_8 Depth=1
	v_and_b32_e32 v18, 7, v0
	v_lshrrev_b32_e32 v1, 3, v2
	v_mov_b32_e32 v33, v19
	s_mov_b32 s20, exec_lo
	s_delay_alu instid0(VALU_DEP_3)
	v_mov_b32_e32 v32, v18
	v_cmpx_gt_u32_e32 8, v2
; %bb.720:                              ;   in Loop: Header=BB466_8 Depth=1
	v_clz_i32_u32_e32 v1, v18
	s_delay_alu instid0(VALU_DEP_1) | instskip(NEXT) | instid1(VALU_DEP_1)
	v_min_u32_e32 v1, 32, v1
	v_subrev_nc_u32_e32 v2, 28, v1
	v_sub_nc_u32_e32 v1, 29, v1
	s_delay_alu instid0(VALU_DEP_2) | instskip(NEXT) | instid1(VALU_DEP_1)
	v_lshlrev_b64 v[2:3], v2, v[18:19]
	v_and_b32_e32 v32, 7, v2
; %bb.721:                              ;   in Loop: Header=BB466_8 Depth=1
	s_or_b32 exec_lo, exec_lo, s20
	v_lshlrev_b32_e32 v0, 24, v0
	s_delay_alu instid0(VALU_DEP_2) | instskip(SKIP_1) | instid1(VALU_DEP_3)
	v_lshlrev_b32_e32 v2, 20, v32
	v_lshl_add_u32 v1, v1, 23, 0x3c000000
	v_and_b32_e32 v0, 0x80000000, v0
	s_delay_alu instid0(VALU_DEP_1)
	v_or3_b32 v1, v2, v0, v1
.LBB466_722:                            ;   in Loop: Header=BB466_8 Depth=1
	s_or_b32 exec_lo, exec_lo, s19
.LBB466_723:                            ;   in Loop: Header=BB466_8 Depth=1
	s_delay_alu instid0(SALU_CYCLE_1)
	s_or_b32 exec_lo, exec_lo, s18
.LBB466_724:                            ;   in Loop: Header=BB466_8 Depth=1
	s_delay_alu instid0(SALU_CYCLE_1) | instskip(NEXT) | instid1(VALU_DEP_1)
	s_or_b32 exec_lo, exec_lo, s2
	v_mul_f32_e32 v0, v102, v1
                                        ; implicit-def: $vgpr72
	s_delay_alu instid0(VALU_DEP_1) | instskip(NEXT) | instid1(VALU_DEP_1)
	v_and_b32_e32 v1, 0x7f800000, v0
	v_cmp_ne_u32_e64 s1, 0x7f800000, v1
	s_delay_alu instid0(VALU_DEP_1) | instskip(NEXT) | instid1(SALU_CYCLE_1)
	s_and_saveexec_b32 s2, s1
	s_xor_b32 s1, exec_lo, s2
; %bb.725:                              ;   in Loop: Header=BB466_8 Depth=1
	v_bfe_u32 v1, v0, 16, 1
	s_delay_alu instid0(VALU_DEP_1)
	v_add3_u32 v72, v0, v1, 0x7fff
                                        ; implicit-def: $vgpr0
; %bb.726:                              ;   in Loop: Header=BB466_8 Depth=1
	s_and_not1_saveexec_b32 s2, s1
; %bb.727:                              ;   in Loop: Header=BB466_8 Depth=1
	v_and_b32_e32 v1, 0xffff, v0
	v_or_b32_e32 v2, 0x10000, v0
	s_delay_alu instid0(VALU_DEP_2) | instskip(NEXT) | instid1(VALU_DEP_1)
	v_cmp_eq_u32_e64 s1, 0, v1
	v_cndmask_b32_e64 v72, v2, v0, s1
; %bb.728:                              ;   in Loop: Header=BB466_8 Depth=1
	s_or_b32 exec_lo, exec_lo, s2
	v_dual_mov_b32 v18, v31 :: v_dual_and_b32 v1, 0xff, v31
	v_mov_b32_e32 v0, 0
	s_mov_b32 s2, exec_lo
	s_delay_alu instid0(VALU_DEP_2)
	v_cmpx_ne_u16_e32 0, v1
	s_cbranch_execz .LBB466_736
; %bb.729:                              ;   in Loop: Header=BB466_8 Depth=1
	v_bfrev_b32_e32 v0, 1
	s_mov_b32 s18, exec_lo
	v_cmpx_ne_u16_e32 0x80, v1
	s_cbranch_execz .LBB466_735
; %bb.730:                              ;   in Loop: Header=BB466_8 Depth=1
	v_and_b32_e32 v1, 0x7f, v31
	v_mov_b32_e32 v0, 0x7f800001
	s_mov_b32 s19, exec_lo
	s_delay_alu instid0(VALU_DEP_2)
	v_cmpx_ne_u32_e32 0x7f, v1
	s_cbranch_execz .LBB466_734
; %bb.731:                              ;   in Loop: Header=BB466_8 Depth=1
	v_lshrrev_b32_e32 v0, 3, v1
	v_dual_mov_b32 v33, v19 :: v_dual_mov_b32 v32, v18
	s_mov_b32 s20, exec_lo
	v_cmpx_gt_u32_e32 8, v1
; %bb.732:                              ;   in Loop: Header=BB466_8 Depth=1
	v_and_b32_e32 v0, 7, v31
	s_delay_alu instid0(VALU_DEP_1) | instskip(NEXT) | instid1(VALU_DEP_1)
	v_clz_i32_u32_e32 v0, v0
	v_min_u32_e32 v0, 32, v0
	s_delay_alu instid0(VALU_DEP_1) | instskip(SKIP_1) | instid1(VALU_DEP_2)
	v_subrev_nc_u32_e32 v1, 28, v0
	v_sub_nc_u32_e32 v0, 29, v0
	v_lshlrev_b64 v[32:33], v1, v[18:19]
; %bb.733:                              ;   in Loop: Header=BB466_8 Depth=1
	s_or_b32 exec_lo, exec_lo, s20
	s_delay_alu instid0(VALU_DEP_1) | instskip(SKIP_2) | instid1(VALU_DEP_3)
	v_lshlrev_b32_e32 v1, 20, v32
	v_lshlrev_b32_e32 v2, 24, v18
	v_lshl_add_u32 v0, v0, 23, 0x3c000000
	v_and_b32_e32 v1, 0x700000, v1
	s_delay_alu instid0(VALU_DEP_3) | instskip(NEXT) | instid1(VALU_DEP_1)
	v_and_b32_e32 v2, 0x80000000, v2
	v_or3_b32 v0, v1, v2, v0
.LBB466_734:                            ;   in Loop: Header=BB466_8 Depth=1
	s_or_b32 exec_lo, exec_lo, s19
.LBB466_735:                            ;   in Loop: Header=BB466_8 Depth=1
	s_delay_alu instid0(SALU_CYCLE_1)
	s_or_b32 exec_lo, exec_lo, s18
.LBB466_736:                            ;   in Loop: Header=BB466_8 Depth=1
	s_delay_alu instid0(SALU_CYCLE_1) | instskip(NEXT) | instid1(VALU_DEP_1)
	s_or_b32 exec_lo, exec_lo, s2
	v_mul_f32_e32 v0, v102, v0
                                        ; implicit-def: $vgpr73
	s_delay_alu instid0(VALU_DEP_1) | instskip(NEXT) | instid1(VALU_DEP_1)
	v_and_b32_e32 v1, 0x7f800000, v0
	v_cmp_ne_u32_e64 s1, 0x7f800000, v1
	s_delay_alu instid0(VALU_DEP_1) | instskip(NEXT) | instid1(SALU_CYCLE_1)
	s_and_saveexec_b32 s2, s1
	s_xor_b32 s1, exec_lo, s2
; %bb.737:                              ;   in Loop: Header=BB466_8 Depth=1
	v_bfe_u32 v1, v0, 16, 1
	s_delay_alu instid0(VALU_DEP_1)
	v_add3_u32 v73, v0, v1, 0x7fff
                                        ; implicit-def: $vgpr0
; %bb.738:                              ;   in Loop: Header=BB466_8 Depth=1
	s_and_not1_saveexec_b32 s2, s1
; %bb.739:                              ;   in Loop: Header=BB466_8 Depth=1
	v_and_b32_e32 v1, 0xffff, v0
	v_or_b32_e32 v2, 0x10000, v0
	s_delay_alu instid0(VALU_DEP_2) | instskip(NEXT) | instid1(VALU_DEP_1)
	v_cmp_eq_u32_e64 s1, 0, v1
	v_cndmask_b32_e64 v73, v2, v0, s1
; %bb.740:                              ;   in Loop: Header=BB466_8 Depth=1
	s_or_b32 exec_lo, exec_lo, s2
	v_lshrrev_b16 v1, 8, v18
	v_mov_b32_e32 v0, 0
	s_mov_b32 s2, exec_lo
	s_delay_alu instid0(VALU_DEP_2)
	v_cmpx_ne_u16_e32 0, v1
	s_cbranch_execz .LBB466_748
; %bb.741:                              ;   in Loop: Header=BB466_8 Depth=1
	v_bfrev_b32_e32 v0, 1
	s_mov_b32 s18, exec_lo
	v_cmpx_ne_u16_e32 0x80, v1
	s_cbranch_execz .LBB466_747
; %bb.742:                              ;   in Loop: Header=BB466_8 Depth=1
	v_and_b32_e32 v2, 0xffff, v1
	v_mov_b32_e32 v0, 0x7f800001
	s_mov_b32 s19, exec_lo
	s_delay_alu instid0(VALU_DEP_2) | instskip(NEXT) | instid1(VALU_DEP_1)
	v_and_b32_e32 v1, 0x7f, v2
	v_cmpx_ne_u32_e32 0x7f, v1
	s_cbranch_execz .LBB466_746
; %bb.743:                              ;   in Loop: Header=BB466_8 Depth=1
	v_dual_mov_b32 v33, v19 :: v_dual_and_b32 v32, 7, v2
	v_lshrrev_b32_e32 v0, 3, v1
	s_mov_b32 s20, exec_lo
	v_cmpx_gt_u32_e32 8, v1
; %bb.744:                              ;   in Loop: Header=BB466_8 Depth=1
	s_delay_alu instid0(VALU_DEP_3) | instskip(NEXT) | instid1(VALU_DEP_1)
	v_clz_i32_u32_e32 v0, v32
	v_min_u32_e32 v0, 32, v0
	s_delay_alu instid0(VALU_DEP_1) | instskip(SKIP_1) | instid1(VALU_DEP_2)
	v_subrev_nc_u32_e32 v1, 28, v0
	v_sub_nc_u32_e32 v0, 29, v0
	v_lshlrev_b64 v[1:2], v1, v[32:33]
	s_delay_alu instid0(VALU_DEP_1)
	v_and_b32_e32 v32, 7, v1
; %bb.745:                              ;   in Loop: Header=BB466_8 Depth=1
	s_or_b32 exec_lo, exec_lo, s20
	v_lshlrev_b32_e32 v1, 16, v18
	s_delay_alu instid0(VALU_DEP_2) | instskip(SKIP_1) | instid1(VALU_DEP_3)
	v_lshlrev_b32_e32 v2, 20, v32
	v_lshl_add_u32 v0, v0, 23, 0x3c000000
	v_and_b32_e32 v1, 0x80000000, v1
	s_delay_alu instid0(VALU_DEP_1)
	v_or3_b32 v0, v2, v1, v0
.LBB466_746:                            ;   in Loop: Header=BB466_8 Depth=1
	s_or_b32 exec_lo, exec_lo, s19
.LBB466_747:                            ;   in Loop: Header=BB466_8 Depth=1
	s_delay_alu instid0(SALU_CYCLE_1)
	s_or_b32 exec_lo, exec_lo, s18
.LBB466_748:                            ;   in Loop: Header=BB466_8 Depth=1
	s_delay_alu instid0(SALU_CYCLE_1) | instskip(NEXT) | instid1(VALU_DEP_1)
	s_or_b32 exec_lo, exec_lo, s2
	v_mul_f32_e32 v0, v102, v0
                                        ; implicit-def: $vgpr74
	s_delay_alu instid0(VALU_DEP_1) | instskip(NEXT) | instid1(VALU_DEP_1)
	v_and_b32_e32 v1, 0x7f800000, v0
	v_cmp_ne_u32_e64 s1, 0x7f800000, v1
	s_delay_alu instid0(VALU_DEP_1) | instskip(NEXT) | instid1(SALU_CYCLE_1)
	s_and_saveexec_b32 s2, s1
	s_xor_b32 s1, exec_lo, s2
; %bb.749:                              ;   in Loop: Header=BB466_8 Depth=1
	v_bfe_u32 v1, v0, 16, 1
	s_delay_alu instid0(VALU_DEP_1)
	v_add3_u32 v74, v0, v1, 0x7fff
                                        ; implicit-def: $vgpr0
; %bb.750:                              ;   in Loop: Header=BB466_8 Depth=1
	s_and_not1_saveexec_b32 s2, s1
; %bb.751:                              ;   in Loop: Header=BB466_8 Depth=1
	v_and_b32_e32 v1, 0xffff, v0
	v_or_b32_e32 v2, 0x10000, v0
	s_delay_alu instid0(VALU_DEP_2) | instskip(NEXT) | instid1(VALU_DEP_1)
	v_cmp_eq_u32_e64 s1, 0, v1
	v_cndmask_b32_e64 v74, v2, v0, s1
; %bb.752:                              ;   in Loop: Header=BB466_8 Depth=1
	s_or_b32 exec_lo, exec_lo, s2
	v_lshrrev_b32_e32 v0, 16, v31
	s_mov_b32 s2, exec_lo
	s_delay_alu instid0(VALU_DEP_1) | instskip(NEXT) | instid1(VALU_DEP_1)
	v_dual_mov_b32 v1, 0 :: v_dual_and_b32 v2, 0xff, v0
	v_cmpx_ne_u16_e32 0, v2
	s_cbranch_execz .LBB466_760
; %bb.753:                              ;   in Loop: Header=BB466_8 Depth=1
	v_bfrev_b32_e32 v1, 1
	s_mov_b32 s18, exec_lo
	v_cmpx_ne_u16_e32 0x80, v2
	s_cbranch_execz .LBB466_759
; %bb.754:                              ;   in Loop: Header=BB466_8 Depth=1
	v_bfe_u32 v2, v31, 16, 7
	v_mov_b32_e32 v1, 0x7f800001
	s_mov_b32 s19, exec_lo
	s_delay_alu instid0(VALU_DEP_2)
	v_cmpx_ne_u32_e32 0x7f, v2
	s_cbranch_execz .LBB466_758
; %bb.755:                              ;   in Loop: Header=BB466_8 Depth=1
	v_and_b32_e32 v18, 7, v0
	v_lshrrev_b32_e32 v1, 3, v2
	v_mov_b32_e32 v33, v19
	s_mov_b32 s20, exec_lo
	s_delay_alu instid0(VALU_DEP_3)
	v_mov_b32_e32 v32, v18
	v_cmpx_gt_u32_e32 8, v2
; %bb.756:                              ;   in Loop: Header=BB466_8 Depth=1
	v_clz_i32_u32_e32 v1, v18
	s_delay_alu instid0(VALU_DEP_1) | instskip(NEXT) | instid1(VALU_DEP_1)
	v_min_u32_e32 v1, 32, v1
	v_subrev_nc_u32_e32 v2, 28, v1
	v_sub_nc_u32_e32 v1, 29, v1
	s_delay_alu instid0(VALU_DEP_2) | instskip(NEXT) | instid1(VALU_DEP_1)
	v_lshlrev_b64 v[2:3], v2, v[18:19]
	v_and_b32_e32 v32, 7, v2
; %bb.757:                              ;   in Loop: Header=BB466_8 Depth=1
	s_or_b32 exec_lo, exec_lo, s20
	v_lshlrev_b32_e32 v0, 24, v0
	s_delay_alu instid0(VALU_DEP_2) | instskip(SKIP_1) | instid1(VALU_DEP_3)
	v_lshlrev_b32_e32 v2, 20, v32
	v_lshl_add_u32 v1, v1, 23, 0x3c000000
	v_and_b32_e32 v0, 0x80000000, v0
	s_delay_alu instid0(VALU_DEP_1)
	v_or3_b32 v1, v2, v0, v1
.LBB466_758:                            ;   in Loop: Header=BB466_8 Depth=1
	s_or_b32 exec_lo, exec_lo, s19
.LBB466_759:                            ;   in Loop: Header=BB466_8 Depth=1
	s_delay_alu instid0(SALU_CYCLE_1)
	s_or_b32 exec_lo, exec_lo, s18
.LBB466_760:                            ;   in Loop: Header=BB466_8 Depth=1
	s_delay_alu instid0(SALU_CYCLE_1) | instskip(NEXT) | instid1(VALU_DEP_1)
	s_or_b32 exec_lo, exec_lo, s2
	v_mul_f32_e32 v0, v102, v1
                                        ; implicit-def: $vgpr75
	s_delay_alu instid0(VALU_DEP_1) | instskip(NEXT) | instid1(VALU_DEP_1)
	v_and_b32_e32 v1, 0x7f800000, v0
	v_cmp_ne_u32_e64 s1, 0x7f800000, v1
	s_delay_alu instid0(VALU_DEP_1) | instskip(NEXT) | instid1(SALU_CYCLE_1)
	s_and_saveexec_b32 s2, s1
	s_xor_b32 s1, exec_lo, s2
; %bb.761:                              ;   in Loop: Header=BB466_8 Depth=1
	v_bfe_u32 v1, v0, 16, 1
	s_delay_alu instid0(VALU_DEP_1)
	v_add3_u32 v75, v0, v1, 0x7fff
                                        ; implicit-def: $vgpr0
; %bb.762:                              ;   in Loop: Header=BB466_8 Depth=1
	s_and_not1_saveexec_b32 s2, s1
; %bb.763:                              ;   in Loop: Header=BB466_8 Depth=1
	v_and_b32_e32 v1, 0xffff, v0
	v_or_b32_e32 v2, 0x10000, v0
	s_delay_alu instid0(VALU_DEP_2) | instskip(NEXT) | instid1(VALU_DEP_1)
	v_cmp_eq_u32_e64 s1, 0, v1
	v_cndmask_b32_e64 v75, v2, v0, s1
; %bb.764:                              ;   in Loop: Header=BB466_8 Depth=1
	s_or_b32 exec_lo, exec_lo, s2
	v_mov_b32_e32 v1, 0
	s_mov_b32 s2, exec_lo
	v_cmpx_lt_u64_e64 s[8:9], v[30:31]
	s_cbranch_execz .LBB466_772
; %bb.765:                              ;   in Loop: Header=BB466_8 Depth=1
	v_lshrrev_b32_e32 v0, 24, v31
	v_bfrev_b32_e32 v1, 1
	s_mov_b32 s18, exec_lo
	s_delay_alu instid0(VALU_DEP_2)
	v_cmpx_ne_u32_e32 0x80, v0
	s_cbranch_execz .LBB466_771
; %bb.766:                              ;   in Loop: Header=BB466_8 Depth=1
	v_bfe_u32 v2, v31, 24, 7
	v_mov_b32_e32 v1, 0x7f800001
	s_mov_b32 s19, exec_lo
	s_delay_alu instid0(VALU_DEP_2)
	v_cmpx_ne_u32_e32 0x7f, v2
	s_cbranch_execz .LBB466_770
; %bb.767:                              ;   in Loop: Header=BB466_8 Depth=1
	v_and_b32_e32 v18, 7, v0
	v_lshrrev_b32_e32 v1, 3, v2
	v_mov_b32_e32 v31, v19
	s_mov_b32 s20, exec_lo
	s_delay_alu instid0(VALU_DEP_3)
	v_mov_b32_e32 v30, v18
	v_cmpx_gt_u32_e32 8, v2
; %bb.768:                              ;   in Loop: Header=BB466_8 Depth=1
	v_clz_i32_u32_e32 v1, v18
	s_delay_alu instid0(VALU_DEP_1) | instskip(NEXT) | instid1(VALU_DEP_1)
	v_min_u32_e32 v1, 32, v1
	v_subrev_nc_u32_e32 v2, 28, v1
	v_sub_nc_u32_e32 v1, 29, v1
	s_delay_alu instid0(VALU_DEP_2) | instskip(NEXT) | instid1(VALU_DEP_1)
	v_lshlrev_b64 v[2:3], v2, v[18:19]
	v_and_b32_e32 v30, 7, v2
; %bb.769:                              ;   in Loop: Header=BB466_8 Depth=1
	s_or_b32 exec_lo, exec_lo, s20
	v_lshlrev_b32_e32 v0, 24, v0
	s_delay_alu instid0(VALU_DEP_2) | instskip(SKIP_1) | instid1(VALU_DEP_3)
	v_lshlrev_b32_e32 v2, 20, v30
	v_lshl_add_u32 v1, v1, 23, 0x3c000000
	v_and_b32_e32 v0, 0x80000000, v0
	s_delay_alu instid0(VALU_DEP_1)
	v_or3_b32 v1, v2, v0, v1
.LBB466_770:                            ;   in Loop: Header=BB466_8 Depth=1
	s_or_b32 exec_lo, exec_lo, s19
.LBB466_771:                            ;   in Loop: Header=BB466_8 Depth=1
	s_delay_alu instid0(SALU_CYCLE_1)
	s_or_b32 exec_lo, exec_lo, s18
.LBB466_772:                            ;   in Loop: Header=BB466_8 Depth=1
	s_delay_alu instid0(SALU_CYCLE_1) | instskip(NEXT) | instid1(VALU_DEP_1)
	s_or_b32 exec_lo, exec_lo, s2
	v_mul_f32_e32 v0, v102, v1
                                        ; implicit-def: $vgpr76
	s_delay_alu instid0(VALU_DEP_1) | instskip(NEXT) | instid1(VALU_DEP_1)
	v_and_b32_e32 v1, 0x7f800000, v0
	v_cmp_ne_u32_e64 s1, 0x7f800000, v1
	s_delay_alu instid0(VALU_DEP_1) | instskip(NEXT) | instid1(SALU_CYCLE_1)
	s_and_saveexec_b32 s2, s1
	s_xor_b32 s1, exec_lo, s2
; %bb.773:                              ;   in Loop: Header=BB466_8 Depth=1
	v_bfe_u32 v1, v0, 16, 1
	s_delay_alu instid0(VALU_DEP_1)
	v_add3_u32 v76, v0, v1, 0x7fff
                                        ; implicit-def: $vgpr0
; %bb.774:                              ;   in Loop: Header=BB466_8 Depth=1
	s_and_not1_saveexec_b32 s2, s1
; %bb.775:                              ;   in Loop: Header=BB466_8 Depth=1
	v_and_b32_e32 v1, 0xffff, v0
	v_or_b32_e32 v2, 0x10000, v0
	s_delay_alu instid0(VALU_DEP_2) | instskip(NEXT) | instid1(VALU_DEP_1)
	v_cmp_eq_u32_e64 s1, 0, v1
	v_cndmask_b32_e64 v76, v2, v0, s1
; %bb.776:                              ;   in Loop: Header=BB466_8 Depth=1
	s_or_b32 exec_lo, exec_lo, s2
	flat_load_b64 v[30:31], v[28:29] offset:2048
	s_mov_b32 s2, exec_lo
	s_waitcnt vmcnt(0) lgkmcnt(0)
	v_dual_mov_b32 v0, 0 :: v_dual_and_b32 v1, 0xff, v30
	s_delay_alu instid0(VALU_DEP_1)
	v_cmpx_ne_u16_e32 0, v1
	s_cbranch_execz .LBB466_784
; %bb.777:                              ;   in Loop: Header=BB466_8 Depth=1
	v_bfrev_b32_e32 v0, 1
	s_mov_b32 s18, exec_lo
	v_cmpx_ne_u16_e32 0x80, v1
	s_cbranch_execz .LBB466_783
; %bb.778:                              ;   in Loop: Header=BB466_8 Depth=1
	v_and_b32_e32 v1, 0x7f, v30
	v_mov_b32_e32 v0, 0x7f800001
	s_mov_b32 s19, exec_lo
	s_delay_alu instid0(VALU_DEP_2)
	v_cmpx_ne_u32_e32 0x7f, v1
	s_cbranch_execz .LBB466_782
; %bb.779:                              ;   in Loop: Header=BB466_8 Depth=1
	v_lshrrev_b32_e32 v0, 3, v1
	v_dual_mov_b32 v33, v31 :: v_dual_mov_b32 v32, v30
	s_mov_b32 s20, exec_lo
	v_cmpx_gt_u32_e32 8, v1
; %bb.780:                              ;   in Loop: Header=BB466_8 Depth=1
	v_and_b32_e32 v0, 7, v30
	s_delay_alu instid0(VALU_DEP_1) | instskip(NEXT) | instid1(VALU_DEP_1)
	v_clz_i32_u32_e32 v0, v0
	v_min_u32_e32 v0, 32, v0
	s_delay_alu instid0(VALU_DEP_1) | instskip(SKIP_1) | instid1(VALU_DEP_2)
	v_subrev_nc_u32_e32 v1, 28, v0
	v_sub_nc_u32_e32 v0, 29, v0
	v_lshlrev_b64 v[32:33], v1, v[30:31]
; %bb.781:                              ;   in Loop: Header=BB466_8 Depth=1
	s_or_b32 exec_lo, exec_lo, s20
	s_delay_alu instid0(VALU_DEP_1) | instskip(SKIP_2) | instid1(VALU_DEP_3)
	v_lshlrev_b32_e32 v1, 20, v32
	v_lshlrev_b32_e32 v2, 24, v30
	v_lshl_add_u32 v0, v0, 23, 0x3c000000
	v_and_b32_e32 v1, 0x700000, v1
	s_delay_alu instid0(VALU_DEP_3) | instskip(NEXT) | instid1(VALU_DEP_1)
	v_and_b32_e32 v2, 0x80000000, v2
	v_or3_b32 v0, v1, v2, v0
.LBB466_782:                            ;   in Loop: Header=BB466_8 Depth=1
	s_or_b32 exec_lo, exec_lo, s19
.LBB466_783:                            ;   in Loop: Header=BB466_8 Depth=1
	s_delay_alu instid0(SALU_CYCLE_1)
	s_or_b32 exec_lo, exec_lo, s18
.LBB466_784:                            ;   in Loop: Header=BB466_8 Depth=1
	s_delay_alu instid0(SALU_CYCLE_1) | instskip(NEXT) | instid1(VALU_DEP_1)
	s_or_b32 exec_lo, exec_lo, s2
	v_mul_f32_e32 v0, v102, v0
                                        ; implicit-def: $vgpr77
	s_delay_alu instid0(VALU_DEP_1) | instskip(NEXT) | instid1(VALU_DEP_1)
	v_and_b32_e32 v1, 0x7f800000, v0
	v_cmp_ne_u32_e64 s1, 0x7f800000, v1
	s_delay_alu instid0(VALU_DEP_1) | instskip(NEXT) | instid1(SALU_CYCLE_1)
	s_and_saveexec_b32 s2, s1
	s_xor_b32 s1, exec_lo, s2
; %bb.785:                              ;   in Loop: Header=BB466_8 Depth=1
	v_bfe_u32 v1, v0, 16, 1
	s_delay_alu instid0(VALU_DEP_1)
	v_add3_u32 v77, v0, v1, 0x7fff
                                        ; implicit-def: $vgpr0
; %bb.786:                              ;   in Loop: Header=BB466_8 Depth=1
	s_and_not1_saveexec_b32 s2, s1
; %bb.787:                              ;   in Loop: Header=BB466_8 Depth=1
	v_and_b32_e32 v1, 0xffff, v0
	v_or_b32_e32 v2, 0x10000, v0
	s_delay_alu instid0(VALU_DEP_2) | instskip(NEXT) | instid1(VALU_DEP_1)
	v_cmp_eq_u32_e64 s1, 0, v1
	v_cndmask_b32_e64 v77, v2, v0, s1
; %bb.788:                              ;   in Loop: Header=BB466_8 Depth=1
	s_or_b32 exec_lo, exec_lo, s2
	v_lshrrev_b16 v1, 8, v30
	v_mov_b32_e32 v0, 0
	s_mov_b32 s2, exec_lo
	s_delay_alu instid0(VALU_DEP_2)
	v_cmpx_ne_u16_e32 0, v1
	s_cbranch_execz .LBB466_796
; %bb.789:                              ;   in Loop: Header=BB466_8 Depth=1
	v_bfrev_b32_e32 v0, 1
	s_mov_b32 s18, exec_lo
	v_cmpx_ne_u16_e32 0x80, v1
	s_cbranch_execz .LBB466_795
; %bb.790:                              ;   in Loop: Header=BB466_8 Depth=1
	v_and_b32_e32 v2, 0xffff, v1
	v_mov_b32_e32 v0, 0x7f800001
	s_mov_b32 s19, exec_lo
	s_delay_alu instid0(VALU_DEP_2) | instskip(NEXT) | instid1(VALU_DEP_1)
	v_and_b32_e32 v1, 0x7f, v2
	v_cmpx_ne_u32_e32 0x7f, v1
	s_cbranch_execz .LBB466_794
; %bb.791:                              ;   in Loop: Header=BB466_8 Depth=1
	v_and_b32_e32 v18, 7, v2
	v_lshrrev_b32_e32 v0, 3, v1
	v_mov_b32_e32 v33, v19
	s_mov_b32 s20, exec_lo
	s_delay_alu instid0(VALU_DEP_3)
	v_mov_b32_e32 v32, v18
	v_cmpx_gt_u32_e32 8, v1
; %bb.792:                              ;   in Loop: Header=BB466_8 Depth=1
	v_clz_i32_u32_e32 v0, v18
	s_delay_alu instid0(VALU_DEP_1) | instskip(NEXT) | instid1(VALU_DEP_1)
	v_min_u32_e32 v0, 32, v0
	v_subrev_nc_u32_e32 v1, 28, v0
	v_sub_nc_u32_e32 v0, 29, v0
	s_delay_alu instid0(VALU_DEP_2) | instskip(NEXT) | instid1(VALU_DEP_1)
	v_lshlrev_b64 v[1:2], v1, v[18:19]
	v_and_b32_e32 v32, 7, v1
; %bb.793:                              ;   in Loop: Header=BB466_8 Depth=1
	s_or_b32 exec_lo, exec_lo, s20
	v_lshlrev_b32_e32 v1, 16, v30
	s_delay_alu instid0(VALU_DEP_2) | instskip(SKIP_1) | instid1(VALU_DEP_3)
	v_lshlrev_b32_e32 v2, 20, v32
	v_lshl_add_u32 v0, v0, 23, 0x3c000000
	v_and_b32_e32 v1, 0x80000000, v1
	s_delay_alu instid0(VALU_DEP_1)
	v_or3_b32 v0, v2, v1, v0
.LBB466_794:                            ;   in Loop: Header=BB466_8 Depth=1
	s_or_b32 exec_lo, exec_lo, s19
.LBB466_795:                            ;   in Loop: Header=BB466_8 Depth=1
	s_delay_alu instid0(SALU_CYCLE_1)
	s_or_b32 exec_lo, exec_lo, s18
.LBB466_796:                            ;   in Loop: Header=BB466_8 Depth=1
	s_delay_alu instid0(SALU_CYCLE_1) | instskip(NEXT) | instid1(VALU_DEP_1)
	s_or_b32 exec_lo, exec_lo, s2
	v_mul_f32_e32 v0, v102, v0
                                        ; implicit-def: $vgpr78
	s_delay_alu instid0(VALU_DEP_1) | instskip(NEXT) | instid1(VALU_DEP_1)
	v_and_b32_e32 v1, 0x7f800000, v0
	v_cmp_ne_u32_e64 s1, 0x7f800000, v1
	s_delay_alu instid0(VALU_DEP_1) | instskip(NEXT) | instid1(SALU_CYCLE_1)
	s_and_saveexec_b32 s2, s1
	s_xor_b32 s1, exec_lo, s2
; %bb.797:                              ;   in Loop: Header=BB466_8 Depth=1
	v_bfe_u32 v1, v0, 16, 1
	s_delay_alu instid0(VALU_DEP_1)
	v_add3_u32 v78, v0, v1, 0x7fff
                                        ; implicit-def: $vgpr0
; %bb.798:                              ;   in Loop: Header=BB466_8 Depth=1
	s_and_not1_saveexec_b32 s2, s1
; %bb.799:                              ;   in Loop: Header=BB466_8 Depth=1
	v_and_b32_e32 v1, 0xffff, v0
	v_or_b32_e32 v2, 0x10000, v0
	s_delay_alu instid0(VALU_DEP_2) | instskip(NEXT) | instid1(VALU_DEP_1)
	v_cmp_eq_u32_e64 s1, 0, v1
	v_cndmask_b32_e64 v78, v2, v0, s1
; %bb.800:                              ;   in Loop: Header=BB466_8 Depth=1
	s_or_b32 exec_lo, exec_lo, s2
	v_lshrrev_b32_e32 v0, 16, v30
	s_mov_b32 s2, exec_lo
	s_delay_alu instid0(VALU_DEP_1) | instskip(NEXT) | instid1(VALU_DEP_1)
	v_dual_mov_b32 v1, 0 :: v_dual_and_b32 v2, 0xff, v0
	v_cmpx_ne_u16_e32 0, v2
	s_cbranch_execz .LBB466_808
; %bb.801:                              ;   in Loop: Header=BB466_8 Depth=1
	v_bfrev_b32_e32 v1, 1
	s_mov_b32 s18, exec_lo
	v_cmpx_ne_u16_e32 0x80, v2
	s_cbranch_execz .LBB466_807
; %bb.802:                              ;   in Loop: Header=BB466_8 Depth=1
	v_bfe_u32 v2, v30, 16, 7
	v_mov_b32_e32 v1, 0x7f800001
	s_mov_b32 s19, exec_lo
	s_delay_alu instid0(VALU_DEP_2)
	v_cmpx_ne_u32_e32 0x7f, v2
	s_cbranch_execz .LBB466_806
; %bb.803:                              ;   in Loop: Header=BB466_8 Depth=1
	v_and_b32_e32 v18, 7, v0
	v_lshrrev_b32_e32 v1, 3, v2
	v_mov_b32_e32 v33, v19
	s_mov_b32 s20, exec_lo
	s_delay_alu instid0(VALU_DEP_3)
	v_mov_b32_e32 v32, v18
	v_cmpx_gt_u32_e32 8, v2
; %bb.804:                              ;   in Loop: Header=BB466_8 Depth=1
	v_clz_i32_u32_e32 v1, v18
	s_delay_alu instid0(VALU_DEP_1) | instskip(NEXT) | instid1(VALU_DEP_1)
	v_min_u32_e32 v1, 32, v1
	v_subrev_nc_u32_e32 v2, 28, v1
	v_sub_nc_u32_e32 v1, 29, v1
	s_delay_alu instid0(VALU_DEP_2) | instskip(NEXT) | instid1(VALU_DEP_1)
	v_lshlrev_b64 v[2:3], v2, v[18:19]
	v_and_b32_e32 v32, 7, v2
; %bb.805:                              ;   in Loop: Header=BB466_8 Depth=1
	s_or_b32 exec_lo, exec_lo, s20
	v_lshlrev_b32_e32 v0, 24, v0
	s_delay_alu instid0(VALU_DEP_2) | instskip(SKIP_1) | instid1(VALU_DEP_3)
	v_lshlrev_b32_e32 v2, 20, v32
	v_lshl_add_u32 v1, v1, 23, 0x3c000000
	v_and_b32_e32 v0, 0x80000000, v0
	s_delay_alu instid0(VALU_DEP_1)
	v_or3_b32 v1, v2, v0, v1
.LBB466_806:                            ;   in Loop: Header=BB466_8 Depth=1
	s_or_b32 exec_lo, exec_lo, s19
.LBB466_807:                            ;   in Loop: Header=BB466_8 Depth=1
	s_delay_alu instid0(SALU_CYCLE_1)
	s_or_b32 exec_lo, exec_lo, s18
.LBB466_808:                            ;   in Loop: Header=BB466_8 Depth=1
	s_delay_alu instid0(SALU_CYCLE_1) | instskip(NEXT) | instid1(VALU_DEP_1)
	s_or_b32 exec_lo, exec_lo, s2
	v_mul_f32_e32 v0, v102, v1
                                        ; implicit-def: $vgpr79
	s_delay_alu instid0(VALU_DEP_1) | instskip(NEXT) | instid1(VALU_DEP_1)
	v_and_b32_e32 v1, 0x7f800000, v0
	v_cmp_ne_u32_e64 s1, 0x7f800000, v1
	s_delay_alu instid0(VALU_DEP_1) | instskip(NEXT) | instid1(SALU_CYCLE_1)
	s_and_saveexec_b32 s2, s1
	s_xor_b32 s1, exec_lo, s2
; %bb.809:                              ;   in Loop: Header=BB466_8 Depth=1
	v_bfe_u32 v1, v0, 16, 1
	s_delay_alu instid0(VALU_DEP_1)
	v_add3_u32 v79, v0, v1, 0x7fff
                                        ; implicit-def: $vgpr0
; %bb.810:                              ;   in Loop: Header=BB466_8 Depth=1
	s_and_not1_saveexec_b32 s2, s1
; %bb.811:                              ;   in Loop: Header=BB466_8 Depth=1
	v_and_b32_e32 v1, 0xffff, v0
	v_or_b32_e32 v2, 0x10000, v0
	s_delay_alu instid0(VALU_DEP_2) | instskip(NEXT) | instid1(VALU_DEP_1)
	v_cmp_eq_u32_e64 s1, 0, v1
	v_cndmask_b32_e64 v79, v2, v0, s1
; %bb.812:                              ;   in Loop: Header=BB466_8 Depth=1
	s_or_b32 exec_lo, exec_lo, s2
	v_mov_b32_e32 v1, 0
	s_mov_b32 s2, exec_lo
	v_cmpx_lt_u32_e32 0xffffff, v30
	s_cbranch_execz .LBB466_820
; %bb.813:                              ;   in Loop: Header=BB466_8 Depth=1
	v_lshrrev_b32_e32 v0, 24, v30
	v_bfrev_b32_e32 v1, 1
	s_mov_b32 s18, exec_lo
	s_delay_alu instid0(VALU_DEP_2)
	v_cmpx_ne_u32_e32 0x80, v0
	s_cbranch_execz .LBB466_819
; %bb.814:                              ;   in Loop: Header=BB466_8 Depth=1
	v_bfe_u32 v2, v30, 24, 7
	v_mov_b32_e32 v1, 0x7f800001
	s_mov_b32 s19, exec_lo
	s_delay_alu instid0(VALU_DEP_2)
	v_cmpx_ne_u32_e32 0x7f, v2
	s_cbranch_execz .LBB466_818
; %bb.815:                              ;   in Loop: Header=BB466_8 Depth=1
	v_and_b32_e32 v18, 7, v0
	v_lshrrev_b32_e32 v1, 3, v2
	v_mov_b32_e32 v33, v19
	s_mov_b32 s20, exec_lo
	s_delay_alu instid0(VALU_DEP_3)
	v_mov_b32_e32 v32, v18
	v_cmpx_gt_u32_e32 8, v2
; %bb.816:                              ;   in Loop: Header=BB466_8 Depth=1
	v_clz_i32_u32_e32 v1, v18
	s_delay_alu instid0(VALU_DEP_1) | instskip(NEXT) | instid1(VALU_DEP_1)
	v_min_u32_e32 v1, 32, v1
	v_subrev_nc_u32_e32 v2, 28, v1
	v_sub_nc_u32_e32 v1, 29, v1
	s_delay_alu instid0(VALU_DEP_2) | instskip(NEXT) | instid1(VALU_DEP_1)
	v_lshlrev_b64 v[2:3], v2, v[18:19]
	v_and_b32_e32 v32, 7, v2
; %bb.817:                              ;   in Loop: Header=BB466_8 Depth=1
	s_or_b32 exec_lo, exec_lo, s20
	v_lshlrev_b32_e32 v0, 24, v0
	s_delay_alu instid0(VALU_DEP_2) | instskip(SKIP_1) | instid1(VALU_DEP_3)
	v_lshlrev_b32_e32 v2, 20, v32
	v_lshl_add_u32 v1, v1, 23, 0x3c000000
	v_and_b32_e32 v0, 0x80000000, v0
	s_delay_alu instid0(VALU_DEP_1)
	v_or3_b32 v1, v2, v0, v1
.LBB466_818:                            ;   in Loop: Header=BB466_8 Depth=1
	s_or_b32 exec_lo, exec_lo, s19
.LBB466_819:                            ;   in Loop: Header=BB466_8 Depth=1
	s_delay_alu instid0(SALU_CYCLE_1)
	s_or_b32 exec_lo, exec_lo, s18
.LBB466_820:                            ;   in Loop: Header=BB466_8 Depth=1
	s_delay_alu instid0(SALU_CYCLE_1) | instskip(NEXT) | instid1(VALU_DEP_1)
	s_or_b32 exec_lo, exec_lo, s2
	v_mul_f32_e32 v0, v102, v1
                                        ; implicit-def: $vgpr88
	s_delay_alu instid0(VALU_DEP_1) | instskip(NEXT) | instid1(VALU_DEP_1)
	v_and_b32_e32 v1, 0x7f800000, v0
	v_cmp_ne_u32_e64 s1, 0x7f800000, v1
	s_delay_alu instid0(VALU_DEP_1) | instskip(NEXT) | instid1(SALU_CYCLE_1)
	s_and_saveexec_b32 s2, s1
	s_xor_b32 s1, exec_lo, s2
; %bb.821:                              ;   in Loop: Header=BB466_8 Depth=1
	v_bfe_u32 v1, v0, 16, 1
	s_delay_alu instid0(VALU_DEP_1)
	v_add3_u32 v88, v0, v1, 0x7fff
                                        ; implicit-def: $vgpr0
; %bb.822:                              ;   in Loop: Header=BB466_8 Depth=1
	s_and_not1_saveexec_b32 s2, s1
; %bb.823:                              ;   in Loop: Header=BB466_8 Depth=1
	v_and_b32_e32 v1, 0xffff, v0
	v_or_b32_e32 v2, 0x10000, v0
	s_delay_alu instid0(VALU_DEP_2) | instskip(NEXT) | instid1(VALU_DEP_1)
	v_cmp_eq_u32_e64 s1, 0, v1
	v_cndmask_b32_e64 v88, v2, v0, s1
; %bb.824:                              ;   in Loop: Header=BB466_8 Depth=1
	s_or_b32 exec_lo, exec_lo, s2
	v_dual_mov_b32 v18, v31 :: v_dual_and_b32 v1, 0xff, v31
	v_mov_b32_e32 v0, 0
	s_mov_b32 s2, exec_lo
	s_delay_alu instid0(VALU_DEP_2)
	v_cmpx_ne_u16_e32 0, v1
	s_cbranch_execz .LBB466_832
; %bb.825:                              ;   in Loop: Header=BB466_8 Depth=1
	v_bfrev_b32_e32 v0, 1
	s_mov_b32 s18, exec_lo
	v_cmpx_ne_u16_e32 0x80, v1
	s_cbranch_execz .LBB466_831
; %bb.826:                              ;   in Loop: Header=BB466_8 Depth=1
	v_and_b32_e32 v1, 0x7f, v31
	v_mov_b32_e32 v0, 0x7f800001
	s_mov_b32 s19, exec_lo
	s_delay_alu instid0(VALU_DEP_2)
	v_cmpx_ne_u32_e32 0x7f, v1
	s_cbranch_execz .LBB466_830
; %bb.827:                              ;   in Loop: Header=BB466_8 Depth=1
	v_lshrrev_b32_e32 v0, 3, v1
	v_dual_mov_b32 v33, v19 :: v_dual_mov_b32 v32, v18
	s_mov_b32 s20, exec_lo
	v_cmpx_gt_u32_e32 8, v1
; %bb.828:                              ;   in Loop: Header=BB466_8 Depth=1
	v_and_b32_e32 v0, 7, v31
	s_delay_alu instid0(VALU_DEP_1) | instskip(NEXT) | instid1(VALU_DEP_1)
	v_clz_i32_u32_e32 v0, v0
	v_min_u32_e32 v0, 32, v0
	s_delay_alu instid0(VALU_DEP_1) | instskip(SKIP_1) | instid1(VALU_DEP_2)
	v_subrev_nc_u32_e32 v1, 28, v0
	v_sub_nc_u32_e32 v0, 29, v0
	v_lshlrev_b64 v[32:33], v1, v[18:19]
; %bb.829:                              ;   in Loop: Header=BB466_8 Depth=1
	s_or_b32 exec_lo, exec_lo, s20
	s_delay_alu instid0(VALU_DEP_1) | instskip(SKIP_2) | instid1(VALU_DEP_3)
	v_lshlrev_b32_e32 v1, 20, v32
	v_lshlrev_b32_e32 v2, 24, v18
	v_lshl_add_u32 v0, v0, 23, 0x3c000000
	v_and_b32_e32 v1, 0x700000, v1
	s_delay_alu instid0(VALU_DEP_3) | instskip(NEXT) | instid1(VALU_DEP_1)
	v_and_b32_e32 v2, 0x80000000, v2
	v_or3_b32 v0, v1, v2, v0
.LBB466_830:                            ;   in Loop: Header=BB466_8 Depth=1
	s_or_b32 exec_lo, exec_lo, s19
.LBB466_831:                            ;   in Loop: Header=BB466_8 Depth=1
	s_delay_alu instid0(SALU_CYCLE_1)
	s_or_b32 exec_lo, exec_lo, s18
.LBB466_832:                            ;   in Loop: Header=BB466_8 Depth=1
	s_delay_alu instid0(SALU_CYCLE_1) | instskip(NEXT) | instid1(VALU_DEP_1)
	s_or_b32 exec_lo, exec_lo, s2
	v_mul_f32_e32 v0, v102, v0
                                        ; implicit-def: $vgpr89
	s_delay_alu instid0(VALU_DEP_1) | instskip(NEXT) | instid1(VALU_DEP_1)
	v_and_b32_e32 v1, 0x7f800000, v0
	v_cmp_ne_u32_e64 s1, 0x7f800000, v1
	s_delay_alu instid0(VALU_DEP_1) | instskip(NEXT) | instid1(SALU_CYCLE_1)
	s_and_saveexec_b32 s2, s1
	s_xor_b32 s1, exec_lo, s2
; %bb.833:                              ;   in Loop: Header=BB466_8 Depth=1
	v_bfe_u32 v1, v0, 16, 1
	s_delay_alu instid0(VALU_DEP_1)
	v_add3_u32 v89, v0, v1, 0x7fff
                                        ; implicit-def: $vgpr0
; %bb.834:                              ;   in Loop: Header=BB466_8 Depth=1
	s_and_not1_saveexec_b32 s2, s1
; %bb.835:                              ;   in Loop: Header=BB466_8 Depth=1
	v_and_b32_e32 v1, 0xffff, v0
	v_or_b32_e32 v2, 0x10000, v0
	s_delay_alu instid0(VALU_DEP_2) | instskip(NEXT) | instid1(VALU_DEP_1)
	v_cmp_eq_u32_e64 s1, 0, v1
	v_cndmask_b32_e64 v89, v2, v0, s1
; %bb.836:                              ;   in Loop: Header=BB466_8 Depth=1
	s_or_b32 exec_lo, exec_lo, s2
	v_lshrrev_b16 v1, 8, v18
	v_mov_b32_e32 v0, 0
	s_mov_b32 s2, exec_lo
	s_delay_alu instid0(VALU_DEP_2)
	v_cmpx_ne_u16_e32 0, v1
	s_cbranch_execz .LBB466_844
; %bb.837:                              ;   in Loop: Header=BB466_8 Depth=1
	v_bfrev_b32_e32 v0, 1
	s_mov_b32 s18, exec_lo
	v_cmpx_ne_u16_e32 0x80, v1
	s_cbranch_execz .LBB466_843
; %bb.838:                              ;   in Loop: Header=BB466_8 Depth=1
	v_and_b32_e32 v2, 0xffff, v1
	v_mov_b32_e32 v0, 0x7f800001
	s_mov_b32 s19, exec_lo
	s_delay_alu instid0(VALU_DEP_2) | instskip(NEXT) | instid1(VALU_DEP_1)
	v_and_b32_e32 v1, 0x7f, v2
	v_cmpx_ne_u32_e32 0x7f, v1
	s_cbranch_execz .LBB466_842
; %bb.839:                              ;   in Loop: Header=BB466_8 Depth=1
	v_dual_mov_b32 v33, v19 :: v_dual_and_b32 v32, 7, v2
	v_lshrrev_b32_e32 v0, 3, v1
	s_mov_b32 s20, exec_lo
	v_cmpx_gt_u32_e32 8, v1
; %bb.840:                              ;   in Loop: Header=BB466_8 Depth=1
	s_delay_alu instid0(VALU_DEP_3) | instskip(NEXT) | instid1(VALU_DEP_1)
	v_clz_i32_u32_e32 v0, v32
	v_min_u32_e32 v0, 32, v0
	s_delay_alu instid0(VALU_DEP_1) | instskip(SKIP_1) | instid1(VALU_DEP_2)
	v_subrev_nc_u32_e32 v1, 28, v0
	v_sub_nc_u32_e32 v0, 29, v0
	v_lshlrev_b64 v[1:2], v1, v[32:33]
	s_delay_alu instid0(VALU_DEP_1)
	v_and_b32_e32 v32, 7, v1
; %bb.841:                              ;   in Loop: Header=BB466_8 Depth=1
	s_or_b32 exec_lo, exec_lo, s20
	v_lshlrev_b32_e32 v1, 16, v18
	s_delay_alu instid0(VALU_DEP_2) | instskip(SKIP_1) | instid1(VALU_DEP_3)
	v_lshlrev_b32_e32 v2, 20, v32
	v_lshl_add_u32 v0, v0, 23, 0x3c000000
	v_and_b32_e32 v1, 0x80000000, v1
	s_delay_alu instid0(VALU_DEP_1)
	v_or3_b32 v0, v2, v1, v0
.LBB466_842:                            ;   in Loop: Header=BB466_8 Depth=1
	s_or_b32 exec_lo, exec_lo, s19
.LBB466_843:                            ;   in Loop: Header=BB466_8 Depth=1
	s_delay_alu instid0(SALU_CYCLE_1)
	s_or_b32 exec_lo, exec_lo, s18
.LBB466_844:                            ;   in Loop: Header=BB466_8 Depth=1
	s_delay_alu instid0(SALU_CYCLE_1) | instskip(NEXT) | instid1(VALU_DEP_1)
	s_or_b32 exec_lo, exec_lo, s2
	v_mul_f32_e32 v0, v102, v0
                                        ; implicit-def: $vgpr90
	s_delay_alu instid0(VALU_DEP_1) | instskip(NEXT) | instid1(VALU_DEP_1)
	v_and_b32_e32 v1, 0x7f800000, v0
	v_cmp_ne_u32_e64 s1, 0x7f800000, v1
	s_delay_alu instid0(VALU_DEP_1) | instskip(NEXT) | instid1(SALU_CYCLE_1)
	s_and_saveexec_b32 s2, s1
	s_xor_b32 s1, exec_lo, s2
; %bb.845:                              ;   in Loop: Header=BB466_8 Depth=1
	v_bfe_u32 v1, v0, 16, 1
	s_delay_alu instid0(VALU_DEP_1)
	v_add3_u32 v90, v0, v1, 0x7fff
                                        ; implicit-def: $vgpr0
; %bb.846:                              ;   in Loop: Header=BB466_8 Depth=1
	s_and_not1_saveexec_b32 s2, s1
; %bb.847:                              ;   in Loop: Header=BB466_8 Depth=1
	v_and_b32_e32 v1, 0xffff, v0
	v_or_b32_e32 v2, 0x10000, v0
	s_delay_alu instid0(VALU_DEP_2) | instskip(NEXT) | instid1(VALU_DEP_1)
	v_cmp_eq_u32_e64 s1, 0, v1
	v_cndmask_b32_e64 v90, v2, v0, s1
; %bb.848:                              ;   in Loop: Header=BB466_8 Depth=1
	s_or_b32 exec_lo, exec_lo, s2
	v_lshrrev_b32_e32 v0, 16, v31
	s_mov_b32 s2, exec_lo
	s_delay_alu instid0(VALU_DEP_1) | instskip(NEXT) | instid1(VALU_DEP_1)
	v_dual_mov_b32 v1, 0 :: v_dual_and_b32 v2, 0xff, v0
	v_cmpx_ne_u16_e32 0, v2
	s_cbranch_execz .LBB466_856
; %bb.849:                              ;   in Loop: Header=BB466_8 Depth=1
	v_bfrev_b32_e32 v1, 1
	s_mov_b32 s18, exec_lo
	v_cmpx_ne_u16_e32 0x80, v2
	s_cbranch_execz .LBB466_855
; %bb.850:                              ;   in Loop: Header=BB466_8 Depth=1
	v_bfe_u32 v2, v31, 16, 7
	v_mov_b32_e32 v1, 0x7f800001
	s_mov_b32 s19, exec_lo
	s_delay_alu instid0(VALU_DEP_2)
	v_cmpx_ne_u32_e32 0x7f, v2
	s_cbranch_execz .LBB466_854
; %bb.851:                              ;   in Loop: Header=BB466_8 Depth=1
	v_and_b32_e32 v18, 7, v0
	v_lshrrev_b32_e32 v1, 3, v2
	v_mov_b32_e32 v33, v19
	s_mov_b32 s20, exec_lo
	s_delay_alu instid0(VALU_DEP_3)
	v_mov_b32_e32 v32, v18
	v_cmpx_gt_u32_e32 8, v2
; %bb.852:                              ;   in Loop: Header=BB466_8 Depth=1
	v_clz_i32_u32_e32 v1, v18
	s_delay_alu instid0(VALU_DEP_1) | instskip(NEXT) | instid1(VALU_DEP_1)
	v_min_u32_e32 v1, 32, v1
	v_subrev_nc_u32_e32 v2, 28, v1
	v_sub_nc_u32_e32 v1, 29, v1
	s_delay_alu instid0(VALU_DEP_2) | instskip(NEXT) | instid1(VALU_DEP_1)
	v_lshlrev_b64 v[2:3], v2, v[18:19]
	v_and_b32_e32 v32, 7, v2
; %bb.853:                              ;   in Loop: Header=BB466_8 Depth=1
	s_or_b32 exec_lo, exec_lo, s20
	v_lshlrev_b32_e32 v0, 24, v0
	s_delay_alu instid0(VALU_DEP_2) | instskip(SKIP_1) | instid1(VALU_DEP_3)
	v_lshlrev_b32_e32 v2, 20, v32
	v_lshl_add_u32 v1, v1, 23, 0x3c000000
	v_and_b32_e32 v0, 0x80000000, v0
	s_delay_alu instid0(VALU_DEP_1)
	v_or3_b32 v1, v2, v0, v1
.LBB466_854:                            ;   in Loop: Header=BB466_8 Depth=1
	s_or_b32 exec_lo, exec_lo, s19
.LBB466_855:                            ;   in Loop: Header=BB466_8 Depth=1
	s_delay_alu instid0(SALU_CYCLE_1)
	s_or_b32 exec_lo, exec_lo, s18
.LBB466_856:                            ;   in Loop: Header=BB466_8 Depth=1
	s_delay_alu instid0(SALU_CYCLE_1) | instskip(NEXT) | instid1(VALU_DEP_1)
	s_or_b32 exec_lo, exec_lo, s2
	v_mul_f32_e32 v0, v102, v1
                                        ; implicit-def: $vgpr91
	s_delay_alu instid0(VALU_DEP_1) | instskip(NEXT) | instid1(VALU_DEP_1)
	v_and_b32_e32 v1, 0x7f800000, v0
	v_cmp_ne_u32_e64 s1, 0x7f800000, v1
	s_delay_alu instid0(VALU_DEP_1) | instskip(NEXT) | instid1(SALU_CYCLE_1)
	s_and_saveexec_b32 s2, s1
	s_xor_b32 s1, exec_lo, s2
; %bb.857:                              ;   in Loop: Header=BB466_8 Depth=1
	v_bfe_u32 v1, v0, 16, 1
	s_delay_alu instid0(VALU_DEP_1)
	v_add3_u32 v91, v0, v1, 0x7fff
                                        ; implicit-def: $vgpr0
; %bb.858:                              ;   in Loop: Header=BB466_8 Depth=1
	s_and_not1_saveexec_b32 s2, s1
; %bb.859:                              ;   in Loop: Header=BB466_8 Depth=1
	v_and_b32_e32 v1, 0xffff, v0
	v_or_b32_e32 v2, 0x10000, v0
	s_delay_alu instid0(VALU_DEP_2) | instskip(NEXT) | instid1(VALU_DEP_1)
	v_cmp_eq_u32_e64 s1, 0, v1
	v_cndmask_b32_e64 v91, v2, v0, s1
; %bb.860:                              ;   in Loop: Header=BB466_8 Depth=1
	s_or_b32 exec_lo, exec_lo, s2
	v_mov_b32_e32 v1, 0
	s_mov_b32 s2, exec_lo
	v_cmpx_lt_u64_e64 s[8:9], v[30:31]
	s_cbranch_execz .LBB466_868
; %bb.861:                              ;   in Loop: Header=BB466_8 Depth=1
	v_lshrrev_b32_e32 v0, 24, v31
	v_bfrev_b32_e32 v1, 1
	s_mov_b32 s18, exec_lo
	s_delay_alu instid0(VALU_DEP_2)
	v_cmpx_ne_u32_e32 0x80, v0
	s_cbranch_execz .LBB466_867
; %bb.862:                              ;   in Loop: Header=BB466_8 Depth=1
	v_bfe_u32 v2, v31, 24, 7
	v_mov_b32_e32 v1, 0x7f800001
	s_mov_b32 s19, exec_lo
	s_delay_alu instid0(VALU_DEP_2)
	v_cmpx_ne_u32_e32 0x7f, v2
	s_cbranch_execz .LBB466_866
; %bb.863:                              ;   in Loop: Header=BB466_8 Depth=1
	v_and_b32_e32 v18, 7, v0
	v_lshrrev_b32_e32 v1, 3, v2
	v_mov_b32_e32 v31, v19
	s_mov_b32 s20, exec_lo
	s_delay_alu instid0(VALU_DEP_3)
	v_mov_b32_e32 v30, v18
	v_cmpx_gt_u32_e32 8, v2
; %bb.864:                              ;   in Loop: Header=BB466_8 Depth=1
	v_clz_i32_u32_e32 v1, v18
	s_delay_alu instid0(VALU_DEP_1) | instskip(NEXT) | instid1(VALU_DEP_1)
	v_min_u32_e32 v1, 32, v1
	v_subrev_nc_u32_e32 v2, 28, v1
	v_sub_nc_u32_e32 v1, 29, v1
	s_delay_alu instid0(VALU_DEP_2) | instskip(NEXT) | instid1(VALU_DEP_1)
	v_lshlrev_b64 v[2:3], v2, v[18:19]
	v_and_b32_e32 v30, 7, v2
; %bb.865:                              ;   in Loop: Header=BB466_8 Depth=1
	s_or_b32 exec_lo, exec_lo, s20
	v_lshlrev_b32_e32 v0, 24, v0
	s_delay_alu instid0(VALU_DEP_2) | instskip(SKIP_1) | instid1(VALU_DEP_3)
	v_lshlrev_b32_e32 v2, 20, v30
	v_lshl_add_u32 v1, v1, 23, 0x3c000000
	v_and_b32_e32 v0, 0x80000000, v0
	s_delay_alu instid0(VALU_DEP_1)
	v_or3_b32 v1, v2, v0, v1
.LBB466_866:                            ;   in Loop: Header=BB466_8 Depth=1
	s_or_b32 exec_lo, exec_lo, s19
.LBB466_867:                            ;   in Loop: Header=BB466_8 Depth=1
	s_delay_alu instid0(SALU_CYCLE_1)
	s_or_b32 exec_lo, exec_lo, s18
.LBB466_868:                            ;   in Loop: Header=BB466_8 Depth=1
	s_delay_alu instid0(SALU_CYCLE_1) | instskip(NEXT) | instid1(VALU_DEP_1)
	s_or_b32 exec_lo, exec_lo, s2
	v_mul_f32_e32 v0, v102, v1
                                        ; implicit-def: $vgpr92
	s_delay_alu instid0(VALU_DEP_1) | instskip(NEXT) | instid1(VALU_DEP_1)
	v_and_b32_e32 v1, 0x7f800000, v0
	v_cmp_ne_u32_e64 s1, 0x7f800000, v1
	s_delay_alu instid0(VALU_DEP_1) | instskip(NEXT) | instid1(SALU_CYCLE_1)
	s_and_saveexec_b32 s2, s1
	s_xor_b32 s1, exec_lo, s2
; %bb.869:                              ;   in Loop: Header=BB466_8 Depth=1
	v_bfe_u32 v1, v0, 16, 1
	s_delay_alu instid0(VALU_DEP_1)
	v_add3_u32 v92, v0, v1, 0x7fff
                                        ; implicit-def: $vgpr0
; %bb.870:                              ;   in Loop: Header=BB466_8 Depth=1
	s_and_not1_saveexec_b32 s2, s1
; %bb.871:                              ;   in Loop: Header=BB466_8 Depth=1
	v_and_b32_e32 v1, 0xffff, v0
	v_or_b32_e32 v2, 0x10000, v0
	s_delay_alu instid0(VALU_DEP_2) | instskip(NEXT) | instid1(VALU_DEP_1)
	v_cmp_eq_u32_e64 s1, 0, v1
	v_cndmask_b32_e64 v92, v2, v0, s1
; %bb.872:                              ;   in Loop: Header=BB466_8 Depth=1
	s_or_b32 exec_lo, exec_lo, s2
	flat_load_b64 v[30:31], v[28:29] offset:2056
	s_mov_b32 s2, exec_lo
	s_waitcnt vmcnt(0) lgkmcnt(0)
	v_dual_mov_b32 v0, 0 :: v_dual_and_b32 v1, 0xff, v30
	s_delay_alu instid0(VALU_DEP_1)
	v_cmpx_ne_u16_e32 0, v1
	s_cbranch_execz .LBB466_880
; %bb.873:                              ;   in Loop: Header=BB466_8 Depth=1
	v_bfrev_b32_e32 v0, 1
	s_mov_b32 s18, exec_lo
	v_cmpx_ne_u16_e32 0x80, v1
	s_cbranch_execz .LBB466_879
; %bb.874:                              ;   in Loop: Header=BB466_8 Depth=1
	v_and_b32_e32 v1, 0x7f, v30
	v_mov_b32_e32 v0, 0x7f800001
	s_mov_b32 s19, exec_lo
	s_delay_alu instid0(VALU_DEP_2)
	v_cmpx_ne_u32_e32 0x7f, v1
	s_cbranch_execz .LBB466_878
; %bb.875:                              ;   in Loop: Header=BB466_8 Depth=1
	v_lshrrev_b32_e32 v0, 3, v1
	v_dual_mov_b32 v33, v31 :: v_dual_mov_b32 v32, v30
	s_mov_b32 s20, exec_lo
	v_cmpx_gt_u32_e32 8, v1
; %bb.876:                              ;   in Loop: Header=BB466_8 Depth=1
	v_and_b32_e32 v0, 7, v30
	s_delay_alu instid0(VALU_DEP_1) | instskip(NEXT) | instid1(VALU_DEP_1)
	v_clz_i32_u32_e32 v0, v0
	v_min_u32_e32 v0, 32, v0
	s_delay_alu instid0(VALU_DEP_1) | instskip(SKIP_1) | instid1(VALU_DEP_2)
	v_subrev_nc_u32_e32 v1, 28, v0
	v_sub_nc_u32_e32 v0, 29, v0
	v_lshlrev_b64 v[32:33], v1, v[30:31]
; %bb.877:                              ;   in Loop: Header=BB466_8 Depth=1
	s_or_b32 exec_lo, exec_lo, s20
	s_delay_alu instid0(VALU_DEP_1) | instskip(SKIP_2) | instid1(VALU_DEP_3)
	v_lshlrev_b32_e32 v1, 20, v32
	v_lshlrev_b32_e32 v2, 24, v30
	v_lshl_add_u32 v0, v0, 23, 0x3c000000
	v_and_b32_e32 v1, 0x700000, v1
	s_delay_alu instid0(VALU_DEP_3) | instskip(NEXT) | instid1(VALU_DEP_1)
	v_and_b32_e32 v2, 0x80000000, v2
	v_or3_b32 v0, v1, v2, v0
.LBB466_878:                            ;   in Loop: Header=BB466_8 Depth=1
	s_or_b32 exec_lo, exec_lo, s19
.LBB466_879:                            ;   in Loop: Header=BB466_8 Depth=1
	s_delay_alu instid0(SALU_CYCLE_1)
	s_or_b32 exec_lo, exec_lo, s18
.LBB466_880:                            ;   in Loop: Header=BB466_8 Depth=1
	s_delay_alu instid0(SALU_CYCLE_1) | instskip(NEXT) | instid1(VALU_DEP_1)
	s_or_b32 exec_lo, exec_lo, s2
	v_mul_f32_e32 v0, v102, v0
                                        ; implicit-def: $vgpr93
	s_delay_alu instid0(VALU_DEP_1) | instskip(NEXT) | instid1(VALU_DEP_1)
	v_and_b32_e32 v1, 0x7f800000, v0
	v_cmp_ne_u32_e64 s1, 0x7f800000, v1
	s_delay_alu instid0(VALU_DEP_1) | instskip(NEXT) | instid1(SALU_CYCLE_1)
	s_and_saveexec_b32 s2, s1
	s_xor_b32 s1, exec_lo, s2
; %bb.881:                              ;   in Loop: Header=BB466_8 Depth=1
	v_bfe_u32 v1, v0, 16, 1
	s_delay_alu instid0(VALU_DEP_1)
	v_add3_u32 v93, v0, v1, 0x7fff
                                        ; implicit-def: $vgpr0
; %bb.882:                              ;   in Loop: Header=BB466_8 Depth=1
	s_and_not1_saveexec_b32 s2, s1
; %bb.883:                              ;   in Loop: Header=BB466_8 Depth=1
	v_and_b32_e32 v1, 0xffff, v0
	v_or_b32_e32 v2, 0x10000, v0
	s_delay_alu instid0(VALU_DEP_2) | instskip(NEXT) | instid1(VALU_DEP_1)
	v_cmp_eq_u32_e64 s1, 0, v1
	v_cndmask_b32_e64 v93, v2, v0, s1
; %bb.884:                              ;   in Loop: Header=BB466_8 Depth=1
	s_or_b32 exec_lo, exec_lo, s2
	v_lshrrev_b16 v1, 8, v30
	v_mov_b32_e32 v0, 0
	s_mov_b32 s2, exec_lo
	s_delay_alu instid0(VALU_DEP_2)
	v_cmpx_ne_u16_e32 0, v1
	s_cbranch_execz .LBB466_892
; %bb.885:                              ;   in Loop: Header=BB466_8 Depth=1
	v_bfrev_b32_e32 v0, 1
	s_mov_b32 s18, exec_lo
	v_cmpx_ne_u16_e32 0x80, v1
	s_cbranch_execz .LBB466_891
; %bb.886:                              ;   in Loop: Header=BB466_8 Depth=1
	v_and_b32_e32 v2, 0xffff, v1
	v_mov_b32_e32 v0, 0x7f800001
	s_mov_b32 s19, exec_lo
	s_delay_alu instid0(VALU_DEP_2) | instskip(NEXT) | instid1(VALU_DEP_1)
	v_and_b32_e32 v1, 0x7f, v2
	v_cmpx_ne_u32_e32 0x7f, v1
	s_cbranch_execz .LBB466_890
; %bb.887:                              ;   in Loop: Header=BB466_8 Depth=1
	v_and_b32_e32 v18, 7, v2
	v_lshrrev_b32_e32 v0, 3, v1
	v_mov_b32_e32 v33, v19
	s_mov_b32 s20, exec_lo
	s_delay_alu instid0(VALU_DEP_3)
	v_mov_b32_e32 v32, v18
	v_cmpx_gt_u32_e32 8, v1
; %bb.888:                              ;   in Loop: Header=BB466_8 Depth=1
	v_clz_i32_u32_e32 v0, v18
	s_delay_alu instid0(VALU_DEP_1) | instskip(NEXT) | instid1(VALU_DEP_1)
	v_min_u32_e32 v0, 32, v0
	v_subrev_nc_u32_e32 v1, 28, v0
	v_sub_nc_u32_e32 v0, 29, v0
	s_delay_alu instid0(VALU_DEP_2) | instskip(NEXT) | instid1(VALU_DEP_1)
	v_lshlrev_b64 v[1:2], v1, v[18:19]
	v_and_b32_e32 v32, 7, v1
; %bb.889:                              ;   in Loop: Header=BB466_8 Depth=1
	s_or_b32 exec_lo, exec_lo, s20
	v_lshlrev_b32_e32 v1, 16, v30
	s_delay_alu instid0(VALU_DEP_2) | instskip(SKIP_1) | instid1(VALU_DEP_3)
	v_lshlrev_b32_e32 v2, 20, v32
	v_lshl_add_u32 v0, v0, 23, 0x3c000000
	v_and_b32_e32 v1, 0x80000000, v1
	s_delay_alu instid0(VALU_DEP_1)
	v_or3_b32 v0, v2, v1, v0
.LBB466_890:                            ;   in Loop: Header=BB466_8 Depth=1
	s_or_b32 exec_lo, exec_lo, s19
.LBB466_891:                            ;   in Loop: Header=BB466_8 Depth=1
	s_delay_alu instid0(SALU_CYCLE_1)
	s_or_b32 exec_lo, exec_lo, s18
.LBB466_892:                            ;   in Loop: Header=BB466_8 Depth=1
	s_delay_alu instid0(SALU_CYCLE_1) | instskip(NEXT) | instid1(VALU_DEP_1)
	s_or_b32 exec_lo, exec_lo, s2
	v_mul_f32_e32 v0, v102, v0
                                        ; implicit-def: $vgpr94
	s_delay_alu instid0(VALU_DEP_1) | instskip(NEXT) | instid1(VALU_DEP_1)
	v_and_b32_e32 v1, 0x7f800000, v0
	v_cmp_ne_u32_e64 s1, 0x7f800000, v1
	s_delay_alu instid0(VALU_DEP_1) | instskip(NEXT) | instid1(SALU_CYCLE_1)
	s_and_saveexec_b32 s2, s1
	s_xor_b32 s1, exec_lo, s2
; %bb.893:                              ;   in Loop: Header=BB466_8 Depth=1
	v_bfe_u32 v1, v0, 16, 1
	s_delay_alu instid0(VALU_DEP_1)
	v_add3_u32 v94, v0, v1, 0x7fff
                                        ; implicit-def: $vgpr0
; %bb.894:                              ;   in Loop: Header=BB466_8 Depth=1
	s_and_not1_saveexec_b32 s2, s1
; %bb.895:                              ;   in Loop: Header=BB466_8 Depth=1
	v_and_b32_e32 v1, 0xffff, v0
	v_or_b32_e32 v2, 0x10000, v0
	s_delay_alu instid0(VALU_DEP_2) | instskip(NEXT) | instid1(VALU_DEP_1)
	v_cmp_eq_u32_e64 s1, 0, v1
	v_cndmask_b32_e64 v94, v2, v0, s1
; %bb.896:                              ;   in Loop: Header=BB466_8 Depth=1
	s_or_b32 exec_lo, exec_lo, s2
	v_lshrrev_b32_e32 v0, 16, v30
	s_mov_b32 s2, exec_lo
	s_delay_alu instid0(VALU_DEP_1) | instskip(NEXT) | instid1(VALU_DEP_1)
	v_dual_mov_b32 v1, 0 :: v_dual_and_b32 v2, 0xff, v0
	v_cmpx_ne_u16_e32 0, v2
	s_cbranch_execz .LBB466_904
; %bb.897:                              ;   in Loop: Header=BB466_8 Depth=1
	v_bfrev_b32_e32 v1, 1
	s_mov_b32 s18, exec_lo
	v_cmpx_ne_u16_e32 0x80, v2
	s_cbranch_execz .LBB466_903
; %bb.898:                              ;   in Loop: Header=BB466_8 Depth=1
	v_bfe_u32 v2, v30, 16, 7
	v_mov_b32_e32 v1, 0x7f800001
	s_mov_b32 s19, exec_lo
	s_delay_alu instid0(VALU_DEP_2)
	v_cmpx_ne_u32_e32 0x7f, v2
	s_cbranch_execz .LBB466_902
; %bb.899:                              ;   in Loop: Header=BB466_8 Depth=1
	v_and_b32_e32 v18, 7, v0
	v_lshrrev_b32_e32 v1, 3, v2
	v_mov_b32_e32 v33, v19
	s_mov_b32 s20, exec_lo
	s_delay_alu instid0(VALU_DEP_3)
	v_mov_b32_e32 v32, v18
	v_cmpx_gt_u32_e32 8, v2
; %bb.900:                              ;   in Loop: Header=BB466_8 Depth=1
	v_clz_i32_u32_e32 v1, v18
	s_delay_alu instid0(VALU_DEP_1) | instskip(NEXT) | instid1(VALU_DEP_1)
	v_min_u32_e32 v1, 32, v1
	v_subrev_nc_u32_e32 v2, 28, v1
	v_sub_nc_u32_e32 v1, 29, v1
	s_delay_alu instid0(VALU_DEP_2) | instskip(NEXT) | instid1(VALU_DEP_1)
	v_lshlrev_b64 v[2:3], v2, v[18:19]
	v_and_b32_e32 v32, 7, v2
; %bb.901:                              ;   in Loop: Header=BB466_8 Depth=1
	s_or_b32 exec_lo, exec_lo, s20
	v_lshlrev_b32_e32 v0, 24, v0
	s_delay_alu instid0(VALU_DEP_2) | instskip(SKIP_1) | instid1(VALU_DEP_3)
	v_lshlrev_b32_e32 v2, 20, v32
	v_lshl_add_u32 v1, v1, 23, 0x3c000000
	v_and_b32_e32 v0, 0x80000000, v0
	s_delay_alu instid0(VALU_DEP_1)
	v_or3_b32 v1, v2, v0, v1
.LBB466_902:                            ;   in Loop: Header=BB466_8 Depth=1
	s_or_b32 exec_lo, exec_lo, s19
.LBB466_903:                            ;   in Loop: Header=BB466_8 Depth=1
	s_delay_alu instid0(SALU_CYCLE_1)
	s_or_b32 exec_lo, exec_lo, s18
.LBB466_904:                            ;   in Loop: Header=BB466_8 Depth=1
	s_delay_alu instid0(SALU_CYCLE_1) | instskip(NEXT) | instid1(VALU_DEP_1)
	s_or_b32 exec_lo, exec_lo, s2
	v_mul_f32_e32 v0, v102, v1
                                        ; implicit-def: $vgpr95
	s_delay_alu instid0(VALU_DEP_1) | instskip(NEXT) | instid1(VALU_DEP_1)
	v_and_b32_e32 v1, 0x7f800000, v0
	v_cmp_ne_u32_e64 s1, 0x7f800000, v1
	s_delay_alu instid0(VALU_DEP_1) | instskip(NEXT) | instid1(SALU_CYCLE_1)
	s_and_saveexec_b32 s2, s1
	s_xor_b32 s1, exec_lo, s2
; %bb.905:                              ;   in Loop: Header=BB466_8 Depth=1
	v_bfe_u32 v1, v0, 16, 1
	s_delay_alu instid0(VALU_DEP_1)
	v_add3_u32 v95, v0, v1, 0x7fff
                                        ; implicit-def: $vgpr0
; %bb.906:                              ;   in Loop: Header=BB466_8 Depth=1
	s_and_not1_saveexec_b32 s2, s1
; %bb.907:                              ;   in Loop: Header=BB466_8 Depth=1
	v_and_b32_e32 v1, 0xffff, v0
	v_or_b32_e32 v2, 0x10000, v0
	s_delay_alu instid0(VALU_DEP_2) | instskip(NEXT) | instid1(VALU_DEP_1)
	v_cmp_eq_u32_e64 s1, 0, v1
	v_cndmask_b32_e64 v95, v2, v0, s1
; %bb.908:                              ;   in Loop: Header=BB466_8 Depth=1
	s_or_b32 exec_lo, exec_lo, s2
	v_mov_b32_e32 v1, 0
	s_mov_b32 s2, exec_lo
	v_cmpx_lt_u32_e32 0xffffff, v30
	s_cbranch_execz .LBB466_916
; %bb.909:                              ;   in Loop: Header=BB466_8 Depth=1
	v_lshrrev_b32_e32 v0, 24, v30
	v_bfrev_b32_e32 v1, 1
	s_mov_b32 s18, exec_lo
	s_delay_alu instid0(VALU_DEP_2)
	v_cmpx_ne_u32_e32 0x80, v0
	s_cbranch_execz .LBB466_915
; %bb.910:                              ;   in Loop: Header=BB466_8 Depth=1
	v_bfe_u32 v2, v30, 24, 7
	v_mov_b32_e32 v1, 0x7f800001
	s_mov_b32 s19, exec_lo
	s_delay_alu instid0(VALU_DEP_2)
	v_cmpx_ne_u32_e32 0x7f, v2
	s_cbranch_execz .LBB466_914
; %bb.911:                              ;   in Loop: Header=BB466_8 Depth=1
	v_and_b32_e32 v18, 7, v0
	v_lshrrev_b32_e32 v1, 3, v2
	v_mov_b32_e32 v33, v19
	s_mov_b32 s20, exec_lo
	s_delay_alu instid0(VALU_DEP_3)
	v_mov_b32_e32 v32, v18
	v_cmpx_gt_u32_e32 8, v2
; %bb.912:                              ;   in Loop: Header=BB466_8 Depth=1
	v_clz_i32_u32_e32 v1, v18
	s_delay_alu instid0(VALU_DEP_1) | instskip(NEXT) | instid1(VALU_DEP_1)
	v_min_u32_e32 v1, 32, v1
	v_subrev_nc_u32_e32 v2, 28, v1
	v_sub_nc_u32_e32 v1, 29, v1
	s_delay_alu instid0(VALU_DEP_2) | instskip(NEXT) | instid1(VALU_DEP_1)
	v_lshlrev_b64 v[2:3], v2, v[18:19]
	v_and_b32_e32 v32, 7, v2
; %bb.913:                              ;   in Loop: Header=BB466_8 Depth=1
	s_or_b32 exec_lo, exec_lo, s20
	v_lshlrev_b32_e32 v0, 24, v0
	s_delay_alu instid0(VALU_DEP_2) | instskip(SKIP_1) | instid1(VALU_DEP_3)
	v_lshlrev_b32_e32 v2, 20, v32
	v_lshl_add_u32 v1, v1, 23, 0x3c000000
	v_and_b32_e32 v0, 0x80000000, v0
	s_delay_alu instid0(VALU_DEP_1)
	v_or3_b32 v1, v2, v0, v1
.LBB466_914:                            ;   in Loop: Header=BB466_8 Depth=1
	s_or_b32 exec_lo, exec_lo, s19
.LBB466_915:                            ;   in Loop: Header=BB466_8 Depth=1
	s_delay_alu instid0(SALU_CYCLE_1)
	s_or_b32 exec_lo, exec_lo, s18
.LBB466_916:                            ;   in Loop: Header=BB466_8 Depth=1
	s_delay_alu instid0(SALU_CYCLE_1) | instskip(NEXT) | instid1(VALU_DEP_1)
	s_or_b32 exec_lo, exec_lo, s2
	v_mul_f32_e32 v0, v102, v1
                                        ; implicit-def: $vgpr104
	s_delay_alu instid0(VALU_DEP_1) | instskip(NEXT) | instid1(VALU_DEP_1)
	v_and_b32_e32 v1, 0x7f800000, v0
	v_cmp_ne_u32_e64 s1, 0x7f800000, v1
	s_delay_alu instid0(VALU_DEP_1) | instskip(NEXT) | instid1(SALU_CYCLE_1)
	s_and_saveexec_b32 s2, s1
	s_xor_b32 s1, exec_lo, s2
; %bb.917:                              ;   in Loop: Header=BB466_8 Depth=1
	v_bfe_u32 v1, v0, 16, 1
	s_delay_alu instid0(VALU_DEP_1)
	v_add3_u32 v104, v0, v1, 0x7fff
                                        ; implicit-def: $vgpr0
; %bb.918:                              ;   in Loop: Header=BB466_8 Depth=1
	s_and_not1_saveexec_b32 s2, s1
; %bb.919:                              ;   in Loop: Header=BB466_8 Depth=1
	v_and_b32_e32 v1, 0xffff, v0
	v_or_b32_e32 v2, 0x10000, v0
	s_delay_alu instid0(VALU_DEP_2) | instskip(NEXT) | instid1(VALU_DEP_1)
	v_cmp_eq_u32_e64 s1, 0, v1
	v_cndmask_b32_e64 v104, v2, v0, s1
; %bb.920:                              ;   in Loop: Header=BB466_8 Depth=1
	s_or_b32 exec_lo, exec_lo, s2
	v_dual_mov_b32 v18, v31 :: v_dual_and_b32 v1, 0xff, v31
	v_mov_b32_e32 v0, 0
	s_mov_b32 s2, exec_lo
	s_delay_alu instid0(VALU_DEP_2)
	v_cmpx_ne_u16_e32 0, v1
	s_cbranch_execz .LBB466_928
; %bb.921:                              ;   in Loop: Header=BB466_8 Depth=1
	v_bfrev_b32_e32 v0, 1
	s_mov_b32 s18, exec_lo
	v_cmpx_ne_u16_e32 0x80, v1
	s_cbranch_execz .LBB466_927
; %bb.922:                              ;   in Loop: Header=BB466_8 Depth=1
	v_and_b32_e32 v1, 0x7f, v31
	v_mov_b32_e32 v0, 0x7f800001
	s_mov_b32 s19, exec_lo
	s_delay_alu instid0(VALU_DEP_2)
	v_cmpx_ne_u32_e32 0x7f, v1
	s_cbranch_execz .LBB466_926
; %bb.923:                              ;   in Loop: Header=BB466_8 Depth=1
	v_lshrrev_b32_e32 v0, 3, v1
	v_dual_mov_b32 v33, v19 :: v_dual_mov_b32 v32, v18
	s_mov_b32 s20, exec_lo
	v_cmpx_gt_u32_e32 8, v1
; %bb.924:                              ;   in Loop: Header=BB466_8 Depth=1
	v_and_b32_e32 v0, 7, v31
	s_delay_alu instid0(VALU_DEP_1) | instskip(NEXT) | instid1(VALU_DEP_1)
	v_clz_i32_u32_e32 v0, v0
	v_min_u32_e32 v0, 32, v0
	s_delay_alu instid0(VALU_DEP_1) | instskip(SKIP_1) | instid1(VALU_DEP_2)
	v_subrev_nc_u32_e32 v1, 28, v0
	v_sub_nc_u32_e32 v0, 29, v0
	v_lshlrev_b64 v[32:33], v1, v[18:19]
; %bb.925:                              ;   in Loop: Header=BB466_8 Depth=1
	s_or_b32 exec_lo, exec_lo, s20
	s_delay_alu instid0(VALU_DEP_1) | instskip(SKIP_2) | instid1(VALU_DEP_3)
	v_lshlrev_b32_e32 v1, 20, v32
	v_lshlrev_b32_e32 v2, 24, v18
	v_lshl_add_u32 v0, v0, 23, 0x3c000000
	v_and_b32_e32 v1, 0x700000, v1
	s_delay_alu instid0(VALU_DEP_3) | instskip(NEXT) | instid1(VALU_DEP_1)
	v_and_b32_e32 v2, 0x80000000, v2
	v_or3_b32 v0, v1, v2, v0
.LBB466_926:                            ;   in Loop: Header=BB466_8 Depth=1
	s_or_b32 exec_lo, exec_lo, s19
.LBB466_927:                            ;   in Loop: Header=BB466_8 Depth=1
	s_delay_alu instid0(SALU_CYCLE_1)
	s_or_b32 exec_lo, exec_lo, s18
.LBB466_928:                            ;   in Loop: Header=BB466_8 Depth=1
	s_delay_alu instid0(SALU_CYCLE_1) | instskip(NEXT) | instid1(VALU_DEP_1)
	s_or_b32 exec_lo, exec_lo, s2
	v_mul_f32_e32 v0, v102, v0
                                        ; implicit-def: $vgpr105
	s_delay_alu instid0(VALU_DEP_1) | instskip(NEXT) | instid1(VALU_DEP_1)
	v_and_b32_e32 v1, 0x7f800000, v0
	v_cmp_ne_u32_e64 s1, 0x7f800000, v1
	s_delay_alu instid0(VALU_DEP_1) | instskip(NEXT) | instid1(SALU_CYCLE_1)
	s_and_saveexec_b32 s2, s1
	s_xor_b32 s1, exec_lo, s2
; %bb.929:                              ;   in Loop: Header=BB466_8 Depth=1
	v_bfe_u32 v1, v0, 16, 1
	s_delay_alu instid0(VALU_DEP_1)
	v_add3_u32 v105, v0, v1, 0x7fff
                                        ; implicit-def: $vgpr0
; %bb.930:                              ;   in Loop: Header=BB466_8 Depth=1
	s_and_not1_saveexec_b32 s2, s1
; %bb.931:                              ;   in Loop: Header=BB466_8 Depth=1
	v_and_b32_e32 v1, 0xffff, v0
	v_or_b32_e32 v2, 0x10000, v0
	s_delay_alu instid0(VALU_DEP_2) | instskip(NEXT) | instid1(VALU_DEP_1)
	v_cmp_eq_u32_e64 s1, 0, v1
	v_cndmask_b32_e64 v105, v2, v0, s1
; %bb.932:                              ;   in Loop: Header=BB466_8 Depth=1
	s_or_b32 exec_lo, exec_lo, s2
	v_lshrrev_b16 v1, 8, v18
	v_mov_b32_e32 v0, 0
	s_mov_b32 s2, exec_lo
	s_delay_alu instid0(VALU_DEP_2)
	v_cmpx_ne_u16_e32 0, v1
	s_cbranch_execz .LBB466_940
; %bb.933:                              ;   in Loop: Header=BB466_8 Depth=1
	v_bfrev_b32_e32 v0, 1
	s_mov_b32 s18, exec_lo
	v_cmpx_ne_u16_e32 0x80, v1
	s_cbranch_execz .LBB466_939
; %bb.934:                              ;   in Loop: Header=BB466_8 Depth=1
	v_and_b32_e32 v2, 0xffff, v1
	v_mov_b32_e32 v0, 0x7f800001
	s_mov_b32 s19, exec_lo
	s_delay_alu instid0(VALU_DEP_2) | instskip(NEXT) | instid1(VALU_DEP_1)
	v_and_b32_e32 v1, 0x7f, v2
	v_cmpx_ne_u32_e32 0x7f, v1
	s_cbranch_execz .LBB466_938
; %bb.935:                              ;   in Loop: Header=BB466_8 Depth=1
	v_dual_mov_b32 v33, v19 :: v_dual_and_b32 v32, 7, v2
	v_lshrrev_b32_e32 v0, 3, v1
	s_mov_b32 s20, exec_lo
	v_cmpx_gt_u32_e32 8, v1
; %bb.936:                              ;   in Loop: Header=BB466_8 Depth=1
	s_delay_alu instid0(VALU_DEP_3) | instskip(NEXT) | instid1(VALU_DEP_1)
	v_clz_i32_u32_e32 v0, v32
	v_min_u32_e32 v0, 32, v0
	s_delay_alu instid0(VALU_DEP_1) | instskip(SKIP_1) | instid1(VALU_DEP_2)
	v_subrev_nc_u32_e32 v1, 28, v0
	v_sub_nc_u32_e32 v0, 29, v0
	v_lshlrev_b64 v[1:2], v1, v[32:33]
	s_delay_alu instid0(VALU_DEP_1)
	v_and_b32_e32 v32, 7, v1
; %bb.937:                              ;   in Loop: Header=BB466_8 Depth=1
	s_or_b32 exec_lo, exec_lo, s20
	v_lshlrev_b32_e32 v1, 16, v18
	s_delay_alu instid0(VALU_DEP_2) | instskip(SKIP_1) | instid1(VALU_DEP_3)
	v_lshlrev_b32_e32 v2, 20, v32
	v_lshl_add_u32 v0, v0, 23, 0x3c000000
	v_and_b32_e32 v1, 0x80000000, v1
	s_delay_alu instid0(VALU_DEP_1)
	v_or3_b32 v0, v2, v1, v0
.LBB466_938:                            ;   in Loop: Header=BB466_8 Depth=1
	s_or_b32 exec_lo, exec_lo, s19
.LBB466_939:                            ;   in Loop: Header=BB466_8 Depth=1
	s_delay_alu instid0(SALU_CYCLE_1)
	s_or_b32 exec_lo, exec_lo, s18
.LBB466_940:                            ;   in Loop: Header=BB466_8 Depth=1
	s_delay_alu instid0(SALU_CYCLE_1) | instskip(NEXT) | instid1(VALU_DEP_1)
	s_or_b32 exec_lo, exec_lo, s2
	v_mul_f32_e32 v0, v102, v0
                                        ; implicit-def: $vgpr106
	s_delay_alu instid0(VALU_DEP_1) | instskip(NEXT) | instid1(VALU_DEP_1)
	v_and_b32_e32 v1, 0x7f800000, v0
	v_cmp_ne_u32_e64 s1, 0x7f800000, v1
	s_delay_alu instid0(VALU_DEP_1) | instskip(NEXT) | instid1(SALU_CYCLE_1)
	s_and_saveexec_b32 s2, s1
	s_xor_b32 s1, exec_lo, s2
; %bb.941:                              ;   in Loop: Header=BB466_8 Depth=1
	v_bfe_u32 v1, v0, 16, 1
	s_delay_alu instid0(VALU_DEP_1)
	v_add3_u32 v106, v0, v1, 0x7fff
                                        ; implicit-def: $vgpr0
; %bb.942:                              ;   in Loop: Header=BB466_8 Depth=1
	s_and_not1_saveexec_b32 s2, s1
; %bb.943:                              ;   in Loop: Header=BB466_8 Depth=1
	v_and_b32_e32 v1, 0xffff, v0
	v_or_b32_e32 v2, 0x10000, v0
	s_delay_alu instid0(VALU_DEP_2) | instskip(NEXT) | instid1(VALU_DEP_1)
	v_cmp_eq_u32_e64 s1, 0, v1
	v_cndmask_b32_e64 v106, v2, v0, s1
; %bb.944:                              ;   in Loop: Header=BB466_8 Depth=1
	s_or_b32 exec_lo, exec_lo, s2
	v_lshrrev_b32_e32 v0, 16, v31
	s_mov_b32 s2, exec_lo
	s_delay_alu instid0(VALU_DEP_1) | instskip(NEXT) | instid1(VALU_DEP_1)
	v_dual_mov_b32 v1, 0 :: v_dual_and_b32 v2, 0xff, v0
	v_cmpx_ne_u16_e32 0, v2
	s_cbranch_execz .LBB466_952
; %bb.945:                              ;   in Loop: Header=BB466_8 Depth=1
	v_bfrev_b32_e32 v1, 1
	s_mov_b32 s18, exec_lo
	v_cmpx_ne_u16_e32 0x80, v2
	s_cbranch_execz .LBB466_951
; %bb.946:                              ;   in Loop: Header=BB466_8 Depth=1
	v_bfe_u32 v2, v31, 16, 7
	v_mov_b32_e32 v1, 0x7f800001
	s_mov_b32 s19, exec_lo
	s_delay_alu instid0(VALU_DEP_2)
	v_cmpx_ne_u32_e32 0x7f, v2
	s_cbranch_execz .LBB466_950
; %bb.947:                              ;   in Loop: Header=BB466_8 Depth=1
	v_and_b32_e32 v18, 7, v0
	v_lshrrev_b32_e32 v1, 3, v2
	v_mov_b32_e32 v33, v19
	s_mov_b32 s20, exec_lo
	s_delay_alu instid0(VALU_DEP_3)
	v_mov_b32_e32 v32, v18
	v_cmpx_gt_u32_e32 8, v2
; %bb.948:                              ;   in Loop: Header=BB466_8 Depth=1
	v_clz_i32_u32_e32 v1, v18
	s_delay_alu instid0(VALU_DEP_1) | instskip(NEXT) | instid1(VALU_DEP_1)
	v_min_u32_e32 v1, 32, v1
	v_subrev_nc_u32_e32 v2, 28, v1
	v_sub_nc_u32_e32 v1, 29, v1
	s_delay_alu instid0(VALU_DEP_2) | instskip(NEXT) | instid1(VALU_DEP_1)
	v_lshlrev_b64 v[2:3], v2, v[18:19]
	v_and_b32_e32 v32, 7, v2
; %bb.949:                              ;   in Loop: Header=BB466_8 Depth=1
	s_or_b32 exec_lo, exec_lo, s20
	v_lshlrev_b32_e32 v0, 24, v0
	s_delay_alu instid0(VALU_DEP_2) | instskip(SKIP_1) | instid1(VALU_DEP_3)
	v_lshlrev_b32_e32 v2, 20, v32
	v_lshl_add_u32 v1, v1, 23, 0x3c000000
	v_and_b32_e32 v0, 0x80000000, v0
	s_delay_alu instid0(VALU_DEP_1)
	v_or3_b32 v1, v2, v0, v1
.LBB466_950:                            ;   in Loop: Header=BB466_8 Depth=1
	s_or_b32 exec_lo, exec_lo, s19
.LBB466_951:                            ;   in Loop: Header=BB466_8 Depth=1
	s_delay_alu instid0(SALU_CYCLE_1)
	s_or_b32 exec_lo, exec_lo, s18
.LBB466_952:                            ;   in Loop: Header=BB466_8 Depth=1
	s_delay_alu instid0(SALU_CYCLE_1) | instskip(NEXT) | instid1(VALU_DEP_1)
	s_or_b32 exec_lo, exec_lo, s2
	v_mul_f32_e32 v0, v102, v1
                                        ; implicit-def: $vgpr107
	s_delay_alu instid0(VALU_DEP_1) | instskip(NEXT) | instid1(VALU_DEP_1)
	v_and_b32_e32 v1, 0x7f800000, v0
	v_cmp_ne_u32_e64 s1, 0x7f800000, v1
	s_delay_alu instid0(VALU_DEP_1) | instskip(NEXT) | instid1(SALU_CYCLE_1)
	s_and_saveexec_b32 s2, s1
	s_xor_b32 s1, exec_lo, s2
; %bb.953:                              ;   in Loop: Header=BB466_8 Depth=1
	v_bfe_u32 v1, v0, 16, 1
	s_delay_alu instid0(VALU_DEP_1)
	v_add3_u32 v107, v0, v1, 0x7fff
                                        ; implicit-def: $vgpr0
; %bb.954:                              ;   in Loop: Header=BB466_8 Depth=1
	s_and_not1_saveexec_b32 s2, s1
; %bb.955:                              ;   in Loop: Header=BB466_8 Depth=1
	v_and_b32_e32 v1, 0xffff, v0
	v_or_b32_e32 v2, 0x10000, v0
	s_delay_alu instid0(VALU_DEP_2) | instskip(NEXT) | instid1(VALU_DEP_1)
	v_cmp_eq_u32_e64 s1, 0, v1
	v_cndmask_b32_e64 v107, v2, v0, s1
; %bb.956:                              ;   in Loop: Header=BB466_8 Depth=1
	s_or_b32 exec_lo, exec_lo, s2
	v_mov_b32_e32 v1, 0
	s_mov_b32 s2, exec_lo
	v_cmpx_lt_u64_e64 s[8:9], v[30:31]
	s_cbranch_execz .LBB466_964
; %bb.957:                              ;   in Loop: Header=BB466_8 Depth=1
	v_lshrrev_b32_e32 v0, 24, v31
	v_bfrev_b32_e32 v1, 1
	s_mov_b32 s18, exec_lo
	s_delay_alu instid0(VALU_DEP_2)
	v_cmpx_ne_u32_e32 0x80, v0
	s_cbranch_execz .LBB466_963
; %bb.958:                              ;   in Loop: Header=BB466_8 Depth=1
	v_bfe_u32 v2, v31, 24, 7
	v_mov_b32_e32 v1, 0x7f800001
	s_mov_b32 s19, exec_lo
	s_delay_alu instid0(VALU_DEP_2)
	v_cmpx_ne_u32_e32 0x7f, v2
	s_cbranch_execz .LBB466_962
; %bb.959:                              ;   in Loop: Header=BB466_8 Depth=1
	v_and_b32_e32 v18, 7, v0
	v_lshrrev_b32_e32 v1, 3, v2
	v_mov_b32_e32 v31, v19
	s_mov_b32 s20, exec_lo
	s_delay_alu instid0(VALU_DEP_3)
	v_mov_b32_e32 v30, v18
	v_cmpx_gt_u32_e32 8, v2
; %bb.960:                              ;   in Loop: Header=BB466_8 Depth=1
	v_clz_i32_u32_e32 v1, v18
	s_delay_alu instid0(VALU_DEP_1) | instskip(NEXT) | instid1(VALU_DEP_1)
	v_min_u32_e32 v1, 32, v1
	v_subrev_nc_u32_e32 v2, 28, v1
	v_sub_nc_u32_e32 v1, 29, v1
	s_delay_alu instid0(VALU_DEP_2) | instskip(NEXT) | instid1(VALU_DEP_1)
	v_lshlrev_b64 v[2:3], v2, v[18:19]
	v_and_b32_e32 v30, 7, v2
; %bb.961:                              ;   in Loop: Header=BB466_8 Depth=1
	s_or_b32 exec_lo, exec_lo, s20
	v_lshlrev_b32_e32 v0, 24, v0
	s_delay_alu instid0(VALU_DEP_2) | instskip(SKIP_1) | instid1(VALU_DEP_3)
	v_lshlrev_b32_e32 v2, 20, v30
	v_lshl_add_u32 v1, v1, 23, 0x3c000000
	v_and_b32_e32 v0, 0x80000000, v0
	s_delay_alu instid0(VALU_DEP_1)
	v_or3_b32 v1, v2, v0, v1
.LBB466_962:                            ;   in Loop: Header=BB466_8 Depth=1
	s_or_b32 exec_lo, exec_lo, s19
.LBB466_963:                            ;   in Loop: Header=BB466_8 Depth=1
	s_delay_alu instid0(SALU_CYCLE_1)
	s_or_b32 exec_lo, exec_lo, s18
.LBB466_964:                            ;   in Loop: Header=BB466_8 Depth=1
	s_delay_alu instid0(SALU_CYCLE_1) | instskip(NEXT) | instid1(VALU_DEP_1)
	s_or_b32 exec_lo, exec_lo, s2
	v_mul_f32_e32 v0, v102, v1
                                        ; implicit-def: $vgpr108
	s_delay_alu instid0(VALU_DEP_1) | instskip(NEXT) | instid1(VALU_DEP_1)
	v_and_b32_e32 v1, 0x7f800000, v0
	v_cmp_ne_u32_e64 s1, 0x7f800000, v1
	s_delay_alu instid0(VALU_DEP_1) | instskip(NEXT) | instid1(SALU_CYCLE_1)
	s_and_saveexec_b32 s2, s1
	s_xor_b32 s1, exec_lo, s2
; %bb.965:                              ;   in Loop: Header=BB466_8 Depth=1
	v_bfe_u32 v1, v0, 16, 1
	s_delay_alu instid0(VALU_DEP_1)
	v_add3_u32 v108, v0, v1, 0x7fff
                                        ; implicit-def: $vgpr0
; %bb.966:                              ;   in Loop: Header=BB466_8 Depth=1
	s_and_not1_saveexec_b32 s2, s1
; %bb.967:                              ;   in Loop: Header=BB466_8 Depth=1
	v_and_b32_e32 v1, 0xffff, v0
	v_or_b32_e32 v2, 0x10000, v0
	s_delay_alu instid0(VALU_DEP_2) | instskip(NEXT) | instid1(VALU_DEP_1)
	v_cmp_eq_u32_e64 s1, 0, v1
	v_cndmask_b32_e64 v108, v2, v0, s1
; %bb.968:                              ;   in Loop: Header=BB466_8 Depth=1
	s_or_b32 exec_lo, exec_lo, s2
	flat_load_b64 v[30:31], v[28:29] offset:2560
	s_mov_b32 s2, exec_lo
	s_waitcnt vmcnt(0) lgkmcnt(0)
	v_dual_mov_b32 v0, 0 :: v_dual_and_b32 v1, 0xff, v30
	s_delay_alu instid0(VALU_DEP_1)
	v_cmpx_ne_u16_e32 0, v1
	s_cbranch_execz .LBB466_976
; %bb.969:                              ;   in Loop: Header=BB466_8 Depth=1
	v_bfrev_b32_e32 v0, 1
	s_mov_b32 s18, exec_lo
	v_cmpx_ne_u16_e32 0x80, v1
	s_cbranch_execz .LBB466_975
; %bb.970:                              ;   in Loop: Header=BB466_8 Depth=1
	v_and_b32_e32 v1, 0x7f, v30
	v_mov_b32_e32 v0, 0x7f800001
	s_mov_b32 s19, exec_lo
	s_delay_alu instid0(VALU_DEP_2)
	v_cmpx_ne_u32_e32 0x7f, v1
	s_cbranch_execz .LBB466_974
; %bb.971:                              ;   in Loop: Header=BB466_8 Depth=1
	v_lshrrev_b32_e32 v0, 3, v1
	v_dual_mov_b32 v33, v31 :: v_dual_mov_b32 v32, v30
	s_mov_b32 s20, exec_lo
	v_cmpx_gt_u32_e32 8, v1
; %bb.972:                              ;   in Loop: Header=BB466_8 Depth=1
	v_and_b32_e32 v0, 7, v30
	s_delay_alu instid0(VALU_DEP_1) | instskip(NEXT) | instid1(VALU_DEP_1)
	v_clz_i32_u32_e32 v0, v0
	v_min_u32_e32 v0, 32, v0
	s_delay_alu instid0(VALU_DEP_1) | instskip(SKIP_1) | instid1(VALU_DEP_2)
	v_subrev_nc_u32_e32 v1, 28, v0
	v_sub_nc_u32_e32 v0, 29, v0
	v_lshlrev_b64 v[32:33], v1, v[30:31]
; %bb.973:                              ;   in Loop: Header=BB466_8 Depth=1
	s_or_b32 exec_lo, exec_lo, s20
	s_delay_alu instid0(VALU_DEP_1) | instskip(SKIP_2) | instid1(VALU_DEP_3)
	v_lshlrev_b32_e32 v1, 20, v32
	v_lshlrev_b32_e32 v2, 24, v30
	v_lshl_add_u32 v0, v0, 23, 0x3c000000
	v_and_b32_e32 v1, 0x700000, v1
	s_delay_alu instid0(VALU_DEP_3) | instskip(NEXT) | instid1(VALU_DEP_1)
	v_and_b32_e32 v2, 0x80000000, v2
	v_or3_b32 v0, v1, v2, v0
.LBB466_974:                            ;   in Loop: Header=BB466_8 Depth=1
	s_or_b32 exec_lo, exec_lo, s19
.LBB466_975:                            ;   in Loop: Header=BB466_8 Depth=1
	s_delay_alu instid0(SALU_CYCLE_1)
	s_or_b32 exec_lo, exec_lo, s18
.LBB466_976:                            ;   in Loop: Header=BB466_8 Depth=1
	s_delay_alu instid0(SALU_CYCLE_1) | instskip(NEXT) | instid1(VALU_DEP_1)
	s_or_b32 exec_lo, exec_lo, s2
	v_mul_f32_e32 v0, v102, v0
                                        ; implicit-def: $vgpr109
	s_delay_alu instid0(VALU_DEP_1) | instskip(NEXT) | instid1(VALU_DEP_1)
	v_and_b32_e32 v1, 0x7f800000, v0
	v_cmp_ne_u32_e64 s1, 0x7f800000, v1
	s_delay_alu instid0(VALU_DEP_1) | instskip(NEXT) | instid1(SALU_CYCLE_1)
	s_and_saveexec_b32 s2, s1
	s_xor_b32 s1, exec_lo, s2
; %bb.977:                              ;   in Loop: Header=BB466_8 Depth=1
	v_bfe_u32 v1, v0, 16, 1
	s_delay_alu instid0(VALU_DEP_1)
	v_add3_u32 v109, v0, v1, 0x7fff
                                        ; implicit-def: $vgpr0
; %bb.978:                              ;   in Loop: Header=BB466_8 Depth=1
	s_and_not1_saveexec_b32 s2, s1
; %bb.979:                              ;   in Loop: Header=BB466_8 Depth=1
	v_and_b32_e32 v1, 0xffff, v0
	v_or_b32_e32 v2, 0x10000, v0
	s_delay_alu instid0(VALU_DEP_2) | instskip(NEXT) | instid1(VALU_DEP_1)
	v_cmp_eq_u32_e64 s1, 0, v1
	v_cndmask_b32_e64 v109, v2, v0, s1
; %bb.980:                              ;   in Loop: Header=BB466_8 Depth=1
	s_or_b32 exec_lo, exec_lo, s2
	v_lshrrev_b16 v1, 8, v30
	v_mov_b32_e32 v0, 0
	s_mov_b32 s2, exec_lo
	s_delay_alu instid0(VALU_DEP_2)
	v_cmpx_ne_u16_e32 0, v1
	s_cbranch_execz .LBB466_988
; %bb.981:                              ;   in Loop: Header=BB466_8 Depth=1
	v_bfrev_b32_e32 v0, 1
	s_mov_b32 s18, exec_lo
	v_cmpx_ne_u16_e32 0x80, v1
	s_cbranch_execz .LBB466_987
; %bb.982:                              ;   in Loop: Header=BB466_8 Depth=1
	v_and_b32_e32 v2, 0xffff, v1
	v_mov_b32_e32 v0, 0x7f800001
	s_mov_b32 s19, exec_lo
	s_delay_alu instid0(VALU_DEP_2) | instskip(NEXT) | instid1(VALU_DEP_1)
	v_and_b32_e32 v1, 0x7f, v2
	v_cmpx_ne_u32_e32 0x7f, v1
	s_cbranch_execz .LBB466_986
; %bb.983:                              ;   in Loop: Header=BB466_8 Depth=1
	v_and_b32_e32 v18, 7, v2
	v_lshrrev_b32_e32 v0, 3, v1
	v_mov_b32_e32 v33, v19
	s_mov_b32 s20, exec_lo
	s_delay_alu instid0(VALU_DEP_3)
	v_mov_b32_e32 v32, v18
	v_cmpx_gt_u32_e32 8, v1
; %bb.984:                              ;   in Loop: Header=BB466_8 Depth=1
	v_clz_i32_u32_e32 v0, v18
	s_delay_alu instid0(VALU_DEP_1) | instskip(NEXT) | instid1(VALU_DEP_1)
	v_min_u32_e32 v0, 32, v0
	v_subrev_nc_u32_e32 v1, 28, v0
	v_sub_nc_u32_e32 v0, 29, v0
	s_delay_alu instid0(VALU_DEP_2) | instskip(NEXT) | instid1(VALU_DEP_1)
	v_lshlrev_b64 v[1:2], v1, v[18:19]
	v_and_b32_e32 v32, 7, v1
; %bb.985:                              ;   in Loop: Header=BB466_8 Depth=1
	s_or_b32 exec_lo, exec_lo, s20
	v_lshlrev_b32_e32 v1, 16, v30
	s_delay_alu instid0(VALU_DEP_2) | instskip(SKIP_1) | instid1(VALU_DEP_3)
	v_lshlrev_b32_e32 v2, 20, v32
	v_lshl_add_u32 v0, v0, 23, 0x3c000000
	v_and_b32_e32 v1, 0x80000000, v1
	s_delay_alu instid0(VALU_DEP_1)
	v_or3_b32 v0, v2, v1, v0
.LBB466_986:                            ;   in Loop: Header=BB466_8 Depth=1
	s_or_b32 exec_lo, exec_lo, s19
.LBB466_987:                            ;   in Loop: Header=BB466_8 Depth=1
	s_delay_alu instid0(SALU_CYCLE_1)
	s_or_b32 exec_lo, exec_lo, s18
.LBB466_988:                            ;   in Loop: Header=BB466_8 Depth=1
	s_delay_alu instid0(SALU_CYCLE_1) | instskip(NEXT) | instid1(VALU_DEP_1)
	s_or_b32 exec_lo, exec_lo, s2
	v_mul_f32_e32 v0, v102, v0
                                        ; implicit-def: $vgpr110
	s_delay_alu instid0(VALU_DEP_1) | instskip(NEXT) | instid1(VALU_DEP_1)
	v_and_b32_e32 v1, 0x7f800000, v0
	v_cmp_ne_u32_e64 s1, 0x7f800000, v1
	s_delay_alu instid0(VALU_DEP_1) | instskip(NEXT) | instid1(SALU_CYCLE_1)
	s_and_saveexec_b32 s2, s1
	s_xor_b32 s1, exec_lo, s2
; %bb.989:                              ;   in Loop: Header=BB466_8 Depth=1
	v_bfe_u32 v1, v0, 16, 1
	s_delay_alu instid0(VALU_DEP_1)
	v_add3_u32 v110, v0, v1, 0x7fff
                                        ; implicit-def: $vgpr0
; %bb.990:                              ;   in Loop: Header=BB466_8 Depth=1
	s_and_not1_saveexec_b32 s2, s1
; %bb.991:                              ;   in Loop: Header=BB466_8 Depth=1
	v_and_b32_e32 v1, 0xffff, v0
	v_or_b32_e32 v2, 0x10000, v0
	s_delay_alu instid0(VALU_DEP_2) | instskip(NEXT) | instid1(VALU_DEP_1)
	v_cmp_eq_u32_e64 s1, 0, v1
	v_cndmask_b32_e64 v110, v2, v0, s1
; %bb.992:                              ;   in Loop: Header=BB466_8 Depth=1
	s_or_b32 exec_lo, exec_lo, s2
	v_lshrrev_b32_e32 v0, 16, v30
	s_mov_b32 s2, exec_lo
	s_delay_alu instid0(VALU_DEP_1) | instskip(NEXT) | instid1(VALU_DEP_1)
	v_dual_mov_b32 v1, 0 :: v_dual_and_b32 v2, 0xff, v0
	v_cmpx_ne_u16_e32 0, v2
	s_cbranch_execz .LBB466_1000
; %bb.993:                              ;   in Loop: Header=BB466_8 Depth=1
	v_bfrev_b32_e32 v1, 1
	s_mov_b32 s18, exec_lo
	v_cmpx_ne_u16_e32 0x80, v2
	s_cbranch_execz .LBB466_999
; %bb.994:                              ;   in Loop: Header=BB466_8 Depth=1
	v_bfe_u32 v2, v30, 16, 7
	v_mov_b32_e32 v1, 0x7f800001
	s_mov_b32 s19, exec_lo
	s_delay_alu instid0(VALU_DEP_2)
	v_cmpx_ne_u32_e32 0x7f, v2
	s_cbranch_execz .LBB466_998
; %bb.995:                              ;   in Loop: Header=BB466_8 Depth=1
	v_and_b32_e32 v18, 7, v0
	v_lshrrev_b32_e32 v1, 3, v2
	v_mov_b32_e32 v33, v19
	s_mov_b32 s20, exec_lo
	s_delay_alu instid0(VALU_DEP_3)
	v_mov_b32_e32 v32, v18
	v_cmpx_gt_u32_e32 8, v2
; %bb.996:                              ;   in Loop: Header=BB466_8 Depth=1
	v_clz_i32_u32_e32 v1, v18
	s_delay_alu instid0(VALU_DEP_1) | instskip(NEXT) | instid1(VALU_DEP_1)
	v_min_u32_e32 v1, 32, v1
	v_subrev_nc_u32_e32 v2, 28, v1
	v_sub_nc_u32_e32 v1, 29, v1
	s_delay_alu instid0(VALU_DEP_2) | instskip(NEXT) | instid1(VALU_DEP_1)
	v_lshlrev_b64 v[2:3], v2, v[18:19]
	v_and_b32_e32 v32, 7, v2
; %bb.997:                              ;   in Loop: Header=BB466_8 Depth=1
	s_or_b32 exec_lo, exec_lo, s20
	v_lshlrev_b32_e32 v0, 24, v0
	s_delay_alu instid0(VALU_DEP_2) | instskip(SKIP_1) | instid1(VALU_DEP_3)
	v_lshlrev_b32_e32 v2, 20, v32
	v_lshl_add_u32 v1, v1, 23, 0x3c000000
	v_and_b32_e32 v0, 0x80000000, v0
	s_delay_alu instid0(VALU_DEP_1)
	v_or3_b32 v1, v2, v0, v1
.LBB466_998:                            ;   in Loop: Header=BB466_8 Depth=1
	s_or_b32 exec_lo, exec_lo, s19
.LBB466_999:                            ;   in Loop: Header=BB466_8 Depth=1
	s_delay_alu instid0(SALU_CYCLE_1)
	s_or_b32 exec_lo, exec_lo, s18
.LBB466_1000:                           ;   in Loop: Header=BB466_8 Depth=1
	s_delay_alu instid0(SALU_CYCLE_1) | instskip(NEXT) | instid1(VALU_DEP_1)
	s_or_b32 exec_lo, exec_lo, s2
	v_mul_f32_e32 v0, v102, v1
                                        ; implicit-def: $vgpr111
	s_delay_alu instid0(VALU_DEP_1) | instskip(NEXT) | instid1(VALU_DEP_1)
	v_and_b32_e32 v1, 0x7f800000, v0
	v_cmp_ne_u32_e64 s1, 0x7f800000, v1
	s_delay_alu instid0(VALU_DEP_1) | instskip(NEXT) | instid1(SALU_CYCLE_1)
	s_and_saveexec_b32 s2, s1
	s_xor_b32 s1, exec_lo, s2
; %bb.1001:                             ;   in Loop: Header=BB466_8 Depth=1
	v_bfe_u32 v1, v0, 16, 1
	s_delay_alu instid0(VALU_DEP_1)
	v_add3_u32 v111, v0, v1, 0x7fff
                                        ; implicit-def: $vgpr0
; %bb.1002:                             ;   in Loop: Header=BB466_8 Depth=1
	s_and_not1_saveexec_b32 s2, s1
; %bb.1003:                             ;   in Loop: Header=BB466_8 Depth=1
	v_and_b32_e32 v1, 0xffff, v0
	v_or_b32_e32 v2, 0x10000, v0
	s_delay_alu instid0(VALU_DEP_2) | instskip(NEXT) | instid1(VALU_DEP_1)
	v_cmp_eq_u32_e64 s1, 0, v1
	v_cndmask_b32_e64 v111, v2, v0, s1
; %bb.1004:                             ;   in Loop: Header=BB466_8 Depth=1
	s_or_b32 exec_lo, exec_lo, s2
	v_mov_b32_e32 v1, 0
	s_mov_b32 s2, exec_lo
	v_cmpx_lt_u32_e32 0xffffff, v30
	s_cbranch_execz .LBB466_1012
; %bb.1005:                             ;   in Loop: Header=BB466_8 Depth=1
	v_lshrrev_b32_e32 v0, 24, v30
	v_bfrev_b32_e32 v1, 1
	s_mov_b32 s18, exec_lo
	s_delay_alu instid0(VALU_DEP_2)
	v_cmpx_ne_u32_e32 0x80, v0
	s_cbranch_execz .LBB466_1011
; %bb.1006:                             ;   in Loop: Header=BB466_8 Depth=1
	v_bfe_u32 v2, v30, 24, 7
	v_mov_b32_e32 v1, 0x7f800001
	s_mov_b32 s19, exec_lo
	s_delay_alu instid0(VALU_DEP_2)
	v_cmpx_ne_u32_e32 0x7f, v2
	s_cbranch_execz .LBB466_1010
; %bb.1007:                             ;   in Loop: Header=BB466_8 Depth=1
	v_and_b32_e32 v18, 7, v0
	v_lshrrev_b32_e32 v1, 3, v2
	v_mov_b32_e32 v33, v19
	s_mov_b32 s20, exec_lo
	s_delay_alu instid0(VALU_DEP_3)
	v_mov_b32_e32 v32, v18
	v_cmpx_gt_u32_e32 8, v2
; %bb.1008:                             ;   in Loop: Header=BB466_8 Depth=1
	v_clz_i32_u32_e32 v1, v18
	s_delay_alu instid0(VALU_DEP_1) | instskip(NEXT) | instid1(VALU_DEP_1)
	v_min_u32_e32 v1, 32, v1
	v_subrev_nc_u32_e32 v2, 28, v1
	v_sub_nc_u32_e32 v1, 29, v1
	s_delay_alu instid0(VALU_DEP_2) | instskip(NEXT) | instid1(VALU_DEP_1)
	v_lshlrev_b64 v[2:3], v2, v[18:19]
	v_and_b32_e32 v32, 7, v2
; %bb.1009:                             ;   in Loop: Header=BB466_8 Depth=1
	s_or_b32 exec_lo, exec_lo, s20
	v_lshlrev_b32_e32 v0, 24, v0
	s_delay_alu instid0(VALU_DEP_2) | instskip(SKIP_1) | instid1(VALU_DEP_3)
	v_lshlrev_b32_e32 v2, 20, v32
	v_lshl_add_u32 v1, v1, 23, 0x3c000000
	v_and_b32_e32 v0, 0x80000000, v0
	s_delay_alu instid0(VALU_DEP_1)
	v_or3_b32 v1, v2, v0, v1
.LBB466_1010:                           ;   in Loop: Header=BB466_8 Depth=1
	s_or_b32 exec_lo, exec_lo, s19
.LBB466_1011:                           ;   in Loop: Header=BB466_8 Depth=1
	s_delay_alu instid0(SALU_CYCLE_1)
	s_or_b32 exec_lo, exec_lo, s18
.LBB466_1012:                           ;   in Loop: Header=BB466_8 Depth=1
	s_delay_alu instid0(SALU_CYCLE_1) | instskip(NEXT) | instid1(VALU_DEP_1)
	s_or_b32 exec_lo, exec_lo, s2
	v_mul_f32_e32 v0, v102, v1
                                        ; implicit-def: $vgpr120
	s_delay_alu instid0(VALU_DEP_1) | instskip(NEXT) | instid1(VALU_DEP_1)
	v_and_b32_e32 v1, 0x7f800000, v0
	v_cmp_ne_u32_e64 s1, 0x7f800000, v1
	s_delay_alu instid0(VALU_DEP_1) | instskip(NEXT) | instid1(SALU_CYCLE_1)
	s_and_saveexec_b32 s2, s1
	s_xor_b32 s1, exec_lo, s2
; %bb.1013:                             ;   in Loop: Header=BB466_8 Depth=1
	v_bfe_u32 v1, v0, 16, 1
	s_delay_alu instid0(VALU_DEP_1)
	v_add3_u32 v120, v0, v1, 0x7fff
                                        ; implicit-def: $vgpr0
; %bb.1014:                             ;   in Loop: Header=BB466_8 Depth=1
	s_and_not1_saveexec_b32 s2, s1
; %bb.1015:                             ;   in Loop: Header=BB466_8 Depth=1
	v_and_b32_e32 v1, 0xffff, v0
	v_or_b32_e32 v2, 0x10000, v0
	s_delay_alu instid0(VALU_DEP_2) | instskip(NEXT) | instid1(VALU_DEP_1)
	v_cmp_eq_u32_e64 s1, 0, v1
	v_cndmask_b32_e64 v120, v2, v0, s1
; %bb.1016:                             ;   in Loop: Header=BB466_8 Depth=1
	s_or_b32 exec_lo, exec_lo, s2
	v_dual_mov_b32 v18, v31 :: v_dual_and_b32 v1, 0xff, v31
	v_mov_b32_e32 v0, 0
	s_mov_b32 s2, exec_lo
	s_delay_alu instid0(VALU_DEP_2)
	v_cmpx_ne_u16_e32 0, v1
	s_cbranch_execz .LBB466_1024
; %bb.1017:                             ;   in Loop: Header=BB466_8 Depth=1
	v_bfrev_b32_e32 v0, 1
	s_mov_b32 s18, exec_lo
	v_cmpx_ne_u16_e32 0x80, v1
	s_cbranch_execz .LBB466_1023
; %bb.1018:                             ;   in Loop: Header=BB466_8 Depth=1
	v_and_b32_e32 v1, 0x7f, v31
	v_mov_b32_e32 v0, 0x7f800001
	s_mov_b32 s19, exec_lo
	s_delay_alu instid0(VALU_DEP_2)
	v_cmpx_ne_u32_e32 0x7f, v1
	s_cbranch_execz .LBB466_1022
; %bb.1019:                             ;   in Loop: Header=BB466_8 Depth=1
	v_lshrrev_b32_e32 v0, 3, v1
	v_dual_mov_b32 v33, v19 :: v_dual_mov_b32 v32, v18
	s_mov_b32 s20, exec_lo
	v_cmpx_gt_u32_e32 8, v1
; %bb.1020:                             ;   in Loop: Header=BB466_8 Depth=1
	v_and_b32_e32 v0, 7, v31
	s_delay_alu instid0(VALU_DEP_1) | instskip(NEXT) | instid1(VALU_DEP_1)
	v_clz_i32_u32_e32 v0, v0
	v_min_u32_e32 v0, 32, v0
	s_delay_alu instid0(VALU_DEP_1) | instskip(SKIP_1) | instid1(VALU_DEP_2)
	v_subrev_nc_u32_e32 v1, 28, v0
	v_sub_nc_u32_e32 v0, 29, v0
	v_lshlrev_b64 v[32:33], v1, v[18:19]
; %bb.1021:                             ;   in Loop: Header=BB466_8 Depth=1
	s_or_b32 exec_lo, exec_lo, s20
	s_delay_alu instid0(VALU_DEP_1) | instskip(SKIP_2) | instid1(VALU_DEP_3)
	v_lshlrev_b32_e32 v1, 20, v32
	v_lshlrev_b32_e32 v2, 24, v18
	v_lshl_add_u32 v0, v0, 23, 0x3c000000
	v_and_b32_e32 v1, 0x700000, v1
	s_delay_alu instid0(VALU_DEP_3) | instskip(NEXT) | instid1(VALU_DEP_1)
	v_and_b32_e32 v2, 0x80000000, v2
	v_or3_b32 v0, v1, v2, v0
.LBB466_1022:                           ;   in Loop: Header=BB466_8 Depth=1
	s_or_b32 exec_lo, exec_lo, s19
.LBB466_1023:                           ;   in Loop: Header=BB466_8 Depth=1
	s_delay_alu instid0(SALU_CYCLE_1)
	s_or_b32 exec_lo, exec_lo, s18
.LBB466_1024:                           ;   in Loop: Header=BB466_8 Depth=1
	s_delay_alu instid0(SALU_CYCLE_1) | instskip(NEXT) | instid1(VALU_DEP_1)
	s_or_b32 exec_lo, exec_lo, s2
	v_mul_f32_e32 v0, v102, v0
                                        ; implicit-def: $vgpr121
	s_delay_alu instid0(VALU_DEP_1) | instskip(NEXT) | instid1(VALU_DEP_1)
	v_and_b32_e32 v1, 0x7f800000, v0
	v_cmp_ne_u32_e64 s1, 0x7f800000, v1
	s_delay_alu instid0(VALU_DEP_1) | instskip(NEXT) | instid1(SALU_CYCLE_1)
	s_and_saveexec_b32 s2, s1
	s_xor_b32 s1, exec_lo, s2
; %bb.1025:                             ;   in Loop: Header=BB466_8 Depth=1
	v_bfe_u32 v1, v0, 16, 1
	s_delay_alu instid0(VALU_DEP_1)
	v_add3_u32 v121, v0, v1, 0x7fff
                                        ; implicit-def: $vgpr0
; %bb.1026:                             ;   in Loop: Header=BB466_8 Depth=1
	s_and_not1_saveexec_b32 s2, s1
; %bb.1027:                             ;   in Loop: Header=BB466_8 Depth=1
	v_and_b32_e32 v1, 0xffff, v0
	v_or_b32_e32 v2, 0x10000, v0
	s_delay_alu instid0(VALU_DEP_2) | instskip(NEXT) | instid1(VALU_DEP_1)
	v_cmp_eq_u32_e64 s1, 0, v1
	v_cndmask_b32_e64 v121, v2, v0, s1
; %bb.1028:                             ;   in Loop: Header=BB466_8 Depth=1
	s_or_b32 exec_lo, exec_lo, s2
	v_lshrrev_b16 v1, 8, v18
	v_mov_b32_e32 v0, 0
	s_mov_b32 s2, exec_lo
	s_delay_alu instid0(VALU_DEP_2)
	v_cmpx_ne_u16_e32 0, v1
	s_cbranch_execz .LBB466_1036
; %bb.1029:                             ;   in Loop: Header=BB466_8 Depth=1
	v_bfrev_b32_e32 v0, 1
	s_mov_b32 s18, exec_lo
	v_cmpx_ne_u16_e32 0x80, v1
	s_cbranch_execz .LBB466_1035
; %bb.1030:                             ;   in Loop: Header=BB466_8 Depth=1
	v_and_b32_e32 v2, 0xffff, v1
	v_mov_b32_e32 v0, 0x7f800001
	s_mov_b32 s19, exec_lo
	s_delay_alu instid0(VALU_DEP_2) | instskip(NEXT) | instid1(VALU_DEP_1)
	v_and_b32_e32 v1, 0x7f, v2
	v_cmpx_ne_u32_e32 0x7f, v1
	s_cbranch_execz .LBB466_1034
; %bb.1031:                             ;   in Loop: Header=BB466_8 Depth=1
	v_dual_mov_b32 v33, v19 :: v_dual_and_b32 v32, 7, v2
	v_lshrrev_b32_e32 v0, 3, v1
	s_mov_b32 s20, exec_lo
	v_cmpx_gt_u32_e32 8, v1
; %bb.1032:                             ;   in Loop: Header=BB466_8 Depth=1
	s_delay_alu instid0(VALU_DEP_3) | instskip(NEXT) | instid1(VALU_DEP_1)
	v_clz_i32_u32_e32 v0, v32
	v_min_u32_e32 v0, 32, v0
	s_delay_alu instid0(VALU_DEP_1) | instskip(SKIP_1) | instid1(VALU_DEP_2)
	v_subrev_nc_u32_e32 v1, 28, v0
	v_sub_nc_u32_e32 v0, 29, v0
	v_lshlrev_b64 v[1:2], v1, v[32:33]
	s_delay_alu instid0(VALU_DEP_1)
	v_and_b32_e32 v32, 7, v1
; %bb.1033:                             ;   in Loop: Header=BB466_8 Depth=1
	s_or_b32 exec_lo, exec_lo, s20
	v_lshlrev_b32_e32 v1, 16, v18
	s_delay_alu instid0(VALU_DEP_2) | instskip(SKIP_1) | instid1(VALU_DEP_3)
	v_lshlrev_b32_e32 v2, 20, v32
	v_lshl_add_u32 v0, v0, 23, 0x3c000000
	v_and_b32_e32 v1, 0x80000000, v1
	s_delay_alu instid0(VALU_DEP_1)
	v_or3_b32 v0, v2, v1, v0
.LBB466_1034:                           ;   in Loop: Header=BB466_8 Depth=1
	s_or_b32 exec_lo, exec_lo, s19
.LBB466_1035:                           ;   in Loop: Header=BB466_8 Depth=1
	s_delay_alu instid0(SALU_CYCLE_1)
	s_or_b32 exec_lo, exec_lo, s18
.LBB466_1036:                           ;   in Loop: Header=BB466_8 Depth=1
	s_delay_alu instid0(SALU_CYCLE_1) | instskip(NEXT) | instid1(VALU_DEP_1)
	s_or_b32 exec_lo, exec_lo, s2
	v_mul_f32_e32 v0, v102, v0
                                        ; implicit-def: $vgpr122
	s_delay_alu instid0(VALU_DEP_1) | instskip(NEXT) | instid1(VALU_DEP_1)
	v_and_b32_e32 v1, 0x7f800000, v0
	v_cmp_ne_u32_e64 s1, 0x7f800000, v1
	s_delay_alu instid0(VALU_DEP_1) | instskip(NEXT) | instid1(SALU_CYCLE_1)
	s_and_saveexec_b32 s2, s1
	s_xor_b32 s1, exec_lo, s2
; %bb.1037:                             ;   in Loop: Header=BB466_8 Depth=1
	v_bfe_u32 v1, v0, 16, 1
	s_delay_alu instid0(VALU_DEP_1)
	v_add3_u32 v122, v0, v1, 0x7fff
                                        ; implicit-def: $vgpr0
; %bb.1038:                             ;   in Loop: Header=BB466_8 Depth=1
	s_and_not1_saveexec_b32 s2, s1
; %bb.1039:                             ;   in Loop: Header=BB466_8 Depth=1
	v_and_b32_e32 v1, 0xffff, v0
	v_or_b32_e32 v2, 0x10000, v0
	s_delay_alu instid0(VALU_DEP_2) | instskip(NEXT) | instid1(VALU_DEP_1)
	v_cmp_eq_u32_e64 s1, 0, v1
	v_cndmask_b32_e64 v122, v2, v0, s1
; %bb.1040:                             ;   in Loop: Header=BB466_8 Depth=1
	s_or_b32 exec_lo, exec_lo, s2
	v_lshrrev_b32_e32 v0, 16, v31
	s_mov_b32 s2, exec_lo
	s_delay_alu instid0(VALU_DEP_1) | instskip(NEXT) | instid1(VALU_DEP_1)
	v_dual_mov_b32 v1, 0 :: v_dual_and_b32 v2, 0xff, v0
	v_cmpx_ne_u16_e32 0, v2
	s_cbranch_execz .LBB466_1048
; %bb.1041:                             ;   in Loop: Header=BB466_8 Depth=1
	v_bfrev_b32_e32 v1, 1
	s_mov_b32 s18, exec_lo
	v_cmpx_ne_u16_e32 0x80, v2
	s_cbranch_execz .LBB466_1047
; %bb.1042:                             ;   in Loop: Header=BB466_8 Depth=1
	v_bfe_u32 v2, v31, 16, 7
	v_mov_b32_e32 v1, 0x7f800001
	s_mov_b32 s19, exec_lo
	s_delay_alu instid0(VALU_DEP_2)
	v_cmpx_ne_u32_e32 0x7f, v2
	s_cbranch_execz .LBB466_1046
; %bb.1043:                             ;   in Loop: Header=BB466_8 Depth=1
	v_and_b32_e32 v18, 7, v0
	v_lshrrev_b32_e32 v1, 3, v2
	v_mov_b32_e32 v33, v19
	s_mov_b32 s20, exec_lo
	s_delay_alu instid0(VALU_DEP_3)
	v_mov_b32_e32 v32, v18
	v_cmpx_gt_u32_e32 8, v2
; %bb.1044:                             ;   in Loop: Header=BB466_8 Depth=1
	v_clz_i32_u32_e32 v1, v18
	s_delay_alu instid0(VALU_DEP_1) | instskip(NEXT) | instid1(VALU_DEP_1)
	v_min_u32_e32 v1, 32, v1
	v_subrev_nc_u32_e32 v2, 28, v1
	v_sub_nc_u32_e32 v1, 29, v1
	s_delay_alu instid0(VALU_DEP_2) | instskip(NEXT) | instid1(VALU_DEP_1)
	v_lshlrev_b64 v[2:3], v2, v[18:19]
	v_and_b32_e32 v32, 7, v2
; %bb.1045:                             ;   in Loop: Header=BB466_8 Depth=1
	s_or_b32 exec_lo, exec_lo, s20
	v_lshlrev_b32_e32 v0, 24, v0
	s_delay_alu instid0(VALU_DEP_2) | instskip(SKIP_1) | instid1(VALU_DEP_3)
	v_lshlrev_b32_e32 v2, 20, v32
	v_lshl_add_u32 v1, v1, 23, 0x3c000000
	v_and_b32_e32 v0, 0x80000000, v0
	s_delay_alu instid0(VALU_DEP_1)
	v_or3_b32 v1, v2, v0, v1
.LBB466_1046:                           ;   in Loop: Header=BB466_8 Depth=1
	s_or_b32 exec_lo, exec_lo, s19
.LBB466_1047:                           ;   in Loop: Header=BB466_8 Depth=1
	s_delay_alu instid0(SALU_CYCLE_1)
	s_or_b32 exec_lo, exec_lo, s18
.LBB466_1048:                           ;   in Loop: Header=BB466_8 Depth=1
	s_delay_alu instid0(SALU_CYCLE_1) | instskip(NEXT) | instid1(VALU_DEP_1)
	s_or_b32 exec_lo, exec_lo, s2
	v_mul_f32_e32 v0, v102, v1
                                        ; implicit-def: $vgpr123
	s_delay_alu instid0(VALU_DEP_1) | instskip(NEXT) | instid1(VALU_DEP_1)
	v_and_b32_e32 v1, 0x7f800000, v0
	v_cmp_ne_u32_e64 s1, 0x7f800000, v1
	s_delay_alu instid0(VALU_DEP_1) | instskip(NEXT) | instid1(SALU_CYCLE_1)
	s_and_saveexec_b32 s2, s1
	s_xor_b32 s1, exec_lo, s2
; %bb.1049:                             ;   in Loop: Header=BB466_8 Depth=1
	v_bfe_u32 v1, v0, 16, 1
	s_delay_alu instid0(VALU_DEP_1)
	v_add3_u32 v123, v0, v1, 0x7fff
                                        ; implicit-def: $vgpr0
; %bb.1050:                             ;   in Loop: Header=BB466_8 Depth=1
	s_and_not1_saveexec_b32 s2, s1
; %bb.1051:                             ;   in Loop: Header=BB466_8 Depth=1
	v_and_b32_e32 v1, 0xffff, v0
	v_or_b32_e32 v2, 0x10000, v0
	s_delay_alu instid0(VALU_DEP_2) | instskip(NEXT) | instid1(VALU_DEP_1)
	v_cmp_eq_u32_e64 s1, 0, v1
	v_cndmask_b32_e64 v123, v2, v0, s1
; %bb.1052:                             ;   in Loop: Header=BB466_8 Depth=1
	s_or_b32 exec_lo, exec_lo, s2
	v_mov_b32_e32 v1, 0
	s_mov_b32 s2, exec_lo
	v_cmpx_lt_u64_e64 s[8:9], v[30:31]
	s_cbranch_execz .LBB466_1060
; %bb.1053:                             ;   in Loop: Header=BB466_8 Depth=1
	v_lshrrev_b32_e32 v0, 24, v31
	v_bfrev_b32_e32 v1, 1
	s_mov_b32 s18, exec_lo
	s_delay_alu instid0(VALU_DEP_2)
	v_cmpx_ne_u32_e32 0x80, v0
	s_cbranch_execz .LBB466_1059
; %bb.1054:                             ;   in Loop: Header=BB466_8 Depth=1
	v_bfe_u32 v2, v31, 24, 7
	v_mov_b32_e32 v1, 0x7f800001
	s_mov_b32 s19, exec_lo
	s_delay_alu instid0(VALU_DEP_2)
	v_cmpx_ne_u32_e32 0x7f, v2
	s_cbranch_execz .LBB466_1058
; %bb.1055:                             ;   in Loop: Header=BB466_8 Depth=1
	v_and_b32_e32 v18, 7, v0
	v_lshrrev_b32_e32 v1, 3, v2
	v_mov_b32_e32 v31, v19
	s_mov_b32 s20, exec_lo
	s_delay_alu instid0(VALU_DEP_3)
	v_mov_b32_e32 v30, v18
	v_cmpx_gt_u32_e32 8, v2
; %bb.1056:                             ;   in Loop: Header=BB466_8 Depth=1
	v_clz_i32_u32_e32 v1, v18
	s_delay_alu instid0(VALU_DEP_1) | instskip(NEXT) | instid1(VALU_DEP_1)
	v_min_u32_e32 v1, 32, v1
	v_subrev_nc_u32_e32 v2, 28, v1
	v_sub_nc_u32_e32 v1, 29, v1
	s_delay_alu instid0(VALU_DEP_2) | instskip(NEXT) | instid1(VALU_DEP_1)
	v_lshlrev_b64 v[2:3], v2, v[18:19]
	v_and_b32_e32 v30, 7, v2
; %bb.1057:                             ;   in Loop: Header=BB466_8 Depth=1
	s_or_b32 exec_lo, exec_lo, s20
	v_lshlrev_b32_e32 v0, 24, v0
	s_delay_alu instid0(VALU_DEP_2) | instskip(SKIP_1) | instid1(VALU_DEP_3)
	v_lshlrev_b32_e32 v2, 20, v30
	v_lshl_add_u32 v1, v1, 23, 0x3c000000
	v_and_b32_e32 v0, 0x80000000, v0
	s_delay_alu instid0(VALU_DEP_1)
	v_or3_b32 v1, v2, v0, v1
.LBB466_1058:                           ;   in Loop: Header=BB466_8 Depth=1
	s_or_b32 exec_lo, exec_lo, s19
.LBB466_1059:                           ;   in Loop: Header=BB466_8 Depth=1
	s_delay_alu instid0(SALU_CYCLE_1)
	s_or_b32 exec_lo, exec_lo, s18
.LBB466_1060:                           ;   in Loop: Header=BB466_8 Depth=1
	s_delay_alu instid0(SALU_CYCLE_1) | instskip(NEXT) | instid1(VALU_DEP_1)
	s_or_b32 exec_lo, exec_lo, s2
	v_mul_f32_e32 v0, v102, v1
                                        ; implicit-def: $vgpr124
	s_delay_alu instid0(VALU_DEP_1) | instskip(NEXT) | instid1(VALU_DEP_1)
	v_and_b32_e32 v1, 0x7f800000, v0
	v_cmp_ne_u32_e64 s1, 0x7f800000, v1
	s_delay_alu instid0(VALU_DEP_1) | instskip(NEXT) | instid1(SALU_CYCLE_1)
	s_and_saveexec_b32 s2, s1
	s_xor_b32 s1, exec_lo, s2
; %bb.1061:                             ;   in Loop: Header=BB466_8 Depth=1
	v_bfe_u32 v1, v0, 16, 1
	s_delay_alu instid0(VALU_DEP_1)
	v_add3_u32 v124, v0, v1, 0x7fff
                                        ; implicit-def: $vgpr0
; %bb.1062:                             ;   in Loop: Header=BB466_8 Depth=1
	s_and_not1_saveexec_b32 s2, s1
; %bb.1063:                             ;   in Loop: Header=BB466_8 Depth=1
	v_and_b32_e32 v1, 0xffff, v0
	v_or_b32_e32 v2, 0x10000, v0
	s_delay_alu instid0(VALU_DEP_2) | instskip(NEXT) | instid1(VALU_DEP_1)
	v_cmp_eq_u32_e64 s1, 0, v1
	v_cndmask_b32_e64 v124, v2, v0, s1
; %bb.1064:                             ;   in Loop: Header=BB466_8 Depth=1
	s_or_b32 exec_lo, exec_lo, s2
	flat_load_b64 v[30:31], v[28:29] offset:2568
	s_mov_b32 s2, exec_lo
	s_waitcnt vmcnt(0) lgkmcnt(0)
	v_dual_mov_b32 v0, 0 :: v_dual_and_b32 v1, 0xff, v30
	s_delay_alu instid0(VALU_DEP_1)
	v_cmpx_ne_u16_e32 0, v1
	s_cbranch_execz .LBB466_1072
; %bb.1065:                             ;   in Loop: Header=BB466_8 Depth=1
	v_bfrev_b32_e32 v0, 1
	s_mov_b32 s18, exec_lo
	v_cmpx_ne_u16_e32 0x80, v1
	s_cbranch_execz .LBB466_1071
; %bb.1066:                             ;   in Loop: Header=BB466_8 Depth=1
	v_and_b32_e32 v1, 0x7f, v30
	v_mov_b32_e32 v0, 0x7f800001
	s_mov_b32 s19, exec_lo
	s_delay_alu instid0(VALU_DEP_2)
	v_cmpx_ne_u32_e32 0x7f, v1
	s_cbranch_execz .LBB466_1070
; %bb.1067:                             ;   in Loop: Header=BB466_8 Depth=1
	v_lshrrev_b32_e32 v0, 3, v1
	v_dual_mov_b32 v33, v31 :: v_dual_mov_b32 v32, v30
	s_mov_b32 s20, exec_lo
	v_cmpx_gt_u32_e32 8, v1
; %bb.1068:                             ;   in Loop: Header=BB466_8 Depth=1
	v_and_b32_e32 v0, 7, v30
	s_delay_alu instid0(VALU_DEP_1) | instskip(NEXT) | instid1(VALU_DEP_1)
	v_clz_i32_u32_e32 v0, v0
	v_min_u32_e32 v0, 32, v0
	s_delay_alu instid0(VALU_DEP_1) | instskip(SKIP_1) | instid1(VALU_DEP_2)
	v_subrev_nc_u32_e32 v1, 28, v0
	v_sub_nc_u32_e32 v0, 29, v0
	v_lshlrev_b64 v[32:33], v1, v[30:31]
; %bb.1069:                             ;   in Loop: Header=BB466_8 Depth=1
	s_or_b32 exec_lo, exec_lo, s20
	s_delay_alu instid0(VALU_DEP_1) | instskip(SKIP_2) | instid1(VALU_DEP_3)
	v_lshlrev_b32_e32 v1, 20, v32
	v_lshlrev_b32_e32 v2, 24, v30
	v_lshl_add_u32 v0, v0, 23, 0x3c000000
	v_and_b32_e32 v1, 0x700000, v1
	s_delay_alu instid0(VALU_DEP_3) | instskip(NEXT) | instid1(VALU_DEP_1)
	v_and_b32_e32 v2, 0x80000000, v2
	v_or3_b32 v0, v1, v2, v0
.LBB466_1070:                           ;   in Loop: Header=BB466_8 Depth=1
	s_or_b32 exec_lo, exec_lo, s19
.LBB466_1071:                           ;   in Loop: Header=BB466_8 Depth=1
	s_delay_alu instid0(SALU_CYCLE_1)
	s_or_b32 exec_lo, exec_lo, s18
.LBB466_1072:                           ;   in Loop: Header=BB466_8 Depth=1
	s_delay_alu instid0(SALU_CYCLE_1) | instskip(NEXT) | instid1(VALU_DEP_1)
	s_or_b32 exec_lo, exec_lo, s2
	v_mul_f32_e32 v0, v102, v0
                                        ; implicit-def: $vgpr125
	s_delay_alu instid0(VALU_DEP_1) | instskip(NEXT) | instid1(VALU_DEP_1)
	v_and_b32_e32 v1, 0x7f800000, v0
	v_cmp_ne_u32_e64 s1, 0x7f800000, v1
	s_delay_alu instid0(VALU_DEP_1) | instskip(NEXT) | instid1(SALU_CYCLE_1)
	s_and_saveexec_b32 s2, s1
	s_xor_b32 s1, exec_lo, s2
; %bb.1073:                             ;   in Loop: Header=BB466_8 Depth=1
	v_bfe_u32 v1, v0, 16, 1
	s_delay_alu instid0(VALU_DEP_1)
	v_add3_u32 v125, v0, v1, 0x7fff
                                        ; implicit-def: $vgpr0
; %bb.1074:                             ;   in Loop: Header=BB466_8 Depth=1
	s_and_not1_saveexec_b32 s2, s1
; %bb.1075:                             ;   in Loop: Header=BB466_8 Depth=1
	v_and_b32_e32 v1, 0xffff, v0
	v_or_b32_e32 v2, 0x10000, v0
	s_delay_alu instid0(VALU_DEP_2) | instskip(NEXT) | instid1(VALU_DEP_1)
	v_cmp_eq_u32_e64 s1, 0, v1
	v_cndmask_b32_e64 v125, v2, v0, s1
; %bb.1076:                             ;   in Loop: Header=BB466_8 Depth=1
	s_or_b32 exec_lo, exec_lo, s2
	v_lshrrev_b16 v1, 8, v30
	v_mov_b32_e32 v0, 0
	s_mov_b32 s2, exec_lo
	s_delay_alu instid0(VALU_DEP_2)
	v_cmpx_ne_u16_e32 0, v1
	s_cbranch_execz .LBB466_1084
; %bb.1077:                             ;   in Loop: Header=BB466_8 Depth=1
	v_bfrev_b32_e32 v0, 1
	s_mov_b32 s18, exec_lo
	v_cmpx_ne_u16_e32 0x80, v1
	s_cbranch_execz .LBB466_1083
; %bb.1078:                             ;   in Loop: Header=BB466_8 Depth=1
	v_and_b32_e32 v2, 0xffff, v1
	v_mov_b32_e32 v0, 0x7f800001
	s_mov_b32 s19, exec_lo
	s_delay_alu instid0(VALU_DEP_2) | instskip(NEXT) | instid1(VALU_DEP_1)
	v_and_b32_e32 v1, 0x7f, v2
	v_cmpx_ne_u32_e32 0x7f, v1
	s_cbranch_execz .LBB466_1082
; %bb.1079:                             ;   in Loop: Header=BB466_8 Depth=1
	v_and_b32_e32 v18, 7, v2
	v_lshrrev_b32_e32 v0, 3, v1
	v_mov_b32_e32 v33, v19
	s_mov_b32 s20, exec_lo
	s_delay_alu instid0(VALU_DEP_3)
	v_mov_b32_e32 v32, v18
	v_cmpx_gt_u32_e32 8, v1
; %bb.1080:                             ;   in Loop: Header=BB466_8 Depth=1
	v_clz_i32_u32_e32 v0, v18
	s_delay_alu instid0(VALU_DEP_1) | instskip(NEXT) | instid1(VALU_DEP_1)
	v_min_u32_e32 v0, 32, v0
	v_subrev_nc_u32_e32 v1, 28, v0
	v_sub_nc_u32_e32 v0, 29, v0
	s_delay_alu instid0(VALU_DEP_2) | instskip(NEXT) | instid1(VALU_DEP_1)
	v_lshlrev_b64 v[1:2], v1, v[18:19]
	v_and_b32_e32 v32, 7, v1
; %bb.1081:                             ;   in Loop: Header=BB466_8 Depth=1
	s_or_b32 exec_lo, exec_lo, s20
	v_lshlrev_b32_e32 v1, 16, v30
	s_delay_alu instid0(VALU_DEP_2) | instskip(SKIP_1) | instid1(VALU_DEP_3)
	v_lshlrev_b32_e32 v2, 20, v32
	v_lshl_add_u32 v0, v0, 23, 0x3c000000
	v_and_b32_e32 v1, 0x80000000, v1
	s_delay_alu instid0(VALU_DEP_1)
	v_or3_b32 v0, v2, v1, v0
.LBB466_1082:                           ;   in Loop: Header=BB466_8 Depth=1
	s_or_b32 exec_lo, exec_lo, s19
.LBB466_1083:                           ;   in Loop: Header=BB466_8 Depth=1
	s_delay_alu instid0(SALU_CYCLE_1)
	s_or_b32 exec_lo, exec_lo, s18
.LBB466_1084:                           ;   in Loop: Header=BB466_8 Depth=1
	s_delay_alu instid0(SALU_CYCLE_1) | instskip(NEXT) | instid1(VALU_DEP_1)
	s_or_b32 exec_lo, exec_lo, s2
	v_mul_f32_e32 v0, v102, v0
                                        ; implicit-def: $vgpr126
	s_delay_alu instid0(VALU_DEP_1) | instskip(NEXT) | instid1(VALU_DEP_1)
	v_and_b32_e32 v1, 0x7f800000, v0
	v_cmp_ne_u32_e64 s1, 0x7f800000, v1
	s_delay_alu instid0(VALU_DEP_1) | instskip(NEXT) | instid1(SALU_CYCLE_1)
	s_and_saveexec_b32 s2, s1
	s_xor_b32 s1, exec_lo, s2
; %bb.1085:                             ;   in Loop: Header=BB466_8 Depth=1
	v_bfe_u32 v1, v0, 16, 1
	s_delay_alu instid0(VALU_DEP_1)
	v_add3_u32 v126, v0, v1, 0x7fff
                                        ; implicit-def: $vgpr0
; %bb.1086:                             ;   in Loop: Header=BB466_8 Depth=1
	s_and_not1_saveexec_b32 s2, s1
; %bb.1087:                             ;   in Loop: Header=BB466_8 Depth=1
	v_and_b32_e32 v1, 0xffff, v0
	v_or_b32_e32 v2, 0x10000, v0
	s_delay_alu instid0(VALU_DEP_2) | instskip(NEXT) | instid1(VALU_DEP_1)
	v_cmp_eq_u32_e64 s1, 0, v1
	v_cndmask_b32_e64 v126, v2, v0, s1
; %bb.1088:                             ;   in Loop: Header=BB466_8 Depth=1
	s_or_b32 exec_lo, exec_lo, s2
	v_lshrrev_b32_e32 v0, 16, v30
	s_mov_b32 s2, exec_lo
	s_delay_alu instid0(VALU_DEP_1) | instskip(NEXT) | instid1(VALU_DEP_1)
	v_dual_mov_b32 v1, 0 :: v_dual_and_b32 v2, 0xff, v0
	v_cmpx_ne_u16_e32 0, v2
	s_cbranch_execz .LBB466_1096
; %bb.1089:                             ;   in Loop: Header=BB466_8 Depth=1
	v_bfrev_b32_e32 v1, 1
	s_mov_b32 s18, exec_lo
	v_cmpx_ne_u16_e32 0x80, v2
	s_cbranch_execz .LBB466_1095
; %bb.1090:                             ;   in Loop: Header=BB466_8 Depth=1
	v_bfe_u32 v2, v30, 16, 7
	v_mov_b32_e32 v1, 0x7f800001
	s_mov_b32 s19, exec_lo
	s_delay_alu instid0(VALU_DEP_2)
	v_cmpx_ne_u32_e32 0x7f, v2
	s_cbranch_execz .LBB466_1094
; %bb.1091:                             ;   in Loop: Header=BB466_8 Depth=1
	v_and_b32_e32 v18, 7, v0
	v_lshrrev_b32_e32 v1, 3, v2
	v_mov_b32_e32 v33, v19
	s_mov_b32 s20, exec_lo
	s_delay_alu instid0(VALU_DEP_3)
	v_mov_b32_e32 v32, v18
	v_cmpx_gt_u32_e32 8, v2
; %bb.1092:                             ;   in Loop: Header=BB466_8 Depth=1
	v_clz_i32_u32_e32 v1, v18
	s_delay_alu instid0(VALU_DEP_1) | instskip(NEXT) | instid1(VALU_DEP_1)
	v_min_u32_e32 v1, 32, v1
	v_subrev_nc_u32_e32 v2, 28, v1
	v_sub_nc_u32_e32 v1, 29, v1
	s_delay_alu instid0(VALU_DEP_2) | instskip(NEXT) | instid1(VALU_DEP_1)
	v_lshlrev_b64 v[2:3], v2, v[18:19]
	v_and_b32_e32 v32, 7, v2
; %bb.1093:                             ;   in Loop: Header=BB466_8 Depth=1
	s_or_b32 exec_lo, exec_lo, s20
	v_lshlrev_b32_e32 v0, 24, v0
	s_delay_alu instid0(VALU_DEP_2) | instskip(SKIP_1) | instid1(VALU_DEP_3)
	v_lshlrev_b32_e32 v2, 20, v32
	v_lshl_add_u32 v1, v1, 23, 0x3c000000
	v_and_b32_e32 v0, 0x80000000, v0
	s_delay_alu instid0(VALU_DEP_1)
	v_or3_b32 v1, v2, v0, v1
.LBB466_1094:                           ;   in Loop: Header=BB466_8 Depth=1
	s_or_b32 exec_lo, exec_lo, s19
.LBB466_1095:                           ;   in Loop: Header=BB466_8 Depth=1
	s_delay_alu instid0(SALU_CYCLE_1)
	s_or_b32 exec_lo, exec_lo, s18
.LBB466_1096:                           ;   in Loop: Header=BB466_8 Depth=1
	s_delay_alu instid0(SALU_CYCLE_1) | instskip(NEXT) | instid1(VALU_DEP_1)
	s_or_b32 exec_lo, exec_lo, s2
	v_mul_f32_e32 v0, v102, v1
                                        ; implicit-def: $vgpr127
	s_delay_alu instid0(VALU_DEP_1) | instskip(NEXT) | instid1(VALU_DEP_1)
	v_and_b32_e32 v1, 0x7f800000, v0
	v_cmp_ne_u32_e64 s1, 0x7f800000, v1
	s_delay_alu instid0(VALU_DEP_1) | instskip(NEXT) | instid1(SALU_CYCLE_1)
	s_and_saveexec_b32 s2, s1
	s_xor_b32 s1, exec_lo, s2
; %bb.1097:                             ;   in Loop: Header=BB466_8 Depth=1
	v_bfe_u32 v1, v0, 16, 1
	s_delay_alu instid0(VALU_DEP_1)
	v_add3_u32 v127, v0, v1, 0x7fff
                                        ; implicit-def: $vgpr0
; %bb.1098:                             ;   in Loop: Header=BB466_8 Depth=1
	s_and_not1_saveexec_b32 s2, s1
; %bb.1099:                             ;   in Loop: Header=BB466_8 Depth=1
	v_and_b32_e32 v1, 0xffff, v0
	v_or_b32_e32 v2, 0x10000, v0
	s_delay_alu instid0(VALU_DEP_2) | instskip(NEXT) | instid1(VALU_DEP_1)
	v_cmp_eq_u32_e64 s1, 0, v1
	v_cndmask_b32_e64 v127, v2, v0, s1
; %bb.1100:                             ;   in Loop: Header=BB466_8 Depth=1
	s_or_b32 exec_lo, exec_lo, s2
	v_mov_b32_e32 v1, 0
	s_mov_b32 s2, exec_lo
	v_cmpx_lt_u32_e32 0xffffff, v30
	s_cbranch_execz .LBB466_1108
; %bb.1101:                             ;   in Loop: Header=BB466_8 Depth=1
	v_lshrrev_b32_e32 v0, 24, v30
	v_bfrev_b32_e32 v1, 1
	s_mov_b32 s18, exec_lo
	s_delay_alu instid0(VALU_DEP_2)
	v_cmpx_ne_u32_e32 0x80, v0
	s_cbranch_execz .LBB466_1107
; %bb.1102:                             ;   in Loop: Header=BB466_8 Depth=1
	v_bfe_u32 v2, v30, 24, 7
	v_mov_b32_e32 v1, 0x7f800001
	s_mov_b32 s19, exec_lo
	s_delay_alu instid0(VALU_DEP_2)
	v_cmpx_ne_u32_e32 0x7f, v2
	s_cbranch_execz .LBB466_1106
; %bb.1103:                             ;   in Loop: Header=BB466_8 Depth=1
	v_and_b32_e32 v18, 7, v0
	v_lshrrev_b32_e32 v1, 3, v2
	v_mov_b32_e32 v33, v19
	s_mov_b32 s20, exec_lo
	s_delay_alu instid0(VALU_DEP_3)
	v_mov_b32_e32 v32, v18
	v_cmpx_gt_u32_e32 8, v2
; %bb.1104:                             ;   in Loop: Header=BB466_8 Depth=1
	v_clz_i32_u32_e32 v1, v18
	s_delay_alu instid0(VALU_DEP_1) | instskip(NEXT) | instid1(VALU_DEP_1)
	v_min_u32_e32 v1, 32, v1
	v_subrev_nc_u32_e32 v2, 28, v1
	v_sub_nc_u32_e32 v1, 29, v1
	s_delay_alu instid0(VALU_DEP_2) | instskip(NEXT) | instid1(VALU_DEP_1)
	v_lshlrev_b64 v[2:3], v2, v[18:19]
	v_and_b32_e32 v32, 7, v2
; %bb.1105:                             ;   in Loop: Header=BB466_8 Depth=1
	s_or_b32 exec_lo, exec_lo, s20
	v_lshlrev_b32_e32 v0, 24, v0
	s_delay_alu instid0(VALU_DEP_2) | instskip(SKIP_1) | instid1(VALU_DEP_3)
	v_lshlrev_b32_e32 v2, 20, v32
	v_lshl_add_u32 v1, v1, 23, 0x3c000000
	v_and_b32_e32 v0, 0x80000000, v0
	s_delay_alu instid0(VALU_DEP_1)
	v_or3_b32 v1, v2, v0, v1
.LBB466_1106:                           ;   in Loop: Header=BB466_8 Depth=1
	s_or_b32 exec_lo, exec_lo, s19
.LBB466_1107:                           ;   in Loop: Header=BB466_8 Depth=1
	s_delay_alu instid0(SALU_CYCLE_1)
	s_or_b32 exec_lo, exec_lo, s18
.LBB466_1108:                           ;   in Loop: Header=BB466_8 Depth=1
	s_delay_alu instid0(SALU_CYCLE_1) | instskip(NEXT) | instid1(VALU_DEP_1)
	s_or_b32 exec_lo, exec_lo, s2
	v_mul_f32_e32 v0, v102, v1
                                        ; implicit-def: $vgpr136
	s_delay_alu instid0(VALU_DEP_1) | instskip(NEXT) | instid1(VALU_DEP_1)
	v_and_b32_e32 v1, 0x7f800000, v0
	v_cmp_ne_u32_e64 s1, 0x7f800000, v1
	s_delay_alu instid0(VALU_DEP_1) | instskip(NEXT) | instid1(SALU_CYCLE_1)
	s_and_saveexec_b32 s2, s1
	s_xor_b32 s1, exec_lo, s2
; %bb.1109:                             ;   in Loop: Header=BB466_8 Depth=1
	v_bfe_u32 v1, v0, 16, 1
	s_delay_alu instid0(VALU_DEP_1)
	v_add3_u32 v136, v0, v1, 0x7fff
                                        ; implicit-def: $vgpr0
; %bb.1110:                             ;   in Loop: Header=BB466_8 Depth=1
	s_and_not1_saveexec_b32 s2, s1
; %bb.1111:                             ;   in Loop: Header=BB466_8 Depth=1
	v_and_b32_e32 v1, 0xffff, v0
	v_or_b32_e32 v2, 0x10000, v0
	s_delay_alu instid0(VALU_DEP_2) | instskip(NEXT) | instid1(VALU_DEP_1)
	v_cmp_eq_u32_e64 s1, 0, v1
	v_cndmask_b32_e64 v136, v2, v0, s1
; %bb.1112:                             ;   in Loop: Header=BB466_8 Depth=1
	s_or_b32 exec_lo, exec_lo, s2
	v_dual_mov_b32 v18, v31 :: v_dual_and_b32 v1, 0xff, v31
	v_mov_b32_e32 v0, 0
	s_mov_b32 s2, exec_lo
	s_delay_alu instid0(VALU_DEP_2)
	v_cmpx_ne_u16_e32 0, v1
	s_cbranch_execz .LBB466_1120
; %bb.1113:                             ;   in Loop: Header=BB466_8 Depth=1
	v_bfrev_b32_e32 v0, 1
	s_mov_b32 s18, exec_lo
	v_cmpx_ne_u16_e32 0x80, v1
	s_cbranch_execz .LBB466_1119
; %bb.1114:                             ;   in Loop: Header=BB466_8 Depth=1
	v_and_b32_e32 v1, 0x7f, v31
	v_mov_b32_e32 v0, 0x7f800001
	s_mov_b32 s19, exec_lo
	s_delay_alu instid0(VALU_DEP_2)
	v_cmpx_ne_u32_e32 0x7f, v1
	s_cbranch_execz .LBB466_1118
; %bb.1115:                             ;   in Loop: Header=BB466_8 Depth=1
	v_lshrrev_b32_e32 v0, 3, v1
	v_dual_mov_b32 v33, v19 :: v_dual_mov_b32 v32, v18
	s_mov_b32 s20, exec_lo
	v_cmpx_gt_u32_e32 8, v1
; %bb.1116:                             ;   in Loop: Header=BB466_8 Depth=1
	v_and_b32_e32 v0, 7, v31
	s_delay_alu instid0(VALU_DEP_1) | instskip(NEXT) | instid1(VALU_DEP_1)
	v_clz_i32_u32_e32 v0, v0
	v_min_u32_e32 v0, 32, v0
	s_delay_alu instid0(VALU_DEP_1) | instskip(SKIP_1) | instid1(VALU_DEP_2)
	v_subrev_nc_u32_e32 v1, 28, v0
	v_sub_nc_u32_e32 v0, 29, v0
	v_lshlrev_b64 v[32:33], v1, v[18:19]
; %bb.1117:                             ;   in Loop: Header=BB466_8 Depth=1
	s_or_b32 exec_lo, exec_lo, s20
	s_delay_alu instid0(VALU_DEP_1) | instskip(SKIP_2) | instid1(VALU_DEP_3)
	v_lshlrev_b32_e32 v1, 20, v32
	v_lshlrev_b32_e32 v2, 24, v18
	v_lshl_add_u32 v0, v0, 23, 0x3c000000
	v_and_b32_e32 v1, 0x700000, v1
	s_delay_alu instid0(VALU_DEP_3) | instskip(NEXT) | instid1(VALU_DEP_1)
	v_and_b32_e32 v2, 0x80000000, v2
	v_or3_b32 v0, v1, v2, v0
.LBB466_1118:                           ;   in Loop: Header=BB466_8 Depth=1
	s_or_b32 exec_lo, exec_lo, s19
.LBB466_1119:                           ;   in Loop: Header=BB466_8 Depth=1
	s_delay_alu instid0(SALU_CYCLE_1)
	s_or_b32 exec_lo, exec_lo, s18
.LBB466_1120:                           ;   in Loop: Header=BB466_8 Depth=1
	s_delay_alu instid0(SALU_CYCLE_1) | instskip(NEXT) | instid1(VALU_DEP_1)
	s_or_b32 exec_lo, exec_lo, s2
	v_mul_f32_e32 v0, v102, v0
                                        ; implicit-def: $vgpr137
	s_delay_alu instid0(VALU_DEP_1) | instskip(NEXT) | instid1(VALU_DEP_1)
	v_and_b32_e32 v1, 0x7f800000, v0
	v_cmp_ne_u32_e64 s1, 0x7f800000, v1
	s_delay_alu instid0(VALU_DEP_1) | instskip(NEXT) | instid1(SALU_CYCLE_1)
	s_and_saveexec_b32 s2, s1
	s_xor_b32 s1, exec_lo, s2
; %bb.1121:                             ;   in Loop: Header=BB466_8 Depth=1
	v_bfe_u32 v1, v0, 16, 1
	s_delay_alu instid0(VALU_DEP_1)
	v_add3_u32 v137, v0, v1, 0x7fff
                                        ; implicit-def: $vgpr0
; %bb.1122:                             ;   in Loop: Header=BB466_8 Depth=1
	s_and_not1_saveexec_b32 s2, s1
; %bb.1123:                             ;   in Loop: Header=BB466_8 Depth=1
	v_and_b32_e32 v1, 0xffff, v0
	v_or_b32_e32 v2, 0x10000, v0
	s_delay_alu instid0(VALU_DEP_2) | instskip(NEXT) | instid1(VALU_DEP_1)
	v_cmp_eq_u32_e64 s1, 0, v1
	v_cndmask_b32_e64 v137, v2, v0, s1
; %bb.1124:                             ;   in Loop: Header=BB466_8 Depth=1
	s_or_b32 exec_lo, exec_lo, s2
	v_lshrrev_b16 v1, 8, v18
	v_mov_b32_e32 v0, 0
	s_mov_b32 s2, exec_lo
	s_delay_alu instid0(VALU_DEP_2)
	v_cmpx_ne_u16_e32 0, v1
	s_cbranch_execz .LBB466_1132
; %bb.1125:                             ;   in Loop: Header=BB466_8 Depth=1
	v_bfrev_b32_e32 v0, 1
	s_mov_b32 s18, exec_lo
	v_cmpx_ne_u16_e32 0x80, v1
	s_cbranch_execz .LBB466_1131
; %bb.1126:                             ;   in Loop: Header=BB466_8 Depth=1
	v_and_b32_e32 v2, 0xffff, v1
	v_mov_b32_e32 v0, 0x7f800001
	s_mov_b32 s19, exec_lo
	s_delay_alu instid0(VALU_DEP_2) | instskip(NEXT) | instid1(VALU_DEP_1)
	v_and_b32_e32 v1, 0x7f, v2
	v_cmpx_ne_u32_e32 0x7f, v1
	s_cbranch_execz .LBB466_1130
; %bb.1127:                             ;   in Loop: Header=BB466_8 Depth=1
	v_dual_mov_b32 v33, v19 :: v_dual_and_b32 v32, 7, v2
	v_lshrrev_b32_e32 v0, 3, v1
	s_mov_b32 s20, exec_lo
	v_cmpx_gt_u32_e32 8, v1
; %bb.1128:                             ;   in Loop: Header=BB466_8 Depth=1
	s_delay_alu instid0(VALU_DEP_3) | instskip(NEXT) | instid1(VALU_DEP_1)
	v_clz_i32_u32_e32 v0, v32
	v_min_u32_e32 v0, 32, v0
	s_delay_alu instid0(VALU_DEP_1) | instskip(SKIP_1) | instid1(VALU_DEP_2)
	v_subrev_nc_u32_e32 v1, 28, v0
	v_sub_nc_u32_e32 v0, 29, v0
	v_lshlrev_b64 v[1:2], v1, v[32:33]
	s_delay_alu instid0(VALU_DEP_1)
	v_and_b32_e32 v32, 7, v1
; %bb.1129:                             ;   in Loop: Header=BB466_8 Depth=1
	s_or_b32 exec_lo, exec_lo, s20
	v_lshlrev_b32_e32 v1, 16, v18
	s_delay_alu instid0(VALU_DEP_2) | instskip(SKIP_1) | instid1(VALU_DEP_3)
	v_lshlrev_b32_e32 v2, 20, v32
	v_lshl_add_u32 v0, v0, 23, 0x3c000000
	v_and_b32_e32 v1, 0x80000000, v1
	s_delay_alu instid0(VALU_DEP_1)
	v_or3_b32 v0, v2, v1, v0
.LBB466_1130:                           ;   in Loop: Header=BB466_8 Depth=1
	s_or_b32 exec_lo, exec_lo, s19
.LBB466_1131:                           ;   in Loop: Header=BB466_8 Depth=1
	s_delay_alu instid0(SALU_CYCLE_1)
	s_or_b32 exec_lo, exec_lo, s18
.LBB466_1132:                           ;   in Loop: Header=BB466_8 Depth=1
	s_delay_alu instid0(SALU_CYCLE_1) | instskip(NEXT) | instid1(VALU_DEP_1)
	s_or_b32 exec_lo, exec_lo, s2
	v_mul_f32_e32 v0, v102, v0
                                        ; implicit-def: $vgpr138
	s_delay_alu instid0(VALU_DEP_1) | instskip(NEXT) | instid1(VALU_DEP_1)
	v_and_b32_e32 v1, 0x7f800000, v0
	v_cmp_ne_u32_e64 s1, 0x7f800000, v1
	s_delay_alu instid0(VALU_DEP_1) | instskip(NEXT) | instid1(SALU_CYCLE_1)
	s_and_saveexec_b32 s2, s1
	s_xor_b32 s1, exec_lo, s2
; %bb.1133:                             ;   in Loop: Header=BB466_8 Depth=1
	v_bfe_u32 v1, v0, 16, 1
	s_delay_alu instid0(VALU_DEP_1)
	v_add3_u32 v138, v0, v1, 0x7fff
                                        ; implicit-def: $vgpr0
; %bb.1134:                             ;   in Loop: Header=BB466_8 Depth=1
	s_and_not1_saveexec_b32 s2, s1
; %bb.1135:                             ;   in Loop: Header=BB466_8 Depth=1
	v_and_b32_e32 v1, 0xffff, v0
	v_or_b32_e32 v2, 0x10000, v0
	s_delay_alu instid0(VALU_DEP_2) | instskip(NEXT) | instid1(VALU_DEP_1)
	v_cmp_eq_u32_e64 s1, 0, v1
	v_cndmask_b32_e64 v138, v2, v0, s1
; %bb.1136:                             ;   in Loop: Header=BB466_8 Depth=1
	s_or_b32 exec_lo, exec_lo, s2
	v_lshrrev_b32_e32 v0, 16, v31
	s_mov_b32 s2, exec_lo
	s_delay_alu instid0(VALU_DEP_1) | instskip(NEXT) | instid1(VALU_DEP_1)
	v_dual_mov_b32 v1, 0 :: v_dual_and_b32 v2, 0xff, v0
	v_cmpx_ne_u16_e32 0, v2
	s_cbranch_execz .LBB466_1144
; %bb.1137:                             ;   in Loop: Header=BB466_8 Depth=1
	v_bfrev_b32_e32 v1, 1
	s_mov_b32 s18, exec_lo
	v_cmpx_ne_u16_e32 0x80, v2
	s_cbranch_execz .LBB466_1143
; %bb.1138:                             ;   in Loop: Header=BB466_8 Depth=1
	v_bfe_u32 v2, v31, 16, 7
	v_mov_b32_e32 v1, 0x7f800001
	s_mov_b32 s19, exec_lo
	s_delay_alu instid0(VALU_DEP_2)
	v_cmpx_ne_u32_e32 0x7f, v2
	s_cbranch_execz .LBB466_1142
; %bb.1139:                             ;   in Loop: Header=BB466_8 Depth=1
	v_and_b32_e32 v18, 7, v0
	v_lshrrev_b32_e32 v1, 3, v2
	v_mov_b32_e32 v33, v19
	s_mov_b32 s20, exec_lo
	s_delay_alu instid0(VALU_DEP_3)
	v_mov_b32_e32 v32, v18
	v_cmpx_gt_u32_e32 8, v2
; %bb.1140:                             ;   in Loop: Header=BB466_8 Depth=1
	v_clz_i32_u32_e32 v1, v18
	s_delay_alu instid0(VALU_DEP_1) | instskip(NEXT) | instid1(VALU_DEP_1)
	v_min_u32_e32 v1, 32, v1
	v_subrev_nc_u32_e32 v2, 28, v1
	v_sub_nc_u32_e32 v1, 29, v1
	s_delay_alu instid0(VALU_DEP_2) | instskip(NEXT) | instid1(VALU_DEP_1)
	v_lshlrev_b64 v[2:3], v2, v[18:19]
	v_and_b32_e32 v32, 7, v2
; %bb.1141:                             ;   in Loop: Header=BB466_8 Depth=1
	s_or_b32 exec_lo, exec_lo, s20
	v_lshlrev_b32_e32 v0, 24, v0
	s_delay_alu instid0(VALU_DEP_2) | instskip(SKIP_1) | instid1(VALU_DEP_3)
	v_lshlrev_b32_e32 v2, 20, v32
	v_lshl_add_u32 v1, v1, 23, 0x3c000000
	v_and_b32_e32 v0, 0x80000000, v0
	s_delay_alu instid0(VALU_DEP_1)
	v_or3_b32 v1, v2, v0, v1
.LBB466_1142:                           ;   in Loop: Header=BB466_8 Depth=1
	s_or_b32 exec_lo, exec_lo, s19
.LBB466_1143:                           ;   in Loop: Header=BB466_8 Depth=1
	s_delay_alu instid0(SALU_CYCLE_1)
	s_or_b32 exec_lo, exec_lo, s18
.LBB466_1144:                           ;   in Loop: Header=BB466_8 Depth=1
	s_delay_alu instid0(SALU_CYCLE_1) | instskip(NEXT) | instid1(VALU_DEP_1)
	s_or_b32 exec_lo, exec_lo, s2
	v_mul_f32_e32 v0, v102, v1
                                        ; implicit-def: $vgpr139
	s_delay_alu instid0(VALU_DEP_1) | instskip(NEXT) | instid1(VALU_DEP_1)
	v_and_b32_e32 v1, 0x7f800000, v0
	v_cmp_ne_u32_e64 s1, 0x7f800000, v1
	s_delay_alu instid0(VALU_DEP_1) | instskip(NEXT) | instid1(SALU_CYCLE_1)
	s_and_saveexec_b32 s2, s1
	s_xor_b32 s1, exec_lo, s2
; %bb.1145:                             ;   in Loop: Header=BB466_8 Depth=1
	v_bfe_u32 v1, v0, 16, 1
	s_delay_alu instid0(VALU_DEP_1)
	v_add3_u32 v139, v0, v1, 0x7fff
                                        ; implicit-def: $vgpr0
; %bb.1146:                             ;   in Loop: Header=BB466_8 Depth=1
	s_and_not1_saveexec_b32 s2, s1
; %bb.1147:                             ;   in Loop: Header=BB466_8 Depth=1
	v_and_b32_e32 v1, 0xffff, v0
	v_or_b32_e32 v2, 0x10000, v0
	s_delay_alu instid0(VALU_DEP_2) | instskip(NEXT) | instid1(VALU_DEP_1)
	v_cmp_eq_u32_e64 s1, 0, v1
	v_cndmask_b32_e64 v139, v2, v0, s1
; %bb.1148:                             ;   in Loop: Header=BB466_8 Depth=1
	s_or_b32 exec_lo, exec_lo, s2
	v_mov_b32_e32 v1, 0
	s_mov_b32 s2, exec_lo
	v_cmpx_lt_u64_e64 s[8:9], v[30:31]
	s_cbranch_execz .LBB466_1156
; %bb.1149:                             ;   in Loop: Header=BB466_8 Depth=1
	v_lshrrev_b32_e32 v0, 24, v31
	v_bfrev_b32_e32 v1, 1
	s_mov_b32 s18, exec_lo
	s_delay_alu instid0(VALU_DEP_2)
	v_cmpx_ne_u32_e32 0x80, v0
	s_cbranch_execz .LBB466_1155
; %bb.1150:                             ;   in Loop: Header=BB466_8 Depth=1
	v_bfe_u32 v2, v31, 24, 7
	v_mov_b32_e32 v1, 0x7f800001
	s_mov_b32 s19, exec_lo
	s_delay_alu instid0(VALU_DEP_2)
	v_cmpx_ne_u32_e32 0x7f, v2
	s_cbranch_execz .LBB466_1154
; %bb.1151:                             ;   in Loop: Header=BB466_8 Depth=1
	v_and_b32_e32 v18, 7, v0
	v_lshrrev_b32_e32 v1, 3, v2
	v_mov_b32_e32 v31, v19
	s_mov_b32 s20, exec_lo
	s_delay_alu instid0(VALU_DEP_3)
	v_mov_b32_e32 v30, v18
	v_cmpx_gt_u32_e32 8, v2
; %bb.1152:                             ;   in Loop: Header=BB466_8 Depth=1
	v_clz_i32_u32_e32 v1, v18
	s_delay_alu instid0(VALU_DEP_1) | instskip(NEXT) | instid1(VALU_DEP_1)
	v_min_u32_e32 v1, 32, v1
	v_subrev_nc_u32_e32 v2, 28, v1
	v_sub_nc_u32_e32 v1, 29, v1
	s_delay_alu instid0(VALU_DEP_2) | instskip(NEXT) | instid1(VALU_DEP_1)
	v_lshlrev_b64 v[2:3], v2, v[18:19]
	v_and_b32_e32 v30, 7, v2
; %bb.1153:                             ;   in Loop: Header=BB466_8 Depth=1
	s_or_b32 exec_lo, exec_lo, s20
	v_lshlrev_b32_e32 v0, 24, v0
	s_delay_alu instid0(VALU_DEP_2) | instskip(SKIP_1) | instid1(VALU_DEP_3)
	v_lshlrev_b32_e32 v2, 20, v30
	v_lshl_add_u32 v1, v1, 23, 0x3c000000
	v_and_b32_e32 v0, 0x80000000, v0
	s_delay_alu instid0(VALU_DEP_1)
	v_or3_b32 v1, v2, v0, v1
.LBB466_1154:                           ;   in Loop: Header=BB466_8 Depth=1
	s_or_b32 exec_lo, exec_lo, s19
.LBB466_1155:                           ;   in Loop: Header=BB466_8 Depth=1
	s_delay_alu instid0(SALU_CYCLE_1)
	s_or_b32 exec_lo, exec_lo, s18
.LBB466_1156:                           ;   in Loop: Header=BB466_8 Depth=1
	s_delay_alu instid0(SALU_CYCLE_1) | instskip(NEXT) | instid1(VALU_DEP_1)
	s_or_b32 exec_lo, exec_lo, s2
	v_mul_f32_e32 v0, v102, v1
                                        ; implicit-def: $vgpr140
	s_delay_alu instid0(VALU_DEP_1) | instskip(NEXT) | instid1(VALU_DEP_1)
	v_and_b32_e32 v1, 0x7f800000, v0
	v_cmp_ne_u32_e64 s1, 0x7f800000, v1
	s_delay_alu instid0(VALU_DEP_1) | instskip(NEXT) | instid1(SALU_CYCLE_1)
	s_and_saveexec_b32 s2, s1
	s_xor_b32 s1, exec_lo, s2
; %bb.1157:                             ;   in Loop: Header=BB466_8 Depth=1
	v_bfe_u32 v1, v0, 16, 1
	s_delay_alu instid0(VALU_DEP_1)
	v_add3_u32 v140, v0, v1, 0x7fff
                                        ; implicit-def: $vgpr0
; %bb.1158:                             ;   in Loop: Header=BB466_8 Depth=1
	s_and_not1_saveexec_b32 s2, s1
; %bb.1159:                             ;   in Loop: Header=BB466_8 Depth=1
	v_and_b32_e32 v1, 0xffff, v0
	v_or_b32_e32 v2, 0x10000, v0
	s_delay_alu instid0(VALU_DEP_2) | instskip(NEXT) | instid1(VALU_DEP_1)
	v_cmp_eq_u32_e64 s1, 0, v1
	v_cndmask_b32_e64 v140, v2, v0, s1
; %bb.1160:                             ;   in Loop: Header=BB466_8 Depth=1
	s_or_b32 exec_lo, exec_lo, s2
	flat_load_b64 v[30:31], v[28:29] offset:3072
	s_mov_b32 s2, exec_lo
	s_waitcnt vmcnt(0) lgkmcnt(0)
	v_dual_mov_b32 v0, 0 :: v_dual_and_b32 v1, 0xff, v30
	s_delay_alu instid0(VALU_DEP_1)
	v_cmpx_ne_u16_e32 0, v1
	s_cbranch_execz .LBB466_1168
; %bb.1161:                             ;   in Loop: Header=BB466_8 Depth=1
	v_bfrev_b32_e32 v0, 1
	s_mov_b32 s18, exec_lo
	v_cmpx_ne_u16_e32 0x80, v1
	s_cbranch_execz .LBB466_1167
; %bb.1162:                             ;   in Loop: Header=BB466_8 Depth=1
	v_and_b32_e32 v1, 0x7f, v30
	v_mov_b32_e32 v0, 0x7f800001
	s_mov_b32 s19, exec_lo
	s_delay_alu instid0(VALU_DEP_2)
	v_cmpx_ne_u32_e32 0x7f, v1
	s_cbranch_execz .LBB466_1166
; %bb.1163:                             ;   in Loop: Header=BB466_8 Depth=1
	v_lshrrev_b32_e32 v0, 3, v1
	v_dual_mov_b32 v33, v31 :: v_dual_mov_b32 v32, v30
	s_mov_b32 s20, exec_lo
	v_cmpx_gt_u32_e32 8, v1
; %bb.1164:                             ;   in Loop: Header=BB466_8 Depth=1
	v_and_b32_e32 v0, 7, v30
	s_delay_alu instid0(VALU_DEP_1) | instskip(NEXT) | instid1(VALU_DEP_1)
	v_clz_i32_u32_e32 v0, v0
	v_min_u32_e32 v0, 32, v0
	s_delay_alu instid0(VALU_DEP_1) | instskip(SKIP_1) | instid1(VALU_DEP_2)
	v_subrev_nc_u32_e32 v1, 28, v0
	v_sub_nc_u32_e32 v0, 29, v0
	v_lshlrev_b64 v[32:33], v1, v[30:31]
; %bb.1165:                             ;   in Loop: Header=BB466_8 Depth=1
	s_or_b32 exec_lo, exec_lo, s20
	s_delay_alu instid0(VALU_DEP_1) | instskip(SKIP_2) | instid1(VALU_DEP_3)
	v_lshlrev_b32_e32 v1, 20, v32
	v_lshlrev_b32_e32 v2, 24, v30
	v_lshl_add_u32 v0, v0, 23, 0x3c000000
	v_and_b32_e32 v1, 0x700000, v1
	s_delay_alu instid0(VALU_DEP_3) | instskip(NEXT) | instid1(VALU_DEP_1)
	v_and_b32_e32 v2, 0x80000000, v2
	v_or3_b32 v0, v1, v2, v0
.LBB466_1166:                           ;   in Loop: Header=BB466_8 Depth=1
	s_or_b32 exec_lo, exec_lo, s19
.LBB466_1167:                           ;   in Loop: Header=BB466_8 Depth=1
	s_delay_alu instid0(SALU_CYCLE_1)
	s_or_b32 exec_lo, exec_lo, s18
.LBB466_1168:                           ;   in Loop: Header=BB466_8 Depth=1
	s_delay_alu instid0(SALU_CYCLE_1) | instskip(NEXT) | instid1(VALU_DEP_1)
	s_or_b32 exec_lo, exec_lo, s2
	v_mul_f32_e32 v0, v102, v0
                                        ; implicit-def: $vgpr141
	s_delay_alu instid0(VALU_DEP_1) | instskip(NEXT) | instid1(VALU_DEP_1)
	v_and_b32_e32 v1, 0x7f800000, v0
	v_cmp_ne_u32_e64 s1, 0x7f800000, v1
	s_delay_alu instid0(VALU_DEP_1) | instskip(NEXT) | instid1(SALU_CYCLE_1)
	s_and_saveexec_b32 s2, s1
	s_xor_b32 s1, exec_lo, s2
; %bb.1169:                             ;   in Loop: Header=BB466_8 Depth=1
	v_bfe_u32 v1, v0, 16, 1
	s_delay_alu instid0(VALU_DEP_1)
	v_add3_u32 v141, v0, v1, 0x7fff
                                        ; implicit-def: $vgpr0
; %bb.1170:                             ;   in Loop: Header=BB466_8 Depth=1
	s_and_not1_saveexec_b32 s2, s1
; %bb.1171:                             ;   in Loop: Header=BB466_8 Depth=1
	v_and_b32_e32 v1, 0xffff, v0
	v_or_b32_e32 v2, 0x10000, v0
	s_delay_alu instid0(VALU_DEP_2) | instskip(NEXT) | instid1(VALU_DEP_1)
	v_cmp_eq_u32_e64 s1, 0, v1
	v_cndmask_b32_e64 v141, v2, v0, s1
; %bb.1172:                             ;   in Loop: Header=BB466_8 Depth=1
	s_or_b32 exec_lo, exec_lo, s2
	v_lshrrev_b16 v1, 8, v30
	v_mov_b32_e32 v0, 0
	s_mov_b32 s2, exec_lo
	s_delay_alu instid0(VALU_DEP_2)
	v_cmpx_ne_u16_e32 0, v1
	s_cbranch_execz .LBB466_1180
; %bb.1173:                             ;   in Loop: Header=BB466_8 Depth=1
	v_bfrev_b32_e32 v0, 1
	s_mov_b32 s18, exec_lo
	v_cmpx_ne_u16_e32 0x80, v1
	s_cbranch_execz .LBB466_1179
; %bb.1174:                             ;   in Loop: Header=BB466_8 Depth=1
	v_and_b32_e32 v2, 0xffff, v1
	v_mov_b32_e32 v0, 0x7f800001
	s_mov_b32 s19, exec_lo
	s_delay_alu instid0(VALU_DEP_2) | instskip(NEXT) | instid1(VALU_DEP_1)
	v_and_b32_e32 v1, 0x7f, v2
	v_cmpx_ne_u32_e32 0x7f, v1
	s_cbranch_execz .LBB466_1178
; %bb.1175:                             ;   in Loop: Header=BB466_8 Depth=1
	v_and_b32_e32 v18, 7, v2
	v_lshrrev_b32_e32 v0, 3, v1
	v_mov_b32_e32 v33, v19
	s_mov_b32 s20, exec_lo
	s_delay_alu instid0(VALU_DEP_3)
	v_mov_b32_e32 v32, v18
	v_cmpx_gt_u32_e32 8, v1
; %bb.1176:                             ;   in Loop: Header=BB466_8 Depth=1
	v_clz_i32_u32_e32 v0, v18
	s_delay_alu instid0(VALU_DEP_1) | instskip(NEXT) | instid1(VALU_DEP_1)
	v_min_u32_e32 v0, 32, v0
	v_subrev_nc_u32_e32 v1, 28, v0
	v_sub_nc_u32_e32 v0, 29, v0
	s_delay_alu instid0(VALU_DEP_2) | instskip(NEXT) | instid1(VALU_DEP_1)
	v_lshlrev_b64 v[1:2], v1, v[18:19]
	v_and_b32_e32 v32, 7, v1
; %bb.1177:                             ;   in Loop: Header=BB466_8 Depth=1
	s_or_b32 exec_lo, exec_lo, s20
	v_lshlrev_b32_e32 v1, 16, v30
	s_delay_alu instid0(VALU_DEP_2) | instskip(SKIP_1) | instid1(VALU_DEP_3)
	v_lshlrev_b32_e32 v2, 20, v32
	v_lshl_add_u32 v0, v0, 23, 0x3c000000
	v_and_b32_e32 v1, 0x80000000, v1
	s_delay_alu instid0(VALU_DEP_1)
	v_or3_b32 v0, v2, v1, v0
.LBB466_1178:                           ;   in Loop: Header=BB466_8 Depth=1
	s_or_b32 exec_lo, exec_lo, s19
.LBB466_1179:                           ;   in Loop: Header=BB466_8 Depth=1
	s_delay_alu instid0(SALU_CYCLE_1)
	s_or_b32 exec_lo, exec_lo, s18
.LBB466_1180:                           ;   in Loop: Header=BB466_8 Depth=1
	s_delay_alu instid0(SALU_CYCLE_1) | instskip(NEXT) | instid1(VALU_DEP_1)
	s_or_b32 exec_lo, exec_lo, s2
	v_mul_f32_e32 v0, v102, v0
                                        ; implicit-def: $vgpr142
	s_delay_alu instid0(VALU_DEP_1) | instskip(NEXT) | instid1(VALU_DEP_1)
	v_and_b32_e32 v1, 0x7f800000, v0
	v_cmp_ne_u32_e64 s1, 0x7f800000, v1
	s_delay_alu instid0(VALU_DEP_1) | instskip(NEXT) | instid1(SALU_CYCLE_1)
	s_and_saveexec_b32 s2, s1
	s_xor_b32 s1, exec_lo, s2
; %bb.1181:                             ;   in Loop: Header=BB466_8 Depth=1
	v_bfe_u32 v1, v0, 16, 1
	s_delay_alu instid0(VALU_DEP_1)
	v_add3_u32 v142, v0, v1, 0x7fff
                                        ; implicit-def: $vgpr0
; %bb.1182:                             ;   in Loop: Header=BB466_8 Depth=1
	s_and_not1_saveexec_b32 s2, s1
; %bb.1183:                             ;   in Loop: Header=BB466_8 Depth=1
	v_and_b32_e32 v1, 0xffff, v0
	v_or_b32_e32 v2, 0x10000, v0
	s_delay_alu instid0(VALU_DEP_2) | instskip(NEXT) | instid1(VALU_DEP_1)
	v_cmp_eq_u32_e64 s1, 0, v1
	v_cndmask_b32_e64 v142, v2, v0, s1
; %bb.1184:                             ;   in Loop: Header=BB466_8 Depth=1
	s_or_b32 exec_lo, exec_lo, s2
	v_lshrrev_b32_e32 v0, 16, v30
	s_mov_b32 s2, exec_lo
	s_delay_alu instid0(VALU_DEP_1) | instskip(NEXT) | instid1(VALU_DEP_1)
	v_dual_mov_b32 v1, 0 :: v_dual_and_b32 v2, 0xff, v0
	v_cmpx_ne_u16_e32 0, v2
	s_cbranch_execz .LBB466_1192
; %bb.1185:                             ;   in Loop: Header=BB466_8 Depth=1
	v_bfrev_b32_e32 v1, 1
	s_mov_b32 s18, exec_lo
	v_cmpx_ne_u16_e32 0x80, v2
	s_cbranch_execz .LBB466_1191
; %bb.1186:                             ;   in Loop: Header=BB466_8 Depth=1
	v_bfe_u32 v2, v30, 16, 7
	v_mov_b32_e32 v1, 0x7f800001
	s_mov_b32 s19, exec_lo
	s_delay_alu instid0(VALU_DEP_2)
	v_cmpx_ne_u32_e32 0x7f, v2
	s_cbranch_execz .LBB466_1190
; %bb.1187:                             ;   in Loop: Header=BB466_8 Depth=1
	v_and_b32_e32 v18, 7, v0
	v_lshrrev_b32_e32 v1, 3, v2
	v_mov_b32_e32 v33, v19
	s_mov_b32 s20, exec_lo
	s_delay_alu instid0(VALU_DEP_3)
	v_mov_b32_e32 v32, v18
	v_cmpx_gt_u32_e32 8, v2
; %bb.1188:                             ;   in Loop: Header=BB466_8 Depth=1
	v_clz_i32_u32_e32 v1, v18
	s_delay_alu instid0(VALU_DEP_1) | instskip(NEXT) | instid1(VALU_DEP_1)
	v_min_u32_e32 v1, 32, v1
	v_subrev_nc_u32_e32 v2, 28, v1
	v_sub_nc_u32_e32 v1, 29, v1
	s_delay_alu instid0(VALU_DEP_2) | instskip(NEXT) | instid1(VALU_DEP_1)
	v_lshlrev_b64 v[2:3], v2, v[18:19]
	v_and_b32_e32 v32, 7, v2
; %bb.1189:                             ;   in Loop: Header=BB466_8 Depth=1
	s_or_b32 exec_lo, exec_lo, s20
	v_lshlrev_b32_e32 v0, 24, v0
	s_delay_alu instid0(VALU_DEP_2) | instskip(SKIP_1) | instid1(VALU_DEP_3)
	v_lshlrev_b32_e32 v2, 20, v32
	v_lshl_add_u32 v1, v1, 23, 0x3c000000
	v_and_b32_e32 v0, 0x80000000, v0
	s_delay_alu instid0(VALU_DEP_1)
	v_or3_b32 v1, v2, v0, v1
.LBB466_1190:                           ;   in Loop: Header=BB466_8 Depth=1
	s_or_b32 exec_lo, exec_lo, s19
.LBB466_1191:                           ;   in Loop: Header=BB466_8 Depth=1
	s_delay_alu instid0(SALU_CYCLE_1)
	s_or_b32 exec_lo, exec_lo, s18
.LBB466_1192:                           ;   in Loop: Header=BB466_8 Depth=1
	s_delay_alu instid0(SALU_CYCLE_1) | instskip(NEXT) | instid1(VALU_DEP_1)
	s_or_b32 exec_lo, exec_lo, s2
	v_mul_f32_e32 v0, v102, v1
                                        ; implicit-def: $vgpr143
	s_delay_alu instid0(VALU_DEP_1) | instskip(NEXT) | instid1(VALU_DEP_1)
	v_and_b32_e32 v1, 0x7f800000, v0
	v_cmp_ne_u32_e64 s1, 0x7f800000, v1
	s_delay_alu instid0(VALU_DEP_1) | instskip(NEXT) | instid1(SALU_CYCLE_1)
	s_and_saveexec_b32 s2, s1
	s_xor_b32 s1, exec_lo, s2
; %bb.1193:                             ;   in Loop: Header=BB466_8 Depth=1
	v_bfe_u32 v1, v0, 16, 1
	s_delay_alu instid0(VALU_DEP_1)
	v_add3_u32 v143, v0, v1, 0x7fff
                                        ; implicit-def: $vgpr0
; %bb.1194:                             ;   in Loop: Header=BB466_8 Depth=1
	s_and_not1_saveexec_b32 s2, s1
; %bb.1195:                             ;   in Loop: Header=BB466_8 Depth=1
	v_and_b32_e32 v1, 0xffff, v0
	v_or_b32_e32 v2, 0x10000, v0
	s_delay_alu instid0(VALU_DEP_2) | instskip(NEXT) | instid1(VALU_DEP_1)
	v_cmp_eq_u32_e64 s1, 0, v1
	v_cndmask_b32_e64 v143, v2, v0, s1
; %bb.1196:                             ;   in Loop: Header=BB466_8 Depth=1
	s_or_b32 exec_lo, exec_lo, s2
	v_mov_b32_e32 v1, 0
	s_mov_b32 s2, exec_lo
	v_cmpx_lt_u32_e32 0xffffff, v30
	s_cbranch_execz .LBB466_1204
; %bb.1197:                             ;   in Loop: Header=BB466_8 Depth=1
	v_lshrrev_b32_e32 v0, 24, v30
	v_bfrev_b32_e32 v1, 1
	s_mov_b32 s18, exec_lo
	s_delay_alu instid0(VALU_DEP_2)
	v_cmpx_ne_u32_e32 0x80, v0
	s_cbranch_execz .LBB466_1203
; %bb.1198:                             ;   in Loop: Header=BB466_8 Depth=1
	v_bfe_u32 v2, v30, 24, 7
	v_mov_b32_e32 v1, 0x7f800001
	s_mov_b32 s19, exec_lo
	s_delay_alu instid0(VALU_DEP_2)
	v_cmpx_ne_u32_e32 0x7f, v2
	s_cbranch_execz .LBB466_1202
; %bb.1199:                             ;   in Loop: Header=BB466_8 Depth=1
	v_and_b32_e32 v18, 7, v0
	v_lshrrev_b32_e32 v1, 3, v2
	v_mov_b32_e32 v33, v19
	s_mov_b32 s20, exec_lo
	s_delay_alu instid0(VALU_DEP_3)
	v_mov_b32_e32 v32, v18
	v_cmpx_gt_u32_e32 8, v2
; %bb.1200:                             ;   in Loop: Header=BB466_8 Depth=1
	v_clz_i32_u32_e32 v1, v18
	s_delay_alu instid0(VALU_DEP_1) | instskip(NEXT) | instid1(VALU_DEP_1)
	v_min_u32_e32 v1, 32, v1
	v_subrev_nc_u32_e32 v2, 28, v1
	v_sub_nc_u32_e32 v1, 29, v1
	s_delay_alu instid0(VALU_DEP_2) | instskip(NEXT) | instid1(VALU_DEP_1)
	v_lshlrev_b64 v[2:3], v2, v[18:19]
	v_and_b32_e32 v32, 7, v2
; %bb.1201:                             ;   in Loop: Header=BB466_8 Depth=1
	s_or_b32 exec_lo, exec_lo, s20
	v_lshlrev_b32_e32 v0, 24, v0
	s_delay_alu instid0(VALU_DEP_2) | instskip(SKIP_1) | instid1(VALU_DEP_3)
	v_lshlrev_b32_e32 v2, 20, v32
	v_lshl_add_u32 v1, v1, 23, 0x3c000000
	v_and_b32_e32 v0, 0x80000000, v0
	s_delay_alu instid0(VALU_DEP_1)
	v_or3_b32 v1, v2, v0, v1
.LBB466_1202:                           ;   in Loop: Header=BB466_8 Depth=1
	s_or_b32 exec_lo, exec_lo, s19
.LBB466_1203:                           ;   in Loop: Header=BB466_8 Depth=1
	s_delay_alu instid0(SALU_CYCLE_1)
	s_or_b32 exec_lo, exec_lo, s18
.LBB466_1204:                           ;   in Loop: Header=BB466_8 Depth=1
	s_delay_alu instid0(SALU_CYCLE_1) | instskip(NEXT) | instid1(VALU_DEP_1)
	s_or_b32 exec_lo, exec_lo, s2
	v_mul_f32_e32 v0, v102, v1
                                        ; implicit-def: $vgpr152
	s_delay_alu instid0(VALU_DEP_1) | instskip(NEXT) | instid1(VALU_DEP_1)
	v_and_b32_e32 v1, 0x7f800000, v0
	v_cmp_ne_u32_e64 s1, 0x7f800000, v1
	s_delay_alu instid0(VALU_DEP_1) | instskip(NEXT) | instid1(SALU_CYCLE_1)
	s_and_saveexec_b32 s2, s1
	s_xor_b32 s1, exec_lo, s2
; %bb.1205:                             ;   in Loop: Header=BB466_8 Depth=1
	v_bfe_u32 v1, v0, 16, 1
	s_delay_alu instid0(VALU_DEP_1)
	v_add3_u32 v152, v0, v1, 0x7fff
                                        ; implicit-def: $vgpr0
; %bb.1206:                             ;   in Loop: Header=BB466_8 Depth=1
	s_and_not1_saveexec_b32 s2, s1
; %bb.1207:                             ;   in Loop: Header=BB466_8 Depth=1
	v_and_b32_e32 v1, 0xffff, v0
	v_or_b32_e32 v2, 0x10000, v0
	s_delay_alu instid0(VALU_DEP_2) | instskip(NEXT) | instid1(VALU_DEP_1)
	v_cmp_eq_u32_e64 s1, 0, v1
	v_cndmask_b32_e64 v152, v2, v0, s1
; %bb.1208:                             ;   in Loop: Header=BB466_8 Depth=1
	s_or_b32 exec_lo, exec_lo, s2
	v_dual_mov_b32 v18, v31 :: v_dual_and_b32 v1, 0xff, v31
	v_mov_b32_e32 v0, 0
	s_mov_b32 s2, exec_lo
	s_delay_alu instid0(VALU_DEP_2)
	v_cmpx_ne_u16_e32 0, v1
	s_cbranch_execz .LBB466_1216
; %bb.1209:                             ;   in Loop: Header=BB466_8 Depth=1
	v_bfrev_b32_e32 v0, 1
	s_mov_b32 s18, exec_lo
	v_cmpx_ne_u16_e32 0x80, v1
	s_cbranch_execz .LBB466_1215
; %bb.1210:                             ;   in Loop: Header=BB466_8 Depth=1
	v_and_b32_e32 v1, 0x7f, v31
	v_mov_b32_e32 v0, 0x7f800001
	s_mov_b32 s19, exec_lo
	s_delay_alu instid0(VALU_DEP_2)
	v_cmpx_ne_u32_e32 0x7f, v1
	s_cbranch_execz .LBB466_1214
; %bb.1211:                             ;   in Loop: Header=BB466_8 Depth=1
	v_lshrrev_b32_e32 v0, 3, v1
	v_dual_mov_b32 v33, v19 :: v_dual_mov_b32 v32, v18
	s_mov_b32 s20, exec_lo
	v_cmpx_gt_u32_e32 8, v1
; %bb.1212:                             ;   in Loop: Header=BB466_8 Depth=1
	v_and_b32_e32 v0, 7, v31
	s_delay_alu instid0(VALU_DEP_1) | instskip(NEXT) | instid1(VALU_DEP_1)
	v_clz_i32_u32_e32 v0, v0
	v_min_u32_e32 v0, 32, v0
	s_delay_alu instid0(VALU_DEP_1) | instskip(SKIP_1) | instid1(VALU_DEP_2)
	v_subrev_nc_u32_e32 v1, 28, v0
	v_sub_nc_u32_e32 v0, 29, v0
	v_lshlrev_b64 v[32:33], v1, v[18:19]
; %bb.1213:                             ;   in Loop: Header=BB466_8 Depth=1
	s_or_b32 exec_lo, exec_lo, s20
	s_delay_alu instid0(VALU_DEP_1) | instskip(SKIP_2) | instid1(VALU_DEP_3)
	v_lshlrev_b32_e32 v1, 20, v32
	v_lshlrev_b32_e32 v2, 24, v18
	v_lshl_add_u32 v0, v0, 23, 0x3c000000
	v_and_b32_e32 v1, 0x700000, v1
	s_delay_alu instid0(VALU_DEP_3) | instskip(NEXT) | instid1(VALU_DEP_1)
	v_and_b32_e32 v2, 0x80000000, v2
	v_or3_b32 v0, v1, v2, v0
.LBB466_1214:                           ;   in Loop: Header=BB466_8 Depth=1
	s_or_b32 exec_lo, exec_lo, s19
.LBB466_1215:                           ;   in Loop: Header=BB466_8 Depth=1
	s_delay_alu instid0(SALU_CYCLE_1)
	s_or_b32 exec_lo, exec_lo, s18
.LBB466_1216:                           ;   in Loop: Header=BB466_8 Depth=1
	s_delay_alu instid0(SALU_CYCLE_1) | instskip(NEXT) | instid1(VALU_DEP_1)
	s_or_b32 exec_lo, exec_lo, s2
	v_mul_f32_e32 v0, v102, v0
                                        ; implicit-def: $vgpr153
	s_delay_alu instid0(VALU_DEP_1) | instskip(NEXT) | instid1(VALU_DEP_1)
	v_and_b32_e32 v1, 0x7f800000, v0
	v_cmp_ne_u32_e64 s1, 0x7f800000, v1
	s_delay_alu instid0(VALU_DEP_1) | instskip(NEXT) | instid1(SALU_CYCLE_1)
	s_and_saveexec_b32 s2, s1
	s_xor_b32 s1, exec_lo, s2
; %bb.1217:                             ;   in Loop: Header=BB466_8 Depth=1
	v_bfe_u32 v1, v0, 16, 1
	s_delay_alu instid0(VALU_DEP_1)
	v_add3_u32 v153, v0, v1, 0x7fff
                                        ; implicit-def: $vgpr0
; %bb.1218:                             ;   in Loop: Header=BB466_8 Depth=1
	s_and_not1_saveexec_b32 s2, s1
; %bb.1219:                             ;   in Loop: Header=BB466_8 Depth=1
	v_and_b32_e32 v1, 0xffff, v0
	v_or_b32_e32 v2, 0x10000, v0
	s_delay_alu instid0(VALU_DEP_2) | instskip(NEXT) | instid1(VALU_DEP_1)
	v_cmp_eq_u32_e64 s1, 0, v1
	v_cndmask_b32_e64 v153, v2, v0, s1
; %bb.1220:                             ;   in Loop: Header=BB466_8 Depth=1
	s_or_b32 exec_lo, exec_lo, s2
	v_lshrrev_b16 v1, 8, v18
	v_mov_b32_e32 v0, 0
	s_mov_b32 s2, exec_lo
	s_delay_alu instid0(VALU_DEP_2)
	v_cmpx_ne_u16_e32 0, v1
	s_cbranch_execz .LBB466_1228
; %bb.1221:                             ;   in Loop: Header=BB466_8 Depth=1
	v_bfrev_b32_e32 v0, 1
	s_mov_b32 s18, exec_lo
	v_cmpx_ne_u16_e32 0x80, v1
	s_cbranch_execz .LBB466_1227
; %bb.1222:                             ;   in Loop: Header=BB466_8 Depth=1
	v_and_b32_e32 v2, 0xffff, v1
	v_mov_b32_e32 v0, 0x7f800001
	s_mov_b32 s19, exec_lo
	s_delay_alu instid0(VALU_DEP_2) | instskip(NEXT) | instid1(VALU_DEP_1)
	v_and_b32_e32 v1, 0x7f, v2
	v_cmpx_ne_u32_e32 0x7f, v1
	s_cbranch_execz .LBB466_1226
; %bb.1223:                             ;   in Loop: Header=BB466_8 Depth=1
	v_dual_mov_b32 v33, v19 :: v_dual_and_b32 v32, 7, v2
	v_lshrrev_b32_e32 v0, 3, v1
	s_mov_b32 s20, exec_lo
	v_cmpx_gt_u32_e32 8, v1
; %bb.1224:                             ;   in Loop: Header=BB466_8 Depth=1
	s_delay_alu instid0(VALU_DEP_3) | instskip(NEXT) | instid1(VALU_DEP_1)
	v_clz_i32_u32_e32 v0, v32
	v_min_u32_e32 v0, 32, v0
	s_delay_alu instid0(VALU_DEP_1) | instskip(SKIP_1) | instid1(VALU_DEP_2)
	v_subrev_nc_u32_e32 v1, 28, v0
	v_sub_nc_u32_e32 v0, 29, v0
	v_lshlrev_b64 v[1:2], v1, v[32:33]
	s_delay_alu instid0(VALU_DEP_1)
	v_and_b32_e32 v32, 7, v1
; %bb.1225:                             ;   in Loop: Header=BB466_8 Depth=1
	s_or_b32 exec_lo, exec_lo, s20
	v_lshlrev_b32_e32 v1, 16, v18
	s_delay_alu instid0(VALU_DEP_2) | instskip(SKIP_1) | instid1(VALU_DEP_3)
	v_lshlrev_b32_e32 v2, 20, v32
	v_lshl_add_u32 v0, v0, 23, 0x3c000000
	v_and_b32_e32 v1, 0x80000000, v1
	s_delay_alu instid0(VALU_DEP_1)
	v_or3_b32 v0, v2, v1, v0
.LBB466_1226:                           ;   in Loop: Header=BB466_8 Depth=1
	s_or_b32 exec_lo, exec_lo, s19
.LBB466_1227:                           ;   in Loop: Header=BB466_8 Depth=1
	s_delay_alu instid0(SALU_CYCLE_1)
	s_or_b32 exec_lo, exec_lo, s18
.LBB466_1228:                           ;   in Loop: Header=BB466_8 Depth=1
	s_delay_alu instid0(SALU_CYCLE_1) | instskip(NEXT) | instid1(VALU_DEP_1)
	s_or_b32 exec_lo, exec_lo, s2
	v_mul_f32_e32 v0, v102, v0
                                        ; implicit-def: $vgpr154
	s_delay_alu instid0(VALU_DEP_1) | instskip(NEXT) | instid1(VALU_DEP_1)
	v_and_b32_e32 v1, 0x7f800000, v0
	v_cmp_ne_u32_e64 s1, 0x7f800000, v1
	s_delay_alu instid0(VALU_DEP_1) | instskip(NEXT) | instid1(SALU_CYCLE_1)
	s_and_saveexec_b32 s2, s1
	s_xor_b32 s1, exec_lo, s2
; %bb.1229:                             ;   in Loop: Header=BB466_8 Depth=1
	v_bfe_u32 v1, v0, 16, 1
	s_delay_alu instid0(VALU_DEP_1)
	v_add3_u32 v154, v0, v1, 0x7fff
                                        ; implicit-def: $vgpr0
; %bb.1230:                             ;   in Loop: Header=BB466_8 Depth=1
	s_and_not1_saveexec_b32 s2, s1
; %bb.1231:                             ;   in Loop: Header=BB466_8 Depth=1
	v_and_b32_e32 v1, 0xffff, v0
	v_or_b32_e32 v2, 0x10000, v0
	s_delay_alu instid0(VALU_DEP_2) | instskip(NEXT) | instid1(VALU_DEP_1)
	v_cmp_eq_u32_e64 s1, 0, v1
	v_cndmask_b32_e64 v154, v2, v0, s1
; %bb.1232:                             ;   in Loop: Header=BB466_8 Depth=1
	s_or_b32 exec_lo, exec_lo, s2
	v_lshrrev_b32_e32 v0, 16, v31
	s_mov_b32 s2, exec_lo
	s_delay_alu instid0(VALU_DEP_1) | instskip(NEXT) | instid1(VALU_DEP_1)
	v_dual_mov_b32 v1, 0 :: v_dual_and_b32 v2, 0xff, v0
	v_cmpx_ne_u16_e32 0, v2
	s_cbranch_execz .LBB466_1240
; %bb.1233:                             ;   in Loop: Header=BB466_8 Depth=1
	v_bfrev_b32_e32 v1, 1
	s_mov_b32 s18, exec_lo
	v_cmpx_ne_u16_e32 0x80, v2
	s_cbranch_execz .LBB466_1239
; %bb.1234:                             ;   in Loop: Header=BB466_8 Depth=1
	v_bfe_u32 v2, v31, 16, 7
	v_mov_b32_e32 v1, 0x7f800001
	s_mov_b32 s19, exec_lo
	s_delay_alu instid0(VALU_DEP_2)
	v_cmpx_ne_u32_e32 0x7f, v2
	s_cbranch_execz .LBB466_1238
; %bb.1235:                             ;   in Loop: Header=BB466_8 Depth=1
	v_and_b32_e32 v18, 7, v0
	v_lshrrev_b32_e32 v1, 3, v2
	v_mov_b32_e32 v33, v19
	s_mov_b32 s20, exec_lo
	s_delay_alu instid0(VALU_DEP_3)
	v_mov_b32_e32 v32, v18
	v_cmpx_gt_u32_e32 8, v2
; %bb.1236:                             ;   in Loop: Header=BB466_8 Depth=1
	v_clz_i32_u32_e32 v1, v18
	s_delay_alu instid0(VALU_DEP_1) | instskip(NEXT) | instid1(VALU_DEP_1)
	v_min_u32_e32 v1, 32, v1
	v_subrev_nc_u32_e32 v2, 28, v1
	v_sub_nc_u32_e32 v1, 29, v1
	s_delay_alu instid0(VALU_DEP_2) | instskip(NEXT) | instid1(VALU_DEP_1)
	v_lshlrev_b64 v[2:3], v2, v[18:19]
	v_and_b32_e32 v32, 7, v2
; %bb.1237:                             ;   in Loop: Header=BB466_8 Depth=1
	s_or_b32 exec_lo, exec_lo, s20
	v_lshlrev_b32_e32 v0, 24, v0
	s_delay_alu instid0(VALU_DEP_2) | instskip(SKIP_1) | instid1(VALU_DEP_3)
	v_lshlrev_b32_e32 v2, 20, v32
	v_lshl_add_u32 v1, v1, 23, 0x3c000000
	v_and_b32_e32 v0, 0x80000000, v0
	s_delay_alu instid0(VALU_DEP_1)
	v_or3_b32 v1, v2, v0, v1
.LBB466_1238:                           ;   in Loop: Header=BB466_8 Depth=1
	s_or_b32 exec_lo, exec_lo, s19
.LBB466_1239:                           ;   in Loop: Header=BB466_8 Depth=1
	s_delay_alu instid0(SALU_CYCLE_1)
	s_or_b32 exec_lo, exec_lo, s18
.LBB466_1240:                           ;   in Loop: Header=BB466_8 Depth=1
	s_delay_alu instid0(SALU_CYCLE_1) | instskip(NEXT) | instid1(VALU_DEP_1)
	s_or_b32 exec_lo, exec_lo, s2
	v_mul_f32_e32 v0, v102, v1
                                        ; implicit-def: $vgpr155
	s_delay_alu instid0(VALU_DEP_1) | instskip(NEXT) | instid1(VALU_DEP_1)
	v_and_b32_e32 v1, 0x7f800000, v0
	v_cmp_ne_u32_e64 s1, 0x7f800000, v1
	s_delay_alu instid0(VALU_DEP_1) | instskip(NEXT) | instid1(SALU_CYCLE_1)
	s_and_saveexec_b32 s2, s1
	s_xor_b32 s1, exec_lo, s2
; %bb.1241:                             ;   in Loop: Header=BB466_8 Depth=1
	v_bfe_u32 v1, v0, 16, 1
	s_delay_alu instid0(VALU_DEP_1)
	v_add3_u32 v155, v0, v1, 0x7fff
                                        ; implicit-def: $vgpr0
; %bb.1242:                             ;   in Loop: Header=BB466_8 Depth=1
	s_and_not1_saveexec_b32 s2, s1
; %bb.1243:                             ;   in Loop: Header=BB466_8 Depth=1
	v_and_b32_e32 v1, 0xffff, v0
	v_or_b32_e32 v2, 0x10000, v0
	s_delay_alu instid0(VALU_DEP_2) | instskip(NEXT) | instid1(VALU_DEP_1)
	v_cmp_eq_u32_e64 s1, 0, v1
	v_cndmask_b32_e64 v155, v2, v0, s1
; %bb.1244:                             ;   in Loop: Header=BB466_8 Depth=1
	s_or_b32 exec_lo, exec_lo, s2
	v_mov_b32_e32 v1, 0
	s_mov_b32 s2, exec_lo
	v_cmpx_lt_u64_e64 s[8:9], v[30:31]
	s_cbranch_execz .LBB466_1252
; %bb.1245:                             ;   in Loop: Header=BB466_8 Depth=1
	v_lshrrev_b32_e32 v0, 24, v31
	v_bfrev_b32_e32 v1, 1
	s_mov_b32 s18, exec_lo
	s_delay_alu instid0(VALU_DEP_2)
	v_cmpx_ne_u32_e32 0x80, v0
	s_cbranch_execz .LBB466_1251
; %bb.1246:                             ;   in Loop: Header=BB466_8 Depth=1
	v_bfe_u32 v2, v31, 24, 7
	v_mov_b32_e32 v1, 0x7f800001
	s_mov_b32 s19, exec_lo
	s_delay_alu instid0(VALU_DEP_2)
	v_cmpx_ne_u32_e32 0x7f, v2
	s_cbranch_execz .LBB466_1250
; %bb.1247:                             ;   in Loop: Header=BB466_8 Depth=1
	v_and_b32_e32 v18, 7, v0
	v_lshrrev_b32_e32 v1, 3, v2
	v_mov_b32_e32 v31, v19
	s_mov_b32 s20, exec_lo
	s_delay_alu instid0(VALU_DEP_3)
	v_mov_b32_e32 v30, v18
	v_cmpx_gt_u32_e32 8, v2
; %bb.1248:                             ;   in Loop: Header=BB466_8 Depth=1
	v_clz_i32_u32_e32 v1, v18
	s_delay_alu instid0(VALU_DEP_1) | instskip(NEXT) | instid1(VALU_DEP_1)
	v_min_u32_e32 v1, 32, v1
	v_subrev_nc_u32_e32 v2, 28, v1
	v_sub_nc_u32_e32 v1, 29, v1
	s_delay_alu instid0(VALU_DEP_2) | instskip(NEXT) | instid1(VALU_DEP_1)
	v_lshlrev_b64 v[2:3], v2, v[18:19]
	v_and_b32_e32 v30, 7, v2
; %bb.1249:                             ;   in Loop: Header=BB466_8 Depth=1
	s_or_b32 exec_lo, exec_lo, s20
	v_lshlrev_b32_e32 v0, 24, v0
	s_delay_alu instid0(VALU_DEP_2) | instskip(SKIP_1) | instid1(VALU_DEP_3)
	v_lshlrev_b32_e32 v2, 20, v30
	v_lshl_add_u32 v1, v1, 23, 0x3c000000
	v_and_b32_e32 v0, 0x80000000, v0
	s_delay_alu instid0(VALU_DEP_1)
	v_or3_b32 v1, v2, v0, v1
.LBB466_1250:                           ;   in Loop: Header=BB466_8 Depth=1
	s_or_b32 exec_lo, exec_lo, s19
.LBB466_1251:                           ;   in Loop: Header=BB466_8 Depth=1
	s_delay_alu instid0(SALU_CYCLE_1)
	s_or_b32 exec_lo, exec_lo, s18
.LBB466_1252:                           ;   in Loop: Header=BB466_8 Depth=1
	s_delay_alu instid0(SALU_CYCLE_1) | instskip(NEXT) | instid1(VALU_DEP_1)
	s_or_b32 exec_lo, exec_lo, s2
	v_mul_f32_e32 v0, v102, v1
                                        ; implicit-def: $vgpr156
	s_delay_alu instid0(VALU_DEP_1) | instskip(NEXT) | instid1(VALU_DEP_1)
	v_and_b32_e32 v1, 0x7f800000, v0
	v_cmp_ne_u32_e64 s1, 0x7f800000, v1
	s_delay_alu instid0(VALU_DEP_1) | instskip(NEXT) | instid1(SALU_CYCLE_1)
	s_and_saveexec_b32 s2, s1
	s_xor_b32 s1, exec_lo, s2
; %bb.1253:                             ;   in Loop: Header=BB466_8 Depth=1
	v_bfe_u32 v1, v0, 16, 1
	s_delay_alu instid0(VALU_DEP_1)
	v_add3_u32 v156, v0, v1, 0x7fff
                                        ; implicit-def: $vgpr0
; %bb.1254:                             ;   in Loop: Header=BB466_8 Depth=1
	s_and_not1_saveexec_b32 s2, s1
; %bb.1255:                             ;   in Loop: Header=BB466_8 Depth=1
	v_and_b32_e32 v1, 0xffff, v0
	v_or_b32_e32 v2, 0x10000, v0
	s_delay_alu instid0(VALU_DEP_2) | instskip(NEXT) | instid1(VALU_DEP_1)
	v_cmp_eq_u32_e64 s1, 0, v1
	v_cndmask_b32_e64 v156, v2, v0, s1
; %bb.1256:                             ;   in Loop: Header=BB466_8 Depth=1
	s_or_b32 exec_lo, exec_lo, s2
	flat_load_b64 v[30:31], v[28:29] offset:3080
	s_mov_b32 s2, exec_lo
	s_waitcnt vmcnt(0) lgkmcnt(0)
	v_dual_mov_b32 v0, 0 :: v_dual_and_b32 v1, 0xff, v30
	s_delay_alu instid0(VALU_DEP_1)
	v_cmpx_ne_u16_e32 0, v1
	s_cbranch_execz .LBB466_1264
; %bb.1257:                             ;   in Loop: Header=BB466_8 Depth=1
	v_bfrev_b32_e32 v0, 1
	s_mov_b32 s18, exec_lo
	v_cmpx_ne_u16_e32 0x80, v1
	s_cbranch_execz .LBB466_1263
; %bb.1258:                             ;   in Loop: Header=BB466_8 Depth=1
	v_and_b32_e32 v1, 0x7f, v30
	v_mov_b32_e32 v0, 0x7f800001
	s_mov_b32 s19, exec_lo
	s_delay_alu instid0(VALU_DEP_2)
	v_cmpx_ne_u32_e32 0x7f, v1
	s_cbranch_execz .LBB466_1262
; %bb.1259:                             ;   in Loop: Header=BB466_8 Depth=1
	v_lshrrev_b32_e32 v0, 3, v1
	v_dual_mov_b32 v33, v31 :: v_dual_mov_b32 v32, v30
	s_mov_b32 s20, exec_lo
	v_cmpx_gt_u32_e32 8, v1
; %bb.1260:                             ;   in Loop: Header=BB466_8 Depth=1
	v_and_b32_e32 v0, 7, v30
	s_delay_alu instid0(VALU_DEP_1) | instskip(NEXT) | instid1(VALU_DEP_1)
	v_clz_i32_u32_e32 v0, v0
	v_min_u32_e32 v0, 32, v0
	s_delay_alu instid0(VALU_DEP_1) | instskip(SKIP_1) | instid1(VALU_DEP_2)
	v_subrev_nc_u32_e32 v1, 28, v0
	v_sub_nc_u32_e32 v0, 29, v0
	v_lshlrev_b64 v[32:33], v1, v[30:31]
; %bb.1261:                             ;   in Loop: Header=BB466_8 Depth=1
	s_or_b32 exec_lo, exec_lo, s20
	s_delay_alu instid0(VALU_DEP_1) | instskip(SKIP_2) | instid1(VALU_DEP_3)
	v_lshlrev_b32_e32 v1, 20, v32
	v_lshlrev_b32_e32 v2, 24, v30
	v_lshl_add_u32 v0, v0, 23, 0x3c000000
	v_and_b32_e32 v1, 0x700000, v1
	s_delay_alu instid0(VALU_DEP_3) | instskip(NEXT) | instid1(VALU_DEP_1)
	v_and_b32_e32 v2, 0x80000000, v2
	v_or3_b32 v0, v1, v2, v0
.LBB466_1262:                           ;   in Loop: Header=BB466_8 Depth=1
	s_or_b32 exec_lo, exec_lo, s19
.LBB466_1263:                           ;   in Loop: Header=BB466_8 Depth=1
	s_delay_alu instid0(SALU_CYCLE_1)
	s_or_b32 exec_lo, exec_lo, s18
.LBB466_1264:                           ;   in Loop: Header=BB466_8 Depth=1
	s_delay_alu instid0(SALU_CYCLE_1) | instskip(NEXT) | instid1(VALU_DEP_1)
	s_or_b32 exec_lo, exec_lo, s2
	v_mul_f32_e32 v0, v102, v0
                                        ; implicit-def: $vgpr157
	s_delay_alu instid0(VALU_DEP_1) | instskip(NEXT) | instid1(VALU_DEP_1)
	v_and_b32_e32 v1, 0x7f800000, v0
	v_cmp_ne_u32_e64 s1, 0x7f800000, v1
	s_delay_alu instid0(VALU_DEP_1) | instskip(NEXT) | instid1(SALU_CYCLE_1)
	s_and_saveexec_b32 s2, s1
	s_xor_b32 s1, exec_lo, s2
; %bb.1265:                             ;   in Loop: Header=BB466_8 Depth=1
	v_bfe_u32 v1, v0, 16, 1
	s_delay_alu instid0(VALU_DEP_1)
	v_add3_u32 v157, v0, v1, 0x7fff
                                        ; implicit-def: $vgpr0
; %bb.1266:                             ;   in Loop: Header=BB466_8 Depth=1
	s_and_not1_saveexec_b32 s2, s1
; %bb.1267:                             ;   in Loop: Header=BB466_8 Depth=1
	v_and_b32_e32 v1, 0xffff, v0
	v_or_b32_e32 v2, 0x10000, v0
	s_delay_alu instid0(VALU_DEP_2) | instskip(NEXT) | instid1(VALU_DEP_1)
	v_cmp_eq_u32_e64 s1, 0, v1
	v_cndmask_b32_e64 v157, v2, v0, s1
; %bb.1268:                             ;   in Loop: Header=BB466_8 Depth=1
	s_or_b32 exec_lo, exec_lo, s2
	v_lshrrev_b16 v1, 8, v30
	v_mov_b32_e32 v0, 0
	s_mov_b32 s2, exec_lo
	s_delay_alu instid0(VALU_DEP_2)
	v_cmpx_ne_u16_e32 0, v1
	s_cbranch_execz .LBB466_1276
; %bb.1269:                             ;   in Loop: Header=BB466_8 Depth=1
	v_bfrev_b32_e32 v0, 1
	s_mov_b32 s18, exec_lo
	v_cmpx_ne_u16_e32 0x80, v1
	s_cbranch_execz .LBB466_1275
; %bb.1270:                             ;   in Loop: Header=BB466_8 Depth=1
	v_and_b32_e32 v2, 0xffff, v1
	v_mov_b32_e32 v0, 0x7f800001
	s_mov_b32 s19, exec_lo
	s_delay_alu instid0(VALU_DEP_2) | instskip(NEXT) | instid1(VALU_DEP_1)
	v_and_b32_e32 v1, 0x7f, v2
	v_cmpx_ne_u32_e32 0x7f, v1
	s_cbranch_execz .LBB466_1274
; %bb.1271:                             ;   in Loop: Header=BB466_8 Depth=1
	v_and_b32_e32 v18, 7, v2
	v_lshrrev_b32_e32 v0, 3, v1
	v_mov_b32_e32 v33, v19
	s_mov_b32 s20, exec_lo
	s_delay_alu instid0(VALU_DEP_3)
	v_mov_b32_e32 v32, v18
	v_cmpx_gt_u32_e32 8, v1
; %bb.1272:                             ;   in Loop: Header=BB466_8 Depth=1
	v_clz_i32_u32_e32 v0, v18
	s_delay_alu instid0(VALU_DEP_1) | instskip(NEXT) | instid1(VALU_DEP_1)
	v_min_u32_e32 v0, 32, v0
	v_subrev_nc_u32_e32 v1, 28, v0
	v_sub_nc_u32_e32 v0, 29, v0
	s_delay_alu instid0(VALU_DEP_2) | instskip(NEXT) | instid1(VALU_DEP_1)
	v_lshlrev_b64 v[1:2], v1, v[18:19]
	v_and_b32_e32 v32, 7, v1
; %bb.1273:                             ;   in Loop: Header=BB466_8 Depth=1
	s_or_b32 exec_lo, exec_lo, s20
	v_lshlrev_b32_e32 v1, 16, v30
	s_delay_alu instid0(VALU_DEP_2) | instskip(SKIP_1) | instid1(VALU_DEP_3)
	v_lshlrev_b32_e32 v2, 20, v32
	v_lshl_add_u32 v0, v0, 23, 0x3c000000
	v_and_b32_e32 v1, 0x80000000, v1
	s_delay_alu instid0(VALU_DEP_1)
	v_or3_b32 v0, v2, v1, v0
.LBB466_1274:                           ;   in Loop: Header=BB466_8 Depth=1
	s_or_b32 exec_lo, exec_lo, s19
.LBB466_1275:                           ;   in Loop: Header=BB466_8 Depth=1
	s_delay_alu instid0(SALU_CYCLE_1)
	s_or_b32 exec_lo, exec_lo, s18
.LBB466_1276:                           ;   in Loop: Header=BB466_8 Depth=1
	s_delay_alu instid0(SALU_CYCLE_1) | instskip(NEXT) | instid1(VALU_DEP_1)
	s_or_b32 exec_lo, exec_lo, s2
	v_mul_f32_e32 v0, v102, v0
                                        ; implicit-def: $vgpr158
	s_delay_alu instid0(VALU_DEP_1) | instskip(NEXT) | instid1(VALU_DEP_1)
	v_and_b32_e32 v1, 0x7f800000, v0
	v_cmp_ne_u32_e64 s1, 0x7f800000, v1
	s_delay_alu instid0(VALU_DEP_1) | instskip(NEXT) | instid1(SALU_CYCLE_1)
	s_and_saveexec_b32 s2, s1
	s_xor_b32 s1, exec_lo, s2
; %bb.1277:                             ;   in Loop: Header=BB466_8 Depth=1
	v_bfe_u32 v1, v0, 16, 1
	s_delay_alu instid0(VALU_DEP_1)
	v_add3_u32 v158, v0, v1, 0x7fff
                                        ; implicit-def: $vgpr0
; %bb.1278:                             ;   in Loop: Header=BB466_8 Depth=1
	s_and_not1_saveexec_b32 s2, s1
; %bb.1279:                             ;   in Loop: Header=BB466_8 Depth=1
	v_and_b32_e32 v1, 0xffff, v0
	v_or_b32_e32 v2, 0x10000, v0
	s_delay_alu instid0(VALU_DEP_2) | instskip(NEXT) | instid1(VALU_DEP_1)
	v_cmp_eq_u32_e64 s1, 0, v1
	v_cndmask_b32_e64 v158, v2, v0, s1
; %bb.1280:                             ;   in Loop: Header=BB466_8 Depth=1
	s_or_b32 exec_lo, exec_lo, s2
	v_lshrrev_b32_e32 v0, 16, v30
	s_mov_b32 s2, exec_lo
	s_delay_alu instid0(VALU_DEP_1) | instskip(NEXT) | instid1(VALU_DEP_1)
	v_dual_mov_b32 v1, 0 :: v_dual_and_b32 v2, 0xff, v0
	v_cmpx_ne_u16_e32 0, v2
	s_cbranch_execz .LBB466_1288
; %bb.1281:                             ;   in Loop: Header=BB466_8 Depth=1
	v_bfrev_b32_e32 v1, 1
	s_mov_b32 s18, exec_lo
	v_cmpx_ne_u16_e32 0x80, v2
	s_cbranch_execz .LBB466_1287
; %bb.1282:                             ;   in Loop: Header=BB466_8 Depth=1
	v_bfe_u32 v2, v30, 16, 7
	v_mov_b32_e32 v1, 0x7f800001
	s_mov_b32 s19, exec_lo
	s_delay_alu instid0(VALU_DEP_2)
	v_cmpx_ne_u32_e32 0x7f, v2
	s_cbranch_execz .LBB466_1286
; %bb.1283:                             ;   in Loop: Header=BB466_8 Depth=1
	v_and_b32_e32 v18, 7, v0
	v_lshrrev_b32_e32 v1, 3, v2
	v_mov_b32_e32 v33, v19
	s_mov_b32 s20, exec_lo
	s_delay_alu instid0(VALU_DEP_3)
	v_mov_b32_e32 v32, v18
	v_cmpx_gt_u32_e32 8, v2
; %bb.1284:                             ;   in Loop: Header=BB466_8 Depth=1
	v_clz_i32_u32_e32 v1, v18
	s_delay_alu instid0(VALU_DEP_1) | instskip(NEXT) | instid1(VALU_DEP_1)
	v_min_u32_e32 v1, 32, v1
	v_subrev_nc_u32_e32 v2, 28, v1
	v_sub_nc_u32_e32 v1, 29, v1
	s_delay_alu instid0(VALU_DEP_2) | instskip(NEXT) | instid1(VALU_DEP_1)
	v_lshlrev_b64 v[2:3], v2, v[18:19]
	v_and_b32_e32 v32, 7, v2
; %bb.1285:                             ;   in Loop: Header=BB466_8 Depth=1
	s_or_b32 exec_lo, exec_lo, s20
	v_lshlrev_b32_e32 v0, 24, v0
	s_delay_alu instid0(VALU_DEP_2) | instskip(SKIP_1) | instid1(VALU_DEP_3)
	v_lshlrev_b32_e32 v2, 20, v32
	v_lshl_add_u32 v1, v1, 23, 0x3c000000
	v_and_b32_e32 v0, 0x80000000, v0
	s_delay_alu instid0(VALU_DEP_1)
	v_or3_b32 v1, v2, v0, v1
.LBB466_1286:                           ;   in Loop: Header=BB466_8 Depth=1
	s_or_b32 exec_lo, exec_lo, s19
.LBB466_1287:                           ;   in Loop: Header=BB466_8 Depth=1
	s_delay_alu instid0(SALU_CYCLE_1)
	s_or_b32 exec_lo, exec_lo, s18
.LBB466_1288:                           ;   in Loop: Header=BB466_8 Depth=1
	s_delay_alu instid0(SALU_CYCLE_1) | instskip(NEXT) | instid1(VALU_DEP_1)
	s_or_b32 exec_lo, exec_lo, s2
	v_mul_f32_e32 v0, v102, v1
                                        ; implicit-def: $vgpr159
	s_delay_alu instid0(VALU_DEP_1) | instskip(NEXT) | instid1(VALU_DEP_1)
	v_and_b32_e32 v1, 0x7f800000, v0
	v_cmp_ne_u32_e64 s1, 0x7f800000, v1
	s_delay_alu instid0(VALU_DEP_1) | instskip(NEXT) | instid1(SALU_CYCLE_1)
	s_and_saveexec_b32 s2, s1
	s_xor_b32 s1, exec_lo, s2
; %bb.1289:                             ;   in Loop: Header=BB466_8 Depth=1
	v_bfe_u32 v1, v0, 16, 1
	s_delay_alu instid0(VALU_DEP_1)
	v_add3_u32 v159, v0, v1, 0x7fff
                                        ; implicit-def: $vgpr0
; %bb.1290:                             ;   in Loop: Header=BB466_8 Depth=1
	s_and_not1_saveexec_b32 s2, s1
; %bb.1291:                             ;   in Loop: Header=BB466_8 Depth=1
	v_and_b32_e32 v1, 0xffff, v0
	v_or_b32_e32 v2, 0x10000, v0
	s_delay_alu instid0(VALU_DEP_2) | instskip(NEXT) | instid1(VALU_DEP_1)
	v_cmp_eq_u32_e64 s1, 0, v1
	v_cndmask_b32_e64 v159, v2, v0, s1
; %bb.1292:                             ;   in Loop: Header=BB466_8 Depth=1
	s_or_b32 exec_lo, exec_lo, s2
	v_mov_b32_e32 v1, 0
	s_mov_b32 s2, exec_lo
	v_cmpx_lt_u32_e32 0xffffff, v30
	s_cbranch_execz .LBB466_1300
; %bb.1293:                             ;   in Loop: Header=BB466_8 Depth=1
	v_lshrrev_b32_e32 v0, 24, v30
	v_bfrev_b32_e32 v1, 1
	s_mov_b32 s18, exec_lo
	s_delay_alu instid0(VALU_DEP_2)
	v_cmpx_ne_u32_e32 0x80, v0
	s_cbranch_execz .LBB466_1299
; %bb.1294:                             ;   in Loop: Header=BB466_8 Depth=1
	v_bfe_u32 v2, v30, 24, 7
	v_mov_b32_e32 v1, 0x7f800001
	s_mov_b32 s19, exec_lo
	s_delay_alu instid0(VALU_DEP_2)
	v_cmpx_ne_u32_e32 0x7f, v2
	s_cbranch_execz .LBB466_1298
; %bb.1295:                             ;   in Loop: Header=BB466_8 Depth=1
	v_and_b32_e32 v18, 7, v0
	v_lshrrev_b32_e32 v1, 3, v2
	v_mov_b32_e32 v33, v19
	s_mov_b32 s20, exec_lo
	s_delay_alu instid0(VALU_DEP_3)
	v_mov_b32_e32 v32, v18
	v_cmpx_gt_u32_e32 8, v2
; %bb.1296:                             ;   in Loop: Header=BB466_8 Depth=1
	v_clz_i32_u32_e32 v1, v18
	s_delay_alu instid0(VALU_DEP_1) | instskip(NEXT) | instid1(VALU_DEP_1)
	v_min_u32_e32 v1, 32, v1
	v_subrev_nc_u32_e32 v2, 28, v1
	v_sub_nc_u32_e32 v1, 29, v1
	s_delay_alu instid0(VALU_DEP_2) | instskip(NEXT) | instid1(VALU_DEP_1)
	v_lshlrev_b64 v[2:3], v2, v[18:19]
	v_and_b32_e32 v32, 7, v2
; %bb.1297:                             ;   in Loop: Header=BB466_8 Depth=1
	s_or_b32 exec_lo, exec_lo, s20
	v_lshlrev_b32_e32 v0, 24, v0
	s_delay_alu instid0(VALU_DEP_2) | instskip(SKIP_1) | instid1(VALU_DEP_3)
	v_lshlrev_b32_e32 v2, 20, v32
	v_lshl_add_u32 v1, v1, 23, 0x3c000000
	v_and_b32_e32 v0, 0x80000000, v0
	s_delay_alu instid0(VALU_DEP_1)
	v_or3_b32 v1, v2, v0, v1
.LBB466_1298:                           ;   in Loop: Header=BB466_8 Depth=1
	s_or_b32 exec_lo, exec_lo, s19
.LBB466_1299:                           ;   in Loop: Header=BB466_8 Depth=1
	s_delay_alu instid0(SALU_CYCLE_1)
	s_or_b32 exec_lo, exec_lo, s18
.LBB466_1300:                           ;   in Loop: Header=BB466_8 Depth=1
	s_delay_alu instid0(SALU_CYCLE_1) | instskip(NEXT) | instid1(VALU_DEP_1)
	s_or_b32 exec_lo, exec_lo, s2
	v_mul_f32_e32 v0, v102, v1
                                        ; implicit-def: $vgpr168
	s_delay_alu instid0(VALU_DEP_1) | instskip(NEXT) | instid1(VALU_DEP_1)
	v_and_b32_e32 v1, 0x7f800000, v0
	v_cmp_ne_u32_e64 s1, 0x7f800000, v1
	s_delay_alu instid0(VALU_DEP_1) | instskip(NEXT) | instid1(SALU_CYCLE_1)
	s_and_saveexec_b32 s2, s1
	s_xor_b32 s1, exec_lo, s2
; %bb.1301:                             ;   in Loop: Header=BB466_8 Depth=1
	v_bfe_u32 v1, v0, 16, 1
	s_delay_alu instid0(VALU_DEP_1)
	v_add3_u32 v168, v0, v1, 0x7fff
                                        ; implicit-def: $vgpr0
; %bb.1302:                             ;   in Loop: Header=BB466_8 Depth=1
	s_and_not1_saveexec_b32 s2, s1
; %bb.1303:                             ;   in Loop: Header=BB466_8 Depth=1
	v_and_b32_e32 v1, 0xffff, v0
	v_or_b32_e32 v2, 0x10000, v0
	s_delay_alu instid0(VALU_DEP_2) | instskip(NEXT) | instid1(VALU_DEP_1)
	v_cmp_eq_u32_e64 s1, 0, v1
	v_cndmask_b32_e64 v168, v2, v0, s1
; %bb.1304:                             ;   in Loop: Header=BB466_8 Depth=1
	s_or_b32 exec_lo, exec_lo, s2
	v_dual_mov_b32 v18, v31 :: v_dual_and_b32 v1, 0xff, v31
	v_mov_b32_e32 v0, 0
	s_mov_b32 s2, exec_lo
	s_delay_alu instid0(VALU_DEP_2)
	v_cmpx_ne_u16_e32 0, v1
	s_cbranch_execz .LBB466_1312
; %bb.1305:                             ;   in Loop: Header=BB466_8 Depth=1
	v_bfrev_b32_e32 v0, 1
	s_mov_b32 s18, exec_lo
	v_cmpx_ne_u16_e32 0x80, v1
	s_cbranch_execz .LBB466_1311
; %bb.1306:                             ;   in Loop: Header=BB466_8 Depth=1
	v_and_b32_e32 v1, 0x7f, v31
	v_mov_b32_e32 v0, 0x7f800001
	s_mov_b32 s19, exec_lo
	s_delay_alu instid0(VALU_DEP_2)
	v_cmpx_ne_u32_e32 0x7f, v1
	s_cbranch_execz .LBB466_1310
; %bb.1307:                             ;   in Loop: Header=BB466_8 Depth=1
	v_lshrrev_b32_e32 v0, 3, v1
	v_dual_mov_b32 v33, v19 :: v_dual_mov_b32 v32, v18
	s_mov_b32 s20, exec_lo
	v_cmpx_gt_u32_e32 8, v1
; %bb.1308:                             ;   in Loop: Header=BB466_8 Depth=1
	v_and_b32_e32 v0, 7, v31
	s_delay_alu instid0(VALU_DEP_1) | instskip(NEXT) | instid1(VALU_DEP_1)
	v_clz_i32_u32_e32 v0, v0
	v_min_u32_e32 v0, 32, v0
	s_delay_alu instid0(VALU_DEP_1) | instskip(SKIP_1) | instid1(VALU_DEP_2)
	v_subrev_nc_u32_e32 v1, 28, v0
	v_sub_nc_u32_e32 v0, 29, v0
	v_lshlrev_b64 v[32:33], v1, v[18:19]
; %bb.1309:                             ;   in Loop: Header=BB466_8 Depth=1
	s_or_b32 exec_lo, exec_lo, s20
	s_delay_alu instid0(VALU_DEP_1) | instskip(SKIP_2) | instid1(VALU_DEP_3)
	v_lshlrev_b32_e32 v1, 20, v32
	v_lshlrev_b32_e32 v2, 24, v18
	v_lshl_add_u32 v0, v0, 23, 0x3c000000
	v_and_b32_e32 v1, 0x700000, v1
	s_delay_alu instid0(VALU_DEP_3) | instskip(NEXT) | instid1(VALU_DEP_1)
	v_and_b32_e32 v2, 0x80000000, v2
	v_or3_b32 v0, v1, v2, v0
.LBB466_1310:                           ;   in Loop: Header=BB466_8 Depth=1
	s_or_b32 exec_lo, exec_lo, s19
.LBB466_1311:                           ;   in Loop: Header=BB466_8 Depth=1
	s_delay_alu instid0(SALU_CYCLE_1)
	s_or_b32 exec_lo, exec_lo, s18
.LBB466_1312:                           ;   in Loop: Header=BB466_8 Depth=1
	s_delay_alu instid0(SALU_CYCLE_1) | instskip(NEXT) | instid1(VALU_DEP_1)
	s_or_b32 exec_lo, exec_lo, s2
	v_mul_f32_e32 v0, v102, v0
                                        ; implicit-def: $vgpr169
	s_delay_alu instid0(VALU_DEP_1) | instskip(NEXT) | instid1(VALU_DEP_1)
	v_and_b32_e32 v1, 0x7f800000, v0
	v_cmp_ne_u32_e64 s1, 0x7f800000, v1
	s_delay_alu instid0(VALU_DEP_1) | instskip(NEXT) | instid1(SALU_CYCLE_1)
	s_and_saveexec_b32 s2, s1
	s_xor_b32 s1, exec_lo, s2
; %bb.1313:                             ;   in Loop: Header=BB466_8 Depth=1
	v_bfe_u32 v1, v0, 16, 1
	s_delay_alu instid0(VALU_DEP_1)
	v_add3_u32 v169, v0, v1, 0x7fff
                                        ; implicit-def: $vgpr0
; %bb.1314:                             ;   in Loop: Header=BB466_8 Depth=1
	s_and_not1_saveexec_b32 s2, s1
; %bb.1315:                             ;   in Loop: Header=BB466_8 Depth=1
	v_and_b32_e32 v1, 0xffff, v0
	v_or_b32_e32 v2, 0x10000, v0
	s_delay_alu instid0(VALU_DEP_2) | instskip(NEXT) | instid1(VALU_DEP_1)
	v_cmp_eq_u32_e64 s1, 0, v1
	v_cndmask_b32_e64 v169, v2, v0, s1
; %bb.1316:                             ;   in Loop: Header=BB466_8 Depth=1
	s_or_b32 exec_lo, exec_lo, s2
	v_lshrrev_b16 v1, 8, v18
	v_mov_b32_e32 v0, 0
	s_mov_b32 s2, exec_lo
	s_delay_alu instid0(VALU_DEP_2)
	v_cmpx_ne_u16_e32 0, v1
	s_cbranch_execz .LBB466_1324
; %bb.1317:                             ;   in Loop: Header=BB466_8 Depth=1
	v_bfrev_b32_e32 v0, 1
	s_mov_b32 s18, exec_lo
	v_cmpx_ne_u16_e32 0x80, v1
	s_cbranch_execz .LBB466_1323
; %bb.1318:                             ;   in Loop: Header=BB466_8 Depth=1
	v_and_b32_e32 v2, 0xffff, v1
	v_mov_b32_e32 v0, 0x7f800001
	s_mov_b32 s19, exec_lo
	s_delay_alu instid0(VALU_DEP_2) | instskip(NEXT) | instid1(VALU_DEP_1)
	v_and_b32_e32 v1, 0x7f, v2
	v_cmpx_ne_u32_e32 0x7f, v1
	s_cbranch_execz .LBB466_1322
; %bb.1319:                             ;   in Loop: Header=BB466_8 Depth=1
	v_dual_mov_b32 v33, v19 :: v_dual_and_b32 v32, 7, v2
	v_lshrrev_b32_e32 v0, 3, v1
	s_mov_b32 s20, exec_lo
	v_cmpx_gt_u32_e32 8, v1
; %bb.1320:                             ;   in Loop: Header=BB466_8 Depth=1
	s_delay_alu instid0(VALU_DEP_3) | instskip(NEXT) | instid1(VALU_DEP_1)
	v_clz_i32_u32_e32 v0, v32
	v_min_u32_e32 v0, 32, v0
	s_delay_alu instid0(VALU_DEP_1) | instskip(SKIP_1) | instid1(VALU_DEP_2)
	v_subrev_nc_u32_e32 v1, 28, v0
	v_sub_nc_u32_e32 v0, 29, v0
	v_lshlrev_b64 v[1:2], v1, v[32:33]
	s_delay_alu instid0(VALU_DEP_1)
	v_and_b32_e32 v32, 7, v1
; %bb.1321:                             ;   in Loop: Header=BB466_8 Depth=1
	s_or_b32 exec_lo, exec_lo, s20
	v_lshlrev_b32_e32 v1, 16, v18
	s_delay_alu instid0(VALU_DEP_2) | instskip(SKIP_1) | instid1(VALU_DEP_3)
	v_lshlrev_b32_e32 v2, 20, v32
	v_lshl_add_u32 v0, v0, 23, 0x3c000000
	v_and_b32_e32 v1, 0x80000000, v1
	s_delay_alu instid0(VALU_DEP_1)
	v_or3_b32 v0, v2, v1, v0
.LBB466_1322:                           ;   in Loop: Header=BB466_8 Depth=1
	s_or_b32 exec_lo, exec_lo, s19
.LBB466_1323:                           ;   in Loop: Header=BB466_8 Depth=1
	s_delay_alu instid0(SALU_CYCLE_1)
	s_or_b32 exec_lo, exec_lo, s18
.LBB466_1324:                           ;   in Loop: Header=BB466_8 Depth=1
	s_delay_alu instid0(SALU_CYCLE_1) | instskip(NEXT) | instid1(VALU_DEP_1)
	s_or_b32 exec_lo, exec_lo, s2
	v_mul_f32_e32 v0, v102, v0
                                        ; implicit-def: $vgpr170
	s_delay_alu instid0(VALU_DEP_1) | instskip(NEXT) | instid1(VALU_DEP_1)
	v_and_b32_e32 v1, 0x7f800000, v0
	v_cmp_ne_u32_e64 s1, 0x7f800000, v1
	s_delay_alu instid0(VALU_DEP_1) | instskip(NEXT) | instid1(SALU_CYCLE_1)
	s_and_saveexec_b32 s2, s1
	s_xor_b32 s1, exec_lo, s2
; %bb.1325:                             ;   in Loop: Header=BB466_8 Depth=1
	v_bfe_u32 v1, v0, 16, 1
	s_delay_alu instid0(VALU_DEP_1)
	v_add3_u32 v170, v0, v1, 0x7fff
                                        ; implicit-def: $vgpr0
; %bb.1326:                             ;   in Loop: Header=BB466_8 Depth=1
	s_and_not1_saveexec_b32 s2, s1
; %bb.1327:                             ;   in Loop: Header=BB466_8 Depth=1
	v_and_b32_e32 v1, 0xffff, v0
	v_or_b32_e32 v2, 0x10000, v0
	s_delay_alu instid0(VALU_DEP_2) | instskip(NEXT) | instid1(VALU_DEP_1)
	v_cmp_eq_u32_e64 s1, 0, v1
	v_cndmask_b32_e64 v170, v2, v0, s1
; %bb.1328:                             ;   in Loop: Header=BB466_8 Depth=1
	s_or_b32 exec_lo, exec_lo, s2
	v_lshrrev_b32_e32 v0, 16, v31
	s_mov_b32 s2, exec_lo
	s_delay_alu instid0(VALU_DEP_1) | instskip(NEXT) | instid1(VALU_DEP_1)
	v_dual_mov_b32 v1, 0 :: v_dual_and_b32 v2, 0xff, v0
	v_cmpx_ne_u16_e32 0, v2
	s_cbranch_execz .LBB466_1336
; %bb.1329:                             ;   in Loop: Header=BB466_8 Depth=1
	v_bfrev_b32_e32 v1, 1
	s_mov_b32 s18, exec_lo
	v_cmpx_ne_u16_e32 0x80, v2
	s_cbranch_execz .LBB466_1335
; %bb.1330:                             ;   in Loop: Header=BB466_8 Depth=1
	v_bfe_u32 v2, v31, 16, 7
	v_mov_b32_e32 v1, 0x7f800001
	s_mov_b32 s19, exec_lo
	s_delay_alu instid0(VALU_DEP_2)
	v_cmpx_ne_u32_e32 0x7f, v2
	s_cbranch_execz .LBB466_1334
; %bb.1331:                             ;   in Loop: Header=BB466_8 Depth=1
	v_and_b32_e32 v18, 7, v0
	v_lshrrev_b32_e32 v1, 3, v2
	v_mov_b32_e32 v33, v19
	s_mov_b32 s20, exec_lo
	s_delay_alu instid0(VALU_DEP_3)
	v_mov_b32_e32 v32, v18
	v_cmpx_gt_u32_e32 8, v2
; %bb.1332:                             ;   in Loop: Header=BB466_8 Depth=1
	v_clz_i32_u32_e32 v1, v18
	s_delay_alu instid0(VALU_DEP_1) | instskip(NEXT) | instid1(VALU_DEP_1)
	v_min_u32_e32 v1, 32, v1
	v_subrev_nc_u32_e32 v2, 28, v1
	v_sub_nc_u32_e32 v1, 29, v1
	s_delay_alu instid0(VALU_DEP_2) | instskip(NEXT) | instid1(VALU_DEP_1)
	v_lshlrev_b64 v[2:3], v2, v[18:19]
	v_and_b32_e32 v32, 7, v2
; %bb.1333:                             ;   in Loop: Header=BB466_8 Depth=1
	s_or_b32 exec_lo, exec_lo, s20
	v_lshlrev_b32_e32 v0, 24, v0
	s_delay_alu instid0(VALU_DEP_2) | instskip(SKIP_1) | instid1(VALU_DEP_3)
	v_lshlrev_b32_e32 v2, 20, v32
	v_lshl_add_u32 v1, v1, 23, 0x3c000000
	v_and_b32_e32 v0, 0x80000000, v0
	s_delay_alu instid0(VALU_DEP_1)
	v_or3_b32 v1, v2, v0, v1
.LBB466_1334:                           ;   in Loop: Header=BB466_8 Depth=1
	s_or_b32 exec_lo, exec_lo, s19
.LBB466_1335:                           ;   in Loop: Header=BB466_8 Depth=1
	s_delay_alu instid0(SALU_CYCLE_1)
	s_or_b32 exec_lo, exec_lo, s18
.LBB466_1336:                           ;   in Loop: Header=BB466_8 Depth=1
	s_delay_alu instid0(SALU_CYCLE_1) | instskip(NEXT) | instid1(VALU_DEP_1)
	s_or_b32 exec_lo, exec_lo, s2
	v_mul_f32_e32 v0, v102, v1
                                        ; implicit-def: $vgpr171
	s_delay_alu instid0(VALU_DEP_1) | instskip(NEXT) | instid1(VALU_DEP_1)
	v_and_b32_e32 v1, 0x7f800000, v0
	v_cmp_ne_u32_e64 s1, 0x7f800000, v1
	s_delay_alu instid0(VALU_DEP_1) | instskip(NEXT) | instid1(SALU_CYCLE_1)
	s_and_saveexec_b32 s2, s1
	s_xor_b32 s1, exec_lo, s2
; %bb.1337:                             ;   in Loop: Header=BB466_8 Depth=1
	v_bfe_u32 v1, v0, 16, 1
	s_delay_alu instid0(VALU_DEP_1)
	v_add3_u32 v171, v0, v1, 0x7fff
                                        ; implicit-def: $vgpr0
; %bb.1338:                             ;   in Loop: Header=BB466_8 Depth=1
	s_and_not1_saveexec_b32 s2, s1
; %bb.1339:                             ;   in Loop: Header=BB466_8 Depth=1
	v_and_b32_e32 v1, 0xffff, v0
	v_or_b32_e32 v2, 0x10000, v0
	s_delay_alu instid0(VALU_DEP_2) | instskip(NEXT) | instid1(VALU_DEP_1)
	v_cmp_eq_u32_e64 s1, 0, v1
	v_cndmask_b32_e64 v171, v2, v0, s1
; %bb.1340:                             ;   in Loop: Header=BB466_8 Depth=1
	s_or_b32 exec_lo, exec_lo, s2
	v_mov_b32_e32 v1, 0
	s_mov_b32 s2, exec_lo
	v_cmpx_lt_u64_e64 s[8:9], v[30:31]
	s_cbranch_execz .LBB466_1348
; %bb.1341:                             ;   in Loop: Header=BB466_8 Depth=1
	v_lshrrev_b32_e32 v0, 24, v31
	v_bfrev_b32_e32 v1, 1
	s_mov_b32 s18, exec_lo
	s_delay_alu instid0(VALU_DEP_2)
	v_cmpx_ne_u32_e32 0x80, v0
	s_cbranch_execz .LBB466_1347
; %bb.1342:                             ;   in Loop: Header=BB466_8 Depth=1
	v_bfe_u32 v2, v31, 24, 7
	v_mov_b32_e32 v1, 0x7f800001
	s_mov_b32 s19, exec_lo
	s_delay_alu instid0(VALU_DEP_2)
	v_cmpx_ne_u32_e32 0x7f, v2
	s_cbranch_execz .LBB466_1346
; %bb.1343:                             ;   in Loop: Header=BB466_8 Depth=1
	v_and_b32_e32 v18, 7, v0
	v_lshrrev_b32_e32 v1, 3, v2
	v_mov_b32_e32 v31, v19
	s_mov_b32 s20, exec_lo
	s_delay_alu instid0(VALU_DEP_3)
	v_mov_b32_e32 v30, v18
	v_cmpx_gt_u32_e32 8, v2
; %bb.1344:                             ;   in Loop: Header=BB466_8 Depth=1
	v_clz_i32_u32_e32 v1, v18
	s_delay_alu instid0(VALU_DEP_1) | instskip(NEXT) | instid1(VALU_DEP_1)
	v_min_u32_e32 v1, 32, v1
	v_subrev_nc_u32_e32 v2, 28, v1
	v_sub_nc_u32_e32 v1, 29, v1
	s_delay_alu instid0(VALU_DEP_2) | instskip(NEXT) | instid1(VALU_DEP_1)
	v_lshlrev_b64 v[2:3], v2, v[18:19]
	v_and_b32_e32 v30, 7, v2
; %bb.1345:                             ;   in Loop: Header=BB466_8 Depth=1
	s_or_b32 exec_lo, exec_lo, s20
	v_lshlrev_b32_e32 v0, 24, v0
	s_delay_alu instid0(VALU_DEP_2) | instskip(SKIP_1) | instid1(VALU_DEP_3)
	v_lshlrev_b32_e32 v2, 20, v30
	v_lshl_add_u32 v1, v1, 23, 0x3c000000
	v_and_b32_e32 v0, 0x80000000, v0
	s_delay_alu instid0(VALU_DEP_1)
	v_or3_b32 v1, v2, v0, v1
.LBB466_1346:                           ;   in Loop: Header=BB466_8 Depth=1
	s_or_b32 exec_lo, exec_lo, s19
.LBB466_1347:                           ;   in Loop: Header=BB466_8 Depth=1
	s_delay_alu instid0(SALU_CYCLE_1)
	s_or_b32 exec_lo, exec_lo, s18
.LBB466_1348:                           ;   in Loop: Header=BB466_8 Depth=1
	s_delay_alu instid0(SALU_CYCLE_1) | instskip(NEXT) | instid1(VALU_DEP_1)
	s_or_b32 exec_lo, exec_lo, s2
	v_mul_f32_e32 v0, v102, v1
                                        ; implicit-def: $vgpr172
	s_delay_alu instid0(VALU_DEP_1) | instskip(NEXT) | instid1(VALU_DEP_1)
	v_and_b32_e32 v1, 0x7f800000, v0
	v_cmp_ne_u32_e64 s1, 0x7f800000, v1
	s_delay_alu instid0(VALU_DEP_1) | instskip(NEXT) | instid1(SALU_CYCLE_1)
	s_and_saveexec_b32 s2, s1
	s_xor_b32 s1, exec_lo, s2
; %bb.1349:                             ;   in Loop: Header=BB466_8 Depth=1
	v_bfe_u32 v1, v0, 16, 1
	s_delay_alu instid0(VALU_DEP_1)
	v_add3_u32 v172, v0, v1, 0x7fff
                                        ; implicit-def: $vgpr0
; %bb.1350:                             ;   in Loop: Header=BB466_8 Depth=1
	s_and_not1_saveexec_b32 s2, s1
; %bb.1351:                             ;   in Loop: Header=BB466_8 Depth=1
	v_and_b32_e32 v1, 0xffff, v0
	v_or_b32_e32 v2, 0x10000, v0
	s_delay_alu instid0(VALU_DEP_2) | instskip(NEXT) | instid1(VALU_DEP_1)
	v_cmp_eq_u32_e64 s1, 0, v1
	v_cndmask_b32_e64 v172, v2, v0, s1
; %bb.1352:                             ;   in Loop: Header=BB466_8 Depth=1
	s_or_b32 exec_lo, exec_lo, s2
	flat_load_b64 v[30:31], v[28:29] offset:3584
	s_mov_b32 s2, exec_lo
	s_waitcnt vmcnt(0) lgkmcnt(0)
	v_dual_mov_b32 v0, 0 :: v_dual_and_b32 v1, 0xff, v30
	s_delay_alu instid0(VALU_DEP_1)
	v_cmpx_ne_u16_e32 0, v1
	s_cbranch_execz .LBB466_1360
; %bb.1353:                             ;   in Loop: Header=BB466_8 Depth=1
	v_bfrev_b32_e32 v0, 1
	s_mov_b32 s18, exec_lo
	v_cmpx_ne_u16_e32 0x80, v1
	s_cbranch_execz .LBB466_1359
; %bb.1354:                             ;   in Loop: Header=BB466_8 Depth=1
	v_and_b32_e32 v1, 0x7f, v30
	v_mov_b32_e32 v0, 0x7f800001
	s_mov_b32 s19, exec_lo
	s_delay_alu instid0(VALU_DEP_2)
	v_cmpx_ne_u32_e32 0x7f, v1
	s_cbranch_execz .LBB466_1358
; %bb.1355:                             ;   in Loop: Header=BB466_8 Depth=1
	v_lshrrev_b32_e32 v0, 3, v1
	v_dual_mov_b32 v33, v31 :: v_dual_mov_b32 v32, v30
	s_mov_b32 s20, exec_lo
	v_cmpx_gt_u32_e32 8, v1
; %bb.1356:                             ;   in Loop: Header=BB466_8 Depth=1
	v_and_b32_e32 v0, 7, v30
	s_delay_alu instid0(VALU_DEP_1) | instskip(NEXT) | instid1(VALU_DEP_1)
	v_clz_i32_u32_e32 v0, v0
	v_min_u32_e32 v0, 32, v0
	s_delay_alu instid0(VALU_DEP_1) | instskip(SKIP_1) | instid1(VALU_DEP_2)
	v_subrev_nc_u32_e32 v1, 28, v0
	v_sub_nc_u32_e32 v0, 29, v0
	v_lshlrev_b64 v[32:33], v1, v[30:31]
; %bb.1357:                             ;   in Loop: Header=BB466_8 Depth=1
	s_or_b32 exec_lo, exec_lo, s20
	s_delay_alu instid0(VALU_DEP_1) | instskip(SKIP_2) | instid1(VALU_DEP_3)
	v_lshlrev_b32_e32 v1, 20, v32
	v_lshlrev_b32_e32 v2, 24, v30
	v_lshl_add_u32 v0, v0, 23, 0x3c000000
	v_and_b32_e32 v1, 0x700000, v1
	s_delay_alu instid0(VALU_DEP_3) | instskip(NEXT) | instid1(VALU_DEP_1)
	v_and_b32_e32 v2, 0x80000000, v2
	v_or3_b32 v0, v1, v2, v0
.LBB466_1358:                           ;   in Loop: Header=BB466_8 Depth=1
	s_or_b32 exec_lo, exec_lo, s19
.LBB466_1359:                           ;   in Loop: Header=BB466_8 Depth=1
	s_delay_alu instid0(SALU_CYCLE_1)
	s_or_b32 exec_lo, exec_lo, s18
.LBB466_1360:                           ;   in Loop: Header=BB466_8 Depth=1
	s_delay_alu instid0(SALU_CYCLE_1) | instskip(NEXT) | instid1(VALU_DEP_1)
	s_or_b32 exec_lo, exec_lo, s2
	v_mul_f32_e32 v0, v102, v0
                                        ; implicit-def: $vgpr173
	s_delay_alu instid0(VALU_DEP_1) | instskip(NEXT) | instid1(VALU_DEP_1)
	v_and_b32_e32 v1, 0x7f800000, v0
	v_cmp_ne_u32_e64 s1, 0x7f800000, v1
	s_delay_alu instid0(VALU_DEP_1) | instskip(NEXT) | instid1(SALU_CYCLE_1)
	s_and_saveexec_b32 s2, s1
	s_xor_b32 s1, exec_lo, s2
; %bb.1361:                             ;   in Loop: Header=BB466_8 Depth=1
	v_bfe_u32 v1, v0, 16, 1
	s_delay_alu instid0(VALU_DEP_1)
	v_add3_u32 v173, v0, v1, 0x7fff
                                        ; implicit-def: $vgpr0
; %bb.1362:                             ;   in Loop: Header=BB466_8 Depth=1
	s_and_not1_saveexec_b32 s2, s1
; %bb.1363:                             ;   in Loop: Header=BB466_8 Depth=1
	v_and_b32_e32 v1, 0xffff, v0
	v_or_b32_e32 v2, 0x10000, v0
	s_delay_alu instid0(VALU_DEP_2) | instskip(NEXT) | instid1(VALU_DEP_1)
	v_cmp_eq_u32_e64 s1, 0, v1
	v_cndmask_b32_e64 v173, v2, v0, s1
; %bb.1364:                             ;   in Loop: Header=BB466_8 Depth=1
	s_or_b32 exec_lo, exec_lo, s2
	v_lshrrev_b16 v1, 8, v30
	v_mov_b32_e32 v0, 0
	s_mov_b32 s2, exec_lo
	s_delay_alu instid0(VALU_DEP_2)
	v_cmpx_ne_u16_e32 0, v1
	s_cbranch_execz .LBB466_1372
; %bb.1365:                             ;   in Loop: Header=BB466_8 Depth=1
	v_bfrev_b32_e32 v0, 1
	s_mov_b32 s18, exec_lo
	v_cmpx_ne_u16_e32 0x80, v1
	s_cbranch_execz .LBB466_1371
; %bb.1366:                             ;   in Loop: Header=BB466_8 Depth=1
	v_and_b32_e32 v2, 0xffff, v1
	v_mov_b32_e32 v0, 0x7f800001
	s_mov_b32 s19, exec_lo
	s_delay_alu instid0(VALU_DEP_2) | instskip(NEXT) | instid1(VALU_DEP_1)
	v_and_b32_e32 v1, 0x7f, v2
	v_cmpx_ne_u32_e32 0x7f, v1
	s_cbranch_execz .LBB466_1370
; %bb.1367:                             ;   in Loop: Header=BB466_8 Depth=1
	v_and_b32_e32 v18, 7, v2
	v_lshrrev_b32_e32 v0, 3, v1
	v_mov_b32_e32 v33, v19
	s_mov_b32 s20, exec_lo
	s_delay_alu instid0(VALU_DEP_3)
	v_mov_b32_e32 v32, v18
	v_cmpx_gt_u32_e32 8, v1
; %bb.1368:                             ;   in Loop: Header=BB466_8 Depth=1
	v_clz_i32_u32_e32 v0, v18
	s_delay_alu instid0(VALU_DEP_1) | instskip(NEXT) | instid1(VALU_DEP_1)
	v_min_u32_e32 v0, 32, v0
	v_subrev_nc_u32_e32 v1, 28, v0
	v_sub_nc_u32_e32 v0, 29, v0
	s_delay_alu instid0(VALU_DEP_2) | instskip(NEXT) | instid1(VALU_DEP_1)
	v_lshlrev_b64 v[1:2], v1, v[18:19]
	v_and_b32_e32 v32, 7, v1
; %bb.1369:                             ;   in Loop: Header=BB466_8 Depth=1
	s_or_b32 exec_lo, exec_lo, s20
	v_lshlrev_b32_e32 v1, 16, v30
	s_delay_alu instid0(VALU_DEP_2) | instskip(SKIP_1) | instid1(VALU_DEP_3)
	v_lshlrev_b32_e32 v2, 20, v32
	v_lshl_add_u32 v0, v0, 23, 0x3c000000
	v_and_b32_e32 v1, 0x80000000, v1
	s_delay_alu instid0(VALU_DEP_1)
	v_or3_b32 v0, v2, v1, v0
.LBB466_1370:                           ;   in Loop: Header=BB466_8 Depth=1
	s_or_b32 exec_lo, exec_lo, s19
.LBB466_1371:                           ;   in Loop: Header=BB466_8 Depth=1
	s_delay_alu instid0(SALU_CYCLE_1)
	s_or_b32 exec_lo, exec_lo, s18
.LBB466_1372:                           ;   in Loop: Header=BB466_8 Depth=1
	s_delay_alu instid0(SALU_CYCLE_1) | instskip(NEXT) | instid1(VALU_DEP_1)
	s_or_b32 exec_lo, exec_lo, s2
	v_mul_f32_e32 v0, v102, v0
                                        ; implicit-def: $vgpr174
	s_delay_alu instid0(VALU_DEP_1) | instskip(NEXT) | instid1(VALU_DEP_1)
	v_and_b32_e32 v1, 0x7f800000, v0
	v_cmp_ne_u32_e64 s1, 0x7f800000, v1
	s_delay_alu instid0(VALU_DEP_1) | instskip(NEXT) | instid1(SALU_CYCLE_1)
	s_and_saveexec_b32 s2, s1
	s_xor_b32 s1, exec_lo, s2
; %bb.1373:                             ;   in Loop: Header=BB466_8 Depth=1
	v_bfe_u32 v1, v0, 16, 1
	s_delay_alu instid0(VALU_DEP_1)
	v_add3_u32 v174, v0, v1, 0x7fff
                                        ; implicit-def: $vgpr0
; %bb.1374:                             ;   in Loop: Header=BB466_8 Depth=1
	s_and_not1_saveexec_b32 s2, s1
; %bb.1375:                             ;   in Loop: Header=BB466_8 Depth=1
	v_and_b32_e32 v1, 0xffff, v0
	v_or_b32_e32 v2, 0x10000, v0
	s_delay_alu instid0(VALU_DEP_2) | instskip(NEXT) | instid1(VALU_DEP_1)
	v_cmp_eq_u32_e64 s1, 0, v1
	v_cndmask_b32_e64 v174, v2, v0, s1
; %bb.1376:                             ;   in Loop: Header=BB466_8 Depth=1
	s_or_b32 exec_lo, exec_lo, s2
	v_lshrrev_b32_e32 v0, 16, v30
	s_mov_b32 s2, exec_lo
	s_delay_alu instid0(VALU_DEP_1) | instskip(NEXT) | instid1(VALU_DEP_1)
	v_dual_mov_b32 v1, 0 :: v_dual_and_b32 v2, 0xff, v0
	v_cmpx_ne_u16_e32 0, v2
	s_cbranch_execz .LBB466_1384
; %bb.1377:                             ;   in Loop: Header=BB466_8 Depth=1
	v_bfrev_b32_e32 v1, 1
	s_mov_b32 s18, exec_lo
	v_cmpx_ne_u16_e32 0x80, v2
	s_cbranch_execz .LBB466_1383
; %bb.1378:                             ;   in Loop: Header=BB466_8 Depth=1
	v_bfe_u32 v2, v30, 16, 7
	v_mov_b32_e32 v1, 0x7f800001
	s_mov_b32 s19, exec_lo
	s_delay_alu instid0(VALU_DEP_2)
	v_cmpx_ne_u32_e32 0x7f, v2
	s_cbranch_execz .LBB466_1382
; %bb.1379:                             ;   in Loop: Header=BB466_8 Depth=1
	v_and_b32_e32 v18, 7, v0
	v_lshrrev_b32_e32 v1, 3, v2
	v_mov_b32_e32 v33, v19
	s_mov_b32 s20, exec_lo
	s_delay_alu instid0(VALU_DEP_3)
	v_mov_b32_e32 v32, v18
	v_cmpx_gt_u32_e32 8, v2
; %bb.1380:                             ;   in Loop: Header=BB466_8 Depth=1
	v_clz_i32_u32_e32 v1, v18
	s_delay_alu instid0(VALU_DEP_1) | instskip(NEXT) | instid1(VALU_DEP_1)
	v_min_u32_e32 v1, 32, v1
	v_subrev_nc_u32_e32 v2, 28, v1
	v_sub_nc_u32_e32 v1, 29, v1
	s_delay_alu instid0(VALU_DEP_2) | instskip(NEXT) | instid1(VALU_DEP_1)
	v_lshlrev_b64 v[2:3], v2, v[18:19]
	v_and_b32_e32 v32, 7, v2
; %bb.1381:                             ;   in Loop: Header=BB466_8 Depth=1
	s_or_b32 exec_lo, exec_lo, s20
	v_lshlrev_b32_e32 v0, 24, v0
	s_delay_alu instid0(VALU_DEP_2) | instskip(SKIP_1) | instid1(VALU_DEP_3)
	v_lshlrev_b32_e32 v2, 20, v32
	v_lshl_add_u32 v1, v1, 23, 0x3c000000
	v_and_b32_e32 v0, 0x80000000, v0
	s_delay_alu instid0(VALU_DEP_1)
	v_or3_b32 v1, v2, v0, v1
.LBB466_1382:                           ;   in Loop: Header=BB466_8 Depth=1
	s_or_b32 exec_lo, exec_lo, s19
.LBB466_1383:                           ;   in Loop: Header=BB466_8 Depth=1
	s_delay_alu instid0(SALU_CYCLE_1)
	s_or_b32 exec_lo, exec_lo, s18
.LBB466_1384:                           ;   in Loop: Header=BB466_8 Depth=1
	s_delay_alu instid0(SALU_CYCLE_1) | instskip(NEXT) | instid1(VALU_DEP_1)
	s_or_b32 exec_lo, exec_lo, s2
	v_mul_f32_e32 v0, v102, v1
                                        ; implicit-def: $vgpr175
	s_delay_alu instid0(VALU_DEP_1) | instskip(NEXT) | instid1(VALU_DEP_1)
	v_and_b32_e32 v1, 0x7f800000, v0
	v_cmp_ne_u32_e64 s1, 0x7f800000, v1
	s_delay_alu instid0(VALU_DEP_1) | instskip(NEXT) | instid1(SALU_CYCLE_1)
	s_and_saveexec_b32 s2, s1
	s_xor_b32 s1, exec_lo, s2
; %bb.1385:                             ;   in Loop: Header=BB466_8 Depth=1
	v_bfe_u32 v1, v0, 16, 1
	s_delay_alu instid0(VALU_DEP_1)
	v_add3_u32 v175, v0, v1, 0x7fff
                                        ; implicit-def: $vgpr0
; %bb.1386:                             ;   in Loop: Header=BB466_8 Depth=1
	s_and_not1_saveexec_b32 s2, s1
; %bb.1387:                             ;   in Loop: Header=BB466_8 Depth=1
	v_and_b32_e32 v1, 0xffff, v0
	v_or_b32_e32 v2, 0x10000, v0
	s_delay_alu instid0(VALU_DEP_2) | instskip(NEXT) | instid1(VALU_DEP_1)
	v_cmp_eq_u32_e64 s1, 0, v1
	v_cndmask_b32_e64 v175, v2, v0, s1
; %bb.1388:                             ;   in Loop: Header=BB466_8 Depth=1
	s_or_b32 exec_lo, exec_lo, s2
	v_mov_b32_e32 v1, 0
	s_mov_b32 s2, exec_lo
	v_cmpx_lt_u32_e32 0xffffff, v30
	s_cbranch_execz .LBB466_1396
; %bb.1389:                             ;   in Loop: Header=BB466_8 Depth=1
	v_lshrrev_b32_e32 v0, 24, v30
	v_bfrev_b32_e32 v1, 1
	s_mov_b32 s18, exec_lo
	s_delay_alu instid0(VALU_DEP_2)
	v_cmpx_ne_u32_e32 0x80, v0
	s_cbranch_execz .LBB466_1395
; %bb.1390:                             ;   in Loop: Header=BB466_8 Depth=1
	v_bfe_u32 v2, v30, 24, 7
	v_mov_b32_e32 v1, 0x7f800001
	s_mov_b32 s19, exec_lo
	s_delay_alu instid0(VALU_DEP_2)
	v_cmpx_ne_u32_e32 0x7f, v2
	s_cbranch_execz .LBB466_1394
; %bb.1391:                             ;   in Loop: Header=BB466_8 Depth=1
	v_and_b32_e32 v18, 7, v0
	v_lshrrev_b32_e32 v1, 3, v2
	v_mov_b32_e32 v33, v19
	s_mov_b32 s20, exec_lo
	s_delay_alu instid0(VALU_DEP_3)
	v_mov_b32_e32 v32, v18
	v_cmpx_gt_u32_e32 8, v2
; %bb.1392:                             ;   in Loop: Header=BB466_8 Depth=1
	v_clz_i32_u32_e32 v1, v18
	s_delay_alu instid0(VALU_DEP_1) | instskip(NEXT) | instid1(VALU_DEP_1)
	v_min_u32_e32 v1, 32, v1
	v_subrev_nc_u32_e32 v2, 28, v1
	v_sub_nc_u32_e32 v1, 29, v1
	s_delay_alu instid0(VALU_DEP_2) | instskip(NEXT) | instid1(VALU_DEP_1)
	v_lshlrev_b64 v[2:3], v2, v[18:19]
	v_and_b32_e32 v32, 7, v2
; %bb.1393:                             ;   in Loop: Header=BB466_8 Depth=1
	s_or_b32 exec_lo, exec_lo, s20
	v_lshlrev_b32_e32 v0, 24, v0
	s_delay_alu instid0(VALU_DEP_2) | instskip(SKIP_1) | instid1(VALU_DEP_3)
	v_lshlrev_b32_e32 v2, 20, v32
	v_lshl_add_u32 v1, v1, 23, 0x3c000000
	v_and_b32_e32 v0, 0x80000000, v0
	s_delay_alu instid0(VALU_DEP_1)
	v_or3_b32 v1, v2, v0, v1
.LBB466_1394:                           ;   in Loop: Header=BB466_8 Depth=1
	s_or_b32 exec_lo, exec_lo, s19
.LBB466_1395:                           ;   in Loop: Header=BB466_8 Depth=1
	s_delay_alu instid0(SALU_CYCLE_1)
	s_or_b32 exec_lo, exec_lo, s18
.LBB466_1396:                           ;   in Loop: Header=BB466_8 Depth=1
	s_delay_alu instid0(SALU_CYCLE_1) | instskip(NEXT) | instid1(VALU_DEP_1)
	s_or_b32 exec_lo, exec_lo, s2
	v_mul_f32_e32 v0, v102, v1
                                        ; implicit-def: $vgpr184
	s_delay_alu instid0(VALU_DEP_1) | instskip(NEXT) | instid1(VALU_DEP_1)
	v_and_b32_e32 v1, 0x7f800000, v0
	v_cmp_ne_u32_e64 s1, 0x7f800000, v1
	s_delay_alu instid0(VALU_DEP_1) | instskip(NEXT) | instid1(SALU_CYCLE_1)
	s_and_saveexec_b32 s2, s1
	s_xor_b32 s1, exec_lo, s2
; %bb.1397:                             ;   in Loop: Header=BB466_8 Depth=1
	v_bfe_u32 v1, v0, 16, 1
	s_delay_alu instid0(VALU_DEP_1)
	v_add3_u32 v184, v0, v1, 0x7fff
                                        ; implicit-def: $vgpr0
; %bb.1398:                             ;   in Loop: Header=BB466_8 Depth=1
	s_and_not1_saveexec_b32 s2, s1
; %bb.1399:                             ;   in Loop: Header=BB466_8 Depth=1
	v_and_b32_e32 v1, 0xffff, v0
	v_or_b32_e32 v2, 0x10000, v0
	s_delay_alu instid0(VALU_DEP_2) | instskip(NEXT) | instid1(VALU_DEP_1)
	v_cmp_eq_u32_e64 s1, 0, v1
	v_cndmask_b32_e64 v184, v2, v0, s1
; %bb.1400:                             ;   in Loop: Header=BB466_8 Depth=1
	s_or_b32 exec_lo, exec_lo, s2
	v_dual_mov_b32 v18, v31 :: v_dual_and_b32 v1, 0xff, v31
	v_mov_b32_e32 v0, 0
	s_mov_b32 s2, exec_lo
	s_delay_alu instid0(VALU_DEP_2)
	v_cmpx_ne_u16_e32 0, v1
	s_cbranch_execz .LBB466_1408
; %bb.1401:                             ;   in Loop: Header=BB466_8 Depth=1
	v_bfrev_b32_e32 v0, 1
	s_mov_b32 s18, exec_lo
	v_cmpx_ne_u16_e32 0x80, v1
	s_cbranch_execz .LBB466_1407
; %bb.1402:                             ;   in Loop: Header=BB466_8 Depth=1
	v_and_b32_e32 v1, 0x7f, v31
	v_mov_b32_e32 v0, 0x7f800001
	s_mov_b32 s19, exec_lo
	s_delay_alu instid0(VALU_DEP_2)
	v_cmpx_ne_u32_e32 0x7f, v1
	s_cbranch_execz .LBB466_1406
; %bb.1403:                             ;   in Loop: Header=BB466_8 Depth=1
	v_lshrrev_b32_e32 v0, 3, v1
	v_dual_mov_b32 v33, v19 :: v_dual_mov_b32 v32, v18
	s_mov_b32 s20, exec_lo
	v_cmpx_gt_u32_e32 8, v1
; %bb.1404:                             ;   in Loop: Header=BB466_8 Depth=1
	v_and_b32_e32 v0, 7, v31
	s_delay_alu instid0(VALU_DEP_1) | instskip(NEXT) | instid1(VALU_DEP_1)
	v_clz_i32_u32_e32 v0, v0
	v_min_u32_e32 v0, 32, v0
	s_delay_alu instid0(VALU_DEP_1) | instskip(SKIP_1) | instid1(VALU_DEP_2)
	v_subrev_nc_u32_e32 v1, 28, v0
	v_sub_nc_u32_e32 v0, 29, v0
	v_lshlrev_b64 v[32:33], v1, v[18:19]
; %bb.1405:                             ;   in Loop: Header=BB466_8 Depth=1
	s_or_b32 exec_lo, exec_lo, s20
	s_delay_alu instid0(VALU_DEP_1) | instskip(SKIP_2) | instid1(VALU_DEP_3)
	v_lshlrev_b32_e32 v1, 20, v32
	v_lshlrev_b32_e32 v2, 24, v18
	v_lshl_add_u32 v0, v0, 23, 0x3c000000
	v_and_b32_e32 v1, 0x700000, v1
	s_delay_alu instid0(VALU_DEP_3) | instskip(NEXT) | instid1(VALU_DEP_1)
	v_and_b32_e32 v2, 0x80000000, v2
	v_or3_b32 v0, v1, v2, v0
.LBB466_1406:                           ;   in Loop: Header=BB466_8 Depth=1
	s_or_b32 exec_lo, exec_lo, s19
.LBB466_1407:                           ;   in Loop: Header=BB466_8 Depth=1
	s_delay_alu instid0(SALU_CYCLE_1)
	s_or_b32 exec_lo, exec_lo, s18
.LBB466_1408:                           ;   in Loop: Header=BB466_8 Depth=1
	s_delay_alu instid0(SALU_CYCLE_1) | instskip(NEXT) | instid1(VALU_DEP_1)
	s_or_b32 exec_lo, exec_lo, s2
	v_mul_f32_e32 v0, v102, v0
                                        ; implicit-def: $vgpr185
	s_delay_alu instid0(VALU_DEP_1) | instskip(NEXT) | instid1(VALU_DEP_1)
	v_and_b32_e32 v1, 0x7f800000, v0
	v_cmp_ne_u32_e64 s1, 0x7f800000, v1
	s_delay_alu instid0(VALU_DEP_1) | instskip(NEXT) | instid1(SALU_CYCLE_1)
	s_and_saveexec_b32 s2, s1
	s_xor_b32 s1, exec_lo, s2
; %bb.1409:                             ;   in Loop: Header=BB466_8 Depth=1
	v_bfe_u32 v1, v0, 16, 1
	s_delay_alu instid0(VALU_DEP_1)
	v_add3_u32 v185, v0, v1, 0x7fff
                                        ; implicit-def: $vgpr0
; %bb.1410:                             ;   in Loop: Header=BB466_8 Depth=1
	s_and_not1_saveexec_b32 s2, s1
; %bb.1411:                             ;   in Loop: Header=BB466_8 Depth=1
	v_and_b32_e32 v1, 0xffff, v0
	v_or_b32_e32 v2, 0x10000, v0
	s_delay_alu instid0(VALU_DEP_2) | instskip(NEXT) | instid1(VALU_DEP_1)
	v_cmp_eq_u32_e64 s1, 0, v1
	v_cndmask_b32_e64 v185, v2, v0, s1
; %bb.1412:                             ;   in Loop: Header=BB466_8 Depth=1
	s_or_b32 exec_lo, exec_lo, s2
	v_lshrrev_b16 v1, 8, v18
	v_mov_b32_e32 v0, 0
	s_mov_b32 s2, exec_lo
	s_delay_alu instid0(VALU_DEP_2)
	v_cmpx_ne_u16_e32 0, v1
	s_cbranch_execz .LBB466_1420
; %bb.1413:                             ;   in Loop: Header=BB466_8 Depth=1
	v_bfrev_b32_e32 v0, 1
	s_mov_b32 s18, exec_lo
	v_cmpx_ne_u16_e32 0x80, v1
	s_cbranch_execz .LBB466_1419
; %bb.1414:                             ;   in Loop: Header=BB466_8 Depth=1
	v_and_b32_e32 v2, 0xffff, v1
	v_mov_b32_e32 v0, 0x7f800001
	s_mov_b32 s19, exec_lo
	s_delay_alu instid0(VALU_DEP_2) | instskip(NEXT) | instid1(VALU_DEP_1)
	v_and_b32_e32 v1, 0x7f, v2
	v_cmpx_ne_u32_e32 0x7f, v1
	s_cbranch_execz .LBB466_1418
; %bb.1415:                             ;   in Loop: Header=BB466_8 Depth=1
	v_dual_mov_b32 v33, v19 :: v_dual_and_b32 v32, 7, v2
	v_lshrrev_b32_e32 v0, 3, v1
	s_mov_b32 s20, exec_lo
	v_cmpx_gt_u32_e32 8, v1
; %bb.1416:                             ;   in Loop: Header=BB466_8 Depth=1
	s_delay_alu instid0(VALU_DEP_3) | instskip(NEXT) | instid1(VALU_DEP_1)
	v_clz_i32_u32_e32 v0, v32
	v_min_u32_e32 v0, 32, v0
	s_delay_alu instid0(VALU_DEP_1) | instskip(SKIP_1) | instid1(VALU_DEP_2)
	v_subrev_nc_u32_e32 v1, 28, v0
	v_sub_nc_u32_e32 v0, 29, v0
	v_lshlrev_b64 v[1:2], v1, v[32:33]
	s_delay_alu instid0(VALU_DEP_1)
	v_and_b32_e32 v32, 7, v1
; %bb.1417:                             ;   in Loop: Header=BB466_8 Depth=1
	s_or_b32 exec_lo, exec_lo, s20
	v_lshlrev_b32_e32 v1, 16, v18
	s_delay_alu instid0(VALU_DEP_2) | instskip(SKIP_1) | instid1(VALU_DEP_3)
	v_lshlrev_b32_e32 v2, 20, v32
	v_lshl_add_u32 v0, v0, 23, 0x3c000000
	v_and_b32_e32 v1, 0x80000000, v1
	s_delay_alu instid0(VALU_DEP_1)
	v_or3_b32 v0, v2, v1, v0
.LBB466_1418:                           ;   in Loop: Header=BB466_8 Depth=1
	s_or_b32 exec_lo, exec_lo, s19
.LBB466_1419:                           ;   in Loop: Header=BB466_8 Depth=1
	s_delay_alu instid0(SALU_CYCLE_1)
	s_or_b32 exec_lo, exec_lo, s18
.LBB466_1420:                           ;   in Loop: Header=BB466_8 Depth=1
	s_delay_alu instid0(SALU_CYCLE_1) | instskip(NEXT) | instid1(VALU_DEP_1)
	s_or_b32 exec_lo, exec_lo, s2
	v_mul_f32_e32 v0, v102, v0
                                        ; implicit-def: $vgpr186
	s_delay_alu instid0(VALU_DEP_1) | instskip(NEXT) | instid1(VALU_DEP_1)
	v_and_b32_e32 v1, 0x7f800000, v0
	v_cmp_ne_u32_e64 s1, 0x7f800000, v1
	s_delay_alu instid0(VALU_DEP_1) | instskip(NEXT) | instid1(SALU_CYCLE_1)
	s_and_saveexec_b32 s2, s1
	s_xor_b32 s1, exec_lo, s2
; %bb.1421:                             ;   in Loop: Header=BB466_8 Depth=1
	v_bfe_u32 v1, v0, 16, 1
	s_delay_alu instid0(VALU_DEP_1)
	v_add3_u32 v186, v0, v1, 0x7fff
                                        ; implicit-def: $vgpr0
; %bb.1422:                             ;   in Loop: Header=BB466_8 Depth=1
	s_and_not1_saveexec_b32 s2, s1
; %bb.1423:                             ;   in Loop: Header=BB466_8 Depth=1
	v_and_b32_e32 v1, 0xffff, v0
	v_or_b32_e32 v2, 0x10000, v0
	s_delay_alu instid0(VALU_DEP_2) | instskip(NEXT) | instid1(VALU_DEP_1)
	v_cmp_eq_u32_e64 s1, 0, v1
	v_cndmask_b32_e64 v186, v2, v0, s1
; %bb.1424:                             ;   in Loop: Header=BB466_8 Depth=1
	s_or_b32 exec_lo, exec_lo, s2
	v_lshrrev_b32_e32 v0, 16, v31
	s_mov_b32 s2, exec_lo
	s_delay_alu instid0(VALU_DEP_1) | instskip(NEXT) | instid1(VALU_DEP_1)
	v_dual_mov_b32 v1, 0 :: v_dual_and_b32 v2, 0xff, v0
	v_cmpx_ne_u16_e32 0, v2
	s_cbranch_execz .LBB466_1432
; %bb.1425:                             ;   in Loop: Header=BB466_8 Depth=1
	v_bfrev_b32_e32 v1, 1
	s_mov_b32 s18, exec_lo
	v_cmpx_ne_u16_e32 0x80, v2
	s_cbranch_execz .LBB466_1431
; %bb.1426:                             ;   in Loop: Header=BB466_8 Depth=1
	v_bfe_u32 v2, v31, 16, 7
	v_mov_b32_e32 v1, 0x7f800001
	s_mov_b32 s19, exec_lo
	s_delay_alu instid0(VALU_DEP_2)
	v_cmpx_ne_u32_e32 0x7f, v2
	s_cbranch_execz .LBB466_1430
; %bb.1427:                             ;   in Loop: Header=BB466_8 Depth=1
	v_and_b32_e32 v18, 7, v0
	v_lshrrev_b32_e32 v1, 3, v2
	v_mov_b32_e32 v33, v19
	s_mov_b32 s20, exec_lo
	s_delay_alu instid0(VALU_DEP_3)
	v_mov_b32_e32 v32, v18
	v_cmpx_gt_u32_e32 8, v2
; %bb.1428:                             ;   in Loop: Header=BB466_8 Depth=1
	v_clz_i32_u32_e32 v1, v18
	s_delay_alu instid0(VALU_DEP_1) | instskip(NEXT) | instid1(VALU_DEP_1)
	v_min_u32_e32 v1, 32, v1
	v_subrev_nc_u32_e32 v2, 28, v1
	v_sub_nc_u32_e32 v1, 29, v1
	s_delay_alu instid0(VALU_DEP_2) | instskip(NEXT) | instid1(VALU_DEP_1)
	v_lshlrev_b64 v[2:3], v2, v[18:19]
	v_and_b32_e32 v32, 7, v2
; %bb.1429:                             ;   in Loop: Header=BB466_8 Depth=1
	s_or_b32 exec_lo, exec_lo, s20
	v_lshlrev_b32_e32 v0, 24, v0
	s_delay_alu instid0(VALU_DEP_2) | instskip(SKIP_1) | instid1(VALU_DEP_3)
	v_lshlrev_b32_e32 v2, 20, v32
	v_lshl_add_u32 v1, v1, 23, 0x3c000000
	v_and_b32_e32 v0, 0x80000000, v0
	s_delay_alu instid0(VALU_DEP_1)
	v_or3_b32 v1, v2, v0, v1
.LBB466_1430:                           ;   in Loop: Header=BB466_8 Depth=1
	s_or_b32 exec_lo, exec_lo, s19
.LBB466_1431:                           ;   in Loop: Header=BB466_8 Depth=1
	s_delay_alu instid0(SALU_CYCLE_1)
	s_or_b32 exec_lo, exec_lo, s18
.LBB466_1432:                           ;   in Loop: Header=BB466_8 Depth=1
	s_delay_alu instid0(SALU_CYCLE_1) | instskip(NEXT) | instid1(VALU_DEP_1)
	s_or_b32 exec_lo, exec_lo, s2
	v_mul_f32_e32 v0, v102, v1
                                        ; implicit-def: $vgpr187
	s_delay_alu instid0(VALU_DEP_1) | instskip(NEXT) | instid1(VALU_DEP_1)
	v_and_b32_e32 v1, 0x7f800000, v0
	v_cmp_ne_u32_e64 s1, 0x7f800000, v1
	s_delay_alu instid0(VALU_DEP_1) | instskip(NEXT) | instid1(SALU_CYCLE_1)
	s_and_saveexec_b32 s2, s1
	s_xor_b32 s1, exec_lo, s2
; %bb.1433:                             ;   in Loop: Header=BB466_8 Depth=1
	v_bfe_u32 v1, v0, 16, 1
	s_delay_alu instid0(VALU_DEP_1)
	v_add3_u32 v187, v0, v1, 0x7fff
                                        ; implicit-def: $vgpr0
; %bb.1434:                             ;   in Loop: Header=BB466_8 Depth=1
	s_and_not1_saveexec_b32 s2, s1
; %bb.1435:                             ;   in Loop: Header=BB466_8 Depth=1
	v_and_b32_e32 v1, 0xffff, v0
	v_or_b32_e32 v2, 0x10000, v0
	s_delay_alu instid0(VALU_DEP_2) | instskip(NEXT) | instid1(VALU_DEP_1)
	v_cmp_eq_u32_e64 s1, 0, v1
	v_cndmask_b32_e64 v187, v2, v0, s1
; %bb.1436:                             ;   in Loop: Header=BB466_8 Depth=1
	s_or_b32 exec_lo, exec_lo, s2
	v_mov_b32_e32 v1, 0
	s_mov_b32 s2, exec_lo
	v_cmpx_lt_u64_e64 s[8:9], v[30:31]
	s_cbranch_execz .LBB466_1444
; %bb.1437:                             ;   in Loop: Header=BB466_8 Depth=1
	v_lshrrev_b32_e32 v0, 24, v31
	v_bfrev_b32_e32 v1, 1
	s_mov_b32 s18, exec_lo
	s_delay_alu instid0(VALU_DEP_2)
	v_cmpx_ne_u32_e32 0x80, v0
	s_cbranch_execz .LBB466_1443
; %bb.1438:                             ;   in Loop: Header=BB466_8 Depth=1
	v_bfe_u32 v2, v31, 24, 7
	v_mov_b32_e32 v1, 0x7f800001
	s_mov_b32 s19, exec_lo
	s_delay_alu instid0(VALU_DEP_2)
	v_cmpx_ne_u32_e32 0x7f, v2
	s_cbranch_execz .LBB466_1442
; %bb.1439:                             ;   in Loop: Header=BB466_8 Depth=1
	v_and_b32_e32 v18, 7, v0
	v_lshrrev_b32_e32 v1, 3, v2
	v_mov_b32_e32 v31, v19
	s_mov_b32 s20, exec_lo
	s_delay_alu instid0(VALU_DEP_3)
	v_mov_b32_e32 v30, v18
	v_cmpx_gt_u32_e32 8, v2
; %bb.1440:                             ;   in Loop: Header=BB466_8 Depth=1
	v_clz_i32_u32_e32 v1, v18
	s_delay_alu instid0(VALU_DEP_1) | instskip(NEXT) | instid1(VALU_DEP_1)
	v_min_u32_e32 v1, 32, v1
	v_subrev_nc_u32_e32 v2, 28, v1
	v_sub_nc_u32_e32 v1, 29, v1
	s_delay_alu instid0(VALU_DEP_2) | instskip(NEXT) | instid1(VALU_DEP_1)
	v_lshlrev_b64 v[2:3], v2, v[18:19]
	v_and_b32_e32 v30, 7, v2
; %bb.1441:                             ;   in Loop: Header=BB466_8 Depth=1
	s_or_b32 exec_lo, exec_lo, s20
	v_lshlrev_b32_e32 v0, 24, v0
	s_delay_alu instid0(VALU_DEP_2) | instskip(SKIP_1) | instid1(VALU_DEP_3)
	v_lshlrev_b32_e32 v2, 20, v30
	v_lshl_add_u32 v1, v1, 23, 0x3c000000
	v_and_b32_e32 v0, 0x80000000, v0
	s_delay_alu instid0(VALU_DEP_1)
	v_or3_b32 v1, v2, v0, v1
.LBB466_1442:                           ;   in Loop: Header=BB466_8 Depth=1
	s_or_b32 exec_lo, exec_lo, s19
.LBB466_1443:                           ;   in Loop: Header=BB466_8 Depth=1
	s_delay_alu instid0(SALU_CYCLE_1)
	s_or_b32 exec_lo, exec_lo, s18
.LBB466_1444:                           ;   in Loop: Header=BB466_8 Depth=1
	s_delay_alu instid0(SALU_CYCLE_1) | instskip(NEXT) | instid1(VALU_DEP_1)
	s_or_b32 exec_lo, exec_lo, s2
	v_mul_f32_e32 v0, v102, v1
                                        ; implicit-def: $vgpr188
	s_delay_alu instid0(VALU_DEP_1) | instskip(NEXT) | instid1(VALU_DEP_1)
	v_and_b32_e32 v1, 0x7f800000, v0
	v_cmp_ne_u32_e64 s1, 0x7f800000, v1
	s_delay_alu instid0(VALU_DEP_1) | instskip(NEXT) | instid1(SALU_CYCLE_1)
	s_and_saveexec_b32 s2, s1
	s_xor_b32 s1, exec_lo, s2
; %bb.1445:                             ;   in Loop: Header=BB466_8 Depth=1
	v_bfe_u32 v1, v0, 16, 1
	s_delay_alu instid0(VALU_DEP_1)
	v_add3_u32 v188, v0, v1, 0x7fff
                                        ; implicit-def: $vgpr0
; %bb.1446:                             ;   in Loop: Header=BB466_8 Depth=1
	s_and_not1_saveexec_b32 s2, s1
; %bb.1447:                             ;   in Loop: Header=BB466_8 Depth=1
	v_and_b32_e32 v1, 0xffff, v0
	v_or_b32_e32 v2, 0x10000, v0
	s_delay_alu instid0(VALU_DEP_2) | instskip(NEXT) | instid1(VALU_DEP_1)
	v_cmp_eq_u32_e64 s1, 0, v1
	v_cndmask_b32_e64 v188, v2, v0, s1
; %bb.1448:                             ;   in Loop: Header=BB466_8 Depth=1
	s_or_b32 exec_lo, exec_lo, s2
	flat_load_b64 v[30:31], v[28:29] offset:3592
	s_mov_b32 s2, exec_lo
	s_waitcnt vmcnt(0) lgkmcnt(0)
	v_dual_mov_b32 v0, 0 :: v_dual_and_b32 v1, 0xff, v30
	s_delay_alu instid0(VALU_DEP_1)
	v_cmpx_ne_u16_e32 0, v1
	s_cbranch_execz .LBB466_1456
; %bb.1449:                             ;   in Loop: Header=BB466_8 Depth=1
	v_bfrev_b32_e32 v0, 1
	s_mov_b32 s18, exec_lo
	v_cmpx_ne_u16_e32 0x80, v1
	s_cbranch_execz .LBB466_1455
; %bb.1450:                             ;   in Loop: Header=BB466_8 Depth=1
	v_and_b32_e32 v1, 0x7f, v30
	v_mov_b32_e32 v0, 0x7f800001
	s_mov_b32 s19, exec_lo
	s_delay_alu instid0(VALU_DEP_2)
	v_cmpx_ne_u32_e32 0x7f, v1
	s_cbranch_execz .LBB466_1454
; %bb.1451:                             ;   in Loop: Header=BB466_8 Depth=1
	v_lshrrev_b32_e32 v0, 3, v1
	v_dual_mov_b32 v33, v31 :: v_dual_mov_b32 v32, v30
	s_mov_b32 s20, exec_lo
	v_cmpx_gt_u32_e32 8, v1
; %bb.1452:                             ;   in Loop: Header=BB466_8 Depth=1
	v_and_b32_e32 v0, 7, v30
	s_delay_alu instid0(VALU_DEP_1) | instskip(NEXT) | instid1(VALU_DEP_1)
	v_clz_i32_u32_e32 v0, v0
	v_min_u32_e32 v0, 32, v0
	s_delay_alu instid0(VALU_DEP_1) | instskip(SKIP_1) | instid1(VALU_DEP_2)
	v_subrev_nc_u32_e32 v1, 28, v0
	v_sub_nc_u32_e32 v0, 29, v0
	v_lshlrev_b64 v[32:33], v1, v[30:31]
; %bb.1453:                             ;   in Loop: Header=BB466_8 Depth=1
	s_or_b32 exec_lo, exec_lo, s20
	s_delay_alu instid0(VALU_DEP_1) | instskip(SKIP_2) | instid1(VALU_DEP_3)
	v_lshlrev_b32_e32 v1, 20, v32
	v_lshlrev_b32_e32 v2, 24, v30
	v_lshl_add_u32 v0, v0, 23, 0x3c000000
	v_and_b32_e32 v1, 0x700000, v1
	s_delay_alu instid0(VALU_DEP_3) | instskip(NEXT) | instid1(VALU_DEP_1)
	v_and_b32_e32 v2, 0x80000000, v2
	v_or3_b32 v0, v1, v2, v0
.LBB466_1454:                           ;   in Loop: Header=BB466_8 Depth=1
	s_or_b32 exec_lo, exec_lo, s19
.LBB466_1455:                           ;   in Loop: Header=BB466_8 Depth=1
	s_delay_alu instid0(SALU_CYCLE_1)
	s_or_b32 exec_lo, exec_lo, s18
.LBB466_1456:                           ;   in Loop: Header=BB466_8 Depth=1
	s_delay_alu instid0(SALU_CYCLE_1) | instskip(NEXT) | instid1(VALU_DEP_1)
	s_or_b32 exec_lo, exec_lo, s2
	v_mul_f32_e32 v0, v102, v0
                                        ; implicit-def: $vgpr189
	s_delay_alu instid0(VALU_DEP_1) | instskip(NEXT) | instid1(VALU_DEP_1)
	v_and_b32_e32 v1, 0x7f800000, v0
	v_cmp_ne_u32_e64 s1, 0x7f800000, v1
	s_delay_alu instid0(VALU_DEP_1) | instskip(NEXT) | instid1(SALU_CYCLE_1)
	s_and_saveexec_b32 s2, s1
	s_xor_b32 s1, exec_lo, s2
; %bb.1457:                             ;   in Loop: Header=BB466_8 Depth=1
	v_bfe_u32 v1, v0, 16, 1
	s_delay_alu instid0(VALU_DEP_1)
	v_add3_u32 v189, v0, v1, 0x7fff
                                        ; implicit-def: $vgpr0
; %bb.1458:                             ;   in Loop: Header=BB466_8 Depth=1
	s_and_not1_saveexec_b32 s2, s1
; %bb.1459:                             ;   in Loop: Header=BB466_8 Depth=1
	v_and_b32_e32 v1, 0xffff, v0
	v_or_b32_e32 v2, 0x10000, v0
	s_delay_alu instid0(VALU_DEP_2) | instskip(NEXT) | instid1(VALU_DEP_1)
	v_cmp_eq_u32_e64 s1, 0, v1
	v_cndmask_b32_e64 v189, v2, v0, s1
; %bb.1460:                             ;   in Loop: Header=BB466_8 Depth=1
	s_or_b32 exec_lo, exec_lo, s2
	v_lshrrev_b16 v1, 8, v30
	v_mov_b32_e32 v0, 0
	s_mov_b32 s2, exec_lo
	s_delay_alu instid0(VALU_DEP_2)
	v_cmpx_ne_u16_e32 0, v1
	s_cbranch_execz .LBB466_1468
; %bb.1461:                             ;   in Loop: Header=BB466_8 Depth=1
	v_bfrev_b32_e32 v0, 1
	s_mov_b32 s18, exec_lo
	v_cmpx_ne_u16_e32 0x80, v1
	s_cbranch_execz .LBB466_1467
; %bb.1462:                             ;   in Loop: Header=BB466_8 Depth=1
	v_and_b32_e32 v2, 0xffff, v1
	v_mov_b32_e32 v0, 0x7f800001
	s_mov_b32 s19, exec_lo
	s_delay_alu instid0(VALU_DEP_2) | instskip(NEXT) | instid1(VALU_DEP_1)
	v_and_b32_e32 v1, 0x7f, v2
	v_cmpx_ne_u32_e32 0x7f, v1
	s_cbranch_execz .LBB466_1466
; %bb.1463:                             ;   in Loop: Header=BB466_8 Depth=1
	v_and_b32_e32 v18, 7, v2
	v_mov_b32_e32 v33, v19
	v_lshrrev_b32_e32 v0, 3, v1
	s_mov_b32 s20, exec_lo
	s_delay_alu instid0(VALU_DEP_3)
	v_mov_b32_e32 v32, v18
	v_cmpx_gt_u32_e32 8, v1
; %bb.1464:                             ;   in Loop: Header=BB466_8 Depth=1
	v_clz_i32_u32_e32 v0, v18
	s_delay_alu instid0(VALU_DEP_1) | instskip(NEXT) | instid1(VALU_DEP_1)
	v_min_u32_e32 v0, 32, v0
	v_subrev_nc_u32_e32 v1, 28, v0
	v_sub_nc_u32_e32 v0, 29, v0
	s_delay_alu instid0(VALU_DEP_2) | instskip(NEXT) | instid1(VALU_DEP_1)
	v_lshlrev_b64 v[1:2], v1, v[18:19]
	v_and_b32_e32 v32, 7, v1
; %bb.1465:                             ;   in Loop: Header=BB466_8 Depth=1
	s_or_b32 exec_lo, exec_lo, s20
	v_lshlrev_b32_e32 v1, 16, v30
	s_delay_alu instid0(VALU_DEP_2) | instskip(SKIP_1) | instid1(VALU_DEP_3)
	v_lshlrev_b32_e32 v2, 20, v32
	v_lshl_add_u32 v0, v0, 23, 0x3c000000
	v_and_b32_e32 v1, 0x80000000, v1
	s_delay_alu instid0(VALU_DEP_1)
	v_or3_b32 v0, v2, v1, v0
.LBB466_1466:                           ;   in Loop: Header=BB466_8 Depth=1
	s_or_b32 exec_lo, exec_lo, s19
.LBB466_1467:                           ;   in Loop: Header=BB466_8 Depth=1
	s_delay_alu instid0(SALU_CYCLE_1)
	s_or_b32 exec_lo, exec_lo, s18
.LBB466_1468:                           ;   in Loop: Header=BB466_8 Depth=1
	s_delay_alu instid0(SALU_CYCLE_1) | instskip(NEXT) | instid1(VALU_DEP_1)
	s_or_b32 exec_lo, exec_lo, s2
	v_mul_f32_e32 v0, v102, v0
                                        ; implicit-def: $vgpr190
	s_delay_alu instid0(VALU_DEP_1) | instskip(NEXT) | instid1(VALU_DEP_1)
	v_and_b32_e32 v1, 0x7f800000, v0
	v_cmp_ne_u32_e64 s1, 0x7f800000, v1
	s_delay_alu instid0(VALU_DEP_1) | instskip(NEXT) | instid1(SALU_CYCLE_1)
	s_and_saveexec_b32 s2, s1
	s_xor_b32 s1, exec_lo, s2
; %bb.1469:                             ;   in Loop: Header=BB466_8 Depth=1
	v_bfe_u32 v1, v0, 16, 1
	s_delay_alu instid0(VALU_DEP_1)
	v_add3_u32 v190, v0, v1, 0x7fff
                                        ; implicit-def: $vgpr0
; %bb.1470:                             ;   in Loop: Header=BB466_8 Depth=1
	s_and_not1_saveexec_b32 s2, s1
; %bb.1471:                             ;   in Loop: Header=BB466_8 Depth=1
	v_and_b32_e32 v1, 0xffff, v0
	v_or_b32_e32 v2, 0x10000, v0
	s_delay_alu instid0(VALU_DEP_2) | instskip(NEXT) | instid1(VALU_DEP_1)
	v_cmp_eq_u32_e64 s1, 0, v1
	v_cndmask_b32_e64 v190, v2, v0, s1
; %bb.1472:                             ;   in Loop: Header=BB466_8 Depth=1
	s_or_b32 exec_lo, exec_lo, s2
	v_lshrrev_b32_e32 v0, 16, v30
	s_mov_b32 s2, exec_lo
	s_delay_alu instid0(VALU_DEP_1) | instskip(NEXT) | instid1(VALU_DEP_1)
	v_dual_mov_b32 v1, 0 :: v_dual_and_b32 v2, 0xff, v0
	v_cmpx_ne_u16_e32 0, v2
	s_cbranch_execz .LBB466_1480
; %bb.1473:                             ;   in Loop: Header=BB466_8 Depth=1
	v_bfrev_b32_e32 v1, 1
	s_mov_b32 s18, exec_lo
	v_cmpx_ne_u16_e32 0x80, v2
	s_cbranch_execz .LBB466_1479
; %bb.1474:                             ;   in Loop: Header=BB466_8 Depth=1
	v_bfe_u32 v2, v30, 16, 7
	v_mov_b32_e32 v1, 0x7f800001
	s_mov_b32 s19, exec_lo
	s_delay_alu instid0(VALU_DEP_2)
	v_cmpx_ne_u32_e32 0x7f, v2
	s_cbranch_execz .LBB466_1478
; %bb.1475:                             ;   in Loop: Header=BB466_8 Depth=1
	v_and_b32_e32 v18, 7, v0
	v_mov_b32_e32 v33, v19
	v_lshrrev_b32_e32 v1, 3, v2
	s_mov_b32 s20, exec_lo
	s_delay_alu instid0(VALU_DEP_3)
	v_mov_b32_e32 v32, v18
	v_cmpx_gt_u32_e32 8, v2
; %bb.1476:                             ;   in Loop: Header=BB466_8 Depth=1
	v_clz_i32_u32_e32 v1, v18
	s_delay_alu instid0(VALU_DEP_1) | instskip(NEXT) | instid1(VALU_DEP_1)
	v_min_u32_e32 v1, 32, v1
	v_subrev_nc_u32_e32 v2, 28, v1
	v_sub_nc_u32_e32 v1, 29, v1
	s_delay_alu instid0(VALU_DEP_2) | instskip(NEXT) | instid1(VALU_DEP_1)
	v_lshlrev_b64 v[2:3], v2, v[18:19]
	v_and_b32_e32 v32, 7, v2
; %bb.1477:                             ;   in Loop: Header=BB466_8 Depth=1
	s_or_b32 exec_lo, exec_lo, s20
	v_lshlrev_b32_e32 v0, 24, v0
	s_delay_alu instid0(VALU_DEP_2) | instskip(SKIP_1) | instid1(VALU_DEP_3)
	v_lshlrev_b32_e32 v2, 20, v32
	v_lshl_add_u32 v1, v1, 23, 0x3c000000
	v_and_b32_e32 v0, 0x80000000, v0
	s_delay_alu instid0(VALU_DEP_1)
	v_or3_b32 v1, v2, v0, v1
.LBB466_1478:                           ;   in Loop: Header=BB466_8 Depth=1
	s_or_b32 exec_lo, exec_lo, s19
.LBB466_1479:                           ;   in Loop: Header=BB466_8 Depth=1
	s_delay_alu instid0(SALU_CYCLE_1)
	s_or_b32 exec_lo, exec_lo, s18
.LBB466_1480:                           ;   in Loop: Header=BB466_8 Depth=1
	s_delay_alu instid0(SALU_CYCLE_1) | instskip(NEXT) | instid1(VALU_DEP_1)
	s_or_b32 exec_lo, exec_lo, s2
	v_mul_f32_e32 v0, v102, v1
                                        ; implicit-def: $vgpr191
	s_delay_alu instid0(VALU_DEP_1) | instskip(NEXT) | instid1(VALU_DEP_1)
	v_and_b32_e32 v1, 0x7f800000, v0
	v_cmp_ne_u32_e64 s1, 0x7f800000, v1
	s_delay_alu instid0(VALU_DEP_1) | instskip(NEXT) | instid1(SALU_CYCLE_1)
	s_and_saveexec_b32 s2, s1
	s_xor_b32 s1, exec_lo, s2
; %bb.1481:                             ;   in Loop: Header=BB466_8 Depth=1
	v_bfe_u32 v1, v0, 16, 1
	s_delay_alu instid0(VALU_DEP_1)
	v_add3_u32 v191, v0, v1, 0x7fff
                                        ; implicit-def: $vgpr0
; %bb.1482:                             ;   in Loop: Header=BB466_8 Depth=1
	s_and_not1_saveexec_b32 s2, s1
; %bb.1483:                             ;   in Loop: Header=BB466_8 Depth=1
	v_and_b32_e32 v1, 0xffff, v0
	v_or_b32_e32 v2, 0x10000, v0
	s_delay_alu instid0(VALU_DEP_2) | instskip(NEXT) | instid1(VALU_DEP_1)
	v_cmp_eq_u32_e64 s1, 0, v1
	v_cndmask_b32_e64 v191, v2, v0, s1
; %bb.1484:                             ;   in Loop: Header=BB466_8 Depth=1
	s_or_b32 exec_lo, exec_lo, s2
	v_mov_b32_e32 v1, 0
	s_mov_b32 s2, exec_lo
	v_cmpx_lt_u32_e32 0xffffff, v30
	s_cbranch_execz .LBB466_1492
; %bb.1485:                             ;   in Loop: Header=BB466_8 Depth=1
	v_lshrrev_b32_e32 v0, 24, v30
	v_bfrev_b32_e32 v1, 1
	s_mov_b32 s18, exec_lo
	s_delay_alu instid0(VALU_DEP_2)
	v_cmpx_ne_u32_e32 0x80, v0
	s_cbranch_execz .LBB466_1491
; %bb.1486:                             ;   in Loop: Header=BB466_8 Depth=1
	v_bfe_u32 v2, v30, 24, 7
	v_mov_b32_e32 v1, 0x7f800001
	s_mov_b32 s19, exec_lo
	s_delay_alu instid0(VALU_DEP_2)
	v_cmpx_ne_u32_e32 0x7f, v2
	s_cbranch_execz .LBB466_1490
; %bb.1487:                             ;   in Loop: Header=BB466_8 Depth=1
	v_and_b32_e32 v18, 7, v0
	v_mov_b32_e32 v33, v19
	v_lshrrev_b32_e32 v1, 3, v2
	s_mov_b32 s20, exec_lo
	s_delay_alu instid0(VALU_DEP_3)
	v_mov_b32_e32 v32, v18
	v_cmpx_gt_u32_e32 8, v2
; %bb.1488:                             ;   in Loop: Header=BB466_8 Depth=1
	v_clz_i32_u32_e32 v1, v18
	s_delay_alu instid0(VALU_DEP_1) | instskip(NEXT) | instid1(VALU_DEP_1)
	v_min_u32_e32 v1, 32, v1
	v_subrev_nc_u32_e32 v2, 28, v1
	v_sub_nc_u32_e32 v1, 29, v1
	s_delay_alu instid0(VALU_DEP_2) | instskip(NEXT) | instid1(VALU_DEP_1)
	v_lshlrev_b64 v[2:3], v2, v[18:19]
	v_and_b32_e32 v32, 7, v2
; %bb.1489:                             ;   in Loop: Header=BB466_8 Depth=1
	s_or_b32 exec_lo, exec_lo, s20
	v_lshlrev_b32_e32 v0, 24, v0
	s_delay_alu instid0(VALU_DEP_2) | instskip(SKIP_1) | instid1(VALU_DEP_3)
	v_lshlrev_b32_e32 v2, 20, v32
	v_lshl_add_u32 v1, v1, 23, 0x3c000000
	v_and_b32_e32 v0, 0x80000000, v0
	s_delay_alu instid0(VALU_DEP_1)
	v_or3_b32 v1, v2, v0, v1
.LBB466_1490:                           ;   in Loop: Header=BB466_8 Depth=1
	s_or_b32 exec_lo, exec_lo, s19
.LBB466_1491:                           ;   in Loop: Header=BB466_8 Depth=1
	s_delay_alu instid0(SALU_CYCLE_1)
	s_or_b32 exec_lo, exec_lo, s18
.LBB466_1492:                           ;   in Loop: Header=BB466_8 Depth=1
	s_delay_alu instid0(SALU_CYCLE_1) | instskip(NEXT) | instid1(VALU_DEP_1)
	s_or_b32 exec_lo, exec_lo, s2
	v_mul_f32_e32 v0, v102, v1
                                        ; implicit-def: $vgpr38
	s_delay_alu instid0(VALU_DEP_1) | instskip(NEXT) | instid1(VALU_DEP_1)
	v_and_b32_e32 v1, 0x7f800000, v0
	v_cmp_ne_u32_e64 s1, 0x7f800000, v1
	s_delay_alu instid0(VALU_DEP_1) | instskip(NEXT) | instid1(SALU_CYCLE_1)
	s_and_saveexec_b32 s2, s1
	s_xor_b32 s1, exec_lo, s2
; %bb.1493:                             ;   in Loop: Header=BB466_8 Depth=1
	v_bfe_u32 v1, v0, 16, 1
	s_delay_alu instid0(VALU_DEP_1)
	v_add3_u32 v38, v0, v1, 0x7fff
                                        ; implicit-def: $vgpr0
; %bb.1494:                             ;   in Loop: Header=BB466_8 Depth=1
	s_and_not1_saveexec_b32 s2, s1
; %bb.1495:                             ;   in Loop: Header=BB466_8 Depth=1
	v_and_b32_e32 v1, 0xffff, v0
	v_or_b32_e32 v2, 0x10000, v0
	s_delay_alu instid0(VALU_DEP_2) | instskip(NEXT) | instid1(VALU_DEP_1)
	v_cmp_eq_u32_e64 s1, 0, v1
	v_cndmask_b32_e64 v38, v2, v0, s1
; %bb.1496:                             ;   in Loop: Header=BB466_8 Depth=1
	s_or_b32 exec_lo, exec_lo, s2
	v_dual_mov_b32 v18, v31 :: v_dual_and_b32 v1, 0xff, v31
	v_mov_b32_e32 v0, 0
	s_mov_b32 s2, exec_lo
	s_delay_alu instid0(VALU_DEP_2)
	v_cmpx_ne_u16_e32 0, v1
	s_cbranch_execz .LBB466_1504
; %bb.1497:                             ;   in Loop: Header=BB466_8 Depth=1
	v_bfrev_b32_e32 v0, 1
	s_mov_b32 s18, exec_lo
	v_cmpx_ne_u16_e32 0x80, v1
	s_cbranch_execz .LBB466_1503
; %bb.1498:                             ;   in Loop: Header=BB466_8 Depth=1
	v_and_b32_e32 v1, 0x7f, v31
	v_mov_b32_e32 v0, 0x7f800001
	s_mov_b32 s19, exec_lo
	s_delay_alu instid0(VALU_DEP_2)
	v_cmpx_ne_u32_e32 0x7f, v1
	s_cbranch_execz .LBB466_1502
; %bb.1499:                             ;   in Loop: Header=BB466_8 Depth=1
	v_dual_mov_b32 v33, v19 :: v_dual_mov_b32 v32, v18
	v_lshrrev_b32_e32 v0, 3, v1
	s_mov_b32 s20, exec_lo
	v_cmpx_gt_u32_e32 8, v1
; %bb.1500:                             ;   in Loop: Header=BB466_8 Depth=1
	v_and_b32_e32 v0, 7, v31
	s_delay_alu instid0(VALU_DEP_1) | instskip(NEXT) | instid1(VALU_DEP_1)
	v_clz_i32_u32_e32 v0, v0
	v_min_u32_e32 v0, 32, v0
	s_delay_alu instid0(VALU_DEP_1) | instskip(SKIP_1) | instid1(VALU_DEP_2)
	v_subrev_nc_u32_e32 v1, 28, v0
	v_sub_nc_u32_e32 v0, 29, v0
	v_lshlrev_b64 v[32:33], v1, v[18:19]
; %bb.1501:                             ;   in Loop: Header=BB466_8 Depth=1
	s_or_b32 exec_lo, exec_lo, s20
	s_delay_alu instid0(VALU_DEP_1) | instskip(SKIP_2) | instid1(VALU_DEP_3)
	v_lshlrev_b32_e32 v1, 20, v32
	v_lshlrev_b32_e32 v2, 24, v18
	v_lshl_add_u32 v0, v0, 23, 0x3c000000
	v_and_b32_e32 v1, 0x700000, v1
	s_delay_alu instid0(VALU_DEP_3) | instskip(NEXT) | instid1(VALU_DEP_1)
	v_and_b32_e32 v2, 0x80000000, v2
	v_or3_b32 v0, v1, v2, v0
.LBB466_1502:                           ;   in Loop: Header=BB466_8 Depth=1
	s_or_b32 exec_lo, exec_lo, s19
.LBB466_1503:                           ;   in Loop: Header=BB466_8 Depth=1
	s_delay_alu instid0(SALU_CYCLE_1)
	s_or_b32 exec_lo, exec_lo, s18
.LBB466_1504:                           ;   in Loop: Header=BB466_8 Depth=1
	s_delay_alu instid0(SALU_CYCLE_1) | instskip(NEXT) | instid1(VALU_DEP_1)
	s_or_b32 exec_lo, exec_lo, s2
	v_mul_f32_e32 v0, v102, v0
                                        ; implicit-def: $vgpr5
	s_delay_alu instid0(VALU_DEP_1) | instskip(NEXT) | instid1(VALU_DEP_1)
	v_and_b32_e32 v1, 0x7f800000, v0
	v_cmp_ne_u32_e64 s1, 0x7f800000, v1
	s_delay_alu instid0(VALU_DEP_1) | instskip(NEXT) | instid1(SALU_CYCLE_1)
	s_and_saveexec_b32 s2, s1
	s_xor_b32 s1, exec_lo, s2
; %bb.1505:                             ;   in Loop: Header=BB466_8 Depth=1
	v_bfe_u32 v1, v0, 16, 1
	s_delay_alu instid0(VALU_DEP_1)
	v_add3_u32 v5, v0, v1, 0x7fff
                                        ; implicit-def: $vgpr0
; %bb.1506:                             ;   in Loop: Header=BB466_8 Depth=1
	s_and_not1_saveexec_b32 s2, s1
; %bb.1507:                             ;   in Loop: Header=BB466_8 Depth=1
	v_and_b32_e32 v1, 0xffff, v0
	v_or_b32_e32 v2, 0x10000, v0
	s_delay_alu instid0(VALU_DEP_2) | instskip(NEXT) | instid1(VALU_DEP_1)
	v_cmp_eq_u32_e64 s1, 0, v1
	v_cndmask_b32_e64 v5, v2, v0, s1
; %bb.1508:                             ;   in Loop: Header=BB466_8 Depth=1
	s_or_b32 exec_lo, exec_lo, s2
	v_lshrrev_b16 v1, 8, v18
	v_mov_b32_e32 v0, 0
	s_mov_b32 s2, exec_lo
	s_delay_alu instid0(VALU_DEP_2)
	v_cmpx_ne_u16_e32 0, v1
	s_cbranch_execz .LBB466_1516
; %bb.1509:                             ;   in Loop: Header=BB466_8 Depth=1
	v_bfrev_b32_e32 v0, 1
	s_mov_b32 s18, exec_lo
	v_cmpx_ne_u16_e32 0x80, v1
	s_cbranch_execz .LBB466_1515
; %bb.1510:                             ;   in Loop: Header=BB466_8 Depth=1
	v_and_b32_e32 v2, 0xffff, v1
	v_mov_b32_e32 v0, 0x7f800001
	s_mov_b32 s19, exec_lo
	s_delay_alu instid0(VALU_DEP_2) | instskip(NEXT) | instid1(VALU_DEP_1)
	v_and_b32_e32 v1, 0x7f, v2
	v_cmpx_ne_u32_e32 0x7f, v1
	s_cbranch_execz .LBB466_1514
; %bb.1511:                             ;   in Loop: Header=BB466_8 Depth=1
	v_dual_mov_b32 v33, v19 :: v_dual_and_b32 v32, 7, v2
	v_lshrrev_b32_e32 v0, 3, v1
	s_mov_b32 s20, exec_lo
	v_cmpx_gt_u32_e32 8, v1
; %bb.1512:                             ;   in Loop: Header=BB466_8 Depth=1
	s_delay_alu instid0(VALU_DEP_3) | instskip(NEXT) | instid1(VALU_DEP_1)
	v_clz_i32_u32_e32 v0, v32
	v_min_u32_e32 v0, 32, v0
	s_delay_alu instid0(VALU_DEP_1) | instskip(SKIP_1) | instid1(VALU_DEP_2)
	v_subrev_nc_u32_e32 v1, 28, v0
	v_sub_nc_u32_e32 v0, 29, v0
	v_lshlrev_b64 v[1:2], v1, v[32:33]
	s_delay_alu instid0(VALU_DEP_1)
	v_and_b32_e32 v32, 7, v1
; %bb.1513:                             ;   in Loop: Header=BB466_8 Depth=1
	s_or_b32 exec_lo, exec_lo, s20
	v_lshlrev_b32_e32 v1, 16, v18
	s_delay_alu instid0(VALU_DEP_2) | instskip(SKIP_1) | instid1(VALU_DEP_3)
	v_lshlrev_b32_e32 v2, 20, v32
	v_lshl_add_u32 v0, v0, 23, 0x3c000000
	v_and_b32_e32 v1, 0x80000000, v1
	s_delay_alu instid0(VALU_DEP_1)
	v_or3_b32 v0, v2, v1, v0
.LBB466_1514:                           ;   in Loop: Header=BB466_8 Depth=1
	s_or_b32 exec_lo, exec_lo, s19
.LBB466_1515:                           ;   in Loop: Header=BB466_8 Depth=1
	s_delay_alu instid0(SALU_CYCLE_1)
	s_or_b32 exec_lo, exec_lo, s18
.LBB466_1516:                           ;   in Loop: Header=BB466_8 Depth=1
	s_delay_alu instid0(SALU_CYCLE_1) | instskip(NEXT) | instid1(VALU_DEP_1)
	s_or_b32 exec_lo, exec_lo, s2
	v_mul_f32_e32 v0, v102, v0
                                        ; implicit-def: $vgpr22
	s_delay_alu instid0(VALU_DEP_1) | instskip(NEXT) | instid1(VALU_DEP_1)
	v_and_b32_e32 v1, 0x7f800000, v0
	v_cmp_ne_u32_e64 s1, 0x7f800000, v1
	s_delay_alu instid0(VALU_DEP_1) | instskip(NEXT) | instid1(SALU_CYCLE_1)
	s_and_saveexec_b32 s2, s1
	s_xor_b32 s1, exec_lo, s2
; %bb.1517:                             ;   in Loop: Header=BB466_8 Depth=1
	v_bfe_u32 v1, v0, 16, 1
	s_delay_alu instid0(VALU_DEP_1)
	v_add3_u32 v22, v0, v1, 0x7fff
                                        ; implicit-def: $vgpr0
; %bb.1518:                             ;   in Loop: Header=BB466_8 Depth=1
	s_and_not1_saveexec_b32 s2, s1
; %bb.1519:                             ;   in Loop: Header=BB466_8 Depth=1
	v_and_b32_e32 v1, 0xffff, v0
	v_or_b32_e32 v2, 0x10000, v0
	s_delay_alu instid0(VALU_DEP_2) | instskip(NEXT) | instid1(VALU_DEP_1)
	v_cmp_eq_u32_e64 s1, 0, v1
	v_cndmask_b32_e64 v22, v2, v0, s1
; %bb.1520:                             ;   in Loop: Header=BB466_8 Depth=1
	s_or_b32 exec_lo, exec_lo, s2
	v_lshrrev_b32_e32 v0, 16, v31
	s_mov_b32 s2, exec_lo
	s_delay_alu instid0(VALU_DEP_1) | instskip(NEXT) | instid1(VALU_DEP_1)
	v_dual_mov_b32 v1, 0 :: v_dual_and_b32 v2, 0xff, v0
	v_cmpx_ne_u16_e32 0, v2
	s_cbranch_execz .LBB466_1528
; %bb.1521:                             ;   in Loop: Header=BB466_8 Depth=1
	v_bfrev_b32_e32 v1, 1
	s_mov_b32 s18, exec_lo
	v_cmpx_ne_u16_e32 0x80, v2
	s_cbranch_execz .LBB466_1527
; %bb.1522:                             ;   in Loop: Header=BB466_8 Depth=1
	v_bfe_u32 v2, v31, 16, 7
	v_mov_b32_e32 v1, 0x7f800001
	s_mov_b32 s19, exec_lo
	s_delay_alu instid0(VALU_DEP_2)
	v_cmpx_ne_u32_e32 0x7f, v2
	s_cbranch_execz .LBB466_1526
; %bb.1523:                             ;   in Loop: Header=BB466_8 Depth=1
	v_and_b32_e32 v18, 7, v0
	v_mov_b32_e32 v33, v19
	v_lshrrev_b32_e32 v1, 3, v2
	s_mov_b32 s20, exec_lo
	s_delay_alu instid0(VALU_DEP_3)
	v_mov_b32_e32 v32, v18
	v_cmpx_gt_u32_e32 8, v2
; %bb.1524:                             ;   in Loop: Header=BB466_8 Depth=1
	v_clz_i32_u32_e32 v1, v18
	s_delay_alu instid0(VALU_DEP_1) | instskip(NEXT) | instid1(VALU_DEP_1)
	v_min_u32_e32 v1, 32, v1
	v_subrev_nc_u32_e32 v2, 28, v1
	v_sub_nc_u32_e32 v1, 29, v1
	s_delay_alu instid0(VALU_DEP_2) | instskip(NEXT) | instid1(VALU_DEP_1)
	v_lshlrev_b64 v[2:3], v2, v[18:19]
	v_and_b32_e32 v32, 7, v2
; %bb.1525:                             ;   in Loop: Header=BB466_8 Depth=1
	s_or_b32 exec_lo, exec_lo, s20
	v_lshlrev_b32_e32 v0, 24, v0
	s_delay_alu instid0(VALU_DEP_2) | instskip(SKIP_1) | instid1(VALU_DEP_3)
	v_lshlrev_b32_e32 v2, 20, v32
	v_lshl_add_u32 v1, v1, 23, 0x3c000000
	v_and_b32_e32 v0, 0x80000000, v0
	s_delay_alu instid0(VALU_DEP_1)
	v_or3_b32 v1, v2, v0, v1
.LBB466_1526:                           ;   in Loop: Header=BB466_8 Depth=1
	s_or_b32 exec_lo, exec_lo, s19
.LBB466_1527:                           ;   in Loop: Header=BB466_8 Depth=1
	s_delay_alu instid0(SALU_CYCLE_1)
	s_or_b32 exec_lo, exec_lo, s18
.LBB466_1528:                           ;   in Loop: Header=BB466_8 Depth=1
	s_delay_alu instid0(SALU_CYCLE_1) | instskip(NEXT) | instid1(VALU_DEP_1)
	s_or_b32 exec_lo, exec_lo, s2
	v_mul_f32_e32 v0, v102, v1
                                        ; implicit-def: $vgpr37
	s_delay_alu instid0(VALU_DEP_1) | instskip(NEXT) | instid1(VALU_DEP_1)
	v_and_b32_e32 v1, 0x7f800000, v0
	v_cmp_ne_u32_e64 s1, 0x7f800000, v1
	s_delay_alu instid0(VALU_DEP_1) | instskip(NEXT) | instid1(SALU_CYCLE_1)
	s_and_saveexec_b32 s2, s1
	s_xor_b32 s1, exec_lo, s2
; %bb.1529:                             ;   in Loop: Header=BB466_8 Depth=1
	v_bfe_u32 v1, v0, 16, 1
	s_delay_alu instid0(VALU_DEP_1)
	v_add3_u32 v37, v0, v1, 0x7fff
                                        ; implicit-def: $vgpr0
; %bb.1530:                             ;   in Loop: Header=BB466_8 Depth=1
	s_and_not1_saveexec_b32 s2, s1
; %bb.1531:                             ;   in Loop: Header=BB466_8 Depth=1
	v_and_b32_e32 v1, 0xffff, v0
	v_or_b32_e32 v2, 0x10000, v0
	s_delay_alu instid0(VALU_DEP_2) | instskip(NEXT) | instid1(VALU_DEP_1)
	v_cmp_eq_u32_e64 s1, 0, v1
	v_cndmask_b32_e64 v37, v2, v0, s1
; %bb.1532:                             ;   in Loop: Header=BB466_8 Depth=1
	s_or_b32 exec_lo, exec_lo, s2
	v_mov_b32_e32 v1, 0
	s_mov_b32 s2, exec_lo
	v_cmpx_lt_u64_e64 s[8:9], v[30:31]
	s_cbranch_execz .LBB466_1540
; %bb.1533:                             ;   in Loop: Header=BB466_8 Depth=1
	v_lshrrev_b32_e32 v0, 24, v31
	v_bfrev_b32_e32 v1, 1
	s_mov_b32 s18, exec_lo
	s_delay_alu instid0(VALU_DEP_2)
	v_cmpx_ne_u32_e32 0x80, v0
	s_cbranch_execz .LBB466_1539
; %bb.1534:                             ;   in Loop: Header=BB466_8 Depth=1
	v_bfe_u32 v2, v31, 24, 7
	v_mov_b32_e32 v1, 0x7f800001
	s_mov_b32 s19, exec_lo
	s_delay_alu instid0(VALU_DEP_2)
	v_cmpx_ne_u32_e32 0x7f, v2
	s_cbranch_execz .LBB466_1538
; %bb.1535:                             ;   in Loop: Header=BB466_8 Depth=1
	v_and_b32_e32 v18, 7, v0
	v_mov_b32_e32 v31, v19
	v_lshrrev_b32_e32 v1, 3, v2
	s_mov_b32 s20, exec_lo
	s_delay_alu instid0(VALU_DEP_3)
	v_mov_b32_e32 v30, v18
	v_cmpx_gt_u32_e32 8, v2
; %bb.1536:                             ;   in Loop: Header=BB466_8 Depth=1
	v_clz_i32_u32_e32 v1, v18
	s_delay_alu instid0(VALU_DEP_1) | instskip(NEXT) | instid1(VALU_DEP_1)
	v_min_u32_e32 v1, 32, v1
	v_subrev_nc_u32_e32 v2, 28, v1
	v_sub_nc_u32_e32 v1, 29, v1
	s_delay_alu instid0(VALU_DEP_2) | instskip(NEXT) | instid1(VALU_DEP_1)
	v_lshlrev_b64 v[2:3], v2, v[18:19]
	v_and_b32_e32 v30, 7, v2
; %bb.1537:                             ;   in Loop: Header=BB466_8 Depth=1
	s_or_b32 exec_lo, exec_lo, s20
	v_lshlrev_b32_e32 v0, 24, v0
	s_delay_alu instid0(VALU_DEP_2) | instskip(SKIP_1) | instid1(VALU_DEP_3)
	v_lshlrev_b32_e32 v2, 20, v30
	v_lshl_add_u32 v1, v1, 23, 0x3c000000
	v_and_b32_e32 v0, 0x80000000, v0
	s_delay_alu instid0(VALU_DEP_1)
	v_or3_b32 v1, v2, v0, v1
.LBB466_1538:                           ;   in Loop: Header=BB466_8 Depth=1
	s_or_b32 exec_lo, exec_lo, s19
.LBB466_1539:                           ;   in Loop: Header=BB466_8 Depth=1
	s_delay_alu instid0(SALU_CYCLE_1)
	s_or_b32 exec_lo, exec_lo, s18
.LBB466_1540:                           ;   in Loop: Header=BB466_8 Depth=1
	s_delay_alu instid0(SALU_CYCLE_1) | instskip(NEXT) | instid1(VALU_DEP_1)
	s_or_b32 exec_lo, exec_lo, s2
	v_mul_f32_e32 v0, v102, v1
                                        ; implicit-def: $vgpr4
	s_delay_alu instid0(VALU_DEP_1) | instskip(NEXT) | instid1(VALU_DEP_1)
	v_and_b32_e32 v1, 0x7f800000, v0
	v_cmp_ne_u32_e64 s1, 0x7f800000, v1
	s_delay_alu instid0(VALU_DEP_1) | instskip(NEXT) | instid1(SALU_CYCLE_1)
	s_and_saveexec_b32 s2, s1
	s_xor_b32 s1, exec_lo, s2
; %bb.1541:                             ;   in Loop: Header=BB466_8 Depth=1
	v_bfe_u32 v1, v0, 16, 1
	s_delay_alu instid0(VALU_DEP_1)
	v_add3_u32 v4, v0, v1, 0x7fff
                                        ; implicit-def: $vgpr0
; %bb.1542:                             ;   in Loop: Header=BB466_8 Depth=1
	s_and_not1_saveexec_b32 s2, s1
; %bb.1543:                             ;   in Loop: Header=BB466_8 Depth=1
	v_and_b32_e32 v1, 0xffff, v0
	v_or_b32_e32 v2, 0x10000, v0
	s_delay_alu instid0(VALU_DEP_2) | instskip(NEXT) | instid1(VALU_DEP_1)
	v_cmp_eq_u32_e64 s1, 0, v1
	v_cndmask_b32_e64 v4, v2, v0, s1
; %bb.1544:                             ;   in Loop: Header=BB466_8 Depth=1
	s_or_b32 exec_lo, exec_lo, s2
	v_add_co_u32 v28, s1, 0x1000, v28
	s_delay_alu instid0(VALU_DEP_1)
	v_add_co_ci_u32_e64 v29, s1, 0, v29, s1
	s_mov_b32 s2, exec_lo
	v_mov_b32_e32 v0, 0
	flat_load_b64 v[30:31], v[28:29]
	s_waitcnt vmcnt(0) lgkmcnt(0)
	v_and_b32_e32 v1, 0xff, v30
	s_delay_alu instid0(VALU_DEP_1)
	v_cmpx_ne_u16_e32 0, v1
	s_cbranch_execz .LBB466_1552
; %bb.1545:                             ;   in Loop: Header=BB466_8 Depth=1
	v_bfrev_b32_e32 v0, 1
	s_mov_b32 s18, exec_lo
	v_cmpx_ne_u16_e32 0x80, v1
	s_cbranch_execz .LBB466_1551
; %bb.1546:                             ;   in Loop: Header=BB466_8 Depth=1
	v_and_b32_e32 v1, 0x7f, v30
	v_mov_b32_e32 v0, 0x7f800001
	s_mov_b32 s19, exec_lo
	s_delay_alu instid0(VALU_DEP_2)
	v_cmpx_ne_u32_e32 0x7f, v1
	s_cbranch_execz .LBB466_1550
; %bb.1547:                             ;   in Loop: Header=BB466_8 Depth=1
	v_lshrrev_b32_e32 v0, 3, v1
	v_dual_mov_b32 v33, v31 :: v_dual_mov_b32 v32, v30
	s_mov_b32 s20, exec_lo
	v_cmpx_gt_u32_e32 8, v1
; %bb.1548:                             ;   in Loop: Header=BB466_8 Depth=1
	v_and_b32_e32 v0, 7, v30
	s_delay_alu instid0(VALU_DEP_1) | instskip(NEXT) | instid1(VALU_DEP_1)
	v_clz_i32_u32_e32 v0, v0
	v_min_u32_e32 v0, 32, v0
	s_delay_alu instid0(VALU_DEP_1) | instskip(SKIP_1) | instid1(VALU_DEP_2)
	v_subrev_nc_u32_e32 v1, 28, v0
	v_sub_nc_u32_e32 v0, 29, v0
	v_lshlrev_b64 v[32:33], v1, v[30:31]
; %bb.1549:                             ;   in Loop: Header=BB466_8 Depth=1
	s_or_b32 exec_lo, exec_lo, s20
	s_delay_alu instid0(VALU_DEP_1) | instskip(SKIP_2) | instid1(VALU_DEP_3)
	v_lshlrev_b32_e32 v1, 20, v32
	v_lshlrev_b32_e32 v2, 24, v30
	v_lshl_add_u32 v0, v0, 23, 0x3c000000
	v_and_b32_e32 v1, 0x700000, v1
	s_delay_alu instid0(VALU_DEP_3) | instskip(NEXT) | instid1(VALU_DEP_1)
	v_and_b32_e32 v2, 0x80000000, v2
	v_or3_b32 v0, v1, v2, v0
.LBB466_1550:                           ;   in Loop: Header=BB466_8 Depth=1
	s_or_b32 exec_lo, exec_lo, s19
.LBB466_1551:                           ;   in Loop: Header=BB466_8 Depth=1
	s_delay_alu instid0(SALU_CYCLE_1)
	s_or_b32 exec_lo, exec_lo, s18
.LBB466_1552:                           ;   in Loop: Header=BB466_8 Depth=1
	s_delay_alu instid0(SALU_CYCLE_1) | instskip(NEXT) | instid1(VALU_DEP_1)
	s_or_b32 exec_lo, exec_lo, s2
	v_mul_f32_e32 v0, v102, v0
                                        ; implicit-def: $vgpr35
	s_delay_alu instid0(VALU_DEP_1) | instskip(NEXT) | instid1(VALU_DEP_1)
	v_and_b32_e32 v1, 0x7f800000, v0
	v_cmp_ne_u32_e64 s1, 0x7f800000, v1
	s_delay_alu instid0(VALU_DEP_1) | instskip(NEXT) | instid1(SALU_CYCLE_1)
	s_and_saveexec_b32 s2, s1
	s_xor_b32 s1, exec_lo, s2
; %bb.1553:                             ;   in Loop: Header=BB466_8 Depth=1
	v_bfe_u32 v1, v0, 16, 1
	s_delay_alu instid0(VALU_DEP_1)
	v_add3_u32 v35, v0, v1, 0x7fff
                                        ; implicit-def: $vgpr0
; %bb.1554:                             ;   in Loop: Header=BB466_8 Depth=1
	s_and_not1_saveexec_b32 s2, s1
; %bb.1555:                             ;   in Loop: Header=BB466_8 Depth=1
	v_and_b32_e32 v1, 0xffff, v0
	v_or_b32_e32 v2, 0x10000, v0
	s_delay_alu instid0(VALU_DEP_2) | instskip(NEXT) | instid1(VALU_DEP_1)
	v_cmp_eq_u32_e64 s1, 0, v1
	v_cndmask_b32_e64 v35, v2, v0, s1
; %bb.1556:                             ;   in Loop: Header=BB466_8 Depth=1
	s_or_b32 exec_lo, exec_lo, s2
	v_lshrrev_b16 v1, 8, v30
	v_mov_b32_e32 v0, 0
	s_mov_b32 s2, exec_lo
	s_delay_alu instid0(VALU_DEP_2)
	v_cmpx_ne_u16_e32 0, v1
	s_cbranch_execz .LBB466_1564
; %bb.1557:                             ;   in Loop: Header=BB466_8 Depth=1
	v_bfrev_b32_e32 v0, 1
	s_mov_b32 s18, exec_lo
	v_cmpx_ne_u16_e32 0x80, v1
	s_cbranch_execz .LBB466_1563
; %bb.1558:                             ;   in Loop: Header=BB466_8 Depth=1
	v_and_b32_e32 v2, 0xffff, v1
	v_mov_b32_e32 v0, 0x7f800001
	s_mov_b32 s19, exec_lo
	s_delay_alu instid0(VALU_DEP_2) | instskip(NEXT) | instid1(VALU_DEP_1)
	v_and_b32_e32 v1, 0x7f, v2
	v_cmpx_ne_u32_e32 0x7f, v1
	s_cbranch_execz .LBB466_1562
; %bb.1559:                             ;   in Loop: Header=BB466_8 Depth=1
	v_and_b32_e32 v18, 7, v2
	v_mov_b32_e32 v33, v19
	v_lshrrev_b32_e32 v0, 3, v1
	s_mov_b32 s20, exec_lo
	s_delay_alu instid0(VALU_DEP_3)
	v_mov_b32_e32 v32, v18
	v_cmpx_gt_u32_e32 8, v1
; %bb.1560:                             ;   in Loop: Header=BB466_8 Depth=1
	v_clz_i32_u32_e32 v0, v18
	s_delay_alu instid0(VALU_DEP_1) | instskip(NEXT) | instid1(VALU_DEP_1)
	v_min_u32_e32 v0, 32, v0
	v_subrev_nc_u32_e32 v1, 28, v0
	v_sub_nc_u32_e32 v0, 29, v0
	s_delay_alu instid0(VALU_DEP_2) | instskip(NEXT) | instid1(VALU_DEP_1)
	v_lshlrev_b64 v[1:2], v1, v[18:19]
	v_and_b32_e32 v32, 7, v1
; %bb.1561:                             ;   in Loop: Header=BB466_8 Depth=1
	s_or_b32 exec_lo, exec_lo, s20
	v_lshlrev_b32_e32 v1, 16, v30
	s_delay_alu instid0(VALU_DEP_2) | instskip(SKIP_1) | instid1(VALU_DEP_3)
	v_lshlrev_b32_e32 v2, 20, v32
	v_lshl_add_u32 v0, v0, 23, 0x3c000000
	v_and_b32_e32 v1, 0x80000000, v1
	s_delay_alu instid0(VALU_DEP_1)
	v_or3_b32 v0, v2, v1, v0
.LBB466_1562:                           ;   in Loop: Header=BB466_8 Depth=1
	s_or_b32 exec_lo, exec_lo, s19
.LBB466_1563:                           ;   in Loop: Header=BB466_8 Depth=1
	s_delay_alu instid0(SALU_CYCLE_1)
	s_or_b32 exec_lo, exec_lo, s18
.LBB466_1564:                           ;   in Loop: Header=BB466_8 Depth=1
	s_delay_alu instid0(SALU_CYCLE_1) | instskip(NEXT) | instid1(VALU_DEP_1)
	s_or_b32 exec_lo, exec_lo, s2
	v_mul_f32_e32 v0, v102, v0
                                        ; implicit-def: $vgpr23
	s_delay_alu instid0(VALU_DEP_1) | instskip(NEXT) | instid1(VALU_DEP_1)
	v_and_b32_e32 v1, 0x7f800000, v0
	v_cmp_ne_u32_e64 s1, 0x7f800000, v1
	s_delay_alu instid0(VALU_DEP_1) | instskip(NEXT) | instid1(SALU_CYCLE_1)
	s_and_saveexec_b32 s2, s1
	s_xor_b32 s1, exec_lo, s2
; %bb.1565:                             ;   in Loop: Header=BB466_8 Depth=1
	v_bfe_u32 v1, v0, 16, 1
	s_delay_alu instid0(VALU_DEP_1)
	v_add3_u32 v23, v0, v1, 0x7fff
                                        ; implicit-def: $vgpr0
; %bb.1566:                             ;   in Loop: Header=BB466_8 Depth=1
	s_and_not1_saveexec_b32 s2, s1
; %bb.1567:                             ;   in Loop: Header=BB466_8 Depth=1
	v_and_b32_e32 v1, 0xffff, v0
	v_or_b32_e32 v2, 0x10000, v0
	s_delay_alu instid0(VALU_DEP_2) | instskip(NEXT) | instid1(VALU_DEP_1)
	v_cmp_eq_u32_e64 s1, 0, v1
	v_cndmask_b32_e64 v23, v2, v0, s1
; %bb.1568:                             ;   in Loop: Header=BB466_8 Depth=1
	s_or_b32 exec_lo, exec_lo, s2
	v_lshrrev_b32_e32 v0, 16, v30
	s_mov_b32 s2, exec_lo
	s_delay_alu instid0(VALU_DEP_1) | instskip(NEXT) | instid1(VALU_DEP_1)
	v_dual_mov_b32 v1, 0 :: v_dual_and_b32 v2, 0xff, v0
	v_cmpx_ne_u16_e32 0, v2
	s_cbranch_execz .LBB466_1576
; %bb.1569:                             ;   in Loop: Header=BB466_8 Depth=1
	v_bfrev_b32_e32 v1, 1
	s_mov_b32 s18, exec_lo
	v_cmpx_ne_u16_e32 0x80, v2
	s_cbranch_execz .LBB466_1575
; %bb.1570:                             ;   in Loop: Header=BB466_8 Depth=1
	v_bfe_u32 v2, v30, 16, 7
	v_mov_b32_e32 v1, 0x7f800001
	s_mov_b32 s19, exec_lo
	s_delay_alu instid0(VALU_DEP_2)
	v_cmpx_ne_u32_e32 0x7f, v2
	s_cbranch_execz .LBB466_1574
; %bb.1571:                             ;   in Loop: Header=BB466_8 Depth=1
	v_and_b32_e32 v18, 7, v0
	v_mov_b32_e32 v33, v19
	v_lshrrev_b32_e32 v1, 3, v2
	s_mov_b32 s20, exec_lo
	s_delay_alu instid0(VALU_DEP_3)
	v_mov_b32_e32 v32, v18
	v_cmpx_gt_u32_e32 8, v2
; %bb.1572:                             ;   in Loop: Header=BB466_8 Depth=1
	v_clz_i32_u32_e32 v1, v18
	s_delay_alu instid0(VALU_DEP_1) | instskip(NEXT) | instid1(VALU_DEP_1)
	v_min_u32_e32 v1, 32, v1
	v_subrev_nc_u32_e32 v2, 28, v1
	v_sub_nc_u32_e32 v1, 29, v1
	s_delay_alu instid0(VALU_DEP_2) | instskip(NEXT) | instid1(VALU_DEP_1)
	v_lshlrev_b64 v[2:3], v2, v[18:19]
	v_and_b32_e32 v32, 7, v2
; %bb.1573:                             ;   in Loop: Header=BB466_8 Depth=1
	s_or_b32 exec_lo, exec_lo, s20
	v_lshlrev_b32_e32 v0, 24, v0
	s_delay_alu instid0(VALU_DEP_2) | instskip(SKIP_1) | instid1(VALU_DEP_3)
	v_lshlrev_b32_e32 v2, 20, v32
	v_lshl_add_u32 v1, v1, 23, 0x3c000000
	v_and_b32_e32 v0, 0x80000000, v0
	s_delay_alu instid0(VALU_DEP_1)
	v_or3_b32 v1, v2, v0, v1
.LBB466_1574:                           ;   in Loop: Header=BB466_8 Depth=1
	s_or_b32 exec_lo, exec_lo, s19
.LBB466_1575:                           ;   in Loop: Header=BB466_8 Depth=1
	s_delay_alu instid0(SALU_CYCLE_1)
	s_or_b32 exec_lo, exec_lo, s18
.LBB466_1576:                           ;   in Loop: Header=BB466_8 Depth=1
	s_delay_alu instid0(SALU_CYCLE_1) | instskip(NEXT) | instid1(VALU_DEP_1)
	s_or_b32 exec_lo, exec_lo, s2
	v_mul_f32_e32 v0, v102, v1
                                        ; implicit-def: $vgpr70
	s_delay_alu instid0(VALU_DEP_1) | instskip(NEXT) | instid1(VALU_DEP_1)
	v_and_b32_e32 v1, 0x7f800000, v0
	v_cmp_ne_u32_e64 s1, 0x7f800000, v1
	s_delay_alu instid0(VALU_DEP_1) | instskip(NEXT) | instid1(SALU_CYCLE_1)
	s_and_saveexec_b32 s2, s1
	s_xor_b32 s1, exec_lo, s2
; %bb.1577:                             ;   in Loop: Header=BB466_8 Depth=1
	v_bfe_u32 v1, v0, 16, 1
	s_delay_alu instid0(VALU_DEP_1)
	v_add3_u32 v70, v0, v1, 0x7fff
                                        ; implicit-def: $vgpr0
; %bb.1578:                             ;   in Loop: Header=BB466_8 Depth=1
	s_and_not1_saveexec_b32 s2, s1
; %bb.1579:                             ;   in Loop: Header=BB466_8 Depth=1
	v_and_b32_e32 v1, 0xffff, v0
	v_or_b32_e32 v2, 0x10000, v0
	s_delay_alu instid0(VALU_DEP_2) | instskip(NEXT) | instid1(VALU_DEP_1)
	v_cmp_eq_u32_e64 s1, 0, v1
	v_cndmask_b32_e64 v70, v2, v0, s1
; %bb.1580:                             ;   in Loop: Header=BB466_8 Depth=1
	s_or_b32 exec_lo, exec_lo, s2
	v_mov_b32_e32 v1, 0
	s_mov_b32 s2, exec_lo
	v_cmpx_lt_u32_e32 0xffffff, v30
	s_cbranch_execz .LBB466_1588
; %bb.1581:                             ;   in Loop: Header=BB466_8 Depth=1
	v_lshrrev_b32_e32 v0, 24, v30
	v_bfrev_b32_e32 v1, 1
	s_mov_b32 s18, exec_lo
	s_delay_alu instid0(VALU_DEP_2)
	v_cmpx_ne_u32_e32 0x80, v0
	s_cbranch_execz .LBB466_1587
; %bb.1582:                             ;   in Loop: Header=BB466_8 Depth=1
	v_bfe_u32 v2, v30, 24, 7
	v_mov_b32_e32 v1, 0x7f800001
	s_mov_b32 s19, exec_lo
	s_delay_alu instid0(VALU_DEP_2)
	v_cmpx_ne_u32_e32 0x7f, v2
	s_cbranch_execz .LBB466_1586
; %bb.1583:                             ;   in Loop: Header=BB466_8 Depth=1
	v_and_b32_e32 v18, 7, v0
	v_mov_b32_e32 v33, v19
	v_lshrrev_b32_e32 v1, 3, v2
	s_mov_b32 s20, exec_lo
	s_delay_alu instid0(VALU_DEP_3)
	v_mov_b32_e32 v32, v18
	v_cmpx_gt_u32_e32 8, v2
; %bb.1584:                             ;   in Loop: Header=BB466_8 Depth=1
	v_clz_i32_u32_e32 v1, v18
	s_delay_alu instid0(VALU_DEP_1) | instskip(NEXT) | instid1(VALU_DEP_1)
	v_min_u32_e32 v1, 32, v1
	v_subrev_nc_u32_e32 v2, 28, v1
	v_sub_nc_u32_e32 v1, 29, v1
	s_delay_alu instid0(VALU_DEP_2) | instskip(NEXT) | instid1(VALU_DEP_1)
	v_lshlrev_b64 v[2:3], v2, v[18:19]
	v_and_b32_e32 v32, 7, v2
; %bb.1585:                             ;   in Loop: Header=BB466_8 Depth=1
	s_or_b32 exec_lo, exec_lo, s20
	v_lshlrev_b32_e32 v0, 24, v0
	s_delay_alu instid0(VALU_DEP_2) | instskip(SKIP_1) | instid1(VALU_DEP_3)
	v_lshlrev_b32_e32 v2, 20, v32
	v_lshl_add_u32 v1, v1, 23, 0x3c000000
	v_and_b32_e32 v0, 0x80000000, v0
	s_delay_alu instid0(VALU_DEP_1)
	v_or3_b32 v1, v2, v0, v1
.LBB466_1586:                           ;   in Loop: Header=BB466_8 Depth=1
	s_or_b32 exec_lo, exec_lo, s19
.LBB466_1587:                           ;   in Loop: Header=BB466_8 Depth=1
	s_delay_alu instid0(SALU_CYCLE_1)
	s_or_b32 exec_lo, exec_lo, s18
.LBB466_1588:                           ;   in Loop: Header=BB466_8 Depth=1
	s_delay_alu instid0(SALU_CYCLE_1) | instskip(NEXT) | instid1(VALU_DEP_1)
	s_or_b32 exec_lo, exec_lo, s2
	v_mul_f32_e32 v0, v102, v1
                                        ; implicit-def: $vgpr12
	s_delay_alu instid0(VALU_DEP_1) | instskip(NEXT) | instid1(VALU_DEP_1)
	v_and_b32_e32 v1, 0x7f800000, v0
	v_cmp_ne_u32_e64 s1, 0x7f800000, v1
	s_delay_alu instid0(VALU_DEP_1) | instskip(NEXT) | instid1(SALU_CYCLE_1)
	s_and_saveexec_b32 s2, s1
	s_xor_b32 s1, exec_lo, s2
; %bb.1589:                             ;   in Loop: Header=BB466_8 Depth=1
	v_bfe_u32 v1, v0, 16, 1
	s_delay_alu instid0(VALU_DEP_1)
	v_add3_u32 v12, v0, v1, 0x7fff
                                        ; implicit-def: $vgpr0
; %bb.1590:                             ;   in Loop: Header=BB466_8 Depth=1
	s_and_not1_saveexec_b32 s2, s1
; %bb.1591:                             ;   in Loop: Header=BB466_8 Depth=1
	v_and_b32_e32 v1, 0xffff, v0
	v_or_b32_e32 v2, 0x10000, v0
	s_delay_alu instid0(VALU_DEP_2) | instskip(NEXT) | instid1(VALU_DEP_1)
	v_cmp_eq_u32_e64 s1, 0, v1
	v_cndmask_b32_e64 v12, v2, v0, s1
; %bb.1592:                             ;   in Loop: Header=BB466_8 Depth=1
	s_or_b32 exec_lo, exec_lo, s2
	v_dual_mov_b32 v18, v31 :: v_dual_and_b32 v1, 0xff, v31
	v_mov_b32_e32 v0, 0
	s_mov_b32 s2, exec_lo
	s_delay_alu instid0(VALU_DEP_2)
	v_cmpx_ne_u16_e32 0, v1
	s_cbranch_execz .LBB466_1600
; %bb.1593:                             ;   in Loop: Header=BB466_8 Depth=1
	v_bfrev_b32_e32 v0, 1
	s_mov_b32 s18, exec_lo
	v_cmpx_ne_u16_e32 0x80, v1
	s_cbranch_execz .LBB466_1599
; %bb.1594:                             ;   in Loop: Header=BB466_8 Depth=1
	v_and_b32_e32 v1, 0x7f, v31
	v_mov_b32_e32 v0, 0x7f800001
	s_mov_b32 s19, exec_lo
	s_delay_alu instid0(VALU_DEP_2)
	v_cmpx_ne_u32_e32 0x7f, v1
	s_cbranch_execz .LBB466_1598
; %bb.1595:                             ;   in Loop: Header=BB466_8 Depth=1
	v_dual_mov_b32 v33, v19 :: v_dual_mov_b32 v32, v18
	v_lshrrev_b32_e32 v0, 3, v1
	s_mov_b32 s20, exec_lo
	v_cmpx_gt_u32_e32 8, v1
; %bb.1596:                             ;   in Loop: Header=BB466_8 Depth=1
	v_and_b32_e32 v0, 7, v31
	s_delay_alu instid0(VALU_DEP_1) | instskip(NEXT) | instid1(VALU_DEP_1)
	v_clz_i32_u32_e32 v0, v0
	v_min_u32_e32 v0, 32, v0
	s_delay_alu instid0(VALU_DEP_1) | instskip(SKIP_1) | instid1(VALU_DEP_2)
	v_subrev_nc_u32_e32 v1, 28, v0
	v_sub_nc_u32_e32 v0, 29, v0
	v_lshlrev_b64 v[32:33], v1, v[18:19]
; %bb.1597:                             ;   in Loop: Header=BB466_8 Depth=1
	s_or_b32 exec_lo, exec_lo, s20
	s_delay_alu instid0(VALU_DEP_1) | instskip(SKIP_2) | instid1(VALU_DEP_3)
	v_lshlrev_b32_e32 v1, 20, v32
	v_lshlrev_b32_e32 v2, 24, v18
	v_lshl_add_u32 v0, v0, 23, 0x3c000000
	v_and_b32_e32 v1, 0x700000, v1
	s_delay_alu instid0(VALU_DEP_3) | instskip(NEXT) | instid1(VALU_DEP_1)
	v_and_b32_e32 v2, 0x80000000, v2
	v_or3_b32 v0, v1, v2, v0
.LBB466_1598:                           ;   in Loop: Header=BB466_8 Depth=1
	s_or_b32 exec_lo, exec_lo, s19
.LBB466_1599:                           ;   in Loop: Header=BB466_8 Depth=1
	s_delay_alu instid0(SALU_CYCLE_1)
	s_or_b32 exec_lo, exec_lo, s18
.LBB466_1600:                           ;   in Loop: Header=BB466_8 Depth=1
	s_delay_alu instid0(SALU_CYCLE_1) | instskip(NEXT) | instid1(VALU_DEP_1)
	s_or_b32 exec_lo, exec_lo, s2
	v_mul_f32_e32 v0, v102, v0
                                        ; implicit-def: $vgpr34
	s_delay_alu instid0(VALU_DEP_1) | instskip(NEXT) | instid1(VALU_DEP_1)
	v_and_b32_e32 v1, 0x7f800000, v0
	v_cmp_ne_u32_e64 s1, 0x7f800000, v1
	s_delay_alu instid0(VALU_DEP_1) | instskip(NEXT) | instid1(SALU_CYCLE_1)
	s_and_saveexec_b32 s2, s1
	s_xor_b32 s1, exec_lo, s2
; %bb.1601:                             ;   in Loop: Header=BB466_8 Depth=1
	v_bfe_u32 v1, v0, 16, 1
	s_delay_alu instid0(VALU_DEP_1)
	v_add3_u32 v34, v0, v1, 0x7fff
                                        ; implicit-def: $vgpr0
; %bb.1602:                             ;   in Loop: Header=BB466_8 Depth=1
	s_and_not1_saveexec_b32 s2, s1
; %bb.1603:                             ;   in Loop: Header=BB466_8 Depth=1
	v_and_b32_e32 v1, 0xffff, v0
	v_or_b32_e32 v2, 0x10000, v0
	s_delay_alu instid0(VALU_DEP_2) | instskip(NEXT) | instid1(VALU_DEP_1)
	v_cmp_eq_u32_e64 s1, 0, v1
	v_cndmask_b32_e64 v34, v2, v0, s1
; %bb.1604:                             ;   in Loop: Header=BB466_8 Depth=1
	s_or_b32 exec_lo, exec_lo, s2
	v_lshrrev_b16 v1, 8, v18
	v_mov_b32_e32 v0, 0
	s_mov_b32 s2, exec_lo
	s_delay_alu instid0(VALU_DEP_2)
	v_cmpx_ne_u16_e32 0, v1
	s_cbranch_execz .LBB466_1612
; %bb.1605:                             ;   in Loop: Header=BB466_8 Depth=1
	v_bfrev_b32_e32 v0, 1
	s_mov_b32 s18, exec_lo
	v_cmpx_ne_u16_e32 0x80, v1
	s_cbranch_execz .LBB466_1611
; %bb.1606:                             ;   in Loop: Header=BB466_8 Depth=1
	v_and_b32_e32 v2, 0xffff, v1
	v_mov_b32_e32 v0, 0x7f800001
	s_mov_b32 s19, exec_lo
	s_delay_alu instid0(VALU_DEP_2) | instskip(NEXT) | instid1(VALU_DEP_1)
	v_and_b32_e32 v1, 0x7f, v2
	v_cmpx_ne_u32_e32 0x7f, v1
	s_cbranch_execz .LBB466_1610
; %bb.1607:                             ;   in Loop: Header=BB466_8 Depth=1
	v_dual_mov_b32 v33, v19 :: v_dual_and_b32 v32, 7, v2
	v_lshrrev_b32_e32 v0, 3, v1
	s_mov_b32 s20, exec_lo
	v_cmpx_gt_u32_e32 8, v1
; %bb.1608:                             ;   in Loop: Header=BB466_8 Depth=1
	s_delay_alu instid0(VALU_DEP_3) | instskip(NEXT) | instid1(VALU_DEP_1)
	v_clz_i32_u32_e32 v0, v32
	v_min_u32_e32 v0, 32, v0
	s_delay_alu instid0(VALU_DEP_1) | instskip(SKIP_1) | instid1(VALU_DEP_2)
	v_subrev_nc_u32_e32 v1, 28, v0
	v_sub_nc_u32_e32 v0, 29, v0
	v_lshlrev_b64 v[1:2], v1, v[32:33]
	s_delay_alu instid0(VALU_DEP_1)
	v_and_b32_e32 v32, 7, v1
; %bb.1609:                             ;   in Loop: Header=BB466_8 Depth=1
	s_or_b32 exec_lo, exec_lo, s20
	v_lshlrev_b32_e32 v1, 16, v18
	s_delay_alu instid0(VALU_DEP_2) | instskip(SKIP_1) | instid1(VALU_DEP_3)
	v_lshlrev_b32_e32 v2, 20, v32
	v_lshl_add_u32 v0, v0, 23, 0x3c000000
	v_and_b32_e32 v1, 0x80000000, v1
	s_delay_alu instid0(VALU_DEP_1)
	v_or3_b32 v0, v2, v1, v0
.LBB466_1610:                           ;   in Loop: Header=BB466_8 Depth=1
	s_or_b32 exec_lo, exec_lo, s19
.LBB466_1611:                           ;   in Loop: Header=BB466_8 Depth=1
	s_delay_alu instid0(SALU_CYCLE_1)
	s_or_b32 exec_lo, exec_lo, s18
.LBB466_1612:                           ;   in Loop: Header=BB466_8 Depth=1
	s_delay_alu instid0(SALU_CYCLE_1) | instskip(NEXT) | instid1(VALU_DEP_1)
	s_or_b32 exec_lo, exec_lo, s2
	v_mul_f32_e32 v0, v102, v0
                                        ; implicit-def: $vgpr6
	s_delay_alu instid0(VALU_DEP_1) | instskip(NEXT) | instid1(VALU_DEP_1)
	v_and_b32_e32 v1, 0x7f800000, v0
	v_cmp_ne_u32_e64 s1, 0x7f800000, v1
	s_delay_alu instid0(VALU_DEP_1) | instskip(NEXT) | instid1(SALU_CYCLE_1)
	s_and_saveexec_b32 s2, s1
	s_xor_b32 s1, exec_lo, s2
; %bb.1613:                             ;   in Loop: Header=BB466_8 Depth=1
	v_bfe_u32 v1, v0, 16, 1
	s_delay_alu instid0(VALU_DEP_1)
	v_add3_u32 v6, v0, v1, 0x7fff
                                        ; implicit-def: $vgpr0
; %bb.1614:                             ;   in Loop: Header=BB466_8 Depth=1
	s_and_not1_saveexec_b32 s2, s1
; %bb.1615:                             ;   in Loop: Header=BB466_8 Depth=1
	v_and_b32_e32 v1, 0xffff, v0
	v_or_b32_e32 v2, 0x10000, v0
	s_delay_alu instid0(VALU_DEP_2) | instskip(NEXT) | instid1(VALU_DEP_1)
	v_cmp_eq_u32_e64 s1, 0, v1
	v_cndmask_b32_e64 v6, v2, v0, s1
; %bb.1616:                             ;   in Loop: Header=BB466_8 Depth=1
	s_or_b32 exec_lo, exec_lo, s2
	v_lshrrev_b32_e32 v0, 16, v31
	s_mov_b32 s2, exec_lo
	s_delay_alu instid0(VALU_DEP_1) | instskip(NEXT) | instid1(VALU_DEP_1)
	v_dual_mov_b32 v1, 0 :: v_dual_and_b32 v2, 0xff, v0
	v_cmpx_ne_u16_e32 0, v2
	s_cbranch_execz .LBB466_1624
; %bb.1617:                             ;   in Loop: Header=BB466_8 Depth=1
	v_bfrev_b32_e32 v1, 1
	s_mov_b32 s18, exec_lo
	v_cmpx_ne_u16_e32 0x80, v2
	s_cbranch_execz .LBB466_1623
; %bb.1618:                             ;   in Loop: Header=BB466_8 Depth=1
	v_bfe_u32 v2, v31, 16, 7
	v_mov_b32_e32 v1, 0x7f800001
	s_mov_b32 s19, exec_lo
	s_delay_alu instid0(VALU_DEP_2)
	v_cmpx_ne_u32_e32 0x7f, v2
	s_cbranch_execz .LBB466_1622
; %bb.1619:                             ;   in Loop: Header=BB466_8 Depth=1
	v_and_b32_e32 v18, 7, v0
	v_mov_b32_e32 v33, v19
	v_lshrrev_b32_e32 v1, 3, v2
	s_mov_b32 s20, exec_lo
	s_delay_alu instid0(VALU_DEP_3)
	v_mov_b32_e32 v32, v18
	v_cmpx_gt_u32_e32 8, v2
; %bb.1620:                             ;   in Loop: Header=BB466_8 Depth=1
	v_clz_i32_u32_e32 v1, v18
	s_delay_alu instid0(VALU_DEP_1) | instskip(NEXT) | instid1(VALU_DEP_1)
	v_min_u32_e32 v1, 32, v1
	v_subrev_nc_u32_e32 v2, 28, v1
	v_sub_nc_u32_e32 v1, 29, v1
	s_delay_alu instid0(VALU_DEP_2) | instskip(NEXT) | instid1(VALU_DEP_1)
	v_lshlrev_b64 v[2:3], v2, v[18:19]
	v_and_b32_e32 v32, 7, v2
; %bb.1621:                             ;   in Loop: Header=BB466_8 Depth=1
	s_or_b32 exec_lo, exec_lo, s20
	v_lshlrev_b32_e32 v0, 24, v0
	s_delay_alu instid0(VALU_DEP_2) | instskip(SKIP_1) | instid1(VALU_DEP_3)
	v_lshlrev_b32_e32 v2, 20, v32
	v_lshl_add_u32 v1, v1, 23, 0x3c000000
	v_and_b32_e32 v0, 0x80000000, v0
	s_delay_alu instid0(VALU_DEP_1)
	v_or3_b32 v1, v2, v0, v1
.LBB466_1622:                           ;   in Loop: Header=BB466_8 Depth=1
	s_or_b32 exec_lo, exec_lo, s19
.LBB466_1623:                           ;   in Loop: Header=BB466_8 Depth=1
	s_delay_alu instid0(SALU_CYCLE_1)
	s_or_b32 exec_lo, exec_lo, s18
.LBB466_1624:                           ;   in Loop: Header=BB466_8 Depth=1
	s_delay_alu instid0(SALU_CYCLE_1) | instskip(NEXT) | instid1(VALU_DEP_1)
	s_or_b32 exec_lo, exec_lo, s2
	v_mul_f32_e32 v0, v102, v1
                                        ; implicit-def: $vgpr7
	s_delay_alu instid0(VALU_DEP_1) | instskip(NEXT) | instid1(VALU_DEP_1)
	v_and_b32_e32 v1, 0x7f800000, v0
	v_cmp_ne_u32_e64 s1, 0x7f800000, v1
	s_delay_alu instid0(VALU_DEP_1) | instskip(NEXT) | instid1(SALU_CYCLE_1)
	s_and_saveexec_b32 s2, s1
	s_xor_b32 s1, exec_lo, s2
; %bb.1625:                             ;   in Loop: Header=BB466_8 Depth=1
	v_bfe_u32 v1, v0, 16, 1
	s_delay_alu instid0(VALU_DEP_1)
	v_add3_u32 v7, v0, v1, 0x7fff
                                        ; implicit-def: $vgpr0
; %bb.1626:                             ;   in Loop: Header=BB466_8 Depth=1
	s_and_not1_saveexec_b32 s2, s1
; %bb.1627:                             ;   in Loop: Header=BB466_8 Depth=1
	v_and_b32_e32 v1, 0xffff, v0
	v_or_b32_e32 v2, 0x10000, v0
	s_delay_alu instid0(VALU_DEP_2) | instskip(NEXT) | instid1(VALU_DEP_1)
	v_cmp_eq_u32_e64 s1, 0, v1
	v_cndmask_b32_e64 v7, v2, v0, s1
; %bb.1628:                             ;   in Loop: Header=BB466_8 Depth=1
	s_or_b32 exec_lo, exec_lo, s2
	v_mov_b32_e32 v1, 0
	s_mov_b32 s2, exec_lo
	v_cmpx_lt_u64_e64 s[8:9], v[30:31]
	s_cbranch_execz .LBB466_1636
; %bb.1629:                             ;   in Loop: Header=BB466_8 Depth=1
	v_lshrrev_b32_e32 v0, 24, v31
	v_bfrev_b32_e32 v1, 1
	s_mov_b32 s18, exec_lo
	s_delay_alu instid0(VALU_DEP_2)
	v_cmpx_ne_u32_e32 0x80, v0
	s_cbranch_execz .LBB466_1635
; %bb.1630:                             ;   in Loop: Header=BB466_8 Depth=1
	v_bfe_u32 v2, v31, 24, 7
	v_mov_b32_e32 v1, 0x7f800001
	s_mov_b32 s19, exec_lo
	s_delay_alu instid0(VALU_DEP_2)
	v_cmpx_ne_u32_e32 0x7f, v2
	s_cbranch_execz .LBB466_1634
; %bb.1631:                             ;   in Loop: Header=BB466_8 Depth=1
	v_and_b32_e32 v18, 7, v0
	v_mov_b32_e32 v31, v19
	v_lshrrev_b32_e32 v1, 3, v2
	s_mov_b32 s20, exec_lo
	s_delay_alu instid0(VALU_DEP_3)
	v_mov_b32_e32 v30, v18
	v_cmpx_gt_u32_e32 8, v2
; %bb.1632:                             ;   in Loop: Header=BB466_8 Depth=1
	v_clz_i32_u32_e32 v1, v18
	s_delay_alu instid0(VALU_DEP_1) | instskip(NEXT) | instid1(VALU_DEP_1)
	v_min_u32_e32 v1, 32, v1
	v_subrev_nc_u32_e32 v2, 28, v1
	v_sub_nc_u32_e32 v1, 29, v1
	s_delay_alu instid0(VALU_DEP_2) | instskip(NEXT) | instid1(VALU_DEP_1)
	v_lshlrev_b64 v[2:3], v2, v[18:19]
	v_and_b32_e32 v30, 7, v2
; %bb.1633:                             ;   in Loop: Header=BB466_8 Depth=1
	s_or_b32 exec_lo, exec_lo, s20
	v_lshlrev_b32_e32 v0, 24, v0
	s_delay_alu instid0(VALU_DEP_2) | instskip(SKIP_1) | instid1(VALU_DEP_3)
	v_lshlrev_b32_e32 v2, 20, v30
	v_lshl_add_u32 v1, v1, 23, 0x3c000000
	v_and_b32_e32 v0, 0x80000000, v0
	s_delay_alu instid0(VALU_DEP_1)
	v_or3_b32 v1, v2, v0, v1
.LBB466_1634:                           ;   in Loop: Header=BB466_8 Depth=1
	s_or_b32 exec_lo, exec_lo, s19
.LBB466_1635:                           ;   in Loop: Header=BB466_8 Depth=1
	s_delay_alu instid0(SALU_CYCLE_1)
	s_or_b32 exec_lo, exec_lo, s18
.LBB466_1636:                           ;   in Loop: Header=BB466_8 Depth=1
	s_delay_alu instid0(SALU_CYCLE_1) | instskip(NEXT) | instid1(VALU_DEP_1)
	s_or_b32 exec_lo, exec_lo, s2
	v_mul_f32_e32 v0, v102, v1
                                        ; implicit-def: $vgpr11
	s_delay_alu instid0(VALU_DEP_1) | instskip(NEXT) | instid1(VALU_DEP_1)
	v_and_b32_e32 v1, 0x7f800000, v0
	v_cmp_ne_u32_e64 s1, 0x7f800000, v1
	s_delay_alu instid0(VALU_DEP_1) | instskip(NEXT) | instid1(SALU_CYCLE_1)
	s_and_saveexec_b32 s2, s1
	s_xor_b32 s1, exec_lo, s2
; %bb.1637:                             ;   in Loop: Header=BB466_8 Depth=1
	v_bfe_u32 v1, v0, 16, 1
	s_delay_alu instid0(VALU_DEP_1)
	v_add3_u32 v11, v0, v1, 0x7fff
                                        ; implicit-def: $vgpr0
; %bb.1638:                             ;   in Loop: Header=BB466_8 Depth=1
	s_and_not1_saveexec_b32 s2, s1
; %bb.1639:                             ;   in Loop: Header=BB466_8 Depth=1
	v_and_b32_e32 v1, 0xffff, v0
	v_or_b32_e32 v2, 0x10000, v0
	s_delay_alu instid0(VALU_DEP_2) | instskip(NEXT) | instid1(VALU_DEP_1)
	v_cmp_eq_u32_e64 s1, 0, v1
	v_cndmask_b32_e64 v11, v2, v0, s1
; %bb.1640:                             ;   in Loop: Header=BB466_8 Depth=1
	s_or_b32 exec_lo, exec_lo, s2
	flat_load_b64 v[30:31], v[28:29] offset:8
	s_mov_b32 s2, exec_lo
	s_waitcnt vmcnt(0) lgkmcnt(0)
	v_dual_mov_b32 v0, 0 :: v_dual_and_b32 v1, 0xff, v30
	s_delay_alu instid0(VALU_DEP_1)
	v_cmpx_ne_u16_e32 0, v1
	s_cbranch_execz .LBB466_1648
; %bb.1641:                             ;   in Loop: Header=BB466_8 Depth=1
	v_bfrev_b32_e32 v0, 1
	s_mov_b32 s18, exec_lo
	v_cmpx_ne_u16_e32 0x80, v1
	s_cbranch_execz .LBB466_1647
; %bb.1642:                             ;   in Loop: Header=BB466_8 Depth=1
	v_and_b32_e32 v1, 0x7f, v30
	v_mov_b32_e32 v0, 0x7f800001
	s_mov_b32 s19, exec_lo
	s_delay_alu instid0(VALU_DEP_2)
	v_cmpx_ne_u32_e32 0x7f, v1
	s_cbranch_execz .LBB466_1646
; %bb.1643:                             ;   in Loop: Header=BB466_8 Depth=1
	v_lshrrev_b32_e32 v0, 3, v1
	v_dual_mov_b32 v33, v31 :: v_dual_mov_b32 v32, v30
	s_mov_b32 s20, exec_lo
	v_cmpx_gt_u32_e32 8, v1
; %bb.1644:                             ;   in Loop: Header=BB466_8 Depth=1
	v_and_b32_e32 v0, 7, v30
	s_delay_alu instid0(VALU_DEP_1) | instskip(NEXT) | instid1(VALU_DEP_1)
	v_clz_i32_u32_e32 v0, v0
	v_min_u32_e32 v0, 32, v0
	s_delay_alu instid0(VALU_DEP_1) | instskip(SKIP_1) | instid1(VALU_DEP_2)
	v_subrev_nc_u32_e32 v1, 28, v0
	v_sub_nc_u32_e32 v0, 29, v0
	v_lshlrev_b64 v[32:33], v1, v[30:31]
; %bb.1645:                             ;   in Loop: Header=BB466_8 Depth=1
	s_or_b32 exec_lo, exec_lo, s20
	s_delay_alu instid0(VALU_DEP_1) | instskip(SKIP_2) | instid1(VALU_DEP_3)
	v_lshlrev_b32_e32 v1, 20, v32
	v_lshlrev_b32_e32 v2, 24, v30
	v_lshl_add_u32 v0, v0, 23, 0x3c000000
	v_and_b32_e32 v1, 0x700000, v1
	s_delay_alu instid0(VALU_DEP_3) | instskip(NEXT) | instid1(VALU_DEP_1)
	v_and_b32_e32 v2, 0x80000000, v2
	v_or3_b32 v0, v1, v2, v0
.LBB466_1646:                           ;   in Loop: Header=BB466_8 Depth=1
	s_or_b32 exec_lo, exec_lo, s19
.LBB466_1647:                           ;   in Loop: Header=BB466_8 Depth=1
	s_delay_alu instid0(SALU_CYCLE_1)
	s_or_b32 exec_lo, exec_lo, s18
.LBB466_1648:                           ;   in Loop: Header=BB466_8 Depth=1
	s_delay_alu instid0(SALU_CYCLE_1) | instskip(NEXT) | instid1(VALU_DEP_1)
	s_or_b32 exec_lo, exec_lo, s2
	v_mul_f32_e32 v0, v102, v0
                                        ; implicit-def: $vgpr10
	s_delay_alu instid0(VALU_DEP_1) | instskip(NEXT) | instid1(VALU_DEP_1)
	v_and_b32_e32 v1, 0x7f800000, v0
	v_cmp_ne_u32_e64 s1, 0x7f800000, v1
	s_delay_alu instid0(VALU_DEP_1) | instskip(NEXT) | instid1(SALU_CYCLE_1)
	s_and_saveexec_b32 s2, s1
	s_xor_b32 s1, exec_lo, s2
; %bb.1649:                             ;   in Loop: Header=BB466_8 Depth=1
	v_bfe_u32 v1, v0, 16, 1
	s_delay_alu instid0(VALU_DEP_1)
	v_add3_u32 v10, v0, v1, 0x7fff
                                        ; implicit-def: $vgpr0
; %bb.1650:                             ;   in Loop: Header=BB466_8 Depth=1
	s_and_not1_saveexec_b32 s2, s1
; %bb.1651:                             ;   in Loop: Header=BB466_8 Depth=1
	v_and_b32_e32 v1, 0xffff, v0
	v_or_b32_e32 v2, 0x10000, v0
	s_delay_alu instid0(VALU_DEP_2) | instskip(NEXT) | instid1(VALU_DEP_1)
	v_cmp_eq_u32_e64 s1, 0, v1
	v_cndmask_b32_e64 v10, v2, v0, s1
; %bb.1652:                             ;   in Loop: Header=BB466_8 Depth=1
	s_or_b32 exec_lo, exec_lo, s2
	v_lshrrev_b16 v1, 8, v30
	v_mov_b32_e32 v0, 0
	s_mov_b32 s2, exec_lo
	s_delay_alu instid0(VALU_DEP_2)
	v_cmpx_ne_u16_e32 0, v1
	s_cbranch_execz .LBB466_1660
; %bb.1653:                             ;   in Loop: Header=BB466_8 Depth=1
	v_bfrev_b32_e32 v0, 1
	s_mov_b32 s18, exec_lo
	v_cmpx_ne_u16_e32 0x80, v1
	s_cbranch_execz .LBB466_1659
; %bb.1654:                             ;   in Loop: Header=BB466_8 Depth=1
	v_and_b32_e32 v2, 0xffff, v1
	v_mov_b32_e32 v0, 0x7f800001
	s_mov_b32 s19, exec_lo
	s_delay_alu instid0(VALU_DEP_2) | instskip(NEXT) | instid1(VALU_DEP_1)
	v_and_b32_e32 v1, 0x7f, v2
	v_cmpx_ne_u32_e32 0x7f, v1
	s_cbranch_execz .LBB466_1658
; %bb.1655:                             ;   in Loop: Header=BB466_8 Depth=1
	v_and_b32_e32 v18, 7, v2
	v_mov_b32_e32 v33, v19
	v_lshrrev_b32_e32 v0, 3, v1
	s_mov_b32 s20, exec_lo
	s_delay_alu instid0(VALU_DEP_3)
	v_mov_b32_e32 v32, v18
	v_cmpx_gt_u32_e32 8, v1
; %bb.1656:                             ;   in Loop: Header=BB466_8 Depth=1
	v_clz_i32_u32_e32 v0, v18
	s_delay_alu instid0(VALU_DEP_1) | instskip(NEXT) | instid1(VALU_DEP_1)
	v_min_u32_e32 v0, 32, v0
	v_subrev_nc_u32_e32 v1, 28, v0
	v_sub_nc_u32_e32 v0, 29, v0
	s_delay_alu instid0(VALU_DEP_2) | instskip(NEXT) | instid1(VALU_DEP_1)
	v_lshlrev_b64 v[1:2], v1, v[18:19]
	v_and_b32_e32 v32, 7, v1
; %bb.1657:                             ;   in Loop: Header=BB466_8 Depth=1
	s_or_b32 exec_lo, exec_lo, s20
	v_lshlrev_b32_e32 v1, 16, v30
	s_delay_alu instid0(VALU_DEP_2) | instskip(SKIP_1) | instid1(VALU_DEP_3)
	v_lshlrev_b32_e32 v2, 20, v32
	v_lshl_add_u32 v0, v0, 23, 0x3c000000
	v_and_b32_e32 v1, 0x80000000, v1
	s_delay_alu instid0(VALU_DEP_1)
	v_or3_b32 v0, v2, v1, v0
.LBB466_1658:                           ;   in Loop: Header=BB466_8 Depth=1
	s_or_b32 exec_lo, exec_lo, s19
.LBB466_1659:                           ;   in Loop: Header=BB466_8 Depth=1
	s_delay_alu instid0(SALU_CYCLE_1)
	s_or_b32 exec_lo, exec_lo, s18
.LBB466_1660:                           ;   in Loop: Header=BB466_8 Depth=1
	s_delay_alu instid0(SALU_CYCLE_1) | instskip(NEXT) | instid1(VALU_DEP_1)
	s_or_b32 exec_lo, exec_lo, s2
	v_mul_f32_e32 v0, v102, v0
                                        ; implicit-def: $vgpr2
	s_delay_alu instid0(VALU_DEP_1) | instskip(NEXT) | instid1(VALU_DEP_1)
	v_and_b32_e32 v1, 0x7f800000, v0
	v_cmp_ne_u32_e64 s1, 0x7f800000, v1
	s_delay_alu instid0(VALU_DEP_1) | instskip(NEXT) | instid1(SALU_CYCLE_1)
	s_and_saveexec_b32 s2, s1
	s_xor_b32 s1, exec_lo, s2
; %bb.1661:                             ;   in Loop: Header=BB466_8 Depth=1
	v_bfe_u32 v1, v0, 16, 1
	s_delay_alu instid0(VALU_DEP_1)
	v_add3_u32 v2, v0, v1, 0x7fff
                                        ; implicit-def: $vgpr0
; %bb.1662:                             ;   in Loop: Header=BB466_8 Depth=1
	s_and_not1_saveexec_b32 s2, s1
; %bb.1663:                             ;   in Loop: Header=BB466_8 Depth=1
	v_and_b32_e32 v1, 0xffff, v0
	v_or_b32_e32 v2, 0x10000, v0
	s_delay_alu instid0(VALU_DEP_2) | instskip(NEXT) | instid1(VALU_DEP_1)
	v_cmp_eq_u32_e64 s1, 0, v1
	v_cndmask_b32_e64 v2, v2, v0, s1
; %bb.1664:                             ;   in Loop: Header=BB466_8 Depth=1
	s_or_b32 exec_lo, exec_lo, s2
	v_lshrrev_b32_e32 v0, 16, v30
	v_mov_b32_e32 v1, 0
	s_mov_b32 s2, exec_lo
	s_delay_alu instid0(VALU_DEP_2) | instskip(NEXT) | instid1(VALU_DEP_1)
	v_and_b32_e32 v3, 0xff, v0
	v_cmpx_ne_u16_e32 0, v3
	s_cbranch_execz .LBB466_1672
; %bb.1665:                             ;   in Loop: Header=BB466_8 Depth=1
	v_bfrev_b32_e32 v1, 1
	s_mov_b32 s18, exec_lo
	v_cmpx_ne_u16_e32 0x80, v3
	s_cbranch_execz .LBB466_1671
; %bb.1666:                             ;   in Loop: Header=BB466_8 Depth=1
	v_bfe_u32 v3, v30, 16, 7
	v_mov_b32_e32 v1, 0x7f800001
	s_mov_b32 s19, exec_lo
	s_delay_alu instid0(VALU_DEP_2)
	v_cmpx_ne_u32_e32 0x7f, v3
	s_cbranch_execz .LBB466_1670
; %bb.1667:                             ;   in Loop: Header=BB466_8 Depth=1
	v_and_b32_e32 v18, 7, v0
	v_mov_b32_e32 v33, v19
	v_lshrrev_b32_e32 v1, 3, v3
	s_mov_b32 s20, exec_lo
	s_delay_alu instid0(VALU_DEP_3)
	v_mov_b32_e32 v32, v18
	v_cmpx_gt_u32_e32 8, v3
; %bb.1668:                             ;   in Loop: Header=BB466_8 Depth=1
	v_clz_i32_u32_e32 v1, v18
	s_delay_alu instid0(VALU_DEP_1) | instskip(NEXT) | instid1(VALU_DEP_1)
	v_min_u32_e32 v1, 32, v1
	v_subrev_nc_u32_e32 v3, 28, v1
	v_sub_nc_u32_e32 v1, 29, v1
	s_delay_alu instid0(VALU_DEP_2) | instskip(NEXT) | instid1(VALU_DEP_1)
	v_lshlrev_b64 v[8:9], v3, v[18:19]
	v_and_b32_e32 v32, 7, v8
; %bb.1669:                             ;   in Loop: Header=BB466_8 Depth=1
	s_or_b32 exec_lo, exec_lo, s20
	v_lshlrev_b32_e32 v0, 24, v0
	s_delay_alu instid0(VALU_DEP_2) | instskip(SKIP_1) | instid1(VALU_DEP_3)
	v_lshlrev_b32_e32 v3, 20, v32
	v_lshl_add_u32 v1, v1, 23, 0x3c000000
	v_and_b32_e32 v0, 0x80000000, v0
	s_delay_alu instid0(VALU_DEP_1)
	v_or3_b32 v1, v3, v0, v1
.LBB466_1670:                           ;   in Loop: Header=BB466_8 Depth=1
	s_or_b32 exec_lo, exec_lo, s19
.LBB466_1671:                           ;   in Loop: Header=BB466_8 Depth=1
	s_delay_alu instid0(SALU_CYCLE_1)
	s_or_b32 exec_lo, exec_lo, s18
.LBB466_1672:                           ;   in Loop: Header=BB466_8 Depth=1
	s_delay_alu instid0(SALU_CYCLE_1) | instskip(NEXT) | instid1(VALU_DEP_1)
	s_or_b32 exec_lo, exec_lo, s2
	v_mul_f32_e32 v0, v102, v1
                                        ; implicit-def: $vgpr3
	s_delay_alu instid0(VALU_DEP_1) | instskip(NEXT) | instid1(VALU_DEP_1)
	v_and_b32_e32 v1, 0x7f800000, v0
	v_cmp_ne_u32_e64 s1, 0x7f800000, v1
	s_delay_alu instid0(VALU_DEP_1) | instskip(NEXT) | instid1(SALU_CYCLE_1)
	s_and_saveexec_b32 s2, s1
	s_xor_b32 s1, exec_lo, s2
; %bb.1673:                             ;   in Loop: Header=BB466_8 Depth=1
	v_bfe_u32 v1, v0, 16, 1
	s_delay_alu instid0(VALU_DEP_1)
	v_add3_u32 v3, v0, v1, 0x7fff
                                        ; implicit-def: $vgpr0
; %bb.1674:                             ;   in Loop: Header=BB466_8 Depth=1
	s_and_not1_saveexec_b32 s2, s1
; %bb.1675:                             ;   in Loop: Header=BB466_8 Depth=1
	v_and_b32_e32 v1, 0xffff, v0
	v_or_b32_e32 v3, 0x10000, v0
	s_delay_alu instid0(VALU_DEP_2) | instskip(NEXT) | instid1(VALU_DEP_1)
	v_cmp_eq_u32_e64 s1, 0, v1
	v_cndmask_b32_e64 v3, v3, v0, s1
; %bb.1676:                             ;   in Loop: Header=BB466_8 Depth=1
	s_or_b32 exec_lo, exec_lo, s2
	v_mov_b32_e32 v1, 0
	s_mov_b32 s2, exec_lo
	v_cmpx_lt_u32_e32 0xffffff, v30
	s_cbranch_execz .LBB466_1684
; %bb.1677:                             ;   in Loop: Header=BB466_8 Depth=1
	v_lshrrev_b32_e32 v0, 24, v30
	v_bfrev_b32_e32 v1, 1
	s_mov_b32 s18, exec_lo
	s_delay_alu instid0(VALU_DEP_2)
	v_cmpx_ne_u32_e32 0x80, v0
	s_cbranch_execz .LBB466_1683
; %bb.1678:                             ;   in Loop: Header=BB466_8 Depth=1
	v_bfe_u32 v8, v30, 24, 7
	v_mov_b32_e32 v1, 0x7f800001
	s_mov_b32 s19, exec_lo
	s_delay_alu instid0(VALU_DEP_2)
	v_cmpx_ne_u32_e32 0x7f, v8
	s_cbranch_execz .LBB466_1682
; %bb.1679:                             ;   in Loop: Header=BB466_8 Depth=1
	v_and_b32_e32 v18, 7, v0
	v_mov_b32_e32 v33, v19
	v_lshrrev_b32_e32 v1, 3, v8
	s_mov_b32 s20, exec_lo
	s_delay_alu instid0(VALU_DEP_3)
	v_mov_b32_e32 v32, v18
	v_cmpx_gt_u32_e32 8, v8
; %bb.1680:                             ;   in Loop: Header=BB466_8 Depth=1
	v_clz_i32_u32_e32 v1, v18
	s_delay_alu instid0(VALU_DEP_1) | instskip(NEXT) | instid1(VALU_DEP_1)
	v_min_u32_e32 v1, 32, v1
	v_subrev_nc_u32_e32 v8, 28, v1
	v_sub_nc_u32_e32 v1, 29, v1
	s_delay_alu instid0(VALU_DEP_2) | instskip(NEXT) | instid1(VALU_DEP_1)
	v_lshlrev_b64 v[8:9], v8, v[18:19]
	v_and_b32_e32 v32, 7, v8
; %bb.1681:                             ;   in Loop: Header=BB466_8 Depth=1
	s_or_b32 exec_lo, exec_lo, s20
	v_lshlrev_b32_e32 v0, 24, v0
	s_delay_alu instid0(VALU_DEP_2) | instskip(SKIP_1) | instid1(VALU_DEP_3)
	v_lshlrev_b32_e32 v8, 20, v32
	v_lshl_add_u32 v1, v1, 23, 0x3c000000
	v_and_b32_e32 v0, 0x80000000, v0
	s_delay_alu instid0(VALU_DEP_1)
	v_or3_b32 v1, v8, v0, v1
.LBB466_1682:                           ;   in Loop: Header=BB466_8 Depth=1
	s_or_b32 exec_lo, exec_lo, s19
.LBB466_1683:                           ;   in Loop: Header=BB466_8 Depth=1
	s_delay_alu instid0(SALU_CYCLE_1)
	s_or_b32 exec_lo, exec_lo, s18
.LBB466_1684:                           ;   in Loop: Header=BB466_8 Depth=1
	s_delay_alu instid0(SALU_CYCLE_1) | instskip(NEXT) | instid1(VALU_DEP_1)
	s_or_b32 exec_lo, exec_lo, s2
	v_mul_f32_e32 v0, v102, v1
                                        ; implicit-def: $vgpr69
	s_delay_alu instid0(VALU_DEP_1) | instskip(NEXT) | instid1(VALU_DEP_1)
	v_and_b32_e32 v1, 0x7f800000, v0
	v_cmp_ne_u32_e64 s1, 0x7f800000, v1
	s_delay_alu instid0(VALU_DEP_1) | instskip(NEXT) | instid1(SALU_CYCLE_1)
	s_and_saveexec_b32 s2, s1
	s_xor_b32 s1, exec_lo, s2
; %bb.1685:                             ;   in Loop: Header=BB466_8 Depth=1
	v_bfe_u32 v1, v0, 16, 1
	s_delay_alu instid0(VALU_DEP_1)
	v_add3_u32 v69, v0, v1, 0x7fff
                                        ; implicit-def: $vgpr0
; %bb.1686:                             ;   in Loop: Header=BB466_8 Depth=1
	s_and_not1_saveexec_b32 s2, s1
; %bb.1687:                             ;   in Loop: Header=BB466_8 Depth=1
	v_and_b32_e32 v1, 0xffff, v0
	v_or_b32_e32 v8, 0x10000, v0
	s_delay_alu instid0(VALU_DEP_2) | instskip(NEXT) | instid1(VALU_DEP_1)
	v_cmp_eq_u32_e64 s1, 0, v1
	v_cndmask_b32_e64 v69, v8, v0, s1
; %bb.1688:                             ;   in Loop: Header=BB466_8 Depth=1
	s_or_b32 exec_lo, exec_lo, s2
	v_dual_mov_b32 v18, v31 :: v_dual_and_b32 v1, 0xff, v31
	v_mov_b32_e32 v0, 0
	s_mov_b32 s2, exec_lo
	s_delay_alu instid0(VALU_DEP_2)
	v_cmpx_ne_u16_e32 0, v1
	s_cbranch_execz .LBB466_1696
; %bb.1689:                             ;   in Loop: Header=BB466_8 Depth=1
	v_bfrev_b32_e32 v0, 1
	s_mov_b32 s18, exec_lo
	v_cmpx_ne_u16_e32 0x80, v1
	s_cbranch_execz .LBB466_1695
; %bb.1690:                             ;   in Loop: Header=BB466_8 Depth=1
	v_and_b32_e32 v1, 0x7f, v31
	v_mov_b32_e32 v0, 0x7f800001
	s_mov_b32 s19, exec_lo
	s_delay_alu instid0(VALU_DEP_2)
	v_cmpx_ne_u32_e32 0x7f, v1
	s_cbranch_execz .LBB466_1694
; %bb.1691:                             ;   in Loop: Header=BB466_8 Depth=1
	v_dual_mov_b32 v33, v19 :: v_dual_mov_b32 v32, v18
	v_lshrrev_b32_e32 v0, 3, v1
	s_mov_b32 s20, exec_lo
	v_cmpx_gt_u32_e32 8, v1
; %bb.1692:                             ;   in Loop: Header=BB466_8 Depth=1
	v_and_b32_e32 v0, 7, v31
	s_delay_alu instid0(VALU_DEP_1) | instskip(NEXT) | instid1(VALU_DEP_1)
	v_clz_i32_u32_e32 v0, v0
	v_min_u32_e32 v0, 32, v0
	s_delay_alu instid0(VALU_DEP_1) | instskip(SKIP_1) | instid1(VALU_DEP_2)
	v_subrev_nc_u32_e32 v1, 28, v0
	v_sub_nc_u32_e32 v0, 29, v0
	v_lshlrev_b64 v[32:33], v1, v[18:19]
; %bb.1693:                             ;   in Loop: Header=BB466_8 Depth=1
	s_or_b32 exec_lo, exec_lo, s20
	s_delay_alu instid0(VALU_DEP_1) | instskip(SKIP_2) | instid1(VALU_DEP_3)
	v_lshlrev_b32_e32 v1, 20, v32
	v_lshlrev_b32_e32 v8, 24, v18
	v_lshl_add_u32 v0, v0, 23, 0x3c000000
	v_and_b32_e32 v1, 0x700000, v1
	s_delay_alu instid0(VALU_DEP_3) | instskip(NEXT) | instid1(VALU_DEP_1)
	v_and_b32_e32 v8, 0x80000000, v8
	v_or3_b32 v0, v1, v8, v0
.LBB466_1694:                           ;   in Loop: Header=BB466_8 Depth=1
	s_or_b32 exec_lo, exec_lo, s19
.LBB466_1695:                           ;   in Loop: Header=BB466_8 Depth=1
	s_delay_alu instid0(SALU_CYCLE_1)
	s_or_b32 exec_lo, exec_lo, s18
.LBB466_1696:                           ;   in Loop: Header=BB466_8 Depth=1
	s_delay_alu instid0(SALU_CYCLE_1) | instskip(NEXT) | instid1(VALU_DEP_1)
	s_or_b32 exec_lo, exec_lo, s2
	v_mul_f32_e32 v0, v102, v0
                                        ; implicit-def: $vgpr15
	s_delay_alu instid0(VALU_DEP_1) | instskip(NEXT) | instid1(VALU_DEP_1)
	v_and_b32_e32 v1, 0x7f800000, v0
	v_cmp_ne_u32_e64 s1, 0x7f800000, v1
	s_delay_alu instid0(VALU_DEP_1) | instskip(NEXT) | instid1(SALU_CYCLE_1)
	s_and_saveexec_b32 s2, s1
	s_xor_b32 s1, exec_lo, s2
; %bb.1697:                             ;   in Loop: Header=BB466_8 Depth=1
	v_bfe_u32 v1, v0, 16, 1
	s_delay_alu instid0(VALU_DEP_1)
	v_add3_u32 v15, v0, v1, 0x7fff
                                        ; implicit-def: $vgpr0
; %bb.1698:                             ;   in Loop: Header=BB466_8 Depth=1
	s_and_not1_saveexec_b32 s2, s1
; %bb.1699:                             ;   in Loop: Header=BB466_8 Depth=1
	v_and_b32_e32 v1, 0xffff, v0
	v_or_b32_e32 v8, 0x10000, v0
	s_delay_alu instid0(VALU_DEP_2) | instskip(NEXT) | instid1(VALU_DEP_1)
	v_cmp_eq_u32_e64 s1, 0, v1
	v_cndmask_b32_e64 v15, v8, v0, s1
; %bb.1700:                             ;   in Loop: Header=BB466_8 Depth=1
	s_or_b32 exec_lo, exec_lo, s2
	v_lshrrev_b16 v1, 8, v18
	v_mov_b32_e32 v0, 0
	s_mov_b32 s2, exec_lo
	s_delay_alu instid0(VALU_DEP_2)
	v_cmpx_ne_u16_e32 0, v1
	s_cbranch_execz .LBB466_1708
; %bb.1701:                             ;   in Loop: Header=BB466_8 Depth=1
	v_bfrev_b32_e32 v0, 1
	s_mov_b32 s18, exec_lo
	v_cmpx_ne_u16_e32 0x80, v1
	s_cbranch_execz .LBB466_1707
; %bb.1702:                             ;   in Loop: Header=BB466_8 Depth=1
	v_and_b32_e32 v8, 0xffff, v1
	v_mov_b32_e32 v0, 0x7f800001
	s_mov_b32 s19, exec_lo
	s_delay_alu instid0(VALU_DEP_2) | instskip(NEXT) | instid1(VALU_DEP_1)
	v_and_b32_e32 v1, 0x7f, v8
	v_cmpx_ne_u32_e32 0x7f, v1
	s_cbranch_execz .LBB466_1706
; %bb.1703:                             ;   in Loop: Header=BB466_8 Depth=1
	v_dual_mov_b32 v33, v19 :: v_dual_and_b32 v32, 7, v8
	v_lshrrev_b32_e32 v0, 3, v1
	s_mov_b32 s20, exec_lo
	v_cmpx_gt_u32_e32 8, v1
; %bb.1704:                             ;   in Loop: Header=BB466_8 Depth=1
	s_delay_alu instid0(VALU_DEP_3) | instskip(NEXT) | instid1(VALU_DEP_1)
	v_clz_i32_u32_e32 v0, v32
	v_min_u32_e32 v0, 32, v0
	s_delay_alu instid0(VALU_DEP_1) | instskip(SKIP_1) | instid1(VALU_DEP_2)
	v_subrev_nc_u32_e32 v1, 28, v0
	v_sub_nc_u32_e32 v0, 29, v0
	v_lshlrev_b64 v[8:9], v1, v[32:33]
	s_delay_alu instid0(VALU_DEP_1)
	v_and_b32_e32 v32, 7, v8
; %bb.1705:                             ;   in Loop: Header=BB466_8 Depth=1
	s_or_b32 exec_lo, exec_lo, s20
	v_lshlrev_b32_e32 v1, 16, v18
	s_delay_alu instid0(VALU_DEP_2) | instskip(SKIP_1) | instid1(VALU_DEP_3)
	v_lshlrev_b32_e32 v8, 20, v32
	v_lshl_add_u32 v0, v0, 23, 0x3c000000
	v_and_b32_e32 v1, 0x80000000, v1
	s_delay_alu instid0(VALU_DEP_1)
	v_or3_b32 v0, v8, v1, v0
.LBB466_1706:                           ;   in Loop: Header=BB466_8 Depth=1
	s_or_b32 exec_lo, exec_lo, s19
.LBB466_1707:                           ;   in Loop: Header=BB466_8 Depth=1
	s_delay_alu instid0(SALU_CYCLE_1)
	s_or_b32 exec_lo, exec_lo, s18
.LBB466_1708:                           ;   in Loop: Header=BB466_8 Depth=1
	s_delay_alu instid0(SALU_CYCLE_1) | instskip(NEXT) | instid1(VALU_DEP_1)
	s_or_b32 exec_lo, exec_lo, s2
	v_mul_f32_e32 v0, v102, v0
                                        ; implicit-def: $vgpr14
	s_delay_alu instid0(VALU_DEP_1) | instskip(NEXT) | instid1(VALU_DEP_1)
	v_and_b32_e32 v1, 0x7f800000, v0
	v_cmp_ne_u32_e64 s1, 0x7f800000, v1
	s_delay_alu instid0(VALU_DEP_1) | instskip(NEXT) | instid1(SALU_CYCLE_1)
	s_and_saveexec_b32 s2, s1
	s_xor_b32 s1, exec_lo, s2
; %bb.1709:                             ;   in Loop: Header=BB466_8 Depth=1
	v_bfe_u32 v1, v0, 16, 1
	s_delay_alu instid0(VALU_DEP_1)
	v_add3_u32 v14, v0, v1, 0x7fff
                                        ; implicit-def: $vgpr0
; %bb.1710:                             ;   in Loop: Header=BB466_8 Depth=1
	s_and_not1_saveexec_b32 s2, s1
; %bb.1711:                             ;   in Loop: Header=BB466_8 Depth=1
	v_and_b32_e32 v1, 0xffff, v0
	v_or_b32_e32 v8, 0x10000, v0
	s_delay_alu instid0(VALU_DEP_2) | instskip(NEXT) | instid1(VALU_DEP_1)
	v_cmp_eq_u32_e64 s1, 0, v1
	v_cndmask_b32_e64 v14, v8, v0, s1
; %bb.1712:                             ;   in Loop: Header=BB466_8 Depth=1
	s_or_b32 exec_lo, exec_lo, s2
	v_lshrrev_b32_e32 v0, 16, v31
	s_mov_b32 s2, exec_lo
	s_delay_alu instid0(VALU_DEP_1) | instskip(NEXT) | instid1(VALU_DEP_1)
	v_dual_mov_b32 v1, 0 :: v_dual_and_b32 v8, 0xff, v0
	v_cmpx_ne_u16_e32 0, v8
	s_cbranch_execz .LBB466_1720
; %bb.1713:                             ;   in Loop: Header=BB466_8 Depth=1
	v_bfrev_b32_e32 v1, 1
	s_mov_b32 s18, exec_lo
	v_cmpx_ne_u16_e32 0x80, v8
	s_cbranch_execz .LBB466_1719
; %bb.1714:                             ;   in Loop: Header=BB466_8 Depth=1
	v_bfe_u32 v8, v31, 16, 7
	v_mov_b32_e32 v1, 0x7f800001
	s_mov_b32 s19, exec_lo
	s_delay_alu instid0(VALU_DEP_2)
	v_cmpx_ne_u32_e32 0x7f, v8
	s_cbranch_execz .LBB466_1718
; %bb.1715:                             ;   in Loop: Header=BB466_8 Depth=1
	v_and_b32_e32 v18, 7, v0
	v_mov_b32_e32 v33, v19
	v_lshrrev_b32_e32 v1, 3, v8
	s_mov_b32 s20, exec_lo
	s_delay_alu instid0(VALU_DEP_3)
	v_mov_b32_e32 v32, v18
	v_cmpx_gt_u32_e32 8, v8
; %bb.1716:                             ;   in Loop: Header=BB466_8 Depth=1
	v_clz_i32_u32_e32 v1, v18
	s_delay_alu instid0(VALU_DEP_1) | instskip(NEXT) | instid1(VALU_DEP_1)
	v_min_u32_e32 v1, 32, v1
	v_subrev_nc_u32_e32 v8, 28, v1
	v_sub_nc_u32_e32 v1, 29, v1
	s_delay_alu instid0(VALU_DEP_2) | instskip(NEXT) | instid1(VALU_DEP_1)
	v_lshlrev_b64 v[8:9], v8, v[18:19]
	v_and_b32_e32 v32, 7, v8
; %bb.1717:                             ;   in Loop: Header=BB466_8 Depth=1
	s_or_b32 exec_lo, exec_lo, s20
	v_lshlrev_b32_e32 v0, 24, v0
	s_delay_alu instid0(VALU_DEP_2) | instskip(SKIP_1) | instid1(VALU_DEP_3)
	v_lshlrev_b32_e32 v8, 20, v32
	v_lshl_add_u32 v1, v1, 23, 0x3c000000
	v_and_b32_e32 v0, 0x80000000, v0
	s_delay_alu instid0(VALU_DEP_1)
	v_or3_b32 v1, v8, v0, v1
.LBB466_1718:                           ;   in Loop: Header=BB466_8 Depth=1
	s_or_b32 exec_lo, exec_lo, s19
.LBB466_1719:                           ;   in Loop: Header=BB466_8 Depth=1
	s_delay_alu instid0(SALU_CYCLE_1)
	s_or_b32 exec_lo, exec_lo, s18
.LBB466_1720:                           ;   in Loop: Header=BB466_8 Depth=1
	s_delay_alu instid0(SALU_CYCLE_1) | instskip(NEXT) | instid1(VALU_DEP_1)
	s_or_b32 exec_lo, exec_lo, s2
	v_mul_f32_e32 v0, v102, v1
                                        ; implicit-def: $vgpr48
	s_delay_alu instid0(VALU_DEP_1) | instskip(NEXT) | instid1(VALU_DEP_1)
	v_and_b32_e32 v1, 0x7f800000, v0
	v_cmp_ne_u32_e64 s1, 0x7f800000, v1
	s_delay_alu instid0(VALU_DEP_1) | instskip(NEXT) | instid1(SALU_CYCLE_1)
	s_and_saveexec_b32 s2, s1
	s_xor_b32 s1, exec_lo, s2
; %bb.1721:                             ;   in Loop: Header=BB466_8 Depth=1
	v_bfe_u32 v1, v0, 16, 1
	s_delay_alu instid0(VALU_DEP_1)
	v_add3_u32 v48, v0, v1, 0x7fff
                                        ; implicit-def: $vgpr0
; %bb.1722:                             ;   in Loop: Header=BB466_8 Depth=1
	s_and_not1_saveexec_b32 s2, s1
; %bb.1723:                             ;   in Loop: Header=BB466_8 Depth=1
	v_and_b32_e32 v1, 0xffff, v0
	v_or_b32_e32 v8, 0x10000, v0
	s_delay_alu instid0(VALU_DEP_2) | instskip(NEXT) | instid1(VALU_DEP_1)
	v_cmp_eq_u32_e64 s1, 0, v1
	v_cndmask_b32_e64 v48, v8, v0, s1
; %bb.1724:                             ;   in Loop: Header=BB466_8 Depth=1
	s_or_b32 exec_lo, exec_lo, s2
	v_mov_b32_e32 v1, 0
	s_mov_b32 s2, exec_lo
	v_cmpx_lt_u64_e64 s[8:9], v[30:31]
	s_cbranch_execz .LBB466_1732
; %bb.1725:                             ;   in Loop: Header=BB466_8 Depth=1
	v_lshrrev_b32_e32 v0, 24, v31
	v_bfrev_b32_e32 v1, 1
	s_mov_b32 s18, exec_lo
	s_delay_alu instid0(VALU_DEP_2)
	v_cmpx_ne_u32_e32 0x80, v0
	s_cbranch_execz .LBB466_1731
; %bb.1726:                             ;   in Loop: Header=BB466_8 Depth=1
	v_bfe_u32 v8, v31, 24, 7
	v_mov_b32_e32 v1, 0x7f800001
	s_mov_b32 s19, exec_lo
	s_delay_alu instid0(VALU_DEP_2)
	v_cmpx_ne_u32_e32 0x7f, v8
	s_cbranch_execz .LBB466_1730
; %bb.1727:                             ;   in Loop: Header=BB466_8 Depth=1
	v_and_b32_e32 v18, 7, v0
	v_mov_b32_e32 v31, v19
	v_lshrrev_b32_e32 v1, 3, v8
	s_mov_b32 s20, exec_lo
	s_delay_alu instid0(VALU_DEP_3)
	v_mov_b32_e32 v30, v18
	v_cmpx_gt_u32_e32 8, v8
; %bb.1728:                             ;   in Loop: Header=BB466_8 Depth=1
	v_clz_i32_u32_e32 v1, v18
	s_delay_alu instid0(VALU_DEP_1) | instskip(NEXT) | instid1(VALU_DEP_1)
	v_min_u32_e32 v1, 32, v1
	v_subrev_nc_u32_e32 v8, 28, v1
	v_sub_nc_u32_e32 v1, 29, v1
	s_delay_alu instid0(VALU_DEP_2) | instskip(NEXT) | instid1(VALU_DEP_1)
	v_lshlrev_b64 v[8:9], v8, v[18:19]
	v_and_b32_e32 v30, 7, v8
; %bb.1729:                             ;   in Loop: Header=BB466_8 Depth=1
	s_or_b32 exec_lo, exec_lo, s20
	v_lshlrev_b32_e32 v0, 24, v0
	s_delay_alu instid0(VALU_DEP_2) | instskip(SKIP_1) | instid1(VALU_DEP_3)
	v_lshlrev_b32_e32 v8, 20, v30
	v_lshl_add_u32 v1, v1, 23, 0x3c000000
	v_and_b32_e32 v0, 0x80000000, v0
	s_delay_alu instid0(VALU_DEP_1)
	v_or3_b32 v1, v8, v0, v1
.LBB466_1730:                           ;   in Loop: Header=BB466_8 Depth=1
	s_or_b32 exec_lo, exec_lo, s19
.LBB466_1731:                           ;   in Loop: Header=BB466_8 Depth=1
	s_delay_alu instid0(SALU_CYCLE_1)
	s_or_b32 exec_lo, exec_lo, s18
.LBB466_1732:                           ;   in Loop: Header=BB466_8 Depth=1
	s_delay_alu instid0(SALU_CYCLE_1) | instskip(NEXT) | instid1(VALU_DEP_1)
	s_or_b32 exec_lo, exec_lo, s2
	v_mul_f32_e32 v0, v102, v1
	s_delay_alu instid0(VALU_DEP_1) | instskip(NEXT) | instid1(VALU_DEP_1)
	v_and_b32_e32 v1, 0x7f800000, v0
	v_cmp_ne_u32_e64 s1, 0x7f800000, v1
                                        ; implicit-def: $vgpr1
	s_delay_alu instid0(VALU_DEP_1) | instskip(NEXT) | instid1(SALU_CYCLE_1)
	s_and_saveexec_b32 s2, s1
	s_xor_b32 s1, exec_lo, s2
; %bb.1733:                             ;   in Loop: Header=BB466_8 Depth=1
	v_bfe_u32 v1, v0, 16, 1
	s_delay_alu instid0(VALU_DEP_1)
	v_add3_u32 v1, v0, v1, 0x7fff
                                        ; implicit-def: $vgpr0
; %bb.1734:                             ;   in Loop: Header=BB466_8 Depth=1
	s_and_not1_saveexec_b32 s2, s1
; %bb.1735:                             ;   in Loop: Header=BB466_8 Depth=1
	v_and_b32_e32 v1, 0xffff, v0
	v_or_b32_e32 v8, 0x10000, v0
	s_delay_alu instid0(VALU_DEP_2) | instskip(NEXT) | instid1(VALU_DEP_1)
	v_cmp_eq_u32_e64 s1, 0, v1
	v_cndmask_b32_e64 v1, v8, v0, s1
; %bb.1736:                             ;   in Loop: Header=BB466_8 Depth=1
	s_or_b32 exec_lo, exec_lo, s2
	flat_load_b64 v[30:31], v[28:29] offset:512
	v_mov_b32_e32 v0, 0
	s_mov_b32 s2, exec_lo
	s_waitcnt vmcnt(0) lgkmcnt(0)
	v_and_b32_e32 v8, 0xff, v30
	s_delay_alu instid0(VALU_DEP_1)
	v_cmpx_ne_u16_e32 0, v8
	s_cbranch_execz .LBB466_1744
; %bb.1737:                             ;   in Loop: Header=BB466_8 Depth=1
	v_bfrev_b32_e32 v0, 1
	s_mov_b32 s18, exec_lo
	v_cmpx_ne_u16_e32 0x80, v8
	s_cbranch_execz .LBB466_1743
; %bb.1738:                             ;   in Loop: Header=BB466_8 Depth=1
	v_and_b32_e32 v8, 0x7f, v30
	v_mov_b32_e32 v0, 0x7f800001
	s_mov_b32 s19, exec_lo
	s_delay_alu instid0(VALU_DEP_2)
	v_cmpx_ne_u32_e32 0x7f, v8
	s_cbranch_execz .LBB466_1742
; %bb.1739:                             ;   in Loop: Header=BB466_8 Depth=1
	v_lshrrev_b32_e32 v0, 3, v8
	v_dual_mov_b32 v33, v31 :: v_dual_mov_b32 v32, v30
	s_mov_b32 s20, exec_lo
	v_cmpx_gt_u32_e32 8, v8
; %bb.1740:                             ;   in Loop: Header=BB466_8 Depth=1
	v_and_b32_e32 v0, 7, v30
	s_delay_alu instid0(VALU_DEP_1) | instskip(NEXT) | instid1(VALU_DEP_1)
	v_clz_i32_u32_e32 v0, v0
	v_min_u32_e32 v0, 32, v0
	s_delay_alu instid0(VALU_DEP_1) | instskip(SKIP_1) | instid1(VALU_DEP_2)
	v_subrev_nc_u32_e32 v8, 28, v0
	v_sub_nc_u32_e32 v0, 29, v0
	v_lshlrev_b64 v[32:33], v8, v[30:31]
; %bb.1741:                             ;   in Loop: Header=BB466_8 Depth=1
	s_or_b32 exec_lo, exec_lo, s20
	s_delay_alu instid0(VALU_DEP_1) | instskip(SKIP_2) | instid1(VALU_DEP_3)
	v_lshlrev_b32_e32 v8, 20, v32
	v_lshlrev_b32_e32 v9, 24, v30
	v_lshl_add_u32 v0, v0, 23, 0x3c000000
	v_and_b32_e32 v8, 0x700000, v8
	s_delay_alu instid0(VALU_DEP_3) | instskip(NEXT) | instid1(VALU_DEP_1)
	v_and_b32_e32 v9, 0x80000000, v9
	v_or3_b32 v0, v8, v9, v0
.LBB466_1742:                           ;   in Loop: Header=BB466_8 Depth=1
	s_or_b32 exec_lo, exec_lo, s19
.LBB466_1743:                           ;   in Loop: Header=BB466_8 Depth=1
	s_delay_alu instid0(SALU_CYCLE_1)
	s_or_b32 exec_lo, exec_lo, s18
.LBB466_1744:                           ;   in Loop: Header=BB466_8 Depth=1
	s_delay_alu instid0(SALU_CYCLE_1) | instskip(NEXT) | instid1(VALU_DEP_1)
	s_or_b32 exec_lo, exec_lo, s2
	v_mul_f32_e32 v8, v102, v0
	s_delay_alu instid0(VALU_DEP_1) | instskip(NEXT) | instid1(VALU_DEP_1)
	v_and_b32_e32 v0, 0x7f800000, v8
	v_cmp_ne_u32_e64 s1, 0x7f800000, v0
                                        ; implicit-def: $vgpr0
	s_delay_alu instid0(VALU_DEP_1) | instskip(NEXT) | instid1(SALU_CYCLE_1)
	s_and_saveexec_b32 s2, s1
	s_xor_b32 s1, exec_lo, s2
; %bb.1745:                             ;   in Loop: Header=BB466_8 Depth=1
	v_bfe_u32 v0, v8, 16, 1
	s_delay_alu instid0(VALU_DEP_1)
	v_add3_u32 v0, v8, v0, 0x7fff
                                        ; implicit-def: $vgpr8
; %bb.1746:                             ;   in Loop: Header=BB466_8 Depth=1
	s_and_not1_saveexec_b32 s2, s1
; %bb.1747:                             ;   in Loop: Header=BB466_8 Depth=1
	v_and_b32_e32 v0, 0xffff, v8
	v_or_b32_e32 v9, 0x10000, v8
	s_delay_alu instid0(VALU_DEP_2) | instskip(NEXT) | instid1(VALU_DEP_1)
	v_cmp_eq_u32_e64 s1, 0, v0
	v_cndmask_b32_e64 v0, v9, v8, s1
; %bb.1748:                             ;   in Loop: Header=BB466_8 Depth=1
	s_or_b32 exec_lo, exec_lo, s2
	v_lshrrev_b16 v9, 8, v30
	v_mov_b32_e32 v8, 0
	s_mov_b32 s2, exec_lo
	s_delay_alu instid0(VALU_DEP_2)
	v_cmpx_ne_u16_e32 0, v9
	s_cbranch_execz .LBB466_1756
; %bb.1749:                             ;   in Loop: Header=BB466_8 Depth=1
	v_bfrev_b32_e32 v8, 1
	s_mov_b32 s18, exec_lo
	v_cmpx_ne_u16_e32 0x80, v9
	s_cbranch_execz .LBB466_1755
; %bb.1750:                             ;   in Loop: Header=BB466_8 Depth=1
	v_and_b32_e32 v13, 0xffff, v9
	v_mov_b32_e32 v8, 0x7f800001
	s_mov_b32 s19, exec_lo
	s_delay_alu instid0(VALU_DEP_2) | instskip(NEXT) | instid1(VALU_DEP_1)
	v_and_b32_e32 v9, 0x7f, v13
	v_cmpx_ne_u32_e32 0x7f, v9
	s_cbranch_execz .LBB466_1754
; %bb.1751:                             ;   in Loop: Header=BB466_8 Depth=1
	v_and_b32_e32 v18, 7, v13
	v_mov_b32_e32 v33, v19
	v_lshrrev_b32_e32 v8, 3, v9
	s_mov_b32 s20, exec_lo
	s_delay_alu instid0(VALU_DEP_3)
	v_mov_b32_e32 v32, v18
	v_cmpx_gt_u32_e32 8, v9
; %bb.1752:                             ;   in Loop: Header=BB466_8 Depth=1
	v_clz_i32_u32_e32 v8, v18
	s_delay_alu instid0(VALU_DEP_1) | instskip(NEXT) | instid1(VALU_DEP_1)
	v_min_u32_e32 v8, 32, v8
	v_subrev_nc_u32_e32 v9, 28, v8
	v_sub_nc_u32_e32 v8, 29, v8
	s_delay_alu instid0(VALU_DEP_2) | instskip(NEXT) | instid1(VALU_DEP_1)
	v_lshlrev_b64 v[24:25], v9, v[18:19]
	v_and_b32_e32 v32, 7, v24
; %bb.1753:                             ;   in Loop: Header=BB466_8 Depth=1
	s_or_b32 exec_lo, exec_lo, s20
	v_lshlrev_b32_e32 v9, 16, v30
	s_delay_alu instid0(VALU_DEP_2) | instskip(SKIP_1) | instid1(VALU_DEP_3)
	v_lshlrev_b32_e32 v13, 20, v32
	v_lshl_add_u32 v8, v8, 23, 0x3c000000
	v_and_b32_e32 v9, 0x80000000, v9
	s_delay_alu instid0(VALU_DEP_1)
	v_or3_b32 v8, v13, v9, v8
.LBB466_1754:                           ;   in Loop: Header=BB466_8 Depth=1
	s_or_b32 exec_lo, exec_lo, s19
.LBB466_1755:                           ;   in Loop: Header=BB466_8 Depth=1
	s_delay_alu instid0(SALU_CYCLE_1)
	s_or_b32 exec_lo, exec_lo, s18
.LBB466_1756:                           ;   in Loop: Header=BB466_8 Depth=1
	s_delay_alu instid0(SALU_CYCLE_1) | instskip(NEXT) | instid1(VALU_DEP_1)
	s_or_b32 exec_lo, exec_lo, s2
	v_mul_f32_e32 v8, v102, v8
                                        ; implicit-def: $vgpr27
	s_delay_alu instid0(VALU_DEP_1) | instskip(NEXT) | instid1(VALU_DEP_1)
	v_and_b32_e32 v9, 0x7f800000, v8
	v_cmp_ne_u32_e64 s1, 0x7f800000, v9
	s_delay_alu instid0(VALU_DEP_1) | instskip(NEXT) | instid1(SALU_CYCLE_1)
	s_and_saveexec_b32 s2, s1
	s_xor_b32 s1, exec_lo, s2
; %bb.1757:                             ;   in Loop: Header=BB466_8 Depth=1
	v_bfe_u32 v9, v8, 16, 1
	s_delay_alu instid0(VALU_DEP_1)
	v_add3_u32 v27, v8, v9, 0x7fff
                                        ; implicit-def: $vgpr8
; %bb.1758:                             ;   in Loop: Header=BB466_8 Depth=1
	s_and_not1_saveexec_b32 s2, s1
; %bb.1759:                             ;   in Loop: Header=BB466_8 Depth=1
	v_and_b32_e32 v9, 0xffff, v8
	v_or_b32_e32 v13, 0x10000, v8
	s_delay_alu instid0(VALU_DEP_2) | instskip(NEXT) | instid1(VALU_DEP_1)
	v_cmp_eq_u32_e64 s1, 0, v9
	v_cndmask_b32_e64 v27, v13, v8, s1
; %bb.1760:                             ;   in Loop: Header=BB466_8 Depth=1
	s_or_b32 exec_lo, exec_lo, s2
	v_lshrrev_b32_e32 v8, 16, v30
	v_mov_b32_e32 v9, 0
	s_mov_b32 s2, exec_lo
	s_delay_alu instid0(VALU_DEP_2) | instskip(NEXT) | instid1(VALU_DEP_1)
	v_and_b32_e32 v13, 0xff, v8
	v_cmpx_ne_u16_e32 0, v13
	s_cbranch_execz .LBB466_1768
; %bb.1761:                             ;   in Loop: Header=BB466_8 Depth=1
	v_bfrev_b32_e32 v9, 1
	s_mov_b32 s18, exec_lo
	v_cmpx_ne_u16_e32 0x80, v13
	s_cbranch_execz .LBB466_1767
; %bb.1762:                             ;   in Loop: Header=BB466_8 Depth=1
	v_bfe_u32 v13, v30, 16, 7
	v_mov_b32_e32 v9, 0x7f800001
	s_mov_b32 s19, exec_lo
	s_delay_alu instid0(VALU_DEP_2)
	v_cmpx_ne_u32_e32 0x7f, v13
	s_cbranch_execz .LBB466_1766
; %bb.1763:                             ;   in Loop: Header=BB466_8 Depth=1
	v_and_b32_e32 v18, 7, v8
	v_mov_b32_e32 v33, v19
	v_lshrrev_b32_e32 v9, 3, v13
	s_mov_b32 s20, exec_lo
	s_delay_alu instid0(VALU_DEP_3)
	v_mov_b32_e32 v32, v18
	v_cmpx_gt_u32_e32 8, v13
; %bb.1764:                             ;   in Loop: Header=BB466_8 Depth=1
	v_clz_i32_u32_e32 v9, v18
	s_delay_alu instid0(VALU_DEP_1) | instskip(NEXT) | instid1(VALU_DEP_1)
	v_min_u32_e32 v9, 32, v9
	v_subrev_nc_u32_e32 v13, 28, v9
	v_sub_nc_u32_e32 v9, 29, v9
	s_delay_alu instid0(VALU_DEP_2) | instskip(NEXT) | instid1(VALU_DEP_1)
	v_lshlrev_b64 v[24:25], v13, v[18:19]
	v_and_b32_e32 v32, 7, v24
; %bb.1765:                             ;   in Loop: Header=BB466_8 Depth=1
	s_or_b32 exec_lo, exec_lo, s20
	v_lshlrev_b32_e32 v8, 24, v8
	s_delay_alu instid0(VALU_DEP_2) | instskip(SKIP_1) | instid1(VALU_DEP_3)
	v_lshlrev_b32_e32 v13, 20, v32
	v_lshl_add_u32 v9, v9, 23, 0x3c000000
	v_and_b32_e32 v8, 0x80000000, v8
	s_delay_alu instid0(VALU_DEP_1)
	v_or3_b32 v9, v13, v8, v9
.LBB466_1766:                           ;   in Loop: Header=BB466_8 Depth=1
	s_or_b32 exec_lo, exec_lo, s19
.LBB466_1767:                           ;   in Loop: Header=BB466_8 Depth=1
	s_delay_alu instid0(SALU_CYCLE_1)
	s_or_b32 exec_lo, exec_lo, s18
.LBB466_1768:                           ;   in Loop: Header=BB466_8 Depth=1
	s_delay_alu instid0(SALU_CYCLE_1) | instskip(NEXT) | instid1(VALU_DEP_1)
	s_or_b32 exec_lo, exec_lo, s2
	v_mul_f32_e32 v8, v102, v9
                                        ; implicit-def: $vgpr26
	s_delay_alu instid0(VALU_DEP_1) | instskip(NEXT) | instid1(VALU_DEP_1)
	v_and_b32_e32 v9, 0x7f800000, v8
	v_cmp_ne_u32_e64 s1, 0x7f800000, v9
	s_delay_alu instid0(VALU_DEP_1) | instskip(NEXT) | instid1(SALU_CYCLE_1)
	s_and_saveexec_b32 s2, s1
	s_xor_b32 s1, exec_lo, s2
; %bb.1769:                             ;   in Loop: Header=BB466_8 Depth=1
	v_bfe_u32 v9, v8, 16, 1
	s_delay_alu instid0(VALU_DEP_1)
	v_add3_u32 v26, v8, v9, 0x7fff
                                        ; implicit-def: $vgpr8
; %bb.1770:                             ;   in Loop: Header=BB466_8 Depth=1
	s_and_not1_saveexec_b32 s2, s1
; %bb.1771:                             ;   in Loop: Header=BB466_8 Depth=1
	v_and_b32_e32 v9, 0xffff, v8
	v_or_b32_e32 v13, 0x10000, v8
	s_delay_alu instid0(VALU_DEP_2) | instskip(NEXT) | instid1(VALU_DEP_1)
	v_cmp_eq_u32_e64 s1, 0, v9
	v_cndmask_b32_e64 v26, v13, v8, s1
; %bb.1772:                             ;   in Loop: Header=BB466_8 Depth=1
	s_or_b32 exec_lo, exec_lo, s2
	v_mov_b32_e32 v9, 0
	s_mov_b32 s2, exec_lo
	v_cmpx_lt_u32_e32 0xffffff, v30
	s_cbranch_execz .LBB466_1780
; %bb.1773:                             ;   in Loop: Header=BB466_8 Depth=1
	v_lshrrev_b32_e32 v8, 24, v30
	v_bfrev_b32_e32 v9, 1
	s_mov_b32 s18, exec_lo
	s_delay_alu instid0(VALU_DEP_2)
	v_cmpx_ne_u32_e32 0x80, v8
	s_cbranch_execz .LBB466_1779
; %bb.1774:                             ;   in Loop: Header=BB466_8 Depth=1
	v_bfe_u32 v13, v30, 24, 7
	v_mov_b32_e32 v9, 0x7f800001
	s_mov_b32 s19, exec_lo
	s_delay_alu instid0(VALU_DEP_2)
	v_cmpx_ne_u32_e32 0x7f, v13
	s_cbranch_execz .LBB466_1778
; %bb.1775:                             ;   in Loop: Header=BB466_8 Depth=1
	v_and_b32_e32 v18, 7, v8
	v_mov_b32_e32 v33, v19
	v_lshrrev_b32_e32 v9, 3, v13
	s_mov_b32 s20, exec_lo
	s_delay_alu instid0(VALU_DEP_3)
	v_mov_b32_e32 v32, v18
	v_cmpx_gt_u32_e32 8, v13
; %bb.1776:                             ;   in Loop: Header=BB466_8 Depth=1
	v_clz_i32_u32_e32 v9, v18
	s_delay_alu instid0(VALU_DEP_1) | instskip(NEXT) | instid1(VALU_DEP_1)
	v_min_u32_e32 v9, 32, v9
	v_subrev_nc_u32_e32 v13, 28, v9
	v_sub_nc_u32_e32 v9, 29, v9
	s_delay_alu instid0(VALU_DEP_2) | instskip(NEXT) | instid1(VALU_DEP_1)
	v_lshlrev_b64 v[24:25], v13, v[18:19]
	v_and_b32_e32 v32, 7, v24
; %bb.1777:                             ;   in Loop: Header=BB466_8 Depth=1
	s_or_b32 exec_lo, exec_lo, s20
	v_lshlrev_b32_e32 v8, 24, v8
	s_delay_alu instid0(VALU_DEP_2) | instskip(SKIP_1) | instid1(VALU_DEP_3)
	v_lshlrev_b32_e32 v13, 20, v32
	v_lshl_add_u32 v9, v9, 23, 0x3c000000
	v_and_b32_e32 v8, 0x80000000, v8
	s_delay_alu instid0(VALU_DEP_1)
	v_or3_b32 v9, v13, v8, v9
.LBB466_1778:                           ;   in Loop: Header=BB466_8 Depth=1
	s_or_b32 exec_lo, exec_lo, s19
.LBB466_1779:                           ;   in Loop: Header=BB466_8 Depth=1
	s_delay_alu instid0(SALU_CYCLE_1)
	s_or_b32 exec_lo, exec_lo, s18
.LBB466_1780:                           ;   in Loop: Header=BB466_8 Depth=1
	s_delay_alu instid0(SALU_CYCLE_1) | instskip(NEXT) | instid1(VALU_DEP_1)
	s_or_b32 exec_lo, exec_lo, s2
	v_mul_f32_e32 v8, v102, v9
                                        ; implicit-def: $vgpr49
	s_delay_alu instid0(VALU_DEP_1) | instskip(NEXT) | instid1(VALU_DEP_1)
	v_and_b32_e32 v9, 0x7f800000, v8
	v_cmp_ne_u32_e64 s1, 0x7f800000, v9
	s_delay_alu instid0(VALU_DEP_1) | instskip(NEXT) | instid1(SALU_CYCLE_1)
	s_and_saveexec_b32 s2, s1
	s_xor_b32 s1, exec_lo, s2
; %bb.1781:                             ;   in Loop: Header=BB466_8 Depth=1
	v_bfe_u32 v9, v8, 16, 1
	s_delay_alu instid0(VALU_DEP_1)
	v_add3_u32 v49, v8, v9, 0x7fff
                                        ; implicit-def: $vgpr8
; %bb.1782:                             ;   in Loop: Header=BB466_8 Depth=1
	s_and_not1_saveexec_b32 s2, s1
; %bb.1783:                             ;   in Loop: Header=BB466_8 Depth=1
	v_and_b32_e32 v9, 0xffff, v8
	v_or_b32_e32 v13, 0x10000, v8
	s_delay_alu instid0(VALU_DEP_2) | instskip(NEXT) | instid1(VALU_DEP_1)
	v_cmp_eq_u32_e64 s1, 0, v9
	v_cndmask_b32_e64 v49, v13, v8, s1
; %bb.1784:                             ;   in Loop: Header=BB466_8 Depth=1
	s_or_b32 exec_lo, exec_lo, s2
	v_dual_mov_b32 v18, v31 :: v_dual_and_b32 v9, 0xff, v31
	v_mov_b32_e32 v8, 0
	s_mov_b32 s2, exec_lo
	s_delay_alu instid0(VALU_DEP_2)
	v_cmpx_ne_u16_e32 0, v9
	s_cbranch_execz .LBB466_1792
; %bb.1785:                             ;   in Loop: Header=BB466_8 Depth=1
	v_bfrev_b32_e32 v8, 1
	s_mov_b32 s18, exec_lo
	v_cmpx_ne_u16_e32 0x80, v9
	s_cbranch_execz .LBB466_1791
; %bb.1786:                             ;   in Loop: Header=BB466_8 Depth=1
	v_and_b32_e32 v9, 0x7f, v31
	v_mov_b32_e32 v8, 0x7f800001
	s_mov_b32 s19, exec_lo
	s_delay_alu instid0(VALU_DEP_2)
	v_cmpx_ne_u32_e32 0x7f, v9
	s_cbranch_execz .LBB466_1790
; %bb.1787:                             ;   in Loop: Header=BB466_8 Depth=1
	v_dual_mov_b32 v33, v19 :: v_dual_mov_b32 v32, v18
	v_lshrrev_b32_e32 v8, 3, v9
	s_mov_b32 s20, exec_lo
	v_cmpx_gt_u32_e32 8, v9
; %bb.1788:                             ;   in Loop: Header=BB466_8 Depth=1
	v_and_b32_e32 v8, 7, v31
	s_delay_alu instid0(VALU_DEP_1) | instskip(NEXT) | instid1(VALU_DEP_1)
	v_clz_i32_u32_e32 v8, v8
	v_min_u32_e32 v8, 32, v8
	s_delay_alu instid0(VALU_DEP_1) | instskip(SKIP_1) | instid1(VALU_DEP_2)
	v_subrev_nc_u32_e32 v9, 28, v8
	v_sub_nc_u32_e32 v8, 29, v8
	v_lshlrev_b64 v[32:33], v9, v[18:19]
; %bb.1789:                             ;   in Loop: Header=BB466_8 Depth=1
	s_or_b32 exec_lo, exec_lo, s20
	s_delay_alu instid0(VALU_DEP_1) | instskip(SKIP_2) | instid1(VALU_DEP_3)
	v_lshlrev_b32_e32 v9, 20, v32
	v_lshlrev_b32_e32 v13, 24, v18
	v_lshl_add_u32 v8, v8, 23, 0x3c000000
	v_and_b32_e32 v9, 0x700000, v9
	s_delay_alu instid0(VALU_DEP_3) | instskip(NEXT) | instid1(VALU_DEP_1)
	v_and_b32_e32 v13, 0x80000000, v13
	v_or3_b32 v8, v9, v13, v8
.LBB466_1790:                           ;   in Loop: Header=BB466_8 Depth=1
	s_or_b32 exec_lo, exec_lo, s19
.LBB466_1791:                           ;   in Loop: Header=BB466_8 Depth=1
	s_delay_alu instid0(SALU_CYCLE_1)
	s_or_b32 exec_lo, exec_lo, s18
.LBB466_1792:                           ;   in Loop: Header=BB466_8 Depth=1
	s_delay_alu instid0(SALU_CYCLE_1) | instskip(NEXT) | instid1(VALU_DEP_1)
	s_or_b32 exec_lo, exec_lo, s2
	v_mul_f32_e32 v8, v102, v8
                                        ; implicit-def: $vgpr50
	s_delay_alu instid0(VALU_DEP_1) | instskip(NEXT) | instid1(VALU_DEP_1)
	v_and_b32_e32 v9, 0x7f800000, v8
	v_cmp_ne_u32_e64 s1, 0x7f800000, v9
	s_delay_alu instid0(VALU_DEP_1) | instskip(NEXT) | instid1(SALU_CYCLE_1)
	s_and_saveexec_b32 s2, s1
	s_xor_b32 s1, exec_lo, s2
; %bb.1793:                             ;   in Loop: Header=BB466_8 Depth=1
	v_bfe_u32 v9, v8, 16, 1
	s_delay_alu instid0(VALU_DEP_1)
	v_add3_u32 v50, v8, v9, 0x7fff
                                        ; implicit-def: $vgpr8
; %bb.1794:                             ;   in Loop: Header=BB466_8 Depth=1
	s_and_not1_saveexec_b32 s2, s1
; %bb.1795:                             ;   in Loop: Header=BB466_8 Depth=1
	v_and_b32_e32 v9, 0xffff, v8
	v_or_b32_e32 v13, 0x10000, v8
	s_delay_alu instid0(VALU_DEP_2) | instskip(NEXT) | instid1(VALU_DEP_1)
	v_cmp_eq_u32_e64 s1, 0, v9
	v_cndmask_b32_e64 v50, v13, v8, s1
; %bb.1796:                             ;   in Loop: Header=BB466_8 Depth=1
	s_or_b32 exec_lo, exec_lo, s2
	v_lshrrev_b16 v9, 8, v18
	v_mov_b32_e32 v8, 0
	s_mov_b32 s2, exec_lo
	s_delay_alu instid0(VALU_DEP_2)
	v_cmpx_ne_u16_e32 0, v9
	s_cbranch_execz .LBB466_1804
; %bb.1797:                             ;   in Loop: Header=BB466_8 Depth=1
	v_bfrev_b32_e32 v8, 1
	s_mov_b32 s18, exec_lo
	v_cmpx_ne_u16_e32 0x80, v9
	s_cbranch_execz .LBB466_1803
; %bb.1798:                             ;   in Loop: Header=BB466_8 Depth=1
	v_and_b32_e32 v13, 0xffff, v9
	v_mov_b32_e32 v8, 0x7f800001
	s_mov_b32 s19, exec_lo
	s_delay_alu instid0(VALU_DEP_2) | instskip(NEXT) | instid1(VALU_DEP_1)
	v_and_b32_e32 v9, 0x7f, v13
	v_cmpx_ne_u32_e32 0x7f, v9
	s_cbranch_execz .LBB466_1802
; %bb.1799:                             ;   in Loop: Header=BB466_8 Depth=1
	v_dual_mov_b32 v33, v19 :: v_dual_and_b32 v32, 7, v13
	v_lshrrev_b32_e32 v8, 3, v9
	s_mov_b32 s20, exec_lo
	v_cmpx_gt_u32_e32 8, v9
; %bb.1800:                             ;   in Loop: Header=BB466_8 Depth=1
	s_delay_alu instid0(VALU_DEP_3) | instskip(NEXT) | instid1(VALU_DEP_1)
	v_clz_i32_u32_e32 v8, v32
	v_min_u32_e32 v8, 32, v8
	s_delay_alu instid0(VALU_DEP_1) | instskip(SKIP_1) | instid1(VALU_DEP_2)
	v_subrev_nc_u32_e32 v9, 28, v8
	v_sub_nc_u32_e32 v8, 29, v8
	v_lshlrev_b64 v[24:25], v9, v[32:33]
	s_delay_alu instid0(VALU_DEP_1)
	v_and_b32_e32 v32, 7, v24
; %bb.1801:                             ;   in Loop: Header=BB466_8 Depth=1
	s_or_b32 exec_lo, exec_lo, s20
	v_lshlrev_b32_e32 v9, 16, v18
	s_delay_alu instid0(VALU_DEP_2) | instskip(SKIP_1) | instid1(VALU_DEP_3)
	v_lshlrev_b32_e32 v13, 20, v32
	v_lshl_add_u32 v8, v8, 23, 0x3c000000
	v_and_b32_e32 v9, 0x80000000, v9
	s_delay_alu instid0(VALU_DEP_1)
	v_or3_b32 v8, v13, v9, v8
.LBB466_1802:                           ;   in Loop: Header=BB466_8 Depth=1
	s_or_b32 exec_lo, exec_lo, s19
.LBB466_1803:                           ;   in Loop: Header=BB466_8 Depth=1
	s_delay_alu instid0(SALU_CYCLE_1)
	s_or_b32 exec_lo, exec_lo, s18
.LBB466_1804:                           ;   in Loop: Header=BB466_8 Depth=1
	s_delay_alu instid0(SALU_CYCLE_1) | instskip(NEXT) | instid1(VALU_DEP_1)
	s_or_b32 exec_lo, exec_lo, s2
	v_mul_f32_e32 v8, v102, v8
                                        ; implicit-def: $vgpr51
	s_delay_alu instid0(VALU_DEP_1) | instskip(NEXT) | instid1(VALU_DEP_1)
	v_and_b32_e32 v9, 0x7f800000, v8
	v_cmp_ne_u32_e64 s1, 0x7f800000, v9
	s_delay_alu instid0(VALU_DEP_1) | instskip(NEXT) | instid1(SALU_CYCLE_1)
	s_and_saveexec_b32 s2, s1
	s_xor_b32 s1, exec_lo, s2
; %bb.1805:                             ;   in Loop: Header=BB466_8 Depth=1
	v_bfe_u32 v9, v8, 16, 1
	s_delay_alu instid0(VALU_DEP_1)
	v_add3_u32 v51, v8, v9, 0x7fff
                                        ; implicit-def: $vgpr8
; %bb.1806:                             ;   in Loop: Header=BB466_8 Depth=1
	s_and_not1_saveexec_b32 s2, s1
; %bb.1807:                             ;   in Loop: Header=BB466_8 Depth=1
	v_and_b32_e32 v9, 0xffff, v8
	v_or_b32_e32 v13, 0x10000, v8
	s_delay_alu instid0(VALU_DEP_2) | instskip(NEXT) | instid1(VALU_DEP_1)
	v_cmp_eq_u32_e64 s1, 0, v9
	v_cndmask_b32_e64 v51, v13, v8, s1
; %bb.1808:                             ;   in Loop: Header=BB466_8 Depth=1
	s_or_b32 exec_lo, exec_lo, s2
	v_lshrrev_b32_e32 v8, 16, v31
	v_mov_b32_e32 v9, 0
	s_mov_b32 s2, exec_lo
	s_delay_alu instid0(VALU_DEP_2) | instskip(NEXT) | instid1(VALU_DEP_1)
	v_and_b32_e32 v13, 0xff, v8
	v_cmpx_ne_u16_e32 0, v13
	s_cbranch_execz .LBB466_1816
; %bb.1809:                             ;   in Loop: Header=BB466_8 Depth=1
	v_bfrev_b32_e32 v9, 1
	s_mov_b32 s18, exec_lo
	v_cmpx_ne_u16_e32 0x80, v13
	s_cbranch_execz .LBB466_1815
; %bb.1810:                             ;   in Loop: Header=BB466_8 Depth=1
	v_bfe_u32 v13, v31, 16, 7
	v_mov_b32_e32 v9, 0x7f800001
	s_mov_b32 s19, exec_lo
	s_delay_alu instid0(VALU_DEP_2)
	v_cmpx_ne_u32_e32 0x7f, v13
	s_cbranch_execz .LBB466_1814
; %bb.1811:                             ;   in Loop: Header=BB466_8 Depth=1
	v_and_b32_e32 v18, 7, v8
	v_mov_b32_e32 v33, v19
	v_lshrrev_b32_e32 v9, 3, v13
	s_mov_b32 s20, exec_lo
	s_delay_alu instid0(VALU_DEP_3)
	v_mov_b32_e32 v32, v18
	v_cmpx_gt_u32_e32 8, v13
; %bb.1812:                             ;   in Loop: Header=BB466_8 Depth=1
	v_clz_i32_u32_e32 v9, v18
	s_delay_alu instid0(VALU_DEP_1) | instskip(NEXT) | instid1(VALU_DEP_1)
	v_min_u32_e32 v9, 32, v9
	v_subrev_nc_u32_e32 v13, 28, v9
	v_sub_nc_u32_e32 v9, 29, v9
	s_delay_alu instid0(VALU_DEP_2) | instskip(NEXT) | instid1(VALU_DEP_1)
	v_lshlrev_b64 v[24:25], v13, v[18:19]
	v_and_b32_e32 v32, 7, v24
; %bb.1813:                             ;   in Loop: Header=BB466_8 Depth=1
	s_or_b32 exec_lo, exec_lo, s20
	v_lshlrev_b32_e32 v8, 24, v8
	s_delay_alu instid0(VALU_DEP_2) | instskip(SKIP_1) | instid1(VALU_DEP_3)
	v_lshlrev_b32_e32 v13, 20, v32
	v_lshl_add_u32 v9, v9, 23, 0x3c000000
	v_and_b32_e32 v8, 0x80000000, v8
	s_delay_alu instid0(VALU_DEP_1)
	v_or3_b32 v9, v13, v8, v9
.LBB466_1814:                           ;   in Loop: Header=BB466_8 Depth=1
	s_or_b32 exec_lo, exec_lo, s19
.LBB466_1815:                           ;   in Loop: Header=BB466_8 Depth=1
	s_delay_alu instid0(SALU_CYCLE_1)
	s_or_b32 exec_lo, exec_lo, s18
.LBB466_1816:                           ;   in Loop: Header=BB466_8 Depth=1
	s_delay_alu instid0(SALU_CYCLE_1) | instskip(NEXT) | instid1(VALU_DEP_1)
	s_or_b32 exec_lo, exec_lo, s2
	v_mul_f32_e32 v8, v102, v9
                                        ; implicit-def: $vgpr52
	s_delay_alu instid0(VALU_DEP_1) | instskip(NEXT) | instid1(VALU_DEP_1)
	v_and_b32_e32 v9, 0x7f800000, v8
	v_cmp_ne_u32_e64 s1, 0x7f800000, v9
	s_delay_alu instid0(VALU_DEP_1) | instskip(NEXT) | instid1(SALU_CYCLE_1)
	s_and_saveexec_b32 s2, s1
	s_xor_b32 s1, exec_lo, s2
; %bb.1817:                             ;   in Loop: Header=BB466_8 Depth=1
	v_bfe_u32 v9, v8, 16, 1
	s_delay_alu instid0(VALU_DEP_1)
	v_add3_u32 v52, v8, v9, 0x7fff
                                        ; implicit-def: $vgpr8
; %bb.1818:                             ;   in Loop: Header=BB466_8 Depth=1
	s_and_not1_saveexec_b32 s2, s1
; %bb.1819:                             ;   in Loop: Header=BB466_8 Depth=1
	v_and_b32_e32 v9, 0xffff, v8
	v_or_b32_e32 v13, 0x10000, v8
	s_delay_alu instid0(VALU_DEP_2) | instskip(NEXT) | instid1(VALU_DEP_1)
	v_cmp_eq_u32_e64 s1, 0, v9
	v_cndmask_b32_e64 v52, v13, v8, s1
; %bb.1820:                             ;   in Loop: Header=BB466_8 Depth=1
	s_or_b32 exec_lo, exec_lo, s2
	v_mov_b32_e32 v9, 0
	s_mov_b32 s2, exec_lo
	v_cmpx_lt_u64_e64 s[8:9], v[30:31]
	s_cbranch_execz .LBB466_1828
; %bb.1821:                             ;   in Loop: Header=BB466_8 Depth=1
	v_lshrrev_b32_e32 v8, 24, v31
	v_bfrev_b32_e32 v9, 1
	s_mov_b32 s18, exec_lo
	s_delay_alu instid0(VALU_DEP_2)
	v_cmpx_ne_u32_e32 0x80, v8
	s_cbranch_execz .LBB466_1827
; %bb.1822:                             ;   in Loop: Header=BB466_8 Depth=1
	v_bfe_u32 v13, v31, 24, 7
	v_mov_b32_e32 v9, 0x7f800001
	s_mov_b32 s19, exec_lo
	s_delay_alu instid0(VALU_DEP_2)
	v_cmpx_ne_u32_e32 0x7f, v13
	s_cbranch_execz .LBB466_1826
; %bb.1823:                             ;   in Loop: Header=BB466_8 Depth=1
	v_and_b32_e32 v18, 7, v8
	v_mov_b32_e32 v31, v19
	v_lshrrev_b32_e32 v9, 3, v13
	s_mov_b32 s20, exec_lo
	s_delay_alu instid0(VALU_DEP_3)
	v_mov_b32_e32 v30, v18
	v_cmpx_gt_u32_e32 8, v13
; %bb.1824:                             ;   in Loop: Header=BB466_8 Depth=1
	v_clz_i32_u32_e32 v9, v18
	s_delay_alu instid0(VALU_DEP_1) | instskip(NEXT) | instid1(VALU_DEP_1)
	v_min_u32_e32 v9, 32, v9
	v_subrev_nc_u32_e32 v13, 28, v9
	v_sub_nc_u32_e32 v9, 29, v9
	s_delay_alu instid0(VALU_DEP_2) | instskip(NEXT) | instid1(VALU_DEP_1)
	v_lshlrev_b64 v[24:25], v13, v[18:19]
	v_and_b32_e32 v30, 7, v24
; %bb.1825:                             ;   in Loop: Header=BB466_8 Depth=1
	s_or_b32 exec_lo, exec_lo, s20
	v_lshlrev_b32_e32 v8, 24, v8
	s_delay_alu instid0(VALU_DEP_2) | instskip(SKIP_1) | instid1(VALU_DEP_3)
	v_lshlrev_b32_e32 v13, 20, v30
	v_lshl_add_u32 v9, v9, 23, 0x3c000000
	v_and_b32_e32 v8, 0x80000000, v8
	s_delay_alu instid0(VALU_DEP_1)
	v_or3_b32 v9, v13, v8, v9
.LBB466_1826:                           ;   in Loop: Header=BB466_8 Depth=1
	s_or_b32 exec_lo, exec_lo, s19
.LBB466_1827:                           ;   in Loop: Header=BB466_8 Depth=1
	s_delay_alu instid0(SALU_CYCLE_1)
	s_or_b32 exec_lo, exec_lo, s18
.LBB466_1828:                           ;   in Loop: Header=BB466_8 Depth=1
	s_delay_alu instid0(SALU_CYCLE_1) | instskip(NEXT) | instid1(VALU_DEP_1)
	s_or_b32 exec_lo, exec_lo, s2
	v_mul_f32_e32 v8, v102, v9
                                        ; implicit-def: $vgpr53
	s_delay_alu instid0(VALU_DEP_1) | instskip(NEXT) | instid1(VALU_DEP_1)
	v_and_b32_e32 v9, 0x7f800000, v8
	v_cmp_ne_u32_e64 s1, 0x7f800000, v9
	s_delay_alu instid0(VALU_DEP_1) | instskip(NEXT) | instid1(SALU_CYCLE_1)
	s_and_saveexec_b32 s2, s1
	s_xor_b32 s1, exec_lo, s2
; %bb.1829:                             ;   in Loop: Header=BB466_8 Depth=1
	v_bfe_u32 v9, v8, 16, 1
	s_delay_alu instid0(VALU_DEP_1)
	v_add3_u32 v53, v8, v9, 0x7fff
                                        ; implicit-def: $vgpr8
; %bb.1830:                             ;   in Loop: Header=BB466_8 Depth=1
	s_and_not1_saveexec_b32 s2, s1
; %bb.1831:                             ;   in Loop: Header=BB466_8 Depth=1
	v_and_b32_e32 v9, 0xffff, v8
	v_or_b32_e32 v13, 0x10000, v8
	s_delay_alu instid0(VALU_DEP_2) | instskip(NEXT) | instid1(VALU_DEP_1)
	v_cmp_eq_u32_e64 s1, 0, v9
	v_cndmask_b32_e64 v53, v13, v8, s1
; %bb.1832:                             ;   in Loop: Header=BB466_8 Depth=1
	s_or_b32 exec_lo, exec_lo, s2
	flat_load_b64 v[30:31], v[28:29] offset:520
	s_mov_b32 s2, exec_lo
	s_waitcnt vmcnt(0) lgkmcnt(0)
	v_dual_mov_b32 v8, 0 :: v_dual_and_b32 v9, 0xff, v30
	s_delay_alu instid0(VALU_DEP_1)
	v_cmpx_ne_u16_e32 0, v9
	s_cbranch_execz .LBB466_1840
; %bb.1833:                             ;   in Loop: Header=BB466_8 Depth=1
	v_bfrev_b32_e32 v8, 1
	s_mov_b32 s18, exec_lo
	v_cmpx_ne_u16_e32 0x80, v9
	s_cbranch_execz .LBB466_1839
; %bb.1834:                             ;   in Loop: Header=BB466_8 Depth=1
	v_and_b32_e32 v9, 0x7f, v30
	v_mov_b32_e32 v8, 0x7f800001
	s_mov_b32 s19, exec_lo
	s_delay_alu instid0(VALU_DEP_2)
	v_cmpx_ne_u32_e32 0x7f, v9
	s_cbranch_execz .LBB466_1838
; %bb.1835:                             ;   in Loop: Header=BB466_8 Depth=1
	v_lshrrev_b32_e32 v8, 3, v9
	v_dual_mov_b32 v33, v31 :: v_dual_mov_b32 v32, v30
	s_mov_b32 s20, exec_lo
	v_cmpx_gt_u32_e32 8, v9
; %bb.1836:                             ;   in Loop: Header=BB466_8 Depth=1
	v_and_b32_e32 v8, 7, v30
	s_delay_alu instid0(VALU_DEP_1) | instskip(NEXT) | instid1(VALU_DEP_1)
	v_clz_i32_u32_e32 v8, v8
	v_min_u32_e32 v8, 32, v8
	s_delay_alu instid0(VALU_DEP_1) | instskip(SKIP_1) | instid1(VALU_DEP_2)
	v_subrev_nc_u32_e32 v9, 28, v8
	v_sub_nc_u32_e32 v8, 29, v8
	v_lshlrev_b64 v[32:33], v9, v[30:31]
; %bb.1837:                             ;   in Loop: Header=BB466_8 Depth=1
	s_or_b32 exec_lo, exec_lo, s20
	s_delay_alu instid0(VALU_DEP_1) | instskip(SKIP_2) | instid1(VALU_DEP_3)
	v_lshlrev_b32_e32 v9, 20, v32
	v_lshlrev_b32_e32 v13, 24, v30
	v_lshl_add_u32 v8, v8, 23, 0x3c000000
	v_and_b32_e32 v9, 0x700000, v9
	s_delay_alu instid0(VALU_DEP_3) | instskip(NEXT) | instid1(VALU_DEP_1)
	v_and_b32_e32 v13, 0x80000000, v13
	v_or3_b32 v8, v9, v13, v8
.LBB466_1838:                           ;   in Loop: Header=BB466_8 Depth=1
	s_or_b32 exec_lo, exec_lo, s19
.LBB466_1839:                           ;   in Loop: Header=BB466_8 Depth=1
	s_delay_alu instid0(SALU_CYCLE_1)
	s_or_b32 exec_lo, exec_lo, s18
.LBB466_1840:                           ;   in Loop: Header=BB466_8 Depth=1
	s_delay_alu instid0(SALU_CYCLE_1) | instskip(NEXT) | instid1(VALU_DEP_1)
	s_or_b32 exec_lo, exec_lo, s2
	v_mul_f32_e32 v8, v102, v8
                                        ; implicit-def: $vgpr54
	s_delay_alu instid0(VALU_DEP_1) | instskip(NEXT) | instid1(VALU_DEP_1)
	v_and_b32_e32 v9, 0x7f800000, v8
	v_cmp_ne_u32_e64 s1, 0x7f800000, v9
	s_delay_alu instid0(VALU_DEP_1) | instskip(NEXT) | instid1(SALU_CYCLE_1)
	s_and_saveexec_b32 s2, s1
	s_xor_b32 s1, exec_lo, s2
; %bb.1841:                             ;   in Loop: Header=BB466_8 Depth=1
	v_bfe_u32 v9, v8, 16, 1
	s_delay_alu instid0(VALU_DEP_1)
	v_add3_u32 v54, v8, v9, 0x7fff
                                        ; implicit-def: $vgpr8
; %bb.1842:                             ;   in Loop: Header=BB466_8 Depth=1
	s_and_not1_saveexec_b32 s2, s1
; %bb.1843:                             ;   in Loop: Header=BB466_8 Depth=1
	v_and_b32_e32 v9, 0xffff, v8
	v_or_b32_e32 v13, 0x10000, v8
	s_delay_alu instid0(VALU_DEP_2) | instskip(NEXT) | instid1(VALU_DEP_1)
	v_cmp_eq_u32_e64 s1, 0, v9
	v_cndmask_b32_e64 v54, v13, v8, s1
; %bb.1844:                             ;   in Loop: Header=BB466_8 Depth=1
	s_or_b32 exec_lo, exec_lo, s2
	v_lshrrev_b16 v9, 8, v30
	v_mov_b32_e32 v8, 0
	s_mov_b32 s2, exec_lo
	s_delay_alu instid0(VALU_DEP_2)
	v_cmpx_ne_u16_e32 0, v9
	s_cbranch_execz .LBB466_1852
; %bb.1845:                             ;   in Loop: Header=BB466_8 Depth=1
	v_bfrev_b32_e32 v8, 1
	s_mov_b32 s18, exec_lo
	v_cmpx_ne_u16_e32 0x80, v9
	s_cbranch_execz .LBB466_1851
; %bb.1846:                             ;   in Loop: Header=BB466_8 Depth=1
	v_and_b32_e32 v13, 0xffff, v9
	v_mov_b32_e32 v8, 0x7f800001
	s_mov_b32 s19, exec_lo
	s_delay_alu instid0(VALU_DEP_2) | instskip(NEXT) | instid1(VALU_DEP_1)
	v_and_b32_e32 v9, 0x7f, v13
	v_cmpx_ne_u32_e32 0x7f, v9
	s_cbranch_execz .LBB466_1850
; %bb.1847:                             ;   in Loop: Header=BB466_8 Depth=1
	v_and_b32_e32 v18, 7, v13
	v_mov_b32_e32 v33, v19
	v_lshrrev_b32_e32 v8, 3, v9
	s_mov_b32 s20, exec_lo
	s_delay_alu instid0(VALU_DEP_3)
	v_mov_b32_e32 v32, v18
	v_cmpx_gt_u32_e32 8, v9
; %bb.1848:                             ;   in Loop: Header=BB466_8 Depth=1
	v_clz_i32_u32_e32 v8, v18
	s_delay_alu instid0(VALU_DEP_1) | instskip(NEXT) | instid1(VALU_DEP_1)
	v_min_u32_e32 v8, 32, v8
	v_subrev_nc_u32_e32 v9, 28, v8
	v_sub_nc_u32_e32 v8, 29, v8
	s_delay_alu instid0(VALU_DEP_2) | instskip(NEXT) | instid1(VALU_DEP_1)
	v_lshlrev_b64 v[24:25], v9, v[18:19]
	v_and_b32_e32 v32, 7, v24
; %bb.1849:                             ;   in Loop: Header=BB466_8 Depth=1
	s_or_b32 exec_lo, exec_lo, s20
	v_lshlrev_b32_e32 v9, 16, v30
	s_delay_alu instid0(VALU_DEP_2) | instskip(SKIP_1) | instid1(VALU_DEP_3)
	v_lshlrev_b32_e32 v13, 20, v32
	v_lshl_add_u32 v8, v8, 23, 0x3c000000
	v_and_b32_e32 v9, 0x80000000, v9
	s_delay_alu instid0(VALU_DEP_1)
	v_or3_b32 v8, v13, v9, v8
.LBB466_1850:                           ;   in Loop: Header=BB466_8 Depth=1
	s_or_b32 exec_lo, exec_lo, s19
.LBB466_1851:                           ;   in Loop: Header=BB466_8 Depth=1
	s_delay_alu instid0(SALU_CYCLE_1)
	s_or_b32 exec_lo, exec_lo, s18
.LBB466_1852:                           ;   in Loop: Header=BB466_8 Depth=1
	s_delay_alu instid0(SALU_CYCLE_1) | instskip(NEXT) | instid1(VALU_DEP_1)
	s_or_b32 exec_lo, exec_lo, s2
	v_mul_f32_e32 v8, v102, v8
                                        ; implicit-def: $vgpr55
	s_delay_alu instid0(VALU_DEP_1) | instskip(NEXT) | instid1(VALU_DEP_1)
	v_and_b32_e32 v9, 0x7f800000, v8
	v_cmp_ne_u32_e64 s1, 0x7f800000, v9
	s_delay_alu instid0(VALU_DEP_1) | instskip(NEXT) | instid1(SALU_CYCLE_1)
	s_and_saveexec_b32 s2, s1
	s_xor_b32 s1, exec_lo, s2
; %bb.1853:                             ;   in Loop: Header=BB466_8 Depth=1
	v_bfe_u32 v9, v8, 16, 1
	s_delay_alu instid0(VALU_DEP_1)
	v_add3_u32 v55, v8, v9, 0x7fff
                                        ; implicit-def: $vgpr8
; %bb.1854:                             ;   in Loop: Header=BB466_8 Depth=1
	s_and_not1_saveexec_b32 s2, s1
; %bb.1855:                             ;   in Loop: Header=BB466_8 Depth=1
	v_and_b32_e32 v9, 0xffff, v8
	v_or_b32_e32 v13, 0x10000, v8
	s_delay_alu instid0(VALU_DEP_2) | instskip(NEXT) | instid1(VALU_DEP_1)
	v_cmp_eq_u32_e64 s1, 0, v9
	v_cndmask_b32_e64 v55, v13, v8, s1
; %bb.1856:                             ;   in Loop: Header=BB466_8 Depth=1
	s_or_b32 exec_lo, exec_lo, s2
	v_lshrrev_b32_e32 v8, 16, v30
	v_mov_b32_e32 v9, 0
	s_mov_b32 s2, exec_lo
	s_delay_alu instid0(VALU_DEP_2) | instskip(NEXT) | instid1(VALU_DEP_1)
	v_and_b32_e32 v13, 0xff, v8
	v_cmpx_ne_u16_e32 0, v13
	s_cbranch_execz .LBB466_1864
; %bb.1857:                             ;   in Loop: Header=BB466_8 Depth=1
	v_bfrev_b32_e32 v9, 1
	s_mov_b32 s18, exec_lo
	v_cmpx_ne_u16_e32 0x80, v13
	s_cbranch_execz .LBB466_1863
; %bb.1858:                             ;   in Loop: Header=BB466_8 Depth=1
	v_bfe_u32 v13, v30, 16, 7
	v_mov_b32_e32 v9, 0x7f800001
	s_mov_b32 s19, exec_lo
	s_delay_alu instid0(VALU_DEP_2)
	v_cmpx_ne_u32_e32 0x7f, v13
	s_cbranch_execz .LBB466_1862
; %bb.1859:                             ;   in Loop: Header=BB466_8 Depth=1
	v_and_b32_e32 v18, 7, v8
	v_mov_b32_e32 v33, v19
	v_lshrrev_b32_e32 v9, 3, v13
	s_mov_b32 s20, exec_lo
	s_delay_alu instid0(VALU_DEP_3)
	v_mov_b32_e32 v32, v18
	v_cmpx_gt_u32_e32 8, v13
; %bb.1860:                             ;   in Loop: Header=BB466_8 Depth=1
	v_clz_i32_u32_e32 v9, v18
	s_delay_alu instid0(VALU_DEP_1) | instskip(NEXT) | instid1(VALU_DEP_1)
	v_min_u32_e32 v9, 32, v9
	v_subrev_nc_u32_e32 v13, 28, v9
	v_sub_nc_u32_e32 v9, 29, v9
	s_delay_alu instid0(VALU_DEP_2) | instskip(NEXT) | instid1(VALU_DEP_1)
	v_lshlrev_b64 v[24:25], v13, v[18:19]
	v_and_b32_e32 v32, 7, v24
; %bb.1861:                             ;   in Loop: Header=BB466_8 Depth=1
	s_or_b32 exec_lo, exec_lo, s20
	v_lshlrev_b32_e32 v8, 24, v8
	s_delay_alu instid0(VALU_DEP_2) | instskip(SKIP_1) | instid1(VALU_DEP_3)
	v_lshlrev_b32_e32 v13, 20, v32
	v_lshl_add_u32 v9, v9, 23, 0x3c000000
	v_and_b32_e32 v8, 0x80000000, v8
	s_delay_alu instid0(VALU_DEP_1)
	v_or3_b32 v9, v13, v8, v9
.LBB466_1862:                           ;   in Loop: Header=BB466_8 Depth=1
	s_or_b32 exec_lo, exec_lo, s19
.LBB466_1863:                           ;   in Loop: Header=BB466_8 Depth=1
	s_delay_alu instid0(SALU_CYCLE_1)
	s_or_b32 exec_lo, exec_lo, s18
.LBB466_1864:                           ;   in Loop: Header=BB466_8 Depth=1
	s_delay_alu instid0(SALU_CYCLE_1) | instskip(NEXT) | instid1(VALU_DEP_1)
	s_or_b32 exec_lo, exec_lo, s2
	v_mul_f32_e32 v8, v102, v9
                                        ; implicit-def: $vgpr64
	s_delay_alu instid0(VALU_DEP_1) | instskip(NEXT) | instid1(VALU_DEP_1)
	v_and_b32_e32 v9, 0x7f800000, v8
	v_cmp_ne_u32_e64 s1, 0x7f800000, v9
	s_delay_alu instid0(VALU_DEP_1) | instskip(NEXT) | instid1(SALU_CYCLE_1)
	s_and_saveexec_b32 s2, s1
	s_xor_b32 s1, exec_lo, s2
; %bb.1865:                             ;   in Loop: Header=BB466_8 Depth=1
	v_bfe_u32 v9, v8, 16, 1
	s_delay_alu instid0(VALU_DEP_1)
	v_add3_u32 v64, v8, v9, 0x7fff
                                        ; implicit-def: $vgpr8
; %bb.1866:                             ;   in Loop: Header=BB466_8 Depth=1
	s_and_not1_saveexec_b32 s2, s1
; %bb.1867:                             ;   in Loop: Header=BB466_8 Depth=1
	v_and_b32_e32 v9, 0xffff, v8
	v_or_b32_e32 v13, 0x10000, v8
	s_delay_alu instid0(VALU_DEP_2) | instskip(NEXT) | instid1(VALU_DEP_1)
	v_cmp_eq_u32_e64 s1, 0, v9
	v_cndmask_b32_e64 v64, v13, v8, s1
; %bb.1868:                             ;   in Loop: Header=BB466_8 Depth=1
	s_or_b32 exec_lo, exec_lo, s2
	v_mov_b32_e32 v9, 0
	s_mov_b32 s2, exec_lo
	v_cmpx_lt_u32_e32 0xffffff, v30
	s_cbranch_execz .LBB466_1876
; %bb.1869:                             ;   in Loop: Header=BB466_8 Depth=1
	v_lshrrev_b32_e32 v8, 24, v30
	v_bfrev_b32_e32 v9, 1
	s_mov_b32 s18, exec_lo
	s_delay_alu instid0(VALU_DEP_2)
	v_cmpx_ne_u32_e32 0x80, v8
	s_cbranch_execz .LBB466_1875
; %bb.1870:                             ;   in Loop: Header=BB466_8 Depth=1
	v_bfe_u32 v13, v30, 24, 7
	v_mov_b32_e32 v9, 0x7f800001
	s_mov_b32 s19, exec_lo
	s_delay_alu instid0(VALU_DEP_2)
	v_cmpx_ne_u32_e32 0x7f, v13
	s_cbranch_execz .LBB466_1874
; %bb.1871:                             ;   in Loop: Header=BB466_8 Depth=1
	v_and_b32_e32 v18, 7, v8
	v_mov_b32_e32 v33, v19
	v_lshrrev_b32_e32 v9, 3, v13
	s_mov_b32 s20, exec_lo
	s_delay_alu instid0(VALU_DEP_3)
	v_mov_b32_e32 v32, v18
	v_cmpx_gt_u32_e32 8, v13
; %bb.1872:                             ;   in Loop: Header=BB466_8 Depth=1
	v_clz_i32_u32_e32 v9, v18
	s_delay_alu instid0(VALU_DEP_1) | instskip(NEXT) | instid1(VALU_DEP_1)
	v_min_u32_e32 v9, 32, v9
	v_subrev_nc_u32_e32 v13, 28, v9
	v_sub_nc_u32_e32 v9, 29, v9
	s_delay_alu instid0(VALU_DEP_2) | instskip(NEXT) | instid1(VALU_DEP_1)
	v_lshlrev_b64 v[24:25], v13, v[18:19]
	v_and_b32_e32 v32, 7, v24
; %bb.1873:                             ;   in Loop: Header=BB466_8 Depth=1
	s_or_b32 exec_lo, exec_lo, s20
	v_lshlrev_b32_e32 v8, 24, v8
	s_delay_alu instid0(VALU_DEP_2) | instskip(SKIP_1) | instid1(VALU_DEP_3)
	v_lshlrev_b32_e32 v13, 20, v32
	v_lshl_add_u32 v9, v9, 23, 0x3c000000
	v_and_b32_e32 v8, 0x80000000, v8
	s_delay_alu instid0(VALU_DEP_1)
	v_or3_b32 v9, v13, v8, v9
.LBB466_1874:                           ;   in Loop: Header=BB466_8 Depth=1
	s_or_b32 exec_lo, exec_lo, s19
.LBB466_1875:                           ;   in Loop: Header=BB466_8 Depth=1
	s_delay_alu instid0(SALU_CYCLE_1)
	s_or_b32 exec_lo, exec_lo, s18
.LBB466_1876:                           ;   in Loop: Header=BB466_8 Depth=1
	s_delay_alu instid0(SALU_CYCLE_1) | instskip(NEXT) | instid1(VALU_DEP_1)
	s_or_b32 exec_lo, exec_lo, s2
	v_mul_f32_e32 v8, v102, v9
                                        ; implicit-def: $vgpr65
	s_delay_alu instid0(VALU_DEP_1) | instskip(NEXT) | instid1(VALU_DEP_1)
	v_and_b32_e32 v9, 0x7f800000, v8
	v_cmp_ne_u32_e64 s1, 0x7f800000, v9
	s_delay_alu instid0(VALU_DEP_1) | instskip(NEXT) | instid1(SALU_CYCLE_1)
	s_and_saveexec_b32 s2, s1
	s_xor_b32 s1, exec_lo, s2
; %bb.1877:                             ;   in Loop: Header=BB466_8 Depth=1
	v_bfe_u32 v9, v8, 16, 1
	s_delay_alu instid0(VALU_DEP_1)
	v_add3_u32 v65, v8, v9, 0x7fff
                                        ; implicit-def: $vgpr8
; %bb.1878:                             ;   in Loop: Header=BB466_8 Depth=1
	s_and_not1_saveexec_b32 s2, s1
; %bb.1879:                             ;   in Loop: Header=BB466_8 Depth=1
	v_and_b32_e32 v9, 0xffff, v8
	v_or_b32_e32 v13, 0x10000, v8
	s_delay_alu instid0(VALU_DEP_2) | instskip(NEXT) | instid1(VALU_DEP_1)
	v_cmp_eq_u32_e64 s1, 0, v9
	v_cndmask_b32_e64 v65, v13, v8, s1
; %bb.1880:                             ;   in Loop: Header=BB466_8 Depth=1
	s_or_b32 exec_lo, exec_lo, s2
	v_dual_mov_b32 v18, v31 :: v_dual_and_b32 v9, 0xff, v31
	v_mov_b32_e32 v8, 0
	s_mov_b32 s2, exec_lo
	s_delay_alu instid0(VALU_DEP_2)
	v_cmpx_ne_u16_e32 0, v9
	s_cbranch_execz .LBB466_1888
; %bb.1881:                             ;   in Loop: Header=BB466_8 Depth=1
	v_bfrev_b32_e32 v8, 1
	s_mov_b32 s18, exec_lo
	v_cmpx_ne_u16_e32 0x80, v9
	s_cbranch_execz .LBB466_1887
; %bb.1882:                             ;   in Loop: Header=BB466_8 Depth=1
	v_and_b32_e32 v9, 0x7f, v31
	v_mov_b32_e32 v8, 0x7f800001
	s_mov_b32 s19, exec_lo
	s_delay_alu instid0(VALU_DEP_2)
	v_cmpx_ne_u32_e32 0x7f, v9
	s_cbranch_execz .LBB466_1886
; %bb.1883:                             ;   in Loop: Header=BB466_8 Depth=1
	v_dual_mov_b32 v33, v19 :: v_dual_mov_b32 v32, v18
	v_lshrrev_b32_e32 v8, 3, v9
	s_mov_b32 s20, exec_lo
	v_cmpx_gt_u32_e32 8, v9
; %bb.1884:                             ;   in Loop: Header=BB466_8 Depth=1
	v_and_b32_e32 v8, 7, v31
	s_delay_alu instid0(VALU_DEP_1) | instskip(NEXT) | instid1(VALU_DEP_1)
	v_clz_i32_u32_e32 v8, v8
	v_min_u32_e32 v8, 32, v8
	s_delay_alu instid0(VALU_DEP_1) | instskip(SKIP_1) | instid1(VALU_DEP_2)
	v_subrev_nc_u32_e32 v9, 28, v8
	v_sub_nc_u32_e32 v8, 29, v8
	v_lshlrev_b64 v[32:33], v9, v[18:19]
; %bb.1885:                             ;   in Loop: Header=BB466_8 Depth=1
	s_or_b32 exec_lo, exec_lo, s20
	s_delay_alu instid0(VALU_DEP_1) | instskip(SKIP_2) | instid1(VALU_DEP_3)
	v_lshlrev_b32_e32 v9, 20, v32
	v_lshlrev_b32_e32 v13, 24, v18
	v_lshl_add_u32 v8, v8, 23, 0x3c000000
	v_and_b32_e32 v9, 0x700000, v9
	s_delay_alu instid0(VALU_DEP_3) | instskip(NEXT) | instid1(VALU_DEP_1)
	v_and_b32_e32 v13, 0x80000000, v13
	v_or3_b32 v8, v9, v13, v8
.LBB466_1886:                           ;   in Loop: Header=BB466_8 Depth=1
	s_or_b32 exec_lo, exec_lo, s19
.LBB466_1887:                           ;   in Loop: Header=BB466_8 Depth=1
	s_delay_alu instid0(SALU_CYCLE_1)
	s_or_b32 exec_lo, exec_lo, s18
.LBB466_1888:                           ;   in Loop: Header=BB466_8 Depth=1
	s_delay_alu instid0(SALU_CYCLE_1) | instskip(NEXT) | instid1(VALU_DEP_1)
	s_or_b32 exec_lo, exec_lo, s2
	v_mul_f32_e32 v8, v102, v8
                                        ; implicit-def: $vgpr66
	s_delay_alu instid0(VALU_DEP_1) | instskip(NEXT) | instid1(VALU_DEP_1)
	v_and_b32_e32 v9, 0x7f800000, v8
	v_cmp_ne_u32_e64 s1, 0x7f800000, v9
	s_delay_alu instid0(VALU_DEP_1) | instskip(NEXT) | instid1(SALU_CYCLE_1)
	s_and_saveexec_b32 s2, s1
	s_xor_b32 s1, exec_lo, s2
; %bb.1889:                             ;   in Loop: Header=BB466_8 Depth=1
	v_bfe_u32 v9, v8, 16, 1
	s_delay_alu instid0(VALU_DEP_1)
	v_add3_u32 v66, v8, v9, 0x7fff
                                        ; implicit-def: $vgpr8
; %bb.1890:                             ;   in Loop: Header=BB466_8 Depth=1
	s_and_not1_saveexec_b32 s2, s1
; %bb.1891:                             ;   in Loop: Header=BB466_8 Depth=1
	v_and_b32_e32 v9, 0xffff, v8
	v_or_b32_e32 v13, 0x10000, v8
	s_delay_alu instid0(VALU_DEP_2) | instskip(NEXT) | instid1(VALU_DEP_1)
	v_cmp_eq_u32_e64 s1, 0, v9
	v_cndmask_b32_e64 v66, v13, v8, s1
; %bb.1892:                             ;   in Loop: Header=BB466_8 Depth=1
	s_or_b32 exec_lo, exec_lo, s2
	v_lshrrev_b16 v9, 8, v18
	v_mov_b32_e32 v8, 0
	s_mov_b32 s2, exec_lo
	s_delay_alu instid0(VALU_DEP_2)
	v_cmpx_ne_u16_e32 0, v9
	s_cbranch_execz .LBB466_1900
; %bb.1893:                             ;   in Loop: Header=BB466_8 Depth=1
	v_bfrev_b32_e32 v8, 1
	s_mov_b32 s18, exec_lo
	v_cmpx_ne_u16_e32 0x80, v9
	s_cbranch_execz .LBB466_1899
; %bb.1894:                             ;   in Loop: Header=BB466_8 Depth=1
	v_and_b32_e32 v13, 0xffff, v9
	v_mov_b32_e32 v8, 0x7f800001
	s_mov_b32 s19, exec_lo
	s_delay_alu instid0(VALU_DEP_2) | instskip(NEXT) | instid1(VALU_DEP_1)
	v_and_b32_e32 v9, 0x7f, v13
	v_cmpx_ne_u32_e32 0x7f, v9
	s_cbranch_execz .LBB466_1898
; %bb.1895:                             ;   in Loop: Header=BB466_8 Depth=1
	v_dual_mov_b32 v33, v19 :: v_dual_and_b32 v32, 7, v13
	v_lshrrev_b32_e32 v8, 3, v9
	s_mov_b32 s20, exec_lo
	v_cmpx_gt_u32_e32 8, v9
; %bb.1896:                             ;   in Loop: Header=BB466_8 Depth=1
	s_delay_alu instid0(VALU_DEP_3) | instskip(NEXT) | instid1(VALU_DEP_1)
	v_clz_i32_u32_e32 v8, v32
	v_min_u32_e32 v8, 32, v8
	s_delay_alu instid0(VALU_DEP_1) | instskip(SKIP_1) | instid1(VALU_DEP_2)
	v_subrev_nc_u32_e32 v9, 28, v8
	v_sub_nc_u32_e32 v8, 29, v8
	v_lshlrev_b64 v[24:25], v9, v[32:33]
	s_delay_alu instid0(VALU_DEP_1)
	v_and_b32_e32 v32, 7, v24
; %bb.1897:                             ;   in Loop: Header=BB466_8 Depth=1
	s_or_b32 exec_lo, exec_lo, s20
	v_lshlrev_b32_e32 v9, 16, v18
	s_delay_alu instid0(VALU_DEP_2) | instskip(SKIP_1) | instid1(VALU_DEP_3)
	v_lshlrev_b32_e32 v13, 20, v32
	v_lshl_add_u32 v8, v8, 23, 0x3c000000
	v_and_b32_e32 v9, 0x80000000, v9
	s_delay_alu instid0(VALU_DEP_1)
	v_or3_b32 v8, v13, v9, v8
.LBB466_1898:                           ;   in Loop: Header=BB466_8 Depth=1
	s_or_b32 exec_lo, exec_lo, s19
.LBB466_1899:                           ;   in Loop: Header=BB466_8 Depth=1
	s_delay_alu instid0(SALU_CYCLE_1)
	s_or_b32 exec_lo, exec_lo, s18
.LBB466_1900:                           ;   in Loop: Header=BB466_8 Depth=1
	s_delay_alu instid0(SALU_CYCLE_1) | instskip(NEXT) | instid1(VALU_DEP_1)
	s_or_b32 exec_lo, exec_lo, s2
	v_mul_f32_e32 v8, v102, v8
                                        ; implicit-def: $vgpr67
	s_delay_alu instid0(VALU_DEP_1) | instskip(NEXT) | instid1(VALU_DEP_1)
	v_and_b32_e32 v9, 0x7f800000, v8
	v_cmp_ne_u32_e64 s1, 0x7f800000, v9
	s_delay_alu instid0(VALU_DEP_1) | instskip(NEXT) | instid1(SALU_CYCLE_1)
	s_and_saveexec_b32 s2, s1
	s_xor_b32 s1, exec_lo, s2
; %bb.1901:                             ;   in Loop: Header=BB466_8 Depth=1
	v_bfe_u32 v9, v8, 16, 1
	s_delay_alu instid0(VALU_DEP_1)
	v_add3_u32 v67, v8, v9, 0x7fff
                                        ; implicit-def: $vgpr8
; %bb.1902:                             ;   in Loop: Header=BB466_8 Depth=1
	s_and_not1_saveexec_b32 s2, s1
; %bb.1903:                             ;   in Loop: Header=BB466_8 Depth=1
	v_and_b32_e32 v9, 0xffff, v8
	v_or_b32_e32 v13, 0x10000, v8
	s_delay_alu instid0(VALU_DEP_2) | instskip(NEXT) | instid1(VALU_DEP_1)
	v_cmp_eq_u32_e64 s1, 0, v9
	v_cndmask_b32_e64 v67, v13, v8, s1
; %bb.1904:                             ;   in Loop: Header=BB466_8 Depth=1
	s_or_b32 exec_lo, exec_lo, s2
	v_lshrrev_b32_e32 v8, 16, v31
	v_mov_b32_e32 v9, 0
	s_mov_b32 s2, exec_lo
	s_delay_alu instid0(VALU_DEP_2) | instskip(NEXT) | instid1(VALU_DEP_1)
	v_and_b32_e32 v13, 0xff, v8
	v_cmpx_ne_u16_e32 0, v13
	s_cbranch_execz .LBB466_1912
; %bb.1905:                             ;   in Loop: Header=BB466_8 Depth=1
	v_bfrev_b32_e32 v9, 1
	s_mov_b32 s18, exec_lo
	v_cmpx_ne_u16_e32 0x80, v13
	s_cbranch_execz .LBB466_1911
; %bb.1906:                             ;   in Loop: Header=BB466_8 Depth=1
	v_bfe_u32 v13, v31, 16, 7
	v_mov_b32_e32 v9, 0x7f800001
	s_mov_b32 s19, exec_lo
	s_delay_alu instid0(VALU_DEP_2)
	v_cmpx_ne_u32_e32 0x7f, v13
	s_cbranch_execz .LBB466_1910
; %bb.1907:                             ;   in Loop: Header=BB466_8 Depth=1
	v_and_b32_e32 v18, 7, v8
	v_mov_b32_e32 v33, v19
	v_lshrrev_b32_e32 v9, 3, v13
	s_mov_b32 s20, exec_lo
	s_delay_alu instid0(VALU_DEP_3)
	v_mov_b32_e32 v32, v18
	v_cmpx_gt_u32_e32 8, v13
; %bb.1908:                             ;   in Loop: Header=BB466_8 Depth=1
	v_clz_i32_u32_e32 v9, v18
	s_delay_alu instid0(VALU_DEP_1) | instskip(NEXT) | instid1(VALU_DEP_1)
	v_min_u32_e32 v9, 32, v9
	v_subrev_nc_u32_e32 v13, 28, v9
	v_sub_nc_u32_e32 v9, 29, v9
	s_delay_alu instid0(VALU_DEP_2) | instskip(NEXT) | instid1(VALU_DEP_1)
	v_lshlrev_b64 v[24:25], v13, v[18:19]
	v_and_b32_e32 v32, 7, v24
; %bb.1909:                             ;   in Loop: Header=BB466_8 Depth=1
	s_or_b32 exec_lo, exec_lo, s20
	v_lshlrev_b32_e32 v8, 24, v8
	s_delay_alu instid0(VALU_DEP_2) | instskip(SKIP_1) | instid1(VALU_DEP_3)
	v_lshlrev_b32_e32 v13, 20, v32
	v_lshl_add_u32 v9, v9, 23, 0x3c000000
	v_and_b32_e32 v8, 0x80000000, v8
	s_delay_alu instid0(VALU_DEP_1)
	v_or3_b32 v9, v13, v8, v9
.LBB466_1910:                           ;   in Loop: Header=BB466_8 Depth=1
	s_or_b32 exec_lo, exec_lo, s19
.LBB466_1911:                           ;   in Loop: Header=BB466_8 Depth=1
	s_delay_alu instid0(SALU_CYCLE_1)
	s_or_b32 exec_lo, exec_lo, s18
.LBB466_1912:                           ;   in Loop: Header=BB466_8 Depth=1
	s_delay_alu instid0(SALU_CYCLE_1) | instskip(NEXT) | instid1(VALU_DEP_1)
	s_or_b32 exec_lo, exec_lo, s2
	v_mul_f32_e32 v8, v102, v9
                                        ; implicit-def: $vgpr68
	s_delay_alu instid0(VALU_DEP_1) | instskip(NEXT) | instid1(VALU_DEP_1)
	v_and_b32_e32 v9, 0x7f800000, v8
	v_cmp_ne_u32_e64 s1, 0x7f800000, v9
	s_delay_alu instid0(VALU_DEP_1) | instskip(NEXT) | instid1(SALU_CYCLE_1)
	s_and_saveexec_b32 s2, s1
	s_xor_b32 s1, exec_lo, s2
; %bb.1913:                             ;   in Loop: Header=BB466_8 Depth=1
	v_bfe_u32 v9, v8, 16, 1
	s_delay_alu instid0(VALU_DEP_1)
	v_add3_u32 v68, v8, v9, 0x7fff
                                        ; implicit-def: $vgpr8
; %bb.1914:                             ;   in Loop: Header=BB466_8 Depth=1
	s_and_not1_saveexec_b32 s2, s1
; %bb.1915:                             ;   in Loop: Header=BB466_8 Depth=1
	v_and_b32_e32 v9, 0xffff, v8
	v_or_b32_e32 v13, 0x10000, v8
	s_delay_alu instid0(VALU_DEP_2) | instskip(NEXT) | instid1(VALU_DEP_1)
	v_cmp_eq_u32_e64 s1, 0, v9
	v_cndmask_b32_e64 v68, v13, v8, s1
; %bb.1916:                             ;   in Loop: Header=BB466_8 Depth=1
	s_or_b32 exec_lo, exec_lo, s2
	v_mov_b32_e32 v9, 0
	s_mov_b32 s2, exec_lo
	v_cmpx_lt_u64_e64 s[8:9], v[30:31]
	s_cbranch_execz .LBB466_1924
; %bb.1917:                             ;   in Loop: Header=BB466_8 Depth=1
	v_lshrrev_b32_e32 v8, 24, v31
	v_bfrev_b32_e32 v9, 1
	s_mov_b32 s18, exec_lo
	s_delay_alu instid0(VALU_DEP_2)
	v_cmpx_ne_u32_e32 0x80, v8
	s_cbranch_execz .LBB466_1923
; %bb.1918:                             ;   in Loop: Header=BB466_8 Depth=1
	v_bfe_u32 v13, v31, 24, 7
	v_mov_b32_e32 v9, 0x7f800001
	s_mov_b32 s19, exec_lo
	s_delay_alu instid0(VALU_DEP_2)
	v_cmpx_ne_u32_e32 0x7f, v13
	s_cbranch_execz .LBB466_1922
; %bb.1919:                             ;   in Loop: Header=BB466_8 Depth=1
	v_and_b32_e32 v18, 7, v8
	v_mov_b32_e32 v31, v19
	v_lshrrev_b32_e32 v9, 3, v13
	s_mov_b32 s20, exec_lo
	s_delay_alu instid0(VALU_DEP_3)
	v_mov_b32_e32 v30, v18
	v_cmpx_gt_u32_e32 8, v13
; %bb.1920:                             ;   in Loop: Header=BB466_8 Depth=1
	v_clz_i32_u32_e32 v9, v18
	s_delay_alu instid0(VALU_DEP_1) | instskip(NEXT) | instid1(VALU_DEP_1)
	v_min_u32_e32 v9, 32, v9
	v_subrev_nc_u32_e32 v13, 28, v9
	v_sub_nc_u32_e32 v9, 29, v9
	s_delay_alu instid0(VALU_DEP_2) | instskip(NEXT) | instid1(VALU_DEP_1)
	v_lshlrev_b64 v[24:25], v13, v[18:19]
	v_and_b32_e32 v30, 7, v24
; %bb.1921:                             ;   in Loop: Header=BB466_8 Depth=1
	s_or_b32 exec_lo, exec_lo, s20
	v_lshlrev_b32_e32 v8, 24, v8
	s_delay_alu instid0(VALU_DEP_2) | instskip(SKIP_1) | instid1(VALU_DEP_3)
	v_lshlrev_b32_e32 v13, 20, v30
	v_lshl_add_u32 v9, v9, 23, 0x3c000000
	v_and_b32_e32 v8, 0x80000000, v8
	s_delay_alu instid0(VALU_DEP_1)
	v_or3_b32 v9, v13, v8, v9
.LBB466_1922:                           ;   in Loop: Header=BB466_8 Depth=1
	s_or_b32 exec_lo, exec_lo, s19
.LBB466_1923:                           ;   in Loop: Header=BB466_8 Depth=1
	s_delay_alu instid0(SALU_CYCLE_1)
	s_or_b32 exec_lo, exec_lo, s18
.LBB466_1924:                           ;   in Loop: Header=BB466_8 Depth=1
	s_delay_alu instid0(SALU_CYCLE_1) | instskip(NEXT) | instid1(VALU_DEP_1)
	s_or_b32 exec_lo, exec_lo, s2
	v_mul_f32_e32 v8, v102, v9
                                        ; implicit-def: $vgpr71
	s_delay_alu instid0(VALU_DEP_1) | instskip(NEXT) | instid1(VALU_DEP_1)
	v_and_b32_e32 v9, 0x7f800000, v8
	v_cmp_ne_u32_e64 s1, 0x7f800000, v9
	s_delay_alu instid0(VALU_DEP_1) | instskip(NEXT) | instid1(SALU_CYCLE_1)
	s_and_saveexec_b32 s2, s1
	s_xor_b32 s1, exec_lo, s2
; %bb.1925:                             ;   in Loop: Header=BB466_8 Depth=1
	v_bfe_u32 v9, v8, 16, 1
	s_delay_alu instid0(VALU_DEP_1)
	v_add3_u32 v71, v8, v9, 0x7fff
                                        ; implicit-def: $vgpr8
; %bb.1926:                             ;   in Loop: Header=BB466_8 Depth=1
	s_and_not1_saveexec_b32 s2, s1
; %bb.1927:                             ;   in Loop: Header=BB466_8 Depth=1
	v_and_b32_e32 v9, 0xffff, v8
	v_or_b32_e32 v13, 0x10000, v8
	s_delay_alu instid0(VALU_DEP_2) | instskip(NEXT) | instid1(VALU_DEP_1)
	v_cmp_eq_u32_e64 s1, 0, v9
	v_cndmask_b32_e64 v71, v13, v8, s1
; %bb.1928:                             ;   in Loop: Header=BB466_8 Depth=1
	s_or_b32 exec_lo, exec_lo, s2
	flat_load_b64 v[30:31], v[28:29] offset:1024
	s_mov_b32 s2, exec_lo
	s_waitcnt vmcnt(0) lgkmcnt(0)
	v_dual_mov_b32 v8, 0 :: v_dual_and_b32 v9, 0xff, v30
	s_delay_alu instid0(VALU_DEP_1)
	v_cmpx_ne_u16_e32 0, v9
	s_cbranch_execz .LBB466_1936
; %bb.1929:                             ;   in Loop: Header=BB466_8 Depth=1
	v_bfrev_b32_e32 v8, 1
	s_mov_b32 s18, exec_lo
	v_cmpx_ne_u16_e32 0x80, v9
	s_cbranch_execz .LBB466_1935
; %bb.1930:                             ;   in Loop: Header=BB466_8 Depth=1
	v_and_b32_e32 v9, 0x7f, v30
	v_mov_b32_e32 v8, 0x7f800001
	s_mov_b32 s19, exec_lo
	s_delay_alu instid0(VALU_DEP_2)
	v_cmpx_ne_u32_e32 0x7f, v9
	s_cbranch_execz .LBB466_1934
; %bb.1931:                             ;   in Loop: Header=BB466_8 Depth=1
	v_lshrrev_b32_e32 v8, 3, v9
	v_dual_mov_b32 v33, v31 :: v_dual_mov_b32 v32, v30
	s_mov_b32 s20, exec_lo
	v_cmpx_gt_u32_e32 8, v9
; %bb.1932:                             ;   in Loop: Header=BB466_8 Depth=1
	v_and_b32_e32 v8, 7, v30
	s_delay_alu instid0(VALU_DEP_1) | instskip(NEXT) | instid1(VALU_DEP_1)
	v_clz_i32_u32_e32 v8, v8
	v_min_u32_e32 v8, 32, v8
	s_delay_alu instid0(VALU_DEP_1) | instskip(SKIP_1) | instid1(VALU_DEP_2)
	v_subrev_nc_u32_e32 v9, 28, v8
	v_sub_nc_u32_e32 v8, 29, v8
	v_lshlrev_b64 v[32:33], v9, v[30:31]
; %bb.1933:                             ;   in Loop: Header=BB466_8 Depth=1
	s_or_b32 exec_lo, exec_lo, s20
	s_delay_alu instid0(VALU_DEP_1) | instskip(SKIP_2) | instid1(VALU_DEP_3)
	v_lshlrev_b32_e32 v9, 20, v32
	v_lshlrev_b32_e32 v13, 24, v30
	v_lshl_add_u32 v8, v8, 23, 0x3c000000
	v_and_b32_e32 v9, 0x700000, v9
	s_delay_alu instid0(VALU_DEP_3) | instskip(NEXT) | instid1(VALU_DEP_1)
	v_and_b32_e32 v13, 0x80000000, v13
	v_or3_b32 v8, v9, v13, v8
.LBB466_1934:                           ;   in Loop: Header=BB466_8 Depth=1
	s_or_b32 exec_lo, exec_lo, s19
.LBB466_1935:                           ;   in Loop: Header=BB466_8 Depth=1
	s_delay_alu instid0(SALU_CYCLE_1)
	s_or_b32 exec_lo, exec_lo, s18
.LBB466_1936:                           ;   in Loop: Header=BB466_8 Depth=1
	s_delay_alu instid0(SALU_CYCLE_1) | instskip(NEXT) | instid1(VALU_DEP_1)
	s_or_b32 exec_lo, exec_lo, s2
	v_mul_f32_e32 v8, v102, v8
                                        ; implicit-def: $vgpr80
	s_delay_alu instid0(VALU_DEP_1) | instskip(NEXT) | instid1(VALU_DEP_1)
	v_and_b32_e32 v9, 0x7f800000, v8
	v_cmp_ne_u32_e64 s1, 0x7f800000, v9
	s_delay_alu instid0(VALU_DEP_1) | instskip(NEXT) | instid1(SALU_CYCLE_1)
	s_and_saveexec_b32 s2, s1
	s_xor_b32 s1, exec_lo, s2
; %bb.1937:                             ;   in Loop: Header=BB466_8 Depth=1
	v_bfe_u32 v9, v8, 16, 1
	s_delay_alu instid0(VALU_DEP_1)
	v_add3_u32 v80, v8, v9, 0x7fff
                                        ; implicit-def: $vgpr8
; %bb.1938:                             ;   in Loop: Header=BB466_8 Depth=1
	s_and_not1_saveexec_b32 s2, s1
; %bb.1939:                             ;   in Loop: Header=BB466_8 Depth=1
	v_and_b32_e32 v9, 0xffff, v8
	v_or_b32_e32 v13, 0x10000, v8
	s_delay_alu instid0(VALU_DEP_2) | instskip(NEXT) | instid1(VALU_DEP_1)
	v_cmp_eq_u32_e64 s1, 0, v9
	v_cndmask_b32_e64 v80, v13, v8, s1
; %bb.1940:                             ;   in Loop: Header=BB466_8 Depth=1
	s_or_b32 exec_lo, exec_lo, s2
	v_lshrrev_b16 v9, 8, v30
	v_mov_b32_e32 v8, 0
	s_mov_b32 s2, exec_lo
	s_delay_alu instid0(VALU_DEP_2)
	v_cmpx_ne_u16_e32 0, v9
	s_cbranch_execz .LBB466_1948
; %bb.1941:                             ;   in Loop: Header=BB466_8 Depth=1
	v_bfrev_b32_e32 v8, 1
	s_mov_b32 s18, exec_lo
	v_cmpx_ne_u16_e32 0x80, v9
	s_cbranch_execz .LBB466_1947
; %bb.1942:                             ;   in Loop: Header=BB466_8 Depth=1
	v_and_b32_e32 v13, 0xffff, v9
	v_mov_b32_e32 v8, 0x7f800001
	s_mov_b32 s19, exec_lo
	s_delay_alu instid0(VALU_DEP_2) | instskip(NEXT) | instid1(VALU_DEP_1)
	v_and_b32_e32 v9, 0x7f, v13
	v_cmpx_ne_u32_e32 0x7f, v9
	s_cbranch_execz .LBB466_1946
; %bb.1943:                             ;   in Loop: Header=BB466_8 Depth=1
	v_and_b32_e32 v18, 7, v13
	v_mov_b32_e32 v33, v19
	v_lshrrev_b32_e32 v8, 3, v9
	s_mov_b32 s20, exec_lo
	s_delay_alu instid0(VALU_DEP_3)
	v_mov_b32_e32 v32, v18
	v_cmpx_gt_u32_e32 8, v9
; %bb.1944:                             ;   in Loop: Header=BB466_8 Depth=1
	v_clz_i32_u32_e32 v8, v18
	s_delay_alu instid0(VALU_DEP_1) | instskip(NEXT) | instid1(VALU_DEP_1)
	v_min_u32_e32 v8, 32, v8
	v_subrev_nc_u32_e32 v9, 28, v8
	v_sub_nc_u32_e32 v8, 29, v8
	s_delay_alu instid0(VALU_DEP_2) | instskip(NEXT) | instid1(VALU_DEP_1)
	v_lshlrev_b64 v[24:25], v9, v[18:19]
	v_and_b32_e32 v32, 7, v24
; %bb.1945:                             ;   in Loop: Header=BB466_8 Depth=1
	s_or_b32 exec_lo, exec_lo, s20
	v_lshlrev_b32_e32 v9, 16, v30
	s_delay_alu instid0(VALU_DEP_2) | instskip(SKIP_1) | instid1(VALU_DEP_3)
	v_lshlrev_b32_e32 v13, 20, v32
	v_lshl_add_u32 v8, v8, 23, 0x3c000000
	v_and_b32_e32 v9, 0x80000000, v9
	s_delay_alu instid0(VALU_DEP_1)
	v_or3_b32 v8, v13, v9, v8
.LBB466_1946:                           ;   in Loop: Header=BB466_8 Depth=1
	s_or_b32 exec_lo, exec_lo, s19
.LBB466_1947:                           ;   in Loop: Header=BB466_8 Depth=1
	s_delay_alu instid0(SALU_CYCLE_1)
	s_or_b32 exec_lo, exec_lo, s18
.LBB466_1948:                           ;   in Loop: Header=BB466_8 Depth=1
	s_delay_alu instid0(SALU_CYCLE_1) | instskip(NEXT) | instid1(VALU_DEP_1)
	s_or_b32 exec_lo, exec_lo, s2
	v_mul_f32_e32 v8, v102, v8
                                        ; implicit-def: $vgpr81
	s_delay_alu instid0(VALU_DEP_1) | instskip(NEXT) | instid1(VALU_DEP_1)
	v_and_b32_e32 v9, 0x7f800000, v8
	v_cmp_ne_u32_e64 s1, 0x7f800000, v9
	s_delay_alu instid0(VALU_DEP_1) | instskip(NEXT) | instid1(SALU_CYCLE_1)
	s_and_saveexec_b32 s2, s1
	s_xor_b32 s1, exec_lo, s2
; %bb.1949:                             ;   in Loop: Header=BB466_8 Depth=1
	v_bfe_u32 v9, v8, 16, 1
	s_delay_alu instid0(VALU_DEP_1)
	v_add3_u32 v81, v8, v9, 0x7fff
                                        ; implicit-def: $vgpr8
; %bb.1950:                             ;   in Loop: Header=BB466_8 Depth=1
	s_and_not1_saveexec_b32 s2, s1
; %bb.1951:                             ;   in Loop: Header=BB466_8 Depth=1
	v_and_b32_e32 v9, 0xffff, v8
	v_or_b32_e32 v13, 0x10000, v8
	s_delay_alu instid0(VALU_DEP_2) | instskip(NEXT) | instid1(VALU_DEP_1)
	v_cmp_eq_u32_e64 s1, 0, v9
	v_cndmask_b32_e64 v81, v13, v8, s1
; %bb.1952:                             ;   in Loop: Header=BB466_8 Depth=1
	s_or_b32 exec_lo, exec_lo, s2
	v_lshrrev_b32_e32 v8, 16, v30
	v_mov_b32_e32 v9, 0
	s_mov_b32 s2, exec_lo
	s_delay_alu instid0(VALU_DEP_2) | instskip(NEXT) | instid1(VALU_DEP_1)
	v_and_b32_e32 v13, 0xff, v8
	v_cmpx_ne_u16_e32 0, v13
	s_cbranch_execz .LBB466_1960
; %bb.1953:                             ;   in Loop: Header=BB466_8 Depth=1
	v_bfrev_b32_e32 v9, 1
	s_mov_b32 s18, exec_lo
	v_cmpx_ne_u16_e32 0x80, v13
	s_cbranch_execz .LBB466_1959
; %bb.1954:                             ;   in Loop: Header=BB466_8 Depth=1
	v_bfe_u32 v13, v30, 16, 7
	v_mov_b32_e32 v9, 0x7f800001
	s_mov_b32 s19, exec_lo
	s_delay_alu instid0(VALU_DEP_2)
	v_cmpx_ne_u32_e32 0x7f, v13
	s_cbranch_execz .LBB466_1958
; %bb.1955:                             ;   in Loop: Header=BB466_8 Depth=1
	v_and_b32_e32 v18, 7, v8
	v_mov_b32_e32 v33, v19
	v_lshrrev_b32_e32 v9, 3, v13
	s_mov_b32 s20, exec_lo
	s_delay_alu instid0(VALU_DEP_3)
	v_mov_b32_e32 v32, v18
	v_cmpx_gt_u32_e32 8, v13
; %bb.1956:                             ;   in Loop: Header=BB466_8 Depth=1
	v_clz_i32_u32_e32 v9, v18
	s_delay_alu instid0(VALU_DEP_1) | instskip(NEXT) | instid1(VALU_DEP_1)
	v_min_u32_e32 v9, 32, v9
	v_subrev_nc_u32_e32 v13, 28, v9
	v_sub_nc_u32_e32 v9, 29, v9
	s_delay_alu instid0(VALU_DEP_2) | instskip(NEXT) | instid1(VALU_DEP_1)
	v_lshlrev_b64 v[24:25], v13, v[18:19]
	v_and_b32_e32 v32, 7, v24
; %bb.1957:                             ;   in Loop: Header=BB466_8 Depth=1
	s_or_b32 exec_lo, exec_lo, s20
	v_lshlrev_b32_e32 v8, 24, v8
	s_delay_alu instid0(VALU_DEP_2) | instskip(SKIP_1) | instid1(VALU_DEP_3)
	v_lshlrev_b32_e32 v13, 20, v32
	v_lshl_add_u32 v9, v9, 23, 0x3c000000
	v_and_b32_e32 v8, 0x80000000, v8
	s_delay_alu instid0(VALU_DEP_1)
	v_or3_b32 v9, v13, v8, v9
.LBB466_1958:                           ;   in Loop: Header=BB466_8 Depth=1
	s_or_b32 exec_lo, exec_lo, s19
.LBB466_1959:                           ;   in Loop: Header=BB466_8 Depth=1
	s_delay_alu instid0(SALU_CYCLE_1)
	s_or_b32 exec_lo, exec_lo, s18
.LBB466_1960:                           ;   in Loop: Header=BB466_8 Depth=1
	s_delay_alu instid0(SALU_CYCLE_1) | instskip(NEXT) | instid1(VALU_DEP_1)
	s_or_b32 exec_lo, exec_lo, s2
	v_mul_f32_e32 v8, v102, v9
                                        ; implicit-def: $vgpr82
	s_delay_alu instid0(VALU_DEP_1) | instskip(NEXT) | instid1(VALU_DEP_1)
	v_and_b32_e32 v9, 0x7f800000, v8
	v_cmp_ne_u32_e64 s1, 0x7f800000, v9
	s_delay_alu instid0(VALU_DEP_1) | instskip(NEXT) | instid1(SALU_CYCLE_1)
	s_and_saveexec_b32 s2, s1
	s_xor_b32 s1, exec_lo, s2
; %bb.1961:                             ;   in Loop: Header=BB466_8 Depth=1
	v_bfe_u32 v9, v8, 16, 1
	s_delay_alu instid0(VALU_DEP_1)
	v_add3_u32 v82, v8, v9, 0x7fff
                                        ; implicit-def: $vgpr8
; %bb.1962:                             ;   in Loop: Header=BB466_8 Depth=1
	s_and_not1_saveexec_b32 s2, s1
; %bb.1963:                             ;   in Loop: Header=BB466_8 Depth=1
	v_and_b32_e32 v9, 0xffff, v8
	v_or_b32_e32 v13, 0x10000, v8
	s_delay_alu instid0(VALU_DEP_2) | instskip(NEXT) | instid1(VALU_DEP_1)
	v_cmp_eq_u32_e64 s1, 0, v9
	v_cndmask_b32_e64 v82, v13, v8, s1
; %bb.1964:                             ;   in Loop: Header=BB466_8 Depth=1
	s_or_b32 exec_lo, exec_lo, s2
	v_mov_b32_e32 v9, 0
	s_mov_b32 s2, exec_lo
	v_cmpx_lt_u32_e32 0xffffff, v30
	s_cbranch_execz .LBB466_1972
; %bb.1965:                             ;   in Loop: Header=BB466_8 Depth=1
	v_lshrrev_b32_e32 v8, 24, v30
	v_bfrev_b32_e32 v9, 1
	s_mov_b32 s18, exec_lo
	s_delay_alu instid0(VALU_DEP_2)
	v_cmpx_ne_u32_e32 0x80, v8
	s_cbranch_execz .LBB466_1971
; %bb.1966:                             ;   in Loop: Header=BB466_8 Depth=1
	v_bfe_u32 v13, v30, 24, 7
	v_mov_b32_e32 v9, 0x7f800001
	s_mov_b32 s19, exec_lo
	s_delay_alu instid0(VALU_DEP_2)
	v_cmpx_ne_u32_e32 0x7f, v13
	s_cbranch_execz .LBB466_1970
; %bb.1967:                             ;   in Loop: Header=BB466_8 Depth=1
	v_and_b32_e32 v18, 7, v8
	v_mov_b32_e32 v33, v19
	v_lshrrev_b32_e32 v9, 3, v13
	s_mov_b32 s20, exec_lo
	s_delay_alu instid0(VALU_DEP_3)
	v_mov_b32_e32 v32, v18
	v_cmpx_gt_u32_e32 8, v13
; %bb.1968:                             ;   in Loop: Header=BB466_8 Depth=1
	v_clz_i32_u32_e32 v9, v18
	s_delay_alu instid0(VALU_DEP_1) | instskip(NEXT) | instid1(VALU_DEP_1)
	v_min_u32_e32 v9, 32, v9
	v_subrev_nc_u32_e32 v13, 28, v9
	v_sub_nc_u32_e32 v9, 29, v9
	s_delay_alu instid0(VALU_DEP_2) | instskip(NEXT) | instid1(VALU_DEP_1)
	v_lshlrev_b64 v[24:25], v13, v[18:19]
	v_and_b32_e32 v32, 7, v24
; %bb.1969:                             ;   in Loop: Header=BB466_8 Depth=1
	s_or_b32 exec_lo, exec_lo, s20
	v_lshlrev_b32_e32 v8, 24, v8
	s_delay_alu instid0(VALU_DEP_2) | instskip(SKIP_1) | instid1(VALU_DEP_3)
	v_lshlrev_b32_e32 v13, 20, v32
	v_lshl_add_u32 v9, v9, 23, 0x3c000000
	v_and_b32_e32 v8, 0x80000000, v8
	s_delay_alu instid0(VALU_DEP_1)
	v_or3_b32 v9, v13, v8, v9
.LBB466_1970:                           ;   in Loop: Header=BB466_8 Depth=1
	s_or_b32 exec_lo, exec_lo, s19
.LBB466_1971:                           ;   in Loop: Header=BB466_8 Depth=1
	s_delay_alu instid0(SALU_CYCLE_1)
	s_or_b32 exec_lo, exec_lo, s18
.LBB466_1972:                           ;   in Loop: Header=BB466_8 Depth=1
	s_delay_alu instid0(SALU_CYCLE_1) | instskip(NEXT) | instid1(VALU_DEP_1)
	s_or_b32 exec_lo, exec_lo, s2
	v_mul_f32_e32 v8, v102, v9
                                        ; implicit-def: $vgpr83
	s_delay_alu instid0(VALU_DEP_1) | instskip(NEXT) | instid1(VALU_DEP_1)
	v_and_b32_e32 v9, 0x7f800000, v8
	v_cmp_ne_u32_e64 s1, 0x7f800000, v9
	s_delay_alu instid0(VALU_DEP_1) | instskip(NEXT) | instid1(SALU_CYCLE_1)
	s_and_saveexec_b32 s2, s1
	s_xor_b32 s1, exec_lo, s2
; %bb.1973:                             ;   in Loop: Header=BB466_8 Depth=1
	v_bfe_u32 v9, v8, 16, 1
	s_delay_alu instid0(VALU_DEP_1)
	v_add3_u32 v83, v8, v9, 0x7fff
                                        ; implicit-def: $vgpr8
; %bb.1974:                             ;   in Loop: Header=BB466_8 Depth=1
	s_and_not1_saveexec_b32 s2, s1
; %bb.1975:                             ;   in Loop: Header=BB466_8 Depth=1
	v_and_b32_e32 v9, 0xffff, v8
	v_or_b32_e32 v13, 0x10000, v8
	s_delay_alu instid0(VALU_DEP_2) | instskip(NEXT) | instid1(VALU_DEP_1)
	v_cmp_eq_u32_e64 s1, 0, v9
	v_cndmask_b32_e64 v83, v13, v8, s1
; %bb.1976:                             ;   in Loop: Header=BB466_8 Depth=1
	s_or_b32 exec_lo, exec_lo, s2
	v_dual_mov_b32 v18, v31 :: v_dual_and_b32 v9, 0xff, v31
	v_mov_b32_e32 v8, 0
	s_mov_b32 s2, exec_lo
	s_delay_alu instid0(VALU_DEP_2)
	v_cmpx_ne_u16_e32 0, v9
	s_cbranch_execz .LBB466_1984
; %bb.1977:                             ;   in Loop: Header=BB466_8 Depth=1
	v_bfrev_b32_e32 v8, 1
	s_mov_b32 s18, exec_lo
	v_cmpx_ne_u16_e32 0x80, v9
	s_cbranch_execz .LBB466_1983
; %bb.1978:                             ;   in Loop: Header=BB466_8 Depth=1
	v_and_b32_e32 v9, 0x7f, v31
	v_mov_b32_e32 v8, 0x7f800001
	s_mov_b32 s19, exec_lo
	s_delay_alu instid0(VALU_DEP_2)
	v_cmpx_ne_u32_e32 0x7f, v9
	s_cbranch_execz .LBB466_1982
; %bb.1979:                             ;   in Loop: Header=BB466_8 Depth=1
	v_dual_mov_b32 v33, v19 :: v_dual_mov_b32 v32, v18
	v_lshrrev_b32_e32 v8, 3, v9
	s_mov_b32 s20, exec_lo
	v_cmpx_gt_u32_e32 8, v9
; %bb.1980:                             ;   in Loop: Header=BB466_8 Depth=1
	v_and_b32_e32 v8, 7, v31
	s_delay_alu instid0(VALU_DEP_1) | instskip(NEXT) | instid1(VALU_DEP_1)
	v_clz_i32_u32_e32 v8, v8
	v_min_u32_e32 v8, 32, v8
	s_delay_alu instid0(VALU_DEP_1) | instskip(SKIP_1) | instid1(VALU_DEP_2)
	v_subrev_nc_u32_e32 v9, 28, v8
	v_sub_nc_u32_e32 v8, 29, v8
	v_lshlrev_b64 v[32:33], v9, v[18:19]
; %bb.1981:                             ;   in Loop: Header=BB466_8 Depth=1
	s_or_b32 exec_lo, exec_lo, s20
	s_delay_alu instid0(VALU_DEP_1) | instskip(SKIP_2) | instid1(VALU_DEP_3)
	v_lshlrev_b32_e32 v9, 20, v32
	v_lshlrev_b32_e32 v13, 24, v18
	v_lshl_add_u32 v8, v8, 23, 0x3c000000
	v_and_b32_e32 v9, 0x700000, v9
	s_delay_alu instid0(VALU_DEP_3) | instskip(NEXT) | instid1(VALU_DEP_1)
	v_and_b32_e32 v13, 0x80000000, v13
	v_or3_b32 v8, v9, v13, v8
.LBB466_1982:                           ;   in Loop: Header=BB466_8 Depth=1
	s_or_b32 exec_lo, exec_lo, s19
.LBB466_1983:                           ;   in Loop: Header=BB466_8 Depth=1
	s_delay_alu instid0(SALU_CYCLE_1)
	s_or_b32 exec_lo, exec_lo, s18
.LBB466_1984:                           ;   in Loop: Header=BB466_8 Depth=1
	s_delay_alu instid0(SALU_CYCLE_1) | instskip(NEXT) | instid1(VALU_DEP_1)
	s_or_b32 exec_lo, exec_lo, s2
	v_mul_f32_e32 v8, v102, v8
                                        ; implicit-def: $vgpr84
	s_delay_alu instid0(VALU_DEP_1) | instskip(NEXT) | instid1(VALU_DEP_1)
	v_and_b32_e32 v9, 0x7f800000, v8
	v_cmp_ne_u32_e64 s1, 0x7f800000, v9
	s_delay_alu instid0(VALU_DEP_1) | instskip(NEXT) | instid1(SALU_CYCLE_1)
	s_and_saveexec_b32 s2, s1
	s_xor_b32 s1, exec_lo, s2
; %bb.1985:                             ;   in Loop: Header=BB466_8 Depth=1
	v_bfe_u32 v9, v8, 16, 1
	s_delay_alu instid0(VALU_DEP_1)
	v_add3_u32 v84, v8, v9, 0x7fff
                                        ; implicit-def: $vgpr8
; %bb.1986:                             ;   in Loop: Header=BB466_8 Depth=1
	s_and_not1_saveexec_b32 s2, s1
; %bb.1987:                             ;   in Loop: Header=BB466_8 Depth=1
	v_and_b32_e32 v9, 0xffff, v8
	v_or_b32_e32 v13, 0x10000, v8
	s_delay_alu instid0(VALU_DEP_2) | instskip(NEXT) | instid1(VALU_DEP_1)
	v_cmp_eq_u32_e64 s1, 0, v9
	v_cndmask_b32_e64 v84, v13, v8, s1
; %bb.1988:                             ;   in Loop: Header=BB466_8 Depth=1
	s_or_b32 exec_lo, exec_lo, s2
	v_lshrrev_b16 v9, 8, v18
	v_mov_b32_e32 v8, 0
	s_mov_b32 s2, exec_lo
	s_delay_alu instid0(VALU_DEP_2)
	v_cmpx_ne_u16_e32 0, v9
	s_cbranch_execz .LBB466_1996
; %bb.1989:                             ;   in Loop: Header=BB466_8 Depth=1
	v_bfrev_b32_e32 v8, 1
	s_mov_b32 s18, exec_lo
	v_cmpx_ne_u16_e32 0x80, v9
	s_cbranch_execz .LBB466_1995
; %bb.1990:                             ;   in Loop: Header=BB466_8 Depth=1
	v_and_b32_e32 v13, 0xffff, v9
	v_mov_b32_e32 v8, 0x7f800001
	s_mov_b32 s19, exec_lo
	s_delay_alu instid0(VALU_DEP_2) | instskip(NEXT) | instid1(VALU_DEP_1)
	v_and_b32_e32 v9, 0x7f, v13
	v_cmpx_ne_u32_e32 0x7f, v9
	s_cbranch_execz .LBB466_1994
; %bb.1991:                             ;   in Loop: Header=BB466_8 Depth=1
	v_dual_mov_b32 v33, v19 :: v_dual_and_b32 v32, 7, v13
	v_lshrrev_b32_e32 v8, 3, v9
	s_mov_b32 s20, exec_lo
	v_cmpx_gt_u32_e32 8, v9
; %bb.1992:                             ;   in Loop: Header=BB466_8 Depth=1
	s_delay_alu instid0(VALU_DEP_3) | instskip(NEXT) | instid1(VALU_DEP_1)
	v_clz_i32_u32_e32 v8, v32
	v_min_u32_e32 v8, 32, v8
	s_delay_alu instid0(VALU_DEP_1) | instskip(SKIP_1) | instid1(VALU_DEP_2)
	v_subrev_nc_u32_e32 v9, 28, v8
	v_sub_nc_u32_e32 v8, 29, v8
	v_lshlrev_b64 v[24:25], v9, v[32:33]
	s_delay_alu instid0(VALU_DEP_1)
	v_and_b32_e32 v32, 7, v24
; %bb.1993:                             ;   in Loop: Header=BB466_8 Depth=1
	s_or_b32 exec_lo, exec_lo, s20
	v_lshlrev_b32_e32 v9, 16, v18
	s_delay_alu instid0(VALU_DEP_2) | instskip(SKIP_1) | instid1(VALU_DEP_3)
	v_lshlrev_b32_e32 v13, 20, v32
	v_lshl_add_u32 v8, v8, 23, 0x3c000000
	v_and_b32_e32 v9, 0x80000000, v9
	s_delay_alu instid0(VALU_DEP_1)
	v_or3_b32 v8, v13, v9, v8
.LBB466_1994:                           ;   in Loop: Header=BB466_8 Depth=1
	s_or_b32 exec_lo, exec_lo, s19
.LBB466_1995:                           ;   in Loop: Header=BB466_8 Depth=1
	s_delay_alu instid0(SALU_CYCLE_1)
	s_or_b32 exec_lo, exec_lo, s18
.LBB466_1996:                           ;   in Loop: Header=BB466_8 Depth=1
	s_delay_alu instid0(SALU_CYCLE_1) | instskip(NEXT) | instid1(VALU_DEP_1)
	s_or_b32 exec_lo, exec_lo, s2
	v_mul_f32_e32 v8, v102, v8
                                        ; implicit-def: $vgpr85
	s_delay_alu instid0(VALU_DEP_1) | instskip(NEXT) | instid1(VALU_DEP_1)
	v_and_b32_e32 v9, 0x7f800000, v8
	v_cmp_ne_u32_e64 s1, 0x7f800000, v9
	s_delay_alu instid0(VALU_DEP_1) | instskip(NEXT) | instid1(SALU_CYCLE_1)
	s_and_saveexec_b32 s2, s1
	s_xor_b32 s1, exec_lo, s2
; %bb.1997:                             ;   in Loop: Header=BB466_8 Depth=1
	v_bfe_u32 v9, v8, 16, 1
	s_delay_alu instid0(VALU_DEP_1)
	v_add3_u32 v85, v8, v9, 0x7fff
                                        ; implicit-def: $vgpr8
; %bb.1998:                             ;   in Loop: Header=BB466_8 Depth=1
	s_and_not1_saveexec_b32 s2, s1
; %bb.1999:                             ;   in Loop: Header=BB466_8 Depth=1
	v_and_b32_e32 v9, 0xffff, v8
	v_or_b32_e32 v13, 0x10000, v8
	s_delay_alu instid0(VALU_DEP_2) | instskip(NEXT) | instid1(VALU_DEP_1)
	v_cmp_eq_u32_e64 s1, 0, v9
	v_cndmask_b32_e64 v85, v13, v8, s1
; %bb.2000:                             ;   in Loop: Header=BB466_8 Depth=1
	s_or_b32 exec_lo, exec_lo, s2
	v_lshrrev_b32_e32 v8, 16, v31
	v_mov_b32_e32 v9, 0
	s_mov_b32 s2, exec_lo
	s_delay_alu instid0(VALU_DEP_2) | instskip(NEXT) | instid1(VALU_DEP_1)
	v_and_b32_e32 v13, 0xff, v8
	v_cmpx_ne_u16_e32 0, v13
	s_cbranch_execz .LBB466_2008
; %bb.2001:                             ;   in Loop: Header=BB466_8 Depth=1
	v_bfrev_b32_e32 v9, 1
	s_mov_b32 s18, exec_lo
	v_cmpx_ne_u16_e32 0x80, v13
	s_cbranch_execz .LBB466_2007
; %bb.2002:                             ;   in Loop: Header=BB466_8 Depth=1
	v_bfe_u32 v13, v31, 16, 7
	v_mov_b32_e32 v9, 0x7f800001
	s_mov_b32 s19, exec_lo
	s_delay_alu instid0(VALU_DEP_2)
	v_cmpx_ne_u32_e32 0x7f, v13
	s_cbranch_execz .LBB466_2006
; %bb.2003:                             ;   in Loop: Header=BB466_8 Depth=1
	v_and_b32_e32 v18, 7, v8
	v_mov_b32_e32 v33, v19
	v_lshrrev_b32_e32 v9, 3, v13
	s_mov_b32 s20, exec_lo
	s_delay_alu instid0(VALU_DEP_3)
	v_mov_b32_e32 v32, v18
	v_cmpx_gt_u32_e32 8, v13
; %bb.2004:                             ;   in Loop: Header=BB466_8 Depth=1
	v_clz_i32_u32_e32 v9, v18
	s_delay_alu instid0(VALU_DEP_1) | instskip(NEXT) | instid1(VALU_DEP_1)
	v_min_u32_e32 v9, 32, v9
	v_subrev_nc_u32_e32 v13, 28, v9
	v_sub_nc_u32_e32 v9, 29, v9
	s_delay_alu instid0(VALU_DEP_2) | instskip(NEXT) | instid1(VALU_DEP_1)
	v_lshlrev_b64 v[24:25], v13, v[18:19]
	v_and_b32_e32 v32, 7, v24
; %bb.2005:                             ;   in Loop: Header=BB466_8 Depth=1
	s_or_b32 exec_lo, exec_lo, s20
	v_lshlrev_b32_e32 v8, 24, v8
	s_delay_alu instid0(VALU_DEP_2) | instskip(SKIP_1) | instid1(VALU_DEP_3)
	v_lshlrev_b32_e32 v13, 20, v32
	v_lshl_add_u32 v9, v9, 23, 0x3c000000
	v_and_b32_e32 v8, 0x80000000, v8
	s_delay_alu instid0(VALU_DEP_1)
	v_or3_b32 v9, v13, v8, v9
.LBB466_2006:                           ;   in Loop: Header=BB466_8 Depth=1
	s_or_b32 exec_lo, exec_lo, s19
.LBB466_2007:                           ;   in Loop: Header=BB466_8 Depth=1
	s_delay_alu instid0(SALU_CYCLE_1)
	s_or_b32 exec_lo, exec_lo, s18
.LBB466_2008:                           ;   in Loop: Header=BB466_8 Depth=1
	s_delay_alu instid0(SALU_CYCLE_1) | instskip(NEXT) | instid1(VALU_DEP_1)
	s_or_b32 exec_lo, exec_lo, s2
	v_mul_f32_e32 v8, v102, v9
                                        ; implicit-def: $vgpr86
	s_delay_alu instid0(VALU_DEP_1) | instskip(NEXT) | instid1(VALU_DEP_1)
	v_and_b32_e32 v9, 0x7f800000, v8
	v_cmp_ne_u32_e64 s1, 0x7f800000, v9
	s_delay_alu instid0(VALU_DEP_1) | instskip(NEXT) | instid1(SALU_CYCLE_1)
	s_and_saveexec_b32 s2, s1
	s_xor_b32 s1, exec_lo, s2
; %bb.2009:                             ;   in Loop: Header=BB466_8 Depth=1
	v_bfe_u32 v9, v8, 16, 1
	s_delay_alu instid0(VALU_DEP_1)
	v_add3_u32 v86, v8, v9, 0x7fff
                                        ; implicit-def: $vgpr8
; %bb.2010:                             ;   in Loop: Header=BB466_8 Depth=1
	s_and_not1_saveexec_b32 s2, s1
; %bb.2011:                             ;   in Loop: Header=BB466_8 Depth=1
	v_and_b32_e32 v9, 0xffff, v8
	v_or_b32_e32 v13, 0x10000, v8
	s_delay_alu instid0(VALU_DEP_2) | instskip(NEXT) | instid1(VALU_DEP_1)
	v_cmp_eq_u32_e64 s1, 0, v9
	v_cndmask_b32_e64 v86, v13, v8, s1
; %bb.2012:                             ;   in Loop: Header=BB466_8 Depth=1
	s_or_b32 exec_lo, exec_lo, s2
	v_mov_b32_e32 v9, 0
	s_mov_b32 s2, exec_lo
	v_cmpx_lt_u64_e64 s[8:9], v[30:31]
	s_cbranch_execz .LBB466_2020
; %bb.2013:                             ;   in Loop: Header=BB466_8 Depth=1
	v_lshrrev_b32_e32 v8, 24, v31
	v_bfrev_b32_e32 v9, 1
	s_mov_b32 s18, exec_lo
	s_delay_alu instid0(VALU_DEP_2)
	v_cmpx_ne_u32_e32 0x80, v8
	s_cbranch_execz .LBB466_2019
; %bb.2014:                             ;   in Loop: Header=BB466_8 Depth=1
	v_bfe_u32 v13, v31, 24, 7
	v_mov_b32_e32 v9, 0x7f800001
	s_mov_b32 s19, exec_lo
	s_delay_alu instid0(VALU_DEP_2)
	v_cmpx_ne_u32_e32 0x7f, v13
	s_cbranch_execz .LBB466_2018
; %bb.2015:                             ;   in Loop: Header=BB466_8 Depth=1
	v_and_b32_e32 v18, 7, v8
	v_mov_b32_e32 v31, v19
	v_lshrrev_b32_e32 v9, 3, v13
	s_mov_b32 s20, exec_lo
	s_delay_alu instid0(VALU_DEP_3)
	v_mov_b32_e32 v30, v18
	v_cmpx_gt_u32_e32 8, v13
; %bb.2016:                             ;   in Loop: Header=BB466_8 Depth=1
	v_clz_i32_u32_e32 v9, v18
	s_delay_alu instid0(VALU_DEP_1) | instskip(NEXT) | instid1(VALU_DEP_1)
	v_min_u32_e32 v9, 32, v9
	v_subrev_nc_u32_e32 v13, 28, v9
	v_sub_nc_u32_e32 v9, 29, v9
	s_delay_alu instid0(VALU_DEP_2) | instskip(NEXT) | instid1(VALU_DEP_1)
	v_lshlrev_b64 v[24:25], v13, v[18:19]
	v_and_b32_e32 v30, 7, v24
; %bb.2017:                             ;   in Loop: Header=BB466_8 Depth=1
	s_or_b32 exec_lo, exec_lo, s20
	v_lshlrev_b32_e32 v8, 24, v8
	s_delay_alu instid0(VALU_DEP_2) | instskip(SKIP_1) | instid1(VALU_DEP_3)
	v_lshlrev_b32_e32 v13, 20, v30
	v_lshl_add_u32 v9, v9, 23, 0x3c000000
	v_and_b32_e32 v8, 0x80000000, v8
	s_delay_alu instid0(VALU_DEP_1)
	v_or3_b32 v9, v13, v8, v9
.LBB466_2018:                           ;   in Loop: Header=BB466_8 Depth=1
	s_or_b32 exec_lo, exec_lo, s19
.LBB466_2019:                           ;   in Loop: Header=BB466_8 Depth=1
	s_delay_alu instid0(SALU_CYCLE_1)
	s_or_b32 exec_lo, exec_lo, s18
.LBB466_2020:                           ;   in Loop: Header=BB466_8 Depth=1
	s_delay_alu instid0(SALU_CYCLE_1) | instskip(NEXT) | instid1(VALU_DEP_1)
	s_or_b32 exec_lo, exec_lo, s2
	v_mul_f32_e32 v8, v102, v9
                                        ; implicit-def: $vgpr98
	s_delay_alu instid0(VALU_DEP_1) | instskip(NEXT) | instid1(VALU_DEP_1)
	v_and_b32_e32 v9, 0x7f800000, v8
	v_cmp_ne_u32_e64 s1, 0x7f800000, v9
	s_delay_alu instid0(VALU_DEP_1) | instskip(NEXT) | instid1(SALU_CYCLE_1)
	s_and_saveexec_b32 s2, s1
	s_xor_b32 s1, exec_lo, s2
; %bb.2021:                             ;   in Loop: Header=BB466_8 Depth=1
	v_bfe_u32 v9, v8, 16, 1
	s_delay_alu instid0(VALU_DEP_1)
	v_add3_u32 v98, v8, v9, 0x7fff
                                        ; implicit-def: $vgpr8
; %bb.2022:                             ;   in Loop: Header=BB466_8 Depth=1
	s_and_not1_saveexec_b32 s2, s1
; %bb.2023:                             ;   in Loop: Header=BB466_8 Depth=1
	v_and_b32_e32 v9, 0xffff, v8
	v_or_b32_e32 v13, 0x10000, v8
	s_delay_alu instid0(VALU_DEP_2) | instskip(NEXT) | instid1(VALU_DEP_1)
	v_cmp_eq_u32_e64 s1, 0, v9
	v_cndmask_b32_e64 v98, v13, v8, s1
; %bb.2024:                             ;   in Loop: Header=BB466_8 Depth=1
	s_or_b32 exec_lo, exec_lo, s2
	flat_load_b64 v[30:31], v[28:29] offset:1032
	s_mov_b32 s2, exec_lo
	s_waitcnt vmcnt(0) lgkmcnt(0)
	v_dual_mov_b32 v8, 0 :: v_dual_and_b32 v9, 0xff, v30
	s_delay_alu instid0(VALU_DEP_1)
	v_cmpx_ne_u16_e32 0, v9
	s_cbranch_execz .LBB466_2032
; %bb.2025:                             ;   in Loop: Header=BB466_8 Depth=1
	v_bfrev_b32_e32 v8, 1
	s_mov_b32 s18, exec_lo
	v_cmpx_ne_u16_e32 0x80, v9
	s_cbranch_execz .LBB466_2031
; %bb.2026:                             ;   in Loop: Header=BB466_8 Depth=1
	v_and_b32_e32 v9, 0x7f, v30
	v_mov_b32_e32 v8, 0x7f800001
	s_mov_b32 s19, exec_lo
	s_delay_alu instid0(VALU_DEP_2)
	v_cmpx_ne_u32_e32 0x7f, v9
	s_cbranch_execz .LBB466_2030
; %bb.2027:                             ;   in Loop: Header=BB466_8 Depth=1
	v_lshrrev_b32_e32 v8, 3, v9
	v_dual_mov_b32 v33, v31 :: v_dual_mov_b32 v32, v30
	s_mov_b32 s20, exec_lo
	v_cmpx_gt_u32_e32 8, v9
; %bb.2028:                             ;   in Loop: Header=BB466_8 Depth=1
	v_and_b32_e32 v8, 7, v30
	s_delay_alu instid0(VALU_DEP_1) | instskip(NEXT) | instid1(VALU_DEP_1)
	v_clz_i32_u32_e32 v8, v8
	v_min_u32_e32 v8, 32, v8
	s_delay_alu instid0(VALU_DEP_1) | instskip(SKIP_1) | instid1(VALU_DEP_2)
	v_subrev_nc_u32_e32 v9, 28, v8
	v_sub_nc_u32_e32 v8, 29, v8
	v_lshlrev_b64 v[32:33], v9, v[30:31]
; %bb.2029:                             ;   in Loop: Header=BB466_8 Depth=1
	s_or_b32 exec_lo, exec_lo, s20
	s_delay_alu instid0(VALU_DEP_1) | instskip(SKIP_2) | instid1(VALU_DEP_3)
	v_lshlrev_b32_e32 v9, 20, v32
	v_lshlrev_b32_e32 v13, 24, v30
	v_lshl_add_u32 v8, v8, 23, 0x3c000000
	v_and_b32_e32 v9, 0x700000, v9
	s_delay_alu instid0(VALU_DEP_3) | instskip(NEXT) | instid1(VALU_DEP_1)
	v_and_b32_e32 v13, 0x80000000, v13
	v_or3_b32 v8, v9, v13, v8
.LBB466_2030:                           ;   in Loop: Header=BB466_8 Depth=1
	s_or_b32 exec_lo, exec_lo, s19
.LBB466_2031:                           ;   in Loop: Header=BB466_8 Depth=1
	s_delay_alu instid0(SALU_CYCLE_1)
	s_or_b32 exec_lo, exec_lo, s18
.LBB466_2032:                           ;   in Loop: Header=BB466_8 Depth=1
	s_delay_alu instid0(SALU_CYCLE_1) | instskip(NEXT) | instid1(VALU_DEP_1)
	s_or_b32 exec_lo, exec_lo, s2
	v_mul_f32_e32 v8, v102, v8
                                        ; implicit-def: $vgpr39
	s_delay_alu instid0(VALU_DEP_1) | instskip(NEXT) | instid1(VALU_DEP_1)
	v_and_b32_e32 v9, 0x7f800000, v8
	v_cmp_ne_u32_e64 s1, 0x7f800000, v9
	s_delay_alu instid0(VALU_DEP_1) | instskip(NEXT) | instid1(SALU_CYCLE_1)
	s_and_saveexec_b32 s2, s1
	s_xor_b32 s1, exec_lo, s2
; %bb.2033:                             ;   in Loop: Header=BB466_8 Depth=1
	v_bfe_u32 v9, v8, 16, 1
	s_delay_alu instid0(VALU_DEP_1)
	v_add3_u32 v39, v8, v9, 0x7fff
                                        ; implicit-def: $vgpr8
; %bb.2034:                             ;   in Loop: Header=BB466_8 Depth=1
	s_and_not1_saveexec_b32 s2, s1
; %bb.2035:                             ;   in Loop: Header=BB466_8 Depth=1
	v_and_b32_e32 v9, 0xffff, v8
	v_or_b32_e32 v13, 0x10000, v8
	s_delay_alu instid0(VALU_DEP_2) | instskip(NEXT) | instid1(VALU_DEP_1)
	v_cmp_eq_u32_e64 s1, 0, v9
	v_cndmask_b32_e64 v39, v13, v8, s1
; %bb.2036:                             ;   in Loop: Header=BB466_8 Depth=1
	s_or_b32 exec_lo, exec_lo, s2
	v_lshrrev_b16 v9, 8, v30
	v_mov_b32_e32 v8, 0
	s_mov_b32 s2, exec_lo
	s_delay_alu instid0(VALU_DEP_2)
	v_cmpx_ne_u16_e32 0, v9
	s_cbranch_execz .LBB466_2044
; %bb.2037:                             ;   in Loop: Header=BB466_8 Depth=1
	v_bfrev_b32_e32 v8, 1
	s_mov_b32 s18, exec_lo
	v_cmpx_ne_u16_e32 0x80, v9
	s_cbranch_execz .LBB466_2043
; %bb.2038:                             ;   in Loop: Header=BB466_8 Depth=1
	v_and_b32_e32 v13, 0xffff, v9
	v_mov_b32_e32 v8, 0x7f800001
	s_mov_b32 s19, exec_lo
	s_delay_alu instid0(VALU_DEP_2) | instskip(NEXT) | instid1(VALU_DEP_1)
	v_and_b32_e32 v9, 0x7f, v13
	v_cmpx_ne_u32_e32 0x7f, v9
	s_cbranch_execz .LBB466_2042
; %bb.2039:                             ;   in Loop: Header=BB466_8 Depth=1
	v_and_b32_e32 v18, 7, v13
	v_mov_b32_e32 v33, v19
	v_lshrrev_b32_e32 v8, 3, v9
	s_mov_b32 s20, exec_lo
	s_delay_alu instid0(VALU_DEP_3)
	v_mov_b32_e32 v32, v18
	v_cmpx_gt_u32_e32 8, v9
; %bb.2040:                             ;   in Loop: Header=BB466_8 Depth=1
	v_clz_i32_u32_e32 v8, v18
	s_delay_alu instid0(VALU_DEP_1) | instskip(NEXT) | instid1(VALU_DEP_1)
	v_min_u32_e32 v8, 32, v8
	v_subrev_nc_u32_e32 v9, 28, v8
	v_sub_nc_u32_e32 v8, 29, v8
	s_delay_alu instid0(VALU_DEP_2) | instskip(NEXT) | instid1(VALU_DEP_1)
	v_lshlrev_b64 v[24:25], v9, v[18:19]
	v_and_b32_e32 v32, 7, v24
; %bb.2041:                             ;   in Loop: Header=BB466_8 Depth=1
	s_or_b32 exec_lo, exec_lo, s20
	v_lshlrev_b32_e32 v9, 16, v30
	s_delay_alu instid0(VALU_DEP_2) | instskip(SKIP_1) | instid1(VALU_DEP_3)
	v_lshlrev_b32_e32 v13, 20, v32
	v_lshl_add_u32 v8, v8, 23, 0x3c000000
	v_and_b32_e32 v9, 0x80000000, v9
	s_delay_alu instid0(VALU_DEP_1)
	v_or3_b32 v8, v13, v9, v8
.LBB466_2042:                           ;   in Loop: Header=BB466_8 Depth=1
	s_or_b32 exec_lo, exec_lo, s19
.LBB466_2043:                           ;   in Loop: Header=BB466_8 Depth=1
	s_delay_alu instid0(SALU_CYCLE_1)
	s_or_b32 exec_lo, exec_lo, s18
.LBB466_2044:                           ;   in Loop: Header=BB466_8 Depth=1
	s_delay_alu instid0(SALU_CYCLE_1) | instskip(NEXT) | instid1(VALU_DEP_1)
	s_or_b32 exec_lo, exec_lo, s2
	v_mul_f32_e32 v9, v102, v8
	s_delay_alu instid0(VALU_DEP_1) | instskip(NEXT) | instid1(VALU_DEP_1)
	v_and_b32_e32 v8, 0x7f800000, v9
	v_cmp_ne_u32_e64 s1, 0x7f800000, v8
                                        ; implicit-def: $vgpr8
	s_delay_alu instid0(VALU_DEP_1) | instskip(NEXT) | instid1(SALU_CYCLE_1)
	s_and_saveexec_b32 s2, s1
	s_xor_b32 s1, exec_lo, s2
; %bb.2045:                             ;   in Loop: Header=BB466_8 Depth=1
	v_bfe_u32 v8, v9, 16, 1
	s_delay_alu instid0(VALU_DEP_1)
	v_add3_u32 v8, v9, v8, 0x7fff
                                        ; implicit-def: $vgpr9
; %bb.2046:                             ;   in Loop: Header=BB466_8 Depth=1
	s_and_not1_saveexec_b32 s2, s1
; %bb.2047:                             ;   in Loop: Header=BB466_8 Depth=1
	v_and_b32_e32 v8, 0xffff, v9
	v_or_b32_e32 v13, 0x10000, v9
	s_delay_alu instid0(VALU_DEP_2) | instskip(NEXT) | instid1(VALU_DEP_1)
	v_cmp_eq_u32_e64 s1, 0, v8
	v_cndmask_b32_e64 v8, v13, v9, s1
; %bb.2048:                             ;   in Loop: Header=BB466_8 Depth=1
	s_or_b32 exec_lo, exec_lo, s2
	v_lshrrev_b32_e32 v9, 16, v30
	s_mov_b32 s2, exec_lo
	s_delay_alu instid0(VALU_DEP_1) | instskip(NEXT) | instid1(VALU_DEP_1)
	v_dual_mov_b32 v13, 0 :: v_dual_and_b32 v18, 0xff, v9
	v_cmpx_ne_u16_e32 0, v18
	s_cbranch_execz .LBB466_2056
; %bb.2049:                             ;   in Loop: Header=BB466_8 Depth=1
	v_bfrev_b32_e32 v13, 1
	s_mov_b32 s18, exec_lo
	v_cmpx_ne_u16_e32 0x80, v18
	s_cbranch_execz .LBB466_2055
; %bb.2050:                             ;   in Loop: Header=BB466_8 Depth=1
	v_bfe_u32 v24, v30, 16, 7
	v_mov_b32_e32 v13, 0x7f800001
	s_mov_b32 s19, exec_lo
	s_delay_alu instid0(VALU_DEP_2)
	v_cmpx_ne_u32_e32 0x7f, v24
	s_cbranch_execz .LBB466_2054
; %bb.2051:                             ;   in Loop: Header=BB466_8 Depth=1
	v_and_b32_e32 v18, 7, v9
	v_mov_b32_e32 v33, v19
	v_lshrrev_b32_e32 v13, 3, v24
	s_mov_b32 s20, exec_lo
	s_delay_alu instid0(VALU_DEP_3)
	v_mov_b32_e32 v32, v18
	v_cmpx_gt_u32_e32 8, v24
; %bb.2052:                             ;   in Loop: Header=BB466_8 Depth=1
	v_clz_i32_u32_e32 v13, v18
	s_delay_alu instid0(VALU_DEP_1) | instskip(NEXT) | instid1(VALU_DEP_1)
	v_min_u32_e32 v13, 32, v13
	v_subrev_nc_u32_e32 v24, 28, v13
	v_sub_nc_u32_e32 v13, 29, v13
	s_delay_alu instid0(VALU_DEP_2) | instskip(NEXT) | instid1(VALU_DEP_1)
	v_lshlrev_b64 v[24:25], v24, v[18:19]
	v_and_b32_e32 v32, 7, v24
; %bb.2053:                             ;   in Loop: Header=BB466_8 Depth=1
	s_or_b32 exec_lo, exec_lo, s20
	v_lshlrev_b32_e32 v9, 24, v9
	s_delay_alu instid0(VALU_DEP_2) | instskip(SKIP_1) | instid1(VALU_DEP_3)
	v_lshlrev_b32_e32 v18, 20, v32
	v_lshl_add_u32 v13, v13, 23, 0x3c000000
	v_and_b32_e32 v9, 0x80000000, v9
	s_delay_alu instid0(VALU_DEP_1)
	v_or3_b32 v13, v18, v9, v13
.LBB466_2054:                           ;   in Loop: Header=BB466_8 Depth=1
	s_or_b32 exec_lo, exec_lo, s19
.LBB466_2055:                           ;   in Loop: Header=BB466_8 Depth=1
	s_delay_alu instid0(SALU_CYCLE_1)
	s_or_b32 exec_lo, exec_lo, s18
.LBB466_2056:                           ;   in Loop: Header=BB466_8 Depth=1
	s_delay_alu instid0(SALU_CYCLE_1) | instskip(NEXT) | instid1(VALU_DEP_1)
	s_or_b32 exec_lo, exec_lo, s2
	v_mul_f32_e32 v13, v102, v13
	s_delay_alu instid0(VALU_DEP_1) | instskip(NEXT) | instid1(VALU_DEP_1)
	v_and_b32_e32 v9, 0x7f800000, v13
	v_cmp_ne_u32_e64 s1, 0x7f800000, v9
                                        ; implicit-def: $vgpr9
	s_delay_alu instid0(VALU_DEP_1) | instskip(NEXT) | instid1(SALU_CYCLE_1)
	s_and_saveexec_b32 s2, s1
	s_xor_b32 s1, exec_lo, s2
; %bb.2057:                             ;   in Loop: Header=BB466_8 Depth=1
	v_bfe_u32 v9, v13, 16, 1
	s_delay_alu instid0(VALU_DEP_1)
	v_add3_u32 v9, v13, v9, 0x7fff
                                        ; implicit-def: $vgpr13
; %bb.2058:                             ;   in Loop: Header=BB466_8 Depth=1
	s_and_not1_saveexec_b32 s2, s1
; %bb.2059:                             ;   in Loop: Header=BB466_8 Depth=1
	v_and_b32_e32 v9, 0xffff, v13
	v_or_b32_e32 v18, 0x10000, v13
	s_delay_alu instid0(VALU_DEP_2) | instskip(NEXT) | instid1(VALU_DEP_1)
	v_cmp_eq_u32_e64 s1, 0, v9
	v_cndmask_b32_e64 v9, v18, v13, s1
; %bb.2060:                             ;   in Loop: Header=BB466_8 Depth=1
	s_or_b32 exec_lo, exec_lo, s2
	v_mov_b32_e32 v18, 0
	s_mov_b32 s2, exec_lo
	v_cmpx_lt_u32_e32 0xffffff, v30
	s_cbranch_execz .LBB466_2068
; %bb.2061:                             ;   in Loop: Header=BB466_8 Depth=1
	v_lshrrev_b32_e32 v13, 24, v30
	v_bfrev_b32_e32 v18, 1
	s_mov_b32 s18, exec_lo
	s_delay_alu instid0(VALU_DEP_2)
	v_cmpx_ne_u32_e32 0x80, v13
	s_cbranch_execz .LBB466_2067
; %bb.2062:                             ;   in Loop: Header=BB466_8 Depth=1
	v_bfe_u32 v25, v30, 24, 7
	v_mov_b32_e32 v18, 0x7f800001
	s_mov_b32 s19, exec_lo
	s_delay_alu instid0(VALU_DEP_2)
	v_cmpx_ne_u32_e32 0x7f, v25
	s_cbranch_execz .LBB466_2066
; %bb.2063:                             ;   in Loop: Header=BB466_8 Depth=1
	v_and_b32_e32 v18, 7, v13
	v_mov_b32_e32 v33, v19
	v_lshrrev_b32_e32 v24, 3, v25
	s_mov_b32 s20, exec_lo
	s_delay_alu instid0(VALU_DEP_3)
	v_mov_b32_e32 v32, v18
	v_cmpx_gt_u32_e32 8, v25
; %bb.2064:                             ;   in Loop: Header=BB466_8 Depth=1
	v_clz_i32_u32_e32 v24, v18
	s_delay_alu instid0(VALU_DEP_1) | instskip(NEXT) | instid1(VALU_DEP_1)
	v_min_u32_e32 v24, 32, v24
	v_subrev_nc_u32_e32 v25, 28, v24
	v_sub_nc_u32_e32 v24, 29, v24
	s_delay_alu instid0(VALU_DEP_2) | instskip(NEXT) | instid1(VALU_DEP_1)
	v_lshlrev_b64 v[32:33], v25, v[18:19]
	v_and_b32_e32 v32, 7, v32
; %bb.2065:                             ;   in Loop: Header=BB466_8 Depth=1
	s_or_b32 exec_lo, exec_lo, s20
	v_lshlrev_b32_e32 v13, 24, v13
	s_delay_alu instid0(VALU_DEP_2) | instskip(SKIP_1) | instid1(VALU_DEP_3)
	v_lshlrev_b32_e32 v18, 20, v32
	v_lshl_add_u32 v24, v24, 23, 0x3c000000
	v_and_b32_e32 v13, 0x80000000, v13
	s_delay_alu instid0(VALU_DEP_1)
	v_or3_b32 v18, v18, v13, v24
.LBB466_2066:                           ;   in Loop: Header=BB466_8 Depth=1
	s_or_b32 exec_lo, exec_lo, s19
.LBB466_2067:                           ;   in Loop: Header=BB466_8 Depth=1
	s_delay_alu instid0(SALU_CYCLE_1)
	s_or_b32 exec_lo, exec_lo, s18
.LBB466_2068:                           ;   in Loop: Header=BB466_8 Depth=1
	s_delay_alu instid0(SALU_CYCLE_1) | instskip(NEXT) | instid1(VALU_DEP_1)
	s_or_b32 exec_lo, exec_lo, s2
	v_mul_f32_e32 v13, v102, v18
                                        ; implicit-def: $vgpr100
	s_delay_alu instid0(VALU_DEP_1) | instskip(NEXT) | instid1(VALU_DEP_1)
	v_and_b32_e32 v18, 0x7f800000, v13
	v_cmp_ne_u32_e64 s1, 0x7f800000, v18
	s_delay_alu instid0(VALU_DEP_1) | instskip(NEXT) | instid1(SALU_CYCLE_1)
	s_and_saveexec_b32 s2, s1
	s_xor_b32 s1, exec_lo, s2
; %bb.2069:                             ;   in Loop: Header=BB466_8 Depth=1
	v_bfe_u32 v18, v13, 16, 1
	s_delay_alu instid0(VALU_DEP_1)
	v_add3_u32 v100, v13, v18, 0x7fff
                                        ; implicit-def: $vgpr13
; %bb.2070:                             ;   in Loop: Header=BB466_8 Depth=1
	s_and_not1_saveexec_b32 s2, s1
; %bb.2071:                             ;   in Loop: Header=BB466_8 Depth=1
	v_and_b32_e32 v18, 0xffff, v13
	v_or_b32_e32 v24, 0x10000, v13
	s_delay_alu instid0(VALU_DEP_2) | instskip(NEXT) | instid1(VALU_DEP_1)
	v_cmp_eq_u32_e64 s1, 0, v18
	v_cndmask_b32_e64 v100, v24, v13, s1
; %bb.2072:                             ;   in Loop: Header=BB466_8 Depth=1
	s_or_b32 exec_lo, exec_lo, s2
	v_dual_mov_b32 v13, 0 :: v_dual_and_b32 v24, 0xff, v31
	v_mov_b32_e32 v18, v31
	s_mov_b32 s2, exec_lo
	s_delay_alu instid0(VALU_DEP_2)
	v_cmpx_ne_u16_e32 0, v24
	s_cbranch_execz .LBB466_2080
; %bb.2073:                             ;   in Loop: Header=BB466_8 Depth=1
	v_bfrev_b32_e32 v13, 1
	s_mov_b32 s18, exec_lo
	v_cmpx_ne_u16_e32 0x80, v24
	s_cbranch_execz .LBB466_2079
; %bb.2074:                             ;   in Loop: Header=BB466_8 Depth=1
	v_and_b32_e32 v24, 0x7f, v31
	v_mov_b32_e32 v13, 0x7f800001
	s_mov_b32 s19, exec_lo
	s_delay_alu instid0(VALU_DEP_2)
	v_cmpx_ne_u32_e32 0x7f, v24
	s_cbranch_execz .LBB466_2078
; %bb.2075:                             ;   in Loop: Header=BB466_8 Depth=1
	v_dual_mov_b32 v33, v19 :: v_dual_mov_b32 v32, v18
	v_lshrrev_b32_e32 v13, 3, v24
	s_mov_b32 s20, exec_lo
	v_cmpx_gt_u32_e32 8, v24
; %bb.2076:                             ;   in Loop: Header=BB466_8 Depth=1
	v_and_b32_e32 v13, 7, v31
	s_delay_alu instid0(VALU_DEP_1) | instskip(NEXT) | instid1(VALU_DEP_1)
	v_clz_i32_u32_e32 v13, v13
	v_min_u32_e32 v13, 32, v13
	s_delay_alu instid0(VALU_DEP_1) | instskip(SKIP_1) | instid1(VALU_DEP_2)
	v_subrev_nc_u32_e32 v24, 28, v13
	v_sub_nc_u32_e32 v13, 29, v13
	v_lshlrev_b64 v[32:33], v24, v[18:19]
; %bb.2077:                             ;   in Loop: Header=BB466_8 Depth=1
	s_or_b32 exec_lo, exec_lo, s20
	s_delay_alu instid0(VALU_DEP_1) | instskip(SKIP_2) | instid1(VALU_DEP_3)
	v_lshlrev_b32_e32 v24, 20, v32
	v_lshlrev_b32_e32 v25, 24, v18
	v_lshl_add_u32 v13, v13, 23, 0x3c000000
	v_and_b32_e32 v24, 0x700000, v24
	s_delay_alu instid0(VALU_DEP_3) | instskip(NEXT) | instid1(VALU_DEP_1)
	v_and_b32_e32 v25, 0x80000000, v25
	v_or3_b32 v13, v24, v25, v13
.LBB466_2078:                           ;   in Loop: Header=BB466_8 Depth=1
	s_or_b32 exec_lo, exec_lo, s19
.LBB466_2079:                           ;   in Loop: Header=BB466_8 Depth=1
	s_delay_alu instid0(SALU_CYCLE_1)
	s_or_b32 exec_lo, exec_lo, s18
.LBB466_2080:                           ;   in Loop: Header=BB466_8 Depth=1
	s_delay_alu instid0(SALU_CYCLE_1) | instskip(NEXT) | instid1(VALU_DEP_1)
	s_or_b32 exec_lo, exec_lo, s2
	v_mul_f32_e32 v24, v102, v13
	s_delay_alu instid0(VALU_DEP_1) | instskip(NEXT) | instid1(VALU_DEP_1)
	v_and_b32_e32 v13, 0x7f800000, v24
	v_cmp_ne_u32_e64 s1, 0x7f800000, v13
                                        ; implicit-def: $vgpr13
	s_delay_alu instid0(VALU_DEP_1) | instskip(NEXT) | instid1(SALU_CYCLE_1)
	s_and_saveexec_b32 s2, s1
	s_xor_b32 s1, exec_lo, s2
; %bb.2081:                             ;   in Loop: Header=BB466_8 Depth=1
	v_bfe_u32 v13, v24, 16, 1
	s_delay_alu instid0(VALU_DEP_1)
	v_add3_u32 v13, v24, v13, 0x7fff
                                        ; implicit-def: $vgpr24
; %bb.2082:                             ;   in Loop: Header=BB466_8 Depth=1
	s_and_not1_saveexec_b32 s2, s1
; %bb.2083:                             ;   in Loop: Header=BB466_8 Depth=1
	v_and_b32_e32 v13, 0xffff, v24
	v_or_b32_e32 v25, 0x10000, v24
	s_delay_alu instid0(VALU_DEP_2) | instskip(NEXT) | instid1(VALU_DEP_1)
	v_cmp_eq_u32_e64 s1, 0, v13
	v_cndmask_b32_e64 v13, v25, v24, s1
; %bb.2084:                             ;   in Loop: Header=BB466_8 Depth=1
	s_or_b32 exec_lo, exec_lo, s2
	v_lshrrev_b16 v25, 8, v18
	v_mov_b32_e32 v24, 0
	s_mov_b32 s2, exec_lo
	s_delay_alu instid0(VALU_DEP_2)
	v_cmpx_ne_u16_e32 0, v25
	s_cbranch_execz .LBB466_2092
; %bb.2085:                             ;   in Loop: Header=BB466_8 Depth=1
	v_bfrev_b32_e32 v24, 1
	s_mov_b32 s18, exec_lo
	v_cmpx_ne_u16_e32 0x80, v25
	s_cbranch_execz .LBB466_2091
; %bb.2086:                             ;   in Loop: Header=BB466_8 Depth=1
	v_and_b32_e32 v32, 0xffff, v25
	v_mov_b32_e32 v24, 0x7f800001
	s_mov_b32 s19, exec_lo
	s_delay_alu instid0(VALU_DEP_2) | instskip(NEXT) | instid1(VALU_DEP_1)
	v_and_b32_e32 v25, 0x7f, v32
	v_cmpx_ne_u32_e32 0x7f, v25
	s_cbranch_execz .LBB466_2090
; %bb.2087:                             ;   in Loop: Header=BB466_8 Depth=1
	v_dual_mov_b32 v33, v19 :: v_dual_and_b32 v32, 7, v32
	v_lshrrev_b32_e32 v24, 3, v25
	s_mov_b32 s20, exec_lo
	v_cmpx_gt_u32_e32 8, v25
; %bb.2088:                             ;   in Loop: Header=BB466_8 Depth=1
	s_delay_alu instid0(VALU_DEP_3) | instskip(NEXT) | instid1(VALU_DEP_1)
	v_clz_i32_u32_e32 v24, v32
	v_min_u32_e32 v24, 32, v24
	s_delay_alu instid0(VALU_DEP_1) | instskip(SKIP_1) | instid1(VALU_DEP_2)
	v_subrev_nc_u32_e32 v25, 28, v24
	v_sub_nc_u32_e32 v24, 29, v24
	v_lshlrev_b64 v[32:33], v25, v[32:33]
	s_delay_alu instid0(VALU_DEP_1)
	v_and_b32_e32 v32, 7, v32
; %bb.2089:                             ;   in Loop: Header=BB466_8 Depth=1
	s_or_b32 exec_lo, exec_lo, s20
	v_lshlrev_b32_e32 v18, 16, v18
	s_delay_alu instid0(VALU_DEP_2) | instskip(SKIP_1) | instid1(VALU_DEP_3)
	v_lshlrev_b32_e32 v25, 20, v32
	v_lshl_add_u32 v24, v24, 23, 0x3c000000
	v_and_b32_e32 v18, 0x80000000, v18
	s_delay_alu instid0(VALU_DEP_1)
	v_or3_b32 v24, v25, v18, v24
.LBB466_2090:                           ;   in Loop: Header=BB466_8 Depth=1
	s_or_b32 exec_lo, exec_lo, s19
.LBB466_2091:                           ;   in Loop: Header=BB466_8 Depth=1
	s_delay_alu instid0(SALU_CYCLE_1)
	s_or_b32 exec_lo, exec_lo, s18
.LBB466_2092:                           ;   in Loop: Header=BB466_8 Depth=1
	s_delay_alu instid0(SALU_CYCLE_1) | instskip(NEXT) | instid1(VALU_DEP_1)
	s_or_b32 exec_lo, exec_lo, s2
	v_mul_f32_e32 v18, v102, v24
                                        ; implicit-def: $vgpr25
	s_delay_alu instid0(VALU_DEP_1) | instskip(NEXT) | instid1(VALU_DEP_1)
	v_and_b32_e32 v24, 0x7f800000, v18
	v_cmp_ne_u32_e64 s1, 0x7f800000, v24
	s_delay_alu instid0(VALU_DEP_1) | instskip(NEXT) | instid1(SALU_CYCLE_1)
	s_and_saveexec_b32 s2, s1
	s_xor_b32 s1, exec_lo, s2
; %bb.2093:                             ;   in Loop: Header=BB466_8 Depth=1
	v_bfe_u32 v24, v18, 16, 1
	s_delay_alu instid0(VALU_DEP_1)
	v_add3_u32 v25, v18, v24, 0x7fff
                                        ; implicit-def: $vgpr18
; %bb.2094:                             ;   in Loop: Header=BB466_8 Depth=1
	s_and_not1_saveexec_b32 s2, s1
; %bb.2095:                             ;   in Loop: Header=BB466_8 Depth=1
	v_and_b32_e32 v24, 0xffff, v18
	v_or_b32_e32 v25, 0x10000, v18
	s_delay_alu instid0(VALU_DEP_2) | instskip(NEXT) | instid1(VALU_DEP_1)
	v_cmp_eq_u32_e64 s1, 0, v24
	v_cndmask_b32_e64 v25, v25, v18, s1
; %bb.2096:                             ;   in Loop: Header=BB466_8 Depth=1
	s_or_b32 exec_lo, exec_lo, s2
	v_lshrrev_b32_e32 v24, 16, v31
	v_mov_b32_e32 v18, 0
	s_mov_b32 s2, exec_lo
	s_delay_alu instid0(VALU_DEP_2) | instskip(NEXT) | instid1(VALU_DEP_1)
	v_and_b32_e32 v32, 0xff, v24
	v_cmpx_ne_u16_e32 0, v32
	s_cbranch_execz .LBB466_2104
; %bb.2097:                             ;   in Loop: Header=BB466_8 Depth=1
	v_bfrev_b32_e32 v18, 1
	s_mov_b32 s18, exec_lo
	v_cmpx_ne_u16_e32 0x80, v32
	s_cbranch_execz .LBB466_2103
; %bb.2098:                             ;   in Loop: Header=BB466_8 Depth=1
	v_bfe_u32 v101, v31, 16, 7
	v_mov_b32_e32 v18, 0x7f800001
	s_mov_b32 s19, exec_lo
	s_delay_alu instid0(VALU_DEP_2)
	v_cmpx_ne_u32_e32 0x7f, v101
	s_cbranch_execz .LBB466_2102
; %bb.2099:                             ;   in Loop: Header=BB466_8 Depth=1
	v_and_b32_e32 v18, 7, v24
	v_mov_b32_e32 v33, v19
	v_lshrrev_b32_e32 v33, 3, v101
	s_mov_b32 s20, exec_lo
	s_delay_alu instid0(VALU_DEP_3)
	v_mov_b32_e32 v32, v18
	v_cmpx_gt_u32_e32 8, v101
; %bb.2100:                             ;   in Loop: Header=BB466_8 Depth=1
	v_clz_i32_u32_e32 v32, v18
	s_delay_alu instid0(VALU_DEP_1) | instskip(NEXT) | instid1(VALU_DEP_1)
	v_min_u32_e32 v101, 32, v32
	v_subrev_nc_u32_e32 v32, 28, v101
	s_delay_alu instid0(VALU_DEP_1) | instskip(SKIP_1) | instid1(VALU_DEP_2)
	v_lshlrev_b64 v[32:33], v32, v[18:19]
	v_sub_nc_u32_e32 v33, 29, v101
	v_and_b32_e32 v32, 7, v32
; %bb.2101:                             ;   in Loop: Header=BB466_8 Depth=1
	s_or_b32 exec_lo, exec_lo, s20
	v_lshlrev_b32_e32 v18, 24, v24
	s_delay_alu instid0(VALU_DEP_2) | instskip(SKIP_1) | instid1(VALU_DEP_3)
	v_lshlrev_b32_e32 v24, 20, v32
	v_lshl_add_u32 v32, v33, 23, 0x3c000000
	v_and_b32_e32 v18, 0x80000000, v18
	s_delay_alu instid0(VALU_DEP_1)
	v_or3_b32 v18, v24, v18, v32
.LBB466_2102:                           ;   in Loop: Header=BB466_8 Depth=1
	s_or_b32 exec_lo, exec_lo, s19
.LBB466_2103:                           ;   in Loop: Header=BB466_8 Depth=1
	s_delay_alu instid0(SALU_CYCLE_1)
	s_or_b32 exec_lo, exec_lo, s18
.LBB466_2104:                           ;   in Loop: Header=BB466_8 Depth=1
	s_delay_alu instid0(SALU_CYCLE_1) | instskip(NEXT) | instid1(VALU_DEP_1)
	s_or_b32 exec_lo, exec_lo, s2
	v_mul_f32_e32 v18, v102, v18
	s_delay_alu instid0(VALU_DEP_1) | instskip(NEXT) | instid1(VALU_DEP_1)
	v_and_b32_e32 v24, 0x7f800000, v18
	v_cmp_ne_u32_e64 s1, 0x7f800000, v24
                                        ; implicit-def: $vgpr24
	s_delay_alu instid0(VALU_DEP_1) | instskip(NEXT) | instid1(SALU_CYCLE_1)
	s_and_saveexec_b32 s2, s1
	s_xor_b32 s1, exec_lo, s2
; %bb.2105:                             ;   in Loop: Header=BB466_8 Depth=1
	v_bfe_u32 v24, v18, 16, 1
	s_delay_alu instid0(VALU_DEP_1)
	v_add3_u32 v24, v18, v24, 0x7fff
                                        ; implicit-def: $vgpr18
; %bb.2106:                             ;   in Loop: Header=BB466_8 Depth=1
	s_and_not1_saveexec_b32 s2, s1
; %bb.2107:                             ;   in Loop: Header=BB466_8 Depth=1
	v_and_b32_e32 v24, 0xffff, v18
	v_or_b32_e32 v32, 0x10000, v18
	s_delay_alu instid0(VALU_DEP_2) | instskip(NEXT) | instid1(VALU_DEP_1)
	v_cmp_eq_u32_e64 s1, 0, v24
	v_cndmask_b32_e64 v24, v32, v18, s1
; %bb.2108:                             ;   in Loop: Header=BB466_8 Depth=1
	s_or_b32 exec_lo, exec_lo, s2
	v_mov_b32_e32 v18, 0
	s_mov_b32 s2, exec_lo
	v_cmpx_lt_u64_e64 s[8:9], v[30:31]
	s_cbranch_execz .LBB466_2116
; %bb.2109:                             ;   in Loop: Header=BB466_8 Depth=1
	v_lshrrev_b32_e32 v32, 24, v31
	v_bfrev_b32_e32 v18, 1
	s_mov_b32 s18, exec_lo
	s_delay_alu instid0(VALU_DEP_2)
	v_cmpx_ne_u32_e32 0x80, v32
	s_cbranch_execz .LBB466_2115
; %bb.2110:                             ;   in Loop: Header=BB466_8 Depth=1
	v_bfe_u32 v33, v31, 24, 7
	v_mov_b32_e32 v18, 0x7f800001
	s_mov_b32 s19, exec_lo
	s_delay_alu instid0(VALU_DEP_2)
	v_cmpx_ne_u32_e32 0x7f, v33
	s_cbranch_execz .LBB466_2114
; %bb.2111:                             ;   in Loop: Header=BB466_8 Depth=1
	v_and_b32_e32 v18, 7, v32
	v_mov_b32_e32 v31, v19
	v_lshrrev_b32_e32 v31, 3, v33
	s_mov_b32 s20, exec_lo
	s_delay_alu instid0(VALU_DEP_3)
	v_mov_b32_e32 v30, v18
	v_cmpx_gt_u32_e32 8, v33
; %bb.2112:                             ;   in Loop: Header=BB466_8 Depth=1
	v_clz_i32_u32_e32 v30, v18
	s_delay_alu instid0(VALU_DEP_1) | instskip(NEXT) | instid1(VALU_DEP_1)
	v_min_u32_e32 v33, 32, v30
	v_subrev_nc_u32_e32 v30, 28, v33
	s_delay_alu instid0(VALU_DEP_1) | instskip(SKIP_1) | instid1(VALU_DEP_2)
	v_lshlrev_b64 v[30:31], v30, v[18:19]
	v_sub_nc_u32_e32 v31, 29, v33
	v_and_b32_e32 v30, 7, v30
; %bb.2113:                             ;   in Loop: Header=BB466_8 Depth=1
	s_or_b32 exec_lo, exec_lo, s20
	v_lshlrev_b32_e32 v18, 24, v32
	s_delay_alu instid0(VALU_DEP_2) | instskip(SKIP_1) | instid1(VALU_DEP_3)
	v_lshlrev_b32_e32 v30, 20, v30
	v_lshl_add_u32 v31, v31, 23, 0x3c000000
	v_and_b32_e32 v18, 0x80000000, v18
	s_delay_alu instid0(VALU_DEP_1)
	v_or3_b32 v18, v30, v18, v31
.LBB466_2114:                           ;   in Loop: Header=BB466_8 Depth=1
	s_or_b32 exec_lo, exec_lo, s19
.LBB466_2115:                           ;   in Loop: Header=BB466_8 Depth=1
	s_delay_alu instid0(SALU_CYCLE_1)
	s_or_b32 exec_lo, exec_lo, s18
.LBB466_2116:                           ;   in Loop: Header=BB466_8 Depth=1
	s_delay_alu instid0(SALU_CYCLE_1) | instskip(NEXT) | instid1(VALU_DEP_1)
	s_or_b32 exec_lo, exec_lo, s2
	v_mul_f32_e32 v18, v102, v18
                                        ; implicit-def: $vgpr101
	s_delay_alu instid0(VALU_DEP_1) | instskip(NEXT) | instid1(VALU_DEP_1)
	v_and_b32_e32 v30, 0x7f800000, v18
	v_cmp_ne_u32_e64 s1, 0x7f800000, v30
	s_delay_alu instid0(VALU_DEP_1) | instskip(NEXT) | instid1(SALU_CYCLE_1)
	s_and_saveexec_b32 s2, s1
	s_xor_b32 s1, exec_lo, s2
; %bb.2117:                             ;   in Loop: Header=BB466_8 Depth=1
	v_bfe_u32 v30, v18, 16, 1
	s_delay_alu instid0(VALU_DEP_1)
	v_add3_u32 v101, v18, v30, 0x7fff
                                        ; implicit-def: $vgpr18
; %bb.2118:                             ;   in Loop: Header=BB466_8 Depth=1
	s_and_not1_saveexec_b32 s2, s1
; %bb.2119:                             ;   in Loop: Header=BB466_8 Depth=1
	v_and_b32_e32 v30, 0xffff, v18
	v_or_b32_e32 v31, 0x10000, v18
	s_delay_alu instid0(VALU_DEP_2) | instskip(NEXT) | instid1(VALU_DEP_1)
	v_cmp_eq_u32_e64 s1, 0, v30
	v_cndmask_b32_e64 v101, v31, v18, s1
; %bb.2120:                             ;   in Loop: Header=BB466_8 Depth=1
	s_or_b32 exec_lo, exec_lo, s2
	flat_load_b64 v[30:31], v[28:29] offset:1536
	v_mov_b32_e32 v18, 0
	s_mov_b32 s2, exec_lo
	s_waitcnt vmcnt(0) lgkmcnt(0)
	v_and_b32_e32 v32, 0xff, v30
	s_delay_alu instid0(VALU_DEP_1)
	v_cmpx_ne_u16_e32 0, v32
	s_cbranch_execz .LBB466_2128
; %bb.2121:                             ;   in Loop: Header=BB466_8 Depth=1
	v_bfrev_b32_e32 v18, 1
	s_mov_b32 s18, exec_lo
	v_cmpx_ne_u16_e32 0x80, v32
	s_cbranch_execz .LBB466_2127
; %bb.2122:                             ;   in Loop: Header=BB466_8 Depth=1
	v_and_b32_e32 v32, 0x7f, v30
	v_mov_b32_e32 v18, 0x7f800001
	s_mov_b32 s19, exec_lo
	s_delay_alu instid0(VALU_DEP_2)
	v_cmpx_ne_u32_e32 0x7f, v32
	s_cbranch_execz .LBB466_2126
; %bb.2123:                             ;   in Loop: Header=BB466_8 Depth=1
	v_lshrrev_b32_e32 v18, 3, v32
	v_cmp_gt_u32_e64 s1, 8, v32
	v_dual_mov_b32 v33, v31 :: v_dual_mov_b32 v32, v30
	s_delay_alu instid0(VALU_DEP_2)
	s_and_saveexec_b32 s20, s1
; %bb.2124:                             ;   in Loop: Header=BB466_8 Depth=1
	v_and_b32_e32 v18, 7, v30
	s_delay_alu instid0(VALU_DEP_1) | instskip(NEXT) | instid1(VALU_DEP_1)
	v_clz_i32_u32_e32 v18, v18
	v_min_u32_e32 v18, 32, v18
	s_delay_alu instid0(VALU_DEP_1) | instskip(SKIP_1) | instid1(VALU_DEP_2)
	v_subrev_nc_u32_e32 v32, 28, v18
	v_sub_nc_u32_e32 v18, 29, v18
	v_lshlrev_b64 v[32:33], v32, v[30:31]
; %bb.2125:                             ;   in Loop: Header=BB466_8 Depth=1
	s_or_b32 exec_lo, exec_lo, s20
	s_delay_alu instid0(VALU_DEP_1) | instskip(SKIP_2) | instid1(VALU_DEP_3)
	v_lshlrev_b32_e32 v32, 20, v32
	v_lshlrev_b32_e32 v33, 24, v30
	v_lshl_add_u32 v18, v18, 23, 0x3c000000
	v_and_b32_e32 v32, 0x700000, v32
	s_delay_alu instid0(VALU_DEP_3) | instskip(NEXT) | instid1(VALU_DEP_1)
	v_and_b32_e32 v33, 0x80000000, v33
	v_or3_b32 v18, v32, v33, v18
.LBB466_2126:                           ;   in Loop: Header=BB466_8 Depth=1
	s_or_b32 exec_lo, exec_lo, s19
.LBB466_2127:                           ;   in Loop: Header=BB466_8 Depth=1
	s_delay_alu instid0(SALU_CYCLE_1)
	s_or_b32 exec_lo, exec_lo, s18
.LBB466_2128:                           ;   in Loop: Header=BB466_8 Depth=1
	s_delay_alu instid0(SALU_CYCLE_1) | instskip(NEXT) | instid1(VALU_DEP_1)
	s_or_b32 exec_lo, exec_lo, s2
	v_mul_f32_e32 v18, v102, v18
                                        ; implicit-def: $vgpr103
	s_delay_alu instid0(VALU_DEP_1) | instskip(NEXT) | instid1(VALU_DEP_1)
	v_and_b32_e32 v32, 0x7f800000, v18
	v_cmp_ne_u32_e64 s1, 0x7f800000, v32
	s_delay_alu instid0(VALU_DEP_1) | instskip(NEXT) | instid1(SALU_CYCLE_1)
	s_and_saveexec_b32 s2, s1
	s_xor_b32 s1, exec_lo, s2
; %bb.2129:                             ;   in Loop: Header=BB466_8 Depth=1
	v_bfe_u32 v32, v18, 16, 1
	s_delay_alu instid0(VALU_DEP_1)
	v_add3_u32 v103, v18, v32, 0x7fff
                                        ; implicit-def: $vgpr18
; %bb.2130:                             ;   in Loop: Header=BB466_8 Depth=1
	s_and_not1_saveexec_b32 s2, s1
; %bb.2131:                             ;   in Loop: Header=BB466_8 Depth=1
	v_and_b32_e32 v32, 0xffff, v18
	v_or_b32_e32 v33, 0x10000, v18
	s_delay_alu instid0(VALU_DEP_2) | instskip(NEXT) | instid1(VALU_DEP_1)
	v_cmp_eq_u32_e64 s1, 0, v32
	v_cndmask_b32_e64 v103, v33, v18, s1
; %bb.2132:                             ;   in Loop: Header=BB466_8 Depth=1
	s_or_b32 exec_lo, exec_lo, s2
	v_lshrrev_b16 v32, 8, v30
	v_mov_b32_e32 v18, 0
	s_mov_b32 s2, exec_lo
	s_delay_alu instid0(VALU_DEP_2)
	v_cmpx_ne_u16_e32 0, v32
	s_cbranch_execz .LBB466_2140
; %bb.2133:                             ;   in Loop: Header=BB466_8 Depth=1
	v_bfrev_b32_e32 v18, 1
	s_mov_b32 s18, exec_lo
	v_cmpx_ne_u16_e32 0x80, v32
	s_cbranch_execz .LBB466_2139
; %bb.2134:                             ;   in Loop: Header=BB466_8 Depth=1
	v_and_b32_e32 v32, 0xffff, v32
	v_mov_b32_e32 v18, 0x7f800001
	s_mov_b32 s19, exec_lo
	s_delay_alu instid0(VALU_DEP_2) | instskip(NEXT) | instid1(VALU_DEP_1)
	v_and_b32_e32 v112, 0x7f, v32
	v_cmpx_ne_u32_e32 0x7f, v112
	s_cbranch_execz .LBB466_2138
; %bb.2135:                             ;   in Loop: Header=BB466_8 Depth=1
	v_and_b32_e32 v18, 7, v32
	v_mov_b32_e32 v33, v19
	v_lshrrev_b32_e32 v33, 3, v112
	s_mov_b32 s20, exec_lo
	s_delay_alu instid0(VALU_DEP_3)
	v_mov_b32_e32 v32, v18
	v_cmpx_gt_u32_e32 8, v112
; %bb.2136:                             ;   in Loop: Header=BB466_8 Depth=1
	v_clz_i32_u32_e32 v32, v18
	s_delay_alu instid0(VALU_DEP_1) | instskip(NEXT) | instid1(VALU_DEP_1)
	v_min_u32_e32 v112, 32, v32
	v_subrev_nc_u32_e32 v32, 28, v112
	s_delay_alu instid0(VALU_DEP_1) | instskip(SKIP_1) | instid1(VALU_DEP_2)
	v_lshlrev_b64 v[32:33], v32, v[18:19]
	v_sub_nc_u32_e32 v33, 29, v112
	v_and_b32_e32 v32, 7, v32
; %bb.2137:                             ;   in Loop: Header=BB466_8 Depth=1
	s_or_b32 exec_lo, exec_lo, s20
	v_lshlrev_b32_e32 v18, 16, v30
	s_delay_alu instid0(VALU_DEP_2) | instskip(SKIP_1) | instid1(VALU_DEP_3)
	v_lshlrev_b32_e32 v32, 20, v32
	v_lshl_add_u32 v33, v33, 23, 0x3c000000
	v_and_b32_e32 v18, 0x80000000, v18
	s_delay_alu instid0(VALU_DEP_1)
	v_or3_b32 v18, v32, v18, v33
.LBB466_2138:                           ;   in Loop: Header=BB466_8 Depth=1
	s_or_b32 exec_lo, exec_lo, s19
.LBB466_2139:                           ;   in Loop: Header=BB466_8 Depth=1
	s_delay_alu instid0(SALU_CYCLE_1)
	s_or_b32 exec_lo, exec_lo, s18
.LBB466_2140:                           ;   in Loop: Header=BB466_8 Depth=1
	s_delay_alu instid0(SALU_CYCLE_1) | instskip(NEXT) | instid1(VALU_DEP_1)
	s_or_b32 exec_lo, exec_lo, s2
	v_mul_f32_e32 v18, v102, v18
                                        ; implicit-def: $vgpr112
	s_delay_alu instid0(VALU_DEP_1) | instskip(NEXT) | instid1(VALU_DEP_1)
	v_and_b32_e32 v32, 0x7f800000, v18
	v_cmp_ne_u32_e64 s1, 0x7f800000, v32
	s_delay_alu instid0(VALU_DEP_1) | instskip(NEXT) | instid1(SALU_CYCLE_1)
	s_and_saveexec_b32 s2, s1
	s_xor_b32 s1, exec_lo, s2
; %bb.2141:                             ;   in Loop: Header=BB466_8 Depth=1
	v_bfe_u32 v32, v18, 16, 1
	s_delay_alu instid0(VALU_DEP_1)
	v_add3_u32 v112, v18, v32, 0x7fff
                                        ; implicit-def: $vgpr18
; %bb.2142:                             ;   in Loop: Header=BB466_8 Depth=1
	s_and_not1_saveexec_b32 s2, s1
; %bb.2143:                             ;   in Loop: Header=BB466_8 Depth=1
	v_and_b32_e32 v32, 0xffff, v18
	v_or_b32_e32 v33, 0x10000, v18
	s_delay_alu instid0(VALU_DEP_2) | instskip(NEXT) | instid1(VALU_DEP_1)
	v_cmp_eq_u32_e64 s1, 0, v32
	v_cndmask_b32_e64 v112, v33, v18, s1
; %bb.2144:                             ;   in Loop: Header=BB466_8 Depth=1
	s_or_b32 exec_lo, exec_lo, s2
	v_lshrrev_b32_e32 v113, 16, v30
	v_mov_b32_e32 v18, 0
	s_mov_b32 s2, exec_lo
	s_delay_alu instid0(VALU_DEP_2) | instskip(NEXT) | instid1(VALU_DEP_1)
	v_and_b32_e32 v32, 0xff, v113
	v_cmpx_ne_u16_e32 0, v32
	s_cbranch_execz .LBB466_2152
; %bb.2145:                             ;   in Loop: Header=BB466_8 Depth=1
	v_bfrev_b32_e32 v18, 1
	s_mov_b32 s18, exec_lo
	v_cmpx_ne_u16_e32 0x80, v32
	s_cbranch_execz .LBB466_2151
; %bb.2146:                             ;   in Loop: Header=BB466_8 Depth=1
	v_bfe_u32 v114, v30, 16, 7
	v_mov_b32_e32 v18, 0x7f800001
	s_mov_b32 s19, exec_lo
	s_delay_alu instid0(VALU_DEP_2)
	v_cmpx_ne_u32_e32 0x7f, v114
	s_cbranch_execz .LBB466_2150
; %bb.2147:                             ;   in Loop: Header=BB466_8 Depth=1
	v_and_b32_e32 v18, 7, v113
	v_mov_b32_e32 v33, v19
	v_lshrrev_b32_e32 v33, 3, v114
	s_mov_b32 s20, exec_lo
	s_delay_alu instid0(VALU_DEP_3)
	v_mov_b32_e32 v32, v18
	v_cmpx_gt_u32_e32 8, v114
; %bb.2148:                             ;   in Loop: Header=BB466_8 Depth=1
	v_clz_i32_u32_e32 v32, v18
	s_delay_alu instid0(VALU_DEP_1) | instskip(NEXT) | instid1(VALU_DEP_1)
	v_min_u32_e32 v114, 32, v32
	v_subrev_nc_u32_e32 v32, 28, v114
	s_delay_alu instid0(VALU_DEP_1) | instskip(SKIP_1) | instid1(VALU_DEP_2)
	v_lshlrev_b64 v[32:33], v32, v[18:19]
	v_sub_nc_u32_e32 v33, 29, v114
	v_and_b32_e32 v32, 7, v32
; %bb.2149:                             ;   in Loop: Header=BB466_8 Depth=1
	s_or_b32 exec_lo, exec_lo, s20
	v_lshlrev_b32_e32 v18, 24, v113
	s_delay_alu instid0(VALU_DEP_2) | instskip(SKIP_1) | instid1(VALU_DEP_3)
	v_lshlrev_b32_e32 v32, 20, v32
	v_lshl_add_u32 v33, v33, 23, 0x3c000000
	v_and_b32_e32 v18, 0x80000000, v18
	s_delay_alu instid0(VALU_DEP_1)
	v_or3_b32 v18, v32, v18, v33
.LBB466_2150:                           ;   in Loop: Header=BB466_8 Depth=1
	s_or_b32 exec_lo, exec_lo, s19
.LBB466_2151:                           ;   in Loop: Header=BB466_8 Depth=1
	s_delay_alu instid0(SALU_CYCLE_1)
	s_or_b32 exec_lo, exec_lo, s18
.LBB466_2152:                           ;   in Loop: Header=BB466_8 Depth=1
	s_delay_alu instid0(SALU_CYCLE_1) | instskip(NEXT) | instid1(VALU_DEP_1)
	s_or_b32 exec_lo, exec_lo, s2
	v_mul_f32_e32 v18, v102, v18
                                        ; implicit-def: $vgpr113
	s_delay_alu instid0(VALU_DEP_1) | instskip(NEXT) | instid1(VALU_DEP_1)
	v_and_b32_e32 v32, 0x7f800000, v18
	v_cmp_ne_u32_e64 s1, 0x7f800000, v32
	s_delay_alu instid0(VALU_DEP_1) | instskip(NEXT) | instid1(SALU_CYCLE_1)
	s_and_saveexec_b32 s2, s1
	s_xor_b32 s1, exec_lo, s2
; %bb.2153:                             ;   in Loop: Header=BB466_8 Depth=1
	v_bfe_u32 v32, v18, 16, 1
	s_delay_alu instid0(VALU_DEP_1)
	v_add3_u32 v113, v18, v32, 0x7fff
                                        ; implicit-def: $vgpr18
; %bb.2154:                             ;   in Loop: Header=BB466_8 Depth=1
	s_and_not1_saveexec_b32 s2, s1
; %bb.2155:                             ;   in Loop: Header=BB466_8 Depth=1
	v_and_b32_e32 v32, 0xffff, v18
	v_or_b32_e32 v33, 0x10000, v18
	s_delay_alu instid0(VALU_DEP_2) | instskip(NEXT) | instid1(VALU_DEP_1)
	v_cmp_eq_u32_e64 s1, 0, v32
	v_cndmask_b32_e64 v113, v33, v18, s1
; %bb.2156:                             ;   in Loop: Header=BB466_8 Depth=1
	s_or_b32 exec_lo, exec_lo, s2
	v_mov_b32_e32 v18, 0
	s_mov_b32 s2, exec_lo
	v_cmpx_lt_u32_e32 0xffffff, v30
	s_cbranch_execz .LBB466_2164
; %bb.2157:                             ;   in Loop: Header=BB466_8 Depth=1
	v_lshrrev_b32_e32 v114, 24, v30
	v_bfrev_b32_e32 v18, 1
	s_mov_b32 s18, exec_lo
	s_delay_alu instid0(VALU_DEP_2)
	v_cmpx_ne_u32_e32 0x80, v114
	s_cbranch_execz .LBB466_2163
; %bb.2158:                             ;   in Loop: Header=BB466_8 Depth=1
	v_bfe_u32 v115, v30, 24, 7
	v_mov_b32_e32 v18, 0x7f800001
	s_mov_b32 s19, exec_lo
	s_delay_alu instid0(VALU_DEP_2)
	v_cmpx_ne_u32_e32 0x7f, v115
	s_cbranch_execz .LBB466_2162
; %bb.2159:                             ;   in Loop: Header=BB466_8 Depth=1
	v_and_b32_e32 v18, 7, v114
	v_mov_b32_e32 v33, v19
	v_lshrrev_b32_e32 v33, 3, v115
	s_mov_b32 s20, exec_lo
	s_delay_alu instid0(VALU_DEP_3)
	v_mov_b32_e32 v32, v18
	v_cmpx_gt_u32_e32 8, v115
; %bb.2160:                             ;   in Loop: Header=BB466_8 Depth=1
	v_clz_i32_u32_e32 v32, v18
	s_delay_alu instid0(VALU_DEP_1) | instskip(NEXT) | instid1(VALU_DEP_1)
	v_min_u32_e32 v115, 32, v32
	v_subrev_nc_u32_e32 v32, 28, v115
	s_delay_alu instid0(VALU_DEP_1) | instskip(SKIP_1) | instid1(VALU_DEP_2)
	v_lshlrev_b64 v[32:33], v32, v[18:19]
	v_sub_nc_u32_e32 v33, 29, v115
	v_and_b32_e32 v32, 7, v32
; %bb.2161:                             ;   in Loop: Header=BB466_8 Depth=1
	s_or_b32 exec_lo, exec_lo, s20
	v_lshlrev_b32_e32 v18, 24, v114
	s_delay_alu instid0(VALU_DEP_2) | instskip(SKIP_1) | instid1(VALU_DEP_3)
	v_lshlrev_b32_e32 v32, 20, v32
	v_lshl_add_u32 v33, v33, 23, 0x3c000000
	v_and_b32_e32 v18, 0x80000000, v18
	s_delay_alu instid0(VALU_DEP_1)
	v_or3_b32 v18, v32, v18, v33
.LBB466_2162:                           ;   in Loop: Header=BB466_8 Depth=1
	s_or_b32 exec_lo, exec_lo, s19
.LBB466_2163:                           ;   in Loop: Header=BB466_8 Depth=1
	s_delay_alu instid0(SALU_CYCLE_1)
	s_or_b32 exec_lo, exec_lo, s18
.LBB466_2164:                           ;   in Loop: Header=BB466_8 Depth=1
	s_delay_alu instid0(SALU_CYCLE_1) | instskip(NEXT) | instid1(VALU_DEP_1)
	s_or_b32 exec_lo, exec_lo, s2
	v_mul_f32_e32 v18, v102, v18
                                        ; implicit-def: $vgpr114
	s_delay_alu instid0(VALU_DEP_1) | instskip(NEXT) | instid1(VALU_DEP_1)
	v_and_b32_e32 v32, 0x7f800000, v18
	v_cmp_ne_u32_e64 s1, 0x7f800000, v32
	s_delay_alu instid0(VALU_DEP_1) | instskip(NEXT) | instid1(SALU_CYCLE_1)
	s_and_saveexec_b32 s2, s1
	s_xor_b32 s1, exec_lo, s2
; %bb.2165:                             ;   in Loop: Header=BB466_8 Depth=1
	v_bfe_u32 v32, v18, 16, 1
	s_delay_alu instid0(VALU_DEP_1)
	v_add3_u32 v114, v18, v32, 0x7fff
                                        ; implicit-def: $vgpr18
; %bb.2166:                             ;   in Loop: Header=BB466_8 Depth=1
	s_and_not1_saveexec_b32 s2, s1
; %bb.2167:                             ;   in Loop: Header=BB466_8 Depth=1
	v_and_b32_e32 v32, 0xffff, v18
	v_or_b32_e32 v33, 0x10000, v18
	s_delay_alu instid0(VALU_DEP_2) | instskip(NEXT) | instid1(VALU_DEP_1)
	v_cmp_eq_u32_e64 s1, 0, v32
	v_cndmask_b32_e64 v114, v33, v18, s1
; %bb.2168:                             ;   in Loop: Header=BB466_8 Depth=1
	s_or_b32 exec_lo, exec_lo, s2
	v_dual_mov_b32 v18, v31 :: v_dual_and_b32 v33, 0xff, v31
	v_mov_b32_e32 v32, 0
	s_mov_b32 s2, exec_lo
	s_delay_alu instid0(VALU_DEP_2)
	v_cmpx_ne_u16_e32 0, v33
	s_cbranch_execz .LBB466_2176
; %bb.2169:                             ;   in Loop: Header=BB466_8 Depth=1
	v_bfrev_b32_e32 v32, 1
	s_mov_b32 s18, exec_lo
	v_cmpx_ne_u16_e32 0x80, v33
	s_cbranch_execz .LBB466_2175
; %bb.2170:                             ;   in Loop: Header=BB466_8 Depth=1
	v_and_b32_e32 v115, 0x7f, v31
	v_mov_b32_e32 v32, 0x7f800001
	s_mov_b32 s19, exec_lo
	s_delay_alu instid0(VALU_DEP_2)
	v_cmpx_ne_u32_e32 0x7f, v115
	s_cbranch_execz .LBB466_2174
; %bb.2171:                             ;   in Loop: Header=BB466_8 Depth=1
	v_dual_mov_b32 v33, v19 :: v_dual_mov_b32 v32, v18
	v_lshrrev_b32_e32 v33, 3, v115
	s_mov_b32 s20, exec_lo
	v_cmpx_gt_u32_e32 8, v115
; %bb.2172:                             ;   in Loop: Header=BB466_8 Depth=1
	v_and_b32_e32 v32, 7, v31
	s_delay_alu instid0(VALU_DEP_1) | instskip(NEXT) | instid1(VALU_DEP_1)
	v_clz_i32_u32_e32 v32, v32
	v_min_u32_e32 v115, 32, v32
	s_delay_alu instid0(VALU_DEP_1) | instskip(NEXT) | instid1(VALU_DEP_1)
	v_subrev_nc_u32_e32 v32, 28, v115
	v_lshlrev_b64 v[32:33], v32, v[18:19]
	v_sub_nc_u32_e32 v33, 29, v115
; %bb.2173:                             ;   in Loop: Header=BB466_8 Depth=1
	s_or_b32 exec_lo, exec_lo, s20
	s_delay_alu instid0(VALU_DEP_2) | instskip(SKIP_1) | instid1(VALU_DEP_3)
	v_lshlrev_b32_e32 v32, 20, v32
	v_lshlrev_b32_e32 v115, 24, v18
	v_lshl_add_u32 v33, v33, 23, 0x3c000000
	s_delay_alu instid0(VALU_DEP_3) | instskip(NEXT) | instid1(VALU_DEP_3)
	v_and_b32_e32 v32, 0x700000, v32
	v_and_b32_e32 v115, 0x80000000, v115
	s_delay_alu instid0(VALU_DEP_1)
	v_or3_b32 v32, v32, v115, v33
.LBB466_2174:                           ;   in Loop: Header=BB466_8 Depth=1
	s_or_b32 exec_lo, exec_lo, s19
.LBB466_2175:                           ;   in Loop: Header=BB466_8 Depth=1
	s_delay_alu instid0(SALU_CYCLE_1)
	s_or_b32 exec_lo, exec_lo, s18
.LBB466_2176:                           ;   in Loop: Header=BB466_8 Depth=1
	s_delay_alu instid0(SALU_CYCLE_1) | instskip(NEXT) | instid1(VALU_DEP_1)
	s_or_b32 exec_lo, exec_lo, s2
	v_mul_f32_e32 v32, v102, v32
                                        ; implicit-def: $vgpr115
	s_delay_alu instid0(VALU_DEP_1) | instskip(NEXT) | instid1(VALU_DEP_1)
	v_and_b32_e32 v33, 0x7f800000, v32
	v_cmp_ne_u32_e64 s1, 0x7f800000, v33
	s_delay_alu instid0(VALU_DEP_1) | instskip(NEXT) | instid1(SALU_CYCLE_1)
	s_and_saveexec_b32 s2, s1
	s_xor_b32 s1, exec_lo, s2
; %bb.2177:                             ;   in Loop: Header=BB466_8 Depth=1
	v_bfe_u32 v33, v32, 16, 1
	s_delay_alu instid0(VALU_DEP_1)
	v_add3_u32 v115, v32, v33, 0x7fff
                                        ; implicit-def: $vgpr32
; %bb.2178:                             ;   in Loop: Header=BB466_8 Depth=1
	s_and_not1_saveexec_b32 s2, s1
; %bb.2179:                             ;   in Loop: Header=BB466_8 Depth=1
	v_and_b32_e32 v33, 0xffff, v32
	v_or_b32_e32 v115, 0x10000, v32
	s_delay_alu instid0(VALU_DEP_2) | instskip(NEXT) | instid1(VALU_DEP_1)
	v_cmp_eq_u32_e64 s1, 0, v33
	v_cndmask_b32_e64 v115, v115, v32, s1
; %bb.2180:                             ;   in Loop: Header=BB466_8 Depth=1
	s_or_b32 exec_lo, exec_lo, s2
	v_lshrrev_b16 v33, 8, v18
	v_mov_b32_e32 v32, 0
	s_mov_b32 s2, exec_lo
	s_delay_alu instid0(VALU_DEP_2)
	v_cmpx_ne_u16_e32 0, v33
	s_cbranch_execz .LBB466_2188
; %bb.2181:                             ;   in Loop: Header=BB466_8 Depth=1
	v_bfrev_b32_e32 v32, 1
	s_mov_b32 s18, exec_lo
	v_cmpx_ne_u16_e32 0x80, v33
	s_cbranch_execz .LBB466_2187
; %bb.2182:                             ;   in Loop: Header=BB466_8 Depth=1
	v_and_b32_e32 v33, 0xffff, v33
	v_mov_b32_e32 v32, 0x7f800001
	s_mov_b32 s19, exec_lo
	s_delay_alu instid0(VALU_DEP_2) | instskip(NEXT) | instid1(VALU_DEP_1)
	v_and_b32_e32 v117, 0x7f, v33
	v_cmpx_ne_u32_e32 0x7f, v117
	s_cbranch_execz .LBB466_2186
; %bb.2183:                             ;   in Loop: Header=BB466_8 Depth=1
	v_dual_mov_b32 v33, v19 :: v_dual_and_b32 v32, 7, v33
	v_lshrrev_b32_e32 v116, 3, v117
	s_mov_b32 s20, exec_lo
	v_cmpx_gt_u32_e32 8, v117
; %bb.2184:                             ;   in Loop: Header=BB466_8 Depth=1
	s_delay_alu instid0(VALU_DEP_3) | instskip(NEXT) | instid1(VALU_DEP_1)
	v_clz_i32_u32_e32 v116, v32
	v_min_u32_e32 v116, 32, v116
	s_delay_alu instid0(VALU_DEP_1) | instskip(SKIP_1) | instid1(VALU_DEP_2)
	v_subrev_nc_u32_e32 v117, 28, v116
	v_sub_nc_u32_e32 v116, 29, v116
	v_lshlrev_b64 v[32:33], v117, v[32:33]
	s_delay_alu instid0(VALU_DEP_1)
	v_and_b32_e32 v32, 7, v32
; %bb.2185:                             ;   in Loop: Header=BB466_8 Depth=1
	s_or_b32 exec_lo, exec_lo, s20
	v_lshlrev_b32_e32 v18, 16, v18
	s_delay_alu instid0(VALU_DEP_2) | instskip(SKIP_1) | instid1(VALU_DEP_3)
	v_lshlrev_b32_e32 v32, 20, v32
	v_lshl_add_u32 v33, v116, 23, 0x3c000000
	v_and_b32_e32 v18, 0x80000000, v18
	s_delay_alu instid0(VALU_DEP_1)
	v_or3_b32 v32, v32, v18, v33
.LBB466_2186:                           ;   in Loop: Header=BB466_8 Depth=1
	s_or_b32 exec_lo, exec_lo, s19
.LBB466_2187:                           ;   in Loop: Header=BB466_8 Depth=1
	s_delay_alu instid0(SALU_CYCLE_1)
	s_or_b32 exec_lo, exec_lo, s18
.LBB466_2188:                           ;   in Loop: Header=BB466_8 Depth=1
	s_delay_alu instid0(SALU_CYCLE_1) | instskip(NEXT) | instid1(VALU_DEP_1)
	s_or_b32 exec_lo, exec_lo, s2
	v_mul_f32_e32 v18, v102, v32
                                        ; implicit-def: $vgpr116
	s_delay_alu instid0(VALU_DEP_1) | instskip(NEXT) | instid1(VALU_DEP_1)
	v_and_b32_e32 v32, 0x7f800000, v18
	v_cmp_ne_u32_e64 s1, 0x7f800000, v32
	s_delay_alu instid0(VALU_DEP_1) | instskip(NEXT) | instid1(SALU_CYCLE_1)
	s_and_saveexec_b32 s2, s1
	s_xor_b32 s1, exec_lo, s2
; %bb.2189:                             ;   in Loop: Header=BB466_8 Depth=1
	v_bfe_u32 v32, v18, 16, 1
	s_delay_alu instid0(VALU_DEP_1)
	v_add3_u32 v116, v18, v32, 0x7fff
                                        ; implicit-def: $vgpr18
; %bb.2190:                             ;   in Loop: Header=BB466_8 Depth=1
	s_and_not1_saveexec_b32 s2, s1
; %bb.2191:                             ;   in Loop: Header=BB466_8 Depth=1
	v_and_b32_e32 v32, 0xffff, v18
	v_or_b32_e32 v33, 0x10000, v18
	s_delay_alu instid0(VALU_DEP_2) | instskip(NEXT) | instid1(VALU_DEP_1)
	v_cmp_eq_u32_e64 s1, 0, v32
	v_cndmask_b32_e64 v116, v33, v18, s1
; %bb.2192:                             ;   in Loop: Header=BB466_8 Depth=1
	s_or_b32 exec_lo, exec_lo, s2
	v_lshrrev_b32_e32 v117, 16, v31
	v_mov_b32_e32 v18, 0
	s_mov_b32 s2, exec_lo
	s_delay_alu instid0(VALU_DEP_2) | instskip(NEXT) | instid1(VALU_DEP_1)
	v_and_b32_e32 v32, 0xff, v117
	v_cmpx_ne_u16_e32 0, v32
	s_cbranch_execz .LBB466_2200
; %bb.2193:                             ;   in Loop: Header=BB466_8 Depth=1
	v_bfrev_b32_e32 v18, 1
	s_mov_b32 s18, exec_lo
	v_cmpx_ne_u16_e32 0x80, v32
	s_cbranch_execz .LBB466_2199
; %bb.2194:                             ;   in Loop: Header=BB466_8 Depth=1
	v_bfe_u32 v118, v31, 16, 7
	v_mov_b32_e32 v18, 0x7f800001
	s_mov_b32 s19, exec_lo
	s_delay_alu instid0(VALU_DEP_2)
	v_cmpx_ne_u32_e32 0x7f, v118
	s_cbranch_execz .LBB466_2198
; %bb.2195:                             ;   in Loop: Header=BB466_8 Depth=1
	v_and_b32_e32 v18, 7, v117
	v_mov_b32_e32 v33, v19
	v_lshrrev_b32_e32 v33, 3, v118
	s_mov_b32 s20, exec_lo
	s_delay_alu instid0(VALU_DEP_3)
	v_mov_b32_e32 v32, v18
	v_cmpx_gt_u32_e32 8, v118
; %bb.2196:                             ;   in Loop: Header=BB466_8 Depth=1
	v_clz_i32_u32_e32 v32, v18
	s_delay_alu instid0(VALU_DEP_1) | instskip(NEXT) | instid1(VALU_DEP_1)
	v_min_u32_e32 v118, 32, v32
	v_subrev_nc_u32_e32 v32, 28, v118
	s_delay_alu instid0(VALU_DEP_1) | instskip(SKIP_1) | instid1(VALU_DEP_2)
	v_lshlrev_b64 v[32:33], v32, v[18:19]
	v_sub_nc_u32_e32 v33, 29, v118
	v_and_b32_e32 v32, 7, v32
; %bb.2197:                             ;   in Loop: Header=BB466_8 Depth=1
	s_or_b32 exec_lo, exec_lo, s20
	v_lshlrev_b32_e32 v18, 24, v117
	s_delay_alu instid0(VALU_DEP_2) | instskip(SKIP_1) | instid1(VALU_DEP_3)
	v_lshlrev_b32_e32 v32, 20, v32
	v_lshl_add_u32 v33, v33, 23, 0x3c000000
	v_and_b32_e32 v18, 0x80000000, v18
	s_delay_alu instid0(VALU_DEP_1)
	v_or3_b32 v18, v32, v18, v33
.LBB466_2198:                           ;   in Loop: Header=BB466_8 Depth=1
	s_or_b32 exec_lo, exec_lo, s19
.LBB466_2199:                           ;   in Loop: Header=BB466_8 Depth=1
	s_delay_alu instid0(SALU_CYCLE_1)
	s_or_b32 exec_lo, exec_lo, s18
.LBB466_2200:                           ;   in Loop: Header=BB466_8 Depth=1
	s_delay_alu instid0(SALU_CYCLE_1) | instskip(NEXT) | instid1(VALU_DEP_1)
	s_or_b32 exec_lo, exec_lo, s2
	v_mul_f32_e32 v18, v102, v18
	s_delay_alu instid0(VALU_DEP_1) | instskip(NEXT) | instid1(VALU_DEP_1)
	v_and_b32_e32 v32, 0x7f800000, v18
	v_cmp_ne_u32_e64 s1, 0x7f800000, v32
                                        ; implicit-def: $vgpr32
	s_delay_alu instid0(VALU_DEP_1) | instskip(NEXT) | instid1(SALU_CYCLE_1)
	s_and_saveexec_b32 s2, s1
	s_xor_b32 s1, exec_lo, s2
; %bb.2201:                             ;   in Loop: Header=BB466_8 Depth=1
	v_bfe_u32 v32, v18, 16, 1
	s_delay_alu instid0(VALU_DEP_1)
	v_add3_u32 v32, v18, v32, 0x7fff
                                        ; implicit-def: $vgpr18
; %bb.2202:                             ;   in Loop: Header=BB466_8 Depth=1
	s_and_not1_saveexec_b32 s2, s1
; %bb.2203:                             ;   in Loop: Header=BB466_8 Depth=1
	v_and_b32_e32 v32, 0xffff, v18
	v_or_b32_e32 v33, 0x10000, v18
	s_delay_alu instid0(VALU_DEP_2) | instskip(NEXT) | instid1(VALU_DEP_1)
	v_cmp_eq_u32_e64 s1, 0, v32
	v_cndmask_b32_e64 v32, v33, v18, s1
; %bb.2204:                             ;   in Loop: Header=BB466_8 Depth=1
	s_or_b32 exec_lo, exec_lo, s2
	v_mov_b32_e32 v18, 0
	s_mov_b32 s2, exec_lo
	v_cmpx_lt_u64_e64 s[8:9], v[30:31]
	s_cbranch_execz .LBB466_2212
; %bb.2205:                             ;   in Loop: Header=BB466_8 Depth=1
	v_lshrrev_b32_e32 v33, 24, v31
	v_bfrev_b32_e32 v18, 1
	s_mov_b32 s18, exec_lo
	s_delay_alu instid0(VALU_DEP_2)
	v_cmpx_ne_u32_e32 0x80, v33
	s_cbranch_execz .LBB466_2211
; %bb.2206:                             ;   in Loop: Header=BB466_8 Depth=1
	v_bfe_u32 v117, v31, 24, 7
	v_mov_b32_e32 v18, 0x7f800001
	s_mov_b32 s19, exec_lo
	s_delay_alu instid0(VALU_DEP_2)
	v_cmpx_ne_u32_e32 0x7f, v117
	s_cbranch_execz .LBB466_2210
; %bb.2207:                             ;   in Loop: Header=BB466_8 Depth=1
	v_and_b32_e32 v18, 7, v33
	v_mov_b32_e32 v31, v19
	v_lshrrev_b32_e32 v31, 3, v117
	s_mov_b32 s20, exec_lo
	s_delay_alu instid0(VALU_DEP_3)
	v_mov_b32_e32 v30, v18
	v_cmpx_gt_u32_e32 8, v117
; %bb.2208:                             ;   in Loop: Header=BB466_8 Depth=1
	v_clz_i32_u32_e32 v30, v18
	s_delay_alu instid0(VALU_DEP_1) | instskip(NEXT) | instid1(VALU_DEP_1)
	v_min_u32_e32 v117, 32, v30
	v_subrev_nc_u32_e32 v30, 28, v117
	s_delay_alu instid0(VALU_DEP_1) | instskip(SKIP_1) | instid1(VALU_DEP_2)
	v_lshlrev_b64 v[30:31], v30, v[18:19]
	v_sub_nc_u32_e32 v31, 29, v117
	v_and_b32_e32 v30, 7, v30
; %bb.2209:                             ;   in Loop: Header=BB466_8 Depth=1
	s_or_b32 exec_lo, exec_lo, s20
	v_lshlrev_b32_e32 v18, 24, v33
	s_delay_alu instid0(VALU_DEP_2) | instskip(SKIP_1) | instid1(VALU_DEP_3)
	v_lshlrev_b32_e32 v30, 20, v30
	v_lshl_add_u32 v31, v31, 23, 0x3c000000
	v_and_b32_e32 v18, 0x80000000, v18
	s_delay_alu instid0(VALU_DEP_1)
	v_or3_b32 v18, v30, v18, v31
.LBB466_2210:                           ;   in Loop: Header=BB466_8 Depth=1
	s_or_b32 exec_lo, exec_lo, s19
.LBB466_2211:                           ;   in Loop: Header=BB466_8 Depth=1
	s_delay_alu instid0(SALU_CYCLE_1)
	s_or_b32 exec_lo, exec_lo, s18
.LBB466_2212:                           ;   in Loop: Header=BB466_8 Depth=1
	s_delay_alu instid0(SALU_CYCLE_1) | instskip(NEXT) | instid1(VALU_DEP_1)
	s_or_b32 exec_lo, exec_lo, s2
	v_mul_f32_e32 v18, v102, v18
                                        ; implicit-def: $vgpr33
	s_delay_alu instid0(VALU_DEP_1) | instskip(NEXT) | instid1(VALU_DEP_1)
	v_and_b32_e32 v30, 0x7f800000, v18
	v_cmp_ne_u32_e64 s1, 0x7f800000, v30
	s_delay_alu instid0(VALU_DEP_1) | instskip(NEXT) | instid1(SALU_CYCLE_1)
	s_and_saveexec_b32 s2, s1
	s_xor_b32 s1, exec_lo, s2
; %bb.2213:                             ;   in Loop: Header=BB466_8 Depth=1
	v_bfe_u32 v30, v18, 16, 1
	s_delay_alu instid0(VALU_DEP_1)
	v_add3_u32 v33, v18, v30, 0x7fff
                                        ; implicit-def: $vgpr18
; %bb.2214:                             ;   in Loop: Header=BB466_8 Depth=1
	s_and_not1_saveexec_b32 s2, s1
; %bb.2215:                             ;   in Loop: Header=BB466_8 Depth=1
	v_and_b32_e32 v30, 0xffff, v18
	v_or_b32_e32 v31, 0x10000, v18
	s_delay_alu instid0(VALU_DEP_2) | instskip(NEXT) | instid1(VALU_DEP_1)
	v_cmp_eq_u32_e64 s1, 0, v30
	v_cndmask_b32_e64 v33, v31, v18, s1
; %bb.2216:                             ;   in Loop: Header=BB466_8 Depth=1
	s_or_b32 exec_lo, exec_lo, s2
	flat_load_b64 v[28:29], v[28:29] offset:1544
	v_mov_b32_e32 v18, 0
	s_mov_b32 s2, exec_lo
	s_waitcnt vmcnt(0) lgkmcnt(0)
	v_and_b32_e32 v30, 0xff, v28
	s_delay_alu instid0(VALU_DEP_1)
	v_cmpx_ne_u16_e32 0, v30
	s_cbranch_execz .LBB466_2224
; %bb.2217:                             ;   in Loop: Header=BB466_8 Depth=1
	v_bfrev_b32_e32 v18, 1
	s_mov_b32 s18, exec_lo
	v_cmpx_ne_u16_e32 0x80, v30
	s_cbranch_execz .LBB466_2223
; %bb.2218:                             ;   in Loop: Header=BB466_8 Depth=1
	v_and_b32_e32 v30, 0x7f, v28
	v_mov_b32_e32 v18, 0x7f800001
	s_mov_b32 s19, exec_lo
	s_delay_alu instid0(VALU_DEP_2)
	v_cmpx_ne_u32_e32 0x7f, v30
	s_cbranch_execz .LBB466_2222
; %bb.2219:                             ;   in Loop: Header=BB466_8 Depth=1
	v_lshrrev_b32_e32 v18, 3, v30
	v_cmp_gt_u32_e64 s1, 8, v30
	v_dual_mov_b32 v31, v29 :: v_dual_mov_b32 v30, v28
	s_delay_alu instid0(VALU_DEP_2)
	s_and_saveexec_b32 s20, s1
; %bb.2220:                             ;   in Loop: Header=BB466_8 Depth=1
	v_and_b32_e32 v18, 7, v28
	s_delay_alu instid0(VALU_DEP_1) | instskip(NEXT) | instid1(VALU_DEP_1)
	v_clz_i32_u32_e32 v18, v18
	v_min_u32_e32 v18, 32, v18
	s_delay_alu instid0(VALU_DEP_1) | instskip(SKIP_1) | instid1(VALU_DEP_2)
	v_subrev_nc_u32_e32 v30, 28, v18
	v_sub_nc_u32_e32 v18, 29, v18
	v_lshlrev_b64 v[30:31], v30, v[28:29]
; %bb.2221:                             ;   in Loop: Header=BB466_8 Depth=1
	s_or_b32 exec_lo, exec_lo, s20
	s_delay_alu instid0(VALU_DEP_1) | instskip(SKIP_2) | instid1(VALU_DEP_3)
	v_lshlrev_b32_e32 v30, 20, v30
	v_lshlrev_b32_e32 v31, 24, v28
	v_lshl_add_u32 v18, v18, 23, 0x3c000000
	v_and_b32_e32 v30, 0x700000, v30
	s_delay_alu instid0(VALU_DEP_3) | instskip(NEXT) | instid1(VALU_DEP_1)
	v_and_b32_e32 v31, 0x80000000, v31
	v_or3_b32 v18, v30, v31, v18
.LBB466_2222:                           ;   in Loop: Header=BB466_8 Depth=1
	s_or_b32 exec_lo, exec_lo, s19
.LBB466_2223:                           ;   in Loop: Header=BB466_8 Depth=1
	s_delay_alu instid0(SALU_CYCLE_1)
	s_or_b32 exec_lo, exec_lo, s18
.LBB466_2224:                           ;   in Loop: Header=BB466_8 Depth=1
	s_delay_alu instid0(SALU_CYCLE_1) | instskip(NEXT) | instid1(VALU_DEP_1)
	s_or_b32 exec_lo, exec_lo, s2
	v_mul_f32_e32 v18, v102, v18
                                        ; implicit-def: $vgpr117
	s_delay_alu instid0(VALU_DEP_1) | instskip(NEXT) | instid1(VALU_DEP_1)
	v_and_b32_e32 v30, 0x7f800000, v18
	v_cmp_ne_u32_e64 s1, 0x7f800000, v30
	s_delay_alu instid0(VALU_DEP_1) | instskip(NEXT) | instid1(SALU_CYCLE_1)
	s_and_saveexec_b32 s2, s1
	s_xor_b32 s1, exec_lo, s2
; %bb.2225:                             ;   in Loop: Header=BB466_8 Depth=1
	v_bfe_u32 v30, v18, 16, 1
	s_delay_alu instid0(VALU_DEP_1)
	v_add3_u32 v117, v18, v30, 0x7fff
                                        ; implicit-def: $vgpr18
; %bb.2226:                             ;   in Loop: Header=BB466_8 Depth=1
	s_and_not1_saveexec_b32 s2, s1
; %bb.2227:                             ;   in Loop: Header=BB466_8 Depth=1
	v_and_b32_e32 v30, 0xffff, v18
	v_or_b32_e32 v31, 0x10000, v18
	s_delay_alu instid0(VALU_DEP_2) | instskip(NEXT) | instid1(VALU_DEP_1)
	v_cmp_eq_u32_e64 s1, 0, v30
	v_cndmask_b32_e64 v117, v31, v18, s1
; %bb.2228:                             ;   in Loop: Header=BB466_8 Depth=1
	s_or_b32 exec_lo, exec_lo, s2
	v_lshrrev_b16 v30, 8, v28
	v_mov_b32_e32 v18, 0
	s_mov_b32 s2, exec_lo
	s_delay_alu instid0(VALU_DEP_2)
	v_cmpx_ne_u16_e32 0, v30
	s_cbranch_execz .LBB466_2236
; %bb.2229:                             ;   in Loop: Header=BB466_8 Depth=1
	v_bfrev_b32_e32 v18, 1
	s_mov_b32 s18, exec_lo
	v_cmpx_ne_u16_e32 0x80, v30
	s_cbranch_execz .LBB466_2235
; %bb.2230:                             ;   in Loop: Header=BB466_8 Depth=1
	v_and_b32_e32 v30, 0xffff, v30
	v_mov_b32_e32 v18, 0x7f800001
	s_mov_b32 s19, exec_lo
	s_delay_alu instid0(VALU_DEP_2) | instskip(NEXT) | instid1(VALU_DEP_1)
	v_and_b32_e32 v118, 0x7f, v30
	v_cmpx_ne_u32_e32 0x7f, v118
	s_cbranch_execz .LBB466_2234
; %bb.2231:                             ;   in Loop: Header=BB466_8 Depth=1
	v_and_b32_e32 v18, 7, v30
	v_mov_b32_e32 v31, v19
	v_lshrrev_b32_e32 v31, 3, v118
	s_mov_b32 s20, exec_lo
	s_delay_alu instid0(VALU_DEP_3)
	v_mov_b32_e32 v30, v18
	v_cmpx_gt_u32_e32 8, v118
; %bb.2232:                             ;   in Loop: Header=BB466_8 Depth=1
	v_clz_i32_u32_e32 v30, v18
	s_delay_alu instid0(VALU_DEP_1) | instskip(NEXT) | instid1(VALU_DEP_1)
	v_min_u32_e32 v118, 32, v30
	v_subrev_nc_u32_e32 v30, 28, v118
	s_delay_alu instid0(VALU_DEP_1) | instskip(SKIP_1) | instid1(VALU_DEP_2)
	v_lshlrev_b64 v[30:31], v30, v[18:19]
	v_sub_nc_u32_e32 v31, 29, v118
	v_and_b32_e32 v30, 7, v30
; %bb.2233:                             ;   in Loop: Header=BB466_8 Depth=1
	s_or_b32 exec_lo, exec_lo, s20
	v_lshlrev_b32_e32 v18, 16, v28
	s_delay_alu instid0(VALU_DEP_2) | instskip(SKIP_1) | instid1(VALU_DEP_3)
	v_lshlrev_b32_e32 v30, 20, v30
	v_lshl_add_u32 v31, v31, 23, 0x3c000000
	v_and_b32_e32 v18, 0x80000000, v18
	s_delay_alu instid0(VALU_DEP_1)
	v_or3_b32 v18, v30, v18, v31
.LBB466_2234:                           ;   in Loop: Header=BB466_8 Depth=1
	s_or_b32 exec_lo, exec_lo, s19
.LBB466_2235:                           ;   in Loop: Header=BB466_8 Depth=1
	s_delay_alu instid0(SALU_CYCLE_1)
	s_or_b32 exec_lo, exec_lo, s18
.LBB466_2236:                           ;   in Loop: Header=BB466_8 Depth=1
	s_delay_alu instid0(SALU_CYCLE_1) | instskip(NEXT) | instid1(VALU_DEP_1)
	s_or_b32 exec_lo, exec_lo, s2
	v_mul_f32_e32 v18, v102, v18
                                        ; implicit-def: $vgpr118
	s_delay_alu instid0(VALU_DEP_1) | instskip(NEXT) | instid1(VALU_DEP_1)
	v_and_b32_e32 v30, 0x7f800000, v18
	v_cmp_ne_u32_e64 s1, 0x7f800000, v30
	s_delay_alu instid0(VALU_DEP_1) | instskip(NEXT) | instid1(SALU_CYCLE_1)
	s_and_saveexec_b32 s2, s1
	s_xor_b32 s1, exec_lo, s2
; %bb.2237:                             ;   in Loop: Header=BB466_8 Depth=1
	v_bfe_u32 v30, v18, 16, 1
	s_delay_alu instid0(VALU_DEP_1)
	v_add3_u32 v118, v18, v30, 0x7fff
                                        ; implicit-def: $vgpr18
; %bb.2238:                             ;   in Loop: Header=BB466_8 Depth=1
	s_and_not1_saveexec_b32 s2, s1
; %bb.2239:                             ;   in Loop: Header=BB466_8 Depth=1
	v_and_b32_e32 v30, 0xffff, v18
	v_or_b32_e32 v31, 0x10000, v18
	s_delay_alu instid0(VALU_DEP_2) | instskip(NEXT) | instid1(VALU_DEP_1)
	v_cmp_eq_u32_e64 s1, 0, v30
	v_cndmask_b32_e64 v118, v31, v18, s1
; %bb.2240:                             ;   in Loop: Header=BB466_8 Depth=1
	s_or_b32 exec_lo, exec_lo, s2
	v_lshrrev_b32_e32 v119, 16, v28
	v_mov_b32_e32 v18, 0
	s_mov_b32 s2, exec_lo
	s_delay_alu instid0(VALU_DEP_2) | instskip(NEXT) | instid1(VALU_DEP_1)
	v_and_b32_e32 v30, 0xff, v119
	v_cmpx_ne_u16_e32 0, v30
	s_cbranch_execz .LBB466_2248
; %bb.2241:                             ;   in Loop: Header=BB466_8 Depth=1
	v_bfrev_b32_e32 v18, 1
	s_mov_b32 s18, exec_lo
	v_cmpx_ne_u16_e32 0x80, v30
	s_cbranch_execz .LBB466_2247
; %bb.2242:                             ;   in Loop: Header=BB466_8 Depth=1
	v_bfe_u32 v128, v28, 16, 7
	v_mov_b32_e32 v18, 0x7f800001
	s_mov_b32 s19, exec_lo
	s_delay_alu instid0(VALU_DEP_2)
	v_cmpx_ne_u32_e32 0x7f, v128
	s_cbranch_execz .LBB466_2246
; %bb.2243:                             ;   in Loop: Header=BB466_8 Depth=1
	v_and_b32_e32 v18, 7, v119
	v_mov_b32_e32 v31, v19
	v_lshrrev_b32_e32 v31, 3, v128
	s_mov_b32 s20, exec_lo
	s_delay_alu instid0(VALU_DEP_3)
	v_mov_b32_e32 v30, v18
	v_cmpx_gt_u32_e32 8, v128
; %bb.2244:                             ;   in Loop: Header=BB466_8 Depth=1
	v_clz_i32_u32_e32 v30, v18
	s_delay_alu instid0(VALU_DEP_1) | instskip(NEXT) | instid1(VALU_DEP_1)
	v_min_u32_e32 v128, 32, v30
	v_subrev_nc_u32_e32 v30, 28, v128
	s_delay_alu instid0(VALU_DEP_1) | instskip(SKIP_1) | instid1(VALU_DEP_2)
	v_lshlrev_b64 v[30:31], v30, v[18:19]
	v_sub_nc_u32_e32 v31, 29, v128
	v_and_b32_e32 v30, 7, v30
; %bb.2245:                             ;   in Loop: Header=BB466_8 Depth=1
	s_or_b32 exec_lo, exec_lo, s20
	v_lshlrev_b32_e32 v18, 24, v119
	s_delay_alu instid0(VALU_DEP_2) | instskip(SKIP_1) | instid1(VALU_DEP_3)
	v_lshlrev_b32_e32 v30, 20, v30
	v_lshl_add_u32 v31, v31, 23, 0x3c000000
	v_and_b32_e32 v18, 0x80000000, v18
	s_delay_alu instid0(VALU_DEP_1)
	v_or3_b32 v18, v30, v18, v31
.LBB466_2246:                           ;   in Loop: Header=BB466_8 Depth=1
	s_or_b32 exec_lo, exec_lo, s19
.LBB466_2247:                           ;   in Loop: Header=BB466_8 Depth=1
	s_delay_alu instid0(SALU_CYCLE_1)
	s_or_b32 exec_lo, exec_lo, s18
.LBB466_2248:                           ;   in Loop: Header=BB466_8 Depth=1
	s_delay_alu instid0(SALU_CYCLE_1) | instskip(NEXT) | instid1(VALU_DEP_1)
	s_or_b32 exec_lo, exec_lo, s2
	v_mul_f32_e32 v18, v102, v18
                                        ; implicit-def: $vgpr119
	s_delay_alu instid0(VALU_DEP_1) | instskip(NEXT) | instid1(VALU_DEP_1)
	v_and_b32_e32 v30, 0x7f800000, v18
	v_cmp_ne_u32_e64 s1, 0x7f800000, v30
	s_delay_alu instid0(VALU_DEP_1) | instskip(NEXT) | instid1(SALU_CYCLE_1)
	s_and_saveexec_b32 s2, s1
	s_xor_b32 s1, exec_lo, s2
; %bb.2249:                             ;   in Loop: Header=BB466_8 Depth=1
	v_bfe_u32 v30, v18, 16, 1
	s_delay_alu instid0(VALU_DEP_1)
	v_add3_u32 v119, v18, v30, 0x7fff
                                        ; implicit-def: $vgpr18
; %bb.2250:                             ;   in Loop: Header=BB466_8 Depth=1
	s_and_not1_saveexec_b32 s2, s1
; %bb.2251:                             ;   in Loop: Header=BB466_8 Depth=1
	v_and_b32_e32 v30, 0xffff, v18
	v_or_b32_e32 v31, 0x10000, v18
	s_delay_alu instid0(VALU_DEP_2) | instskip(NEXT) | instid1(VALU_DEP_1)
	v_cmp_eq_u32_e64 s1, 0, v30
	v_cndmask_b32_e64 v119, v31, v18, s1
; %bb.2252:                             ;   in Loop: Header=BB466_8 Depth=1
	s_or_b32 exec_lo, exec_lo, s2
	v_mov_b32_e32 v18, 0
	s_mov_b32 s2, exec_lo
	v_cmpx_lt_u32_e32 0xffffff, v28
	s_cbranch_execz .LBB466_2260
; %bb.2253:                             ;   in Loop: Header=BB466_8 Depth=1
	v_lshrrev_b32_e32 v128, 24, v28
	v_bfrev_b32_e32 v18, 1
	s_mov_b32 s18, exec_lo
	s_delay_alu instid0(VALU_DEP_2)
	v_cmpx_ne_u32_e32 0x80, v128
	s_cbranch_execz .LBB466_2259
; %bb.2254:                             ;   in Loop: Header=BB466_8 Depth=1
	v_bfe_u32 v129, v28, 24, 7
	v_mov_b32_e32 v18, 0x7f800001
	s_mov_b32 s19, exec_lo
	s_delay_alu instid0(VALU_DEP_2)
	v_cmpx_ne_u32_e32 0x7f, v129
	s_cbranch_execz .LBB466_2258
; %bb.2255:                             ;   in Loop: Header=BB466_8 Depth=1
	v_and_b32_e32 v18, 7, v128
	v_mov_b32_e32 v31, v19
	v_lshrrev_b32_e32 v31, 3, v129
	s_mov_b32 s20, exec_lo
	s_delay_alu instid0(VALU_DEP_3)
	v_mov_b32_e32 v30, v18
	v_cmpx_gt_u32_e32 8, v129
; %bb.2256:                             ;   in Loop: Header=BB466_8 Depth=1
	v_clz_i32_u32_e32 v30, v18
	s_delay_alu instid0(VALU_DEP_1) | instskip(NEXT) | instid1(VALU_DEP_1)
	v_min_u32_e32 v129, 32, v30
	v_subrev_nc_u32_e32 v30, 28, v129
	s_delay_alu instid0(VALU_DEP_1) | instskip(SKIP_1) | instid1(VALU_DEP_2)
	v_lshlrev_b64 v[30:31], v30, v[18:19]
	v_sub_nc_u32_e32 v31, 29, v129
	v_and_b32_e32 v30, 7, v30
; %bb.2257:                             ;   in Loop: Header=BB466_8 Depth=1
	s_or_b32 exec_lo, exec_lo, s20
	v_lshlrev_b32_e32 v18, 24, v128
	s_delay_alu instid0(VALU_DEP_2) | instskip(SKIP_1) | instid1(VALU_DEP_3)
	v_lshlrev_b32_e32 v30, 20, v30
	v_lshl_add_u32 v31, v31, 23, 0x3c000000
	v_and_b32_e32 v18, 0x80000000, v18
	s_delay_alu instid0(VALU_DEP_1)
	v_or3_b32 v18, v30, v18, v31
.LBB466_2258:                           ;   in Loop: Header=BB466_8 Depth=1
	s_or_b32 exec_lo, exec_lo, s19
.LBB466_2259:                           ;   in Loop: Header=BB466_8 Depth=1
	s_delay_alu instid0(SALU_CYCLE_1)
	s_or_b32 exec_lo, exec_lo, s18
.LBB466_2260:                           ;   in Loop: Header=BB466_8 Depth=1
	s_delay_alu instid0(SALU_CYCLE_1) | instskip(NEXT) | instid1(VALU_DEP_1)
	s_or_b32 exec_lo, exec_lo, s2
	v_mul_f32_e32 v18, v102, v18
                                        ; implicit-def: $vgpr128
	s_delay_alu instid0(VALU_DEP_1) | instskip(NEXT) | instid1(VALU_DEP_1)
	v_and_b32_e32 v30, 0x7f800000, v18
	v_cmp_ne_u32_e64 s1, 0x7f800000, v30
	s_delay_alu instid0(VALU_DEP_1) | instskip(NEXT) | instid1(SALU_CYCLE_1)
	s_and_saveexec_b32 s2, s1
	s_xor_b32 s1, exec_lo, s2
; %bb.2261:                             ;   in Loop: Header=BB466_8 Depth=1
	v_bfe_u32 v30, v18, 16, 1
	s_delay_alu instid0(VALU_DEP_1)
	v_add3_u32 v128, v18, v30, 0x7fff
                                        ; implicit-def: $vgpr18
; %bb.2262:                             ;   in Loop: Header=BB466_8 Depth=1
	s_and_not1_saveexec_b32 s2, s1
; %bb.2263:                             ;   in Loop: Header=BB466_8 Depth=1
	v_and_b32_e32 v30, 0xffff, v18
	v_or_b32_e32 v31, 0x10000, v18
	s_delay_alu instid0(VALU_DEP_2) | instskip(NEXT) | instid1(VALU_DEP_1)
	v_cmp_eq_u32_e64 s1, 0, v30
	v_cndmask_b32_e64 v128, v31, v18, s1
; %bb.2264:                             ;   in Loop: Header=BB466_8 Depth=1
	s_or_b32 exec_lo, exec_lo, s2
	v_dual_mov_b32 v18, v29 :: v_dual_and_b32 v31, 0xff, v29
	v_mov_b32_e32 v30, 0
	s_mov_b32 s2, exec_lo
	s_delay_alu instid0(VALU_DEP_2)
	v_cmpx_ne_u16_e32 0, v31
	s_cbranch_execz .LBB466_2272
; %bb.2265:                             ;   in Loop: Header=BB466_8 Depth=1
	v_bfrev_b32_e32 v30, 1
	s_mov_b32 s18, exec_lo
	v_cmpx_ne_u16_e32 0x80, v31
	s_cbranch_execz .LBB466_2271
; %bb.2266:                             ;   in Loop: Header=BB466_8 Depth=1
	v_and_b32_e32 v129, 0x7f, v29
	v_mov_b32_e32 v30, 0x7f800001
	s_mov_b32 s19, exec_lo
	s_delay_alu instid0(VALU_DEP_2)
	v_cmpx_ne_u32_e32 0x7f, v129
	s_cbranch_execz .LBB466_2270
; %bb.2267:                             ;   in Loop: Header=BB466_8 Depth=1
	v_dual_mov_b32 v31, v19 :: v_dual_mov_b32 v30, v18
	v_lshrrev_b32_e32 v31, 3, v129
	s_mov_b32 s20, exec_lo
	v_cmpx_gt_u32_e32 8, v129
; %bb.2268:                             ;   in Loop: Header=BB466_8 Depth=1
	v_and_b32_e32 v30, 7, v29
	s_delay_alu instid0(VALU_DEP_1) | instskip(NEXT) | instid1(VALU_DEP_1)
	v_clz_i32_u32_e32 v30, v30
	v_min_u32_e32 v129, 32, v30
	s_delay_alu instid0(VALU_DEP_1) | instskip(NEXT) | instid1(VALU_DEP_1)
	v_subrev_nc_u32_e32 v30, 28, v129
	v_lshlrev_b64 v[30:31], v30, v[18:19]
	v_sub_nc_u32_e32 v31, 29, v129
; %bb.2269:                             ;   in Loop: Header=BB466_8 Depth=1
	s_or_b32 exec_lo, exec_lo, s20
	s_delay_alu instid0(VALU_DEP_2) | instskip(SKIP_1) | instid1(VALU_DEP_3)
	v_lshlrev_b32_e32 v30, 20, v30
	v_lshlrev_b32_e32 v129, 24, v18
	v_lshl_add_u32 v31, v31, 23, 0x3c000000
	s_delay_alu instid0(VALU_DEP_3) | instskip(NEXT) | instid1(VALU_DEP_3)
	v_and_b32_e32 v30, 0x700000, v30
	v_and_b32_e32 v129, 0x80000000, v129
	s_delay_alu instid0(VALU_DEP_1)
	v_or3_b32 v30, v30, v129, v31
.LBB466_2270:                           ;   in Loop: Header=BB466_8 Depth=1
	s_or_b32 exec_lo, exec_lo, s19
.LBB466_2271:                           ;   in Loop: Header=BB466_8 Depth=1
	s_delay_alu instid0(SALU_CYCLE_1)
	s_or_b32 exec_lo, exec_lo, s18
.LBB466_2272:                           ;   in Loop: Header=BB466_8 Depth=1
	s_delay_alu instid0(SALU_CYCLE_1) | instskip(NEXT) | instid1(VALU_DEP_1)
	s_or_b32 exec_lo, exec_lo, s2
	v_mul_f32_e32 v30, v102, v30
                                        ; implicit-def: $vgpr129
	s_delay_alu instid0(VALU_DEP_1) | instskip(NEXT) | instid1(VALU_DEP_1)
	v_and_b32_e32 v31, 0x7f800000, v30
	v_cmp_ne_u32_e64 s1, 0x7f800000, v31
	s_delay_alu instid0(VALU_DEP_1) | instskip(NEXT) | instid1(SALU_CYCLE_1)
	s_and_saveexec_b32 s2, s1
	s_xor_b32 s1, exec_lo, s2
; %bb.2273:                             ;   in Loop: Header=BB466_8 Depth=1
	v_bfe_u32 v31, v30, 16, 1
	s_delay_alu instid0(VALU_DEP_1)
	v_add3_u32 v129, v30, v31, 0x7fff
                                        ; implicit-def: $vgpr30
; %bb.2274:                             ;   in Loop: Header=BB466_8 Depth=1
	s_and_not1_saveexec_b32 s2, s1
; %bb.2275:                             ;   in Loop: Header=BB466_8 Depth=1
	v_and_b32_e32 v31, 0xffff, v30
	v_or_b32_e32 v129, 0x10000, v30
	s_delay_alu instid0(VALU_DEP_2) | instskip(NEXT) | instid1(VALU_DEP_1)
	v_cmp_eq_u32_e64 s1, 0, v31
	v_cndmask_b32_e64 v129, v129, v30, s1
; %bb.2276:                             ;   in Loop: Header=BB466_8 Depth=1
	s_or_b32 exec_lo, exec_lo, s2
	v_lshrrev_b16 v31, 8, v18
	v_mov_b32_e32 v30, 0
	s_mov_b32 s2, exec_lo
	s_delay_alu instid0(VALU_DEP_2)
	v_cmpx_ne_u16_e32 0, v31
	s_cbranch_execz .LBB466_2284
; %bb.2277:                             ;   in Loop: Header=BB466_8 Depth=1
	v_bfrev_b32_e32 v30, 1
	s_mov_b32 s18, exec_lo
	v_cmpx_ne_u16_e32 0x80, v31
	s_cbranch_execz .LBB466_2283
; %bb.2278:                             ;   in Loop: Header=BB466_8 Depth=1
	v_and_b32_e32 v31, 0xffff, v31
	v_mov_b32_e32 v30, 0x7f800001
	s_mov_b32 s19, exec_lo
	s_delay_alu instid0(VALU_DEP_2) | instskip(NEXT) | instid1(VALU_DEP_1)
	v_and_b32_e32 v131, 0x7f, v31
	v_cmpx_ne_u32_e32 0x7f, v131
	s_cbranch_execz .LBB466_2282
; %bb.2279:                             ;   in Loop: Header=BB466_8 Depth=1
	v_dual_mov_b32 v31, v19 :: v_dual_and_b32 v30, 7, v31
	v_lshrrev_b32_e32 v130, 3, v131
	s_mov_b32 s20, exec_lo
	v_cmpx_gt_u32_e32 8, v131
; %bb.2280:                             ;   in Loop: Header=BB466_8 Depth=1
	s_delay_alu instid0(VALU_DEP_3) | instskip(NEXT) | instid1(VALU_DEP_1)
	v_clz_i32_u32_e32 v130, v30
	v_min_u32_e32 v130, 32, v130
	s_delay_alu instid0(VALU_DEP_1) | instskip(SKIP_1) | instid1(VALU_DEP_2)
	v_subrev_nc_u32_e32 v131, 28, v130
	v_sub_nc_u32_e32 v130, 29, v130
	v_lshlrev_b64 v[30:31], v131, v[30:31]
	s_delay_alu instid0(VALU_DEP_1)
	v_and_b32_e32 v30, 7, v30
; %bb.2281:                             ;   in Loop: Header=BB466_8 Depth=1
	s_or_b32 exec_lo, exec_lo, s20
	v_lshlrev_b32_e32 v18, 16, v18
	s_delay_alu instid0(VALU_DEP_2) | instskip(SKIP_1) | instid1(VALU_DEP_3)
	v_lshlrev_b32_e32 v30, 20, v30
	v_lshl_add_u32 v31, v130, 23, 0x3c000000
	v_and_b32_e32 v18, 0x80000000, v18
	s_delay_alu instid0(VALU_DEP_1)
	v_or3_b32 v30, v30, v18, v31
.LBB466_2282:                           ;   in Loop: Header=BB466_8 Depth=1
	s_or_b32 exec_lo, exec_lo, s19
.LBB466_2283:                           ;   in Loop: Header=BB466_8 Depth=1
	s_delay_alu instid0(SALU_CYCLE_1)
	s_or_b32 exec_lo, exec_lo, s18
.LBB466_2284:                           ;   in Loop: Header=BB466_8 Depth=1
	s_delay_alu instid0(SALU_CYCLE_1) | instskip(NEXT) | instid1(VALU_DEP_1)
	s_or_b32 exec_lo, exec_lo, s2
	v_mul_f32_e32 v18, v102, v30
                                        ; implicit-def: $vgpr130
	s_delay_alu instid0(VALU_DEP_1) | instskip(NEXT) | instid1(VALU_DEP_1)
	v_and_b32_e32 v30, 0x7f800000, v18
	v_cmp_ne_u32_e64 s1, 0x7f800000, v30
	s_delay_alu instid0(VALU_DEP_1) | instskip(NEXT) | instid1(SALU_CYCLE_1)
	s_and_saveexec_b32 s2, s1
	s_xor_b32 s1, exec_lo, s2
; %bb.2285:                             ;   in Loop: Header=BB466_8 Depth=1
	v_bfe_u32 v30, v18, 16, 1
	s_delay_alu instid0(VALU_DEP_1)
	v_add3_u32 v130, v18, v30, 0x7fff
                                        ; implicit-def: $vgpr18
; %bb.2286:                             ;   in Loop: Header=BB466_8 Depth=1
	s_and_not1_saveexec_b32 s2, s1
; %bb.2287:                             ;   in Loop: Header=BB466_8 Depth=1
	v_and_b32_e32 v30, 0xffff, v18
	v_or_b32_e32 v31, 0x10000, v18
	s_delay_alu instid0(VALU_DEP_2) | instskip(NEXT) | instid1(VALU_DEP_1)
	v_cmp_eq_u32_e64 s1, 0, v30
	v_cndmask_b32_e64 v130, v31, v18, s1
; %bb.2288:                             ;   in Loop: Header=BB466_8 Depth=1
	s_or_b32 exec_lo, exec_lo, s2
	v_lshrrev_b32_e32 v131, 16, v29
	v_mov_b32_e32 v18, 0
	s_mov_b32 s2, exec_lo
	s_delay_alu instid0(VALU_DEP_2) | instskip(NEXT) | instid1(VALU_DEP_1)
	v_and_b32_e32 v30, 0xff, v131
	v_cmpx_ne_u16_e32 0, v30
	s_cbranch_execz .LBB466_2296
; %bb.2289:                             ;   in Loop: Header=BB466_8 Depth=1
	v_bfrev_b32_e32 v18, 1
	s_mov_b32 s18, exec_lo
	v_cmpx_ne_u16_e32 0x80, v30
	s_cbranch_execz .LBB466_2295
; %bb.2290:                             ;   in Loop: Header=BB466_8 Depth=1
	v_bfe_u32 v132, v29, 16, 7
	v_mov_b32_e32 v18, 0x7f800001
	s_mov_b32 s19, exec_lo
	s_delay_alu instid0(VALU_DEP_2)
	v_cmpx_ne_u32_e32 0x7f, v132
	s_cbranch_execz .LBB466_2294
; %bb.2291:                             ;   in Loop: Header=BB466_8 Depth=1
	v_and_b32_e32 v18, 7, v131
	v_mov_b32_e32 v31, v19
	v_lshrrev_b32_e32 v31, 3, v132
	s_mov_b32 s20, exec_lo
	s_delay_alu instid0(VALU_DEP_3)
	v_mov_b32_e32 v30, v18
	v_cmpx_gt_u32_e32 8, v132
; %bb.2292:                             ;   in Loop: Header=BB466_8 Depth=1
	v_clz_i32_u32_e32 v30, v18
	s_delay_alu instid0(VALU_DEP_1) | instskip(NEXT) | instid1(VALU_DEP_1)
	v_min_u32_e32 v132, 32, v30
	v_subrev_nc_u32_e32 v30, 28, v132
	s_delay_alu instid0(VALU_DEP_1) | instskip(SKIP_1) | instid1(VALU_DEP_2)
	v_lshlrev_b64 v[30:31], v30, v[18:19]
	v_sub_nc_u32_e32 v31, 29, v132
	v_and_b32_e32 v30, 7, v30
; %bb.2293:                             ;   in Loop: Header=BB466_8 Depth=1
	s_or_b32 exec_lo, exec_lo, s20
	v_lshlrev_b32_e32 v18, 24, v131
	s_delay_alu instid0(VALU_DEP_2) | instskip(SKIP_1) | instid1(VALU_DEP_3)
	v_lshlrev_b32_e32 v30, 20, v30
	v_lshl_add_u32 v31, v31, 23, 0x3c000000
	v_and_b32_e32 v18, 0x80000000, v18
	s_delay_alu instid0(VALU_DEP_1)
	v_or3_b32 v18, v30, v18, v31
.LBB466_2294:                           ;   in Loop: Header=BB466_8 Depth=1
	s_or_b32 exec_lo, exec_lo, s19
.LBB466_2295:                           ;   in Loop: Header=BB466_8 Depth=1
	s_delay_alu instid0(SALU_CYCLE_1)
	s_or_b32 exec_lo, exec_lo, s18
.LBB466_2296:                           ;   in Loop: Header=BB466_8 Depth=1
	s_delay_alu instid0(SALU_CYCLE_1) | instskip(NEXT) | instid1(VALU_DEP_1)
	s_or_b32 exec_lo, exec_lo, s2
	v_mul_f32_e32 v18, v102, v18
	s_delay_alu instid0(VALU_DEP_1) | instskip(NEXT) | instid1(VALU_DEP_1)
	v_and_b32_e32 v30, 0x7f800000, v18
	v_cmp_ne_u32_e64 s1, 0x7f800000, v30
                                        ; implicit-def: $vgpr30
	s_delay_alu instid0(VALU_DEP_1) | instskip(NEXT) | instid1(SALU_CYCLE_1)
	s_and_saveexec_b32 s2, s1
	s_xor_b32 s1, exec_lo, s2
; %bb.2297:                             ;   in Loop: Header=BB466_8 Depth=1
	v_bfe_u32 v30, v18, 16, 1
	s_delay_alu instid0(VALU_DEP_1)
	v_add3_u32 v30, v18, v30, 0x7fff
                                        ; implicit-def: $vgpr18
; %bb.2298:                             ;   in Loop: Header=BB466_8 Depth=1
	s_and_not1_saveexec_b32 s2, s1
; %bb.2299:                             ;   in Loop: Header=BB466_8 Depth=1
	v_and_b32_e32 v30, 0xffff, v18
	v_or_b32_e32 v31, 0x10000, v18
	s_delay_alu instid0(VALU_DEP_2) | instskip(NEXT) | instid1(VALU_DEP_1)
	v_cmp_eq_u32_e64 s1, 0, v30
	v_cndmask_b32_e64 v30, v31, v18, s1
; %bb.2300:                             ;   in Loop: Header=BB466_8 Depth=1
	s_or_b32 exec_lo, exec_lo, s2
	v_mov_b32_e32 v18, 0
	s_mov_b32 s2, exec_lo
	v_cmpx_lt_u64_e64 s[8:9], v[28:29]
	s_cbranch_execz .LBB466_2308
; %bb.2301:                             ;   in Loop: Header=BB466_8 Depth=1
	v_lshrrev_b32_e32 v31, 24, v29
	v_bfrev_b32_e32 v18, 1
	s_mov_b32 s18, exec_lo
	s_delay_alu instid0(VALU_DEP_2)
	v_cmpx_ne_u32_e32 0x80, v31
	s_cbranch_execz .LBB466_2307
; %bb.2302:                             ;   in Loop: Header=BB466_8 Depth=1
	v_bfe_u32 v131, v29, 24, 7
	v_mov_b32_e32 v18, 0x7f800001
	s_mov_b32 s19, exec_lo
	s_delay_alu instid0(VALU_DEP_2)
	v_cmpx_ne_u32_e32 0x7f, v131
	s_cbranch_execz .LBB466_2306
; %bb.2303:                             ;   in Loop: Header=BB466_8 Depth=1
	v_and_b32_e32 v18, 7, v31
	v_mov_b32_e32 v29, v19
	v_lshrrev_b32_e32 v29, 3, v131
	s_mov_b32 s20, exec_lo
	s_delay_alu instid0(VALU_DEP_3)
	v_mov_b32_e32 v28, v18
	v_cmpx_gt_u32_e32 8, v131
; %bb.2304:                             ;   in Loop: Header=BB466_8 Depth=1
	v_clz_i32_u32_e32 v28, v18
	s_delay_alu instid0(VALU_DEP_1) | instskip(NEXT) | instid1(VALU_DEP_1)
	v_min_u32_e32 v131, 32, v28
	v_subrev_nc_u32_e32 v28, 28, v131
	s_delay_alu instid0(VALU_DEP_1) | instskip(SKIP_1) | instid1(VALU_DEP_2)
	v_lshlrev_b64 v[28:29], v28, v[18:19]
	v_sub_nc_u32_e32 v29, 29, v131
	v_and_b32_e32 v28, 7, v28
; %bb.2305:                             ;   in Loop: Header=BB466_8 Depth=1
	s_or_b32 exec_lo, exec_lo, s20
	v_lshlrev_b32_e32 v18, 24, v31
	s_delay_alu instid0(VALU_DEP_2) | instskip(SKIP_1) | instid1(VALU_DEP_3)
	v_lshlrev_b32_e32 v28, 20, v28
	v_lshl_add_u32 v29, v29, 23, 0x3c000000
	v_and_b32_e32 v18, 0x80000000, v18
	s_delay_alu instid0(VALU_DEP_1)
	v_or3_b32 v18, v28, v18, v29
.LBB466_2306:                           ;   in Loop: Header=BB466_8 Depth=1
	s_or_b32 exec_lo, exec_lo, s19
.LBB466_2307:                           ;   in Loop: Header=BB466_8 Depth=1
	s_delay_alu instid0(SALU_CYCLE_1)
	s_or_b32 exec_lo, exec_lo, s18
.LBB466_2308:                           ;   in Loop: Header=BB466_8 Depth=1
	s_delay_alu instid0(SALU_CYCLE_1) | instskip(NEXT) | instid1(VALU_DEP_1)
	s_or_b32 exec_lo, exec_lo, s2
	v_mul_f32_e32 v28, v102, v18
	s_delay_alu instid0(VALU_DEP_1) | instskip(NEXT) | instid1(VALU_DEP_1)
	v_and_b32_e32 v18, 0x7f800000, v28
	v_cmp_ne_u32_e64 s1, 0x7f800000, v18
                                        ; implicit-def: $vgpr18
	s_delay_alu instid0(VALU_DEP_1) | instskip(NEXT) | instid1(SALU_CYCLE_1)
	s_and_saveexec_b32 s2, s1
	s_xor_b32 s1, exec_lo, s2
; %bb.2309:                             ;   in Loop: Header=BB466_8 Depth=1
	v_bfe_u32 v18, v28, 16, 1
	s_delay_alu instid0(VALU_DEP_1)
	v_add3_u32 v18, v28, v18, 0x7fff
                                        ; implicit-def: $vgpr28
; %bb.2310:                             ;   in Loop: Header=BB466_8 Depth=1
	s_and_not1_saveexec_b32 s2, s1
	s_cbranch_execz .LBB466_7
; %bb.2311:                             ;   in Loop: Header=BB466_8 Depth=1
	v_and_b32_e32 v18, 0xffff, v28
	v_or_b32_e32 v29, 0x10000, v28
	s_delay_alu instid0(VALU_DEP_2) | instskip(NEXT) | instid1(VALU_DEP_1)
	v_cmp_eq_u32_e64 s1, 0, v18
	v_cndmask_b32_e64 v18, v29, v28, s1
	s_branch .LBB466_7
.LBB466_2312:
	s_or_b32 exec_lo, exec_lo, s11
	s_clause 0xe
	scratch_load_b32 v12, off, s32 offset:1188
	scratch_load_b32 v15, off, s32 offset:1208
	;; [unrolled: 1-line block ×3, first 2 shown]
	scratch_load_b64 v[26:27], off, s32 offset:1216
	scratch_load_b32 v11, off, s32 offset:1224
	scratch_load_b32 v10, off, s32 offset:1228
	;; [unrolled: 1-line block ×6, first 2 shown]
	scratch_load_b64 v[80:81], off, s32 offset:1248
	scratch_load_b32 v13, off, s32 offset:1256
	scratch_load_b32 v18, off, s32 offset:1260
	scratch_load_b32 v20, off, s32 offset:1264
	scratch_load_b32 v23, off, s32 offset:1268
.LBB466_2313:
	s_or_b32 exec_lo, exec_lo, s15
	v_mbcnt_lo_u32_b32 v0, -1, 0
	s_lshr_b32 s8, s13, 16
	v_max_f32_e32 v4, v87, v87
	s_delay_alu instid0(VALU_DEP_2) | instskip(SKIP_2) | instid1(VALU_DEP_3)
	v_xor_b32_e32 v1, 16, v0
	v_xor_b32_e32 v3, 8, v0
	;; [unrolled: 1-line block ×3, first 2 shown]
	v_cmp_gt_i32_e32 vcc_lo, 32, v1
	v_cndmask_b32_e32 v1, v0, v1, vcc_lo
	s_delay_alu instid0(VALU_DEP_4) | instskip(NEXT) | instid1(VALU_DEP_2)
	v_cmp_gt_i32_e32 vcc_lo, 32, v3
	v_dual_cndmask_b32 v3, v0, v3 :: v_dual_lshlrev_b32 v2, 2, v1
	v_cmp_gt_i32_e32 vcc_lo, 32, v5
	ds_bpermute_b32 v1, v2, v87
	v_lshlrev_b32_e32 v3, 2, v3
	v_cndmask_b32_e32 v5, v0, v5, vcc_lo
	s_waitcnt lgkmcnt(0)
	v_max_f32_e32 v1, v1, v1
	s_delay_alu instid0(VALU_DEP_1) | instskip(SKIP_3) | instid1(VALU_DEP_1)
	v_max_f32_e32 v1, v4, v1
	ds_bpermute_b32 v4, v3, v1
	s_waitcnt lgkmcnt(0)
	v_max_f32_e32 v6, v4, v4
	v_dual_max_f32 v1, v1, v6 :: v_dual_lshlrev_b32 v4, 2, v5
	v_xor_b32_e32 v6, 2, v0
	ds_bpermute_b32 v5, v4, v1
	v_cmp_gt_i32_e32 vcc_lo, 32, v6
	v_cndmask_b32_e32 v6, v0, v6, vcc_lo
	s_delay_alu instid0(VALU_DEP_1) | instskip(SKIP_1) | instid1(VALU_DEP_1)
	v_lshlrev_b32_e32 v35, 2, v6
	v_xor_b32_e32 v6, 1, v0
	v_cmp_gt_i32_e32 vcc_lo, 32, v6
	s_waitcnt lgkmcnt(0)
	v_dual_max_f32 v5, v5, v5 :: v_dual_cndmask_b32 v6, v0, v6
	s_delay_alu instid0(VALU_DEP_1) | instskip(SKIP_3) | instid1(VALU_DEP_1)
	v_dual_max_f32 v1, v1, v5 :: v_dual_lshlrev_b32 v70, 2, v6
	ds_bpermute_b32 v5, v35, v1
	s_waitcnt lgkmcnt(0)
	v_max_f32_e32 v5, v5, v5
	v_max_f32_e32 v0, v1, v5
	scratch_load_b32 v5, off, s32 offset:1192 ; 4-byte Folded Reload
	ds_bpermute_b32 v1, v70, v0
	s_waitcnt vmcnt(0)
	v_cmp_eq_u32_e32 vcc_lo, 0, v5
	scratch_load_b32 v5, off, s32 offset:1196 ; 4-byte Folded Reload
	s_waitcnt vmcnt(0)
	v_lshlrev_b32_e32 v5, 2, v5
	s_and_saveexec_b32 s1, vcc_lo
	s_cbranch_execz .LBB466_2315
; %bb.2314:
	s_waitcnt lgkmcnt(0)
	v_dual_max_f32 v1, v1, v1 :: v_dual_max_f32 v0, v0, v0
	s_delay_alu instid0(VALU_DEP_1)
	v_max_f32_e32 v0, v0, v1
	ds_store_b32 v5, v0 offset:384
.LBB466_2315:
	s_or_b32 exec_lo, exec_lo, s1
	scratch_load_b32 v0, off, s32 offset:1192 ; 4-byte Folded Reload
	s_waitcnt vmcnt(0) lgkmcnt(0)
	s_waitcnt_vscnt null, 0x0
	s_barrier
	buffer_gl0_inv
	v_cmp_gt_u32_e64 s1, 4, v0
	v_mov_b32_e32 v0, 0xff7fffff
	s_delay_alu instid0(VALU_DEP_2)
	s_and_saveexec_b32 s2, s1
	s_cbranch_execz .LBB466_2317
; %bb.2316:
	ds_load_b32 v0, v23 offset:384
.LBB466_2317:
	s_or_b32 exec_lo, exec_lo, s2
	scratch_load_b32 v6, off, s32 offset:324 ; 4-byte Folded Reload
	s_waitcnt lgkmcnt(0)
	ds_bpermute_b32 v1, v35, v0
	s_waitcnt lgkmcnt(0)
	v_dual_max_f32 v0, v0, v0 :: v_dual_max_f32 v1, v1, v1
	s_delay_alu instid0(VALU_DEP_1)
	v_max_f32_e32 v0, v0, v1
	ds_bpermute_b32 v1, v70, v0
	s_waitcnt lgkmcnt(0)
	v_max_f32_e32 v1, v1, v1
	s_waitcnt vmcnt(0)
	v_subrev_nc_u32_e32 v7, s3, v6
	v_mov_b32_e32 v6, 0
	s_delay_alu instid0(VALU_DEP_3) | instskip(NEXT) | instid1(VALU_DEP_3)
	v_max_f32_e32 v0, v0, v1
	v_lshl_add_u32 v1, v7, 5, s17
	ds_bpermute_b32 v0, v6, v0
	v_min_i32_e32 v1, v1, v36
	s_delay_alu instid0(VALU_DEP_1) | instskip(NEXT) | instid1(VALU_DEP_1)
	v_subrev_nc_u32_e32 v1, s17, v1
	v_cmp_lt_i32_e64 s2, v12, v1
	s_delay_alu instid0(VALU_DEP_1)
	s_and_saveexec_b32 s9, s2
	s_cbranch_execz .LBB466_2321
; %bb.2318:
	s_getpc_b64 s[18:19]
	s_add_u32 s18, s18, llvm.amdgcn.dynlds.offset.table@rel32@lo+4
	s_addc_u32 s19, s19, llvm.amdgcn.dynlds.offset.table@rel32@hi+12
	s_ashr_i32 s11, s10, 31
	v_mov_b32_e32 v6, 0
	s_lshl_b64 s[20:21], s[10:11], 2
	v_mov_b32_e32 v8, v12
	s_add_u32 s18, s20, s18
	s_addc_u32 s19, s21, s19
	s_mov_b32 s11, 0
	s_load_b32 s3, s[18:19], 0x0
	s_waitcnt lgkmcnt(0)
	v_lshl_add_u32 v7, v12, 2, s3
	.p2align	6
.LBB466_2319:                           ; =>This Inner Loop Header: Depth=1
	ds_load_b32 v9, v7
	v_add_nc_u32_e32 v8, 0x80, v8
	s_delay_alu instid0(VALU_DEP_1) | instskip(NEXT) | instid1(VALU_DEP_1)
	v_cmp_ge_i32_e64 s3, v8, v1
	s_or_b32 s11, s3, s11
	s_waitcnt lgkmcnt(0)
	v_sub_f32_e32 v9, v9, v0
	s_delay_alu instid0(VALU_DEP_1) | instskip(NEXT) | instid1(VALU_DEP_1)
	v_mul_f32_e32 v9, 0x3fb8aa3b, v9
	v_exp_f32_e32 v9, v9
	ds_store_b32 v7, v9
	v_dual_add_f32 v6, v6, v9 :: v_dual_add_nc_u32 v7, 0x200, v7
	s_and_not1_b32 exec_lo, exec_lo, s11
	s_cbranch_execnz .LBB466_2319
; %bb.2320:
	s_or_b32 exec_lo, exec_lo, s11
.LBB466_2321:
	s_delay_alu instid0(SALU_CYCLE_1)
	s_or_b32 exec_lo, exec_lo, s9
	ds_bpermute_b32 v2, v2, v6
	s_waitcnt lgkmcnt(0)
	v_add_f32_e32 v2, v6, v2
	ds_bpermute_b32 v3, v3, v2
	s_waitcnt lgkmcnt(0)
	v_add_f32_e32 v2, v2, v3
	;; [unrolled: 3-line block ×5, first 2 shown]
	s_and_saveexec_b32 s3, vcc_lo
	s_cbranch_execz .LBB466_2323
; %bb.2322:
	ds_store_b32 v5, v2 offset:400
.LBB466_2323:
	s_or_b32 exec_lo, exec_lo, s3
	s_waitcnt lgkmcnt(0)
	s_barrier
	buffer_gl0_inv
	s_and_saveexec_b32 s3, s1
	s_cbranch_execz .LBB466_2325
; %bb.2324:
	ds_load_b32 v2, v23 offset:400
.LBB466_2325:
	s_or_b32 exec_lo, exec_lo, s3
	s_waitcnt lgkmcnt(0)
	ds_bpermute_b32 v3, v35, v2
	s_waitcnt lgkmcnt(0)
	v_add_f32_e32 v2, v2, v3
	ds_bpermute_b32 v3, v70, v2
	s_waitcnt lgkmcnt(0)
	v_dual_add_f32 v2, v2, v3 :: v_dual_mov_b32 v3, 0
	ds_bpermute_b32 v2, v3, v2
	s_and_saveexec_b32 s1, s2
	s_cbranch_execz .LBB466_2328
; %bb.2326:
	s_waitcnt lgkmcnt(0)
	v_add_f32_e32 v4, 0x358637bd, v2
	s_getpc_b64 s[2:3]
	s_add_u32 s2, s2, llvm.amdgcn.dynlds.offset.table@rel32@lo+4
	s_addc_u32 s3, s3, llvm.amdgcn.dynlds.offset.table@rel32@hi+12
	s_ashr_i32 s11, s10, 31
	s_delay_alu instid0(SALU_CYCLE_1) | instskip(SKIP_4) | instid1(VALU_DEP_1)
	s_lshl_b64 s[18:19], s[10:11], 2
	v_div_scale_f32 v3, null, v4, v4, 1.0
	s_add_u32 s2, s18, s2
	s_addc_u32 s3, s19, s3
	s_load_b32 s2, s[2:3], 0x0
	v_rcp_f32_e32 v5, v3
	s_waitcnt_depctr 0xfff
	v_fma_f32 v6, -v3, v5, 1.0
	s_delay_alu instid0(VALU_DEP_1) | instskip(SKIP_1) | instid1(VALU_DEP_1)
	v_fmac_f32_e32 v5, v6, v5
	v_div_scale_f32 v7, vcc_lo, 1.0, v4, 1.0
	v_mul_f32_e32 v6, v7, v5
	s_delay_alu instid0(VALU_DEP_1) | instskip(NEXT) | instid1(VALU_DEP_1)
	v_fma_f32 v8, -v3, v6, v7
	v_fmac_f32_e32 v6, v8, v5
	s_delay_alu instid0(VALU_DEP_1) | instskip(NEXT) | instid1(VALU_DEP_1)
	v_fma_f32 v3, -v3, v6, v7
	v_div_fmas_f32 v5, v3, v5, v6
	s_waitcnt lgkmcnt(0)
	v_lshl_add_u32 v3, v12, 2, s2
	s_mov_b32 s2, 0
	s_delay_alu instid0(VALU_DEP_2)
	v_div_fixup_f32 v4, v5, v4, 1.0
	v_mov_b32_e32 v5, v12
.LBB466_2327:                           ; =>This Inner Loop Header: Depth=1
	ds_load_b32 v6, v3
	s_waitcnt lgkmcnt(0)
	v_dual_mul_f32 v6, v4, v6 :: v_dual_add_nc_u32 v5, 0x80, v5
	s_delay_alu instid0(VALU_DEP_1) | instskip(SKIP_3) | instid1(SALU_CYCLE_1)
	v_cmp_ge_i32_e32 vcc_lo, v5, v1
	ds_store_b32 v3, v6
	v_add_nc_u32_e32 v3, 0x200, v3
	s_or_b32 s2, vcc_lo, s2
	s_and_not1_b32 exec_lo, exec_lo, s2
	s_cbranch_execnz .LBB466_2327
.LBB466_2328:
	s_or_b32 exec_lo, exec_lo, s1
	v_cmp_ne_u16_e64 s1, s8, 0
	s_mov_b32 s2, exec_lo
	s_waitcnt lgkmcnt(0)
	s_barrier
	buffer_gl0_inv
	s_cmp_lg_u32 s1, 0
	s_addc_u32 s1, s7, 0
	v_cmpx_eq_u32_e32 0, v12
	s_cbranch_execz .LBB466_2330
; %bb.2329:
	s_mul_i32 s3, s1, s4
	s_mul_i32 s8, s1, s12
	;; [unrolled: 1-line block ×3, first 2 shown]
	s_ashr_i32 s9, s8, 31
	s_ashr_i32 s15, s14, 31
	;; [unrolled: 1-line block ×3, first 2 shown]
	s_lshl_b64 s[8:9], s[8:9], 2
	s_lshl_b64 s[18:19], s[14:15], 2
	;; [unrolled: 1-line block ×3, first 2 shown]
	s_add_u32 s3, s18, s8
	s_addc_u32 s7, s19, s9
	s_add_u32 s3, s3, s12
	s_addc_u32 s7, s7, s13
	v_add_co_u32 v3, vcc_lo, s3, v28
	v_add_co_ci_u32_e32 v4, vcc_lo, s7, v25, vcc_lo
	v_add_co_u32 v5, vcc_lo, s3, v24
	v_add_co_ci_u32_e32 v6, vcc_lo, s7, v22, vcc_lo
	flat_store_b32 v[3:4], v0
	flat_store_b32 v[5:6], v2
.LBB466_2330:
	s_or_b32 exec_lo, exec_lo, s2
                                        ; implicit-def: $sgpr2
	s_and_saveexec_b32 s3, s0
	s_delay_alu instid0(SALU_CYCLE_1)
	s_xor_b32 s0, exec_lo, s3
; %bb.2331:
	s_ashr_i32 s11, s10, 31
	s_mov_b32 s2, 0
                                        ; implicit-def: $vgpr0
                                        ; implicit-def: $vgpr36
                                        ; implicit-def: $vgpr13
                                        ; kill: killed $vgpr0
                                        ; implicit-def: $vgpr16
                                        ; implicit-def: $vgpr10
                                        ; implicit-def: $vgpr11
                                        ; implicit-def: $vgpr14
                                        ; implicit-def: $vgpr15
                                        ; implicit-def: $vgpr0
                                        ; kill: killed $vgpr0
                                        ; implicit-def: $vgpr26_vgpr27
                                        ; implicit-def: $vgpr18
                                        ; implicit-def: $vgpr20
                                        ; implicit-def: $vgpr80_vgpr81
; %bb.2332:
	s_or_saveexec_b32 s7, s0
	v_dual_mov_b32 v65, s2 :: v_dual_mov_b32 v0, s10
	v_dual_mov_b32 v1, s11 :: v_dual_mov_b32 v68, s2
	v_dual_mov_b32 v66, s2 :: v_dual_and_b32 v71, 3, v12
	v_dual_mov_b32 v67, s2 :: v_dual_mov_b32 v64, s2
	v_dual_mov_b32 v55, s2 :: v_dual_mov_b32 v54, s2
	;; [unrolled: 1-line block ×10, first 2 shown]
	v_mov_b32_e32 v21, s2
	s_xor_b32 exec_lo, exec_lo, s7
	s_cbranch_execz .LBB466_5488
; %bb.2333:
	s_clause 0x1
	scratch_store_b32 off, v35, s32 offset:592
	scratch_store_b32 off, v70, s32 offset:588
	scratch_load_b32 v0, off, s32 offset:1188 ; 4-byte Folded Reload
	v_add_co_u32 v3, vcc_lo, v10, v18
	v_add_co_ci_u32_e32 v4, vcc_lo, v11, v20, vcc_lo
	s_getpc_b64 s[2:3]
	s_add_u32 s2, s2, llvm.amdgcn.dynlds.offset.table@rel32@lo+4
	s_addc_u32 s3, s3, llvm.amdgcn.dynlds.offset.table@rel32@hi+12
	s_ashr_i32 s11, s10, 31
	flat_load_b32 v26, v[26:27]
	scratch_store_b64 off, v[3:4], s32 offset:540 ; 8-byte Folded Spill
	s_lshl_b64 s[8:9], s[10:11], 2
	v_dual_mov_b32 v30, 0 :: v_dual_mov_b32 v31, 0
	s_add_u32 s2, s8, s2
	s_addc_u32 s3, s9, s3
	v_dual_mov_b32 v32, 0 :: v_dual_mov_b32 v33, 0
	s_load_b32 s0, s[2:3], 0x0
	v_dual_mov_b32 v38, 0 :: v_dual_mov_b32 v39, 0
	v_dual_mov_b32 v48, 0 :: v_dual_mov_b32 v49, 0
	;; [unrolled: 1-line block ×7, first 2 shown]
	v_mov_b32_e32 v68, 0
	s_mov_b32 s2, -1
	s_mov_b32 s3, 0xffffff
	s_mov_b32 s8, 0
	v_dual_mov_b32 v24, 0 :: v_dual_mov_b32 v25, 0
	v_dual_mov_b32 v21, 0 :: v_dual_mov_b32 v28, 0
	s_waitcnt vmcnt(1)
	v_dual_mov_b32 v29, 0 :: v_dual_lshlrev_b32 v0, 3, v0
	s_delay_alu instid0(VALU_DEP_1) | instskip(SKIP_2) | instid1(VALU_DEP_2)
	v_and_b32_e32 v2, 24, v0
	v_and_b32_e32 v3, 0xf8, v0
	v_dual_mov_b32 v13, 0 :: v_dual_add_nc_u32 v0, -1, v13
	v_or_b32_e32 v4, 0x1500, v3
	scratch_store_b32 off, v0, s32 offset:552 ; 4-byte Folded Spill
	v_or_b32_e32 v0, 0x1000, v3
	scratch_store_b32 off, v4, s32 offset:576 ; 4-byte Folded Spill
	;; [unrolled: 2-line block ×6, first 2 shown]
	v_or_b32_e32 v0, 0x1400, v3
	s_clause 0x2
	scratch_store_b32 off, v0, s32 offset:572
	scratch_store_b32 off, v4, s32 offset:580
	;; [unrolled: 1-line block ×3, first 2 shown]
	v_or_b32_e32 v3, 0x1700, v3
	s_clause 0x1
	scratch_store_b32 off, v3, s32 offset:584
	scratch_store_b32 off, v71, s32 offset:596
	scratch_load_b32 v5, off, s32 offset:1196 ; 4-byte Folded Reload
	v_lshlrev_b64 v[0:1], 2, v[16:17]
	v_lshlrev_b32_e32 v3, 5, v71
	s_delay_alu instid0(VALU_DEP_2) | instskip(NEXT) | instid1(VALU_DEP_3)
	v_add_co_u32 v0, vcc_lo, v80, v0
	v_add_co_ci_u32_e32 v1, vcc_lo, v81, v1, vcc_lo
	s_delay_alu instid0(VALU_DEP_2) | instskip(NEXT) | instid1(VALU_DEP_2)
	v_add_co_u32 v14, vcc_lo, v14, v0
	v_add_co_ci_u32_e32 v15, vcc_lo, v15, v1, vcc_lo
	s_waitcnt vmcnt(0)
	v_lshl_add_u32 v4, v5, 5, s17
	v_lshl_or_b32 v3, v5, 7, v3
	s_delay_alu instid0(VALU_DEP_2) | instskip(SKIP_1) | instid1(VALU_DEP_2)
	v_add3_u32 v85, v4, v2, 7
	s_waitcnt lgkmcnt(0)
	v_add_nc_u32_e32 v86, s0, v3
	s_branch .LBB466_2335
.LBB466_2334:                           ;   in Loop: Header=BB466_2335 Depth=1
	s_or_b32 exec_lo, exec_lo, s0
	v_and_b32_e32 v130, 0xffff0000, v45
	v_and_b32_e32 v131, 0xffff0000, v44
	;; [unrolled: 1-line block ×6, first 2 shown]
	v_add_f32_e32 v130, v131, v130
	v_and_b32_e32 v129, 0xffff0000, v46
	v_and_b32_e32 v133, 0xffff0000, v59
	;; [unrolled: 1-line block ×9, first 2 shown]
	v_add_f32_e32 v117, v117, v118
	v_dual_add_f32 v4, v5, v4 :: v_dual_add_f32 v5, v132, v133
	v_dual_add_f32 v128, v129, v128 :: v_dual_and_b32 v129, 0xffff0000, v182
	v_and_b32_e32 v133, 0xffff0000, v43
	v_dual_add_f32 v22, v37, v22 :: v_dual_and_b32 v87, 0xffff0000, v87
	s_delay_alu instid0(VALU_DEP_3) | instskip(SKIP_2) | instid1(VALU_DEP_4)
	v_add_f32_e32 v128, v130, v128
	v_and_b32_e32 v130, 0xffff0000, v181
	v_and_b32_e32 v131, 0xffff0000, v180
	v_dual_add_f32 v37, v87, v96 :: v_dual_and_b32 v132, 0xffff0000, v42
	s_delay_alu instid0(VALU_DEP_4) | instskip(SKIP_1) | instid1(VALU_DEP_4)
	v_add_f32_e32 v4, v128, v4
	v_and_b32_e32 v128, 0xffff0000, v183
	v_dual_add_f32 v130, v131, v130 :: v_dual_and_b32 v131, 0xffff0000, v164
	v_and_b32_e32 v112, 0xffff0000, v112
	s_delay_alu instid0(VALU_DEP_4) | instskip(SKIP_2) | instid1(VALU_DEP_3)
	v_dual_add_f32 v4, v4, v5 :: v_dual_and_b32 v5, 0xffff0000, v40
	v_and_b32_e32 v102, 0xffff0000, v102
	v_and_b32_e32 v101, 0xffff0000, v101
	v_dual_add_f32 v24, v24, v4 :: v_dual_and_b32 v17, 0xffff0000, v17
	v_and_b32_e32 v4, 0xffff0000, v41
	v_and_b32_e32 v1, 0xffff0000, v1
	v_and_b32_e32 v0, 0xffff0000, v0
	v_and_b32_e32 v3, 0xffff0000, v3
	v_and_b32_e32 v2, 0xffff0000, v2
	v_dual_add_f32 v4, v5, v4 :: v_dual_add_f32 v5, v132, v133
	v_dual_add_f32 v128, v129, v128 :: v_dual_and_b32 v133, 0xffff0000, v179
	v_and_b32_e32 v132, 0xffff0000, v178
	v_dual_add_f32 v22, v22, v37 :: v_dual_and_b32 v129, 0xffff0000, v166
	s_delay_alu instid0(VALU_DEP_3) | instskip(SKIP_3) | instid1(VALU_DEP_4)
	v_add_f32_e32 v128, v130, v128
	v_and_b32_e32 v130, 0xffff0000, v165
	v_dual_add_f32 v0, v0, v1 :: v_dual_add_f32 v101, v101, v102
	v_and_b32_e32 v8, 0xffff0000, v8
	v_add_f32_e32 v4, v128, v4
	s_delay_alu instid0(VALU_DEP_4) | instskip(SKIP_2) | instid1(VALU_DEP_4)
	v_dual_add_f32 v130, v131, v130 :: v_dual_and_b32 v131, 0xffff0000, v163
	v_and_b32_e32 v103, 0xffff0000, v103
	v_add_nc_u32_e32 v16, 4, v16
	v_dual_add_f32 v4, v4, v5 :: v_dual_and_b32 v5, 0xffff0000, v176
	v_add_co_u32 v14, vcc_lo, v14, 16
	s_delay_alu instid0(VALU_DEP_4) | instskip(NEXT) | instid1(VALU_DEP_3)
	v_add_f32_e32 v102, v103, v112
	v_dual_add_f32 v25, v25, v4 :: v_dual_and_b32 v4, 0xffff0000, v177
	v_and_b32_e32 v128, 0xffff0000, v167
	v_add_co_ci_u32_e32 v15, vcc_lo, 0, v15, vcc_lo
	s_delay_alu instid0(VALU_DEP_4) | instskip(NEXT) | instid1(VALU_DEP_4)
	v_add_f32_e32 v101, v101, v102
	v_add_f32_e32 v4, v5, v4
	s_delay_alu instid0(VALU_DEP_4) | instskip(SKIP_2) | instid1(VALU_DEP_3)
	v_dual_add_f32 v128, v129, v128 :: v_dual_add_f32 v5, v132, v133
	v_and_b32_e32 v129, 0xffff0000, v150
	v_dual_add_f32 v1, v2, v3 :: v_dual_add_nc_u32 v86, 0x200, v86
	v_add_f32_e32 v128, v130, v128
	v_and_b32_e32 v130, 0xffff0000, v162
	v_and_b32_e32 v9, 0xffff0000, v9
	v_add_nc_u32_e32 v85, 0x80, v85
	v_add_f32_e32 v0, v0, v1
	v_add_f32_e32 v4, v128, v4
	v_and_b32_e32 v128, 0xffff0000, v151
	v_add_f32_e32 v8, v8, v9
	s_delay_alu instid0(VALU_DEP_3) | instskip(NEXT) | instid1(VALU_DEP_3)
	v_dual_add_f32 v4, v4, v5 :: v_dual_and_b32 v5, 0xffff0000, v160
	v_add_f32_e32 v118, v129, v128
	s_delay_alu instid0(VALU_DEP_2) | instskip(NEXT) | instid1(VALU_DEP_2)
	v_add_f32_e32 v28, v28, v4
	v_dual_add_f32 v117, v117, v118 :: v_dual_and_b32 v4, 0xffff0000, v161
	s_delay_alu instid0(VALU_DEP_1) | instskip(NEXT) | instid1(VALU_DEP_1)
	v_dual_add_f32 v4, v5, v4 :: v_dual_add_f32 v5, v130, v131
	v_add_f32_e32 v4, v117, v4
	s_delay_alu instid0(VALU_DEP_1) | instskip(SKIP_2) | instid1(VALU_DEP_3)
	v_add_f32_e32 v4, v4, v5
	v_and_b32_e32 v5, 0xffff0000, v113
	v_and_b32_e32 v113, 0xffff0000, v115
	v_dual_add_f32 v29, v29, v4 :: v_dual_and_b32 v4, 0xffff0000, v114
	v_and_b32_e32 v114, 0xffff0000, v116
	s_delay_alu instid0(VALU_DEP_2) | instskip(NEXT) | instid1(VALU_DEP_2)
	v_add_f32_e32 v4, v5, v4
	v_add_f32_e32 v5, v113, v114
	s_delay_alu instid0(VALU_DEP_2) | instskip(NEXT) | instid1(VALU_DEP_1)
	v_add_f32_e32 v4, v101, v4
	v_add_f32_e32 v4, v4, v5
	v_and_b32_e32 v5, 0xffff0000, v97
	s_delay_alu instid0(VALU_DEP_2) | instskip(SKIP_2) | instid1(VALU_DEP_2)
	v_dual_add_f32 v30, v30, v4 :: v_dual_and_b32 v97, 0xffff0000, v99
	v_and_b32_e32 v4, 0xffff0000, v98
	v_and_b32_e32 v98, 0xffff0000, v100
	v_add_f32_e32 v4, v5, v4
	s_delay_alu instid0(VALU_DEP_1) | instskip(SKIP_1) | instid1(VALU_DEP_2)
	v_dual_add_f32 v5, v97, v98 :: v_dual_add_f32 v4, v22, v4
	v_and_b32_e32 v22, 0xffff0000, v83
	v_dual_add_f32 v4, v4, v5 :: v_dual_and_b32 v5, 0xffff0000, v18
	s_delay_alu instid0(VALU_DEP_1) | instskip(SKIP_2) | instid1(VALU_DEP_2)
	v_dual_add_f32 v31, v31, v4 :: v_dual_and_b32 v18, 0xffff0000, v27
	v_and_b32_e32 v4, 0xffff0000, v19
	v_and_b32_e32 v19, 0xffff0000, v84
	v_add_f32_e32 v4, v5, v4
	s_delay_alu instid0(VALU_DEP_2) | instskip(SKIP_4) | instid1(VALU_DEP_4)
	v_add_f32_e32 v18, v19, v18
	v_add_f32_e32 v17, v17, v22
	v_dual_add_f32 v5, v10, v11 :: v_dual_and_b32 v10, 0xffff0000, v70
	v_and_b32_e32 v11, 0xffff0000, v69
	v_and_b32_e32 v19, 0xffff0000, v81
	v_dual_add_f32 v17, v17, v18 :: v_dual_and_b32 v18, 0xffff0000, v191
	s_delay_alu instid0(VALU_DEP_3) | instskip(NEXT) | instid1(VALU_DEP_2)
	v_dual_add_f32 v10, v11, v10 :: v_dual_and_b32 v11, 0xffff0000, v185
	v_add_f32_e32 v4, v17, v4
	v_and_b32_e32 v17, 0xffff0000, v20
	v_and_b32_e32 v20, 0xffff0000, v82
	s_delay_alu instid0(VALU_DEP_3) | instskip(NEXT) | instid1(VALU_DEP_3)
	v_dual_add_f32 v4, v4, v5 :: v_dual_and_b32 v5, 0xffff0000, v71
	v_dual_add_f32 v17, v18, v17 :: v_dual_and_b32 v18, 0xffff0000, v190
	s_delay_alu instid0(VALU_DEP_2) | instskip(SKIP_1) | instid1(VALU_DEP_3)
	v_add_f32_e32 v32, v32, v4
	v_and_b32_e32 v4, 0xffff0000, v80
	v_dual_add_f32 v10, v17, v10 :: v_dual_and_b32 v17, 0xffff0000, v189
	s_delay_alu instid0(VALU_DEP_2) | instskip(SKIP_1) | instid1(VALU_DEP_2)
	v_add_f32_e32 v4, v5, v4
	v_add_f32_e32 v5, v19, v20
	;; [unrolled: 1-line block ×3, first 2 shown]
	v_and_b32_e32 v10, 0xffff0000, v186
	s_delay_alu instid0(VALU_DEP_2) | instskip(NEXT) | instid1(VALU_DEP_2)
	v_dual_add_f32 v4, v4, v5 :: v_dual_and_b32 v5, 0xffff0000, v187
	v_add_f32_e32 v9, v11, v10
	v_and_b32_e32 v10, 0xffff0000, v170
	v_and_b32_e32 v11, 0xffff0000, v169
	s_delay_alu instid0(VALU_DEP_4) | instskip(SKIP_2) | instid1(VALU_DEP_4)
	v_add_f32_e32 v33, v33, v4
	v_and_b32_e32 v4, 0xffff0000, v188
	v_dual_add_f32 v8, v8, v9 :: v_dual_and_b32 v9, 0xffff0000, v171
	v_dual_add_f32 v10, v11, v10 :: v_dual_and_b32 v11, 0xffff0000, v153
	s_delay_alu instid0(VALU_DEP_3) | instskip(SKIP_3) | instid1(VALU_DEP_4)
	v_add_f32_e32 v4, v5, v4
	v_add_f32_e32 v5, v17, v18
	v_and_b32_e32 v17, 0xffff0000, v175
	v_and_b32_e32 v18, 0xffff0000, v184
	v_add_f32_e32 v4, v8, v4
	v_and_b32_e32 v8, 0xffff0000, v172
	s_delay_alu instid0(VALU_DEP_2) | instskip(NEXT) | instid1(VALU_DEP_2)
	v_add_f32_e32 v4, v4, v5
	v_dual_add_f32 v8, v9, v8 :: v_dual_and_b32 v5, 0xffff0000, v173
	s_delay_alu instid0(VALU_DEP_2) | instskip(SKIP_1) | instid1(VALU_DEP_3)
	v_dual_add_f32 v38, v38, v4 :: v_dual_and_b32 v9, 0xffff0000, v155
	v_and_b32_e32 v4, 0xffff0000, v174
	v_add_f32_e32 v8, v10, v8
	v_and_b32_e32 v10, 0xffff0000, v154
	s_delay_alu instid0(VALU_DEP_3) | instskip(SKIP_1) | instid1(VALU_DEP_3)
	v_add_f32_e32 v4, v5, v4
	v_add_f32_e32 v5, v17, v18
	v_dual_add_f32 v10, v11, v10 :: v_dual_and_b32 v17, 0xffff0000, v159
	v_and_b32_e32 v18, 0xffff0000, v168
	s_delay_alu instid0(VALU_DEP_4) | instskip(SKIP_2) | instid1(VALU_DEP_3)
	v_add_f32_e32 v4, v8, v4
	v_and_b32_e32 v8, 0xffff0000, v156
	v_and_b32_e32 v11, 0xffff0000, v137
	v_add_f32_e32 v4, v4, v5
	s_delay_alu instid0(VALU_DEP_3) | instskip(SKIP_1) | instid1(VALU_DEP_3)
	v_dual_add_f32 v8, v9, v8 :: v_dual_and_b32 v5, 0xffff0000, v157
	v_and_b32_e32 v9, 0xffff0000, v139
	v_dual_add_f32 v39, v39, v4 :: v_dual_and_b32 v4, 0xffff0000, v158
	s_delay_alu instid0(VALU_DEP_3) | instskip(SKIP_1) | instid1(VALU_DEP_3)
	v_add_f32_e32 v8, v10, v8
	v_and_b32_e32 v10, 0xffff0000, v138
	v_add_f32_e32 v4, v5, v4
	v_add_f32_e32 v5, v17, v18
	s_delay_alu instid0(VALU_DEP_3) | instskip(SKIP_1) | instid1(VALU_DEP_4)
	v_dual_add_f32 v10, v11, v10 :: v_dual_and_b32 v17, 0xffff0000, v143
	v_and_b32_e32 v18, 0xffff0000, v152
	v_add_f32_e32 v4, v8, v4
	v_and_b32_e32 v8, 0xffff0000, v140
	v_and_b32_e32 v11, 0xffff0000, v121
	s_delay_alu instid0(VALU_DEP_3) | instskip(NEXT) | instid1(VALU_DEP_3)
	v_add_f32_e32 v4, v4, v5
	v_dual_add_f32 v8, v9, v8 :: v_dual_and_b32 v5, 0xffff0000, v141
	s_delay_alu instid0(VALU_DEP_2) | instskip(SKIP_1) | instid1(VALU_DEP_3)
	v_dual_add_f32 v48, v48, v4 :: v_dual_and_b32 v9, 0xffff0000, v123
	v_and_b32_e32 v4, 0xffff0000, v142
	v_add_f32_e32 v8, v10, v8
	v_and_b32_e32 v10, 0xffff0000, v122
	s_delay_alu instid0(VALU_DEP_3) | instskip(SKIP_1) | instid1(VALU_DEP_3)
	v_add_f32_e32 v4, v5, v4
	v_add_f32_e32 v5, v17, v18
	v_dual_add_f32 v10, v11, v10 :: v_dual_and_b32 v17, 0xffff0000, v127
	v_and_b32_e32 v18, 0xffff0000, v136
	s_delay_alu instid0(VALU_DEP_4) | instskip(SKIP_2) | instid1(VALU_DEP_3)
	v_add_f32_e32 v4, v8, v4
	v_and_b32_e32 v8, 0xffff0000, v124
	v_and_b32_e32 v11, 0xffff0000, v105
	v_add_f32_e32 v4, v4, v5
	s_delay_alu instid0(VALU_DEP_3) | instskip(SKIP_1) | instid1(VALU_DEP_3)
	v_dual_add_f32 v8, v9, v8 :: v_dual_and_b32 v5, 0xffff0000, v125
	v_and_b32_e32 v9, 0xffff0000, v107
	v_dual_add_f32 v49, v49, v4 :: v_dual_and_b32 v4, 0xffff0000, v126
	s_delay_alu instid0(VALU_DEP_3) | instskip(SKIP_1) | instid1(VALU_DEP_3)
	v_add_f32_e32 v8, v10, v8
	v_and_b32_e32 v10, 0xffff0000, v106
	v_add_f32_e32 v4, v5, v4
	v_add_f32_e32 v5, v17, v18
	s_delay_alu instid0(VALU_DEP_3) | instskip(SKIP_1) | instid1(VALU_DEP_4)
	v_dual_add_f32 v10, v11, v10 :: v_dual_and_b32 v17, 0xffff0000, v111
	v_and_b32_e32 v18, 0xffff0000, v120
	v_add_f32_e32 v4, v8, v4
	v_and_b32_e32 v8, 0xffff0000, v108
	v_and_b32_e32 v11, 0xffff0000, v89
	s_delay_alu instid0(VALU_DEP_3) | instskip(NEXT) | instid1(VALU_DEP_3)
	v_add_f32_e32 v4, v4, v5
	v_dual_add_f32 v8, v9, v8 :: v_dual_and_b32 v5, 0xffff0000, v109
	s_delay_alu instid0(VALU_DEP_2) | instskip(SKIP_1) | instid1(VALU_DEP_3)
	v_dual_add_f32 v50, v50, v4 :: v_dual_and_b32 v9, 0xffff0000, v91
	v_and_b32_e32 v4, 0xffff0000, v110
	v_add_f32_e32 v8, v10, v8
	v_and_b32_e32 v10, 0xffff0000, v90
	s_delay_alu instid0(VALU_DEP_3) | instskip(SKIP_1) | instid1(VALU_DEP_3)
	v_add_f32_e32 v4, v5, v4
	v_add_f32_e32 v5, v17, v18
	v_dual_add_f32 v10, v11, v10 :: v_dual_and_b32 v17, 0xffff0000, v95
	v_and_b32_e32 v18, 0xffff0000, v104
	s_delay_alu instid0(VALU_DEP_4) | instskip(SKIP_2) | instid1(VALU_DEP_3)
	v_add_f32_e32 v4, v8, v4
	v_and_b32_e32 v8, 0xffff0000, v92
	v_and_b32_e32 v11, 0xffff0000, v73
	v_add_f32_e32 v4, v4, v5
	s_delay_alu instid0(VALU_DEP_3) | instskip(SKIP_1) | instid1(VALU_DEP_3)
	v_dual_add_f32 v8, v9, v8 :: v_dual_and_b32 v5, 0xffff0000, v93
	v_and_b32_e32 v9, 0xffff0000, v75
	v_dual_add_f32 v51, v51, v4 :: v_dual_and_b32 v4, 0xffff0000, v94
	s_delay_alu instid0(VALU_DEP_3) | instskip(SKIP_1) | instid1(VALU_DEP_3)
	v_add_f32_e32 v8, v10, v8
	v_and_b32_e32 v10, 0xffff0000, v74
	v_add_f32_e32 v4, v5, v4
	v_add_f32_e32 v5, v17, v18
	s_delay_alu instid0(VALU_DEP_3) | instskip(SKIP_4) | instid1(VALU_DEP_3)
	v_add_f32_e32 v10, v11, v10
	scratch_load_b32 v11, off, s32 offset:524 ; 4-byte Folded Reload
	v_dual_add_f32 v4, v8, v4 :: v_dual_and_b32 v17, 0xffff0000, v79
	v_and_b32_e32 v8, 0xffff0000, v76
	v_and_b32_e32 v18, 0xffff0000, v88
	v_add_f32_e32 v4, v4, v5
	s_delay_alu instid0(VALU_DEP_3)
	v_dual_add_f32 v8, v9, v8 :: v_dual_and_b32 v5, 0xffff0000, v77
	scratch_load_b32 v9, off, s32 offset:532 ; 4-byte Folded Reload
	v_add_f32_e32 v52, v52, v4
	v_and_b32_e32 v4, 0xffff0000, v78
	v_add_f32_e32 v8, v10, v8
	scratch_load_b32 v10, off, s32 offset:528 ; 4-byte Folded Reload
	v_add_f32_e32 v4, v5, v4
	v_add_f32_e32 v5, v17, v18
	v_and_b32_e32 v17, 0xffff0000, v35
	v_and_b32_e32 v18, 0xffff0000, v72
	s_delay_alu instid0(VALU_DEP_4) | instskip(SKIP_2) | instid1(VALU_DEP_1)
	v_add_f32_e32 v4, v8, v4
	scratch_load_b32 v8, off, s32 offset:536 ; 4-byte Folded Reload
	v_dual_add_f32 v4, v4, v5 :: v_dual_and_b32 v5, 0xffff0000, v23
	v_dual_add_f32 v53, v53, v4 :: v_dual_and_b32 v4, 0xffff0000, v34
	s_delay_alu instid0(VALU_DEP_1)
	v_add_f32_e32 v4, v5, v4
	v_add_f32_e32 v5, v17, v18
	s_clause 0x1
	scratch_load_b32 v17, off, s32 offset:516
	scratch_load_b32 v18, off, s32 offset:520
	s_waitcnt vmcnt(5)
	v_and_b32_e32 v11, 0xffff0000, v11
	s_waitcnt vmcnt(4)
	v_and_b32_e32 v9, 0xffff0000, v9
	;; [unrolled: 2-line block ×3, first 2 shown]
	s_delay_alu instid0(VALU_DEP_1) | instskip(SKIP_3) | instid1(VALU_DEP_1)
	v_add_f32_e32 v10, v11, v10
	scratch_load_b32 v11, off, s32 offset:492 ; 4-byte Folded Reload
	s_waitcnt vmcnt(3)
	v_and_b32_e32 v8, 0xffff0000, v8
	v_add_f32_e32 v8, v9, v8
	scratch_load_b32 v9, off, s32 offset:500 ; 4-byte Folded Reload
	v_add_f32_e32 v8, v10, v8
	scratch_load_b32 v10, off, s32 offset:496 ; 4-byte Folded Reload
	v_add_f32_e32 v4, v8, v4
	scratch_load_b32 v8, off, s32 offset:504 ; 4-byte Folded Reload
	s_waitcnt vmcnt(5)
	v_and_b32_e32 v17, 0xffff0000, v17
	s_waitcnt vmcnt(4)
	v_and_b32_e32 v18, 0xffff0000, v18
	v_add_f32_e32 v4, v4, v5
	scratch_load_b32 v5, off, s32 offset:508 ; 4-byte Folded Reload
	v_add_f32_e32 v54, v54, v4
	scratch_load_b32 v4, off, s32 offset:512 ; 4-byte Folded Reload
	s_waitcnt vmcnt(5)
	v_and_b32_e32 v11, 0xffff0000, v11
	s_waitcnt vmcnt(4)
	v_and_b32_e32 v9, 0xffff0000, v9
	;; [unrolled: 2-line block ×4, first 2 shown]
	s_delay_alu instid0(VALU_DEP_2)
	v_add_f32_e32 v10, v11, v10
	scratch_load_b32 v11, off, s32 offset:460 ; 4-byte Folded Reload
	s_waitcnt vmcnt(2)
	v_dual_add_f32 v8, v9, v8 :: v_dual_and_b32 v5, 0xffff0000, v5
	scratch_load_b32 v9, off, s32 offset:468 ; 4-byte Folded Reload
	s_waitcnt vmcnt(2)
	v_and_b32_e32 v4, 0xffff0000, v4
	v_add_f32_e32 v8, v10, v8
	scratch_load_b32 v10, off, s32 offset:464 ; 4-byte Folded Reload
	v_add_f32_e32 v4, v5, v4
	v_add_f32_e32 v5, v17, v18
	s_clause 0x1
	scratch_load_b32 v17, off, s32 offset:484
	scratch_load_b32 v18, off, s32 offset:488
	v_add_f32_e32 v4, v8, v4
	scratch_load_b32 v8, off, s32 offset:472 ; 4-byte Folded Reload
	v_add_f32_e32 v4, v4, v5
	scratch_load_b32 v5, off, s32 offset:476 ; 4-byte Folded Reload
	v_add_f32_e32 v55, v55, v4
	scratch_load_b32 v4, off, s32 offset:480 ; 4-byte Folded Reload
	s_waitcnt vmcnt(7)
	v_and_b32_e32 v11, 0xffff0000, v11
	s_waitcnt vmcnt(6)
	v_and_b32_e32 v9, 0xffff0000, v9
	s_waitcnt vmcnt(5)
	v_and_b32_e32 v10, 0xffff0000, v10
	s_waitcnt vmcnt(4)
	v_and_b32_e32 v17, 0xffff0000, v17
	s_waitcnt vmcnt(3)
	v_and_b32_e32 v18, 0xffff0000, v18
	v_add_f32_e32 v10, v11, v10
	scratch_load_b32 v11, off, s32 offset:428 ; 4-byte Folded Reload
	s_waitcnt vmcnt(3)
	v_and_b32_e32 v8, 0xffff0000, v8
	s_waitcnt vmcnt(2)
	s_delay_alu instid0(VALU_DEP_1)
	v_dual_add_f32 v8, v9, v8 :: v_dual_and_b32 v5, 0xffff0000, v5
	scratch_load_b32 v9, off, s32 offset:436 ; 4-byte Folded Reload
	s_waitcnt vmcnt(2)
	v_and_b32_e32 v4, 0xffff0000, v4
	v_add_f32_e32 v8, v10, v8
	scratch_load_b32 v10, off, s32 offset:432 ; 4-byte Folded Reload
	v_add_f32_e32 v4, v5, v4
	v_add_f32_e32 v5, v17, v18
	s_clause 0x1
	scratch_load_b32 v17, off, s32 offset:452
	scratch_load_b32 v18, off, s32 offset:456
	v_add_f32_e32 v4, v8, v4
	scratch_load_b32 v8, off, s32 offset:440 ; 4-byte Folded Reload
	v_add_f32_e32 v4, v4, v5
	scratch_load_b32 v5, off, s32 offset:444 ; 4-byte Folded Reload
	v_add_f32_e32 v64, v64, v4
	scratch_load_b32 v4, off, s32 offset:448 ; 4-byte Folded Reload
	s_waitcnt vmcnt(7)
	v_and_b32_e32 v11, 0xffff0000, v11
	s_waitcnt vmcnt(6)
	v_and_b32_e32 v9, 0xffff0000, v9
	s_waitcnt vmcnt(5)
	v_and_b32_e32 v10, 0xffff0000, v10
	s_waitcnt vmcnt(4)
	v_and_b32_e32 v17, 0xffff0000, v17
	s_waitcnt vmcnt(3)
	v_and_b32_e32 v18, 0xffff0000, v18
	v_add_f32_e32 v10, v11, v10
	scratch_load_b32 v11, off, s32 offset:392 ; 4-byte Folded Reload
	s_waitcnt vmcnt(3)
	v_and_b32_e32 v8, 0xffff0000, v8
	s_waitcnt vmcnt(2)
	s_delay_alu instid0(VALU_DEP_1)
	;; [unrolled: 33-line block ×4, first 2 shown]
	v_dual_add_f32 v8, v9, v8 :: v_dual_and_b32 v5, 0xffff0000, v5
	scratch_load_b32 v9, off, s32 offset:336 ; 4-byte Folded Reload
	s_waitcnt vmcnt(2)
	v_and_b32_e32 v4, 0xffff0000, v4
	v_add_f32_e32 v8, v10, v8
	scratch_load_b32 v10, off, s32 offset:332 ; 4-byte Folded Reload
	v_add_f32_e32 v4, v5, v4
	v_add_f32_e32 v5, v17, v18
	s_clause 0x1
	scratch_load_b32 v17, off, s32 offset:352
	scratch_load_b32 v18, off, s32 offset:356
	v_add_f32_e32 v4, v8, v4
	scratch_load_b32 v8, off, s32 offset:340 ; 4-byte Folded Reload
	v_add_f32_e32 v4, v4, v5
	scratch_load_b32 v5, off, s32 offset:344 ; 4-byte Folded Reload
	;; [unrolled: 2-line block ×3, first 2 shown]
	s_waitcnt vmcnt(7)
	v_and_b32_e32 v11, 0xffff0000, v11
	s_waitcnt vmcnt(6)
	v_and_b32_e32 v9, 0xffff0000, v9
	s_waitcnt vmcnt(5)
	v_and_b32_e32 v10, 0xffff0000, v10
	s_waitcnt vmcnt(4)
	v_and_b32_e32 v17, 0xffff0000, v17
	s_waitcnt vmcnt(3)
	v_and_b32_e32 v18, 0xffff0000, v18
	v_add_f32_e32 v10, v11, v10
	s_waitcnt vmcnt(2)
	v_and_b32_e32 v8, 0xffff0000, v8
	s_waitcnt vmcnt(1)
	s_delay_alu instid0(VALU_DEP_1) | instskip(SKIP_2) | instid1(VALU_DEP_2)
	v_dual_add_f32 v8, v9, v8 :: v_dual_and_b32 v5, 0xffff0000, v5
	s_waitcnt vmcnt(0)
	v_and_b32_e32 v4, 0xffff0000, v4
	v_add_f32_e32 v8, v10, v8
	s_delay_alu instid0(VALU_DEP_2) | instskip(NEXT) | instid1(VALU_DEP_1)
	v_add_f32_e32 v4, v5, v4
	v_dual_add_f32 v5, v17, v18 :: v_dual_add_f32 v4, v8, v4
	s_delay_alu instid0(VALU_DEP_1) | instskip(SKIP_2) | instid1(VALU_DEP_3)
	v_dual_add_f32 v4, v4, v5 :: v_dual_and_b32 v5, 0xffff0000, v6
	v_and_b32_e32 v6, 0xffff0000, v7
	v_and_b32_e32 v7, 0xffff0000, v119
	v_add_f32_e32 v65, v65, v4
	v_and_b32_e32 v4, 0xffff0000, v12
	s_delay_alu instid0(VALU_DEP_1) | instskip(NEXT) | instid1(VALU_DEP_1)
	v_add_f32_e32 v1, v5, v4
	v_dual_add_f32 v0, v0, v1 :: v_dual_add_f32 v1, v6, v7
	s_delay_alu instid0(VALU_DEP_1) | instskip(NEXT) | instid1(VALU_DEP_1)
	v_add_f32_e32 v0, v0, v1
	v_add_f32_e32 v21, v21, v0
	scratch_load_b32 v0, off, s32 offset:324 ; 4-byte Folded Reload
	s_waitcnt vmcnt(0)
	v_cmp_ge_i32_e32 vcc_lo, v16, v0
	s_or_b32 s8, vcc_lo, s8
	s_delay_alu instid0(SALU_CYCLE_1)
	s_and_not1_b32 exec_lo, exec_lo, s8
	s_cbranch_execz .LBB466_5487
.LBB466_2335:                           ; =>This Inner Loop Header: Depth=1
	flat_load_b32 v12, v[14:15]
	ds_load_2addr_b64 v[6:9], v86 offset1:1
	ds_load_2addr_b64 v[0:3], v86 offset0:2 offset1:3
	s_mov_b32 s0, exec_lo
                                        ; implicit-def: $vgpr20
	s_waitcnt lgkmcnt(1)
	v_and_b32_e32 v4, 0x7f800000, v6
	s_delay_alu instid0(VALU_DEP_1)
	v_cmpx_ne_u32_e32 0x7f800000, v4
	s_xor_b32 s0, exec_lo, s0
; %bb.2336:                             ;   in Loop: Header=BB466_2335 Depth=1
	v_bfe_u32 v4, v6, 16, 1
	s_delay_alu instid0(VALU_DEP_1)
	v_add3_u32 v20, v6, v4, 0x7fff
; %bb.2337:                             ;   in Loop: Header=BB466_2335 Depth=1
	s_and_not1_saveexec_b32 s0, s0
; %bb.2338:                             ;   in Loop: Header=BB466_2335 Depth=1
	v_and_b32_e32 v4, 0xffff, v6
	v_or_b32_e32 v5, 0x10000, v6
	s_delay_alu instid0(VALU_DEP_2) | instskip(NEXT) | instid1(VALU_DEP_2)
	v_cmp_eq_u32_e32 vcc_lo, 0, v4
	v_cndmask_b32_e32 v20, v5, v6, vcc_lo
; %bb.2339:                             ;   in Loop: Header=BB466_2335 Depth=1
	s_or_b32 exec_lo, exec_lo, s0
	v_and_b32_e32 v4, 0x7f800000, v7
	s_mov_b32 s0, exec_lo
                                        ; implicit-def: $vgpr19
	s_delay_alu instid0(VALU_DEP_1)
	v_cmpx_ne_u32_e32 0x7f800000, v4
	s_xor_b32 s0, exec_lo, s0
; %bb.2340:                             ;   in Loop: Header=BB466_2335 Depth=1
	v_bfe_u32 v4, v7, 16, 1
	s_delay_alu instid0(VALU_DEP_1)
	v_add3_u32 v19, v7, v4, 0x7fff
; %bb.2341:                             ;   in Loop: Header=BB466_2335 Depth=1
	s_and_not1_saveexec_b32 s0, s0
; %bb.2342:                             ;   in Loop: Header=BB466_2335 Depth=1
	v_and_b32_e32 v4, 0xffff, v7
	v_or_b32_e32 v5, 0x10000, v7
	s_delay_alu instid0(VALU_DEP_2) | instskip(NEXT) | instid1(VALU_DEP_2)
	v_cmp_eq_u32_e32 vcc_lo, 0, v4
	v_cndmask_b32_e32 v19, v5, v7, vcc_lo
; %bb.2343:                             ;   in Loop: Header=BB466_2335 Depth=1
	s_or_b32 exec_lo, exec_lo, s0
	v_and_b32_e32 v4, 0x7f800000, v8
	s_mov_b32 s0, exec_lo
                                        ; implicit-def: $vgpr18
	s_delay_alu instid0(VALU_DEP_1)
	v_cmpx_ne_u32_e32 0x7f800000, v4
	s_xor_b32 s0, exec_lo, s0
; %bb.2344:                             ;   in Loop: Header=BB466_2335 Depth=1
	v_bfe_u32 v4, v8, 16, 1
	s_delay_alu instid0(VALU_DEP_1)
	v_add3_u32 v18, v8, v4, 0x7fff
; %bb.2345:                             ;   in Loop: Header=BB466_2335 Depth=1
	s_and_not1_saveexec_b32 s0, s0
; %bb.2346:                             ;   in Loop: Header=BB466_2335 Depth=1
	v_and_b32_e32 v4, 0xffff, v8
	v_or_b32_e32 v5, 0x10000, v8
	s_delay_alu instid0(VALU_DEP_2) | instskip(NEXT) | instid1(VALU_DEP_2)
	v_cmp_eq_u32_e32 vcc_lo, 0, v4
	v_cndmask_b32_e32 v18, v5, v8, vcc_lo
; %bb.2347:                             ;   in Loop: Header=BB466_2335 Depth=1
	s_or_b32 exec_lo, exec_lo, s0
	v_and_b32_e32 v4, 0x7f800000, v9
	s_mov_b32 s0, exec_lo
                                        ; implicit-def: $vgpr17
	s_delay_alu instid0(VALU_DEP_1)
	v_cmpx_ne_u32_e32 0x7f800000, v4
	s_xor_b32 s0, exec_lo, s0
; %bb.2348:                             ;   in Loop: Header=BB466_2335 Depth=1
	v_bfe_u32 v4, v9, 16, 1
	s_delay_alu instid0(VALU_DEP_1)
	v_add3_u32 v17, v9, v4, 0x7fff
                                        ; implicit-def: $vgpr6_vgpr7_vgpr8_vgpr9
; %bb.2349:                             ;   in Loop: Header=BB466_2335 Depth=1
	s_and_not1_saveexec_b32 s0, s0
; %bb.2350:                             ;   in Loop: Header=BB466_2335 Depth=1
	v_and_b32_e32 v4, 0xffff, v9
	v_or_b32_e32 v5, 0x10000, v9
	s_delay_alu instid0(VALU_DEP_2) | instskip(NEXT) | instid1(VALU_DEP_2)
	v_cmp_eq_u32_e32 vcc_lo, 0, v4
	v_cndmask_b32_e32 v17, v5, v9, vcc_lo
; %bb.2351:                             ;   in Loop: Header=BB466_2335 Depth=1
	s_or_b32 exec_lo, exec_lo, s0
	s_waitcnt lgkmcnt(0)
	v_and_b32_e32 v4, 0x7f800000, v0
	s_mov_b32 s0, exec_lo
                                        ; implicit-def: $vgpr11
	s_delay_alu instid0(VALU_DEP_1)
	v_cmpx_ne_u32_e32 0x7f800000, v4
	s_xor_b32 s0, exec_lo, s0
; %bb.2352:                             ;   in Loop: Header=BB466_2335 Depth=1
	v_bfe_u32 v4, v0, 16, 1
	s_delay_alu instid0(VALU_DEP_1)
	v_add3_u32 v11, v0, v4, 0x7fff
; %bb.2353:                             ;   in Loop: Header=BB466_2335 Depth=1
	s_and_not1_saveexec_b32 s0, s0
; %bb.2354:                             ;   in Loop: Header=BB466_2335 Depth=1
	v_and_b32_e32 v4, 0xffff, v0
	v_or_b32_e32 v5, 0x10000, v0
	s_delay_alu instid0(VALU_DEP_2) | instskip(NEXT) | instid1(VALU_DEP_2)
	v_cmp_eq_u32_e32 vcc_lo, 0, v4
	v_cndmask_b32_e32 v11, v5, v0, vcc_lo
; %bb.2355:                             ;   in Loop: Header=BB466_2335 Depth=1
	s_or_b32 exec_lo, exec_lo, s0
	v_and_b32_e32 v0, 0x7f800000, v1
	s_mov_b32 s0, exec_lo
                                        ; implicit-def: $vgpr10
	s_delay_alu instid0(VALU_DEP_1)
	v_cmpx_ne_u32_e32 0x7f800000, v0
	s_xor_b32 s0, exec_lo, s0
; %bb.2356:                             ;   in Loop: Header=BB466_2335 Depth=1
	v_bfe_u32 v0, v1, 16, 1
	s_delay_alu instid0(VALU_DEP_1)
	v_add3_u32 v10, v1, v0, 0x7fff
; %bb.2357:                             ;   in Loop: Header=BB466_2335 Depth=1
	s_and_not1_saveexec_b32 s0, s0
; %bb.2358:                             ;   in Loop: Header=BB466_2335 Depth=1
	v_and_b32_e32 v0, 0xffff, v1
	v_or_b32_e32 v4, 0x10000, v1
	s_delay_alu instid0(VALU_DEP_2) | instskip(NEXT) | instid1(VALU_DEP_2)
	v_cmp_eq_u32_e32 vcc_lo, 0, v0
	v_cndmask_b32_e32 v10, v4, v1, vcc_lo
; %bb.2359:                             ;   in Loop: Header=BB466_2335 Depth=1
	s_or_b32 exec_lo, exec_lo, s0
	v_and_b32_e32 v0, 0x7f800000, v2
	s_mov_b32 s0, exec_lo
                                        ; implicit-def: $vgpr5
	s_delay_alu instid0(VALU_DEP_1)
	v_cmpx_ne_u32_e32 0x7f800000, v0
	s_xor_b32 s0, exec_lo, s0
; %bb.2360:                             ;   in Loop: Header=BB466_2335 Depth=1
	v_bfe_u32 v0, v2, 16, 1
	s_delay_alu instid0(VALU_DEP_1)
	v_add3_u32 v5, v2, v0, 0x7fff
; %bb.2361:                             ;   in Loop: Header=BB466_2335 Depth=1
	s_and_not1_saveexec_b32 s0, s0
; %bb.2362:                             ;   in Loop: Header=BB466_2335 Depth=1
	v_and_b32_e32 v0, 0xffff, v2
	v_or_b32_e32 v1, 0x10000, v2
	s_delay_alu instid0(VALU_DEP_2) | instskip(NEXT) | instid1(VALU_DEP_2)
	v_cmp_eq_u32_e32 vcc_lo, 0, v0
	v_cndmask_b32_e32 v5, v1, v2, vcc_lo
; %bb.2363:                             ;   in Loop: Header=BB466_2335 Depth=1
	s_or_b32 exec_lo, exec_lo, s0
	v_and_b32_e32 v0, 0x7f800000, v3
	s_mov_b32 s0, exec_lo
                                        ; implicit-def: $vgpr4
	s_delay_alu instid0(VALU_DEP_1)
	v_cmpx_ne_u32_e32 0x7f800000, v0
	s_xor_b32 s0, exec_lo, s0
; %bb.2364:                             ;   in Loop: Header=BB466_2335 Depth=1
	v_bfe_u32 v0, v3, 16, 1
	s_delay_alu instid0(VALU_DEP_1)
	v_add3_u32 v4, v3, v0, 0x7fff
                                        ; implicit-def: $vgpr0_vgpr1_vgpr2_vgpr3
; %bb.2365:                             ;   in Loop: Header=BB466_2335 Depth=1
	s_and_not1_saveexec_b32 s0, s0
; %bb.2366:                             ;   in Loop: Header=BB466_2335 Depth=1
	v_and_b32_e32 v0, 0xffff, v3
	v_or_b32_e32 v1, 0x10000, v3
	s_delay_alu instid0(VALU_DEP_2) | instskip(NEXT) | instid1(VALU_DEP_2)
	v_cmp_eq_u32_e32 vcc_lo, 0, v0
	v_cndmask_b32_e32 v4, v1, v3, vcc_lo
; %bb.2367:                             ;   in Loop: Header=BB466_2335 Depth=1
	s_or_b32 exec_lo, exec_lo, s0
	s_clause 0x1
	scratch_load_b32 v2, off, s32 offset:320
	scratch_load_b64 v[6:7], off, s32 offset:540
	s_mov_b32 s0, exec_lo
	v_mov_b32_e32 v8, 0
	s_waitcnt vmcnt(0)
	v_mad_i64_i32 v[0:1], null, v12, v2, v[6:7]
	scratch_load_b32 v2, off, s32 offset:548 ; 4-byte Folded Reload
	s_waitcnt vmcnt(0)
	v_add_co_u32 v2, vcc_lo, v0, v2
	v_add_co_ci_u32_e32 v3, vcc_lo, 0, v1, vcc_lo
	flat_load_b64 v[6:7], v[2:3]
	s_waitcnt vmcnt(0) lgkmcnt(0)
	v_and_b32_e32 v9, 0xff, v6
	s_delay_alu instid0(VALU_DEP_1)
	v_cmpx_ne_u16_e32 0, v9
	s_cbranch_execz .LBB466_2375
; %bb.2368:                             ;   in Loop: Header=BB466_2335 Depth=1
	v_bfrev_b32_e32 v8, 1
	s_mov_b32 s9, exec_lo
	v_cmpx_ne_u16_e32 0x80, v9
	s_cbranch_execz .LBB466_2374
; %bb.2369:                             ;   in Loop: Header=BB466_2335 Depth=1
	v_and_b32_e32 v9, 0x7f, v6
	v_mov_b32_e32 v8, 0x7f800001
	s_mov_b32 s12, exec_lo
	s_delay_alu instid0(VALU_DEP_2)
	v_cmpx_ne_u32_e32 0x7f, v9
	s_cbranch_execz .LBB466_2373
; %bb.2370:                             ;   in Loop: Header=BB466_2335 Depth=1
	v_lshrrev_b32_e32 v12, 3, v9
	v_cmp_gt_u32_e32 vcc_lo, 8, v9
	v_dual_mov_b32 v9, v7 :: v_dual_mov_b32 v8, v6
	s_and_saveexec_b32 s13, vcc_lo
; %bb.2371:                             ;   in Loop: Header=BB466_2335 Depth=1
	v_and_b32_e32 v8, 7, v6
	s_delay_alu instid0(VALU_DEP_1) | instskip(NEXT) | instid1(VALU_DEP_1)
	v_clz_i32_u32_e32 v8, v8
	v_min_u32_e32 v12, 32, v8
	s_delay_alu instid0(VALU_DEP_1) | instskip(SKIP_1) | instid1(VALU_DEP_2)
	v_subrev_nc_u32_e32 v8, 28, v12
	v_sub_nc_u32_e32 v12, 29, v12
	v_lshlrev_b64 v[8:9], v8, v[6:7]
; %bb.2372:                             ;   in Loop: Header=BB466_2335 Depth=1
	s_or_b32 exec_lo, exec_lo, s13
	s_delay_alu instid0(VALU_DEP_1) | instskip(SKIP_2) | instid1(VALU_DEP_3)
	v_lshlrev_b32_e32 v8, 20, v8
	v_lshlrev_b32_e32 v9, 24, v6
	v_lshl_add_u32 v12, v12, 23, 0x3c000000
	v_and_b32_e32 v8, 0x700000, v8
	s_delay_alu instid0(VALU_DEP_3) | instskip(NEXT) | instid1(VALU_DEP_1)
	v_and_b32_e32 v9, 0x80000000, v9
	v_or3_b32 v8, v8, v9, v12
.LBB466_2373:                           ;   in Loop: Header=BB466_2335 Depth=1
	s_or_b32 exec_lo, exec_lo, s12
.LBB466_2374:                           ;   in Loop: Header=BB466_2335 Depth=1
	s_delay_alu instid0(SALU_CYCLE_1)
	s_or_b32 exec_lo, exec_lo, s9
.LBB466_2375:                           ;   in Loop: Header=BB466_2335 Depth=1
	s_delay_alu instid0(SALU_CYCLE_1) | instskip(NEXT) | instid1(VALU_DEP_1)
	s_or_b32 exec_lo, exec_lo, s0
	v_mul_f32_e32 v8, v26, v8
	s_mov_b32 s0, exec_lo
                                        ; implicit-def: $vgpr22
	s_delay_alu instid0(VALU_DEP_1) | instskip(NEXT) | instid1(VALU_DEP_1)
	v_and_b32_e32 v9, 0x7f800000, v8
	v_cmpx_ne_u32_e32 0x7f800000, v9
	s_xor_b32 s0, exec_lo, s0
; %bb.2376:                             ;   in Loop: Header=BB466_2335 Depth=1
	v_bfe_u32 v9, v8, 16, 1
	s_delay_alu instid0(VALU_DEP_1)
	v_add3_u32 v22, v8, v9, 0x7fff
                                        ; implicit-def: $vgpr8
; %bb.2377:                             ;   in Loop: Header=BB466_2335 Depth=1
	s_and_not1_saveexec_b32 s0, s0
; %bb.2378:                             ;   in Loop: Header=BB466_2335 Depth=1
	v_and_b32_e32 v9, 0xffff, v8
	v_or_b32_e32 v12, 0x10000, v8
	s_delay_alu instid0(VALU_DEP_2) | instskip(NEXT) | instid1(VALU_DEP_2)
	v_cmp_eq_u32_e32 vcc_lo, 0, v9
	v_cndmask_b32_e32 v22, v12, v8, vcc_lo
; %bb.2379:                             ;   in Loop: Header=BB466_2335 Depth=1
	s_or_b32 exec_lo, exec_lo, s0
	v_lshrrev_b16 v9, 8, v6
	v_mov_b32_e32 v8, 0
	s_mov_b32 s0, exec_lo
	s_delay_alu instid0(VALU_DEP_2)
	v_cmpx_ne_u16_e32 0, v9
	s_cbranch_execz .LBB466_2387
; %bb.2380:                             ;   in Loop: Header=BB466_2335 Depth=1
	v_bfrev_b32_e32 v8, 1
	s_mov_b32 s9, exec_lo
	v_cmpx_ne_u16_e32 0x80, v9
	s_cbranch_execz .LBB466_2386
; %bb.2381:                             ;   in Loop: Header=BB466_2335 Depth=1
	v_and_b32_e32 v12, 0xffff, v9
	v_mov_b32_e32 v8, 0x7f800001
	s_mov_b32 s12, exec_lo
	s_delay_alu instid0(VALU_DEP_2) | instskip(NEXT) | instid1(VALU_DEP_1)
	v_and_b32_e32 v9, 0x7f, v12
	v_cmpx_ne_u32_e32 0x7f, v9
	s_cbranch_execz .LBB466_2385
; %bb.2382:                             ;   in Loop: Header=BB466_2335 Depth=1
	v_and_b32_e32 v12, 7, v12
	v_lshrrev_b32_e32 v23, 3, v9
	v_cmp_gt_u32_e32 vcc_lo, 8, v9
	s_delay_alu instid0(VALU_DEP_3)
	v_dual_mov_b32 v8, v12 :: v_dual_mov_b32 v9, v13
	s_and_saveexec_b32 s13, vcc_lo
; %bb.2383:                             ;   in Loop: Header=BB466_2335 Depth=1
	v_clz_i32_u32_e32 v8, v12
	s_delay_alu instid0(VALU_DEP_1) | instskip(NEXT) | instid1(VALU_DEP_1)
	v_min_u32_e32 v23, 32, v8
	v_subrev_nc_u32_e32 v8, 28, v23
	v_sub_nc_u32_e32 v23, 29, v23
	s_delay_alu instid0(VALU_DEP_2) | instskip(NEXT) | instid1(VALU_DEP_1)
	v_lshlrev_b64 v[8:9], v8, v[12:13]
	v_and_b32_e32 v8, 7, v8
; %bb.2384:                             ;   in Loop: Header=BB466_2335 Depth=1
	s_or_b32 exec_lo, exec_lo, s13
	v_lshlrev_b32_e32 v9, 16, v6
	s_delay_alu instid0(VALU_DEP_2) | instskip(SKIP_1) | instid1(VALU_DEP_3)
	v_lshlrev_b32_e32 v8, 20, v8
	v_lshl_add_u32 v12, v23, 23, 0x3c000000
	v_and_b32_e32 v9, 0x80000000, v9
	s_delay_alu instid0(VALU_DEP_1)
	v_or3_b32 v8, v8, v9, v12
.LBB466_2385:                           ;   in Loop: Header=BB466_2335 Depth=1
	s_or_b32 exec_lo, exec_lo, s12
.LBB466_2386:                           ;   in Loop: Header=BB466_2335 Depth=1
	s_delay_alu instid0(SALU_CYCLE_1)
	s_or_b32 exec_lo, exec_lo, s9
.LBB466_2387:                           ;   in Loop: Header=BB466_2335 Depth=1
	s_delay_alu instid0(SALU_CYCLE_1) | instskip(NEXT) | instid1(VALU_DEP_1)
	s_or_b32 exec_lo, exec_lo, s0
	v_mul_f32_e32 v8, v26, v8
	s_mov_b32 s0, exec_lo
                                        ; implicit-def: $vgpr23
	s_delay_alu instid0(VALU_DEP_1) | instskip(NEXT) | instid1(VALU_DEP_1)
	v_and_b32_e32 v9, 0x7f800000, v8
	v_cmpx_ne_u32_e32 0x7f800000, v9
	s_xor_b32 s0, exec_lo, s0
; %bb.2388:                             ;   in Loop: Header=BB466_2335 Depth=1
	v_bfe_u32 v9, v8, 16, 1
	s_delay_alu instid0(VALU_DEP_1)
	v_add3_u32 v23, v8, v9, 0x7fff
                                        ; implicit-def: $vgpr8
; %bb.2389:                             ;   in Loop: Header=BB466_2335 Depth=1
	s_and_not1_saveexec_b32 s0, s0
; %bb.2390:                             ;   in Loop: Header=BB466_2335 Depth=1
	v_and_b32_e32 v9, 0xffff, v8
	v_or_b32_e32 v12, 0x10000, v8
	s_delay_alu instid0(VALU_DEP_2) | instskip(NEXT) | instid1(VALU_DEP_2)
	v_cmp_eq_u32_e32 vcc_lo, 0, v9
	v_cndmask_b32_e32 v23, v12, v8, vcc_lo
; %bb.2391:                             ;   in Loop: Header=BB466_2335 Depth=1
	s_or_b32 exec_lo, exec_lo, s0
	v_lshrrev_b32_e32 v27, 16, v6
	s_mov_b32 s0, exec_lo
	s_delay_alu instid0(VALU_DEP_1) | instskip(NEXT) | instid1(VALU_DEP_1)
	v_dual_mov_b32 v8, 0 :: v_dual_and_b32 v9, 0xff, v27
	v_cmpx_ne_u16_e32 0, v9
	s_cbranch_execz .LBB466_2399
; %bb.2392:                             ;   in Loop: Header=BB466_2335 Depth=1
	v_bfrev_b32_e32 v8, 1
	s_mov_b32 s9, exec_lo
	v_cmpx_ne_u16_e32 0x80, v9
	s_cbranch_execz .LBB466_2398
; %bb.2393:                             ;   in Loop: Header=BB466_2335 Depth=1
	v_bfe_u32 v9, v6, 16, 7
	v_mov_b32_e32 v8, 0x7f800001
	s_mov_b32 s12, exec_lo
	s_delay_alu instid0(VALU_DEP_2)
	v_cmpx_ne_u32_e32 0x7f, v9
	s_cbranch_execz .LBB466_2397
; %bb.2394:                             ;   in Loop: Header=BB466_2335 Depth=1
	v_and_b32_e32 v12, 7, v27
	v_lshrrev_b32_e32 v34, 3, v9
	v_cmp_gt_u32_e32 vcc_lo, 8, v9
	s_delay_alu instid0(VALU_DEP_3)
	v_dual_mov_b32 v8, v12 :: v_dual_mov_b32 v9, v13
	s_and_saveexec_b32 s13, vcc_lo
; %bb.2395:                             ;   in Loop: Header=BB466_2335 Depth=1
	v_clz_i32_u32_e32 v8, v12
	s_delay_alu instid0(VALU_DEP_1) | instskip(NEXT) | instid1(VALU_DEP_1)
	v_min_u32_e32 v34, 32, v8
	v_subrev_nc_u32_e32 v8, 28, v34
	v_sub_nc_u32_e32 v34, 29, v34
	s_delay_alu instid0(VALU_DEP_2) | instskip(NEXT) | instid1(VALU_DEP_1)
	v_lshlrev_b64 v[8:9], v8, v[12:13]
	v_and_b32_e32 v8, 7, v8
; %bb.2396:                             ;   in Loop: Header=BB466_2335 Depth=1
	s_or_b32 exec_lo, exec_lo, s13
	v_lshlrev_b32_e32 v9, 24, v27
	s_delay_alu instid0(VALU_DEP_2) | instskip(SKIP_1) | instid1(VALU_DEP_3)
	v_lshlrev_b32_e32 v8, 20, v8
	v_lshl_add_u32 v12, v34, 23, 0x3c000000
	v_and_b32_e32 v9, 0x80000000, v9
	s_delay_alu instid0(VALU_DEP_1)
	v_or3_b32 v8, v8, v9, v12
.LBB466_2397:                           ;   in Loop: Header=BB466_2335 Depth=1
	s_or_b32 exec_lo, exec_lo, s12
.LBB466_2398:                           ;   in Loop: Header=BB466_2335 Depth=1
	s_delay_alu instid0(SALU_CYCLE_1)
	s_or_b32 exec_lo, exec_lo, s9
.LBB466_2399:                           ;   in Loop: Header=BB466_2335 Depth=1
	s_delay_alu instid0(SALU_CYCLE_1) | instskip(NEXT) | instid1(VALU_DEP_1)
	s_or_b32 exec_lo, exec_lo, s0
	v_mul_f32_e32 v8, v26, v8
	s_mov_b32 s0, exec_lo
                                        ; implicit-def: $vgpr27
	s_delay_alu instid0(VALU_DEP_1) | instskip(NEXT) | instid1(VALU_DEP_1)
	v_and_b32_e32 v9, 0x7f800000, v8
	v_cmpx_ne_u32_e32 0x7f800000, v9
	s_xor_b32 s0, exec_lo, s0
; %bb.2400:                             ;   in Loop: Header=BB466_2335 Depth=1
	v_bfe_u32 v9, v8, 16, 1
	s_delay_alu instid0(VALU_DEP_1)
	v_add3_u32 v27, v8, v9, 0x7fff
                                        ; implicit-def: $vgpr8
; %bb.2401:                             ;   in Loop: Header=BB466_2335 Depth=1
	s_and_not1_saveexec_b32 s0, s0
; %bb.2402:                             ;   in Loop: Header=BB466_2335 Depth=1
	v_and_b32_e32 v9, 0xffff, v8
	v_or_b32_e32 v12, 0x10000, v8
	s_delay_alu instid0(VALU_DEP_2) | instskip(NEXT) | instid1(VALU_DEP_2)
	v_cmp_eq_u32_e32 vcc_lo, 0, v9
	v_cndmask_b32_e32 v27, v12, v8, vcc_lo
; %bb.2403:                             ;   in Loop: Header=BB466_2335 Depth=1
	s_or_b32 exec_lo, exec_lo, s0
	v_mov_b32_e32 v8, 0
	s_mov_b32 s0, exec_lo
	v_cmpx_lt_u32_e32 0xffffff, v6
	s_cbranch_execz .LBB466_2411
; %bb.2404:                             ;   in Loop: Header=BB466_2335 Depth=1
	v_lshrrev_b32_e32 v34, 24, v6
	v_bfrev_b32_e32 v8, 1
	s_mov_b32 s9, exec_lo
	s_delay_alu instid0(VALU_DEP_2)
	v_cmpx_ne_u32_e32 0x80, v34
	s_cbranch_execz .LBB466_2410
; %bb.2405:                             ;   in Loop: Header=BB466_2335 Depth=1
	v_bfe_u32 v9, v6, 24, 7
	v_mov_b32_e32 v8, 0x7f800001
	s_mov_b32 s12, exec_lo
	s_delay_alu instid0(VALU_DEP_2)
	v_cmpx_ne_u32_e32 0x7f, v9
	s_cbranch_execz .LBB466_2409
; %bb.2406:                             ;   in Loop: Header=BB466_2335 Depth=1
	v_and_b32_e32 v12, 7, v34
	v_lshrrev_b32_e32 v35, 3, v9
	v_cmp_gt_u32_e32 vcc_lo, 8, v9
	s_delay_alu instid0(VALU_DEP_3)
	v_dual_mov_b32 v8, v12 :: v_dual_mov_b32 v9, v13
	s_and_saveexec_b32 s13, vcc_lo
; %bb.2407:                             ;   in Loop: Header=BB466_2335 Depth=1
	v_clz_i32_u32_e32 v8, v12
	s_delay_alu instid0(VALU_DEP_1) | instskip(NEXT) | instid1(VALU_DEP_1)
	v_min_u32_e32 v35, 32, v8
	v_subrev_nc_u32_e32 v8, 28, v35
	v_sub_nc_u32_e32 v35, 29, v35
	s_delay_alu instid0(VALU_DEP_2) | instskip(NEXT) | instid1(VALU_DEP_1)
	v_lshlrev_b64 v[8:9], v8, v[12:13]
	v_and_b32_e32 v8, 7, v8
; %bb.2408:                             ;   in Loop: Header=BB466_2335 Depth=1
	s_or_b32 exec_lo, exec_lo, s13
	v_lshlrev_b32_e32 v9, 24, v34
	s_delay_alu instid0(VALU_DEP_2) | instskip(SKIP_1) | instid1(VALU_DEP_3)
	v_lshlrev_b32_e32 v8, 20, v8
	v_lshl_add_u32 v12, v35, 23, 0x3c000000
	v_and_b32_e32 v9, 0x80000000, v9
	s_delay_alu instid0(VALU_DEP_1)
	v_or3_b32 v8, v8, v9, v12
.LBB466_2409:                           ;   in Loop: Header=BB466_2335 Depth=1
	s_or_b32 exec_lo, exec_lo, s12
.LBB466_2410:                           ;   in Loop: Header=BB466_2335 Depth=1
	s_delay_alu instid0(SALU_CYCLE_1)
	s_or_b32 exec_lo, exec_lo, s9
.LBB466_2411:                           ;   in Loop: Header=BB466_2335 Depth=1
	s_delay_alu instid0(SALU_CYCLE_1) | instskip(NEXT) | instid1(VALU_DEP_1)
	s_or_b32 exec_lo, exec_lo, s0
	v_mul_f32_e32 v8, v26, v8
	s_mov_b32 s0, exec_lo
                                        ; implicit-def: $vgpr34
	s_delay_alu instid0(VALU_DEP_1) | instskip(NEXT) | instid1(VALU_DEP_1)
	v_and_b32_e32 v9, 0x7f800000, v8
	v_cmpx_ne_u32_e32 0x7f800000, v9
	s_xor_b32 s0, exec_lo, s0
; %bb.2412:                             ;   in Loop: Header=BB466_2335 Depth=1
	v_bfe_u32 v9, v8, 16, 1
	s_delay_alu instid0(VALU_DEP_1)
	v_add3_u32 v34, v8, v9, 0x7fff
                                        ; implicit-def: $vgpr8
; %bb.2413:                             ;   in Loop: Header=BB466_2335 Depth=1
	s_and_not1_saveexec_b32 s0, s0
; %bb.2414:                             ;   in Loop: Header=BB466_2335 Depth=1
	v_and_b32_e32 v9, 0xffff, v8
	v_or_b32_e32 v12, 0x10000, v8
	s_delay_alu instid0(VALU_DEP_2) | instskip(NEXT) | instid1(VALU_DEP_2)
	v_cmp_eq_u32_e32 vcc_lo, 0, v9
	v_cndmask_b32_e32 v34, v12, v8, vcc_lo
; %bb.2415:                             ;   in Loop: Header=BB466_2335 Depth=1
	s_or_b32 exec_lo, exec_lo, s0
	v_dual_mov_b32 v12, v7 :: v_dual_and_b32 v9, 0xff, v7
	v_mov_b32_e32 v8, 0
	s_mov_b32 s0, exec_lo
	s_delay_alu instid0(VALU_DEP_2)
	v_cmpx_ne_u16_e32 0, v9
	s_cbranch_execz .LBB466_2423
; %bb.2416:                             ;   in Loop: Header=BB466_2335 Depth=1
	v_bfrev_b32_e32 v8, 1
	s_mov_b32 s9, exec_lo
	v_cmpx_ne_u16_e32 0x80, v9
	s_cbranch_execz .LBB466_2422
; %bb.2417:                             ;   in Loop: Header=BB466_2335 Depth=1
	v_and_b32_e32 v9, 0x7f, v7
	v_mov_b32_e32 v8, 0x7f800001
	s_mov_b32 s12, exec_lo
	s_delay_alu instid0(VALU_DEP_2)
	v_cmpx_ne_u32_e32 0x7f, v9
	s_cbranch_execz .LBB466_2421
; %bb.2418:                             ;   in Loop: Header=BB466_2335 Depth=1
	v_lshrrev_b32_e32 v35, 3, v9
	v_cmp_gt_u32_e32 vcc_lo, 8, v9
	v_dual_mov_b32 v8, v12 :: v_dual_mov_b32 v9, v13
	s_and_saveexec_b32 s13, vcc_lo
; %bb.2419:                             ;   in Loop: Header=BB466_2335 Depth=1
	v_and_b32_e32 v8, 7, v7
	s_delay_alu instid0(VALU_DEP_1) | instskip(NEXT) | instid1(VALU_DEP_1)
	v_clz_i32_u32_e32 v8, v8
	v_min_u32_e32 v35, 32, v8
	s_delay_alu instid0(VALU_DEP_1) | instskip(SKIP_1) | instid1(VALU_DEP_2)
	v_subrev_nc_u32_e32 v8, 28, v35
	v_sub_nc_u32_e32 v35, 29, v35
	v_lshlrev_b64 v[8:9], v8, v[12:13]
; %bb.2420:                             ;   in Loop: Header=BB466_2335 Depth=1
	s_or_b32 exec_lo, exec_lo, s13
	s_delay_alu instid0(VALU_DEP_1) | instskip(SKIP_2) | instid1(VALU_DEP_3)
	v_lshlrev_b32_e32 v8, 20, v8
	v_lshlrev_b32_e32 v9, 24, v12
	v_lshl_add_u32 v35, v35, 23, 0x3c000000
	v_and_b32_e32 v8, 0x700000, v8
	s_delay_alu instid0(VALU_DEP_3) | instskip(NEXT) | instid1(VALU_DEP_1)
	v_and_b32_e32 v9, 0x80000000, v9
	v_or3_b32 v8, v8, v9, v35
.LBB466_2421:                           ;   in Loop: Header=BB466_2335 Depth=1
	s_or_b32 exec_lo, exec_lo, s12
.LBB466_2422:                           ;   in Loop: Header=BB466_2335 Depth=1
	s_delay_alu instid0(SALU_CYCLE_1)
	s_or_b32 exec_lo, exec_lo, s9
.LBB466_2423:                           ;   in Loop: Header=BB466_2335 Depth=1
	s_delay_alu instid0(SALU_CYCLE_1) | instskip(NEXT) | instid1(VALU_DEP_1)
	s_or_b32 exec_lo, exec_lo, s0
	v_mul_f32_e32 v8, v26, v8
	s_mov_b32 s0, exec_lo
                                        ; implicit-def: $vgpr35
	s_delay_alu instid0(VALU_DEP_1) | instskip(NEXT) | instid1(VALU_DEP_1)
	v_and_b32_e32 v9, 0x7f800000, v8
	v_cmpx_ne_u32_e32 0x7f800000, v9
	s_xor_b32 s0, exec_lo, s0
; %bb.2424:                             ;   in Loop: Header=BB466_2335 Depth=1
	v_bfe_u32 v9, v8, 16, 1
	s_delay_alu instid0(VALU_DEP_1)
	v_add3_u32 v35, v8, v9, 0x7fff
                                        ; implicit-def: $vgpr8
; %bb.2425:                             ;   in Loop: Header=BB466_2335 Depth=1
	s_and_not1_saveexec_b32 s0, s0
; %bb.2426:                             ;   in Loop: Header=BB466_2335 Depth=1
	v_and_b32_e32 v9, 0xffff, v8
	v_or_b32_e32 v35, 0x10000, v8
	s_delay_alu instid0(VALU_DEP_2) | instskip(NEXT) | instid1(VALU_DEP_2)
	v_cmp_eq_u32_e32 vcc_lo, 0, v9
	v_cndmask_b32_e32 v35, v35, v8, vcc_lo
; %bb.2427:                             ;   in Loop: Header=BB466_2335 Depth=1
	s_or_b32 exec_lo, exec_lo, s0
	v_lshrrev_b16 v9, 8, v12
	v_mov_b32_e32 v8, 0
	s_mov_b32 s0, exec_lo
	s_delay_alu instid0(VALU_DEP_2)
	v_cmpx_ne_u16_e32 0, v9
	s_cbranch_execz .LBB466_2435
; %bb.2428:                             ;   in Loop: Header=BB466_2335 Depth=1
	v_bfrev_b32_e32 v8, 1
	s_mov_b32 s9, exec_lo
	v_cmpx_ne_u16_e32 0x80, v9
	s_cbranch_execz .LBB466_2434
; %bb.2429:                             ;   in Loop: Header=BB466_2335 Depth=1
	v_and_b32_e32 v9, 0xffff, v9
	v_mov_b32_e32 v8, 0x7f800001
	s_mov_b32 s12, exec_lo
	s_delay_alu instid0(VALU_DEP_2) | instskip(NEXT) | instid1(VALU_DEP_1)
	v_and_b32_e32 v69, 0x7f, v9
	v_cmpx_ne_u32_e32 0x7f, v69
	s_cbranch_execz .LBB466_2433
; %bb.2430:                             ;   in Loop: Header=BB466_2335 Depth=1
	v_dual_mov_b32 v9, v13 :: v_dual_and_b32 v8, 7, v9
	v_lshrrev_b32_e32 v37, 3, v69
	s_mov_b32 s13, exec_lo
	v_cmpx_gt_u32_e32 8, v69
; %bb.2431:                             ;   in Loop: Header=BB466_2335 Depth=1
	s_delay_alu instid0(VALU_DEP_3) | instskip(NEXT) | instid1(VALU_DEP_1)
	v_clz_i32_u32_e32 v37, v8
	v_min_u32_e32 v37, 32, v37
	s_delay_alu instid0(VALU_DEP_1) | instskip(SKIP_1) | instid1(VALU_DEP_2)
	v_subrev_nc_u32_e32 v69, 28, v37
	v_sub_nc_u32_e32 v37, 29, v37
	v_lshlrev_b64 v[8:9], v69, v[8:9]
	s_delay_alu instid0(VALU_DEP_1)
	v_and_b32_e32 v8, 7, v8
; %bb.2432:                             ;   in Loop: Header=BB466_2335 Depth=1
	s_or_b32 exec_lo, exec_lo, s13
	v_lshlrev_b32_e32 v9, 16, v12
	s_delay_alu instid0(VALU_DEP_2) | instskip(SKIP_1) | instid1(VALU_DEP_3)
	v_lshlrev_b32_e32 v8, 20, v8
	v_lshl_add_u32 v12, v37, 23, 0x3c000000
	v_and_b32_e32 v9, 0x80000000, v9
	s_delay_alu instid0(VALU_DEP_1)
	v_or3_b32 v8, v8, v9, v12
.LBB466_2433:                           ;   in Loop: Header=BB466_2335 Depth=1
	s_or_b32 exec_lo, exec_lo, s12
.LBB466_2434:                           ;   in Loop: Header=BB466_2335 Depth=1
	s_delay_alu instid0(SALU_CYCLE_1)
	s_or_b32 exec_lo, exec_lo, s9
.LBB466_2435:                           ;   in Loop: Header=BB466_2335 Depth=1
	s_delay_alu instid0(SALU_CYCLE_1) | instskip(NEXT) | instid1(VALU_DEP_1)
	s_or_b32 exec_lo, exec_lo, s0
	v_mul_f32_e32 v8, v26, v8
	s_mov_b32 s0, exec_lo
                                        ; implicit-def: $vgpr37
	s_delay_alu instid0(VALU_DEP_1) | instskip(NEXT) | instid1(VALU_DEP_1)
	v_and_b32_e32 v9, 0x7f800000, v8
	v_cmpx_ne_u32_e32 0x7f800000, v9
	s_xor_b32 s0, exec_lo, s0
; %bb.2436:                             ;   in Loop: Header=BB466_2335 Depth=1
	v_bfe_u32 v9, v8, 16, 1
	s_delay_alu instid0(VALU_DEP_1)
	v_add3_u32 v37, v8, v9, 0x7fff
                                        ; implicit-def: $vgpr8
; %bb.2437:                             ;   in Loop: Header=BB466_2335 Depth=1
	s_and_not1_saveexec_b32 s0, s0
; %bb.2438:                             ;   in Loop: Header=BB466_2335 Depth=1
	v_and_b32_e32 v9, 0xffff, v8
	v_or_b32_e32 v12, 0x10000, v8
	s_delay_alu instid0(VALU_DEP_2) | instskip(NEXT) | instid1(VALU_DEP_2)
	v_cmp_eq_u32_e32 vcc_lo, 0, v9
	v_cndmask_b32_e32 v37, v12, v8, vcc_lo
; %bb.2439:                             ;   in Loop: Header=BB466_2335 Depth=1
	s_or_b32 exec_lo, exec_lo, s0
	v_lshrrev_b32_e32 v69, 16, v7
	s_mov_b32 s0, exec_lo
	s_delay_alu instid0(VALU_DEP_1) | instskip(NEXT) | instid1(VALU_DEP_1)
	v_dual_mov_b32 v8, 0 :: v_dual_and_b32 v9, 0xff, v69
	v_cmpx_ne_u16_e32 0, v9
	s_cbranch_execz .LBB466_2447
; %bb.2440:                             ;   in Loop: Header=BB466_2335 Depth=1
	v_bfrev_b32_e32 v8, 1
	s_mov_b32 s9, exec_lo
	v_cmpx_ne_u16_e32 0x80, v9
	s_cbranch_execz .LBB466_2446
; %bb.2441:                             ;   in Loop: Header=BB466_2335 Depth=1
	v_bfe_u32 v9, v7, 16, 7
	v_mov_b32_e32 v8, 0x7f800001
	s_mov_b32 s12, exec_lo
	s_delay_alu instid0(VALU_DEP_2)
	v_cmpx_ne_u32_e32 0x7f, v9
	s_cbranch_execz .LBB466_2445
; %bb.2442:                             ;   in Loop: Header=BB466_2335 Depth=1
	v_and_b32_e32 v12, 7, v69
	v_lshrrev_b32_e32 v70, 3, v9
	v_cmp_gt_u32_e32 vcc_lo, 8, v9
	s_delay_alu instid0(VALU_DEP_3)
	v_dual_mov_b32 v8, v12 :: v_dual_mov_b32 v9, v13
	s_and_saveexec_b32 s13, vcc_lo
; %bb.2443:                             ;   in Loop: Header=BB466_2335 Depth=1
	v_clz_i32_u32_e32 v8, v12
	s_delay_alu instid0(VALU_DEP_1) | instskip(NEXT) | instid1(VALU_DEP_1)
	v_min_u32_e32 v70, 32, v8
	v_subrev_nc_u32_e32 v8, 28, v70
	v_sub_nc_u32_e32 v70, 29, v70
	s_delay_alu instid0(VALU_DEP_2) | instskip(NEXT) | instid1(VALU_DEP_1)
	v_lshlrev_b64 v[8:9], v8, v[12:13]
	v_and_b32_e32 v8, 7, v8
; %bb.2444:                             ;   in Loop: Header=BB466_2335 Depth=1
	s_or_b32 exec_lo, exec_lo, s13
	v_lshlrev_b32_e32 v9, 24, v69
	s_delay_alu instid0(VALU_DEP_2) | instskip(SKIP_1) | instid1(VALU_DEP_3)
	v_lshlrev_b32_e32 v8, 20, v8
	v_lshl_add_u32 v12, v70, 23, 0x3c000000
	v_and_b32_e32 v9, 0x80000000, v9
	s_delay_alu instid0(VALU_DEP_1)
	v_or3_b32 v8, v8, v9, v12
.LBB466_2445:                           ;   in Loop: Header=BB466_2335 Depth=1
	s_or_b32 exec_lo, exec_lo, s12
.LBB466_2446:                           ;   in Loop: Header=BB466_2335 Depth=1
	s_delay_alu instid0(SALU_CYCLE_1)
	s_or_b32 exec_lo, exec_lo, s9
.LBB466_2447:                           ;   in Loop: Header=BB466_2335 Depth=1
	s_delay_alu instid0(SALU_CYCLE_1) | instskip(NEXT) | instid1(VALU_DEP_1)
	s_or_b32 exec_lo, exec_lo, s0
	v_mul_f32_e32 v8, v26, v8
	s_mov_b32 s0, exec_lo
                                        ; implicit-def: $vgpr69
	s_delay_alu instid0(VALU_DEP_1) | instskip(NEXT) | instid1(VALU_DEP_1)
	v_and_b32_e32 v9, 0x7f800000, v8
	v_cmpx_ne_u32_e32 0x7f800000, v9
	s_xor_b32 s0, exec_lo, s0
; %bb.2448:                             ;   in Loop: Header=BB466_2335 Depth=1
	v_bfe_u32 v9, v8, 16, 1
	s_delay_alu instid0(VALU_DEP_1)
	v_add3_u32 v69, v8, v9, 0x7fff
                                        ; implicit-def: $vgpr8
; %bb.2449:                             ;   in Loop: Header=BB466_2335 Depth=1
	s_and_not1_saveexec_b32 s0, s0
; %bb.2450:                             ;   in Loop: Header=BB466_2335 Depth=1
	v_and_b32_e32 v9, 0xffff, v8
	v_or_b32_e32 v12, 0x10000, v8
	s_delay_alu instid0(VALU_DEP_2) | instskip(NEXT) | instid1(VALU_DEP_2)
	v_cmp_eq_u32_e32 vcc_lo, 0, v9
	v_cndmask_b32_e32 v69, v12, v8, vcc_lo
; %bb.2451:                             ;   in Loop: Header=BB466_2335 Depth=1
	s_or_b32 exec_lo, exec_lo, s0
	v_cmp_lt_u64_e32 vcc_lo, s[2:3], v[6:7]
	v_mov_b32_e32 v6, 0
	s_and_saveexec_b32 s0, vcc_lo
	s_cbranch_execz .LBB466_2459
; %bb.2452:                             ;   in Loop: Header=BB466_2335 Depth=1
	v_lshrrev_b32_e32 v8, 24, v7
	v_bfrev_b32_e32 v6, 1
	s_mov_b32 s9, exec_lo
	s_delay_alu instid0(VALU_DEP_2)
	v_cmpx_ne_u32_e32 0x80, v8
	s_cbranch_execz .LBB466_2458
; %bb.2453:                             ;   in Loop: Header=BB466_2335 Depth=1
	v_bfe_u32 v7, v7, 24, 7
	v_mov_b32_e32 v6, 0x7f800001
	s_mov_b32 s12, exec_lo
	s_delay_alu instid0(VALU_DEP_2)
	v_cmpx_ne_u32_e32 0x7f, v7
	s_cbranch_execz .LBB466_2457
; %bb.2454:                             ;   in Loop: Header=BB466_2335 Depth=1
	v_and_b32_e32 v12, 7, v8
	v_lshrrev_b32_e32 v9, 3, v7
	v_cmp_gt_u32_e32 vcc_lo, 8, v7
	s_delay_alu instid0(VALU_DEP_3)
	v_dual_mov_b32 v6, v12 :: v_dual_mov_b32 v7, v13
	s_and_saveexec_b32 s13, vcc_lo
; %bb.2455:                             ;   in Loop: Header=BB466_2335 Depth=1
	v_clz_i32_u32_e32 v6, v12
	s_delay_alu instid0(VALU_DEP_1) | instskip(NEXT) | instid1(VALU_DEP_1)
	v_min_u32_e32 v9, 32, v6
	v_subrev_nc_u32_e32 v6, 28, v9
	v_sub_nc_u32_e32 v9, 29, v9
	s_delay_alu instid0(VALU_DEP_2) | instskip(NEXT) | instid1(VALU_DEP_1)
	v_lshlrev_b64 v[6:7], v6, v[12:13]
	v_and_b32_e32 v6, 7, v6
; %bb.2456:                             ;   in Loop: Header=BB466_2335 Depth=1
	s_or_b32 exec_lo, exec_lo, s13
	v_lshlrev_b32_e32 v7, 24, v8
	s_delay_alu instid0(VALU_DEP_2) | instskip(SKIP_1) | instid1(VALU_DEP_3)
	v_lshlrev_b32_e32 v6, 20, v6
	v_lshl_add_u32 v8, v9, 23, 0x3c000000
	v_and_b32_e32 v7, 0x80000000, v7
	s_delay_alu instid0(VALU_DEP_1)
	v_or3_b32 v6, v6, v7, v8
.LBB466_2457:                           ;   in Loop: Header=BB466_2335 Depth=1
	s_or_b32 exec_lo, exec_lo, s12
.LBB466_2458:                           ;   in Loop: Header=BB466_2335 Depth=1
	s_delay_alu instid0(SALU_CYCLE_1)
	s_or_b32 exec_lo, exec_lo, s9
.LBB466_2459:                           ;   in Loop: Header=BB466_2335 Depth=1
	s_delay_alu instid0(SALU_CYCLE_1) | instskip(NEXT) | instid1(VALU_DEP_1)
	s_or_b32 exec_lo, exec_lo, s0
	v_mul_f32_e32 v7, v26, v6
	s_delay_alu instid0(VALU_DEP_1) | instskip(NEXT) | instid1(VALU_DEP_1)
	v_and_b32_e32 v6, 0x7f800000, v7
	v_cmp_ne_u32_e32 vcc_lo, 0x7f800000, v6
                                        ; implicit-def: $vgpr6
	s_and_saveexec_b32 s0, vcc_lo
	s_delay_alu instid0(SALU_CYCLE_1)
	s_xor_b32 s0, exec_lo, s0
; %bb.2460:                             ;   in Loop: Header=BB466_2335 Depth=1
	v_bfe_u32 v6, v7, 16, 1
	s_delay_alu instid0(VALU_DEP_1)
	v_add3_u32 v6, v7, v6, 0x7fff
                                        ; implicit-def: $vgpr7
; %bb.2461:                             ;   in Loop: Header=BB466_2335 Depth=1
	s_and_not1_saveexec_b32 s0, s0
; %bb.2462:                             ;   in Loop: Header=BB466_2335 Depth=1
	v_and_b32_e32 v6, 0xffff, v7
	v_or_b32_e32 v8, 0x10000, v7
	s_delay_alu instid0(VALU_DEP_2) | instskip(NEXT) | instid1(VALU_DEP_2)
	v_cmp_eq_u32_e32 vcc_lo, 0, v6
	v_cndmask_b32_e32 v6, v8, v7, vcc_lo
; %bb.2463:                             ;   in Loop: Header=BB466_2335 Depth=1
	s_or_b32 exec_lo, exec_lo, s0
	scratch_load_b32 v7, off, s32 offset:552 ; 4-byte Folded Reload
	v_add_nc_u32_e32 v130, -7, v85
	v_lshrrev_b32_e32 v8, 16, v37
	v_lshrrev_b32_e32 v9, 16, v35
	;; [unrolled: 1-line block ×7, first 2 shown]
	v_add_nc_u32_e32 v133, -6, v85
	v_add_nc_u32_e32 v132, -5, v85
	;; [unrolled: 1-line block ×6, first 2 shown]
	s_waitcnt vmcnt(0)
	v_cmp_eq_u32_e32 vcc_lo, v7, v16
	v_lshrrev_b32_e32 v7, 16, v69
	s_and_saveexec_b32 s9, vcc_lo
	s_cbranch_execz .LBB466_2465
; %bb.2464:                             ;   in Loop: Header=BB466_2335 Depth=1
	v_cmp_lt_i32_e64 s0, v130, v36
	s_delay_alu instid0(VALU_DEP_1) | instskip(SKIP_1) | instid1(VALU_DEP_1)
	v_cndmask_b32_e64 v22, 0, v22, s0
	v_cmp_lt_i32_e64 s0, v133, v36
	v_cndmask_b32_e64 v23, 0, v23, s0
	v_cmp_lt_i32_e64 s0, v132, v36
	s_delay_alu instid0(VALU_DEP_1) | instskip(SKIP_1) | instid1(VALU_DEP_1)
	v_cndmask_b32_e64 v27, 0, v27, s0
	v_cmp_lt_i32_e64 s0, v131, v36
	v_cndmask_b32_e64 v12, 0, v12, s0
	;; [unrolled: 5-line block ×4, first 2 shown]
.LBB466_2465:                           ;   in Loop: Header=BB466_2335 Depth=1
	s_or_b32 exec_lo, exec_lo, s9
	v_and_b32_e32 v134, 0xffff0000, v20
	v_lshlrev_b32_e32 v20, 16, v22
	s_delay_alu instid0(VALU_DEP_1) | instskip(NEXT) | instid1(VALU_DEP_1)
	v_mul_f32_e32 v20, v134, v20
	v_and_b32_e32 v22, 0x7f800000, v20
	s_delay_alu instid0(VALU_DEP_1) | instskip(NEXT) | instid1(VALU_DEP_1)
	v_cmp_ne_u32_e64 s0, 0x7f800000, v22
                                        ; implicit-def: $vgpr22
                                        ; kill: killed $vgpr22
	s_and_saveexec_b32 s9, s0
	s_delay_alu instid0(SALU_CYCLE_1)
	s_xor_b32 s0, exec_lo, s9
	s_cbranch_execz .LBB466_2467
; %bb.2466:                             ;   in Loop: Header=BB466_2335 Depth=1
	v_bfe_u32 v22, v20, 16, 1
	s_delay_alu instid0(VALU_DEP_1)
	v_add3_u32 v20, v20, v22, 0x7fff
	scratch_store_b32 off, v20, s32 offset:328 ; 4-byte Folded Spill
                                        ; implicit-def: $vgpr20
.LBB466_2467:                           ;   in Loop: Header=BB466_2335 Depth=1
	s_and_not1_saveexec_b32 s9, s0
	s_cbranch_execz .LBB466_2469
; %bb.2468:                             ;   in Loop: Header=BB466_2335 Depth=1
	v_and_b32_e32 v22, 0xffff, v20
	v_or_b32_e32 v34, 0x10000, v20
	s_delay_alu instid0(VALU_DEP_2) | instskip(NEXT) | instid1(VALU_DEP_1)
	v_cmp_eq_u32_e64 s0, 0, v22
	v_cndmask_b32_e64 v20, v34, v20, s0
	scratch_store_b32 off, v20, s32 offset:328 ; 4-byte Folded Spill
.LBB466_2469:                           ;   in Loop: Header=BB466_2335 Depth=1
	s_or_b32 exec_lo, exec_lo, s9
	v_and_b32_e32 v135, 0xffff0000, v19
	v_lshlrev_b32_e32 v19, 16, v23
	s_delay_alu instid0(VALU_DEP_1) | instskip(NEXT) | instid1(VALU_DEP_1)
	v_mul_f32_e32 v19, v135, v19
	v_and_b32_e32 v20, 0x7f800000, v19
	s_delay_alu instid0(VALU_DEP_1) | instskip(NEXT) | instid1(VALU_DEP_1)
	v_cmp_ne_u32_e64 s0, 0x7f800000, v20
                                        ; implicit-def: $vgpr20
                                        ; kill: killed $vgpr20
	s_and_saveexec_b32 s9, s0
	s_delay_alu instid0(SALU_CYCLE_1)
	s_xor_b32 s0, exec_lo, s9
	s_cbranch_execz .LBB466_2471
; %bb.2470:                             ;   in Loop: Header=BB466_2335 Depth=1
	v_bfe_u32 v20, v19, 16, 1
	s_delay_alu instid0(VALU_DEP_1)
	v_add3_u32 v19, v19, v20, 0x7fff
	scratch_store_b32 off, v19, s32 offset:332 ; 4-byte Folded Spill
                                        ; implicit-def: $vgpr19
.LBB466_2471:                           ;   in Loop: Header=BB466_2335 Depth=1
	s_and_not1_saveexec_b32 s9, s0
	s_cbranch_execz .LBB466_2473
; %bb.2472:                             ;   in Loop: Header=BB466_2335 Depth=1
	v_and_b32_e32 v20, 0xffff, v19
	v_or_b32_e32 v22, 0x10000, v19
	s_delay_alu instid0(VALU_DEP_2) | instskip(NEXT) | instid1(VALU_DEP_1)
	v_cmp_eq_u32_e64 s0, 0, v20
	v_cndmask_b32_e64 v19, v22, v19, s0
	scratch_store_b32 off, v19, s32 offset:332 ; 4-byte Folded Spill
.LBB466_2473:                           ;   in Loop: Header=BB466_2335 Depth=1
	s_or_b32 exec_lo, exec_lo, s9
	v_and_b32_e32 v144, 0xffff0000, v18
	v_lshlrev_b32_e32 v18, 16, v27
	s_delay_alu instid0(VALU_DEP_1) | instskip(NEXT) | instid1(VALU_DEP_1)
	v_mul_f32_e32 v18, v144, v18
	v_and_b32_e32 v19, 0x7f800000, v18
	s_delay_alu instid0(VALU_DEP_1) | instskip(NEXT) | instid1(VALU_DEP_1)
	v_cmp_ne_u32_e64 s0, 0x7f800000, v19
                                        ; implicit-def: $vgpr19
                                        ; kill: killed $vgpr19
	s_and_saveexec_b32 s9, s0
	s_delay_alu instid0(SALU_CYCLE_1)
	s_xor_b32 s0, exec_lo, s9
	s_cbranch_execz .LBB466_2475
; %bb.2474:                             ;   in Loop: Header=BB466_2335 Depth=1
	v_bfe_u32 v19, v18, 16, 1
	s_delay_alu instid0(VALU_DEP_1)
	v_add3_u32 v18, v18, v19, 0x7fff
	scratch_store_b32 off, v18, s32 offset:336 ; 4-byte Folded Spill
                                        ; implicit-def: $vgpr18
.LBB466_2475:                           ;   in Loop: Header=BB466_2335 Depth=1
	s_and_not1_saveexec_b32 s9, s0
	s_cbranch_execz .LBB466_2477
; %bb.2476:                             ;   in Loop: Header=BB466_2335 Depth=1
	v_and_b32_e32 v19, 0xffff, v18
	v_or_b32_e32 v20, 0x10000, v18
	s_delay_alu instid0(VALU_DEP_2) | instskip(NEXT) | instid1(VALU_DEP_1)
	v_cmp_eq_u32_e64 s0, 0, v19
	v_cndmask_b32_e64 v18, v20, v18, s0
	scratch_store_b32 off, v18, s32 offset:336 ; 4-byte Folded Spill
.LBB466_2477:                           ;   in Loop: Header=BB466_2335 Depth=1
	s_or_b32 exec_lo, exec_lo, s9
	v_and_b32_e32 v145, 0xffff0000, v17
	v_lshlrev_b32_e32 v12, 16, v12
	s_delay_alu instid0(VALU_DEP_1) | instskip(NEXT) | instid1(VALU_DEP_1)
	v_mul_f32_e32 v12, v145, v12
	v_and_b32_e32 v17, 0x7f800000, v12
	s_delay_alu instid0(VALU_DEP_1) | instskip(NEXT) | instid1(VALU_DEP_1)
	v_cmp_ne_u32_e64 s0, 0x7f800000, v17
                                        ; implicit-def: $vgpr17
                                        ; kill: killed $vgpr17
	s_and_saveexec_b32 s9, s0
	s_delay_alu instid0(SALU_CYCLE_1)
	s_xor_b32 s0, exec_lo, s9
	s_cbranch_execz .LBB466_2479
; %bb.2478:                             ;   in Loop: Header=BB466_2335 Depth=1
	v_bfe_u32 v17, v12, 16, 1
	s_delay_alu instid0(VALU_DEP_1)
	v_add3_u32 v12, v12, v17, 0x7fff
	scratch_store_b32 off, v12, s32 offset:340 ; 4-byte Folded Spill
                                        ; implicit-def: $vgpr12
.LBB466_2479:                           ;   in Loop: Header=BB466_2335 Depth=1
	s_and_not1_saveexec_b32 s9, s0
	s_cbranch_execz .LBB466_2481
; %bb.2480:                             ;   in Loop: Header=BB466_2335 Depth=1
	v_and_b32_e32 v17, 0xffff, v12
	v_or_b32_e32 v18, 0x10000, v12
	s_delay_alu instid0(VALU_DEP_2) | instskip(NEXT) | instid1(VALU_DEP_1)
	v_cmp_eq_u32_e64 s0, 0, v17
	v_cndmask_b32_e64 v12, v18, v12, s0
	scratch_store_b32 off, v12, s32 offset:340 ; 4-byte Folded Spill
.LBB466_2481:                           ;   in Loop: Header=BB466_2335 Depth=1
	s_or_b32 exec_lo, exec_lo, s9
	v_and_b32_e32 v146, 0xffff0000, v11
	v_lshlrev_b32_e32 v9, 16, v9
	s_delay_alu instid0(VALU_DEP_1) | instskip(NEXT) | instid1(VALU_DEP_1)
	v_mul_f32_e32 v9, v146, v9
	v_and_b32_e32 v11, 0x7f800000, v9
	s_delay_alu instid0(VALU_DEP_1) | instskip(NEXT) | instid1(VALU_DEP_1)
	v_cmp_ne_u32_e64 s0, 0x7f800000, v11
                                        ; implicit-def: $vgpr11
                                        ; kill: killed $vgpr11
	s_and_saveexec_b32 s9, s0
	s_delay_alu instid0(SALU_CYCLE_1)
	s_xor_b32 s0, exec_lo, s9
	s_cbranch_execz .LBB466_2483
; %bb.2482:                             ;   in Loop: Header=BB466_2335 Depth=1
	v_bfe_u32 v11, v9, 16, 1
	s_delay_alu instid0(VALU_DEP_1)
	v_add3_u32 v9, v9, v11, 0x7fff
	scratch_store_b32 off, v9, s32 offset:344 ; 4-byte Folded Spill
                                        ; implicit-def: $vgpr9
.LBB466_2483:                           ;   in Loop: Header=BB466_2335 Depth=1
	s_and_not1_saveexec_b32 s9, s0
	s_cbranch_execz .LBB466_2485
; %bb.2484:                             ;   in Loop: Header=BB466_2335 Depth=1
	v_and_b32_e32 v11, 0xffff, v9
	v_or_b32_e32 v12, 0x10000, v9
	s_delay_alu instid0(VALU_DEP_2) | instskip(NEXT) | instid1(VALU_DEP_1)
	v_cmp_eq_u32_e64 s0, 0, v11
	v_cndmask_b32_e64 v9, v12, v9, s0
	scratch_store_b32 off, v9, s32 offset:344 ; 4-byte Folded Spill
.LBB466_2485:                           ;   in Loop: Header=BB466_2335 Depth=1
	s_or_b32 exec_lo, exec_lo, s9
	v_and_b32_e32 v147, 0xffff0000, v10
	v_lshlrev_b32_e32 v8, 16, v8
	s_delay_alu instid0(VALU_DEP_1) | instskip(NEXT) | instid1(VALU_DEP_1)
	v_mul_f32_e32 v8, v147, v8
	v_and_b32_e32 v9, 0x7f800000, v8
	s_delay_alu instid0(VALU_DEP_1) | instskip(NEXT) | instid1(VALU_DEP_1)
	v_cmp_ne_u32_e64 s0, 0x7f800000, v9
                                        ; implicit-def: $vgpr9
                                        ; kill: killed $vgpr9
	s_and_saveexec_b32 s9, s0
	s_delay_alu instid0(SALU_CYCLE_1)
	s_xor_b32 s0, exec_lo, s9
	s_cbranch_execz .LBB466_2487
; %bb.2486:                             ;   in Loop: Header=BB466_2335 Depth=1
	v_bfe_u32 v9, v8, 16, 1
	s_delay_alu instid0(VALU_DEP_1)
	v_add3_u32 v8, v8, v9, 0x7fff
	scratch_store_b32 off, v8, s32 offset:348 ; 4-byte Folded Spill
                                        ; implicit-def: $vgpr8
.LBB466_2487:                           ;   in Loop: Header=BB466_2335 Depth=1
	s_and_not1_saveexec_b32 s9, s0
	s_cbranch_execz .LBB466_2489
; %bb.2488:                             ;   in Loop: Header=BB466_2335 Depth=1
	v_and_b32_e32 v9, 0xffff, v8
	v_or_b32_e32 v10, 0x10000, v8
	s_delay_alu instid0(VALU_DEP_2) | instskip(NEXT) | instid1(VALU_DEP_1)
	v_cmp_eq_u32_e64 s0, 0, v9
	v_cndmask_b32_e64 v8, v10, v8, s0
	scratch_store_b32 off, v8, s32 offset:348 ; 4-byte Folded Spill
.LBB466_2489:                           ;   in Loop: Header=BB466_2335 Depth=1
	s_or_b32 exec_lo, exec_lo, s9
	v_and_b32_e32 v148, 0xffff0000, v5
	v_lshlrev_b32_e32 v5, 16, v7
	s_delay_alu instid0(VALU_DEP_1) | instskip(NEXT) | instid1(VALU_DEP_1)
	v_mul_f32_e32 v5, v148, v5
	v_and_b32_e32 v7, 0x7f800000, v5
	s_delay_alu instid0(VALU_DEP_1) | instskip(NEXT) | instid1(VALU_DEP_1)
	v_cmp_ne_u32_e64 s0, 0x7f800000, v7
                                        ; implicit-def: $vgpr7
                                        ; kill: killed $vgpr7
	s_and_saveexec_b32 s9, s0
	s_delay_alu instid0(SALU_CYCLE_1)
	s_xor_b32 s0, exec_lo, s9
	s_cbranch_execz .LBB466_2491
; %bb.2490:                             ;   in Loop: Header=BB466_2335 Depth=1
	v_bfe_u32 v7, v5, 16, 1
	s_delay_alu instid0(VALU_DEP_1)
	v_add3_u32 v5, v5, v7, 0x7fff
	scratch_store_b32 off, v5, s32 offset:352 ; 4-byte Folded Spill
                                        ; implicit-def: $vgpr5
.LBB466_2491:                           ;   in Loop: Header=BB466_2335 Depth=1
	s_and_not1_saveexec_b32 s9, s0
	s_cbranch_execz .LBB466_2493
; %bb.2492:                             ;   in Loop: Header=BB466_2335 Depth=1
	v_and_b32_e32 v7, 0xffff, v5
	v_or_b32_e32 v8, 0x10000, v5
	s_delay_alu instid0(VALU_DEP_2) | instskip(NEXT) | instid1(VALU_DEP_1)
	v_cmp_eq_u32_e64 s0, 0, v7
	v_cndmask_b32_e64 v5, v8, v5, s0
	scratch_store_b32 off, v5, s32 offset:352 ; 4-byte Folded Spill
.LBB466_2493:                           ;   in Loop: Header=BB466_2335 Depth=1
	s_or_b32 exec_lo, exec_lo, s9
	v_and_b32_e32 v149, 0xffff0000, v4
	v_lshlrev_b32_e32 v4, 16, v6
	s_delay_alu instid0(VALU_DEP_1) | instskip(NEXT) | instid1(VALU_DEP_1)
	v_mul_f32_e32 v4, v149, v4
	v_and_b32_e32 v5, 0x7f800000, v4
	s_delay_alu instid0(VALU_DEP_1) | instskip(NEXT) | instid1(VALU_DEP_1)
	v_cmp_ne_u32_e64 s0, 0x7f800000, v5
                                        ; implicit-def: $vgpr5
                                        ; kill: killed $vgpr5
	s_and_saveexec_b32 s9, s0
	s_delay_alu instid0(SALU_CYCLE_1)
	s_xor_b32 s0, exec_lo, s9
	s_cbranch_execz .LBB466_2495
; %bb.2494:                             ;   in Loop: Header=BB466_2335 Depth=1
	v_bfe_u32 v5, v4, 16, 1
	s_delay_alu instid0(VALU_DEP_1)
	v_add3_u32 v4, v4, v5, 0x7fff
	scratch_store_b32 off, v4, s32 offset:356 ; 4-byte Folded Spill
                                        ; implicit-def: $vgpr4
.LBB466_2495:                           ;   in Loop: Header=BB466_2335 Depth=1
	s_and_not1_saveexec_b32 s9, s0
	s_cbranch_execz .LBB466_2497
; %bb.2496:                             ;   in Loop: Header=BB466_2335 Depth=1
	v_and_b32_e32 v5, 0xffff, v4
	v_or_b32_e32 v6, 0x10000, v4
	s_delay_alu instid0(VALU_DEP_2) | instskip(NEXT) | instid1(VALU_DEP_1)
	v_cmp_eq_u32_e64 s0, 0, v5
	v_cndmask_b32_e64 v4, v6, v4, s0
	scratch_store_b32 off, v4, s32 offset:356 ; 4-byte Folded Spill
.LBB466_2497:                           ;   in Loop: Header=BB466_2335 Depth=1
	s_or_b32 exec_lo, exec_lo, s9
	flat_load_b64 v[6:7], v[2:3] offset:256
	s_mov_b32 s9, exec_lo
	s_waitcnt vmcnt(0) lgkmcnt(0)
	v_dual_mov_b32 v4, 0 :: v_dual_and_b32 v5, 0xff, v6
	s_delay_alu instid0(VALU_DEP_1)
	v_cmpx_ne_u16_e32 0, v5
	s_cbranch_execz .LBB466_2505
; %bb.2498:                             ;   in Loop: Header=BB466_2335 Depth=1
	v_bfrev_b32_e32 v4, 1
	s_mov_b32 s12, exec_lo
	v_cmpx_ne_u16_e32 0x80, v5
	s_cbranch_execz .LBB466_2504
; %bb.2499:                             ;   in Loop: Header=BB466_2335 Depth=1
	v_and_b32_e32 v5, 0x7f, v6
	v_mov_b32_e32 v4, 0x7f800001
	s_mov_b32 s13, exec_lo
	s_delay_alu instid0(VALU_DEP_2)
	v_cmpx_ne_u32_e32 0x7f, v5
	s_cbranch_execz .LBB466_2503
; %bb.2500:                             ;   in Loop: Header=BB466_2335 Depth=1
	v_lshrrev_b32_e32 v4, 3, v5
	v_dual_mov_b32 v9, v7 :: v_dual_mov_b32 v8, v6
	s_mov_b32 s15, exec_lo
	v_cmpx_gt_u32_e32 8, v5
; %bb.2501:                             ;   in Loop: Header=BB466_2335 Depth=1
	v_and_b32_e32 v4, 7, v6
	s_delay_alu instid0(VALU_DEP_1) | instskip(NEXT) | instid1(VALU_DEP_1)
	v_clz_i32_u32_e32 v4, v4
	v_min_u32_e32 v4, 32, v4
	s_delay_alu instid0(VALU_DEP_1) | instskip(SKIP_1) | instid1(VALU_DEP_2)
	v_subrev_nc_u32_e32 v5, 28, v4
	v_sub_nc_u32_e32 v4, 29, v4
	v_lshlrev_b64 v[8:9], v5, v[6:7]
; %bb.2502:                             ;   in Loop: Header=BB466_2335 Depth=1
	s_or_b32 exec_lo, exec_lo, s15
	s_delay_alu instid0(VALU_DEP_1) | instskip(SKIP_2) | instid1(VALU_DEP_3)
	v_lshlrev_b32_e32 v5, 20, v8
	v_lshlrev_b32_e32 v8, 24, v6
	v_lshl_add_u32 v4, v4, 23, 0x3c000000
	v_and_b32_e32 v5, 0x700000, v5
	s_delay_alu instid0(VALU_DEP_3) | instskip(NEXT) | instid1(VALU_DEP_1)
	v_and_b32_e32 v8, 0x80000000, v8
	v_or3_b32 v4, v5, v8, v4
.LBB466_2503:                           ;   in Loop: Header=BB466_2335 Depth=1
	s_or_b32 exec_lo, exec_lo, s13
.LBB466_2504:                           ;   in Loop: Header=BB466_2335 Depth=1
	s_delay_alu instid0(SALU_CYCLE_1)
	s_or_b32 exec_lo, exec_lo, s12
.LBB466_2505:                           ;   in Loop: Header=BB466_2335 Depth=1
	s_delay_alu instid0(SALU_CYCLE_1) | instskip(NEXT) | instid1(VALU_DEP_1)
	s_or_b32 exec_lo, exec_lo, s9
	v_mul_f32_e32 v5, v26, v4
	s_delay_alu instid0(VALU_DEP_1) | instskip(NEXT) | instid1(VALU_DEP_1)
	v_and_b32_e32 v4, 0x7f800000, v5
	v_cmp_ne_u32_e64 s0, 0x7f800000, v4
                                        ; implicit-def: $vgpr4
	s_delay_alu instid0(VALU_DEP_1) | instskip(NEXT) | instid1(SALU_CYCLE_1)
	s_and_saveexec_b32 s9, s0
	s_xor_b32 s0, exec_lo, s9
; %bb.2506:                             ;   in Loop: Header=BB466_2335 Depth=1
	v_bfe_u32 v4, v5, 16, 1
	s_delay_alu instid0(VALU_DEP_1)
	v_add3_u32 v4, v5, v4, 0x7fff
                                        ; implicit-def: $vgpr5
; %bb.2507:                             ;   in Loop: Header=BB466_2335 Depth=1
	s_and_not1_saveexec_b32 s9, s0
; %bb.2508:                             ;   in Loop: Header=BB466_2335 Depth=1
	v_and_b32_e32 v4, 0xffff, v5
	v_or_b32_e32 v8, 0x10000, v5
	s_delay_alu instid0(VALU_DEP_2) | instskip(NEXT) | instid1(VALU_DEP_1)
	v_cmp_eq_u32_e64 s0, 0, v4
	v_cndmask_b32_e64 v4, v8, v5, s0
; %bb.2509:                             ;   in Loop: Header=BB466_2335 Depth=1
	s_or_b32 exec_lo, exec_lo, s9
	v_lshrrev_b16 v8, 8, v6
	v_mov_b32_e32 v5, 0
	s_mov_b32 s9, exec_lo
	s_delay_alu instid0(VALU_DEP_2)
	v_cmpx_ne_u16_e32 0, v8
	s_cbranch_execz .LBB466_2517
; %bb.2510:                             ;   in Loop: Header=BB466_2335 Depth=1
	v_bfrev_b32_e32 v5, 1
	s_mov_b32 s12, exec_lo
	v_cmpx_ne_u16_e32 0x80, v8
	s_cbranch_execz .LBB466_2516
; %bb.2511:                             ;   in Loop: Header=BB466_2335 Depth=1
	v_and_b32_e32 v9, 0xffff, v8
	v_mov_b32_e32 v5, 0x7f800001
	s_mov_b32 s13, exec_lo
	s_delay_alu instid0(VALU_DEP_2) | instskip(NEXT) | instid1(VALU_DEP_1)
	v_and_b32_e32 v8, 0x7f, v9
	v_cmpx_ne_u32_e32 0x7f, v8
	s_cbranch_execz .LBB466_2515
; %bb.2512:                             ;   in Loop: Header=BB466_2335 Depth=1
	v_and_b32_e32 v12, 7, v9
	v_lshrrev_b32_e32 v5, 3, v8
	v_cmp_gt_u32_e64 s0, 8, v8
	s_delay_alu instid0(VALU_DEP_3) | instskip(NEXT) | instid1(VALU_DEP_2)
	v_dual_mov_b32 v8, v12 :: v_dual_mov_b32 v9, v13
	s_and_saveexec_b32 s15, s0
; %bb.2513:                             ;   in Loop: Header=BB466_2335 Depth=1
	v_clz_i32_u32_e32 v5, v12
	s_delay_alu instid0(VALU_DEP_1) | instskip(NEXT) | instid1(VALU_DEP_1)
	v_min_u32_e32 v5, 32, v5
	v_subrev_nc_u32_e32 v8, 28, v5
	v_sub_nc_u32_e32 v5, 29, v5
	s_delay_alu instid0(VALU_DEP_2) | instskip(NEXT) | instid1(VALU_DEP_1)
	v_lshlrev_b64 v[8:9], v8, v[12:13]
	v_and_b32_e32 v8, 7, v8
; %bb.2514:                             ;   in Loop: Header=BB466_2335 Depth=1
	s_or_b32 exec_lo, exec_lo, s15
	v_lshlrev_b32_e32 v9, 16, v6
	s_delay_alu instid0(VALU_DEP_2) | instskip(SKIP_1) | instid1(VALU_DEP_3)
	v_lshlrev_b32_e32 v8, 20, v8
	v_lshl_add_u32 v5, v5, 23, 0x3c000000
	v_and_b32_e32 v9, 0x80000000, v9
	s_delay_alu instid0(VALU_DEP_1)
	v_or3_b32 v5, v8, v9, v5
.LBB466_2515:                           ;   in Loop: Header=BB466_2335 Depth=1
	s_or_b32 exec_lo, exec_lo, s13
.LBB466_2516:                           ;   in Loop: Header=BB466_2335 Depth=1
	s_delay_alu instid0(SALU_CYCLE_1)
	s_or_b32 exec_lo, exec_lo, s12
.LBB466_2517:                           ;   in Loop: Header=BB466_2335 Depth=1
	s_delay_alu instid0(SALU_CYCLE_1) | instskip(NEXT) | instid1(VALU_DEP_1)
	s_or_b32 exec_lo, exec_lo, s9
	v_mul_f32_e32 v8, v26, v5
	s_delay_alu instid0(VALU_DEP_1) | instskip(NEXT) | instid1(VALU_DEP_1)
	v_and_b32_e32 v5, 0x7f800000, v8
	v_cmp_ne_u32_e64 s0, 0x7f800000, v5
                                        ; implicit-def: $vgpr5
	s_delay_alu instid0(VALU_DEP_1) | instskip(NEXT) | instid1(SALU_CYCLE_1)
	s_and_saveexec_b32 s9, s0
	s_xor_b32 s0, exec_lo, s9
; %bb.2518:                             ;   in Loop: Header=BB466_2335 Depth=1
	v_bfe_u32 v5, v8, 16, 1
	s_delay_alu instid0(VALU_DEP_1)
	v_add3_u32 v5, v8, v5, 0x7fff
                                        ; implicit-def: $vgpr8
; %bb.2519:                             ;   in Loop: Header=BB466_2335 Depth=1
	s_and_not1_saveexec_b32 s9, s0
; %bb.2520:                             ;   in Loop: Header=BB466_2335 Depth=1
	v_and_b32_e32 v5, 0xffff, v8
	v_or_b32_e32 v9, 0x10000, v8
	s_delay_alu instid0(VALU_DEP_2) | instskip(NEXT) | instid1(VALU_DEP_1)
	v_cmp_eq_u32_e64 s0, 0, v5
	v_cndmask_b32_e64 v5, v9, v8, s0
; %bb.2521:                             ;   in Loop: Header=BB466_2335 Depth=1
	s_or_b32 exec_lo, exec_lo, s9
	v_lshrrev_b32_e32 v10, 16, v6
	s_mov_b32 s9, exec_lo
	s_delay_alu instid0(VALU_DEP_1) | instskip(NEXT) | instid1(VALU_DEP_1)
	v_dual_mov_b32 v8, 0 :: v_dual_and_b32 v9, 0xff, v10
	v_cmpx_ne_u16_e32 0, v9
	s_cbranch_execz .LBB466_2529
; %bb.2522:                             ;   in Loop: Header=BB466_2335 Depth=1
	v_bfrev_b32_e32 v8, 1
	s_mov_b32 s12, exec_lo
	v_cmpx_ne_u16_e32 0x80, v9
	s_cbranch_execz .LBB466_2528
; %bb.2523:                             ;   in Loop: Header=BB466_2335 Depth=1
	v_bfe_u32 v9, v6, 16, 7
	v_mov_b32_e32 v8, 0x7f800001
	s_mov_b32 s13, exec_lo
	s_delay_alu instid0(VALU_DEP_2)
	v_cmpx_ne_u32_e32 0x7f, v9
	s_cbranch_execz .LBB466_2527
; %bb.2524:                             ;   in Loop: Header=BB466_2335 Depth=1
	v_and_b32_e32 v12, 7, v10
	v_lshrrev_b32_e32 v11, 3, v9
	v_cmp_gt_u32_e64 s0, 8, v9
	s_delay_alu instid0(VALU_DEP_3) | instskip(NEXT) | instid1(VALU_DEP_2)
	v_dual_mov_b32 v8, v12 :: v_dual_mov_b32 v9, v13
	s_and_saveexec_b32 s15, s0
; %bb.2525:                             ;   in Loop: Header=BB466_2335 Depth=1
	v_clz_i32_u32_e32 v8, v12
	s_delay_alu instid0(VALU_DEP_1) | instskip(NEXT) | instid1(VALU_DEP_1)
	v_min_u32_e32 v11, 32, v8
	v_subrev_nc_u32_e32 v8, 28, v11
	v_sub_nc_u32_e32 v11, 29, v11
	s_delay_alu instid0(VALU_DEP_2) | instskip(NEXT) | instid1(VALU_DEP_1)
	v_lshlrev_b64 v[8:9], v8, v[12:13]
	v_and_b32_e32 v8, 7, v8
; %bb.2526:                             ;   in Loop: Header=BB466_2335 Depth=1
	s_or_b32 exec_lo, exec_lo, s15
	v_lshlrev_b32_e32 v9, 24, v10
	s_delay_alu instid0(VALU_DEP_2) | instskip(SKIP_1) | instid1(VALU_DEP_3)
	v_lshlrev_b32_e32 v8, 20, v8
	v_lshl_add_u32 v10, v11, 23, 0x3c000000
	v_and_b32_e32 v9, 0x80000000, v9
	s_delay_alu instid0(VALU_DEP_1)
	v_or3_b32 v8, v8, v9, v10
.LBB466_2527:                           ;   in Loop: Header=BB466_2335 Depth=1
	s_or_b32 exec_lo, exec_lo, s13
.LBB466_2528:                           ;   in Loop: Header=BB466_2335 Depth=1
	s_delay_alu instid0(SALU_CYCLE_1)
	s_or_b32 exec_lo, exec_lo, s12
.LBB466_2529:                           ;   in Loop: Header=BB466_2335 Depth=1
	s_delay_alu instid0(SALU_CYCLE_1) | instskip(NEXT) | instid1(VALU_DEP_1)
	s_or_b32 exec_lo, exec_lo, s9
	v_mul_f32_e32 v8, v26, v8
                                        ; implicit-def: $vgpr10
	s_delay_alu instid0(VALU_DEP_1) | instskip(NEXT) | instid1(VALU_DEP_1)
	v_and_b32_e32 v9, 0x7f800000, v8
	v_cmp_ne_u32_e64 s0, 0x7f800000, v9
	s_delay_alu instid0(VALU_DEP_1) | instskip(NEXT) | instid1(SALU_CYCLE_1)
	s_and_saveexec_b32 s9, s0
	s_xor_b32 s0, exec_lo, s9
; %bb.2530:                             ;   in Loop: Header=BB466_2335 Depth=1
	v_bfe_u32 v9, v8, 16, 1
	s_delay_alu instid0(VALU_DEP_1)
	v_add3_u32 v10, v8, v9, 0x7fff
                                        ; implicit-def: $vgpr8
; %bb.2531:                             ;   in Loop: Header=BB466_2335 Depth=1
	s_and_not1_saveexec_b32 s9, s0
; %bb.2532:                             ;   in Loop: Header=BB466_2335 Depth=1
	v_and_b32_e32 v9, 0xffff, v8
	v_or_b32_e32 v10, 0x10000, v8
	s_delay_alu instid0(VALU_DEP_2) | instskip(NEXT) | instid1(VALU_DEP_1)
	v_cmp_eq_u32_e64 s0, 0, v9
	v_cndmask_b32_e64 v10, v10, v8, s0
; %bb.2533:                             ;   in Loop: Header=BB466_2335 Depth=1
	s_or_b32 exec_lo, exec_lo, s9
	v_mov_b32_e32 v8, 0
	s_mov_b32 s9, exec_lo
	v_cmpx_lt_u32_e32 0xffffff, v6
	s_cbranch_execz .LBB466_2541
; %bb.2534:                             ;   in Loop: Header=BB466_2335 Depth=1
	v_lshrrev_b32_e32 v11, 24, v6
	v_bfrev_b32_e32 v8, 1
	s_mov_b32 s12, exec_lo
	s_delay_alu instid0(VALU_DEP_2)
	v_cmpx_ne_u32_e32 0x80, v11
	s_cbranch_execz .LBB466_2540
; %bb.2535:                             ;   in Loop: Header=BB466_2335 Depth=1
	v_bfe_u32 v9, v6, 24, 7
	v_mov_b32_e32 v8, 0x7f800001
	s_mov_b32 s13, exec_lo
	s_delay_alu instid0(VALU_DEP_2)
	v_cmpx_ne_u32_e32 0x7f, v9
	s_cbranch_execz .LBB466_2539
; %bb.2536:                             ;   in Loop: Header=BB466_2335 Depth=1
	v_and_b32_e32 v12, 7, v11
	v_lshrrev_b32_e32 v17, 3, v9
	v_cmp_gt_u32_e64 s0, 8, v9
	s_delay_alu instid0(VALU_DEP_3) | instskip(NEXT) | instid1(VALU_DEP_2)
	v_dual_mov_b32 v8, v12 :: v_dual_mov_b32 v9, v13
	s_and_saveexec_b32 s15, s0
; %bb.2537:                             ;   in Loop: Header=BB466_2335 Depth=1
	v_clz_i32_u32_e32 v8, v12
	s_delay_alu instid0(VALU_DEP_1) | instskip(NEXT) | instid1(VALU_DEP_1)
	v_min_u32_e32 v17, 32, v8
	v_subrev_nc_u32_e32 v8, 28, v17
	v_sub_nc_u32_e32 v17, 29, v17
	s_delay_alu instid0(VALU_DEP_2) | instskip(NEXT) | instid1(VALU_DEP_1)
	v_lshlrev_b64 v[8:9], v8, v[12:13]
	v_and_b32_e32 v8, 7, v8
; %bb.2538:                             ;   in Loop: Header=BB466_2335 Depth=1
	s_or_b32 exec_lo, exec_lo, s15
	v_lshlrev_b32_e32 v9, 24, v11
	s_delay_alu instid0(VALU_DEP_2) | instskip(SKIP_1) | instid1(VALU_DEP_3)
	v_lshlrev_b32_e32 v8, 20, v8
	v_lshl_add_u32 v11, v17, 23, 0x3c000000
	v_and_b32_e32 v9, 0x80000000, v9
	s_delay_alu instid0(VALU_DEP_1)
	v_or3_b32 v8, v8, v9, v11
.LBB466_2539:                           ;   in Loop: Header=BB466_2335 Depth=1
	s_or_b32 exec_lo, exec_lo, s13
.LBB466_2540:                           ;   in Loop: Header=BB466_2335 Depth=1
	s_delay_alu instid0(SALU_CYCLE_1)
	s_or_b32 exec_lo, exec_lo, s12
.LBB466_2541:                           ;   in Loop: Header=BB466_2335 Depth=1
	s_delay_alu instid0(SALU_CYCLE_1) | instskip(NEXT) | instid1(VALU_DEP_1)
	s_or_b32 exec_lo, exec_lo, s9
	v_mul_f32_e32 v8, v26, v8
                                        ; implicit-def: $vgpr11
	s_delay_alu instid0(VALU_DEP_1) | instskip(NEXT) | instid1(VALU_DEP_1)
	v_and_b32_e32 v9, 0x7f800000, v8
	v_cmp_ne_u32_e64 s0, 0x7f800000, v9
	s_delay_alu instid0(VALU_DEP_1) | instskip(NEXT) | instid1(SALU_CYCLE_1)
	s_and_saveexec_b32 s9, s0
	s_xor_b32 s0, exec_lo, s9
; %bb.2542:                             ;   in Loop: Header=BB466_2335 Depth=1
	v_bfe_u32 v9, v8, 16, 1
	s_delay_alu instid0(VALU_DEP_1)
	v_add3_u32 v11, v8, v9, 0x7fff
                                        ; implicit-def: $vgpr8
; %bb.2543:                             ;   in Loop: Header=BB466_2335 Depth=1
	s_and_not1_saveexec_b32 s9, s0
; %bb.2544:                             ;   in Loop: Header=BB466_2335 Depth=1
	v_and_b32_e32 v9, 0xffff, v8
	v_or_b32_e32 v11, 0x10000, v8
	s_delay_alu instid0(VALU_DEP_2) | instskip(NEXT) | instid1(VALU_DEP_1)
	v_cmp_eq_u32_e64 s0, 0, v9
	v_cndmask_b32_e64 v11, v11, v8, s0
; %bb.2545:                             ;   in Loop: Header=BB466_2335 Depth=1
	s_or_b32 exec_lo, exec_lo, s9
	v_dual_mov_b32 v12, v7 :: v_dual_and_b32 v9, 0xff, v7
	v_mov_b32_e32 v8, 0
	s_mov_b32 s9, exec_lo
	s_delay_alu instid0(VALU_DEP_2)
	v_cmpx_ne_u16_e32 0, v9
	s_cbranch_execz .LBB466_2553
; %bb.2546:                             ;   in Loop: Header=BB466_2335 Depth=1
	v_bfrev_b32_e32 v8, 1
	s_mov_b32 s12, exec_lo
	v_cmpx_ne_u16_e32 0x80, v9
	s_cbranch_execz .LBB466_2552
; %bb.2547:                             ;   in Loop: Header=BB466_2335 Depth=1
	v_and_b32_e32 v9, 0x7f, v7
	v_mov_b32_e32 v8, 0x7f800001
	s_mov_b32 s13, exec_lo
	s_delay_alu instid0(VALU_DEP_2)
	v_cmpx_ne_u32_e32 0x7f, v9
	s_cbranch_execz .LBB466_2551
; %bb.2548:                             ;   in Loop: Header=BB466_2335 Depth=1
	v_lshrrev_b32_e32 v17, 3, v9
	v_cmp_gt_u32_e64 s0, 8, v9
	v_dual_mov_b32 v8, v12 :: v_dual_mov_b32 v9, v13
	s_delay_alu instid0(VALU_DEP_2)
	s_and_saveexec_b32 s15, s0
; %bb.2549:                             ;   in Loop: Header=BB466_2335 Depth=1
	v_and_b32_e32 v8, 7, v7
	s_delay_alu instid0(VALU_DEP_1) | instskip(NEXT) | instid1(VALU_DEP_1)
	v_clz_i32_u32_e32 v8, v8
	v_min_u32_e32 v17, 32, v8
	s_delay_alu instid0(VALU_DEP_1) | instskip(SKIP_1) | instid1(VALU_DEP_2)
	v_subrev_nc_u32_e32 v8, 28, v17
	v_sub_nc_u32_e32 v17, 29, v17
	v_lshlrev_b64 v[8:9], v8, v[12:13]
; %bb.2550:                             ;   in Loop: Header=BB466_2335 Depth=1
	s_or_b32 exec_lo, exec_lo, s15
	s_delay_alu instid0(VALU_DEP_1) | instskip(SKIP_2) | instid1(VALU_DEP_3)
	v_lshlrev_b32_e32 v8, 20, v8
	v_lshlrev_b32_e32 v9, 24, v12
	v_lshl_add_u32 v17, v17, 23, 0x3c000000
	v_and_b32_e32 v8, 0x700000, v8
	s_delay_alu instid0(VALU_DEP_3) | instskip(NEXT) | instid1(VALU_DEP_1)
	v_and_b32_e32 v9, 0x80000000, v9
	v_or3_b32 v8, v8, v9, v17
.LBB466_2551:                           ;   in Loop: Header=BB466_2335 Depth=1
	s_or_b32 exec_lo, exec_lo, s13
.LBB466_2552:                           ;   in Loop: Header=BB466_2335 Depth=1
	s_delay_alu instid0(SALU_CYCLE_1)
	s_or_b32 exec_lo, exec_lo, s12
.LBB466_2553:                           ;   in Loop: Header=BB466_2335 Depth=1
	s_delay_alu instid0(SALU_CYCLE_1) | instskip(NEXT) | instid1(VALU_DEP_1)
	s_or_b32 exec_lo, exec_lo, s9
	v_mul_f32_e32 v8, v26, v8
                                        ; implicit-def: $vgpr17
	s_delay_alu instid0(VALU_DEP_1) | instskip(NEXT) | instid1(VALU_DEP_1)
	v_and_b32_e32 v9, 0x7f800000, v8
	v_cmp_ne_u32_e64 s0, 0x7f800000, v9
	s_delay_alu instid0(VALU_DEP_1) | instskip(NEXT) | instid1(SALU_CYCLE_1)
	s_and_saveexec_b32 s9, s0
	s_xor_b32 s0, exec_lo, s9
; %bb.2554:                             ;   in Loop: Header=BB466_2335 Depth=1
	v_bfe_u32 v9, v8, 16, 1
	s_delay_alu instid0(VALU_DEP_1)
	v_add3_u32 v17, v8, v9, 0x7fff
                                        ; implicit-def: $vgpr8
; %bb.2555:                             ;   in Loop: Header=BB466_2335 Depth=1
	s_and_not1_saveexec_b32 s9, s0
; %bb.2556:                             ;   in Loop: Header=BB466_2335 Depth=1
	v_and_b32_e32 v9, 0xffff, v8
	v_or_b32_e32 v17, 0x10000, v8
	s_delay_alu instid0(VALU_DEP_2) | instskip(NEXT) | instid1(VALU_DEP_1)
	v_cmp_eq_u32_e64 s0, 0, v9
	v_cndmask_b32_e64 v17, v17, v8, s0
; %bb.2557:                             ;   in Loop: Header=BB466_2335 Depth=1
	s_or_b32 exec_lo, exec_lo, s9
	v_lshrrev_b16 v9, 8, v12
	v_mov_b32_e32 v8, 0
	s_mov_b32 s9, exec_lo
	s_delay_alu instid0(VALU_DEP_2)
	v_cmpx_ne_u16_e32 0, v9
	s_cbranch_execz .LBB466_2565
; %bb.2558:                             ;   in Loop: Header=BB466_2335 Depth=1
	v_bfrev_b32_e32 v8, 1
	s_mov_b32 s12, exec_lo
	v_cmpx_ne_u16_e32 0x80, v9
	s_cbranch_execz .LBB466_2564
; %bb.2559:                             ;   in Loop: Header=BB466_2335 Depth=1
	v_and_b32_e32 v9, 0xffff, v9
	v_mov_b32_e32 v8, 0x7f800001
	s_mov_b32 s13, exec_lo
	s_delay_alu instid0(VALU_DEP_2) | instskip(NEXT) | instid1(VALU_DEP_1)
	v_and_b32_e32 v19, 0x7f, v9
	v_cmpx_ne_u32_e32 0x7f, v19
	s_cbranch_execz .LBB466_2563
; %bb.2560:                             ;   in Loop: Header=BB466_2335 Depth=1
	v_dual_mov_b32 v9, v13 :: v_dual_and_b32 v8, 7, v9
	v_lshrrev_b32_e32 v18, 3, v19
	s_mov_b32 s15, exec_lo
	v_cmpx_gt_u32_e32 8, v19
; %bb.2561:                             ;   in Loop: Header=BB466_2335 Depth=1
	s_delay_alu instid0(VALU_DEP_3) | instskip(NEXT) | instid1(VALU_DEP_1)
	v_clz_i32_u32_e32 v18, v8
	v_min_u32_e32 v18, 32, v18
	s_delay_alu instid0(VALU_DEP_1) | instskip(SKIP_1) | instid1(VALU_DEP_2)
	v_subrev_nc_u32_e32 v19, 28, v18
	v_sub_nc_u32_e32 v18, 29, v18
	v_lshlrev_b64 v[8:9], v19, v[8:9]
	s_delay_alu instid0(VALU_DEP_1)
	v_and_b32_e32 v8, 7, v8
; %bb.2562:                             ;   in Loop: Header=BB466_2335 Depth=1
	s_or_b32 exec_lo, exec_lo, s15
	v_lshlrev_b32_e32 v9, 16, v12
	s_delay_alu instid0(VALU_DEP_2) | instskip(SKIP_1) | instid1(VALU_DEP_3)
	v_lshlrev_b32_e32 v8, 20, v8
	v_lshl_add_u32 v12, v18, 23, 0x3c000000
	v_and_b32_e32 v9, 0x80000000, v9
	s_delay_alu instid0(VALU_DEP_1)
	v_or3_b32 v8, v8, v9, v12
.LBB466_2563:                           ;   in Loop: Header=BB466_2335 Depth=1
	s_or_b32 exec_lo, exec_lo, s13
.LBB466_2564:                           ;   in Loop: Header=BB466_2335 Depth=1
	s_delay_alu instid0(SALU_CYCLE_1)
	s_or_b32 exec_lo, exec_lo, s12
.LBB466_2565:                           ;   in Loop: Header=BB466_2335 Depth=1
	s_delay_alu instid0(SALU_CYCLE_1) | instskip(NEXT) | instid1(VALU_DEP_1)
	s_or_b32 exec_lo, exec_lo, s9
	v_mul_f32_e32 v8, v26, v8
                                        ; implicit-def: $vgpr18
	s_delay_alu instid0(VALU_DEP_1) | instskip(NEXT) | instid1(VALU_DEP_1)
	v_and_b32_e32 v9, 0x7f800000, v8
	v_cmp_ne_u32_e64 s0, 0x7f800000, v9
	s_delay_alu instid0(VALU_DEP_1) | instskip(NEXT) | instid1(SALU_CYCLE_1)
	s_and_saveexec_b32 s9, s0
	s_xor_b32 s0, exec_lo, s9
; %bb.2566:                             ;   in Loop: Header=BB466_2335 Depth=1
	v_bfe_u32 v9, v8, 16, 1
	s_delay_alu instid0(VALU_DEP_1)
	v_add3_u32 v18, v8, v9, 0x7fff
                                        ; implicit-def: $vgpr8
; %bb.2567:                             ;   in Loop: Header=BB466_2335 Depth=1
	s_and_not1_saveexec_b32 s9, s0
; %bb.2568:                             ;   in Loop: Header=BB466_2335 Depth=1
	v_and_b32_e32 v9, 0xffff, v8
	v_or_b32_e32 v12, 0x10000, v8
	s_delay_alu instid0(VALU_DEP_2) | instskip(NEXT) | instid1(VALU_DEP_1)
	v_cmp_eq_u32_e64 s0, 0, v9
	v_cndmask_b32_e64 v18, v12, v8, s0
; %bb.2569:                             ;   in Loop: Header=BB466_2335 Depth=1
	s_or_b32 exec_lo, exec_lo, s9
	v_lshrrev_b32_e32 v19, 16, v7
	s_mov_b32 s9, exec_lo
	s_delay_alu instid0(VALU_DEP_1) | instskip(NEXT) | instid1(VALU_DEP_1)
	v_dual_mov_b32 v8, 0 :: v_dual_and_b32 v9, 0xff, v19
	v_cmpx_ne_u16_e32 0, v9
	s_cbranch_execz .LBB466_2577
; %bb.2570:                             ;   in Loop: Header=BB466_2335 Depth=1
	v_bfrev_b32_e32 v8, 1
	s_mov_b32 s12, exec_lo
	v_cmpx_ne_u16_e32 0x80, v9
	s_cbranch_execz .LBB466_2576
; %bb.2571:                             ;   in Loop: Header=BB466_2335 Depth=1
	v_bfe_u32 v9, v7, 16, 7
	v_mov_b32_e32 v8, 0x7f800001
	s_mov_b32 s13, exec_lo
	s_delay_alu instid0(VALU_DEP_2)
	v_cmpx_ne_u32_e32 0x7f, v9
	s_cbranch_execz .LBB466_2575
; %bb.2572:                             ;   in Loop: Header=BB466_2335 Depth=1
	v_and_b32_e32 v12, 7, v19
	v_lshrrev_b32_e32 v20, 3, v9
	v_cmp_gt_u32_e64 s0, 8, v9
	s_delay_alu instid0(VALU_DEP_3) | instskip(NEXT) | instid1(VALU_DEP_2)
	v_dual_mov_b32 v8, v12 :: v_dual_mov_b32 v9, v13
	s_and_saveexec_b32 s15, s0
; %bb.2573:                             ;   in Loop: Header=BB466_2335 Depth=1
	v_clz_i32_u32_e32 v8, v12
	s_delay_alu instid0(VALU_DEP_1) | instskip(NEXT) | instid1(VALU_DEP_1)
	v_min_u32_e32 v20, 32, v8
	v_subrev_nc_u32_e32 v8, 28, v20
	v_sub_nc_u32_e32 v20, 29, v20
	s_delay_alu instid0(VALU_DEP_2) | instskip(NEXT) | instid1(VALU_DEP_1)
	v_lshlrev_b64 v[8:9], v8, v[12:13]
	v_and_b32_e32 v8, 7, v8
; %bb.2574:                             ;   in Loop: Header=BB466_2335 Depth=1
	s_or_b32 exec_lo, exec_lo, s15
	v_lshlrev_b32_e32 v9, 24, v19
	s_delay_alu instid0(VALU_DEP_2) | instskip(SKIP_1) | instid1(VALU_DEP_3)
	v_lshlrev_b32_e32 v8, 20, v8
	v_lshl_add_u32 v12, v20, 23, 0x3c000000
	v_and_b32_e32 v9, 0x80000000, v9
	s_delay_alu instid0(VALU_DEP_1)
	v_or3_b32 v8, v8, v9, v12
.LBB466_2575:                           ;   in Loop: Header=BB466_2335 Depth=1
	s_or_b32 exec_lo, exec_lo, s13
.LBB466_2576:                           ;   in Loop: Header=BB466_2335 Depth=1
	s_delay_alu instid0(SALU_CYCLE_1)
	s_or_b32 exec_lo, exec_lo, s12
.LBB466_2577:                           ;   in Loop: Header=BB466_2335 Depth=1
	s_delay_alu instid0(SALU_CYCLE_1) | instskip(NEXT) | instid1(VALU_DEP_1)
	s_or_b32 exec_lo, exec_lo, s9
	v_mul_f32_e32 v8, v26, v8
	s_delay_alu instid0(VALU_DEP_1) | instskip(NEXT) | instid1(VALU_DEP_1)
	v_and_b32_e32 v9, 0x7f800000, v8
	v_cmp_ne_u32_e64 s0, 0x7f800000, v9
                                        ; implicit-def: $vgpr9
	s_delay_alu instid0(VALU_DEP_1) | instskip(NEXT) | instid1(SALU_CYCLE_1)
	s_and_saveexec_b32 s9, s0
	s_xor_b32 s0, exec_lo, s9
; %bb.2578:                             ;   in Loop: Header=BB466_2335 Depth=1
	v_bfe_u32 v9, v8, 16, 1
	s_delay_alu instid0(VALU_DEP_1)
	v_add3_u32 v9, v8, v9, 0x7fff
                                        ; implicit-def: $vgpr8
; %bb.2579:                             ;   in Loop: Header=BB466_2335 Depth=1
	s_and_not1_saveexec_b32 s9, s0
; %bb.2580:                             ;   in Loop: Header=BB466_2335 Depth=1
	v_and_b32_e32 v9, 0xffff, v8
	v_or_b32_e32 v12, 0x10000, v8
	s_delay_alu instid0(VALU_DEP_2) | instskip(NEXT) | instid1(VALU_DEP_1)
	v_cmp_eq_u32_e64 s0, 0, v9
	v_cndmask_b32_e64 v9, v12, v8, s0
; %bb.2581:                             ;   in Loop: Header=BB466_2335 Depth=1
	s_or_b32 exec_lo, exec_lo, s9
	v_cmp_lt_u64_e64 s0, s[2:3], v[6:7]
	v_mov_b32_e32 v6, 0
	s_delay_alu instid0(VALU_DEP_2)
	s_and_saveexec_b32 s9, s0
	s_cbranch_execz .LBB466_2589
; %bb.2582:                             ;   in Loop: Header=BB466_2335 Depth=1
	v_lshrrev_b32_e32 v8, 24, v7
	v_bfrev_b32_e32 v6, 1
	s_mov_b32 s12, exec_lo
	s_delay_alu instid0(VALU_DEP_2)
	v_cmpx_ne_u32_e32 0x80, v8
	s_cbranch_execz .LBB466_2588
; %bb.2583:                             ;   in Loop: Header=BB466_2335 Depth=1
	v_bfe_u32 v7, v7, 24, 7
	v_mov_b32_e32 v6, 0x7f800001
	s_mov_b32 s13, exec_lo
	s_delay_alu instid0(VALU_DEP_2)
	v_cmpx_ne_u32_e32 0x7f, v7
	s_cbranch_execz .LBB466_2587
; %bb.2584:                             ;   in Loop: Header=BB466_2335 Depth=1
	v_and_b32_e32 v12, 7, v8
	v_lshrrev_b32_e32 v19, 3, v7
	v_cmp_gt_u32_e64 s0, 8, v7
	s_delay_alu instid0(VALU_DEP_3) | instskip(NEXT) | instid1(VALU_DEP_2)
	v_dual_mov_b32 v6, v12 :: v_dual_mov_b32 v7, v13
	s_and_saveexec_b32 s15, s0
; %bb.2585:                             ;   in Loop: Header=BB466_2335 Depth=1
	v_clz_i32_u32_e32 v6, v12
	s_delay_alu instid0(VALU_DEP_1) | instskip(NEXT) | instid1(VALU_DEP_1)
	v_min_u32_e32 v19, 32, v6
	v_subrev_nc_u32_e32 v6, 28, v19
	v_sub_nc_u32_e32 v19, 29, v19
	s_delay_alu instid0(VALU_DEP_2) | instskip(NEXT) | instid1(VALU_DEP_1)
	v_lshlrev_b64 v[6:7], v6, v[12:13]
	v_and_b32_e32 v6, 7, v6
; %bb.2586:                             ;   in Loop: Header=BB466_2335 Depth=1
	s_or_b32 exec_lo, exec_lo, s15
	v_lshlrev_b32_e32 v7, 24, v8
	s_delay_alu instid0(VALU_DEP_2) | instskip(SKIP_1) | instid1(VALU_DEP_3)
	v_lshlrev_b32_e32 v6, 20, v6
	v_lshl_add_u32 v8, v19, 23, 0x3c000000
	v_and_b32_e32 v7, 0x80000000, v7
	s_delay_alu instid0(VALU_DEP_1)
	v_or3_b32 v6, v6, v7, v8
.LBB466_2587:                           ;   in Loop: Header=BB466_2335 Depth=1
	s_or_b32 exec_lo, exec_lo, s13
.LBB466_2588:                           ;   in Loop: Header=BB466_2335 Depth=1
	s_delay_alu instid0(SALU_CYCLE_1)
	s_or_b32 exec_lo, exec_lo, s12
.LBB466_2589:                           ;   in Loop: Header=BB466_2335 Depth=1
	s_delay_alu instid0(SALU_CYCLE_1) | instskip(NEXT) | instid1(VALU_DEP_1)
	s_or_b32 exec_lo, exec_lo, s9
	v_mul_f32_e32 v6, v26, v6
                                        ; implicit-def: $vgpr19
	s_delay_alu instid0(VALU_DEP_1) | instskip(NEXT) | instid1(VALU_DEP_1)
	v_and_b32_e32 v7, 0x7f800000, v6
	v_cmp_ne_u32_e64 s0, 0x7f800000, v7
	s_delay_alu instid0(VALU_DEP_1) | instskip(NEXT) | instid1(SALU_CYCLE_1)
	s_and_saveexec_b32 s9, s0
	s_xor_b32 s0, exec_lo, s9
; %bb.2590:                             ;   in Loop: Header=BB466_2335 Depth=1
	v_bfe_u32 v7, v6, 16, 1
	s_delay_alu instid0(VALU_DEP_1)
	v_add3_u32 v19, v6, v7, 0x7fff
                                        ; implicit-def: $vgpr6
; %bb.2591:                             ;   in Loop: Header=BB466_2335 Depth=1
	s_and_not1_saveexec_b32 s9, s0
; %bb.2592:                             ;   in Loop: Header=BB466_2335 Depth=1
	v_and_b32_e32 v7, 0xffff, v6
	v_or_b32_e32 v8, 0x10000, v6
	s_delay_alu instid0(VALU_DEP_2) | instskip(NEXT) | instid1(VALU_DEP_1)
	v_cmp_eq_u32_e64 s0, 0, v7
	v_cndmask_b32_e64 v19, v8, v6, s0
; %bb.2593:                             ;   in Loop: Header=BB466_2335 Depth=1
	s_or_b32 exec_lo, exec_lo, s9
	v_lshrrev_b32_e32 v6, 16, v18
	v_lshrrev_b32_e32 v7, 16, v17
	;; [unrolled: 1-line block ×8, first 2 shown]
	s_and_saveexec_b32 s9, vcc_lo
	s_cbranch_execz .LBB466_2595
; %bb.2594:                             ;   in Loop: Header=BB466_2335 Depth=1
	v_cmp_lt_i32_e64 s0, v130, v36
	s_delay_alu instid0(VALU_DEP_1) | instskip(SKIP_1) | instid1(VALU_DEP_1)
	v_cndmask_b32_e64 v12, 0, v12, s0
	v_cmp_lt_i32_e64 s0, v133, v36
	v_cndmask_b32_e64 v11, 0, v11, s0
	v_cmp_lt_i32_e64 s0, v132, v36
	s_delay_alu instid0(VALU_DEP_1) | instskip(SKIP_1) | instid1(VALU_DEP_1)
	v_cndmask_b32_e64 v10, 0, v10, s0
	v_cmp_lt_i32_e64 s0, v131, v36
	v_cndmask_b32_e64 v8, 0, v8, s0
	;; [unrolled: 5-line block ×4, first 2 shown]
.LBB466_2595:                           ;   in Loop: Header=BB466_2335 Depth=1
	s_or_b32 exec_lo, exec_lo, s9
	v_lshlrev_b32_e32 v9, 16, v12
	s_delay_alu instid0(VALU_DEP_1) | instskip(NEXT) | instid1(VALU_DEP_1)
	v_mul_f32_e32 v9, v134, v9
	v_and_b32_e32 v12, 0x7f800000, v9
	s_delay_alu instid0(VALU_DEP_1) | instskip(NEXT) | instid1(VALU_DEP_1)
	v_cmp_ne_u32_e64 s0, 0x7f800000, v12
                                        ; implicit-def: $vgpr12
                                        ; kill: killed $vgpr12
	s_and_saveexec_b32 s9, s0
	s_delay_alu instid0(SALU_CYCLE_1)
	s_xor_b32 s0, exec_lo, s9
	s_cbranch_execz .LBB466_2597
; %bb.2596:                             ;   in Loop: Header=BB466_2335 Depth=1
	v_bfe_u32 v12, v9, 16, 1
	s_delay_alu instid0(VALU_DEP_1)
	v_add3_u32 v9, v9, v12, 0x7fff
	scratch_store_b32 off, v9, s32 offset:360 ; 4-byte Folded Spill
                                        ; implicit-def: $vgpr9
.LBB466_2597:                           ;   in Loop: Header=BB466_2335 Depth=1
	s_and_not1_saveexec_b32 s9, s0
	s_cbranch_execz .LBB466_2599
; %bb.2598:                             ;   in Loop: Header=BB466_2335 Depth=1
	v_and_b32_e32 v12, 0xffff, v9
	v_or_b32_e32 v17, 0x10000, v9
	s_delay_alu instid0(VALU_DEP_2) | instskip(NEXT) | instid1(VALU_DEP_1)
	v_cmp_eq_u32_e64 s0, 0, v12
	v_cndmask_b32_e64 v9, v17, v9, s0
	scratch_store_b32 off, v9, s32 offset:360 ; 4-byte Folded Spill
.LBB466_2599:                           ;   in Loop: Header=BB466_2335 Depth=1
	s_or_b32 exec_lo, exec_lo, s9
	v_lshlrev_b32_e32 v9, 16, v11
	s_delay_alu instid0(VALU_DEP_1) | instskip(NEXT) | instid1(VALU_DEP_1)
	v_mul_f32_e32 v9, v135, v9
	v_and_b32_e32 v11, 0x7f800000, v9
	s_delay_alu instid0(VALU_DEP_1) | instskip(NEXT) | instid1(VALU_DEP_1)
	v_cmp_ne_u32_e64 s0, 0x7f800000, v11
                                        ; implicit-def: $vgpr11
                                        ; kill: killed $vgpr11
	s_and_saveexec_b32 s9, s0
	s_delay_alu instid0(SALU_CYCLE_1)
	s_xor_b32 s0, exec_lo, s9
	s_cbranch_execz .LBB466_2601
; %bb.2600:                             ;   in Loop: Header=BB466_2335 Depth=1
	v_bfe_u32 v11, v9, 16, 1
	s_delay_alu instid0(VALU_DEP_1)
	v_add3_u32 v9, v9, v11, 0x7fff
	scratch_store_b32 off, v9, s32 offset:364 ; 4-byte Folded Spill
                                        ; implicit-def: $vgpr9
.LBB466_2601:                           ;   in Loop: Header=BB466_2335 Depth=1
	s_and_not1_saveexec_b32 s9, s0
	s_cbranch_execz .LBB466_2603
; %bb.2602:                             ;   in Loop: Header=BB466_2335 Depth=1
	v_and_b32_e32 v11, 0xffff, v9
	v_or_b32_e32 v12, 0x10000, v9
	s_delay_alu instid0(VALU_DEP_2) | instskip(NEXT) | instid1(VALU_DEP_1)
	v_cmp_eq_u32_e64 s0, 0, v11
	v_cndmask_b32_e64 v9, v12, v9, s0
	scratch_store_b32 off, v9, s32 offset:364 ; 4-byte Folded Spill
.LBB466_2603:                           ;   in Loop: Header=BB466_2335 Depth=1
	s_or_b32 exec_lo, exec_lo, s9
	v_lshlrev_b32_e32 v9, 16, v10
	s_delay_alu instid0(VALU_DEP_1) | instskip(NEXT) | instid1(VALU_DEP_1)
	v_mul_f32_e32 v9, v144, v9
	v_and_b32_e32 v10, 0x7f800000, v9
	s_delay_alu instid0(VALU_DEP_1) | instskip(NEXT) | instid1(VALU_DEP_1)
	v_cmp_ne_u32_e64 s0, 0x7f800000, v10
                                        ; implicit-def: $vgpr10
                                        ; kill: killed $vgpr10
	s_and_saveexec_b32 s9, s0
	s_delay_alu instid0(SALU_CYCLE_1)
	s_xor_b32 s0, exec_lo, s9
	s_cbranch_execz .LBB466_2605
; %bb.2604:                             ;   in Loop: Header=BB466_2335 Depth=1
	v_bfe_u32 v10, v9, 16, 1
	s_delay_alu instid0(VALU_DEP_1)
	v_add3_u32 v9, v9, v10, 0x7fff
	scratch_store_b32 off, v9, s32 offset:368 ; 4-byte Folded Spill
                                        ; implicit-def: $vgpr9
.LBB466_2605:                           ;   in Loop: Header=BB466_2335 Depth=1
	s_and_not1_saveexec_b32 s9, s0
	s_cbranch_execz .LBB466_2607
; %bb.2606:                             ;   in Loop: Header=BB466_2335 Depth=1
	v_and_b32_e32 v10, 0xffff, v9
	v_or_b32_e32 v11, 0x10000, v9
	s_delay_alu instid0(VALU_DEP_2) | instskip(NEXT) | instid1(VALU_DEP_1)
	v_cmp_eq_u32_e64 s0, 0, v10
	v_cndmask_b32_e64 v9, v11, v9, s0
	scratch_store_b32 off, v9, s32 offset:368 ; 4-byte Folded Spill
.LBB466_2607:                           ;   in Loop: Header=BB466_2335 Depth=1
	s_or_b32 exec_lo, exec_lo, s9
	v_lshlrev_b32_e32 v8, 16, v8
	s_delay_alu instid0(VALU_DEP_1) | instskip(NEXT) | instid1(VALU_DEP_1)
	v_mul_f32_e32 v8, v145, v8
	v_and_b32_e32 v9, 0x7f800000, v8
	s_delay_alu instid0(VALU_DEP_1) | instskip(NEXT) | instid1(VALU_DEP_1)
	v_cmp_ne_u32_e64 s0, 0x7f800000, v9
                                        ; implicit-def: $vgpr9
                                        ; kill: killed $vgpr9
	s_and_saveexec_b32 s9, s0
	s_delay_alu instid0(SALU_CYCLE_1)
	s_xor_b32 s0, exec_lo, s9
	s_cbranch_execz .LBB466_2609
; %bb.2608:                             ;   in Loop: Header=BB466_2335 Depth=1
	v_bfe_u32 v9, v8, 16, 1
	s_delay_alu instid0(VALU_DEP_1)
	v_add3_u32 v8, v8, v9, 0x7fff
	scratch_store_b32 off, v8, s32 offset:372 ; 4-byte Folded Spill
                                        ; implicit-def: $vgpr8
.LBB466_2609:                           ;   in Loop: Header=BB466_2335 Depth=1
	s_and_not1_saveexec_b32 s9, s0
	s_cbranch_execz .LBB466_2611
; %bb.2610:                             ;   in Loop: Header=BB466_2335 Depth=1
	v_and_b32_e32 v9, 0xffff, v8
	v_or_b32_e32 v10, 0x10000, v8
	s_delay_alu instid0(VALU_DEP_2) | instskip(NEXT) | instid1(VALU_DEP_1)
	v_cmp_eq_u32_e64 s0, 0, v9
	v_cndmask_b32_e64 v8, v10, v8, s0
	scratch_store_b32 off, v8, s32 offset:372 ; 4-byte Folded Spill
.LBB466_2611:                           ;   in Loop: Header=BB466_2335 Depth=1
	s_or_b32 exec_lo, exec_lo, s9
	v_lshlrev_b32_e32 v7, 16, v7
	s_delay_alu instid0(VALU_DEP_1) | instskip(NEXT) | instid1(VALU_DEP_1)
	v_mul_f32_e32 v7, v146, v7
	v_and_b32_e32 v8, 0x7f800000, v7
	s_delay_alu instid0(VALU_DEP_1) | instskip(NEXT) | instid1(VALU_DEP_1)
	v_cmp_ne_u32_e64 s0, 0x7f800000, v8
                                        ; implicit-def: $vgpr8
                                        ; kill: killed $vgpr8
	s_and_saveexec_b32 s9, s0
	s_delay_alu instid0(SALU_CYCLE_1)
	s_xor_b32 s0, exec_lo, s9
	s_cbranch_execz .LBB466_2613
; %bb.2612:                             ;   in Loop: Header=BB466_2335 Depth=1
	v_bfe_u32 v8, v7, 16, 1
	s_delay_alu instid0(VALU_DEP_1)
	v_add3_u32 v7, v7, v8, 0x7fff
	scratch_store_b32 off, v7, s32 offset:376 ; 4-byte Folded Spill
                                        ; implicit-def: $vgpr7
.LBB466_2613:                           ;   in Loop: Header=BB466_2335 Depth=1
	s_and_not1_saveexec_b32 s9, s0
	s_cbranch_execz .LBB466_2615
; %bb.2614:                             ;   in Loop: Header=BB466_2335 Depth=1
	v_and_b32_e32 v8, 0xffff, v7
	v_or_b32_e32 v9, 0x10000, v7
	s_delay_alu instid0(VALU_DEP_2) | instskip(NEXT) | instid1(VALU_DEP_1)
	v_cmp_eq_u32_e64 s0, 0, v8
	v_cndmask_b32_e64 v7, v9, v7, s0
	scratch_store_b32 off, v7, s32 offset:376 ; 4-byte Folded Spill
.LBB466_2615:                           ;   in Loop: Header=BB466_2335 Depth=1
	s_or_b32 exec_lo, exec_lo, s9
	v_lshlrev_b32_e32 v6, 16, v6
	s_delay_alu instid0(VALU_DEP_1) | instskip(NEXT) | instid1(VALU_DEP_1)
	v_mul_f32_e32 v6, v147, v6
	v_and_b32_e32 v7, 0x7f800000, v6
	s_delay_alu instid0(VALU_DEP_1) | instskip(NEXT) | instid1(VALU_DEP_1)
	v_cmp_ne_u32_e64 s0, 0x7f800000, v7
                                        ; implicit-def: $vgpr7
                                        ; kill: killed $vgpr7
	s_and_saveexec_b32 s9, s0
	s_delay_alu instid0(SALU_CYCLE_1)
	s_xor_b32 s0, exec_lo, s9
	s_cbranch_execz .LBB466_2617
; %bb.2616:                             ;   in Loop: Header=BB466_2335 Depth=1
	v_bfe_u32 v7, v6, 16, 1
	s_delay_alu instid0(VALU_DEP_1)
	v_add3_u32 v6, v6, v7, 0x7fff
	scratch_store_b32 off, v6, s32 offset:380 ; 4-byte Folded Spill
                                        ; implicit-def: $vgpr6
.LBB466_2617:                           ;   in Loop: Header=BB466_2335 Depth=1
	s_and_not1_saveexec_b32 s9, s0
	s_cbranch_execz .LBB466_2619
; %bb.2618:                             ;   in Loop: Header=BB466_2335 Depth=1
	v_and_b32_e32 v7, 0xffff, v6
	v_or_b32_e32 v8, 0x10000, v6
	s_delay_alu instid0(VALU_DEP_2) | instskip(NEXT) | instid1(VALU_DEP_1)
	v_cmp_eq_u32_e64 s0, 0, v7
	v_cndmask_b32_e64 v6, v8, v6, s0
	scratch_store_b32 off, v6, s32 offset:380 ; 4-byte Folded Spill
.LBB466_2619:                           ;   in Loop: Header=BB466_2335 Depth=1
	s_or_b32 exec_lo, exec_lo, s9
	v_lshlrev_b32_e32 v5, 16, v5
	s_delay_alu instid0(VALU_DEP_1) | instskip(NEXT) | instid1(VALU_DEP_1)
	v_mul_f32_e32 v5, v148, v5
	v_and_b32_e32 v6, 0x7f800000, v5
	s_delay_alu instid0(VALU_DEP_1) | instskip(NEXT) | instid1(VALU_DEP_1)
	v_cmp_ne_u32_e64 s0, 0x7f800000, v6
                                        ; implicit-def: $vgpr6
                                        ; kill: killed $vgpr6
	s_and_saveexec_b32 s9, s0
	s_delay_alu instid0(SALU_CYCLE_1)
	s_xor_b32 s0, exec_lo, s9
	s_cbranch_execz .LBB466_2621
; %bb.2620:                             ;   in Loop: Header=BB466_2335 Depth=1
	v_bfe_u32 v6, v5, 16, 1
	s_delay_alu instid0(VALU_DEP_1)
	v_add3_u32 v5, v5, v6, 0x7fff
	scratch_store_b32 off, v5, s32 offset:384 ; 4-byte Folded Spill
                                        ; implicit-def: $vgpr5
.LBB466_2621:                           ;   in Loop: Header=BB466_2335 Depth=1
	s_and_not1_saveexec_b32 s9, s0
	s_cbranch_execz .LBB466_2623
; %bb.2622:                             ;   in Loop: Header=BB466_2335 Depth=1
	v_and_b32_e32 v6, 0xffff, v5
	v_or_b32_e32 v7, 0x10000, v5
	s_delay_alu instid0(VALU_DEP_2) | instskip(NEXT) | instid1(VALU_DEP_1)
	v_cmp_eq_u32_e64 s0, 0, v6
	v_cndmask_b32_e64 v5, v7, v5, s0
	scratch_store_b32 off, v5, s32 offset:384 ; 4-byte Folded Spill
.LBB466_2623:                           ;   in Loop: Header=BB466_2335 Depth=1
	s_or_b32 exec_lo, exec_lo, s9
	v_lshlrev_b32_e32 v4, 16, v4
	s_delay_alu instid0(VALU_DEP_1) | instskip(NEXT) | instid1(VALU_DEP_1)
	v_mul_f32_e32 v4, v149, v4
	v_and_b32_e32 v5, 0x7f800000, v4
	s_delay_alu instid0(VALU_DEP_1) | instskip(NEXT) | instid1(VALU_DEP_1)
	v_cmp_ne_u32_e64 s0, 0x7f800000, v5
                                        ; implicit-def: $vgpr5
                                        ; kill: killed $vgpr5
	s_and_saveexec_b32 s9, s0
	s_delay_alu instid0(SALU_CYCLE_1)
	s_xor_b32 s0, exec_lo, s9
	s_cbranch_execz .LBB466_2625
; %bb.2624:                             ;   in Loop: Header=BB466_2335 Depth=1
	v_bfe_u32 v5, v4, 16, 1
	s_delay_alu instid0(VALU_DEP_1)
	v_add3_u32 v4, v4, v5, 0x7fff
	scratch_store_b32 off, v4, s32 offset:388 ; 4-byte Folded Spill
                                        ; implicit-def: $vgpr4
.LBB466_2625:                           ;   in Loop: Header=BB466_2335 Depth=1
	s_and_not1_saveexec_b32 s9, s0
	s_cbranch_execz .LBB466_2627
; %bb.2626:                             ;   in Loop: Header=BB466_2335 Depth=1
	v_and_b32_e32 v5, 0xffff, v4
	v_or_b32_e32 v6, 0x10000, v4
	s_delay_alu instid0(VALU_DEP_2) | instskip(NEXT) | instid1(VALU_DEP_1)
	v_cmp_eq_u32_e64 s0, 0, v5
	v_cndmask_b32_e64 v4, v6, v4, s0
	scratch_store_b32 off, v4, s32 offset:388 ; 4-byte Folded Spill
.LBB466_2627:                           ;   in Loop: Header=BB466_2335 Depth=1
	s_or_b32 exec_lo, exec_lo, s9
	flat_load_b64 v[6:7], v[2:3] offset:512
	s_mov_b32 s9, exec_lo
	s_waitcnt vmcnt(0) lgkmcnt(0)
	v_dual_mov_b32 v4, 0 :: v_dual_and_b32 v5, 0xff, v6
	s_delay_alu instid0(VALU_DEP_1)
	v_cmpx_ne_u16_e32 0, v5
	s_cbranch_execz .LBB466_2635
; %bb.2628:                             ;   in Loop: Header=BB466_2335 Depth=1
	v_bfrev_b32_e32 v4, 1
	s_mov_b32 s12, exec_lo
	v_cmpx_ne_u16_e32 0x80, v5
	s_cbranch_execz .LBB466_2634
; %bb.2629:                             ;   in Loop: Header=BB466_2335 Depth=1
	v_and_b32_e32 v5, 0x7f, v6
	v_mov_b32_e32 v4, 0x7f800001
	s_mov_b32 s13, exec_lo
	s_delay_alu instid0(VALU_DEP_2)
	v_cmpx_ne_u32_e32 0x7f, v5
	s_cbranch_execz .LBB466_2633
; %bb.2630:                             ;   in Loop: Header=BB466_2335 Depth=1
	v_lshrrev_b32_e32 v4, 3, v5
	v_dual_mov_b32 v9, v7 :: v_dual_mov_b32 v8, v6
	s_mov_b32 s15, exec_lo
	v_cmpx_gt_u32_e32 8, v5
; %bb.2631:                             ;   in Loop: Header=BB466_2335 Depth=1
	v_and_b32_e32 v4, 7, v6
	s_delay_alu instid0(VALU_DEP_1) | instskip(NEXT) | instid1(VALU_DEP_1)
	v_clz_i32_u32_e32 v4, v4
	v_min_u32_e32 v4, 32, v4
	s_delay_alu instid0(VALU_DEP_1) | instskip(SKIP_1) | instid1(VALU_DEP_2)
	v_subrev_nc_u32_e32 v5, 28, v4
	v_sub_nc_u32_e32 v4, 29, v4
	v_lshlrev_b64 v[8:9], v5, v[6:7]
; %bb.2632:                             ;   in Loop: Header=BB466_2335 Depth=1
	s_or_b32 exec_lo, exec_lo, s15
	s_delay_alu instid0(VALU_DEP_1) | instskip(SKIP_2) | instid1(VALU_DEP_3)
	v_lshlrev_b32_e32 v5, 20, v8
	v_lshlrev_b32_e32 v8, 24, v6
	v_lshl_add_u32 v4, v4, 23, 0x3c000000
	v_and_b32_e32 v5, 0x700000, v5
	s_delay_alu instid0(VALU_DEP_3) | instskip(NEXT) | instid1(VALU_DEP_1)
	v_and_b32_e32 v8, 0x80000000, v8
	v_or3_b32 v4, v5, v8, v4
.LBB466_2633:                           ;   in Loop: Header=BB466_2335 Depth=1
	s_or_b32 exec_lo, exec_lo, s13
.LBB466_2634:                           ;   in Loop: Header=BB466_2335 Depth=1
	s_delay_alu instid0(SALU_CYCLE_1)
	s_or_b32 exec_lo, exec_lo, s12
.LBB466_2635:                           ;   in Loop: Header=BB466_2335 Depth=1
	s_delay_alu instid0(SALU_CYCLE_1) | instskip(NEXT) | instid1(VALU_DEP_1)
	s_or_b32 exec_lo, exec_lo, s9
	v_mul_f32_e32 v5, v26, v4
	s_delay_alu instid0(VALU_DEP_1) | instskip(NEXT) | instid1(VALU_DEP_1)
	v_and_b32_e32 v4, 0x7f800000, v5
	v_cmp_ne_u32_e64 s0, 0x7f800000, v4
                                        ; implicit-def: $vgpr4
	s_delay_alu instid0(VALU_DEP_1) | instskip(NEXT) | instid1(SALU_CYCLE_1)
	s_and_saveexec_b32 s9, s0
	s_xor_b32 s0, exec_lo, s9
; %bb.2636:                             ;   in Loop: Header=BB466_2335 Depth=1
	v_bfe_u32 v4, v5, 16, 1
	s_delay_alu instid0(VALU_DEP_1)
	v_add3_u32 v4, v5, v4, 0x7fff
                                        ; implicit-def: $vgpr5
; %bb.2637:                             ;   in Loop: Header=BB466_2335 Depth=1
	s_and_not1_saveexec_b32 s9, s0
; %bb.2638:                             ;   in Loop: Header=BB466_2335 Depth=1
	v_and_b32_e32 v4, 0xffff, v5
	v_or_b32_e32 v8, 0x10000, v5
	s_delay_alu instid0(VALU_DEP_2) | instskip(NEXT) | instid1(VALU_DEP_1)
	v_cmp_eq_u32_e64 s0, 0, v4
	v_cndmask_b32_e64 v4, v8, v5, s0
; %bb.2639:                             ;   in Loop: Header=BB466_2335 Depth=1
	s_or_b32 exec_lo, exec_lo, s9
	v_lshrrev_b16 v8, 8, v6
	v_mov_b32_e32 v5, 0
	s_mov_b32 s9, exec_lo
	s_delay_alu instid0(VALU_DEP_2)
	v_cmpx_ne_u16_e32 0, v8
	s_cbranch_execz .LBB466_2647
; %bb.2640:                             ;   in Loop: Header=BB466_2335 Depth=1
	v_bfrev_b32_e32 v5, 1
	s_mov_b32 s12, exec_lo
	v_cmpx_ne_u16_e32 0x80, v8
	s_cbranch_execz .LBB466_2646
; %bb.2641:                             ;   in Loop: Header=BB466_2335 Depth=1
	v_and_b32_e32 v9, 0xffff, v8
	v_mov_b32_e32 v5, 0x7f800001
	s_mov_b32 s13, exec_lo
	s_delay_alu instid0(VALU_DEP_2) | instskip(NEXT) | instid1(VALU_DEP_1)
	v_and_b32_e32 v8, 0x7f, v9
	v_cmpx_ne_u32_e32 0x7f, v8
	s_cbranch_execz .LBB466_2645
; %bb.2642:                             ;   in Loop: Header=BB466_2335 Depth=1
	v_and_b32_e32 v12, 7, v9
	v_lshrrev_b32_e32 v5, 3, v8
	v_cmp_gt_u32_e64 s0, 8, v8
	s_delay_alu instid0(VALU_DEP_3) | instskip(NEXT) | instid1(VALU_DEP_2)
	v_dual_mov_b32 v8, v12 :: v_dual_mov_b32 v9, v13
	s_and_saveexec_b32 s15, s0
; %bb.2643:                             ;   in Loop: Header=BB466_2335 Depth=1
	v_clz_i32_u32_e32 v5, v12
	s_delay_alu instid0(VALU_DEP_1) | instskip(NEXT) | instid1(VALU_DEP_1)
	v_min_u32_e32 v5, 32, v5
	v_subrev_nc_u32_e32 v8, 28, v5
	v_sub_nc_u32_e32 v5, 29, v5
	s_delay_alu instid0(VALU_DEP_2) | instskip(NEXT) | instid1(VALU_DEP_1)
	v_lshlrev_b64 v[8:9], v8, v[12:13]
	v_and_b32_e32 v8, 7, v8
; %bb.2644:                             ;   in Loop: Header=BB466_2335 Depth=1
	s_or_b32 exec_lo, exec_lo, s15
	v_lshlrev_b32_e32 v9, 16, v6
	s_delay_alu instid0(VALU_DEP_2) | instskip(SKIP_1) | instid1(VALU_DEP_3)
	v_lshlrev_b32_e32 v8, 20, v8
	v_lshl_add_u32 v5, v5, 23, 0x3c000000
	v_and_b32_e32 v9, 0x80000000, v9
	s_delay_alu instid0(VALU_DEP_1)
	v_or3_b32 v5, v8, v9, v5
.LBB466_2645:                           ;   in Loop: Header=BB466_2335 Depth=1
	s_or_b32 exec_lo, exec_lo, s13
.LBB466_2646:                           ;   in Loop: Header=BB466_2335 Depth=1
	s_delay_alu instid0(SALU_CYCLE_1)
	s_or_b32 exec_lo, exec_lo, s12
.LBB466_2647:                           ;   in Loop: Header=BB466_2335 Depth=1
	s_delay_alu instid0(SALU_CYCLE_1) | instskip(NEXT) | instid1(VALU_DEP_1)
	s_or_b32 exec_lo, exec_lo, s9
	v_mul_f32_e32 v8, v26, v5
	s_delay_alu instid0(VALU_DEP_1) | instskip(NEXT) | instid1(VALU_DEP_1)
	v_and_b32_e32 v5, 0x7f800000, v8
	v_cmp_ne_u32_e64 s0, 0x7f800000, v5
                                        ; implicit-def: $vgpr5
	s_delay_alu instid0(VALU_DEP_1) | instskip(NEXT) | instid1(SALU_CYCLE_1)
	s_and_saveexec_b32 s9, s0
	s_xor_b32 s0, exec_lo, s9
; %bb.2648:                             ;   in Loop: Header=BB466_2335 Depth=1
	v_bfe_u32 v5, v8, 16, 1
	s_delay_alu instid0(VALU_DEP_1)
	v_add3_u32 v5, v8, v5, 0x7fff
                                        ; implicit-def: $vgpr8
; %bb.2649:                             ;   in Loop: Header=BB466_2335 Depth=1
	s_and_not1_saveexec_b32 s9, s0
; %bb.2650:                             ;   in Loop: Header=BB466_2335 Depth=1
	v_and_b32_e32 v5, 0xffff, v8
	v_or_b32_e32 v9, 0x10000, v8
	s_delay_alu instid0(VALU_DEP_2) | instskip(NEXT) | instid1(VALU_DEP_1)
	v_cmp_eq_u32_e64 s0, 0, v5
	v_cndmask_b32_e64 v5, v9, v8, s0
; %bb.2651:                             ;   in Loop: Header=BB466_2335 Depth=1
	s_or_b32 exec_lo, exec_lo, s9
	v_lshrrev_b32_e32 v10, 16, v6
	s_mov_b32 s9, exec_lo
	s_delay_alu instid0(VALU_DEP_1) | instskip(NEXT) | instid1(VALU_DEP_1)
	v_dual_mov_b32 v8, 0 :: v_dual_and_b32 v9, 0xff, v10
	v_cmpx_ne_u16_e32 0, v9
	s_cbranch_execz .LBB466_2659
; %bb.2652:                             ;   in Loop: Header=BB466_2335 Depth=1
	v_bfrev_b32_e32 v8, 1
	s_mov_b32 s12, exec_lo
	v_cmpx_ne_u16_e32 0x80, v9
	s_cbranch_execz .LBB466_2658
; %bb.2653:                             ;   in Loop: Header=BB466_2335 Depth=1
	v_bfe_u32 v9, v6, 16, 7
	v_mov_b32_e32 v8, 0x7f800001
	s_mov_b32 s13, exec_lo
	s_delay_alu instid0(VALU_DEP_2)
	v_cmpx_ne_u32_e32 0x7f, v9
	s_cbranch_execz .LBB466_2657
; %bb.2654:                             ;   in Loop: Header=BB466_2335 Depth=1
	v_and_b32_e32 v12, 7, v10
	v_lshrrev_b32_e32 v11, 3, v9
	v_cmp_gt_u32_e64 s0, 8, v9
	s_delay_alu instid0(VALU_DEP_3) | instskip(NEXT) | instid1(VALU_DEP_2)
	v_dual_mov_b32 v8, v12 :: v_dual_mov_b32 v9, v13
	s_and_saveexec_b32 s15, s0
; %bb.2655:                             ;   in Loop: Header=BB466_2335 Depth=1
	v_clz_i32_u32_e32 v8, v12
	s_delay_alu instid0(VALU_DEP_1) | instskip(NEXT) | instid1(VALU_DEP_1)
	v_min_u32_e32 v11, 32, v8
	v_subrev_nc_u32_e32 v8, 28, v11
	v_sub_nc_u32_e32 v11, 29, v11
	s_delay_alu instid0(VALU_DEP_2) | instskip(NEXT) | instid1(VALU_DEP_1)
	v_lshlrev_b64 v[8:9], v8, v[12:13]
	v_and_b32_e32 v8, 7, v8
; %bb.2656:                             ;   in Loop: Header=BB466_2335 Depth=1
	s_or_b32 exec_lo, exec_lo, s15
	v_lshlrev_b32_e32 v9, 24, v10
	s_delay_alu instid0(VALU_DEP_2) | instskip(SKIP_1) | instid1(VALU_DEP_3)
	v_lshlrev_b32_e32 v8, 20, v8
	v_lshl_add_u32 v10, v11, 23, 0x3c000000
	v_and_b32_e32 v9, 0x80000000, v9
	s_delay_alu instid0(VALU_DEP_1)
	v_or3_b32 v8, v8, v9, v10
.LBB466_2657:                           ;   in Loop: Header=BB466_2335 Depth=1
	s_or_b32 exec_lo, exec_lo, s13
.LBB466_2658:                           ;   in Loop: Header=BB466_2335 Depth=1
	s_delay_alu instid0(SALU_CYCLE_1)
	s_or_b32 exec_lo, exec_lo, s12
.LBB466_2659:                           ;   in Loop: Header=BB466_2335 Depth=1
	s_delay_alu instid0(SALU_CYCLE_1) | instskip(NEXT) | instid1(VALU_DEP_1)
	s_or_b32 exec_lo, exec_lo, s9
	v_mul_f32_e32 v8, v26, v8
                                        ; implicit-def: $vgpr10
	s_delay_alu instid0(VALU_DEP_1) | instskip(NEXT) | instid1(VALU_DEP_1)
	v_and_b32_e32 v9, 0x7f800000, v8
	v_cmp_ne_u32_e64 s0, 0x7f800000, v9
	s_delay_alu instid0(VALU_DEP_1) | instskip(NEXT) | instid1(SALU_CYCLE_1)
	s_and_saveexec_b32 s9, s0
	s_xor_b32 s0, exec_lo, s9
; %bb.2660:                             ;   in Loop: Header=BB466_2335 Depth=1
	v_bfe_u32 v9, v8, 16, 1
	s_delay_alu instid0(VALU_DEP_1)
	v_add3_u32 v10, v8, v9, 0x7fff
                                        ; implicit-def: $vgpr8
; %bb.2661:                             ;   in Loop: Header=BB466_2335 Depth=1
	s_and_not1_saveexec_b32 s9, s0
; %bb.2662:                             ;   in Loop: Header=BB466_2335 Depth=1
	v_and_b32_e32 v9, 0xffff, v8
	v_or_b32_e32 v10, 0x10000, v8
	s_delay_alu instid0(VALU_DEP_2) | instskip(NEXT) | instid1(VALU_DEP_1)
	v_cmp_eq_u32_e64 s0, 0, v9
	v_cndmask_b32_e64 v10, v10, v8, s0
; %bb.2663:                             ;   in Loop: Header=BB466_2335 Depth=1
	s_or_b32 exec_lo, exec_lo, s9
	v_mov_b32_e32 v8, 0
	s_mov_b32 s9, exec_lo
	v_cmpx_lt_u32_e32 0xffffff, v6
	s_cbranch_execz .LBB466_2671
; %bb.2664:                             ;   in Loop: Header=BB466_2335 Depth=1
	v_lshrrev_b32_e32 v11, 24, v6
	v_bfrev_b32_e32 v8, 1
	s_mov_b32 s12, exec_lo
	s_delay_alu instid0(VALU_DEP_2)
	v_cmpx_ne_u32_e32 0x80, v11
	s_cbranch_execz .LBB466_2670
; %bb.2665:                             ;   in Loop: Header=BB466_2335 Depth=1
	v_bfe_u32 v9, v6, 24, 7
	v_mov_b32_e32 v8, 0x7f800001
	s_mov_b32 s13, exec_lo
	s_delay_alu instid0(VALU_DEP_2)
	v_cmpx_ne_u32_e32 0x7f, v9
	s_cbranch_execz .LBB466_2669
; %bb.2666:                             ;   in Loop: Header=BB466_2335 Depth=1
	v_and_b32_e32 v12, 7, v11
	v_lshrrev_b32_e32 v17, 3, v9
	v_cmp_gt_u32_e64 s0, 8, v9
	s_delay_alu instid0(VALU_DEP_3) | instskip(NEXT) | instid1(VALU_DEP_2)
	v_dual_mov_b32 v8, v12 :: v_dual_mov_b32 v9, v13
	s_and_saveexec_b32 s15, s0
; %bb.2667:                             ;   in Loop: Header=BB466_2335 Depth=1
	v_clz_i32_u32_e32 v8, v12
	s_delay_alu instid0(VALU_DEP_1) | instskip(NEXT) | instid1(VALU_DEP_1)
	v_min_u32_e32 v17, 32, v8
	v_subrev_nc_u32_e32 v8, 28, v17
	v_sub_nc_u32_e32 v17, 29, v17
	s_delay_alu instid0(VALU_DEP_2) | instskip(NEXT) | instid1(VALU_DEP_1)
	v_lshlrev_b64 v[8:9], v8, v[12:13]
	v_and_b32_e32 v8, 7, v8
; %bb.2668:                             ;   in Loop: Header=BB466_2335 Depth=1
	s_or_b32 exec_lo, exec_lo, s15
	v_lshlrev_b32_e32 v9, 24, v11
	s_delay_alu instid0(VALU_DEP_2) | instskip(SKIP_1) | instid1(VALU_DEP_3)
	v_lshlrev_b32_e32 v8, 20, v8
	v_lshl_add_u32 v11, v17, 23, 0x3c000000
	v_and_b32_e32 v9, 0x80000000, v9
	s_delay_alu instid0(VALU_DEP_1)
	v_or3_b32 v8, v8, v9, v11
.LBB466_2669:                           ;   in Loop: Header=BB466_2335 Depth=1
	s_or_b32 exec_lo, exec_lo, s13
.LBB466_2670:                           ;   in Loop: Header=BB466_2335 Depth=1
	s_delay_alu instid0(SALU_CYCLE_1)
	s_or_b32 exec_lo, exec_lo, s12
.LBB466_2671:                           ;   in Loop: Header=BB466_2335 Depth=1
	s_delay_alu instid0(SALU_CYCLE_1) | instskip(NEXT) | instid1(VALU_DEP_1)
	s_or_b32 exec_lo, exec_lo, s9
	v_mul_f32_e32 v8, v26, v8
                                        ; implicit-def: $vgpr11
	s_delay_alu instid0(VALU_DEP_1) | instskip(NEXT) | instid1(VALU_DEP_1)
	v_and_b32_e32 v9, 0x7f800000, v8
	v_cmp_ne_u32_e64 s0, 0x7f800000, v9
	s_delay_alu instid0(VALU_DEP_1) | instskip(NEXT) | instid1(SALU_CYCLE_1)
	s_and_saveexec_b32 s9, s0
	s_xor_b32 s0, exec_lo, s9
; %bb.2672:                             ;   in Loop: Header=BB466_2335 Depth=1
	v_bfe_u32 v9, v8, 16, 1
	s_delay_alu instid0(VALU_DEP_1)
	v_add3_u32 v11, v8, v9, 0x7fff
                                        ; implicit-def: $vgpr8
; %bb.2673:                             ;   in Loop: Header=BB466_2335 Depth=1
	s_and_not1_saveexec_b32 s9, s0
; %bb.2674:                             ;   in Loop: Header=BB466_2335 Depth=1
	v_and_b32_e32 v9, 0xffff, v8
	v_or_b32_e32 v11, 0x10000, v8
	s_delay_alu instid0(VALU_DEP_2) | instskip(NEXT) | instid1(VALU_DEP_1)
	v_cmp_eq_u32_e64 s0, 0, v9
	v_cndmask_b32_e64 v11, v11, v8, s0
; %bb.2675:                             ;   in Loop: Header=BB466_2335 Depth=1
	s_or_b32 exec_lo, exec_lo, s9
	v_dual_mov_b32 v12, v7 :: v_dual_and_b32 v9, 0xff, v7
	v_mov_b32_e32 v8, 0
	s_mov_b32 s9, exec_lo
	s_delay_alu instid0(VALU_DEP_2)
	v_cmpx_ne_u16_e32 0, v9
	s_cbranch_execz .LBB466_2683
; %bb.2676:                             ;   in Loop: Header=BB466_2335 Depth=1
	v_bfrev_b32_e32 v8, 1
	s_mov_b32 s12, exec_lo
	v_cmpx_ne_u16_e32 0x80, v9
	s_cbranch_execz .LBB466_2682
; %bb.2677:                             ;   in Loop: Header=BB466_2335 Depth=1
	v_and_b32_e32 v9, 0x7f, v7
	v_mov_b32_e32 v8, 0x7f800001
	s_mov_b32 s13, exec_lo
	s_delay_alu instid0(VALU_DEP_2)
	v_cmpx_ne_u32_e32 0x7f, v9
	s_cbranch_execz .LBB466_2681
; %bb.2678:                             ;   in Loop: Header=BB466_2335 Depth=1
	v_lshrrev_b32_e32 v17, 3, v9
	v_cmp_gt_u32_e64 s0, 8, v9
	v_dual_mov_b32 v8, v12 :: v_dual_mov_b32 v9, v13
	s_delay_alu instid0(VALU_DEP_2)
	s_and_saveexec_b32 s15, s0
; %bb.2679:                             ;   in Loop: Header=BB466_2335 Depth=1
	v_and_b32_e32 v8, 7, v7
	s_delay_alu instid0(VALU_DEP_1) | instskip(NEXT) | instid1(VALU_DEP_1)
	v_clz_i32_u32_e32 v8, v8
	v_min_u32_e32 v17, 32, v8
	s_delay_alu instid0(VALU_DEP_1) | instskip(SKIP_1) | instid1(VALU_DEP_2)
	v_subrev_nc_u32_e32 v8, 28, v17
	v_sub_nc_u32_e32 v17, 29, v17
	v_lshlrev_b64 v[8:9], v8, v[12:13]
; %bb.2680:                             ;   in Loop: Header=BB466_2335 Depth=1
	s_or_b32 exec_lo, exec_lo, s15
	s_delay_alu instid0(VALU_DEP_1) | instskip(SKIP_2) | instid1(VALU_DEP_3)
	v_lshlrev_b32_e32 v8, 20, v8
	v_lshlrev_b32_e32 v9, 24, v12
	v_lshl_add_u32 v17, v17, 23, 0x3c000000
	v_and_b32_e32 v8, 0x700000, v8
	s_delay_alu instid0(VALU_DEP_3) | instskip(NEXT) | instid1(VALU_DEP_1)
	v_and_b32_e32 v9, 0x80000000, v9
	v_or3_b32 v8, v8, v9, v17
.LBB466_2681:                           ;   in Loop: Header=BB466_2335 Depth=1
	s_or_b32 exec_lo, exec_lo, s13
.LBB466_2682:                           ;   in Loop: Header=BB466_2335 Depth=1
	s_delay_alu instid0(SALU_CYCLE_1)
	s_or_b32 exec_lo, exec_lo, s12
.LBB466_2683:                           ;   in Loop: Header=BB466_2335 Depth=1
	s_delay_alu instid0(SALU_CYCLE_1) | instskip(NEXT) | instid1(VALU_DEP_1)
	s_or_b32 exec_lo, exec_lo, s9
	v_mul_f32_e32 v8, v26, v8
                                        ; implicit-def: $vgpr17
	s_delay_alu instid0(VALU_DEP_1) | instskip(NEXT) | instid1(VALU_DEP_1)
	v_and_b32_e32 v9, 0x7f800000, v8
	v_cmp_ne_u32_e64 s0, 0x7f800000, v9
	s_delay_alu instid0(VALU_DEP_1) | instskip(NEXT) | instid1(SALU_CYCLE_1)
	s_and_saveexec_b32 s9, s0
	s_xor_b32 s0, exec_lo, s9
; %bb.2684:                             ;   in Loop: Header=BB466_2335 Depth=1
	v_bfe_u32 v9, v8, 16, 1
	s_delay_alu instid0(VALU_DEP_1)
	v_add3_u32 v17, v8, v9, 0x7fff
                                        ; implicit-def: $vgpr8
; %bb.2685:                             ;   in Loop: Header=BB466_2335 Depth=1
	s_and_not1_saveexec_b32 s9, s0
; %bb.2686:                             ;   in Loop: Header=BB466_2335 Depth=1
	v_and_b32_e32 v9, 0xffff, v8
	v_or_b32_e32 v17, 0x10000, v8
	s_delay_alu instid0(VALU_DEP_2) | instskip(NEXT) | instid1(VALU_DEP_1)
	v_cmp_eq_u32_e64 s0, 0, v9
	v_cndmask_b32_e64 v17, v17, v8, s0
; %bb.2687:                             ;   in Loop: Header=BB466_2335 Depth=1
	s_or_b32 exec_lo, exec_lo, s9
	v_lshrrev_b16 v9, 8, v12
	v_mov_b32_e32 v8, 0
	s_mov_b32 s9, exec_lo
	s_delay_alu instid0(VALU_DEP_2)
	v_cmpx_ne_u16_e32 0, v9
	s_cbranch_execz .LBB466_2695
; %bb.2688:                             ;   in Loop: Header=BB466_2335 Depth=1
	v_bfrev_b32_e32 v8, 1
	s_mov_b32 s12, exec_lo
	v_cmpx_ne_u16_e32 0x80, v9
	s_cbranch_execz .LBB466_2694
; %bb.2689:                             ;   in Loop: Header=BB466_2335 Depth=1
	v_and_b32_e32 v9, 0xffff, v9
	v_mov_b32_e32 v8, 0x7f800001
	s_mov_b32 s13, exec_lo
	s_delay_alu instid0(VALU_DEP_2) | instskip(NEXT) | instid1(VALU_DEP_1)
	v_and_b32_e32 v19, 0x7f, v9
	v_cmpx_ne_u32_e32 0x7f, v19
	s_cbranch_execz .LBB466_2693
; %bb.2690:                             ;   in Loop: Header=BB466_2335 Depth=1
	v_dual_mov_b32 v9, v13 :: v_dual_and_b32 v8, 7, v9
	v_lshrrev_b32_e32 v18, 3, v19
	s_mov_b32 s15, exec_lo
	v_cmpx_gt_u32_e32 8, v19
; %bb.2691:                             ;   in Loop: Header=BB466_2335 Depth=1
	s_delay_alu instid0(VALU_DEP_3) | instskip(NEXT) | instid1(VALU_DEP_1)
	v_clz_i32_u32_e32 v18, v8
	v_min_u32_e32 v18, 32, v18
	s_delay_alu instid0(VALU_DEP_1) | instskip(SKIP_1) | instid1(VALU_DEP_2)
	v_subrev_nc_u32_e32 v19, 28, v18
	v_sub_nc_u32_e32 v18, 29, v18
	v_lshlrev_b64 v[8:9], v19, v[8:9]
	s_delay_alu instid0(VALU_DEP_1)
	v_and_b32_e32 v8, 7, v8
; %bb.2692:                             ;   in Loop: Header=BB466_2335 Depth=1
	s_or_b32 exec_lo, exec_lo, s15
	v_lshlrev_b32_e32 v9, 16, v12
	s_delay_alu instid0(VALU_DEP_2) | instskip(SKIP_1) | instid1(VALU_DEP_3)
	v_lshlrev_b32_e32 v8, 20, v8
	v_lshl_add_u32 v12, v18, 23, 0x3c000000
	v_and_b32_e32 v9, 0x80000000, v9
	s_delay_alu instid0(VALU_DEP_1)
	v_or3_b32 v8, v8, v9, v12
.LBB466_2693:                           ;   in Loop: Header=BB466_2335 Depth=1
	s_or_b32 exec_lo, exec_lo, s13
.LBB466_2694:                           ;   in Loop: Header=BB466_2335 Depth=1
	s_delay_alu instid0(SALU_CYCLE_1)
	s_or_b32 exec_lo, exec_lo, s12
.LBB466_2695:                           ;   in Loop: Header=BB466_2335 Depth=1
	s_delay_alu instid0(SALU_CYCLE_1) | instskip(NEXT) | instid1(VALU_DEP_1)
	s_or_b32 exec_lo, exec_lo, s9
	v_mul_f32_e32 v8, v26, v8
                                        ; implicit-def: $vgpr18
	s_delay_alu instid0(VALU_DEP_1) | instskip(NEXT) | instid1(VALU_DEP_1)
	v_and_b32_e32 v9, 0x7f800000, v8
	v_cmp_ne_u32_e64 s0, 0x7f800000, v9
	s_delay_alu instid0(VALU_DEP_1) | instskip(NEXT) | instid1(SALU_CYCLE_1)
	s_and_saveexec_b32 s9, s0
	s_xor_b32 s0, exec_lo, s9
; %bb.2696:                             ;   in Loop: Header=BB466_2335 Depth=1
	v_bfe_u32 v9, v8, 16, 1
	s_delay_alu instid0(VALU_DEP_1)
	v_add3_u32 v18, v8, v9, 0x7fff
                                        ; implicit-def: $vgpr8
; %bb.2697:                             ;   in Loop: Header=BB466_2335 Depth=1
	s_and_not1_saveexec_b32 s9, s0
; %bb.2698:                             ;   in Loop: Header=BB466_2335 Depth=1
	v_and_b32_e32 v9, 0xffff, v8
	v_or_b32_e32 v12, 0x10000, v8
	s_delay_alu instid0(VALU_DEP_2) | instskip(NEXT) | instid1(VALU_DEP_1)
	v_cmp_eq_u32_e64 s0, 0, v9
	v_cndmask_b32_e64 v18, v12, v8, s0
; %bb.2699:                             ;   in Loop: Header=BB466_2335 Depth=1
	s_or_b32 exec_lo, exec_lo, s9
	v_lshrrev_b32_e32 v19, 16, v7
	s_mov_b32 s9, exec_lo
	s_delay_alu instid0(VALU_DEP_1) | instskip(NEXT) | instid1(VALU_DEP_1)
	v_dual_mov_b32 v8, 0 :: v_dual_and_b32 v9, 0xff, v19
	v_cmpx_ne_u16_e32 0, v9
	s_cbranch_execz .LBB466_2707
; %bb.2700:                             ;   in Loop: Header=BB466_2335 Depth=1
	v_bfrev_b32_e32 v8, 1
	s_mov_b32 s12, exec_lo
	v_cmpx_ne_u16_e32 0x80, v9
	s_cbranch_execz .LBB466_2706
; %bb.2701:                             ;   in Loop: Header=BB466_2335 Depth=1
	v_bfe_u32 v9, v7, 16, 7
	v_mov_b32_e32 v8, 0x7f800001
	s_mov_b32 s13, exec_lo
	s_delay_alu instid0(VALU_DEP_2)
	v_cmpx_ne_u32_e32 0x7f, v9
	s_cbranch_execz .LBB466_2705
; %bb.2702:                             ;   in Loop: Header=BB466_2335 Depth=1
	v_and_b32_e32 v12, 7, v19
	v_lshrrev_b32_e32 v20, 3, v9
	v_cmp_gt_u32_e64 s0, 8, v9
	s_delay_alu instid0(VALU_DEP_3) | instskip(NEXT) | instid1(VALU_DEP_2)
	v_dual_mov_b32 v8, v12 :: v_dual_mov_b32 v9, v13
	s_and_saveexec_b32 s15, s0
; %bb.2703:                             ;   in Loop: Header=BB466_2335 Depth=1
	v_clz_i32_u32_e32 v8, v12
	s_delay_alu instid0(VALU_DEP_1) | instskip(NEXT) | instid1(VALU_DEP_1)
	v_min_u32_e32 v20, 32, v8
	v_subrev_nc_u32_e32 v8, 28, v20
	v_sub_nc_u32_e32 v20, 29, v20
	s_delay_alu instid0(VALU_DEP_2) | instskip(NEXT) | instid1(VALU_DEP_1)
	v_lshlrev_b64 v[8:9], v8, v[12:13]
	v_and_b32_e32 v8, 7, v8
; %bb.2704:                             ;   in Loop: Header=BB466_2335 Depth=1
	s_or_b32 exec_lo, exec_lo, s15
	v_lshlrev_b32_e32 v9, 24, v19
	s_delay_alu instid0(VALU_DEP_2) | instskip(SKIP_1) | instid1(VALU_DEP_3)
	v_lshlrev_b32_e32 v8, 20, v8
	v_lshl_add_u32 v12, v20, 23, 0x3c000000
	v_and_b32_e32 v9, 0x80000000, v9
	s_delay_alu instid0(VALU_DEP_1)
	v_or3_b32 v8, v8, v9, v12
.LBB466_2705:                           ;   in Loop: Header=BB466_2335 Depth=1
	s_or_b32 exec_lo, exec_lo, s13
.LBB466_2706:                           ;   in Loop: Header=BB466_2335 Depth=1
	s_delay_alu instid0(SALU_CYCLE_1)
	s_or_b32 exec_lo, exec_lo, s12
.LBB466_2707:                           ;   in Loop: Header=BB466_2335 Depth=1
	s_delay_alu instid0(SALU_CYCLE_1) | instskip(NEXT) | instid1(VALU_DEP_1)
	s_or_b32 exec_lo, exec_lo, s9
	v_mul_f32_e32 v8, v26, v8
	s_delay_alu instid0(VALU_DEP_1) | instskip(NEXT) | instid1(VALU_DEP_1)
	v_and_b32_e32 v9, 0x7f800000, v8
	v_cmp_ne_u32_e64 s0, 0x7f800000, v9
                                        ; implicit-def: $vgpr9
	s_delay_alu instid0(VALU_DEP_1) | instskip(NEXT) | instid1(SALU_CYCLE_1)
	s_and_saveexec_b32 s9, s0
	s_xor_b32 s0, exec_lo, s9
; %bb.2708:                             ;   in Loop: Header=BB466_2335 Depth=1
	v_bfe_u32 v9, v8, 16, 1
	s_delay_alu instid0(VALU_DEP_1)
	v_add3_u32 v9, v8, v9, 0x7fff
                                        ; implicit-def: $vgpr8
; %bb.2709:                             ;   in Loop: Header=BB466_2335 Depth=1
	s_and_not1_saveexec_b32 s9, s0
; %bb.2710:                             ;   in Loop: Header=BB466_2335 Depth=1
	v_and_b32_e32 v9, 0xffff, v8
	v_or_b32_e32 v12, 0x10000, v8
	s_delay_alu instid0(VALU_DEP_2) | instskip(NEXT) | instid1(VALU_DEP_1)
	v_cmp_eq_u32_e64 s0, 0, v9
	v_cndmask_b32_e64 v9, v12, v8, s0
; %bb.2711:                             ;   in Loop: Header=BB466_2335 Depth=1
	s_or_b32 exec_lo, exec_lo, s9
	v_cmp_lt_u64_e64 s0, s[2:3], v[6:7]
	v_mov_b32_e32 v6, 0
	s_delay_alu instid0(VALU_DEP_2)
	s_and_saveexec_b32 s9, s0
	s_cbranch_execz .LBB466_2719
; %bb.2712:                             ;   in Loop: Header=BB466_2335 Depth=1
	v_lshrrev_b32_e32 v8, 24, v7
	v_bfrev_b32_e32 v6, 1
	s_mov_b32 s12, exec_lo
	s_delay_alu instid0(VALU_DEP_2)
	v_cmpx_ne_u32_e32 0x80, v8
	s_cbranch_execz .LBB466_2718
; %bb.2713:                             ;   in Loop: Header=BB466_2335 Depth=1
	v_bfe_u32 v7, v7, 24, 7
	v_mov_b32_e32 v6, 0x7f800001
	s_mov_b32 s13, exec_lo
	s_delay_alu instid0(VALU_DEP_2)
	v_cmpx_ne_u32_e32 0x7f, v7
	s_cbranch_execz .LBB466_2717
; %bb.2714:                             ;   in Loop: Header=BB466_2335 Depth=1
	v_and_b32_e32 v12, 7, v8
	v_lshrrev_b32_e32 v19, 3, v7
	v_cmp_gt_u32_e64 s0, 8, v7
	s_delay_alu instid0(VALU_DEP_3) | instskip(NEXT) | instid1(VALU_DEP_2)
	v_dual_mov_b32 v6, v12 :: v_dual_mov_b32 v7, v13
	s_and_saveexec_b32 s15, s0
; %bb.2715:                             ;   in Loop: Header=BB466_2335 Depth=1
	v_clz_i32_u32_e32 v6, v12
	s_delay_alu instid0(VALU_DEP_1) | instskip(NEXT) | instid1(VALU_DEP_1)
	v_min_u32_e32 v19, 32, v6
	v_subrev_nc_u32_e32 v6, 28, v19
	v_sub_nc_u32_e32 v19, 29, v19
	s_delay_alu instid0(VALU_DEP_2) | instskip(NEXT) | instid1(VALU_DEP_1)
	v_lshlrev_b64 v[6:7], v6, v[12:13]
	v_and_b32_e32 v6, 7, v6
; %bb.2716:                             ;   in Loop: Header=BB466_2335 Depth=1
	s_or_b32 exec_lo, exec_lo, s15
	v_lshlrev_b32_e32 v7, 24, v8
	s_delay_alu instid0(VALU_DEP_2) | instskip(SKIP_1) | instid1(VALU_DEP_3)
	v_lshlrev_b32_e32 v6, 20, v6
	v_lshl_add_u32 v8, v19, 23, 0x3c000000
	v_and_b32_e32 v7, 0x80000000, v7
	s_delay_alu instid0(VALU_DEP_1)
	v_or3_b32 v6, v6, v7, v8
.LBB466_2717:                           ;   in Loop: Header=BB466_2335 Depth=1
	s_or_b32 exec_lo, exec_lo, s13
.LBB466_2718:                           ;   in Loop: Header=BB466_2335 Depth=1
	s_delay_alu instid0(SALU_CYCLE_1)
	s_or_b32 exec_lo, exec_lo, s12
.LBB466_2719:                           ;   in Loop: Header=BB466_2335 Depth=1
	s_delay_alu instid0(SALU_CYCLE_1) | instskip(NEXT) | instid1(VALU_DEP_1)
	s_or_b32 exec_lo, exec_lo, s9
	v_mul_f32_e32 v6, v26, v6
                                        ; implicit-def: $vgpr19
	s_delay_alu instid0(VALU_DEP_1) | instskip(NEXT) | instid1(VALU_DEP_1)
	v_and_b32_e32 v7, 0x7f800000, v6
	v_cmp_ne_u32_e64 s0, 0x7f800000, v7
	s_delay_alu instid0(VALU_DEP_1) | instskip(NEXT) | instid1(SALU_CYCLE_1)
	s_and_saveexec_b32 s9, s0
	s_xor_b32 s0, exec_lo, s9
; %bb.2720:                             ;   in Loop: Header=BB466_2335 Depth=1
	v_bfe_u32 v7, v6, 16, 1
	s_delay_alu instid0(VALU_DEP_1)
	v_add3_u32 v19, v6, v7, 0x7fff
                                        ; implicit-def: $vgpr6
; %bb.2721:                             ;   in Loop: Header=BB466_2335 Depth=1
	s_and_not1_saveexec_b32 s9, s0
; %bb.2722:                             ;   in Loop: Header=BB466_2335 Depth=1
	v_and_b32_e32 v7, 0xffff, v6
	v_or_b32_e32 v8, 0x10000, v6
	s_delay_alu instid0(VALU_DEP_2) | instskip(NEXT) | instid1(VALU_DEP_1)
	v_cmp_eq_u32_e64 s0, 0, v7
	v_cndmask_b32_e64 v19, v8, v6, s0
; %bb.2723:                             ;   in Loop: Header=BB466_2335 Depth=1
	s_or_b32 exec_lo, exec_lo, s9
	v_lshrrev_b32_e32 v6, 16, v18
	v_lshrrev_b32_e32 v7, 16, v17
	;; [unrolled: 1-line block ×8, first 2 shown]
	s_and_saveexec_b32 s9, vcc_lo
	s_cbranch_execz .LBB466_2725
; %bb.2724:                             ;   in Loop: Header=BB466_2335 Depth=1
	v_cmp_lt_i32_e64 s0, v130, v36
	s_delay_alu instid0(VALU_DEP_1) | instskip(SKIP_1) | instid1(VALU_DEP_1)
	v_cndmask_b32_e64 v12, 0, v12, s0
	v_cmp_lt_i32_e64 s0, v133, v36
	v_cndmask_b32_e64 v11, 0, v11, s0
	v_cmp_lt_i32_e64 s0, v132, v36
	s_delay_alu instid0(VALU_DEP_1) | instskip(SKIP_1) | instid1(VALU_DEP_1)
	v_cndmask_b32_e64 v10, 0, v10, s0
	v_cmp_lt_i32_e64 s0, v131, v36
	v_cndmask_b32_e64 v8, 0, v8, s0
	;; [unrolled: 5-line block ×4, first 2 shown]
.LBB466_2725:                           ;   in Loop: Header=BB466_2335 Depth=1
	s_or_b32 exec_lo, exec_lo, s9
	v_lshlrev_b32_e32 v9, 16, v12
	s_delay_alu instid0(VALU_DEP_1) | instskip(NEXT) | instid1(VALU_DEP_1)
	v_mul_f32_e32 v9, v134, v9
	v_and_b32_e32 v12, 0x7f800000, v9
	s_delay_alu instid0(VALU_DEP_1) | instskip(NEXT) | instid1(VALU_DEP_1)
	v_cmp_ne_u32_e64 s0, 0x7f800000, v12
                                        ; implicit-def: $vgpr12
                                        ; kill: killed $vgpr12
	s_and_saveexec_b32 s9, s0
	s_delay_alu instid0(SALU_CYCLE_1)
	s_xor_b32 s0, exec_lo, s9
	s_cbranch_execz .LBB466_2727
; %bb.2726:                             ;   in Loop: Header=BB466_2335 Depth=1
	v_bfe_u32 v12, v9, 16, 1
	s_delay_alu instid0(VALU_DEP_1)
	v_add3_u32 v9, v9, v12, 0x7fff
	scratch_store_b32 off, v9, s32 offset:392 ; 4-byte Folded Spill
                                        ; implicit-def: $vgpr9
.LBB466_2727:                           ;   in Loop: Header=BB466_2335 Depth=1
	s_and_not1_saveexec_b32 s9, s0
	s_cbranch_execz .LBB466_2729
; %bb.2728:                             ;   in Loop: Header=BB466_2335 Depth=1
	v_and_b32_e32 v12, 0xffff, v9
	v_or_b32_e32 v17, 0x10000, v9
	s_delay_alu instid0(VALU_DEP_2) | instskip(NEXT) | instid1(VALU_DEP_1)
	v_cmp_eq_u32_e64 s0, 0, v12
	v_cndmask_b32_e64 v9, v17, v9, s0
	scratch_store_b32 off, v9, s32 offset:392 ; 4-byte Folded Spill
.LBB466_2729:                           ;   in Loop: Header=BB466_2335 Depth=1
	s_or_b32 exec_lo, exec_lo, s9
	v_lshlrev_b32_e32 v9, 16, v11
	s_delay_alu instid0(VALU_DEP_1) | instskip(NEXT) | instid1(VALU_DEP_1)
	v_mul_f32_e32 v9, v135, v9
	v_and_b32_e32 v11, 0x7f800000, v9
	s_delay_alu instid0(VALU_DEP_1) | instskip(NEXT) | instid1(VALU_DEP_1)
	v_cmp_ne_u32_e64 s0, 0x7f800000, v11
                                        ; implicit-def: $vgpr11
                                        ; kill: killed $vgpr11
	s_and_saveexec_b32 s9, s0
	s_delay_alu instid0(SALU_CYCLE_1)
	s_xor_b32 s0, exec_lo, s9
	s_cbranch_execz .LBB466_2731
; %bb.2730:                             ;   in Loop: Header=BB466_2335 Depth=1
	v_bfe_u32 v11, v9, 16, 1
	s_delay_alu instid0(VALU_DEP_1)
	v_add3_u32 v9, v9, v11, 0x7fff
	scratch_store_b32 off, v9, s32 offset:400 ; 4-byte Folded Spill
                                        ; implicit-def: $vgpr9
.LBB466_2731:                           ;   in Loop: Header=BB466_2335 Depth=1
	s_and_not1_saveexec_b32 s9, s0
	s_cbranch_execz .LBB466_2733
; %bb.2732:                             ;   in Loop: Header=BB466_2335 Depth=1
	v_and_b32_e32 v11, 0xffff, v9
	v_or_b32_e32 v12, 0x10000, v9
	s_delay_alu instid0(VALU_DEP_2) | instskip(NEXT) | instid1(VALU_DEP_1)
	v_cmp_eq_u32_e64 s0, 0, v11
	v_cndmask_b32_e64 v9, v12, v9, s0
	scratch_store_b32 off, v9, s32 offset:400 ; 4-byte Folded Spill
.LBB466_2733:                           ;   in Loop: Header=BB466_2335 Depth=1
	s_or_b32 exec_lo, exec_lo, s9
	v_lshlrev_b32_e32 v9, 16, v10
	s_delay_alu instid0(VALU_DEP_1) | instskip(NEXT) | instid1(VALU_DEP_1)
	v_mul_f32_e32 v9, v144, v9
	v_and_b32_e32 v10, 0x7f800000, v9
	s_delay_alu instid0(VALU_DEP_1) | instskip(NEXT) | instid1(VALU_DEP_1)
	v_cmp_ne_u32_e64 s0, 0x7f800000, v10
                                        ; implicit-def: $vgpr10
                                        ; kill: killed $vgpr10
	s_and_saveexec_b32 s9, s0
	s_delay_alu instid0(SALU_CYCLE_1)
	s_xor_b32 s0, exec_lo, s9
	s_cbranch_execz .LBB466_2735
; %bb.2734:                             ;   in Loop: Header=BB466_2335 Depth=1
	v_bfe_u32 v10, v9, 16, 1
	s_delay_alu instid0(VALU_DEP_1)
	v_add3_u32 v9, v9, v10, 0x7fff
	scratch_store_b32 off, v9, s32 offset:404 ; 4-byte Folded Spill
                                        ; implicit-def: $vgpr9
.LBB466_2735:                           ;   in Loop: Header=BB466_2335 Depth=1
	s_and_not1_saveexec_b32 s9, s0
	s_cbranch_execz .LBB466_2737
; %bb.2736:                             ;   in Loop: Header=BB466_2335 Depth=1
	v_and_b32_e32 v10, 0xffff, v9
	v_or_b32_e32 v11, 0x10000, v9
	s_delay_alu instid0(VALU_DEP_2) | instskip(NEXT) | instid1(VALU_DEP_1)
	v_cmp_eq_u32_e64 s0, 0, v10
	v_cndmask_b32_e64 v9, v11, v9, s0
	scratch_store_b32 off, v9, s32 offset:404 ; 4-byte Folded Spill
.LBB466_2737:                           ;   in Loop: Header=BB466_2335 Depth=1
	s_or_b32 exec_lo, exec_lo, s9
	v_lshlrev_b32_e32 v8, 16, v8
	s_delay_alu instid0(VALU_DEP_1) | instskip(NEXT) | instid1(VALU_DEP_1)
	v_mul_f32_e32 v8, v145, v8
	v_and_b32_e32 v9, 0x7f800000, v8
	s_delay_alu instid0(VALU_DEP_1) | instskip(NEXT) | instid1(VALU_DEP_1)
	v_cmp_ne_u32_e64 s0, 0x7f800000, v9
                                        ; implicit-def: $vgpr9
                                        ; kill: killed $vgpr9
	s_and_saveexec_b32 s9, s0
	s_delay_alu instid0(SALU_CYCLE_1)
	s_xor_b32 s0, exec_lo, s9
	s_cbranch_execz .LBB466_2739
; %bb.2738:                             ;   in Loop: Header=BB466_2335 Depth=1
	v_bfe_u32 v9, v8, 16, 1
	s_delay_alu instid0(VALU_DEP_1)
	v_add3_u32 v8, v8, v9, 0x7fff
	scratch_store_b32 off, v8, s32 offset:408 ; 4-byte Folded Spill
                                        ; implicit-def: $vgpr8
.LBB466_2739:                           ;   in Loop: Header=BB466_2335 Depth=1
	s_and_not1_saveexec_b32 s9, s0
	s_cbranch_execz .LBB466_2741
; %bb.2740:                             ;   in Loop: Header=BB466_2335 Depth=1
	v_and_b32_e32 v9, 0xffff, v8
	v_or_b32_e32 v10, 0x10000, v8
	s_delay_alu instid0(VALU_DEP_2) | instskip(NEXT) | instid1(VALU_DEP_1)
	v_cmp_eq_u32_e64 s0, 0, v9
	v_cndmask_b32_e64 v8, v10, v8, s0
	scratch_store_b32 off, v8, s32 offset:408 ; 4-byte Folded Spill
.LBB466_2741:                           ;   in Loop: Header=BB466_2335 Depth=1
	s_or_b32 exec_lo, exec_lo, s9
	v_lshlrev_b32_e32 v7, 16, v7
	s_delay_alu instid0(VALU_DEP_1) | instskip(NEXT) | instid1(VALU_DEP_1)
	v_mul_f32_e32 v7, v146, v7
	v_and_b32_e32 v8, 0x7f800000, v7
	s_delay_alu instid0(VALU_DEP_1) | instskip(NEXT) | instid1(VALU_DEP_1)
	v_cmp_ne_u32_e64 s0, 0x7f800000, v8
                                        ; implicit-def: $vgpr8
                                        ; kill: killed $vgpr8
	s_and_saveexec_b32 s9, s0
	s_delay_alu instid0(SALU_CYCLE_1)
	s_xor_b32 s0, exec_lo, s9
	s_cbranch_execz .LBB466_2743
; %bb.2742:                             ;   in Loop: Header=BB466_2335 Depth=1
	v_bfe_u32 v8, v7, 16, 1
	s_delay_alu instid0(VALU_DEP_1)
	v_add3_u32 v7, v7, v8, 0x7fff
	scratch_store_b32 off, v7, s32 offset:412 ; 4-byte Folded Spill
                                        ; implicit-def: $vgpr7
.LBB466_2743:                           ;   in Loop: Header=BB466_2335 Depth=1
	s_and_not1_saveexec_b32 s9, s0
	s_cbranch_execz .LBB466_2745
; %bb.2744:                             ;   in Loop: Header=BB466_2335 Depth=1
	v_and_b32_e32 v8, 0xffff, v7
	v_or_b32_e32 v9, 0x10000, v7
	s_delay_alu instid0(VALU_DEP_2) | instskip(NEXT) | instid1(VALU_DEP_1)
	v_cmp_eq_u32_e64 s0, 0, v8
	v_cndmask_b32_e64 v7, v9, v7, s0
	scratch_store_b32 off, v7, s32 offset:412 ; 4-byte Folded Spill
.LBB466_2745:                           ;   in Loop: Header=BB466_2335 Depth=1
	s_or_b32 exec_lo, exec_lo, s9
	v_lshlrev_b32_e32 v6, 16, v6
	s_delay_alu instid0(VALU_DEP_1) | instskip(NEXT) | instid1(VALU_DEP_1)
	v_mul_f32_e32 v6, v147, v6
	v_and_b32_e32 v7, 0x7f800000, v6
	s_delay_alu instid0(VALU_DEP_1) | instskip(NEXT) | instid1(VALU_DEP_1)
	v_cmp_ne_u32_e64 s0, 0x7f800000, v7
                                        ; implicit-def: $vgpr7
                                        ; kill: killed $vgpr7
	s_and_saveexec_b32 s9, s0
	s_delay_alu instid0(SALU_CYCLE_1)
	s_xor_b32 s0, exec_lo, s9
	s_cbranch_execz .LBB466_2747
; %bb.2746:                             ;   in Loop: Header=BB466_2335 Depth=1
	v_bfe_u32 v7, v6, 16, 1
	s_delay_alu instid0(VALU_DEP_1)
	v_add3_u32 v6, v6, v7, 0x7fff
	scratch_store_b32 off, v6, s32 offset:416 ; 4-byte Folded Spill
                                        ; implicit-def: $vgpr6
.LBB466_2747:                           ;   in Loop: Header=BB466_2335 Depth=1
	s_and_not1_saveexec_b32 s9, s0
	s_cbranch_execz .LBB466_2749
; %bb.2748:                             ;   in Loop: Header=BB466_2335 Depth=1
	v_and_b32_e32 v7, 0xffff, v6
	v_or_b32_e32 v8, 0x10000, v6
	s_delay_alu instid0(VALU_DEP_2) | instskip(NEXT) | instid1(VALU_DEP_1)
	v_cmp_eq_u32_e64 s0, 0, v7
	v_cndmask_b32_e64 v6, v8, v6, s0
	scratch_store_b32 off, v6, s32 offset:416 ; 4-byte Folded Spill
.LBB466_2749:                           ;   in Loop: Header=BB466_2335 Depth=1
	s_or_b32 exec_lo, exec_lo, s9
	v_lshlrev_b32_e32 v5, 16, v5
	s_delay_alu instid0(VALU_DEP_1) | instskip(NEXT) | instid1(VALU_DEP_1)
	v_mul_f32_e32 v5, v148, v5
	v_and_b32_e32 v6, 0x7f800000, v5
	s_delay_alu instid0(VALU_DEP_1) | instskip(NEXT) | instid1(VALU_DEP_1)
	v_cmp_ne_u32_e64 s0, 0x7f800000, v6
                                        ; implicit-def: $vgpr6
                                        ; kill: killed $vgpr6
	s_and_saveexec_b32 s9, s0
	s_delay_alu instid0(SALU_CYCLE_1)
	s_xor_b32 s0, exec_lo, s9
	s_cbranch_execz .LBB466_2751
; %bb.2750:                             ;   in Loop: Header=BB466_2335 Depth=1
	v_bfe_u32 v6, v5, 16, 1
	s_delay_alu instid0(VALU_DEP_1)
	v_add3_u32 v5, v5, v6, 0x7fff
	scratch_store_b32 off, v5, s32 offset:420 ; 4-byte Folded Spill
                                        ; implicit-def: $vgpr5
.LBB466_2751:                           ;   in Loop: Header=BB466_2335 Depth=1
	s_and_not1_saveexec_b32 s9, s0
	s_cbranch_execz .LBB466_2753
; %bb.2752:                             ;   in Loop: Header=BB466_2335 Depth=1
	v_and_b32_e32 v6, 0xffff, v5
	v_or_b32_e32 v7, 0x10000, v5
	s_delay_alu instid0(VALU_DEP_2) | instskip(NEXT) | instid1(VALU_DEP_1)
	v_cmp_eq_u32_e64 s0, 0, v6
	v_cndmask_b32_e64 v5, v7, v5, s0
	scratch_store_b32 off, v5, s32 offset:420 ; 4-byte Folded Spill
.LBB466_2753:                           ;   in Loop: Header=BB466_2335 Depth=1
	s_or_b32 exec_lo, exec_lo, s9
	v_lshlrev_b32_e32 v4, 16, v4
	s_delay_alu instid0(VALU_DEP_1) | instskip(NEXT) | instid1(VALU_DEP_1)
	v_mul_f32_e32 v4, v149, v4
	v_and_b32_e32 v5, 0x7f800000, v4
	s_delay_alu instid0(VALU_DEP_1) | instskip(NEXT) | instid1(VALU_DEP_1)
	v_cmp_ne_u32_e64 s0, 0x7f800000, v5
                                        ; implicit-def: $vgpr5
                                        ; kill: killed $vgpr5
	s_and_saveexec_b32 s9, s0
	s_delay_alu instid0(SALU_CYCLE_1)
	s_xor_b32 s0, exec_lo, s9
	s_cbranch_execz .LBB466_2755
; %bb.2754:                             ;   in Loop: Header=BB466_2335 Depth=1
	v_bfe_u32 v5, v4, 16, 1
	s_delay_alu instid0(VALU_DEP_1)
	v_add3_u32 v4, v4, v5, 0x7fff
	scratch_store_b32 off, v4, s32 offset:424 ; 4-byte Folded Spill
                                        ; implicit-def: $vgpr4
.LBB466_2755:                           ;   in Loop: Header=BB466_2335 Depth=1
	s_and_not1_saveexec_b32 s9, s0
	s_cbranch_execz .LBB466_2757
; %bb.2756:                             ;   in Loop: Header=BB466_2335 Depth=1
	v_and_b32_e32 v5, 0xffff, v4
	v_or_b32_e32 v6, 0x10000, v4
	s_delay_alu instid0(VALU_DEP_2) | instskip(NEXT) | instid1(VALU_DEP_1)
	v_cmp_eq_u32_e64 s0, 0, v5
	v_cndmask_b32_e64 v4, v6, v4, s0
	scratch_store_b32 off, v4, s32 offset:424 ; 4-byte Folded Spill
.LBB466_2757:                           ;   in Loop: Header=BB466_2335 Depth=1
	s_or_b32 exec_lo, exec_lo, s9
	flat_load_b64 v[6:7], v[2:3] offset:768
	s_mov_b32 s9, exec_lo
	s_waitcnt vmcnt(0) lgkmcnt(0)
	v_dual_mov_b32 v4, 0 :: v_dual_and_b32 v5, 0xff, v6
	s_delay_alu instid0(VALU_DEP_1)
	v_cmpx_ne_u16_e32 0, v5
	s_cbranch_execz .LBB466_2765
; %bb.2758:                             ;   in Loop: Header=BB466_2335 Depth=1
	v_bfrev_b32_e32 v4, 1
	s_mov_b32 s12, exec_lo
	v_cmpx_ne_u16_e32 0x80, v5
	s_cbranch_execz .LBB466_2764
; %bb.2759:                             ;   in Loop: Header=BB466_2335 Depth=1
	v_and_b32_e32 v5, 0x7f, v6
	v_mov_b32_e32 v4, 0x7f800001
	s_mov_b32 s13, exec_lo
	s_delay_alu instid0(VALU_DEP_2)
	v_cmpx_ne_u32_e32 0x7f, v5
	s_cbranch_execz .LBB466_2763
; %bb.2760:                             ;   in Loop: Header=BB466_2335 Depth=1
	v_lshrrev_b32_e32 v4, 3, v5
	v_dual_mov_b32 v9, v7 :: v_dual_mov_b32 v8, v6
	s_mov_b32 s15, exec_lo
	v_cmpx_gt_u32_e32 8, v5
; %bb.2761:                             ;   in Loop: Header=BB466_2335 Depth=1
	v_and_b32_e32 v4, 7, v6
	s_delay_alu instid0(VALU_DEP_1) | instskip(NEXT) | instid1(VALU_DEP_1)
	v_clz_i32_u32_e32 v4, v4
	v_min_u32_e32 v4, 32, v4
	s_delay_alu instid0(VALU_DEP_1) | instskip(SKIP_1) | instid1(VALU_DEP_2)
	v_subrev_nc_u32_e32 v5, 28, v4
	v_sub_nc_u32_e32 v4, 29, v4
	v_lshlrev_b64 v[8:9], v5, v[6:7]
; %bb.2762:                             ;   in Loop: Header=BB466_2335 Depth=1
	s_or_b32 exec_lo, exec_lo, s15
	s_delay_alu instid0(VALU_DEP_1) | instskip(SKIP_2) | instid1(VALU_DEP_3)
	v_lshlrev_b32_e32 v5, 20, v8
	v_lshlrev_b32_e32 v8, 24, v6
	v_lshl_add_u32 v4, v4, 23, 0x3c000000
	v_and_b32_e32 v5, 0x700000, v5
	s_delay_alu instid0(VALU_DEP_3) | instskip(NEXT) | instid1(VALU_DEP_1)
	v_and_b32_e32 v8, 0x80000000, v8
	v_or3_b32 v4, v5, v8, v4
.LBB466_2763:                           ;   in Loop: Header=BB466_2335 Depth=1
	s_or_b32 exec_lo, exec_lo, s13
.LBB466_2764:                           ;   in Loop: Header=BB466_2335 Depth=1
	s_delay_alu instid0(SALU_CYCLE_1)
	s_or_b32 exec_lo, exec_lo, s12
.LBB466_2765:                           ;   in Loop: Header=BB466_2335 Depth=1
	s_delay_alu instid0(SALU_CYCLE_1) | instskip(NEXT) | instid1(VALU_DEP_1)
	s_or_b32 exec_lo, exec_lo, s9
	v_mul_f32_e32 v5, v26, v4
	s_delay_alu instid0(VALU_DEP_1) | instskip(NEXT) | instid1(VALU_DEP_1)
	v_and_b32_e32 v4, 0x7f800000, v5
	v_cmp_ne_u32_e64 s0, 0x7f800000, v4
                                        ; implicit-def: $vgpr4
	s_delay_alu instid0(VALU_DEP_1) | instskip(NEXT) | instid1(SALU_CYCLE_1)
	s_and_saveexec_b32 s9, s0
	s_xor_b32 s0, exec_lo, s9
; %bb.2766:                             ;   in Loop: Header=BB466_2335 Depth=1
	v_bfe_u32 v4, v5, 16, 1
	s_delay_alu instid0(VALU_DEP_1)
	v_add3_u32 v4, v5, v4, 0x7fff
                                        ; implicit-def: $vgpr5
; %bb.2767:                             ;   in Loop: Header=BB466_2335 Depth=1
	s_and_not1_saveexec_b32 s9, s0
; %bb.2768:                             ;   in Loop: Header=BB466_2335 Depth=1
	v_and_b32_e32 v4, 0xffff, v5
	v_or_b32_e32 v8, 0x10000, v5
	s_delay_alu instid0(VALU_DEP_2) | instskip(NEXT) | instid1(VALU_DEP_1)
	v_cmp_eq_u32_e64 s0, 0, v4
	v_cndmask_b32_e64 v4, v8, v5, s0
; %bb.2769:                             ;   in Loop: Header=BB466_2335 Depth=1
	s_or_b32 exec_lo, exec_lo, s9
	v_lshrrev_b16 v8, 8, v6
	v_mov_b32_e32 v5, 0
	s_mov_b32 s9, exec_lo
	s_delay_alu instid0(VALU_DEP_2)
	v_cmpx_ne_u16_e32 0, v8
	s_cbranch_execz .LBB466_2777
; %bb.2770:                             ;   in Loop: Header=BB466_2335 Depth=1
	v_bfrev_b32_e32 v5, 1
	s_mov_b32 s12, exec_lo
	v_cmpx_ne_u16_e32 0x80, v8
	s_cbranch_execz .LBB466_2776
; %bb.2771:                             ;   in Loop: Header=BB466_2335 Depth=1
	v_and_b32_e32 v9, 0xffff, v8
	v_mov_b32_e32 v5, 0x7f800001
	s_mov_b32 s13, exec_lo
	s_delay_alu instid0(VALU_DEP_2) | instskip(NEXT) | instid1(VALU_DEP_1)
	v_and_b32_e32 v8, 0x7f, v9
	v_cmpx_ne_u32_e32 0x7f, v8
	s_cbranch_execz .LBB466_2775
; %bb.2772:                             ;   in Loop: Header=BB466_2335 Depth=1
	v_and_b32_e32 v12, 7, v9
	v_lshrrev_b32_e32 v5, 3, v8
	v_cmp_gt_u32_e64 s0, 8, v8
	s_delay_alu instid0(VALU_DEP_3) | instskip(NEXT) | instid1(VALU_DEP_2)
	v_dual_mov_b32 v8, v12 :: v_dual_mov_b32 v9, v13
	s_and_saveexec_b32 s15, s0
; %bb.2773:                             ;   in Loop: Header=BB466_2335 Depth=1
	v_clz_i32_u32_e32 v5, v12
	s_delay_alu instid0(VALU_DEP_1) | instskip(NEXT) | instid1(VALU_DEP_1)
	v_min_u32_e32 v5, 32, v5
	v_subrev_nc_u32_e32 v8, 28, v5
	v_sub_nc_u32_e32 v5, 29, v5
	s_delay_alu instid0(VALU_DEP_2) | instskip(NEXT) | instid1(VALU_DEP_1)
	v_lshlrev_b64 v[8:9], v8, v[12:13]
	v_and_b32_e32 v8, 7, v8
; %bb.2774:                             ;   in Loop: Header=BB466_2335 Depth=1
	s_or_b32 exec_lo, exec_lo, s15
	v_lshlrev_b32_e32 v9, 16, v6
	s_delay_alu instid0(VALU_DEP_2) | instskip(SKIP_1) | instid1(VALU_DEP_3)
	v_lshlrev_b32_e32 v8, 20, v8
	v_lshl_add_u32 v5, v5, 23, 0x3c000000
	v_and_b32_e32 v9, 0x80000000, v9
	s_delay_alu instid0(VALU_DEP_1)
	v_or3_b32 v5, v8, v9, v5
.LBB466_2775:                           ;   in Loop: Header=BB466_2335 Depth=1
	s_or_b32 exec_lo, exec_lo, s13
.LBB466_2776:                           ;   in Loop: Header=BB466_2335 Depth=1
	s_delay_alu instid0(SALU_CYCLE_1)
	s_or_b32 exec_lo, exec_lo, s12
.LBB466_2777:                           ;   in Loop: Header=BB466_2335 Depth=1
	s_delay_alu instid0(SALU_CYCLE_1) | instskip(NEXT) | instid1(VALU_DEP_1)
	s_or_b32 exec_lo, exec_lo, s9
	v_mul_f32_e32 v8, v26, v5
	s_delay_alu instid0(VALU_DEP_1) | instskip(NEXT) | instid1(VALU_DEP_1)
	v_and_b32_e32 v5, 0x7f800000, v8
	v_cmp_ne_u32_e64 s0, 0x7f800000, v5
                                        ; implicit-def: $vgpr5
	s_delay_alu instid0(VALU_DEP_1) | instskip(NEXT) | instid1(SALU_CYCLE_1)
	s_and_saveexec_b32 s9, s0
	s_xor_b32 s0, exec_lo, s9
; %bb.2778:                             ;   in Loop: Header=BB466_2335 Depth=1
	v_bfe_u32 v5, v8, 16, 1
	s_delay_alu instid0(VALU_DEP_1)
	v_add3_u32 v5, v8, v5, 0x7fff
                                        ; implicit-def: $vgpr8
; %bb.2779:                             ;   in Loop: Header=BB466_2335 Depth=1
	s_and_not1_saveexec_b32 s9, s0
; %bb.2780:                             ;   in Loop: Header=BB466_2335 Depth=1
	v_and_b32_e32 v5, 0xffff, v8
	v_or_b32_e32 v9, 0x10000, v8
	s_delay_alu instid0(VALU_DEP_2) | instskip(NEXT) | instid1(VALU_DEP_1)
	v_cmp_eq_u32_e64 s0, 0, v5
	v_cndmask_b32_e64 v5, v9, v8, s0
; %bb.2781:                             ;   in Loop: Header=BB466_2335 Depth=1
	s_or_b32 exec_lo, exec_lo, s9
	v_lshrrev_b32_e32 v10, 16, v6
	s_mov_b32 s9, exec_lo
	s_delay_alu instid0(VALU_DEP_1) | instskip(NEXT) | instid1(VALU_DEP_1)
	v_dual_mov_b32 v8, 0 :: v_dual_and_b32 v9, 0xff, v10
	v_cmpx_ne_u16_e32 0, v9
	s_cbranch_execz .LBB466_2789
; %bb.2782:                             ;   in Loop: Header=BB466_2335 Depth=1
	v_bfrev_b32_e32 v8, 1
	s_mov_b32 s12, exec_lo
	v_cmpx_ne_u16_e32 0x80, v9
	s_cbranch_execz .LBB466_2788
; %bb.2783:                             ;   in Loop: Header=BB466_2335 Depth=1
	v_bfe_u32 v9, v6, 16, 7
	v_mov_b32_e32 v8, 0x7f800001
	s_mov_b32 s13, exec_lo
	s_delay_alu instid0(VALU_DEP_2)
	v_cmpx_ne_u32_e32 0x7f, v9
	s_cbranch_execz .LBB466_2787
; %bb.2784:                             ;   in Loop: Header=BB466_2335 Depth=1
	v_and_b32_e32 v12, 7, v10
	v_lshrrev_b32_e32 v11, 3, v9
	v_cmp_gt_u32_e64 s0, 8, v9
	s_delay_alu instid0(VALU_DEP_3) | instskip(NEXT) | instid1(VALU_DEP_2)
	v_dual_mov_b32 v8, v12 :: v_dual_mov_b32 v9, v13
	s_and_saveexec_b32 s15, s0
; %bb.2785:                             ;   in Loop: Header=BB466_2335 Depth=1
	v_clz_i32_u32_e32 v8, v12
	s_delay_alu instid0(VALU_DEP_1) | instskip(NEXT) | instid1(VALU_DEP_1)
	v_min_u32_e32 v11, 32, v8
	v_subrev_nc_u32_e32 v8, 28, v11
	v_sub_nc_u32_e32 v11, 29, v11
	s_delay_alu instid0(VALU_DEP_2) | instskip(NEXT) | instid1(VALU_DEP_1)
	v_lshlrev_b64 v[8:9], v8, v[12:13]
	v_and_b32_e32 v8, 7, v8
; %bb.2786:                             ;   in Loop: Header=BB466_2335 Depth=1
	s_or_b32 exec_lo, exec_lo, s15
	v_lshlrev_b32_e32 v9, 24, v10
	s_delay_alu instid0(VALU_DEP_2) | instskip(SKIP_1) | instid1(VALU_DEP_3)
	v_lshlrev_b32_e32 v8, 20, v8
	v_lshl_add_u32 v10, v11, 23, 0x3c000000
	v_and_b32_e32 v9, 0x80000000, v9
	s_delay_alu instid0(VALU_DEP_1)
	v_or3_b32 v8, v8, v9, v10
.LBB466_2787:                           ;   in Loop: Header=BB466_2335 Depth=1
	s_or_b32 exec_lo, exec_lo, s13
.LBB466_2788:                           ;   in Loop: Header=BB466_2335 Depth=1
	s_delay_alu instid0(SALU_CYCLE_1)
	s_or_b32 exec_lo, exec_lo, s12
.LBB466_2789:                           ;   in Loop: Header=BB466_2335 Depth=1
	s_delay_alu instid0(SALU_CYCLE_1) | instskip(NEXT) | instid1(VALU_DEP_1)
	s_or_b32 exec_lo, exec_lo, s9
	v_mul_f32_e32 v8, v26, v8
                                        ; implicit-def: $vgpr10
	s_delay_alu instid0(VALU_DEP_1) | instskip(NEXT) | instid1(VALU_DEP_1)
	v_and_b32_e32 v9, 0x7f800000, v8
	v_cmp_ne_u32_e64 s0, 0x7f800000, v9
	s_delay_alu instid0(VALU_DEP_1) | instskip(NEXT) | instid1(SALU_CYCLE_1)
	s_and_saveexec_b32 s9, s0
	s_xor_b32 s0, exec_lo, s9
; %bb.2790:                             ;   in Loop: Header=BB466_2335 Depth=1
	v_bfe_u32 v9, v8, 16, 1
	s_delay_alu instid0(VALU_DEP_1)
	v_add3_u32 v10, v8, v9, 0x7fff
                                        ; implicit-def: $vgpr8
; %bb.2791:                             ;   in Loop: Header=BB466_2335 Depth=1
	s_and_not1_saveexec_b32 s9, s0
; %bb.2792:                             ;   in Loop: Header=BB466_2335 Depth=1
	v_and_b32_e32 v9, 0xffff, v8
	v_or_b32_e32 v10, 0x10000, v8
	s_delay_alu instid0(VALU_DEP_2) | instskip(NEXT) | instid1(VALU_DEP_1)
	v_cmp_eq_u32_e64 s0, 0, v9
	v_cndmask_b32_e64 v10, v10, v8, s0
; %bb.2793:                             ;   in Loop: Header=BB466_2335 Depth=1
	s_or_b32 exec_lo, exec_lo, s9
	v_mov_b32_e32 v8, 0
	s_mov_b32 s9, exec_lo
	v_cmpx_lt_u32_e32 0xffffff, v6
	s_cbranch_execz .LBB466_2801
; %bb.2794:                             ;   in Loop: Header=BB466_2335 Depth=1
	v_lshrrev_b32_e32 v11, 24, v6
	v_bfrev_b32_e32 v8, 1
	s_mov_b32 s12, exec_lo
	s_delay_alu instid0(VALU_DEP_2)
	v_cmpx_ne_u32_e32 0x80, v11
	s_cbranch_execz .LBB466_2800
; %bb.2795:                             ;   in Loop: Header=BB466_2335 Depth=1
	v_bfe_u32 v9, v6, 24, 7
	v_mov_b32_e32 v8, 0x7f800001
	s_mov_b32 s13, exec_lo
	s_delay_alu instid0(VALU_DEP_2)
	v_cmpx_ne_u32_e32 0x7f, v9
	s_cbranch_execz .LBB466_2799
; %bb.2796:                             ;   in Loop: Header=BB466_2335 Depth=1
	v_and_b32_e32 v12, 7, v11
	v_lshrrev_b32_e32 v17, 3, v9
	v_cmp_gt_u32_e64 s0, 8, v9
	s_delay_alu instid0(VALU_DEP_3) | instskip(NEXT) | instid1(VALU_DEP_2)
	v_dual_mov_b32 v8, v12 :: v_dual_mov_b32 v9, v13
	s_and_saveexec_b32 s15, s0
; %bb.2797:                             ;   in Loop: Header=BB466_2335 Depth=1
	v_clz_i32_u32_e32 v8, v12
	s_delay_alu instid0(VALU_DEP_1) | instskip(NEXT) | instid1(VALU_DEP_1)
	v_min_u32_e32 v17, 32, v8
	v_subrev_nc_u32_e32 v8, 28, v17
	v_sub_nc_u32_e32 v17, 29, v17
	s_delay_alu instid0(VALU_DEP_2) | instskip(NEXT) | instid1(VALU_DEP_1)
	v_lshlrev_b64 v[8:9], v8, v[12:13]
	v_and_b32_e32 v8, 7, v8
; %bb.2798:                             ;   in Loop: Header=BB466_2335 Depth=1
	s_or_b32 exec_lo, exec_lo, s15
	v_lshlrev_b32_e32 v9, 24, v11
	s_delay_alu instid0(VALU_DEP_2) | instskip(SKIP_1) | instid1(VALU_DEP_3)
	v_lshlrev_b32_e32 v8, 20, v8
	v_lshl_add_u32 v11, v17, 23, 0x3c000000
	v_and_b32_e32 v9, 0x80000000, v9
	s_delay_alu instid0(VALU_DEP_1)
	v_or3_b32 v8, v8, v9, v11
.LBB466_2799:                           ;   in Loop: Header=BB466_2335 Depth=1
	s_or_b32 exec_lo, exec_lo, s13
.LBB466_2800:                           ;   in Loop: Header=BB466_2335 Depth=1
	s_delay_alu instid0(SALU_CYCLE_1)
	s_or_b32 exec_lo, exec_lo, s12
.LBB466_2801:                           ;   in Loop: Header=BB466_2335 Depth=1
	s_delay_alu instid0(SALU_CYCLE_1) | instskip(NEXT) | instid1(VALU_DEP_1)
	s_or_b32 exec_lo, exec_lo, s9
	v_mul_f32_e32 v8, v26, v8
                                        ; implicit-def: $vgpr11
	s_delay_alu instid0(VALU_DEP_1) | instskip(NEXT) | instid1(VALU_DEP_1)
	v_and_b32_e32 v9, 0x7f800000, v8
	v_cmp_ne_u32_e64 s0, 0x7f800000, v9
	s_delay_alu instid0(VALU_DEP_1) | instskip(NEXT) | instid1(SALU_CYCLE_1)
	s_and_saveexec_b32 s9, s0
	s_xor_b32 s0, exec_lo, s9
; %bb.2802:                             ;   in Loop: Header=BB466_2335 Depth=1
	v_bfe_u32 v9, v8, 16, 1
	s_delay_alu instid0(VALU_DEP_1)
	v_add3_u32 v11, v8, v9, 0x7fff
                                        ; implicit-def: $vgpr8
; %bb.2803:                             ;   in Loop: Header=BB466_2335 Depth=1
	s_and_not1_saveexec_b32 s9, s0
; %bb.2804:                             ;   in Loop: Header=BB466_2335 Depth=1
	v_and_b32_e32 v9, 0xffff, v8
	v_or_b32_e32 v11, 0x10000, v8
	s_delay_alu instid0(VALU_DEP_2) | instskip(NEXT) | instid1(VALU_DEP_1)
	v_cmp_eq_u32_e64 s0, 0, v9
	v_cndmask_b32_e64 v11, v11, v8, s0
; %bb.2805:                             ;   in Loop: Header=BB466_2335 Depth=1
	s_or_b32 exec_lo, exec_lo, s9
	v_dual_mov_b32 v12, v7 :: v_dual_and_b32 v9, 0xff, v7
	v_mov_b32_e32 v8, 0
	s_mov_b32 s9, exec_lo
	s_delay_alu instid0(VALU_DEP_2)
	v_cmpx_ne_u16_e32 0, v9
	s_cbranch_execz .LBB466_2813
; %bb.2806:                             ;   in Loop: Header=BB466_2335 Depth=1
	v_bfrev_b32_e32 v8, 1
	s_mov_b32 s12, exec_lo
	v_cmpx_ne_u16_e32 0x80, v9
	s_cbranch_execz .LBB466_2812
; %bb.2807:                             ;   in Loop: Header=BB466_2335 Depth=1
	v_and_b32_e32 v9, 0x7f, v7
	v_mov_b32_e32 v8, 0x7f800001
	s_mov_b32 s13, exec_lo
	s_delay_alu instid0(VALU_DEP_2)
	v_cmpx_ne_u32_e32 0x7f, v9
	s_cbranch_execz .LBB466_2811
; %bb.2808:                             ;   in Loop: Header=BB466_2335 Depth=1
	v_lshrrev_b32_e32 v17, 3, v9
	v_cmp_gt_u32_e64 s0, 8, v9
	v_dual_mov_b32 v8, v12 :: v_dual_mov_b32 v9, v13
	s_delay_alu instid0(VALU_DEP_2)
	s_and_saveexec_b32 s15, s0
; %bb.2809:                             ;   in Loop: Header=BB466_2335 Depth=1
	v_and_b32_e32 v8, 7, v7
	s_delay_alu instid0(VALU_DEP_1) | instskip(NEXT) | instid1(VALU_DEP_1)
	v_clz_i32_u32_e32 v8, v8
	v_min_u32_e32 v17, 32, v8
	s_delay_alu instid0(VALU_DEP_1) | instskip(SKIP_1) | instid1(VALU_DEP_2)
	v_subrev_nc_u32_e32 v8, 28, v17
	v_sub_nc_u32_e32 v17, 29, v17
	v_lshlrev_b64 v[8:9], v8, v[12:13]
; %bb.2810:                             ;   in Loop: Header=BB466_2335 Depth=1
	s_or_b32 exec_lo, exec_lo, s15
	s_delay_alu instid0(VALU_DEP_1) | instskip(SKIP_2) | instid1(VALU_DEP_3)
	v_lshlrev_b32_e32 v8, 20, v8
	v_lshlrev_b32_e32 v9, 24, v12
	v_lshl_add_u32 v17, v17, 23, 0x3c000000
	v_and_b32_e32 v8, 0x700000, v8
	s_delay_alu instid0(VALU_DEP_3) | instskip(NEXT) | instid1(VALU_DEP_1)
	v_and_b32_e32 v9, 0x80000000, v9
	v_or3_b32 v8, v8, v9, v17
.LBB466_2811:                           ;   in Loop: Header=BB466_2335 Depth=1
	s_or_b32 exec_lo, exec_lo, s13
.LBB466_2812:                           ;   in Loop: Header=BB466_2335 Depth=1
	s_delay_alu instid0(SALU_CYCLE_1)
	s_or_b32 exec_lo, exec_lo, s12
.LBB466_2813:                           ;   in Loop: Header=BB466_2335 Depth=1
	s_delay_alu instid0(SALU_CYCLE_1) | instskip(NEXT) | instid1(VALU_DEP_1)
	s_or_b32 exec_lo, exec_lo, s9
	v_mul_f32_e32 v8, v26, v8
                                        ; implicit-def: $vgpr17
	s_delay_alu instid0(VALU_DEP_1) | instskip(NEXT) | instid1(VALU_DEP_1)
	v_and_b32_e32 v9, 0x7f800000, v8
	v_cmp_ne_u32_e64 s0, 0x7f800000, v9
	s_delay_alu instid0(VALU_DEP_1) | instskip(NEXT) | instid1(SALU_CYCLE_1)
	s_and_saveexec_b32 s9, s0
	s_xor_b32 s0, exec_lo, s9
; %bb.2814:                             ;   in Loop: Header=BB466_2335 Depth=1
	v_bfe_u32 v9, v8, 16, 1
	s_delay_alu instid0(VALU_DEP_1)
	v_add3_u32 v17, v8, v9, 0x7fff
                                        ; implicit-def: $vgpr8
; %bb.2815:                             ;   in Loop: Header=BB466_2335 Depth=1
	s_and_not1_saveexec_b32 s9, s0
; %bb.2816:                             ;   in Loop: Header=BB466_2335 Depth=1
	v_and_b32_e32 v9, 0xffff, v8
	v_or_b32_e32 v17, 0x10000, v8
	s_delay_alu instid0(VALU_DEP_2) | instskip(NEXT) | instid1(VALU_DEP_1)
	v_cmp_eq_u32_e64 s0, 0, v9
	v_cndmask_b32_e64 v17, v17, v8, s0
; %bb.2817:                             ;   in Loop: Header=BB466_2335 Depth=1
	s_or_b32 exec_lo, exec_lo, s9
	v_lshrrev_b16 v9, 8, v12
	v_mov_b32_e32 v8, 0
	s_mov_b32 s9, exec_lo
	s_delay_alu instid0(VALU_DEP_2)
	v_cmpx_ne_u16_e32 0, v9
	s_cbranch_execz .LBB466_2825
; %bb.2818:                             ;   in Loop: Header=BB466_2335 Depth=1
	v_bfrev_b32_e32 v8, 1
	s_mov_b32 s12, exec_lo
	v_cmpx_ne_u16_e32 0x80, v9
	s_cbranch_execz .LBB466_2824
; %bb.2819:                             ;   in Loop: Header=BB466_2335 Depth=1
	v_and_b32_e32 v9, 0xffff, v9
	v_mov_b32_e32 v8, 0x7f800001
	s_mov_b32 s13, exec_lo
	s_delay_alu instid0(VALU_DEP_2) | instskip(NEXT) | instid1(VALU_DEP_1)
	v_and_b32_e32 v19, 0x7f, v9
	v_cmpx_ne_u32_e32 0x7f, v19
	s_cbranch_execz .LBB466_2823
; %bb.2820:                             ;   in Loop: Header=BB466_2335 Depth=1
	v_dual_mov_b32 v9, v13 :: v_dual_and_b32 v8, 7, v9
	v_lshrrev_b32_e32 v18, 3, v19
	s_mov_b32 s15, exec_lo
	v_cmpx_gt_u32_e32 8, v19
; %bb.2821:                             ;   in Loop: Header=BB466_2335 Depth=1
	s_delay_alu instid0(VALU_DEP_3) | instskip(NEXT) | instid1(VALU_DEP_1)
	v_clz_i32_u32_e32 v18, v8
	v_min_u32_e32 v18, 32, v18
	s_delay_alu instid0(VALU_DEP_1) | instskip(SKIP_1) | instid1(VALU_DEP_2)
	v_subrev_nc_u32_e32 v19, 28, v18
	v_sub_nc_u32_e32 v18, 29, v18
	v_lshlrev_b64 v[8:9], v19, v[8:9]
	s_delay_alu instid0(VALU_DEP_1)
	v_and_b32_e32 v8, 7, v8
; %bb.2822:                             ;   in Loop: Header=BB466_2335 Depth=1
	s_or_b32 exec_lo, exec_lo, s15
	v_lshlrev_b32_e32 v9, 16, v12
	s_delay_alu instid0(VALU_DEP_2) | instskip(SKIP_1) | instid1(VALU_DEP_3)
	v_lshlrev_b32_e32 v8, 20, v8
	v_lshl_add_u32 v12, v18, 23, 0x3c000000
	v_and_b32_e32 v9, 0x80000000, v9
	s_delay_alu instid0(VALU_DEP_1)
	v_or3_b32 v8, v8, v9, v12
.LBB466_2823:                           ;   in Loop: Header=BB466_2335 Depth=1
	s_or_b32 exec_lo, exec_lo, s13
.LBB466_2824:                           ;   in Loop: Header=BB466_2335 Depth=1
	s_delay_alu instid0(SALU_CYCLE_1)
	s_or_b32 exec_lo, exec_lo, s12
.LBB466_2825:                           ;   in Loop: Header=BB466_2335 Depth=1
	s_delay_alu instid0(SALU_CYCLE_1) | instskip(NEXT) | instid1(VALU_DEP_1)
	s_or_b32 exec_lo, exec_lo, s9
	v_mul_f32_e32 v8, v26, v8
                                        ; implicit-def: $vgpr18
	s_delay_alu instid0(VALU_DEP_1) | instskip(NEXT) | instid1(VALU_DEP_1)
	v_and_b32_e32 v9, 0x7f800000, v8
	v_cmp_ne_u32_e64 s0, 0x7f800000, v9
	s_delay_alu instid0(VALU_DEP_1) | instskip(NEXT) | instid1(SALU_CYCLE_1)
	s_and_saveexec_b32 s9, s0
	s_xor_b32 s0, exec_lo, s9
; %bb.2826:                             ;   in Loop: Header=BB466_2335 Depth=1
	v_bfe_u32 v9, v8, 16, 1
	s_delay_alu instid0(VALU_DEP_1)
	v_add3_u32 v18, v8, v9, 0x7fff
                                        ; implicit-def: $vgpr8
; %bb.2827:                             ;   in Loop: Header=BB466_2335 Depth=1
	s_and_not1_saveexec_b32 s9, s0
; %bb.2828:                             ;   in Loop: Header=BB466_2335 Depth=1
	v_and_b32_e32 v9, 0xffff, v8
	v_or_b32_e32 v12, 0x10000, v8
	s_delay_alu instid0(VALU_DEP_2) | instskip(NEXT) | instid1(VALU_DEP_1)
	v_cmp_eq_u32_e64 s0, 0, v9
	v_cndmask_b32_e64 v18, v12, v8, s0
; %bb.2829:                             ;   in Loop: Header=BB466_2335 Depth=1
	s_or_b32 exec_lo, exec_lo, s9
	v_lshrrev_b32_e32 v19, 16, v7
	s_mov_b32 s9, exec_lo
	s_delay_alu instid0(VALU_DEP_1) | instskip(NEXT) | instid1(VALU_DEP_1)
	v_dual_mov_b32 v8, 0 :: v_dual_and_b32 v9, 0xff, v19
	v_cmpx_ne_u16_e32 0, v9
	s_cbranch_execz .LBB466_2837
; %bb.2830:                             ;   in Loop: Header=BB466_2335 Depth=1
	v_bfrev_b32_e32 v8, 1
	s_mov_b32 s12, exec_lo
	v_cmpx_ne_u16_e32 0x80, v9
	s_cbranch_execz .LBB466_2836
; %bb.2831:                             ;   in Loop: Header=BB466_2335 Depth=1
	v_bfe_u32 v9, v7, 16, 7
	v_mov_b32_e32 v8, 0x7f800001
	s_mov_b32 s13, exec_lo
	s_delay_alu instid0(VALU_DEP_2)
	v_cmpx_ne_u32_e32 0x7f, v9
	s_cbranch_execz .LBB466_2835
; %bb.2832:                             ;   in Loop: Header=BB466_2335 Depth=1
	v_and_b32_e32 v12, 7, v19
	v_lshrrev_b32_e32 v20, 3, v9
	v_cmp_gt_u32_e64 s0, 8, v9
	s_delay_alu instid0(VALU_DEP_3) | instskip(NEXT) | instid1(VALU_DEP_2)
	v_dual_mov_b32 v8, v12 :: v_dual_mov_b32 v9, v13
	s_and_saveexec_b32 s15, s0
; %bb.2833:                             ;   in Loop: Header=BB466_2335 Depth=1
	v_clz_i32_u32_e32 v8, v12
	s_delay_alu instid0(VALU_DEP_1) | instskip(NEXT) | instid1(VALU_DEP_1)
	v_min_u32_e32 v20, 32, v8
	v_subrev_nc_u32_e32 v8, 28, v20
	v_sub_nc_u32_e32 v20, 29, v20
	s_delay_alu instid0(VALU_DEP_2) | instskip(NEXT) | instid1(VALU_DEP_1)
	v_lshlrev_b64 v[8:9], v8, v[12:13]
	v_and_b32_e32 v8, 7, v8
; %bb.2834:                             ;   in Loop: Header=BB466_2335 Depth=1
	s_or_b32 exec_lo, exec_lo, s15
	v_lshlrev_b32_e32 v9, 24, v19
	s_delay_alu instid0(VALU_DEP_2) | instskip(SKIP_1) | instid1(VALU_DEP_3)
	v_lshlrev_b32_e32 v8, 20, v8
	v_lshl_add_u32 v12, v20, 23, 0x3c000000
	v_and_b32_e32 v9, 0x80000000, v9
	s_delay_alu instid0(VALU_DEP_1)
	v_or3_b32 v8, v8, v9, v12
.LBB466_2835:                           ;   in Loop: Header=BB466_2335 Depth=1
	s_or_b32 exec_lo, exec_lo, s13
.LBB466_2836:                           ;   in Loop: Header=BB466_2335 Depth=1
	s_delay_alu instid0(SALU_CYCLE_1)
	s_or_b32 exec_lo, exec_lo, s12
.LBB466_2837:                           ;   in Loop: Header=BB466_2335 Depth=1
	s_delay_alu instid0(SALU_CYCLE_1) | instskip(NEXT) | instid1(VALU_DEP_1)
	s_or_b32 exec_lo, exec_lo, s9
	v_mul_f32_e32 v8, v26, v8
	s_delay_alu instid0(VALU_DEP_1) | instskip(NEXT) | instid1(VALU_DEP_1)
	v_and_b32_e32 v9, 0x7f800000, v8
	v_cmp_ne_u32_e64 s0, 0x7f800000, v9
                                        ; implicit-def: $vgpr9
	s_delay_alu instid0(VALU_DEP_1) | instskip(NEXT) | instid1(SALU_CYCLE_1)
	s_and_saveexec_b32 s9, s0
	s_xor_b32 s0, exec_lo, s9
; %bb.2838:                             ;   in Loop: Header=BB466_2335 Depth=1
	v_bfe_u32 v9, v8, 16, 1
	s_delay_alu instid0(VALU_DEP_1)
	v_add3_u32 v9, v8, v9, 0x7fff
                                        ; implicit-def: $vgpr8
; %bb.2839:                             ;   in Loop: Header=BB466_2335 Depth=1
	s_and_not1_saveexec_b32 s9, s0
; %bb.2840:                             ;   in Loop: Header=BB466_2335 Depth=1
	v_and_b32_e32 v9, 0xffff, v8
	v_or_b32_e32 v12, 0x10000, v8
	s_delay_alu instid0(VALU_DEP_2) | instskip(NEXT) | instid1(VALU_DEP_1)
	v_cmp_eq_u32_e64 s0, 0, v9
	v_cndmask_b32_e64 v9, v12, v8, s0
; %bb.2841:                             ;   in Loop: Header=BB466_2335 Depth=1
	s_or_b32 exec_lo, exec_lo, s9
	v_cmp_lt_u64_e64 s0, s[2:3], v[6:7]
	v_mov_b32_e32 v6, 0
	s_delay_alu instid0(VALU_DEP_2)
	s_and_saveexec_b32 s9, s0
	s_cbranch_execz .LBB466_2849
; %bb.2842:                             ;   in Loop: Header=BB466_2335 Depth=1
	v_lshrrev_b32_e32 v8, 24, v7
	v_bfrev_b32_e32 v6, 1
	s_mov_b32 s12, exec_lo
	s_delay_alu instid0(VALU_DEP_2)
	v_cmpx_ne_u32_e32 0x80, v8
	s_cbranch_execz .LBB466_2848
; %bb.2843:                             ;   in Loop: Header=BB466_2335 Depth=1
	v_bfe_u32 v7, v7, 24, 7
	v_mov_b32_e32 v6, 0x7f800001
	s_mov_b32 s13, exec_lo
	s_delay_alu instid0(VALU_DEP_2)
	v_cmpx_ne_u32_e32 0x7f, v7
	s_cbranch_execz .LBB466_2847
; %bb.2844:                             ;   in Loop: Header=BB466_2335 Depth=1
	v_and_b32_e32 v12, 7, v8
	v_lshrrev_b32_e32 v19, 3, v7
	v_cmp_gt_u32_e64 s0, 8, v7
	s_delay_alu instid0(VALU_DEP_3) | instskip(NEXT) | instid1(VALU_DEP_2)
	v_dual_mov_b32 v6, v12 :: v_dual_mov_b32 v7, v13
	s_and_saveexec_b32 s15, s0
; %bb.2845:                             ;   in Loop: Header=BB466_2335 Depth=1
	v_clz_i32_u32_e32 v6, v12
	s_delay_alu instid0(VALU_DEP_1) | instskip(NEXT) | instid1(VALU_DEP_1)
	v_min_u32_e32 v19, 32, v6
	v_subrev_nc_u32_e32 v6, 28, v19
	v_sub_nc_u32_e32 v19, 29, v19
	s_delay_alu instid0(VALU_DEP_2) | instskip(NEXT) | instid1(VALU_DEP_1)
	v_lshlrev_b64 v[6:7], v6, v[12:13]
	v_and_b32_e32 v6, 7, v6
; %bb.2846:                             ;   in Loop: Header=BB466_2335 Depth=1
	s_or_b32 exec_lo, exec_lo, s15
	v_lshlrev_b32_e32 v7, 24, v8
	s_delay_alu instid0(VALU_DEP_2) | instskip(SKIP_1) | instid1(VALU_DEP_3)
	v_lshlrev_b32_e32 v6, 20, v6
	v_lshl_add_u32 v8, v19, 23, 0x3c000000
	v_and_b32_e32 v7, 0x80000000, v7
	s_delay_alu instid0(VALU_DEP_1)
	v_or3_b32 v6, v6, v7, v8
.LBB466_2847:                           ;   in Loop: Header=BB466_2335 Depth=1
	s_or_b32 exec_lo, exec_lo, s13
.LBB466_2848:                           ;   in Loop: Header=BB466_2335 Depth=1
	s_delay_alu instid0(SALU_CYCLE_1)
	s_or_b32 exec_lo, exec_lo, s12
.LBB466_2849:                           ;   in Loop: Header=BB466_2335 Depth=1
	s_delay_alu instid0(SALU_CYCLE_1) | instskip(NEXT) | instid1(VALU_DEP_1)
	s_or_b32 exec_lo, exec_lo, s9
	v_mul_f32_e32 v6, v26, v6
                                        ; implicit-def: $vgpr19
	s_delay_alu instid0(VALU_DEP_1) | instskip(NEXT) | instid1(VALU_DEP_1)
	v_and_b32_e32 v7, 0x7f800000, v6
	v_cmp_ne_u32_e64 s0, 0x7f800000, v7
	s_delay_alu instid0(VALU_DEP_1) | instskip(NEXT) | instid1(SALU_CYCLE_1)
	s_and_saveexec_b32 s9, s0
	s_xor_b32 s0, exec_lo, s9
; %bb.2850:                             ;   in Loop: Header=BB466_2335 Depth=1
	v_bfe_u32 v7, v6, 16, 1
	s_delay_alu instid0(VALU_DEP_1)
	v_add3_u32 v19, v6, v7, 0x7fff
                                        ; implicit-def: $vgpr6
; %bb.2851:                             ;   in Loop: Header=BB466_2335 Depth=1
	s_and_not1_saveexec_b32 s9, s0
; %bb.2852:                             ;   in Loop: Header=BB466_2335 Depth=1
	v_and_b32_e32 v7, 0xffff, v6
	v_or_b32_e32 v8, 0x10000, v6
	s_delay_alu instid0(VALU_DEP_2) | instskip(NEXT) | instid1(VALU_DEP_1)
	v_cmp_eq_u32_e64 s0, 0, v7
	v_cndmask_b32_e64 v19, v8, v6, s0
; %bb.2853:                             ;   in Loop: Header=BB466_2335 Depth=1
	s_or_b32 exec_lo, exec_lo, s9
	v_lshrrev_b32_e32 v6, 16, v18
	v_lshrrev_b32_e32 v7, 16, v17
	;; [unrolled: 1-line block ×8, first 2 shown]
	s_and_saveexec_b32 s9, vcc_lo
	s_cbranch_execz .LBB466_2855
; %bb.2854:                             ;   in Loop: Header=BB466_2335 Depth=1
	v_cmp_lt_i32_e64 s0, v130, v36
	s_delay_alu instid0(VALU_DEP_1) | instskip(SKIP_1) | instid1(VALU_DEP_1)
	v_cndmask_b32_e64 v12, 0, v12, s0
	v_cmp_lt_i32_e64 s0, v133, v36
	v_cndmask_b32_e64 v11, 0, v11, s0
	v_cmp_lt_i32_e64 s0, v132, v36
	s_delay_alu instid0(VALU_DEP_1) | instskip(SKIP_1) | instid1(VALU_DEP_1)
	v_cndmask_b32_e64 v10, 0, v10, s0
	v_cmp_lt_i32_e64 s0, v131, v36
	v_cndmask_b32_e64 v8, 0, v8, s0
	;; [unrolled: 5-line block ×4, first 2 shown]
.LBB466_2855:                           ;   in Loop: Header=BB466_2335 Depth=1
	s_or_b32 exec_lo, exec_lo, s9
	v_lshlrev_b32_e32 v9, 16, v12
	s_delay_alu instid0(VALU_DEP_1) | instskip(NEXT) | instid1(VALU_DEP_1)
	v_mul_f32_e32 v9, v134, v9
	v_and_b32_e32 v12, 0x7f800000, v9
	s_delay_alu instid0(VALU_DEP_1) | instskip(NEXT) | instid1(VALU_DEP_1)
	v_cmp_ne_u32_e64 s0, 0x7f800000, v12
                                        ; implicit-def: $vgpr12
                                        ; kill: killed $vgpr12
	s_and_saveexec_b32 s9, s0
	s_delay_alu instid0(SALU_CYCLE_1)
	s_xor_b32 s0, exec_lo, s9
	s_cbranch_execz .LBB466_2857
; %bb.2856:                             ;   in Loop: Header=BB466_2335 Depth=1
	v_bfe_u32 v12, v9, 16, 1
	s_delay_alu instid0(VALU_DEP_1)
	v_add3_u32 v9, v9, v12, 0x7fff
	scratch_store_b32 off, v9, s32 offset:428 ; 4-byte Folded Spill
                                        ; implicit-def: $vgpr9
.LBB466_2857:                           ;   in Loop: Header=BB466_2335 Depth=1
	s_and_not1_saveexec_b32 s9, s0
	s_cbranch_execz .LBB466_2859
; %bb.2858:                             ;   in Loop: Header=BB466_2335 Depth=1
	v_and_b32_e32 v12, 0xffff, v9
	v_or_b32_e32 v17, 0x10000, v9
	s_delay_alu instid0(VALU_DEP_2) | instskip(NEXT) | instid1(VALU_DEP_1)
	v_cmp_eq_u32_e64 s0, 0, v12
	v_cndmask_b32_e64 v9, v17, v9, s0
	scratch_store_b32 off, v9, s32 offset:428 ; 4-byte Folded Spill
.LBB466_2859:                           ;   in Loop: Header=BB466_2335 Depth=1
	s_or_b32 exec_lo, exec_lo, s9
	v_lshlrev_b32_e32 v9, 16, v11
	s_delay_alu instid0(VALU_DEP_1) | instskip(NEXT) | instid1(VALU_DEP_1)
	v_mul_f32_e32 v9, v135, v9
	v_and_b32_e32 v11, 0x7f800000, v9
	s_delay_alu instid0(VALU_DEP_1) | instskip(NEXT) | instid1(VALU_DEP_1)
	v_cmp_ne_u32_e64 s0, 0x7f800000, v11
                                        ; implicit-def: $vgpr11
                                        ; kill: killed $vgpr11
	s_and_saveexec_b32 s9, s0
	s_delay_alu instid0(SALU_CYCLE_1)
	s_xor_b32 s0, exec_lo, s9
	s_cbranch_execz .LBB466_2861
; %bb.2860:                             ;   in Loop: Header=BB466_2335 Depth=1
	v_bfe_u32 v11, v9, 16, 1
	s_delay_alu instid0(VALU_DEP_1)
	v_add3_u32 v9, v9, v11, 0x7fff
	scratch_store_b32 off, v9, s32 offset:432 ; 4-byte Folded Spill
                                        ; implicit-def: $vgpr9
.LBB466_2861:                           ;   in Loop: Header=BB466_2335 Depth=1
	s_and_not1_saveexec_b32 s9, s0
	s_cbranch_execz .LBB466_2863
; %bb.2862:                             ;   in Loop: Header=BB466_2335 Depth=1
	v_and_b32_e32 v11, 0xffff, v9
	v_or_b32_e32 v12, 0x10000, v9
	s_delay_alu instid0(VALU_DEP_2) | instskip(NEXT) | instid1(VALU_DEP_1)
	v_cmp_eq_u32_e64 s0, 0, v11
	v_cndmask_b32_e64 v9, v12, v9, s0
	scratch_store_b32 off, v9, s32 offset:432 ; 4-byte Folded Spill
.LBB466_2863:                           ;   in Loop: Header=BB466_2335 Depth=1
	s_or_b32 exec_lo, exec_lo, s9
	v_lshlrev_b32_e32 v9, 16, v10
	s_delay_alu instid0(VALU_DEP_1) | instskip(NEXT) | instid1(VALU_DEP_1)
	v_mul_f32_e32 v9, v144, v9
	v_and_b32_e32 v10, 0x7f800000, v9
	s_delay_alu instid0(VALU_DEP_1) | instskip(NEXT) | instid1(VALU_DEP_1)
	v_cmp_ne_u32_e64 s0, 0x7f800000, v10
                                        ; implicit-def: $vgpr10
                                        ; kill: killed $vgpr10
	s_and_saveexec_b32 s9, s0
	s_delay_alu instid0(SALU_CYCLE_1)
	s_xor_b32 s0, exec_lo, s9
	s_cbranch_execz .LBB466_2865
; %bb.2864:                             ;   in Loop: Header=BB466_2335 Depth=1
	v_bfe_u32 v10, v9, 16, 1
	s_delay_alu instid0(VALU_DEP_1)
	v_add3_u32 v9, v9, v10, 0x7fff
	scratch_store_b32 off, v9, s32 offset:436 ; 4-byte Folded Spill
                                        ; implicit-def: $vgpr9
.LBB466_2865:                           ;   in Loop: Header=BB466_2335 Depth=1
	s_and_not1_saveexec_b32 s9, s0
	s_cbranch_execz .LBB466_2867
; %bb.2866:                             ;   in Loop: Header=BB466_2335 Depth=1
	v_and_b32_e32 v10, 0xffff, v9
	v_or_b32_e32 v11, 0x10000, v9
	s_delay_alu instid0(VALU_DEP_2) | instskip(NEXT) | instid1(VALU_DEP_1)
	v_cmp_eq_u32_e64 s0, 0, v10
	v_cndmask_b32_e64 v9, v11, v9, s0
	scratch_store_b32 off, v9, s32 offset:436 ; 4-byte Folded Spill
.LBB466_2867:                           ;   in Loop: Header=BB466_2335 Depth=1
	s_or_b32 exec_lo, exec_lo, s9
	v_lshlrev_b32_e32 v8, 16, v8
	s_delay_alu instid0(VALU_DEP_1) | instskip(NEXT) | instid1(VALU_DEP_1)
	v_mul_f32_e32 v8, v145, v8
	v_and_b32_e32 v9, 0x7f800000, v8
	s_delay_alu instid0(VALU_DEP_1) | instskip(NEXT) | instid1(VALU_DEP_1)
	v_cmp_ne_u32_e64 s0, 0x7f800000, v9
                                        ; implicit-def: $vgpr9
                                        ; kill: killed $vgpr9
	s_and_saveexec_b32 s9, s0
	s_delay_alu instid0(SALU_CYCLE_1)
	s_xor_b32 s0, exec_lo, s9
	s_cbranch_execz .LBB466_2869
; %bb.2868:                             ;   in Loop: Header=BB466_2335 Depth=1
	v_bfe_u32 v9, v8, 16, 1
	s_delay_alu instid0(VALU_DEP_1)
	v_add3_u32 v8, v8, v9, 0x7fff
	scratch_store_b32 off, v8, s32 offset:440 ; 4-byte Folded Spill
                                        ; implicit-def: $vgpr8
.LBB466_2869:                           ;   in Loop: Header=BB466_2335 Depth=1
	s_and_not1_saveexec_b32 s9, s0
	s_cbranch_execz .LBB466_2871
; %bb.2870:                             ;   in Loop: Header=BB466_2335 Depth=1
	v_and_b32_e32 v9, 0xffff, v8
	v_or_b32_e32 v10, 0x10000, v8
	s_delay_alu instid0(VALU_DEP_2) | instskip(NEXT) | instid1(VALU_DEP_1)
	v_cmp_eq_u32_e64 s0, 0, v9
	v_cndmask_b32_e64 v8, v10, v8, s0
	scratch_store_b32 off, v8, s32 offset:440 ; 4-byte Folded Spill
.LBB466_2871:                           ;   in Loop: Header=BB466_2335 Depth=1
	s_or_b32 exec_lo, exec_lo, s9
	v_lshlrev_b32_e32 v7, 16, v7
	s_delay_alu instid0(VALU_DEP_1) | instskip(NEXT) | instid1(VALU_DEP_1)
	v_mul_f32_e32 v7, v146, v7
	v_and_b32_e32 v8, 0x7f800000, v7
	s_delay_alu instid0(VALU_DEP_1) | instskip(NEXT) | instid1(VALU_DEP_1)
	v_cmp_ne_u32_e64 s0, 0x7f800000, v8
                                        ; implicit-def: $vgpr8
                                        ; kill: killed $vgpr8
	s_and_saveexec_b32 s9, s0
	s_delay_alu instid0(SALU_CYCLE_1)
	s_xor_b32 s0, exec_lo, s9
	s_cbranch_execz .LBB466_2873
; %bb.2872:                             ;   in Loop: Header=BB466_2335 Depth=1
	v_bfe_u32 v8, v7, 16, 1
	s_delay_alu instid0(VALU_DEP_1)
	v_add3_u32 v7, v7, v8, 0x7fff
	scratch_store_b32 off, v7, s32 offset:444 ; 4-byte Folded Spill
                                        ; implicit-def: $vgpr7
.LBB466_2873:                           ;   in Loop: Header=BB466_2335 Depth=1
	s_and_not1_saveexec_b32 s9, s0
	s_cbranch_execz .LBB466_2875
; %bb.2874:                             ;   in Loop: Header=BB466_2335 Depth=1
	v_and_b32_e32 v8, 0xffff, v7
	v_or_b32_e32 v9, 0x10000, v7
	s_delay_alu instid0(VALU_DEP_2) | instskip(NEXT) | instid1(VALU_DEP_1)
	v_cmp_eq_u32_e64 s0, 0, v8
	v_cndmask_b32_e64 v7, v9, v7, s0
	scratch_store_b32 off, v7, s32 offset:444 ; 4-byte Folded Spill
.LBB466_2875:                           ;   in Loop: Header=BB466_2335 Depth=1
	s_or_b32 exec_lo, exec_lo, s9
	v_lshlrev_b32_e32 v6, 16, v6
	s_delay_alu instid0(VALU_DEP_1) | instskip(NEXT) | instid1(VALU_DEP_1)
	v_mul_f32_e32 v6, v147, v6
	v_and_b32_e32 v7, 0x7f800000, v6
	s_delay_alu instid0(VALU_DEP_1) | instskip(NEXT) | instid1(VALU_DEP_1)
	v_cmp_ne_u32_e64 s0, 0x7f800000, v7
                                        ; implicit-def: $vgpr7
                                        ; kill: killed $vgpr7
	s_and_saveexec_b32 s9, s0
	s_delay_alu instid0(SALU_CYCLE_1)
	s_xor_b32 s0, exec_lo, s9
	s_cbranch_execz .LBB466_2877
; %bb.2876:                             ;   in Loop: Header=BB466_2335 Depth=1
	v_bfe_u32 v7, v6, 16, 1
	s_delay_alu instid0(VALU_DEP_1)
	v_add3_u32 v6, v6, v7, 0x7fff
	scratch_store_b32 off, v6, s32 offset:448 ; 4-byte Folded Spill
                                        ; implicit-def: $vgpr6
.LBB466_2877:                           ;   in Loop: Header=BB466_2335 Depth=1
	s_and_not1_saveexec_b32 s9, s0
	s_cbranch_execz .LBB466_2879
; %bb.2878:                             ;   in Loop: Header=BB466_2335 Depth=1
	v_and_b32_e32 v7, 0xffff, v6
	v_or_b32_e32 v8, 0x10000, v6
	s_delay_alu instid0(VALU_DEP_2) | instskip(NEXT) | instid1(VALU_DEP_1)
	v_cmp_eq_u32_e64 s0, 0, v7
	v_cndmask_b32_e64 v6, v8, v6, s0
	scratch_store_b32 off, v6, s32 offset:448 ; 4-byte Folded Spill
.LBB466_2879:                           ;   in Loop: Header=BB466_2335 Depth=1
	s_or_b32 exec_lo, exec_lo, s9
	v_lshlrev_b32_e32 v5, 16, v5
	s_delay_alu instid0(VALU_DEP_1) | instskip(NEXT) | instid1(VALU_DEP_1)
	v_mul_f32_e32 v5, v148, v5
	v_and_b32_e32 v6, 0x7f800000, v5
	s_delay_alu instid0(VALU_DEP_1) | instskip(NEXT) | instid1(VALU_DEP_1)
	v_cmp_ne_u32_e64 s0, 0x7f800000, v6
                                        ; implicit-def: $vgpr6
                                        ; kill: killed $vgpr6
	s_and_saveexec_b32 s9, s0
	s_delay_alu instid0(SALU_CYCLE_1)
	s_xor_b32 s0, exec_lo, s9
	s_cbranch_execz .LBB466_2881
; %bb.2880:                             ;   in Loop: Header=BB466_2335 Depth=1
	v_bfe_u32 v6, v5, 16, 1
	s_delay_alu instid0(VALU_DEP_1)
	v_add3_u32 v5, v5, v6, 0x7fff
	scratch_store_b32 off, v5, s32 offset:452 ; 4-byte Folded Spill
                                        ; implicit-def: $vgpr5
.LBB466_2881:                           ;   in Loop: Header=BB466_2335 Depth=1
	s_and_not1_saveexec_b32 s9, s0
	s_cbranch_execz .LBB466_2883
; %bb.2882:                             ;   in Loop: Header=BB466_2335 Depth=1
	v_and_b32_e32 v6, 0xffff, v5
	v_or_b32_e32 v7, 0x10000, v5
	s_delay_alu instid0(VALU_DEP_2) | instskip(NEXT) | instid1(VALU_DEP_1)
	v_cmp_eq_u32_e64 s0, 0, v6
	v_cndmask_b32_e64 v5, v7, v5, s0
	scratch_store_b32 off, v5, s32 offset:452 ; 4-byte Folded Spill
.LBB466_2883:                           ;   in Loop: Header=BB466_2335 Depth=1
	s_or_b32 exec_lo, exec_lo, s9
	v_lshlrev_b32_e32 v4, 16, v4
	s_delay_alu instid0(VALU_DEP_1) | instskip(NEXT) | instid1(VALU_DEP_1)
	v_mul_f32_e32 v4, v149, v4
	v_and_b32_e32 v5, 0x7f800000, v4
	s_delay_alu instid0(VALU_DEP_1) | instskip(NEXT) | instid1(VALU_DEP_1)
	v_cmp_ne_u32_e64 s0, 0x7f800000, v5
                                        ; implicit-def: $vgpr5
                                        ; kill: killed $vgpr5
	s_and_saveexec_b32 s9, s0
	s_delay_alu instid0(SALU_CYCLE_1)
	s_xor_b32 s0, exec_lo, s9
	s_cbranch_execz .LBB466_2885
; %bb.2884:                             ;   in Loop: Header=BB466_2335 Depth=1
	v_bfe_u32 v5, v4, 16, 1
	s_delay_alu instid0(VALU_DEP_1)
	v_add3_u32 v4, v4, v5, 0x7fff
	scratch_store_b32 off, v4, s32 offset:456 ; 4-byte Folded Spill
                                        ; implicit-def: $vgpr4
.LBB466_2885:                           ;   in Loop: Header=BB466_2335 Depth=1
	s_and_not1_saveexec_b32 s9, s0
	s_cbranch_execz .LBB466_2887
; %bb.2886:                             ;   in Loop: Header=BB466_2335 Depth=1
	v_and_b32_e32 v5, 0xffff, v4
	v_or_b32_e32 v6, 0x10000, v4
	s_delay_alu instid0(VALU_DEP_2) | instskip(NEXT) | instid1(VALU_DEP_1)
	v_cmp_eq_u32_e64 s0, 0, v5
	v_cndmask_b32_e64 v4, v6, v4, s0
	scratch_store_b32 off, v4, s32 offset:456 ; 4-byte Folded Spill
.LBB466_2887:                           ;   in Loop: Header=BB466_2335 Depth=1
	s_or_b32 exec_lo, exec_lo, s9
	flat_load_b64 v[6:7], v[2:3] offset:1024
	s_mov_b32 s9, exec_lo
	s_waitcnt vmcnt(0) lgkmcnt(0)
	v_dual_mov_b32 v4, 0 :: v_dual_and_b32 v5, 0xff, v6
	s_delay_alu instid0(VALU_DEP_1)
	v_cmpx_ne_u16_e32 0, v5
	s_cbranch_execz .LBB466_2895
; %bb.2888:                             ;   in Loop: Header=BB466_2335 Depth=1
	v_bfrev_b32_e32 v4, 1
	s_mov_b32 s12, exec_lo
	v_cmpx_ne_u16_e32 0x80, v5
	s_cbranch_execz .LBB466_2894
; %bb.2889:                             ;   in Loop: Header=BB466_2335 Depth=1
	v_and_b32_e32 v5, 0x7f, v6
	v_mov_b32_e32 v4, 0x7f800001
	s_mov_b32 s13, exec_lo
	s_delay_alu instid0(VALU_DEP_2)
	v_cmpx_ne_u32_e32 0x7f, v5
	s_cbranch_execz .LBB466_2893
; %bb.2890:                             ;   in Loop: Header=BB466_2335 Depth=1
	v_lshrrev_b32_e32 v4, 3, v5
	v_dual_mov_b32 v9, v7 :: v_dual_mov_b32 v8, v6
	s_mov_b32 s15, exec_lo
	v_cmpx_gt_u32_e32 8, v5
; %bb.2891:                             ;   in Loop: Header=BB466_2335 Depth=1
	v_and_b32_e32 v4, 7, v6
	s_delay_alu instid0(VALU_DEP_1) | instskip(NEXT) | instid1(VALU_DEP_1)
	v_clz_i32_u32_e32 v4, v4
	v_min_u32_e32 v4, 32, v4
	s_delay_alu instid0(VALU_DEP_1) | instskip(SKIP_1) | instid1(VALU_DEP_2)
	v_subrev_nc_u32_e32 v5, 28, v4
	v_sub_nc_u32_e32 v4, 29, v4
	v_lshlrev_b64 v[8:9], v5, v[6:7]
; %bb.2892:                             ;   in Loop: Header=BB466_2335 Depth=1
	s_or_b32 exec_lo, exec_lo, s15
	s_delay_alu instid0(VALU_DEP_1) | instskip(SKIP_2) | instid1(VALU_DEP_3)
	v_lshlrev_b32_e32 v5, 20, v8
	v_lshlrev_b32_e32 v8, 24, v6
	v_lshl_add_u32 v4, v4, 23, 0x3c000000
	v_and_b32_e32 v5, 0x700000, v5
	s_delay_alu instid0(VALU_DEP_3) | instskip(NEXT) | instid1(VALU_DEP_1)
	v_and_b32_e32 v8, 0x80000000, v8
	v_or3_b32 v4, v5, v8, v4
.LBB466_2893:                           ;   in Loop: Header=BB466_2335 Depth=1
	s_or_b32 exec_lo, exec_lo, s13
.LBB466_2894:                           ;   in Loop: Header=BB466_2335 Depth=1
	s_delay_alu instid0(SALU_CYCLE_1)
	s_or_b32 exec_lo, exec_lo, s12
.LBB466_2895:                           ;   in Loop: Header=BB466_2335 Depth=1
	s_delay_alu instid0(SALU_CYCLE_1) | instskip(NEXT) | instid1(VALU_DEP_1)
	s_or_b32 exec_lo, exec_lo, s9
	v_mul_f32_e32 v5, v26, v4
	s_delay_alu instid0(VALU_DEP_1) | instskip(NEXT) | instid1(VALU_DEP_1)
	v_and_b32_e32 v4, 0x7f800000, v5
	v_cmp_ne_u32_e64 s0, 0x7f800000, v4
                                        ; implicit-def: $vgpr4
	s_delay_alu instid0(VALU_DEP_1) | instskip(NEXT) | instid1(SALU_CYCLE_1)
	s_and_saveexec_b32 s9, s0
	s_xor_b32 s0, exec_lo, s9
; %bb.2896:                             ;   in Loop: Header=BB466_2335 Depth=1
	v_bfe_u32 v4, v5, 16, 1
	s_delay_alu instid0(VALU_DEP_1)
	v_add3_u32 v4, v5, v4, 0x7fff
                                        ; implicit-def: $vgpr5
; %bb.2897:                             ;   in Loop: Header=BB466_2335 Depth=1
	s_and_not1_saveexec_b32 s9, s0
; %bb.2898:                             ;   in Loop: Header=BB466_2335 Depth=1
	v_and_b32_e32 v4, 0xffff, v5
	v_or_b32_e32 v8, 0x10000, v5
	s_delay_alu instid0(VALU_DEP_2) | instskip(NEXT) | instid1(VALU_DEP_1)
	v_cmp_eq_u32_e64 s0, 0, v4
	v_cndmask_b32_e64 v4, v8, v5, s0
; %bb.2899:                             ;   in Loop: Header=BB466_2335 Depth=1
	s_or_b32 exec_lo, exec_lo, s9
	v_lshrrev_b16 v8, 8, v6
	v_mov_b32_e32 v5, 0
	s_mov_b32 s9, exec_lo
	s_delay_alu instid0(VALU_DEP_2)
	v_cmpx_ne_u16_e32 0, v8
	s_cbranch_execz .LBB466_2907
; %bb.2900:                             ;   in Loop: Header=BB466_2335 Depth=1
	v_bfrev_b32_e32 v5, 1
	s_mov_b32 s12, exec_lo
	v_cmpx_ne_u16_e32 0x80, v8
	s_cbranch_execz .LBB466_2906
; %bb.2901:                             ;   in Loop: Header=BB466_2335 Depth=1
	v_and_b32_e32 v9, 0xffff, v8
	v_mov_b32_e32 v5, 0x7f800001
	s_mov_b32 s13, exec_lo
	s_delay_alu instid0(VALU_DEP_2) | instskip(NEXT) | instid1(VALU_DEP_1)
	v_and_b32_e32 v8, 0x7f, v9
	v_cmpx_ne_u32_e32 0x7f, v8
	s_cbranch_execz .LBB466_2905
; %bb.2902:                             ;   in Loop: Header=BB466_2335 Depth=1
	v_and_b32_e32 v12, 7, v9
	v_lshrrev_b32_e32 v5, 3, v8
	v_cmp_gt_u32_e64 s0, 8, v8
	s_delay_alu instid0(VALU_DEP_3) | instskip(NEXT) | instid1(VALU_DEP_2)
	v_dual_mov_b32 v8, v12 :: v_dual_mov_b32 v9, v13
	s_and_saveexec_b32 s15, s0
; %bb.2903:                             ;   in Loop: Header=BB466_2335 Depth=1
	v_clz_i32_u32_e32 v5, v12
	s_delay_alu instid0(VALU_DEP_1) | instskip(NEXT) | instid1(VALU_DEP_1)
	v_min_u32_e32 v5, 32, v5
	v_subrev_nc_u32_e32 v8, 28, v5
	v_sub_nc_u32_e32 v5, 29, v5
	s_delay_alu instid0(VALU_DEP_2) | instskip(NEXT) | instid1(VALU_DEP_1)
	v_lshlrev_b64 v[8:9], v8, v[12:13]
	v_and_b32_e32 v8, 7, v8
; %bb.2904:                             ;   in Loop: Header=BB466_2335 Depth=1
	s_or_b32 exec_lo, exec_lo, s15
	v_lshlrev_b32_e32 v9, 16, v6
	s_delay_alu instid0(VALU_DEP_2) | instskip(SKIP_1) | instid1(VALU_DEP_3)
	v_lshlrev_b32_e32 v8, 20, v8
	v_lshl_add_u32 v5, v5, 23, 0x3c000000
	v_and_b32_e32 v9, 0x80000000, v9
	s_delay_alu instid0(VALU_DEP_1)
	v_or3_b32 v5, v8, v9, v5
.LBB466_2905:                           ;   in Loop: Header=BB466_2335 Depth=1
	s_or_b32 exec_lo, exec_lo, s13
.LBB466_2906:                           ;   in Loop: Header=BB466_2335 Depth=1
	s_delay_alu instid0(SALU_CYCLE_1)
	s_or_b32 exec_lo, exec_lo, s12
.LBB466_2907:                           ;   in Loop: Header=BB466_2335 Depth=1
	s_delay_alu instid0(SALU_CYCLE_1) | instskip(NEXT) | instid1(VALU_DEP_1)
	s_or_b32 exec_lo, exec_lo, s9
	v_mul_f32_e32 v8, v26, v5
	s_delay_alu instid0(VALU_DEP_1) | instskip(NEXT) | instid1(VALU_DEP_1)
	v_and_b32_e32 v5, 0x7f800000, v8
	v_cmp_ne_u32_e64 s0, 0x7f800000, v5
                                        ; implicit-def: $vgpr5
	s_delay_alu instid0(VALU_DEP_1) | instskip(NEXT) | instid1(SALU_CYCLE_1)
	s_and_saveexec_b32 s9, s0
	s_xor_b32 s0, exec_lo, s9
; %bb.2908:                             ;   in Loop: Header=BB466_2335 Depth=1
	v_bfe_u32 v5, v8, 16, 1
	s_delay_alu instid0(VALU_DEP_1)
	v_add3_u32 v5, v8, v5, 0x7fff
                                        ; implicit-def: $vgpr8
; %bb.2909:                             ;   in Loop: Header=BB466_2335 Depth=1
	s_and_not1_saveexec_b32 s9, s0
; %bb.2910:                             ;   in Loop: Header=BB466_2335 Depth=1
	v_and_b32_e32 v5, 0xffff, v8
	v_or_b32_e32 v9, 0x10000, v8
	s_delay_alu instid0(VALU_DEP_2) | instskip(NEXT) | instid1(VALU_DEP_1)
	v_cmp_eq_u32_e64 s0, 0, v5
	v_cndmask_b32_e64 v5, v9, v8, s0
; %bb.2911:                             ;   in Loop: Header=BB466_2335 Depth=1
	s_or_b32 exec_lo, exec_lo, s9
	v_lshrrev_b32_e32 v10, 16, v6
	s_mov_b32 s9, exec_lo
	s_delay_alu instid0(VALU_DEP_1) | instskip(NEXT) | instid1(VALU_DEP_1)
	v_dual_mov_b32 v8, 0 :: v_dual_and_b32 v9, 0xff, v10
	v_cmpx_ne_u16_e32 0, v9
	s_cbranch_execz .LBB466_2919
; %bb.2912:                             ;   in Loop: Header=BB466_2335 Depth=1
	v_bfrev_b32_e32 v8, 1
	s_mov_b32 s12, exec_lo
	v_cmpx_ne_u16_e32 0x80, v9
	s_cbranch_execz .LBB466_2918
; %bb.2913:                             ;   in Loop: Header=BB466_2335 Depth=1
	v_bfe_u32 v9, v6, 16, 7
	v_mov_b32_e32 v8, 0x7f800001
	s_mov_b32 s13, exec_lo
	s_delay_alu instid0(VALU_DEP_2)
	v_cmpx_ne_u32_e32 0x7f, v9
	s_cbranch_execz .LBB466_2917
; %bb.2914:                             ;   in Loop: Header=BB466_2335 Depth=1
	v_and_b32_e32 v12, 7, v10
	v_lshrrev_b32_e32 v11, 3, v9
	v_cmp_gt_u32_e64 s0, 8, v9
	s_delay_alu instid0(VALU_DEP_3) | instskip(NEXT) | instid1(VALU_DEP_2)
	v_dual_mov_b32 v8, v12 :: v_dual_mov_b32 v9, v13
	s_and_saveexec_b32 s15, s0
; %bb.2915:                             ;   in Loop: Header=BB466_2335 Depth=1
	v_clz_i32_u32_e32 v8, v12
	s_delay_alu instid0(VALU_DEP_1) | instskip(NEXT) | instid1(VALU_DEP_1)
	v_min_u32_e32 v11, 32, v8
	v_subrev_nc_u32_e32 v8, 28, v11
	v_sub_nc_u32_e32 v11, 29, v11
	s_delay_alu instid0(VALU_DEP_2) | instskip(NEXT) | instid1(VALU_DEP_1)
	v_lshlrev_b64 v[8:9], v8, v[12:13]
	v_and_b32_e32 v8, 7, v8
; %bb.2916:                             ;   in Loop: Header=BB466_2335 Depth=1
	s_or_b32 exec_lo, exec_lo, s15
	v_lshlrev_b32_e32 v9, 24, v10
	s_delay_alu instid0(VALU_DEP_2) | instskip(SKIP_1) | instid1(VALU_DEP_3)
	v_lshlrev_b32_e32 v8, 20, v8
	v_lshl_add_u32 v10, v11, 23, 0x3c000000
	v_and_b32_e32 v9, 0x80000000, v9
	s_delay_alu instid0(VALU_DEP_1)
	v_or3_b32 v8, v8, v9, v10
.LBB466_2917:                           ;   in Loop: Header=BB466_2335 Depth=1
	s_or_b32 exec_lo, exec_lo, s13
.LBB466_2918:                           ;   in Loop: Header=BB466_2335 Depth=1
	s_delay_alu instid0(SALU_CYCLE_1)
	s_or_b32 exec_lo, exec_lo, s12
.LBB466_2919:                           ;   in Loop: Header=BB466_2335 Depth=1
	s_delay_alu instid0(SALU_CYCLE_1) | instskip(NEXT) | instid1(VALU_DEP_1)
	s_or_b32 exec_lo, exec_lo, s9
	v_mul_f32_e32 v8, v26, v8
                                        ; implicit-def: $vgpr10
	s_delay_alu instid0(VALU_DEP_1) | instskip(NEXT) | instid1(VALU_DEP_1)
	v_and_b32_e32 v9, 0x7f800000, v8
	v_cmp_ne_u32_e64 s0, 0x7f800000, v9
	s_delay_alu instid0(VALU_DEP_1) | instskip(NEXT) | instid1(SALU_CYCLE_1)
	s_and_saveexec_b32 s9, s0
	s_xor_b32 s0, exec_lo, s9
; %bb.2920:                             ;   in Loop: Header=BB466_2335 Depth=1
	v_bfe_u32 v9, v8, 16, 1
	s_delay_alu instid0(VALU_DEP_1)
	v_add3_u32 v10, v8, v9, 0x7fff
                                        ; implicit-def: $vgpr8
; %bb.2921:                             ;   in Loop: Header=BB466_2335 Depth=1
	s_and_not1_saveexec_b32 s9, s0
; %bb.2922:                             ;   in Loop: Header=BB466_2335 Depth=1
	v_and_b32_e32 v9, 0xffff, v8
	v_or_b32_e32 v10, 0x10000, v8
	s_delay_alu instid0(VALU_DEP_2) | instskip(NEXT) | instid1(VALU_DEP_1)
	v_cmp_eq_u32_e64 s0, 0, v9
	v_cndmask_b32_e64 v10, v10, v8, s0
; %bb.2923:                             ;   in Loop: Header=BB466_2335 Depth=1
	s_or_b32 exec_lo, exec_lo, s9
	v_mov_b32_e32 v8, 0
	s_mov_b32 s9, exec_lo
	v_cmpx_lt_u32_e32 0xffffff, v6
	s_cbranch_execz .LBB466_2931
; %bb.2924:                             ;   in Loop: Header=BB466_2335 Depth=1
	v_lshrrev_b32_e32 v11, 24, v6
	v_bfrev_b32_e32 v8, 1
	s_mov_b32 s12, exec_lo
	s_delay_alu instid0(VALU_DEP_2)
	v_cmpx_ne_u32_e32 0x80, v11
	s_cbranch_execz .LBB466_2930
; %bb.2925:                             ;   in Loop: Header=BB466_2335 Depth=1
	v_bfe_u32 v9, v6, 24, 7
	v_mov_b32_e32 v8, 0x7f800001
	s_mov_b32 s13, exec_lo
	s_delay_alu instid0(VALU_DEP_2)
	v_cmpx_ne_u32_e32 0x7f, v9
	s_cbranch_execz .LBB466_2929
; %bb.2926:                             ;   in Loop: Header=BB466_2335 Depth=1
	v_and_b32_e32 v12, 7, v11
	v_lshrrev_b32_e32 v17, 3, v9
	v_cmp_gt_u32_e64 s0, 8, v9
	s_delay_alu instid0(VALU_DEP_3) | instskip(NEXT) | instid1(VALU_DEP_2)
	v_dual_mov_b32 v8, v12 :: v_dual_mov_b32 v9, v13
	s_and_saveexec_b32 s15, s0
; %bb.2927:                             ;   in Loop: Header=BB466_2335 Depth=1
	v_clz_i32_u32_e32 v8, v12
	s_delay_alu instid0(VALU_DEP_1) | instskip(NEXT) | instid1(VALU_DEP_1)
	v_min_u32_e32 v17, 32, v8
	v_subrev_nc_u32_e32 v8, 28, v17
	v_sub_nc_u32_e32 v17, 29, v17
	s_delay_alu instid0(VALU_DEP_2) | instskip(NEXT) | instid1(VALU_DEP_1)
	v_lshlrev_b64 v[8:9], v8, v[12:13]
	v_and_b32_e32 v8, 7, v8
; %bb.2928:                             ;   in Loop: Header=BB466_2335 Depth=1
	s_or_b32 exec_lo, exec_lo, s15
	v_lshlrev_b32_e32 v9, 24, v11
	s_delay_alu instid0(VALU_DEP_2) | instskip(SKIP_1) | instid1(VALU_DEP_3)
	v_lshlrev_b32_e32 v8, 20, v8
	v_lshl_add_u32 v11, v17, 23, 0x3c000000
	v_and_b32_e32 v9, 0x80000000, v9
	s_delay_alu instid0(VALU_DEP_1)
	v_or3_b32 v8, v8, v9, v11
.LBB466_2929:                           ;   in Loop: Header=BB466_2335 Depth=1
	s_or_b32 exec_lo, exec_lo, s13
.LBB466_2930:                           ;   in Loop: Header=BB466_2335 Depth=1
	s_delay_alu instid0(SALU_CYCLE_1)
	s_or_b32 exec_lo, exec_lo, s12
.LBB466_2931:                           ;   in Loop: Header=BB466_2335 Depth=1
	s_delay_alu instid0(SALU_CYCLE_1) | instskip(NEXT) | instid1(VALU_DEP_1)
	s_or_b32 exec_lo, exec_lo, s9
	v_mul_f32_e32 v8, v26, v8
                                        ; implicit-def: $vgpr11
	s_delay_alu instid0(VALU_DEP_1) | instskip(NEXT) | instid1(VALU_DEP_1)
	v_and_b32_e32 v9, 0x7f800000, v8
	v_cmp_ne_u32_e64 s0, 0x7f800000, v9
	s_delay_alu instid0(VALU_DEP_1) | instskip(NEXT) | instid1(SALU_CYCLE_1)
	s_and_saveexec_b32 s9, s0
	s_xor_b32 s0, exec_lo, s9
; %bb.2932:                             ;   in Loop: Header=BB466_2335 Depth=1
	v_bfe_u32 v9, v8, 16, 1
	s_delay_alu instid0(VALU_DEP_1)
	v_add3_u32 v11, v8, v9, 0x7fff
                                        ; implicit-def: $vgpr8
; %bb.2933:                             ;   in Loop: Header=BB466_2335 Depth=1
	s_and_not1_saveexec_b32 s9, s0
; %bb.2934:                             ;   in Loop: Header=BB466_2335 Depth=1
	v_and_b32_e32 v9, 0xffff, v8
	v_or_b32_e32 v11, 0x10000, v8
	s_delay_alu instid0(VALU_DEP_2) | instskip(NEXT) | instid1(VALU_DEP_1)
	v_cmp_eq_u32_e64 s0, 0, v9
	v_cndmask_b32_e64 v11, v11, v8, s0
; %bb.2935:                             ;   in Loop: Header=BB466_2335 Depth=1
	s_or_b32 exec_lo, exec_lo, s9
	v_dual_mov_b32 v12, v7 :: v_dual_and_b32 v9, 0xff, v7
	v_mov_b32_e32 v8, 0
	s_mov_b32 s9, exec_lo
	s_delay_alu instid0(VALU_DEP_2)
	v_cmpx_ne_u16_e32 0, v9
	s_cbranch_execz .LBB466_2943
; %bb.2936:                             ;   in Loop: Header=BB466_2335 Depth=1
	v_bfrev_b32_e32 v8, 1
	s_mov_b32 s12, exec_lo
	v_cmpx_ne_u16_e32 0x80, v9
	s_cbranch_execz .LBB466_2942
; %bb.2937:                             ;   in Loop: Header=BB466_2335 Depth=1
	v_and_b32_e32 v9, 0x7f, v7
	v_mov_b32_e32 v8, 0x7f800001
	s_mov_b32 s13, exec_lo
	s_delay_alu instid0(VALU_DEP_2)
	v_cmpx_ne_u32_e32 0x7f, v9
	s_cbranch_execz .LBB466_2941
; %bb.2938:                             ;   in Loop: Header=BB466_2335 Depth=1
	v_lshrrev_b32_e32 v17, 3, v9
	v_cmp_gt_u32_e64 s0, 8, v9
	v_dual_mov_b32 v8, v12 :: v_dual_mov_b32 v9, v13
	s_delay_alu instid0(VALU_DEP_2)
	s_and_saveexec_b32 s15, s0
; %bb.2939:                             ;   in Loop: Header=BB466_2335 Depth=1
	v_and_b32_e32 v8, 7, v7
	s_delay_alu instid0(VALU_DEP_1) | instskip(NEXT) | instid1(VALU_DEP_1)
	v_clz_i32_u32_e32 v8, v8
	v_min_u32_e32 v17, 32, v8
	s_delay_alu instid0(VALU_DEP_1) | instskip(SKIP_1) | instid1(VALU_DEP_2)
	v_subrev_nc_u32_e32 v8, 28, v17
	v_sub_nc_u32_e32 v17, 29, v17
	v_lshlrev_b64 v[8:9], v8, v[12:13]
; %bb.2940:                             ;   in Loop: Header=BB466_2335 Depth=1
	s_or_b32 exec_lo, exec_lo, s15
	s_delay_alu instid0(VALU_DEP_1) | instskip(SKIP_2) | instid1(VALU_DEP_3)
	v_lshlrev_b32_e32 v8, 20, v8
	v_lshlrev_b32_e32 v9, 24, v12
	v_lshl_add_u32 v17, v17, 23, 0x3c000000
	v_and_b32_e32 v8, 0x700000, v8
	s_delay_alu instid0(VALU_DEP_3) | instskip(NEXT) | instid1(VALU_DEP_1)
	v_and_b32_e32 v9, 0x80000000, v9
	v_or3_b32 v8, v8, v9, v17
.LBB466_2941:                           ;   in Loop: Header=BB466_2335 Depth=1
	s_or_b32 exec_lo, exec_lo, s13
.LBB466_2942:                           ;   in Loop: Header=BB466_2335 Depth=1
	s_delay_alu instid0(SALU_CYCLE_1)
	s_or_b32 exec_lo, exec_lo, s12
.LBB466_2943:                           ;   in Loop: Header=BB466_2335 Depth=1
	s_delay_alu instid0(SALU_CYCLE_1) | instskip(NEXT) | instid1(VALU_DEP_1)
	s_or_b32 exec_lo, exec_lo, s9
	v_mul_f32_e32 v8, v26, v8
                                        ; implicit-def: $vgpr17
	s_delay_alu instid0(VALU_DEP_1) | instskip(NEXT) | instid1(VALU_DEP_1)
	v_and_b32_e32 v9, 0x7f800000, v8
	v_cmp_ne_u32_e64 s0, 0x7f800000, v9
	s_delay_alu instid0(VALU_DEP_1) | instskip(NEXT) | instid1(SALU_CYCLE_1)
	s_and_saveexec_b32 s9, s0
	s_xor_b32 s0, exec_lo, s9
; %bb.2944:                             ;   in Loop: Header=BB466_2335 Depth=1
	v_bfe_u32 v9, v8, 16, 1
	s_delay_alu instid0(VALU_DEP_1)
	v_add3_u32 v17, v8, v9, 0x7fff
                                        ; implicit-def: $vgpr8
; %bb.2945:                             ;   in Loop: Header=BB466_2335 Depth=1
	s_and_not1_saveexec_b32 s9, s0
; %bb.2946:                             ;   in Loop: Header=BB466_2335 Depth=1
	v_and_b32_e32 v9, 0xffff, v8
	v_or_b32_e32 v17, 0x10000, v8
	s_delay_alu instid0(VALU_DEP_2) | instskip(NEXT) | instid1(VALU_DEP_1)
	v_cmp_eq_u32_e64 s0, 0, v9
	v_cndmask_b32_e64 v17, v17, v8, s0
; %bb.2947:                             ;   in Loop: Header=BB466_2335 Depth=1
	s_or_b32 exec_lo, exec_lo, s9
	v_lshrrev_b16 v9, 8, v12
	v_mov_b32_e32 v8, 0
	s_mov_b32 s9, exec_lo
	s_delay_alu instid0(VALU_DEP_2)
	v_cmpx_ne_u16_e32 0, v9
	s_cbranch_execz .LBB466_2955
; %bb.2948:                             ;   in Loop: Header=BB466_2335 Depth=1
	v_bfrev_b32_e32 v8, 1
	s_mov_b32 s12, exec_lo
	v_cmpx_ne_u16_e32 0x80, v9
	s_cbranch_execz .LBB466_2954
; %bb.2949:                             ;   in Loop: Header=BB466_2335 Depth=1
	v_and_b32_e32 v9, 0xffff, v9
	v_mov_b32_e32 v8, 0x7f800001
	s_mov_b32 s13, exec_lo
	s_delay_alu instid0(VALU_DEP_2) | instskip(NEXT) | instid1(VALU_DEP_1)
	v_and_b32_e32 v19, 0x7f, v9
	v_cmpx_ne_u32_e32 0x7f, v19
	s_cbranch_execz .LBB466_2953
; %bb.2950:                             ;   in Loop: Header=BB466_2335 Depth=1
	v_dual_mov_b32 v9, v13 :: v_dual_and_b32 v8, 7, v9
	v_lshrrev_b32_e32 v18, 3, v19
	s_mov_b32 s15, exec_lo
	v_cmpx_gt_u32_e32 8, v19
; %bb.2951:                             ;   in Loop: Header=BB466_2335 Depth=1
	s_delay_alu instid0(VALU_DEP_3) | instskip(NEXT) | instid1(VALU_DEP_1)
	v_clz_i32_u32_e32 v18, v8
	v_min_u32_e32 v18, 32, v18
	s_delay_alu instid0(VALU_DEP_1) | instskip(SKIP_1) | instid1(VALU_DEP_2)
	v_subrev_nc_u32_e32 v19, 28, v18
	v_sub_nc_u32_e32 v18, 29, v18
	v_lshlrev_b64 v[8:9], v19, v[8:9]
	s_delay_alu instid0(VALU_DEP_1)
	v_and_b32_e32 v8, 7, v8
; %bb.2952:                             ;   in Loop: Header=BB466_2335 Depth=1
	s_or_b32 exec_lo, exec_lo, s15
	v_lshlrev_b32_e32 v9, 16, v12
	s_delay_alu instid0(VALU_DEP_2) | instskip(SKIP_1) | instid1(VALU_DEP_3)
	v_lshlrev_b32_e32 v8, 20, v8
	v_lshl_add_u32 v12, v18, 23, 0x3c000000
	v_and_b32_e32 v9, 0x80000000, v9
	s_delay_alu instid0(VALU_DEP_1)
	v_or3_b32 v8, v8, v9, v12
.LBB466_2953:                           ;   in Loop: Header=BB466_2335 Depth=1
	s_or_b32 exec_lo, exec_lo, s13
.LBB466_2954:                           ;   in Loop: Header=BB466_2335 Depth=1
	s_delay_alu instid0(SALU_CYCLE_1)
	s_or_b32 exec_lo, exec_lo, s12
.LBB466_2955:                           ;   in Loop: Header=BB466_2335 Depth=1
	s_delay_alu instid0(SALU_CYCLE_1) | instskip(NEXT) | instid1(VALU_DEP_1)
	s_or_b32 exec_lo, exec_lo, s9
	v_mul_f32_e32 v8, v26, v8
                                        ; implicit-def: $vgpr18
	s_delay_alu instid0(VALU_DEP_1) | instskip(NEXT) | instid1(VALU_DEP_1)
	v_and_b32_e32 v9, 0x7f800000, v8
	v_cmp_ne_u32_e64 s0, 0x7f800000, v9
	s_delay_alu instid0(VALU_DEP_1) | instskip(NEXT) | instid1(SALU_CYCLE_1)
	s_and_saveexec_b32 s9, s0
	s_xor_b32 s0, exec_lo, s9
; %bb.2956:                             ;   in Loop: Header=BB466_2335 Depth=1
	v_bfe_u32 v9, v8, 16, 1
	s_delay_alu instid0(VALU_DEP_1)
	v_add3_u32 v18, v8, v9, 0x7fff
                                        ; implicit-def: $vgpr8
; %bb.2957:                             ;   in Loop: Header=BB466_2335 Depth=1
	s_and_not1_saveexec_b32 s9, s0
; %bb.2958:                             ;   in Loop: Header=BB466_2335 Depth=1
	v_and_b32_e32 v9, 0xffff, v8
	v_or_b32_e32 v12, 0x10000, v8
	s_delay_alu instid0(VALU_DEP_2) | instskip(NEXT) | instid1(VALU_DEP_1)
	v_cmp_eq_u32_e64 s0, 0, v9
	v_cndmask_b32_e64 v18, v12, v8, s0
; %bb.2959:                             ;   in Loop: Header=BB466_2335 Depth=1
	s_or_b32 exec_lo, exec_lo, s9
	v_lshrrev_b32_e32 v19, 16, v7
	s_mov_b32 s9, exec_lo
	s_delay_alu instid0(VALU_DEP_1) | instskip(NEXT) | instid1(VALU_DEP_1)
	v_dual_mov_b32 v8, 0 :: v_dual_and_b32 v9, 0xff, v19
	v_cmpx_ne_u16_e32 0, v9
	s_cbranch_execz .LBB466_2967
; %bb.2960:                             ;   in Loop: Header=BB466_2335 Depth=1
	v_bfrev_b32_e32 v8, 1
	s_mov_b32 s12, exec_lo
	v_cmpx_ne_u16_e32 0x80, v9
	s_cbranch_execz .LBB466_2966
; %bb.2961:                             ;   in Loop: Header=BB466_2335 Depth=1
	v_bfe_u32 v9, v7, 16, 7
	v_mov_b32_e32 v8, 0x7f800001
	s_mov_b32 s13, exec_lo
	s_delay_alu instid0(VALU_DEP_2)
	v_cmpx_ne_u32_e32 0x7f, v9
	s_cbranch_execz .LBB466_2965
; %bb.2962:                             ;   in Loop: Header=BB466_2335 Depth=1
	v_and_b32_e32 v12, 7, v19
	v_lshrrev_b32_e32 v20, 3, v9
	v_cmp_gt_u32_e64 s0, 8, v9
	s_delay_alu instid0(VALU_DEP_3) | instskip(NEXT) | instid1(VALU_DEP_2)
	v_dual_mov_b32 v8, v12 :: v_dual_mov_b32 v9, v13
	s_and_saveexec_b32 s15, s0
; %bb.2963:                             ;   in Loop: Header=BB466_2335 Depth=1
	v_clz_i32_u32_e32 v8, v12
	s_delay_alu instid0(VALU_DEP_1) | instskip(NEXT) | instid1(VALU_DEP_1)
	v_min_u32_e32 v20, 32, v8
	v_subrev_nc_u32_e32 v8, 28, v20
	v_sub_nc_u32_e32 v20, 29, v20
	s_delay_alu instid0(VALU_DEP_2) | instskip(NEXT) | instid1(VALU_DEP_1)
	v_lshlrev_b64 v[8:9], v8, v[12:13]
	v_and_b32_e32 v8, 7, v8
; %bb.2964:                             ;   in Loop: Header=BB466_2335 Depth=1
	s_or_b32 exec_lo, exec_lo, s15
	v_lshlrev_b32_e32 v9, 24, v19
	s_delay_alu instid0(VALU_DEP_2) | instskip(SKIP_1) | instid1(VALU_DEP_3)
	v_lshlrev_b32_e32 v8, 20, v8
	v_lshl_add_u32 v12, v20, 23, 0x3c000000
	v_and_b32_e32 v9, 0x80000000, v9
	s_delay_alu instid0(VALU_DEP_1)
	v_or3_b32 v8, v8, v9, v12
.LBB466_2965:                           ;   in Loop: Header=BB466_2335 Depth=1
	s_or_b32 exec_lo, exec_lo, s13
.LBB466_2966:                           ;   in Loop: Header=BB466_2335 Depth=1
	s_delay_alu instid0(SALU_CYCLE_1)
	s_or_b32 exec_lo, exec_lo, s12
.LBB466_2967:                           ;   in Loop: Header=BB466_2335 Depth=1
	s_delay_alu instid0(SALU_CYCLE_1) | instskip(NEXT) | instid1(VALU_DEP_1)
	s_or_b32 exec_lo, exec_lo, s9
	v_mul_f32_e32 v8, v26, v8
	s_delay_alu instid0(VALU_DEP_1) | instskip(NEXT) | instid1(VALU_DEP_1)
	v_and_b32_e32 v9, 0x7f800000, v8
	v_cmp_ne_u32_e64 s0, 0x7f800000, v9
                                        ; implicit-def: $vgpr9
	s_delay_alu instid0(VALU_DEP_1) | instskip(NEXT) | instid1(SALU_CYCLE_1)
	s_and_saveexec_b32 s9, s0
	s_xor_b32 s0, exec_lo, s9
; %bb.2968:                             ;   in Loop: Header=BB466_2335 Depth=1
	v_bfe_u32 v9, v8, 16, 1
	s_delay_alu instid0(VALU_DEP_1)
	v_add3_u32 v9, v8, v9, 0x7fff
                                        ; implicit-def: $vgpr8
; %bb.2969:                             ;   in Loop: Header=BB466_2335 Depth=1
	s_and_not1_saveexec_b32 s9, s0
; %bb.2970:                             ;   in Loop: Header=BB466_2335 Depth=1
	v_and_b32_e32 v9, 0xffff, v8
	v_or_b32_e32 v12, 0x10000, v8
	s_delay_alu instid0(VALU_DEP_2) | instskip(NEXT) | instid1(VALU_DEP_1)
	v_cmp_eq_u32_e64 s0, 0, v9
	v_cndmask_b32_e64 v9, v12, v8, s0
; %bb.2971:                             ;   in Loop: Header=BB466_2335 Depth=1
	s_or_b32 exec_lo, exec_lo, s9
	v_cmp_lt_u64_e64 s0, s[2:3], v[6:7]
	v_mov_b32_e32 v6, 0
	s_delay_alu instid0(VALU_DEP_2)
	s_and_saveexec_b32 s9, s0
	s_cbranch_execz .LBB466_2979
; %bb.2972:                             ;   in Loop: Header=BB466_2335 Depth=1
	v_lshrrev_b32_e32 v8, 24, v7
	v_bfrev_b32_e32 v6, 1
	s_mov_b32 s12, exec_lo
	s_delay_alu instid0(VALU_DEP_2)
	v_cmpx_ne_u32_e32 0x80, v8
	s_cbranch_execz .LBB466_2978
; %bb.2973:                             ;   in Loop: Header=BB466_2335 Depth=1
	v_bfe_u32 v7, v7, 24, 7
	v_mov_b32_e32 v6, 0x7f800001
	s_mov_b32 s13, exec_lo
	s_delay_alu instid0(VALU_DEP_2)
	v_cmpx_ne_u32_e32 0x7f, v7
	s_cbranch_execz .LBB466_2977
; %bb.2974:                             ;   in Loop: Header=BB466_2335 Depth=1
	v_and_b32_e32 v12, 7, v8
	v_lshrrev_b32_e32 v19, 3, v7
	v_cmp_gt_u32_e64 s0, 8, v7
	s_delay_alu instid0(VALU_DEP_3) | instskip(NEXT) | instid1(VALU_DEP_2)
	v_dual_mov_b32 v6, v12 :: v_dual_mov_b32 v7, v13
	s_and_saveexec_b32 s15, s0
; %bb.2975:                             ;   in Loop: Header=BB466_2335 Depth=1
	v_clz_i32_u32_e32 v6, v12
	s_delay_alu instid0(VALU_DEP_1) | instskip(NEXT) | instid1(VALU_DEP_1)
	v_min_u32_e32 v19, 32, v6
	v_subrev_nc_u32_e32 v6, 28, v19
	v_sub_nc_u32_e32 v19, 29, v19
	s_delay_alu instid0(VALU_DEP_2) | instskip(NEXT) | instid1(VALU_DEP_1)
	v_lshlrev_b64 v[6:7], v6, v[12:13]
	v_and_b32_e32 v6, 7, v6
; %bb.2976:                             ;   in Loop: Header=BB466_2335 Depth=1
	s_or_b32 exec_lo, exec_lo, s15
	v_lshlrev_b32_e32 v7, 24, v8
	s_delay_alu instid0(VALU_DEP_2) | instskip(SKIP_1) | instid1(VALU_DEP_3)
	v_lshlrev_b32_e32 v6, 20, v6
	v_lshl_add_u32 v8, v19, 23, 0x3c000000
	v_and_b32_e32 v7, 0x80000000, v7
	s_delay_alu instid0(VALU_DEP_1)
	v_or3_b32 v6, v6, v7, v8
.LBB466_2977:                           ;   in Loop: Header=BB466_2335 Depth=1
	s_or_b32 exec_lo, exec_lo, s13
.LBB466_2978:                           ;   in Loop: Header=BB466_2335 Depth=1
	s_delay_alu instid0(SALU_CYCLE_1)
	s_or_b32 exec_lo, exec_lo, s12
.LBB466_2979:                           ;   in Loop: Header=BB466_2335 Depth=1
	s_delay_alu instid0(SALU_CYCLE_1) | instskip(NEXT) | instid1(VALU_DEP_1)
	s_or_b32 exec_lo, exec_lo, s9
	v_mul_f32_e32 v6, v26, v6
                                        ; implicit-def: $vgpr19
	s_delay_alu instid0(VALU_DEP_1) | instskip(NEXT) | instid1(VALU_DEP_1)
	v_and_b32_e32 v7, 0x7f800000, v6
	v_cmp_ne_u32_e64 s0, 0x7f800000, v7
	s_delay_alu instid0(VALU_DEP_1) | instskip(NEXT) | instid1(SALU_CYCLE_1)
	s_and_saveexec_b32 s9, s0
	s_xor_b32 s0, exec_lo, s9
; %bb.2980:                             ;   in Loop: Header=BB466_2335 Depth=1
	v_bfe_u32 v7, v6, 16, 1
	s_delay_alu instid0(VALU_DEP_1)
	v_add3_u32 v19, v6, v7, 0x7fff
                                        ; implicit-def: $vgpr6
; %bb.2981:                             ;   in Loop: Header=BB466_2335 Depth=1
	s_and_not1_saveexec_b32 s9, s0
; %bb.2982:                             ;   in Loop: Header=BB466_2335 Depth=1
	v_and_b32_e32 v7, 0xffff, v6
	v_or_b32_e32 v8, 0x10000, v6
	s_delay_alu instid0(VALU_DEP_2) | instskip(NEXT) | instid1(VALU_DEP_1)
	v_cmp_eq_u32_e64 s0, 0, v7
	v_cndmask_b32_e64 v19, v8, v6, s0
; %bb.2983:                             ;   in Loop: Header=BB466_2335 Depth=1
	s_or_b32 exec_lo, exec_lo, s9
	v_lshrrev_b32_e32 v6, 16, v18
	v_lshrrev_b32_e32 v7, 16, v17
	;; [unrolled: 1-line block ×8, first 2 shown]
	s_and_saveexec_b32 s9, vcc_lo
	s_cbranch_execz .LBB466_2985
; %bb.2984:                             ;   in Loop: Header=BB466_2335 Depth=1
	v_cmp_lt_i32_e64 s0, v130, v36
	s_delay_alu instid0(VALU_DEP_1) | instskip(SKIP_1) | instid1(VALU_DEP_1)
	v_cndmask_b32_e64 v12, 0, v12, s0
	v_cmp_lt_i32_e64 s0, v133, v36
	v_cndmask_b32_e64 v11, 0, v11, s0
	v_cmp_lt_i32_e64 s0, v132, v36
	s_delay_alu instid0(VALU_DEP_1) | instskip(SKIP_1) | instid1(VALU_DEP_1)
	v_cndmask_b32_e64 v10, 0, v10, s0
	v_cmp_lt_i32_e64 s0, v131, v36
	v_cndmask_b32_e64 v8, 0, v8, s0
	;; [unrolled: 5-line block ×4, first 2 shown]
.LBB466_2985:                           ;   in Loop: Header=BB466_2335 Depth=1
	s_or_b32 exec_lo, exec_lo, s9
	v_lshlrev_b32_e32 v9, 16, v12
	s_delay_alu instid0(VALU_DEP_1) | instskip(NEXT) | instid1(VALU_DEP_1)
	v_mul_f32_e32 v9, v134, v9
	v_and_b32_e32 v12, 0x7f800000, v9
	s_delay_alu instid0(VALU_DEP_1) | instskip(NEXT) | instid1(VALU_DEP_1)
	v_cmp_ne_u32_e64 s0, 0x7f800000, v12
                                        ; implicit-def: $vgpr12
                                        ; kill: killed $vgpr12
	s_and_saveexec_b32 s9, s0
	s_delay_alu instid0(SALU_CYCLE_1)
	s_xor_b32 s0, exec_lo, s9
	s_cbranch_execz .LBB466_2987
; %bb.2986:                             ;   in Loop: Header=BB466_2335 Depth=1
	v_bfe_u32 v12, v9, 16, 1
	s_delay_alu instid0(VALU_DEP_1)
	v_add3_u32 v9, v9, v12, 0x7fff
	scratch_store_b32 off, v9, s32 offset:460 ; 4-byte Folded Spill
                                        ; implicit-def: $vgpr9
.LBB466_2987:                           ;   in Loop: Header=BB466_2335 Depth=1
	s_and_not1_saveexec_b32 s9, s0
	s_cbranch_execz .LBB466_2989
; %bb.2988:                             ;   in Loop: Header=BB466_2335 Depth=1
	v_and_b32_e32 v12, 0xffff, v9
	v_or_b32_e32 v17, 0x10000, v9
	s_delay_alu instid0(VALU_DEP_2) | instskip(NEXT) | instid1(VALU_DEP_1)
	v_cmp_eq_u32_e64 s0, 0, v12
	v_cndmask_b32_e64 v9, v17, v9, s0
	scratch_store_b32 off, v9, s32 offset:460 ; 4-byte Folded Spill
.LBB466_2989:                           ;   in Loop: Header=BB466_2335 Depth=1
	s_or_b32 exec_lo, exec_lo, s9
	v_lshlrev_b32_e32 v9, 16, v11
	s_delay_alu instid0(VALU_DEP_1) | instskip(NEXT) | instid1(VALU_DEP_1)
	v_mul_f32_e32 v9, v135, v9
	v_and_b32_e32 v11, 0x7f800000, v9
	s_delay_alu instid0(VALU_DEP_1) | instskip(NEXT) | instid1(VALU_DEP_1)
	v_cmp_ne_u32_e64 s0, 0x7f800000, v11
                                        ; implicit-def: $vgpr11
                                        ; kill: killed $vgpr11
	s_and_saveexec_b32 s9, s0
	s_delay_alu instid0(SALU_CYCLE_1)
	s_xor_b32 s0, exec_lo, s9
	s_cbranch_execz .LBB466_2991
; %bb.2990:                             ;   in Loop: Header=BB466_2335 Depth=1
	v_bfe_u32 v11, v9, 16, 1
	s_delay_alu instid0(VALU_DEP_1)
	v_add3_u32 v9, v9, v11, 0x7fff
	scratch_store_b32 off, v9, s32 offset:464 ; 4-byte Folded Spill
                                        ; implicit-def: $vgpr9
.LBB466_2991:                           ;   in Loop: Header=BB466_2335 Depth=1
	s_and_not1_saveexec_b32 s9, s0
	s_cbranch_execz .LBB466_2993
; %bb.2992:                             ;   in Loop: Header=BB466_2335 Depth=1
	v_and_b32_e32 v11, 0xffff, v9
	v_or_b32_e32 v12, 0x10000, v9
	s_delay_alu instid0(VALU_DEP_2) | instskip(NEXT) | instid1(VALU_DEP_1)
	v_cmp_eq_u32_e64 s0, 0, v11
	v_cndmask_b32_e64 v9, v12, v9, s0
	scratch_store_b32 off, v9, s32 offset:464 ; 4-byte Folded Spill
.LBB466_2993:                           ;   in Loop: Header=BB466_2335 Depth=1
	s_or_b32 exec_lo, exec_lo, s9
	v_lshlrev_b32_e32 v9, 16, v10
	s_delay_alu instid0(VALU_DEP_1) | instskip(NEXT) | instid1(VALU_DEP_1)
	v_mul_f32_e32 v9, v144, v9
	v_and_b32_e32 v10, 0x7f800000, v9
	s_delay_alu instid0(VALU_DEP_1) | instskip(NEXT) | instid1(VALU_DEP_1)
	v_cmp_ne_u32_e64 s0, 0x7f800000, v10
                                        ; implicit-def: $vgpr10
                                        ; kill: killed $vgpr10
	s_and_saveexec_b32 s9, s0
	s_delay_alu instid0(SALU_CYCLE_1)
	s_xor_b32 s0, exec_lo, s9
	s_cbranch_execz .LBB466_2995
; %bb.2994:                             ;   in Loop: Header=BB466_2335 Depth=1
	v_bfe_u32 v10, v9, 16, 1
	s_delay_alu instid0(VALU_DEP_1)
	v_add3_u32 v9, v9, v10, 0x7fff
	scratch_store_b32 off, v9, s32 offset:468 ; 4-byte Folded Spill
                                        ; implicit-def: $vgpr9
.LBB466_2995:                           ;   in Loop: Header=BB466_2335 Depth=1
	s_and_not1_saveexec_b32 s9, s0
	s_cbranch_execz .LBB466_2997
; %bb.2996:                             ;   in Loop: Header=BB466_2335 Depth=1
	v_and_b32_e32 v10, 0xffff, v9
	v_or_b32_e32 v11, 0x10000, v9
	s_delay_alu instid0(VALU_DEP_2) | instskip(NEXT) | instid1(VALU_DEP_1)
	v_cmp_eq_u32_e64 s0, 0, v10
	v_cndmask_b32_e64 v9, v11, v9, s0
	scratch_store_b32 off, v9, s32 offset:468 ; 4-byte Folded Spill
.LBB466_2997:                           ;   in Loop: Header=BB466_2335 Depth=1
	s_or_b32 exec_lo, exec_lo, s9
	v_lshlrev_b32_e32 v8, 16, v8
	s_delay_alu instid0(VALU_DEP_1) | instskip(NEXT) | instid1(VALU_DEP_1)
	v_mul_f32_e32 v8, v145, v8
	v_and_b32_e32 v9, 0x7f800000, v8
	s_delay_alu instid0(VALU_DEP_1) | instskip(NEXT) | instid1(VALU_DEP_1)
	v_cmp_ne_u32_e64 s0, 0x7f800000, v9
                                        ; implicit-def: $vgpr9
                                        ; kill: killed $vgpr9
	s_and_saveexec_b32 s9, s0
	s_delay_alu instid0(SALU_CYCLE_1)
	s_xor_b32 s0, exec_lo, s9
	s_cbranch_execz .LBB466_2999
; %bb.2998:                             ;   in Loop: Header=BB466_2335 Depth=1
	v_bfe_u32 v9, v8, 16, 1
	s_delay_alu instid0(VALU_DEP_1)
	v_add3_u32 v8, v8, v9, 0x7fff
	scratch_store_b32 off, v8, s32 offset:472 ; 4-byte Folded Spill
                                        ; implicit-def: $vgpr8
.LBB466_2999:                           ;   in Loop: Header=BB466_2335 Depth=1
	s_and_not1_saveexec_b32 s9, s0
	s_cbranch_execz .LBB466_3001
; %bb.3000:                             ;   in Loop: Header=BB466_2335 Depth=1
	v_and_b32_e32 v9, 0xffff, v8
	v_or_b32_e32 v10, 0x10000, v8
	s_delay_alu instid0(VALU_DEP_2) | instskip(NEXT) | instid1(VALU_DEP_1)
	v_cmp_eq_u32_e64 s0, 0, v9
	v_cndmask_b32_e64 v8, v10, v8, s0
	scratch_store_b32 off, v8, s32 offset:472 ; 4-byte Folded Spill
.LBB466_3001:                           ;   in Loop: Header=BB466_2335 Depth=1
	s_or_b32 exec_lo, exec_lo, s9
	v_lshlrev_b32_e32 v7, 16, v7
	s_delay_alu instid0(VALU_DEP_1) | instskip(NEXT) | instid1(VALU_DEP_1)
	v_mul_f32_e32 v7, v146, v7
	v_and_b32_e32 v8, 0x7f800000, v7
	s_delay_alu instid0(VALU_DEP_1) | instskip(NEXT) | instid1(VALU_DEP_1)
	v_cmp_ne_u32_e64 s0, 0x7f800000, v8
                                        ; implicit-def: $vgpr8
                                        ; kill: killed $vgpr8
	s_and_saveexec_b32 s9, s0
	s_delay_alu instid0(SALU_CYCLE_1)
	s_xor_b32 s0, exec_lo, s9
	s_cbranch_execz .LBB466_3003
; %bb.3002:                             ;   in Loop: Header=BB466_2335 Depth=1
	v_bfe_u32 v8, v7, 16, 1
	s_delay_alu instid0(VALU_DEP_1)
	v_add3_u32 v7, v7, v8, 0x7fff
	scratch_store_b32 off, v7, s32 offset:476 ; 4-byte Folded Spill
                                        ; implicit-def: $vgpr7
.LBB466_3003:                           ;   in Loop: Header=BB466_2335 Depth=1
	s_and_not1_saveexec_b32 s9, s0
	s_cbranch_execz .LBB466_3005
; %bb.3004:                             ;   in Loop: Header=BB466_2335 Depth=1
	v_and_b32_e32 v8, 0xffff, v7
	v_or_b32_e32 v9, 0x10000, v7
	s_delay_alu instid0(VALU_DEP_2) | instskip(NEXT) | instid1(VALU_DEP_1)
	v_cmp_eq_u32_e64 s0, 0, v8
	v_cndmask_b32_e64 v7, v9, v7, s0
	scratch_store_b32 off, v7, s32 offset:476 ; 4-byte Folded Spill
.LBB466_3005:                           ;   in Loop: Header=BB466_2335 Depth=1
	s_or_b32 exec_lo, exec_lo, s9
	v_lshlrev_b32_e32 v6, 16, v6
	s_delay_alu instid0(VALU_DEP_1) | instskip(NEXT) | instid1(VALU_DEP_1)
	v_mul_f32_e32 v6, v147, v6
	v_and_b32_e32 v7, 0x7f800000, v6
	s_delay_alu instid0(VALU_DEP_1) | instskip(NEXT) | instid1(VALU_DEP_1)
	v_cmp_ne_u32_e64 s0, 0x7f800000, v7
                                        ; implicit-def: $vgpr7
                                        ; kill: killed $vgpr7
	s_and_saveexec_b32 s9, s0
	s_delay_alu instid0(SALU_CYCLE_1)
	s_xor_b32 s0, exec_lo, s9
	s_cbranch_execz .LBB466_3007
; %bb.3006:                             ;   in Loop: Header=BB466_2335 Depth=1
	v_bfe_u32 v7, v6, 16, 1
	s_delay_alu instid0(VALU_DEP_1)
	v_add3_u32 v6, v6, v7, 0x7fff
	scratch_store_b32 off, v6, s32 offset:480 ; 4-byte Folded Spill
                                        ; implicit-def: $vgpr6
.LBB466_3007:                           ;   in Loop: Header=BB466_2335 Depth=1
	s_and_not1_saveexec_b32 s9, s0
	s_cbranch_execz .LBB466_3009
; %bb.3008:                             ;   in Loop: Header=BB466_2335 Depth=1
	v_and_b32_e32 v7, 0xffff, v6
	v_or_b32_e32 v8, 0x10000, v6
	s_delay_alu instid0(VALU_DEP_2) | instskip(NEXT) | instid1(VALU_DEP_1)
	v_cmp_eq_u32_e64 s0, 0, v7
	v_cndmask_b32_e64 v6, v8, v6, s0
	scratch_store_b32 off, v6, s32 offset:480 ; 4-byte Folded Spill
.LBB466_3009:                           ;   in Loop: Header=BB466_2335 Depth=1
	s_or_b32 exec_lo, exec_lo, s9
	v_lshlrev_b32_e32 v5, 16, v5
	s_delay_alu instid0(VALU_DEP_1) | instskip(NEXT) | instid1(VALU_DEP_1)
	v_mul_f32_e32 v5, v148, v5
	v_and_b32_e32 v6, 0x7f800000, v5
	s_delay_alu instid0(VALU_DEP_1) | instskip(NEXT) | instid1(VALU_DEP_1)
	v_cmp_ne_u32_e64 s0, 0x7f800000, v6
                                        ; implicit-def: $vgpr6
                                        ; kill: killed $vgpr6
	s_and_saveexec_b32 s9, s0
	s_delay_alu instid0(SALU_CYCLE_1)
	s_xor_b32 s0, exec_lo, s9
	s_cbranch_execz .LBB466_3011
; %bb.3010:                             ;   in Loop: Header=BB466_2335 Depth=1
	v_bfe_u32 v6, v5, 16, 1
	s_delay_alu instid0(VALU_DEP_1)
	v_add3_u32 v5, v5, v6, 0x7fff
	scratch_store_b32 off, v5, s32 offset:484 ; 4-byte Folded Spill
                                        ; implicit-def: $vgpr5
.LBB466_3011:                           ;   in Loop: Header=BB466_2335 Depth=1
	s_and_not1_saveexec_b32 s9, s0
	s_cbranch_execz .LBB466_3013
; %bb.3012:                             ;   in Loop: Header=BB466_2335 Depth=1
	v_and_b32_e32 v6, 0xffff, v5
	v_or_b32_e32 v7, 0x10000, v5
	s_delay_alu instid0(VALU_DEP_2) | instskip(NEXT) | instid1(VALU_DEP_1)
	v_cmp_eq_u32_e64 s0, 0, v6
	v_cndmask_b32_e64 v5, v7, v5, s0
	scratch_store_b32 off, v5, s32 offset:484 ; 4-byte Folded Spill
.LBB466_3013:                           ;   in Loop: Header=BB466_2335 Depth=1
	s_or_b32 exec_lo, exec_lo, s9
	v_lshlrev_b32_e32 v4, 16, v4
	s_delay_alu instid0(VALU_DEP_1) | instskip(NEXT) | instid1(VALU_DEP_1)
	v_mul_f32_e32 v4, v149, v4
	v_and_b32_e32 v5, 0x7f800000, v4
	s_delay_alu instid0(VALU_DEP_1) | instskip(NEXT) | instid1(VALU_DEP_1)
	v_cmp_ne_u32_e64 s0, 0x7f800000, v5
                                        ; implicit-def: $vgpr5
                                        ; kill: killed $vgpr5
	s_and_saveexec_b32 s9, s0
	s_delay_alu instid0(SALU_CYCLE_1)
	s_xor_b32 s0, exec_lo, s9
	s_cbranch_execz .LBB466_3015
; %bb.3014:                             ;   in Loop: Header=BB466_2335 Depth=1
	v_bfe_u32 v5, v4, 16, 1
	s_delay_alu instid0(VALU_DEP_1)
	v_add3_u32 v4, v4, v5, 0x7fff
	scratch_store_b32 off, v4, s32 offset:488 ; 4-byte Folded Spill
                                        ; implicit-def: $vgpr4
.LBB466_3015:                           ;   in Loop: Header=BB466_2335 Depth=1
	s_and_not1_saveexec_b32 s9, s0
	s_cbranch_execz .LBB466_3017
; %bb.3016:                             ;   in Loop: Header=BB466_2335 Depth=1
	v_and_b32_e32 v5, 0xffff, v4
	v_or_b32_e32 v6, 0x10000, v4
	s_delay_alu instid0(VALU_DEP_2) | instskip(NEXT) | instid1(VALU_DEP_1)
	v_cmp_eq_u32_e64 s0, 0, v5
	v_cndmask_b32_e64 v4, v6, v4, s0
	scratch_store_b32 off, v4, s32 offset:488 ; 4-byte Folded Spill
.LBB466_3017:                           ;   in Loop: Header=BB466_2335 Depth=1
	s_or_b32 exec_lo, exec_lo, s9
	flat_load_b64 v[6:7], v[2:3] offset:1280
	s_mov_b32 s9, exec_lo
	s_waitcnt vmcnt(0) lgkmcnt(0)
	v_dual_mov_b32 v4, 0 :: v_dual_and_b32 v5, 0xff, v6
	s_delay_alu instid0(VALU_DEP_1)
	v_cmpx_ne_u16_e32 0, v5
	s_cbranch_execz .LBB466_3025
; %bb.3018:                             ;   in Loop: Header=BB466_2335 Depth=1
	v_bfrev_b32_e32 v4, 1
	s_mov_b32 s12, exec_lo
	v_cmpx_ne_u16_e32 0x80, v5
	s_cbranch_execz .LBB466_3024
; %bb.3019:                             ;   in Loop: Header=BB466_2335 Depth=1
	v_and_b32_e32 v5, 0x7f, v6
	v_mov_b32_e32 v4, 0x7f800001
	s_mov_b32 s13, exec_lo
	s_delay_alu instid0(VALU_DEP_2)
	v_cmpx_ne_u32_e32 0x7f, v5
	s_cbranch_execz .LBB466_3023
; %bb.3020:                             ;   in Loop: Header=BB466_2335 Depth=1
	v_lshrrev_b32_e32 v4, 3, v5
	v_dual_mov_b32 v9, v7 :: v_dual_mov_b32 v8, v6
	s_mov_b32 s15, exec_lo
	v_cmpx_gt_u32_e32 8, v5
; %bb.3021:                             ;   in Loop: Header=BB466_2335 Depth=1
	v_and_b32_e32 v4, 7, v6
	s_delay_alu instid0(VALU_DEP_1) | instskip(NEXT) | instid1(VALU_DEP_1)
	v_clz_i32_u32_e32 v4, v4
	v_min_u32_e32 v4, 32, v4
	s_delay_alu instid0(VALU_DEP_1) | instskip(SKIP_1) | instid1(VALU_DEP_2)
	v_subrev_nc_u32_e32 v5, 28, v4
	v_sub_nc_u32_e32 v4, 29, v4
	v_lshlrev_b64 v[8:9], v5, v[6:7]
; %bb.3022:                             ;   in Loop: Header=BB466_2335 Depth=1
	s_or_b32 exec_lo, exec_lo, s15
	s_delay_alu instid0(VALU_DEP_1) | instskip(SKIP_2) | instid1(VALU_DEP_3)
	v_lshlrev_b32_e32 v5, 20, v8
	v_lshlrev_b32_e32 v8, 24, v6
	v_lshl_add_u32 v4, v4, 23, 0x3c000000
	v_and_b32_e32 v5, 0x700000, v5
	s_delay_alu instid0(VALU_DEP_3) | instskip(NEXT) | instid1(VALU_DEP_1)
	v_and_b32_e32 v8, 0x80000000, v8
	v_or3_b32 v4, v5, v8, v4
.LBB466_3023:                           ;   in Loop: Header=BB466_2335 Depth=1
	s_or_b32 exec_lo, exec_lo, s13
.LBB466_3024:                           ;   in Loop: Header=BB466_2335 Depth=1
	s_delay_alu instid0(SALU_CYCLE_1)
	s_or_b32 exec_lo, exec_lo, s12
.LBB466_3025:                           ;   in Loop: Header=BB466_2335 Depth=1
	s_delay_alu instid0(SALU_CYCLE_1) | instskip(NEXT) | instid1(VALU_DEP_1)
	s_or_b32 exec_lo, exec_lo, s9
	v_mul_f32_e32 v5, v26, v4
	s_delay_alu instid0(VALU_DEP_1) | instskip(NEXT) | instid1(VALU_DEP_1)
	v_and_b32_e32 v4, 0x7f800000, v5
	v_cmp_ne_u32_e64 s0, 0x7f800000, v4
                                        ; implicit-def: $vgpr4
	s_delay_alu instid0(VALU_DEP_1) | instskip(NEXT) | instid1(SALU_CYCLE_1)
	s_and_saveexec_b32 s9, s0
	s_xor_b32 s0, exec_lo, s9
; %bb.3026:                             ;   in Loop: Header=BB466_2335 Depth=1
	v_bfe_u32 v4, v5, 16, 1
	s_delay_alu instid0(VALU_DEP_1)
	v_add3_u32 v4, v5, v4, 0x7fff
                                        ; implicit-def: $vgpr5
; %bb.3027:                             ;   in Loop: Header=BB466_2335 Depth=1
	s_and_not1_saveexec_b32 s9, s0
; %bb.3028:                             ;   in Loop: Header=BB466_2335 Depth=1
	v_and_b32_e32 v4, 0xffff, v5
	v_or_b32_e32 v8, 0x10000, v5
	s_delay_alu instid0(VALU_DEP_2) | instskip(NEXT) | instid1(VALU_DEP_1)
	v_cmp_eq_u32_e64 s0, 0, v4
	v_cndmask_b32_e64 v4, v8, v5, s0
; %bb.3029:                             ;   in Loop: Header=BB466_2335 Depth=1
	s_or_b32 exec_lo, exec_lo, s9
	v_lshrrev_b16 v8, 8, v6
	v_mov_b32_e32 v5, 0
	s_mov_b32 s9, exec_lo
	s_delay_alu instid0(VALU_DEP_2)
	v_cmpx_ne_u16_e32 0, v8
	s_cbranch_execz .LBB466_3037
; %bb.3030:                             ;   in Loop: Header=BB466_2335 Depth=1
	v_bfrev_b32_e32 v5, 1
	s_mov_b32 s12, exec_lo
	v_cmpx_ne_u16_e32 0x80, v8
	s_cbranch_execz .LBB466_3036
; %bb.3031:                             ;   in Loop: Header=BB466_2335 Depth=1
	v_and_b32_e32 v9, 0xffff, v8
	v_mov_b32_e32 v5, 0x7f800001
	s_mov_b32 s13, exec_lo
	s_delay_alu instid0(VALU_DEP_2) | instskip(NEXT) | instid1(VALU_DEP_1)
	v_and_b32_e32 v8, 0x7f, v9
	v_cmpx_ne_u32_e32 0x7f, v8
	s_cbranch_execz .LBB466_3035
; %bb.3032:                             ;   in Loop: Header=BB466_2335 Depth=1
	v_and_b32_e32 v12, 7, v9
	v_lshrrev_b32_e32 v5, 3, v8
	v_cmp_gt_u32_e64 s0, 8, v8
	s_delay_alu instid0(VALU_DEP_3) | instskip(NEXT) | instid1(VALU_DEP_2)
	v_dual_mov_b32 v8, v12 :: v_dual_mov_b32 v9, v13
	s_and_saveexec_b32 s15, s0
; %bb.3033:                             ;   in Loop: Header=BB466_2335 Depth=1
	v_clz_i32_u32_e32 v5, v12
	s_delay_alu instid0(VALU_DEP_1) | instskip(NEXT) | instid1(VALU_DEP_1)
	v_min_u32_e32 v5, 32, v5
	v_subrev_nc_u32_e32 v8, 28, v5
	v_sub_nc_u32_e32 v5, 29, v5
	s_delay_alu instid0(VALU_DEP_2) | instskip(NEXT) | instid1(VALU_DEP_1)
	v_lshlrev_b64 v[8:9], v8, v[12:13]
	v_and_b32_e32 v8, 7, v8
; %bb.3034:                             ;   in Loop: Header=BB466_2335 Depth=1
	s_or_b32 exec_lo, exec_lo, s15
	v_lshlrev_b32_e32 v9, 16, v6
	s_delay_alu instid0(VALU_DEP_2) | instskip(SKIP_1) | instid1(VALU_DEP_3)
	v_lshlrev_b32_e32 v8, 20, v8
	v_lshl_add_u32 v5, v5, 23, 0x3c000000
	v_and_b32_e32 v9, 0x80000000, v9
	s_delay_alu instid0(VALU_DEP_1)
	v_or3_b32 v5, v8, v9, v5
.LBB466_3035:                           ;   in Loop: Header=BB466_2335 Depth=1
	s_or_b32 exec_lo, exec_lo, s13
.LBB466_3036:                           ;   in Loop: Header=BB466_2335 Depth=1
	s_delay_alu instid0(SALU_CYCLE_1)
	s_or_b32 exec_lo, exec_lo, s12
.LBB466_3037:                           ;   in Loop: Header=BB466_2335 Depth=1
	s_delay_alu instid0(SALU_CYCLE_1) | instskip(NEXT) | instid1(VALU_DEP_1)
	s_or_b32 exec_lo, exec_lo, s9
	v_mul_f32_e32 v8, v26, v5
	s_delay_alu instid0(VALU_DEP_1) | instskip(NEXT) | instid1(VALU_DEP_1)
	v_and_b32_e32 v5, 0x7f800000, v8
	v_cmp_ne_u32_e64 s0, 0x7f800000, v5
                                        ; implicit-def: $vgpr5
	s_delay_alu instid0(VALU_DEP_1) | instskip(NEXT) | instid1(SALU_CYCLE_1)
	s_and_saveexec_b32 s9, s0
	s_xor_b32 s0, exec_lo, s9
; %bb.3038:                             ;   in Loop: Header=BB466_2335 Depth=1
	v_bfe_u32 v5, v8, 16, 1
	s_delay_alu instid0(VALU_DEP_1)
	v_add3_u32 v5, v8, v5, 0x7fff
                                        ; implicit-def: $vgpr8
; %bb.3039:                             ;   in Loop: Header=BB466_2335 Depth=1
	s_and_not1_saveexec_b32 s9, s0
; %bb.3040:                             ;   in Loop: Header=BB466_2335 Depth=1
	v_and_b32_e32 v5, 0xffff, v8
	v_or_b32_e32 v9, 0x10000, v8
	s_delay_alu instid0(VALU_DEP_2) | instskip(NEXT) | instid1(VALU_DEP_1)
	v_cmp_eq_u32_e64 s0, 0, v5
	v_cndmask_b32_e64 v5, v9, v8, s0
; %bb.3041:                             ;   in Loop: Header=BB466_2335 Depth=1
	s_or_b32 exec_lo, exec_lo, s9
	v_lshrrev_b32_e32 v10, 16, v6
	s_mov_b32 s9, exec_lo
	s_delay_alu instid0(VALU_DEP_1) | instskip(NEXT) | instid1(VALU_DEP_1)
	v_dual_mov_b32 v8, 0 :: v_dual_and_b32 v9, 0xff, v10
	v_cmpx_ne_u16_e32 0, v9
	s_cbranch_execz .LBB466_3049
; %bb.3042:                             ;   in Loop: Header=BB466_2335 Depth=1
	v_bfrev_b32_e32 v8, 1
	s_mov_b32 s12, exec_lo
	v_cmpx_ne_u16_e32 0x80, v9
	s_cbranch_execz .LBB466_3048
; %bb.3043:                             ;   in Loop: Header=BB466_2335 Depth=1
	v_bfe_u32 v9, v6, 16, 7
	v_mov_b32_e32 v8, 0x7f800001
	s_mov_b32 s13, exec_lo
	s_delay_alu instid0(VALU_DEP_2)
	v_cmpx_ne_u32_e32 0x7f, v9
	s_cbranch_execz .LBB466_3047
; %bb.3044:                             ;   in Loop: Header=BB466_2335 Depth=1
	v_and_b32_e32 v12, 7, v10
	v_lshrrev_b32_e32 v11, 3, v9
	v_cmp_gt_u32_e64 s0, 8, v9
	s_delay_alu instid0(VALU_DEP_3) | instskip(NEXT) | instid1(VALU_DEP_2)
	v_dual_mov_b32 v8, v12 :: v_dual_mov_b32 v9, v13
	s_and_saveexec_b32 s15, s0
; %bb.3045:                             ;   in Loop: Header=BB466_2335 Depth=1
	v_clz_i32_u32_e32 v8, v12
	s_delay_alu instid0(VALU_DEP_1) | instskip(NEXT) | instid1(VALU_DEP_1)
	v_min_u32_e32 v11, 32, v8
	v_subrev_nc_u32_e32 v8, 28, v11
	v_sub_nc_u32_e32 v11, 29, v11
	s_delay_alu instid0(VALU_DEP_2) | instskip(NEXT) | instid1(VALU_DEP_1)
	v_lshlrev_b64 v[8:9], v8, v[12:13]
	v_and_b32_e32 v8, 7, v8
; %bb.3046:                             ;   in Loop: Header=BB466_2335 Depth=1
	s_or_b32 exec_lo, exec_lo, s15
	v_lshlrev_b32_e32 v9, 24, v10
	s_delay_alu instid0(VALU_DEP_2) | instskip(SKIP_1) | instid1(VALU_DEP_3)
	v_lshlrev_b32_e32 v8, 20, v8
	v_lshl_add_u32 v10, v11, 23, 0x3c000000
	v_and_b32_e32 v9, 0x80000000, v9
	s_delay_alu instid0(VALU_DEP_1)
	v_or3_b32 v8, v8, v9, v10
.LBB466_3047:                           ;   in Loop: Header=BB466_2335 Depth=1
	s_or_b32 exec_lo, exec_lo, s13
.LBB466_3048:                           ;   in Loop: Header=BB466_2335 Depth=1
	s_delay_alu instid0(SALU_CYCLE_1)
	s_or_b32 exec_lo, exec_lo, s12
.LBB466_3049:                           ;   in Loop: Header=BB466_2335 Depth=1
	s_delay_alu instid0(SALU_CYCLE_1) | instskip(NEXT) | instid1(VALU_DEP_1)
	s_or_b32 exec_lo, exec_lo, s9
	v_mul_f32_e32 v8, v26, v8
                                        ; implicit-def: $vgpr10
	s_delay_alu instid0(VALU_DEP_1) | instskip(NEXT) | instid1(VALU_DEP_1)
	v_and_b32_e32 v9, 0x7f800000, v8
	v_cmp_ne_u32_e64 s0, 0x7f800000, v9
	s_delay_alu instid0(VALU_DEP_1) | instskip(NEXT) | instid1(SALU_CYCLE_1)
	s_and_saveexec_b32 s9, s0
	s_xor_b32 s0, exec_lo, s9
; %bb.3050:                             ;   in Loop: Header=BB466_2335 Depth=1
	v_bfe_u32 v9, v8, 16, 1
	s_delay_alu instid0(VALU_DEP_1)
	v_add3_u32 v10, v8, v9, 0x7fff
                                        ; implicit-def: $vgpr8
; %bb.3051:                             ;   in Loop: Header=BB466_2335 Depth=1
	s_and_not1_saveexec_b32 s9, s0
; %bb.3052:                             ;   in Loop: Header=BB466_2335 Depth=1
	v_and_b32_e32 v9, 0xffff, v8
	v_or_b32_e32 v10, 0x10000, v8
	s_delay_alu instid0(VALU_DEP_2) | instskip(NEXT) | instid1(VALU_DEP_1)
	v_cmp_eq_u32_e64 s0, 0, v9
	v_cndmask_b32_e64 v10, v10, v8, s0
; %bb.3053:                             ;   in Loop: Header=BB466_2335 Depth=1
	s_or_b32 exec_lo, exec_lo, s9
	v_mov_b32_e32 v8, 0
	s_mov_b32 s9, exec_lo
	v_cmpx_lt_u32_e32 0xffffff, v6
	s_cbranch_execz .LBB466_3061
; %bb.3054:                             ;   in Loop: Header=BB466_2335 Depth=1
	v_lshrrev_b32_e32 v11, 24, v6
	v_bfrev_b32_e32 v8, 1
	s_mov_b32 s12, exec_lo
	s_delay_alu instid0(VALU_DEP_2)
	v_cmpx_ne_u32_e32 0x80, v11
	s_cbranch_execz .LBB466_3060
; %bb.3055:                             ;   in Loop: Header=BB466_2335 Depth=1
	v_bfe_u32 v9, v6, 24, 7
	v_mov_b32_e32 v8, 0x7f800001
	s_mov_b32 s13, exec_lo
	s_delay_alu instid0(VALU_DEP_2)
	v_cmpx_ne_u32_e32 0x7f, v9
	s_cbranch_execz .LBB466_3059
; %bb.3056:                             ;   in Loop: Header=BB466_2335 Depth=1
	v_and_b32_e32 v12, 7, v11
	v_lshrrev_b32_e32 v17, 3, v9
	v_cmp_gt_u32_e64 s0, 8, v9
	s_delay_alu instid0(VALU_DEP_3) | instskip(NEXT) | instid1(VALU_DEP_2)
	v_dual_mov_b32 v8, v12 :: v_dual_mov_b32 v9, v13
	s_and_saveexec_b32 s15, s0
; %bb.3057:                             ;   in Loop: Header=BB466_2335 Depth=1
	v_clz_i32_u32_e32 v8, v12
	s_delay_alu instid0(VALU_DEP_1) | instskip(NEXT) | instid1(VALU_DEP_1)
	v_min_u32_e32 v17, 32, v8
	v_subrev_nc_u32_e32 v8, 28, v17
	v_sub_nc_u32_e32 v17, 29, v17
	s_delay_alu instid0(VALU_DEP_2) | instskip(NEXT) | instid1(VALU_DEP_1)
	v_lshlrev_b64 v[8:9], v8, v[12:13]
	v_and_b32_e32 v8, 7, v8
; %bb.3058:                             ;   in Loop: Header=BB466_2335 Depth=1
	s_or_b32 exec_lo, exec_lo, s15
	v_lshlrev_b32_e32 v9, 24, v11
	s_delay_alu instid0(VALU_DEP_2) | instskip(SKIP_1) | instid1(VALU_DEP_3)
	v_lshlrev_b32_e32 v8, 20, v8
	v_lshl_add_u32 v11, v17, 23, 0x3c000000
	v_and_b32_e32 v9, 0x80000000, v9
	s_delay_alu instid0(VALU_DEP_1)
	v_or3_b32 v8, v8, v9, v11
.LBB466_3059:                           ;   in Loop: Header=BB466_2335 Depth=1
	s_or_b32 exec_lo, exec_lo, s13
.LBB466_3060:                           ;   in Loop: Header=BB466_2335 Depth=1
	s_delay_alu instid0(SALU_CYCLE_1)
	s_or_b32 exec_lo, exec_lo, s12
.LBB466_3061:                           ;   in Loop: Header=BB466_2335 Depth=1
	s_delay_alu instid0(SALU_CYCLE_1) | instskip(NEXT) | instid1(VALU_DEP_1)
	s_or_b32 exec_lo, exec_lo, s9
	v_mul_f32_e32 v8, v26, v8
                                        ; implicit-def: $vgpr11
	s_delay_alu instid0(VALU_DEP_1) | instskip(NEXT) | instid1(VALU_DEP_1)
	v_and_b32_e32 v9, 0x7f800000, v8
	v_cmp_ne_u32_e64 s0, 0x7f800000, v9
	s_delay_alu instid0(VALU_DEP_1) | instskip(NEXT) | instid1(SALU_CYCLE_1)
	s_and_saveexec_b32 s9, s0
	s_xor_b32 s0, exec_lo, s9
; %bb.3062:                             ;   in Loop: Header=BB466_2335 Depth=1
	v_bfe_u32 v9, v8, 16, 1
	s_delay_alu instid0(VALU_DEP_1)
	v_add3_u32 v11, v8, v9, 0x7fff
                                        ; implicit-def: $vgpr8
; %bb.3063:                             ;   in Loop: Header=BB466_2335 Depth=1
	s_and_not1_saveexec_b32 s9, s0
; %bb.3064:                             ;   in Loop: Header=BB466_2335 Depth=1
	v_and_b32_e32 v9, 0xffff, v8
	v_or_b32_e32 v11, 0x10000, v8
	s_delay_alu instid0(VALU_DEP_2) | instskip(NEXT) | instid1(VALU_DEP_1)
	v_cmp_eq_u32_e64 s0, 0, v9
	v_cndmask_b32_e64 v11, v11, v8, s0
; %bb.3065:                             ;   in Loop: Header=BB466_2335 Depth=1
	s_or_b32 exec_lo, exec_lo, s9
	v_dual_mov_b32 v12, v7 :: v_dual_and_b32 v9, 0xff, v7
	v_mov_b32_e32 v8, 0
	s_mov_b32 s9, exec_lo
	s_delay_alu instid0(VALU_DEP_2)
	v_cmpx_ne_u16_e32 0, v9
	s_cbranch_execz .LBB466_3073
; %bb.3066:                             ;   in Loop: Header=BB466_2335 Depth=1
	v_bfrev_b32_e32 v8, 1
	s_mov_b32 s12, exec_lo
	v_cmpx_ne_u16_e32 0x80, v9
	s_cbranch_execz .LBB466_3072
; %bb.3067:                             ;   in Loop: Header=BB466_2335 Depth=1
	v_and_b32_e32 v9, 0x7f, v7
	v_mov_b32_e32 v8, 0x7f800001
	s_mov_b32 s13, exec_lo
	s_delay_alu instid0(VALU_DEP_2)
	v_cmpx_ne_u32_e32 0x7f, v9
	s_cbranch_execz .LBB466_3071
; %bb.3068:                             ;   in Loop: Header=BB466_2335 Depth=1
	v_lshrrev_b32_e32 v17, 3, v9
	v_cmp_gt_u32_e64 s0, 8, v9
	v_dual_mov_b32 v8, v12 :: v_dual_mov_b32 v9, v13
	s_delay_alu instid0(VALU_DEP_2)
	s_and_saveexec_b32 s15, s0
; %bb.3069:                             ;   in Loop: Header=BB466_2335 Depth=1
	v_and_b32_e32 v8, 7, v7
	s_delay_alu instid0(VALU_DEP_1) | instskip(NEXT) | instid1(VALU_DEP_1)
	v_clz_i32_u32_e32 v8, v8
	v_min_u32_e32 v17, 32, v8
	s_delay_alu instid0(VALU_DEP_1) | instskip(SKIP_1) | instid1(VALU_DEP_2)
	v_subrev_nc_u32_e32 v8, 28, v17
	v_sub_nc_u32_e32 v17, 29, v17
	v_lshlrev_b64 v[8:9], v8, v[12:13]
; %bb.3070:                             ;   in Loop: Header=BB466_2335 Depth=1
	s_or_b32 exec_lo, exec_lo, s15
	s_delay_alu instid0(VALU_DEP_1) | instskip(SKIP_2) | instid1(VALU_DEP_3)
	v_lshlrev_b32_e32 v8, 20, v8
	v_lshlrev_b32_e32 v9, 24, v12
	v_lshl_add_u32 v17, v17, 23, 0x3c000000
	v_and_b32_e32 v8, 0x700000, v8
	s_delay_alu instid0(VALU_DEP_3) | instskip(NEXT) | instid1(VALU_DEP_1)
	v_and_b32_e32 v9, 0x80000000, v9
	v_or3_b32 v8, v8, v9, v17
.LBB466_3071:                           ;   in Loop: Header=BB466_2335 Depth=1
	s_or_b32 exec_lo, exec_lo, s13
.LBB466_3072:                           ;   in Loop: Header=BB466_2335 Depth=1
	s_delay_alu instid0(SALU_CYCLE_1)
	s_or_b32 exec_lo, exec_lo, s12
.LBB466_3073:                           ;   in Loop: Header=BB466_2335 Depth=1
	s_delay_alu instid0(SALU_CYCLE_1) | instskip(NEXT) | instid1(VALU_DEP_1)
	s_or_b32 exec_lo, exec_lo, s9
	v_mul_f32_e32 v8, v26, v8
                                        ; implicit-def: $vgpr17
	s_delay_alu instid0(VALU_DEP_1) | instskip(NEXT) | instid1(VALU_DEP_1)
	v_and_b32_e32 v9, 0x7f800000, v8
	v_cmp_ne_u32_e64 s0, 0x7f800000, v9
	s_delay_alu instid0(VALU_DEP_1) | instskip(NEXT) | instid1(SALU_CYCLE_1)
	s_and_saveexec_b32 s9, s0
	s_xor_b32 s0, exec_lo, s9
; %bb.3074:                             ;   in Loop: Header=BB466_2335 Depth=1
	v_bfe_u32 v9, v8, 16, 1
	s_delay_alu instid0(VALU_DEP_1)
	v_add3_u32 v17, v8, v9, 0x7fff
                                        ; implicit-def: $vgpr8
; %bb.3075:                             ;   in Loop: Header=BB466_2335 Depth=1
	s_and_not1_saveexec_b32 s9, s0
; %bb.3076:                             ;   in Loop: Header=BB466_2335 Depth=1
	v_and_b32_e32 v9, 0xffff, v8
	v_or_b32_e32 v17, 0x10000, v8
	s_delay_alu instid0(VALU_DEP_2) | instskip(NEXT) | instid1(VALU_DEP_1)
	v_cmp_eq_u32_e64 s0, 0, v9
	v_cndmask_b32_e64 v17, v17, v8, s0
; %bb.3077:                             ;   in Loop: Header=BB466_2335 Depth=1
	s_or_b32 exec_lo, exec_lo, s9
	v_lshrrev_b16 v9, 8, v12
	v_mov_b32_e32 v8, 0
	s_mov_b32 s9, exec_lo
	s_delay_alu instid0(VALU_DEP_2)
	v_cmpx_ne_u16_e32 0, v9
	s_cbranch_execz .LBB466_3085
; %bb.3078:                             ;   in Loop: Header=BB466_2335 Depth=1
	v_bfrev_b32_e32 v8, 1
	s_mov_b32 s12, exec_lo
	v_cmpx_ne_u16_e32 0x80, v9
	s_cbranch_execz .LBB466_3084
; %bb.3079:                             ;   in Loop: Header=BB466_2335 Depth=1
	v_and_b32_e32 v9, 0xffff, v9
	v_mov_b32_e32 v8, 0x7f800001
	s_mov_b32 s13, exec_lo
	s_delay_alu instid0(VALU_DEP_2) | instskip(NEXT) | instid1(VALU_DEP_1)
	v_and_b32_e32 v19, 0x7f, v9
	v_cmpx_ne_u32_e32 0x7f, v19
	s_cbranch_execz .LBB466_3083
; %bb.3080:                             ;   in Loop: Header=BB466_2335 Depth=1
	v_dual_mov_b32 v9, v13 :: v_dual_and_b32 v8, 7, v9
	v_lshrrev_b32_e32 v18, 3, v19
	s_mov_b32 s15, exec_lo
	v_cmpx_gt_u32_e32 8, v19
; %bb.3081:                             ;   in Loop: Header=BB466_2335 Depth=1
	s_delay_alu instid0(VALU_DEP_3) | instskip(NEXT) | instid1(VALU_DEP_1)
	v_clz_i32_u32_e32 v18, v8
	v_min_u32_e32 v18, 32, v18
	s_delay_alu instid0(VALU_DEP_1) | instskip(SKIP_1) | instid1(VALU_DEP_2)
	v_subrev_nc_u32_e32 v19, 28, v18
	v_sub_nc_u32_e32 v18, 29, v18
	v_lshlrev_b64 v[8:9], v19, v[8:9]
	s_delay_alu instid0(VALU_DEP_1)
	v_and_b32_e32 v8, 7, v8
; %bb.3082:                             ;   in Loop: Header=BB466_2335 Depth=1
	s_or_b32 exec_lo, exec_lo, s15
	v_lshlrev_b32_e32 v9, 16, v12
	s_delay_alu instid0(VALU_DEP_2) | instskip(SKIP_1) | instid1(VALU_DEP_3)
	v_lshlrev_b32_e32 v8, 20, v8
	v_lshl_add_u32 v12, v18, 23, 0x3c000000
	v_and_b32_e32 v9, 0x80000000, v9
	s_delay_alu instid0(VALU_DEP_1)
	v_or3_b32 v8, v8, v9, v12
.LBB466_3083:                           ;   in Loop: Header=BB466_2335 Depth=1
	s_or_b32 exec_lo, exec_lo, s13
.LBB466_3084:                           ;   in Loop: Header=BB466_2335 Depth=1
	s_delay_alu instid0(SALU_CYCLE_1)
	s_or_b32 exec_lo, exec_lo, s12
.LBB466_3085:                           ;   in Loop: Header=BB466_2335 Depth=1
	s_delay_alu instid0(SALU_CYCLE_1) | instskip(NEXT) | instid1(VALU_DEP_1)
	s_or_b32 exec_lo, exec_lo, s9
	v_mul_f32_e32 v8, v26, v8
                                        ; implicit-def: $vgpr18
	s_delay_alu instid0(VALU_DEP_1) | instskip(NEXT) | instid1(VALU_DEP_1)
	v_and_b32_e32 v9, 0x7f800000, v8
	v_cmp_ne_u32_e64 s0, 0x7f800000, v9
	s_delay_alu instid0(VALU_DEP_1) | instskip(NEXT) | instid1(SALU_CYCLE_1)
	s_and_saveexec_b32 s9, s0
	s_xor_b32 s0, exec_lo, s9
; %bb.3086:                             ;   in Loop: Header=BB466_2335 Depth=1
	v_bfe_u32 v9, v8, 16, 1
	s_delay_alu instid0(VALU_DEP_1)
	v_add3_u32 v18, v8, v9, 0x7fff
                                        ; implicit-def: $vgpr8
; %bb.3087:                             ;   in Loop: Header=BB466_2335 Depth=1
	s_and_not1_saveexec_b32 s9, s0
; %bb.3088:                             ;   in Loop: Header=BB466_2335 Depth=1
	v_and_b32_e32 v9, 0xffff, v8
	v_or_b32_e32 v12, 0x10000, v8
	s_delay_alu instid0(VALU_DEP_2) | instskip(NEXT) | instid1(VALU_DEP_1)
	v_cmp_eq_u32_e64 s0, 0, v9
	v_cndmask_b32_e64 v18, v12, v8, s0
; %bb.3089:                             ;   in Loop: Header=BB466_2335 Depth=1
	s_or_b32 exec_lo, exec_lo, s9
	v_lshrrev_b32_e32 v19, 16, v7
	s_mov_b32 s9, exec_lo
	s_delay_alu instid0(VALU_DEP_1) | instskip(NEXT) | instid1(VALU_DEP_1)
	v_dual_mov_b32 v8, 0 :: v_dual_and_b32 v9, 0xff, v19
	v_cmpx_ne_u16_e32 0, v9
	s_cbranch_execz .LBB466_3097
; %bb.3090:                             ;   in Loop: Header=BB466_2335 Depth=1
	v_bfrev_b32_e32 v8, 1
	s_mov_b32 s12, exec_lo
	v_cmpx_ne_u16_e32 0x80, v9
	s_cbranch_execz .LBB466_3096
; %bb.3091:                             ;   in Loop: Header=BB466_2335 Depth=1
	v_bfe_u32 v9, v7, 16, 7
	v_mov_b32_e32 v8, 0x7f800001
	s_mov_b32 s13, exec_lo
	s_delay_alu instid0(VALU_DEP_2)
	v_cmpx_ne_u32_e32 0x7f, v9
	s_cbranch_execz .LBB466_3095
; %bb.3092:                             ;   in Loop: Header=BB466_2335 Depth=1
	v_and_b32_e32 v12, 7, v19
	v_lshrrev_b32_e32 v20, 3, v9
	v_cmp_gt_u32_e64 s0, 8, v9
	s_delay_alu instid0(VALU_DEP_3) | instskip(NEXT) | instid1(VALU_DEP_2)
	v_dual_mov_b32 v8, v12 :: v_dual_mov_b32 v9, v13
	s_and_saveexec_b32 s15, s0
; %bb.3093:                             ;   in Loop: Header=BB466_2335 Depth=1
	v_clz_i32_u32_e32 v8, v12
	s_delay_alu instid0(VALU_DEP_1) | instskip(NEXT) | instid1(VALU_DEP_1)
	v_min_u32_e32 v20, 32, v8
	v_subrev_nc_u32_e32 v8, 28, v20
	v_sub_nc_u32_e32 v20, 29, v20
	s_delay_alu instid0(VALU_DEP_2) | instskip(NEXT) | instid1(VALU_DEP_1)
	v_lshlrev_b64 v[8:9], v8, v[12:13]
	v_and_b32_e32 v8, 7, v8
; %bb.3094:                             ;   in Loop: Header=BB466_2335 Depth=1
	s_or_b32 exec_lo, exec_lo, s15
	v_lshlrev_b32_e32 v9, 24, v19
	s_delay_alu instid0(VALU_DEP_2) | instskip(SKIP_1) | instid1(VALU_DEP_3)
	v_lshlrev_b32_e32 v8, 20, v8
	v_lshl_add_u32 v12, v20, 23, 0x3c000000
	v_and_b32_e32 v9, 0x80000000, v9
	s_delay_alu instid0(VALU_DEP_1)
	v_or3_b32 v8, v8, v9, v12
.LBB466_3095:                           ;   in Loop: Header=BB466_2335 Depth=1
	s_or_b32 exec_lo, exec_lo, s13
.LBB466_3096:                           ;   in Loop: Header=BB466_2335 Depth=1
	s_delay_alu instid0(SALU_CYCLE_1)
	s_or_b32 exec_lo, exec_lo, s12
.LBB466_3097:                           ;   in Loop: Header=BB466_2335 Depth=1
	s_delay_alu instid0(SALU_CYCLE_1) | instskip(NEXT) | instid1(VALU_DEP_1)
	s_or_b32 exec_lo, exec_lo, s9
	v_mul_f32_e32 v8, v26, v8
	s_delay_alu instid0(VALU_DEP_1) | instskip(NEXT) | instid1(VALU_DEP_1)
	v_and_b32_e32 v9, 0x7f800000, v8
	v_cmp_ne_u32_e64 s0, 0x7f800000, v9
                                        ; implicit-def: $vgpr9
	s_delay_alu instid0(VALU_DEP_1) | instskip(NEXT) | instid1(SALU_CYCLE_1)
	s_and_saveexec_b32 s9, s0
	s_xor_b32 s0, exec_lo, s9
; %bb.3098:                             ;   in Loop: Header=BB466_2335 Depth=1
	v_bfe_u32 v9, v8, 16, 1
	s_delay_alu instid0(VALU_DEP_1)
	v_add3_u32 v9, v8, v9, 0x7fff
                                        ; implicit-def: $vgpr8
; %bb.3099:                             ;   in Loop: Header=BB466_2335 Depth=1
	s_and_not1_saveexec_b32 s9, s0
; %bb.3100:                             ;   in Loop: Header=BB466_2335 Depth=1
	v_and_b32_e32 v9, 0xffff, v8
	v_or_b32_e32 v12, 0x10000, v8
	s_delay_alu instid0(VALU_DEP_2) | instskip(NEXT) | instid1(VALU_DEP_1)
	v_cmp_eq_u32_e64 s0, 0, v9
	v_cndmask_b32_e64 v9, v12, v8, s0
; %bb.3101:                             ;   in Loop: Header=BB466_2335 Depth=1
	s_or_b32 exec_lo, exec_lo, s9
	v_cmp_lt_u64_e64 s0, s[2:3], v[6:7]
	v_mov_b32_e32 v6, 0
	s_delay_alu instid0(VALU_DEP_2)
	s_and_saveexec_b32 s9, s0
	s_cbranch_execz .LBB466_3109
; %bb.3102:                             ;   in Loop: Header=BB466_2335 Depth=1
	v_lshrrev_b32_e32 v8, 24, v7
	v_bfrev_b32_e32 v6, 1
	s_mov_b32 s12, exec_lo
	s_delay_alu instid0(VALU_DEP_2)
	v_cmpx_ne_u32_e32 0x80, v8
	s_cbranch_execz .LBB466_3108
; %bb.3103:                             ;   in Loop: Header=BB466_2335 Depth=1
	v_bfe_u32 v7, v7, 24, 7
	v_mov_b32_e32 v6, 0x7f800001
	s_mov_b32 s13, exec_lo
	s_delay_alu instid0(VALU_DEP_2)
	v_cmpx_ne_u32_e32 0x7f, v7
	s_cbranch_execz .LBB466_3107
; %bb.3104:                             ;   in Loop: Header=BB466_2335 Depth=1
	v_and_b32_e32 v12, 7, v8
	v_lshrrev_b32_e32 v19, 3, v7
	v_cmp_gt_u32_e64 s0, 8, v7
	s_delay_alu instid0(VALU_DEP_3) | instskip(NEXT) | instid1(VALU_DEP_2)
	v_dual_mov_b32 v6, v12 :: v_dual_mov_b32 v7, v13
	s_and_saveexec_b32 s15, s0
; %bb.3105:                             ;   in Loop: Header=BB466_2335 Depth=1
	v_clz_i32_u32_e32 v6, v12
	s_delay_alu instid0(VALU_DEP_1) | instskip(NEXT) | instid1(VALU_DEP_1)
	v_min_u32_e32 v19, 32, v6
	v_subrev_nc_u32_e32 v6, 28, v19
	v_sub_nc_u32_e32 v19, 29, v19
	s_delay_alu instid0(VALU_DEP_2) | instskip(NEXT) | instid1(VALU_DEP_1)
	v_lshlrev_b64 v[6:7], v6, v[12:13]
	v_and_b32_e32 v6, 7, v6
; %bb.3106:                             ;   in Loop: Header=BB466_2335 Depth=1
	s_or_b32 exec_lo, exec_lo, s15
	v_lshlrev_b32_e32 v7, 24, v8
	s_delay_alu instid0(VALU_DEP_2) | instskip(SKIP_1) | instid1(VALU_DEP_3)
	v_lshlrev_b32_e32 v6, 20, v6
	v_lshl_add_u32 v8, v19, 23, 0x3c000000
	v_and_b32_e32 v7, 0x80000000, v7
	s_delay_alu instid0(VALU_DEP_1)
	v_or3_b32 v6, v6, v7, v8
.LBB466_3107:                           ;   in Loop: Header=BB466_2335 Depth=1
	s_or_b32 exec_lo, exec_lo, s13
.LBB466_3108:                           ;   in Loop: Header=BB466_2335 Depth=1
	s_delay_alu instid0(SALU_CYCLE_1)
	s_or_b32 exec_lo, exec_lo, s12
.LBB466_3109:                           ;   in Loop: Header=BB466_2335 Depth=1
	s_delay_alu instid0(SALU_CYCLE_1) | instskip(NEXT) | instid1(VALU_DEP_1)
	s_or_b32 exec_lo, exec_lo, s9
	v_mul_f32_e32 v6, v26, v6
                                        ; implicit-def: $vgpr19
	s_delay_alu instid0(VALU_DEP_1) | instskip(NEXT) | instid1(VALU_DEP_1)
	v_and_b32_e32 v7, 0x7f800000, v6
	v_cmp_ne_u32_e64 s0, 0x7f800000, v7
	s_delay_alu instid0(VALU_DEP_1) | instskip(NEXT) | instid1(SALU_CYCLE_1)
	s_and_saveexec_b32 s9, s0
	s_xor_b32 s0, exec_lo, s9
; %bb.3110:                             ;   in Loop: Header=BB466_2335 Depth=1
	v_bfe_u32 v7, v6, 16, 1
	s_delay_alu instid0(VALU_DEP_1)
	v_add3_u32 v19, v6, v7, 0x7fff
                                        ; implicit-def: $vgpr6
; %bb.3111:                             ;   in Loop: Header=BB466_2335 Depth=1
	s_and_not1_saveexec_b32 s9, s0
; %bb.3112:                             ;   in Loop: Header=BB466_2335 Depth=1
	v_and_b32_e32 v7, 0xffff, v6
	v_or_b32_e32 v8, 0x10000, v6
	s_delay_alu instid0(VALU_DEP_2) | instskip(NEXT) | instid1(VALU_DEP_1)
	v_cmp_eq_u32_e64 s0, 0, v7
	v_cndmask_b32_e64 v19, v8, v6, s0
; %bb.3113:                             ;   in Loop: Header=BB466_2335 Depth=1
	s_or_b32 exec_lo, exec_lo, s9
	v_lshrrev_b32_e32 v6, 16, v18
	v_lshrrev_b32_e32 v7, 16, v17
	;; [unrolled: 1-line block ×8, first 2 shown]
	s_and_saveexec_b32 s9, vcc_lo
	s_cbranch_execz .LBB466_3115
; %bb.3114:                             ;   in Loop: Header=BB466_2335 Depth=1
	v_cmp_lt_i32_e64 s0, v130, v36
	s_delay_alu instid0(VALU_DEP_1) | instskip(SKIP_1) | instid1(VALU_DEP_1)
	v_cndmask_b32_e64 v12, 0, v12, s0
	v_cmp_lt_i32_e64 s0, v133, v36
	v_cndmask_b32_e64 v11, 0, v11, s0
	v_cmp_lt_i32_e64 s0, v132, v36
	s_delay_alu instid0(VALU_DEP_1) | instskip(SKIP_1) | instid1(VALU_DEP_1)
	v_cndmask_b32_e64 v10, 0, v10, s0
	v_cmp_lt_i32_e64 s0, v131, v36
	v_cndmask_b32_e64 v8, 0, v8, s0
	;; [unrolled: 5-line block ×4, first 2 shown]
.LBB466_3115:                           ;   in Loop: Header=BB466_2335 Depth=1
	s_or_b32 exec_lo, exec_lo, s9
	v_lshlrev_b32_e32 v9, 16, v12
	s_delay_alu instid0(VALU_DEP_1) | instskip(NEXT) | instid1(VALU_DEP_1)
	v_mul_f32_e32 v9, v134, v9
	v_and_b32_e32 v12, 0x7f800000, v9
	s_delay_alu instid0(VALU_DEP_1) | instskip(NEXT) | instid1(VALU_DEP_1)
	v_cmp_ne_u32_e64 s0, 0x7f800000, v12
                                        ; implicit-def: $vgpr12
                                        ; kill: killed $vgpr12
	s_and_saveexec_b32 s9, s0
	s_delay_alu instid0(SALU_CYCLE_1)
	s_xor_b32 s0, exec_lo, s9
	s_cbranch_execz .LBB466_3117
; %bb.3116:                             ;   in Loop: Header=BB466_2335 Depth=1
	v_bfe_u32 v12, v9, 16, 1
	s_delay_alu instid0(VALU_DEP_1)
	v_add3_u32 v9, v9, v12, 0x7fff
	scratch_store_b32 off, v9, s32 offset:492 ; 4-byte Folded Spill
                                        ; implicit-def: $vgpr9
.LBB466_3117:                           ;   in Loop: Header=BB466_2335 Depth=1
	s_and_not1_saveexec_b32 s9, s0
	s_cbranch_execz .LBB466_3119
; %bb.3118:                             ;   in Loop: Header=BB466_2335 Depth=1
	v_and_b32_e32 v12, 0xffff, v9
	v_or_b32_e32 v17, 0x10000, v9
	s_delay_alu instid0(VALU_DEP_2) | instskip(NEXT) | instid1(VALU_DEP_1)
	v_cmp_eq_u32_e64 s0, 0, v12
	v_cndmask_b32_e64 v9, v17, v9, s0
	scratch_store_b32 off, v9, s32 offset:492 ; 4-byte Folded Spill
.LBB466_3119:                           ;   in Loop: Header=BB466_2335 Depth=1
	s_or_b32 exec_lo, exec_lo, s9
	v_lshlrev_b32_e32 v9, 16, v11
	s_delay_alu instid0(VALU_DEP_1) | instskip(NEXT) | instid1(VALU_DEP_1)
	v_mul_f32_e32 v9, v135, v9
	v_and_b32_e32 v11, 0x7f800000, v9
	s_delay_alu instid0(VALU_DEP_1) | instskip(NEXT) | instid1(VALU_DEP_1)
	v_cmp_ne_u32_e64 s0, 0x7f800000, v11
                                        ; implicit-def: $vgpr11
                                        ; kill: killed $vgpr11
	s_and_saveexec_b32 s9, s0
	s_delay_alu instid0(SALU_CYCLE_1)
	s_xor_b32 s0, exec_lo, s9
	s_cbranch_execz .LBB466_3121
; %bb.3120:                             ;   in Loop: Header=BB466_2335 Depth=1
	v_bfe_u32 v11, v9, 16, 1
	s_delay_alu instid0(VALU_DEP_1)
	v_add3_u32 v9, v9, v11, 0x7fff
	scratch_store_b32 off, v9, s32 offset:496 ; 4-byte Folded Spill
                                        ; implicit-def: $vgpr9
.LBB466_3121:                           ;   in Loop: Header=BB466_2335 Depth=1
	s_and_not1_saveexec_b32 s9, s0
	s_cbranch_execz .LBB466_3123
; %bb.3122:                             ;   in Loop: Header=BB466_2335 Depth=1
	v_and_b32_e32 v11, 0xffff, v9
	v_or_b32_e32 v12, 0x10000, v9
	s_delay_alu instid0(VALU_DEP_2) | instskip(NEXT) | instid1(VALU_DEP_1)
	v_cmp_eq_u32_e64 s0, 0, v11
	v_cndmask_b32_e64 v9, v12, v9, s0
	scratch_store_b32 off, v9, s32 offset:496 ; 4-byte Folded Spill
.LBB466_3123:                           ;   in Loop: Header=BB466_2335 Depth=1
	s_or_b32 exec_lo, exec_lo, s9
	v_lshlrev_b32_e32 v9, 16, v10
	s_delay_alu instid0(VALU_DEP_1) | instskip(NEXT) | instid1(VALU_DEP_1)
	v_mul_f32_e32 v9, v144, v9
	v_and_b32_e32 v10, 0x7f800000, v9
	s_delay_alu instid0(VALU_DEP_1) | instskip(NEXT) | instid1(VALU_DEP_1)
	v_cmp_ne_u32_e64 s0, 0x7f800000, v10
                                        ; implicit-def: $vgpr10
                                        ; kill: killed $vgpr10
	s_and_saveexec_b32 s9, s0
	s_delay_alu instid0(SALU_CYCLE_1)
	s_xor_b32 s0, exec_lo, s9
	s_cbranch_execz .LBB466_3125
; %bb.3124:                             ;   in Loop: Header=BB466_2335 Depth=1
	v_bfe_u32 v10, v9, 16, 1
	s_delay_alu instid0(VALU_DEP_1)
	v_add3_u32 v9, v9, v10, 0x7fff
	scratch_store_b32 off, v9, s32 offset:500 ; 4-byte Folded Spill
                                        ; implicit-def: $vgpr9
.LBB466_3125:                           ;   in Loop: Header=BB466_2335 Depth=1
	s_and_not1_saveexec_b32 s9, s0
	s_cbranch_execz .LBB466_3127
; %bb.3126:                             ;   in Loop: Header=BB466_2335 Depth=1
	v_and_b32_e32 v10, 0xffff, v9
	v_or_b32_e32 v11, 0x10000, v9
	s_delay_alu instid0(VALU_DEP_2) | instskip(NEXT) | instid1(VALU_DEP_1)
	v_cmp_eq_u32_e64 s0, 0, v10
	v_cndmask_b32_e64 v9, v11, v9, s0
	scratch_store_b32 off, v9, s32 offset:500 ; 4-byte Folded Spill
.LBB466_3127:                           ;   in Loop: Header=BB466_2335 Depth=1
	s_or_b32 exec_lo, exec_lo, s9
	v_lshlrev_b32_e32 v8, 16, v8
	s_delay_alu instid0(VALU_DEP_1) | instskip(NEXT) | instid1(VALU_DEP_1)
	v_mul_f32_e32 v8, v145, v8
	v_and_b32_e32 v9, 0x7f800000, v8
	s_delay_alu instid0(VALU_DEP_1) | instskip(NEXT) | instid1(VALU_DEP_1)
	v_cmp_ne_u32_e64 s0, 0x7f800000, v9
                                        ; implicit-def: $vgpr9
                                        ; kill: killed $vgpr9
	s_and_saveexec_b32 s9, s0
	s_delay_alu instid0(SALU_CYCLE_1)
	s_xor_b32 s0, exec_lo, s9
	s_cbranch_execz .LBB466_3129
; %bb.3128:                             ;   in Loop: Header=BB466_2335 Depth=1
	v_bfe_u32 v9, v8, 16, 1
	s_delay_alu instid0(VALU_DEP_1)
	v_add3_u32 v8, v8, v9, 0x7fff
	scratch_store_b32 off, v8, s32 offset:504 ; 4-byte Folded Spill
                                        ; implicit-def: $vgpr8
.LBB466_3129:                           ;   in Loop: Header=BB466_2335 Depth=1
	s_and_not1_saveexec_b32 s9, s0
	s_cbranch_execz .LBB466_3131
; %bb.3130:                             ;   in Loop: Header=BB466_2335 Depth=1
	v_and_b32_e32 v9, 0xffff, v8
	v_or_b32_e32 v10, 0x10000, v8
	s_delay_alu instid0(VALU_DEP_2) | instskip(NEXT) | instid1(VALU_DEP_1)
	v_cmp_eq_u32_e64 s0, 0, v9
	v_cndmask_b32_e64 v8, v10, v8, s0
	scratch_store_b32 off, v8, s32 offset:504 ; 4-byte Folded Spill
.LBB466_3131:                           ;   in Loop: Header=BB466_2335 Depth=1
	s_or_b32 exec_lo, exec_lo, s9
	v_lshlrev_b32_e32 v7, 16, v7
	s_delay_alu instid0(VALU_DEP_1) | instskip(NEXT) | instid1(VALU_DEP_1)
	v_mul_f32_e32 v7, v146, v7
	v_and_b32_e32 v8, 0x7f800000, v7
	s_delay_alu instid0(VALU_DEP_1) | instskip(NEXT) | instid1(VALU_DEP_1)
	v_cmp_ne_u32_e64 s0, 0x7f800000, v8
                                        ; implicit-def: $vgpr8
                                        ; kill: killed $vgpr8
	s_and_saveexec_b32 s9, s0
	s_delay_alu instid0(SALU_CYCLE_1)
	s_xor_b32 s0, exec_lo, s9
	s_cbranch_execz .LBB466_3133
; %bb.3132:                             ;   in Loop: Header=BB466_2335 Depth=1
	v_bfe_u32 v8, v7, 16, 1
	s_delay_alu instid0(VALU_DEP_1)
	v_add3_u32 v7, v7, v8, 0x7fff
	scratch_store_b32 off, v7, s32 offset:508 ; 4-byte Folded Spill
                                        ; implicit-def: $vgpr7
.LBB466_3133:                           ;   in Loop: Header=BB466_2335 Depth=1
	s_and_not1_saveexec_b32 s9, s0
	s_cbranch_execz .LBB466_3135
; %bb.3134:                             ;   in Loop: Header=BB466_2335 Depth=1
	v_and_b32_e32 v8, 0xffff, v7
	v_or_b32_e32 v9, 0x10000, v7
	s_delay_alu instid0(VALU_DEP_2) | instskip(NEXT) | instid1(VALU_DEP_1)
	v_cmp_eq_u32_e64 s0, 0, v8
	v_cndmask_b32_e64 v7, v9, v7, s0
	scratch_store_b32 off, v7, s32 offset:508 ; 4-byte Folded Spill
.LBB466_3135:                           ;   in Loop: Header=BB466_2335 Depth=1
	s_or_b32 exec_lo, exec_lo, s9
	v_lshlrev_b32_e32 v6, 16, v6
	s_delay_alu instid0(VALU_DEP_1) | instskip(NEXT) | instid1(VALU_DEP_1)
	v_mul_f32_e32 v6, v147, v6
	v_and_b32_e32 v7, 0x7f800000, v6
	s_delay_alu instid0(VALU_DEP_1) | instskip(NEXT) | instid1(VALU_DEP_1)
	v_cmp_ne_u32_e64 s0, 0x7f800000, v7
                                        ; implicit-def: $vgpr7
                                        ; kill: killed $vgpr7
	s_and_saveexec_b32 s9, s0
	s_delay_alu instid0(SALU_CYCLE_1)
	s_xor_b32 s0, exec_lo, s9
	s_cbranch_execz .LBB466_3137
; %bb.3136:                             ;   in Loop: Header=BB466_2335 Depth=1
	v_bfe_u32 v7, v6, 16, 1
	s_delay_alu instid0(VALU_DEP_1)
	v_add3_u32 v6, v6, v7, 0x7fff
	scratch_store_b32 off, v6, s32 offset:512 ; 4-byte Folded Spill
                                        ; implicit-def: $vgpr6
.LBB466_3137:                           ;   in Loop: Header=BB466_2335 Depth=1
	s_and_not1_saveexec_b32 s9, s0
	s_cbranch_execz .LBB466_3139
; %bb.3138:                             ;   in Loop: Header=BB466_2335 Depth=1
	v_and_b32_e32 v7, 0xffff, v6
	v_or_b32_e32 v8, 0x10000, v6
	s_delay_alu instid0(VALU_DEP_2) | instskip(NEXT) | instid1(VALU_DEP_1)
	v_cmp_eq_u32_e64 s0, 0, v7
	v_cndmask_b32_e64 v6, v8, v6, s0
	scratch_store_b32 off, v6, s32 offset:512 ; 4-byte Folded Spill
.LBB466_3139:                           ;   in Loop: Header=BB466_2335 Depth=1
	s_or_b32 exec_lo, exec_lo, s9
	v_lshlrev_b32_e32 v5, 16, v5
	s_delay_alu instid0(VALU_DEP_1) | instskip(NEXT) | instid1(VALU_DEP_1)
	v_mul_f32_e32 v5, v148, v5
	v_and_b32_e32 v6, 0x7f800000, v5
	s_delay_alu instid0(VALU_DEP_1) | instskip(NEXT) | instid1(VALU_DEP_1)
	v_cmp_ne_u32_e64 s0, 0x7f800000, v6
                                        ; implicit-def: $vgpr6
                                        ; kill: killed $vgpr6
	s_and_saveexec_b32 s9, s0
	s_delay_alu instid0(SALU_CYCLE_1)
	s_xor_b32 s0, exec_lo, s9
	s_cbranch_execz .LBB466_3141
; %bb.3140:                             ;   in Loop: Header=BB466_2335 Depth=1
	v_bfe_u32 v6, v5, 16, 1
	s_delay_alu instid0(VALU_DEP_1)
	v_add3_u32 v5, v5, v6, 0x7fff
	scratch_store_b32 off, v5, s32 offset:516 ; 4-byte Folded Spill
                                        ; implicit-def: $vgpr5
.LBB466_3141:                           ;   in Loop: Header=BB466_2335 Depth=1
	s_and_not1_saveexec_b32 s9, s0
	s_cbranch_execz .LBB466_3143
; %bb.3142:                             ;   in Loop: Header=BB466_2335 Depth=1
	v_and_b32_e32 v6, 0xffff, v5
	v_or_b32_e32 v7, 0x10000, v5
	s_delay_alu instid0(VALU_DEP_2) | instskip(NEXT) | instid1(VALU_DEP_1)
	v_cmp_eq_u32_e64 s0, 0, v6
	v_cndmask_b32_e64 v5, v7, v5, s0
	scratch_store_b32 off, v5, s32 offset:516 ; 4-byte Folded Spill
.LBB466_3143:                           ;   in Loop: Header=BB466_2335 Depth=1
	s_or_b32 exec_lo, exec_lo, s9
	v_lshlrev_b32_e32 v4, 16, v4
	s_delay_alu instid0(VALU_DEP_1) | instskip(NEXT) | instid1(VALU_DEP_1)
	v_mul_f32_e32 v4, v149, v4
	v_and_b32_e32 v5, 0x7f800000, v4
	s_delay_alu instid0(VALU_DEP_1) | instskip(NEXT) | instid1(VALU_DEP_1)
	v_cmp_ne_u32_e64 s0, 0x7f800000, v5
                                        ; implicit-def: $vgpr5
                                        ; kill: killed $vgpr5
	s_and_saveexec_b32 s9, s0
	s_delay_alu instid0(SALU_CYCLE_1)
	s_xor_b32 s0, exec_lo, s9
	s_cbranch_execz .LBB466_3145
; %bb.3144:                             ;   in Loop: Header=BB466_2335 Depth=1
	v_bfe_u32 v5, v4, 16, 1
	s_delay_alu instid0(VALU_DEP_1)
	v_add3_u32 v4, v4, v5, 0x7fff
	scratch_store_b32 off, v4, s32 offset:520 ; 4-byte Folded Spill
                                        ; implicit-def: $vgpr4
.LBB466_3145:                           ;   in Loop: Header=BB466_2335 Depth=1
	s_and_not1_saveexec_b32 s9, s0
	s_cbranch_execz .LBB466_3147
; %bb.3146:                             ;   in Loop: Header=BB466_2335 Depth=1
	v_and_b32_e32 v5, 0xffff, v4
	v_or_b32_e32 v6, 0x10000, v4
	s_delay_alu instid0(VALU_DEP_2) | instskip(NEXT) | instid1(VALU_DEP_1)
	v_cmp_eq_u32_e64 s0, 0, v5
	v_cndmask_b32_e64 v4, v6, v4, s0
	scratch_store_b32 off, v4, s32 offset:520 ; 4-byte Folded Spill
.LBB466_3147:                           ;   in Loop: Header=BB466_2335 Depth=1
	s_or_b32 exec_lo, exec_lo, s9
	flat_load_b64 v[6:7], v[2:3] offset:1536
	s_mov_b32 s9, exec_lo
	s_waitcnt vmcnt(0) lgkmcnt(0)
	v_dual_mov_b32 v4, 0 :: v_dual_and_b32 v5, 0xff, v6
	s_delay_alu instid0(VALU_DEP_1)
	v_cmpx_ne_u16_e32 0, v5
	s_cbranch_execz .LBB466_3155
; %bb.3148:                             ;   in Loop: Header=BB466_2335 Depth=1
	v_bfrev_b32_e32 v4, 1
	s_mov_b32 s12, exec_lo
	v_cmpx_ne_u16_e32 0x80, v5
	s_cbranch_execz .LBB466_3154
; %bb.3149:                             ;   in Loop: Header=BB466_2335 Depth=1
	v_and_b32_e32 v5, 0x7f, v6
	v_mov_b32_e32 v4, 0x7f800001
	s_mov_b32 s13, exec_lo
	s_delay_alu instid0(VALU_DEP_2)
	v_cmpx_ne_u32_e32 0x7f, v5
	s_cbranch_execz .LBB466_3153
; %bb.3150:                             ;   in Loop: Header=BB466_2335 Depth=1
	v_lshrrev_b32_e32 v4, 3, v5
	v_dual_mov_b32 v9, v7 :: v_dual_mov_b32 v8, v6
	s_mov_b32 s15, exec_lo
	v_cmpx_gt_u32_e32 8, v5
; %bb.3151:                             ;   in Loop: Header=BB466_2335 Depth=1
	v_and_b32_e32 v4, 7, v6
	s_delay_alu instid0(VALU_DEP_1) | instskip(NEXT) | instid1(VALU_DEP_1)
	v_clz_i32_u32_e32 v4, v4
	v_min_u32_e32 v4, 32, v4
	s_delay_alu instid0(VALU_DEP_1) | instskip(SKIP_1) | instid1(VALU_DEP_2)
	v_subrev_nc_u32_e32 v5, 28, v4
	v_sub_nc_u32_e32 v4, 29, v4
	v_lshlrev_b64 v[8:9], v5, v[6:7]
; %bb.3152:                             ;   in Loop: Header=BB466_2335 Depth=1
	s_or_b32 exec_lo, exec_lo, s15
	s_delay_alu instid0(VALU_DEP_1) | instskip(SKIP_2) | instid1(VALU_DEP_3)
	v_lshlrev_b32_e32 v5, 20, v8
	v_lshlrev_b32_e32 v8, 24, v6
	v_lshl_add_u32 v4, v4, 23, 0x3c000000
	v_and_b32_e32 v5, 0x700000, v5
	s_delay_alu instid0(VALU_DEP_3) | instskip(NEXT) | instid1(VALU_DEP_1)
	v_and_b32_e32 v8, 0x80000000, v8
	v_or3_b32 v4, v5, v8, v4
.LBB466_3153:                           ;   in Loop: Header=BB466_2335 Depth=1
	s_or_b32 exec_lo, exec_lo, s13
.LBB466_3154:                           ;   in Loop: Header=BB466_2335 Depth=1
	s_delay_alu instid0(SALU_CYCLE_1)
	s_or_b32 exec_lo, exec_lo, s12
.LBB466_3155:                           ;   in Loop: Header=BB466_2335 Depth=1
	s_delay_alu instid0(SALU_CYCLE_1) | instskip(NEXT) | instid1(VALU_DEP_1)
	s_or_b32 exec_lo, exec_lo, s9
	v_mul_f32_e32 v5, v26, v4
	s_delay_alu instid0(VALU_DEP_1) | instskip(NEXT) | instid1(VALU_DEP_1)
	v_and_b32_e32 v4, 0x7f800000, v5
	v_cmp_ne_u32_e64 s0, 0x7f800000, v4
                                        ; implicit-def: $vgpr4
	s_delay_alu instid0(VALU_DEP_1) | instskip(NEXT) | instid1(SALU_CYCLE_1)
	s_and_saveexec_b32 s9, s0
	s_xor_b32 s0, exec_lo, s9
; %bb.3156:                             ;   in Loop: Header=BB466_2335 Depth=1
	v_bfe_u32 v4, v5, 16, 1
	s_delay_alu instid0(VALU_DEP_1)
	v_add3_u32 v4, v5, v4, 0x7fff
                                        ; implicit-def: $vgpr5
; %bb.3157:                             ;   in Loop: Header=BB466_2335 Depth=1
	s_and_not1_saveexec_b32 s9, s0
; %bb.3158:                             ;   in Loop: Header=BB466_2335 Depth=1
	v_and_b32_e32 v4, 0xffff, v5
	v_or_b32_e32 v8, 0x10000, v5
	s_delay_alu instid0(VALU_DEP_2) | instskip(NEXT) | instid1(VALU_DEP_1)
	v_cmp_eq_u32_e64 s0, 0, v4
	v_cndmask_b32_e64 v4, v8, v5, s0
; %bb.3159:                             ;   in Loop: Header=BB466_2335 Depth=1
	s_or_b32 exec_lo, exec_lo, s9
	v_lshrrev_b16 v8, 8, v6
	v_mov_b32_e32 v5, 0
	s_mov_b32 s9, exec_lo
	s_delay_alu instid0(VALU_DEP_2)
	v_cmpx_ne_u16_e32 0, v8
	s_cbranch_execz .LBB466_3167
; %bb.3160:                             ;   in Loop: Header=BB466_2335 Depth=1
	v_bfrev_b32_e32 v5, 1
	s_mov_b32 s12, exec_lo
	v_cmpx_ne_u16_e32 0x80, v8
	s_cbranch_execz .LBB466_3166
; %bb.3161:                             ;   in Loop: Header=BB466_2335 Depth=1
	v_and_b32_e32 v9, 0xffff, v8
	v_mov_b32_e32 v5, 0x7f800001
	s_mov_b32 s13, exec_lo
	s_delay_alu instid0(VALU_DEP_2) | instskip(NEXT) | instid1(VALU_DEP_1)
	v_and_b32_e32 v8, 0x7f, v9
	v_cmpx_ne_u32_e32 0x7f, v8
	s_cbranch_execz .LBB466_3165
; %bb.3162:                             ;   in Loop: Header=BB466_2335 Depth=1
	v_and_b32_e32 v12, 7, v9
	v_lshrrev_b32_e32 v5, 3, v8
	v_cmp_gt_u32_e64 s0, 8, v8
	s_delay_alu instid0(VALU_DEP_3) | instskip(NEXT) | instid1(VALU_DEP_2)
	v_dual_mov_b32 v8, v12 :: v_dual_mov_b32 v9, v13
	s_and_saveexec_b32 s15, s0
; %bb.3163:                             ;   in Loop: Header=BB466_2335 Depth=1
	v_clz_i32_u32_e32 v5, v12
	s_delay_alu instid0(VALU_DEP_1) | instskip(NEXT) | instid1(VALU_DEP_1)
	v_min_u32_e32 v5, 32, v5
	v_subrev_nc_u32_e32 v8, 28, v5
	v_sub_nc_u32_e32 v5, 29, v5
	s_delay_alu instid0(VALU_DEP_2) | instskip(NEXT) | instid1(VALU_DEP_1)
	v_lshlrev_b64 v[8:9], v8, v[12:13]
	v_and_b32_e32 v8, 7, v8
; %bb.3164:                             ;   in Loop: Header=BB466_2335 Depth=1
	s_or_b32 exec_lo, exec_lo, s15
	v_lshlrev_b32_e32 v9, 16, v6
	s_delay_alu instid0(VALU_DEP_2) | instskip(SKIP_1) | instid1(VALU_DEP_3)
	v_lshlrev_b32_e32 v8, 20, v8
	v_lshl_add_u32 v5, v5, 23, 0x3c000000
	v_and_b32_e32 v9, 0x80000000, v9
	s_delay_alu instid0(VALU_DEP_1)
	v_or3_b32 v5, v8, v9, v5
.LBB466_3165:                           ;   in Loop: Header=BB466_2335 Depth=1
	s_or_b32 exec_lo, exec_lo, s13
.LBB466_3166:                           ;   in Loop: Header=BB466_2335 Depth=1
	s_delay_alu instid0(SALU_CYCLE_1)
	s_or_b32 exec_lo, exec_lo, s12
.LBB466_3167:                           ;   in Loop: Header=BB466_2335 Depth=1
	s_delay_alu instid0(SALU_CYCLE_1) | instskip(NEXT) | instid1(VALU_DEP_1)
	s_or_b32 exec_lo, exec_lo, s9
	v_mul_f32_e32 v8, v26, v5
	s_delay_alu instid0(VALU_DEP_1) | instskip(NEXT) | instid1(VALU_DEP_1)
	v_and_b32_e32 v5, 0x7f800000, v8
	v_cmp_ne_u32_e64 s0, 0x7f800000, v5
                                        ; implicit-def: $vgpr5
	s_delay_alu instid0(VALU_DEP_1) | instskip(NEXT) | instid1(SALU_CYCLE_1)
	s_and_saveexec_b32 s9, s0
	s_xor_b32 s0, exec_lo, s9
; %bb.3168:                             ;   in Loop: Header=BB466_2335 Depth=1
	v_bfe_u32 v5, v8, 16, 1
	s_delay_alu instid0(VALU_DEP_1)
	v_add3_u32 v5, v8, v5, 0x7fff
                                        ; implicit-def: $vgpr8
; %bb.3169:                             ;   in Loop: Header=BB466_2335 Depth=1
	s_and_not1_saveexec_b32 s9, s0
; %bb.3170:                             ;   in Loop: Header=BB466_2335 Depth=1
	v_and_b32_e32 v5, 0xffff, v8
	v_or_b32_e32 v9, 0x10000, v8
	s_delay_alu instid0(VALU_DEP_2) | instskip(NEXT) | instid1(VALU_DEP_1)
	v_cmp_eq_u32_e64 s0, 0, v5
	v_cndmask_b32_e64 v5, v9, v8, s0
; %bb.3171:                             ;   in Loop: Header=BB466_2335 Depth=1
	s_or_b32 exec_lo, exec_lo, s9
	v_lshrrev_b32_e32 v10, 16, v6
	s_mov_b32 s9, exec_lo
	s_delay_alu instid0(VALU_DEP_1) | instskip(NEXT) | instid1(VALU_DEP_1)
	v_dual_mov_b32 v8, 0 :: v_dual_and_b32 v9, 0xff, v10
	v_cmpx_ne_u16_e32 0, v9
	s_cbranch_execz .LBB466_3179
; %bb.3172:                             ;   in Loop: Header=BB466_2335 Depth=1
	v_bfrev_b32_e32 v8, 1
	s_mov_b32 s12, exec_lo
	v_cmpx_ne_u16_e32 0x80, v9
	s_cbranch_execz .LBB466_3178
; %bb.3173:                             ;   in Loop: Header=BB466_2335 Depth=1
	v_bfe_u32 v9, v6, 16, 7
	v_mov_b32_e32 v8, 0x7f800001
	s_mov_b32 s13, exec_lo
	s_delay_alu instid0(VALU_DEP_2)
	v_cmpx_ne_u32_e32 0x7f, v9
	s_cbranch_execz .LBB466_3177
; %bb.3174:                             ;   in Loop: Header=BB466_2335 Depth=1
	v_and_b32_e32 v12, 7, v10
	v_lshrrev_b32_e32 v11, 3, v9
	v_cmp_gt_u32_e64 s0, 8, v9
	s_delay_alu instid0(VALU_DEP_3) | instskip(NEXT) | instid1(VALU_DEP_2)
	v_dual_mov_b32 v8, v12 :: v_dual_mov_b32 v9, v13
	s_and_saveexec_b32 s15, s0
; %bb.3175:                             ;   in Loop: Header=BB466_2335 Depth=1
	v_clz_i32_u32_e32 v8, v12
	s_delay_alu instid0(VALU_DEP_1) | instskip(NEXT) | instid1(VALU_DEP_1)
	v_min_u32_e32 v11, 32, v8
	v_subrev_nc_u32_e32 v8, 28, v11
	v_sub_nc_u32_e32 v11, 29, v11
	s_delay_alu instid0(VALU_DEP_2) | instskip(NEXT) | instid1(VALU_DEP_1)
	v_lshlrev_b64 v[8:9], v8, v[12:13]
	v_and_b32_e32 v8, 7, v8
; %bb.3176:                             ;   in Loop: Header=BB466_2335 Depth=1
	s_or_b32 exec_lo, exec_lo, s15
	v_lshlrev_b32_e32 v9, 24, v10
	s_delay_alu instid0(VALU_DEP_2) | instskip(SKIP_1) | instid1(VALU_DEP_3)
	v_lshlrev_b32_e32 v8, 20, v8
	v_lshl_add_u32 v10, v11, 23, 0x3c000000
	v_and_b32_e32 v9, 0x80000000, v9
	s_delay_alu instid0(VALU_DEP_1)
	v_or3_b32 v8, v8, v9, v10
.LBB466_3177:                           ;   in Loop: Header=BB466_2335 Depth=1
	s_or_b32 exec_lo, exec_lo, s13
.LBB466_3178:                           ;   in Loop: Header=BB466_2335 Depth=1
	s_delay_alu instid0(SALU_CYCLE_1)
	s_or_b32 exec_lo, exec_lo, s12
.LBB466_3179:                           ;   in Loop: Header=BB466_2335 Depth=1
	s_delay_alu instid0(SALU_CYCLE_1) | instskip(NEXT) | instid1(VALU_DEP_1)
	s_or_b32 exec_lo, exec_lo, s9
	v_mul_f32_e32 v8, v26, v8
                                        ; implicit-def: $vgpr10
	s_delay_alu instid0(VALU_DEP_1) | instskip(NEXT) | instid1(VALU_DEP_1)
	v_and_b32_e32 v9, 0x7f800000, v8
	v_cmp_ne_u32_e64 s0, 0x7f800000, v9
	s_delay_alu instid0(VALU_DEP_1) | instskip(NEXT) | instid1(SALU_CYCLE_1)
	s_and_saveexec_b32 s9, s0
	s_xor_b32 s0, exec_lo, s9
; %bb.3180:                             ;   in Loop: Header=BB466_2335 Depth=1
	v_bfe_u32 v9, v8, 16, 1
	s_delay_alu instid0(VALU_DEP_1)
	v_add3_u32 v10, v8, v9, 0x7fff
                                        ; implicit-def: $vgpr8
; %bb.3181:                             ;   in Loop: Header=BB466_2335 Depth=1
	s_and_not1_saveexec_b32 s9, s0
; %bb.3182:                             ;   in Loop: Header=BB466_2335 Depth=1
	v_and_b32_e32 v9, 0xffff, v8
	v_or_b32_e32 v10, 0x10000, v8
	s_delay_alu instid0(VALU_DEP_2) | instskip(NEXT) | instid1(VALU_DEP_1)
	v_cmp_eq_u32_e64 s0, 0, v9
	v_cndmask_b32_e64 v10, v10, v8, s0
; %bb.3183:                             ;   in Loop: Header=BB466_2335 Depth=1
	s_or_b32 exec_lo, exec_lo, s9
	v_mov_b32_e32 v8, 0
	s_mov_b32 s9, exec_lo
	v_cmpx_lt_u32_e32 0xffffff, v6
	s_cbranch_execz .LBB466_3191
; %bb.3184:                             ;   in Loop: Header=BB466_2335 Depth=1
	v_lshrrev_b32_e32 v11, 24, v6
	v_bfrev_b32_e32 v8, 1
	s_mov_b32 s12, exec_lo
	s_delay_alu instid0(VALU_DEP_2)
	v_cmpx_ne_u32_e32 0x80, v11
	s_cbranch_execz .LBB466_3190
; %bb.3185:                             ;   in Loop: Header=BB466_2335 Depth=1
	v_bfe_u32 v9, v6, 24, 7
	v_mov_b32_e32 v8, 0x7f800001
	s_mov_b32 s13, exec_lo
	s_delay_alu instid0(VALU_DEP_2)
	v_cmpx_ne_u32_e32 0x7f, v9
	s_cbranch_execz .LBB466_3189
; %bb.3186:                             ;   in Loop: Header=BB466_2335 Depth=1
	v_and_b32_e32 v12, 7, v11
	v_lshrrev_b32_e32 v17, 3, v9
	v_cmp_gt_u32_e64 s0, 8, v9
	s_delay_alu instid0(VALU_DEP_3) | instskip(NEXT) | instid1(VALU_DEP_2)
	v_dual_mov_b32 v8, v12 :: v_dual_mov_b32 v9, v13
	s_and_saveexec_b32 s15, s0
; %bb.3187:                             ;   in Loop: Header=BB466_2335 Depth=1
	v_clz_i32_u32_e32 v8, v12
	s_delay_alu instid0(VALU_DEP_1) | instskip(NEXT) | instid1(VALU_DEP_1)
	v_min_u32_e32 v17, 32, v8
	v_subrev_nc_u32_e32 v8, 28, v17
	v_sub_nc_u32_e32 v17, 29, v17
	s_delay_alu instid0(VALU_DEP_2) | instskip(NEXT) | instid1(VALU_DEP_1)
	v_lshlrev_b64 v[8:9], v8, v[12:13]
	v_and_b32_e32 v8, 7, v8
; %bb.3188:                             ;   in Loop: Header=BB466_2335 Depth=1
	s_or_b32 exec_lo, exec_lo, s15
	v_lshlrev_b32_e32 v9, 24, v11
	s_delay_alu instid0(VALU_DEP_2) | instskip(SKIP_1) | instid1(VALU_DEP_3)
	v_lshlrev_b32_e32 v8, 20, v8
	v_lshl_add_u32 v11, v17, 23, 0x3c000000
	v_and_b32_e32 v9, 0x80000000, v9
	s_delay_alu instid0(VALU_DEP_1)
	v_or3_b32 v8, v8, v9, v11
.LBB466_3189:                           ;   in Loop: Header=BB466_2335 Depth=1
	s_or_b32 exec_lo, exec_lo, s13
.LBB466_3190:                           ;   in Loop: Header=BB466_2335 Depth=1
	s_delay_alu instid0(SALU_CYCLE_1)
	s_or_b32 exec_lo, exec_lo, s12
.LBB466_3191:                           ;   in Loop: Header=BB466_2335 Depth=1
	s_delay_alu instid0(SALU_CYCLE_1) | instskip(NEXT) | instid1(VALU_DEP_1)
	s_or_b32 exec_lo, exec_lo, s9
	v_mul_f32_e32 v8, v26, v8
                                        ; implicit-def: $vgpr11
	s_delay_alu instid0(VALU_DEP_1) | instskip(NEXT) | instid1(VALU_DEP_1)
	v_and_b32_e32 v9, 0x7f800000, v8
	v_cmp_ne_u32_e64 s0, 0x7f800000, v9
	s_delay_alu instid0(VALU_DEP_1) | instskip(NEXT) | instid1(SALU_CYCLE_1)
	s_and_saveexec_b32 s9, s0
	s_xor_b32 s0, exec_lo, s9
; %bb.3192:                             ;   in Loop: Header=BB466_2335 Depth=1
	v_bfe_u32 v9, v8, 16, 1
	s_delay_alu instid0(VALU_DEP_1)
	v_add3_u32 v11, v8, v9, 0x7fff
                                        ; implicit-def: $vgpr8
; %bb.3193:                             ;   in Loop: Header=BB466_2335 Depth=1
	s_and_not1_saveexec_b32 s9, s0
; %bb.3194:                             ;   in Loop: Header=BB466_2335 Depth=1
	v_and_b32_e32 v9, 0xffff, v8
	v_or_b32_e32 v11, 0x10000, v8
	s_delay_alu instid0(VALU_DEP_2) | instskip(NEXT) | instid1(VALU_DEP_1)
	v_cmp_eq_u32_e64 s0, 0, v9
	v_cndmask_b32_e64 v11, v11, v8, s0
; %bb.3195:                             ;   in Loop: Header=BB466_2335 Depth=1
	s_or_b32 exec_lo, exec_lo, s9
	v_dual_mov_b32 v12, v7 :: v_dual_and_b32 v9, 0xff, v7
	v_mov_b32_e32 v8, 0
	s_mov_b32 s9, exec_lo
	s_delay_alu instid0(VALU_DEP_2)
	v_cmpx_ne_u16_e32 0, v9
	s_cbranch_execz .LBB466_3203
; %bb.3196:                             ;   in Loop: Header=BB466_2335 Depth=1
	v_bfrev_b32_e32 v8, 1
	s_mov_b32 s12, exec_lo
	v_cmpx_ne_u16_e32 0x80, v9
	s_cbranch_execz .LBB466_3202
; %bb.3197:                             ;   in Loop: Header=BB466_2335 Depth=1
	v_and_b32_e32 v9, 0x7f, v7
	v_mov_b32_e32 v8, 0x7f800001
	s_mov_b32 s13, exec_lo
	s_delay_alu instid0(VALU_DEP_2)
	v_cmpx_ne_u32_e32 0x7f, v9
	s_cbranch_execz .LBB466_3201
; %bb.3198:                             ;   in Loop: Header=BB466_2335 Depth=1
	v_lshrrev_b32_e32 v17, 3, v9
	v_cmp_gt_u32_e64 s0, 8, v9
	v_dual_mov_b32 v8, v12 :: v_dual_mov_b32 v9, v13
	s_delay_alu instid0(VALU_DEP_2)
	s_and_saveexec_b32 s15, s0
; %bb.3199:                             ;   in Loop: Header=BB466_2335 Depth=1
	v_and_b32_e32 v8, 7, v7
	s_delay_alu instid0(VALU_DEP_1) | instskip(NEXT) | instid1(VALU_DEP_1)
	v_clz_i32_u32_e32 v8, v8
	v_min_u32_e32 v17, 32, v8
	s_delay_alu instid0(VALU_DEP_1) | instskip(SKIP_1) | instid1(VALU_DEP_2)
	v_subrev_nc_u32_e32 v8, 28, v17
	v_sub_nc_u32_e32 v17, 29, v17
	v_lshlrev_b64 v[8:9], v8, v[12:13]
; %bb.3200:                             ;   in Loop: Header=BB466_2335 Depth=1
	s_or_b32 exec_lo, exec_lo, s15
	s_delay_alu instid0(VALU_DEP_1) | instskip(SKIP_2) | instid1(VALU_DEP_3)
	v_lshlrev_b32_e32 v8, 20, v8
	v_lshlrev_b32_e32 v9, 24, v12
	v_lshl_add_u32 v17, v17, 23, 0x3c000000
	v_and_b32_e32 v8, 0x700000, v8
	s_delay_alu instid0(VALU_DEP_3) | instskip(NEXT) | instid1(VALU_DEP_1)
	v_and_b32_e32 v9, 0x80000000, v9
	v_or3_b32 v8, v8, v9, v17
.LBB466_3201:                           ;   in Loop: Header=BB466_2335 Depth=1
	s_or_b32 exec_lo, exec_lo, s13
.LBB466_3202:                           ;   in Loop: Header=BB466_2335 Depth=1
	s_delay_alu instid0(SALU_CYCLE_1)
	s_or_b32 exec_lo, exec_lo, s12
.LBB466_3203:                           ;   in Loop: Header=BB466_2335 Depth=1
	s_delay_alu instid0(SALU_CYCLE_1) | instskip(NEXT) | instid1(VALU_DEP_1)
	s_or_b32 exec_lo, exec_lo, s9
	v_mul_f32_e32 v8, v26, v8
                                        ; implicit-def: $vgpr17
	s_delay_alu instid0(VALU_DEP_1) | instskip(NEXT) | instid1(VALU_DEP_1)
	v_and_b32_e32 v9, 0x7f800000, v8
	v_cmp_ne_u32_e64 s0, 0x7f800000, v9
	s_delay_alu instid0(VALU_DEP_1) | instskip(NEXT) | instid1(SALU_CYCLE_1)
	s_and_saveexec_b32 s9, s0
	s_xor_b32 s0, exec_lo, s9
; %bb.3204:                             ;   in Loop: Header=BB466_2335 Depth=1
	v_bfe_u32 v9, v8, 16, 1
	s_delay_alu instid0(VALU_DEP_1)
	v_add3_u32 v17, v8, v9, 0x7fff
                                        ; implicit-def: $vgpr8
; %bb.3205:                             ;   in Loop: Header=BB466_2335 Depth=1
	s_and_not1_saveexec_b32 s9, s0
; %bb.3206:                             ;   in Loop: Header=BB466_2335 Depth=1
	v_and_b32_e32 v9, 0xffff, v8
	v_or_b32_e32 v17, 0x10000, v8
	s_delay_alu instid0(VALU_DEP_2) | instskip(NEXT) | instid1(VALU_DEP_1)
	v_cmp_eq_u32_e64 s0, 0, v9
	v_cndmask_b32_e64 v17, v17, v8, s0
; %bb.3207:                             ;   in Loop: Header=BB466_2335 Depth=1
	s_or_b32 exec_lo, exec_lo, s9
	v_lshrrev_b16 v9, 8, v12
	v_mov_b32_e32 v8, 0
	s_mov_b32 s9, exec_lo
	s_delay_alu instid0(VALU_DEP_2)
	v_cmpx_ne_u16_e32 0, v9
	s_cbranch_execz .LBB466_3215
; %bb.3208:                             ;   in Loop: Header=BB466_2335 Depth=1
	v_bfrev_b32_e32 v8, 1
	s_mov_b32 s12, exec_lo
	v_cmpx_ne_u16_e32 0x80, v9
	s_cbranch_execz .LBB466_3214
; %bb.3209:                             ;   in Loop: Header=BB466_2335 Depth=1
	v_and_b32_e32 v9, 0xffff, v9
	v_mov_b32_e32 v8, 0x7f800001
	s_mov_b32 s13, exec_lo
	s_delay_alu instid0(VALU_DEP_2) | instskip(NEXT) | instid1(VALU_DEP_1)
	v_and_b32_e32 v19, 0x7f, v9
	v_cmpx_ne_u32_e32 0x7f, v19
	s_cbranch_execz .LBB466_3213
; %bb.3210:                             ;   in Loop: Header=BB466_2335 Depth=1
	v_dual_mov_b32 v9, v13 :: v_dual_and_b32 v8, 7, v9
	v_lshrrev_b32_e32 v18, 3, v19
	s_mov_b32 s15, exec_lo
	v_cmpx_gt_u32_e32 8, v19
; %bb.3211:                             ;   in Loop: Header=BB466_2335 Depth=1
	s_delay_alu instid0(VALU_DEP_3) | instskip(NEXT) | instid1(VALU_DEP_1)
	v_clz_i32_u32_e32 v18, v8
	v_min_u32_e32 v18, 32, v18
	s_delay_alu instid0(VALU_DEP_1) | instskip(SKIP_1) | instid1(VALU_DEP_2)
	v_subrev_nc_u32_e32 v19, 28, v18
	v_sub_nc_u32_e32 v18, 29, v18
	v_lshlrev_b64 v[8:9], v19, v[8:9]
	s_delay_alu instid0(VALU_DEP_1)
	v_and_b32_e32 v8, 7, v8
; %bb.3212:                             ;   in Loop: Header=BB466_2335 Depth=1
	s_or_b32 exec_lo, exec_lo, s15
	v_lshlrev_b32_e32 v9, 16, v12
	s_delay_alu instid0(VALU_DEP_2) | instskip(SKIP_1) | instid1(VALU_DEP_3)
	v_lshlrev_b32_e32 v8, 20, v8
	v_lshl_add_u32 v12, v18, 23, 0x3c000000
	v_and_b32_e32 v9, 0x80000000, v9
	s_delay_alu instid0(VALU_DEP_1)
	v_or3_b32 v8, v8, v9, v12
.LBB466_3213:                           ;   in Loop: Header=BB466_2335 Depth=1
	s_or_b32 exec_lo, exec_lo, s13
.LBB466_3214:                           ;   in Loop: Header=BB466_2335 Depth=1
	s_delay_alu instid0(SALU_CYCLE_1)
	s_or_b32 exec_lo, exec_lo, s12
.LBB466_3215:                           ;   in Loop: Header=BB466_2335 Depth=1
	s_delay_alu instid0(SALU_CYCLE_1) | instskip(NEXT) | instid1(VALU_DEP_1)
	s_or_b32 exec_lo, exec_lo, s9
	v_mul_f32_e32 v8, v26, v8
                                        ; implicit-def: $vgpr18
	s_delay_alu instid0(VALU_DEP_1) | instskip(NEXT) | instid1(VALU_DEP_1)
	v_and_b32_e32 v9, 0x7f800000, v8
	v_cmp_ne_u32_e64 s0, 0x7f800000, v9
	s_delay_alu instid0(VALU_DEP_1) | instskip(NEXT) | instid1(SALU_CYCLE_1)
	s_and_saveexec_b32 s9, s0
	s_xor_b32 s0, exec_lo, s9
; %bb.3216:                             ;   in Loop: Header=BB466_2335 Depth=1
	v_bfe_u32 v9, v8, 16, 1
	s_delay_alu instid0(VALU_DEP_1)
	v_add3_u32 v18, v8, v9, 0x7fff
                                        ; implicit-def: $vgpr8
; %bb.3217:                             ;   in Loop: Header=BB466_2335 Depth=1
	s_and_not1_saveexec_b32 s9, s0
; %bb.3218:                             ;   in Loop: Header=BB466_2335 Depth=1
	v_and_b32_e32 v9, 0xffff, v8
	v_or_b32_e32 v12, 0x10000, v8
	s_delay_alu instid0(VALU_DEP_2) | instskip(NEXT) | instid1(VALU_DEP_1)
	v_cmp_eq_u32_e64 s0, 0, v9
	v_cndmask_b32_e64 v18, v12, v8, s0
; %bb.3219:                             ;   in Loop: Header=BB466_2335 Depth=1
	s_or_b32 exec_lo, exec_lo, s9
	v_lshrrev_b32_e32 v19, 16, v7
	s_mov_b32 s9, exec_lo
	s_delay_alu instid0(VALU_DEP_1) | instskip(NEXT) | instid1(VALU_DEP_1)
	v_dual_mov_b32 v8, 0 :: v_dual_and_b32 v9, 0xff, v19
	v_cmpx_ne_u16_e32 0, v9
	s_cbranch_execz .LBB466_3227
; %bb.3220:                             ;   in Loop: Header=BB466_2335 Depth=1
	v_bfrev_b32_e32 v8, 1
	s_mov_b32 s12, exec_lo
	v_cmpx_ne_u16_e32 0x80, v9
	s_cbranch_execz .LBB466_3226
; %bb.3221:                             ;   in Loop: Header=BB466_2335 Depth=1
	v_bfe_u32 v9, v7, 16, 7
	v_mov_b32_e32 v8, 0x7f800001
	s_mov_b32 s13, exec_lo
	s_delay_alu instid0(VALU_DEP_2)
	v_cmpx_ne_u32_e32 0x7f, v9
	s_cbranch_execz .LBB466_3225
; %bb.3222:                             ;   in Loop: Header=BB466_2335 Depth=1
	v_and_b32_e32 v12, 7, v19
	v_lshrrev_b32_e32 v20, 3, v9
	v_cmp_gt_u32_e64 s0, 8, v9
	s_delay_alu instid0(VALU_DEP_3) | instskip(NEXT) | instid1(VALU_DEP_2)
	v_dual_mov_b32 v8, v12 :: v_dual_mov_b32 v9, v13
	s_and_saveexec_b32 s15, s0
; %bb.3223:                             ;   in Loop: Header=BB466_2335 Depth=1
	v_clz_i32_u32_e32 v8, v12
	s_delay_alu instid0(VALU_DEP_1) | instskip(NEXT) | instid1(VALU_DEP_1)
	v_min_u32_e32 v20, 32, v8
	v_subrev_nc_u32_e32 v8, 28, v20
	v_sub_nc_u32_e32 v20, 29, v20
	s_delay_alu instid0(VALU_DEP_2) | instskip(NEXT) | instid1(VALU_DEP_1)
	v_lshlrev_b64 v[8:9], v8, v[12:13]
	v_and_b32_e32 v8, 7, v8
; %bb.3224:                             ;   in Loop: Header=BB466_2335 Depth=1
	s_or_b32 exec_lo, exec_lo, s15
	v_lshlrev_b32_e32 v9, 24, v19
	s_delay_alu instid0(VALU_DEP_2) | instskip(SKIP_1) | instid1(VALU_DEP_3)
	v_lshlrev_b32_e32 v8, 20, v8
	v_lshl_add_u32 v12, v20, 23, 0x3c000000
	v_and_b32_e32 v9, 0x80000000, v9
	s_delay_alu instid0(VALU_DEP_1)
	v_or3_b32 v8, v8, v9, v12
.LBB466_3225:                           ;   in Loop: Header=BB466_2335 Depth=1
	s_or_b32 exec_lo, exec_lo, s13
.LBB466_3226:                           ;   in Loop: Header=BB466_2335 Depth=1
	s_delay_alu instid0(SALU_CYCLE_1)
	s_or_b32 exec_lo, exec_lo, s12
.LBB466_3227:                           ;   in Loop: Header=BB466_2335 Depth=1
	s_delay_alu instid0(SALU_CYCLE_1) | instskip(NEXT) | instid1(VALU_DEP_1)
	s_or_b32 exec_lo, exec_lo, s9
	v_mul_f32_e32 v8, v26, v8
                                        ; implicit-def: $vgpr19
	s_delay_alu instid0(VALU_DEP_1) | instskip(NEXT) | instid1(VALU_DEP_1)
	v_and_b32_e32 v9, 0x7f800000, v8
	v_cmp_ne_u32_e64 s0, 0x7f800000, v9
	s_delay_alu instid0(VALU_DEP_1) | instskip(NEXT) | instid1(SALU_CYCLE_1)
	s_and_saveexec_b32 s9, s0
	s_xor_b32 s0, exec_lo, s9
; %bb.3228:                             ;   in Loop: Header=BB466_2335 Depth=1
	v_bfe_u32 v9, v8, 16, 1
	s_delay_alu instid0(VALU_DEP_1)
	v_add3_u32 v19, v8, v9, 0x7fff
                                        ; implicit-def: $vgpr8
; %bb.3229:                             ;   in Loop: Header=BB466_2335 Depth=1
	s_and_not1_saveexec_b32 s9, s0
; %bb.3230:                             ;   in Loop: Header=BB466_2335 Depth=1
	v_and_b32_e32 v9, 0xffff, v8
	v_or_b32_e32 v12, 0x10000, v8
	s_delay_alu instid0(VALU_DEP_2) | instskip(NEXT) | instid1(VALU_DEP_1)
	v_cmp_eq_u32_e64 s0, 0, v9
	v_cndmask_b32_e64 v19, v12, v8, s0
; %bb.3231:                             ;   in Loop: Header=BB466_2335 Depth=1
	s_or_b32 exec_lo, exec_lo, s9
	v_cmp_lt_u64_e64 s0, s[2:3], v[6:7]
	v_mov_b32_e32 v6, 0
	s_delay_alu instid0(VALU_DEP_2)
	s_and_saveexec_b32 s9, s0
	s_cbranch_execz .LBB466_3239
; %bb.3232:                             ;   in Loop: Header=BB466_2335 Depth=1
	v_lshrrev_b32_e32 v8, 24, v7
	v_bfrev_b32_e32 v6, 1
	s_mov_b32 s12, exec_lo
	s_delay_alu instid0(VALU_DEP_2)
	v_cmpx_ne_u32_e32 0x80, v8
	s_cbranch_execz .LBB466_3238
; %bb.3233:                             ;   in Loop: Header=BB466_2335 Depth=1
	v_bfe_u32 v7, v7, 24, 7
	v_mov_b32_e32 v6, 0x7f800001
	s_mov_b32 s13, exec_lo
	s_delay_alu instid0(VALU_DEP_2)
	v_cmpx_ne_u32_e32 0x7f, v7
	s_cbranch_execz .LBB466_3237
; %bb.3234:                             ;   in Loop: Header=BB466_2335 Depth=1
	v_and_b32_e32 v12, 7, v8
	v_lshrrev_b32_e32 v9, 3, v7
	v_cmp_gt_u32_e64 s0, 8, v7
	s_delay_alu instid0(VALU_DEP_3) | instskip(NEXT) | instid1(VALU_DEP_2)
	v_dual_mov_b32 v6, v12 :: v_dual_mov_b32 v7, v13
	s_and_saveexec_b32 s15, s0
; %bb.3235:                             ;   in Loop: Header=BB466_2335 Depth=1
	v_clz_i32_u32_e32 v6, v12
	s_delay_alu instid0(VALU_DEP_1) | instskip(NEXT) | instid1(VALU_DEP_1)
	v_min_u32_e32 v9, 32, v6
	v_subrev_nc_u32_e32 v6, 28, v9
	v_sub_nc_u32_e32 v9, 29, v9
	s_delay_alu instid0(VALU_DEP_2) | instskip(NEXT) | instid1(VALU_DEP_1)
	v_lshlrev_b64 v[6:7], v6, v[12:13]
	v_and_b32_e32 v6, 7, v6
; %bb.3236:                             ;   in Loop: Header=BB466_2335 Depth=1
	s_or_b32 exec_lo, exec_lo, s15
	v_lshlrev_b32_e32 v7, 24, v8
	s_delay_alu instid0(VALU_DEP_2) | instskip(SKIP_1) | instid1(VALU_DEP_3)
	v_lshlrev_b32_e32 v6, 20, v6
	v_lshl_add_u32 v8, v9, 23, 0x3c000000
	v_and_b32_e32 v7, 0x80000000, v7
	s_delay_alu instid0(VALU_DEP_1)
	v_or3_b32 v6, v6, v7, v8
.LBB466_3237:                           ;   in Loop: Header=BB466_2335 Depth=1
	s_or_b32 exec_lo, exec_lo, s13
.LBB466_3238:                           ;   in Loop: Header=BB466_2335 Depth=1
	s_delay_alu instid0(SALU_CYCLE_1)
	s_or_b32 exec_lo, exec_lo, s12
.LBB466_3239:                           ;   in Loop: Header=BB466_2335 Depth=1
	s_delay_alu instid0(SALU_CYCLE_1) | instskip(NEXT) | instid1(VALU_DEP_1)
	s_or_b32 exec_lo, exec_lo, s9
	v_mul_f32_e32 v7, v26, v6
	s_delay_alu instid0(VALU_DEP_1) | instskip(NEXT) | instid1(VALU_DEP_1)
	v_and_b32_e32 v6, 0x7f800000, v7
	v_cmp_ne_u32_e64 s0, 0x7f800000, v6
                                        ; implicit-def: $vgpr6
	s_delay_alu instid0(VALU_DEP_1) | instskip(NEXT) | instid1(SALU_CYCLE_1)
	s_and_saveexec_b32 s9, s0
	s_xor_b32 s0, exec_lo, s9
; %bb.3240:                             ;   in Loop: Header=BB466_2335 Depth=1
	v_bfe_u32 v6, v7, 16, 1
	s_delay_alu instid0(VALU_DEP_1)
	v_add3_u32 v6, v7, v6, 0x7fff
                                        ; implicit-def: $vgpr7
; %bb.3241:                             ;   in Loop: Header=BB466_2335 Depth=1
	s_and_not1_saveexec_b32 s9, s0
; %bb.3242:                             ;   in Loop: Header=BB466_2335 Depth=1
	v_and_b32_e32 v6, 0xffff, v7
	v_or_b32_e32 v8, 0x10000, v7
	s_delay_alu instid0(VALU_DEP_2) | instskip(NEXT) | instid1(VALU_DEP_1)
	v_cmp_eq_u32_e64 s0, 0, v6
	v_cndmask_b32_e64 v6, v8, v7, s0
; %bb.3243:                             ;   in Loop: Header=BB466_2335 Depth=1
	s_or_b32 exec_lo, exec_lo, s9
	v_lshrrev_b32_e32 v8, 16, v18
	v_lshrrev_b32_e32 v9, 16, v17
	;; [unrolled: 1-line block ×8, first 2 shown]
	s_and_saveexec_b32 s9, vcc_lo
	s_cbranch_execz .LBB466_3245
; %bb.3244:                             ;   in Loop: Header=BB466_2335 Depth=1
	v_cmp_lt_i32_e64 s0, v130, v36
	s_delay_alu instid0(VALU_DEP_1) | instskip(SKIP_1) | instid1(VALU_DEP_1)
	v_cndmask_b32_e64 v4, 0, v4, s0
	v_cmp_lt_i32_e64 s0, v133, v36
	v_cndmask_b32_e64 v5, 0, v5, s0
	v_cmp_lt_i32_e64 s0, v132, v36
	s_delay_alu instid0(VALU_DEP_1) | instskip(SKIP_1) | instid1(VALU_DEP_1)
	v_cndmask_b32_e64 v10, 0, v10, s0
	v_cmp_lt_i32_e64 s0, v131, v36
	v_cndmask_b32_e64 v11, 0, v11, s0
	;; [unrolled: 5-line block ×4, first 2 shown]
.LBB466_3245:                           ;   in Loop: Header=BB466_2335 Depth=1
	s_or_b32 exec_lo, exec_lo, s9
	v_lshlrev_b32_e32 v4, 16, v4
	s_delay_alu instid0(VALU_DEP_1) | instskip(NEXT) | instid1(VALU_DEP_1)
	v_mul_f32_e32 v4, v134, v4
	v_and_b32_e32 v12, 0x7f800000, v4
	s_delay_alu instid0(VALU_DEP_1) | instskip(NEXT) | instid1(VALU_DEP_1)
	v_cmp_ne_u32_e64 s0, 0x7f800000, v12
                                        ; implicit-def: $vgpr12
                                        ; kill: killed $vgpr12
	s_and_saveexec_b32 s9, s0
	s_delay_alu instid0(SALU_CYCLE_1)
	s_xor_b32 s0, exec_lo, s9
	s_cbranch_execz .LBB466_3247
; %bb.3246:                             ;   in Loop: Header=BB466_2335 Depth=1
	v_bfe_u32 v12, v4, 16, 1
	s_delay_alu instid0(VALU_DEP_1)
	v_add3_u32 v4, v4, v12, 0x7fff
	scratch_store_b32 off, v4, s32 offset:524 ; 4-byte Folded Spill
                                        ; implicit-def: $vgpr4
.LBB466_3247:                           ;   in Loop: Header=BB466_2335 Depth=1
	s_and_not1_saveexec_b32 s9, s0
	s_cbranch_execz .LBB466_3249
; %bb.3248:                             ;   in Loop: Header=BB466_2335 Depth=1
	v_and_b32_e32 v12, 0xffff, v4
	v_or_b32_e32 v17, 0x10000, v4
	s_delay_alu instid0(VALU_DEP_2) | instskip(NEXT) | instid1(VALU_DEP_1)
	v_cmp_eq_u32_e64 s0, 0, v12
	v_cndmask_b32_e64 v4, v17, v4, s0
	scratch_store_b32 off, v4, s32 offset:524 ; 4-byte Folded Spill
.LBB466_3249:                           ;   in Loop: Header=BB466_2335 Depth=1
	s_or_b32 exec_lo, exec_lo, s9
	v_lshlrev_b32_e32 v4, 16, v5
	s_delay_alu instid0(VALU_DEP_1) | instskip(NEXT) | instid1(VALU_DEP_1)
	v_mul_f32_e32 v4, v135, v4
	v_and_b32_e32 v5, 0x7f800000, v4
	s_delay_alu instid0(VALU_DEP_1) | instskip(NEXT) | instid1(VALU_DEP_1)
	v_cmp_ne_u32_e64 s0, 0x7f800000, v5
                                        ; implicit-def: $vgpr5
                                        ; kill: killed $vgpr5
	s_and_saveexec_b32 s9, s0
	s_delay_alu instid0(SALU_CYCLE_1)
	s_xor_b32 s0, exec_lo, s9
	s_cbranch_execz .LBB466_3251
; %bb.3250:                             ;   in Loop: Header=BB466_2335 Depth=1
	v_bfe_u32 v5, v4, 16, 1
	s_delay_alu instid0(VALU_DEP_1)
	v_add3_u32 v4, v4, v5, 0x7fff
	scratch_store_b32 off, v4, s32 offset:528 ; 4-byte Folded Spill
                                        ; implicit-def: $vgpr4
.LBB466_3251:                           ;   in Loop: Header=BB466_2335 Depth=1
	s_and_not1_saveexec_b32 s9, s0
	s_cbranch_execz .LBB466_3253
; %bb.3252:                             ;   in Loop: Header=BB466_2335 Depth=1
	v_and_b32_e32 v5, 0xffff, v4
	v_or_b32_e32 v12, 0x10000, v4
	s_delay_alu instid0(VALU_DEP_2) | instskip(NEXT) | instid1(VALU_DEP_1)
	v_cmp_eq_u32_e64 s0, 0, v5
	v_cndmask_b32_e64 v4, v12, v4, s0
	scratch_store_b32 off, v4, s32 offset:528 ; 4-byte Folded Spill
.LBB466_3253:                           ;   in Loop: Header=BB466_2335 Depth=1
	s_or_b32 exec_lo, exec_lo, s9
	v_lshlrev_b32_e32 v4, 16, v10
	s_delay_alu instid0(VALU_DEP_1) | instskip(NEXT) | instid1(VALU_DEP_1)
	v_mul_f32_e32 v4, v144, v4
	v_and_b32_e32 v5, 0x7f800000, v4
	s_delay_alu instid0(VALU_DEP_1) | instskip(NEXT) | instid1(VALU_DEP_1)
	v_cmp_ne_u32_e64 s0, 0x7f800000, v5
                                        ; implicit-def: $vgpr5
                                        ; kill: killed $vgpr5
	;; [unrolled: 30-line block ×3, first 2 shown]
	s_and_saveexec_b32 s9, s0
	s_delay_alu instid0(SALU_CYCLE_1)
	s_xor_b32 s0, exec_lo, s9
	s_cbranch_execz .LBB466_3259
; %bb.3258:                             ;   in Loop: Header=BB466_2335 Depth=1
	v_bfe_u32 v5, v4, 16, 1
	s_delay_alu instid0(VALU_DEP_1)
	v_add3_u32 v4, v4, v5, 0x7fff
	scratch_store_b32 off, v4, s32 offset:536 ; 4-byte Folded Spill
                                        ; implicit-def: $vgpr4
.LBB466_3259:                           ;   in Loop: Header=BB466_2335 Depth=1
	s_and_not1_saveexec_b32 s9, s0
	s_cbranch_execz .LBB466_3261
; %bb.3260:                             ;   in Loop: Header=BB466_2335 Depth=1
	v_and_b32_e32 v5, 0xffff, v4
	v_or_b32_e32 v10, 0x10000, v4
	s_delay_alu instid0(VALU_DEP_2) | instskip(NEXT) | instid1(VALU_DEP_1)
	v_cmp_eq_u32_e64 s0, 0, v5
	v_cndmask_b32_e64 v4, v10, v4, s0
	scratch_store_b32 off, v4, s32 offset:536 ; 4-byte Folded Spill
.LBB466_3261:                           ;   in Loop: Header=BB466_2335 Depth=1
	s_or_b32 exec_lo, exec_lo, s9
	v_lshlrev_b32_e32 v4, 16, v9
                                        ; implicit-def: $vgpr23
	s_delay_alu instid0(VALU_DEP_1) | instskip(NEXT) | instid1(VALU_DEP_1)
	v_mul_f32_e32 v4, v146, v4
	v_and_b32_e32 v5, 0x7f800000, v4
	s_delay_alu instid0(VALU_DEP_1) | instskip(NEXT) | instid1(VALU_DEP_1)
	v_cmp_ne_u32_e64 s0, 0x7f800000, v5
	s_and_saveexec_b32 s9, s0
	s_delay_alu instid0(SALU_CYCLE_1)
	s_xor_b32 s0, exec_lo, s9
; %bb.3262:                             ;   in Loop: Header=BB466_2335 Depth=1
	v_bfe_u32 v5, v4, 16, 1
	s_delay_alu instid0(VALU_DEP_1)
	v_add3_u32 v23, v4, v5, 0x7fff
                                        ; implicit-def: $vgpr4
; %bb.3263:                             ;   in Loop: Header=BB466_2335 Depth=1
	s_and_not1_saveexec_b32 s9, s0
; %bb.3264:                             ;   in Loop: Header=BB466_2335 Depth=1
	v_and_b32_e32 v5, 0xffff, v4
	v_or_b32_e32 v9, 0x10000, v4
	s_delay_alu instid0(VALU_DEP_2) | instskip(NEXT) | instid1(VALU_DEP_1)
	v_cmp_eq_u32_e64 s0, 0, v5
	v_cndmask_b32_e64 v23, v9, v4, s0
; %bb.3265:                             ;   in Loop: Header=BB466_2335 Depth=1
	s_or_b32 exec_lo, exec_lo, s9
	v_lshlrev_b32_e32 v4, 16, v8
                                        ; implicit-def: $vgpr34
	s_delay_alu instid0(VALU_DEP_1) | instskip(NEXT) | instid1(VALU_DEP_1)
	v_mul_f32_e32 v4, v147, v4
	v_and_b32_e32 v5, 0x7f800000, v4
	s_delay_alu instid0(VALU_DEP_1) | instskip(NEXT) | instid1(VALU_DEP_1)
	v_cmp_ne_u32_e64 s0, 0x7f800000, v5
	s_and_saveexec_b32 s9, s0
	s_delay_alu instid0(SALU_CYCLE_1)
	s_xor_b32 s0, exec_lo, s9
; %bb.3266:                             ;   in Loop: Header=BB466_2335 Depth=1
	v_bfe_u32 v5, v4, 16, 1
	s_delay_alu instid0(VALU_DEP_1)
	v_add3_u32 v34, v4, v5, 0x7fff
                                        ; implicit-def: $vgpr4
; %bb.3267:                             ;   in Loop: Header=BB466_2335 Depth=1
	s_and_not1_saveexec_b32 s9, s0
; %bb.3268:                             ;   in Loop: Header=BB466_2335 Depth=1
	v_and_b32_e32 v5, 0xffff, v4
	v_or_b32_e32 v8, 0x10000, v4
	s_delay_alu instid0(VALU_DEP_2) | instskip(NEXT) | instid1(VALU_DEP_1)
	v_cmp_eq_u32_e64 s0, 0, v5
	v_cndmask_b32_e64 v34, v8, v4, s0
; %bb.3269:                             ;   in Loop: Header=BB466_2335 Depth=1
	s_or_b32 exec_lo, exec_lo, s9
	v_lshlrev_b32_e32 v4, 16, v7
                                        ; implicit-def: $vgpr35
	s_delay_alu instid0(VALU_DEP_1) | instskip(NEXT) | instid1(VALU_DEP_1)
	v_mul_f32_e32 v4, v148, v4
	v_and_b32_e32 v5, 0x7f800000, v4
	s_delay_alu instid0(VALU_DEP_1) | instskip(NEXT) | instid1(VALU_DEP_1)
	v_cmp_ne_u32_e64 s0, 0x7f800000, v5
	s_and_saveexec_b32 s9, s0
	s_delay_alu instid0(SALU_CYCLE_1)
	s_xor_b32 s0, exec_lo, s9
; %bb.3270:                             ;   in Loop: Header=BB466_2335 Depth=1
	v_bfe_u32 v5, v4, 16, 1
	s_delay_alu instid0(VALU_DEP_1)
	v_add3_u32 v35, v4, v5, 0x7fff
                                        ; implicit-def: $vgpr4
; %bb.3271:                             ;   in Loop: Header=BB466_2335 Depth=1
	s_and_not1_saveexec_b32 s9, s0
; %bb.3272:                             ;   in Loop: Header=BB466_2335 Depth=1
	v_and_b32_e32 v5, 0xffff, v4
	v_or_b32_e32 v7, 0x10000, v4
	s_delay_alu instid0(VALU_DEP_2) | instskip(NEXT) | instid1(VALU_DEP_1)
	v_cmp_eq_u32_e64 s0, 0, v5
	v_cndmask_b32_e64 v35, v7, v4, s0
; %bb.3273:                             ;   in Loop: Header=BB466_2335 Depth=1
	s_or_b32 exec_lo, exec_lo, s9
	v_lshlrev_b32_e32 v4, 16, v6
                                        ; implicit-def: $vgpr72
	s_delay_alu instid0(VALU_DEP_1) | instskip(NEXT) | instid1(VALU_DEP_1)
	v_mul_f32_e32 v4, v149, v4
	v_and_b32_e32 v5, 0x7f800000, v4
	s_delay_alu instid0(VALU_DEP_1) | instskip(NEXT) | instid1(VALU_DEP_1)
	v_cmp_ne_u32_e64 s0, 0x7f800000, v5
	s_and_saveexec_b32 s9, s0
	s_delay_alu instid0(SALU_CYCLE_1)
	s_xor_b32 s0, exec_lo, s9
; %bb.3274:                             ;   in Loop: Header=BB466_2335 Depth=1
	v_bfe_u32 v5, v4, 16, 1
	s_delay_alu instid0(VALU_DEP_1)
	v_add3_u32 v72, v4, v5, 0x7fff
                                        ; implicit-def: $vgpr4
; %bb.3275:                             ;   in Loop: Header=BB466_2335 Depth=1
	s_and_not1_saveexec_b32 s9, s0
; %bb.3276:                             ;   in Loop: Header=BB466_2335 Depth=1
	v_and_b32_e32 v5, 0xffff, v4
	v_or_b32_e32 v6, 0x10000, v4
	s_delay_alu instid0(VALU_DEP_2) | instskip(NEXT) | instid1(VALU_DEP_1)
	v_cmp_eq_u32_e64 s0, 0, v5
	v_cndmask_b32_e64 v72, v6, v4, s0
; %bb.3277:                             ;   in Loop: Header=BB466_2335 Depth=1
	s_or_b32 exec_lo, exec_lo, s9
	flat_load_b64 v[6:7], v[2:3] offset:1792
	s_mov_b32 s9, exec_lo
	s_waitcnt vmcnt(0) lgkmcnt(0)
	v_dual_mov_b32 v4, 0 :: v_dual_and_b32 v5, 0xff, v6
	s_delay_alu instid0(VALU_DEP_1)
	v_cmpx_ne_u16_e32 0, v5
	s_cbranch_execz .LBB466_3285
; %bb.3278:                             ;   in Loop: Header=BB466_2335 Depth=1
	v_bfrev_b32_e32 v4, 1
	s_mov_b32 s12, exec_lo
	v_cmpx_ne_u16_e32 0x80, v5
	s_cbranch_execz .LBB466_3284
; %bb.3279:                             ;   in Loop: Header=BB466_2335 Depth=1
	v_and_b32_e32 v5, 0x7f, v6
	v_mov_b32_e32 v4, 0x7f800001
	s_mov_b32 s13, exec_lo
	s_delay_alu instid0(VALU_DEP_2)
	v_cmpx_ne_u32_e32 0x7f, v5
	s_cbranch_execz .LBB466_3283
; %bb.3280:                             ;   in Loop: Header=BB466_2335 Depth=1
	v_lshrrev_b32_e32 v4, 3, v5
	v_dual_mov_b32 v9, v7 :: v_dual_mov_b32 v8, v6
	s_mov_b32 s15, exec_lo
	v_cmpx_gt_u32_e32 8, v5
; %bb.3281:                             ;   in Loop: Header=BB466_2335 Depth=1
	v_and_b32_e32 v4, 7, v6
	s_delay_alu instid0(VALU_DEP_1) | instskip(NEXT) | instid1(VALU_DEP_1)
	v_clz_i32_u32_e32 v4, v4
	v_min_u32_e32 v4, 32, v4
	s_delay_alu instid0(VALU_DEP_1) | instskip(SKIP_1) | instid1(VALU_DEP_2)
	v_subrev_nc_u32_e32 v5, 28, v4
	v_sub_nc_u32_e32 v4, 29, v4
	v_lshlrev_b64 v[8:9], v5, v[6:7]
; %bb.3282:                             ;   in Loop: Header=BB466_2335 Depth=1
	s_or_b32 exec_lo, exec_lo, s15
	s_delay_alu instid0(VALU_DEP_1) | instskip(SKIP_2) | instid1(VALU_DEP_3)
	v_lshlrev_b32_e32 v5, 20, v8
	v_lshlrev_b32_e32 v8, 24, v6
	v_lshl_add_u32 v4, v4, 23, 0x3c000000
	v_and_b32_e32 v5, 0x700000, v5
	s_delay_alu instid0(VALU_DEP_3) | instskip(NEXT) | instid1(VALU_DEP_1)
	v_and_b32_e32 v8, 0x80000000, v8
	v_or3_b32 v4, v5, v8, v4
.LBB466_3283:                           ;   in Loop: Header=BB466_2335 Depth=1
	s_or_b32 exec_lo, exec_lo, s13
.LBB466_3284:                           ;   in Loop: Header=BB466_2335 Depth=1
	s_delay_alu instid0(SALU_CYCLE_1)
	s_or_b32 exec_lo, exec_lo, s12
.LBB466_3285:                           ;   in Loop: Header=BB466_2335 Depth=1
	s_delay_alu instid0(SALU_CYCLE_1) | instskip(NEXT) | instid1(VALU_DEP_1)
	s_or_b32 exec_lo, exec_lo, s9
	v_mul_f32_e32 v4, v26, v4
                                        ; implicit-def: $vgpr10
	s_delay_alu instid0(VALU_DEP_1) | instskip(NEXT) | instid1(VALU_DEP_1)
	v_and_b32_e32 v5, 0x7f800000, v4
	v_cmp_ne_u32_e64 s0, 0x7f800000, v5
	s_delay_alu instid0(VALU_DEP_1) | instskip(NEXT) | instid1(SALU_CYCLE_1)
	s_and_saveexec_b32 s9, s0
	s_xor_b32 s0, exec_lo, s9
; %bb.3286:                             ;   in Loop: Header=BB466_2335 Depth=1
	v_bfe_u32 v5, v4, 16, 1
	s_delay_alu instid0(VALU_DEP_1)
	v_add3_u32 v10, v4, v5, 0x7fff
                                        ; implicit-def: $vgpr4
; %bb.3287:                             ;   in Loop: Header=BB466_2335 Depth=1
	s_and_not1_saveexec_b32 s9, s0
; %bb.3288:                             ;   in Loop: Header=BB466_2335 Depth=1
	v_and_b32_e32 v5, 0xffff, v4
	v_or_b32_e32 v8, 0x10000, v4
	s_delay_alu instid0(VALU_DEP_2) | instskip(NEXT) | instid1(VALU_DEP_1)
	v_cmp_eq_u32_e64 s0, 0, v5
	v_cndmask_b32_e64 v10, v8, v4, s0
; %bb.3289:                             ;   in Loop: Header=BB466_2335 Depth=1
	s_or_b32 exec_lo, exec_lo, s9
	v_lshrrev_b16 v5, 8, v6
	v_mov_b32_e32 v4, 0
	s_mov_b32 s9, exec_lo
	s_delay_alu instid0(VALU_DEP_2)
	v_cmpx_ne_u16_e32 0, v5
	s_cbranch_execz .LBB466_3297
; %bb.3290:                             ;   in Loop: Header=BB466_2335 Depth=1
	v_bfrev_b32_e32 v4, 1
	s_mov_b32 s12, exec_lo
	v_cmpx_ne_u16_e32 0x80, v5
	s_cbranch_execz .LBB466_3296
; %bb.3291:                             ;   in Loop: Header=BB466_2335 Depth=1
	v_and_b32_e32 v8, 0xffff, v5
	v_mov_b32_e32 v4, 0x7f800001
	s_mov_b32 s13, exec_lo
	s_delay_alu instid0(VALU_DEP_2) | instskip(NEXT) | instid1(VALU_DEP_1)
	v_and_b32_e32 v5, 0x7f, v8
	v_cmpx_ne_u32_e32 0x7f, v5
	s_cbranch_execz .LBB466_3295
; %bb.3292:                             ;   in Loop: Header=BB466_2335 Depth=1
	v_and_b32_e32 v12, 7, v8
	v_lshrrev_b32_e32 v4, 3, v5
	s_mov_b32 s15, exec_lo
	s_delay_alu instid0(VALU_DEP_2)
	v_dual_mov_b32 v8, v12 :: v_dual_mov_b32 v9, v13
	v_cmpx_gt_u32_e32 8, v5
; %bb.3293:                             ;   in Loop: Header=BB466_2335 Depth=1
	v_clz_i32_u32_e32 v4, v12
	s_delay_alu instid0(VALU_DEP_1) | instskip(NEXT) | instid1(VALU_DEP_1)
	v_min_u32_e32 v4, 32, v4
	v_subrev_nc_u32_e32 v5, 28, v4
	v_sub_nc_u32_e32 v4, 29, v4
	s_delay_alu instid0(VALU_DEP_2) | instskip(NEXT) | instid1(VALU_DEP_1)
	v_lshlrev_b64 v[8:9], v5, v[12:13]
	v_and_b32_e32 v8, 7, v8
; %bb.3294:                             ;   in Loop: Header=BB466_2335 Depth=1
	s_or_b32 exec_lo, exec_lo, s15
	v_lshlrev_b32_e32 v5, 16, v6
	s_delay_alu instid0(VALU_DEP_2) | instskip(SKIP_1) | instid1(VALU_DEP_3)
	v_lshlrev_b32_e32 v8, 20, v8
	v_lshl_add_u32 v4, v4, 23, 0x3c000000
	v_and_b32_e32 v5, 0x80000000, v5
	s_delay_alu instid0(VALU_DEP_1)
	v_or3_b32 v4, v8, v5, v4
.LBB466_3295:                           ;   in Loop: Header=BB466_2335 Depth=1
	s_or_b32 exec_lo, exec_lo, s13
.LBB466_3296:                           ;   in Loop: Header=BB466_2335 Depth=1
	s_delay_alu instid0(SALU_CYCLE_1)
	s_or_b32 exec_lo, exec_lo, s12
.LBB466_3297:                           ;   in Loop: Header=BB466_2335 Depth=1
	s_delay_alu instid0(SALU_CYCLE_1) | instskip(NEXT) | instid1(VALU_DEP_1)
	s_or_b32 exec_lo, exec_lo, s9
	v_mul_f32_e32 v4, v26, v4
                                        ; implicit-def: $vgpr11
	s_delay_alu instid0(VALU_DEP_1) | instskip(NEXT) | instid1(VALU_DEP_1)
	v_and_b32_e32 v5, 0x7f800000, v4
	v_cmp_ne_u32_e64 s0, 0x7f800000, v5
	s_delay_alu instid0(VALU_DEP_1) | instskip(NEXT) | instid1(SALU_CYCLE_1)
	s_and_saveexec_b32 s9, s0
	s_xor_b32 s0, exec_lo, s9
; %bb.3298:                             ;   in Loop: Header=BB466_2335 Depth=1
	v_bfe_u32 v5, v4, 16, 1
	s_delay_alu instid0(VALU_DEP_1)
	v_add3_u32 v11, v4, v5, 0x7fff
                                        ; implicit-def: $vgpr4
; %bb.3299:                             ;   in Loop: Header=BB466_2335 Depth=1
	s_and_not1_saveexec_b32 s9, s0
; %bb.3300:                             ;   in Loop: Header=BB466_2335 Depth=1
	v_and_b32_e32 v5, 0xffff, v4
	v_or_b32_e32 v8, 0x10000, v4
	s_delay_alu instid0(VALU_DEP_2) | instskip(NEXT) | instid1(VALU_DEP_1)
	v_cmp_eq_u32_e64 s0, 0, v5
	v_cndmask_b32_e64 v11, v8, v4, s0
; %bb.3301:                             ;   in Loop: Header=BB466_2335 Depth=1
	s_or_b32 exec_lo, exec_lo, s9
	v_lshrrev_b32_e32 v4, 16, v6
	s_mov_b32 s9, exec_lo
	s_delay_alu instid0(VALU_DEP_1) | instskip(NEXT) | instid1(VALU_DEP_1)
	v_dual_mov_b32 v8, 0 :: v_dual_and_b32 v5, 0xff, v4
	v_cmpx_ne_u16_e32 0, v5
	s_cbranch_execz .LBB466_3309
; %bb.3302:                             ;   in Loop: Header=BB466_2335 Depth=1
	v_bfrev_b32_e32 v8, 1
	s_mov_b32 s12, exec_lo
	v_cmpx_ne_u16_e32 0x80, v5
	s_cbranch_execz .LBB466_3308
; %bb.3303:                             ;   in Loop: Header=BB466_2335 Depth=1
	v_bfe_u32 v5, v6, 16, 7
	v_mov_b32_e32 v8, 0x7f800001
	s_mov_b32 s13, exec_lo
	s_delay_alu instid0(VALU_DEP_2)
	v_cmpx_ne_u32_e32 0x7f, v5
	s_cbranch_execz .LBB466_3307
; %bb.3304:                             ;   in Loop: Header=BB466_2335 Depth=1
	v_and_b32_e32 v12, 7, v4
	v_lshrrev_b32_e32 v17, 3, v5
	s_mov_b32 s15, exec_lo
	s_delay_alu instid0(VALU_DEP_2)
	v_dual_mov_b32 v8, v12 :: v_dual_mov_b32 v9, v13
	v_cmpx_gt_u32_e32 8, v5
; %bb.3305:                             ;   in Loop: Header=BB466_2335 Depth=1
	v_clz_i32_u32_e32 v5, v12
	s_delay_alu instid0(VALU_DEP_1) | instskip(NEXT) | instid1(VALU_DEP_1)
	v_min_u32_e32 v5, 32, v5
	v_subrev_nc_u32_e32 v8, 28, v5
	v_sub_nc_u32_e32 v17, 29, v5
	s_delay_alu instid0(VALU_DEP_2) | instskip(NEXT) | instid1(VALU_DEP_1)
	v_lshlrev_b64 v[8:9], v8, v[12:13]
	v_and_b32_e32 v8, 7, v8
; %bb.3306:                             ;   in Loop: Header=BB466_2335 Depth=1
	s_or_b32 exec_lo, exec_lo, s15
	v_lshlrev_b32_e32 v4, 24, v4
	s_delay_alu instid0(VALU_DEP_2) | instskip(SKIP_1) | instid1(VALU_DEP_3)
	v_lshlrev_b32_e32 v5, 20, v8
	v_lshl_add_u32 v8, v17, 23, 0x3c000000
	v_and_b32_e32 v4, 0x80000000, v4
	s_delay_alu instid0(VALU_DEP_1)
	v_or3_b32 v8, v5, v4, v8
.LBB466_3307:                           ;   in Loop: Header=BB466_2335 Depth=1
	s_or_b32 exec_lo, exec_lo, s13
.LBB466_3308:                           ;   in Loop: Header=BB466_2335 Depth=1
	s_delay_alu instid0(SALU_CYCLE_1)
	s_or_b32 exec_lo, exec_lo, s12
.LBB466_3309:                           ;   in Loop: Header=BB466_2335 Depth=1
	s_delay_alu instid0(SALU_CYCLE_1) | instskip(NEXT) | instid1(VALU_DEP_1)
	s_or_b32 exec_lo, exec_lo, s9
	v_mul_f32_e32 v4, v26, v8
                                        ; implicit-def: $vgpr17
	s_delay_alu instid0(VALU_DEP_1) | instskip(NEXT) | instid1(VALU_DEP_1)
	v_and_b32_e32 v5, 0x7f800000, v4
	v_cmp_ne_u32_e64 s0, 0x7f800000, v5
	s_delay_alu instid0(VALU_DEP_1) | instskip(NEXT) | instid1(SALU_CYCLE_1)
	s_and_saveexec_b32 s9, s0
	s_xor_b32 s0, exec_lo, s9
; %bb.3310:                             ;   in Loop: Header=BB466_2335 Depth=1
	v_bfe_u32 v5, v4, 16, 1
	s_delay_alu instid0(VALU_DEP_1)
	v_add3_u32 v17, v4, v5, 0x7fff
                                        ; implicit-def: $vgpr4
; %bb.3311:                             ;   in Loop: Header=BB466_2335 Depth=1
	s_and_not1_saveexec_b32 s9, s0
; %bb.3312:                             ;   in Loop: Header=BB466_2335 Depth=1
	v_and_b32_e32 v5, 0xffff, v4
	v_or_b32_e32 v8, 0x10000, v4
	s_delay_alu instid0(VALU_DEP_2) | instskip(NEXT) | instid1(VALU_DEP_1)
	v_cmp_eq_u32_e64 s0, 0, v5
	v_cndmask_b32_e64 v17, v8, v4, s0
; %bb.3313:                             ;   in Loop: Header=BB466_2335 Depth=1
	s_or_b32 exec_lo, exec_lo, s9
	v_mov_b32_e32 v8, 0
	s_mov_b32 s9, exec_lo
	v_cmpx_lt_u32_e32 0xffffff, v6
	s_cbranch_execz .LBB466_3321
; %bb.3314:                             ;   in Loop: Header=BB466_2335 Depth=1
	v_lshrrev_b32_e32 v4, 24, v6
	v_bfrev_b32_e32 v8, 1
	s_mov_b32 s12, exec_lo
	s_delay_alu instid0(VALU_DEP_2)
	v_cmpx_ne_u32_e32 0x80, v4
	s_cbranch_execz .LBB466_3320
; %bb.3315:                             ;   in Loop: Header=BB466_2335 Depth=1
	v_bfe_u32 v5, v6, 24, 7
	v_mov_b32_e32 v8, 0x7f800001
	s_mov_b32 s13, exec_lo
	s_delay_alu instid0(VALU_DEP_2)
	v_cmpx_ne_u32_e32 0x7f, v5
	s_cbranch_execz .LBB466_3319
; %bb.3316:                             ;   in Loop: Header=BB466_2335 Depth=1
	v_and_b32_e32 v12, 7, v4
	v_lshrrev_b32_e32 v18, 3, v5
	s_mov_b32 s15, exec_lo
	s_delay_alu instid0(VALU_DEP_2)
	v_dual_mov_b32 v8, v12 :: v_dual_mov_b32 v9, v13
	v_cmpx_gt_u32_e32 8, v5
; %bb.3317:                             ;   in Loop: Header=BB466_2335 Depth=1
	v_clz_i32_u32_e32 v5, v12
	s_delay_alu instid0(VALU_DEP_1) | instskip(NEXT) | instid1(VALU_DEP_1)
	v_min_u32_e32 v5, 32, v5
	v_subrev_nc_u32_e32 v8, 28, v5
	v_sub_nc_u32_e32 v18, 29, v5
	s_delay_alu instid0(VALU_DEP_2) | instskip(NEXT) | instid1(VALU_DEP_1)
	v_lshlrev_b64 v[8:9], v8, v[12:13]
	v_and_b32_e32 v8, 7, v8
; %bb.3318:                             ;   in Loop: Header=BB466_2335 Depth=1
	s_or_b32 exec_lo, exec_lo, s15
	v_lshlrev_b32_e32 v4, 24, v4
	s_delay_alu instid0(VALU_DEP_2) | instskip(SKIP_1) | instid1(VALU_DEP_3)
	v_lshlrev_b32_e32 v5, 20, v8
	v_lshl_add_u32 v8, v18, 23, 0x3c000000
	v_and_b32_e32 v4, 0x80000000, v4
	s_delay_alu instid0(VALU_DEP_1)
	v_or3_b32 v8, v5, v4, v8
.LBB466_3319:                           ;   in Loop: Header=BB466_2335 Depth=1
	s_or_b32 exec_lo, exec_lo, s13
.LBB466_3320:                           ;   in Loop: Header=BB466_2335 Depth=1
	s_delay_alu instid0(SALU_CYCLE_1)
	s_or_b32 exec_lo, exec_lo, s12
.LBB466_3321:                           ;   in Loop: Header=BB466_2335 Depth=1
	s_delay_alu instid0(SALU_CYCLE_1) | instskip(NEXT) | instid1(VALU_DEP_1)
	s_or_b32 exec_lo, exec_lo, s9
	v_mul_f32_e32 v4, v26, v8
                                        ; implicit-def: $vgpr18
	s_delay_alu instid0(VALU_DEP_1) | instskip(NEXT) | instid1(VALU_DEP_1)
	v_and_b32_e32 v5, 0x7f800000, v4
	v_cmp_ne_u32_e64 s0, 0x7f800000, v5
	s_delay_alu instid0(VALU_DEP_1) | instskip(NEXT) | instid1(SALU_CYCLE_1)
	s_and_saveexec_b32 s9, s0
	s_xor_b32 s0, exec_lo, s9
; %bb.3322:                             ;   in Loop: Header=BB466_2335 Depth=1
	v_bfe_u32 v5, v4, 16, 1
	s_delay_alu instid0(VALU_DEP_1)
	v_add3_u32 v18, v4, v5, 0x7fff
                                        ; implicit-def: $vgpr4
; %bb.3323:                             ;   in Loop: Header=BB466_2335 Depth=1
	s_and_not1_saveexec_b32 s9, s0
; %bb.3324:                             ;   in Loop: Header=BB466_2335 Depth=1
	v_and_b32_e32 v5, 0xffff, v4
	v_or_b32_e32 v8, 0x10000, v4
	s_delay_alu instid0(VALU_DEP_2) | instskip(NEXT) | instid1(VALU_DEP_1)
	v_cmp_eq_u32_e64 s0, 0, v5
	v_cndmask_b32_e64 v18, v8, v4, s0
; %bb.3325:                             ;   in Loop: Header=BB466_2335 Depth=1
	s_or_b32 exec_lo, exec_lo, s9
	v_dual_mov_b32 v12, v7 :: v_dual_and_b32 v5, 0xff, v7
	v_mov_b32_e32 v4, 0
	s_mov_b32 s9, exec_lo
	s_delay_alu instid0(VALU_DEP_2)
	v_cmpx_ne_u16_e32 0, v5
	s_cbranch_execz .LBB466_3333
; %bb.3326:                             ;   in Loop: Header=BB466_2335 Depth=1
	v_bfrev_b32_e32 v4, 1
	s_mov_b32 s12, exec_lo
	v_cmpx_ne_u16_e32 0x80, v5
	s_cbranch_execz .LBB466_3332
; %bb.3327:                             ;   in Loop: Header=BB466_2335 Depth=1
	v_and_b32_e32 v5, 0x7f, v7
	v_mov_b32_e32 v4, 0x7f800001
	s_mov_b32 s13, exec_lo
	s_delay_alu instid0(VALU_DEP_2)
	v_cmpx_ne_u32_e32 0x7f, v5
	s_cbranch_execz .LBB466_3331
; %bb.3328:                             ;   in Loop: Header=BB466_2335 Depth=1
	v_lshrrev_b32_e32 v4, 3, v5
	v_dual_mov_b32 v8, v12 :: v_dual_mov_b32 v9, v13
	s_mov_b32 s15, exec_lo
	v_cmpx_gt_u32_e32 8, v5
; %bb.3329:                             ;   in Loop: Header=BB466_2335 Depth=1
	v_and_b32_e32 v4, 7, v7
	s_delay_alu instid0(VALU_DEP_1) | instskip(NEXT) | instid1(VALU_DEP_1)
	v_clz_i32_u32_e32 v4, v4
	v_min_u32_e32 v4, 32, v4
	s_delay_alu instid0(VALU_DEP_1) | instskip(SKIP_1) | instid1(VALU_DEP_2)
	v_subrev_nc_u32_e32 v5, 28, v4
	v_sub_nc_u32_e32 v4, 29, v4
	v_lshlrev_b64 v[8:9], v5, v[12:13]
; %bb.3330:                             ;   in Loop: Header=BB466_2335 Depth=1
	s_or_b32 exec_lo, exec_lo, s15
	s_delay_alu instid0(VALU_DEP_1) | instskip(SKIP_2) | instid1(VALU_DEP_3)
	v_lshlrev_b32_e32 v5, 20, v8
	v_lshlrev_b32_e32 v8, 24, v12
	v_lshl_add_u32 v4, v4, 23, 0x3c000000
	v_and_b32_e32 v5, 0x700000, v5
	s_delay_alu instid0(VALU_DEP_3) | instskip(NEXT) | instid1(VALU_DEP_1)
	v_and_b32_e32 v8, 0x80000000, v8
	v_or3_b32 v4, v5, v8, v4
.LBB466_3331:                           ;   in Loop: Header=BB466_2335 Depth=1
	s_or_b32 exec_lo, exec_lo, s13
.LBB466_3332:                           ;   in Loop: Header=BB466_2335 Depth=1
	s_delay_alu instid0(SALU_CYCLE_1)
	s_or_b32 exec_lo, exec_lo, s12
.LBB466_3333:                           ;   in Loop: Header=BB466_2335 Depth=1
	s_delay_alu instid0(SALU_CYCLE_1) | instskip(NEXT) | instid1(VALU_DEP_1)
	s_or_b32 exec_lo, exec_lo, s9
	v_mul_f32_e32 v4, v26, v4
                                        ; implicit-def: $vgpr19
	s_delay_alu instid0(VALU_DEP_1) | instskip(NEXT) | instid1(VALU_DEP_1)
	v_and_b32_e32 v5, 0x7f800000, v4
	v_cmp_ne_u32_e64 s0, 0x7f800000, v5
	s_delay_alu instid0(VALU_DEP_1) | instskip(NEXT) | instid1(SALU_CYCLE_1)
	s_and_saveexec_b32 s9, s0
	s_xor_b32 s0, exec_lo, s9
; %bb.3334:                             ;   in Loop: Header=BB466_2335 Depth=1
	v_bfe_u32 v5, v4, 16, 1
	s_delay_alu instid0(VALU_DEP_1)
	v_add3_u32 v19, v4, v5, 0x7fff
                                        ; implicit-def: $vgpr4
; %bb.3335:                             ;   in Loop: Header=BB466_2335 Depth=1
	s_and_not1_saveexec_b32 s9, s0
; %bb.3336:                             ;   in Loop: Header=BB466_2335 Depth=1
	v_and_b32_e32 v5, 0xffff, v4
	v_or_b32_e32 v8, 0x10000, v4
	s_delay_alu instid0(VALU_DEP_2) | instskip(NEXT) | instid1(VALU_DEP_1)
	v_cmp_eq_u32_e64 s0, 0, v5
	v_cndmask_b32_e64 v19, v8, v4, s0
; %bb.3337:                             ;   in Loop: Header=BB466_2335 Depth=1
	s_or_b32 exec_lo, exec_lo, s9
	v_lshrrev_b16 v5, 8, v12
	v_mov_b32_e32 v4, 0
	s_mov_b32 s9, exec_lo
	s_delay_alu instid0(VALU_DEP_2)
	v_cmpx_ne_u16_e32 0, v5
	s_cbranch_execz .LBB466_3345
; %bb.3338:                             ;   in Loop: Header=BB466_2335 Depth=1
	v_bfrev_b32_e32 v4, 1
	s_mov_b32 s12, exec_lo
	v_cmpx_ne_u16_e32 0x80, v5
	s_cbranch_execz .LBB466_3344
; %bb.3339:                             ;   in Loop: Header=BB466_2335 Depth=1
	v_and_b32_e32 v8, 0xffff, v5
	v_mov_b32_e32 v4, 0x7f800001
	s_mov_b32 s13, exec_lo
	s_delay_alu instid0(VALU_DEP_2) | instskip(NEXT) | instid1(VALU_DEP_1)
	v_and_b32_e32 v5, 0x7f, v8
	v_cmpx_ne_u32_e32 0x7f, v5
	s_cbranch_execz .LBB466_3343
; %bb.3340:                             ;   in Loop: Header=BB466_2335 Depth=1
	v_dual_mov_b32 v9, v13 :: v_dual_and_b32 v8, 7, v8
	v_lshrrev_b32_e32 v4, 3, v5
	s_mov_b32 s15, exec_lo
	v_cmpx_gt_u32_e32 8, v5
; %bb.3341:                             ;   in Loop: Header=BB466_2335 Depth=1
	s_delay_alu instid0(VALU_DEP_3) | instskip(NEXT) | instid1(VALU_DEP_1)
	v_clz_i32_u32_e32 v4, v8
	v_min_u32_e32 v4, 32, v4
	s_delay_alu instid0(VALU_DEP_1) | instskip(SKIP_1) | instid1(VALU_DEP_2)
	v_subrev_nc_u32_e32 v5, 28, v4
	v_sub_nc_u32_e32 v4, 29, v4
	v_lshlrev_b64 v[8:9], v5, v[8:9]
	s_delay_alu instid0(VALU_DEP_1)
	v_and_b32_e32 v8, 7, v8
; %bb.3342:                             ;   in Loop: Header=BB466_2335 Depth=1
	s_or_b32 exec_lo, exec_lo, s15
	v_lshlrev_b32_e32 v5, 16, v12
	s_delay_alu instid0(VALU_DEP_2) | instskip(SKIP_1) | instid1(VALU_DEP_3)
	v_lshlrev_b32_e32 v8, 20, v8
	v_lshl_add_u32 v4, v4, 23, 0x3c000000
	v_and_b32_e32 v5, 0x80000000, v5
	s_delay_alu instid0(VALU_DEP_1)
	v_or3_b32 v4, v8, v5, v4
.LBB466_3343:                           ;   in Loop: Header=BB466_2335 Depth=1
	s_or_b32 exec_lo, exec_lo, s13
.LBB466_3344:                           ;   in Loop: Header=BB466_2335 Depth=1
	s_delay_alu instid0(SALU_CYCLE_1)
	s_or_b32 exec_lo, exec_lo, s12
.LBB466_3345:                           ;   in Loop: Header=BB466_2335 Depth=1
	s_delay_alu instid0(SALU_CYCLE_1) | instskip(NEXT) | instid1(VALU_DEP_1)
	s_or_b32 exec_lo, exec_lo, s9
	v_mul_f32_e32 v4, v26, v4
                                        ; implicit-def: $vgpr20
	s_delay_alu instid0(VALU_DEP_1) | instskip(NEXT) | instid1(VALU_DEP_1)
	v_and_b32_e32 v5, 0x7f800000, v4
	v_cmp_ne_u32_e64 s0, 0x7f800000, v5
	s_delay_alu instid0(VALU_DEP_1) | instskip(NEXT) | instid1(SALU_CYCLE_1)
	s_and_saveexec_b32 s9, s0
	s_xor_b32 s0, exec_lo, s9
; %bb.3346:                             ;   in Loop: Header=BB466_2335 Depth=1
	v_bfe_u32 v5, v4, 16, 1
	s_delay_alu instid0(VALU_DEP_1)
	v_add3_u32 v20, v4, v5, 0x7fff
                                        ; implicit-def: $vgpr4
; %bb.3347:                             ;   in Loop: Header=BB466_2335 Depth=1
	s_and_not1_saveexec_b32 s9, s0
; %bb.3348:                             ;   in Loop: Header=BB466_2335 Depth=1
	v_and_b32_e32 v5, 0xffff, v4
	v_or_b32_e32 v8, 0x10000, v4
	s_delay_alu instid0(VALU_DEP_2) | instskip(NEXT) | instid1(VALU_DEP_1)
	v_cmp_eq_u32_e64 s0, 0, v5
	v_cndmask_b32_e64 v20, v8, v4, s0
; %bb.3349:                             ;   in Loop: Header=BB466_2335 Depth=1
	s_or_b32 exec_lo, exec_lo, s9
	v_lshrrev_b32_e32 v4, 16, v7
	s_mov_b32 s9, exec_lo
	s_delay_alu instid0(VALU_DEP_1) | instskip(NEXT) | instid1(VALU_DEP_1)
	v_dual_mov_b32 v8, 0 :: v_dual_and_b32 v5, 0xff, v4
	v_cmpx_ne_u16_e32 0, v5
	s_cbranch_execz .LBB466_3357
; %bb.3350:                             ;   in Loop: Header=BB466_2335 Depth=1
	v_bfrev_b32_e32 v8, 1
	s_mov_b32 s12, exec_lo
	v_cmpx_ne_u16_e32 0x80, v5
	s_cbranch_execz .LBB466_3356
; %bb.3351:                             ;   in Loop: Header=BB466_2335 Depth=1
	v_bfe_u32 v5, v7, 16, 7
	v_mov_b32_e32 v8, 0x7f800001
	s_mov_b32 s13, exec_lo
	s_delay_alu instid0(VALU_DEP_2)
	v_cmpx_ne_u32_e32 0x7f, v5
	s_cbranch_execz .LBB466_3355
; %bb.3352:                             ;   in Loop: Header=BB466_2335 Depth=1
	v_and_b32_e32 v12, 7, v4
	v_lshrrev_b32_e32 v22, 3, v5
	s_mov_b32 s15, exec_lo
	s_delay_alu instid0(VALU_DEP_2)
	v_dual_mov_b32 v8, v12 :: v_dual_mov_b32 v9, v13
	v_cmpx_gt_u32_e32 8, v5
; %bb.3353:                             ;   in Loop: Header=BB466_2335 Depth=1
	v_clz_i32_u32_e32 v5, v12
	s_delay_alu instid0(VALU_DEP_1) | instskip(NEXT) | instid1(VALU_DEP_1)
	v_min_u32_e32 v5, 32, v5
	v_subrev_nc_u32_e32 v8, 28, v5
	v_sub_nc_u32_e32 v22, 29, v5
	s_delay_alu instid0(VALU_DEP_2) | instskip(NEXT) | instid1(VALU_DEP_1)
	v_lshlrev_b64 v[8:9], v8, v[12:13]
	v_and_b32_e32 v8, 7, v8
; %bb.3354:                             ;   in Loop: Header=BB466_2335 Depth=1
	s_or_b32 exec_lo, exec_lo, s15
	v_lshlrev_b32_e32 v4, 24, v4
	s_delay_alu instid0(VALU_DEP_2) | instskip(SKIP_1) | instid1(VALU_DEP_3)
	v_lshlrev_b32_e32 v5, 20, v8
	v_lshl_add_u32 v8, v22, 23, 0x3c000000
	v_and_b32_e32 v4, 0x80000000, v4
	s_delay_alu instid0(VALU_DEP_1)
	v_or3_b32 v8, v5, v4, v8
.LBB466_3355:                           ;   in Loop: Header=BB466_2335 Depth=1
	s_or_b32 exec_lo, exec_lo, s13
.LBB466_3356:                           ;   in Loop: Header=BB466_2335 Depth=1
	s_delay_alu instid0(SALU_CYCLE_1)
	s_or_b32 exec_lo, exec_lo, s12
.LBB466_3357:                           ;   in Loop: Header=BB466_2335 Depth=1
	s_delay_alu instid0(SALU_CYCLE_1) | instskip(NEXT) | instid1(VALU_DEP_1)
	s_or_b32 exec_lo, exec_lo, s9
	v_mul_f32_e32 v4, v26, v8
                                        ; implicit-def: $vgpr22
	s_delay_alu instid0(VALU_DEP_1) | instskip(NEXT) | instid1(VALU_DEP_1)
	v_and_b32_e32 v5, 0x7f800000, v4
	v_cmp_ne_u32_e64 s0, 0x7f800000, v5
	s_delay_alu instid0(VALU_DEP_1) | instskip(NEXT) | instid1(SALU_CYCLE_1)
	s_and_saveexec_b32 s9, s0
	s_xor_b32 s0, exec_lo, s9
; %bb.3358:                             ;   in Loop: Header=BB466_2335 Depth=1
	v_bfe_u32 v5, v4, 16, 1
	s_delay_alu instid0(VALU_DEP_1)
	v_add3_u32 v22, v4, v5, 0x7fff
                                        ; implicit-def: $vgpr4
; %bb.3359:                             ;   in Loop: Header=BB466_2335 Depth=1
	s_and_not1_saveexec_b32 s9, s0
; %bb.3360:                             ;   in Loop: Header=BB466_2335 Depth=1
	v_and_b32_e32 v5, 0xffff, v4
	v_or_b32_e32 v8, 0x10000, v4
	s_delay_alu instid0(VALU_DEP_2) | instskip(NEXT) | instid1(VALU_DEP_1)
	v_cmp_eq_u32_e64 s0, 0, v5
	v_cndmask_b32_e64 v22, v8, v4, s0
; %bb.3361:                             ;   in Loop: Header=BB466_2335 Depth=1
	s_or_b32 exec_lo, exec_lo, s9
	v_cmp_lt_u64_e64 s0, s[2:3], v[6:7]
	v_mov_b32_e32 v6, 0
	s_delay_alu instid0(VALU_DEP_2)
	s_and_saveexec_b32 s9, s0
	s_cbranch_execz .LBB466_3369
; %bb.3362:                             ;   in Loop: Header=BB466_2335 Depth=1
	v_lshrrev_b32_e32 v4, 24, v7
	v_bfrev_b32_e32 v6, 1
	s_mov_b32 s12, exec_lo
	s_delay_alu instid0(VALU_DEP_2)
	v_cmpx_ne_u32_e32 0x80, v4
	s_cbranch_execz .LBB466_3368
; %bb.3363:                             ;   in Loop: Header=BB466_2335 Depth=1
	v_bfe_u32 v5, v7, 24, 7
	v_mov_b32_e32 v6, 0x7f800001
	s_mov_b32 s13, exec_lo
	s_delay_alu instid0(VALU_DEP_2)
	v_cmpx_ne_u32_e32 0x7f, v5
	s_cbranch_execz .LBB466_3367
; %bb.3364:                             ;   in Loop: Header=BB466_2335 Depth=1
	v_and_b32_e32 v12, 7, v4
	v_lshrrev_b32_e32 v8, 3, v5
	s_mov_b32 s15, exec_lo
	s_delay_alu instid0(VALU_DEP_2)
	v_dual_mov_b32 v6, v12 :: v_dual_mov_b32 v7, v13
	v_cmpx_gt_u32_e32 8, v5
; %bb.3365:                             ;   in Loop: Header=BB466_2335 Depth=1
	v_clz_i32_u32_e32 v5, v12
	s_delay_alu instid0(VALU_DEP_1) | instskip(NEXT) | instid1(VALU_DEP_1)
	v_min_u32_e32 v7, 32, v5
	v_subrev_nc_u32_e32 v5, 28, v7
	v_sub_nc_u32_e32 v8, 29, v7
	s_delay_alu instid0(VALU_DEP_2) | instskip(NEXT) | instid1(VALU_DEP_1)
	v_lshlrev_b64 v[5:6], v5, v[12:13]
	v_and_b32_e32 v6, 7, v5
; %bb.3366:                             ;   in Loop: Header=BB466_2335 Depth=1
	s_or_b32 exec_lo, exec_lo, s15
	v_lshlrev_b32_e32 v4, 24, v4
	s_delay_alu instid0(VALU_DEP_2) | instskip(SKIP_1) | instid1(VALU_DEP_3)
	v_lshlrev_b32_e32 v5, 20, v6
	v_lshl_add_u32 v6, v8, 23, 0x3c000000
	v_and_b32_e32 v4, 0x80000000, v4
	s_delay_alu instid0(VALU_DEP_1)
	v_or3_b32 v6, v5, v4, v6
.LBB466_3367:                           ;   in Loop: Header=BB466_2335 Depth=1
	s_or_b32 exec_lo, exec_lo, s13
.LBB466_3368:                           ;   in Loop: Header=BB466_2335 Depth=1
	s_delay_alu instid0(SALU_CYCLE_1)
	s_or_b32 exec_lo, exec_lo, s12
.LBB466_3369:                           ;   in Loop: Header=BB466_2335 Depth=1
	s_delay_alu instid0(SALU_CYCLE_1) | instskip(NEXT) | instid1(VALU_DEP_1)
	s_or_b32 exec_lo, exec_lo, s9
	v_mul_f32_e32 v4, v26, v6
                                        ; implicit-def: $vgpr6
	s_delay_alu instid0(VALU_DEP_1) | instskip(NEXT) | instid1(VALU_DEP_1)
	v_and_b32_e32 v5, 0x7f800000, v4
	v_cmp_ne_u32_e64 s0, 0x7f800000, v5
	s_delay_alu instid0(VALU_DEP_1) | instskip(NEXT) | instid1(SALU_CYCLE_1)
	s_and_saveexec_b32 s9, s0
	s_xor_b32 s0, exec_lo, s9
; %bb.3370:                             ;   in Loop: Header=BB466_2335 Depth=1
	v_bfe_u32 v5, v4, 16, 1
	s_delay_alu instid0(VALU_DEP_1)
	v_add3_u32 v6, v4, v5, 0x7fff
                                        ; implicit-def: $vgpr4
; %bb.3371:                             ;   in Loop: Header=BB466_2335 Depth=1
	s_and_not1_saveexec_b32 s9, s0
; %bb.3372:                             ;   in Loop: Header=BB466_2335 Depth=1
	v_and_b32_e32 v5, 0xffff, v4
	v_or_b32_e32 v6, 0x10000, v4
	s_delay_alu instid0(VALU_DEP_2) | instskip(NEXT) | instid1(VALU_DEP_1)
	v_cmp_eq_u32_e64 s0, 0, v5
	v_cndmask_b32_e64 v6, v6, v4, s0
; %bb.3373:                             ;   in Loop: Header=BB466_2335 Depth=1
	s_or_b32 exec_lo, exec_lo, s9
	v_lshrrev_b32_e32 v8, 16, v20
	v_lshrrev_b32_e32 v9, 16, v19
	;; [unrolled: 1-line block ×8, first 2 shown]
	s_and_saveexec_b32 s9, vcc_lo
	s_cbranch_execz .LBB466_3375
; %bb.3374:                             ;   in Loop: Header=BB466_2335 Depth=1
	v_cmp_lt_i32_e64 s0, v130, v36
	s_delay_alu instid0(VALU_DEP_1) | instskip(SKIP_1) | instid1(VALU_DEP_1)
	v_cndmask_b32_e64 v4, 0, v4, s0
	v_cmp_lt_i32_e64 s0, v133, v36
	v_cndmask_b32_e64 v11, 0, v11, s0
	v_cmp_lt_i32_e64 s0, v132, v36
	s_delay_alu instid0(VALU_DEP_1) | instskip(SKIP_1) | instid1(VALU_DEP_1)
	v_cndmask_b32_e64 v17, 0, v17, s0
	v_cmp_lt_i32_e64 s0, v131, v36
	v_cndmask_b32_e64 v12, 0, v12, s0
	;; [unrolled: 5-line block ×4, first 2 shown]
.LBB466_3375:                           ;   in Loop: Header=BB466_2335 Depth=1
	s_or_b32 exec_lo, exec_lo, s9
	v_lshlrev_b32_e32 v4, 16, v4
                                        ; implicit-def: $vgpr73
	s_delay_alu instid0(VALU_DEP_1) | instskip(NEXT) | instid1(VALU_DEP_1)
	v_mul_f32_e32 v4, v134, v4
	v_and_b32_e32 v5, 0x7f800000, v4
	s_delay_alu instid0(VALU_DEP_1) | instskip(NEXT) | instid1(VALU_DEP_1)
	v_cmp_ne_u32_e64 s0, 0x7f800000, v5
	s_and_saveexec_b32 s9, s0
	s_delay_alu instid0(SALU_CYCLE_1)
	s_xor_b32 s0, exec_lo, s9
; %bb.3376:                             ;   in Loop: Header=BB466_2335 Depth=1
	v_bfe_u32 v5, v4, 16, 1
	s_delay_alu instid0(VALU_DEP_1)
	v_add3_u32 v73, v4, v5, 0x7fff
                                        ; implicit-def: $vgpr4
; %bb.3377:                             ;   in Loop: Header=BB466_2335 Depth=1
	s_and_not1_saveexec_b32 s9, s0
; %bb.3378:                             ;   in Loop: Header=BB466_2335 Depth=1
	v_and_b32_e32 v5, 0xffff, v4
	v_or_b32_e32 v10, 0x10000, v4
	s_delay_alu instid0(VALU_DEP_2) | instskip(NEXT) | instid1(VALU_DEP_1)
	v_cmp_eq_u32_e64 s0, 0, v5
	v_cndmask_b32_e64 v73, v10, v4, s0
; %bb.3379:                             ;   in Loop: Header=BB466_2335 Depth=1
	s_or_b32 exec_lo, exec_lo, s9
	v_lshlrev_b32_e32 v4, 16, v11
                                        ; implicit-def: $vgpr74
	s_delay_alu instid0(VALU_DEP_1) | instskip(NEXT) | instid1(VALU_DEP_1)
	v_mul_f32_e32 v4, v135, v4
	v_and_b32_e32 v5, 0x7f800000, v4
	s_delay_alu instid0(VALU_DEP_1) | instskip(NEXT) | instid1(VALU_DEP_1)
	v_cmp_ne_u32_e64 s0, 0x7f800000, v5
	s_and_saveexec_b32 s9, s0
	s_delay_alu instid0(SALU_CYCLE_1)
	s_xor_b32 s0, exec_lo, s9
; %bb.3380:                             ;   in Loop: Header=BB466_2335 Depth=1
	v_bfe_u32 v5, v4, 16, 1
	s_delay_alu instid0(VALU_DEP_1)
	v_add3_u32 v74, v4, v5, 0x7fff
                                        ; implicit-def: $vgpr4
; %bb.3381:                             ;   in Loop: Header=BB466_2335 Depth=1
	s_and_not1_saveexec_b32 s9, s0
; %bb.3382:                             ;   in Loop: Header=BB466_2335 Depth=1
	v_and_b32_e32 v5, 0xffff, v4
	v_or_b32_e32 v10, 0x10000, v4
	s_delay_alu instid0(VALU_DEP_2) | instskip(NEXT) | instid1(VALU_DEP_1)
	v_cmp_eq_u32_e64 s0, 0, v5
	v_cndmask_b32_e64 v74, v10, v4, s0
; %bb.3383:                             ;   in Loop: Header=BB466_2335 Depth=1
	s_or_b32 exec_lo, exec_lo, s9
	v_lshlrev_b32_e32 v4, 16, v17
                                        ; implicit-def: $vgpr75
	s_delay_alu instid0(VALU_DEP_1) | instskip(NEXT) | instid1(VALU_DEP_1)
	v_mul_f32_e32 v4, v144, v4
	v_and_b32_e32 v5, 0x7f800000, v4
	s_delay_alu instid0(VALU_DEP_1) | instskip(NEXT) | instid1(VALU_DEP_1)
	v_cmp_ne_u32_e64 s0, 0x7f800000, v5
	s_and_saveexec_b32 s9, s0
	s_delay_alu instid0(SALU_CYCLE_1)
	s_xor_b32 s0, exec_lo, s9
; %bb.3384:                             ;   in Loop: Header=BB466_2335 Depth=1
	v_bfe_u32 v5, v4, 16, 1
	s_delay_alu instid0(VALU_DEP_1)
	v_add3_u32 v75, v4, v5, 0x7fff
                                        ; implicit-def: $vgpr4
; %bb.3385:                             ;   in Loop: Header=BB466_2335 Depth=1
	s_and_not1_saveexec_b32 s9, s0
; %bb.3386:                             ;   in Loop: Header=BB466_2335 Depth=1
	v_and_b32_e32 v5, 0xffff, v4
	v_or_b32_e32 v10, 0x10000, v4
	s_delay_alu instid0(VALU_DEP_2) | instskip(NEXT) | instid1(VALU_DEP_1)
	v_cmp_eq_u32_e64 s0, 0, v5
	v_cndmask_b32_e64 v75, v10, v4, s0
; %bb.3387:                             ;   in Loop: Header=BB466_2335 Depth=1
	s_or_b32 exec_lo, exec_lo, s9
	v_lshlrev_b32_e32 v4, 16, v12
                                        ; implicit-def: $vgpr76
	s_delay_alu instid0(VALU_DEP_1) | instskip(NEXT) | instid1(VALU_DEP_1)
	v_mul_f32_e32 v4, v145, v4
	v_and_b32_e32 v5, 0x7f800000, v4
	s_delay_alu instid0(VALU_DEP_1) | instskip(NEXT) | instid1(VALU_DEP_1)
	v_cmp_ne_u32_e64 s0, 0x7f800000, v5
	s_and_saveexec_b32 s9, s0
	s_delay_alu instid0(SALU_CYCLE_1)
	s_xor_b32 s0, exec_lo, s9
; %bb.3388:                             ;   in Loop: Header=BB466_2335 Depth=1
	v_bfe_u32 v5, v4, 16, 1
	s_delay_alu instid0(VALU_DEP_1)
	v_add3_u32 v76, v4, v5, 0x7fff
                                        ; implicit-def: $vgpr4
; %bb.3389:                             ;   in Loop: Header=BB466_2335 Depth=1
	s_and_not1_saveexec_b32 s9, s0
; %bb.3390:                             ;   in Loop: Header=BB466_2335 Depth=1
	v_and_b32_e32 v5, 0xffff, v4
	v_or_b32_e32 v10, 0x10000, v4
	s_delay_alu instid0(VALU_DEP_2) | instskip(NEXT) | instid1(VALU_DEP_1)
	v_cmp_eq_u32_e64 s0, 0, v5
	v_cndmask_b32_e64 v76, v10, v4, s0
; %bb.3391:                             ;   in Loop: Header=BB466_2335 Depth=1
	s_or_b32 exec_lo, exec_lo, s9
	v_lshlrev_b32_e32 v4, 16, v9
                                        ; implicit-def: $vgpr77
	s_delay_alu instid0(VALU_DEP_1) | instskip(NEXT) | instid1(VALU_DEP_1)
	v_mul_f32_e32 v4, v146, v4
	v_and_b32_e32 v5, 0x7f800000, v4
	s_delay_alu instid0(VALU_DEP_1) | instskip(NEXT) | instid1(VALU_DEP_1)
	v_cmp_ne_u32_e64 s0, 0x7f800000, v5
	s_and_saveexec_b32 s9, s0
	s_delay_alu instid0(SALU_CYCLE_1)
	s_xor_b32 s0, exec_lo, s9
; %bb.3392:                             ;   in Loop: Header=BB466_2335 Depth=1
	v_bfe_u32 v5, v4, 16, 1
	s_delay_alu instid0(VALU_DEP_1)
	v_add3_u32 v77, v4, v5, 0x7fff
                                        ; implicit-def: $vgpr4
; %bb.3393:                             ;   in Loop: Header=BB466_2335 Depth=1
	s_and_not1_saveexec_b32 s9, s0
; %bb.3394:                             ;   in Loop: Header=BB466_2335 Depth=1
	v_and_b32_e32 v5, 0xffff, v4
	v_or_b32_e32 v9, 0x10000, v4
	s_delay_alu instid0(VALU_DEP_2) | instskip(NEXT) | instid1(VALU_DEP_1)
	v_cmp_eq_u32_e64 s0, 0, v5
	v_cndmask_b32_e64 v77, v9, v4, s0
; %bb.3395:                             ;   in Loop: Header=BB466_2335 Depth=1
	s_or_b32 exec_lo, exec_lo, s9
	v_lshlrev_b32_e32 v4, 16, v8
                                        ; implicit-def: $vgpr78
	s_delay_alu instid0(VALU_DEP_1) | instskip(NEXT) | instid1(VALU_DEP_1)
	v_mul_f32_e32 v4, v147, v4
	v_and_b32_e32 v5, 0x7f800000, v4
	s_delay_alu instid0(VALU_DEP_1) | instskip(NEXT) | instid1(VALU_DEP_1)
	v_cmp_ne_u32_e64 s0, 0x7f800000, v5
	s_and_saveexec_b32 s9, s0
	s_delay_alu instid0(SALU_CYCLE_1)
	s_xor_b32 s0, exec_lo, s9
; %bb.3396:                             ;   in Loop: Header=BB466_2335 Depth=1
	v_bfe_u32 v5, v4, 16, 1
	s_delay_alu instid0(VALU_DEP_1)
	v_add3_u32 v78, v4, v5, 0x7fff
                                        ; implicit-def: $vgpr4
; %bb.3397:                             ;   in Loop: Header=BB466_2335 Depth=1
	s_and_not1_saveexec_b32 s9, s0
; %bb.3398:                             ;   in Loop: Header=BB466_2335 Depth=1
	v_and_b32_e32 v5, 0xffff, v4
	v_or_b32_e32 v8, 0x10000, v4
	s_delay_alu instid0(VALU_DEP_2) | instskip(NEXT) | instid1(VALU_DEP_1)
	v_cmp_eq_u32_e64 s0, 0, v5
	v_cndmask_b32_e64 v78, v8, v4, s0
; %bb.3399:                             ;   in Loop: Header=BB466_2335 Depth=1
	s_or_b32 exec_lo, exec_lo, s9
	v_lshlrev_b32_e32 v4, 16, v7
                                        ; implicit-def: $vgpr79
	s_delay_alu instid0(VALU_DEP_1) | instskip(NEXT) | instid1(VALU_DEP_1)
	v_mul_f32_e32 v4, v148, v4
	v_and_b32_e32 v5, 0x7f800000, v4
	s_delay_alu instid0(VALU_DEP_1) | instskip(NEXT) | instid1(VALU_DEP_1)
	v_cmp_ne_u32_e64 s0, 0x7f800000, v5
	s_and_saveexec_b32 s9, s0
	s_delay_alu instid0(SALU_CYCLE_1)
	s_xor_b32 s0, exec_lo, s9
; %bb.3400:                             ;   in Loop: Header=BB466_2335 Depth=1
	v_bfe_u32 v5, v4, 16, 1
	s_delay_alu instid0(VALU_DEP_1)
	v_add3_u32 v79, v4, v5, 0x7fff
                                        ; implicit-def: $vgpr4
; %bb.3401:                             ;   in Loop: Header=BB466_2335 Depth=1
	s_and_not1_saveexec_b32 s9, s0
; %bb.3402:                             ;   in Loop: Header=BB466_2335 Depth=1
	v_and_b32_e32 v5, 0xffff, v4
	v_or_b32_e32 v7, 0x10000, v4
	s_delay_alu instid0(VALU_DEP_2) | instskip(NEXT) | instid1(VALU_DEP_1)
	v_cmp_eq_u32_e64 s0, 0, v5
	v_cndmask_b32_e64 v79, v7, v4, s0
; %bb.3403:                             ;   in Loop: Header=BB466_2335 Depth=1
	s_or_b32 exec_lo, exec_lo, s9
	v_lshlrev_b32_e32 v4, 16, v6
                                        ; implicit-def: $vgpr88
	s_delay_alu instid0(VALU_DEP_1) | instskip(NEXT) | instid1(VALU_DEP_1)
	v_mul_f32_e32 v4, v149, v4
	v_and_b32_e32 v5, 0x7f800000, v4
	s_delay_alu instid0(VALU_DEP_1) | instskip(NEXT) | instid1(VALU_DEP_1)
	v_cmp_ne_u32_e64 s0, 0x7f800000, v5
	s_and_saveexec_b32 s9, s0
	s_delay_alu instid0(SALU_CYCLE_1)
	s_xor_b32 s0, exec_lo, s9
; %bb.3404:                             ;   in Loop: Header=BB466_2335 Depth=1
	v_bfe_u32 v5, v4, 16, 1
	s_delay_alu instid0(VALU_DEP_1)
	v_add3_u32 v88, v4, v5, 0x7fff
                                        ; implicit-def: $vgpr4
; %bb.3405:                             ;   in Loop: Header=BB466_2335 Depth=1
	s_and_not1_saveexec_b32 s9, s0
; %bb.3406:                             ;   in Loop: Header=BB466_2335 Depth=1
	v_and_b32_e32 v5, 0xffff, v4
	v_or_b32_e32 v6, 0x10000, v4
	s_delay_alu instid0(VALU_DEP_2) | instskip(NEXT) | instid1(VALU_DEP_1)
	v_cmp_eq_u32_e64 s0, 0, v5
	v_cndmask_b32_e64 v88, v6, v4, s0
; %bb.3407:                             ;   in Loop: Header=BB466_2335 Depth=1
	s_or_b32 exec_lo, exec_lo, s9
	flat_load_b64 v[6:7], v[2:3] offset:2048
	s_mov_b32 s9, exec_lo
	s_waitcnt vmcnt(0) lgkmcnt(0)
	v_dual_mov_b32 v4, 0 :: v_dual_and_b32 v5, 0xff, v6
	s_delay_alu instid0(VALU_DEP_1)
	v_cmpx_ne_u16_e32 0, v5
	s_cbranch_execz .LBB466_3415
; %bb.3408:                             ;   in Loop: Header=BB466_2335 Depth=1
	v_bfrev_b32_e32 v4, 1
	s_mov_b32 s12, exec_lo
	v_cmpx_ne_u16_e32 0x80, v5
	s_cbranch_execz .LBB466_3414
; %bb.3409:                             ;   in Loop: Header=BB466_2335 Depth=1
	v_and_b32_e32 v5, 0x7f, v6
	v_mov_b32_e32 v4, 0x7f800001
	s_mov_b32 s13, exec_lo
	s_delay_alu instid0(VALU_DEP_2)
	v_cmpx_ne_u32_e32 0x7f, v5
	s_cbranch_execz .LBB466_3413
; %bb.3410:                             ;   in Loop: Header=BB466_2335 Depth=1
	v_lshrrev_b32_e32 v4, 3, v5
	v_dual_mov_b32 v9, v7 :: v_dual_mov_b32 v8, v6
	s_mov_b32 s15, exec_lo
	v_cmpx_gt_u32_e32 8, v5
; %bb.3411:                             ;   in Loop: Header=BB466_2335 Depth=1
	v_and_b32_e32 v4, 7, v6
	s_delay_alu instid0(VALU_DEP_1) | instskip(NEXT) | instid1(VALU_DEP_1)
	v_clz_i32_u32_e32 v4, v4
	v_min_u32_e32 v4, 32, v4
	s_delay_alu instid0(VALU_DEP_1) | instskip(SKIP_1) | instid1(VALU_DEP_2)
	v_subrev_nc_u32_e32 v5, 28, v4
	v_sub_nc_u32_e32 v4, 29, v4
	v_lshlrev_b64 v[8:9], v5, v[6:7]
; %bb.3412:                             ;   in Loop: Header=BB466_2335 Depth=1
	s_or_b32 exec_lo, exec_lo, s15
	s_delay_alu instid0(VALU_DEP_1) | instskip(SKIP_2) | instid1(VALU_DEP_3)
	v_lshlrev_b32_e32 v5, 20, v8
	v_lshlrev_b32_e32 v8, 24, v6
	v_lshl_add_u32 v4, v4, 23, 0x3c000000
	v_and_b32_e32 v5, 0x700000, v5
	s_delay_alu instid0(VALU_DEP_3) | instskip(NEXT) | instid1(VALU_DEP_1)
	v_and_b32_e32 v8, 0x80000000, v8
	v_or3_b32 v4, v5, v8, v4
.LBB466_3413:                           ;   in Loop: Header=BB466_2335 Depth=1
	s_or_b32 exec_lo, exec_lo, s13
.LBB466_3414:                           ;   in Loop: Header=BB466_2335 Depth=1
	s_delay_alu instid0(SALU_CYCLE_1)
	s_or_b32 exec_lo, exec_lo, s12
.LBB466_3415:                           ;   in Loop: Header=BB466_2335 Depth=1
	s_delay_alu instid0(SALU_CYCLE_1) | instskip(NEXT) | instid1(VALU_DEP_1)
	s_or_b32 exec_lo, exec_lo, s9
	v_mul_f32_e32 v4, v26, v4
                                        ; implicit-def: $vgpr10
	s_delay_alu instid0(VALU_DEP_1) | instskip(NEXT) | instid1(VALU_DEP_1)
	v_and_b32_e32 v5, 0x7f800000, v4
	v_cmp_ne_u32_e64 s0, 0x7f800000, v5
	s_delay_alu instid0(VALU_DEP_1) | instskip(NEXT) | instid1(SALU_CYCLE_1)
	s_and_saveexec_b32 s9, s0
	s_xor_b32 s0, exec_lo, s9
; %bb.3416:                             ;   in Loop: Header=BB466_2335 Depth=1
	v_bfe_u32 v5, v4, 16, 1
	s_delay_alu instid0(VALU_DEP_1)
	v_add3_u32 v10, v4, v5, 0x7fff
                                        ; implicit-def: $vgpr4
; %bb.3417:                             ;   in Loop: Header=BB466_2335 Depth=1
	s_and_not1_saveexec_b32 s9, s0
; %bb.3418:                             ;   in Loop: Header=BB466_2335 Depth=1
	v_and_b32_e32 v5, 0xffff, v4
	v_or_b32_e32 v8, 0x10000, v4
	s_delay_alu instid0(VALU_DEP_2) | instskip(NEXT) | instid1(VALU_DEP_1)
	v_cmp_eq_u32_e64 s0, 0, v5
	v_cndmask_b32_e64 v10, v8, v4, s0
; %bb.3419:                             ;   in Loop: Header=BB466_2335 Depth=1
	s_or_b32 exec_lo, exec_lo, s9
	v_lshrrev_b16 v5, 8, v6
	v_mov_b32_e32 v4, 0
	s_mov_b32 s9, exec_lo
	s_delay_alu instid0(VALU_DEP_2)
	v_cmpx_ne_u16_e32 0, v5
	s_cbranch_execz .LBB466_3427
; %bb.3420:                             ;   in Loop: Header=BB466_2335 Depth=1
	v_bfrev_b32_e32 v4, 1
	s_mov_b32 s12, exec_lo
	v_cmpx_ne_u16_e32 0x80, v5
	s_cbranch_execz .LBB466_3426
; %bb.3421:                             ;   in Loop: Header=BB466_2335 Depth=1
	v_and_b32_e32 v8, 0xffff, v5
	v_mov_b32_e32 v4, 0x7f800001
	s_mov_b32 s13, exec_lo
	s_delay_alu instid0(VALU_DEP_2) | instskip(NEXT) | instid1(VALU_DEP_1)
	v_and_b32_e32 v5, 0x7f, v8
	v_cmpx_ne_u32_e32 0x7f, v5
	s_cbranch_execz .LBB466_3425
; %bb.3422:                             ;   in Loop: Header=BB466_2335 Depth=1
	v_and_b32_e32 v12, 7, v8
	v_lshrrev_b32_e32 v4, 3, v5
	s_mov_b32 s15, exec_lo
	s_delay_alu instid0(VALU_DEP_2)
	v_dual_mov_b32 v8, v12 :: v_dual_mov_b32 v9, v13
	v_cmpx_gt_u32_e32 8, v5
; %bb.3423:                             ;   in Loop: Header=BB466_2335 Depth=1
	v_clz_i32_u32_e32 v4, v12
	s_delay_alu instid0(VALU_DEP_1) | instskip(NEXT) | instid1(VALU_DEP_1)
	v_min_u32_e32 v4, 32, v4
	v_subrev_nc_u32_e32 v5, 28, v4
	v_sub_nc_u32_e32 v4, 29, v4
	s_delay_alu instid0(VALU_DEP_2) | instskip(NEXT) | instid1(VALU_DEP_1)
	v_lshlrev_b64 v[8:9], v5, v[12:13]
	v_and_b32_e32 v8, 7, v8
; %bb.3424:                             ;   in Loop: Header=BB466_2335 Depth=1
	s_or_b32 exec_lo, exec_lo, s15
	v_lshlrev_b32_e32 v5, 16, v6
	s_delay_alu instid0(VALU_DEP_2) | instskip(SKIP_1) | instid1(VALU_DEP_3)
	v_lshlrev_b32_e32 v8, 20, v8
	v_lshl_add_u32 v4, v4, 23, 0x3c000000
	v_and_b32_e32 v5, 0x80000000, v5
	s_delay_alu instid0(VALU_DEP_1)
	v_or3_b32 v4, v8, v5, v4
.LBB466_3425:                           ;   in Loop: Header=BB466_2335 Depth=1
	s_or_b32 exec_lo, exec_lo, s13
.LBB466_3426:                           ;   in Loop: Header=BB466_2335 Depth=1
	s_delay_alu instid0(SALU_CYCLE_1)
	s_or_b32 exec_lo, exec_lo, s12
.LBB466_3427:                           ;   in Loop: Header=BB466_2335 Depth=1
	s_delay_alu instid0(SALU_CYCLE_1) | instskip(NEXT) | instid1(VALU_DEP_1)
	s_or_b32 exec_lo, exec_lo, s9
	v_mul_f32_e32 v4, v26, v4
                                        ; implicit-def: $vgpr11
	s_delay_alu instid0(VALU_DEP_1) | instskip(NEXT) | instid1(VALU_DEP_1)
	v_and_b32_e32 v5, 0x7f800000, v4
	v_cmp_ne_u32_e64 s0, 0x7f800000, v5
	s_delay_alu instid0(VALU_DEP_1) | instskip(NEXT) | instid1(SALU_CYCLE_1)
	s_and_saveexec_b32 s9, s0
	s_xor_b32 s0, exec_lo, s9
; %bb.3428:                             ;   in Loop: Header=BB466_2335 Depth=1
	v_bfe_u32 v5, v4, 16, 1
	s_delay_alu instid0(VALU_DEP_1)
	v_add3_u32 v11, v4, v5, 0x7fff
                                        ; implicit-def: $vgpr4
; %bb.3429:                             ;   in Loop: Header=BB466_2335 Depth=1
	s_and_not1_saveexec_b32 s9, s0
; %bb.3430:                             ;   in Loop: Header=BB466_2335 Depth=1
	v_and_b32_e32 v5, 0xffff, v4
	v_or_b32_e32 v8, 0x10000, v4
	s_delay_alu instid0(VALU_DEP_2) | instskip(NEXT) | instid1(VALU_DEP_1)
	v_cmp_eq_u32_e64 s0, 0, v5
	v_cndmask_b32_e64 v11, v8, v4, s0
; %bb.3431:                             ;   in Loop: Header=BB466_2335 Depth=1
	s_or_b32 exec_lo, exec_lo, s9
	v_lshrrev_b32_e32 v4, 16, v6
	s_mov_b32 s9, exec_lo
	s_delay_alu instid0(VALU_DEP_1) | instskip(NEXT) | instid1(VALU_DEP_1)
	v_dual_mov_b32 v8, 0 :: v_dual_and_b32 v5, 0xff, v4
	v_cmpx_ne_u16_e32 0, v5
	s_cbranch_execz .LBB466_3439
; %bb.3432:                             ;   in Loop: Header=BB466_2335 Depth=1
	v_bfrev_b32_e32 v8, 1
	s_mov_b32 s12, exec_lo
	v_cmpx_ne_u16_e32 0x80, v5
	s_cbranch_execz .LBB466_3438
; %bb.3433:                             ;   in Loop: Header=BB466_2335 Depth=1
	v_bfe_u32 v5, v6, 16, 7
	v_mov_b32_e32 v8, 0x7f800001
	s_mov_b32 s13, exec_lo
	s_delay_alu instid0(VALU_DEP_2)
	v_cmpx_ne_u32_e32 0x7f, v5
	s_cbranch_execz .LBB466_3437
; %bb.3434:                             ;   in Loop: Header=BB466_2335 Depth=1
	v_and_b32_e32 v12, 7, v4
	v_lshrrev_b32_e32 v17, 3, v5
	s_mov_b32 s15, exec_lo
	s_delay_alu instid0(VALU_DEP_2)
	v_dual_mov_b32 v8, v12 :: v_dual_mov_b32 v9, v13
	v_cmpx_gt_u32_e32 8, v5
; %bb.3435:                             ;   in Loop: Header=BB466_2335 Depth=1
	v_clz_i32_u32_e32 v5, v12
	s_delay_alu instid0(VALU_DEP_1) | instskip(NEXT) | instid1(VALU_DEP_1)
	v_min_u32_e32 v5, 32, v5
	v_subrev_nc_u32_e32 v8, 28, v5
	v_sub_nc_u32_e32 v17, 29, v5
	s_delay_alu instid0(VALU_DEP_2) | instskip(NEXT) | instid1(VALU_DEP_1)
	v_lshlrev_b64 v[8:9], v8, v[12:13]
	v_and_b32_e32 v8, 7, v8
; %bb.3436:                             ;   in Loop: Header=BB466_2335 Depth=1
	s_or_b32 exec_lo, exec_lo, s15
	v_lshlrev_b32_e32 v4, 24, v4
	s_delay_alu instid0(VALU_DEP_2) | instskip(SKIP_1) | instid1(VALU_DEP_3)
	v_lshlrev_b32_e32 v5, 20, v8
	v_lshl_add_u32 v8, v17, 23, 0x3c000000
	v_and_b32_e32 v4, 0x80000000, v4
	s_delay_alu instid0(VALU_DEP_1)
	v_or3_b32 v8, v5, v4, v8
.LBB466_3437:                           ;   in Loop: Header=BB466_2335 Depth=1
	s_or_b32 exec_lo, exec_lo, s13
.LBB466_3438:                           ;   in Loop: Header=BB466_2335 Depth=1
	s_delay_alu instid0(SALU_CYCLE_1)
	s_or_b32 exec_lo, exec_lo, s12
.LBB466_3439:                           ;   in Loop: Header=BB466_2335 Depth=1
	s_delay_alu instid0(SALU_CYCLE_1) | instskip(NEXT) | instid1(VALU_DEP_1)
	s_or_b32 exec_lo, exec_lo, s9
	v_mul_f32_e32 v4, v26, v8
                                        ; implicit-def: $vgpr17
	s_delay_alu instid0(VALU_DEP_1) | instskip(NEXT) | instid1(VALU_DEP_1)
	v_and_b32_e32 v5, 0x7f800000, v4
	v_cmp_ne_u32_e64 s0, 0x7f800000, v5
	s_delay_alu instid0(VALU_DEP_1) | instskip(NEXT) | instid1(SALU_CYCLE_1)
	s_and_saveexec_b32 s9, s0
	s_xor_b32 s0, exec_lo, s9
; %bb.3440:                             ;   in Loop: Header=BB466_2335 Depth=1
	v_bfe_u32 v5, v4, 16, 1
	s_delay_alu instid0(VALU_DEP_1)
	v_add3_u32 v17, v4, v5, 0x7fff
                                        ; implicit-def: $vgpr4
; %bb.3441:                             ;   in Loop: Header=BB466_2335 Depth=1
	s_and_not1_saveexec_b32 s9, s0
; %bb.3442:                             ;   in Loop: Header=BB466_2335 Depth=1
	v_and_b32_e32 v5, 0xffff, v4
	v_or_b32_e32 v8, 0x10000, v4
	s_delay_alu instid0(VALU_DEP_2) | instskip(NEXT) | instid1(VALU_DEP_1)
	v_cmp_eq_u32_e64 s0, 0, v5
	v_cndmask_b32_e64 v17, v8, v4, s0
; %bb.3443:                             ;   in Loop: Header=BB466_2335 Depth=1
	s_or_b32 exec_lo, exec_lo, s9
	v_mov_b32_e32 v8, 0
	s_mov_b32 s9, exec_lo
	v_cmpx_lt_u32_e32 0xffffff, v6
	s_cbranch_execz .LBB466_3451
; %bb.3444:                             ;   in Loop: Header=BB466_2335 Depth=1
	v_lshrrev_b32_e32 v4, 24, v6
	v_bfrev_b32_e32 v8, 1
	s_mov_b32 s12, exec_lo
	s_delay_alu instid0(VALU_DEP_2)
	v_cmpx_ne_u32_e32 0x80, v4
	s_cbranch_execz .LBB466_3450
; %bb.3445:                             ;   in Loop: Header=BB466_2335 Depth=1
	v_bfe_u32 v5, v6, 24, 7
	v_mov_b32_e32 v8, 0x7f800001
	s_mov_b32 s13, exec_lo
	s_delay_alu instid0(VALU_DEP_2)
	v_cmpx_ne_u32_e32 0x7f, v5
	s_cbranch_execz .LBB466_3449
; %bb.3446:                             ;   in Loop: Header=BB466_2335 Depth=1
	v_and_b32_e32 v12, 7, v4
	v_lshrrev_b32_e32 v18, 3, v5
	s_mov_b32 s15, exec_lo
	s_delay_alu instid0(VALU_DEP_2)
	v_dual_mov_b32 v8, v12 :: v_dual_mov_b32 v9, v13
	v_cmpx_gt_u32_e32 8, v5
; %bb.3447:                             ;   in Loop: Header=BB466_2335 Depth=1
	v_clz_i32_u32_e32 v5, v12
	s_delay_alu instid0(VALU_DEP_1) | instskip(NEXT) | instid1(VALU_DEP_1)
	v_min_u32_e32 v5, 32, v5
	v_subrev_nc_u32_e32 v8, 28, v5
	v_sub_nc_u32_e32 v18, 29, v5
	s_delay_alu instid0(VALU_DEP_2) | instskip(NEXT) | instid1(VALU_DEP_1)
	v_lshlrev_b64 v[8:9], v8, v[12:13]
	v_and_b32_e32 v8, 7, v8
; %bb.3448:                             ;   in Loop: Header=BB466_2335 Depth=1
	s_or_b32 exec_lo, exec_lo, s15
	v_lshlrev_b32_e32 v4, 24, v4
	s_delay_alu instid0(VALU_DEP_2) | instskip(SKIP_1) | instid1(VALU_DEP_3)
	v_lshlrev_b32_e32 v5, 20, v8
	v_lshl_add_u32 v8, v18, 23, 0x3c000000
	v_and_b32_e32 v4, 0x80000000, v4
	s_delay_alu instid0(VALU_DEP_1)
	v_or3_b32 v8, v5, v4, v8
.LBB466_3449:                           ;   in Loop: Header=BB466_2335 Depth=1
	s_or_b32 exec_lo, exec_lo, s13
.LBB466_3450:                           ;   in Loop: Header=BB466_2335 Depth=1
	s_delay_alu instid0(SALU_CYCLE_1)
	s_or_b32 exec_lo, exec_lo, s12
.LBB466_3451:                           ;   in Loop: Header=BB466_2335 Depth=1
	s_delay_alu instid0(SALU_CYCLE_1) | instskip(NEXT) | instid1(VALU_DEP_1)
	s_or_b32 exec_lo, exec_lo, s9
	v_mul_f32_e32 v4, v26, v8
                                        ; implicit-def: $vgpr18
	s_delay_alu instid0(VALU_DEP_1) | instskip(NEXT) | instid1(VALU_DEP_1)
	v_and_b32_e32 v5, 0x7f800000, v4
	v_cmp_ne_u32_e64 s0, 0x7f800000, v5
	s_delay_alu instid0(VALU_DEP_1) | instskip(NEXT) | instid1(SALU_CYCLE_1)
	s_and_saveexec_b32 s9, s0
	s_xor_b32 s0, exec_lo, s9
; %bb.3452:                             ;   in Loop: Header=BB466_2335 Depth=1
	v_bfe_u32 v5, v4, 16, 1
	s_delay_alu instid0(VALU_DEP_1)
	v_add3_u32 v18, v4, v5, 0x7fff
                                        ; implicit-def: $vgpr4
; %bb.3453:                             ;   in Loop: Header=BB466_2335 Depth=1
	s_and_not1_saveexec_b32 s9, s0
; %bb.3454:                             ;   in Loop: Header=BB466_2335 Depth=1
	v_and_b32_e32 v5, 0xffff, v4
	v_or_b32_e32 v8, 0x10000, v4
	s_delay_alu instid0(VALU_DEP_2) | instskip(NEXT) | instid1(VALU_DEP_1)
	v_cmp_eq_u32_e64 s0, 0, v5
	v_cndmask_b32_e64 v18, v8, v4, s0
; %bb.3455:                             ;   in Loop: Header=BB466_2335 Depth=1
	s_or_b32 exec_lo, exec_lo, s9
	v_dual_mov_b32 v12, v7 :: v_dual_and_b32 v5, 0xff, v7
	v_mov_b32_e32 v4, 0
	s_mov_b32 s9, exec_lo
	s_delay_alu instid0(VALU_DEP_2)
	v_cmpx_ne_u16_e32 0, v5
	s_cbranch_execz .LBB466_3463
; %bb.3456:                             ;   in Loop: Header=BB466_2335 Depth=1
	v_bfrev_b32_e32 v4, 1
	s_mov_b32 s12, exec_lo
	v_cmpx_ne_u16_e32 0x80, v5
	s_cbranch_execz .LBB466_3462
; %bb.3457:                             ;   in Loop: Header=BB466_2335 Depth=1
	v_and_b32_e32 v5, 0x7f, v7
	v_mov_b32_e32 v4, 0x7f800001
	s_mov_b32 s13, exec_lo
	s_delay_alu instid0(VALU_DEP_2)
	v_cmpx_ne_u32_e32 0x7f, v5
	s_cbranch_execz .LBB466_3461
; %bb.3458:                             ;   in Loop: Header=BB466_2335 Depth=1
	v_lshrrev_b32_e32 v4, 3, v5
	v_dual_mov_b32 v8, v12 :: v_dual_mov_b32 v9, v13
	s_mov_b32 s15, exec_lo
	v_cmpx_gt_u32_e32 8, v5
; %bb.3459:                             ;   in Loop: Header=BB466_2335 Depth=1
	v_and_b32_e32 v4, 7, v7
	s_delay_alu instid0(VALU_DEP_1) | instskip(NEXT) | instid1(VALU_DEP_1)
	v_clz_i32_u32_e32 v4, v4
	v_min_u32_e32 v4, 32, v4
	s_delay_alu instid0(VALU_DEP_1) | instskip(SKIP_1) | instid1(VALU_DEP_2)
	v_subrev_nc_u32_e32 v5, 28, v4
	v_sub_nc_u32_e32 v4, 29, v4
	v_lshlrev_b64 v[8:9], v5, v[12:13]
; %bb.3460:                             ;   in Loop: Header=BB466_2335 Depth=1
	s_or_b32 exec_lo, exec_lo, s15
	s_delay_alu instid0(VALU_DEP_1) | instskip(SKIP_2) | instid1(VALU_DEP_3)
	v_lshlrev_b32_e32 v5, 20, v8
	v_lshlrev_b32_e32 v8, 24, v12
	v_lshl_add_u32 v4, v4, 23, 0x3c000000
	v_and_b32_e32 v5, 0x700000, v5
	s_delay_alu instid0(VALU_DEP_3) | instskip(NEXT) | instid1(VALU_DEP_1)
	v_and_b32_e32 v8, 0x80000000, v8
	v_or3_b32 v4, v5, v8, v4
.LBB466_3461:                           ;   in Loop: Header=BB466_2335 Depth=1
	s_or_b32 exec_lo, exec_lo, s13
.LBB466_3462:                           ;   in Loop: Header=BB466_2335 Depth=1
	s_delay_alu instid0(SALU_CYCLE_1)
	s_or_b32 exec_lo, exec_lo, s12
.LBB466_3463:                           ;   in Loop: Header=BB466_2335 Depth=1
	s_delay_alu instid0(SALU_CYCLE_1) | instskip(NEXT) | instid1(VALU_DEP_1)
	s_or_b32 exec_lo, exec_lo, s9
	v_mul_f32_e32 v4, v26, v4
                                        ; implicit-def: $vgpr19
	s_delay_alu instid0(VALU_DEP_1) | instskip(NEXT) | instid1(VALU_DEP_1)
	v_and_b32_e32 v5, 0x7f800000, v4
	v_cmp_ne_u32_e64 s0, 0x7f800000, v5
	s_delay_alu instid0(VALU_DEP_1) | instskip(NEXT) | instid1(SALU_CYCLE_1)
	s_and_saveexec_b32 s9, s0
	s_xor_b32 s0, exec_lo, s9
; %bb.3464:                             ;   in Loop: Header=BB466_2335 Depth=1
	v_bfe_u32 v5, v4, 16, 1
	s_delay_alu instid0(VALU_DEP_1)
	v_add3_u32 v19, v4, v5, 0x7fff
                                        ; implicit-def: $vgpr4
; %bb.3465:                             ;   in Loop: Header=BB466_2335 Depth=1
	s_and_not1_saveexec_b32 s9, s0
; %bb.3466:                             ;   in Loop: Header=BB466_2335 Depth=1
	v_and_b32_e32 v5, 0xffff, v4
	v_or_b32_e32 v8, 0x10000, v4
	s_delay_alu instid0(VALU_DEP_2) | instskip(NEXT) | instid1(VALU_DEP_1)
	v_cmp_eq_u32_e64 s0, 0, v5
	v_cndmask_b32_e64 v19, v8, v4, s0
; %bb.3467:                             ;   in Loop: Header=BB466_2335 Depth=1
	s_or_b32 exec_lo, exec_lo, s9
	v_lshrrev_b16 v5, 8, v12
	v_mov_b32_e32 v4, 0
	s_mov_b32 s9, exec_lo
	s_delay_alu instid0(VALU_DEP_2)
	v_cmpx_ne_u16_e32 0, v5
	s_cbranch_execz .LBB466_3475
; %bb.3468:                             ;   in Loop: Header=BB466_2335 Depth=1
	v_bfrev_b32_e32 v4, 1
	s_mov_b32 s12, exec_lo
	v_cmpx_ne_u16_e32 0x80, v5
	s_cbranch_execz .LBB466_3474
; %bb.3469:                             ;   in Loop: Header=BB466_2335 Depth=1
	v_and_b32_e32 v8, 0xffff, v5
	v_mov_b32_e32 v4, 0x7f800001
	s_mov_b32 s13, exec_lo
	s_delay_alu instid0(VALU_DEP_2) | instskip(NEXT) | instid1(VALU_DEP_1)
	v_and_b32_e32 v5, 0x7f, v8
	v_cmpx_ne_u32_e32 0x7f, v5
	s_cbranch_execz .LBB466_3473
; %bb.3470:                             ;   in Loop: Header=BB466_2335 Depth=1
	v_dual_mov_b32 v9, v13 :: v_dual_and_b32 v8, 7, v8
	v_lshrrev_b32_e32 v4, 3, v5
	s_mov_b32 s15, exec_lo
	v_cmpx_gt_u32_e32 8, v5
; %bb.3471:                             ;   in Loop: Header=BB466_2335 Depth=1
	s_delay_alu instid0(VALU_DEP_3) | instskip(NEXT) | instid1(VALU_DEP_1)
	v_clz_i32_u32_e32 v4, v8
	v_min_u32_e32 v4, 32, v4
	s_delay_alu instid0(VALU_DEP_1) | instskip(SKIP_1) | instid1(VALU_DEP_2)
	v_subrev_nc_u32_e32 v5, 28, v4
	v_sub_nc_u32_e32 v4, 29, v4
	v_lshlrev_b64 v[8:9], v5, v[8:9]
	s_delay_alu instid0(VALU_DEP_1)
	v_and_b32_e32 v8, 7, v8
; %bb.3472:                             ;   in Loop: Header=BB466_2335 Depth=1
	s_or_b32 exec_lo, exec_lo, s15
	v_lshlrev_b32_e32 v5, 16, v12
	s_delay_alu instid0(VALU_DEP_2) | instskip(SKIP_1) | instid1(VALU_DEP_3)
	v_lshlrev_b32_e32 v8, 20, v8
	v_lshl_add_u32 v4, v4, 23, 0x3c000000
	v_and_b32_e32 v5, 0x80000000, v5
	s_delay_alu instid0(VALU_DEP_1)
	v_or3_b32 v4, v8, v5, v4
.LBB466_3473:                           ;   in Loop: Header=BB466_2335 Depth=1
	s_or_b32 exec_lo, exec_lo, s13
.LBB466_3474:                           ;   in Loop: Header=BB466_2335 Depth=1
	s_delay_alu instid0(SALU_CYCLE_1)
	s_or_b32 exec_lo, exec_lo, s12
.LBB466_3475:                           ;   in Loop: Header=BB466_2335 Depth=1
	s_delay_alu instid0(SALU_CYCLE_1) | instskip(NEXT) | instid1(VALU_DEP_1)
	s_or_b32 exec_lo, exec_lo, s9
	v_mul_f32_e32 v4, v26, v4
                                        ; implicit-def: $vgpr20
	s_delay_alu instid0(VALU_DEP_1) | instskip(NEXT) | instid1(VALU_DEP_1)
	v_and_b32_e32 v5, 0x7f800000, v4
	v_cmp_ne_u32_e64 s0, 0x7f800000, v5
	s_delay_alu instid0(VALU_DEP_1) | instskip(NEXT) | instid1(SALU_CYCLE_1)
	s_and_saveexec_b32 s9, s0
	s_xor_b32 s0, exec_lo, s9
; %bb.3476:                             ;   in Loop: Header=BB466_2335 Depth=1
	v_bfe_u32 v5, v4, 16, 1
	s_delay_alu instid0(VALU_DEP_1)
	v_add3_u32 v20, v4, v5, 0x7fff
                                        ; implicit-def: $vgpr4
; %bb.3477:                             ;   in Loop: Header=BB466_2335 Depth=1
	s_and_not1_saveexec_b32 s9, s0
; %bb.3478:                             ;   in Loop: Header=BB466_2335 Depth=1
	v_and_b32_e32 v5, 0xffff, v4
	v_or_b32_e32 v8, 0x10000, v4
	s_delay_alu instid0(VALU_DEP_2) | instskip(NEXT) | instid1(VALU_DEP_1)
	v_cmp_eq_u32_e64 s0, 0, v5
	v_cndmask_b32_e64 v20, v8, v4, s0
; %bb.3479:                             ;   in Loop: Header=BB466_2335 Depth=1
	s_or_b32 exec_lo, exec_lo, s9
	v_lshrrev_b32_e32 v4, 16, v7
	s_mov_b32 s9, exec_lo
	s_delay_alu instid0(VALU_DEP_1) | instskip(NEXT) | instid1(VALU_DEP_1)
	v_dual_mov_b32 v8, 0 :: v_dual_and_b32 v5, 0xff, v4
	v_cmpx_ne_u16_e32 0, v5
	s_cbranch_execz .LBB466_3487
; %bb.3480:                             ;   in Loop: Header=BB466_2335 Depth=1
	v_bfrev_b32_e32 v8, 1
	s_mov_b32 s12, exec_lo
	v_cmpx_ne_u16_e32 0x80, v5
	s_cbranch_execz .LBB466_3486
; %bb.3481:                             ;   in Loop: Header=BB466_2335 Depth=1
	v_bfe_u32 v5, v7, 16, 7
	v_mov_b32_e32 v8, 0x7f800001
	s_mov_b32 s13, exec_lo
	s_delay_alu instid0(VALU_DEP_2)
	v_cmpx_ne_u32_e32 0x7f, v5
	s_cbranch_execz .LBB466_3485
; %bb.3482:                             ;   in Loop: Header=BB466_2335 Depth=1
	v_and_b32_e32 v12, 7, v4
	v_lshrrev_b32_e32 v22, 3, v5
	s_mov_b32 s15, exec_lo
	s_delay_alu instid0(VALU_DEP_2)
	v_dual_mov_b32 v8, v12 :: v_dual_mov_b32 v9, v13
	v_cmpx_gt_u32_e32 8, v5
; %bb.3483:                             ;   in Loop: Header=BB466_2335 Depth=1
	v_clz_i32_u32_e32 v5, v12
	s_delay_alu instid0(VALU_DEP_1) | instskip(NEXT) | instid1(VALU_DEP_1)
	v_min_u32_e32 v5, 32, v5
	v_subrev_nc_u32_e32 v8, 28, v5
	v_sub_nc_u32_e32 v22, 29, v5
	s_delay_alu instid0(VALU_DEP_2) | instskip(NEXT) | instid1(VALU_DEP_1)
	v_lshlrev_b64 v[8:9], v8, v[12:13]
	v_and_b32_e32 v8, 7, v8
; %bb.3484:                             ;   in Loop: Header=BB466_2335 Depth=1
	s_or_b32 exec_lo, exec_lo, s15
	v_lshlrev_b32_e32 v4, 24, v4
	s_delay_alu instid0(VALU_DEP_2) | instskip(SKIP_1) | instid1(VALU_DEP_3)
	v_lshlrev_b32_e32 v5, 20, v8
	v_lshl_add_u32 v8, v22, 23, 0x3c000000
	v_and_b32_e32 v4, 0x80000000, v4
	s_delay_alu instid0(VALU_DEP_1)
	v_or3_b32 v8, v5, v4, v8
.LBB466_3485:                           ;   in Loop: Header=BB466_2335 Depth=1
	s_or_b32 exec_lo, exec_lo, s13
.LBB466_3486:                           ;   in Loop: Header=BB466_2335 Depth=1
	s_delay_alu instid0(SALU_CYCLE_1)
	s_or_b32 exec_lo, exec_lo, s12
.LBB466_3487:                           ;   in Loop: Header=BB466_2335 Depth=1
	s_delay_alu instid0(SALU_CYCLE_1) | instskip(NEXT) | instid1(VALU_DEP_1)
	s_or_b32 exec_lo, exec_lo, s9
	v_mul_f32_e32 v4, v26, v8
                                        ; implicit-def: $vgpr22
	s_delay_alu instid0(VALU_DEP_1) | instskip(NEXT) | instid1(VALU_DEP_1)
	v_and_b32_e32 v5, 0x7f800000, v4
	v_cmp_ne_u32_e64 s0, 0x7f800000, v5
	s_delay_alu instid0(VALU_DEP_1) | instskip(NEXT) | instid1(SALU_CYCLE_1)
	s_and_saveexec_b32 s9, s0
	s_xor_b32 s0, exec_lo, s9
; %bb.3488:                             ;   in Loop: Header=BB466_2335 Depth=1
	v_bfe_u32 v5, v4, 16, 1
	s_delay_alu instid0(VALU_DEP_1)
	v_add3_u32 v22, v4, v5, 0x7fff
                                        ; implicit-def: $vgpr4
; %bb.3489:                             ;   in Loop: Header=BB466_2335 Depth=1
	s_and_not1_saveexec_b32 s9, s0
; %bb.3490:                             ;   in Loop: Header=BB466_2335 Depth=1
	v_and_b32_e32 v5, 0xffff, v4
	v_or_b32_e32 v8, 0x10000, v4
	s_delay_alu instid0(VALU_DEP_2) | instskip(NEXT) | instid1(VALU_DEP_1)
	v_cmp_eq_u32_e64 s0, 0, v5
	v_cndmask_b32_e64 v22, v8, v4, s0
; %bb.3491:                             ;   in Loop: Header=BB466_2335 Depth=1
	s_or_b32 exec_lo, exec_lo, s9
	v_cmp_lt_u64_e64 s0, s[2:3], v[6:7]
	v_mov_b32_e32 v6, 0
	s_delay_alu instid0(VALU_DEP_2)
	s_and_saveexec_b32 s9, s0
	s_cbranch_execz .LBB466_3499
; %bb.3492:                             ;   in Loop: Header=BB466_2335 Depth=1
	v_lshrrev_b32_e32 v4, 24, v7
	v_bfrev_b32_e32 v6, 1
	s_mov_b32 s12, exec_lo
	s_delay_alu instid0(VALU_DEP_2)
	v_cmpx_ne_u32_e32 0x80, v4
	s_cbranch_execz .LBB466_3498
; %bb.3493:                             ;   in Loop: Header=BB466_2335 Depth=1
	v_bfe_u32 v5, v7, 24, 7
	v_mov_b32_e32 v6, 0x7f800001
	s_mov_b32 s13, exec_lo
	s_delay_alu instid0(VALU_DEP_2)
	v_cmpx_ne_u32_e32 0x7f, v5
	s_cbranch_execz .LBB466_3497
; %bb.3494:                             ;   in Loop: Header=BB466_2335 Depth=1
	v_and_b32_e32 v12, 7, v4
	v_lshrrev_b32_e32 v8, 3, v5
	s_mov_b32 s15, exec_lo
	s_delay_alu instid0(VALU_DEP_2)
	v_dual_mov_b32 v6, v12 :: v_dual_mov_b32 v7, v13
	v_cmpx_gt_u32_e32 8, v5
; %bb.3495:                             ;   in Loop: Header=BB466_2335 Depth=1
	v_clz_i32_u32_e32 v5, v12
	s_delay_alu instid0(VALU_DEP_1) | instskip(NEXT) | instid1(VALU_DEP_1)
	v_min_u32_e32 v7, 32, v5
	v_subrev_nc_u32_e32 v5, 28, v7
	v_sub_nc_u32_e32 v8, 29, v7
	s_delay_alu instid0(VALU_DEP_2) | instskip(NEXT) | instid1(VALU_DEP_1)
	v_lshlrev_b64 v[5:6], v5, v[12:13]
	v_and_b32_e32 v6, 7, v5
; %bb.3496:                             ;   in Loop: Header=BB466_2335 Depth=1
	s_or_b32 exec_lo, exec_lo, s15
	v_lshlrev_b32_e32 v4, 24, v4
	s_delay_alu instid0(VALU_DEP_2) | instskip(SKIP_1) | instid1(VALU_DEP_3)
	v_lshlrev_b32_e32 v5, 20, v6
	v_lshl_add_u32 v6, v8, 23, 0x3c000000
	v_and_b32_e32 v4, 0x80000000, v4
	s_delay_alu instid0(VALU_DEP_1)
	v_or3_b32 v6, v5, v4, v6
.LBB466_3497:                           ;   in Loop: Header=BB466_2335 Depth=1
	s_or_b32 exec_lo, exec_lo, s13
.LBB466_3498:                           ;   in Loop: Header=BB466_2335 Depth=1
	s_delay_alu instid0(SALU_CYCLE_1)
	s_or_b32 exec_lo, exec_lo, s12
.LBB466_3499:                           ;   in Loop: Header=BB466_2335 Depth=1
	s_delay_alu instid0(SALU_CYCLE_1) | instskip(NEXT) | instid1(VALU_DEP_1)
	s_or_b32 exec_lo, exec_lo, s9
	v_mul_f32_e32 v4, v26, v6
                                        ; implicit-def: $vgpr6
	s_delay_alu instid0(VALU_DEP_1) | instskip(NEXT) | instid1(VALU_DEP_1)
	v_and_b32_e32 v5, 0x7f800000, v4
	v_cmp_ne_u32_e64 s0, 0x7f800000, v5
	s_delay_alu instid0(VALU_DEP_1) | instskip(NEXT) | instid1(SALU_CYCLE_1)
	s_and_saveexec_b32 s9, s0
	s_xor_b32 s0, exec_lo, s9
; %bb.3500:                             ;   in Loop: Header=BB466_2335 Depth=1
	v_bfe_u32 v5, v4, 16, 1
	s_delay_alu instid0(VALU_DEP_1)
	v_add3_u32 v6, v4, v5, 0x7fff
                                        ; implicit-def: $vgpr4
; %bb.3501:                             ;   in Loop: Header=BB466_2335 Depth=1
	s_and_not1_saveexec_b32 s9, s0
; %bb.3502:                             ;   in Loop: Header=BB466_2335 Depth=1
	v_and_b32_e32 v5, 0xffff, v4
	v_or_b32_e32 v6, 0x10000, v4
	s_delay_alu instid0(VALU_DEP_2) | instskip(NEXT) | instid1(VALU_DEP_1)
	v_cmp_eq_u32_e64 s0, 0, v5
	v_cndmask_b32_e64 v6, v6, v4, s0
; %bb.3503:                             ;   in Loop: Header=BB466_2335 Depth=1
	s_or_b32 exec_lo, exec_lo, s9
	v_lshrrev_b32_e32 v8, 16, v20
	v_lshrrev_b32_e32 v9, 16, v19
	;; [unrolled: 1-line block ×8, first 2 shown]
	s_and_saveexec_b32 s9, vcc_lo
	s_cbranch_execz .LBB466_3505
; %bb.3504:                             ;   in Loop: Header=BB466_2335 Depth=1
	v_cmp_lt_i32_e64 s0, v130, v36
	s_delay_alu instid0(VALU_DEP_1) | instskip(SKIP_1) | instid1(VALU_DEP_1)
	v_cndmask_b32_e64 v4, 0, v4, s0
	v_cmp_lt_i32_e64 s0, v133, v36
	v_cndmask_b32_e64 v11, 0, v11, s0
	v_cmp_lt_i32_e64 s0, v132, v36
	s_delay_alu instid0(VALU_DEP_1) | instskip(SKIP_1) | instid1(VALU_DEP_1)
	v_cndmask_b32_e64 v17, 0, v17, s0
	v_cmp_lt_i32_e64 s0, v131, v36
	v_cndmask_b32_e64 v12, 0, v12, s0
	;; [unrolled: 5-line block ×4, first 2 shown]
.LBB466_3505:                           ;   in Loop: Header=BB466_2335 Depth=1
	s_or_b32 exec_lo, exec_lo, s9
	v_lshlrev_b32_e32 v4, 16, v4
                                        ; implicit-def: $vgpr89
	s_delay_alu instid0(VALU_DEP_1) | instskip(NEXT) | instid1(VALU_DEP_1)
	v_mul_f32_e32 v4, v134, v4
	v_and_b32_e32 v5, 0x7f800000, v4
	s_delay_alu instid0(VALU_DEP_1) | instskip(NEXT) | instid1(VALU_DEP_1)
	v_cmp_ne_u32_e64 s0, 0x7f800000, v5
	s_and_saveexec_b32 s9, s0
	s_delay_alu instid0(SALU_CYCLE_1)
	s_xor_b32 s0, exec_lo, s9
; %bb.3506:                             ;   in Loop: Header=BB466_2335 Depth=1
	v_bfe_u32 v5, v4, 16, 1
	s_delay_alu instid0(VALU_DEP_1)
	v_add3_u32 v89, v4, v5, 0x7fff
                                        ; implicit-def: $vgpr4
; %bb.3507:                             ;   in Loop: Header=BB466_2335 Depth=1
	s_and_not1_saveexec_b32 s9, s0
; %bb.3508:                             ;   in Loop: Header=BB466_2335 Depth=1
	v_and_b32_e32 v5, 0xffff, v4
	v_or_b32_e32 v10, 0x10000, v4
	s_delay_alu instid0(VALU_DEP_2) | instskip(NEXT) | instid1(VALU_DEP_1)
	v_cmp_eq_u32_e64 s0, 0, v5
	v_cndmask_b32_e64 v89, v10, v4, s0
; %bb.3509:                             ;   in Loop: Header=BB466_2335 Depth=1
	s_or_b32 exec_lo, exec_lo, s9
	v_lshlrev_b32_e32 v4, 16, v11
                                        ; implicit-def: $vgpr90
	s_delay_alu instid0(VALU_DEP_1) | instskip(NEXT) | instid1(VALU_DEP_1)
	v_mul_f32_e32 v4, v135, v4
	v_and_b32_e32 v5, 0x7f800000, v4
	s_delay_alu instid0(VALU_DEP_1) | instskip(NEXT) | instid1(VALU_DEP_1)
	v_cmp_ne_u32_e64 s0, 0x7f800000, v5
	s_and_saveexec_b32 s9, s0
	s_delay_alu instid0(SALU_CYCLE_1)
	s_xor_b32 s0, exec_lo, s9
; %bb.3510:                             ;   in Loop: Header=BB466_2335 Depth=1
	v_bfe_u32 v5, v4, 16, 1
	s_delay_alu instid0(VALU_DEP_1)
	v_add3_u32 v90, v4, v5, 0x7fff
                                        ; implicit-def: $vgpr4
; %bb.3511:                             ;   in Loop: Header=BB466_2335 Depth=1
	s_and_not1_saveexec_b32 s9, s0
; %bb.3512:                             ;   in Loop: Header=BB466_2335 Depth=1
	v_and_b32_e32 v5, 0xffff, v4
	v_or_b32_e32 v10, 0x10000, v4
	s_delay_alu instid0(VALU_DEP_2) | instskip(NEXT) | instid1(VALU_DEP_1)
	v_cmp_eq_u32_e64 s0, 0, v5
	v_cndmask_b32_e64 v90, v10, v4, s0
; %bb.3513:                             ;   in Loop: Header=BB466_2335 Depth=1
	s_or_b32 exec_lo, exec_lo, s9
	v_lshlrev_b32_e32 v4, 16, v17
                                        ; implicit-def: $vgpr91
	s_delay_alu instid0(VALU_DEP_1) | instskip(NEXT) | instid1(VALU_DEP_1)
	v_mul_f32_e32 v4, v144, v4
	v_and_b32_e32 v5, 0x7f800000, v4
	s_delay_alu instid0(VALU_DEP_1) | instskip(NEXT) | instid1(VALU_DEP_1)
	v_cmp_ne_u32_e64 s0, 0x7f800000, v5
	s_and_saveexec_b32 s9, s0
	s_delay_alu instid0(SALU_CYCLE_1)
	s_xor_b32 s0, exec_lo, s9
; %bb.3514:                             ;   in Loop: Header=BB466_2335 Depth=1
	v_bfe_u32 v5, v4, 16, 1
	s_delay_alu instid0(VALU_DEP_1)
	v_add3_u32 v91, v4, v5, 0x7fff
                                        ; implicit-def: $vgpr4
; %bb.3515:                             ;   in Loop: Header=BB466_2335 Depth=1
	s_and_not1_saveexec_b32 s9, s0
; %bb.3516:                             ;   in Loop: Header=BB466_2335 Depth=1
	v_and_b32_e32 v5, 0xffff, v4
	v_or_b32_e32 v10, 0x10000, v4
	s_delay_alu instid0(VALU_DEP_2) | instskip(NEXT) | instid1(VALU_DEP_1)
	v_cmp_eq_u32_e64 s0, 0, v5
	v_cndmask_b32_e64 v91, v10, v4, s0
; %bb.3517:                             ;   in Loop: Header=BB466_2335 Depth=1
	s_or_b32 exec_lo, exec_lo, s9
	v_lshlrev_b32_e32 v4, 16, v12
                                        ; implicit-def: $vgpr92
	s_delay_alu instid0(VALU_DEP_1) | instskip(NEXT) | instid1(VALU_DEP_1)
	v_mul_f32_e32 v4, v145, v4
	v_and_b32_e32 v5, 0x7f800000, v4
	s_delay_alu instid0(VALU_DEP_1) | instskip(NEXT) | instid1(VALU_DEP_1)
	v_cmp_ne_u32_e64 s0, 0x7f800000, v5
	s_and_saveexec_b32 s9, s0
	s_delay_alu instid0(SALU_CYCLE_1)
	s_xor_b32 s0, exec_lo, s9
; %bb.3518:                             ;   in Loop: Header=BB466_2335 Depth=1
	v_bfe_u32 v5, v4, 16, 1
	s_delay_alu instid0(VALU_DEP_1)
	v_add3_u32 v92, v4, v5, 0x7fff
                                        ; implicit-def: $vgpr4
; %bb.3519:                             ;   in Loop: Header=BB466_2335 Depth=1
	s_and_not1_saveexec_b32 s9, s0
; %bb.3520:                             ;   in Loop: Header=BB466_2335 Depth=1
	v_and_b32_e32 v5, 0xffff, v4
	v_or_b32_e32 v10, 0x10000, v4
	s_delay_alu instid0(VALU_DEP_2) | instskip(NEXT) | instid1(VALU_DEP_1)
	v_cmp_eq_u32_e64 s0, 0, v5
	v_cndmask_b32_e64 v92, v10, v4, s0
; %bb.3521:                             ;   in Loop: Header=BB466_2335 Depth=1
	s_or_b32 exec_lo, exec_lo, s9
	v_lshlrev_b32_e32 v4, 16, v9
                                        ; implicit-def: $vgpr93
	s_delay_alu instid0(VALU_DEP_1) | instskip(NEXT) | instid1(VALU_DEP_1)
	v_mul_f32_e32 v4, v146, v4
	v_and_b32_e32 v5, 0x7f800000, v4
	s_delay_alu instid0(VALU_DEP_1) | instskip(NEXT) | instid1(VALU_DEP_1)
	v_cmp_ne_u32_e64 s0, 0x7f800000, v5
	s_and_saveexec_b32 s9, s0
	s_delay_alu instid0(SALU_CYCLE_1)
	s_xor_b32 s0, exec_lo, s9
; %bb.3522:                             ;   in Loop: Header=BB466_2335 Depth=1
	v_bfe_u32 v5, v4, 16, 1
	s_delay_alu instid0(VALU_DEP_1)
	v_add3_u32 v93, v4, v5, 0x7fff
                                        ; implicit-def: $vgpr4
; %bb.3523:                             ;   in Loop: Header=BB466_2335 Depth=1
	s_and_not1_saveexec_b32 s9, s0
; %bb.3524:                             ;   in Loop: Header=BB466_2335 Depth=1
	v_and_b32_e32 v5, 0xffff, v4
	v_or_b32_e32 v9, 0x10000, v4
	s_delay_alu instid0(VALU_DEP_2) | instskip(NEXT) | instid1(VALU_DEP_1)
	v_cmp_eq_u32_e64 s0, 0, v5
	v_cndmask_b32_e64 v93, v9, v4, s0
; %bb.3525:                             ;   in Loop: Header=BB466_2335 Depth=1
	s_or_b32 exec_lo, exec_lo, s9
	v_lshlrev_b32_e32 v4, 16, v8
                                        ; implicit-def: $vgpr94
	s_delay_alu instid0(VALU_DEP_1) | instskip(NEXT) | instid1(VALU_DEP_1)
	v_mul_f32_e32 v4, v147, v4
	v_and_b32_e32 v5, 0x7f800000, v4
	s_delay_alu instid0(VALU_DEP_1) | instskip(NEXT) | instid1(VALU_DEP_1)
	v_cmp_ne_u32_e64 s0, 0x7f800000, v5
	s_and_saveexec_b32 s9, s0
	s_delay_alu instid0(SALU_CYCLE_1)
	s_xor_b32 s0, exec_lo, s9
; %bb.3526:                             ;   in Loop: Header=BB466_2335 Depth=1
	v_bfe_u32 v5, v4, 16, 1
	s_delay_alu instid0(VALU_DEP_1)
	v_add3_u32 v94, v4, v5, 0x7fff
                                        ; implicit-def: $vgpr4
; %bb.3527:                             ;   in Loop: Header=BB466_2335 Depth=1
	s_and_not1_saveexec_b32 s9, s0
; %bb.3528:                             ;   in Loop: Header=BB466_2335 Depth=1
	v_and_b32_e32 v5, 0xffff, v4
	v_or_b32_e32 v8, 0x10000, v4
	s_delay_alu instid0(VALU_DEP_2) | instskip(NEXT) | instid1(VALU_DEP_1)
	v_cmp_eq_u32_e64 s0, 0, v5
	v_cndmask_b32_e64 v94, v8, v4, s0
; %bb.3529:                             ;   in Loop: Header=BB466_2335 Depth=1
	s_or_b32 exec_lo, exec_lo, s9
	v_lshlrev_b32_e32 v4, 16, v7
                                        ; implicit-def: $vgpr95
	s_delay_alu instid0(VALU_DEP_1) | instskip(NEXT) | instid1(VALU_DEP_1)
	v_mul_f32_e32 v4, v148, v4
	v_and_b32_e32 v5, 0x7f800000, v4
	s_delay_alu instid0(VALU_DEP_1) | instskip(NEXT) | instid1(VALU_DEP_1)
	v_cmp_ne_u32_e64 s0, 0x7f800000, v5
	s_and_saveexec_b32 s9, s0
	s_delay_alu instid0(SALU_CYCLE_1)
	s_xor_b32 s0, exec_lo, s9
; %bb.3530:                             ;   in Loop: Header=BB466_2335 Depth=1
	v_bfe_u32 v5, v4, 16, 1
	s_delay_alu instid0(VALU_DEP_1)
	v_add3_u32 v95, v4, v5, 0x7fff
                                        ; implicit-def: $vgpr4
; %bb.3531:                             ;   in Loop: Header=BB466_2335 Depth=1
	s_and_not1_saveexec_b32 s9, s0
; %bb.3532:                             ;   in Loop: Header=BB466_2335 Depth=1
	v_and_b32_e32 v5, 0xffff, v4
	v_or_b32_e32 v7, 0x10000, v4
	s_delay_alu instid0(VALU_DEP_2) | instskip(NEXT) | instid1(VALU_DEP_1)
	v_cmp_eq_u32_e64 s0, 0, v5
	v_cndmask_b32_e64 v95, v7, v4, s0
; %bb.3533:                             ;   in Loop: Header=BB466_2335 Depth=1
	s_or_b32 exec_lo, exec_lo, s9
	v_lshlrev_b32_e32 v4, 16, v6
                                        ; implicit-def: $vgpr104
	s_delay_alu instid0(VALU_DEP_1) | instskip(NEXT) | instid1(VALU_DEP_1)
	v_mul_f32_e32 v4, v149, v4
	v_and_b32_e32 v5, 0x7f800000, v4
	s_delay_alu instid0(VALU_DEP_1) | instskip(NEXT) | instid1(VALU_DEP_1)
	v_cmp_ne_u32_e64 s0, 0x7f800000, v5
	s_and_saveexec_b32 s9, s0
	s_delay_alu instid0(SALU_CYCLE_1)
	s_xor_b32 s0, exec_lo, s9
; %bb.3534:                             ;   in Loop: Header=BB466_2335 Depth=1
	v_bfe_u32 v5, v4, 16, 1
	s_delay_alu instid0(VALU_DEP_1)
	v_add3_u32 v104, v4, v5, 0x7fff
                                        ; implicit-def: $vgpr4
; %bb.3535:                             ;   in Loop: Header=BB466_2335 Depth=1
	s_and_not1_saveexec_b32 s9, s0
; %bb.3536:                             ;   in Loop: Header=BB466_2335 Depth=1
	v_and_b32_e32 v5, 0xffff, v4
	v_or_b32_e32 v6, 0x10000, v4
	s_delay_alu instid0(VALU_DEP_2) | instskip(NEXT) | instid1(VALU_DEP_1)
	v_cmp_eq_u32_e64 s0, 0, v5
	v_cndmask_b32_e64 v104, v6, v4, s0
; %bb.3537:                             ;   in Loop: Header=BB466_2335 Depth=1
	s_or_b32 exec_lo, exec_lo, s9
	flat_load_b64 v[6:7], v[2:3] offset:2304
	s_mov_b32 s9, exec_lo
	s_waitcnt vmcnt(0) lgkmcnt(0)
	v_dual_mov_b32 v4, 0 :: v_dual_and_b32 v5, 0xff, v6
	s_delay_alu instid0(VALU_DEP_1)
	v_cmpx_ne_u16_e32 0, v5
	s_cbranch_execz .LBB466_3545
; %bb.3538:                             ;   in Loop: Header=BB466_2335 Depth=1
	v_bfrev_b32_e32 v4, 1
	s_mov_b32 s12, exec_lo
	v_cmpx_ne_u16_e32 0x80, v5
	s_cbranch_execz .LBB466_3544
; %bb.3539:                             ;   in Loop: Header=BB466_2335 Depth=1
	v_and_b32_e32 v5, 0x7f, v6
	v_mov_b32_e32 v4, 0x7f800001
	s_mov_b32 s13, exec_lo
	s_delay_alu instid0(VALU_DEP_2)
	v_cmpx_ne_u32_e32 0x7f, v5
	s_cbranch_execz .LBB466_3543
; %bb.3540:                             ;   in Loop: Header=BB466_2335 Depth=1
	v_lshrrev_b32_e32 v4, 3, v5
	v_dual_mov_b32 v9, v7 :: v_dual_mov_b32 v8, v6
	s_mov_b32 s15, exec_lo
	v_cmpx_gt_u32_e32 8, v5
; %bb.3541:                             ;   in Loop: Header=BB466_2335 Depth=1
	v_and_b32_e32 v4, 7, v6
	s_delay_alu instid0(VALU_DEP_1) | instskip(NEXT) | instid1(VALU_DEP_1)
	v_clz_i32_u32_e32 v4, v4
	v_min_u32_e32 v4, 32, v4
	s_delay_alu instid0(VALU_DEP_1) | instskip(SKIP_1) | instid1(VALU_DEP_2)
	v_subrev_nc_u32_e32 v5, 28, v4
	v_sub_nc_u32_e32 v4, 29, v4
	v_lshlrev_b64 v[8:9], v5, v[6:7]
; %bb.3542:                             ;   in Loop: Header=BB466_2335 Depth=1
	s_or_b32 exec_lo, exec_lo, s15
	s_delay_alu instid0(VALU_DEP_1) | instskip(SKIP_2) | instid1(VALU_DEP_3)
	v_lshlrev_b32_e32 v5, 20, v8
	v_lshlrev_b32_e32 v8, 24, v6
	v_lshl_add_u32 v4, v4, 23, 0x3c000000
	v_and_b32_e32 v5, 0x700000, v5
	s_delay_alu instid0(VALU_DEP_3) | instskip(NEXT) | instid1(VALU_DEP_1)
	v_and_b32_e32 v8, 0x80000000, v8
	v_or3_b32 v4, v5, v8, v4
.LBB466_3543:                           ;   in Loop: Header=BB466_2335 Depth=1
	s_or_b32 exec_lo, exec_lo, s13
.LBB466_3544:                           ;   in Loop: Header=BB466_2335 Depth=1
	s_delay_alu instid0(SALU_CYCLE_1)
	s_or_b32 exec_lo, exec_lo, s12
.LBB466_3545:                           ;   in Loop: Header=BB466_2335 Depth=1
	s_delay_alu instid0(SALU_CYCLE_1) | instskip(NEXT) | instid1(VALU_DEP_1)
	s_or_b32 exec_lo, exec_lo, s9
	v_mul_f32_e32 v4, v26, v4
                                        ; implicit-def: $vgpr10
	s_delay_alu instid0(VALU_DEP_1) | instskip(NEXT) | instid1(VALU_DEP_1)
	v_and_b32_e32 v5, 0x7f800000, v4
	v_cmp_ne_u32_e64 s0, 0x7f800000, v5
	s_delay_alu instid0(VALU_DEP_1) | instskip(NEXT) | instid1(SALU_CYCLE_1)
	s_and_saveexec_b32 s9, s0
	s_xor_b32 s0, exec_lo, s9
; %bb.3546:                             ;   in Loop: Header=BB466_2335 Depth=1
	v_bfe_u32 v5, v4, 16, 1
	s_delay_alu instid0(VALU_DEP_1)
	v_add3_u32 v10, v4, v5, 0x7fff
                                        ; implicit-def: $vgpr4
; %bb.3547:                             ;   in Loop: Header=BB466_2335 Depth=1
	s_and_not1_saveexec_b32 s9, s0
; %bb.3548:                             ;   in Loop: Header=BB466_2335 Depth=1
	v_and_b32_e32 v5, 0xffff, v4
	v_or_b32_e32 v8, 0x10000, v4
	s_delay_alu instid0(VALU_DEP_2) | instskip(NEXT) | instid1(VALU_DEP_1)
	v_cmp_eq_u32_e64 s0, 0, v5
	v_cndmask_b32_e64 v10, v8, v4, s0
; %bb.3549:                             ;   in Loop: Header=BB466_2335 Depth=1
	s_or_b32 exec_lo, exec_lo, s9
	v_lshrrev_b16 v5, 8, v6
	v_mov_b32_e32 v4, 0
	s_mov_b32 s9, exec_lo
	s_delay_alu instid0(VALU_DEP_2)
	v_cmpx_ne_u16_e32 0, v5
	s_cbranch_execz .LBB466_3557
; %bb.3550:                             ;   in Loop: Header=BB466_2335 Depth=1
	v_bfrev_b32_e32 v4, 1
	s_mov_b32 s12, exec_lo
	v_cmpx_ne_u16_e32 0x80, v5
	s_cbranch_execz .LBB466_3556
; %bb.3551:                             ;   in Loop: Header=BB466_2335 Depth=1
	v_and_b32_e32 v8, 0xffff, v5
	v_mov_b32_e32 v4, 0x7f800001
	s_mov_b32 s13, exec_lo
	s_delay_alu instid0(VALU_DEP_2) | instskip(NEXT) | instid1(VALU_DEP_1)
	v_and_b32_e32 v5, 0x7f, v8
	v_cmpx_ne_u32_e32 0x7f, v5
	s_cbranch_execz .LBB466_3555
; %bb.3552:                             ;   in Loop: Header=BB466_2335 Depth=1
	v_and_b32_e32 v12, 7, v8
	v_lshrrev_b32_e32 v4, 3, v5
	s_mov_b32 s15, exec_lo
	s_delay_alu instid0(VALU_DEP_2)
	v_dual_mov_b32 v8, v12 :: v_dual_mov_b32 v9, v13
	v_cmpx_gt_u32_e32 8, v5
; %bb.3553:                             ;   in Loop: Header=BB466_2335 Depth=1
	v_clz_i32_u32_e32 v4, v12
	s_delay_alu instid0(VALU_DEP_1) | instskip(NEXT) | instid1(VALU_DEP_1)
	v_min_u32_e32 v4, 32, v4
	v_subrev_nc_u32_e32 v5, 28, v4
	v_sub_nc_u32_e32 v4, 29, v4
	s_delay_alu instid0(VALU_DEP_2) | instskip(NEXT) | instid1(VALU_DEP_1)
	v_lshlrev_b64 v[8:9], v5, v[12:13]
	v_and_b32_e32 v8, 7, v8
; %bb.3554:                             ;   in Loop: Header=BB466_2335 Depth=1
	s_or_b32 exec_lo, exec_lo, s15
	v_lshlrev_b32_e32 v5, 16, v6
	s_delay_alu instid0(VALU_DEP_2) | instskip(SKIP_1) | instid1(VALU_DEP_3)
	v_lshlrev_b32_e32 v8, 20, v8
	v_lshl_add_u32 v4, v4, 23, 0x3c000000
	v_and_b32_e32 v5, 0x80000000, v5
	s_delay_alu instid0(VALU_DEP_1)
	v_or3_b32 v4, v8, v5, v4
.LBB466_3555:                           ;   in Loop: Header=BB466_2335 Depth=1
	s_or_b32 exec_lo, exec_lo, s13
.LBB466_3556:                           ;   in Loop: Header=BB466_2335 Depth=1
	s_delay_alu instid0(SALU_CYCLE_1)
	s_or_b32 exec_lo, exec_lo, s12
.LBB466_3557:                           ;   in Loop: Header=BB466_2335 Depth=1
	s_delay_alu instid0(SALU_CYCLE_1) | instskip(NEXT) | instid1(VALU_DEP_1)
	s_or_b32 exec_lo, exec_lo, s9
	v_mul_f32_e32 v4, v26, v4
                                        ; implicit-def: $vgpr11
	s_delay_alu instid0(VALU_DEP_1) | instskip(NEXT) | instid1(VALU_DEP_1)
	v_and_b32_e32 v5, 0x7f800000, v4
	v_cmp_ne_u32_e64 s0, 0x7f800000, v5
	s_delay_alu instid0(VALU_DEP_1) | instskip(NEXT) | instid1(SALU_CYCLE_1)
	s_and_saveexec_b32 s9, s0
	s_xor_b32 s0, exec_lo, s9
; %bb.3558:                             ;   in Loop: Header=BB466_2335 Depth=1
	v_bfe_u32 v5, v4, 16, 1
	s_delay_alu instid0(VALU_DEP_1)
	v_add3_u32 v11, v4, v5, 0x7fff
                                        ; implicit-def: $vgpr4
; %bb.3559:                             ;   in Loop: Header=BB466_2335 Depth=1
	s_and_not1_saveexec_b32 s9, s0
; %bb.3560:                             ;   in Loop: Header=BB466_2335 Depth=1
	v_and_b32_e32 v5, 0xffff, v4
	v_or_b32_e32 v8, 0x10000, v4
	s_delay_alu instid0(VALU_DEP_2) | instskip(NEXT) | instid1(VALU_DEP_1)
	v_cmp_eq_u32_e64 s0, 0, v5
	v_cndmask_b32_e64 v11, v8, v4, s0
; %bb.3561:                             ;   in Loop: Header=BB466_2335 Depth=1
	s_or_b32 exec_lo, exec_lo, s9
	v_lshrrev_b32_e32 v4, 16, v6
	s_mov_b32 s9, exec_lo
	s_delay_alu instid0(VALU_DEP_1) | instskip(NEXT) | instid1(VALU_DEP_1)
	v_dual_mov_b32 v8, 0 :: v_dual_and_b32 v5, 0xff, v4
	v_cmpx_ne_u16_e32 0, v5
	s_cbranch_execz .LBB466_3569
; %bb.3562:                             ;   in Loop: Header=BB466_2335 Depth=1
	v_bfrev_b32_e32 v8, 1
	s_mov_b32 s12, exec_lo
	v_cmpx_ne_u16_e32 0x80, v5
	s_cbranch_execz .LBB466_3568
; %bb.3563:                             ;   in Loop: Header=BB466_2335 Depth=1
	v_bfe_u32 v5, v6, 16, 7
	v_mov_b32_e32 v8, 0x7f800001
	s_mov_b32 s13, exec_lo
	s_delay_alu instid0(VALU_DEP_2)
	v_cmpx_ne_u32_e32 0x7f, v5
	s_cbranch_execz .LBB466_3567
; %bb.3564:                             ;   in Loop: Header=BB466_2335 Depth=1
	v_and_b32_e32 v12, 7, v4
	v_lshrrev_b32_e32 v17, 3, v5
	s_mov_b32 s15, exec_lo
	s_delay_alu instid0(VALU_DEP_2)
	v_dual_mov_b32 v8, v12 :: v_dual_mov_b32 v9, v13
	v_cmpx_gt_u32_e32 8, v5
; %bb.3565:                             ;   in Loop: Header=BB466_2335 Depth=1
	v_clz_i32_u32_e32 v5, v12
	s_delay_alu instid0(VALU_DEP_1) | instskip(NEXT) | instid1(VALU_DEP_1)
	v_min_u32_e32 v5, 32, v5
	v_subrev_nc_u32_e32 v8, 28, v5
	v_sub_nc_u32_e32 v17, 29, v5
	s_delay_alu instid0(VALU_DEP_2) | instskip(NEXT) | instid1(VALU_DEP_1)
	v_lshlrev_b64 v[8:9], v8, v[12:13]
	v_and_b32_e32 v8, 7, v8
; %bb.3566:                             ;   in Loop: Header=BB466_2335 Depth=1
	s_or_b32 exec_lo, exec_lo, s15
	v_lshlrev_b32_e32 v4, 24, v4
	s_delay_alu instid0(VALU_DEP_2) | instskip(SKIP_1) | instid1(VALU_DEP_3)
	v_lshlrev_b32_e32 v5, 20, v8
	v_lshl_add_u32 v8, v17, 23, 0x3c000000
	v_and_b32_e32 v4, 0x80000000, v4
	s_delay_alu instid0(VALU_DEP_1)
	v_or3_b32 v8, v5, v4, v8
.LBB466_3567:                           ;   in Loop: Header=BB466_2335 Depth=1
	s_or_b32 exec_lo, exec_lo, s13
.LBB466_3568:                           ;   in Loop: Header=BB466_2335 Depth=1
	s_delay_alu instid0(SALU_CYCLE_1)
	s_or_b32 exec_lo, exec_lo, s12
.LBB466_3569:                           ;   in Loop: Header=BB466_2335 Depth=1
	s_delay_alu instid0(SALU_CYCLE_1) | instskip(NEXT) | instid1(VALU_DEP_1)
	s_or_b32 exec_lo, exec_lo, s9
	v_mul_f32_e32 v4, v26, v8
                                        ; implicit-def: $vgpr17
	s_delay_alu instid0(VALU_DEP_1) | instskip(NEXT) | instid1(VALU_DEP_1)
	v_and_b32_e32 v5, 0x7f800000, v4
	v_cmp_ne_u32_e64 s0, 0x7f800000, v5
	s_delay_alu instid0(VALU_DEP_1) | instskip(NEXT) | instid1(SALU_CYCLE_1)
	s_and_saveexec_b32 s9, s0
	s_xor_b32 s0, exec_lo, s9
; %bb.3570:                             ;   in Loop: Header=BB466_2335 Depth=1
	v_bfe_u32 v5, v4, 16, 1
	s_delay_alu instid0(VALU_DEP_1)
	v_add3_u32 v17, v4, v5, 0x7fff
                                        ; implicit-def: $vgpr4
; %bb.3571:                             ;   in Loop: Header=BB466_2335 Depth=1
	s_and_not1_saveexec_b32 s9, s0
; %bb.3572:                             ;   in Loop: Header=BB466_2335 Depth=1
	v_and_b32_e32 v5, 0xffff, v4
	v_or_b32_e32 v8, 0x10000, v4
	s_delay_alu instid0(VALU_DEP_2) | instskip(NEXT) | instid1(VALU_DEP_1)
	v_cmp_eq_u32_e64 s0, 0, v5
	v_cndmask_b32_e64 v17, v8, v4, s0
; %bb.3573:                             ;   in Loop: Header=BB466_2335 Depth=1
	s_or_b32 exec_lo, exec_lo, s9
	v_mov_b32_e32 v8, 0
	s_mov_b32 s9, exec_lo
	v_cmpx_lt_u32_e32 0xffffff, v6
	s_cbranch_execz .LBB466_3581
; %bb.3574:                             ;   in Loop: Header=BB466_2335 Depth=1
	v_lshrrev_b32_e32 v4, 24, v6
	v_bfrev_b32_e32 v8, 1
	s_mov_b32 s12, exec_lo
	s_delay_alu instid0(VALU_DEP_2)
	v_cmpx_ne_u32_e32 0x80, v4
	s_cbranch_execz .LBB466_3580
; %bb.3575:                             ;   in Loop: Header=BB466_2335 Depth=1
	v_bfe_u32 v5, v6, 24, 7
	v_mov_b32_e32 v8, 0x7f800001
	s_mov_b32 s13, exec_lo
	s_delay_alu instid0(VALU_DEP_2)
	v_cmpx_ne_u32_e32 0x7f, v5
	s_cbranch_execz .LBB466_3579
; %bb.3576:                             ;   in Loop: Header=BB466_2335 Depth=1
	v_and_b32_e32 v12, 7, v4
	v_lshrrev_b32_e32 v18, 3, v5
	s_mov_b32 s15, exec_lo
	s_delay_alu instid0(VALU_DEP_2)
	v_dual_mov_b32 v8, v12 :: v_dual_mov_b32 v9, v13
	v_cmpx_gt_u32_e32 8, v5
; %bb.3577:                             ;   in Loop: Header=BB466_2335 Depth=1
	v_clz_i32_u32_e32 v5, v12
	s_delay_alu instid0(VALU_DEP_1) | instskip(NEXT) | instid1(VALU_DEP_1)
	v_min_u32_e32 v5, 32, v5
	v_subrev_nc_u32_e32 v8, 28, v5
	v_sub_nc_u32_e32 v18, 29, v5
	s_delay_alu instid0(VALU_DEP_2) | instskip(NEXT) | instid1(VALU_DEP_1)
	v_lshlrev_b64 v[8:9], v8, v[12:13]
	v_and_b32_e32 v8, 7, v8
; %bb.3578:                             ;   in Loop: Header=BB466_2335 Depth=1
	s_or_b32 exec_lo, exec_lo, s15
	v_lshlrev_b32_e32 v4, 24, v4
	s_delay_alu instid0(VALU_DEP_2) | instskip(SKIP_1) | instid1(VALU_DEP_3)
	v_lshlrev_b32_e32 v5, 20, v8
	v_lshl_add_u32 v8, v18, 23, 0x3c000000
	v_and_b32_e32 v4, 0x80000000, v4
	s_delay_alu instid0(VALU_DEP_1)
	v_or3_b32 v8, v5, v4, v8
.LBB466_3579:                           ;   in Loop: Header=BB466_2335 Depth=1
	s_or_b32 exec_lo, exec_lo, s13
.LBB466_3580:                           ;   in Loop: Header=BB466_2335 Depth=1
	s_delay_alu instid0(SALU_CYCLE_1)
	s_or_b32 exec_lo, exec_lo, s12
.LBB466_3581:                           ;   in Loop: Header=BB466_2335 Depth=1
	s_delay_alu instid0(SALU_CYCLE_1) | instskip(NEXT) | instid1(VALU_DEP_1)
	s_or_b32 exec_lo, exec_lo, s9
	v_mul_f32_e32 v4, v26, v8
                                        ; implicit-def: $vgpr18
	s_delay_alu instid0(VALU_DEP_1) | instskip(NEXT) | instid1(VALU_DEP_1)
	v_and_b32_e32 v5, 0x7f800000, v4
	v_cmp_ne_u32_e64 s0, 0x7f800000, v5
	s_delay_alu instid0(VALU_DEP_1) | instskip(NEXT) | instid1(SALU_CYCLE_1)
	s_and_saveexec_b32 s9, s0
	s_xor_b32 s0, exec_lo, s9
; %bb.3582:                             ;   in Loop: Header=BB466_2335 Depth=1
	v_bfe_u32 v5, v4, 16, 1
	s_delay_alu instid0(VALU_DEP_1)
	v_add3_u32 v18, v4, v5, 0x7fff
                                        ; implicit-def: $vgpr4
; %bb.3583:                             ;   in Loop: Header=BB466_2335 Depth=1
	s_and_not1_saveexec_b32 s9, s0
; %bb.3584:                             ;   in Loop: Header=BB466_2335 Depth=1
	v_and_b32_e32 v5, 0xffff, v4
	v_or_b32_e32 v8, 0x10000, v4
	s_delay_alu instid0(VALU_DEP_2) | instskip(NEXT) | instid1(VALU_DEP_1)
	v_cmp_eq_u32_e64 s0, 0, v5
	v_cndmask_b32_e64 v18, v8, v4, s0
; %bb.3585:                             ;   in Loop: Header=BB466_2335 Depth=1
	s_or_b32 exec_lo, exec_lo, s9
	v_dual_mov_b32 v12, v7 :: v_dual_and_b32 v5, 0xff, v7
	v_mov_b32_e32 v4, 0
	s_mov_b32 s9, exec_lo
	s_delay_alu instid0(VALU_DEP_2)
	v_cmpx_ne_u16_e32 0, v5
	s_cbranch_execz .LBB466_3593
; %bb.3586:                             ;   in Loop: Header=BB466_2335 Depth=1
	v_bfrev_b32_e32 v4, 1
	s_mov_b32 s12, exec_lo
	v_cmpx_ne_u16_e32 0x80, v5
	s_cbranch_execz .LBB466_3592
; %bb.3587:                             ;   in Loop: Header=BB466_2335 Depth=1
	v_and_b32_e32 v5, 0x7f, v7
	v_mov_b32_e32 v4, 0x7f800001
	s_mov_b32 s13, exec_lo
	s_delay_alu instid0(VALU_DEP_2)
	v_cmpx_ne_u32_e32 0x7f, v5
	s_cbranch_execz .LBB466_3591
; %bb.3588:                             ;   in Loop: Header=BB466_2335 Depth=1
	v_lshrrev_b32_e32 v4, 3, v5
	v_dual_mov_b32 v8, v12 :: v_dual_mov_b32 v9, v13
	s_mov_b32 s15, exec_lo
	v_cmpx_gt_u32_e32 8, v5
; %bb.3589:                             ;   in Loop: Header=BB466_2335 Depth=1
	v_and_b32_e32 v4, 7, v7
	s_delay_alu instid0(VALU_DEP_1) | instskip(NEXT) | instid1(VALU_DEP_1)
	v_clz_i32_u32_e32 v4, v4
	v_min_u32_e32 v4, 32, v4
	s_delay_alu instid0(VALU_DEP_1) | instskip(SKIP_1) | instid1(VALU_DEP_2)
	v_subrev_nc_u32_e32 v5, 28, v4
	v_sub_nc_u32_e32 v4, 29, v4
	v_lshlrev_b64 v[8:9], v5, v[12:13]
; %bb.3590:                             ;   in Loop: Header=BB466_2335 Depth=1
	s_or_b32 exec_lo, exec_lo, s15
	s_delay_alu instid0(VALU_DEP_1) | instskip(SKIP_2) | instid1(VALU_DEP_3)
	v_lshlrev_b32_e32 v5, 20, v8
	v_lshlrev_b32_e32 v8, 24, v12
	v_lshl_add_u32 v4, v4, 23, 0x3c000000
	v_and_b32_e32 v5, 0x700000, v5
	s_delay_alu instid0(VALU_DEP_3) | instskip(NEXT) | instid1(VALU_DEP_1)
	v_and_b32_e32 v8, 0x80000000, v8
	v_or3_b32 v4, v5, v8, v4
.LBB466_3591:                           ;   in Loop: Header=BB466_2335 Depth=1
	s_or_b32 exec_lo, exec_lo, s13
.LBB466_3592:                           ;   in Loop: Header=BB466_2335 Depth=1
	s_delay_alu instid0(SALU_CYCLE_1)
	s_or_b32 exec_lo, exec_lo, s12
.LBB466_3593:                           ;   in Loop: Header=BB466_2335 Depth=1
	s_delay_alu instid0(SALU_CYCLE_1) | instskip(NEXT) | instid1(VALU_DEP_1)
	s_or_b32 exec_lo, exec_lo, s9
	v_mul_f32_e32 v4, v26, v4
                                        ; implicit-def: $vgpr19
	s_delay_alu instid0(VALU_DEP_1) | instskip(NEXT) | instid1(VALU_DEP_1)
	v_and_b32_e32 v5, 0x7f800000, v4
	v_cmp_ne_u32_e64 s0, 0x7f800000, v5
	s_delay_alu instid0(VALU_DEP_1) | instskip(NEXT) | instid1(SALU_CYCLE_1)
	s_and_saveexec_b32 s9, s0
	s_xor_b32 s0, exec_lo, s9
; %bb.3594:                             ;   in Loop: Header=BB466_2335 Depth=1
	v_bfe_u32 v5, v4, 16, 1
	s_delay_alu instid0(VALU_DEP_1)
	v_add3_u32 v19, v4, v5, 0x7fff
                                        ; implicit-def: $vgpr4
; %bb.3595:                             ;   in Loop: Header=BB466_2335 Depth=1
	s_and_not1_saveexec_b32 s9, s0
; %bb.3596:                             ;   in Loop: Header=BB466_2335 Depth=1
	v_and_b32_e32 v5, 0xffff, v4
	v_or_b32_e32 v8, 0x10000, v4
	s_delay_alu instid0(VALU_DEP_2) | instskip(NEXT) | instid1(VALU_DEP_1)
	v_cmp_eq_u32_e64 s0, 0, v5
	v_cndmask_b32_e64 v19, v8, v4, s0
; %bb.3597:                             ;   in Loop: Header=BB466_2335 Depth=1
	s_or_b32 exec_lo, exec_lo, s9
	v_lshrrev_b16 v5, 8, v12
	v_mov_b32_e32 v4, 0
	s_mov_b32 s9, exec_lo
	s_delay_alu instid0(VALU_DEP_2)
	v_cmpx_ne_u16_e32 0, v5
	s_cbranch_execz .LBB466_3605
; %bb.3598:                             ;   in Loop: Header=BB466_2335 Depth=1
	v_bfrev_b32_e32 v4, 1
	s_mov_b32 s12, exec_lo
	v_cmpx_ne_u16_e32 0x80, v5
	s_cbranch_execz .LBB466_3604
; %bb.3599:                             ;   in Loop: Header=BB466_2335 Depth=1
	v_and_b32_e32 v8, 0xffff, v5
	v_mov_b32_e32 v4, 0x7f800001
	s_mov_b32 s13, exec_lo
	s_delay_alu instid0(VALU_DEP_2) | instskip(NEXT) | instid1(VALU_DEP_1)
	v_and_b32_e32 v5, 0x7f, v8
	v_cmpx_ne_u32_e32 0x7f, v5
	s_cbranch_execz .LBB466_3603
; %bb.3600:                             ;   in Loop: Header=BB466_2335 Depth=1
	v_dual_mov_b32 v9, v13 :: v_dual_and_b32 v8, 7, v8
	v_lshrrev_b32_e32 v4, 3, v5
	s_mov_b32 s15, exec_lo
	v_cmpx_gt_u32_e32 8, v5
; %bb.3601:                             ;   in Loop: Header=BB466_2335 Depth=1
	s_delay_alu instid0(VALU_DEP_3) | instskip(NEXT) | instid1(VALU_DEP_1)
	v_clz_i32_u32_e32 v4, v8
	v_min_u32_e32 v4, 32, v4
	s_delay_alu instid0(VALU_DEP_1) | instskip(SKIP_1) | instid1(VALU_DEP_2)
	v_subrev_nc_u32_e32 v5, 28, v4
	v_sub_nc_u32_e32 v4, 29, v4
	v_lshlrev_b64 v[8:9], v5, v[8:9]
	s_delay_alu instid0(VALU_DEP_1)
	v_and_b32_e32 v8, 7, v8
; %bb.3602:                             ;   in Loop: Header=BB466_2335 Depth=1
	s_or_b32 exec_lo, exec_lo, s15
	v_lshlrev_b32_e32 v5, 16, v12
	s_delay_alu instid0(VALU_DEP_2) | instskip(SKIP_1) | instid1(VALU_DEP_3)
	v_lshlrev_b32_e32 v8, 20, v8
	v_lshl_add_u32 v4, v4, 23, 0x3c000000
	v_and_b32_e32 v5, 0x80000000, v5
	s_delay_alu instid0(VALU_DEP_1)
	v_or3_b32 v4, v8, v5, v4
.LBB466_3603:                           ;   in Loop: Header=BB466_2335 Depth=1
	s_or_b32 exec_lo, exec_lo, s13
.LBB466_3604:                           ;   in Loop: Header=BB466_2335 Depth=1
	s_delay_alu instid0(SALU_CYCLE_1)
	s_or_b32 exec_lo, exec_lo, s12
.LBB466_3605:                           ;   in Loop: Header=BB466_2335 Depth=1
	s_delay_alu instid0(SALU_CYCLE_1) | instskip(NEXT) | instid1(VALU_DEP_1)
	s_or_b32 exec_lo, exec_lo, s9
	v_mul_f32_e32 v4, v26, v4
                                        ; implicit-def: $vgpr20
	s_delay_alu instid0(VALU_DEP_1) | instskip(NEXT) | instid1(VALU_DEP_1)
	v_and_b32_e32 v5, 0x7f800000, v4
	v_cmp_ne_u32_e64 s0, 0x7f800000, v5
	s_delay_alu instid0(VALU_DEP_1) | instskip(NEXT) | instid1(SALU_CYCLE_1)
	s_and_saveexec_b32 s9, s0
	s_xor_b32 s0, exec_lo, s9
; %bb.3606:                             ;   in Loop: Header=BB466_2335 Depth=1
	v_bfe_u32 v5, v4, 16, 1
	s_delay_alu instid0(VALU_DEP_1)
	v_add3_u32 v20, v4, v5, 0x7fff
                                        ; implicit-def: $vgpr4
; %bb.3607:                             ;   in Loop: Header=BB466_2335 Depth=1
	s_and_not1_saveexec_b32 s9, s0
; %bb.3608:                             ;   in Loop: Header=BB466_2335 Depth=1
	v_and_b32_e32 v5, 0xffff, v4
	v_or_b32_e32 v8, 0x10000, v4
	s_delay_alu instid0(VALU_DEP_2) | instskip(NEXT) | instid1(VALU_DEP_1)
	v_cmp_eq_u32_e64 s0, 0, v5
	v_cndmask_b32_e64 v20, v8, v4, s0
; %bb.3609:                             ;   in Loop: Header=BB466_2335 Depth=1
	s_or_b32 exec_lo, exec_lo, s9
	v_lshrrev_b32_e32 v4, 16, v7
	s_mov_b32 s9, exec_lo
	s_delay_alu instid0(VALU_DEP_1) | instskip(NEXT) | instid1(VALU_DEP_1)
	v_dual_mov_b32 v8, 0 :: v_dual_and_b32 v5, 0xff, v4
	v_cmpx_ne_u16_e32 0, v5
	s_cbranch_execz .LBB466_3617
; %bb.3610:                             ;   in Loop: Header=BB466_2335 Depth=1
	v_bfrev_b32_e32 v8, 1
	s_mov_b32 s12, exec_lo
	v_cmpx_ne_u16_e32 0x80, v5
	s_cbranch_execz .LBB466_3616
; %bb.3611:                             ;   in Loop: Header=BB466_2335 Depth=1
	v_bfe_u32 v5, v7, 16, 7
	v_mov_b32_e32 v8, 0x7f800001
	s_mov_b32 s13, exec_lo
	s_delay_alu instid0(VALU_DEP_2)
	v_cmpx_ne_u32_e32 0x7f, v5
	s_cbranch_execz .LBB466_3615
; %bb.3612:                             ;   in Loop: Header=BB466_2335 Depth=1
	v_and_b32_e32 v12, 7, v4
	v_lshrrev_b32_e32 v22, 3, v5
	s_mov_b32 s15, exec_lo
	s_delay_alu instid0(VALU_DEP_2)
	v_dual_mov_b32 v8, v12 :: v_dual_mov_b32 v9, v13
	v_cmpx_gt_u32_e32 8, v5
; %bb.3613:                             ;   in Loop: Header=BB466_2335 Depth=1
	v_clz_i32_u32_e32 v5, v12
	s_delay_alu instid0(VALU_DEP_1) | instskip(NEXT) | instid1(VALU_DEP_1)
	v_min_u32_e32 v5, 32, v5
	v_subrev_nc_u32_e32 v8, 28, v5
	v_sub_nc_u32_e32 v22, 29, v5
	s_delay_alu instid0(VALU_DEP_2) | instskip(NEXT) | instid1(VALU_DEP_1)
	v_lshlrev_b64 v[8:9], v8, v[12:13]
	v_and_b32_e32 v8, 7, v8
; %bb.3614:                             ;   in Loop: Header=BB466_2335 Depth=1
	s_or_b32 exec_lo, exec_lo, s15
	v_lshlrev_b32_e32 v4, 24, v4
	s_delay_alu instid0(VALU_DEP_2) | instskip(SKIP_1) | instid1(VALU_DEP_3)
	v_lshlrev_b32_e32 v5, 20, v8
	v_lshl_add_u32 v8, v22, 23, 0x3c000000
	v_and_b32_e32 v4, 0x80000000, v4
	s_delay_alu instid0(VALU_DEP_1)
	v_or3_b32 v8, v5, v4, v8
.LBB466_3615:                           ;   in Loop: Header=BB466_2335 Depth=1
	s_or_b32 exec_lo, exec_lo, s13
.LBB466_3616:                           ;   in Loop: Header=BB466_2335 Depth=1
	s_delay_alu instid0(SALU_CYCLE_1)
	s_or_b32 exec_lo, exec_lo, s12
.LBB466_3617:                           ;   in Loop: Header=BB466_2335 Depth=1
	s_delay_alu instid0(SALU_CYCLE_1) | instskip(NEXT) | instid1(VALU_DEP_1)
	s_or_b32 exec_lo, exec_lo, s9
	v_mul_f32_e32 v4, v26, v8
                                        ; implicit-def: $vgpr22
	s_delay_alu instid0(VALU_DEP_1) | instskip(NEXT) | instid1(VALU_DEP_1)
	v_and_b32_e32 v5, 0x7f800000, v4
	v_cmp_ne_u32_e64 s0, 0x7f800000, v5
	s_delay_alu instid0(VALU_DEP_1) | instskip(NEXT) | instid1(SALU_CYCLE_1)
	s_and_saveexec_b32 s9, s0
	s_xor_b32 s0, exec_lo, s9
; %bb.3618:                             ;   in Loop: Header=BB466_2335 Depth=1
	v_bfe_u32 v5, v4, 16, 1
	s_delay_alu instid0(VALU_DEP_1)
	v_add3_u32 v22, v4, v5, 0x7fff
                                        ; implicit-def: $vgpr4
; %bb.3619:                             ;   in Loop: Header=BB466_2335 Depth=1
	s_and_not1_saveexec_b32 s9, s0
; %bb.3620:                             ;   in Loop: Header=BB466_2335 Depth=1
	v_and_b32_e32 v5, 0xffff, v4
	v_or_b32_e32 v8, 0x10000, v4
	s_delay_alu instid0(VALU_DEP_2) | instskip(NEXT) | instid1(VALU_DEP_1)
	v_cmp_eq_u32_e64 s0, 0, v5
	v_cndmask_b32_e64 v22, v8, v4, s0
; %bb.3621:                             ;   in Loop: Header=BB466_2335 Depth=1
	s_or_b32 exec_lo, exec_lo, s9
	v_cmp_lt_u64_e64 s0, s[2:3], v[6:7]
	v_mov_b32_e32 v6, 0
	s_delay_alu instid0(VALU_DEP_2)
	s_and_saveexec_b32 s9, s0
	s_cbranch_execz .LBB466_3629
; %bb.3622:                             ;   in Loop: Header=BB466_2335 Depth=1
	v_lshrrev_b32_e32 v4, 24, v7
	v_bfrev_b32_e32 v6, 1
	s_mov_b32 s12, exec_lo
	s_delay_alu instid0(VALU_DEP_2)
	v_cmpx_ne_u32_e32 0x80, v4
	s_cbranch_execz .LBB466_3628
; %bb.3623:                             ;   in Loop: Header=BB466_2335 Depth=1
	v_bfe_u32 v5, v7, 24, 7
	v_mov_b32_e32 v6, 0x7f800001
	s_mov_b32 s13, exec_lo
	s_delay_alu instid0(VALU_DEP_2)
	v_cmpx_ne_u32_e32 0x7f, v5
	s_cbranch_execz .LBB466_3627
; %bb.3624:                             ;   in Loop: Header=BB466_2335 Depth=1
	v_and_b32_e32 v12, 7, v4
	v_lshrrev_b32_e32 v8, 3, v5
	s_mov_b32 s15, exec_lo
	s_delay_alu instid0(VALU_DEP_2)
	v_dual_mov_b32 v6, v12 :: v_dual_mov_b32 v7, v13
	v_cmpx_gt_u32_e32 8, v5
; %bb.3625:                             ;   in Loop: Header=BB466_2335 Depth=1
	v_clz_i32_u32_e32 v5, v12
	s_delay_alu instid0(VALU_DEP_1) | instskip(NEXT) | instid1(VALU_DEP_1)
	v_min_u32_e32 v7, 32, v5
	v_subrev_nc_u32_e32 v5, 28, v7
	v_sub_nc_u32_e32 v8, 29, v7
	s_delay_alu instid0(VALU_DEP_2) | instskip(NEXT) | instid1(VALU_DEP_1)
	v_lshlrev_b64 v[5:6], v5, v[12:13]
	v_and_b32_e32 v6, 7, v5
; %bb.3626:                             ;   in Loop: Header=BB466_2335 Depth=1
	s_or_b32 exec_lo, exec_lo, s15
	v_lshlrev_b32_e32 v4, 24, v4
	s_delay_alu instid0(VALU_DEP_2) | instskip(SKIP_1) | instid1(VALU_DEP_3)
	v_lshlrev_b32_e32 v5, 20, v6
	v_lshl_add_u32 v6, v8, 23, 0x3c000000
	v_and_b32_e32 v4, 0x80000000, v4
	s_delay_alu instid0(VALU_DEP_1)
	v_or3_b32 v6, v5, v4, v6
.LBB466_3627:                           ;   in Loop: Header=BB466_2335 Depth=1
	s_or_b32 exec_lo, exec_lo, s13
.LBB466_3628:                           ;   in Loop: Header=BB466_2335 Depth=1
	s_delay_alu instid0(SALU_CYCLE_1)
	s_or_b32 exec_lo, exec_lo, s12
.LBB466_3629:                           ;   in Loop: Header=BB466_2335 Depth=1
	s_delay_alu instid0(SALU_CYCLE_1) | instskip(NEXT) | instid1(VALU_DEP_1)
	s_or_b32 exec_lo, exec_lo, s9
	v_mul_f32_e32 v4, v26, v6
                                        ; implicit-def: $vgpr6
	s_delay_alu instid0(VALU_DEP_1) | instskip(NEXT) | instid1(VALU_DEP_1)
	v_and_b32_e32 v5, 0x7f800000, v4
	v_cmp_ne_u32_e64 s0, 0x7f800000, v5
	s_delay_alu instid0(VALU_DEP_1) | instskip(NEXT) | instid1(SALU_CYCLE_1)
	s_and_saveexec_b32 s9, s0
	s_xor_b32 s0, exec_lo, s9
; %bb.3630:                             ;   in Loop: Header=BB466_2335 Depth=1
	v_bfe_u32 v5, v4, 16, 1
	s_delay_alu instid0(VALU_DEP_1)
	v_add3_u32 v6, v4, v5, 0x7fff
                                        ; implicit-def: $vgpr4
; %bb.3631:                             ;   in Loop: Header=BB466_2335 Depth=1
	s_and_not1_saveexec_b32 s9, s0
; %bb.3632:                             ;   in Loop: Header=BB466_2335 Depth=1
	v_and_b32_e32 v5, 0xffff, v4
	v_or_b32_e32 v6, 0x10000, v4
	s_delay_alu instid0(VALU_DEP_2) | instskip(NEXT) | instid1(VALU_DEP_1)
	v_cmp_eq_u32_e64 s0, 0, v5
	v_cndmask_b32_e64 v6, v6, v4, s0
; %bb.3633:                             ;   in Loop: Header=BB466_2335 Depth=1
	s_or_b32 exec_lo, exec_lo, s9
	v_lshrrev_b32_e32 v8, 16, v20
	v_lshrrev_b32_e32 v9, 16, v19
	;; [unrolled: 1-line block ×8, first 2 shown]
	s_and_saveexec_b32 s9, vcc_lo
	s_cbranch_execz .LBB466_3635
; %bb.3634:                             ;   in Loop: Header=BB466_2335 Depth=1
	v_cmp_lt_i32_e64 s0, v130, v36
	s_delay_alu instid0(VALU_DEP_1) | instskip(SKIP_1) | instid1(VALU_DEP_1)
	v_cndmask_b32_e64 v4, 0, v4, s0
	v_cmp_lt_i32_e64 s0, v133, v36
	v_cndmask_b32_e64 v11, 0, v11, s0
	v_cmp_lt_i32_e64 s0, v132, v36
	s_delay_alu instid0(VALU_DEP_1) | instskip(SKIP_1) | instid1(VALU_DEP_1)
	v_cndmask_b32_e64 v17, 0, v17, s0
	v_cmp_lt_i32_e64 s0, v131, v36
	v_cndmask_b32_e64 v12, 0, v12, s0
	v_cmp_lt_i32_e64 s0, v129, v36
	s_delay_alu instid0(VALU_DEP_1) | instskip(SKIP_1) | instid1(VALU_DEP_1)
	v_cndmask_b32_e64 v9, 0, v9, s0
	v_cmp_lt_i32_e64 s0, v128, v36
	v_cndmask_b32_e64 v8, 0, v8, s0
	v_cmp_lt_i32_e64 s0, v119, v36
	s_delay_alu instid0(VALU_DEP_1) | instskip(SKIP_1) | instid1(VALU_DEP_1)
	v_cndmask_b32_e64 v7, 0, v7, s0
	v_cmp_lt_i32_e64 s0, v85, v36
	v_cndmask_b32_e64 v6, 0, v6, s0
.LBB466_3635:                           ;   in Loop: Header=BB466_2335 Depth=1
	s_or_b32 exec_lo, exec_lo, s9
	v_lshlrev_b32_e32 v4, 16, v4
                                        ; implicit-def: $vgpr105
	s_delay_alu instid0(VALU_DEP_1) | instskip(NEXT) | instid1(VALU_DEP_1)
	v_mul_f32_e32 v4, v134, v4
	v_and_b32_e32 v5, 0x7f800000, v4
	s_delay_alu instid0(VALU_DEP_1) | instskip(NEXT) | instid1(VALU_DEP_1)
	v_cmp_ne_u32_e64 s0, 0x7f800000, v5
	s_and_saveexec_b32 s9, s0
	s_delay_alu instid0(SALU_CYCLE_1)
	s_xor_b32 s0, exec_lo, s9
; %bb.3636:                             ;   in Loop: Header=BB466_2335 Depth=1
	v_bfe_u32 v5, v4, 16, 1
	s_delay_alu instid0(VALU_DEP_1)
	v_add3_u32 v105, v4, v5, 0x7fff
                                        ; implicit-def: $vgpr4
; %bb.3637:                             ;   in Loop: Header=BB466_2335 Depth=1
	s_and_not1_saveexec_b32 s9, s0
; %bb.3638:                             ;   in Loop: Header=BB466_2335 Depth=1
	v_and_b32_e32 v5, 0xffff, v4
	v_or_b32_e32 v10, 0x10000, v4
	s_delay_alu instid0(VALU_DEP_2) | instskip(NEXT) | instid1(VALU_DEP_1)
	v_cmp_eq_u32_e64 s0, 0, v5
	v_cndmask_b32_e64 v105, v10, v4, s0
; %bb.3639:                             ;   in Loop: Header=BB466_2335 Depth=1
	s_or_b32 exec_lo, exec_lo, s9
	v_lshlrev_b32_e32 v4, 16, v11
                                        ; implicit-def: $vgpr106
	s_delay_alu instid0(VALU_DEP_1) | instskip(NEXT) | instid1(VALU_DEP_1)
	v_mul_f32_e32 v4, v135, v4
	v_and_b32_e32 v5, 0x7f800000, v4
	s_delay_alu instid0(VALU_DEP_1) | instskip(NEXT) | instid1(VALU_DEP_1)
	v_cmp_ne_u32_e64 s0, 0x7f800000, v5
	s_and_saveexec_b32 s9, s0
	s_delay_alu instid0(SALU_CYCLE_1)
	s_xor_b32 s0, exec_lo, s9
; %bb.3640:                             ;   in Loop: Header=BB466_2335 Depth=1
	v_bfe_u32 v5, v4, 16, 1
	s_delay_alu instid0(VALU_DEP_1)
	v_add3_u32 v106, v4, v5, 0x7fff
                                        ; implicit-def: $vgpr4
; %bb.3641:                             ;   in Loop: Header=BB466_2335 Depth=1
	s_and_not1_saveexec_b32 s9, s0
; %bb.3642:                             ;   in Loop: Header=BB466_2335 Depth=1
	v_and_b32_e32 v5, 0xffff, v4
	v_or_b32_e32 v10, 0x10000, v4
	s_delay_alu instid0(VALU_DEP_2) | instskip(NEXT) | instid1(VALU_DEP_1)
	v_cmp_eq_u32_e64 s0, 0, v5
	v_cndmask_b32_e64 v106, v10, v4, s0
; %bb.3643:                             ;   in Loop: Header=BB466_2335 Depth=1
	s_or_b32 exec_lo, exec_lo, s9
	v_lshlrev_b32_e32 v4, 16, v17
                                        ; implicit-def: $vgpr107
	s_delay_alu instid0(VALU_DEP_1) | instskip(NEXT) | instid1(VALU_DEP_1)
	v_mul_f32_e32 v4, v144, v4
	v_and_b32_e32 v5, 0x7f800000, v4
	s_delay_alu instid0(VALU_DEP_1) | instskip(NEXT) | instid1(VALU_DEP_1)
	v_cmp_ne_u32_e64 s0, 0x7f800000, v5
	s_and_saveexec_b32 s9, s0
	s_delay_alu instid0(SALU_CYCLE_1)
	s_xor_b32 s0, exec_lo, s9
; %bb.3644:                             ;   in Loop: Header=BB466_2335 Depth=1
	v_bfe_u32 v5, v4, 16, 1
	s_delay_alu instid0(VALU_DEP_1)
	v_add3_u32 v107, v4, v5, 0x7fff
                                        ; implicit-def: $vgpr4
; %bb.3645:                             ;   in Loop: Header=BB466_2335 Depth=1
	s_and_not1_saveexec_b32 s9, s0
; %bb.3646:                             ;   in Loop: Header=BB466_2335 Depth=1
	v_and_b32_e32 v5, 0xffff, v4
	v_or_b32_e32 v10, 0x10000, v4
	s_delay_alu instid0(VALU_DEP_2) | instskip(NEXT) | instid1(VALU_DEP_1)
	v_cmp_eq_u32_e64 s0, 0, v5
	v_cndmask_b32_e64 v107, v10, v4, s0
; %bb.3647:                             ;   in Loop: Header=BB466_2335 Depth=1
	s_or_b32 exec_lo, exec_lo, s9
	v_lshlrev_b32_e32 v4, 16, v12
                                        ; implicit-def: $vgpr108
	s_delay_alu instid0(VALU_DEP_1) | instskip(NEXT) | instid1(VALU_DEP_1)
	v_mul_f32_e32 v4, v145, v4
	v_and_b32_e32 v5, 0x7f800000, v4
	s_delay_alu instid0(VALU_DEP_1) | instskip(NEXT) | instid1(VALU_DEP_1)
	v_cmp_ne_u32_e64 s0, 0x7f800000, v5
	s_and_saveexec_b32 s9, s0
	s_delay_alu instid0(SALU_CYCLE_1)
	s_xor_b32 s0, exec_lo, s9
; %bb.3648:                             ;   in Loop: Header=BB466_2335 Depth=1
	v_bfe_u32 v5, v4, 16, 1
	s_delay_alu instid0(VALU_DEP_1)
	v_add3_u32 v108, v4, v5, 0x7fff
                                        ; implicit-def: $vgpr4
; %bb.3649:                             ;   in Loop: Header=BB466_2335 Depth=1
	s_and_not1_saveexec_b32 s9, s0
; %bb.3650:                             ;   in Loop: Header=BB466_2335 Depth=1
	v_and_b32_e32 v5, 0xffff, v4
	v_or_b32_e32 v10, 0x10000, v4
	s_delay_alu instid0(VALU_DEP_2) | instskip(NEXT) | instid1(VALU_DEP_1)
	v_cmp_eq_u32_e64 s0, 0, v5
	v_cndmask_b32_e64 v108, v10, v4, s0
; %bb.3651:                             ;   in Loop: Header=BB466_2335 Depth=1
	s_or_b32 exec_lo, exec_lo, s9
	v_lshlrev_b32_e32 v4, 16, v9
                                        ; implicit-def: $vgpr109
	s_delay_alu instid0(VALU_DEP_1) | instskip(NEXT) | instid1(VALU_DEP_1)
	v_mul_f32_e32 v4, v146, v4
	v_and_b32_e32 v5, 0x7f800000, v4
	s_delay_alu instid0(VALU_DEP_1) | instskip(NEXT) | instid1(VALU_DEP_1)
	v_cmp_ne_u32_e64 s0, 0x7f800000, v5
	s_and_saveexec_b32 s9, s0
	s_delay_alu instid0(SALU_CYCLE_1)
	s_xor_b32 s0, exec_lo, s9
; %bb.3652:                             ;   in Loop: Header=BB466_2335 Depth=1
	v_bfe_u32 v5, v4, 16, 1
	s_delay_alu instid0(VALU_DEP_1)
	v_add3_u32 v109, v4, v5, 0x7fff
                                        ; implicit-def: $vgpr4
; %bb.3653:                             ;   in Loop: Header=BB466_2335 Depth=1
	s_and_not1_saveexec_b32 s9, s0
; %bb.3654:                             ;   in Loop: Header=BB466_2335 Depth=1
	v_and_b32_e32 v5, 0xffff, v4
	v_or_b32_e32 v9, 0x10000, v4
	s_delay_alu instid0(VALU_DEP_2) | instskip(NEXT) | instid1(VALU_DEP_1)
	v_cmp_eq_u32_e64 s0, 0, v5
	v_cndmask_b32_e64 v109, v9, v4, s0
; %bb.3655:                             ;   in Loop: Header=BB466_2335 Depth=1
	s_or_b32 exec_lo, exec_lo, s9
	v_lshlrev_b32_e32 v4, 16, v8
                                        ; implicit-def: $vgpr110
	s_delay_alu instid0(VALU_DEP_1) | instskip(NEXT) | instid1(VALU_DEP_1)
	v_mul_f32_e32 v4, v147, v4
	v_and_b32_e32 v5, 0x7f800000, v4
	s_delay_alu instid0(VALU_DEP_1) | instskip(NEXT) | instid1(VALU_DEP_1)
	v_cmp_ne_u32_e64 s0, 0x7f800000, v5
	s_and_saveexec_b32 s9, s0
	s_delay_alu instid0(SALU_CYCLE_1)
	s_xor_b32 s0, exec_lo, s9
; %bb.3656:                             ;   in Loop: Header=BB466_2335 Depth=1
	v_bfe_u32 v5, v4, 16, 1
	s_delay_alu instid0(VALU_DEP_1)
	v_add3_u32 v110, v4, v5, 0x7fff
                                        ; implicit-def: $vgpr4
; %bb.3657:                             ;   in Loop: Header=BB466_2335 Depth=1
	s_and_not1_saveexec_b32 s9, s0
; %bb.3658:                             ;   in Loop: Header=BB466_2335 Depth=1
	v_and_b32_e32 v5, 0xffff, v4
	v_or_b32_e32 v8, 0x10000, v4
	s_delay_alu instid0(VALU_DEP_2) | instskip(NEXT) | instid1(VALU_DEP_1)
	v_cmp_eq_u32_e64 s0, 0, v5
	v_cndmask_b32_e64 v110, v8, v4, s0
; %bb.3659:                             ;   in Loop: Header=BB466_2335 Depth=1
	s_or_b32 exec_lo, exec_lo, s9
	v_lshlrev_b32_e32 v4, 16, v7
                                        ; implicit-def: $vgpr111
	s_delay_alu instid0(VALU_DEP_1) | instskip(NEXT) | instid1(VALU_DEP_1)
	v_mul_f32_e32 v4, v148, v4
	v_and_b32_e32 v5, 0x7f800000, v4
	s_delay_alu instid0(VALU_DEP_1) | instskip(NEXT) | instid1(VALU_DEP_1)
	v_cmp_ne_u32_e64 s0, 0x7f800000, v5
	s_and_saveexec_b32 s9, s0
	s_delay_alu instid0(SALU_CYCLE_1)
	s_xor_b32 s0, exec_lo, s9
; %bb.3660:                             ;   in Loop: Header=BB466_2335 Depth=1
	v_bfe_u32 v5, v4, 16, 1
	s_delay_alu instid0(VALU_DEP_1)
	v_add3_u32 v111, v4, v5, 0x7fff
                                        ; implicit-def: $vgpr4
; %bb.3661:                             ;   in Loop: Header=BB466_2335 Depth=1
	s_and_not1_saveexec_b32 s9, s0
; %bb.3662:                             ;   in Loop: Header=BB466_2335 Depth=1
	v_and_b32_e32 v5, 0xffff, v4
	v_or_b32_e32 v7, 0x10000, v4
	s_delay_alu instid0(VALU_DEP_2) | instskip(NEXT) | instid1(VALU_DEP_1)
	v_cmp_eq_u32_e64 s0, 0, v5
	v_cndmask_b32_e64 v111, v7, v4, s0
; %bb.3663:                             ;   in Loop: Header=BB466_2335 Depth=1
	s_or_b32 exec_lo, exec_lo, s9
	v_lshlrev_b32_e32 v4, 16, v6
                                        ; implicit-def: $vgpr120
	s_delay_alu instid0(VALU_DEP_1) | instskip(NEXT) | instid1(VALU_DEP_1)
	v_mul_f32_e32 v4, v149, v4
	v_and_b32_e32 v5, 0x7f800000, v4
	s_delay_alu instid0(VALU_DEP_1) | instskip(NEXT) | instid1(VALU_DEP_1)
	v_cmp_ne_u32_e64 s0, 0x7f800000, v5
	s_and_saveexec_b32 s9, s0
	s_delay_alu instid0(SALU_CYCLE_1)
	s_xor_b32 s0, exec_lo, s9
; %bb.3664:                             ;   in Loop: Header=BB466_2335 Depth=1
	v_bfe_u32 v5, v4, 16, 1
	s_delay_alu instid0(VALU_DEP_1)
	v_add3_u32 v120, v4, v5, 0x7fff
                                        ; implicit-def: $vgpr4
; %bb.3665:                             ;   in Loop: Header=BB466_2335 Depth=1
	s_and_not1_saveexec_b32 s9, s0
; %bb.3666:                             ;   in Loop: Header=BB466_2335 Depth=1
	v_and_b32_e32 v5, 0xffff, v4
	v_or_b32_e32 v6, 0x10000, v4
	s_delay_alu instid0(VALU_DEP_2) | instskip(NEXT) | instid1(VALU_DEP_1)
	v_cmp_eq_u32_e64 s0, 0, v5
	v_cndmask_b32_e64 v120, v6, v4, s0
; %bb.3667:                             ;   in Loop: Header=BB466_2335 Depth=1
	s_or_b32 exec_lo, exec_lo, s9
	flat_load_b64 v[6:7], v[2:3] offset:2560
	s_mov_b32 s9, exec_lo
	s_waitcnt vmcnt(0) lgkmcnt(0)
	v_dual_mov_b32 v4, 0 :: v_dual_and_b32 v5, 0xff, v6
	s_delay_alu instid0(VALU_DEP_1)
	v_cmpx_ne_u16_e32 0, v5
	s_cbranch_execz .LBB466_3675
; %bb.3668:                             ;   in Loop: Header=BB466_2335 Depth=1
	v_bfrev_b32_e32 v4, 1
	s_mov_b32 s12, exec_lo
	v_cmpx_ne_u16_e32 0x80, v5
	s_cbranch_execz .LBB466_3674
; %bb.3669:                             ;   in Loop: Header=BB466_2335 Depth=1
	v_and_b32_e32 v5, 0x7f, v6
	v_mov_b32_e32 v4, 0x7f800001
	s_mov_b32 s13, exec_lo
	s_delay_alu instid0(VALU_DEP_2)
	v_cmpx_ne_u32_e32 0x7f, v5
	s_cbranch_execz .LBB466_3673
; %bb.3670:                             ;   in Loop: Header=BB466_2335 Depth=1
	v_lshrrev_b32_e32 v4, 3, v5
	v_dual_mov_b32 v9, v7 :: v_dual_mov_b32 v8, v6
	s_mov_b32 s15, exec_lo
	v_cmpx_gt_u32_e32 8, v5
; %bb.3671:                             ;   in Loop: Header=BB466_2335 Depth=1
	v_and_b32_e32 v4, 7, v6
	s_delay_alu instid0(VALU_DEP_1) | instskip(NEXT) | instid1(VALU_DEP_1)
	v_clz_i32_u32_e32 v4, v4
	v_min_u32_e32 v4, 32, v4
	s_delay_alu instid0(VALU_DEP_1) | instskip(SKIP_1) | instid1(VALU_DEP_2)
	v_subrev_nc_u32_e32 v5, 28, v4
	v_sub_nc_u32_e32 v4, 29, v4
	v_lshlrev_b64 v[8:9], v5, v[6:7]
; %bb.3672:                             ;   in Loop: Header=BB466_2335 Depth=1
	s_or_b32 exec_lo, exec_lo, s15
	s_delay_alu instid0(VALU_DEP_1) | instskip(SKIP_2) | instid1(VALU_DEP_3)
	v_lshlrev_b32_e32 v5, 20, v8
	v_lshlrev_b32_e32 v8, 24, v6
	v_lshl_add_u32 v4, v4, 23, 0x3c000000
	v_and_b32_e32 v5, 0x700000, v5
	s_delay_alu instid0(VALU_DEP_3) | instskip(NEXT) | instid1(VALU_DEP_1)
	v_and_b32_e32 v8, 0x80000000, v8
	v_or3_b32 v4, v5, v8, v4
.LBB466_3673:                           ;   in Loop: Header=BB466_2335 Depth=1
	s_or_b32 exec_lo, exec_lo, s13
.LBB466_3674:                           ;   in Loop: Header=BB466_2335 Depth=1
	s_delay_alu instid0(SALU_CYCLE_1)
	s_or_b32 exec_lo, exec_lo, s12
.LBB466_3675:                           ;   in Loop: Header=BB466_2335 Depth=1
	s_delay_alu instid0(SALU_CYCLE_1) | instskip(NEXT) | instid1(VALU_DEP_1)
	s_or_b32 exec_lo, exec_lo, s9
	v_mul_f32_e32 v4, v26, v4
                                        ; implicit-def: $vgpr10
	s_delay_alu instid0(VALU_DEP_1) | instskip(NEXT) | instid1(VALU_DEP_1)
	v_and_b32_e32 v5, 0x7f800000, v4
	v_cmp_ne_u32_e64 s0, 0x7f800000, v5
	s_delay_alu instid0(VALU_DEP_1) | instskip(NEXT) | instid1(SALU_CYCLE_1)
	s_and_saveexec_b32 s9, s0
	s_xor_b32 s0, exec_lo, s9
; %bb.3676:                             ;   in Loop: Header=BB466_2335 Depth=1
	v_bfe_u32 v5, v4, 16, 1
	s_delay_alu instid0(VALU_DEP_1)
	v_add3_u32 v10, v4, v5, 0x7fff
                                        ; implicit-def: $vgpr4
; %bb.3677:                             ;   in Loop: Header=BB466_2335 Depth=1
	s_and_not1_saveexec_b32 s9, s0
; %bb.3678:                             ;   in Loop: Header=BB466_2335 Depth=1
	v_and_b32_e32 v5, 0xffff, v4
	v_or_b32_e32 v8, 0x10000, v4
	s_delay_alu instid0(VALU_DEP_2) | instskip(NEXT) | instid1(VALU_DEP_1)
	v_cmp_eq_u32_e64 s0, 0, v5
	v_cndmask_b32_e64 v10, v8, v4, s0
; %bb.3679:                             ;   in Loop: Header=BB466_2335 Depth=1
	s_or_b32 exec_lo, exec_lo, s9
	v_lshrrev_b16 v5, 8, v6
	v_mov_b32_e32 v4, 0
	s_mov_b32 s9, exec_lo
	s_delay_alu instid0(VALU_DEP_2)
	v_cmpx_ne_u16_e32 0, v5
	s_cbranch_execz .LBB466_3687
; %bb.3680:                             ;   in Loop: Header=BB466_2335 Depth=1
	v_bfrev_b32_e32 v4, 1
	s_mov_b32 s12, exec_lo
	v_cmpx_ne_u16_e32 0x80, v5
	s_cbranch_execz .LBB466_3686
; %bb.3681:                             ;   in Loop: Header=BB466_2335 Depth=1
	v_and_b32_e32 v8, 0xffff, v5
	v_mov_b32_e32 v4, 0x7f800001
	s_mov_b32 s13, exec_lo
	s_delay_alu instid0(VALU_DEP_2) | instskip(NEXT) | instid1(VALU_DEP_1)
	v_and_b32_e32 v5, 0x7f, v8
	v_cmpx_ne_u32_e32 0x7f, v5
	s_cbranch_execz .LBB466_3685
; %bb.3682:                             ;   in Loop: Header=BB466_2335 Depth=1
	v_and_b32_e32 v12, 7, v8
	v_lshrrev_b32_e32 v4, 3, v5
	s_mov_b32 s15, exec_lo
	s_delay_alu instid0(VALU_DEP_2)
	v_dual_mov_b32 v8, v12 :: v_dual_mov_b32 v9, v13
	v_cmpx_gt_u32_e32 8, v5
; %bb.3683:                             ;   in Loop: Header=BB466_2335 Depth=1
	v_clz_i32_u32_e32 v4, v12
	s_delay_alu instid0(VALU_DEP_1) | instskip(NEXT) | instid1(VALU_DEP_1)
	v_min_u32_e32 v4, 32, v4
	v_subrev_nc_u32_e32 v5, 28, v4
	v_sub_nc_u32_e32 v4, 29, v4
	s_delay_alu instid0(VALU_DEP_2) | instskip(NEXT) | instid1(VALU_DEP_1)
	v_lshlrev_b64 v[8:9], v5, v[12:13]
	v_and_b32_e32 v8, 7, v8
; %bb.3684:                             ;   in Loop: Header=BB466_2335 Depth=1
	s_or_b32 exec_lo, exec_lo, s15
	v_lshlrev_b32_e32 v5, 16, v6
	s_delay_alu instid0(VALU_DEP_2) | instskip(SKIP_1) | instid1(VALU_DEP_3)
	v_lshlrev_b32_e32 v8, 20, v8
	v_lshl_add_u32 v4, v4, 23, 0x3c000000
	v_and_b32_e32 v5, 0x80000000, v5
	s_delay_alu instid0(VALU_DEP_1)
	v_or3_b32 v4, v8, v5, v4
.LBB466_3685:                           ;   in Loop: Header=BB466_2335 Depth=1
	s_or_b32 exec_lo, exec_lo, s13
.LBB466_3686:                           ;   in Loop: Header=BB466_2335 Depth=1
	s_delay_alu instid0(SALU_CYCLE_1)
	s_or_b32 exec_lo, exec_lo, s12
.LBB466_3687:                           ;   in Loop: Header=BB466_2335 Depth=1
	s_delay_alu instid0(SALU_CYCLE_1) | instskip(NEXT) | instid1(VALU_DEP_1)
	s_or_b32 exec_lo, exec_lo, s9
	v_mul_f32_e32 v4, v26, v4
                                        ; implicit-def: $vgpr11
	s_delay_alu instid0(VALU_DEP_1) | instskip(NEXT) | instid1(VALU_DEP_1)
	v_and_b32_e32 v5, 0x7f800000, v4
	v_cmp_ne_u32_e64 s0, 0x7f800000, v5
	s_delay_alu instid0(VALU_DEP_1) | instskip(NEXT) | instid1(SALU_CYCLE_1)
	s_and_saveexec_b32 s9, s0
	s_xor_b32 s0, exec_lo, s9
; %bb.3688:                             ;   in Loop: Header=BB466_2335 Depth=1
	v_bfe_u32 v5, v4, 16, 1
	s_delay_alu instid0(VALU_DEP_1)
	v_add3_u32 v11, v4, v5, 0x7fff
                                        ; implicit-def: $vgpr4
; %bb.3689:                             ;   in Loop: Header=BB466_2335 Depth=1
	s_and_not1_saveexec_b32 s9, s0
; %bb.3690:                             ;   in Loop: Header=BB466_2335 Depth=1
	v_and_b32_e32 v5, 0xffff, v4
	v_or_b32_e32 v8, 0x10000, v4
	s_delay_alu instid0(VALU_DEP_2) | instskip(NEXT) | instid1(VALU_DEP_1)
	v_cmp_eq_u32_e64 s0, 0, v5
	v_cndmask_b32_e64 v11, v8, v4, s0
; %bb.3691:                             ;   in Loop: Header=BB466_2335 Depth=1
	s_or_b32 exec_lo, exec_lo, s9
	v_lshrrev_b32_e32 v4, 16, v6
	s_mov_b32 s9, exec_lo
	s_delay_alu instid0(VALU_DEP_1) | instskip(NEXT) | instid1(VALU_DEP_1)
	v_dual_mov_b32 v8, 0 :: v_dual_and_b32 v5, 0xff, v4
	v_cmpx_ne_u16_e32 0, v5
	s_cbranch_execz .LBB466_3699
; %bb.3692:                             ;   in Loop: Header=BB466_2335 Depth=1
	v_bfrev_b32_e32 v8, 1
	s_mov_b32 s12, exec_lo
	v_cmpx_ne_u16_e32 0x80, v5
	s_cbranch_execz .LBB466_3698
; %bb.3693:                             ;   in Loop: Header=BB466_2335 Depth=1
	v_bfe_u32 v5, v6, 16, 7
	v_mov_b32_e32 v8, 0x7f800001
	s_mov_b32 s13, exec_lo
	s_delay_alu instid0(VALU_DEP_2)
	v_cmpx_ne_u32_e32 0x7f, v5
	s_cbranch_execz .LBB466_3697
; %bb.3694:                             ;   in Loop: Header=BB466_2335 Depth=1
	v_and_b32_e32 v12, 7, v4
	v_lshrrev_b32_e32 v17, 3, v5
	s_mov_b32 s15, exec_lo
	s_delay_alu instid0(VALU_DEP_2)
	v_dual_mov_b32 v8, v12 :: v_dual_mov_b32 v9, v13
	v_cmpx_gt_u32_e32 8, v5
; %bb.3695:                             ;   in Loop: Header=BB466_2335 Depth=1
	v_clz_i32_u32_e32 v5, v12
	s_delay_alu instid0(VALU_DEP_1) | instskip(NEXT) | instid1(VALU_DEP_1)
	v_min_u32_e32 v5, 32, v5
	v_subrev_nc_u32_e32 v8, 28, v5
	v_sub_nc_u32_e32 v17, 29, v5
	s_delay_alu instid0(VALU_DEP_2) | instskip(NEXT) | instid1(VALU_DEP_1)
	v_lshlrev_b64 v[8:9], v8, v[12:13]
	v_and_b32_e32 v8, 7, v8
; %bb.3696:                             ;   in Loop: Header=BB466_2335 Depth=1
	s_or_b32 exec_lo, exec_lo, s15
	v_lshlrev_b32_e32 v4, 24, v4
	s_delay_alu instid0(VALU_DEP_2) | instskip(SKIP_1) | instid1(VALU_DEP_3)
	v_lshlrev_b32_e32 v5, 20, v8
	v_lshl_add_u32 v8, v17, 23, 0x3c000000
	v_and_b32_e32 v4, 0x80000000, v4
	s_delay_alu instid0(VALU_DEP_1)
	v_or3_b32 v8, v5, v4, v8
.LBB466_3697:                           ;   in Loop: Header=BB466_2335 Depth=1
	s_or_b32 exec_lo, exec_lo, s13
.LBB466_3698:                           ;   in Loop: Header=BB466_2335 Depth=1
	s_delay_alu instid0(SALU_CYCLE_1)
	s_or_b32 exec_lo, exec_lo, s12
.LBB466_3699:                           ;   in Loop: Header=BB466_2335 Depth=1
	s_delay_alu instid0(SALU_CYCLE_1) | instskip(NEXT) | instid1(VALU_DEP_1)
	s_or_b32 exec_lo, exec_lo, s9
	v_mul_f32_e32 v4, v26, v8
                                        ; implicit-def: $vgpr17
	s_delay_alu instid0(VALU_DEP_1) | instskip(NEXT) | instid1(VALU_DEP_1)
	v_and_b32_e32 v5, 0x7f800000, v4
	v_cmp_ne_u32_e64 s0, 0x7f800000, v5
	s_delay_alu instid0(VALU_DEP_1) | instskip(NEXT) | instid1(SALU_CYCLE_1)
	s_and_saveexec_b32 s9, s0
	s_xor_b32 s0, exec_lo, s9
; %bb.3700:                             ;   in Loop: Header=BB466_2335 Depth=1
	v_bfe_u32 v5, v4, 16, 1
	s_delay_alu instid0(VALU_DEP_1)
	v_add3_u32 v17, v4, v5, 0x7fff
                                        ; implicit-def: $vgpr4
; %bb.3701:                             ;   in Loop: Header=BB466_2335 Depth=1
	s_and_not1_saveexec_b32 s9, s0
; %bb.3702:                             ;   in Loop: Header=BB466_2335 Depth=1
	v_and_b32_e32 v5, 0xffff, v4
	v_or_b32_e32 v8, 0x10000, v4
	s_delay_alu instid0(VALU_DEP_2) | instskip(NEXT) | instid1(VALU_DEP_1)
	v_cmp_eq_u32_e64 s0, 0, v5
	v_cndmask_b32_e64 v17, v8, v4, s0
; %bb.3703:                             ;   in Loop: Header=BB466_2335 Depth=1
	s_or_b32 exec_lo, exec_lo, s9
	v_mov_b32_e32 v8, 0
	s_mov_b32 s9, exec_lo
	v_cmpx_lt_u32_e32 0xffffff, v6
	s_cbranch_execz .LBB466_3711
; %bb.3704:                             ;   in Loop: Header=BB466_2335 Depth=1
	v_lshrrev_b32_e32 v4, 24, v6
	v_bfrev_b32_e32 v8, 1
	s_mov_b32 s12, exec_lo
	s_delay_alu instid0(VALU_DEP_2)
	v_cmpx_ne_u32_e32 0x80, v4
	s_cbranch_execz .LBB466_3710
; %bb.3705:                             ;   in Loop: Header=BB466_2335 Depth=1
	v_bfe_u32 v5, v6, 24, 7
	v_mov_b32_e32 v8, 0x7f800001
	s_mov_b32 s13, exec_lo
	s_delay_alu instid0(VALU_DEP_2)
	v_cmpx_ne_u32_e32 0x7f, v5
	s_cbranch_execz .LBB466_3709
; %bb.3706:                             ;   in Loop: Header=BB466_2335 Depth=1
	v_and_b32_e32 v12, 7, v4
	v_lshrrev_b32_e32 v18, 3, v5
	s_mov_b32 s15, exec_lo
	s_delay_alu instid0(VALU_DEP_2)
	v_dual_mov_b32 v8, v12 :: v_dual_mov_b32 v9, v13
	v_cmpx_gt_u32_e32 8, v5
; %bb.3707:                             ;   in Loop: Header=BB466_2335 Depth=1
	v_clz_i32_u32_e32 v5, v12
	s_delay_alu instid0(VALU_DEP_1) | instskip(NEXT) | instid1(VALU_DEP_1)
	v_min_u32_e32 v5, 32, v5
	v_subrev_nc_u32_e32 v8, 28, v5
	v_sub_nc_u32_e32 v18, 29, v5
	s_delay_alu instid0(VALU_DEP_2) | instskip(NEXT) | instid1(VALU_DEP_1)
	v_lshlrev_b64 v[8:9], v8, v[12:13]
	v_and_b32_e32 v8, 7, v8
; %bb.3708:                             ;   in Loop: Header=BB466_2335 Depth=1
	s_or_b32 exec_lo, exec_lo, s15
	v_lshlrev_b32_e32 v4, 24, v4
	s_delay_alu instid0(VALU_DEP_2) | instskip(SKIP_1) | instid1(VALU_DEP_3)
	v_lshlrev_b32_e32 v5, 20, v8
	v_lshl_add_u32 v8, v18, 23, 0x3c000000
	v_and_b32_e32 v4, 0x80000000, v4
	s_delay_alu instid0(VALU_DEP_1)
	v_or3_b32 v8, v5, v4, v8
.LBB466_3709:                           ;   in Loop: Header=BB466_2335 Depth=1
	s_or_b32 exec_lo, exec_lo, s13
.LBB466_3710:                           ;   in Loop: Header=BB466_2335 Depth=1
	s_delay_alu instid0(SALU_CYCLE_1)
	s_or_b32 exec_lo, exec_lo, s12
.LBB466_3711:                           ;   in Loop: Header=BB466_2335 Depth=1
	s_delay_alu instid0(SALU_CYCLE_1) | instskip(NEXT) | instid1(VALU_DEP_1)
	s_or_b32 exec_lo, exec_lo, s9
	v_mul_f32_e32 v4, v26, v8
                                        ; implicit-def: $vgpr18
	s_delay_alu instid0(VALU_DEP_1) | instskip(NEXT) | instid1(VALU_DEP_1)
	v_and_b32_e32 v5, 0x7f800000, v4
	v_cmp_ne_u32_e64 s0, 0x7f800000, v5
	s_delay_alu instid0(VALU_DEP_1) | instskip(NEXT) | instid1(SALU_CYCLE_1)
	s_and_saveexec_b32 s9, s0
	s_xor_b32 s0, exec_lo, s9
; %bb.3712:                             ;   in Loop: Header=BB466_2335 Depth=1
	v_bfe_u32 v5, v4, 16, 1
	s_delay_alu instid0(VALU_DEP_1)
	v_add3_u32 v18, v4, v5, 0x7fff
                                        ; implicit-def: $vgpr4
; %bb.3713:                             ;   in Loop: Header=BB466_2335 Depth=1
	s_and_not1_saveexec_b32 s9, s0
; %bb.3714:                             ;   in Loop: Header=BB466_2335 Depth=1
	v_and_b32_e32 v5, 0xffff, v4
	v_or_b32_e32 v8, 0x10000, v4
	s_delay_alu instid0(VALU_DEP_2) | instskip(NEXT) | instid1(VALU_DEP_1)
	v_cmp_eq_u32_e64 s0, 0, v5
	v_cndmask_b32_e64 v18, v8, v4, s0
; %bb.3715:                             ;   in Loop: Header=BB466_2335 Depth=1
	s_or_b32 exec_lo, exec_lo, s9
	v_dual_mov_b32 v12, v7 :: v_dual_and_b32 v5, 0xff, v7
	v_mov_b32_e32 v4, 0
	s_mov_b32 s9, exec_lo
	s_delay_alu instid0(VALU_DEP_2)
	v_cmpx_ne_u16_e32 0, v5
	s_cbranch_execz .LBB466_3723
; %bb.3716:                             ;   in Loop: Header=BB466_2335 Depth=1
	v_bfrev_b32_e32 v4, 1
	s_mov_b32 s12, exec_lo
	v_cmpx_ne_u16_e32 0x80, v5
	s_cbranch_execz .LBB466_3722
; %bb.3717:                             ;   in Loop: Header=BB466_2335 Depth=1
	v_and_b32_e32 v5, 0x7f, v7
	v_mov_b32_e32 v4, 0x7f800001
	s_mov_b32 s13, exec_lo
	s_delay_alu instid0(VALU_DEP_2)
	v_cmpx_ne_u32_e32 0x7f, v5
	s_cbranch_execz .LBB466_3721
; %bb.3718:                             ;   in Loop: Header=BB466_2335 Depth=1
	v_lshrrev_b32_e32 v4, 3, v5
	v_dual_mov_b32 v8, v12 :: v_dual_mov_b32 v9, v13
	s_mov_b32 s15, exec_lo
	v_cmpx_gt_u32_e32 8, v5
; %bb.3719:                             ;   in Loop: Header=BB466_2335 Depth=1
	v_and_b32_e32 v4, 7, v7
	s_delay_alu instid0(VALU_DEP_1) | instskip(NEXT) | instid1(VALU_DEP_1)
	v_clz_i32_u32_e32 v4, v4
	v_min_u32_e32 v4, 32, v4
	s_delay_alu instid0(VALU_DEP_1) | instskip(SKIP_1) | instid1(VALU_DEP_2)
	v_subrev_nc_u32_e32 v5, 28, v4
	v_sub_nc_u32_e32 v4, 29, v4
	v_lshlrev_b64 v[8:9], v5, v[12:13]
; %bb.3720:                             ;   in Loop: Header=BB466_2335 Depth=1
	s_or_b32 exec_lo, exec_lo, s15
	s_delay_alu instid0(VALU_DEP_1) | instskip(SKIP_2) | instid1(VALU_DEP_3)
	v_lshlrev_b32_e32 v5, 20, v8
	v_lshlrev_b32_e32 v8, 24, v12
	v_lshl_add_u32 v4, v4, 23, 0x3c000000
	v_and_b32_e32 v5, 0x700000, v5
	s_delay_alu instid0(VALU_DEP_3) | instskip(NEXT) | instid1(VALU_DEP_1)
	v_and_b32_e32 v8, 0x80000000, v8
	v_or3_b32 v4, v5, v8, v4
.LBB466_3721:                           ;   in Loop: Header=BB466_2335 Depth=1
	s_or_b32 exec_lo, exec_lo, s13
.LBB466_3722:                           ;   in Loop: Header=BB466_2335 Depth=1
	s_delay_alu instid0(SALU_CYCLE_1)
	s_or_b32 exec_lo, exec_lo, s12
.LBB466_3723:                           ;   in Loop: Header=BB466_2335 Depth=1
	s_delay_alu instid0(SALU_CYCLE_1) | instskip(NEXT) | instid1(VALU_DEP_1)
	s_or_b32 exec_lo, exec_lo, s9
	v_mul_f32_e32 v4, v26, v4
                                        ; implicit-def: $vgpr19
	s_delay_alu instid0(VALU_DEP_1) | instskip(NEXT) | instid1(VALU_DEP_1)
	v_and_b32_e32 v5, 0x7f800000, v4
	v_cmp_ne_u32_e64 s0, 0x7f800000, v5
	s_delay_alu instid0(VALU_DEP_1) | instskip(NEXT) | instid1(SALU_CYCLE_1)
	s_and_saveexec_b32 s9, s0
	s_xor_b32 s0, exec_lo, s9
; %bb.3724:                             ;   in Loop: Header=BB466_2335 Depth=1
	v_bfe_u32 v5, v4, 16, 1
	s_delay_alu instid0(VALU_DEP_1)
	v_add3_u32 v19, v4, v5, 0x7fff
                                        ; implicit-def: $vgpr4
; %bb.3725:                             ;   in Loop: Header=BB466_2335 Depth=1
	s_and_not1_saveexec_b32 s9, s0
; %bb.3726:                             ;   in Loop: Header=BB466_2335 Depth=1
	v_and_b32_e32 v5, 0xffff, v4
	v_or_b32_e32 v8, 0x10000, v4
	s_delay_alu instid0(VALU_DEP_2) | instskip(NEXT) | instid1(VALU_DEP_1)
	v_cmp_eq_u32_e64 s0, 0, v5
	v_cndmask_b32_e64 v19, v8, v4, s0
; %bb.3727:                             ;   in Loop: Header=BB466_2335 Depth=1
	s_or_b32 exec_lo, exec_lo, s9
	v_lshrrev_b16 v5, 8, v12
	v_mov_b32_e32 v4, 0
	s_mov_b32 s9, exec_lo
	s_delay_alu instid0(VALU_DEP_2)
	v_cmpx_ne_u16_e32 0, v5
	s_cbranch_execz .LBB466_3735
; %bb.3728:                             ;   in Loop: Header=BB466_2335 Depth=1
	v_bfrev_b32_e32 v4, 1
	s_mov_b32 s12, exec_lo
	v_cmpx_ne_u16_e32 0x80, v5
	s_cbranch_execz .LBB466_3734
; %bb.3729:                             ;   in Loop: Header=BB466_2335 Depth=1
	v_and_b32_e32 v8, 0xffff, v5
	v_mov_b32_e32 v4, 0x7f800001
	s_mov_b32 s13, exec_lo
	s_delay_alu instid0(VALU_DEP_2) | instskip(NEXT) | instid1(VALU_DEP_1)
	v_and_b32_e32 v5, 0x7f, v8
	v_cmpx_ne_u32_e32 0x7f, v5
	s_cbranch_execz .LBB466_3733
; %bb.3730:                             ;   in Loop: Header=BB466_2335 Depth=1
	v_dual_mov_b32 v9, v13 :: v_dual_and_b32 v8, 7, v8
	v_lshrrev_b32_e32 v4, 3, v5
	s_mov_b32 s15, exec_lo
	v_cmpx_gt_u32_e32 8, v5
; %bb.3731:                             ;   in Loop: Header=BB466_2335 Depth=1
	s_delay_alu instid0(VALU_DEP_3) | instskip(NEXT) | instid1(VALU_DEP_1)
	v_clz_i32_u32_e32 v4, v8
	v_min_u32_e32 v4, 32, v4
	s_delay_alu instid0(VALU_DEP_1) | instskip(SKIP_1) | instid1(VALU_DEP_2)
	v_subrev_nc_u32_e32 v5, 28, v4
	v_sub_nc_u32_e32 v4, 29, v4
	v_lshlrev_b64 v[8:9], v5, v[8:9]
	s_delay_alu instid0(VALU_DEP_1)
	v_and_b32_e32 v8, 7, v8
; %bb.3732:                             ;   in Loop: Header=BB466_2335 Depth=1
	s_or_b32 exec_lo, exec_lo, s15
	v_lshlrev_b32_e32 v5, 16, v12
	s_delay_alu instid0(VALU_DEP_2) | instskip(SKIP_1) | instid1(VALU_DEP_3)
	v_lshlrev_b32_e32 v8, 20, v8
	v_lshl_add_u32 v4, v4, 23, 0x3c000000
	v_and_b32_e32 v5, 0x80000000, v5
	s_delay_alu instid0(VALU_DEP_1)
	v_or3_b32 v4, v8, v5, v4
.LBB466_3733:                           ;   in Loop: Header=BB466_2335 Depth=1
	s_or_b32 exec_lo, exec_lo, s13
.LBB466_3734:                           ;   in Loop: Header=BB466_2335 Depth=1
	s_delay_alu instid0(SALU_CYCLE_1)
	s_or_b32 exec_lo, exec_lo, s12
.LBB466_3735:                           ;   in Loop: Header=BB466_2335 Depth=1
	s_delay_alu instid0(SALU_CYCLE_1) | instskip(NEXT) | instid1(VALU_DEP_1)
	s_or_b32 exec_lo, exec_lo, s9
	v_mul_f32_e32 v4, v26, v4
                                        ; implicit-def: $vgpr20
	s_delay_alu instid0(VALU_DEP_1) | instskip(NEXT) | instid1(VALU_DEP_1)
	v_and_b32_e32 v5, 0x7f800000, v4
	v_cmp_ne_u32_e64 s0, 0x7f800000, v5
	s_delay_alu instid0(VALU_DEP_1) | instskip(NEXT) | instid1(SALU_CYCLE_1)
	s_and_saveexec_b32 s9, s0
	s_xor_b32 s0, exec_lo, s9
; %bb.3736:                             ;   in Loop: Header=BB466_2335 Depth=1
	v_bfe_u32 v5, v4, 16, 1
	s_delay_alu instid0(VALU_DEP_1)
	v_add3_u32 v20, v4, v5, 0x7fff
                                        ; implicit-def: $vgpr4
; %bb.3737:                             ;   in Loop: Header=BB466_2335 Depth=1
	s_and_not1_saveexec_b32 s9, s0
; %bb.3738:                             ;   in Loop: Header=BB466_2335 Depth=1
	v_and_b32_e32 v5, 0xffff, v4
	v_or_b32_e32 v8, 0x10000, v4
	s_delay_alu instid0(VALU_DEP_2) | instskip(NEXT) | instid1(VALU_DEP_1)
	v_cmp_eq_u32_e64 s0, 0, v5
	v_cndmask_b32_e64 v20, v8, v4, s0
; %bb.3739:                             ;   in Loop: Header=BB466_2335 Depth=1
	s_or_b32 exec_lo, exec_lo, s9
	v_lshrrev_b32_e32 v4, 16, v7
	s_mov_b32 s9, exec_lo
	s_delay_alu instid0(VALU_DEP_1) | instskip(NEXT) | instid1(VALU_DEP_1)
	v_dual_mov_b32 v8, 0 :: v_dual_and_b32 v5, 0xff, v4
	v_cmpx_ne_u16_e32 0, v5
	s_cbranch_execz .LBB466_3747
; %bb.3740:                             ;   in Loop: Header=BB466_2335 Depth=1
	v_bfrev_b32_e32 v8, 1
	s_mov_b32 s12, exec_lo
	v_cmpx_ne_u16_e32 0x80, v5
	s_cbranch_execz .LBB466_3746
; %bb.3741:                             ;   in Loop: Header=BB466_2335 Depth=1
	v_bfe_u32 v5, v7, 16, 7
	v_mov_b32_e32 v8, 0x7f800001
	s_mov_b32 s13, exec_lo
	s_delay_alu instid0(VALU_DEP_2)
	v_cmpx_ne_u32_e32 0x7f, v5
	s_cbranch_execz .LBB466_3745
; %bb.3742:                             ;   in Loop: Header=BB466_2335 Depth=1
	v_and_b32_e32 v12, 7, v4
	v_lshrrev_b32_e32 v22, 3, v5
	s_mov_b32 s15, exec_lo
	s_delay_alu instid0(VALU_DEP_2)
	v_dual_mov_b32 v8, v12 :: v_dual_mov_b32 v9, v13
	v_cmpx_gt_u32_e32 8, v5
; %bb.3743:                             ;   in Loop: Header=BB466_2335 Depth=1
	v_clz_i32_u32_e32 v5, v12
	s_delay_alu instid0(VALU_DEP_1) | instskip(NEXT) | instid1(VALU_DEP_1)
	v_min_u32_e32 v5, 32, v5
	v_subrev_nc_u32_e32 v8, 28, v5
	v_sub_nc_u32_e32 v22, 29, v5
	s_delay_alu instid0(VALU_DEP_2) | instskip(NEXT) | instid1(VALU_DEP_1)
	v_lshlrev_b64 v[8:9], v8, v[12:13]
	v_and_b32_e32 v8, 7, v8
; %bb.3744:                             ;   in Loop: Header=BB466_2335 Depth=1
	s_or_b32 exec_lo, exec_lo, s15
	v_lshlrev_b32_e32 v4, 24, v4
	s_delay_alu instid0(VALU_DEP_2) | instskip(SKIP_1) | instid1(VALU_DEP_3)
	v_lshlrev_b32_e32 v5, 20, v8
	v_lshl_add_u32 v8, v22, 23, 0x3c000000
	v_and_b32_e32 v4, 0x80000000, v4
	s_delay_alu instid0(VALU_DEP_1)
	v_or3_b32 v8, v5, v4, v8
.LBB466_3745:                           ;   in Loop: Header=BB466_2335 Depth=1
	s_or_b32 exec_lo, exec_lo, s13
.LBB466_3746:                           ;   in Loop: Header=BB466_2335 Depth=1
	s_delay_alu instid0(SALU_CYCLE_1)
	s_or_b32 exec_lo, exec_lo, s12
.LBB466_3747:                           ;   in Loop: Header=BB466_2335 Depth=1
	s_delay_alu instid0(SALU_CYCLE_1) | instskip(NEXT) | instid1(VALU_DEP_1)
	s_or_b32 exec_lo, exec_lo, s9
	v_mul_f32_e32 v4, v26, v8
                                        ; implicit-def: $vgpr22
	s_delay_alu instid0(VALU_DEP_1) | instskip(NEXT) | instid1(VALU_DEP_1)
	v_and_b32_e32 v5, 0x7f800000, v4
	v_cmp_ne_u32_e64 s0, 0x7f800000, v5
	s_delay_alu instid0(VALU_DEP_1) | instskip(NEXT) | instid1(SALU_CYCLE_1)
	s_and_saveexec_b32 s9, s0
	s_xor_b32 s0, exec_lo, s9
; %bb.3748:                             ;   in Loop: Header=BB466_2335 Depth=1
	v_bfe_u32 v5, v4, 16, 1
	s_delay_alu instid0(VALU_DEP_1)
	v_add3_u32 v22, v4, v5, 0x7fff
                                        ; implicit-def: $vgpr4
; %bb.3749:                             ;   in Loop: Header=BB466_2335 Depth=1
	s_and_not1_saveexec_b32 s9, s0
; %bb.3750:                             ;   in Loop: Header=BB466_2335 Depth=1
	v_and_b32_e32 v5, 0xffff, v4
	v_or_b32_e32 v8, 0x10000, v4
	s_delay_alu instid0(VALU_DEP_2) | instskip(NEXT) | instid1(VALU_DEP_1)
	v_cmp_eq_u32_e64 s0, 0, v5
	v_cndmask_b32_e64 v22, v8, v4, s0
; %bb.3751:                             ;   in Loop: Header=BB466_2335 Depth=1
	s_or_b32 exec_lo, exec_lo, s9
	v_cmp_lt_u64_e64 s0, s[2:3], v[6:7]
	v_mov_b32_e32 v6, 0
	s_delay_alu instid0(VALU_DEP_2)
	s_and_saveexec_b32 s9, s0
	s_cbranch_execz .LBB466_3759
; %bb.3752:                             ;   in Loop: Header=BB466_2335 Depth=1
	v_lshrrev_b32_e32 v4, 24, v7
	v_bfrev_b32_e32 v6, 1
	s_mov_b32 s12, exec_lo
	s_delay_alu instid0(VALU_DEP_2)
	v_cmpx_ne_u32_e32 0x80, v4
	s_cbranch_execz .LBB466_3758
; %bb.3753:                             ;   in Loop: Header=BB466_2335 Depth=1
	v_bfe_u32 v5, v7, 24, 7
	v_mov_b32_e32 v6, 0x7f800001
	s_mov_b32 s13, exec_lo
	s_delay_alu instid0(VALU_DEP_2)
	v_cmpx_ne_u32_e32 0x7f, v5
	s_cbranch_execz .LBB466_3757
; %bb.3754:                             ;   in Loop: Header=BB466_2335 Depth=1
	v_and_b32_e32 v12, 7, v4
	v_lshrrev_b32_e32 v8, 3, v5
	s_mov_b32 s15, exec_lo
	s_delay_alu instid0(VALU_DEP_2)
	v_dual_mov_b32 v6, v12 :: v_dual_mov_b32 v7, v13
	v_cmpx_gt_u32_e32 8, v5
; %bb.3755:                             ;   in Loop: Header=BB466_2335 Depth=1
	v_clz_i32_u32_e32 v5, v12
	s_delay_alu instid0(VALU_DEP_1) | instskip(NEXT) | instid1(VALU_DEP_1)
	v_min_u32_e32 v7, 32, v5
	v_subrev_nc_u32_e32 v5, 28, v7
	v_sub_nc_u32_e32 v8, 29, v7
	s_delay_alu instid0(VALU_DEP_2) | instskip(NEXT) | instid1(VALU_DEP_1)
	v_lshlrev_b64 v[5:6], v5, v[12:13]
	v_and_b32_e32 v6, 7, v5
; %bb.3756:                             ;   in Loop: Header=BB466_2335 Depth=1
	s_or_b32 exec_lo, exec_lo, s15
	v_lshlrev_b32_e32 v4, 24, v4
	s_delay_alu instid0(VALU_DEP_2) | instskip(SKIP_1) | instid1(VALU_DEP_3)
	v_lshlrev_b32_e32 v5, 20, v6
	v_lshl_add_u32 v6, v8, 23, 0x3c000000
	v_and_b32_e32 v4, 0x80000000, v4
	s_delay_alu instid0(VALU_DEP_1)
	v_or3_b32 v6, v5, v4, v6
.LBB466_3757:                           ;   in Loop: Header=BB466_2335 Depth=1
	s_or_b32 exec_lo, exec_lo, s13
.LBB466_3758:                           ;   in Loop: Header=BB466_2335 Depth=1
	s_delay_alu instid0(SALU_CYCLE_1)
	s_or_b32 exec_lo, exec_lo, s12
.LBB466_3759:                           ;   in Loop: Header=BB466_2335 Depth=1
	s_delay_alu instid0(SALU_CYCLE_1) | instskip(NEXT) | instid1(VALU_DEP_1)
	s_or_b32 exec_lo, exec_lo, s9
	v_mul_f32_e32 v4, v26, v6
                                        ; implicit-def: $vgpr6
	s_delay_alu instid0(VALU_DEP_1) | instskip(NEXT) | instid1(VALU_DEP_1)
	v_and_b32_e32 v5, 0x7f800000, v4
	v_cmp_ne_u32_e64 s0, 0x7f800000, v5
	s_delay_alu instid0(VALU_DEP_1) | instskip(NEXT) | instid1(SALU_CYCLE_1)
	s_and_saveexec_b32 s9, s0
	s_xor_b32 s0, exec_lo, s9
; %bb.3760:                             ;   in Loop: Header=BB466_2335 Depth=1
	v_bfe_u32 v5, v4, 16, 1
	s_delay_alu instid0(VALU_DEP_1)
	v_add3_u32 v6, v4, v5, 0x7fff
                                        ; implicit-def: $vgpr4
; %bb.3761:                             ;   in Loop: Header=BB466_2335 Depth=1
	s_and_not1_saveexec_b32 s9, s0
; %bb.3762:                             ;   in Loop: Header=BB466_2335 Depth=1
	v_and_b32_e32 v5, 0xffff, v4
	v_or_b32_e32 v6, 0x10000, v4
	s_delay_alu instid0(VALU_DEP_2) | instskip(NEXT) | instid1(VALU_DEP_1)
	v_cmp_eq_u32_e64 s0, 0, v5
	v_cndmask_b32_e64 v6, v6, v4, s0
; %bb.3763:                             ;   in Loop: Header=BB466_2335 Depth=1
	s_or_b32 exec_lo, exec_lo, s9
	v_lshrrev_b32_e32 v8, 16, v20
	v_lshrrev_b32_e32 v9, 16, v19
	;; [unrolled: 1-line block ×8, first 2 shown]
	s_and_saveexec_b32 s9, vcc_lo
	s_cbranch_execz .LBB466_3765
; %bb.3764:                             ;   in Loop: Header=BB466_2335 Depth=1
	v_cmp_lt_i32_e64 s0, v130, v36
	s_delay_alu instid0(VALU_DEP_1) | instskip(SKIP_1) | instid1(VALU_DEP_1)
	v_cndmask_b32_e64 v4, 0, v4, s0
	v_cmp_lt_i32_e64 s0, v133, v36
	v_cndmask_b32_e64 v11, 0, v11, s0
	v_cmp_lt_i32_e64 s0, v132, v36
	s_delay_alu instid0(VALU_DEP_1) | instskip(SKIP_1) | instid1(VALU_DEP_1)
	v_cndmask_b32_e64 v17, 0, v17, s0
	v_cmp_lt_i32_e64 s0, v131, v36
	v_cndmask_b32_e64 v12, 0, v12, s0
	;; [unrolled: 5-line block ×4, first 2 shown]
.LBB466_3765:                           ;   in Loop: Header=BB466_2335 Depth=1
	s_or_b32 exec_lo, exec_lo, s9
	v_lshlrev_b32_e32 v4, 16, v4
                                        ; implicit-def: $vgpr121
	s_delay_alu instid0(VALU_DEP_1) | instskip(NEXT) | instid1(VALU_DEP_1)
	v_mul_f32_e32 v4, v134, v4
	v_and_b32_e32 v5, 0x7f800000, v4
	s_delay_alu instid0(VALU_DEP_1) | instskip(NEXT) | instid1(VALU_DEP_1)
	v_cmp_ne_u32_e64 s0, 0x7f800000, v5
	s_and_saveexec_b32 s9, s0
	s_delay_alu instid0(SALU_CYCLE_1)
	s_xor_b32 s0, exec_lo, s9
; %bb.3766:                             ;   in Loop: Header=BB466_2335 Depth=1
	v_bfe_u32 v5, v4, 16, 1
	s_delay_alu instid0(VALU_DEP_1)
	v_add3_u32 v121, v4, v5, 0x7fff
                                        ; implicit-def: $vgpr4
; %bb.3767:                             ;   in Loop: Header=BB466_2335 Depth=1
	s_and_not1_saveexec_b32 s9, s0
; %bb.3768:                             ;   in Loop: Header=BB466_2335 Depth=1
	v_and_b32_e32 v5, 0xffff, v4
	v_or_b32_e32 v10, 0x10000, v4
	s_delay_alu instid0(VALU_DEP_2) | instskip(NEXT) | instid1(VALU_DEP_1)
	v_cmp_eq_u32_e64 s0, 0, v5
	v_cndmask_b32_e64 v121, v10, v4, s0
; %bb.3769:                             ;   in Loop: Header=BB466_2335 Depth=1
	s_or_b32 exec_lo, exec_lo, s9
	v_lshlrev_b32_e32 v4, 16, v11
                                        ; implicit-def: $vgpr122
	s_delay_alu instid0(VALU_DEP_1) | instskip(NEXT) | instid1(VALU_DEP_1)
	v_mul_f32_e32 v4, v135, v4
	v_and_b32_e32 v5, 0x7f800000, v4
	s_delay_alu instid0(VALU_DEP_1) | instskip(NEXT) | instid1(VALU_DEP_1)
	v_cmp_ne_u32_e64 s0, 0x7f800000, v5
	s_and_saveexec_b32 s9, s0
	s_delay_alu instid0(SALU_CYCLE_1)
	s_xor_b32 s0, exec_lo, s9
; %bb.3770:                             ;   in Loop: Header=BB466_2335 Depth=1
	v_bfe_u32 v5, v4, 16, 1
	s_delay_alu instid0(VALU_DEP_1)
	v_add3_u32 v122, v4, v5, 0x7fff
                                        ; implicit-def: $vgpr4
; %bb.3771:                             ;   in Loop: Header=BB466_2335 Depth=1
	s_and_not1_saveexec_b32 s9, s0
; %bb.3772:                             ;   in Loop: Header=BB466_2335 Depth=1
	v_and_b32_e32 v5, 0xffff, v4
	v_or_b32_e32 v10, 0x10000, v4
	s_delay_alu instid0(VALU_DEP_2) | instskip(NEXT) | instid1(VALU_DEP_1)
	v_cmp_eq_u32_e64 s0, 0, v5
	v_cndmask_b32_e64 v122, v10, v4, s0
; %bb.3773:                             ;   in Loop: Header=BB466_2335 Depth=1
	s_or_b32 exec_lo, exec_lo, s9
	v_lshlrev_b32_e32 v4, 16, v17
                                        ; implicit-def: $vgpr123
	s_delay_alu instid0(VALU_DEP_1) | instskip(NEXT) | instid1(VALU_DEP_1)
	v_mul_f32_e32 v4, v144, v4
	v_and_b32_e32 v5, 0x7f800000, v4
	s_delay_alu instid0(VALU_DEP_1) | instskip(NEXT) | instid1(VALU_DEP_1)
	v_cmp_ne_u32_e64 s0, 0x7f800000, v5
	s_and_saveexec_b32 s9, s0
	s_delay_alu instid0(SALU_CYCLE_1)
	s_xor_b32 s0, exec_lo, s9
; %bb.3774:                             ;   in Loop: Header=BB466_2335 Depth=1
	v_bfe_u32 v5, v4, 16, 1
	s_delay_alu instid0(VALU_DEP_1)
	v_add3_u32 v123, v4, v5, 0x7fff
                                        ; implicit-def: $vgpr4
; %bb.3775:                             ;   in Loop: Header=BB466_2335 Depth=1
	s_and_not1_saveexec_b32 s9, s0
; %bb.3776:                             ;   in Loop: Header=BB466_2335 Depth=1
	v_and_b32_e32 v5, 0xffff, v4
	v_or_b32_e32 v10, 0x10000, v4
	s_delay_alu instid0(VALU_DEP_2) | instskip(NEXT) | instid1(VALU_DEP_1)
	v_cmp_eq_u32_e64 s0, 0, v5
	v_cndmask_b32_e64 v123, v10, v4, s0
; %bb.3777:                             ;   in Loop: Header=BB466_2335 Depth=1
	s_or_b32 exec_lo, exec_lo, s9
	v_lshlrev_b32_e32 v4, 16, v12
                                        ; implicit-def: $vgpr124
	s_delay_alu instid0(VALU_DEP_1) | instskip(NEXT) | instid1(VALU_DEP_1)
	v_mul_f32_e32 v4, v145, v4
	v_and_b32_e32 v5, 0x7f800000, v4
	s_delay_alu instid0(VALU_DEP_1) | instskip(NEXT) | instid1(VALU_DEP_1)
	v_cmp_ne_u32_e64 s0, 0x7f800000, v5
	s_and_saveexec_b32 s9, s0
	s_delay_alu instid0(SALU_CYCLE_1)
	s_xor_b32 s0, exec_lo, s9
; %bb.3778:                             ;   in Loop: Header=BB466_2335 Depth=1
	v_bfe_u32 v5, v4, 16, 1
	s_delay_alu instid0(VALU_DEP_1)
	v_add3_u32 v124, v4, v5, 0x7fff
                                        ; implicit-def: $vgpr4
; %bb.3779:                             ;   in Loop: Header=BB466_2335 Depth=1
	s_and_not1_saveexec_b32 s9, s0
; %bb.3780:                             ;   in Loop: Header=BB466_2335 Depth=1
	v_and_b32_e32 v5, 0xffff, v4
	v_or_b32_e32 v10, 0x10000, v4
	s_delay_alu instid0(VALU_DEP_2) | instskip(NEXT) | instid1(VALU_DEP_1)
	v_cmp_eq_u32_e64 s0, 0, v5
	v_cndmask_b32_e64 v124, v10, v4, s0
; %bb.3781:                             ;   in Loop: Header=BB466_2335 Depth=1
	s_or_b32 exec_lo, exec_lo, s9
	v_lshlrev_b32_e32 v4, 16, v9
                                        ; implicit-def: $vgpr125
	s_delay_alu instid0(VALU_DEP_1) | instskip(NEXT) | instid1(VALU_DEP_1)
	v_mul_f32_e32 v4, v146, v4
	v_and_b32_e32 v5, 0x7f800000, v4
	s_delay_alu instid0(VALU_DEP_1) | instskip(NEXT) | instid1(VALU_DEP_1)
	v_cmp_ne_u32_e64 s0, 0x7f800000, v5
	s_and_saveexec_b32 s9, s0
	s_delay_alu instid0(SALU_CYCLE_1)
	s_xor_b32 s0, exec_lo, s9
; %bb.3782:                             ;   in Loop: Header=BB466_2335 Depth=1
	v_bfe_u32 v5, v4, 16, 1
	s_delay_alu instid0(VALU_DEP_1)
	v_add3_u32 v125, v4, v5, 0x7fff
                                        ; implicit-def: $vgpr4
; %bb.3783:                             ;   in Loop: Header=BB466_2335 Depth=1
	s_and_not1_saveexec_b32 s9, s0
; %bb.3784:                             ;   in Loop: Header=BB466_2335 Depth=1
	v_and_b32_e32 v5, 0xffff, v4
	v_or_b32_e32 v9, 0x10000, v4
	s_delay_alu instid0(VALU_DEP_2) | instskip(NEXT) | instid1(VALU_DEP_1)
	v_cmp_eq_u32_e64 s0, 0, v5
	v_cndmask_b32_e64 v125, v9, v4, s0
; %bb.3785:                             ;   in Loop: Header=BB466_2335 Depth=1
	s_or_b32 exec_lo, exec_lo, s9
	v_lshlrev_b32_e32 v4, 16, v8
                                        ; implicit-def: $vgpr126
	s_delay_alu instid0(VALU_DEP_1) | instskip(NEXT) | instid1(VALU_DEP_1)
	v_mul_f32_e32 v4, v147, v4
	v_and_b32_e32 v5, 0x7f800000, v4
	s_delay_alu instid0(VALU_DEP_1) | instskip(NEXT) | instid1(VALU_DEP_1)
	v_cmp_ne_u32_e64 s0, 0x7f800000, v5
	s_and_saveexec_b32 s9, s0
	s_delay_alu instid0(SALU_CYCLE_1)
	s_xor_b32 s0, exec_lo, s9
; %bb.3786:                             ;   in Loop: Header=BB466_2335 Depth=1
	v_bfe_u32 v5, v4, 16, 1
	s_delay_alu instid0(VALU_DEP_1)
	v_add3_u32 v126, v4, v5, 0x7fff
                                        ; implicit-def: $vgpr4
; %bb.3787:                             ;   in Loop: Header=BB466_2335 Depth=1
	s_and_not1_saveexec_b32 s9, s0
; %bb.3788:                             ;   in Loop: Header=BB466_2335 Depth=1
	v_and_b32_e32 v5, 0xffff, v4
	v_or_b32_e32 v8, 0x10000, v4
	s_delay_alu instid0(VALU_DEP_2) | instskip(NEXT) | instid1(VALU_DEP_1)
	v_cmp_eq_u32_e64 s0, 0, v5
	v_cndmask_b32_e64 v126, v8, v4, s0
; %bb.3789:                             ;   in Loop: Header=BB466_2335 Depth=1
	s_or_b32 exec_lo, exec_lo, s9
	v_lshlrev_b32_e32 v4, 16, v7
                                        ; implicit-def: $vgpr127
	s_delay_alu instid0(VALU_DEP_1) | instskip(NEXT) | instid1(VALU_DEP_1)
	v_mul_f32_e32 v4, v148, v4
	v_and_b32_e32 v5, 0x7f800000, v4
	s_delay_alu instid0(VALU_DEP_1) | instskip(NEXT) | instid1(VALU_DEP_1)
	v_cmp_ne_u32_e64 s0, 0x7f800000, v5
	s_and_saveexec_b32 s9, s0
	s_delay_alu instid0(SALU_CYCLE_1)
	s_xor_b32 s0, exec_lo, s9
; %bb.3790:                             ;   in Loop: Header=BB466_2335 Depth=1
	v_bfe_u32 v5, v4, 16, 1
	s_delay_alu instid0(VALU_DEP_1)
	v_add3_u32 v127, v4, v5, 0x7fff
                                        ; implicit-def: $vgpr4
; %bb.3791:                             ;   in Loop: Header=BB466_2335 Depth=1
	s_and_not1_saveexec_b32 s9, s0
; %bb.3792:                             ;   in Loop: Header=BB466_2335 Depth=1
	v_and_b32_e32 v5, 0xffff, v4
	v_or_b32_e32 v7, 0x10000, v4
	s_delay_alu instid0(VALU_DEP_2) | instskip(NEXT) | instid1(VALU_DEP_1)
	v_cmp_eq_u32_e64 s0, 0, v5
	v_cndmask_b32_e64 v127, v7, v4, s0
; %bb.3793:                             ;   in Loop: Header=BB466_2335 Depth=1
	s_or_b32 exec_lo, exec_lo, s9
	v_lshlrev_b32_e32 v4, 16, v6
                                        ; implicit-def: $vgpr136
	s_delay_alu instid0(VALU_DEP_1) | instskip(NEXT) | instid1(VALU_DEP_1)
	v_mul_f32_e32 v4, v149, v4
	v_and_b32_e32 v5, 0x7f800000, v4
	s_delay_alu instid0(VALU_DEP_1) | instskip(NEXT) | instid1(VALU_DEP_1)
	v_cmp_ne_u32_e64 s0, 0x7f800000, v5
	s_and_saveexec_b32 s9, s0
	s_delay_alu instid0(SALU_CYCLE_1)
	s_xor_b32 s0, exec_lo, s9
; %bb.3794:                             ;   in Loop: Header=BB466_2335 Depth=1
	v_bfe_u32 v5, v4, 16, 1
	s_delay_alu instid0(VALU_DEP_1)
	v_add3_u32 v136, v4, v5, 0x7fff
                                        ; implicit-def: $vgpr4
; %bb.3795:                             ;   in Loop: Header=BB466_2335 Depth=1
	s_and_not1_saveexec_b32 s9, s0
; %bb.3796:                             ;   in Loop: Header=BB466_2335 Depth=1
	v_and_b32_e32 v5, 0xffff, v4
	v_or_b32_e32 v6, 0x10000, v4
	s_delay_alu instid0(VALU_DEP_2) | instskip(NEXT) | instid1(VALU_DEP_1)
	v_cmp_eq_u32_e64 s0, 0, v5
	v_cndmask_b32_e64 v136, v6, v4, s0
; %bb.3797:                             ;   in Loop: Header=BB466_2335 Depth=1
	s_or_b32 exec_lo, exec_lo, s9
	flat_load_b64 v[6:7], v[2:3] offset:2816
	s_mov_b32 s9, exec_lo
	s_waitcnt vmcnt(0) lgkmcnt(0)
	v_dual_mov_b32 v4, 0 :: v_dual_and_b32 v5, 0xff, v6
	s_delay_alu instid0(VALU_DEP_1)
	v_cmpx_ne_u16_e32 0, v5
	s_cbranch_execz .LBB466_3805
; %bb.3798:                             ;   in Loop: Header=BB466_2335 Depth=1
	v_bfrev_b32_e32 v4, 1
	s_mov_b32 s12, exec_lo
	v_cmpx_ne_u16_e32 0x80, v5
	s_cbranch_execz .LBB466_3804
; %bb.3799:                             ;   in Loop: Header=BB466_2335 Depth=1
	v_and_b32_e32 v5, 0x7f, v6
	v_mov_b32_e32 v4, 0x7f800001
	s_mov_b32 s13, exec_lo
	s_delay_alu instid0(VALU_DEP_2)
	v_cmpx_ne_u32_e32 0x7f, v5
	s_cbranch_execz .LBB466_3803
; %bb.3800:                             ;   in Loop: Header=BB466_2335 Depth=1
	v_lshrrev_b32_e32 v4, 3, v5
	v_dual_mov_b32 v9, v7 :: v_dual_mov_b32 v8, v6
	s_mov_b32 s15, exec_lo
	v_cmpx_gt_u32_e32 8, v5
; %bb.3801:                             ;   in Loop: Header=BB466_2335 Depth=1
	v_and_b32_e32 v4, 7, v6
	s_delay_alu instid0(VALU_DEP_1) | instskip(NEXT) | instid1(VALU_DEP_1)
	v_clz_i32_u32_e32 v4, v4
	v_min_u32_e32 v4, 32, v4
	s_delay_alu instid0(VALU_DEP_1) | instskip(SKIP_1) | instid1(VALU_DEP_2)
	v_subrev_nc_u32_e32 v5, 28, v4
	v_sub_nc_u32_e32 v4, 29, v4
	v_lshlrev_b64 v[8:9], v5, v[6:7]
; %bb.3802:                             ;   in Loop: Header=BB466_2335 Depth=1
	s_or_b32 exec_lo, exec_lo, s15
	s_delay_alu instid0(VALU_DEP_1) | instskip(SKIP_2) | instid1(VALU_DEP_3)
	v_lshlrev_b32_e32 v5, 20, v8
	v_lshlrev_b32_e32 v8, 24, v6
	v_lshl_add_u32 v4, v4, 23, 0x3c000000
	v_and_b32_e32 v5, 0x700000, v5
	s_delay_alu instid0(VALU_DEP_3) | instskip(NEXT) | instid1(VALU_DEP_1)
	v_and_b32_e32 v8, 0x80000000, v8
	v_or3_b32 v4, v5, v8, v4
.LBB466_3803:                           ;   in Loop: Header=BB466_2335 Depth=1
	s_or_b32 exec_lo, exec_lo, s13
.LBB466_3804:                           ;   in Loop: Header=BB466_2335 Depth=1
	s_delay_alu instid0(SALU_CYCLE_1)
	s_or_b32 exec_lo, exec_lo, s12
.LBB466_3805:                           ;   in Loop: Header=BB466_2335 Depth=1
	s_delay_alu instid0(SALU_CYCLE_1) | instskip(NEXT) | instid1(VALU_DEP_1)
	s_or_b32 exec_lo, exec_lo, s9
	v_mul_f32_e32 v4, v26, v4
                                        ; implicit-def: $vgpr10
	s_delay_alu instid0(VALU_DEP_1) | instskip(NEXT) | instid1(VALU_DEP_1)
	v_and_b32_e32 v5, 0x7f800000, v4
	v_cmp_ne_u32_e64 s0, 0x7f800000, v5
	s_delay_alu instid0(VALU_DEP_1) | instskip(NEXT) | instid1(SALU_CYCLE_1)
	s_and_saveexec_b32 s9, s0
	s_xor_b32 s0, exec_lo, s9
; %bb.3806:                             ;   in Loop: Header=BB466_2335 Depth=1
	v_bfe_u32 v5, v4, 16, 1
	s_delay_alu instid0(VALU_DEP_1)
	v_add3_u32 v10, v4, v5, 0x7fff
                                        ; implicit-def: $vgpr4
; %bb.3807:                             ;   in Loop: Header=BB466_2335 Depth=1
	s_and_not1_saveexec_b32 s9, s0
; %bb.3808:                             ;   in Loop: Header=BB466_2335 Depth=1
	v_and_b32_e32 v5, 0xffff, v4
	v_or_b32_e32 v8, 0x10000, v4
	s_delay_alu instid0(VALU_DEP_2) | instskip(NEXT) | instid1(VALU_DEP_1)
	v_cmp_eq_u32_e64 s0, 0, v5
	v_cndmask_b32_e64 v10, v8, v4, s0
; %bb.3809:                             ;   in Loop: Header=BB466_2335 Depth=1
	s_or_b32 exec_lo, exec_lo, s9
	v_lshrrev_b16 v5, 8, v6
	v_mov_b32_e32 v4, 0
	s_mov_b32 s9, exec_lo
	s_delay_alu instid0(VALU_DEP_2)
	v_cmpx_ne_u16_e32 0, v5
	s_cbranch_execz .LBB466_3817
; %bb.3810:                             ;   in Loop: Header=BB466_2335 Depth=1
	v_bfrev_b32_e32 v4, 1
	s_mov_b32 s12, exec_lo
	v_cmpx_ne_u16_e32 0x80, v5
	s_cbranch_execz .LBB466_3816
; %bb.3811:                             ;   in Loop: Header=BB466_2335 Depth=1
	v_and_b32_e32 v8, 0xffff, v5
	v_mov_b32_e32 v4, 0x7f800001
	s_mov_b32 s13, exec_lo
	s_delay_alu instid0(VALU_DEP_2) | instskip(NEXT) | instid1(VALU_DEP_1)
	v_and_b32_e32 v5, 0x7f, v8
	v_cmpx_ne_u32_e32 0x7f, v5
	s_cbranch_execz .LBB466_3815
; %bb.3812:                             ;   in Loop: Header=BB466_2335 Depth=1
	v_and_b32_e32 v12, 7, v8
	v_lshrrev_b32_e32 v4, 3, v5
	s_mov_b32 s15, exec_lo
	s_delay_alu instid0(VALU_DEP_2)
	v_dual_mov_b32 v8, v12 :: v_dual_mov_b32 v9, v13
	v_cmpx_gt_u32_e32 8, v5
; %bb.3813:                             ;   in Loop: Header=BB466_2335 Depth=1
	v_clz_i32_u32_e32 v4, v12
	s_delay_alu instid0(VALU_DEP_1) | instskip(NEXT) | instid1(VALU_DEP_1)
	v_min_u32_e32 v4, 32, v4
	v_subrev_nc_u32_e32 v5, 28, v4
	v_sub_nc_u32_e32 v4, 29, v4
	s_delay_alu instid0(VALU_DEP_2) | instskip(NEXT) | instid1(VALU_DEP_1)
	v_lshlrev_b64 v[8:9], v5, v[12:13]
	v_and_b32_e32 v8, 7, v8
; %bb.3814:                             ;   in Loop: Header=BB466_2335 Depth=1
	s_or_b32 exec_lo, exec_lo, s15
	v_lshlrev_b32_e32 v5, 16, v6
	s_delay_alu instid0(VALU_DEP_2) | instskip(SKIP_1) | instid1(VALU_DEP_3)
	v_lshlrev_b32_e32 v8, 20, v8
	v_lshl_add_u32 v4, v4, 23, 0x3c000000
	v_and_b32_e32 v5, 0x80000000, v5
	s_delay_alu instid0(VALU_DEP_1)
	v_or3_b32 v4, v8, v5, v4
.LBB466_3815:                           ;   in Loop: Header=BB466_2335 Depth=1
	s_or_b32 exec_lo, exec_lo, s13
.LBB466_3816:                           ;   in Loop: Header=BB466_2335 Depth=1
	s_delay_alu instid0(SALU_CYCLE_1)
	s_or_b32 exec_lo, exec_lo, s12
.LBB466_3817:                           ;   in Loop: Header=BB466_2335 Depth=1
	s_delay_alu instid0(SALU_CYCLE_1) | instskip(NEXT) | instid1(VALU_DEP_1)
	s_or_b32 exec_lo, exec_lo, s9
	v_mul_f32_e32 v4, v26, v4
                                        ; implicit-def: $vgpr11
	s_delay_alu instid0(VALU_DEP_1) | instskip(NEXT) | instid1(VALU_DEP_1)
	v_and_b32_e32 v5, 0x7f800000, v4
	v_cmp_ne_u32_e64 s0, 0x7f800000, v5
	s_delay_alu instid0(VALU_DEP_1) | instskip(NEXT) | instid1(SALU_CYCLE_1)
	s_and_saveexec_b32 s9, s0
	s_xor_b32 s0, exec_lo, s9
; %bb.3818:                             ;   in Loop: Header=BB466_2335 Depth=1
	v_bfe_u32 v5, v4, 16, 1
	s_delay_alu instid0(VALU_DEP_1)
	v_add3_u32 v11, v4, v5, 0x7fff
                                        ; implicit-def: $vgpr4
; %bb.3819:                             ;   in Loop: Header=BB466_2335 Depth=1
	s_and_not1_saveexec_b32 s9, s0
; %bb.3820:                             ;   in Loop: Header=BB466_2335 Depth=1
	v_and_b32_e32 v5, 0xffff, v4
	v_or_b32_e32 v8, 0x10000, v4
	s_delay_alu instid0(VALU_DEP_2) | instskip(NEXT) | instid1(VALU_DEP_1)
	v_cmp_eq_u32_e64 s0, 0, v5
	v_cndmask_b32_e64 v11, v8, v4, s0
; %bb.3821:                             ;   in Loop: Header=BB466_2335 Depth=1
	s_or_b32 exec_lo, exec_lo, s9
	v_lshrrev_b32_e32 v4, 16, v6
	s_mov_b32 s9, exec_lo
	s_delay_alu instid0(VALU_DEP_1) | instskip(NEXT) | instid1(VALU_DEP_1)
	v_dual_mov_b32 v8, 0 :: v_dual_and_b32 v5, 0xff, v4
	v_cmpx_ne_u16_e32 0, v5
	s_cbranch_execz .LBB466_3829
; %bb.3822:                             ;   in Loop: Header=BB466_2335 Depth=1
	v_bfrev_b32_e32 v8, 1
	s_mov_b32 s12, exec_lo
	v_cmpx_ne_u16_e32 0x80, v5
	s_cbranch_execz .LBB466_3828
; %bb.3823:                             ;   in Loop: Header=BB466_2335 Depth=1
	v_bfe_u32 v5, v6, 16, 7
	v_mov_b32_e32 v8, 0x7f800001
	s_mov_b32 s13, exec_lo
	s_delay_alu instid0(VALU_DEP_2)
	v_cmpx_ne_u32_e32 0x7f, v5
	s_cbranch_execz .LBB466_3827
; %bb.3824:                             ;   in Loop: Header=BB466_2335 Depth=1
	v_and_b32_e32 v12, 7, v4
	v_lshrrev_b32_e32 v17, 3, v5
	s_mov_b32 s15, exec_lo
	s_delay_alu instid0(VALU_DEP_2)
	v_dual_mov_b32 v8, v12 :: v_dual_mov_b32 v9, v13
	v_cmpx_gt_u32_e32 8, v5
; %bb.3825:                             ;   in Loop: Header=BB466_2335 Depth=1
	v_clz_i32_u32_e32 v5, v12
	s_delay_alu instid0(VALU_DEP_1) | instskip(NEXT) | instid1(VALU_DEP_1)
	v_min_u32_e32 v5, 32, v5
	v_subrev_nc_u32_e32 v8, 28, v5
	v_sub_nc_u32_e32 v17, 29, v5
	s_delay_alu instid0(VALU_DEP_2) | instskip(NEXT) | instid1(VALU_DEP_1)
	v_lshlrev_b64 v[8:9], v8, v[12:13]
	v_and_b32_e32 v8, 7, v8
; %bb.3826:                             ;   in Loop: Header=BB466_2335 Depth=1
	s_or_b32 exec_lo, exec_lo, s15
	v_lshlrev_b32_e32 v4, 24, v4
	s_delay_alu instid0(VALU_DEP_2) | instskip(SKIP_1) | instid1(VALU_DEP_3)
	v_lshlrev_b32_e32 v5, 20, v8
	v_lshl_add_u32 v8, v17, 23, 0x3c000000
	v_and_b32_e32 v4, 0x80000000, v4
	s_delay_alu instid0(VALU_DEP_1)
	v_or3_b32 v8, v5, v4, v8
.LBB466_3827:                           ;   in Loop: Header=BB466_2335 Depth=1
	s_or_b32 exec_lo, exec_lo, s13
.LBB466_3828:                           ;   in Loop: Header=BB466_2335 Depth=1
	s_delay_alu instid0(SALU_CYCLE_1)
	s_or_b32 exec_lo, exec_lo, s12
.LBB466_3829:                           ;   in Loop: Header=BB466_2335 Depth=1
	s_delay_alu instid0(SALU_CYCLE_1) | instskip(NEXT) | instid1(VALU_DEP_1)
	s_or_b32 exec_lo, exec_lo, s9
	v_mul_f32_e32 v4, v26, v8
                                        ; implicit-def: $vgpr17
	s_delay_alu instid0(VALU_DEP_1) | instskip(NEXT) | instid1(VALU_DEP_1)
	v_and_b32_e32 v5, 0x7f800000, v4
	v_cmp_ne_u32_e64 s0, 0x7f800000, v5
	s_delay_alu instid0(VALU_DEP_1) | instskip(NEXT) | instid1(SALU_CYCLE_1)
	s_and_saveexec_b32 s9, s0
	s_xor_b32 s0, exec_lo, s9
; %bb.3830:                             ;   in Loop: Header=BB466_2335 Depth=1
	v_bfe_u32 v5, v4, 16, 1
	s_delay_alu instid0(VALU_DEP_1)
	v_add3_u32 v17, v4, v5, 0x7fff
                                        ; implicit-def: $vgpr4
; %bb.3831:                             ;   in Loop: Header=BB466_2335 Depth=1
	s_and_not1_saveexec_b32 s9, s0
; %bb.3832:                             ;   in Loop: Header=BB466_2335 Depth=1
	v_and_b32_e32 v5, 0xffff, v4
	v_or_b32_e32 v8, 0x10000, v4
	s_delay_alu instid0(VALU_DEP_2) | instskip(NEXT) | instid1(VALU_DEP_1)
	v_cmp_eq_u32_e64 s0, 0, v5
	v_cndmask_b32_e64 v17, v8, v4, s0
; %bb.3833:                             ;   in Loop: Header=BB466_2335 Depth=1
	s_or_b32 exec_lo, exec_lo, s9
	v_mov_b32_e32 v8, 0
	s_mov_b32 s9, exec_lo
	v_cmpx_lt_u32_e32 0xffffff, v6
	s_cbranch_execz .LBB466_3841
; %bb.3834:                             ;   in Loop: Header=BB466_2335 Depth=1
	v_lshrrev_b32_e32 v4, 24, v6
	v_bfrev_b32_e32 v8, 1
	s_mov_b32 s12, exec_lo
	s_delay_alu instid0(VALU_DEP_2)
	v_cmpx_ne_u32_e32 0x80, v4
	s_cbranch_execz .LBB466_3840
; %bb.3835:                             ;   in Loop: Header=BB466_2335 Depth=1
	v_bfe_u32 v5, v6, 24, 7
	v_mov_b32_e32 v8, 0x7f800001
	s_mov_b32 s13, exec_lo
	s_delay_alu instid0(VALU_DEP_2)
	v_cmpx_ne_u32_e32 0x7f, v5
	s_cbranch_execz .LBB466_3839
; %bb.3836:                             ;   in Loop: Header=BB466_2335 Depth=1
	v_and_b32_e32 v12, 7, v4
	v_lshrrev_b32_e32 v18, 3, v5
	s_mov_b32 s15, exec_lo
	s_delay_alu instid0(VALU_DEP_2)
	v_dual_mov_b32 v8, v12 :: v_dual_mov_b32 v9, v13
	v_cmpx_gt_u32_e32 8, v5
; %bb.3837:                             ;   in Loop: Header=BB466_2335 Depth=1
	v_clz_i32_u32_e32 v5, v12
	s_delay_alu instid0(VALU_DEP_1) | instskip(NEXT) | instid1(VALU_DEP_1)
	v_min_u32_e32 v5, 32, v5
	v_subrev_nc_u32_e32 v8, 28, v5
	v_sub_nc_u32_e32 v18, 29, v5
	s_delay_alu instid0(VALU_DEP_2) | instskip(NEXT) | instid1(VALU_DEP_1)
	v_lshlrev_b64 v[8:9], v8, v[12:13]
	v_and_b32_e32 v8, 7, v8
; %bb.3838:                             ;   in Loop: Header=BB466_2335 Depth=1
	s_or_b32 exec_lo, exec_lo, s15
	v_lshlrev_b32_e32 v4, 24, v4
	s_delay_alu instid0(VALU_DEP_2) | instskip(SKIP_1) | instid1(VALU_DEP_3)
	v_lshlrev_b32_e32 v5, 20, v8
	v_lshl_add_u32 v8, v18, 23, 0x3c000000
	v_and_b32_e32 v4, 0x80000000, v4
	s_delay_alu instid0(VALU_DEP_1)
	v_or3_b32 v8, v5, v4, v8
.LBB466_3839:                           ;   in Loop: Header=BB466_2335 Depth=1
	s_or_b32 exec_lo, exec_lo, s13
.LBB466_3840:                           ;   in Loop: Header=BB466_2335 Depth=1
	s_delay_alu instid0(SALU_CYCLE_1)
	s_or_b32 exec_lo, exec_lo, s12
.LBB466_3841:                           ;   in Loop: Header=BB466_2335 Depth=1
	s_delay_alu instid0(SALU_CYCLE_1) | instskip(NEXT) | instid1(VALU_DEP_1)
	s_or_b32 exec_lo, exec_lo, s9
	v_mul_f32_e32 v4, v26, v8
                                        ; implicit-def: $vgpr18
	s_delay_alu instid0(VALU_DEP_1) | instskip(NEXT) | instid1(VALU_DEP_1)
	v_and_b32_e32 v5, 0x7f800000, v4
	v_cmp_ne_u32_e64 s0, 0x7f800000, v5
	s_delay_alu instid0(VALU_DEP_1) | instskip(NEXT) | instid1(SALU_CYCLE_1)
	s_and_saveexec_b32 s9, s0
	s_xor_b32 s0, exec_lo, s9
; %bb.3842:                             ;   in Loop: Header=BB466_2335 Depth=1
	v_bfe_u32 v5, v4, 16, 1
	s_delay_alu instid0(VALU_DEP_1)
	v_add3_u32 v18, v4, v5, 0x7fff
                                        ; implicit-def: $vgpr4
; %bb.3843:                             ;   in Loop: Header=BB466_2335 Depth=1
	s_and_not1_saveexec_b32 s9, s0
; %bb.3844:                             ;   in Loop: Header=BB466_2335 Depth=1
	v_and_b32_e32 v5, 0xffff, v4
	v_or_b32_e32 v8, 0x10000, v4
	s_delay_alu instid0(VALU_DEP_2) | instskip(NEXT) | instid1(VALU_DEP_1)
	v_cmp_eq_u32_e64 s0, 0, v5
	v_cndmask_b32_e64 v18, v8, v4, s0
; %bb.3845:                             ;   in Loop: Header=BB466_2335 Depth=1
	s_or_b32 exec_lo, exec_lo, s9
	v_dual_mov_b32 v12, v7 :: v_dual_and_b32 v5, 0xff, v7
	v_mov_b32_e32 v4, 0
	s_mov_b32 s9, exec_lo
	s_delay_alu instid0(VALU_DEP_2)
	v_cmpx_ne_u16_e32 0, v5
	s_cbranch_execz .LBB466_3853
; %bb.3846:                             ;   in Loop: Header=BB466_2335 Depth=1
	v_bfrev_b32_e32 v4, 1
	s_mov_b32 s12, exec_lo
	v_cmpx_ne_u16_e32 0x80, v5
	s_cbranch_execz .LBB466_3852
; %bb.3847:                             ;   in Loop: Header=BB466_2335 Depth=1
	v_and_b32_e32 v5, 0x7f, v7
	v_mov_b32_e32 v4, 0x7f800001
	s_mov_b32 s13, exec_lo
	s_delay_alu instid0(VALU_DEP_2)
	v_cmpx_ne_u32_e32 0x7f, v5
	s_cbranch_execz .LBB466_3851
; %bb.3848:                             ;   in Loop: Header=BB466_2335 Depth=1
	v_lshrrev_b32_e32 v4, 3, v5
	v_dual_mov_b32 v8, v12 :: v_dual_mov_b32 v9, v13
	s_mov_b32 s15, exec_lo
	v_cmpx_gt_u32_e32 8, v5
; %bb.3849:                             ;   in Loop: Header=BB466_2335 Depth=1
	v_and_b32_e32 v4, 7, v7
	s_delay_alu instid0(VALU_DEP_1) | instskip(NEXT) | instid1(VALU_DEP_1)
	v_clz_i32_u32_e32 v4, v4
	v_min_u32_e32 v4, 32, v4
	s_delay_alu instid0(VALU_DEP_1) | instskip(SKIP_1) | instid1(VALU_DEP_2)
	v_subrev_nc_u32_e32 v5, 28, v4
	v_sub_nc_u32_e32 v4, 29, v4
	v_lshlrev_b64 v[8:9], v5, v[12:13]
; %bb.3850:                             ;   in Loop: Header=BB466_2335 Depth=1
	s_or_b32 exec_lo, exec_lo, s15
	s_delay_alu instid0(VALU_DEP_1) | instskip(SKIP_2) | instid1(VALU_DEP_3)
	v_lshlrev_b32_e32 v5, 20, v8
	v_lshlrev_b32_e32 v8, 24, v12
	v_lshl_add_u32 v4, v4, 23, 0x3c000000
	v_and_b32_e32 v5, 0x700000, v5
	s_delay_alu instid0(VALU_DEP_3) | instskip(NEXT) | instid1(VALU_DEP_1)
	v_and_b32_e32 v8, 0x80000000, v8
	v_or3_b32 v4, v5, v8, v4
.LBB466_3851:                           ;   in Loop: Header=BB466_2335 Depth=1
	s_or_b32 exec_lo, exec_lo, s13
.LBB466_3852:                           ;   in Loop: Header=BB466_2335 Depth=1
	s_delay_alu instid0(SALU_CYCLE_1)
	s_or_b32 exec_lo, exec_lo, s12
.LBB466_3853:                           ;   in Loop: Header=BB466_2335 Depth=1
	s_delay_alu instid0(SALU_CYCLE_1) | instskip(NEXT) | instid1(VALU_DEP_1)
	s_or_b32 exec_lo, exec_lo, s9
	v_mul_f32_e32 v4, v26, v4
                                        ; implicit-def: $vgpr19
	s_delay_alu instid0(VALU_DEP_1) | instskip(NEXT) | instid1(VALU_DEP_1)
	v_and_b32_e32 v5, 0x7f800000, v4
	v_cmp_ne_u32_e64 s0, 0x7f800000, v5
	s_delay_alu instid0(VALU_DEP_1) | instskip(NEXT) | instid1(SALU_CYCLE_1)
	s_and_saveexec_b32 s9, s0
	s_xor_b32 s0, exec_lo, s9
; %bb.3854:                             ;   in Loop: Header=BB466_2335 Depth=1
	v_bfe_u32 v5, v4, 16, 1
	s_delay_alu instid0(VALU_DEP_1)
	v_add3_u32 v19, v4, v5, 0x7fff
                                        ; implicit-def: $vgpr4
; %bb.3855:                             ;   in Loop: Header=BB466_2335 Depth=1
	s_and_not1_saveexec_b32 s9, s0
; %bb.3856:                             ;   in Loop: Header=BB466_2335 Depth=1
	v_and_b32_e32 v5, 0xffff, v4
	v_or_b32_e32 v8, 0x10000, v4
	s_delay_alu instid0(VALU_DEP_2) | instskip(NEXT) | instid1(VALU_DEP_1)
	v_cmp_eq_u32_e64 s0, 0, v5
	v_cndmask_b32_e64 v19, v8, v4, s0
; %bb.3857:                             ;   in Loop: Header=BB466_2335 Depth=1
	s_or_b32 exec_lo, exec_lo, s9
	v_lshrrev_b16 v5, 8, v12
	v_mov_b32_e32 v4, 0
	s_mov_b32 s9, exec_lo
	s_delay_alu instid0(VALU_DEP_2)
	v_cmpx_ne_u16_e32 0, v5
	s_cbranch_execz .LBB466_3865
; %bb.3858:                             ;   in Loop: Header=BB466_2335 Depth=1
	v_bfrev_b32_e32 v4, 1
	s_mov_b32 s12, exec_lo
	v_cmpx_ne_u16_e32 0x80, v5
	s_cbranch_execz .LBB466_3864
; %bb.3859:                             ;   in Loop: Header=BB466_2335 Depth=1
	v_and_b32_e32 v8, 0xffff, v5
	v_mov_b32_e32 v4, 0x7f800001
	s_mov_b32 s13, exec_lo
	s_delay_alu instid0(VALU_DEP_2) | instskip(NEXT) | instid1(VALU_DEP_1)
	v_and_b32_e32 v5, 0x7f, v8
	v_cmpx_ne_u32_e32 0x7f, v5
	s_cbranch_execz .LBB466_3863
; %bb.3860:                             ;   in Loop: Header=BB466_2335 Depth=1
	v_dual_mov_b32 v9, v13 :: v_dual_and_b32 v8, 7, v8
	v_lshrrev_b32_e32 v4, 3, v5
	s_mov_b32 s15, exec_lo
	v_cmpx_gt_u32_e32 8, v5
; %bb.3861:                             ;   in Loop: Header=BB466_2335 Depth=1
	s_delay_alu instid0(VALU_DEP_3) | instskip(NEXT) | instid1(VALU_DEP_1)
	v_clz_i32_u32_e32 v4, v8
	v_min_u32_e32 v4, 32, v4
	s_delay_alu instid0(VALU_DEP_1) | instskip(SKIP_1) | instid1(VALU_DEP_2)
	v_subrev_nc_u32_e32 v5, 28, v4
	v_sub_nc_u32_e32 v4, 29, v4
	v_lshlrev_b64 v[8:9], v5, v[8:9]
	s_delay_alu instid0(VALU_DEP_1)
	v_and_b32_e32 v8, 7, v8
; %bb.3862:                             ;   in Loop: Header=BB466_2335 Depth=1
	s_or_b32 exec_lo, exec_lo, s15
	v_lshlrev_b32_e32 v5, 16, v12
	s_delay_alu instid0(VALU_DEP_2) | instskip(SKIP_1) | instid1(VALU_DEP_3)
	v_lshlrev_b32_e32 v8, 20, v8
	v_lshl_add_u32 v4, v4, 23, 0x3c000000
	v_and_b32_e32 v5, 0x80000000, v5
	s_delay_alu instid0(VALU_DEP_1)
	v_or3_b32 v4, v8, v5, v4
.LBB466_3863:                           ;   in Loop: Header=BB466_2335 Depth=1
	s_or_b32 exec_lo, exec_lo, s13
.LBB466_3864:                           ;   in Loop: Header=BB466_2335 Depth=1
	s_delay_alu instid0(SALU_CYCLE_1)
	s_or_b32 exec_lo, exec_lo, s12
.LBB466_3865:                           ;   in Loop: Header=BB466_2335 Depth=1
	s_delay_alu instid0(SALU_CYCLE_1) | instskip(NEXT) | instid1(VALU_DEP_1)
	s_or_b32 exec_lo, exec_lo, s9
	v_mul_f32_e32 v4, v26, v4
                                        ; implicit-def: $vgpr20
	s_delay_alu instid0(VALU_DEP_1) | instskip(NEXT) | instid1(VALU_DEP_1)
	v_and_b32_e32 v5, 0x7f800000, v4
	v_cmp_ne_u32_e64 s0, 0x7f800000, v5
	s_delay_alu instid0(VALU_DEP_1) | instskip(NEXT) | instid1(SALU_CYCLE_1)
	s_and_saveexec_b32 s9, s0
	s_xor_b32 s0, exec_lo, s9
; %bb.3866:                             ;   in Loop: Header=BB466_2335 Depth=1
	v_bfe_u32 v5, v4, 16, 1
	s_delay_alu instid0(VALU_DEP_1)
	v_add3_u32 v20, v4, v5, 0x7fff
                                        ; implicit-def: $vgpr4
; %bb.3867:                             ;   in Loop: Header=BB466_2335 Depth=1
	s_and_not1_saveexec_b32 s9, s0
; %bb.3868:                             ;   in Loop: Header=BB466_2335 Depth=1
	v_and_b32_e32 v5, 0xffff, v4
	v_or_b32_e32 v8, 0x10000, v4
	s_delay_alu instid0(VALU_DEP_2) | instskip(NEXT) | instid1(VALU_DEP_1)
	v_cmp_eq_u32_e64 s0, 0, v5
	v_cndmask_b32_e64 v20, v8, v4, s0
; %bb.3869:                             ;   in Loop: Header=BB466_2335 Depth=1
	s_or_b32 exec_lo, exec_lo, s9
	v_lshrrev_b32_e32 v4, 16, v7
	s_mov_b32 s9, exec_lo
	s_delay_alu instid0(VALU_DEP_1) | instskip(NEXT) | instid1(VALU_DEP_1)
	v_dual_mov_b32 v8, 0 :: v_dual_and_b32 v5, 0xff, v4
	v_cmpx_ne_u16_e32 0, v5
	s_cbranch_execz .LBB466_3877
; %bb.3870:                             ;   in Loop: Header=BB466_2335 Depth=1
	v_bfrev_b32_e32 v8, 1
	s_mov_b32 s12, exec_lo
	v_cmpx_ne_u16_e32 0x80, v5
	s_cbranch_execz .LBB466_3876
; %bb.3871:                             ;   in Loop: Header=BB466_2335 Depth=1
	v_bfe_u32 v5, v7, 16, 7
	v_mov_b32_e32 v8, 0x7f800001
	s_mov_b32 s13, exec_lo
	s_delay_alu instid0(VALU_DEP_2)
	v_cmpx_ne_u32_e32 0x7f, v5
	s_cbranch_execz .LBB466_3875
; %bb.3872:                             ;   in Loop: Header=BB466_2335 Depth=1
	v_and_b32_e32 v12, 7, v4
	v_lshrrev_b32_e32 v22, 3, v5
	s_mov_b32 s15, exec_lo
	s_delay_alu instid0(VALU_DEP_2)
	v_dual_mov_b32 v8, v12 :: v_dual_mov_b32 v9, v13
	v_cmpx_gt_u32_e32 8, v5
; %bb.3873:                             ;   in Loop: Header=BB466_2335 Depth=1
	v_clz_i32_u32_e32 v5, v12
	s_delay_alu instid0(VALU_DEP_1) | instskip(NEXT) | instid1(VALU_DEP_1)
	v_min_u32_e32 v5, 32, v5
	v_subrev_nc_u32_e32 v8, 28, v5
	v_sub_nc_u32_e32 v22, 29, v5
	s_delay_alu instid0(VALU_DEP_2) | instskip(NEXT) | instid1(VALU_DEP_1)
	v_lshlrev_b64 v[8:9], v8, v[12:13]
	v_and_b32_e32 v8, 7, v8
; %bb.3874:                             ;   in Loop: Header=BB466_2335 Depth=1
	s_or_b32 exec_lo, exec_lo, s15
	v_lshlrev_b32_e32 v4, 24, v4
	s_delay_alu instid0(VALU_DEP_2) | instskip(SKIP_1) | instid1(VALU_DEP_3)
	v_lshlrev_b32_e32 v5, 20, v8
	v_lshl_add_u32 v8, v22, 23, 0x3c000000
	v_and_b32_e32 v4, 0x80000000, v4
	s_delay_alu instid0(VALU_DEP_1)
	v_or3_b32 v8, v5, v4, v8
.LBB466_3875:                           ;   in Loop: Header=BB466_2335 Depth=1
	s_or_b32 exec_lo, exec_lo, s13
.LBB466_3876:                           ;   in Loop: Header=BB466_2335 Depth=1
	s_delay_alu instid0(SALU_CYCLE_1)
	s_or_b32 exec_lo, exec_lo, s12
.LBB466_3877:                           ;   in Loop: Header=BB466_2335 Depth=1
	s_delay_alu instid0(SALU_CYCLE_1) | instskip(NEXT) | instid1(VALU_DEP_1)
	s_or_b32 exec_lo, exec_lo, s9
	v_mul_f32_e32 v4, v26, v8
                                        ; implicit-def: $vgpr22
	s_delay_alu instid0(VALU_DEP_1) | instskip(NEXT) | instid1(VALU_DEP_1)
	v_and_b32_e32 v5, 0x7f800000, v4
	v_cmp_ne_u32_e64 s0, 0x7f800000, v5
	s_delay_alu instid0(VALU_DEP_1) | instskip(NEXT) | instid1(SALU_CYCLE_1)
	s_and_saveexec_b32 s9, s0
	s_xor_b32 s0, exec_lo, s9
; %bb.3878:                             ;   in Loop: Header=BB466_2335 Depth=1
	v_bfe_u32 v5, v4, 16, 1
	s_delay_alu instid0(VALU_DEP_1)
	v_add3_u32 v22, v4, v5, 0x7fff
                                        ; implicit-def: $vgpr4
; %bb.3879:                             ;   in Loop: Header=BB466_2335 Depth=1
	s_and_not1_saveexec_b32 s9, s0
; %bb.3880:                             ;   in Loop: Header=BB466_2335 Depth=1
	v_and_b32_e32 v5, 0xffff, v4
	v_or_b32_e32 v8, 0x10000, v4
	s_delay_alu instid0(VALU_DEP_2) | instskip(NEXT) | instid1(VALU_DEP_1)
	v_cmp_eq_u32_e64 s0, 0, v5
	v_cndmask_b32_e64 v22, v8, v4, s0
; %bb.3881:                             ;   in Loop: Header=BB466_2335 Depth=1
	s_or_b32 exec_lo, exec_lo, s9
	v_cmp_lt_u64_e64 s0, s[2:3], v[6:7]
	v_mov_b32_e32 v6, 0
	s_delay_alu instid0(VALU_DEP_2)
	s_and_saveexec_b32 s9, s0
	s_cbranch_execz .LBB466_3889
; %bb.3882:                             ;   in Loop: Header=BB466_2335 Depth=1
	v_lshrrev_b32_e32 v4, 24, v7
	v_bfrev_b32_e32 v6, 1
	s_mov_b32 s12, exec_lo
	s_delay_alu instid0(VALU_DEP_2)
	v_cmpx_ne_u32_e32 0x80, v4
	s_cbranch_execz .LBB466_3888
; %bb.3883:                             ;   in Loop: Header=BB466_2335 Depth=1
	v_bfe_u32 v5, v7, 24, 7
	v_mov_b32_e32 v6, 0x7f800001
	s_mov_b32 s13, exec_lo
	s_delay_alu instid0(VALU_DEP_2)
	v_cmpx_ne_u32_e32 0x7f, v5
	s_cbranch_execz .LBB466_3887
; %bb.3884:                             ;   in Loop: Header=BB466_2335 Depth=1
	v_and_b32_e32 v12, 7, v4
	v_lshrrev_b32_e32 v8, 3, v5
	s_mov_b32 s15, exec_lo
	s_delay_alu instid0(VALU_DEP_2)
	v_dual_mov_b32 v6, v12 :: v_dual_mov_b32 v7, v13
	v_cmpx_gt_u32_e32 8, v5
; %bb.3885:                             ;   in Loop: Header=BB466_2335 Depth=1
	v_clz_i32_u32_e32 v5, v12
	s_delay_alu instid0(VALU_DEP_1) | instskip(NEXT) | instid1(VALU_DEP_1)
	v_min_u32_e32 v7, 32, v5
	v_subrev_nc_u32_e32 v5, 28, v7
	v_sub_nc_u32_e32 v8, 29, v7
	s_delay_alu instid0(VALU_DEP_2) | instskip(NEXT) | instid1(VALU_DEP_1)
	v_lshlrev_b64 v[5:6], v5, v[12:13]
	v_and_b32_e32 v6, 7, v5
; %bb.3886:                             ;   in Loop: Header=BB466_2335 Depth=1
	s_or_b32 exec_lo, exec_lo, s15
	v_lshlrev_b32_e32 v4, 24, v4
	s_delay_alu instid0(VALU_DEP_2) | instskip(SKIP_1) | instid1(VALU_DEP_3)
	v_lshlrev_b32_e32 v5, 20, v6
	v_lshl_add_u32 v6, v8, 23, 0x3c000000
	v_and_b32_e32 v4, 0x80000000, v4
	s_delay_alu instid0(VALU_DEP_1)
	v_or3_b32 v6, v5, v4, v6
.LBB466_3887:                           ;   in Loop: Header=BB466_2335 Depth=1
	s_or_b32 exec_lo, exec_lo, s13
.LBB466_3888:                           ;   in Loop: Header=BB466_2335 Depth=1
	s_delay_alu instid0(SALU_CYCLE_1)
	s_or_b32 exec_lo, exec_lo, s12
.LBB466_3889:                           ;   in Loop: Header=BB466_2335 Depth=1
	s_delay_alu instid0(SALU_CYCLE_1) | instskip(NEXT) | instid1(VALU_DEP_1)
	s_or_b32 exec_lo, exec_lo, s9
	v_mul_f32_e32 v4, v26, v6
                                        ; implicit-def: $vgpr6
	s_delay_alu instid0(VALU_DEP_1) | instskip(NEXT) | instid1(VALU_DEP_1)
	v_and_b32_e32 v5, 0x7f800000, v4
	v_cmp_ne_u32_e64 s0, 0x7f800000, v5
	s_delay_alu instid0(VALU_DEP_1) | instskip(NEXT) | instid1(SALU_CYCLE_1)
	s_and_saveexec_b32 s9, s0
	s_xor_b32 s0, exec_lo, s9
; %bb.3890:                             ;   in Loop: Header=BB466_2335 Depth=1
	v_bfe_u32 v5, v4, 16, 1
	s_delay_alu instid0(VALU_DEP_1)
	v_add3_u32 v6, v4, v5, 0x7fff
                                        ; implicit-def: $vgpr4
; %bb.3891:                             ;   in Loop: Header=BB466_2335 Depth=1
	s_and_not1_saveexec_b32 s9, s0
; %bb.3892:                             ;   in Loop: Header=BB466_2335 Depth=1
	v_and_b32_e32 v5, 0xffff, v4
	v_or_b32_e32 v6, 0x10000, v4
	s_delay_alu instid0(VALU_DEP_2) | instskip(NEXT) | instid1(VALU_DEP_1)
	v_cmp_eq_u32_e64 s0, 0, v5
	v_cndmask_b32_e64 v6, v6, v4, s0
; %bb.3893:                             ;   in Loop: Header=BB466_2335 Depth=1
	s_or_b32 exec_lo, exec_lo, s9
	v_lshrrev_b32_e32 v8, 16, v20
	v_lshrrev_b32_e32 v9, 16, v19
	;; [unrolled: 1-line block ×8, first 2 shown]
	s_and_saveexec_b32 s9, vcc_lo
	s_cbranch_execz .LBB466_3895
; %bb.3894:                             ;   in Loop: Header=BB466_2335 Depth=1
	v_cmp_lt_i32_e64 s0, v130, v36
	s_delay_alu instid0(VALU_DEP_1) | instskip(SKIP_1) | instid1(VALU_DEP_1)
	v_cndmask_b32_e64 v4, 0, v4, s0
	v_cmp_lt_i32_e64 s0, v133, v36
	v_cndmask_b32_e64 v11, 0, v11, s0
	v_cmp_lt_i32_e64 s0, v132, v36
	s_delay_alu instid0(VALU_DEP_1) | instskip(SKIP_1) | instid1(VALU_DEP_1)
	v_cndmask_b32_e64 v17, 0, v17, s0
	v_cmp_lt_i32_e64 s0, v131, v36
	v_cndmask_b32_e64 v12, 0, v12, s0
	;; [unrolled: 5-line block ×4, first 2 shown]
.LBB466_3895:                           ;   in Loop: Header=BB466_2335 Depth=1
	s_or_b32 exec_lo, exec_lo, s9
	v_lshlrev_b32_e32 v4, 16, v4
                                        ; implicit-def: $vgpr137
	s_delay_alu instid0(VALU_DEP_1) | instskip(NEXT) | instid1(VALU_DEP_1)
	v_mul_f32_e32 v4, v134, v4
	v_and_b32_e32 v5, 0x7f800000, v4
	s_delay_alu instid0(VALU_DEP_1) | instskip(NEXT) | instid1(VALU_DEP_1)
	v_cmp_ne_u32_e64 s0, 0x7f800000, v5
	s_and_saveexec_b32 s9, s0
	s_delay_alu instid0(SALU_CYCLE_1)
	s_xor_b32 s0, exec_lo, s9
; %bb.3896:                             ;   in Loop: Header=BB466_2335 Depth=1
	v_bfe_u32 v5, v4, 16, 1
	s_delay_alu instid0(VALU_DEP_1)
	v_add3_u32 v137, v4, v5, 0x7fff
                                        ; implicit-def: $vgpr4
; %bb.3897:                             ;   in Loop: Header=BB466_2335 Depth=1
	s_and_not1_saveexec_b32 s9, s0
; %bb.3898:                             ;   in Loop: Header=BB466_2335 Depth=1
	v_and_b32_e32 v5, 0xffff, v4
	v_or_b32_e32 v10, 0x10000, v4
	s_delay_alu instid0(VALU_DEP_2) | instskip(NEXT) | instid1(VALU_DEP_1)
	v_cmp_eq_u32_e64 s0, 0, v5
	v_cndmask_b32_e64 v137, v10, v4, s0
; %bb.3899:                             ;   in Loop: Header=BB466_2335 Depth=1
	s_or_b32 exec_lo, exec_lo, s9
	v_lshlrev_b32_e32 v4, 16, v11
                                        ; implicit-def: $vgpr138
	s_delay_alu instid0(VALU_DEP_1) | instskip(NEXT) | instid1(VALU_DEP_1)
	v_mul_f32_e32 v4, v135, v4
	v_and_b32_e32 v5, 0x7f800000, v4
	s_delay_alu instid0(VALU_DEP_1) | instskip(NEXT) | instid1(VALU_DEP_1)
	v_cmp_ne_u32_e64 s0, 0x7f800000, v5
	s_and_saveexec_b32 s9, s0
	s_delay_alu instid0(SALU_CYCLE_1)
	s_xor_b32 s0, exec_lo, s9
; %bb.3900:                             ;   in Loop: Header=BB466_2335 Depth=1
	v_bfe_u32 v5, v4, 16, 1
	s_delay_alu instid0(VALU_DEP_1)
	v_add3_u32 v138, v4, v5, 0x7fff
                                        ; implicit-def: $vgpr4
; %bb.3901:                             ;   in Loop: Header=BB466_2335 Depth=1
	s_and_not1_saveexec_b32 s9, s0
; %bb.3902:                             ;   in Loop: Header=BB466_2335 Depth=1
	v_and_b32_e32 v5, 0xffff, v4
	v_or_b32_e32 v10, 0x10000, v4
	s_delay_alu instid0(VALU_DEP_2) | instskip(NEXT) | instid1(VALU_DEP_1)
	v_cmp_eq_u32_e64 s0, 0, v5
	v_cndmask_b32_e64 v138, v10, v4, s0
; %bb.3903:                             ;   in Loop: Header=BB466_2335 Depth=1
	s_or_b32 exec_lo, exec_lo, s9
	v_lshlrev_b32_e32 v4, 16, v17
                                        ; implicit-def: $vgpr139
	s_delay_alu instid0(VALU_DEP_1) | instskip(NEXT) | instid1(VALU_DEP_1)
	v_mul_f32_e32 v4, v144, v4
	v_and_b32_e32 v5, 0x7f800000, v4
	s_delay_alu instid0(VALU_DEP_1) | instskip(NEXT) | instid1(VALU_DEP_1)
	v_cmp_ne_u32_e64 s0, 0x7f800000, v5
	s_and_saveexec_b32 s9, s0
	s_delay_alu instid0(SALU_CYCLE_1)
	s_xor_b32 s0, exec_lo, s9
; %bb.3904:                             ;   in Loop: Header=BB466_2335 Depth=1
	v_bfe_u32 v5, v4, 16, 1
	s_delay_alu instid0(VALU_DEP_1)
	v_add3_u32 v139, v4, v5, 0x7fff
                                        ; implicit-def: $vgpr4
; %bb.3905:                             ;   in Loop: Header=BB466_2335 Depth=1
	s_and_not1_saveexec_b32 s9, s0
; %bb.3906:                             ;   in Loop: Header=BB466_2335 Depth=1
	v_and_b32_e32 v5, 0xffff, v4
	v_or_b32_e32 v10, 0x10000, v4
	s_delay_alu instid0(VALU_DEP_2) | instskip(NEXT) | instid1(VALU_DEP_1)
	v_cmp_eq_u32_e64 s0, 0, v5
	v_cndmask_b32_e64 v139, v10, v4, s0
; %bb.3907:                             ;   in Loop: Header=BB466_2335 Depth=1
	s_or_b32 exec_lo, exec_lo, s9
	v_lshlrev_b32_e32 v4, 16, v12
                                        ; implicit-def: $vgpr140
	s_delay_alu instid0(VALU_DEP_1) | instskip(NEXT) | instid1(VALU_DEP_1)
	v_mul_f32_e32 v4, v145, v4
	v_and_b32_e32 v5, 0x7f800000, v4
	s_delay_alu instid0(VALU_DEP_1) | instskip(NEXT) | instid1(VALU_DEP_1)
	v_cmp_ne_u32_e64 s0, 0x7f800000, v5
	s_and_saveexec_b32 s9, s0
	s_delay_alu instid0(SALU_CYCLE_1)
	s_xor_b32 s0, exec_lo, s9
; %bb.3908:                             ;   in Loop: Header=BB466_2335 Depth=1
	v_bfe_u32 v5, v4, 16, 1
	s_delay_alu instid0(VALU_DEP_1)
	v_add3_u32 v140, v4, v5, 0x7fff
                                        ; implicit-def: $vgpr4
; %bb.3909:                             ;   in Loop: Header=BB466_2335 Depth=1
	s_and_not1_saveexec_b32 s9, s0
; %bb.3910:                             ;   in Loop: Header=BB466_2335 Depth=1
	v_and_b32_e32 v5, 0xffff, v4
	v_or_b32_e32 v10, 0x10000, v4
	s_delay_alu instid0(VALU_DEP_2) | instskip(NEXT) | instid1(VALU_DEP_1)
	v_cmp_eq_u32_e64 s0, 0, v5
	v_cndmask_b32_e64 v140, v10, v4, s0
; %bb.3911:                             ;   in Loop: Header=BB466_2335 Depth=1
	s_or_b32 exec_lo, exec_lo, s9
	v_lshlrev_b32_e32 v4, 16, v9
                                        ; implicit-def: $vgpr141
	s_delay_alu instid0(VALU_DEP_1) | instskip(NEXT) | instid1(VALU_DEP_1)
	v_mul_f32_e32 v4, v146, v4
	v_and_b32_e32 v5, 0x7f800000, v4
	s_delay_alu instid0(VALU_DEP_1) | instskip(NEXT) | instid1(VALU_DEP_1)
	v_cmp_ne_u32_e64 s0, 0x7f800000, v5
	s_and_saveexec_b32 s9, s0
	s_delay_alu instid0(SALU_CYCLE_1)
	s_xor_b32 s0, exec_lo, s9
; %bb.3912:                             ;   in Loop: Header=BB466_2335 Depth=1
	v_bfe_u32 v5, v4, 16, 1
	s_delay_alu instid0(VALU_DEP_1)
	v_add3_u32 v141, v4, v5, 0x7fff
                                        ; implicit-def: $vgpr4
; %bb.3913:                             ;   in Loop: Header=BB466_2335 Depth=1
	s_and_not1_saveexec_b32 s9, s0
; %bb.3914:                             ;   in Loop: Header=BB466_2335 Depth=1
	v_and_b32_e32 v5, 0xffff, v4
	v_or_b32_e32 v9, 0x10000, v4
	s_delay_alu instid0(VALU_DEP_2) | instskip(NEXT) | instid1(VALU_DEP_1)
	v_cmp_eq_u32_e64 s0, 0, v5
	v_cndmask_b32_e64 v141, v9, v4, s0
; %bb.3915:                             ;   in Loop: Header=BB466_2335 Depth=1
	s_or_b32 exec_lo, exec_lo, s9
	v_lshlrev_b32_e32 v4, 16, v8
                                        ; implicit-def: $vgpr142
	s_delay_alu instid0(VALU_DEP_1) | instskip(NEXT) | instid1(VALU_DEP_1)
	v_mul_f32_e32 v4, v147, v4
	v_and_b32_e32 v5, 0x7f800000, v4
	s_delay_alu instid0(VALU_DEP_1) | instskip(NEXT) | instid1(VALU_DEP_1)
	v_cmp_ne_u32_e64 s0, 0x7f800000, v5
	s_and_saveexec_b32 s9, s0
	s_delay_alu instid0(SALU_CYCLE_1)
	s_xor_b32 s0, exec_lo, s9
; %bb.3916:                             ;   in Loop: Header=BB466_2335 Depth=1
	v_bfe_u32 v5, v4, 16, 1
	s_delay_alu instid0(VALU_DEP_1)
	v_add3_u32 v142, v4, v5, 0x7fff
                                        ; implicit-def: $vgpr4
; %bb.3917:                             ;   in Loop: Header=BB466_2335 Depth=1
	s_and_not1_saveexec_b32 s9, s0
; %bb.3918:                             ;   in Loop: Header=BB466_2335 Depth=1
	v_and_b32_e32 v5, 0xffff, v4
	v_or_b32_e32 v8, 0x10000, v4
	s_delay_alu instid0(VALU_DEP_2) | instskip(NEXT) | instid1(VALU_DEP_1)
	v_cmp_eq_u32_e64 s0, 0, v5
	v_cndmask_b32_e64 v142, v8, v4, s0
; %bb.3919:                             ;   in Loop: Header=BB466_2335 Depth=1
	s_or_b32 exec_lo, exec_lo, s9
	v_lshlrev_b32_e32 v4, 16, v7
                                        ; implicit-def: $vgpr143
	s_delay_alu instid0(VALU_DEP_1) | instskip(NEXT) | instid1(VALU_DEP_1)
	v_mul_f32_e32 v4, v148, v4
	v_and_b32_e32 v5, 0x7f800000, v4
	s_delay_alu instid0(VALU_DEP_1) | instskip(NEXT) | instid1(VALU_DEP_1)
	v_cmp_ne_u32_e64 s0, 0x7f800000, v5
	s_and_saveexec_b32 s9, s0
	s_delay_alu instid0(SALU_CYCLE_1)
	s_xor_b32 s0, exec_lo, s9
; %bb.3920:                             ;   in Loop: Header=BB466_2335 Depth=1
	v_bfe_u32 v5, v4, 16, 1
	s_delay_alu instid0(VALU_DEP_1)
	v_add3_u32 v143, v4, v5, 0x7fff
                                        ; implicit-def: $vgpr4
; %bb.3921:                             ;   in Loop: Header=BB466_2335 Depth=1
	s_and_not1_saveexec_b32 s9, s0
; %bb.3922:                             ;   in Loop: Header=BB466_2335 Depth=1
	v_and_b32_e32 v5, 0xffff, v4
	v_or_b32_e32 v7, 0x10000, v4
	s_delay_alu instid0(VALU_DEP_2) | instskip(NEXT) | instid1(VALU_DEP_1)
	v_cmp_eq_u32_e64 s0, 0, v5
	v_cndmask_b32_e64 v143, v7, v4, s0
; %bb.3923:                             ;   in Loop: Header=BB466_2335 Depth=1
	s_or_b32 exec_lo, exec_lo, s9
	v_lshlrev_b32_e32 v4, 16, v6
                                        ; implicit-def: $vgpr152
	s_delay_alu instid0(VALU_DEP_1) | instskip(NEXT) | instid1(VALU_DEP_1)
	v_mul_f32_e32 v4, v149, v4
	v_and_b32_e32 v5, 0x7f800000, v4
	s_delay_alu instid0(VALU_DEP_1) | instskip(NEXT) | instid1(VALU_DEP_1)
	v_cmp_ne_u32_e64 s0, 0x7f800000, v5
	s_and_saveexec_b32 s9, s0
	s_delay_alu instid0(SALU_CYCLE_1)
	s_xor_b32 s0, exec_lo, s9
; %bb.3924:                             ;   in Loop: Header=BB466_2335 Depth=1
	v_bfe_u32 v5, v4, 16, 1
	s_delay_alu instid0(VALU_DEP_1)
	v_add3_u32 v152, v4, v5, 0x7fff
                                        ; implicit-def: $vgpr4
; %bb.3925:                             ;   in Loop: Header=BB466_2335 Depth=1
	s_and_not1_saveexec_b32 s9, s0
; %bb.3926:                             ;   in Loop: Header=BB466_2335 Depth=1
	v_and_b32_e32 v5, 0xffff, v4
	v_or_b32_e32 v6, 0x10000, v4
	s_delay_alu instid0(VALU_DEP_2) | instskip(NEXT) | instid1(VALU_DEP_1)
	v_cmp_eq_u32_e64 s0, 0, v5
	v_cndmask_b32_e64 v152, v6, v4, s0
; %bb.3927:                             ;   in Loop: Header=BB466_2335 Depth=1
	s_or_b32 exec_lo, exec_lo, s9
	flat_load_b64 v[6:7], v[2:3] offset:3072
	s_mov_b32 s9, exec_lo
	s_waitcnt vmcnt(0) lgkmcnt(0)
	v_dual_mov_b32 v4, 0 :: v_dual_and_b32 v5, 0xff, v6
	s_delay_alu instid0(VALU_DEP_1)
	v_cmpx_ne_u16_e32 0, v5
	s_cbranch_execz .LBB466_3935
; %bb.3928:                             ;   in Loop: Header=BB466_2335 Depth=1
	v_bfrev_b32_e32 v4, 1
	s_mov_b32 s12, exec_lo
	v_cmpx_ne_u16_e32 0x80, v5
	s_cbranch_execz .LBB466_3934
; %bb.3929:                             ;   in Loop: Header=BB466_2335 Depth=1
	v_and_b32_e32 v5, 0x7f, v6
	v_mov_b32_e32 v4, 0x7f800001
	s_mov_b32 s13, exec_lo
	s_delay_alu instid0(VALU_DEP_2)
	v_cmpx_ne_u32_e32 0x7f, v5
	s_cbranch_execz .LBB466_3933
; %bb.3930:                             ;   in Loop: Header=BB466_2335 Depth=1
	v_lshrrev_b32_e32 v4, 3, v5
	v_dual_mov_b32 v9, v7 :: v_dual_mov_b32 v8, v6
	s_mov_b32 s15, exec_lo
	v_cmpx_gt_u32_e32 8, v5
; %bb.3931:                             ;   in Loop: Header=BB466_2335 Depth=1
	v_and_b32_e32 v4, 7, v6
	s_delay_alu instid0(VALU_DEP_1) | instskip(NEXT) | instid1(VALU_DEP_1)
	v_clz_i32_u32_e32 v4, v4
	v_min_u32_e32 v4, 32, v4
	s_delay_alu instid0(VALU_DEP_1) | instskip(SKIP_1) | instid1(VALU_DEP_2)
	v_subrev_nc_u32_e32 v5, 28, v4
	v_sub_nc_u32_e32 v4, 29, v4
	v_lshlrev_b64 v[8:9], v5, v[6:7]
; %bb.3932:                             ;   in Loop: Header=BB466_2335 Depth=1
	s_or_b32 exec_lo, exec_lo, s15
	s_delay_alu instid0(VALU_DEP_1) | instskip(SKIP_2) | instid1(VALU_DEP_3)
	v_lshlrev_b32_e32 v5, 20, v8
	v_lshlrev_b32_e32 v8, 24, v6
	v_lshl_add_u32 v4, v4, 23, 0x3c000000
	v_and_b32_e32 v5, 0x700000, v5
	s_delay_alu instid0(VALU_DEP_3) | instskip(NEXT) | instid1(VALU_DEP_1)
	v_and_b32_e32 v8, 0x80000000, v8
	v_or3_b32 v4, v5, v8, v4
.LBB466_3933:                           ;   in Loop: Header=BB466_2335 Depth=1
	s_or_b32 exec_lo, exec_lo, s13
.LBB466_3934:                           ;   in Loop: Header=BB466_2335 Depth=1
	s_delay_alu instid0(SALU_CYCLE_1)
	s_or_b32 exec_lo, exec_lo, s12
.LBB466_3935:                           ;   in Loop: Header=BB466_2335 Depth=1
	s_delay_alu instid0(SALU_CYCLE_1) | instskip(NEXT) | instid1(VALU_DEP_1)
	s_or_b32 exec_lo, exec_lo, s9
	v_mul_f32_e32 v4, v26, v4
                                        ; implicit-def: $vgpr10
	s_delay_alu instid0(VALU_DEP_1) | instskip(NEXT) | instid1(VALU_DEP_1)
	v_and_b32_e32 v5, 0x7f800000, v4
	v_cmp_ne_u32_e64 s0, 0x7f800000, v5
	s_delay_alu instid0(VALU_DEP_1) | instskip(NEXT) | instid1(SALU_CYCLE_1)
	s_and_saveexec_b32 s9, s0
	s_xor_b32 s0, exec_lo, s9
; %bb.3936:                             ;   in Loop: Header=BB466_2335 Depth=1
	v_bfe_u32 v5, v4, 16, 1
	s_delay_alu instid0(VALU_DEP_1)
	v_add3_u32 v10, v4, v5, 0x7fff
                                        ; implicit-def: $vgpr4
; %bb.3937:                             ;   in Loop: Header=BB466_2335 Depth=1
	s_and_not1_saveexec_b32 s9, s0
; %bb.3938:                             ;   in Loop: Header=BB466_2335 Depth=1
	v_and_b32_e32 v5, 0xffff, v4
	v_or_b32_e32 v8, 0x10000, v4
	s_delay_alu instid0(VALU_DEP_2) | instskip(NEXT) | instid1(VALU_DEP_1)
	v_cmp_eq_u32_e64 s0, 0, v5
	v_cndmask_b32_e64 v10, v8, v4, s0
; %bb.3939:                             ;   in Loop: Header=BB466_2335 Depth=1
	s_or_b32 exec_lo, exec_lo, s9
	v_lshrrev_b16 v5, 8, v6
	v_mov_b32_e32 v4, 0
	s_mov_b32 s9, exec_lo
	s_delay_alu instid0(VALU_DEP_2)
	v_cmpx_ne_u16_e32 0, v5
	s_cbranch_execz .LBB466_3947
; %bb.3940:                             ;   in Loop: Header=BB466_2335 Depth=1
	v_bfrev_b32_e32 v4, 1
	s_mov_b32 s12, exec_lo
	v_cmpx_ne_u16_e32 0x80, v5
	s_cbranch_execz .LBB466_3946
; %bb.3941:                             ;   in Loop: Header=BB466_2335 Depth=1
	v_and_b32_e32 v8, 0xffff, v5
	v_mov_b32_e32 v4, 0x7f800001
	s_mov_b32 s13, exec_lo
	s_delay_alu instid0(VALU_DEP_2) | instskip(NEXT) | instid1(VALU_DEP_1)
	v_and_b32_e32 v5, 0x7f, v8
	v_cmpx_ne_u32_e32 0x7f, v5
	s_cbranch_execz .LBB466_3945
; %bb.3942:                             ;   in Loop: Header=BB466_2335 Depth=1
	v_and_b32_e32 v12, 7, v8
	v_lshrrev_b32_e32 v4, 3, v5
	s_mov_b32 s15, exec_lo
	s_delay_alu instid0(VALU_DEP_2)
	v_dual_mov_b32 v8, v12 :: v_dual_mov_b32 v9, v13
	v_cmpx_gt_u32_e32 8, v5
; %bb.3943:                             ;   in Loop: Header=BB466_2335 Depth=1
	v_clz_i32_u32_e32 v4, v12
	s_delay_alu instid0(VALU_DEP_1) | instskip(NEXT) | instid1(VALU_DEP_1)
	v_min_u32_e32 v4, 32, v4
	v_subrev_nc_u32_e32 v5, 28, v4
	v_sub_nc_u32_e32 v4, 29, v4
	s_delay_alu instid0(VALU_DEP_2) | instskip(NEXT) | instid1(VALU_DEP_1)
	v_lshlrev_b64 v[8:9], v5, v[12:13]
	v_and_b32_e32 v8, 7, v8
; %bb.3944:                             ;   in Loop: Header=BB466_2335 Depth=1
	s_or_b32 exec_lo, exec_lo, s15
	v_lshlrev_b32_e32 v5, 16, v6
	s_delay_alu instid0(VALU_DEP_2) | instskip(SKIP_1) | instid1(VALU_DEP_3)
	v_lshlrev_b32_e32 v8, 20, v8
	v_lshl_add_u32 v4, v4, 23, 0x3c000000
	v_and_b32_e32 v5, 0x80000000, v5
	s_delay_alu instid0(VALU_DEP_1)
	v_or3_b32 v4, v8, v5, v4
.LBB466_3945:                           ;   in Loop: Header=BB466_2335 Depth=1
	s_or_b32 exec_lo, exec_lo, s13
.LBB466_3946:                           ;   in Loop: Header=BB466_2335 Depth=1
	s_delay_alu instid0(SALU_CYCLE_1)
	s_or_b32 exec_lo, exec_lo, s12
.LBB466_3947:                           ;   in Loop: Header=BB466_2335 Depth=1
	s_delay_alu instid0(SALU_CYCLE_1) | instskip(NEXT) | instid1(VALU_DEP_1)
	s_or_b32 exec_lo, exec_lo, s9
	v_mul_f32_e32 v4, v26, v4
                                        ; implicit-def: $vgpr11
	s_delay_alu instid0(VALU_DEP_1) | instskip(NEXT) | instid1(VALU_DEP_1)
	v_and_b32_e32 v5, 0x7f800000, v4
	v_cmp_ne_u32_e64 s0, 0x7f800000, v5
	s_delay_alu instid0(VALU_DEP_1) | instskip(NEXT) | instid1(SALU_CYCLE_1)
	s_and_saveexec_b32 s9, s0
	s_xor_b32 s0, exec_lo, s9
; %bb.3948:                             ;   in Loop: Header=BB466_2335 Depth=1
	v_bfe_u32 v5, v4, 16, 1
	s_delay_alu instid0(VALU_DEP_1)
	v_add3_u32 v11, v4, v5, 0x7fff
                                        ; implicit-def: $vgpr4
; %bb.3949:                             ;   in Loop: Header=BB466_2335 Depth=1
	s_and_not1_saveexec_b32 s9, s0
; %bb.3950:                             ;   in Loop: Header=BB466_2335 Depth=1
	v_and_b32_e32 v5, 0xffff, v4
	v_or_b32_e32 v8, 0x10000, v4
	s_delay_alu instid0(VALU_DEP_2) | instskip(NEXT) | instid1(VALU_DEP_1)
	v_cmp_eq_u32_e64 s0, 0, v5
	v_cndmask_b32_e64 v11, v8, v4, s0
; %bb.3951:                             ;   in Loop: Header=BB466_2335 Depth=1
	s_or_b32 exec_lo, exec_lo, s9
	v_lshrrev_b32_e32 v4, 16, v6
	s_mov_b32 s9, exec_lo
	s_delay_alu instid0(VALU_DEP_1) | instskip(NEXT) | instid1(VALU_DEP_1)
	v_dual_mov_b32 v8, 0 :: v_dual_and_b32 v5, 0xff, v4
	v_cmpx_ne_u16_e32 0, v5
	s_cbranch_execz .LBB466_3959
; %bb.3952:                             ;   in Loop: Header=BB466_2335 Depth=1
	v_bfrev_b32_e32 v8, 1
	s_mov_b32 s12, exec_lo
	v_cmpx_ne_u16_e32 0x80, v5
	s_cbranch_execz .LBB466_3958
; %bb.3953:                             ;   in Loop: Header=BB466_2335 Depth=1
	v_bfe_u32 v5, v6, 16, 7
	v_mov_b32_e32 v8, 0x7f800001
	s_mov_b32 s13, exec_lo
	s_delay_alu instid0(VALU_DEP_2)
	v_cmpx_ne_u32_e32 0x7f, v5
	s_cbranch_execz .LBB466_3957
; %bb.3954:                             ;   in Loop: Header=BB466_2335 Depth=1
	v_and_b32_e32 v12, 7, v4
	v_lshrrev_b32_e32 v17, 3, v5
	s_mov_b32 s15, exec_lo
	s_delay_alu instid0(VALU_DEP_2)
	v_dual_mov_b32 v8, v12 :: v_dual_mov_b32 v9, v13
	v_cmpx_gt_u32_e32 8, v5
; %bb.3955:                             ;   in Loop: Header=BB466_2335 Depth=1
	v_clz_i32_u32_e32 v5, v12
	s_delay_alu instid0(VALU_DEP_1) | instskip(NEXT) | instid1(VALU_DEP_1)
	v_min_u32_e32 v5, 32, v5
	v_subrev_nc_u32_e32 v8, 28, v5
	v_sub_nc_u32_e32 v17, 29, v5
	s_delay_alu instid0(VALU_DEP_2) | instskip(NEXT) | instid1(VALU_DEP_1)
	v_lshlrev_b64 v[8:9], v8, v[12:13]
	v_and_b32_e32 v8, 7, v8
; %bb.3956:                             ;   in Loop: Header=BB466_2335 Depth=1
	s_or_b32 exec_lo, exec_lo, s15
	v_lshlrev_b32_e32 v4, 24, v4
	s_delay_alu instid0(VALU_DEP_2) | instskip(SKIP_1) | instid1(VALU_DEP_3)
	v_lshlrev_b32_e32 v5, 20, v8
	v_lshl_add_u32 v8, v17, 23, 0x3c000000
	v_and_b32_e32 v4, 0x80000000, v4
	s_delay_alu instid0(VALU_DEP_1)
	v_or3_b32 v8, v5, v4, v8
.LBB466_3957:                           ;   in Loop: Header=BB466_2335 Depth=1
	s_or_b32 exec_lo, exec_lo, s13
.LBB466_3958:                           ;   in Loop: Header=BB466_2335 Depth=1
	s_delay_alu instid0(SALU_CYCLE_1)
	s_or_b32 exec_lo, exec_lo, s12
.LBB466_3959:                           ;   in Loop: Header=BB466_2335 Depth=1
	s_delay_alu instid0(SALU_CYCLE_1) | instskip(NEXT) | instid1(VALU_DEP_1)
	s_or_b32 exec_lo, exec_lo, s9
	v_mul_f32_e32 v4, v26, v8
                                        ; implicit-def: $vgpr17
	s_delay_alu instid0(VALU_DEP_1) | instskip(NEXT) | instid1(VALU_DEP_1)
	v_and_b32_e32 v5, 0x7f800000, v4
	v_cmp_ne_u32_e64 s0, 0x7f800000, v5
	s_delay_alu instid0(VALU_DEP_1) | instskip(NEXT) | instid1(SALU_CYCLE_1)
	s_and_saveexec_b32 s9, s0
	s_xor_b32 s0, exec_lo, s9
; %bb.3960:                             ;   in Loop: Header=BB466_2335 Depth=1
	v_bfe_u32 v5, v4, 16, 1
	s_delay_alu instid0(VALU_DEP_1)
	v_add3_u32 v17, v4, v5, 0x7fff
                                        ; implicit-def: $vgpr4
; %bb.3961:                             ;   in Loop: Header=BB466_2335 Depth=1
	s_and_not1_saveexec_b32 s9, s0
; %bb.3962:                             ;   in Loop: Header=BB466_2335 Depth=1
	v_and_b32_e32 v5, 0xffff, v4
	v_or_b32_e32 v8, 0x10000, v4
	s_delay_alu instid0(VALU_DEP_2) | instskip(NEXT) | instid1(VALU_DEP_1)
	v_cmp_eq_u32_e64 s0, 0, v5
	v_cndmask_b32_e64 v17, v8, v4, s0
; %bb.3963:                             ;   in Loop: Header=BB466_2335 Depth=1
	s_or_b32 exec_lo, exec_lo, s9
	v_mov_b32_e32 v8, 0
	s_mov_b32 s9, exec_lo
	v_cmpx_lt_u32_e32 0xffffff, v6
	s_cbranch_execz .LBB466_3971
; %bb.3964:                             ;   in Loop: Header=BB466_2335 Depth=1
	v_lshrrev_b32_e32 v4, 24, v6
	v_bfrev_b32_e32 v8, 1
	s_mov_b32 s12, exec_lo
	s_delay_alu instid0(VALU_DEP_2)
	v_cmpx_ne_u32_e32 0x80, v4
	s_cbranch_execz .LBB466_3970
; %bb.3965:                             ;   in Loop: Header=BB466_2335 Depth=1
	v_bfe_u32 v5, v6, 24, 7
	v_mov_b32_e32 v8, 0x7f800001
	s_mov_b32 s13, exec_lo
	s_delay_alu instid0(VALU_DEP_2)
	v_cmpx_ne_u32_e32 0x7f, v5
	s_cbranch_execz .LBB466_3969
; %bb.3966:                             ;   in Loop: Header=BB466_2335 Depth=1
	v_and_b32_e32 v12, 7, v4
	v_lshrrev_b32_e32 v18, 3, v5
	s_mov_b32 s15, exec_lo
	s_delay_alu instid0(VALU_DEP_2)
	v_dual_mov_b32 v8, v12 :: v_dual_mov_b32 v9, v13
	v_cmpx_gt_u32_e32 8, v5
; %bb.3967:                             ;   in Loop: Header=BB466_2335 Depth=1
	v_clz_i32_u32_e32 v5, v12
	s_delay_alu instid0(VALU_DEP_1) | instskip(NEXT) | instid1(VALU_DEP_1)
	v_min_u32_e32 v5, 32, v5
	v_subrev_nc_u32_e32 v8, 28, v5
	v_sub_nc_u32_e32 v18, 29, v5
	s_delay_alu instid0(VALU_DEP_2) | instskip(NEXT) | instid1(VALU_DEP_1)
	v_lshlrev_b64 v[8:9], v8, v[12:13]
	v_and_b32_e32 v8, 7, v8
; %bb.3968:                             ;   in Loop: Header=BB466_2335 Depth=1
	s_or_b32 exec_lo, exec_lo, s15
	v_lshlrev_b32_e32 v4, 24, v4
	s_delay_alu instid0(VALU_DEP_2) | instskip(SKIP_1) | instid1(VALU_DEP_3)
	v_lshlrev_b32_e32 v5, 20, v8
	v_lshl_add_u32 v8, v18, 23, 0x3c000000
	v_and_b32_e32 v4, 0x80000000, v4
	s_delay_alu instid0(VALU_DEP_1)
	v_or3_b32 v8, v5, v4, v8
.LBB466_3969:                           ;   in Loop: Header=BB466_2335 Depth=1
	s_or_b32 exec_lo, exec_lo, s13
.LBB466_3970:                           ;   in Loop: Header=BB466_2335 Depth=1
	s_delay_alu instid0(SALU_CYCLE_1)
	s_or_b32 exec_lo, exec_lo, s12
.LBB466_3971:                           ;   in Loop: Header=BB466_2335 Depth=1
	s_delay_alu instid0(SALU_CYCLE_1) | instskip(NEXT) | instid1(VALU_DEP_1)
	s_or_b32 exec_lo, exec_lo, s9
	v_mul_f32_e32 v4, v26, v8
                                        ; implicit-def: $vgpr18
	s_delay_alu instid0(VALU_DEP_1) | instskip(NEXT) | instid1(VALU_DEP_1)
	v_and_b32_e32 v5, 0x7f800000, v4
	v_cmp_ne_u32_e64 s0, 0x7f800000, v5
	s_delay_alu instid0(VALU_DEP_1) | instskip(NEXT) | instid1(SALU_CYCLE_1)
	s_and_saveexec_b32 s9, s0
	s_xor_b32 s0, exec_lo, s9
; %bb.3972:                             ;   in Loop: Header=BB466_2335 Depth=1
	v_bfe_u32 v5, v4, 16, 1
	s_delay_alu instid0(VALU_DEP_1)
	v_add3_u32 v18, v4, v5, 0x7fff
                                        ; implicit-def: $vgpr4
; %bb.3973:                             ;   in Loop: Header=BB466_2335 Depth=1
	s_and_not1_saveexec_b32 s9, s0
; %bb.3974:                             ;   in Loop: Header=BB466_2335 Depth=1
	v_and_b32_e32 v5, 0xffff, v4
	v_or_b32_e32 v8, 0x10000, v4
	s_delay_alu instid0(VALU_DEP_2) | instskip(NEXT) | instid1(VALU_DEP_1)
	v_cmp_eq_u32_e64 s0, 0, v5
	v_cndmask_b32_e64 v18, v8, v4, s0
; %bb.3975:                             ;   in Loop: Header=BB466_2335 Depth=1
	s_or_b32 exec_lo, exec_lo, s9
	v_dual_mov_b32 v12, v7 :: v_dual_and_b32 v5, 0xff, v7
	v_mov_b32_e32 v4, 0
	s_mov_b32 s9, exec_lo
	s_delay_alu instid0(VALU_DEP_2)
	v_cmpx_ne_u16_e32 0, v5
	s_cbranch_execz .LBB466_3983
; %bb.3976:                             ;   in Loop: Header=BB466_2335 Depth=1
	v_bfrev_b32_e32 v4, 1
	s_mov_b32 s12, exec_lo
	v_cmpx_ne_u16_e32 0x80, v5
	s_cbranch_execz .LBB466_3982
; %bb.3977:                             ;   in Loop: Header=BB466_2335 Depth=1
	v_and_b32_e32 v5, 0x7f, v7
	v_mov_b32_e32 v4, 0x7f800001
	s_mov_b32 s13, exec_lo
	s_delay_alu instid0(VALU_DEP_2)
	v_cmpx_ne_u32_e32 0x7f, v5
	s_cbranch_execz .LBB466_3981
; %bb.3978:                             ;   in Loop: Header=BB466_2335 Depth=1
	v_lshrrev_b32_e32 v4, 3, v5
	v_dual_mov_b32 v8, v12 :: v_dual_mov_b32 v9, v13
	s_mov_b32 s15, exec_lo
	v_cmpx_gt_u32_e32 8, v5
; %bb.3979:                             ;   in Loop: Header=BB466_2335 Depth=1
	v_and_b32_e32 v4, 7, v7
	s_delay_alu instid0(VALU_DEP_1) | instskip(NEXT) | instid1(VALU_DEP_1)
	v_clz_i32_u32_e32 v4, v4
	v_min_u32_e32 v4, 32, v4
	s_delay_alu instid0(VALU_DEP_1) | instskip(SKIP_1) | instid1(VALU_DEP_2)
	v_subrev_nc_u32_e32 v5, 28, v4
	v_sub_nc_u32_e32 v4, 29, v4
	v_lshlrev_b64 v[8:9], v5, v[12:13]
; %bb.3980:                             ;   in Loop: Header=BB466_2335 Depth=1
	s_or_b32 exec_lo, exec_lo, s15
	s_delay_alu instid0(VALU_DEP_1) | instskip(SKIP_2) | instid1(VALU_DEP_3)
	v_lshlrev_b32_e32 v5, 20, v8
	v_lshlrev_b32_e32 v8, 24, v12
	v_lshl_add_u32 v4, v4, 23, 0x3c000000
	v_and_b32_e32 v5, 0x700000, v5
	s_delay_alu instid0(VALU_DEP_3) | instskip(NEXT) | instid1(VALU_DEP_1)
	v_and_b32_e32 v8, 0x80000000, v8
	v_or3_b32 v4, v5, v8, v4
.LBB466_3981:                           ;   in Loop: Header=BB466_2335 Depth=1
	s_or_b32 exec_lo, exec_lo, s13
.LBB466_3982:                           ;   in Loop: Header=BB466_2335 Depth=1
	s_delay_alu instid0(SALU_CYCLE_1)
	s_or_b32 exec_lo, exec_lo, s12
.LBB466_3983:                           ;   in Loop: Header=BB466_2335 Depth=1
	s_delay_alu instid0(SALU_CYCLE_1) | instskip(NEXT) | instid1(VALU_DEP_1)
	s_or_b32 exec_lo, exec_lo, s9
	v_mul_f32_e32 v4, v26, v4
                                        ; implicit-def: $vgpr19
	s_delay_alu instid0(VALU_DEP_1) | instskip(NEXT) | instid1(VALU_DEP_1)
	v_and_b32_e32 v5, 0x7f800000, v4
	v_cmp_ne_u32_e64 s0, 0x7f800000, v5
	s_delay_alu instid0(VALU_DEP_1) | instskip(NEXT) | instid1(SALU_CYCLE_1)
	s_and_saveexec_b32 s9, s0
	s_xor_b32 s0, exec_lo, s9
; %bb.3984:                             ;   in Loop: Header=BB466_2335 Depth=1
	v_bfe_u32 v5, v4, 16, 1
	s_delay_alu instid0(VALU_DEP_1)
	v_add3_u32 v19, v4, v5, 0x7fff
                                        ; implicit-def: $vgpr4
; %bb.3985:                             ;   in Loop: Header=BB466_2335 Depth=1
	s_and_not1_saveexec_b32 s9, s0
; %bb.3986:                             ;   in Loop: Header=BB466_2335 Depth=1
	v_and_b32_e32 v5, 0xffff, v4
	v_or_b32_e32 v8, 0x10000, v4
	s_delay_alu instid0(VALU_DEP_2) | instskip(NEXT) | instid1(VALU_DEP_1)
	v_cmp_eq_u32_e64 s0, 0, v5
	v_cndmask_b32_e64 v19, v8, v4, s0
; %bb.3987:                             ;   in Loop: Header=BB466_2335 Depth=1
	s_or_b32 exec_lo, exec_lo, s9
	v_lshrrev_b16 v5, 8, v12
	v_mov_b32_e32 v4, 0
	s_mov_b32 s9, exec_lo
	s_delay_alu instid0(VALU_DEP_2)
	v_cmpx_ne_u16_e32 0, v5
	s_cbranch_execz .LBB466_3995
; %bb.3988:                             ;   in Loop: Header=BB466_2335 Depth=1
	v_bfrev_b32_e32 v4, 1
	s_mov_b32 s12, exec_lo
	v_cmpx_ne_u16_e32 0x80, v5
	s_cbranch_execz .LBB466_3994
; %bb.3989:                             ;   in Loop: Header=BB466_2335 Depth=1
	v_and_b32_e32 v8, 0xffff, v5
	v_mov_b32_e32 v4, 0x7f800001
	s_mov_b32 s13, exec_lo
	s_delay_alu instid0(VALU_DEP_2) | instskip(NEXT) | instid1(VALU_DEP_1)
	v_and_b32_e32 v5, 0x7f, v8
	v_cmpx_ne_u32_e32 0x7f, v5
	s_cbranch_execz .LBB466_3993
; %bb.3990:                             ;   in Loop: Header=BB466_2335 Depth=1
	v_dual_mov_b32 v9, v13 :: v_dual_and_b32 v8, 7, v8
	v_lshrrev_b32_e32 v4, 3, v5
	s_mov_b32 s15, exec_lo
	v_cmpx_gt_u32_e32 8, v5
; %bb.3991:                             ;   in Loop: Header=BB466_2335 Depth=1
	s_delay_alu instid0(VALU_DEP_3) | instskip(NEXT) | instid1(VALU_DEP_1)
	v_clz_i32_u32_e32 v4, v8
	v_min_u32_e32 v4, 32, v4
	s_delay_alu instid0(VALU_DEP_1) | instskip(SKIP_1) | instid1(VALU_DEP_2)
	v_subrev_nc_u32_e32 v5, 28, v4
	v_sub_nc_u32_e32 v4, 29, v4
	v_lshlrev_b64 v[8:9], v5, v[8:9]
	s_delay_alu instid0(VALU_DEP_1)
	v_and_b32_e32 v8, 7, v8
; %bb.3992:                             ;   in Loop: Header=BB466_2335 Depth=1
	s_or_b32 exec_lo, exec_lo, s15
	v_lshlrev_b32_e32 v5, 16, v12
	s_delay_alu instid0(VALU_DEP_2) | instskip(SKIP_1) | instid1(VALU_DEP_3)
	v_lshlrev_b32_e32 v8, 20, v8
	v_lshl_add_u32 v4, v4, 23, 0x3c000000
	v_and_b32_e32 v5, 0x80000000, v5
	s_delay_alu instid0(VALU_DEP_1)
	v_or3_b32 v4, v8, v5, v4
.LBB466_3993:                           ;   in Loop: Header=BB466_2335 Depth=1
	s_or_b32 exec_lo, exec_lo, s13
.LBB466_3994:                           ;   in Loop: Header=BB466_2335 Depth=1
	s_delay_alu instid0(SALU_CYCLE_1)
	s_or_b32 exec_lo, exec_lo, s12
.LBB466_3995:                           ;   in Loop: Header=BB466_2335 Depth=1
	s_delay_alu instid0(SALU_CYCLE_1) | instskip(NEXT) | instid1(VALU_DEP_1)
	s_or_b32 exec_lo, exec_lo, s9
	v_mul_f32_e32 v4, v26, v4
                                        ; implicit-def: $vgpr20
	s_delay_alu instid0(VALU_DEP_1) | instskip(NEXT) | instid1(VALU_DEP_1)
	v_and_b32_e32 v5, 0x7f800000, v4
	v_cmp_ne_u32_e64 s0, 0x7f800000, v5
	s_delay_alu instid0(VALU_DEP_1) | instskip(NEXT) | instid1(SALU_CYCLE_1)
	s_and_saveexec_b32 s9, s0
	s_xor_b32 s0, exec_lo, s9
; %bb.3996:                             ;   in Loop: Header=BB466_2335 Depth=1
	v_bfe_u32 v5, v4, 16, 1
	s_delay_alu instid0(VALU_DEP_1)
	v_add3_u32 v20, v4, v5, 0x7fff
                                        ; implicit-def: $vgpr4
; %bb.3997:                             ;   in Loop: Header=BB466_2335 Depth=1
	s_and_not1_saveexec_b32 s9, s0
; %bb.3998:                             ;   in Loop: Header=BB466_2335 Depth=1
	v_and_b32_e32 v5, 0xffff, v4
	v_or_b32_e32 v8, 0x10000, v4
	s_delay_alu instid0(VALU_DEP_2) | instskip(NEXT) | instid1(VALU_DEP_1)
	v_cmp_eq_u32_e64 s0, 0, v5
	v_cndmask_b32_e64 v20, v8, v4, s0
; %bb.3999:                             ;   in Loop: Header=BB466_2335 Depth=1
	s_or_b32 exec_lo, exec_lo, s9
	v_lshrrev_b32_e32 v4, 16, v7
	s_mov_b32 s9, exec_lo
	s_delay_alu instid0(VALU_DEP_1) | instskip(NEXT) | instid1(VALU_DEP_1)
	v_dual_mov_b32 v8, 0 :: v_dual_and_b32 v5, 0xff, v4
	v_cmpx_ne_u16_e32 0, v5
	s_cbranch_execz .LBB466_4007
; %bb.4000:                             ;   in Loop: Header=BB466_2335 Depth=1
	v_bfrev_b32_e32 v8, 1
	s_mov_b32 s12, exec_lo
	v_cmpx_ne_u16_e32 0x80, v5
	s_cbranch_execz .LBB466_4006
; %bb.4001:                             ;   in Loop: Header=BB466_2335 Depth=1
	v_bfe_u32 v5, v7, 16, 7
	v_mov_b32_e32 v8, 0x7f800001
	s_mov_b32 s13, exec_lo
	s_delay_alu instid0(VALU_DEP_2)
	v_cmpx_ne_u32_e32 0x7f, v5
	s_cbranch_execz .LBB466_4005
; %bb.4002:                             ;   in Loop: Header=BB466_2335 Depth=1
	v_and_b32_e32 v12, 7, v4
	v_lshrrev_b32_e32 v22, 3, v5
	s_mov_b32 s15, exec_lo
	s_delay_alu instid0(VALU_DEP_2)
	v_dual_mov_b32 v8, v12 :: v_dual_mov_b32 v9, v13
	v_cmpx_gt_u32_e32 8, v5
; %bb.4003:                             ;   in Loop: Header=BB466_2335 Depth=1
	v_clz_i32_u32_e32 v5, v12
	s_delay_alu instid0(VALU_DEP_1) | instskip(NEXT) | instid1(VALU_DEP_1)
	v_min_u32_e32 v5, 32, v5
	v_subrev_nc_u32_e32 v8, 28, v5
	v_sub_nc_u32_e32 v22, 29, v5
	s_delay_alu instid0(VALU_DEP_2) | instskip(NEXT) | instid1(VALU_DEP_1)
	v_lshlrev_b64 v[8:9], v8, v[12:13]
	v_and_b32_e32 v8, 7, v8
; %bb.4004:                             ;   in Loop: Header=BB466_2335 Depth=1
	s_or_b32 exec_lo, exec_lo, s15
	v_lshlrev_b32_e32 v4, 24, v4
	s_delay_alu instid0(VALU_DEP_2) | instskip(SKIP_1) | instid1(VALU_DEP_3)
	v_lshlrev_b32_e32 v5, 20, v8
	v_lshl_add_u32 v8, v22, 23, 0x3c000000
	v_and_b32_e32 v4, 0x80000000, v4
	s_delay_alu instid0(VALU_DEP_1)
	v_or3_b32 v8, v5, v4, v8
.LBB466_4005:                           ;   in Loop: Header=BB466_2335 Depth=1
	s_or_b32 exec_lo, exec_lo, s13
.LBB466_4006:                           ;   in Loop: Header=BB466_2335 Depth=1
	s_delay_alu instid0(SALU_CYCLE_1)
	s_or_b32 exec_lo, exec_lo, s12
.LBB466_4007:                           ;   in Loop: Header=BB466_2335 Depth=1
	s_delay_alu instid0(SALU_CYCLE_1) | instskip(NEXT) | instid1(VALU_DEP_1)
	s_or_b32 exec_lo, exec_lo, s9
	v_mul_f32_e32 v4, v26, v8
                                        ; implicit-def: $vgpr22
	s_delay_alu instid0(VALU_DEP_1) | instskip(NEXT) | instid1(VALU_DEP_1)
	v_and_b32_e32 v5, 0x7f800000, v4
	v_cmp_ne_u32_e64 s0, 0x7f800000, v5
	s_delay_alu instid0(VALU_DEP_1) | instskip(NEXT) | instid1(SALU_CYCLE_1)
	s_and_saveexec_b32 s9, s0
	s_xor_b32 s0, exec_lo, s9
; %bb.4008:                             ;   in Loop: Header=BB466_2335 Depth=1
	v_bfe_u32 v5, v4, 16, 1
	s_delay_alu instid0(VALU_DEP_1)
	v_add3_u32 v22, v4, v5, 0x7fff
                                        ; implicit-def: $vgpr4
; %bb.4009:                             ;   in Loop: Header=BB466_2335 Depth=1
	s_and_not1_saveexec_b32 s9, s0
; %bb.4010:                             ;   in Loop: Header=BB466_2335 Depth=1
	v_and_b32_e32 v5, 0xffff, v4
	v_or_b32_e32 v8, 0x10000, v4
	s_delay_alu instid0(VALU_DEP_2) | instskip(NEXT) | instid1(VALU_DEP_1)
	v_cmp_eq_u32_e64 s0, 0, v5
	v_cndmask_b32_e64 v22, v8, v4, s0
; %bb.4011:                             ;   in Loop: Header=BB466_2335 Depth=1
	s_or_b32 exec_lo, exec_lo, s9
	v_cmp_lt_u64_e64 s0, s[2:3], v[6:7]
	v_mov_b32_e32 v6, 0
	s_delay_alu instid0(VALU_DEP_2)
	s_and_saveexec_b32 s9, s0
	s_cbranch_execz .LBB466_4019
; %bb.4012:                             ;   in Loop: Header=BB466_2335 Depth=1
	v_lshrrev_b32_e32 v4, 24, v7
	v_bfrev_b32_e32 v6, 1
	s_mov_b32 s12, exec_lo
	s_delay_alu instid0(VALU_DEP_2)
	v_cmpx_ne_u32_e32 0x80, v4
	s_cbranch_execz .LBB466_4018
; %bb.4013:                             ;   in Loop: Header=BB466_2335 Depth=1
	v_bfe_u32 v5, v7, 24, 7
	v_mov_b32_e32 v6, 0x7f800001
	s_mov_b32 s13, exec_lo
	s_delay_alu instid0(VALU_DEP_2)
	v_cmpx_ne_u32_e32 0x7f, v5
	s_cbranch_execz .LBB466_4017
; %bb.4014:                             ;   in Loop: Header=BB466_2335 Depth=1
	v_and_b32_e32 v12, 7, v4
	v_lshrrev_b32_e32 v8, 3, v5
	s_mov_b32 s15, exec_lo
	s_delay_alu instid0(VALU_DEP_2)
	v_dual_mov_b32 v6, v12 :: v_dual_mov_b32 v7, v13
	v_cmpx_gt_u32_e32 8, v5
; %bb.4015:                             ;   in Loop: Header=BB466_2335 Depth=1
	v_clz_i32_u32_e32 v5, v12
	s_delay_alu instid0(VALU_DEP_1) | instskip(NEXT) | instid1(VALU_DEP_1)
	v_min_u32_e32 v7, 32, v5
	v_subrev_nc_u32_e32 v5, 28, v7
	v_sub_nc_u32_e32 v8, 29, v7
	s_delay_alu instid0(VALU_DEP_2) | instskip(NEXT) | instid1(VALU_DEP_1)
	v_lshlrev_b64 v[5:6], v5, v[12:13]
	v_and_b32_e32 v6, 7, v5
; %bb.4016:                             ;   in Loop: Header=BB466_2335 Depth=1
	s_or_b32 exec_lo, exec_lo, s15
	v_lshlrev_b32_e32 v4, 24, v4
	s_delay_alu instid0(VALU_DEP_2) | instskip(SKIP_1) | instid1(VALU_DEP_3)
	v_lshlrev_b32_e32 v5, 20, v6
	v_lshl_add_u32 v6, v8, 23, 0x3c000000
	v_and_b32_e32 v4, 0x80000000, v4
	s_delay_alu instid0(VALU_DEP_1)
	v_or3_b32 v6, v5, v4, v6
.LBB466_4017:                           ;   in Loop: Header=BB466_2335 Depth=1
	s_or_b32 exec_lo, exec_lo, s13
.LBB466_4018:                           ;   in Loop: Header=BB466_2335 Depth=1
	s_delay_alu instid0(SALU_CYCLE_1)
	s_or_b32 exec_lo, exec_lo, s12
.LBB466_4019:                           ;   in Loop: Header=BB466_2335 Depth=1
	s_delay_alu instid0(SALU_CYCLE_1) | instskip(NEXT) | instid1(VALU_DEP_1)
	s_or_b32 exec_lo, exec_lo, s9
	v_mul_f32_e32 v4, v26, v6
                                        ; implicit-def: $vgpr6
	s_delay_alu instid0(VALU_DEP_1) | instskip(NEXT) | instid1(VALU_DEP_1)
	v_and_b32_e32 v5, 0x7f800000, v4
	v_cmp_ne_u32_e64 s0, 0x7f800000, v5
	s_delay_alu instid0(VALU_DEP_1) | instskip(NEXT) | instid1(SALU_CYCLE_1)
	s_and_saveexec_b32 s9, s0
	s_xor_b32 s0, exec_lo, s9
; %bb.4020:                             ;   in Loop: Header=BB466_2335 Depth=1
	v_bfe_u32 v5, v4, 16, 1
	s_delay_alu instid0(VALU_DEP_1)
	v_add3_u32 v6, v4, v5, 0x7fff
                                        ; implicit-def: $vgpr4
; %bb.4021:                             ;   in Loop: Header=BB466_2335 Depth=1
	s_and_not1_saveexec_b32 s9, s0
; %bb.4022:                             ;   in Loop: Header=BB466_2335 Depth=1
	v_and_b32_e32 v5, 0xffff, v4
	v_or_b32_e32 v6, 0x10000, v4
	s_delay_alu instid0(VALU_DEP_2) | instskip(NEXT) | instid1(VALU_DEP_1)
	v_cmp_eq_u32_e64 s0, 0, v5
	v_cndmask_b32_e64 v6, v6, v4, s0
; %bb.4023:                             ;   in Loop: Header=BB466_2335 Depth=1
	s_or_b32 exec_lo, exec_lo, s9
	v_lshrrev_b32_e32 v8, 16, v20
	v_lshrrev_b32_e32 v9, 16, v19
	v_lshrrev_b32_e32 v12, 16, v18
	v_lshrrev_b32_e32 v17, 16, v17
	v_lshrrev_b32_e32 v11, 16, v11
	v_lshrrev_b32_e32 v4, 16, v10
	v_lshrrev_b32_e32 v7, 16, v22
	v_lshrrev_b32_e32 v6, 16, v6
	s_and_saveexec_b32 s9, vcc_lo
	s_cbranch_execz .LBB466_4025
; %bb.4024:                             ;   in Loop: Header=BB466_2335 Depth=1
	v_cmp_lt_i32_e64 s0, v130, v36
	s_delay_alu instid0(VALU_DEP_1) | instskip(SKIP_1) | instid1(VALU_DEP_1)
	v_cndmask_b32_e64 v4, 0, v4, s0
	v_cmp_lt_i32_e64 s0, v133, v36
	v_cndmask_b32_e64 v11, 0, v11, s0
	v_cmp_lt_i32_e64 s0, v132, v36
	s_delay_alu instid0(VALU_DEP_1) | instskip(SKIP_1) | instid1(VALU_DEP_1)
	v_cndmask_b32_e64 v17, 0, v17, s0
	v_cmp_lt_i32_e64 s0, v131, v36
	v_cndmask_b32_e64 v12, 0, v12, s0
	;; [unrolled: 5-line block ×4, first 2 shown]
.LBB466_4025:                           ;   in Loop: Header=BB466_2335 Depth=1
	s_or_b32 exec_lo, exec_lo, s9
	v_lshlrev_b32_e32 v4, 16, v4
                                        ; implicit-def: $vgpr153
	s_delay_alu instid0(VALU_DEP_1) | instskip(NEXT) | instid1(VALU_DEP_1)
	v_mul_f32_e32 v4, v134, v4
	v_and_b32_e32 v5, 0x7f800000, v4
	s_delay_alu instid0(VALU_DEP_1) | instskip(NEXT) | instid1(VALU_DEP_1)
	v_cmp_ne_u32_e64 s0, 0x7f800000, v5
	s_and_saveexec_b32 s9, s0
	s_delay_alu instid0(SALU_CYCLE_1)
	s_xor_b32 s0, exec_lo, s9
; %bb.4026:                             ;   in Loop: Header=BB466_2335 Depth=1
	v_bfe_u32 v5, v4, 16, 1
	s_delay_alu instid0(VALU_DEP_1)
	v_add3_u32 v153, v4, v5, 0x7fff
                                        ; implicit-def: $vgpr4
; %bb.4027:                             ;   in Loop: Header=BB466_2335 Depth=1
	s_and_not1_saveexec_b32 s9, s0
; %bb.4028:                             ;   in Loop: Header=BB466_2335 Depth=1
	v_and_b32_e32 v5, 0xffff, v4
	v_or_b32_e32 v10, 0x10000, v4
	s_delay_alu instid0(VALU_DEP_2) | instskip(NEXT) | instid1(VALU_DEP_1)
	v_cmp_eq_u32_e64 s0, 0, v5
	v_cndmask_b32_e64 v153, v10, v4, s0
; %bb.4029:                             ;   in Loop: Header=BB466_2335 Depth=1
	s_or_b32 exec_lo, exec_lo, s9
	v_lshlrev_b32_e32 v4, 16, v11
                                        ; implicit-def: $vgpr154
	s_delay_alu instid0(VALU_DEP_1) | instskip(NEXT) | instid1(VALU_DEP_1)
	v_mul_f32_e32 v4, v135, v4
	v_and_b32_e32 v5, 0x7f800000, v4
	s_delay_alu instid0(VALU_DEP_1) | instskip(NEXT) | instid1(VALU_DEP_1)
	v_cmp_ne_u32_e64 s0, 0x7f800000, v5
	s_and_saveexec_b32 s9, s0
	s_delay_alu instid0(SALU_CYCLE_1)
	s_xor_b32 s0, exec_lo, s9
; %bb.4030:                             ;   in Loop: Header=BB466_2335 Depth=1
	v_bfe_u32 v5, v4, 16, 1
	s_delay_alu instid0(VALU_DEP_1)
	v_add3_u32 v154, v4, v5, 0x7fff
                                        ; implicit-def: $vgpr4
; %bb.4031:                             ;   in Loop: Header=BB466_2335 Depth=1
	s_and_not1_saveexec_b32 s9, s0
; %bb.4032:                             ;   in Loop: Header=BB466_2335 Depth=1
	v_and_b32_e32 v5, 0xffff, v4
	v_or_b32_e32 v10, 0x10000, v4
	s_delay_alu instid0(VALU_DEP_2) | instskip(NEXT) | instid1(VALU_DEP_1)
	v_cmp_eq_u32_e64 s0, 0, v5
	v_cndmask_b32_e64 v154, v10, v4, s0
; %bb.4033:                             ;   in Loop: Header=BB466_2335 Depth=1
	s_or_b32 exec_lo, exec_lo, s9
	v_lshlrev_b32_e32 v4, 16, v17
                                        ; implicit-def: $vgpr155
	s_delay_alu instid0(VALU_DEP_1) | instskip(NEXT) | instid1(VALU_DEP_1)
	v_mul_f32_e32 v4, v144, v4
	v_and_b32_e32 v5, 0x7f800000, v4
	s_delay_alu instid0(VALU_DEP_1) | instskip(NEXT) | instid1(VALU_DEP_1)
	v_cmp_ne_u32_e64 s0, 0x7f800000, v5
	s_and_saveexec_b32 s9, s0
	s_delay_alu instid0(SALU_CYCLE_1)
	s_xor_b32 s0, exec_lo, s9
; %bb.4034:                             ;   in Loop: Header=BB466_2335 Depth=1
	v_bfe_u32 v5, v4, 16, 1
	s_delay_alu instid0(VALU_DEP_1)
	v_add3_u32 v155, v4, v5, 0x7fff
                                        ; implicit-def: $vgpr4
; %bb.4035:                             ;   in Loop: Header=BB466_2335 Depth=1
	s_and_not1_saveexec_b32 s9, s0
; %bb.4036:                             ;   in Loop: Header=BB466_2335 Depth=1
	v_and_b32_e32 v5, 0xffff, v4
	v_or_b32_e32 v10, 0x10000, v4
	s_delay_alu instid0(VALU_DEP_2) | instskip(NEXT) | instid1(VALU_DEP_1)
	v_cmp_eq_u32_e64 s0, 0, v5
	v_cndmask_b32_e64 v155, v10, v4, s0
; %bb.4037:                             ;   in Loop: Header=BB466_2335 Depth=1
	s_or_b32 exec_lo, exec_lo, s9
	v_lshlrev_b32_e32 v4, 16, v12
                                        ; implicit-def: $vgpr156
	s_delay_alu instid0(VALU_DEP_1) | instskip(NEXT) | instid1(VALU_DEP_1)
	v_mul_f32_e32 v4, v145, v4
	v_and_b32_e32 v5, 0x7f800000, v4
	s_delay_alu instid0(VALU_DEP_1) | instskip(NEXT) | instid1(VALU_DEP_1)
	v_cmp_ne_u32_e64 s0, 0x7f800000, v5
	s_and_saveexec_b32 s9, s0
	s_delay_alu instid0(SALU_CYCLE_1)
	s_xor_b32 s0, exec_lo, s9
; %bb.4038:                             ;   in Loop: Header=BB466_2335 Depth=1
	v_bfe_u32 v5, v4, 16, 1
	s_delay_alu instid0(VALU_DEP_1)
	v_add3_u32 v156, v4, v5, 0x7fff
                                        ; implicit-def: $vgpr4
; %bb.4039:                             ;   in Loop: Header=BB466_2335 Depth=1
	s_and_not1_saveexec_b32 s9, s0
; %bb.4040:                             ;   in Loop: Header=BB466_2335 Depth=1
	v_and_b32_e32 v5, 0xffff, v4
	v_or_b32_e32 v10, 0x10000, v4
	s_delay_alu instid0(VALU_DEP_2) | instskip(NEXT) | instid1(VALU_DEP_1)
	v_cmp_eq_u32_e64 s0, 0, v5
	v_cndmask_b32_e64 v156, v10, v4, s0
; %bb.4041:                             ;   in Loop: Header=BB466_2335 Depth=1
	s_or_b32 exec_lo, exec_lo, s9
	v_lshlrev_b32_e32 v4, 16, v9
                                        ; implicit-def: $vgpr157
	s_delay_alu instid0(VALU_DEP_1) | instskip(NEXT) | instid1(VALU_DEP_1)
	v_mul_f32_e32 v4, v146, v4
	v_and_b32_e32 v5, 0x7f800000, v4
	s_delay_alu instid0(VALU_DEP_1) | instskip(NEXT) | instid1(VALU_DEP_1)
	v_cmp_ne_u32_e64 s0, 0x7f800000, v5
	s_and_saveexec_b32 s9, s0
	s_delay_alu instid0(SALU_CYCLE_1)
	s_xor_b32 s0, exec_lo, s9
; %bb.4042:                             ;   in Loop: Header=BB466_2335 Depth=1
	v_bfe_u32 v5, v4, 16, 1
	s_delay_alu instid0(VALU_DEP_1)
	v_add3_u32 v157, v4, v5, 0x7fff
                                        ; implicit-def: $vgpr4
; %bb.4043:                             ;   in Loop: Header=BB466_2335 Depth=1
	s_and_not1_saveexec_b32 s9, s0
; %bb.4044:                             ;   in Loop: Header=BB466_2335 Depth=1
	v_and_b32_e32 v5, 0xffff, v4
	v_or_b32_e32 v9, 0x10000, v4
	s_delay_alu instid0(VALU_DEP_2) | instskip(NEXT) | instid1(VALU_DEP_1)
	v_cmp_eq_u32_e64 s0, 0, v5
	v_cndmask_b32_e64 v157, v9, v4, s0
; %bb.4045:                             ;   in Loop: Header=BB466_2335 Depth=1
	s_or_b32 exec_lo, exec_lo, s9
	v_lshlrev_b32_e32 v4, 16, v8
                                        ; implicit-def: $vgpr158
	s_delay_alu instid0(VALU_DEP_1) | instskip(NEXT) | instid1(VALU_DEP_1)
	v_mul_f32_e32 v4, v147, v4
	v_and_b32_e32 v5, 0x7f800000, v4
	s_delay_alu instid0(VALU_DEP_1) | instskip(NEXT) | instid1(VALU_DEP_1)
	v_cmp_ne_u32_e64 s0, 0x7f800000, v5
	s_and_saveexec_b32 s9, s0
	s_delay_alu instid0(SALU_CYCLE_1)
	s_xor_b32 s0, exec_lo, s9
; %bb.4046:                             ;   in Loop: Header=BB466_2335 Depth=1
	v_bfe_u32 v5, v4, 16, 1
	s_delay_alu instid0(VALU_DEP_1)
	v_add3_u32 v158, v4, v5, 0x7fff
                                        ; implicit-def: $vgpr4
; %bb.4047:                             ;   in Loop: Header=BB466_2335 Depth=1
	s_and_not1_saveexec_b32 s9, s0
; %bb.4048:                             ;   in Loop: Header=BB466_2335 Depth=1
	v_and_b32_e32 v5, 0xffff, v4
	v_or_b32_e32 v8, 0x10000, v4
	s_delay_alu instid0(VALU_DEP_2) | instskip(NEXT) | instid1(VALU_DEP_1)
	v_cmp_eq_u32_e64 s0, 0, v5
	v_cndmask_b32_e64 v158, v8, v4, s0
; %bb.4049:                             ;   in Loop: Header=BB466_2335 Depth=1
	s_or_b32 exec_lo, exec_lo, s9
	v_lshlrev_b32_e32 v4, 16, v7
                                        ; implicit-def: $vgpr159
	s_delay_alu instid0(VALU_DEP_1) | instskip(NEXT) | instid1(VALU_DEP_1)
	v_mul_f32_e32 v4, v148, v4
	v_and_b32_e32 v5, 0x7f800000, v4
	s_delay_alu instid0(VALU_DEP_1) | instskip(NEXT) | instid1(VALU_DEP_1)
	v_cmp_ne_u32_e64 s0, 0x7f800000, v5
	s_and_saveexec_b32 s9, s0
	s_delay_alu instid0(SALU_CYCLE_1)
	s_xor_b32 s0, exec_lo, s9
; %bb.4050:                             ;   in Loop: Header=BB466_2335 Depth=1
	v_bfe_u32 v5, v4, 16, 1
	s_delay_alu instid0(VALU_DEP_1)
	v_add3_u32 v159, v4, v5, 0x7fff
                                        ; implicit-def: $vgpr4
; %bb.4051:                             ;   in Loop: Header=BB466_2335 Depth=1
	s_and_not1_saveexec_b32 s9, s0
; %bb.4052:                             ;   in Loop: Header=BB466_2335 Depth=1
	v_and_b32_e32 v5, 0xffff, v4
	v_or_b32_e32 v7, 0x10000, v4
	s_delay_alu instid0(VALU_DEP_2) | instskip(NEXT) | instid1(VALU_DEP_1)
	v_cmp_eq_u32_e64 s0, 0, v5
	v_cndmask_b32_e64 v159, v7, v4, s0
; %bb.4053:                             ;   in Loop: Header=BB466_2335 Depth=1
	s_or_b32 exec_lo, exec_lo, s9
	v_lshlrev_b32_e32 v4, 16, v6
                                        ; implicit-def: $vgpr168
	s_delay_alu instid0(VALU_DEP_1) | instskip(NEXT) | instid1(VALU_DEP_1)
	v_mul_f32_e32 v4, v149, v4
	v_and_b32_e32 v5, 0x7f800000, v4
	s_delay_alu instid0(VALU_DEP_1) | instskip(NEXT) | instid1(VALU_DEP_1)
	v_cmp_ne_u32_e64 s0, 0x7f800000, v5
	s_and_saveexec_b32 s9, s0
	s_delay_alu instid0(SALU_CYCLE_1)
	s_xor_b32 s0, exec_lo, s9
; %bb.4054:                             ;   in Loop: Header=BB466_2335 Depth=1
	v_bfe_u32 v5, v4, 16, 1
	s_delay_alu instid0(VALU_DEP_1)
	v_add3_u32 v168, v4, v5, 0x7fff
                                        ; implicit-def: $vgpr4
; %bb.4055:                             ;   in Loop: Header=BB466_2335 Depth=1
	s_and_not1_saveexec_b32 s9, s0
; %bb.4056:                             ;   in Loop: Header=BB466_2335 Depth=1
	v_and_b32_e32 v5, 0xffff, v4
	v_or_b32_e32 v6, 0x10000, v4
	s_delay_alu instid0(VALU_DEP_2) | instskip(NEXT) | instid1(VALU_DEP_1)
	v_cmp_eq_u32_e64 s0, 0, v5
	v_cndmask_b32_e64 v168, v6, v4, s0
; %bb.4057:                             ;   in Loop: Header=BB466_2335 Depth=1
	s_or_b32 exec_lo, exec_lo, s9
	flat_load_b64 v[6:7], v[2:3] offset:3328
	s_mov_b32 s9, exec_lo
	s_waitcnt vmcnt(0) lgkmcnt(0)
	v_dual_mov_b32 v4, 0 :: v_dual_and_b32 v5, 0xff, v6
	s_delay_alu instid0(VALU_DEP_1)
	v_cmpx_ne_u16_e32 0, v5
	s_cbranch_execz .LBB466_4065
; %bb.4058:                             ;   in Loop: Header=BB466_2335 Depth=1
	v_bfrev_b32_e32 v4, 1
	s_mov_b32 s12, exec_lo
	v_cmpx_ne_u16_e32 0x80, v5
	s_cbranch_execz .LBB466_4064
; %bb.4059:                             ;   in Loop: Header=BB466_2335 Depth=1
	v_and_b32_e32 v5, 0x7f, v6
	v_mov_b32_e32 v4, 0x7f800001
	s_mov_b32 s13, exec_lo
	s_delay_alu instid0(VALU_DEP_2)
	v_cmpx_ne_u32_e32 0x7f, v5
	s_cbranch_execz .LBB466_4063
; %bb.4060:                             ;   in Loop: Header=BB466_2335 Depth=1
	v_lshrrev_b32_e32 v4, 3, v5
	v_dual_mov_b32 v9, v7 :: v_dual_mov_b32 v8, v6
	s_mov_b32 s15, exec_lo
	v_cmpx_gt_u32_e32 8, v5
; %bb.4061:                             ;   in Loop: Header=BB466_2335 Depth=1
	v_and_b32_e32 v4, 7, v6
	s_delay_alu instid0(VALU_DEP_1) | instskip(NEXT) | instid1(VALU_DEP_1)
	v_clz_i32_u32_e32 v4, v4
	v_min_u32_e32 v4, 32, v4
	s_delay_alu instid0(VALU_DEP_1) | instskip(SKIP_1) | instid1(VALU_DEP_2)
	v_subrev_nc_u32_e32 v5, 28, v4
	v_sub_nc_u32_e32 v4, 29, v4
	v_lshlrev_b64 v[8:9], v5, v[6:7]
; %bb.4062:                             ;   in Loop: Header=BB466_2335 Depth=1
	s_or_b32 exec_lo, exec_lo, s15
	s_delay_alu instid0(VALU_DEP_1) | instskip(SKIP_2) | instid1(VALU_DEP_3)
	v_lshlrev_b32_e32 v5, 20, v8
	v_lshlrev_b32_e32 v8, 24, v6
	v_lshl_add_u32 v4, v4, 23, 0x3c000000
	v_and_b32_e32 v5, 0x700000, v5
	s_delay_alu instid0(VALU_DEP_3) | instskip(NEXT) | instid1(VALU_DEP_1)
	v_and_b32_e32 v8, 0x80000000, v8
	v_or3_b32 v4, v5, v8, v4
.LBB466_4063:                           ;   in Loop: Header=BB466_2335 Depth=1
	s_or_b32 exec_lo, exec_lo, s13
.LBB466_4064:                           ;   in Loop: Header=BB466_2335 Depth=1
	s_delay_alu instid0(SALU_CYCLE_1)
	s_or_b32 exec_lo, exec_lo, s12
.LBB466_4065:                           ;   in Loop: Header=BB466_2335 Depth=1
	s_delay_alu instid0(SALU_CYCLE_1) | instskip(NEXT) | instid1(VALU_DEP_1)
	s_or_b32 exec_lo, exec_lo, s9
	v_mul_f32_e32 v4, v26, v4
                                        ; implicit-def: $vgpr10
	s_delay_alu instid0(VALU_DEP_1) | instskip(NEXT) | instid1(VALU_DEP_1)
	v_and_b32_e32 v5, 0x7f800000, v4
	v_cmp_ne_u32_e64 s0, 0x7f800000, v5
	s_delay_alu instid0(VALU_DEP_1) | instskip(NEXT) | instid1(SALU_CYCLE_1)
	s_and_saveexec_b32 s9, s0
	s_xor_b32 s0, exec_lo, s9
; %bb.4066:                             ;   in Loop: Header=BB466_2335 Depth=1
	v_bfe_u32 v5, v4, 16, 1
	s_delay_alu instid0(VALU_DEP_1)
	v_add3_u32 v10, v4, v5, 0x7fff
                                        ; implicit-def: $vgpr4
; %bb.4067:                             ;   in Loop: Header=BB466_2335 Depth=1
	s_and_not1_saveexec_b32 s9, s0
; %bb.4068:                             ;   in Loop: Header=BB466_2335 Depth=1
	v_and_b32_e32 v5, 0xffff, v4
	v_or_b32_e32 v8, 0x10000, v4
	s_delay_alu instid0(VALU_DEP_2) | instskip(NEXT) | instid1(VALU_DEP_1)
	v_cmp_eq_u32_e64 s0, 0, v5
	v_cndmask_b32_e64 v10, v8, v4, s0
; %bb.4069:                             ;   in Loop: Header=BB466_2335 Depth=1
	s_or_b32 exec_lo, exec_lo, s9
	v_lshrrev_b16 v5, 8, v6
	v_mov_b32_e32 v4, 0
	s_mov_b32 s9, exec_lo
	s_delay_alu instid0(VALU_DEP_2)
	v_cmpx_ne_u16_e32 0, v5
	s_cbranch_execz .LBB466_4077
; %bb.4070:                             ;   in Loop: Header=BB466_2335 Depth=1
	v_bfrev_b32_e32 v4, 1
	s_mov_b32 s12, exec_lo
	v_cmpx_ne_u16_e32 0x80, v5
	s_cbranch_execz .LBB466_4076
; %bb.4071:                             ;   in Loop: Header=BB466_2335 Depth=1
	v_and_b32_e32 v8, 0xffff, v5
	v_mov_b32_e32 v4, 0x7f800001
	s_mov_b32 s13, exec_lo
	s_delay_alu instid0(VALU_DEP_2) | instskip(NEXT) | instid1(VALU_DEP_1)
	v_and_b32_e32 v5, 0x7f, v8
	v_cmpx_ne_u32_e32 0x7f, v5
	s_cbranch_execz .LBB466_4075
; %bb.4072:                             ;   in Loop: Header=BB466_2335 Depth=1
	v_and_b32_e32 v12, 7, v8
	v_lshrrev_b32_e32 v4, 3, v5
	s_mov_b32 s15, exec_lo
	s_delay_alu instid0(VALU_DEP_2)
	v_dual_mov_b32 v8, v12 :: v_dual_mov_b32 v9, v13
	v_cmpx_gt_u32_e32 8, v5
; %bb.4073:                             ;   in Loop: Header=BB466_2335 Depth=1
	v_clz_i32_u32_e32 v4, v12
	s_delay_alu instid0(VALU_DEP_1) | instskip(NEXT) | instid1(VALU_DEP_1)
	v_min_u32_e32 v4, 32, v4
	v_subrev_nc_u32_e32 v5, 28, v4
	v_sub_nc_u32_e32 v4, 29, v4
	s_delay_alu instid0(VALU_DEP_2) | instskip(NEXT) | instid1(VALU_DEP_1)
	v_lshlrev_b64 v[8:9], v5, v[12:13]
	v_and_b32_e32 v8, 7, v8
; %bb.4074:                             ;   in Loop: Header=BB466_2335 Depth=1
	s_or_b32 exec_lo, exec_lo, s15
	v_lshlrev_b32_e32 v5, 16, v6
	s_delay_alu instid0(VALU_DEP_2) | instskip(SKIP_1) | instid1(VALU_DEP_3)
	v_lshlrev_b32_e32 v8, 20, v8
	v_lshl_add_u32 v4, v4, 23, 0x3c000000
	v_and_b32_e32 v5, 0x80000000, v5
	s_delay_alu instid0(VALU_DEP_1)
	v_or3_b32 v4, v8, v5, v4
.LBB466_4075:                           ;   in Loop: Header=BB466_2335 Depth=1
	s_or_b32 exec_lo, exec_lo, s13
.LBB466_4076:                           ;   in Loop: Header=BB466_2335 Depth=1
	s_delay_alu instid0(SALU_CYCLE_1)
	s_or_b32 exec_lo, exec_lo, s12
.LBB466_4077:                           ;   in Loop: Header=BB466_2335 Depth=1
	s_delay_alu instid0(SALU_CYCLE_1) | instskip(NEXT) | instid1(VALU_DEP_1)
	s_or_b32 exec_lo, exec_lo, s9
	v_mul_f32_e32 v4, v26, v4
                                        ; implicit-def: $vgpr11
	s_delay_alu instid0(VALU_DEP_1) | instskip(NEXT) | instid1(VALU_DEP_1)
	v_and_b32_e32 v5, 0x7f800000, v4
	v_cmp_ne_u32_e64 s0, 0x7f800000, v5
	s_delay_alu instid0(VALU_DEP_1) | instskip(NEXT) | instid1(SALU_CYCLE_1)
	s_and_saveexec_b32 s9, s0
	s_xor_b32 s0, exec_lo, s9
; %bb.4078:                             ;   in Loop: Header=BB466_2335 Depth=1
	v_bfe_u32 v5, v4, 16, 1
	s_delay_alu instid0(VALU_DEP_1)
	v_add3_u32 v11, v4, v5, 0x7fff
                                        ; implicit-def: $vgpr4
; %bb.4079:                             ;   in Loop: Header=BB466_2335 Depth=1
	s_and_not1_saveexec_b32 s9, s0
; %bb.4080:                             ;   in Loop: Header=BB466_2335 Depth=1
	v_and_b32_e32 v5, 0xffff, v4
	v_or_b32_e32 v8, 0x10000, v4
	s_delay_alu instid0(VALU_DEP_2) | instskip(NEXT) | instid1(VALU_DEP_1)
	v_cmp_eq_u32_e64 s0, 0, v5
	v_cndmask_b32_e64 v11, v8, v4, s0
; %bb.4081:                             ;   in Loop: Header=BB466_2335 Depth=1
	s_or_b32 exec_lo, exec_lo, s9
	v_lshrrev_b32_e32 v4, 16, v6
	s_mov_b32 s9, exec_lo
	s_delay_alu instid0(VALU_DEP_1) | instskip(NEXT) | instid1(VALU_DEP_1)
	v_dual_mov_b32 v8, 0 :: v_dual_and_b32 v5, 0xff, v4
	v_cmpx_ne_u16_e32 0, v5
	s_cbranch_execz .LBB466_4089
; %bb.4082:                             ;   in Loop: Header=BB466_2335 Depth=1
	v_bfrev_b32_e32 v8, 1
	s_mov_b32 s12, exec_lo
	v_cmpx_ne_u16_e32 0x80, v5
	s_cbranch_execz .LBB466_4088
; %bb.4083:                             ;   in Loop: Header=BB466_2335 Depth=1
	v_bfe_u32 v5, v6, 16, 7
	v_mov_b32_e32 v8, 0x7f800001
	s_mov_b32 s13, exec_lo
	s_delay_alu instid0(VALU_DEP_2)
	v_cmpx_ne_u32_e32 0x7f, v5
	s_cbranch_execz .LBB466_4087
; %bb.4084:                             ;   in Loop: Header=BB466_2335 Depth=1
	v_and_b32_e32 v12, 7, v4
	v_lshrrev_b32_e32 v17, 3, v5
	s_mov_b32 s15, exec_lo
	s_delay_alu instid0(VALU_DEP_2)
	v_dual_mov_b32 v8, v12 :: v_dual_mov_b32 v9, v13
	v_cmpx_gt_u32_e32 8, v5
; %bb.4085:                             ;   in Loop: Header=BB466_2335 Depth=1
	v_clz_i32_u32_e32 v5, v12
	s_delay_alu instid0(VALU_DEP_1) | instskip(NEXT) | instid1(VALU_DEP_1)
	v_min_u32_e32 v5, 32, v5
	v_subrev_nc_u32_e32 v8, 28, v5
	v_sub_nc_u32_e32 v17, 29, v5
	s_delay_alu instid0(VALU_DEP_2) | instskip(NEXT) | instid1(VALU_DEP_1)
	v_lshlrev_b64 v[8:9], v8, v[12:13]
	v_and_b32_e32 v8, 7, v8
; %bb.4086:                             ;   in Loop: Header=BB466_2335 Depth=1
	s_or_b32 exec_lo, exec_lo, s15
	v_lshlrev_b32_e32 v4, 24, v4
	s_delay_alu instid0(VALU_DEP_2) | instskip(SKIP_1) | instid1(VALU_DEP_3)
	v_lshlrev_b32_e32 v5, 20, v8
	v_lshl_add_u32 v8, v17, 23, 0x3c000000
	v_and_b32_e32 v4, 0x80000000, v4
	s_delay_alu instid0(VALU_DEP_1)
	v_or3_b32 v8, v5, v4, v8
.LBB466_4087:                           ;   in Loop: Header=BB466_2335 Depth=1
	s_or_b32 exec_lo, exec_lo, s13
.LBB466_4088:                           ;   in Loop: Header=BB466_2335 Depth=1
	s_delay_alu instid0(SALU_CYCLE_1)
	s_or_b32 exec_lo, exec_lo, s12
.LBB466_4089:                           ;   in Loop: Header=BB466_2335 Depth=1
	s_delay_alu instid0(SALU_CYCLE_1) | instskip(NEXT) | instid1(VALU_DEP_1)
	s_or_b32 exec_lo, exec_lo, s9
	v_mul_f32_e32 v4, v26, v8
                                        ; implicit-def: $vgpr17
	s_delay_alu instid0(VALU_DEP_1) | instskip(NEXT) | instid1(VALU_DEP_1)
	v_and_b32_e32 v5, 0x7f800000, v4
	v_cmp_ne_u32_e64 s0, 0x7f800000, v5
	s_delay_alu instid0(VALU_DEP_1) | instskip(NEXT) | instid1(SALU_CYCLE_1)
	s_and_saveexec_b32 s9, s0
	s_xor_b32 s0, exec_lo, s9
; %bb.4090:                             ;   in Loop: Header=BB466_2335 Depth=1
	v_bfe_u32 v5, v4, 16, 1
	s_delay_alu instid0(VALU_DEP_1)
	v_add3_u32 v17, v4, v5, 0x7fff
                                        ; implicit-def: $vgpr4
; %bb.4091:                             ;   in Loop: Header=BB466_2335 Depth=1
	s_and_not1_saveexec_b32 s9, s0
; %bb.4092:                             ;   in Loop: Header=BB466_2335 Depth=1
	v_and_b32_e32 v5, 0xffff, v4
	v_or_b32_e32 v8, 0x10000, v4
	s_delay_alu instid0(VALU_DEP_2) | instskip(NEXT) | instid1(VALU_DEP_1)
	v_cmp_eq_u32_e64 s0, 0, v5
	v_cndmask_b32_e64 v17, v8, v4, s0
; %bb.4093:                             ;   in Loop: Header=BB466_2335 Depth=1
	s_or_b32 exec_lo, exec_lo, s9
	v_mov_b32_e32 v8, 0
	s_mov_b32 s9, exec_lo
	v_cmpx_lt_u32_e32 0xffffff, v6
	s_cbranch_execz .LBB466_4101
; %bb.4094:                             ;   in Loop: Header=BB466_2335 Depth=1
	v_lshrrev_b32_e32 v4, 24, v6
	v_bfrev_b32_e32 v8, 1
	s_mov_b32 s12, exec_lo
	s_delay_alu instid0(VALU_DEP_2)
	v_cmpx_ne_u32_e32 0x80, v4
	s_cbranch_execz .LBB466_4100
; %bb.4095:                             ;   in Loop: Header=BB466_2335 Depth=1
	v_bfe_u32 v5, v6, 24, 7
	v_mov_b32_e32 v8, 0x7f800001
	s_mov_b32 s13, exec_lo
	s_delay_alu instid0(VALU_DEP_2)
	v_cmpx_ne_u32_e32 0x7f, v5
	s_cbranch_execz .LBB466_4099
; %bb.4096:                             ;   in Loop: Header=BB466_2335 Depth=1
	v_and_b32_e32 v12, 7, v4
	v_lshrrev_b32_e32 v18, 3, v5
	s_mov_b32 s15, exec_lo
	s_delay_alu instid0(VALU_DEP_2)
	v_dual_mov_b32 v8, v12 :: v_dual_mov_b32 v9, v13
	v_cmpx_gt_u32_e32 8, v5
; %bb.4097:                             ;   in Loop: Header=BB466_2335 Depth=1
	v_clz_i32_u32_e32 v5, v12
	s_delay_alu instid0(VALU_DEP_1) | instskip(NEXT) | instid1(VALU_DEP_1)
	v_min_u32_e32 v5, 32, v5
	v_subrev_nc_u32_e32 v8, 28, v5
	v_sub_nc_u32_e32 v18, 29, v5
	s_delay_alu instid0(VALU_DEP_2) | instskip(NEXT) | instid1(VALU_DEP_1)
	v_lshlrev_b64 v[8:9], v8, v[12:13]
	v_and_b32_e32 v8, 7, v8
; %bb.4098:                             ;   in Loop: Header=BB466_2335 Depth=1
	s_or_b32 exec_lo, exec_lo, s15
	v_lshlrev_b32_e32 v4, 24, v4
	s_delay_alu instid0(VALU_DEP_2) | instskip(SKIP_1) | instid1(VALU_DEP_3)
	v_lshlrev_b32_e32 v5, 20, v8
	v_lshl_add_u32 v8, v18, 23, 0x3c000000
	v_and_b32_e32 v4, 0x80000000, v4
	s_delay_alu instid0(VALU_DEP_1)
	v_or3_b32 v8, v5, v4, v8
.LBB466_4099:                           ;   in Loop: Header=BB466_2335 Depth=1
	s_or_b32 exec_lo, exec_lo, s13
.LBB466_4100:                           ;   in Loop: Header=BB466_2335 Depth=1
	s_delay_alu instid0(SALU_CYCLE_1)
	s_or_b32 exec_lo, exec_lo, s12
.LBB466_4101:                           ;   in Loop: Header=BB466_2335 Depth=1
	s_delay_alu instid0(SALU_CYCLE_1) | instskip(NEXT) | instid1(VALU_DEP_1)
	s_or_b32 exec_lo, exec_lo, s9
	v_mul_f32_e32 v4, v26, v8
                                        ; implicit-def: $vgpr18
	s_delay_alu instid0(VALU_DEP_1) | instskip(NEXT) | instid1(VALU_DEP_1)
	v_and_b32_e32 v5, 0x7f800000, v4
	v_cmp_ne_u32_e64 s0, 0x7f800000, v5
	s_delay_alu instid0(VALU_DEP_1) | instskip(NEXT) | instid1(SALU_CYCLE_1)
	s_and_saveexec_b32 s9, s0
	s_xor_b32 s0, exec_lo, s9
; %bb.4102:                             ;   in Loop: Header=BB466_2335 Depth=1
	v_bfe_u32 v5, v4, 16, 1
	s_delay_alu instid0(VALU_DEP_1)
	v_add3_u32 v18, v4, v5, 0x7fff
                                        ; implicit-def: $vgpr4
; %bb.4103:                             ;   in Loop: Header=BB466_2335 Depth=1
	s_and_not1_saveexec_b32 s9, s0
; %bb.4104:                             ;   in Loop: Header=BB466_2335 Depth=1
	v_and_b32_e32 v5, 0xffff, v4
	v_or_b32_e32 v8, 0x10000, v4
	s_delay_alu instid0(VALU_DEP_2) | instskip(NEXT) | instid1(VALU_DEP_1)
	v_cmp_eq_u32_e64 s0, 0, v5
	v_cndmask_b32_e64 v18, v8, v4, s0
; %bb.4105:                             ;   in Loop: Header=BB466_2335 Depth=1
	s_or_b32 exec_lo, exec_lo, s9
	v_dual_mov_b32 v12, v7 :: v_dual_and_b32 v5, 0xff, v7
	v_mov_b32_e32 v4, 0
	s_mov_b32 s9, exec_lo
	s_delay_alu instid0(VALU_DEP_2)
	v_cmpx_ne_u16_e32 0, v5
	s_cbranch_execz .LBB466_4113
; %bb.4106:                             ;   in Loop: Header=BB466_2335 Depth=1
	v_bfrev_b32_e32 v4, 1
	s_mov_b32 s12, exec_lo
	v_cmpx_ne_u16_e32 0x80, v5
	s_cbranch_execz .LBB466_4112
; %bb.4107:                             ;   in Loop: Header=BB466_2335 Depth=1
	v_and_b32_e32 v5, 0x7f, v7
	v_mov_b32_e32 v4, 0x7f800001
	s_mov_b32 s13, exec_lo
	s_delay_alu instid0(VALU_DEP_2)
	v_cmpx_ne_u32_e32 0x7f, v5
	s_cbranch_execz .LBB466_4111
; %bb.4108:                             ;   in Loop: Header=BB466_2335 Depth=1
	v_lshrrev_b32_e32 v4, 3, v5
	v_dual_mov_b32 v8, v12 :: v_dual_mov_b32 v9, v13
	s_mov_b32 s15, exec_lo
	v_cmpx_gt_u32_e32 8, v5
; %bb.4109:                             ;   in Loop: Header=BB466_2335 Depth=1
	v_and_b32_e32 v4, 7, v7
	s_delay_alu instid0(VALU_DEP_1) | instskip(NEXT) | instid1(VALU_DEP_1)
	v_clz_i32_u32_e32 v4, v4
	v_min_u32_e32 v4, 32, v4
	s_delay_alu instid0(VALU_DEP_1) | instskip(SKIP_1) | instid1(VALU_DEP_2)
	v_subrev_nc_u32_e32 v5, 28, v4
	v_sub_nc_u32_e32 v4, 29, v4
	v_lshlrev_b64 v[8:9], v5, v[12:13]
; %bb.4110:                             ;   in Loop: Header=BB466_2335 Depth=1
	s_or_b32 exec_lo, exec_lo, s15
	s_delay_alu instid0(VALU_DEP_1) | instskip(SKIP_2) | instid1(VALU_DEP_3)
	v_lshlrev_b32_e32 v5, 20, v8
	v_lshlrev_b32_e32 v8, 24, v12
	v_lshl_add_u32 v4, v4, 23, 0x3c000000
	v_and_b32_e32 v5, 0x700000, v5
	s_delay_alu instid0(VALU_DEP_3) | instskip(NEXT) | instid1(VALU_DEP_1)
	v_and_b32_e32 v8, 0x80000000, v8
	v_or3_b32 v4, v5, v8, v4
.LBB466_4111:                           ;   in Loop: Header=BB466_2335 Depth=1
	s_or_b32 exec_lo, exec_lo, s13
.LBB466_4112:                           ;   in Loop: Header=BB466_2335 Depth=1
	s_delay_alu instid0(SALU_CYCLE_1)
	s_or_b32 exec_lo, exec_lo, s12
.LBB466_4113:                           ;   in Loop: Header=BB466_2335 Depth=1
	s_delay_alu instid0(SALU_CYCLE_1) | instskip(NEXT) | instid1(VALU_DEP_1)
	s_or_b32 exec_lo, exec_lo, s9
	v_mul_f32_e32 v4, v26, v4
                                        ; implicit-def: $vgpr19
	s_delay_alu instid0(VALU_DEP_1) | instskip(NEXT) | instid1(VALU_DEP_1)
	v_and_b32_e32 v5, 0x7f800000, v4
	v_cmp_ne_u32_e64 s0, 0x7f800000, v5
	s_delay_alu instid0(VALU_DEP_1) | instskip(NEXT) | instid1(SALU_CYCLE_1)
	s_and_saveexec_b32 s9, s0
	s_xor_b32 s0, exec_lo, s9
; %bb.4114:                             ;   in Loop: Header=BB466_2335 Depth=1
	v_bfe_u32 v5, v4, 16, 1
	s_delay_alu instid0(VALU_DEP_1)
	v_add3_u32 v19, v4, v5, 0x7fff
                                        ; implicit-def: $vgpr4
; %bb.4115:                             ;   in Loop: Header=BB466_2335 Depth=1
	s_and_not1_saveexec_b32 s9, s0
; %bb.4116:                             ;   in Loop: Header=BB466_2335 Depth=1
	v_and_b32_e32 v5, 0xffff, v4
	v_or_b32_e32 v8, 0x10000, v4
	s_delay_alu instid0(VALU_DEP_2) | instskip(NEXT) | instid1(VALU_DEP_1)
	v_cmp_eq_u32_e64 s0, 0, v5
	v_cndmask_b32_e64 v19, v8, v4, s0
; %bb.4117:                             ;   in Loop: Header=BB466_2335 Depth=1
	s_or_b32 exec_lo, exec_lo, s9
	v_lshrrev_b16 v5, 8, v12
	v_mov_b32_e32 v4, 0
	s_mov_b32 s9, exec_lo
	s_delay_alu instid0(VALU_DEP_2)
	v_cmpx_ne_u16_e32 0, v5
	s_cbranch_execz .LBB466_4125
; %bb.4118:                             ;   in Loop: Header=BB466_2335 Depth=1
	v_bfrev_b32_e32 v4, 1
	s_mov_b32 s12, exec_lo
	v_cmpx_ne_u16_e32 0x80, v5
	s_cbranch_execz .LBB466_4124
; %bb.4119:                             ;   in Loop: Header=BB466_2335 Depth=1
	v_and_b32_e32 v8, 0xffff, v5
	v_mov_b32_e32 v4, 0x7f800001
	s_mov_b32 s13, exec_lo
	s_delay_alu instid0(VALU_DEP_2) | instskip(NEXT) | instid1(VALU_DEP_1)
	v_and_b32_e32 v5, 0x7f, v8
	v_cmpx_ne_u32_e32 0x7f, v5
	s_cbranch_execz .LBB466_4123
; %bb.4120:                             ;   in Loop: Header=BB466_2335 Depth=1
	v_dual_mov_b32 v9, v13 :: v_dual_and_b32 v8, 7, v8
	v_lshrrev_b32_e32 v4, 3, v5
	s_mov_b32 s15, exec_lo
	v_cmpx_gt_u32_e32 8, v5
; %bb.4121:                             ;   in Loop: Header=BB466_2335 Depth=1
	s_delay_alu instid0(VALU_DEP_3) | instskip(NEXT) | instid1(VALU_DEP_1)
	v_clz_i32_u32_e32 v4, v8
	v_min_u32_e32 v4, 32, v4
	s_delay_alu instid0(VALU_DEP_1) | instskip(SKIP_1) | instid1(VALU_DEP_2)
	v_subrev_nc_u32_e32 v5, 28, v4
	v_sub_nc_u32_e32 v4, 29, v4
	v_lshlrev_b64 v[8:9], v5, v[8:9]
	s_delay_alu instid0(VALU_DEP_1)
	v_and_b32_e32 v8, 7, v8
; %bb.4122:                             ;   in Loop: Header=BB466_2335 Depth=1
	s_or_b32 exec_lo, exec_lo, s15
	v_lshlrev_b32_e32 v5, 16, v12
	s_delay_alu instid0(VALU_DEP_2) | instskip(SKIP_1) | instid1(VALU_DEP_3)
	v_lshlrev_b32_e32 v8, 20, v8
	v_lshl_add_u32 v4, v4, 23, 0x3c000000
	v_and_b32_e32 v5, 0x80000000, v5
	s_delay_alu instid0(VALU_DEP_1)
	v_or3_b32 v4, v8, v5, v4
.LBB466_4123:                           ;   in Loop: Header=BB466_2335 Depth=1
	s_or_b32 exec_lo, exec_lo, s13
.LBB466_4124:                           ;   in Loop: Header=BB466_2335 Depth=1
	s_delay_alu instid0(SALU_CYCLE_1)
	s_or_b32 exec_lo, exec_lo, s12
.LBB466_4125:                           ;   in Loop: Header=BB466_2335 Depth=1
	s_delay_alu instid0(SALU_CYCLE_1) | instskip(NEXT) | instid1(VALU_DEP_1)
	s_or_b32 exec_lo, exec_lo, s9
	v_mul_f32_e32 v4, v26, v4
                                        ; implicit-def: $vgpr20
	s_delay_alu instid0(VALU_DEP_1) | instskip(NEXT) | instid1(VALU_DEP_1)
	v_and_b32_e32 v5, 0x7f800000, v4
	v_cmp_ne_u32_e64 s0, 0x7f800000, v5
	s_delay_alu instid0(VALU_DEP_1) | instskip(NEXT) | instid1(SALU_CYCLE_1)
	s_and_saveexec_b32 s9, s0
	s_xor_b32 s0, exec_lo, s9
; %bb.4126:                             ;   in Loop: Header=BB466_2335 Depth=1
	v_bfe_u32 v5, v4, 16, 1
	s_delay_alu instid0(VALU_DEP_1)
	v_add3_u32 v20, v4, v5, 0x7fff
                                        ; implicit-def: $vgpr4
; %bb.4127:                             ;   in Loop: Header=BB466_2335 Depth=1
	s_and_not1_saveexec_b32 s9, s0
; %bb.4128:                             ;   in Loop: Header=BB466_2335 Depth=1
	v_and_b32_e32 v5, 0xffff, v4
	v_or_b32_e32 v8, 0x10000, v4
	s_delay_alu instid0(VALU_DEP_2) | instskip(NEXT) | instid1(VALU_DEP_1)
	v_cmp_eq_u32_e64 s0, 0, v5
	v_cndmask_b32_e64 v20, v8, v4, s0
; %bb.4129:                             ;   in Loop: Header=BB466_2335 Depth=1
	s_or_b32 exec_lo, exec_lo, s9
	v_lshrrev_b32_e32 v4, 16, v7
	s_mov_b32 s9, exec_lo
	s_delay_alu instid0(VALU_DEP_1) | instskip(NEXT) | instid1(VALU_DEP_1)
	v_dual_mov_b32 v8, 0 :: v_dual_and_b32 v5, 0xff, v4
	v_cmpx_ne_u16_e32 0, v5
	s_cbranch_execz .LBB466_4137
; %bb.4130:                             ;   in Loop: Header=BB466_2335 Depth=1
	v_bfrev_b32_e32 v8, 1
	s_mov_b32 s12, exec_lo
	v_cmpx_ne_u16_e32 0x80, v5
	s_cbranch_execz .LBB466_4136
; %bb.4131:                             ;   in Loop: Header=BB466_2335 Depth=1
	v_bfe_u32 v5, v7, 16, 7
	v_mov_b32_e32 v8, 0x7f800001
	s_mov_b32 s13, exec_lo
	s_delay_alu instid0(VALU_DEP_2)
	v_cmpx_ne_u32_e32 0x7f, v5
	s_cbranch_execz .LBB466_4135
; %bb.4132:                             ;   in Loop: Header=BB466_2335 Depth=1
	v_and_b32_e32 v12, 7, v4
	v_lshrrev_b32_e32 v22, 3, v5
	s_mov_b32 s15, exec_lo
	s_delay_alu instid0(VALU_DEP_2)
	v_dual_mov_b32 v8, v12 :: v_dual_mov_b32 v9, v13
	v_cmpx_gt_u32_e32 8, v5
; %bb.4133:                             ;   in Loop: Header=BB466_2335 Depth=1
	v_clz_i32_u32_e32 v5, v12
	s_delay_alu instid0(VALU_DEP_1) | instskip(NEXT) | instid1(VALU_DEP_1)
	v_min_u32_e32 v5, 32, v5
	v_subrev_nc_u32_e32 v8, 28, v5
	v_sub_nc_u32_e32 v22, 29, v5
	s_delay_alu instid0(VALU_DEP_2) | instskip(NEXT) | instid1(VALU_DEP_1)
	v_lshlrev_b64 v[8:9], v8, v[12:13]
	v_and_b32_e32 v8, 7, v8
; %bb.4134:                             ;   in Loop: Header=BB466_2335 Depth=1
	s_or_b32 exec_lo, exec_lo, s15
	v_lshlrev_b32_e32 v4, 24, v4
	s_delay_alu instid0(VALU_DEP_2) | instskip(SKIP_1) | instid1(VALU_DEP_3)
	v_lshlrev_b32_e32 v5, 20, v8
	v_lshl_add_u32 v8, v22, 23, 0x3c000000
	v_and_b32_e32 v4, 0x80000000, v4
	s_delay_alu instid0(VALU_DEP_1)
	v_or3_b32 v8, v5, v4, v8
.LBB466_4135:                           ;   in Loop: Header=BB466_2335 Depth=1
	s_or_b32 exec_lo, exec_lo, s13
.LBB466_4136:                           ;   in Loop: Header=BB466_2335 Depth=1
	s_delay_alu instid0(SALU_CYCLE_1)
	s_or_b32 exec_lo, exec_lo, s12
.LBB466_4137:                           ;   in Loop: Header=BB466_2335 Depth=1
	s_delay_alu instid0(SALU_CYCLE_1) | instskip(NEXT) | instid1(VALU_DEP_1)
	s_or_b32 exec_lo, exec_lo, s9
	v_mul_f32_e32 v4, v26, v8
                                        ; implicit-def: $vgpr22
	s_delay_alu instid0(VALU_DEP_1) | instskip(NEXT) | instid1(VALU_DEP_1)
	v_and_b32_e32 v5, 0x7f800000, v4
	v_cmp_ne_u32_e64 s0, 0x7f800000, v5
	s_delay_alu instid0(VALU_DEP_1) | instskip(NEXT) | instid1(SALU_CYCLE_1)
	s_and_saveexec_b32 s9, s0
	s_xor_b32 s0, exec_lo, s9
; %bb.4138:                             ;   in Loop: Header=BB466_2335 Depth=1
	v_bfe_u32 v5, v4, 16, 1
	s_delay_alu instid0(VALU_DEP_1)
	v_add3_u32 v22, v4, v5, 0x7fff
                                        ; implicit-def: $vgpr4
; %bb.4139:                             ;   in Loop: Header=BB466_2335 Depth=1
	s_and_not1_saveexec_b32 s9, s0
; %bb.4140:                             ;   in Loop: Header=BB466_2335 Depth=1
	v_and_b32_e32 v5, 0xffff, v4
	v_or_b32_e32 v8, 0x10000, v4
	s_delay_alu instid0(VALU_DEP_2) | instskip(NEXT) | instid1(VALU_DEP_1)
	v_cmp_eq_u32_e64 s0, 0, v5
	v_cndmask_b32_e64 v22, v8, v4, s0
; %bb.4141:                             ;   in Loop: Header=BB466_2335 Depth=1
	s_or_b32 exec_lo, exec_lo, s9
	v_cmp_lt_u64_e64 s0, s[2:3], v[6:7]
	v_mov_b32_e32 v6, 0
	s_delay_alu instid0(VALU_DEP_2)
	s_and_saveexec_b32 s9, s0
	s_cbranch_execz .LBB466_4149
; %bb.4142:                             ;   in Loop: Header=BB466_2335 Depth=1
	v_lshrrev_b32_e32 v4, 24, v7
	v_bfrev_b32_e32 v6, 1
	s_mov_b32 s12, exec_lo
	s_delay_alu instid0(VALU_DEP_2)
	v_cmpx_ne_u32_e32 0x80, v4
	s_cbranch_execz .LBB466_4148
; %bb.4143:                             ;   in Loop: Header=BB466_2335 Depth=1
	v_bfe_u32 v5, v7, 24, 7
	v_mov_b32_e32 v6, 0x7f800001
	s_mov_b32 s13, exec_lo
	s_delay_alu instid0(VALU_DEP_2)
	v_cmpx_ne_u32_e32 0x7f, v5
	s_cbranch_execz .LBB466_4147
; %bb.4144:                             ;   in Loop: Header=BB466_2335 Depth=1
	v_and_b32_e32 v12, 7, v4
	v_lshrrev_b32_e32 v8, 3, v5
	s_mov_b32 s15, exec_lo
	s_delay_alu instid0(VALU_DEP_2)
	v_dual_mov_b32 v6, v12 :: v_dual_mov_b32 v7, v13
	v_cmpx_gt_u32_e32 8, v5
; %bb.4145:                             ;   in Loop: Header=BB466_2335 Depth=1
	v_clz_i32_u32_e32 v5, v12
	s_delay_alu instid0(VALU_DEP_1) | instskip(NEXT) | instid1(VALU_DEP_1)
	v_min_u32_e32 v7, 32, v5
	v_subrev_nc_u32_e32 v5, 28, v7
	v_sub_nc_u32_e32 v8, 29, v7
	s_delay_alu instid0(VALU_DEP_2) | instskip(NEXT) | instid1(VALU_DEP_1)
	v_lshlrev_b64 v[5:6], v5, v[12:13]
	v_and_b32_e32 v6, 7, v5
; %bb.4146:                             ;   in Loop: Header=BB466_2335 Depth=1
	s_or_b32 exec_lo, exec_lo, s15
	v_lshlrev_b32_e32 v4, 24, v4
	s_delay_alu instid0(VALU_DEP_2) | instskip(SKIP_1) | instid1(VALU_DEP_3)
	v_lshlrev_b32_e32 v5, 20, v6
	v_lshl_add_u32 v6, v8, 23, 0x3c000000
	v_and_b32_e32 v4, 0x80000000, v4
	s_delay_alu instid0(VALU_DEP_1)
	v_or3_b32 v6, v5, v4, v6
.LBB466_4147:                           ;   in Loop: Header=BB466_2335 Depth=1
	s_or_b32 exec_lo, exec_lo, s13
.LBB466_4148:                           ;   in Loop: Header=BB466_2335 Depth=1
	s_delay_alu instid0(SALU_CYCLE_1)
	s_or_b32 exec_lo, exec_lo, s12
.LBB466_4149:                           ;   in Loop: Header=BB466_2335 Depth=1
	s_delay_alu instid0(SALU_CYCLE_1) | instskip(NEXT) | instid1(VALU_DEP_1)
	s_or_b32 exec_lo, exec_lo, s9
	v_mul_f32_e32 v4, v26, v6
                                        ; implicit-def: $vgpr6
	s_delay_alu instid0(VALU_DEP_1) | instskip(NEXT) | instid1(VALU_DEP_1)
	v_and_b32_e32 v5, 0x7f800000, v4
	v_cmp_ne_u32_e64 s0, 0x7f800000, v5
	s_delay_alu instid0(VALU_DEP_1) | instskip(NEXT) | instid1(SALU_CYCLE_1)
	s_and_saveexec_b32 s9, s0
	s_xor_b32 s0, exec_lo, s9
; %bb.4150:                             ;   in Loop: Header=BB466_2335 Depth=1
	v_bfe_u32 v5, v4, 16, 1
	s_delay_alu instid0(VALU_DEP_1)
	v_add3_u32 v6, v4, v5, 0x7fff
                                        ; implicit-def: $vgpr4
; %bb.4151:                             ;   in Loop: Header=BB466_2335 Depth=1
	s_and_not1_saveexec_b32 s9, s0
; %bb.4152:                             ;   in Loop: Header=BB466_2335 Depth=1
	v_and_b32_e32 v5, 0xffff, v4
	v_or_b32_e32 v6, 0x10000, v4
	s_delay_alu instid0(VALU_DEP_2) | instskip(NEXT) | instid1(VALU_DEP_1)
	v_cmp_eq_u32_e64 s0, 0, v5
	v_cndmask_b32_e64 v6, v6, v4, s0
; %bb.4153:                             ;   in Loop: Header=BB466_2335 Depth=1
	s_or_b32 exec_lo, exec_lo, s9
	v_lshrrev_b32_e32 v8, 16, v20
	v_lshrrev_b32_e32 v9, 16, v19
	;; [unrolled: 1-line block ×8, first 2 shown]
	s_and_saveexec_b32 s9, vcc_lo
	s_cbranch_execz .LBB466_4155
; %bb.4154:                             ;   in Loop: Header=BB466_2335 Depth=1
	v_cmp_lt_i32_e64 s0, v130, v36
	s_delay_alu instid0(VALU_DEP_1) | instskip(SKIP_1) | instid1(VALU_DEP_1)
	v_cndmask_b32_e64 v4, 0, v4, s0
	v_cmp_lt_i32_e64 s0, v133, v36
	v_cndmask_b32_e64 v11, 0, v11, s0
	v_cmp_lt_i32_e64 s0, v132, v36
	s_delay_alu instid0(VALU_DEP_1) | instskip(SKIP_1) | instid1(VALU_DEP_1)
	v_cndmask_b32_e64 v17, 0, v17, s0
	v_cmp_lt_i32_e64 s0, v131, v36
	v_cndmask_b32_e64 v12, 0, v12, s0
	;; [unrolled: 5-line block ×4, first 2 shown]
.LBB466_4155:                           ;   in Loop: Header=BB466_2335 Depth=1
	s_or_b32 exec_lo, exec_lo, s9
	v_lshlrev_b32_e32 v4, 16, v4
                                        ; implicit-def: $vgpr169
	s_delay_alu instid0(VALU_DEP_1) | instskip(NEXT) | instid1(VALU_DEP_1)
	v_mul_f32_e32 v4, v134, v4
	v_and_b32_e32 v5, 0x7f800000, v4
	s_delay_alu instid0(VALU_DEP_1) | instskip(NEXT) | instid1(VALU_DEP_1)
	v_cmp_ne_u32_e64 s0, 0x7f800000, v5
	s_and_saveexec_b32 s9, s0
	s_delay_alu instid0(SALU_CYCLE_1)
	s_xor_b32 s0, exec_lo, s9
; %bb.4156:                             ;   in Loop: Header=BB466_2335 Depth=1
	v_bfe_u32 v5, v4, 16, 1
	s_delay_alu instid0(VALU_DEP_1)
	v_add3_u32 v169, v4, v5, 0x7fff
                                        ; implicit-def: $vgpr4
; %bb.4157:                             ;   in Loop: Header=BB466_2335 Depth=1
	s_and_not1_saveexec_b32 s9, s0
; %bb.4158:                             ;   in Loop: Header=BB466_2335 Depth=1
	v_and_b32_e32 v5, 0xffff, v4
	v_or_b32_e32 v10, 0x10000, v4
	s_delay_alu instid0(VALU_DEP_2) | instskip(NEXT) | instid1(VALU_DEP_1)
	v_cmp_eq_u32_e64 s0, 0, v5
	v_cndmask_b32_e64 v169, v10, v4, s0
; %bb.4159:                             ;   in Loop: Header=BB466_2335 Depth=1
	s_or_b32 exec_lo, exec_lo, s9
	v_lshlrev_b32_e32 v4, 16, v11
                                        ; implicit-def: $vgpr170
	s_delay_alu instid0(VALU_DEP_1) | instskip(NEXT) | instid1(VALU_DEP_1)
	v_mul_f32_e32 v4, v135, v4
	v_and_b32_e32 v5, 0x7f800000, v4
	s_delay_alu instid0(VALU_DEP_1) | instskip(NEXT) | instid1(VALU_DEP_1)
	v_cmp_ne_u32_e64 s0, 0x7f800000, v5
	s_and_saveexec_b32 s9, s0
	s_delay_alu instid0(SALU_CYCLE_1)
	s_xor_b32 s0, exec_lo, s9
; %bb.4160:                             ;   in Loop: Header=BB466_2335 Depth=1
	v_bfe_u32 v5, v4, 16, 1
	s_delay_alu instid0(VALU_DEP_1)
	v_add3_u32 v170, v4, v5, 0x7fff
                                        ; implicit-def: $vgpr4
; %bb.4161:                             ;   in Loop: Header=BB466_2335 Depth=1
	s_and_not1_saveexec_b32 s9, s0
; %bb.4162:                             ;   in Loop: Header=BB466_2335 Depth=1
	v_and_b32_e32 v5, 0xffff, v4
	v_or_b32_e32 v10, 0x10000, v4
	s_delay_alu instid0(VALU_DEP_2) | instskip(NEXT) | instid1(VALU_DEP_1)
	v_cmp_eq_u32_e64 s0, 0, v5
	v_cndmask_b32_e64 v170, v10, v4, s0
; %bb.4163:                             ;   in Loop: Header=BB466_2335 Depth=1
	s_or_b32 exec_lo, exec_lo, s9
	v_lshlrev_b32_e32 v4, 16, v17
                                        ; implicit-def: $vgpr171
	s_delay_alu instid0(VALU_DEP_1) | instskip(NEXT) | instid1(VALU_DEP_1)
	v_mul_f32_e32 v4, v144, v4
	v_and_b32_e32 v5, 0x7f800000, v4
	s_delay_alu instid0(VALU_DEP_1) | instskip(NEXT) | instid1(VALU_DEP_1)
	v_cmp_ne_u32_e64 s0, 0x7f800000, v5
	s_and_saveexec_b32 s9, s0
	s_delay_alu instid0(SALU_CYCLE_1)
	s_xor_b32 s0, exec_lo, s9
; %bb.4164:                             ;   in Loop: Header=BB466_2335 Depth=1
	v_bfe_u32 v5, v4, 16, 1
	s_delay_alu instid0(VALU_DEP_1)
	v_add3_u32 v171, v4, v5, 0x7fff
                                        ; implicit-def: $vgpr4
; %bb.4165:                             ;   in Loop: Header=BB466_2335 Depth=1
	s_and_not1_saveexec_b32 s9, s0
; %bb.4166:                             ;   in Loop: Header=BB466_2335 Depth=1
	v_and_b32_e32 v5, 0xffff, v4
	v_or_b32_e32 v10, 0x10000, v4
	s_delay_alu instid0(VALU_DEP_2) | instskip(NEXT) | instid1(VALU_DEP_1)
	v_cmp_eq_u32_e64 s0, 0, v5
	v_cndmask_b32_e64 v171, v10, v4, s0
; %bb.4167:                             ;   in Loop: Header=BB466_2335 Depth=1
	s_or_b32 exec_lo, exec_lo, s9
	v_lshlrev_b32_e32 v4, 16, v12
                                        ; implicit-def: $vgpr172
	s_delay_alu instid0(VALU_DEP_1) | instskip(NEXT) | instid1(VALU_DEP_1)
	v_mul_f32_e32 v4, v145, v4
	v_and_b32_e32 v5, 0x7f800000, v4
	s_delay_alu instid0(VALU_DEP_1) | instskip(NEXT) | instid1(VALU_DEP_1)
	v_cmp_ne_u32_e64 s0, 0x7f800000, v5
	s_and_saveexec_b32 s9, s0
	s_delay_alu instid0(SALU_CYCLE_1)
	s_xor_b32 s0, exec_lo, s9
; %bb.4168:                             ;   in Loop: Header=BB466_2335 Depth=1
	v_bfe_u32 v5, v4, 16, 1
	s_delay_alu instid0(VALU_DEP_1)
	v_add3_u32 v172, v4, v5, 0x7fff
                                        ; implicit-def: $vgpr4
; %bb.4169:                             ;   in Loop: Header=BB466_2335 Depth=1
	s_and_not1_saveexec_b32 s9, s0
; %bb.4170:                             ;   in Loop: Header=BB466_2335 Depth=1
	v_and_b32_e32 v5, 0xffff, v4
	v_or_b32_e32 v10, 0x10000, v4
	s_delay_alu instid0(VALU_DEP_2) | instskip(NEXT) | instid1(VALU_DEP_1)
	v_cmp_eq_u32_e64 s0, 0, v5
	v_cndmask_b32_e64 v172, v10, v4, s0
; %bb.4171:                             ;   in Loop: Header=BB466_2335 Depth=1
	s_or_b32 exec_lo, exec_lo, s9
	v_lshlrev_b32_e32 v4, 16, v9
                                        ; implicit-def: $vgpr173
	s_delay_alu instid0(VALU_DEP_1) | instskip(NEXT) | instid1(VALU_DEP_1)
	v_mul_f32_e32 v4, v146, v4
	v_and_b32_e32 v5, 0x7f800000, v4
	s_delay_alu instid0(VALU_DEP_1) | instskip(NEXT) | instid1(VALU_DEP_1)
	v_cmp_ne_u32_e64 s0, 0x7f800000, v5
	s_and_saveexec_b32 s9, s0
	s_delay_alu instid0(SALU_CYCLE_1)
	s_xor_b32 s0, exec_lo, s9
; %bb.4172:                             ;   in Loop: Header=BB466_2335 Depth=1
	v_bfe_u32 v5, v4, 16, 1
	s_delay_alu instid0(VALU_DEP_1)
	v_add3_u32 v173, v4, v5, 0x7fff
                                        ; implicit-def: $vgpr4
; %bb.4173:                             ;   in Loop: Header=BB466_2335 Depth=1
	s_and_not1_saveexec_b32 s9, s0
; %bb.4174:                             ;   in Loop: Header=BB466_2335 Depth=1
	v_and_b32_e32 v5, 0xffff, v4
	v_or_b32_e32 v9, 0x10000, v4
	s_delay_alu instid0(VALU_DEP_2) | instskip(NEXT) | instid1(VALU_DEP_1)
	v_cmp_eq_u32_e64 s0, 0, v5
	v_cndmask_b32_e64 v173, v9, v4, s0
; %bb.4175:                             ;   in Loop: Header=BB466_2335 Depth=1
	s_or_b32 exec_lo, exec_lo, s9
	v_lshlrev_b32_e32 v4, 16, v8
                                        ; implicit-def: $vgpr174
	s_delay_alu instid0(VALU_DEP_1) | instskip(NEXT) | instid1(VALU_DEP_1)
	v_mul_f32_e32 v4, v147, v4
	v_and_b32_e32 v5, 0x7f800000, v4
	s_delay_alu instid0(VALU_DEP_1) | instskip(NEXT) | instid1(VALU_DEP_1)
	v_cmp_ne_u32_e64 s0, 0x7f800000, v5
	s_and_saveexec_b32 s9, s0
	s_delay_alu instid0(SALU_CYCLE_1)
	s_xor_b32 s0, exec_lo, s9
; %bb.4176:                             ;   in Loop: Header=BB466_2335 Depth=1
	v_bfe_u32 v5, v4, 16, 1
	s_delay_alu instid0(VALU_DEP_1)
	v_add3_u32 v174, v4, v5, 0x7fff
                                        ; implicit-def: $vgpr4
; %bb.4177:                             ;   in Loop: Header=BB466_2335 Depth=1
	s_and_not1_saveexec_b32 s9, s0
; %bb.4178:                             ;   in Loop: Header=BB466_2335 Depth=1
	v_and_b32_e32 v5, 0xffff, v4
	v_or_b32_e32 v8, 0x10000, v4
	s_delay_alu instid0(VALU_DEP_2) | instskip(NEXT) | instid1(VALU_DEP_1)
	v_cmp_eq_u32_e64 s0, 0, v5
	v_cndmask_b32_e64 v174, v8, v4, s0
; %bb.4179:                             ;   in Loop: Header=BB466_2335 Depth=1
	s_or_b32 exec_lo, exec_lo, s9
	v_lshlrev_b32_e32 v4, 16, v7
                                        ; implicit-def: $vgpr175
	s_delay_alu instid0(VALU_DEP_1) | instskip(NEXT) | instid1(VALU_DEP_1)
	v_mul_f32_e32 v4, v148, v4
	v_and_b32_e32 v5, 0x7f800000, v4
	s_delay_alu instid0(VALU_DEP_1) | instskip(NEXT) | instid1(VALU_DEP_1)
	v_cmp_ne_u32_e64 s0, 0x7f800000, v5
	s_and_saveexec_b32 s9, s0
	s_delay_alu instid0(SALU_CYCLE_1)
	s_xor_b32 s0, exec_lo, s9
; %bb.4180:                             ;   in Loop: Header=BB466_2335 Depth=1
	v_bfe_u32 v5, v4, 16, 1
	s_delay_alu instid0(VALU_DEP_1)
	v_add3_u32 v175, v4, v5, 0x7fff
                                        ; implicit-def: $vgpr4
; %bb.4181:                             ;   in Loop: Header=BB466_2335 Depth=1
	s_and_not1_saveexec_b32 s9, s0
; %bb.4182:                             ;   in Loop: Header=BB466_2335 Depth=1
	v_and_b32_e32 v5, 0xffff, v4
	v_or_b32_e32 v7, 0x10000, v4
	s_delay_alu instid0(VALU_DEP_2) | instskip(NEXT) | instid1(VALU_DEP_1)
	v_cmp_eq_u32_e64 s0, 0, v5
	v_cndmask_b32_e64 v175, v7, v4, s0
; %bb.4183:                             ;   in Loop: Header=BB466_2335 Depth=1
	s_or_b32 exec_lo, exec_lo, s9
	v_lshlrev_b32_e32 v4, 16, v6
                                        ; implicit-def: $vgpr184
	s_delay_alu instid0(VALU_DEP_1) | instskip(NEXT) | instid1(VALU_DEP_1)
	v_mul_f32_e32 v4, v149, v4
	v_and_b32_e32 v5, 0x7f800000, v4
	s_delay_alu instid0(VALU_DEP_1) | instskip(NEXT) | instid1(VALU_DEP_1)
	v_cmp_ne_u32_e64 s0, 0x7f800000, v5
	s_and_saveexec_b32 s9, s0
	s_delay_alu instid0(SALU_CYCLE_1)
	s_xor_b32 s0, exec_lo, s9
; %bb.4184:                             ;   in Loop: Header=BB466_2335 Depth=1
	v_bfe_u32 v5, v4, 16, 1
	s_delay_alu instid0(VALU_DEP_1)
	v_add3_u32 v184, v4, v5, 0x7fff
                                        ; implicit-def: $vgpr4
; %bb.4185:                             ;   in Loop: Header=BB466_2335 Depth=1
	s_and_not1_saveexec_b32 s9, s0
; %bb.4186:                             ;   in Loop: Header=BB466_2335 Depth=1
	v_and_b32_e32 v5, 0xffff, v4
	v_or_b32_e32 v6, 0x10000, v4
	s_delay_alu instid0(VALU_DEP_2) | instskip(NEXT) | instid1(VALU_DEP_1)
	v_cmp_eq_u32_e64 s0, 0, v5
	v_cndmask_b32_e64 v184, v6, v4, s0
; %bb.4187:                             ;   in Loop: Header=BB466_2335 Depth=1
	s_or_b32 exec_lo, exec_lo, s9
	flat_load_b64 v[6:7], v[2:3] offset:3584
	s_mov_b32 s9, exec_lo
	s_waitcnt vmcnt(0) lgkmcnt(0)
	v_dual_mov_b32 v4, 0 :: v_dual_and_b32 v5, 0xff, v6
	s_delay_alu instid0(VALU_DEP_1)
	v_cmpx_ne_u16_e32 0, v5
	s_cbranch_execz .LBB466_4195
; %bb.4188:                             ;   in Loop: Header=BB466_2335 Depth=1
	v_bfrev_b32_e32 v4, 1
	s_mov_b32 s12, exec_lo
	v_cmpx_ne_u16_e32 0x80, v5
	s_cbranch_execz .LBB466_4194
; %bb.4189:                             ;   in Loop: Header=BB466_2335 Depth=1
	v_and_b32_e32 v5, 0x7f, v6
	v_mov_b32_e32 v4, 0x7f800001
	s_mov_b32 s13, exec_lo
	s_delay_alu instid0(VALU_DEP_2)
	v_cmpx_ne_u32_e32 0x7f, v5
	s_cbranch_execz .LBB466_4193
; %bb.4190:                             ;   in Loop: Header=BB466_2335 Depth=1
	v_lshrrev_b32_e32 v4, 3, v5
	v_dual_mov_b32 v9, v7 :: v_dual_mov_b32 v8, v6
	s_mov_b32 s15, exec_lo
	v_cmpx_gt_u32_e32 8, v5
; %bb.4191:                             ;   in Loop: Header=BB466_2335 Depth=1
	v_and_b32_e32 v4, 7, v6
	s_delay_alu instid0(VALU_DEP_1) | instskip(NEXT) | instid1(VALU_DEP_1)
	v_clz_i32_u32_e32 v4, v4
	v_min_u32_e32 v4, 32, v4
	s_delay_alu instid0(VALU_DEP_1) | instskip(SKIP_1) | instid1(VALU_DEP_2)
	v_subrev_nc_u32_e32 v5, 28, v4
	v_sub_nc_u32_e32 v4, 29, v4
	v_lshlrev_b64 v[8:9], v5, v[6:7]
; %bb.4192:                             ;   in Loop: Header=BB466_2335 Depth=1
	s_or_b32 exec_lo, exec_lo, s15
	s_delay_alu instid0(VALU_DEP_1) | instskip(SKIP_2) | instid1(VALU_DEP_3)
	v_lshlrev_b32_e32 v5, 20, v8
	v_lshlrev_b32_e32 v8, 24, v6
	v_lshl_add_u32 v4, v4, 23, 0x3c000000
	v_and_b32_e32 v5, 0x700000, v5
	s_delay_alu instid0(VALU_DEP_3) | instskip(NEXT) | instid1(VALU_DEP_1)
	v_and_b32_e32 v8, 0x80000000, v8
	v_or3_b32 v4, v5, v8, v4
.LBB466_4193:                           ;   in Loop: Header=BB466_2335 Depth=1
	s_or_b32 exec_lo, exec_lo, s13
.LBB466_4194:                           ;   in Loop: Header=BB466_2335 Depth=1
	s_delay_alu instid0(SALU_CYCLE_1)
	s_or_b32 exec_lo, exec_lo, s12
.LBB466_4195:                           ;   in Loop: Header=BB466_2335 Depth=1
	s_delay_alu instid0(SALU_CYCLE_1) | instskip(NEXT) | instid1(VALU_DEP_1)
	s_or_b32 exec_lo, exec_lo, s9
	v_mul_f32_e32 v4, v26, v4
                                        ; implicit-def: $vgpr10
	s_delay_alu instid0(VALU_DEP_1) | instskip(NEXT) | instid1(VALU_DEP_1)
	v_and_b32_e32 v5, 0x7f800000, v4
	v_cmp_ne_u32_e64 s0, 0x7f800000, v5
	s_delay_alu instid0(VALU_DEP_1) | instskip(NEXT) | instid1(SALU_CYCLE_1)
	s_and_saveexec_b32 s9, s0
	s_xor_b32 s0, exec_lo, s9
; %bb.4196:                             ;   in Loop: Header=BB466_2335 Depth=1
	v_bfe_u32 v5, v4, 16, 1
	s_delay_alu instid0(VALU_DEP_1)
	v_add3_u32 v10, v4, v5, 0x7fff
                                        ; implicit-def: $vgpr4
; %bb.4197:                             ;   in Loop: Header=BB466_2335 Depth=1
	s_and_not1_saveexec_b32 s9, s0
; %bb.4198:                             ;   in Loop: Header=BB466_2335 Depth=1
	v_and_b32_e32 v5, 0xffff, v4
	v_or_b32_e32 v8, 0x10000, v4
	s_delay_alu instid0(VALU_DEP_2) | instskip(NEXT) | instid1(VALU_DEP_1)
	v_cmp_eq_u32_e64 s0, 0, v5
	v_cndmask_b32_e64 v10, v8, v4, s0
; %bb.4199:                             ;   in Loop: Header=BB466_2335 Depth=1
	s_or_b32 exec_lo, exec_lo, s9
	v_lshrrev_b16 v5, 8, v6
	v_mov_b32_e32 v4, 0
	s_mov_b32 s9, exec_lo
	s_delay_alu instid0(VALU_DEP_2)
	v_cmpx_ne_u16_e32 0, v5
	s_cbranch_execz .LBB466_4207
; %bb.4200:                             ;   in Loop: Header=BB466_2335 Depth=1
	v_bfrev_b32_e32 v4, 1
	s_mov_b32 s12, exec_lo
	v_cmpx_ne_u16_e32 0x80, v5
	s_cbranch_execz .LBB466_4206
; %bb.4201:                             ;   in Loop: Header=BB466_2335 Depth=1
	v_and_b32_e32 v8, 0xffff, v5
	v_mov_b32_e32 v4, 0x7f800001
	s_mov_b32 s13, exec_lo
	s_delay_alu instid0(VALU_DEP_2) | instskip(NEXT) | instid1(VALU_DEP_1)
	v_and_b32_e32 v5, 0x7f, v8
	v_cmpx_ne_u32_e32 0x7f, v5
	s_cbranch_execz .LBB466_4205
; %bb.4202:                             ;   in Loop: Header=BB466_2335 Depth=1
	v_and_b32_e32 v12, 7, v8
	v_lshrrev_b32_e32 v4, 3, v5
	s_mov_b32 s15, exec_lo
	s_delay_alu instid0(VALU_DEP_2)
	v_dual_mov_b32 v8, v12 :: v_dual_mov_b32 v9, v13
	v_cmpx_gt_u32_e32 8, v5
; %bb.4203:                             ;   in Loop: Header=BB466_2335 Depth=1
	v_clz_i32_u32_e32 v4, v12
	s_delay_alu instid0(VALU_DEP_1) | instskip(NEXT) | instid1(VALU_DEP_1)
	v_min_u32_e32 v4, 32, v4
	v_subrev_nc_u32_e32 v5, 28, v4
	v_sub_nc_u32_e32 v4, 29, v4
	s_delay_alu instid0(VALU_DEP_2) | instskip(NEXT) | instid1(VALU_DEP_1)
	v_lshlrev_b64 v[8:9], v5, v[12:13]
	v_and_b32_e32 v8, 7, v8
; %bb.4204:                             ;   in Loop: Header=BB466_2335 Depth=1
	s_or_b32 exec_lo, exec_lo, s15
	v_lshlrev_b32_e32 v5, 16, v6
	s_delay_alu instid0(VALU_DEP_2) | instskip(SKIP_1) | instid1(VALU_DEP_3)
	v_lshlrev_b32_e32 v8, 20, v8
	v_lshl_add_u32 v4, v4, 23, 0x3c000000
	v_and_b32_e32 v5, 0x80000000, v5
	s_delay_alu instid0(VALU_DEP_1)
	v_or3_b32 v4, v8, v5, v4
.LBB466_4205:                           ;   in Loop: Header=BB466_2335 Depth=1
	s_or_b32 exec_lo, exec_lo, s13
.LBB466_4206:                           ;   in Loop: Header=BB466_2335 Depth=1
	s_delay_alu instid0(SALU_CYCLE_1)
	s_or_b32 exec_lo, exec_lo, s12
.LBB466_4207:                           ;   in Loop: Header=BB466_2335 Depth=1
	s_delay_alu instid0(SALU_CYCLE_1) | instskip(NEXT) | instid1(VALU_DEP_1)
	s_or_b32 exec_lo, exec_lo, s9
	v_mul_f32_e32 v4, v26, v4
                                        ; implicit-def: $vgpr11
	s_delay_alu instid0(VALU_DEP_1) | instskip(NEXT) | instid1(VALU_DEP_1)
	v_and_b32_e32 v5, 0x7f800000, v4
	v_cmp_ne_u32_e64 s0, 0x7f800000, v5
	s_delay_alu instid0(VALU_DEP_1) | instskip(NEXT) | instid1(SALU_CYCLE_1)
	s_and_saveexec_b32 s9, s0
	s_xor_b32 s0, exec_lo, s9
; %bb.4208:                             ;   in Loop: Header=BB466_2335 Depth=1
	v_bfe_u32 v5, v4, 16, 1
	s_delay_alu instid0(VALU_DEP_1)
	v_add3_u32 v11, v4, v5, 0x7fff
                                        ; implicit-def: $vgpr4
; %bb.4209:                             ;   in Loop: Header=BB466_2335 Depth=1
	s_and_not1_saveexec_b32 s9, s0
; %bb.4210:                             ;   in Loop: Header=BB466_2335 Depth=1
	v_and_b32_e32 v5, 0xffff, v4
	v_or_b32_e32 v8, 0x10000, v4
	s_delay_alu instid0(VALU_DEP_2) | instskip(NEXT) | instid1(VALU_DEP_1)
	v_cmp_eq_u32_e64 s0, 0, v5
	v_cndmask_b32_e64 v11, v8, v4, s0
; %bb.4211:                             ;   in Loop: Header=BB466_2335 Depth=1
	s_or_b32 exec_lo, exec_lo, s9
	v_lshrrev_b32_e32 v4, 16, v6
	s_mov_b32 s9, exec_lo
	s_delay_alu instid0(VALU_DEP_1) | instskip(NEXT) | instid1(VALU_DEP_1)
	v_dual_mov_b32 v8, 0 :: v_dual_and_b32 v5, 0xff, v4
	v_cmpx_ne_u16_e32 0, v5
	s_cbranch_execz .LBB466_4219
; %bb.4212:                             ;   in Loop: Header=BB466_2335 Depth=1
	v_bfrev_b32_e32 v8, 1
	s_mov_b32 s12, exec_lo
	v_cmpx_ne_u16_e32 0x80, v5
	s_cbranch_execz .LBB466_4218
; %bb.4213:                             ;   in Loop: Header=BB466_2335 Depth=1
	v_bfe_u32 v5, v6, 16, 7
	v_mov_b32_e32 v8, 0x7f800001
	s_mov_b32 s13, exec_lo
	s_delay_alu instid0(VALU_DEP_2)
	v_cmpx_ne_u32_e32 0x7f, v5
	s_cbranch_execz .LBB466_4217
; %bb.4214:                             ;   in Loop: Header=BB466_2335 Depth=1
	v_and_b32_e32 v12, 7, v4
	v_lshrrev_b32_e32 v17, 3, v5
	s_mov_b32 s15, exec_lo
	s_delay_alu instid0(VALU_DEP_2)
	v_dual_mov_b32 v8, v12 :: v_dual_mov_b32 v9, v13
	v_cmpx_gt_u32_e32 8, v5
; %bb.4215:                             ;   in Loop: Header=BB466_2335 Depth=1
	v_clz_i32_u32_e32 v5, v12
	s_delay_alu instid0(VALU_DEP_1) | instskip(NEXT) | instid1(VALU_DEP_1)
	v_min_u32_e32 v5, 32, v5
	v_subrev_nc_u32_e32 v8, 28, v5
	v_sub_nc_u32_e32 v17, 29, v5
	s_delay_alu instid0(VALU_DEP_2) | instskip(NEXT) | instid1(VALU_DEP_1)
	v_lshlrev_b64 v[8:9], v8, v[12:13]
	v_and_b32_e32 v8, 7, v8
; %bb.4216:                             ;   in Loop: Header=BB466_2335 Depth=1
	s_or_b32 exec_lo, exec_lo, s15
	v_lshlrev_b32_e32 v4, 24, v4
	s_delay_alu instid0(VALU_DEP_2) | instskip(SKIP_1) | instid1(VALU_DEP_3)
	v_lshlrev_b32_e32 v5, 20, v8
	v_lshl_add_u32 v8, v17, 23, 0x3c000000
	v_and_b32_e32 v4, 0x80000000, v4
	s_delay_alu instid0(VALU_DEP_1)
	v_or3_b32 v8, v5, v4, v8
.LBB466_4217:                           ;   in Loop: Header=BB466_2335 Depth=1
	s_or_b32 exec_lo, exec_lo, s13
.LBB466_4218:                           ;   in Loop: Header=BB466_2335 Depth=1
	s_delay_alu instid0(SALU_CYCLE_1)
	s_or_b32 exec_lo, exec_lo, s12
.LBB466_4219:                           ;   in Loop: Header=BB466_2335 Depth=1
	s_delay_alu instid0(SALU_CYCLE_1) | instskip(NEXT) | instid1(VALU_DEP_1)
	s_or_b32 exec_lo, exec_lo, s9
	v_mul_f32_e32 v4, v26, v8
                                        ; implicit-def: $vgpr17
	s_delay_alu instid0(VALU_DEP_1) | instskip(NEXT) | instid1(VALU_DEP_1)
	v_and_b32_e32 v5, 0x7f800000, v4
	v_cmp_ne_u32_e64 s0, 0x7f800000, v5
	s_delay_alu instid0(VALU_DEP_1) | instskip(NEXT) | instid1(SALU_CYCLE_1)
	s_and_saveexec_b32 s9, s0
	s_xor_b32 s0, exec_lo, s9
; %bb.4220:                             ;   in Loop: Header=BB466_2335 Depth=1
	v_bfe_u32 v5, v4, 16, 1
	s_delay_alu instid0(VALU_DEP_1)
	v_add3_u32 v17, v4, v5, 0x7fff
                                        ; implicit-def: $vgpr4
; %bb.4221:                             ;   in Loop: Header=BB466_2335 Depth=1
	s_and_not1_saveexec_b32 s9, s0
; %bb.4222:                             ;   in Loop: Header=BB466_2335 Depth=1
	v_and_b32_e32 v5, 0xffff, v4
	v_or_b32_e32 v8, 0x10000, v4
	s_delay_alu instid0(VALU_DEP_2) | instskip(NEXT) | instid1(VALU_DEP_1)
	v_cmp_eq_u32_e64 s0, 0, v5
	v_cndmask_b32_e64 v17, v8, v4, s0
; %bb.4223:                             ;   in Loop: Header=BB466_2335 Depth=1
	s_or_b32 exec_lo, exec_lo, s9
	v_mov_b32_e32 v8, 0
	s_mov_b32 s9, exec_lo
	v_cmpx_lt_u32_e32 0xffffff, v6
	s_cbranch_execz .LBB466_4231
; %bb.4224:                             ;   in Loop: Header=BB466_2335 Depth=1
	v_lshrrev_b32_e32 v4, 24, v6
	v_bfrev_b32_e32 v8, 1
	s_mov_b32 s12, exec_lo
	s_delay_alu instid0(VALU_DEP_2)
	v_cmpx_ne_u32_e32 0x80, v4
	s_cbranch_execz .LBB466_4230
; %bb.4225:                             ;   in Loop: Header=BB466_2335 Depth=1
	v_bfe_u32 v5, v6, 24, 7
	v_mov_b32_e32 v8, 0x7f800001
	s_mov_b32 s13, exec_lo
	s_delay_alu instid0(VALU_DEP_2)
	v_cmpx_ne_u32_e32 0x7f, v5
	s_cbranch_execz .LBB466_4229
; %bb.4226:                             ;   in Loop: Header=BB466_2335 Depth=1
	v_and_b32_e32 v12, 7, v4
	v_lshrrev_b32_e32 v18, 3, v5
	s_mov_b32 s15, exec_lo
	s_delay_alu instid0(VALU_DEP_2)
	v_dual_mov_b32 v8, v12 :: v_dual_mov_b32 v9, v13
	v_cmpx_gt_u32_e32 8, v5
; %bb.4227:                             ;   in Loop: Header=BB466_2335 Depth=1
	v_clz_i32_u32_e32 v5, v12
	s_delay_alu instid0(VALU_DEP_1) | instskip(NEXT) | instid1(VALU_DEP_1)
	v_min_u32_e32 v5, 32, v5
	v_subrev_nc_u32_e32 v8, 28, v5
	v_sub_nc_u32_e32 v18, 29, v5
	s_delay_alu instid0(VALU_DEP_2) | instskip(NEXT) | instid1(VALU_DEP_1)
	v_lshlrev_b64 v[8:9], v8, v[12:13]
	v_and_b32_e32 v8, 7, v8
; %bb.4228:                             ;   in Loop: Header=BB466_2335 Depth=1
	s_or_b32 exec_lo, exec_lo, s15
	v_lshlrev_b32_e32 v4, 24, v4
	s_delay_alu instid0(VALU_DEP_2) | instskip(SKIP_1) | instid1(VALU_DEP_3)
	v_lshlrev_b32_e32 v5, 20, v8
	v_lshl_add_u32 v8, v18, 23, 0x3c000000
	v_and_b32_e32 v4, 0x80000000, v4
	s_delay_alu instid0(VALU_DEP_1)
	v_or3_b32 v8, v5, v4, v8
.LBB466_4229:                           ;   in Loop: Header=BB466_2335 Depth=1
	s_or_b32 exec_lo, exec_lo, s13
.LBB466_4230:                           ;   in Loop: Header=BB466_2335 Depth=1
	s_delay_alu instid0(SALU_CYCLE_1)
	s_or_b32 exec_lo, exec_lo, s12
.LBB466_4231:                           ;   in Loop: Header=BB466_2335 Depth=1
	s_delay_alu instid0(SALU_CYCLE_1) | instskip(NEXT) | instid1(VALU_DEP_1)
	s_or_b32 exec_lo, exec_lo, s9
	v_mul_f32_e32 v4, v26, v8
                                        ; implicit-def: $vgpr18
	s_delay_alu instid0(VALU_DEP_1) | instskip(NEXT) | instid1(VALU_DEP_1)
	v_and_b32_e32 v5, 0x7f800000, v4
	v_cmp_ne_u32_e64 s0, 0x7f800000, v5
	s_delay_alu instid0(VALU_DEP_1) | instskip(NEXT) | instid1(SALU_CYCLE_1)
	s_and_saveexec_b32 s9, s0
	s_xor_b32 s0, exec_lo, s9
; %bb.4232:                             ;   in Loop: Header=BB466_2335 Depth=1
	v_bfe_u32 v5, v4, 16, 1
	s_delay_alu instid0(VALU_DEP_1)
	v_add3_u32 v18, v4, v5, 0x7fff
                                        ; implicit-def: $vgpr4
; %bb.4233:                             ;   in Loop: Header=BB466_2335 Depth=1
	s_and_not1_saveexec_b32 s9, s0
; %bb.4234:                             ;   in Loop: Header=BB466_2335 Depth=1
	v_and_b32_e32 v5, 0xffff, v4
	v_or_b32_e32 v8, 0x10000, v4
	s_delay_alu instid0(VALU_DEP_2) | instskip(NEXT) | instid1(VALU_DEP_1)
	v_cmp_eq_u32_e64 s0, 0, v5
	v_cndmask_b32_e64 v18, v8, v4, s0
; %bb.4235:                             ;   in Loop: Header=BB466_2335 Depth=1
	s_or_b32 exec_lo, exec_lo, s9
	v_dual_mov_b32 v12, v7 :: v_dual_and_b32 v5, 0xff, v7
	v_mov_b32_e32 v4, 0
	s_mov_b32 s9, exec_lo
	s_delay_alu instid0(VALU_DEP_2)
	v_cmpx_ne_u16_e32 0, v5
	s_cbranch_execz .LBB466_4243
; %bb.4236:                             ;   in Loop: Header=BB466_2335 Depth=1
	v_bfrev_b32_e32 v4, 1
	s_mov_b32 s12, exec_lo
	v_cmpx_ne_u16_e32 0x80, v5
	s_cbranch_execz .LBB466_4242
; %bb.4237:                             ;   in Loop: Header=BB466_2335 Depth=1
	v_and_b32_e32 v5, 0x7f, v7
	v_mov_b32_e32 v4, 0x7f800001
	s_mov_b32 s13, exec_lo
	s_delay_alu instid0(VALU_DEP_2)
	v_cmpx_ne_u32_e32 0x7f, v5
	s_cbranch_execz .LBB466_4241
; %bb.4238:                             ;   in Loop: Header=BB466_2335 Depth=1
	v_lshrrev_b32_e32 v4, 3, v5
	v_dual_mov_b32 v8, v12 :: v_dual_mov_b32 v9, v13
	s_mov_b32 s15, exec_lo
	v_cmpx_gt_u32_e32 8, v5
; %bb.4239:                             ;   in Loop: Header=BB466_2335 Depth=1
	v_and_b32_e32 v4, 7, v7
	s_delay_alu instid0(VALU_DEP_1) | instskip(NEXT) | instid1(VALU_DEP_1)
	v_clz_i32_u32_e32 v4, v4
	v_min_u32_e32 v4, 32, v4
	s_delay_alu instid0(VALU_DEP_1) | instskip(SKIP_1) | instid1(VALU_DEP_2)
	v_subrev_nc_u32_e32 v5, 28, v4
	v_sub_nc_u32_e32 v4, 29, v4
	v_lshlrev_b64 v[8:9], v5, v[12:13]
; %bb.4240:                             ;   in Loop: Header=BB466_2335 Depth=1
	s_or_b32 exec_lo, exec_lo, s15
	s_delay_alu instid0(VALU_DEP_1) | instskip(SKIP_2) | instid1(VALU_DEP_3)
	v_lshlrev_b32_e32 v5, 20, v8
	v_lshlrev_b32_e32 v8, 24, v12
	v_lshl_add_u32 v4, v4, 23, 0x3c000000
	v_and_b32_e32 v5, 0x700000, v5
	s_delay_alu instid0(VALU_DEP_3) | instskip(NEXT) | instid1(VALU_DEP_1)
	v_and_b32_e32 v8, 0x80000000, v8
	v_or3_b32 v4, v5, v8, v4
.LBB466_4241:                           ;   in Loop: Header=BB466_2335 Depth=1
	s_or_b32 exec_lo, exec_lo, s13
.LBB466_4242:                           ;   in Loop: Header=BB466_2335 Depth=1
	s_delay_alu instid0(SALU_CYCLE_1)
	s_or_b32 exec_lo, exec_lo, s12
.LBB466_4243:                           ;   in Loop: Header=BB466_2335 Depth=1
	s_delay_alu instid0(SALU_CYCLE_1) | instskip(NEXT) | instid1(VALU_DEP_1)
	s_or_b32 exec_lo, exec_lo, s9
	v_mul_f32_e32 v4, v26, v4
                                        ; implicit-def: $vgpr19
	s_delay_alu instid0(VALU_DEP_1) | instskip(NEXT) | instid1(VALU_DEP_1)
	v_and_b32_e32 v5, 0x7f800000, v4
	v_cmp_ne_u32_e64 s0, 0x7f800000, v5
	s_delay_alu instid0(VALU_DEP_1) | instskip(NEXT) | instid1(SALU_CYCLE_1)
	s_and_saveexec_b32 s9, s0
	s_xor_b32 s0, exec_lo, s9
; %bb.4244:                             ;   in Loop: Header=BB466_2335 Depth=1
	v_bfe_u32 v5, v4, 16, 1
	s_delay_alu instid0(VALU_DEP_1)
	v_add3_u32 v19, v4, v5, 0x7fff
                                        ; implicit-def: $vgpr4
; %bb.4245:                             ;   in Loop: Header=BB466_2335 Depth=1
	s_and_not1_saveexec_b32 s9, s0
; %bb.4246:                             ;   in Loop: Header=BB466_2335 Depth=1
	v_and_b32_e32 v5, 0xffff, v4
	v_or_b32_e32 v8, 0x10000, v4
	s_delay_alu instid0(VALU_DEP_2) | instskip(NEXT) | instid1(VALU_DEP_1)
	v_cmp_eq_u32_e64 s0, 0, v5
	v_cndmask_b32_e64 v19, v8, v4, s0
; %bb.4247:                             ;   in Loop: Header=BB466_2335 Depth=1
	s_or_b32 exec_lo, exec_lo, s9
	v_lshrrev_b16 v5, 8, v12
	v_mov_b32_e32 v4, 0
	s_mov_b32 s9, exec_lo
	s_delay_alu instid0(VALU_DEP_2)
	v_cmpx_ne_u16_e32 0, v5
	s_cbranch_execz .LBB466_4255
; %bb.4248:                             ;   in Loop: Header=BB466_2335 Depth=1
	v_bfrev_b32_e32 v4, 1
	s_mov_b32 s12, exec_lo
	v_cmpx_ne_u16_e32 0x80, v5
	s_cbranch_execz .LBB466_4254
; %bb.4249:                             ;   in Loop: Header=BB466_2335 Depth=1
	v_and_b32_e32 v8, 0xffff, v5
	v_mov_b32_e32 v4, 0x7f800001
	s_mov_b32 s13, exec_lo
	s_delay_alu instid0(VALU_DEP_2) | instskip(NEXT) | instid1(VALU_DEP_1)
	v_and_b32_e32 v5, 0x7f, v8
	v_cmpx_ne_u32_e32 0x7f, v5
	s_cbranch_execz .LBB466_4253
; %bb.4250:                             ;   in Loop: Header=BB466_2335 Depth=1
	v_dual_mov_b32 v9, v13 :: v_dual_and_b32 v8, 7, v8
	v_lshrrev_b32_e32 v4, 3, v5
	s_mov_b32 s15, exec_lo
	v_cmpx_gt_u32_e32 8, v5
; %bb.4251:                             ;   in Loop: Header=BB466_2335 Depth=1
	s_delay_alu instid0(VALU_DEP_3) | instskip(NEXT) | instid1(VALU_DEP_1)
	v_clz_i32_u32_e32 v4, v8
	v_min_u32_e32 v4, 32, v4
	s_delay_alu instid0(VALU_DEP_1) | instskip(SKIP_1) | instid1(VALU_DEP_2)
	v_subrev_nc_u32_e32 v5, 28, v4
	v_sub_nc_u32_e32 v4, 29, v4
	v_lshlrev_b64 v[8:9], v5, v[8:9]
	s_delay_alu instid0(VALU_DEP_1)
	v_and_b32_e32 v8, 7, v8
; %bb.4252:                             ;   in Loop: Header=BB466_2335 Depth=1
	s_or_b32 exec_lo, exec_lo, s15
	v_lshlrev_b32_e32 v5, 16, v12
	s_delay_alu instid0(VALU_DEP_2) | instskip(SKIP_1) | instid1(VALU_DEP_3)
	v_lshlrev_b32_e32 v8, 20, v8
	v_lshl_add_u32 v4, v4, 23, 0x3c000000
	v_and_b32_e32 v5, 0x80000000, v5
	s_delay_alu instid0(VALU_DEP_1)
	v_or3_b32 v4, v8, v5, v4
.LBB466_4253:                           ;   in Loop: Header=BB466_2335 Depth=1
	s_or_b32 exec_lo, exec_lo, s13
.LBB466_4254:                           ;   in Loop: Header=BB466_2335 Depth=1
	s_delay_alu instid0(SALU_CYCLE_1)
	s_or_b32 exec_lo, exec_lo, s12
.LBB466_4255:                           ;   in Loop: Header=BB466_2335 Depth=1
	s_delay_alu instid0(SALU_CYCLE_1) | instskip(NEXT) | instid1(VALU_DEP_1)
	s_or_b32 exec_lo, exec_lo, s9
	v_mul_f32_e32 v4, v26, v4
                                        ; implicit-def: $vgpr20
	s_delay_alu instid0(VALU_DEP_1) | instskip(NEXT) | instid1(VALU_DEP_1)
	v_and_b32_e32 v5, 0x7f800000, v4
	v_cmp_ne_u32_e64 s0, 0x7f800000, v5
	s_delay_alu instid0(VALU_DEP_1) | instskip(NEXT) | instid1(SALU_CYCLE_1)
	s_and_saveexec_b32 s9, s0
	s_xor_b32 s0, exec_lo, s9
; %bb.4256:                             ;   in Loop: Header=BB466_2335 Depth=1
	v_bfe_u32 v5, v4, 16, 1
	s_delay_alu instid0(VALU_DEP_1)
	v_add3_u32 v20, v4, v5, 0x7fff
                                        ; implicit-def: $vgpr4
; %bb.4257:                             ;   in Loop: Header=BB466_2335 Depth=1
	s_and_not1_saveexec_b32 s9, s0
; %bb.4258:                             ;   in Loop: Header=BB466_2335 Depth=1
	v_and_b32_e32 v5, 0xffff, v4
	v_or_b32_e32 v8, 0x10000, v4
	s_delay_alu instid0(VALU_DEP_2) | instskip(NEXT) | instid1(VALU_DEP_1)
	v_cmp_eq_u32_e64 s0, 0, v5
	v_cndmask_b32_e64 v20, v8, v4, s0
; %bb.4259:                             ;   in Loop: Header=BB466_2335 Depth=1
	s_or_b32 exec_lo, exec_lo, s9
	v_lshrrev_b32_e32 v4, 16, v7
	s_mov_b32 s9, exec_lo
	s_delay_alu instid0(VALU_DEP_1) | instskip(NEXT) | instid1(VALU_DEP_1)
	v_dual_mov_b32 v8, 0 :: v_dual_and_b32 v5, 0xff, v4
	v_cmpx_ne_u16_e32 0, v5
	s_cbranch_execz .LBB466_4267
; %bb.4260:                             ;   in Loop: Header=BB466_2335 Depth=1
	v_bfrev_b32_e32 v8, 1
	s_mov_b32 s12, exec_lo
	v_cmpx_ne_u16_e32 0x80, v5
	s_cbranch_execz .LBB466_4266
; %bb.4261:                             ;   in Loop: Header=BB466_2335 Depth=1
	v_bfe_u32 v5, v7, 16, 7
	v_mov_b32_e32 v8, 0x7f800001
	s_mov_b32 s13, exec_lo
	s_delay_alu instid0(VALU_DEP_2)
	v_cmpx_ne_u32_e32 0x7f, v5
	s_cbranch_execz .LBB466_4265
; %bb.4262:                             ;   in Loop: Header=BB466_2335 Depth=1
	v_and_b32_e32 v12, 7, v4
	v_lshrrev_b32_e32 v22, 3, v5
	s_mov_b32 s15, exec_lo
	s_delay_alu instid0(VALU_DEP_2)
	v_dual_mov_b32 v8, v12 :: v_dual_mov_b32 v9, v13
	v_cmpx_gt_u32_e32 8, v5
; %bb.4263:                             ;   in Loop: Header=BB466_2335 Depth=1
	v_clz_i32_u32_e32 v5, v12
	s_delay_alu instid0(VALU_DEP_1) | instskip(NEXT) | instid1(VALU_DEP_1)
	v_min_u32_e32 v5, 32, v5
	v_subrev_nc_u32_e32 v8, 28, v5
	v_sub_nc_u32_e32 v22, 29, v5
	s_delay_alu instid0(VALU_DEP_2) | instskip(NEXT) | instid1(VALU_DEP_1)
	v_lshlrev_b64 v[8:9], v8, v[12:13]
	v_and_b32_e32 v8, 7, v8
; %bb.4264:                             ;   in Loop: Header=BB466_2335 Depth=1
	s_or_b32 exec_lo, exec_lo, s15
	v_lshlrev_b32_e32 v4, 24, v4
	s_delay_alu instid0(VALU_DEP_2) | instskip(SKIP_1) | instid1(VALU_DEP_3)
	v_lshlrev_b32_e32 v5, 20, v8
	v_lshl_add_u32 v8, v22, 23, 0x3c000000
	v_and_b32_e32 v4, 0x80000000, v4
	s_delay_alu instid0(VALU_DEP_1)
	v_or3_b32 v8, v5, v4, v8
.LBB466_4265:                           ;   in Loop: Header=BB466_2335 Depth=1
	s_or_b32 exec_lo, exec_lo, s13
.LBB466_4266:                           ;   in Loop: Header=BB466_2335 Depth=1
	s_delay_alu instid0(SALU_CYCLE_1)
	s_or_b32 exec_lo, exec_lo, s12
.LBB466_4267:                           ;   in Loop: Header=BB466_2335 Depth=1
	s_delay_alu instid0(SALU_CYCLE_1) | instskip(NEXT) | instid1(VALU_DEP_1)
	s_or_b32 exec_lo, exec_lo, s9
	v_mul_f32_e32 v4, v26, v8
                                        ; implicit-def: $vgpr8
	s_delay_alu instid0(VALU_DEP_1) | instskip(NEXT) | instid1(VALU_DEP_1)
	v_and_b32_e32 v5, 0x7f800000, v4
	v_cmp_ne_u32_e64 s0, 0x7f800000, v5
	s_delay_alu instid0(VALU_DEP_1) | instskip(NEXT) | instid1(SALU_CYCLE_1)
	s_and_saveexec_b32 s9, s0
	s_xor_b32 s0, exec_lo, s9
; %bb.4268:                             ;   in Loop: Header=BB466_2335 Depth=1
	v_bfe_u32 v5, v4, 16, 1
	s_delay_alu instid0(VALU_DEP_1)
	v_add3_u32 v8, v4, v5, 0x7fff
                                        ; implicit-def: $vgpr4
; %bb.4269:                             ;   in Loop: Header=BB466_2335 Depth=1
	s_and_not1_saveexec_b32 s9, s0
; %bb.4270:                             ;   in Loop: Header=BB466_2335 Depth=1
	v_and_b32_e32 v5, 0xffff, v4
	v_or_b32_e32 v8, 0x10000, v4
	s_delay_alu instid0(VALU_DEP_2) | instskip(NEXT) | instid1(VALU_DEP_1)
	v_cmp_eq_u32_e64 s0, 0, v5
	v_cndmask_b32_e64 v8, v8, v4, s0
; %bb.4271:                             ;   in Loop: Header=BB466_2335 Depth=1
	s_or_b32 exec_lo, exec_lo, s9
	v_cmp_lt_u64_e64 s0, s[2:3], v[6:7]
	v_mov_b32_e32 v6, 0
	s_delay_alu instid0(VALU_DEP_2)
	s_and_saveexec_b32 s9, s0
	s_cbranch_execz .LBB466_4279
; %bb.4272:                             ;   in Loop: Header=BB466_2335 Depth=1
	v_lshrrev_b32_e32 v4, 24, v7
	v_bfrev_b32_e32 v6, 1
	s_mov_b32 s12, exec_lo
	s_delay_alu instid0(VALU_DEP_2)
	v_cmpx_ne_u32_e32 0x80, v4
	s_cbranch_execz .LBB466_4278
; %bb.4273:                             ;   in Loop: Header=BB466_2335 Depth=1
	v_bfe_u32 v5, v7, 24, 7
	v_mov_b32_e32 v6, 0x7f800001
	s_mov_b32 s13, exec_lo
	s_delay_alu instid0(VALU_DEP_2)
	v_cmpx_ne_u32_e32 0x7f, v5
	s_cbranch_execz .LBB466_4277
; %bb.4274:                             ;   in Loop: Header=BB466_2335 Depth=1
	v_and_b32_e32 v12, 7, v4
	v_lshrrev_b32_e32 v9, 3, v5
	s_mov_b32 s15, exec_lo
	s_delay_alu instid0(VALU_DEP_2)
	v_dual_mov_b32 v6, v12 :: v_dual_mov_b32 v7, v13
	v_cmpx_gt_u32_e32 8, v5
; %bb.4275:                             ;   in Loop: Header=BB466_2335 Depth=1
	v_clz_i32_u32_e32 v5, v12
	s_delay_alu instid0(VALU_DEP_1) | instskip(NEXT) | instid1(VALU_DEP_1)
	v_min_u32_e32 v7, 32, v5
	v_subrev_nc_u32_e32 v5, 28, v7
	v_sub_nc_u32_e32 v9, 29, v7
	s_delay_alu instid0(VALU_DEP_2) | instskip(NEXT) | instid1(VALU_DEP_1)
	v_lshlrev_b64 v[5:6], v5, v[12:13]
	v_and_b32_e32 v6, 7, v5
; %bb.4276:                             ;   in Loop: Header=BB466_2335 Depth=1
	s_or_b32 exec_lo, exec_lo, s15
	v_lshlrev_b32_e32 v4, 24, v4
	s_delay_alu instid0(VALU_DEP_2) | instskip(SKIP_1) | instid1(VALU_DEP_3)
	v_lshlrev_b32_e32 v5, 20, v6
	v_lshl_add_u32 v6, v9, 23, 0x3c000000
	v_and_b32_e32 v4, 0x80000000, v4
	s_delay_alu instid0(VALU_DEP_1)
	v_or3_b32 v6, v5, v4, v6
.LBB466_4277:                           ;   in Loop: Header=BB466_2335 Depth=1
	s_or_b32 exec_lo, exec_lo, s13
.LBB466_4278:                           ;   in Loop: Header=BB466_2335 Depth=1
	s_delay_alu instid0(SALU_CYCLE_1)
	s_or_b32 exec_lo, exec_lo, s12
.LBB466_4279:                           ;   in Loop: Header=BB466_2335 Depth=1
	s_delay_alu instid0(SALU_CYCLE_1) | instskip(NEXT) | instid1(VALU_DEP_1)
	s_or_b32 exec_lo, exec_lo, s9
	v_mul_f32_e32 v4, v26, v6
                                        ; implicit-def: $vgpr6
	s_delay_alu instid0(VALU_DEP_1) | instskip(NEXT) | instid1(VALU_DEP_1)
	v_and_b32_e32 v5, 0x7f800000, v4
	v_cmp_ne_u32_e64 s0, 0x7f800000, v5
	s_delay_alu instid0(VALU_DEP_1) | instskip(NEXT) | instid1(SALU_CYCLE_1)
	s_and_saveexec_b32 s9, s0
	s_xor_b32 s0, exec_lo, s9
; %bb.4280:                             ;   in Loop: Header=BB466_2335 Depth=1
	v_bfe_u32 v5, v4, 16, 1
	s_delay_alu instid0(VALU_DEP_1)
	v_add3_u32 v6, v4, v5, 0x7fff
                                        ; implicit-def: $vgpr4
; %bb.4281:                             ;   in Loop: Header=BB466_2335 Depth=1
	s_and_not1_saveexec_b32 s9, s0
; %bb.4282:                             ;   in Loop: Header=BB466_2335 Depth=1
	v_and_b32_e32 v5, 0xffff, v4
	v_or_b32_e32 v6, 0x10000, v4
	s_delay_alu instid0(VALU_DEP_2) | instskip(NEXT) | instid1(VALU_DEP_1)
	v_cmp_eq_u32_e64 s0, 0, v5
	v_cndmask_b32_e64 v6, v6, v4, s0
; %bb.4283:                             ;   in Loop: Header=BB466_2335 Depth=1
	s_or_b32 exec_lo, exec_lo, s9
	v_lshrrev_b32_e32 v12, 16, v20
	v_lshrrev_b32_e32 v19, 16, v19
	;; [unrolled: 1-line block ×8, first 2 shown]
	s_and_saveexec_b32 s9, vcc_lo
	s_cbranch_execz .LBB466_4285
; %bb.4284:                             ;   in Loop: Header=BB466_2335 Depth=1
	v_cmp_lt_i32_e64 s0, v130, v36
	s_delay_alu instid0(VALU_DEP_1) | instskip(SKIP_1) | instid1(VALU_DEP_1)
	v_cndmask_b32_e64 v4, 0, v4, s0
	v_cmp_lt_i32_e64 s0, v133, v36
	v_cndmask_b32_e64 v9, 0, v9, s0
	v_cmp_lt_i32_e64 s0, v132, v36
	s_delay_alu instid0(VALU_DEP_1) | instskip(SKIP_1) | instid1(VALU_DEP_1)
	v_cndmask_b32_e64 v17, 0, v17, s0
	v_cmp_lt_i32_e64 s0, v131, v36
	v_cndmask_b32_e64 v18, 0, v18, s0
	;; [unrolled: 5-line block ×4, first 2 shown]
.LBB466_4285:                           ;   in Loop: Header=BB466_2335 Depth=1
	s_or_b32 exec_lo, exec_lo, s9
	v_lshlrev_b32_e32 v4, 16, v4
                                        ; implicit-def: $vgpr8
	s_delay_alu instid0(VALU_DEP_1) | instskip(NEXT) | instid1(VALU_DEP_1)
	v_mul_f32_e32 v4, v134, v4
	v_and_b32_e32 v5, 0x7f800000, v4
	s_delay_alu instid0(VALU_DEP_1) | instskip(NEXT) | instid1(VALU_DEP_1)
	v_cmp_ne_u32_e64 s0, 0x7f800000, v5
	s_and_saveexec_b32 s9, s0
	s_delay_alu instid0(SALU_CYCLE_1)
	s_xor_b32 s0, exec_lo, s9
; %bb.4286:                             ;   in Loop: Header=BB466_2335 Depth=1
	v_bfe_u32 v5, v4, 16, 1
	s_delay_alu instid0(VALU_DEP_1)
	v_add3_u32 v8, v4, v5, 0x7fff
                                        ; implicit-def: $vgpr4
; %bb.4287:                             ;   in Loop: Header=BB466_2335 Depth=1
	s_and_not1_saveexec_b32 s9, s0
; %bb.4288:                             ;   in Loop: Header=BB466_2335 Depth=1
	v_and_b32_e32 v5, 0xffff, v4
	v_or_b32_e32 v8, 0x10000, v4
	s_delay_alu instid0(VALU_DEP_2) | instskip(NEXT) | instid1(VALU_DEP_1)
	v_cmp_eq_u32_e64 s0, 0, v5
	v_cndmask_b32_e64 v8, v8, v4, s0
; %bb.4289:                             ;   in Loop: Header=BB466_2335 Depth=1
	s_or_b32 exec_lo, exec_lo, s9
	v_lshlrev_b32_e32 v4, 16, v9
                                        ; implicit-def: $vgpr9
	s_delay_alu instid0(VALU_DEP_1) | instskip(NEXT) | instid1(VALU_DEP_1)
	v_mul_f32_e32 v4, v135, v4
	v_and_b32_e32 v5, 0x7f800000, v4
	s_delay_alu instid0(VALU_DEP_1) | instskip(NEXT) | instid1(VALU_DEP_1)
	v_cmp_ne_u32_e64 s0, 0x7f800000, v5
	s_and_saveexec_b32 s9, s0
	s_delay_alu instid0(SALU_CYCLE_1)
	s_xor_b32 s0, exec_lo, s9
; %bb.4290:                             ;   in Loop: Header=BB466_2335 Depth=1
	v_bfe_u32 v5, v4, 16, 1
	s_delay_alu instid0(VALU_DEP_1)
	v_add3_u32 v9, v4, v5, 0x7fff
                                        ; implicit-def: $vgpr4
; %bb.4291:                             ;   in Loop: Header=BB466_2335 Depth=1
	s_and_not1_saveexec_b32 s9, s0
; %bb.4292:                             ;   in Loop: Header=BB466_2335 Depth=1
	v_and_b32_e32 v5, 0xffff, v4
	v_or_b32_e32 v9, 0x10000, v4
	s_delay_alu instid0(VALU_DEP_2) | instskip(NEXT) | instid1(VALU_DEP_1)
	v_cmp_eq_u32_e64 s0, 0, v5
	v_cndmask_b32_e64 v9, v9, v4, s0
; %bb.4293:                             ;   in Loop: Header=BB466_2335 Depth=1
	s_or_b32 exec_lo, exec_lo, s9
	v_lshlrev_b32_e32 v4, 16, v17
                                        ; implicit-def: $vgpr185
	s_delay_alu instid0(VALU_DEP_1) | instskip(NEXT) | instid1(VALU_DEP_1)
	v_mul_f32_e32 v4, v144, v4
	v_and_b32_e32 v5, 0x7f800000, v4
	s_delay_alu instid0(VALU_DEP_1) | instskip(NEXT) | instid1(VALU_DEP_1)
	v_cmp_ne_u32_e64 s0, 0x7f800000, v5
	s_and_saveexec_b32 s9, s0
	s_delay_alu instid0(SALU_CYCLE_1)
	s_xor_b32 s0, exec_lo, s9
; %bb.4294:                             ;   in Loop: Header=BB466_2335 Depth=1
	v_bfe_u32 v5, v4, 16, 1
	s_delay_alu instid0(VALU_DEP_1)
	v_add3_u32 v185, v4, v5, 0x7fff
                                        ; implicit-def: $vgpr4
; %bb.4295:                             ;   in Loop: Header=BB466_2335 Depth=1
	s_and_not1_saveexec_b32 s9, s0
; %bb.4296:                             ;   in Loop: Header=BB466_2335 Depth=1
	v_and_b32_e32 v5, 0xffff, v4
	v_or_b32_e32 v10, 0x10000, v4
	s_delay_alu instid0(VALU_DEP_2) | instskip(NEXT) | instid1(VALU_DEP_1)
	v_cmp_eq_u32_e64 s0, 0, v5
	v_cndmask_b32_e64 v185, v10, v4, s0
; %bb.4297:                             ;   in Loop: Header=BB466_2335 Depth=1
	s_or_b32 exec_lo, exec_lo, s9
	v_lshlrev_b32_e32 v4, 16, v18
                                        ; implicit-def: $vgpr186
	s_delay_alu instid0(VALU_DEP_1) | instskip(NEXT) | instid1(VALU_DEP_1)
	v_mul_f32_e32 v4, v145, v4
	v_and_b32_e32 v5, 0x7f800000, v4
	s_delay_alu instid0(VALU_DEP_1) | instskip(NEXT) | instid1(VALU_DEP_1)
	v_cmp_ne_u32_e64 s0, 0x7f800000, v5
	s_and_saveexec_b32 s9, s0
	s_delay_alu instid0(SALU_CYCLE_1)
	s_xor_b32 s0, exec_lo, s9
; %bb.4298:                             ;   in Loop: Header=BB466_2335 Depth=1
	v_bfe_u32 v5, v4, 16, 1
	s_delay_alu instid0(VALU_DEP_1)
	v_add3_u32 v186, v4, v5, 0x7fff
                                        ; implicit-def: $vgpr4
; %bb.4299:                             ;   in Loop: Header=BB466_2335 Depth=1
	s_and_not1_saveexec_b32 s9, s0
; %bb.4300:                             ;   in Loop: Header=BB466_2335 Depth=1
	v_and_b32_e32 v5, 0xffff, v4
	v_or_b32_e32 v10, 0x10000, v4
	s_delay_alu instid0(VALU_DEP_2) | instskip(NEXT) | instid1(VALU_DEP_1)
	v_cmp_eq_u32_e64 s0, 0, v5
	v_cndmask_b32_e64 v186, v10, v4, s0
; %bb.4301:                             ;   in Loop: Header=BB466_2335 Depth=1
	s_or_b32 exec_lo, exec_lo, s9
	v_lshlrev_b32_e32 v4, 16, v19
                                        ; implicit-def: $vgpr187
	s_delay_alu instid0(VALU_DEP_1) | instskip(NEXT) | instid1(VALU_DEP_1)
	v_mul_f32_e32 v4, v146, v4
	v_and_b32_e32 v5, 0x7f800000, v4
	s_delay_alu instid0(VALU_DEP_1) | instskip(NEXT) | instid1(VALU_DEP_1)
	v_cmp_ne_u32_e64 s0, 0x7f800000, v5
	s_and_saveexec_b32 s9, s0
	s_delay_alu instid0(SALU_CYCLE_1)
	s_xor_b32 s0, exec_lo, s9
; %bb.4302:                             ;   in Loop: Header=BB466_2335 Depth=1
	v_bfe_u32 v5, v4, 16, 1
	s_delay_alu instid0(VALU_DEP_1)
	v_add3_u32 v187, v4, v5, 0x7fff
                                        ; implicit-def: $vgpr4
; %bb.4303:                             ;   in Loop: Header=BB466_2335 Depth=1
	s_and_not1_saveexec_b32 s9, s0
; %bb.4304:                             ;   in Loop: Header=BB466_2335 Depth=1
	v_and_b32_e32 v5, 0xffff, v4
	v_or_b32_e32 v10, 0x10000, v4
	s_delay_alu instid0(VALU_DEP_2) | instskip(NEXT) | instid1(VALU_DEP_1)
	v_cmp_eq_u32_e64 s0, 0, v5
	v_cndmask_b32_e64 v187, v10, v4, s0
; %bb.4305:                             ;   in Loop: Header=BB466_2335 Depth=1
	s_or_b32 exec_lo, exec_lo, s9
	v_lshlrev_b32_e32 v4, 16, v12
                                        ; implicit-def: $vgpr188
	s_delay_alu instid0(VALU_DEP_1) | instskip(NEXT) | instid1(VALU_DEP_1)
	v_mul_f32_e32 v4, v147, v4
	v_and_b32_e32 v5, 0x7f800000, v4
	s_delay_alu instid0(VALU_DEP_1) | instskip(NEXT) | instid1(VALU_DEP_1)
	v_cmp_ne_u32_e64 s0, 0x7f800000, v5
	s_and_saveexec_b32 s9, s0
	s_delay_alu instid0(SALU_CYCLE_1)
	s_xor_b32 s0, exec_lo, s9
; %bb.4306:                             ;   in Loop: Header=BB466_2335 Depth=1
	v_bfe_u32 v5, v4, 16, 1
	s_delay_alu instid0(VALU_DEP_1)
	v_add3_u32 v188, v4, v5, 0x7fff
                                        ; implicit-def: $vgpr4
; %bb.4307:                             ;   in Loop: Header=BB466_2335 Depth=1
	s_and_not1_saveexec_b32 s9, s0
; %bb.4308:                             ;   in Loop: Header=BB466_2335 Depth=1
	v_and_b32_e32 v5, 0xffff, v4
	v_or_b32_e32 v10, 0x10000, v4
	s_delay_alu instid0(VALU_DEP_2) | instskip(NEXT) | instid1(VALU_DEP_1)
	v_cmp_eq_u32_e64 s0, 0, v5
	v_cndmask_b32_e64 v188, v10, v4, s0
; %bb.4309:                             ;   in Loop: Header=BB466_2335 Depth=1
	s_or_b32 exec_lo, exec_lo, s9
	v_lshlrev_b32_e32 v4, 16, v7
                                        ; implicit-def: $vgpr189
	s_delay_alu instid0(VALU_DEP_1) | instskip(NEXT) | instid1(VALU_DEP_1)
	v_mul_f32_e32 v4, v148, v4
	v_and_b32_e32 v5, 0x7f800000, v4
	s_delay_alu instid0(VALU_DEP_1) | instskip(NEXT) | instid1(VALU_DEP_1)
	v_cmp_ne_u32_e64 s0, 0x7f800000, v5
	s_and_saveexec_b32 s9, s0
	s_delay_alu instid0(SALU_CYCLE_1)
	s_xor_b32 s0, exec_lo, s9
; %bb.4310:                             ;   in Loop: Header=BB466_2335 Depth=1
	v_bfe_u32 v5, v4, 16, 1
	s_delay_alu instid0(VALU_DEP_1)
	v_add3_u32 v189, v4, v5, 0x7fff
                                        ; implicit-def: $vgpr4
; %bb.4311:                             ;   in Loop: Header=BB466_2335 Depth=1
	s_and_not1_saveexec_b32 s9, s0
; %bb.4312:                             ;   in Loop: Header=BB466_2335 Depth=1
	v_and_b32_e32 v5, 0xffff, v4
	v_or_b32_e32 v7, 0x10000, v4
	s_delay_alu instid0(VALU_DEP_2) | instskip(NEXT) | instid1(VALU_DEP_1)
	v_cmp_eq_u32_e64 s0, 0, v5
	v_cndmask_b32_e64 v189, v7, v4, s0
; %bb.4313:                             ;   in Loop: Header=BB466_2335 Depth=1
	s_or_b32 exec_lo, exec_lo, s9
	v_lshlrev_b32_e32 v4, 16, v6
                                        ; implicit-def: $vgpr190
	s_delay_alu instid0(VALU_DEP_1) | instskip(NEXT) | instid1(VALU_DEP_1)
	v_mul_f32_e32 v4, v149, v4
	v_and_b32_e32 v5, 0x7f800000, v4
	s_delay_alu instid0(VALU_DEP_1) | instskip(NEXT) | instid1(VALU_DEP_1)
	v_cmp_ne_u32_e64 s0, 0x7f800000, v5
	s_and_saveexec_b32 s9, s0
	s_delay_alu instid0(SALU_CYCLE_1)
	s_xor_b32 s0, exec_lo, s9
; %bb.4314:                             ;   in Loop: Header=BB466_2335 Depth=1
	v_bfe_u32 v5, v4, 16, 1
	s_delay_alu instid0(VALU_DEP_1)
	v_add3_u32 v190, v4, v5, 0x7fff
                                        ; implicit-def: $vgpr4
; %bb.4315:                             ;   in Loop: Header=BB466_2335 Depth=1
	s_and_not1_saveexec_b32 s9, s0
; %bb.4316:                             ;   in Loop: Header=BB466_2335 Depth=1
	v_and_b32_e32 v5, 0xffff, v4
	v_or_b32_e32 v6, 0x10000, v4
	s_delay_alu instid0(VALU_DEP_2) | instskip(NEXT) | instid1(VALU_DEP_1)
	v_cmp_eq_u32_e64 s0, 0, v5
	v_cndmask_b32_e64 v190, v6, v4, s0
; %bb.4317:                             ;   in Loop: Header=BB466_2335 Depth=1
	s_or_b32 exec_lo, exec_lo, s9
	flat_load_b64 v[2:3], v[2:3] offset:3840
	s_mov_b32 s9, exec_lo
	s_waitcnt vmcnt(0) lgkmcnt(0)
	v_dual_mov_b32 v4, 0 :: v_dual_and_b32 v5, 0xff, v2
	s_delay_alu instid0(VALU_DEP_1)
	v_cmpx_ne_u16_e32 0, v5
	s_cbranch_execz .LBB466_4325
; %bb.4318:                             ;   in Loop: Header=BB466_2335 Depth=1
	v_bfrev_b32_e32 v4, 1
	s_mov_b32 s12, exec_lo
	v_cmpx_ne_u16_e32 0x80, v5
	s_cbranch_execz .LBB466_4324
; %bb.4319:                             ;   in Loop: Header=BB466_2335 Depth=1
	v_and_b32_e32 v5, 0x7f, v2
	v_mov_b32_e32 v4, 0x7f800001
	s_mov_b32 s13, exec_lo
	s_delay_alu instid0(VALU_DEP_2)
	v_cmpx_ne_u32_e32 0x7f, v5
	s_cbranch_execz .LBB466_4323
; %bb.4320:                             ;   in Loop: Header=BB466_2335 Depth=1
	v_lshrrev_b32_e32 v4, 3, v5
	v_dual_mov_b32 v7, v3 :: v_dual_mov_b32 v6, v2
	s_mov_b32 s15, exec_lo
	v_cmpx_gt_u32_e32 8, v5
; %bb.4321:                             ;   in Loop: Header=BB466_2335 Depth=1
	v_and_b32_e32 v4, 7, v2
	s_delay_alu instid0(VALU_DEP_1) | instskip(NEXT) | instid1(VALU_DEP_1)
	v_clz_i32_u32_e32 v4, v4
	v_min_u32_e32 v4, 32, v4
	s_delay_alu instid0(VALU_DEP_1) | instskip(SKIP_1) | instid1(VALU_DEP_2)
	v_subrev_nc_u32_e32 v5, 28, v4
	v_sub_nc_u32_e32 v4, 29, v4
	v_lshlrev_b64 v[6:7], v5, v[2:3]
; %bb.4322:                             ;   in Loop: Header=BB466_2335 Depth=1
	s_or_b32 exec_lo, exec_lo, s15
	s_delay_alu instid0(VALU_DEP_1) | instskip(SKIP_2) | instid1(VALU_DEP_3)
	v_lshlrev_b32_e32 v5, 20, v6
	v_lshlrev_b32_e32 v6, 24, v2
	v_lshl_add_u32 v4, v4, 23, 0x3c000000
	v_and_b32_e32 v5, 0x700000, v5
	s_delay_alu instid0(VALU_DEP_3) | instskip(NEXT) | instid1(VALU_DEP_1)
	v_and_b32_e32 v6, 0x80000000, v6
	v_or3_b32 v4, v5, v6, v4
.LBB466_4323:                           ;   in Loop: Header=BB466_2335 Depth=1
	s_or_b32 exec_lo, exec_lo, s13
.LBB466_4324:                           ;   in Loop: Header=BB466_2335 Depth=1
	s_delay_alu instid0(SALU_CYCLE_1)
	s_or_b32 exec_lo, exec_lo, s12
.LBB466_4325:                           ;   in Loop: Header=BB466_2335 Depth=1
	s_delay_alu instid0(SALU_CYCLE_1) | instskip(NEXT) | instid1(VALU_DEP_1)
	s_or_b32 exec_lo, exec_lo, s9
	v_mul_f32_e32 v4, v26, v4
                                        ; implicit-def: $vgpr10
	s_delay_alu instid0(VALU_DEP_1) | instskip(NEXT) | instid1(VALU_DEP_1)
	v_and_b32_e32 v5, 0x7f800000, v4
	v_cmp_ne_u32_e64 s0, 0x7f800000, v5
	s_delay_alu instid0(VALU_DEP_1) | instskip(NEXT) | instid1(SALU_CYCLE_1)
	s_and_saveexec_b32 s9, s0
	s_xor_b32 s0, exec_lo, s9
; %bb.4326:                             ;   in Loop: Header=BB466_2335 Depth=1
	v_bfe_u32 v5, v4, 16, 1
	s_delay_alu instid0(VALU_DEP_1)
	v_add3_u32 v10, v4, v5, 0x7fff
                                        ; implicit-def: $vgpr4
; %bb.4327:                             ;   in Loop: Header=BB466_2335 Depth=1
	s_and_not1_saveexec_b32 s9, s0
; %bb.4328:                             ;   in Loop: Header=BB466_2335 Depth=1
	v_and_b32_e32 v5, 0xffff, v4
	v_or_b32_e32 v6, 0x10000, v4
	s_delay_alu instid0(VALU_DEP_2) | instskip(NEXT) | instid1(VALU_DEP_1)
	v_cmp_eq_u32_e64 s0, 0, v5
	v_cndmask_b32_e64 v10, v6, v4, s0
; %bb.4329:                             ;   in Loop: Header=BB466_2335 Depth=1
	s_or_b32 exec_lo, exec_lo, s9
	v_lshrrev_b16 v5, 8, v2
	v_mov_b32_e32 v4, 0
	s_mov_b32 s9, exec_lo
	s_delay_alu instid0(VALU_DEP_2)
	v_cmpx_ne_u16_e32 0, v5
	s_cbranch_execz .LBB466_4337
; %bb.4330:                             ;   in Loop: Header=BB466_2335 Depth=1
	v_bfrev_b32_e32 v4, 1
	s_mov_b32 s12, exec_lo
	v_cmpx_ne_u16_e32 0x80, v5
	s_cbranch_execz .LBB466_4336
; %bb.4331:                             ;   in Loop: Header=BB466_2335 Depth=1
	v_and_b32_e32 v5, 0xffff, v5
	v_mov_b32_e32 v4, 0x7f800001
	s_mov_b32 s13, exec_lo
	s_delay_alu instid0(VALU_DEP_2) | instskip(NEXT) | instid1(VALU_DEP_1)
	v_and_b32_e32 v11, 0x7f, v5
	v_cmpx_ne_u32_e32 0x7f, v11
	s_cbranch_execz .LBB466_4335
; %bb.4332:                             ;   in Loop: Header=BB466_2335 Depth=1
	v_and_b32_e32 v12, 7, v5
	v_lshrrev_b32_e32 v4, 3, v11
	s_mov_b32 s15, exec_lo
	s_delay_alu instid0(VALU_DEP_2)
	v_dual_mov_b32 v6, v12 :: v_dual_mov_b32 v7, v13
	v_cmpx_gt_u32_e32 8, v11
; %bb.4333:                             ;   in Loop: Header=BB466_2335 Depth=1
	v_clz_i32_u32_e32 v4, v12
	s_delay_alu instid0(VALU_DEP_1) | instskip(NEXT) | instid1(VALU_DEP_1)
	v_min_u32_e32 v4, 32, v4
	v_subrev_nc_u32_e32 v5, 28, v4
	v_sub_nc_u32_e32 v4, 29, v4
	s_delay_alu instid0(VALU_DEP_2) | instskip(NEXT) | instid1(VALU_DEP_1)
	v_lshlrev_b64 v[5:6], v5, v[12:13]
	v_and_b32_e32 v6, 7, v5
; %bb.4334:                             ;   in Loop: Header=BB466_2335 Depth=1
	s_or_b32 exec_lo, exec_lo, s15
	v_lshlrev_b32_e32 v5, 16, v2
	s_delay_alu instid0(VALU_DEP_2) | instskip(SKIP_1) | instid1(VALU_DEP_3)
	v_lshlrev_b32_e32 v6, 20, v6
	v_lshl_add_u32 v4, v4, 23, 0x3c000000
	v_and_b32_e32 v5, 0x80000000, v5
	s_delay_alu instid0(VALU_DEP_1)
	v_or3_b32 v4, v6, v5, v4
.LBB466_4335:                           ;   in Loop: Header=BB466_2335 Depth=1
	s_or_b32 exec_lo, exec_lo, s13
.LBB466_4336:                           ;   in Loop: Header=BB466_2335 Depth=1
	s_delay_alu instid0(SALU_CYCLE_1)
	s_or_b32 exec_lo, exec_lo, s12
.LBB466_4337:                           ;   in Loop: Header=BB466_2335 Depth=1
	s_delay_alu instid0(SALU_CYCLE_1) | instskip(NEXT) | instid1(VALU_DEP_1)
	s_or_b32 exec_lo, exec_lo, s9
	v_mul_f32_e32 v4, v26, v4
                                        ; implicit-def: $vgpr11
	s_delay_alu instid0(VALU_DEP_1) | instskip(NEXT) | instid1(VALU_DEP_1)
	v_and_b32_e32 v5, 0x7f800000, v4
	v_cmp_ne_u32_e64 s0, 0x7f800000, v5
	s_delay_alu instid0(VALU_DEP_1) | instskip(NEXT) | instid1(SALU_CYCLE_1)
	s_and_saveexec_b32 s9, s0
	s_xor_b32 s0, exec_lo, s9
; %bb.4338:                             ;   in Loop: Header=BB466_2335 Depth=1
	v_bfe_u32 v5, v4, 16, 1
	s_delay_alu instid0(VALU_DEP_1)
	v_add3_u32 v11, v4, v5, 0x7fff
                                        ; implicit-def: $vgpr4
; %bb.4339:                             ;   in Loop: Header=BB466_2335 Depth=1
	s_and_not1_saveexec_b32 s9, s0
; %bb.4340:                             ;   in Loop: Header=BB466_2335 Depth=1
	v_and_b32_e32 v5, 0xffff, v4
	v_or_b32_e32 v6, 0x10000, v4
	s_delay_alu instid0(VALU_DEP_2) | instskip(NEXT) | instid1(VALU_DEP_1)
	v_cmp_eq_u32_e64 s0, 0, v5
	v_cndmask_b32_e64 v11, v6, v4, s0
; %bb.4341:                             ;   in Loop: Header=BB466_2335 Depth=1
	s_or_b32 exec_lo, exec_lo, s9
	v_lshrrev_b32_e32 v17, 16, v2
	s_mov_b32 s9, exec_lo
	s_delay_alu instid0(VALU_DEP_1) | instskip(NEXT) | instid1(VALU_DEP_1)
	v_dual_mov_b32 v4, 0 :: v_dual_and_b32 v5, 0xff, v17
	v_cmpx_ne_u16_e32 0, v5
	s_cbranch_execz .LBB466_4349
; %bb.4342:                             ;   in Loop: Header=BB466_2335 Depth=1
	v_bfrev_b32_e32 v4, 1
	s_mov_b32 s12, exec_lo
	v_cmpx_ne_u16_e32 0x80, v5
	s_cbranch_execz .LBB466_4348
; %bb.4343:                             ;   in Loop: Header=BB466_2335 Depth=1
	v_bfe_u32 v18, v2, 16, 7
	v_mov_b32_e32 v4, 0x7f800001
	s_mov_b32 s13, exec_lo
	s_delay_alu instid0(VALU_DEP_2)
	v_cmpx_ne_u32_e32 0x7f, v18
	s_cbranch_execz .LBB466_4347
; %bb.4344:                             ;   in Loop: Header=BB466_2335 Depth=1
	v_and_b32_e32 v12, 7, v17
	v_lshrrev_b32_e32 v4, 3, v18
	s_mov_b32 s15, exec_lo
	s_delay_alu instid0(VALU_DEP_2)
	v_dual_mov_b32 v6, v12 :: v_dual_mov_b32 v7, v13
	v_cmpx_gt_u32_e32 8, v18
; %bb.4345:                             ;   in Loop: Header=BB466_2335 Depth=1
	v_clz_i32_u32_e32 v4, v12
	s_delay_alu instid0(VALU_DEP_1) | instskip(NEXT) | instid1(VALU_DEP_1)
	v_min_u32_e32 v4, 32, v4
	v_subrev_nc_u32_e32 v5, 28, v4
	v_sub_nc_u32_e32 v4, 29, v4
	s_delay_alu instid0(VALU_DEP_2) | instskip(NEXT) | instid1(VALU_DEP_1)
	v_lshlrev_b64 v[5:6], v5, v[12:13]
	v_and_b32_e32 v6, 7, v5
; %bb.4346:                             ;   in Loop: Header=BB466_2335 Depth=1
	s_or_b32 exec_lo, exec_lo, s15
	v_lshlrev_b32_e32 v5, 24, v17
	s_delay_alu instid0(VALU_DEP_2) | instskip(SKIP_1) | instid1(VALU_DEP_3)
	v_lshlrev_b32_e32 v6, 20, v6
	v_lshl_add_u32 v4, v4, 23, 0x3c000000
	v_and_b32_e32 v5, 0x80000000, v5
	s_delay_alu instid0(VALU_DEP_1)
	v_or3_b32 v4, v6, v5, v4
.LBB466_4347:                           ;   in Loop: Header=BB466_2335 Depth=1
	s_or_b32 exec_lo, exec_lo, s13
.LBB466_4348:                           ;   in Loop: Header=BB466_2335 Depth=1
	s_delay_alu instid0(SALU_CYCLE_1)
	s_or_b32 exec_lo, exec_lo, s12
.LBB466_4349:                           ;   in Loop: Header=BB466_2335 Depth=1
	s_delay_alu instid0(SALU_CYCLE_1) | instskip(NEXT) | instid1(VALU_DEP_1)
	s_or_b32 exec_lo, exec_lo, s9
	v_mul_f32_e32 v4, v26, v4
                                        ; implicit-def: $vgpr17
	s_delay_alu instid0(VALU_DEP_1) | instskip(NEXT) | instid1(VALU_DEP_1)
	v_and_b32_e32 v5, 0x7f800000, v4
	v_cmp_ne_u32_e64 s0, 0x7f800000, v5
	s_delay_alu instid0(VALU_DEP_1) | instskip(NEXT) | instid1(SALU_CYCLE_1)
	s_and_saveexec_b32 s9, s0
	s_xor_b32 s0, exec_lo, s9
; %bb.4350:                             ;   in Loop: Header=BB466_2335 Depth=1
	v_bfe_u32 v5, v4, 16, 1
	s_delay_alu instid0(VALU_DEP_1)
	v_add3_u32 v17, v4, v5, 0x7fff
                                        ; implicit-def: $vgpr4
; %bb.4351:                             ;   in Loop: Header=BB466_2335 Depth=1
	s_and_not1_saveexec_b32 s9, s0
; %bb.4352:                             ;   in Loop: Header=BB466_2335 Depth=1
	v_and_b32_e32 v5, 0xffff, v4
	v_or_b32_e32 v6, 0x10000, v4
	s_delay_alu instid0(VALU_DEP_2) | instskip(NEXT) | instid1(VALU_DEP_1)
	v_cmp_eq_u32_e64 s0, 0, v5
	v_cndmask_b32_e64 v17, v6, v4, s0
; %bb.4353:                             ;   in Loop: Header=BB466_2335 Depth=1
	s_or_b32 exec_lo, exec_lo, s9
	v_mov_b32_e32 v6, 0
	s_mov_b32 s9, exec_lo
	v_cmpx_lt_u32_e32 0xffffff, v2
	s_cbranch_execz .LBB466_4361
; %bb.4354:                             ;   in Loop: Header=BB466_2335 Depth=1
	v_lshrrev_b32_e32 v4, 24, v2
	v_bfrev_b32_e32 v6, 1
	s_mov_b32 s12, exec_lo
	s_delay_alu instid0(VALU_DEP_2)
	v_cmpx_ne_u32_e32 0x80, v4
	s_cbranch_execz .LBB466_4360
; %bb.4355:                             ;   in Loop: Header=BB466_2335 Depth=1
	v_bfe_u32 v18, v2, 24, 7
	v_mov_b32_e32 v6, 0x7f800001
	s_mov_b32 s13, exec_lo
	s_delay_alu instid0(VALU_DEP_2)
	v_cmpx_ne_u32_e32 0x7f, v18
	s_cbranch_execz .LBB466_4359
; %bb.4356:                             ;   in Loop: Header=BB466_2335 Depth=1
	v_and_b32_e32 v12, 7, v4
	s_mov_b32 s15, exec_lo
	s_delay_alu instid0(VALU_DEP_1)
	v_dual_mov_b32 v6, v12 :: v_dual_mov_b32 v7, v13
	v_lshrrev_b32_e32 v7, 3, v18
	v_cmpx_gt_u32_e32 8, v18
; %bb.4357:                             ;   in Loop: Header=BB466_2335 Depth=1
	v_clz_i32_u32_e32 v5, v12
	s_delay_alu instid0(VALU_DEP_1) | instskip(NEXT) | instid1(VALU_DEP_1)
	v_min_u32_e32 v7, 32, v5
	v_subrev_nc_u32_e32 v5, 28, v7
	v_sub_nc_u32_e32 v7, 29, v7
	s_delay_alu instid0(VALU_DEP_2) | instskip(NEXT) | instid1(VALU_DEP_1)
	v_lshlrev_b64 v[5:6], v5, v[12:13]
	v_and_b32_e32 v6, 7, v5
; %bb.4358:                             ;   in Loop: Header=BB466_2335 Depth=1
	s_or_b32 exec_lo, exec_lo, s15
	v_lshlrev_b32_e32 v4, 24, v4
	s_delay_alu instid0(VALU_DEP_2) | instskip(SKIP_1) | instid1(VALU_DEP_3)
	v_lshlrev_b32_e32 v5, 20, v6
	v_lshl_add_u32 v6, v7, 23, 0x3c000000
	v_and_b32_e32 v4, 0x80000000, v4
	s_delay_alu instid0(VALU_DEP_1)
	v_or3_b32 v6, v5, v4, v6
.LBB466_4359:                           ;   in Loop: Header=BB466_2335 Depth=1
	s_or_b32 exec_lo, exec_lo, s13
.LBB466_4360:                           ;   in Loop: Header=BB466_2335 Depth=1
	s_delay_alu instid0(SALU_CYCLE_1)
	s_or_b32 exec_lo, exec_lo, s12
.LBB466_4361:                           ;   in Loop: Header=BB466_2335 Depth=1
	s_delay_alu instid0(SALU_CYCLE_1) | instskip(NEXT) | instid1(VALU_DEP_1)
	s_or_b32 exec_lo, exec_lo, s9
	v_mul_f32_e32 v4, v26, v6
                                        ; implicit-def: $vgpr18
	s_delay_alu instid0(VALU_DEP_1) | instskip(NEXT) | instid1(VALU_DEP_1)
	v_and_b32_e32 v5, 0x7f800000, v4
	v_cmp_ne_u32_e64 s0, 0x7f800000, v5
	s_delay_alu instid0(VALU_DEP_1) | instskip(NEXT) | instid1(SALU_CYCLE_1)
	s_and_saveexec_b32 s9, s0
	s_xor_b32 s0, exec_lo, s9
; %bb.4362:                             ;   in Loop: Header=BB466_2335 Depth=1
	v_bfe_u32 v5, v4, 16, 1
	s_delay_alu instid0(VALU_DEP_1)
	v_add3_u32 v18, v4, v5, 0x7fff
                                        ; implicit-def: $vgpr4
; %bb.4363:                             ;   in Loop: Header=BB466_2335 Depth=1
	s_and_not1_saveexec_b32 s9, s0
; %bb.4364:                             ;   in Loop: Header=BB466_2335 Depth=1
	v_and_b32_e32 v5, 0xffff, v4
	v_or_b32_e32 v6, 0x10000, v4
	s_delay_alu instid0(VALU_DEP_2) | instskip(NEXT) | instid1(VALU_DEP_1)
	v_cmp_eq_u32_e64 s0, 0, v5
	v_cndmask_b32_e64 v18, v6, v4, s0
; %bb.4365:                             ;   in Loop: Header=BB466_2335 Depth=1
	s_or_b32 exec_lo, exec_lo, s9
	v_dual_mov_b32 v12, v3 :: v_dual_and_b32 v5, 0xff, v3
	v_mov_b32_e32 v4, 0
	s_mov_b32 s9, exec_lo
	s_delay_alu instid0(VALU_DEP_2)
	v_cmpx_ne_u16_e32 0, v5
	s_cbranch_execz .LBB466_4373
; %bb.4366:                             ;   in Loop: Header=BB466_2335 Depth=1
	v_bfrev_b32_e32 v4, 1
	s_mov_b32 s12, exec_lo
	v_cmpx_ne_u16_e32 0x80, v5
	s_cbranch_execz .LBB466_4372
; %bb.4367:                             ;   in Loop: Header=BB466_2335 Depth=1
	v_and_b32_e32 v5, 0x7f, v3
	v_mov_b32_e32 v4, 0x7f800001
	s_mov_b32 s13, exec_lo
	s_delay_alu instid0(VALU_DEP_2)
	v_cmpx_ne_u32_e32 0x7f, v5
	s_cbranch_execz .LBB466_4371
; %bb.4368:                             ;   in Loop: Header=BB466_2335 Depth=1
	v_dual_mov_b32 v6, v12 :: v_dual_mov_b32 v7, v13
	v_lshrrev_b32_e32 v4, 3, v5
	s_mov_b32 s15, exec_lo
	v_cmpx_gt_u32_e32 8, v5
; %bb.4369:                             ;   in Loop: Header=BB466_2335 Depth=1
	v_and_b32_e32 v4, 7, v3
	s_delay_alu instid0(VALU_DEP_1) | instskip(NEXT) | instid1(VALU_DEP_1)
	v_clz_i32_u32_e32 v4, v4
	v_min_u32_e32 v4, 32, v4
	s_delay_alu instid0(VALU_DEP_1) | instskip(SKIP_1) | instid1(VALU_DEP_2)
	v_subrev_nc_u32_e32 v5, 28, v4
	v_sub_nc_u32_e32 v4, 29, v4
	v_lshlrev_b64 v[6:7], v5, v[12:13]
; %bb.4370:                             ;   in Loop: Header=BB466_2335 Depth=1
	s_or_b32 exec_lo, exec_lo, s15
	s_delay_alu instid0(VALU_DEP_1) | instskip(SKIP_2) | instid1(VALU_DEP_3)
	v_lshlrev_b32_e32 v5, 20, v6
	v_lshlrev_b32_e32 v6, 24, v12
	v_lshl_add_u32 v4, v4, 23, 0x3c000000
	v_and_b32_e32 v5, 0x700000, v5
	s_delay_alu instid0(VALU_DEP_3) | instskip(NEXT) | instid1(VALU_DEP_1)
	v_and_b32_e32 v6, 0x80000000, v6
	v_or3_b32 v4, v5, v6, v4
.LBB466_4371:                           ;   in Loop: Header=BB466_2335 Depth=1
	s_or_b32 exec_lo, exec_lo, s13
.LBB466_4372:                           ;   in Loop: Header=BB466_2335 Depth=1
	s_delay_alu instid0(SALU_CYCLE_1)
	s_or_b32 exec_lo, exec_lo, s12
.LBB466_4373:                           ;   in Loop: Header=BB466_2335 Depth=1
	s_delay_alu instid0(SALU_CYCLE_1) | instskip(NEXT) | instid1(VALU_DEP_1)
	s_or_b32 exec_lo, exec_lo, s9
	v_mul_f32_e32 v4, v26, v4
                                        ; implicit-def: $vgpr19
	s_delay_alu instid0(VALU_DEP_1) | instskip(NEXT) | instid1(VALU_DEP_1)
	v_and_b32_e32 v5, 0x7f800000, v4
	v_cmp_ne_u32_e64 s0, 0x7f800000, v5
	s_delay_alu instid0(VALU_DEP_1) | instskip(NEXT) | instid1(SALU_CYCLE_1)
	s_and_saveexec_b32 s9, s0
	s_xor_b32 s0, exec_lo, s9
; %bb.4374:                             ;   in Loop: Header=BB466_2335 Depth=1
	v_bfe_u32 v5, v4, 16, 1
	s_delay_alu instid0(VALU_DEP_1)
	v_add3_u32 v19, v4, v5, 0x7fff
                                        ; implicit-def: $vgpr4
; %bb.4375:                             ;   in Loop: Header=BB466_2335 Depth=1
	s_and_not1_saveexec_b32 s9, s0
; %bb.4376:                             ;   in Loop: Header=BB466_2335 Depth=1
	v_and_b32_e32 v5, 0xffff, v4
	v_or_b32_e32 v6, 0x10000, v4
	s_delay_alu instid0(VALU_DEP_2) | instskip(NEXT) | instid1(VALU_DEP_1)
	v_cmp_eq_u32_e64 s0, 0, v5
	v_cndmask_b32_e64 v19, v6, v4, s0
; %bb.4377:                             ;   in Loop: Header=BB466_2335 Depth=1
	s_or_b32 exec_lo, exec_lo, s9
	v_lshrrev_b16 v5, 8, v12
	v_mov_b32_e32 v4, 0
	s_mov_b32 s9, exec_lo
	s_delay_alu instid0(VALU_DEP_2)
	v_cmpx_ne_u16_e32 0, v5
	s_cbranch_execz .LBB466_4385
; %bb.4378:                             ;   in Loop: Header=BB466_2335 Depth=1
	v_bfrev_b32_e32 v4, 1
	s_mov_b32 s12, exec_lo
	v_cmpx_ne_u16_e32 0x80, v5
	s_cbranch_execz .LBB466_4384
; %bb.4379:                             ;   in Loop: Header=BB466_2335 Depth=1
	v_and_b32_e32 v6, 0xffff, v5
	v_mov_b32_e32 v4, 0x7f800001
	s_mov_b32 s13, exec_lo
	s_delay_alu instid0(VALU_DEP_2) | instskip(NEXT) | instid1(VALU_DEP_1)
	v_and_b32_e32 v5, 0x7f, v6
	v_cmpx_ne_u32_e32 0x7f, v5
	s_cbranch_execz .LBB466_4383
; %bb.4380:                             ;   in Loop: Header=BB466_2335 Depth=1
	v_dual_mov_b32 v7, v13 :: v_dual_and_b32 v6, 7, v6
	v_lshrrev_b32_e32 v4, 3, v5
	s_mov_b32 s15, exec_lo
	v_cmpx_gt_u32_e32 8, v5
; %bb.4381:                             ;   in Loop: Header=BB466_2335 Depth=1
	s_delay_alu instid0(VALU_DEP_3) | instskip(NEXT) | instid1(VALU_DEP_1)
	v_clz_i32_u32_e32 v4, v6
	v_min_u32_e32 v4, 32, v4
	s_delay_alu instid0(VALU_DEP_1) | instskip(SKIP_1) | instid1(VALU_DEP_2)
	v_subrev_nc_u32_e32 v5, 28, v4
	v_sub_nc_u32_e32 v4, 29, v4
	v_lshlrev_b64 v[5:6], v5, v[6:7]
	s_delay_alu instid0(VALU_DEP_1)
	v_and_b32_e32 v6, 7, v5
; %bb.4382:                             ;   in Loop: Header=BB466_2335 Depth=1
	s_or_b32 exec_lo, exec_lo, s15
	v_lshlrev_b32_e32 v5, 16, v12
	s_delay_alu instid0(VALU_DEP_2) | instskip(SKIP_1) | instid1(VALU_DEP_3)
	v_lshlrev_b32_e32 v6, 20, v6
	v_lshl_add_u32 v4, v4, 23, 0x3c000000
	v_and_b32_e32 v5, 0x80000000, v5
	s_delay_alu instid0(VALU_DEP_1)
	v_or3_b32 v4, v6, v5, v4
.LBB466_4383:                           ;   in Loop: Header=BB466_2335 Depth=1
	s_or_b32 exec_lo, exec_lo, s13
.LBB466_4384:                           ;   in Loop: Header=BB466_2335 Depth=1
	s_delay_alu instid0(SALU_CYCLE_1)
	s_or_b32 exec_lo, exec_lo, s12
.LBB466_4385:                           ;   in Loop: Header=BB466_2335 Depth=1
	s_delay_alu instid0(SALU_CYCLE_1) | instskip(NEXT) | instid1(VALU_DEP_1)
	s_or_b32 exec_lo, exec_lo, s9
	v_mul_f32_e32 v4, v26, v4
                                        ; implicit-def: $vgpr20
	s_delay_alu instid0(VALU_DEP_1) | instskip(NEXT) | instid1(VALU_DEP_1)
	v_and_b32_e32 v5, 0x7f800000, v4
	v_cmp_ne_u32_e64 s0, 0x7f800000, v5
	s_delay_alu instid0(VALU_DEP_1) | instskip(NEXT) | instid1(SALU_CYCLE_1)
	s_and_saveexec_b32 s9, s0
	s_xor_b32 s0, exec_lo, s9
; %bb.4386:                             ;   in Loop: Header=BB466_2335 Depth=1
	v_bfe_u32 v5, v4, 16, 1
	s_delay_alu instid0(VALU_DEP_1)
	v_add3_u32 v20, v4, v5, 0x7fff
                                        ; implicit-def: $vgpr4
; %bb.4387:                             ;   in Loop: Header=BB466_2335 Depth=1
	s_and_not1_saveexec_b32 s9, s0
; %bb.4388:                             ;   in Loop: Header=BB466_2335 Depth=1
	v_and_b32_e32 v5, 0xffff, v4
	v_or_b32_e32 v6, 0x10000, v4
	s_delay_alu instid0(VALU_DEP_2) | instskip(NEXT) | instid1(VALU_DEP_1)
	v_cmp_eq_u32_e64 s0, 0, v5
	v_cndmask_b32_e64 v20, v6, v4, s0
; %bb.4389:                             ;   in Loop: Header=BB466_2335 Depth=1
	s_or_b32 exec_lo, exec_lo, s9
	v_lshrrev_b32_e32 v22, 16, v3
	s_mov_b32 s9, exec_lo
	s_delay_alu instid0(VALU_DEP_1) | instskip(NEXT) | instid1(VALU_DEP_1)
	v_dual_mov_b32 v4, 0 :: v_dual_and_b32 v5, 0xff, v22
	v_cmpx_ne_u16_e32 0, v5
	s_cbranch_execz .LBB466_4397
; %bb.4390:                             ;   in Loop: Header=BB466_2335 Depth=1
	v_bfrev_b32_e32 v4, 1
	s_mov_b32 s12, exec_lo
	v_cmpx_ne_u16_e32 0x80, v5
	s_cbranch_execz .LBB466_4396
; %bb.4391:                             ;   in Loop: Header=BB466_2335 Depth=1
	v_bfe_u32 v27, v3, 16, 7
	v_mov_b32_e32 v4, 0x7f800001
	s_mov_b32 s13, exec_lo
	s_delay_alu instid0(VALU_DEP_2)
	v_cmpx_ne_u32_e32 0x7f, v27
	s_cbranch_execz .LBB466_4395
; %bb.4392:                             ;   in Loop: Header=BB466_2335 Depth=1
	v_and_b32_e32 v12, 7, v22
	v_lshrrev_b32_e32 v4, 3, v27
	s_mov_b32 s15, exec_lo
	s_delay_alu instid0(VALU_DEP_2)
	v_dual_mov_b32 v6, v12 :: v_dual_mov_b32 v7, v13
	v_cmpx_gt_u32_e32 8, v27
; %bb.4393:                             ;   in Loop: Header=BB466_2335 Depth=1
	v_clz_i32_u32_e32 v4, v12
	s_delay_alu instid0(VALU_DEP_1) | instskip(NEXT) | instid1(VALU_DEP_1)
	v_min_u32_e32 v4, 32, v4
	v_subrev_nc_u32_e32 v5, 28, v4
	v_sub_nc_u32_e32 v4, 29, v4
	s_delay_alu instid0(VALU_DEP_2) | instskip(NEXT) | instid1(VALU_DEP_1)
	v_lshlrev_b64 v[5:6], v5, v[12:13]
	v_and_b32_e32 v6, 7, v5
; %bb.4394:                             ;   in Loop: Header=BB466_2335 Depth=1
	s_or_b32 exec_lo, exec_lo, s15
	v_lshlrev_b32_e32 v5, 24, v22
	s_delay_alu instid0(VALU_DEP_2) | instskip(SKIP_1) | instid1(VALU_DEP_3)
	v_lshlrev_b32_e32 v6, 20, v6
	v_lshl_add_u32 v4, v4, 23, 0x3c000000
	v_and_b32_e32 v5, 0x80000000, v5
	s_delay_alu instid0(VALU_DEP_1)
	v_or3_b32 v4, v6, v5, v4
.LBB466_4395:                           ;   in Loop: Header=BB466_2335 Depth=1
	s_or_b32 exec_lo, exec_lo, s13
.LBB466_4396:                           ;   in Loop: Header=BB466_2335 Depth=1
	s_delay_alu instid0(SALU_CYCLE_1)
	s_or_b32 exec_lo, exec_lo, s12
.LBB466_4397:                           ;   in Loop: Header=BB466_2335 Depth=1
	s_delay_alu instid0(SALU_CYCLE_1) | instskip(NEXT) | instid1(VALU_DEP_1)
	s_or_b32 exec_lo, exec_lo, s9
	v_mul_f32_e32 v4, v26, v4
                                        ; implicit-def: $vgpr22
	s_delay_alu instid0(VALU_DEP_1) | instskip(NEXT) | instid1(VALU_DEP_1)
	v_and_b32_e32 v5, 0x7f800000, v4
	v_cmp_ne_u32_e64 s0, 0x7f800000, v5
	s_delay_alu instid0(VALU_DEP_1) | instskip(NEXT) | instid1(SALU_CYCLE_1)
	s_and_saveexec_b32 s9, s0
	s_xor_b32 s0, exec_lo, s9
; %bb.4398:                             ;   in Loop: Header=BB466_2335 Depth=1
	v_bfe_u32 v5, v4, 16, 1
	s_delay_alu instid0(VALU_DEP_1)
	v_add3_u32 v22, v4, v5, 0x7fff
                                        ; implicit-def: $vgpr4
; %bb.4399:                             ;   in Loop: Header=BB466_2335 Depth=1
	s_and_not1_saveexec_b32 s9, s0
; %bb.4400:                             ;   in Loop: Header=BB466_2335 Depth=1
	v_and_b32_e32 v5, 0xffff, v4
	v_or_b32_e32 v6, 0x10000, v4
	s_delay_alu instid0(VALU_DEP_2) | instskip(NEXT) | instid1(VALU_DEP_1)
	v_cmp_eq_u32_e64 s0, 0, v5
	v_cndmask_b32_e64 v22, v6, v4, s0
; %bb.4401:                             ;   in Loop: Header=BB466_2335 Depth=1
	s_or_b32 exec_lo, exec_lo, s9
	v_cmp_lt_u64_e64 s0, s[2:3], v[2:3]
	v_mov_b32_e32 v2, 0
	s_delay_alu instid0(VALU_DEP_2)
	s_and_saveexec_b32 s9, s0
	s_cbranch_execz .LBB466_4409
; %bb.4402:                             ;   in Loop: Header=BB466_2335 Depth=1
	v_lshrrev_b32_e32 v4, 24, v3
	v_bfrev_b32_e32 v2, 1
	s_mov_b32 s12, exec_lo
	s_delay_alu instid0(VALU_DEP_2)
	v_cmpx_ne_u32_e32 0x80, v4
	s_cbranch_execz .LBB466_4408
; %bb.4403:                             ;   in Loop: Header=BB466_2335 Depth=1
	v_bfe_u32 v6, v3, 24, 7
	v_mov_b32_e32 v2, 0x7f800001
	s_mov_b32 s13, exec_lo
	s_delay_alu instid0(VALU_DEP_2)
	v_cmpx_ne_u32_e32 0x7f, v6
	s_cbranch_execz .LBB466_4407
; %bb.4404:                             ;   in Loop: Header=BB466_2335 Depth=1
	v_and_b32_e32 v12, 7, v4
	s_mov_b32 s15, exec_lo
	s_delay_alu instid0(VALU_DEP_1)
	v_dual_mov_b32 v2, v12 :: v_dual_mov_b32 v3, v13
	v_lshrrev_b32_e32 v3, 3, v6
	v_cmpx_gt_u32_e32 8, v6
; %bb.4405:                             ;   in Loop: Header=BB466_2335 Depth=1
	v_clz_i32_u32_e32 v2, v12
	s_delay_alu instid0(VALU_DEP_1) | instskip(NEXT) | instid1(VALU_DEP_1)
	v_min_u32_e32 v5, 32, v2
	v_subrev_nc_u32_e32 v2, 28, v5
	s_delay_alu instid0(VALU_DEP_1) | instskip(SKIP_1) | instid1(VALU_DEP_2)
	v_lshlrev_b64 v[2:3], v2, v[12:13]
	v_sub_nc_u32_e32 v3, 29, v5
	v_and_b32_e32 v2, 7, v2
; %bb.4406:                             ;   in Loop: Header=BB466_2335 Depth=1
	s_or_b32 exec_lo, exec_lo, s15
	v_lshlrev_b32_e32 v4, 24, v4
	s_delay_alu instid0(VALU_DEP_2) | instskip(SKIP_1) | instid1(VALU_DEP_3)
	v_lshlrev_b32_e32 v2, 20, v2
	v_lshl_add_u32 v3, v3, 23, 0x3c000000
	v_and_b32_e32 v4, 0x80000000, v4
	s_delay_alu instid0(VALU_DEP_1)
	v_or3_b32 v2, v2, v4, v3
.LBB466_4407:                           ;   in Loop: Header=BB466_2335 Depth=1
	s_or_b32 exec_lo, exec_lo, s13
.LBB466_4408:                           ;   in Loop: Header=BB466_2335 Depth=1
	s_delay_alu instid0(SALU_CYCLE_1)
	s_or_b32 exec_lo, exec_lo, s12
.LBB466_4409:                           ;   in Loop: Header=BB466_2335 Depth=1
	s_delay_alu instid0(SALU_CYCLE_1) | instskip(NEXT) | instid1(VALU_DEP_1)
	s_or_b32 exec_lo, exec_lo, s9
	v_mul_f32_e32 v3, v26, v2
	s_delay_alu instid0(VALU_DEP_1) | instskip(NEXT) | instid1(VALU_DEP_1)
	v_and_b32_e32 v2, 0x7f800000, v3
	v_cmp_ne_u32_e64 s0, 0x7f800000, v2
                                        ; implicit-def: $vgpr2
	s_delay_alu instid0(VALU_DEP_1) | instskip(NEXT) | instid1(SALU_CYCLE_1)
	s_and_saveexec_b32 s9, s0
	s_xor_b32 s0, exec_lo, s9
; %bb.4410:                             ;   in Loop: Header=BB466_2335 Depth=1
	v_bfe_u32 v2, v3, 16, 1
	s_delay_alu instid0(VALU_DEP_1)
	v_add3_u32 v2, v3, v2, 0x7fff
                                        ; implicit-def: $vgpr3
; %bb.4411:                             ;   in Loop: Header=BB466_2335 Depth=1
	s_and_not1_saveexec_b32 s9, s0
; %bb.4412:                             ;   in Loop: Header=BB466_2335 Depth=1
	v_and_b32_e32 v2, 0xffff, v3
	v_or_b32_e32 v4, 0x10000, v3
	s_delay_alu instid0(VALU_DEP_2) | instskip(NEXT) | instid1(VALU_DEP_1)
	v_cmp_eq_u32_e64 s0, 0, v2
	v_cndmask_b32_e64 v2, v4, v3, s0
; %bb.4413:                             ;   in Loop: Header=BB466_2335 Depth=1
	s_or_b32 exec_lo, exec_lo, s9
	v_lshrrev_b32_e32 v6, 16, v20
	v_lshrrev_b32_e32 v7, 16, v19
	;; [unrolled: 1-line block ×8, first 2 shown]
	s_and_saveexec_b32 s9, vcc_lo
	s_cbranch_execz .LBB466_4415
; %bb.4414:                             ;   in Loop: Header=BB466_2335 Depth=1
	v_cmp_lt_i32_e64 s0, v130, v36
	s_delay_alu instid0(VALU_DEP_1) | instskip(SKIP_1) | instid1(VALU_DEP_1)
	v_cndmask_b32_e64 v4, 0, v4, s0
	v_cmp_lt_i32_e64 s0, v133, v36
	v_cndmask_b32_e64 v11, 0, v11, s0
	v_cmp_lt_i32_e64 s0, v132, v36
	s_delay_alu instid0(VALU_DEP_1) | instskip(SKIP_1) | instid1(VALU_DEP_1)
	v_cndmask_b32_e64 v17, 0, v17, s0
	v_cmp_lt_i32_e64 s0, v131, v36
	v_cndmask_b32_e64 v12, 0, v12, s0
	;; [unrolled: 5-line block ×4, first 2 shown]
.LBB466_4415:                           ;   in Loop: Header=BB466_2335 Depth=1
	s_or_b32 exec_lo, exec_lo, s9
	v_lshlrev_b32_e32 v4, 16, v4
                                        ; implicit-def: $vgpr191
	s_delay_alu instid0(VALU_DEP_1) | instskip(NEXT) | instid1(VALU_DEP_1)
	v_mul_f32_e32 v4, v134, v4
	v_and_b32_e32 v5, 0x7f800000, v4
	s_delay_alu instid0(VALU_DEP_1) | instskip(NEXT) | instid1(VALU_DEP_1)
	v_cmp_ne_u32_e64 s0, 0x7f800000, v5
	s_and_saveexec_b32 s9, s0
	s_delay_alu instid0(SALU_CYCLE_1)
	s_xor_b32 s0, exec_lo, s9
; %bb.4416:                             ;   in Loop: Header=BB466_2335 Depth=1
	v_bfe_u32 v5, v4, 16, 1
	s_delay_alu instid0(VALU_DEP_1)
	v_add3_u32 v191, v4, v5, 0x7fff
                                        ; implicit-def: $vgpr4
; %bb.4417:                             ;   in Loop: Header=BB466_2335 Depth=1
	s_and_not1_saveexec_b32 s9, s0
; %bb.4418:                             ;   in Loop: Header=BB466_2335 Depth=1
	v_and_b32_e32 v5, 0xffff, v4
	v_or_b32_e32 v10, 0x10000, v4
	s_delay_alu instid0(VALU_DEP_2) | instskip(NEXT) | instid1(VALU_DEP_1)
	v_cmp_eq_u32_e64 s0, 0, v5
	v_cndmask_b32_e64 v191, v10, v4, s0
; %bb.4419:                             ;   in Loop: Header=BB466_2335 Depth=1
	s_or_b32 exec_lo, exec_lo, s9
	v_lshlrev_b32_e32 v4, 16, v11
                                        ; implicit-def: $vgpr20
	s_delay_alu instid0(VALU_DEP_1) | instskip(NEXT) | instid1(VALU_DEP_1)
	v_mul_f32_e32 v4, v135, v4
	v_and_b32_e32 v5, 0x7f800000, v4
	s_delay_alu instid0(VALU_DEP_1) | instskip(NEXT) | instid1(VALU_DEP_1)
	v_cmp_ne_u32_e64 s0, 0x7f800000, v5
	s_and_saveexec_b32 s9, s0
	s_delay_alu instid0(SALU_CYCLE_1)
	s_xor_b32 s0, exec_lo, s9
; %bb.4420:                             ;   in Loop: Header=BB466_2335 Depth=1
	v_bfe_u32 v5, v4, 16, 1
	s_delay_alu instid0(VALU_DEP_1)
	v_add3_u32 v20, v4, v5, 0x7fff
                                        ; implicit-def: $vgpr4
; %bb.4421:                             ;   in Loop: Header=BB466_2335 Depth=1
	s_and_not1_saveexec_b32 s9, s0
; %bb.4422:                             ;   in Loop: Header=BB466_2335 Depth=1
	v_and_b32_e32 v5, 0xffff, v4
	v_or_b32_e32 v10, 0x10000, v4
	s_delay_alu instid0(VALU_DEP_2) | instskip(NEXT) | instid1(VALU_DEP_1)
	v_cmp_eq_u32_e64 s0, 0, v5
	v_cndmask_b32_e64 v20, v10, v4, s0
; %bb.4423:                             ;   in Loop: Header=BB466_2335 Depth=1
	s_or_b32 exec_lo, exec_lo, s9
	v_lshlrev_b32_e32 v4, 16, v17
                                        ; implicit-def: $vgpr69
	s_delay_alu instid0(VALU_DEP_1) | instskip(NEXT) | instid1(VALU_DEP_1)
	v_mul_f32_e32 v4, v144, v4
	v_and_b32_e32 v5, 0x7f800000, v4
	s_delay_alu instid0(VALU_DEP_1) | instskip(NEXT) | instid1(VALU_DEP_1)
	v_cmp_ne_u32_e64 s0, 0x7f800000, v5
	s_and_saveexec_b32 s9, s0
	s_delay_alu instid0(SALU_CYCLE_1)
	s_xor_b32 s0, exec_lo, s9
; %bb.4424:                             ;   in Loop: Header=BB466_2335 Depth=1
	v_bfe_u32 v5, v4, 16, 1
	s_delay_alu instid0(VALU_DEP_1)
	v_add3_u32 v69, v4, v5, 0x7fff
                                        ; implicit-def: $vgpr4
; %bb.4425:                             ;   in Loop: Header=BB466_2335 Depth=1
	s_and_not1_saveexec_b32 s9, s0
; %bb.4426:                             ;   in Loop: Header=BB466_2335 Depth=1
	v_and_b32_e32 v5, 0xffff, v4
	v_or_b32_e32 v10, 0x10000, v4
	s_delay_alu instid0(VALU_DEP_2) | instskip(NEXT) | instid1(VALU_DEP_1)
	v_cmp_eq_u32_e64 s0, 0, v5
	v_cndmask_b32_e64 v69, v10, v4, s0
; %bb.4427:                             ;   in Loop: Header=BB466_2335 Depth=1
	s_or_b32 exec_lo, exec_lo, s9
	v_lshlrev_b32_e32 v4, 16, v12
                                        ; implicit-def: $vgpr70
	s_delay_alu instid0(VALU_DEP_1) | instskip(NEXT) | instid1(VALU_DEP_1)
	v_mul_f32_e32 v4, v145, v4
	v_and_b32_e32 v5, 0x7f800000, v4
	s_delay_alu instid0(VALU_DEP_1) | instskip(NEXT) | instid1(VALU_DEP_1)
	v_cmp_ne_u32_e64 s0, 0x7f800000, v5
	s_and_saveexec_b32 s9, s0
	s_delay_alu instid0(SALU_CYCLE_1)
	s_xor_b32 s0, exec_lo, s9
; %bb.4428:                             ;   in Loop: Header=BB466_2335 Depth=1
	v_bfe_u32 v5, v4, 16, 1
	s_delay_alu instid0(VALU_DEP_1)
	v_add3_u32 v70, v4, v5, 0x7fff
                                        ; implicit-def: $vgpr4
; %bb.4429:                             ;   in Loop: Header=BB466_2335 Depth=1
	s_and_not1_saveexec_b32 s9, s0
; %bb.4430:                             ;   in Loop: Header=BB466_2335 Depth=1
	v_and_b32_e32 v5, 0xffff, v4
	v_or_b32_e32 v10, 0x10000, v4
	s_delay_alu instid0(VALU_DEP_2) | instskip(NEXT) | instid1(VALU_DEP_1)
	v_cmp_eq_u32_e64 s0, 0, v5
	v_cndmask_b32_e64 v70, v10, v4, s0
; %bb.4431:                             ;   in Loop: Header=BB466_2335 Depth=1
	s_or_b32 exec_lo, exec_lo, s9
	v_lshlrev_b32_e32 v4, 16, v7
                                        ; implicit-def: $vgpr71
	s_delay_alu instid0(VALU_DEP_1) | instskip(NEXT) | instid1(VALU_DEP_1)
	v_mul_f32_e32 v4, v146, v4
	v_and_b32_e32 v5, 0x7f800000, v4
	s_delay_alu instid0(VALU_DEP_1) | instskip(NEXT) | instid1(VALU_DEP_1)
	v_cmp_ne_u32_e64 s0, 0x7f800000, v5
	s_and_saveexec_b32 s9, s0
	s_delay_alu instid0(SALU_CYCLE_1)
	s_xor_b32 s0, exec_lo, s9
; %bb.4432:                             ;   in Loop: Header=BB466_2335 Depth=1
	v_bfe_u32 v5, v4, 16, 1
	s_delay_alu instid0(VALU_DEP_1)
	v_add3_u32 v71, v4, v5, 0x7fff
                                        ; implicit-def: $vgpr4
; %bb.4433:                             ;   in Loop: Header=BB466_2335 Depth=1
	s_and_not1_saveexec_b32 s9, s0
; %bb.4434:                             ;   in Loop: Header=BB466_2335 Depth=1
	v_and_b32_e32 v5, 0xffff, v4
	v_or_b32_e32 v7, 0x10000, v4
	s_delay_alu instid0(VALU_DEP_2) | instskip(NEXT) | instid1(VALU_DEP_1)
	v_cmp_eq_u32_e64 s0, 0, v5
	v_cndmask_b32_e64 v71, v7, v4, s0
; %bb.4435:                             ;   in Loop: Header=BB466_2335 Depth=1
	s_or_b32 exec_lo, exec_lo, s9
	v_lshlrev_b32_e32 v4, 16, v6
                                        ; implicit-def: $vgpr80
	s_delay_alu instid0(VALU_DEP_1) | instskip(NEXT) | instid1(VALU_DEP_1)
	v_mul_f32_e32 v4, v147, v4
	v_and_b32_e32 v5, 0x7f800000, v4
	s_delay_alu instid0(VALU_DEP_1) | instskip(NEXT) | instid1(VALU_DEP_1)
	v_cmp_ne_u32_e64 s0, 0x7f800000, v5
	s_and_saveexec_b32 s9, s0
	s_delay_alu instid0(SALU_CYCLE_1)
	s_xor_b32 s0, exec_lo, s9
; %bb.4436:                             ;   in Loop: Header=BB466_2335 Depth=1
	v_bfe_u32 v5, v4, 16, 1
	s_delay_alu instid0(VALU_DEP_1)
	v_add3_u32 v80, v4, v5, 0x7fff
                                        ; implicit-def: $vgpr4
; %bb.4437:                             ;   in Loop: Header=BB466_2335 Depth=1
	s_and_not1_saveexec_b32 s9, s0
; %bb.4438:                             ;   in Loop: Header=BB466_2335 Depth=1
	v_and_b32_e32 v5, 0xffff, v4
	v_or_b32_e32 v6, 0x10000, v4
	s_delay_alu instid0(VALU_DEP_2) | instskip(NEXT) | instid1(VALU_DEP_1)
	v_cmp_eq_u32_e64 s0, 0, v5
	v_cndmask_b32_e64 v80, v6, v4, s0
; %bb.4439:                             ;   in Loop: Header=BB466_2335 Depth=1
	s_or_b32 exec_lo, exec_lo, s9
	v_lshlrev_b32_e32 v3, 16, v3
                                        ; implicit-def: $vgpr81
	s_delay_alu instid0(VALU_DEP_1) | instskip(NEXT) | instid1(VALU_DEP_1)
	v_mul_f32_e32 v3, v148, v3
	v_and_b32_e32 v4, 0x7f800000, v3
	s_delay_alu instid0(VALU_DEP_1) | instskip(NEXT) | instid1(VALU_DEP_1)
	v_cmp_ne_u32_e64 s0, 0x7f800000, v4
	s_and_saveexec_b32 s9, s0
	s_delay_alu instid0(SALU_CYCLE_1)
	s_xor_b32 s0, exec_lo, s9
; %bb.4440:                             ;   in Loop: Header=BB466_2335 Depth=1
	v_bfe_u32 v4, v3, 16, 1
	s_delay_alu instid0(VALU_DEP_1)
	v_add3_u32 v81, v3, v4, 0x7fff
                                        ; implicit-def: $vgpr3
; %bb.4441:                             ;   in Loop: Header=BB466_2335 Depth=1
	s_and_not1_saveexec_b32 s9, s0
; %bb.4442:                             ;   in Loop: Header=BB466_2335 Depth=1
	v_and_b32_e32 v4, 0xffff, v3
	v_or_b32_e32 v5, 0x10000, v3
	s_delay_alu instid0(VALU_DEP_2) | instskip(NEXT) | instid1(VALU_DEP_1)
	v_cmp_eq_u32_e64 s0, 0, v4
	v_cndmask_b32_e64 v81, v5, v3, s0
; %bb.4443:                             ;   in Loop: Header=BB466_2335 Depth=1
	s_or_b32 exec_lo, exec_lo, s9
	v_lshlrev_b32_e32 v2, 16, v2
                                        ; implicit-def: $vgpr82
	s_delay_alu instid0(VALU_DEP_1) | instskip(NEXT) | instid1(VALU_DEP_1)
	v_mul_f32_e32 v2, v149, v2
	v_and_b32_e32 v3, 0x7f800000, v2
	s_delay_alu instid0(VALU_DEP_1) | instskip(NEXT) | instid1(VALU_DEP_1)
	v_cmp_ne_u32_e64 s0, 0x7f800000, v3
	s_and_saveexec_b32 s9, s0
	s_delay_alu instid0(SALU_CYCLE_1)
	s_xor_b32 s0, exec_lo, s9
; %bb.4444:                             ;   in Loop: Header=BB466_2335 Depth=1
	v_bfe_u32 v3, v2, 16, 1
	s_delay_alu instid0(VALU_DEP_1)
	v_add3_u32 v82, v2, v3, 0x7fff
                                        ; implicit-def: $vgpr2
; %bb.4445:                             ;   in Loop: Header=BB466_2335 Depth=1
	s_and_not1_saveexec_b32 s9, s0
; %bb.4446:                             ;   in Loop: Header=BB466_2335 Depth=1
	v_and_b32_e32 v3, 0xffff, v2
	v_or_b32_e32 v4, 0x10000, v2
	s_delay_alu instid0(VALU_DEP_2) | instskip(NEXT) | instid1(VALU_DEP_1)
	v_cmp_eq_u32_e64 s0, 0, v3
	v_cndmask_b32_e64 v82, v4, v2, s0
; %bb.4447:                             ;   in Loop: Header=BB466_2335 Depth=1
	s_or_b32 exec_lo, exec_lo, s9
	scratch_load_b32 v2, off, s32 offset:556 ; 4-byte Folded Reload
	s_mov_b32 s9, exec_lo
	v_mov_b32_e32 v4, 0
	s_waitcnt vmcnt(0)
	v_add_co_u32 v2, s0, v0, v2
	s_delay_alu instid0(VALU_DEP_1) | instskip(SKIP_3) | instid1(VALU_DEP_1)
	v_add_co_ci_u32_e64 v3, s0, 0, v1, s0
	flat_load_b64 v[2:3], v[2:3]
	s_waitcnt vmcnt(0) lgkmcnt(0)
	v_and_b32_e32 v5, 0xff, v2
	v_cmpx_ne_u16_e32 0, v5
	s_cbranch_execz .LBB466_4455
; %bb.4448:                             ;   in Loop: Header=BB466_2335 Depth=1
	v_bfrev_b32_e32 v4, 1
	s_mov_b32 s12, exec_lo
	v_cmpx_ne_u16_e32 0x80, v5
	s_cbranch_execz .LBB466_4454
; %bb.4449:                             ;   in Loop: Header=BB466_2335 Depth=1
	v_and_b32_e32 v5, 0x7f, v2
	v_mov_b32_e32 v4, 0x7f800001
	s_mov_b32 s13, exec_lo
	s_delay_alu instid0(VALU_DEP_2)
	v_cmpx_ne_u32_e32 0x7f, v5
	s_cbranch_execz .LBB466_4453
; %bb.4450:                             ;   in Loop: Header=BB466_2335 Depth=1
	v_lshrrev_b32_e32 v4, 3, v5
	v_dual_mov_b32 v7, v3 :: v_dual_mov_b32 v6, v2
	s_mov_b32 s15, exec_lo
	v_cmpx_gt_u32_e32 8, v5
; %bb.4451:                             ;   in Loop: Header=BB466_2335 Depth=1
	v_and_b32_e32 v4, 7, v2
	s_delay_alu instid0(VALU_DEP_1) | instskip(NEXT) | instid1(VALU_DEP_1)
	v_clz_i32_u32_e32 v4, v4
	v_min_u32_e32 v4, 32, v4
	s_delay_alu instid0(VALU_DEP_1) | instskip(SKIP_1) | instid1(VALU_DEP_2)
	v_subrev_nc_u32_e32 v5, 28, v4
	v_sub_nc_u32_e32 v4, 29, v4
	v_lshlrev_b64 v[6:7], v5, v[2:3]
; %bb.4452:                             ;   in Loop: Header=BB466_2335 Depth=1
	s_or_b32 exec_lo, exec_lo, s15
	s_delay_alu instid0(VALU_DEP_1) | instskip(SKIP_2) | instid1(VALU_DEP_3)
	v_lshlrev_b32_e32 v5, 20, v6
	v_lshlrev_b32_e32 v6, 24, v2
	v_lshl_add_u32 v4, v4, 23, 0x3c000000
	v_and_b32_e32 v5, 0x700000, v5
	s_delay_alu instid0(VALU_DEP_3) | instskip(NEXT) | instid1(VALU_DEP_1)
	v_and_b32_e32 v6, 0x80000000, v6
	v_or3_b32 v4, v5, v6, v4
.LBB466_4453:                           ;   in Loop: Header=BB466_2335 Depth=1
	s_or_b32 exec_lo, exec_lo, s13
.LBB466_4454:                           ;   in Loop: Header=BB466_2335 Depth=1
	s_delay_alu instid0(SALU_CYCLE_1)
	s_or_b32 exec_lo, exec_lo, s12
.LBB466_4455:                           ;   in Loop: Header=BB466_2335 Depth=1
	s_delay_alu instid0(SALU_CYCLE_1) | instskip(NEXT) | instid1(VALU_DEP_1)
	s_or_b32 exec_lo, exec_lo, s9
	v_mul_f32_e32 v4, v26, v4
                                        ; implicit-def: $vgpr10
	s_delay_alu instid0(VALU_DEP_1) | instskip(NEXT) | instid1(VALU_DEP_1)
	v_and_b32_e32 v5, 0x7f800000, v4
	v_cmp_ne_u32_e64 s0, 0x7f800000, v5
	s_delay_alu instid0(VALU_DEP_1) | instskip(NEXT) | instid1(SALU_CYCLE_1)
	s_and_saveexec_b32 s9, s0
	s_xor_b32 s0, exec_lo, s9
; %bb.4456:                             ;   in Loop: Header=BB466_2335 Depth=1
	v_bfe_u32 v5, v4, 16, 1
	s_delay_alu instid0(VALU_DEP_1)
	v_add3_u32 v10, v4, v5, 0x7fff
                                        ; implicit-def: $vgpr4
; %bb.4457:                             ;   in Loop: Header=BB466_2335 Depth=1
	s_and_not1_saveexec_b32 s9, s0
; %bb.4458:                             ;   in Loop: Header=BB466_2335 Depth=1
	v_and_b32_e32 v5, 0xffff, v4
	v_or_b32_e32 v6, 0x10000, v4
	s_delay_alu instid0(VALU_DEP_2) | instskip(NEXT) | instid1(VALU_DEP_1)
	v_cmp_eq_u32_e64 s0, 0, v5
	v_cndmask_b32_e64 v10, v6, v4, s0
; %bb.4459:                             ;   in Loop: Header=BB466_2335 Depth=1
	s_or_b32 exec_lo, exec_lo, s9
	v_lshrrev_b16 v5, 8, v2
	v_mov_b32_e32 v4, 0
	s_mov_b32 s9, exec_lo
	s_delay_alu instid0(VALU_DEP_2)
	v_cmpx_ne_u16_e32 0, v5
	s_cbranch_execz .LBB466_4467
; %bb.4460:                             ;   in Loop: Header=BB466_2335 Depth=1
	v_bfrev_b32_e32 v4, 1
	s_mov_b32 s12, exec_lo
	v_cmpx_ne_u16_e32 0x80, v5
	s_cbranch_execz .LBB466_4466
; %bb.4461:                             ;   in Loop: Header=BB466_2335 Depth=1
	v_and_b32_e32 v5, 0xffff, v5
	v_mov_b32_e32 v4, 0x7f800001
	s_mov_b32 s13, exec_lo
	s_delay_alu instid0(VALU_DEP_2) | instskip(NEXT) | instid1(VALU_DEP_1)
	v_and_b32_e32 v11, 0x7f, v5
	v_cmpx_ne_u32_e32 0x7f, v11
	s_cbranch_execz .LBB466_4465
; %bb.4462:                             ;   in Loop: Header=BB466_2335 Depth=1
	v_and_b32_e32 v12, 7, v5
	v_lshrrev_b32_e32 v4, 3, v11
	s_mov_b32 s15, exec_lo
	s_delay_alu instid0(VALU_DEP_2)
	v_dual_mov_b32 v6, v12 :: v_dual_mov_b32 v7, v13
	v_cmpx_gt_u32_e32 8, v11
; %bb.4463:                             ;   in Loop: Header=BB466_2335 Depth=1
	v_clz_i32_u32_e32 v4, v12
	s_delay_alu instid0(VALU_DEP_1) | instskip(NEXT) | instid1(VALU_DEP_1)
	v_min_u32_e32 v4, 32, v4
	v_subrev_nc_u32_e32 v5, 28, v4
	v_sub_nc_u32_e32 v4, 29, v4
	s_delay_alu instid0(VALU_DEP_2) | instskip(NEXT) | instid1(VALU_DEP_1)
	v_lshlrev_b64 v[5:6], v5, v[12:13]
	v_and_b32_e32 v6, 7, v5
; %bb.4464:                             ;   in Loop: Header=BB466_2335 Depth=1
	s_or_b32 exec_lo, exec_lo, s15
	v_lshlrev_b32_e32 v5, 16, v2
	s_delay_alu instid0(VALU_DEP_2) | instskip(SKIP_1) | instid1(VALU_DEP_3)
	v_lshlrev_b32_e32 v6, 20, v6
	v_lshl_add_u32 v4, v4, 23, 0x3c000000
	v_and_b32_e32 v5, 0x80000000, v5
	s_delay_alu instid0(VALU_DEP_1)
	v_or3_b32 v4, v6, v5, v4
.LBB466_4465:                           ;   in Loop: Header=BB466_2335 Depth=1
	s_or_b32 exec_lo, exec_lo, s13
.LBB466_4466:                           ;   in Loop: Header=BB466_2335 Depth=1
	s_delay_alu instid0(SALU_CYCLE_1)
	s_or_b32 exec_lo, exec_lo, s12
.LBB466_4467:                           ;   in Loop: Header=BB466_2335 Depth=1
	s_delay_alu instid0(SALU_CYCLE_1) | instskip(NEXT) | instid1(VALU_DEP_1)
	s_or_b32 exec_lo, exec_lo, s9
	v_mul_f32_e32 v4, v26, v4
                                        ; implicit-def: $vgpr11
	s_delay_alu instid0(VALU_DEP_1) | instskip(NEXT) | instid1(VALU_DEP_1)
	v_and_b32_e32 v5, 0x7f800000, v4
	v_cmp_ne_u32_e64 s0, 0x7f800000, v5
	s_delay_alu instid0(VALU_DEP_1) | instskip(NEXT) | instid1(SALU_CYCLE_1)
	s_and_saveexec_b32 s9, s0
	s_xor_b32 s0, exec_lo, s9
; %bb.4468:                             ;   in Loop: Header=BB466_2335 Depth=1
	v_bfe_u32 v5, v4, 16, 1
	s_delay_alu instid0(VALU_DEP_1)
	v_add3_u32 v11, v4, v5, 0x7fff
                                        ; implicit-def: $vgpr4
; %bb.4469:                             ;   in Loop: Header=BB466_2335 Depth=1
	s_and_not1_saveexec_b32 s9, s0
; %bb.4470:                             ;   in Loop: Header=BB466_2335 Depth=1
	v_and_b32_e32 v5, 0xffff, v4
	v_or_b32_e32 v6, 0x10000, v4
	s_delay_alu instid0(VALU_DEP_2) | instskip(NEXT) | instid1(VALU_DEP_1)
	v_cmp_eq_u32_e64 s0, 0, v5
	v_cndmask_b32_e64 v11, v6, v4, s0
; %bb.4471:                             ;   in Loop: Header=BB466_2335 Depth=1
	s_or_b32 exec_lo, exec_lo, s9
	v_lshrrev_b32_e32 v17, 16, v2
	s_mov_b32 s9, exec_lo
	s_delay_alu instid0(VALU_DEP_1) | instskip(NEXT) | instid1(VALU_DEP_1)
	v_dual_mov_b32 v4, 0 :: v_dual_and_b32 v5, 0xff, v17
	v_cmpx_ne_u16_e32 0, v5
	s_cbranch_execz .LBB466_4479
; %bb.4472:                             ;   in Loop: Header=BB466_2335 Depth=1
	v_bfrev_b32_e32 v4, 1
	s_mov_b32 s12, exec_lo
	v_cmpx_ne_u16_e32 0x80, v5
	s_cbranch_execz .LBB466_4478
; %bb.4473:                             ;   in Loop: Header=BB466_2335 Depth=1
	v_bfe_u32 v18, v2, 16, 7
	v_mov_b32_e32 v4, 0x7f800001
	s_mov_b32 s13, exec_lo
	s_delay_alu instid0(VALU_DEP_2)
	v_cmpx_ne_u32_e32 0x7f, v18
	s_cbranch_execz .LBB466_4477
; %bb.4474:                             ;   in Loop: Header=BB466_2335 Depth=1
	v_and_b32_e32 v12, 7, v17
	v_lshrrev_b32_e32 v4, 3, v18
	s_mov_b32 s15, exec_lo
	s_delay_alu instid0(VALU_DEP_2)
	v_dual_mov_b32 v6, v12 :: v_dual_mov_b32 v7, v13
	v_cmpx_gt_u32_e32 8, v18
; %bb.4475:                             ;   in Loop: Header=BB466_2335 Depth=1
	v_clz_i32_u32_e32 v4, v12
	s_delay_alu instid0(VALU_DEP_1) | instskip(NEXT) | instid1(VALU_DEP_1)
	v_min_u32_e32 v4, 32, v4
	v_subrev_nc_u32_e32 v5, 28, v4
	v_sub_nc_u32_e32 v4, 29, v4
	s_delay_alu instid0(VALU_DEP_2) | instskip(NEXT) | instid1(VALU_DEP_1)
	v_lshlrev_b64 v[5:6], v5, v[12:13]
	v_and_b32_e32 v6, 7, v5
; %bb.4476:                             ;   in Loop: Header=BB466_2335 Depth=1
	s_or_b32 exec_lo, exec_lo, s15
	v_lshlrev_b32_e32 v5, 24, v17
	s_delay_alu instid0(VALU_DEP_2) | instskip(SKIP_1) | instid1(VALU_DEP_3)
	v_lshlrev_b32_e32 v6, 20, v6
	v_lshl_add_u32 v4, v4, 23, 0x3c000000
	v_and_b32_e32 v5, 0x80000000, v5
	s_delay_alu instid0(VALU_DEP_1)
	v_or3_b32 v4, v6, v5, v4
.LBB466_4477:                           ;   in Loop: Header=BB466_2335 Depth=1
	s_or_b32 exec_lo, exec_lo, s13
.LBB466_4478:                           ;   in Loop: Header=BB466_2335 Depth=1
	s_delay_alu instid0(SALU_CYCLE_1)
	s_or_b32 exec_lo, exec_lo, s12
.LBB466_4479:                           ;   in Loop: Header=BB466_2335 Depth=1
	s_delay_alu instid0(SALU_CYCLE_1) | instskip(NEXT) | instid1(VALU_DEP_1)
	s_or_b32 exec_lo, exec_lo, s9
	v_mul_f32_e32 v4, v26, v4
                                        ; implicit-def: $vgpr17
	s_delay_alu instid0(VALU_DEP_1) | instskip(NEXT) | instid1(VALU_DEP_1)
	v_and_b32_e32 v5, 0x7f800000, v4
	v_cmp_ne_u32_e64 s0, 0x7f800000, v5
	s_delay_alu instid0(VALU_DEP_1) | instskip(NEXT) | instid1(SALU_CYCLE_1)
	s_and_saveexec_b32 s9, s0
	s_xor_b32 s0, exec_lo, s9
; %bb.4480:                             ;   in Loop: Header=BB466_2335 Depth=1
	v_bfe_u32 v5, v4, 16, 1
	s_delay_alu instid0(VALU_DEP_1)
	v_add3_u32 v17, v4, v5, 0x7fff
                                        ; implicit-def: $vgpr4
; %bb.4481:                             ;   in Loop: Header=BB466_2335 Depth=1
	s_and_not1_saveexec_b32 s9, s0
; %bb.4482:                             ;   in Loop: Header=BB466_2335 Depth=1
	v_and_b32_e32 v5, 0xffff, v4
	v_or_b32_e32 v6, 0x10000, v4
	s_delay_alu instid0(VALU_DEP_2) | instskip(NEXT) | instid1(VALU_DEP_1)
	v_cmp_eq_u32_e64 s0, 0, v5
	v_cndmask_b32_e64 v17, v6, v4, s0
; %bb.4483:                             ;   in Loop: Header=BB466_2335 Depth=1
	s_or_b32 exec_lo, exec_lo, s9
	v_mov_b32_e32 v6, 0
	s_mov_b32 s9, exec_lo
	v_cmpx_lt_u32_e32 0xffffff, v2
	s_cbranch_execz .LBB466_4491
; %bb.4484:                             ;   in Loop: Header=BB466_2335 Depth=1
	v_lshrrev_b32_e32 v4, 24, v2
	v_bfrev_b32_e32 v6, 1
	s_mov_b32 s12, exec_lo
	s_delay_alu instid0(VALU_DEP_2)
	v_cmpx_ne_u32_e32 0x80, v4
	s_cbranch_execz .LBB466_4490
; %bb.4485:                             ;   in Loop: Header=BB466_2335 Depth=1
	v_bfe_u32 v18, v2, 24, 7
	v_mov_b32_e32 v6, 0x7f800001
	s_mov_b32 s13, exec_lo
	s_delay_alu instid0(VALU_DEP_2)
	v_cmpx_ne_u32_e32 0x7f, v18
	s_cbranch_execz .LBB466_4489
; %bb.4486:                             ;   in Loop: Header=BB466_2335 Depth=1
	v_and_b32_e32 v12, 7, v4
	s_mov_b32 s15, exec_lo
	s_delay_alu instid0(VALU_DEP_1)
	v_dual_mov_b32 v6, v12 :: v_dual_mov_b32 v7, v13
	v_lshrrev_b32_e32 v7, 3, v18
	v_cmpx_gt_u32_e32 8, v18
; %bb.4487:                             ;   in Loop: Header=BB466_2335 Depth=1
	v_clz_i32_u32_e32 v5, v12
	s_delay_alu instid0(VALU_DEP_1) | instskip(NEXT) | instid1(VALU_DEP_1)
	v_min_u32_e32 v7, 32, v5
	v_subrev_nc_u32_e32 v5, 28, v7
	v_sub_nc_u32_e32 v7, 29, v7
	s_delay_alu instid0(VALU_DEP_2) | instskip(NEXT) | instid1(VALU_DEP_1)
	v_lshlrev_b64 v[5:6], v5, v[12:13]
	v_and_b32_e32 v6, 7, v5
; %bb.4488:                             ;   in Loop: Header=BB466_2335 Depth=1
	s_or_b32 exec_lo, exec_lo, s15
	v_lshlrev_b32_e32 v4, 24, v4
	s_delay_alu instid0(VALU_DEP_2) | instskip(SKIP_1) | instid1(VALU_DEP_3)
	v_lshlrev_b32_e32 v5, 20, v6
	v_lshl_add_u32 v6, v7, 23, 0x3c000000
	v_and_b32_e32 v4, 0x80000000, v4
	s_delay_alu instid0(VALU_DEP_1)
	v_or3_b32 v6, v5, v4, v6
.LBB466_4489:                           ;   in Loop: Header=BB466_2335 Depth=1
	s_or_b32 exec_lo, exec_lo, s13
.LBB466_4490:                           ;   in Loop: Header=BB466_2335 Depth=1
	s_delay_alu instid0(SALU_CYCLE_1)
	s_or_b32 exec_lo, exec_lo, s12
.LBB466_4491:                           ;   in Loop: Header=BB466_2335 Depth=1
	s_delay_alu instid0(SALU_CYCLE_1) | instskip(NEXT) | instid1(VALU_DEP_1)
	s_or_b32 exec_lo, exec_lo, s9
	v_mul_f32_e32 v4, v26, v6
                                        ; implicit-def: $vgpr18
	s_delay_alu instid0(VALU_DEP_1) | instskip(NEXT) | instid1(VALU_DEP_1)
	v_and_b32_e32 v5, 0x7f800000, v4
	v_cmp_ne_u32_e64 s0, 0x7f800000, v5
	s_delay_alu instid0(VALU_DEP_1) | instskip(NEXT) | instid1(SALU_CYCLE_1)
	s_and_saveexec_b32 s9, s0
	s_xor_b32 s0, exec_lo, s9
; %bb.4492:                             ;   in Loop: Header=BB466_2335 Depth=1
	v_bfe_u32 v5, v4, 16, 1
	s_delay_alu instid0(VALU_DEP_1)
	v_add3_u32 v18, v4, v5, 0x7fff
                                        ; implicit-def: $vgpr4
; %bb.4493:                             ;   in Loop: Header=BB466_2335 Depth=1
	s_and_not1_saveexec_b32 s9, s0
; %bb.4494:                             ;   in Loop: Header=BB466_2335 Depth=1
	v_and_b32_e32 v5, 0xffff, v4
	v_or_b32_e32 v6, 0x10000, v4
	s_delay_alu instid0(VALU_DEP_2) | instskip(NEXT) | instid1(VALU_DEP_1)
	v_cmp_eq_u32_e64 s0, 0, v5
	v_cndmask_b32_e64 v18, v6, v4, s0
; %bb.4495:                             ;   in Loop: Header=BB466_2335 Depth=1
	s_or_b32 exec_lo, exec_lo, s9
	v_dual_mov_b32 v12, v3 :: v_dual_and_b32 v5, 0xff, v3
	v_mov_b32_e32 v4, 0
	s_mov_b32 s9, exec_lo
	s_delay_alu instid0(VALU_DEP_2)
	v_cmpx_ne_u16_e32 0, v5
	s_cbranch_execz .LBB466_4503
; %bb.4496:                             ;   in Loop: Header=BB466_2335 Depth=1
	v_bfrev_b32_e32 v4, 1
	s_mov_b32 s12, exec_lo
	v_cmpx_ne_u16_e32 0x80, v5
	s_cbranch_execz .LBB466_4502
; %bb.4497:                             ;   in Loop: Header=BB466_2335 Depth=1
	v_and_b32_e32 v5, 0x7f, v3
	v_mov_b32_e32 v4, 0x7f800001
	s_mov_b32 s13, exec_lo
	s_delay_alu instid0(VALU_DEP_2)
	v_cmpx_ne_u32_e32 0x7f, v5
	s_cbranch_execz .LBB466_4501
; %bb.4498:                             ;   in Loop: Header=BB466_2335 Depth=1
	v_dual_mov_b32 v6, v12 :: v_dual_mov_b32 v7, v13
	v_lshrrev_b32_e32 v4, 3, v5
	s_mov_b32 s15, exec_lo
	v_cmpx_gt_u32_e32 8, v5
; %bb.4499:                             ;   in Loop: Header=BB466_2335 Depth=1
	v_and_b32_e32 v4, 7, v3
	s_delay_alu instid0(VALU_DEP_1) | instskip(NEXT) | instid1(VALU_DEP_1)
	v_clz_i32_u32_e32 v4, v4
	v_min_u32_e32 v4, 32, v4
	s_delay_alu instid0(VALU_DEP_1) | instskip(SKIP_1) | instid1(VALU_DEP_2)
	v_subrev_nc_u32_e32 v5, 28, v4
	v_sub_nc_u32_e32 v4, 29, v4
	v_lshlrev_b64 v[6:7], v5, v[12:13]
; %bb.4500:                             ;   in Loop: Header=BB466_2335 Depth=1
	s_or_b32 exec_lo, exec_lo, s15
	s_delay_alu instid0(VALU_DEP_1) | instskip(SKIP_2) | instid1(VALU_DEP_3)
	v_lshlrev_b32_e32 v5, 20, v6
	v_lshlrev_b32_e32 v6, 24, v12
	v_lshl_add_u32 v4, v4, 23, 0x3c000000
	v_and_b32_e32 v5, 0x700000, v5
	s_delay_alu instid0(VALU_DEP_3) | instskip(NEXT) | instid1(VALU_DEP_1)
	v_and_b32_e32 v6, 0x80000000, v6
	v_or3_b32 v4, v5, v6, v4
.LBB466_4501:                           ;   in Loop: Header=BB466_2335 Depth=1
	s_or_b32 exec_lo, exec_lo, s13
.LBB466_4502:                           ;   in Loop: Header=BB466_2335 Depth=1
	s_delay_alu instid0(SALU_CYCLE_1)
	s_or_b32 exec_lo, exec_lo, s12
.LBB466_4503:                           ;   in Loop: Header=BB466_2335 Depth=1
	s_delay_alu instid0(SALU_CYCLE_1) | instskip(NEXT) | instid1(VALU_DEP_1)
	s_or_b32 exec_lo, exec_lo, s9
	v_mul_f32_e32 v4, v26, v4
                                        ; implicit-def: $vgpr19
	s_delay_alu instid0(VALU_DEP_1) | instskip(NEXT) | instid1(VALU_DEP_1)
	v_and_b32_e32 v5, 0x7f800000, v4
	v_cmp_ne_u32_e64 s0, 0x7f800000, v5
	s_delay_alu instid0(VALU_DEP_1) | instskip(NEXT) | instid1(SALU_CYCLE_1)
	s_and_saveexec_b32 s9, s0
	s_xor_b32 s0, exec_lo, s9
; %bb.4504:                             ;   in Loop: Header=BB466_2335 Depth=1
	v_bfe_u32 v5, v4, 16, 1
	s_delay_alu instid0(VALU_DEP_1)
	v_add3_u32 v19, v4, v5, 0x7fff
                                        ; implicit-def: $vgpr4
; %bb.4505:                             ;   in Loop: Header=BB466_2335 Depth=1
	s_and_not1_saveexec_b32 s9, s0
; %bb.4506:                             ;   in Loop: Header=BB466_2335 Depth=1
	v_and_b32_e32 v5, 0xffff, v4
	v_or_b32_e32 v6, 0x10000, v4
	s_delay_alu instid0(VALU_DEP_2) | instskip(NEXT) | instid1(VALU_DEP_1)
	v_cmp_eq_u32_e64 s0, 0, v5
	v_cndmask_b32_e64 v19, v6, v4, s0
; %bb.4507:                             ;   in Loop: Header=BB466_2335 Depth=1
	s_or_b32 exec_lo, exec_lo, s9
	v_lshrrev_b16 v5, 8, v12
	v_mov_b32_e32 v4, 0
	s_mov_b32 s9, exec_lo
	s_delay_alu instid0(VALU_DEP_2)
	v_cmpx_ne_u16_e32 0, v5
	s_cbranch_execz .LBB466_4515
; %bb.4508:                             ;   in Loop: Header=BB466_2335 Depth=1
	v_bfrev_b32_e32 v4, 1
	s_mov_b32 s12, exec_lo
	v_cmpx_ne_u16_e32 0x80, v5
	s_cbranch_execz .LBB466_4514
; %bb.4509:                             ;   in Loop: Header=BB466_2335 Depth=1
	v_and_b32_e32 v6, 0xffff, v5
	v_mov_b32_e32 v4, 0x7f800001
	s_mov_b32 s13, exec_lo
	s_delay_alu instid0(VALU_DEP_2) | instskip(NEXT) | instid1(VALU_DEP_1)
	v_and_b32_e32 v5, 0x7f, v6
	v_cmpx_ne_u32_e32 0x7f, v5
	s_cbranch_execz .LBB466_4513
; %bb.4510:                             ;   in Loop: Header=BB466_2335 Depth=1
	v_dual_mov_b32 v7, v13 :: v_dual_and_b32 v6, 7, v6
	v_lshrrev_b32_e32 v4, 3, v5
	s_mov_b32 s15, exec_lo
	v_cmpx_gt_u32_e32 8, v5
; %bb.4511:                             ;   in Loop: Header=BB466_2335 Depth=1
	s_delay_alu instid0(VALU_DEP_3) | instskip(NEXT) | instid1(VALU_DEP_1)
	v_clz_i32_u32_e32 v4, v6
	v_min_u32_e32 v4, 32, v4
	s_delay_alu instid0(VALU_DEP_1) | instskip(SKIP_1) | instid1(VALU_DEP_2)
	v_subrev_nc_u32_e32 v5, 28, v4
	v_sub_nc_u32_e32 v4, 29, v4
	v_lshlrev_b64 v[5:6], v5, v[6:7]
	s_delay_alu instid0(VALU_DEP_1)
	v_and_b32_e32 v6, 7, v5
; %bb.4512:                             ;   in Loop: Header=BB466_2335 Depth=1
	s_or_b32 exec_lo, exec_lo, s15
	v_lshlrev_b32_e32 v5, 16, v12
	s_delay_alu instid0(VALU_DEP_2) | instskip(SKIP_1) | instid1(VALU_DEP_3)
	v_lshlrev_b32_e32 v6, 20, v6
	v_lshl_add_u32 v4, v4, 23, 0x3c000000
	v_and_b32_e32 v5, 0x80000000, v5
	s_delay_alu instid0(VALU_DEP_1)
	v_or3_b32 v4, v6, v5, v4
.LBB466_4513:                           ;   in Loop: Header=BB466_2335 Depth=1
	s_or_b32 exec_lo, exec_lo, s13
.LBB466_4514:                           ;   in Loop: Header=BB466_2335 Depth=1
	s_delay_alu instid0(SALU_CYCLE_1)
	s_or_b32 exec_lo, exec_lo, s12
.LBB466_4515:                           ;   in Loop: Header=BB466_2335 Depth=1
	s_delay_alu instid0(SALU_CYCLE_1) | instskip(NEXT) | instid1(VALU_DEP_1)
	s_or_b32 exec_lo, exec_lo, s9
	v_mul_f32_e32 v4, v26, v4
                                        ; implicit-def: $vgpr22
	s_delay_alu instid0(VALU_DEP_1) | instskip(NEXT) | instid1(VALU_DEP_1)
	v_and_b32_e32 v5, 0x7f800000, v4
	v_cmp_ne_u32_e64 s0, 0x7f800000, v5
	s_delay_alu instid0(VALU_DEP_1) | instskip(NEXT) | instid1(SALU_CYCLE_1)
	s_and_saveexec_b32 s9, s0
	s_xor_b32 s0, exec_lo, s9
; %bb.4516:                             ;   in Loop: Header=BB466_2335 Depth=1
	v_bfe_u32 v5, v4, 16, 1
	s_delay_alu instid0(VALU_DEP_1)
	v_add3_u32 v22, v4, v5, 0x7fff
                                        ; implicit-def: $vgpr4
; %bb.4517:                             ;   in Loop: Header=BB466_2335 Depth=1
	s_and_not1_saveexec_b32 s9, s0
; %bb.4518:                             ;   in Loop: Header=BB466_2335 Depth=1
	v_and_b32_e32 v5, 0xffff, v4
	v_or_b32_e32 v6, 0x10000, v4
	s_delay_alu instid0(VALU_DEP_2) | instskip(NEXT) | instid1(VALU_DEP_1)
	v_cmp_eq_u32_e64 s0, 0, v5
	v_cndmask_b32_e64 v22, v6, v4, s0
; %bb.4519:                             ;   in Loop: Header=BB466_2335 Depth=1
	s_or_b32 exec_lo, exec_lo, s9
	v_lshrrev_b32_e32 v27, 16, v3
	s_mov_b32 s9, exec_lo
	s_delay_alu instid0(VALU_DEP_1) | instskip(NEXT) | instid1(VALU_DEP_1)
	v_dual_mov_b32 v4, 0 :: v_dual_and_b32 v5, 0xff, v27
	v_cmpx_ne_u16_e32 0, v5
	s_cbranch_execz .LBB466_4527
; %bb.4520:                             ;   in Loop: Header=BB466_2335 Depth=1
	v_bfrev_b32_e32 v4, 1
	s_mov_b32 s12, exec_lo
	v_cmpx_ne_u16_e32 0x80, v5
	s_cbranch_execz .LBB466_4526
; %bb.4521:                             ;   in Loop: Header=BB466_2335 Depth=1
	v_bfe_u32 v37, v3, 16, 7
	v_mov_b32_e32 v4, 0x7f800001
	s_mov_b32 s13, exec_lo
	s_delay_alu instid0(VALU_DEP_2)
	v_cmpx_ne_u32_e32 0x7f, v37
	s_cbranch_execz .LBB466_4525
; %bb.4522:                             ;   in Loop: Header=BB466_2335 Depth=1
	v_and_b32_e32 v12, 7, v27
	v_lshrrev_b32_e32 v4, 3, v37
	s_mov_b32 s15, exec_lo
	s_delay_alu instid0(VALU_DEP_2)
	v_dual_mov_b32 v6, v12 :: v_dual_mov_b32 v7, v13
	v_cmpx_gt_u32_e32 8, v37
; %bb.4523:                             ;   in Loop: Header=BB466_2335 Depth=1
	v_clz_i32_u32_e32 v4, v12
	s_delay_alu instid0(VALU_DEP_1) | instskip(NEXT) | instid1(VALU_DEP_1)
	v_min_u32_e32 v4, 32, v4
	v_subrev_nc_u32_e32 v5, 28, v4
	v_sub_nc_u32_e32 v4, 29, v4
	s_delay_alu instid0(VALU_DEP_2) | instskip(NEXT) | instid1(VALU_DEP_1)
	v_lshlrev_b64 v[5:6], v5, v[12:13]
	v_and_b32_e32 v6, 7, v5
; %bb.4524:                             ;   in Loop: Header=BB466_2335 Depth=1
	s_or_b32 exec_lo, exec_lo, s15
	v_lshlrev_b32_e32 v5, 24, v27
	s_delay_alu instid0(VALU_DEP_2) | instskip(SKIP_1) | instid1(VALU_DEP_3)
	v_lshlrev_b32_e32 v6, 20, v6
	v_lshl_add_u32 v4, v4, 23, 0x3c000000
	v_and_b32_e32 v5, 0x80000000, v5
	s_delay_alu instid0(VALU_DEP_1)
	v_or3_b32 v4, v6, v5, v4
.LBB466_4525:                           ;   in Loop: Header=BB466_2335 Depth=1
	s_or_b32 exec_lo, exec_lo, s13
.LBB466_4526:                           ;   in Loop: Header=BB466_2335 Depth=1
	s_delay_alu instid0(SALU_CYCLE_1)
	s_or_b32 exec_lo, exec_lo, s12
.LBB466_4527:                           ;   in Loop: Header=BB466_2335 Depth=1
	s_delay_alu instid0(SALU_CYCLE_1) | instskip(NEXT) | instid1(VALU_DEP_1)
	s_or_b32 exec_lo, exec_lo, s9
	v_mul_f32_e32 v4, v26, v4
                                        ; implicit-def: $vgpr27
	s_delay_alu instid0(VALU_DEP_1) | instskip(NEXT) | instid1(VALU_DEP_1)
	v_and_b32_e32 v5, 0x7f800000, v4
	v_cmp_ne_u32_e64 s0, 0x7f800000, v5
	s_delay_alu instid0(VALU_DEP_1) | instskip(NEXT) | instid1(SALU_CYCLE_1)
	s_and_saveexec_b32 s9, s0
	s_xor_b32 s0, exec_lo, s9
; %bb.4528:                             ;   in Loop: Header=BB466_2335 Depth=1
	v_bfe_u32 v5, v4, 16, 1
	s_delay_alu instid0(VALU_DEP_1)
	v_add3_u32 v27, v4, v5, 0x7fff
                                        ; implicit-def: $vgpr4
; %bb.4529:                             ;   in Loop: Header=BB466_2335 Depth=1
	s_and_not1_saveexec_b32 s9, s0
; %bb.4530:                             ;   in Loop: Header=BB466_2335 Depth=1
	v_and_b32_e32 v5, 0xffff, v4
	v_or_b32_e32 v6, 0x10000, v4
	s_delay_alu instid0(VALU_DEP_2) | instskip(NEXT) | instid1(VALU_DEP_1)
	v_cmp_eq_u32_e64 s0, 0, v5
	v_cndmask_b32_e64 v27, v6, v4, s0
; %bb.4531:                             ;   in Loop: Header=BB466_2335 Depth=1
	s_or_b32 exec_lo, exec_lo, s9
	v_cmp_lt_u64_e64 s0, s[2:3], v[2:3]
	v_mov_b32_e32 v2, 0
	s_delay_alu instid0(VALU_DEP_2)
	s_and_saveexec_b32 s9, s0
	s_cbranch_execz .LBB466_4539
; %bb.4532:                             ;   in Loop: Header=BB466_2335 Depth=1
	v_lshrrev_b32_e32 v4, 24, v3
	v_bfrev_b32_e32 v2, 1
	s_mov_b32 s12, exec_lo
	s_delay_alu instid0(VALU_DEP_2)
	v_cmpx_ne_u32_e32 0x80, v4
	s_cbranch_execz .LBB466_4538
; %bb.4533:                             ;   in Loop: Header=BB466_2335 Depth=1
	v_bfe_u32 v6, v3, 24, 7
	v_mov_b32_e32 v2, 0x7f800001
	s_mov_b32 s13, exec_lo
	s_delay_alu instid0(VALU_DEP_2)
	v_cmpx_ne_u32_e32 0x7f, v6
	s_cbranch_execz .LBB466_4537
; %bb.4534:                             ;   in Loop: Header=BB466_2335 Depth=1
	v_and_b32_e32 v12, 7, v4
	s_mov_b32 s15, exec_lo
	s_delay_alu instid0(VALU_DEP_1)
	v_dual_mov_b32 v2, v12 :: v_dual_mov_b32 v3, v13
	v_lshrrev_b32_e32 v3, 3, v6
	v_cmpx_gt_u32_e32 8, v6
; %bb.4535:                             ;   in Loop: Header=BB466_2335 Depth=1
	v_clz_i32_u32_e32 v2, v12
	s_delay_alu instid0(VALU_DEP_1) | instskip(NEXT) | instid1(VALU_DEP_1)
	v_min_u32_e32 v5, 32, v2
	v_subrev_nc_u32_e32 v2, 28, v5
	s_delay_alu instid0(VALU_DEP_1) | instskip(SKIP_1) | instid1(VALU_DEP_2)
	v_lshlrev_b64 v[2:3], v2, v[12:13]
	v_sub_nc_u32_e32 v3, 29, v5
	v_and_b32_e32 v2, 7, v2
; %bb.4536:                             ;   in Loop: Header=BB466_2335 Depth=1
	s_or_b32 exec_lo, exec_lo, s15
	v_lshlrev_b32_e32 v4, 24, v4
	s_delay_alu instid0(VALU_DEP_2) | instskip(SKIP_1) | instid1(VALU_DEP_3)
	v_lshlrev_b32_e32 v2, 20, v2
	v_lshl_add_u32 v3, v3, 23, 0x3c000000
	v_and_b32_e32 v4, 0x80000000, v4
	s_delay_alu instid0(VALU_DEP_1)
	v_or3_b32 v2, v2, v4, v3
.LBB466_4537:                           ;   in Loop: Header=BB466_2335 Depth=1
	s_or_b32 exec_lo, exec_lo, s13
.LBB466_4538:                           ;   in Loop: Header=BB466_2335 Depth=1
	s_delay_alu instid0(SALU_CYCLE_1)
	s_or_b32 exec_lo, exec_lo, s12
.LBB466_4539:                           ;   in Loop: Header=BB466_2335 Depth=1
	s_delay_alu instid0(SALU_CYCLE_1) | instskip(NEXT) | instid1(VALU_DEP_1)
	s_or_b32 exec_lo, exec_lo, s9
	v_mul_f32_e32 v3, v26, v2
	s_delay_alu instid0(VALU_DEP_1) | instskip(NEXT) | instid1(VALU_DEP_1)
	v_and_b32_e32 v2, 0x7f800000, v3
	v_cmp_ne_u32_e64 s0, 0x7f800000, v2
                                        ; implicit-def: $vgpr2
	s_delay_alu instid0(VALU_DEP_1) | instskip(NEXT) | instid1(SALU_CYCLE_1)
	s_and_saveexec_b32 s9, s0
	s_xor_b32 s0, exec_lo, s9
; %bb.4540:                             ;   in Loop: Header=BB466_2335 Depth=1
	v_bfe_u32 v2, v3, 16, 1
	s_delay_alu instid0(VALU_DEP_1)
	v_add3_u32 v2, v3, v2, 0x7fff
                                        ; implicit-def: $vgpr3
; %bb.4541:                             ;   in Loop: Header=BB466_2335 Depth=1
	s_and_not1_saveexec_b32 s9, s0
; %bb.4542:                             ;   in Loop: Header=BB466_2335 Depth=1
	v_and_b32_e32 v2, 0xffff, v3
	v_or_b32_e32 v4, 0x10000, v3
	s_delay_alu instid0(VALU_DEP_2) | instskip(NEXT) | instid1(VALU_DEP_1)
	v_cmp_eq_u32_e64 s0, 0, v2
	v_cndmask_b32_e64 v2, v4, v3, s0
; %bb.4543:                             ;   in Loop: Header=BB466_2335 Depth=1
	s_or_b32 exec_lo, exec_lo, s9
	v_lshrrev_b32_e32 v6, 16, v22
	v_lshrrev_b32_e32 v7, 16, v19
	v_lshrrev_b32_e32 v12, 16, v18
	v_lshrrev_b32_e32 v18, 16, v17
	v_lshrrev_b32_e32 v11, 16, v11
	v_lshrrev_b32_e32 v4, 16, v10
	v_lshrrev_b32_e32 v3, 16, v27
	v_lshrrev_b32_e32 v2, 16, v2
	s_and_saveexec_b32 s9, vcc_lo
	s_cbranch_execz .LBB466_4545
; %bb.4544:                             ;   in Loop: Header=BB466_2335 Depth=1
	v_cmp_lt_i32_e64 s0, v130, v36
	s_delay_alu instid0(VALU_DEP_1) | instskip(SKIP_1) | instid1(VALU_DEP_1)
	v_cndmask_b32_e64 v4, 0, v4, s0
	v_cmp_lt_i32_e64 s0, v133, v36
	v_cndmask_b32_e64 v11, 0, v11, s0
	v_cmp_lt_i32_e64 s0, v132, v36
	s_delay_alu instid0(VALU_DEP_1) | instskip(SKIP_1) | instid1(VALU_DEP_1)
	v_cndmask_b32_e64 v18, 0, v18, s0
	v_cmp_lt_i32_e64 s0, v131, v36
	v_cndmask_b32_e64 v12, 0, v12, s0
	;; [unrolled: 5-line block ×4, first 2 shown]
.LBB466_4545:                           ;   in Loop: Header=BB466_2335 Depth=1
	s_or_b32 exec_lo, exec_lo, s9
	v_lshlrev_b32_e32 v4, 16, v4
                                        ; implicit-def: $vgpr17
	s_delay_alu instid0(VALU_DEP_1) | instskip(NEXT) | instid1(VALU_DEP_1)
	v_mul_f32_e32 v4, v134, v4
	v_and_b32_e32 v5, 0x7f800000, v4
	s_delay_alu instid0(VALU_DEP_1) | instskip(NEXT) | instid1(VALU_DEP_1)
	v_cmp_ne_u32_e64 s0, 0x7f800000, v5
	s_and_saveexec_b32 s9, s0
	s_delay_alu instid0(SALU_CYCLE_1)
	s_xor_b32 s0, exec_lo, s9
; %bb.4546:                             ;   in Loop: Header=BB466_2335 Depth=1
	v_bfe_u32 v5, v4, 16, 1
	s_delay_alu instid0(VALU_DEP_1)
	v_add3_u32 v17, v4, v5, 0x7fff
                                        ; implicit-def: $vgpr4
; %bb.4547:                             ;   in Loop: Header=BB466_2335 Depth=1
	s_and_not1_saveexec_b32 s9, s0
; %bb.4548:                             ;   in Loop: Header=BB466_2335 Depth=1
	v_and_b32_e32 v5, 0xffff, v4
	v_or_b32_e32 v10, 0x10000, v4
	s_delay_alu instid0(VALU_DEP_2) | instskip(NEXT) | instid1(VALU_DEP_1)
	v_cmp_eq_u32_e64 s0, 0, v5
	v_cndmask_b32_e64 v17, v10, v4, s0
; %bb.4549:                             ;   in Loop: Header=BB466_2335 Depth=1
	s_or_b32 exec_lo, exec_lo, s9
	v_lshlrev_b32_e32 v4, 16, v11
                                        ; implicit-def: $vgpr83
	s_delay_alu instid0(VALU_DEP_1) | instskip(NEXT) | instid1(VALU_DEP_1)
	v_mul_f32_e32 v4, v135, v4
	v_and_b32_e32 v5, 0x7f800000, v4
	s_delay_alu instid0(VALU_DEP_1) | instskip(NEXT) | instid1(VALU_DEP_1)
	v_cmp_ne_u32_e64 s0, 0x7f800000, v5
	s_and_saveexec_b32 s9, s0
	s_delay_alu instid0(SALU_CYCLE_1)
	s_xor_b32 s0, exec_lo, s9
; %bb.4550:                             ;   in Loop: Header=BB466_2335 Depth=1
	v_bfe_u32 v5, v4, 16, 1
	s_delay_alu instid0(VALU_DEP_1)
	v_add3_u32 v83, v4, v5, 0x7fff
                                        ; implicit-def: $vgpr4
; %bb.4551:                             ;   in Loop: Header=BB466_2335 Depth=1
	s_and_not1_saveexec_b32 s9, s0
; %bb.4552:                             ;   in Loop: Header=BB466_2335 Depth=1
	v_and_b32_e32 v5, 0xffff, v4
	v_or_b32_e32 v10, 0x10000, v4
	s_delay_alu instid0(VALU_DEP_2) | instskip(NEXT) | instid1(VALU_DEP_1)
	v_cmp_eq_u32_e64 s0, 0, v5
	v_cndmask_b32_e64 v83, v10, v4, s0
; %bb.4553:                             ;   in Loop: Header=BB466_2335 Depth=1
	s_or_b32 exec_lo, exec_lo, s9
	v_lshlrev_b32_e32 v4, 16, v18
                                        ; implicit-def: $vgpr84
	s_delay_alu instid0(VALU_DEP_1) | instskip(NEXT) | instid1(VALU_DEP_1)
	v_mul_f32_e32 v4, v144, v4
	v_and_b32_e32 v5, 0x7f800000, v4
	s_delay_alu instid0(VALU_DEP_1) | instskip(NEXT) | instid1(VALU_DEP_1)
	v_cmp_ne_u32_e64 s0, 0x7f800000, v5
	s_and_saveexec_b32 s9, s0
	s_delay_alu instid0(SALU_CYCLE_1)
	s_xor_b32 s0, exec_lo, s9
; %bb.4554:                             ;   in Loop: Header=BB466_2335 Depth=1
	v_bfe_u32 v5, v4, 16, 1
	s_delay_alu instid0(VALU_DEP_1)
	v_add3_u32 v84, v4, v5, 0x7fff
                                        ; implicit-def: $vgpr4
; %bb.4555:                             ;   in Loop: Header=BB466_2335 Depth=1
	s_and_not1_saveexec_b32 s9, s0
; %bb.4556:                             ;   in Loop: Header=BB466_2335 Depth=1
	v_and_b32_e32 v5, 0xffff, v4
	v_or_b32_e32 v10, 0x10000, v4
	s_delay_alu instid0(VALU_DEP_2) | instskip(NEXT) | instid1(VALU_DEP_1)
	v_cmp_eq_u32_e64 s0, 0, v5
	v_cndmask_b32_e64 v84, v10, v4, s0
; %bb.4557:                             ;   in Loop: Header=BB466_2335 Depth=1
	s_or_b32 exec_lo, exec_lo, s9
	v_lshlrev_b32_e32 v4, 16, v12
                                        ; implicit-def: $vgpr27
	s_delay_alu instid0(VALU_DEP_1) | instskip(NEXT) | instid1(VALU_DEP_1)
	v_mul_f32_e32 v4, v145, v4
	v_and_b32_e32 v5, 0x7f800000, v4
	s_delay_alu instid0(VALU_DEP_1) | instskip(NEXT) | instid1(VALU_DEP_1)
	v_cmp_ne_u32_e64 s0, 0x7f800000, v5
	s_and_saveexec_b32 s9, s0
	s_delay_alu instid0(SALU_CYCLE_1)
	s_xor_b32 s0, exec_lo, s9
; %bb.4558:                             ;   in Loop: Header=BB466_2335 Depth=1
	v_bfe_u32 v5, v4, 16, 1
	s_delay_alu instid0(VALU_DEP_1)
	v_add3_u32 v27, v4, v5, 0x7fff
                                        ; implicit-def: $vgpr4
; %bb.4559:                             ;   in Loop: Header=BB466_2335 Depth=1
	s_and_not1_saveexec_b32 s9, s0
; %bb.4560:                             ;   in Loop: Header=BB466_2335 Depth=1
	v_and_b32_e32 v5, 0xffff, v4
	v_or_b32_e32 v10, 0x10000, v4
	s_delay_alu instid0(VALU_DEP_2) | instskip(NEXT) | instid1(VALU_DEP_1)
	v_cmp_eq_u32_e64 s0, 0, v5
	v_cndmask_b32_e64 v27, v10, v4, s0
; %bb.4561:                             ;   in Loop: Header=BB466_2335 Depth=1
	s_or_b32 exec_lo, exec_lo, s9
	v_lshlrev_b32_e32 v4, 16, v7
                                        ; implicit-def: $vgpr18
	s_delay_alu instid0(VALU_DEP_1) | instskip(NEXT) | instid1(VALU_DEP_1)
	v_mul_f32_e32 v4, v146, v4
	v_and_b32_e32 v5, 0x7f800000, v4
	s_delay_alu instid0(VALU_DEP_1) | instskip(NEXT) | instid1(VALU_DEP_1)
	v_cmp_ne_u32_e64 s0, 0x7f800000, v5
	s_and_saveexec_b32 s9, s0
	s_delay_alu instid0(SALU_CYCLE_1)
	s_xor_b32 s0, exec_lo, s9
; %bb.4562:                             ;   in Loop: Header=BB466_2335 Depth=1
	v_bfe_u32 v5, v4, 16, 1
	s_delay_alu instid0(VALU_DEP_1)
	v_add3_u32 v18, v4, v5, 0x7fff
                                        ; implicit-def: $vgpr4
; %bb.4563:                             ;   in Loop: Header=BB466_2335 Depth=1
	s_and_not1_saveexec_b32 s9, s0
; %bb.4564:                             ;   in Loop: Header=BB466_2335 Depth=1
	v_and_b32_e32 v5, 0xffff, v4
	v_or_b32_e32 v7, 0x10000, v4
	s_delay_alu instid0(VALU_DEP_2) | instskip(NEXT) | instid1(VALU_DEP_1)
	v_cmp_eq_u32_e64 s0, 0, v5
	v_cndmask_b32_e64 v18, v7, v4, s0
; %bb.4565:                             ;   in Loop: Header=BB466_2335 Depth=1
	s_or_b32 exec_lo, exec_lo, s9
	v_lshlrev_b32_e32 v4, 16, v6
                                        ; implicit-def: $vgpr19
	s_delay_alu instid0(VALU_DEP_1) | instskip(NEXT) | instid1(VALU_DEP_1)
	v_mul_f32_e32 v4, v147, v4
	v_and_b32_e32 v5, 0x7f800000, v4
	s_delay_alu instid0(VALU_DEP_1) | instskip(NEXT) | instid1(VALU_DEP_1)
	v_cmp_ne_u32_e64 s0, 0x7f800000, v5
	s_and_saveexec_b32 s9, s0
	s_delay_alu instid0(SALU_CYCLE_1)
	s_xor_b32 s0, exec_lo, s9
; %bb.4566:                             ;   in Loop: Header=BB466_2335 Depth=1
	v_bfe_u32 v5, v4, 16, 1
	s_delay_alu instid0(VALU_DEP_1)
	v_add3_u32 v19, v4, v5, 0x7fff
                                        ; implicit-def: $vgpr4
; %bb.4567:                             ;   in Loop: Header=BB466_2335 Depth=1
	s_and_not1_saveexec_b32 s9, s0
; %bb.4568:                             ;   in Loop: Header=BB466_2335 Depth=1
	v_and_b32_e32 v5, 0xffff, v4
	v_or_b32_e32 v6, 0x10000, v4
	s_delay_alu instid0(VALU_DEP_2) | instskip(NEXT) | instid1(VALU_DEP_1)
	v_cmp_eq_u32_e64 s0, 0, v5
	v_cndmask_b32_e64 v19, v6, v4, s0
; %bb.4569:                             ;   in Loop: Header=BB466_2335 Depth=1
	s_or_b32 exec_lo, exec_lo, s9
	v_lshlrev_b32_e32 v3, 16, v3
                                        ; implicit-def: $vgpr10
	s_delay_alu instid0(VALU_DEP_1) | instskip(NEXT) | instid1(VALU_DEP_1)
	v_mul_f32_e32 v3, v148, v3
	v_and_b32_e32 v4, 0x7f800000, v3
	s_delay_alu instid0(VALU_DEP_1) | instskip(NEXT) | instid1(VALU_DEP_1)
	v_cmp_ne_u32_e64 s0, 0x7f800000, v4
	s_and_saveexec_b32 s9, s0
	s_delay_alu instid0(SALU_CYCLE_1)
	s_xor_b32 s0, exec_lo, s9
; %bb.4570:                             ;   in Loop: Header=BB466_2335 Depth=1
	v_bfe_u32 v4, v3, 16, 1
	s_delay_alu instid0(VALU_DEP_1)
	v_add3_u32 v10, v3, v4, 0x7fff
                                        ; implicit-def: $vgpr3
; %bb.4571:                             ;   in Loop: Header=BB466_2335 Depth=1
	s_and_not1_saveexec_b32 s9, s0
; %bb.4572:                             ;   in Loop: Header=BB466_2335 Depth=1
	v_and_b32_e32 v4, 0xffff, v3
	v_or_b32_e32 v5, 0x10000, v3
	s_delay_alu instid0(VALU_DEP_2) | instskip(NEXT) | instid1(VALU_DEP_1)
	v_cmp_eq_u32_e64 s0, 0, v4
	v_cndmask_b32_e64 v10, v5, v3, s0
; %bb.4573:                             ;   in Loop: Header=BB466_2335 Depth=1
	s_or_b32 exec_lo, exec_lo, s9
	v_lshlrev_b32_e32 v2, 16, v2
                                        ; implicit-def: $vgpr11
	s_delay_alu instid0(VALU_DEP_1) | instskip(NEXT) | instid1(VALU_DEP_1)
	v_mul_f32_e32 v2, v149, v2
	v_and_b32_e32 v3, 0x7f800000, v2
	s_delay_alu instid0(VALU_DEP_1) | instskip(NEXT) | instid1(VALU_DEP_1)
	v_cmp_ne_u32_e64 s0, 0x7f800000, v3
	s_and_saveexec_b32 s9, s0
	s_delay_alu instid0(SALU_CYCLE_1)
	s_xor_b32 s0, exec_lo, s9
; %bb.4574:                             ;   in Loop: Header=BB466_2335 Depth=1
	v_bfe_u32 v3, v2, 16, 1
	s_delay_alu instid0(VALU_DEP_1)
	v_add3_u32 v11, v2, v3, 0x7fff
                                        ; implicit-def: $vgpr2
; %bb.4575:                             ;   in Loop: Header=BB466_2335 Depth=1
	s_and_not1_saveexec_b32 s9, s0
; %bb.4576:                             ;   in Loop: Header=BB466_2335 Depth=1
	v_and_b32_e32 v3, 0xffff, v2
	v_or_b32_e32 v4, 0x10000, v2
	s_delay_alu instid0(VALU_DEP_2) | instskip(NEXT) | instid1(VALU_DEP_1)
	v_cmp_eq_u32_e64 s0, 0, v3
	v_cndmask_b32_e64 v11, v4, v2, s0
; %bb.4577:                             ;   in Loop: Header=BB466_2335 Depth=1
	s_or_b32 exec_lo, exec_lo, s9
	scratch_load_b32 v2, off, s32 offset:560 ; 4-byte Folded Reload
	s_mov_b32 s9, exec_lo
	v_mov_b32_e32 v4, 0
	s_waitcnt vmcnt(0)
	v_add_co_u32 v2, s0, v0, v2
	s_delay_alu instid0(VALU_DEP_1) | instskip(SKIP_3) | instid1(VALU_DEP_1)
	v_add_co_ci_u32_e64 v3, s0, 0, v1, s0
	flat_load_b64 v[2:3], v[2:3]
	s_waitcnt vmcnt(0) lgkmcnt(0)
	v_and_b32_e32 v5, 0xff, v2
	v_cmpx_ne_u16_e32 0, v5
	s_cbranch_execz .LBB466_4585
; %bb.4578:                             ;   in Loop: Header=BB466_2335 Depth=1
	v_bfrev_b32_e32 v4, 1
	s_mov_b32 s12, exec_lo
	v_cmpx_ne_u16_e32 0x80, v5
	s_cbranch_execz .LBB466_4584
; %bb.4579:                             ;   in Loop: Header=BB466_2335 Depth=1
	v_and_b32_e32 v5, 0x7f, v2
	v_mov_b32_e32 v4, 0x7f800001
	s_mov_b32 s13, exec_lo
	s_delay_alu instid0(VALU_DEP_2)
	v_cmpx_ne_u32_e32 0x7f, v5
	s_cbranch_execz .LBB466_4583
; %bb.4580:                             ;   in Loop: Header=BB466_2335 Depth=1
	v_lshrrev_b32_e32 v4, 3, v5
	v_dual_mov_b32 v7, v3 :: v_dual_mov_b32 v6, v2
	s_mov_b32 s15, exec_lo
	v_cmpx_gt_u32_e32 8, v5
; %bb.4581:                             ;   in Loop: Header=BB466_2335 Depth=1
	v_and_b32_e32 v4, 7, v2
	s_delay_alu instid0(VALU_DEP_1) | instskip(NEXT) | instid1(VALU_DEP_1)
	v_clz_i32_u32_e32 v4, v4
	v_min_u32_e32 v4, 32, v4
	s_delay_alu instid0(VALU_DEP_1) | instskip(SKIP_1) | instid1(VALU_DEP_2)
	v_subrev_nc_u32_e32 v5, 28, v4
	v_sub_nc_u32_e32 v4, 29, v4
	v_lshlrev_b64 v[6:7], v5, v[2:3]
; %bb.4582:                             ;   in Loop: Header=BB466_2335 Depth=1
	s_or_b32 exec_lo, exec_lo, s15
	s_delay_alu instid0(VALU_DEP_1) | instskip(SKIP_2) | instid1(VALU_DEP_3)
	v_lshlrev_b32_e32 v5, 20, v6
	v_lshlrev_b32_e32 v6, 24, v2
	v_lshl_add_u32 v4, v4, 23, 0x3c000000
	v_and_b32_e32 v5, 0x700000, v5
	s_delay_alu instid0(VALU_DEP_3) | instskip(NEXT) | instid1(VALU_DEP_1)
	v_and_b32_e32 v6, 0x80000000, v6
	v_or3_b32 v4, v5, v6, v4
.LBB466_4583:                           ;   in Loop: Header=BB466_2335 Depth=1
	s_or_b32 exec_lo, exec_lo, s13
.LBB466_4584:                           ;   in Loop: Header=BB466_2335 Depth=1
	s_delay_alu instid0(SALU_CYCLE_1)
	s_or_b32 exec_lo, exec_lo, s12
.LBB466_4585:                           ;   in Loop: Header=BB466_2335 Depth=1
	s_delay_alu instid0(SALU_CYCLE_1) | instskip(NEXT) | instid1(VALU_DEP_1)
	s_or_b32 exec_lo, exec_lo, s9
	v_mul_f32_e32 v4, v26, v4
                                        ; implicit-def: $vgpr22
	s_delay_alu instid0(VALU_DEP_1) | instskip(NEXT) | instid1(VALU_DEP_1)
	v_and_b32_e32 v5, 0x7f800000, v4
	v_cmp_ne_u32_e64 s0, 0x7f800000, v5
	s_delay_alu instid0(VALU_DEP_1) | instskip(NEXT) | instid1(SALU_CYCLE_1)
	s_and_saveexec_b32 s9, s0
	s_xor_b32 s0, exec_lo, s9
; %bb.4586:                             ;   in Loop: Header=BB466_2335 Depth=1
	v_bfe_u32 v5, v4, 16, 1
	s_delay_alu instid0(VALU_DEP_1)
	v_add3_u32 v22, v4, v5, 0x7fff
                                        ; implicit-def: $vgpr4
; %bb.4587:                             ;   in Loop: Header=BB466_2335 Depth=1
	s_and_not1_saveexec_b32 s9, s0
; %bb.4588:                             ;   in Loop: Header=BB466_2335 Depth=1
	v_and_b32_e32 v5, 0xffff, v4
	v_or_b32_e32 v6, 0x10000, v4
	s_delay_alu instid0(VALU_DEP_2) | instskip(NEXT) | instid1(VALU_DEP_1)
	v_cmp_eq_u32_e64 s0, 0, v5
	v_cndmask_b32_e64 v22, v6, v4, s0
; %bb.4589:                             ;   in Loop: Header=BB466_2335 Depth=1
	s_or_b32 exec_lo, exec_lo, s9
	v_lshrrev_b16 v5, 8, v2
	v_mov_b32_e32 v4, 0
	s_mov_b32 s9, exec_lo
	s_delay_alu instid0(VALU_DEP_2)
	v_cmpx_ne_u16_e32 0, v5
	s_cbranch_execz .LBB466_4597
; %bb.4590:                             ;   in Loop: Header=BB466_2335 Depth=1
	v_bfrev_b32_e32 v4, 1
	s_mov_b32 s12, exec_lo
	v_cmpx_ne_u16_e32 0x80, v5
	s_cbranch_execz .LBB466_4596
; %bb.4591:                             ;   in Loop: Header=BB466_2335 Depth=1
	v_and_b32_e32 v5, 0xffff, v5
	v_mov_b32_e32 v4, 0x7f800001
	s_mov_b32 s13, exec_lo
	s_delay_alu instid0(VALU_DEP_2) | instskip(NEXT) | instid1(VALU_DEP_1)
	v_and_b32_e32 v37, 0x7f, v5
	v_cmpx_ne_u32_e32 0x7f, v37
	s_cbranch_execz .LBB466_4595
; %bb.4592:                             ;   in Loop: Header=BB466_2335 Depth=1
	v_and_b32_e32 v12, 7, v5
	v_lshrrev_b32_e32 v4, 3, v37
	s_mov_b32 s15, exec_lo
	s_delay_alu instid0(VALU_DEP_2)
	v_dual_mov_b32 v6, v12 :: v_dual_mov_b32 v7, v13
	v_cmpx_gt_u32_e32 8, v37
; %bb.4593:                             ;   in Loop: Header=BB466_2335 Depth=1
	v_clz_i32_u32_e32 v4, v12
	s_delay_alu instid0(VALU_DEP_1) | instskip(NEXT) | instid1(VALU_DEP_1)
	v_min_u32_e32 v4, 32, v4
	v_subrev_nc_u32_e32 v5, 28, v4
	v_sub_nc_u32_e32 v4, 29, v4
	s_delay_alu instid0(VALU_DEP_2) | instskip(NEXT) | instid1(VALU_DEP_1)
	v_lshlrev_b64 v[5:6], v5, v[12:13]
	v_and_b32_e32 v6, 7, v5
; %bb.4594:                             ;   in Loop: Header=BB466_2335 Depth=1
	s_or_b32 exec_lo, exec_lo, s15
	v_lshlrev_b32_e32 v5, 16, v2
	s_delay_alu instid0(VALU_DEP_2) | instskip(SKIP_1) | instid1(VALU_DEP_3)
	v_lshlrev_b32_e32 v6, 20, v6
	v_lshl_add_u32 v4, v4, 23, 0x3c000000
	v_and_b32_e32 v5, 0x80000000, v5
	s_delay_alu instid0(VALU_DEP_1)
	v_or3_b32 v4, v6, v5, v4
.LBB466_4595:                           ;   in Loop: Header=BB466_2335 Depth=1
	s_or_b32 exec_lo, exec_lo, s13
.LBB466_4596:                           ;   in Loop: Header=BB466_2335 Depth=1
	s_delay_alu instid0(SALU_CYCLE_1)
	s_or_b32 exec_lo, exec_lo, s12
.LBB466_4597:                           ;   in Loop: Header=BB466_2335 Depth=1
	s_delay_alu instid0(SALU_CYCLE_1) | instskip(NEXT) | instid1(VALU_DEP_1)
	s_or_b32 exec_lo, exec_lo, s9
	v_mul_f32_e32 v4, v26, v4
                                        ; implicit-def: $vgpr37
	s_delay_alu instid0(VALU_DEP_1) | instskip(NEXT) | instid1(VALU_DEP_1)
	v_and_b32_e32 v5, 0x7f800000, v4
	v_cmp_ne_u32_e64 s0, 0x7f800000, v5
	s_delay_alu instid0(VALU_DEP_1) | instskip(NEXT) | instid1(SALU_CYCLE_1)
	s_and_saveexec_b32 s9, s0
	s_xor_b32 s0, exec_lo, s9
; %bb.4598:                             ;   in Loop: Header=BB466_2335 Depth=1
	v_bfe_u32 v5, v4, 16, 1
	s_delay_alu instid0(VALU_DEP_1)
	v_add3_u32 v37, v4, v5, 0x7fff
                                        ; implicit-def: $vgpr4
; %bb.4599:                             ;   in Loop: Header=BB466_2335 Depth=1
	s_and_not1_saveexec_b32 s9, s0
; %bb.4600:                             ;   in Loop: Header=BB466_2335 Depth=1
	v_and_b32_e32 v5, 0xffff, v4
	v_or_b32_e32 v6, 0x10000, v4
	s_delay_alu instid0(VALU_DEP_2) | instskip(NEXT) | instid1(VALU_DEP_1)
	v_cmp_eq_u32_e64 s0, 0, v5
	v_cndmask_b32_e64 v37, v6, v4, s0
; %bb.4601:                             ;   in Loop: Header=BB466_2335 Depth=1
	s_or_b32 exec_lo, exec_lo, s9
	v_lshrrev_b32_e32 v87, 16, v2
	s_mov_b32 s9, exec_lo
	s_delay_alu instid0(VALU_DEP_1) | instskip(NEXT) | instid1(VALU_DEP_1)
	v_dual_mov_b32 v4, 0 :: v_dual_and_b32 v5, 0xff, v87
	v_cmpx_ne_u16_e32 0, v5
	s_cbranch_execz .LBB466_4609
; %bb.4602:                             ;   in Loop: Header=BB466_2335 Depth=1
	v_bfrev_b32_e32 v4, 1
	s_mov_b32 s12, exec_lo
	v_cmpx_ne_u16_e32 0x80, v5
	s_cbranch_execz .LBB466_4608
; %bb.4603:                             ;   in Loop: Header=BB466_2335 Depth=1
	v_bfe_u32 v96, v2, 16, 7
	v_mov_b32_e32 v4, 0x7f800001
	s_mov_b32 s13, exec_lo
	s_delay_alu instid0(VALU_DEP_2)
	v_cmpx_ne_u32_e32 0x7f, v96
	s_cbranch_execz .LBB466_4607
; %bb.4604:                             ;   in Loop: Header=BB466_2335 Depth=1
	v_and_b32_e32 v12, 7, v87
	v_lshrrev_b32_e32 v4, 3, v96
	s_mov_b32 s15, exec_lo
	s_delay_alu instid0(VALU_DEP_2)
	v_dual_mov_b32 v6, v12 :: v_dual_mov_b32 v7, v13
	v_cmpx_gt_u32_e32 8, v96
; %bb.4605:                             ;   in Loop: Header=BB466_2335 Depth=1
	v_clz_i32_u32_e32 v4, v12
	s_delay_alu instid0(VALU_DEP_1) | instskip(NEXT) | instid1(VALU_DEP_1)
	v_min_u32_e32 v4, 32, v4
	v_subrev_nc_u32_e32 v5, 28, v4
	v_sub_nc_u32_e32 v4, 29, v4
	s_delay_alu instid0(VALU_DEP_2) | instskip(NEXT) | instid1(VALU_DEP_1)
	v_lshlrev_b64 v[5:6], v5, v[12:13]
	v_and_b32_e32 v6, 7, v5
; %bb.4606:                             ;   in Loop: Header=BB466_2335 Depth=1
	s_or_b32 exec_lo, exec_lo, s15
	v_lshlrev_b32_e32 v5, 24, v87
	s_delay_alu instid0(VALU_DEP_2) | instskip(SKIP_1) | instid1(VALU_DEP_3)
	v_lshlrev_b32_e32 v6, 20, v6
	v_lshl_add_u32 v4, v4, 23, 0x3c000000
	v_and_b32_e32 v5, 0x80000000, v5
	s_delay_alu instid0(VALU_DEP_1)
	v_or3_b32 v4, v6, v5, v4
.LBB466_4607:                           ;   in Loop: Header=BB466_2335 Depth=1
	s_or_b32 exec_lo, exec_lo, s13
.LBB466_4608:                           ;   in Loop: Header=BB466_2335 Depth=1
	s_delay_alu instid0(SALU_CYCLE_1)
	s_or_b32 exec_lo, exec_lo, s12
.LBB466_4609:                           ;   in Loop: Header=BB466_2335 Depth=1
	s_delay_alu instid0(SALU_CYCLE_1) | instskip(NEXT) | instid1(VALU_DEP_1)
	s_or_b32 exec_lo, exec_lo, s9
	v_mul_f32_e32 v4, v26, v4
                                        ; implicit-def: $vgpr87
	s_delay_alu instid0(VALU_DEP_1) | instskip(NEXT) | instid1(VALU_DEP_1)
	v_and_b32_e32 v5, 0x7f800000, v4
	v_cmp_ne_u32_e64 s0, 0x7f800000, v5
	s_delay_alu instid0(VALU_DEP_1) | instskip(NEXT) | instid1(SALU_CYCLE_1)
	s_and_saveexec_b32 s9, s0
	s_xor_b32 s0, exec_lo, s9
; %bb.4610:                             ;   in Loop: Header=BB466_2335 Depth=1
	v_bfe_u32 v5, v4, 16, 1
	s_delay_alu instid0(VALU_DEP_1)
	v_add3_u32 v87, v4, v5, 0x7fff
                                        ; implicit-def: $vgpr4
; %bb.4611:                             ;   in Loop: Header=BB466_2335 Depth=1
	s_and_not1_saveexec_b32 s9, s0
; %bb.4612:                             ;   in Loop: Header=BB466_2335 Depth=1
	v_and_b32_e32 v5, 0xffff, v4
	v_or_b32_e32 v6, 0x10000, v4
	s_delay_alu instid0(VALU_DEP_2) | instskip(NEXT) | instid1(VALU_DEP_1)
	v_cmp_eq_u32_e64 s0, 0, v5
	v_cndmask_b32_e64 v87, v6, v4, s0
; %bb.4613:                             ;   in Loop: Header=BB466_2335 Depth=1
	s_or_b32 exec_lo, exec_lo, s9
	v_mov_b32_e32 v6, 0
	s_mov_b32 s9, exec_lo
	v_cmpx_lt_u32_e32 0xffffff, v2
	s_cbranch_execz .LBB466_4621
; %bb.4614:                             ;   in Loop: Header=BB466_2335 Depth=1
	v_lshrrev_b32_e32 v4, 24, v2
	v_bfrev_b32_e32 v6, 1
	s_mov_b32 s12, exec_lo
	s_delay_alu instid0(VALU_DEP_2)
	v_cmpx_ne_u32_e32 0x80, v4
	s_cbranch_execz .LBB466_4620
; %bb.4615:                             ;   in Loop: Header=BB466_2335 Depth=1
	v_bfe_u32 v96, v2, 24, 7
	v_mov_b32_e32 v6, 0x7f800001
	s_mov_b32 s13, exec_lo
	s_delay_alu instid0(VALU_DEP_2)
	v_cmpx_ne_u32_e32 0x7f, v96
	s_cbranch_execz .LBB466_4619
; %bb.4616:                             ;   in Loop: Header=BB466_2335 Depth=1
	v_and_b32_e32 v12, 7, v4
	s_mov_b32 s15, exec_lo
	s_delay_alu instid0(VALU_DEP_1)
	v_dual_mov_b32 v6, v12 :: v_dual_mov_b32 v7, v13
	v_lshrrev_b32_e32 v7, 3, v96
	v_cmpx_gt_u32_e32 8, v96
; %bb.4617:                             ;   in Loop: Header=BB466_2335 Depth=1
	v_clz_i32_u32_e32 v5, v12
	s_delay_alu instid0(VALU_DEP_1) | instskip(NEXT) | instid1(VALU_DEP_1)
	v_min_u32_e32 v7, 32, v5
	v_subrev_nc_u32_e32 v5, 28, v7
	v_sub_nc_u32_e32 v7, 29, v7
	s_delay_alu instid0(VALU_DEP_2) | instskip(NEXT) | instid1(VALU_DEP_1)
	v_lshlrev_b64 v[5:6], v5, v[12:13]
	v_and_b32_e32 v6, 7, v5
; %bb.4618:                             ;   in Loop: Header=BB466_2335 Depth=1
	s_or_b32 exec_lo, exec_lo, s15
	v_lshlrev_b32_e32 v4, 24, v4
	s_delay_alu instid0(VALU_DEP_2) | instskip(SKIP_1) | instid1(VALU_DEP_3)
	v_lshlrev_b32_e32 v5, 20, v6
	v_lshl_add_u32 v6, v7, 23, 0x3c000000
	v_and_b32_e32 v4, 0x80000000, v4
	s_delay_alu instid0(VALU_DEP_1)
	v_or3_b32 v6, v5, v4, v6
.LBB466_4619:                           ;   in Loop: Header=BB466_2335 Depth=1
	s_or_b32 exec_lo, exec_lo, s13
.LBB466_4620:                           ;   in Loop: Header=BB466_2335 Depth=1
	s_delay_alu instid0(SALU_CYCLE_1)
	s_or_b32 exec_lo, exec_lo, s12
.LBB466_4621:                           ;   in Loop: Header=BB466_2335 Depth=1
	s_delay_alu instid0(SALU_CYCLE_1) | instskip(NEXT) | instid1(VALU_DEP_1)
	s_or_b32 exec_lo, exec_lo, s9
	v_mul_f32_e32 v4, v26, v6
                                        ; implicit-def: $vgpr96
	s_delay_alu instid0(VALU_DEP_1) | instskip(NEXT) | instid1(VALU_DEP_1)
	v_and_b32_e32 v5, 0x7f800000, v4
	v_cmp_ne_u32_e64 s0, 0x7f800000, v5
	s_delay_alu instid0(VALU_DEP_1) | instskip(NEXT) | instid1(SALU_CYCLE_1)
	s_and_saveexec_b32 s9, s0
	s_xor_b32 s0, exec_lo, s9
; %bb.4622:                             ;   in Loop: Header=BB466_2335 Depth=1
	v_bfe_u32 v5, v4, 16, 1
	s_delay_alu instid0(VALU_DEP_1)
	v_add3_u32 v96, v4, v5, 0x7fff
                                        ; implicit-def: $vgpr4
; %bb.4623:                             ;   in Loop: Header=BB466_2335 Depth=1
	s_and_not1_saveexec_b32 s9, s0
; %bb.4624:                             ;   in Loop: Header=BB466_2335 Depth=1
	v_and_b32_e32 v5, 0xffff, v4
	v_or_b32_e32 v6, 0x10000, v4
	s_delay_alu instid0(VALU_DEP_2) | instskip(NEXT) | instid1(VALU_DEP_1)
	v_cmp_eq_u32_e64 s0, 0, v5
	v_cndmask_b32_e64 v96, v6, v4, s0
; %bb.4625:                             ;   in Loop: Header=BB466_2335 Depth=1
	s_or_b32 exec_lo, exec_lo, s9
	v_dual_mov_b32 v12, v3 :: v_dual_and_b32 v5, 0xff, v3
	v_mov_b32_e32 v4, 0
	s_mov_b32 s9, exec_lo
	s_delay_alu instid0(VALU_DEP_2)
	v_cmpx_ne_u16_e32 0, v5
	s_cbranch_execz .LBB466_4633
; %bb.4626:                             ;   in Loop: Header=BB466_2335 Depth=1
	v_bfrev_b32_e32 v4, 1
	s_mov_b32 s12, exec_lo
	v_cmpx_ne_u16_e32 0x80, v5
	s_cbranch_execz .LBB466_4632
; %bb.4627:                             ;   in Loop: Header=BB466_2335 Depth=1
	v_and_b32_e32 v5, 0x7f, v3
	v_mov_b32_e32 v4, 0x7f800001
	s_mov_b32 s13, exec_lo
	s_delay_alu instid0(VALU_DEP_2)
	v_cmpx_ne_u32_e32 0x7f, v5
	s_cbranch_execz .LBB466_4631
; %bb.4628:                             ;   in Loop: Header=BB466_2335 Depth=1
	v_dual_mov_b32 v6, v12 :: v_dual_mov_b32 v7, v13
	v_lshrrev_b32_e32 v4, 3, v5
	s_mov_b32 s15, exec_lo
	v_cmpx_gt_u32_e32 8, v5
; %bb.4629:                             ;   in Loop: Header=BB466_2335 Depth=1
	v_and_b32_e32 v4, 7, v3
	s_delay_alu instid0(VALU_DEP_1) | instskip(NEXT) | instid1(VALU_DEP_1)
	v_clz_i32_u32_e32 v4, v4
	v_min_u32_e32 v4, 32, v4
	s_delay_alu instid0(VALU_DEP_1) | instskip(SKIP_1) | instid1(VALU_DEP_2)
	v_subrev_nc_u32_e32 v5, 28, v4
	v_sub_nc_u32_e32 v4, 29, v4
	v_lshlrev_b64 v[6:7], v5, v[12:13]
; %bb.4630:                             ;   in Loop: Header=BB466_2335 Depth=1
	s_or_b32 exec_lo, exec_lo, s15
	s_delay_alu instid0(VALU_DEP_1) | instskip(SKIP_2) | instid1(VALU_DEP_3)
	v_lshlrev_b32_e32 v5, 20, v6
	v_lshlrev_b32_e32 v6, 24, v12
	v_lshl_add_u32 v4, v4, 23, 0x3c000000
	v_and_b32_e32 v5, 0x700000, v5
	s_delay_alu instid0(VALU_DEP_3) | instskip(NEXT) | instid1(VALU_DEP_1)
	v_and_b32_e32 v6, 0x80000000, v6
	v_or3_b32 v4, v5, v6, v4
.LBB466_4631:                           ;   in Loop: Header=BB466_2335 Depth=1
	s_or_b32 exec_lo, exec_lo, s13
.LBB466_4632:                           ;   in Loop: Header=BB466_2335 Depth=1
	s_delay_alu instid0(SALU_CYCLE_1)
	s_or_b32 exec_lo, exec_lo, s12
.LBB466_4633:                           ;   in Loop: Header=BB466_2335 Depth=1
	s_delay_alu instid0(SALU_CYCLE_1) | instskip(NEXT) | instid1(VALU_DEP_1)
	s_or_b32 exec_lo, exec_lo, s9
	v_mul_f32_e32 v4, v26, v4
                                        ; implicit-def: $vgpr97
	s_delay_alu instid0(VALU_DEP_1) | instskip(NEXT) | instid1(VALU_DEP_1)
	v_and_b32_e32 v5, 0x7f800000, v4
	v_cmp_ne_u32_e64 s0, 0x7f800000, v5
	s_delay_alu instid0(VALU_DEP_1) | instskip(NEXT) | instid1(SALU_CYCLE_1)
	s_and_saveexec_b32 s9, s0
	s_xor_b32 s0, exec_lo, s9
; %bb.4634:                             ;   in Loop: Header=BB466_2335 Depth=1
	v_bfe_u32 v5, v4, 16, 1
	s_delay_alu instid0(VALU_DEP_1)
	v_add3_u32 v97, v4, v5, 0x7fff
                                        ; implicit-def: $vgpr4
; %bb.4635:                             ;   in Loop: Header=BB466_2335 Depth=1
	s_and_not1_saveexec_b32 s9, s0
; %bb.4636:                             ;   in Loop: Header=BB466_2335 Depth=1
	v_and_b32_e32 v5, 0xffff, v4
	v_or_b32_e32 v6, 0x10000, v4
	s_delay_alu instid0(VALU_DEP_2) | instskip(NEXT) | instid1(VALU_DEP_1)
	v_cmp_eq_u32_e64 s0, 0, v5
	v_cndmask_b32_e64 v97, v6, v4, s0
; %bb.4637:                             ;   in Loop: Header=BB466_2335 Depth=1
	s_or_b32 exec_lo, exec_lo, s9
	v_lshrrev_b16 v5, 8, v12
	v_mov_b32_e32 v4, 0
	s_mov_b32 s9, exec_lo
	s_delay_alu instid0(VALU_DEP_2)
	v_cmpx_ne_u16_e32 0, v5
	s_cbranch_execz .LBB466_4645
; %bb.4638:                             ;   in Loop: Header=BB466_2335 Depth=1
	v_bfrev_b32_e32 v4, 1
	s_mov_b32 s12, exec_lo
	v_cmpx_ne_u16_e32 0x80, v5
	s_cbranch_execz .LBB466_4644
; %bb.4639:                             ;   in Loop: Header=BB466_2335 Depth=1
	v_and_b32_e32 v6, 0xffff, v5
	v_mov_b32_e32 v4, 0x7f800001
	s_mov_b32 s13, exec_lo
	s_delay_alu instid0(VALU_DEP_2) | instskip(NEXT) | instid1(VALU_DEP_1)
	v_and_b32_e32 v5, 0x7f, v6
	v_cmpx_ne_u32_e32 0x7f, v5
	s_cbranch_execz .LBB466_4643
; %bb.4640:                             ;   in Loop: Header=BB466_2335 Depth=1
	v_dual_mov_b32 v7, v13 :: v_dual_and_b32 v6, 7, v6
	v_lshrrev_b32_e32 v4, 3, v5
	s_mov_b32 s15, exec_lo
	v_cmpx_gt_u32_e32 8, v5
; %bb.4641:                             ;   in Loop: Header=BB466_2335 Depth=1
	s_delay_alu instid0(VALU_DEP_3) | instskip(NEXT) | instid1(VALU_DEP_1)
	v_clz_i32_u32_e32 v4, v6
	v_min_u32_e32 v4, 32, v4
	s_delay_alu instid0(VALU_DEP_1) | instskip(SKIP_1) | instid1(VALU_DEP_2)
	v_subrev_nc_u32_e32 v5, 28, v4
	v_sub_nc_u32_e32 v4, 29, v4
	v_lshlrev_b64 v[5:6], v5, v[6:7]
	s_delay_alu instid0(VALU_DEP_1)
	v_and_b32_e32 v6, 7, v5
; %bb.4642:                             ;   in Loop: Header=BB466_2335 Depth=1
	s_or_b32 exec_lo, exec_lo, s15
	v_lshlrev_b32_e32 v5, 16, v12
	s_delay_alu instid0(VALU_DEP_2) | instskip(SKIP_1) | instid1(VALU_DEP_3)
	v_lshlrev_b32_e32 v6, 20, v6
	v_lshl_add_u32 v4, v4, 23, 0x3c000000
	v_and_b32_e32 v5, 0x80000000, v5
	s_delay_alu instid0(VALU_DEP_1)
	v_or3_b32 v4, v6, v5, v4
.LBB466_4643:                           ;   in Loop: Header=BB466_2335 Depth=1
	s_or_b32 exec_lo, exec_lo, s13
.LBB466_4644:                           ;   in Loop: Header=BB466_2335 Depth=1
	s_delay_alu instid0(SALU_CYCLE_1)
	s_or_b32 exec_lo, exec_lo, s12
.LBB466_4645:                           ;   in Loop: Header=BB466_2335 Depth=1
	s_delay_alu instid0(SALU_CYCLE_1) | instskip(NEXT) | instid1(VALU_DEP_1)
	s_or_b32 exec_lo, exec_lo, s9
	v_mul_f32_e32 v4, v26, v4
                                        ; implicit-def: $vgpr98
	s_delay_alu instid0(VALU_DEP_1) | instskip(NEXT) | instid1(VALU_DEP_1)
	v_and_b32_e32 v5, 0x7f800000, v4
	v_cmp_ne_u32_e64 s0, 0x7f800000, v5
	s_delay_alu instid0(VALU_DEP_1) | instskip(NEXT) | instid1(SALU_CYCLE_1)
	s_and_saveexec_b32 s9, s0
	s_xor_b32 s0, exec_lo, s9
; %bb.4646:                             ;   in Loop: Header=BB466_2335 Depth=1
	v_bfe_u32 v5, v4, 16, 1
	s_delay_alu instid0(VALU_DEP_1)
	v_add3_u32 v98, v4, v5, 0x7fff
                                        ; implicit-def: $vgpr4
; %bb.4647:                             ;   in Loop: Header=BB466_2335 Depth=1
	s_and_not1_saveexec_b32 s9, s0
; %bb.4648:                             ;   in Loop: Header=BB466_2335 Depth=1
	v_and_b32_e32 v5, 0xffff, v4
	v_or_b32_e32 v6, 0x10000, v4
	s_delay_alu instid0(VALU_DEP_2) | instskip(NEXT) | instid1(VALU_DEP_1)
	v_cmp_eq_u32_e64 s0, 0, v5
	v_cndmask_b32_e64 v98, v6, v4, s0
; %bb.4649:                             ;   in Loop: Header=BB466_2335 Depth=1
	s_or_b32 exec_lo, exec_lo, s9
	v_lshrrev_b32_e32 v99, 16, v3
	s_mov_b32 s9, exec_lo
	s_delay_alu instid0(VALU_DEP_1) | instskip(NEXT) | instid1(VALU_DEP_1)
	v_dual_mov_b32 v4, 0 :: v_dual_and_b32 v5, 0xff, v99
	v_cmpx_ne_u16_e32 0, v5
	s_cbranch_execz .LBB466_4657
; %bb.4650:                             ;   in Loop: Header=BB466_2335 Depth=1
	v_bfrev_b32_e32 v4, 1
	s_mov_b32 s12, exec_lo
	v_cmpx_ne_u16_e32 0x80, v5
	s_cbranch_execz .LBB466_4656
; %bb.4651:                             ;   in Loop: Header=BB466_2335 Depth=1
	v_bfe_u32 v100, v3, 16, 7
	v_mov_b32_e32 v4, 0x7f800001
	s_mov_b32 s13, exec_lo
	s_delay_alu instid0(VALU_DEP_2)
	v_cmpx_ne_u32_e32 0x7f, v100
	s_cbranch_execz .LBB466_4655
; %bb.4652:                             ;   in Loop: Header=BB466_2335 Depth=1
	v_and_b32_e32 v12, 7, v99
	v_lshrrev_b32_e32 v4, 3, v100
	s_mov_b32 s15, exec_lo
	s_delay_alu instid0(VALU_DEP_2)
	v_dual_mov_b32 v6, v12 :: v_dual_mov_b32 v7, v13
	v_cmpx_gt_u32_e32 8, v100
; %bb.4653:                             ;   in Loop: Header=BB466_2335 Depth=1
	v_clz_i32_u32_e32 v4, v12
	s_delay_alu instid0(VALU_DEP_1) | instskip(NEXT) | instid1(VALU_DEP_1)
	v_min_u32_e32 v4, 32, v4
	v_subrev_nc_u32_e32 v5, 28, v4
	v_sub_nc_u32_e32 v4, 29, v4
	s_delay_alu instid0(VALU_DEP_2) | instskip(NEXT) | instid1(VALU_DEP_1)
	v_lshlrev_b64 v[5:6], v5, v[12:13]
	v_and_b32_e32 v6, 7, v5
; %bb.4654:                             ;   in Loop: Header=BB466_2335 Depth=1
	s_or_b32 exec_lo, exec_lo, s15
	v_lshlrev_b32_e32 v5, 24, v99
	s_delay_alu instid0(VALU_DEP_2) | instskip(SKIP_1) | instid1(VALU_DEP_3)
	v_lshlrev_b32_e32 v6, 20, v6
	v_lshl_add_u32 v4, v4, 23, 0x3c000000
	v_and_b32_e32 v5, 0x80000000, v5
	s_delay_alu instid0(VALU_DEP_1)
	v_or3_b32 v4, v6, v5, v4
.LBB466_4655:                           ;   in Loop: Header=BB466_2335 Depth=1
	s_or_b32 exec_lo, exec_lo, s13
.LBB466_4656:                           ;   in Loop: Header=BB466_2335 Depth=1
	s_delay_alu instid0(SALU_CYCLE_1)
	s_or_b32 exec_lo, exec_lo, s12
.LBB466_4657:                           ;   in Loop: Header=BB466_2335 Depth=1
	s_delay_alu instid0(SALU_CYCLE_1) | instskip(NEXT) | instid1(VALU_DEP_1)
	s_or_b32 exec_lo, exec_lo, s9
	v_mul_f32_e32 v4, v26, v4
                                        ; implicit-def: $vgpr99
	s_delay_alu instid0(VALU_DEP_1) | instskip(NEXT) | instid1(VALU_DEP_1)
	v_and_b32_e32 v5, 0x7f800000, v4
	v_cmp_ne_u32_e64 s0, 0x7f800000, v5
	s_delay_alu instid0(VALU_DEP_1) | instskip(NEXT) | instid1(SALU_CYCLE_1)
	s_and_saveexec_b32 s9, s0
	s_xor_b32 s0, exec_lo, s9
; %bb.4658:                             ;   in Loop: Header=BB466_2335 Depth=1
	v_bfe_u32 v5, v4, 16, 1
	s_delay_alu instid0(VALU_DEP_1)
	v_add3_u32 v99, v4, v5, 0x7fff
                                        ; implicit-def: $vgpr4
; %bb.4659:                             ;   in Loop: Header=BB466_2335 Depth=1
	s_and_not1_saveexec_b32 s9, s0
; %bb.4660:                             ;   in Loop: Header=BB466_2335 Depth=1
	v_and_b32_e32 v5, 0xffff, v4
	v_or_b32_e32 v6, 0x10000, v4
	s_delay_alu instid0(VALU_DEP_2) | instskip(NEXT) | instid1(VALU_DEP_1)
	v_cmp_eq_u32_e64 s0, 0, v5
	v_cndmask_b32_e64 v99, v6, v4, s0
; %bb.4661:                             ;   in Loop: Header=BB466_2335 Depth=1
	s_or_b32 exec_lo, exec_lo, s9
	v_cmp_lt_u64_e64 s0, s[2:3], v[2:3]
	v_mov_b32_e32 v2, 0
	s_delay_alu instid0(VALU_DEP_2)
	s_and_saveexec_b32 s9, s0
	s_cbranch_execz .LBB466_4669
; %bb.4662:                             ;   in Loop: Header=BB466_2335 Depth=1
	v_lshrrev_b32_e32 v4, 24, v3
	v_bfrev_b32_e32 v2, 1
	s_mov_b32 s12, exec_lo
	s_delay_alu instid0(VALU_DEP_2)
	v_cmpx_ne_u32_e32 0x80, v4
	s_cbranch_execz .LBB466_4668
; %bb.4663:                             ;   in Loop: Header=BB466_2335 Depth=1
	v_bfe_u32 v6, v3, 24, 7
	v_mov_b32_e32 v2, 0x7f800001
	s_mov_b32 s13, exec_lo
	s_delay_alu instid0(VALU_DEP_2)
	v_cmpx_ne_u32_e32 0x7f, v6
	s_cbranch_execz .LBB466_4667
; %bb.4664:                             ;   in Loop: Header=BB466_2335 Depth=1
	v_and_b32_e32 v12, 7, v4
	s_mov_b32 s15, exec_lo
	s_delay_alu instid0(VALU_DEP_1)
	v_dual_mov_b32 v2, v12 :: v_dual_mov_b32 v3, v13
	v_lshrrev_b32_e32 v3, 3, v6
	v_cmpx_gt_u32_e32 8, v6
; %bb.4665:                             ;   in Loop: Header=BB466_2335 Depth=1
	v_clz_i32_u32_e32 v2, v12
	s_delay_alu instid0(VALU_DEP_1) | instskip(NEXT) | instid1(VALU_DEP_1)
	v_min_u32_e32 v5, 32, v2
	v_subrev_nc_u32_e32 v2, 28, v5
	s_delay_alu instid0(VALU_DEP_1) | instskip(SKIP_1) | instid1(VALU_DEP_2)
	v_lshlrev_b64 v[2:3], v2, v[12:13]
	v_sub_nc_u32_e32 v3, 29, v5
	v_and_b32_e32 v2, 7, v2
; %bb.4666:                             ;   in Loop: Header=BB466_2335 Depth=1
	s_or_b32 exec_lo, exec_lo, s15
	v_lshlrev_b32_e32 v4, 24, v4
	s_delay_alu instid0(VALU_DEP_2) | instskip(SKIP_1) | instid1(VALU_DEP_3)
	v_lshlrev_b32_e32 v2, 20, v2
	v_lshl_add_u32 v3, v3, 23, 0x3c000000
	v_and_b32_e32 v4, 0x80000000, v4
	s_delay_alu instid0(VALU_DEP_1)
	v_or3_b32 v2, v2, v4, v3
.LBB466_4667:                           ;   in Loop: Header=BB466_2335 Depth=1
	s_or_b32 exec_lo, exec_lo, s13
.LBB466_4668:                           ;   in Loop: Header=BB466_2335 Depth=1
	s_delay_alu instid0(SALU_CYCLE_1)
	s_or_b32 exec_lo, exec_lo, s12
.LBB466_4669:                           ;   in Loop: Header=BB466_2335 Depth=1
	s_delay_alu instid0(SALU_CYCLE_1) | instskip(NEXT) | instid1(VALU_DEP_1)
	s_or_b32 exec_lo, exec_lo, s9
	v_mul_f32_e32 v3, v26, v2
	s_delay_alu instid0(VALU_DEP_1) | instskip(NEXT) | instid1(VALU_DEP_1)
	v_and_b32_e32 v2, 0x7f800000, v3
	v_cmp_ne_u32_e64 s0, 0x7f800000, v2
                                        ; implicit-def: $vgpr2
	s_delay_alu instid0(VALU_DEP_1) | instskip(NEXT) | instid1(SALU_CYCLE_1)
	s_and_saveexec_b32 s9, s0
	s_xor_b32 s0, exec_lo, s9
; %bb.4670:                             ;   in Loop: Header=BB466_2335 Depth=1
	v_bfe_u32 v2, v3, 16, 1
	s_delay_alu instid0(VALU_DEP_1)
	v_add3_u32 v2, v3, v2, 0x7fff
                                        ; implicit-def: $vgpr3
; %bb.4671:                             ;   in Loop: Header=BB466_2335 Depth=1
	s_and_not1_saveexec_b32 s9, s0
; %bb.4672:                             ;   in Loop: Header=BB466_2335 Depth=1
	v_and_b32_e32 v2, 0xffff, v3
	v_or_b32_e32 v4, 0x10000, v3
	s_delay_alu instid0(VALU_DEP_2) | instskip(NEXT) | instid1(VALU_DEP_1)
	v_cmp_eq_u32_e64 s0, 0, v2
	v_cndmask_b32_e64 v2, v4, v3, s0
; %bb.4673:                             ;   in Loop: Header=BB466_2335 Depth=1
	s_or_b32 exec_lo, exec_lo, s9
	v_lshrrev_b32_e32 v6, 16, v98
	v_lshrrev_b32_e32 v7, 16, v97
	;; [unrolled: 1-line block ×8, first 2 shown]
	s_and_saveexec_b32 s9, vcc_lo
	s_cbranch_execz .LBB466_4675
; %bb.4674:                             ;   in Loop: Header=BB466_2335 Depth=1
	v_cmp_lt_i32_e64 s0, v130, v36
	s_delay_alu instid0(VALU_DEP_1) | instskip(SKIP_1) | instid1(VALU_DEP_1)
	v_cndmask_b32_e64 v4, 0, v4, s0
	v_cmp_lt_i32_e64 s0, v133, v36
	v_cndmask_b32_e64 v96, 0, v96, s0
	v_cmp_lt_i32_e64 s0, v132, v36
	s_delay_alu instid0(VALU_DEP_1) | instskip(SKIP_1) | instid1(VALU_DEP_1)
	v_cndmask_b32_e64 v87, 0, v87, s0
	v_cmp_lt_i32_e64 s0, v131, v36
	v_cndmask_b32_e64 v12, 0, v12, s0
	v_cmp_lt_i32_e64 s0, v129, v36
	s_delay_alu instid0(VALU_DEP_1) | instskip(SKIP_1) | instid1(VALU_DEP_1)
	v_cndmask_b32_e64 v7, 0, v7, s0
	v_cmp_lt_i32_e64 s0, v128, v36
	v_cndmask_b32_e64 v6, 0, v6, s0
	v_cmp_lt_i32_e64 s0, v119, v36
	s_delay_alu instid0(VALU_DEP_1) | instskip(SKIP_1) | instid1(VALU_DEP_1)
	v_cndmask_b32_e64 v3, 0, v3, s0
	v_cmp_lt_i32_e64 s0, v85, v36
	v_cndmask_b32_e64 v2, 0, v2, s0
.LBB466_4675:                           ;   in Loop: Header=BB466_2335 Depth=1
	s_or_b32 exec_lo, exec_lo, s9
	v_lshlrev_b32_e32 v4, 16, v4
                                        ; implicit-def: $vgpr37
	s_delay_alu instid0(VALU_DEP_1) | instskip(NEXT) | instid1(VALU_DEP_1)
	v_mul_f32_e32 v4, v134, v4
	v_and_b32_e32 v5, 0x7f800000, v4
	s_delay_alu instid0(VALU_DEP_1) | instskip(NEXT) | instid1(VALU_DEP_1)
	v_cmp_ne_u32_e64 s0, 0x7f800000, v5
	s_and_saveexec_b32 s9, s0
	s_delay_alu instid0(SALU_CYCLE_1)
	s_xor_b32 s0, exec_lo, s9
; %bb.4676:                             ;   in Loop: Header=BB466_2335 Depth=1
	v_bfe_u32 v5, v4, 16, 1
	s_delay_alu instid0(VALU_DEP_1)
	v_add3_u32 v37, v4, v5, 0x7fff
                                        ; implicit-def: $vgpr4
; %bb.4677:                             ;   in Loop: Header=BB466_2335 Depth=1
	s_and_not1_saveexec_b32 s9, s0
; %bb.4678:                             ;   in Loop: Header=BB466_2335 Depth=1
	v_and_b32_e32 v5, 0xffff, v4
	v_or_b32_e32 v22, 0x10000, v4
	s_delay_alu instid0(VALU_DEP_2) | instskip(NEXT) | instid1(VALU_DEP_1)
	v_cmp_eq_u32_e64 s0, 0, v5
	v_cndmask_b32_e64 v37, v22, v4, s0
; %bb.4679:                             ;   in Loop: Header=BB466_2335 Depth=1
	s_or_b32 exec_lo, exec_lo, s9
	v_lshlrev_b32_e32 v4, 16, v96
                                        ; implicit-def: $vgpr22
	s_delay_alu instid0(VALU_DEP_1) | instskip(NEXT) | instid1(VALU_DEP_1)
	v_mul_f32_e32 v4, v135, v4
	v_and_b32_e32 v5, 0x7f800000, v4
	s_delay_alu instid0(VALU_DEP_1) | instskip(NEXT) | instid1(VALU_DEP_1)
	v_cmp_ne_u32_e64 s0, 0x7f800000, v5
	s_and_saveexec_b32 s9, s0
	s_delay_alu instid0(SALU_CYCLE_1)
	s_xor_b32 s0, exec_lo, s9
; %bb.4680:                             ;   in Loop: Header=BB466_2335 Depth=1
	v_bfe_u32 v5, v4, 16, 1
	s_delay_alu instid0(VALU_DEP_1)
	v_add3_u32 v22, v4, v5, 0x7fff
                                        ; implicit-def: $vgpr4
; %bb.4681:                             ;   in Loop: Header=BB466_2335 Depth=1
	s_and_not1_saveexec_b32 s9, s0
; %bb.4682:                             ;   in Loop: Header=BB466_2335 Depth=1
	v_and_b32_e32 v5, 0xffff, v4
	v_or_b32_e32 v22, 0x10000, v4
	s_delay_alu instid0(VALU_DEP_2) | instskip(NEXT) | instid1(VALU_DEP_1)
	v_cmp_eq_u32_e64 s0, 0, v5
	v_cndmask_b32_e64 v22, v22, v4, s0
; %bb.4683:                             ;   in Loop: Header=BB466_2335 Depth=1
	s_or_b32 exec_lo, exec_lo, s9
	v_lshlrev_b32_e32 v4, 16, v87
                                        ; implicit-def: $vgpr87
	s_delay_alu instid0(VALU_DEP_1) | instskip(NEXT) | instid1(VALU_DEP_1)
	v_mul_f32_e32 v4, v144, v4
	v_and_b32_e32 v5, 0x7f800000, v4
	s_delay_alu instid0(VALU_DEP_1) | instskip(NEXT) | instid1(VALU_DEP_1)
	v_cmp_ne_u32_e64 s0, 0x7f800000, v5
	s_and_saveexec_b32 s9, s0
	s_delay_alu instid0(SALU_CYCLE_1)
	s_xor_b32 s0, exec_lo, s9
; %bb.4684:                             ;   in Loop: Header=BB466_2335 Depth=1
	v_bfe_u32 v5, v4, 16, 1
	s_delay_alu instid0(VALU_DEP_1)
	v_add3_u32 v87, v4, v5, 0x7fff
                                        ; implicit-def: $vgpr4
; %bb.4685:                             ;   in Loop: Header=BB466_2335 Depth=1
	s_and_not1_saveexec_b32 s9, s0
; %bb.4686:                             ;   in Loop: Header=BB466_2335 Depth=1
	v_and_b32_e32 v5, 0xffff, v4
	v_or_b32_e32 v87, 0x10000, v4
	s_delay_alu instid0(VALU_DEP_2) | instskip(NEXT) | instid1(VALU_DEP_1)
	v_cmp_eq_u32_e64 s0, 0, v5
	v_cndmask_b32_e64 v87, v87, v4, s0
; %bb.4687:                             ;   in Loop: Header=BB466_2335 Depth=1
	s_or_b32 exec_lo, exec_lo, s9
	v_lshlrev_b32_e32 v4, 16, v12
                                        ; implicit-def: $vgpr96
	s_delay_alu instid0(VALU_DEP_1) | instskip(NEXT) | instid1(VALU_DEP_1)
	v_mul_f32_e32 v4, v145, v4
	v_and_b32_e32 v5, 0x7f800000, v4
	s_delay_alu instid0(VALU_DEP_1) | instskip(NEXT) | instid1(VALU_DEP_1)
	v_cmp_ne_u32_e64 s0, 0x7f800000, v5
	s_and_saveexec_b32 s9, s0
	s_delay_alu instid0(SALU_CYCLE_1)
	s_xor_b32 s0, exec_lo, s9
; %bb.4688:                             ;   in Loop: Header=BB466_2335 Depth=1
	v_bfe_u32 v5, v4, 16, 1
	s_delay_alu instid0(VALU_DEP_1)
	v_add3_u32 v96, v4, v5, 0x7fff
                                        ; implicit-def: $vgpr4
; %bb.4689:                             ;   in Loop: Header=BB466_2335 Depth=1
	s_and_not1_saveexec_b32 s9, s0
; %bb.4690:                             ;   in Loop: Header=BB466_2335 Depth=1
	v_and_b32_e32 v5, 0xffff, v4
	v_or_b32_e32 v12, 0x10000, v4
	s_delay_alu instid0(VALU_DEP_2) | instskip(NEXT) | instid1(VALU_DEP_1)
	v_cmp_eq_u32_e64 s0, 0, v5
	v_cndmask_b32_e64 v96, v12, v4, s0
; %bb.4691:                             ;   in Loop: Header=BB466_2335 Depth=1
	s_or_b32 exec_lo, exec_lo, s9
	v_lshlrev_b32_e32 v4, 16, v7
                                        ; implicit-def: $vgpr97
	s_delay_alu instid0(VALU_DEP_1) | instskip(NEXT) | instid1(VALU_DEP_1)
	v_mul_f32_e32 v4, v146, v4
	v_and_b32_e32 v5, 0x7f800000, v4
	s_delay_alu instid0(VALU_DEP_1) | instskip(NEXT) | instid1(VALU_DEP_1)
	v_cmp_ne_u32_e64 s0, 0x7f800000, v5
	s_and_saveexec_b32 s9, s0
	s_delay_alu instid0(SALU_CYCLE_1)
	s_xor_b32 s0, exec_lo, s9
; %bb.4692:                             ;   in Loop: Header=BB466_2335 Depth=1
	v_bfe_u32 v5, v4, 16, 1
	s_delay_alu instid0(VALU_DEP_1)
	v_add3_u32 v97, v4, v5, 0x7fff
                                        ; implicit-def: $vgpr4
; %bb.4693:                             ;   in Loop: Header=BB466_2335 Depth=1
	s_and_not1_saveexec_b32 s9, s0
; %bb.4694:                             ;   in Loop: Header=BB466_2335 Depth=1
	v_and_b32_e32 v5, 0xffff, v4
	v_or_b32_e32 v7, 0x10000, v4
	s_delay_alu instid0(VALU_DEP_2) | instskip(NEXT) | instid1(VALU_DEP_1)
	v_cmp_eq_u32_e64 s0, 0, v5
	v_cndmask_b32_e64 v97, v7, v4, s0
; %bb.4695:                             ;   in Loop: Header=BB466_2335 Depth=1
	s_or_b32 exec_lo, exec_lo, s9
	v_lshlrev_b32_e32 v4, 16, v6
                                        ; implicit-def: $vgpr98
	s_delay_alu instid0(VALU_DEP_1) | instskip(NEXT) | instid1(VALU_DEP_1)
	v_mul_f32_e32 v4, v147, v4
	v_and_b32_e32 v5, 0x7f800000, v4
	s_delay_alu instid0(VALU_DEP_1) | instskip(NEXT) | instid1(VALU_DEP_1)
	v_cmp_ne_u32_e64 s0, 0x7f800000, v5
	s_and_saveexec_b32 s9, s0
	s_delay_alu instid0(SALU_CYCLE_1)
	s_xor_b32 s0, exec_lo, s9
; %bb.4696:                             ;   in Loop: Header=BB466_2335 Depth=1
	v_bfe_u32 v5, v4, 16, 1
	s_delay_alu instid0(VALU_DEP_1)
	v_add3_u32 v98, v4, v5, 0x7fff
                                        ; implicit-def: $vgpr4
; %bb.4697:                             ;   in Loop: Header=BB466_2335 Depth=1
	s_and_not1_saveexec_b32 s9, s0
; %bb.4698:                             ;   in Loop: Header=BB466_2335 Depth=1
	v_and_b32_e32 v5, 0xffff, v4
	v_or_b32_e32 v6, 0x10000, v4
	s_delay_alu instid0(VALU_DEP_2) | instskip(NEXT) | instid1(VALU_DEP_1)
	v_cmp_eq_u32_e64 s0, 0, v5
	v_cndmask_b32_e64 v98, v6, v4, s0
; %bb.4699:                             ;   in Loop: Header=BB466_2335 Depth=1
	s_or_b32 exec_lo, exec_lo, s9
	v_lshlrev_b32_e32 v3, 16, v3
                                        ; implicit-def: $vgpr99
	s_delay_alu instid0(VALU_DEP_1) | instskip(NEXT) | instid1(VALU_DEP_1)
	v_mul_f32_e32 v3, v148, v3
	v_and_b32_e32 v4, 0x7f800000, v3
	s_delay_alu instid0(VALU_DEP_1) | instskip(NEXT) | instid1(VALU_DEP_1)
	v_cmp_ne_u32_e64 s0, 0x7f800000, v4
	s_and_saveexec_b32 s9, s0
	s_delay_alu instid0(SALU_CYCLE_1)
	s_xor_b32 s0, exec_lo, s9
; %bb.4700:                             ;   in Loop: Header=BB466_2335 Depth=1
	v_bfe_u32 v4, v3, 16, 1
	s_delay_alu instid0(VALU_DEP_1)
	v_add3_u32 v99, v3, v4, 0x7fff
                                        ; implicit-def: $vgpr3
; %bb.4701:                             ;   in Loop: Header=BB466_2335 Depth=1
	s_and_not1_saveexec_b32 s9, s0
; %bb.4702:                             ;   in Loop: Header=BB466_2335 Depth=1
	v_and_b32_e32 v4, 0xffff, v3
	v_or_b32_e32 v5, 0x10000, v3
	s_delay_alu instid0(VALU_DEP_2) | instskip(NEXT) | instid1(VALU_DEP_1)
	v_cmp_eq_u32_e64 s0, 0, v4
	v_cndmask_b32_e64 v99, v5, v3, s0
; %bb.4703:                             ;   in Loop: Header=BB466_2335 Depth=1
	s_or_b32 exec_lo, exec_lo, s9
	v_lshlrev_b32_e32 v2, 16, v2
                                        ; implicit-def: $vgpr100
	s_delay_alu instid0(VALU_DEP_1) | instskip(NEXT) | instid1(VALU_DEP_1)
	v_mul_f32_e32 v2, v149, v2
	v_and_b32_e32 v3, 0x7f800000, v2
	s_delay_alu instid0(VALU_DEP_1) | instskip(NEXT) | instid1(VALU_DEP_1)
	v_cmp_ne_u32_e64 s0, 0x7f800000, v3
	s_and_saveexec_b32 s9, s0
	s_delay_alu instid0(SALU_CYCLE_1)
	s_xor_b32 s0, exec_lo, s9
; %bb.4704:                             ;   in Loop: Header=BB466_2335 Depth=1
	v_bfe_u32 v3, v2, 16, 1
	s_delay_alu instid0(VALU_DEP_1)
	v_add3_u32 v100, v2, v3, 0x7fff
                                        ; implicit-def: $vgpr2
; %bb.4705:                             ;   in Loop: Header=BB466_2335 Depth=1
	s_and_not1_saveexec_b32 s9, s0
; %bb.4706:                             ;   in Loop: Header=BB466_2335 Depth=1
	v_and_b32_e32 v3, 0xffff, v2
	v_or_b32_e32 v4, 0x10000, v2
	s_delay_alu instid0(VALU_DEP_2) | instskip(NEXT) | instid1(VALU_DEP_1)
	v_cmp_eq_u32_e64 s0, 0, v3
	v_cndmask_b32_e64 v100, v4, v2, s0
; %bb.4707:                             ;   in Loop: Header=BB466_2335 Depth=1
	s_or_b32 exec_lo, exec_lo, s9
	scratch_load_b32 v2, off, s32 offset:564 ; 4-byte Folded Reload
	s_mov_b32 s9, exec_lo
	v_mov_b32_e32 v4, 0
	s_waitcnt vmcnt(0)
	v_add_co_u32 v2, s0, v0, v2
	s_delay_alu instid0(VALU_DEP_1) | instskip(SKIP_3) | instid1(VALU_DEP_1)
	v_add_co_ci_u32_e64 v3, s0, 0, v1, s0
	flat_load_b64 v[2:3], v[2:3]
	s_waitcnt vmcnt(0) lgkmcnt(0)
	v_and_b32_e32 v5, 0xff, v2
	v_cmpx_ne_u16_e32 0, v5
	s_cbranch_execz .LBB466_4715
; %bb.4708:                             ;   in Loop: Header=BB466_2335 Depth=1
	v_bfrev_b32_e32 v4, 1
	s_mov_b32 s12, exec_lo
	v_cmpx_ne_u16_e32 0x80, v5
	s_cbranch_execz .LBB466_4714
; %bb.4709:                             ;   in Loop: Header=BB466_2335 Depth=1
	v_and_b32_e32 v5, 0x7f, v2
	v_mov_b32_e32 v4, 0x7f800001
	s_mov_b32 s13, exec_lo
	s_delay_alu instid0(VALU_DEP_2)
	v_cmpx_ne_u32_e32 0x7f, v5
	s_cbranch_execz .LBB466_4713
; %bb.4710:                             ;   in Loop: Header=BB466_2335 Depth=1
	v_lshrrev_b32_e32 v4, 3, v5
	v_dual_mov_b32 v7, v3 :: v_dual_mov_b32 v6, v2
	s_mov_b32 s15, exec_lo
	v_cmpx_gt_u32_e32 8, v5
; %bb.4711:                             ;   in Loop: Header=BB466_2335 Depth=1
	v_and_b32_e32 v4, 7, v2
	s_delay_alu instid0(VALU_DEP_1) | instskip(NEXT) | instid1(VALU_DEP_1)
	v_clz_i32_u32_e32 v4, v4
	v_min_u32_e32 v4, 32, v4
	s_delay_alu instid0(VALU_DEP_1) | instskip(SKIP_1) | instid1(VALU_DEP_2)
	v_subrev_nc_u32_e32 v5, 28, v4
	v_sub_nc_u32_e32 v4, 29, v4
	v_lshlrev_b64 v[6:7], v5, v[2:3]
; %bb.4712:                             ;   in Loop: Header=BB466_2335 Depth=1
	s_or_b32 exec_lo, exec_lo, s15
	s_delay_alu instid0(VALU_DEP_1) | instskip(SKIP_2) | instid1(VALU_DEP_3)
	v_lshlrev_b32_e32 v5, 20, v6
	v_lshlrev_b32_e32 v6, 24, v2
	v_lshl_add_u32 v4, v4, 23, 0x3c000000
	v_and_b32_e32 v5, 0x700000, v5
	s_delay_alu instid0(VALU_DEP_3) | instskip(NEXT) | instid1(VALU_DEP_1)
	v_and_b32_e32 v6, 0x80000000, v6
	v_or3_b32 v4, v5, v6, v4
.LBB466_4713:                           ;   in Loop: Header=BB466_2335 Depth=1
	s_or_b32 exec_lo, exec_lo, s13
.LBB466_4714:                           ;   in Loop: Header=BB466_2335 Depth=1
	s_delay_alu instid0(SALU_CYCLE_1)
	s_or_b32 exec_lo, exec_lo, s12
.LBB466_4715:                           ;   in Loop: Header=BB466_2335 Depth=1
	s_delay_alu instid0(SALU_CYCLE_1) | instskip(NEXT) | instid1(VALU_DEP_1)
	s_or_b32 exec_lo, exec_lo, s9
	v_mul_f32_e32 v4, v26, v4
                                        ; implicit-def: $vgpr101
	s_delay_alu instid0(VALU_DEP_1) | instskip(NEXT) | instid1(VALU_DEP_1)
	v_and_b32_e32 v5, 0x7f800000, v4
	v_cmp_ne_u32_e64 s0, 0x7f800000, v5
	s_delay_alu instid0(VALU_DEP_1) | instskip(NEXT) | instid1(SALU_CYCLE_1)
	s_and_saveexec_b32 s9, s0
	s_xor_b32 s0, exec_lo, s9
; %bb.4716:                             ;   in Loop: Header=BB466_2335 Depth=1
	v_bfe_u32 v5, v4, 16, 1
	s_delay_alu instid0(VALU_DEP_1)
	v_add3_u32 v101, v4, v5, 0x7fff
                                        ; implicit-def: $vgpr4
; %bb.4717:                             ;   in Loop: Header=BB466_2335 Depth=1
	s_and_not1_saveexec_b32 s9, s0
; %bb.4718:                             ;   in Loop: Header=BB466_2335 Depth=1
	v_and_b32_e32 v5, 0xffff, v4
	v_or_b32_e32 v6, 0x10000, v4
	s_delay_alu instid0(VALU_DEP_2) | instskip(NEXT) | instid1(VALU_DEP_1)
	v_cmp_eq_u32_e64 s0, 0, v5
	v_cndmask_b32_e64 v101, v6, v4, s0
; %bb.4719:                             ;   in Loop: Header=BB466_2335 Depth=1
	s_or_b32 exec_lo, exec_lo, s9
	v_lshrrev_b16 v5, 8, v2
	v_mov_b32_e32 v4, 0
	s_mov_b32 s9, exec_lo
	s_delay_alu instid0(VALU_DEP_2)
	v_cmpx_ne_u16_e32 0, v5
	s_cbranch_execz .LBB466_4727
; %bb.4720:                             ;   in Loop: Header=BB466_2335 Depth=1
	v_bfrev_b32_e32 v4, 1
	s_mov_b32 s12, exec_lo
	v_cmpx_ne_u16_e32 0x80, v5
	s_cbranch_execz .LBB466_4726
; %bb.4721:                             ;   in Loop: Header=BB466_2335 Depth=1
	v_and_b32_e32 v5, 0xffff, v5
	v_mov_b32_e32 v4, 0x7f800001
	s_mov_b32 s13, exec_lo
	s_delay_alu instid0(VALU_DEP_2) | instskip(NEXT) | instid1(VALU_DEP_1)
	v_and_b32_e32 v102, 0x7f, v5
	v_cmpx_ne_u32_e32 0x7f, v102
	s_cbranch_execz .LBB466_4725
; %bb.4722:                             ;   in Loop: Header=BB466_2335 Depth=1
	v_and_b32_e32 v12, 7, v5
	v_lshrrev_b32_e32 v4, 3, v102
	s_mov_b32 s15, exec_lo
	s_delay_alu instid0(VALU_DEP_2)
	v_dual_mov_b32 v6, v12 :: v_dual_mov_b32 v7, v13
	v_cmpx_gt_u32_e32 8, v102
; %bb.4723:                             ;   in Loop: Header=BB466_2335 Depth=1
	v_clz_i32_u32_e32 v4, v12
	s_delay_alu instid0(VALU_DEP_1) | instskip(NEXT) | instid1(VALU_DEP_1)
	v_min_u32_e32 v4, 32, v4
	v_subrev_nc_u32_e32 v5, 28, v4
	v_sub_nc_u32_e32 v4, 29, v4
	s_delay_alu instid0(VALU_DEP_2) | instskip(NEXT) | instid1(VALU_DEP_1)
	v_lshlrev_b64 v[5:6], v5, v[12:13]
	v_and_b32_e32 v6, 7, v5
; %bb.4724:                             ;   in Loop: Header=BB466_2335 Depth=1
	s_or_b32 exec_lo, exec_lo, s15
	v_lshlrev_b32_e32 v5, 16, v2
	s_delay_alu instid0(VALU_DEP_2) | instskip(SKIP_1) | instid1(VALU_DEP_3)
	v_lshlrev_b32_e32 v6, 20, v6
	v_lshl_add_u32 v4, v4, 23, 0x3c000000
	v_and_b32_e32 v5, 0x80000000, v5
	s_delay_alu instid0(VALU_DEP_1)
	v_or3_b32 v4, v6, v5, v4
.LBB466_4725:                           ;   in Loop: Header=BB466_2335 Depth=1
	s_or_b32 exec_lo, exec_lo, s13
.LBB466_4726:                           ;   in Loop: Header=BB466_2335 Depth=1
	s_delay_alu instid0(SALU_CYCLE_1)
	s_or_b32 exec_lo, exec_lo, s12
.LBB466_4727:                           ;   in Loop: Header=BB466_2335 Depth=1
	s_delay_alu instid0(SALU_CYCLE_1) | instskip(NEXT) | instid1(VALU_DEP_1)
	s_or_b32 exec_lo, exec_lo, s9
	v_mul_f32_e32 v4, v26, v4
                                        ; implicit-def: $vgpr102
	s_delay_alu instid0(VALU_DEP_1) | instskip(NEXT) | instid1(VALU_DEP_1)
	v_and_b32_e32 v5, 0x7f800000, v4
	v_cmp_ne_u32_e64 s0, 0x7f800000, v5
	s_delay_alu instid0(VALU_DEP_1) | instskip(NEXT) | instid1(SALU_CYCLE_1)
	s_and_saveexec_b32 s9, s0
	s_xor_b32 s0, exec_lo, s9
; %bb.4728:                             ;   in Loop: Header=BB466_2335 Depth=1
	v_bfe_u32 v5, v4, 16, 1
	s_delay_alu instid0(VALU_DEP_1)
	v_add3_u32 v102, v4, v5, 0x7fff
                                        ; implicit-def: $vgpr4
; %bb.4729:                             ;   in Loop: Header=BB466_2335 Depth=1
	s_and_not1_saveexec_b32 s9, s0
; %bb.4730:                             ;   in Loop: Header=BB466_2335 Depth=1
	v_and_b32_e32 v5, 0xffff, v4
	v_or_b32_e32 v6, 0x10000, v4
	s_delay_alu instid0(VALU_DEP_2) | instskip(NEXT) | instid1(VALU_DEP_1)
	v_cmp_eq_u32_e64 s0, 0, v5
	v_cndmask_b32_e64 v102, v6, v4, s0
; %bb.4731:                             ;   in Loop: Header=BB466_2335 Depth=1
	s_or_b32 exec_lo, exec_lo, s9
	v_lshrrev_b32_e32 v103, 16, v2
	s_mov_b32 s9, exec_lo
	s_delay_alu instid0(VALU_DEP_1) | instskip(NEXT) | instid1(VALU_DEP_1)
	v_dual_mov_b32 v4, 0 :: v_dual_and_b32 v5, 0xff, v103
	v_cmpx_ne_u16_e32 0, v5
	s_cbranch_execz .LBB466_4739
; %bb.4732:                             ;   in Loop: Header=BB466_2335 Depth=1
	v_bfrev_b32_e32 v4, 1
	s_mov_b32 s12, exec_lo
	v_cmpx_ne_u16_e32 0x80, v5
	s_cbranch_execz .LBB466_4738
; %bb.4733:                             ;   in Loop: Header=BB466_2335 Depth=1
	v_bfe_u32 v112, v2, 16, 7
	v_mov_b32_e32 v4, 0x7f800001
	s_mov_b32 s13, exec_lo
	s_delay_alu instid0(VALU_DEP_2)
	v_cmpx_ne_u32_e32 0x7f, v112
	s_cbranch_execz .LBB466_4737
; %bb.4734:                             ;   in Loop: Header=BB466_2335 Depth=1
	v_and_b32_e32 v12, 7, v103
	v_lshrrev_b32_e32 v4, 3, v112
	s_mov_b32 s15, exec_lo
	s_delay_alu instid0(VALU_DEP_2)
	v_dual_mov_b32 v6, v12 :: v_dual_mov_b32 v7, v13
	v_cmpx_gt_u32_e32 8, v112
; %bb.4735:                             ;   in Loop: Header=BB466_2335 Depth=1
	v_clz_i32_u32_e32 v4, v12
	s_delay_alu instid0(VALU_DEP_1) | instskip(NEXT) | instid1(VALU_DEP_1)
	v_min_u32_e32 v4, 32, v4
	v_subrev_nc_u32_e32 v5, 28, v4
	v_sub_nc_u32_e32 v4, 29, v4
	s_delay_alu instid0(VALU_DEP_2) | instskip(NEXT) | instid1(VALU_DEP_1)
	v_lshlrev_b64 v[5:6], v5, v[12:13]
	v_and_b32_e32 v6, 7, v5
; %bb.4736:                             ;   in Loop: Header=BB466_2335 Depth=1
	s_or_b32 exec_lo, exec_lo, s15
	v_lshlrev_b32_e32 v5, 24, v103
	s_delay_alu instid0(VALU_DEP_2) | instskip(SKIP_1) | instid1(VALU_DEP_3)
	v_lshlrev_b32_e32 v6, 20, v6
	v_lshl_add_u32 v4, v4, 23, 0x3c000000
	v_and_b32_e32 v5, 0x80000000, v5
	s_delay_alu instid0(VALU_DEP_1)
	v_or3_b32 v4, v6, v5, v4
.LBB466_4737:                           ;   in Loop: Header=BB466_2335 Depth=1
	s_or_b32 exec_lo, exec_lo, s13
.LBB466_4738:                           ;   in Loop: Header=BB466_2335 Depth=1
	s_delay_alu instid0(SALU_CYCLE_1)
	s_or_b32 exec_lo, exec_lo, s12
.LBB466_4739:                           ;   in Loop: Header=BB466_2335 Depth=1
	s_delay_alu instid0(SALU_CYCLE_1) | instskip(NEXT) | instid1(VALU_DEP_1)
	s_or_b32 exec_lo, exec_lo, s9
	v_mul_f32_e32 v4, v26, v4
                                        ; implicit-def: $vgpr103
	s_delay_alu instid0(VALU_DEP_1) | instskip(NEXT) | instid1(VALU_DEP_1)
	v_and_b32_e32 v5, 0x7f800000, v4
	v_cmp_ne_u32_e64 s0, 0x7f800000, v5
	s_delay_alu instid0(VALU_DEP_1) | instskip(NEXT) | instid1(SALU_CYCLE_1)
	s_and_saveexec_b32 s9, s0
	s_xor_b32 s0, exec_lo, s9
; %bb.4740:                             ;   in Loop: Header=BB466_2335 Depth=1
	v_bfe_u32 v5, v4, 16, 1
	s_delay_alu instid0(VALU_DEP_1)
	v_add3_u32 v103, v4, v5, 0x7fff
                                        ; implicit-def: $vgpr4
; %bb.4741:                             ;   in Loop: Header=BB466_2335 Depth=1
	s_and_not1_saveexec_b32 s9, s0
; %bb.4742:                             ;   in Loop: Header=BB466_2335 Depth=1
	v_and_b32_e32 v5, 0xffff, v4
	v_or_b32_e32 v6, 0x10000, v4
	s_delay_alu instid0(VALU_DEP_2) | instskip(NEXT) | instid1(VALU_DEP_1)
	v_cmp_eq_u32_e64 s0, 0, v5
	v_cndmask_b32_e64 v103, v6, v4, s0
; %bb.4743:                             ;   in Loop: Header=BB466_2335 Depth=1
	s_or_b32 exec_lo, exec_lo, s9
	v_mov_b32_e32 v6, 0
	s_mov_b32 s9, exec_lo
	v_cmpx_lt_u32_e32 0xffffff, v2
	s_cbranch_execz .LBB466_4751
; %bb.4744:                             ;   in Loop: Header=BB466_2335 Depth=1
	v_lshrrev_b32_e32 v4, 24, v2
	v_bfrev_b32_e32 v6, 1
	s_mov_b32 s12, exec_lo
	s_delay_alu instid0(VALU_DEP_2)
	v_cmpx_ne_u32_e32 0x80, v4
	s_cbranch_execz .LBB466_4750
; %bb.4745:                             ;   in Loop: Header=BB466_2335 Depth=1
	v_bfe_u32 v112, v2, 24, 7
	v_mov_b32_e32 v6, 0x7f800001
	s_mov_b32 s13, exec_lo
	s_delay_alu instid0(VALU_DEP_2)
	v_cmpx_ne_u32_e32 0x7f, v112
	s_cbranch_execz .LBB466_4749
; %bb.4746:                             ;   in Loop: Header=BB466_2335 Depth=1
	v_and_b32_e32 v12, 7, v4
	s_mov_b32 s15, exec_lo
	s_delay_alu instid0(VALU_DEP_1)
	v_dual_mov_b32 v6, v12 :: v_dual_mov_b32 v7, v13
	v_lshrrev_b32_e32 v7, 3, v112
	v_cmpx_gt_u32_e32 8, v112
; %bb.4747:                             ;   in Loop: Header=BB466_2335 Depth=1
	v_clz_i32_u32_e32 v5, v12
	s_delay_alu instid0(VALU_DEP_1) | instskip(NEXT) | instid1(VALU_DEP_1)
	v_min_u32_e32 v7, 32, v5
	v_subrev_nc_u32_e32 v5, 28, v7
	v_sub_nc_u32_e32 v7, 29, v7
	s_delay_alu instid0(VALU_DEP_2) | instskip(NEXT) | instid1(VALU_DEP_1)
	v_lshlrev_b64 v[5:6], v5, v[12:13]
	v_and_b32_e32 v6, 7, v5
; %bb.4748:                             ;   in Loop: Header=BB466_2335 Depth=1
	s_or_b32 exec_lo, exec_lo, s15
	v_lshlrev_b32_e32 v4, 24, v4
	s_delay_alu instid0(VALU_DEP_2) | instskip(SKIP_1) | instid1(VALU_DEP_3)
	v_lshlrev_b32_e32 v5, 20, v6
	v_lshl_add_u32 v6, v7, 23, 0x3c000000
	v_and_b32_e32 v4, 0x80000000, v4
	s_delay_alu instid0(VALU_DEP_1)
	v_or3_b32 v6, v5, v4, v6
.LBB466_4749:                           ;   in Loop: Header=BB466_2335 Depth=1
	s_or_b32 exec_lo, exec_lo, s13
.LBB466_4750:                           ;   in Loop: Header=BB466_2335 Depth=1
	s_delay_alu instid0(SALU_CYCLE_1)
	s_or_b32 exec_lo, exec_lo, s12
.LBB466_4751:                           ;   in Loop: Header=BB466_2335 Depth=1
	s_delay_alu instid0(SALU_CYCLE_1) | instskip(NEXT) | instid1(VALU_DEP_1)
	s_or_b32 exec_lo, exec_lo, s9
	v_mul_f32_e32 v4, v26, v6
                                        ; implicit-def: $vgpr112
	s_delay_alu instid0(VALU_DEP_1) | instskip(NEXT) | instid1(VALU_DEP_1)
	v_and_b32_e32 v5, 0x7f800000, v4
	v_cmp_ne_u32_e64 s0, 0x7f800000, v5
	s_delay_alu instid0(VALU_DEP_1) | instskip(NEXT) | instid1(SALU_CYCLE_1)
	s_and_saveexec_b32 s9, s0
	s_xor_b32 s0, exec_lo, s9
; %bb.4752:                             ;   in Loop: Header=BB466_2335 Depth=1
	v_bfe_u32 v5, v4, 16, 1
	s_delay_alu instid0(VALU_DEP_1)
	v_add3_u32 v112, v4, v5, 0x7fff
                                        ; implicit-def: $vgpr4
; %bb.4753:                             ;   in Loop: Header=BB466_2335 Depth=1
	s_and_not1_saveexec_b32 s9, s0
; %bb.4754:                             ;   in Loop: Header=BB466_2335 Depth=1
	v_and_b32_e32 v5, 0xffff, v4
	v_or_b32_e32 v6, 0x10000, v4
	s_delay_alu instid0(VALU_DEP_2) | instskip(NEXT) | instid1(VALU_DEP_1)
	v_cmp_eq_u32_e64 s0, 0, v5
	v_cndmask_b32_e64 v112, v6, v4, s0
; %bb.4755:                             ;   in Loop: Header=BB466_2335 Depth=1
	s_or_b32 exec_lo, exec_lo, s9
	v_dual_mov_b32 v12, v3 :: v_dual_and_b32 v5, 0xff, v3
	v_mov_b32_e32 v4, 0
	s_mov_b32 s9, exec_lo
	s_delay_alu instid0(VALU_DEP_2)
	v_cmpx_ne_u16_e32 0, v5
	s_cbranch_execz .LBB466_4763
; %bb.4756:                             ;   in Loop: Header=BB466_2335 Depth=1
	v_bfrev_b32_e32 v4, 1
	s_mov_b32 s12, exec_lo
	v_cmpx_ne_u16_e32 0x80, v5
	s_cbranch_execz .LBB466_4762
; %bb.4757:                             ;   in Loop: Header=BB466_2335 Depth=1
	v_and_b32_e32 v5, 0x7f, v3
	v_mov_b32_e32 v4, 0x7f800001
	s_mov_b32 s13, exec_lo
	s_delay_alu instid0(VALU_DEP_2)
	v_cmpx_ne_u32_e32 0x7f, v5
	s_cbranch_execz .LBB466_4761
; %bb.4758:                             ;   in Loop: Header=BB466_2335 Depth=1
	v_dual_mov_b32 v6, v12 :: v_dual_mov_b32 v7, v13
	v_lshrrev_b32_e32 v4, 3, v5
	s_mov_b32 s15, exec_lo
	v_cmpx_gt_u32_e32 8, v5
; %bb.4759:                             ;   in Loop: Header=BB466_2335 Depth=1
	v_and_b32_e32 v4, 7, v3
	s_delay_alu instid0(VALU_DEP_1) | instskip(NEXT) | instid1(VALU_DEP_1)
	v_clz_i32_u32_e32 v4, v4
	v_min_u32_e32 v4, 32, v4
	s_delay_alu instid0(VALU_DEP_1) | instskip(SKIP_1) | instid1(VALU_DEP_2)
	v_subrev_nc_u32_e32 v5, 28, v4
	v_sub_nc_u32_e32 v4, 29, v4
	v_lshlrev_b64 v[6:7], v5, v[12:13]
; %bb.4760:                             ;   in Loop: Header=BB466_2335 Depth=1
	s_or_b32 exec_lo, exec_lo, s15
	s_delay_alu instid0(VALU_DEP_1) | instskip(SKIP_2) | instid1(VALU_DEP_3)
	v_lshlrev_b32_e32 v5, 20, v6
	v_lshlrev_b32_e32 v6, 24, v12
	v_lshl_add_u32 v4, v4, 23, 0x3c000000
	v_and_b32_e32 v5, 0x700000, v5
	s_delay_alu instid0(VALU_DEP_3) | instskip(NEXT) | instid1(VALU_DEP_1)
	v_and_b32_e32 v6, 0x80000000, v6
	v_or3_b32 v4, v5, v6, v4
.LBB466_4761:                           ;   in Loop: Header=BB466_2335 Depth=1
	s_or_b32 exec_lo, exec_lo, s13
.LBB466_4762:                           ;   in Loop: Header=BB466_2335 Depth=1
	s_delay_alu instid0(SALU_CYCLE_1)
	s_or_b32 exec_lo, exec_lo, s12
.LBB466_4763:                           ;   in Loop: Header=BB466_2335 Depth=1
	s_delay_alu instid0(SALU_CYCLE_1) | instskip(NEXT) | instid1(VALU_DEP_1)
	s_or_b32 exec_lo, exec_lo, s9
	v_mul_f32_e32 v4, v26, v4
                                        ; implicit-def: $vgpr113
	s_delay_alu instid0(VALU_DEP_1) | instskip(NEXT) | instid1(VALU_DEP_1)
	v_and_b32_e32 v5, 0x7f800000, v4
	v_cmp_ne_u32_e64 s0, 0x7f800000, v5
	s_delay_alu instid0(VALU_DEP_1) | instskip(NEXT) | instid1(SALU_CYCLE_1)
	s_and_saveexec_b32 s9, s0
	s_xor_b32 s0, exec_lo, s9
; %bb.4764:                             ;   in Loop: Header=BB466_2335 Depth=1
	v_bfe_u32 v5, v4, 16, 1
	s_delay_alu instid0(VALU_DEP_1)
	v_add3_u32 v113, v4, v5, 0x7fff
                                        ; implicit-def: $vgpr4
; %bb.4765:                             ;   in Loop: Header=BB466_2335 Depth=1
	s_and_not1_saveexec_b32 s9, s0
; %bb.4766:                             ;   in Loop: Header=BB466_2335 Depth=1
	v_and_b32_e32 v5, 0xffff, v4
	v_or_b32_e32 v6, 0x10000, v4
	s_delay_alu instid0(VALU_DEP_2) | instskip(NEXT) | instid1(VALU_DEP_1)
	v_cmp_eq_u32_e64 s0, 0, v5
	v_cndmask_b32_e64 v113, v6, v4, s0
; %bb.4767:                             ;   in Loop: Header=BB466_2335 Depth=1
	s_or_b32 exec_lo, exec_lo, s9
	v_lshrrev_b16 v5, 8, v12
	v_mov_b32_e32 v4, 0
	s_mov_b32 s9, exec_lo
	s_delay_alu instid0(VALU_DEP_2)
	v_cmpx_ne_u16_e32 0, v5
	s_cbranch_execz .LBB466_4775
; %bb.4768:                             ;   in Loop: Header=BB466_2335 Depth=1
	v_bfrev_b32_e32 v4, 1
	s_mov_b32 s12, exec_lo
	v_cmpx_ne_u16_e32 0x80, v5
	s_cbranch_execz .LBB466_4774
; %bb.4769:                             ;   in Loop: Header=BB466_2335 Depth=1
	v_and_b32_e32 v6, 0xffff, v5
	v_mov_b32_e32 v4, 0x7f800001
	s_mov_b32 s13, exec_lo
	s_delay_alu instid0(VALU_DEP_2) | instskip(NEXT) | instid1(VALU_DEP_1)
	v_and_b32_e32 v5, 0x7f, v6
	v_cmpx_ne_u32_e32 0x7f, v5
	s_cbranch_execz .LBB466_4773
; %bb.4770:                             ;   in Loop: Header=BB466_2335 Depth=1
	v_dual_mov_b32 v7, v13 :: v_dual_and_b32 v6, 7, v6
	v_lshrrev_b32_e32 v4, 3, v5
	s_mov_b32 s15, exec_lo
	v_cmpx_gt_u32_e32 8, v5
; %bb.4771:                             ;   in Loop: Header=BB466_2335 Depth=1
	s_delay_alu instid0(VALU_DEP_3) | instskip(NEXT) | instid1(VALU_DEP_1)
	v_clz_i32_u32_e32 v4, v6
	v_min_u32_e32 v4, 32, v4
	s_delay_alu instid0(VALU_DEP_1) | instskip(SKIP_1) | instid1(VALU_DEP_2)
	v_subrev_nc_u32_e32 v5, 28, v4
	v_sub_nc_u32_e32 v4, 29, v4
	v_lshlrev_b64 v[5:6], v5, v[6:7]
	s_delay_alu instid0(VALU_DEP_1)
	v_and_b32_e32 v6, 7, v5
; %bb.4772:                             ;   in Loop: Header=BB466_2335 Depth=1
	s_or_b32 exec_lo, exec_lo, s15
	v_lshlrev_b32_e32 v5, 16, v12
	s_delay_alu instid0(VALU_DEP_2) | instskip(SKIP_1) | instid1(VALU_DEP_3)
	v_lshlrev_b32_e32 v6, 20, v6
	v_lshl_add_u32 v4, v4, 23, 0x3c000000
	v_and_b32_e32 v5, 0x80000000, v5
	s_delay_alu instid0(VALU_DEP_1)
	v_or3_b32 v4, v6, v5, v4
.LBB466_4773:                           ;   in Loop: Header=BB466_2335 Depth=1
	s_or_b32 exec_lo, exec_lo, s13
.LBB466_4774:                           ;   in Loop: Header=BB466_2335 Depth=1
	s_delay_alu instid0(SALU_CYCLE_1)
	s_or_b32 exec_lo, exec_lo, s12
.LBB466_4775:                           ;   in Loop: Header=BB466_2335 Depth=1
	s_delay_alu instid0(SALU_CYCLE_1) | instskip(NEXT) | instid1(VALU_DEP_1)
	s_or_b32 exec_lo, exec_lo, s9
	v_mul_f32_e32 v4, v26, v4
                                        ; implicit-def: $vgpr114
	s_delay_alu instid0(VALU_DEP_1) | instskip(NEXT) | instid1(VALU_DEP_1)
	v_and_b32_e32 v5, 0x7f800000, v4
	v_cmp_ne_u32_e64 s0, 0x7f800000, v5
	s_delay_alu instid0(VALU_DEP_1) | instskip(NEXT) | instid1(SALU_CYCLE_1)
	s_and_saveexec_b32 s9, s0
	s_xor_b32 s0, exec_lo, s9
; %bb.4776:                             ;   in Loop: Header=BB466_2335 Depth=1
	v_bfe_u32 v5, v4, 16, 1
	s_delay_alu instid0(VALU_DEP_1)
	v_add3_u32 v114, v4, v5, 0x7fff
                                        ; implicit-def: $vgpr4
; %bb.4777:                             ;   in Loop: Header=BB466_2335 Depth=1
	s_and_not1_saveexec_b32 s9, s0
; %bb.4778:                             ;   in Loop: Header=BB466_2335 Depth=1
	v_and_b32_e32 v5, 0xffff, v4
	v_or_b32_e32 v6, 0x10000, v4
	s_delay_alu instid0(VALU_DEP_2) | instskip(NEXT) | instid1(VALU_DEP_1)
	v_cmp_eq_u32_e64 s0, 0, v5
	v_cndmask_b32_e64 v114, v6, v4, s0
; %bb.4779:                             ;   in Loop: Header=BB466_2335 Depth=1
	s_or_b32 exec_lo, exec_lo, s9
	v_lshrrev_b32_e32 v115, 16, v3
	s_mov_b32 s9, exec_lo
	s_delay_alu instid0(VALU_DEP_1) | instskip(NEXT) | instid1(VALU_DEP_1)
	v_dual_mov_b32 v4, 0 :: v_dual_and_b32 v5, 0xff, v115
	v_cmpx_ne_u16_e32 0, v5
	s_cbranch_execz .LBB466_4787
; %bb.4780:                             ;   in Loop: Header=BB466_2335 Depth=1
	v_bfrev_b32_e32 v4, 1
	s_mov_b32 s12, exec_lo
	v_cmpx_ne_u16_e32 0x80, v5
	s_cbranch_execz .LBB466_4786
; %bb.4781:                             ;   in Loop: Header=BB466_2335 Depth=1
	v_bfe_u32 v116, v3, 16, 7
	v_mov_b32_e32 v4, 0x7f800001
	s_mov_b32 s13, exec_lo
	s_delay_alu instid0(VALU_DEP_2)
	v_cmpx_ne_u32_e32 0x7f, v116
	s_cbranch_execz .LBB466_4785
; %bb.4782:                             ;   in Loop: Header=BB466_2335 Depth=1
	v_and_b32_e32 v12, 7, v115
	v_lshrrev_b32_e32 v4, 3, v116
	s_mov_b32 s15, exec_lo
	s_delay_alu instid0(VALU_DEP_2)
	v_dual_mov_b32 v6, v12 :: v_dual_mov_b32 v7, v13
	v_cmpx_gt_u32_e32 8, v116
; %bb.4783:                             ;   in Loop: Header=BB466_2335 Depth=1
	v_clz_i32_u32_e32 v4, v12
	s_delay_alu instid0(VALU_DEP_1) | instskip(NEXT) | instid1(VALU_DEP_1)
	v_min_u32_e32 v4, 32, v4
	v_subrev_nc_u32_e32 v5, 28, v4
	v_sub_nc_u32_e32 v4, 29, v4
	s_delay_alu instid0(VALU_DEP_2) | instskip(NEXT) | instid1(VALU_DEP_1)
	v_lshlrev_b64 v[5:6], v5, v[12:13]
	v_and_b32_e32 v6, 7, v5
; %bb.4784:                             ;   in Loop: Header=BB466_2335 Depth=1
	s_or_b32 exec_lo, exec_lo, s15
	v_lshlrev_b32_e32 v5, 24, v115
	s_delay_alu instid0(VALU_DEP_2) | instskip(SKIP_1) | instid1(VALU_DEP_3)
	v_lshlrev_b32_e32 v6, 20, v6
	v_lshl_add_u32 v4, v4, 23, 0x3c000000
	v_and_b32_e32 v5, 0x80000000, v5
	s_delay_alu instid0(VALU_DEP_1)
	v_or3_b32 v4, v6, v5, v4
.LBB466_4785:                           ;   in Loop: Header=BB466_2335 Depth=1
	s_or_b32 exec_lo, exec_lo, s13
.LBB466_4786:                           ;   in Loop: Header=BB466_2335 Depth=1
	s_delay_alu instid0(SALU_CYCLE_1)
	s_or_b32 exec_lo, exec_lo, s12
.LBB466_4787:                           ;   in Loop: Header=BB466_2335 Depth=1
	s_delay_alu instid0(SALU_CYCLE_1) | instskip(NEXT) | instid1(VALU_DEP_1)
	s_or_b32 exec_lo, exec_lo, s9
	v_mul_f32_e32 v4, v26, v4
                                        ; implicit-def: $vgpr115
	s_delay_alu instid0(VALU_DEP_1) | instskip(NEXT) | instid1(VALU_DEP_1)
	v_and_b32_e32 v5, 0x7f800000, v4
	v_cmp_ne_u32_e64 s0, 0x7f800000, v5
	s_delay_alu instid0(VALU_DEP_1) | instskip(NEXT) | instid1(SALU_CYCLE_1)
	s_and_saveexec_b32 s9, s0
	s_xor_b32 s0, exec_lo, s9
; %bb.4788:                             ;   in Loop: Header=BB466_2335 Depth=1
	v_bfe_u32 v5, v4, 16, 1
	s_delay_alu instid0(VALU_DEP_1)
	v_add3_u32 v115, v4, v5, 0x7fff
                                        ; implicit-def: $vgpr4
; %bb.4789:                             ;   in Loop: Header=BB466_2335 Depth=1
	s_and_not1_saveexec_b32 s9, s0
; %bb.4790:                             ;   in Loop: Header=BB466_2335 Depth=1
	v_and_b32_e32 v5, 0xffff, v4
	v_or_b32_e32 v6, 0x10000, v4
	s_delay_alu instid0(VALU_DEP_2) | instskip(NEXT) | instid1(VALU_DEP_1)
	v_cmp_eq_u32_e64 s0, 0, v5
	v_cndmask_b32_e64 v115, v6, v4, s0
; %bb.4791:                             ;   in Loop: Header=BB466_2335 Depth=1
	s_or_b32 exec_lo, exec_lo, s9
	v_cmp_lt_u64_e64 s0, s[2:3], v[2:3]
	v_mov_b32_e32 v2, 0
	s_delay_alu instid0(VALU_DEP_2)
	s_and_saveexec_b32 s9, s0
	s_cbranch_execz .LBB466_4799
; %bb.4792:                             ;   in Loop: Header=BB466_2335 Depth=1
	v_lshrrev_b32_e32 v4, 24, v3
	v_bfrev_b32_e32 v2, 1
	s_mov_b32 s12, exec_lo
	s_delay_alu instid0(VALU_DEP_2)
	v_cmpx_ne_u32_e32 0x80, v4
	s_cbranch_execz .LBB466_4798
; %bb.4793:                             ;   in Loop: Header=BB466_2335 Depth=1
	v_bfe_u32 v6, v3, 24, 7
	v_mov_b32_e32 v2, 0x7f800001
	s_mov_b32 s13, exec_lo
	s_delay_alu instid0(VALU_DEP_2)
	v_cmpx_ne_u32_e32 0x7f, v6
	s_cbranch_execz .LBB466_4797
; %bb.4794:                             ;   in Loop: Header=BB466_2335 Depth=1
	v_and_b32_e32 v12, 7, v4
	s_mov_b32 s15, exec_lo
	s_delay_alu instid0(VALU_DEP_1)
	v_dual_mov_b32 v2, v12 :: v_dual_mov_b32 v3, v13
	v_lshrrev_b32_e32 v3, 3, v6
	v_cmpx_gt_u32_e32 8, v6
; %bb.4795:                             ;   in Loop: Header=BB466_2335 Depth=1
	v_clz_i32_u32_e32 v2, v12
	s_delay_alu instid0(VALU_DEP_1) | instskip(NEXT) | instid1(VALU_DEP_1)
	v_min_u32_e32 v5, 32, v2
	v_subrev_nc_u32_e32 v2, 28, v5
	s_delay_alu instid0(VALU_DEP_1) | instskip(SKIP_1) | instid1(VALU_DEP_2)
	v_lshlrev_b64 v[2:3], v2, v[12:13]
	v_sub_nc_u32_e32 v3, 29, v5
	v_and_b32_e32 v2, 7, v2
; %bb.4796:                             ;   in Loop: Header=BB466_2335 Depth=1
	s_or_b32 exec_lo, exec_lo, s15
	v_lshlrev_b32_e32 v4, 24, v4
	s_delay_alu instid0(VALU_DEP_2) | instskip(SKIP_1) | instid1(VALU_DEP_3)
	v_lshlrev_b32_e32 v2, 20, v2
	v_lshl_add_u32 v3, v3, 23, 0x3c000000
	v_and_b32_e32 v4, 0x80000000, v4
	s_delay_alu instid0(VALU_DEP_1)
	v_or3_b32 v2, v2, v4, v3
.LBB466_4797:                           ;   in Loop: Header=BB466_2335 Depth=1
	s_or_b32 exec_lo, exec_lo, s13
.LBB466_4798:                           ;   in Loop: Header=BB466_2335 Depth=1
	s_delay_alu instid0(SALU_CYCLE_1)
	s_or_b32 exec_lo, exec_lo, s12
.LBB466_4799:                           ;   in Loop: Header=BB466_2335 Depth=1
	s_delay_alu instid0(SALU_CYCLE_1) | instskip(NEXT) | instid1(VALU_DEP_1)
	s_or_b32 exec_lo, exec_lo, s9
	v_mul_f32_e32 v3, v26, v2
	s_delay_alu instid0(VALU_DEP_1) | instskip(NEXT) | instid1(VALU_DEP_1)
	v_and_b32_e32 v2, 0x7f800000, v3
	v_cmp_ne_u32_e64 s0, 0x7f800000, v2
                                        ; implicit-def: $vgpr2
	s_delay_alu instid0(VALU_DEP_1) | instskip(NEXT) | instid1(SALU_CYCLE_1)
	s_and_saveexec_b32 s9, s0
	s_xor_b32 s0, exec_lo, s9
; %bb.4800:                             ;   in Loop: Header=BB466_2335 Depth=1
	v_bfe_u32 v2, v3, 16, 1
	s_delay_alu instid0(VALU_DEP_1)
	v_add3_u32 v2, v3, v2, 0x7fff
                                        ; implicit-def: $vgpr3
; %bb.4801:                             ;   in Loop: Header=BB466_2335 Depth=1
	s_and_not1_saveexec_b32 s9, s0
; %bb.4802:                             ;   in Loop: Header=BB466_2335 Depth=1
	v_and_b32_e32 v2, 0xffff, v3
	v_or_b32_e32 v4, 0x10000, v3
	s_delay_alu instid0(VALU_DEP_2) | instskip(NEXT) | instid1(VALU_DEP_1)
	v_cmp_eq_u32_e64 s0, 0, v2
	v_cndmask_b32_e64 v2, v4, v3, s0
; %bb.4803:                             ;   in Loop: Header=BB466_2335 Depth=1
	s_or_b32 exec_lo, exec_lo, s9
	v_lshrrev_b32_e32 v6, 16, v114
	v_lshrrev_b32_e32 v7, 16, v113
	;; [unrolled: 1-line block ×8, first 2 shown]
	s_and_saveexec_b32 s9, vcc_lo
	s_cbranch_execz .LBB466_4805
; %bb.4804:                             ;   in Loop: Header=BB466_2335 Depth=1
	v_cmp_lt_i32_e64 s0, v130, v36
	s_delay_alu instid0(VALU_DEP_1) | instskip(SKIP_1) | instid1(VALU_DEP_1)
	v_cndmask_b32_e64 v4, 0, v4, s0
	v_cmp_lt_i32_e64 s0, v133, v36
	v_cndmask_b32_e64 v102, 0, v102, s0
	v_cmp_lt_i32_e64 s0, v132, v36
	s_delay_alu instid0(VALU_DEP_1) | instskip(SKIP_1) | instid1(VALU_DEP_1)
	v_cndmask_b32_e64 v103, 0, v103, s0
	v_cmp_lt_i32_e64 s0, v131, v36
	v_cndmask_b32_e64 v12, 0, v12, s0
	;; [unrolled: 5-line block ×4, first 2 shown]
.LBB466_4805:                           ;   in Loop: Header=BB466_2335 Depth=1
	s_or_b32 exec_lo, exec_lo, s9
	v_lshlrev_b32_e32 v4, 16, v4
                                        ; implicit-def: $vgpr101
	s_delay_alu instid0(VALU_DEP_1) | instskip(NEXT) | instid1(VALU_DEP_1)
	v_mul_f32_e32 v4, v134, v4
	v_and_b32_e32 v5, 0x7f800000, v4
	s_delay_alu instid0(VALU_DEP_1) | instskip(NEXT) | instid1(VALU_DEP_1)
	v_cmp_ne_u32_e64 s0, 0x7f800000, v5
	s_and_saveexec_b32 s9, s0
	s_delay_alu instid0(SALU_CYCLE_1)
	s_xor_b32 s0, exec_lo, s9
; %bb.4806:                             ;   in Loop: Header=BB466_2335 Depth=1
	v_bfe_u32 v5, v4, 16, 1
	s_delay_alu instid0(VALU_DEP_1)
	v_add3_u32 v101, v4, v5, 0x7fff
                                        ; implicit-def: $vgpr4
; %bb.4807:                             ;   in Loop: Header=BB466_2335 Depth=1
	s_and_not1_saveexec_b32 s9, s0
; %bb.4808:                             ;   in Loop: Header=BB466_2335 Depth=1
	v_and_b32_e32 v5, 0xffff, v4
	v_or_b32_e32 v101, 0x10000, v4
	s_delay_alu instid0(VALU_DEP_2) | instskip(NEXT) | instid1(VALU_DEP_1)
	v_cmp_eq_u32_e64 s0, 0, v5
	v_cndmask_b32_e64 v101, v101, v4, s0
; %bb.4809:                             ;   in Loop: Header=BB466_2335 Depth=1
	s_or_b32 exec_lo, exec_lo, s9
	v_lshlrev_b32_e32 v4, 16, v102
                                        ; implicit-def: $vgpr102
	s_delay_alu instid0(VALU_DEP_1) | instskip(NEXT) | instid1(VALU_DEP_1)
	v_mul_f32_e32 v4, v135, v4
	v_and_b32_e32 v5, 0x7f800000, v4
	s_delay_alu instid0(VALU_DEP_1) | instskip(NEXT) | instid1(VALU_DEP_1)
	v_cmp_ne_u32_e64 s0, 0x7f800000, v5
	s_and_saveexec_b32 s9, s0
	s_delay_alu instid0(SALU_CYCLE_1)
	s_xor_b32 s0, exec_lo, s9
; %bb.4810:                             ;   in Loop: Header=BB466_2335 Depth=1
	v_bfe_u32 v5, v4, 16, 1
	s_delay_alu instid0(VALU_DEP_1)
	v_add3_u32 v102, v4, v5, 0x7fff
                                        ; implicit-def: $vgpr4
; %bb.4811:                             ;   in Loop: Header=BB466_2335 Depth=1
	s_and_not1_saveexec_b32 s9, s0
; %bb.4812:                             ;   in Loop: Header=BB466_2335 Depth=1
	v_and_b32_e32 v5, 0xffff, v4
	v_or_b32_e32 v102, 0x10000, v4
	s_delay_alu instid0(VALU_DEP_2) | instskip(NEXT) | instid1(VALU_DEP_1)
	v_cmp_eq_u32_e64 s0, 0, v5
	v_cndmask_b32_e64 v102, v102, v4, s0
; %bb.4813:                             ;   in Loop: Header=BB466_2335 Depth=1
	s_or_b32 exec_lo, exec_lo, s9
	v_lshlrev_b32_e32 v4, 16, v103
                                        ; implicit-def: $vgpr103
	s_delay_alu instid0(VALU_DEP_1) | instskip(NEXT) | instid1(VALU_DEP_1)
	v_mul_f32_e32 v4, v144, v4
	v_and_b32_e32 v5, 0x7f800000, v4
	s_delay_alu instid0(VALU_DEP_1) | instskip(NEXT) | instid1(VALU_DEP_1)
	v_cmp_ne_u32_e64 s0, 0x7f800000, v5
	s_and_saveexec_b32 s9, s0
	s_delay_alu instid0(SALU_CYCLE_1)
	s_xor_b32 s0, exec_lo, s9
; %bb.4814:                             ;   in Loop: Header=BB466_2335 Depth=1
	v_bfe_u32 v5, v4, 16, 1
	s_delay_alu instid0(VALU_DEP_1)
	v_add3_u32 v103, v4, v5, 0x7fff
                                        ; implicit-def: $vgpr4
; %bb.4815:                             ;   in Loop: Header=BB466_2335 Depth=1
	s_and_not1_saveexec_b32 s9, s0
; %bb.4816:                             ;   in Loop: Header=BB466_2335 Depth=1
	v_and_b32_e32 v5, 0xffff, v4
	v_or_b32_e32 v103, 0x10000, v4
	s_delay_alu instid0(VALU_DEP_2) | instskip(NEXT) | instid1(VALU_DEP_1)
	v_cmp_eq_u32_e64 s0, 0, v5
	v_cndmask_b32_e64 v103, v103, v4, s0
; %bb.4817:                             ;   in Loop: Header=BB466_2335 Depth=1
	s_or_b32 exec_lo, exec_lo, s9
	v_lshlrev_b32_e32 v4, 16, v12
                                        ; implicit-def: $vgpr112
	s_delay_alu instid0(VALU_DEP_1) | instskip(NEXT) | instid1(VALU_DEP_1)
	v_mul_f32_e32 v4, v145, v4
	v_and_b32_e32 v5, 0x7f800000, v4
	s_delay_alu instid0(VALU_DEP_1) | instskip(NEXT) | instid1(VALU_DEP_1)
	v_cmp_ne_u32_e64 s0, 0x7f800000, v5
	s_and_saveexec_b32 s9, s0
	s_delay_alu instid0(SALU_CYCLE_1)
	s_xor_b32 s0, exec_lo, s9
; %bb.4818:                             ;   in Loop: Header=BB466_2335 Depth=1
	v_bfe_u32 v5, v4, 16, 1
	s_delay_alu instid0(VALU_DEP_1)
	v_add3_u32 v112, v4, v5, 0x7fff
                                        ; implicit-def: $vgpr4
; %bb.4819:                             ;   in Loop: Header=BB466_2335 Depth=1
	s_and_not1_saveexec_b32 s9, s0
; %bb.4820:                             ;   in Loop: Header=BB466_2335 Depth=1
	v_and_b32_e32 v5, 0xffff, v4
	v_or_b32_e32 v12, 0x10000, v4
	s_delay_alu instid0(VALU_DEP_2) | instskip(NEXT) | instid1(VALU_DEP_1)
	v_cmp_eq_u32_e64 s0, 0, v5
	v_cndmask_b32_e64 v112, v12, v4, s0
; %bb.4821:                             ;   in Loop: Header=BB466_2335 Depth=1
	s_or_b32 exec_lo, exec_lo, s9
	v_lshlrev_b32_e32 v4, 16, v7
                                        ; implicit-def: $vgpr113
	s_delay_alu instid0(VALU_DEP_1) | instskip(NEXT) | instid1(VALU_DEP_1)
	v_mul_f32_e32 v4, v146, v4
	v_and_b32_e32 v5, 0x7f800000, v4
	s_delay_alu instid0(VALU_DEP_1) | instskip(NEXT) | instid1(VALU_DEP_1)
	v_cmp_ne_u32_e64 s0, 0x7f800000, v5
	s_and_saveexec_b32 s9, s0
	s_delay_alu instid0(SALU_CYCLE_1)
	s_xor_b32 s0, exec_lo, s9
; %bb.4822:                             ;   in Loop: Header=BB466_2335 Depth=1
	v_bfe_u32 v5, v4, 16, 1
	s_delay_alu instid0(VALU_DEP_1)
	v_add3_u32 v113, v4, v5, 0x7fff
                                        ; implicit-def: $vgpr4
; %bb.4823:                             ;   in Loop: Header=BB466_2335 Depth=1
	s_and_not1_saveexec_b32 s9, s0
; %bb.4824:                             ;   in Loop: Header=BB466_2335 Depth=1
	v_and_b32_e32 v5, 0xffff, v4
	v_or_b32_e32 v7, 0x10000, v4
	s_delay_alu instid0(VALU_DEP_2) | instskip(NEXT) | instid1(VALU_DEP_1)
	v_cmp_eq_u32_e64 s0, 0, v5
	v_cndmask_b32_e64 v113, v7, v4, s0
; %bb.4825:                             ;   in Loop: Header=BB466_2335 Depth=1
	s_or_b32 exec_lo, exec_lo, s9
	v_lshlrev_b32_e32 v4, 16, v6
                                        ; implicit-def: $vgpr114
	s_delay_alu instid0(VALU_DEP_1) | instskip(NEXT) | instid1(VALU_DEP_1)
	v_mul_f32_e32 v4, v147, v4
	v_and_b32_e32 v5, 0x7f800000, v4
	s_delay_alu instid0(VALU_DEP_1) | instskip(NEXT) | instid1(VALU_DEP_1)
	v_cmp_ne_u32_e64 s0, 0x7f800000, v5
	s_and_saveexec_b32 s9, s0
	s_delay_alu instid0(SALU_CYCLE_1)
	s_xor_b32 s0, exec_lo, s9
; %bb.4826:                             ;   in Loop: Header=BB466_2335 Depth=1
	v_bfe_u32 v5, v4, 16, 1
	s_delay_alu instid0(VALU_DEP_1)
	v_add3_u32 v114, v4, v5, 0x7fff
                                        ; implicit-def: $vgpr4
; %bb.4827:                             ;   in Loop: Header=BB466_2335 Depth=1
	s_and_not1_saveexec_b32 s9, s0
; %bb.4828:                             ;   in Loop: Header=BB466_2335 Depth=1
	v_and_b32_e32 v5, 0xffff, v4
	v_or_b32_e32 v6, 0x10000, v4
	s_delay_alu instid0(VALU_DEP_2) | instskip(NEXT) | instid1(VALU_DEP_1)
	v_cmp_eq_u32_e64 s0, 0, v5
	v_cndmask_b32_e64 v114, v6, v4, s0
; %bb.4829:                             ;   in Loop: Header=BB466_2335 Depth=1
	s_or_b32 exec_lo, exec_lo, s9
	v_lshlrev_b32_e32 v3, 16, v3
                                        ; implicit-def: $vgpr115
	s_delay_alu instid0(VALU_DEP_1) | instskip(NEXT) | instid1(VALU_DEP_1)
	v_mul_f32_e32 v3, v148, v3
	v_and_b32_e32 v4, 0x7f800000, v3
	s_delay_alu instid0(VALU_DEP_1) | instskip(NEXT) | instid1(VALU_DEP_1)
	v_cmp_ne_u32_e64 s0, 0x7f800000, v4
	s_and_saveexec_b32 s9, s0
	s_delay_alu instid0(SALU_CYCLE_1)
	s_xor_b32 s0, exec_lo, s9
; %bb.4830:                             ;   in Loop: Header=BB466_2335 Depth=1
	v_bfe_u32 v4, v3, 16, 1
	s_delay_alu instid0(VALU_DEP_1)
	v_add3_u32 v115, v3, v4, 0x7fff
                                        ; implicit-def: $vgpr3
; %bb.4831:                             ;   in Loop: Header=BB466_2335 Depth=1
	s_and_not1_saveexec_b32 s9, s0
; %bb.4832:                             ;   in Loop: Header=BB466_2335 Depth=1
	v_and_b32_e32 v4, 0xffff, v3
	v_or_b32_e32 v5, 0x10000, v3
	s_delay_alu instid0(VALU_DEP_2) | instskip(NEXT) | instid1(VALU_DEP_1)
	v_cmp_eq_u32_e64 s0, 0, v4
	v_cndmask_b32_e64 v115, v5, v3, s0
; %bb.4833:                             ;   in Loop: Header=BB466_2335 Depth=1
	s_or_b32 exec_lo, exec_lo, s9
	v_lshlrev_b32_e32 v2, 16, v2
                                        ; implicit-def: $vgpr116
	s_delay_alu instid0(VALU_DEP_1) | instskip(NEXT) | instid1(VALU_DEP_1)
	v_mul_f32_e32 v2, v149, v2
	v_and_b32_e32 v3, 0x7f800000, v2
	s_delay_alu instid0(VALU_DEP_1) | instskip(NEXT) | instid1(VALU_DEP_1)
	v_cmp_ne_u32_e64 s0, 0x7f800000, v3
	s_and_saveexec_b32 s9, s0
	s_delay_alu instid0(SALU_CYCLE_1)
	s_xor_b32 s0, exec_lo, s9
; %bb.4834:                             ;   in Loop: Header=BB466_2335 Depth=1
	v_bfe_u32 v3, v2, 16, 1
	s_delay_alu instid0(VALU_DEP_1)
	v_add3_u32 v116, v2, v3, 0x7fff
                                        ; implicit-def: $vgpr2
; %bb.4835:                             ;   in Loop: Header=BB466_2335 Depth=1
	s_and_not1_saveexec_b32 s9, s0
; %bb.4836:                             ;   in Loop: Header=BB466_2335 Depth=1
	v_and_b32_e32 v3, 0xffff, v2
	v_or_b32_e32 v4, 0x10000, v2
	s_delay_alu instid0(VALU_DEP_2) | instskip(NEXT) | instid1(VALU_DEP_1)
	v_cmp_eq_u32_e64 s0, 0, v3
	v_cndmask_b32_e64 v116, v4, v2, s0
; %bb.4837:                             ;   in Loop: Header=BB466_2335 Depth=1
	s_or_b32 exec_lo, exec_lo, s9
	scratch_load_b32 v2, off, s32 offset:568 ; 4-byte Folded Reload
	s_mov_b32 s9, exec_lo
	v_mov_b32_e32 v4, 0
	s_waitcnt vmcnt(0)
	v_add_co_u32 v2, s0, v0, v2
	s_delay_alu instid0(VALU_DEP_1) | instskip(SKIP_3) | instid1(VALU_DEP_1)
	v_add_co_ci_u32_e64 v3, s0, 0, v1, s0
	flat_load_b64 v[2:3], v[2:3]
	s_waitcnt vmcnt(0) lgkmcnt(0)
	v_and_b32_e32 v5, 0xff, v2
	v_cmpx_ne_u16_e32 0, v5
	s_cbranch_execz .LBB466_4845
; %bb.4838:                             ;   in Loop: Header=BB466_2335 Depth=1
	v_bfrev_b32_e32 v4, 1
	s_mov_b32 s12, exec_lo
	v_cmpx_ne_u16_e32 0x80, v5
	s_cbranch_execz .LBB466_4844
; %bb.4839:                             ;   in Loop: Header=BB466_2335 Depth=1
	v_and_b32_e32 v5, 0x7f, v2
	v_mov_b32_e32 v4, 0x7f800001
	s_mov_b32 s13, exec_lo
	s_delay_alu instid0(VALU_DEP_2)
	v_cmpx_ne_u32_e32 0x7f, v5
	s_cbranch_execz .LBB466_4843
; %bb.4840:                             ;   in Loop: Header=BB466_2335 Depth=1
	v_lshrrev_b32_e32 v4, 3, v5
	v_dual_mov_b32 v7, v3 :: v_dual_mov_b32 v6, v2
	s_mov_b32 s15, exec_lo
	v_cmpx_gt_u32_e32 8, v5
; %bb.4841:                             ;   in Loop: Header=BB466_2335 Depth=1
	v_and_b32_e32 v4, 7, v2
	s_delay_alu instid0(VALU_DEP_1) | instskip(NEXT) | instid1(VALU_DEP_1)
	v_clz_i32_u32_e32 v4, v4
	v_min_u32_e32 v4, 32, v4
	s_delay_alu instid0(VALU_DEP_1) | instskip(SKIP_1) | instid1(VALU_DEP_2)
	v_subrev_nc_u32_e32 v5, 28, v4
	v_sub_nc_u32_e32 v4, 29, v4
	v_lshlrev_b64 v[6:7], v5, v[2:3]
; %bb.4842:                             ;   in Loop: Header=BB466_2335 Depth=1
	s_or_b32 exec_lo, exec_lo, s15
	s_delay_alu instid0(VALU_DEP_1) | instskip(SKIP_2) | instid1(VALU_DEP_3)
	v_lshlrev_b32_e32 v5, 20, v6
	v_lshlrev_b32_e32 v6, 24, v2
	v_lshl_add_u32 v4, v4, 23, 0x3c000000
	v_and_b32_e32 v5, 0x700000, v5
	s_delay_alu instid0(VALU_DEP_3) | instskip(NEXT) | instid1(VALU_DEP_1)
	v_and_b32_e32 v6, 0x80000000, v6
	v_or3_b32 v4, v5, v6, v4
.LBB466_4843:                           ;   in Loop: Header=BB466_2335 Depth=1
	s_or_b32 exec_lo, exec_lo, s13
.LBB466_4844:                           ;   in Loop: Header=BB466_2335 Depth=1
	s_delay_alu instid0(SALU_CYCLE_1)
	s_or_b32 exec_lo, exec_lo, s12
.LBB466_4845:                           ;   in Loop: Header=BB466_2335 Depth=1
	s_delay_alu instid0(SALU_CYCLE_1) | instskip(NEXT) | instid1(VALU_DEP_1)
	s_or_b32 exec_lo, exec_lo, s9
	v_mul_f32_e32 v4, v26, v4
                                        ; implicit-def: $vgpr117
	s_delay_alu instid0(VALU_DEP_1) | instskip(NEXT) | instid1(VALU_DEP_1)
	v_and_b32_e32 v5, 0x7f800000, v4
	v_cmp_ne_u32_e64 s0, 0x7f800000, v5
	s_delay_alu instid0(VALU_DEP_1) | instskip(NEXT) | instid1(SALU_CYCLE_1)
	s_and_saveexec_b32 s9, s0
	s_xor_b32 s0, exec_lo, s9
; %bb.4846:                             ;   in Loop: Header=BB466_2335 Depth=1
	v_bfe_u32 v5, v4, 16, 1
	s_delay_alu instid0(VALU_DEP_1)
	v_add3_u32 v117, v4, v5, 0x7fff
                                        ; implicit-def: $vgpr4
; %bb.4847:                             ;   in Loop: Header=BB466_2335 Depth=1
	s_and_not1_saveexec_b32 s9, s0
; %bb.4848:                             ;   in Loop: Header=BB466_2335 Depth=1
	v_and_b32_e32 v5, 0xffff, v4
	v_or_b32_e32 v6, 0x10000, v4
	s_delay_alu instid0(VALU_DEP_2) | instskip(NEXT) | instid1(VALU_DEP_1)
	v_cmp_eq_u32_e64 s0, 0, v5
	v_cndmask_b32_e64 v117, v6, v4, s0
; %bb.4849:                             ;   in Loop: Header=BB466_2335 Depth=1
	s_or_b32 exec_lo, exec_lo, s9
	v_lshrrev_b16 v5, 8, v2
	v_mov_b32_e32 v4, 0
	s_mov_b32 s9, exec_lo
	s_delay_alu instid0(VALU_DEP_2)
	v_cmpx_ne_u16_e32 0, v5
	s_cbranch_execz .LBB466_4857
; %bb.4850:                             ;   in Loop: Header=BB466_2335 Depth=1
	v_bfrev_b32_e32 v4, 1
	s_mov_b32 s12, exec_lo
	v_cmpx_ne_u16_e32 0x80, v5
	s_cbranch_execz .LBB466_4856
; %bb.4851:                             ;   in Loop: Header=BB466_2335 Depth=1
	v_and_b32_e32 v5, 0xffff, v5
	v_mov_b32_e32 v4, 0x7f800001
	s_mov_b32 s13, exec_lo
	s_delay_alu instid0(VALU_DEP_2) | instskip(NEXT) | instid1(VALU_DEP_1)
	v_and_b32_e32 v118, 0x7f, v5
	v_cmpx_ne_u32_e32 0x7f, v118
	s_cbranch_execz .LBB466_4855
; %bb.4852:                             ;   in Loop: Header=BB466_2335 Depth=1
	v_and_b32_e32 v12, 7, v5
	v_lshrrev_b32_e32 v4, 3, v118
	s_mov_b32 s15, exec_lo
	s_delay_alu instid0(VALU_DEP_2)
	v_dual_mov_b32 v6, v12 :: v_dual_mov_b32 v7, v13
	v_cmpx_gt_u32_e32 8, v118
; %bb.4853:                             ;   in Loop: Header=BB466_2335 Depth=1
	v_clz_i32_u32_e32 v4, v12
	s_delay_alu instid0(VALU_DEP_1) | instskip(NEXT) | instid1(VALU_DEP_1)
	v_min_u32_e32 v4, 32, v4
	v_subrev_nc_u32_e32 v5, 28, v4
	v_sub_nc_u32_e32 v4, 29, v4
	s_delay_alu instid0(VALU_DEP_2) | instskip(NEXT) | instid1(VALU_DEP_1)
	v_lshlrev_b64 v[5:6], v5, v[12:13]
	v_and_b32_e32 v6, 7, v5
; %bb.4854:                             ;   in Loop: Header=BB466_2335 Depth=1
	s_or_b32 exec_lo, exec_lo, s15
	v_lshlrev_b32_e32 v5, 16, v2
	s_delay_alu instid0(VALU_DEP_2) | instskip(SKIP_1) | instid1(VALU_DEP_3)
	v_lshlrev_b32_e32 v6, 20, v6
	v_lshl_add_u32 v4, v4, 23, 0x3c000000
	v_and_b32_e32 v5, 0x80000000, v5
	s_delay_alu instid0(VALU_DEP_1)
	v_or3_b32 v4, v6, v5, v4
.LBB466_4855:                           ;   in Loop: Header=BB466_2335 Depth=1
	s_or_b32 exec_lo, exec_lo, s13
.LBB466_4856:                           ;   in Loop: Header=BB466_2335 Depth=1
	s_delay_alu instid0(SALU_CYCLE_1)
	s_or_b32 exec_lo, exec_lo, s12
.LBB466_4857:                           ;   in Loop: Header=BB466_2335 Depth=1
	s_delay_alu instid0(SALU_CYCLE_1) | instskip(NEXT) | instid1(VALU_DEP_1)
	s_or_b32 exec_lo, exec_lo, s9
	v_mul_f32_e32 v4, v26, v4
                                        ; implicit-def: $vgpr118
	s_delay_alu instid0(VALU_DEP_1) | instskip(NEXT) | instid1(VALU_DEP_1)
	v_and_b32_e32 v5, 0x7f800000, v4
	v_cmp_ne_u32_e64 s0, 0x7f800000, v5
	s_delay_alu instid0(VALU_DEP_1) | instskip(NEXT) | instid1(SALU_CYCLE_1)
	s_and_saveexec_b32 s9, s0
	s_xor_b32 s0, exec_lo, s9
; %bb.4858:                             ;   in Loop: Header=BB466_2335 Depth=1
	v_bfe_u32 v5, v4, 16, 1
	s_delay_alu instid0(VALU_DEP_1)
	v_add3_u32 v118, v4, v5, 0x7fff
                                        ; implicit-def: $vgpr4
; %bb.4859:                             ;   in Loop: Header=BB466_2335 Depth=1
	s_and_not1_saveexec_b32 s9, s0
; %bb.4860:                             ;   in Loop: Header=BB466_2335 Depth=1
	v_and_b32_e32 v5, 0xffff, v4
	v_or_b32_e32 v6, 0x10000, v4
	s_delay_alu instid0(VALU_DEP_2) | instskip(NEXT) | instid1(VALU_DEP_1)
	v_cmp_eq_u32_e64 s0, 0, v5
	v_cndmask_b32_e64 v118, v6, v4, s0
; %bb.4861:                             ;   in Loop: Header=BB466_2335 Depth=1
	s_or_b32 exec_lo, exec_lo, s9
	v_lshrrev_b32_e32 v150, 16, v2
	s_mov_b32 s9, exec_lo
	s_delay_alu instid0(VALU_DEP_1) | instskip(NEXT) | instid1(VALU_DEP_1)
	v_dual_mov_b32 v4, 0 :: v_dual_and_b32 v5, 0xff, v150
	v_cmpx_ne_u16_e32 0, v5
	s_cbranch_execz .LBB466_4869
; %bb.4862:                             ;   in Loop: Header=BB466_2335 Depth=1
	v_bfrev_b32_e32 v4, 1
	s_mov_b32 s12, exec_lo
	v_cmpx_ne_u16_e32 0x80, v5
	s_cbranch_execz .LBB466_4868
; %bb.4863:                             ;   in Loop: Header=BB466_2335 Depth=1
	v_bfe_u32 v151, v2, 16, 7
	v_mov_b32_e32 v4, 0x7f800001
	s_mov_b32 s13, exec_lo
	s_delay_alu instid0(VALU_DEP_2)
	v_cmpx_ne_u32_e32 0x7f, v151
	s_cbranch_execz .LBB466_4867
; %bb.4864:                             ;   in Loop: Header=BB466_2335 Depth=1
	v_and_b32_e32 v12, 7, v150
	v_lshrrev_b32_e32 v4, 3, v151
	s_mov_b32 s15, exec_lo
	s_delay_alu instid0(VALU_DEP_2)
	v_dual_mov_b32 v6, v12 :: v_dual_mov_b32 v7, v13
	v_cmpx_gt_u32_e32 8, v151
; %bb.4865:                             ;   in Loop: Header=BB466_2335 Depth=1
	v_clz_i32_u32_e32 v4, v12
	s_delay_alu instid0(VALU_DEP_1) | instskip(NEXT) | instid1(VALU_DEP_1)
	v_min_u32_e32 v4, 32, v4
	v_subrev_nc_u32_e32 v5, 28, v4
	v_sub_nc_u32_e32 v4, 29, v4
	s_delay_alu instid0(VALU_DEP_2) | instskip(NEXT) | instid1(VALU_DEP_1)
	v_lshlrev_b64 v[5:6], v5, v[12:13]
	v_and_b32_e32 v6, 7, v5
; %bb.4866:                             ;   in Loop: Header=BB466_2335 Depth=1
	s_or_b32 exec_lo, exec_lo, s15
	v_lshlrev_b32_e32 v5, 24, v150
	s_delay_alu instid0(VALU_DEP_2) | instskip(SKIP_1) | instid1(VALU_DEP_3)
	v_lshlrev_b32_e32 v6, 20, v6
	v_lshl_add_u32 v4, v4, 23, 0x3c000000
	v_and_b32_e32 v5, 0x80000000, v5
	s_delay_alu instid0(VALU_DEP_1)
	v_or3_b32 v4, v6, v5, v4
.LBB466_4867:                           ;   in Loop: Header=BB466_2335 Depth=1
	s_or_b32 exec_lo, exec_lo, s13
.LBB466_4868:                           ;   in Loop: Header=BB466_2335 Depth=1
	s_delay_alu instid0(SALU_CYCLE_1)
	s_or_b32 exec_lo, exec_lo, s12
.LBB466_4869:                           ;   in Loop: Header=BB466_2335 Depth=1
	s_delay_alu instid0(SALU_CYCLE_1) | instskip(NEXT) | instid1(VALU_DEP_1)
	s_or_b32 exec_lo, exec_lo, s9
	v_mul_f32_e32 v4, v26, v4
                                        ; implicit-def: $vgpr150
	s_delay_alu instid0(VALU_DEP_1) | instskip(NEXT) | instid1(VALU_DEP_1)
	v_and_b32_e32 v5, 0x7f800000, v4
	v_cmp_ne_u32_e64 s0, 0x7f800000, v5
	s_delay_alu instid0(VALU_DEP_1) | instskip(NEXT) | instid1(SALU_CYCLE_1)
	s_and_saveexec_b32 s9, s0
	s_xor_b32 s0, exec_lo, s9
; %bb.4870:                             ;   in Loop: Header=BB466_2335 Depth=1
	v_bfe_u32 v5, v4, 16, 1
	s_delay_alu instid0(VALU_DEP_1)
	v_add3_u32 v150, v4, v5, 0x7fff
                                        ; implicit-def: $vgpr4
; %bb.4871:                             ;   in Loop: Header=BB466_2335 Depth=1
	s_and_not1_saveexec_b32 s9, s0
; %bb.4872:                             ;   in Loop: Header=BB466_2335 Depth=1
	v_and_b32_e32 v5, 0xffff, v4
	v_or_b32_e32 v6, 0x10000, v4
	s_delay_alu instid0(VALU_DEP_2) | instskip(NEXT) | instid1(VALU_DEP_1)
	v_cmp_eq_u32_e64 s0, 0, v5
	v_cndmask_b32_e64 v150, v6, v4, s0
; %bb.4873:                             ;   in Loop: Header=BB466_2335 Depth=1
	s_or_b32 exec_lo, exec_lo, s9
	v_mov_b32_e32 v6, 0
	s_mov_b32 s9, exec_lo
	v_cmpx_lt_u32_e32 0xffffff, v2
	s_cbranch_execz .LBB466_4881
; %bb.4874:                             ;   in Loop: Header=BB466_2335 Depth=1
	v_lshrrev_b32_e32 v4, 24, v2
	v_bfrev_b32_e32 v6, 1
	s_mov_b32 s12, exec_lo
	s_delay_alu instid0(VALU_DEP_2)
	v_cmpx_ne_u32_e32 0x80, v4
	s_cbranch_execz .LBB466_4880
; %bb.4875:                             ;   in Loop: Header=BB466_2335 Depth=1
	v_bfe_u32 v151, v2, 24, 7
	v_mov_b32_e32 v6, 0x7f800001
	s_mov_b32 s13, exec_lo
	s_delay_alu instid0(VALU_DEP_2)
	v_cmpx_ne_u32_e32 0x7f, v151
	s_cbranch_execz .LBB466_4879
; %bb.4876:                             ;   in Loop: Header=BB466_2335 Depth=1
	v_and_b32_e32 v12, 7, v4
	s_mov_b32 s15, exec_lo
	s_delay_alu instid0(VALU_DEP_1)
	v_dual_mov_b32 v6, v12 :: v_dual_mov_b32 v7, v13
	v_lshrrev_b32_e32 v7, 3, v151
	v_cmpx_gt_u32_e32 8, v151
; %bb.4877:                             ;   in Loop: Header=BB466_2335 Depth=1
	v_clz_i32_u32_e32 v5, v12
	s_delay_alu instid0(VALU_DEP_1) | instskip(NEXT) | instid1(VALU_DEP_1)
	v_min_u32_e32 v7, 32, v5
	v_subrev_nc_u32_e32 v5, 28, v7
	v_sub_nc_u32_e32 v7, 29, v7
	s_delay_alu instid0(VALU_DEP_2) | instskip(NEXT) | instid1(VALU_DEP_1)
	v_lshlrev_b64 v[5:6], v5, v[12:13]
	v_and_b32_e32 v6, 7, v5
; %bb.4878:                             ;   in Loop: Header=BB466_2335 Depth=1
	s_or_b32 exec_lo, exec_lo, s15
	v_lshlrev_b32_e32 v4, 24, v4
	s_delay_alu instid0(VALU_DEP_2) | instskip(SKIP_1) | instid1(VALU_DEP_3)
	v_lshlrev_b32_e32 v5, 20, v6
	v_lshl_add_u32 v6, v7, 23, 0x3c000000
	v_and_b32_e32 v4, 0x80000000, v4
	s_delay_alu instid0(VALU_DEP_1)
	v_or3_b32 v6, v5, v4, v6
.LBB466_4879:                           ;   in Loop: Header=BB466_2335 Depth=1
	s_or_b32 exec_lo, exec_lo, s13
.LBB466_4880:                           ;   in Loop: Header=BB466_2335 Depth=1
	s_delay_alu instid0(SALU_CYCLE_1)
	s_or_b32 exec_lo, exec_lo, s12
.LBB466_4881:                           ;   in Loop: Header=BB466_2335 Depth=1
	s_delay_alu instid0(SALU_CYCLE_1) | instskip(NEXT) | instid1(VALU_DEP_1)
	s_or_b32 exec_lo, exec_lo, s9
	v_mul_f32_e32 v4, v26, v6
                                        ; implicit-def: $vgpr151
	s_delay_alu instid0(VALU_DEP_1) | instskip(NEXT) | instid1(VALU_DEP_1)
	v_and_b32_e32 v5, 0x7f800000, v4
	v_cmp_ne_u32_e64 s0, 0x7f800000, v5
	s_delay_alu instid0(VALU_DEP_1) | instskip(NEXT) | instid1(SALU_CYCLE_1)
	s_and_saveexec_b32 s9, s0
	s_xor_b32 s0, exec_lo, s9
; %bb.4882:                             ;   in Loop: Header=BB466_2335 Depth=1
	v_bfe_u32 v5, v4, 16, 1
	s_delay_alu instid0(VALU_DEP_1)
	v_add3_u32 v151, v4, v5, 0x7fff
                                        ; implicit-def: $vgpr4
; %bb.4883:                             ;   in Loop: Header=BB466_2335 Depth=1
	s_and_not1_saveexec_b32 s9, s0
; %bb.4884:                             ;   in Loop: Header=BB466_2335 Depth=1
	v_and_b32_e32 v5, 0xffff, v4
	v_or_b32_e32 v6, 0x10000, v4
	s_delay_alu instid0(VALU_DEP_2) | instskip(NEXT) | instid1(VALU_DEP_1)
	v_cmp_eq_u32_e64 s0, 0, v5
	v_cndmask_b32_e64 v151, v6, v4, s0
; %bb.4885:                             ;   in Loop: Header=BB466_2335 Depth=1
	s_or_b32 exec_lo, exec_lo, s9
	v_dual_mov_b32 v12, v3 :: v_dual_and_b32 v5, 0xff, v3
	v_mov_b32_e32 v4, 0
	s_mov_b32 s9, exec_lo
	s_delay_alu instid0(VALU_DEP_2)
	v_cmpx_ne_u16_e32 0, v5
	s_cbranch_execz .LBB466_4893
; %bb.4886:                             ;   in Loop: Header=BB466_2335 Depth=1
	v_bfrev_b32_e32 v4, 1
	s_mov_b32 s12, exec_lo
	v_cmpx_ne_u16_e32 0x80, v5
	s_cbranch_execz .LBB466_4892
; %bb.4887:                             ;   in Loop: Header=BB466_2335 Depth=1
	v_and_b32_e32 v5, 0x7f, v3
	v_mov_b32_e32 v4, 0x7f800001
	s_mov_b32 s13, exec_lo
	s_delay_alu instid0(VALU_DEP_2)
	v_cmpx_ne_u32_e32 0x7f, v5
	s_cbranch_execz .LBB466_4891
; %bb.4888:                             ;   in Loop: Header=BB466_2335 Depth=1
	v_dual_mov_b32 v6, v12 :: v_dual_mov_b32 v7, v13
	v_lshrrev_b32_e32 v4, 3, v5
	s_mov_b32 s15, exec_lo
	v_cmpx_gt_u32_e32 8, v5
; %bb.4889:                             ;   in Loop: Header=BB466_2335 Depth=1
	v_and_b32_e32 v4, 7, v3
	s_delay_alu instid0(VALU_DEP_1) | instskip(NEXT) | instid1(VALU_DEP_1)
	v_clz_i32_u32_e32 v4, v4
	v_min_u32_e32 v4, 32, v4
	s_delay_alu instid0(VALU_DEP_1) | instskip(SKIP_1) | instid1(VALU_DEP_2)
	v_subrev_nc_u32_e32 v5, 28, v4
	v_sub_nc_u32_e32 v4, 29, v4
	v_lshlrev_b64 v[6:7], v5, v[12:13]
; %bb.4890:                             ;   in Loop: Header=BB466_2335 Depth=1
	s_or_b32 exec_lo, exec_lo, s15
	s_delay_alu instid0(VALU_DEP_1) | instskip(SKIP_2) | instid1(VALU_DEP_3)
	v_lshlrev_b32_e32 v5, 20, v6
	v_lshlrev_b32_e32 v6, 24, v12
	v_lshl_add_u32 v4, v4, 23, 0x3c000000
	v_and_b32_e32 v5, 0x700000, v5
	s_delay_alu instid0(VALU_DEP_3) | instskip(NEXT) | instid1(VALU_DEP_1)
	v_and_b32_e32 v6, 0x80000000, v6
	v_or3_b32 v4, v5, v6, v4
.LBB466_4891:                           ;   in Loop: Header=BB466_2335 Depth=1
	s_or_b32 exec_lo, exec_lo, s13
.LBB466_4892:                           ;   in Loop: Header=BB466_2335 Depth=1
	s_delay_alu instid0(SALU_CYCLE_1)
	s_or_b32 exec_lo, exec_lo, s12
.LBB466_4893:                           ;   in Loop: Header=BB466_2335 Depth=1
	s_delay_alu instid0(SALU_CYCLE_1) | instskip(NEXT) | instid1(VALU_DEP_1)
	s_or_b32 exec_lo, exec_lo, s9
	v_mul_f32_e32 v4, v26, v4
                                        ; implicit-def: $vgpr160
	s_delay_alu instid0(VALU_DEP_1) | instskip(NEXT) | instid1(VALU_DEP_1)
	v_and_b32_e32 v5, 0x7f800000, v4
	v_cmp_ne_u32_e64 s0, 0x7f800000, v5
	s_delay_alu instid0(VALU_DEP_1) | instskip(NEXT) | instid1(SALU_CYCLE_1)
	s_and_saveexec_b32 s9, s0
	s_xor_b32 s0, exec_lo, s9
; %bb.4894:                             ;   in Loop: Header=BB466_2335 Depth=1
	v_bfe_u32 v5, v4, 16, 1
	s_delay_alu instid0(VALU_DEP_1)
	v_add3_u32 v160, v4, v5, 0x7fff
                                        ; implicit-def: $vgpr4
; %bb.4895:                             ;   in Loop: Header=BB466_2335 Depth=1
	s_and_not1_saveexec_b32 s9, s0
; %bb.4896:                             ;   in Loop: Header=BB466_2335 Depth=1
	v_and_b32_e32 v5, 0xffff, v4
	v_or_b32_e32 v6, 0x10000, v4
	s_delay_alu instid0(VALU_DEP_2) | instskip(NEXT) | instid1(VALU_DEP_1)
	v_cmp_eq_u32_e64 s0, 0, v5
	v_cndmask_b32_e64 v160, v6, v4, s0
; %bb.4897:                             ;   in Loop: Header=BB466_2335 Depth=1
	s_or_b32 exec_lo, exec_lo, s9
	v_lshrrev_b16 v5, 8, v12
	v_mov_b32_e32 v4, 0
	s_mov_b32 s9, exec_lo
	s_delay_alu instid0(VALU_DEP_2)
	v_cmpx_ne_u16_e32 0, v5
	s_cbranch_execz .LBB466_4905
; %bb.4898:                             ;   in Loop: Header=BB466_2335 Depth=1
	v_bfrev_b32_e32 v4, 1
	s_mov_b32 s12, exec_lo
	v_cmpx_ne_u16_e32 0x80, v5
	s_cbranch_execz .LBB466_4904
; %bb.4899:                             ;   in Loop: Header=BB466_2335 Depth=1
	v_and_b32_e32 v6, 0xffff, v5
	v_mov_b32_e32 v4, 0x7f800001
	s_mov_b32 s13, exec_lo
	s_delay_alu instid0(VALU_DEP_2) | instskip(NEXT) | instid1(VALU_DEP_1)
	v_and_b32_e32 v5, 0x7f, v6
	v_cmpx_ne_u32_e32 0x7f, v5
	s_cbranch_execz .LBB466_4903
; %bb.4900:                             ;   in Loop: Header=BB466_2335 Depth=1
	v_dual_mov_b32 v7, v13 :: v_dual_and_b32 v6, 7, v6
	v_lshrrev_b32_e32 v4, 3, v5
	s_mov_b32 s15, exec_lo
	v_cmpx_gt_u32_e32 8, v5
; %bb.4901:                             ;   in Loop: Header=BB466_2335 Depth=1
	s_delay_alu instid0(VALU_DEP_3) | instskip(NEXT) | instid1(VALU_DEP_1)
	v_clz_i32_u32_e32 v4, v6
	v_min_u32_e32 v4, 32, v4
	s_delay_alu instid0(VALU_DEP_1) | instskip(SKIP_1) | instid1(VALU_DEP_2)
	v_subrev_nc_u32_e32 v5, 28, v4
	v_sub_nc_u32_e32 v4, 29, v4
	v_lshlrev_b64 v[5:6], v5, v[6:7]
	s_delay_alu instid0(VALU_DEP_1)
	v_and_b32_e32 v6, 7, v5
; %bb.4902:                             ;   in Loop: Header=BB466_2335 Depth=1
	s_or_b32 exec_lo, exec_lo, s15
	v_lshlrev_b32_e32 v5, 16, v12
	s_delay_alu instid0(VALU_DEP_2) | instskip(SKIP_1) | instid1(VALU_DEP_3)
	v_lshlrev_b32_e32 v6, 20, v6
	v_lshl_add_u32 v4, v4, 23, 0x3c000000
	v_and_b32_e32 v5, 0x80000000, v5
	s_delay_alu instid0(VALU_DEP_1)
	v_or3_b32 v4, v6, v5, v4
.LBB466_4903:                           ;   in Loop: Header=BB466_2335 Depth=1
	s_or_b32 exec_lo, exec_lo, s13
.LBB466_4904:                           ;   in Loop: Header=BB466_2335 Depth=1
	s_delay_alu instid0(SALU_CYCLE_1)
	s_or_b32 exec_lo, exec_lo, s12
.LBB466_4905:                           ;   in Loop: Header=BB466_2335 Depth=1
	s_delay_alu instid0(SALU_CYCLE_1) | instskip(NEXT) | instid1(VALU_DEP_1)
	s_or_b32 exec_lo, exec_lo, s9
	v_mul_f32_e32 v4, v26, v4
                                        ; implicit-def: $vgpr161
	s_delay_alu instid0(VALU_DEP_1) | instskip(NEXT) | instid1(VALU_DEP_1)
	v_and_b32_e32 v5, 0x7f800000, v4
	v_cmp_ne_u32_e64 s0, 0x7f800000, v5
	s_delay_alu instid0(VALU_DEP_1) | instskip(NEXT) | instid1(SALU_CYCLE_1)
	s_and_saveexec_b32 s9, s0
	s_xor_b32 s0, exec_lo, s9
; %bb.4906:                             ;   in Loop: Header=BB466_2335 Depth=1
	v_bfe_u32 v5, v4, 16, 1
	s_delay_alu instid0(VALU_DEP_1)
	v_add3_u32 v161, v4, v5, 0x7fff
                                        ; implicit-def: $vgpr4
; %bb.4907:                             ;   in Loop: Header=BB466_2335 Depth=1
	s_and_not1_saveexec_b32 s9, s0
; %bb.4908:                             ;   in Loop: Header=BB466_2335 Depth=1
	v_and_b32_e32 v5, 0xffff, v4
	v_or_b32_e32 v6, 0x10000, v4
	s_delay_alu instid0(VALU_DEP_2) | instskip(NEXT) | instid1(VALU_DEP_1)
	v_cmp_eq_u32_e64 s0, 0, v5
	v_cndmask_b32_e64 v161, v6, v4, s0
; %bb.4909:                             ;   in Loop: Header=BB466_2335 Depth=1
	s_or_b32 exec_lo, exec_lo, s9
	v_lshrrev_b32_e32 v162, 16, v3
	s_mov_b32 s9, exec_lo
	s_delay_alu instid0(VALU_DEP_1) | instskip(NEXT) | instid1(VALU_DEP_1)
	v_dual_mov_b32 v4, 0 :: v_dual_and_b32 v5, 0xff, v162
	v_cmpx_ne_u16_e32 0, v5
	s_cbranch_execz .LBB466_4917
; %bb.4910:                             ;   in Loop: Header=BB466_2335 Depth=1
	v_bfrev_b32_e32 v4, 1
	s_mov_b32 s12, exec_lo
	v_cmpx_ne_u16_e32 0x80, v5
	s_cbranch_execz .LBB466_4916
; %bb.4911:                             ;   in Loop: Header=BB466_2335 Depth=1
	v_bfe_u32 v163, v3, 16, 7
	v_mov_b32_e32 v4, 0x7f800001
	s_mov_b32 s13, exec_lo
	s_delay_alu instid0(VALU_DEP_2)
	v_cmpx_ne_u32_e32 0x7f, v163
	s_cbranch_execz .LBB466_4915
; %bb.4912:                             ;   in Loop: Header=BB466_2335 Depth=1
	v_and_b32_e32 v12, 7, v162
	v_lshrrev_b32_e32 v4, 3, v163
	s_mov_b32 s15, exec_lo
	s_delay_alu instid0(VALU_DEP_2)
	v_dual_mov_b32 v6, v12 :: v_dual_mov_b32 v7, v13
	v_cmpx_gt_u32_e32 8, v163
; %bb.4913:                             ;   in Loop: Header=BB466_2335 Depth=1
	v_clz_i32_u32_e32 v4, v12
	s_delay_alu instid0(VALU_DEP_1) | instskip(NEXT) | instid1(VALU_DEP_1)
	v_min_u32_e32 v4, 32, v4
	v_subrev_nc_u32_e32 v5, 28, v4
	v_sub_nc_u32_e32 v4, 29, v4
	s_delay_alu instid0(VALU_DEP_2) | instskip(NEXT) | instid1(VALU_DEP_1)
	v_lshlrev_b64 v[5:6], v5, v[12:13]
	v_and_b32_e32 v6, 7, v5
; %bb.4914:                             ;   in Loop: Header=BB466_2335 Depth=1
	s_or_b32 exec_lo, exec_lo, s15
	v_lshlrev_b32_e32 v5, 24, v162
	s_delay_alu instid0(VALU_DEP_2) | instskip(SKIP_1) | instid1(VALU_DEP_3)
	v_lshlrev_b32_e32 v6, 20, v6
	v_lshl_add_u32 v4, v4, 23, 0x3c000000
	v_and_b32_e32 v5, 0x80000000, v5
	s_delay_alu instid0(VALU_DEP_1)
	v_or3_b32 v4, v6, v5, v4
.LBB466_4915:                           ;   in Loop: Header=BB466_2335 Depth=1
	s_or_b32 exec_lo, exec_lo, s13
.LBB466_4916:                           ;   in Loop: Header=BB466_2335 Depth=1
	s_delay_alu instid0(SALU_CYCLE_1)
	s_or_b32 exec_lo, exec_lo, s12
.LBB466_4917:                           ;   in Loop: Header=BB466_2335 Depth=1
	s_delay_alu instid0(SALU_CYCLE_1) | instskip(NEXT) | instid1(VALU_DEP_1)
	s_or_b32 exec_lo, exec_lo, s9
	v_mul_f32_e32 v4, v26, v4
                                        ; implicit-def: $vgpr162
	s_delay_alu instid0(VALU_DEP_1) | instskip(NEXT) | instid1(VALU_DEP_1)
	v_and_b32_e32 v5, 0x7f800000, v4
	v_cmp_ne_u32_e64 s0, 0x7f800000, v5
	s_delay_alu instid0(VALU_DEP_1) | instskip(NEXT) | instid1(SALU_CYCLE_1)
	s_and_saveexec_b32 s9, s0
	s_xor_b32 s0, exec_lo, s9
; %bb.4918:                             ;   in Loop: Header=BB466_2335 Depth=1
	v_bfe_u32 v5, v4, 16, 1
	s_delay_alu instid0(VALU_DEP_1)
	v_add3_u32 v162, v4, v5, 0x7fff
                                        ; implicit-def: $vgpr4
; %bb.4919:                             ;   in Loop: Header=BB466_2335 Depth=1
	s_and_not1_saveexec_b32 s9, s0
; %bb.4920:                             ;   in Loop: Header=BB466_2335 Depth=1
	v_and_b32_e32 v5, 0xffff, v4
	v_or_b32_e32 v6, 0x10000, v4
	s_delay_alu instid0(VALU_DEP_2) | instskip(NEXT) | instid1(VALU_DEP_1)
	v_cmp_eq_u32_e64 s0, 0, v5
	v_cndmask_b32_e64 v162, v6, v4, s0
; %bb.4921:                             ;   in Loop: Header=BB466_2335 Depth=1
	s_or_b32 exec_lo, exec_lo, s9
	v_cmp_lt_u64_e64 s0, s[2:3], v[2:3]
	v_mov_b32_e32 v2, 0
	s_delay_alu instid0(VALU_DEP_2)
	s_and_saveexec_b32 s9, s0
	s_cbranch_execz .LBB466_4929
; %bb.4922:                             ;   in Loop: Header=BB466_2335 Depth=1
	v_lshrrev_b32_e32 v4, 24, v3
	v_bfrev_b32_e32 v2, 1
	s_mov_b32 s12, exec_lo
	s_delay_alu instid0(VALU_DEP_2)
	v_cmpx_ne_u32_e32 0x80, v4
	s_cbranch_execz .LBB466_4928
; %bb.4923:                             ;   in Loop: Header=BB466_2335 Depth=1
	v_bfe_u32 v6, v3, 24, 7
	v_mov_b32_e32 v2, 0x7f800001
	s_mov_b32 s13, exec_lo
	s_delay_alu instid0(VALU_DEP_2)
	v_cmpx_ne_u32_e32 0x7f, v6
	s_cbranch_execz .LBB466_4927
; %bb.4924:                             ;   in Loop: Header=BB466_2335 Depth=1
	v_and_b32_e32 v12, 7, v4
	s_mov_b32 s15, exec_lo
	s_delay_alu instid0(VALU_DEP_1)
	v_dual_mov_b32 v2, v12 :: v_dual_mov_b32 v3, v13
	v_lshrrev_b32_e32 v3, 3, v6
	v_cmpx_gt_u32_e32 8, v6
; %bb.4925:                             ;   in Loop: Header=BB466_2335 Depth=1
	v_clz_i32_u32_e32 v2, v12
	s_delay_alu instid0(VALU_DEP_1) | instskip(NEXT) | instid1(VALU_DEP_1)
	v_min_u32_e32 v5, 32, v2
	v_subrev_nc_u32_e32 v2, 28, v5
	s_delay_alu instid0(VALU_DEP_1) | instskip(SKIP_1) | instid1(VALU_DEP_2)
	v_lshlrev_b64 v[2:3], v2, v[12:13]
	v_sub_nc_u32_e32 v3, 29, v5
	v_and_b32_e32 v2, 7, v2
; %bb.4926:                             ;   in Loop: Header=BB466_2335 Depth=1
	s_or_b32 exec_lo, exec_lo, s15
	v_lshlrev_b32_e32 v4, 24, v4
	s_delay_alu instid0(VALU_DEP_2) | instskip(SKIP_1) | instid1(VALU_DEP_3)
	v_lshlrev_b32_e32 v2, 20, v2
	v_lshl_add_u32 v3, v3, 23, 0x3c000000
	v_and_b32_e32 v4, 0x80000000, v4
	s_delay_alu instid0(VALU_DEP_1)
	v_or3_b32 v2, v2, v4, v3
.LBB466_4927:                           ;   in Loop: Header=BB466_2335 Depth=1
	s_or_b32 exec_lo, exec_lo, s13
.LBB466_4928:                           ;   in Loop: Header=BB466_2335 Depth=1
	s_delay_alu instid0(SALU_CYCLE_1)
	s_or_b32 exec_lo, exec_lo, s12
.LBB466_4929:                           ;   in Loop: Header=BB466_2335 Depth=1
	s_delay_alu instid0(SALU_CYCLE_1) | instskip(NEXT) | instid1(VALU_DEP_1)
	s_or_b32 exec_lo, exec_lo, s9
	v_mul_f32_e32 v3, v26, v2
	s_delay_alu instid0(VALU_DEP_1) | instskip(NEXT) | instid1(VALU_DEP_1)
	v_and_b32_e32 v2, 0x7f800000, v3
	v_cmp_ne_u32_e64 s0, 0x7f800000, v2
                                        ; implicit-def: $vgpr2
	s_delay_alu instid0(VALU_DEP_1) | instskip(NEXT) | instid1(SALU_CYCLE_1)
	s_and_saveexec_b32 s9, s0
	s_xor_b32 s0, exec_lo, s9
; %bb.4930:                             ;   in Loop: Header=BB466_2335 Depth=1
	v_bfe_u32 v2, v3, 16, 1
	s_delay_alu instid0(VALU_DEP_1)
	v_add3_u32 v2, v3, v2, 0x7fff
                                        ; implicit-def: $vgpr3
; %bb.4931:                             ;   in Loop: Header=BB466_2335 Depth=1
	s_and_not1_saveexec_b32 s9, s0
; %bb.4932:                             ;   in Loop: Header=BB466_2335 Depth=1
	v_and_b32_e32 v2, 0xffff, v3
	v_or_b32_e32 v4, 0x10000, v3
	s_delay_alu instid0(VALU_DEP_2) | instskip(NEXT) | instid1(VALU_DEP_1)
	v_cmp_eq_u32_e64 s0, 0, v2
	v_cndmask_b32_e64 v2, v4, v3, s0
; %bb.4933:                             ;   in Loop: Header=BB466_2335 Depth=1
	s_or_b32 exec_lo, exec_lo, s9
	v_lshrrev_b32_e32 v6, 16, v161
	v_lshrrev_b32_e32 v7, 16, v160
	;; [unrolled: 1-line block ×8, first 2 shown]
	s_and_saveexec_b32 s9, vcc_lo
	s_cbranch_execz .LBB466_4935
; %bb.4934:                             ;   in Loop: Header=BB466_2335 Depth=1
	v_cmp_lt_i32_e64 s0, v130, v36
	s_delay_alu instid0(VALU_DEP_1) | instskip(SKIP_1) | instid1(VALU_DEP_1)
	v_cndmask_b32_e64 v4, 0, v4, s0
	v_cmp_lt_i32_e64 s0, v133, v36
	v_cndmask_b32_e64 v118, 0, v118, s0
	v_cmp_lt_i32_e64 s0, v132, v36
	s_delay_alu instid0(VALU_DEP_1) | instskip(SKIP_1) | instid1(VALU_DEP_1)
	v_cndmask_b32_e64 v150, 0, v150, s0
	v_cmp_lt_i32_e64 s0, v131, v36
	v_cndmask_b32_e64 v12, 0, v12, s0
	;; [unrolled: 5-line block ×4, first 2 shown]
.LBB466_4935:                           ;   in Loop: Header=BB466_2335 Depth=1
	s_or_b32 exec_lo, exec_lo, s9
	v_lshlrev_b32_e32 v4, 16, v4
                                        ; implicit-def: $vgpr117
	s_delay_alu instid0(VALU_DEP_1) | instskip(NEXT) | instid1(VALU_DEP_1)
	v_mul_f32_e32 v4, v134, v4
	v_and_b32_e32 v5, 0x7f800000, v4
	s_delay_alu instid0(VALU_DEP_1) | instskip(NEXT) | instid1(VALU_DEP_1)
	v_cmp_ne_u32_e64 s0, 0x7f800000, v5
	s_and_saveexec_b32 s9, s0
	s_delay_alu instid0(SALU_CYCLE_1)
	s_xor_b32 s0, exec_lo, s9
; %bb.4936:                             ;   in Loop: Header=BB466_2335 Depth=1
	v_bfe_u32 v5, v4, 16, 1
	s_delay_alu instid0(VALU_DEP_1)
	v_add3_u32 v117, v4, v5, 0x7fff
                                        ; implicit-def: $vgpr4
; %bb.4937:                             ;   in Loop: Header=BB466_2335 Depth=1
	s_and_not1_saveexec_b32 s9, s0
; %bb.4938:                             ;   in Loop: Header=BB466_2335 Depth=1
	v_and_b32_e32 v5, 0xffff, v4
	v_or_b32_e32 v117, 0x10000, v4
	s_delay_alu instid0(VALU_DEP_2) | instskip(NEXT) | instid1(VALU_DEP_1)
	v_cmp_eq_u32_e64 s0, 0, v5
	v_cndmask_b32_e64 v117, v117, v4, s0
; %bb.4939:                             ;   in Loop: Header=BB466_2335 Depth=1
	s_or_b32 exec_lo, exec_lo, s9
	v_lshlrev_b32_e32 v4, 16, v118
                                        ; implicit-def: $vgpr118
	s_delay_alu instid0(VALU_DEP_1) | instskip(NEXT) | instid1(VALU_DEP_1)
	v_mul_f32_e32 v4, v135, v4
	v_and_b32_e32 v5, 0x7f800000, v4
	s_delay_alu instid0(VALU_DEP_1) | instskip(NEXT) | instid1(VALU_DEP_1)
	v_cmp_ne_u32_e64 s0, 0x7f800000, v5
	s_and_saveexec_b32 s9, s0
	s_delay_alu instid0(SALU_CYCLE_1)
	s_xor_b32 s0, exec_lo, s9
; %bb.4940:                             ;   in Loop: Header=BB466_2335 Depth=1
	v_bfe_u32 v5, v4, 16, 1
	s_delay_alu instid0(VALU_DEP_1)
	v_add3_u32 v118, v4, v5, 0x7fff
                                        ; implicit-def: $vgpr4
; %bb.4941:                             ;   in Loop: Header=BB466_2335 Depth=1
	s_and_not1_saveexec_b32 s9, s0
; %bb.4942:                             ;   in Loop: Header=BB466_2335 Depth=1
	v_and_b32_e32 v5, 0xffff, v4
	v_or_b32_e32 v118, 0x10000, v4
	s_delay_alu instid0(VALU_DEP_2) | instskip(NEXT) | instid1(VALU_DEP_1)
	v_cmp_eq_u32_e64 s0, 0, v5
	v_cndmask_b32_e64 v118, v118, v4, s0
; %bb.4943:                             ;   in Loop: Header=BB466_2335 Depth=1
	s_or_b32 exec_lo, exec_lo, s9
	v_lshlrev_b32_e32 v4, 16, v150
                                        ; implicit-def: $vgpr150
	s_delay_alu instid0(VALU_DEP_1) | instskip(NEXT) | instid1(VALU_DEP_1)
	v_mul_f32_e32 v4, v144, v4
	v_and_b32_e32 v5, 0x7f800000, v4
	s_delay_alu instid0(VALU_DEP_1) | instskip(NEXT) | instid1(VALU_DEP_1)
	v_cmp_ne_u32_e64 s0, 0x7f800000, v5
	s_and_saveexec_b32 s9, s0
	s_delay_alu instid0(SALU_CYCLE_1)
	s_xor_b32 s0, exec_lo, s9
; %bb.4944:                             ;   in Loop: Header=BB466_2335 Depth=1
	v_bfe_u32 v5, v4, 16, 1
	s_delay_alu instid0(VALU_DEP_1)
	v_add3_u32 v150, v4, v5, 0x7fff
                                        ; implicit-def: $vgpr4
; %bb.4945:                             ;   in Loop: Header=BB466_2335 Depth=1
	s_and_not1_saveexec_b32 s9, s0
; %bb.4946:                             ;   in Loop: Header=BB466_2335 Depth=1
	v_and_b32_e32 v5, 0xffff, v4
	v_or_b32_e32 v150, 0x10000, v4
	s_delay_alu instid0(VALU_DEP_2) | instskip(NEXT) | instid1(VALU_DEP_1)
	v_cmp_eq_u32_e64 s0, 0, v5
	v_cndmask_b32_e64 v150, v150, v4, s0
; %bb.4947:                             ;   in Loop: Header=BB466_2335 Depth=1
	s_or_b32 exec_lo, exec_lo, s9
	v_lshlrev_b32_e32 v4, 16, v12
                                        ; implicit-def: $vgpr151
	s_delay_alu instid0(VALU_DEP_1) | instskip(NEXT) | instid1(VALU_DEP_1)
	v_mul_f32_e32 v4, v145, v4
	v_and_b32_e32 v5, 0x7f800000, v4
	s_delay_alu instid0(VALU_DEP_1) | instskip(NEXT) | instid1(VALU_DEP_1)
	v_cmp_ne_u32_e64 s0, 0x7f800000, v5
	s_and_saveexec_b32 s9, s0
	s_delay_alu instid0(SALU_CYCLE_1)
	s_xor_b32 s0, exec_lo, s9
; %bb.4948:                             ;   in Loop: Header=BB466_2335 Depth=1
	v_bfe_u32 v5, v4, 16, 1
	s_delay_alu instid0(VALU_DEP_1)
	v_add3_u32 v151, v4, v5, 0x7fff
                                        ; implicit-def: $vgpr4
; %bb.4949:                             ;   in Loop: Header=BB466_2335 Depth=1
	s_and_not1_saveexec_b32 s9, s0
; %bb.4950:                             ;   in Loop: Header=BB466_2335 Depth=1
	v_and_b32_e32 v5, 0xffff, v4
	v_or_b32_e32 v12, 0x10000, v4
	s_delay_alu instid0(VALU_DEP_2) | instskip(NEXT) | instid1(VALU_DEP_1)
	v_cmp_eq_u32_e64 s0, 0, v5
	v_cndmask_b32_e64 v151, v12, v4, s0
; %bb.4951:                             ;   in Loop: Header=BB466_2335 Depth=1
	s_or_b32 exec_lo, exec_lo, s9
	v_lshlrev_b32_e32 v4, 16, v7
                                        ; implicit-def: $vgpr160
	s_delay_alu instid0(VALU_DEP_1) | instskip(NEXT) | instid1(VALU_DEP_1)
	v_mul_f32_e32 v4, v146, v4
	v_and_b32_e32 v5, 0x7f800000, v4
	s_delay_alu instid0(VALU_DEP_1) | instskip(NEXT) | instid1(VALU_DEP_1)
	v_cmp_ne_u32_e64 s0, 0x7f800000, v5
	s_and_saveexec_b32 s9, s0
	s_delay_alu instid0(SALU_CYCLE_1)
	s_xor_b32 s0, exec_lo, s9
; %bb.4952:                             ;   in Loop: Header=BB466_2335 Depth=1
	v_bfe_u32 v5, v4, 16, 1
	s_delay_alu instid0(VALU_DEP_1)
	v_add3_u32 v160, v4, v5, 0x7fff
                                        ; implicit-def: $vgpr4
; %bb.4953:                             ;   in Loop: Header=BB466_2335 Depth=1
	s_and_not1_saveexec_b32 s9, s0
; %bb.4954:                             ;   in Loop: Header=BB466_2335 Depth=1
	v_and_b32_e32 v5, 0xffff, v4
	v_or_b32_e32 v7, 0x10000, v4
	s_delay_alu instid0(VALU_DEP_2) | instskip(NEXT) | instid1(VALU_DEP_1)
	v_cmp_eq_u32_e64 s0, 0, v5
	v_cndmask_b32_e64 v160, v7, v4, s0
; %bb.4955:                             ;   in Loop: Header=BB466_2335 Depth=1
	s_or_b32 exec_lo, exec_lo, s9
	v_lshlrev_b32_e32 v4, 16, v6
                                        ; implicit-def: $vgpr161
	s_delay_alu instid0(VALU_DEP_1) | instskip(NEXT) | instid1(VALU_DEP_1)
	v_mul_f32_e32 v4, v147, v4
	v_and_b32_e32 v5, 0x7f800000, v4
	s_delay_alu instid0(VALU_DEP_1) | instskip(NEXT) | instid1(VALU_DEP_1)
	v_cmp_ne_u32_e64 s0, 0x7f800000, v5
	s_and_saveexec_b32 s9, s0
	s_delay_alu instid0(SALU_CYCLE_1)
	s_xor_b32 s0, exec_lo, s9
; %bb.4956:                             ;   in Loop: Header=BB466_2335 Depth=1
	v_bfe_u32 v5, v4, 16, 1
	s_delay_alu instid0(VALU_DEP_1)
	v_add3_u32 v161, v4, v5, 0x7fff
                                        ; implicit-def: $vgpr4
; %bb.4957:                             ;   in Loop: Header=BB466_2335 Depth=1
	s_and_not1_saveexec_b32 s9, s0
; %bb.4958:                             ;   in Loop: Header=BB466_2335 Depth=1
	v_and_b32_e32 v5, 0xffff, v4
	v_or_b32_e32 v6, 0x10000, v4
	s_delay_alu instid0(VALU_DEP_2) | instskip(NEXT) | instid1(VALU_DEP_1)
	v_cmp_eq_u32_e64 s0, 0, v5
	v_cndmask_b32_e64 v161, v6, v4, s0
; %bb.4959:                             ;   in Loop: Header=BB466_2335 Depth=1
	s_or_b32 exec_lo, exec_lo, s9
	v_lshlrev_b32_e32 v3, 16, v3
                                        ; implicit-def: $vgpr162
	s_delay_alu instid0(VALU_DEP_1) | instskip(NEXT) | instid1(VALU_DEP_1)
	v_mul_f32_e32 v3, v148, v3
	v_and_b32_e32 v4, 0x7f800000, v3
	s_delay_alu instid0(VALU_DEP_1) | instskip(NEXT) | instid1(VALU_DEP_1)
	v_cmp_ne_u32_e64 s0, 0x7f800000, v4
	s_and_saveexec_b32 s9, s0
	s_delay_alu instid0(SALU_CYCLE_1)
	s_xor_b32 s0, exec_lo, s9
; %bb.4960:                             ;   in Loop: Header=BB466_2335 Depth=1
	v_bfe_u32 v4, v3, 16, 1
	s_delay_alu instid0(VALU_DEP_1)
	v_add3_u32 v162, v3, v4, 0x7fff
                                        ; implicit-def: $vgpr3
; %bb.4961:                             ;   in Loop: Header=BB466_2335 Depth=1
	s_and_not1_saveexec_b32 s9, s0
; %bb.4962:                             ;   in Loop: Header=BB466_2335 Depth=1
	v_and_b32_e32 v4, 0xffff, v3
	v_or_b32_e32 v5, 0x10000, v3
	s_delay_alu instid0(VALU_DEP_2) | instskip(NEXT) | instid1(VALU_DEP_1)
	v_cmp_eq_u32_e64 s0, 0, v4
	v_cndmask_b32_e64 v162, v5, v3, s0
; %bb.4963:                             ;   in Loop: Header=BB466_2335 Depth=1
	s_or_b32 exec_lo, exec_lo, s9
	v_lshlrev_b32_e32 v2, 16, v2
                                        ; implicit-def: $vgpr163
	s_delay_alu instid0(VALU_DEP_1) | instskip(NEXT) | instid1(VALU_DEP_1)
	v_mul_f32_e32 v2, v149, v2
	v_and_b32_e32 v3, 0x7f800000, v2
	s_delay_alu instid0(VALU_DEP_1) | instskip(NEXT) | instid1(VALU_DEP_1)
	v_cmp_ne_u32_e64 s0, 0x7f800000, v3
	s_and_saveexec_b32 s9, s0
	s_delay_alu instid0(SALU_CYCLE_1)
	s_xor_b32 s0, exec_lo, s9
; %bb.4964:                             ;   in Loop: Header=BB466_2335 Depth=1
	v_bfe_u32 v3, v2, 16, 1
	s_delay_alu instid0(VALU_DEP_1)
	v_add3_u32 v163, v2, v3, 0x7fff
                                        ; implicit-def: $vgpr2
; %bb.4965:                             ;   in Loop: Header=BB466_2335 Depth=1
	s_and_not1_saveexec_b32 s9, s0
; %bb.4966:                             ;   in Loop: Header=BB466_2335 Depth=1
	v_and_b32_e32 v3, 0xffff, v2
	v_or_b32_e32 v4, 0x10000, v2
	s_delay_alu instid0(VALU_DEP_2) | instskip(NEXT) | instid1(VALU_DEP_1)
	v_cmp_eq_u32_e64 s0, 0, v3
	v_cndmask_b32_e64 v163, v4, v2, s0
; %bb.4967:                             ;   in Loop: Header=BB466_2335 Depth=1
	s_or_b32 exec_lo, exec_lo, s9
	scratch_load_b32 v2, off, s32 offset:572 ; 4-byte Folded Reload
	s_mov_b32 s9, exec_lo
	v_mov_b32_e32 v4, 0
	s_waitcnt vmcnt(0)
	v_add_co_u32 v2, s0, v0, v2
	s_delay_alu instid0(VALU_DEP_1) | instskip(SKIP_3) | instid1(VALU_DEP_1)
	v_add_co_ci_u32_e64 v3, s0, 0, v1, s0
	flat_load_b64 v[2:3], v[2:3]
	s_waitcnt vmcnt(0) lgkmcnt(0)
	v_and_b32_e32 v5, 0xff, v2
	v_cmpx_ne_u16_e32 0, v5
	s_cbranch_execz .LBB466_4975
; %bb.4968:                             ;   in Loop: Header=BB466_2335 Depth=1
	v_bfrev_b32_e32 v4, 1
	s_mov_b32 s12, exec_lo
	v_cmpx_ne_u16_e32 0x80, v5
	s_cbranch_execz .LBB466_4974
; %bb.4969:                             ;   in Loop: Header=BB466_2335 Depth=1
	v_and_b32_e32 v5, 0x7f, v2
	v_mov_b32_e32 v4, 0x7f800001
	s_mov_b32 s13, exec_lo
	s_delay_alu instid0(VALU_DEP_2)
	v_cmpx_ne_u32_e32 0x7f, v5
	s_cbranch_execz .LBB466_4973
; %bb.4970:                             ;   in Loop: Header=BB466_2335 Depth=1
	v_lshrrev_b32_e32 v4, 3, v5
	v_dual_mov_b32 v7, v3 :: v_dual_mov_b32 v6, v2
	s_mov_b32 s15, exec_lo
	v_cmpx_gt_u32_e32 8, v5
; %bb.4971:                             ;   in Loop: Header=BB466_2335 Depth=1
	v_and_b32_e32 v4, 7, v2
	s_delay_alu instid0(VALU_DEP_1) | instskip(NEXT) | instid1(VALU_DEP_1)
	v_clz_i32_u32_e32 v4, v4
	v_min_u32_e32 v4, 32, v4
	s_delay_alu instid0(VALU_DEP_1) | instskip(SKIP_1) | instid1(VALU_DEP_2)
	v_subrev_nc_u32_e32 v5, 28, v4
	v_sub_nc_u32_e32 v4, 29, v4
	v_lshlrev_b64 v[6:7], v5, v[2:3]
; %bb.4972:                             ;   in Loop: Header=BB466_2335 Depth=1
	s_or_b32 exec_lo, exec_lo, s15
	s_delay_alu instid0(VALU_DEP_1) | instskip(SKIP_2) | instid1(VALU_DEP_3)
	v_lshlrev_b32_e32 v5, 20, v6
	v_lshlrev_b32_e32 v6, 24, v2
	v_lshl_add_u32 v4, v4, 23, 0x3c000000
	v_and_b32_e32 v5, 0x700000, v5
	s_delay_alu instid0(VALU_DEP_3) | instskip(NEXT) | instid1(VALU_DEP_1)
	v_and_b32_e32 v6, 0x80000000, v6
	v_or3_b32 v4, v5, v6, v4
.LBB466_4973:                           ;   in Loop: Header=BB466_2335 Depth=1
	s_or_b32 exec_lo, exec_lo, s13
.LBB466_4974:                           ;   in Loop: Header=BB466_2335 Depth=1
	s_delay_alu instid0(SALU_CYCLE_1)
	s_or_b32 exec_lo, exec_lo, s12
.LBB466_4975:                           ;   in Loop: Header=BB466_2335 Depth=1
	s_delay_alu instid0(SALU_CYCLE_1) | instskip(NEXT) | instid1(VALU_DEP_1)
	s_or_b32 exec_lo, exec_lo, s9
	v_mul_f32_e32 v4, v26, v4
                                        ; implicit-def: $vgpr164
	s_delay_alu instid0(VALU_DEP_1) | instskip(NEXT) | instid1(VALU_DEP_1)
	v_and_b32_e32 v5, 0x7f800000, v4
	v_cmp_ne_u32_e64 s0, 0x7f800000, v5
	s_delay_alu instid0(VALU_DEP_1) | instskip(NEXT) | instid1(SALU_CYCLE_1)
	s_and_saveexec_b32 s9, s0
	s_xor_b32 s0, exec_lo, s9
; %bb.4976:                             ;   in Loop: Header=BB466_2335 Depth=1
	v_bfe_u32 v5, v4, 16, 1
	s_delay_alu instid0(VALU_DEP_1)
	v_add3_u32 v164, v4, v5, 0x7fff
                                        ; implicit-def: $vgpr4
; %bb.4977:                             ;   in Loop: Header=BB466_2335 Depth=1
	s_and_not1_saveexec_b32 s9, s0
; %bb.4978:                             ;   in Loop: Header=BB466_2335 Depth=1
	v_and_b32_e32 v5, 0xffff, v4
	v_or_b32_e32 v6, 0x10000, v4
	s_delay_alu instid0(VALU_DEP_2) | instskip(NEXT) | instid1(VALU_DEP_1)
	v_cmp_eq_u32_e64 s0, 0, v5
	v_cndmask_b32_e64 v164, v6, v4, s0
; %bb.4979:                             ;   in Loop: Header=BB466_2335 Depth=1
	s_or_b32 exec_lo, exec_lo, s9
	v_lshrrev_b16 v5, 8, v2
	v_mov_b32_e32 v4, 0
	s_mov_b32 s9, exec_lo
	s_delay_alu instid0(VALU_DEP_2)
	v_cmpx_ne_u16_e32 0, v5
	s_cbranch_execz .LBB466_4987
; %bb.4980:                             ;   in Loop: Header=BB466_2335 Depth=1
	v_bfrev_b32_e32 v4, 1
	s_mov_b32 s12, exec_lo
	v_cmpx_ne_u16_e32 0x80, v5
	s_cbranch_execz .LBB466_4986
; %bb.4981:                             ;   in Loop: Header=BB466_2335 Depth=1
	v_and_b32_e32 v5, 0xffff, v5
	v_mov_b32_e32 v4, 0x7f800001
	s_mov_b32 s13, exec_lo
	s_delay_alu instid0(VALU_DEP_2) | instskip(NEXT) | instid1(VALU_DEP_1)
	v_and_b32_e32 v165, 0x7f, v5
	v_cmpx_ne_u32_e32 0x7f, v165
	s_cbranch_execz .LBB466_4985
; %bb.4982:                             ;   in Loop: Header=BB466_2335 Depth=1
	v_and_b32_e32 v12, 7, v5
	v_lshrrev_b32_e32 v4, 3, v165
	s_mov_b32 s15, exec_lo
	s_delay_alu instid0(VALU_DEP_2)
	v_dual_mov_b32 v6, v12 :: v_dual_mov_b32 v7, v13
	v_cmpx_gt_u32_e32 8, v165
; %bb.4983:                             ;   in Loop: Header=BB466_2335 Depth=1
	v_clz_i32_u32_e32 v4, v12
	s_delay_alu instid0(VALU_DEP_1) | instskip(NEXT) | instid1(VALU_DEP_1)
	v_min_u32_e32 v4, 32, v4
	v_subrev_nc_u32_e32 v5, 28, v4
	v_sub_nc_u32_e32 v4, 29, v4
	s_delay_alu instid0(VALU_DEP_2) | instskip(NEXT) | instid1(VALU_DEP_1)
	v_lshlrev_b64 v[5:6], v5, v[12:13]
	v_and_b32_e32 v6, 7, v5
; %bb.4984:                             ;   in Loop: Header=BB466_2335 Depth=1
	s_or_b32 exec_lo, exec_lo, s15
	v_lshlrev_b32_e32 v5, 16, v2
	s_delay_alu instid0(VALU_DEP_2) | instskip(SKIP_1) | instid1(VALU_DEP_3)
	v_lshlrev_b32_e32 v6, 20, v6
	v_lshl_add_u32 v4, v4, 23, 0x3c000000
	v_and_b32_e32 v5, 0x80000000, v5
	s_delay_alu instid0(VALU_DEP_1)
	v_or3_b32 v4, v6, v5, v4
.LBB466_4985:                           ;   in Loop: Header=BB466_2335 Depth=1
	s_or_b32 exec_lo, exec_lo, s13
.LBB466_4986:                           ;   in Loop: Header=BB466_2335 Depth=1
	s_delay_alu instid0(SALU_CYCLE_1)
	s_or_b32 exec_lo, exec_lo, s12
.LBB466_4987:                           ;   in Loop: Header=BB466_2335 Depth=1
	s_delay_alu instid0(SALU_CYCLE_1) | instskip(NEXT) | instid1(VALU_DEP_1)
	s_or_b32 exec_lo, exec_lo, s9
	v_mul_f32_e32 v4, v26, v4
                                        ; implicit-def: $vgpr165
	s_delay_alu instid0(VALU_DEP_1) | instskip(NEXT) | instid1(VALU_DEP_1)
	v_and_b32_e32 v5, 0x7f800000, v4
	v_cmp_ne_u32_e64 s0, 0x7f800000, v5
	s_delay_alu instid0(VALU_DEP_1) | instskip(NEXT) | instid1(SALU_CYCLE_1)
	s_and_saveexec_b32 s9, s0
	s_xor_b32 s0, exec_lo, s9
; %bb.4988:                             ;   in Loop: Header=BB466_2335 Depth=1
	v_bfe_u32 v5, v4, 16, 1
	s_delay_alu instid0(VALU_DEP_1)
	v_add3_u32 v165, v4, v5, 0x7fff
                                        ; implicit-def: $vgpr4
; %bb.4989:                             ;   in Loop: Header=BB466_2335 Depth=1
	s_and_not1_saveexec_b32 s9, s0
; %bb.4990:                             ;   in Loop: Header=BB466_2335 Depth=1
	v_and_b32_e32 v5, 0xffff, v4
	v_or_b32_e32 v6, 0x10000, v4
	s_delay_alu instid0(VALU_DEP_2) | instskip(NEXT) | instid1(VALU_DEP_1)
	v_cmp_eq_u32_e64 s0, 0, v5
	v_cndmask_b32_e64 v165, v6, v4, s0
; %bb.4991:                             ;   in Loop: Header=BB466_2335 Depth=1
	s_or_b32 exec_lo, exec_lo, s9
	v_lshrrev_b32_e32 v166, 16, v2
	s_mov_b32 s9, exec_lo
	s_delay_alu instid0(VALU_DEP_1) | instskip(NEXT) | instid1(VALU_DEP_1)
	v_dual_mov_b32 v4, 0 :: v_dual_and_b32 v5, 0xff, v166
	v_cmpx_ne_u16_e32 0, v5
	s_cbranch_execz .LBB466_4999
; %bb.4992:                             ;   in Loop: Header=BB466_2335 Depth=1
	v_bfrev_b32_e32 v4, 1
	s_mov_b32 s12, exec_lo
	v_cmpx_ne_u16_e32 0x80, v5
	s_cbranch_execz .LBB466_4998
; %bb.4993:                             ;   in Loop: Header=BB466_2335 Depth=1
	v_bfe_u32 v167, v2, 16, 7
	v_mov_b32_e32 v4, 0x7f800001
	s_mov_b32 s13, exec_lo
	s_delay_alu instid0(VALU_DEP_2)
	v_cmpx_ne_u32_e32 0x7f, v167
	s_cbranch_execz .LBB466_4997
; %bb.4994:                             ;   in Loop: Header=BB466_2335 Depth=1
	v_and_b32_e32 v12, 7, v166
	v_lshrrev_b32_e32 v4, 3, v167
	s_mov_b32 s15, exec_lo
	s_delay_alu instid0(VALU_DEP_2)
	v_dual_mov_b32 v6, v12 :: v_dual_mov_b32 v7, v13
	v_cmpx_gt_u32_e32 8, v167
; %bb.4995:                             ;   in Loop: Header=BB466_2335 Depth=1
	v_clz_i32_u32_e32 v4, v12
	s_delay_alu instid0(VALU_DEP_1) | instskip(NEXT) | instid1(VALU_DEP_1)
	v_min_u32_e32 v4, 32, v4
	v_subrev_nc_u32_e32 v5, 28, v4
	v_sub_nc_u32_e32 v4, 29, v4
	s_delay_alu instid0(VALU_DEP_2) | instskip(NEXT) | instid1(VALU_DEP_1)
	v_lshlrev_b64 v[5:6], v5, v[12:13]
	v_and_b32_e32 v6, 7, v5
; %bb.4996:                             ;   in Loop: Header=BB466_2335 Depth=1
	s_or_b32 exec_lo, exec_lo, s15
	v_lshlrev_b32_e32 v5, 24, v166
	s_delay_alu instid0(VALU_DEP_2) | instskip(SKIP_1) | instid1(VALU_DEP_3)
	v_lshlrev_b32_e32 v6, 20, v6
	v_lshl_add_u32 v4, v4, 23, 0x3c000000
	v_and_b32_e32 v5, 0x80000000, v5
	s_delay_alu instid0(VALU_DEP_1)
	v_or3_b32 v4, v6, v5, v4
.LBB466_4997:                           ;   in Loop: Header=BB466_2335 Depth=1
	s_or_b32 exec_lo, exec_lo, s13
.LBB466_4998:                           ;   in Loop: Header=BB466_2335 Depth=1
	s_delay_alu instid0(SALU_CYCLE_1)
	s_or_b32 exec_lo, exec_lo, s12
.LBB466_4999:                           ;   in Loop: Header=BB466_2335 Depth=1
	s_delay_alu instid0(SALU_CYCLE_1) | instskip(NEXT) | instid1(VALU_DEP_1)
	s_or_b32 exec_lo, exec_lo, s9
	v_mul_f32_e32 v4, v26, v4
                                        ; implicit-def: $vgpr166
	s_delay_alu instid0(VALU_DEP_1) | instskip(NEXT) | instid1(VALU_DEP_1)
	v_and_b32_e32 v5, 0x7f800000, v4
	v_cmp_ne_u32_e64 s0, 0x7f800000, v5
	s_delay_alu instid0(VALU_DEP_1) | instskip(NEXT) | instid1(SALU_CYCLE_1)
	s_and_saveexec_b32 s9, s0
	s_xor_b32 s0, exec_lo, s9
; %bb.5000:                             ;   in Loop: Header=BB466_2335 Depth=1
	v_bfe_u32 v5, v4, 16, 1
	s_delay_alu instid0(VALU_DEP_1)
	v_add3_u32 v166, v4, v5, 0x7fff
                                        ; implicit-def: $vgpr4
; %bb.5001:                             ;   in Loop: Header=BB466_2335 Depth=1
	s_and_not1_saveexec_b32 s9, s0
; %bb.5002:                             ;   in Loop: Header=BB466_2335 Depth=1
	v_and_b32_e32 v5, 0xffff, v4
	v_or_b32_e32 v6, 0x10000, v4
	s_delay_alu instid0(VALU_DEP_2) | instskip(NEXT) | instid1(VALU_DEP_1)
	v_cmp_eq_u32_e64 s0, 0, v5
	v_cndmask_b32_e64 v166, v6, v4, s0
; %bb.5003:                             ;   in Loop: Header=BB466_2335 Depth=1
	s_or_b32 exec_lo, exec_lo, s9
	v_mov_b32_e32 v6, 0
	s_mov_b32 s9, exec_lo
	v_cmpx_lt_u32_e32 0xffffff, v2
	s_cbranch_execz .LBB466_5011
; %bb.5004:                             ;   in Loop: Header=BB466_2335 Depth=1
	v_lshrrev_b32_e32 v4, 24, v2
	v_bfrev_b32_e32 v6, 1
	s_mov_b32 s12, exec_lo
	s_delay_alu instid0(VALU_DEP_2)
	v_cmpx_ne_u32_e32 0x80, v4
	s_cbranch_execz .LBB466_5010
; %bb.5005:                             ;   in Loop: Header=BB466_2335 Depth=1
	v_bfe_u32 v167, v2, 24, 7
	v_mov_b32_e32 v6, 0x7f800001
	s_mov_b32 s13, exec_lo
	s_delay_alu instid0(VALU_DEP_2)
	v_cmpx_ne_u32_e32 0x7f, v167
	s_cbranch_execz .LBB466_5009
; %bb.5006:                             ;   in Loop: Header=BB466_2335 Depth=1
	v_and_b32_e32 v12, 7, v4
	s_mov_b32 s15, exec_lo
	s_delay_alu instid0(VALU_DEP_1)
	v_dual_mov_b32 v6, v12 :: v_dual_mov_b32 v7, v13
	v_lshrrev_b32_e32 v7, 3, v167
	v_cmpx_gt_u32_e32 8, v167
; %bb.5007:                             ;   in Loop: Header=BB466_2335 Depth=1
	v_clz_i32_u32_e32 v5, v12
	s_delay_alu instid0(VALU_DEP_1) | instskip(NEXT) | instid1(VALU_DEP_1)
	v_min_u32_e32 v7, 32, v5
	v_subrev_nc_u32_e32 v5, 28, v7
	v_sub_nc_u32_e32 v7, 29, v7
	s_delay_alu instid0(VALU_DEP_2) | instskip(NEXT) | instid1(VALU_DEP_1)
	v_lshlrev_b64 v[5:6], v5, v[12:13]
	v_and_b32_e32 v6, 7, v5
; %bb.5008:                             ;   in Loop: Header=BB466_2335 Depth=1
	s_or_b32 exec_lo, exec_lo, s15
	v_lshlrev_b32_e32 v4, 24, v4
	s_delay_alu instid0(VALU_DEP_2) | instskip(SKIP_1) | instid1(VALU_DEP_3)
	v_lshlrev_b32_e32 v5, 20, v6
	v_lshl_add_u32 v6, v7, 23, 0x3c000000
	v_and_b32_e32 v4, 0x80000000, v4
	s_delay_alu instid0(VALU_DEP_1)
	v_or3_b32 v6, v5, v4, v6
.LBB466_5009:                           ;   in Loop: Header=BB466_2335 Depth=1
	s_or_b32 exec_lo, exec_lo, s13
.LBB466_5010:                           ;   in Loop: Header=BB466_2335 Depth=1
	s_delay_alu instid0(SALU_CYCLE_1)
	s_or_b32 exec_lo, exec_lo, s12
.LBB466_5011:                           ;   in Loop: Header=BB466_2335 Depth=1
	s_delay_alu instid0(SALU_CYCLE_1) | instskip(NEXT) | instid1(VALU_DEP_1)
	s_or_b32 exec_lo, exec_lo, s9
	v_mul_f32_e32 v4, v26, v6
                                        ; implicit-def: $vgpr167
	s_delay_alu instid0(VALU_DEP_1) | instskip(NEXT) | instid1(VALU_DEP_1)
	v_and_b32_e32 v5, 0x7f800000, v4
	v_cmp_ne_u32_e64 s0, 0x7f800000, v5
	s_delay_alu instid0(VALU_DEP_1) | instskip(NEXT) | instid1(SALU_CYCLE_1)
	s_and_saveexec_b32 s9, s0
	s_xor_b32 s0, exec_lo, s9
; %bb.5012:                             ;   in Loop: Header=BB466_2335 Depth=1
	v_bfe_u32 v5, v4, 16, 1
	s_delay_alu instid0(VALU_DEP_1)
	v_add3_u32 v167, v4, v5, 0x7fff
                                        ; implicit-def: $vgpr4
; %bb.5013:                             ;   in Loop: Header=BB466_2335 Depth=1
	s_and_not1_saveexec_b32 s9, s0
; %bb.5014:                             ;   in Loop: Header=BB466_2335 Depth=1
	v_and_b32_e32 v5, 0xffff, v4
	v_or_b32_e32 v6, 0x10000, v4
	s_delay_alu instid0(VALU_DEP_2) | instskip(NEXT) | instid1(VALU_DEP_1)
	v_cmp_eq_u32_e64 s0, 0, v5
	v_cndmask_b32_e64 v167, v6, v4, s0
; %bb.5015:                             ;   in Loop: Header=BB466_2335 Depth=1
	s_or_b32 exec_lo, exec_lo, s9
	v_dual_mov_b32 v12, v3 :: v_dual_and_b32 v5, 0xff, v3
	v_mov_b32_e32 v4, 0
	s_mov_b32 s9, exec_lo
	s_delay_alu instid0(VALU_DEP_2)
	v_cmpx_ne_u16_e32 0, v5
	s_cbranch_execz .LBB466_5023
; %bb.5016:                             ;   in Loop: Header=BB466_2335 Depth=1
	v_bfrev_b32_e32 v4, 1
	s_mov_b32 s12, exec_lo
	v_cmpx_ne_u16_e32 0x80, v5
	s_cbranch_execz .LBB466_5022
; %bb.5017:                             ;   in Loop: Header=BB466_2335 Depth=1
	v_and_b32_e32 v5, 0x7f, v3
	v_mov_b32_e32 v4, 0x7f800001
	s_mov_b32 s13, exec_lo
	s_delay_alu instid0(VALU_DEP_2)
	v_cmpx_ne_u32_e32 0x7f, v5
	s_cbranch_execz .LBB466_5021
; %bb.5018:                             ;   in Loop: Header=BB466_2335 Depth=1
	v_dual_mov_b32 v6, v12 :: v_dual_mov_b32 v7, v13
	v_lshrrev_b32_e32 v4, 3, v5
	s_mov_b32 s15, exec_lo
	v_cmpx_gt_u32_e32 8, v5
; %bb.5019:                             ;   in Loop: Header=BB466_2335 Depth=1
	v_and_b32_e32 v4, 7, v3
	s_delay_alu instid0(VALU_DEP_1) | instskip(NEXT) | instid1(VALU_DEP_1)
	v_clz_i32_u32_e32 v4, v4
	v_min_u32_e32 v4, 32, v4
	s_delay_alu instid0(VALU_DEP_1) | instskip(SKIP_1) | instid1(VALU_DEP_2)
	v_subrev_nc_u32_e32 v5, 28, v4
	v_sub_nc_u32_e32 v4, 29, v4
	v_lshlrev_b64 v[6:7], v5, v[12:13]
; %bb.5020:                             ;   in Loop: Header=BB466_2335 Depth=1
	s_or_b32 exec_lo, exec_lo, s15
	s_delay_alu instid0(VALU_DEP_1) | instskip(SKIP_2) | instid1(VALU_DEP_3)
	v_lshlrev_b32_e32 v5, 20, v6
	v_lshlrev_b32_e32 v6, 24, v12
	v_lshl_add_u32 v4, v4, 23, 0x3c000000
	v_and_b32_e32 v5, 0x700000, v5
	s_delay_alu instid0(VALU_DEP_3) | instskip(NEXT) | instid1(VALU_DEP_1)
	v_and_b32_e32 v6, 0x80000000, v6
	v_or3_b32 v4, v5, v6, v4
.LBB466_5021:                           ;   in Loop: Header=BB466_2335 Depth=1
	s_or_b32 exec_lo, exec_lo, s13
.LBB466_5022:                           ;   in Loop: Header=BB466_2335 Depth=1
	s_delay_alu instid0(SALU_CYCLE_1)
	s_or_b32 exec_lo, exec_lo, s12
.LBB466_5023:                           ;   in Loop: Header=BB466_2335 Depth=1
	s_delay_alu instid0(SALU_CYCLE_1) | instskip(NEXT) | instid1(VALU_DEP_1)
	s_or_b32 exec_lo, exec_lo, s9
	v_mul_f32_e32 v4, v26, v4
                                        ; implicit-def: $vgpr176
	s_delay_alu instid0(VALU_DEP_1) | instskip(NEXT) | instid1(VALU_DEP_1)
	v_and_b32_e32 v5, 0x7f800000, v4
	v_cmp_ne_u32_e64 s0, 0x7f800000, v5
	s_delay_alu instid0(VALU_DEP_1) | instskip(NEXT) | instid1(SALU_CYCLE_1)
	s_and_saveexec_b32 s9, s0
	s_xor_b32 s0, exec_lo, s9
; %bb.5024:                             ;   in Loop: Header=BB466_2335 Depth=1
	v_bfe_u32 v5, v4, 16, 1
	s_delay_alu instid0(VALU_DEP_1)
	v_add3_u32 v176, v4, v5, 0x7fff
                                        ; implicit-def: $vgpr4
; %bb.5025:                             ;   in Loop: Header=BB466_2335 Depth=1
	s_and_not1_saveexec_b32 s9, s0
; %bb.5026:                             ;   in Loop: Header=BB466_2335 Depth=1
	v_and_b32_e32 v5, 0xffff, v4
	v_or_b32_e32 v6, 0x10000, v4
	s_delay_alu instid0(VALU_DEP_2) | instskip(NEXT) | instid1(VALU_DEP_1)
	v_cmp_eq_u32_e64 s0, 0, v5
	v_cndmask_b32_e64 v176, v6, v4, s0
; %bb.5027:                             ;   in Loop: Header=BB466_2335 Depth=1
	s_or_b32 exec_lo, exec_lo, s9
	v_lshrrev_b16 v5, 8, v12
	v_mov_b32_e32 v4, 0
	s_mov_b32 s9, exec_lo
	s_delay_alu instid0(VALU_DEP_2)
	v_cmpx_ne_u16_e32 0, v5
	s_cbranch_execz .LBB466_5035
; %bb.5028:                             ;   in Loop: Header=BB466_2335 Depth=1
	v_bfrev_b32_e32 v4, 1
	s_mov_b32 s12, exec_lo
	v_cmpx_ne_u16_e32 0x80, v5
	s_cbranch_execz .LBB466_5034
; %bb.5029:                             ;   in Loop: Header=BB466_2335 Depth=1
	v_and_b32_e32 v6, 0xffff, v5
	v_mov_b32_e32 v4, 0x7f800001
	s_mov_b32 s13, exec_lo
	s_delay_alu instid0(VALU_DEP_2) | instskip(NEXT) | instid1(VALU_DEP_1)
	v_and_b32_e32 v5, 0x7f, v6
	v_cmpx_ne_u32_e32 0x7f, v5
	s_cbranch_execz .LBB466_5033
; %bb.5030:                             ;   in Loop: Header=BB466_2335 Depth=1
	v_dual_mov_b32 v7, v13 :: v_dual_and_b32 v6, 7, v6
	v_lshrrev_b32_e32 v4, 3, v5
	s_mov_b32 s15, exec_lo
	v_cmpx_gt_u32_e32 8, v5
; %bb.5031:                             ;   in Loop: Header=BB466_2335 Depth=1
	s_delay_alu instid0(VALU_DEP_3) | instskip(NEXT) | instid1(VALU_DEP_1)
	v_clz_i32_u32_e32 v4, v6
	v_min_u32_e32 v4, 32, v4
	s_delay_alu instid0(VALU_DEP_1) | instskip(SKIP_1) | instid1(VALU_DEP_2)
	v_subrev_nc_u32_e32 v5, 28, v4
	v_sub_nc_u32_e32 v4, 29, v4
	v_lshlrev_b64 v[5:6], v5, v[6:7]
	s_delay_alu instid0(VALU_DEP_1)
	v_and_b32_e32 v6, 7, v5
; %bb.5032:                             ;   in Loop: Header=BB466_2335 Depth=1
	s_or_b32 exec_lo, exec_lo, s15
	v_lshlrev_b32_e32 v5, 16, v12
	s_delay_alu instid0(VALU_DEP_2) | instskip(SKIP_1) | instid1(VALU_DEP_3)
	v_lshlrev_b32_e32 v6, 20, v6
	v_lshl_add_u32 v4, v4, 23, 0x3c000000
	v_and_b32_e32 v5, 0x80000000, v5
	s_delay_alu instid0(VALU_DEP_1)
	v_or3_b32 v4, v6, v5, v4
.LBB466_5033:                           ;   in Loop: Header=BB466_2335 Depth=1
	s_or_b32 exec_lo, exec_lo, s13
.LBB466_5034:                           ;   in Loop: Header=BB466_2335 Depth=1
	s_delay_alu instid0(SALU_CYCLE_1)
	s_or_b32 exec_lo, exec_lo, s12
.LBB466_5035:                           ;   in Loop: Header=BB466_2335 Depth=1
	s_delay_alu instid0(SALU_CYCLE_1) | instskip(NEXT) | instid1(VALU_DEP_1)
	s_or_b32 exec_lo, exec_lo, s9
	v_mul_f32_e32 v4, v26, v4
                                        ; implicit-def: $vgpr177
	s_delay_alu instid0(VALU_DEP_1) | instskip(NEXT) | instid1(VALU_DEP_1)
	v_and_b32_e32 v5, 0x7f800000, v4
	v_cmp_ne_u32_e64 s0, 0x7f800000, v5
	s_delay_alu instid0(VALU_DEP_1) | instskip(NEXT) | instid1(SALU_CYCLE_1)
	s_and_saveexec_b32 s9, s0
	s_xor_b32 s0, exec_lo, s9
; %bb.5036:                             ;   in Loop: Header=BB466_2335 Depth=1
	v_bfe_u32 v5, v4, 16, 1
	s_delay_alu instid0(VALU_DEP_1)
	v_add3_u32 v177, v4, v5, 0x7fff
                                        ; implicit-def: $vgpr4
; %bb.5037:                             ;   in Loop: Header=BB466_2335 Depth=1
	s_and_not1_saveexec_b32 s9, s0
; %bb.5038:                             ;   in Loop: Header=BB466_2335 Depth=1
	v_and_b32_e32 v5, 0xffff, v4
	v_or_b32_e32 v6, 0x10000, v4
	s_delay_alu instid0(VALU_DEP_2) | instskip(NEXT) | instid1(VALU_DEP_1)
	v_cmp_eq_u32_e64 s0, 0, v5
	v_cndmask_b32_e64 v177, v6, v4, s0
; %bb.5039:                             ;   in Loop: Header=BB466_2335 Depth=1
	s_or_b32 exec_lo, exec_lo, s9
	v_lshrrev_b32_e32 v178, 16, v3
	s_mov_b32 s9, exec_lo
	s_delay_alu instid0(VALU_DEP_1) | instskip(NEXT) | instid1(VALU_DEP_1)
	v_dual_mov_b32 v4, 0 :: v_dual_and_b32 v5, 0xff, v178
	v_cmpx_ne_u16_e32 0, v5
	s_cbranch_execz .LBB466_5047
; %bb.5040:                             ;   in Loop: Header=BB466_2335 Depth=1
	v_bfrev_b32_e32 v4, 1
	s_mov_b32 s12, exec_lo
	v_cmpx_ne_u16_e32 0x80, v5
	s_cbranch_execz .LBB466_5046
; %bb.5041:                             ;   in Loop: Header=BB466_2335 Depth=1
	v_bfe_u32 v179, v3, 16, 7
	v_mov_b32_e32 v4, 0x7f800001
	s_mov_b32 s13, exec_lo
	s_delay_alu instid0(VALU_DEP_2)
	v_cmpx_ne_u32_e32 0x7f, v179
	s_cbranch_execz .LBB466_5045
; %bb.5042:                             ;   in Loop: Header=BB466_2335 Depth=1
	v_and_b32_e32 v12, 7, v178
	v_lshrrev_b32_e32 v4, 3, v179
	s_mov_b32 s15, exec_lo
	s_delay_alu instid0(VALU_DEP_2)
	v_dual_mov_b32 v6, v12 :: v_dual_mov_b32 v7, v13
	v_cmpx_gt_u32_e32 8, v179
; %bb.5043:                             ;   in Loop: Header=BB466_2335 Depth=1
	v_clz_i32_u32_e32 v4, v12
	s_delay_alu instid0(VALU_DEP_1) | instskip(NEXT) | instid1(VALU_DEP_1)
	v_min_u32_e32 v4, 32, v4
	v_subrev_nc_u32_e32 v5, 28, v4
	v_sub_nc_u32_e32 v4, 29, v4
	s_delay_alu instid0(VALU_DEP_2) | instskip(NEXT) | instid1(VALU_DEP_1)
	v_lshlrev_b64 v[5:6], v5, v[12:13]
	v_and_b32_e32 v6, 7, v5
; %bb.5044:                             ;   in Loop: Header=BB466_2335 Depth=1
	s_or_b32 exec_lo, exec_lo, s15
	v_lshlrev_b32_e32 v5, 24, v178
	s_delay_alu instid0(VALU_DEP_2) | instskip(SKIP_1) | instid1(VALU_DEP_3)
	v_lshlrev_b32_e32 v6, 20, v6
	v_lshl_add_u32 v4, v4, 23, 0x3c000000
	v_and_b32_e32 v5, 0x80000000, v5
	s_delay_alu instid0(VALU_DEP_1)
	v_or3_b32 v4, v6, v5, v4
.LBB466_5045:                           ;   in Loop: Header=BB466_2335 Depth=1
	s_or_b32 exec_lo, exec_lo, s13
.LBB466_5046:                           ;   in Loop: Header=BB466_2335 Depth=1
	s_delay_alu instid0(SALU_CYCLE_1)
	s_or_b32 exec_lo, exec_lo, s12
.LBB466_5047:                           ;   in Loop: Header=BB466_2335 Depth=1
	s_delay_alu instid0(SALU_CYCLE_1) | instskip(NEXT) | instid1(VALU_DEP_1)
	s_or_b32 exec_lo, exec_lo, s9
	v_mul_f32_e32 v4, v26, v4
                                        ; implicit-def: $vgpr178
	s_delay_alu instid0(VALU_DEP_1) | instskip(NEXT) | instid1(VALU_DEP_1)
	v_and_b32_e32 v5, 0x7f800000, v4
	v_cmp_ne_u32_e64 s0, 0x7f800000, v5
	s_delay_alu instid0(VALU_DEP_1) | instskip(NEXT) | instid1(SALU_CYCLE_1)
	s_and_saveexec_b32 s9, s0
	s_xor_b32 s0, exec_lo, s9
; %bb.5048:                             ;   in Loop: Header=BB466_2335 Depth=1
	v_bfe_u32 v5, v4, 16, 1
	s_delay_alu instid0(VALU_DEP_1)
	v_add3_u32 v178, v4, v5, 0x7fff
                                        ; implicit-def: $vgpr4
; %bb.5049:                             ;   in Loop: Header=BB466_2335 Depth=1
	s_and_not1_saveexec_b32 s9, s0
; %bb.5050:                             ;   in Loop: Header=BB466_2335 Depth=1
	v_and_b32_e32 v5, 0xffff, v4
	v_or_b32_e32 v6, 0x10000, v4
	s_delay_alu instid0(VALU_DEP_2) | instskip(NEXT) | instid1(VALU_DEP_1)
	v_cmp_eq_u32_e64 s0, 0, v5
	v_cndmask_b32_e64 v178, v6, v4, s0
; %bb.5051:                             ;   in Loop: Header=BB466_2335 Depth=1
	s_or_b32 exec_lo, exec_lo, s9
	v_cmp_lt_u64_e64 s0, s[2:3], v[2:3]
	v_mov_b32_e32 v2, 0
	s_delay_alu instid0(VALU_DEP_2)
	s_and_saveexec_b32 s9, s0
	s_cbranch_execz .LBB466_5059
; %bb.5052:                             ;   in Loop: Header=BB466_2335 Depth=1
	v_lshrrev_b32_e32 v4, 24, v3
	v_bfrev_b32_e32 v2, 1
	s_mov_b32 s12, exec_lo
	s_delay_alu instid0(VALU_DEP_2)
	v_cmpx_ne_u32_e32 0x80, v4
	s_cbranch_execz .LBB466_5058
; %bb.5053:                             ;   in Loop: Header=BB466_2335 Depth=1
	v_bfe_u32 v6, v3, 24, 7
	v_mov_b32_e32 v2, 0x7f800001
	s_mov_b32 s13, exec_lo
	s_delay_alu instid0(VALU_DEP_2)
	v_cmpx_ne_u32_e32 0x7f, v6
	s_cbranch_execz .LBB466_5057
; %bb.5054:                             ;   in Loop: Header=BB466_2335 Depth=1
	v_and_b32_e32 v12, 7, v4
	s_mov_b32 s15, exec_lo
	s_delay_alu instid0(VALU_DEP_1)
	v_dual_mov_b32 v2, v12 :: v_dual_mov_b32 v3, v13
	v_lshrrev_b32_e32 v3, 3, v6
	v_cmpx_gt_u32_e32 8, v6
; %bb.5055:                             ;   in Loop: Header=BB466_2335 Depth=1
	v_clz_i32_u32_e32 v2, v12
	s_delay_alu instid0(VALU_DEP_1) | instskip(NEXT) | instid1(VALU_DEP_1)
	v_min_u32_e32 v5, 32, v2
	v_subrev_nc_u32_e32 v2, 28, v5
	s_delay_alu instid0(VALU_DEP_1) | instskip(SKIP_1) | instid1(VALU_DEP_2)
	v_lshlrev_b64 v[2:3], v2, v[12:13]
	v_sub_nc_u32_e32 v3, 29, v5
	v_and_b32_e32 v2, 7, v2
; %bb.5056:                             ;   in Loop: Header=BB466_2335 Depth=1
	s_or_b32 exec_lo, exec_lo, s15
	v_lshlrev_b32_e32 v4, 24, v4
	s_delay_alu instid0(VALU_DEP_2) | instskip(SKIP_1) | instid1(VALU_DEP_3)
	v_lshlrev_b32_e32 v2, 20, v2
	v_lshl_add_u32 v3, v3, 23, 0x3c000000
	v_and_b32_e32 v4, 0x80000000, v4
	s_delay_alu instid0(VALU_DEP_1)
	v_or3_b32 v2, v2, v4, v3
.LBB466_5057:                           ;   in Loop: Header=BB466_2335 Depth=1
	s_or_b32 exec_lo, exec_lo, s13
.LBB466_5058:                           ;   in Loop: Header=BB466_2335 Depth=1
	s_delay_alu instid0(SALU_CYCLE_1)
	s_or_b32 exec_lo, exec_lo, s12
.LBB466_5059:                           ;   in Loop: Header=BB466_2335 Depth=1
	s_delay_alu instid0(SALU_CYCLE_1) | instskip(NEXT) | instid1(VALU_DEP_1)
	s_or_b32 exec_lo, exec_lo, s9
	v_mul_f32_e32 v3, v26, v2
	s_delay_alu instid0(VALU_DEP_1) | instskip(NEXT) | instid1(VALU_DEP_1)
	v_and_b32_e32 v2, 0x7f800000, v3
	v_cmp_ne_u32_e64 s0, 0x7f800000, v2
                                        ; implicit-def: $vgpr2
	s_delay_alu instid0(VALU_DEP_1) | instskip(NEXT) | instid1(SALU_CYCLE_1)
	s_and_saveexec_b32 s9, s0
	s_xor_b32 s0, exec_lo, s9
; %bb.5060:                             ;   in Loop: Header=BB466_2335 Depth=1
	v_bfe_u32 v2, v3, 16, 1
	s_delay_alu instid0(VALU_DEP_1)
	v_add3_u32 v2, v3, v2, 0x7fff
                                        ; implicit-def: $vgpr3
; %bb.5061:                             ;   in Loop: Header=BB466_2335 Depth=1
	s_and_not1_saveexec_b32 s9, s0
; %bb.5062:                             ;   in Loop: Header=BB466_2335 Depth=1
	v_and_b32_e32 v2, 0xffff, v3
	v_or_b32_e32 v4, 0x10000, v3
	s_delay_alu instid0(VALU_DEP_2) | instskip(NEXT) | instid1(VALU_DEP_1)
	v_cmp_eq_u32_e64 s0, 0, v2
	v_cndmask_b32_e64 v2, v4, v3, s0
; %bb.5063:                             ;   in Loop: Header=BB466_2335 Depth=1
	s_or_b32 exec_lo, exec_lo, s9
	v_lshrrev_b32_e32 v6, 16, v177
	v_lshrrev_b32_e32 v7, 16, v176
	v_lshrrev_b32_e32 v12, 16, v167
	v_lshrrev_b32_e32 v166, 16, v166
	v_lshrrev_b32_e32 v165, 16, v165
	v_lshrrev_b32_e32 v4, 16, v164
	v_lshrrev_b32_e32 v3, 16, v178
	v_lshrrev_b32_e32 v2, 16, v2
	s_and_saveexec_b32 s9, vcc_lo
	s_cbranch_execz .LBB466_5065
; %bb.5064:                             ;   in Loop: Header=BB466_2335 Depth=1
	v_cmp_lt_i32_e64 s0, v130, v36
	s_delay_alu instid0(VALU_DEP_1) | instskip(SKIP_1) | instid1(VALU_DEP_1)
	v_cndmask_b32_e64 v4, 0, v4, s0
	v_cmp_lt_i32_e64 s0, v133, v36
	v_cndmask_b32_e64 v165, 0, v165, s0
	v_cmp_lt_i32_e64 s0, v132, v36
	s_delay_alu instid0(VALU_DEP_1) | instskip(SKIP_1) | instid1(VALU_DEP_1)
	v_cndmask_b32_e64 v166, 0, v166, s0
	v_cmp_lt_i32_e64 s0, v131, v36
	v_cndmask_b32_e64 v12, 0, v12, s0
	;; [unrolled: 5-line block ×4, first 2 shown]
.LBB466_5065:                           ;   in Loop: Header=BB466_2335 Depth=1
	s_or_b32 exec_lo, exec_lo, s9
	v_lshlrev_b32_e32 v4, 16, v4
                                        ; implicit-def: $vgpr164
	s_delay_alu instid0(VALU_DEP_1) | instskip(NEXT) | instid1(VALU_DEP_1)
	v_mul_f32_e32 v4, v134, v4
	v_and_b32_e32 v5, 0x7f800000, v4
	s_delay_alu instid0(VALU_DEP_1) | instskip(NEXT) | instid1(VALU_DEP_1)
	v_cmp_ne_u32_e64 s0, 0x7f800000, v5
	s_and_saveexec_b32 s9, s0
	s_delay_alu instid0(SALU_CYCLE_1)
	s_xor_b32 s0, exec_lo, s9
; %bb.5066:                             ;   in Loop: Header=BB466_2335 Depth=1
	v_bfe_u32 v5, v4, 16, 1
	s_delay_alu instid0(VALU_DEP_1)
	v_add3_u32 v164, v4, v5, 0x7fff
                                        ; implicit-def: $vgpr4
; %bb.5067:                             ;   in Loop: Header=BB466_2335 Depth=1
	s_and_not1_saveexec_b32 s9, s0
; %bb.5068:                             ;   in Loop: Header=BB466_2335 Depth=1
	v_and_b32_e32 v5, 0xffff, v4
	v_or_b32_e32 v164, 0x10000, v4
	s_delay_alu instid0(VALU_DEP_2) | instskip(NEXT) | instid1(VALU_DEP_1)
	v_cmp_eq_u32_e64 s0, 0, v5
	v_cndmask_b32_e64 v164, v164, v4, s0
; %bb.5069:                             ;   in Loop: Header=BB466_2335 Depth=1
	s_or_b32 exec_lo, exec_lo, s9
	v_lshlrev_b32_e32 v4, 16, v165
                                        ; implicit-def: $vgpr165
	s_delay_alu instid0(VALU_DEP_1) | instskip(NEXT) | instid1(VALU_DEP_1)
	v_mul_f32_e32 v4, v135, v4
	v_and_b32_e32 v5, 0x7f800000, v4
	s_delay_alu instid0(VALU_DEP_1) | instskip(NEXT) | instid1(VALU_DEP_1)
	v_cmp_ne_u32_e64 s0, 0x7f800000, v5
	s_and_saveexec_b32 s9, s0
	s_delay_alu instid0(SALU_CYCLE_1)
	s_xor_b32 s0, exec_lo, s9
; %bb.5070:                             ;   in Loop: Header=BB466_2335 Depth=1
	v_bfe_u32 v5, v4, 16, 1
	s_delay_alu instid0(VALU_DEP_1)
	v_add3_u32 v165, v4, v5, 0x7fff
                                        ; implicit-def: $vgpr4
; %bb.5071:                             ;   in Loop: Header=BB466_2335 Depth=1
	s_and_not1_saveexec_b32 s9, s0
; %bb.5072:                             ;   in Loop: Header=BB466_2335 Depth=1
	v_and_b32_e32 v5, 0xffff, v4
	v_or_b32_e32 v165, 0x10000, v4
	s_delay_alu instid0(VALU_DEP_2) | instskip(NEXT) | instid1(VALU_DEP_1)
	v_cmp_eq_u32_e64 s0, 0, v5
	v_cndmask_b32_e64 v165, v165, v4, s0
; %bb.5073:                             ;   in Loop: Header=BB466_2335 Depth=1
	s_or_b32 exec_lo, exec_lo, s9
	v_lshlrev_b32_e32 v4, 16, v166
                                        ; implicit-def: $vgpr166
	s_delay_alu instid0(VALU_DEP_1) | instskip(NEXT) | instid1(VALU_DEP_1)
	v_mul_f32_e32 v4, v144, v4
	v_and_b32_e32 v5, 0x7f800000, v4
	s_delay_alu instid0(VALU_DEP_1) | instskip(NEXT) | instid1(VALU_DEP_1)
	v_cmp_ne_u32_e64 s0, 0x7f800000, v5
	s_and_saveexec_b32 s9, s0
	s_delay_alu instid0(SALU_CYCLE_1)
	s_xor_b32 s0, exec_lo, s9
; %bb.5074:                             ;   in Loop: Header=BB466_2335 Depth=1
	v_bfe_u32 v5, v4, 16, 1
	s_delay_alu instid0(VALU_DEP_1)
	v_add3_u32 v166, v4, v5, 0x7fff
                                        ; implicit-def: $vgpr4
; %bb.5075:                             ;   in Loop: Header=BB466_2335 Depth=1
	s_and_not1_saveexec_b32 s9, s0
; %bb.5076:                             ;   in Loop: Header=BB466_2335 Depth=1
	v_and_b32_e32 v5, 0xffff, v4
	v_or_b32_e32 v166, 0x10000, v4
	s_delay_alu instid0(VALU_DEP_2) | instskip(NEXT) | instid1(VALU_DEP_1)
	v_cmp_eq_u32_e64 s0, 0, v5
	v_cndmask_b32_e64 v166, v166, v4, s0
; %bb.5077:                             ;   in Loop: Header=BB466_2335 Depth=1
	s_or_b32 exec_lo, exec_lo, s9
	v_lshlrev_b32_e32 v4, 16, v12
                                        ; implicit-def: $vgpr167
	s_delay_alu instid0(VALU_DEP_1) | instskip(NEXT) | instid1(VALU_DEP_1)
	v_mul_f32_e32 v4, v145, v4
	v_and_b32_e32 v5, 0x7f800000, v4
	s_delay_alu instid0(VALU_DEP_1) | instskip(NEXT) | instid1(VALU_DEP_1)
	v_cmp_ne_u32_e64 s0, 0x7f800000, v5
	s_and_saveexec_b32 s9, s0
	s_delay_alu instid0(SALU_CYCLE_1)
	s_xor_b32 s0, exec_lo, s9
; %bb.5078:                             ;   in Loop: Header=BB466_2335 Depth=1
	v_bfe_u32 v5, v4, 16, 1
	s_delay_alu instid0(VALU_DEP_1)
	v_add3_u32 v167, v4, v5, 0x7fff
                                        ; implicit-def: $vgpr4
; %bb.5079:                             ;   in Loop: Header=BB466_2335 Depth=1
	s_and_not1_saveexec_b32 s9, s0
; %bb.5080:                             ;   in Loop: Header=BB466_2335 Depth=1
	v_and_b32_e32 v5, 0xffff, v4
	v_or_b32_e32 v12, 0x10000, v4
	s_delay_alu instid0(VALU_DEP_2) | instskip(NEXT) | instid1(VALU_DEP_1)
	v_cmp_eq_u32_e64 s0, 0, v5
	v_cndmask_b32_e64 v167, v12, v4, s0
; %bb.5081:                             ;   in Loop: Header=BB466_2335 Depth=1
	s_or_b32 exec_lo, exec_lo, s9
	v_lshlrev_b32_e32 v4, 16, v7
                                        ; implicit-def: $vgpr176
	s_delay_alu instid0(VALU_DEP_1) | instskip(NEXT) | instid1(VALU_DEP_1)
	v_mul_f32_e32 v4, v146, v4
	v_and_b32_e32 v5, 0x7f800000, v4
	s_delay_alu instid0(VALU_DEP_1) | instskip(NEXT) | instid1(VALU_DEP_1)
	v_cmp_ne_u32_e64 s0, 0x7f800000, v5
	s_and_saveexec_b32 s9, s0
	s_delay_alu instid0(SALU_CYCLE_1)
	s_xor_b32 s0, exec_lo, s9
; %bb.5082:                             ;   in Loop: Header=BB466_2335 Depth=1
	v_bfe_u32 v5, v4, 16, 1
	s_delay_alu instid0(VALU_DEP_1)
	v_add3_u32 v176, v4, v5, 0x7fff
                                        ; implicit-def: $vgpr4
; %bb.5083:                             ;   in Loop: Header=BB466_2335 Depth=1
	s_and_not1_saveexec_b32 s9, s0
; %bb.5084:                             ;   in Loop: Header=BB466_2335 Depth=1
	v_and_b32_e32 v5, 0xffff, v4
	v_or_b32_e32 v7, 0x10000, v4
	s_delay_alu instid0(VALU_DEP_2) | instskip(NEXT) | instid1(VALU_DEP_1)
	v_cmp_eq_u32_e64 s0, 0, v5
	v_cndmask_b32_e64 v176, v7, v4, s0
; %bb.5085:                             ;   in Loop: Header=BB466_2335 Depth=1
	s_or_b32 exec_lo, exec_lo, s9
	v_lshlrev_b32_e32 v4, 16, v6
                                        ; implicit-def: $vgpr177
	s_delay_alu instid0(VALU_DEP_1) | instskip(NEXT) | instid1(VALU_DEP_1)
	v_mul_f32_e32 v4, v147, v4
	v_and_b32_e32 v5, 0x7f800000, v4
	s_delay_alu instid0(VALU_DEP_1) | instskip(NEXT) | instid1(VALU_DEP_1)
	v_cmp_ne_u32_e64 s0, 0x7f800000, v5
	s_and_saveexec_b32 s9, s0
	s_delay_alu instid0(SALU_CYCLE_1)
	s_xor_b32 s0, exec_lo, s9
; %bb.5086:                             ;   in Loop: Header=BB466_2335 Depth=1
	v_bfe_u32 v5, v4, 16, 1
	s_delay_alu instid0(VALU_DEP_1)
	v_add3_u32 v177, v4, v5, 0x7fff
                                        ; implicit-def: $vgpr4
; %bb.5087:                             ;   in Loop: Header=BB466_2335 Depth=1
	s_and_not1_saveexec_b32 s9, s0
; %bb.5088:                             ;   in Loop: Header=BB466_2335 Depth=1
	v_and_b32_e32 v5, 0xffff, v4
	v_or_b32_e32 v6, 0x10000, v4
	s_delay_alu instid0(VALU_DEP_2) | instskip(NEXT) | instid1(VALU_DEP_1)
	v_cmp_eq_u32_e64 s0, 0, v5
	v_cndmask_b32_e64 v177, v6, v4, s0
; %bb.5089:                             ;   in Loop: Header=BB466_2335 Depth=1
	s_or_b32 exec_lo, exec_lo, s9
	v_lshlrev_b32_e32 v3, 16, v3
                                        ; implicit-def: $vgpr178
	s_delay_alu instid0(VALU_DEP_1) | instskip(NEXT) | instid1(VALU_DEP_1)
	v_mul_f32_e32 v3, v148, v3
	v_and_b32_e32 v4, 0x7f800000, v3
	s_delay_alu instid0(VALU_DEP_1) | instskip(NEXT) | instid1(VALU_DEP_1)
	v_cmp_ne_u32_e64 s0, 0x7f800000, v4
	s_and_saveexec_b32 s9, s0
	s_delay_alu instid0(SALU_CYCLE_1)
	s_xor_b32 s0, exec_lo, s9
; %bb.5090:                             ;   in Loop: Header=BB466_2335 Depth=1
	v_bfe_u32 v4, v3, 16, 1
	s_delay_alu instid0(VALU_DEP_1)
	v_add3_u32 v178, v3, v4, 0x7fff
                                        ; implicit-def: $vgpr3
; %bb.5091:                             ;   in Loop: Header=BB466_2335 Depth=1
	s_and_not1_saveexec_b32 s9, s0
; %bb.5092:                             ;   in Loop: Header=BB466_2335 Depth=1
	v_and_b32_e32 v4, 0xffff, v3
	v_or_b32_e32 v5, 0x10000, v3
	s_delay_alu instid0(VALU_DEP_2) | instskip(NEXT) | instid1(VALU_DEP_1)
	v_cmp_eq_u32_e64 s0, 0, v4
	v_cndmask_b32_e64 v178, v5, v3, s0
; %bb.5093:                             ;   in Loop: Header=BB466_2335 Depth=1
	s_or_b32 exec_lo, exec_lo, s9
	v_lshlrev_b32_e32 v2, 16, v2
                                        ; implicit-def: $vgpr179
	s_delay_alu instid0(VALU_DEP_1) | instskip(NEXT) | instid1(VALU_DEP_1)
	v_mul_f32_e32 v2, v149, v2
	v_and_b32_e32 v3, 0x7f800000, v2
	s_delay_alu instid0(VALU_DEP_1) | instskip(NEXT) | instid1(VALU_DEP_1)
	v_cmp_ne_u32_e64 s0, 0x7f800000, v3
	s_and_saveexec_b32 s9, s0
	s_delay_alu instid0(SALU_CYCLE_1)
	s_xor_b32 s0, exec_lo, s9
; %bb.5094:                             ;   in Loop: Header=BB466_2335 Depth=1
	v_bfe_u32 v3, v2, 16, 1
	s_delay_alu instid0(VALU_DEP_1)
	v_add3_u32 v179, v2, v3, 0x7fff
                                        ; implicit-def: $vgpr2
; %bb.5095:                             ;   in Loop: Header=BB466_2335 Depth=1
	s_and_not1_saveexec_b32 s9, s0
; %bb.5096:                             ;   in Loop: Header=BB466_2335 Depth=1
	v_and_b32_e32 v3, 0xffff, v2
	v_or_b32_e32 v4, 0x10000, v2
	s_delay_alu instid0(VALU_DEP_2) | instskip(NEXT) | instid1(VALU_DEP_1)
	v_cmp_eq_u32_e64 s0, 0, v3
	v_cndmask_b32_e64 v179, v4, v2, s0
; %bb.5097:                             ;   in Loop: Header=BB466_2335 Depth=1
	s_or_b32 exec_lo, exec_lo, s9
	scratch_load_b32 v2, off, s32 offset:576 ; 4-byte Folded Reload
	s_mov_b32 s9, exec_lo
	v_mov_b32_e32 v4, 0
	s_waitcnt vmcnt(0)
	v_add_co_u32 v2, s0, v0, v2
	s_delay_alu instid0(VALU_DEP_1) | instskip(SKIP_3) | instid1(VALU_DEP_1)
	v_add_co_ci_u32_e64 v3, s0, 0, v1, s0
	flat_load_b64 v[2:3], v[2:3]
	s_waitcnt vmcnt(0) lgkmcnt(0)
	v_and_b32_e32 v5, 0xff, v2
	v_cmpx_ne_u16_e32 0, v5
	s_cbranch_execz .LBB466_5105
; %bb.5098:                             ;   in Loop: Header=BB466_2335 Depth=1
	v_bfrev_b32_e32 v4, 1
	s_mov_b32 s12, exec_lo
	v_cmpx_ne_u16_e32 0x80, v5
	s_cbranch_execz .LBB466_5104
; %bb.5099:                             ;   in Loop: Header=BB466_2335 Depth=1
	v_and_b32_e32 v5, 0x7f, v2
	v_mov_b32_e32 v4, 0x7f800001
	s_mov_b32 s13, exec_lo
	s_delay_alu instid0(VALU_DEP_2)
	v_cmpx_ne_u32_e32 0x7f, v5
	s_cbranch_execz .LBB466_5103
; %bb.5100:                             ;   in Loop: Header=BB466_2335 Depth=1
	v_lshrrev_b32_e32 v4, 3, v5
	v_dual_mov_b32 v7, v3 :: v_dual_mov_b32 v6, v2
	s_mov_b32 s15, exec_lo
	v_cmpx_gt_u32_e32 8, v5
; %bb.5101:                             ;   in Loop: Header=BB466_2335 Depth=1
	v_and_b32_e32 v4, 7, v2
	s_delay_alu instid0(VALU_DEP_1) | instskip(NEXT) | instid1(VALU_DEP_1)
	v_clz_i32_u32_e32 v4, v4
	v_min_u32_e32 v4, 32, v4
	s_delay_alu instid0(VALU_DEP_1) | instskip(SKIP_1) | instid1(VALU_DEP_2)
	v_subrev_nc_u32_e32 v5, 28, v4
	v_sub_nc_u32_e32 v4, 29, v4
	v_lshlrev_b64 v[6:7], v5, v[2:3]
; %bb.5102:                             ;   in Loop: Header=BB466_2335 Depth=1
	s_or_b32 exec_lo, exec_lo, s15
	s_delay_alu instid0(VALU_DEP_1) | instskip(SKIP_2) | instid1(VALU_DEP_3)
	v_lshlrev_b32_e32 v5, 20, v6
	v_lshlrev_b32_e32 v6, 24, v2
	v_lshl_add_u32 v4, v4, 23, 0x3c000000
	v_and_b32_e32 v5, 0x700000, v5
	s_delay_alu instid0(VALU_DEP_3) | instskip(NEXT) | instid1(VALU_DEP_1)
	v_and_b32_e32 v6, 0x80000000, v6
	v_or3_b32 v4, v5, v6, v4
.LBB466_5103:                           ;   in Loop: Header=BB466_2335 Depth=1
	s_or_b32 exec_lo, exec_lo, s13
.LBB466_5104:                           ;   in Loop: Header=BB466_2335 Depth=1
	s_delay_alu instid0(SALU_CYCLE_1)
	s_or_b32 exec_lo, exec_lo, s12
.LBB466_5105:                           ;   in Loop: Header=BB466_2335 Depth=1
	s_delay_alu instid0(SALU_CYCLE_1) | instskip(NEXT) | instid1(VALU_DEP_1)
	s_or_b32 exec_lo, exec_lo, s9
	v_mul_f32_e32 v4, v26, v4
                                        ; implicit-def: $vgpr180
	s_delay_alu instid0(VALU_DEP_1) | instskip(NEXT) | instid1(VALU_DEP_1)
	v_and_b32_e32 v5, 0x7f800000, v4
	v_cmp_ne_u32_e64 s0, 0x7f800000, v5
	s_delay_alu instid0(VALU_DEP_1) | instskip(NEXT) | instid1(SALU_CYCLE_1)
	s_and_saveexec_b32 s9, s0
	s_xor_b32 s0, exec_lo, s9
; %bb.5106:                             ;   in Loop: Header=BB466_2335 Depth=1
	v_bfe_u32 v5, v4, 16, 1
	s_delay_alu instid0(VALU_DEP_1)
	v_add3_u32 v180, v4, v5, 0x7fff
                                        ; implicit-def: $vgpr4
; %bb.5107:                             ;   in Loop: Header=BB466_2335 Depth=1
	s_and_not1_saveexec_b32 s9, s0
; %bb.5108:                             ;   in Loop: Header=BB466_2335 Depth=1
	v_and_b32_e32 v5, 0xffff, v4
	v_or_b32_e32 v6, 0x10000, v4
	s_delay_alu instid0(VALU_DEP_2) | instskip(NEXT) | instid1(VALU_DEP_1)
	v_cmp_eq_u32_e64 s0, 0, v5
	v_cndmask_b32_e64 v180, v6, v4, s0
; %bb.5109:                             ;   in Loop: Header=BB466_2335 Depth=1
	s_or_b32 exec_lo, exec_lo, s9
	v_lshrrev_b16 v5, 8, v2
	v_mov_b32_e32 v4, 0
	s_mov_b32 s9, exec_lo
	s_delay_alu instid0(VALU_DEP_2)
	v_cmpx_ne_u16_e32 0, v5
	s_cbranch_execz .LBB466_5117
; %bb.5110:                             ;   in Loop: Header=BB466_2335 Depth=1
	v_bfrev_b32_e32 v4, 1
	s_mov_b32 s12, exec_lo
	v_cmpx_ne_u16_e32 0x80, v5
	s_cbranch_execz .LBB466_5116
; %bb.5111:                             ;   in Loop: Header=BB466_2335 Depth=1
	v_and_b32_e32 v5, 0xffff, v5
	v_mov_b32_e32 v4, 0x7f800001
	s_mov_b32 s13, exec_lo
	s_delay_alu instid0(VALU_DEP_2) | instskip(NEXT) | instid1(VALU_DEP_1)
	v_and_b32_e32 v181, 0x7f, v5
	v_cmpx_ne_u32_e32 0x7f, v181
	s_cbranch_execz .LBB466_5115
; %bb.5112:                             ;   in Loop: Header=BB466_2335 Depth=1
	v_and_b32_e32 v12, 7, v5
	v_lshrrev_b32_e32 v4, 3, v181
	s_mov_b32 s15, exec_lo
	s_delay_alu instid0(VALU_DEP_2)
	v_dual_mov_b32 v6, v12 :: v_dual_mov_b32 v7, v13
	v_cmpx_gt_u32_e32 8, v181
; %bb.5113:                             ;   in Loop: Header=BB466_2335 Depth=1
	v_clz_i32_u32_e32 v4, v12
	s_delay_alu instid0(VALU_DEP_1) | instskip(NEXT) | instid1(VALU_DEP_1)
	v_min_u32_e32 v4, 32, v4
	v_subrev_nc_u32_e32 v5, 28, v4
	v_sub_nc_u32_e32 v4, 29, v4
	s_delay_alu instid0(VALU_DEP_2) | instskip(NEXT) | instid1(VALU_DEP_1)
	v_lshlrev_b64 v[5:6], v5, v[12:13]
	v_and_b32_e32 v6, 7, v5
; %bb.5114:                             ;   in Loop: Header=BB466_2335 Depth=1
	s_or_b32 exec_lo, exec_lo, s15
	v_lshlrev_b32_e32 v5, 16, v2
	s_delay_alu instid0(VALU_DEP_2) | instskip(SKIP_1) | instid1(VALU_DEP_3)
	v_lshlrev_b32_e32 v6, 20, v6
	v_lshl_add_u32 v4, v4, 23, 0x3c000000
	v_and_b32_e32 v5, 0x80000000, v5
	s_delay_alu instid0(VALU_DEP_1)
	v_or3_b32 v4, v6, v5, v4
.LBB466_5115:                           ;   in Loop: Header=BB466_2335 Depth=1
	s_or_b32 exec_lo, exec_lo, s13
.LBB466_5116:                           ;   in Loop: Header=BB466_2335 Depth=1
	s_delay_alu instid0(SALU_CYCLE_1)
	s_or_b32 exec_lo, exec_lo, s12
.LBB466_5117:                           ;   in Loop: Header=BB466_2335 Depth=1
	s_delay_alu instid0(SALU_CYCLE_1) | instskip(NEXT) | instid1(VALU_DEP_1)
	s_or_b32 exec_lo, exec_lo, s9
	v_mul_f32_e32 v4, v26, v4
                                        ; implicit-def: $vgpr181
	s_delay_alu instid0(VALU_DEP_1) | instskip(NEXT) | instid1(VALU_DEP_1)
	v_and_b32_e32 v5, 0x7f800000, v4
	v_cmp_ne_u32_e64 s0, 0x7f800000, v5
	s_delay_alu instid0(VALU_DEP_1) | instskip(NEXT) | instid1(SALU_CYCLE_1)
	s_and_saveexec_b32 s9, s0
	s_xor_b32 s0, exec_lo, s9
; %bb.5118:                             ;   in Loop: Header=BB466_2335 Depth=1
	v_bfe_u32 v5, v4, 16, 1
	s_delay_alu instid0(VALU_DEP_1)
	v_add3_u32 v181, v4, v5, 0x7fff
                                        ; implicit-def: $vgpr4
; %bb.5119:                             ;   in Loop: Header=BB466_2335 Depth=1
	s_and_not1_saveexec_b32 s9, s0
; %bb.5120:                             ;   in Loop: Header=BB466_2335 Depth=1
	v_and_b32_e32 v5, 0xffff, v4
	v_or_b32_e32 v6, 0x10000, v4
	s_delay_alu instid0(VALU_DEP_2) | instskip(NEXT) | instid1(VALU_DEP_1)
	v_cmp_eq_u32_e64 s0, 0, v5
	v_cndmask_b32_e64 v181, v6, v4, s0
; %bb.5121:                             ;   in Loop: Header=BB466_2335 Depth=1
	s_or_b32 exec_lo, exec_lo, s9
	v_lshrrev_b32_e32 v182, 16, v2
	s_mov_b32 s9, exec_lo
	s_delay_alu instid0(VALU_DEP_1) | instskip(NEXT) | instid1(VALU_DEP_1)
	v_dual_mov_b32 v4, 0 :: v_dual_and_b32 v5, 0xff, v182
	v_cmpx_ne_u16_e32 0, v5
	s_cbranch_execz .LBB466_5129
; %bb.5122:                             ;   in Loop: Header=BB466_2335 Depth=1
	v_bfrev_b32_e32 v4, 1
	s_mov_b32 s12, exec_lo
	v_cmpx_ne_u16_e32 0x80, v5
	s_cbranch_execz .LBB466_5128
; %bb.5123:                             ;   in Loop: Header=BB466_2335 Depth=1
	v_bfe_u32 v183, v2, 16, 7
	v_mov_b32_e32 v4, 0x7f800001
	s_mov_b32 s13, exec_lo
	s_delay_alu instid0(VALU_DEP_2)
	v_cmpx_ne_u32_e32 0x7f, v183
	s_cbranch_execz .LBB466_5127
; %bb.5124:                             ;   in Loop: Header=BB466_2335 Depth=1
	v_and_b32_e32 v12, 7, v182
	v_lshrrev_b32_e32 v4, 3, v183
	s_mov_b32 s15, exec_lo
	s_delay_alu instid0(VALU_DEP_2)
	v_dual_mov_b32 v6, v12 :: v_dual_mov_b32 v7, v13
	v_cmpx_gt_u32_e32 8, v183
; %bb.5125:                             ;   in Loop: Header=BB466_2335 Depth=1
	v_clz_i32_u32_e32 v4, v12
	s_delay_alu instid0(VALU_DEP_1) | instskip(NEXT) | instid1(VALU_DEP_1)
	v_min_u32_e32 v4, 32, v4
	v_subrev_nc_u32_e32 v5, 28, v4
	v_sub_nc_u32_e32 v4, 29, v4
	s_delay_alu instid0(VALU_DEP_2) | instskip(NEXT) | instid1(VALU_DEP_1)
	v_lshlrev_b64 v[5:6], v5, v[12:13]
	v_and_b32_e32 v6, 7, v5
; %bb.5126:                             ;   in Loop: Header=BB466_2335 Depth=1
	s_or_b32 exec_lo, exec_lo, s15
	v_lshlrev_b32_e32 v5, 24, v182
	s_delay_alu instid0(VALU_DEP_2) | instskip(SKIP_1) | instid1(VALU_DEP_3)
	v_lshlrev_b32_e32 v6, 20, v6
	v_lshl_add_u32 v4, v4, 23, 0x3c000000
	v_and_b32_e32 v5, 0x80000000, v5
	s_delay_alu instid0(VALU_DEP_1)
	v_or3_b32 v4, v6, v5, v4
.LBB466_5127:                           ;   in Loop: Header=BB466_2335 Depth=1
	s_or_b32 exec_lo, exec_lo, s13
.LBB466_5128:                           ;   in Loop: Header=BB466_2335 Depth=1
	s_delay_alu instid0(SALU_CYCLE_1)
	s_or_b32 exec_lo, exec_lo, s12
.LBB466_5129:                           ;   in Loop: Header=BB466_2335 Depth=1
	s_delay_alu instid0(SALU_CYCLE_1) | instskip(NEXT) | instid1(VALU_DEP_1)
	s_or_b32 exec_lo, exec_lo, s9
	v_mul_f32_e32 v4, v26, v4
                                        ; implicit-def: $vgpr182
	s_delay_alu instid0(VALU_DEP_1) | instskip(NEXT) | instid1(VALU_DEP_1)
	v_and_b32_e32 v5, 0x7f800000, v4
	v_cmp_ne_u32_e64 s0, 0x7f800000, v5
	s_delay_alu instid0(VALU_DEP_1) | instskip(NEXT) | instid1(SALU_CYCLE_1)
	s_and_saveexec_b32 s9, s0
	s_xor_b32 s0, exec_lo, s9
; %bb.5130:                             ;   in Loop: Header=BB466_2335 Depth=1
	v_bfe_u32 v5, v4, 16, 1
	s_delay_alu instid0(VALU_DEP_1)
	v_add3_u32 v182, v4, v5, 0x7fff
                                        ; implicit-def: $vgpr4
; %bb.5131:                             ;   in Loop: Header=BB466_2335 Depth=1
	s_and_not1_saveexec_b32 s9, s0
; %bb.5132:                             ;   in Loop: Header=BB466_2335 Depth=1
	v_and_b32_e32 v5, 0xffff, v4
	v_or_b32_e32 v6, 0x10000, v4
	s_delay_alu instid0(VALU_DEP_2) | instskip(NEXT) | instid1(VALU_DEP_1)
	v_cmp_eq_u32_e64 s0, 0, v5
	v_cndmask_b32_e64 v182, v6, v4, s0
; %bb.5133:                             ;   in Loop: Header=BB466_2335 Depth=1
	s_or_b32 exec_lo, exec_lo, s9
	v_mov_b32_e32 v6, 0
	s_mov_b32 s9, exec_lo
	v_cmpx_lt_u32_e32 0xffffff, v2
	s_cbranch_execz .LBB466_5141
; %bb.5134:                             ;   in Loop: Header=BB466_2335 Depth=1
	v_lshrrev_b32_e32 v4, 24, v2
	v_bfrev_b32_e32 v6, 1
	s_mov_b32 s12, exec_lo
	s_delay_alu instid0(VALU_DEP_2)
	v_cmpx_ne_u32_e32 0x80, v4
	s_cbranch_execz .LBB466_5140
; %bb.5135:                             ;   in Loop: Header=BB466_2335 Depth=1
	v_bfe_u32 v183, v2, 24, 7
	v_mov_b32_e32 v6, 0x7f800001
	s_mov_b32 s13, exec_lo
	s_delay_alu instid0(VALU_DEP_2)
	v_cmpx_ne_u32_e32 0x7f, v183
	s_cbranch_execz .LBB466_5139
; %bb.5136:                             ;   in Loop: Header=BB466_2335 Depth=1
	v_and_b32_e32 v12, 7, v4
	s_mov_b32 s15, exec_lo
	s_delay_alu instid0(VALU_DEP_1)
	v_dual_mov_b32 v6, v12 :: v_dual_mov_b32 v7, v13
	v_lshrrev_b32_e32 v7, 3, v183
	v_cmpx_gt_u32_e32 8, v183
; %bb.5137:                             ;   in Loop: Header=BB466_2335 Depth=1
	v_clz_i32_u32_e32 v5, v12
	s_delay_alu instid0(VALU_DEP_1) | instskip(NEXT) | instid1(VALU_DEP_1)
	v_min_u32_e32 v7, 32, v5
	v_subrev_nc_u32_e32 v5, 28, v7
	v_sub_nc_u32_e32 v7, 29, v7
	s_delay_alu instid0(VALU_DEP_2) | instskip(NEXT) | instid1(VALU_DEP_1)
	v_lshlrev_b64 v[5:6], v5, v[12:13]
	v_and_b32_e32 v6, 7, v5
; %bb.5138:                             ;   in Loop: Header=BB466_2335 Depth=1
	s_or_b32 exec_lo, exec_lo, s15
	v_lshlrev_b32_e32 v4, 24, v4
	s_delay_alu instid0(VALU_DEP_2) | instskip(SKIP_1) | instid1(VALU_DEP_3)
	v_lshlrev_b32_e32 v5, 20, v6
	v_lshl_add_u32 v6, v7, 23, 0x3c000000
	v_and_b32_e32 v4, 0x80000000, v4
	s_delay_alu instid0(VALU_DEP_1)
	v_or3_b32 v6, v5, v4, v6
.LBB466_5139:                           ;   in Loop: Header=BB466_2335 Depth=1
	s_or_b32 exec_lo, exec_lo, s13
.LBB466_5140:                           ;   in Loop: Header=BB466_2335 Depth=1
	s_delay_alu instid0(SALU_CYCLE_1)
	s_or_b32 exec_lo, exec_lo, s12
.LBB466_5141:                           ;   in Loop: Header=BB466_2335 Depth=1
	s_delay_alu instid0(SALU_CYCLE_1) | instskip(NEXT) | instid1(VALU_DEP_1)
	s_or_b32 exec_lo, exec_lo, s9
	v_mul_f32_e32 v4, v26, v6
                                        ; implicit-def: $vgpr183
	s_delay_alu instid0(VALU_DEP_1) | instskip(NEXT) | instid1(VALU_DEP_1)
	v_and_b32_e32 v5, 0x7f800000, v4
	v_cmp_ne_u32_e64 s0, 0x7f800000, v5
	s_delay_alu instid0(VALU_DEP_1) | instskip(NEXT) | instid1(SALU_CYCLE_1)
	s_and_saveexec_b32 s9, s0
	s_xor_b32 s0, exec_lo, s9
; %bb.5142:                             ;   in Loop: Header=BB466_2335 Depth=1
	v_bfe_u32 v5, v4, 16, 1
	s_delay_alu instid0(VALU_DEP_1)
	v_add3_u32 v183, v4, v5, 0x7fff
                                        ; implicit-def: $vgpr4
; %bb.5143:                             ;   in Loop: Header=BB466_2335 Depth=1
	s_and_not1_saveexec_b32 s9, s0
; %bb.5144:                             ;   in Loop: Header=BB466_2335 Depth=1
	v_and_b32_e32 v5, 0xffff, v4
	v_or_b32_e32 v6, 0x10000, v4
	s_delay_alu instid0(VALU_DEP_2) | instskip(NEXT) | instid1(VALU_DEP_1)
	v_cmp_eq_u32_e64 s0, 0, v5
	v_cndmask_b32_e64 v183, v6, v4, s0
; %bb.5145:                             ;   in Loop: Header=BB466_2335 Depth=1
	s_or_b32 exec_lo, exec_lo, s9
	v_dual_mov_b32 v12, v3 :: v_dual_and_b32 v5, 0xff, v3
	v_mov_b32_e32 v4, 0
	s_mov_b32 s9, exec_lo
	s_delay_alu instid0(VALU_DEP_2)
	v_cmpx_ne_u16_e32 0, v5
	s_cbranch_execz .LBB466_5153
; %bb.5146:                             ;   in Loop: Header=BB466_2335 Depth=1
	v_bfrev_b32_e32 v4, 1
	s_mov_b32 s12, exec_lo
	v_cmpx_ne_u16_e32 0x80, v5
	s_cbranch_execz .LBB466_5152
; %bb.5147:                             ;   in Loop: Header=BB466_2335 Depth=1
	v_and_b32_e32 v5, 0x7f, v3
	v_mov_b32_e32 v4, 0x7f800001
	s_mov_b32 s13, exec_lo
	s_delay_alu instid0(VALU_DEP_2)
	v_cmpx_ne_u32_e32 0x7f, v5
	s_cbranch_execz .LBB466_5151
; %bb.5148:                             ;   in Loop: Header=BB466_2335 Depth=1
	v_dual_mov_b32 v6, v12 :: v_dual_mov_b32 v7, v13
	v_lshrrev_b32_e32 v4, 3, v5
	s_mov_b32 s15, exec_lo
	v_cmpx_gt_u32_e32 8, v5
; %bb.5149:                             ;   in Loop: Header=BB466_2335 Depth=1
	v_and_b32_e32 v4, 7, v3
	s_delay_alu instid0(VALU_DEP_1) | instskip(NEXT) | instid1(VALU_DEP_1)
	v_clz_i32_u32_e32 v4, v4
	v_min_u32_e32 v4, 32, v4
	s_delay_alu instid0(VALU_DEP_1) | instskip(SKIP_1) | instid1(VALU_DEP_2)
	v_subrev_nc_u32_e32 v5, 28, v4
	v_sub_nc_u32_e32 v4, 29, v4
	v_lshlrev_b64 v[6:7], v5, v[12:13]
; %bb.5150:                             ;   in Loop: Header=BB466_2335 Depth=1
	s_or_b32 exec_lo, exec_lo, s15
	s_delay_alu instid0(VALU_DEP_1) | instskip(SKIP_2) | instid1(VALU_DEP_3)
	v_lshlrev_b32_e32 v5, 20, v6
	v_lshlrev_b32_e32 v6, 24, v12
	v_lshl_add_u32 v4, v4, 23, 0x3c000000
	v_and_b32_e32 v5, 0x700000, v5
	s_delay_alu instid0(VALU_DEP_3) | instskip(NEXT) | instid1(VALU_DEP_1)
	v_and_b32_e32 v6, 0x80000000, v6
	v_or3_b32 v4, v5, v6, v4
.LBB466_5151:                           ;   in Loop: Header=BB466_2335 Depth=1
	s_or_b32 exec_lo, exec_lo, s13
.LBB466_5152:                           ;   in Loop: Header=BB466_2335 Depth=1
	s_delay_alu instid0(SALU_CYCLE_1)
	s_or_b32 exec_lo, exec_lo, s12
.LBB466_5153:                           ;   in Loop: Header=BB466_2335 Depth=1
	s_delay_alu instid0(SALU_CYCLE_1) | instskip(NEXT) | instid1(VALU_DEP_1)
	s_or_b32 exec_lo, exec_lo, s9
	v_mul_f32_e32 v4, v26, v4
                                        ; implicit-def: $vgpr40
	s_delay_alu instid0(VALU_DEP_1) | instskip(NEXT) | instid1(VALU_DEP_1)
	v_and_b32_e32 v5, 0x7f800000, v4
	v_cmp_ne_u32_e64 s0, 0x7f800000, v5
	s_delay_alu instid0(VALU_DEP_1) | instskip(NEXT) | instid1(SALU_CYCLE_1)
	s_and_saveexec_b32 s9, s0
	s_xor_b32 s0, exec_lo, s9
; %bb.5154:                             ;   in Loop: Header=BB466_2335 Depth=1
	v_bfe_u32 v5, v4, 16, 1
	s_delay_alu instid0(VALU_DEP_1)
	v_add3_u32 v40, v4, v5, 0x7fff
                                        ; implicit-def: $vgpr4
; %bb.5155:                             ;   in Loop: Header=BB466_2335 Depth=1
	s_and_not1_saveexec_b32 s9, s0
; %bb.5156:                             ;   in Loop: Header=BB466_2335 Depth=1
	v_and_b32_e32 v5, 0xffff, v4
	v_or_b32_e32 v6, 0x10000, v4
	s_delay_alu instid0(VALU_DEP_2) | instskip(NEXT) | instid1(VALU_DEP_1)
	v_cmp_eq_u32_e64 s0, 0, v5
	v_cndmask_b32_e64 v40, v6, v4, s0
; %bb.5157:                             ;   in Loop: Header=BB466_2335 Depth=1
	s_or_b32 exec_lo, exec_lo, s9
	v_lshrrev_b16 v5, 8, v12
	v_mov_b32_e32 v4, 0
	s_mov_b32 s9, exec_lo
	s_delay_alu instid0(VALU_DEP_2)
	v_cmpx_ne_u16_e32 0, v5
	s_cbranch_execz .LBB466_5165
; %bb.5158:                             ;   in Loop: Header=BB466_2335 Depth=1
	v_bfrev_b32_e32 v4, 1
	s_mov_b32 s12, exec_lo
	v_cmpx_ne_u16_e32 0x80, v5
	s_cbranch_execz .LBB466_5164
; %bb.5159:                             ;   in Loop: Header=BB466_2335 Depth=1
	v_and_b32_e32 v6, 0xffff, v5
	v_mov_b32_e32 v4, 0x7f800001
	s_mov_b32 s13, exec_lo
	s_delay_alu instid0(VALU_DEP_2) | instskip(NEXT) | instid1(VALU_DEP_1)
	v_and_b32_e32 v5, 0x7f, v6
	v_cmpx_ne_u32_e32 0x7f, v5
	s_cbranch_execz .LBB466_5163
; %bb.5160:                             ;   in Loop: Header=BB466_2335 Depth=1
	v_dual_mov_b32 v7, v13 :: v_dual_and_b32 v6, 7, v6
	v_lshrrev_b32_e32 v4, 3, v5
	s_mov_b32 s15, exec_lo
	v_cmpx_gt_u32_e32 8, v5
; %bb.5161:                             ;   in Loop: Header=BB466_2335 Depth=1
	s_delay_alu instid0(VALU_DEP_3) | instskip(NEXT) | instid1(VALU_DEP_1)
	v_clz_i32_u32_e32 v4, v6
	v_min_u32_e32 v4, 32, v4
	s_delay_alu instid0(VALU_DEP_1) | instskip(SKIP_1) | instid1(VALU_DEP_2)
	v_subrev_nc_u32_e32 v5, 28, v4
	v_sub_nc_u32_e32 v4, 29, v4
	v_lshlrev_b64 v[5:6], v5, v[6:7]
	s_delay_alu instid0(VALU_DEP_1)
	v_and_b32_e32 v6, 7, v5
; %bb.5162:                             ;   in Loop: Header=BB466_2335 Depth=1
	s_or_b32 exec_lo, exec_lo, s15
	v_lshlrev_b32_e32 v5, 16, v12
	s_delay_alu instid0(VALU_DEP_2) | instskip(SKIP_1) | instid1(VALU_DEP_3)
	v_lshlrev_b32_e32 v6, 20, v6
	v_lshl_add_u32 v4, v4, 23, 0x3c000000
	v_and_b32_e32 v5, 0x80000000, v5
	s_delay_alu instid0(VALU_DEP_1)
	v_or3_b32 v4, v6, v5, v4
.LBB466_5163:                           ;   in Loop: Header=BB466_2335 Depth=1
	s_or_b32 exec_lo, exec_lo, s13
.LBB466_5164:                           ;   in Loop: Header=BB466_2335 Depth=1
	s_delay_alu instid0(SALU_CYCLE_1)
	s_or_b32 exec_lo, exec_lo, s12
.LBB466_5165:                           ;   in Loop: Header=BB466_2335 Depth=1
	s_delay_alu instid0(SALU_CYCLE_1) | instskip(NEXT) | instid1(VALU_DEP_1)
	s_or_b32 exec_lo, exec_lo, s9
	v_mul_f32_e32 v4, v26, v4
                                        ; implicit-def: $vgpr41
	s_delay_alu instid0(VALU_DEP_1) | instskip(NEXT) | instid1(VALU_DEP_1)
	v_and_b32_e32 v5, 0x7f800000, v4
	v_cmp_ne_u32_e64 s0, 0x7f800000, v5
	s_delay_alu instid0(VALU_DEP_1) | instskip(NEXT) | instid1(SALU_CYCLE_1)
	s_and_saveexec_b32 s9, s0
	s_xor_b32 s0, exec_lo, s9
; %bb.5166:                             ;   in Loop: Header=BB466_2335 Depth=1
	v_bfe_u32 v5, v4, 16, 1
	s_delay_alu instid0(VALU_DEP_1)
	v_add3_u32 v41, v4, v5, 0x7fff
                                        ; implicit-def: $vgpr4
; %bb.5167:                             ;   in Loop: Header=BB466_2335 Depth=1
	s_and_not1_saveexec_b32 s9, s0
; %bb.5168:                             ;   in Loop: Header=BB466_2335 Depth=1
	v_and_b32_e32 v5, 0xffff, v4
	v_or_b32_e32 v6, 0x10000, v4
	s_delay_alu instid0(VALU_DEP_2) | instskip(NEXT) | instid1(VALU_DEP_1)
	v_cmp_eq_u32_e64 s0, 0, v5
	v_cndmask_b32_e64 v41, v6, v4, s0
; %bb.5169:                             ;   in Loop: Header=BB466_2335 Depth=1
	s_or_b32 exec_lo, exec_lo, s9
	v_lshrrev_b32_e32 v42, 16, v3
	s_mov_b32 s9, exec_lo
	s_delay_alu instid0(VALU_DEP_1) | instskip(NEXT) | instid1(VALU_DEP_1)
	v_dual_mov_b32 v4, 0 :: v_dual_and_b32 v5, 0xff, v42
	v_cmpx_ne_u16_e32 0, v5
	s_cbranch_execz .LBB466_5177
; %bb.5170:                             ;   in Loop: Header=BB466_2335 Depth=1
	v_bfrev_b32_e32 v4, 1
	s_mov_b32 s12, exec_lo
	v_cmpx_ne_u16_e32 0x80, v5
	s_cbranch_execz .LBB466_5176
; %bb.5171:                             ;   in Loop: Header=BB466_2335 Depth=1
	v_bfe_u32 v43, v3, 16, 7
	v_mov_b32_e32 v4, 0x7f800001
	s_mov_b32 s13, exec_lo
	s_delay_alu instid0(VALU_DEP_2)
	v_cmpx_ne_u32_e32 0x7f, v43
	s_cbranch_execz .LBB466_5175
; %bb.5172:                             ;   in Loop: Header=BB466_2335 Depth=1
	v_and_b32_e32 v12, 7, v42
	v_lshrrev_b32_e32 v4, 3, v43
	s_mov_b32 s15, exec_lo
	s_delay_alu instid0(VALU_DEP_2)
	v_dual_mov_b32 v6, v12 :: v_dual_mov_b32 v7, v13
	v_cmpx_gt_u32_e32 8, v43
; %bb.5173:                             ;   in Loop: Header=BB466_2335 Depth=1
	v_clz_i32_u32_e32 v4, v12
	s_delay_alu instid0(VALU_DEP_1) | instskip(NEXT) | instid1(VALU_DEP_1)
	v_min_u32_e32 v4, 32, v4
	v_subrev_nc_u32_e32 v5, 28, v4
	v_sub_nc_u32_e32 v4, 29, v4
	s_delay_alu instid0(VALU_DEP_2) | instskip(NEXT) | instid1(VALU_DEP_1)
	v_lshlrev_b64 v[5:6], v5, v[12:13]
	v_and_b32_e32 v6, 7, v5
; %bb.5174:                             ;   in Loop: Header=BB466_2335 Depth=1
	s_or_b32 exec_lo, exec_lo, s15
	v_lshlrev_b32_e32 v5, 24, v42
	s_delay_alu instid0(VALU_DEP_2) | instskip(SKIP_1) | instid1(VALU_DEP_3)
	v_lshlrev_b32_e32 v6, 20, v6
	v_lshl_add_u32 v4, v4, 23, 0x3c000000
	v_and_b32_e32 v5, 0x80000000, v5
	s_delay_alu instid0(VALU_DEP_1)
	v_or3_b32 v4, v6, v5, v4
.LBB466_5175:                           ;   in Loop: Header=BB466_2335 Depth=1
	s_or_b32 exec_lo, exec_lo, s13
.LBB466_5176:                           ;   in Loop: Header=BB466_2335 Depth=1
	s_delay_alu instid0(SALU_CYCLE_1)
	s_or_b32 exec_lo, exec_lo, s12
.LBB466_5177:                           ;   in Loop: Header=BB466_2335 Depth=1
	s_delay_alu instid0(SALU_CYCLE_1) | instskip(NEXT) | instid1(VALU_DEP_1)
	s_or_b32 exec_lo, exec_lo, s9
	v_mul_f32_e32 v4, v26, v4
                                        ; implicit-def: $vgpr42
	s_delay_alu instid0(VALU_DEP_1) | instskip(NEXT) | instid1(VALU_DEP_1)
	v_and_b32_e32 v5, 0x7f800000, v4
	v_cmp_ne_u32_e64 s0, 0x7f800000, v5
	s_delay_alu instid0(VALU_DEP_1) | instskip(NEXT) | instid1(SALU_CYCLE_1)
	s_and_saveexec_b32 s9, s0
	s_xor_b32 s0, exec_lo, s9
; %bb.5178:                             ;   in Loop: Header=BB466_2335 Depth=1
	v_bfe_u32 v5, v4, 16, 1
	s_delay_alu instid0(VALU_DEP_1)
	v_add3_u32 v42, v4, v5, 0x7fff
                                        ; implicit-def: $vgpr4
; %bb.5179:                             ;   in Loop: Header=BB466_2335 Depth=1
	s_and_not1_saveexec_b32 s9, s0
; %bb.5180:                             ;   in Loop: Header=BB466_2335 Depth=1
	v_and_b32_e32 v5, 0xffff, v4
	v_or_b32_e32 v6, 0x10000, v4
	s_delay_alu instid0(VALU_DEP_2) | instskip(NEXT) | instid1(VALU_DEP_1)
	v_cmp_eq_u32_e64 s0, 0, v5
	v_cndmask_b32_e64 v42, v6, v4, s0
; %bb.5181:                             ;   in Loop: Header=BB466_2335 Depth=1
	s_or_b32 exec_lo, exec_lo, s9
	v_cmp_lt_u64_e64 s0, s[2:3], v[2:3]
	v_mov_b32_e32 v2, 0
	s_delay_alu instid0(VALU_DEP_2)
	s_and_saveexec_b32 s9, s0
	s_cbranch_execz .LBB466_5189
; %bb.5182:                             ;   in Loop: Header=BB466_2335 Depth=1
	v_lshrrev_b32_e32 v4, 24, v3
	v_bfrev_b32_e32 v2, 1
	s_mov_b32 s12, exec_lo
	s_delay_alu instid0(VALU_DEP_2)
	v_cmpx_ne_u32_e32 0x80, v4
	s_cbranch_execz .LBB466_5188
; %bb.5183:                             ;   in Loop: Header=BB466_2335 Depth=1
	v_bfe_u32 v6, v3, 24, 7
	v_mov_b32_e32 v2, 0x7f800001
	s_mov_b32 s13, exec_lo
	s_delay_alu instid0(VALU_DEP_2)
	v_cmpx_ne_u32_e32 0x7f, v6
	s_cbranch_execz .LBB466_5187
; %bb.5184:                             ;   in Loop: Header=BB466_2335 Depth=1
	v_and_b32_e32 v12, 7, v4
	s_mov_b32 s15, exec_lo
	s_delay_alu instid0(VALU_DEP_1)
	v_dual_mov_b32 v2, v12 :: v_dual_mov_b32 v3, v13
	v_lshrrev_b32_e32 v3, 3, v6
	v_cmpx_gt_u32_e32 8, v6
; %bb.5185:                             ;   in Loop: Header=BB466_2335 Depth=1
	v_clz_i32_u32_e32 v2, v12
	s_delay_alu instid0(VALU_DEP_1) | instskip(NEXT) | instid1(VALU_DEP_1)
	v_min_u32_e32 v5, 32, v2
	v_subrev_nc_u32_e32 v2, 28, v5
	s_delay_alu instid0(VALU_DEP_1) | instskip(SKIP_1) | instid1(VALU_DEP_2)
	v_lshlrev_b64 v[2:3], v2, v[12:13]
	v_sub_nc_u32_e32 v3, 29, v5
	v_and_b32_e32 v2, 7, v2
; %bb.5186:                             ;   in Loop: Header=BB466_2335 Depth=1
	s_or_b32 exec_lo, exec_lo, s15
	v_lshlrev_b32_e32 v4, 24, v4
	s_delay_alu instid0(VALU_DEP_2) | instskip(SKIP_1) | instid1(VALU_DEP_3)
	v_lshlrev_b32_e32 v2, 20, v2
	v_lshl_add_u32 v3, v3, 23, 0x3c000000
	v_and_b32_e32 v4, 0x80000000, v4
	s_delay_alu instid0(VALU_DEP_1)
	v_or3_b32 v2, v2, v4, v3
.LBB466_5187:                           ;   in Loop: Header=BB466_2335 Depth=1
	s_or_b32 exec_lo, exec_lo, s13
.LBB466_5188:                           ;   in Loop: Header=BB466_2335 Depth=1
	s_delay_alu instid0(SALU_CYCLE_1)
	s_or_b32 exec_lo, exec_lo, s12
.LBB466_5189:                           ;   in Loop: Header=BB466_2335 Depth=1
	s_delay_alu instid0(SALU_CYCLE_1) | instskip(NEXT) | instid1(VALU_DEP_1)
	s_or_b32 exec_lo, exec_lo, s9
	v_mul_f32_e32 v3, v26, v2
	s_delay_alu instid0(VALU_DEP_1) | instskip(NEXT) | instid1(VALU_DEP_1)
	v_and_b32_e32 v2, 0x7f800000, v3
	v_cmp_ne_u32_e64 s0, 0x7f800000, v2
                                        ; implicit-def: $vgpr2
	s_delay_alu instid0(VALU_DEP_1) | instskip(NEXT) | instid1(SALU_CYCLE_1)
	s_and_saveexec_b32 s9, s0
	s_xor_b32 s0, exec_lo, s9
; %bb.5190:                             ;   in Loop: Header=BB466_2335 Depth=1
	v_bfe_u32 v2, v3, 16, 1
	s_delay_alu instid0(VALU_DEP_1)
	v_add3_u32 v2, v3, v2, 0x7fff
                                        ; implicit-def: $vgpr3
; %bb.5191:                             ;   in Loop: Header=BB466_2335 Depth=1
	s_and_not1_saveexec_b32 s9, s0
; %bb.5192:                             ;   in Loop: Header=BB466_2335 Depth=1
	v_and_b32_e32 v2, 0xffff, v3
	v_or_b32_e32 v4, 0x10000, v3
	s_delay_alu instid0(VALU_DEP_2) | instskip(NEXT) | instid1(VALU_DEP_1)
	v_cmp_eq_u32_e64 s0, 0, v2
	v_cndmask_b32_e64 v2, v4, v3, s0
; %bb.5193:                             ;   in Loop: Header=BB466_2335 Depth=1
	s_or_b32 exec_lo, exec_lo, s9
	v_lshrrev_b32_e32 v6, 16, v41
	v_lshrrev_b32_e32 v7, 16, v40
	;; [unrolled: 1-line block ×8, first 2 shown]
	s_and_saveexec_b32 s9, vcc_lo
	s_cbranch_execz .LBB466_5195
; %bb.5194:                             ;   in Loop: Header=BB466_2335 Depth=1
	v_cmp_lt_i32_e64 s0, v130, v36
	s_delay_alu instid0(VALU_DEP_1) | instskip(SKIP_1) | instid1(VALU_DEP_1)
	v_cndmask_b32_e64 v4, 0, v4, s0
	v_cmp_lt_i32_e64 s0, v133, v36
	v_cndmask_b32_e64 v181, 0, v181, s0
	v_cmp_lt_i32_e64 s0, v132, v36
	s_delay_alu instid0(VALU_DEP_1) | instskip(SKIP_1) | instid1(VALU_DEP_1)
	v_cndmask_b32_e64 v182, 0, v182, s0
	v_cmp_lt_i32_e64 s0, v131, v36
	v_cndmask_b32_e64 v12, 0, v12, s0
	;; [unrolled: 5-line block ×4, first 2 shown]
.LBB466_5195:                           ;   in Loop: Header=BB466_2335 Depth=1
	s_or_b32 exec_lo, exec_lo, s9
	v_lshlrev_b32_e32 v4, 16, v4
                                        ; implicit-def: $vgpr180
	s_delay_alu instid0(VALU_DEP_1) | instskip(NEXT) | instid1(VALU_DEP_1)
	v_mul_f32_e32 v4, v134, v4
	v_and_b32_e32 v5, 0x7f800000, v4
	s_delay_alu instid0(VALU_DEP_1) | instskip(NEXT) | instid1(VALU_DEP_1)
	v_cmp_ne_u32_e64 s0, 0x7f800000, v5
	s_and_saveexec_b32 s9, s0
	s_delay_alu instid0(SALU_CYCLE_1)
	s_xor_b32 s0, exec_lo, s9
; %bb.5196:                             ;   in Loop: Header=BB466_2335 Depth=1
	v_bfe_u32 v5, v4, 16, 1
	s_delay_alu instid0(VALU_DEP_1)
	v_add3_u32 v180, v4, v5, 0x7fff
                                        ; implicit-def: $vgpr4
; %bb.5197:                             ;   in Loop: Header=BB466_2335 Depth=1
	s_and_not1_saveexec_b32 s9, s0
; %bb.5198:                             ;   in Loop: Header=BB466_2335 Depth=1
	v_and_b32_e32 v5, 0xffff, v4
	v_or_b32_e32 v180, 0x10000, v4
	s_delay_alu instid0(VALU_DEP_2) | instskip(NEXT) | instid1(VALU_DEP_1)
	v_cmp_eq_u32_e64 s0, 0, v5
	v_cndmask_b32_e64 v180, v180, v4, s0
; %bb.5199:                             ;   in Loop: Header=BB466_2335 Depth=1
	s_or_b32 exec_lo, exec_lo, s9
	v_lshlrev_b32_e32 v4, 16, v181
                                        ; implicit-def: $vgpr181
	s_delay_alu instid0(VALU_DEP_1) | instskip(NEXT) | instid1(VALU_DEP_1)
	v_mul_f32_e32 v4, v135, v4
	v_and_b32_e32 v5, 0x7f800000, v4
	s_delay_alu instid0(VALU_DEP_1) | instskip(NEXT) | instid1(VALU_DEP_1)
	v_cmp_ne_u32_e64 s0, 0x7f800000, v5
	s_and_saveexec_b32 s9, s0
	s_delay_alu instid0(SALU_CYCLE_1)
	s_xor_b32 s0, exec_lo, s9
; %bb.5200:                             ;   in Loop: Header=BB466_2335 Depth=1
	v_bfe_u32 v5, v4, 16, 1
	s_delay_alu instid0(VALU_DEP_1)
	v_add3_u32 v181, v4, v5, 0x7fff
                                        ; implicit-def: $vgpr4
; %bb.5201:                             ;   in Loop: Header=BB466_2335 Depth=1
	s_and_not1_saveexec_b32 s9, s0
; %bb.5202:                             ;   in Loop: Header=BB466_2335 Depth=1
	v_and_b32_e32 v5, 0xffff, v4
	v_or_b32_e32 v181, 0x10000, v4
	s_delay_alu instid0(VALU_DEP_2) | instskip(NEXT) | instid1(VALU_DEP_1)
	v_cmp_eq_u32_e64 s0, 0, v5
	v_cndmask_b32_e64 v181, v181, v4, s0
; %bb.5203:                             ;   in Loop: Header=BB466_2335 Depth=1
	s_or_b32 exec_lo, exec_lo, s9
	v_lshlrev_b32_e32 v4, 16, v182
                                        ; implicit-def: $vgpr182
	s_delay_alu instid0(VALU_DEP_1) | instskip(NEXT) | instid1(VALU_DEP_1)
	v_mul_f32_e32 v4, v144, v4
	v_and_b32_e32 v5, 0x7f800000, v4
	s_delay_alu instid0(VALU_DEP_1) | instskip(NEXT) | instid1(VALU_DEP_1)
	v_cmp_ne_u32_e64 s0, 0x7f800000, v5
	s_and_saveexec_b32 s9, s0
	s_delay_alu instid0(SALU_CYCLE_1)
	s_xor_b32 s0, exec_lo, s9
; %bb.5204:                             ;   in Loop: Header=BB466_2335 Depth=1
	v_bfe_u32 v5, v4, 16, 1
	s_delay_alu instid0(VALU_DEP_1)
	v_add3_u32 v182, v4, v5, 0x7fff
                                        ; implicit-def: $vgpr4
; %bb.5205:                             ;   in Loop: Header=BB466_2335 Depth=1
	s_and_not1_saveexec_b32 s9, s0
; %bb.5206:                             ;   in Loop: Header=BB466_2335 Depth=1
	v_and_b32_e32 v5, 0xffff, v4
	v_or_b32_e32 v182, 0x10000, v4
	s_delay_alu instid0(VALU_DEP_2) | instskip(NEXT) | instid1(VALU_DEP_1)
	v_cmp_eq_u32_e64 s0, 0, v5
	v_cndmask_b32_e64 v182, v182, v4, s0
; %bb.5207:                             ;   in Loop: Header=BB466_2335 Depth=1
	s_or_b32 exec_lo, exec_lo, s9
	v_lshlrev_b32_e32 v4, 16, v12
                                        ; implicit-def: $vgpr183
	s_delay_alu instid0(VALU_DEP_1) | instskip(NEXT) | instid1(VALU_DEP_1)
	v_mul_f32_e32 v4, v145, v4
	v_and_b32_e32 v5, 0x7f800000, v4
	s_delay_alu instid0(VALU_DEP_1) | instskip(NEXT) | instid1(VALU_DEP_1)
	v_cmp_ne_u32_e64 s0, 0x7f800000, v5
	s_and_saveexec_b32 s9, s0
	s_delay_alu instid0(SALU_CYCLE_1)
	s_xor_b32 s0, exec_lo, s9
; %bb.5208:                             ;   in Loop: Header=BB466_2335 Depth=1
	v_bfe_u32 v5, v4, 16, 1
	s_delay_alu instid0(VALU_DEP_1)
	v_add3_u32 v183, v4, v5, 0x7fff
                                        ; implicit-def: $vgpr4
; %bb.5209:                             ;   in Loop: Header=BB466_2335 Depth=1
	s_and_not1_saveexec_b32 s9, s0
; %bb.5210:                             ;   in Loop: Header=BB466_2335 Depth=1
	v_and_b32_e32 v5, 0xffff, v4
	v_or_b32_e32 v12, 0x10000, v4
	s_delay_alu instid0(VALU_DEP_2) | instskip(NEXT) | instid1(VALU_DEP_1)
	v_cmp_eq_u32_e64 s0, 0, v5
	v_cndmask_b32_e64 v183, v12, v4, s0
; %bb.5211:                             ;   in Loop: Header=BB466_2335 Depth=1
	s_or_b32 exec_lo, exec_lo, s9
	v_lshlrev_b32_e32 v4, 16, v7
                                        ; implicit-def: $vgpr40
	s_delay_alu instid0(VALU_DEP_1) | instskip(NEXT) | instid1(VALU_DEP_1)
	v_mul_f32_e32 v4, v146, v4
	v_and_b32_e32 v5, 0x7f800000, v4
	s_delay_alu instid0(VALU_DEP_1) | instskip(NEXT) | instid1(VALU_DEP_1)
	v_cmp_ne_u32_e64 s0, 0x7f800000, v5
	s_and_saveexec_b32 s9, s0
	s_delay_alu instid0(SALU_CYCLE_1)
	s_xor_b32 s0, exec_lo, s9
; %bb.5212:                             ;   in Loop: Header=BB466_2335 Depth=1
	v_bfe_u32 v5, v4, 16, 1
	s_delay_alu instid0(VALU_DEP_1)
	v_add3_u32 v40, v4, v5, 0x7fff
                                        ; implicit-def: $vgpr4
; %bb.5213:                             ;   in Loop: Header=BB466_2335 Depth=1
	s_and_not1_saveexec_b32 s9, s0
; %bb.5214:                             ;   in Loop: Header=BB466_2335 Depth=1
	v_and_b32_e32 v5, 0xffff, v4
	v_or_b32_e32 v7, 0x10000, v4
	s_delay_alu instid0(VALU_DEP_2) | instskip(NEXT) | instid1(VALU_DEP_1)
	v_cmp_eq_u32_e64 s0, 0, v5
	v_cndmask_b32_e64 v40, v7, v4, s0
; %bb.5215:                             ;   in Loop: Header=BB466_2335 Depth=1
	s_or_b32 exec_lo, exec_lo, s9
	v_lshlrev_b32_e32 v4, 16, v6
                                        ; implicit-def: $vgpr41
	s_delay_alu instid0(VALU_DEP_1) | instskip(NEXT) | instid1(VALU_DEP_1)
	v_mul_f32_e32 v4, v147, v4
	v_and_b32_e32 v5, 0x7f800000, v4
	s_delay_alu instid0(VALU_DEP_1) | instskip(NEXT) | instid1(VALU_DEP_1)
	v_cmp_ne_u32_e64 s0, 0x7f800000, v5
	s_and_saveexec_b32 s9, s0
	s_delay_alu instid0(SALU_CYCLE_1)
	s_xor_b32 s0, exec_lo, s9
; %bb.5216:                             ;   in Loop: Header=BB466_2335 Depth=1
	v_bfe_u32 v5, v4, 16, 1
	s_delay_alu instid0(VALU_DEP_1)
	v_add3_u32 v41, v4, v5, 0x7fff
                                        ; implicit-def: $vgpr4
; %bb.5217:                             ;   in Loop: Header=BB466_2335 Depth=1
	s_and_not1_saveexec_b32 s9, s0
; %bb.5218:                             ;   in Loop: Header=BB466_2335 Depth=1
	v_and_b32_e32 v5, 0xffff, v4
	v_or_b32_e32 v6, 0x10000, v4
	s_delay_alu instid0(VALU_DEP_2) | instskip(NEXT) | instid1(VALU_DEP_1)
	v_cmp_eq_u32_e64 s0, 0, v5
	v_cndmask_b32_e64 v41, v6, v4, s0
; %bb.5219:                             ;   in Loop: Header=BB466_2335 Depth=1
	s_or_b32 exec_lo, exec_lo, s9
	v_lshlrev_b32_e32 v3, 16, v3
                                        ; implicit-def: $vgpr42
	s_delay_alu instid0(VALU_DEP_1) | instskip(NEXT) | instid1(VALU_DEP_1)
	v_mul_f32_e32 v3, v148, v3
	v_and_b32_e32 v4, 0x7f800000, v3
	s_delay_alu instid0(VALU_DEP_1) | instskip(NEXT) | instid1(VALU_DEP_1)
	v_cmp_ne_u32_e64 s0, 0x7f800000, v4
	s_and_saveexec_b32 s9, s0
	s_delay_alu instid0(SALU_CYCLE_1)
	s_xor_b32 s0, exec_lo, s9
; %bb.5220:                             ;   in Loop: Header=BB466_2335 Depth=1
	v_bfe_u32 v4, v3, 16, 1
	s_delay_alu instid0(VALU_DEP_1)
	v_add3_u32 v42, v3, v4, 0x7fff
                                        ; implicit-def: $vgpr3
; %bb.5221:                             ;   in Loop: Header=BB466_2335 Depth=1
	s_and_not1_saveexec_b32 s9, s0
; %bb.5222:                             ;   in Loop: Header=BB466_2335 Depth=1
	v_and_b32_e32 v4, 0xffff, v3
	v_or_b32_e32 v5, 0x10000, v3
	s_delay_alu instid0(VALU_DEP_2) | instskip(NEXT) | instid1(VALU_DEP_1)
	v_cmp_eq_u32_e64 s0, 0, v4
	v_cndmask_b32_e64 v42, v5, v3, s0
; %bb.5223:                             ;   in Loop: Header=BB466_2335 Depth=1
	s_or_b32 exec_lo, exec_lo, s9
	v_lshlrev_b32_e32 v2, 16, v2
                                        ; implicit-def: $vgpr43
	s_delay_alu instid0(VALU_DEP_1) | instskip(NEXT) | instid1(VALU_DEP_1)
	v_mul_f32_e32 v2, v149, v2
	v_and_b32_e32 v3, 0x7f800000, v2
	s_delay_alu instid0(VALU_DEP_1) | instskip(NEXT) | instid1(VALU_DEP_1)
	v_cmp_ne_u32_e64 s0, 0x7f800000, v3
	s_and_saveexec_b32 s9, s0
	s_delay_alu instid0(SALU_CYCLE_1)
	s_xor_b32 s0, exec_lo, s9
; %bb.5224:                             ;   in Loop: Header=BB466_2335 Depth=1
	v_bfe_u32 v3, v2, 16, 1
	s_delay_alu instid0(VALU_DEP_1)
	v_add3_u32 v43, v2, v3, 0x7fff
                                        ; implicit-def: $vgpr2
; %bb.5225:                             ;   in Loop: Header=BB466_2335 Depth=1
	s_and_not1_saveexec_b32 s9, s0
; %bb.5226:                             ;   in Loop: Header=BB466_2335 Depth=1
	v_and_b32_e32 v3, 0xffff, v2
	v_or_b32_e32 v4, 0x10000, v2
	s_delay_alu instid0(VALU_DEP_2) | instskip(NEXT) | instid1(VALU_DEP_1)
	v_cmp_eq_u32_e64 s0, 0, v3
	v_cndmask_b32_e64 v43, v4, v2, s0
; %bb.5227:                             ;   in Loop: Header=BB466_2335 Depth=1
	s_or_b32 exec_lo, exec_lo, s9
	scratch_load_b32 v2, off, s32 offset:580 ; 4-byte Folded Reload
	s_mov_b32 s9, exec_lo
	v_mov_b32_e32 v4, 0
	s_waitcnt vmcnt(0)
	v_add_co_u32 v2, s0, v0, v2
	s_delay_alu instid0(VALU_DEP_1) | instskip(SKIP_3) | instid1(VALU_DEP_1)
	v_add_co_ci_u32_e64 v3, s0, 0, v1, s0
	flat_load_b64 v[2:3], v[2:3]
	s_waitcnt vmcnt(0) lgkmcnt(0)
	v_and_b32_e32 v5, 0xff, v2
	v_cmpx_ne_u16_e32 0, v5
	s_cbranch_execz .LBB466_5235
; %bb.5228:                             ;   in Loop: Header=BB466_2335 Depth=1
	v_bfrev_b32_e32 v4, 1
	s_mov_b32 s12, exec_lo
	v_cmpx_ne_u16_e32 0x80, v5
	s_cbranch_execz .LBB466_5234
; %bb.5229:                             ;   in Loop: Header=BB466_2335 Depth=1
	v_and_b32_e32 v5, 0x7f, v2
	v_mov_b32_e32 v4, 0x7f800001
	s_mov_b32 s13, exec_lo
	s_delay_alu instid0(VALU_DEP_2)
	v_cmpx_ne_u32_e32 0x7f, v5
	s_cbranch_execz .LBB466_5233
; %bb.5230:                             ;   in Loop: Header=BB466_2335 Depth=1
	v_lshrrev_b32_e32 v4, 3, v5
	v_dual_mov_b32 v7, v3 :: v_dual_mov_b32 v6, v2
	s_mov_b32 s15, exec_lo
	v_cmpx_gt_u32_e32 8, v5
; %bb.5231:                             ;   in Loop: Header=BB466_2335 Depth=1
	v_and_b32_e32 v4, 7, v2
	s_delay_alu instid0(VALU_DEP_1) | instskip(NEXT) | instid1(VALU_DEP_1)
	v_clz_i32_u32_e32 v4, v4
	v_min_u32_e32 v4, 32, v4
	s_delay_alu instid0(VALU_DEP_1) | instskip(SKIP_1) | instid1(VALU_DEP_2)
	v_subrev_nc_u32_e32 v5, 28, v4
	v_sub_nc_u32_e32 v4, 29, v4
	v_lshlrev_b64 v[6:7], v5, v[2:3]
; %bb.5232:                             ;   in Loop: Header=BB466_2335 Depth=1
	s_or_b32 exec_lo, exec_lo, s15
	s_delay_alu instid0(VALU_DEP_1) | instskip(SKIP_2) | instid1(VALU_DEP_3)
	v_lshlrev_b32_e32 v5, 20, v6
	v_lshlrev_b32_e32 v6, 24, v2
	v_lshl_add_u32 v4, v4, 23, 0x3c000000
	v_and_b32_e32 v5, 0x700000, v5
	s_delay_alu instid0(VALU_DEP_3) | instskip(NEXT) | instid1(VALU_DEP_1)
	v_and_b32_e32 v6, 0x80000000, v6
	v_or3_b32 v4, v5, v6, v4
.LBB466_5233:                           ;   in Loop: Header=BB466_2335 Depth=1
	s_or_b32 exec_lo, exec_lo, s13
.LBB466_5234:                           ;   in Loop: Header=BB466_2335 Depth=1
	s_delay_alu instid0(SALU_CYCLE_1)
	s_or_b32 exec_lo, exec_lo, s12
.LBB466_5235:                           ;   in Loop: Header=BB466_2335 Depth=1
	s_delay_alu instid0(SALU_CYCLE_1) | instskip(NEXT) | instid1(VALU_DEP_1)
	s_or_b32 exec_lo, exec_lo, s9
	v_mul_f32_e32 v4, v26, v4
                                        ; implicit-def: $vgpr44
	s_delay_alu instid0(VALU_DEP_1) | instskip(NEXT) | instid1(VALU_DEP_1)
	v_and_b32_e32 v5, 0x7f800000, v4
	v_cmp_ne_u32_e64 s0, 0x7f800000, v5
	s_delay_alu instid0(VALU_DEP_1) | instskip(NEXT) | instid1(SALU_CYCLE_1)
	s_and_saveexec_b32 s9, s0
	s_xor_b32 s0, exec_lo, s9
; %bb.5236:                             ;   in Loop: Header=BB466_2335 Depth=1
	v_bfe_u32 v5, v4, 16, 1
	s_delay_alu instid0(VALU_DEP_1)
	v_add3_u32 v44, v4, v5, 0x7fff
                                        ; implicit-def: $vgpr4
; %bb.5237:                             ;   in Loop: Header=BB466_2335 Depth=1
	s_and_not1_saveexec_b32 s9, s0
; %bb.5238:                             ;   in Loop: Header=BB466_2335 Depth=1
	v_and_b32_e32 v5, 0xffff, v4
	v_or_b32_e32 v6, 0x10000, v4
	s_delay_alu instid0(VALU_DEP_2) | instskip(NEXT) | instid1(VALU_DEP_1)
	v_cmp_eq_u32_e64 s0, 0, v5
	v_cndmask_b32_e64 v44, v6, v4, s0
; %bb.5239:                             ;   in Loop: Header=BB466_2335 Depth=1
	s_or_b32 exec_lo, exec_lo, s9
	v_lshrrev_b16 v5, 8, v2
	v_mov_b32_e32 v4, 0
	s_mov_b32 s9, exec_lo
	s_delay_alu instid0(VALU_DEP_2)
	v_cmpx_ne_u16_e32 0, v5
	s_cbranch_execz .LBB466_5247
; %bb.5240:                             ;   in Loop: Header=BB466_2335 Depth=1
	v_bfrev_b32_e32 v4, 1
	s_mov_b32 s12, exec_lo
	v_cmpx_ne_u16_e32 0x80, v5
	s_cbranch_execz .LBB466_5246
; %bb.5241:                             ;   in Loop: Header=BB466_2335 Depth=1
	v_and_b32_e32 v5, 0xffff, v5
	v_mov_b32_e32 v4, 0x7f800001
	s_mov_b32 s13, exec_lo
	s_delay_alu instid0(VALU_DEP_2) | instskip(NEXT) | instid1(VALU_DEP_1)
	v_and_b32_e32 v45, 0x7f, v5
	v_cmpx_ne_u32_e32 0x7f, v45
	s_cbranch_execz .LBB466_5245
; %bb.5242:                             ;   in Loop: Header=BB466_2335 Depth=1
	v_and_b32_e32 v12, 7, v5
	v_lshrrev_b32_e32 v4, 3, v45
	s_mov_b32 s15, exec_lo
	s_delay_alu instid0(VALU_DEP_2)
	v_dual_mov_b32 v6, v12 :: v_dual_mov_b32 v7, v13
	v_cmpx_gt_u32_e32 8, v45
; %bb.5243:                             ;   in Loop: Header=BB466_2335 Depth=1
	v_clz_i32_u32_e32 v4, v12
	s_delay_alu instid0(VALU_DEP_1) | instskip(NEXT) | instid1(VALU_DEP_1)
	v_min_u32_e32 v4, 32, v4
	v_subrev_nc_u32_e32 v5, 28, v4
	v_sub_nc_u32_e32 v4, 29, v4
	s_delay_alu instid0(VALU_DEP_2) | instskip(NEXT) | instid1(VALU_DEP_1)
	v_lshlrev_b64 v[5:6], v5, v[12:13]
	v_and_b32_e32 v6, 7, v5
; %bb.5244:                             ;   in Loop: Header=BB466_2335 Depth=1
	s_or_b32 exec_lo, exec_lo, s15
	v_lshlrev_b32_e32 v5, 16, v2
	s_delay_alu instid0(VALU_DEP_2) | instskip(SKIP_1) | instid1(VALU_DEP_3)
	v_lshlrev_b32_e32 v6, 20, v6
	v_lshl_add_u32 v4, v4, 23, 0x3c000000
	v_and_b32_e32 v5, 0x80000000, v5
	s_delay_alu instid0(VALU_DEP_1)
	v_or3_b32 v4, v6, v5, v4
.LBB466_5245:                           ;   in Loop: Header=BB466_2335 Depth=1
	s_or_b32 exec_lo, exec_lo, s13
.LBB466_5246:                           ;   in Loop: Header=BB466_2335 Depth=1
	s_delay_alu instid0(SALU_CYCLE_1)
	s_or_b32 exec_lo, exec_lo, s12
.LBB466_5247:                           ;   in Loop: Header=BB466_2335 Depth=1
	s_delay_alu instid0(SALU_CYCLE_1) | instskip(NEXT) | instid1(VALU_DEP_1)
	s_or_b32 exec_lo, exec_lo, s9
	v_mul_f32_e32 v4, v26, v4
                                        ; implicit-def: $vgpr45
	s_delay_alu instid0(VALU_DEP_1) | instskip(NEXT) | instid1(VALU_DEP_1)
	v_and_b32_e32 v5, 0x7f800000, v4
	v_cmp_ne_u32_e64 s0, 0x7f800000, v5
	s_delay_alu instid0(VALU_DEP_1) | instskip(NEXT) | instid1(SALU_CYCLE_1)
	s_and_saveexec_b32 s9, s0
	s_xor_b32 s0, exec_lo, s9
; %bb.5248:                             ;   in Loop: Header=BB466_2335 Depth=1
	v_bfe_u32 v5, v4, 16, 1
	s_delay_alu instid0(VALU_DEP_1)
	v_add3_u32 v45, v4, v5, 0x7fff
                                        ; implicit-def: $vgpr4
; %bb.5249:                             ;   in Loop: Header=BB466_2335 Depth=1
	s_and_not1_saveexec_b32 s9, s0
; %bb.5250:                             ;   in Loop: Header=BB466_2335 Depth=1
	v_and_b32_e32 v5, 0xffff, v4
	v_or_b32_e32 v6, 0x10000, v4
	s_delay_alu instid0(VALU_DEP_2) | instskip(NEXT) | instid1(VALU_DEP_1)
	v_cmp_eq_u32_e64 s0, 0, v5
	v_cndmask_b32_e64 v45, v6, v4, s0
; %bb.5251:                             ;   in Loop: Header=BB466_2335 Depth=1
	s_or_b32 exec_lo, exec_lo, s9
	v_lshrrev_b32_e32 v46, 16, v2
	s_mov_b32 s9, exec_lo
	s_delay_alu instid0(VALU_DEP_1) | instskip(NEXT) | instid1(VALU_DEP_1)
	v_dual_mov_b32 v4, 0 :: v_dual_and_b32 v5, 0xff, v46
	v_cmpx_ne_u16_e32 0, v5
	s_cbranch_execz .LBB466_5259
; %bb.5252:                             ;   in Loop: Header=BB466_2335 Depth=1
	v_bfrev_b32_e32 v4, 1
	s_mov_b32 s12, exec_lo
	v_cmpx_ne_u16_e32 0x80, v5
	s_cbranch_execz .LBB466_5258
; %bb.5253:                             ;   in Loop: Header=BB466_2335 Depth=1
	v_bfe_u32 v47, v2, 16, 7
	v_mov_b32_e32 v4, 0x7f800001
	s_mov_b32 s13, exec_lo
	s_delay_alu instid0(VALU_DEP_2)
	v_cmpx_ne_u32_e32 0x7f, v47
	s_cbranch_execz .LBB466_5257
; %bb.5254:                             ;   in Loop: Header=BB466_2335 Depth=1
	v_and_b32_e32 v12, 7, v46
	v_lshrrev_b32_e32 v4, 3, v47
	s_mov_b32 s15, exec_lo
	s_delay_alu instid0(VALU_DEP_2)
	v_dual_mov_b32 v6, v12 :: v_dual_mov_b32 v7, v13
	v_cmpx_gt_u32_e32 8, v47
; %bb.5255:                             ;   in Loop: Header=BB466_2335 Depth=1
	v_clz_i32_u32_e32 v4, v12
	s_delay_alu instid0(VALU_DEP_1) | instskip(NEXT) | instid1(VALU_DEP_1)
	v_min_u32_e32 v4, 32, v4
	v_subrev_nc_u32_e32 v5, 28, v4
	v_sub_nc_u32_e32 v4, 29, v4
	s_delay_alu instid0(VALU_DEP_2) | instskip(NEXT) | instid1(VALU_DEP_1)
	v_lshlrev_b64 v[5:6], v5, v[12:13]
	v_and_b32_e32 v6, 7, v5
; %bb.5256:                             ;   in Loop: Header=BB466_2335 Depth=1
	s_or_b32 exec_lo, exec_lo, s15
	v_lshlrev_b32_e32 v5, 24, v46
	s_delay_alu instid0(VALU_DEP_2) | instskip(SKIP_1) | instid1(VALU_DEP_3)
	v_lshlrev_b32_e32 v6, 20, v6
	v_lshl_add_u32 v4, v4, 23, 0x3c000000
	v_and_b32_e32 v5, 0x80000000, v5
	s_delay_alu instid0(VALU_DEP_1)
	v_or3_b32 v4, v6, v5, v4
.LBB466_5257:                           ;   in Loop: Header=BB466_2335 Depth=1
	s_or_b32 exec_lo, exec_lo, s13
.LBB466_5258:                           ;   in Loop: Header=BB466_2335 Depth=1
	s_delay_alu instid0(SALU_CYCLE_1)
	s_or_b32 exec_lo, exec_lo, s12
.LBB466_5259:                           ;   in Loop: Header=BB466_2335 Depth=1
	s_delay_alu instid0(SALU_CYCLE_1) | instskip(NEXT) | instid1(VALU_DEP_1)
	s_or_b32 exec_lo, exec_lo, s9
	v_mul_f32_e32 v4, v26, v4
                                        ; implicit-def: $vgpr46
	s_delay_alu instid0(VALU_DEP_1) | instskip(NEXT) | instid1(VALU_DEP_1)
	v_and_b32_e32 v5, 0x7f800000, v4
	v_cmp_ne_u32_e64 s0, 0x7f800000, v5
	s_delay_alu instid0(VALU_DEP_1) | instskip(NEXT) | instid1(SALU_CYCLE_1)
	s_and_saveexec_b32 s9, s0
	s_xor_b32 s0, exec_lo, s9
; %bb.5260:                             ;   in Loop: Header=BB466_2335 Depth=1
	v_bfe_u32 v5, v4, 16, 1
	s_delay_alu instid0(VALU_DEP_1)
	v_add3_u32 v46, v4, v5, 0x7fff
                                        ; implicit-def: $vgpr4
; %bb.5261:                             ;   in Loop: Header=BB466_2335 Depth=1
	s_and_not1_saveexec_b32 s9, s0
; %bb.5262:                             ;   in Loop: Header=BB466_2335 Depth=1
	v_and_b32_e32 v5, 0xffff, v4
	v_or_b32_e32 v6, 0x10000, v4
	s_delay_alu instid0(VALU_DEP_2) | instskip(NEXT) | instid1(VALU_DEP_1)
	v_cmp_eq_u32_e64 s0, 0, v5
	v_cndmask_b32_e64 v46, v6, v4, s0
; %bb.5263:                             ;   in Loop: Header=BB466_2335 Depth=1
	s_or_b32 exec_lo, exec_lo, s9
	v_mov_b32_e32 v6, 0
	s_mov_b32 s9, exec_lo
	v_cmpx_lt_u32_e32 0xffffff, v2
	s_cbranch_execz .LBB466_5271
; %bb.5264:                             ;   in Loop: Header=BB466_2335 Depth=1
	v_lshrrev_b32_e32 v4, 24, v2
	v_bfrev_b32_e32 v6, 1
	s_mov_b32 s12, exec_lo
	s_delay_alu instid0(VALU_DEP_2)
	v_cmpx_ne_u32_e32 0x80, v4
	s_cbranch_execz .LBB466_5270
; %bb.5265:                             ;   in Loop: Header=BB466_2335 Depth=1
	v_bfe_u32 v47, v2, 24, 7
	v_mov_b32_e32 v6, 0x7f800001
	s_mov_b32 s13, exec_lo
	s_delay_alu instid0(VALU_DEP_2)
	v_cmpx_ne_u32_e32 0x7f, v47
	s_cbranch_execz .LBB466_5269
; %bb.5266:                             ;   in Loop: Header=BB466_2335 Depth=1
	v_and_b32_e32 v12, 7, v4
	s_mov_b32 s15, exec_lo
	s_delay_alu instid0(VALU_DEP_1)
	v_dual_mov_b32 v6, v12 :: v_dual_mov_b32 v7, v13
	v_lshrrev_b32_e32 v7, 3, v47
	v_cmpx_gt_u32_e32 8, v47
; %bb.5267:                             ;   in Loop: Header=BB466_2335 Depth=1
	v_clz_i32_u32_e32 v5, v12
	s_delay_alu instid0(VALU_DEP_1) | instskip(NEXT) | instid1(VALU_DEP_1)
	v_min_u32_e32 v7, 32, v5
	v_subrev_nc_u32_e32 v5, 28, v7
	v_sub_nc_u32_e32 v7, 29, v7
	s_delay_alu instid0(VALU_DEP_2) | instskip(NEXT) | instid1(VALU_DEP_1)
	v_lshlrev_b64 v[5:6], v5, v[12:13]
	v_and_b32_e32 v6, 7, v5
; %bb.5268:                             ;   in Loop: Header=BB466_2335 Depth=1
	s_or_b32 exec_lo, exec_lo, s15
	v_lshlrev_b32_e32 v4, 24, v4
	s_delay_alu instid0(VALU_DEP_2) | instskip(SKIP_1) | instid1(VALU_DEP_3)
	v_lshlrev_b32_e32 v5, 20, v6
	v_lshl_add_u32 v6, v7, 23, 0x3c000000
	v_and_b32_e32 v4, 0x80000000, v4
	s_delay_alu instid0(VALU_DEP_1)
	v_or3_b32 v6, v5, v4, v6
.LBB466_5269:                           ;   in Loop: Header=BB466_2335 Depth=1
	s_or_b32 exec_lo, exec_lo, s13
.LBB466_5270:                           ;   in Loop: Header=BB466_2335 Depth=1
	s_delay_alu instid0(SALU_CYCLE_1)
	s_or_b32 exec_lo, exec_lo, s12
.LBB466_5271:                           ;   in Loop: Header=BB466_2335 Depth=1
	s_delay_alu instid0(SALU_CYCLE_1) | instskip(NEXT) | instid1(VALU_DEP_1)
	s_or_b32 exec_lo, exec_lo, s9
	v_mul_f32_e32 v4, v26, v6
                                        ; implicit-def: $vgpr47
	s_delay_alu instid0(VALU_DEP_1) | instskip(NEXT) | instid1(VALU_DEP_1)
	v_and_b32_e32 v5, 0x7f800000, v4
	v_cmp_ne_u32_e64 s0, 0x7f800000, v5
	s_delay_alu instid0(VALU_DEP_1) | instskip(NEXT) | instid1(SALU_CYCLE_1)
	s_and_saveexec_b32 s9, s0
	s_xor_b32 s0, exec_lo, s9
; %bb.5272:                             ;   in Loop: Header=BB466_2335 Depth=1
	v_bfe_u32 v5, v4, 16, 1
	s_delay_alu instid0(VALU_DEP_1)
	v_add3_u32 v47, v4, v5, 0x7fff
                                        ; implicit-def: $vgpr4
; %bb.5273:                             ;   in Loop: Header=BB466_2335 Depth=1
	s_and_not1_saveexec_b32 s9, s0
; %bb.5274:                             ;   in Loop: Header=BB466_2335 Depth=1
	v_and_b32_e32 v5, 0xffff, v4
	v_or_b32_e32 v6, 0x10000, v4
	s_delay_alu instid0(VALU_DEP_2) | instskip(NEXT) | instid1(VALU_DEP_1)
	v_cmp_eq_u32_e64 s0, 0, v5
	v_cndmask_b32_e64 v47, v6, v4, s0
; %bb.5275:                             ;   in Loop: Header=BB466_2335 Depth=1
	s_or_b32 exec_lo, exec_lo, s9
	v_dual_mov_b32 v12, v3 :: v_dual_and_b32 v5, 0xff, v3
	v_mov_b32_e32 v4, 0
	s_mov_b32 s9, exec_lo
	s_delay_alu instid0(VALU_DEP_2)
	v_cmpx_ne_u16_e32 0, v5
	s_cbranch_execz .LBB466_5283
; %bb.5276:                             ;   in Loop: Header=BB466_2335 Depth=1
	v_bfrev_b32_e32 v4, 1
	s_mov_b32 s12, exec_lo
	v_cmpx_ne_u16_e32 0x80, v5
	s_cbranch_execz .LBB466_5282
; %bb.5277:                             ;   in Loop: Header=BB466_2335 Depth=1
	v_and_b32_e32 v5, 0x7f, v3
	v_mov_b32_e32 v4, 0x7f800001
	s_mov_b32 s13, exec_lo
	s_delay_alu instid0(VALU_DEP_2)
	v_cmpx_ne_u32_e32 0x7f, v5
	s_cbranch_execz .LBB466_5281
; %bb.5278:                             ;   in Loop: Header=BB466_2335 Depth=1
	v_dual_mov_b32 v6, v12 :: v_dual_mov_b32 v7, v13
	v_lshrrev_b32_e32 v4, 3, v5
	s_mov_b32 s15, exec_lo
	v_cmpx_gt_u32_e32 8, v5
; %bb.5279:                             ;   in Loop: Header=BB466_2335 Depth=1
	v_and_b32_e32 v4, 7, v3
	s_delay_alu instid0(VALU_DEP_1) | instskip(NEXT) | instid1(VALU_DEP_1)
	v_clz_i32_u32_e32 v4, v4
	v_min_u32_e32 v4, 32, v4
	s_delay_alu instid0(VALU_DEP_1) | instskip(SKIP_1) | instid1(VALU_DEP_2)
	v_subrev_nc_u32_e32 v5, 28, v4
	v_sub_nc_u32_e32 v4, 29, v4
	v_lshlrev_b64 v[6:7], v5, v[12:13]
; %bb.5280:                             ;   in Loop: Header=BB466_2335 Depth=1
	s_or_b32 exec_lo, exec_lo, s15
	s_delay_alu instid0(VALU_DEP_1) | instskip(SKIP_2) | instid1(VALU_DEP_3)
	v_lshlrev_b32_e32 v5, 20, v6
	v_lshlrev_b32_e32 v6, 24, v12
	v_lshl_add_u32 v4, v4, 23, 0x3c000000
	v_and_b32_e32 v5, 0x700000, v5
	s_delay_alu instid0(VALU_DEP_3) | instskip(NEXT) | instid1(VALU_DEP_1)
	v_and_b32_e32 v6, 0x80000000, v6
	v_or3_b32 v4, v5, v6, v4
.LBB466_5281:                           ;   in Loop: Header=BB466_2335 Depth=1
	s_or_b32 exec_lo, exec_lo, s13
.LBB466_5282:                           ;   in Loop: Header=BB466_2335 Depth=1
	s_delay_alu instid0(SALU_CYCLE_1)
	s_or_b32 exec_lo, exec_lo, s12
.LBB466_5283:                           ;   in Loop: Header=BB466_2335 Depth=1
	s_delay_alu instid0(SALU_CYCLE_1) | instskip(NEXT) | instid1(VALU_DEP_1)
	s_or_b32 exec_lo, exec_lo, s9
	v_mul_f32_e32 v4, v26, v4
                                        ; implicit-def: $vgpr56
	s_delay_alu instid0(VALU_DEP_1) | instskip(NEXT) | instid1(VALU_DEP_1)
	v_and_b32_e32 v5, 0x7f800000, v4
	v_cmp_ne_u32_e64 s0, 0x7f800000, v5
	s_delay_alu instid0(VALU_DEP_1) | instskip(NEXT) | instid1(SALU_CYCLE_1)
	s_and_saveexec_b32 s9, s0
	s_xor_b32 s0, exec_lo, s9
; %bb.5284:                             ;   in Loop: Header=BB466_2335 Depth=1
	v_bfe_u32 v5, v4, 16, 1
	s_delay_alu instid0(VALU_DEP_1)
	v_add3_u32 v56, v4, v5, 0x7fff
                                        ; implicit-def: $vgpr4
; %bb.5285:                             ;   in Loop: Header=BB466_2335 Depth=1
	s_and_not1_saveexec_b32 s9, s0
; %bb.5286:                             ;   in Loop: Header=BB466_2335 Depth=1
	v_and_b32_e32 v5, 0xffff, v4
	v_or_b32_e32 v6, 0x10000, v4
	s_delay_alu instid0(VALU_DEP_2) | instskip(NEXT) | instid1(VALU_DEP_1)
	v_cmp_eq_u32_e64 s0, 0, v5
	v_cndmask_b32_e64 v56, v6, v4, s0
; %bb.5287:                             ;   in Loop: Header=BB466_2335 Depth=1
	s_or_b32 exec_lo, exec_lo, s9
	v_lshrrev_b16 v5, 8, v12
	v_mov_b32_e32 v4, 0
	s_mov_b32 s9, exec_lo
	s_delay_alu instid0(VALU_DEP_2)
	v_cmpx_ne_u16_e32 0, v5
	s_cbranch_execz .LBB466_5295
; %bb.5288:                             ;   in Loop: Header=BB466_2335 Depth=1
	v_bfrev_b32_e32 v4, 1
	s_mov_b32 s12, exec_lo
	v_cmpx_ne_u16_e32 0x80, v5
	s_cbranch_execz .LBB466_5294
; %bb.5289:                             ;   in Loop: Header=BB466_2335 Depth=1
	v_and_b32_e32 v6, 0xffff, v5
	v_mov_b32_e32 v4, 0x7f800001
	s_mov_b32 s13, exec_lo
	s_delay_alu instid0(VALU_DEP_2) | instskip(NEXT) | instid1(VALU_DEP_1)
	v_and_b32_e32 v5, 0x7f, v6
	v_cmpx_ne_u32_e32 0x7f, v5
	s_cbranch_execz .LBB466_5293
; %bb.5290:                             ;   in Loop: Header=BB466_2335 Depth=1
	v_dual_mov_b32 v7, v13 :: v_dual_and_b32 v6, 7, v6
	v_lshrrev_b32_e32 v4, 3, v5
	s_mov_b32 s15, exec_lo
	v_cmpx_gt_u32_e32 8, v5
; %bb.5291:                             ;   in Loop: Header=BB466_2335 Depth=1
	s_delay_alu instid0(VALU_DEP_3) | instskip(NEXT) | instid1(VALU_DEP_1)
	v_clz_i32_u32_e32 v4, v6
	v_min_u32_e32 v4, 32, v4
	s_delay_alu instid0(VALU_DEP_1) | instskip(SKIP_1) | instid1(VALU_DEP_2)
	v_subrev_nc_u32_e32 v5, 28, v4
	v_sub_nc_u32_e32 v4, 29, v4
	v_lshlrev_b64 v[5:6], v5, v[6:7]
	s_delay_alu instid0(VALU_DEP_1)
	v_and_b32_e32 v6, 7, v5
; %bb.5292:                             ;   in Loop: Header=BB466_2335 Depth=1
	s_or_b32 exec_lo, exec_lo, s15
	v_lshlrev_b32_e32 v5, 16, v12
	s_delay_alu instid0(VALU_DEP_2) | instskip(SKIP_1) | instid1(VALU_DEP_3)
	v_lshlrev_b32_e32 v6, 20, v6
	v_lshl_add_u32 v4, v4, 23, 0x3c000000
	v_and_b32_e32 v5, 0x80000000, v5
	s_delay_alu instid0(VALU_DEP_1)
	v_or3_b32 v4, v6, v5, v4
.LBB466_5293:                           ;   in Loop: Header=BB466_2335 Depth=1
	s_or_b32 exec_lo, exec_lo, s13
.LBB466_5294:                           ;   in Loop: Header=BB466_2335 Depth=1
	s_delay_alu instid0(SALU_CYCLE_1)
	s_or_b32 exec_lo, exec_lo, s12
.LBB466_5295:                           ;   in Loop: Header=BB466_2335 Depth=1
	s_delay_alu instid0(SALU_CYCLE_1) | instskip(NEXT) | instid1(VALU_DEP_1)
	s_or_b32 exec_lo, exec_lo, s9
	v_mul_f32_e32 v4, v26, v4
                                        ; implicit-def: $vgpr57
	s_delay_alu instid0(VALU_DEP_1) | instskip(NEXT) | instid1(VALU_DEP_1)
	v_and_b32_e32 v5, 0x7f800000, v4
	v_cmp_ne_u32_e64 s0, 0x7f800000, v5
	s_delay_alu instid0(VALU_DEP_1) | instskip(NEXT) | instid1(SALU_CYCLE_1)
	s_and_saveexec_b32 s9, s0
	s_xor_b32 s0, exec_lo, s9
; %bb.5296:                             ;   in Loop: Header=BB466_2335 Depth=1
	v_bfe_u32 v5, v4, 16, 1
	s_delay_alu instid0(VALU_DEP_1)
	v_add3_u32 v57, v4, v5, 0x7fff
                                        ; implicit-def: $vgpr4
; %bb.5297:                             ;   in Loop: Header=BB466_2335 Depth=1
	s_and_not1_saveexec_b32 s9, s0
; %bb.5298:                             ;   in Loop: Header=BB466_2335 Depth=1
	v_and_b32_e32 v5, 0xffff, v4
	v_or_b32_e32 v6, 0x10000, v4
	s_delay_alu instid0(VALU_DEP_2) | instskip(NEXT) | instid1(VALU_DEP_1)
	v_cmp_eq_u32_e64 s0, 0, v5
	v_cndmask_b32_e64 v57, v6, v4, s0
; %bb.5299:                             ;   in Loop: Header=BB466_2335 Depth=1
	s_or_b32 exec_lo, exec_lo, s9
	v_lshrrev_b32_e32 v58, 16, v3
	s_mov_b32 s9, exec_lo
	s_delay_alu instid0(VALU_DEP_1) | instskip(NEXT) | instid1(VALU_DEP_1)
	v_dual_mov_b32 v4, 0 :: v_dual_and_b32 v5, 0xff, v58
	v_cmpx_ne_u16_e32 0, v5
	s_cbranch_execz .LBB466_5307
; %bb.5300:                             ;   in Loop: Header=BB466_2335 Depth=1
	v_bfrev_b32_e32 v4, 1
	s_mov_b32 s12, exec_lo
	v_cmpx_ne_u16_e32 0x80, v5
	s_cbranch_execz .LBB466_5306
; %bb.5301:                             ;   in Loop: Header=BB466_2335 Depth=1
	v_bfe_u32 v59, v3, 16, 7
	v_mov_b32_e32 v4, 0x7f800001
	s_mov_b32 s13, exec_lo
	s_delay_alu instid0(VALU_DEP_2)
	v_cmpx_ne_u32_e32 0x7f, v59
	s_cbranch_execz .LBB466_5305
; %bb.5302:                             ;   in Loop: Header=BB466_2335 Depth=1
	v_and_b32_e32 v12, 7, v58
	v_lshrrev_b32_e32 v4, 3, v59
	s_mov_b32 s15, exec_lo
	s_delay_alu instid0(VALU_DEP_2)
	v_dual_mov_b32 v6, v12 :: v_dual_mov_b32 v7, v13
	v_cmpx_gt_u32_e32 8, v59
; %bb.5303:                             ;   in Loop: Header=BB466_2335 Depth=1
	v_clz_i32_u32_e32 v4, v12
	s_delay_alu instid0(VALU_DEP_1) | instskip(NEXT) | instid1(VALU_DEP_1)
	v_min_u32_e32 v4, 32, v4
	v_subrev_nc_u32_e32 v5, 28, v4
	v_sub_nc_u32_e32 v4, 29, v4
	s_delay_alu instid0(VALU_DEP_2) | instskip(NEXT) | instid1(VALU_DEP_1)
	v_lshlrev_b64 v[5:6], v5, v[12:13]
	v_and_b32_e32 v6, 7, v5
; %bb.5304:                             ;   in Loop: Header=BB466_2335 Depth=1
	s_or_b32 exec_lo, exec_lo, s15
	v_lshlrev_b32_e32 v5, 24, v58
	s_delay_alu instid0(VALU_DEP_2) | instskip(SKIP_1) | instid1(VALU_DEP_3)
	v_lshlrev_b32_e32 v6, 20, v6
	v_lshl_add_u32 v4, v4, 23, 0x3c000000
	v_and_b32_e32 v5, 0x80000000, v5
	s_delay_alu instid0(VALU_DEP_1)
	v_or3_b32 v4, v6, v5, v4
.LBB466_5305:                           ;   in Loop: Header=BB466_2335 Depth=1
	s_or_b32 exec_lo, exec_lo, s13
.LBB466_5306:                           ;   in Loop: Header=BB466_2335 Depth=1
	s_delay_alu instid0(SALU_CYCLE_1)
	s_or_b32 exec_lo, exec_lo, s12
.LBB466_5307:                           ;   in Loop: Header=BB466_2335 Depth=1
	s_delay_alu instid0(SALU_CYCLE_1) | instskip(NEXT) | instid1(VALU_DEP_1)
	s_or_b32 exec_lo, exec_lo, s9
	v_mul_f32_e32 v4, v26, v4
                                        ; implicit-def: $vgpr58
	s_delay_alu instid0(VALU_DEP_1) | instskip(NEXT) | instid1(VALU_DEP_1)
	v_and_b32_e32 v5, 0x7f800000, v4
	v_cmp_ne_u32_e64 s0, 0x7f800000, v5
	s_delay_alu instid0(VALU_DEP_1) | instskip(NEXT) | instid1(SALU_CYCLE_1)
	s_and_saveexec_b32 s9, s0
	s_xor_b32 s0, exec_lo, s9
; %bb.5308:                             ;   in Loop: Header=BB466_2335 Depth=1
	v_bfe_u32 v5, v4, 16, 1
	s_delay_alu instid0(VALU_DEP_1)
	v_add3_u32 v58, v4, v5, 0x7fff
                                        ; implicit-def: $vgpr4
; %bb.5309:                             ;   in Loop: Header=BB466_2335 Depth=1
	s_and_not1_saveexec_b32 s9, s0
; %bb.5310:                             ;   in Loop: Header=BB466_2335 Depth=1
	v_and_b32_e32 v5, 0xffff, v4
	v_or_b32_e32 v6, 0x10000, v4
	s_delay_alu instid0(VALU_DEP_2) | instskip(NEXT) | instid1(VALU_DEP_1)
	v_cmp_eq_u32_e64 s0, 0, v5
	v_cndmask_b32_e64 v58, v6, v4, s0
; %bb.5311:                             ;   in Loop: Header=BB466_2335 Depth=1
	s_or_b32 exec_lo, exec_lo, s9
	v_cmp_lt_u64_e64 s0, s[2:3], v[2:3]
	v_mov_b32_e32 v2, 0
	s_delay_alu instid0(VALU_DEP_2)
	s_and_saveexec_b32 s9, s0
	s_cbranch_execz .LBB466_5319
; %bb.5312:                             ;   in Loop: Header=BB466_2335 Depth=1
	v_lshrrev_b32_e32 v4, 24, v3
	v_bfrev_b32_e32 v2, 1
	s_mov_b32 s12, exec_lo
	s_delay_alu instid0(VALU_DEP_2)
	v_cmpx_ne_u32_e32 0x80, v4
	s_cbranch_execz .LBB466_5318
; %bb.5313:                             ;   in Loop: Header=BB466_2335 Depth=1
	v_bfe_u32 v6, v3, 24, 7
	v_mov_b32_e32 v2, 0x7f800001
	s_mov_b32 s13, exec_lo
	s_delay_alu instid0(VALU_DEP_2)
	v_cmpx_ne_u32_e32 0x7f, v6
	s_cbranch_execz .LBB466_5317
; %bb.5314:                             ;   in Loop: Header=BB466_2335 Depth=1
	v_and_b32_e32 v12, 7, v4
	s_mov_b32 s15, exec_lo
	s_delay_alu instid0(VALU_DEP_1)
	v_dual_mov_b32 v2, v12 :: v_dual_mov_b32 v3, v13
	v_lshrrev_b32_e32 v3, 3, v6
	v_cmpx_gt_u32_e32 8, v6
; %bb.5315:                             ;   in Loop: Header=BB466_2335 Depth=1
	v_clz_i32_u32_e32 v2, v12
	s_delay_alu instid0(VALU_DEP_1) | instskip(NEXT) | instid1(VALU_DEP_1)
	v_min_u32_e32 v5, 32, v2
	v_subrev_nc_u32_e32 v2, 28, v5
	s_delay_alu instid0(VALU_DEP_1) | instskip(SKIP_1) | instid1(VALU_DEP_2)
	v_lshlrev_b64 v[2:3], v2, v[12:13]
	v_sub_nc_u32_e32 v3, 29, v5
	v_and_b32_e32 v2, 7, v2
; %bb.5316:                             ;   in Loop: Header=BB466_2335 Depth=1
	s_or_b32 exec_lo, exec_lo, s15
	v_lshlrev_b32_e32 v4, 24, v4
	s_delay_alu instid0(VALU_DEP_2) | instskip(SKIP_1) | instid1(VALU_DEP_3)
	v_lshlrev_b32_e32 v2, 20, v2
	v_lshl_add_u32 v3, v3, 23, 0x3c000000
	v_and_b32_e32 v4, 0x80000000, v4
	s_delay_alu instid0(VALU_DEP_1)
	v_or3_b32 v2, v2, v4, v3
.LBB466_5317:                           ;   in Loop: Header=BB466_2335 Depth=1
	s_or_b32 exec_lo, exec_lo, s13
.LBB466_5318:                           ;   in Loop: Header=BB466_2335 Depth=1
	s_delay_alu instid0(SALU_CYCLE_1)
	s_or_b32 exec_lo, exec_lo, s12
.LBB466_5319:                           ;   in Loop: Header=BB466_2335 Depth=1
	s_delay_alu instid0(SALU_CYCLE_1) | instskip(NEXT) | instid1(VALU_DEP_1)
	s_or_b32 exec_lo, exec_lo, s9
	v_mul_f32_e32 v3, v26, v2
	s_delay_alu instid0(VALU_DEP_1) | instskip(NEXT) | instid1(VALU_DEP_1)
	v_and_b32_e32 v2, 0x7f800000, v3
	v_cmp_ne_u32_e64 s0, 0x7f800000, v2
                                        ; implicit-def: $vgpr2
	s_delay_alu instid0(VALU_DEP_1) | instskip(NEXT) | instid1(SALU_CYCLE_1)
	s_and_saveexec_b32 s9, s0
	s_xor_b32 s0, exec_lo, s9
; %bb.5320:                             ;   in Loop: Header=BB466_2335 Depth=1
	v_bfe_u32 v2, v3, 16, 1
	s_delay_alu instid0(VALU_DEP_1)
	v_add3_u32 v2, v3, v2, 0x7fff
                                        ; implicit-def: $vgpr3
; %bb.5321:                             ;   in Loop: Header=BB466_2335 Depth=1
	s_and_not1_saveexec_b32 s9, s0
; %bb.5322:                             ;   in Loop: Header=BB466_2335 Depth=1
	v_and_b32_e32 v2, 0xffff, v3
	v_or_b32_e32 v4, 0x10000, v3
	s_delay_alu instid0(VALU_DEP_2) | instskip(NEXT) | instid1(VALU_DEP_1)
	v_cmp_eq_u32_e64 s0, 0, v2
	v_cndmask_b32_e64 v2, v4, v3, s0
; %bb.5323:                             ;   in Loop: Header=BB466_2335 Depth=1
	s_or_b32 exec_lo, exec_lo, s9
	v_lshrrev_b32_e32 v6, 16, v57
	v_lshrrev_b32_e32 v7, 16, v56
	;; [unrolled: 1-line block ×8, first 2 shown]
	s_and_saveexec_b32 s9, vcc_lo
	s_cbranch_execz .LBB466_5325
; %bb.5324:                             ;   in Loop: Header=BB466_2335 Depth=1
	v_cmp_lt_i32_e64 s0, v130, v36
	s_delay_alu instid0(VALU_DEP_1) | instskip(SKIP_1) | instid1(VALU_DEP_1)
	v_cndmask_b32_e64 v4, 0, v4, s0
	v_cmp_lt_i32_e64 s0, v133, v36
	v_cndmask_b32_e64 v45, 0, v45, s0
	v_cmp_lt_i32_e64 s0, v132, v36
	s_delay_alu instid0(VALU_DEP_1) | instskip(SKIP_1) | instid1(VALU_DEP_1)
	v_cndmask_b32_e64 v46, 0, v46, s0
	v_cmp_lt_i32_e64 s0, v131, v36
	v_cndmask_b32_e64 v12, 0, v12, s0
	;; [unrolled: 5-line block ×4, first 2 shown]
.LBB466_5325:                           ;   in Loop: Header=BB466_2335 Depth=1
	s_or_b32 exec_lo, exec_lo, s9
	v_lshlrev_b32_e32 v4, 16, v4
                                        ; implicit-def: $vgpr44
	s_delay_alu instid0(VALU_DEP_1) | instskip(NEXT) | instid1(VALU_DEP_1)
	v_mul_f32_e32 v4, v134, v4
	v_and_b32_e32 v5, 0x7f800000, v4
	s_delay_alu instid0(VALU_DEP_1) | instskip(NEXT) | instid1(VALU_DEP_1)
	v_cmp_ne_u32_e64 s0, 0x7f800000, v5
	s_and_saveexec_b32 s9, s0
	s_delay_alu instid0(SALU_CYCLE_1)
	s_xor_b32 s0, exec_lo, s9
; %bb.5326:                             ;   in Loop: Header=BB466_2335 Depth=1
	v_bfe_u32 v5, v4, 16, 1
	s_delay_alu instid0(VALU_DEP_1)
	v_add3_u32 v44, v4, v5, 0x7fff
                                        ; implicit-def: $vgpr4
; %bb.5327:                             ;   in Loop: Header=BB466_2335 Depth=1
	s_and_not1_saveexec_b32 s9, s0
; %bb.5328:                             ;   in Loop: Header=BB466_2335 Depth=1
	v_and_b32_e32 v5, 0xffff, v4
	v_or_b32_e32 v44, 0x10000, v4
	s_delay_alu instid0(VALU_DEP_2) | instskip(NEXT) | instid1(VALU_DEP_1)
	v_cmp_eq_u32_e64 s0, 0, v5
	v_cndmask_b32_e64 v44, v44, v4, s0
; %bb.5329:                             ;   in Loop: Header=BB466_2335 Depth=1
	s_or_b32 exec_lo, exec_lo, s9
	v_lshlrev_b32_e32 v4, 16, v45
                                        ; implicit-def: $vgpr45
	s_delay_alu instid0(VALU_DEP_1) | instskip(NEXT) | instid1(VALU_DEP_1)
	v_mul_f32_e32 v4, v135, v4
	v_and_b32_e32 v5, 0x7f800000, v4
	s_delay_alu instid0(VALU_DEP_1) | instskip(NEXT) | instid1(VALU_DEP_1)
	v_cmp_ne_u32_e64 s0, 0x7f800000, v5
	s_and_saveexec_b32 s9, s0
	s_delay_alu instid0(SALU_CYCLE_1)
	s_xor_b32 s0, exec_lo, s9
; %bb.5330:                             ;   in Loop: Header=BB466_2335 Depth=1
	v_bfe_u32 v5, v4, 16, 1
	s_delay_alu instid0(VALU_DEP_1)
	v_add3_u32 v45, v4, v5, 0x7fff
                                        ; implicit-def: $vgpr4
; %bb.5331:                             ;   in Loop: Header=BB466_2335 Depth=1
	s_and_not1_saveexec_b32 s9, s0
; %bb.5332:                             ;   in Loop: Header=BB466_2335 Depth=1
	v_and_b32_e32 v5, 0xffff, v4
	v_or_b32_e32 v45, 0x10000, v4
	s_delay_alu instid0(VALU_DEP_2) | instskip(NEXT) | instid1(VALU_DEP_1)
	v_cmp_eq_u32_e64 s0, 0, v5
	v_cndmask_b32_e64 v45, v45, v4, s0
; %bb.5333:                             ;   in Loop: Header=BB466_2335 Depth=1
	s_or_b32 exec_lo, exec_lo, s9
	v_lshlrev_b32_e32 v4, 16, v46
                                        ; implicit-def: $vgpr46
	s_delay_alu instid0(VALU_DEP_1) | instskip(NEXT) | instid1(VALU_DEP_1)
	v_mul_f32_e32 v4, v144, v4
	v_and_b32_e32 v5, 0x7f800000, v4
	s_delay_alu instid0(VALU_DEP_1) | instskip(NEXT) | instid1(VALU_DEP_1)
	v_cmp_ne_u32_e64 s0, 0x7f800000, v5
	s_and_saveexec_b32 s9, s0
	s_delay_alu instid0(SALU_CYCLE_1)
	s_xor_b32 s0, exec_lo, s9
; %bb.5334:                             ;   in Loop: Header=BB466_2335 Depth=1
	v_bfe_u32 v5, v4, 16, 1
	s_delay_alu instid0(VALU_DEP_1)
	v_add3_u32 v46, v4, v5, 0x7fff
                                        ; implicit-def: $vgpr4
; %bb.5335:                             ;   in Loop: Header=BB466_2335 Depth=1
	s_and_not1_saveexec_b32 s9, s0
; %bb.5336:                             ;   in Loop: Header=BB466_2335 Depth=1
	v_and_b32_e32 v5, 0xffff, v4
	v_or_b32_e32 v46, 0x10000, v4
	s_delay_alu instid0(VALU_DEP_2) | instskip(NEXT) | instid1(VALU_DEP_1)
	v_cmp_eq_u32_e64 s0, 0, v5
	v_cndmask_b32_e64 v46, v46, v4, s0
; %bb.5337:                             ;   in Loop: Header=BB466_2335 Depth=1
	s_or_b32 exec_lo, exec_lo, s9
	v_lshlrev_b32_e32 v4, 16, v12
                                        ; implicit-def: $vgpr47
	s_delay_alu instid0(VALU_DEP_1) | instskip(NEXT) | instid1(VALU_DEP_1)
	v_mul_f32_e32 v4, v145, v4
	v_and_b32_e32 v5, 0x7f800000, v4
	s_delay_alu instid0(VALU_DEP_1) | instskip(NEXT) | instid1(VALU_DEP_1)
	v_cmp_ne_u32_e64 s0, 0x7f800000, v5
	s_and_saveexec_b32 s9, s0
	s_delay_alu instid0(SALU_CYCLE_1)
	s_xor_b32 s0, exec_lo, s9
; %bb.5338:                             ;   in Loop: Header=BB466_2335 Depth=1
	v_bfe_u32 v5, v4, 16, 1
	s_delay_alu instid0(VALU_DEP_1)
	v_add3_u32 v47, v4, v5, 0x7fff
                                        ; implicit-def: $vgpr4
; %bb.5339:                             ;   in Loop: Header=BB466_2335 Depth=1
	s_and_not1_saveexec_b32 s9, s0
; %bb.5340:                             ;   in Loop: Header=BB466_2335 Depth=1
	v_and_b32_e32 v5, 0xffff, v4
	v_or_b32_e32 v12, 0x10000, v4
	s_delay_alu instid0(VALU_DEP_2) | instskip(NEXT) | instid1(VALU_DEP_1)
	v_cmp_eq_u32_e64 s0, 0, v5
	v_cndmask_b32_e64 v47, v12, v4, s0
; %bb.5341:                             ;   in Loop: Header=BB466_2335 Depth=1
	s_or_b32 exec_lo, exec_lo, s9
	v_lshlrev_b32_e32 v4, 16, v7
                                        ; implicit-def: $vgpr56
	s_delay_alu instid0(VALU_DEP_1) | instskip(NEXT) | instid1(VALU_DEP_1)
	v_mul_f32_e32 v4, v146, v4
	v_and_b32_e32 v5, 0x7f800000, v4
	s_delay_alu instid0(VALU_DEP_1) | instskip(NEXT) | instid1(VALU_DEP_1)
	v_cmp_ne_u32_e64 s0, 0x7f800000, v5
	s_and_saveexec_b32 s9, s0
	s_delay_alu instid0(SALU_CYCLE_1)
	s_xor_b32 s0, exec_lo, s9
; %bb.5342:                             ;   in Loop: Header=BB466_2335 Depth=1
	v_bfe_u32 v5, v4, 16, 1
	s_delay_alu instid0(VALU_DEP_1)
	v_add3_u32 v56, v4, v5, 0x7fff
                                        ; implicit-def: $vgpr4
; %bb.5343:                             ;   in Loop: Header=BB466_2335 Depth=1
	s_and_not1_saveexec_b32 s9, s0
; %bb.5344:                             ;   in Loop: Header=BB466_2335 Depth=1
	v_and_b32_e32 v5, 0xffff, v4
	v_or_b32_e32 v7, 0x10000, v4
	s_delay_alu instid0(VALU_DEP_2) | instskip(NEXT) | instid1(VALU_DEP_1)
	v_cmp_eq_u32_e64 s0, 0, v5
	v_cndmask_b32_e64 v56, v7, v4, s0
; %bb.5345:                             ;   in Loop: Header=BB466_2335 Depth=1
	s_or_b32 exec_lo, exec_lo, s9
	v_lshlrev_b32_e32 v4, 16, v6
                                        ; implicit-def: $vgpr57
	s_delay_alu instid0(VALU_DEP_1) | instskip(NEXT) | instid1(VALU_DEP_1)
	v_mul_f32_e32 v4, v147, v4
	v_and_b32_e32 v5, 0x7f800000, v4
	s_delay_alu instid0(VALU_DEP_1) | instskip(NEXT) | instid1(VALU_DEP_1)
	v_cmp_ne_u32_e64 s0, 0x7f800000, v5
	s_and_saveexec_b32 s9, s0
	s_delay_alu instid0(SALU_CYCLE_1)
	s_xor_b32 s0, exec_lo, s9
; %bb.5346:                             ;   in Loop: Header=BB466_2335 Depth=1
	v_bfe_u32 v5, v4, 16, 1
	s_delay_alu instid0(VALU_DEP_1)
	v_add3_u32 v57, v4, v5, 0x7fff
                                        ; implicit-def: $vgpr4
; %bb.5347:                             ;   in Loop: Header=BB466_2335 Depth=1
	s_and_not1_saveexec_b32 s9, s0
; %bb.5348:                             ;   in Loop: Header=BB466_2335 Depth=1
	v_and_b32_e32 v5, 0xffff, v4
	v_or_b32_e32 v6, 0x10000, v4
	s_delay_alu instid0(VALU_DEP_2) | instskip(NEXT) | instid1(VALU_DEP_1)
	v_cmp_eq_u32_e64 s0, 0, v5
	v_cndmask_b32_e64 v57, v6, v4, s0
; %bb.5349:                             ;   in Loop: Header=BB466_2335 Depth=1
	s_or_b32 exec_lo, exec_lo, s9
	v_lshlrev_b32_e32 v3, 16, v3
                                        ; implicit-def: $vgpr58
	s_delay_alu instid0(VALU_DEP_1) | instskip(NEXT) | instid1(VALU_DEP_1)
	v_mul_f32_e32 v3, v148, v3
	v_and_b32_e32 v4, 0x7f800000, v3
	s_delay_alu instid0(VALU_DEP_1) | instskip(NEXT) | instid1(VALU_DEP_1)
	v_cmp_ne_u32_e64 s0, 0x7f800000, v4
	s_and_saveexec_b32 s9, s0
	s_delay_alu instid0(SALU_CYCLE_1)
	s_xor_b32 s0, exec_lo, s9
; %bb.5350:                             ;   in Loop: Header=BB466_2335 Depth=1
	v_bfe_u32 v4, v3, 16, 1
	s_delay_alu instid0(VALU_DEP_1)
	v_add3_u32 v58, v3, v4, 0x7fff
                                        ; implicit-def: $vgpr3
; %bb.5351:                             ;   in Loop: Header=BB466_2335 Depth=1
	s_and_not1_saveexec_b32 s9, s0
; %bb.5352:                             ;   in Loop: Header=BB466_2335 Depth=1
	v_and_b32_e32 v4, 0xffff, v3
	v_or_b32_e32 v5, 0x10000, v3
	s_delay_alu instid0(VALU_DEP_2) | instskip(NEXT) | instid1(VALU_DEP_1)
	v_cmp_eq_u32_e64 s0, 0, v4
	v_cndmask_b32_e64 v58, v5, v3, s0
; %bb.5353:                             ;   in Loop: Header=BB466_2335 Depth=1
	s_or_b32 exec_lo, exec_lo, s9
	v_lshlrev_b32_e32 v2, 16, v2
                                        ; implicit-def: $vgpr59
	s_delay_alu instid0(VALU_DEP_1) | instskip(NEXT) | instid1(VALU_DEP_1)
	v_mul_f32_e32 v2, v149, v2
	v_and_b32_e32 v3, 0x7f800000, v2
	s_delay_alu instid0(VALU_DEP_1) | instskip(NEXT) | instid1(VALU_DEP_1)
	v_cmp_ne_u32_e64 s0, 0x7f800000, v3
	s_and_saveexec_b32 s9, s0
	s_delay_alu instid0(SALU_CYCLE_1)
	s_xor_b32 s0, exec_lo, s9
; %bb.5354:                             ;   in Loop: Header=BB466_2335 Depth=1
	v_bfe_u32 v3, v2, 16, 1
	s_delay_alu instid0(VALU_DEP_1)
	v_add3_u32 v59, v2, v3, 0x7fff
                                        ; implicit-def: $vgpr2
; %bb.5355:                             ;   in Loop: Header=BB466_2335 Depth=1
	s_and_not1_saveexec_b32 s9, s0
; %bb.5356:                             ;   in Loop: Header=BB466_2335 Depth=1
	v_and_b32_e32 v3, 0xffff, v2
	v_or_b32_e32 v4, 0x10000, v2
	s_delay_alu instid0(VALU_DEP_2) | instskip(NEXT) | instid1(VALU_DEP_1)
	v_cmp_eq_u32_e64 s0, 0, v3
	v_cndmask_b32_e64 v59, v4, v2, s0
; %bb.5357:                             ;   in Loop: Header=BB466_2335 Depth=1
	s_or_b32 exec_lo, exec_lo, s9
	scratch_load_b32 v2, off, s32 offset:584 ; 4-byte Folded Reload
	s_mov_b32 s9, exec_lo
	s_waitcnt vmcnt(0)
	v_add_co_u32 v0, s0, v0, v2
	s_delay_alu instid0(VALU_DEP_1) | instskip(SKIP_4) | instid1(VALU_DEP_1)
	v_add_co_ci_u32_e64 v1, s0, 0, v1, s0
	v_mov_b32_e32 v2, 0
	flat_load_b64 v[0:1], v[0:1]
	s_waitcnt vmcnt(0) lgkmcnt(0)
	v_and_b32_e32 v3, 0xff, v0
	v_cmpx_ne_u16_e32 0, v3
	s_cbranch_execz .LBB466_5365
; %bb.5358:                             ;   in Loop: Header=BB466_2335 Depth=1
	v_bfrev_b32_e32 v2, 1
	s_mov_b32 s12, exec_lo
	v_cmpx_ne_u16_e32 0x80, v3
	s_cbranch_execz .LBB466_5364
; %bb.5359:                             ;   in Loop: Header=BB466_2335 Depth=1
	v_and_b32_e32 v3, 0x7f, v0
	v_mov_b32_e32 v2, 0x7f800001
	s_mov_b32 s13, exec_lo
	s_delay_alu instid0(VALU_DEP_2)
	v_cmpx_ne_u32_e32 0x7f, v3
	s_cbranch_execz .LBB466_5363
; %bb.5360:                             ;   in Loop: Header=BB466_2335 Depth=1
	v_lshrrev_b32_e32 v4, 3, v3
	v_cmp_gt_u32_e64 s0, 8, v3
	v_dual_mov_b32 v3, v1 :: v_dual_mov_b32 v2, v0
	s_delay_alu instid0(VALU_DEP_2)
	s_and_saveexec_b32 s15, s0
; %bb.5361:                             ;   in Loop: Header=BB466_2335 Depth=1
	v_and_b32_e32 v2, 7, v0
	s_delay_alu instid0(VALU_DEP_1) | instskip(NEXT) | instid1(VALU_DEP_1)
	v_clz_i32_u32_e32 v2, v2
	v_min_u32_e32 v4, 32, v2
	s_delay_alu instid0(VALU_DEP_1) | instskip(SKIP_1) | instid1(VALU_DEP_2)
	v_subrev_nc_u32_e32 v2, 28, v4
	v_sub_nc_u32_e32 v4, 29, v4
	v_lshlrev_b64 v[2:3], v2, v[0:1]
; %bb.5362:                             ;   in Loop: Header=BB466_2335 Depth=1
	s_or_b32 exec_lo, exec_lo, s15
	s_delay_alu instid0(VALU_DEP_1) | instskip(SKIP_2) | instid1(VALU_DEP_3)
	v_lshlrev_b32_e32 v2, 20, v2
	v_lshlrev_b32_e32 v3, 24, v0
	v_lshl_add_u32 v4, v4, 23, 0x3c000000
	v_and_b32_e32 v2, 0x700000, v2
	s_delay_alu instid0(VALU_DEP_3) | instskip(NEXT) | instid1(VALU_DEP_1)
	v_and_b32_e32 v3, 0x80000000, v3
	v_or3_b32 v2, v2, v3, v4
.LBB466_5363:                           ;   in Loop: Header=BB466_2335 Depth=1
	s_or_b32 exec_lo, exec_lo, s13
.LBB466_5364:                           ;   in Loop: Header=BB466_2335 Depth=1
	s_delay_alu instid0(SALU_CYCLE_1)
	s_or_b32 exec_lo, exec_lo, s12
.LBB466_5365:                           ;   in Loop: Header=BB466_2335 Depth=1
	s_delay_alu instid0(SALU_CYCLE_1) | instskip(NEXT) | instid1(VALU_DEP_1)
	s_or_b32 exec_lo, exec_lo, s9
	v_mul_f32_e32 v2, v26, v2
                                        ; implicit-def: $vgpr6
	s_delay_alu instid0(VALU_DEP_1) | instskip(NEXT) | instid1(VALU_DEP_1)
	v_and_b32_e32 v3, 0x7f800000, v2
	v_cmp_ne_u32_e64 s0, 0x7f800000, v3
	s_delay_alu instid0(VALU_DEP_1) | instskip(NEXT) | instid1(SALU_CYCLE_1)
	s_and_saveexec_b32 s9, s0
	s_xor_b32 s0, exec_lo, s9
; %bb.5366:                             ;   in Loop: Header=BB466_2335 Depth=1
	v_bfe_u32 v3, v2, 16, 1
	s_delay_alu instid0(VALU_DEP_1)
	v_add3_u32 v6, v2, v3, 0x7fff
                                        ; implicit-def: $vgpr2
; %bb.5367:                             ;   in Loop: Header=BB466_2335 Depth=1
	s_and_not1_saveexec_b32 s9, s0
; %bb.5368:                             ;   in Loop: Header=BB466_2335 Depth=1
	v_and_b32_e32 v3, 0xffff, v2
	v_or_b32_e32 v4, 0x10000, v2
	s_delay_alu instid0(VALU_DEP_2) | instskip(NEXT) | instid1(VALU_DEP_1)
	v_cmp_eq_u32_e64 s0, 0, v3
	v_cndmask_b32_e64 v6, v4, v2, s0
; %bb.5369:                             ;   in Loop: Header=BB466_2335 Depth=1
	s_or_b32 exec_lo, exec_lo, s9
	v_lshrrev_b16 v3, 8, v0
	v_mov_b32_e32 v2, 0
	s_mov_b32 s9, exec_lo
	s_delay_alu instid0(VALU_DEP_2)
	v_cmpx_ne_u16_e32 0, v3
	s_cbranch_execz .LBB466_5377
; %bb.5370:                             ;   in Loop: Header=BB466_2335 Depth=1
	v_bfrev_b32_e32 v2, 1
	s_mov_b32 s12, exec_lo
	v_cmpx_ne_u16_e32 0x80, v3
	s_cbranch_execz .LBB466_5376
; %bb.5371:                             ;   in Loop: Header=BB466_2335 Depth=1
	v_and_b32_e32 v3, 0xffff, v3
	v_mov_b32_e32 v2, 0x7f800001
	s_mov_b32 s13, exec_lo
	s_delay_alu instid0(VALU_DEP_2) | instskip(NEXT) | instid1(VALU_DEP_1)
	v_and_b32_e32 v4, 0x7f, v3
	v_cmpx_ne_u32_e32 0x7f, v4
	s_cbranch_execz .LBB466_5375
; %bb.5372:                             ;   in Loop: Header=BB466_2335 Depth=1
	v_and_b32_e32 v12, 7, v3
	s_mov_b32 s15, exec_lo
	s_delay_alu instid0(VALU_DEP_1)
	v_dual_mov_b32 v2, v12 :: v_dual_mov_b32 v3, v13
	v_lshrrev_b32_e32 v3, 3, v4
	v_cmpx_gt_u32_e32 8, v4
; %bb.5373:                             ;   in Loop: Header=BB466_2335 Depth=1
	v_clz_i32_u32_e32 v2, v12
	s_delay_alu instid0(VALU_DEP_1) | instskip(NEXT) | instid1(VALU_DEP_1)
	v_min_u32_e32 v4, 32, v2
	v_subrev_nc_u32_e32 v2, 28, v4
	s_delay_alu instid0(VALU_DEP_1) | instskip(SKIP_1) | instid1(VALU_DEP_2)
	v_lshlrev_b64 v[2:3], v2, v[12:13]
	v_sub_nc_u32_e32 v3, 29, v4
	v_and_b32_e32 v2, 7, v2
; %bb.5374:                             ;   in Loop: Header=BB466_2335 Depth=1
	s_or_b32 exec_lo, exec_lo, s15
	v_lshlrev_b32_e32 v4, 16, v0
	s_delay_alu instid0(VALU_DEP_2) | instskip(SKIP_1) | instid1(VALU_DEP_3)
	v_lshlrev_b32_e32 v2, 20, v2
	v_lshl_add_u32 v3, v3, 23, 0x3c000000
	v_and_b32_e32 v4, 0x80000000, v4
	s_delay_alu instid0(VALU_DEP_1)
	v_or3_b32 v2, v2, v4, v3
.LBB466_5375:                           ;   in Loop: Header=BB466_2335 Depth=1
	s_or_b32 exec_lo, exec_lo, s13
.LBB466_5376:                           ;   in Loop: Header=BB466_2335 Depth=1
	s_delay_alu instid0(SALU_CYCLE_1)
	s_or_b32 exec_lo, exec_lo, s12
.LBB466_5377:                           ;   in Loop: Header=BB466_2335 Depth=1
	s_delay_alu instid0(SALU_CYCLE_1) | instskip(NEXT) | instid1(VALU_DEP_1)
	s_or_b32 exec_lo, exec_lo, s9
	v_mul_f32_e32 v2, v26, v2
                                        ; implicit-def: $vgpr7
	s_delay_alu instid0(VALU_DEP_1) | instskip(NEXT) | instid1(VALU_DEP_1)
	v_and_b32_e32 v3, 0x7f800000, v2
	v_cmp_ne_u32_e64 s0, 0x7f800000, v3
	s_delay_alu instid0(VALU_DEP_1) | instskip(NEXT) | instid1(SALU_CYCLE_1)
	s_and_saveexec_b32 s9, s0
	s_xor_b32 s0, exec_lo, s9
; %bb.5378:                             ;   in Loop: Header=BB466_2335 Depth=1
	v_bfe_u32 v3, v2, 16, 1
	s_delay_alu instid0(VALU_DEP_1)
	v_add3_u32 v7, v2, v3, 0x7fff
                                        ; implicit-def: $vgpr2
; %bb.5379:                             ;   in Loop: Header=BB466_2335 Depth=1
	s_and_not1_saveexec_b32 s9, s0
; %bb.5380:                             ;   in Loop: Header=BB466_2335 Depth=1
	v_and_b32_e32 v3, 0xffff, v2
	v_or_b32_e32 v4, 0x10000, v2
	s_delay_alu instid0(VALU_DEP_2) | instskip(NEXT) | instid1(VALU_DEP_1)
	v_cmp_eq_u32_e64 s0, 0, v3
	v_cndmask_b32_e64 v7, v4, v2, s0
; %bb.5381:                             ;   in Loop: Header=BB466_2335 Depth=1
	s_or_b32 exec_lo, exec_lo, s9
	v_lshrrev_b32_e32 v60, 16, v0
	s_mov_b32 s9, exec_lo
	s_delay_alu instid0(VALU_DEP_1) | instskip(NEXT) | instid1(VALU_DEP_1)
	v_dual_mov_b32 v2, 0 :: v_dual_and_b32 v3, 0xff, v60
	v_cmpx_ne_u16_e32 0, v3
	s_cbranch_execz .LBB466_5389
; %bb.5382:                             ;   in Loop: Header=BB466_2335 Depth=1
	v_bfrev_b32_e32 v2, 1
	s_mov_b32 s12, exec_lo
	v_cmpx_ne_u16_e32 0x80, v3
	s_cbranch_execz .LBB466_5388
; %bb.5383:                             ;   in Loop: Header=BB466_2335 Depth=1
	v_bfe_u32 v4, v0, 16, 7
	v_mov_b32_e32 v2, 0x7f800001
	s_mov_b32 s13, exec_lo
	s_delay_alu instid0(VALU_DEP_2)
	v_cmpx_ne_u32_e32 0x7f, v4
	s_cbranch_execz .LBB466_5387
; %bb.5384:                             ;   in Loop: Header=BB466_2335 Depth=1
	v_and_b32_e32 v12, 7, v60
	s_mov_b32 s15, exec_lo
	s_delay_alu instid0(VALU_DEP_1)
	v_dual_mov_b32 v2, v12 :: v_dual_mov_b32 v3, v13
	v_lshrrev_b32_e32 v3, 3, v4
	v_cmpx_gt_u32_e32 8, v4
; %bb.5385:                             ;   in Loop: Header=BB466_2335 Depth=1
	v_clz_i32_u32_e32 v2, v12
	s_delay_alu instid0(VALU_DEP_1) | instskip(NEXT) | instid1(VALU_DEP_1)
	v_min_u32_e32 v4, 32, v2
	v_subrev_nc_u32_e32 v2, 28, v4
	s_delay_alu instid0(VALU_DEP_1) | instskip(SKIP_1) | instid1(VALU_DEP_2)
	v_lshlrev_b64 v[2:3], v2, v[12:13]
	v_sub_nc_u32_e32 v3, 29, v4
	v_and_b32_e32 v2, 7, v2
; %bb.5386:                             ;   in Loop: Header=BB466_2335 Depth=1
	s_or_b32 exec_lo, exec_lo, s15
	v_lshlrev_b32_e32 v4, 24, v60
	s_delay_alu instid0(VALU_DEP_2) | instskip(SKIP_1) | instid1(VALU_DEP_3)
	v_lshlrev_b32_e32 v2, 20, v2
	v_lshl_add_u32 v3, v3, 23, 0x3c000000
	v_and_b32_e32 v4, 0x80000000, v4
	s_delay_alu instid0(VALU_DEP_1)
	v_or3_b32 v2, v2, v4, v3
.LBB466_5387:                           ;   in Loop: Header=BB466_2335 Depth=1
	s_or_b32 exec_lo, exec_lo, s13
.LBB466_5388:                           ;   in Loop: Header=BB466_2335 Depth=1
	s_delay_alu instid0(SALU_CYCLE_1)
	s_or_b32 exec_lo, exec_lo, s12
.LBB466_5389:                           ;   in Loop: Header=BB466_2335 Depth=1
	s_delay_alu instid0(SALU_CYCLE_1) | instskip(NEXT) | instid1(VALU_DEP_1)
	s_or_b32 exec_lo, exec_lo, s9
	v_mul_f32_e32 v2, v26, v2
                                        ; implicit-def: $vgpr60
	s_delay_alu instid0(VALU_DEP_1) | instskip(NEXT) | instid1(VALU_DEP_1)
	v_and_b32_e32 v3, 0x7f800000, v2
	v_cmp_ne_u32_e64 s0, 0x7f800000, v3
	s_delay_alu instid0(VALU_DEP_1) | instskip(NEXT) | instid1(SALU_CYCLE_1)
	s_and_saveexec_b32 s9, s0
	s_xor_b32 s0, exec_lo, s9
; %bb.5390:                             ;   in Loop: Header=BB466_2335 Depth=1
	v_bfe_u32 v3, v2, 16, 1
	s_delay_alu instid0(VALU_DEP_1)
	v_add3_u32 v60, v2, v3, 0x7fff
                                        ; implicit-def: $vgpr2
; %bb.5391:                             ;   in Loop: Header=BB466_2335 Depth=1
	s_and_not1_saveexec_b32 s9, s0
; %bb.5392:                             ;   in Loop: Header=BB466_2335 Depth=1
	v_and_b32_e32 v3, 0xffff, v2
	v_or_b32_e32 v4, 0x10000, v2
	s_delay_alu instid0(VALU_DEP_2) | instskip(NEXT) | instid1(VALU_DEP_1)
	v_cmp_eq_u32_e64 s0, 0, v3
	v_cndmask_b32_e64 v60, v4, v2, s0
; %bb.5393:                             ;   in Loop: Header=BB466_2335 Depth=1
	s_or_b32 exec_lo, exec_lo, s9
	v_mov_b32_e32 v2, 0
	s_mov_b32 s9, exec_lo
	v_cmpx_lt_u32_e32 0xffffff, v0
	s_cbranch_execz .LBB466_5401
; %bb.5394:                             ;   in Loop: Header=BB466_2335 Depth=1
	v_lshrrev_b32_e32 v4, 24, v0
	v_bfrev_b32_e32 v2, 1
	s_mov_b32 s12, exec_lo
	s_delay_alu instid0(VALU_DEP_2)
	v_cmpx_ne_u32_e32 0x80, v4
	s_cbranch_execz .LBB466_5400
; %bb.5395:                             ;   in Loop: Header=BB466_2335 Depth=1
	v_bfe_u32 v61, v0, 24, 7
	v_mov_b32_e32 v2, 0x7f800001
	s_mov_b32 s13, exec_lo
	s_delay_alu instid0(VALU_DEP_2)
	v_cmpx_ne_u32_e32 0x7f, v61
	s_cbranch_execz .LBB466_5399
; %bb.5396:                             ;   in Loop: Header=BB466_2335 Depth=1
	v_and_b32_e32 v12, 7, v4
	s_mov_b32 s15, exec_lo
	s_delay_alu instid0(VALU_DEP_1)
	v_dual_mov_b32 v2, v12 :: v_dual_mov_b32 v3, v13
	v_lshrrev_b32_e32 v3, 3, v61
	v_cmpx_gt_u32_e32 8, v61
; %bb.5397:                             ;   in Loop: Header=BB466_2335 Depth=1
	v_clz_i32_u32_e32 v2, v12
	s_delay_alu instid0(VALU_DEP_1) | instskip(NEXT) | instid1(VALU_DEP_1)
	v_min_u32_e32 v5, 32, v2
	v_subrev_nc_u32_e32 v2, 28, v5
	s_delay_alu instid0(VALU_DEP_1) | instskip(SKIP_1) | instid1(VALU_DEP_2)
	v_lshlrev_b64 v[2:3], v2, v[12:13]
	v_sub_nc_u32_e32 v3, 29, v5
	v_and_b32_e32 v2, 7, v2
; %bb.5398:                             ;   in Loop: Header=BB466_2335 Depth=1
	s_or_b32 exec_lo, exec_lo, s15
	v_lshlrev_b32_e32 v4, 24, v4
	s_delay_alu instid0(VALU_DEP_2) | instskip(SKIP_1) | instid1(VALU_DEP_3)
	v_lshlrev_b32_e32 v2, 20, v2
	v_lshl_add_u32 v3, v3, 23, 0x3c000000
	v_and_b32_e32 v4, 0x80000000, v4
	s_delay_alu instid0(VALU_DEP_1)
	v_or3_b32 v2, v2, v4, v3
.LBB466_5399:                           ;   in Loop: Header=BB466_2335 Depth=1
	s_or_b32 exec_lo, exec_lo, s13
.LBB466_5400:                           ;   in Loop: Header=BB466_2335 Depth=1
	s_delay_alu instid0(SALU_CYCLE_1)
	s_or_b32 exec_lo, exec_lo, s12
.LBB466_5401:                           ;   in Loop: Header=BB466_2335 Depth=1
	s_delay_alu instid0(SALU_CYCLE_1) | instskip(NEXT) | instid1(VALU_DEP_1)
	s_or_b32 exec_lo, exec_lo, s9
	v_mul_f32_e32 v2, v26, v2
                                        ; implicit-def: $vgpr61
	s_delay_alu instid0(VALU_DEP_1) | instskip(NEXT) | instid1(VALU_DEP_1)
	v_and_b32_e32 v3, 0x7f800000, v2
	v_cmp_ne_u32_e64 s0, 0x7f800000, v3
	s_delay_alu instid0(VALU_DEP_1) | instskip(NEXT) | instid1(SALU_CYCLE_1)
	s_and_saveexec_b32 s9, s0
	s_xor_b32 s0, exec_lo, s9
; %bb.5402:                             ;   in Loop: Header=BB466_2335 Depth=1
	v_bfe_u32 v3, v2, 16, 1
	s_delay_alu instid0(VALU_DEP_1)
	v_add3_u32 v61, v2, v3, 0x7fff
                                        ; implicit-def: $vgpr2
; %bb.5403:                             ;   in Loop: Header=BB466_2335 Depth=1
	s_and_not1_saveexec_b32 s9, s0
; %bb.5404:                             ;   in Loop: Header=BB466_2335 Depth=1
	v_and_b32_e32 v3, 0xffff, v2
	v_or_b32_e32 v4, 0x10000, v2
	s_delay_alu instid0(VALU_DEP_2) | instskip(NEXT) | instid1(VALU_DEP_1)
	v_cmp_eq_u32_e64 s0, 0, v3
	v_cndmask_b32_e64 v61, v4, v2, s0
; %bb.5405:                             ;   in Loop: Header=BB466_2335 Depth=1
	s_or_b32 exec_lo, exec_lo, s9
	v_dual_mov_b32 v12, v1 :: v_dual_and_b32 v3, 0xff, v1
	v_mov_b32_e32 v2, 0
	s_mov_b32 s9, exec_lo
	s_delay_alu instid0(VALU_DEP_2)
	v_cmpx_ne_u16_e32 0, v3
	s_cbranch_execz .LBB466_5413
; %bb.5406:                             ;   in Loop: Header=BB466_2335 Depth=1
	v_bfrev_b32_e32 v2, 1
	s_mov_b32 s12, exec_lo
	v_cmpx_ne_u16_e32 0x80, v3
	s_cbranch_execz .LBB466_5412
; %bb.5407:                             ;   in Loop: Header=BB466_2335 Depth=1
	v_and_b32_e32 v4, 0x7f, v1
	v_mov_b32_e32 v2, 0x7f800001
	s_mov_b32 s13, exec_lo
	s_delay_alu instid0(VALU_DEP_2)
	v_cmpx_ne_u32_e32 0x7f, v4
	s_cbranch_execz .LBB466_5411
; %bb.5408:                             ;   in Loop: Header=BB466_2335 Depth=1
	v_dual_mov_b32 v2, v12 :: v_dual_mov_b32 v3, v13
	v_lshrrev_b32_e32 v3, 3, v4
	s_mov_b32 s15, exec_lo
	v_cmpx_gt_u32_e32 8, v4
; %bb.5409:                             ;   in Loop: Header=BB466_2335 Depth=1
	v_and_b32_e32 v2, 7, v1
	s_delay_alu instid0(VALU_DEP_1) | instskip(NEXT) | instid1(VALU_DEP_1)
	v_clz_i32_u32_e32 v2, v2
	v_min_u32_e32 v4, 32, v2
	s_delay_alu instid0(VALU_DEP_1) | instskip(NEXT) | instid1(VALU_DEP_1)
	v_subrev_nc_u32_e32 v2, 28, v4
	v_lshlrev_b64 v[2:3], v2, v[12:13]
	v_sub_nc_u32_e32 v3, 29, v4
; %bb.5410:                             ;   in Loop: Header=BB466_2335 Depth=1
	s_or_b32 exec_lo, exec_lo, s15
	s_delay_alu instid0(VALU_DEP_2) | instskip(SKIP_1) | instid1(VALU_DEP_3)
	v_lshlrev_b32_e32 v2, 20, v2
	v_lshlrev_b32_e32 v4, 24, v12
	v_lshl_add_u32 v3, v3, 23, 0x3c000000
	s_delay_alu instid0(VALU_DEP_3) | instskip(NEXT) | instid1(VALU_DEP_3)
	v_and_b32_e32 v2, 0x700000, v2
	v_and_b32_e32 v4, 0x80000000, v4
	s_delay_alu instid0(VALU_DEP_1)
	v_or3_b32 v2, v2, v4, v3
.LBB466_5411:                           ;   in Loop: Header=BB466_2335 Depth=1
	s_or_b32 exec_lo, exec_lo, s13
.LBB466_5412:                           ;   in Loop: Header=BB466_2335 Depth=1
	s_delay_alu instid0(SALU_CYCLE_1)
	s_or_b32 exec_lo, exec_lo, s12
.LBB466_5413:                           ;   in Loop: Header=BB466_2335 Depth=1
	s_delay_alu instid0(SALU_CYCLE_1) | instskip(NEXT) | instid1(VALU_DEP_1)
	s_or_b32 exec_lo, exec_lo, s9
	v_mul_f32_e32 v2, v26, v2
                                        ; implicit-def: $vgpr62
	s_delay_alu instid0(VALU_DEP_1) | instskip(NEXT) | instid1(VALU_DEP_1)
	v_and_b32_e32 v3, 0x7f800000, v2
	v_cmp_ne_u32_e64 s0, 0x7f800000, v3
	s_delay_alu instid0(VALU_DEP_1) | instskip(NEXT) | instid1(SALU_CYCLE_1)
	s_and_saveexec_b32 s9, s0
	s_xor_b32 s0, exec_lo, s9
; %bb.5414:                             ;   in Loop: Header=BB466_2335 Depth=1
	v_bfe_u32 v3, v2, 16, 1
	s_delay_alu instid0(VALU_DEP_1)
	v_add3_u32 v62, v2, v3, 0x7fff
                                        ; implicit-def: $vgpr2
; %bb.5415:                             ;   in Loop: Header=BB466_2335 Depth=1
	s_and_not1_saveexec_b32 s9, s0
; %bb.5416:                             ;   in Loop: Header=BB466_2335 Depth=1
	v_and_b32_e32 v3, 0xffff, v2
	v_or_b32_e32 v4, 0x10000, v2
	s_delay_alu instid0(VALU_DEP_2) | instskip(NEXT) | instid1(VALU_DEP_1)
	v_cmp_eq_u32_e64 s0, 0, v3
	v_cndmask_b32_e64 v62, v4, v2, s0
; %bb.5417:                             ;   in Loop: Header=BB466_2335 Depth=1
	s_or_b32 exec_lo, exec_lo, s9
	v_lshrrev_b16 v3, 8, v12
	v_mov_b32_e32 v2, 0
	s_mov_b32 s9, exec_lo
	s_delay_alu instid0(VALU_DEP_2)
	v_cmpx_ne_u16_e32 0, v3
	s_cbranch_execz .LBB466_5425
; %bb.5418:                             ;   in Loop: Header=BB466_2335 Depth=1
	v_bfrev_b32_e32 v2, 1
	s_mov_b32 s12, exec_lo
	v_cmpx_ne_u16_e32 0x80, v3
	s_cbranch_execz .LBB466_5424
; %bb.5419:                             ;   in Loop: Header=BB466_2335 Depth=1
	v_and_b32_e32 v3, 0xffff, v3
	v_mov_b32_e32 v2, 0x7f800001
	s_mov_b32 s13, exec_lo
	s_delay_alu instid0(VALU_DEP_2) | instskip(NEXT) | instid1(VALU_DEP_1)
	v_and_b32_e32 v5, 0x7f, v3
	v_cmpx_ne_u32_e32 0x7f, v5
	s_cbranch_execz .LBB466_5423
; %bb.5420:                             ;   in Loop: Header=BB466_2335 Depth=1
	v_dual_mov_b32 v3, v13 :: v_dual_and_b32 v2, 7, v3
	v_lshrrev_b32_e32 v4, 3, v5
	s_mov_b32 s15, exec_lo
	v_cmpx_gt_u32_e32 8, v5
; %bb.5421:                             ;   in Loop: Header=BB466_2335 Depth=1
	s_delay_alu instid0(VALU_DEP_3) | instskip(NEXT) | instid1(VALU_DEP_1)
	v_clz_i32_u32_e32 v4, v2
	v_min_u32_e32 v4, 32, v4
	s_delay_alu instid0(VALU_DEP_1) | instskip(SKIP_1) | instid1(VALU_DEP_2)
	v_subrev_nc_u32_e32 v5, 28, v4
	v_sub_nc_u32_e32 v4, 29, v4
	v_lshlrev_b64 v[2:3], v5, v[2:3]
	s_delay_alu instid0(VALU_DEP_1)
	v_and_b32_e32 v2, 7, v2
; %bb.5422:                             ;   in Loop: Header=BB466_2335 Depth=1
	s_or_b32 exec_lo, exec_lo, s15
	v_lshlrev_b32_e32 v3, 16, v12
	s_delay_alu instid0(VALU_DEP_2) | instskip(SKIP_1) | instid1(VALU_DEP_3)
	v_lshlrev_b32_e32 v2, 20, v2
	v_lshl_add_u32 v4, v4, 23, 0x3c000000
	v_and_b32_e32 v3, 0x80000000, v3
	s_delay_alu instid0(VALU_DEP_1)
	v_or3_b32 v2, v2, v3, v4
.LBB466_5423:                           ;   in Loop: Header=BB466_2335 Depth=1
	s_or_b32 exec_lo, exec_lo, s13
.LBB466_5424:                           ;   in Loop: Header=BB466_2335 Depth=1
	s_delay_alu instid0(SALU_CYCLE_1)
	s_or_b32 exec_lo, exec_lo, s12
.LBB466_5425:                           ;   in Loop: Header=BB466_2335 Depth=1
	s_delay_alu instid0(SALU_CYCLE_1) | instskip(NEXT) | instid1(VALU_DEP_1)
	s_or_b32 exec_lo, exec_lo, s9
	v_mul_f32_e32 v2, v26, v2
                                        ; implicit-def: $vgpr63
	s_delay_alu instid0(VALU_DEP_1) | instskip(NEXT) | instid1(VALU_DEP_1)
	v_and_b32_e32 v3, 0x7f800000, v2
	v_cmp_ne_u32_e64 s0, 0x7f800000, v3
	s_delay_alu instid0(VALU_DEP_1) | instskip(NEXT) | instid1(SALU_CYCLE_1)
	s_and_saveexec_b32 s9, s0
	s_xor_b32 s0, exec_lo, s9
; %bb.5426:                             ;   in Loop: Header=BB466_2335 Depth=1
	v_bfe_u32 v3, v2, 16, 1
	s_delay_alu instid0(VALU_DEP_1)
	v_add3_u32 v63, v2, v3, 0x7fff
                                        ; implicit-def: $vgpr2
; %bb.5427:                             ;   in Loop: Header=BB466_2335 Depth=1
	s_and_not1_saveexec_b32 s9, s0
; %bb.5428:                             ;   in Loop: Header=BB466_2335 Depth=1
	v_and_b32_e32 v3, 0xffff, v2
	v_or_b32_e32 v4, 0x10000, v2
	s_delay_alu instid0(VALU_DEP_2) | instskip(NEXT) | instid1(VALU_DEP_1)
	v_cmp_eq_u32_e64 s0, 0, v3
	v_cndmask_b32_e64 v63, v4, v2, s0
; %bb.5429:                             ;   in Loop: Header=BB466_2335 Depth=1
	s_or_b32 exec_lo, exec_lo, s9
	v_lshrrev_b32_e32 v4, 16, v1
	s_mov_b32 s9, exec_lo
	s_delay_alu instid0(VALU_DEP_1) | instskip(NEXT) | instid1(VALU_DEP_1)
	v_dual_mov_b32 v2, 0 :: v_dual_and_b32 v3, 0xff, v4
	v_cmpx_ne_u16_e32 0, v3
	s_cbranch_execz .LBB466_5437
; %bb.5430:                             ;   in Loop: Header=BB466_2335 Depth=1
	v_bfrev_b32_e32 v2, 1
	s_mov_b32 s12, exec_lo
	v_cmpx_ne_u16_e32 0x80, v3
	s_cbranch_execz .LBB466_5436
; %bb.5431:                             ;   in Loop: Header=BB466_2335 Depth=1
	v_bfe_u32 v5, v1, 16, 7
	v_mov_b32_e32 v2, 0x7f800001
	s_mov_b32 s13, exec_lo
	s_delay_alu instid0(VALU_DEP_2)
	v_cmpx_ne_u32_e32 0x7f, v5
	s_cbranch_execz .LBB466_5435
; %bb.5432:                             ;   in Loop: Header=BB466_2335 Depth=1
	v_and_b32_e32 v12, 7, v4
	s_mov_b32 s15, exec_lo
	s_delay_alu instid0(VALU_DEP_1)
	v_dual_mov_b32 v2, v12 :: v_dual_mov_b32 v3, v13
	v_lshrrev_b32_e32 v3, 3, v5
	v_cmpx_gt_u32_e32 8, v5
; %bb.5433:                             ;   in Loop: Header=BB466_2335 Depth=1
	v_clz_i32_u32_e32 v2, v12
	s_delay_alu instid0(VALU_DEP_1) | instskip(NEXT) | instid1(VALU_DEP_1)
	v_min_u32_e32 v5, 32, v2
	v_subrev_nc_u32_e32 v2, 28, v5
	s_delay_alu instid0(VALU_DEP_1) | instskip(SKIP_1) | instid1(VALU_DEP_2)
	v_lshlrev_b64 v[2:3], v2, v[12:13]
	v_sub_nc_u32_e32 v3, 29, v5
	v_and_b32_e32 v2, 7, v2
; %bb.5434:                             ;   in Loop: Header=BB466_2335 Depth=1
	s_or_b32 exec_lo, exec_lo, s15
	v_lshlrev_b32_e32 v4, 24, v4
	s_delay_alu instid0(VALU_DEP_2) | instskip(SKIP_1) | instid1(VALU_DEP_3)
	v_lshlrev_b32_e32 v2, 20, v2
	v_lshl_add_u32 v3, v3, 23, 0x3c000000
	v_and_b32_e32 v4, 0x80000000, v4
	s_delay_alu instid0(VALU_DEP_1)
	v_or3_b32 v2, v2, v4, v3
.LBB466_5435:                           ;   in Loop: Header=BB466_2335 Depth=1
	s_or_b32 exec_lo, exec_lo, s13
.LBB466_5436:                           ;   in Loop: Header=BB466_2335 Depth=1
	s_delay_alu instid0(SALU_CYCLE_1)
	s_or_b32 exec_lo, exec_lo, s12
.LBB466_5437:                           ;   in Loop: Header=BB466_2335 Depth=1
	s_delay_alu instid0(SALU_CYCLE_1) | instskip(NEXT) | instid1(VALU_DEP_1)
	s_or_b32 exec_lo, exec_lo, s9
	v_mul_f32_e32 v3, v26, v2
	s_delay_alu instid0(VALU_DEP_1) | instskip(NEXT) | instid1(VALU_DEP_1)
	v_and_b32_e32 v2, 0x7f800000, v3
	v_cmp_ne_u32_e64 s0, 0x7f800000, v2
                                        ; implicit-def: $vgpr2
	s_delay_alu instid0(VALU_DEP_1) | instskip(NEXT) | instid1(SALU_CYCLE_1)
	s_and_saveexec_b32 s9, s0
	s_xor_b32 s0, exec_lo, s9
; %bb.5438:                             ;   in Loop: Header=BB466_2335 Depth=1
	v_bfe_u32 v2, v3, 16, 1
	s_delay_alu instid0(VALU_DEP_1)
	v_add3_u32 v2, v3, v2, 0x7fff
                                        ; implicit-def: $vgpr3
; %bb.5439:                             ;   in Loop: Header=BB466_2335 Depth=1
	s_and_not1_saveexec_b32 s9, s0
; %bb.5440:                             ;   in Loop: Header=BB466_2335 Depth=1
	v_and_b32_e32 v2, 0xffff, v3
	v_or_b32_e32 v4, 0x10000, v3
	s_delay_alu instid0(VALU_DEP_2) | instskip(NEXT) | instid1(VALU_DEP_1)
	v_cmp_eq_u32_e64 s0, 0, v2
	v_cndmask_b32_e64 v2, v4, v3, s0
; %bb.5441:                             ;   in Loop: Header=BB466_2335 Depth=1
	s_or_b32 exec_lo, exec_lo, s9
	v_cmp_lt_u64_e64 s0, s[2:3], v[0:1]
	v_mov_b32_e32 v0, 0
	s_delay_alu instid0(VALU_DEP_2)
	s_and_saveexec_b32 s9, s0
	s_cbranch_execz .LBB466_5449
; %bb.5442:                             ;   in Loop: Header=BB466_2335 Depth=1
	v_lshrrev_b32_e32 v3, 24, v1
	v_bfrev_b32_e32 v0, 1
	s_mov_b32 s12, exec_lo
	s_delay_alu instid0(VALU_DEP_2)
	v_cmpx_ne_u32_e32 0x80, v3
	s_cbranch_execz .LBB466_5448
; %bb.5443:                             ;   in Loop: Header=BB466_2335 Depth=1
	v_bfe_u32 v4, v1, 24, 7
	v_mov_b32_e32 v0, 0x7f800001
	s_mov_b32 s13, exec_lo
	s_delay_alu instid0(VALU_DEP_2)
	v_cmpx_ne_u32_e32 0x7f, v4
	s_cbranch_execz .LBB466_5447
; %bb.5444:                             ;   in Loop: Header=BB466_2335 Depth=1
	v_and_b32_e32 v12, 7, v3
	s_mov_b32 s15, exec_lo
	s_delay_alu instid0(VALU_DEP_1)
	v_dual_mov_b32 v0, v12 :: v_dual_mov_b32 v1, v13
	v_lshrrev_b32_e32 v1, 3, v4
	v_cmpx_gt_u32_e32 8, v4
; %bb.5445:                             ;   in Loop: Header=BB466_2335 Depth=1
	v_clz_i32_u32_e32 v0, v12
	s_delay_alu instid0(VALU_DEP_1) | instskip(NEXT) | instid1(VALU_DEP_1)
	v_min_u32_e32 v4, 32, v0
	v_subrev_nc_u32_e32 v0, 28, v4
	s_delay_alu instid0(VALU_DEP_1) | instskip(SKIP_1) | instid1(VALU_DEP_2)
	v_lshlrev_b64 v[0:1], v0, v[12:13]
	v_sub_nc_u32_e32 v1, 29, v4
	v_and_b32_e32 v0, 7, v0
; %bb.5446:                             ;   in Loop: Header=BB466_2335 Depth=1
	s_or_b32 exec_lo, exec_lo, s15
	v_lshlrev_b32_e32 v3, 24, v3
	s_delay_alu instid0(VALU_DEP_2) | instskip(SKIP_1) | instid1(VALU_DEP_3)
	v_lshlrev_b32_e32 v0, 20, v0
	v_lshl_add_u32 v1, v1, 23, 0x3c000000
	v_and_b32_e32 v3, 0x80000000, v3
	s_delay_alu instid0(VALU_DEP_1)
	v_or3_b32 v0, v0, v3, v1
.LBB466_5447:                           ;   in Loop: Header=BB466_2335 Depth=1
	s_or_b32 exec_lo, exec_lo, s13
.LBB466_5448:                           ;   in Loop: Header=BB466_2335 Depth=1
	s_delay_alu instid0(SALU_CYCLE_1)
	s_or_b32 exec_lo, exec_lo, s12
.LBB466_5449:                           ;   in Loop: Header=BB466_2335 Depth=1
	s_delay_alu instid0(SALU_CYCLE_1) | instskip(NEXT) | instid1(VALU_DEP_1)
	s_or_b32 exec_lo, exec_lo, s9
	v_mul_f32_e32 v0, v26, v0
                                        ; implicit-def: $vgpr4
	s_delay_alu instid0(VALU_DEP_1) | instskip(NEXT) | instid1(VALU_DEP_1)
	v_and_b32_e32 v1, 0x7f800000, v0
	v_cmp_ne_u32_e64 s0, 0x7f800000, v1
	s_delay_alu instid0(VALU_DEP_1) | instskip(NEXT) | instid1(SALU_CYCLE_1)
	s_and_saveexec_b32 s9, s0
	s_xor_b32 s0, exec_lo, s9
; %bb.5450:                             ;   in Loop: Header=BB466_2335 Depth=1
	v_bfe_u32 v1, v0, 16, 1
	s_delay_alu instid0(VALU_DEP_1)
	v_add3_u32 v4, v0, v1, 0x7fff
                                        ; implicit-def: $vgpr0
; %bb.5451:                             ;   in Loop: Header=BB466_2335 Depth=1
	s_and_not1_saveexec_b32 s9, s0
; %bb.5452:                             ;   in Loop: Header=BB466_2335 Depth=1
	v_and_b32_e32 v1, 0xffff, v0
	v_or_b32_e32 v3, 0x10000, v0
	s_delay_alu instid0(VALU_DEP_2) | instskip(NEXT) | instid1(VALU_DEP_1)
	v_cmp_eq_u32_e64 s0, 0, v1
	v_cndmask_b32_e64 v4, v3, v0, s0
; %bb.5453:                             ;   in Loop: Header=BB466_2335 Depth=1
	s_or_b32 exec_lo, exec_lo, s9
	v_lshrrev_b32_e32 v12, 16, v63
	v_lshrrev_b32_e32 v62, 16, v62
	;; [unrolled: 1-line block ×8, first 2 shown]
	s_and_saveexec_b32 s0, vcc_lo
	s_cbranch_execz .LBB466_5455
; %bb.5454:                             ;   in Loop: Header=BB466_2335 Depth=1
	v_cmp_lt_i32_e32 vcc_lo, v130, v36
	v_cndmask_b32_e32 v0, 0, v0, vcc_lo
	v_cmp_lt_i32_e32 vcc_lo, v133, v36
	v_cndmask_b32_e32 v1, 0, v1, vcc_lo
	;; [unrolled: 2-line block ×8, first 2 shown]
.LBB466_5455:                           ;   in Loop: Header=BB466_2335 Depth=1
	s_or_b32 exec_lo, exec_lo, s0
	v_lshlrev_b32_e32 v0, 16, v0
	s_delay_alu instid0(VALU_DEP_1) | instskip(NEXT) | instid1(VALU_DEP_1)
	v_mul_f32_e32 v2, v134, v0
	v_and_b32_e32 v0, 0x7f800000, v2
	s_delay_alu instid0(VALU_DEP_1) | instskip(SKIP_1) | instid1(SALU_CYCLE_1)
	v_cmp_ne_u32_e32 vcc_lo, 0x7f800000, v0
                                        ; implicit-def: $vgpr0
	s_and_saveexec_b32 s0, vcc_lo
	s_xor_b32 s0, exec_lo, s0
; %bb.5456:                             ;   in Loop: Header=BB466_2335 Depth=1
	v_bfe_u32 v0, v2, 16, 1
	s_delay_alu instid0(VALU_DEP_1)
	v_add3_u32 v0, v2, v0, 0x7fff
                                        ; implicit-def: $vgpr2
; %bb.5457:                             ;   in Loop: Header=BB466_2335 Depth=1
	s_and_not1_saveexec_b32 s0, s0
; %bb.5458:                             ;   in Loop: Header=BB466_2335 Depth=1
	v_and_b32_e32 v0, 0xffff, v2
	v_or_b32_e32 v4, 0x10000, v2
	s_delay_alu instid0(VALU_DEP_2) | instskip(NEXT) | instid1(VALU_DEP_2)
	v_cmp_eq_u32_e32 vcc_lo, 0, v0
	v_cndmask_b32_e32 v0, v4, v2, vcc_lo
; %bb.5459:                             ;   in Loop: Header=BB466_2335 Depth=1
	s_or_b32 exec_lo, exec_lo, s0
	v_lshlrev_b32_e32 v1, 16, v1
	s_delay_alu instid0(VALU_DEP_1) | instskip(NEXT) | instid1(VALU_DEP_1)
	v_mul_f32_e32 v2, v135, v1
	v_and_b32_e32 v1, 0x7f800000, v2
	s_delay_alu instid0(VALU_DEP_1) | instskip(SKIP_1) | instid1(SALU_CYCLE_1)
	v_cmp_ne_u32_e32 vcc_lo, 0x7f800000, v1
                                        ; implicit-def: $vgpr1
	s_and_saveexec_b32 s0, vcc_lo
	s_xor_b32 s0, exec_lo, s0
; %bb.5460:                             ;   in Loop: Header=BB466_2335 Depth=1
	v_bfe_u32 v1, v2, 16, 1
	s_delay_alu instid0(VALU_DEP_1)
	v_add3_u32 v1, v2, v1, 0x7fff
                                        ; implicit-def: $vgpr2
; %bb.5461:                             ;   in Loop: Header=BB466_2335 Depth=1
	s_and_not1_saveexec_b32 s0, s0
; %bb.5462:                             ;   in Loop: Header=BB466_2335 Depth=1
	v_and_b32_e32 v1, 0xffff, v2
	v_or_b32_e32 v4, 0x10000, v2
	s_delay_alu instid0(VALU_DEP_2) | instskip(NEXT) | instid1(VALU_DEP_2)
	v_cmp_eq_u32_e32 vcc_lo, 0, v1
	v_cndmask_b32_e32 v1, v4, v2, vcc_lo
; %bb.5463:                             ;   in Loop: Header=BB466_2335 Depth=1
	s_or_b32 exec_lo, exec_lo, s0
	v_lshlrev_b32_e32 v2, 16, v61
	s_delay_alu instid0(VALU_DEP_1) | instskip(NEXT) | instid1(VALU_DEP_1)
	v_mul_f32_e32 v4, v144, v2
	v_and_b32_e32 v2, 0x7f800000, v4
	s_delay_alu instid0(VALU_DEP_1) | instskip(SKIP_1) | instid1(SALU_CYCLE_1)
	v_cmp_ne_u32_e32 vcc_lo, 0x7f800000, v2
                                        ; implicit-def: $vgpr2
	s_and_saveexec_b32 s0, vcc_lo
	s_xor_b32 s0, exec_lo, s0
; %bb.5464:                             ;   in Loop: Header=BB466_2335 Depth=1
	v_bfe_u32 v2, v4, 16, 1
	s_delay_alu instid0(VALU_DEP_1)
	v_add3_u32 v2, v4, v2, 0x7fff
                                        ; implicit-def: $vgpr4
; %bb.5465:                             ;   in Loop: Header=BB466_2335 Depth=1
	s_and_not1_saveexec_b32 s0, s0
; %bb.5466:                             ;   in Loop: Header=BB466_2335 Depth=1
	v_and_b32_e32 v2, 0xffff, v4
	v_or_b32_e32 v5, 0x10000, v4
	s_delay_alu instid0(VALU_DEP_2) | instskip(NEXT) | instid1(VALU_DEP_2)
	v_cmp_eq_u32_e32 vcc_lo, 0, v2
	v_cndmask_b32_e32 v2, v5, v4, vcc_lo
; %bb.5467:                             ;   in Loop: Header=BB466_2335 Depth=1
	s_or_b32 exec_lo, exec_lo, s0
	v_lshlrev_b32_e32 v3, 16, v3
	s_delay_alu instid0(VALU_DEP_1) | instskip(NEXT) | instid1(VALU_DEP_1)
	v_mul_f32_e32 v4, v145, v3
	v_and_b32_e32 v3, 0x7f800000, v4
	s_delay_alu instid0(VALU_DEP_1) | instskip(SKIP_1) | instid1(SALU_CYCLE_1)
	v_cmp_ne_u32_e32 vcc_lo, 0x7f800000, v3
                                        ; implicit-def: $vgpr3
	s_and_saveexec_b32 s0, vcc_lo
	s_xor_b32 s0, exec_lo, s0
; %bb.5468:                             ;   in Loop: Header=BB466_2335 Depth=1
	v_bfe_u32 v3, v4, 16, 1
	s_delay_alu instid0(VALU_DEP_1)
	v_add3_u32 v3, v4, v3, 0x7fff
                                        ; implicit-def: $vgpr4
; %bb.5469:                             ;   in Loop: Header=BB466_2335 Depth=1
	s_and_not1_saveexec_b32 s0, s0
; %bb.5470:                             ;   in Loop: Header=BB466_2335 Depth=1
	v_and_b32_e32 v3, 0xffff, v4
	v_or_b32_e32 v5, 0x10000, v4
	s_delay_alu instid0(VALU_DEP_2) | instskip(NEXT) | instid1(VALU_DEP_2)
	v_cmp_eq_u32_e32 vcc_lo, 0, v3
	v_cndmask_b32_e32 v3, v5, v4, vcc_lo
; %bb.5471:                             ;   in Loop: Header=BB466_2335 Depth=1
	s_or_b32 exec_lo, exec_lo, s0
	v_lshlrev_b32_e32 v4, 16, v62
	s_mov_b32 s0, exec_lo
                                        ; implicit-def: $vgpr6
	s_delay_alu instid0(VALU_DEP_1) | instskip(NEXT) | instid1(VALU_DEP_1)
	v_mul_f32_e32 v4, v146, v4
	v_and_b32_e32 v5, 0x7f800000, v4
	s_delay_alu instid0(VALU_DEP_1)
	v_cmpx_ne_u32_e32 0x7f800000, v5
	s_xor_b32 s0, exec_lo, s0
; %bb.5472:                             ;   in Loop: Header=BB466_2335 Depth=1
	v_bfe_u32 v5, v4, 16, 1
	s_delay_alu instid0(VALU_DEP_1)
	v_add3_u32 v6, v4, v5, 0x7fff
                                        ; implicit-def: $vgpr4
; %bb.5473:                             ;   in Loop: Header=BB466_2335 Depth=1
	s_and_not1_saveexec_b32 s0, s0
; %bb.5474:                             ;   in Loop: Header=BB466_2335 Depth=1
	v_and_b32_e32 v5, 0xffff, v4
	v_or_b32_e32 v6, 0x10000, v4
	s_delay_alu instid0(VALU_DEP_2) | instskip(NEXT) | instid1(VALU_DEP_2)
	v_cmp_eq_u32_e32 vcc_lo, 0, v5
	v_cndmask_b32_e32 v6, v6, v4, vcc_lo
; %bb.5475:                             ;   in Loop: Header=BB466_2335 Depth=1
	s_or_b32 exec_lo, exec_lo, s0
	v_lshlrev_b32_e32 v4, 16, v12
	s_mov_b32 s0, exec_lo
                                        ; implicit-def: $vgpr12
	s_delay_alu instid0(VALU_DEP_1) | instskip(NEXT) | instid1(VALU_DEP_1)
	v_mul_f32_e32 v4, v147, v4
	v_and_b32_e32 v5, 0x7f800000, v4
	s_delay_alu instid0(VALU_DEP_1)
	v_cmpx_ne_u32_e32 0x7f800000, v5
	s_xor_b32 s0, exec_lo, s0
; %bb.5476:                             ;   in Loop: Header=BB466_2335 Depth=1
	v_bfe_u32 v5, v4, 16, 1
	s_delay_alu instid0(VALU_DEP_1)
	v_add3_u32 v12, v4, v5, 0x7fff
                                        ; implicit-def: $vgpr4
; %bb.5477:                             ;   in Loop: Header=BB466_2335 Depth=1
	s_and_not1_saveexec_b32 s0, s0
; %bb.5478:                             ;   in Loop: Header=BB466_2335 Depth=1
	v_and_b32_e32 v5, 0xffff, v4
	v_or_b32_e32 v12, 0x10000, v4
	s_delay_alu instid0(VALU_DEP_2) | instskip(NEXT) | instid1(VALU_DEP_2)
	v_cmp_eq_u32_e32 vcc_lo, 0, v5
	v_cndmask_b32_e32 v12, v12, v4, vcc_lo
; %bb.5479:                             ;   in Loop: Header=BB466_2335 Depth=1
	s_or_b32 exec_lo, exec_lo, s0
	v_lshlrev_b32_e32 v4, 16, v7
	s_mov_b32 s0, exec_lo
                                        ; implicit-def: $vgpr7
	s_delay_alu instid0(VALU_DEP_1) | instskip(NEXT) | instid1(VALU_DEP_1)
	v_mul_f32_e32 v4, v148, v4
	v_and_b32_e32 v5, 0x7f800000, v4
	s_delay_alu instid0(VALU_DEP_1)
	v_cmpx_ne_u32_e32 0x7f800000, v5
	s_xor_b32 s0, exec_lo, s0
; %bb.5480:                             ;   in Loop: Header=BB466_2335 Depth=1
	v_bfe_u32 v5, v4, 16, 1
	s_delay_alu instid0(VALU_DEP_1)
	v_add3_u32 v7, v4, v5, 0x7fff
                                        ; implicit-def: $vgpr4
; %bb.5481:                             ;   in Loop: Header=BB466_2335 Depth=1
	s_and_not1_saveexec_b32 s0, s0
; %bb.5482:                             ;   in Loop: Header=BB466_2335 Depth=1
	v_and_b32_e32 v5, 0xffff, v4
	v_or_b32_e32 v7, 0x10000, v4
	s_delay_alu instid0(VALU_DEP_2) | instskip(NEXT) | instid1(VALU_DEP_2)
	v_cmp_eq_u32_e32 vcc_lo, 0, v5
	v_cndmask_b32_e32 v7, v7, v4, vcc_lo
; %bb.5483:                             ;   in Loop: Header=BB466_2335 Depth=1
	s_or_b32 exec_lo, exec_lo, s0
	v_lshlrev_b32_e32 v4, 16, v60
	s_mov_b32 s0, exec_lo
                                        ; implicit-def: $vgpr119
	s_delay_alu instid0(VALU_DEP_1) | instskip(NEXT) | instid1(VALU_DEP_1)
	v_mul_f32_e32 v4, v149, v4
	v_and_b32_e32 v5, 0x7f800000, v4
	s_delay_alu instid0(VALU_DEP_1)
	v_cmpx_ne_u32_e32 0x7f800000, v5
	s_xor_b32 s0, exec_lo, s0
; %bb.5484:                             ;   in Loop: Header=BB466_2335 Depth=1
	v_bfe_u32 v5, v4, 16, 1
	s_delay_alu instid0(VALU_DEP_1)
	v_add3_u32 v119, v4, v5, 0x7fff
                                        ; implicit-def: $vgpr4
; %bb.5485:                             ;   in Loop: Header=BB466_2335 Depth=1
	s_and_not1_saveexec_b32 s0, s0
	s_cbranch_execz .LBB466_2334
; %bb.5486:                             ;   in Loop: Header=BB466_2335 Depth=1
	v_and_b32_e32 v5, 0xffff, v4
	v_or_b32_e32 v119, 0x10000, v4
	s_delay_alu instid0(VALU_DEP_2) | instskip(NEXT) | instid1(VALU_DEP_2)
	v_cmp_eq_u32_e32 vcc_lo, 0, v5
	v_cndmask_b32_e32 v119, v119, v4, vcc_lo
	s_branch .LBB466_2334
.LBB466_5487:
	s_or_b32 exec_lo, exec_lo, s8
	s_clause 0x2
	scratch_load_b32 v70, off, s32 offset:588
	scratch_load_b32 v35, off, s32 offset:592
	;; [unrolled: 1-line block ×3, first 2 shown]
	v_dual_mov_b32 v0, s10 :: v_dual_mov_b32 v1, s11
.LBB466_5488:
	s_or_b32 exec_lo, exec_lo, s7
	s_delay_alu instid0(VALU_DEP_1)
	v_lshlrev_b64 v[0:1], 2, v[0:1]
	s_getpc_b64 s[2:3]
	s_add_u32 s2, s2, llvm.amdgcn.dynlds.offset.table@rel32@lo+4
	s_addc_u32 s3, s3, llvm.amdgcn.dynlds.offset.table@rel32@hi+12
	s_waitcnt vmcnt(0) lgkmcnt(0)
	s_waitcnt_vscnt null, 0x0
	s_barrier
	buffer_gl0_inv
	ds_bpermute_b32 v4, v35, v66
	v_add_co_u32 v0, vcc_lo, v0, s2
	v_add_co_ci_u32_e32 v1, vcc_lo, s3, v1, vcc_lo
	ds_bpermute_b32 v27, v35, v25
	ds_bpermute_b32 v2, v35, v68
	;; [unrolled: 1-line block ×3, first 2 shown]
	global_load_b32 v26, v[0:1], off
	scratch_load_b32 v1, off, s32 offset:1188 ; 4-byte Folded Reload
	ds_bpermute_b32 v16, v35, v33
	ds_bpermute_b32 v17, v35, v32
	;; [unrolled: 1-line block ×10, first 2 shown]
	s_waitcnt lgkmcnt(13)
	v_add_f32_e32 v4, v66, v4
	ds_bpermute_b32 v11, v35, v50
	ds_bpermute_b32 v12, v35, v49
	;; [unrolled: 1-line block ×4, first 2 shown]
	s_waitcnt lgkmcnt(16)
	v_add_f32_e32 v25, v25, v27
	ds_bpermute_b32 v15, v35, v38
	ds_bpermute_b32 v18, v35, v31
	;; [unrolled: 1-line block ×6, first 2 shown]
	s_waitcnt lgkmcnt(21)
	v_add_f32_e32 v2, v68, v2
	s_waitcnt lgkmcnt(20)
	v_add_f32_e32 v5, v64, v5
	;; [unrolled: 2-line block ×3, first 2 shown]
	v_dual_add_f32 v33, v33, v16 :: v_dual_add_f32 v32, v32, v17
	ds_bpermute_b32 v17, v70, v4
	ds_bpermute_b32 v68, v70, v25
	v_add_f32_e32 v27, v24, v34
	s_waitcnt lgkmcnt(15)
	v_dual_add_f32 v6, v55, v6 :: v_dual_add_f32 v7, v54, v7
	s_waitcnt lgkmcnt(13)
	v_dual_add_f32 v8, v53, v8 :: v_dual_add_f32 v9, v52, v9
	;; [unrolled: 2-line block ×6, first 2 shown]
	s_waitcnt lgkmcnt(2)
	v_add_f32_e32 v34, v21, v35
	ds_bpermute_b32 v18, v70, v5
	ds_bpermute_b32 v69, v70, v27
	v_dual_add_f32 v36, v39, v14 :: v_dual_add_f32 v37, v38, v15
	s_waitcnt lgkmcnt(3)
	v_add_f32_e32 v22, v4, v17
	s_waitcnt lgkmcnt(2)
	v_add_f32_e32 v4, v25, v68
	scratch_load_b32 v25, off, s32 offset:1196 ; 4-byte Folded Reload
	ds_bpermute_b32 v15, v70, v2
	ds_bpermute_b32 v16, v70, v3
	;; [unrolled: 1-line block ×17, first 2 shown]
	s_waitcnt lgkmcnt(18)
	v_add_f32_e32 v21, v5, v18
	v_add_f32_e32 v0, v65, v0
	ds_bpermute_b32 v65, v70, v30
	s_waitcnt lgkmcnt(17)
	v_add_f32_e32 v24, v2, v15
	s_waitcnt lgkmcnt(15)
	v_add_f32_e32 v20, v6, v19
	s_waitcnt lgkmcnt(13)
	v_dual_add_f32 v19, v7, v35 :: v_dual_add_f32 v18, v8, v38
	s_waitcnt lgkmcnt(12)
	v_add_f32_e32 v17, v9, v39
	ds_bpermute_b32 v14, v70, v0
	ds_bpermute_b32 v70, v70, v34
	s_waitcnt lgkmcnt(12)
	v_add_f32_e32 v15, v11, v49
	s_waitcnt lgkmcnt(10)
	v_add_f32_e32 v13, v13, v51
	;; [unrolled: 2-line block ×3, first 2 shown]
	s_waitcnt lgkmcnt(5)
	v_dual_add_f32 v9, v32, v55 :: v_dual_add_f32 v8, v31, v64
	s_waitcnt lgkmcnt(3)
	v_dual_add_f32 v6, v29, v66 :: v_dual_add_f32 v5, v28, v67
	;; [unrolled: 2-line block ×3, first 2 shown]
	v_add_f32_e32 v14, v12, v50
	v_add_f32_e32 v12, v36, v52
	s_waitcnt vmcnt(1) lgkmcnt(0)
	v_dual_add_f32 v2, v34, v70 :: v_dual_and_b32 v23, 0x3c3, v1
	scratch_load_b32 v1, off, s32 offset:1192 ; 4-byte Folded Reload
	v_cmp_eq_u32_e32 vcc_lo, 64, v23
	v_add_f32_e32 v23, v3, v16
	v_add_f32_e32 v16, v10, v48
	v_dual_add_f32 v10, v33, v54 :: v_dual_add_f32 v3, v27, v69
	s_waitcnt vmcnt(1)
	v_mad_u32_u24 v25, 0x300, v25, v26
	s_waitcnt vmcnt(0)
	v_lshrrev_b32_e32 v1, 2, v1
	s_delay_alu instid0(VALU_DEP_1)
	v_lshlrev_b32_e32 v26, 2, v1
	s_and_saveexec_b32 s0, vcc_lo
	s_cbranch_execz .LBB466_5490
; %bb.5489:
	s_delay_alu instid0(VALU_DEP_1)
	v_add3_u32 v27, v25, v26, 0xfffffa00
	ds_store_2addr_b32 v27, v0, v24 offset1:8
	ds_store_2addr_b32 v27, v23, v22 offset0:16 offset1:24
	ds_store_2addr_b32 v27, v21, v20 offset0:32 offset1:40
	;; [unrolled: 1-line block ×11, first 2 shown]
.LBB466_5490:
	s_or_b32 exec_lo, exec_lo, s0
	scratch_load_b32 v27, off, s32 offset:1188 ; 4-byte Folded Reload
	v_cmp_eq_u32_e32 vcc_lo, 0, v71
	s_mov_b32 s2, exec_lo
	s_waitcnt vmcnt(0) lgkmcnt(0)
	s_barrier
	buffer_gl0_inv
	v_cmpx_gt_u32_e32 64, v27
	s_cbranch_execz .LBB466_5517
; %bb.5491:
	s_and_saveexec_b32 s0, vcc_lo
	s_cbranch_execnz .LBB466_5646
; %bb.5492:
	s_or_b32 exec_lo, exec_lo, s0
	s_and_saveexec_b32 s0, vcc_lo
	s_cbranch_execnz .LBB466_5647
.LBB466_5493:
	s_or_b32 exec_lo, exec_lo, s0
	s_and_saveexec_b32 s0, vcc_lo
	s_cbranch_execnz .LBB466_5648
.LBB466_5494:
	s_or_b32 exec_lo, exec_lo, s0
	s_and_saveexec_b32 s0, vcc_lo
	s_cbranch_execnz .LBB466_5649
.LBB466_5495:
	s_or_b32 exec_lo, exec_lo, s0
	s_and_saveexec_b32 s0, vcc_lo
	s_cbranch_execnz .LBB466_5650
.LBB466_5496:
	s_or_b32 exec_lo, exec_lo, s0
	s_and_saveexec_b32 s0, vcc_lo
	s_cbranch_execnz .LBB466_5651
.LBB466_5497:
	s_or_b32 exec_lo, exec_lo, s0
	s_and_saveexec_b32 s0, vcc_lo
	s_cbranch_execnz .LBB466_5652
.LBB466_5498:
	s_or_b32 exec_lo, exec_lo, s0
	s_and_saveexec_b32 s0, vcc_lo
	s_cbranch_execnz .LBB466_5653
.LBB466_5499:
	s_or_b32 exec_lo, exec_lo, s0
	s_and_saveexec_b32 s0, vcc_lo
	s_cbranch_execnz .LBB466_5654
.LBB466_5500:
	s_or_b32 exec_lo, exec_lo, s0
	s_and_saveexec_b32 s0, vcc_lo
	s_cbranch_execnz .LBB466_5655
.LBB466_5501:
	s_or_b32 exec_lo, exec_lo, s0
	s_and_saveexec_b32 s0, vcc_lo
	s_cbranch_execnz .LBB466_5656
.LBB466_5502:
	s_or_b32 exec_lo, exec_lo, s0
	s_and_saveexec_b32 s0, vcc_lo
	s_cbranch_execnz .LBB466_5657
.LBB466_5503:
	s_or_b32 exec_lo, exec_lo, s0
	s_and_saveexec_b32 s0, vcc_lo
	s_cbranch_execnz .LBB466_5658
.LBB466_5504:
	s_or_b32 exec_lo, exec_lo, s0
	s_and_saveexec_b32 s0, vcc_lo
	s_cbranch_execnz .LBB466_5659
.LBB466_5505:
	s_or_b32 exec_lo, exec_lo, s0
	s_and_saveexec_b32 s0, vcc_lo
	s_cbranch_execnz .LBB466_5660
.LBB466_5506:
	s_or_b32 exec_lo, exec_lo, s0
	s_and_saveexec_b32 s0, vcc_lo
	s_cbranch_execnz .LBB466_5661
.LBB466_5507:
	s_or_b32 exec_lo, exec_lo, s0
	s_and_saveexec_b32 s0, vcc_lo
	s_cbranch_execnz .LBB466_5662
.LBB466_5508:
	s_or_b32 exec_lo, exec_lo, s0
	s_and_saveexec_b32 s0, vcc_lo
	s_cbranch_execnz .LBB466_5663
.LBB466_5509:
	s_or_b32 exec_lo, exec_lo, s0
	s_and_saveexec_b32 s0, vcc_lo
	s_cbranch_execnz .LBB466_5664
.LBB466_5510:
	s_or_b32 exec_lo, exec_lo, s0
	s_and_saveexec_b32 s0, vcc_lo
	s_cbranch_execnz .LBB466_5665
.LBB466_5511:
	s_or_b32 exec_lo, exec_lo, s0
	s_and_saveexec_b32 s0, vcc_lo
	s_cbranch_execnz .LBB466_5666
.LBB466_5512:
	s_or_b32 exec_lo, exec_lo, s0
	s_and_saveexec_b32 s0, vcc_lo
	s_cbranch_execnz .LBB466_5667
.LBB466_5513:
	s_or_b32 exec_lo, exec_lo, s0
	s_and_saveexec_b32 s0, vcc_lo
	s_cbranch_execnz .LBB466_5668
.LBB466_5514:
	s_or_b32 exec_lo, exec_lo, s0
	s_and_saveexec_b32 s0, vcc_lo
	s_cbranch_execz .LBB466_5516
.LBB466_5515:
	v_lshl_add_u32 v27, v1, 2, v25
	ds_load_b32 v27, v27 offset:736
	s_waitcnt lgkmcnt(0)
	v_add_f32_e32 v2, v27, v2
.LBB466_5516:
	s_or_b32 exec_lo, exec_lo, s0
.LBB466_5517:
	s_delay_alu instid0(SALU_CYCLE_1)
	s_or_b32 exec_lo, exec_lo, s2
	scratch_load_b32 v27, off, s32 offset:1188 ; 4-byte Folded Reload
	s_mov_b32 s2, exec_lo
	s_waitcnt vmcnt(0)
	s_barrier
	buffer_gl0_inv
	v_and_b32_e32 v27, 0x3e3, v27
	s_delay_alu instid0(VALU_DEP_1)
	v_cmpx_eq_u32_e32 32, v27
	s_cbranch_execz .LBB466_5519
; %bb.5518:
	v_add3_u32 v26, v25, v26, 0xfffffd00
	ds_store_2addr_b32 v26, v0, v24 offset1:8
	ds_store_2addr_b32 v26, v23, v22 offset0:16 offset1:24
	ds_store_2addr_b32 v26, v21, v20 offset0:32 offset1:40
	;; [unrolled: 1-line block ×11, first 2 shown]
.LBB466_5519:
	s_or_b32 exec_lo, exec_lo, s2
	scratch_load_b32 v26, off, s32 offset:1188 ; 4-byte Folded Reload
	s_waitcnt vmcnt(0) lgkmcnt(0)
	s_barrier
	buffer_gl0_inv
	v_cmp_gt_u32_e64 s0, 32, v26
	s_delay_alu instid0(VALU_DEP_1)
	s_and_saveexec_b32 s2, s0
	s_cbranch_execz .LBB466_5546
; %bb.5520:
	v_lshl_add_u32 v1, v1, 2, v25
	s_and_saveexec_b32 s3, vcc_lo
	s_cbranch_execnz .LBB466_5669
; %bb.5521:
	s_or_b32 exec_lo, exec_lo, s3
	s_and_saveexec_b32 s3, vcc_lo
	s_cbranch_execnz .LBB466_5670
.LBB466_5522:
	s_or_b32 exec_lo, exec_lo, s3
	s_and_saveexec_b32 s3, vcc_lo
	s_cbranch_execnz .LBB466_5671
.LBB466_5523:
	s_or_b32 exec_lo, exec_lo, s3
	s_and_saveexec_b32 s3, vcc_lo
	s_cbranch_execnz .LBB466_5672
.LBB466_5524:
	s_or_b32 exec_lo, exec_lo, s3
	s_and_saveexec_b32 s3, vcc_lo
	s_cbranch_execnz .LBB466_5673
.LBB466_5525:
	s_or_b32 exec_lo, exec_lo, s3
	s_and_saveexec_b32 s3, vcc_lo
	s_cbranch_execnz .LBB466_5674
.LBB466_5526:
	s_or_b32 exec_lo, exec_lo, s3
	s_and_saveexec_b32 s3, vcc_lo
	s_cbranch_execnz .LBB466_5675
.LBB466_5527:
	s_or_b32 exec_lo, exec_lo, s3
	s_and_saveexec_b32 s3, vcc_lo
	s_cbranch_execnz .LBB466_5676
.LBB466_5528:
	s_or_b32 exec_lo, exec_lo, s3
	s_and_saveexec_b32 s3, vcc_lo
	s_cbranch_execnz .LBB466_5677
.LBB466_5529:
	s_or_b32 exec_lo, exec_lo, s3
	s_and_saveexec_b32 s3, vcc_lo
	s_cbranch_execnz .LBB466_5678
.LBB466_5530:
	s_or_b32 exec_lo, exec_lo, s3
	s_and_saveexec_b32 s3, vcc_lo
	s_cbranch_execnz .LBB466_5679
.LBB466_5531:
	s_or_b32 exec_lo, exec_lo, s3
	s_and_saveexec_b32 s3, vcc_lo
	s_cbranch_execnz .LBB466_5680
.LBB466_5532:
	s_or_b32 exec_lo, exec_lo, s3
	s_and_saveexec_b32 s3, vcc_lo
	s_cbranch_execnz .LBB466_5681
.LBB466_5533:
	s_or_b32 exec_lo, exec_lo, s3
	s_and_saveexec_b32 s3, vcc_lo
	s_cbranch_execnz .LBB466_5682
.LBB466_5534:
	s_or_b32 exec_lo, exec_lo, s3
	s_and_saveexec_b32 s3, vcc_lo
	s_cbranch_execnz .LBB466_5683
.LBB466_5535:
	s_or_b32 exec_lo, exec_lo, s3
	s_and_saveexec_b32 s3, vcc_lo
	s_cbranch_execnz .LBB466_5684
.LBB466_5536:
	s_or_b32 exec_lo, exec_lo, s3
	s_and_saveexec_b32 s3, vcc_lo
	s_cbranch_execnz .LBB466_5685
.LBB466_5537:
	s_or_b32 exec_lo, exec_lo, s3
	s_and_saveexec_b32 s3, vcc_lo
	s_cbranch_execnz .LBB466_5686
.LBB466_5538:
	s_or_b32 exec_lo, exec_lo, s3
	s_and_saveexec_b32 s3, vcc_lo
	s_cbranch_execnz .LBB466_5687
.LBB466_5539:
	s_or_b32 exec_lo, exec_lo, s3
	s_and_saveexec_b32 s3, vcc_lo
	s_cbranch_execnz .LBB466_5688
.LBB466_5540:
	s_or_b32 exec_lo, exec_lo, s3
	s_and_saveexec_b32 s3, vcc_lo
	s_cbranch_execnz .LBB466_5689
.LBB466_5541:
	s_or_b32 exec_lo, exec_lo, s3
	s_and_saveexec_b32 s3, vcc_lo
	s_cbranch_execnz .LBB466_5690
.LBB466_5542:
	s_or_b32 exec_lo, exec_lo, s3
	s_and_saveexec_b32 s3, vcc_lo
	s_cbranch_execnz .LBB466_5691
.LBB466_5543:
	s_or_b32 exec_lo, exec_lo, s3
	s_and_saveexec_b32 s3, vcc_lo
	s_cbranch_execz .LBB466_5545
.LBB466_5544:
	ds_load_b32 v1, v1 offset:736
	s_waitcnt lgkmcnt(0)
	v_add_f32_e32 v2, v1, v2
.LBB466_5545:
	s_or_b32 exec_lo, exec_lo, s3
.LBB466_5546:
	s_delay_alu instid0(SALU_CYCLE_1)
	s_or_b32 exec_lo, exec_lo, s2
	s_barrier
	buffer_gl0_inv
	s_and_b32 exec_lo, exec_lo, s0
	s_cbranch_execz .LBB466_5645
; %bb.5547:
	s_and_b32 exec_lo, exec_lo, vcc_lo
	s_cbranch_execz .LBB466_5645
; %bb.5548:
	v_and_b32_e32 v1, 0x7f800000, v0
	s_mov_b32 s0, exec_lo
                                        ; implicit-def: $vgpr25
	s_delay_alu instid0(VALU_DEP_1)
	v_cmpx_ne_u32_e32 0x7f800000, v1
	s_xor_b32 s0, exec_lo, s0
; %bb.5549:
	v_bfe_u32 v1, v0, 16, 1
	s_delay_alu instid0(VALU_DEP_1)
	v_add3_u32 v25, v0, v1, 0x7fff
                                        ; implicit-def: $vgpr0
; %bb.5550:
	s_and_not1_saveexec_b32 s0, s0
; %bb.5551:
	v_and_b32_e32 v1, 0xffff, v0
	v_or_b32_e32 v25, 0x10000, v0
	s_delay_alu instid0(VALU_DEP_2) | instskip(NEXT) | instid1(VALU_DEP_2)
	v_cmp_eq_u32_e32 vcc_lo, 0, v1
	v_cndmask_b32_e32 v25, v25, v0, vcc_lo
; %bb.5552:
	s_or_b32 exec_lo, exec_lo, s0
	s_clause 0x2
	scratch_load_b32 v0, off, s32 offset:1188
	scratch_load_b32 v26, off, s32 offset:1200
	;; [unrolled: 1-line block ×3, first 2 shown]
	s_mul_i32 s2, s1, s4
	s_mul_i32 s0, s6, s1
	;; [unrolled: 1-line block ×5, first 2 shown]
	s_ashr_i32 s1, s0, 31
	s_ashr_i32 s3, s2, 31
	;; [unrolled: 1-line block ×3, first 2 shown]
	s_lshl_b64 s[0:1], s[0:1], 1
	s_lshl_b64 s[2:3], s[2:3], 1
	s_lshl_b64 s[6:7], s[6:7], 1
	s_add_u32 s0, s2, s0
	s_addc_u32 s1, s3, s1
	s_add_u32 s0, s0, s6
	s_addc_u32 s1, s1, s7
	v_and_b32_e32 v27, 0x7f800000, v24
	s_waitcnt vmcnt(2)
	v_lshrrev_b32_e32 v0, 1, v0
	s_waitcnt vmcnt(0)
	v_add_co_u32 v1, vcc_lo, s0, v1
	v_add_co_ci_u32_e32 v26, vcc_lo, s1, v26, vcc_lo
	s_delay_alu instid0(VALU_DEP_3) | instskip(SKIP_1) | instid1(VALU_DEP_1)
	v_and_b32_e32 v0, 0x1fe, v0
	s_mov_b32 s0, exec_lo
	v_add_co_u32 v0, vcc_lo, v1, v0
	s_delay_alu instid0(VALU_DEP_3)
	v_add_co_ci_u32_e32 v1, vcc_lo, 0, v26, vcc_lo
	flat_store_d16_hi_b16 v[0:1], v25
                                        ; implicit-def: $vgpr25
	v_cmpx_ne_u32_e32 0x7f800000, v27
	s_xor_b32 s0, exec_lo, s0
; %bb.5553:
	v_bfe_u32 v25, v24, 16, 1
	s_delay_alu instid0(VALU_DEP_1)
	v_add3_u32 v25, v24, v25, 0x7fff
                                        ; implicit-def: $vgpr24
; %bb.5554:
	s_and_not1_saveexec_b32 s0, s0
; %bb.5555:
	v_and_b32_e32 v25, 0xffff, v24
	v_or_b32_e32 v26, 0x10000, v24
	s_delay_alu instid0(VALU_DEP_2) | instskip(NEXT) | instid1(VALU_DEP_2)
	v_cmp_eq_u32_e32 vcc_lo, 0, v25
	v_cndmask_b32_e32 v25, v26, v24, vcc_lo
; %bb.5556:
	s_or_b32 exec_lo, exec_lo, s0
	v_and_b32_e32 v24, 0x7f800000, v23
	flat_store_d16_hi_b16 v[0:1], v25 offset:16
	v_cmp_ne_u32_e32 vcc_lo, 0x7f800000, v24
                                        ; implicit-def: $vgpr24
	s_and_saveexec_b32 s0, vcc_lo
	s_delay_alu instid0(SALU_CYCLE_1)
	s_xor_b32 s0, exec_lo, s0
; %bb.5557:
	v_bfe_u32 v24, v23, 16, 1
	s_delay_alu instid0(VALU_DEP_1)
	v_add3_u32 v24, v23, v24, 0x7fff
                                        ; implicit-def: $vgpr23
; %bb.5558:
	s_and_not1_saveexec_b32 s0, s0
; %bb.5559:
	v_and_b32_e32 v24, 0xffff, v23
	v_or_b32_e32 v25, 0x10000, v23
	s_delay_alu instid0(VALU_DEP_2) | instskip(NEXT) | instid1(VALU_DEP_2)
	v_cmp_eq_u32_e32 vcc_lo, 0, v24
	v_cndmask_b32_e32 v24, v25, v23, vcc_lo
; %bb.5560:
	s_or_b32 exec_lo, exec_lo, s0
	v_and_b32_e32 v23, 0x7f800000, v22
	flat_store_d16_hi_b16 v[0:1], v24 offset:32
	v_cmp_ne_u32_e32 vcc_lo, 0x7f800000, v23
                                        ; implicit-def: $vgpr23
	s_and_saveexec_b32 s0, vcc_lo
	s_delay_alu instid0(SALU_CYCLE_1)
	s_xor_b32 s0, exec_lo, s0
; %bb.5561:
	v_bfe_u32 v23, v22, 16, 1
	s_delay_alu instid0(VALU_DEP_1)
	v_add3_u32 v23, v22, v23, 0x7fff
                                        ; implicit-def: $vgpr22
; %bb.5562:
	s_and_not1_saveexec_b32 s0, s0
; %bb.5563:
	v_and_b32_e32 v23, 0xffff, v22
	v_or_b32_e32 v24, 0x10000, v22
	s_delay_alu instid0(VALU_DEP_2) | instskip(NEXT) | instid1(VALU_DEP_2)
	v_cmp_eq_u32_e32 vcc_lo, 0, v23
	v_cndmask_b32_e32 v23, v24, v22, vcc_lo
; %bb.5564:
	s_or_b32 exec_lo, exec_lo, s0
	v_and_b32_e32 v22, 0x7f800000, v21
	flat_store_d16_hi_b16 v[0:1], v23 offset:48
	v_cmp_ne_u32_e32 vcc_lo, 0x7f800000, v22
                                        ; implicit-def: $vgpr22
	s_and_saveexec_b32 s0, vcc_lo
	s_delay_alu instid0(SALU_CYCLE_1)
	s_xor_b32 s0, exec_lo, s0
; %bb.5565:
	v_bfe_u32 v22, v21, 16, 1
	s_delay_alu instid0(VALU_DEP_1)
	v_add3_u32 v22, v21, v22, 0x7fff
                                        ; implicit-def: $vgpr21
; %bb.5566:
	s_and_not1_saveexec_b32 s0, s0
; %bb.5567:
	v_and_b32_e32 v22, 0xffff, v21
	v_or_b32_e32 v23, 0x10000, v21
	s_delay_alu instid0(VALU_DEP_2) | instskip(NEXT) | instid1(VALU_DEP_2)
	v_cmp_eq_u32_e32 vcc_lo, 0, v22
	v_cndmask_b32_e32 v22, v23, v21, vcc_lo
; %bb.5568:
	s_or_b32 exec_lo, exec_lo, s0
	v_and_b32_e32 v21, 0x7f800000, v20
	flat_store_d16_hi_b16 v[0:1], v22 offset:64
	v_cmp_ne_u32_e32 vcc_lo, 0x7f800000, v21
                                        ; implicit-def: $vgpr21
	s_and_saveexec_b32 s0, vcc_lo
	s_delay_alu instid0(SALU_CYCLE_1)
	s_xor_b32 s0, exec_lo, s0
; %bb.5569:
	v_bfe_u32 v21, v20, 16, 1
	s_delay_alu instid0(VALU_DEP_1)
	v_add3_u32 v21, v20, v21, 0x7fff
                                        ; implicit-def: $vgpr20
; %bb.5570:
	s_and_not1_saveexec_b32 s0, s0
; %bb.5571:
	v_and_b32_e32 v21, 0xffff, v20
	v_or_b32_e32 v22, 0x10000, v20
	s_delay_alu instid0(VALU_DEP_2) | instskip(NEXT) | instid1(VALU_DEP_2)
	v_cmp_eq_u32_e32 vcc_lo, 0, v21
	v_cndmask_b32_e32 v21, v22, v20, vcc_lo
; %bb.5572:
	s_or_b32 exec_lo, exec_lo, s0
	v_and_b32_e32 v20, 0x7f800000, v19
	flat_store_d16_hi_b16 v[0:1], v21 offset:80
	v_cmp_ne_u32_e32 vcc_lo, 0x7f800000, v20
                                        ; implicit-def: $vgpr20
	s_and_saveexec_b32 s0, vcc_lo
	s_delay_alu instid0(SALU_CYCLE_1)
	s_xor_b32 s0, exec_lo, s0
; %bb.5573:
	v_bfe_u32 v20, v19, 16, 1
	s_delay_alu instid0(VALU_DEP_1)
	v_add3_u32 v20, v19, v20, 0x7fff
                                        ; implicit-def: $vgpr19
; %bb.5574:
	s_and_not1_saveexec_b32 s0, s0
; %bb.5575:
	v_and_b32_e32 v20, 0xffff, v19
	v_or_b32_e32 v21, 0x10000, v19
	s_delay_alu instid0(VALU_DEP_2) | instskip(NEXT) | instid1(VALU_DEP_2)
	v_cmp_eq_u32_e32 vcc_lo, 0, v20
	v_cndmask_b32_e32 v20, v21, v19, vcc_lo
; %bb.5576:
	s_or_b32 exec_lo, exec_lo, s0
	v_and_b32_e32 v19, 0x7f800000, v18
	flat_store_d16_hi_b16 v[0:1], v20 offset:96
	v_cmp_ne_u32_e32 vcc_lo, 0x7f800000, v19
                                        ; implicit-def: $vgpr19
	s_and_saveexec_b32 s0, vcc_lo
	s_delay_alu instid0(SALU_CYCLE_1)
	s_xor_b32 s0, exec_lo, s0
; %bb.5577:
	v_bfe_u32 v19, v18, 16, 1
	s_delay_alu instid0(VALU_DEP_1)
	v_add3_u32 v19, v18, v19, 0x7fff
                                        ; implicit-def: $vgpr18
; %bb.5578:
	s_and_not1_saveexec_b32 s0, s0
; %bb.5579:
	v_and_b32_e32 v19, 0xffff, v18
	v_or_b32_e32 v20, 0x10000, v18
	s_delay_alu instid0(VALU_DEP_2) | instskip(NEXT) | instid1(VALU_DEP_2)
	v_cmp_eq_u32_e32 vcc_lo, 0, v19
	v_cndmask_b32_e32 v19, v20, v18, vcc_lo
; %bb.5580:
	s_or_b32 exec_lo, exec_lo, s0
	v_and_b32_e32 v18, 0x7f800000, v17
	flat_store_d16_hi_b16 v[0:1], v19 offset:112
	v_cmp_ne_u32_e32 vcc_lo, 0x7f800000, v18
                                        ; implicit-def: $vgpr18
	s_and_saveexec_b32 s0, vcc_lo
	s_delay_alu instid0(SALU_CYCLE_1)
	s_xor_b32 s0, exec_lo, s0
; %bb.5581:
	v_bfe_u32 v18, v17, 16, 1
	s_delay_alu instid0(VALU_DEP_1)
	v_add3_u32 v18, v17, v18, 0x7fff
                                        ; implicit-def: $vgpr17
; %bb.5582:
	s_and_not1_saveexec_b32 s0, s0
; %bb.5583:
	v_and_b32_e32 v18, 0xffff, v17
	v_or_b32_e32 v19, 0x10000, v17
	s_delay_alu instid0(VALU_DEP_2) | instskip(NEXT) | instid1(VALU_DEP_2)
	v_cmp_eq_u32_e32 vcc_lo, 0, v18
	v_cndmask_b32_e32 v18, v19, v17, vcc_lo
; %bb.5584:
	s_or_b32 exec_lo, exec_lo, s0
	v_and_b32_e32 v17, 0x7f800000, v16
	flat_store_d16_hi_b16 v[0:1], v18 offset:128
	v_cmp_ne_u32_e32 vcc_lo, 0x7f800000, v17
                                        ; implicit-def: $vgpr17
	s_and_saveexec_b32 s0, vcc_lo
	s_delay_alu instid0(SALU_CYCLE_1)
	s_xor_b32 s0, exec_lo, s0
; %bb.5585:
	v_bfe_u32 v17, v16, 16, 1
	s_delay_alu instid0(VALU_DEP_1)
	v_add3_u32 v17, v16, v17, 0x7fff
                                        ; implicit-def: $vgpr16
; %bb.5586:
	s_and_not1_saveexec_b32 s0, s0
; %bb.5587:
	v_and_b32_e32 v17, 0xffff, v16
	v_or_b32_e32 v18, 0x10000, v16
	s_delay_alu instid0(VALU_DEP_2) | instskip(NEXT) | instid1(VALU_DEP_2)
	v_cmp_eq_u32_e32 vcc_lo, 0, v17
	v_cndmask_b32_e32 v17, v18, v16, vcc_lo
; %bb.5588:
	s_or_b32 exec_lo, exec_lo, s0
	v_and_b32_e32 v16, 0x7f800000, v15
	flat_store_d16_hi_b16 v[0:1], v17 offset:144
	v_cmp_ne_u32_e32 vcc_lo, 0x7f800000, v16
                                        ; implicit-def: $vgpr16
	s_and_saveexec_b32 s0, vcc_lo
	s_delay_alu instid0(SALU_CYCLE_1)
	s_xor_b32 s0, exec_lo, s0
; %bb.5589:
	v_bfe_u32 v16, v15, 16, 1
	s_delay_alu instid0(VALU_DEP_1)
	v_add3_u32 v16, v15, v16, 0x7fff
                                        ; implicit-def: $vgpr15
; %bb.5590:
	s_and_not1_saveexec_b32 s0, s0
; %bb.5591:
	v_and_b32_e32 v16, 0xffff, v15
	v_or_b32_e32 v17, 0x10000, v15
	s_delay_alu instid0(VALU_DEP_2) | instskip(NEXT) | instid1(VALU_DEP_2)
	v_cmp_eq_u32_e32 vcc_lo, 0, v16
	v_cndmask_b32_e32 v16, v17, v15, vcc_lo
; %bb.5592:
	s_or_b32 exec_lo, exec_lo, s0
	v_and_b32_e32 v15, 0x7f800000, v14
	flat_store_d16_hi_b16 v[0:1], v16 offset:160
	v_cmp_ne_u32_e32 vcc_lo, 0x7f800000, v15
                                        ; implicit-def: $vgpr15
	s_and_saveexec_b32 s0, vcc_lo
	s_delay_alu instid0(SALU_CYCLE_1)
	s_xor_b32 s0, exec_lo, s0
; %bb.5593:
	v_bfe_u32 v15, v14, 16, 1
	s_delay_alu instid0(VALU_DEP_1)
	v_add3_u32 v15, v14, v15, 0x7fff
                                        ; implicit-def: $vgpr14
; %bb.5594:
	s_and_not1_saveexec_b32 s0, s0
; %bb.5595:
	v_and_b32_e32 v15, 0xffff, v14
	v_or_b32_e32 v16, 0x10000, v14
	s_delay_alu instid0(VALU_DEP_2) | instskip(NEXT) | instid1(VALU_DEP_2)
	v_cmp_eq_u32_e32 vcc_lo, 0, v15
	v_cndmask_b32_e32 v15, v16, v14, vcc_lo
; %bb.5596:
	s_or_b32 exec_lo, exec_lo, s0
	v_and_b32_e32 v14, 0x7f800000, v13
	flat_store_d16_hi_b16 v[0:1], v15 offset:176
	v_cmp_ne_u32_e32 vcc_lo, 0x7f800000, v14
                                        ; implicit-def: $vgpr14
	s_and_saveexec_b32 s0, vcc_lo
	s_delay_alu instid0(SALU_CYCLE_1)
	s_xor_b32 s0, exec_lo, s0
; %bb.5597:
	v_bfe_u32 v14, v13, 16, 1
	s_delay_alu instid0(VALU_DEP_1)
	v_add3_u32 v14, v13, v14, 0x7fff
                                        ; implicit-def: $vgpr13
; %bb.5598:
	s_and_not1_saveexec_b32 s0, s0
; %bb.5599:
	v_and_b32_e32 v14, 0xffff, v13
	v_or_b32_e32 v15, 0x10000, v13
	s_delay_alu instid0(VALU_DEP_2) | instskip(NEXT) | instid1(VALU_DEP_2)
	v_cmp_eq_u32_e32 vcc_lo, 0, v14
	v_cndmask_b32_e32 v14, v15, v13, vcc_lo
; %bb.5600:
	s_or_b32 exec_lo, exec_lo, s0
	v_and_b32_e32 v13, 0x7f800000, v12
	flat_store_d16_hi_b16 v[0:1], v14 offset:192
	v_cmp_ne_u32_e32 vcc_lo, 0x7f800000, v13
                                        ; implicit-def: $vgpr13
	s_and_saveexec_b32 s0, vcc_lo
	s_delay_alu instid0(SALU_CYCLE_1)
	s_xor_b32 s0, exec_lo, s0
; %bb.5601:
	v_bfe_u32 v13, v12, 16, 1
	s_delay_alu instid0(VALU_DEP_1)
	v_add3_u32 v13, v12, v13, 0x7fff
                                        ; implicit-def: $vgpr12
; %bb.5602:
	s_and_not1_saveexec_b32 s0, s0
; %bb.5603:
	v_and_b32_e32 v13, 0xffff, v12
	v_or_b32_e32 v14, 0x10000, v12
	s_delay_alu instid0(VALU_DEP_2) | instskip(NEXT) | instid1(VALU_DEP_2)
	v_cmp_eq_u32_e32 vcc_lo, 0, v13
	v_cndmask_b32_e32 v13, v14, v12, vcc_lo
; %bb.5604:
	s_or_b32 exec_lo, exec_lo, s0
	v_and_b32_e32 v12, 0x7f800000, v11
	flat_store_d16_hi_b16 v[0:1], v13 offset:208
	v_cmp_ne_u32_e32 vcc_lo, 0x7f800000, v12
                                        ; implicit-def: $vgpr12
	s_and_saveexec_b32 s0, vcc_lo
	s_delay_alu instid0(SALU_CYCLE_1)
	s_xor_b32 s0, exec_lo, s0
; %bb.5605:
	v_bfe_u32 v12, v11, 16, 1
	s_delay_alu instid0(VALU_DEP_1)
	v_add3_u32 v12, v11, v12, 0x7fff
                                        ; implicit-def: $vgpr11
; %bb.5606:
	s_and_not1_saveexec_b32 s0, s0
; %bb.5607:
	v_and_b32_e32 v12, 0xffff, v11
	v_or_b32_e32 v13, 0x10000, v11
	s_delay_alu instid0(VALU_DEP_2) | instskip(NEXT) | instid1(VALU_DEP_2)
	v_cmp_eq_u32_e32 vcc_lo, 0, v12
	v_cndmask_b32_e32 v12, v13, v11, vcc_lo
; %bb.5608:
	s_or_b32 exec_lo, exec_lo, s0
	v_and_b32_e32 v11, 0x7f800000, v10
	flat_store_d16_hi_b16 v[0:1], v12 offset:224
	v_cmp_ne_u32_e32 vcc_lo, 0x7f800000, v11
                                        ; implicit-def: $vgpr11
	s_and_saveexec_b32 s0, vcc_lo
	s_delay_alu instid0(SALU_CYCLE_1)
	s_xor_b32 s0, exec_lo, s0
; %bb.5609:
	v_bfe_u32 v11, v10, 16, 1
	s_delay_alu instid0(VALU_DEP_1)
	v_add3_u32 v11, v10, v11, 0x7fff
                                        ; implicit-def: $vgpr10
; %bb.5610:
	s_and_not1_saveexec_b32 s0, s0
; %bb.5611:
	v_and_b32_e32 v11, 0xffff, v10
	v_or_b32_e32 v12, 0x10000, v10
	s_delay_alu instid0(VALU_DEP_2) | instskip(NEXT) | instid1(VALU_DEP_2)
	v_cmp_eq_u32_e32 vcc_lo, 0, v11
	v_cndmask_b32_e32 v11, v12, v10, vcc_lo
; %bb.5612:
	s_or_b32 exec_lo, exec_lo, s0
	v_and_b32_e32 v10, 0x7f800000, v9
	flat_store_d16_hi_b16 v[0:1], v11 offset:240
	v_cmp_ne_u32_e32 vcc_lo, 0x7f800000, v10
                                        ; implicit-def: $vgpr10
	s_and_saveexec_b32 s0, vcc_lo
	s_delay_alu instid0(SALU_CYCLE_1)
	s_xor_b32 s0, exec_lo, s0
; %bb.5613:
	v_bfe_u32 v10, v9, 16, 1
	s_delay_alu instid0(VALU_DEP_1)
	v_add3_u32 v10, v9, v10, 0x7fff
                                        ; implicit-def: $vgpr9
; %bb.5614:
	s_and_not1_saveexec_b32 s0, s0
; %bb.5615:
	v_and_b32_e32 v10, 0xffff, v9
	v_or_b32_e32 v11, 0x10000, v9
	s_delay_alu instid0(VALU_DEP_2) | instskip(NEXT) | instid1(VALU_DEP_2)
	v_cmp_eq_u32_e32 vcc_lo, 0, v10
	v_cndmask_b32_e32 v10, v11, v9, vcc_lo
; %bb.5616:
	s_or_b32 exec_lo, exec_lo, s0
	v_and_b32_e32 v9, 0x7f800000, v8
	flat_store_d16_hi_b16 v[0:1], v10 offset:256
	v_cmp_ne_u32_e32 vcc_lo, 0x7f800000, v9
                                        ; implicit-def: $vgpr9
	s_and_saveexec_b32 s0, vcc_lo
	s_delay_alu instid0(SALU_CYCLE_1)
	s_xor_b32 s0, exec_lo, s0
; %bb.5617:
	v_bfe_u32 v9, v8, 16, 1
	s_delay_alu instid0(VALU_DEP_1)
	v_add3_u32 v9, v8, v9, 0x7fff
                                        ; implicit-def: $vgpr8
; %bb.5618:
	s_and_not1_saveexec_b32 s0, s0
; %bb.5619:
	v_and_b32_e32 v9, 0xffff, v8
	v_or_b32_e32 v10, 0x10000, v8
	s_delay_alu instid0(VALU_DEP_2) | instskip(NEXT) | instid1(VALU_DEP_2)
	v_cmp_eq_u32_e32 vcc_lo, 0, v9
	v_cndmask_b32_e32 v9, v10, v8, vcc_lo
; %bb.5620:
	s_or_b32 exec_lo, exec_lo, s0
	v_and_b32_e32 v8, 0x7f800000, v7
	flat_store_d16_hi_b16 v[0:1], v9 offset:272
	v_cmp_ne_u32_e32 vcc_lo, 0x7f800000, v8
                                        ; implicit-def: $vgpr8
	s_and_saveexec_b32 s0, vcc_lo
	s_delay_alu instid0(SALU_CYCLE_1)
	s_xor_b32 s0, exec_lo, s0
; %bb.5621:
	v_bfe_u32 v8, v7, 16, 1
	s_delay_alu instid0(VALU_DEP_1)
	v_add3_u32 v8, v7, v8, 0x7fff
                                        ; implicit-def: $vgpr7
; %bb.5622:
	s_and_not1_saveexec_b32 s0, s0
; %bb.5623:
	v_and_b32_e32 v8, 0xffff, v7
	v_or_b32_e32 v9, 0x10000, v7
	s_delay_alu instid0(VALU_DEP_2) | instskip(NEXT) | instid1(VALU_DEP_2)
	v_cmp_eq_u32_e32 vcc_lo, 0, v8
	v_cndmask_b32_e32 v8, v9, v7, vcc_lo
; %bb.5624:
	s_or_b32 exec_lo, exec_lo, s0
	v_and_b32_e32 v7, 0x7f800000, v6
	flat_store_d16_hi_b16 v[0:1], v8 offset:288
	v_cmp_ne_u32_e32 vcc_lo, 0x7f800000, v7
                                        ; implicit-def: $vgpr7
	s_and_saveexec_b32 s0, vcc_lo
	s_delay_alu instid0(SALU_CYCLE_1)
	s_xor_b32 s0, exec_lo, s0
; %bb.5625:
	v_bfe_u32 v7, v6, 16, 1
	s_delay_alu instid0(VALU_DEP_1)
	v_add3_u32 v7, v6, v7, 0x7fff
                                        ; implicit-def: $vgpr6
; %bb.5626:
	s_and_not1_saveexec_b32 s0, s0
; %bb.5627:
	v_and_b32_e32 v7, 0xffff, v6
	v_or_b32_e32 v8, 0x10000, v6
	s_delay_alu instid0(VALU_DEP_2) | instskip(NEXT) | instid1(VALU_DEP_2)
	v_cmp_eq_u32_e32 vcc_lo, 0, v7
	v_cndmask_b32_e32 v7, v8, v6, vcc_lo
; %bb.5628:
	s_or_b32 exec_lo, exec_lo, s0
	v_and_b32_e32 v6, 0x7f800000, v5
	flat_store_d16_hi_b16 v[0:1], v7 offset:304
	v_cmp_ne_u32_e32 vcc_lo, 0x7f800000, v6
                                        ; implicit-def: $vgpr6
	s_and_saveexec_b32 s0, vcc_lo
	s_delay_alu instid0(SALU_CYCLE_1)
	s_xor_b32 s0, exec_lo, s0
; %bb.5629:
	v_bfe_u32 v6, v5, 16, 1
	s_delay_alu instid0(VALU_DEP_1)
	v_add3_u32 v6, v5, v6, 0x7fff
                                        ; implicit-def: $vgpr5
; %bb.5630:
	s_and_not1_saveexec_b32 s0, s0
; %bb.5631:
	v_and_b32_e32 v6, 0xffff, v5
	v_or_b32_e32 v7, 0x10000, v5
	s_delay_alu instid0(VALU_DEP_2) | instskip(NEXT) | instid1(VALU_DEP_2)
	v_cmp_eq_u32_e32 vcc_lo, 0, v6
	v_cndmask_b32_e32 v6, v7, v5, vcc_lo
; %bb.5632:
	s_or_b32 exec_lo, exec_lo, s0
	v_and_b32_e32 v5, 0x7f800000, v4
	flat_store_d16_hi_b16 v[0:1], v6 offset:320
	v_cmp_ne_u32_e32 vcc_lo, 0x7f800000, v5
                                        ; implicit-def: $vgpr5
	s_and_saveexec_b32 s0, vcc_lo
	s_delay_alu instid0(SALU_CYCLE_1)
	s_xor_b32 s0, exec_lo, s0
; %bb.5633:
	v_bfe_u32 v5, v4, 16, 1
	s_delay_alu instid0(VALU_DEP_1)
	v_add3_u32 v5, v4, v5, 0x7fff
                                        ; implicit-def: $vgpr4
; %bb.5634:
	s_and_not1_saveexec_b32 s0, s0
; %bb.5635:
	v_and_b32_e32 v5, 0xffff, v4
	v_or_b32_e32 v6, 0x10000, v4
	s_delay_alu instid0(VALU_DEP_2) | instskip(NEXT) | instid1(VALU_DEP_2)
	v_cmp_eq_u32_e32 vcc_lo, 0, v5
	v_cndmask_b32_e32 v5, v6, v4, vcc_lo
; %bb.5636:
	s_or_b32 exec_lo, exec_lo, s0
	v_and_b32_e32 v4, 0x7f800000, v3
	flat_store_d16_hi_b16 v[0:1], v5 offset:336
	v_cmp_ne_u32_e32 vcc_lo, 0x7f800000, v4
                                        ; implicit-def: $vgpr4
	s_and_saveexec_b32 s0, vcc_lo
	s_delay_alu instid0(SALU_CYCLE_1)
	s_xor_b32 s0, exec_lo, s0
; %bb.5637:
	v_bfe_u32 v4, v3, 16, 1
	s_delay_alu instid0(VALU_DEP_1)
	v_add3_u32 v4, v3, v4, 0x7fff
                                        ; implicit-def: $vgpr3
; %bb.5638:
	s_and_not1_saveexec_b32 s0, s0
; %bb.5639:
	v_and_b32_e32 v4, 0xffff, v3
	v_or_b32_e32 v5, 0x10000, v3
	s_delay_alu instid0(VALU_DEP_2) | instskip(NEXT) | instid1(VALU_DEP_2)
	v_cmp_eq_u32_e32 vcc_lo, 0, v4
	v_cndmask_b32_e32 v4, v5, v3, vcc_lo
; %bb.5640:
	s_or_b32 exec_lo, exec_lo, s0
	v_and_b32_e32 v3, 0x7f800000, v2
	flat_store_d16_hi_b16 v[0:1], v4 offset:352
	v_cmp_ne_u32_e32 vcc_lo, 0x7f800000, v3
                                        ; implicit-def: $vgpr3
	s_and_saveexec_b32 s0, vcc_lo
	s_delay_alu instid0(SALU_CYCLE_1)
	s_xor_b32 s0, exec_lo, s0
; %bb.5641:
	v_bfe_u32 v3, v2, 16, 1
	s_delay_alu instid0(VALU_DEP_1)
	v_add3_u32 v3, v2, v3, 0x7fff
                                        ; implicit-def: $vgpr2
; %bb.5642:
	s_and_not1_saveexec_b32 s0, s0
; %bb.5643:
	v_and_b32_e32 v3, 0xffff, v2
	v_or_b32_e32 v4, 0x10000, v2
	s_delay_alu instid0(VALU_DEP_2) | instskip(NEXT) | instid1(VALU_DEP_2)
	v_cmp_eq_u32_e32 vcc_lo, 0, v3
	v_cndmask_b32_e32 v3, v4, v2, vcc_lo
; %bb.5644:
	s_or_b32 exec_lo, exec_lo, s0
	flat_store_d16_hi_b16 v[0:1], v3 offset:368
.LBB466_5645:
	s_or_b32 exec_lo, exec_lo, s5
	s_clause 0x1f
	scratch_load_b32 v191, off, s32
	scratch_load_b32 v190, off, s32 offset:4
	scratch_load_b32 v189, off, s32 offset:8
	;; [unrolled: 1-line block ×31, first 2 shown]
	s_clause 0x1f
	scratch_load_b32 v127, off, s32 offset:128
	scratch_load_b32 v126, off, s32 offset:132
	scratch_load_b32 v125, off, s32 offset:136
	scratch_load_b32 v124, off, s32 offset:140
	scratch_load_b32 v123, off, s32 offset:144
	scratch_load_b32 v122, off, s32 offset:148
	scratch_load_b32 v121, off, s32 offset:152
	scratch_load_b32 v120, off, s32 offset:156
	scratch_load_b32 v111, off, s32 offset:160
	scratch_load_b32 v110, off, s32 offset:164
	scratch_load_b32 v109, off, s32 offset:168
	scratch_load_b32 v108, off, s32 offset:172
	scratch_load_b32 v107, off, s32 offset:176
	scratch_load_b32 v106, off, s32 offset:180
	scratch_load_b32 v105, off, s32 offset:184
	scratch_load_b32 v104, off, s32 offset:188
	scratch_load_b32 v95, off, s32 offset:192
	scratch_load_b32 v94, off, s32 offset:196
	scratch_load_b32 v93, off, s32 offset:200
	scratch_load_b32 v92, off, s32 offset:204
	scratch_load_b32 v91, off, s32 offset:208
	scratch_load_b32 v90, off, s32 offset:212
	scratch_load_b32 v89, off, s32 offset:216
	scratch_load_b32 v88, off, s32 offset:220
	scratch_load_b32 v79, off, s32 offset:224
	scratch_load_b32 v78, off, s32 offset:228
	scratch_load_b32 v77, off, s32 offset:232
	scratch_load_b32 v76, off, s32 offset:236
	scratch_load_b32 v75, off, s32 offset:240
	scratch_load_b32 v74, off, s32 offset:244
	scratch_load_b32 v73, off, s32 offset:248
	scratch_load_b32 v72, off, s32 offset:252
	s_clause 0xf
	scratch_load_b32 v63, off, s32 offset:256
	scratch_load_b32 v62, off, s32 offset:260
	;; [unrolled: 1-line block ×16, first 2 shown]
	s_waitcnt vmcnt(0) lgkmcnt(0)
	s_setpc_b64 s[30:31]
.LBB466_5646:
	v_lshl_add_u32 v27, v1, 2, v25
	ds_load_b32 v27, v27
	s_waitcnt lgkmcnt(0)
	v_add_f32_e32 v0, v27, v0
	s_or_b32 exec_lo, exec_lo, s0
	s_and_saveexec_b32 s0, vcc_lo
	s_cbranch_execz .LBB466_5493
.LBB466_5647:
	v_lshl_add_u32 v27, v1, 2, v25
	ds_load_b32 v27, v27 offset:32
	s_waitcnt lgkmcnt(0)
	v_add_f32_e32 v24, v27, v24
	s_or_b32 exec_lo, exec_lo, s0
	s_and_saveexec_b32 s0, vcc_lo
	s_cbranch_execz .LBB466_5494
.LBB466_5648:
	v_lshl_add_u32 v27, v1, 2, v25
	ds_load_b32 v27, v27 offset:64
	s_waitcnt lgkmcnt(0)
	v_add_f32_e32 v23, v27, v23
	s_or_b32 exec_lo, exec_lo, s0
	s_and_saveexec_b32 s0, vcc_lo
	s_cbranch_execz .LBB466_5495
.LBB466_5649:
	v_lshl_add_u32 v27, v1, 2, v25
	ds_load_b32 v27, v27 offset:96
	s_waitcnt lgkmcnt(0)
	v_add_f32_e32 v22, v27, v22
	s_or_b32 exec_lo, exec_lo, s0
	s_and_saveexec_b32 s0, vcc_lo
	s_cbranch_execz .LBB466_5496
.LBB466_5650:
	v_lshl_add_u32 v27, v1, 2, v25
	ds_load_b32 v27, v27 offset:128
	s_waitcnt lgkmcnt(0)
	v_add_f32_e32 v21, v27, v21
	s_or_b32 exec_lo, exec_lo, s0
	s_and_saveexec_b32 s0, vcc_lo
	s_cbranch_execz .LBB466_5497
.LBB466_5651:
	v_lshl_add_u32 v27, v1, 2, v25
	ds_load_b32 v27, v27 offset:160
	s_waitcnt lgkmcnt(0)
	v_add_f32_e32 v20, v27, v20
	s_or_b32 exec_lo, exec_lo, s0
	s_and_saveexec_b32 s0, vcc_lo
	s_cbranch_execz .LBB466_5498
.LBB466_5652:
	v_lshl_add_u32 v27, v1, 2, v25
	ds_load_b32 v27, v27 offset:192
	s_waitcnt lgkmcnt(0)
	v_add_f32_e32 v19, v27, v19
	s_or_b32 exec_lo, exec_lo, s0
	s_and_saveexec_b32 s0, vcc_lo
	s_cbranch_execz .LBB466_5499
.LBB466_5653:
	v_lshl_add_u32 v27, v1, 2, v25
	ds_load_b32 v27, v27 offset:224
	s_waitcnt lgkmcnt(0)
	v_add_f32_e32 v18, v27, v18
	s_or_b32 exec_lo, exec_lo, s0
	s_and_saveexec_b32 s0, vcc_lo
	s_cbranch_execz .LBB466_5500
.LBB466_5654:
	v_lshl_add_u32 v27, v1, 2, v25
	ds_load_b32 v27, v27 offset:256
	s_waitcnt lgkmcnt(0)
	v_add_f32_e32 v17, v27, v17
	s_or_b32 exec_lo, exec_lo, s0
	s_and_saveexec_b32 s0, vcc_lo
	s_cbranch_execz .LBB466_5501
.LBB466_5655:
	v_lshl_add_u32 v27, v1, 2, v25
	ds_load_b32 v27, v27 offset:288
	s_waitcnt lgkmcnt(0)
	v_add_f32_e32 v16, v27, v16
	s_or_b32 exec_lo, exec_lo, s0
	s_and_saveexec_b32 s0, vcc_lo
	s_cbranch_execz .LBB466_5502
.LBB466_5656:
	v_lshl_add_u32 v27, v1, 2, v25
	ds_load_b32 v27, v27 offset:320
	s_waitcnt lgkmcnt(0)
	v_add_f32_e32 v15, v27, v15
	s_or_b32 exec_lo, exec_lo, s0
	s_and_saveexec_b32 s0, vcc_lo
	s_cbranch_execz .LBB466_5503
.LBB466_5657:
	v_lshl_add_u32 v27, v1, 2, v25
	ds_load_b32 v27, v27 offset:352
	s_waitcnt lgkmcnt(0)
	v_add_f32_e32 v14, v27, v14
	s_or_b32 exec_lo, exec_lo, s0
	s_and_saveexec_b32 s0, vcc_lo
	s_cbranch_execz .LBB466_5504
.LBB466_5658:
	v_lshl_add_u32 v27, v1, 2, v25
	ds_load_b32 v27, v27 offset:384
	s_waitcnt lgkmcnt(0)
	v_add_f32_e32 v13, v27, v13
	s_or_b32 exec_lo, exec_lo, s0
	s_and_saveexec_b32 s0, vcc_lo
	s_cbranch_execz .LBB466_5505
.LBB466_5659:
	v_lshl_add_u32 v27, v1, 2, v25
	ds_load_b32 v27, v27 offset:416
	s_waitcnt lgkmcnt(0)
	v_add_f32_e32 v12, v27, v12
	s_or_b32 exec_lo, exec_lo, s0
	s_and_saveexec_b32 s0, vcc_lo
	s_cbranch_execz .LBB466_5506
.LBB466_5660:
	v_lshl_add_u32 v27, v1, 2, v25
	ds_load_b32 v27, v27 offset:448
	s_waitcnt lgkmcnt(0)
	v_add_f32_e32 v11, v27, v11
	s_or_b32 exec_lo, exec_lo, s0
	s_and_saveexec_b32 s0, vcc_lo
	s_cbranch_execz .LBB466_5507
.LBB466_5661:
	v_lshl_add_u32 v27, v1, 2, v25
	ds_load_b32 v27, v27 offset:480
	s_waitcnt lgkmcnt(0)
	v_add_f32_e32 v10, v27, v10
	s_or_b32 exec_lo, exec_lo, s0
	s_and_saveexec_b32 s0, vcc_lo
	s_cbranch_execz .LBB466_5508
.LBB466_5662:
	v_lshl_add_u32 v27, v1, 2, v25
	ds_load_b32 v27, v27 offset:512
	s_waitcnt lgkmcnt(0)
	v_add_f32_e32 v9, v27, v9
	s_or_b32 exec_lo, exec_lo, s0
	s_and_saveexec_b32 s0, vcc_lo
	s_cbranch_execz .LBB466_5509
.LBB466_5663:
	v_lshl_add_u32 v27, v1, 2, v25
	ds_load_b32 v27, v27 offset:544
	s_waitcnt lgkmcnt(0)
	v_add_f32_e32 v8, v27, v8
	s_or_b32 exec_lo, exec_lo, s0
	s_and_saveexec_b32 s0, vcc_lo
	s_cbranch_execz .LBB466_5510
.LBB466_5664:
	v_lshl_add_u32 v27, v1, 2, v25
	ds_load_b32 v27, v27 offset:576
	s_waitcnt lgkmcnt(0)
	v_add_f32_e32 v7, v27, v7
	s_or_b32 exec_lo, exec_lo, s0
	s_and_saveexec_b32 s0, vcc_lo
	s_cbranch_execz .LBB466_5511
.LBB466_5665:
	v_lshl_add_u32 v27, v1, 2, v25
	ds_load_b32 v27, v27 offset:608
	s_waitcnt lgkmcnt(0)
	v_add_f32_e32 v6, v27, v6
	s_or_b32 exec_lo, exec_lo, s0
	s_and_saveexec_b32 s0, vcc_lo
	s_cbranch_execz .LBB466_5512
.LBB466_5666:
	v_lshl_add_u32 v27, v1, 2, v25
	ds_load_b32 v27, v27 offset:640
	s_waitcnt lgkmcnt(0)
	v_add_f32_e32 v5, v27, v5
	s_or_b32 exec_lo, exec_lo, s0
	s_and_saveexec_b32 s0, vcc_lo
	s_cbranch_execz .LBB466_5513
.LBB466_5667:
	v_lshl_add_u32 v27, v1, 2, v25
	ds_load_b32 v27, v27 offset:672
	s_waitcnt lgkmcnt(0)
	v_add_f32_e32 v4, v27, v4
	s_or_b32 exec_lo, exec_lo, s0
	s_and_saveexec_b32 s0, vcc_lo
	s_cbranch_execz .LBB466_5514
.LBB466_5668:
	v_lshl_add_u32 v27, v1, 2, v25
	ds_load_b32 v27, v27 offset:704
	s_waitcnt lgkmcnt(0)
	v_add_f32_e32 v3, v27, v3
	s_or_b32 exec_lo, exec_lo, s0
	s_and_saveexec_b32 s0, vcc_lo
	s_cbranch_execnz .LBB466_5515
	s_branch .LBB466_5516
.LBB466_5669:
	ds_load_b32 v25, v1
	s_waitcnt lgkmcnt(0)
	v_add_f32_e32 v0, v25, v0
	s_or_b32 exec_lo, exec_lo, s3
	s_and_saveexec_b32 s3, vcc_lo
	s_cbranch_execz .LBB466_5522
.LBB466_5670:
	ds_load_b32 v25, v1 offset:32
	s_waitcnt lgkmcnt(0)
	v_add_f32_e32 v24, v25, v24
	s_or_b32 exec_lo, exec_lo, s3
	s_and_saveexec_b32 s3, vcc_lo
	s_cbranch_execz .LBB466_5523
.LBB466_5671:
	ds_load_b32 v25, v1 offset:64
	s_waitcnt lgkmcnt(0)
	v_add_f32_e32 v23, v25, v23
	s_or_b32 exec_lo, exec_lo, s3
	s_and_saveexec_b32 s3, vcc_lo
	s_cbranch_execz .LBB466_5524
.LBB466_5672:
	ds_load_b32 v25, v1 offset:96
	s_waitcnt lgkmcnt(0)
	v_add_f32_e32 v22, v25, v22
	s_or_b32 exec_lo, exec_lo, s3
	s_and_saveexec_b32 s3, vcc_lo
	s_cbranch_execz .LBB466_5525
.LBB466_5673:
	ds_load_b32 v25, v1 offset:128
	s_waitcnt lgkmcnt(0)
	v_add_f32_e32 v21, v25, v21
	s_or_b32 exec_lo, exec_lo, s3
	s_and_saveexec_b32 s3, vcc_lo
	s_cbranch_execz .LBB466_5526
.LBB466_5674:
	ds_load_b32 v25, v1 offset:160
	s_waitcnt lgkmcnt(0)
	v_add_f32_e32 v20, v25, v20
	s_or_b32 exec_lo, exec_lo, s3
	s_and_saveexec_b32 s3, vcc_lo
	s_cbranch_execz .LBB466_5527
.LBB466_5675:
	ds_load_b32 v25, v1 offset:192
	s_waitcnt lgkmcnt(0)
	v_add_f32_e32 v19, v25, v19
	s_or_b32 exec_lo, exec_lo, s3
	s_and_saveexec_b32 s3, vcc_lo
	s_cbranch_execz .LBB466_5528
.LBB466_5676:
	ds_load_b32 v25, v1 offset:224
	s_waitcnt lgkmcnt(0)
	v_add_f32_e32 v18, v25, v18
	s_or_b32 exec_lo, exec_lo, s3
	s_and_saveexec_b32 s3, vcc_lo
	s_cbranch_execz .LBB466_5529
.LBB466_5677:
	ds_load_b32 v25, v1 offset:256
	s_waitcnt lgkmcnt(0)
	v_add_f32_e32 v17, v25, v17
	s_or_b32 exec_lo, exec_lo, s3
	s_and_saveexec_b32 s3, vcc_lo
	s_cbranch_execz .LBB466_5530
.LBB466_5678:
	ds_load_b32 v25, v1 offset:288
	s_waitcnt lgkmcnt(0)
	v_add_f32_e32 v16, v25, v16
	s_or_b32 exec_lo, exec_lo, s3
	s_and_saveexec_b32 s3, vcc_lo
	s_cbranch_execz .LBB466_5531
.LBB466_5679:
	ds_load_b32 v25, v1 offset:320
	s_waitcnt lgkmcnt(0)
	v_add_f32_e32 v15, v25, v15
	s_or_b32 exec_lo, exec_lo, s3
	s_and_saveexec_b32 s3, vcc_lo
	s_cbranch_execz .LBB466_5532
.LBB466_5680:
	ds_load_b32 v25, v1 offset:352
	s_waitcnt lgkmcnt(0)
	v_add_f32_e32 v14, v25, v14
	s_or_b32 exec_lo, exec_lo, s3
	s_and_saveexec_b32 s3, vcc_lo
	s_cbranch_execz .LBB466_5533
.LBB466_5681:
	ds_load_b32 v25, v1 offset:384
	s_waitcnt lgkmcnt(0)
	v_add_f32_e32 v13, v25, v13
	s_or_b32 exec_lo, exec_lo, s3
	s_and_saveexec_b32 s3, vcc_lo
	s_cbranch_execz .LBB466_5534
.LBB466_5682:
	ds_load_b32 v25, v1 offset:416
	s_waitcnt lgkmcnt(0)
	v_add_f32_e32 v12, v25, v12
	s_or_b32 exec_lo, exec_lo, s3
	s_and_saveexec_b32 s3, vcc_lo
	s_cbranch_execz .LBB466_5535
.LBB466_5683:
	ds_load_b32 v25, v1 offset:448
	s_waitcnt lgkmcnt(0)
	v_add_f32_e32 v11, v25, v11
	s_or_b32 exec_lo, exec_lo, s3
	s_and_saveexec_b32 s3, vcc_lo
	s_cbranch_execz .LBB466_5536
.LBB466_5684:
	ds_load_b32 v25, v1 offset:480
	s_waitcnt lgkmcnt(0)
	v_add_f32_e32 v10, v25, v10
	s_or_b32 exec_lo, exec_lo, s3
	s_and_saveexec_b32 s3, vcc_lo
	s_cbranch_execz .LBB466_5537
.LBB466_5685:
	ds_load_b32 v25, v1 offset:512
	s_waitcnt lgkmcnt(0)
	v_add_f32_e32 v9, v25, v9
	s_or_b32 exec_lo, exec_lo, s3
	s_and_saveexec_b32 s3, vcc_lo
	s_cbranch_execz .LBB466_5538
.LBB466_5686:
	ds_load_b32 v25, v1 offset:544
	s_waitcnt lgkmcnt(0)
	v_add_f32_e32 v8, v25, v8
	s_or_b32 exec_lo, exec_lo, s3
	s_and_saveexec_b32 s3, vcc_lo
	s_cbranch_execz .LBB466_5539
.LBB466_5687:
	ds_load_b32 v25, v1 offset:576
	s_waitcnt lgkmcnt(0)
	v_add_f32_e32 v7, v25, v7
	s_or_b32 exec_lo, exec_lo, s3
	s_and_saveexec_b32 s3, vcc_lo
	s_cbranch_execz .LBB466_5540
.LBB466_5688:
	ds_load_b32 v25, v1 offset:608
	s_waitcnt lgkmcnt(0)
	v_add_f32_e32 v6, v25, v6
	s_or_b32 exec_lo, exec_lo, s3
	s_and_saveexec_b32 s3, vcc_lo
	s_cbranch_execz .LBB466_5541
.LBB466_5689:
	ds_load_b32 v25, v1 offset:640
	s_waitcnt lgkmcnt(0)
	v_add_f32_e32 v5, v25, v5
	s_or_b32 exec_lo, exec_lo, s3
	s_and_saveexec_b32 s3, vcc_lo
	s_cbranch_execz .LBB466_5542
.LBB466_5690:
	ds_load_b32 v25, v1 offset:672
	s_waitcnt lgkmcnt(0)
	v_add_f32_e32 v4, v25, v4
	s_or_b32 exec_lo, exec_lo, s3
	s_and_saveexec_b32 s3, vcc_lo
	s_cbranch_execz .LBB466_5543
.LBB466_5691:
	ds_load_b32 v25, v1 offset:704
	s_waitcnt lgkmcnt(0)
	v_add_f32_e32 v3, v25, v3
	s_or_b32 exec_lo, exec_lo, s3
	s_and_saveexec_b32 s3, vcc_lo
	s_cbranch_execnz .LBB466_5544
	s_branch .LBB466_5545
.Lfunc_end466:
	.size	_ZN4vllm22paged_attention_kernelI14__hip_bfloat16hLi192ELi32ELi128ELNS_18Fp8KVCacheDataTypeE1ELb0ELi512EEEvPfS3_PT_PKS4_PKT0_SA_ifPKiSC_iPKfiiiSE_SE_iiiii, .Lfunc_end466-_ZN4vllm22paged_attention_kernelI14__hip_bfloat16hLi192ELi32ELi128ELNS_18Fp8KVCacheDataTypeE1ELb0ELi512EEEvPfS3_PT_PKS4_PKT0_SA_ifPKiSC_iPKfiiiSE_SE_iiiii
                                        ; -- End function
	.section	.AMDGPU.csdata,"",@progbits
; Function info:
; codeLenInByte = 177836
; NumSgprs: 35
; NumVgprs: 192
; ScratchSize: 1276
; MemoryBound: 0
	.section	.text._ZN4vllm25paged_attention_v2_kernelI14__hip_bfloat16hLi192ELi32ELi128ELNS_18Fp8KVCacheDataTypeE1ELb0ELi512EEEvPfS3_PT_PKS4_PKT0_SA_ifPKiSC_iPKfiiiSE_SE_iiiii,"axG",@progbits,_ZN4vllm25paged_attention_v2_kernelI14__hip_bfloat16hLi192ELi32ELi128ELNS_18Fp8KVCacheDataTypeE1ELb0ELi512EEEvPfS3_PT_PKS4_PKT0_SA_ifPKiSC_iPKfiiiSE_SE_iiiii,comdat
	.protected	_ZN4vllm25paged_attention_v2_kernelI14__hip_bfloat16hLi192ELi32ELi128ELNS_18Fp8KVCacheDataTypeE1ELb0ELi512EEEvPfS3_PT_PKS4_PKT0_SA_ifPKiSC_iPKfiiiSE_SE_iiiii ; -- Begin function _ZN4vllm25paged_attention_v2_kernelI14__hip_bfloat16hLi192ELi32ELi128ELNS_18Fp8KVCacheDataTypeE1ELb0ELi512EEEvPfS3_PT_PKS4_PKT0_SA_ifPKiSC_iPKfiiiSE_SE_iiiii
	.globl	_ZN4vllm25paged_attention_v2_kernelI14__hip_bfloat16hLi192ELi32ELi128ELNS_18Fp8KVCacheDataTypeE1ELb0ELi512EEEvPfS3_PT_PKS4_PKT0_SA_ifPKiSC_iPKfiiiSE_SE_iiiii
	.p2align	8
	.type	_ZN4vllm25paged_attention_v2_kernelI14__hip_bfloat16hLi192ELi32ELi128ELNS_18Fp8KVCacheDataTypeE1ELb0ELi512EEEvPfS3_PT_PKS4_PKT0_SA_ifPKiSC_iPKfiiiSE_SE_iiiii,@function
_ZN4vllm25paged_attention_v2_kernelI14__hip_bfloat16hLi192ELi32ELi128ELNS_18Fp8KVCacheDataTypeE1ELb0ELi512EEEvPfS3_PT_PKS4_PKT0_SA_ifPKiSC_iPKfiiiSE_SE_iiiii: ; @_ZN4vllm25paged_attention_v2_kernelI14__hip_bfloat16hLi192ELi32ELi128ELNS_18Fp8KVCacheDataTypeE1ELb0ELi512EEEvPfS3_PT_PKS4_PKT0_SA_ifPKiSC_iPKfiiiSE_SE_iiiii
; %bb.0:
	s_clause 0x5
	s_load_b256 s[24:31], s[0:1], 0x0
	s_load_b256 s[16:23], s[0:1], 0x20
	s_load_b64 s[2:3], s[0:1], 0x40
	s_load_b64 s[4:5], s[0:1], 0x50
	s_load_b32 s6, s[0:1], 0x48
	s_load_b256 s[36:43], s[0:1], 0x58
	v_mov_b32_e32 v31, v0
	s_add_u32 s8, s0, 0x90
	s_mov_b32 s12, s13
	s_addc_u32 s9, s1, 0
	s_mov_b32 s13, s14
	s_mov_b32 s14, s15
	;; [unrolled: 1-line block ×4, first 2 shown]
	s_getpc_b64 s[0:1]
	s_add_u32 s0, s0, _ZN4vllm22paged_attention_kernelI14__hip_bfloat16hLi192ELi32ELi128ELNS_18Fp8KVCacheDataTypeE1ELb0ELi512EEEvPfS3_PT_PKS4_PKT0_SA_ifPKiSC_iPKfiiiSE_SE_iiiii@rel32@lo+4
	s_addc_u32 s1, s1, _ZN4vllm22paged_attention_kernelI14__hip_bfloat16hLi192ELi32ELi128ELNS_18Fp8KVCacheDataTypeE1ELb0ELi512EEEvPfS3_PT_PKS4_PKT0_SA_ifPKiSC_iPKfiiiSE_SE_iiiii@rel32@hi+12
	s_waitcnt lgkmcnt(0)
	v_dual_mov_b32 v0, s24 :: v_dual_mov_b32 v1, s25
	v_dual_mov_b32 v2, s26 :: v_dual_mov_b32 v3, s27
	;; [unrolled: 1-line block ×14, first 2 shown]
	s_swappc_b64 s[30:31], s[0:1]
	s_endpgm
	.section	.rodata,"a",@progbits
	.p2align	6, 0x0
	.amdhsa_kernel _ZN4vllm25paged_attention_v2_kernelI14__hip_bfloat16hLi192ELi32ELi128ELNS_18Fp8KVCacheDataTypeE1ELb0ELi512EEEvPfS3_PT_PKS4_PKT0_SA_ifPKiSC_iPKfiiiSE_SE_iiiii
		.amdhsa_group_segment_fixed_size 416
		.amdhsa_private_segment_fixed_size 1276
		.amdhsa_kernarg_size 400
		.amdhsa_user_sgpr_count 13
		.amdhsa_user_sgpr_dispatch_ptr 0
		.amdhsa_user_sgpr_queue_ptr 0
		.amdhsa_user_sgpr_kernarg_segment_ptr 1
		.amdhsa_user_sgpr_dispatch_id 0
		.amdhsa_user_sgpr_private_segment_size 0
		.amdhsa_wavefront_size32 1
		.amdhsa_uses_dynamic_stack 0
		.amdhsa_enable_private_segment 1
		.amdhsa_system_sgpr_workgroup_id_x 1
		.amdhsa_system_sgpr_workgroup_id_y 1
		.amdhsa_system_sgpr_workgroup_id_z 1
		.amdhsa_system_sgpr_workgroup_info 0
		.amdhsa_system_vgpr_workitem_id 0
		.amdhsa_next_free_vgpr 192
		.amdhsa_next_free_sgpr 44
		.amdhsa_reserve_vcc 1
		.amdhsa_float_round_mode_32 0
		.amdhsa_float_round_mode_16_64 0
		.amdhsa_float_denorm_mode_32 3
		.amdhsa_float_denorm_mode_16_64 3
		.amdhsa_dx10_clamp 1
		.amdhsa_ieee_mode 1
		.amdhsa_fp16_overflow 0
		.amdhsa_workgroup_processor_mode 1
		.amdhsa_memory_ordered 1
		.amdhsa_forward_progress 0
		.amdhsa_shared_vgpr_count 0
		.amdhsa_exception_fp_ieee_invalid_op 0
		.amdhsa_exception_fp_denorm_src 0
		.amdhsa_exception_fp_ieee_div_zero 0
		.amdhsa_exception_fp_ieee_overflow 0
		.amdhsa_exception_fp_ieee_underflow 0
		.amdhsa_exception_fp_ieee_inexact 0
		.amdhsa_exception_int_div_zero 0
	.end_amdhsa_kernel
	.section	.text._ZN4vllm25paged_attention_v2_kernelI14__hip_bfloat16hLi192ELi32ELi128ELNS_18Fp8KVCacheDataTypeE1ELb0ELi512EEEvPfS3_PT_PKS4_PKT0_SA_ifPKiSC_iPKfiiiSE_SE_iiiii,"axG",@progbits,_ZN4vllm25paged_attention_v2_kernelI14__hip_bfloat16hLi192ELi32ELi128ELNS_18Fp8KVCacheDataTypeE1ELb0ELi512EEEvPfS3_PT_PKS4_PKT0_SA_ifPKiSC_iPKfiiiSE_SE_iiiii,comdat
.Lfunc_end467:
	.size	_ZN4vllm25paged_attention_v2_kernelI14__hip_bfloat16hLi192ELi32ELi128ELNS_18Fp8KVCacheDataTypeE1ELb0ELi512EEEvPfS3_PT_PKS4_PKT0_SA_ifPKiSC_iPKfiiiSE_SE_iiiii, .Lfunc_end467-_ZN4vllm25paged_attention_v2_kernelI14__hip_bfloat16hLi192ELi32ELi128ELNS_18Fp8KVCacheDataTypeE1ELb0ELi512EEEvPfS3_PT_PKS4_PKT0_SA_ifPKiSC_iPKfiiiSE_SE_iiiii
                                        ; -- End function
	.section	.AMDGPU.csdata,"",@progbits
; Kernel info:
; codeLenInByte = 232
; NumSgprs: 46
; NumVgprs: 192
; ScratchSize: 1276
; MemoryBound: 0
; FloatMode: 240
; IeeeMode: 1
; LDSByteSize: 416 bytes/workgroup (compile time only)
; SGPRBlocks: 5
; VGPRBlocks: 23
; NumSGPRsForWavesPerEU: 46
; NumVGPRsForWavesPerEU: 192
; Occupancy: 8
; WaveLimiterHint : 1
; COMPUTE_PGM_RSRC2:SCRATCH_EN: 1
; COMPUTE_PGM_RSRC2:USER_SGPR: 13
; COMPUTE_PGM_RSRC2:TRAP_HANDLER: 0
; COMPUTE_PGM_RSRC2:TGID_X_EN: 1
; COMPUTE_PGM_RSRC2:TGID_Y_EN: 1
; COMPUTE_PGM_RSRC2:TGID_Z_EN: 1
; COMPUTE_PGM_RSRC2:TIDIG_COMP_CNT: 0
	.text
	.p2align	2                               ; -- Begin function _ZN4vllm22paged_attention_kernelI14__hip_bfloat16hLi256ELi32ELi128ELNS_18Fp8KVCacheDataTypeE1ELb0ELi512EEEvPfS3_PT_PKS4_PKT0_SA_ifPKiSC_iPKfiiiSE_SE_iiiii
	.type	_ZN4vllm22paged_attention_kernelI14__hip_bfloat16hLi256ELi32ELi128ELNS_18Fp8KVCacheDataTypeE1ELb0ELi512EEEvPfS3_PT_PKS4_PKT0_SA_ifPKiSC_iPKfiiiSE_SE_iiiii,@function
_ZN4vllm22paged_attention_kernelI14__hip_bfloat16hLi256ELi32ELi128ELNS_18Fp8KVCacheDataTypeE1ELb0ELi512EEEvPfS3_PT_PKS4_PKT0_SA_ifPKiSC_iPKfiiiSE_SE_iiiii: ; @_ZN4vllm22paged_attention_kernelI14__hip_bfloat16hLi256ELi32ELi128ELNS_18Fp8KVCacheDataTypeE1ELb0ELi512EEEvPfS3_PT_PKS4_PKT0_SA_ifPKiSC_iPKfiiiSE_SE_iiiii
; %bb.0:
	s_waitcnt vmcnt(0) expcnt(0) lgkmcnt(0)
	s_clause 0x1f
	scratch_store_b32 off, v40, s32 offset:316
	; meta instruction
	scratch_store_b32 off, v41, s32 offset:312
	; meta instruction
	;; [unrolled: 2-line block ×31, first 2 shown]
	scratch_store_b32 off, v95, s32 offset:192
	s_clause 0x1f
	scratch_store_b32 off, v104, s32 offset:188
	; meta instruction
	scratch_store_b32 off, v105, s32 offset:184
	; meta instruction
	scratch_store_b32 off, v106, s32 offset:180
	; meta instruction
	scratch_store_b32 off, v107, s32 offset:176
	; meta instruction
	scratch_store_b32 off, v108, s32 offset:172
	; meta instruction
	scratch_store_b32 off, v109, s32 offset:168
	; meta instruction
	scratch_store_b32 off, v110, s32 offset:164
	; meta instruction
	scratch_store_b32 off, v111, s32 offset:160
	; meta instruction
	scratch_store_b32 off, v120, s32 offset:156
	; meta instruction
	scratch_store_b32 off, v121, s32 offset:152
	; meta instruction
	scratch_store_b32 off, v122, s32 offset:148
	; meta instruction
	scratch_store_b32 off, v123, s32 offset:144
	; meta instruction
	scratch_store_b32 off, v124, s32 offset:140
	; meta instruction
	scratch_store_b32 off, v125, s32 offset:136
	; meta instruction
	scratch_store_b32 off, v126, s32 offset:132
	; meta instruction
	scratch_store_b32 off, v127, s32 offset:128
	; meta instruction
	scratch_store_b32 off, v136, s32 offset:124
	; meta instruction
	scratch_store_b32 off, v137, s32 offset:120
	; meta instruction
	scratch_store_b32 off, v138, s32 offset:116
	; meta instruction
	scratch_store_b32 off, v139, s32 offset:112
	; meta instruction
	scratch_store_b32 off, v140, s32 offset:108
	; meta instruction
	scratch_store_b32 off, v141, s32 offset:104
	; meta instruction
	scratch_store_b32 off, v142, s32 offset:100
	; meta instruction
	scratch_store_b32 off, v143, s32 offset:96
	; meta instruction
	scratch_store_b32 off, v152, s32 offset:92
	; meta instruction
	scratch_store_b32 off, v153, s32 offset:88
	; meta instruction
	scratch_store_b32 off, v154, s32 offset:84
	; meta instruction
	scratch_store_b32 off, v155, s32 offset:80
	; meta instruction
	scratch_store_b32 off, v156, s32 offset:76
	; meta instruction
	scratch_store_b32 off, v157, s32 offset:72
	; meta instruction
	scratch_store_b32 off, v158, s32 offset:68
	; meta instruction
	scratch_store_b32 off, v159, s32 offset:64
	s_clause 0xf
	scratch_store_b32 off, v168, s32 offset:60
	; meta instruction
	scratch_store_b32 off, v169, s32 offset:56
	; meta instruction
	;; [unrolled: 2-line block ×15, first 2 shown]
	scratch_store_b32 off, v191, s32
	s_mov_b32 s10, s13
	s_ashr_i32 s11, s13, 31
	s_clause 0x4
	scratch_store_b64 off, v[24:25], s32 offset:652
	scratch_store_b32 off, v22, s32 offset:320
	scratch_store_b32 off, v13, s32 offset:660
	;; [unrolled: 1-line block ×4, first 2 shown]
	s_lshl_b64 s[0:1], s[10:11], 2
	v_mov_b32_e32 v24, v0
	v_add_co_u32 v0, vcc_lo, v16, s0
	v_mov_b32_e32 v22, v1
	v_add_co_ci_u32_e32 v1, vcc_lo, s1, v17, vcc_lo
	v_dual_mov_b32 v25, v3 :: v_dual_mov_b32 v28, v2
	s_lshl_b32 s6, s14, 9
	flat_load_b32 v37, v[0:1]
	s_mov_b32 s11, exec_lo
	s_waitcnt vmcnt(0) lgkmcnt(0)
	v_cmpx_lt_i32_e64 s6, v37
	s_cbranch_execnz .LBB468_1
; %bb.7436:
	s_getpc_b64 s[26:27]
.Lpost_getpc7:
	s_add_u32 s26, s26, (.LBB468_7435-.Lpost_getpc7)&4294967295
	s_addc_u32 s27, s27, (.LBB468_7435-.Lpost_getpc7)>>32
	s_setpc_b64 s[26:27]
.LBB468_1:
	v_sub_nc_u32_e32 v0, 0, v12
	s_clause 0x1
	s_load_b32 s0, s[8:9], 0x10
	s_load_b32 s1, s[8:9], 0x0
	s_mov_b32 s18, s15
	v_max_i32_e32 v0, v12, v0
	s_delay_alu instid0(VALU_DEP_1) | instskip(SKIP_1) | instid1(VALU_DEP_2)
	v_cvt_f32_u32_e32 v1, v0
	v_sub_nc_u32_e32 v2, 0, v0
	v_rcp_iflag_f32_e32 v1, v1
	s_waitcnt lgkmcnt(0)
	s_lshr_b32 s0, s0, 16
	s_delay_alu instid0(SALU_CYCLE_1)
	s_cmp_lg_u32 s0, 0
	s_cselect_b32 s0, -1, 0
	s_waitcnt_depctr 0xfff
	v_mul_f32_e32 v1, 0x4f7ffffe, v1
	s_cmp_lg_u32 s0, 0
	s_addc_u32 s20, s1, 0
	s_abs_i32 s1, s12
	s_delay_alu instid0(VALU_DEP_1) | instskip(SKIP_1) | instid1(VALU_DEP_1)
	v_cvt_u32_f32_e32 v1, v1
	s_abs_i32 s0, s20
	v_mul_lo_u32 v2, v2, v1
	s_delay_alu instid0(VALU_DEP_1) | instskip(NEXT) | instid1(VALU_DEP_1)
	v_mul_hi_u32 v2, v1, v2
	v_add_nc_u32_e32 v1, v1, v2
	s_delay_alu instid0(VALU_DEP_1) | instskip(NEXT) | instid1(VALU_DEP_1)
	v_mul_hi_u32 v1, s0, v1
	v_mul_lo_u32 v2, v1, v0
	v_add_nc_u32_e32 v3, 1, v1
	s_delay_alu instid0(VALU_DEP_2) | instskip(SKIP_1) | instid1(VALU_DEP_1)
	v_sub_nc_u32_e32 v2, s0, v2
	s_mov_b32 s0, exec_lo
	v_sub_nc_u32_e32 v4, v2, v0
	v_cmp_ge_u32_e32 vcc_lo, v2, v0
	s_delay_alu instid0(VALU_DEP_2) | instskip(SKIP_1) | instid1(VALU_DEP_2)
	v_dual_cndmask_b32 v1, v1, v3 :: v_dual_cndmask_b32 v2, v2, v4
	v_xor_b32_e32 v3, s20, v12
	v_add_nc_u32_e32 v4, 1, v1
	s_delay_alu instid0(VALU_DEP_3) | instskip(NEXT) | instid1(VALU_DEP_3)
	v_cmp_ge_u32_e32 vcc_lo, v2, v0
	v_ashrrev_i32_e32 v3, 31, v3
	s_delay_alu instid0(VALU_DEP_3) | instskip(NEXT) | instid1(VALU_DEP_1)
	v_cndmask_b32_e32 v0, v1, v4, vcc_lo
	v_xor_b32_e32 v0, v0, v3
	s_delay_alu instid0(VALU_DEP_1) | instskip(NEXT) | instid1(VALU_DEP_1)
	v_sub_nc_u32_e32 v1, v0, v3
	v_sub_nc_u32_e32 v0, 0, v1
	s_delay_alu instid0(VALU_DEP_1) | instskip(NEXT) | instid1(VALU_DEP_1)
	v_max_i32_e32 v0, v1, v0
	v_cvt_f32_u32_e32 v2, v0
	v_sub_nc_u32_e32 v3, 0, v0
	s_delay_alu instid0(VALU_DEP_2) | instskip(SKIP_2) | instid1(VALU_DEP_1)
	v_rcp_iflag_f32_e32 v2, v2
	s_waitcnt_depctr 0xfff
	v_mul_f32_e32 v2, 0x4f7ffffe, v2
	v_cvt_u32_f32_e32 v2, v2
	s_delay_alu instid0(VALU_DEP_1) | instskip(NEXT) | instid1(VALU_DEP_1)
	v_mul_lo_u32 v3, v3, v2
	v_mul_hi_u32 v3, v2, v3
	s_delay_alu instid0(VALU_DEP_1) | instskip(NEXT) | instid1(VALU_DEP_1)
	v_add_nc_u32_e32 v2, v2, v3
	v_mad_u64_u32 v[16:17], null, s1, v2, 0
	v_mov_b32_e32 v2, 0
	scratch_store_b32 off, v2, s32 offset:664 ; 4-byte Folded Spill
	v_cmpx_ne_u64_e32 0, v[19:20]
	s_cbranch_execz .LBB468_3
; %bb.2:
	s_ashr_i32 s13, s12, 31
	s_delay_alu instid0(SALU_CYCLE_1) | instskip(NEXT) | instid1(SALU_CYCLE_1)
	s_lshl_b64 s[2:3], s[12:13], 2
	v_add_co_u32 v2, vcc_lo, v19, s2
	v_add_co_ci_u32_e32 v3, vcc_lo, s3, v20, vcc_lo
	flat_load_b32 v2, v[2:3]
	s_waitcnt vmcnt(0) lgkmcnt(0)
	scratch_store_b32 off, v2, s32 offset:664 ; 4-byte Folded Spill
.LBB468_3:
	s_or_b32 exec_lo, exec_lo, s0
	v_and_b32_e32 v12, 0x3ff, v31
	v_ashrrev_i32_e32 v1, 31, v1
	s_ashr_i32 s2, s12, 31
	s_lshl_b32 s16, s12, 8
	s_delay_alu instid0(VALU_DEP_2) | instskip(NEXT) | instid1(VALU_DEP_1)
	v_cmp_gt_u32_e64 s0, 32, v12
	s_and_saveexec_b32 s3, s0
	s_cbranch_execz .LBB468_5
; %bb.4:
	v_mul_lo_u32 v2, s10, v21
	s_ashr_i32 s17, s16, 31
	v_lshlrev_b32_e32 v13, 4, v12
	s_lshl_b64 s[4:5], s[16:17], 1
	s_delay_alu instid0(VALU_DEP_2) | instskip(NEXT) | instid1(VALU_DEP_1)
	v_ashrrev_i32_e32 v3, 31, v2
	v_lshlrev_b64 v[2:3], 1, v[2:3]
	s_delay_alu instid0(VALU_DEP_1) | instskip(NEXT) | instid1(VALU_DEP_2)
	v_add_co_u32 v2, vcc_lo, v6, v2
	v_add_co_ci_u32_e32 v3, vcc_lo, v7, v3, vcc_lo
	s_delay_alu instid0(VALU_DEP_2) | instskip(NEXT) | instid1(VALU_DEP_2)
	v_add_co_u32 v2, vcc_lo, v2, s4
	v_add_co_ci_u32_e32 v3, vcc_lo, s5, v3, vcc_lo
	s_delay_alu instid0(VALU_DEP_2) | instskip(NEXT) | instid1(VALU_DEP_2)
	v_add_co_u32 v2, vcc_lo, v2, v13
	v_add_co_ci_u32_e32 v3, vcc_lo, 0, v3, vcc_lo
	flat_load_b128 v[2:5], v[2:3]
	s_waitcnt vmcnt(0) lgkmcnt(0)
	ds_store_b128 v13, v[2:5]
.LBB468_5:
	s_or_b32 exec_lo, exec_lo, s3
	v_mul_lo_u32 v2, v17, v0
	s_clause 0x1
	s_load_b32 s13, s[8:9], 0x14
	s_load_b32 s7, s[8:9], 0x8
	s_lshl_b32 s8, s14, 4
	v_xor_b32_e32 v1, s2, v1
	v_mov_b32_e32 v72, 0xff7fffff
	s_delay_alu instid0(VALU_DEP_3) | instskip(SKIP_1) | instid1(VALU_DEP_1)
	v_sub_nc_u32_e32 v2, s1, v2
	s_add_i32 s1, s8, 16
	v_sub_nc_u32_e32 v4, v2, v0
	v_cmp_ge_u32_e32 vcc_lo, v2, v0
	s_delay_alu instid0(VALU_DEP_2) | instskip(NEXT) | instid1(VALU_DEP_1)
	v_dual_cndmask_b32 v2, v2, v4 :: v_dual_add_nc_u32 v3, 1, v17
	v_cndmask_b32_e32 v3, v17, v3, vcc_lo
	s_delay_alu instid0(VALU_DEP_2) | instskip(NEXT) | instid1(VALU_DEP_2)
	v_cmp_ge_u32_e32 vcc_lo, v2, v0
	v_add_nc_u32_e32 v4, 1, v3
	v_add_nc_u32_e32 v5, 31, v37
	v_mul_lo_u32 v0, s10, v18
	s_delay_alu instid0(VALU_DEP_3) | instskip(NEXT) | instid1(VALU_DEP_3)
	v_cndmask_b32_e32 v2, v3, v4, vcc_lo
	v_ashrrev_i32_e32 v6, 31, v5
	v_lshrrev_b32_e32 v4, 5, v12
	s_delay_alu instid0(VALU_DEP_3) | instskip(NEXT) | instid1(VALU_DEP_3)
	v_xor_b32_e32 v2, v2, v1
	v_lshrrev_b32_e32 v3, 27, v6
	s_delay_alu instid0(VALU_DEP_3) | instskip(SKIP_1) | instid1(VALU_DEP_4)
	v_add_nc_u32_e32 v16, s8, v4
	v_lshlrev_b32_e32 v18, 5, v4
	v_sub_nc_u32_e32 v2, v2, v1
	s_delay_alu instid0(VALU_DEP_4)
	v_add_nc_u32_e32 v3, v5, v3
	v_ashrrev_i32_e32 v1, 31, v0
	v_and_b32_e32 v5, 31, v12
	v_ashrrev_i32_e32 v17, 31, v16
	v_mul_lo_u32 v85, v2, v23
	v_ashrrev_i32_e32 v13, 5, v3
	v_lshlrev_b64 v[35:36], 2, v[0:1]
	v_lshlrev_b32_e32 v29, 2, v5
	scratch_store_b32 off, v5, s32 offset:1704 ; 4-byte Folded Spill
	v_min_i32_e32 v2, s1, v13
	v_ashrrev_i32_e32 v86, 31, v85
	s_delay_alu instid0(VALU_DEP_2)
	v_cmp_ge_i32_e64 s1, v16, v2
	s_clause 0x1
	scratch_store_b32 off, v2, s32 offset:324
	scratch_store_b32 off, v4, s32 offset:1708
	v_cmp_lt_i32_e32 vcc_lo, v16, v2
	s_waitcnt lgkmcnt(0)
	s_waitcnt_vscnt null, 0x0
	s_barrier
	buffer_gl0_inv
	s_mov_b32 s9, exec_lo
	s_delay_alu instid0(SALU_CYCLE_1)
	s_and_b32 s2, s9, vcc_lo
	scratch_store_b32 off, v12, s32 offset:1712 ; 4-byte Folded Spill
	s_mov_b32 exec_lo, s2
	s_cbranch_execz .LBB468_3081
; %bb.6:
	v_mov_b32_e32 v19, 0
	s_clause 0x7
	scratch_store_b32 off, v13, s32 offset:1776
	scratch_store_b32 off, v28, s32 offset:1760
	;; [unrolled: 1-line block ×7, first 2 shown]
	scratch_store_b64 off, v[26:27], s32 offset:1732
	s_ashr_i32 s19, s18, 31
	v_mov_b32_e32 v76, v16
	s_lshl_b64 s[2:3], s[18:19], 2
	ds_load_b128 v[0:3], v19
	ds_load_b128 v[4:7], v19 offset:16
	ds_load_b128 v[10:13], v19 offset:32
	;; [unrolled: 1-line block ×3, first 2 shown]
	s_getpc_b64 s[4:5]
	s_add_u32 s4, s4, llvm.amdgcn.dynlds.offset.table@rel32@lo+4
	s_addc_u32 s5, s5, llvm.amdgcn.dynlds.offset.table@rel32@hi+12
	s_add_u32 s2, s2, s4
	s_addc_u32 s3, s3, s5
	s_mov_b32 s4, -1
	s_mov_b32 s15, 0
	s_mov_b32 s5, 0xffffff
	v_mov_b32_e32 v72, 0xff7fffff
	s_waitcnt lgkmcnt(3)
	v_lshlrev_b32_e32 v24, 16, v0
	v_and_b32_e32 v0, 0xffff0000, v0
	s_clause 0x1
	scratch_store_b32 off, v24, s32 offset:668
	scratch_store_b32 off, v0, s32 offset:672
	v_lshlrev_b32_e32 v0, 16, v1
	scratch_store_b32 off, v0, s32 offset:676 ; 4-byte Folded Spill
	v_and_b32_e32 v0, 0xffff0000, v1
	scratch_store_b32 off, v0, s32 offset:680 ; 4-byte Folded Spill
	v_lshlrev_b32_e32 v0, 16, v2
	scratch_store_b32 off, v0, s32 offset:684 ; 4-byte Folded Spill
	v_and_b32_e32 v0, 0xffff0000, v2
	scratch_store_b32 off, v0, s32 offset:688 ; 4-byte Folded Spill
	;; [unrolled: 4-line block ×3, first 2 shown]
	s_waitcnt lgkmcnt(2)
	v_lshlrev_b32_e32 v0, 16, v4
	scratch_store_b32 off, v0, s32 offset:700 ; 4-byte Folded Spill
	v_and_b32_e32 v0, 0xffff0000, v4
	v_and_b32_e32 v4, 0xffff0000, v7
	s_clause 0x1
	scratch_store_b32 off, v0, s32 offset:704
	scratch_store_b32 off, v4, s32 offset:728
	v_lshlrev_b32_e32 v0, 16, v5
	s_waitcnt lgkmcnt(1)
	v_lshlrev_b32_e32 v4, 16, v10
	s_clause 0x1
	scratch_store_b32 off, v0, s32 offset:708
	scratch_store_b32 off, v4, s32 offset:732
	v_and_b32_e32 v0, 0xffff0000, v5
	v_and_b32_e32 v4, 0xffff0000, v10
	;; [unrolled: 1-line block ×3, first 2 shown]
	s_clause 0x2
	scratch_store_b32 off, v0, s32 offset:712
	scratch_store_b32 off, v4, s32 offset:736
	;; [unrolled: 1-line block ×3, first 2 shown]
	v_lshlrev_b32_e32 v0, 16, v6
	v_lshlrev_b32_e32 v4, 16, v11
	s_waitcnt lgkmcnt(0)
	v_lshlrev_b32_e32 v10, 16, v20
	s_clause 0x2
	scratch_store_b32 off, v0, s32 offset:716
	scratch_store_b32 off, v4, s32 offset:740
	;; [unrolled: 1-line block ×3, first 2 shown]
	v_and_b32_e32 v0, 0xffff0000, v6
	v_and_b32_e32 v4, 0xffff0000, v11
	;; [unrolled: 1-line block ×4, first 2 shown]
	s_clause 0x3
	scratch_store_b32 off, v0, s32 offset:720
	scratch_store_b32 off, v4, s32 offset:744
	;; [unrolled: 1-line block ×4, first 2 shown]
	v_lshlrev_b32_e32 v0, 16, v7
	v_lshlrev_b32_e32 v4, 16, v12
	;; [unrolled: 1-line block ×3, first 2 shown]
	s_clause 0x2
	scratch_store_b32 off, v0, s32 offset:724
	scratch_store_b32 off, v4, s32 offset:748
	;; [unrolled: 1-line block ×3, first 2 shown]
	ds_load_b128 v[0:3], v19 offset:64
	v_and_b32_e32 v4, 0xffff0000, v12
	v_and_b32_e32 v10, 0xffff0000, v21
	s_clause 0x1
	scratch_store_b32 off, v4, s32 offset:752
	scratch_store_b32 off, v10, s32 offset:776
	v_lshlrev_b32_e32 v4, 16, v13
	v_lshlrev_b32_e32 v10, 16, v22
	scratch_store_b32 off, v4, s32 offset:756 ; 4-byte Folded Spill
	ds_load_b128 v[4:7], v19 offset:80
	s_waitcnt lgkmcnt(1)
	v_lshlrev_b32_e32 v20, 16, v0
	scratch_store_b32 off, v10, s32 offset:780 ; 4-byte Folded Spill
	v_and_b32_e32 v10, 0xffff0000, v22
	v_and_b32_e32 v0, 0xffff0000, v0
	s_clause 0x1
	scratch_store_b32 off, v10, s32 offset:784
	scratch_store_b32 off, v0, s32 offset:800
	v_lshlrev_b32_e32 v10, 16, v23
	v_lshlrev_b32_e32 v0, 16, v1
	s_clause 0x1
	scratch_store_b32 off, v10, s32 offset:788
	scratch_store_b32 off, v0, s32 offset:808
	v_and_b32_e32 v0, 0xffff0000, v1
	scratch_store_b32 off, v20, s32 offset:796 ; 4-byte Folded Spill
	ds_load_b128 v[10:13], v19 offset:96
	ds_load_b128 v[20:23], v19 offset:112
	scratch_store_b32 off, v0, s32 offset:812 ; 4-byte Folded Spill
	v_lshlrev_b32_e32 v0, 16, v2
	scratch_store_b32 off, v0, s32 offset:816 ; 4-byte Folded Spill
	v_and_b32_e32 v0, 0xffff0000, v2
	scratch_store_b32 off, v0, s32 offset:820 ; 4-byte Folded Spill
	v_lshlrev_b32_e32 v0, 16, v3
	scratch_store_b32 off, v0, s32 offset:824 ; 4-byte Folded Spill
	v_and_b32_e32 v0, 0xffff0000, v3
	scratch_store_b32 off, v0, s32 offset:828 ; 4-byte Folded Spill
	s_waitcnt lgkmcnt(2)
	v_lshlrev_b32_e32 v0, 16, v4
	scratch_store_b32 off, v0, s32 offset:832 ; 4-byte Folded Spill
	v_and_b32_e32 v0, 0xffff0000, v4
	v_and_b32_e32 v4, 0xffff0000, v7
	s_clause 0x1
	scratch_store_b32 off, v0, s32 offset:836
	scratch_store_b32 off, v4, s32 offset:860
	v_lshlrev_b32_e32 v0, 16, v5
	s_waitcnt lgkmcnt(1)
	v_lshlrev_b32_e32 v4, 16, v10
	s_clause 0x1
	scratch_store_b32 off, v0, s32 offset:840
	scratch_store_b32 off, v4, s32 offset:864
	v_and_b32_e32 v0, 0xffff0000, v5
	v_and_b32_e32 v4, 0xffff0000, v10
	;; [unrolled: 1-line block ×3, first 2 shown]
	s_clause 0x2
	scratch_store_b32 off, v0, s32 offset:844
	scratch_store_b32 off, v4, s32 offset:868
	;; [unrolled: 1-line block ×3, first 2 shown]
	v_lshlrev_b32_e32 v0, 16, v6
	v_lshlrev_b32_e32 v4, 16, v11
	s_waitcnt lgkmcnt(0)
	v_lshlrev_b32_e32 v10, 16, v20
	s_clause 0x2
	scratch_store_b32 off, v0, s32 offset:848
	scratch_store_b32 off, v4, s32 offset:872
	;; [unrolled: 1-line block ×3, first 2 shown]
	v_and_b32_e32 v0, 0xffff0000, v6
	v_and_b32_e32 v4, 0xffff0000, v11
	;; [unrolled: 1-line block ×3, first 2 shown]
	v_lshlrev_b32_e32 v20, 16, v23
	s_clause 0x3
	scratch_store_b32 off, v0, s32 offset:852
	scratch_store_b32 off, v4, s32 offset:876
	;; [unrolled: 1-line block ×4, first 2 shown]
	v_lshlrev_b32_e32 v0, 16, v7
	v_lshlrev_b32_e32 v4, 16, v12
	;; [unrolled: 1-line block ×3, first 2 shown]
	v_and_b32_e32 v20, 0xffff0000, v23
	s_clause 0x3
	scratch_store_b32 off, v0, s32 offset:856
	scratch_store_b32 off, v4, s32 offset:880
	;; [unrolled: 1-line block ×4, first 2 shown]
	ds_load_b128 v[0:3], v19 offset:128
	v_and_b32_e32 v4, 0xffff0000, v12
	v_and_b32_e32 v10, 0xffff0000, v21
	s_clause 0x1
	scratch_store_b32 off, v4, s32 offset:884
	scratch_store_b32 off, v10, s32 offset:908
	v_lshlrev_b32_e32 v4, 16, v13
	v_lshlrev_b32_e32 v10, 16, v22
	scratch_store_b32 off, v4, s32 offset:888 ; 4-byte Folded Spill
	ds_load_b128 v[4:7], v19 offset:144
	s_waitcnt lgkmcnt(1)
	v_lshlrev_b32_e32 v20, 16, v0
	scratch_store_b32 off, v10, s32 offset:912 ; 4-byte Folded Spill
	v_and_b32_e32 v10, 0xffff0000, v22
	v_and_b32_e32 v0, 0xffff0000, v0
	s_clause 0x1
	scratch_store_b32 off, v10, s32 offset:916
	scratch_store_b32 off, v0, s32 offset:932
	v_lshlrev_b32_e32 v0, 16, v1
	scratch_store_b32 off, v20, s32 offset:928 ; 4-byte Folded Spill
	ds_load_b128 v[10:13], v19 offset:160
	ds_load_b128 v[20:23], v19 offset:176
	scratch_store_b32 off, v0, s32 offset:936 ; 4-byte Folded Spill
	v_and_b32_e32 v0, 0xffff0000, v1
	scratch_store_b32 off, v0, s32 offset:940 ; 4-byte Folded Spill
	v_lshlrev_b32_e32 v0, 16, v2
	scratch_store_b32 off, v0, s32 offset:944 ; 4-byte Folded Spill
	v_and_b32_e32 v0, 0xffff0000, v2
	scratch_store_b32 off, v0, s32 offset:948 ; 4-byte Folded Spill
	v_lshlrev_b32_e32 v0, 16, v3
	scratch_store_b32 off, v0, s32 offset:952 ; 4-byte Folded Spill
	v_and_b32_e32 v0, 0xffff0000, v3
	scratch_store_b32 off, v0, s32 offset:956 ; 4-byte Folded Spill
	s_waitcnt lgkmcnt(2)
	v_lshlrev_b32_e32 v0, 16, v4
	scratch_store_b32 off, v0, s32 offset:960 ; 4-byte Folded Spill
	v_and_b32_e32 v0, 0xffff0000, v4
	scratch_store_b32 off, v0, s32 offset:964 ; 4-byte Folded Spill
	v_lshlrev_b32_e32 v0, 16, v5
	scratch_store_b32 off, v0, s32 offset:968 ; 4-byte Folded Spill
	v_and_b32_e32 v0, 0xffff0000, v5
	scratch_store_b32 off, v0, s32 offset:972 ; 4-byte Folded Spill
	v_lshlrev_b32_e32 v0, 16, v6
	scratch_store_b32 off, v0, s32 offset:976 ; 4-byte Folded Spill
	v_and_b32_e32 v0, 0xffff0000, v6
	scratch_store_b32 off, v0, s32 offset:980 ; 4-byte Folded Spill
	v_lshlrev_b32_e32 v0, 16, v7
	scratch_store_b32 off, v0, s32 offset:984 ; 4-byte Folded Spill
	v_and_b32_e32 v0, 0xffff0000, v7
	scratch_store_b32 off, v0, s32 offset:988 ; 4-byte Folded Spill
	s_waitcnt lgkmcnt(1)
	v_lshlrev_b32_e32 v0, 16, v10
	scratch_store_b32 off, v0, s32 offset:992 ; 4-byte Folded Spill
	v_and_b32_e32 v0, 0xffff0000, v10
	scratch_store_b32 off, v0, s32 offset:996 ; 4-byte Folded Spill
	v_lshlrev_b32_e32 v0, 16, v11
	;; [unrolled: 17-line block ×3, first 2 shown]
	scratch_store_b32 off, v0, s32 offset:1032 ; 4-byte Folded Spill
	v_and_b32_e32 v0, 0xffff0000, v21
	scratch_store_b32 off, v0, s32 offset:1036 ; 4-byte Folded Spill
	v_lshlrev_b32_e32 v0, 16, v22
	scratch_store_b32 off, v0, s32 offset:1040 ; 4-byte Folded Spill
	v_and_b32_e32 v0, 0xffff0000, v22
	scratch_store_b32 off, v0, s32 offset:1044 ; 4-byte Folded Spill
	v_lshlrev_b32_e32 v0, 16, v23
	scratch_store_b32 off, v0, s32 offset:1048 ; 4-byte Folded Spill
	v_and_b32_e32 v0, 0xffff0000, v23
	scratch_store_b32 off, v0, s32 offset:1052 ; 4-byte Folded Spill
	ds_load_b128 v[0:3], v19 offset:192
	ds_load_b128 v[4:7], v19 offset:208
	s_waitcnt lgkmcnt(1)
	v_lshlrev_b32_e32 v10, 16, v0
	v_and_b32_e32 v0, 0xffff0000, v0
	s_clause 0x1
	scratch_store_b32 off, v10, s32 offset:1056
	scratch_store_b32 off, v0, s32 offset:1060
	v_lshlrev_b32_e32 v0, 16, v1
	scratch_store_b32 off, v0, s32 offset:1064 ; 4-byte Folded Spill
	v_and_b32_e32 v0, 0xffff0000, v1
	scratch_store_b32 off, v0, s32 offset:1068 ; 4-byte Folded Spill
	v_lshlrev_b32_e32 v0, 16, v2
	scratch_store_b32 off, v0, s32 offset:1072 ; 4-byte Folded Spill
	v_and_b32_e32 v0, 0xffff0000, v2
	scratch_store_b32 off, v0, s32 offset:1076 ; 4-byte Folded Spill
	v_lshlrev_b32_e32 v0, 16, v3
	scratch_store_b32 off, v0, s32 offset:1080 ; 4-byte Folded Spill
	v_and_b32_e32 v0, 0xffff0000, v3
	scratch_store_b32 off, v0, s32 offset:1084 ; 4-byte Folded Spill
	s_waitcnt lgkmcnt(0)
	v_lshlrev_b32_e32 v0, 16, v4
	scratch_store_b32 off, v0, s32 offset:1088 ; 4-byte Folded Spill
	v_and_b32_e32 v0, 0xffff0000, v4
	scratch_store_b32 off, v0, s32 offset:1092 ; 4-byte Folded Spill
	v_lshlrev_b32_e32 v0, 16, v5
	scratch_store_b32 off, v0, s32 offset:1096 ; 4-byte Folded Spill
	v_and_b32_e32 v0, 0xffff0000, v5
	scratch_store_b32 off, v0, s32 offset:1100 ; 4-byte Folded Spill
	v_lshlrev_b32_e32 v0, 16, v6
	scratch_store_b32 off, v0, s32 offset:1104 ; 4-byte Folded Spill
	v_and_b32_e32 v0, 0xffff0000, v6
	scratch_store_b32 off, v0, s32 offset:1108 ; 4-byte Folded Spill
	v_lshlrev_b32_e32 v0, 16, v7
	scratch_store_b32 off, v0, s32 offset:1112 ; 4-byte Folded Spill
	v_and_b32_e32 v0, 0xffff0000, v7
	scratch_store_b32 off, v0, s32 offset:1116 ; 4-byte Folded Spill
	ds_load_b128 v[0:3], v19 offset:224
	ds_load_b128 v[4:7], v19 offset:240
	s_waitcnt lgkmcnt(1)
	v_lshlrev_b32_e32 v10, 16, v0
	v_and_b32_e32 v0, 0xffff0000, v0
	s_clause 0x1
	scratch_store_b32 off, v10, s32 offset:1120
	scratch_store_b32 off, v0, s32 offset:1124
	v_lshlrev_b32_e32 v0, 16, v1
	scratch_store_b32 off, v0, s32 offset:1128 ; 4-byte Folded Spill
	v_and_b32_e32 v0, 0xffff0000, v1
	scratch_store_b32 off, v0, s32 offset:1132 ; 4-byte Folded Spill
	v_lshlrev_b32_e32 v0, 16, v2
	scratch_store_b32 off, v0, s32 offset:1136 ; 4-byte Folded Spill
	v_and_b32_e32 v0, 0xffff0000, v2
	scratch_store_b32 off, v0, s32 offset:1140 ; 4-byte Folded Spill
	v_lshlrev_b32_e32 v0, 16, v3
	scratch_store_b32 off, v0, s32 offset:1144 ; 4-byte Folded Spill
	v_and_b32_e32 v0, 0xffff0000, v3
	scratch_store_b32 off, v0, s32 offset:1148 ; 4-byte Folded Spill
	s_waitcnt lgkmcnt(0)
	v_lshlrev_b32_e32 v0, 16, v4
	scratch_store_b32 off, v0, s32 offset:1152 ; 4-byte Folded Spill
	v_and_b32_e32 v0, 0xffff0000, v4
	scratch_store_b32 off, v0, s32 offset:1156 ; 4-byte Folded Spill
	v_lshlrev_b32_e32 v0, 16, v5
	;; [unrolled: 37-line block ×4, first 2 shown]
	scratch_store_b32 off, v0, s32 offset:1288 ; 4-byte Folded Spill
	v_and_b32_e32 v0, 0xffff0000, v5
	scratch_store_b32 off, v0, s32 offset:1292 ; 4-byte Folded Spill
	v_lshlrev_b32_e32 v0, 16, v6
	scratch_store_b32 off, v0, s32 offset:1296 ; 4-byte Folded Spill
	v_and_b32_e32 v0, 0xffff0000, v6
	scratch_store_b32 off, v0, s32 offset:1300 ; 4-byte Folded Spill
	v_lshlrev_b32_e32 v0, 16, v7
	scratch_store_b32 off, v0, s32 offset:1304 ; 4-byte Folded Spill
	v_and_b32_e32 v0, 0xffff0000, v7
	scratch_store_b32 off, v0, s32 offset:1308 ; 4-byte Folded Spill
	ds_load_b128 v[0:3], v19 offset:320
	ds_load_b128 v[4:7], v19 offset:336
	s_waitcnt lgkmcnt(1)
	v_lshlrev_b32_e32 v10, 16, v0
	v_and_b32_e32 v0, 0xffff0000, v0
	s_clause 0x1
	scratch_store_b32 off, v10, s32 offset:1312
	scratch_store_b32 off, v0, s32 offset:1316
	v_lshlrev_b32_e32 v0, 16, v1
	scratch_store_b32 off, v0, s32 offset:1320 ; 4-byte Folded Spill
	v_and_b32_e32 v0, 0xffff0000, v1
	scratch_store_b32 off, v0, s32 offset:1324 ; 4-byte Folded Spill
	v_lshlrev_b32_e32 v0, 16, v2
	scratch_store_b32 off, v0, s32 offset:1328 ; 4-byte Folded Spill
	v_and_b32_e32 v0, 0xffff0000, v2
	scratch_store_b32 off, v0, s32 offset:1332 ; 4-byte Folded Spill
	;; [unrolled: 4-line block ×3, first 2 shown]
	s_waitcnt lgkmcnt(0)
	v_bfi_b32 v0, 0xffff, 0, v4
	scratch_store_b32 off, v0, s32 offset:1344 ; 4-byte Folded Spill
	v_lshlrev_b32_e32 v0, 16, v4
	scratch_store_b32 off, v0, s32 offset:1348 ; 4-byte Folded Spill
	v_bfi_b32 v0, 0xffff, 0, v5
	scratch_store_b32 off, v0, s32 offset:1352 ; 4-byte Folded Spill
	v_lshlrev_b32_e32 v0, 16, v5
	scratch_store_b32 off, v0, s32 offset:1356 ; 4-byte Folded Spill
	;; [unrolled: 4-line block ×4, first 2 shown]
	ds_load_b128 v[0:3], v19 offset:352
	ds_load_b128 v[4:7], v19 offset:368
	s_waitcnt lgkmcnt(1)
	v_bfi_b32 v10, 0xffff, 0, v0
	v_lshlrev_b32_e32 v0, 16, v0
	s_clause 0x1
	scratch_store_b32 off, v10, s32 offset:1376
	scratch_store_b32 off, v0, s32 offset:1380
	v_bfi_b32 v0, 0xffff, 0, v1
	scratch_store_b32 off, v0, s32 offset:1384 ; 4-byte Folded Spill
	v_lshlrev_b32_e32 v0, 16, v1
	scratch_store_b32 off, v0, s32 offset:1388 ; 4-byte Folded Spill
	v_bfi_b32 v0, 0xffff, 0, v2
	scratch_store_b32 off, v0, s32 offset:1392 ; 4-byte Folded Spill
	v_lshlrev_b32_e32 v0, 16, v2
	scratch_store_b32 off, v0, s32 offset:1396 ; 4-byte Folded Spill
	;; [unrolled: 4-line block ×3, first 2 shown]
	s_waitcnt lgkmcnt(0)
	v_bfi_b32 v0, 0xffff, 0, v6
	scratch_store_b32 off, v0, s32 offset:1408 ; 4-byte Folded Spill
	v_lshlrev_b32_e32 v0, 16, v6
	scratch_store_b32 off, v0, s32 offset:1412 ; 4-byte Folded Spill
	v_bfi_b32 v0, 0xffff, 0, v7
	scratch_store_b32 off, v0, s32 offset:1416 ; 4-byte Folded Spill
	v_lshlrev_b32_e32 v0, 16, v7
	scratch_store_b32 off, v0, s32 offset:1420 ; 4-byte Folded Spill
	;; [unrolled: 4-line block ×4, first 2 shown]
	ds_load_b128 v[0:3], v19 offset:384
	ds_load_b128 v[4:7], v19 offset:400
	s_waitcnt lgkmcnt(1)
	v_bfi_b32 v10, 0xffff, 0, v0
	v_lshlrev_b32_e32 v0, 16, v0
	s_clause 0x1
	scratch_store_b32 off, v10, s32 offset:1440
	scratch_store_b32 off, v0, s32 offset:1444
	v_bfi_b32 v0, 0xffff, 0, v1
	scratch_store_b32 off, v0, s32 offset:1448 ; 4-byte Folded Spill
	v_lshlrev_b32_e32 v0, 16, v1
	scratch_store_b32 off, v0, s32 offset:1452 ; 4-byte Folded Spill
	v_lshlrev_b32_e32 v0, 16, v2
	scratch_store_b32 off, v0, s32 offset:1456 ; 4-byte Folded Spill
	v_and_b32_e32 v0, 0xffff0000, v2
	scratch_store_b32 off, v0, s32 offset:1460 ; 4-byte Folded Spill
	v_bfi_b32 v0, 0xffff, 0, v3
	scratch_store_b32 off, v0, s32 offset:1464 ; 4-byte Folded Spill
	v_lshlrev_b32_e32 v0, 16, v3
	scratch_store_b32 off, v0, s32 offset:1468 ; 4-byte Folded Spill
	s_waitcnt lgkmcnt(0)
	v_bfi_b32 v0, 0xffff, 0, v4
	scratch_store_b32 off, v0, s32 offset:1472 ; 4-byte Folded Spill
	v_lshlrev_b32_e32 v0, 16, v4
	scratch_store_b32 off, v0, s32 offset:1476 ; 4-byte Folded Spill
	v_bfi_b32 v0, 0xffff, 0, v5
	scratch_store_b32 off, v0, s32 offset:1480 ; 4-byte Folded Spill
	v_lshlrev_b32_e32 v0, 16, v5
	scratch_store_b32 off, v0, s32 offset:1484 ; 4-byte Folded Spill
	;; [unrolled: 4-line block ×4, first 2 shown]
	ds_load_b128 v[0:3], v19 offset:416
	ds_load_b128 v[4:7], v19 offset:432
	s_waitcnt lgkmcnt(1)
	v_bfi_b32 v10, 0xffff, 0, v0
	v_lshlrev_b32_e32 v0, 16, v0
	s_clause 0x1
	scratch_store_b32 off, v10, s32 offset:1504
	scratch_store_b32 off, v0, s32 offset:1508
	v_bfi_b32 v0, 0xffff, 0, v1
	scratch_store_b32 off, v0, s32 offset:1512 ; 4-byte Folded Spill
	v_lshlrev_b32_e32 v0, 16, v1
	scratch_store_b32 off, v0, s32 offset:1516 ; 4-byte Folded Spill
	v_bfi_b32 v0, 0xffff, 0, v2
	scratch_store_b32 off, v0, s32 offset:1520 ; 4-byte Folded Spill
	v_lshlrev_b32_e32 v0, 16, v2
	scratch_store_b32 off, v0, s32 offset:1524 ; 4-byte Folded Spill
	;; [unrolled: 4-line block ×3, first 2 shown]
	s_waitcnt lgkmcnt(0)
	v_bfi_b32 v0, 0xffff, 0, v4
	scratch_store_b32 off, v0, s32 offset:1536 ; 4-byte Folded Spill
	v_lshlrev_b32_e32 v0, 16, v4
	scratch_store_b32 off, v0, s32 offset:1540 ; 4-byte Folded Spill
	v_bfi_b32 v0, 0xffff, 0, v5
	scratch_store_b32 off, v0, s32 offset:1544 ; 4-byte Folded Spill
	v_lshlrev_b32_e32 v0, 16, v5
	scratch_store_b32 off, v0, s32 offset:1548 ; 4-byte Folded Spill
	;; [unrolled: 4-line block ×4, first 2 shown]
	ds_load_b128 v[0:3], v19 offset:448
	ds_load_b128 v[4:7], v19 offset:464
	s_waitcnt lgkmcnt(1)
	v_bfi_b32 v10, 0xffff, 0, v0
	v_lshlrev_b32_e32 v0, 16, v0
	s_clause 0x1
	scratch_store_b32 off, v10, s32 offset:1568
	scratch_store_b32 off, v0, s32 offset:1572
	v_bfi_b32 v0, 0xffff, 0, v1
	scratch_store_b32 off, v0, s32 offset:1576 ; 4-byte Folded Spill
	v_lshlrev_b32_e32 v0, 16, v1
	scratch_store_b32 off, v0, s32 offset:1580 ; 4-byte Folded Spill
	v_bfi_b32 v0, 0xffff, 0, v2
	scratch_store_b32 off, v0, s32 offset:1584 ; 4-byte Folded Spill
	v_lshlrev_b32_e32 v0, 16, v2
	scratch_store_b32 off, v0, s32 offset:1588 ; 4-byte Folded Spill
	;; [unrolled: 4-line block ×3, first 2 shown]
	s_waitcnt lgkmcnt(0)
	v_bfi_b32 v0, 0xffff, 0, v4
	scratch_store_b32 off, v0, s32 offset:1600 ; 4-byte Folded Spill
	v_lshlrev_b32_e32 v0, 16, v4
	scratch_store_b32 off, v0, s32 offset:1604 ; 4-byte Folded Spill
	v_bfi_b32 v0, 0xffff, 0, v5
	scratch_store_b32 off, v0, s32 offset:1608 ; 4-byte Folded Spill
	v_lshlrev_b32_e32 v0, 16, v5
	scratch_store_b32 off, v0, s32 offset:1612 ; 4-byte Folded Spill
	;; [unrolled: 4-line block ×4, first 2 shown]
	ds_load_b128 v[0:3], v19 offset:480
	ds_load_b128 v[4:7], v19 offset:496
	s_clause 0x2
	scratch_store_b64 off, v[35:36], s32 offset:1768
	scratch_store_b32 off, v85, s32 offset:1780
	scratch_store_b32 off, v86, s32 offset:1784
	s_waitcnt lgkmcnt(1)
	v_bfi_b32 v10, 0xffff, 0, v0
	v_lshlrev_b32_e32 v0, 16, v0
	s_clause 0x1
	scratch_store_b32 off, v10, s32 offset:1632
	scratch_store_b32 off, v0, s32 offset:1636
	v_bfi_b32 v0, 0xffff, 0, v1
	scratch_store_b32 off, v0, s32 offset:1640 ; 4-byte Folded Spill
	v_lshlrev_b32_e32 v0, 16, v1
	scratch_store_b32 off, v0, s32 offset:1644 ; 4-byte Folded Spill
	v_bfi_b32 v0, 0xffff, 0, v2
	scratch_store_b32 off, v0, s32 offset:1648 ; 4-byte Folded Spill
	v_lshlrev_b32_e32 v0, 16, v2
	scratch_store_b32 off, v0, s32 offset:1652 ; 4-byte Folded Spill
	;; [unrolled: 4-line block ×3, first 2 shown]
	s_waitcnt lgkmcnt(0)
	v_bfi_b32 v0, 0xffff, 0, v4
	scratch_store_b32 off, v0, s32 offset:1664 ; 4-byte Folded Spill
	v_lshlrev_b32_e32 v0, 16, v4
	scratch_store_b32 off, v0, s32 offset:1668 ; 4-byte Folded Spill
	v_bfi_b32 v0, 0xffff, 0, v5
	scratch_store_b32 off, v0, s32 offset:1672 ; 4-byte Folded Spill
	v_lshlrev_b32_e32 v0, 16, v5
	scratch_load_b32 v5, off, s32 offset:1704 ; 4-byte Folded Reload
	scratch_store_b32 off, v0, s32 offset:1676 ; 4-byte Folded Spill
	v_bfi_b32 v0, 0xffff, 0, v6
	scratch_store_b32 off, v0, s32 offset:1680 ; 4-byte Folded Spill
	v_lshlrev_b32_e32 v0, 16, v6
	scratch_store_b32 off, v0, s32 offset:1684 ; 4-byte Folded Spill
	v_bfi_b32 v0, 0xffff, 0, v7
	scratch_store_b32 off, v0, s32 offset:1688 ; 4-byte Folded Spill
	v_lshlrev_b32_e32 v0, 16, v7
	scratch_store_b32 off, v0, s32 offset:1692 ; 4-byte Folded Spill
	v_lshlrev_b64 v[0:1], 2, v[16:17]
	s_delay_alu instid0(VALU_DEP_1) | instskip(NEXT) | instid1(VALU_DEP_2)
	v_add_co_u32 v0, vcc_lo, v35, v0
	v_add_co_ci_u32_e32 v1, vcc_lo, v36, v1, vcc_lo
	v_add_co_u32 v2, vcc_lo, v8, v85
	v_add_co_ci_u32_e32 v3, vcc_lo, v9, v86, vcc_lo
	s_waitcnt vmcnt(0)
	v_lshlrev_b32_e32 v4, 4, v5
	v_add3_u32 v75, s6, v18, v5
	s_delay_alu instid0(VALU_DEP_2)
	v_add_co_u32 v2, vcc_lo, v2, v4
	v_add_co_ci_u32_e32 v3, vcc_lo, 0, v3, vcc_lo
	s_clause 0x1
	scratch_store_b64 off, v[2:3], s32 offset:1696
	scratch_store_b32 off, v14, s32 offset:1728
	v_add_co_u32 v20, vcc_lo, v14, v0
	scratch_load_b32 v0, off, s32 offset:1708 ; 4-byte Folded Reload
	v_add_co_ci_u32_e32 v21, vcc_lo, v15, v1, vcc_lo
	scratch_load_b32 v1, off, s32 offset:664 ; 4-byte Folded Reload
	s_load_b32 s2, s[2:3], 0x0
	s_clause 0x2
	scratch_store_b32 off, v15, s32 offset:1724
	scratch_store_b32 off, v18, s32 offset:1764
	;; [unrolled: 1-line block ×3, first 2 shown]
	s_waitcnt vmcnt(1)
	v_lshl_or_b32 v0, v0, 7, v29
	s_waitcnt vmcnt(0)
	v_cmp_neq_f32_e32 vcc_lo, 0, v1
	s_waitcnt lgkmcnt(0)
	s_delay_alu instid0(VALU_DEP_2)
	v_add_nc_u32_e32 v73, s2, v0
	s_branch .LBB468_8
.LBB468_7:                              ;   in Loop: Header=BB468_8 Depth=1
	s_or_b32 exec_lo, exec_lo, s3
	scratch_load_b32 v27, off, s32 offset:700 ; 4-byte Folded Reload
	v_and_b32_e32 v14, 0xffff0000, v49
	scratch_load_b32 v26, off, s32 offset:348 ; 4-byte Folded Reload
	v_and_b32_e32 v8, 0xffff0000, v8
	v_and_b32_e32 v23, 0xffff0000, v23
	;; [unrolled: 1-line block ×6, first 2 shown]
	v_cmp_lt_i32_e64 s2, v75, v37
	v_add_nc_u32_e32 v76, 4, v76
	v_add_co_u32 v20, s3, v20, 16
	s_delay_alu instid0(VALU_DEP_1)
	v_add_co_ci_u32_e64 v21, s3, 0, v21, s3
	v_and_b32_e32 v3, 0xffff0000, v3
	v_and_b32_e32 v0, 0xffff0000, v0
	s_waitcnt vmcnt(1)
	v_mul_f32_e32 v28, v27, v14
	scratch_load_b32 v14, off, s32 offset:668 ; 4-byte Folded Reload
	s_waitcnt vmcnt(1)
	v_and_b32_e32 v26, 0xffff0000, v26
	scratch_load_b32 v27, off, s32 offset:704 ; 4-byte Folded Reload
	s_waitcnt vmcnt(1)
	v_fmac_f32_e32 v28, v14, v26
	scratch_load_b32 v14, off, s32 offset:352 ; 4-byte Folded Reload
	v_and_b32_e32 v26, 0xffff0000, v50
	scratch_load_b32 v50, off, s32 offset:724 ; 4-byte Folded Reload
	s_waitcnt vmcnt(1)
	v_and_b32_e32 v14, 0xffff0000, v14
	s_delay_alu instid0(VALU_DEP_1)
	v_mul_f32_e32 v29, v27, v14
	s_clause 0x1
	scratch_load_b32 v14, off, s32 offset:672
	scratch_load_b32 v27, off, s32 offset:708
	s_waitcnt vmcnt(1)
	v_fmac_f32_e32 v29, v14, v26
	scratch_load_b32 v14, off, s32 offset:356 ; 4-byte Folded Reload
	v_and_b32_e32 v26, 0xffff0000, v51
	scratch_load_b32 v51, off, s32 offset:728 ; 4-byte Folded Reload
	s_waitcnt vmcnt(1)
	v_and_b32_e32 v14, 0xffff0000, v14
	s_delay_alu instid0(VALU_DEP_1)
	v_mul_f32_e32 v31, v27, v14
	s_clause 0x1
	scratch_load_b32 v14, off, s32 offset:676
	scratch_load_b32 v27, off, s32 offset:712
	s_waitcnt vmcnt(1)
	v_fmac_f32_e32 v31, v14, v26
	s_clause 0x1
	scratch_load_b32 v14, off, s32 offset:360
	scratch_load_b32 v26, off, s32 offset:328
	s_waitcnt vmcnt(1)
	v_and_b32_e32 v14, 0xffff0000, v14
	s_waitcnt vmcnt(0)
	v_and_b32_e32 v26, 0xffff0000, v26
	s_delay_alu instid0(VALU_DEP_2)
	v_mul_f32_e32 v79, v27, v14
	s_clause 0x1
	scratch_load_b32 v14, off, s32 offset:680
	scratch_load_b32 v27, off, s32 offset:716
	s_waitcnt vmcnt(1)
	v_fmac_f32_e32 v79, v14, v26
	s_clause 0x1
	scratch_load_b32 v14, off, s32 offset:364
	scratch_load_b32 v26, off, s32 offset:332
	s_waitcnt vmcnt(1)
	v_and_b32_e32 v14, 0xffff0000, v14
	s_waitcnt vmcnt(0)
	v_and_b32_e32 v26, 0xffff0000, v26
	s_delay_alu instid0(VALU_DEP_2)
	v_mul_f32_e32 v14, v27, v14
	scratch_load_b32 v27, off, s32 offset:684 ; 4-byte Folded Reload
	s_waitcnt vmcnt(0)
	v_fmac_f32_e32 v14, v27, v26
	s_clause 0x1
	scratch_load_b32 v26, off, s32 offset:368
	scratch_load_b32 v27, off, s32 offset:336
	s_waitcnt vmcnt(1)
	v_and_b32_e32 v26, 0xffff0000, v26
	s_waitcnt vmcnt(0)
	v_and_b32_e32 v49, 0xffff0000, v27
	scratch_load_b32 v27, off, s32 offset:720 ; 4-byte Folded Reload
	s_waitcnt vmcnt(0)
	v_mul_f32_e32 v27, v27, v26
	scratch_load_b32 v26, off, s32 offset:688 ; 4-byte Folded Reload
	s_waitcnt vmcnt(0)
	v_fmac_f32_e32 v27, v26, v49
	s_clause 0x1
	scratch_load_b32 v26, off, s32 offset:372
	scratch_load_b32 v49, off, s32 offset:340
	s_waitcnt vmcnt(1)
	v_and_b32_e32 v26, 0xffff0000, v26
	s_waitcnt vmcnt(0)
	s_delay_alu instid0(VALU_DEP_1)
	v_dual_mul_f32 v26, v50, v26 :: v_dual_and_b32 v49, 0xffff0000, v49
	scratch_load_b32 v50, off, s32 offset:692 ; 4-byte Folded Reload
	s_waitcnt vmcnt(0)
	v_fmac_f32_e32 v26, v50, v49
	s_clause 0x1
	scratch_load_b32 v49, off, s32 offset:376
	scratch_load_b32 v50, off, s32 offset:344
	s_waitcnt vmcnt(1)
	v_and_b32_e32 v49, 0xffff0000, v49
	s_waitcnt vmcnt(0)
	s_delay_alu instid0(VALU_DEP_1)
	v_dual_mul_f32 v49, v51, v49 :: v_dual_and_b32 v50, 0xffff0000, v50
	scratch_load_b32 v51, off, s32 offset:696 ; 4-byte Folded Reload
	s_waitcnt vmcnt(0)
	v_fmac_f32_e32 v49, v51, v50
	s_clause 0x1
	scratch_load_b32 v50, off, s32 offset:380
	scratch_load_b32 v51, off, s32 offset:732
	s_waitcnt vmcnt(1)
	v_and_b32_e32 v50, 0xffff0000, v50
	s_waitcnt vmcnt(0)
	s_delay_alu instid0(VALU_DEP_1)
	v_fmac_f32_e32 v28, v51, v50
	s_clause 0x1
	scratch_load_b32 v50, off, s32 offset:384
	scratch_load_b32 v51, off, s32 offset:736
	s_waitcnt vmcnt(1)
	v_and_b32_e32 v50, 0xffff0000, v50
	s_waitcnt vmcnt(0)
	s_delay_alu instid0(VALU_DEP_1)
	;; [unrolled: 8-line block ×67, first 2 shown]
	v_fmac_f32_e32 v31, v51, v50
	s_clause 0x1
	scratch_load_b32 v50, off, s32 offset:648
	scratch_load_b32 v51, off, s32 offset:1004
	s_waitcnt vmcnt(1)
	v_and_b32_e32 v50, 0xffff0000, v50
	s_waitcnt vmcnt(0)
	s_delay_alu instid0(VALU_DEP_1) | instskip(SKIP_3) | instid1(VALU_DEP_1)
	v_fmac_f32_e32 v79, v51, v50
	scratch_load_b32 v51, off, s32 offset:1008 ; 4-byte Folded Reload
	v_and_b32_e32 v50, 0xffff0000, v52
	s_waitcnt vmcnt(0)
	v_fmac_f32_e32 v14, v51, v50
	scratch_load_b32 v51, off, s32 offset:1012 ; 4-byte Folded Reload
	v_and_b32_e32 v50, 0xffff0000, v53
	s_waitcnt vmcnt(0)
	s_delay_alu instid0(VALU_DEP_1) | instskip(SKIP_3) | instid1(VALU_DEP_1)
	v_fmac_f32_e32 v27, v51, v50
	scratch_load_b32 v51, off, s32 offset:1016 ; 4-byte Folded Reload
	v_and_b32_e32 v50, 0xffff0000, v54
	s_waitcnt vmcnt(0)
	v_fmac_f32_e32 v26, v51, v50
	scratch_load_b32 v50, off, s32 offset:1020 ; 4-byte Folded Reload
	s_waitcnt vmcnt(0)
	v_fmac_f32_e32 v49, v50, v23
	scratch_load_b32 v50, off, s32 offset:1024 ; 4-byte Folded Reload
	v_and_b32_e32 v23, 0xffff0000, v55
	s_waitcnt vmcnt(0)
	s_delay_alu instid0(VALU_DEP_1) | instskip(SKIP_3) | instid1(VALU_DEP_1)
	v_fmac_f32_e32 v28, v50, v23
	scratch_load_b32 v50, off, s32 offset:1028 ; 4-byte Folded Reload
	v_and_b32_e32 v23, 0xffff0000, v64
	s_waitcnt vmcnt(0)
	v_fmac_f32_e32 v29, v50, v23
	scratch_load_b32 v50, off, s32 offset:1032 ; 4-byte Folded Reload
	v_and_b32_e32 v23, 0xffff0000, v65
	s_waitcnt vmcnt(0)
	s_delay_alu instid0(VALU_DEP_1) | instskip(SKIP_3) | instid1(VALU_DEP_1)
	v_fmac_f32_e32 v31, v50, v23
	scratch_load_b32 v50, off, s32 offset:1036 ; 4-byte Folded Reload
	v_and_b32_e32 v23, 0xffff0000, v66
	;; [unrolled: 9-line block ×4, first 2 shown]
	s_waitcnt vmcnt(0)
	v_fmac_f32_e32 v49, v50, v23
	scratch_load_b32 v50, off, s32 offset:1056 ; 4-byte Folded Reload
	v_and_b32_e32 v23, 0xffff0000, v71
	s_waitcnt vmcnt(0)
	s_delay_alu instid0(VALU_DEP_1)
	v_fmac_f32_e32 v28, v50, v23
	scratch_load_b32 v23, off, s32 offset:1060 ; 4-byte Folded Reload
	s_waitcnt vmcnt(0)
	v_fmac_f32_e32 v29, v23, v22
	scratch_load_b32 v23, off, s32 offset:1064 ; 4-byte Folded Reload
	v_and_b32_e32 v22, 0xffff0000, v80
	s_waitcnt vmcnt(0)
	s_delay_alu instid0(VALU_DEP_1) | instskip(SKIP_3) | instid1(VALU_DEP_1)
	v_fmac_f32_e32 v31, v23, v22
	scratch_load_b32 v23, off, s32 offset:1068 ; 4-byte Folded Reload
	v_and_b32_e32 v22, 0xffff0000, v81
	s_waitcnt vmcnt(0)
	v_fmac_f32_e32 v79, v23, v22
	scratch_load_b32 v23, off, s32 offset:1072 ; 4-byte Folded Reload
	v_and_b32_e32 v22, 0xffff0000, v82
	s_waitcnt vmcnt(0)
	s_delay_alu instid0(VALU_DEP_1) | instskip(SKIP_3) | instid1(VALU_DEP_1)
	v_fmac_f32_e32 v14, v23, v22
	scratch_load_b32 v23, off, s32 offset:1076 ; 4-byte Folded Reload
	v_and_b32_e32 v22, 0xffff0000, v83
	;; [unrolled: 9-line block ×32, first 2 shown]
	s_waitcnt vmcnt(0)
	v_fmac_f32_e32 v29, v23, v22
	scratch_load_b32 v22, off, s32 offset:1344 ; 4-byte Folded Reload
	s_waitcnt vmcnt(0)
	v_fmac_f32_e32 v29, v22, v9
	scratch_load_b32 v9, off, s32 offset:1348 ; 4-byte Folded Reload
	;; [unrolled: 3-line block ×3, first 2 shown]
	v_and_b32_e32 v8, 0xffff0000, v88
	s_waitcnt vmcnt(0)
	s_delay_alu instid0(VALU_DEP_1) | instskip(SKIP_3) | instid1(VALU_DEP_1)
	v_fmac_f32_e32 v28, v9, v8
	scratch_load_b32 v9, off, s32 offset:1376 ; 4-byte Folded Reload
	v_and_b32_e32 v8, 0xffff0000, v89
	s_waitcnt vmcnt(0)
	v_fmac_f32_e32 v29, v9, v8
	scratch_load_b32 v9, off, s32 offset:1424 ; 4-byte Folded Reload
	v_and_b32_e32 v8, 0xffff0000, v105
	s_waitcnt vmcnt(0)
	s_delay_alu instid0(VALU_DEP_1) | instskip(SKIP_3) | instid1(VALU_DEP_1)
	v_fmac_f32_e32 v29, v9, v8
	scratch_load_b32 v9, off, s32 offset:1428 ; 4-byte Folded Reload
	v_and_b32_e32 v8, 0xffff0000, v104
	s_waitcnt vmcnt(0)
	v_fmac_f32_e32 v28, v9, v8
	scratch_load_b32 v9, off, s32 offset:1444 ; 4-byte Folded Reload
	v_and_b32_e32 v8, 0xffff0000, v120
	s_waitcnt vmcnt(0)
	s_delay_alu instid0(VALU_DEP_1) | instskip(SKIP_3) | instid1(VALU_DEP_1)
	v_fmac_f32_e32 v28, v9, v8
	scratch_load_b32 v9, off, s32 offset:1440 ; 4-byte Folded Reload
	v_and_b32_e32 v8, 0xffff0000, v121
	s_waitcnt vmcnt(0)
	v_fmac_f32_e32 v29, v9, v8
	scratch_load_b32 v9, off, s32 offset:1472 ; 4-byte Folded Reload
	v_and_b32_e32 v8, 0xffff0000, v137
	s_waitcnt vmcnt(0)
	s_delay_alu instid0(VALU_DEP_1) | instskip(SKIP_3) | instid1(VALU_DEP_1)
	v_fmac_f32_e32 v29, v9, v8
	scratch_load_b32 v9, off, s32 offset:1476 ; 4-byte Folded Reload
	v_and_b32_e32 v8, 0xffff0000, v136
	s_waitcnt vmcnt(0)
	v_fmac_f32_e32 v28, v9, v8
	scratch_load_b32 v9, off, s32 offset:1508 ; 4-byte Folded Reload
	v_and_b32_e32 v8, 0xffff0000, v152
	s_waitcnt vmcnt(0)
	s_delay_alu instid0(VALU_DEP_1) | instskip(SKIP_3) | instid1(VALU_DEP_1)
	v_fmac_f32_e32 v28, v9, v8
	scratch_load_b32 v9, off, s32 offset:1504 ; 4-byte Folded Reload
	v_and_b32_e32 v8, 0xffff0000, v153
	s_waitcnt vmcnt(0)
	v_fmac_f32_e32 v29, v9, v8
	scratch_load_b32 v9, off, s32 offset:1536 ; 4-byte Folded Reload
	v_and_b32_e32 v8, 0xffff0000, v169
	s_waitcnt vmcnt(0)
	s_delay_alu instid0(VALU_DEP_1) | instskip(SKIP_3) | instid1(VALU_DEP_1)
	v_fmac_f32_e32 v29, v9, v8
	scratch_load_b32 v9, off, s32 offset:1540 ; 4-byte Folded Reload
	v_and_b32_e32 v8, 0xffff0000, v168
	s_waitcnt vmcnt(0)
	v_fmac_f32_e32 v28, v9, v8
	scratch_load_b32 v9, off, s32 offset:1572 ; 4-byte Folded Reload
	v_and_b32_e32 v8, 0xffff0000, v184
	s_waitcnt vmcnt(0)
	s_delay_alu instid0(VALU_DEP_1) | instskip(SKIP_3) | instid1(VALU_DEP_1)
	v_fmac_f32_e32 v28, v9, v8
	scratch_load_b32 v9, off, s32 offset:1568 ; 4-byte Folded Reload
	v_and_b32_e32 v8, 0xffff0000, v185
	s_waitcnt vmcnt(0)
	v_fmac_f32_e32 v29, v9, v8
	scratch_load_b32 v8, off, s32 offset:1600 ; 4-byte Folded Reload
	s_waitcnt vmcnt(0)
	v_fmac_f32_e32 v29, v8, v5
	scratch_load_b32 v8, off, s32 offset:1604 ; 4-byte Folded Reload
	v_and_b32_e32 v5, 0xffff0000, v38
	s_waitcnt vmcnt(0)
	s_delay_alu instid0(VALU_DEP_1) | instskip(SKIP_3) | instid1(VALU_DEP_1)
	v_fmac_f32_e32 v28, v8, v5
	scratch_load_b32 v8, off, s32 offset:1636 ; 4-byte Folded Reload
	v_and_b32_e32 v5, 0xffff0000, v34
	s_waitcnt vmcnt(0)
	v_dual_fmac_f32 v28, v8, v5 :: v_dual_and_b32 v5, 0xffff0000, v6
	scratch_load_b32 v6, off, s32 offset:1632 ; 4-byte Folded Reload
	s_waitcnt vmcnt(0)
	v_fmac_f32_e32 v29, v6, v5
	scratch_load_b32 v6, off, s32 offset:1664 ; 4-byte Folded Reload
	v_and_b32_e32 v5, 0xffff0000, v86
	s_waitcnt vmcnt(0)
	s_delay_alu instid0(VALU_DEP_1)
	v_fmac_f32_e32 v29, v6, v5
	scratch_load_b32 v5, off, s32 offset:1668 ; 4-byte Folded Reload
	s_waitcnt vmcnt(0)
	v_fmac_f32_e32 v28, v5, v3
	scratch_load_b32 v5, off, s32 offset:1320 ; 4-byte Folded Reload
	v_and_b32_e32 v3, 0xffff0000, v59
	s_waitcnt vmcnt(0)
	s_delay_alu instid0(VALU_DEP_1) | instskip(SKIP_3) | instid1(VALU_DEP_1)
	v_fmac_f32_e32 v31, v5, v3
	scratch_load_b32 v5, off, s32 offset:1324 ; 4-byte Folded Reload
	v_and_b32_e32 v3, 0xffff0000, v60
	s_waitcnt vmcnt(0)
	v_fmac_f32_e32 v79, v5, v3
	scratch_load_b32 v5, off, s32 offset:1352 ; 4-byte Folded Reload
	v_and_b32_e32 v3, 0xffff0000, v77
	s_waitcnt vmcnt(0)
	s_delay_alu instid0(VALU_DEP_1) | instskip(SKIP_3) | instid1(VALU_DEP_1)
	v_fmac_f32_e32 v79, v5, v3
	scratch_load_b32 v5, off, s32 offset:1356 ; 4-byte Folded Reload
	v_and_b32_e32 v3, 0xffff0000, v39
	;; [unrolled: 9-line block ×9, first 2 shown]
	s_waitcnt vmcnt(0)
	v_fmac_f32_e32 v79, v5, v3
	scratch_load_b32 v5, off, s32 offset:1608 ; 4-byte Folded Reload
	v_and_b32_e32 v3, 0xffff0000, v35
	s_waitcnt vmcnt(0)
	s_delay_alu instid0(VALU_DEP_1)
	v_fmac_f32_e32 v79, v5, v3
	v_and_b32_e32 v3, 0xffff0000, v4
	scratch_load_b32 v4, off, s32 offset:1612 ; 4-byte Folded Reload
	s_waitcnt vmcnt(0)
	v_fmac_f32_e32 v31, v4, v3
	scratch_load_b32 v4, off, s32 offset:1644 ; 4-byte Folded Reload
	v_and_b32_e32 v3, 0xffff0000, v7
	s_waitcnt vmcnt(0)
	s_delay_alu instid0(VALU_DEP_1) | instskip(SKIP_3) | instid1(VALU_DEP_1)
	v_fmac_f32_e32 v31, v4, v3
	scratch_load_b32 v4, off, s32 offset:1640 ; 4-byte Folded Reload
	v_and_b32_e32 v3, 0xffff0000, v11
	s_waitcnt vmcnt(0)
	v_fmac_f32_e32 v79, v4, v3
	scratch_load_b32 v3, off, s32 offset:1672 ; 4-byte Folded Reload
	s_waitcnt vmcnt(0)
	v_fmac_f32_e32 v79, v3, v1
	scratch_load_b32 v3, off, s32 offset:1676 ; 4-byte Folded Reload
	v_and_b32_e32 v1, 0xffff0000, v48
	s_waitcnt vmcnt(0)
	s_delay_alu instid0(VALU_DEP_1) | instskip(SKIP_3) | instid1(VALU_DEP_1)
	v_fmac_f32_e32 v31, v3, v1
	scratch_load_b32 v3, off, s32 offset:1328 ; 4-byte Folded Reload
	v_and_b32_e32 v1, 0xffff0000, v61
	s_waitcnt vmcnt(0)
	v_fmac_f32_e32 v14, v3, v1
	scratch_load_b32 v3, off, s32 offset:1332 ; 4-byte Folded Reload
	v_and_b32_e32 v1, 0xffff0000, v62
	s_waitcnt vmcnt(0)
	s_delay_alu instid0(VALU_DEP_1) | instskip(SKIP_3) | instid1(VALU_DEP_1)
	v_fmac_f32_e32 v27, v3, v1
	scratch_load_b32 v3, off, s32 offset:1360 ; 4-byte Folded Reload
	v_and_b32_e32 v1, 0xffff0000, v25
	;; [unrolled: 9-line block ×11, first 2 shown]
	s_waitcnt vmcnt(0)
	v_dual_fmac_f32 v14, v3, v1 :: v_dual_and_b32 v1, 0xffff0000, v2
	scratch_load_b32 v2, off, s32 offset:1648 ; 4-byte Folded Reload
	s_waitcnt vmcnt(0)
	v_fmac_f32_e32 v27, v2, v1
	scratch_load_b32 v2, off, s32 offset:1680 ; 4-byte Folded Reload
	v_and_b32_e32 v1, 0xffff0000, v15
	s_waitcnt vmcnt(0)
	s_delay_alu instid0(VALU_DEP_1)
	v_fmac_f32_e32 v27, v2, v1
	s_clause 0x1
	scratch_load_b32 v1, off, s32 offset:1684
	scratch_load_b32 v2, off, s32 offset:1628
	s_waitcnt vmcnt(1)
	v_fmac_f32_e32 v14, v1, v0
	scratch_load_b32 v1, off, s32 offset:1336 ; 4-byte Folded Reload
	v_and_b32_e32 v0, 0xffff0000, v63
	s_waitcnt vmcnt(0)
	s_delay_alu instid0(VALU_DEP_1) | instskip(SKIP_3) | instid1(VALU_DEP_1)
	v_fmac_f32_e32 v26, v1, v0
	scratch_load_b32 v1, off, s32 offset:1340 ; 4-byte Folded Reload
	v_and_b32_e32 v0, 0xffff0000, v74
	s_waitcnt vmcnt(0)
	v_fmac_f32_e32 v49, v1, v0
	scratch_load_b32 v1, off, s32 offset:1368 ; 4-byte Folded Reload
	v_and_b32_e32 v0, 0xffff0000, v78
	s_waitcnt vmcnt(0)
	s_delay_alu instid0(VALU_DEP_1) | instskip(SKIP_3) | instid1(VALU_DEP_1)
	v_fmac_f32_e32 v49, v1, v0
	scratch_load_b32 v1, off, s32 offset:1372 ; 4-byte Folded Reload
	v_and_b32_e32 v0, 0xffff0000, v24
	;; [unrolled: 9-line block ×9, first 2 shown]
	s_waitcnt vmcnt(0)
	v_fmac_f32_e32 v49, v1, v0
	scratch_load_b32 v1, off, s32 offset:1624 ; 4-byte Folded Reload
	v_and_b32_e32 v0, 0xffff0000, v85
	s_waitcnt vmcnt(0)
	s_delay_alu instid0(VALU_DEP_1) | instskip(SKIP_1) | instid1(VALU_DEP_1)
	v_fmac_f32_e32 v49, v1, v0
	v_dual_add_f32 v0, v28, v29 :: v_dual_and_b32 v1, 0xffff0000, v87
	v_fmac_f32_e32 v26, v2, v1
	scratch_load_b32 v2, off, s32 offset:1660 ; 4-byte Folded Reload
	v_dual_add_f32 v0, v0, v31 :: v_dual_and_b32 v1, 0xffff0000, v32
	s_delay_alu instid0(VALU_DEP_1) | instskip(NEXT) | instid1(VALU_DEP_1)
	v_add_f32_e32 v0, v79, v0
	v_add_f32_e32 v0, v14, v0
	s_delay_alu instid0(VALU_DEP_1)
	v_add_f32_e32 v0, v27, v0
	s_waitcnt vmcnt(0)
	v_fmac_f32_e32 v26, v2, v1
	scratch_load_b32 v2, off, s32 offset:1656 ; 4-byte Folded Reload
	v_and_b32_e32 v1, 0xffff0000, v33
	s_waitcnt vmcnt(0)
	s_delay_alu instid0(VALU_DEP_1) | instskip(SKIP_3) | instid1(VALU_DEP_1)
	v_fmac_f32_e32 v49, v2, v1
	scratch_load_b32 v2, off, s32 offset:1692 ; 4-byte Folded Reload
	v_and_b32_e32 v1, 0xffff0000, v30
	s_waitcnt vmcnt(0)
	v_fmac_f32_e32 v26, v2, v1
	scratch_load_b32 v2, off, s32 offset:1688 ; 4-byte Folded Reload
	v_dual_add_f32 v0, v26, v0 :: v_dual_and_b32 v1, 0xffff0000, v18
	s_waitcnt vmcnt(0)
	s_delay_alu instid0(VALU_DEP_1) | instskip(SKIP_3) | instid1(VALU_DEP_2)
	v_fmac_f32_e32 v49, v2, v1
	scratch_load_b32 v2, off, s32 offset:664 ; 4-byte Folded Reload
	v_sub_nc_u32_e32 v1, 1, v37
	v_add_f32_e32 v0, v49, v0
	v_add_nc_u32_e32 v1, v1, v75
	v_add_nc_u32_e32 v75, 0x80, v75
	s_delay_alu instid0(VALU_DEP_2) | instskip(SKIP_1) | instid1(VALU_DEP_1)
	v_cvt_f32_i32_e32 v1, v1
	s_waitcnt vmcnt(0)
	v_mul_f32_e32 v1, v2, v1
	scratch_load_b32 v2, off, s32 offset:660 ; 4-byte Folded Reload
	v_cndmask_b32_e32 v1, 0, v1, vcc_lo
	s_waitcnt vmcnt(0)
	s_delay_alu instid0(VALU_DEP_1) | instskip(SKIP_1) | instid1(VALU_DEP_1)
	v_fmac_f32_e32 v1, v0, v2
	v_max_f32_e32 v0, v72, v72
	v_max_f32_e32 v0, v0, v1
	v_cndmask_b32_e64 v1, 0, v1, s2
	s_delay_alu instid0(VALU_DEP_2)
	v_cndmask_b32_e64 v72, v72, v0, s2
	scratch_load_b32 v0, off, s32 offset:324 ; 4-byte Folded Reload
	ds_store_b32 v73, v1
	v_add_nc_u32_e32 v73, 0x200, v73
	s_waitcnt vmcnt(0)
	v_cmp_ge_i32_e64 s2, v76, v0
	s_delay_alu instid0(VALU_DEP_1) | instskip(NEXT) | instid1(SALU_CYCLE_1)
	s_or_b32 s15, s2, s15
	s_and_not1_b32 exec_lo, exec_lo, s15
	s_cbranch_execz .LBB468_3080
.LBB468_8:                              ; =>This Inner Loop Header: Depth=1
	flat_load_b32 v0, v[20:21]
	s_clause 0x1
	scratch_load_b32 v1, off, s32 offset:320
	scratch_load_b64 v[2:3], off, s32 offset:1696
	s_mov_b32 s3, exec_lo
	s_waitcnt vmcnt(0) lgkmcnt(0)
	v_mad_i64_i32 v[28:29], null, v0, v1, v[2:3]
	flat_load_b64 v[30:31], v[28:29]
	scratch_load_b64 v[0:1], off, s32 offset:652 ; 8-byte Folded Reload
	s_waitcnt vmcnt(0)
	flat_load_b32 v79, v[0:1]
	s_waitcnt lgkmcnt(1)
	v_dual_mov_b32 v0, 0 :: v_dual_and_b32 v1, 0xff, v30
	s_delay_alu instid0(VALU_DEP_1)
	v_cmpx_ne_u16_e32 0, v1
	s_cbranch_execz .LBB468_16
; %bb.9:                                ;   in Loop: Header=BB468_8 Depth=1
	v_bfrev_b32_e32 v0, 1
	s_mov_b32 s17, exec_lo
	v_cmpx_ne_u16_e32 0x80, v1
	s_cbranch_execz .LBB468_15
; %bb.10:                               ;   in Loop: Header=BB468_8 Depth=1
	v_and_b32_e32 v1, 0x7f, v30
	v_mov_b32_e32 v0, 0x7f800001
	s_mov_b32 s19, exec_lo
	s_delay_alu instid0(VALU_DEP_2)
	v_cmpx_ne_u32_e32 0x7f, v1
	s_cbranch_execz .LBB468_14
; %bb.11:                               ;   in Loop: Header=BB468_8 Depth=1
	v_lshrrev_b32_e32 v0, 3, v1
	v_dual_mov_b32 v33, v31 :: v_dual_mov_b32 v32, v30
	s_mov_b32 s21, exec_lo
	v_cmpx_gt_u32_e32 8, v1
; %bb.12:                               ;   in Loop: Header=BB468_8 Depth=1
	v_and_b32_e32 v0, 7, v30
	s_delay_alu instid0(VALU_DEP_1) | instskip(NEXT) | instid1(VALU_DEP_1)
	v_clz_i32_u32_e32 v0, v0
	v_min_u32_e32 v0, 32, v0
	s_delay_alu instid0(VALU_DEP_1) | instskip(SKIP_1) | instid1(VALU_DEP_2)
	v_subrev_nc_u32_e32 v1, 28, v0
	v_sub_nc_u32_e32 v0, 29, v0
	v_lshlrev_b64 v[32:33], v1, v[30:31]
; %bb.13:                               ;   in Loop: Header=BB468_8 Depth=1
	s_or_b32 exec_lo, exec_lo, s21
	s_delay_alu instid0(VALU_DEP_1) | instskip(SKIP_2) | instid1(VALU_DEP_3)
	v_lshlrev_b32_e32 v1, 20, v32
	v_lshlrev_b32_e32 v2, 24, v30
	v_lshl_add_u32 v0, v0, 23, 0x3c000000
	v_and_b32_e32 v1, 0x700000, v1
	s_delay_alu instid0(VALU_DEP_3) | instskip(NEXT) | instid1(VALU_DEP_1)
	v_and_b32_e32 v2, 0x80000000, v2
	v_or3_b32 v0, v1, v2, v0
.LBB468_14:                             ;   in Loop: Header=BB468_8 Depth=1
	s_or_b32 exec_lo, exec_lo, s19
.LBB468_15:                             ;   in Loop: Header=BB468_8 Depth=1
	s_delay_alu instid0(SALU_CYCLE_1)
	s_or_b32 exec_lo, exec_lo, s17
.LBB468_16:                             ;   in Loop: Header=BB468_8 Depth=1
	s_delay_alu instid0(SALU_CYCLE_1) | instskip(SKIP_2) | instid1(VALU_DEP_1)
	s_or_b32 exec_lo, exec_lo, s3
	s_waitcnt vmcnt(0) lgkmcnt(0)
	v_mul_f32_e32 v0, v79, v0
	v_and_b32_e32 v1, 0x7f800000, v0
	s_delay_alu instid0(VALU_DEP_1) | instskip(NEXT) | instid1(VALU_DEP_1)
	v_cmp_ne_u32_e64 s2, 0x7f800000, v1
                                        ; implicit-def: $vgpr1
                                        ; kill: killed $vgpr1
	s_and_saveexec_b32 s3, s2
	s_delay_alu instid0(SALU_CYCLE_1)
	s_xor_b32 s2, exec_lo, s3
	s_cbranch_execz .LBB468_18
; %bb.17:                               ;   in Loop: Header=BB468_8 Depth=1
	v_bfe_u32 v1, v0, 16, 1
	s_delay_alu instid0(VALU_DEP_1)
	v_add3_u32 v0, v0, v1, 0x7fff
	scratch_store_b32 off, v0, s32 offset:348 ; 4-byte Folded Spill
                                        ; implicit-def: $vgpr0
.LBB468_18:                             ;   in Loop: Header=BB468_8 Depth=1
	s_and_not1_saveexec_b32 s3, s2
	s_cbranch_execz .LBB468_20
; %bb.19:                               ;   in Loop: Header=BB468_8 Depth=1
	v_and_b32_e32 v1, 0xffff, v0
	v_or_b32_e32 v2, 0x10000, v0
	s_delay_alu instid0(VALU_DEP_2) | instskip(NEXT) | instid1(VALU_DEP_1)
	v_cmp_eq_u32_e64 s2, 0, v1
	v_cndmask_b32_e64 v0, v2, v0, s2
	scratch_store_b32 off, v0, s32 offset:348 ; 4-byte Folded Spill
.LBB468_20:                             ;   in Loop: Header=BB468_8 Depth=1
	s_or_b32 exec_lo, exec_lo, s3
	v_lshrrev_b16 v1, 8, v30
	v_mov_b32_e32 v0, 0
	s_mov_b32 s3, exec_lo
	s_delay_alu instid0(VALU_DEP_2)
	v_cmpx_ne_u16_e32 0, v1
	s_cbranch_execz .LBB468_28
; %bb.21:                               ;   in Loop: Header=BB468_8 Depth=1
	v_bfrev_b32_e32 v0, 1
	s_mov_b32 s17, exec_lo
	v_cmpx_ne_u16_e32 0x80, v1
	s_cbranch_execz .LBB468_27
; %bb.22:                               ;   in Loop: Header=BB468_8 Depth=1
	v_and_b32_e32 v2, 0xffff, v1
	v_mov_b32_e32 v0, 0x7f800001
	s_mov_b32 s19, exec_lo
	s_delay_alu instid0(VALU_DEP_2) | instskip(NEXT) | instid1(VALU_DEP_1)
	v_and_b32_e32 v1, 0x7f, v2
	v_cmpx_ne_u32_e32 0x7f, v1
	s_cbranch_execz .LBB468_26
; %bb.23:                               ;   in Loop: Header=BB468_8 Depth=1
	v_and_b32_e32 v18, 7, v2
	v_lshrrev_b32_e32 v0, 3, v1
	v_mov_b32_e32 v33, v19
	s_mov_b32 s21, exec_lo
	s_delay_alu instid0(VALU_DEP_3)
	v_mov_b32_e32 v32, v18
	v_cmpx_gt_u32_e32 8, v1
; %bb.24:                               ;   in Loop: Header=BB468_8 Depth=1
	v_clz_i32_u32_e32 v0, v18
	s_delay_alu instid0(VALU_DEP_1) | instskip(NEXT) | instid1(VALU_DEP_1)
	v_min_u32_e32 v0, 32, v0
	v_subrev_nc_u32_e32 v1, 28, v0
	v_sub_nc_u32_e32 v0, 29, v0
	s_delay_alu instid0(VALU_DEP_2) | instskip(NEXT) | instid1(VALU_DEP_1)
	v_lshlrev_b64 v[1:2], v1, v[18:19]
	v_and_b32_e32 v32, 7, v1
; %bb.25:                               ;   in Loop: Header=BB468_8 Depth=1
	s_or_b32 exec_lo, exec_lo, s21
	v_lshlrev_b32_e32 v1, 16, v30
	s_delay_alu instid0(VALU_DEP_2) | instskip(SKIP_1) | instid1(VALU_DEP_3)
	v_lshlrev_b32_e32 v2, 20, v32
	v_lshl_add_u32 v0, v0, 23, 0x3c000000
	v_and_b32_e32 v1, 0x80000000, v1
	s_delay_alu instid0(VALU_DEP_1)
	v_or3_b32 v0, v2, v1, v0
.LBB468_26:                             ;   in Loop: Header=BB468_8 Depth=1
	s_or_b32 exec_lo, exec_lo, s19
.LBB468_27:                             ;   in Loop: Header=BB468_8 Depth=1
	s_delay_alu instid0(SALU_CYCLE_1)
	s_or_b32 exec_lo, exec_lo, s17
.LBB468_28:                             ;   in Loop: Header=BB468_8 Depth=1
	s_delay_alu instid0(SALU_CYCLE_1) | instskip(NEXT) | instid1(VALU_DEP_1)
	s_or_b32 exec_lo, exec_lo, s3
	v_mul_f32_e32 v0, v79, v0
                                        ; implicit-def: $vgpr50
	s_delay_alu instid0(VALU_DEP_1) | instskip(NEXT) | instid1(VALU_DEP_1)
	v_and_b32_e32 v1, 0x7f800000, v0
	v_cmp_ne_u32_e64 s2, 0x7f800000, v1
	s_delay_alu instid0(VALU_DEP_1) | instskip(NEXT) | instid1(SALU_CYCLE_1)
	s_and_saveexec_b32 s3, s2
	s_xor_b32 s2, exec_lo, s3
; %bb.29:                               ;   in Loop: Header=BB468_8 Depth=1
	v_bfe_u32 v1, v0, 16, 1
	s_delay_alu instid0(VALU_DEP_1)
	v_add3_u32 v50, v0, v1, 0x7fff
                                        ; implicit-def: $vgpr0
; %bb.30:                               ;   in Loop: Header=BB468_8 Depth=1
	s_and_not1_saveexec_b32 s3, s2
; %bb.31:                               ;   in Loop: Header=BB468_8 Depth=1
	v_and_b32_e32 v1, 0xffff, v0
	v_or_b32_e32 v2, 0x10000, v0
	s_delay_alu instid0(VALU_DEP_2) | instskip(NEXT) | instid1(VALU_DEP_1)
	v_cmp_eq_u32_e64 s2, 0, v1
	v_cndmask_b32_e64 v50, v2, v0, s2
; %bb.32:                               ;   in Loop: Header=BB468_8 Depth=1
	s_or_b32 exec_lo, exec_lo, s3
	v_lshrrev_b32_e32 v0, 16, v30
	s_mov_b32 s3, exec_lo
	s_delay_alu instid0(VALU_DEP_1) | instskip(NEXT) | instid1(VALU_DEP_1)
	v_dual_mov_b32 v1, 0 :: v_dual_and_b32 v2, 0xff, v0
	v_cmpx_ne_u16_e32 0, v2
	s_cbranch_execz .LBB468_40
; %bb.33:                               ;   in Loop: Header=BB468_8 Depth=1
	v_bfrev_b32_e32 v1, 1
	s_mov_b32 s17, exec_lo
	v_cmpx_ne_u16_e32 0x80, v2
	s_cbranch_execz .LBB468_39
; %bb.34:                               ;   in Loop: Header=BB468_8 Depth=1
	v_bfe_u32 v2, v30, 16, 7
	v_mov_b32_e32 v1, 0x7f800001
	s_mov_b32 s19, exec_lo
	s_delay_alu instid0(VALU_DEP_2)
	v_cmpx_ne_u32_e32 0x7f, v2
	s_cbranch_execz .LBB468_38
; %bb.35:                               ;   in Loop: Header=BB468_8 Depth=1
	v_and_b32_e32 v18, 7, v0
	v_lshrrev_b32_e32 v1, 3, v2
	v_mov_b32_e32 v33, v19
	s_mov_b32 s21, exec_lo
	s_delay_alu instid0(VALU_DEP_3)
	v_mov_b32_e32 v32, v18
	v_cmpx_gt_u32_e32 8, v2
; %bb.36:                               ;   in Loop: Header=BB468_8 Depth=1
	v_clz_i32_u32_e32 v1, v18
	s_delay_alu instid0(VALU_DEP_1) | instskip(NEXT) | instid1(VALU_DEP_1)
	v_min_u32_e32 v1, 32, v1
	v_subrev_nc_u32_e32 v2, 28, v1
	v_sub_nc_u32_e32 v1, 29, v1
	s_delay_alu instid0(VALU_DEP_2) | instskip(NEXT) | instid1(VALU_DEP_1)
	v_lshlrev_b64 v[2:3], v2, v[18:19]
	v_and_b32_e32 v32, 7, v2
; %bb.37:                               ;   in Loop: Header=BB468_8 Depth=1
	s_or_b32 exec_lo, exec_lo, s21
	v_lshlrev_b32_e32 v0, 24, v0
	s_delay_alu instid0(VALU_DEP_2) | instskip(SKIP_1) | instid1(VALU_DEP_3)
	v_lshlrev_b32_e32 v2, 20, v32
	v_lshl_add_u32 v1, v1, 23, 0x3c000000
	v_and_b32_e32 v0, 0x80000000, v0
	s_delay_alu instid0(VALU_DEP_1)
	v_or3_b32 v1, v2, v0, v1
.LBB468_38:                             ;   in Loop: Header=BB468_8 Depth=1
	s_or_b32 exec_lo, exec_lo, s19
.LBB468_39:                             ;   in Loop: Header=BB468_8 Depth=1
	s_delay_alu instid0(SALU_CYCLE_1)
	s_or_b32 exec_lo, exec_lo, s17
.LBB468_40:                             ;   in Loop: Header=BB468_8 Depth=1
	s_delay_alu instid0(SALU_CYCLE_1) | instskip(NEXT) | instid1(VALU_DEP_1)
	s_or_b32 exec_lo, exec_lo, s3
	v_mul_f32_e32 v0, v79, v1
                                        ; implicit-def: $vgpr51
	s_delay_alu instid0(VALU_DEP_1) | instskip(NEXT) | instid1(VALU_DEP_1)
	v_and_b32_e32 v1, 0x7f800000, v0
	v_cmp_ne_u32_e64 s2, 0x7f800000, v1
	s_delay_alu instid0(VALU_DEP_1) | instskip(NEXT) | instid1(SALU_CYCLE_1)
	s_and_saveexec_b32 s3, s2
	s_xor_b32 s2, exec_lo, s3
; %bb.41:                               ;   in Loop: Header=BB468_8 Depth=1
	v_bfe_u32 v1, v0, 16, 1
	s_delay_alu instid0(VALU_DEP_1)
	v_add3_u32 v51, v0, v1, 0x7fff
                                        ; implicit-def: $vgpr0
; %bb.42:                               ;   in Loop: Header=BB468_8 Depth=1
	s_and_not1_saveexec_b32 s3, s2
; %bb.43:                               ;   in Loop: Header=BB468_8 Depth=1
	v_and_b32_e32 v1, 0xffff, v0
	v_or_b32_e32 v2, 0x10000, v0
	s_delay_alu instid0(VALU_DEP_2) | instskip(NEXT) | instid1(VALU_DEP_1)
	v_cmp_eq_u32_e64 s2, 0, v1
	v_cndmask_b32_e64 v51, v2, v0, s2
; %bb.44:                               ;   in Loop: Header=BB468_8 Depth=1
	s_or_b32 exec_lo, exec_lo, s3
	v_mov_b32_e32 v1, 0
	s_mov_b32 s3, exec_lo
	v_cmpx_lt_u32_e32 0xffffff, v30
	s_cbranch_execz .LBB468_52
; %bb.45:                               ;   in Loop: Header=BB468_8 Depth=1
	v_lshrrev_b32_e32 v0, 24, v30
	v_bfrev_b32_e32 v1, 1
	s_mov_b32 s17, exec_lo
	s_delay_alu instid0(VALU_DEP_2)
	v_cmpx_ne_u32_e32 0x80, v0
	s_cbranch_execz .LBB468_51
; %bb.46:                               ;   in Loop: Header=BB468_8 Depth=1
	v_bfe_u32 v2, v30, 24, 7
	v_mov_b32_e32 v1, 0x7f800001
	s_mov_b32 s19, exec_lo
	s_delay_alu instid0(VALU_DEP_2)
	v_cmpx_ne_u32_e32 0x7f, v2
	s_cbranch_execz .LBB468_50
; %bb.47:                               ;   in Loop: Header=BB468_8 Depth=1
	v_and_b32_e32 v18, 7, v0
	v_lshrrev_b32_e32 v1, 3, v2
	v_mov_b32_e32 v33, v19
	s_mov_b32 s21, exec_lo
	s_delay_alu instid0(VALU_DEP_3)
	v_mov_b32_e32 v32, v18
	v_cmpx_gt_u32_e32 8, v2
; %bb.48:                               ;   in Loop: Header=BB468_8 Depth=1
	v_clz_i32_u32_e32 v1, v18
	s_delay_alu instid0(VALU_DEP_1) | instskip(NEXT) | instid1(VALU_DEP_1)
	v_min_u32_e32 v1, 32, v1
	v_subrev_nc_u32_e32 v2, 28, v1
	v_sub_nc_u32_e32 v1, 29, v1
	s_delay_alu instid0(VALU_DEP_2) | instskip(NEXT) | instid1(VALU_DEP_1)
	v_lshlrev_b64 v[2:3], v2, v[18:19]
	v_and_b32_e32 v32, 7, v2
; %bb.49:                               ;   in Loop: Header=BB468_8 Depth=1
	s_or_b32 exec_lo, exec_lo, s21
	v_lshlrev_b32_e32 v0, 24, v0
	s_delay_alu instid0(VALU_DEP_2) | instskip(SKIP_1) | instid1(VALU_DEP_3)
	v_lshlrev_b32_e32 v2, 20, v32
	v_lshl_add_u32 v1, v1, 23, 0x3c000000
	v_and_b32_e32 v0, 0x80000000, v0
	s_delay_alu instid0(VALU_DEP_1)
	v_or3_b32 v1, v2, v0, v1
.LBB468_50:                             ;   in Loop: Header=BB468_8 Depth=1
	s_or_b32 exec_lo, exec_lo, s19
.LBB468_51:                             ;   in Loop: Header=BB468_8 Depth=1
	s_delay_alu instid0(SALU_CYCLE_1)
	s_or_b32 exec_lo, exec_lo, s17
.LBB468_52:                             ;   in Loop: Header=BB468_8 Depth=1
	s_delay_alu instid0(SALU_CYCLE_1) | instskip(NEXT) | instid1(VALU_DEP_1)
	s_or_b32 exec_lo, exec_lo, s3
	v_mul_f32_e32 v0, v79, v1
	s_delay_alu instid0(VALU_DEP_1) | instskip(NEXT) | instid1(VALU_DEP_1)
	v_and_b32_e32 v1, 0x7f800000, v0
	v_cmp_ne_u32_e64 s2, 0x7f800000, v1
                                        ; implicit-def: $vgpr1
                                        ; kill: killed $vgpr1
	s_delay_alu instid0(VALU_DEP_1) | instskip(NEXT) | instid1(SALU_CYCLE_1)
	s_and_saveexec_b32 s3, s2
	s_xor_b32 s2, exec_lo, s3
	s_cbranch_execz .LBB468_54
; %bb.53:                               ;   in Loop: Header=BB468_8 Depth=1
	v_bfe_u32 v1, v0, 16, 1
	s_delay_alu instid0(VALU_DEP_1)
	v_add3_u32 v0, v0, v1, 0x7fff
	scratch_store_b32 off, v0, s32 offset:328 ; 4-byte Folded Spill
                                        ; implicit-def: $vgpr0
.LBB468_54:                             ;   in Loop: Header=BB468_8 Depth=1
	s_and_not1_saveexec_b32 s3, s2
	s_cbranch_execz .LBB468_56
; %bb.55:                               ;   in Loop: Header=BB468_8 Depth=1
	v_and_b32_e32 v1, 0xffff, v0
	v_or_b32_e32 v2, 0x10000, v0
	s_delay_alu instid0(VALU_DEP_2) | instskip(NEXT) | instid1(VALU_DEP_1)
	v_cmp_eq_u32_e64 s2, 0, v1
	v_cndmask_b32_e64 v0, v2, v0, s2
	scratch_store_b32 off, v0, s32 offset:328 ; 4-byte Folded Spill
.LBB468_56:                             ;   in Loop: Header=BB468_8 Depth=1
	s_or_b32 exec_lo, exec_lo, s3
	v_dual_mov_b32 v18, v31 :: v_dual_and_b32 v1, 0xff, v31
	v_mov_b32_e32 v0, 0
	s_mov_b32 s3, exec_lo
	s_delay_alu instid0(VALU_DEP_2)
	v_cmpx_ne_u16_e32 0, v1
	s_cbranch_execz .LBB468_64
; %bb.57:                               ;   in Loop: Header=BB468_8 Depth=1
	v_bfrev_b32_e32 v0, 1
	s_mov_b32 s17, exec_lo
	v_cmpx_ne_u16_e32 0x80, v1
	s_cbranch_execz .LBB468_63
; %bb.58:                               ;   in Loop: Header=BB468_8 Depth=1
	v_and_b32_e32 v1, 0x7f, v31
	v_mov_b32_e32 v0, 0x7f800001
	s_mov_b32 s19, exec_lo
	s_delay_alu instid0(VALU_DEP_2)
	v_cmpx_ne_u32_e32 0x7f, v1
	s_cbranch_execz .LBB468_62
; %bb.59:                               ;   in Loop: Header=BB468_8 Depth=1
	v_lshrrev_b32_e32 v0, 3, v1
	v_dual_mov_b32 v33, v19 :: v_dual_mov_b32 v32, v18
	s_mov_b32 s21, exec_lo
	v_cmpx_gt_u32_e32 8, v1
; %bb.60:                               ;   in Loop: Header=BB468_8 Depth=1
	v_and_b32_e32 v0, 7, v31
	s_delay_alu instid0(VALU_DEP_1) | instskip(NEXT) | instid1(VALU_DEP_1)
	v_clz_i32_u32_e32 v0, v0
	v_min_u32_e32 v0, 32, v0
	s_delay_alu instid0(VALU_DEP_1) | instskip(SKIP_1) | instid1(VALU_DEP_2)
	v_subrev_nc_u32_e32 v1, 28, v0
	v_sub_nc_u32_e32 v0, 29, v0
	v_lshlrev_b64 v[32:33], v1, v[18:19]
; %bb.61:                               ;   in Loop: Header=BB468_8 Depth=1
	s_or_b32 exec_lo, exec_lo, s21
	s_delay_alu instid0(VALU_DEP_1) | instskip(SKIP_2) | instid1(VALU_DEP_3)
	v_lshlrev_b32_e32 v1, 20, v32
	v_lshlrev_b32_e32 v2, 24, v18
	v_lshl_add_u32 v0, v0, 23, 0x3c000000
	v_and_b32_e32 v1, 0x700000, v1
	s_delay_alu instid0(VALU_DEP_3) | instskip(NEXT) | instid1(VALU_DEP_1)
	v_and_b32_e32 v2, 0x80000000, v2
	v_or3_b32 v0, v1, v2, v0
.LBB468_62:                             ;   in Loop: Header=BB468_8 Depth=1
	s_or_b32 exec_lo, exec_lo, s19
.LBB468_63:                             ;   in Loop: Header=BB468_8 Depth=1
	s_delay_alu instid0(SALU_CYCLE_1)
	s_or_b32 exec_lo, exec_lo, s17
.LBB468_64:                             ;   in Loop: Header=BB468_8 Depth=1
	s_delay_alu instid0(SALU_CYCLE_1) | instskip(NEXT) | instid1(VALU_DEP_1)
	s_or_b32 exec_lo, exec_lo, s3
	v_mul_f32_e32 v0, v79, v0
	s_delay_alu instid0(VALU_DEP_1) | instskip(NEXT) | instid1(VALU_DEP_1)
	v_and_b32_e32 v1, 0x7f800000, v0
	v_cmp_ne_u32_e64 s2, 0x7f800000, v1
                                        ; implicit-def: $vgpr1
                                        ; kill: killed $vgpr1
	s_delay_alu instid0(VALU_DEP_1) | instskip(NEXT) | instid1(SALU_CYCLE_1)
	s_and_saveexec_b32 s3, s2
	s_xor_b32 s2, exec_lo, s3
	s_cbranch_execz .LBB468_66
; %bb.65:                               ;   in Loop: Header=BB468_8 Depth=1
	v_bfe_u32 v1, v0, 16, 1
	s_delay_alu instid0(VALU_DEP_1)
	v_add3_u32 v0, v0, v1, 0x7fff
	scratch_store_b32 off, v0, s32 offset:332 ; 4-byte Folded Spill
                                        ; implicit-def: $vgpr0
.LBB468_66:                             ;   in Loop: Header=BB468_8 Depth=1
	s_and_not1_saveexec_b32 s3, s2
	s_cbranch_execz .LBB468_68
; %bb.67:                               ;   in Loop: Header=BB468_8 Depth=1
	v_and_b32_e32 v1, 0xffff, v0
	v_or_b32_e32 v2, 0x10000, v0
	s_delay_alu instid0(VALU_DEP_2) | instskip(NEXT) | instid1(VALU_DEP_1)
	v_cmp_eq_u32_e64 s2, 0, v1
	v_cndmask_b32_e64 v0, v2, v0, s2
	scratch_store_b32 off, v0, s32 offset:332 ; 4-byte Folded Spill
.LBB468_68:                             ;   in Loop: Header=BB468_8 Depth=1
	s_or_b32 exec_lo, exec_lo, s3
	v_lshrrev_b16 v1, 8, v18
	v_mov_b32_e32 v0, 0
	s_mov_b32 s3, exec_lo
	s_delay_alu instid0(VALU_DEP_2)
	v_cmpx_ne_u16_e32 0, v1
	s_cbranch_execz .LBB468_76
; %bb.69:                               ;   in Loop: Header=BB468_8 Depth=1
	v_bfrev_b32_e32 v0, 1
	s_mov_b32 s17, exec_lo
	v_cmpx_ne_u16_e32 0x80, v1
	s_cbranch_execz .LBB468_75
; %bb.70:                               ;   in Loop: Header=BB468_8 Depth=1
	v_and_b32_e32 v2, 0xffff, v1
	v_mov_b32_e32 v0, 0x7f800001
	s_mov_b32 s19, exec_lo
	s_delay_alu instid0(VALU_DEP_2) | instskip(NEXT) | instid1(VALU_DEP_1)
	v_and_b32_e32 v1, 0x7f, v2
	v_cmpx_ne_u32_e32 0x7f, v1
	s_cbranch_execz .LBB468_74
; %bb.71:                               ;   in Loop: Header=BB468_8 Depth=1
	v_dual_mov_b32 v33, v19 :: v_dual_and_b32 v32, 7, v2
	v_lshrrev_b32_e32 v0, 3, v1
	s_mov_b32 s21, exec_lo
	v_cmpx_gt_u32_e32 8, v1
; %bb.72:                               ;   in Loop: Header=BB468_8 Depth=1
	s_delay_alu instid0(VALU_DEP_3) | instskip(NEXT) | instid1(VALU_DEP_1)
	v_clz_i32_u32_e32 v0, v32
	v_min_u32_e32 v0, 32, v0
	s_delay_alu instid0(VALU_DEP_1) | instskip(SKIP_1) | instid1(VALU_DEP_2)
	v_subrev_nc_u32_e32 v1, 28, v0
	v_sub_nc_u32_e32 v0, 29, v0
	v_lshlrev_b64 v[1:2], v1, v[32:33]
	s_delay_alu instid0(VALU_DEP_1)
	v_and_b32_e32 v32, 7, v1
; %bb.73:                               ;   in Loop: Header=BB468_8 Depth=1
	s_or_b32 exec_lo, exec_lo, s21
	v_lshlrev_b32_e32 v1, 16, v18
	s_delay_alu instid0(VALU_DEP_2) | instskip(SKIP_1) | instid1(VALU_DEP_3)
	v_lshlrev_b32_e32 v2, 20, v32
	v_lshl_add_u32 v0, v0, 23, 0x3c000000
	v_and_b32_e32 v1, 0x80000000, v1
	s_delay_alu instid0(VALU_DEP_1)
	v_or3_b32 v0, v2, v1, v0
.LBB468_74:                             ;   in Loop: Header=BB468_8 Depth=1
	s_or_b32 exec_lo, exec_lo, s19
.LBB468_75:                             ;   in Loop: Header=BB468_8 Depth=1
	s_delay_alu instid0(SALU_CYCLE_1)
	s_or_b32 exec_lo, exec_lo, s17
.LBB468_76:                             ;   in Loop: Header=BB468_8 Depth=1
	s_delay_alu instid0(SALU_CYCLE_1) | instskip(NEXT) | instid1(VALU_DEP_1)
	s_or_b32 exec_lo, exec_lo, s3
	v_mul_f32_e32 v0, v79, v0
	s_delay_alu instid0(VALU_DEP_1) | instskip(NEXT) | instid1(VALU_DEP_1)
	v_and_b32_e32 v1, 0x7f800000, v0
	v_cmp_ne_u32_e64 s2, 0x7f800000, v1
                                        ; implicit-def: $vgpr1
                                        ; kill: killed $vgpr1
	s_delay_alu instid0(VALU_DEP_1) | instskip(NEXT) | instid1(SALU_CYCLE_1)
	s_and_saveexec_b32 s3, s2
	s_xor_b32 s2, exec_lo, s3
	s_cbranch_execz .LBB468_78
; %bb.77:                               ;   in Loop: Header=BB468_8 Depth=1
	v_bfe_u32 v1, v0, 16, 1
	s_delay_alu instid0(VALU_DEP_1)
	v_add3_u32 v0, v0, v1, 0x7fff
	scratch_store_b32 off, v0, s32 offset:336 ; 4-byte Folded Spill
                                        ; implicit-def: $vgpr0
.LBB468_78:                             ;   in Loop: Header=BB468_8 Depth=1
	s_and_not1_saveexec_b32 s3, s2
	s_cbranch_execz .LBB468_80
; %bb.79:                               ;   in Loop: Header=BB468_8 Depth=1
	v_and_b32_e32 v1, 0xffff, v0
	v_or_b32_e32 v2, 0x10000, v0
	s_delay_alu instid0(VALU_DEP_2) | instskip(NEXT) | instid1(VALU_DEP_1)
	v_cmp_eq_u32_e64 s2, 0, v1
	v_cndmask_b32_e64 v0, v2, v0, s2
	scratch_store_b32 off, v0, s32 offset:336 ; 4-byte Folded Spill
.LBB468_80:                             ;   in Loop: Header=BB468_8 Depth=1
	s_or_b32 exec_lo, exec_lo, s3
	v_lshrrev_b32_e32 v0, 16, v31
	s_mov_b32 s3, exec_lo
	s_delay_alu instid0(VALU_DEP_1) | instskip(NEXT) | instid1(VALU_DEP_1)
	v_dual_mov_b32 v1, 0 :: v_dual_and_b32 v2, 0xff, v0
	v_cmpx_ne_u16_e32 0, v2
	s_cbranch_execz .LBB468_88
; %bb.81:                               ;   in Loop: Header=BB468_8 Depth=1
	v_bfrev_b32_e32 v1, 1
	s_mov_b32 s17, exec_lo
	v_cmpx_ne_u16_e32 0x80, v2
	s_cbranch_execz .LBB468_87
; %bb.82:                               ;   in Loop: Header=BB468_8 Depth=1
	v_bfe_u32 v2, v31, 16, 7
	v_mov_b32_e32 v1, 0x7f800001
	s_mov_b32 s19, exec_lo
	s_delay_alu instid0(VALU_DEP_2)
	v_cmpx_ne_u32_e32 0x7f, v2
	s_cbranch_execz .LBB468_86
; %bb.83:                               ;   in Loop: Header=BB468_8 Depth=1
	v_and_b32_e32 v18, 7, v0
	v_lshrrev_b32_e32 v1, 3, v2
	v_mov_b32_e32 v33, v19
	s_mov_b32 s21, exec_lo
	s_delay_alu instid0(VALU_DEP_3)
	v_mov_b32_e32 v32, v18
	v_cmpx_gt_u32_e32 8, v2
; %bb.84:                               ;   in Loop: Header=BB468_8 Depth=1
	v_clz_i32_u32_e32 v1, v18
	s_delay_alu instid0(VALU_DEP_1) | instskip(NEXT) | instid1(VALU_DEP_1)
	v_min_u32_e32 v1, 32, v1
	v_subrev_nc_u32_e32 v2, 28, v1
	v_sub_nc_u32_e32 v1, 29, v1
	s_delay_alu instid0(VALU_DEP_2) | instskip(NEXT) | instid1(VALU_DEP_1)
	v_lshlrev_b64 v[2:3], v2, v[18:19]
	v_and_b32_e32 v32, 7, v2
; %bb.85:                               ;   in Loop: Header=BB468_8 Depth=1
	s_or_b32 exec_lo, exec_lo, s21
	v_lshlrev_b32_e32 v0, 24, v0
	s_delay_alu instid0(VALU_DEP_2) | instskip(SKIP_1) | instid1(VALU_DEP_3)
	v_lshlrev_b32_e32 v2, 20, v32
	v_lshl_add_u32 v1, v1, 23, 0x3c000000
	v_and_b32_e32 v0, 0x80000000, v0
	s_delay_alu instid0(VALU_DEP_1)
	v_or3_b32 v1, v2, v0, v1
.LBB468_86:                             ;   in Loop: Header=BB468_8 Depth=1
	s_or_b32 exec_lo, exec_lo, s19
.LBB468_87:                             ;   in Loop: Header=BB468_8 Depth=1
	s_delay_alu instid0(SALU_CYCLE_1)
	s_or_b32 exec_lo, exec_lo, s17
.LBB468_88:                             ;   in Loop: Header=BB468_8 Depth=1
	s_delay_alu instid0(SALU_CYCLE_1) | instskip(NEXT) | instid1(VALU_DEP_1)
	s_or_b32 exec_lo, exec_lo, s3
	v_mul_f32_e32 v0, v79, v1
	s_delay_alu instid0(VALU_DEP_1) | instskip(NEXT) | instid1(VALU_DEP_1)
	v_and_b32_e32 v1, 0x7f800000, v0
	v_cmp_ne_u32_e64 s2, 0x7f800000, v1
                                        ; implicit-def: $vgpr1
                                        ; kill: killed $vgpr1
	s_delay_alu instid0(VALU_DEP_1) | instskip(NEXT) | instid1(SALU_CYCLE_1)
	s_and_saveexec_b32 s3, s2
	s_xor_b32 s2, exec_lo, s3
	s_cbranch_execz .LBB468_90
; %bb.89:                               ;   in Loop: Header=BB468_8 Depth=1
	v_bfe_u32 v1, v0, 16, 1
	s_delay_alu instid0(VALU_DEP_1)
	v_add3_u32 v0, v0, v1, 0x7fff
	scratch_store_b32 off, v0, s32 offset:340 ; 4-byte Folded Spill
                                        ; implicit-def: $vgpr0
.LBB468_90:                             ;   in Loop: Header=BB468_8 Depth=1
	s_and_not1_saveexec_b32 s3, s2
	s_cbranch_execz .LBB468_92
; %bb.91:                               ;   in Loop: Header=BB468_8 Depth=1
	v_and_b32_e32 v1, 0xffff, v0
	v_or_b32_e32 v2, 0x10000, v0
	s_delay_alu instid0(VALU_DEP_2) | instskip(NEXT) | instid1(VALU_DEP_1)
	v_cmp_eq_u32_e64 s2, 0, v1
	v_cndmask_b32_e64 v0, v2, v0, s2
	scratch_store_b32 off, v0, s32 offset:340 ; 4-byte Folded Spill
.LBB468_92:                             ;   in Loop: Header=BB468_8 Depth=1
	s_or_b32 exec_lo, exec_lo, s3
	v_mov_b32_e32 v1, 0
	s_mov_b32 s3, exec_lo
	v_cmpx_lt_u64_e64 s[4:5], v[30:31]
	s_cbranch_execz .LBB468_100
; %bb.93:                               ;   in Loop: Header=BB468_8 Depth=1
	v_lshrrev_b32_e32 v0, 24, v31
	v_bfrev_b32_e32 v1, 1
	s_mov_b32 s17, exec_lo
	s_delay_alu instid0(VALU_DEP_2)
	v_cmpx_ne_u32_e32 0x80, v0
	s_cbranch_execz .LBB468_99
; %bb.94:                               ;   in Loop: Header=BB468_8 Depth=1
	v_bfe_u32 v2, v31, 24, 7
	v_mov_b32_e32 v1, 0x7f800001
	s_mov_b32 s19, exec_lo
	s_delay_alu instid0(VALU_DEP_2)
	v_cmpx_ne_u32_e32 0x7f, v2
	s_cbranch_execz .LBB468_98
; %bb.95:                               ;   in Loop: Header=BB468_8 Depth=1
	v_and_b32_e32 v18, 7, v0
	v_lshrrev_b32_e32 v1, 3, v2
	v_mov_b32_e32 v31, v19
	s_mov_b32 s21, exec_lo
	s_delay_alu instid0(VALU_DEP_3)
	v_mov_b32_e32 v30, v18
	v_cmpx_gt_u32_e32 8, v2
; %bb.96:                               ;   in Loop: Header=BB468_8 Depth=1
	v_clz_i32_u32_e32 v1, v18
	s_delay_alu instid0(VALU_DEP_1) | instskip(NEXT) | instid1(VALU_DEP_1)
	v_min_u32_e32 v1, 32, v1
	v_subrev_nc_u32_e32 v2, 28, v1
	v_sub_nc_u32_e32 v1, 29, v1
	s_delay_alu instid0(VALU_DEP_2) | instskip(NEXT) | instid1(VALU_DEP_1)
	v_lshlrev_b64 v[2:3], v2, v[18:19]
	v_and_b32_e32 v30, 7, v2
; %bb.97:                               ;   in Loop: Header=BB468_8 Depth=1
	s_or_b32 exec_lo, exec_lo, s21
	v_lshlrev_b32_e32 v0, 24, v0
	s_delay_alu instid0(VALU_DEP_2) | instskip(SKIP_1) | instid1(VALU_DEP_3)
	v_lshlrev_b32_e32 v2, 20, v30
	v_lshl_add_u32 v1, v1, 23, 0x3c000000
	v_and_b32_e32 v0, 0x80000000, v0
	s_delay_alu instid0(VALU_DEP_1)
	v_or3_b32 v1, v2, v0, v1
.LBB468_98:                             ;   in Loop: Header=BB468_8 Depth=1
	s_or_b32 exec_lo, exec_lo, s19
.LBB468_99:                             ;   in Loop: Header=BB468_8 Depth=1
	s_delay_alu instid0(SALU_CYCLE_1)
	s_or_b32 exec_lo, exec_lo, s17
.LBB468_100:                            ;   in Loop: Header=BB468_8 Depth=1
	s_delay_alu instid0(SALU_CYCLE_1) | instskip(NEXT) | instid1(VALU_DEP_1)
	s_or_b32 exec_lo, exec_lo, s3
	v_mul_f32_e32 v0, v79, v1
	s_delay_alu instid0(VALU_DEP_1) | instskip(NEXT) | instid1(VALU_DEP_1)
	v_and_b32_e32 v1, 0x7f800000, v0
	v_cmp_ne_u32_e64 s2, 0x7f800000, v1
                                        ; implicit-def: $vgpr1
                                        ; kill: killed $vgpr1
	s_delay_alu instid0(VALU_DEP_1) | instskip(NEXT) | instid1(SALU_CYCLE_1)
	s_and_saveexec_b32 s3, s2
	s_xor_b32 s2, exec_lo, s3
	s_cbranch_execz .LBB468_102
; %bb.101:                              ;   in Loop: Header=BB468_8 Depth=1
	v_bfe_u32 v1, v0, 16, 1
	s_delay_alu instid0(VALU_DEP_1)
	v_add3_u32 v0, v0, v1, 0x7fff
	scratch_store_b32 off, v0, s32 offset:344 ; 4-byte Folded Spill
                                        ; implicit-def: $vgpr0
.LBB468_102:                            ;   in Loop: Header=BB468_8 Depth=1
	s_and_not1_saveexec_b32 s3, s2
	s_cbranch_execz .LBB468_104
; %bb.103:                              ;   in Loop: Header=BB468_8 Depth=1
	v_and_b32_e32 v1, 0xffff, v0
	v_or_b32_e32 v2, 0x10000, v0
	s_delay_alu instid0(VALU_DEP_2) | instskip(NEXT) | instid1(VALU_DEP_1)
	v_cmp_eq_u32_e64 s2, 0, v1
	v_cndmask_b32_e64 v0, v2, v0, s2
	scratch_store_b32 off, v0, s32 offset:344 ; 4-byte Folded Spill
.LBB468_104:                            ;   in Loop: Header=BB468_8 Depth=1
	s_or_b32 exec_lo, exec_lo, s3
	flat_load_b64 v[30:31], v[28:29] offset:8
	s_mov_b32 s3, exec_lo
	s_waitcnt vmcnt(0) lgkmcnt(0)
	v_dual_mov_b32 v0, 0 :: v_dual_and_b32 v1, 0xff, v30
	s_delay_alu instid0(VALU_DEP_1)
	v_cmpx_ne_u16_e32 0, v1
	s_cbranch_execz .LBB468_112
; %bb.105:                              ;   in Loop: Header=BB468_8 Depth=1
	v_bfrev_b32_e32 v0, 1
	s_mov_b32 s17, exec_lo
	v_cmpx_ne_u16_e32 0x80, v1
	s_cbranch_execz .LBB468_111
; %bb.106:                              ;   in Loop: Header=BB468_8 Depth=1
	v_and_b32_e32 v1, 0x7f, v30
	v_mov_b32_e32 v0, 0x7f800001
	s_mov_b32 s19, exec_lo
	s_delay_alu instid0(VALU_DEP_2)
	v_cmpx_ne_u32_e32 0x7f, v1
	s_cbranch_execz .LBB468_110
; %bb.107:                              ;   in Loop: Header=BB468_8 Depth=1
	v_lshrrev_b32_e32 v0, 3, v1
	v_dual_mov_b32 v33, v31 :: v_dual_mov_b32 v32, v30
	s_mov_b32 s21, exec_lo
	v_cmpx_gt_u32_e32 8, v1
; %bb.108:                              ;   in Loop: Header=BB468_8 Depth=1
	v_and_b32_e32 v0, 7, v30
	s_delay_alu instid0(VALU_DEP_1) | instskip(NEXT) | instid1(VALU_DEP_1)
	v_clz_i32_u32_e32 v0, v0
	v_min_u32_e32 v0, 32, v0
	s_delay_alu instid0(VALU_DEP_1) | instskip(SKIP_1) | instid1(VALU_DEP_2)
	v_subrev_nc_u32_e32 v1, 28, v0
	v_sub_nc_u32_e32 v0, 29, v0
	v_lshlrev_b64 v[32:33], v1, v[30:31]
; %bb.109:                              ;   in Loop: Header=BB468_8 Depth=1
	s_or_b32 exec_lo, exec_lo, s21
	s_delay_alu instid0(VALU_DEP_1) | instskip(SKIP_2) | instid1(VALU_DEP_3)
	v_lshlrev_b32_e32 v1, 20, v32
	v_lshlrev_b32_e32 v2, 24, v30
	v_lshl_add_u32 v0, v0, 23, 0x3c000000
	v_and_b32_e32 v1, 0x700000, v1
	s_delay_alu instid0(VALU_DEP_3) | instskip(NEXT) | instid1(VALU_DEP_1)
	v_and_b32_e32 v2, 0x80000000, v2
	v_or3_b32 v0, v1, v2, v0
.LBB468_110:                            ;   in Loop: Header=BB468_8 Depth=1
	s_or_b32 exec_lo, exec_lo, s19
.LBB468_111:                            ;   in Loop: Header=BB468_8 Depth=1
	s_delay_alu instid0(SALU_CYCLE_1)
	s_or_b32 exec_lo, exec_lo, s17
.LBB468_112:                            ;   in Loop: Header=BB468_8 Depth=1
	s_delay_alu instid0(SALU_CYCLE_1) | instskip(NEXT) | instid1(VALU_DEP_1)
	s_or_b32 exec_lo, exec_lo, s3
	v_mul_f32_e32 v0, v79, v0
                                        ; implicit-def: $vgpr49
	s_delay_alu instid0(VALU_DEP_1) | instskip(NEXT) | instid1(VALU_DEP_1)
	v_and_b32_e32 v1, 0x7f800000, v0
	v_cmp_ne_u32_e64 s2, 0x7f800000, v1
	s_delay_alu instid0(VALU_DEP_1) | instskip(NEXT) | instid1(SALU_CYCLE_1)
	s_and_saveexec_b32 s3, s2
	s_xor_b32 s2, exec_lo, s3
; %bb.113:                              ;   in Loop: Header=BB468_8 Depth=1
	v_bfe_u32 v1, v0, 16, 1
	s_delay_alu instid0(VALU_DEP_1)
	v_add3_u32 v49, v0, v1, 0x7fff
                                        ; implicit-def: $vgpr0
; %bb.114:                              ;   in Loop: Header=BB468_8 Depth=1
	s_and_not1_saveexec_b32 s3, s2
; %bb.115:                              ;   in Loop: Header=BB468_8 Depth=1
	v_and_b32_e32 v1, 0xffff, v0
	v_or_b32_e32 v2, 0x10000, v0
	s_delay_alu instid0(VALU_DEP_2) | instskip(NEXT) | instid1(VALU_DEP_1)
	v_cmp_eq_u32_e64 s2, 0, v1
	v_cndmask_b32_e64 v49, v2, v0, s2
; %bb.116:                              ;   in Loop: Header=BB468_8 Depth=1
	s_or_b32 exec_lo, exec_lo, s3
	v_lshrrev_b16 v1, 8, v30
	v_mov_b32_e32 v0, 0
	s_mov_b32 s3, exec_lo
	s_delay_alu instid0(VALU_DEP_2)
	v_cmpx_ne_u16_e32 0, v1
	s_cbranch_execz .LBB468_124
; %bb.117:                              ;   in Loop: Header=BB468_8 Depth=1
	v_bfrev_b32_e32 v0, 1
	s_mov_b32 s17, exec_lo
	v_cmpx_ne_u16_e32 0x80, v1
	s_cbranch_execz .LBB468_123
; %bb.118:                              ;   in Loop: Header=BB468_8 Depth=1
	v_and_b32_e32 v2, 0xffff, v1
	v_mov_b32_e32 v0, 0x7f800001
	s_mov_b32 s19, exec_lo
	s_delay_alu instid0(VALU_DEP_2) | instskip(NEXT) | instid1(VALU_DEP_1)
	v_and_b32_e32 v1, 0x7f, v2
	v_cmpx_ne_u32_e32 0x7f, v1
	s_cbranch_execz .LBB468_122
; %bb.119:                              ;   in Loop: Header=BB468_8 Depth=1
	v_and_b32_e32 v18, 7, v2
	v_lshrrev_b32_e32 v0, 3, v1
	v_mov_b32_e32 v33, v19
	s_mov_b32 s21, exec_lo
	s_delay_alu instid0(VALU_DEP_3)
	v_mov_b32_e32 v32, v18
	v_cmpx_gt_u32_e32 8, v1
; %bb.120:                              ;   in Loop: Header=BB468_8 Depth=1
	v_clz_i32_u32_e32 v0, v18
	s_delay_alu instid0(VALU_DEP_1) | instskip(NEXT) | instid1(VALU_DEP_1)
	v_min_u32_e32 v0, 32, v0
	v_subrev_nc_u32_e32 v1, 28, v0
	v_sub_nc_u32_e32 v0, 29, v0
	s_delay_alu instid0(VALU_DEP_2) | instskip(NEXT) | instid1(VALU_DEP_1)
	v_lshlrev_b64 v[1:2], v1, v[18:19]
	v_and_b32_e32 v32, 7, v1
; %bb.121:                              ;   in Loop: Header=BB468_8 Depth=1
	s_or_b32 exec_lo, exec_lo, s21
	v_lshlrev_b32_e32 v1, 16, v30
	s_delay_alu instid0(VALU_DEP_2) | instskip(SKIP_1) | instid1(VALU_DEP_3)
	v_lshlrev_b32_e32 v2, 20, v32
	v_lshl_add_u32 v0, v0, 23, 0x3c000000
	v_and_b32_e32 v1, 0x80000000, v1
	s_delay_alu instid0(VALU_DEP_1)
	v_or3_b32 v0, v2, v1, v0
.LBB468_122:                            ;   in Loop: Header=BB468_8 Depth=1
	s_or_b32 exec_lo, exec_lo, s19
.LBB468_123:                            ;   in Loop: Header=BB468_8 Depth=1
	s_delay_alu instid0(SALU_CYCLE_1)
	s_or_b32 exec_lo, exec_lo, s17
.LBB468_124:                            ;   in Loop: Header=BB468_8 Depth=1
	s_delay_alu instid0(SALU_CYCLE_1) | instskip(NEXT) | instid1(VALU_DEP_1)
	s_or_b32 exec_lo, exec_lo, s3
	v_mul_f32_e32 v0, v79, v0
	s_delay_alu instid0(VALU_DEP_1) | instskip(NEXT) | instid1(VALU_DEP_1)
	v_and_b32_e32 v1, 0x7f800000, v0
	v_cmp_ne_u32_e64 s2, 0x7f800000, v1
                                        ; implicit-def: $vgpr1
                                        ; kill: killed $vgpr1
	s_delay_alu instid0(VALU_DEP_1) | instskip(NEXT) | instid1(SALU_CYCLE_1)
	s_and_saveexec_b32 s3, s2
	s_xor_b32 s2, exec_lo, s3
	s_cbranch_execz .LBB468_126
; %bb.125:                              ;   in Loop: Header=BB468_8 Depth=1
	v_bfe_u32 v1, v0, 16, 1
	s_delay_alu instid0(VALU_DEP_1)
	v_add3_u32 v0, v0, v1, 0x7fff
	scratch_store_b32 off, v0, s32 offset:352 ; 4-byte Folded Spill
                                        ; implicit-def: $vgpr0
.LBB468_126:                            ;   in Loop: Header=BB468_8 Depth=1
	s_and_not1_saveexec_b32 s3, s2
	s_cbranch_execz .LBB468_128
; %bb.127:                              ;   in Loop: Header=BB468_8 Depth=1
	v_and_b32_e32 v1, 0xffff, v0
	v_or_b32_e32 v2, 0x10000, v0
	s_delay_alu instid0(VALU_DEP_2) | instskip(NEXT) | instid1(VALU_DEP_1)
	v_cmp_eq_u32_e64 s2, 0, v1
	v_cndmask_b32_e64 v0, v2, v0, s2
	scratch_store_b32 off, v0, s32 offset:352 ; 4-byte Folded Spill
.LBB468_128:                            ;   in Loop: Header=BB468_8 Depth=1
	s_or_b32 exec_lo, exec_lo, s3
	v_lshrrev_b32_e32 v0, 16, v30
	s_mov_b32 s3, exec_lo
	s_delay_alu instid0(VALU_DEP_1) | instskip(NEXT) | instid1(VALU_DEP_1)
	v_dual_mov_b32 v1, 0 :: v_dual_and_b32 v2, 0xff, v0
	v_cmpx_ne_u16_e32 0, v2
	s_cbranch_execz .LBB468_136
; %bb.129:                              ;   in Loop: Header=BB468_8 Depth=1
	v_bfrev_b32_e32 v1, 1
	s_mov_b32 s17, exec_lo
	v_cmpx_ne_u16_e32 0x80, v2
	s_cbranch_execz .LBB468_135
; %bb.130:                              ;   in Loop: Header=BB468_8 Depth=1
	v_bfe_u32 v2, v30, 16, 7
	v_mov_b32_e32 v1, 0x7f800001
	s_mov_b32 s19, exec_lo
	s_delay_alu instid0(VALU_DEP_2)
	v_cmpx_ne_u32_e32 0x7f, v2
	s_cbranch_execz .LBB468_134
; %bb.131:                              ;   in Loop: Header=BB468_8 Depth=1
	v_and_b32_e32 v18, 7, v0
	v_lshrrev_b32_e32 v1, 3, v2
	v_mov_b32_e32 v33, v19
	s_mov_b32 s21, exec_lo
	s_delay_alu instid0(VALU_DEP_3)
	v_mov_b32_e32 v32, v18
	v_cmpx_gt_u32_e32 8, v2
; %bb.132:                              ;   in Loop: Header=BB468_8 Depth=1
	v_clz_i32_u32_e32 v1, v18
	s_delay_alu instid0(VALU_DEP_1) | instskip(NEXT) | instid1(VALU_DEP_1)
	v_min_u32_e32 v1, 32, v1
	v_subrev_nc_u32_e32 v2, 28, v1
	v_sub_nc_u32_e32 v1, 29, v1
	s_delay_alu instid0(VALU_DEP_2) | instskip(NEXT) | instid1(VALU_DEP_1)
	v_lshlrev_b64 v[2:3], v2, v[18:19]
	v_and_b32_e32 v32, 7, v2
; %bb.133:                              ;   in Loop: Header=BB468_8 Depth=1
	s_or_b32 exec_lo, exec_lo, s21
	v_lshlrev_b32_e32 v0, 24, v0
	s_delay_alu instid0(VALU_DEP_2) | instskip(SKIP_1) | instid1(VALU_DEP_3)
	v_lshlrev_b32_e32 v2, 20, v32
	v_lshl_add_u32 v1, v1, 23, 0x3c000000
	v_and_b32_e32 v0, 0x80000000, v0
	s_delay_alu instid0(VALU_DEP_1)
	v_or3_b32 v1, v2, v0, v1
.LBB468_134:                            ;   in Loop: Header=BB468_8 Depth=1
	s_or_b32 exec_lo, exec_lo, s19
.LBB468_135:                            ;   in Loop: Header=BB468_8 Depth=1
	s_delay_alu instid0(SALU_CYCLE_1)
	s_or_b32 exec_lo, exec_lo, s17
.LBB468_136:                            ;   in Loop: Header=BB468_8 Depth=1
	s_delay_alu instid0(SALU_CYCLE_1) | instskip(NEXT) | instid1(VALU_DEP_1)
	s_or_b32 exec_lo, exec_lo, s3
	v_mul_f32_e32 v0, v79, v1
	s_delay_alu instid0(VALU_DEP_1) | instskip(NEXT) | instid1(VALU_DEP_1)
	v_and_b32_e32 v1, 0x7f800000, v0
	v_cmp_ne_u32_e64 s2, 0x7f800000, v1
                                        ; implicit-def: $vgpr1
                                        ; kill: killed $vgpr1
	s_delay_alu instid0(VALU_DEP_1) | instskip(NEXT) | instid1(SALU_CYCLE_1)
	s_and_saveexec_b32 s3, s2
	s_xor_b32 s2, exec_lo, s3
	s_cbranch_execz .LBB468_138
; %bb.137:                              ;   in Loop: Header=BB468_8 Depth=1
	v_bfe_u32 v1, v0, 16, 1
	s_delay_alu instid0(VALU_DEP_1)
	v_add3_u32 v0, v0, v1, 0x7fff
	scratch_store_b32 off, v0, s32 offset:356 ; 4-byte Folded Spill
                                        ; implicit-def: $vgpr0
.LBB468_138:                            ;   in Loop: Header=BB468_8 Depth=1
	s_and_not1_saveexec_b32 s3, s2
	s_cbranch_execz .LBB468_140
; %bb.139:                              ;   in Loop: Header=BB468_8 Depth=1
	v_and_b32_e32 v1, 0xffff, v0
	v_or_b32_e32 v2, 0x10000, v0
	s_delay_alu instid0(VALU_DEP_2) | instskip(NEXT) | instid1(VALU_DEP_1)
	v_cmp_eq_u32_e64 s2, 0, v1
	v_cndmask_b32_e64 v0, v2, v0, s2
	scratch_store_b32 off, v0, s32 offset:356 ; 4-byte Folded Spill
.LBB468_140:                            ;   in Loop: Header=BB468_8 Depth=1
	s_or_b32 exec_lo, exec_lo, s3
	v_mov_b32_e32 v1, 0
	s_mov_b32 s3, exec_lo
	v_cmpx_lt_u32_e32 0xffffff, v30
	s_cbranch_execz .LBB468_148
; %bb.141:                              ;   in Loop: Header=BB468_8 Depth=1
	v_lshrrev_b32_e32 v0, 24, v30
	v_bfrev_b32_e32 v1, 1
	s_mov_b32 s17, exec_lo
	s_delay_alu instid0(VALU_DEP_2)
	v_cmpx_ne_u32_e32 0x80, v0
	s_cbranch_execz .LBB468_147
; %bb.142:                              ;   in Loop: Header=BB468_8 Depth=1
	v_bfe_u32 v2, v30, 24, 7
	v_mov_b32_e32 v1, 0x7f800001
	s_mov_b32 s19, exec_lo
	s_delay_alu instid0(VALU_DEP_2)
	v_cmpx_ne_u32_e32 0x7f, v2
	s_cbranch_execz .LBB468_146
; %bb.143:                              ;   in Loop: Header=BB468_8 Depth=1
	v_and_b32_e32 v18, 7, v0
	v_lshrrev_b32_e32 v1, 3, v2
	v_mov_b32_e32 v33, v19
	s_mov_b32 s21, exec_lo
	s_delay_alu instid0(VALU_DEP_3)
	v_mov_b32_e32 v32, v18
	v_cmpx_gt_u32_e32 8, v2
; %bb.144:                              ;   in Loop: Header=BB468_8 Depth=1
	v_clz_i32_u32_e32 v1, v18
	s_delay_alu instid0(VALU_DEP_1) | instskip(NEXT) | instid1(VALU_DEP_1)
	v_min_u32_e32 v1, 32, v1
	v_subrev_nc_u32_e32 v2, 28, v1
	v_sub_nc_u32_e32 v1, 29, v1
	s_delay_alu instid0(VALU_DEP_2) | instskip(NEXT) | instid1(VALU_DEP_1)
	v_lshlrev_b64 v[2:3], v2, v[18:19]
	v_and_b32_e32 v32, 7, v2
; %bb.145:                              ;   in Loop: Header=BB468_8 Depth=1
	s_or_b32 exec_lo, exec_lo, s21
	v_lshlrev_b32_e32 v0, 24, v0
	s_delay_alu instid0(VALU_DEP_2) | instskip(SKIP_1) | instid1(VALU_DEP_3)
	v_lshlrev_b32_e32 v2, 20, v32
	v_lshl_add_u32 v1, v1, 23, 0x3c000000
	v_and_b32_e32 v0, 0x80000000, v0
	s_delay_alu instid0(VALU_DEP_1)
	v_or3_b32 v1, v2, v0, v1
.LBB468_146:                            ;   in Loop: Header=BB468_8 Depth=1
	s_or_b32 exec_lo, exec_lo, s19
.LBB468_147:                            ;   in Loop: Header=BB468_8 Depth=1
	s_delay_alu instid0(SALU_CYCLE_1)
	s_or_b32 exec_lo, exec_lo, s17
.LBB468_148:                            ;   in Loop: Header=BB468_8 Depth=1
	s_delay_alu instid0(SALU_CYCLE_1) | instskip(NEXT) | instid1(VALU_DEP_1)
	s_or_b32 exec_lo, exec_lo, s3
	v_mul_f32_e32 v0, v79, v1
	s_delay_alu instid0(VALU_DEP_1) | instskip(NEXT) | instid1(VALU_DEP_1)
	v_and_b32_e32 v1, 0x7f800000, v0
	v_cmp_ne_u32_e64 s2, 0x7f800000, v1
                                        ; implicit-def: $vgpr1
                                        ; kill: killed $vgpr1
	s_delay_alu instid0(VALU_DEP_1) | instskip(NEXT) | instid1(SALU_CYCLE_1)
	s_and_saveexec_b32 s3, s2
	s_xor_b32 s2, exec_lo, s3
	s_cbranch_execz .LBB468_150
; %bb.149:                              ;   in Loop: Header=BB468_8 Depth=1
	v_bfe_u32 v1, v0, 16, 1
	s_delay_alu instid0(VALU_DEP_1)
	v_add3_u32 v0, v0, v1, 0x7fff
	scratch_store_b32 off, v0, s32 offset:360 ; 4-byte Folded Spill
                                        ; implicit-def: $vgpr0
.LBB468_150:                            ;   in Loop: Header=BB468_8 Depth=1
	s_and_not1_saveexec_b32 s3, s2
	s_cbranch_execz .LBB468_152
; %bb.151:                              ;   in Loop: Header=BB468_8 Depth=1
	v_and_b32_e32 v1, 0xffff, v0
	v_or_b32_e32 v2, 0x10000, v0
	s_delay_alu instid0(VALU_DEP_2) | instskip(NEXT) | instid1(VALU_DEP_1)
	v_cmp_eq_u32_e64 s2, 0, v1
	v_cndmask_b32_e64 v0, v2, v0, s2
	scratch_store_b32 off, v0, s32 offset:360 ; 4-byte Folded Spill
.LBB468_152:                            ;   in Loop: Header=BB468_8 Depth=1
	s_or_b32 exec_lo, exec_lo, s3
	v_dual_mov_b32 v18, v31 :: v_dual_and_b32 v1, 0xff, v31
	v_mov_b32_e32 v0, 0
	s_mov_b32 s3, exec_lo
	s_delay_alu instid0(VALU_DEP_2)
	v_cmpx_ne_u16_e32 0, v1
	s_cbranch_execz .LBB468_160
; %bb.153:                              ;   in Loop: Header=BB468_8 Depth=1
	v_bfrev_b32_e32 v0, 1
	s_mov_b32 s17, exec_lo
	v_cmpx_ne_u16_e32 0x80, v1
	s_cbranch_execz .LBB468_159
; %bb.154:                              ;   in Loop: Header=BB468_8 Depth=1
	v_and_b32_e32 v1, 0x7f, v31
	v_mov_b32_e32 v0, 0x7f800001
	s_mov_b32 s19, exec_lo
	s_delay_alu instid0(VALU_DEP_2)
	v_cmpx_ne_u32_e32 0x7f, v1
	s_cbranch_execz .LBB468_158
; %bb.155:                              ;   in Loop: Header=BB468_8 Depth=1
	v_lshrrev_b32_e32 v0, 3, v1
	v_dual_mov_b32 v33, v19 :: v_dual_mov_b32 v32, v18
	s_mov_b32 s21, exec_lo
	v_cmpx_gt_u32_e32 8, v1
; %bb.156:                              ;   in Loop: Header=BB468_8 Depth=1
	v_and_b32_e32 v0, 7, v31
	s_delay_alu instid0(VALU_DEP_1) | instskip(NEXT) | instid1(VALU_DEP_1)
	v_clz_i32_u32_e32 v0, v0
	v_min_u32_e32 v0, 32, v0
	s_delay_alu instid0(VALU_DEP_1) | instskip(SKIP_1) | instid1(VALU_DEP_2)
	v_subrev_nc_u32_e32 v1, 28, v0
	v_sub_nc_u32_e32 v0, 29, v0
	v_lshlrev_b64 v[32:33], v1, v[18:19]
; %bb.157:                              ;   in Loop: Header=BB468_8 Depth=1
	s_or_b32 exec_lo, exec_lo, s21
	s_delay_alu instid0(VALU_DEP_1) | instskip(SKIP_2) | instid1(VALU_DEP_3)
	v_lshlrev_b32_e32 v1, 20, v32
	v_lshlrev_b32_e32 v2, 24, v18
	v_lshl_add_u32 v0, v0, 23, 0x3c000000
	v_and_b32_e32 v1, 0x700000, v1
	s_delay_alu instid0(VALU_DEP_3) | instskip(NEXT) | instid1(VALU_DEP_1)
	v_and_b32_e32 v2, 0x80000000, v2
	v_or3_b32 v0, v1, v2, v0
.LBB468_158:                            ;   in Loop: Header=BB468_8 Depth=1
	s_or_b32 exec_lo, exec_lo, s19
.LBB468_159:                            ;   in Loop: Header=BB468_8 Depth=1
	s_delay_alu instid0(SALU_CYCLE_1)
	s_or_b32 exec_lo, exec_lo, s17
.LBB468_160:                            ;   in Loop: Header=BB468_8 Depth=1
	s_delay_alu instid0(SALU_CYCLE_1) | instskip(NEXT) | instid1(VALU_DEP_1)
	s_or_b32 exec_lo, exec_lo, s3
	v_mul_f32_e32 v0, v79, v0
	s_delay_alu instid0(VALU_DEP_1) | instskip(NEXT) | instid1(VALU_DEP_1)
	v_and_b32_e32 v1, 0x7f800000, v0
	v_cmp_ne_u32_e64 s2, 0x7f800000, v1
                                        ; implicit-def: $vgpr1
                                        ; kill: killed $vgpr1
	s_delay_alu instid0(VALU_DEP_1) | instskip(NEXT) | instid1(SALU_CYCLE_1)
	s_and_saveexec_b32 s3, s2
	s_xor_b32 s2, exec_lo, s3
	s_cbranch_execz .LBB468_162
; %bb.161:                              ;   in Loop: Header=BB468_8 Depth=1
	v_bfe_u32 v1, v0, 16, 1
	s_delay_alu instid0(VALU_DEP_1)
	v_add3_u32 v0, v0, v1, 0x7fff
	scratch_store_b32 off, v0, s32 offset:364 ; 4-byte Folded Spill
                                        ; implicit-def: $vgpr0
.LBB468_162:                            ;   in Loop: Header=BB468_8 Depth=1
	s_and_not1_saveexec_b32 s3, s2
	s_cbranch_execz .LBB468_164
; %bb.163:                              ;   in Loop: Header=BB468_8 Depth=1
	v_and_b32_e32 v1, 0xffff, v0
	v_or_b32_e32 v2, 0x10000, v0
	s_delay_alu instid0(VALU_DEP_2) | instskip(NEXT) | instid1(VALU_DEP_1)
	v_cmp_eq_u32_e64 s2, 0, v1
	v_cndmask_b32_e64 v0, v2, v0, s2
	scratch_store_b32 off, v0, s32 offset:364 ; 4-byte Folded Spill
.LBB468_164:                            ;   in Loop: Header=BB468_8 Depth=1
	s_or_b32 exec_lo, exec_lo, s3
	v_lshrrev_b16 v1, 8, v18
	v_mov_b32_e32 v0, 0
	s_mov_b32 s3, exec_lo
	s_delay_alu instid0(VALU_DEP_2)
	v_cmpx_ne_u16_e32 0, v1
	s_cbranch_execz .LBB468_172
; %bb.165:                              ;   in Loop: Header=BB468_8 Depth=1
	v_bfrev_b32_e32 v0, 1
	s_mov_b32 s17, exec_lo
	v_cmpx_ne_u16_e32 0x80, v1
	s_cbranch_execz .LBB468_171
; %bb.166:                              ;   in Loop: Header=BB468_8 Depth=1
	v_and_b32_e32 v2, 0xffff, v1
	v_mov_b32_e32 v0, 0x7f800001
	s_mov_b32 s19, exec_lo
	s_delay_alu instid0(VALU_DEP_2) | instskip(NEXT) | instid1(VALU_DEP_1)
	v_and_b32_e32 v1, 0x7f, v2
	v_cmpx_ne_u32_e32 0x7f, v1
	s_cbranch_execz .LBB468_170
; %bb.167:                              ;   in Loop: Header=BB468_8 Depth=1
	v_dual_mov_b32 v33, v19 :: v_dual_and_b32 v32, 7, v2
	v_lshrrev_b32_e32 v0, 3, v1
	s_mov_b32 s21, exec_lo
	v_cmpx_gt_u32_e32 8, v1
; %bb.168:                              ;   in Loop: Header=BB468_8 Depth=1
	s_delay_alu instid0(VALU_DEP_3) | instskip(NEXT) | instid1(VALU_DEP_1)
	v_clz_i32_u32_e32 v0, v32
	v_min_u32_e32 v0, 32, v0
	s_delay_alu instid0(VALU_DEP_1) | instskip(SKIP_1) | instid1(VALU_DEP_2)
	v_subrev_nc_u32_e32 v1, 28, v0
	v_sub_nc_u32_e32 v0, 29, v0
	v_lshlrev_b64 v[1:2], v1, v[32:33]
	s_delay_alu instid0(VALU_DEP_1)
	v_and_b32_e32 v32, 7, v1
; %bb.169:                              ;   in Loop: Header=BB468_8 Depth=1
	s_or_b32 exec_lo, exec_lo, s21
	v_lshlrev_b32_e32 v1, 16, v18
	s_delay_alu instid0(VALU_DEP_2) | instskip(SKIP_1) | instid1(VALU_DEP_3)
	v_lshlrev_b32_e32 v2, 20, v32
	v_lshl_add_u32 v0, v0, 23, 0x3c000000
	v_and_b32_e32 v1, 0x80000000, v1
	s_delay_alu instid0(VALU_DEP_1)
	v_or3_b32 v0, v2, v1, v0
.LBB468_170:                            ;   in Loop: Header=BB468_8 Depth=1
	s_or_b32 exec_lo, exec_lo, s19
.LBB468_171:                            ;   in Loop: Header=BB468_8 Depth=1
	s_delay_alu instid0(SALU_CYCLE_1)
	s_or_b32 exec_lo, exec_lo, s17
.LBB468_172:                            ;   in Loop: Header=BB468_8 Depth=1
	s_delay_alu instid0(SALU_CYCLE_1) | instskip(NEXT) | instid1(VALU_DEP_1)
	s_or_b32 exec_lo, exec_lo, s3
	v_mul_f32_e32 v0, v79, v0
	s_delay_alu instid0(VALU_DEP_1) | instskip(NEXT) | instid1(VALU_DEP_1)
	v_and_b32_e32 v1, 0x7f800000, v0
	v_cmp_ne_u32_e64 s2, 0x7f800000, v1
                                        ; implicit-def: $vgpr1
                                        ; kill: killed $vgpr1
	s_delay_alu instid0(VALU_DEP_1) | instskip(NEXT) | instid1(SALU_CYCLE_1)
	s_and_saveexec_b32 s3, s2
	s_xor_b32 s2, exec_lo, s3
	s_cbranch_execz .LBB468_174
; %bb.173:                              ;   in Loop: Header=BB468_8 Depth=1
	v_bfe_u32 v1, v0, 16, 1
	s_delay_alu instid0(VALU_DEP_1)
	v_add3_u32 v0, v0, v1, 0x7fff
	scratch_store_b32 off, v0, s32 offset:368 ; 4-byte Folded Spill
                                        ; implicit-def: $vgpr0
.LBB468_174:                            ;   in Loop: Header=BB468_8 Depth=1
	s_and_not1_saveexec_b32 s3, s2
	s_cbranch_execz .LBB468_176
; %bb.175:                              ;   in Loop: Header=BB468_8 Depth=1
	v_and_b32_e32 v1, 0xffff, v0
	v_or_b32_e32 v2, 0x10000, v0
	s_delay_alu instid0(VALU_DEP_2) | instskip(NEXT) | instid1(VALU_DEP_1)
	v_cmp_eq_u32_e64 s2, 0, v1
	v_cndmask_b32_e64 v0, v2, v0, s2
	scratch_store_b32 off, v0, s32 offset:368 ; 4-byte Folded Spill
.LBB468_176:                            ;   in Loop: Header=BB468_8 Depth=1
	s_or_b32 exec_lo, exec_lo, s3
	v_lshrrev_b32_e32 v0, 16, v31
	s_mov_b32 s3, exec_lo
	s_delay_alu instid0(VALU_DEP_1) | instskip(NEXT) | instid1(VALU_DEP_1)
	v_dual_mov_b32 v1, 0 :: v_dual_and_b32 v2, 0xff, v0
	v_cmpx_ne_u16_e32 0, v2
	s_cbranch_execz .LBB468_184
; %bb.177:                              ;   in Loop: Header=BB468_8 Depth=1
	v_bfrev_b32_e32 v1, 1
	s_mov_b32 s17, exec_lo
	v_cmpx_ne_u16_e32 0x80, v2
	s_cbranch_execz .LBB468_183
; %bb.178:                              ;   in Loop: Header=BB468_8 Depth=1
	v_bfe_u32 v2, v31, 16, 7
	v_mov_b32_e32 v1, 0x7f800001
	s_mov_b32 s19, exec_lo
	s_delay_alu instid0(VALU_DEP_2)
	v_cmpx_ne_u32_e32 0x7f, v2
	s_cbranch_execz .LBB468_182
; %bb.179:                              ;   in Loop: Header=BB468_8 Depth=1
	v_and_b32_e32 v18, 7, v0
	v_lshrrev_b32_e32 v1, 3, v2
	v_mov_b32_e32 v33, v19
	s_mov_b32 s21, exec_lo
	s_delay_alu instid0(VALU_DEP_3)
	v_mov_b32_e32 v32, v18
	v_cmpx_gt_u32_e32 8, v2
; %bb.180:                              ;   in Loop: Header=BB468_8 Depth=1
	v_clz_i32_u32_e32 v1, v18
	s_delay_alu instid0(VALU_DEP_1) | instskip(NEXT) | instid1(VALU_DEP_1)
	v_min_u32_e32 v1, 32, v1
	v_subrev_nc_u32_e32 v2, 28, v1
	v_sub_nc_u32_e32 v1, 29, v1
	s_delay_alu instid0(VALU_DEP_2) | instskip(NEXT) | instid1(VALU_DEP_1)
	v_lshlrev_b64 v[2:3], v2, v[18:19]
	v_and_b32_e32 v32, 7, v2
; %bb.181:                              ;   in Loop: Header=BB468_8 Depth=1
	s_or_b32 exec_lo, exec_lo, s21
	v_lshlrev_b32_e32 v0, 24, v0
	s_delay_alu instid0(VALU_DEP_2) | instskip(SKIP_1) | instid1(VALU_DEP_3)
	v_lshlrev_b32_e32 v2, 20, v32
	v_lshl_add_u32 v1, v1, 23, 0x3c000000
	v_and_b32_e32 v0, 0x80000000, v0
	s_delay_alu instid0(VALU_DEP_1)
	v_or3_b32 v1, v2, v0, v1
.LBB468_182:                            ;   in Loop: Header=BB468_8 Depth=1
	s_or_b32 exec_lo, exec_lo, s19
.LBB468_183:                            ;   in Loop: Header=BB468_8 Depth=1
	s_delay_alu instid0(SALU_CYCLE_1)
	s_or_b32 exec_lo, exec_lo, s17
.LBB468_184:                            ;   in Loop: Header=BB468_8 Depth=1
	s_delay_alu instid0(SALU_CYCLE_1) | instskip(NEXT) | instid1(VALU_DEP_1)
	s_or_b32 exec_lo, exec_lo, s3
	v_mul_f32_e32 v0, v79, v1
	s_delay_alu instid0(VALU_DEP_1) | instskip(NEXT) | instid1(VALU_DEP_1)
	v_and_b32_e32 v1, 0x7f800000, v0
	v_cmp_ne_u32_e64 s2, 0x7f800000, v1
                                        ; implicit-def: $vgpr1
                                        ; kill: killed $vgpr1
	s_delay_alu instid0(VALU_DEP_1) | instskip(NEXT) | instid1(SALU_CYCLE_1)
	s_and_saveexec_b32 s3, s2
	s_xor_b32 s2, exec_lo, s3
	s_cbranch_execz .LBB468_186
; %bb.185:                              ;   in Loop: Header=BB468_8 Depth=1
	v_bfe_u32 v1, v0, 16, 1
	s_delay_alu instid0(VALU_DEP_1)
	v_add3_u32 v0, v0, v1, 0x7fff
	scratch_store_b32 off, v0, s32 offset:372 ; 4-byte Folded Spill
                                        ; implicit-def: $vgpr0
.LBB468_186:                            ;   in Loop: Header=BB468_8 Depth=1
	s_and_not1_saveexec_b32 s3, s2
	s_cbranch_execz .LBB468_188
; %bb.187:                              ;   in Loop: Header=BB468_8 Depth=1
	v_and_b32_e32 v1, 0xffff, v0
	v_or_b32_e32 v2, 0x10000, v0
	s_delay_alu instid0(VALU_DEP_2) | instskip(NEXT) | instid1(VALU_DEP_1)
	v_cmp_eq_u32_e64 s2, 0, v1
	v_cndmask_b32_e64 v0, v2, v0, s2
	scratch_store_b32 off, v0, s32 offset:372 ; 4-byte Folded Spill
.LBB468_188:                            ;   in Loop: Header=BB468_8 Depth=1
	s_or_b32 exec_lo, exec_lo, s3
	v_mov_b32_e32 v1, 0
	s_mov_b32 s3, exec_lo
	v_cmpx_lt_u64_e64 s[4:5], v[30:31]
	s_cbranch_execz .LBB468_196
; %bb.189:                              ;   in Loop: Header=BB468_8 Depth=1
	v_lshrrev_b32_e32 v0, 24, v31
	v_bfrev_b32_e32 v1, 1
	s_mov_b32 s17, exec_lo
	s_delay_alu instid0(VALU_DEP_2)
	v_cmpx_ne_u32_e32 0x80, v0
	s_cbranch_execz .LBB468_195
; %bb.190:                              ;   in Loop: Header=BB468_8 Depth=1
	v_bfe_u32 v2, v31, 24, 7
	v_mov_b32_e32 v1, 0x7f800001
	s_mov_b32 s19, exec_lo
	s_delay_alu instid0(VALU_DEP_2)
	v_cmpx_ne_u32_e32 0x7f, v2
	s_cbranch_execz .LBB468_194
; %bb.191:                              ;   in Loop: Header=BB468_8 Depth=1
	v_and_b32_e32 v18, 7, v0
	v_lshrrev_b32_e32 v1, 3, v2
	v_mov_b32_e32 v31, v19
	s_mov_b32 s21, exec_lo
	s_delay_alu instid0(VALU_DEP_3)
	v_mov_b32_e32 v30, v18
	v_cmpx_gt_u32_e32 8, v2
; %bb.192:                              ;   in Loop: Header=BB468_8 Depth=1
	v_clz_i32_u32_e32 v1, v18
	s_delay_alu instid0(VALU_DEP_1) | instskip(NEXT) | instid1(VALU_DEP_1)
	v_min_u32_e32 v1, 32, v1
	v_subrev_nc_u32_e32 v2, 28, v1
	v_sub_nc_u32_e32 v1, 29, v1
	s_delay_alu instid0(VALU_DEP_2) | instskip(NEXT) | instid1(VALU_DEP_1)
	v_lshlrev_b64 v[2:3], v2, v[18:19]
	v_and_b32_e32 v30, 7, v2
; %bb.193:                              ;   in Loop: Header=BB468_8 Depth=1
	s_or_b32 exec_lo, exec_lo, s21
	v_lshlrev_b32_e32 v0, 24, v0
	s_delay_alu instid0(VALU_DEP_2) | instskip(SKIP_1) | instid1(VALU_DEP_3)
	v_lshlrev_b32_e32 v2, 20, v30
	v_lshl_add_u32 v1, v1, 23, 0x3c000000
	v_and_b32_e32 v0, 0x80000000, v0
	s_delay_alu instid0(VALU_DEP_1)
	v_or3_b32 v1, v2, v0, v1
.LBB468_194:                            ;   in Loop: Header=BB468_8 Depth=1
	s_or_b32 exec_lo, exec_lo, s19
.LBB468_195:                            ;   in Loop: Header=BB468_8 Depth=1
	s_delay_alu instid0(SALU_CYCLE_1)
	s_or_b32 exec_lo, exec_lo, s17
.LBB468_196:                            ;   in Loop: Header=BB468_8 Depth=1
	s_delay_alu instid0(SALU_CYCLE_1) | instskip(NEXT) | instid1(VALU_DEP_1)
	s_or_b32 exec_lo, exec_lo, s3
	v_mul_f32_e32 v0, v79, v1
	s_delay_alu instid0(VALU_DEP_1) | instskip(NEXT) | instid1(VALU_DEP_1)
	v_and_b32_e32 v1, 0x7f800000, v0
	v_cmp_ne_u32_e64 s2, 0x7f800000, v1
                                        ; implicit-def: $vgpr1
                                        ; kill: killed $vgpr1
	s_delay_alu instid0(VALU_DEP_1) | instskip(NEXT) | instid1(SALU_CYCLE_1)
	s_and_saveexec_b32 s3, s2
	s_xor_b32 s2, exec_lo, s3
	s_cbranch_execz .LBB468_198
; %bb.197:                              ;   in Loop: Header=BB468_8 Depth=1
	v_bfe_u32 v1, v0, 16, 1
	s_delay_alu instid0(VALU_DEP_1)
	v_add3_u32 v0, v0, v1, 0x7fff
	scratch_store_b32 off, v0, s32 offset:376 ; 4-byte Folded Spill
                                        ; implicit-def: $vgpr0
.LBB468_198:                            ;   in Loop: Header=BB468_8 Depth=1
	s_and_not1_saveexec_b32 s3, s2
	s_cbranch_execz .LBB468_200
; %bb.199:                              ;   in Loop: Header=BB468_8 Depth=1
	v_and_b32_e32 v1, 0xffff, v0
	v_or_b32_e32 v2, 0x10000, v0
	s_delay_alu instid0(VALU_DEP_2) | instskip(NEXT) | instid1(VALU_DEP_1)
	v_cmp_eq_u32_e64 s2, 0, v1
	v_cndmask_b32_e64 v0, v2, v0, s2
	scratch_store_b32 off, v0, s32 offset:376 ; 4-byte Folded Spill
.LBB468_200:                            ;   in Loop: Header=BB468_8 Depth=1
	s_or_b32 exec_lo, exec_lo, s3
	flat_load_b64 v[30:31], v[28:29] offset:512
	s_mov_b32 s3, exec_lo
	s_waitcnt vmcnt(0) lgkmcnt(0)
	v_dual_mov_b32 v0, 0 :: v_dual_and_b32 v1, 0xff, v30
	s_delay_alu instid0(VALU_DEP_1)
	v_cmpx_ne_u16_e32 0, v1
	s_cbranch_execz .LBB468_208
; %bb.201:                              ;   in Loop: Header=BB468_8 Depth=1
	v_bfrev_b32_e32 v0, 1
	s_mov_b32 s17, exec_lo
	v_cmpx_ne_u16_e32 0x80, v1
	s_cbranch_execz .LBB468_207
; %bb.202:                              ;   in Loop: Header=BB468_8 Depth=1
	v_and_b32_e32 v1, 0x7f, v30
	v_mov_b32_e32 v0, 0x7f800001
	s_mov_b32 s19, exec_lo
	s_delay_alu instid0(VALU_DEP_2)
	v_cmpx_ne_u32_e32 0x7f, v1
	s_cbranch_execz .LBB468_206
; %bb.203:                              ;   in Loop: Header=BB468_8 Depth=1
	v_lshrrev_b32_e32 v0, 3, v1
	v_dual_mov_b32 v33, v31 :: v_dual_mov_b32 v32, v30
	s_mov_b32 s21, exec_lo
	v_cmpx_gt_u32_e32 8, v1
; %bb.204:                              ;   in Loop: Header=BB468_8 Depth=1
	v_and_b32_e32 v0, 7, v30
	s_delay_alu instid0(VALU_DEP_1) | instskip(NEXT) | instid1(VALU_DEP_1)
	v_clz_i32_u32_e32 v0, v0
	v_min_u32_e32 v0, 32, v0
	s_delay_alu instid0(VALU_DEP_1) | instskip(SKIP_1) | instid1(VALU_DEP_2)
	v_subrev_nc_u32_e32 v1, 28, v0
	v_sub_nc_u32_e32 v0, 29, v0
	v_lshlrev_b64 v[32:33], v1, v[30:31]
; %bb.205:                              ;   in Loop: Header=BB468_8 Depth=1
	s_or_b32 exec_lo, exec_lo, s21
	s_delay_alu instid0(VALU_DEP_1) | instskip(SKIP_2) | instid1(VALU_DEP_3)
	v_lshlrev_b32_e32 v1, 20, v32
	v_lshlrev_b32_e32 v2, 24, v30
	v_lshl_add_u32 v0, v0, 23, 0x3c000000
	v_and_b32_e32 v1, 0x700000, v1
	s_delay_alu instid0(VALU_DEP_3) | instskip(NEXT) | instid1(VALU_DEP_1)
	v_and_b32_e32 v2, 0x80000000, v2
	v_or3_b32 v0, v1, v2, v0
.LBB468_206:                            ;   in Loop: Header=BB468_8 Depth=1
	s_or_b32 exec_lo, exec_lo, s19
.LBB468_207:                            ;   in Loop: Header=BB468_8 Depth=1
	s_delay_alu instid0(SALU_CYCLE_1)
	s_or_b32 exec_lo, exec_lo, s17
.LBB468_208:                            ;   in Loop: Header=BB468_8 Depth=1
	s_delay_alu instid0(SALU_CYCLE_1) | instskip(NEXT) | instid1(VALU_DEP_1)
	s_or_b32 exec_lo, exec_lo, s3
	v_mul_f32_e32 v0, v79, v0
	s_delay_alu instid0(VALU_DEP_1) | instskip(NEXT) | instid1(VALU_DEP_1)
	v_and_b32_e32 v1, 0x7f800000, v0
	v_cmp_ne_u32_e64 s2, 0x7f800000, v1
                                        ; implicit-def: $vgpr1
                                        ; kill: killed $vgpr1
	s_delay_alu instid0(VALU_DEP_1) | instskip(NEXT) | instid1(SALU_CYCLE_1)
	s_and_saveexec_b32 s3, s2
	s_xor_b32 s2, exec_lo, s3
	s_cbranch_execz .LBB468_210
; %bb.209:                              ;   in Loop: Header=BB468_8 Depth=1
	v_bfe_u32 v1, v0, 16, 1
	s_delay_alu instid0(VALU_DEP_1)
	v_add3_u32 v0, v0, v1, 0x7fff
	scratch_store_b32 off, v0, s32 offset:380 ; 4-byte Folded Spill
                                        ; implicit-def: $vgpr0
.LBB468_210:                            ;   in Loop: Header=BB468_8 Depth=1
	s_and_not1_saveexec_b32 s3, s2
	s_cbranch_execz .LBB468_212
; %bb.211:                              ;   in Loop: Header=BB468_8 Depth=1
	v_and_b32_e32 v1, 0xffff, v0
	v_or_b32_e32 v2, 0x10000, v0
	s_delay_alu instid0(VALU_DEP_2) | instskip(NEXT) | instid1(VALU_DEP_1)
	v_cmp_eq_u32_e64 s2, 0, v1
	v_cndmask_b32_e64 v0, v2, v0, s2
	scratch_store_b32 off, v0, s32 offset:380 ; 4-byte Folded Spill
.LBB468_212:                            ;   in Loop: Header=BB468_8 Depth=1
	s_or_b32 exec_lo, exec_lo, s3
	v_lshrrev_b16 v1, 8, v30
	v_mov_b32_e32 v0, 0
	s_mov_b32 s3, exec_lo
	s_delay_alu instid0(VALU_DEP_2)
	v_cmpx_ne_u16_e32 0, v1
	s_cbranch_execz .LBB468_220
; %bb.213:                              ;   in Loop: Header=BB468_8 Depth=1
	v_bfrev_b32_e32 v0, 1
	s_mov_b32 s17, exec_lo
	v_cmpx_ne_u16_e32 0x80, v1
	s_cbranch_execz .LBB468_219
; %bb.214:                              ;   in Loop: Header=BB468_8 Depth=1
	v_and_b32_e32 v2, 0xffff, v1
	v_mov_b32_e32 v0, 0x7f800001
	s_mov_b32 s19, exec_lo
	s_delay_alu instid0(VALU_DEP_2) | instskip(NEXT) | instid1(VALU_DEP_1)
	v_and_b32_e32 v1, 0x7f, v2
	v_cmpx_ne_u32_e32 0x7f, v1
	s_cbranch_execz .LBB468_218
; %bb.215:                              ;   in Loop: Header=BB468_8 Depth=1
	v_and_b32_e32 v18, 7, v2
	v_lshrrev_b32_e32 v0, 3, v1
	v_mov_b32_e32 v33, v19
	s_mov_b32 s21, exec_lo
	s_delay_alu instid0(VALU_DEP_3)
	v_mov_b32_e32 v32, v18
	v_cmpx_gt_u32_e32 8, v1
; %bb.216:                              ;   in Loop: Header=BB468_8 Depth=1
	v_clz_i32_u32_e32 v0, v18
	s_delay_alu instid0(VALU_DEP_1) | instskip(NEXT) | instid1(VALU_DEP_1)
	v_min_u32_e32 v0, 32, v0
	v_subrev_nc_u32_e32 v1, 28, v0
	v_sub_nc_u32_e32 v0, 29, v0
	s_delay_alu instid0(VALU_DEP_2) | instskip(NEXT) | instid1(VALU_DEP_1)
	v_lshlrev_b64 v[1:2], v1, v[18:19]
	v_and_b32_e32 v32, 7, v1
; %bb.217:                              ;   in Loop: Header=BB468_8 Depth=1
	s_or_b32 exec_lo, exec_lo, s21
	v_lshlrev_b32_e32 v1, 16, v30
	s_delay_alu instid0(VALU_DEP_2) | instskip(SKIP_1) | instid1(VALU_DEP_3)
	v_lshlrev_b32_e32 v2, 20, v32
	v_lshl_add_u32 v0, v0, 23, 0x3c000000
	v_and_b32_e32 v1, 0x80000000, v1
	s_delay_alu instid0(VALU_DEP_1)
	v_or3_b32 v0, v2, v1, v0
.LBB468_218:                            ;   in Loop: Header=BB468_8 Depth=1
	s_or_b32 exec_lo, exec_lo, s19
.LBB468_219:                            ;   in Loop: Header=BB468_8 Depth=1
	s_delay_alu instid0(SALU_CYCLE_1)
	s_or_b32 exec_lo, exec_lo, s17
.LBB468_220:                            ;   in Loop: Header=BB468_8 Depth=1
	s_delay_alu instid0(SALU_CYCLE_1) | instskip(NEXT) | instid1(VALU_DEP_1)
	s_or_b32 exec_lo, exec_lo, s3
	v_mul_f32_e32 v0, v79, v0
	s_delay_alu instid0(VALU_DEP_1) | instskip(NEXT) | instid1(VALU_DEP_1)
	v_and_b32_e32 v1, 0x7f800000, v0
	v_cmp_ne_u32_e64 s2, 0x7f800000, v1
                                        ; implicit-def: $vgpr1
                                        ; kill: killed $vgpr1
	s_delay_alu instid0(VALU_DEP_1) | instskip(NEXT) | instid1(SALU_CYCLE_1)
	s_and_saveexec_b32 s3, s2
	s_xor_b32 s2, exec_lo, s3
	s_cbranch_execz .LBB468_222
; %bb.221:                              ;   in Loop: Header=BB468_8 Depth=1
	v_bfe_u32 v1, v0, 16, 1
	s_delay_alu instid0(VALU_DEP_1)
	v_add3_u32 v0, v0, v1, 0x7fff
	scratch_store_b32 off, v0, s32 offset:384 ; 4-byte Folded Spill
                                        ; implicit-def: $vgpr0
.LBB468_222:                            ;   in Loop: Header=BB468_8 Depth=1
	s_and_not1_saveexec_b32 s3, s2
	s_cbranch_execz .LBB468_224
; %bb.223:                              ;   in Loop: Header=BB468_8 Depth=1
	v_and_b32_e32 v1, 0xffff, v0
	v_or_b32_e32 v2, 0x10000, v0
	s_delay_alu instid0(VALU_DEP_2) | instskip(NEXT) | instid1(VALU_DEP_1)
	v_cmp_eq_u32_e64 s2, 0, v1
	v_cndmask_b32_e64 v0, v2, v0, s2
	scratch_store_b32 off, v0, s32 offset:384 ; 4-byte Folded Spill
.LBB468_224:                            ;   in Loop: Header=BB468_8 Depth=1
	s_or_b32 exec_lo, exec_lo, s3
	v_lshrrev_b32_e32 v0, 16, v30
	s_mov_b32 s3, exec_lo
	s_delay_alu instid0(VALU_DEP_1) | instskip(NEXT) | instid1(VALU_DEP_1)
	v_dual_mov_b32 v1, 0 :: v_dual_and_b32 v2, 0xff, v0
	v_cmpx_ne_u16_e32 0, v2
	s_cbranch_execz .LBB468_232
; %bb.225:                              ;   in Loop: Header=BB468_8 Depth=1
	v_bfrev_b32_e32 v1, 1
	s_mov_b32 s17, exec_lo
	v_cmpx_ne_u16_e32 0x80, v2
	s_cbranch_execz .LBB468_231
; %bb.226:                              ;   in Loop: Header=BB468_8 Depth=1
	v_bfe_u32 v2, v30, 16, 7
	v_mov_b32_e32 v1, 0x7f800001
	s_mov_b32 s19, exec_lo
	s_delay_alu instid0(VALU_DEP_2)
	v_cmpx_ne_u32_e32 0x7f, v2
	s_cbranch_execz .LBB468_230
; %bb.227:                              ;   in Loop: Header=BB468_8 Depth=1
	v_and_b32_e32 v18, 7, v0
	v_lshrrev_b32_e32 v1, 3, v2
	v_mov_b32_e32 v33, v19
	s_mov_b32 s21, exec_lo
	s_delay_alu instid0(VALU_DEP_3)
	v_mov_b32_e32 v32, v18
	v_cmpx_gt_u32_e32 8, v2
; %bb.228:                              ;   in Loop: Header=BB468_8 Depth=1
	v_clz_i32_u32_e32 v1, v18
	s_delay_alu instid0(VALU_DEP_1) | instskip(NEXT) | instid1(VALU_DEP_1)
	v_min_u32_e32 v1, 32, v1
	v_subrev_nc_u32_e32 v2, 28, v1
	v_sub_nc_u32_e32 v1, 29, v1
	s_delay_alu instid0(VALU_DEP_2) | instskip(NEXT) | instid1(VALU_DEP_1)
	v_lshlrev_b64 v[2:3], v2, v[18:19]
	v_and_b32_e32 v32, 7, v2
; %bb.229:                              ;   in Loop: Header=BB468_8 Depth=1
	s_or_b32 exec_lo, exec_lo, s21
	v_lshlrev_b32_e32 v0, 24, v0
	s_delay_alu instid0(VALU_DEP_2) | instskip(SKIP_1) | instid1(VALU_DEP_3)
	v_lshlrev_b32_e32 v2, 20, v32
	v_lshl_add_u32 v1, v1, 23, 0x3c000000
	v_and_b32_e32 v0, 0x80000000, v0
	s_delay_alu instid0(VALU_DEP_1)
	v_or3_b32 v1, v2, v0, v1
.LBB468_230:                            ;   in Loop: Header=BB468_8 Depth=1
	s_or_b32 exec_lo, exec_lo, s19
.LBB468_231:                            ;   in Loop: Header=BB468_8 Depth=1
	s_delay_alu instid0(SALU_CYCLE_1)
	s_or_b32 exec_lo, exec_lo, s17
.LBB468_232:                            ;   in Loop: Header=BB468_8 Depth=1
	s_delay_alu instid0(SALU_CYCLE_1) | instskip(NEXT) | instid1(VALU_DEP_1)
	s_or_b32 exec_lo, exec_lo, s3
	v_mul_f32_e32 v0, v79, v1
	s_delay_alu instid0(VALU_DEP_1) | instskip(NEXT) | instid1(VALU_DEP_1)
	v_and_b32_e32 v1, 0x7f800000, v0
	v_cmp_ne_u32_e64 s2, 0x7f800000, v1
                                        ; implicit-def: $vgpr1
                                        ; kill: killed $vgpr1
	s_delay_alu instid0(VALU_DEP_1) | instskip(NEXT) | instid1(SALU_CYCLE_1)
	s_and_saveexec_b32 s3, s2
	s_xor_b32 s2, exec_lo, s3
	s_cbranch_execz .LBB468_234
; %bb.233:                              ;   in Loop: Header=BB468_8 Depth=1
	v_bfe_u32 v1, v0, 16, 1
	s_delay_alu instid0(VALU_DEP_1)
	v_add3_u32 v0, v0, v1, 0x7fff
	scratch_store_b32 off, v0, s32 offset:388 ; 4-byte Folded Spill
                                        ; implicit-def: $vgpr0
.LBB468_234:                            ;   in Loop: Header=BB468_8 Depth=1
	s_and_not1_saveexec_b32 s3, s2
	s_cbranch_execz .LBB468_236
; %bb.235:                              ;   in Loop: Header=BB468_8 Depth=1
	v_and_b32_e32 v1, 0xffff, v0
	v_or_b32_e32 v2, 0x10000, v0
	s_delay_alu instid0(VALU_DEP_2) | instskip(NEXT) | instid1(VALU_DEP_1)
	v_cmp_eq_u32_e64 s2, 0, v1
	v_cndmask_b32_e64 v0, v2, v0, s2
	scratch_store_b32 off, v0, s32 offset:388 ; 4-byte Folded Spill
.LBB468_236:                            ;   in Loop: Header=BB468_8 Depth=1
	s_or_b32 exec_lo, exec_lo, s3
	v_mov_b32_e32 v1, 0
	s_mov_b32 s3, exec_lo
	v_cmpx_lt_u32_e32 0xffffff, v30
	s_cbranch_execz .LBB468_244
; %bb.237:                              ;   in Loop: Header=BB468_8 Depth=1
	v_lshrrev_b32_e32 v0, 24, v30
	v_bfrev_b32_e32 v1, 1
	s_mov_b32 s17, exec_lo
	s_delay_alu instid0(VALU_DEP_2)
	v_cmpx_ne_u32_e32 0x80, v0
	s_cbranch_execz .LBB468_243
; %bb.238:                              ;   in Loop: Header=BB468_8 Depth=1
	v_bfe_u32 v2, v30, 24, 7
	v_mov_b32_e32 v1, 0x7f800001
	s_mov_b32 s19, exec_lo
	s_delay_alu instid0(VALU_DEP_2)
	v_cmpx_ne_u32_e32 0x7f, v2
	s_cbranch_execz .LBB468_242
; %bb.239:                              ;   in Loop: Header=BB468_8 Depth=1
	v_and_b32_e32 v18, 7, v0
	v_lshrrev_b32_e32 v1, 3, v2
	v_mov_b32_e32 v33, v19
	s_mov_b32 s21, exec_lo
	s_delay_alu instid0(VALU_DEP_3)
	v_mov_b32_e32 v32, v18
	v_cmpx_gt_u32_e32 8, v2
; %bb.240:                              ;   in Loop: Header=BB468_8 Depth=1
	v_clz_i32_u32_e32 v1, v18
	s_delay_alu instid0(VALU_DEP_1) | instskip(NEXT) | instid1(VALU_DEP_1)
	v_min_u32_e32 v1, 32, v1
	v_subrev_nc_u32_e32 v2, 28, v1
	v_sub_nc_u32_e32 v1, 29, v1
	s_delay_alu instid0(VALU_DEP_2) | instskip(NEXT) | instid1(VALU_DEP_1)
	v_lshlrev_b64 v[2:3], v2, v[18:19]
	v_and_b32_e32 v32, 7, v2
; %bb.241:                              ;   in Loop: Header=BB468_8 Depth=1
	s_or_b32 exec_lo, exec_lo, s21
	v_lshlrev_b32_e32 v0, 24, v0
	s_delay_alu instid0(VALU_DEP_2) | instskip(SKIP_1) | instid1(VALU_DEP_3)
	v_lshlrev_b32_e32 v2, 20, v32
	v_lshl_add_u32 v1, v1, 23, 0x3c000000
	v_and_b32_e32 v0, 0x80000000, v0
	s_delay_alu instid0(VALU_DEP_1)
	v_or3_b32 v1, v2, v0, v1
.LBB468_242:                            ;   in Loop: Header=BB468_8 Depth=1
	s_or_b32 exec_lo, exec_lo, s19
.LBB468_243:                            ;   in Loop: Header=BB468_8 Depth=1
	s_delay_alu instid0(SALU_CYCLE_1)
	s_or_b32 exec_lo, exec_lo, s17
.LBB468_244:                            ;   in Loop: Header=BB468_8 Depth=1
	s_delay_alu instid0(SALU_CYCLE_1) | instskip(NEXT) | instid1(VALU_DEP_1)
	s_or_b32 exec_lo, exec_lo, s3
	v_mul_f32_e32 v0, v79, v1
	s_delay_alu instid0(VALU_DEP_1) | instskip(NEXT) | instid1(VALU_DEP_1)
	v_and_b32_e32 v1, 0x7f800000, v0
	v_cmp_ne_u32_e64 s2, 0x7f800000, v1
                                        ; implicit-def: $vgpr1
                                        ; kill: killed $vgpr1
	s_delay_alu instid0(VALU_DEP_1) | instskip(NEXT) | instid1(SALU_CYCLE_1)
	s_and_saveexec_b32 s3, s2
	s_xor_b32 s2, exec_lo, s3
	s_cbranch_execz .LBB468_246
; %bb.245:                              ;   in Loop: Header=BB468_8 Depth=1
	v_bfe_u32 v1, v0, 16, 1
	s_delay_alu instid0(VALU_DEP_1)
	v_add3_u32 v0, v0, v1, 0x7fff
	scratch_store_b32 off, v0, s32 offset:392 ; 4-byte Folded Spill
                                        ; implicit-def: $vgpr0
.LBB468_246:                            ;   in Loop: Header=BB468_8 Depth=1
	s_and_not1_saveexec_b32 s3, s2
	s_cbranch_execz .LBB468_248
; %bb.247:                              ;   in Loop: Header=BB468_8 Depth=1
	v_and_b32_e32 v1, 0xffff, v0
	v_or_b32_e32 v2, 0x10000, v0
	s_delay_alu instid0(VALU_DEP_2) | instskip(NEXT) | instid1(VALU_DEP_1)
	v_cmp_eq_u32_e64 s2, 0, v1
	v_cndmask_b32_e64 v0, v2, v0, s2
	scratch_store_b32 off, v0, s32 offset:392 ; 4-byte Folded Spill
.LBB468_248:                            ;   in Loop: Header=BB468_8 Depth=1
	s_or_b32 exec_lo, exec_lo, s3
	v_dual_mov_b32 v18, v31 :: v_dual_and_b32 v1, 0xff, v31
	v_mov_b32_e32 v0, 0
	s_mov_b32 s3, exec_lo
	s_delay_alu instid0(VALU_DEP_2)
	v_cmpx_ne_u16_e32 0, v1
	s_cbranch_execz .LBB468_256
; %bb.249:                              ;   in Loop: Header=BB468_8 Depth=1
	v_bfrev_b32_e32 v0, 1
	s_mov_b32 s17, exec_lo
	v_cmpx_ne_u16_e32 0x80, v1
	s_cbranch_execz .LBB468_255
; %bb.250:                              ;   in Loop: Header=BB468_8 Depth=1
	v_and_b32_e32 v1, 0x7f, v31
	v_mov_b32_e32 v0, 0x7f800001
	s_mov_b32 s19, exec_lo
	s_delay_alu instid0(VALU_DEP_2)
	v_cmpx_ne_u32_e32 0x7f, v1
	s_cbranch_execz .LBB468_254
; %bb.251:                              ;   in Loop: Header=BB468_8 Depth=1
	v_lshrrev_b32_e32 v0, 3, v1
	v_dual_mov_b32 v33, v19 :: v_dual_mov_b32 v32, v18
	s_mov_b32 s21, exec_lo
	v_cmpx_gt_u32_e32 8, v1
; %bb.252:                              ;   in Loop: Header=BB468_8 Depth=1
	v_and_b32_e32 v0, 7, v31
	s_delay_alu instid0(VALU_DEP_1) | instskip(NEXT) | instid1(VALU_DEP_1)
	v_clz_i32_u32_e32 v0, v0
	v_min_u32_e32 v0, 32, v0
	s_delay_alu instid0(VALU_DEP_1) | instskip(SKIP_1) | instid1(VALU_DEP_2)
	v_subrev_nc_u32_e32 v1, 28, v0
	v_sub_nc_u32_e32 v0, 29, v0
	v_lshlrev_b64 v[32:33], v1, v[18:19]
; %bb.253:                              ;   in Loop: Header=BB468_8 Depth=1
	s_or_b32 exec_lo, exec_lo, s21
	s_delay_alu instid0(VALU_DEP_1) | instskip(SKIP_2) | instid1(VALU_DEP_3)
	v_lshlrev_b32_e32 v1, 20, v32
	v_lshlrev_b32_e32 v2, 24, v18
	v_lshl_add_u32 v0, v0, 23, 0x3c000000
	v_and_b32_e32 v1, 0x700000, v1
	s_delay_alu instid0(VALU_DEP_3) | instskip(NEXT) | instid1(VALU_DEP_1)
	v_and_b32_e32 v2, 0x80000000, v2
	v_or3_b32 v0, v1, v2, v0
.LBB468_254:                            ;   in Loop: Header=BB468_8 Depth=1
	s_or_b32 exec_lo, exec_lo, s19
.LBB468_255:                            ;   in Loop: Header=BB468_8 Depth=1
	s_delay_alu instid0(SALU_CYCLE_1)
	s_or_b32 exec_lo, exec_lo, s17
.LBB468_256:                            ;   in Loop: Header=BB468_8 Depth=1
	s_delay_alu instid0(SALU_CYCLE_1) | instskip(NEXT) | instid1(VALU_DEP_1)
	s_or_b32 exec_lo, exec_lo, s3
	v_mul_f32_e32 v0, v79, v0
	s_delay_alu instid0(VALU_DEP_1) | instskip(NEXT) | instid1(VALU_DEP_1)
	v_and_b32_e32 v1, 0x7f800000, v0
	v_cmp_ne_u32_e64 s2, 0x7f800000, v1
                                        ; implicit-def: $vgpr1
                                        ; kill: killed $vgpr1
	s_delay_alu instid0(VALU_DEP_1) | instskip(NEXT) | instid1(SALU_CYCLE_1)
	s_and_saveexec_b32 s3, s2
	s_xor_b32 s2, exec_lo, s3
	s_cbranch_execz .LBB468_258
; %bb.257:                              ;   in Loop: Header=BB468_8 Depth=1
	v_bfe_u32 v1, v0, 16, 1
	s_delay_alu instid0(VALU_DEP_1)
	v_add3_u32 v0, v0, v1, 0x7fff
	scratch_store_b32 off, v0, s32 offset:396 ; 4-byte Folded Spill
                                        ; implicit-def: $vgpr0
.LBB468_258:                            ;   in Loop: Header=BB468_8 Depth=1
	s_and_not1_saveexec_b32 s3, s2
	s_cbranch_execz .LBB468_260
; %bb.259:                              ;   in Loop: Header=BB468_8 Depth=1
	v_and_b32_e32 v1, 0xffff, v0
	v_or_b32_e32 v2, 0x10000, v0
	s_delay_alu instid0(VALU_DEP_2) | instskip(NEXT) | instid1(VALU_DEP_1)
	v_cmp_eq_u32_e64 s2, 0, v1
	v_cndmask_b32_e64 v0, v2, v0, s2
	scratch_store_b32 off, v0, s32 offset:396 ; 4-byte Folded Spill
.LBB468_260:                            ;   in Loop: Header=BB468_8 Depth=1
	s_or_b32 exec_lo, exec_lo, s3
	v_lshrrev_b16 v1, 8, v18
	v_mov_b32_e32 v0, 0
	s_mov_b32 s3, exec_lo
	s_delay_alu instid0(VALU_DEP_2)
	v_cmpx_ne_u16_e32 0, v1
	s_cbranch_execz .LBB468_268
; %bb.261:                              ;   in Loop: Header=BB468_8 Depth=1
	v_bfrev_b32_e32 v0, 1
	s_mov_b32 s17, exec_lo
	v_cmpx_ne_u16_e32 0x80, v1
	s_cbranch_execz .LBB468_267
; %bb.262:                              ;   in Loop: Header=BB468_8 Depth=1
	v_and_b32_e32 v2, 0xffff, v1
	v_mov_b32_e32 v0, 0x7f800001
	s_mov_b32 s19, exec_lo
	s_delay_alu instid0(VALU_DEP_2) | instskip(NEXT) | instid1(VALU_DEP_1)
	v_and_b32_e32 v1, 0x7f, v2
	v_cmpx_ne_u32_e32 0x7f, v1
	s_cbranch_execz .LBB468_266
; %bb.263:                              ;   in Loop: Header=BB468_8 Depth=1
	v_dual_mov_b32 v33, v19 :: v_dual_and_b32 v32, 7, v2
	v_lshrrev_b32_e32 v0, 3, v1
	s_mov_b32 s21, exec_lo
	v_cmpx_gt_u32_e32 8, v1
; %bb.264:                              ;   in Loop: Header=BB468_8 Depth=1
	s_delay_alu instid0(VALU_DEP_3) | instskip(NEXT) | instid1(VALU_DEP_1)
	v_clz_i32_u32_e32 v0, v32
	v_min_u32_e32 v0, 32, v0
	s_delay_alu instid0(VALU_DEP_1) | instskip(SKIP_1) | instid1(VALU_DEP_2)
	v_subrev_nc_u32_e32 v1, 28, v0
	v_sub_nc_u32_e32 v0, 29, v0
	v_lshlrev_b64 v[1:2], v1, v[32:33]
	s_delay_alu instid0(VALU_DEP_1)
	v_and_b32_e32 v32, 7, v1
; %bb.265:                              ;   in Loop: Header=BB468_8 Depth=1
	s_or_b32 exec_lo, exec_lo, s21
	v_lshlrev_b32_e32 v1, 16, v18
	s_delay_alu instid0(VALU_DEP_2) | instskip(SKIP_1) | instid1(VALU_DEP_3)
	v_lshlrev_b32_e32 v2, 20, v32
	v_lshl_add_u32 v0, v0, 23, 0x3c000000
	v_and_b32_e32 v1, 0x80000000, v1
	s_delay_alu instid0(VALU_DEP_1)
	v_or3_b32 v0, v2, v1, v0
.LBB468_266:                            ;   in Loop: Header=BB468_8 Depth=1
	s_or_b32 exec_lo, exec_lo, s19
.LBB468_267:                            ;   in Loop: Header=BB468_8 Depth=1
	s_delay_alu instid0(SALU_CYCLE_1)
	s_or_b32 exec_lo, exec_lo, s17
.LBB468_268:                            ;   in Loop: Header=BB468_8 Depth=1
	s_delay_alu instid0(SALU_CYCLE_1) | instskip(NEXT) | instid1(VALU_DEP_1)
	s_or_b32 exec_lo, exec_lo, s3
	v_mul_f32_e32 v0, v79, v0
	s_delay_alu instid0(VALU_DEP_1) | instskip(NEXT) | instid1(VALU_DEP_1)
	v_and_b32_e32 v1, 0x7f800000, v0
	v_cmp_ne_u32_e64 s2, 0x7f800000, v1
                                        ; implicit-def: $vgpr1
                                        ; kill: killed $vgpr1
	s_delay_alu instid0(VALU_DEP_1) | instskip(NEXT) | instid1(SALU_CYCLE_1)
	s_and_saveexec_b32 s3, s2
	s_xor_b32 s2, exec_lo, s3
	s_cbranch_execz .LBB468_270
; %bb.269:                              ;   in Loop: Header=BB468_8 Depth=1
	v_bfe_u32 v1, v0, 16, 1
	s_delay_alu instid0(VALU_DEP_1)
	v_add3_u32 v0, v0, v1, 0x7fff
	scratch_store_b32 off, v0, s32 offset:400 ; 4-byte Folded Spill
                                        ; implicit-def: $vgpr0
.LBB468_270:                            ;   in Loop: Header=BB468_8 Depth=1
	s_and_not1_saveexec_b32 s3, s2
	s_cbranch_execz .LBB468_272
; %bb.271:                              ;   in Loop: Header=BB468_8 Depth=1
	v_and_b32_e32 v1, 0xffff, v0
	v_or_b32_e32 v2, 0x10000, v0
	s_delay_alu instid0(VALU_DEP_2) | instskip(NEXT) | instid1(VALU_DEP_1)
	v_cmp_eq_u32_e64 s2, 0, v1
	v_cndmask_b32_e64 v0, v2, v0, s2
	scratch_store_b32 off, v0, s32 offset:400 ; 4-byte Folded Spill
.LBB468_272:                            ;   in Loop: Header=BB468_8 Depth=1
	s_or_b32 exec_lo, exec_lo, s3
	v_lshrrev_b32_e32 v0, 16, v31
	s_mov_b32 s3, exec_lo
	s_delay_alu instid0(VALU_DEP_1) | instskip(NEXT) | instid1(VALU_DEP_1)
	v_dual_mov_b32 v1, 0 :: v_dual_and_b32 v2, 0xff, v0
	v_cmpx_ne_u16_e32 0, v2
	s_cbranch_execz .LBB468_280
; %bb.273:                              ;   in Loop: Header=BB468_8 Depth=1
	v_bfrev_b32_e32 v1, 1
	s_mov_b32 s17, exec_lo
	v_cmpx_ne_u16_e32 0x80, v2
	s_cbranch_execz .LBB468_279
; %bb.274:                              ;   in Loop: Header=BB468_8 Depth=1
	v_bfe_u32 v2, v31, 16, 7
	v_mov_b32_e32 v1, 0x7f800001
	s_mov_b32 s19, exec_lo
	s_delay_alu instid0(VALU_DEP_2)
	v_cmpx_ne_u32_e32 0x7f, v2
	s_cbranch_execz .LBB468_278
; %bb.275:                              ;   in Loop: Header=BB468_8 Depth=1
	v_and_b32_e32 v18, 7, v0
	v_lshrrev_b32_e32 v1, 3, v2
	v_mov_b32_e32 v33, v19
	s_mov_b32 s21, exec_lo
	s_delay_alu instid0(VALU_DEP_3)
	v_mov_b32_e32 v32, v18
	v_cmpx_gt_u32_e32 8, v2
; %bb.276:                              ;   in Loop: Header=BB468_8 Depth=1
	v_clz_i32_u32_e32 v1, v18
	s_delay_alu instid0(VALU_DEP_1) | instskip(NEXT) | instid1(VALU_DEP_1)
	v_min_u32_e32 v1, 32, v1
	v_subrev_nc_u32_e32 v2, 28, v1
	v_sub_nc_u32_e32 v1, 29, v1
	s_delay_alu instid0(VALU_DEP_2) | instskip(NEXT) | instid1(VALU_DEP_1)
	v_lshlrev_b64 v[2:3], v2, v[18:19]
	v_and_b32_e32 v32, 7, v2
; %bb.277:                              ;   in Loop: Header=BB468_8 Depth=1
	s_or_b32 exec_lo, exec_lo, s21
	v_lshlrev_b32_e32 v0, 24, v0
	s_delay_alu instid0(VALU_DEP_2) | instskip(SKIP_1) | instid1(VALU_DEP_3)
	v_lshlrev_b32_e32 v2, 20, v32
	v_lshl_add_u32 v1, v1, 23, 0x3c000000
	v_and_b32_e32 v0, 0x80000000, v0
	s_delay_alu instid0(VALU_DEP_1)
	v_or3_b32 v1, v2, v0, v1
.LBB468_278:                            ;   in Loop: Header=BB468_8 Depth=1
	s_or_b32 exec_lo, exec_lo, s19
.LBB468_279:                            ;   in Loop: Header=BB468_8 Depth=1
	s_delay_alu instid0(SALU_CYCLE_1)
	s_or_b32 exec_lo, exec_lo, s17
.LBB468_280:                            ;   in Loop: Header=BB468_8 Depth=1
	s_delay_alu instid0(SALU_CYCLE_1) | instskip(NEXT) | instid1(VALU_DEP_1)
	s_or_b32 exec_lo, exec_lo, s3
	v_mul_f32_e32 v0, v79, v1
	s_delay_alu instid0(VALU_DEP_1) | instskip(NEXT) | instid1(VALU_DEP_1)
	v_and_b32_e32 v1, 0x7f800000, v0
	v_cmp_ne_u32_e64 s2, 0x7f800000, v1
                                        ; implicit-def: $vgpr1
                                        ; kill: killed $vgpr1
	s_delay_alu instid0(VALU_DEP_1) | instskip(NEXT) | instid1(SALU_CYCLE_1)
	s_and_saveexec_b32 s3, s2
	s_xor_b32 s2, exec_lo, s3
	s_cbranch_execz .LBB468_282
; %bb.281:                              ;   in Loop: Header=BB468_8 Depth=1
	v_bfe_u32 v1, v0, 16, 1
	s_delay_alu instid0(VALU_DEP_1)
	v_add3_u32 v0, v0, v1, 0x7fff
	scratch_store_b32 off, v0, s32 offset:404 ; 4-byte Folded Spill
                                        ; implicit-def: $vgpr0
.LBB468_282:                            ;   in Loop: Header=BB468_8 Depth=1
	s_and_not1_saveexec_b32 s3, s2
	s_cbranch_execz .LBB468_284
; %bb.283:                              ;   in Loop: Header=BB468_8 Depth=1
	v_and_b32_e32 v1, 0xffff, v0
	v_or_b32_e32 v2, 0x10000, v0
	s_delay_alu instid0(VALU_DEP_2) | instskip(NEXT) | instid1(VALU_DEP_1)
	v_cmp_eq_u32_e64 s2, 0, v1
	v_cndmask_b32_e64 v0, v2, v0, s2
	scratch_store_b32 off, v0, s32 offset:404 ; 4-byte Folded Spill
.LBB468_284:                            ;   in Loop: Header=BB468_8 Depth=1
	s_or_b32 exec_lo, exec_lo, s3
	v_mov_b32_e32 v1, 0
	s_mov_b32 s3, exec_lo
	v_cmpx_lt_u64_e64 s[4:5], v[30:31]
	s_cbranch_execz .LBB468_292
; %bb.285:                              ;   in Loop: Header=BB468_8 Depth=1
	v_lshrrev_b32_e32 v0, 24, v31
	v_bfrev_b32_e32 v1, 1
	s_mov_b32 s17, exec_lo
	s_delay_alu instid0(VALU_DEP_2)
	v_cmpx_ne_u32_e32 0x80, v0
	s_cbranch_execz .LBB468_291
; %bb.286:                              ;   in Loop: Header=BB468_8 Depth=1
	v_bfe_u32 v2, v31, 24, 7
	v_mov_b32_e32 v1, 0x7f800001
	s_mov_b32 s19, exec_lo
	s_delay_alu instid0(VALU_DEP_2)
	v_cmpx_ne_u32_e32 0x7f, v2
	s_cbranch_execz .LBB468_290
; %bb.287:                              ;   in Loop: Header=BB468_8 Depth=1
	v_and_b32_e32 v18, 7, v0
	v_lshrrev_b32_e32 v1, 3, v2
	v_mov_b32_e32 v31, v19
	s_mov_b32 s21, exec_lo
	s_delay_alu instid0(VALU_DEP_3)
	v_mov_b32_e32 v30, v18
	v_cmpx_gt_u32_e32 8, v2
; %bb.288:                              ;   in Loop: Header=BB468_8 Depth=1
	v_clz_i32_u32_e32 v1, v18
	s_delay_alu instid0(VALU_DEP_1) | instskip(NEXT) | instid1(VALU_DEP_1)
	v_min_u32_e32 v1, 32, v1
	v_subrev_nc_u32_e32 v2, 28, v1
	v_sub_nc_u32_e32 v1, 29, v1
	s_delay_alu instid0(VALU_DEP_2) | instskip(NEXT) | instid1(VALU_DEP_1)
	v_lshlrev_b64 v[2:3], v2, v[18:19]
	v_and_b32_e32 v30, 7, v2
; %bb.289:                              ;   in Loop: Header=BB468_8 Depth=1
	s_or_b32 exec_lo, exec_lo, s21
	v_lshlrev_b32_e32 v0, 24, v0
	s_delay_alu instid0(VALU_DEP_2) | instskip(SKIP_1) | instid1(VALU_DEP_3)
	v_lshlrev_b32_e32 v2, 20, v30
	v_lshl_add_u32 v1, v1, 23, 0x3c000000
	v_and_b32_e32 v0, 0x80000000, v0
	s_delay_alu instid0(VALU_DEP_1)
	v_or3_b32 v1, v2, v0, v1
.LBB468_290:                            ;   in Loop: Header=BB468_8 Depth=1
	s_or_b32 exec_lo, exec_lo, s19
.LBB468_291:                            ;   in Loop: Header=BB468_8 Depth=1
	s_delay_alu instid0(SALU_CYCLE_1)
	s_or_b32 exec_lo, exec_lo, s17
.LBB468_292:                            ;   in Loop: Header=BB468_8 Depth=1
	s_delay_alu instid0(SALU_CYCLE_1) | instskip(NEXT) | instid1(VALU_DEP_1)
	s_or_b32 exec_lo, exec_lo, s3
	v_mul_f32_e32 v0, v79, v1
	s_delay_alu instid0(VALU_DEP_1) | instskip(NEXT) | instid1(VALU_DEP_1)
	v_and_b32_e32 v1, 0x7f800000, v0
	v_cmp_ne_u32_e64 s2, 0x7f800000, v1
                                        ; implicit-def: $vgpr1
                                        ; kill: killed $vgpr1
	s_delay_alu instid0(VALU_DEP_1) | instskip(NEXT) | instid1(SALU_CYCLE_1)
	s_and_saveexec_b32 s3, s2
	s_xor_b32 s2, exec_lo, s3
	s_cbranch_execz .LBB468_294
; %bb.293:                              ;   in Loop: Header=BB468_8 Depth=1
	v_bfe_u32 v1, v0, 16, 1
	s_delay_alu instid0(VALU_DEP_1)
	v_add3_u32 v0, v0, v1, 0x7fff
	scratch_store_b32 off, v0, s32 offset:408 ; 4-byte Folded Spill
                                        ; implicit-def: $vgpr0
.LBB468_294:                            ;   in Loop: Header=BB468_8 Depth=1
	s_and_not1_saveexec_b32 s3, s2
	s_cbranch_execz .LBB468_296
; %bb.295:                              ;   in Loop: Header=BB468_8 Depth=1
	v_and_b32_e32 v1, 0xffff, v0
	v_or_b32_e32 v2, 0x10000, v0
	s_delay_alu instid0(VALU_DEP_2) | instskip(NEXT) | instid1(VALU_DEP_1)
	v_cmp_eq_u32_e64 s2, 0, v1
	v_cndmask_b32_e64 v0, v2, v0, s2
	scratch_store_b32 off, v0, s32 offset:408 ; 4-byte Folded Spill
.LBB468_296:                            ;   in Loop: Header=BB468_8 Depth=1
	s_or_b32 exec_lo, exec_lo, s3
	flat_load_b64 v[30:31], v[28:29] offset:520
	s_mov_b32 s3, exec_lo
	s_waitcnt vmcnt(0) lgkmcnt(0)
	v_dual_mov_b32 v0, 0 :: v_dual_and_b32 v1, 0xff, v30
	s_delay_alu instid0(VALU_DEP_1)
	v_cmpx_ne_u16_e32 0, v1
	s_cbranch_execz .LBB468_304
; %bb.297:                              ;   in Loop: Header=BB468_8 Depth=1
	v_bfrev_b32_e32 v0, 1
	s_mov_b32 s17, exec_lo
	v_cmpx_ne_u16_e32 0x80, v1
	s_cbranch_execz .LBB468_303
; %bb.298:                              ;   in Loop: Header=BB468_8 Depth=1
	v_and_b32_e32 v1, 0x7f, v30
	v_mov_b32_e32 v0, 0x7f800001
	s_mov_b32 s19, exec_lo
	s_delay_alu instid0(VALU_DEP_2)
	v_cmpx_ne_u32_e32 0x7f, v1
	s_cbranch_execz .LBB468_302
; %bb.299:                              ;   in Loop: Header=BB468_8 Depth=1
	v_lshrrev_b32_e32 v0, 3, v1
	v_dual_mov_b32 v33, v31 :: v_dual_mov_b32 v32, v30
	s_mov_b32 s21, exec_lo
	v_cmpx_gt_u32_e32 8, v1
; %bb.300:                              ;   in Loop: Header=BB468_8 Depth=1
	v_and_b32_e32 v0, 7, v30
	s_delay_alu instid0(VALU_DEP_1) | instskip(NEXT) | instid1(VALU_DEP_1)
	v_clz_i32_u32_e32 v0, v0
	v_min_u32_e32 v0, 32, v0
	s_delay_alu instid0(VALU_DEP_1) | instskip(SKIP_1) | instid1(VALU_DEP_2)
	v_subrev_nc_u32_e32 v1, 28, v0
	v_sub_nc_u32_e32 v0, 29, v0
	v_lshlrev_b64 v[32:33], v1, v[30:31]
; %bb.301:                              ;   in Loop: Header=BB468_8 Depth=1
	s_or_b32 exec_lo, exec_lo, s21
	s_delay_alu instid0(VALU_DEP_1) | instskip(SKIP_2) | instid1(VALU_DEP_3)
	v_lshlrev_b32_e32 v1, 20, v32
	v_lshlrev_b32_e32 v2, 24, v30
	v_lshl_add_u32 v0, v0, 23, 0x3c000000
	v_and_b32_e32 v1, 0x700000, v1
	s_delay_alu instid0(VALU_DEP_3) | instskip(NEXT) | instid1(VALU_DEP_1)
	v_and_b32_e32 v2, 0x80000000, v2
	v_or3_b32 v0, v1, v2, v0
.LBB468_302:                            ;   in Loop: Header=BB468_8 Depth=1
	s_or_b32 exec_lo, exec_lo, s19
.LBB468_303:                            ;   in Loop: Header=BB468_8 Depth=1
	s_delay_alu instid0(SALU_CYCLE_1)
	s_or_b32 exec_lo, exec_lo, s17
.LBB468_304:                            ;   in Loop: Header=BB468_8 Depth=1
	s_delay_alu instid0(SALU_CYCLE_1) | instskip(NEXT) | instid1(VALU_DEP_1)
	s_or_b32 exec_lo, exec_lo, s3
	v_mul_f32_e32 v0, v79, v0
	s_delay_alu instid0(VALU_DEP_1) | instskip(NEXT) | instid1(VALU_DEP_1)
	v_and_b32_e32 v1, 0x7f800000, v0
	v_cmp_ne_u32_e64 s2, 0x7f800000, v1
                                        ; implicit-def: $vgpr1
                                        ; kill: killed $vgpr1
	s_delay_alu instid0(VALU_DEP_1) | instskip(NEXT) | instid1(SALU_CYCLE_1)
	s_and_saveexec_b32 s3, s2
	s_xor_b32 s2, exec_lo, s3
	s_cbranch_execz .LBB468_306
; %bb.305:                              ;   in Loop: Header=BB468_8 Depth=1
	v_bfe_u32 v1, v0, 16, 1
	s_delay_alu instid0(VALU_DEP_1)
	v_add3_u32 v0, v0, v1, 0x7fff
	scratch_store_b32 off, v0, s32 offset:412 ; 4-byte Folded Spill
                                        ; implicit-def: $vgpr0
.LBB468_306:                            ;   in Loop: Header=BB468_8 Depth=1
	s_and_not1_saveexec_b32 s3, s2
	s_cbranch_execz .LBB468_308
; %bb.307:                              ;   in Loop: Header=BB468_8 Depth=1
	v_and_b32_e32 v1, 0xffff, v0
	v_or_b32_e32 v2, 0x10000, v0
	s_delay_alu instid0(VALU_DEP_2) | instskip(NEXT) | instid1(VALU_DEP_1)
	v_cmp_eq_u32_e64 s2, 0, v1
	v_cndmask_b32_e64 v0, v2, v0, s2
	scratch_store_b32 off, v0, s32 offset:412 ; 4-byte Folded Spill
.LBB468_308:                            ;   in Loop: Header=BB468_8 Depth=1
	s_or_b32 exec_lo, exec_lo, s3
	v_lshrrev_b16 v1, 8, v30
	v_mov_b32_e32 v0, 0
	s_mov_b32 s3, exec_lo
	s_delay_alu instid0(VALU_DEP_2)
	v_cmpx_ne_u16_e32 0, v1
	s_cbranch_execz .LBB468_316
; %bb.309:                              ;   in Loop: Header=BB468_8 Depth=1
	v_bfrev_b32_e32 v0, 1
	s_mov_b32 s17, exec_lo
	v_cmpx_ne_u16_e32 0x80, v1
	s_cbranch_execz .LBB468_315
; %bb.310:                              ;   in Loop: Header=BB468_8 Depth=1
	v_and_b32_e32 v2, 0xffff, v1
	v_mov_b32_e32 v0, 0x7f800001
	s_mov_b32 s19, exec_lo
	s_delay_alu instid0(VALU_DEP_2) | instskip(NEXT) | instid1(VALU_DEP_1)
	v_and_b32_e32 v1, 0x7f, v2
	v_cmpx_ne_u32_e32 0x7f, v1
	s_cbranch_execz .LBB468_314
; %bb.311:                              ;   in Loop: Header=BB468_8 Depth=1
	v_and_b32_e32 v18, 7, v2
	v_lshrrev_b32_e32 v0, 3, v1
	v_mov_b32_e32 v33, v19
	s_mov_b32 s21, exec_lo
	s_delay_alu instid0(VALU_DEP_3)
	v_mov_b32_e32 v32, v18
	v_cmpx_gt_u32_e32 8, v1
; %bb.312:                              ;   in Loop: Header=BB468_8 Depth=1
	v_clz_i32_u32_e32 v0, v18
	s_delay_alu instid0(VALU_DEP_1) | instskip(NEXT) | instid1(VALU_DEP_1)
	v_min_u32_e32 v0, 32, v0
	v_subrev_nc_u32_e32 v1, 28, v0
	v_sub_nc_u32_e32 v0, 29, v0
	s_delay_alu instid0(VALU_DEP_2) | instskip(NEXT) | instid1(VALU_DEP_1)
	v_lshlrev_b64 v[1:2], v1, v[18:19]
	v_and_b32_e32 v32, 7, v1
; %bb.313:                              ;   in Loop: Header=BB468_8 Depth=1
	s_or_b32 exec_lo, exec_lo, s21
	v_lshlrev_b32_e32 v1, 16, v30
	s_delay_alu instid0(VALU_DEP_2) | instskip(SKIP_1) | instid1(VALU_DEP_3)
	v_lshlrev_b32_e32 v2, 20, v32
	v_lshl_add_u32 v0, v0, 23, 0x3c000000
	v_and_b32_e32 v1, 0x80000000, v1
	s_delay_alu instid0(VALU_DEP_1)
	v_or3_b32 v0, v2, v1, v0
.LBB468_314:                            ;   in Loop: Header=BB468_8 Depth=1
	s_or_b32 exec_lo, exec_lo, s19
.LBB468_315:                            ;   in Loop: Header=BB468_8 Depth=1
	s_delay_alu instid0(SALU_CYCLE_1)
	s_or_b32 exec_lo, exec_lo, s17
.LBB468_316:                            ;   in Loop: Header=BB468_8 Depth=1
	s_delay_alu instid0(SALU_CYCLE_1) | instskip(NEXT) | instid1(VALU_DEP_1)
	s_or_b32 exec_lo, exec_lo, s3
	v_mul_f32_e32 v0, v79, v0
	s_delay_alu instid0(VALU_DEP_1) | instskip(NEXT) | instid1(VALU_DEP_1)
	v_and_b32_e32 v1, 0x7f800000, v0
	v_cmp_ne_u32_e64 s2, 0x7f800000, v1
                                        ; implicit-def: $vgpr1
                                        ; kill: killed $vgpr1
	s_delay_alu instid0(VALU_DEP_1) | instskip(NEXT) | instid1(SALU_CYCLE_1)
	s_and_saveexec_b32 s3, s2
	s_xor_b32 s2, exec_lo, s3
	s_cbranch_execz .LBB468_318
; %bb.317:                              ;   in Loop: Header=BB468_8 Depth=1
	v_bfe_u32 v1, v0, 16, 1
	s_delay_alu instid0(VALU_DEP_1)
	v_add3_u32 v0, v0, v1, 0x7fff
	scratch_store_b32 off, v0, s32 offset:416 ; 4-byte Folded Spill
                                        ; implicit-def: $vgpr0
.LBB468_318:                            ;   in Loop: Header=BB468_8 Depth=1
	s_and_not1_saveexec_b32 s3, s2
	s_cbranch_execz .LBB468_320
; %bb.319:                              ;   in Loop: Header=BB468_8 Depth=1
	v_and_b32_e32 v1, 0xffff, v0
	v_or_b32_e32 v2, 0x10000, v0
	s_delay_alu instid0(VALU_DEP_2) | instskip(NEXT) | instid1(VALU_DEP_1)
	v_cmp_eq_u32_e64 s2, 0, v1
	v_cndmask_b32_e64 v0, v2, v0, s2
	scratch_store_b32 off, v0, s32 offset:416 ; 4-byte Folded Spill
.LBB468_320:                            ;   in Loop: Header=BB468_8 Depth=1
	s_or_b32 exec_lo, exec_lo, s3
	v_lshrrev_b32_e32 v0, 16, v30
	s_mov_b32 s3, exec_lo
	s_delay_alu instid0(VALU_DEP_1) | instskip(NEXT) | instid1(VALU_DEP_1)
	v_dual_mov_b32 v1, 0 :: v_dual_and_b32 v2, 0xff, v0
	v_cmpx_ne_u16_e32 0, v2
	s_cbranch_execz .LBB468_328
; %bb.321:                              ;   in Loop: Header=BB468_8 Depth=1
	v_bfrev_b32_e32 v1, 1
	s_mov_b32 s17, exec_lo
	v_cmpx_ne_u16_e32 0x80, v2
	s_cbranch_execz .LBB468_327
; %bb.322:                              ;   in Loop: Header=BB468_8 Depth=1
	v_bfe_u32 v2, v30, 16, 7
	v_mov_b32_e32 v1, 0x7f800001
	s_mov_b32 s19, exec_lo
	s_delay_alu instid0(VALU_DEP_2)
	v_cmpx_ne_u32_e32 0x7f, v2
	s_cbranch_execz .LBB468_326
; %bb.323:                              ;   in Loop: Header=BB468_8 Depth=1
	v_and_b32_e32 v18, 7, v0
	v_lshrrev_b32_e32 v1, 3, v2
	v_mov_b32_e32 v33, v19
	s_mov_b32 s21, exec_lo
	s_delay_alu instid0(VALU_DEP_3)
	v_mov_b32_e32 v32, v18
	v_cmpx_gt_u32_e32 8, v2
; %bb.324:                              ;   in Loop: Header=BB468_8 Depth=1
	v_clz_i32_u32_e32 v1, v18
	s_delay_alu instid0(VALU_DEP_1) | instskip(NEXT) | instid1(VALU_DEP_1)
	v_min_u32_e32 v1, 32, v1
	v_subrev_nc_u32_e32 v2, 28, v1
	v_sub_nc_u32_e32 v1, 29, v1
	s_delay_alu instid0(VALU_DEP_2) | instskip(NEXT) | instid1(VALU_DEP_1)
	v_lshlrev_b64 v[2:3], v2, v[18:19]
	v_and_b32_e32 v32, 7, v2
; %bb.325:                              ;   in Loop: Header=BB468_8 Depth=1
	s_or_b32 exec_lo, exec_lo, s21
	v_lshlrev_b32_e32 v0, 24, v0
	s_delay_alu instid0(VALU_DEP_2) | instskip(SKIP_1) | instid1(VALU_DEP_3)
	v_lshlrev_b32_e32 v2, 20, v32
	v_lshl_add_u32 v1, v1, 23, 0x3c000000
	v_and_b32_e32 v0, 0x80000000, v0
	s_delay_alu instid0(VALU_DEP_1)
	v_or3_b32 v1, v2, v0, v1
.LBB468_326:                            ;   in Loop: Header=BB468_8 Depth=1
	s_or_b32 exec_lo, exec_lo, s19
.LBB468_327:                            ;   in Loop: Header=BB468_8 Depth=1
	s_delay_alu instid0(SALU_CYCLE_1)
	s_or_b32 exec_lo, exec_lo, s17
.LBB468_328:                            ;   in Loop: Header=BB468_8 Depth=1
	s_delay_alu instid0(SALU_CYCLE_1) | instskip(NEXT) | instid1(VALU_DEP_1)
	s_or_b32 exec_lo, exec_lo, s3
	v_mul_f32_e32 v0, v79, v1
	s_delay_alu instid0(VALU_DEP_1) | instskip(NEXT) | instid1(VALU_DEP_1)
	v_and_b32_e32 v1, 0x7f800000, v0
	v_cmp_ne_u32_e64 s2, 0x7f800000, v1
                                        ; implicit-def: $vgpr1
                                        ; kill: killed $vgpr1
	s_delay_alu instid0(VALU_DEP_1) | instskip(NEXT) | instid1(SALU_CYCLE_1)
	s_and_saveexec_b32 s3, s2
	s_xor_b32 s2, exec_lo, s3
	s_cbranch_execz .LBB468_330
; %bb.329:                              ;   in Loop: Header=BB468_8 Depth=1
	v_bfe_u32 v1, v0, 16, 1
	s_delay_alu instid0(VALU_DEP_1)
	v_add3_u32 v0, v0, v1, 0x7fff
	scratch_store_b32 off, v0, s32 offset:420 ; 4-byte Folded Spill
                                        ; implicit-def: $vgpr0
.LBB468_330:                            ;   in Loop: Header=BB468_8 Depth=1
	s_and_not1_saveexec_b32 s3, s2
	s_cbranch_execz .LBB468_332
; %bb.331:                              ;   in Loop: Header=BB468_8 Depth=1
	v_and_b32_e32 v1, 0xffff, v0
	v_or_b32_e32 v2, 0x10000, v0
	s_delay_alu instid0(VALU_DEP_2) | instskip(NEXT) | instid1(VALU_DEP_1)
	v_cmp_eq_u32_e64 s2, 0, v1
	v_cndmask_b32_e64 v0, v2, v0, s2
	scratch_store_b32 off, v0, s32 offset:420 ; 4-byte Folded Spill
.LBB468_332:                            ;   in Loop: Header=BB468_8 Depth=1
	s_or_b32 exec_lo, exec_lo, s3
	v_mov_b32_e32 v1, 0
	s_mov_b32 s3, exec_lo
	v_cmpx_lt_u32_e32 0xffffff, v30
	s_cbranch_execz .LBB468_340
; %bb.333:                              ;   in Loop: Header=BB468_8 Depth=1
	v_lshrrev_b32_e32 v0, 24, v30
	v_bfrev_b32_e32 v1, 1
	s_mov_b32 s17, exec_lo
	s_delay_alu instid0(VALU_DEP_2)
	v_cmpx_ne_u32_e32 0x80, v0
	s_cbranch_execz .LBB468_339
; %bb.334:                              ;   in Loop: Header=BB468_8 Depth=1
	v_bfe_u32 v2, v30, 24, 7
	v_mov_b32_e32 v1, 0x7f800001
	s_mov_b32 s19, exec_lo
	s_delay_alu instid0(VALU_DEP_2)
	v_cmpx_ne_u32_e32 0x7f, v2
	s_cbranch_execz .LBB468_338
; %bb.335:                              ;   in Loop: Header=BB468_8 Depth=1
	v_and_b32_e32 v18, 7, v0
	v_lshrrev_b32_e32 v1, 3, v2
	v_mov_b32_e32 v33, v19
	s_mov_b32 s21, exec_lo
	s_delay_alu instid0(VALU_DEP_3)
	v_mov_b32_e32 v32, v18
	v_cmpx_gt_u32_e32 8, v2
; %bb.336:                              ;   in Loop: Header=BB468_8 Depth=1
	v_clz_i32_u32_e32 v1, v18
	s_delay_alu instid0(VALU_DEP_1) | instskip(NEXT) | instid1(VALU_DEP_1)
	v_min_u32_e32 v1, 32, v1
	v_subrev_nc_u32_e32 v2, 28, v1
	v_sub_nc_u32_e32 v1, 29, v1
	s_delay_alu instid0(VALU_DEP_2) | instskip(NEXT) | instid1(VALU_DEP_1)
	v_lshlrev_b64 v[2:3], v2, v[18:19]
	v_and_b32_e32 v32, 7, v2
; %bb.337:                              ;   in Loop: Header=BB468_8 Depth=1
	s_or_b32 exec_lo, exec_lo, s21
	v_lshlrev_b32_e32 v0, 24, v0
	s_delay_alu instid0(VALU_DEP_2) | instskip(SKIP_1) | instid1(VALU_DEP_3)
	v_lshlrev_b32_e32 v2, 20, v32
	v_lshl_add_u32 v1, v1, 23, 0x3c000000
	v_and_b32_e32 v0, 0x80000000, v0
	s_delay_alu instid0(VALU_DEP_1)
	v_or3_b32 v1, v2, v0, v1
.LBB468_338:                            ;   in Loop: Header=BB468_8 Depth=1
	s_or_b32 exec_lo, exec_lo, s19
.LBB468_339:                            ;   in Loop: Header=BB468_8 Depth=1
	s_delay_alu instid0(SALU_CYCLE_1)
	s_or_b32 exec_lo, exec_lo, s17
.LBB468_340:                            ;   in Loop: Header=BB468_8 Depth=1
	s_delay_alu instid0(SALU_CYCLE_1) | instskip(NEXT) | instid1(VALU_DEP_1)
	s_or_b32 exec_lo, exec_lo, s3
	v_mul_f32_e32 v0, v79, v1
	s_delay_alu instid0(VALU_DEP_1) | instskip(NEXT) | instid1(VALU_DEP_1)
	v_and_b32_e32 v1, 0x7f800000, v0
	v_cmp_ne_u32_e64 s2, 0x7f800000, v1
                                        ; implicit-def: $vgpr1
                                        ; kill: killed $vgpr1
	s_delay_alu instid0(VALU_DEP_1) | instskip(NEXT) | instid1(SALU_CYCLE_1)
	s_and_saveexec_b32 s3, s2
	s_xor_b32 s2, exec_lo, s3
	s_cbranch_execz .LBB468_342
; %bb.341:                              ;   in Loop: Header=BB468_8 Depth=1
	v_bfe_u32 v1, v0, 16, 1
	s_delay_alu instid0(VALU_DEP_1)
	v_add3_u32 v0, v0, v1, 0x7fff
	scratch_store_b32 off, v0, s32 offset:424 ; 4-byte Folded Spill
                                        ; implicit-def: $vgpr0
.LBB468_342:                            ;   in Loop: Header=BB468_8 Depth=1
	s_and_not1_saveexec_b32 s3, s2
	s_cbranch_execz .LBB468_344
; %bb.343:                              ;   in Loop: Header=BB468_8 Depth=1
	v_and_b32_e32 v1, 0xffff, v0
	v_or_b32_e32 v2, 0x10000, v0
	s_delay_alu instid0(VALU_DEP_2) | instskip(NEXT) | instid1(VALU_DEP_1)
	v_cmp_eq_u32_e64 s2, 0, v1
	v_cndmask_b32_e64 v0, v2, v0, s2
	scratch_store_b32 off, v0, s32 offset:424 ; 4-byte Folded Spill
.LBB468_344:                            ;   in Loop: Header=BB468_8 Depth=1
	s_or_b32 exec_lo, exec_lo, s3
	v_dual_mov_b32 v18, v31 :: v_dual_and_b32 v1, 0xff, v31
	v_mov_b32_e32 v0, 0
	s_mov_b32 s3, exec_lo
	s_delay_alu instid0(VALU_DEP_2)
	v_cmpx_ne_u16_e32 0, v1
	s_cbranch_execz .LBB468_352
; %bb.345:                              ;   in Loop: Header=BB468_8 Depth=1
	v_bfrev_b32_e32 v0, 1
	s_mov_b32 s17, exec_lo
	v_cmpx_ne_u16_e32 0x80, v1
	s_cbranch_execz .LBB468_351
; %bb.346:                              ;   in Loop: Header=BB468_8 Depth=1
	v_and_b32_e32 v1, 0x7f, v31
	v_mov_b32_e32 v0, 0x7f800001
	s_mov_b32 s19, exec_lo
	s_delay_alu instid0(VALU_DEP_2)
	v_cmpx_ne_u32_e32 0x7f, v1
	s_cbranch_execz .LBB468_350
; %bb.347:                              ;   in Loop: Header=BB468_8 Depth=1
	v_lshrrev_b32_e32 v0, 3, v1
	v_dual_mov_b32 v33, v19 :: v_dual_mov_b32 v32, v18
	s_mov_b32 s21, exec_lo
	v_cmpx_gt_u32_e32 8, v1
; %bb.348:                              ;   in Loop: Header=BB468_8 Depth=1
	v_and_b32_e32 v0, 7, v31
	s_delay_alu instid0(VALU_DEP_1) | instskip(NEXT) | instid1(VALU_DEP_1)
	v_clz_i32_u32_e32 v0, v0
	v_min_u32_e32 v0, 32, v0
	s_delay_alu instid0(VALU_DEP_1) | instskip(SKIP_1) | instid1(VALU_DEP_2)
	v_subrev_nc_u32_e32 v1, 28, v0
	v_sub_nc_u32_e32 v0, 29, v0
	v_lshlrev_b64 v[32:33], v1, v[18:19]
; %bb.349:                              ;   in Loop: Header=BB468_8 Depth=1
	s_or_b32 exec_lo, exec_lo, s21
	s_delay_alu instid0(VALU_DEP_1) | instskip(SKIP_2) | instid1(VALU_DEP_3)
	v_lshlrev_b32_e32 v1, 20, v32
	v_lshlrev_b32_e32 v2, 24, v18
	v_lshl_add_u32 v0, v0, 23, 0x3c000000
	v_and_b32_e32 v1, 0x700000, v1
	s_delay_alu instid0(VALU_DEP_3) | instskip(NEXT) | instid1(VALU_DEP_1)
	v_and_b32_e32 v2, 0x80000000, v2
	v_or3_b32 v0, v1, v2, v0
.LBB468_350:                            ;   in Loop: Header=BB468_8 Depth=1
	s_or_b32 exec_lo, exec_lo, s19
.LBB468_351:                            ;   in Loop: Header=BB468_8 Depth=1
	s_delay_alu instid0(SALU_CYCLE_1)
	s_or_b32 exec_lo, exec_lo, s17
.LBB468_352:                            ;   in Loop: Header=BB468_8 Depth=1
	s_delay_alu instid0(SALU_CYCLE_1) | instskip(NEXT) | instid1(VALU_DEP_1)
	s_or_b32 exec_lo, exec_lo, s3
	v_mul_f32_e32 v0, v79, v0
	s_delay_alu instid0(VALU_DEP_1) | instskip(NEXT) | instid1(VALU_DEP_1)
	v_and_b32_e32 v1, 0x7f800000, v0
	v_cmp_ne_u32_e64 s2, 0x7f800000, v1
                                        ; implicit-def: $vgpr1
                                        ; kill: killed $vgpr1
	s_delay_alu instid0(VALU_DEP_1) | instskip(NEXT) | instid1(SALU_CYCLE_1)
	s_and_saveexec_b32 s3, s2
	s_xor_b32 s2, exec_lo, s3
	s_cbranch_execz .LBB468_354
; %bb.353:                              ;   in Loop: Header=BB468_8 Depth=1
	v_bfe_u32 v1, v0, 16, 1
	s_delay_alu instid0(VALU_DEP_1)
	v_add3_u32 v0, v0, v1, 0x7fff
	scratch_store_b32 off, v0, s32 offset:428 ; 4-byte Folded Spill
                                        ; implicit-def: $vgpr0
.LBB468_354:                            ;   in Loop: Header=BB468_8 Depth=1
	s_and_not1_saveexec_b32 s3, s2
	s_cbranch_execz .LBB468_356
; %bb.355:                              ;   in Loop: Header=BB468_8 Depth=1
	v_and_b32_e32 v1, 0xffff, v0
	v_or_b32_e32 v2, 0x10000, v0
	s_delay_alu instid0(VALU_DEP_2) | instskip(NEXT) | instid1(VALU_DEP_1)
	v_cmp_eq_u32_e64 s2, 0, v1
	v_cndmask_b32_e64 v0, v2, v0, s2
	scratch_store_b32 off, v0, s32 offset:428 ; 4-byte Folded Spill
.LBB468_356:                            ;   in Loop: Header=BB468_8 Depth=1
	s_or_b32 exec_lo, exec_lo, s3
	v_lshrrev_b16 v1, 8, v18
	v_mov_b32_e32 v0, 0
	s_mov_b32 s3, exec_lo
	s_delay_alu instid0(VALU_DEP_2)
	v_cmpx_ne_u16_e32 0, v1
	s_cbranch_execz .LBB468_364
; %bb.357:                              ;   in Loop: Header=BB468_8 Depth=1
	v_bfrev_b32_e32 v0, 1
	s_mov_b32 s17, exec_lo
	v_cmpx_ne_u16_e32 0x80, v1
	s_cbranch_execz .LBB468_363
; %bb.358:                              ;   in Loop: Header=BB468_8 Depth=1
	v_and_b32_e32 v2, 0xffff, v1
	v_mov_b32_e32 v0, 0x7f800001
	s_mov_b32 s19, exec_lo
	s_delay_alu instid0(VALU_DEP_2) | instskip(NEXT) | instid1(VALU_DEP_1)
	v_and_b32_e32 v1, 0x7f, v2
	v_cmpx_ne_u32_e32 0x7f, v1
	s_cbranch_execz .LBB468_362
; %bb.359:                              ;   in Loop: Header=BB468_8 Depth=1
	v_dual_mov_b32 v33, v19 :: v_dual_and_b32 v32, 7, v2
	v_lshrrev_b32_e32 v0, 3, v1
	s_mov_b32 s21, exec_lo
	v_cmpx_gt_u32_e32 8, v1
; %bb.360:                              ;   in Loop: Header=BB468_8 Depth=1
	s_delay_alu instid0(VALU_DEP_3) | instskip(NEXT) | instid1(VALU_DEP_1)
	v_clz_i32_u32_e32 v0, v32
	v_min_u32_e32 v0, 32, v0
	s_delay_alu instid0(VALU_DEP_1) | instskip(SKIP_1) | instid1(VALU_DEP_2)
	v_subrev_nc_u32_e32 v1, 28, v0
	v_sub_nc_u32_e32 v0, 29, v0
	v_lshlrev_b64 v[1:2], v1, v[32:33]
	s_delay_alu instid0(VALU_DEP_1)
	v_and_b32_e32 v32, 7, v1
; %bb.361:                              ;   in Loop: Header=BB468_8 Depth=1
	s_or_b32 exec_lo, exec_lo, s21
	v_lshlrev_b32_e32 v1, 16, v18
	s_delay_alu instid0(VALU_DEP_2) | instskip(SKIP_1) | instid1(VALU_DEP_3)
	v_lshlrev_b32_e32 v2, 20, v32
	v_lshl_add_u32 v0, v0, 23, 0x3c000000
	v_and_b32_e32 v1, 0x80000000, v1
	s_delay_alu instid0(VALU_DEP_1)
	v_or3_b32 v0, v2, v1, v0
.LBB468_362:                            ;   in Loop: Header=BB468_8 Depth=1
	s_or_b32 exec_lo, exec_lo, s19
.LBB468_363:                            ;   in Loop: Header=BB468_8 Depth=1
	s_delay_alu instid0(SALU_CYCLE_1)
	s_or_b32 exec_lo, exec_lo, s17
.LBB468_364:                            ;   in Loop: Header=BB468_8 Depth=1
	s_delay_alu instid0(SALU_CYCLE_1) | instskip(NEXT) | instid1(VALU_DEP_1)
	s_or_b32 exec_lo, exec_lo, s3
	v_mul_f32_e32 v0, v79, v0
	s_delay_alu instid0(VALU_DEP_1) | instskip(NEXT) | instid1(VALU_DEP_1)
	v_and_b32_e32 v1, 0x7f800000, v0
	v_cmp_ne_u32_e64 s2, 0x7f800000, v1
                                        ; implicit-def: $vgpr1
                                        ; kill: killed $vgpr1
	s_delay_alu instid0(VALU_DEP_1) | instskip(NEXT) | instid1(SALU_CYCLE_1)
	s_and_saveexec_b32 s3, s2
	s_xor_b32 s2, exec_lo, s3
	s_cbranch_execz .LBB468_366
; %bb.365:                              ;   in Loop: Header=BB468_8 Depth=1
	v_bfe_u32 v1, v0, 16, 1
	s_delay_alu instid0(VALU_DEP_1)
	v_add3_u32 v0, v0, v1, 0x7fff
	scratch_store_b32 off, v0, s32 offset:432 ; 4-byte Folded Spill
                                        ; implicit-def: $vgpr0
.LBB468_366:                            ;   in Loop: Header=BB468_8 Depth=1
	s_and_not1_saveexec_b32 s3, s2
	s_cbranch_execz .LBB468_368
; %bb.367:                              ;   in Loop: Header=BB468_8 Depth=1
	v_and_b32_e32 v1, 0xffff, v0
	v_or_b32_e32 v2, 0x10000, v0
	s_delay_alu instid0(VALU_DEP_2) | instskip(NEXT) | instid1(VALU_DEP_1)
	v_cmp_eq_u32_e64 s2, 0, v1
	v_cndmask_b32_e64 v0, v2, v0, s2
	scratch_store_b32 off, v0, s32 offset:432 ; 4-byte Folded Spill
.LBB468_368:                            ;   in Loop: Header=BB468_8 Depth=1
	s_or_b32 exec_lo, exec_lo, s3
	v_lshrrev_b32_e32 v0, 16, v31
	s_mov_b32 s3, exec_lo
	s_delay_alu instid0(VALU_DEP_1) | instskip(NEXT) | instid1(VALU_DEP_1)
	v_dual_mov_b32 v1, 0 :: v_dual_and_b32 v2, 0xff, v0
	v_cmpx_ne_u16_e32 0, v2
	s_cbranch_execz .LBB468_376
; %bb.369:                              ;   in Loop: Header=BB468_8 Depth=1
	v_bfrev_b32_e32 v1, 1
	s_mov_b32 s17, exec_lo
	v_cmpx_ne_u16_e32 0x80, v2
	s_cbranch_execz .LBB468_375
; %bb.370:                              ;   in Loop: Header=BB468_8 Depth=1
	v_bfe_u32 v2, v31, 16, 7
	v_mov_b32_e32 v1, 0x7f800001
	s_mov_b32 s19, exec_lo
	s_delay_alu instid0(VALU_DEP_2)
	v_cmpx_ne_u32_e32 0x7f, v2
	s_cbranch_execz .LBB468_374
; %bb.371:                              ;   in Loop: Header=BB468_8 Depth=1
	v_and_b32_e32 v18, 7, v0
	v_lshrrev_b32_e32 v1, 3, v2
	v_mov_b32_e32 v33, v19
	s_mov_b32 s21, exec_lo
	s_delay_alu instid0(VALU_DEP_3)
	v_mov_b32_e32 v32, v18
	v_cmpx_gt_u32_e32 8, v2
; %bb.372:                              ;   in Loop: Header=BB468_8 Depth=1
	v_clz_i32_u32_e32 v1, v18
	s_delay_alu instid0(VALU_DEP_1) | instskip(NEXT) | instid1(VALU_DEP_1)
	v_min_u32_e32 v1, 32, v1
	v_subrev_nc_u32_e32 v2, 28, v1
	v_sub_nc_u32_e32 v1, 29, v1
	s_delay_alu instid0(VALU_DEP_2) | instskip(NEXT) | instid1(VALU_DEP_1)
	v_lshlrev_b64 v[2:3], v2, v[18:19]
	v_and_b32_e32 v32, 7, v2
; %bb.373:                              ;   in Loop: Header=BB468_8 Depth=1
	s_or_b32 exec_lo, exec_lo, s21
	v_lshlrev_b32_e32 v0, 24, v0
	s_delay_alu instid0(VALU_DEP_2) | instskip(SKIP_1) | instid1(VALU_DEP_3)
	v_lshlrev_b32_e32 v2, 20, v32
	v_lshl_add_u32 v1, v1, 23, 0x3c000000
	v_and_b32_e32 v0, 0x80000000, v0
	s_delay_alu instid0(VALU_DEP_1)
	v_or3_b32 v1, v2, v0, v1
.LBB468_374:                            ;   in Loop: Header=BB468_8 Depth=1
	s_or_b32 exec_lo, exec_lo, s19
.LBB468_375:                            ;   in Loop: Header=BB468_8 Depth=1
	s_delay_alu instid0(SALU_CYCLE_1)
	s_or_b32 exec_lo, exec_lo, s17
.LBB468_376:                            ;   in Loop: Header=BB468_8 Depth=1
	s_delay_alu instid0(SALU_CYCLE_1) | instskip(NEXT) | instid1(VALU_DEP_1)
	s_or_b32 exec_lo, exec_lo, s3
	v_mul_f32_e32 v0, v79, v1
	s_delay_alu instid0(VALU_DEP_1) | instskip(NEXT) | instid1(VALU_DEP_1)
	v_and_b32_e32 v1, 0x7f800000, v0
	v_cmp_ne_u32_e64 s2, 0x7f800000, v1
                                        ; implicit-def: $vgpr1
                                        ; kill: killed $vgpr1
	s_delay_alu instid0(VALU_DEP_1) | instskip(NEXT) | instid1(SALU_CYCLE_1)
	s_and_saveexec_b32 s3, s2
	s_xor_b32 s2, exec_lo, s3
	s_cbranch_execz .LBB468_378
; %bb.377:                              ;   in Loop: Header=BB468_8 Depth=1
	v_bfe_u32 v1, v0, 16, 1
	s_delay_alu instid0(VALU_DEP_1)
	v_add3_u32 v0, v0, v1, 0x7fff
	scratch_store_b32 off, v0, s32 offset:436 ; 4-byte Folded Spill
                                        ; implicit-def: $vgpr0
.LBB468_378:                            ;   in Loop: Header=BB468_8 Depth=1
	s_and_not1_saveexec_b32 s3, s2
	s_cbranch_execz .LBB468_380
; %bb.379:                              ;   in Loop: Header=BB468_8 Depth=1
	v_and_b32_e32 v1, 0xffff, v0
	v_or_b32_e32 v2, 0x10000, v0
	s_delay_alu instid0(VALU_DEP_2) | instskip(NEXT) | instid1(VALU_DEP_1)
	v_cmp_eq_u32_e64 s2, 0, v1
	v_cndmask_b32_e64 v0, v2, v0, s2
	scratch_store_b32 off, v0, s32 offset:436 ; 4-byte Folded Spill
.LBB468_380:                            ;   in Loop: Header=BB468_8 Depth=1
	s_or_b32 exec_lo, exec_lo, s3
	v_mov_b32_e32 v1, 0
	s_mov_b32 s3, exec_lo
	v_cmpx_lt_u64_e64 s[4:5], v[30:31]
	s_cbranch_execz .LBB468_388
; %bb.381:                              ;   in Loop: Header=BB468_8 Depth=1
	v_lshrrev_b32_e32 v0, 24, v31
	v_bfrev_b32_e32 v1, 1
	s_mov_b32 s17, exec_lo
	s_delay_alu instid0(VALU_DEP_2)
	v_cmpx_ne_u32_e32 0x80, v0
	s_cbranch_execz .LBB468_387
; %bb.382:                              ;   in Loop: Header=BB468_8 Depth=1
	v_bfe_u32 v2, v31, 24, 7
	v_mov_b32_e32 v1, 0x7f800001
	s_mov_b32 s19, exec_lo
	s_delay_alu instid0(VALU_DEP_2)
	v_cmpx_ne_u32_e32 0x7f, v2
	s_cbranch_execz .LBB468_386
; %bb.383:                              ;   in Loop: Header=BB468_8 Depth=1
	v_and_b32_e32 v18, 7, v0
	v_lshrrev_b32_e32 v1, 3, v2
	v_mov_b32_e32 v31, v19
	s_mov_b32 s21, exec_lo
	s_delay_alu instid0(VALU_DEP_3)
	v_mov_b32_e32 v30, v18
	v_cmpx_gt_u32_e32 8, v2
; %bb.384:                              ;   in Loop: Header=BB468_8 Depth=1
	v_clz_i32_u32_e32 v1, v18
	s_delay_alu instid0(VALU_DEP_1) | instskip(NEXT) | instid1(VALU_DEP_1)
	v_min_u32_e32 v1, 32, v1
	v_subrev_nc_u32_e32 v2, 28, v1
	v_sub_nc_u32_e32 v1, 29, v1
	s_delay_alu instid0(VALU_DEP_2) | instskip(NEXT) | instid1(VALU_DEP_1)
	v_lshlrev_b64 v[2:3], v2, v[18:19]
	v_and_b32_e32 v30, 7, v2
; %bb.385:                              ;   in Loop: Header=BB468_8 Depth=1
	s_or_b32 exec_lo, exec_lo, s21
	v_lshlrev_b32_e32 v0, 24, v0
	s_delay_alu instid0(VALU_DEP_2) | instskip(SKIP_1) | instid1(VALU_DEP_3)
	v_lshlrev_b32_e32 v2, 20, v30
	v_lshl_add_u32 v1, v1, 23, 0x3c000000
	v_and_b32_e32 v0, 0x80000000, v0
	s_delay_alu instid0(VALU_DEP_1)
	v_or3_b32 v1, v2, v0, v1
.LBB468_386:                            ;   in Loop: Header=BB468_8 Depth=1
	s_or_b32 exec_lo, exec_lo, s19
.LBB468_387:                            ;   in Loop: Header=BB468_8 Depth=1
	s_delay_alu instid0(SALU_CYCLE_1)
	s_or_b32 exec_lo, exec_lo, s17
.LBB468_388:                            ;   in Loop: Header=BB468_8 Depth=1
	s_delay_alu instid0(SALU_CYCLE_1) | instskip(NEXT) | instid1(VALU_DEP_1)
	s_or_b32 exec_lo, exec_lo, s3
	v_mul_f32_e32 v0, v79, v1
	s_delay_alu instid0(VALU_DEP_1) | instskip(NEXT) | instid1(VALU_DEP_1)
	v_and_b32_e32 v1, 0x7f800000, v0
	v_cmp_ne_u32_e64 s2, 0x7f800000, v1
                                        ; implicit-def: $vgpr1
                                        ; kill: killed $vgpr1
	s_delay_alu instid0(VALU_DEP_1) | instskip(NEXT) | instid1(SALU_CYCLE_1)
	s_and_saveexec_b32 s3, s2
	s_xor_b32 s2, exec_lo, s3
	s_cbranch_execz .LBB468_390
; %bb.389:                              ;   in Loop: Header=BB468_8 Depth=1
	v_bfe_u32 v1, v0, 16, 1
	s_delay_alu instid0(VALU_DEP_1)
	v_add3_u32 v0, v0, v1, 0x7fff
	scratch_store_b32 off, v0, s32 offset:440 ; 4-byte Folded Spill
                                        ; implicit-def: $vgpr0
.LBB468_390:                            ;   in Loop: Header=BB468_8 Depth=1
	s_and_not1_saveexec_b32 s3, s2
	s_cbranch_execz .LBB468_392
; %bb.391:                              ;   in Loop: Header=BB468_8 Depth=1
	v_and_b32_e32 v1, 0xffff, v0
	v_or_b32_e32 v2, 0x10000, v0
	s_delay_alu instid0(VALU_DEP_2) | instskip(NEXT) | instid1(VALU_DEP_1)
	v_cmp_eq_u32_e64 s2, 0, v1
	v_cndmask_b32_e64 v0, v2, v0, s2
	scratch_store_b32 off, v0, s32 offset:440 ; 4-byte Folded Spill
.LBB468_392:                            ;   in Loop: Header=BB468_8 Depth=1
	s_or_b32 exec_lo, exec_lo, s3
	flat_load_b64 v[30:31], v[28:29] offset:1024
	s_mov_b32 s3, exec_lo
	s_waitcnt vmcnt(0) lgkmcnt(0)
	v_dual_mov_b32 v0, 0 :: v_dual_and_b32 v1, 0xff, v30
	s_delay_alu instid0(VALU_DEP_1)
	v_cmpx_ne_u16_e32 0, v1
	s_cbranch_execz .LBB468_400
; %bb.393:                              ;   in Loop: Header=BB468_8 Depth=1
	v_bfrev_b32_e32 v0, 1
	s_mov_b32 s17, exec_lo
	v_cmpx_ne_u16_e32 0x80, v1
	s_cbranch_execz .LBB468_399
; %bb.394:                              ;   in Loop: Header=BB468_8 Depth=1
	v_and_b32_e32 v1, 0x7f, v30
	v_mov_b32_e32 v0, 0x7f800001
	s_mov_b32 s19, exec_lo
	s_delay_alu instid0(VALU_DEP_2)
	v_cmpx_ne_u32_e32 0x7f, v1
	s_cbranch_execz .LBB468_398
; %bb.395:                              ;   in Loop: Header=BB468_8 Depth=1
	v_lshrrev_b32_e32 v0, 3, v1
	v_dual_mov_b32 v33, v31 :: v_dual_mov_b32 v32, v30
	s_mov_b32 s21, exec_lo
	v_cmpx_gt_u32_e32 8, v1
; %bb.396:                              ;   in Loop: Header=BB468_8 Depth=1
	v_and_b32_e32 v0, 7, v30
	s_delay_alu instid0(VALU_DEP_1) | instskip(NEXT) | instid1(VALU_DEP_1)
	v_clz_i32_u32_e32 v0, v0
	v_min_u32_e32 v0, 32, v0
	s_delay_alu instid0(VALU_DEP_1) | instskip(SKIP_1) | instid1(VALU_DEP_2)
	v_subrev_nc_u32_e32 v1, 28, v0
	v_sub_nc_u32_e32 v0, 29, v0
	v_lshlrev_b64 v[32:33], v1, v[30:31]
; %bb.397:                              ;   in Loop: Header=BB468_8 Depth=1
	s_or_b32 exec_lo, exec_lo, s21
	s_delay_alu instid0(VALU_DEP_1) | instskip(SKIP_2) | instid1(VALU_DEP_3)
	v_lshlrev_b32_e32 v1, 20, v32
	v_lshlrev_b32_e32 v2, 24, v30
	v_lshl_add_u32 v0, v0, 23, 0x3c000000
	v_and_b32_e32 v1, 0x700000, v1
	s_delay_alu instid0(VALU_DEP_3) | instskip(NEXT) | instid1(VALU_DEP_1)
	v_and_b32_e32 v2, 0x80000000, v2
	v_or3_b32 v0, v1, v2, v0
.LBB468_398:                            ;   in Loop: Header=BB468_8 Depth=1
	s_or_b32 exec_lo, exec_lo, s19
.LBB468_399:                            ;   in Loop: Header=BB468_8 Depth=1
	s_delay_alu instid0(SALU_CYCLE_1)
	s_or_b32 exec_lo, exec_lo, s17
.LBB468_400:                            ;   in Loop: Header=BB468_8 Depth=1
	s_delay_alu instid0(SALU_CYCLE_1) | instskip(NEXT) | instid1(VALU_DEP_1)
	s_or_b32 exec_lo, exec_lo, s3
	v_mul_f32_e32 v0, v79, v0
	s_delay_alu instid0(VALU_DEP_1) | instskip(NEXT) | instid1(VALU_DEP_1)
	v_and_b32_e32 v1, 0x7f800000, v0
	v_cmp_ne_u32_e64 s2, 0x7f800000, v1
                                        ; implicit-def: $vgpr1
                                        ; kill: killed $vgpr1
	s_delay_alu instid0(VALU_DEP_1) | instskip(NEXT) | instid1(SALU_CYCLE_1)
	s_and_saveexec_b32 s3, s2
	s_xor_b32 s2, exec_lo, s3
	s_cbranch_execz .LBB468_402
; %bb.401:                              ;   in Loop: Header=BB468_8 Depth=1
	v_bfe_u32 v1, v0, 16, 1
	s_delay_alu instid0(VALU_DEP_1)
	v_add3_u32 v0, v0, v1, 0x7fff
	scratch_store_b32 off, v0, s32 offset:444 ; 4-byte Folded Spill
                                        ; implicit-def: $vgpr0
.LBB468_402:                            ;   in Loop: Header=BB468_8 Depth=1
	s_and_not1_saveexec_b32 s3, s2
	s_cbranch_execz .LBB468_404
; %bb.403:                              ;   in Loop: Header=BB468_8 Depth=1
	v_and_b32_e32 v1, 0xffff, v0
	v_or_b32_e32 v2, 0x10000, v0
	s_delay_alu instid0(VALU_DEP_2) | instskip(NEXT) | instid1(VALU_DEP_1)
	v_cmp_eq_u32_e64 s2, 0, v1
	v_cndmask_b32_e64 v0, v2, v0, s2
	scratch_store_b32 off, v0, s32 offset:444 ; 4-byte Folded Spill
.LBB468_404:                            ;   in Loop: Header=BB468_8 Depth=1
	s_or_b32 exec_lo, exec_lo, s3
	v_lshrrev_b16 v1, 8, v30
	v_mov_b32_e32 v0, 0
	s_mov_b32 s3, exec_lo
	s_delay_alu instid0(VALU_DEP_2)
	v_cmpx_ne_u16_e32 0, v1
	s_cbranch_execz .LBB468_412
; %bb.405:                              ;   in Loop: Header=BB468_8 Depth=1
	v_bfrev_b32_e32 v0, 1
	s_mov_b32 s17, exec_lo
	v_cmpx_ne_u16_e32 0x80, v1
	s_cbranch_execz .LBB468_411
; %bb.406:                              ;   in Loop: Header=BB468_8 Depth=1
	v_and_b32_e32 v2, 0xffff, v1
	v_mov_b32_e32 v0, 0x7f800001
	s_mov_b32 s19, exec_lo
	s_delay_alu instid0(VALU_DEP_2) | instskip(NEXT) | instid1(VALU_DEP_1)
	v_and_b32_e32 v1, 0x7f, v2
	v_cmpx_ne_u32_e32 0x7f, v1
	s_cbranch_execz .LBB468_410
; %bb.407:                              ;   in Loop: Header=BB468_8 Depth=1
	v_and_b32_e32 v18, 7, v2
	v_lshrrev_b32_e32 v0, 3, v1
	v_mov_b32_e32 v33, v19
	s_mov_b32 s21, exec_lo
	s_delay_alu instid0(VALU_DEP_3)
	v_mov_b32_e32 v32, v18
	v_cmpx_gt_u32_e32 8, v1
; %bb.408:                              ;   in Loop: Header=BB468_8 Depth=1
	v_clz_i32_u32_e32 v0, v18
	s_delay_alu instid0(VALU_DEP_1) | instskip(NEXT) | instid1(VALU_DEP_1)
	v_min_u32_e32 v0, 32, v0
	v_subrev_nc_u32_e32 v1, 28, v0
	v_sub_nc_u32_e32 v0, 29, v0
	s_delay_alu instid0(VALU_DEP_2) | instskip(NEXT) | instid1(VALU_DEP_1)
	v_lshlrev_b64 v[1:2], v1, v[18:19]
	v_and_b32_e32 v32, 7, v1
; %bb.409:                              ;   in Loop: Header=BB468_8 Depth=1
	s_or_b32 exec_lo, exec_lo, s21
	v_lshlrev_b32_e32 v1, 16, v30
	s_delay_alu instid0(VALU_DEP_2) | instskip(SKIP_1) | instid1(VALU_DEP_3)
	v_lshlrev_b32_e32 v2, 20, v32
	v_lshl_add_u32 v0, v0, 23, 0x3c000000
	v_and_b32_e32 v1, 0x80000000, v1
	s_delay_alu instid0(VALU_DEP_1)
	v_or3_b32 v0, v2, v1, v0
.LBB468_410:                            ;   in Loop: Header=BB468_8 Depth=1
	s_or_b32 exec_lo, exec_lo, s19
.LBB468_411:                            ;   in Loop: Header=BB468_8 Depth=1
	s_delay_alu instid0(SALU_CYCLE_1)
	s_or_b32 exec_lo, exec_lo, s17
.LBB468_412:                            ;   in Loop: Header=BB468_8 Depth=1
	s_delay_alu instid0(SALU_CYCLE_1) | instskip(NEXT) | instid1(VALU_DEP_1)
	s_or_b32 exec_lo, exec_lo, s3
	v_mul_f32_e32 v0, v79, v0
	s_delay_alu instid0(VALU_DEP_1) | instskip(NEXT) | instid1(VALU_DEP_1)
	v_and_b32_e32 v1, 0x7f800000, v0
	v_cmp_ne_u32_e64 s2, 0x7f800000, v1
                                        ; implicit-def: $vgpr1
                                        ; kill: killed $vgpr1
	s_delay_alu instid0(VALU_DEP_1) | instskip(NEXT) | instid1(SALU_CYCLE_1)
	s_and_saveexec_b32 s3, s2
	s_xor_b32 s2, exec_lo, s3
	s_cbranch_execz .LBB468_414
; %bb.413:                              ;   in Loop: Header=BB468_8 Depth=1
	v_bfe_u32 v1, v0, 16, 1
	s_delay_alu instid0(VALU_DEP_1)
	v_add3_u32 v0, v0, v1, 0x7fff
	scratch_store_b32 off, v0, s32 offset:448 ; 4-byte Folded Spill
                                        ; implicit-def: $vgpr0
.LBB468_414:                            ;   in Loop: Header=BB468_8 Depth=1
	s_and_not1_saveexec_b32 s3, s2
	s_cbranch_execz .LBB468_416
; %bb.415:                              ;   in Loop: Header=BB468_8 Depth=1
	v_and_b32_e32 v1, 0xffff, v0
	v_or_b32_e32 v2, 0x10000, v0
	s_delay_alu instid0(VALU_DEP_2) | instskip(NEXT) | instid1(VALU_DEP_1)
	v_cmp_eq_u32_e64 s2, 0, v1
	v_cndmask_b32_e64 v0, v2, v0, s2
	scratch_store_b32 off, v0, s32 offset:448 ; 4-byte Folded Spill
.LBB468_416:                            ;   in Loop: Header=BB468_8 Depth=1
	s_or_b32 exec_lo, exec_lo, s3
	v_lshrrev_b32_e32 v0, 16, v30
	s_mov_b32 s3, exec_lo
	s_delay_alu instid0(VALU_DEP_1) | instskip(NEXT) | instid1(VALU_DEP_1)
	v_dual_mov_b32 v1, 0 :: v_dual_and_b32 v2, 0xff, v0
	v_cmpx_ne_u16_e32 0, v2
	s_cbranch_execz .LBB468_424
; %bb.417:                              ;   in Loop: Header=BB468_8 Depth=1
	v_bfrev_b32_e32 v1, 1
	s_mov_b32 s17, exec_lo
	v_cmpx_ne_u16_e32 0x80, v2
	s_cbranch_execz .LBB468_423
; %bb.418:                              ;   in Loop: Header=BB468_8 Depth=1
	v_bfe_u32 v2, v30, 16, 7
	v_mov_b32_e32 v1, 0x7f800001
	s_mov_b32 s19, exec_lo
	s_delay_alu instid0(VALU_DEP_2)
	v_cmpx_ne_u32_e32 0x7f, v2
	s_cbranch_execz .LBB468_422
; %bb.419:                              ;   in Loop: Header=BB468_8 Depth=1
	v_and_b32_e32 v18, 7, v0
	v_lshrrev_b32_e32 v1, 3, v2
	v_mov_b32_e32 v33, v19
	s_mov_b32 s21, exec_lo
	s_delay_alu instid0(VALU_DEP_3)
	v_mov_b32_e32 v32, v18
	v_cmpx_gt_u32_e32 8, v2
; %bb.420:                              ;   in Loop: Header=BB468_8 Depth=1
	v_clz_i32_u32_e32 v1, v18
	s_delay_alu instid0(VALU_DEP_1) | instskip(NEXT) | instid1(VALU_DEP_1)
	v_min_u32_e32 v1, 32, v1
	v_subrev_nc_u32_e32 v2, 28, v1
	v_sub_nc_u32_e32 v1, 29, v1
	s_delay_alu instid0(VALU_DEP_2) | instskip(NEXT) | instid1(VALU_DEP_1)
	v_lshlrev_b64 v[2:3], v2, v[18:19]
	v_and_b32_e32 v32, 7, v2
; %bb.421:                              ;   in Loop: Header=BB468_8 Depth=1
	s_or_b32 exec_lo, exec_lo, s21
	v_lshlrev_b32_e32 v0, 24, v0
	s_delay_alu instid0(VALU_DEP_2) | instskip(SKIP_1) | instid1(VALU_DEP_3)
	v_lshlrev_b32_e32 v2, 20, v32
	v_lshl_add_u32 v1, v1, 23, 0x3c000000
	v_and_b32_e32 v0, 0x80000000, v0
	s_delay_alu instid0(VALU_DEP_1)
	v_or3_b32 v1, v2, v0, v1
.LBB468_422:                            ;   in Loop: Header=BB468_8 Depth=1
	s_or_b32 exec_lo, exec_lo, s19
.LBB468_423:                            ;   in Loop: Header=BB468_8 Depth=1
	s_delay_alu instid0(SALU_CYCLE_1)
	s_or_b32 exec_lo, exec_lo, s17
.LBB468_424:                            ;   in Loop: Header=BB468_8 Depth=1
	s_delay_alu instid0(SALU_CYCLE_1) | instskip(NEXT) | instid1(VALU_DEP_1)
	s_or_b32 exec_lo, exec_lo, s3
	v_mul_f32_e32 v0, v79, v1
	s_delay_alu instid0(VALU_DEP_1) | instskip(NEXT) | instid1(VALU_DEP_1)
	v_and_b32_e32 v1, 0x7f800000, v0
	v_cmp_ne_u32_e64 s2, 0x7f800000, v1
                                        ; implicit-def: $vgpr1
                                        ; kill: killed $vgpr1
	s_delay_alu instid0(VALU_DEP_1) | instskip(NEXT) | instid1(SALU_CYCLE_1)
	s_and_saveexec_b32 s3, s2
	s_xor_b32 s2, exec_lo, s3
	s_cbranch_execz .LBB468_426
; %bb.425:                              ;   in Loop: Header=BB468_8 Depth=1
	v_bfe_u32 v1, v0, 16, 1
	s_delay_alu instid0(VALU_DEP_1)
	v_add3_u32 v0, v0, v1, 0x7fff
	scratch_store_b32 off, v0, s32 offset:452 ; 4-byte Folded Spill
                                        ; implicit-def: $vgpr0
.LBB468_426:                            ;   in Loop: Header=BB468_8 Depth=1
	s_and_not1_saveexec_b32 s3, s2
	s_cbranch_execz .LBB468_428
; %bb.427:                              ;   in Loop: Header=BB468_8 Depth=1
	v_and_b32_e32 v1, 0xffff, v0
	v_or_b32_e32 v2, 0x10000, v0
	s_delay_alu instid0(VALU_DEP_2) | instskip(NEXT) | instid1(VALU_DEP_1)
	v_cmp_eq_u32_e64 s2, 0, v1
	v_cndmask_b32_e64 v0, v2, v0, s2
	scratch_store_b32 off, v0, s32 offset:452 ; 4-byte Folded Spill
.LBB468_428:                            ;   in Loop: Header=BB468_8 Depth=1
	s_or_b32 exec_lo, exec_lo, s3
	v_mov_b32_e32 v1, 0
	s_mov_b32 s3, exec_lo
	v_cmpx_lt_u32_e32 0xffffff, v30
	s_cbranch_execz .LBB468_436
; %bb.429:                              ;   in Loop: Header=BB468_8 Depth=1
	v_lshrrev_b32_e32 v0, 24, v30
	v_bfrev_b32_e32 v1, 1
	s_mov_b32 s17, exec_lo
	s_delay_alu instid0(VALU_DEP_2)
	v_cmpx_ne_u32_e32 0x80, v0
	s_cbranch_execz .LBB468_435
; %bb.430:                              ;   in Loop: Header=BB468_8 Depth=1
	v_bfe_u32 v2, v30, 24, 7
	v_mov_b32_e32 v1, 0x7f800001
	s_mov_b32 s19, exec_lo
	s_delay_alu instid0(VALU_DEP_2)
	v_cmpx_ne_u32_e32 0x7f, v2
	s_cbranch_execz .LBB468_434
; %bb.431:                              ;   in Loop: Header=BB468_8 Depth=1
	v_and_b32_e32 v18, 7, v0
	v_lshrrev_b32_e32 v1, 3, v2
	v_mov_b32_e32 v33, v19
	s_mov_b32 s21, exec_lo
	s_delay_alu instid0(VALU_DEP_3)
	v_mov_b32_e32 v32, v18
	v_cmpx_gt_u32_e32 8, v2
; %bb.432:                              ;   in Loop: Header=BB468_8 Depth=1
	v_clz_i32_u32_e32 v1, v18
	s_delay_alu instid0(VALU_DEP_1) | instskip(NEXT) | instid1(VALU_DEP_1)
	v_min_u32_e32 v1, 32, v1
	v_subrev_nc_u32_e32 v2, 28, v1
	v_sub_nc_u32_e32 v1, 29, v1
	s_delay_alu instid0(VALU_DEP_2) | instskip(NEXT) | instid1(VALU_DEP_1)
	v_lshlrev_b64 v[2:3], v2, v[18:19]
	v_and_b32_e32 v32, 7, v2
; %bb.433:                              ;   in Loop: Header=BB468_8 Depth=1
	s_or_b32 exec_lo, exec_lo, s21
	v_lshlrev_b32_e32 v0, 24, v0
	s_delay_alu instid0(VALU_DEP_2) | instskip(SKIP_1) | instid1(VALU_DEP_3)
	v_lshlrev_b32_e32 v2, 20, v32
	v_lshl_add_u32 v1, v1, 23, 0x3c000000
	v_and_b32_e32 v0, 0x80000000, v0
	s_delay_alu instid0(VALU_DEP_1)
	v_or3_b32 v1, v2, v0, v1
.LBB468_434:                            ;   in Loop: Header=BB468_8 Depth=1
	s_or_b32 exec_lo, exec_lo, s19
.LBB468_435:                            ;   in Loop: Header=BB468_8 Depth=1
	s_delay_alu instid0(SALU_CYCLE_1)
	s_or_b32 exec_lo, exec_lo, s17
.LBB468_436:                            ;   in Loop: Header=BB468_8 Depth=1
	s_delay_alu instid0(SALU_CYCLE_1) | instskip(NEXT) | instid1(VALU_DEP_1)
	s_or_b32 exec_lo, exec_lo, s3
	v_mul_f32_e32 v0, v79, v1
	s_delay_alu instid0(VALU_DEP_1) | instskip(NEXT) | instid1(VALU_DEP_1)
	v_and_b32_e32 v1, 0x7f800000, v0
	v_cmp_ne_u32_e64 s2, 0x7f800000, v1
                                        ; implicit-def: $vgpr1
                                        ; kill: killed $vgpr1
	s_delay_alu instid0(VALU_DEP_1) | instskip(NEXT) | instid1(SALU_CYCLE_1)
	s_and_saveexec_b32 s3, s2
	s_xor_b32 s2, exec_lo, s3
	s_cbranch_execz .LBB468_438
; %bb.437:                              ;   in Loop: Header=BB468_8 Depth=1
	v_bfe_u32 v1, v0, 16, 1
	s_delay_alu instid0(VALU_DEP_1)
	v_add3_u32 v0, v0, v1, 0x7fff
	scratch_store_b32 off, v0, s32 offset:456 ; 4-byte Folded Spill
                                        ; implicit-def: $vgpr0
.LBB468_438:                            ;   in Loop: Header=BB468_8 Depth=1
	s_and_not1_saveexec_b32 s3, s2
	s_cbranch_execz .LBB468_440
; %bb.439:                              ;   in Loop: Header=BB468_8 Depth=1
	v_and_b32_e32 v1, 0xffff, v0
	v_or_b32_e32 v2, 0x10000, v0
	s_delay_alu instid0(VALU_DEP_2) | instskip(NEXT) | instid1(VALU_DEP_1)
	v_cmp_eq_u32_e64 s2, 0, v1
	v_cndmask_b32_e64 v0, v2, v0, s2
	scratch_store_b32 off, v0, s32 offset:456 ; 4-byte Folded Spill
.LBB468_440:                            ;   in Loop: Header=BB468_8 Depth=1
	s_or_b32 exec_lo, exec_lo, s3
	v_dual_mov_b32 v18, v31 :: v_dual_and_b32 v1, 0xff, v31
	v_mov_b32_e32 v0, 0
	s_mov_b32 s3, exec_lo
	s_delay_alu instid0(VALU_DEP_2)
	v_cmpx_ne_u16_e32 0, v1
	s_cbranch_execz .LBB468_448
; %bb.441:                              ;   in Loop: Header=BB468_8 Depth=1
	v_bfrev_b32_e32 v0, 1
	s_mov_b32 s17, exec_lo
	v_cmpx_ne_u16_e32 0x80, v1
	s_cbranch_execz .LBB468_447
; %bb.442:                              ;   in Loop: Header=BB468_8 Depth=1
	v_and_b32_e32 v1, 0x7f, v31
	v_mov_b32_e32 v0, 0x7f800001
	s_mov_b32 s19, exec_lo
	s_delay_alu instid0(VALU_DEP_2)
	v_cmpx_ne_u32_e32 0x7f, v1
	s_cbranch_execz .LBB468_446
; %bb.443:                              ;   in Loop: Header=BB468_8 Depth=1
	v_lshrrev_b32_e32 v0, 3, v1
	v_dual_mov_b32 v33, v19 :: v_dual_mov_b32 v32, v18
	s_mov_b32 s21, exec_lo
	v_cmpx_gt_u32_e32 8, v1
; %bb.444:                              ;   in Loop: Header=BB468_8 Depth=1
	v_and_b32_e32 v0, 7, v31
	s_delay_alu instid0(VALU_DEP_1) | instskip(NEXT) | instid1(VALU_DEP_1)
	v_clz_i32_u32_e32 v0, v0
	v_min_u32_e32 v0, 32, v0
	s_delay_alu instid0(VALU_DEP_1) | instskip(SKIP_1) | instid1(VALU_DEP_2)
	v_subrev_nc_u32_e32 v1, 28, v0
	v_sub_nc_u32_e32 v0, 29, v0
	v_lshlrev_b64 v[32:33], v1, v[18:19]
; %bb.445:                              ;   in Loop: Header=BB468_8 Depth=1
	s_or_b32 exec_lo, exec_lo, s21
	s_delay_alu instid0(VALU_DEP_1) | instskip(SKIP_2) | instid1(VALU_DEP_3)
	v_lshlrev_b32_e32 v1, 20, v32
	v_lshlrev_b32_e32 v2, 24, v18
	v_lshl_add_u32 v0, v0, 23, 0x3c000000
	v_and_b32_e32 v1, 0x700000, v1
	s_delay_alu instid0(VALU_DEP_3) | instskip(NEXT) | instid1(VALU_DEP_1)
	v_and_b32_e32 v2, 0x80000000, v2
	v_or3_b32 v0, v1, v2, v0
.LBB468_446:                            ;   in Loop: Header=BB468_8 Depth=1
	s_or_b32 exec_lo, exec_lo, s19
.LBB468_447:                            ;   in Loop: Header=BB468_8 Depth=1
	s_delay_alu instid0(SALU_CYCLE_1)
	s_or_b32 exec_lo, exec_lo, s17
.LBB468_448:                            ;   in Loop: Header=BB468_8 Depth=1
	s_delay_alu instid0(SALU_CYCLE_1) | instskip(NEXT) | instid1(VALU_DEP_1)
	s_or_b32 exec_lo, exec_lo, s3
	v_mul_f32_e32 v0, v79, v0
	s_delay_alu instid0(VALU_DEP_1) | instskip(NEXT) | instid1(VALU_DEP_1)
	v_and_b32_e32 v1, 0x7f800000, v0
	v_cmp_ne_u32_e64 s2, 0x7f800000, v1
                                        ; implicit-def: $vgpr1
                                        ; kill: killed $vgpr1
	s_delay_alu instid0(VALU_DEP_1) | instskip(NEXT) | instid1(SALU_CYCLE_1)
	s_and_saveexec_b32 s3, s2
	s_xor_b32 s2, exec_lo, s3
	s_cbranch_execz .LBB468_450
; %bb.449:                              ;   in Loop: Header=BB468_8 Depth=1
	v_bfe_u32 v1, v0, 16, 1
	s_delay_alu instid0(VALU_DEP_1)
	v_add3_u32 v0, v0, v1, 0x7fff
	scratch_store_b32 off, v0, s32 offset:460 ; 4-byte Folded Spill
                                        ; implicit-def: $vgpr0
.LBB468_450:                            ;   in Loop: Header=BB468_8 Depth=1
	s_and_not1_saveexec_b32 s3, s2
	s_cbranch_execz .LBB468_452
; %bb.451:                              ;   in Loop: Header=BB468_8 Depth=1
	v_and_b32_e32 v1, 0xffff, v0
	v_or_b32_e32 v2, 0x10000, v0
	s_delay_alu instid0(VALU_DEP_2) | instskip(NEXT) | instid1(VALU_DEP_1)
	v_cmp_eq_u32_e64 s2, 0, v1
	v_cndmask_b32_e64 v0, v2, v0, s2
	scratch_store_b32 off, v0, s32 offset:460 ; 4-byte Folded Spill
.LBB468_452:                            ;   in Loop: Header=BB468_8 Depth=1
	s_or_b32 exec_lo, exec_lo, s3
	v_lshrrev_b16 v1, 8, v18
	v_mov_b32_e32 v0, 0
	s_mov_b32 s3, exec_lo
	s_delay_alu instid0(VALU_DEP_2)
	v_cmpx_ne_u16_e32 0, v1
	s_cbranch_execz .LBB468_460
; %bb.453:                              ;   in Loop: Header=BB468_8 Depth=1
	v_bfrev_b32_e32 v0, 1
	s_mov_b32 s17, exec_lo
	v_cmpx_ne_u16_e32 0x80, v1
	s_cbranch_execz .LBB468_459
; %bb.454:                              ;   in Loop: Header=BB468_8 Depth=1
	v_and_b32_e32 v2, 0xffff, v1
	v_mov_b32_e32 v0, 0x7f800001
	s_mov_b32 s19, exec_lo
	s_delay_alu instid0(VALU_DEP_2) | instskip(NEXT) | instid1(VALU_DEP_1)
	v_and_b32_e32 v1, 0x7f, v2
	v_cmpx_ne_u32_e32 0x7f, v1
	s_cbranch_execz .LBB468_458
; %bb.455:                              ;   in Loop: Header=BB468_8 Depth=1
	v_dual_mov_b32 v33, v19 :: v_dual_and_b32 v32, 7, v2
	v_lshrrev_b32_e32 v0, 3, v1
	s_mov_b32 s21, exec_lo
	v_cmpx_gt_u32_e32 8, v1
; %bb.456:                              ;   in Loop: Header=BB468_8 Depth=1
	s_delay_alu instid0(VALU_DEP_3) | instskip(NEXT) | instid1(VALU_DEP_1)
	v_clz_i32_u32_e32 v0, v32
	v_min_u32_e32 v0, 32, v0
	s_delay_alu instid0(VALU_DEP_1) | instskip(SKIP_1) | instid1(VALU_DEP_2)
	v_subrev_nc_u32_e32 v1, 28, v0
	v_sub_nc_u32_e32 v0, 29, v0
	v_lshlrev_b64 v[1:2], v1, v[32:33]
	s_delay_alu instid0(VALU_DEP_1)
	v_and_b32_e32 v32, 7, v1
; %bb.457:                              ;   in Loop: Header=BB468_8 Depth=1
	s_or_b32 exec_lo, exec_lo, s21
	v_lshlrev_b32_e32 v1, 16, v18
	s_delay_alu instid0(VALU_DEP_2) | instskip(SKIP_1) | instid1(VALU_DEP_3)
	v_lshlrev_b32_e32 v2, 20, v32
	v_lshl_add_u32 v0, v0, 23, 0x3c000000
	v_and_b32_e32 v1, 0x80000000, v1
	s_delay_alu instid0(VALU_DEP_1)
	v_or3_b32 v0, v2, v1, v0
.LBB468_458:                            ;   in Loop: Header=BB468_8 Depth=1
	s_or_b32 exec_lo, exec_lo, s19
.LBB468_459:                            ;   in Loop: Header=BB468_8 Depth=1
	s_delay_alu instid0(SALU_CYCLE_1)
	s_or_b32 exec_lo, exec_lo, s17
.LBB468_460:                            ;   in Loop: Header=BB468_8 Depth=1
	s_delay_alu instid0(SALU_CYCLE_1) | instskip(NEXT) | instid1(VALU_DEP_1)
	s_or_b32 exec_lo, exec_lo, s3
	v_mul_f32_e32 v0, v79, v0
	s_delay_alu instid0(VALU_DEP_1) | instskip(NEXT) | instid1(VALU_DEP_1)
	v_and_b32_e32 v1, 0x7f800000, v0
	v_cmp_ne_u32_e64 s2, 0x7f800000, v1
                                        ; implicit-def: $vgpr1
                                        ; kill: killed $vgpr1
	s_delay_alu instid0(VALU_DEP_1) | instskip(NEXT) | instid1(SALU_CYCLE_1)
	s_and_saveexec_b32 s3, s2
	s_xor_b32 s2, exec_lo, s3
	s_cbranch_execz .LBB468_462
; %bb.461:                              ;   in Loop: Header=BB468_8 Depth=1
	v_bfe_u32 v1, v0, 16, 1
	s_delay_alu instid0(VALU_DEP_1)
	v_add3_u32 v0, v0, v1, 0x7fff
	scratch_store_b32 off, v0, s32 offset:464 ; 4-byte Folded Spill
                                        ; implicit-def: $vgpr0
.LBB468_462:                            ;   in Loop: Header=BB468_8 Depth=1
	s_and_not1_saveexec_b32 s3, s2
	s_cbranch_execz .LBB468_464
; %bb.463:                              ;   in Loop: Header=BB468_8 Depth=1
	v_and_b32_e32 v1, 0xffff, v0
	v_or_b32_e32 v2, 0x10000, v0
	s_delay_alu instid0(VALU_DEP_2) | instskip(NEXT) | instid1(VALU_DEP_1)
	v_cmp_eq_u32_e64 s2, 0, v1
	v_cndmask_b32_e64 v0, v2, v0, s2
	scratch_store_b32 off, v0, s32 offset:464 ; 4-byte Folded Spill
.LBB468_464:                            ;   in Loop: Header=BB468_8 Depth=1
	s_or_b32 exec_lo, exec_lo, s3
	v_lshrrev_b32_e32 v0, 16, v31
	s_mov_b32 s3, exec_lo
	s_delay_alu instid0(VALU_DEP_1) | instskip(NEXT) | instid1(VALU_DEP_1)
	v_dual_mov_b32 v1, 0 :: v_dual_and_b32 v2, 0xff, v0
	v_cmpx_ne_u16_e32 0, v2
	s_cbranch_execz .LBB468_472
; %bb.465:                              ;   in Loop: Header=BB468_8 Depth=1
	v_bfrev_b32_e32 v1, 1
	s_mov_b32 s17, exec_lo
	v_cmpx_ne_u16_e32 0x80, v2
	s_cbranch_execz .LBB468_471
; %bb.466:                              ;   in Loop: Header=BB468_8 Depth=1
	v_bfe_u32 v2, v31, 16, 7
	v_mov_b32_e32 v1, 0x7f800001
	s_mov_b32 s19, exec_lo
	s_delay_alu instid0(VALU_DEP_2)
	v_cmpx_ne_u32_e32 0x7f, v2
	s_cbranch_execz .LBB468_470
; %bb.467:                              ;   in Loop: Header=BB468_8 Depth=1
	v_and_b32_e32 v18, 7, v0
	v_lshrrev_b32_e32 v1, 3, v2
	v_mov_b32_e32 v33, v19
	s_mov_b32 s21, exec_lo
	s_delay_alu instid0(VALU_DEP_3)
	v_mov_b32_e32 v32, v18
	v_cmpx_gt_u32_e32 8, v2
; %bb.468:                              ;   in Loop: Header=BB468_8 Depth=1
	v_clz_i32_u32_e32 v1, v18
	s_delay_alu instid0(VALU_DEP_1) | instskip(NEXT) | instid1(VALU_DEP_1)
	v_min_u32_e32 v1, 32, v1
	v_subrev_nc_u32_e32 v2, 28, v1
	v_sub_nc_u32_e32 v1, 29, v1
	s_delay_alu instid0(VALU_DEP_2) | instskip(NEXT) | instid1(VALU_DEP_1)
	v_lshlrev_b64 v[2:3], v2, v[18:19]
	v_and_b32_e32 v32, 7, v2
; %bb.469:                              ;   in Loop: Header=BB468_8 Depth=1
	s_or_b32 exec_lo, exec_lo, s21
	v_lshlrev_b32_e32 v0, 24, v0
	s_delay_alu instid0(VALU_DEP_2) | instskip(SKIP_1) | instid1(VALU_DEP_3)
	v_lshlrev_b32_e32 v2, 20, v32
	v_lshl_add_u32 v1, v1, 23, 0x3c000000
	v_and_b32_e32 v0, 0x80000000, v0
	s_delay_alu instid0(VALU_DEP_1)
	v_or3_b32 v1, v2, v0, v1
.LBB468_470:                            ;   in Loop: Header=BB468_8 Depth=1
	s_or_b32 exec_lo, exec_lo, s19
.LBB468_471:                            ;   in Loop: Header=BB468_8 Depth=1
	s_delay_alu instid0(SALU_CYCLE_1)
	s_or_b32 exec_lo, exec_lo, s17
.LBB468_472:                            ;   in Loop: Header=BB468_8 Depth=1
	s_delay_alu instid0(SALU_CYCLE_1) | instskip(NEXT) | instid1(VALU_DEP_1)
	s_or_b32 exec_lo, exec_lo, s3
	v_mul_f32_e32 v0, v79, v1
	s_delay_alu instid0(VALU_DEP_1) | instskip(NEXT) | instid1(VALU_DEP_1)
	v_and_b32_e32 v1, 0x7f800000, v0
	v_cmp_ne_u32_e64 s2, 0x7f800000, v1
                                        ; implicit-def: $vgpr1
                                        ; kill: killed $vgpr1
	s_delay_alu instid0(VALU_DEP_1) | instskip(NEXT) | instid1(SALU_CYCLE_1)
	s_and_saveexec_b32 s3, s2
	s_xor_b32 s2, exec_lo, s3
	s_cbranch_execz .LBB468_474
; %bb.473:                              ;   in Loop: Header=BB468_8 Depth=1
	v_bfe_u32 v1, v0, 16, 1
	s_delay_alu instid0(VALU_DEP_1)
	v_add3_u32 v0, v0, v1, 0x7fff
	scratch_store_b32 off, v0, s32 offset:468 ; 4-byte Folded Spill
                                        ; implicit-def: $vgpr0
.LBB468_474:                            ;   in Loop: Header=BB468_8 Depth=1
	s_and_not1_saveexec_b32 s3, s2
	s_cbranch_execz .LBB468_476
; %bb.475:                              ;   in Loop: Header=BB468_8 Depth=1
	v_and_b32_e32 v1, 0xffff, v0
	v_or_b32_e32 v2, 0x10000, v0
	s_delay_alu instid0(VALU_DEP_2) | instskip(NEXT) | instid1(VALU_DEP_1)
	v_cmp_eq_u32_e64 s2, 0, v1
	v_cndmask_b32_e64 v0, v2, v0, s2
	scratch_store_b32 off, v0, s32 offset:468 ; 4-byte Folded Spill
.LBB468_476:                            ;   in Loop: Header=BB468_8 Depth=1
	s_or_b32 exec_lo, exec_lo, s3
	v_mov_b32_e32 v1, 0
	s_mov_b32 s3, exec_lo
	v_cmpx_lt_u64_e64 s[4:5], v[30:31]
	s_cbranch_execz .LBB468_484
; %bb.477:                              ;   in Loop: Header=BB468_8 Depth=1
	v_lshrrev_b32_e32 v0, 24, v31
	v_bfrev_b32_e32 v1, 1
	s_mov_b32 s17, exec_lo
	s_delay_alu instid0(VALU_DEP_2)
	v_cmpx_ne_u32_e32 0x80, v0
	s_cbranch_execz .LBB468_483
; %bb.478:                              ;   in Loop: Header=BB468_8 Depth=1
	v_bfe_u32 v2, v31, 24, 7
	v_mov_b32_e32 v1, 0x7f800001
	s_mov_b32 s19, exec_lo
	s_delay_alu instid0(VALU_DEP_2)
	v_cmpx_ne_u32_e32 0x7f, v2
	s_cbranch_execz .LBB468_482
; %bb.479:                              ;   in Loop: Header=BB468_8 Depth=1
	v_and_b32_e32 v18, 7, v0
	v_lshrrev_b32_e32 v1, 3, v2
	v_mov_b32_e32 v31, v19
	s_mov_b32 s21, exec_lo
	s_delay_alu instid0(VALU_DEP_3)
	v_mov_b32_e32 v30, v18
	v_cmpx_gt_u32_e32 8, v2
; %bb.480:                              ;   in Loop: Header=BB468_8 Depth=1
	v_clz_i32_u32_e32 v1, v18
	s_delay_alu instid0(VALU_DEP_1) | instskip(NEXT) | instid1(VALU_DEP_1)
	v_min_u32_e32 v1, 32, v1
	v_subrev_nc_u32_e32 v2, 28, v1
	v_sub_nc_u32_e32 v1, 29, v1
	s_delay_alu instid0(VALU_DEP_2) | instskip(NEXT) | instid1(VALU_DEP_1)
	v_lshlrev_b64 v[2:3], v2, v[18:19]
	v_and_b32_e32 v30, 7, v2
; %bb.481:                              ;   in Loop: Header=BB468_8 Depth=1
	s_or_b32 exec_lo, exec_lo, s21
	v_lshlrev_b32_e32 v0, 24, v0
	s_delay_alu instid0(VALU_DEP_2) | instskip(SKIP_1) | instid1(VALU_DEP_3)
	v_lshlrev_b32_e32 v2, 20, v30
	v_lshl_add_u32 v1, v1, 23, 0x3c000000
	v_and_b32_e32 v0, 0x80000000, v0
	s_delay_alu instid0(VALU_DEP_1)
	v_or3_b32 v1, v2, v0, v1
.LBB468_482:                            ;   in Loop: Header=BB468_8 Depth=1
	s_or_b32 exec_lo, exec_lo, s19
.LBB468_483:                            ;   in Loop: Header=BB468_8 Depth=1
	s_delay_alu instid0(SALU_CYCLE_1)
	s_or_b32 exec_lo, exec_lo, s17
.LBB468_484:                            ;   in Loop: Header=BB468_8 Depth=1
	s_delay_alu instid0(SALU_CYCLE_1) | instskip(NEXT) | instid1(VALU_DEP_1)
	s_or_b32 exec_lo, exec_lo, s3
	v_mul_f32_e32 v0, v79, v1
	s_delay_alu instid0(VALU_DEP_1) | instskip(NEXT) | instid1(VALU_DEP_1)
	v_and_b32_e32 v1, 0x7f800000, v0
	v_cmp_ne_u32_e64 s2, 0x7f800000, v1
                                        ; implicit-def: $vgpr1
                                        ; kill: killed $vgpr1
	s_delay_alu instid0(VALU_DEP_1) | instskip(NEXT) | instid1(SALU_CYCLE_1)
	s_and_saveexec_b32 s3, s2
	s_xor_b32 s2, exec_lo, s3
	s_cbranch_execz .LBB468_486
; %bb.485:                              ;   in Loop: Header=BB468_8 Depth=1
	v_bfe_u32 v1, v0, 16, 1
	s_delay_alu instid0(VALU_DEP_1)
	v_add3_u32 v0, v0, v1, 0x7fff
	scratch_store_b32 off, v0, s32 offset:472 ; 4-byte Folded Spill
                                        ; implicit-def: $vgpr0
.LBB468_486:                            ;   in Loop: Header=BB468_8 Depth=1
	s_and_not1_saveexec_b32 s3, s2
	s_cbranch_execz .LBB468_488
; %bb.487:                              ;   in Loop: Header=BB468_8 Depth=1
	v_and_b32_e32 v1, 0xffff, v0
	v_or_b32_e32 v2, 0x10000, v0
	s_delay_alu instid0(VALU_DEP_2) | instskip(NEXT) | instid1(VALU_DEP_1)
	v_cmp_eq_u32_e64 s2, 0, v1
	v_cndmask_b32_e64 v0, v2, v0, s2
	scratch_store_b32 off, v0, s32 offset:472 ; 4-byte Folded Spill
.LBB468_488:                            ;   in Loop: Header=BB468_8 Depth=1
	s_or_b32 exec_lo, exec_lo, s3
	flat_load_b64 v[30:31], v[28:29] offset:1032
	s_mov_b32 s3, exec_lo
	s_waitcnt vmcnt(0) lgkmcnt(0)
	v_dual_mov_b32 v0, 0 :: v_dual_and_b32 v1, 0xff, v30
	s_delay_alu instid0(VALU_DEP_1)
	v_cmpx_ne_u16_e32 0, v1
	s_cbranch_execz .LBB468_496
; %bb.489:                              ;   in Loop: Header=BB468_8 Depth=1
	v_bfrev_b32_e32 v0, 1
	s_mov_b32 s17, exec_lo
	v_cmpx_ne_u16_e32 0x80, v1
	s_cbranch_execz .LBB468_495
; %bb.490:                              ;   in Loop: Header=BB468_8 Depth=1
	v_and_b32_e32 v1, 0x7f, v30
	v_mov_b32_e32 v0, 0x7f800001
	s_mov_b32 s19, exec_lo
	s_delay_alu instid0(VALU_DEP_2)
	v_cmpx_ne_u32_e32 0x7f, v1
	s_cbranch_execz .LBB468_494
; %bb.491:                              ;   in Loop: Header=BB468_8 Depth=1
	v_lshrrev_b32_e32 v0, 3, v1
	v_dual_mov_b32 v33, v31 :: v_dual_mov_b32 v32, v30
	s_mov_b32 s21, exec_lo
	v_cmpx_gt_u32_e32 8, v1
; %bb.492:                              ;   in Loop: Header=BB468_8 Depth=1
	v_and_b32_e32 v0, 7, v30
	s_delay_alu instid0(VALU_DEP_1) | instskip(NEXT) | instid1(VALU_DEP_1)
	v_clz_i32_u32_e32 v0, v0
	v_min_u32_e32 v0, 32, v0
	s_delay_alu instid0(VALU_DEP_1) | instskip(SKIP_1) | instid1(VALU_DEP_2)
	v_subrev_nc_u32_e32 v1, 28, v0
	v_sub_nc_u32_e32 v0, 29, v0
	v_lshlrev_b64 v[32:33], v1, v[30:31]
; %bb.493:                              ;   in Loop: Header=BB468_8 Depth=1
	s_or_b32 exec_lo, exec_lo, s21
	s_delay_alu instid0(VALU_DEP_1) | instskip(SKIP_2) | instid1(VALU_DEP_3)
	v_lshlrev_b32_e32 v1, 20, v32
	v_lshlrev_b32_e32 v2, 24, v30
	v_lshl_add_u32 v0, v0, 23, 0x3c000000
	v_and_b32_e32 v1, 0x700000, v1
	s_delay_alu instid0(VALU_DEP_3) | instskip(NEXT) | instid1(VALU_DEP_1)
	v_and_b32_e32 v2, 0x80000000, v2
	v_or3_b32 v0, v1, v2, v0
.LBB468_494:                            ;   in Loop: Header=BB468_8 Depth=1
	s_or_b32 exec_lo, exec_lo, s19
.LBB468_495:                            ;   in Loop: Header=BB468_8 Depth=1
	s_delay_alu instid0(SALU_CYCLE_1)
	s_or_b32 exec_lo, exec_lo, s17
.LBB468_496:                            ;   in Loop: Header=BB468_8 Depth=1
	s_delay_alu instid0(SALU_CYCLE_1) | instskip(NEXT) | instid1(VALU_DEP_1)
	s_or_b32 exec_lo, exec_lo, s3
	v_mul_f32_e32 v0, v79, v0
	s_delay_alu instid0(VALU_DEP_1) | instskip(NEXT) | instid1(VALU_DEP_1)
	v_and_b32_e32 v1, 0x7f800000, v0
	v_cmp_ne_u32_e64 s2, 0x7f800000, v1
                                        ; implicit-def: $vgpr1
                                        ; kill: killed $vgpr1
	s_delay_alu instid0(VALU_DEP_1) | instskip(NEXT) | instid1(SALU_CYCLE_1)
	s_and_saveexec_b32 s3, s2
	s_xor_b32 s2, exec_lo, s3
	s_cbranch_execz .LBB468_498
; %bb.497:                              ;   in Loop: Header=BB468_8 Depth=1
	v_bfe_u32 v1, v0, 16, 1
	s_delay_alu instid0(VALU_DEP_1)
	v_add3_u32 v0, v0, v1, 0x7fff
	scratch_store_b32 off, v0, s32 offset:476 ; 4-byte Folded Spill
                                        ; implicit-def: $vgpr0
.LBB468_498:                            ;   in Loop: Header=BB468_8 Depth=1
	s_and_not1_saveexec_b32 s3, s2
	s_cbranch_execz .LBB468_500
; %bb.499:                              ;   in Loop: Header=BB468_8 Depth=1
	v_and_b32_e32 v1, 0xffff, v0
	v_or_b32_e32 v2, 0x10000, v0
	s_delay_alu instid0(VALU_DEP_2) | instskip(NEXT) | instid1(VALU_DEP_1)
	v_cmp_eq_u32_e64 s2, 0, v1
	v_cndmask_b32_e64 v0, v2, v0, s2
	scratch_store_b32 off, v0, s32 offset:476 ; 4-byte Folded Spill
.LBB468_500:                            ;   in Loop: Header=BB468_8 Depth=1
	s_or_b32 exec_lo, exec_lo, s3
	v_lshrrev_b16 v1, 8, v30
	v_mov_b32_e32 v0, 0
	s_mov_b32 s3, exec_lo
	s_delay_alu instid0(VALU_DEP_2)
	v_cmpx_ne_u16_e32 0, v1
	s_cbranch_execz .LBB468_508
; %bb.501:                              ;   in Loop: Header=BB468_8 Depth=1
	v_bfrev_b32_e32 v0, 1
	s_mov_b32 s17, exec_lo
	v_cmpx_ne_u16_e32 0x80, v1
	s_cbranch_execz .LBB468_507
; %bb.502:                              ;   in Loop: Header=BB468_8 Depth=1
	v_and_b32_e32 v2, 0xffff, v1
	v_mov_b32_e32 v0, 0x7f800001
	s_mov_b32 s19, exec_lo
	s_delay_alu instid0(VALU_DEP_2) | instskip(NEXT) | instid1(VALU_DEP_1)
	v_and_b32_e32 v1, 0x7f, v2
	v_cmpx_ne_u32_e32 0x7f, v1
	s_cbranch_execz .LBB468_506
; %bb.503:                              ;   in Loop: Header=BB468_8 Depth=1
	v_and_b32_e32 v18, 7, v2
	v_lshrrev_b32_e32 v0, 3, v1
	v_mov_b32_e32 v33, v19
	s_mov_b32 s21, exec_lo
	s_delay_alu instid0(VALU_DEP_3)
	v_mov_b32_e32 v32, v18
	v_cmpx_gt_u32_e32 8, v1
; %bb.504:                              ;   in Loop: Header=BB468_8 Depth=1
	v_clz_i32_u32_e32 v0, v18
	s_delay_alu instid0(VALU_DEP_1) | instskip(NEXT) | instid1(VALU_DEP_1)
	v_min_u32_e32 v0, 32, v0
	v_subrev_nc_u32_e32 v1, 28, v0
	v_sub_nc_u32_e32 v0, 29, v0
	s_delay_alu instid0(VALU_DEP_2) | instskip(NEXT) | instid1(VALU_DEP_1)
	v_lshlrev_b64 v[1:2], v1, v[18:19]
	v_and_b32_e32 v32, 7, v1
; %bb.505:                              ;   in Loop: Header=BB468_8 Depth=1
	s_or_b32 exec_lo, exec_lo, s21
	v_lshlrev_b32_e32 v1, 16, v30
	s_delay_alu instid0(VALU_DEP_2) | instskip(SKIP_1) | instid1(VALU_DEP_3)
	v_lshlrev_b32_e32 v2, 20, v32
	v_lshl_add_u32 v0, v0, 23, 0x3c000000
	v_and_b32_e32 v1, 0x80000000, v1
	s_delay_alu instid0(VALU_DEP_1)
	v_or3_b32 v0, v2, v1, v0
.LBB468_506:                            ;   in Loop: Header=BB468_8 Depth=1
	s_or_b32 exec_lo, exec_lo, s19
.LBB468_507:                            ;   in Loop: Header=BB468_8 Depth=1
	s_delay_alu instid0(SALU_CYCLE_1)
	s_or_b32 exec_lo, exec_lo, s17
.LBB468_508:                            ;   in Loop: Header=BB468_8 Depth=1
	s_delay_alu instid0(SALU_CYCLE_1) | instskip(NEXT) | instid1(VALU_DEP_1)
	s_or_b32 exec_lo, exec_lo, s3
	v_mul_f32_e32 v0, v79, v0
	s_delay_alu instid0(VALU_DEP_1) | instskip(NEXT) | instid1(VALU_DEP_1)
	v_and_b32_e32 v1, 0x7f800000, v0
	v_cmp_ne_u32_e64 s2, 0x7f800000, v1
                                        ; implicit-def: $vgpr1
                                        ; kill: killed $vgpr1
	s_delay_alu instid0(VALU_DEP_1) | instskip(NEXT) | instid1(SALU_CYCLE_1)
	s_and_saveexec_b32 s3, s2
	s_xor_b32 s2, exec_lo, s3
	s_cbranch_execz .LBB468_510
; %bb.509:                              ;   in Loop: Header=BB468_8 Depth=1
	v_bfe_u32 v1, v0, 16, 1
	s_delay_alu instid0(VALU_DEP_1)
	v_add3_u32 v0, v0, v1, 0x7fff
	scratch_store_b32 off, v0, s32 offset:480 ; 4-byte Folded Spill
                                        ; implicit-def: $vgpr0
.LBB468_510:                            ;   in Loop: Header=BB468_8 Depth=1
	s_and_not1_saveexec_b32 s3, s2
	s_cbranch_execz .LBB468_512
; %bb.511:                              ;   in Loop: Header=BB468_8 Depth=1
	v_and_b32_e32 v1, 0xffff, v0
	v_or_b32_e32 v2, 0x10000, v0
	s_delay_alu instid0(VALU_DEP_2) | instskip(NEXT) | instid1(VALU_DEP_1)
	v_cmp_eq_u32_e64 s2, 0, v1
	v_cndmask_b32_e64 v0, v2, v0, s2
	scratch_store_b32 off, v0, s32 offset:480 ; 4-byte Folded Spill
.LBB468_512:                            ;   in Loop: Header=BB468_8 Depth=1
	s_or_b32 exec_lo, exec_lo, s3
	v_lshrrev_b32_e32 v0, 16, v30
	s_mov_b32 s3, exec_lo
	s_delay_alu instid0(VALU_DEP_1) | instskip(NEXT) | instid1(VALU_DEP_1)
	v_dual_mov_b32 v1, 0 :: v_dual_and_b32 v2, 0xff, v0
	v_cmpx_ne_u16_e32 0, v2
	s_cbranch_execz .LBB468_520
; %bb.513:                              ;   in Loop: Header=BB468_8 Depth=1
	v_bfrev_b32_e32 v1, 1
	s_mov_b32 s17, exec_lo
	v_cmpx_ne_u16_e32 0x80, v2
	s_cbranch_execz .LBB468_519
; %bb.514:                              ;   in Loop: Header=BB468_8 Depth=1
	v_bfe_u32 v2, v30, 16, 7
	v_mov_b32_e32 v1, 0x7f800001
	s_mov_b32 s19, exec_lo
	s_delay_alu instid0(VALU_DEP_2)
	v_cmpx_ne_u32_e32 0x7f, v2
	s_cbranch_execz .LBB468_518
; %bb.515:                              ;   in Loop: Header=BB468_8 Depth=1
	v_and_b32_e32 v18, 7, v0
	v_lshrrev_b32_e32 v1, 3, v2
	v_mov_b32_e32 v33, v19
	s_mov_b32 s21, exec_lo
	s_delay_alu instid0(VALU_DEP_3)
	v_mov_b32_e32 v32, v18
	v_cmpx_gt_u32_e32 8, v2
; %bb.516:                              ;   in Loop: Header=BB468_8 Depth=1
	v_clz_i32_u32_e32 v1, v18
	s_delay_alu instid0(VALU_DEP_1) | instskip(NEXT) | instid1(VALU_DEP_1)
	v_min_u32_e32 v1, 32, v1
	v_subrev_nc_u32_e32 v2, 28, v1
	v_sub_nc_u32_e32 v1, 29, v1
	s_delay_alu instid0(VALU_DEP_2) | instskip(NEXT) | instid1(VALU_DEP_1)
	v_lshlrev_b64 v[2:3], v2, v[18:19]
	v_and_b32_e32 v32, 7, v2
; %bb.517:                              ;   in Loop: Header=BB468_8 Depth=1
	s_or_b32 exec_lo, exec_lo, s21
	v_lshlrev_b32_e32 v0, 24, v0
	s_delay_alu instid0(VALU_DEP_2) | instskip(SKIP_1) | instid1(VALU_DEP_3)
	v_lshlrev_b32_e32 v2, 20, v32
	v_lshl_add_u32 v1, v1, 23, 0x3c000000
	v_and_b32_e32 v0, 0x80000000, v0
	s_delay_alu instid0(VALU_DEP_1)
	v_or3_b32 v1, v2, v0, v1
.LBB468_518:                            ;   in Loop: Header=BB468_8 Depth=1
	s_or_b32 exec_lo, exec_lo, s19
.LBB468_519:                            ;   in Loop: Header=BB468_8 Depth=1
	s_delay_alu instid0(SALU_CYCLE_1)
	s_or_b32 exec_lo, exec_lo, s17
.LBB468_520:                            ;   in Loop: Header=BB468_8 Depth=1
	s_delay_alu instid0(SALU_CYCLE_1) | instskip(NEXT) | instid1(VALU_DEP_1)
	s_or_b32 exec_lo, exec_lo, s3
	v_mul_f32_e32 v0, v79, v1
	s_delay_alu instid0(VALU_DEP_1) | instskip(NEXT) | instid1(VALU_DEP_1)
	v_and_b32_e32 v1, 0x7f800000, v0
	v_cmp_ne_u32_e64 s2, 0x7f800000, v1
                                        ; implicit-def: $vgpr1
                                        ; kill: killed $vgpr1
	s_delay_alu instid0(VALU_DEP_1) | instskip(NEXT) | instid1(SALU_CYCLE_1)
	s_and_saveexec_b32 s3, s2
	s_xor_b32 s2, exec_lo, s3
	s_cbranch_execz .LBB468_522
; %bb.521:                              ;   in Loop: Header=BB468_8 Depth=1
	v_bfe_u32 v1, v0, 16, 1
	s_delay_alu instid0(VALU_DEP_1)
	v_add3_u32 v0, v0, v1, 0x7fff
	scratch_store_b32 off, v0, s32 offset:484 ; 4-byte Folded Spill
                                        ; implicit-def: $vgpr0
.LBB468_522:                            ;   in Loop: Header=BB468_8 Depth=1
	s_and_not1_saveexec_b32 s3, s2
	s_cbranch_execz .LBB468_524
; %bb.523:                              ;   in Loop: Header=BB468_8 Depth=1
	v_and_b32_e32 v1, 0xffff, v0
	v_or_b32_e32 v2, 0x10000, v0
	s_delay_alu instid0(VALU_DEP_2) | instskip(NEXT) | instid1(VALU_DEP_1)
	v_cmp_eq_u32_e64 s2, 0, v1
	v_cndmask_b32_e64 v0, v2, v0, s2
	scratch_store_b32 off, v0, s32 offset:484 ; 4-byte Folded Spill
.LBB468_524:                            ;   in Loop: Header=BB468_8 Depth=1
	s_or_b32 exec_lo, exec_lo, s3
	v_mov_b32_e32 v1, 0
	s_mov_b32 s3, exec_lo
	v_cmpx_lt_u32_e32 0xffffff, v30
	s_cbranch_execz .LBB468_532
; %bb.525:                              ;   in Loop: Header=BB468_8 Depth=1
	v_lshrrev_b32_e32 v0, 24, v30
	v_bfrev_b32_e32 v1, 1
	s_mov_b32 s17, exec_lo
	s_delay_alu instid0(VALU_DEP_2)
	v_cmpx_ne_u32_e32 0x80, v0
	s_cbranch_execz .LBB468_531
; %bb.526:                              ;   in Loop: Header=BB468_8 Depth=1
	v_bfe_u32 v2, v30, 24, 7
	v_mov_b32_e32 v1, 0x7f800001
	s_mov_b32 s19, exec_lo
	s_delay_alu instid0(VALU_DEP_2)
	v_cmpx_ne_u32_e32 0x7f, v2
	s_cbranch_execz .LBB468_530
; %bb.527:                              ;   in Loop: Header=BB468_8 Depth=1
	v_and_b32_e32 v18, 7, v0
	v_lshrrev_b32_e32 v1, 3, v2
	v_mov_b32_e32 v33, v19
	s_mov_b32 s21, exec_lo
	s_delay_alu instid0(VALU_DEP_3)
	v_mov_b32_e32 v32, v18
	v_cmpx_gt_u32_e32 8, v2
; %bb.528:                              ;   in Loop: Header=BB468_8 Depth=1
	v_clz_i32_u32_e32 v1, v18
	s_delay_alu instid0(VALU_DEP_1) | instskip(NEXT) | instid1(VALU_DEP_1)
	v_min_u32_e32 v1, 32, v1
	v_subrev_nc_u32_e32 v2, 28, v1
	v_sub_nc_u32_e32 v1, 29, v1
	s_delay_alu instid0(VALU_DEP_2) | instskip(NEXT) | instid1(VALU_DEP_1)
	v_lshlrev_b64 v[2:3], v2, v[18:19]
	v_and_b32_e32 v32, 7, v2
; %bb.529:                              ;   in Loop: Header=BB468_8 Depth=1
	s_or_b32 exec_lo, exec_lo, s21
	v_lshlrev_b32_e32 v0, 24, v0
	s_delay_alu instid0(VALU_DEP_2) | instskip(SKIP_1) | instid1(VALU_DEP_3)
	v_lshlrev_b32_e32 v2, 20, v32
	v_lshl_add_u32 v1, v1, 23, 0x3c000000
	v_and_b32_e32 v0, 0x80000000, v0
	s_delay_alu instid0(VALU_DEP_1)
	v_or3_b32 v1, v2, v0, v1
.LBB468_530:                            ;   in Loop: Header=BB468_8 Depth=1
	s_or_b32 exec_lo, exec_lo, s19
.LBB468_531:                            ;   in Loop: Header=BB468_8 Depth=1
	s_delay_alu instid0(SALU_CYCLE_1)
	s_or_b32 exec_lo, exec_lo, s17
.LBB468_532:                            ;   in Loop: Header=BB468_8 Depth=1
	s_delay_alu instid0(SALU_CYCLE_1) | instskip(NEXT) | instid1(VALU_DEP_1)
	s_or_b32 exec_lo, exec_lo, s3
	v_mul_f32_e32 v0, v79, v1
	s_delay_alu instid0(VALU_DEP_1) | instskip(NEXT) | instid1(VALU_DEP_1)
	v_and_b32_e32 v1, 0x7f800000, v0
	v_cmp_ne_u32_e64 s2, 0x7f800000, v1
                                        ; implicit-def: $vgpr1
                                        ; kill: killed $vgpr1
	s_delay_alu instid0(VALU_DEP_1) | instskip(NEXT) | instid1(SALU_CYCLE_1)
	s_and_saveexec_b32 s3, s2
	s_xor_b32 s2, exec_lo, s3
	s_cbranch_execz .LBB468_534
; %bb.533:                              ;   in Loop: Header=BB468_8 Depth=1
	v_bfe_u32 v1, v0, 16, 1
	s_delay_alu instid0(VALU_DEP_1)
	v_add3_u32 v0, v0, v1, 0x7fff
	scratch_store_b32 off, v0, s32 offset:488 ; 4-byte Folded Spill
                                        ; implicit-def: $vgpr0
.LBB468_534:                            ;   in Loop: Header=BB468_8 Depth=1
	s_and_not1_saveexec_b32 s3, s2
	s_cbranch_execz .LBB468_536
; %bb.535:                              ;   in Loop: Header=BB468_8 Depth=1
	v_and_b32_e32 v1, 0xffff, v0
	v_or_b32_e32 v2, 0x10000, v0
	s_delay_alu instid0(VALU_DEP_2) | instskip(NEXT) | instid1(VALU_DEP_1)
	v_cmp_eq_u32_e64 s2, 0, v1
	v_cndmask_b32_e64 v0, v2, v0, s2
	scratch_store_b32 off, v0, s32 offset:488 ; 4-byte Folded Spill
.LBB468_536:                            ;   in Loop: Header=BB468_8 Depth=1
	s_or_b32 exec_lo, exec_lo, s3
	v_dual_mov_b32 v18, v31 :: v_dual_and_b32 v1, 0xff, v31
	v_mov_b32_e32 v0, 0
	s_mov_b32 s3, exec_lo
	s_delay_alu instid0(VALU_DEP_2)
	v_cmpx_ne_u16_e32 0, v1
	s_cbranch_execz .LBB468_544
; %bb.537:                              ;   in Loop: Header=BB468_8 Depth=1
	v_bfrev_b32_e32 v0, 1
	s_mov_b32 s17, exec_lo
	v_cmpx_ne_u16_e32 0x80, v1
	s_cbranch_execz .LBB468_543
; %bb.538:                              ;   in Loop: Header=BB468_8 Depth=1
	v_and_b32_e32 v1, 0x7f, v31
	v_mov_b32_e32 v0, 0x7f800001
	s_mov_b32 s19, exec_lo
	s_delay_alu instid0(VALU_DEP_2)
	v_cmpx_ne_u32_e32 0x7f, v1
	s_cbranch_execz .LBB468_542
; %bb.539:                              ;   in Loop: Header=BB468_8 Depth=1
	v_lshrrev_b32_e32 v0, 3, v1
	v_dual_mov_b32 v33, v19 :: v_dual_mov_b32 v32, v18
	s_mov_b32 s21, exec_lo
	v_cmpx_gt_u32_e32 8, v1
; %bb.540:                              ;   in Loop: Header=BB468_8 Depth=1
	v_and_b32_e32 v0, 7, v31
	s_delay_alu instid0(VALU_DEP_1) | instskip(NEXT) | instid1(VALU_DEP_1)
	v_clz_i32_u32_e32 v0, v0
	v_min_u32_e32 v0, 32, v0
	s_delay_alu instid0(VALU_DEP_1) | instskip(SKIP_1) | instid1(VALU_DEP_2)
	v_subrev_nc_u32_e32 v1, 28, v0
	v_sub_nc_u32_e32 v0, 29, v0
	v_lshlrev_b64 v[32:33], v1, v[18:19]
; %bb.541:                              ;   in Loop: Header=BB468_8 Depth=1
	s_or_b32 exec_lo, exec_lo, s21
	s_delay_alu instid0(VALU_DEP_1) | instskip(SKIP_2) | instid1(VALU_DEP_3)
	v_lshlrev_b32_e32 v1, 20, v32
	v_lshlrev_b32_e32 v2, 24, v18
	v_lshl_add_u32 v0, v0, 23, 0x3c000000
	v_and_b32_e32 v1, 0x700000, v1
	s_delay_alu instid0(VALU_DEP_3) | instskip(NEXT) | instid1(VALU_DEP_1)
	v_and_b32_e32 v2, 0x80000000, v2
	v_or3_b32 v0, v1, v2, v0
.LBB468_542:                            ;   in Loop: Header=BB468_8 Depth=1
	s_or_b32 exec_lo, exec_lo, s19
.LBB468_543:                            ;   in Loop: Header=BB468_8 Depth=1
	s_delay_alu instid0(SALU_CYCLE_1)
	s_or_b32 exec_lo, exec_lo, s17
.LBB468_544:                            ;   in Loop: Header=BB468_8 Depth=1
	s_delay_alu instid0(SALU_CYCLE_1) | instskip(NEXT) | instid1(VALU_DEP_1)
	s_or_b32 exec_lo, exec_lo, s3
	v_mul_f32_e32 v0, v79, v0
	s_delay_alu instid0(VALU_DEP_1) | instskip(NEXT) | instid1(VALU_DEP_1)
	v_and_b32_e32 v1, 0x7f800000, v0
	v_cmp_ne_u32_e64 s2, 0x7f800000, v1
                                        ; implicit-def: $vgpr1
                                        ; kill: killed $vgpr1
	s_delay_alu instid0(VALU_DEP_1) | instskip(NEXT) | instid1(SALU_CYCLE_1)
	s_and_saveexec_b32 s3, s2
	s_xor_b32 s2, exec_lo, s3
	s_cbranch_execz .LBB468_546
; %bb.545:                              ;   in Loop: Header=BB468_8 Depth=1
	v_bfe_u32 v1, v0, 16, 1
	s_delay_alu instid0(VALU_DEP_1)
	v_add3_u32 v0, v0, v1, 0x7fff
	scratch_store_b32 off, v0, s32 offset:492 ; 4-byte Folded Spill
                                        ; implicit-def: $vgpr0
.LBB468_546:                            ;   in Loop: Header=BB468_8 Depth=1
	s_and_not1_saveexec_b32 s3, s2
	s_cbranch_execz .LBB468_548
; %bb.547:                              ;   in Loop: Header=BB468_8 Depth=1
	v_and_b32_e32 v1, 0xffff, v0
	v_or_b32_e32 v2, 0x10000, v0
	s_delay_alu instid0(VALU_DEP_2) | instskip(NEXT) | instid1(VALU_DEP_1)
	v_cmp_eq_u32_e64 s2, 0, v1
	v_cndmask_b32_e64 v0, v2, v0, s2
	scratch_store_b32 off, v0, s32 offset:492 ; 4-byte Folded Spill
.LBB468_548:                            ;   in Loop: Header=BB468_8 Depth=1
	s_or_b32 exec_lo, exec_lo, s3
	v_lshrrev_b16 v1, 8, v18
	v_mov_b32_e32 v0, 0
	s_mov_b32 s3, exec_lo
	s_delay_alu instid0(VALU_DEP_2)
	v_cmpx_ne_u16_e32 0, v1
	s_cbranch_execz .LBB468_556
; %bb.549:                              ;   in Loop: Header=BB468_8 Depth=1
	v_bfrev_b32_e32 v0, 1
	s_mov_b32 s17, exec_lo
	v_cmpx_ne_u16_e32 0x80, v1
	s_cbranch_execz .LBB468_555
; %bb.550:                              ;   in Loop: Header=BB468_8 Depth=1
	v_and_b32_e32 v2, 0xffff, v1
	v_mov_b32_e32 v0, 0x7f800001
	s_mov_b32 s19, exec_lo
	s_delay_alu instid0(VALU_DEP_2) | instskip(NEXT) | instid1(VALU_DEP_1)
	v_and_b32_e32 v1, 0x7f, v2
	v_cmpx_ne_u32_e32 0x7f, v1
	s_cbranch_execz .LBB468_554
; %bb.551:                              ;   in Loop: Header=BB468_8 Depth=1
	v_dual_mov_b32 v33, v19 :: v_dual_and_b32 v32, 7, v2
	v_lshrrev_b32_e32 v0, 3, v1
	s_mov_b32 s21, exec_lo
	v_cmpx_gt_u32_e32 8, v1
; %bb.552:                              ;   in Loop: Header=BB468_8 Depth=1
	s_delay_alu instid0(VALU_DEP_3) | instskip(NEXT) | instid1(VALU_DEP_1)
	v_clz_i32_u32_e32 v0, v32
	v_min_u32_e32 v0, 32, v0
	s_delay_alu instid0(VALU_DEP_1) | instskip(SKIP_1) | instid1(VALU_DEP_2)
	v_subrev_nc_u32_e32 v1, 28, v0
	v_sub_nc_u32_e32 v0, 29, v0
	v_lshlrev_b64 v[1:2], v1, v[32:33]
	s_delay_alu instid0(VALU_DEP_1)
	v_and_b32_e32 v32, 7, v1
; %bb.553:                              ;   in Loop: Header=BB468_8 Depth=1
	s_or_b32 exec_lo, exec_lo, s21
	v_lshlrev_b32_e32 v1, 16, v18
	s_delay_alu instid0(VALU_DEP_2) | instskip(SKIP_1) | instid1(VALU_DEP_3)
	v_lshlrev_b32_e32 v2, 20, v32
	v_lshl_add_u32 v0, v0, 23, 0x3c000000
	v_and_b32_e32 v1, 0x80000000, v1
	s_delay_alu instid0(VALU_DEP_1)
	v_or3_b32 v0, v2, v1, v0
.LBB468_554:                            ;   in Loop: Header=BB468_8 Depth=1
	s_or_b32 exec_lo, exec_lo, s19
.LBB468_555:                            ;   in Loop: Header=BB468_8 Depth=1
	s_delay_alu instid0(SALU_CYCLE_1)
	s_or_b32 exec_lo, exec_lo, s17
.LBB468_556:                            ;   in Loop: Header=BB468_8 Depth=1
	s_delay_alu instid0(SALU_CYCLE_1) | instskip(NEXT) | instid1(VALU_DEP_1)
	s_or_b32 exec_lo, exec_lo, s3
	v_mul_f32_e32 v0, v79, v0
	s_delay_alu instid0(VALU_DEP_1) | instskip(NEXT) | instid1(VALU_DEP_1)
	v_and_b32_e32 v1, 0x7f800000, v0
	v_cmp_ne_u32_e64 s2, 0x7f800000, v1
                                        ; implicit-def: $vgpr1
                                        ; kill: killed $vgpr1
	s_delay_alu instid0(VALU_DEP_1) | instskip(NEXT) | instid1(SALU_CYCLE_1)
	s_and_saveexec_b32 s3, s2
	s_xor_b32 s2, exec_lo, s3
	s_cbranch_execz .LBB468_558
; %bb.557:                              ;   in Loop: Header=BB468_8 Depth=1
	v_bfe_u32 v1, v0, 16, 1
	s_delay_alu instid0(VALU_DEP_1)
	v_add3_u32 v0, v0, v1, 0x7fff
	scratch_store_b32 off, v0, s32 offset:496 ; 4-byte Folded Spill
                                        ; implicit-def: $vgpr0
.LBB468_558:                            ;   in Loop: Header=BB468_8 Depth=1
	s_and_not1_saveexec_b32 s3, s2
	s_cbranch_execz .LBB468_560
; %bb.559:                              ;   in Loop: Header=BB468_8 Depth=1
	v_and_b32_e32 v1, 0xffff, v0
	v_or_b32_e32 v2, 0x10000, v0
	s_delay_alu instid0(VALU_DEP_2) | instskip(NEXT) | instid1(VALU_DEP_1)
	v_cmp_eq_u32_e64 s2, 0, v1
	v_cndmask_b32_e64 v0, v2, v0, s2
	scratch_store_b32 off, v0, s32 offset:496 ; 4-byte Folded Spill
.LBB468_560:                            ;   in Loop: Header=BB468_8 Depth=1
	s_or_b32 exec_lo, exec_lo, s3
	v_lshrrev_b32_e32 v0, 16, v31
	s_mov_b32 s3, exec_lo
	s_delay_alu instid0(VALU_DEP_1) | instskip(NEXT) | instid1(VALU_DEP_1)
	v_dual_mov_b32 v1, 0 :: v_dual_and_b32 v2, 0xff, v0
	v_cmpx_ne_u16_e32 0, v2
	s_cbranch_execz .LBB468_568
; %bb.561:                              ;   in Loop: Header=BB468_8 Depth=1
	v_bfrev_b32_e32 v1, 1
	s_mov_b32 s17, exec_lo
	v_cmpx_ne_u16_e32 0x80, v2
	s_cbranch_execz .LBB468_567
; %bb.562:                              ;   in Loop: Header=BB468_8 Depth=1
	v_bfe_u32 v2, v31, 16, 7
	v_mov_b32_e32 v1, 0x7f800001
	s_mov_b32 s19, exec_lo
	s_delay_alu instid0(VALU_DEP_2)
	v_cmpx_ne_u32_e32 0x7f, v2
	s_cbranch_execz .LBB468_566
; %bb.563:                              ;   in Loop: Header=BB468_8 Depth=1
	v_and_b32_e32 v18, 7, v0
	v_lshrrev_b32_e32 v1, 3, v2
	v_mov_b32_e32 v33, v19
	s_mov_b32 s21, exec_lo
	s_delay_alu instid0(VALU_DEP_3)
	v_mov_b32_e32 v32, v18
	v_cmpx_gt_u32_e32 8, v2
; %bb.564:                              ;   in Loop: Header=BB468_8 Depth=1
	v_clz_i32_u32_e32 v1, v18
	s_delay_alu instid0(VALU_DEP_1) | instskip(NEXT) | instid1(VALU_DEP_1)
	v_min_u32_e32 v1, 32, v1
	v_subrev_nc_u32_e32 v2, 28, v1
	v_sub_nc_u32_e32 v1, 29, v1
	s_delay_alu instid0(VALU_DEP_2) | instskip(NEXT) | instid1(VALU_DEP_1)
	v_lshlrev_b64 v[2:3], v2, v[18:19]
	v_and_b32_e32 v32, 7, v2
; %bb.565:                              ;   in Loop: Header=BB468_8 Depth=1
	s_or_b32 exec_lo, exec_lo, s21
	v_lshlrev_b32_e32 v0, 24, v0
	s_delay_alu instid0(VALU_DEP_2) | instskip(SKIP_1) | instid1(VALU_DEP_3)
	v_lshlrev_b32_e32 v2, 20, v32
	v_lshl_add_u32 v1, v1, 23, 0x3c000000
	v_and_b32_e32 v0, 0x80000000, v0
	s_delay_alu instid0(VALU_DEP_1)
	v_or3_b32 v1, v2, v0, v1
.LBB468_566:                            ;   in Loop: Header=BB468_8 Depth=1
	s_or_b32 exec_lo, exec_lo, s19
.LBB468_567:                            ;   in Loop: Header=BB468_8 Depth=1
	s_delay_alu instid0(SALU_CYCLE_1)
	s_or_b32 exec_lo, exec_lo, s17
.LBB468_568:                            ;   in Loop: Header=BB468_8 Depth=1
	s_delay_alu instid0(SALU_CYCLE_1) | instskip(NEXT) | instid1(VALU_DEP_1)
	s_or_b32 exec_lo, exec_lo, s3
	v_mul_f32_e32 v0, v79, v1
	s_delay_alu instid0(VALU_DEP_1) | instskip(NEXT) | instid1(VALU_DEP_1)
	v_and_b32_e32 v1, 0x7f800000, v0
	v_cmp_ne_u32_e64 s2, 0x7f800000, v1
                                        ; implicit-def: $vgpr1
                                        ; kill: killed $vgpr1
	s_delay_alu instid0(VALU_DEP_1) | instskip(NEXT) | instid1(SALU_CYCLE_1)
	s_and_saveexec_b32 s3, s2
	s_xor_b32 s2, exec_lo, s3
	s_cbranch_execz .LBB468_570
; %bb.569:                              ;   in Loop: Header=BB468_8 Depth=1
	v_bfe_u32 v1, v0, 16, 1
	s_delay_alu instid0(VALU_DEP_1)
	v_add3_u32 v0, v0, v1, 0x7fff
	scratch_store_b32 off, v0, s32 offset:500 ; 4-byte Folded Spill
                                        ; implicit-def: $vgpr0
.LBB468_570:                            ;   in Loop: Header=BB468_8 Depth=1
	s_and_not1_saveexec_b32 s3, s2
	s_cbranch_execz .LBB468_572
; %bb.571:                              ;   in Loop: Header=BB468_8 Depth=1
	v_and_b32_e32 v1, 0xffff, v0
	v_or_b32_e32 v2, 0x10000, v0
	s_delay_alu instid0(VALU_DEP_2) | instskip(NEXT) | instid1(VALU_DEP_1)
	v_cmp_eq_u32_e64 s2, 0, v1
	v_cndmask_b32_e64 v0, v2, v0, s2
	scratch_store_b32 off, v0, s32 offset:500 ; 4-byte Folded Spill
.LBB468_572:                            ;   in Loop: Header=BB468_8 Depth=1
	s_or_b32 exec_lo, exec_lo, s3
	v_mov_b32_e32 v1, 0
	s_mov_b32 s3, exec_lo
	v_cmpx_lt_u64_e64 s[4:5], v[30:31]
	s_cbranch_execz .LBB468_580
; %bb.573:                              ;   in Loop: Header=BB468_8 Depth=1
	v_lshrrev_b32_e32 v0, 24, v31
	v_bfrev_b32_e32 v1, 1
	s_mov_b32 s17, exec_lo
	s_delay_alu instid0(VALU_DEP_2)
	v_cmpx_ne_u32_e32 0x80, v0
	s_cbranch_execz .LBB468_579
; %bb.574:                              ;   in Loop: Header=BB468_8 Depth=1
	v_bfe_u32 v2, v31, 24, 7
	v_mov_b32_e32 v1, 0x7f800001
	s_mov_b32 s19, exec_lo
	s_delay_alu instid0(VALU_DEP_2)
	v_cmpx_ne_u32_e32 0x7f, v2
	s_cbranch_execz .LBB468_578
; %bb.575:                              ;   in Loop: Header=BB468_8 Depth=1
	v_and_b32_e32 v18, 7, v0
	v_lshrrev_b32_e32 v1, 3, v2
	v_mov_b32_e32 v31, v19
	s_mov_b32 s21, exec_lo
	s_delay_alu instid0(VALU_DEP_3)
	v_mov_b32_e32 v30, v18
	v_cmpx_gt_u32_e32 8, v2
; %bb.576:                              ;   in Loop: Header=BB468_8 Depth=1
	v_clz_i32_u32_e32 v1, v18
	s_delay_alu instid0(VALU_DEP_1) | instskip(NEXT) | instid1(VALU_DEP_1)
	v_min_u32_e32 v1, 32, v1
	v_subrev_nc_u32_e32 v2, 28, v1
	v_sub_nc_u32_e32 v1, 29, v1
	s_delay_alu instid0(VALU_DEP_2) | instskip(NEXT) | instid1(VALU_DEP_1)
	v_lshlrev_b64 v[2:3], v2, v[18:19]
	v_and_b32_e32 v30, 7, v2
; %bb.577:                              ;   in Loop: Header=BB468_8 Depth=1
	s_or_b32 exec_lo, exec_lo, s21
	v_lshlrev_b32_e32 v0, 24, v0
	s_delay_alu instid0(VALU_DEP_2) | instskip(SKIP_1) | instid1(VALU_DEP_3)
	v_lshlrev_b32_e32 v2, 20, v30
	v_lshl_add_u32 v1, v1, 23, 0x3c000000
	v_and_b32_e32 v0, 0x80000000, v0
	s_delay_alu instid0(VALU_DEP_1)
	v_or3_b32 v1, v2, v0, v1
.LBB468_578:                            ;   in Loop: Header=BB468_8 Depth=1
	s_or_b32 exec_lo, exec_lo, s19
.LBB468_579:                            ;   in Loop: Header=BB468_8 Depth=1
	s_delay_alu instid0(SALU_CYCLE_1)
	s_or_b32 exec_lo, exec_lo, s17
.LBB468_580:                            ;   in Loop: Header=BB468_8 Depth=1
	s_delay_alu instid0(SALU_CYCLE_1) | instskip(NEXT) | instid1(VALU_DEP_1)
	s_or_b32 exec_lo, exec_lo, s3
	v_mul_f32_e32 v0, v79, v1
	s_delay_alu instid0(VALU_DEP_1) | instskip(NEXT) | instid1(VALU_DEP_1)
	v_and_b32_e32 v1, 0x7f800000, v0
	v_cmp_ne_u32_e64 s2, 0x7f800000, v1
                                        ; implicit-def: $vgpr1
                                        ; kill: killed $vgpr1
	s_delay_alu instid0(VALU_DEP_1) | instskip(NEXT) | instid1(SALU_CYCLE_1)
	s_and_saveexec_b32 s3, s2
	s_xor_b32 s2, exec_lo, s3
	s_cbranch_execz .LBB468_582
; %bb.581:                              ;   in Loop: Header=BB468_8 Depth=1
	v_bfe_u32 v1, v0, 16, 1
	s_delay_alu instid0(VALU_DEP_1)
	v_add3_u32 v0, v0, v1, 0x7fff
	scratch_store_b32 off, v0, s32 offset:504 ; 4-byte Folded Spill
                                        ; implicit-def: $vgpr0
.LBB468_582:                            ;   in Loop: Header=BB468_8 Depth=1
	s_and_not1_saveexec_b32 s3, s2
	s_cbranch_execz .LBB468_584
; %bb.583:                              ;   in Loop: Header=BB468_8 Depth=1
	v_and_b32_e32 v1, 0xffff, v0
	v_or_b32_e32 v2, 0x10000, v0
	s_delay_alu instid0(VALU_DEP_2) | instskip(NEXT) | instid1(VALU_DEP_1)
	v_cmp_eq_u32_e64 s2, 0, v1
	v_cndmask_b32_e64 v0, v2, v0, s2
	scratch_store_b32 off, v0, s32 offset:504 ; 4-byte Folded Spill
.LBB468_584:                            ;   in Loop: Header=BB468_8 Depth=1
	s_or_b32 exec_lo, exec_lo, s3
	flat_load_b64 v[30:31], v[28:29] offset:1536
	s_mov_b32 s3, exec_lo
	s_waitcnt vmcnt(0) lgkmcnt(0)
	v_dual_mov_b32 v0, 0 :: v_dual_and_b32 v1, 0xff, v30
	s_delay_alu instid0(VALU_DEP_1)
	v_cmpx_ne_u16_e32 0, v1
	s_cbranch_execz .LBB468_592
; %bb.585:                              ;   in Loop: Header=BB468_8 Depth=1
	v_bfrev_b32_e32 v0, 1
	s_mov_b32 s17, exec_lo
	v_cmpx_ne_u16_e32 0x80, v1
	s_cbranch_execz .LBB468_591
; %bb.586:                              ;   in Loop: Header=BB468_8 Depth=1
	v_and_b32_e32 v1, 0x7f, v30
	v_mov_b32_e32 v0, 0x7f800001
	s_mov_b32 s19, exec_lo
	s_delay_alu instid0(VALU_DEP_2)
	v_cmpx_ne_u32_e32 0x7f, v1
	s_cbranch_execz .LBB468_590
; %bb.587:                              ;   in Loop: Header=BB468_8 Depth=1
	v_lshrrev_b32_e32 v0, 3, v1
	v_dual_mov_b32 v33, v31 :: v_dual_mov_b32 v32, v30
	s_mov_b32 s21, exec_lo
	v_cmpx_gt_u32_e32 8, v1
; %bb.588:                              ;   in Loop: Header=BB468_8 Depth=1
	v_and_b32_e32 v0, 7, v30
	s_delay_alu instid0(VALU_DEP_1) | instskip(NEXT) | instid1(VALU_DEP_1)
	v_clz_i32_u32_e32 v0, v0
	v_min_u32_e32 v0, 32, v0
	s_delay_alu instid0(VALU_DEP_1) | instskip(SKIP_1) | instid1(VALU_DEP_2)
	v_subrev_nc_u32_e32 v1, 28, v0
	v_sub_nc_u32_e32 v0, 29, v0
	v_lshlrev_b64 v[32:33], v1, v[30:31]
; %bb.589:                              ;   in Loop: Header=BB468_8 Depth=1
	s_or_b32 exec_lo, exec_lo, s21
	s_delay_alu instid0(VALU_DEP_1) | instskip(SKIP_2) | instid1(VALU_DEP_3)
	v_lshlrev_b32_e32 v1, 20, v32
	v_lshlrev_b32_e32 v2, 24, v30
	v_lshl_add_u32 v0, v0, 23, 0x3c000000
	v_and_b32_e32 v1, 0x700000, v1
	s_delay_alu instid0(VALU_DEP_3) | instskip(NEXT) | instid1(VALU_DEP_1)
	v_and_b32_e32 v2, 0x80000000, v2
	v_or3_b32 v0, v1, v2, v0
.LBB468_590:                            ;   in Loop: Header=BB468_8 Depth=1
	s_or_b32 exec_lo, exec_lo, s19
.LBB468_591:                            ;   in Loop: Header=BB468_8 Depth=1
	s_delay_alu instid0(SALU_CYCLE_1)
	s_or_b32 exec_lo, exec_lo, s17
.LBB468_592:                            ;   in Loop: Header=BB468_8 Depth=1
	s_delay_alu instid0(SALU_CYCLE_1) | instskip(NEXT) | instid1(VALU_DEP_1)
	s_or_b32 exec_lo, exec_lo, s3
	v_mul_f32_e32 v0, v79, v0
	s_delay_alu instid0(VALU_DEP_1) | instskip(NEXT) | instid1(VALU_DEP_1)
	v_and_b32_e32 v1, 0x7f800000, v0
	v_cmp_ne_u32_e64 s2, 0x7f800000, v1
                                        ; implicit-def: $vgpr1
                                        ; kill: killed $vgpr1
	s_delay_alu instid0(VALU_DEP_1) | instskip(NEXT) | instid1(SALU_CYCLE_1)
	s_and_saveexec_b32 s3, s2
	s_xor_b32 s2, exec_lo, s3
	s_cbranch_execz .LBB468_594
; %bb.593:                              ;   in Loop: Header=BB468_8 Depth=1
	v_bfe_u32 v1, v0, 16, 1
	s_delay_alu instid0(VALU_DEP_1)
	v_add3_u32 v0, v0, v1, 0x7fff
	scratch_store_b32 off, v0, s32 offset:508 ; 4-byte Folded Spill
                                        ; implicit-def: $vgpr0
.LBB468_594:                            ;   in Loop: Header=BB468_8 Depth=1
	s_and_not1_saveexec_b32 s3, s2
	s_cbranch_execz .LBB468_596
; %bb.595:                              ;   in Loop: Header=BB468_8 Depth=1
	v_and_b32_e32 v1, 0xffff, v0
	v_or_b32_e32 v2, 0x10000, v0
	s_delay_alu instid0(VALU_DEP_2) | instskip(NEXT) | instid1(VALU_DEP_1)
	v_cmp_eq_u32_e64 s2, 0, v1
	v_cndmask_b32_e64 v0, v2, v0, s2
	scratch_store_b32 off, v0, s32 offset:508 ; 4-byte Folded Spill
.LBB468_596:                            ;   in Loop: Header=BB468_8 Depth=1
	s_or_b32 exec_lo, exec_lo, s3
	v_lshrrev_b16 v1, 8, v30
	v_mov_b32_e32 v0, 0
	s_mov_b32 s3, exec_lo
	s_delay_alu instid0(VALU_DEP_2)
	v_cmpx_ne_u16_e32 0, v1
	s_cbranch_execz .LBB468_604
; %bb.597:                              ;   in Loop: Header=BB468_8 Depth=1
	v_bfrev_b32_e32 v0, 1
	s_mov_b32 s17, exec_lo
	v_cmpx_ne_u16_e32 0x80, v1
	s_cbranch_execz .LBB468_603
; %bb.598:                              ;   in Loop: Header=BB468_8 Depth=1
	v_and_b32_e32 v2, 0xffff, v1
	v_mov_b32_e32 v0, 0x7f800001
	s_mov_b32 s19, exec_lo
	s_delay_alu instid0(VALU_DEP_2) | instskip(NEXT) | instid1(VALU_DEP_1)
	v_and_b32_e32 v1, 0x7f, v2
	v_cmpx_ne_u32_e32 0x7f, v1
	s_cbranch_execz .LBB468_602
; %bb.599:                              ;   in Loop: Header=BB468_8 Depth=1
	v_and_b32_e32 v18, 7, v2
	v_lshrrev_b32_e32 v0, 3, v1
	v_mov_b32_e32 v33, v19
	s_mov_b32 s21, exec_lo
	s_delay_alu instid0(VALU_DEP_3)
	v_mov_b32_e32 v32, v18
	v_cmpx_gt_u32_e32 8, v1
; %bb.600:                              ;   in Loop: Header=BB468_8 Depth=1
	v_clz_i32_u32_e32 v0, v18
	s_delay_alu instid0(VALU_DEP_1) | instskip(NEXT) | instid1(VALU_DEP_1)
	v_min_u32_e32 v0, 32, v0
	v_subrev_nc_u32_e32 v1, 28, v0
	v_sub_nc_u32_e32 v0, 29, v0
	s_delay_alu instid0(VALU_DEP_2) | instskip(NEXT) | instid1(VALU_DEP_1)
	v_lshlrev_b64 v[1:2], v1, v[18:19]
	v_and_b32_e32 v32, 7, v1
; %bb.601:                              ;   in Loop: Header=BB468_8 Depth=1
	s_or_b32 exec_lo, exec_lo, s21
	v_lshlrev_b32_e32 v1, 16, v30
	s_delay_alu instid0(VALU_DEP_2) | instskip(SKIP_1) | instid1(VALU_DEP_3)
	v_lshlrev_b32_e32 v2, 20, v32
	v_lshl_add_u32 v0, v0, 23, 0x3c000000
	v_and_b32_e32 v1, 0x80000000, v1
	s_delay_alu instid0(VALU_DEP_1)
	v_or3_b32 v0, v2, v1, v0
.LBB468_602:                            ;   in Loop: Header=BB468_8 Depth=1
	s_or_b32 exec_lo, exec_lo, s19
.LBB468_603:                            ;   in Loop: Header=BB468_8 Depth=1
	s_delay_alu instid0(SALU_CYCLE_1)
	s_or_b32 exec_lo, exec_lo, s17
.LBB468_604:                            ;   in Loop: Header=BB468_8 Depth=1
	s_delay_alu instid0(SALU_CYCLE_1) | instskip(NEXT) | instid1(VALU_DEP_1)
	s_or_b32 exec_lo, exec_lo, s3
	v_mul_f32_e32 v0, v79, v0
	s_delay_alu instid0(VALU_DEP_1) | instskip(NEXT) | instid1(VALU_DEP_1)
	v_and_b32_e32 v1, 0x7f800000, v0
	v_cmp_ne_u32_e64 s2, 0x7f800000, v1
                                        ; implicit-def: $vgpr1
                                        ; kill: killed $vgpr1
	s_delay_alu instid0(VALU_DEP_1) | instskip(NEXT) | instid1(SALU_CYCLE_1)
	s_and_saveexec_b32 s3, s2
	s_xor_b32 s2, exec_lo, s3
	s_cbranch_execz .LBB468_606
; %bb.605:                              ;   in Loop: Header=BB468_8 Depth=1
	v_bfe_u32 v1, v0, 16, 1
	s_delay_alu instid0(VALU_DEP_1)
	v_add3_u32 v0, v0, v1, 0x7fff
	scratch_store_b32 off, v0, s32 offset:512 ; 4-byte Folded Spill
                                        ; implicit-def: $vgpr0
.LBB468_606:                            ;   in Loop: Header=BB468_8 Depth=1
	s_and_not1_saveexec_b32 s3, s2
	s_cbranch_execz .LBB468_608
; %bb.607:                              ;   in Loop: Header=BB468_8 Depth=1
	v_and_b32_e32 v1, 0xffff, v0
	v_or_b32_e32 v2, 0x10000, v0
	s_delay_alu instid0(VALU_DEP_2) | instskip(NEXT) | instid1(VALU_DEP_1)
	v_cmp_eq_u32_e64 s2, 0, v1
	v_cndmask_b32_e64 v0, v2, v0, s2
	scratch_store_b32 off, v0, s32 offset:512 ; 4-byte Folded Spill
.LBB468_608:                            ;   in Loop: Header=BB468_8 Depth=1
	s_or_b32 exec_lo, exec_lo, s3
	v_lshrrev_b32_e32 v0, 16, v30
	s_mov_b32 s3, exec_lo
	s_delay_alu instid0(VALU_DEP_1) | instskip(NEXT) | instid1(VALU_DEP_1)
	v_dual_mov_b32 v1, 0 :: v_dual_and_b32 v2, 0xff, v0
	v_cmpx_ne_u16_e32 0, v2
	s_cbranch_execz .LBB468_616
; %bb.609:                              ;   in Loop: Header=BB468_8 Depth=1
	v_bfrev_b32_e32 v1, 1
	s_mov_b32 s17, exec_lo
	v_cmpx_ne_u16_e32 0x80, v2
	s_cbranch_execz .LBB468_615
; %bb.610:                              ;   in Loop: Header=BB468_8 Depth=1
	v_bfe_u32 v2, v30, 16, 7
	v_mov_b32_e32 v1, 0x7f800001
	s_mov_b32 s19, exec_lo
	s_delay_alu instid0(VALU_DEP_2)
	v_cmpx_ne_u32_e32 0x7f, v2
	s_cbranch_execz .LBB468_614
; %bb.611:                              ;   in Loop: Header=BB468_8 Depth=1
	v_and_b32_e32 v18, 7, v0
	v_lshrrev_b32_e32 v1, 3, v2
	v_mov_b32_e32 v33, v19
	s_mov_b32 s21, exec_lo
	s_delay_alu instid0(VALU_DEP_3)
	v_mov_b32_e32 v32, v18
	v_cmpx_gt_u32_e32 8, v2
; %bb.612:                              ;   in Loop: Header=BB468_8 Depth=1
	v_clz_i32_u32_e32 v1, v18
	s_delay_alu instid0(VALU_DEP_1) | instskip(NEXT) | instid1(VALU_DEP_1)
	v_min_u32_e32 v1, 32, v1
	v_subrev_nc_u32_e32 v2, 28, v1
	v_sub_nc_u32_e32 v1, 29, v1
	s_delay_alu instid0(VALU_DEP_2) | instskip(NEXT) | instid1(VALU_DEP_1)
	v_lshlrev_b64 v[2:3], v2, v[18:19]
	v_and_b32_e32 v32, 7, v2
; %bb.613:                              ;   in Loop: Header=BB468_8 Depth=1
	s_or_b32 exec_lo, exec_lo, s21
	v_lshlrev_b32_e32 v0, 24, v0
	s_delay_alu instid0(VALU_DEP_2) | instskip(SKIP_1) | instid1(VALU_DEP_3)
	v_lshlrev_b32_e32 v2, 20, v32
	v_lshl_add_u32 v1, v1, 23, 0x3c000000
	v_and_b32_e32 v0, 0x80000000, v0
	s_delay_alu instid0(VALU_DEP_1)
	v_or3_b32 v1, v2, v0, v1
.LBB468_614:                            ;   in Loop: Header=BB468_8 Depth=1
	s_or_b32 exec_lo, exec_lo, s19
.LBB468_615:                            ;   in Loop: Header=BB468_8 Depth=1
	s_delay_alu instid0(SALU_CYCLE_1)
	s_or_b32 exec_lo, exec_lo, s17
.LBB468_616:                            ;   in Loop: Header=BB468_8 Depth=1
	s_delay_alu instid0(SALU_CYCLE_1) | instskip(NEXT) | instid1(VALU_DEP_1)
	s_or_b32 exec_lo, exec_lo, s3
	v_mul_f32_e32 v0, v79, v1
	s_delay_alu instid0(VALU_DEP_1) | instskip(NEXT) | instid1(VALU_DEP_1)
	v_and_b32_e32 v1, 0x7f800000, v0
	v_cmp_ne_u32_e64 s2, 0x7f800000, v1
                                        ; implicit-def: $vgpr1
                                        ; kill: killed $vgpr1
	s_delay_alu instid0(VALU_DEP_1) | instskip(NEXT) | instid1(SALU_CYCLE_1)
	s_and_saveexec_b32 s3, s2
	s_xor_b32 s2, exec_lo, s3
	s_cbranch_execz .LBB468_618
; %bb.617:                              ;   in Loop: Header=BB468_8 Depth=1
	v_bfe_u32 v1, v0, 16, 1
	s_delay_alu instid0(VALU_DEP_1)
	v_add3_u32 v0, v0, v1, 0x7fff
	scratch_store_b32 off, v0, s32 offset:516 ; 4-byte Folded Spill
                                        ; implicit-def: $vgpr0
.LBB468_618:                            ;   in Loop: Header=BB468_8 Depth=1
	s_and_not1_saveexec_b32 s3, s2
	s_cbranch_execz .LBB468_620
; %bb.619:                              ;   in Loop: Header=BB468_8 Depth=1
	v_and_b32_e32 v1, 0xffff, v0
	v_or_b32_e32 v2, 0x10000, v0
	s_delay_alu instid0(VALU_DEP_2) | instskip(NEXT) | instid1(VALU_DEP_1)
	v_cmp_eq_u32_e64 s2, 0, v1
	v_cndmask_b32_e64 v0, v2, v0, s2
	scratch_store_b32 off, v0, s32 offset:516 ; 4-byte Folded Spill
.LBB468_620:                            ;   in Loop: Header=BB468_8 Depth=1
	s_or_b32 exec_lo, exec_lo, s3
	v_mov_b32_e32 v1, 0
	s_mov_b32 s3, exec_lo
	v_cmpx_lt_u32_e32 0xffffff, v30
	s_cbranch_execz .LBB468_628
; %bb.621:                              ;   in Loop: Header=BB468_8 Depth=1
	v_lshrrev_b32_e32 v0, 24, v30
	v_bfrev_b32_e32 v1, 1
	s_mov_b32 s17, exec_lo
	s_delay_alu instid0(VALU_DEP_2)
	v_cmpx_ne_u32_e32 0x80, v0
	s_cbranch_execz .LBB468_627
; %bb.622:                              ;   in Loop: Header=BB468_8 Depth=1
	v_bfe_u32 v2, v30, 24, 7
	v_mov_b32_e32 v1, 0x7f800001
	s_mov_b32 s19, exec_lo
	s_delay_alu instid0(VALU_DEP_2)
	v_cmpx_ne_u32_e32 0x7f, v2
	s_cbranch_execz .LBB468_626
; %bb.623:                              ;   in Loop: Header=BB468_8 Depth=1
	v_and_b32_e32 v18, 7, v0
	v_lshrrev_b32_e32 v1, 3, v2
	v_mov_b32_e32 v33, v19
	s_mov_b32 s21, exec_lo
	s_delay_alu instid0(VALU_DEP_3)
	v_mov_b32_e32 v32, v18
	v_cmpx_gt_u32_e32 8, v2
; %bb.624:                              ;   in Loop: Header=BB468_8 Depth=1
	v_clz_i32_u32_e32 v1, v18
	s_delay_alu instid0(VALU_DEP_1) | instskip(NEXT) | instid1(VALU_DEP_1)
	v_min_u32_e32 v1, 32, v1
	v_subrev_nc_u32_e32 v2, 28, v1
	v_sub_nc_u32_e32 v1, 29, v1
	s_delay_alu instid0(VALU_DEP_2) | instskip(NEXT) | instid1(VALU_DEP_1)
	v_lshlrev_b64 v[2:3], v2, v[18:19]
	v_and_b32_e32 v32, 7, v2
; %bb.625:                              ;   in Loop: Header=BB468_8 Depth=1
	s_or_b32 exec_lo, exec_lo, s21
	v_lshlrev_b32_e32 v0, 24, v0
	s_delay_alu instid0(VALU_DEP_2) | instskip(SKIP_1) | instid1(VALU_DEP_3)
	v_lshlrev_b32_e32 v2, 20, v32
	v_lshl_add_u32 v1, v1, 23, 0x3c000000
	v_and_b32_e32 v0, 0x80000000, v0
	s_delay_alu instid0(VALU_DEP_1)
	v_or3_b32 v1, v2, v0, v1
.LBB468_626:                            ;   in Loop: Header=BB468_8 Depth=1
	s_or_b32 exec_lo, exec_lo, s19
.LBB468_627:                            ;   in Loop: Header=BB468_8 Depth=1
	s_delay_alu instid0(SALU_CYCLE_1)
	s_or_b32 exec_lo, exec_lo, s17
.LBB468_628:                            ;   in Loop: Header=BB468_8 Depth=1
	s_delay_alu instid0(SALU_CYCLE_1) | instskip(NEXT) | instid1(VALU_DEP_1)
	s_or_b32 exec_lo, exec_lo, s3
	v_mul_f32_e32 v0, v79, v1
	s_delay_alu instid0(VALU_DEP_1) | instskip(NEXT) | instid1(VALU_DEP_1)
	v_and_b32_e32 v1, 0x7f800000, v0
	v_cmp_ne_u32_e64 s2, 0x7f800000, v1
                                        ; implicit-def: $vgpr1
                                        ; kill: killed $vgpr1
	s_delay_alu instid0(VALU_DEP_1) | instskip(NEXT) | instid1(SALU_CYCLE_1)
	s_and_saveexec_b32 s3, s2
	s_xor_b32 s2, exec_lo, s3
	s_cbranch_execz .LBB468_630
; %bb.629:                              ;   in Loop: Header=BB468_8 Depth=1
	v_bfe_u32 v1, v0, 16, 1
	s_delay_alu instid0(VALU_DEP_1)
	v_add3_u32 v0, v0, v1, 0x7fff
	scratch_store_b32 off, v0, s32 offset:520 ; 4-byte Folded Spill
                                        ; implicit-def: $vgpr0
.LBB468_630:                            ;   in Loop: Header=BB468_8 Depth=1
	s_and_not1_saveexec_b32 s3, s2
	s_cbranch_execz .LBB468_632
; %bb.631:                              ;   in Loop: Header=BB468_8 Depth=1
	v_and_b32_e32 v1, 0xffff, v0
	v_or_b32_e32 v2, 0x10000, v0
	s_delay_alu instid0(VALU_DEP_2) | instskip(NEXT) | instid1(VALU_DEP_1)
	v_cmp_eq_u32_e64 s2, 0, v1
	v_cndmask_b32_e64 v0, v2, v0, s2
	scratch_store_b32 off, v0, s32 offset:520 ; 4-byte Folded Spill
.LBB468_632:                            ;   in Loop: Header=BB468_8 Depth=1
	s_or_b32 exec_lo, exec_lo, s3
	v_dual_mov_b32 v18, v31 :: v_dual_and_b32 v1, 0xff, v31
	v_mov_b32_e32 v0, 0
	s_mov_b32 s3, exec_lo
	s_delay_alu instid0(VALU_DEP_2)
	v_cmpx_ne_u16_e32 0, v1
	s_cbranch_execz .LBB468_640
; %bb.633:                              ;   in Loop: Header=BB468_8 Depth=1
	v_bfrev_b32_e32 v0, 1
	s_mov_b32 s17, exec_lo
	v_cmpx_ne_u16_e32 0x80, v1
	s_cbranch_execz .LBB468_639
; %bb.634:                              ;   in Loop: Header=BB468_8 Depth=1
	v_and_b32_e32 v1, 0x7f, v31
	v_mov_b32_e32 v0, 0x7f800001
	s_mov_b32 s19, exec_lo
	s_delay_alu instid0(VALU_DEP_2)
	v_cmpx_ne_u32_e32 0x7f, v1
	s_cbranch_execz .LBB468_638
; %bb.635:                              ;   in Loop: Header=BB468_8 Depth=1
	v_lshrrev_b32_e32 v0, 3, v1
	v_dual_mov_b32 v33, v19 :: v_dual_mov_b32 v32, v18
	s_mov_b32 s21, exec_lo
	v_cmpx_gt_u32_e32 8, v1
; %bb.636:                              ;   in Loop: Header=BB468_8 Depth=1
	v_and_b32_e32 v0, 7, v31
	s_delay_alu instid0(VALU_DEP_1) | instskip(NEXT) | instid1(VALU_DEP_1)
	v_clz_i32_u32_e32 v0, v0
	v_min_u32_e32 v0, 32, v0
	s_delay_alu instid0(VALU_DEP_1) | instskip(SKIP_1) | instid1(VALU_DEP_2)
	v_subrev_nc_u32_e32 v1, 28, v0
	v_sub_nc_u32_e32 v0, 29, v0
	v_lshlrev_b64 v[32:33], v1, v[18:19]
; %bb.637:                              ;   in Loop: Header=BB468_8 Depth=1
	s_or_b32 exec_lo, exec_lo, s21
	s_delay_alu instid0(VALU_DEP_1) | instskip(SKIP_2) | instid1(VALU_DEP_3)
	v_lshlrev_b32_e32 v1, 20, v32
	v_lshlrev_b32_e32 v2, 24, v18
	v_lshl_add_u32 v0, v0, 23, 0x3c000000
	v_and_b32_e32 v1, 0x700000, v1
	s_delay_alu instid0(VALU_DEP_3) | instskip(NEXT) | instid1(VALU_DEP_1)
	v_and_b32_e32 v2, 0x80000000, v2
	v_or3_b32 v0, v1, v2, v0
.LBB468_638:                            ;   in Loop: Header=BB468_8 Depth=1
	s_or_b32 exec_lo, exec_lo, s19
.LBB468_639:                            ;   in Loop: Header=BB468_8 Depth=1
	s_delay_alu instid0(SALU_CYCLE_1)
	s_or_b32 exec_lo, exec_lo, s17
.LBB468_640:                            ;   in Loop: Header=BB468_8 Depth=1
	s_delay_alu instid0(SALU_CYCLE_1) | instskip(NEXT) | instid1(VALU_DEP_1)
	s_or_b32 exec_lo, exec_lo, s3
	v_mul_f32_e32 v0, v79, v0
	s_delay_alu instid0(VALU_DEP_1) | instskip(NEXT) | instid1(VALU_DEP_1)
	v_and_b32_e32 v1, 0x7f800000, v0
	v_cmp_ne_u32_e64 s2, 0x7f800000, v1
                                        ; implicit-def: $vgpr1
                                        ; kill: killed $vgpr1
	s_delay_alu instid0(VALU_DEP_1) | instskip(NEXT) | instid1(SALU_CYCLE_1)
	s_and_saveexec_b32 s3, s2
	s_xor_b32 s2, exec_lo, s3
	s_cbranch_execz .LBB468_642
; %bb.641:                              ;   in Loop: Header=BB468_8 Depth=1
	v_bfe_u32 v1, v0, 16, 1
	s_delay_alu instid0(VALU_DEP_1)
	v_add3_u32 v0, v0, v1, 0x7fff
	scratch_store_b32 off, v0, s32 offset:524 ; 4-byte Folded Spill
                                        ; implicit-def: $vgpr0
.LBB468_642:                            ;   in Loop: Header=BB468_8 Depth=1
	s_and_not1_saveexec_b32 s3, s2
	s_cbranch_execz .LBB468_644
; %bb.643:                              ;   in Loop: Header=BB468_8 Depth=1
	v_and_b32_e32 v1, 0xffff, v0
	v_or_b32_e32 v2, 0x10000, v0
	s_delay_alu instid0(VALU_DEP_2) | instskip(NEXT) | instid1(VALU_DEP_1)
	v_cmp_eq_u32_e64 s2, 0, v1
	v_cndmask_b32_e64 v0, v2, v0, s2
	scratch_store_b32 off, v0, s32 offset:524 ; 4-byte Folded Spill
.LBB468_644:                            ;   in Loop: Header=BB468_8 Depth=1
	s_or_b32 exec_lo, exec_lo, s3
	v_lshrrev_b16 v1, 8, v18
	v_mov_b32_e32 v0, 0
	s_mov_b32 s3, exec_lo
	s_delay_alu instid0(VALU_DEP_2)
	v_cmpx_ne_u16_e32 0, v1
	s_cbranch_execz .LBB468_652
; %bb.645:                              ;   in Loop: Header=BB468_8 Depth=1
	v_bfrev_b32_e32 v0, 1
	s_mov_b32 s17, exec_lo
	v_cmpx_ne_u16_e32 0x80, v1
	s_cbranch_execz .LBB468_651
; %bb.646:                              ;   in Loop: Header=BB468_8 Depth=1
	v_and_b32_e32 v2, 0xffff, v1
	v_mov_b32_e32 v0, 0x7f800001
	s_mov_b32 s19, exec_lo
	s_delay_alu instid0(VALU_DEP_2) | instskip(NEXT) | instid1(VALU_DEP_1)
	v_and_b32_e32 v1, 0x7f, v2
	v_cmpx_ne_u32_e32 0x7f, v1
	s_cbranch_execz .LBB468_650
; %bb.647:                              ;   in Loop: Header=BB468_8 Depth=1
	v_dual_mov_b32 v33, v19 :: v_dual_and_b32 v32, 7, v2
	v_lshrrev_b32_e32 v0, 3, v1
	s_mov_b32 s21, exec_lo
	v_cmpx_gt_u32_e32 8, v1
; %bb.648:                              ;   in Loop: Header=BB468_8 Depth=1
	s_delay_alu instid0(VALU_DEP_3) | instskip(NEXT) | instid1(VALU_DEP_1)
	v_clz_i32_u32_e32 v0, v32
	v_min_u32_e32 v0, 32, v0
	s_delay_alu instid0(VALU_DEP_1) | instskip(SKIP_1) | instid1(VALU_DEP_2)
	v_subrev_nc_u32_e32 v1, 28, v0
	v_sub_nc_u32_e32 v0, 29, v0
	v_lshlrev_b64 v[1:2], v1, v[32:33]
	s_delay_alu instid0(VALU_DEP_1)
	v_and_b32_e32 v32, 7, v1
; %bb.649:                              ;   in Loop: Header=BB468_8 Depth=1
	s_or_b32 exec_lo, exec_lo, s21
	v_lshlrev_b32_e32 v1, 16, v18
	s_delay_alu instid0(VALU_DEP_2) | instskip(SKIP_1) | instid1(VALU_DEP_3)
	v_lshlrev_b32_e32 v2, 20, v32
	v_lshl_add_u32 v0, v0, 23, 0x3c000000
	v_and_b32_e32 v1, 0x80000000, v1
	s_delay_alu instid0(VALU_DEP_1)
	v_or3_b32 v0, v2, v1, v0
.LBB468_650:                            ;   in Loop: Header=BB468_8 Depth=1
	s_or_b32 exec_lo, exec_lo, s19
.LBB468_651:                            ;   in Loop: Header=BB468_8 Depth=1
	s_delay_alu instid0(SALU_CYCLE_1)
	s_or_b32 exec_lo, exec_lo, s17
.LBB468_652:                            ;   in Loop: Header=BB468_8 Depth=1
	s_delay_alu instid0(SALU_CYCLE_1) | instskip(NEXT) | instid1(VALU_DEP_1)
	s_or_b32 exec_lo, exec_lo, s3
	v_mul_f32_e32 v0, v79, v0
	s_delay_alu instid0(VALU_DEP_1) | instskip(NEXT) | instid1(VALU_DEP_1)
	v_and_b32_e32 v1, 0x7f800000, v0
	v_cmp_ne_u32_e64 s2, 0x7f800000, v1
                                        ; implicit-def: $vgpr1
                                        ; kill: killed $vgpr1
	s_delay_alu instid0(VALU_DEP_1) | instskip(NEXT) | instid1(SALU_CYCLE_1)
	s_and_saveexec_b32 s3, s2
	s_xor_b32 s2, exec_lo, s3
	s_cbranch_execz .LBB468_654
; %bb.653:                              ;   in Loop: Header=BB468_8 Depth=1
	v_bfe_u32 v1, v0, 16, 1
	s_delay_alu instid0(VALU_DEP_1)
	v_add3_u32 v0, v0, v1, 0x7fff
	scratch_store_b32 off, v0, s32 offset:528 ; 4-byte Folded Spill
                                        ; implicit-def: $vgpr0
.LBB468_654:                            ;   in Loop: Header=BB468_8 Depth=1
	s_and_not1_saveexec_b32 s3, s2
	s_cbranch_execz .LBB468_656
; %bb.655:                              ;   in Loop: Header=BB468_8 Depth=1
	v_and_b32_e32 v1, 0xffff, v0
	v_or_b32_e32 v2, 0x10000, v0
	s_delay_alu instid0(VALU_DEP_2) | instskip(NEXT) | instid1(VALU_DEP_1)
	v_cmp_eq_u32_e64 s2, 0, v1
	v_cndmask_b32_e64 v0, v2, v0, s2
	scratch_store_b32 off, v0, s32 offset:528 ; 4-byte Folded Spill
.LBB468_656:                            ;   in Loop: Header=BB468_8 Depth=1
	s_or_b32 exec_lo, exec_lo, s3
	v_lshrrev_b32_e32 v0, 16, v31
	s_mov_b32 s3, exec_lo
	s_delay_alu instid0(VALU_DEP_1) | instskip(NEXT) | instid1(VALU_DEP_1)
	v_dual_mov_b32 v1, 0 :: v_dual_and_b32 v2, 0xff, v0
	v_cmpx_ne_u16_e32 0, v2
	s_cbranch_execz .LBB468_664
; %bb.657:                              ;   in Loop: Header=BB468_8 Depth=1
	v_bfrev_b32_e32 v1, 1
	s_mov_b32 s17, exec_lo
	v_cmpx_ne_u16_e32 0x80, v2
	s_cbranch_execz .LBB468_663
; %bb.658:                              ;   in Loop: Header=BB468_8 Depth=1
	v_bfe_u32 v2, v31, 16, 7
	v_mov_b32_e32 v1, 0x7f800001
	s_mov_b32 s19, exec_lo
	s_delay_alu instid0(VALU_DEP_2)
	v_cmpx_ne_u32_e32 0x7f, v2
	s_cbranch_execz .LBB468_662
; %bb.659:                              ;   in Loop: Header=BB468_8 Depth=1
	v_and_b32_e32 v18, 7, v0
	v_lshrrev_b32_e32 v1, 3, v2
	v_mov_b32_e32 v33, v19
	s_mov_b32 s21, exec_lo
	s_delay_alu instid0(VALU_DEP_3)
	v_mov_b32_e32 v32, v18
	v_cmpx_gt_u32_e32 8, v2
; %bb.660:                              ;   in Loop: Header=BB468_8 Depth=1
	v_clz_i32_u32_e32 v1, v18
	s_delay_alu instid0(VALU_DEP_1) | instskip(NEXT) | instid1(VALU_DEP_1)
	v_min_u32_e32 v1, 32, v1
	v_subrev_nc_u32_e32 v2, 28, v1
	v_sub_nc_u32_e32 v1, 29, v1
	s_delay_alu instid0(VALU_DEP_2) | instskip(NEXT) | instid1(VALU_DEP_1)
	v_lshlrev_b64 v[2:3], v2, v[18:19]
	v_and_b32_e32 v32, 7, v2
; %bb.661:                              ;   in Loop: Header=BB468_8 Depth=1
	s_or_b32 exec_lo, exec_lo, s21
	v_lshlrev_b32_e32 v0, 24, v0
	s_delay_alu instid0(VALU_DEP_2) | instskip(SKIP_1) | instid1(VALU_DEP_3)
	v_lshlrev_b32_e32 v2, 20, v32
	v_lshl_add_u32 v1, v1, 23, 0x3c000000
	v_and_b32_e32 v0, 0x80000000, v0
	s_delay_alu instid0(VALU_DEP_1)
	v_or3_b32 v1, v2, v0, v1
.LBB468_662:                            ;   in Loop: Header=BB468_8 Depth=1
	s_or_b32 exec_lo, exec_lo, s19
.LBB468_663:                            ;   in Loop: Header=BB468_8 Depth=1
	s_delay_alu instid0(SALU_CYCLE_1)
	s_or_b32 exec_lo, exec_lo, s17
.LBB468_664:                            ;   in Loop: Header=BB468_8 Depth=1
	s_delay_alu instid0(SALU_CYCLE_1) | instskip(NEXT) | instid1(VALU_DEP_1)
	s_or_b32 exec_lo, exec_lo, s3
	v_mul_f32_e32 v0, v79, v1
	s_delay_alu instid0(VALU_DEP_1) | instskip(NEXT) | instid1(VALU_DEP_1)
	v_and_b32_e32 v1, 0x7f800000, v0
	v_cmp_ne_u32_e64 s2, 0x7f800000, v1
                                        ; implicit-def: $vgpr1
                                        ; kill: killed $vgpr1
	s_delay_alu instid0(VALU_DEP_1) | instskip(NEXT) | instid1(SALU_CYCLE_1)
	s_and_saveexec_b32 s3, s2
	s_xor_b32 s2, exec_lo, s3
	s_cbranch_execz .LBB468_666
; %bb.665:                              ;   in Loop: Header=BB468_8 Depth=1
	v_bfe_u32 v1, v0, 16, 1
	s_delay_alu instid0(VALU_DEP_1)
	v_add3_u32 v0, v0, v1, 0x7fff
	scratch_store_b32 off, v0, s32 offset:532 ; 4-byte Folded Spill
                                        ; implicit-def: $vgpr0
.LBB468_666:                            ;   in Loop: Header=BB468_8 Depth=1
	s_and_not1_saveexec_b32 s3, s2
	s_cbranch_execz .LBB468_668
; %bb.667:                              ;   in Loop: Header=BB468_8 Depth=1
	v_and_b32_e32 v1, 0xffff, v0
	v_or_b32_e32 v2, 0x10000, v0
	s_delay_alu instid0(VALU_DEP_2) | instskip(NEXT) | instid1(VALU_DEP_1)
	v_cmp_eq_u32_e64 s2, 0, v1
	v_cndmask_b32_e64 v0, v2, v0, s2
	scratch_store_b32 off, v0, s32 offset:532 ; 4-byte Folded Spill
.LBB468_668:                            ;   in Loop: Header=BB468_8 Depth=1
	s_or_b32 exec_lo, exec_lo, s3
	v_mov_b32_e32 v1, 0
	s_mov_b32 s3, exec_lo
	v_cmpx_lt_u64_e64 s[4:5], v[30:31]
	s_cbranch_execz .LBB468_676
; %bb.669:                              ;   in Loop: Header=BB468_8 Depth=1
	v_lshrrev_b32_e32 v0, 24, v31
	v_bfrev_b32_e32 v1, 1
	s_mov_b32 s17, exec_lo
	s_delay_alu instid0(VALU_DEP_2)
	v_cmpx_ne_u32_e32 0x80, v0
	s_cbranch_execz .LBB468_675
; %bb.670:                              ;   in Loop: Header=BB468_8 Depth=1
	v_bfe_u32 v2, v31, 24, 7
	v_mov_b32_e32 v1, 0x7f800001
	s_mov_b32 s19, exec_lo
	s_delay_alu instid0(VALU_DEP_2)
	v_cmpx_ne_u32_e32 0x7f, v2
	s_cbranch_execz .LBB468_674
; %bb.671:                              ;   in Loop: Header=BB468_8 Depth=1
	v_and_b32_e32 v18, 7, v0
	v_lshrrev_b32_e32 v1, 3, v2
	v_mov_b32_e32 v31, v19
	s_mov_b32 s21, exec_lo
	s_delay_alu instid0(VALU_DEP_3)
	v_mov_b32_e32 v30, v18
	v_cmpx_gt_u32_e32 8, v2
; %bb.672:                              ;   in Loop: Header=BB468_8 Depth=1
	v_clz_i32_u32_e32 v1, v18
	s_delay_alu instid0(VALU_DEP_1) | instskip(NEXT) | instid1(VALU_DEP_1)
	v_min_u32_e32 v1, 32, v1
	v_subrev_nc_u32_e32 v2, 28, v1
	v_sub_nc_u32_e32 v1, 29, v1
	s_delay_alu instid0(VALU_DEP_2) | instskip(NEXT) | instid1(VALU_DEP_1)
	v_lshlrev_b64 v[2:3], v2, v[18:19]
	v_and_b32_e32 v30, 7, v2
; %bb.673:                              ;   in Loop: Header=BB468_8 Depth=1
	s_or_b32 exec_lo, exec_lo, s21
	v_lshlrev_b32_e32 v0, 24, v0
	s_delay_alu instid0(VALU_DEP_2) | instskip(SKIP_1) | instid1(VALU_DEP_3)
	v_lshlrev_b32_e32 v2, 20, v30
	v_lshl_add_u32 v1, v1, 23, 0x3c000000
	v_and_b32_e32 v0, 0x80000000, v0
	s_delay_alu instid0(VALU_DEP_1)
	v_or3_b32 v1, v2, v0, v1
.LBB468_674:                            ;   in Loop: Header=BB468_8 Depth=1
	s_or_b32 exec_lo, exec_lo, s19
.LBB468_675:                            ;   in Loop: Header=BB468_8 Depth=1
	s_delay_alu instid0(SALU_CYCLE_1)
	s_or_b32 exec_lo, exec_lo, s17
.LBB468_676:                            ;   in Loop: Header=BB468_8 Depth=1
	s_delay_alu instid0(SALU_CYCLE_1) | instskip(NEXT) | instid1(VALU_DEP_1)
	s_or_b32 exec_lo, exec_lo, s3
	v_mul_f32_e32 v0, v79, v1
	s_delay_alu instid0(VALU_DEP_1) | instskip(NEXT) | instid1(VALU_DEP_1)
	v_and_b32_e32 v1, 0x7f800000, v0
	v_cmp_ne_u32_e64 s2, 0x7f800000, v1
                                        ; implicit-def: $vgpr1
                                        ; kill: killed $vgpr1
	s_delay_alu instid0(VALU_DEP_1) | instskip(NEXT) | instid1(SALU_CYCLE_1)
	s_and_saveexec_b32 s3, s2
	s_xor_b32 s2, exec_lo, s3
	s_cbranch_execz .LBB468_678
; %bb.677:                              ;   in Loop: Header=BB468_8 Depth=1
	v_bfe_u32 v1, v0, 16, 1
	s_delay_alu instid0(VALU_DEP_1)
	v_add3_u32 v0, v0, v1, 0x7fff
	scratch_store_b32 off, v0, s32 offset:536 ; 4-byte Folded Spill
                                        ; implicit-def: $vgpr0
.LBB468_678:                            ;   in Loop: Header=BB468_8 Depth=1
	s_and_not1_saveexec_b32 s3, s2
	s_cbranch_execz .LBB468_680
; %bb.679:                              ;   in Loop: Header=BB468_8 Depth=1
	v_and_b32_e32 v1, 0xffff, v0
	v_or_b32_e32 v2, 0x10000, v0
	s_delay_alu instid0(VALU_DEP_2) | instskip(NEXT) | instid1(VALU_DEP_1)
	v_cmp_eq_u32_e64 s2, 0, v1
	v_cndmask_b32_e64 v0, v2, v0, s2
	scratch_store_b32 off, v0, s32 offset:536 ; 4-byte Folded Spill
.LBB468_680:                            ;   in Loop: Header=BB468_8 Depth=1
	s_or_b32 exec_lo, exec_lo, s3
	flat_load_b64 v[30:31], v[28:29] offset:1544
	s_mov_b32 s3, exec_lo
	s_waitcnt vmcnt(0) lgkmcnt(0)
	v_dual_mov_b32 v0, 0 :: v_dual_and_b32 v1, 0xff, v30
	s_delay_alu instid0(VALU_DEP_1)
	v_cmpx_ne_u16_e32 0, v1
	s_cbranch_execz .LBB468_688
; %bb.681:                              ;   in Loop: Header=BB468_8 Depth=1
	v_bfrev_b32_e32 v0, 1
	s_mov_b32 s17, exec_lo
	v_cmpx_ne_u16_e32 0x80, v1
	s_cbranch_execz .LBB468_687
; %bb.682:                              ;   in Loop: Header=BB468_8 Depth=1
	v_and_b32_e32 v1, 0x7f, v30
	v_mov_b32_e32 v0, 0x7f800001
	s_mov_b32 s19, exec_lo
	s_delay_alu instid0(VALU_DEP_2)
	v_cmpx_ne_u32_e32 0x7f, v1
	s_cbranch_execz .LBB468_686
; %bb.683:                              ;   in Loop: Header=BB468_8 Depth=1
	v_lshrrev_b32_e32 v0, 3, v1
	v_dual_mov_b32 v33, v31 :: v_dual_mov_b32 v32, v30
	s_mov_b32 s21, exec_lo
	v_cmpx_gt_u32_e32 8, v1
; %bb.684:                              ;   in Loop: Header=BB468_8 Depth=1
	v_and_b32_e32 v0, 7, v30
	s_delay_alu instid0(VALU_DEP_1) | instskip(NEXT) | instid1(VALU_DEP_1)
	v_clz_i32_u32_e32 v0, v0
	v_min_u32_e32 v0, 32, v0
	s_delay_alu instid0(VALU_DEP_1) | instskip(SKIP_1) | instid1(VALU_DEP_2)
	v_subrev_nc_u32_e32 v1, 28, v0
	v_sub_nc_u32_e32 v0, 29, v0
	v_lshlrev_b64 v[32:33], v1, v[30:31]
; %bb.685:                              ;   in Loop: Header=BB468_8 Depth=1
	s_or_b32 exec_lo, exec_lo, s21
	s_delay_alu instid0(VALU_DEP_1) | instskip(SKIP_2) | instid1(VALU_DEP_3)
	v_lshlrev_b32_e32 v1, 20, v32
	v_lshlrev_b32_e32 v2, 24, v30
	v_lshl_add_u32 v0, v0, 23, 0x3c000000
	v_and_b32_e32 v1, 0x700000, v1
	s_delay_alu instid0(VALU_DEP_3) | instskip(NEXT) | instid1(VALU_DEP_1)
	v_and_b32_e32 v2, 0x80000000, v2
	v_or3_b32 v0, v1, v2, v0
.LBB468_686:                            ;   in Loop: Header=BB468_8 Depth=1
	s_or_b32 exec_lo, exec_lo, s19
.LBB468_687:                            ;   in Loop: Header=BB468_8 Depth=1
	s_delay_alu instid0(SALU_CYCLE_1)
	s_or_b32 exec_lo, exec_lo, s17
.LBB468_688:                            ;   in Loop: Header=BB468_8 Depth=1
	s_delay_alu instid0(SALU_CYCLE_1) | instskip(NEXT) | instid1(VALU_DEP_1)
	s_or_b32 exec_lo, exec_lo, s3
	v_mul_f32_e32 v0, v79, v0
	s_delay_alu instid0(VALU_DEP_1) | instskip(NEXT) | instid1(VALU_DEP_1)
	v_and_b32_e32 v1, 0x7f800000, v0
	v_cmp_ne_u32_e64 s2, 0x7f800000, v1
                                        ; implicit-def: $vgpr1
                                        ; kill: killed $vgpr1
	s_delay_alu instid0(VALU_DEP_1) | instskip(NEXT) | instid1(SALU_CYCLE_1)
	s_and_saveexec_b32 s3, s2
	s_xor_b32 s2, exec_lo, s3
	s_cbranch_execz .LBB468_690
; %bb.689:                              ;   in Loop: Header=BB468_8 Depth=1
	v_bfe_u32 v1, v0, 16, 1
	s_delay_alu instid0(VALU_DEP_1)
	v_add3_u32 v0, v0, v1, 0x7fff
	scratch_store_b32 off, v0, s32 offset:540 ; 4-byte Folded Spill
                                        ; implicit-def: $vgpr0
.LBB468_690:                            ;   in Loop: Header=BB468_8 Depth=1
	s_and_not1_saveexec_b32 s3, s2
	s_cbranch_execz .LBB468_692
; %bb.691:                              ;   in Loop: Header=BB468_8 Depth=1
	v_and_b32_e32 v1, 0xffff, v0
	v_or_b32_e32 v2, 0x10000, v0
	s_delay_alu instid0(VALU_DEP_2) | instskip(NEXT) | instid1(VALU_DEP_1)
	v_cmp_eq_u32_e64 s2, 0, v1
	v_cndmask_b32_e64 v0, v2, v0, s2
	scratch_store_b32 off, v0, s32 offset:540 ; 4-byte Folded Spill
.LBB468_692:                            ;   in Loop: Header=BB468_8 Depth=1
	s_or_b32 exec_lo, exec_lo, s3
	v_lshrrev_b16 v1, 8, v30
	v_mov_b32_e32 v0, 0
	s_mov_b32 s3, exec_lo
	s_delay_alu instid0(VALU_DEP_2)
	v_cmpx_ne_u16_e32 0, v1
	s_cbranch_execz .LBB468_700
; %bb.693:                              ;   in Loop: Header=BB468_8 Depth=1
	v_bfrev_b32_e32 v0, 1
	s_mov_b32 s17, exec_lo
	v_cmpx_ne_u16_e32 0x80, v1
	s_cbranch_execz .LBB468_699
; %bb.694:                              ;   in Loop: Header=BB468_8 Depth=1
	v_and_b32_e32 v2, 0xffff, v1
	v_mov_b32_e32 v0, 0x7f800001
	s_mov_b32 s19, exec_lo
	s_delay_alu instid0(VALU_DEP_2) | instskip(NEXT) | instid1(VALU_DEP_1)
	v_and_b32_e32 v1, 0x7f, v2
	v_cmpx_ne_u32_e32 0x7f, v1
	s_cbranch_execz .LBB468_698
; %bb.695:                              ;   in Loop: Header=BB468_8 Depth=1
	v_and_b32_e32 v18, 7, v2
	v_lshrrev_b32_e32 v0, 3, v1
	v_mov_b32_e32 v33, v19
	s_mov_b32 s21, exec_lo
	s_delay_alu instid0(VALU_DEP_3)
	v_mov_b32_e32 v32, v18
	v_cmpx_gt_u32_e32 8, v1
; %bb.696:                              ;   in Loop: Header=BB468_8 Depth=1
	v_clz_i32_u32_e32 v0, v18
	s_delay_alu instid0(VALU_DEP_1) | instskip(NEXT) | instid1(VALU_DEP_1)
	v_min_u32_e32 v0, 32, v0
	v_subrev_nc_u32_e32 v1, 28, v0
	v_sub_nc_u32_e32 v0, 29, v0
	s_delay_alu instid0(VALU_DEP_2) | instskip(NEXT) | instid1(VALU_DEP_1)
	v_lshlrev_b64 v[1:2], v1, v[18:19]
	v_and_b32_e32 v32, 7, v1
; %bb.697:                              ;   in Loop: Header=BB468_8 Depth=1
	s_or_b32 exec_lo, exec_lo, s21
	v_lshlrev_b32_e32 v1, 16, v30
	s_delay_alu instid0(VALU_DEP_2) | instskip(SKIP_1) | instid1(VALU_DEP_3)
	v_lshlrev_b32_e32 v2, 20, v32
	v_lshl_add_u32 v0, v0, 23, 0x3c000000
	v_and_b32_e32 v1, 0x80000000, v1
	s_delay_alu instid0(VALU_DEP_1)
	v_or3_b32 v0, v2, v1, v0
.LBB468_698:                            ;   in Loop: Header=BB468_8 Depth=1
	s_or_b32 exec_lo, exec_lo, s19
.LBB468_699:                            ;   in Loop: Header=BB468_8 Depth=1
	s_delay_alu instid0(SALU_CYCLE_1)
	s_or_b32 exec_lo, exec_lo, s17
.LBB468_700:                            ;   in Loop: Header=BB468_8 Depth=1
	s_delay_alu instid0(SALU_CYCLE_1) | instskip(NEXT) | instid1(VALU_DEP_1)
	s_or_b32 exec_lo, exec_lo, s3
	v_mul_f32_e32 v0, v79, v0
	s_delay_alu instid0(VALU_DEP_1) | instskip(NEXT) | instid1(VALU_DEP_1)
	v_and_b32_e32 v1, 0x7f800000, v0
	v_cmp_ne_u32_e64 s2, 0x7f800000, v1
                                        ; implicit-def: $vgpr1
                                        ; kill: killed $vgpr1
	s_delay_alu instid0(VALU_DEP_1) | instskip(NEXT) | instid1(SALU_CYCLE_1)
	s_and_saveexec_b32 s3, s2
	s_xor_b32 s2, exec_lo, s3
	s_cbranch_execz .LBB468_702
; %bb.701:                              ;   in Loop: Header=BB468_8 Depth=1
	v_bfe_u32 v1, v0, 16, 1
	s_delay_alu instid0(VALU_DEP_1)
	v_add3_u32 v0, v0, v1, 0x7fff
	scratch_store_b32 off, v0, s32 offset:544 ; 4-byte Folded Spill
                                        ; implicit-def: $vgpr0
.LBB468_702:                            ;   in Loop: Header=BB468_8 Depth=1
	s_and_not1_saveexec_b32 s3, s2
	s_cbranch_execz .LBB468_704
; %bb.703:                              ;   in Loop: Header=BB468_8 Depth=1
	v_and_b32_e32 v1, 0xffff, v0
	v_or_b32_e32 v2, 0x10000, v0
	s_delay_alu instid0(VALU_DEP_2) | instskip(NEXT) | instid1(VALU_DEP_1)
	v_cmp_eq_u32_e64 s2, 0, v1
	v_cndmask_b32_e64 v0, v2, v0, s2
	scratch_store_b32 off, v0, s32 offset:544 ; 4-byte Folded Spill
.LBB468_704:                            ;   in Loop: Header=BB468_8 Depth=1
	s_or_b32 exec_lo, exec_lo, s3
	v_lshrrev_b32_e32 v0, 16, v30
	s_mov_b32 s3, exec_lo
	s_delay_alu instid0(VALU_DEP_1) | instskip(NEXT) | instid1(VALU_DEP_1)
	v_dual_mov_b32 v1, 0 :: v_dual_and_b32 v2, 0xff, v0
	v_cmpx_ne_u16_e32 0, v2
	s_cbranch_execz .LBB468_712
; %bb.705:                              ;   in Loop: Header=BB468_8 Depth=1
	v_bfrev_b32_e32 v1, 1
	s_mov_b32 s17, exec_lo
	v_cmpx_ne_u16_e32 0x80, v2
	s_cbranch_execz .LBB468_711
; %bb.706:                              ;   in Loop: Header=BB468_8 Depth=1
	v_bfe_u32 v2, v30, 16, 7
	v_mov_b32_e32 v1, 0x7f800001
	s_mov_b32 s19, exec_lo
	s_delay_alu instid0(VALU_DEP_2)
	v_cmpx_ne_u32_e32 0x7f, v2
	s_cbranch_execz .LBB468_710
; %bb.707:                              ;   in Loop: Header=BB468_8 Depth=1
	v_and_b32_e32 v18, 7, v0
	v_lshrrev_b32_e32 v1, 3, v2
	v_mov_b32_e32 v33, v19
	s_mov_b32 s21, exec_lo
	s_delay_alu instid0(VALU_DEP_3)
	v_mov_b32_e32 v32, v18
	v_cmpx_gt_u32_e32 8, v2
; %bb.708:                              ;   in Loop: Header=BB468_8 Depth=1
	v_clz_i32_u32_e32 v1, v18
	s_delay_alu instid0(VALU_DEP_1) | instskip(NEXT) | instid1(VALU_DEP_1)
	v_min_u32_e32 v1, 32, v1
	v_subrev_nc_u32_e32 v2, 28, v1
	v_sub_nc_u32_e32 v1, 29, v1
	s_delay_alu instid0(VALU_DEP_2) | instskip(NEXT) | instid1(VALU_DEP_1)
	v_lshlrev_b64 v[2:3], v2, v[18:19]
	v_and_b32_e32 v32, 7, v2
; %bb.709:                              ;   in Loop: Header=BB468_8 Depth=1
	s_or_b32 exec_lo, exec_lo, s21
	v_lshlrev_b32_e32 v0, 24, v0
	s_delay_alu instid0(VALU_DEP_2) | instskip(SKIP_1) | instid1(VALU_DEP_3)
	v_lshlrev_b32_e32 v2, 20, v32
	v_lshl_add_u32 v1, v1, 23, 0x3c000000
	v_and_b32_e32 v0, 0x80000000, v0
	s_delay_alu instid0(VALU_DEP_1)
	v_or3_b32 v1, v2, v0, v1
.LBB468_710:                            ;   in Loop: Header=BB468_8 Depth=1
	s_or_b32 exec_lo, exec_lo, s19
.LBB468_711:                            ;   in Loop: Header=BB468_8 Depth=1
	s_delay_alu instid0(SALU_CYCLE_1)
	s_or_b32 exec_lo, exec_lo, s17
.LBB468_712:                            ;   in Loop: Header=BB468_8 Depth=1
	s_delay_alu instid0(SALU_CYCLE_1) | instskip(NEXT) | instid1(VALU_DEP_1)
	s_or_b32 exec_lo, exec_lo, s3
	v_mul_f32_e32 v0, v79, v1
	s_delay_alu instid0(VALU_DEP_1) | instskip(NEXT) | instid1(VALU_DEP_1)
	v_and_b32_e32 v1, 0x7f800000, v0
	v_cmp_ne_u32_e64 s2, 0x7f800000, v1
                                        ; implicit-def: $vgpr1
                                        ; kill: killed $vgpr1
	s_delay_alu instid0(VALU_DEP_1) | instskip(NEXT) | instid1(SALU_CYCLE_1)
	s_and_saveexec_b32 s3, s2
	s_xor_b32 s2, exec_lo, s3
	s_cbranch_execz .LBB468_714
; %bb.713:                              ;   in Loop: Header=BB468_8 Depth=1
	v_bfe_u32 v1, v0, 16, 1
	s_delay_alu instid0(VALU_DEP_1)
	v_add3_u32 v0, v0, v1, 0x7fff
	scratch_store_b32 off, v0, s32 offset:548 ; 4-byte Folded Spill
                                        ; implicit-def: $vgpr0
.LBB468_714:                            ;   in Loop: Header=BB468_8 Depth=1
	s_and_not1_saveexec_b32 s3, s2
	s_cbranch_execz .LBB468_716
; %bb.715:                              ;   in Loop: Header=BB468_8 Depth=1
	v_and_b32_e32 v1, 0xffff, v0
	v_or_b32_e32 v2, 0x10000, v0
	s_delay_alu instid0(VALU_DEP_2) | instskip(NEXT) | instid1(VALU_DEP_1)
	v_cmp_eq_u32_e64 s2, 0, v1
	v_cndmask_b32_e64 v0, v2, v0, s2
	scratch_store_b32 off, v0, s32 offset:548 ; 4-byte Folded Spill
.LBB468_716:                            ;   in Loop: Header=BB468_8 Depth=1
	s_or_b32 exec_lo, exec_lo, s3
	v_mov_b32_e32 v1, 0
	s_mov_b32 s3, exec_lo
	v_cmpx_lt_u32_e32 0xffffff, v30
	s_cbranch_execz .LBB468_724
; %bb.717:                              ;   in Loop: Header=BB468_8 Depth=1
	v_lshrrev_b32_e32 v0, 24, v30
	v_bfrev_b32_e32 v1, 1
	s_mov_b32 s17, exec_lo
	s_delay_alu instid0(VALU_DEP_2)
	v_cmpx_ne_u32_e32 0x80, v0
	s_cbranch_execz .LBB468_723
; %bb.718:                              ;   in Loop: Header=BB468_8 Depth=1
	v_bfe_u32 v2, v30, 24, 7
	v_mov_b32_e32 v1, 0x7f800001
	s_mov_b32 s19, exec_lo
	s_delay_alu instid0(VALU_DEP_2)
	v_cmpx_ne_u32_e32 0x7f, v2
	s_cbranch_execz .LBB468_722
; %bb.719:                              ;   in Loop: Header=BB468_8 Depth=1
	v_and_b32_e32 v18, 7, v0
	v_lshrrev_b32_e32 v1, 3, v2
	v_mov_b32_e32 v33, v19
	s_mov_b32 s21, exec_lo
	s_delay_alu instid0(VALU_DEP_3)
	v_mov_b32_e32 v32, v18
	v_cmpx_gt_u32_e32 8, v2
; %bb.720:                              ;   in Loop: Header=BB468_8 Depth=1
	v_clz_i32_u32_e32 v1, v18
	s_delay_alu instid0(VALU_DEP_1) | instskip(NEXT) | instid1(VALU_DEP_1)
	v_min_u32_e32 v1, 32, v1
	v_subrev_nc_u32_e32 v2, 28, v1
	v_sub_nc_u32_e32 v1, 29, v1
	s_delay_alu instid0(VALU_DEP_2) | instskip(NEXT) | instid1(VALU_DEP_1)
	v_lshlrev_b64 v[2:3], v2, v[18:19]
	v_and_b32_e32 v32, 7, v2
; %bb.721:                              ;   in Loop: Header=BB468_8 Depth=1
	s_or_b32 exec_lo, exec_lo, s21
	v_lshlrev_b32_e32 v0, 24, v0
	s_delay_alu instid0(VALU_DEP_2) | instskip(SKIP_1) | instid1(VALU_DEP_3)
	v_lshlrev_b32_e32 v2, 20, v32
	v_lshl_add_u32 v1, v1, 23, 0x3c000000
	v_and_b32_e32 v0, 0x80000000, v0
	s_delay_alu instid0(VALU_DEP_1)
	v_or3_b32 v1, v2, v0, v1
.LBB468_722:                            ;   in Loop: Header=BB468_8 Depth=1
	s_or_b32 exec_lo, exec_lo, s19
.LBB468_723:                            ;   in Loop: Header=BB468_8 Depth=1
	s_delay_alu instid0(SALU_CYCLE_1)
	s_or_b32 exec_lo, exec_lo, s17
.LBB468_724:                            ;   in Loop: Header=BB468_8 Depth=1
	s_delay_alu instid0(SALU_CYCLE_1) | instskip(NEXT) | instid1(VALU_DEP_1)
	s_or_b32 exec_lo, exec_lo, s3
	v_mul_f32_e32 v0, v79, v1
	s_delay_alu instid0(VALU_DEP_1) | instskip(NEXT) | instid1(VALU_DEP_1)
	v_and_b32_e32 v1, 0x7f800000, v0
	v_cmp_ne_u32_e64 s2, 0x7f800000, v1
                                        ; implicit-def: $vgpr1
                                        ; kill: killed $vgpr1
	s_delay_alu instid0(VALU_DEP_1) | instskip(NEXT) | instid1(SALU_CYCLE_1)
	s_and_saveexec_b32 s3, s2
	s_xor_b32 s2, exec_lo, s3
	s_cbranch_execz .LBB468_726
; %bb.725:                              ;   in Loop: Header=BB468_8 Depth=1
	v_bfe_u32 v1, v0, 16, 1
	s_delay_alu instid0(VALU_DEP_1)
	v_add3_u32 v0, v0, v1, 0x7fff
	scratch_store_b32 off, v0, s32 offset:552 ; 4-byte Folded Spill
                                        ; implicit-def: $vgpr0
.LBB468_726:                            ;   in Loop: Header=BB468_8 Depth=1
	s_and_not1_saveexec_b32 s3, s2
	s_cbranch_execz .LBB468_728
; %bb.727:                              ;   in Loop: Header=BB468_8 Depth=1
	v_and_b32_e32 v1, 0xffff, v0
	v_or_b32_e32 v2, 0x10000, v0
	s_delay_alu instid0(VALU_DEP_2) | instskip(NEXT) | instid1(VALU_DEP_1)
	v_cmp_eq_u32_e64 s2, 0, v1
	v_cndmask_b32_e64 v0, v2, v0, s2
	scratch_store_b32 off, v0, s32 offset:552 ; 4-byte Folded Spill
.LBB468_728:                            ;   in Loop: Header=BB468_8 Depth=1
	s_or_b32 exec_lo, exec_lo, s3
	v_dual_mov_b32 v18, v31 :: v_dual_and_b32 v1, 0xff, v31
	v_mov_b32_e32 v0, 0
	s_mov_b32 s3, exec_lo
	s_delay_alu instid0(VALU_DEP_2)
	v_cmpx_ne_u16_e32 0, v1
	s_cbranch_execz .LBB468_736
; %bb.729:                              ;   in Loop: Header=BB468_8 Depth=1
	v_bfrev_b32_e32 v0, 1
	s_mov_b32 s17, exec_lo
	v_cmpx_ne_u16_e32 0x80, v1
	s_cbranch_execz .LBB468_735
; %bb.730:                              ;   in Loop: Header=BB468_8 Depth=1
	v_and_b32_e32 v1, 0x7f, v31
	v_mov_b32_e32 v0, 0x7f800001
	s_mov_b32 s19, exec_lo
	s_delay_alu instid0(VALU_DEP_2)
	v_cmpx_ne_u32_e32 0x7f, v1
	s_cbranch_execz .LBB468_734
; %bb.731:                              ;   in Loop: Header=BB468_8 Depth=1
	v_lshrrev_b32_e32 v0, 3, v1
	v_dual_mov_b32 v33, v19 :: v_dual_mov_b32 v32, v18
	s_mov_b32 s21, exec_lo
	v_cmpx_gt_u32_e32 8, v1
; %bb.732:                              ;   in Loop: Header=BB468_8 Depth=1
	v_and_b32_e32 v0, 7, v31
	s_delay_alu instid0(VALU_DEP_1) | instskip(NEXT) | instid1(VALU_DEP_1)
	v_clz_i32_u32_e32 v0, v0
	v_min_u32_e32 v0, 32, v0
	s_delay_alu instid0(VALU_DEP_1) | instskip(SKIP_1) | instid1(VALU_DEP_2)
	v_subrev_nc_u32_e32 v1, 28, v0
	v_sub_nc_u32_e32 v0, 29, v0
	v_lshlrev_b64 v[32:33], v1, v[18:19]
; %bb.733:                              ;   in Loop: Header=BB468_8 Depth=1
	s_or_b32 exec_lo, exec_lo, s21
	s_delay_alu instid0(VALU_DEP_1) | instskip(SKIP_2) | instid1(VALU_DEP_3)
	v_lshlrev_b32_e32 v1, 20, v32
	v_lshlrev_b32_e32 v2, 24, v18
	v_lshl_add_u32 v0, v0, 23, 0x3c000000
	v_and_b32_e32 v1, 0x700000, v1
	s_delay_alu instid0(VALU_DEP_3) | instskip(NEXT) | instid1(VALU_DEP_1)
	v_and_b32_e32 v2, 0x80000000, v2
	v_or3_b32 v0, v1, v2, v0
.LBB468_734:                            ;   in Loop: Header=BB468_8 Depth=1
	s_or_b32 exec_lo, exec_lo, s19
.LBB468_735:                            ;   in Loop: Header=BB468_8 Depth=1
	s_delay_alu instid0(SALU_CYCLE_1)
	s_or_b32 exec_lo, exec_lo, s17
.LBB468_736:                            ;   in Loop: Header=BB468_8 Depth=1
	s_delay_alu instid0(SALU_CYCLE_1) | instskip(NEXT) | instid1(VALU_DEP_1)
	s_or_b32 exec_lo, exec_lo, s3
	v_mul_f32_e32 v0, v79, v0
	s_delay_alu instid0(VALU_DEP_1) | instskip(NEXT) | instid1(VALU_DEP_1)
	v_and_b32_e32 v1, 0x7f800000, v0
	v_cmp_ne_u32_e64 s2, 0x7f800000, v1
                                        ; implicit-def: $vgpr1
                                        ; kill: killed $vgpr1
	s_delay_alu instid0(VALU_DEP_1) | instskip(NEXT) | instid1(SALU_CYCLE_1)
	s_and_saveexec_b32 s3, s2
	s_xor_b32 s2, exec_lo, s3
	s_cbranch_execz .LBB468_738
; %bb.737:                              ;   in Loop: Header=BB468_8 Depth=1
	v_bfe_u32 v1, v0, 16, 1
	s_delay_alu instid0(VALU_DEP_1)
	v_add3_u32 v0, v0, v1, 0x7fff
	scratch_store_b32 off, v0, s32 offset:556 ; 4-byte Folded Spill
                                        ; implicit-def: $vgpr0
.LBB468_738:                            ;   in Loop: Header=BB468_8 Depth=1
	s_and_not1_saveexec_b32 s3, s2
	s_cbranch_execz .LBB468_740
; %bb.739:                              ;   in Loop: Header=BB468_8 Depth=1
	v_and_b32_e32 v1, 0xffff, v0
	v_or_b32_e32 v2, 0x10000, v0
	s_delay_alu instid0(VALU_DEP_2) | instskip(NEXT) | instid1(VALU_DEP_1)
	v_cmp_eq_u32_e64 s2, 0, v1
	v_cndmask_b32_e64 v0, v2, v0, s2
	scratch_store_b32 off, v0, s32 offset:556 ; 4-byte Folded Spill
.LBB468_740:                            ;   in Loop: Header=BB468_8 Depth=1
	s_or_b32 exec_lo, exec_lo, s3
	v_lshrrev_b16 v1, 8, v18
	v_mov_b32_e32 v0, 0
	s_mov_b32 s3, exec_lo
	s_delay_alu instid0(VALU_DEP_2)
	v_cmpx_ne_u16_e32 0, v1
	s_cbranch_execz .LBB468_748
; %bb.741:                              ;   in Loop: Header=BB468_8 Depth=1
	v_bfrev_b32_e32 v0, 1
	s_mov_b32 s17, exec_lo
	v_cmpx_ne_u16_e32 0x80, v1
	s_cbranch_execz .LBB468_747
; %bb.742:                              ;   in Loop: Header=BB468_8 Depth=1
	v_and_b32_e32 v2, 0xffff, v1
	v_mov_b32_e32 v0, 0x7f800001
	s_mov_b32 s19, exec_lo
	s_delay_alu instid0(VALU_DEP_2) | instskip(NEXT) | instid1(VALU_DEP_1)
	v_and_b32_e32 v1, 0x7f, v2
	v_cmpx_ne_u32_e32 0x7f, v1
	s_cbranch_execz .LBB468_746
; %bb.743:                              ;   in Loop: Header=BB468_8 Depth=1
	v_dual_mov_b32 v33, v19 :: v_dual_and_b32 v32, 7, v2
	v_lshrrev_b32_e32 v0, 3, v1
	s_mov_b32 s21, exec_lo
	v_cmpx_gt_u32_e32 8, v1
; %bb.744:                              ;   in Loop: Header=BB468_8 Depth=1
	s_delay_alu instid0(VALU_DEP_3) | instskip(NEXT) | instid1(VALU_DEP_1)
	v_clz_i32_u32_e32 v0, v32
	v_min_u32_e32 v0, 32, v0
	s_delay_alu instid0(VALU_DEP_1) | instskip(SKIP_1) | instid1(VALU_DEP_2)
	v_subrev_nc_u32_e32 v1, 28, v0
	v_sub_nc_u32_e32 v0, 29, v0
	v_lshlrev_b64 v[1:2], v1, v[32:33]
	s_delay_alu instid0(VALU_DEP_1)
	v_and_b32_e32 v32, 7, v1
; %bb.745:                              ;   in Loop: Header=BB468_8 Depth=1
	s_or_b32 exec_lo, exec_lo, s21
	v_lshlrev_b32_e32 v1, 16, v18
	s_delay_alu instid0(VALU_DEP_2) | instskip(SKIP_1) | instid1(VALU_DEP_3)
	v_lshlrev_b32_e32 v2, 20, v32
	v_lshl_add_u32 v0, v0, 23, 0x3c000000
	v_and_b32_e32 v1, 0x80000000, v1
	s_delay_alu instid0(VALU_DEP_1)
	v_or3_b32 v0, v2, v1, v0
.LBB468_746:                            ;   in Loop: Header=BB468_8 Depth=1
	s_or_b32 exec_lo, exec_lo, s19
.LBB468_747:                            ;   in Loop: Header=BB468_8 Depth=1
	s_delay_alu instid0(SALU_CYCLE_1)
	s_or_b32 exec_lo, exec_lo, s17
.LBB468_748:                            ;   in Loop: Header=BB468_8 Depth=1
	s_delay_alu instid0(SALU_CYCLE_1) | instskip(NEXT) | instid1(VALU_DEP_1)
	s_or_b32 exec_lo, exec_lo, s3
	v_mul_f32_e32 v0, v79, v0
	s_delay_alu instid0(VALU_DEP_1) | instskip(NEXT) | instid1(VALU_DEP_1)
	v_and_b32_e32 v1, 0x7f800000, v0
	v_cmp_ne_u32_e64 s2, 0x7f800000, v1
                                        ; implicit-def: $vgpr1
                                        ; kill: killed $vgpr1
	s_delay_alu instid0(VALU_DEP_1) | instskip(NEXT) | instid1(SALU_CYCLE_1)
	s_and_saveexec_b32 s3, s2
	s_xor_b32 s2, exec_lo, s3
	s_cbranch_execz .LBB468_750
; %bb.749:                              ;   in Loop: Header=BB468_8 Depth=1
	v_bfe_u32 v1, v0, 16, 1
	s_delay_alu instid0(VALU_DEP_1)
	v_add3_u32 v0, v0, v1, 0x7fff
	scratch_store_b32 off, v0, s32 offset:560 ; 4-byte Folded Spill
                                        ; implicit-def: $vgpr0
.LBB468_750:                            ;   in Loop: Header=BB468_8 Depth=1
	s_and_not1_saveexec_b32 s3, s2
	s_cbranch_execz .LBB468_752
; %bb.751:                              ;   in Loop: Header=BB468_8 Depth=1
	v_and_b32_e32 v1, 0xffff, v0
	v_or_b32_e32 v2, 0x10000, v0
	s_delay_alu instid0(VALU_DEP_2) | instskip(NEXT) | instid1(VALU_DEP_1)
	v_cmp_eq_u32_e64 s2, 0, v1
	v_cndmask_b32_e64 v0, v2, v0, s2
	scratch_store_b32 off, v0, s32 offset:560 ; 4-byte Folded Spill
.LBB468_752:                            ;   in Loop: Header=BB468_8 Depth=1
	s_or_b32 exec_lo, exec_lo, s3
	v_lshrrev_b32_e32 v0, 16, v31
	s_mov_b32 s3, exec_lo
	s_delay_alu instid0(VALU_DEP_1) | instskip(NEXT) | instid1(VALU_DEP_1)
	v_dual_mov_b32 v1, 0 :: v_dual_and_b32 v2, 0xff, v0
	v_cmpx_ne_u16_e32 0, v2
	s_cbranch_execz .LBB468_760
; %bb.753:                              ;   in Loop: Header=BB468_8 Depth=1
	v_bfrev_b32_e32 v1, 1
	s_mov_b32 s17, exec_lo
	v_cmpx_ne_u16_e32 0x80, v2
	s_cbranch_execz .LBB468_759
; %bb.754:                              ;   in Loop: Header=BB468_8 Depth=1
	v_bfe_u32 v2, v31, 16, 7
	v_mov_b32_e32 v1, 0x7f800001
	s_mov_b32 s19, exec_lo
	s_delay_alu instid0(VALU_DEP_2)
	v_cmpx_ne_u32_e32 0x7f, v2
	s_cbranch_execz .LBB468_758
; %bb.755:                              ;   in Loop: Header=BB468_8 Depth=1
	v_and_b32_e32 v18, 7, v0
	v_lshrrev_b32_e32 v1, 3, v2
	v_mov_b32_e32 v33, v19
	s_mov_b32 s21, exec_lo
	s_delay_alu instid0(VALU_DEP_3)
	v_mov_b32_e32 v32, v18
	v_cmpx_gt_u32_e32 8, v2
; %bb.756:                              ;   in Loop: Header=BB468_8 Depth=1
	v_clz_i32_u32_e32 v1, v18
	s_delay_alu instid0(VALU_DEP_1) | instskip(NEXT) | instid1(VALU_DEP_1)
	v_min_u32_e32 v1, 32, v1
	v_subrev_nc_u32_e32 v2, 28, v1
	v_sub_nc_u32_e32 v1, 29, v1
	s_delay_alu instid0(VALU_DEP_2) | instskip(NEXT) | instid1(VALU_DEP_1)
	v_lshlrev_b64 v[2:3], v2, v[18:19]
	v_and_b32_e32 v32, 7, v2
; %bb.757:                              ;   in Loop: Header=BB468_8 Depth=1
	s_or_b32 exec_lo, exec_lo, s21
	v_lshlrev_b32_e32 v0, 24, v0
	s_delay_alu instid0(VALU_DEP_2) | instskip(SKIP_1) | instid1(VALU_DEP_3)
	v_lshlrev_b32_e32 v2, 20, v32
	v_lshl_add_u32 v1, v1, 23, 0x3c000000
	v_and_b32_e32 v0, 0x80000000, v0
	s_delay_alu instid0(VALU_DEP_1)
	v_or3_b32 v1, v2, v0, v1
.LBB468_758:                            ;   in Loop: Header=BB468_8 Depth=1
	s_or_b32 exec_lo, exec_lo, s19
.LBB468_759:                            ;   in Loop: Header=BB468_8 Depth=1
	s_delay_alu instid0(SALU_CYCLE_1)
	s_or_b32 exec_lo, exec_lo, s17
.LBB468_760:                            ;   in Loop: Header=BB468_8 Depth=1
	s_delay_alu instid0(SALU_CYCLE_1) | instskip(NEXT) | instid1(VALU_DEP_1)
	s_or_b32 exec_lo, exec_lo, s3
	v_mul_f32_e32 v0, v79, v1
	s_delay_alu instid0(VALU_DEP_1) | instskip(NEXT) | instid1(VALU_DEP_1)
	v_and_b32_e32 v1, 0x7f800000, v0
	v_cmp_ne_u32_e64 s2, 0x7f800000, v1
                                        ; implicit-def: $vgpr1
                                        ; kill: killed $vgpr1
	s_delay_alu instid0(VALU_DEP_1) | instskip(NEXT) | instid1(SALU_CYCLE_1)
	s_and_saveexec_b32 s3, s2
	s_xor_b32 s2, exec_lo, s3
	s_cbranch_execz .LBB468_762
; %bb.761:                              ;   in Loop: Header=BB468_8 Depth=1
	v_bfe_u32 v1, v0, 16, 1
	s_delay_alu instid0(VALU_DEP_1)
	v_add3_u32 v0, v0, v1, 0x7fff
	scratch_store_b32 off, v0, s32 offset:564 ; 4-byte Folded Spill
                                        ; implicit-def: $vgpr0
.LBB468_762:                            ;   in Loop: Header=BB468_8 Depth=1
	s_and_not1_saveexec_b32 s3, s2
	s_cbranch_execz .LBB468_764
; %bb.763:                              ;   in Loop: Header=BB468_8 Depth=1
	v_and_b32_e32 v1, 0xffff, v0
	v_or_b32_e32 v2, 0x10000, v0
	s_delay_alu instid0(VALU_DEP_2) | instskip(NEXT) | instid1(VALU_DEP_1)
	v_cmp_eq_u32_e64 s2, 0, v1
	v_cndmask_b32_e64 v0, v2, v0, s2
	scratch_store_b32 off, v0, s32 offset:564 ; 4-byte Folded Spill
.LBB468_764:                            ;   in Loop: Header=BB468_8 Depth=1
	s_or_b32 exec_lo, exec_lo, s3
	v_mov_b32_e32 v1, 0
	s_mov_b32 s3, exec_lo
	v_cmpx_lt_u64_e64 s[4:5], v[30:31]
	s_cbranch_execz .LBB468_772
; %bb.765:                              ;   in Loop: Header=BB468_8 Depth=1
	v_lshrrev_b32_e32 v0, 24, v31
	v_bfrev_b32_e32 v1, 1
	s_mov_b32 s17, exec_lo
	s_delay_alu instid0(VALU_DEP_2)
	v_cmpx_ne_u32_e32 0x80, v0
	s_cbranch_execz .LBB468_771
; %bb.766:                              ;   in Loop: Header=BB468_8 Depth=1
	v_bfe_u32 v2, v31, 24, 7
	v_mov_b32_e32 v1, 0x7f800001
	s_mov_b32 s19, exec_lo
	s_delay_alu instid0(VALU_DEP_2)
	v_cmpx_ne_u32_e32 0x7f, v2
	s_cbranch_execz .LBB468_770
; %bb.767:                              ;   in Loop: Header=BB468_8 Depth=1
	v_and_b32_e32 v18, 7, v0
	v_lshrrev_b32_e32 v1, 3, v2
	v_mov_b32_e32 v31, v19
	s_mov_b32 s21, exec_lo
	s_delay_alu instid0(VALU_DEP_3)
	v_mov_b32_e32 v30, v18
	v_cmpx_gt_u32_e32 8, v2
; %bb.768:                              ;   in Loop: Header=BB468_8 Depth=1
	v_clz_i32_u32_e32 v1, v18
	s_delay_alu instid0(VALU_DEP_1) | instskip(NEXT) | instid1(VALU_DEP_1)
	v_min_u32_e32 v1, 32, v1
	v_subrev_nc_u32_e32 v2, 28, v1
	v_sub_nc_u32_e32 v1, 29, v1
	s_delay_alu instid0(VALU_DEP_2) | instskip(NEXT) | instid1(VALU_DEP_1)
	v_lshlrev_b64 v[2:3], v2, v[18:19]
	v_and_b32_e32 v30, 7, v2
; %bb.769:                              ;   in Loop: Header=BB468_8 Depth=1
	s_or_b32 exec_lo, exec_lo, s21
	v_lshlrev_b32_e32 v0, 24, v0
	s_delay_alu instid0(VALU_DEP_2) | instskip(SKIP_1) | instid1(VALU_DEP_3)
	v_lshlrev_b32_e32 v2, 20, v30
	v_lshl_add_u32 v1, v1, 23, 0x3c000000
	v_and_b32_e32 v0, 0x80000000, v0
	s_delay_alu instid0(VALU_DEP_1)
	v_or3_b32 v1, v2, v0, v1
.LBB468_770:                            ;   in Loop: Header=BB468_8 Depth=1
	s_or_b32 exec_lo, exec_lo, s19
.LBB468_771:                            ;   in Loop: Header=BB468_8 Depth=1
	s_delay_alu instid0(SALU_CYCLE_1)
	s_or_b32 exec_lo, exec_lo, s17
.LBB468_772:                            ;   in Loop: Header=BB468_8 Depth=1
	s_delay_alu instid0(SALU_CYCLE_1) | instskip(NEXT) | instid1(VALU_DEP_1)
	s_or_b32 exec_lo, exec_lo, s3
	v_mul_f32_e32 v0, v79, v1
	s_delay_alu instid0(VALU_DEP_1) | instskip(NEXT) | instid1(VALU_DEP_1)
	v_and_b32_e32 v1, 0x7f800000, v0
	v_cmp_ne_u32_e64 s2, 0x7f800000, v1
                                        ; implicit-def: $vgpr1
                                        ; kill: killed $vgpr1
	s_delay_alu instid0(VALU_DEP_1) | instskip(NEXT) | instid1(SALU_CYCLE_1)
	s_and_saveexec_b32 s3, s2
	s_xor_b32 s2, exec_lo, s3
	s_cbranch_execz .LBB468_774
; %bb.773:                              ;   in Loop: Header=BB468_8 Depth=1
	v_bfe_u32 v1, v0, 16, 1
	s_delay_alu instid0(VALU_DEP_1)
	v_add3_u32 v0, v0, v1, 0x7fff
	scratch_store_b32 off, v0, s32 offset:568 ; 4-byte Folded Spill
                                        ; implicit-def: $vgpr0
.LBB468_774:                            ;   in Loop: Header=BB468_8 Depth=1
	s_and_not1_saveexec_b32 s3, s2
	s_cbranch_execz .LBB468_776
; %bb.775:                              ;   in Loop: Header=BB468_8 Depth=1
	v_and_b32_e32 v1, 0xffff, v0
	v_or_b32_e32 v2, 0x10000, v0
	s_delay_alu instid0(VALU_DEP_2) | instskip(NEXT) | instid1(VALU_DEP_1)
	v_cmp_eq_u32_e64 s2, 0, v1
	v_cndmask_b32_e64 v0, v2, v0, s2
	scratch_store_b32 off, v0, s32 offset:568 ; 4-byte Folded Spill
.LBB468_776:                            ;   in Loop: Header=BB468_8 Depth=1
	s_or_b32 exec_lo, exec_lo, s3
	flat_load_b64 v[30:31], v[28:29] offset:2048
	s_mov_b32 s3, exec_lo
	s_waitcnt vmcnt(0) lgkmcnt(0)
	v_dual_mov_b32 v0, 0 :: v_dual_and_b32 v1, 0xff, v30
	s_delay_alu instid0(VALU_DEP_1)
	v_cmpx_ne_u16_e32 0, v1
	s_cbranch_execz .LBB468_784
; %bb.777:                              ;   in Loop: Header=BB468_8 Depth=1
	v_bfrev_b32_e32 v0, 1
	s_mov_b32 s17, exec_lo
	v_cmpx_ne_u16_e32 0x80, v1
	s_cbranch_execz .LBB468_783
; %bb.778:                              ;   in Loop: Header=BB468_8 Depth=1
	v_and_b32_e32 v1, 0x7f, v30
	v_mov_b32_e32 v0, 0x7f800001
	s_mov_b32 s19, exec_lo
	s_delay_alu instid0(VALU_DEP_2)
	v_cmpx_ne_u32_e32 0x7f, v1
	s_cbranch_execz .LBB468_782
; %bb.779:                              ;   in Loop: Header=BB468_8 Depth=1
	v_lshrrev_b32_e32 v0, 3, v1
	v_dual_mov_b32 v33, v31 :: v_dual_mov_b32 v32, v30
	s_mov_b32 s21, exec_lo
	v_cmpx_gt_u32_e32 8, v1
; %bb.780:                              ;   in Loop: Header=BB468_8 Depth=1
	v_and_b32_e32 v0, 7, v30
	s_delay_alu instid0(VALU_DEP_1) | instskip(NEXT) | instid1(VALU_DEP_1)
	v_clz_i32_u32_e32 v0, v0
	v_min_u32_e32 v0, 32, v0
	s_delay_alu instid0(VALU_DEP_1) | instskip(SKIP_1) | instid1(VALU_DEP_2)
	v_subrev_nc_u32_e32 v1, 28, v0
	v_sub_nc_u32_e32 v0, 29, v0
	v_lshlrev_b64 v[32:33], v1, v[30:31]
; %bb.781:                              ;   in Loop: Header=BB468_8 Depth=1
	s_or_b32 exec_lo, exec_lo, s21
	s_delay_alu instid0(VALU_DEP_1) | instskip(SKIP_2) | instid1(VALU_DEP_3)
	v_lshlrev_b32_e32 v1, 20, v32
	v_lshlrev_b32_e32 v2, 24, v30
	v_lshl_add_u32 v0, v0, 23, 0x3c000000
	v_and_b32_e32 v1, 0x700000, v1
	s_delay_alu instid0(VALU_DEP_3) | instskip(NEXT) | instid1(VALU_DEP_1)
	v_and_b32_e32 v2, 0x80000000, v2
	v_or3_b32 v0, v1, v2, v0
.LBB468_782:                            ;   in Loop: Header=BB468_8 Depth=1
	s_or_b32 exec_lo, exec_lo, s19
.LBB468_783:                            ;   in Loop: Header=BB468_8 Depth=1
	s_delay_alu instid0(SALU_CYCLE_1)
	s_or_b32 exec_lo, exec_lo, s17
.LBB468_784:                            ;   in Loop: Header=BB468_8 Depth=1
	s_delay_alu instid0(SALU_CYCLE_1) | instskip(NEXT) | instid1(VALU_DEP_1)
	s_or_b32 exec_lo, exec_lo, s3
	v_mul_f32_e32 v0, v79, v0
	s_delay_alu instid0(VALU_DEP_1) | instskip(NEXT) | instid1(VALU_DEP_1)
	v_and_b32_e32 v1, 0x7f800000, v0
	v_cmp_ne_u32_e64 s2, 0x7f800000, v1
                                        ; implicit-def: $vgpr1
                                        ; kill: killed $vgpr1
	s_delay_alu instid0(VALU_DEP_1) | instskip(NEXT) | instid1(SALU_CYCLE_1)
	s_and_saveexec_b32 s3, s2
	s_xor_b32 s2, exec_lo, s3
	s_cbranch_execz .LBB468_786
; %bb.785:                              ;   in Loop: Header=BB468_8 Depth=1
	v_bfe_u32 v1, v0, 16, 1
	s_delay_alu instid0(VALU_DEP_1)
	v_add3_u32 v0, v0, v1, 0x7fff
	scratch_store_b32 off, v0, s32 offset:572 ; 4-byte Folded Spill
                                        ; implicit-def: $vgpr0
.LBB468_786:                            ;   in Loop: Header=BB468_8 Depth=1
	s_and_not1_saveexec_b32 s3, s2
	s_cbranch_execz .LBB468_788
; %bb.787:                              ;   in Loop: Header=BB468_8 Depth=1
	v_and_b32_e32 v1, 0xffff, v0
	v_or_b32_e32 v2, 0x10000, v0
	s_delay_alu instid0(VALU_DEP_2) | instskip(NEXT) | instid1(VALU_DEP_1)
	v_cmp_eq_u32_e64 s2, 0, v1
	v_cndmask_b32_e64 v0, v2, v0, s2
	scratch_store_b32 off, v0, s32 offset:572 ; 4-byte Folded Spill
.LBB468_788:                            ;   in Loop: Header=BB468_8 Depth=1
	s_or_b32 exec_lo, exec_lo, s3
	v_lshrrev_b16 v1, 8, v30
	v_mov_b32_e32 v0, 0
	s_mov_b32 s3, exec_lo
	s_delay_alu instid0(VALU_DEP_2)
	v_cmpx_ne_u16_e32 0, v1
	s_cbranch_execz .LBB468_796
; %bb.789:                              ;   in Loop: Header=BB468_8 Depth=1
	v_bfrev_b32_e32 v0, 1
	s_mov_b32 s17, exec_lo
	v_cmpx_ne_u16_e32 0x80, v1
	s_cbranch_execz .LBB468_795
; %bb.790:                              ;   in Loop: Header=BB468_8 Depth=1
	v_and_b32_e32 v2, 0xffff, v1
	v_mov_b32_e32 v0, 0x7f800001
	s_mov_b32 s19, exec_lo
	s_delay_alu instid0(VALU_DEP_2) | instskip(NEXT) | instid1(VALU_DEP_1)
	v_and_b32_e32 v1, 0x7f, v2
	v_cmpx_ne_u32_e32 0x7f, v1
	s_cbranch_execz .LBB468_794
; %bb.791:                              ;   in Loop: Header=BB468_8 Depth=1
	v_and_b32_e32 v18, 7, v2
	v_lshrrev_b32_e32 v0, 3, v1
	v_mov_b32_e32 v33, v19
	s_mov_b32 s21, exec_lo
	s_delay_alu instid0(VALU_DEP_3)
	v_mov_b32_e32 v32, v18
	v_cmpx_gt_u32_e32 8, v1
; %bb.792:                              ;   in Loop: Header=BB468_8 Depth=1
	v_clz_i32_u32_e32 v0, v18
	s_delay_alu instid0(VALU_DEP_1) | instskip(NEXT) | instid1(VALU_DEP_1)
	v_min_u32_e32 v0, 32, v0
	v_subrev_nc_u32_e32 v1, 28, v0
	v_sub_nc_u32_e32 v0, 29, v0
	s_delay_alu instid0(VALU_DEP_2) | instskip(NEXT) | instid1(VALU_DEP_1)
	v_lshlrev_b64 v[1:2], v1, v[18:19]
	v_and_b32_e32 v32, 7, v1
; %bb.793:                              ;   in Loop: Header=BB468_8 Depth=1
	s_or_b32 exec_lo, exec_lo, s21
	v_lshlrev_b32_e32 v1, 16, v30
	s_delay_alu instid0(VALU_DEP_2) | instskip(SKIP_1) | instid1(VALU_DEP_3)
	v_lshlrev_b32_e32 v2, 20, v32
	v_lshl_add_u32 v0, v0, 23, 0x3c000000
	v_and_b32_e32 v1, 0x80000000, v1
	s_delay_alu instid0(VALU_DEP_1)
	v_or3_b32 v0, v2, v1, v0
.LBB468_794:                            ;   in Loop: Header=BB468_8 Depth=1
	s_or_b32 exec_lo, exec_lo, s19
.LBB468_795:                            ;   in Loop: Header=BB468_8 Depth=1
	s_delay_alu instid0(SALU_CYCLE_1)
	s_or_b32 exec_lo, exec_lo, s17
.LBB468_796:                            ;   in Loop: Header=BB468_8 Depth=1
	s_delay_alu instid0(SALU_CYCLE_1) | instskip(NEXT) | instid1(VALU_DEP_1)
	s_or_b32 exec_lo, exec_lo, s3
	v_mul_f32_e32 v0, v79, v0
	s_delay_alu instid0(VALU_DEP_1) | instskip(NEXT) | instid1(VALU_DEP_1)
	v_and_b32_e32 v1, 0x7f800000, v0
	v_cmp_ne_u32_e64 s2, 0x7f800000, v1
                                        ; implicit-def: $vgpr1
                                        ; kill: killed $vgpr1
	s_delay_alu instid0(VALU_DEP_1) | instskip(NEXT) | instid1(SALU_CYCLE_1)
	s_and_saveexec_b32 s3, s2
	s_xor_b32 s2, exec_lo, s3
	s_cbranch_execz .LBB468_798
; %bb.797:                              ;   in Loop: Header=BB468_8 Depth=1
	v_bfe_u32 v1, v0, 16, 1
	s_delay_alu instid0(VALU_DEP_1)
	v_add3_u32 v0, v0, v1, 0x7fff
	scratch_store_b32 off, v0, s32 offset:576 ; 4-byte Folded Spill
                                        ; implicit-def: $vgpr0
.LBB468_798:                            ;   in Loop: Header=BB468_8 Depth=1
	s_and_not1_saveexec_b32 s3, s2
	s_cbranch_execz .LBB468_800
; %bb.799:                              ;   in Loop: Header=BB468_8 Depth=1
	v_and_b32_e32 v1, 0xffff, v0
	v_or_b32_e32 v2, 0x10000, v0
	s_delay_alu instid0(VALU_DEP_2) | instskip(NEXT) | instid1(VALU_DEP_1)
	v_cmp_eq_u32_e64 s2, 0, v1
	v_cndmask_b32_e64 v0, v2, v0, s2
	scratch_store_b32 off, v0, s32 offset:576 ; 4-byte Folded Spill
.LBB468_800:                            ;   in Loop: Header=BB468_8 Depth=1
	s_or_b32 exec_lo, exec_lo, s3
	v_lshrrev_b32_e32 v0, 16, v30
	s_mov_b32 s3, exec_lo
	s_delay_alu instid0(VALU_DEP_1) | instskip(NEXT) | instid1(VALU_DEP_1)
	v_dual_mov_b32 v1, 0 :: v_dual_and_b32 v2, 0xff, v0
	v_cmpx_ne_u16_e32 0, v2
	s_cbranch_execz .LBB468_808
; %bb.801:                              ;   in Loop: Header=BB468_8 Depth=1
	v_bfrev_b32_e32 v1, 1
	s_mov_b32 s17, exec_lo
	v_cmpx_ne_u16_e32 0x80, v2
	s_cbranch_execz .LBB468_807
; %bb.802:                              ;   in Loop: Header=BB468_8 Depth=1
	v_bfe_u32 v2, v30, 16, 7
	v_mov_b32_e32 v1, 0x7f800001
	s_mov_b32 s19, exec_lo
	s_delay_alu instid0(VALU_DEP_2)
	v_cmpx_ne_u32_e32 0x7f, v2
	s_cbranch_execz .LBB468_806
; %bb.803:                              ;   in Loop: Header=BB468_8 Depth=1
	v_and_b32_e32 v18, 7, v0
	v_lshrrev_b32_e32 v1, 3, v2
	v_mov_b32_e32 v33, v19
	s_mov_b32 s21, exec_lo
	s_delay_alu instid0(VALU_DEP_3)
	v_mov_b32_e32 v32, v18
	v_cmpx_gt_u32_e32 8, v2
; %bb.804:                              ;   in Loop: Header=BB468_8 Depth=1
	v_clz_i32_u32_e32 v1, v18
	s_delay_alu instid0(VALU_DEP_1) | instskip(NEXT) | instid1(VALU_DEP_1)
	v_min_u32_e32 v1, 32, v1
	v_subrev_nc_u32_e32 v2, 28, v1
	v_sub_nc_u32_e32 v1, 29, v1
	s_delay_alu instid0(VALU_DEP_2) | instskip(NEXT) | instid1(VALU_DEP_1)
	v_lshlrev_b64 v[2:3], v2, v[18:19]
	v_and_b32_e32 v32, 7, v2
; %bb.805:                              ;   in Loop: Header=BB468_8 Depth=1
	s_or_b32 exec_lo, exec_lo, s21
	v_lshlrev_b32_e32 v0, 24, v0
	s_delay_alu instid0(VALU_DEP_2) | instskip(SKIP_1) | instid1(VALU_DEP_3)
	v_lshlrev_b32_e32 v2, 20, v32
	v_lshl_add_u32 v1, v1, 23, 0x3c000000
	v_and_b32_e32 v0, 0x80000000, v0
	s_delay_alu instid0(VALU_DEP_1)
	v_or3_b32 v1, v2, v0, v1
.LBB468_806:                            ;   in Loop: Header=BB468_8 Depth=1
	s_or_b32 exec_lo, exec_lo, s19
.LBB468_807:                            ;   in Loop: Header=BB468_8 Depth=1
	s_delay_alu instid0(SALU_CYCLE_1)
	s_or_b32 exec_lo, exec_lo, s17
.LBB468_808:                            ;   in Loop: Header=BB468_8 Depth=1
	s_delay_alu instid0(SALU_CYCLE_1) | instskip(NEXT) | instid1(VALU_DEP_1)
	s_or_b32 exec_lo, exec_lo, s3
	v_mul_f32_e32 v0, v79, v1
	s_delay_alu instid0(VALU_DEP_1) | instskip(NEXT) | instid1(VALU_DEP_1)
	v_and_b32_e32 v1, 0x7f800000, v0
	v_cmp_ne_u32_e64 s2, 0x7f800000, v1
                                        ; implicit-def: $vgpr1
                                        ; kill: killed $vgpr1
	s_delay_alu instid0(VALU_DEP_1) | instskip(NEXT) | instid1(SALU_CYCLE_1)
	s_and_saveexec_b32 s3, s2
	s_xor_b32 s2, exec_lo, s3
	s_cbranch_execz .LBB468_810
; %bb.809:                              ;   in Loop: Header=BB468_8 Depth=1
	v_bfe_u32 v1, v0, 16, 1
	s_delay_alu instid0(VALU_DEP_1)
	v_add3_u32 v0, v0, v1, 0x7fff
	scratch_store_b32 off, v0, s32 offset:580 ; 4-byte Folded Spill
                                        ; implicit-def: $vgpr0
.LBB468_810:                            ;   in Loop: Header=BB468_8 Depth=1
	s_and_not1_saveexec_b32 s3, s2
	s_cbranch_execz .LBB468_812
; %bb.811:                              ;   in Loop: Header=BB468_8 Depth=1
	v_and_b32_e32 v1, 0xffff, v0
	v_or_b32_e32 v2, 0x10000, v0
	s_delay_alu instid0(VALU_DEP_2) | instskip(NEXT) | instid1(VALU_DEP_1)
	v_cmp_eq_u32_e64 s2, 0, v1
	v_cndmask_b32_e64 v0, v2, v0, s2
	scratch_store_b32 off, v0, s32 offset:580 ; 4-byte Folded Spill
.LBB468_812:                            ;   in Loop: Header=BB468_8 Depth=1
	s_or_b32 exec_lo, exec_lo, s3
	v_mov_b32_e32 v1, 0
	s_mov_b32 s3, exec_lo
	v_cmpx_lt_u32_e32 0xffffff, v30
	s_cbranch_execz .LBB468_820
; %bb.813:                              ;   in Loop: Header=BB468_8 Depth=1
	v_lshrrev_b32_e32 v0, 24, v30
	v_bfrev_b32_e32 v1, 1
	s_mov_b32 s17, exec_lo
	s_delay_alu instid0(VALU_DEP_2)
	v_cmpx_ne_u32_e32 0x80, v0
	s_cbranch_execz .LBB468_819
; %bb.814:                              ;   in Loop: Header=BB468_8 Depth=1
	v_bfe_u32 v2, v30, 24, 7
	v_mov_b32_e32 v1, 0x7f800001
	s_mov_b32 s19, exec_lo
	s_delay_alu instid0(VALU_DEP_2)
	v_cmpx_ne_u32_e32 0x7f, v2
	s_cbranch_execz .LBB468_818
; %bb.815:                              ;   in Loop: Header=BB468_8 Depth=1
	v_and_b32_e32 v18, 7, v0
	v_lshrrev_b32_e32 v1, 3, v2
	v_mov_b32_e32 v33, v19
	s_mov_b32 s21, exec_lo
	s_delay_alu instid0(VALU_DEP_3)
	v_mov_b32_e32 v32, v18
	v_cmpx_gt_u32_e32 8, v2
; %bb.816:                              ;   in Loop: Header=BB468_8 Depth=1
	v_clz_i32_u32_e32 v1, v18
	s_delay_alu instid0(VALU_DEP_1) | instskip(NEXT) | instid1(VALU_DEP_1)
	v_min_u32_e32 v1, 32, v1
	v_subrev_nc_u32_e32 v2, 28, v1
	v_sub_nc_u32_e32 v1, 29, v1
	s_delay_alu instid0(VALU_DEP_2) | instskip(NEXT) | instid1(VALU_DEP_1)
	v_lshlrev_b64 v[2:3], v2, v[18:19]
	v_and_b32_e32 v32, 7, v2
; %bb.817:                              ;   in Loop: Header=BB468_8 Depth=1
	s_or_b32 exec_lo, exec_lo, s21
	v_lshlrev_b32_e32 v0, 24, v0
	s_delay_alu instid0(VALU_DEP_2) | instskip(SKIP_1) | instid1(VALU_DEP_3)
	v_lshlrev_b32_e32 v2, 20, v32
	v_lshl_add_u32 v1, v1, 23, 0x3c000000
	v_and_b32_e32 v0, 0x80000000, v0
	s_delay_alu instid0(VALU_DEP_1)
	v_or3_b32 v1, v2, v0, v1
.LBB468_818:                            ;   in Loop: Header=BB468_8 Depth=1
	s_or_b32 exec_lo, exec_lo, s19
.LBB468_819:                            ;   in Loop: Header=BB468_8 Depth=1
	s_delay_alu instid0(SALU_CYCLE_1)
	s_or_b32 exec_lo, exec_lo, s17
.LBB468_820:                            ;   in Loop: Header=BB468_8 Depth=1
	s_delay_alu instid0(SALU_CYCLE_1) | instskip(NEXT) | instid1(VALU_DEP_1)
	s_or_b32 exec_lo, exec_lo, s3
	v_mul_f32_e32 v0, v79, v1
	s_delay_alu instid0(VALU_DEP_1) | instskip(NEXT) | instid1(VALU_DEP_1)
	v_and_b32_e32 v1, 0x7f800000, v0
	v_cmp_ne_u32_e64 s2, 0x7f800000, v1
                                        ; implicit-def: $vgpr1
                                        ; kill: killed $vgpr1
	s_delay_alu instid0(VALU_DEP_1) | instskip(NEXT) | instid1(SALU_CYCLE_1)
	s_and_saveexec_b32 s3, s2
	s_xor_b32 s2, exec_lo, s3
	s_cbranch_execz .LBB468_822
; %bb.821:                              ;   in Loop: Header=BB468_8 Depth=1
	v_bfe_u32 v1, v0, 16, 1
	s_delay_alu instid0(VALU_DEP_1)
	v_add3_u32 v0, v0, v1, 0x7fff
	scratch_store_b32 off, v0, s32 offset:584 ; 4-byte Folded Spill
                                        ; implicit-def: $vgpr0
.LBB468_822:                            ;   in Loop: Header=BB468_8 Depth=1
	s_and_not1_saveexec_b32 s3, s2
	s_cbranch_execz .LBB468_824
; %bb.823:                              ;   in Loop: Header=BB468_8 Depth=1
	v_and_b32_e32 v1, 0xffff, v0
	v_or_b32_e32 v2, 0x10000, v0
	s_delay_alu instid0(VALU_DEP_2) | instskip(NEXT) | instid1(VALU_DEP_1)
	v_cmp_eq_u32_e64 s2, 0, v1
	v_cndmask_b32_e64 v0, v2, v0, s2
	scratch_store_b32 off, v0, s32 offset:584 ; 4-byte Folded Spill
.LBB468_824:                            ;   in Loop: Header=BB468_8 Depth=1
	s_or_b32 exec_lo, exec_lo, s3
	v_dual_mov_b32 v18, v31 :: v_dual_and_b32 v1, 0xff, v31
	v_mov_b32_e32 v0, 0
	s_mov_b32 s3, exec_lo
	s_delay_alu instid0(VALU_DEP_2)
	v_cmpx_ne_u16_e32 0, v1
	s_cbranch_execz .LBB468_832
; %bb.825:                              ;   in Loop: Header=BB468_8 Depth=1
	v_bfrev_b32_e32 v0, 1
	s_mov_b32 s17, exec_lo
	v_cmpx_ne_u16_e32 0x80, v1
	s_cbranch_execz .LBB468_831
; %bb.826:                              ;   in Loop: Header=BB468_8 Depth=1
	v_and_b32_e32 v1, 0x7f, v31
	v_mov_b32_e32 v0, 0x7f800001
	s_mov_b32 s19, exec_lo
	s_delay_alu instid0(VALU_DEP_2)
	v_cmpx_ne_u32_e32 0x7f, v1
	s_cbranch_execz .LBB468_830
; %bb.827:                              ;   in Loop: Header=BB468_8 Depth=1
	v_lshrrev_b32_e32 v0, 3, v1
	v_dual_mov_b32 v33, v19 :: v_dual_mov_b32 v32, v18
	s_mov_b32 s21, exec_lo
	v_cmpx_gt_u32_e32 8, v1
; %bb.828:                              ;   in Loop: Header=BB468_8 Depth=1
	v_and_b32_e32 v0, 7, v31
	s_delay_alu instid0(VALU_DEP_1) | instskip(NEXT) | instid1(VALU_DEP_1)
	v_clz_i32_u32_e32 v0, v0
	v_min_u32_e32 v0, 32, v0
	s_delay_alu instid0(VALU_DEP_1) | instskip(SKIP_1) | instid1(VALU_DEP_2)
	v_subrev_nc_u32_e32 v1, 28, v0
	v_sub_nc_u32_e32 v0, 29, v0
	v_lshlrev_b64 v[32:33], v1, v[18:19]
; %bb.829:                              ;   in Loop: Header=BB468_8 Depth=1
	s_or_b32 exec_lo, exec_lo, s21
	s_delay_alu instid0(VALU_DEP_1) | instskip(SKIP_2) | instid1(VALU_DEP_3)
	v_lshlrev_b32_e32 v1, 20, v32
	v_lshlrev_b32_e32 v2, 24, v18
	v_lshl_add_u32 v0, v0, 23, 0x3c000000
	v_and_b32_e32 v1, 0x700000, v1
	s_delay_alu instid0(VALU_DEP_3) | instskip(NEXT) | instid1(VALU_DEP_1)
	v_and_b32_e32 v2, 0x80000000, v2
	v_or3_b32 v0, v1, v2, v0
.LBB468_830:                            ;   in Loop: Header=BB468_8 Depth=1
	s_or_b32 exec_lo, exec_lo, s19
.LBB468_831:                            ;   in Loop: Header=BB468_8 Depth=1
	s_delay_alu instid0(SALU_CYCLE_1)
	s_or_b32 exec_lo, exec_lo, s17
.LBB468_832:                            ;   in Loop: Header=BB468_8 Depth=1
	s_delay_alu instid0(SALU_CYCLE_1) | instskip(NEXT) | instid1(VALU_DEP_1)
	s_or_b32 exec_lo, exec_lo, s3
	v_mul_f32_e32 v0, v79, v0
	s_delay_alu instid0(VALU_DEP_1) | instskip(NEXT) | instid1(VALU_DEP_1)
	v_and_b32_e32 v1, 0x7f800000, v0
	v_cmp_ne_u32_e64 s2, 0x7f800000, v1
                                        ; implicit-def: $vgpr1
                                        ; kill: killed $vgpr1
	s_delay_alu instid0(VALU_DEP_1) | instskip(NEXT) | instid1(SALU_CYCLE_1)
	s_and_saveexec_b32 s3, s2
	s_xor_b32 s2, exec_lo, s3
	s_cbranch_execz .LBB468_834
; %bb.833:                              ;   in Loop: Header=BB468_8 Depth=1
	v_bfe_u32 v1, v0, 16, 1
	s_delay_alu instid0(VALU_DEP_1)
	v_add3_u32 v0, v0, v1, 0x7fff
	scratch_store_b32 off, v0, s32 offset:588 ; 4-byte Folded Spill
                                        ; implicit-def: $vgpr0
.LBB468_834:                            ;   in Loop: Header=BB468_8 Depth=1
	s_and_not1_saveexec_b32 s3, s2
	s_cbranch_execz .LBB468_836
; %bb.835:                              ;   in Loop: Header=BB468_8 Depth=1
	v_and_b32_e32 v1, 0xffff, v0
	v_or_b32_e32 v2, 0x10000, v0
	s_delay_alu instid0(VALU_DEP_2) | instskip(NEXT) | instid1(VALU_DEP_1)
	v_cmp_eq_u32_e64 s2, 0, v1
	v_cndmask_b32_e64 v0, v2, v0, s2
	scratch_store_b32 off, v0, s32 offset:588 ; 4-byte Folded Spill
.LBB468_836:                            ;   in Loop: Header=BB468_8 Depth=1
	s_or_b32 exec_lo, exec_lo, s3
	v_lshrrev_b16 v1, 8, v18
	v_mov_b32_e32 v0, 0
	s_mov_b32 s3, exec_lo
	s_delay_alu instid0(VALU_DEP_2)
	v_cmpx_ne_u16_e32 0, v1
	s_cbranch_execz .LBB468_844
; %bb.837:                              ;   in Loop: Header=BB468_8 Depth=1
	v_bfrev_b32_e32 v0, 1
	s_mov_b32 s17, exec_lo
	v_cmpx_ne_u16_e32 0x80, v1
	s_cbranch_execz .LBB468_843
; %bb.838:                              ;   in Loop: Header=BB468_8 Depth=1
	v_and_b32_e32 v2, 0xffff, v1
	v_mov_b32_e32 v0, 0x7f800001
	s_mov_b32 s19, exec_lo
	s_delay_alu instid0(VALU_DEP_2) | instskip(NEXT) | instid1(VALU_DEP_1)
	v_and_b32_e32 v1, 0x7f, v2
	v_cmpx_ne_u32_e32 0x7f, v1
	s_cbranch_execz .LBB468_842
; %bb.839:                              ;   in Loop: Header=BB468_8 Depth=1
	v_dual_mov_b32 v33, v19 :: v_dual_and_b32 v32, 7, v2
	v_lshrrev_b32_e32 v0, 3, v1
	s_mov_b32 s21, exec_lo
	v_cmpx_gt_u32_e32 8, v1
; %bb.840:                              ;   in Loop: Header=BB468_8 Depth=1
	s_delay_alu instid0(VALU_DEP_3) | instskip(NEXT) | instid1(VALU_DEP_1)
	v_clz_i32_u32_e32 v0, v32
	v_min_u32_e32 v0, 32, v0
	s_delay_alu instid0(VALU_DEP_1) | instskip(SKIP_1) | instid1(VALU_DEP_2)
	v_subrev_nc_u32_e32 v1, 28, v0
	v_sub_nc_u32_e32 v0, 29, v0
	v_lshlrev_b64 v[1:2], v1, v[32:33]
	s_delay_alu instid0(VALU_DEP_1)
	v_and_b32_e32 v32, 7, v1
; %bb.841:                              ;   in Loop: Header=BB468_8 Depth=1
	s_or_b32 exec_lo, exec_lo, s21
	v_lshlrev_b32_e32 v1, 16, v18
	s_delay_alu instid0(VALU_DEP_2) | instskip(SKIP_1) | instid1(VALU_DEP_3)
	v_lshlrev_b32_e32 v2, 20, v32
	v_lshl_add_u32 v0, v0, 23, 0x3c000000
	v_and_b32_e32 v1, 0x80000000, v1
	s_delay_alu instid0(VALU_DEP_1)
	v_or3_b32 v0, v2, v1, v0
.LBB468_842:                            ;   in Loop: Header=BB468_8 Depth=1
	s_or_b32 exec_lo, exec_lo, s19
.LBB468_843:                            ;   in Loop: Header=BB468_8 Depth=1
	s_delay_alu instid0(SALU_CYCLE_1)
	s_or_b32 exec_lo, exec_lo, s17
.LBB468_844:                            ;   in Loop: Header=BB468_8 Depth=1
	s_delay_alu instid0(SALU_CYCLE_1) | instskip(NEXT) | instid1(VALU_DEP_1)
	s_or_b32 exec_lo, exec_lo, s3
	v_mul_f32_e32 v0, v79, v0
	s_delay_alu instid0(VALU_DEP_1) | instskip(NEXT) | instid1(VALU_DEP_1)
	v_and_b32_e32 v1, 0x7f800000, v0
	v_cmp_ne_u32_e64 s2, 0x7f800000, v1
                                        ; implicit-def: $vgpr1
                                        ; kill: killed $vgpr1
	s_delay_alu instid0(VALU_DEP_1) | instskip(NEXT) | instid1(SALU_CYCLE_1)
	s_and_saveexec_b32 s3, s2
	s_xor_b32 s2, exec_lo, s3
	s_cbranch_execz .LBB468_846
; %bb.845:                              ;   in Loop: Header=BB468_8 Depth=1
	v_bfe_u32 v1, v0, 16, 1
	s_delay_alu instid0(VALU_DEP_1)
	v_add3_u32 v0, v0, v1, 0x7fff
	scratch_store_b32 off, v0, s32 offset:592 ; 4-byte Folded Spill
                                        ; implicit-def: $vgpr0
.LBB468_846:                            ;   in Loop: Header=BB468_8 Depth=1
	s_and_not1_saveexec_b32 s3, s2
	s_cbranch_execz .LBB468_848
; %bb.847:                              ;   in Loop: Header=BB468_8 Depth=1
	v_and_b32_e32 v1, 0xffff, v0
	v_or_b32_e32 v2, 0x10000, v0
	s_delay_alu instid0(VALU_DEP_2) | instskip(NEXT) | instid1(VALU_DEP_1)
	v_cmp_eq_u32_e64 s2, 0, v1
	v_cndmask_b32_e64 v0, v2, v0, s2
	scratch_store_b32 off, v0, s32 offset:592 ; 4-byte Folded Spill
.LBB468_848:                            ;   in Loop: Header=BB468_8 Depth=1
	s_or_b32 exec_lo, exec_lo, s3
	v_lshrrev_b32_e32 v0, 16, v31
	s_mov_b32 s3, exec_lo
	s_delay_alu instid0(VALU_DEP_1) | instskip(NEXT) | instid1(VALU_DEP_1)
	v_dual_mov_b32 v1, 0 :: v_dual_and_b32 v2, 0xff, v0
	v_cmpx_ne_u16_e32 0, v2
	s_cbranch_execz .LBB468_856
; %bb.849:                              ;   in Loop: Header=BB468_8 Depth=1
	v_bfrev_b32_e32 v1, 1
	s_mov_b32 s17, exec_lo
	v_cmpx_ne_u16_e32 0x80, v2
	s_cbranch_execz .LBB468_855
; %bb.850:                              ;   in Loop: Header=BB468_8 Depth=1
	v_bfe_u32 v2, v31, 16, 7
	v_mov_b32_e32 v1, 0x7f800001
	s_mov_b32 s19, exec_lo
	s_delay_alu instid0(VALU_DEP_2)
	v_cmpx_ne_u32_e32 0x7f, v2
	s_cbranch_execz .LBB468_854
; %bb.851:                              ;   in Loop: Header=BB468_8 Depth=1
	v_and_b32_e32 v18, 7, v0
	v_lshrrev_b32_e32 v1, 3, v2
	v_mov_b32_e32 v33, v19
	s_mov_b32 s21, exec_lo
	s_delay_alu instid0(VALU_DEP_3)
	v_mov_b32_e32 v32, v18
	v_cmpx_gt_u32_e32 8, v2
; %bb.852:                              ;   in Loop: Header=BB468_8 Depth=1
	v_clz_i32_u32_e32 v1, v18
	s_delay_alu instid0(VALU_DEP_1) | instskip(NEXT) | instid1(VALU_DEP_1)
	v_min_u32_e32 v1, 32, v1
	v_subrev_nc_u32_e32 v2, 28, v1
	v_sub_nc_u32_e32 v1, 29, v1
	s_delay_alu instid0(VALU_DEP_2) | instskip(NEXT) | instid1(VALU_DEP_1)
	v_lshlrev_b64 v[2:3], v2, v[18:19]
	v_and_b32_e32 v32, 7, v2
; %bb.853:                              ;   in Loop: Header=BB468_8 Depth=1
	s_or_b32 exec_lo, exec_lo, s21
	v_lshlrev_b32_e32 v0, 24, v0
	s_delay_alu instid0(VALU_DEP_2) | instskip(SKIP_1) | instid1(VALU_DEP_3)
	v_lshlrev_b32_e32 v2, 20, v32
	v_lshl_add_u32 v1, v1, 23, 0x3c000000
	v_and_b32_e32 v0, 0x80000000, v0
	s_delay_alu instid0(VALU_DEP_1)
	v_or3_b32 v1, v2, v0, v1
.LBB468_854:                            ;   in Loop: Header=BB468_8 Depth=1
	s_or_b32 exec_lo, exec_lo, s19
.LBB468_855:                            ;   in Loop: Header=BB468_8 Depth=1
	s_delay_alu instid0(SALU_CYCLE_1)
	s_or_b32 exec_lo, exec_lo, s17
.LBB468_856:                            ;   in Loop: Header=BB468_8 Depth=1
	s_delay_alu instid0(SALU_CYCLE_1) | instskip(NEXT) | instid1(VALU_DEP_1)
	s_or_b32 exec_lo, exec_lo, s3
	v_mul_f32_e32 v0, v79, v1
	s_delay_alu instid0(VALU_DEP_1) | instskip(NEXT) | instid1(VALU_DEP_1)
	v_and_b32_e32 v1, 0x7f800000, v0
	v_cmp_ne_u32_e64 s2, 0x7f800000, v1
                                        ; implicit-def: $vgpr1
                                        ; kill: killed $vgpr1
	s_delay_alu instid0(VALU_DEP_1) | instskip(NEXT) | instid1(SALU_CYCLE_1)
	s_and_saveexec_b32 s3, s2
	s_xor_b32 s2, exec_lo, s3
	s_cbranch_execz .LBB468_858
; %bb.857:                              ;   in Loop: Header=BB468_8 Depth=1
	v_bfe_u32 v1, v0, 16, 1
	s_delay_alu instid0(VALU_DEP_1)
	v_add3_u32 v0, v0, v1, 0x7fff
	scratch_store_b32 off, v0, s32 offset:596 ; 4-byte Folded Spill
                                        ; implicit-def: $vgpr0
.LBB468_858:                            ;   in Loop: Header=BB468_8 Depth=1
	s_and_not1_saveexec_b32 s3, s2
	s_cbranch_execz .LBB468_860
; %bb.859:                              ;   in Loop: Header=BB468_8 Depth=1
	v_and_b32_e32 v1, 0xffff, v0
	v_or_b32_e32 v2, 0x10000, v0
	s_delay_alu instid0(VALU_DEP_2) | instskip(NEXT) | instid1(VALU_DEP_1)
	v_cmp_eq_u32_e64 s2, 0, v1
	v_cndmask_b32_e64 v0, v2, v0, s2
	scratch_store_b32 off, v0, s32 offset:596 ; 4-byte Folded Spill
.LBB468_860:                            ;   in Loop: Header=BB468_8 Depth=1
	s_or_b32 exec_lo, exec_lo, s3
	v_mov_b32_e32 v1, 0
	s_mov_b32 s3, exec_lo
	v_cmpx_lt_u64_e64 s[4:5], v[30:31]
	s_cbranch_execz .LBB468_868
; %bb.861:                              ;   in Loop: Header=BB468_8 Depth=1
	v_lshrrev_b32_e32 v0, 24, v31
	v_bfrev_b32_e32 v1, 1
	s_mov_b32 s17, exec_lo
	s_delay_alu instid0(VALU_DEP_2)
	v_cmpx_ne_u32_e32 0x80, v0
	s_cbranch_execz .LBB468_867
; %bb.862:                              ;   in Loop: Header=BB468_8 Depth=1
	v_bfe_u32 v2, v31, 24, 7
	v_mov_b32_e32 v1, 0x7f800001
	s_mov_b32 s19, exec_lo
	s_delay_alu instid0(VALU_DEP_2)
	v_cmpx_ne_u32_e32 0x7f, v2
	s_cbranch_execz .LBB468_866
; %bb.863:                              ;   in Loop: Header=BB468_8 Depth=1
	v_and_b32_e32 v18, 7, v0
	v_lshrrev_b32_e32 v1, 3, v2
	v_mov_b32_e32 v31, v19
	s_mov_b32 s21, exec_lo
	s_delay_alu instid0(VALU_DEP_3)
	v_mov_b32_e32 v30, v18
	v_cmpx_gt_u32_e32 8, v2
; %bb.864:                              ;   in Loop: Header=BB468_8 Depth=1
	v_clz_i32_u32_e32 v1, v18
	s_delay_alu instid0(VALU_DEP_1) | instskip(NEXT) | instid1(VALU_DEP_1)
	v_min_u32_e32 v1, 32, v1
	v_subrev_nc_u32_e32 v2, 28, v1
	v_sub_nc_u32_e32 v1, 29, v1
	s_delay_alu instid0(VALU_DEP_2) | instskip(NEXT) | instid1(VALU_DEP_1)
	v_lshlrev_b64 v[2:3], v2, v[18:19]
	v_and_b32_e32 v30, 7, v2
; %bb.865:                              ;   in Loop: Header=BB468_8 Depth=1
	s_or_b32 exec_lo, exec_lo, s21
	v_lshlrev_b32_e32 v0, 24, v0
	s_delay_alu instid0(VALU_DEP_2) | instskip(SKIP_1) | instid1(VALU_DEP_3)
	v_lshlrev_b32_e32 v2, 20, v30
	v_lshl_add_u32 v1, v1, 23, 0x3c000000
	v_and_b32_e32 v0, 0x80000000, v0
	s_delay_alu instid0(VALU_DEP_1)
	v_or3_b32 v1, v2, v0, v1
.LBB468_866:                            ;   in Loop: Header=BB468_8 Depth=1
	s_or_b32 exec_lo, exec_lo, s19
.LBB468_867:                            ;   in Loop: Header=BB468_8 Depth=1
	s_delay_alu instid0(SALU_CYCLE_1)
	s_or_b32 exec_lo, exec_lo, s17
.LBB468_868:                            ;   in Loop: Header=BB468_8 Depth=1
	s_delay_alu instid0(SALU_CYCLE_1) | instskip(NEXT) | instid1(VALU_DEP_1)
	s_or_b32 exec_lo, exec_lo, s3
	v_mul_f32_e32 v0, v79, v1
	s_delay_alu instid0(VALU_DEP_1) | instskip(NEXT) | instid1(VALU_DEP_1)
	v_and_b32_e32 v1, 0x7f800000, v0
	v_cmp_ne_u32_e64 s2, 0x7f800000, v1
                                        ; implicit-def: $vgpr1
                                        ; kill: killed $vgpr1
	s_delay_alu instid0(VALU_DEP_1) | instskip(NEXT) | instid1(SALU_CYCLE_1)
	s_and_saveexec_b32 s3, s2
	s_xor_b32 s2, exec_lo, s3
	s_cbranch_execz .LBB468_870
; %bb.869:                              ;   in Loop: Header=BB468_8 Depth=1
	v_bfe_u32 v1, v0, 16, 1
	s_delay_alu instid0(VALU_DEP_1)
	v_add3_u32 v0, v0, v1, 0x7fff
	scratch_store_b32 off, v0, s32 offset:600 ; 4-byte Folded Spill
                                        ; implicit-def: $vgpr0
.LBB468_870:                            ;   in Loop: Header=BB468_8 Depth=1
	s_and_not1_saveexec_b32 s3, s2
	s_cbranch_execz .LBB468_872
; %bb.871:                              ;   in Loop: Header=BB468_8 Depth=1
	v_and_b32_e32 v1, 0xffff, v0
	v_or_b32_e32 v2, 0x10000, v0
	s_delay_alu instid0(VALU_DEP_2) | instskip(NEXT) | instid1(VALU_DEP_1)
	v_cmp_eq_u32_e64 s2, 0, v1
	v_cndmask_b32_e64 v0, v2, v0, s2
	scratch_store_b32 off, v0, s32 offset:600 ; 4-byte Folded Spill
.LBB468_872:                            ;   in Loop: Header=BB468_8 Depth=1
	s_or_b32 exec_lo, exec_lo, s3
	flat_load_b64 v[30:31], v[28:29] offset:2056
	s_mov_b32 s3, exec_lo
	s_waitcnt vmcnt(0) lgkmcnt(0)
	v_dual_mov_b32 v0, 0 :: v_dual_and_b32 v1, 0xff, v30
	s_delay_alu instid0(VALU_DEP_1)
	v_cmpx_ne_u16_e32 0, v1
	s_cbranch_execz .LBB468_880
; %bb.873:                              ;   in Loop: Header=BB468_8 Depth=1
	v_bfrev_b32_e32 v0, 1
	s_mov_b32 s17, exec_lo
	v_cmpx_ne_u16_e32 0x80, v1
	s_cbranch_execz .LBB468_879
; %bb.874:                              ;   in Loop: Header=BB468_8 Depth=1
	v_and_b32_e32 v1, 0x7f, v30
	v_mov_b32_e32 v0, 0x7f800001
	s_mov_b32 s19, exec_lo
	s_delay_alu instid0(VALU_DEP_2)
	v_cmpx_ne_u32_e32 0x7f, v1
	s_cbranch_execz .LBB468_878
; %bb.875:                              ;   in Loop: Header=BB468_8 Depth=1
	v_lshrrev_b32_e32 v0, 3, v1
	v_dual_mov_b32 v33, v31 :: v_dual_mov_b32 v32, v30
	s_mov_b32 s21, exec_lo
	v_cmpx_gt_u32_e32 8, v1
; %bb.876:                              ;   in Loop: Header=BB468_8 Depth=1
	v_and_b32_e32 v0, 7, v30
	s_delay_alu instid0(VALU_DEP_1) | instskip(NEXT) | instid1(VALU_DEP_1)
	v_clz_i32_u32_e32 v0, v0
	v_min_u32_e32 v0, 32, v0
	s_delay_alu instid0(VALU_DEP_1) | instskip(SKIP_1) | instid1(VALU_DEP_2)
	v_subrev_nc_u32_e32 v1, 28, v0
	v_sub_nc_u32_e32 v0, 29, v0
	v_lshlrev_b64 v[32:33], v1, v[30:31]
; %bb.877:                              ;   in Loop: Header=BB468_8 Depth=1
	s_or_b32 exec_lo, exec_lo, s21
	s_delay_alu instid0(VALU_DEP_1) | instskip(SKIP_2) | instid1(VALU_DEP_3)
	v_lshlrev_b32_e32 v1, 20, v32
	v_lshlrev_b32_e32 v2, 24, v30
	v_lshl_add_u32 v0, v0, 23, 0x3c000000
	v_and_b32_e32 v1, 0x700000, v1
	s_delay_alu instid0(VALU_DEP_3) | instskip(NEXT) | instid1(VALU_DEP_1)
	v_and_b32_e32 v2, 0x80000000, v2
	v_or3_b32 v0, v1, v2, v0
.LBB468_878:                            ;   in Loop: Header=BB468_8 Depth=1
	s_or_b32 exec_lo, exec_lo, s19
.LBB468_879:                            ;   in Loop: Header=BB468_8 Depth=1
	s_delay_alu instid0(SALU_CYCLE_1)
	s_or_b32 exec_lo, exec_lo, s17
.LBB468_880:                            ;   in Loop: Header=BB468_8 Depth=1
	s_delay_alu instid0(SALU_CYCLE_1) | instskip(NEXT) | instid1(VALU_DEP_1)
	s_or_b32 exec_lo, exec_lo, s3
	v_mul_f32_e32 v0, v79, v0
	s_delay_alu instid0(VALU_DEP_1) | instskip(NEXT) | instid1(VALU_DEP_1)
	v_and_b32_e32 v1, 0x7f800000, v0
	v_cmp_ne_u32_e64 s2, 0x7f800000, v1
                                        ; implicit-def: $vgpr1
                                        ; kill: killed $vgpr1
	s_delay_alu instid0(VALU_DEP_1) | instskip(NEXT) | instid1(SALU_CYCLE_1)
	s_and_saveexec_b32 s3, s2
	s_xor_b32 s2, exec_lo, s3
	s_cbranch_execz .LBB468_882
; %bb.881:                              ;   in Loop: Header=BB468_8 Depth=1
	v_bfe_u32 v1, v0, 16, 1
	s_delay_alu instid0(VALU_DEP_1)
	v_add3_u32 v0, v0, v1, 0x7fff
	scratch_store_b32 off, v0, s32 offset:604 ; 4-byte Folded Spill
                                        ; implicit-def: $vgpr0
.LBB468_882:                            ;   in Loop: Header=BB468_8 Depth=1
	s_and_not1_saveexec_b32 s3, s2
	s_cbranch_execz .LBB468_884
; %bb.883:                              ;   in Loop: Header=BB468_8 Depth=1
	v_and_b32_e32 v1, 0xffff, v0
	v_or_b32_e32 v2, 0x10000, v0
	s_delay_alu instid0(VALU_DEP_2) | instskip(NEXT) | instid1(VALU_DEP_1)
	v_cmp_eq_u32_e64 s2, 0, v1
	v_cndmask_b32_e64 v0, v2, v0, s2
	scratch_store_b32 off, v0, s32 offset:604 ; 4-byte Folded Spill
.LBB468_884:                            ;   in Loop: Header=BB468_8 Depth=1
	s_or_b32 exec_lo, exec_lo, s3
	v_lshrrev_b16 v1, 8, v30
	v_mov_b32_e32 v0, 0
	s_mov_b32 s3, exec_lo
	s_delay_alu instid0(VALU_DEP_2)
	v_cmpx_ne_u16_e32 0, v1
	s_cbranch_execz .LBB468_892
; %bb.885:                              ;   in Loop: Header=BB468_8 Depth=1
	v_bfrev_b32_e32 v0, 1
	s_mov_b32 s17, exec_lo
	v_cmpx_ne_u16_e32 0x80, v1
	s_cbranch_execz .LBB468_891
; %bb.886:                              ;   in Loop: Header=BB468_8 Depth=1
	v_and_b32_e32 v2, 0xffff, v1
	v_mov_b32_e32 v0, 0x7f800001
	s_mov_b32 s19, exec_lo
	s_delay_alu instid0(VALU_DEP_2) | instskip(NEXT) | instid1(VALU_DEP_1)
	v_and_b32_e32 v1, 0x7f, v2
	v_cmpx_ne_u32_e32 0x7f, v1
	s_cbranch_execz .LBB468_890
; %bb.887:                              ;   in Loop: Header=BB468_8 Depth=1
	v_and_b32_e32 v18, 7, v2
	v_lshrrev_b32_e32 v0, 3, v1
	v_mov_b32_e32 v33, v19
	s_mov_b32 s21, exec_lo
	s_delay_alu instid0(VALU_DEP_3)
	v_mov_b32_e32 v32, v18
	v_cmpx_gt_u32_e32 8, v1
; %bb.888:                              ;   in Loop: Header=BB468_8 Depth=1
	v_clz_i32_u32_e32 v0, v18
	s_delay_alu instid0(VALU_DEP_1) | instskip(NEXT) | instid1(VALU_DEP_1)
	v_min_u32_e32 v0, 32, v0
	v_subrev_nc_u32_e32 v1, 28, v0
	v_sub_nc_u32_e32 v0, 29, v0
	s_delay_alu instid0(VALU_DEP_2) | instskip(NEXT) | instid1(VALU_DEP_1)
	v_lshlrev_b64 v[1:2], v1, v[18:19]
	v_and_b32_e32 v32, 7, v1
; %bb.889:                              ;   in Loop: Header=BB468_8 Depth=1
	s_or_b32 exec_lo, exec_lo, s21
	v_lshlrev_b32_e32 v1, 16, v30
	s_delay_alu instid0(VALU_DEP_2) | instskip(SKIP_1) | instid1(VALU_DEP_3)
	v_lshlrev_b32_e32 v2, 20, v32
	v_lshl_add_u32 v0, v0, 23, 0x3c000000
	v_and_b32_e32 v1, 0x80000000, v1
	s_delay_alu instid0(VALU_DEP_1)
	v_or3_b32 v0, v2, v1, v0
.LBB468_890:                            ;   in Loop: Header=BB468_8 Depth=1
	s_or_b32 exec_lo, exec_lo, s19
.LBB468_891:                            ;   in Loop: Header=BB468_8 Depth=1
	s_delay_alu instid0(SALU_CYCLE_1)
	s_or_b32 exec_lo, exec_lo, s17
.LBB468_892:                            ;   in Loop: Header=BB468_8 Depth=1
	s_delay_alu instid0(SALU_CYCLE_1) | instskip(NEXT) | instid1(VALU_DEP_1)
	s_or_b32 exec_lo, exec_lo, s3
	v_mul_f32_e32 v0, v79, v0
	s_delay_alu instid0(VALU_DEP_1) | instskip(NEXT) | instid1(VALU_DEP_1)
	v_and_b32_e32 v1, 0x7f800000, v0
	v_cmp_ne_u32_e64 s2, 0x7f800000, v1
                                        ; implicit-def: $vgpr1
                                        ; kill: killed $vgpr1
	s_delay_alu instid0(VALU_DEP_1) | instskip(NEXT) | instid1(SALU_CYCLE_1)
	s_and_saveexec_b32 s3, s2
	s_xor_b32 s2, exec_lo, s3
	s_cbranch_execz .LBB468_894
; %bb.893:                              ;   in Loop: Header=BB468_8 Depth=1
	v_bfe_u32 v1, v0, 16, 1
	s_delay_alu instid0(VALU_DEP_1)
	v_add3_u32 v0, v0, v1, 0x7fff
	scratch_store_b32 off, v0, s32 offset:608 ; 4-byte Folded Spill
                                        ; implicit-def: $vgpr0
.LBB468_894:                            ;   in Loop: Header=BB468_8 Depth=1
	s_and_not1_saveexec_b32 s3, s2
	s_cbranch_execz .LBB468_896
; %bb.895:                              ;   in Loop: Header=BB468_8 Depth=1
	v_and_b32_e32 v1, 0xffff, v0
	v_or_b32_e32 v2, 0x10000, v0
	s_delay_alu instid0(VALU_DEP_2) | instskip(NEXT) | instid1(VALU_DEP_1)
	v_cmp_eq_u32_e64 s2, 0, v1
	v_cndmask_b32_e64 v0, v2, v0, s2
	scratch_store_b32 off, v0, s32 offset:608 ; 4-byte Folded Spill
.LBB468_896:                            ;   in Loop: Header=BB468_8 Depth=1
	s_or_b32 exec_lo, exec_lo, s3
	v_lshrrev_b32_e32 v0, 16, v30
	s_mov_b32 s3, exec_lo
	s_delay_alu instid0(VALU_DEP_1) | instskip(NEXT) | instid1(VALU_DEP_1)
	v_dual_mov_b32 v1, 0 :: v_dual_and_b32 v2, 0xff, v0
	v_cmpx_ne_u16_e32 0, v2
	s_cbranch_execz .LBB468_904
; %bb.897:                              ;   in Loop: Header=BB468_8 Depth=1
	v_bfrev_b32_e32 v1, 1
	s_mov_b32 s17, exec_lo
	v_cmpx_ne_u16_e32 0x80, v2
	s_cbranch_execz .LBB468_903
; %bb.898:                              ;   in Loop: Header=BB468_8 Depth=1
	v_bfe_u32 v2, v30, 16, 7
	v_mov_b32_e32 v1, 0x7f800001
	s_mov_b32 s19, exec_lo
	s_delay_alu instid0(VALU_DEP_2)
	v_cmpx_ne_u32_e32 0x7f, v2
	s_cbranch_execz .LBB468_902
; %bb.899:                              ;   in Loop: Header=BB468_8 Depth=1
	v_and_b32_e32 v18, 7, v0
	v_lshrrev_b32_e32 v1, 3, v2
	v_mov_b32_e32 v33, v19
	s_mov_b32 s21, exec_lo
	s_delay_alu instid0(VALU_DEP_3)
	v_mov_b32_e32 v32, v18
	v_cmpx_gt_u32_e32 8, v2
; %bb.900:                              ;   in Loop: Header=BB468_8 Depth=1
	v_clz_i32_u32_e32 v1, v18
	s_delay_alu instid0(VALU_DEP_1) | instskip(NEXT) | instid1(VALU_DEP_1)
	v_min_u32_e32 v1, 32, v1
	v_subrev_nc_u32_e32 v2, 28, v1
	v_sub_nc_u32_e32 v1, 29, v1
	s_delay_alu instid0(VALU_DEP_2) | instskip(NEXT) | instid1(VALU_DEP_1)
	v_lshlrev_b64 v[2:3], v2, v[18:19]
	v_and_b32_e32 v32, 7, v2
; %bb.901:                              ;   in Loop: Header=BB468_8 Depth=1
	s_or_b32 exec_lo, exec_lo, s21
	v_lshlrev_b32_e32 v0, 24, v0
	s_delay_alu instid0(VALU_DEP_2) | instskip(SKIP_1) | instid1(VALU_DEP_3)
	v_lshlrev_b32_e32 v2, 20, v32
	v_lshl_add_u32 v1, v1, 23, 0x3c000000
	v_and_b32_e32 v0, 0x80000000, v0
	s_delay_alu instid0(VALU_DEP_1)
	v_or3_b32 v1, v2, v0, v1
.LBB468_902:                            ;   in Loop: Header=BB468_8 Depth=1
	s_or_b32 exec_lo, exec_lo, s19
.LBB468_903:                            ;   in Loop: Header=BB468_8 Depth=1
	s_delay_alu instid0(SALU_CYCLE_1)
	s_or_b32 exec_lo, exec_lo, s17
.LBB468_904:                            ;   in Loop: Header=BB468_8 Depth=1
	s_delay_alu instid0(SALU_CYCLE_1) | instskip(NEXT) | instid1(VALU_DEP_1)
	s_or_b32 exec_lo, exec_lo, s3
	v_mul_f32_e32 v0, v79, v1
	s_delay_alu instid0(VALU_DEP_1) | instskip(NEXT) | instid1(VALU_DEP_1)
	v_and_b32_e32 v1, 0x7f800000, v0
	v_cmp_ne_u32_e64 s2, 0x7f800000, v1
                                        ; implicit-def: $vgpr1
                                        ; kill: killed $vgpr1
	s_delay_alu instid0(VALU_DEP_1) | instskip(NEXT) | instid1(SALU_CYCLE_1)
	s_and_saveexec_b32 s3, s2
	s_xor_b32 s2, exec_lo, s3
	s_cbranch_execz .LBB468_906
; %bb.905:                              ;   in Loop: Header=BB468_8 Depth=1
	v_bfe_u32 v1, v0, 16, 1
	s_delay_alu instid0(VALU_DEP_1)
	v_add3_u32 v0, v0, v1, 0x7fff
	scratch_store_b32 off, v0, s32 offset:612 ; 4-byte Folded Spill
                                        ; implicit-def: $vgpr0
.LBB468_906:                            ;   in Loop: Header=BB468_8 Depth=1
	s_and_not1_saveexec_b32 s3, s2
	s_cbranch_execz .LBB468_908
; %bb.907:                              ;   in Loop: Header=BB468_8 Depth=1
	v_and_b32_e32 v1, 0xffff, v0
	v_or_b32_e32 v2, 0x10000, v0
	s_delay_alu instid0(VALU_DEP_2) | instskip(NEXT) | instid1(VALU_DEP_1)
	v_cmp_eq_u32_e64 s2, 0, v1
	v_cndmask_b32_e64 v0, v2, v0, s2
	scratch_store_b32 off, v0, s32 offset:612 ; 4-byte Folded Spill
.LBB468_908:                            ;   in Loop: Header=BB468_8 Depth=1
	s_or_b32 exec_lo, exec_lo, s3
	v_mov_b32_e32 v1, 0
	s_mov_b32 s3, exec_lo
	v_cmpx_lt_u32_e32 0xffffff, v30
	s_cbranch_execz .LBB468_916
; %bb.909:                              ;   in Loop: Header=BB468_8 Depth=1
	v_lshrrev_b32_e32 v0, 24, v30
	v_bfrev_b32_e32 v1, 1
	s_mov_b32 s17, exec_lo
	s_delay_alu instid0(VALU_DEP_2)
	v_cmpx_ne_u32_e32 0x80, v0
	s_cbranch_execz .LBB468_915
; %bb.910:                              ;   in Loop: Header=BB468_8 Depth=1
	v_bfe_u32 v2, v30, 24, 7
	v_mov_b32_e32 v1, 0x7f800001
	s_mov_b32 s19, exec_lo
	s_delay_alu instid0(VALU_DEP_2)
	v_cmpx_ne_u32_e32 0x7f, v2
	s_cbranch_execz .LBB468_914
; %bb.911:                              ;   in Loop: Header=BB468_8 Depth=1
	v_and_b32_e32 v18, 7, v0
	v_lshrrev_b32_e32 v1, 3, v2
	v_mov_b32_e32 v33, v19
	s_mov_b32 s21, exec_lo
	s_delay_alu instid0(VALU_DEP_3)
	v_mov_b32_e32 v32, v18
	v_cmpx_gt_u32_e32 8, v2
; %bb.912:                              ;   in Loop: Header=BB468_8 Depth=1
	v_clz_i32_u32_e32 v1, v18
	s_delay_alu instid0(VALU_DEP_1) | instskip(NEXT) | instid1(VALU_DEP_1)
	v_min_u32_e32 v1, 32, v1
	v_subrev_nc_u32_e32 v2, 28, v1
	v_sub_nc_u32_e32 v1, 29, v1
	s_delay_alu instid0(VALU_DEP_2) | instskip(NEXT) | instid1(VALU_DEP_1)
	v_lshlrev_b64 v[2:3], v2, v[18:19]
	v_and_b32_e32 v32, 7, v2
; %bb.913:                              ;   in Loop: Header=BB468_8 Depth=1
	s_or_b32 exec_lo, exec_lo, s21
	v_lshlrev_b32_e32 v0, 24, v0
	s_delay_alu instid0(VALU_DEP_2) | instskip(SKIP_1) | instid1(VALU_DEP_3)
	v_lshlrev_b32_e32 v2, 20, v32
	v_lshl_add_u32 v1, v1, 23, 0x3c000000
	v_and_b32_e32 v0, 0x80000000, v0
	s_delay_alu instid0(VALU_DEP_1)
	v_or3_b32 v1, v2, v0, v1
.LBB468_914:                            ;   in Loop: Header=BB468_8 Depth=1
	s_or_b32 exec_lo, exec_lo, s19
.LBB468_915:                            ;   in Loop: Header=BB468_8 Depth=1
	s_delay_alu instid0(SALU_CYCLE_1)
	s_or_b32 exec_lo, exec_lo, s17
.LBB468_916:                            ;   in Loop: Header=BB468_8 Depth=1
	s_delay_alu instid0(SALU_CYCLE_1) | instskip(NEXT) | instid1(VALU_DEP_1)
	s_or_b32 exec_lo, exec_lo, s3
	v_mul_f32_e32 v0, v79, v1
	s_delay_alu instid0(VALU_DEP_1) | instskip(NEXT) | instid1(VALU_DEP_1)
	v_and_b32_e32 v1, 0x7f800000, v0
	v_cmp_ne_u32_e64 s2, 0x7f800000, v1
                                        ; implicit-def: $vgpr1
                                        ; kill: killed $vgpr1
	s_delay_alu instid0(VALU_DEP_1) | instskip(NEXT) | instid1(SALU_CYCLE_1)
	s_and_saveexec_b32 s3, s2
	s_xor_b32 s2, exec_lo, s3
	s_cbranch_execz .LBB468_918
; %bb.917:                              ;   in Loop: Header=BB468_8 Depth=1
	v_bfe_u32 v1, v0, 16, 1
	s_delay_alu instid0(VALU_DEP_1)
	v_add3_u32 v0, v0, v1, 0x7fff
	scratch_store_b32 off, v0, s32 offset:616 ; 4-byte Folded Spill
                                        ; implicit-def: $vgpr0
.LBB468_918:                            ;   in Loop: Header=BB468_8 Depth=1
	s_and_not1_saveexec_b32 s3, s2
	s_cbranch_execz .LBB468_920
; %bb.919:                              ;   in Loop: Header=BB468_8 Depth=1
	v_and_b32_e32 v1, 0xffff, v0
	v_or_b32_e32 v2, 0x10000, v0
	s_delay_alu instid0(VALU_DEP_2) | instskip(NEXT) | instid1(VALU_DEP_1)
	v_cmp_eq_u32_e64 s2, 0, v1
	v_cndmask_b32_e64 v0, v2, v0, s2
	scratch_store_b32 off, v0, s32 offset:616 ; 4-byte Folded Spill
.LBB468_920:                            ;   in Loop: Header=BB468_8 Depth=1
	s_or_b32 exec_lo, exec_lo, s3
	v_dual_mov_b32 v18, v31 :: v_dual_and_b32 v1, 0xff, v31
	v_mov_b32_e32 v0, 0
	s_mov_b32 s3, exec_lo
	s_delay_alu instid0(VALU_DEP_2)
	v_cmpx_ne_u16_e32 0, v1
	s_cbranch_execz .LBB468_928
; %bb.921:                              ;   in Loop: Header=BB468_8 Depth=1
	v_bfrev_b32_e32 v0, 1
	s_mov_b32 s17, exec_lo
	v_cmpx_ne_u16_e32 0x80, v1
	s_cbranch_execz .LBB468_927
; %bb.922:                              ;   in Loop: Header=BB468_8 Depth=1
	v_and_b32_e32 v1, 0x7f, v31
	v_mov_b32_e32 v0, 0x7f800001
	s_mov_b32 s19, exec_lo
	s_delay_alu instid0(VALU_DEP_2)
	v_cmpx_ne_u32_e32 0x7f, v1
	s_cbranch_execz .LBB468_926
; %bb.923:                              ;   in Loop: Header=BB468_8 Depth=1
	v_lshrrev_b32_e32 v0, 3, v1
	v_dual_mov_b32 v33, v19 :: v_dual_mov_b32 v32, v18
	s_mov_b32 s21, exec_lo
	v_cmpx_gt_u32_e32 8, v1
; %bb.924:                              ;   in Loop: Header=BB468_8 Depth=1
	v_and_b32_e32 v0, 7, v31
	s_delay_alu instid0(VALU_DEP_1) | instskip(NEXT) | instid1(VALU_DEP_1)
	v_clz_i32_u32_e32 v0, v0
	v_min_u32_e32 v0, 32, v0
	s_delay_alu instid0(VALU_DEP_1) | instskip(SKIP_1) | instid1(VALU_DEP_2)
	v_subrev_nc_u32_e32 v1, 28, v0
	v_sub_nc_u32_e32 v0, 29, v0
	v_lshlrev_b64 v[32:33], v1, v[18:19]
; %bb.925:                              ;   in Loop: Header=BB468_8 Depth=1
	s_or_b32 exec_lo, exec_lo, s21
	s_delay_alu instid0(VALU_DEP_1) | instskip(SKIP_2) | instid1(VALU_DEP_3)
	v_lshlrev_b32_e32 v1, 20, v32
	v_lshlrev_b32_e32 v2, 24, v18
	v_lshl_add_u32 v0, v0, 23, 0x3c000000
	v_and_b32_e32 v1, 0x700000, v1
	s_delay_alu instid0(VALU_DEP_3) | instskip(NEXT) | instid1(VALU_DEP_1)
	v_and_b32_e32 v2, 0x80000000, v2
	v_or3_b32 v0, v1, v2, v0
.LBB468_926:                            ;   in Loop: Header=BB468_8 Depth=1
	s_or_b32 exec_lo, exec_lo, s19
.LBB468_927:                            ;   in Loop: Header=BB468_8 Depth=1
	s_delay_alu instid0(SALU_CYCLE_1)
	s_or_b32 exec_lo, exec_lo, s17
.LBB468_928:                            ;   in Loop: Header=BB468_8 Depth=1
	s_delay_alu instid0(SALU_CYCLE_1) | instskip(NEXT) | instid1(VALU_DEP_1)
	s_or_b32 exec_lo, exec_lo, s3
	v_mul_f32_e32 v0, v79, v0
	s_delay_alu instid0(VALU_DEP_1) | instskip(NEXT) | instid1(VALU_DEP_1)
	v_and_b32_e32 v1, 0x7f800000, v0
	v_cmp_ne_u32_e64 s2, 0x7f800000, v1
                                        ; implicit-def: $vgpr1
                                        ; kill: killed $vgpr1
	s_delay_alu instid0(VALU_DEP_1) | instskip(NEXT) | instid1(SALU_CYCLE_1)
	s_and_saveexec_b32 s3, s2
	s_xor_b32 s2, exec_lo, s3
	s_cbranch_execz .LBB468_930
; %bb.929:                              ;   in Loop: Header=BB468_8 Depth=1
	v_bfe_u32 v1, v0, 16, 1
	s_delay_alu instid0(VALU_DEP_1)
	v_add3_u32 v0, v0, v1, 0x7fff
	scratch_store_b32 off, v0, s32 offset:620 ; 4-byte Folded Spill
                                        ; implicit-def: $vgpr0
.LBB468_930:                            ;   in Loop: Header=BB468_8 Depth=1
	s_and_not1_saveexec_b32 s3, s2
	s_cbranch_execz .LBB468_932
; %bb.931:                              ;   in Loop: Header=BB468_8 Depth=1
	v_and_b32_e32 v1, 0xffff, v0
	v_or_b32_e32 v2, 0x10000, v0
	s_delay_alu instid0(VALU_DEP_2) | instskip(NEXT) | instid1(VALU_DEP_1)
	v_cmp_eq_u32_e64 s2, 0, v1
	v_cndmask_b32_e64 v0, v2, v0, s2
	scratch_store_b32 off, v0, s32 offset:620 ; 4-byte Folded Spill
.LBB468_932:                            ;   in Loop: Header=BB468_8 Depth=1
	s_or_b32 exec_lo, exec_lo, s3
	v_lshrrev_b16 v1, 8, v18
	v_mov_b32_e32 v0, 0
	s_mov_b32 s3, exec_lo
	s_delay_alu instid0(VALU_DEP_2)
	v_cmpx_ne_u16_e32 0, v1
	s_cbranch_execz .LBB468_940
; %bb.933:                              ;   in Loop: Header=BB468_8 Depth=1
	v_bfrev_b32_e32 v0, 1
	s_mov_b32 s17, exec_lo
	v_cmpx_ne_u16_e32 0x80, v1
	s_cbranch_execz .LBB468_939
; %bb.934:                              ;   in Loop: Header=BB468_8 Depth=1
	v_and_b32_e32 v2, 0xffff, v1
	v_mov_b32_e32 v0, 0x7f800001
	s_mov_b32 s19, exec_lo
	s_delay_alu instid0(VALU_DEP_2) | instskip(NEXT) | instid1(VALU_DEP_1)
	v_and_b32_e32 v1, 0x7f, v2
	v_cmpx_ne_u32_e32 0x7f, v1
	s_cbranch_execz .LBB468_938
; %bb.935:                              ;   in Loop: Header=BB468_8 Depth=1
	v_dual_mov_b32 v33, v19 :: v_dual_and_b32 v32, 7, v2
	v_lshrrev_b32_e32 v0, 3, v1
	s_mov_b32 s21, exec_lo
	v_cmpx_gt_u32_e32 8, v1
; %bb.936:                              ;   in Loop: Header=BB468_8 Depth=1
	s_delay_alu instid0(VALU_DEP_3) | instskip(NEXT) | instid1(VALU_DEP_1)
	v_clz_i32_u32_e32 v0, v32
	v_min_u32_e32 v0, 32, v0
	s_delay_alu instid0(VALU_DEP_1) | instskip(SKIP_1) | instid1(VALU_DEP_2)
	v_subrev_nc_u32_e32 v1, 28, v0
	v_sub_nc_u32_e32 v0, 29, v0
	v_lshlrev_b64 v[1:2], v1, v[32:33]
	s_delay_alu instid0(VALU_DEP_1)
	v_and_b32_e32 v32, 7, v1
; %bb.937:                              ;   in Loop: Header=BB468_8 Depth=1
	s_or_b32 exec_lo, exec_lo, s21
	v_lshlrev_b32_e32 v1, 16, v18
	s_delay_alu instid0(VALU_DEP_2) | instskip(SKIP_1) | instid1(VALU_DEP_3)
	v_lshlrev_b32_e32 v2, 20, v32
	v_lshl_add_u32 v0, v0, 23, 0x3c000000
	v_and_b32_e32 v1, 0x80000000, v1
	s_delay_alu instid0(VALU_DEP_1)
	v_or3_b32 v0, v2, v1, v0
.LBB468_938:                            ;   in Loop: Header=BB468_8 Depth=1
	s_or_b32 exec_lo, exec_lo, s19
.LBB468_939:                            ;   in Loop: Header=BB468_8 Depth=1
	s_delay_alu instid0(SALU_CYCLE_1)
	s_or_b32 exec_lo, exec_lo, s17
.LBB468_940:                            ;   in Loop: Header=BB468_8 Depth=1
	s_delay_alu instid0(SALU_CYCLE_1) | instskip(NEXT) | instid1(VALU_DEP_1)
	s_or_b32 exec_lo, exec_lo, s3
	v_mul_f32_e32 v0, v79, v0
	s_delay_alu instid0(VALU_DEP_1) | instskip(NEXT) | instid1(VALU_DEP_1)
	v_and_b32_e32 v1, 0x7f800000, v0
	v_cmp_ne_u32_e64 s2, 0x7f800000, v1
                                        ; implicit-def: $vgpr1
                                        ; kill: killed $vgpr1
	s_delay_alu instid0(VALU_DEP_1) | instskip(NEXT) | instid1(SALU_CYCLE_1)
	s_and_saveexec_b32 s3, s2
	s_xor_b32 s2, exec_lo, s3
	s_cbranch_execz .LBB468_942
; %bb.941:                              ;   in Loop: Header=BB468_8 Depth=1
	v_bfe_u32 v1, v0, 16, 1
	s_delay_alu instid0(VALU_DEP_1)
	v_add3_u32 v0, v0, v1, 0x7fff
	scratch_store_b32 off, v0, s32 offset:624 ; 4-byte Folded Spill
                                        ; implicit-def: $vgpr0
.LBB468_942:                            ;   in Loop: Header=BB468_8 Depth=1
	s_and_not1_saveexec_b32 s3, s2
	s_cbranch_execz .LBB468_944
; %bb.943:                              ;   in Loop: Header=BB468_8 Depth=1
	v_and_b32_e32 v1, 0xffff, v0
	v_or_b32_e32 v2, 0x10000, v0
	s_delay_alu instid0(VALU_DEP_2) | instskip(NEXT) | instid1(VALU_DEP_1)
	v_cmp_eq_u32_e64 s2, 0, v1
	v_cndmask_b32_e64 v0, v2, v0, s2
	scratch_store_b32 off, v0, s32 offset:624 ; 4-byte Folded Spill
.LBB468_944:                            ;   in Loop: Header=BB468_8 Depth=1
	s_or_b32 exec_lo, exec_lo, s3
	v_lshrrev_b32_e32 v0, 16, v31
	s_mov_b32 s3, exec_lo
	s_delay_alu instid0(VALU_DEP_1) | instskip(NEXT) | instid1(VALU_DEP_1)
	v_dual_mov_b32 v1, 0 :: v_dual_and_b32 v2, 0xff, v0
	v_cmpx_ne_u16_e32 0, v2
	s_cbranch_execz .LBB468_952
; %bb.945:                              ;   in Loop: Header=BB468_8 Depth=1
	v_bfrev_b32_e32 v1, 1
	s_mov_b32 s17, exec_lo
	v_cmpx_ne_u16_e32 0x80, v2
	s_cbranch_execz .LBB468_951
; %bb.946:                              ;   in Loop: Header=BB468_8 Depth=1
	v_bfe_u32 v2, v31, 16, 7
	v_mov_b32_e32 v1, 0x7f800001
	s_mov_b32 s19, exec_lo
	s_delay_alu instid0(VALU_DEP_2)
	v_cmpx_ne_u32_e32 0x7f, v2
	s_cbranch_execz .LBB468_950
; %bb.947:                              ;   in Loop: Header=BB468_8 Depth=1
	v_and_b32_e32 v18, 7, v0
	v_lshrrev_b32_e32 v1, 3, v2
	v_mov_b32_e32 v33, v19
	s_mov_b32 s21, exec_lo
	s_delay_alu instid0(VALU_DEP_3)
	v_mov_b32_e32 v32, v18
	v_cmpx_gt_u32_e32 8, v2
; %bb.948:                              ;   in Loop: Header=BB468_8 Depth=1
	v_clz_i32_u32_e32 v1, v18
	s_delay_alu instid0(VALU_DEP_1) | instskip(NEXT) | instid1(VALU_DEP_1)
	v_min_u32_e32 v1, 32, v1
	v_subrev_nc_u32_e32 v2, 28, v1
	v_sub_nc_u32_e32 v1, 29, v1
	s_delay_alu instid0(VALU_DEP_2) | instskip(NEXT) | instid1(VALU_DEP_1)
	v_lshlrev_b64 v[2:3], v2, v[18:19]
	v_and_b32_e32 v32, 7, v2
; %bb.949:                              ;   in Loop: Header=BB468_8 Depth=1
	s_or_b32 exec_lo, exec_lo, s21
	v_lshlrev_b32_e32 v0, 24, v0
	s_delay_alu instid0(VALU_DEP_2) | instskip(SKIP_1) | instid1(VALU_DEP_3)
	v_lshlrev_b32_e32 v2, 20, v32
	v_lshl_add_u32 v1, v1, 23, 0x3c000000
	v_and_b32_e32 v0, 0x80000000, v0
	s_delay_alu instid0(VALU_DEP_1)
	v_or3_b32 v1, v2, v0, v1
.LBB468_950:                            ;   in Loop: Header=BB468_8 Depth=1
	s_or_b32 exec_lo, exec_lo, s19
.LBB468_951:                            ;   in Loop: Header=BB468_8 Depth=1
	s_delay_alu instid0(SALU_CYCLE_1)
	s_or_b32 exec_lo, exec_lo, s17
.LBB468_952:                            ;   in Loop: Header=BB468_8 Depth=1
	s_delay_alu instid0(SALU_CYCLE_1) | instskip(NEXT) | instid1(VALU_DEP_1)
	s_or_b32 exec_lo, exec_lo, s3
	v_mul_f32_e32 v0, v79, v1
	s_delay_alu instid0(VALU_DEP_1) | instskip(NEXT) | instid1(VALU_DEP_1)
	v_and_b32_e32 v1, 0x7f800000, v0
	v_cmp_ne_u32_e64 s2, 0x7f800000, v1
                                        ; implicit-def: $vgpr1
                                        ; kill: killed $vgpr1
	s_delay_alu instid0(VALU_DEP_1) | instskip(NEXT) | instid1(SALU_CYCLE_1)
	s_and_saveexec_b32 s3, s2
	s_xor_b32 s2, exec_lo, s3
	s_cbranch_execz .LBB468_954
; %bb.953:                              ;   in Loop: Header=BB468_8 Depth=1
	v_bfe_u32 v1, v0, 16, 1
	s_delay_alu instid0(VALU_DEP_1)
	v_add3_u32 v0, v0, v1, 0x7fff
	scratch_store_b32 off, v0, s32 offset:628 ; 4-byte Folded Spill
                                        ; implicit-def: $vgpr0
.LBB468_954:                            ;   in Loop: Header=BB468_8 Depth=1
	s_and_not1_saveexec_b32 s3, s2
	s_cbranch_execz .LBB468_956
; %bb.955:                              ;   in Loop: Header=BB468_8 Depth=1
	v_and_b32_e32 v1, 0xffff, v0
	v_or_b32_e32 v2, 0x10000, v0
	s_delay_alu instid0(VALU_DEP_2) | instskip(NEXT) | instid1(VALU_DEP_1)
	v_cmp_eq_u32_e64 s2, 0, v1
	v_cndmask_b32_e64 v0, v2, v0, s2
	scratch_store_b32 off, v0, s32 offset:628 ; 4-byte Folded Spill
.LBB468_956:                            ;   in Loop: Header=BB468_8 Depth=1
	s_or_b32 exec_lo, exec_lo, s3
	v_mov_b32_e32 v1, 0
	s_mov_b32 s3, exec_lo
	v_cmpx_lt_u64_e64 s[4:5], v[30:31]
	s_cbranch_execz .LBB468_964
; %bb.957:                              ;   in Loop: Header=BB468_8 Depth=1
	v_lshrrev_b32_e32 v0, 24, v31
	v_bfrev_b32_e32 v1, 1
	s_mov_b32 s17, exec_lo
	s_delay_alu instid0(VALU_DEP_2)
	v_cmpx_ne_u32_e32 0x80, v0
	s_cbranch_execz .LBB468_963
; %bb.958:                              ;   in Loop: Header=BB468_8 Depth=1
	v_bfe_u32 v2, v31, 24, 7
	v_mov_b32_e32 v1, 0x7f800001
	s_mov_b32 s19, exec_lo
	s_delay_alu instid0(VALU_DEP_2)
	v_cmpx_ne_u32_e32 0x7f, v2
	s_cbranch_execz .LBB468_962
; %bb.959:                              ;   in Loop: Header=BB468_8 Depth=1
	v_and_b32_e32 v18, 7, v0
	v_lshrrev_b32_e32 v1, 3, v2
	v_mov_b32_e32 v31, v19
	s_mov_b32 s21, exec_lo
	s_delay_alu instid0(VALU_DEP_3)
	v_mov_b32_e32 v30, v18
	v_cmpx_gt_u32_e32 8, v2
; %bb.960:                              ;   in Loop: Header=BB468_8 Depth=1
	v_clz_i32_u32_e32 v1, v18
	s_delay_alu instid0(VALU_DEP_1) | instskip(NEXT) | instid1(VALU_DEP_1)
	v_min_u32_e32 v1, 32, v1
	v_subrev_nc_u32_e32 v2, 28, v1
	v_sub_nc_u32_e32 v1, 29, v1
	s_delay_alu instid0(VALU_DEP_2) | instskip(NEXT) | instid1(VALU_DEP_1)
	v_lshlrev_b64 v[2:3], v2, v[18:19]
	v_and_b32_e32 v30, 7, v2
; %bb.961:                              ;   in Loop: Header=BB468_8 Depth=1
	s_or_b32 exec_lo, exec_lo, s21
	v_lshlrev_b32_e32 v0, 24, v0
	s_delay_alu instid0(VALU_DEP_2) | instskip(SKIP_1) | instid1(VALU_DEP_3)
	v_lshlrev_b32_e32 v2, 20, v30
	v_lshl_add_u32 v1, v1, 23, 0x3c000000
	v_and_b32_e32 v0, 0x80000000, v0
	s_delay_alu instid0(VALU_DEP_1)
	v_or3_b32 v1, v2, v0, v1
.LBB468_962:                            ;   in Loop: Header=BB468_8 Depth=1
	s_or_b32 exec_lo, exec_lo, s19
.LBB468_963:                            ;   in Loop: Header=BB468_8 Depth=1
	s_delay_alu instid0(SALU_CYCLE_1)
	s_or_b32 exec_lo, exec_lo, s17
.LBB468_964:                            ;   in Loop: Header=BB468_8 Depth=1
	s_delay_alu instid0(SALU_CYCLE_1) | instskip(NEXT) | instid1(VALU_DEP_1)
	s_or_b32 exec_lo, exec_lo, s3
	v_mul_f32_e32 v0, v79, v1
	s_delay_alu instid0(VALU_DEP_1) | instskip(NEXT) | instid1(VALU_DEP_1)
	v_and_b32_e32 v1, 0x7f800000, v0
	v_cmp_ne_u32_e64 s2, 0x7f800000, v1
                                        ; implicit-def: $vgpr1
                                        ; kill: killed $vgpr1
	s_delay_alu instid0(VALU_DEP_1) | instskip(NEXT) | instid1(SALU_CYCLE_1)
	s_and_saveexec_b32 s3, s2
	s_xor_b32 s2, exec_lo, s3
	s_cbranch_execz .LBB468_966
; %bb.965:                              ;   in Loop: Header=BB468_8 Depth=1
	v_bfe_u32 v1, v0, 16, 1
	s_delay_alu instid0(VALU_DEP_1)
	v_add3_u32 v0, v0, v1, 0x7fff
	scratch_store_b32 off, v0, s32 offset:632 ; 4-byte Folded Spill
                                        ; implicit-def: $vgpr0
.LBB468_966:                            ;   in Loop: Header=BB468_8 Depth=1
	s_and_not1_saveexec_b32 s3, s2
	s_cbranch_execz .LBB468_968
; %bb.967:                              ;   in Loop: Header=BB468_8 Depth=1
	v_and_b32_e32 v1, 0xffff, v0
	v_or_b32_e32 v2, 0x10000, v0
	s_delay_alu instid0(VALU_DEP_2) | instskip(NEXT) | instid1(VALU_DEP_1)
	v_cmp_eq_u32_e64 s2, 0, v1
	v_cndmask_b32_e64 v0, v2, v0, s2
	scratch_store_b32 off, v0, s32 offset:632 ; 4-byte Folded Spill
.LBB468_968:                            ;   in Loop: Header=BB468_8 Depth=1
	s_or_b32 exec_lo, exec_lo, s3
	flat_load_b64 v[30:31], v[28:29] offset:2560
	s_mov_b32 s3, exec_lo
	s_waitcnt vmcnt(0) lgkmcnt(0)
	v_dual_mov_b32 v0, 0 :: v_dual_and_b32 v1, 0xff, v30
	s_delay_alu instid0(VALU_DEP_1)
	v_cmpx_ne_u16_e32 0, v1
	s_cbranch_execz .LBB468_976
; %bb.969:                              ;   in Loop: Header=BB468_8 Depth=1
	v_bfrev_b32_e32 v0, 1
	s_mov_b32 s17, exec_lo
	v_cmpx_ne_u16_e32 0x80, v1
	s_cbranch_execz .LBB468_975
; %bb.970:                              ;   in Loop: Header=BB468_8 Depth=1
	v_and_b32_e32 v1, 0x7f, v30
	v_mov_b32_e32 v0, 0x7f800001
	s_mov_b32 s19, exec_lo
	s_delay_alu instid0(VALU_DEP_2)
	v_cmpx_ne_u32_e32 0x7f, v1
	s_cbranch_execz .LBB468_974
; %bb.971:                              ;   in Loop: Header=BB468_8 Depth=1
	v_lshrrev_b32_e32 v0, 3, v1
	v_dual_mov_b32 v33, v31 :: v_dual_mov_b32 v32, v30
	s_mov_b32 s21, exec_lo
	v_cmpx_gt_u32_e32 8, v1
; %bb.972:                              ;   in Loop: Header=BB468_8 Depth=1
	v_and_b32_e32 v0, 7, v30
	s_delay_alu instid0(VALU_DEP_1) | instskip(NEXT) | instid1(VALU_DEP_1)
	v_clz_i32_u32_e32 v0, v0
	v_min_u32_e32 v0, 32, v0
	s_delay_alu instid0(VALU_DEP_1) | instskip(SKIP_1) | instid1(VALU_DEP_2)
	v_subrev_nc_u32_e32 v1, 28, v0
	v_sub_nc_u32_e32 v0, 29, v0
	v_lshlrev_b64 v[32:33], v1, v[30:31]
; %bb.973:                              ;   in Loop: Header=BB468_8 Depth=1
	s_or_b32 exec_lo, exec_lo, s21
	s_delay_alu instid0(VALU_DEP_1) | instskip(SKIP_2) | instid1(VALU_DEP_3)
	v_lshlrev_b32_e32 v1, 20, v32
	v_lshlrev_b32_e32 v2, 24, v30
	v_lshl_add_u32 v0, v0, 23, 0x3c000000
	v_and_b32_e32 v1, 0x700000, v1
	s_delay_alu instid0(VALU_DEP_3) | instskip(NEXT) | instid1(VALU_DEP_1)
	v_and_b32_e32 v2, 0x80000000, v2
	v_or3_b32 v0, v1, v2, v0
.LBB468_974:                            ;   in Loop: Header=BB468_8 Depth=1
	s_or_b32 exec_lo, exec_lo, s19
.LBB468_975:                            ;   in Loop: Header=BB468_8 Depth=1
	s_delay_alu instid0(SALU_CYCLE_1)
	s_or_b32 exec_lo, exec_lo, s17
.LBB468_976:                            ;   in Loop: Header=BB468_8 Depth=1
	s_delay_alu instid0(SALU_CYCLE_1) | instskip(NEXT) | instid1(VALU_DEP_1)
	s_or_b32 exec_lo, exec_lo, s3
	v_mul_f32_e32 v0, v79, v0
	s_delay_alu instid0(VALU_DEP_1) | instskip(NEXT) | instid1(VALU_DEP_1)
	v_and_b32_e32 v1, 0x7f800000, v0
	v_cmp_ne_u32_e64 s2, 0x7f800000, v1
                                        ; implicit-def: $vgpr1
                                        ; kill: killed $vgpr1
	s_delay_alu instid0(VALU_DEP_1) | instskip(NEXT) | instid1(SALU_CYCLE_1)
	s_and_saveexec_b32 s3, s2
	s_xor_b32 s2, exec_lo, s3
	s_cbranch_execz .LBB468_978
; %bb.977:                              ;   in Loop: Header=BB468_8 Depth=1
	v_bfe_u32 v1, v0, 16, 1
	s_delay_alu instid0(VALU_DEP_1)
	v_add3_u32 v0, v0, v1, 0x7fff
	scratch_store_b32 off, v0, s32 offset:636 ; 4-byte Folded Spill
                                        ; implicit-def: $vgpr0
.LBB468_978:                            ;   in Loop: Header=BB468_8 Depth=1
	s_and_not1_saveexec_b32 s3, s2
	s_cbranch_execz .LBB468_980
; %bb.979:                              ;   in Loop: Header=BB468_8 Depth=1
	v_and_b32_e32 v1, 0xffff, v0
	v_or_b32_e32 v2, 0x10000, v0
	s_delay_alu instid0(VALU_DEP_2) | instskip(NEXT) | instid1(VALU_DEP_1)
	v_cmp_eq_u32_e64 s2, 0, v1
	v_cndmask_b32_e64 v0, v2, v0, s2
	scratch_store_b32 off, v0, s32 offset:636 ; 4-byte Folded Spill
.LBB468_980:                            ;   in Loop: Header=BB468_8 Depth=1
	s_or_b32 exec_lo, exec_lo, s3
	v_lshrrev_b16 v1, 8, v30
	v_mov_b32_e32 v0, 0
	s_mov_b32 s3, exec_lo
	s_delay_alu instid0(VALU_DEP_2)
	v_cmpx_ne_u16_e32 0, v1
	s_cbranch_execz .LBB468_988
; %bb.981:                              ;   in Loop: Header=BB468_8 Depth=1
	v_bfrev_b32_e32 v0, 1
	s_mov_b32 s17, exec_lo
	v_cmpx_ne_u16_e32 0x80, v1
	s_cbranch_execz .LBB468_987
; %bb.982:                              ;   in Loop: Header=BB468_8 Depth=1
	v_and_b32_e32 v2, 0xffff, v1
	v_mov_b32_e32 v0, 0x7f800001
	s_mov_b32 s19, exec_lo
	s_delay_alu instid0(VALU_DEP_2) | instskip(NEXT) | instid1(VALU_DEP_1)
	v_and_b32_e32 v1, 0x7f, v2
	v_cmpx_ne_u32_e32 0x7f, v1
	s_cbranch_execz .LBB468_986
; %bb.983:                              ;   in Loop: Header=BB468_8 Depth=1
	v_and_b32_e32 v18, 7, v2
	v_lshrrev_b32_e32 v0, 3, v1
	v_mov_b32_e32 v33, v19
	s_mov_b32 s21, exec_lo
	s_delay_alu instid0(VALU_DEP_3)
	v_mov_b32_e32 v32, v18
	v_cmpx_gt_u32_e32 8, v1
; %bb.984:                              ;   in Loop: Header=BB468_8 Depth=1
	v_clz_i32_u32_e32 v0, v18
	s_delay_alu instid0(VALU_DEP_1) | instskip(NEXT) | instid1(VALU_DEP_1)
	v_min_u32_e32 v0, 32, v0
	v_subrev_nc_u32_e32 v1, 28, v0
	v_sub_nc_u32_e32 v0, 29, v0
	s_delay_alu instid0(VALU_DEP_2) | instskip(NEXT) | instid1(VALU_DEP_1)
	v_lshlrev_b64 v[1:2], v1, v[18:19]
	v_and_b32_e32 v32, 7, v1
; %bb.985:                              ;   in Loop: Header=BB468_8 Depth=1
	s_or_b32 exec_lo, exec_lo, s21
	v_lshlrev_b32_e32 v1, 16, v30
	s_delay_alu instid0(VALU_DEP_2) | instskip(SKIP_1) | instid1(VALU_DEP_3)
	v_lshlrev_b32_e32 v2, 20, v32
	v_lshl_add_u32 v0, v0, 23, 0x3c000000
	v_and_b32_e32 v1, 0x80000000, v1
	s_delay_alu instid0(VALU_DEP_1)
	v_or3_b32 v0, v2, v1, v0
.LBB468_986:                            ;   in Loop: Header=BB468_8 Depth=1
	s_or_b32 exec_lo, exec_lo, s19
.LBB468_987:                            ;   in Loop: Header=BB468_8 Depth=1
	s_delay_alu instid0(SALU_CYCLE_1)
	s_or_b32 exec_lo, exec_lo, s17
.LBB468_988:                            ;   in Loop: Header=BB468_8 Depth=1
	s_delay_alu instid0(SALU_CYCLE_1) | instskip(NEXT) | instid1(VALU_DEP_1)
	s_or_b32 exec_lo, exec_lo, s3
	v_mul_f32_e32 v0, v79, v0
	s_delay_alu instid0(VALU_DEP_1) | instskip(NEXT) | instid1(VALU_DEP_1)
	v_and_b32_e32 v1, 0x7f800000, v0
	v_cmp_ne_u32_e64 s2, 0x7f800000, v1
                                        ; implicit-def: $vgpr1
                                        ; kill: killed $vgpr1
	s_delay_alu instid0(VALU_DEP_1) | instskip(NEXT) | instid1(SALU_CYCLE_1)
	s_and_saveexec_b32 s3, s2
	s_xor_b32 s2, exec_lo, s3
	s_cbranch_execz .LBB468_990
; %bb.989:                              ;   in Loop: Header=BB468_8 Depth=1
	v_bfe_u32 v1, v0, 16, 1
	s_delay_alu instid0(VALU_DEP_1)
	v_add3_u32 v0, v0, v1, 0x7fff
	scratch_store_b32 off, v0, s32 offset:640 ; 4-byte Folded Spill
                                        ; implicit-def: $vgpr0
.LBB468_990:                            ;   in Loop: Header=BB468_8 Depth=1
	s_and_not1_saveexec_b32 s3, s2
	s_cbranch_execz .LBB468_992
; %bb.991:                              ;   in Loop: Header=BB468_8 Depth=1
	v_and_b32_e32 v1, 0xffff, v0
	v_or_b32_e32 v2, 0x10000, v0
	s_delay_alu instid0(VALU_DEP_2) | instskip(NEXT) | instid1(VALU_DEP_1)
	v_cmp_eq_u32_e64 s2, 0, v1
	v_cndmask_b32_e64 v0, v2, v0, s2
	scratch_store_b32 off, v0, s32 offset:640 ; 4-byte Folded Spill
.LBB468_992:                            ;   in Loop: Header=BB468_8 Depth=1
	s_or_b32 exec_lo, exec_lo, s3
	v_lshrrev_b32_e32 v0, 16, v30
	s_mov_b32 s3, exec_lo
	s_delay_alu instid0(VALU_DEP_1) | instskip(NEXT) | instid1(VALU_DEP_1)
	v_dual_mov_b32 v1, 0 :: v_dual_and_b32 v2, 0xff, v0
	v_cmpx_ne_u16_e32 0, v2
	s_cbranch_execz .LBB468_1000
; %bb.993:                              ;   in Loop: Header=BB468_8 Depth=1
	v_bfrev_b32_e32 v1, 1
	s_mov_b32 s17, exec_lo
	v_cmpx_ne_u16_e32 0x80, v2
	s_cbranch_execz .LBB468_999
; %bb.994:                              ;   in Loop: Header=BB468_8 Depth=1
	v_bfe_u32 v2, v30, 16, 7
	v_mov_b32_e32 v1, 0x7f800001
	s_mov_b32 s19, exec_lo
	s_delay_alu instid0(VALU_DEP_2)
	v_cmpx_ne_u32_e32 0x7f, v2
	s_cbranch_execz .LBB468_998
; %bb.995:                              ;   in Loop: Header=BB468_8 Depth=1
	v_and_b32_e32 v18, 7, v0
	v_lshrrev_b32_e32 v1, 3, v2
	v_mov_b32_e32 v33, v19
	s_mov_b32 s21, exec_lo
	s_delay_alu instid0(VALU_DEP_3)
	v_mov_b32_e32 v32, v18
	v_cmpx_gt_u32_e32 8, v2
; %bb.996:                              ;   in Loop: Header=BB468_8 Depth=1
	v_clz_i32_u32_e32 v1, v18
	s_delay_alu instid0(VALU_DEP_1) | instskip(NEXT) | instid1(VALU_DEP_1)
	v_min_u32_e32 v1, 32, v1
	v_subrev_nc_u32_e32 v2, 28, v1
	v_sub_nc_u32_e32 v1, 29, v1
	s_delay_alu instid0(VALU_DEP_2) | instskip(NEXT) | instid1(VALU_DEP_1)
	v_lshlrev_b64 v[2:3], v2, v[18:19]
	v_and_b32_e32 v32, 7, v2
; %bb.997:                              ;   in Loop: Header=BB468_8 Depth=1
	s_or_b32 exec_lo, exec_lo, s21
	v_lshlrev_b32_e32 v0, 24, v0
	s_delay_alu instid0(VALU_DEP_2) | instskip(SKIP_1) | instid1(VALU_DEP_3)
	v_lshlrev_b32_e32 v2, 20, v32
	v_lshl_add_u32 v1, v1, 23, 0x3c000000
	v_and_b32_e32 v0, 0x80000000, v0
	s_delay_alu instid0(VALU_DEP_1)
	v_or3_b32 v1, v2, v0, v1
.LBB468_998:                            ;   in Loop: Header=BB468_8 Depth=1
	s_or_b32 exec_lo, exec_lo, s19
.LBB468_999:                            ;   in Loop: Header=BB468_8 Depth=1
	s_delay_alu instid0(SALU_CYCLE_1)
	s_or_b32 exec_lo, exec_lo, s17
.LBB468_1000:                           ;   in Loop: Header=BB468_8 Depth=1
	s_delay_alu instid0(SALU_CYCLE_1) | instskip(NEXT) | instid1(VALU_DEP_1)
	s_or_b32 exec_lo, exec_lo, s3
	v_mul_f32_e32 v0, v79, v1
	s_delay_alu instid0(VALU_DEP_1) | instskip(NEXT) | instid1(VALU_DEP_1)
	v_and_b32_e32 v1, 0x7f800000, v0
	v_cmp_ne_u32_e64 s2, 0x7f800000, v1
                                        ; implicit-def: $vgpr1
                                        ; kill: killed $vgpr1
	s_delay_alu instid0(VALU_DEP_1) | instskip(NEXT) | instid1(SALU_CYCLE_1)
	s_and_saveexec_b32 s3, s2
	s_xor_b32 s2, exec_lo, s3
	s_cbranch_execz .LBB468_1002
; %bb.1001:                             ;   in Loop: Header=BB468_8 Depth=1
	v_bfe_u32 v1, v0, 16, 1
	s_delay_alu instid0(VALU_DEP_1)
	v_add3_u32 v0, v0, v1, 0x7fff
	scratch_store_b32 off, v0, s32 offset:644 ; 4-byte Folded Spill
                                        ; implicit-def: $vgpr0
.LBB468_1002:                           ;   in Loop: Header=BB468_8 Depth=1
	s_and_not1_saveexec_b32 s3, s2
	s_cbranch_execz .LBB468_1004
; %bb.1003:                             ;   in Loop: Header=BB468_8 Depth=1
	v_and_b32_e32 v1, 0xffff, v0
	v_or_b32_e32 v2, 0x10000, v0
	s_delay_alu instid0(VALU_DEP_2) | instskip(NEXT) | instid1(VALU_DEP_1)
	v_cmp_eq_u32_e64 s2, 0, v1
	v_cndmask_b32_e64 v0, v2, v0, s2
	scratch_store_b32 off, v0, s32 offset:644 ; 4-byte Folded Spill
.LBB468_1004:                           ;   in Loop: Header=BB468_8 Depth=1
	s_or_b32 exec_lo, exec_lo, s3
	v_mov_b32_e32 v1, 0
	s_mov_b32 s3, exec_lo
	v_cmpx_lt_u32_e32 0xffffff, v30
	s_cbranch_execz .LBB468_1012
; %bb.1005:                             ;   in Loop: Header=BB468_8 Depth=1
	v_lshrrev_b32_e32 v0, 24, v30
	v_bfrev_b32_e32 v1, 1
	s_mov_b32 s17, exec_lo
	s_delay_alu instid0(VALU_DEP_2)
	v_cmpx_ne_u32_e32 0x80, v0
	s_cbranch_execz .LBB468_1011
; %bb.1006:                             ;   in Loop: Header=BB468_8 Depth=1
	v_bfe_u32 v2, v30, 24, 7
	v_mov_b32_e32 v1, 0x7f800001
	s_mov_b32 s19, exec_lo
	s_delay_alu instid0(VALU_DEP_2)
	v_cmpx_ne_u32_e32 0x7f, v2
	s_cbranch_execz .LBB468_1010
; %bb.1007:                             ;   in Loop: Header=BB468_8 Depth=1
	v_and_b32_e32 v18, 7, v0
	v_lshrrev_b32_e32 v1, 3, v2
	v_mov_b32_e32 v33, v19
	s_mov_b32 s21, exec_lo
	s_delay_alu instid0(VALU_DEP_3)
	v_mov_b32_e32 v32, v18
	v_cmpx_gt_u32_e32 8, v2
; %bb.1008:                             ;   in Loop: Header=BB468_8 Depth=1
	v_clz_i32_u32_e32 v1, v18
	s_delay_alu instid0(VALU_DEP_1) | instskip(NEXT) | instid1(VALU_DEP_1)
	v_min_u32_e32 v1, 32, v1
	v_subrev_nc_u32_e32 v2, 28, v1
	v_sub_nc_u32_e32 v1, 29, v1
	s_delay_alu instid0(VALU_DEP_2) | instskip(NEXT) | instid1(VALU_DEP_1)
	v_lshlrev_b64 v[2:3], v2, v[18:19]
	v_and_b32_e32 v32, 7, v2
; %bb.1009:                             ;   in Loop: Header=BB468_8 Depth=1
	s_or_b32 exec_lo, exec_lo, s21
	v_lshlrev_b32_e32 v0, 24, v0
	s_delay_alu instid0(VALU_DEP_2) | instskip(SKIP_1) | instid1(VALU_DEP_3)
	v_lshlrev_b32_e32 v2, 20, v32
	v_lshl_add_u32 v1, v1, 23, 0x3c000000
	v_and_b32_e32 v0, 0x80000000, v0
	s_delay_alu instid0(VALU_DEP_1)
	v_or3_b32 v1, v2, v0, v1
.LBB468_1010:                           ;   in Loop: Header=BB468_8 Depth=1
	s_or_b32 exec_lo, exec_lo, s19
.LBB468_1011:                           ;   in Loop: Header=BB468_8 Depth=1
	s_delay_alu instid0(SALU_CYCLE_1)
	s_or_b32 exec_lo, exec_lo, s17
.LBB468_1012:                           ;   in Loop: Header=BB468_8 Depth=1
	s_delay_alu instid0(SALU_CYCLE_1) | instskip(NEXT) | instid1(VALU_DEP_1)
	s_or_b32 exec_lo, exec_lo, s3
	v_mul_f32_e32 v0, v79, v1
	s_delay_alu instid0(VALU_DEP_1) | instskip(NEXT) | instid1(VALU_DEP_1)
	v_and_b32_e32 v1, 0x7f800000, v0
	v_cmp_ne_u32_e64 s2, 0x7f800000, v1
                                        ; implicit-def: $vgpr1
                                        ; kill: killed $vgpr1
	s_delay_alu instid0(VALU_DEP_1) | instskip(NEXT) | instid1(SALU_CYCLE_1)
	s_and_saveexec_b32 s3, s2
	s_xor_b32 s2, exec_lo, s3
	s_cbranch_execz .LBB468_1014
; %bb.1013:                             ;   in Loop: Header=BB468_8 Depth=1
	v_bfe_u32 v1, v0, 16, 1
	s_delay_alu instid0(VALU_DEP_1)
	v_add3_u32 v0, v0, v1, 0x7fff
	scratch_store_b32 off, v0, s32 offset:648 ; 4-byte Folded Spill
                                        ; implicit-def: $vgpr0
.LBB468_1014:                           ;   in Loop: Header=BB468_8 Depth=1
	s_and_not1_saveexec_b32 s3, s2
	s_cbranch_execz .LBB468_1016
; %bb.1015:                             ;   in Loop: Header=BB468_8 Depth=1
	v_and_b32_e32 v1, 0xffff, v0
	v_or_b32_e32 v2, 0x10000, v0
	s_delay_alu instid0(VALU_DEP_2) | instskip(NEXT) | instid1(VALU_DEP_1)
	v_cmp_eq_u32_e64 s2, 0, v1
	v_cndmask_b32_e64 v0, v2, v0, s2
	scratch_store_b32 off, v0, s32 offset:648 ; 4-byte Folded Spill
.LBB468_1016:                           ;   in Loop: Header=BB468_8 Depth=1
	s_or_b32 exec_lo, exec_lo, s3
	v_dual_mov_b32 v18, v31 :: v_dual_and_b32 v1, 0xff, v31
	v_mov_b32_e32 v0, 0
	s_mov_b32 s3, exec_lo
	s_delay_alu instid0(VALU_DEP_2)
	v_cmpx_ne_u16_e32 0, v1
	s_cbranch_execz .LBB468_1024
; %bb.1017:                             ;   in Loop: Header=BB468_8 Depth=1
	v_bfrev_b32_e32 v0, 1
	s_mov_b32 s17, exec_lo
	v_cmpx_ne_u16_e32 0x80, v1
	s_cbranch_execz .LBB468_1023
; %bb.1018:                             ;   in Loop: Header=BB468_8 Depth=1
	v_and_b32_e32 v1, 0x7f, v31
	v_mov_b32_e32 v0, 0x7f800001
	s_mov_b32 s19, exec_lo
	s_delay_alu instid0(VALU_DEP_2)
	v_cmpx_ne_u32_e32 0x7f, v1
	s_cbranch_execz .LBB468_1022
; %bb.1019:                             ;   in Loop: Header=BB468_8 Depth=1
	v_lshrrev_b32_e32 v0, 3, v1
	v_dual_mov_b32 v33, v19 :: v_dual_mov_b32 v32, v18
	s_mov_b32 s21, exec_lo
	v_cmpx_gt_u32_e32 8, v1
; %bb.1020:                             ;   in Loop: Header=BB468_8 Depth=1
	v_and_b32_e32 v0, 7, v31
	s_delay_alu instid0(VALU_DEP_1) | instskip(NEXT) | instid1(VALU_DEP_1)
	v_clz_i32_u32_e32 v0, v0
	v_min_u32_e32 v0, 32, v0
	s_delay_alu instid0(VALU_DEP_1) | instskip(SKIP_1) | instid1(VALU_DEP_2)
	v_subrev_nc_u32_e32 v1, 28, v0
	v_sub_nc_u32_e32 v0, 29, v0
	v_lshlrev_b64 v[32:33], v1, v[18:19]
; %bb.1021:                             ;   in Loop: Header=BB468_8 Depth=1
	s_or_b32 exec_lo, exec_lo, s21
	s_delay_alu instid0(VALU_DEP_1) | instskip(SKIP_2) | instid1(VALU_DEP_3)
	v_lshlrev_b32_e32 v1, 20, v32
	v_lshlrev_b32_e32 v2, 24, v18
	v_lshl_add_u32 v0, v0, 23, 0x3c000000
	v_and_b32_e32 v1, 0x700000, v1
	s_delay_alu instid0(VALU_DEP_3) | instskip(NEXT) | instid1(VALU_DEP_1)
	v_and_b32_e32 v2, 0x80000000, v2
	v_or3_b32 v0, v1, v2, v0
.LBB468_1022:                           ;   in Loop: Header=BB468_8 Depth=1
	s_or_b32 exec_lo, exec_lo, s19
.LBB468_1023:                           ;   in Loop: Header=BB468_8 Depth=1
	s_delay_alu instid0(SALU_CYCLE_1)
	s_or_b32 exec_lo, exec_lo, s17
.LBB468_1024:                           ;   in Loop: Header=BB468_8 Depth=1
	s_delay_alu instid0(SALU_CYCLE_1) | instskip(NEXT) | instid1(VALU_DEP_1)
	s_or_b32 exec_lo, exec_lo, s3
	v_mul_f32_e32 v0, v79, v0
                                        ; implicit-def: $vgpr52
	s_delay_alu instid0(VALU_DEP_1) | instskip(NEXT) | instid1(VALU_DEP_1)
	v_and_b32_e32 v1, 0x7f800000, v0
	v_cmp_ne_u32_e64 s2, 0x7f800000, v1
	s_delay_alu instid0(VALU_DEP_1) | instskip(NEXT) | instid1(SALU_CYCLE_1)
	s_and_saveexec_b32 s3, s2
	s_xor_b32 s2, exec_lo, s3
; %bb.1025:                             ;   in Loop: Header=BB468_8 Depth=1
	v_bfe_u32 v1, v0, 16, 1
	s_delay_alu instid0(VALU_DEP_1)
	v_add3_u32 v52, v0, v1, 0x7fff
                                        ; implicit-def: $vgpr0
; %bb.1026:                             ;   in Loop: Header=BB468_8 Depth=1
	s_and_not1_saveexec_b32 s3, s2
; %bb.1027:                             ;   in Loop: Header=BB468_8 Depth=1
	v_and_b32_e32 v1, 0xffff, v0
	v_or_b32_e32 v2, 0x10000, v0
	s_delay_alu instid0(VALU_DEP_2) | instskip(NEXT) | instid1(VALU_DEP_1)
	v_cmp_eq_u32_e64 s2, 0, v1
	v_cndmask_b32_e64 v52, v2, v0, s2
; %bb.1028:                             ;   in Loop: Header=BB468_8 Depth=1
	s_or_b32 exec_lo, exec_lo, s3
	v_lshrrev_b16 v1, 8, v18
	v_mov_b32_e32 v0, 0
	s_mov_b32 s3, exec_lo
	s_delay_alu instid0(VALU_DEP_2)
	v_cmpx_ne_u16_e32 0, v1
	s_cbranch_execz .LBB468_1036
; %bb.1029:                             ;   in Loop: Header=BB468_8 Depth=1
	v_bfrev_b32_e32 v0, 1
	s_mov_b32 s17, exec_lo
	v_cmpx_ne_u16_e32 0x80, v1
	s_cbranch_execz .LBB468_1035
; %bb.1030:                             ;   in Loop: Header=BB468_8 Depth=1
	v_and_b32_e32 v2, 0xffff, v1
	v_mov_b32_e32 v0, 0x7f800001
	s_mov_b32 s19, exec_lo
	s_delay_alu instid0(VALU_DEP_2) | instskip(NEXT) | instid1(VALU_DEP_1)
	v_and_b32_e32 v1, 0x7f, v2
	v_cmpx_ne_u32_e32 0x7f, v1
	s_cbranch_execz .LBB468_1034
; %bb.1031:                             ;   in Loop: Header=BB468_8 Depth=1
	v_dual_mov_b32 v33, v19 :: v_dual_and_b32 v32, 7, v2
	v_lshrrev_b32_e32 v0, 3, v1
	s_mov_b32 s21, exec_lo
	v_cmpx_gt_u32_e32 8, v1
; %bb.1032:                             ;   in Loop: Header=BB468_8 Depth=1
	s_delay_alu instid0(VALU_DEP_3) | instskip(NEXT) | instid1(VALU_DEP_1)
	v_clz_i32_u32_e32 v0, v32
	v_min_u32_e32 v0, 32, v0
	s_delay_alu instid0(VALU_DEP_1) | instskip(SKIP_1) | instid1(VALU_DEP_2)
	v_subrev_nc_u32_e32 v1, 28, v0
	v_sub_nc_u32_e32 v0, 29, v0
	v_lshlrev_b64 v[1:2], v1, v[32:33]
	s_delay_alu instid0(VALU_DEP_1)
	v_and_b32_e32 v32, 7, v1
; %bb.1033:                             ;   in Loop: Header=BB468_8 Depth=1
	s_or_b32 exec_lo, exec_lo, s21
	v_lshlrev_b32_e32 v1, 16, v18
	s_delay_alu instid0(VALU_DEP_2) | instskip(SKIP_1) | instid1(VALU_DEP_3)
	v_lshlrev_b32_e32 v2, 20, v32
	v_lshl_add_u32 v0, v0, 23, 0x3c000000
	v_and_b32_e32 v1, 0x80000000, v1
	s_delay_alu instid0(VALU_DEP_1)
	v_or3_b32 v0, v2, v1, v0
.LBB468_1034:                           ;   in Loop: Header=BB468_8 Depth=1
	s_or_b32 exec_lo, exec_lo, s19
.LBB468_1035:                           ;   in Loop: Header=BB468_8 Depth=1
	s_delay_alu instid0(SALU_CYCLE_1)
	s_or_b32 exec_lo, exec_lo, s17
.LBB468_1036:                           ;   in Loop: Header=BB468_8 Depth=1
	s_delay_alu instid0(SALU_CYCLE_1) | instskip(NEXT) | instid1(VALU_DEP_1)
	s_or_b32 exec_lo, exec_lo, s3
	v_mul_f32_e32 v0, v79, v0
                                        ; implicit-def: $vgpr53
	s_delay_alu instid0(VALU_DEP_1) | instskip(NEXT) | instid1(VALU_DEP_1)
	v_and_b32_e32 v1, 0x7f800000, v0
	v_cmp_ne_u32_e64 s2, 0x7f800000, v1
	s_delay_alu instid0(VALU_DEP_1) | instskip(NEXT) | instid1(SALU_CYCLE_1)
	s_and_saveexec_b32 s3, s2
	s_xor_b32 s2, exec_lo, s3
; %bb.1037:                             ;   in Loop: Header=BB468_8 Depth=1
	v_bfe_u32 v1, v0, 16, 1
	s_delay_alu instid0(VALU_DEP_1)
	v_add3_u32 v53, v0, v1, 0x7fff
                                        ; implicit-def: $vgpr0
; %bb.1038:                             ;   in Loop: Header=BB468_8 Depth=1
	s_and_not1_saveexec_b32 s3, s2
; %bb.1039:                             ;   in Loop: Header=BB468_8 Depth=1
	v_and_b32_e32 v1, 0xffff, v0
	v_or_b32_e32 v2, 0x10000, v0
	s_delay_alu instid0(VALU_DEP_2) | instskip(NEXT) | instid1(VALU_DEP_1)
	v_cmp_eq_u32_e64 s2, 0, v1
	v_cndmask_b32_e64 v53, v2, v0, s2
; %bb.1040:                             ;   in Loop: Header=BB468_8 Depth=1
	s_or_b32 exec_lo, exec_lo, s3
	v_lshrrev_b32_e32 v0, 16, v31
	s_mov_b32 s3, exec_lo
	s_delay_alu instid0(VALU_DEP_1) | instskip(NEXT) | instid1(VALU_DEP_1)
	v_dual_mov_b32 v1, 0 :: v_dual_and_b32 v2, 0xff, v0
	v_cmpx_ne_u16_e32 0, v2
	s_cbranch_execz .LBB468_1048
; %bb.1041:                             ;   in Loop: Header=BB468_8 Depth=1
	v_bfrev_b32_e32 v1, 1
	s_mov_b32 s17, exec_lo
	v_cmpx_ne_u16_e32 0x80, v2
	s_cbranch_execz .LBB468_1047
; %bb.1042:                             ;   in Loop: Header=BB468_8 Depth=1
	v_bfe_u32 v2, v31, 16, 7
	v_mov_b32_e32 v1, 0x7f800001
	s_mov_b32 s19, exec_lo
	s_delay_alu instid0(VALU_DEP_2)
	v_cmpx_ne_u32_e32 0x7f, v2
	s_cbranch_execz .LBB468_1046
; %bb.1043:                             ;   in Loop: Header=BB468_8 Depth=1
	v_and_b32_e32 v18, 7, v0
	v_lshrrev_b32_e32 v1, 3, v2
	v_mov_b32_e32 v33, v19
	s_mov_b32 s21, exec_lo
	s_delay_alu instid0(VALU_DEP_3)
	v_mov_b32_e32 v32, v18
	v_cmpx_gt_u32_e32 8, v2
; %bb.1044:                             ;   in Loop: Header=BB468_8 Depth=1
	v_clz_i32_u32_e32 v1, v18
	s_delay_alu instid0(VALU_DEP_1) | instskip(NEXT) | instid1(VALU_DEP_1)
	v_min_u32_e32 v1, 32, v1
	v_subrev_nc_u32_e32 v2, 28, v1
	v_sub_nc_u32_e32 v1, 29, v1
	s_delay_alu instid0(VALU_DEP_2) | instskip(NEXT) | instid1(VALU_DEP_1)
	v_lshlrev_b64 v[2:3], v2, v[18:19]
	v_and_b32_e32 v32, 7, v2
; %bb.1045:                             ;   in Loop: Header=BB468_8 Depth=1
	s_or_b32 exec_lo, exec_lo, s21
	v_lshlrev_b32_e32 v0, 24, v0
	s_delay_alu instid0(VALU_DEP_2) | instskip(SKIP_1) | instid1(VALU_DEP_3)
	v_lshlrev_b32_e32 v2, 20, v32
	v_lshl_add_u32 v1, v1, 23, 0x3c000000
	v_and_b32_e32 v0, 0x80000000, v0
	s_delay_alu instid0(VALU_DEP_1)
	v_or3_b32 v1, v2, v0, v1
.LBB468_1046:                           ;   in Loop: Header=BB468_8 Depth=1
	s_or_b32 exec_lo, exec_lo, s19
.LBB468_1047:                           ;   in Loop: Header=BB468_8 Depth=1
	s_delay_alu instid0(SALU_CYCLE_1)
	s_or_b32 exec_lo, exec_lo, s17
.LBB468_1048:                           ;   in Loop: Header=BB468_8 Depth=1
	s_delay_alu instid0(SALU_CYCLE_1) | instskip(NEXT) | instid1(VALU_DEP_1)
	s_or_b32 exec_lo, exec_lo, s3
	v_mul_f32_e32 v0, v79, v1
                                        ; implicit-def: $vgpr54
	s_delay_alu instid0(VALU_DEP_1) | instskip(NEXT) | instid1(VALU_DEP_1)
	v_and_b32_e32 v1, 0x7f800000, v0
	v_cmp_ne_u32_e64 s2, 0x7f800000, v1
	s_delay_alu instid0(VALU_DEP_1) | instskip(NEXT) | instid1(SALU_CYCLE_1)
	s_and_saveexec_b32 s3, s2
	s_xor_b32 s2, exec_lo, s3
; %bb.1049:                             ;   in Loop: Header=BB468_8 Depth=1
	v_bfe_u32 v1, v0, 16, 1
	s_delay_alu instid0(VALU_DEP_1)
	v_add3_u32 v54, v0, v1, 0x7fff
                                        ; implicit-def: $vgpr0
; %bb.1050:                             ;   in Loop: Header=BB468_8 Depth=1
	s_and_not1_saveexec_b32 s3, s2
; %bb.1051:                             ;   in Loop: Header=BB468_8 Depth=1
	v_and_b32_e32 v1, 0xffff, v0
	v_or_b32_e32 v2, 0x10000, v0
	s_delay_alu instid0(VALU_DEP_2) | instskip(NEXT) | instid1(VALU_DEP_1)
	v_cmp_eq_u32_e64 s2, 0, v1
	v_cndmask_b32_e64 v54, v2, v0, s2
; %bb.1052:                             ;   in Loop: Header=BB468_8 Depth=1
	s_or_b32 exec_lo, exec_lo, s3
	v_mov_b32_e32 v1, 0
	s_mov_b32 s3, exec_lo
	v_cmpx_lt_u64_e64 s[4:5], v[30:31]
	s_cbranch_execz .LBB468_1060
; %bb.1053:                             ;   in Loop: Header=BB468_8 Depth=1
	v_lshrrev_b32_e32 v0, 24, v31
	v_bfrev_b32_e32 v1, 1
	s_mov_b32 s17, exec_lo
	s_delay_alu instid0(VALU_DEP_2)
	v_cmpx_ne_u32_e32 0x80, v0
	s_cbranch_execz .LBB468_1059
; %bb.1054:                             ;   in Loop: Header=BB468_8 Depth=1
	v_bfe_u32 v2, v31, 24, 7
	v_mov_b32_e32 v1, 0x7f800001
	s_mov_b32 s19, exec_lo
	s_delay_alu instid0(VALU_DEP_2)
	v_cmpx_ne_u32_e32 0x7f, v2
	s_cbranch_execz .LBB468_1058
; %bb.1055:                             ;   in Loop: Header=BB468_8 Depth=1
	v_and_b32_e32 v18, 7, v0
	v_lshrrev_b32_e32 v1, 3, v2
	v_mov_b32_e32 v31, v19
	s_mov_b32 s21, exec_lo
	s_delay_alu instid0(VALU_DEP_3)
	v_mov_b32_e32 v30, v18
	v_cmpx_gt_u32_e32 8, v2
; %bb.1056:                             ;   in Loop: Header=BB468_8 Depth=1
	v_clz_i32_u32_e32 v1, v18
	s_delay_alu instid0(VALU_DEP_1) | instskip(NEXT) | instid1(VALU_DEP_1)
	v_min_u32_e32 v1, 32, v1
	v_subrev_nc_u32_e32 v2, 28, v1
	v_sub_nc_u32_e32 v1, 29, v1
	s_delay_alu instid0(VALU_DEP_2) | instskip(NEXT) | instid1(VALU_DEP_1)
	v_lshlrev_b64 v[2:3], v2, v[18:19]
	v_and_b32_e32 v30, 7, v2
; %bb.1057:                             ;   in Loop: Header=BB468_8 Depth=1
	s_or_b32 exec_lo, exec_lo, s21
	v_lshlrev_b32_e32 v0, 24, v0
	s_delay_alu instid0(VALU_DEP_2) | instskip(SKIP_1) | instid1(VALU_DEP_3)
	v_lshlrev_b32_e32 v2, 20, v30
	v_lshl_add_u32 v1, v1, 23, 0x3c000000
	v_and_b32_e32 v0, 0x80000000, v0
	s_delay_alu instid0(VALU_DEP_1)
	v_or3_b32 v1, v2, v0, v1
.LBB468_1058:                           ;   in Loop: Header=BB468_8 Depth=1
	s_or_b32 exec_lo, exec_lo, s19
.LBB468_1059:                           ;   in Loop: Header=BB468_8 Depth=1
	s_delay_alu instid0(SALU_CYCLE_1)
	s_or_b32 exec_lo, exec_lo, s17
.LBB468_1060:                           ;   in Loop: Header=BB468_8 Depth=1
	s_delay_alu instid0(SALU_CYCLE_1) | instskip(NEXT) | instid1(VALU_DEP_1)
	s_or_b32 exec_lo, exec_lo, s3
	v_mul_f32_e32 v0, v79, v1
                                        ; implicit-def: $vgpr23
	s_delay_alu instid0(VALU_DEP_1) | instskip(NEXT) | instid1(VALU_DEP_1)
	v_and_b32_e32 v1, 0x7f800000, v0
	v_cmp_ne_u32_e64 s2, 0x7f800000, v1
	s_delay_alu instid0(VALU_DEP_1) | instskip(NEXT) | instid1(SALU_CYCLE_1)
	s_and_saveexec_b32 s3, s2
	s_xor_b32 s2, exec_lo, s3
; %bb.1061:                             ;   in Loop: Header=BB468_8 Depth=1
	v_bfe_u32 v1, v0, 16, 1
	s_delay_alu instid0(VALU_DEP_1)
	v_add3_u32 v23, v0, v1, 0x7fff
                                        ; implicit-def: $vgpr0
; %bb.1062:                             ;   in Loop: Header=BB468_8 Depth=1
	s_and_not1_saveexec_b32 s3, s2
; %bb.1063:                             ;   in Loop: Header=BB468_8 Depth=1
	v_and_b32_e32 v1, 0xffff, v0
	v_or_b32_e32 v2, 0x10000, v0
	s_delay_alu instid0(VALU_DEP_2) | instskip(NEXT) | instid1(VALU_DEP_1)
	v_cmp_eq_u32_e64 s2, 0, v1
	v_cndmask_b32_e64 v23, v2, v0, s2
; %bb.1064:                             ;   in Loop: Header=BB468_8 Depth=1
	s_or_b32 exec_lo, exec_lo, s3
	flat_load_b64 v[30:31], v[28:29] offset:2568
	s_mov_b32 s3, exec_lo
	s_waitcnt vmcnt(0) lgkmcnt(0)
	v_dual_mov_b32 v0, 0 :: v_dual_and_b32 v1, 0xff, v30
	s_delay_alu instid0(VALU_DEP_1)
	v_cmpx_ne_u16_e32 0, v1
	s_cbranch_execz .LBB468_1072
; %bb.1065:                             ;   in Loop: Header=BB468_8 Depth=1
	v_bfrev_b32_e32 v0, 1
	s_mov_b32 s17, exec_lo
	v_cmpx_ne_u16_e32 0x80, v1
	s_cbranch_execz .LBB468_1071
; %bb.1066:                             ;   in Loop: Header=BB468_8 Depth=1
	v_and_b32_e32 v1, 0x7f, v30
	v_mov_b32_e32 v0, 0x7f800001
	s_mov_b32 s19, exec_lo
	s_delay_alu instid0(VALU_DEP_2)
	v_cmpx_ne_u32_e32 0x7f, v1
	s_cbranch_execz .LBB468_1070
; %bb.1067:                             ;   in Loop: Header=BB468_8 Depth=1
	v_lshrrev_b32_e32 v0, 3, v1
	v_dual_mov_b32 v33, v31 :: v_dual_mov_b32 v32, v30
	s_mov_b32 s21, exec_lo
	v_cmpx_gt_u32_e32 8, v1
; %bb.1068:                             ;   in Loop: Header=BB468_8 Depth=1
	v_and_b32_e32 v0, 7, v30
	s_delay_alu instid0(VALU_DEP_1) | instskip(NEXT) | instid1(VALU_DEP_1)
	v_clz_i32_u32_e32 v0, v0
	v_min_u32_e32 v0, 32, v0
	s_delay_alu instid0(VALU_DEP_1) | instskip(SKIP_1) | instid1(VALU_DEP_2)
	v_subrev_nc_u32_e32 v1, 28, v0
	v_sub_nc_u32_e32 v0, 29, v0
	v_lshlrev_b64 v[32:33], v1, v[30:31]
; %bb.1069:                             ;   in Loop: Header=BB468_8 Depth=1
	s_or_b32 exec_lo, exec_lo, s21
	s_delay_alu instid0(VALU_DEP_1) | instskip(SKIP_2) | instid1(VALU_DEP_3)
	v_lshlrev_b32_e32 v1, 20, v32
	v_lshlrev_b32_e32 v2, 24, v30
	v_lshl_add_u32 v0, v0, 23, 0x3c000000
	v_and_b32_e32 v1, 0x700000, v1
	s_delay_alu instid0(VALU_DEP_3) | instskip(NEXT) | instid1(VALU_DEP_1)
	v_and_b32_e32 v2, 0x80000000, v2
	v_or3_b32 v0, v1, v2, v0
.LBB468_1070:                           ;   in Loop: Header=BB468_8 Depth=1
	s_or_b32 exec_lo, exec_lo, s19
.LBB468_1071:                           ;   in Loop: Header=BB468_8 Depth=1
	s_delay_alu instid0(SALU_CYCLE_1)
	s_or_b32 exec_lo, exec_lo, s17
.LBB468_1072:                           ;   in Loop: Header=BB468_8 Depth=1
	s_delay_alu instid0(SALU_CYCLE_1) | instskip(NEXT) | instid1(VALU_DEP_1)
	s_or_b32 exec_lo, exec_lo, s3
	v_mul_f32_e32 v0, v79, v0
                                        ; implicit-def: $vgpr55
	s_delay_alu instid0(VALU_DEP_1) | instskip(NEXT) | instid1(VALU_DEP_1)
	v_and_b32_e32 v1, 0x7f800000, v0
	v_cmp_ne_u32_e64 s2, 0x7f800000, v1
	s_delay_alu instid0(VALU_DEP_1) | instskip(NEXT) | instid1(SALU_CYCLE_1)
	s_and_saveexec_b32 s3, s2
	s_xor_b32 s2, exec_lo, s3
; %bb.1073:                             ;   in Loop: Header=BB468_8 Depth=1
	v_bfe_u32 v1, v0, 16, 1
	s_delay_alu instid0(VALU_DEP_1)
	v_add3_u32 v55, v0, v1, 0x7fff
                                        ; implicit-def: $vgpr0
; %bb.1074:                             ;   in Loop: Header=BB468_8 Depth=1
	s_and_not1_saveexec_b32 s3, s2
; %bb.1075:                             ;   in Loop: Header=BB468_8 Depth=1
	v_and_b32_e32 v1, 0xffff, v0
	v_or_b32_e32 v2, 0x10000, v0
	s_delay_alu instid0(VALU_DEP_2) | instskip(NEXT) | instid1(VALU_DEP_1)
	v_cmp_eq_u32_e64 s2, 0, v1
	v_cndmask_b32_e64 v55, v2, v0, s2
; %bb.1076:                             ;   in Loop: Header=BB468_8 Depth=1
	s_or_b32 exec_lo, exec_lo, s3
	v_lshrrev_b16 v1, 8, v30
	v_mov_b32_e32 v0, 0
	s_mov_b32 s3, exec_lo
	s_delay_alu instid0(VALU_DEP_2)
	v_cmpx_ne_u16_e32 0, v1
	s_cbranch_execz .LBB468_1084
; %bb.1077:                             ;   in Loop: Header=BB468_8 Depth=1
	v_bfrev_b32_e32 v0, 1
	s_mov_b32 s17, exec_lo
	v_cmpx_ne_u16_e32 0x80, v1
	s_cbranch_execz .LBB468_1083
; %bb.1078:                             ;   in Loop: Header=BB468_8 Depth=1
	v_and_b32_e32 v2, 0xffff, v1
	v_mov_b32_e32 v0, 0x7f800001
	s_mov_b32 s19, exec_lo
	s_delay_alu instid0(VALU_DEP_2) | instskip(NEXT) | instid1(VALU_DEP_1)
	v_and_b32_e32 v1, 0x7f, v2
	v_cmpx_ne_u32_e32 0x7f, v1
	s_cbranch_execz .LBB468_1082
; %bb.1079:                             ;   in Loop: Header=BB468_8 Depth=1
	v_and_b32_e32 v18, 7, v2
	v_lshrrev_b32_e32 v0, 3, v1
	v_mov_b32_e32 v33, v19
	s_mov_b32 s21, exec_lo
	s_delay_alu instid0(VALU_DEP_3)
	v_mov_b32_e32 v32, v18
	v_cmpx_gt_u32_e32 8, v1
; %bb.1080:                             ;   in Loop: Header=BB468_8 Depth=1
	v_clz_i32_u32_e32 v0, v18
	s_delay_alu instid0(VALU_DEP_1) | instskip(NEXT) | instid1(VALU_DEP_1)
	v_min_u32_e32 v0, 32, v0
	v_subrev_nc_u32_e32 v1, 28, v0
	v_sub_nc_u32_e32 v0, 29, v0
	s_delay_alu instid0(VALU_DEP_2) | instskip(NEXT) | instid1(VALU_DEP_1)
	v_lshlrev_b64 v[1:2], v1, v[18:19]
	v_and_b32_e32 v32, 7, v1
; %bb.1081:                             ;   in Loop: Header=BB468_8 Depth=1
	s_or_b32 exec_lo, exec_lo, s21
	v_lshlrev_b32_e32 v1, 16, v30
	s_delay_alu instid0(VALU_DEP_2) | instskip(SKIP_1) | instid1(VALU_DEP_3)
	v_lshlrev_b32_e32 v2, 20, v32
	v_lshl_add_u32 v0, v0, 23, 0x3c000000
	v_and_b32_e32 v1, 0x80000000, v1
	s_delay_alu instid0(VALU_DEP_1)
	v_or3_b32 v0, v2, v1, v0
.LBB468_1082:                           ;   in Loop: Header=BB468_8 Depth=1
	s_or_b32 exec_lo, exec_lo, s19
.LBB468_1083:                           ;   in Loop: Header=BB468_8 Depth=1
	s_delay_alu instid0(SALU_CYCLE_1)
	s_or_b32 exec_lo, exec_lo, s17
.LBB468_1084:                           ;   in Loop: Header=BB468_8 Depth=1
	s_delay_alu instid0(SALU_CYCLE_1) | instskip(NEXT) | instid1(VALU_DEP_1)
	s_or_b32 exec_lo, exec_lo, s3
	v_mul_f32_e32 v0, v79, v0
                                        ; implicit-def: $vgpr64
	s_delay_alu instid0(VALU_DEP_1) | instskip(NEXT) | instid1(VALU_DEP_1)
	v_and_b32_e32 v1, 0x7f800000, v0
	v_cmp_ne_u32_e64 s2, 0x7f800000, v1
	s_delay_alu instid0(VALU_DEP_1) | instskip(NEXT) | instid1(SALU_CYCLE_1)
	s_and_saveexec_b32 s3, s2
	s_xor_b32 s2, exec_lo, s3
; %bb.1085:                             ;   in Loop: Header=BB468_8 Depth=1
	v_bfe_u32 v1, v0, 16, 1
	s_delay_alu instid0(VALU_DEP_1)
	v_add3_u32 v64, v0, v1, 0x7fff
                                        ; implicit-def: $vgpr0
; %bb.1086:                             ;   in Loop: Header=BB468_8 Depth=1
	s_and_not1_saveexec_b32 s3, s2
; %bb.1087:                             ;   in Loop: Header=BB468_8 Depth=1
	v_and_b32_e32 v1, 0xffff, v0
	v_or_b32_e32 v2, 0x10000, v0
	s_delay_alu instid0(VALU_DEP_2) | instskip(NEXT) | instid1(VALU_DEP_1)
	v_cmp_eq_u32_e64 s2, 0, v1
	v_cndmask_b32_e64 v64, v2, v0, s2
; %bb.1088:                             ;   in Loop: Header=BB468_8 Depth=1
	s_or_b32 exec_lo, exec_lo, s3
	v_lshrrev_b32_e32 v0, 16, v30
	s_mov_b32 s3, exec_lo
	s_delay_alu instid0(VALU_DEP_1) | instskip(NEXT) | instid1(VALU_DEP_1)
	v_dual_mov_b32 v1, 0 :: v_dual_and_b32 v2, 0xff, v0
	v_cmpx_ne_u16_e32 0, v2
	s_cbranch_execz .LBB468_1096
; %bb.1089:                             ;   in Loop: Header=BB468_8 Depth=1
	v_bfrev_b32_e32 v1, 1
	s_mov_b32 s17, exec_lo
	v_cmpx_ne_u16_e32 0x80, v2
	s_cbranch_execz .LBB468_1095
; %bb.1090:                             ;   in Loop: Header=BB468_8 Depth=1
	v_bfe_u32 v2, v30, 16, 7
	v_mov_b32_e32 v1, 0x7f800001
	s_mov_b32 s19, exec_lo
	s_delay_alu instid0(VALU_DEP_2)
	v_cmpx_ne_u32_e32 0x7f, v2
	s_cbranch_execz .LBB468_1094
; %bb.1091:                             ;   in Loop: Header=BB468_8 Depth=1
	v_and_b32_e32 v18, 7, v0
	v_lshrrev_b32_e32 v1, 3, v2
	v_mov_b32_e32 v33, v19
	s_mov_b32 s21, exec_lo
	s_delay_alu instid0(VALU_DEP_3)
	v_mov_b32_e32 v32, v18
	v_cmpx_gt_u32_e32 8, v2
; %bb.1092:                             ;   in Loop: Header=BB468_8 Depth=1
	v_clz_i32_u32_e32 v1, v18
	s_delay_alu instid0(VALU_DEP_1) | instskip(NEXT) | instid1(VALU_DEP_1)
	v_min_u32_e32 v1, 32, v1
	v_subrev_nc_u32_e32 v2, 28, v1
	v_sub_nc_u32_e32 v1, 29, v1
	s_delay_alu instid0(VALU_DEP_2) | instskip(NEXT) | instid1(VALU_DEP_1)
	v_lshlrev_b64 v[2:3], v2, v[18:19]
	v_and_b32_e32 v32, 7, v2
; %bb.1093:                             ;   in Loop: Header=BB468_8 Depth=1
	s_or_b32 exec_lo, exec_lo, s21
	v_lshlrev_b32_e32 v0, 24, v0
	s_delay_alu instid0(VALU_DEP_2) | instskip(SKIP_1) | instid1(VALU_DEP_3)
	v_lshlrev_b32_e32 v2, 20, v32
	v_lshl_add_u32 v1, v1, 23, 0x3c000000
	v_and_b32_e32 v0, 0x80000000, v0
	s_delay_alu instid0(VALU_DEP_1)
	v_or3_b32 v1, v2, v0, v1
.LBB468_1094:                           ;   in Loop: Header=BB468_8 Depth=1
	s_or_b32 exec_lo, exec_lo, s19
.LBB468_1095:                           ;   in Loop: Header=BB468_8 Depth=1
	s_delay_alu instid0(SALU_CYCLE_1)
	s_or_b32 exec_lo, exec_lo, s17
.LBB468_1096:                           ;   in Loop: Header=BB468_8 Depth=1
	s_delay_alu instid0(SALU_CYCLE_1) | instskip(NEXT) | instid1(VALU_DEP_1)
	s_or_b32 exec_lo, exec_lo, s3
	v_mul_f32_e32 v0, v79, v1
                                        ; implicit-def: $vgpr65
	s_delay_alu instid0(VALU_DEP_1) | instskip(NEXT) | instid1(VALU_DEP_1)
	v_and_b32_e32 v1, 0x7f800000, v0
	v_cmp_ne_u32_e64 s2, 0x7f800000, v1
	s_delay_alu instid0(VALU_DEP_1) | instskip(NEXT) | instid1(SALU_CYCLE_1)
	s_and_saveexec_b32 s3, s2
	s_xor_b32 s2, exec_lo, s3
; %bb.1097:                             ;   in Loop: Header=BB468_8 Depth=1
	v_bfe_u32 v1, v0, 16, 1
	s_delay_alu instid0(VALU_DEP_1)
	v_add3_u32 v65, v0, v1, 0x7fff
                                        ; implicit-def: $vgpr0
; %bb.1098:                             ;   in Loop: Header=BB468_8 Depth=1
	s_and_not1_saveexec_b32 s3, s2
; %bb.1099:                             ;   in Loop: Header=BB468_8 Depth=1
	v_and_b32_e32 v1, 0xffff, v0
	v_or_b32_e32 v2, 0x10000, v0
	s_delay_alu instid0(VALU_DEP_2) | instskip(NEXT) | instid1(VALU_DEP_1)
	v_cmp_eq_u32_e64 s2, 0, v1
	v_cndmask_b32_e64 v65, v2, v0, s2
; %bb.1100:                             ;   in Loop: Header=BB468_8 Depth=1
	s_or_b32 exec_lo, exec_lo, s3
	v_mov_b32_e32 v1, 0
	s_mov_b32 s3, exec_lo
	v_cmpx_lt_u32_e32 0xffffff, v30
	s_cbranch_execz .LBB468_1108
; %bb.1101:                             ;   in Loop: Header=BB468_8 Depth=1
	v_lshrrev_b32_e32 v0, 24, v30
	v_bfrev_b32_e32 v1, 1
	s_mov_b32 s17, exec_lo
	s_delay_alu instid0(VALU_DEP_2)
	v_cmpx_ne_u32_e32 0x80, v0
	s_cbranch_execz .LBB468_1107
; %bb.1102:                             ;   in Loop: Header=BB468_8 Depth=1
	v_bfe_u32 v2, v30, 24, 7
	v_mov_b32_e32 v1, 0x7f800001
	s_mov_b32 s19, exec_lo
	s_delay_alu instid0(VALU_DEP_2)
	v_cmpx_ne_u32_e32 0x7f, v2
	s_cbranch_execz .LBB468_1106
; %bb.1103:                             ;   in Loop: Header=BB468_8 Depth=1
	v_and_b32_e32 v18, 7, v0
	v_lshrrev_b32_e32 v1, 3, v2
	v_mov_b32_e32 v33, v19
	s_mov_b32 s21, exec_lo
	s_delay_alu instid0(VALU_DEP_3)
	v_mov_b32_e32 v32, v18
	v_cmpx_gt_u32_e32 8, v2
; %bb.1104:                             ;   in Loop: Header=BB468_8 Depth=1
	v_clz_i32_u32_e32 v1, v18
	s_delay_alu instid0(VALU_DEP_1) | instskip(NEXT) | instid1(VALU_DEP_1)
	v_min_u32_e32 v1, 32, v1
	v_subrev_nc_u32_e32 v2, 28, v1
	v_sub_nc_u32_e32 v1, 29, v1
	s_delay_alu instid0(VALU_DEP_2) | instskip(NEXT) | instid1(VALU_DEP_1)
	v_lshlrev_b64 v[2:3], v2, v[18:19]
	v_and_b32_e32 v32, 7, v2
; %bb.1105:                             ;   in Loop: Header=BB468_8 Depth=1
	s_or_b32 exec_lo, exec_lo, s21
	v_lshlrev_b32_e32 v0, 24, v0
	s_delay_alu instid0(VALU_DEP_2) | instskip(SKIP_1) | instid1(VALU_DEP_3)
	v_lshlrev_b32_e32 v2, 20, v32
	v_lshl_add_u32 v1, v1, 23, 0x3c000000
	v_and_b32_e32 v0, 0x80000000, v0
	s_delay_alu instid0(VALU_DEP_1)
	v_or3_b32 v1, v2, v0, v1
.LBB468_1106:                           ;   in Loop: Header=BB468_8 Depth=1
	s_or_b32 exec_lo, exec_lo, s19
.LBB468_1107:                           ;   in Loop: Header=BB468_8 Depth=1
	s_delay_alu instid0(SALU_CYCLE_1)
	s_or_b32 exec_lo, exec_lo, s17
.LBB468_1108:                           ;   in Loop: Header=BB468_8 Depth=1
	s_delay_alu instid0(SALU_CYCLE_1) | instskip(NEXT) | instid1(VALU_DEP_1)
	s_or_b32 exec_lo, exec_lo, s3
	v_mul_f32_e32 v0, v79, v1
                                        ; implicit-def: $vgpr66
	s_delay_alu instid0(VALU_DEP_1) | instskip(NEXT) | instid1(VALU_DEP_1)
	v_and_b32_e32 v1, 0x7f800000, v0
	v_cmp_ne_u32_e64 s2, 0x7f800000, v1
	s_delay_alu instid0(VALU_DEP_1) | instskip(NEXT) | instid1(SALU_CYCLE_1)
	s_and_saveexec_b32 s3, s2
	s_xor_b32 s2, exec_lo, s3
; %bb.1109:                             ;   in Loop: Header=BB468_8 Depth=1
	v_bfe_u32 v1, v0, 16, 1
	s_delay_alu instid0(VALU_DEP_1)
	v_add3_u32 v66, v0, v1, 0x7fff
                                        ; implicit-def: $vgpr0
; %bb.1110:                             ;   in Loop: Header=BB468_8 Depth=1
	s_and_not1_saveexec_b32 s3, s2
; %bb.1111:                             ;   in Loop: Header=BB468_8 Depth=1
	v_and_b32_e32 v1, 0xffff, v0
	v_or_b32_e32 v2, 0x10000, v0
	s_delay_alu instid0(VALU_DEP_2) | instskip(NEXT) | instid1(VALU_DEP_1)
	v_cmp_eq_u32_e64 s2, 0, v1
	v_cndmask_b32_e64 v66, v2, v0, s2
; %bb.1112:                             ;   in Loop: Header=BB468_8 Depth=1
	s_or_b32 exec_lo, exec_lo, s3
	v_dual_mov_b32 v18, v31 :: v_dual_and_b32 v1, 0xff, v31
	v_mov_b32_e32 v0, 0
	s_mov_b32 s3, exec_lo
	s_delay_alu instid0(VALU_DEP_2)
	v_cmpx_ne_u16_e32 0, v1
	s_cbranch_execz .LBB468_1120
; %bb.1113:                             ;   in Loop: Header=BB468_8 Depth=1
	v_bfrev_b32_e32 v0, 1
	s_mov_b32 s17, exec_lo
	v_cmpx_ne_u16_e32 0x80, v1
	s_cbranch_execz .LBB468_1119
; %bb.1114:                             ;   in Loop: Header=BB468_8 Depth=1
	v_and_b32_e32 v1, 0x7f, v31
	v_mov_b32_e32 v0, 0x7f800001
	s_mov_b32 s19, exec_lo
	s_delay_alu instid0(VALU_DEP_2)
	v_cmpx_ne_u32_e32 0x7f, v1
	s_cbranch_execz .LBB468_1118
; %bb.1115:                             ;   in Loop: Header=BB468_8 Depth=1
	v_lshrrev_b32_e32 v0, 3, v1
	v_dual_mov_b32 v33, v19 :: v_dual_mov_b32 v32, v18
	s_mov_b32 s21, exec_lo
	v_cmpx_gt_u32_e32 8, v1
; %bb.1116:                             ;   in Loop: Header=BB468_8 Depth=1
	v_and_b32_e32 v0, 7, v31
	s_delay_alu instid0(VALU_DEP_1) | instskip(NEXT) | instid1(VALU_DEP_1)
	v_clz_i32_u32_e32 v0, v0
	v_min_u32_e32 v0, 32, v0
	s_delay_alu instid0(VALU_DEP_1) | instskip(SKIP_1) | instid1(VALU_DEP_2)
	v_subrev_nc_u32_e32 v1, 28, v0
	v_sub_nc_u32_e32 v0, 29, v0
	v_lshlrev_b64 v[32:33], v1, v[18:19]
; %bb.1117:                             ;   in Loop: Header=BB468_8 Depth=1
	s_or_b32 exec_lo, exec_lo, s21
	s_delay_alu instid0(VALU_DEP_1) | instskip(SKIP_2) | instid1(VALU_DEP_3)
	v_lshlrev_b32_e32 v1, 20, v32
	v_lshlrev_b32_e32 v2, 24, v18
	v_lshl_add_u32 v0, v0, 23, 0x3c000000
	v_and_b32_e32 v1, 0x700000, v1
	s_delay_alu instid0(VALU_DEP_3) | instskip(NEXT) | instid1(VALU_DEP_1)
	v_and_b32_e32 v2, 0x80000000, v2
	v_or3_b32 v0, v1, v2, v0
.LBB468_1118:                           ;   in Loop: Header=BB468_8 Depth=1
	s_or_b32 exec_lo, exec_lo, s19
.LBB468_1119:                           ;   in Loop: Header=BB468_8 Depth=1
	s_delay_alu instid0(SALU_CYCLE_1)
	s_or_b32 exec_lo, exec_lo, s17
.LBB468_1120:                           ;   in Loop: Header=BB468_8 Depth=1
	s_delay_alu instid0(SALU_CYCLE_1) | instskip(NEXT) | instid1(VALU_DEP_1)
	s_or_b32 exec_lo, exec_lo, s3
	v_mul_f32_e32 v0, v79, v0
                                        ; implicit-def: $vgpr67
	s_delay_alu instid0(VALU_DEP_1) | instskip(NEXT) | instid1(VALU_DEP_1)
	v_and_b32_e32 v1, 0x7f800000, v0
	v_cmp_ne_u32_e64 s2, 0x7f800000, v1
	s_delay_alu instid0(VALU_DEP_1) | instskip(NEXT) | instid1(SALU_CYCLE_1)
	s_and_saveexec_b32 s3, s2
	s_xor_b32 s2, exec_lo, s3
; %bb.1121:                             ;   in Loop: Header=BB468_8 Depth=1
	v_bfe_u32 v1, v0, 16, 1
	s_delay_alu instid0(VALU_DEP_1)
	v_add3_u32 v67, v0, v1, 0x7fff
                                        ; implicit-def: $vgpr0
; %bb.1122:                             ;   in Loop: Header=BB468_8 Depth=1
	s_and_not1_saveexec_b32 s3, s2
; %bb.1123:                             ;   in Loop: Header=BB468_8 Depth=1
	v_and_b32_e32 v1, 0xffff, v0
	v_or_b32_e32 v2, 0x10000, v0
	s_delay_alu instid0(VALU_DEP_2) | instskip(NEXT) | instid1(VALU_DEP_1)
	v_cmp_eq_u32_e64 s2, 0, v1
	v_cndmask_b32_e64 v67, v2, v0, s2
; %bb.1124:                             ;   in Loop: Header=BB468_8 Depth=1
	s_or_b32 exec_lo, exec_lo, s3
	v_lshrrev_b16 v1, 8, v18
	v_mov_b32_e32 v0, 0
	s_mov_b32 s3, exec_lo
	s_delay_alu instid0(VALU_DEP_2)
	v_cmpx_ne_u16_e32 0, v1
	s_cbranch_execz .LBB468_1132
; %bb.1125:                             ;   in Loop: Header=BB468_8 Depth=1
	v_bfrev_b32_e32 v0, 1
	s_mov_b32 s17, exec_lo
	v_cmpx_ne_u16_e32 0x80, v1
	s_cbranch_execz .LBB468_1131
; %bb.1126:                             ;   in Loop: Header=BB468_8 Depth=1
	v_and_b32_e32 v2, 0xffff, v1
	v_mov_b32_e32 v0, 0x7f800001
	s_mov_b32 s19, exec_lo
	s_delay_alu instid0(VALU_DEP_2) | instskip(NEXT) | instid1(VALU_DEP_1)
	v_and_b32_e32 v1, 0x7f, v2
	v_cmpx_ne_u32_e32 0x7f, v1
	s_cbranch_execz .LBB468_1130
; %bb.1127:                             ;   in Loop: Header=BB468_8 Depth=1
	v_dual_mov_b32 v33, v19 :: v_dual_and_b32 v32, 7, v2
	v_lshrrev_b32_e32 v0, 3, v1
	s_mov_b32 s21, exec_lo
	v_cmpx_gt_u32_e32 8, v1
; %bb.1128:                             ;   in Loop: Header=BB468_8 Depth=1
	s_delay_alu instid0(VALU_DEP_3) | instskip(NEXT) | instid1(VALU_DEP_1)
	v_clz_i32_u32_e32 v0, v32
	v_min_u32_e32 v0, 32, v0
	s_delay_alu instid0(VALU_DEP_1) | instskip(SKIP_1) | instid1(VALU_DEP_2)
	v_subrev_nc_u32_e32 v1, 28, v0
	v_sub_nc_u32_e32 v0, 29, v0
	v_lshlrev_b64 v[1:2], v1, v[32:33]
	s_delay_alu instid0(VALU_DEP_1)
	v_and_b32_e32 v32, 7, v1
; %bb.1129:                             ;   in Loop: Header=BB468_8 Depth=1
	s_or_b32 exec_lo, exec_lo, s21
	v_lshlrev_b32_e32 v1, 16, v18
	s_delay_alu instid0(VALU_DEP_2) | instskip(SKIP_1) | instid1(VALU_DEP_3)
	v_lshlrev_b32_e32 v2, 20, v32
	v_lshl_add_u32 v0, v0, 23, 0x3c000000
	v_and_b32_e32 v1, 0x80000000, v1
	s_delay_alu instid0(VALU_DEP_1)
	v_or3_b32 v0, v2, v1, v0
.LBB468_1130:                           ;   in Loop: Header=BB468_8 Depth=1
	s_or_b32 exec_lo, exec_lo, s19
.LBB468_1131:                           ;   in Loop: Header=BB468_8 Depth=1
	s_delay_alu instid0(SALU_CYCLE_1)
	s_or_b32 exec_lo, exec_lo, s17
.LBB468_1132:                           ;   in Loop: Header=BB468_8 Depth=1
	s_delay_alu instid0(SALU_CYCLE_1) | instskip(NEXT) | instid1(VALU_DEP_1)
	s_or_b32 exec_lo, exec_lo, s3
	v_mul_f32_e32 v0, v79, v0
                                        ; implicit-def: $vgpr68
	s_delay_alu instid0(VALU_DEP_1) | instskip(NEXT) | instid1(VALU_DEP_1)
	v_and_b32_e32 v1, 0x7f800000, v0
	v_cmp_ne_u32_e64 s2, 0x7f800000, v1
	s_delay_alu instid0(VALU_DEP_1) | instskip(NEXT) | instid1(SALU_CYCLE_1)
	s_and_saveexec_b32 s3, s2
	s_xor_b32 s2, exec_lo, s3
; %bb.1133:                             ;   in Loop: Header=BB468_8 Depth=1
	v_bfe_u32 v1, v0, 16, 1
	s_delay_alu instid0(VALU_DEP_1)
	v_add3_u32 v68, v0, v1, 0x7fff
                                        ; implicit-def: $vgpr0
; %bb.1134:                             ;   in Loop: Header=BB468_8 Depth=1
	s_and_not1_saveexec_b32 s3, s2
; %bb.1135:                             ;   in Loop: Header=BB468_8 Depth=1
	v_and_b32_e32 v1, 0xffff, v0
	v_or_b32_e32 v2, 0x10000, v0
	s_delay_alu instid0(VALU_DEP_2) | instskip(NEXT) | instid1(VALU_DEP_1)
	v_cmp_eq_u32_e64 s2, 0, v1
	v_cndmask_b32_e64 v68, v2, v0, s2
; %bb.1136:                             ;   in Loop: Header=BB468_8 Depth=1
	s_or_b32 exec_lo, exec_lo, s3
	v_lshrrev_b32_e32 v0, 16, v31
	s_mov_b32 s3, exec_lo
	s_delay_alu instid0(VALU_DEP_1) | instskip(NEXT) | instid1(VALU_DEP_1)
	v_dual_mov_b32 v1, 0 :: v_dual_and_b32 v2, 0xff, v0
	v_cmpx_ne_u16_e32 0, v2
	s_cbranch_execz .LBB468_1144
; %bb.1137:                             ;   in Loop: Header=BB468_8 Depth=1
	v_bfrev_b32_e32 v1, 1
	s_mov_b32 s17, exec_lo
	v_cmpx_ne_u16_e32 0x80, v2
	s_cbranch_execz .LBB468_1143
; %bb.1138:                             ;   in Loop: Header=BB468_8 Depth=1
	v_bfe_u32 v2, v31, 16, 7
	v_mov_b32_e32 v1, 0x7f800001
	s_mov_b32 s19, exec_lo
	s_delay_alu instid0(VALU_DEP_2)
	v_cmpx_ne_u32_e32 0x7f, v2
	s_cbranch_execz .LBB468_1142
; %bb.1139:                             ;   in Loop: Header=BB468_8 Depth=1
	v_and_b32_e32 v18, 7, v0
	v_lshrrev_b32_e32 v1, 3, v2
	v_mov_b32_e32 v33, v19
	s_mov_b32 s21, exec_lo
	s_delay_alu instid0(VALU_DEP_3)
	v_mov_b32_e32 v32, v18
	v_cmpx_gt_u32_e32 8, v2
; %bb.1140:                             ;   in Loop: Header=BB468_8 Depth=1
	v_clz_i32_u32_e32 v1, v18
	s_delay_alu instid0(VALU_DEP_1) | instskip(NEXT) | instid1(VALU_DEP_1)
	v_min_u32_e32 v1, 32, v1
	v_subrev_nc_u32_e32 v2, 28, v1
	v_sub_nc_u32_e32 v1, 29, v1
	s_delay_alu instid0(VALU_DEP_2) | instskip(NEXT) | instid1(VALU_DEP_1)
	v_lshlrev_b64 v[2:3], v2, v[18:19]
	v_and_b32_e32 v32, 7, v2
; %bb.1141:                             ;   in Loop: Header=BB468_8 Depth=1
	s_or_b32 exec_lo, exec_lo, s21
	v_lshlrev_b32_e32 v0, 24, v0
	s_delay_alu instid0(VALU_DEP_2) | instskip(SKIP_1) | instid1(VALU_DEP_3)
	v_lshlrev_b32_e32 v2, 20, v32
	v_lshl_add_u32 v1, v1, 23, 0x3c000000
	v_and_b32_e32 v0, 0x80000000, v0
	s_delay_alu instid0(VALU_DEP_1)
	v_or3_b32 v1, v2, v0, v1
.LBB468_1142:                           ;   in Loop: Header=BB468_8 Depth=1
	s_or_b32 exec_lo, exec_lo, s19
.LBB468_1143:                           ;   in Loop: Header=BB468_8 Depth=1
	s_delay_alu instid0(SALU_CYCLE_1)
	s_or_b32 exec_lo, exec_lo, s17
.LBB468_1144:                           ;   in Loop: Header=BB468_8 Depth=1
	s_delay_alu instid0(SALU_CYCLE_1) | instskip(NEXT) | instid1(VALU_DEP_1)
	s_or_b32 exec_lo, exec_lo, s3
	v_mul_f32_e32 v0, v79, v1
                                        ; implicit-def: $vgpr69
	s_delay_alu instid0(VALU_DEP_1) | instskip(NEXT) | instid1(VALU_DEP_1)
	v_and_b32_e32 v1, 0x7f800000, v0
	v_cmp_ne_u32_e64 s2, 0x7f800000, v1
	s_delay_alu instid0(VALU_DEP_1) | instskip(NEXT) | instid1(SALU_CYCLE_1)
	s_and_saveexec_b32 s3, s2
	s_xor_b32 s2, exec_lo, s3
; %bb.1145:                             ;   in Loop: Header=BB468_8 Depth=1
	v_bfe_u32 v1, v0, 16, 1
	s_delay_alu instid0(VALU_DEP_1)
	v_add3_u32 v69, v0, v1, 0x7fff
                                        ; implicit-def: $vgpr0
; %bb.1146:                             ;   in Loop: Header=BB468_8 Depth=1
	s_and_not1_saveexec_b32 s3, s2
; %bb.1147:                             ;   in Loop: Header=BB468_8 Depth=1
	v_and_b32_e32 v1, 0xffff, v0
	v_or_b32_e32 v2, 0x10000, v0
	s_delay_alu instid0(VALU_DEP_2) | instskip(NEXT) | instid1(VALU_DEP_1)
	v_cmp_eq_u32_e64 s2, 0, v1
	v_cndmask_b32_e64 v69, v2, v0, s2
; %bb.1148:                             ;   in Loop: Header=BB468_8 Depth=1
	s_or_b32 exec_lo, exec_lo, s3
	v_mov_b32_e32 v1, 0
	s_mov_b32 s3, exec_lo
	v_cmpx_lt_u64_e64 s[4:5], v[30:31]
	s_cbranch_execz .LBB468_1156
; %bb.1149:                             ;   in Loop: Header=BB468_8 Depth=1
	v_lshrrev_b32_e32 v0, 24, v31
	v_bfrev_b32_e32 v1, 1
	s_mov_b32 s17, exec_lo
	s_delay_alu instid0(VALU_DEP_2)
	v_cmpx_ne_u32_e32 0x80, v0
	s_cbranch_execz .LBB468_1155
; %bb.1150:                             ;   in Loop: Header=BB468_8 Depth=1
	v_bfe_u32 v2, v31, 24, 7
	v_mov_b32_e32 v1, 0x7f800001
	s_mov_b32 s19, exec_lo
	s_delay_alu instid0(VALU_DEP_2)
	v_cmpx_ne_u32_e32 0x7f, v2
	s_cbranch_execz .LBB468_1154
; %bb.1151:                             ;   in Loop: Header=BB468_8 Depth=1
	v_and_b32_e32 v18, 7, v0
	v_lshrrev_b32_e32 v1, 3, v2
	v_mov_b32_e32 v31, v19
	s_mov_b32 s21, exec_lo
	s_delay_alu instid0(VALU_DEP_3)
	v_mov_b32_e32 v30, v18
	v_cmpx_gt_u32_e32 8, v2
; %bb.1152:                             ;   in Loop: Header=BB468_8 Depth=1
	v_clz_i32_u32_e32 v1, v18
	s_delay_alu instid0(VALU_DEP_1) | instskip(NEXT) | instid1(VALU_DEP_1)
	v_min_u32_e32 v1, 32, v1
	v_subrev_nc_u32_e32 v2, 28, v1
	v_sub_nc_u32_e32 v1, 29, v1
	s_delay_alu instid0(VALU_DEP_2) | instskip(NEXT) | instid1(VALU_DEP_1)
	v_lshlrev_b64 v[2:3], v2, v[18:19]
	v_and_b32_e32 v30, 7, v2
; %bb.1153:                             ;   in Loop: Header=BB468_8 Depth=1
	s_or_b32 exec_lo, exec_lo, s21
	v_lshlrev_b32_e32 v0, 24, v0
	s_delay_alu instid0(VALU_DEP_2) | instskip(SKIP_1) | instid1(VALU_DEP_3)
	v_lshlrev_b32_e32 v2, 20, v30
	v_lshl_add_u32 v1, v1, 23, 0x3c000000
	v_and_b32_e32 v0, 0x80000000, v0
	s_delay_alu instid0(VALU_DEP_1)
	v_or3_b32 v1, v2, v0, v1
.LBB468_1154:                           ;   in Loop: Header=BB468_8 Depth=1
	s_or_b32 exec_lo, exec_lo, s19
.LBB468_1155:                           ;   in Loop: Header=BB468_8 Depth=1
	s_delay_alu instid0(SALU_CYCLE_1)
	s_or_b32 exec_lo, exec_lo, s17
.LBB468_1156:                           ;   in Loop: Header=BB468_8 Depth=1
	s_delay_alu instid0(SALU_CYCLE_1) | instskip(NEXT) | instid1(VALU_DEP_1)
	s_or_b32 exec_lo, exec_lo, s3
	v_mul_f32_e32 v0, v79, v1
                                        ; implicit-def: $vgpr70
	s_delay_alu instid0(VALU_DEP_1) | instskip(NEXT) | instid1(VALU_DEP_1)
	v_and_b32_e32 v1, 0x7f800000, v0
	v_cmp_ne_u32_e64 s2, 0x7f800000, v1
	s_delay_alu instid0(VALU_DEP_1) | instskip(NEXT) | instid1(SALU_CYCLE_1)
	s_and_saveexec_b32 s3, s2
	s_xor_b32 s2, exec_lo, s3
; %bb.1157:                             ;   in Loop: Header=BB468_8 Depth=1
	v_bfe_u32 v1, v0, 16, 1
	s_delay_alu instid0(VALU_DEP_1)
	v_add3_u32 v70, v0, v1, 0x7fff
                                        ; implicit-def: $vgpr0
; %bb.1158:                             ;   in Loop: Header=BB468_8 Depth=1
	s_and_not1_saveexec_b32 s3, s2
; %bb.1159:                             ;   in Loop: Header=BB468_8 Depth=1
	v_and_b32_e32 v1, 0xffff, v0
	v_or_b32_e32 v2, 0x10000, v0
	s_delay_alu instid0(VALU_DEP_2) | instskip(NEXT) | instid1(VALU_DEP_1)
	v_cmp_eq_u32_e64 s2, 0, v1
	v_cndmask_b32_e64 v70, v2, v0, s2
; %bb.1160:                             ;   in Loop: Header=BB468_8 Depth=1
	s_or_b32 exec_lo, exec_lo, s3
	flat_load_b64 v[30:31], v[28:29] offset:3072
	s_mov_b32 s3, exec_lo
	s_waitcnt vmcnt(0) lgkmcnt(0)
	v_dual_mov_b32 v0, 0 :: v_dual_and_b32 v1, 0xff, v30
	s_delay_alu instid0(VALU_DEP_1)
	v_cmpx_ne_u16_e32 0, v1
	s_cbranch_execz .LBB468_1168
; %bb.1161:                             ;   in Loop: Header=BB468_8 Depth=1
	v_bfrev_b32_e32 v0, 1
	s_mov_b32 s17, exec_lo
	v_cmpx_ne_u16_e32 0x80, v1
	s_cbranch_execz .LBB468_1167
; %bb.1162:                             ;   in Loop: Header=BB468_8 Depth=1
	v_and_b32_e32 v1, 0x7f, v30
	v_mov_b32_e32 v0, 0x7f800001
	s_mov_b32 s19, exec_lo
	s_delay_alu instid0(VALU_DEP_2)
	v_cmpx_ne_u32_e32 0x7f, v1
	s_cbranch_execz .LBB468_1166
; %bb.1163:                             ;   in Loop: Header=BB468_8 Depth=1
	v_lshrrev_b32_e32 v0, 3, v1
	v_dual_mov_b32 v33, v31 :: v_dual_mov_b32 v32, v30
	s_mov_b32 s21, exec_lo
	v_cmpx_gt_u32_e32 8, v1
; %bb.1164:                             ;   in Loop: Header=BB468_8 Depth=1
	v_and_b32_e32 v0, 7, v30
	s_delay_alu instid0(VALU_DEP_1) | instskip(NEXT) | instid1(VALU_DEP_1)
	v_clz_i32_u32_e32 v0, v0
	v_min_u32_e32 v0, 32, v0
	s_delay_alu instid0(VALU_DEP_1) | instskip(SKIP_1) | instid1(VALU_DEP_2)
	v_subrev_nc_u32_e32 v1, 28, v0
	v_sub_nc_u32_e32 v0, 29, v0
	v_lshlrev_b64 v[32:33], v1, v[30:31]
; %bb.1165:                             ;   in Loop: Header=BB468_8 Depth=1
	s_or_b32 exec_lo, exec_lo, s21
	s_delay_alu instid0(VALU_DEP_1) | instskip(SKIP_2) | instid1(VALU_DEP_3)
	v_lshlrev_b32_e32 v1, 20, v32
	v_lshlrev_b32_e32 v2, 24, v30
	v_lshl_add_u32 v0, v0, 23, 0x3c000000
	v_and_b32_e32 v1, 0x700000, v1
	s_delay_alu instid0(VALU_DEP_3) | instskip(NEXT) | instid1(VALU_DEP_1)
	v_and_b32_e32 v2, 0x80000000, v2
	v_or3_b32 v0, v1, v2, v0
.LBB468_1166:                           ;   in Loop: Header=BB468_8 Depth=1
	s_or_b32 exec_lo, exec_lo, s19
.LBB468_1167:                           ;   in Loop: Header=BB468_8 Depth=1
	s_delay_alu instid0(SALU_CYCLE_1)
	s_or_b32 exec_lo, exec_lo, s17
.LBB468_1168:                           ;   in Loop: Header=BB468_8 Depth=1
	s_delay_alu instid0(SALU_CYCLE_1) | instskip(NEXT) | instid1(VALU_DEP_1)
	s_or_b32 exec_lo, exec_lo, s3
	v_mul_f32_e32 v0, v79, v0
                                        ; implicit-def: $vgpr71
	s_delay_alu instid0(VALU_DEP_1) | instskip(NEXT) | instid1(VALU_DEP_1)
	v_and_b32_e32 v1, 0x7f800000, v0
	v_cmp_ne_u32_e64 s2, 0x7f800000, v1
	s_delay_alu instid0(VALU_DEP_1) | instskip(NEXT) | instid1(SALU_CYCLE_1)
	s_and_saveexec_b32 s3, s2
	s_xor_b32 s2, exec_lo, s3
; %bb.1169:                             ;   in Loop: Header=BB468_8 Depth=1
	v_bfe_u32 v1, v0, 16, 1
	s_delay_alu instid0(VALU_DEP_1)
	v_add3_u32 v71, v0, v1, 0x7fff
                                        ; implicit-def: $vgpr0
; %bb.1170:                             ;   in Loop: Header=BB468_8 Depth=1
	s_and_not1_saveexec_b32 s3, s2
; %bb.1171:                             ;   in Loop: Header=BB468_8 Depth=1
	v_and_b32_e32 v1, 0xffff, v0
	v_or_b32_e32 v2, 0x10000, v0
	s_delay_alu instid0(VALU_DEP_2) | instskip(NEXT) | instid1(VALU_DEP_1)
	v_cmp_eq_u32_e64 s2, 0, v1
	v_cndmask_b32_e64 v71, v2, v0, s2
; %bb.1172:                             ;   in Loop: Header=BB468_8 Depth=1
	s_or_b32 exec_lo, exec_lo, s3
	v_lshrrev_b16 v1, 8, v30
	v_mov_b32_e32 v0, 0
	s_mov_b32 s3, exec_lo
	s_delay_alu instid0(VALU_DEP_2)
	v_cmpx_ne_u16_e32 0, v1
	s_cbranch_execz .LBB468_1180
; %bb.1173:                             ;   in Loop: Header=BB468_8 Depth=1
	v_bfrev_b32_e32 v0, 1
	s_mov_b32 s17, exec_lo
	v_cmpx_ne_u16_e32 0x80, v1
	s_cbranch_execz .LBB468_1179
; %bb.1174:                             ;   in Loop: Header=BB468_8 Depth=1
	v_and_b32_e32 v2, 0xffff, v1
	v_mov_b32_e32 v0, 0x7f800001
	s_mov_b32 s19, exec_lo
	s_delay_alu instid0(VALU_DEP_2) | instskip(NEXT) | instid1(VALU_DEP_1)
	v_and_b32_e32 v1, 0x7f, v2
	v_cmpx_ne_u32_e32 0x7f, v1
	s_cbranch_execz .LBB468_1178
; %bb.1175:                             ;   in Loop: Header=BB468_8 Depth=1
	v_and_b32_e32 v18, 7, v2
	v_lshrrev_b32_e32 v0, 3, v1
	v_mov_b32_e32 v33, v19
	s_mov_b32 s21, exec_lo
	s_delay_alu instid0(VALU_DEP_3)
	v_mov_b32_e32 v32, v18
	v_cmpx_gt_u32_e32 8, v1
; %bb.1176:                             ;   in Loop: Header=BB468_8 Depth=1
	v_clz_i32_u32_e32 v0, v18
	s_delay_alu instid0(VALU_DEP_1) | instskip(NEXT) | instid1(VALU_DEP_1)
	v_min_u32_e32 v0, 32, v0
	v_subrev_nc_u32_e32 v1, 28, v0
	v_sub_nc_u32_e32 v0, 29, v0
	s_delay_alu instid0(VALU_DEP_2) | instskip(NEXT) | instid1(VALU_DEP_1)
	v_lshlrev_b64 v[1:2], v1, v[18:19]
	v_and_b32_e32 v32, 7, v1
; %bb.1177:                             ;   in Loop: Header=BB468_8 Depth=1
	s_or_b32 exec_lo, exec_lo, s21
	v_lshlrev_b32_e32 v1, 16, v30
	s_delay_alu instid0(VALU_DEP_2) | instskip(SKIP_1) | instid1(VALU_DEP_3)
	v_lshlrev_b32_e32 v2, 20, v32
	v_lshl_add_u32 v0, v0, 23, 0x3c000000
	v_and_b32_e32 v1, 0x80000000, v1
	s_delay_alu instid0(VALU_DEP_1)
	v_or3_b32 v0, v2, v1, v0
.LBB468_1178:                           ;   in Loop: Header=BB468_8 Depth=1
	s_or_b32 exec_lo, exec_lo, s19
.LBB468_1179:                           ;   in Loop: Header=BB468_8 Depth=1
	s_delay_alu instid0(SALU_CYCLE_1)
	s_or_b32 exec_lo, exec_lo, s17
.LBB468_1180:                           ;   in Loop: Header=BB468_8 Depth=1
	s_delay_alu instid0(SALU_CYCLE_1) | instskip(NEXT) | instid1(VALU_DEP_1)
	s_or_b32 exec_lo, exec_lo, s3
	v_mul_f32_e32 v0, v79, v0
                                        ; implicit-def: $vgpr22
	s_delay_alu instid0(VALU_DEP_1) | instskip(NEXT) | instid1(VALU_DEP_1)
	v_and_b32_e32 v1, 0x7f800000, v0
	v_cmp_ne_u32_e64 s2, 0x7f800000, v1
	s_delay_alu instid0(VALU_DEP_1) | instskip(NEXT) | instid1(SALU_CYCLE_1)
	s_and_saveexec_b32 s3, s2
	s_xor_b32 s2, exec_lo, s3
; %bb.1181:                             ;   in Loop: Header=BB468_8 Depth=1
	v_bfe_u32 v1, v0, 16, 1
	s_delay_alu instid0(VALU_DEP_1)
	v_add3_u32 v22, v0, v1, 0x7fff
                                        ; implicit-def: $vgpr0
; %bb.1182:                             ;   in Loop: Header=BB468_8 Depth=1
	s_and_not1_saveexec_b32 s3, s2
; %bb.1183:                             ;   in Loop: Header=BB468_8 Depth=1
	v_and_b32_e32 v1, 0xffff, v0
	v_or_b32_e32 v2, 0x10000, v0
	s_delay_alu instid0(VALU_DEP_2) | instskip(NEXT) | instid1(VALU_DEP_1)
	v_cmp_eq_u32_e64 s2, 0, v1
	v_cndmask_b32_e64 v22, v2, v0, s2
; %bb.1184:                             ;   in Loop: Header=BB468_8 Depth=1
	s_or_b32 exec_lo, exec_lo, s3
	v_lshrrev_b32_e32 v0, 16, v30
	s_mov_b32 s3, exec_lo
	s_delay_alu instid0(VALU_DEP_1) | instskip(NEXT) | instid1(VALU_DEP_1)
	v_dual_mov_b32 v1, 0 :: v_dual_and_b32 v2, 0xff, v0
	v_cmpx_ne_u16_e32 0, v2
	s_cbranch_execz .LBB468_1192
; %bb.1185:                             ;   in Loop: Header=BB468_8 Depth=1
	v_bfrev_b32_e32 v1, 1
	s_mov_b32 s17, exec_lo
	v_cmpx_ne_u16_e32 0x80, v2
	s_cbranch_execz .LBB468_1191
; %bb.1186:                             ;   in Loop: Header=BB468_8 Depth=1
	v_bfe_u32 v2, v30, 16, 7
	v_mov_b32_e32 v1, 0x7f800001
	s_mov_b32 s19, exec_lo
	s_delay_alu instid0(VALU_DEP_2)
	v_cmpx_ne_u32_e32 0x7f, v2
	s_cbranch_execz .LBB468_1190
; %bb.1187:                             ;   in Loop: Header=BB468_8 Depth=1
	v_and_b32_e32 v18, 7, v0
	v_lshrrev_b32_e32 v1, 3, v2
	v_mov_b32_e32 v33, v19
	s_mov_b32 s21, exec_lo
	s_delay_alu instid0(VALU_DEP_3)
	v_mov_b32_e32 v32, v18
	v_cmpx_gt_u32_e32 8, v2
; %bb.1188:                             ;   in Loop: Header=BB468_8 Depth=1
	v_clz_i32_u32_e32 v1, v18
	s_delay_alu instid0(VALU_DEP_1) | instskip(NEXT) | instid1(VALU_DEP_1)
	v_min_u32_e32 v1, 32, v1
	v_subrev_nc_u32_e32 v2, 28, v1
	v_sub_nc_u32_e32 v1, 29, v1
	s_delay_alu instid0(VALU_DEP_2) | instskip(NEXT) | instid1(VALU_DEP_1)
	v_lshlrev_b64 v[2:3], v2, v[18:19]
	v_and_b32_e32 v32, 7, v2
; %bb.1189:                             ;   in Loop: Header=BB468_8 Depth=1
	s_or_b32 exec_lo, exec_lo, s21
	v_lshlrev_b32_e32 v0, 24, v0
	s_delay_alu instid0(VALU_DEP_2) | instskip(SKIP_1) | instid1(VALU_DEP_3)
	v_lshlrev_b32_e32 v2, 20, v32
	v_lshl_add_u32 v1, v1, 23, 0x3c000000
	v_and_b32_e32 v0, 0x80000000, v0
	s_delay_alu instid0(VALU_DEP_1)
	v_or3_b32 v1, v2, v0, v1
.LBB468_1190:                           ;   in Loop: Header=BB468_8 Depth=1
	s_or_b32 exec_lo, exec_lo, s19
.LBB468_1191:                           ;   in Loop: Header=BB468_8 Depth=1
	s_delay_alu instid0(SALU_CYCLE_1)
	s_or_b32 exec_lo, exec_lo, s17
.LBB468_1192:                           ;   in Loop: Header=BB468_8 Depth=1
	s_delay_alu instid0(SALU_CYCLE_1) | instskip(NEXT) | instid1(VALU_DEP_1)
	s_or_b32 exec_lo, exec_lo, s3
	v_mul_f32_e32 v0, v79, v1
                                        ; implicit-def: $vgpr80
	s_delay_alu instid0(VALU_DEP_1) | instskip(NEXT) | instid1(VALU_DEP_1)
	v_and_b32_e32 v1, 0x7f800000, v0
	v_cmp_ne_u32_e64 s2, 0x7f800000, v1
	s_delay_alu instid0(VALU_DEP_1) | instskip(NEXT) | instid1(SALU_CYCLE_1)
	s_and_saveexec_b32 s3, s2
	s_xor_b32 s2, exec_lo, s3
; %bb.1193:                             ;   in Loop: Header=BB468_8 Depth=1
	v_bfe_u32 v1, v0, 16, 1
	s_delay_alu instid0(VALU_DEP_1)
	v_add3_u32 v80, v0, v1, 0x7fff
                                        ; implicit-def: $vgpr0
; %bb.1194:                             ;   in Loop: Header=BB468_8 Depth=1
	s_and_not1_saveexec_b32 s3, s2
; %bb.1195:                             ;   in Loop: Header=BB468_8 Depth=1
	v_and_b32_e32 v1, 0xffff, v0
	v_or_b32_e32 v2, 0x10000, v0
	s_delay_alu instid0(VALU_DEP_2) | instskip(NEXT) | instid1(VALU_DEP_1)
	v_cmp_eq_u32_e64 s2, 0, v1
	v_cndmask_b32_e64 v80, v2, v0, s2
; %bb.1196:                             ;   in Loop: Header=BB468_8 Depth=1
	s_or_b32 exec_lo, exec_lo, s3
	v_mov_b32_e32 v1, 0
	s_mov_b32 s3, exec_lo
	v_cmpx_lt_u32_e32 0xffffff, v30
	s_cbranch_execz .LBB468_1204
; %bb.1197:                             ;   in Loop: Header=BB468_8 Depth=1
	v_lshrrev_b32_e32 v0, 24, v30
	v_bfrev_b32_e32 v1, 1
	s_mov_b32 s17, exec_lo
	s_delay_alu instid0(VALU_DEP_2)
	v_cmpx_ne_u32_e32 0x80, v0
	s_cbranch_execz .LBB468_1203
; %bb.1198:                             ;   in Loop: Header=BB468_8 Depth=1
	v_bfe_u32 v2, v30, 24, 7
	v_mov_b32_e32 v1, 0x7f800001
	s_mov_b32 s19, exec_lo
	s_delay_alu instid0(VALU_DEP_2)
	v_cmpx_ne_u32_e32 0x7f, v2
	s_cbranch_execz .LBB468_1202
; %bb.1199:                             ;   in Loop: Header=BB468_8 Depth=1
	v_and_b32_e32 v18, 7, v0
	v_lshrrev_b32_e32 v1, 3, v2
	v_mov_b32_e32 v33, v19
	s_mov_b32 s21, exec_lo
	s_delay_alu instid0(VALU_DEP_3)
	v_mov_b32_e32 v32, v18
	v_cmpx_gt_u32_e32 8, v2
; %bb.1200:                             ;   in Loop: Header=BB468_8 Depth=1
	v_clz_i32_u32_e32 v1, v18
	s_delay_alu instid0(VALU_DEP_1) | instskip(NEXT) | instid1(VALU_DEP_1)
	v_min_u32_e32 v1, 32, v1
	v_subrev_nc_u32_e32 v2, 28, v1
	v_sub_nc_u32_e32 v1, 29, v1
	s_delay_alu instid0(VALU_DEP_2) | instskip(NEXT) | instid1(VALU_DEP_1)
	v_lshlrev_b64 v[2:3], v2, v[18:19]
	v_and_b32_e32 v32, 7, v2
; %bb.1201:                             ;   in Loop: Header=BB468_8 Depth=1
	s_or_b32 exec_lo, exec_lo, s21
	v_lshlrev_b32_e32 v0, 24, v0
	s_delay_alu instid0(VALU_DEP_2) | instskip(SKIP_1) | instid1(VALU_DEP_3)
	v_lshlrev_b32_e32 v2, 20, v32
	v_lshl_add_u32 v1, v1, 23, 0x3c000000
	v_and_b32_e32 v0, 0x80000000, v0
	s_delay_alu instid0(VALU_DEP_1)
	v_or3_b32 v1, v2, v0, v1
.LBB468_1202:                           ;   in Loop: Header=BB468_8 Depth=1
	s_or_b32 exec_lo, exec_lo, s19
.LBB468_1203:                           ;   in Loop: Header=BB468_8 Depth=1
	s_delay_alu instid0(SALU_CYCLE_1)
	s_or_b32 exec_lo, exec_lo, s17
.LBB468_1204:                           ;   in Loop: Header=BB468_8 Depth=1
	s_delay_alu instid0(SALU_CYCLE_1) | instskip(NEXT) | instid1(VALU_DEP_1)
	s_or_b32 exec_lo, exec_lo, s3
	v_mul_f32_e32 v0, v79, v1
                                        ; implicit-def: $vgpr81
	s_delay_alu instid0(VALU_DEP_1) | instskip(NEXT) | instid1(VALU_DEP_1)
	v_and_b32_e32 v1, 0x7f800000, v0
	v_cmp_ne_u32_e64 s2, 0x7f800000, v1
	s_delay_alu instid0(VALU_DEP_1) | instskip(NEXT) | instid1(SALU_CYCLE_1)
	s_and_saveexec_b32 s3, s2
	s_xor_b32 s2, exec_lo, s3
; %bb.1205:                             ;   in Loop: Header=BB468_8 Depth=1
	v_bfe_u32 v1, v0, 16, 1
	s_delay_alu instid0(VALU_DEP_1)
	v_add3_u32 v81, v0, v1, 0x7fff
                                        ; implicit-def: $vgpr0
; %bb.1206:                             ;   in Loop: Header=BB468_8 Depth=1
	s_and_not1_saveexec_b32 s3, s2
; %bb.1207:                             ;   in Loop: Header=BB468_8 Depth=1
	v_and_b32_e32 v1, 0xffff, v0
	v_or_b32_e32 v2, 0x10000, v0
	s_delay_alu instid0(VALU_DEP_2) | instskip(NEXT) | instid1(VALU_DEP_1)
	v_cmp_eq_u32_e64 s2, 0, v1
	v_cndmask_b32_e64 v81, v2, v0, s2
; %bb.1208:                             ;   in Loop: Header=BB468_8 Depth=1
	s_or_b32 exec_lo, exec_lo, s3
	v_dual_mov_b32 v18, v31 :: v_dual_and_b32 v1, 0xff, v31
	v_mov_b32_e32 v0, 0
	s_mov_b32 s3, exec_lo
	s_delay_alu instid0(VALU_DEP_2)
	v_cmpx_ne_u16_e32 0, v1
	s_cbranch_execz .LBB468_1216
; %bb.1209:                             ;   in Loop: Header=BB468_8 Depth=1
	v_bfrev_b32_e32 v0, 1
	s_mov_b32 s17, exec_lo
	v_cmpx_ne_u16_e32 0x80, v1
	s_cbranch_execz .LBB468_1215
; %bb.1210:                             ;   in Loop: Header=BB468_8 Depth=1
	v_and_b32_e32 v1, 0x7f, v31
	v_mov_b32_e32 v0, 0x7f800001
	s_mov_b32 s19, exec_lo
	s_delay_alu instid0(VALU_DEP_2)
	v_cmpx_ne_u32_e32 0x7f, v1
	s_cbranch_execz .LBB468_1214
; %bb.1211:                             ;   in Loop: Header=BB468_8 Depth=1
	v_lshrrev_b32_e32 v0, 3, v1
	v_dual_mov_b32 v33, v19 :: v_dual_mov_b32 v32, v18
	s_mov_b32 s21, exec_lo
	v_cmpx_gt_u32_e32 8, v1
; %bb.1212:                             ;   in Loop: Header=BB468_8 Depth=1
	v_and_b32_e32 v0, 7, v31
	s_delay_alu instid0(VALU_DEP_1) | instskip(NEXT) | instid1(VALU_DEP_1)
	v_clz_i32_u32_e32 v0, v0
	v_min_u32_e32 v0, 32, v0
	s_delay_alu instid0(VALU_DEP_1) | instskip(SKIP_1) | instid1(VALU_DEP_2)
	v_subrev_nc_u32_e32 v1, 28, v0
	v_sub_nc_u32_e32 v0, 29, v0
	v_lshlrev_b64 v[32:33], v1, v[18:19]
; %bb.1213:                             ;   in Loop: Header=BB468_8 Depth=1
	s_or_b32 exec_lo, exec_lo, s21
	s_delay_alu instid0(VALU_DEP_1) | instskip(SKIP_2) | instid1(VALU_DEP_3)
	v_lshlrev_b32_e32 v1, 20, v32
	v_lshlrev_b32_e32 v2, 24, v18
	v_lshl_add_u32 v0, v0, 23, 0x3c000000
	v_and_b32_e32 v1, 0x700000, v1
	s_delay_alu instid0(VALU_DEP_3) | instskip(NEXT) | instid1(VALU_DEP_1)
	v_and_b32_e32 v2, 0x80000000, v2
	v_or3_b32 v0, v1, v2, v0
.LBB468_1214:                           ;   in Loop: Header=BB468_8 Depth=1
	s_or_b32 exec_lo, exec_lo, s19
.LBB468_1215:                           ;   in Loop: Header=BB468_8 Depth=1
	s_delay_alu instid0(SALU_CYCLE_1)
	s_or_b32 exec_lo, exec_lo, s17
.LBB468_1216:                           ;   in Loop: Header=BB468_8 Depth=1
	s_delay_alu instid0(SALU_CYCLE_1) | instskip(NEXT) | instid1(VALU_DEP_1)
	s_or_b32 exec_lo, exec_lo, s3
	v_mul_f32_e32 v0, v79, v0
                                        ; implicit-def: $vgpr82
	s_delay_alu instid0(VALU_DEP_1) | instskip(NEXT) | instid1(VALU_DEP_1)
	v_and_b32_e32 v1, 0x7f800000, v0
	v_cmp_ne_u32_e64 s2, 0x7f800000, v1
	s_delay_alu instid0(VALU_DEP_1) | instskip(NEXT) | instid1(SALU_CYCLE_1)
	s_and_saveexec_b32 s3, s2
	s_xor_b32 s2, exec_lo, s3
; %bb.1217:                             ;   in Loop: Header=BB468_8 Depth=1
	v_bfe_u32 v1, v0, 16, 1
	s_delay_alu instid0(VALU_DEP_1)
	v_add3_u32 v82, v0, v1, 0x7fff
                                        ; implicit-def: $vgpr0
; %bb.1218:                             ;   in Loop: Header=BB468_8 Depth=1
	s_and_not1_saveexec_b32 s3, s2
; %bb.1219:                             ;   in Loop: Header=BB468_8 Depth=1
	v_and_b32_e32 v1, 0xffff, v0
	v_or_b32_e32 v2, 0x10000, v0
	s_delay_alu instid0(VALU_DEP_2) | instskip(NEXT) | instid1(VALU_DEP_1)
	v_cmp_eq_u32_e64 s2, 0, v1
	v_cndmask_b32_e64 v82, v2, v0, s2
; %bb.1220:                             ;   in Loop: Header=BB468_8 Depth=1
	s_or_b32 exec_lo, exec_lo, s3
	v_lshrrev_b16 v1, 8, v18
	v_mov_b32_e32 v0, 0
	s_mov_b32 s3, exec_lo
	s_delay_alu instid0(VALU_DEP_2)
	v_cmpx_ne_u16_e32 0, v1
	s_cbranch_execz .LBB468_1228
; %bb.1221:                             ;   in Loop: Header=BB468_8 Depth=1
	v_bfrev_b32_e32 v0, 1
	s_mov_b32 s17, exec_lo
	v_cmpx_ne_u16_e32 0x80, v1
	s_cbranch_execz .LBB468_1227
; %bb.1222:                             ;   in Loop: Header=BB468_8 Depth=1
	v_and_b32_e32 v2, 0xffff, v1
	v_mov_b32_e32 v0, 0x7f800001
	s_mov_b32 s19, exec_lo
	s_delay_alu instid0(VALU_DEP_2) | instskip(NEXT) | instid1(VALU_DEP_1)
	v_and_b32_e32 v1, 0x7f, v2
	v_cmpx_ne_u32_e32 0x7f, v1
	s_cbranch_execz .LBB468_1226
; %bb.1223:                             ;   in Loop: Header=BB468_8 Depth=1
	v_dual_mov_b32 v33, v19 :: v_dual_and_b32 v32, 7, v2
	v_lshrrev_b32_e32 v0, 3, v1
	s_mov_b32 s21, exec_lo
	v_cmpx_gt_u32_e32 8, v1
; %bb.1224:                             ;   in Loop: Header=BB468_8 Depth=1
	s_delay_alu instid0(VALU_DEP_3) | instskip(NEXT) | instid1(VALU_DEP_1)
	v_clz_i32_u32_e32 v0, v32
	v_min_u32_e32 v0, 32, v0
	s_delay_alu instid0(VALU_DEP_1) | instskip(SKIP_1) | instid1(VALU_DEP_2)
	v_subrev_nc_u32_e32 v1, 28, v0
	v_sub_nc_u32_e32 v0, 29, v0
	v_lshlrev_b64 v[1:2], v1, v[32:33]
	s_delay_alu instid0(VALU_DEP_1)
	v_and_b32_e32 v32, 7, v1
; %bb.1225:                             ;   in Loop: Header=BB468_8 Depth=1
	s_or_b32 exec_lo, exec_lo, s21
	v_lshlrev_b32_e32 v1, 16, v18
	s_delay_alu instid0(VALU_DEP_2) | instskip(SKIP_1) | instid1(VALU_DEP_3)
	v_lshlrev_b32_e32 v2, 20, v32
	v_lshl_add_u32 v0, v0, 23, 0x3c000000
	v_and_b32_e32 v1, 0x80000000, v1
	s_delay_alu instid0(VALU_DEP_1)
	v_or3_b32 v0, v2, v1, v0
.LBB468_1226:                           ;   in Loop: Header=BB468_8 Depth=1
	s_or_b32 exec_lo, exec_lo, s19
.LBB468_1227:                           ;   in Loop: Header=BB468_8 Depth=1
	s_delay_alu instid0(SALU_CYCLE_1)
	s_or_b32 exec_lo, exec_lo, s17
.LBB468_1228:                           ;   in Loop: Header=BB468_8 Depth=1
	s_delay_alu instid0(SALU_CYCLE_1) | instskip(NEXT) | instid1(VALU_DEP_1)
	s_or_b32 exec_lo, exec_lo, s3
	v_mul_f32_e32 v0, v79, v0
                                        ; implicit-def: $vgpr83
	s_delay_alu instid0(VALU_DEP_1) | instskip(NEXT) | instid1(VALU_DEP_1)
	v_and_b32_e32 v1, 0x7f800000, v0
	v_cmp_ne_u32_e64 s2, 0x7f800000, v1
	s_delay_alu instid0(VALU_DEP_1) | instskip(NEXT) | instid1(SALU_CYCLE_1)
	s_and_saveexec_b32 s3, s2
	s_xor_b32 s2, exec_lo, s3
; %bb.1229:                             ;   in Loop: Header=BB468_8 Depth=1
	v_bfe_u32 v1, v0, 16, 1
	s_delay_alu instid0(VALU_DEP_1)
	v_add3_u32 v83, v0, v1, 0x7fff
                                        ; implicit-def: $vgpr0
; %bb.1230:                             ;   in Loop: Header=BB468_8 Depth=1
	s_and_not1_saveexec_b32 s3, s2
; %bb.1231:                             ;   in Loop: Header=BB468_8 Depth=1
	v_and_b32_e32 v1, 0xffff, v0
	v_or_b32_e32 v2, 0x10000, v0
	s_delay_alu instid0(VALU_DEP_2) | instskip(NEXT) | instid1(VALU_DEP_1)
	v_cmp_eq_u32_e64 s2, 0, v1
	v_cndmask_b32_e64 v83, v2, v0, s2
; %bb.1232:                             ;   in Loop: Header=BB468_8 Depth=1
	s_or_b32 exec_lo, exec_lo, s3
	v_lshrrev_b32_e32 v0, 16, v31
	s_mov_b32 s3, exec_lo
	s_delay_alu instid0(VALU_DEP_1) | instskip(NEXT) | instid1(VALU_DEP_1)
	v_dual_mov_b32 v1, 0 :: v_dual_and_b32 v2, 0xff, v0
	v_cmpx_ne_u16_e32 0, v2
	s_cbranch_execz .LBB468_1240
; %bb.1233:                             ;   in Loop: Header=BB468_8 Depth=1
	v_bfrev_b32_e32 v1, 1
	s_mov_b32 s17, exec_lo
	v_cmpx_ne_u16_e32 0x80, v2
	s_cbranch_execz .LBB468_1239
; %bb.1234:                             ;   in Loop: Header=BB468_8 Depth=1
	v_bfe_u32 v2, v31, 16, 7
	v_mov_b32_e32 v1, 0x7f800001
	s_mov_b32 s19, exec_lo
	s_delay_alu instid0(VALU_DEP_2)
	v_cmpx_ne_u32_e32 0x7f, v2
	s_cbranch_execz .LBB468_1238
; %bb.1235:                             ;   in Loop: Header=BB468_8 Depth=1
	v_and_b32_e32 v18, 7, v0
	v_lshrrev_b32_e32 v1, 3, v2
	v_mov_b32_e32 v33, v19
	s_mov_b32 s21, exec_lo
	s_delay_alu instid0(VALU_DEP_3)
	v_mov_b32_e32 v32, v18
	v_cmpx_gt_u32_e32 8, v2
; %bb.1236:                             ;   in Loop: Header=BB468_8 Depth=1
	v_clz_i32_u32_e32 v1, v18
	s_delay_alu instid0(VALU_DEP_1) | instskip(NEXT) | instid1(VALU_DEP_1)
	v_min_u32_e32 v1, 32, v1
	v_subrev_nc_u32_e32 v2, 28, v1
	v_sub_nc_u32_e32 v1, 29, v1
	s_delay_alu instid0(VALU_DEP_2) | instskip(NEXT) | instid1(VALU_DEP_1)
	v_lshlrev_b64 v[2:3], v2, v[18:19]
	v_and_b32_e32 v32, 7, v2
; %bb.1237:                             ;   in Loop: Header=BB468_8 Depth=1
	s_or_b32 exec_lo, exec_lo, s21
	v_lshlrev_b32_e32 v0, 24, v0
	s_delay_alu instid0(VALU_DEP_2) | instskip(SKIP_1) | instid1(VALU_DEP_3)
	v_lshlrev_b32_e32 v2, 20, v32
	v_lshl_add_u32 v1, v1, 23, 0x3c000000
	v_and_b32_e32 v0, 0x80000000, v0
	s_delay_alu instid0(VALU_DEP_1)
	v_or3_b32 v1, v2, v0, v1
.LBB468_1238:                           ;   in Loop: Header=BB468_8 Depth=1
	s_or_b32 exec_lo, exec_lo, s19
.LBB468_1239:                           ;   in Loop: Header=BB468_8 Depth=1
	s_delay_alu instid0(SALU_CYCLE_1)
	s_or_b32 exec_lo, exec_lo, s17
.LBB468_1240:                           ;   in Loop: Header=BB468_8 Depth=1
	s_delay_alu instid0(SALU_CYCLE_1) | instskip(NEXT) | instid1(VALU_DEP_1)
	s_or_b32 exec_lo, exec_lo, s3
	v_mul_f32_e32 v0, v79, v1
                                        ; implicit-def: $vgpr84
	s_delay_alu instid0(VALU_DEP_1) | instskip(NEXT) | instid1(VALU_DEP_1)
	v_and_b32_e32 v1, 0x7f800000, v0
	v_cmp_ne_u32_e64 s2, 0x7f800000, v1
	s_delay_alu instid0(VALU_DEP_1) | instskip(NEXT) | instid1(SALU_CYCLE_1)
	s_and_saveexec_b32 s3, s2
	s_xor_b32 s2, exec_lo, s3
; %bb.1241:                             ;   in Loop: Header=BB468_8 Depth=1
	v_bfe_u32 v1, v0, 16, 1
	s_delay_alu instid0(VALU_DEP_1)
	v_add3_u32 v84, v0, v1, 0x7fff
                                        ; implicit-def: $vgpr0
; %bb.1242:                             ;   in Loop: Header=BB468_8 Depth=1
	s_and_not1_saveexec_b32 s3, s2
; %bb.1243:                             ;   in Loop: Header=BB468_8 Depth=1
	v_and_b32_e32 v1, 0xffff, v0
	v_or_b32_e32 v2, 0x10000, v0
	s_delay_alu instid0(VALU_DEP_2) | instskip(NEXT) | instid1(VALU_DEP_1)
	v_cmp_eq_u32_e64 s2, 0, v1
	v_cndmask_b32_e64 v84, v2, v0, s2
; %bb.1244:                             ;   in Loop: Header=BB468_8 Depth=1
	s_or_b32 exec_lo, exec_lo, s3
	v_mov_b32_e32 v1, 0
	s_mov_b32 s3, exec_lo
	v_cmpx_lt_u64_e64 s[4:5], v[30:31]
	s_cbranch_execz .LBB468_1252
; %bb.1245:                             ;   in Loop: Header=BB468_8 Depth=1
	v_lshrrev_b32_e32 v0, 24, v31
	v_bfrev_b32_e32 v1, 1
	s_mov_b32 s17, exec_lo
	s_delay_alu instid0(VALU_DEP_2)
	v_cmpx_ne_u32_e32 0x80, v0
	s_cbranch_execz .LBB468_1251
; %bb.1246:                             ;   in Loop: Header=BB468_8 Depth=1
	v_bfe_u32 v2, v31, 24, 7
	v_mov_b32_e32 v1, 0x7f800001
	s_mov_b32 s19, exec_lo
	s_delay_alu instid0(VALU_DEP_2)
	v_cmpx_ne_u32_e32 0x7f, v2
	s_cbranch_execz .LBB468_1250
; %bb.1247:                             ;   in Loop: Header=BB468_8 Depth=1
	v_and_b32_e32 v18, 7, v0
	v_lshrrev_b32_e32 v1, 3, v2
	v_mov_b32_e32 v31, v19
	s_mov_b32 s21, exec_lo
	s_delay_alu instid0(VALU_DEP_3)
	v_mov_b32_e32 v30, v18
	v_cmpx_gt_u32_e32 8, v2
; %bb.1248:                             ;   in Loop: Header=BB468_8 Depth=1
	v_clz_i32_u32_e32 v1, v18
	s_delay_alu instid0(VALU_DEP_1) | instskip(NEXT) | instid1(VALU_DEP_1)
	v_min_u32_e32 v1, 32, v1
	v_subrev_nc_u32_e32 v2, 28, v1
	v_sub_nc_u32_e32 v1, 29, v1
	s_delay_alu instid0(VALU_DEP_2) | instskip(NEXT) | instid1(VALU_DEP_1)
	v_lshlrev_b64 v[2:3], v2, v[18:19]
	v_and_b32_e32 v30, 7, v2
; %bb.1249:                             ;   in Loop: Header=BB468_8 Depth=1
	s_or_b32 exec_lo, exec_lo, s21
	v_lshlrev_b32_e32 v0, 24, v0
	s_delay_alu instid0(VALU_DEP_2) | instskip(SKIP_1) | instid1(VALU_DEP_3)
	v_lshlrev_b32_e32 v2, 20, v30
	v_lshl_add_u32 v1, v1, 23, 0x3c000000
	v_and_b32_e32 v0, 0x80000000, v0
	s_delay_alu instid0(VALU_DEP_1)
	v_or3_b32 v1, v2, v0, v1
.LBB468_1250:                           ;   in Loop: Header=BB468_8 Depth=1
	s_or_b32 exec_lo, exec_lo, s19
.LBB468_1251:                           ;   in Loop: Header=BB468_8 Depth=1
	s_delay_alu instid0(SALU_CYCLE_1)
	s_or_b32 exec_lo, exec_lo, s17
.LBB468_1252:                           ;   in Loop: Header=BB468_8 Depth=1
	s_delay_alu instid0(SALU_CYCLE_1) | instskip(NEXT) | instid1(VALU_DEP_1)
	s_or_b32 exec_lo, exec_lo, s3
	v_mul_f32_e32 v0, v79, v1
                                        ; implicit-def: $vgpr96
	s_delay_alu instid0(VALU_DEP_1) | instskip(NEXT) | instid1(VALU_DEP_1)
	v_and_b32_e32 v1, 0x7f800000, v0
	v_cmp_ne_u32_e64 s2, 0x7f800000, v1
	s_delay_alu instid0(VALU_DEP_1) | instskip(NEXT) | instid1(SALU_CYCLE_1)
	s_and_saveexec_b32 s3, s2
	s_xor_b32 s2, exec_lo, s3
; %bb.1253:                             ;   in Loop: Header=BB468_8 Depth=1
	v_bfe_u32 v1, v0, 16, 1
	s_delay_alu instid0(VALU_DEP_1)
	v_add3_u32 v96, v0, v1, 0x7fff
                                        ; implicit-def: $vgpr0
; %bb.1254:                             ;   in Loop: Header=BB468_8 Depth=1
	s_and_not1_saveexec_b32 s3, s2
; %bb.1255:                             ;   in Loop: Header=BB468_8 Depth=1
	v_and_b32_e32 v1, 0xffff, v0
	v_or_b32_e32 v2, 0x10000, v0
	s_delay_alu instid0(VALU_DEP_2) | instskip(NEXT) | instid1(VALU_DEP_1)
	v_cmp_eq_u32_e64 s2, 0, v1
	v_cndmask_b32_e64 v96, v2, v0, s2
; %bb.1256:                             ;   in Loop: Header=BB468_8 Depth=1
	s_or_b32 exec_lo, exec_lo, s3
	flat_load_b64 v[30:31], v[28:29] offset:3080
	s_mov_b32 s3, exec_lo
	s_waitcnt vmcnt(0) lgkmcnt(0)
	v_dual_mov_b32 v0, 0 :: v_dual_and_b32 v1, 0xff, v30
	s_delay_alu instid0(VALU_DEP_1)
	v_cmpx_ne_u16_e32 0, v1
	s_cbranch_execz .LBB468_1264
; %bb.1257:                             ;   in Loop: Header=BB468_8 Depth=1
	v_bfrev_b32_e32 v0, 1
	s_mov_b32 s17, exec_lo
	v_cmpx_ne_u16_e32 0x80, v1
	s_cbranch_execz .LBB468_1263
; %bb.1258:                             ;   in Loop: Header=BB468_8 Depth=1
	v_and_b32_e32 v1, 0x7f, v30
	v_mov_b32_e32 v0, 0x7f800001
	s_mov_b32 s19, exec_lo
	s_delay_alu instid0(VALU_DEP_2)
	v_cmpx_ne_u32_e32 0x7f, v1
	s_cbranch_execz .LBB468_1262
; %bb.1259:                             ;   in Loop: Header=BB468_8 Depth=1
	v_lshrrev_b32_e32 v0, 3, v1
	v_dual_mov_b32 v33, v31 :: v_dual_mov_b32 v32, v30
	s_mov_b32 s21, exec_lo
	v_cmpx_gt_u32_e32 8, v1
; %bb.1260:                             ;   in Loop: Header=BB468_8 Depth=1
	v_and_b32_e32 v0, 7, v30
	s_delay_alu instid0(VALU_DEP_1) | instskip(NEXT) | instid1(VALU_DEP_1)
	v_clz_i32_u32_e32 v0, v0
	v_min_u32_e32 v0, 32, v0
	s_delay_alu instid0(VALU_DEP_1) | instskip(SKIP_1) | instid1(VALU_DEP_2)
	v_subrev_nc_u32_e32 v1, 28, v0
	v_sub_nc_u32_e32 v0, 29, v0
	v_lshlrev_b64 v[32:33], v1, v[30:31]
; %bb.1261:                             ;   in Loop: Header=BB468_8 Depth=1
	s_or_b32 exec_lo, exec_lo, s21
	s_delay_alu instid0(VALU_DEP_1) | instskip(SKIP_2) | instid1(VALU_DEP_3)
	v_lshlrev_b32_e32 v1, 20, v32
	v_lshlrev_b32_e32 v2, 24, v30
	v_lshl_add_u32 v0, v0, 23, 0x3c000000
	v_and_b32_e32 v1, 0x700000, v1
	s_delay_alu instid0(VALU_DEP_3) | instskip(NEXT) | instid1(VALU_DEP_1)
	v_and_b32_e32 v2, 0x80000000, v2
	v_or3_b32 v0, v1, v2, v0
.LBB468_1262:                           ;   in Loop: Header=BB468_8 Depth=1
	s_or_b32 exec_lo, exec_lo, s19
.LBB468_1263:                           ;   in Loop: Header=BB468_8 Depth=1
	s_delay_alu instid0(SALU_CYCLE_1)
	s_or_b32 exec_lo, exec_lo, s17
.LBB468_1264:                           ;   in Loop: Header=BB468_8 Depth=1
	s_delay_alu instid0(SALU_CYCLE_1) | instskip(NEXT) | instid1(VALU_DEP_1)
	s_or_b32 exec_lo, exec_lo, s3
	v_mul_f32_e32 v0, v79, v0
                                        ; implicit-def: $vgpr97
	s_delay_alu instid0(VALU_DEP_1) | instskip(NEXT) | instid1(VALU_DEP_1)
	v_and_b32_e32 v1, 0x7f800000, v0
	v_cmp_ne_u32_e64 s2, 0x7f800000, v1
	s_delay_alu instid0(VALU_DEP_1) | instskip(NEXT) | instid1(SALU_CYCLE_1)
	s_and_saveexec_b32 s3, s2
	s_xor_b32 s2, exec_lo, s3
; %bb.1265:                             ;   in Loop: Header=BB468_8 Depth=1
	v_bfe_u32 v1, v0, 16, 1
	s_delay_alu instid0(VALU_DEP_1)
	v_add3_u32 v97, v0, v1, 0x7fff
                                        ; implicit-def: $vgpr0
; %bb.1266:                             ;   in Loop: Header=BB468_8 Depth=1
	s_and_not1_saveexec_b32 s3, s2
; %bb.1267:                             ;   in Loop: Header=BB468_8 Depth=1
	v_and_b32_e32 v1, 0xffff, v0
	v_or_b32_e32 v2, 0x10000, v0
	s_delay_alu instid0(VALU_DEP_2) | instskip(NEXT) | instid1(VALU_DEP_1)
	v_cmp_eq_u32_e64 s2, 0, v1
	v_cndmask_b32_e64 v97, v2, v0, s2
; %bb.1268:                             ;   in Loop: Header=BB468_8 Depth=1
	s_or_b32 exec_lo, exec_lo, s3
	v_lshrrev_b16 v1, 8, v30
	v_mov_b32_e32 v0, 0
	s_mov_b32 s3, exec_lo
	s_delay_alu instid0(VALU_DEP_2)
	v_cmpx_ne_u16_e32 0, v1
	s_cbranch_execz .LBB468_1276
; %bb.1269:                             ;   in Loop: Header=BB468_8 Depth=1
	v_bfrev_b32_e32 v0, 1
	s_mov_b32 s17, exec_lo
	v_cmpx_ne_u16_e32 0x80, v1
	s_cbranch_execz .LBB468_1275
; %bb.1270:                             ;   in Loop: Header=BB468_8 Depth=1
	v_and_b32_e32 v2, 0xffff, v1
	v_mov_b32_e32 v0, 0x7f800001
	s_mov_b32 s19, exec_lo
	s_delay_alu instid0(VALU_DEP_2) | instskip(NEXT) | instid1(VALU_DEP_1)
	v_and_b32_e32 v1, 0x7f, v2
	v_cmpx_ne_u32_e32 0x7f, v1
	s_cbranch_execz .LBB468_1274
; %bb.1271:                             ;   in Loop: Header=BB468_8 Depth=1
	v_and_b32_e32 v18, 7, v2
	v_lshrrev_b32_e32 v0, 3, v1
	v_mov_b32_e32 v33, v19
	s_mov_b32 s21, exec_lo
	s_delay_alu instid0(VALU_DEP_3)
	v_mov_b32_e32 v32, v18
	v_cmpx_gt_u32_e32 8, v1
; %bb.1272:                             ;   in Loop: Header=BB468_8 Depth=1
	v_clz_i32_u32_e32 v0, v18
	s_delay_alu instid0(VALU_DEP_1) | instskip(NEXT) | instid1(VALU_DEP_1)
	v_min_u32_e32 v0, 32, v0
	v_subrev_nc_u32_e32 v1, 28, v0
	v_sub_nc_u32_e32 v0, 29, v0
	s_delay_alu instid0(VALU_DEP_2) | instskip(NEXT) | instid1(VALU_DEP_1)
	v_lshlrev_b64 v[1:2], v1, v[18:19]
	v_and_b32_e32 v32, 7, v1
; %bb.1273:                             ;   in Loop: Header=BB468_8 Depth=1
	s_or_b32 exec_lo, exec_lo, s21
	v_lshlrev_b32_e32 v1, 16, v30
	s_delay_alu instid0(VALU_DEP_2) | instskip(SKIP_1) | instid1(VALU_DEP_3)
	v_lshlrev_b32_e32 v2, 20, v32
	v_lshl_add_u32 v0, v0, 23, 0x3c000000
	v_and_b32_e32 v1, 0x80000000, v1
	s_delay_alu instid0(VALU_DEP_1)
	v_or3_b32 v0, v2, v1, v0
.LBB468_1274:                           ;   in Loop: Header=BB468_8 Depth=1
	s_or_b32 exec_lo, exec_lo, s19
.LBB468_1275:                           ;   in Loop: Header=BB468_8 Depth=1
	s_delay_alu instid0(SALU_CYCLE_1)
	s_or_b32 exec_lo, exec_lo, s17
.LBB468_1276:                           ;   in Loop: Header=BB468_8 Depth=1
	s_delay_alu instid0(SALU_CYCLE_1) | instskip(NEXT) | instid1(VALU_DEP_1)
	s_or_b32 exec_lo, exec_lo, s3
	v_mul_f32_e32 v0, v79, v0
                                        ; implicit-def: $vgpr98
	s_delay_alu instid0(VALU_DEP_1) | instskip(NEXT) | instid1(VALU_DEP_1)
	v_and_b32_e32 v1, 0x7f800000, v0
	v_cmp_ne_u32_e64 s2, 0x7f800000, v1
	s_delay_alu instid0(VALU_DEP_1) | instskip(NEXT) | instid1(SALU_CYCLE_1)
	s_and_saveexec_b32 s3, s2
	s_xor_b32 s2, exec_lo, s3
; %bb.1277:                             ;   in Loop: Header=BB468_8 Depth=1
	v_bfe_u32 v1, v0, 16, 1
	s_delay_alu instid0(VALU_DEP_1)
	v_add3_u32 v98, v0, v1, 0x7fff
                                        ; implicit-def: $vgpr0
; %bb.1278:                             ;   in Loop: Header=BB468_8 Depth=1
	s_and_not1_saveexec_b32 s3, s2
; %bb.1279:                             ;   in Loop: Header=BB468_8 Depth=1
	v_and_b32_e32 v1, 0xffff, v0
	v_or_b32_e32 v2, 0x10000, v0
	s_delay_alu instid0(VALU_DEP_2) | instskip(NEXT) | instid1(VALU_DEP_1)
	v_cmp_eq_u32_e64 s2, 0, v1
	v_cndmask_b32_e64 v98, v2, v0, s2
; %bb.1280:                             ;   in Loop: Header=BB468_8 Depth=1
	s_or_b32 exec_lo, exec_lo, s3
	v_lshrrev_b32_e32 v0, 16, v30
	s_mov_b32 s3, exec_lo
	s_delay_alu instid0(VALU_DEP_1) | instskip(NEXT) | instid1(VALU_DEP_1)
	v_dual_mov_b32 v1, 0 :: v_dual_and_b32 v2, 0xff, v0
	v_cmpx_ne_u16_e32 0, v2
	s_cbranch_execz .LBB468_1288
; %bb.1281:                             ;   in Loop: Header=BB468_8 Depth=1
	v_bfrev_b32_e32 v1, 1
	s_mov_b32 s17, exec_lo
	v_cmpx_ne_u16_e32 0x80, v2
	s_cbranch_execz .LBB468_1287
; %bb.1282:                             ;   in Loop: Header=BB468_8 Depth=1
	v_bfe_u32 v2, v30, 16, 7
	v_mov_b32_e32 v1, 0x7f800001
	s_mov_b32 s19, exec_lo
	s_delay_alu instid0(VALU_DEP_2)
	v_cmpx_ne_u32_e32 0x7f, v2
	s_cbranch_execz .LBB468_1286
; %bb.1283:                             ;   in Loop: Header=BB468_8 Depth=1
	v_and_b32_e32 v18, 7, v0
	v_lshrrev_b32_e32 v1, 3, v2
	v_mov_b32_e32 v33, v19
	s_mov_b32 s21, exec_lo
	s_delay_alu instid0(VALU_DEP_3)
	v_mov_b32_e32 v32, v18
	v_cmpx_gt_u32_e32 8, v2
; %bb.1284:                             ;   in Loop: Header=BB468_8 Depth=1
	v_clz_i32_u32_e32 v1, v18
	s_delay_alu instid0(VALU_DEP_1) | instskip(NEXT) | instid1(VALU_DEP_1)
	v_min_u32_e32 v1, 32, v1
	v_subrev_nc_u32_e32 v2, 28, v1
	v_sub_nc_u32_e32 v1, 29, v1
	s_delay_alu instid0(VALU_DEP_2) | instskip(NEXT) | instid1(VALU_DEP_1)
	v_lshlrev_b64 v[2:3], v2, v[18:19]
	v_and_b32_e32 v32, 7, v2
; %bb.1285:                             ;   in Loop: Header=BB468_8 Depth=1
	s_or_b32 exec_lo, exec_lo, s21
	v_lshlrev_b32_e32 v0, 24, v0
	s_delay_alu instid0(VALU_DEP_2) | instskip(SKIP_1) | instid1(VALU_DEP_3)
	v_lshlrev_b32_e32 v2, 20, v32
	v_lshl_add_u32 v1, v1, 23, 0x3c000000
	v_and_b32_e32 v0, 0x80000000, v0
	s_delay_alu instid0(VALU_DEP_1)
	v_or3_b32 v1, v2, v0, v1
.LBB468_1286:                           ;   in Loop: Header=BB468_8 Depth=1
	s_or_b32 exec_lo, exec_lo, s19
.LBB468_1287:                           ;   in Loop: Header=BB468_8 Depth=1
	s_delay_alu instid0(SALU_CYCLE_1)
	s_or_b32 exec_lo, exec_lo, s17
.LBB468_1288:                           ;   in Loop: Header=BB468_8 Depth=1
	s_delay_alu instid0(SALU_CYCLE_1) | instskip(NEXT) | instid1(VALU_DEP_1)
	s_or_b32 exec_lo, exec_lo, s3
	v_mul_f32_e32 v0, v79, v1
                                        ; implicit-def: $vgpr99
	s_delay_alu instid0(VALU_DEP_1) | instskip(NEXT) | instid1(VALU_DEP_1)
	v_and_b32_e32 v1, 0x7f800000, v0
	v_cmp_ne_u32_e64 s2, 0x7f800000, v1
	s_delay_alu instid0(VALU_DEP_1) | instskip(NEXT) | instid1(SALU_CYCLE_1)
	s_and_saveexec_b32 s3, s2
	s_xor_b32 s2, exec_lo, s3
; %bb.1289:                             ;   in Loop: Header=BB468_8 Depth=1
	v_bfe_u32 v1, v0, 16, 1
	s_delay_alu instid0(VALU_DEP_1)
	v_add3_u32 v99, v0, v1, 0x7fff
                                        ; implicit-def: $vgpr0
; %bb.1290:                             ;   in Loop: Header=BB468_8 Depth=1
	s_and_not1_saveexec_b32 s3, s2
; %bb.1291:                             ;   in Loop: Header=BB468_8 Depth=1
	v_and_b32_e32 v1, 0xffff, v0
	v_or_b32_e32 v2, 0x10000, v0
	s_delay_alu instid0(VALU_DEP_2) | instskip(NEXT) | instid1(VALU_DEP_1)
	v_cmp_eq_u32_e64 s2, 0, v1
	v_cndmask_b32_e64 v99, v2, v0, s2
; %bb.1292:                             ;   in Loop: Header=BB468_8 Depth=1
	s_or_b32 exec_lo, exec_lo, s3
	v_mov_b32_e32 v1, 0
	s_mov_b32 s3, exec_lo
	v_cmpx_lt_u32_e32 0xffffff, v30
	s_cbranch_execz .LBB468_1300
; %bb.1293:                             ;   in Loop: Header=BB468_8 Depth=1
	v_lshrrev_b32_e32 v0, 24, v30
	v_bfrev_b32_e32 v1, 1
	s_mov_b32 s17, exec_lo
	s_delay_alu instid0(VALU_DEP_2)
	v_cmpx_ne_u32_e32 0x80, v0
	s_cbranch_execz .LBB468_1299
; %bb.1294:                             ;   in Loop: Header=BB468_8 Depth=1
	v_bfe_u32 v2, v30, 24, 7
	v_mov_b32_e32 v1, 0x7f800001
	s_mov_b32 s19, exec_lo
	s_delay_alu instid0(VALU_DEP_2)
	v_cmpx_ne_u32_e32 0x7f, v2
	s_cbranch_execz .LBB468_1298
; %bb.1295:                             ;   in Loop: Header=BB468_8 Depth=1
	v_and_b32_e32 v18, 7, v0
	v_lshrrev_b32_e32 v1, 3, v2
	v_mov_b32_e32 v33, v19
	s_mov_b32 s21, exec_lo
	s_delay_alu instid0(VALU_DEP_3)
	v_mov_b32_e32 v32, v18
	v_cmpx_gt_u32_e32 8, v2
; %bb.1296:                             ;   in Loop: Header=BB468_8 Depth=1
	v_clz_i32_u32_e32 v1, v18
	s_delay_alu instid0(VALU_DEP_1) | instskip(NEXT) | instid1(VALU_DEP_1)
	v_min_u32_e32 v1, 32, v1
	v_subrev_nc_u32_e32 v2, 28, v1
	v_sub_nc_u32_e32 v1, 29, v1
	s_delay_alu instid0(VALU_DEP_2) | instskip(NEXT) | instid1(VALU_DEP_1)
	v_lshlrev_b64 v[2:3], v2, v[18:19]
	v_and_b32_e32 v32, 7, v2
; %bb.1297:                             ;   in Loop: Header=BB468_8 Depth=1
	s_or_b32 exec_lo, exec_lo, s21
	v_lshlrev_b32_e32 v0, 24, v0
	s_delay_alu instid0(VALU_DEP_2) | instskip(SKIP_1) | instid1(VALU_DEP_3)
	v_lshlrev_b32_e32 v2, 20, v32
	v_lshl_add_u32 v1, v1, 23, 0x3c000000
	v_and_b32_e32 v0, 0x80000000, v0
	s_delay_alu instid0(VALU_DEP_1)
	v_or3_b32 v1, v2, v0, v1
.LBB468_1298:                           ;   in Loop: Header=BB468_8 Depth=1
	s_or_b32 exec_lo, exec_lo, s19
.LBB468_1299:                           ;   in Loop: Header=BB468_8 Depth=1
	s_delay_alu instid0(SALU_CYCLE_1)
	s_or_b32 exec_lo, exec_lo, s17
.LBB468_1300:                           ;   in Loop: Header=BB468_8 Depth=1
	s_delay_alu instid0(SALU_CYCLE_1) | instskip(NEXT) | instid1(VALU_DEP_1)
	s_or_b32 exec_lo, exec_lo, s3
	v_mul_f32_e32 v0, v79, v1
                                        ; implicit-def: $vgpr100
	s_delay_alu instid0(VALU_DEP_1) | instskip(NEXT) | instid1(VALU_DEP_1)
	v_and_b32_e32 v1, 0x7f800000, v0
	v_cmp_ne_u32_e64 s2, 0x7f800000, v1
	s_delay_alu instid0(VALU_DEP_1) | instskip(NEXT) | instid1(SALU_CYCLE_1)
	s_and_saveexec_b32 s3, s2
	s_xor_b32 s2, exec_lo, s3
; %bb.1301:                             ;   in Loop: Header=BB468_8 Depth=1
	v_bfe_u32 v1, v0, 16, 1
	s_delay_alu instid0(VALU_DEP_1)
	v_add3_u32 v100, v0, v1, 0x7fff
                                        ; implicit-def: $vgpr0
; %bb.1302:                             ;   in Loop: Header=BB468_8 Depth=1
	s_and_not1_saveexec_b32 s3, s2
; %bb.1303:                             ;   in Loop: Header=BB468_8 Depth=1
	v_and_b32_e32 v1, 0xffff, v0
	v_or_b32_e32 v2, 0x10000, v0
	s_delay_alu instid0(VALU_DEP_2) | instskip(NEXT) | instid1(VALU_DEP_1)
	v_cmp_eq_u32_e64 s2, 0, v1
	v_cndmask_b32_e64 v100, v2, v0, s2
; %bb.1304:                             ;   in Loop: Header=BB468_8 Depth=1
	s_or_b32 exec_lo, exec_lo, s3
	v_dual_mov_b32 v18, v31 :: v_dual_and_b32 v1, 0xff, v31
	v_mov_b32_e32 v0, 0
	s_mov_b32 s3, exec_lo
	s_delay_alu instid0(VALU_DEP_2)
	v_cmpx_ne_u16_e32 0, v1
	s_cbranch_execz .LBB468_1312
; %bb.1305:                             ;   in Loop: Header=BB468_8 Depth=1
	v_bfrev_b32_e32 v0, 1
	s_mov_b32 s17, exec_lo
	v_cmpx_ne_u16_e32 0x80, v1
	s_cbranch_execz .LBB468_1311
; %bb.1306:                             ;   in Loop: Header=BB468_8 Depth=1
	v_and_b32_e32 v1, 0x7f, v31
	v_mov_b32_e32 v0, 0x7f800001
	s_mov_b32 s19, exec_lo
	s_delay_alu instid0(VALU_DEP_2)
	v_cmpx_ne_u32_e32 0x7f, v1
	s_cbranch_execz .LBB468_1310
; %bb.1307:                             ;   in Loop: Header=BB468_8 Depth=1
	v_lshrrev_b32_e32 v0, 3, v1
	v_dual_mov_b32 v33, v19 :: v_dual_mov_b32 v32, v18
	s_mov_b32 s21, exec_lo
	v_cmpx_gt_u32_e32 8, v1
; %bb.1308:                             ;   in Loop: Header=BB468_8 Depth=1
	v_and_b32_e32 v0, 7, v31
	s_delay_alu instid0(VALU_DEP_1) | instskip(NEXT) | instid1(VALU_DEP_1)
	v_clz_i32_u32_e32 v0, v0
	v_min_u32_e32 v0, 32, v0
	s_delay_alu instid0(VALU_DEP_1) | instskip(SKIP_1) | instid1(VALU_DEP_2)
	v_subrev_nc_u32_e32 v1, 28, v0
	v_sub_nc_u32_e32 v0, 29, v0
	v_lshlrev_b64 v[32:33], v1, v[18:19]
; %bb.1309:                             ;   in Loop: Header=BB468_8 Depth=1
	s_or_b32 exec_lo, exec_lo, s21
	s_delay_alu instid0(VALU_DEP_1) | instskip(SKIP_2) | instid1(VALU_DEP_3)
	v_lshlrev_b32_e32 v1, 20, v32
	v_lshlrev_b32_e32 v2, 24, v18
	v_lshl_add_u32 v0, v0, 23, 0x3c000000
	v_and_b32_e32 v1, 0x700000, v1
	s_delay_alu instid0(VALU_DEP_3) | instskip(NEXT) | instid1(VALU_DEP_1)
	v_and_b32_e32 v2, 0x80000000, v2
	v_or3_b32 v0, v1, v2, v0
.LBB468_1310:                           ;   in Loop: Header=BB468_8 Depth=1
	s_or_b32 exec_lo, exec_lo, s19
.LBB468_1311:                           ;   in Loop: Header=BB468_8 Depth=1
	s_delay_alu instid0(SALU_CYCLE_1)
	s_or_b32 exec_lo, exec_lo, s17
.LBB468_1312:                           ;   in Loop: Header=BB468_8 Depth=1
	s_delay_alu instid0(SALU_CYCLE_1) | instskip(NEXT) | instid1(VALU_DEP_1)
	s_or_b32 exec_lo, exec_lo, s3
	v_mul_f32_e32 v0, v79, v0
                                        ; implicit-def: $vgpr101
	s_delay_alu instid0(VALU_DEP_1) | instskip(NEXT) | instid1(VALU_DEP_1)
	v_and_b32_e32 v1, 0x7f800000, v0
	v_cmp_ne_u32_e64 s2, 0x7f800000, v1
	s_delay_alu instid0(VALU_DEP_1) | instskip(NEXT) | instid1(SALU_CYCLE_1)
	s_and_saveexec_b32 s3, s2
	s_xor_b32 s2, exec_lo, s3
; %bb.1313:                             ;   in Loop: Header=BB468_8 Depth=1
	v_bfe_u32 v1, v0, 16, 1
	s_delay_alu instid0(VALU_DEP_1)
	v_add3_u32 v101, v0, v1, 0x7fff
                                        ; implicit-def: $vgpr0
; %bb.1314:                             ;   in Loop: Header=BB468_8 Depth=1
	s_and_not1_saveexec_b32 s3, s2
; %bb.1315:                             ;   in Loop: Header=BB468_8 Depth=1
	v_and_b32_e32 v1, 0xffff, v0
	v_or_b32_e32 v2, 0x10000, v0
	s_delay_alu instid0(VALU_DEP_2) | instskip(NEXT) | instid1(VALU_DEP_1)
	v_cmp_eq_u32_e64 s2, 0, v1
	v_cndmask_b32_e64 v101, v2, v0, s2
; %bb.1316:                             ;   in Loop: Header=BB468_8 Depth=1
	s_or_b32 exec_lo, exec_lo, s3
	v_lshrrev_b16 v1, 8, v18
	v_mov_b32_e32 v0, 0
	s_mov_b32 s3, exec_lo
	s_delay_alu instid0(VALU_DEP_2)
	v_cmpx_ne_u16_e32 0, v1
	s_cbranch_execz .LBB468_1324
; %bb.1317:                             ;   in Loop: Header=BB468_8 Depth=1
	v_bfrev_b32_e32 v0, 1
	s_mov_b32 s17, exec_lo
	v_cmpx_ne_u16_e32 0x80, v1
	s_cbranch_execz .LBB468_1323
; %bb.1318:                             ;   in Loop: Header=BB468_8 Depth=1
	v_and_b32_e32 v2, 0xffff, v1
	v_mov_b32_e32 v0, 0x7f800001
	s_mov_b32 s19, exec_lo
	s_delay_alu instid0(VALU_DEP_2) | instskip(NEXT) | instid1(VALU_DEP_1)
	v_and_b32_e32 v1, 0x7f, v2
	v_cmpx_ne_u32_e32 0x7f, v1
	s_cbranch_execz .LBB468_1322
; %bb.1319:                             ;   in Loop: Header=BB468_8 Depth=1
	v_dual_mov_b32 v33, v19 :: v_dual_and_b32 v32, 7, v2
	v_lshrrev_b32_e32 v0, 3, v1
	s_mov_b32 s21, exec_lo
	v_cmpx_gt_u32_e32 8, v1
; %bb.1320:                             ;   in Loop: Header=BB468_8 Depth=1
	s_delay_alu instid0(VALU_DEP_3) | instskip(NEXT) | instid1(VALU_DEP_1)
	v_clz_i32_u32_e32 v0, v32
	v_min_u32_e32 v0, 32, v0
	s_delay_alu instid0(VALU_DEP_1) | instskip(SKIP_1) | instid1(VALU_DEP_2)
	v_subrev_nc_u32_e32 v1, 28, v0
	v_sub_nc_u32_e32 v0, 29, v0
	v_lshlrev_b64 v[1:2], v1, v[32:33]
	s_delay_alu instid0(VALU_DEP_1)
	v_and_b32_e32 v32, 7, v1
; %bb.1321:                             ;   in Loop: Header=BB468_8 Depth=1
	s_or_b32 exec_lo, exec_lo, s21
	v_lshlrev_b32_e32 v1, 16, v18
	s_delay_alu instid0(VALU_DEP_2) | instskip(SKIP_1) | instid1(VALU_DEP_3)
	v_lshlrev_b32_e32 v2, 20, v32
	v_lshl_add_u32 v0, v0, 23, 0x3c000000
	v_and_b32_e32 v1, 0x80000000, v1
	s_delay_alu instid0(VALU_DEP_1)
	v_or3_b32 v0, v2, v1, v0
.LBB468_1322:                           ;   in Loop: Header=BB468_8 Depth=1
	s_or_b32 exec_lo, exec_lo, s19
.LBB468_1323:                           ;   in Loop: Header=BB468_8 Depth=1
	s_delay_alu instid0(SALU_CYCLE_1)
	s_or_b32 exec_lo, exec_lo, s17
.LBB468_1324:                           ;   in Loop: Header=BB468_8 Depth=1
	s_delay_alu instid0(SALU_CYCLE_1) | instskip(NEXT) | instid1(VALU_DEP_1)
	s_or_b32 exec_lo, exec_lo, s3
	v_mul_f32_e32 v0, v79, v0
                                        ; implicit-def: $vgpr102
	s_delay_alu instid0(VALU_DEP_1) | instskip(NEXT) | instid1(VALU_DEP_1)
	v_and_b32_e32 v1, 0x7f800000, v0
	v_cmp_ne_u32_e64 s2, 0x7f800000, v1
	s_delay_alu instid0(VALU_DEP_1) | instskip(NEXT) | instid1(SALU_CYCLE_1)
	s_and_saveexec_b32 s3, s2
	s_xor_b32 s2, exec_lo, s3
; %bb.1325:                             ;   in Loop: Header=BB468_8 Depth=1
	v_bfe_u32 v1, v0, 16, 1
	s_delay_alu instid0(VALU_DEP_1)
	v_add3_u32 v102, v0, v1, 0x7fff
                                        ; implicit-def: $vgpr0
; %bb.1326:                             ;   in Loop: Header=BB468_8 Depth=1
	s_and_not1_saveexec_b32 s3, s2
; %bb.1327:                             ;   in Loop: Header=BB468_8 Depth=1
	v_and_b32_e32 v1, 0xffff, v0
	v_or_b32_e32 v2, 0x10000, v0
	s_delay_alu instid0(VALU_DEP_2) | instskip(NEXT) | instid1(VALU_DEP_1)
	v_cmp_eq_u32_e64 s2, 0, v1
	v_cndmask_b32_e64 v102, v2, v0, s2
; %bb.1328:                             ;   in Loop: Header=BB468_8 Depth=1
	s_or_b32 exec_lo, exec_lo, s3
	v_lshrrev_b32_e32 v0, 16, v31
	s_mov_b32 s3, exec_lo
	s_delay_alu instid0(VALU_DEP_1) | instskip(NEXT) | instid1(VALU_DEP_1)
	v_dual_mov_b32 v1, 0 :: v_dual_and_b32 v2, 0xff, v0
	v_cmpx_ne_u16_e32 0, v2
	s_cbranch_execz .LBB468_1336
; %bb.1329:                             ;   in Loop: Header=BB468_8 Depth=1
	v_bfrev_b32_e32 v1, 1
	s_mov_b32 s17, exec_lo
	v_cmpx_ne_u16_e32 0x80, v2
	s_cbranch_execz .LBB468_1335
; %bb.1330:                             ;   in Loop: Header=BB468_8 Depth=1
	v_bfe_u32 v2, v31, 16, 7
	v_mov_b32_e32 v1, 0x7f800001
	s_mov_b32 s19, exec_lo
	s_delay_alu instid0(VALU_DEP_2)
	v_cmpx_ne_u32_e32 0x7f, v2
	s_cbranch_execz .LBB468_1334
; %bb.1331:                             ;   in Loop: Header=BB468_8 Depth=1
	v_and_b32_e32 v18, 7, v0
	v_lshrrev_b32_e32 v1, 3, v2
	v_mov_b32_e32 v33, v19
	s_mov_b32 s21, exec_lo
	s_delay_alu instid0(VALU_DEP_3)
	v_mov_b32_e32 v32, v18
	v_cmpx_gt_u32_e32 8, v2
; %bb.1332:                             ;   in Loop: Header=BB468_8 Depth=1
	v_clz_i32_u32_e32 v1, v18
	s_delay_alu instid0(VALU_DEP_1) | instskip(NEXT) | instid1(VALU_DEP_1)
	v_min_u32_e32 v1, 32, v1
	v_subrev_nc_u32_e32 v2, 28, v1
	v_sub_nc_u32_e32 v1, 29, v1
	s_delay_alu instid0(VALU_DEP_2) | instskip(NEXT) | instid1(VALU_DEP_1)
	v_lshlrev_b64 v[2:3], v2, v[18:19]
	v_and_b32_e32 v32, 7, v2
; %bb.1333:                             ;   in Loop: Header=BB468_8 Depth=1
	s_or_b32 exec_lo, exec_lo, s21
	v_lshlrev_b32_e32 v0, 24, v0
	s_delay_alu instid0(VALU_DEP_2) | instskip(SKIP_1) | instid1(VALU_DEP_3)
	v_lshlrev_b32_e32 v2, 20, v32
	v_lshl_add_u32 v1, v1, 23, 0x3c000000
	v_and_b32_e32 v0, 0x80000000, v0
	s_delay_alu instid0(VALU_DEP_1)
	v_or3_b32 v1, v2, v0, v1
.LBB468_1334:                           ;   in Loop: Header=BB468_8 Depth=1
	s_or_b32 exec_lo, exec_lo, s19
.LBB468_1335:                           ;   in Loop: Header=BB468_8 Depth=1
	s_delay_alu instid0(SALU_CYCLE_1)
	s_or_b32 exec_lo, exec_lo, s17
.LBB468_1336:                           ;   in Loop: Header=BB468_8 Depth=1
	s_delay_alu instid0(SALU_CYCLE_1) | instskip(NEXT) | instid1(VALU_DEP_1)
	s_or_b32 exec_lo, exec_lo, s3
	v_mul_f32_e32 v0, v79, v1
                                        ; implicit-def: $vgpr103
	s_delay_alu instid0(VALU_DEP_1) | instskip(NEXT) | instid1(VALU_DEP_1)
	v_and_b32_e32 v1, 0x7f800000, v0
	v_cmp_ne_u32_e64 s2, 0x7f800000, v1
	s_delay_alu instid0(VALU_DEP_1) | instskip(NEXT) | instid1(SALU_CYCLE_1)
	s_and_saveexec_b32 s3, s2
	s_xor_b32 s2, exec_lo, s3
; %bb.1337:                             ;   in Loop: Header=BB468_8 Depth=1
	v_bfe_u32 v1, v0, 16, 1
	s_delay_alu instid0(VALU_DEP_1)
	v_add3_u32 v103, v0, v1, 0x7fff
                                        ; implicit-def: $vgpr0
; %bb.1338:                             ;   in Loop: Header=BB468_8 Depth=1
	s_and_not1_saveexec_b32 s3, s2
; %bb.1339:                             ;   in Loop: Header=BB468_8 Depth=1
	v_and_b32_e32 v1, 0xffff, v0
	v_or_b32_e32 v2, 0x10000, v0
	s_delay_alu instid0(VALU_DEP_2) | instskip(NEXT) | instid1(VALU_DEP_1)
	v_cmp_eq_u32_e64 s2, 0, v1
	v_cndmask_b32_e64 v103, v2, v0, s2
; %bb.1340:                             ;   in Loop: Header=BB468_8 Depth=1
	s_or_b32 exec_lo, exec_lo, s3
	v_mov_b32_e32 v1, 0
	s_mov_b32 s3, exec_lo
	v_cmpx_lt_u64_e64 s[4:5], v[30:31]
	s_cbranch_execz .LBB468_1348
; %bb.1341:                             ;   in Loop: Header=BB468_8 Depth=1
	v_lshrrev_b32_e32 v0, 24, v31
	v_bfrev_b32_e32 v1, 1
	s_mov_b32 s17, exec_lo
	s_delay_alu instid0(VALU_DEP_2)
	v_cmpx_ne_u32_e32 0x80, v0
	s_cbranch_execz .LBB468_1347
; %bb.1342:                             ;   in Loop: Header=BB468_8 Depth=1
	v_bfe_u32 v2, v31, 24, 7
	v_mov_b32_e32 v1, 0x7f800001
	s_mov_b32 s19, exec_lo
	s_delay_alu instid0(VALU_DEP_2)
	v_cmpx_ne_u32_e32 0x7f, v2
	s_cbranch_execz .LBB468_1346
; %bb.1343:                             ;   in Loop: Header=BB468_8 Depth=1
	v_and_b32_e32 v18, 7, v0
	v_lshrrev_b32_e32 v1, 3, v2
	v_mov_b32_e32 v31, v19
	s_mov_b32 s21, exec_lo
	s_delay_alu instid0(VALU_DEP_3)
	v_mov_b32_e32 v30, v18
	v_cmpx_gt_u32_e32 8, v2
; %bb.1344:                             ;   in Loop: Header=BB468_8 Depth=1
	v_clz_i32_u32_e32 v1, v18
	s_delay_alu instid0(VALU_DEP_1) | instskip(NEXT) | instid1(VALU_DEP_1)
	v_min_u32_e32 v1, 32, v1
	v_subrev_nc_u32_e32 v2, 28, v1
	v_sub_nc_u32_e32 v1, 29, v1
	s_delay_alu instid0(VALU_DEP_2) | instskip(NEXT) | instid1(VALU_DEP_1)
	v_lshlrev_b64 v[2:3], v2, v[18:19]
	v_and_b32_e32 v30, 7, v2
; %bb.1345:                             ;   in Loop: Header=BB468_8 Depth=1
	s_or_b32 exec_lo, exec_lo, s21
	v_lshlrev_b32_e32 v0, 24, v0
	s_delay_alu instid0(VALU_DEP_2) | instskip(SKIP_1) | instid1(VALU_DEP_3)
	v_lshlrev_b32_e32 v2, 20, v30
	v_lshl_add_u32 v1, v1, 23, 0x3c000000
	v_and_b32_e32 v0, 0x80000000, v0
	s_delay_alu instid0(VALU_DEP_1)
	v_or3_b32 v1, v2, v0, v1
.LBB468_1346:                           ;   in Loop: Header=BB468_8 Depth=1
	s_or_b32 exec_lo, exec_lo, s19
.LBB468_1347:                           ;   in Loop: Header=BB468_8 Depth=1
	s_delay_alu instid0(SALU_CYCLE_1)
	s_or_b32 exec_lo, exec_lo, s17
.LBB468_1348:                           ;   in Loop: Header=BB468_8 Depth=1
	s_delay_alu instid0(SALU_CYCLE_1) | instskip(NEXT) | instid1(VALU_DEP_1)
	s_or_b32 exec_lo, exec_lo, s3
	v_mul_f32_e32 v0, v79, v1
                                        ; implicit-def: $vgpr112
	s_delay_alu instid0(VALU_DEP_1) | instskip(NEXT) | instid1(VALU_DEP_1)
	v_and_b32_e32 v1, 0x7f800000, v0
	v_cmp_ne_u32_e64 s2, 0x7f800000, v1
	s_delay_alu instid0(VALU_DEP_1) | instskip(NEXT) | instid1(SALU_CYCLE_1)
	s_and_saveexec_b32 s3, s2
	s_xor_b32 s2, exec_lo, s3
; %bb.1349:                             ;   in Loop: Header=BB468_8 Depth=1
	v_bfe_u32 v1, v0, 16, 1
	s_delay_alu instid0(VALU_DEP_1)
	v_add3_u32 v112, v0, v1, 0x7fff
                                        ; implicit-def: $vgpr0
; %bb.1350:                             ;   in Loop: Header=BB468_8 Depth=1
	s_and_not1_saveexec_b32 s3, s2
; %bb.1351:                             ;   in Loop: Header=BB468_8 Depth=1
	v_and_b32_e32 v1, 0xffff, v0
	v_or_b32_e32 v2, 0x10000, v0
	s_delay_alu instid0(VALU_DEP_2) | instskip(NEXT) | instid1(VALU_DEP_1)
	v_cmp_eq_u32_e64 s2, 0, v1
	v_cndmask_b32_e64 v112, v2, v0, s2
; %bb.1352:                             ;   in Loop: Header=BB468_8 Depth=1
	s_or_b32 exec_lo, exec_lo, s3
	flat_load_b64 v[30:31], v[28:29] offset:3584
	s_mov_b32 s3, exec_lo
	s_waitcnt vmcnt(0) lgkmcnt(0)
	v_dual_mov_b32 v0, 0 :: v_dual_and_b32 v1, 0xff, v30
	s_delay_alu instid0(VALU_DEP_1)
	v_cmpx_ne_u16_e32 0, v1
	s_cbranch_execz .LBB468_1360
; %bb.1353:                             ;   in Loop: Header=BB468_8 Depth=1
	v_bfrev_b32_e32 v0, 1
	s_mov_b32 s17, exec_lo
	v_cmpx_ne_u16_e32 0x80, v1
	s_cbranch_execz .LBB468_1359
; %bb.1354:                             ;   in Loop: Header=BB468_8 Depth=1
	v_and_b32_e32 v1, 0x7f, v30
	v_mov_b32_e32 v0, 0x7f800001
	s_mov_b32 s19, exec_lo
	s_delay_alu instid0(VALU_DEP_2)
	v_cmpx_ne_u32_e32 0x7f, v1
	s_cbranch_execz .LBB468_1358
; %bb.1355:                             ;   in Loop: Header=BB468_8 Depth=1
	v_lshrrev_b32_e32 v0, 3, v1
	v_dual_mov_b32 v33, v31 :: v_dual_mov_b32 v32, v30
	s_mov_b32 s21, exec_lo
	v_cmpx_gt_u32_e32 8, v1
; %bb.1356:                             ;   in Loop: Header=BB468_8 Depth=1
	v_and_b32_e32 v0, 7, v30
	s_delay_alu instid0(VALU_DEP_1) | instskip(NEXT) | instid1(VALU_DEP_1)
	v_clz_i32_u32_e32 v0, v0
	v_min_u32_e32 v0, 32, v0
	s_delay_alu instid0(VALU_DEP_1) | instskip(SKIP_1) | instid1(VALU_DEP_2)
	v_subrev_nc_u32_e32 v1, 28, v0
	v_sub_nc_u32_e32 v0, 29, v0
	v_lshlrev_b64 v[32:33], v1, v[30:31]
; %bb.1357:                             ;   in Loop: Header=BB468_8 Depth=1
	s_or_b32 exec_lo, exec_lo, s21
	s_delay_alu instid0(VALU_DEP_1) | instskip(SKIP_2) | instid1(VALU_DEP_3)
	v_lshlrev_b32_e32 v1, 20, v32
	v_lshlrev_b32_e32 v2, 24, v30
	v_lshl_add_u32 v0, v0, 23, 0x3c000000
	v_and_b32_e32 v1, 0x700000, v1
	s_delay_alu instid0(VALU_DEP_3) | instskip(NEXT) | instid1(VALU_DEP_1)
	v_and_b32_e32 v2, 0x80000000, v2
	v_or3_b32 v0, v1, v2, v0
.LBB468_1358:                           ;   in Loop: Header=BB468_8 Depth=1
	s_or_b32 exec_lo, exec_lo, s19
.LBB468_1359:                           ;   in Loop: Header=BB468_8 Depth=1
	s_delay_alu instid0(SALU_CYCLE_1)
	s_or_b32 exec_lo, exec_lo, s17
.LBB468_1360:                           ;   in Loop: Header=BB468_8 Depth=1
	s_delay_alu instid0(SALU_CYCLE_1) | instskip(NEXT) | instid1(VALU_DEP_1)
	s_or_b32 exec_lo, exec_lo, s3
	v_mul_f32_e32 v0, v79, v0
                                        ; implicit-def: $vgpr113
	s_delay_alu instid0(VALU_DEP_1) | instskip(NEXT) | instid1(VALU_DEP_1)
	v_and_b32_e32 v1, 0x7f800000, v0
	v_cmp_ne_u32_e64 s2, 0x7f800000, v1
	s_delay_alu instid0(VALU_DEP_1) | instskip(NEXT) | instid1(SALU_CYCLE_1)
	s_and_saveexec_b32 s3, s2
	s_xor_b32 s2, exec_lo, s3
; %bb.1361:                             ;   in Loop: Header=BB468_8 Depth=1
	v_bfe_u32 v1, v0, 16, 1
	s_delay_alu instid0(VALU_DEP_1)
	v_add3_u32 v113, v0, v1, 0x7fff
                                        ; implicit-def: $vgpr0
; %bb.1362:                             ;   in Loop: Header=BB468_8 Depth=1
	s_and_not1_saveexec_b32 s3, s2
; %bb.1363:                             ;   in Loop: Header=BB468_8 Depth=1
	v_and_b32_e32 v1, 0xffff, v0
	v_or_b32_e32 v2, 0x10000, v0
	s_delay_alu instid0(VALU_DEP_2) | instskip(NEXT) | instid1(VALU_DEP_1)
	v_cmp_eq_u32_e64 s2, 0, v1
	v_cndmask_b32_e64 v113, v2, v0, s2
; %bb.1364:                             ;   in Loop: Header=BB468_8 Depth=1
	s_or_b32 exec_lo, exec_lo, s3
	v_lshrrev_b16 v1, 8, v30
	v_mov_b32_e32 v0, 0
	s_mov_b32 s3, exec_lo
	s_delay_alu instid0(VALU_DEP_2)
	v_cmpx_ne_u16_e32 0, v1
	s_cbranch_execz .LBB468_1372
; %bb.1365:                             ;   in Loop: Header=BB468_8 Depth=1
	v_bfrev_b32_e32 v0, 1
	s_mov_b32 s17, exec_lo
	v_cmpx_ne_u16_e32 0x80, v1
	s_cbranch_execz .LBB468_1371
; %bb.1366:                             ;   in Loop: Header=BB468_8 Depth=1
	v_and_b32_e32 v2, 0xffff, v1
	v_mov_b32_e32 v0, 0x7f800001
	s_mov_b32 s19, exec_lo
	s_delay_alu instid0(VALU_DEP_2) | instskip(NEXT) | instid1(VALU_DEP_1)
	v_and_b32_e32 v1, 0x7f, v2
	v_cmpx_ne_u32_e32 0x7f, v1
	s_cbranch_execz .LBB468_1370
; %bb.1367:                             ;   in Loop: Header=BB468_8 Depth=1
	v_and_b32_e32 v18, 7, v2
	v_lshrrev_b32_e32 v0, 3, v1
	v_mov_b32_e32 v33, v19
	s_mov_b32 s21, exec_lo
	s_delay_alu instid0(VALU_DEP_3)
	v_mov_b32_e32 v32, v18
	v_cmpx_gt_u32_e32 8, v1
; %bb.1368:                             ;   in Loop: Header=BB468_8 Depth=1
	v_clz_i32_u32_e32 v0, v18
	s_delay_alu instid0(VALU_DEP_1) | instskip(NEXT) | instid1(VALU_DEP_1)
	v_min_u32_e32 v0, 32, v0
	v_subrev_nc_u32_e32 v1, 28, v0
	v_sub_nc_u32_e32 v0, 29, v0
	s_delay_alu instid0(VALU_DEP_2) | instskip(NEXT) | instid1(VALU_DEP_1)
	v_lshlrev_b64 v[1:2], v1, v[18:19]
	v_and_b32_e32 v32, 7, v1
; %bb.1369:                             ;   in Loop: Header=BB468_8 Depth=1
	s_or_b32 exec_lo, exec_lo, s21
	v_lshlrev_b32_e32 v1, 16, v30
	s_delay_alu instid0(VALU_DEP_2) | instskip(SKIP_1) | instid1(VALU_DEP_3)
	v_lshlrev_b32_e32 v2, 20, v32
	v_lshl_add_u32 v0, v0, 23, 0x3c000000
	v_and_b32_e32 v1, 0x80000000, v1
	s_delay_alu instid0(VALU_DEP_1)
	v_or3_b32 v0, v2, v1, v0
.LBB468_1370:                           ;   in Loop: Header=BB468_8 Depth=1
	s_or_b32 exec_lo, exec_lo, s19
.LBB468_1371:                           ;   in Loop: Header=BB468_8 Depth=1
	s_delay_alu instid0(SALU_CYCLE_1)
	s_or_b32 exec_lo, exec_lo, s17
.LBB468_1372:                           ;   in Loop: Header=BB468_8 Depth=1
	s_delay_alu instid0(SALU_CYCLE_1) | instskip(NEXT) | instid1(VALU_DEP_1)
	s_or_b32 exec_lo, exec_lo, s3
	v_mul_f32_e32 v0, v79, v0
                                        ; implicit-def: $vgpr114
	s_delay_alu instid0(VALU_DEP_1) | instskip(NEXT) | instid1(VALU_DEP_1)
	v_and_b32_e32 v1, 0x7f800000, v0
	v_cmp_ne_u32_e64 s2, 0x7f800000, v1
	s_delay_alu instid0(VALU_DEP_1) | instskip(NEXT) | instid1(SALU_CYCLE_1)
	s_and_saveexec_b32 s3, s2
	s_xor_b32 s2, exec_lo, s3
; %bb.1373:                             ;   in Loop: Header=BB468_8 Depth=1
	v_bfe_u32 v1, v0, 16, 1
	s_delay_alu instid0(VALU_DEP_1)
	v_add3_u32 v114, v0, v1, 0x7fff
                                        ; implicit-def: $vgpr0
; %bb.1374:                             ;   in Loop: Header=BB468_8 Depth=1
	s_and_not1_saveexec_b32 s3, s2
; %bb.1375:                             ;   in Loop: Header=BB468_8 Depth=1
	v_and_b32_e32 v1, 0xffff, v0
	v_or_b32_e32 v2, 0x10000, v0
	s_delay_alu instid0(VALU_DEP_2) | instskip(NEXT) | instid1(VALU_DEP_1)
	v_cmp_eq_u32_e64 s2, 0, v1
	v_cndmask_b32_e64 v114, v2, v0, s2
; %bb.1376:                             ;   in Loop: Header=BB468_8 Depth=1
	s_or_b32 exec_lo, exec_lo, s3
	v_lshrrev_b32_e32 v0, 16, v30
	s_mov_b32 s3, exec_lo
	s_delay_alu instid0(VALU_DEP_1) | instskip(NEXT) | instid1(VALU_DEP_1)
	v_dual_mov_b32 v1, 0 :: v_dual_and_b32 v2, 0xff, v0
	v_cmpx_ne_u16_e32 0, v2
	s_cbranch_execz .LBB468_1384
; %bb.1377:                             ;   in Loop: Header=BB468_8 Depth=1
	v_bfrev_b32_e32 v1, 1
	s_mov_b32 s17, exec_lo
	v_cmpx_ne_u16_e32 0x80, v2
	s_cbranch_execz .LBB468_1383
; %bb.1378:                             ;   in Loop: Header=BB468_8 Depth=1
	v_bfe_u32 v2, v30, 16, 7
	v_mov_b32_e32 v1, 0x7f800001
	s_mov_b32 s19, exec_lo
	s_delay_alu instid0(VALU_DEP_2)
	v_cmpx_ne_u32_e32 0x7f, v2
	s_cbranch_execz .LBB468_1382
; %bb.1379:                             ;   in Loop: Header=BB468_8 Depth=1
	v_and_b32_e32 v18, 7, v0
	v_lshrrev_b32_e32 v1, 3, v2
	v_mov_b32_e32 v33, v19
	s_mov_b32 s21, exec_lo
	s_delay_alu instid0(VALU_DEP_3)
	v_mov_b32_e32 v32, v18
	v_cmpx_gt_u32_e32 8, v2
; %bb.1380:                             ;   in Loop: Header=BB468_8 Depth=1
	v_clz_i32_u32_e32 v1, v18
	s_delay_alu instid0(VALU_DEP_1) | instskip(NEXT) | instid1(VALU_DEP_1)
	v_min_u32_e32 v1, 32, v1
	v_subrev_nc_u32_e32 v2, 28, v1
	v_sub_nc_u32_e32 v1, 29, v1
	s_delay_alu instid0(VALU_DEP_2) | instskip(NEXT) | instid1(VALU_DEP_1)
	v_lshlrev_b64 v[2:3], v2, v[18:19]
	v_and_b32_e32 v32, 7, v2
; %bb.1381:                             ;   in Loop: Header=BB468_8 Depth=1
	s_or_b32 exec_lo, exec_lo, s21
	v_lshlrev_b32_e32 v0, 24, v0
	s_delay_alu instid0(VALU_DEP_2) | instskip(SKIP_1) | instid1(VALU_DEP_3)
	v_lshlrev_b32_e32 v2, 20, v32
	v_lshl_add_u32 v1, v1, 23, 0x3c000000
	v_and_b32_e32 v0, 0x80000000, v0
	s_delay_alu instid0(VALU_DEP_1)
	v_or3_b32 v1, v2, v0, v1
.LBB468_1382:                           ;   in Loop: Header=BB468_8 Depth=1
	s_or_b32 exec_lo, exec_lo, s19
.LBB468_1383:                           ;   in Loop: Header=BB468_8 Depth=1
	s_delay_alu instid0(SALU_CYCLE_1)
	s_or_b32 exec_lo, exec_lo, s17
.LBB468_1384:                           ;   in Loop: Header=BB468_8 Depth=1
	s_delay_alu instid0(SALU_CYCLE_1) | instskip(NEXT) | instid1(VALU_DEP_1)
	s_or_b32 exec_lo, exec_lo, s3
	v_mul_f32_e32 v0, v79, v1
                                        ; implicit-def: $vgpr115
	s_delay_alu instid0(VALU_DEP_1) | instskip(NEXT) | instid1(VALU_DEP_1)
	v_and_b32_e32 v1, 0x7f800000, v0
	v_cmp_ne_u32_e64 s2, 0x7f800000, v1
	s_delay_alu instid0(VALU_DEP_1) | instskip(NEXT) | instid1(SALU_CYCLE_1)
	s_and_saveexec_b32 s3, s2
	s_xor_b32 s2, exec_lo, s3
; %bb.1385:                             ;   in Loop: Header=BB468_8 Depth=1
	v_bfe_u32 v1, v0, 16, 1
	s_delay_alu instid0(VALU_DEP_1)
	v_add3_u32 v115, v0, v1, 0x7fff
                                        ; implicit-def: $vgpr0
; %bb.1386:                             ;   in Loop: Header=BB468_8 Depth=1
	s_and_not1_saveexec_b32 s3, s2
; %bb.1387:                             ;   in Loop: Header=BB468_8 Depth=1
	v_and_b32_e32 v1, 0xffff, v0
	v_or_b32_e32 v2, 0x10000, v0
	s_delay_alu instid0(VALU_DEP_2) | instskip(NEXT) | instid1(VALU_DEP_1)
	v_cmp_eq_u32_e64 s2, 0, v1
	v_cndmask_b32_e64 v115, v2, v0, s2
; %bb.1388:                             ;   in Loop: Header=BB468_8 Depth=1
	s_or_b32 exec_lo, exec_lo, s3
	v_mov_b32_e32 v1, 0
	s_mov_b32 s3, exec_lo
	v_cmpx_lt_u32_e32 0xffffff, v30
	s_cbranch_execz .LBB468_1396
; %bb.1389:                             ;   in Loop: Header=BB468_8 Depth=1
	v_lshrrev_b32_e32 v0, 24, v30
	v_bfrev_b32_e32 v1, 1
	s_mov_b32 s17, exec_lo
	s_delay_alu instid0(VALU_DEP_2)
	v_cmpx_ne_u32_e32 0x80, v0
	s_cbranch_execz .LBB468_1395
; %bb.1390:                             ;   in Loop: Header=BB468_8 Depth=1
	v_bfe_u32 v2, v30, 24, 7
	v_mov_b32_e32 v1, 0x7f800001
	s_mov_b32 s19, exec_lo
	s_delay_alu instid0(VALU_DEP_2)
	v_cmpx_ne_u32_e32 0x7f, v2
	s_cbranch_execz .LBB468_1394
; %bb.1391:                             ;   in Loop: Header=BB468_8 Depth=1
	v_and_b32_e32 v18, 7, v0
	v_lshrrev_b32_e32 v1, 3, v2
	v_mov_b32_e32 v33, v19
	s_mov_b32 s21, exec_lo
	s_delay_alu instid0(VALU_DEP_3)
	v_mov_b32_e32 v32, v18
	v_cmpx_gt_u32_e32 8, v2
; %bb.1392:                             ;   in Loop: Header=BB468_8 Depth=1
	v_clz_i32_u32_e32 v1, v18
	s_delay_alu instid0(VALU_DEP_1) | instskip(NEXT) | instid1(VALU_DEP_1)
	v_min_u32_e32 v1, 32, v1
	v_subrev_nc_u32_e32 v2, 28, v1
	v_sub_nc_u32_e32 v1, 29, v1
	s_delay_alu instid0(VALU_DEP_2) | instskip(NEXT) | instid1(VALU_DEP_1)
	v_lshlrev_b64 v[2:3], v2, v[18:19]
	v_and_b32_e32 v32, 7, v2
; %bb.1393:                             ;   in Loop: Header=BB468_8 Depth=1
	s_or_b32 exec_lo, exec_lo, s21
	v_lshlrev_b32_e32 v0, 24, v0
	s_delay_alu instid0(VALU_DEP_2) | instskip(SKIP_1) | instid1(VALU_DEP_3)
	v_lshlrev_b32_e32 v2, 20, v32
	v_lshl_add_u32 v1, v1, 23, 0x3c000000
	v_and_b32_e32 v0, 0x80000000, v0
	s_delay_alu instid0(VALU_DEP_1)
	v_or3_b32 v1, v2, v0, v1
.LBB468_1394:                           ;   in Loop: Header=BB468_8 Depth=1
	s_or_b32 exec_lo, exec_lo, s19
.LBB468_1395:                           ;   in Loop: Header=BB468_8 Depth=1
	s_delay_alu instid0(SALU_CYCLE_1)
	s_or_b32 exec_lo, exec_lo, s17
.LBB468_1396:                           ;   in Loop: Header=BB468_8 Depth=1
	s_delay_alu instid0(SALU_CYCLE_1) | instskip(NEXT) | instid1(VALU_DEP_1)
	s_or_b32 exec_lo, exec_lo, s3
	v_mul_f32_e32 v0, v79, v1
                                        ; implicit-def: $vgpr116
	s_delay_alu instid0(VALU_DEP_1) | instskip(NEXT) | instid1(VALU_DEP_1)
	v_and_b32_e32 v1, 0x7f800000, v0
	v_cmp_ne_u32_e64 s2, 0x7f800000, v1
	s_delay_alu instid0(VALU_DEP_1) | instskip(NEXT) | instid1(SALU_CYCLE_1)
	s_and_saveexec_b32 s3, s2
	s_xor_b32 s2, exec_lo, s3
; %bb.1397:                             ;   in Loop: Header=BB468_8 Depth=1
	v_bfe_u32 v1, v0, 16, 1
	s_delay_alu instid0(VALU_DEP_1)
	v_add3_u32 v116, v0, v1, 0x7fff
                                        ; implicit-def: $vgpr0
; %bb.1398:                             ;   in Loop: Header=BB468_8 Depth=1
	s_and_not1_saveexec_b32 s3, s2
; %bb.1399:                             ;   in Loop: Header=BB468_8 Depth=1
	v_and_b32_e32 v1, 0xffff, v0
	v_or_b32_e32 v2, 0x10000, v0
	s_delay_alu instid0(VALU_DEP_2) | instskip(NEXT) | instid1(VALU_DEP_1)
	v_cmp_eq_u32_e64 s2, 0, v1
	v_cndmask_b32_e64 v116, v2, v0, s2
; %bb.1400:                             ;   in Loop: Header=BB468_8 Depth=1
	s_or_b32 exec_lo, exec_lo, s3
	v_dual_mov_b32 v18, v31 :: v_dual_and_b32 v1, 0xff, v31
	v_mov_b32_e32 v0, 0
	s_mov_b32 s3, exec_lo
	s_delay_alu instid0(VALU_DEP_2)
	v_cmpx_ne_u16_e32 0, v1
	s_cbranch_execz .LBB468_1408
; %bb.1401:                             ;   in Loop: Header=BB468_8 Depth=1
	v_bfrev_b32_e32 v0, 1
	s_mov_b32 s17, exec_lo
	v_cmpx_ne_u16_e32 0x80, v1
	s_cbranch_execz .LBB468_1407
; %bb.1402:                             ;   in Loop: Header=BB468_8 Depth=1
	v_and_b32_e32 v1, 0x7f, v31
	v_mov_b32_e32 v0, 0x7f800001
	s_mov_b32 s19, exec_lo
	s_delay_alu instid0(VALU_DEP_2)
	v_cmpx_ne_u32_e32 0x7f, v1
	s_cbranch_execz .LBB468_1406
; %bb.1403:                             ;   in Loop: Header=BB468_8 Depth=1
	v_lshrrev_b32_e32 v0, 3, v1
	v_dual_mov_b32 v33, v19 :: v_dual_mov_b32 v32, v18
	s_mov_b32 s21, exec_lo
	v_cmpx_gt_u32_e32 8, v1
; %bb.1404:                             ;   in Loop: Header=BB468_8 Depth=1
	v_and_b32_e32 v0, 7, v31
	s_delay_alu instid0(VALU_DEP_1) | instskip(NEXT) | instid1(VALU_DEP_1)
	v_clz_i32_u32_e32 v0, v0
	v_min_u32_e32 v0, 32, v0
	s_delay_alu instid0(VALU_DEP_1) | instskip(SKIP_1) | instid1(VALU_DEP_2)
	v_subrev_nc_u32_e32 v1, 28, v0
	v_sub_nc_u32_e32 v0, 29, v0
	v_lshlrev_b64 v[32:33], v1, v[18:19]
; %bb.1405:                             ;   in Loop: Header=BB468_8 Depth=1
	s_or_b32 exec_lo, exec_lo, s21
	s_delay_alu instid0(VALU_DEP_1) | instskip(SKIP_2) | instid1(VALU_DEP_3)
	v_lshlrev_b32_e32 v1, 20, v32
	v_lshlrev_b32_e32 v2, 24, v18
	v_lshl_add_u32 v0, v0, 23, 0x3c000000
	v_and_b32_e32 v1, 0x700000, v1
	s_delay_alu instid0(VALU_DEP_3) | instskip(NEXT) | instid1(VALU_DEP_1)
	v_and_b32_e32 v2, 0x80000000, v2
	v_or3_b32 v0, v1, v2, v0
.LBB468_1406:                           ;   in Loop: Header=BB468_8 Depth=1
	s_or_b32 exec_lo, exec_lo, s19
.LBB468_1407:                           ;   in Loop: Header=BB468_8 Depth=1
	s_delay_alu instid0(SALU_CYCLE_1)
	s_or_b32 exec_lo, exec_lo, s17
.LBB468_1408:                           ;   in Loop: Header=BB468_8 Depth=1
	s_delay_alu instid0(SALU_CYCLE_1) | instskip(NEXT) | instid1(VALU_DEP_1)
	s_or_b32 exec_lo, exec_lo, s3
	v_mul_f32_e32 v0, v79, v0
                                        ; implicit-def: $vgpr117
	s_delay_alu instid0(VALU_DEP_1) | instskip(NEXT) | instid1(VALU_DEP_1)
	v_and_b32_e32 v1, 0x7f800000, v0
	v_cmp_ne_u32_e64 s2, 0x7f800000, v1
	s_delay_alu instid0(VALU_DEP_1) | instskip(NEXT) | instid1(SALU_CYCLE_1)
	s_and_saveexec_b32 s3, s2
	s_xor_b32 s2, exec_lo, s3
; %bb.1409:                             ;   in Loop: Header=BB468_8 Depth=1
	v_bfe_u32 v1, v0, 16, 1
	s_delay_alu instid0(VALU_DEP_1)
	v_add3_u32 v117, v0, v1, 0x7fff
                                        ; implicit-def: $vgpr0
; %bb.1410:                             ;   in Loop: Header=BB468_8 Depth=1
	s_and_not1_saveexec_b32 s3, s2
; %bb.1411:                             ;   in Loop: Header=BB468_8 Depth=1
	v_and_b32_e32 v1, 0xffff, v0
	v_or_b32_e32 v2, 0x10000, v0
	s_delay_alu instid0(VALU_DEP_2) | instskip(NEXT) | instid1(VALU_DEP_1)
	v_cmp_eq_u32_e64 s2, 0, v1
	v_cndmask_b32_e64 v117, v2, v0, s2
; %bb.1412:                             ;   in Loop: Header=BB468_8 Depth=1
	s_or_b32 exec_lo, exec_lo, s3
	v_lshrrev_b16 v1, 8, v18
	v_mov_b32_e32 v0, 0
	s_mov_b32 s3, exec_lo
	s_delay_alu instid0(VALU_DEP_2)
	v_cmpx_ne_u16_e32 0, v1
	s_cbranch_execz .LBB468_1420
; %bb.1413:                             ;   in Loop: Header=BB468_8 Depth=1
	v_bfrev_b32_e32 v0, 1
	s_mov_b32 s17, exec_lo
	v_cmpx_ne_u16_e32 0x80, v1
	s_cbranch_execz .LBB468_1419
; %bb.1414:                             ;   in Loop: Header=BB468_8 Depth=1
	v_and_b32_e32 v2, 0xffff, v1
	v_mov_b32_e32 v0, 0x7f800001
	s_mov_b32 s19, exec_lo
	s_delay_alu instid0(VALU_DEP_2) | instskip(NEXT) | instid1(VALU_DEP_1)
	v_and_b32_e32 v1, 0x7f, v2
	v_cmpx_ne_u32_e32 0x7f, v1
	s_cbranch_execz .LBB468_1418
; %bb.1415:                             ;   in Loop: Header=BB468_8 Depth=1
	v_dual_mov_b32 v33, v19 :: v_dual_and_b32 v32, 7, v2
	v_lshrrev_b32_e32 v0, 3, v1
	s_mov_b32 s21, exec_lo
	v_cmpx_gt_u32_e32 8, v1
; %bb.1416:                             ;   in Loop: Header=BB468_8 Depth=1
	s_delay_alu instid0(VALU_DEP_3) | instskip(NEXT) | instid1(VALU_DEP_1)
	v_clz_i32_u32_e32 v0, v32
	v_min_u32_e32 v0, 32, v0
	s_delay_alu instid0(VALU_DEP_1) | instskip(SKIP_1) | instid1(VALU_DEP_2)
	v_subrev_nc_u32_e32 v1, 28, v0
	v_sub_nc_u32_e32 v0, 29, v0
	v_lshlrev_b64 v[1:2], v1, v[32:33]
	s_delay_alu instid0(VALU_DEP_1)
	v_and_b32_e32 v32, 7, v1
; %bb.1417:                             ;   in Loop: Header=BB468_8 Depth=1
	s_or_b32 exec_lo, exec_lo, s21
	v_lshlrev_b32_e32 v1, 16, v18
	s_delay_alu instid0(VALU_DEP_2) | instskip(SKIP_1) | instid1(VALU_DEP_3)
	v_lshlrev_b32_e32 v2, 20, v32
	v_lshl_add_u32 v0, v0, 23, 0x3c000000
	v_and_b32_e32 v1, 0x80000000, v1
	s_delay_alu instid0(VALU_DEP_1)
	v_or3_b32 v0, v2, v1, v0
.LBB468_1418:                           ;   in Loop: Header=BB468_8 Depth=1
	s_or_b32 exec_lo, exec_lo, s19
.LBB468_1419:                           ;   in Loop: Header=BB468_8 Depth=1
	s_delay_alu instid0(SALU_CYCLE_1)
	s_or_b32 exec_lo, exec_lo, s17
.LBB468_1420:                           ;   in Loop: Header=BB468_8 Depth=1
	s_delay_alu instid0(SALU_CYCLE_1) | instskip(NEXT) | instid1(VALU_DEP_1)
	s_or_b32 exec_lo, exec_lo, s3
	v_mul_f32_e32 v0, v79, v0
                                        ; implicit-def: $vgpr118
	s_delay_alu instid0(VALU_DEP_1) | instskip(NEXT) | instid1(VALU_DEP_1)
	v_and_b32_e32 v1, 0x7f800000, v0
	v_cmp_ne_u32_e64 s2, 0x7f800000, v1
	s_delay_alu instid0(VALU_DEP_1) | instskip(NEXT) | instid1(SALU_CYCLE_1)
	s_and_saveexec_b32 s3, s2
	s_xor_b32 s2, exec_lo, s3
; %bb.1421:                             ;   in Loop: Header=BB468_8 Depth=1
	v_bfe_u32 v1, v0, 16, 1
	s_delay_alu instid0(VALU_DEP_1)
	v_add3_u32 v118, v0, v1, 0x7fff
                                        ; implicit-def: $vgpr0
; %bb.1422:                             ;   in Loop: Header=BB468_8 Depth=1
	s_and_not1_saveexec_b32 s3, s2
; %bb.1423:                             ;   in Loop: Header=BB468_8 Depth=1
	v_and_b32_e32 v1, 0xffff, v0
	v_or_b32_e32 v2, 0x10000, v0
	s_delay_alu instid0(VALU_DEP_2) | instskip(NEXT) | instid1(VALU_DEP_1)
	v_cmp_eq_u32_e64 s2, 0, v1
	v_cndmask_b32_e64 v118, v2, v0, s2
; %bb.1424:                             ;   in Loop: Header=BB468_8 Depth=1
	s_or_b32 exec_lo, exec_lo, s3
	v_lshrrev_b32_e32 v0, 16, v31
	s_mov_b32 s3, exec_lo
	s_delay_alu instid0(VALU_DEP_1) | instskip(NEXT) | instid1(VALU_DEP_1)
	v_dual_mov_b32 v1, 0 :: v_dual_and_b32 v2, 0xff, v0
	v_cmpx_ne_u16_e32 0, v2
	s_cbranch_execz .LBB468_1432
; %bb.1425:                             ;   in Loop: Header=BB468_8 Depth=1
	v_bfrev_b32_e32 v1, 1
	s_mov_b32 s17, exec_lo
	v_cmpx_ne_u16_e32 0x80, v2
	s_cbranch_execz .LBB468_1431
; %bb.1426:                             ;   in Loop: Header=BB468_8 Depth=1
	v_bfe_u32 v2, v31, 16, 7
	v_mov_b32_e32 v1, 0x7f800001
	s_mov_b32 s19, exec_lo
	s_delay_alu instid0(VALU_DEP_2)
	v_cmpx_ne_u32_e32 0x7f, v2
	s_cbranch_execz .LBB468_1430
; %bb.1427:                             ;   in Loop: Header=BB468_8 Depth=1
	v_and_b32_e32 v18, 7, v0
	v_lshrrev_b32_e32 v1, 3, v2
	v_mov_b32_e32 v33, v19
	s_mov_b32 s21, exec_lo
	s_delay_alu instid0(VALU_DEP_3)
	v_mov_b32_e32 v32, v18
	v_cmpx_gt_u32_e32 8, v2
; %bb.1428:                             ;   in Loop: Header=BB468_8 Depth=1
	v_clz_i32_u32_e32 v1, v18
	s_delay_alu instid0(VALU_DEP_1) | instskip(NEXT) | instid1(VALU_DEP_1)
	v_min_u32_e32 v1, 32, v1
	v_subrev_nc_u32_e32 v2, 28, v1
	v_sub_nc_u32_e32 v1, 29, v1
	s_delay_alu instid0(VALU_DEP_2) | instskip(NEXT) | instid1(VALU_DEP_1)
	v_lshlrev_b64 v[2:3], v2, v[18:19]
	v_and_b32_e32 v32, 7, v2
; %bb.1429:                             ;   in Loop: Header=BB468_8 Depth=1
	s_or_b32 exec_lo, exec_lo, s21
	v_lshlrev_b32_e32 v0, 24, v0
	s_delay_alu instid0(VALU_DEP_2) | instskip(SKIP_1) | instid1(VALU_DEP_3)
	v_lshlrev_b32_e32 v2, 20, v32
	v_lshl_add_u32 v1, v1, 23, 0x3c000000
	v_and_b32_e32 v0, 0x80000000, v0
	s_delay_alu instid0(VALU_DEP_1)
	v_or3_b32 v1, v2, v0, v1
.LBB468_1430:                           ;   in Loop: Header=BB468_8 Depth=1
	s_or_b32 exec_lo, exec_lo, s19
.LBB468_1431:                           ;   in Loop: Header=BB468_8 Depth=1
	s_delay_alu instid0(SALU_CYCLE_1)
	s_or_b32 exec_lo, exec_lo, s17
.LBB468_1432:                           ;   in Loop: Header=BB468_8 Depth=1
	s_delay_alu instid0(SALU_CYCLE_1) | instskip(NEXT) | instid1(VALU_DEP_1)
	s_or_b32 exec_lo, exec_lo, s3
	v_mul_f32_e32 v0, v79, v1
                                        ; implicit-def: $vgpr119
	s_delay_alu instid0(VALU_DEP_1) | instskip(NEXT) | instid1(VALU_DEP_1)
	v_and_b32_e32 v1, 0x7f800000, v0
	v_cmp_ne_u32_e64 s2, 0x7f800000, v1
	s_delay_alu instid0(VALU_DEP_1) | instskip(NEXT) | instid1(SALU_CYCLE_1)
	s_and_saveexec_b32 s3, s2
	s_xor_b32 s2, exec_lo, s3
; %bb.1433:                             ;   in Loop: Header=BB468_8 Depth=1
	v_bfe_u32 v1, v0, 16, 1
	s_delay_alu instid0(VALU_DEP_1)
	v_add3_u32 v119, v0, v1, 0x7fff
                                        ; implicit-def: $vgpr0
; %bb.1434:                             ;   in Loop: Header=BB468_8 Depth=1
	s_and_not1_saveexec_b32 s3, s2
; %bb.1435:                             ;   in Loop: Header=BB468_8 Depth=1
	v_and_b32_e32 v1, 0xffff, v0
	v_or_b32_e32 v2, 0x10000, v0
	s_delay_alu instid0(VALU_DEP_2) | instskip(NEXT) | instid1(VALU_DEP_1)
	v_cmp_eq_u32_e64 s2, 0, v1
	v_cndmask_b32_e64 v119, v2, v0, s2
; %bb.1436:                             ;   in Loop: Header=BB468_8 Depth=1
	s_or_b32 exec_lo, exec_lo, s3
	v_mov_b32_e32 v1, 0
	s_mov_b32 s3, exec_lo
	v_cmpx_lt_u64_e64 s[4:5], v[30:31]
	s_cbranch_execz .LBB468_1444
; %bb.1437:                             ;   in Loop: Header=BB468_8 Depth=1
	v_lshrrev_b32_e32 v0, 24, v31
	v_bfrev_b32_e32 v1, 1
	s_mov_b32 s17, exec_lo
	s_delay_alu instid0(VALU_DEP_2)
	v_cmpx_ne_u32_e32 0x80, v0
	s_cbranch_execz .LBB468_1443
; %bb.1438:                             ;   in Loop: Header=BB468_8 Depth=1
	v_bfe_u32 v2, v31, 24, 7
	v_mov_b32_e32 v1, 0x7f800001
	s_mov_b32 s19, exec_lo
	s_delay_alu instid0(VALU_DEP_2)
	v_cmpx_ne_u32_e32 0x7f, v2
	s_cbranch_execz .LBB468_1442
; %bb.1439:                             ;   in Loop: Header=BB468_8 Depth=1
	v_and_b32_e32 v18, 7, v0
	v_lshrrev_b32_e32 v1, 3, v2
	v_mov_b32_e32 v31, v19
	s_mov_b32 s21, exec_lo
	s_delay_alu instid0(VALU_DEP_3)
	v_mov_b32_e32 v30, v18
	v_cmpx_gt_u32_e32 8, v2
; %bb.1440:                             ;   in Loop: Header=BB468_8 Depth=1
	v_clz_i32_u32_e32 v1, v18
	s_delay_alu instid0(VALU_DEP_1) | instskip(NEXT) | instid1(VALU_DEP_1)
	v_min_u32_e32 v1, 32, v1
	v_subrev_nc_u32_e32 v2, 28, v1
	v_sub_nc_u32_e32 v1, 29, v1
	s_delay_alu instid0(VALU_DEP_2) | instskip(NEXT) | instid1(VALU_DEP_1)
	v_lshlrev_b64 v[2:3], v2, v[18:19]
	v_and_b32_e32 v30, 7, v2
; %bb.1441:                             ;   in Loop: Header=BB468_8 Depth=1
	s_or_b32 exec_lo, exec_lo, s21
	v_lshlrev_b32_e32 v0, 24, v0
	s_delay_alu instid0(VALU_DEP_2) | instskip(SKIP_1) | instid1(VALU_DEP_3)
	v_lshlrev_b32_e32 v2, 20, v30
	v_lshl_add_u32 v1, v1, 23, 0x3c000000
	v_and_b32_e32 v0, 0x80000000, v0
	s_delay_alu instid0(VALU_DEP_1)
	v_or3_b32 v1, v2, v0, v1
.LBB468_1442:                           ;   in Loop: Header=BB468_8 Depth=1
	s_or_b32 exec_lo, exec_lo, s19
.LBB468_1443:                           ;   in Loop: Header=BB468_8 Depth=1
	s_delay_alu instid0(SALU_CYCLE_1)
	s_or_b32 exec_lo, exec_lo, s17
.LBB468_1444:                           ;   in Loop: Header=BB468_8 Depth=1
	s_delay_alu instid0(SALU_CYCLE_1) | instskip(NEXT) | instid1(VALU_DEP_1)
	s_or_b32 exec_lo, exec_lo, s3
	v_mul_f32_e32 v0, v79, v1
                                        ; implicit-def: $vgpr128
	s_delay_alu instid0(VALU_DEP_1) | instskip(NEXT) | instid1(VALU_DEP_1)
	v_and_b32_e32 v1, 0x7f800000, v0
	v_cmp_ne_u32_e64 s2, 0x7f800000, v1
	s_delay_alu instid0(VALU_DEP_1) | instskip(NEXT) | instid1(SALU_CYCLE_1)
	s_and_saveexec_b32 s3, s2
	s_xor_b32 s2, exec_lo, s3
; %bb.1445:                             ;   in Loop: Header=BB468_8 Depth=1
	v_bfe_u32 v1, v0, 16, 1
	s_delay_alu instid0(VALU_DEP_1)
	v_add3_u32 v128, v0, v1, 0x7fff
                                        ; implicit-def: $vgpr0
; %bb.1446:                             ;   in Loop: Header=BB468_8 Depth=1
	s_and_not1_saveexec_b32 s3, s2
; %bb.1447:                             ;   in Loop: Header=BB468_8 Depth=1
	v_and_b32_e32 v1, 0xffff, v0
	v_or_b32_e32 v2, 0x10000, v0
	s_delay_alu instid0(VALU_DEP_2) | instskip(NEXT) | instid1(VALU_DEP_1)
	v_cmp_eq_u32_e64 s2, 0, v1
	v_cndmask_b32_e64 v128, v2, v0, s2
; %bb.1448:                             ;   in Loop: Header=BB468_8 Depth=1
	s_or_b32 exec_lo, exec_lo, s3
	flat_load_b64 v[30:31], v[28:29] offset:3592
	s_mov_b32 s3, exec_lo
	s_waitcnt vmcnt(0) lgkmcnt(0)
	v_dual_mov_b32 v0, 0 :: v_dual_and_b32 v1, 0xff, v30
	s_delay_alu instid0(VALU_DEP_1)
	v_cmpx_ne_u16_e32 0, v1
	s_cbranch_execz .LBB468_1456
; %bb.1449:                             ;   in Loop: Header=BB468_8 Depth=1
	v_bfrev_b32_e32 v0, 1
	s_mov_b32 s17, exec_lo
	v_cmpx_ne_u16_e32 0x80, v1
	s_cbranch_execz .LBB468_1455
; %bb.1450:                             ;   in Loop: Header=BB468_8 Depth=1
	v_and_b32_e32 v1, 0x7f, v30
	v_mov_b32_e32 v0, 0x7f800001
	s_mov_b32 s19, exec_lo
	s_delay_alu instid0(VALU_DEP_2)
	v_cmpx_ne_u32_e32 0x7f, v1
	s_cbranch_execz .LBB468_1454
; %bb.1451:                             ;   in Loop: Header=BB468_8 Depth=1
	v_lshrrev_b32_e32 v0, 3, v1
	v_dual_mov_b32 v33, v31 :: v_dual_mov_b32 v32, v30
	s_mov_b32 s21, exec_lo
	v_cmpx_gt_u32_e32 8, v1
; %bb.1452:                             ;   in Loop: Header=BB468_8 Depth=1
	v_and_b32_e32 v0, 7, v30
	s_delay_alu instid0(VALU_DEP_1) | instskip(NEXT) | instid1(VALU_DEP_1)
	v_clz_i32_u32_e32 v0, v0
	v_min_u32_e32 v0, 32, v0
	s_delay_alu instid0(VALU_DEP_1) | instskip(SKIP_1) | instid1(VALU_DEP_2)
	v_subrev_nc_u32_e32 v1, 28, v0
	v_sub_nc_u32_e32 v0, 29, v0
	v_lshlrev_b64 v[32:33], v1, v[30:31]
; %bb.1453:                             ;   in Loop: Header=BB468_8 Depth=1
	s_or_b32 exec_lo, exec_lo, s21
	s_delay_alu instid0(VALU_DEP_1) | instskip(SKIP_2) | instid1(VALU_DEP_3)
	v_lshlrev_b32_e32 v1, 20, v32
	v_lshlrev_b32_e32 v2, 24, v30
	v_lshl_add_u32 v0, v0, 23, 0x3c000000
	v_and_b32_e32 v1, 0x700000, v1
	s_delay_alu instid0(VALU_DEP_3) | instskip(NEXT) | instid1(VALU_DEP_1)
	v_and_b32_e32 v2, 0x80000000, v2
	v_or3_b32 v0, v1, v2, v0
.LBB468_1454:                           ;   in Loop: Header=BB468_8 Depth=1
	s_or_b32 exec_lo, exec_lo, s19
.LBB468_1455:                           ;   in Loop: Header=BB468_8 Depth=1
	s_delay_alu instid0(SALU_CYCLE_1)
	s_or_b32 exec_lo, exec_lo, s17
.LBB468_1456:                           ;   in Loop: Header=BB468_8 Depth=1
	s_delay_alu instid0(SALU_CYCLE_1) | instskip(NEXT) | instid1(VALU_DEP_1)
	s_or_b32 exec_lo, exec_lo, s3
	v_mul_f32_e32 v0, v79, v0
                                        ; implicit-def: $vgpr129
	s_delay_alu instid0(VALU_DEP_1) | instskip(NEXT) | instid1(VALU_DEP_1)
	v_and_b32_e32 v1, 0x7f800000, v0
	v_cmp_ne_u32_e64 s2, 0x7f800000, v1
	s_delay_alu instid0(VALU_DEP_1) | instskip(NEXT) | instid1(SALU_CYCLE_1)
	s_and_saveexec_b32 s3, s2
	s_xor_b32 s2, exec_lo, s3
; %bb.1457:                             ;   in Loop: Header=BB468_8 Depth=1
	v_bfe_u32 v1, v0, 16, 1
	s_delay_alu instid0(VALU_DEP_1)
	v_add3_u32 v129, v0, v1, 0x7fff
                                        ; implicit-def: $vgpr0
; %bb.1458:                             ;   in Loop: Header=BB468_8 Depth=1
	s_and_not1_saveexec_b32 s3, s2
; %bb.1459:                             ;   in Loop: Header=BB468_8 Depth=1
	v_and_b32_e32 v1, 0xffff, v0
	v_or_b32_e32 v2, 0x10000, v0
	s_delay_alu instid0(VALU_DEP_2) | instskip(NEXT) | instid1(VALU_DEP_1)
	v_cmp_eq_u32_e64 s2, 0, v1
	v_cndmask_b32_e64 v129, v2, v0, s2
; %bb.1460:                             ;   in Loop: Header=BB468_8 Depth=1
	s_or_b32 exec_lo, exec_lo, s3
	v_lshrrev_b16 v1, 8, v30
	v_mov_b32_e32 v0, 0
	s_mov_b32 s3, exec_lo
	s_delay_alu instid0(VALU_DEP_2)
	v_cmpx_ne_u16_e32 0, v1
	s_cbranch_execz .LBB468_1468
; %bb.1461:                             ;   in Loop: Header=BB468_8 Depth=1
	v_bfrev_b32_e32 v0, 1
	s_mov_b32 s17, exec_lo
	v_cmpx_ne_u16_e32 0x80, v1
	s_cbranch_execz .LBB468_1467
; %bb.1462:                             ;   in Loop: Header=BB468_8 Depth=1
	v_and_b32_e32 v2, 0xffff, v1
	v_mov_b32_e32 v0, 0x7f800001
	s_mov_b32 s19, exec_lo
	s_delay_alu instid0(VALU_DEP_2) | instskip(NEXT) | instid1(VALU_DEP_1)
	v_and_b32_e32 v1, 0x7f, v2
	v_cmpx_ne_u32_e32 0x7f, v1
	s_cbranch_execz .LBB468_1466
; %bb.1463:                             ;   in Loop: Header=BB468_8 Depth=1
	v_and_b32_e32 v18, 7, v2
	v_mov_b32_e32 v33, v19
	v_lshrrev_b32_e32 v0, 3, v1
	s_mov_b32 s21, exec_lo
	s_delay_alu instid0(VALU_DEP_3)
	v_mov_b32_e32 v32, v18
	v_cmpx_gt_u32_e32 8, v1
; %bb.1464:                             ;   in Loop: Header=BB468_8 Depth=1
	v_clz_i32_u32_e32 v0, v18
	s_delay_alu instid0(VALU_DEP_1) | instskip(NEXT) | instid1(VALU_DEP_1)
	v_min_u32_e32 v0, 32, v0
	v_subrev_nc_u32_e32 v1, 28, v0
	v_sub_nc_u32_e32 v0, 29, v0
	s_delay_alu instid0(VALU_DEP_2) | instskip(NEXT) | instid1(VALU_DEP_1)
	v_lshlrev_b64 v[1:2], v1, v[18:19]
	v_and_b32_e32 v32, 7, v1
; %bb.1465:                             ;   in Loop: Header=BB468_8 Depth=1
	s_or_b32 exec_lo, exec_lo, s21
	v_lshlrev_b32_e32 v1, 16, v30
	s_delay_alu instid0(VALU_DEP_2) | instskip(SKIP_1) | instid1(VALU_DEP_3)
	v_lshlrev_b32_e32 v2, 20, v32
	v_lshl_add_u32 v0, v0, 23, 0x3c000000
	v_and_b32_e32 v1, 0x80000000, v1
	s_delay_alu instid0(VALU_DEP_1)
	v_or3_b32 v0, v2, v1, v0
.LBB468_1466:                           ;   in Loop: Header=BB468_8 Depth=1
	s_or_b32 exec_lo, exec_lo, s19
.LBB468_1467:                           ;   in Loop: Header=BB468_8 Depth=1
	s_delay_alu instid0(SALU_CYCLE_1)
	s_or_b32 exec_lo, exec_lo, s17
.LBB468_1468:                           ;   in Loop: Header=BB468_8 Depth=1
	s_delay_alu instid0(SALU_CYCLE_1) | instskip(NEXT) | instid1(VALU_DEP_1)
	s_or_b32 exec_lo, exec_lo, s3
	v_mul_f32_e32 v0, v79, v0
                                        ; implicit-def: $vgpr130
	s_delay_alu instid0(VALU_DEP_1) | instskip(NEXT) | instid1(VALU_DEP_1)
	v_and_b32_e32 v1, 0x7f800000, v0
	v_cmp_ne_u32_e64 s2, 0x7f800000, v1
	s_delay_alu instid0(VALU_DEP_1) | instskip(NEXT) | instid1(SALU_CYCLE_1)
	s_and_saveexec_b32 s3, s2
	s_xor_b32 s2, exec_lo, s3
; %bb.1469:                             ;   in Loop: Header=BB468_8 Depth=1
	v_bfe_u32 v1, v0, 16, 1
	s_delay_alu instid0(VALU_DEP_1)
	v_add3_u32 v130, v0, v1, 0x7fff
                                        ; implicit-def: $vgpr0
; %bb.1470:                             ;   in Loop: Header=BB468_8 Depth=1
	s_and_not1_saveexec_b32 s3, s2
; %bb.1471:                             ;   in Loop: Header=BB468_8 Depth=1
	v_and_b32_e32 v1, 0xffff, v0
	v_or_b32_e32 v2, 0x10000, v0
	s_delay_alu instid0(VALU_DEP_2) | instskip(NEXT) | instid1(VALU_DEP_1)
	v_cmp_eq_u32_e64 s2, 0, v1
	v_cndmask_b32_e64 v130, v2, v0, s2
; %bb.1472:                             ;   in Loop: Header=BB468_8 Depth=1
	s_or_b32 exec_lo, exec_lo, s3
	v_lshrrev_b32_e32 v0, 16, v30
	s_mov_b32 s3, exec_lo
	s_delay_alu instid0(VALU_DEP_1) | instskip(NEXT) | instid1(VALU_DEP_1)
	v_dual_mov_b32 v1, 0 :: v_dual_and_b32 v2, 0xff, v0
	v_cmpx_ne_u16_e32 0, v2
	s_cbranch_execz .LBB468_1480
; %bb.1473:                             ;   in Loop: Header=BB468_8 Depth=1
	v_bfrev_b32_e32 v1, 1
	s_mov_b32 s17, exec_lo
	v_cmpx_ne_u16_e32 0x80, v2
	s_cbranch_execz .LBB468_1479
; %bb.1474:                             ;   in Loop: Header=BB468_8 Depth=1
	v_bfe_u32 v2, v30, 16, 7
	v_mov_b32_e32 v1, 0x7f800001
	s_mov_b32 s19, exec_lo
	s_delay_alu instid0(VALU_DEP_2)
	v_cmpx_ne_u32_e32 0x7f, v2
	s_cbranch_execz .LBB468_1478
; %bb.1475:                             ;   in Loop: Header=BB468_8 Depth=1
	v_and_b32_e32 v18, 7, v0
	v_mov_b32_e32 v33, v19
	v_lshrrev_b32_e32 v1, 3, v2
	s_mov_b32 s21, exec_lo
	s_delay_alu instid0(VALU_DEP_3)
	v_mov_b32_e32 v32, v18
	v_cmpx_gt_u32_e32 8, v2
; %bb.1476:                             ;   in Loop: Header=BB468_8 Depth=1
	v_clz_i32_u32_e32 v1, v18
	s_delay_alu instid0(VALU_DEP_1) | instskip(NEXT) | instid1(VALU_DEP_1)
	v_min_u32_e32 v1, 32, v1
	v_subrev_nc_u32_e32 v2, 28, v1
	v_sub_nc_u32_e32 v1, 29, v1
	s_delay_alu instid0(VALU_DEP_2) | instskip(NEXT) | instid1(VALU_DEP_1)
	v_lshlrev_b64 v[2:3], v2, v[18:19]
	v_and_b32_e32 v32, 7, v2
; %bb.1477:                             ;   in Loop: Header=BB468_8 Depth=1
	s_or_b32 exec_lo, exec_lo, s21
	v_lshlrev_b32_e32 v0, 24, v0
	s_delay_alu instid0(VALU_DEP_2) | instskip(SKIP_1) | instid1(VALU_DEP_3)
	v_lshlrev_b32_e32 v2, 20, v32
	v_lshl_add_u32 v1, v1, 23, 0x3c000000
	v_and_b32_e32 v0, 0x80000000, v0
	s_delay_alu instid0(VALU_DEP_1)
	v_or3_b32 v1, v2, v0, v1
.LBB468_1478:                           ;   in Loop: Header=BB468_8 Depth=1
	s_or_b32 exec_lo, exec_lo, s19
.LBB468_1479:                           ;   in Loop: Header=BB468_8 Depth=1
	s_delay_alu instid0(SALU_CYCLE_1)
	s_or_b32 exec_lo, exec_lo, s17
.LBB468_1480:                           ;   in Loop: Header=BB468_8 Depth=1
	s_delay_alu instid0(SALU_CYCLE_1) | instskip(NEXT) | instid1(VALU_DEP_1)
	s_or_b32 exec_lo, exec_lo, s3
	v_mul_f32_e32 v0, v79, v1
                                        ; implicit-def: $vgpr131
	s_delay_alu instid0(VALU_DEP_1) | instskip(NEXT) | instid1(VALU_DEP_1)
	v_and_b32_e32 v1, 0x7f800000, v0
	v_cmp_ne_u32_e64 s2, 0x7f800000, v1
	s_delay_alu instid0(VALU_DEP_1) | instskip(NEXT) | instid1(SALU_CYCLE_1)
	s_and_saveexec_b32 s3, s2
	s_xor_b32 s2, exec_lo, s3
; %bb.1481:                             ;   in Loop: Header=BB468_8 Depth=1
	v_bfe_u32 v1, v0, 16, 1
	s_delay_alu instid0(VALU_DEP_1)
	v_add3_u32 v131, v0, v1, 0x7fff
                                        ; implicit-def: $vgpr0
; %bb.1482:                             ;   in Loop: Header=BB468_8 Depth=1
	s_and_not1_saveexec_b32 s3, s2
; %bb.1483:                             ;   in Loop: Header=BB468_8 Depth=1
	v_and_b32_e32 v1, 0xffff, v0
	v_or_b32_e32 v2, 0x10000, v0
	s_delay_alu instid0(VALU_DEP_2) | instskip(NEXT) | instid1(VALU_DEP_1)
	v_cmp_eq_u32_e64 s2, 0, v1
	v_cndmask_b32_e64 v131, v2, v0, s2
; %bb.1484:                             ;   in Loop: Header=BB468_8 Depth=1
	s_or_b32 exec_lo, exec_lo, s3
	v_mov_b32_e32 v1, 0
	s_mov_b32 s3, exec_lo
	v_cmpx_lt_u32_e32 0xffffff, v30
	s_cbranch_execz .LBB468_1492
; %bb.1485:                             ;   in Loop: Header=BB468_8 Depth=1
	v_lshrrev_b32_e32 v0, 24, v30
	v_bfrev_b32_e32 v1, 1
	s_mov_b32 s17, exec_lo
	s_delay_alu instid0(VALU_DEP_2)
	v_cmpx_ne_u32_e32 0x80, v0
	s_cbranch_execz .LBB468_1491
; %bb.1486:                             ;   in Loop: Header=BB468_8 Depth=1
	v_bfe_u32 v2, v30, 24, 7
	v_mov_b32_e32 v1, 0x7f800001
	s_mov_b32 s19, exec_lo
	s_delay_alu instid0(VALU_DEP_2)
	v_cmpx_ne_u32_e32 0x7f, v2
	s_cbranch_execz .LBB468_1490
; %bb.1487:                             ;   in Loop: Header=BB468_8 Depth=1
	v_and_b32_e32 v18, 7, v0
	v_mov_b32_e32 v33, v19
	v_lshrrev_b32_e32 v1, 3, v2
	s_mov_b32 s21, exec_lo
	s_delay_alu instid0(VALU_DEP_3)
	v_mov_b32_e32 v32, v18
	v_cmpx_gt_u32_e32 8, v2
; %bb.1488:                             ;   in Loop: Header=BB468_8 Depth=1
	v_clz_i32_u32_e32 v1, v18
	s_delay_alu instid0(VALU_DEP_1) | instskip(NEXT) | instid1(VALU_DEP_1)
	v_min_u32_e32 v1, 32, v1
	v_subrev_nc_u32_e32 v2, 28, v1
	v_sub_nc_u32_e32 v1, 29, v1
	s_delay_alu instid0(VALU_DEP_2) | instskip(NEXT) | instid1(VALU_DEP_1)
	v_lshlrev_b64 v[2:3], v2, v[18:19]
	v_and_b32_e32 v32, 7, v2
; %bb.1489:                             ;   in Loop: Header=BB468_8 Depth=1
	s_or_b32 exec_lo, exec_lo, s21
	v_lshlrev_b32_e32 v0, 24, v0
	s_delay_alu instid0(VALU_DEP_2) | instskip(SKIP_1) | instid1(VALU_DEP_3)
	v_lshlrev_b32_e32 v2, 20, v32
	v_lshl_add_u32 v1, v1, 23, 0x3c000000
	v_and_b32_e32 v0, 0x80000000, v0
	s_delay_alu instid0(VALU_DEP_1)
	v_or3_b32 v1, v2, v0, v1
.LBB468_1490:                           ;   in Loop: Header=BB468_8 Depth=1
	s_or_b32 exec_lo, exec_lo, s19
.LBB468_1491:                           ;   in Loop: Header=BB468_8 Depth=1
	s_delay_alu instid0(SALU_CYCLE_1)
	s_or_b32 exec_lo, exec_lo, s17
.LBB468_1492:                           ;   in Loop: Header=BB468_8 Depth=1
	s_delay_alu instid0(SALU_CYCLE_1) | instskip(NEXT) | instid1(VALU_DEP_1)
	s_or_b32 exec_lo, exec_lo, s3
	v_mul_f32_e32 v0, v79, v1
                                        ; implicit-def: $vgpr132
	s_delay_alu instid0(VALU_DEP_1) | instskip(NEXT) | instid1(VALU_DEP_1)
	v_and_b32_e32 v1, 0x7f800000, v0
	v_cmp_ne_u32_e64 s2, 0x7f800000, v1
	s_delay_alu instid0(VALU_DEP_1) | instskip(NEXT) | instid1(SALU_CYCLE_1)
	s_and_saveexec_b32 s3, s2
	s_xor_b32 s2, exec_lo, s3
; %bb.1493:                             ;   in Loop: Header=BB468_8 Depth=1
	v_bfe_u32 v1, v0, 16, 1
	s_delay_alu instid0(VALU_DEP_1)
	v_add3_u32 v132, v0, v1, 0x7fff
                                        ; implicit-def: $vgpr0
; %bb.1494:                             ;   in Loop: Header=BB468_8 Depth=1
	s_and_not1_saveexec_b32 s3, s2
; %bb.1495:                             ;   in Loop: Header=BB468_8 Depth=1
	v_and_b32_e32 v1, 0xffff, v0
	v_or_b32_e32 v2, 0x10000, v0
	s_delay_alu instid0(VALU_DEP_2) | instskip(NEXT) | instid1(VALU_DEP_1)
	v_cmp_eq_u32_e64 s2, 0, v1
	v_cndmask_b32_e64 v132, v2, v0, s2
; %bb.1496:                             ;   in Loop: Header=BB468_8 Depth=1
	s_or_b32 exec_lo, exec_lo, s3
	v_dual_mov_b32 v18, v31 :: v_dual_and_b32 v1, 0xff, v31
	v_mov_b32_e32 v0, 0
	s_mov_b32 s3, exec_lo
	s_delay_alu instid0(VALU_DEP_2)
	v_cmpx_ne_u16_e32 0, v1
	s_cbranch_execz .LBB468_1504
; %bb.1497:                             ;   in Loop: Header=BB468_8 Depth=1
	v_bfrev_b32_e32 v0, 1
	s_mov_b32 s17, exec_lo
	v_cmpx_ne_u16_e32 0x80, v1
	s_cbranch_execz .LBB468_1503
; %bb.1498:                             ;   in Loop: Header=BB468_8 Depth=1
	v_and_b32_e32 v1, 0x7f, v31
	v_mov_b32_e32 v0, 0x7f800001
	s_mov_b32 s19, exec_lo
	s_delay_alu instid0(VALU_DEP_2)
	v_cmpx_ne_u32_e32 0x7f, v1
	s_cbranch_execz .LBB468_1502
; %bb.1499:                             ;   in Loop: Header=BB468_8 Depth=1
	v_dual_mov_b32 v33, v19 :: v_dual_mov_b32 v32, v18
	v_lshrrev_b32_e32 v0, 3, v1
	s_mov_b32 s21, exec_lo
	v_cmpx_gt_u32_e32 8, v1
; %bb.1500:                             ;   in Loop: Header=BB468_8 Depth=1
	v_and_b32_e32 v0, 7, v31
	s_delay_alu instid0(VALU_DEP_1) | instskip(NEXT) | instid1(VALU_DEP_1)
	v_clz_i32_u32_e32 v0, v0
	v_min_u32_e32 v0, 32, v0
	s_delay_alu instid0(VALU_DEP_1) | instskip(SKIP_1) | instid1(VALU_DEP_2)
	v_subrev_nc_u32_e32 v1, 28, v0
	v_sub_nc_u32_e32 v0, 29, v0
	v_lshlrev_b64 v[32:33], v1, v[18:19]
; %bb.1501:                             ;   in Loop: Header=BB468_8 Depth=1
	s_or_b32 exec_lo, exec_lo, s21
	s_delay_alu instid0(VALU_DEP_1) | instskip(SKIP_2) | instid1(VALU_DEP_3)
	v_lshlrev_b32_e32 v1, 20, v32
	v_lshlrev_b32_e32 v2, 24, v18
	v_lshl_add_u32 v0, v0, 23, 0x3c000000
	v_and_b32_e32 v1, 0x700000, v1
	s_delay_alu instid0(VALU_DEP_3) | instskip(NEXT) | instid1(VALU_DEP_1)
	v_and_b32_e32 v2, 0x80000000, v2
	v_or3_b32 v0, v1, v2, v0
.LBB468_1502:                           ;   in Loop: Header=BB468_8 Depth=1
	s_or_b32 exec_lo, exec_lo, s19
.LBB468_1503:                           ;   in Loop: Header=BB468_8 Depth=1
	s_delay_alu instid0(SALU_CYCLE_1)
	s_or_b32 exec_lo, exec_lo, s17
.LBB468_1504:                           ;   in Loop: Header=BB468_8 Depth=1
	s_delay_alu instid0(SALU_CYCLE_1) | instskip(NEXT) | instid1(VALU_DEP_1)
	s_or_b32 exec_lo, exec_lo, s3
	v_mul_f32_e32 v0, v79, v0
                                        ; implicit-def: $vgpr133
	s_delay_alu instid0(VALU_DEP_1) | instskip(NEXT) | instid1(VALU_DEP_1)
	v_and_b32_e32 v1, 0x7f800000, v0
	v_cmp_ne_u32_e64 s2, 0x7f800000, v1
	s_delay_alu instid0(VALU_DEP_1) | instskip(NEXT) | instid1(SALU_CYCLE_1)
	s_and_saveexec_b32 s3, s2
	s_xor_b32 s2, exec_lo, s3
; %bb.1505:                             ;   in Loop: Header=BB468_8 Depth=1
	v_bfe_u32 v1, v0, 16, 1
	s_delay_alu instid0(VALU_DEP_1)
	v_add3_u32 v133, v0, v1, 0x7fff
                                        ; implicit-def: $vgpr0
; %bb.1506:                             ;   in Loop: Header=BB468_8 Depth=1
	s_and_not1_saveexec_b32 s3, s2
; %bb.1507:                             ;   in Loop: Header=BB468_8 Depth=1
	v_and_b32_e32 v1, 0xffff, v0
	v_or_b32_e32 v2, 0x10000, v0
	s_delay_alu instid0(VALU_DEP_2) | instskip(NEXT) | instid1(VALU_DEP_1)
	v_cmp_eq_u32_e64 s2, 0, v1
	v_cndmask_b32_e64 v133, v2, v0, s2
; %bb.1508:                             ;   in Loop: Header=BB468_8 Depth=1
	s_or_b32 exec_lo, exec_lo, s3
	v_lshrrev_b16 v1, 8, v18
	v_mov_b32_e32 v0, 0
	s_mov_b32 s3, exec_lo
	s_delay_alu instid0(VALU_DEP_2)
	v_cmpx_ne_u16_e32 0, v1
	s_cbranch_execz .LBB468_1516
; %bb.1509:                             ;   in Loop: Header=BB468_8 Depth=1
	v_bfrev_b32_e32 v0, 1
	s_mov_b32 s17, exec_lo
	v_cmpx_ne_u16_e32 0x80, v1
	s_cbranch_execz .LBB468_1515
; %bb.1510:                             ;   in Loop: Header=BB468_8 Depth=1
	v_and_b32_e32 v2, 0xffff, v1
	v_mov_b32_e32 v0, 0x7f800001
	s_mov_b32 s19, exec_lo
	s_delay_alu instid0(VALU_DEP_2) | instskip(NEXT) | instid1(VALU_DEP_1)
	v_and_b32_e32 v1, 0x7f, v2
	v_cmpx_ne_u32_e32 0x7f, v1
	s_cbranch_execz .LBB468_1514
; %bb.1511:                             ;   in Loop: Header=BB468_8 Depth=1
	v_dual_mov_b32 v33, v19 :: v_dual_and_b32 v32, 7, v2
	v_lshrrev_b32_e32 v0, 3, v1
	s_mov_b32 s21, exec_lo
	v_cmpx_gt_u32_e32 8, v1
; %bb.1512:                             ;   in Loop: Header=BB468_8 Depth=1
	s_delay_alu instid0(VALU_DEP_3) | instskip(NEXT) | instid1(VALU_DEP_1)
	v_clz_i32_u32_e32 v0, v32
	v_min_u32_e32 v0, 32, v0
	s_delay_alu instid0(VALU_DEP_1) | instskip(SKIP_1) | instid1(VALU_DEP_2)
	v_subrev_nc_u32_e32 v1, 28, v0
	v_sub_nc_u32_e32 v0, 29, v0
	v_lshlrev_b64 v[1:2], v1, v[32:33]
	s_delay_alu instid0(VALU_DEP_1)
	v_and_b32_e32 v32, 7, v1
; %bb.1513:                             ;   in Loop: Header=BB468_8 Depth=1
	s_or_b32 exec_lo, exec_lo, s21
	v_lshlrev_b32_e32 v1, 16, v18
	s_delay_alu instid0(VALU_DEP_2) | instskip(SKIP_1) | instid1(VALU_DEP_3)
	v_lshlrev_b32_e32 v2, 20, v32
	v_lshl_add_u32 v0, v0, 23, 0x3c000000
	v_and_b32_e32 v1, 0x80000000, v1
	s_delay_alu instid0(VALU_DEP_1)
	v_or3_b32 v0, v2, v1, v0
.LBB468_1514:                           ;   in Loop: Header=BB468_8 Depth=1
	s_or_b32 exec_lo, exec_lo, s19
.LBB468_1515:                           ;   in Loop: Header=BB468_8 Depth=1
	s_delay_alu instid0(SALU_CYCLE_1)
	s_or_b32 exec_lo, exec_lo, s17
.LBB468_1516:                           ;   in Loop: Header=BB468_8 Depth=1
	s_delay_alu instid0(SALU_CYCLE_1) | instskip(NEXT) | instid1(VALU_DEP_1)
	s_or_b32 exec_lo, exec_lo, s3
	v_mul_f32_e32 v0, v79, v0
                                        ; implicit-def: $vgpr134
	s_delay_alu instid0(VALU_DEP_1) | instskip(NEXT) | instid1(VALU_DEP_1)
	v_and_b32_e32 v1, 0x7f800000, v0
	v_cmp_ne_u32_e64 s2, 0x7f800000, v1
	s_delay_alu instid0(VALU_DEP_1) | instskip(NEXT) | instid1(SALU_CYCLE_1)
	s_and_saveexec_b32 s3, s2
	s_xor_b32 s2, exec_lo, s3
; %bb.1517:                             ;   in Loop: Header=BB468_8 Depth=1
	v_bfe_u32 v1, v0, 16, 1
	s_delay_alu instid0(VALU_DEP_1)
	v_add3_u32 v134, v0, v1, 0x7fff
                                        ; implicit-def: $vgpr0
; %bb.1518:                             ;   in Loop: Header=BB468_8 Depth=1
	s_and_not1_saveexec_b32 s3, s2
; %bb.1519:                             ;   in Loop: Header=BB468_8 Depth=1
	v_and_b32_e32 v1, 0xffff, v0
	v_or_b32_e32 v2, 0x10000, v0
	s_delay_alu instid0(VALU_DEP_2) | instskip(NEXT) | instid1(VALU_DEP_1)
	v_cmp_eq_u32_e64 s2, 0, v1
	v_cndmask_b32_e64 v134, v2, v0, s2
; %bb.1520:                             ;   in Loop: Header=BB468_8 Depth=1
	s_or_b32 exec_lo, exec_lo, s3
	v_lshrrev_b32_e32 v0, 16, v31
	s_mov_b32 s3, exec_lo
	s_delay_alu instid0(VALU_DEP_1) | instskip(NEXT) | instid1(VALU_DEP_1)
	v_dual_mov_b32 v1, 0 :: v_dual_and_b32 v2, 0xff, v0
	v_cmpx_ne_u16_e32 0, v2
	s_cbranch_execz .LBB468_1528
; %bb.1521:                             ;   in Loop: Header=BB468_8 Depth=1
	v_bfrev_b32_e32 v1, 1
	s_mov_b32 s17, exec_lo
	v_cmpx_ne_u16_e32 0x80, v2
	s_cbranch_execz .LBB468_1527
; %bb.1522:                             ;   in Loop: Header=BB468_8 Depth=1
	v_bfe_u32 v2, v31, 16, 7
	v_mov_b32_e32 v1, 0x7f800001
	s_mov_b32 s19, exec_lo
	s_delay_alu instid0(VALU_DEP_2)
	v_cmpx_ne_u32_e32 0x7f, v2
	s_cbranch_execz .LBB468_1526
; %bb.1523:                             ;   in Loop: Header=BB468_8 Depth=1
	v_and_b32_e32 v18, 7, v0
	v_mov_b32_e32 v33, v19
	v_lshrrev_b32_e32 v1, 3, v2
	s_mov_b32 s21, exec_lo
	s_delay_alu instid0(VALU_DEP_3)
	v_mov_b32_e32 v32, v18
	v_cmpx_gt_u32_e32 8, v2
; %bb.1524:                             ;   in Loop: Header=BB468_8 Depth=1
	v_clz_i32_u32_e32 v1, v18
	s_delay_alu instid0(VALU_DEP_1) | instskip(NEXT) | instid1(VALU_DEP_1)
	v_min_u32_e32 v1, 32, v1
	v_subrev_nc_u32_e32 v2, 28, v1
	v_sub_nc_u32_e32 v1, 29, v1
	s_delay_alu instid0(VALU_DEP_2) | instskip(NEXT) | instid1(VALU_DEP_1)
	v_lshlrev_b64 v[2:3], v2, v[18:19]
	v_and_b32_e32 v32, 7, v2
; %bb.1525:                             ;   in Loop: Header=BB468_8 Depth=1
	s_or_b32 exec_lo, exec_lo, s21
	v_lshlrev_b32_e32 v0, 24, v0
	s_delay_alu instid0(VALU_DEP_2) | instskip(SKIP_1) | instid1(VALU_DEP_3)
	v_lshlrev_b32_e32 v2, 20, v32
	v_lshl_add_u32 v1, v1, 23, 0x3c000000
	v_and_b32_e32 v0, 0x80000000, v0
	s_delay_alu instid0(VALU_DEP_1)
	v_or3_b32 v1, v2, v0, v1
.LBB468_1526:                           ;   in Loop: Header=BB468_8 Depth=1
	s_or_b32 exec_lo, exec_lo, s19
.LBB468_1527:                           ;   in Loop: Header=BB468_8 Depth=1
	s_delay_alu instid0(SALU_CYCLE_1)
	s_or_b32 exec_lo, exec_lo, s17
.LBB468_1528:                           ;   in Loop: Header=BB468_8 Depth=1
	s_delay_alu instid0(SALU_CYCLE_1) | instskip(NEXT) | instid1(VALU_DEP_1)
	s_or_b32 exec_lo, exec_lo, s3
	v_mul_f32_e32 v0, v79, v1
                                        ; implicit-def: $vgpr135
	s_delay_alu instid0(VALU_DEP_1) | instskip(NEXT) | instid1(VALU_DEP_1)
	v_and_b32_e32 v1, 0x7f800000, v0
	v_cmp_ne_u32_e64 s2, 0x7f800000, v1
	s_delay_alu instid0(VALU_DEP_1) | instskip(NEXT) | instid1(SALU_CYCLE_1)
	s_and_saveexec_b32 s3, s2
	s_xor_b32 s2, exec_lo, s3
; %bb.1529:                             ;   in Loop: Header=BB468_8 Depth=1
	v_bfe_u32 v1, v0, 16, 1
	s_delay_alu instid0(VALU_DEP_1)
	v_add3_u32 v135, v0, v1, 0x7fff
                                        ; implicit-def: $vgpr0
; %bb.1530:                             ;   in Loop: Header=BB468_8 Depth=1
	s_and_not1_saveexec_b32 s3, s2
; %bb.1531:                             ;   in Loop: Header=BB468_8 Depth=1
	v_and_b32_e32 v1, 0xffff, v0
	v_or_b32_e32 v2, 0x10000, v0
	s_delay_alu instid0(VALU_DEP_2) | instskip(NEXT) | instid1(VALU_DEP_1)
	v_cmp_eq_u32_e64 s2, 0, v1
	v_cndmask_b32_e64 v135, v2, v0, s2
; %bb.1532:                             ;   in Loop: Header=BB468_8 Depth=1
	s_or_b32 exec_lo, exec_lo, s3
	v_mov_b32_e32 v1, 0
	s_mov_b32 s3, exec_lo
	v_cmpx_lt_u64_e64 s[4:5], v[30:31]
	s_cbranch_execz .LBB468_1540
; %bb.1533:                             ;   in Loop: Header=BB468_8 Depth=1
	v_lshrrev_b32_e32 v0, 24, v31
	v_bfrev_b32_e32 v1, 1
	s_mov_b32 s17, exec_lo
	s_delay_alu instid0(VALU_DEP_2)
	v_cmpx_ne_u32_e32 0x80, v0
	s_cbranch_execz .LBB468_1539
; %bb.1534:                             ;   in Loop: Header=BB468_8 Depth=1
	v_bfe_u32 v2, v31, 24, 7
	v_mov_b32_e32 v1, 0x7f800001
	s_mov_b32 s19, exec_lo
	s_delay_alu instid0(VALU_DEP_2)
	v_cmpx_ne_u32_e32 0x7f, v2
	s_cbranch_execz .LBB468_1538
; %bb.1535:                             ;   in Loop: Header=BB468_8 Depth=1
	v_and_b32_e32 v18, 7, v0
	v_mov_b32_e32 v31, v19
	v_lshrrev_b32_e32 v1, 3, v2
	s_mov_b32 s21, exec_lo
	s_delay_alu instid0(VALU_DEP_3)
	v_mov_b32_e32 v30, v18
	v_cmpx_gt_u32_e32 8, v2
; %bb.1536:                             ;   in Loop: Header=BB468_8 Depth=1
	v_clz_i32_u32_e32 v1, v18
	s_delay_alu instid0(VALU_DEP_1) | instskip(NEXT) | instid1(VALU_DEP_1)
	v_min_u32_e32 v1, 32, v1
	v_subrev_nc_u32_e32 v2, 28, v1
	v_sub_nc_u32_e32 v1, 29, v1
	s_delay_alu instid0(VALU_DEP_2) | instskip(NEXT) | instid1(VALU_DEP_1)
	v_lshlrev_b64 v[2:3], v2, v[18:19]
	v_and_b32_e32 v30, 7, v2
; %bb.1537:                             ;   in Loop: Header=BB468_8 Depth=1
	s_or_b32 exec_lo, exec_lo, s21
	v_lshlrev_b32_e32 v0, 24, v0
	s_delay_alu instid0(VALU_DEP_2) | instskip(SKIP_1) | instid1(VALU_DEP_3)
	v_lshlrev_b32_e32 v2, 20, v30
	v_lshl_add_u32 v1, v1, 23, 0x3c000000
	v_and_b32_e32 v0, 0x80000000, v0
	s_delay_alu instid0(VALU_DEP_1)
	v_or3_b32 v1, v2, v0, v1
.LBB468_1538:                           ;   in Loop: Header=BB468_8 Depth=1
	s_or_b32 exec_lo, exec_lo, s19
.LBB468_1539:                           ;   in Loop: Header=BB468_8 Depth=1
	s_delay_alu instid0(SALU_CYCLE_1)
	s_or_b32 exec_lo, exec_lo, s17
.LBB468_1540:                           ;   in Loop: Header=BB468_8 Depth=1
	s_delay_alu instid0(SALU_CYCLE_1) | instskip(NEXT) | instid1(VALU_DEP_1)
	s_or_b32 exec_lo, exec_lo, s3
	v_mul_f32_e32 v0, v79, v1
                                        ; implicit-def: $vgpr144
	s_delay_alu instid0(VALU_DEP_1) | instskip(NEXT) | instid1(VALU_DEP_1)
	v_and_b32_e32 v1, 0x7f800000, v0
	v_cmp_ne_u32_e64 s2, 0x7f800000, v1
	s_delay_alu instid0(VALU_DEP_1) | instskip(NEXT) | instid1(SALU_CYCLE_1)
	s_and_saveexec_b32 s3, s2
	s_xor_b32 s2, exec_lo, s3
; %bb.1541:                             ;   in Loop: Header=BB468_8 Depth=1
	v_bfe_u32 v1, v0, 16, 1
	s_delay_alu instid0(VALU_DEP_1)
	v_add3_u32 v144, v0, v1, 0x7fff
                                        ; implicit-def: $vgpr0
; %bb.1542:                             ;   in Loop: Header=BB468_8 Depth=1
	s_and_not1_saveexec_b32 s3, s2
; %bb.1543:                             ;   in Loop: Header=BB468_8 Depth=1
	v_and_b32_e32 v1, 0xffff, v0
	v_or_b32_e32 v2, 0x10000, v0
	s_delay_alu instid0(VALU_DEP_2) | instskip(NEXT) | instid1(VALU_DEP_1)
	v_cmp_eq_u32_e64 s2, 0, v1
	v_cndmask_b32_e64 v144, v2, v0, s2
; %bb.1544:                             ;   in Loop: Header=BB468_8 Depth=1
	s_or_b32 exec_lo, exec_lo, s3
	v_add_co_u32 v28, s2, 0x1000, v28
	s_delay_alu instid0(VALU_DEP_1)
	v_add_co_ci_u32_e64 v29, s2, 0, v29, s2
	s_mov_b32 s3, exec_lo
	v_mov_b32_e32 v0, 0
	flat_load_b64 v[30:31], v[28:29]
	s_waitcnt vmcnt(0) lgkmcnt(0)
	v_and_b32_e32 v1, 0xff, v30
	s_delay_alu instid0(VALU_DEP_1)
	v_cmpx_ne_u16_e32 0, v1
	s_cbranch_execz .LBB468_1552
; %bb.1545:                             ;   in Loop: Header=BB468_8 Depth=1
	v_bfrev_b32_e32 v0, 1
	s_mov_b32 s17, exec_lo
	v_cmpx_ne_u16_e32 0x80, v1
	s_cbranch_execz .LBB468_1551
; %bb.1546:                             ;   in Loop: Header=BB468_8 Depth=1
	v_and_b32_e32 v1, 0x7f, v30
	v_mov_b32_e32 v0, 0x7f800001
	s_mov_b32 s19, exec_lo
	s_delay_alu instid0(VALU_DEP_2)
	v_cmpx_ne_u32_e32 0x7f, v1
	s_cbranch_execz .LBB468_1550
; %bb.1547:                             ;   in Loop: Header=BB468_8 Depth=1
	v_lshrrev_b32_e32 v0, 3, v1
	v_dual_mov_b32 v33, v31 :: v_dual_mov_b32 v32, v30
	s_mov_b32 s21, exec_lo
	v_cmpx_gt_u32_e32 8, v1
; %bb.1548:                             ;   in Loop: Header=BB468_8 Depth=1
	v_and_b32_e32 v0, 7, v30
	s_delay_alu instid0(VALU_DEP_1) | instskip(NEXT) | instid1(VALU_DEP_1)
	v_clz_i32_u32_e32 v0, v0
	v_min_u32_e32 v0, 32, v0
	s_delay_alu instid0(VALU_DEP_1) | instskip(SKIP_1) | instid1(VALU_DEP_2)
	v_subrev_nc_u32_e32 v1, 28, v0
	v_sub_nc_u32_e32 v0, 29, v0
	v_lshlrev_b64 v[32:33], v1, v[30:31]
; %bb.1549:                             ;   in Loop: Header=BB468_8 Depth=1
	s_or_b32 exec_lo, exec_lo, s21
	s_delay_alu instid0(VALU_DEP_1) | instskip(SKIP_2) | instid1(VALU_DEP_3)
	v_lshlrev_b32_e32 v1, 20, v32
	v_lshlrev_b32_e32 v2, 24, v30
	v_lshl_add_u32 v0, v0, 23, 0x3c000000
	v_and_b32_e32 v1, 0x700000, v1
	s_delay_alu instid0(VALU_DEP_3) | instskip(NEXT) | instid1(VALU_DEP_1)
	v_and_b32_e32 v2, 0x80000000, v2
	v_or3_b32 v0, v1, v2, v0
.LBB468_1550:                           ;   in Loop: Header=BB468_8 Depth=1
	s_or_b32 exec_lo, exec_lo, s19
.LBB468_1551:                           ;   in Loop: Header=BB468_8 Depth=1
	s_delay_alu instid0(SALU_CYCLE_1)
	s_or_b32 exec_lo, exec_lo, s17
.LBB468_1552:                           ;   in Loop: Header=BB468_8 Depth=1
	s_delay_alu instid0(SALU_CYCLE_1) | instskip(NEXT) | instid1(VALU_DEP_1)
	s_or_b32 exec_lo, exec_lo, s3
	v_mul_f32_e32 v0, v79, v0
                                        ; implicit-def: $vgpr145
	s_delay_alu instid0(VALU_DEP_1) | instskip(NEXT) | instid1(VALU_DEP_1)
	v_and_b32_e32 v1, 0x7f800000, v0
	v_cmp_ne_u32_e64 s2, 0x7f800000, v1
	s_delay_alu instid0(VALU_DEP_1) | instskip(NEXT) | instid1(SALU_CYCLE_1)
	s_and_saveexec_b32 s3, s2
	s_xor_b32 s2, exec_lo, s3
; %bb.1553:                             ;   in Loop: Header=BB468_8 Depth=1
	v_bfe_u32 v1, v0, 16, 1
	s_delay_alu instid0(VALU_DEP_1)
	v_add3_u32 v145, v0, v1, 0x7fff
                                        ; implicit-def: $vgpr0
; %bb.1554:                             ;   in Loop: Header=BB468_8 Depth=1
	s_and_not1_saveexec_b32 s3, s2
; %bb.1555:                             ;   in Loop: Header=BB468_8 Depth=1
	v_and_b32_e32 v1, 0xffff, v0
	v_or_b32_e32 v2, 0x10000, v0
	s_delay_alu instid0(VALU_DEP_2) | instskip(NEXT) | instid1(VALU_DEP_1)
	v_cmp_eq_u32_e64 s2, 0, v1
	v_cndmask_b32_e64 v145, v2, v0, s2
; %bb.1556:                             ;   in Loop: Header=BB468_8 Depth=1
	s_or_b32 exec_lo, exec_lo, s3
	v_lshrrev_b16 v1, 8, v30
	v_mov_b32_e32 v0, 0
	s_mov_b32 s3, exec_lo
	s_delay_alu instid0(VALU_DEP_2)
	v_cmpx_ne_u16_e32 0, v1
	s_cbranch_execz .LBB468_1564
; %bb.1557:                             ;   in Loop: Header=BB468_8 Depth=1
	v_bfrev_b32_e32 v0, 1
	s_mov_b32 s17, exec_lo
	v_cmpx_ne_u16_e32 0x80, v1
	s_cbranch_execz .LBB468_1563
; %bb.1558:                             ;   in Loop: Header=BB468_8 Depth=1
	v_and_b32_e32 v2, 0xffff, v1
	v_mov_b32_e32 v0, 0x7f800001
	s_mov_b32 s19, exec_lo
	s_delay_alu instid0(VALU_DEP_2) | instskip(NEXT) | instid1(VALU_DEP_1)
	v_and_b32_e32 v1, 0x7f, v2
	v_cmpx_ne_u32_e32 0x7f, v1
	s_cbranch_execz .LBB468_1562
; %bb.1559:                             ;   in Loop: Header=BB468_8 Depth=1
	v_and_b32_e32 v18, 7, v2
	v_mov_b32_e32 v33, v19
	v_lshrrev_b32_e32 v0, 3, v1
	s_mov_b32 s21, exec_lo
	s_delay_alu instid0(VALU_DEP_3)
	v_mov_b32_e32 v32, v18
	v_cmpx_gt_u32_e32 8, v1
; %bb.1560:                             ;   in Loop: Header=BB468_8 Depth=1
	v_clz_i32_u32_e32 v0, v18
	s_delay_alu instid0(VALU_DEP_1) | instskip(NEXT) | instid1(VALU_DEP_1)
	v_min_u32_e32 v0, 32, v0
	v_subrev_nc_u32_e32 v1, 28, v0
	v_sub_nc_u32_e32 v0, 29, v0
	s_delay_alu instid0(VALU_DEP_2) | instskip(NEXT) | instid1(VALU_DEP_1)
	v_lshlrev_b64 v[1:2], v1, v[18:19]
	v_and_b32_e32 v32, 7, v1
; %bb.1561:                             ;   in Loop: Header=BB468_8 Depth=1
	s_or_b32 exec_lo, exec_lo, s21
	v_lshlrev_b32_e32 v1, 16, v30
	s_delay_alu instid0(VALU_DEP_2) | instskip(SKIP_1) | instid1(VALU_DEP_3)
	v_lshlrev_b32_e32 v2, 20, v32
	v_lshl_add_u32 v0, v0, 23, 0x3c000000
	v_and_b32_e32 v1, 0x80000000, v1
	s_delay_alu instid0(VALU_DEP_1)
	v_or3_b32 v0, v2, v1, v0
.LBB468_1562:                           ;   in Loop: Header=BB468_8 Depth=1
	s_or_b32 exec_lo, exec_lo, s19
.LBB468_1563:                           ;   in Loop: Header=BB468_8 Depth=1
	s_delay_alu instid0(SALU_CYCLE_1)
	s_or_b32 exec_lo, exec_lo, s17
.LBB468_1564:                           ;   in Loop: Header=BB468_8 Depth=1
	s_delay_alu instid0(SALU_CYCLE_1) | instskip(NEXT) | instid1(VALU_DEP_1)
	s_or_b32 exec_lo, exec_lo, s3
	v_mul_f32_e32 v0, v79, v0
                                        ; implicit-def: $vgpr146
	s_delay_alu instid0(VALU_DEP_1) | instskip(NEXT) | instid1(VALU_DEP_1)
	v_and_b32_e32 v1, 0x7f800000, v0
	v_cmp_ne_u32_e64 s2, 0x7f800000, v1
	s_delay_alu instid0(VALU_DEP_1) | instskip(NEXT) | instid1(SALU_CYCLE_1)
	s_and_saveexec_b32 s3, s2
	s_xor_b32 s2, exec_lo, s3
; %bb.1565:                             ;   in Loop: Header=BB468_8 Depth=1
	v_bfe_u32 v1, v0, 16, 1
	s_delay_alu instid0(VALU_DEP_1)
	v_add3_u32 v146, v0, v1, 0x7fff
                                        ; implicit-def: $vgpr0
; %bb.1566:                             ;   in Loop: Header=BB468_8 Depth=1
	s_and_not1_saveexec_b32 s3, s2
; %bb.1567:                             ;   in Loop: Header=BB468_8 Depth=1
	v_and_b32_e32 v1, 0xffff, v0
	v_or_b32_e32 v2, 0x10000, v0
	s_delay_alu instid0(VALU_DEP_2) | instskip(NEXT) | instid1(VALU_DEP_1)
	v_cmp_eq_u32_e64 s2, 0, v1
	v_cndmask_b32_e64 v146, v2, v0, s2
; %bb.1568:                             ;   in Loop: Header=BB468_8 Depth=1
	s_or_b32 exec_lo, exec_lo, s3
	v_lshrrev_b32_e32 v0, 16, v30
	s_mov_b32 s3, exec_lo
	s_delay_alu instid0(VALU_DEP_1) | instskip(NEXT) | instid1(VALU_DEP_1)
	v_dual_mov_b32 v1, 0 :: v_dual_and_b32 v2, 0xff, v0
	v_cmpx_ne_u16_e32 0, v2
	s_cbranch_execz .LBB468_1576
; %bb.1569:                             ;   in Loop: Header=BB468_8 Depth=1
	v_bfrev_b32_e32 v1, 1
	s_mov_b32 s17, exec_lo
	v_cmpx_ne_u16_e32 0x80, v2
	s_cbranch_execz .LBB468_1575
; %bb.1570:                             ;   in Loop: Header=BB468_8 Depth=1
	v_bfe_u32 v2, v30, 16, 7
	v_mov_b32_e32 v1, 0x7f800001
	s_mov_b32 s19, exec_lo
	s_delay_alu instid0(VALU_DEP_2)
	v_cmpx_ne_u32_e32 0x7f, v2
	s_cbranch_execz .LBB468_1574
; %bb.1571:                             ;   in Loop: Header=BB468_8 Depth=1
	v_and_b32_e32 v18, 7, v0
	v_mov_b32_e32 v33, v19
	v_lshrrev_b32_e32 v1, 3, v2
	s_mov_b32 s21, exec_lo
	s_delay_alu instid0(VALU_DEP_3)
	v_mov_b32_e32 v32, v18
	v_cmpx_gt_u32_e32 8, v2
; %bb.1572:                             ;   in Loop: Header=BB468_8 Depth=1
	v_clz_i32_u32_e32 v1, v18
	s_delay_alu instid0(VALU_DEP_1) | instskip(NEXT) | instid1(VALU_DEP_1)
	v_min_u32_e32 v1, 32, v1
	v_subrev_nc_u32_e32 v2, 28, v1
	v_sub_nc_u32_e32 v1, 29, v1
	s_delay_alu instid0(VALU_DEP_2) | instskip(NEXT) | instid1(VALU_DEP_1)
	v_lshlrev_b64 v[2:3], v2, v[18:19]
	v_and_b32_e32 v32, 7, v2
; %bb.1573:                             ;   in Loop: Header=BB468_8 Depth=1
	s_or_b32 exec_lo, exec_lo, s21
	v_lshlrev_b32_e32 v0, 24, v0
	s_delay_alu instid0(VALU_DEP_2) | instskip(SKIP_1) | instid1(VALU_DEP_3)
	v_lshlrev_b32_e32 v2, 20, v32
	v_lshl_add_u32 v1, v1, 23, 0x3c000000
	v_and_b32_e32 v0, 0x80000000, v0
	s_delay_alu instid0(VALU_DEP_1)
	v_or3_b32 v1, v2, v0, v1
.LBB468_1574:                           ;   in Loop: Header=BB468_8 Depth=1
	s_or_b32 exec_lo, exec_lo, s19
.LBB468_1575:                           ;   in Loop: Header=BB468_8 Depth=1
	s_delay_alu instid0(SALU_CYCLE_1)
	s_or_b32 exec_lo, exec_lo, s17
.LBB468_1576:                           ;   in Loop: Header=BB468_8 Depth=1
	s_delay_alu instid0(SALU_CYCLE_1) | instskip(NEXT) | instid1(VALU_DEP_1)
	s_or_b32 exec_lo, exec_lo, s3
	v_mul_f32_e32 v0, v79, v1
                                        ; implicit-def: $vgpr147
	s_delay_alu instid0(VALU_DEP_1) | instskip(NEXT) | instid1(VALU_DEP_1)
	v_and_b32_e32 v1, 0x7f800000, v0
	v_cmp_ne_u32_e64 s2, 0x7f800000, v1
	s_delay_alu instid0(VALU_DEP_1) | instskip(NEXT) | instid1(SALU_CYCLE_1)
	s_and_saveexec_b32 s3, s2
	s_xor_b32 s2, exec_lo, s3
; %bb.1577:                             ;   in Loop: Header=BB468_8 Depth=1
	v_bfe_u32 v1, v0, 16, 1
	s_delay_alu instid0(VALU_DEP_1)
	v_add3_u32 v147, v0, v1, 0x7fff
                                        ; implicit-def: $vgpr0
; %bb.1578:                             ;   in Loop: Header=BB468_8 Depth=1
	s_and_not1_saveexec_b32 s3, s2
; %bb.1579:                             ;   in Loop: Header=BB468_8 Depth=1
	v_and_b32_e32 v1, 0xffff, v0
	v_or_b32_e32 v2, 0x10000, v0
	s_delay_alu instid0(VALU_DEP_2) | instskip(NEXT) | instid1(VALU_DEP_1)
	v_cmp_eq_u32_e64 s2, 0, v1
	v_cndmask_b32_e64 v147, v2, v0, s2
; %bb.1580:                             ;   in Loop: Header=BB468_8 Depth=1
	s_or_b32 exec_lo, exec_lo, s3
	v_mov_b32_e32 v1, 0
	s_mov_b32 s3, exec_lo
	v_cmpx_lt_u32_e32 0xffffff, v30
	s_cbranch_execz .LBB468_1588
; %bb.1581:                             ;   in Loop: Header=BB468_8 Depth=1
	v_lshrrev_b32_e32 v0, 24, v30
	v_bfrev_b32_e32 v1, 1
	s_mov_b32 s17, exec_lo
	s_delay_alu instid0(VALU_DEP_2)
	v_cmpx_ne_u32_e32 0x80, v0
	s_cbranch_execz .LBB468_1587
; %bb.1582:                             ;   in Loop: Header=BB468_8 Depth=1
	v_bfe_u32 v2, v30, 24, 7
	v_mov_b32_e32 v1, 0x7f800001
	s_mov_b32 s19, exec_lo
	s_delay_alu instid0(VALU_DEP_2)
	v_cmpx_ne_u32_e32 0x7f, v2
	s_cbranch_execz .LBB468_1586
; %bb.1583:                             ;   in Loop: Header=BB468_8 Depth=1
	v_and_b32_e32 v18, 7, v0
	v_mov_b32_e32 v33, v19
	v_lshrrev_b32_e32 v1, 3, v2
	s_mov_b32 s21, exec_lo
	s_delay_alu instid0(VALU_DEP_3)
	v_mov_b32_e32 v32, v18
	v_cmpx_gt_u32_e32 8, v2
; %bb.1584:                             ;   in Loop: Header=BB468_8 Depth=1
	v_clz_i32_u32_e32 v1, v18
	s_delay_alu instid0(VALU_DEP_1) | instskip(NEXT) | instid1(VALU_DEP_1)
	v_min_u32_e32 v1, 32, v1
	v_subrev_nc_u32_e32 v2, 28, v1
	v_sub_nc_u32_e32 v1, 29, v1
	s_delay_alu instid0(VALU_DEP_2) | instskip(NEXT) | instid1(VALU_DEP_1)
	v_lshlrev_b64 v[2:3], v2, v[18:19]
	v_and_b32_e32 v32, 7, v2
; %bb.1585:                             ;   in Loop: Header=BB468_8 Depth=1
	s_or_b32 exec_lo, exec_lo, s21
	v_lshlrev_b32_e32 v0, 24, v0
	s_delay_alu instid0(VALU_DEP_2) | instskip(SKIP_1) | instid1(VALU_DEP_3)
	v_lshlrev_b32_e32 v2, 20, v32
	v_lshl_add_u32 v1, v1, 23, 0x3c000000
	v_and_b32_e32 v0, 0x80000000, v0
	s_delay_alu instid0(VALU_DEP_1)
	v_or3_b32 v1, v2, v0, v1
.LBB468_1586:                           ;   in Loop: Header=BB468_8 Depth=1
	s_or_b32 exec_lo, exec_lo, s19
.LBB468_1587:                           ;   in Loop: Header=BB468_8 Depth=1
	s_delay_alu instid0(SALU_CYCLE_1)
	s_or_b32 exec_lo, exec_lo, s17
.LBB468_1588:                           ;   in Loop: Header=BB468_8 Depth=1
	s_delay_alu instid0(SALU_CYCLE_1) | instskip(NEXT) | instid1(VALU_DEP_1)
	s_or_b32 exec_lo, exec_lo, s3
	v_mul_f32_e32 v0, v79, v1
                                        ; implicit-def: $vgpr148
	s_delay_alu instid0(VALU_DEP_1) | instskip(NEXT) | instid1(VALU_DEP_1)
	v_and_b32_e32 v1, 0x7f800000, v0
	v_cmp_ne_u32_e64 s2, 0x7f800000, v1
	s_delay_alu instid0(VALU_DEP_1) | instskip(NEXT) | instid1(SALU_CYCLE_1)
	s_and_saveexec_b32 s3, s2
	s_xor_b32 s2, exec_lo, s3
; %bb.1589:                             ;   in Loop: Header=BB468_8 Depth=1
	v_bfe_u32 v1, v0, 16, 1
	s_delay_alu instid0(VALU_DEP_1)
	v_add3_u32 v148, v0, v1, 0x7fff
                                        ; implicit-def: $vgpr0
; %bb.1590:                             ;   in Loop: Header=BB468_8 Depth=1
	s_and_not1_saveexec_b32 s3, s2
; %bb.1591:                             ;   in Loop: Header=BB468_8 Depth=1
	v_and_b32_e32 v1, 0xffff, v0
	v_or_b32_e32 v2, 0x10000, v0
	s_delay_alu instid0(VALU_DEP_2) | instskip(NEXT) | instid1(VALU_DEP_1)
	v_cmp_eq_u32_e64 s2, 0, v1
	v_cndmask_b32_e64 v148, v2, v0, s2
; %bb.1592:                             ;   in Loop: Header=BB468_8 Depth=1
	s_or_b32 exec_lo, exec_lo, s3
	v_dual_mov_b32 v18, v31 :: v_dual_and_b32 v1, 0xff, v31
	v_mov_b32_e32 v0, 0
	s_mov_b32 s3, exec_lo
	s_delay_alu instid0(VALU_DEP_2)
	v_cmpx_ne_u16_e32 0, v1
	s_cbranch_execz .LBB468_1600
; %bb.1593:                             ;   in Loop: Header=BB468_8 Depth=1
	v_bfrev_b32_e32 v0, 1
	s_mov_b32 s17, exec_lo
	v_cmpx_ne_u16_e32 0x80, v1
	s_cbranch_execz .LBB468_1599
; %bb.1594:                             ;   in Loop: Header=BB468_8 Depth=1
	v_and_b32_e32 v1, 0x7f, v31
	v_mov_b32_e32 v0, 0x7f800001
	s_mov_b32 s19, exec_lo
	s_delay_alu instid0(VALU_DEP_2)
	v_cmpx_ne_u32_e32 0x7f, v1
	s_cbranch_execz .LBB468_1598
; %bb.1595:                             ;   in Loop: Header=BB468_8 Depth=1
	v_dual_mov_b32 v33, v19 :: v_dual_mov_b32 v32, v18
	v_lshrrev_b32_e32 v0, 3, v1
	s_mov_b32 s21, exec_lo
	v_cmpx_gt_u32_e32 8, v1
; %bb.1596:                             ;   in Loop: Header=BB468_8 Depth=1
	v_and_b32_e32 v0, 7, v31
	s_delay_alu instid0(VALU_DEP_1) | instskip(NEXT) | instid1(VALU_DEP_1)
	v_clz_i32_u32_e32 v0, v0
	v_min_u32_e32 v0, 32, v0
	s_delay_alu instid0(VALU_DEP_1) | instskip(SKIP_1) | instid1(VALU_DEP_2)
	v_subrev_nc_u32_e32 v1, 28, v0
	v_sub_nc_u32_e32 v0, 29, v0
	v_lshlrev_b64 v[32:33], v1, v[18:19]
; %bb.1597:                             ;   in Loop: Header=BB468_8 Depth=1
	s_or_b32 exec_lo, exec_lo, s21
	s_delay_alu instid0(VALU_DEP_1) | instskip(SKIP_2) | instid1(VALU_DEP_3)
	v_lshlrev_b32_e32 v1, 20, v32
	v_lshlrev_b32_e32 v2, 24, v18
	v_lshl_add_u32 v0, v0, 23, 0x3c000000
	v_and_b32_e32 v1, 0x700000, v1
	s_delay_alu instid0(VALU_DEP_3) | instskip(NEXT) | instid1(VALU_DEP_1)
	v_and_b32_e32 v2, 0x80000000, v2
	v_or3_b32 v0, v1, v2, v0
.LBB468_1598:                           ;   in Loop: Header=BB468_8 Depth=1
	s_or_b32 exec_lo, exec_lo, s19
.LBB468_1599:                           ;   in Loop: Header=BB468_8 Depth=1
	s_delay_alu instid0(SALU_CYCLE_1)
	s_or_b32 exec_lo, exec_lo, s17
.LBB468_1600:                           ;   in Loop: Header=BB468_8 Depth=1
	s_delay_alu instid0(SALU_CYCLE_1) | instskip(NEXT) | instid1(VALU_DEP_1)
	s_or_b32 exec_lo, exec_lo, s3
	v_mul_f32_e32 v0, v79, v0
                                        ; implicit-def: $vgpr149
	s_delay_alu instid0(VALU_DEP_1) | instskip(NEXT) | instid1(VALU_DEP_1)
	v_and_b32_e32 v1, 0x7f800000, v0
	v_cmp_ne_u32_e64 s2, 0x7f800000, v1
	s_delay_alu instid0(VALU_DEP_1) | instskip(NEXT) | instid1(SALU_CYCLE_1)
	s_and_saveexec_b32 s3, s2
	s_xor_b32 s2, exec_lo, s3
; %bb.1601:                             ;   in Loop: Header=BB468_8 Depth=1
	v_bfe_u32 v1, v0, 16, 1
	s_delay_alu instid0(VALU_DEP_1)
	v_add3_u32 v149, v0, v1, 0x7fff
                                        ; implicit-def: $vgpr0
; %bb.1602:                             ;   in Loop: Header=BB468_8 Depth=1
	s_and_not1_saveexec_b32 s3, s2
; %bb.1603:                             ;   in Loop: Header=BB468_8 Depth=1
	v_and_b32_e32 v1, 0xffff, v0
	v_or_b32_e32 v2, 0x10000, v0
	s_delay_alu instid0(VALU_DEP_2) | instskip(NEXT) | instid1(VALU_DEP_1)
	v_cmp_eq_u32_e64 s2, 0, v1
	v_cndmask_b32_e64 v149, v2, v0, s2
; %bb.1604:                             ;   in Loop: Header=BB468_8 Depth=1
	s_or_b32 exec_lo, exec_lo, s3
	v_lshrrev_b16 v1, 8, v18
	v_mov_b32_e32 v0, 0
	s_mov_b32 s3, exec_lo
	s_delay_alu instid0(VALU_DEP_2)
	v_cmpx_ne_u16_e32 0, v1
	s_cbranch_execz .LBB468_1612
; %bb.1605:                             ;   in Loop: Header=BB468_8 Depth=1
	v_bfrev_b32_e32 v0, 1
	s_mov_b32 s17, exec_lo
	v_cmpx_ne_u16_e32 0x80, v1
	s_cbranch_execz .LBB468_1611
; %bb.1606:                             ;   in Loop: Header=BB468_8 Depth=1
	v_and_b32_e32 v2, 0xffff, v1
	v_mov_b32_e32 v0, 0x7f800001
	s_mov_b32 s19, exec_lo
	s_delay_alu instid0(VALU_DEP_2) | instskip(NEXT) | instid1(VALU_DEP_1)
	v_and_b32_e32 v1, 0x7f, v2
	v_cmpx_ne_u32_e32 0x7f, v1
	s_cbranch_execz .LBB468_1610
; %bb.1607:                             ;   in Loop: Header=BB468_8 Depth=1
	v_dual_mov_b32 v33, v19 :: v_dual_and_b32 v32, 7, v2
	v_lshrrev_b32_e32 v0, 3, v1
	s_mov_b32 s21, exec_lo
	v_cmpx_gt_u32_e32 8, v1
; %bb.1608:                             ;   in Loop: Header=BB468_8 Depth=1
	s_delay_alu instid0(VALU_DEP_3) | instskip(NEXT) | instid1(VALU_DEP_1)
	v_clz_i32_u32_e32 v0, v32
	v_min_u32_e32 v0, 32, v0
	s_delay_alu instid0(VALU_DEP_1) | instskip(SKIP_1) | instid1(VALU_DEP_2)
	v_subrev_nc_u32_e32 v1, 28, v0
	v_sub_nc_u32_e32 v0, 29, v0
	v_lshlrev_b64 v[1:2], v1, v[32:33]
	s_delay_alu instid0(VALU_DEP_1)
	v_and_b32_e32 v32, 7, v1
; %bb.1609:                             ;   in Loop: Header=BB468_8 Depth=1
	s_or_b32 exec_lo, exec_lo, s21
	v_lshlrev_b32_e32 v1, 16, v18
	s_delay_alu instid0(VALU_DEP_2) | instskip(SKIP_1) | instid1(VALU_DEP_3)
	v_lshlrev_b32_e32 v2, 20, v32
	v_lshl_add_u32 v0, v0, 23, 0x3c000000
	v_and_b32_e32 v1, 0x80000000, v1
	s_delay_alu instid0(VALU_DEP_1)
	v_or3_b32 v0, v2, v1, v0
.LBB468_1610:                           ;   in Loop: Header=BB468_8 Depth=1
	s_or_b32 exec_lo, exec_lo, s19
.LBB468_1611:                           ;   in Loop: Header=BB468_8 Depth=1
	s_delay_alu instid0(SALU_CYCLE_1)
	s_or_b32 exec_lo, exec_lo, s17
.LBB468_1612:                           ;   in Loop: Header=BB468_8 Depth=1
	s_delay_alu instid0(SALU_CYCLE_1) | instskip(NEXT) | instid1(VALU_DEP_1)
	s_or_b32 exec_lo, exec_lo, s3
	v_mul_f32_e32 v0, v79, v0
                                        ; implicit-def: $vgpr150
	s_delay_alu instid0(VALU_DEP_1) | instskip(NEXT) | instid1(VALU_DEP_1)
	v_and_b32_e32 v1, 0x7f800000, v0
	v_cmp_ne_u32_e64 s2, 0x7f800000, v1
	s_delay_alu instid0(VALU_DEP_1) | instskip(NEXT) | instid1(SALU_CYCLE_1)
	s_and_saveexec_b32 s3, s2
	s_xor_b32 s2, exec_lo, s3
; %bb.1613:                             ;   in Loop: Header=BB468_8 Depth=1
	v_bfe_u32 v1, v0, 16, 1
	s_delay_alu instid0(VALU_DEP_1)
	v_add3_u32 v150, v0, v1, 0x7fff
                                        ; implicit-def: $vgpr0
; %bb.1614:                             ;   in Loop: Header=BB468_8 Depth=1
	s_and_not1_saveexec_b32 s3, s2
; %bb.1615:                             ;   in Loop: Header=BB468_8 Depth=1
	v_and_b32_e32 v1, 0xffff, v0
	v_or_b32_e32 v2, 0x10000, v0
	s_delay_alu instid0(VALU_DEP_2) | instskip(NEXT) | instid1(VALU_DEP_1)
	v_cmp_eq_u32_e64 s2, 0, v1
	v_cndmask_b32_e64 v150, v2, v0, s2
; %bb.1616:                             ;   in Loop: Header=BB468_8 Depth=1
	s_or_b32 exec_lo, exec_lo, s3
	v_lshrrev_b32_e32 v0, 16, v31
	s_mov_b32 s3, exec_lo
	s_delay_alu instid0(VALU_DEP_1) | instskip(NEXT) | instid1(VALU_DEP_1)
	v_dual_mov_b32 v1, 0 :: v_dual_and_b32 v2, 0xff, v0
	v_cmpx_ne_u16_e32 0, v2
	s_cbranch_execz .LBB468_1624
; %bb.1617:                             ;   in Loop: Header=BB468_8 Depth=1
	v_bfrev_b32_e32 v1, 1
	s_mov_b32 s17, exec_lo
	v_cmpx_ne_u16_e32 0x80, v2
	s_cbranch_execz .LBB468_1623
; %bb.1618:                             ;   in Loop: Header=BB468_8 Depth=1
	v_bfe_u32 v2, v31, 16, 7
	v_mov_b32_e32 v1, 0x7f800001
	s_mov_b32 s19, exec_lo
	s_delay_alu instid0(VALU_DEP_2)
	v_cmpx_ne_u32_e32 0x7f, v2
	s_cbranch_execz .LBB468_1622
; %bb.1619:                             ;   in Loop: Header=BB468_8 Depth=1
	v_and_b32_e32 v18, 7, v0
	v_mov_b32_e32 v33, v19
	v_lshrrev_b32_e32 v1, 3, v2
	s_mov_b32 s21, exec_lo
	s_delay_alu instid0(VALU_DEP_3)
	v_mov_b32_e32 v32, v18
	v_cmpx_gt_u32_e32 8, v2
; %bb.1620:                             ;   in Loop: Header=BB468_8 Depth=1
	v_clz_i32_u32_e32 v1, v18
	s_delay_alu instid0(VALU_DEP_1) | instskip(NEXT) | instid1(VALU_DEP_1)
	v_min_u32_e32 v1, 32, v1
	v_subrev_nc_u32_e32 v2, 28, v1
	v_sub_nc_u32_e32 v1, 29, v1
	s_delay_alu instid0(VALU_DEP_2) | instskip(NEXT) | instid1(VALU_DEP_1)
	v_lshlrev_b64 v[2:3], v2, v[18:19]
	v_and_b32_e32 v32, 7, v2
; %bb.1621:                             ;   in Loop: Header=BB468_8 Depth=1
	s_or_b32 exec_lo, exec_lo, s21
	v_lshlrev_b32_e32 v0, 24, v0
	s_delay_alu instid0(VALU_DEP_2) | instskip(SKIP_1) | instid1(VALU_DEP_3)
	v_lshlrev_b32_e32 v2, 20, v32
	v_lshl_add_u32 v1, v1, 23, 0x3c000000
	v_and_b32_e32 v0, 0x80000000, v0
	s_delay_alu instid0(VALU_DEP_1)
	v_or3_b32 v1, v2, v0, v1
.LBB468_1622:                           ;   in Loop: Header=BB468_8 Depth=1
	s_or_b32 exec_lo, exec_lo, s19
.LBB468_1623:                           ;   in Loop: Header=BB468_8 Depth=1
	s_delay_alu instid0(SALU_CYCLE_1)
	s_or_b32 exec_lo, exec_lo, s17
.LBB468_1624:                           ;   in Loop: Header=BB468_8 Depth=1
	s_delay_alu instid0(SALU_CYCLE_1) | instskip(NEXT) | instid1(VALU_DEP_1)
	s_or_b32 exec_lo, exec_lo, s3
	v_mul_f32_e32 v0, v79, v1
                                        ; implicit-def: $vgpr151
	s_delay_alu instid0(VALU_DEP_1) | instskip(NEXT) | instid1(VALU_DEP_1)
	v_and_b32_e32 v1, 0x7f800000, v0
	v_cmp_ne_u32_e64 s2, 0x7f800000, v1
	s_delay_alu instid0(VALU_DEP_1) | instskip(NEXT) | instid1(SALU_CYCLE_1)
	s_and_saveexec_b32 s3, s2
	s_xor_b32 s2, exec_lo, s3
; %bb.1625:                             ;   in Loop: Header=BB468_8 Depth=1
	v_bfe_u32 v1, v0, 16, 1
	s_delay_alu instid0(VALU_DEP_1)
	v_add3_u32 v151, v0, v1, 0x7fff
                                        ; implicit-def: $vgpr0
; %bb.1626:                             ;   in Loop: Header=BB468_8 Depth=1
	s_and_not1_saveexec_b32 s3, s2
; %bb.1627:                             ;   in Loop: Header=BB468_8 Depth=1
	v_and_b32_e32 v1, 0xffff, v0
	v_or_b32_e32 v2, 0x10000, v0
	s_delay_alu instid0(VALU_DEP_2) | instskip(NEXT) | instid1(VALU_DEP_1)
	v_cmp_eq_u32_e64 s2, 0, v1
	v_cndmask_b32_e64 v151, v2, v0, s2
; %bb.1628:                             ;   in Loop: Header=BB468_8 Depth=1
	s_or_b32 exec_lo, exec_lo, s3
	v_mov_b32_e32 v1, 0
	s_mov_b32 s3, exec_lo
	v_cmpx_lt_u64_e64 s[4:5], v[30:31]
	s_cbranch_execz .LBB468_1636
; %bb.1629:                             ;   in Loop: Header=BB468_8 Depth=1
	v_lshrrev_b32_e32 v0, 24, v31
	v_bfrev_b32_e32 v1, 1
	s_mov_b32 s17, exec_lo
	s_delay_alu instid0(VALU_DEP_2)
	v_cmpx_ne_u32_e32 0x80, v0
	s_cbranch_execz .LBB468_1635
; %bb.1630:                             ;   in Loop: Header=BB468_8 Depth=1
	v_bfe_u32 v2, v31, 24, 7
	v_mov_b32_e32 v1, 0x7f800001
	s_mov_b32 s19, exec_lo
	s_delay_alu instid0(VALU_DEP_2)
	v_cmpx_ne_u32_e32 0x7f, v2
	s_cbranch_execz .LBB468_1634
; %bb.1631:                             ;   in Loop: Header=BB468_8 Depth=1
	v_and_b32_e32 v18, 7, v0
	v_mov_b32_e32 v31, v19
	v_lshrrev_b32_e32 v1, 3, v2
	s_mov_b32 s21, exec_lo
	s_delay_alu instid0(VALU_DEP_3)
	v_mov_b32_e32 v30, v18
	v_cmpx_gt_u32_e32 8, v2
; %bb.1632:                             ;   in Loop: Header=BB468_8 Depth=1
	v_clz_i32_u32_e32 v1, v18
	s_delay_alu instid0(VALU_DEP_1) | instskip(NEXT) | instid1(VALU_DEP_1)
	v_min_u32_e32 v1, 32, v1
	v_subrev_nc_u32_e32 v2, 28, v1
	v_sub_nc_u32_e32 v1, 29, v1
	s_delay_alu instid0(VALU_DEP_2) | instskip(NEXT) | instid1(VALU_DEP_1)
	v_lshlrev_b64 v[2:3], v2, v[18:19]
	v_and_b32_e32 v30, 7, v2
; %bb.1633:                             ;   in Loop: Header=BB468_8 Depth=1
	s_or_b32 exec_lo, exec_lo, s21
	v_lshlrev_b32_e32 v0, 24, v0
	s_delay_alu instid0(VALU_DEP_2) | instskip(SKIP_1) | instid1(VALU_DEP_3)
	v_lshlrev_b32_e32 v2, 20, v30
	v_lshl_add_u32 v1, v1, 23, 0x3c000000
	v_and_b32_e32 v0, 0x80000000, v0
	s_delay_alu instid0(VALU_DEP_1)
	v_or3_b32 v1, v2, v0, v1
.LBB468_1634:                           ;   in Loop: Header=BB468_8 Depth=1
	s_or_b32 exec_lo, exec_lo, s19
.LBB468_1635:                           ;   in Loop: Header=BB468_8 Depth=1
	s_delay_alu instid0(SALU_CYCLE_1)
	s_or_b32 exec_lo, exec_lo, s17
.LBB468_1636:                           ;   in Loop: Header=BB468_8 Depth=1
	s_delay_alu instid0(SALU_CYCLE_1) | instskip(NEXT) | instid1(VALU_DEP_1)
	s_or_b32 exec_lo, exec_lo, s3
	v_mul_f32_e32 v0, v79, v1
                                        ; implicit-def: $vgpr160
	s_delay_alu instid0(VALU_DEP_1) | instskip(NEXT) | instid1(VALU_DEP_1)
	v_and_b32_e32 v1, 0x7f800000, v0
	v_cmp_ne_u32_e64 s2, 0x7f800000, v1
	s_delay_alu instid0(VALU_DEP_1) | instskip(NEXT) | instid1(SALU_CYCLE_1)
	s_and_saveexec_b32 s3, s2
	s_xor_b32 s2, exec_lo, s3
; %bb.1637:                             ;   in Loop: Header=BB468_8 Depth=1
	v_bfe_u32 v1, v0, 16, 1
	s_delay_alu instid0(VALU_DEP_1)
	v_add3_u32 v160, v0, v1, 0x7fff
                                        ; implicit-def: $vgpr0
; %bb.1638:                             ;   in Loop: Header=BB468_8 Depth=1
	s_and_not1_saveexec_b32 s3, s2
; %bb.1639:                             ;   in Loop: Header=BB468_8 Depth=1
	v_and_b32_e32 v1, 0xffff, v0
	v_or_b32_e32 v2, 0x10000, v0
	s_delay_alu instid0(VALU_DEP_2) | instskip(NEXT) | instid1(VALU_DEP_1)
	v_cmp_eq_u32_e64 s2, 0, v1
	v_cndmask_b32_e64 v160, v2, v0, s2
; %bb.1640:                             ;   in Loop: Header=BB468_8 Depth=1
	s_or_b32 exec_lo, exec_lo, s3
	flat_load_b64 v[30:31], v[28:29] offset:8
	s_mov_b32 s3, exec_lo
	s_waitcnt vmcnt(0) lgkmcnt(0)
	v_dual_mov_b32 v0, 0 :: v_dual_and_b32 v1, 0xff, v30
	s_delay_alu instid0(VALU_DEP_1)
	v_cmpx_ne_u16_e32 0, v1
	s_cbranch_execz .LBB468_1648
; %bb.1641:                             ;   in Loop: Header=BB468_8 Depth=1
	v_bfrev_b32_e32 v0, 1
	s_mov_b32 s17, exec_lo
	v_cmpx_ne_u16_e32 0x80, v1
	s_cbranch_execz .LBB468_1647
; %bb.1642:                             ;   in Loop: Header=BB468_8 Depth=1
	v_and_b32_e32 v1, 0x7f, v30
	v_mov_b32_e32 v0, 0x7f800001
	s_mov_b32 s19, exec_lo
	s_delay_alu instid0(VALU_DEP_2)
	v_cmpx_ne_u32_e32 0x7f, v1
	s_cbranch_execz .LBB468_1646
; %bb.1643:                             ;   in Loop: Header=BB468_8 Depth=1
	v_lshrrev_b32_e32 v0, 3, v1
	v_dual_mov_b32 v33, v31 :: v_dual_mov_b32 v32, v30
	s_mov_b32 s21, exec_lo
	v_cmpx_gt_u32_e32 8, v1
; %bb.1644:                             ;   in Loop: Header=BB468_8 Depth=1
	v_and_b32_e32 v0, 7, v30
	s_delay_alu instid0(VALU_DEP_1) | instskip(NEXT) | instid1(VALU_DEP_1)
	v_clz_i32_u32_e32 v0, v0
	v_min_u32_e32 v0, 32, v0
	s_delay_alu instid0(VALU_DEP_1) | instskip(SKIP_1) | instid1(VALU_DEP_2)
	v_subrev_nc_u32_e32 v1, 28, v0
	v_sub_nc_u32_e32 v0, 29, v0
	v_lshlrev_b64 v[32:33], v1, v[30:31]
; %bb.1645:                             ;   in Loop: Header=BB468_8 Depth=1
	s_or_b32 exec_lo, exec_lo, s21
	s_delay_alu instid0(VALU_DEP_1) | instskip(SKIP_2) | instid1(VALU_DEP_3)
	v_lshlrev_b32_e32 v1, 20, v32
	v_lshlrev_b32_e32 v2, 24, v30
	v_lshl_add_u32 v0, v0, 23, 0x3c000000
	v_and_b32_e32 v1, 0x700000, v1
	s_delay_alu instid0(VALU_DEP_3) | instskip(NEXT) | instid1(VALU_DEP_1)
	v_and_b32_e32 v2, 0x80000000, v2
	v_or3_b32 v0, v1, v2, v0
.LBB468_1646:                           ;   in Loop: Header=BB468_8 Depth=1
	s_or_b32 exec_lo, exec_lo, s19
.LBB468_1647:                           ;   in Loop: Header=BB468_8 Depth=1
	s_delay_alu instid0(SALU_CYCLE_1)
	s_or_b32 exec_lo, exec_lo, s17
.LBB468_1648:                           ;   in Loop: Header=BB468_8 Depth=1
	s_delay_alu instid0(SALU_CYCLE_1) | instskip(NEXT) | instid1(VALU_DEP_1)
	s_or_b32 exec_lo, exec_lo, s3
	v_mul_f32_e32 v0, v79, v0
                                        ; implicit-def: $vgpr161
	s_delay_alu instid0(VALU_DEP_1) | instskip(NEXT) | instid1(VALU_DEP_1)
	v_and_b32_e32 v1, 0x7f800000, v0
	v_cmp_ne_u32_e64 s2, 0x7f800000, v1
	s_delay_alu instid0(VALU_DEP_1) | instskip(NEXT) | instid1(SALU_CYCLE_1)
	s_and_saveexec_b32 s3, s2
	s_xor_b32 s2, exec_lo, s3
; %bb.1649:                             ;   in Loop: Header=BB468_8 Depth=1
	v_bfe_u32 v1, v0, 16, 1
	s_delay_alu instid0(VALU_DEP_1)
	v_add3_u32 v161, v0, v1, 0x7fff
                                        ; implicit-def: $vgpr0
; %bb.1650:                             ;   in Loop: Header=BB468_8 Depth=1
	s_and_not1_saveexec_b32 s3, s2
; %bb.1651:                             ;   in Loop: Header=BB468_8 Depth=1
	v_and_b32_e32 v1, 0xffff, v0
	v_or_b32_e32 v2, 0x10000, v0
	s_delay_alu instid0(VALU_DEP_2) | instskip(NEXT) | instid1(VALU_DEP_1)
	v_cmp_eq_u32_e64 s2, 0, v1
	v_cndmask_b32_e64 v161, v2, v0, s2
; %bb.1652:                             ;   in Loop: Header=BB468_8 Depth=1
	s_or_b32 exec_lo, exec_lo, s3
	v_lshrrev_b16 v1, 8, v30
	v_mov_b32_e32 v0, 0
	s_mov_b32 s3, exec_lo
	s_delay_alu instid0(VALU_DEP_2)
	v_cmpx_ne_u16_e32 0, v1
	s_cbranch_execz .LBB468_1660
; %bb.1653:                             ;   in Loop: Header=BB468_8 Depth=1
	v_bfrev_b32_e32 v0, 1
	s_mov_b32 s17, exec_lo
	v_cmpx_ne_u16_e32 0x80, v1
	s_cbranch_execz .LBB468_1659
; %bb.1654:                             ;   in Loop: Header=BB468_8 Depth=1
	v_and_b32_e32 v2, 0xffff, v1
	v_mov_b32_e32 v0, 0x7f800001
	s_mov_b32 s19, exec_lo
	s_delay_alu instid0(VALU_DEP_2) | instskip(NEXT) | instid1(VALU_DEP_1)
	v_and_b32_e32 v1, 0x7f, v2
	v_cmpx_ne_u32_e32 0x7f, v1
	s_cbranch_execz .LBB468_1658
; %bb.1655:                             ;   in Loop: Header=BB468_8 Depth=1
	v_and_b32_e32 v18, 7, v2
	v_mov_b32_e32 v33, v19
	v_lshrrev_b32_e32 v0, 3, v1
	s_mov_b32 s21, exec_lo
	s_delay_alu instid0(VALU_DEP_3)
	v_mov_b32_e32 v32, v18
	v_cmpx_gt_u32_e32 8, v1
; %bb.1656:                             ;   in Loop: Header=BB468_8 Depth=1
	v_clz_i32_u32_e32 v0, v18
	s_delay_alu instid0(VALU_DEP_1) | instskip(NEXT) | instid1(VALU_DEP_1)
	v_min_u32_e32 v0, 32, v0
	v_subrev_nc_u32_e32 v1, 28, v0
	v_sub_nc_u32_e32 v0, 29, v0
	s_delay_alu instid0(VALU_DEP_2) | instskip(NEXT) | instid1(VALU_DEP_1)
	v_lshlrev_b64 v[1:2], v1, v[18:19]
	v_and_b32_e32 v32, 7, v1
; %bb.1657:                             ;   in Loop: Header=BB468_8 Depth=1
	s_or_b32 exec_lo, exec_lo, s21
	v_lshlrev_b32_e32 v1, 16, v30
	s_delay_alu instid0(VALU_DEP_2) | instskip(SKIP_1) | instid1(VALU_DEP_3)
	v_lshlrev_b32_e32 v2, 20, v32
	v_lshl_add_u32 v0, v0, 23, 0x3c000000
	v_and_b32_e32 v1, 0x80000000, v1
	s_delay_alu instid0(VALU_DEP_1)
	v_or3_b32 v0, v2, v1, v0
.LBB468_1658:                           ;   in Loop: Header=BB468_8 Depth=1
	s_or_b32 exec_lo, exec_lo, s19
.LBB468_1659:                           ;   in Loop: Header=BB468_8 Depth=1
	s_delay_alu instid0(SALU_CYCLE_1)
	s_or_b32 exec_lo, exec_lo, s17
.LBB468_1660:                           ;   in Loop: Header=BB468_8 Depth=1
	s_delay_alu instid0(SALU_CYCLE_1) | instskip(NEXT) | instid1(VALU_DEP_1)
	s_or_b32 exec_lo, exec_lo, s3
	v_mul_f32_e32 v0, v79, v0
                                        ; implicit-def: $vgpr162
	s_delay_alu instid0(VALU_DEP_1) | instskip(NEXT) | instid1(VALU_DEP_1)
	v_and_b32_e32 v1, 0x7f800000, v0
	v_cmp_ne_u32_e64 s2, 0x7f800000, v1
	s_delay_alu instid0(VALU_DEP_1) | instskip(NEXT) | instid1(SALU_CYCLE_1)
	s_and_saveexec_b32 s3, s2
	s_xor_b32 s2, exec_lo, s3
; %bb.1661:                             ;   in Loop: Header=BB468_8 Depth=1
	v_bfe_u32 v1, v0, 16, 1
	s_delay_alu instid0(VALU_DEP_1)
	v_add3_u32 v162, v0, v1, 0x7fff
                                        ; implicit-def: $vgpr0
; %bb.1662:                             ;   in Loop: Header=BB468_8 Depth=1
	s_and_not1_saveexec_b32 s3, s2
; %bb.1663:                             ;   in Loop: Header=BB468_8 Depth=1
	v_and_b32_e32 v1, 0xffff, v0
	v_or_b32_e32 v2, 0x10000, v0
	s_delay_alu instid0(VALU_DEP_2) | instskip(NEXT) | instid1(VALU_DEP_1)
	v_cmp_eq_u32_e64 s2, 0, v1
	v_cndmask_b32_e64 v162, v2, v0, s2
; %bb.1664:                             ;   in Loop: Header=BB468_8 Depth=1
	s_or_b32 exec_lo, exec_lo, s3
	v_lshrrev_b32_e32 v0, 16, v30
	s_mov_b32 s3, exec_lo
	s_delay_alu instid0(VALU_DEP_1) | instskip(NEXT) | instid1(VALU_DEP_1)
	v_dual_mov_b32 v1, 0 :: v_dual_and_b32 v2, 0xff, v0
	v_cmpx_ne_u16_e32 0, v2
	s_cbranch_execz .LBB468_1672
; %bb.1665:                             ;   in Loop: Header=BB468_8 Depth=1
	v_bfrev_b32_e32 v1, 1
	s_mov_b32 s17, exec_lo
	v_cmpx_ne_u16_e32 0x80, v2
	s_cbranch_execz .LBB468_1671
; %bb.1666:                             ;   in Loop: Header=BB468_8 Depth=1
	v_bfe_u32 v2, v30, 16, 7
	v_mov_b32_e32 v1, 0x7f800001
	s_mov_b32 s19, exec_lo
	s_delay_alu instid0(VALU_DEP_2)
	v_cmpx_ne_u32_e32 0x7f, v2
	s_cbranch_execz .LBB468_1670
; %bb.1667:                             ;   in Loop: Header=BB468_8 Depth=1
	v_and_b32_e32 v18, 7, v0
	v_mov_b32_e32 v33, v19
	v_lshrrev_b32_e32 v1, 3, v2
	s_mov_b32 s21, exec_lo
	s_delay_alu instid0(VALU_DEP_3)
	v_mov_b32_e32 v32, v18
	v_cmpx_gt_u32_e32 8, v2
; %bb.1668:                             ;   in Loop: Header=BB468_8 Depth=1
	v_clz_i32_u32_e32 v1, v18
	s_delay_alu instid0(VALU_DEP_1) | instskip(NEXT) | instid1(VALU_DEP_1)
	v_min_u32_e32 v1, 32, v1
	v_subrev_nc_u32_e32 v2, 28, v1
	v_sub_nc_u32_e32 v1, 29, v1
	s_delay_alu instid0(VALU_DEP_2) | instskip(NEXT) | instid1(VALU_DEP_1)
	v_lshlrev_b64 v[2:3], v2, v[18:19]
	v_and_b32_e32 v32, 7, v2
; %bb.1669:                             ;   in Loop: Header=BB468_8 Depth=1
	s_or_b32 exec_lo, exec_lo, s21
	v_lshlrev_b32_e32 v0, 24, v0
	s_delay_alu instid0(VALU_DEP_2) | instskip(SKIP_1) | instid1(VALU_DEP_3)
	v_lshlrev_b32_e32 v2, 20, v32
	v_lshl_add_u32 v1, v1, 23, 0x3c000000
	v_and_b32_e32 v0, 0x80000000, v0
	s_delay_alu instid0(VALU_DEP_1)
	v_or3_b32 v1, v2, v0, v1
.LBB468_1670:                           ;   in Loop: Header=BB468_8 Depth=1
	s_or_b32 exec_lo, exec_lo, s19
.LBB468_1671:                           ;   in Loop: Header=BB468_8 Depth=1
	s_delay_alu instid0(SALU_CYCLE_1)
	s_or_b32 exec_lo, exec_lo, s17
.LBB468_1672:                           ;   in Loop: Header=BB468_8 Depth=1
	s_delay_alu instid0(SALU_CYCLE_1) | instskip(NEXT) | instid1(VALU_DEP_1)
	s_or_b32 exec_lo, exec_lo, s3
	v_mul_f32_e32 v0, v79, v1
                                        ; implicit-def: $vgpr163
	s_delay_alu instid0(VALU_DEP_1) | instskip(NEXT) | instid1(VALU_DEP_1)
	v_and_b32_e32 v1, 0x7f800000, v0
	v_cmp_ne_u32_e64 s2, 0x7f800000, v1
	s_delay_alu instid0(VALU_DEP_1) | instskip(NEXT) | instid1(SALU_CYCLE_1)
	s_and_saveexec_b32 s3, s2
	s_xor_b32 s2, exec_lo, s3
; %bb.1673:                             ;   in Loop: Header=BB468_8 Depth=1
	v_bfe_u32 v1, v0, 16, 1
	s_delay_alu instid0(VALU_DEP_1)
	v_add3_u32 v163, v0, v1, 0x7fff
                                        ; implicit-def: $vgpr0
; %bb.1674:                             ;   in Loop: Header=BB468_8 Depth=1
	s_and_not1_saveexec_b32 s3, s2
; %bb.1675:                             ;   in Loop: Header=BB468_8 Depth=1
	v_and_b32_e32 v1, 0xffff, v0
	v_or_b32_e32 v2, 0x10000, v0
	s_delay_alu instid0(VALU_DEP_2) | instskip(NEXT) | instid1(VALU_DEP_1)
	v_cmp_eq_u32_e64 s2, 0, v1
	v_cndmask_b32_e64 v163, v2, v0, s2
; %bb.1676:                             ;   in Loop: Header=BB468_8 Depth=1
	s_or_b32 exec_lo, exec_lo, s3
	v_mov_b32_e32 v1, 0
	s_mov_b32 s3, exec_lo
	v_cmpx_lt_u32_e32 0xffffff, v30
	s_cbranch_execz .LBB468_1684
; %bb.1677:                             ;   in Loop: Header=BB468_8 Depth=1
	v_lshrrev_b32_e32 v0, 24, v30
	v_bfrev_b32_e32 v1, 1
	s_mov_b32 s17, exec_lo
	s_delay_alu instid0(VALU_DEP_2)
	v_cmpx_ne_u32_e32 0x80, v0
	s_cbranch_execz .LBB468_1683
; %bb.1678:                             ;   in Loop: Header=BB468_8 Depth=1
	v_bfe_u32 v2, v30, 24, 7
	v_mov_b32_e32 v1, 0x7f800001
	s_mov_b32 s19, exec_lo
	s_delay_alu instid0(VALU_DEP_2)
	v_cmpx_ne_u32_e32 0x7f, v2
	s_cbranch_execz .LBB468_1682
; %bb.1679:                             ;   in Loop: Header=BB468_8 Depth=1
	v_and_b32_e32 v18, 7, v0
	v_mov_b32_e32 v33, v19
	v_lshrrev_b32_e32 v1, 3, v2
	s_mov_b32 s21, exec_lo
	s_delay_alu instid0(VALU_DEP_3)
	v_mov_b32_e32 v32, v18
	v_cmpx_gt_u32_e32 8, v2
; %bb.1680:                             ;   in Loop: Header=BB468_8 Depth=1
	v_clz_i32_u32_e32 v1, v18
	s_delay_alu instid0(VALU_DEP_1) | instskip(NEXT) | instid1(VALU_DEP_1)
	v_min_u32_e32 v1, 32, v1
	v_subrev_nc_u32_e32 v2, 28, v1
	v_sub_nc_u32_e32 v1, 29, v1
	s_delay_alu instid0(VALU_DEP_2) | instskip(NEXT) | instid1(VALU_DEP_1)
	v_lshlrev_b64 v[2:3], v2, v[18:19]
	v_and_b32_e32 v32, 7, v2
; %bb.1681:                             ;   in Loop: Header=BB468_8 Depth=1
	s_or_b32 exec_lo, exec_lo, s21
	v_lshlrev_b32_e32 v0, 24, v0
	s_delay_alu instid0(VALU_DEP_2) | instskip(SKIP_1) | instid1(VALU_DEP_3)
	v_lshlrev_b32_e32 v2, 20, v32
	v_lshl_add_u32 v1, v1, 23, 0x3c000000
	v_and_b32_e32 v0, 0x80000000, v0
	s_delay_alu instid0(VALU_DEP_1)
	v_or3_b32 v1, v2, v0, v1
.LBB468_1682:                           ;   in Loop: Header=BB468_8 Depth=1
	s_or_b32 exec_lo, exec_lo, s19
.LBB468_1683:                           ;   in Loop: Header=BB468_8 Depth=1
	s_delay_alu instid0(SALU_CYCLE_1)
	s_or_b32 exec_lo, exec_lo, s17
.LBB468_1684:                           ;   in Loop: Header=BB468_8 Depth=1
	s_delay_alu instid0(SALU_CYCLE_1) | instskip(NEXT) | instid1(VALU_DEP_1)
	s_or_b32 exec_lo, exec_lo, s3
	v_mul_f32_e32 v0, v79, v1
                                        ; implicit-def: $vgpr164
	s_delay_alu instid0(VALU_DEP_1) | instskip(NEXT) | instid1(VALU_DEP_1)
	v_and_b32_e32 v1, 0x7f800000, v0
	v_cmp_ne_u32_e64 s2, 0x7f800000, v1
	s_delay_alu instid0(VALU_DEP_1) | instskip(NEXT) | instid1(SALU_CYCLE_1)
	s_and_saveexec_b32 s3, s2
	s_xor_b32 s2, exec_lo, s3
; %bb.1685:                             ;   in Loop: Header=BB468_8 Depth=1
	v_bfe_u32 v1, v0, 16, 1
	s_delay_alu instid0(VALU_DEP_1)
	v_add3_u32 v164, v0, v1, 0x7fff
                                        ; implicit-def: $vgpr0
; %bb.1686:                             ;   in Loop: Header=BB468_8 Depth=1
	s_and_not1_saveexec_b32 s3, s2
; %bb.1687:                             ;   in Loop: Header=BB468_8 Depth=1
	v_and_b32_e32 v1, 0xffff, v0
	v_or_b32_e32 v2, 0x10000, v0
	s_delay_alu instid0(VALU_DEP_2) | instskip(NEXT) | instid1(VALU_DEP_1)
	v_cmp_eq_u32_e64 s2, 0, v1
	v_cndmask_b32_e64 v164, v2, v0, s2
; %bb.1688:                             ;   in Loop: Header=BB468_8 Depth=1
	s_or_b32 exec_lo, exec_lo, s3
	v_dual_mov_b32 v18, v31 :: v_dual_and_b32 v1, 0xff, v31
	v_mov_b32_e32 v0, 0
	s_mov_b32 s3, exec_lo
	s_delay_alu instid0(VALU_DEP_2)
	v_cmpx_ne_u16_e32 0, v1
	s_cbranch_execz .LBB468_1696
; %bb.1689:                             ;   in Loop: Header=BB468_8 Depth=1
	v_bfrev_b32_e32 v0, 1
	s_mov_b32 s17, exec_lo
	v_cmpx_ne_u16_e32 0x80, v1
	s_cbranch_execz .LBB468_1695
; %bb.1690:                             ;   in Loop: Header=BB468_8 Depth=1
	v_and_b32_e32 v1, 0x7f, v31
	v_mov_b32_e32 v0, 0x7f800001
	s_mov_b32 s19, exec_lo
	s_delay_alu instid0(VALU_DEP_2)
	v_cmpx_ne_u32_e32 0x7f, v1
	s_cbranch_execz .LBB468_1694
; %bb.1691:                             ;   in Loop: Header=BB468_8 Depth=1
	v_dual_mov_b32 v33, v19 :: v_dual_mov_b32 v32, v18
	v_lshrrev_b32_e32 v0, 3, v1
	s_mov_b32 s21, exec_lo
	v_cmpx_gt_u32_e32 8, v1
; %bb.1692:                             ;   in Loop: Header=BB468_8 Depth=1
	v_and_b32_e32 v0, 7, v31
	s_delay_alu instid0(VALU_DEP_1) | instskip(NEXT) | instid1(VALU_DEP_1)
	v_clz_i32_u32_e32 v0, v0
	v_min_u32_e32 v0, 32, v0
	s_delay_alu instid0(VALU_DEP_1) | instskip(SKIP_1) | instid1(VALU_DEP_2)
	v_subrev_nc_u32_e32 v1, 28, v0
	v_sub_nc_u32_e32 v0, 29, v0
	v_lshlrev_b64 v[32:33], v1, v[18:19]
; %bb.1693:                             ;   in Loop: Header=BB468_8 Depth=1
	s_or_b32 exec_lo, exec_lo, s21
	s_delay_alu instid0(VALU_DEP_1) | instskip(SKIP_2) | instid1(VALU_DEP_3)
	v_lshlrev_b32_e32 v1, 20, v32
	v_lshlrev_b32_e32 v2, 24, v18
	v_lshl_add_u32 v0, v0, 23, 0x3c000000
	v_and_b32_e32 v1, 0x700000, v1
	s_delay_alu instid0(VALU_DEP_3) | instskip(NEXT) | instid1(VALU_DEP_1)
	v_and_b32_e32 v2, 0x80000000, v2
	v_or3_b32 v0, v1, v2, v0
.LBB468_1694:                           ;   in Loop: Header=BB468_8 Depth=1
	s_or_b32 exec_lo, exec_lo, s19
.LBB468_1695:                           ;   in Loop: Header=BB468_8 Depth=1
	s_delay_alu instid0(SALU_CYCLE_1)
	s_or_b32 exec_lo, exec_lo, s17
.LBB468_1696:                           ;   in Loop: Header=BB468_8 Depth=1
	s_delay_alu instid0(SALU_CYCLE_1) | instskip(NEXT) | instid1(VALU_DEP_1)
	s_or_b32 exec_lo, exec_lo, s3
	v_mul_f32_e32 v0, v79, v0
                                        ; implicit-def: $vgpr165
	s_delay_alu instid0(VALU_DEP_1) | instskip(NEXT) | instid1(VALU_DEP_1)
	v_and_b32_e32 v1, 0x7f800000, v0
	v_cmp_ne_u32_e64 s2, 0x7f800000, v1
	s_delay_alu instid0(VALU_DEP_1) | instskip(NEXT) | instid1(SALU_CYCLE_1)
	s_and_saveexec_b32 s3, s2
	s_xor_b32 s2, exec_lo, s3
; %bb.1697:                             ;   in Loop: Header=BB468_8 Depth=1
	v_bfe_u32 v1, v0, 16, 1
	s_delay_alu instid0(VALU_DEP_1)
	v_add3_u32 v165, v0, v1, 0x7fff
                                        ; implicit-def: $vgpr0
; %bb.1698:                             ;   in Loop: Header=BB468_8 Depth=1
	s_and_not1_saveexec_b32 s3, s2
; %bb.1699:                             ;   in Loop: Header=BB468_8 Depth=1
	v_and_b32_e32 v1, 0xffff, v0
	v_or_b32_e32 v2, 0x10000, v0
	s_delay_alu instid0(VALU_DEP_2) | instskip(NEXT) | instid1(VALU_DEP_1)
	v_cmp_eq_u32_e64 s2, 0, v1
	v_cndmask_b32_e64 v165, v2, v0, s2
; %bb.1700:                             ;   in Loop: Header=BB468_8 Depth=1
	s_or_b32 exec_lo, exec_lo, s3
	v_lshrrev_b16 v1, 8, v18
	v_mov_b32_e32 v0, 0
	s_mov_b32 s3, exec_lo
	s_delay_alu instid0(VALU_DEP_2)
	v_cmpx_ne_u16_e32 0, v1
	s_cbranch_execz .LBB468_1708
; %bb.1701:                             ;   in Loop: Header=BB468_8 Depth=1
	v_bfrev_b32_e32 v0, 1
	s_mov_b32 s17, exec_lo
	v_cmpx_ne_u16_e32 0x80, v1
	s_cbranch_execz .LBB468_1707
; %bb.1702:                             ;   in Loop: Header=BB468_8 Depth=1
	v_and_b32_e32 v2, 0xffff, v1
	v_mov_b32_e32 v0, 0x7f800001
	s_mov_b32 s19, exec_lo
	s_delay_alu instid0(VALU_DEP_2) | instskip(NEXT) | instid1(VALU_DEP_1)
	v_and_b32_e32 v1, 0x7f, v2
	v_cmpx_ne_u32_e32 0x7f, v1
	s_cbranch_execz .LBB468_1706
; %bb.1703:                             ;   in Loop: Header=BB468_8 Depth=1
	v_dual_mov_b32 v33, v19 :: v_dual_and_b32 v32, 7, v2
	v_lshrrev_b32_e32 v0, 3, v1
	s_mov_b32 s21, exec_lo
	v_cmpx_gt_u32_e32 8, v1
; %bb.1704:                             ;   in Loop: Header=BB468_8 Depth=1
	s_delay_alu instid0(VALU_DEP_3) | instskip(NEXT) | instid1(VALU_DEP_1)
	v_clz_i32_u32_e32 v0, v32
	v_min_u32_e32 v0, 32, v0
	s_delay_alu instid0(VALU_DEP_1) | instskip(SKIP_1) | instid1(VALU_DEP_2)
	v_subrev_nc_u32_e32 v1, 28, v0
	v_sub_nc_u32_e32 v0, 29, v0
	v_lshlrev_b64 v[1:2], v1, v[32:33]
	s_delay_alu instid0(VALU_DEP_1)
	v_and_b32_e32 v32, 7, v1
; %bb.1705:                             ;   in Loop: Header=BB468_8 Depth=1
	s_or_b32 exec_lo, exec_lo, s21
	v_lshlrev_b32_e32 v1, 16, v18
	s_delay_alu instid0(VALU_DEP_2) | instskip(SKIP_1) | instid1(VALU_DEP_3)
	v_lshlrev_b32_e32 v2, 20, v32
	v_lshl_add_u32 v0, v0, 23, 0x3c000000
	v_and_b32_e32 v1, 0x80000000, v1
	s_delay_alu instid0(VALU_DEP_1)
	v_or3_b32 v0, v2, v1, v0
.LBB468_1706:                           ;   in Loop: Header=BB468_8 Depth=1
	s_or_b32 exec_lo, exec_lo, s19
.LBB468_1707:                           ;   in Loop: Header=BB468_8 Depth=1
	s_delay_alu instid0(SALU_CYCLE_1)
	s_or_b32 exec_lo, exec_lo, s17
.LBB468_1708:                           ;   in Loop: Header=BB468_8 Depth=1
	s_delay_alu instid0(SALU_CYCLE_1) | instskip(NEXT) | instid1(VALU_DEP_1)
	s_or_b32 exec_lo, exec_lo, s3
	v_mul_f32_e32 v0, v79, v0
                                        ; implicit-def: $vgpr166
	s_delay_alu instid0(VALU_DEP_1) | instskip(NEXT) | instid1(VALU_DEP_1)
	v_and_b32_e32 v1, 0x7f800000, v0
	v_cmp_ne_u32_e64 s2, 0x7f800000, v1
	s_delay_alu instid0(VALU_DEP_1) | instskip(NEXT) | instid1(SALU_CYCLE_1)
	s_and_saveexec_b32 s3, s2
	s_xor_b32 s2, exec_lo, s3
; %bb.1709:                             ;   in Loop: Header=BB468_8 Depth=1
	v_bfe_u32 v1, v0, 16, 1
	s_delay_alu instid0(VALU_DEP_1)
	v_add3_u32 v166, v0, v1, 0x7fff
                                        ; implicit-def: $vgpr0
; %bb.1710:                             ;   in Loop: Header=BB468_8 Depth=1
	s_and_not1_saveexec_b32 s3, s2
; %bb.1711:                             ;   in Loop: Header=BB468_8 Depth=1
	v_and_b32_e32 v1, 0xffff, v0
	v_or_b32_e32 v2, 0x10000, v0
	s_delay_alu instid0(VALU_DEP_2) | instskip(NEXT) | instid1(VALU_DEP_1)
	v_cmp_eq_u32_e64 s2, 0, v1
	v_cndmask_b32_e64 v166, v2, v0, s2
; %bb.1712:                             ;   in Loop: Header=BB468_8 Depth=1
	s_or_b32 exec_lo, exec_lo, s3
	v_lshrrev_b32_e32 v0, 16, v31
	s_mov_b32 s3, exec_lo
	s_delay_alu instid0(VALU_DEP_1) | instskip(NEXT) | instid1(VALU_DEP_1)
	v_dual_mov_b32 v1, 0 :: v_dual_and_b32 v2, 0xff, v0
	v_cmpx_ne_u16_e32 0, v2
	s_cbranch_execz .LBB468_1720
; %bb.1713:                             ;   in Loop: Header=BB468_8 Depth=1
	v_bfrev_b32_e32 v1, 1
	s_mov_b32 s17, exec_lo
	v_cmpx_ne_u16_e32 0x80, v2
	s_cbranch_execz .LBB468_1719
; %bb.1714:                             ;   in Loop: Header=BB468_8 Depth=1
	v_bfe_u32 v2, v31, 16, 7
	v_mov_b32_e32 v1, 0x7f800001
	s_mov_b32 s19, exec_lo
	s_delay_alu instid0(VALU_DEP_2)
	v_cmpx_ne_u32_e32 0x7f, v2
	s_cbranch_execz .LBB468_1718
; %bb.1715:                             ;   in Loop: Header=BB468_8 Depth=1
	v_and_b32_e32 v18, 7, v0
	v_mov_b32_e32 v33, v19
	v_lshrrev_b32_e32 v1, 3, v2
	s_mov_b32 s21, exec_lo
	s_delay_alu instid0(VALU_DEP_3)
	v_mov_b32_e32 v32, v18
	v_cmpx_gt_u32_e32 8, v2
; %bb.1716:                             ;   in Loop: Header=BB468_8 Depth=1
	v_clz_i32_u32_e32 v1, v18
	s_delay_alu instid0(VALU_DEP_1) | instskip(NEXT) | instid1(VALU_DEP_1)
	v_min_u32_e32 v1, 32, v1
	v_subrev_nc_u32_e32 v2, 28, v1
	v_sub_nc_u32_e32 v1, 29, v1
	s_delay_alu instid0(VALU_DEP_2) | instskip(NEXT) | instid1(VALU_DEP_1)
	v_lshlrev_b64 v[2:3], v2, v[18:19]
	v_and_b32_e32 v32, 7, v2
; %bb.1717:                             ;   in Loop: Header=BB468_8 Depth=1
	s_or_b32 exec_lo, exec_lo, s21
	v_lshlrev_b32_e32 v0, 24, v0
	s_delay_alu instid0(VALU_DEP_2) | instskip(SKIP_1) | instid1(VALU_DEP_3)
	v_lshlrev_b32_e32 v2, 20, v32
	v_lshl_add_u32 v1, v1, 23, 0x3c000000
	v_and_b32_e32 v0, 0x80000000, v0
	s_delay_alu instid0(VALU_DEP_1)
	v_or3_b32 v1, v2, v0, v1
.LBB468_1718:                           ;   in Loop: Header=BB468_8 Depth=1
	s_or_b32 exec_lo, exec_lo, s19
.LBB468_1719:                           ;   in Loop: Header=BB468_8 Depth=1
	s_delay_alu instid0(SALU_CYCLE_1)
	s_or_b32 exec_lo, exec_lo, s17
.LBB468_1720:                           ;   in Loop: Header=BB468_8 Depth=1
	s_delay_alu instid0(SALU_CYCLE_1) | instskip(NEXT) | instid1(VALU_DEP_1)
	s_or_b32 exec_lo, exec_lo, s3
	v_mul_f32_e32 v0, v79, v1
                                        ; implicit-def: $vgpr167
	s_delay_alu instid0(VALU_DEP_1) | instskip(NEXT) | instid1(VALU_DEP_1)
	v_and_b32_e32 v1, 0x7f800000, v0
	v_cmp_ne_u32_e64 s2, 0x7f800000, v1
	s_delay_alu instid0(VALU_DEP_1) | instskip(NEXT) | instid1(SALU_CYCLE_1)
	s_and_saveexec_b32 s3, s2
	s_xor_b32 s2, exec_lo, s3
; %bb.1721:                             ;   in Loop: Header=BB468_8 Depth=1
	v_bfe_u32 v1, v0, 16, 1
	s_delay_alu instid0(VALU_DEP_1)
	v_add3_u32 v167, v0, v1, 0x7fff
                                        ; implicit-def: $vgpr0
; %bb.1722:                             ;   in Loop: Header=BB468_8 Depth=1
	s_and_not1_saveexec_b32 s3, s2
; %bb.1723:                             ;   in Loop: Header=BB468_8 Depth=1
	v_and_b32_e32 v1, 0xffff, v0
	v_or_b32_e32 v2, 0x10000, v0
	s_delay_alu instid0(VALU_DEP_2) | instskip(NEXT) | instid1(VALU_DEP_1)
	v_cmp_eq_u32_e64 s2, 0, v1
	v_cndmask_b32_e64 v167, v2, v0, s2
; %bb.1724:                             ;   in Loop: Header=BB468_8 Depth=1
	s_or_b32 exec_lo, exec_lo, s3
	v_mov_b32_e32 v1, 0
	s_mov_b32 s3, exec_lo
	v_cmpx_lt_u64_e64 s[4:5], v[30:31]
	s_cbranch_execz .LBB468_1732
; %bb.1725:                             ;   in Loop: Header=BB468_8 Depth=1
	v_lshrrev_b32_e32 v0, 24, v31
	v_bfrev_b32_e32 v1, 1
	s_mov_b32 s17, exec_lo
	s_delay_alu instid0(VALU_DEP_2)
	v_cmpx_ne_u32_e32 0x80, v0
	s_cbranch_execz .LBB468_1731
; %bb.1726:                             ;   in Loop: Header=BB468_8 Depth=1
	v_bfe_u32 v2, v31, 24, 7
	v_mov_b32_e32 v1, 0x7f800001
	s_mov_b32 s19, exec_lo
	s_delay_alu instid0(VALU_DEP_2)
	v_cmpx_ne_u32_e32 0x7f, v2
	s_cbranch_execz .LBB468_1730
; %bb.1727:                             ;   in Loop: Header=BB468_8 Depth=1
	v_and_b32_e32 v18, 7, v0
	v_mov_b32_e32 v31, v19
	v_lshrrev_b32_e32 v1, 3, v2
	s_mov_b32 s21, exec_lo
	s_delay_alu instid0(VALU_DEP_3)
	v_mov_b32_e32 v30, v18
	v_cmpx_gt_u32_e32 8, v2
; %bb.1728:                             ;   in Loop: Header=BB468_8 Depth=1
	v_clz_i32_u32_e32 v1, v18
	s_delay_alu instid0(VALU_DEP_1) | instskip(NEXT) | instid1(VALU_DEP_1)
	v_min_u32_e32 v1, 32, v1
	v_subrev_nc_u32_e32 v2, 28, v1
	v_sub_nc_u32_e32 v1, 29, v1
	s_delay_alu instid0(VALU_DEP_2) | instskip(NEXT) | instid1(VALU_DEP_1)
	v_lshlrev_b64 v[2:3], v2, v[18:19]
	v_and_b32_e32 v30, 7, v2
; %bb.1729:                             ;   in Loop: Header=BB468_8 Depth=1
	s_or_b32 exec_lo, exec_lo, s21
	v_lshlrev_b32_e32 v0, 24, v0
	s_delay_alu instid0(VALU_DEP_2) | instskip(SKIP_1) | instid1(VALU_DEP_3)
	v_lshlrev_b32_e32 v2, 20, v30
	v_lshl_add_u32 v1, v1, 23, 0x3c000000
	v_and_b32_e32 v0, 0x80000000, v0
	s_delay_alu instid0(VALU_DEP_1)
	v_or3_b32 v1, v2, v0, v1
.LBB468_1730:                           ;   in Loop: Header=BB468_8 Depth=1
	s_or_b32 exec_lo, exec_lo, s19
.LBB468_1731:                           ;   in Loop: Header=BB468_8 Depth=1
	s_delay_alu instid0(SALU_CYCLE_1)
	s_or_b32 exec_lo, exec_lo, s17
.LBB468_1732:                           ;   in Loop: Header=BB468_8 Depth=1
	s_delay_alu instid0(SALU_CYCLE_1) | instskip(NEXT) | instid1(VALU_DEP_1)
	s_or_b32 exec_lo, exec_lo, s3
	v_mul_f32_e32 v0, v79, v1
                                        ; implicit-def: $vgpr176
	s_delay_alu instid0(VALU_DEP_1) | instskip(NEXT) | instid1(VALU_DEP_1)
	v_and_b32_e32 v1, 0x7f800000, v0
	v_cmp_ne_u32_e64 s2, 0x7f800000, v1
	s_delay_alu instid0(VALU_DEP_1) | instskip(NEXT) | instid1(SALU_CYCLE_1)
	s_and_saveexec_b32 s3, s2
	s_xor_b32 s2, exec_lo, s3
; %bb.1733:                             ;   in Loop: Header=BB468_8 Depth=1
	v_bfe_u32 v1, v0, 16, 1
	s_delay_alu instid0(VALU_DEP_1)
	v_add3_u32 v176, v0, v1, 0x7fff
                                        ; implicit-def: $vgpr0
; %bb.1734:                             ;   in Loop: Header=BB468_8 Depth=1
	s_and_not1_saveexec_b32 s3, s2
; %bb.1735:                             ;   in Loop: Header=BB468_8 Depth=1
	v_and_b32_e32 v1, 0xffff, v0
	v_or_b32_e32 v2, 0x10000, v0
	s_delay_alu instid0(VALU_DEP_2) | instskip(NEXT) | instid1(VALU_DEP_1)
	v_cmp_eq_u32_e64 s2, 0, v1
	v_cndmask_b32_e64 v176, v2, v0, s2
; %bb.1736:                             ;   in Loop: Header=BB468_8 Depth=1
	s_or_b32 exec_lo, exec_lo, s3
	flat_load_b64 v[30:31], v[28:29] offset:512
	s_mov_b32 s3, exec_lo
	s_waitcnt vmcnt(0) lgkmcnt(0)
	v_dual_mov_b32 v0, 0 :: v_dual_and_b32 v1, 0xff, v30
	s_delay_alu instid0(VALU_DEP_1)
	v_cmpx_ne_u16_e32 0, v1
	s_cbranch_execz .LBB468_1744
; %bb.1737:                             ;   in Loop: Header=BB468_8 Depth=1
	v_bfrev_b32_e32 v0, 1
	s_mov_b32 s17, exec_lo
	v_cmpx_ne_u16_e32 0x80, v1
	s_cbranch_execz .LBB468_1743
; %bb.1738:                             ;   in Loop: Header=BB468_8 Depth=1
	v_and_b32_e32 v1, 0x7f, v30
	v_mov_b32_e32 v0, 0x7f800001
	s_mov_b32 s19, exec_lo
	s_delay_alu instid0(VALU_DEP_2)
	v_cmpx_ne_u32_e32 0x7f, v1
	s_cbranch_execz .LBB468_1742
; %bb.1739:                             ;   in Loop: Header=BB468_8 Depth=1
	v_lshrrev_b32_e32 v0, 3, v1
	v_dual_mov_b32 v33, v31 :: v_dual_mov_b32 v32, v30
	s_mov_b32 s21, exec_lo
	v_cmpx_gt_u32_e32 8, v1
; %bb.1740:                             ;   in Loop: Header=BB468_8 Depth=1
	v_and_b32_e32 v0, 7, v30
	s_delay_alu instid0(VALU_DEP_1) | instskip(NEXT) | instid1(VALU_DEP_1)
	v_clz_i32_u32_e32 v0, v0
	v_min_u32_e32 v0, 32, v0
	s_delay_alu instid0(VALU_DEP_1) | instskip(SKIP_1) | instid1(VALU_DEP_2)
	v_subrev_nc_u32_e32 v1, 28, v0
	v_sub_nc_u32_e32 v0, 29, v0
	v_lshlrev_b64 v[32:33], v1, v[30:31]
; %bb.1741:                             ;   in Loop: Header=BB468_8 Depth=1
	s_or_b32 exec_lo, exec_lo, s21
	s_delay_alu instid0(VALU_DEP_1) | instskip(SKIP_2) | instid1(VALU_DEP_3)
	v_lshlrev_b32_e32 v1, 20, v32
	v_lshlrev_b32_e32 v2, 24, v30
	v_lshl_add_u32 v0, v0, 23, 0x3c000000
	v_and_b32_e32 v1, 0x700000, v1
	s_delay_alu instid0(VALU_DEP_3) | instskip(NEXT) | instid1(VALU_DEP_1)
	v_and_b32_e32 v2, 0x80000000, v2
	v_or3_b32 v0, v1, v2, v0
.LBB468_1742:                           ;   in Loop: Header=BB468_8 Depth=1
	s_or_b32 exec_lo, exec_lo, s19
.LBB468_1743:                           ;   in Loop: Header=BB468_8 Depth=1
	s_delay_alu instid0(SALU_CYCLE_1)
	s_or_b32 exec_lo, exec_lo, s17
.LBB468_1744:                           ;   in Loop: Header=BB468_8 Depth=1
	s_delay_alu instid0(SALU_CYCLE_1) | instskip(NEXT) | instid1(VALU_DEP_1)
	s_or_b32 exec_lo, exec_lo, s3
	v_mul_f32_e32 v0, v79, v0
                                        ; implicit-def: $vgpr177
	s_delay_alu instid0(VALU_DEP_1) | instskip(NEXT) | instid1(VALU_DEP_1)
	v_and_b32_e32 v1, 0x7f800000, v0
	v_cmp_ne_u32_e64 s2, 0x7f800000, v1
	s_delay_alu instid0(VALU_DEP_1) | instskip(NEXT) | instid1(SALU_CYCLE_1)
	s_and_saveexec_b32 s3, s2
	s_xor_b32 s2, exec_lo, s3
; %bb.1745:                             ;   in Loop: Header=BB468_8 Depth=1
	v_bfe_u32 v1, v0, 16, 1
	s_delay_alu instid0(VALU_DEP_1)
	v_add3_u32 v177, v0, v1, 0x7fff
                                        ; implicit-def: $vgpr0
; %bb.1746:                             ;   in Loop: Header=BB468_8 Depth=1
	s_and_not1_saveexec_b32 s3, s2
; %bb.1747:                             ;   in Loop: Header=BB468_8 Depth=1
	v_and_b32_e32 v1, 0xffff, v0
	v_or_b32_e32 v2, 0x10000, v0
	s_delay_alu instid0(VALU_DEP_2) | instskip(NEXT) | instid1(VALU_DEP_1)
	v_cmp_eq_u32_e64 s2, 0, v1
	v_cndmask_b32_e64 v177, v2, v0, s2
; %bb.1748:                             ;   in Loop: Header=BB468_8 Depth=1
	s_or_b32 exec_lo, exec_lo, s3
	v_lshrrev_b16 v1, 8, v30
	v_mov_b32_e32 v0, 0
	s_mov_b32 s3, exec_lo
	s_delay_alu instid0(VALU_DEP_2)
	v_cmpx_ne_u16_e32 0, v1
	s_cbranch_execz .LBB468_1756
; %bb.1749:                             ;   in Loop: Header=BB468_8 Depth=1
	v_bfrev_b32_e32 v0, 1
	s_mov_b32 s17, exec_lo
	v_cmpx_ne_u16_e32 0x80, v1
	s_cbranch_execz .LBB468_1755
; %bb.1750:                             ;   in Loop: Header=BB468_8 Depth=1
	v_and_b32_e32 v2, 0xffff, v1
	v_mov_b32_e32 v0, 0x7f800001
	s_mov_b32 s19, exec_lo
	s_delay_alu instid0(VALU_DEP_2) | instskip(NEXT) | instid1(VALU_DEP_1)
	v_and_b32_e32 v1, 0x7f, v2
	v_cmpx_ne_u32_e32 0x7f, v1
	s_cbranch_execz .LBB468_1754
; %bb.1751:                             ;   in Loop: Header=BB468_8 Depth=1
	v_and_b32_e32 v18, 7, v2
	v_mov_b32_e32 v33, v19
	v_lshrrev_b32_e32 v0, 3, v1
	s_mov_b32 s21, exec_lo
	s_delay_alu instid0(VALU_DEP_3)
	v_mov_b32_e32 v32, v18
	v_cmpx_gt_u32_e32 8, v1
; %bb.1752:                             ;   in Loop: Header=BB468_8 Depth=1
	v_clz_i32_u32_e32 v0, v18
	s_delay_alu instid0(VALU_DEP_1) | instskip(NEXT) | instid1(VALU_DEP_1)
	v_min_u32_e32 v0, 32, v0
	v_subrev_nc_u32_e32 v1, 28, v0
	v_sub_nc_u32_e32 v0, 29, v0
	s_delay_alu instid0(VALU_DEP_2) | instskip(NEXT) | instid1(VALU_DEP_1)
	v_lshlrev_b64 v[1:2], v1, v[18:19]
	v_and_b32_e32 v32, 7, v1
; %bb.1753:                             ;   in Loop: Header=BB468_8 Depth=1
	s_or_b32 exec_lo, exec_lo, s21
	v_lshlrev_b32_e32 v1, 16, v30
	s_delay_alu instid0(VALU_DEP_2) | instskip(SKIP_1) | instid1(VALU_DEP_3)
	v_lshlrev_b32_e32 v2, 20, v32
	v_lshl_add_u32 v0, v0, 23, 0x3c000000
	v_and_b32_e32 v1, 0x80000000, v1
	s_delay_alu instid0(VALU_DEP_1)
	v_or3_b32 v0, v2, v1, v0
.LBB468_1754:                           ;   in Loop: Header=BB468_8 Depth=1
	s_or_b32 exec_lo, exec_lo, s19
.LBB468_1755:                           ;   in Loop: Header=BB468_8 Depth=1
	s_delay_alu instid0(SALU_CYCLE_1)
	s_or_b32 exec_lo, exec_lo, s17
.LBB468_1756:                           ;   in Loop: Header=BB468_8 Depth=1
	s_delay_alu instid0(SALU_CYCLE_1) | instskip(NEXT) | instid1(VALU_DEP_1)
	s_or_b32 exec_lo, exec_lo, s3
	v_mul_f32_e32 v0, v79, v0
                                        ; implicit-def: $vgpr178
	s_delay_alu instid0(VALU_DEP_1) | instskip(NEXT) | instid1(VALU_DEP_1)
	v_and_b32_e32 v1, 0x7f800000, v0
	v_cmp_ne_u32_e64 s2, 0x7f800000, v1
	s_delay_alu instid0(VALU_DEP_1) | instskip(NEXT) | instid1(SALU_CYCLE_1)
	s_and_saveexec_b32 s3, s2
	s_xor_b32 s2, exec_lo, s3
; %bb.1757:                             ;   in Loop: Header=BB468_8 Depth=1
	v_bfe_u32 v1, v0, 16, 1
	s_delay_alu instid0(VALU_DEP_1)
	v_add3_u32 v178, v0, v1, 0x7fff
                                        ; implicit-def: $vgpr0
; %bb.1758:                             ;   in Loop: Header=BB468_8 Depth=1
	s_and_not1_saveexec_b32 s3, s2
; %bb.1759:                             ;   in Loop: Header=BB468_8 Depth=1
	v_and_b32_e32 v1, 0xffff, v0
	v_or_b32_e32 v2, 0x10000, v0
	s_delay_alu instid0(VALU_DEP_2) | instskip(NEXT) | instid1(VALU_DEP_1)
	v_cmp_eq_u32_e64 s2, 0, v1
	v_cndmask_b32_e64 v178, v2, v0, s2
; %bb.1760:                             ;   in Loop: Header=BB468_8 Depth=1
	s_or_b32 exec_lo, exec_lo, s3
	v_lshrrev_b32_e32 v0, 16, v30
	s_mov_b32 s3, exec_lo
	s_delay_alu instid0(VALU_DEP_1) | instskip(NEXT) | instid1(VALU_DEP_1)
	v_dual_mov_b32 v1, 0 :: v_dual_and_b32 v2, 0xff, v0
	v_cmpx_ne_u16_e32 0, v2
	s_cbranch_execz .LBB468_1768
; %bb.1761:                             ;   in Loop: Header=BB468_8 Depth=1
	v_bfrev_b32_e32 v1, 1
	s_mov_b32 s17, exec_lo
	v_cmpx_ne_u16_e32 0x80, v2
	s_cbranch_execz .LBB468_1767
; %bb.1762:                             ;   in Loop: Header=BB468_8 Depth=1
	v_bfe_u32 v2, v30, 16, 7
	v_mov_b32_e32 v1, 0x7f800001
	s_mov_b32 s19, exec_lo
	s_delay_alu instid0(VALU_DEP_2)
	v_cmpx_ne_u32_e32 0x7f, v2
	s_cbranch_execz .LBB468_1766
; %bb.1763:                             ;   in Loop: Header=BB468_8 Depth=1
	v_and_b32_e32 v18, 7, v0
	v_mov_b32_e32 v33, v19
	v_lshrrev_b32_e32 v1, 3, v2
	s_mov_b32 s21, exec_lo
	s_delay_alu instid0(VALU_DEP_3)
	v_mov_b32_e32 v32, v18
	v_cmpx_gt_u32_e32 8, v2
; %bb.1764:                             ;   in Loop: Header=BB468_8 Depth=1
	v_clz_i32_u32_e32 v1, v18
	s_delay_alu instid0(VALU_DEP_1) | instskip(NEXT) | instid1(VALU_DEP_1)
	v_min_u32_e32 v1, 32, v1
	v_subrev_nc_u32_e32 v2, 28, v1
	v_sub_nc_u32_e32 v1, 29, v1
	s_delay_alu instid0(VALU_DEP_2) | instskip(NEXT) | instid1(VALU_DEP_1)
	v_lshlrev_b64 v[2:3], v2, v[18:19]
	v_and_b32_e32 v32, 7, v2
; %bb.1765:                             ;   in Loop: Header=BB468_8 Depth=1
	s_or_b32 exec_lo, exec_lo, s21
	v_lshlrev_b32_e32 v0, 24, v0
	s_delay_alu instid0(VALU_DEP_2) | instskip(SKIP_1) | instid1(VALU_DEP_3)
	v_lshlrev_b32_e32 v2, 20, v32
	v_lshl_add_u32 v1, v1, 23, 0x3c000000
	v_and_b32_e32 v0, 0x80000000, v0
	s_delay_alu instid0(VALU_DEP_1)
	v_or3_b32 v1, v2, v0, v1
.LBB468_1766:                           ;   in Loop: Header=BB468_8 Depth=1
	s_or_b32 exec_lo, exec_lo, s19
.LBB468_1767:                           ;   in Loop: Header=BB468_8 Depth=1
	s_delay_alu instid0(SALU_CYCLE_1)
	s_or_b32 exec_lo, exec_lo, s17
.LBB468_1768:                           ;   in Loop: Header=BB468_8 Depth=1
	s_delay_alu instid0(SALU_CYCLE_1) | instskip(NEXT) | instid1(VALU_DEP_1)
	s_or_b32 exec_lo, exec_lo, s3
	v_mul_f32_e32 v0, v79, v1
                                        ; implicit-def: $vgpr179
	s_delay_alu instid0(VALU_DEP_1) | instskip(NEXT) | instid1(VALU_DEP_1)
	v_and_b32_e32 v1, 0x7f800000, v0
	v_cmp_ne_u32_e64 s2, 0x7f800000, v1
	s_delay_alu instid0(VALU_DEP_1) | instskip(NEXT) | instid1(SALU_CYCLE_1)
	s_and_saveexec_b32 s3, s2
	s_xor_b32 s2, exec_lo, s3
; %bb.1769:                             ;   in Loop: Header=BB468_8 Depth=1
	v_bfe_u32 v1, v0, 16, 1
	s_delay_alu instid0(VALU_DEP_1)
	v_add3_u32 v179, v0, v1, 0x7fff
                                        ; implicit-def: $vgpr0
; %bb.1770:                             ;   in Loop: Header=BB468_8 Depth=1
	s_and_not1_saveexec_b32 s3, s2
; %bb.1771:                             ;   in Loop: Header=BB468_8 Depth=1
	v_and_b32_e32 v1, 0xffff, v0
	v_or_b32_e32 v2, 0x10000, v0
	s_delay_alu instid0(VALU_DEP_2) | instskip(NEXT) | instid1(VALU_DEP_1)
	v_cmp_eq_u32_e64 s2, 0, v1
	v_cndmask_b32_e64 v179, v2, v0, s2
; %bb.1772:                             ;   in Loop: Header=BB468_8 Depth=1
	s_or_b32 exec_lo, exec_lo, s3
	v_mov_b32_e32 v1, 0
	s_mov_b32 s3, exec_lo
	v_cmpx_lt_u32_e32 0xffffff, v30
	s_cbranch_execz .LBB468_1780
; %bb.1773:                             ;   in Loop: Header=BB468_8 Depth=1
	v_lshrrev_b32_e32 v0, 24, v30
	v_bfrev_b32_e32 v1, 1
	s_mov_b32 s17, exec_lo
	s_delay_alu instid0(VALU_DEP_2)
	v_cmpx_ne_u32_e32 0x80, v0
	s_cbranch_execz .LBB468_1779
; %bb.1774:                             ;   in Loop: Header=BB468_8 Depth=1
	v_bfe_u32 v2, v30, 24, 7
	v_mov_b32_e32 v1, 0x7f800001
	s_mov_b32 s19, exec_lo
	s_delay_alu instid0(VALU_DEP_2)
	v_cmpx_ne_u32_e32 0x7f, v2
	s_cbranch_execz .LBB468_1778
; %bb.1775:                             ;   in Loop: Header=BB468_8 Depth=1
	v_and_b32_e32 v18, 7, v0
	v_mov_b32_e32 v33, v19
	v_lshrrev_b32_e32 v1, 3, v2
	s_mov_b32 s21, exec_lo
	s_delay_alu instid0(VALU_DEP_3)
	v_mov_b32_e32 v32, v18
	v_cmpx_gt_u32_e32 8, v2
; %bb.1776:                             ;   in Loop: Header=BB468_8 Depth=1
	v_clz_i32_u32_e32 v1, v18
	s_delay_alu instid0(VALU_DEP_1) | instskip(NEXT) | instid1(VALU_DEP_1)
	v_min_u32_e32 v1, 32, v1
	v_subrev_nc_u32_e32 v2, 28, v1
	v_sub_nc_u32_e32 v1, 29, v1
	s_delay_alu instid0(VALU_DEP_2) | instskip(NEXT) | instid1(VALU_DEP_1)
	v_lshlrev_b64 v[2:3], v2, v[18:19]
	v_and_b32_e32 v32, 7, v2
; %bb.1777:                             ;   in Loop: Header=BB468_8 Depth=1
	s_or_b32 exec_lo, exec_lo, s21
	v_lshlrev_b32_e32 v0, 24, v0
	s_delay_alu instid0(VALU_DEP_2) | instskip(SKIP_1) | instid1(VALU_DEP_3)
	v_lshlrev_b32_e32 v2, 20, v32
	v_lshl_add_u32 v1, v1, 23, 0x3c000000
	v_and_b32_e32 v0, 0x80000000, v0
	s_delay_alu instid0(VALU_DEP_1)
	v_or3_b32 v1, v2, v0, v1
.LBB468_1778:                           ;   in Loop: Header=BB468_8 Depth=1
	s_or_b32 exec_lo, exec_lo, s19
.LBB468_1779:                           ;   in Loop: Header=BB468_8 Depth=1
	s_delay_alu instid0(SALU_CYCLE_1)
	s_or_b32 exec_lo, exec_lo, s17
.LBB468_1780:                           ;   in Loop: Header=BB468_8 Depth=1
	s_delay_alu instid0(SALU_CYCLE_1) | instskip(NEXT) | instid1(VALU_DEP_1)
	s_or_b32 exec_lo, exec_lo, s3
	v_mul_f32_e32 v0, v79, v1
                                        ; implicit-def: $vgpr180
	s_delay_alu instid0(VALU_DEP_1) | instskip(NEXT) | instid1(VALU_DEP_1)
	v_and_b32_e32 v1, 0x7f800000, v0
	v_cmp_ne_u32_e64 s2, 0x7f800000, v1
	s_delay_alu instid0(VALU_DEP_1) | instskip(NEXT) | instid1(SALU_CYCLE_1)
	s_and_saveexec_b32 s3, s2
	s_xor_b32 s2, exec_lo, s3
; %bb.1781:                             ;   in Loop: Header=BB468_8 Depth=1
	v_bfe_u32 v1, v0, 16, 1
	s_delay_alu instid0(VALU_DEP_1)
	v_add3_u32 v180, v0, v1, 0x7fff
                                        ; implicit-def: $vgpr0
; %bb.1782:                             ;   in Loop: Header=BB468_8 Depth=1
	s_and_not1_saveexec_b32 s3, s2
; %bb.1783:                             ;   in Loop: Header=BB468_8 Depth=1
	v_and_b32_e32 v1, 0xffff, v0
	v_or_b32_e32 v2, 0x10000, v0
	s_delay_alu instid0(VALU_DEP_2) | instskip(NEXT) | instid1(VALU_DEP_1)
	v_cmp_eq_u32_e64 s2, 0, v1
	v_cndmask_b32_e64 v180, v2, v0, s2
; %bb.1784:                             ;   in Loop: Header=BB468_8 Depth=1
	s_or_b32 exec_lo, exec_lo, s3
	v_dual_mov_b32 v18, v31 :: v_dual_and_b32 v1, 0xff, v31
	v_mov_b32_e32 v0, 0
	s_mov_b32 s3, exec_lo
	s_delay_alu instid0(VALU_DEP_2)
	v_cmpx_ne_u16_e32 0, v1
	s_cbranch_execz .LBB468_1792
; %bb.1785:                             ;   in Loop: Header=BB468_8 Depth=1
	v_bfrev_b32_e32 v0, 1
	s_mov_b32 s17, exec_lo
	v_cmpx_ne_u16_e32 0x80, v1
	s_cbranch_execz .LBB468_1791
; %bb.1786:                             ;   in Loop: Header=BB468_8 Depth=1
	v_and_b32_e32 v1, 0x7f, v31
	v_mov_b32_e32 v0, 0x7f800001
	s_mov_b32 s19, exec_lo
	s_delay_alu instid0(VALU_DEP_2)
	v_cmpx_ne_u32_e32 0x7f, v1
	s_cbranch_execz .LBB468_1790
; %bb.1787:                             ;   in Loop: Header=BB468_8 Depth=1
	v_dual_mov_b32 v33, v19 :: v_dual_mov_b32 v32, v18
	v_lshrrev_b32_e32 v0, 3, v1
	s_mov_b32 s21, exec_lo
	v_cmpx_gt_u32_e32 8, v1
; %bb.1788:                             ;   in Loop: Header=BB468_8 Depth=1
	v_and_b32_e32 v0, 7, v31
	s_delay_alu instid0(VALU_DEP_1) | instskip(NEXT) | instid1(VALU_DEP_1)
	v_clz_i32_u32_e32 v0, v0
	v_min_u32_e32 v0, 32, v0
	s_delay_alu instid0(VALU_DEP_1) | instskip(SKIP_1) | instid1(VALU_DEP_2)
	v_subrev_nc_u32_e32 v1, 28, v0
	v_sub_nc_u32_e32 v0, 29, v0
	v_lshlrev_b64 v[32:33], v1, v[18:19]
; %bb.1789:                             ;   in Loop: Header=BB468_8 Depth=1
	s_or_b32 exec_lo, exec_lo, s21
	s_delay_alu instid0(VALU_DEP_1) | instskip(SKIP_2) | instid1(VALU_DEP_3)
	v_lshlrev_b32_e32 v1, 20, v32
	v_lshlrev_b32_e32 v2, 24, v18
	v_lshl_add_u32 v0, v0, 23, 0x3c000000
	v_and_b32_e32 v1, 0x700000, v1
	s_delay_alu instid0(VALU_DEP_3) | instskip(NEXT) | instid1(VALU_DEP_1)
	v_and_b32_e32 v2, 0x80000000, v2
	v_or3_b32 v0, v1, v2, v0
.LBB468_1790:                           ;   in Loop: Header=BB468_8 Depth=1
	s_or_b32 exec_lo, exec_lo, s19
.LBB468_1791:                           ;   in Loop: Header=BB468_8 Depth=1
	s_delay_alu instid0(SALU_CYCLE_1)
	s_or_b32 exec_lo, exec_lo, s17
.LBB468_1792:                           ;   in Loop: Header=BB468_8 Depth=1
	s_delay_alu instid0(SALU_CYCLE_1) | instskip(NEXT) | instid1(VALU_DEP_1)
	s_or_b32 exec_lo, exec_lo, s3
	v_mul_f32_e32 v0, v79, v0
                                        ; implicit-def: $vgpr181
	s_delay_alu instid0(VALU_DEP_1) | instskip(NEXT) | instid1(VALU_DEP_1)
	v_and_b32_e32 v1, 0x7f800000, v0
	v_cmp_ne_u32_e64 s2, 0x7f800000, v1
	s_delay_alu instid0(VALU_DEP_1) | instskip(NEXT) | instid1(SALU_CYCLE_1)
	s_and_saveexec_b32 s3, s2
	s_xor_b32 s2, exec_lo, s3
; %bb.1793:                             ;   in Loop: Header=BB468_8 Depth=1
	v_bfe_u32 v1, v0, 16, 1
	s_delay_alu instid0(VALU_DEP_1)
	v_add3_u32 v181, v0, v1, 0x7fff
                                        ; implicit-def: $vgpr0
; %bb.1794:                             ;   in Loop: Header=BB468_8 Depth=1
	s_and_not1_saveexec_b32 s3, s2
; %bb.1795:                             ;   in Loop: Header=BB468_8 Depth=1
	v_and_b32_e32 v1, 0xffff, v0
	v_or_b32_e32 v2, 0x10000, v0
	s_delay_alu instid0(VALU_DEP_2) | instskip(NEXT) | instid1(VALU_DEP_1)
	v_cmp_eq_u32_e64 s2, 0, v1
	v_cndmask_b32_e64 v181, v2, v0, s2
; %bb.1796:                             ;   in Loop: Header=BB468_8 Depth=1
	s_or_b32 exec_lo, exec_lo, s3
	v_lshrrev_b16 v1, 8, v18
	v_mov_b32_e32 v0, 0
	s_mov_b32 s3, exec_lo
	s_delay_alu instid0(VALU_DEP_2)
	v_cmpx_ne_u16_e32 0, v1
	s_cbranch_execz .LBB468_1804
; %bb.1797:                             ;   in Loop: Header=BB468_8 Depth=1
	v_bfrev_b32_e32 v0, 1
	s_mov_b32 s17, exec_lo
	v_cmpx_ne_u16_e32 0x80, v1
	s_cbranch_execz .LBB468_1803
; %bb.1798:                             ;   in Loop: Header=BB468_8 Depth=1
	v_and_b32_e32 v2, 0xffff, v1
	v_mov_b32_e32 v0, 0x7f800001
	s_mov_b32 s19, exec_lo
	s_delay_alu instid0(VALU_DEP_2) | instskip(NEXT) | instid1(VALU_DEP_1)
	v_and_b32_e32 v1, 0x7f, v2
	v_cmpx_ne_u32_e32 0x7f, v1
	s_cbranch_execz .LBB468_1802
; %bb.1799:                             ;   in Loop: Header=BB468_8 Depth=1
	v_dual_mov_b32 v33, v19 :: v_dual_and_b32 v32, 7, v2
	v_lshrrev_b32_e32 v0, 3, v1
	s_mov_b32 s21, exec_lo
	v_cmpx_gt_u32_e32 8, v1
; %bb.1800:                             ;   in Loop: Header=BB468_8 Depth=1
	s_delay_alu instid0(VALU_DEP_3) | instskip(NEXT) | instid1(VALU_DEP_1)
	v_clz_i32_u32_e32 v0, v32
	v_min_u32_e32 v0, 32, v0
	s_delay_alu instid0(VALU_DEP_1) | instskip(SKIP_1) | instid1(VALU_DEP_2)
	v_subrev_nc_u32_e32 v1, 28, v0
	v_sub_nc_u32_e32 v0, 29, v0
	v_lshlrev_b64 v[1:2], v1, v[32:33]
	s_delay_alu instid0(VALU_DEP_1)
	v_and_b32_e32 v32, 7, v1
; %bb.1801:                             ;   in Loop: Header=BB468_8 Depth=1
	s_or_b32 exec_lo, exec_lo, s21
	v_lshlrev_b32_e32 v1, 16, v18
	s_delay_alu instid0(VALU_DEP_2) | instskip(SKIP_1) | instid1(VALU_DEP_3)
	v_lshlrev_b32_e32 v2, 20, v32
	v_lshl_add_u32 v0, v0, 23, 0x3c000000
	v_and_b32_e32 v1, 0x80000000, v1
	s_delay_alu instid0(VALU_DEP_1)
	v_or3_b32 v0, v2, v1, v0
.LBB468_1802:                           ;   in Loop: Header=BB468_8 Depth=1
	s_or_b32 exec_lo, exec_lo, s19
.LBB468_1803:                           ;   in Loop: Header=BB468_8 Depth=1
	s_delay_alu instid0(SALU_CYCLE_1)
	s_or_b32 exec_lo, exec_lo, s17
.LBB468_1804:                           ;   in Loop: Header=BB468_8 Depth=1
	s_delay_alu instid0(SALU_CYCLE_1) | instskip(NEXT) | instid1(VALU_DEP_1)
	s_or_b32 exec_lo, exec_lo, s3
	v_mul_f32_e32 v0, v79, v0
                                        ; implicit-def: $vgpr182
	s_delay_alu instid0(VALU_DEP_1) | instskip(NEXT) | instid1(VALU_DEP_1)
	v_and_b32_e32 v1, 0x7f800000, v0
	v_cmp_ne_u32_e64 s2, 0x7f800000, v1
	s_delay_alu instid0(VALU_DEP_1) | instskip(NEXT) | instid1(SALU_CYCLE_1)
	s_and_saveexec_b32 s3, s2
	s_xor_b32 s2, exec_lo, s3
; %bb.1805:                             ;   in Loop: Header=BB468_8 Depth=1
	v_bfe_u32 v1, v0, 16, 1
	s_delay_alu instid0(VALU_DEP_1)
	v_add3_u32 v182, v0, v1, 0x7fff
                                        ; implicit-def: $vgpr0
; %bb.1806:                             ;   in Loop: Header=BB468_8 Depth=1
	s_and_not1_saveexec_b32 s3, s2
; %bb.1807:                             ;   in Loop: Header=BB468_8 Depth=1
	v_and_b32_e32 v1, 0xffff, v0
	v_or_b32_e32 v2, 0x10000, v0
	s_delay_alu instid0(VALU_DEP_2) | instskip(NEXT) | instid1(VALU_DEP_1)
	v_cmp_eq_u32_e64 s2, 0, v1
	v_cndmask_b32_e64 v182, v2, v0, s2
; %bb.1808:                             ;   in Loop: Header=BB468_8 Depth=1
	s_or_b32 exec_lo, exec_lo, s3
	v_lshrrev_b32_e32 v0, 16, v31
	s_mov_b32 s3, exec_lo
	s_delay_alu instid0(VALU_DEP_1) | instskip(NEXT) | instid1(VALU_DEP_1)
	v_dual_mov_b32 v1, 0 :: v_dual_and_b32 v2, 0xff, v0
	v_cmpx_ne_u16_e32 0, v2
	s_cbranch_execz .LBB468_1816
; %bb.1809:                             ;   in Loop: Header=BB468_8 Depth=1
	v_bfrev_b32_e32 v1, 1
	s_mov_b32 s17, exec_lo
	v_cmpx_ne_u16_e32 0x80, v2
	s_cbranch_execz .LBB468_1815
; %bb.1810:                             ;   in Loop: Header=BB468_8 Depth=1
	v_bfe_u32 v2, v31, 16, 7
	v_mov_b32_e32 v1, 0x7f800001
	s_mov_b32 s19, exec_lo
	s_delay_alu instid0(VALU_DEP_2)
	v_cmpx_ne_u32_e32 0x7f, v2
	s_cbranch_execz .LBB468_1814
; %bb.1811:                             ;   in Loop: Header=BB468_8 Depth=1
	v_and_b32_e32 v18, 7, v0
	v_mov_b32_e32 v33, v19
	v_lshrrev_b32_e32 v1, 3, v2
	s_mov_b32 s21, exec_lo
	s_delay_alu instid0(VALU_DEP_3)
	v_mov_b32_e32 v32, v18
	v_cmpx_gt_u32_e32 8, v2
; %bb.1812:                             ;   in Loop: Header=BB468_8 Depth=1
	v_clz_i32_u32_e32 v1, v18
	s_delay_alu instid0(VALU_DEP_1) | instskip(NEXT) | instid1(VALU_DEP_1)
	v_min_u32_e32 v1, 32, v1
	v_subrev_nc_u32_e32 v2, 28, v1
	v_sub_nc_u32_e32 v1, 29, v1
	s_delay_alu instid0(VALU_DEP_2) | instskip(NEXT) | instid1(VALU_DEP_1)
	v_lshlrev_b64 v[2:3], v2, v[18:19]
	v_and_b32_e32 v32, 7, v2
; %bb.1813:                             ;   in Loop: Header=BB468_8 Depth=1
	s_or_b32 exec_lo, exec_lo, s21
	v_lshlrev_b32_e32 v0, 24, v0
	s_delay_alu instid0(VALU_DEP_2) | instskip(SKIP_1) | instid1(VALU_DEP_3)
	v_lshlrev_b32_e32 v2, 20, v32
	v_lshl_add_u32 v1, v1, 23, 0x3c000000
	v_and_b32_e32 v0, 0x80000000, v0
	s_delay_alu instid0(VALU_DEP_1)
	v_or3_b32 v1, v2, v0, v1
.LBB468_1814:                           ;   in Loop: Header=BB468_8 Depth=1
	s_or_b32 exec_lo, exec_lo, s19
.LBB468_1815:                           ;   in Loop: Header=BB468_8 Depth=1
	s_delay_alu instid0(SALU_CYCLE_1)
	s_or_b32 exec_lo, exec_lo, s17
.LBB468_1816:                           ;   in Loop: Header=BB468_8 Depth=1
	s_delay_alu instid0(SALU_CYCLE_1) | instskip(NEXT) | instid1(VALU_DEP_1)
	s_or_b32 exec_lo, exec_lo, s3
	v_mul_f32_e32 v0, v79, v1
                                        ; implicit-def: $vgpr183
	s_delay_alu instid0(VALU_DEP_1) | instskip(NEXT) | instid1(VALU_DEP_1)
	v_and_b32_e32 v1, 0x7f800000, v0
	v_cmp_ne_u32_e64 s2, 0x7f800000, v1
	s_delay_alu instid0(VALU_DEP_1) | instskip(NEXT) | instid1(SALU_CYCLE_1)
	s_and_saveexec_b32 s3, s2
	s_xor_b32 s2, exec_lo, s3
; %bb.1817:                             ;   in Loop: Header=BB468_8 Depth=1
	v_bfe_u32 v1, v0, 16, 1
	s_delay_alu instid0(VALU_DEP_1)
	v_add3_u32 v183, v0, v1, 0x7fff
                                        ; implicit-def: $vgpr0
; %bb.1818:                             ;   in Loop: Header=BB468_8 Depth=1
	s_and_not1_saveexec_b32 s3, s2
; %bb.1819:                             ;   in Loop: Header=BB468_8 Depth=1
	v_and_b32_e32 v1, 0xffff, v0
	v_or_b32_e32 v2, 0x10000, v0
	s_delay_alu instid0(VALU_DEP_2) | instskip(NEXT) | instid1(VALU_DEP_1)
	v_cmp_eq_u32_e64 s2, 0, v1
	v_cndmask_b32_e64 v183, v2, v0, s2
; %bb.1820:                             ;   in Loop: Header=BB468_8 Depth=1
	s_or_b32 exec_lo, exec_lo, s3
	v_mov_b32_e32 v1, 0
	s_mov_b32 s3, exec_lo
	v_cmpx_lt_u64_e64 s[4:5], v[30:31]
	s_cbranch_execz .LBB468_1828
; %bb.1821:                             ;   in Loop: Header=BB468_8 Depth=1
	v_lshrrev_b32_e32 v0, 24, v31
	v_bfrev_b32_e32 v1, 1
	s_mov_b32 s17, exec_lo
	s_delay_alu instid0(VALU_DEP_2)
	v_cmpx_ne_u32_e32 0x80, v0
	s_cbranch_execz .LBB468_1827
; %bb.1822:                             ;   in Loop: Header=BB468_8 Depth=1
	v_bfe_u32 v2, v31, 24, 7
	v_mov_b32_e32 v1, 0x7f800001
	s_mov_b32 s19, exec_lo
	s_delay_alu instid0(VALU_DEP_2)
	v_cmpx_ne_u32_e32 0x7f, v2
	s_cbranch_execz .LBB468_1826
; %bb.1823:                             ;   in Loop: Header=BB468_8 Depth=1
	v_and_b32_e32 v18, 7, v0
	v_mov_b32_e32 v31, v19
	v_lshrrev_b32_e32 v1, 3, v2
	s_mov_b32 s21, exec_lo
	s_delay_alu instid0(VALU_DEP_3)
	v_mov_b32_e32 v30, v18
	v_cmpx_gt_u32_e32 8, v2
; %bb.1824:                             ;   in Loop: Header=BB468_8 Depth=1
	v_clz_i32_u32_e32 v1, v18
	s_delay_alu instid0(VALU_DEP_1) | instskip(NEXT) | instid1(VALU_DEP_1)
	v_min_u32_e32 v1, 32, v1
	v_subrev_nc_u32_e32 v2, 28, v1
	v_sub_nc_u32_e32 v1, 29, v1
	s_delay_alu instid0(VALU_DEP_2) | instskip(NEXT) | instid1(VALU_DEP_1)
	v_lshlrev_b64 v[2:3], v2, v[18:19]
	v_and_b32_e32 v30, 7, v2
; %bb.1825:                             ;   in Loop: Header=BB468_8 Depth=1
	s_or_b32 exec_lo, exec_lo, s21
	v_lshlrev_b32_e32 v0, 24, v0
	s_delay_alu instid0(VALU_DEP_2) | instskip(SKIP_1) | instid1(VALU_DEP_3)
	v_lshlrev_b32_e32 v2, 20, v30
	v_lshl_add_u32 v1, v1, 23, 0x3c000000
	v_and_b32_e32 v0, 0x80000000, v0
	s_delay_alu instid0(VALU_DEP_1)
	v_or3_b32 v1, v2, v0, v1
.LBB468_1826:                           ;   in Loop: Header=BB468_8 Depth=1
	s_or_b32 exec_lo, exec_lo, s19
.LBB468_1827:                           ;   in Loop: Header=BB468_8 Depth=1
	s_delay_alu instid0(SALU_CYCLE_1)
	s_or_b32 exec_lo, exec_lo, s17
.LBB468_1828:                           ;   in Loop: Header=BB468_8 Depth=1
	s_delay_alu instid0(SALU_CYCLE_1) | instskip(NEXT) | instid1(VALU_DEP_1)
	s_or_b32 exec_lo, exec_lo, s3
	v_mul_f32_e32 v0, v79, v1
                                        ; implicit-def: $vgpr40
	s_delay_alu instid0(VALU_DEP_1) | instskip(NEXT) | instid1(VALU_DEP_1)
	v_and_b32_e32 v1, 0x7f800000, v0
	v_cmp_ne_u32_e64 s2, 0x7f800000, v1
	s_delay_alu instid0(VALU_DEP_1) | instskip(NEXT) | instid1(SALU_CYCLE_1)
	s_and_saveexec_b32 s3, s2
	s_xor_b32 s2, exec_lo, s3
; %bb.1829:                             ;   in Loop: Header=BB468_8 Depth=1
	v_bfe_u32 v1, v0, 16, 1
	s_delay_alu instid0(VALU_DEP_1)
	v_add3_u32 v40, v0, v1, 0x7fff
                                        ; implicit-def: $vgpr0
; %bb.1830:                             ;   in Loop: Header=BB468_8 Depth=1
	s_and_not1_saveexec_b32 s3, s2
; %bb.1831:                             ;   in Loop: Header=BB468_8 Depth=1
	v_and_b32_e32 v1, 0xffff, v0
	v_or_b32_e32 v2, 0x10000, v0
	s_delay_alu instid0(VALU_DEP_2) | instskip(NEXT) | instid1(VALU_DEP_1)
	v_cmp_eq_u32_e64 s2, 0, v1
	v_cndmask_b32_e64 v40, v2, v0, s2
; %bb.1832:                             ;   in Loop: Header=BB468_8 Depth=1
	s_or_b32 exec_lo, exec_lo, s3
	flat_load_b64 v[30:31], v[28:29] offset:520
	s_mov_b32 s3, exec_lo
	s_waitcnt vmcnt(0) lgkmcnt(0)
	v_dual_mov_b32 v0, 0 :: v_dual_and_b32 v1, 0xff, v30
	s_delay_alu instid0(VALU_DEP_1)
	v_cmpx_ne_u16_e32 0, v1
	s_cbranch_execz .LBB468_1840
; %bb.1833:                             ;   in Loop: Header=BB468_8 Depth=1
	v_bfrev_b32_e32 v0, 1
	s_mov_b32 s17, exec_lo
	v_cmpx_ne_u16_e32 0x80, v1
	s_cbranch_execz .LBB468_1839
; %bb.1834:                             ;   in Loop: Header=BB468_8 Depth=1
	v_and_b32_e32 v1, 0x7f, v30
	v_mov_b32_e32 v0, 0x7f800001
	s_mov_b32 s19, exec_lo
	s_delay_alu instid0(VALU_DEP_2)
	v_cmpx_ne_u32_e32 0x7f, v1
	s_cbranch_execz .LBB468_1838
; %bb.1835:                             ;   in Loop: Header=BB468_8 Depth=1
	v_lshrrev_b32_e32 v0, 3, v1
	v_dual_mov_b32 v33, v31 :: v_dual_mov_b32 v32, v30
	s_mov_b32 s21, exec_lo
	v_cmpx_gt_u32_e32 8, v1
; %bb.1836:                             ;   in Loop: Header=BB468_8 Depth=1
	v_and_b32_e32 v0, 7, v30
	s_delay_alu instid0(VALU_DEP_1) | instskip(NEXT) | instid1(VALU_DEP_1)
	v_clz_i32_u32_e32 v0, v0
	v_min_u32_e32 v0, 32, v0
	s_delay_alu instid0(VALU_DEP_1) | instskip(SKIP_1) | instid1(VALU_DEP_2)
	v_subrev_nc_u32_e32 v1, 28, v0
	v_sub_nc_u32_e32 v0, 29, v0
	v_lshlrev_b64 v[32:33], v1, v[30:31]
; %bb.1837:                             ;   in Loop: Header=BB468_8 Depth=1
	s_or_b32 exec_lo, exec_lo, s21
	s_delay_alu instid0(VALU_DEP_1) | instskip(SKIP_2) | instid1(VALU_DEP_3)
	v_lshlrev_b32_e32 v1, 20, v32
	v_lshlrev_b32_e32 v2, 24, v30
	v_lshl_add_u32 v0, v0, 23, 0x3c000000
	v_and_b32_e32 v1, 0x700000, v1
	s_delay_alu instid0(VALU_DEP_3) | instskip(NEXT) | instid1(VALU_DEP_1)
	v_and_b32_e32 v2, 0x80000000, v2
	v_or3_b32 v0, v1, v2, v0
.LBB468_1838:                           ;   in Loop: Header=BB468_8 Depth=1
	s_or_b32 exec_lo, exec_lo, s19
.LBB468_1839:                           ;   in Loop: Header=BB468_8 Depth=1
	s_delay_alu instid0(SALU_CYCLE_1)
	s_or_b32 exec_lo, exec_lo, s17
.LBB468_1840:                           ;   in Loop: Header=BB468_8 Depth=1
	s_delay_alu instid0(SALU_CYCLE_1) | instskip(NEXT) | instid1(VALU_DEP_1)
	s_or_b32 exec_lo, exec_lo, s3
	v_mul_f32_e32 v0, v79, v0
                                        ; implicit-def: $vgpr41
	s_delay_alu instid0(VALU_DEP_1) | instskip(NEXT) | instid1(VALU_DEP_1)
	v_and_b32_e32 v1, 0x7f800000, v0
	v_cmp_ne_u32_e64 s2, 0x7f800000, v1
	s_delay_alu instid0(VALU_DEP_1) | instskip(NEXT) | instid1(SALU_CYCLE_1)
	s_and_saveexec_b32 s3, s2
	s_xor_b32 s2, exec_lo, s3
; %bb.1841:                             ;   in Loop: Header=BB468_8 Depth=1
	v_bfe_u32 v1, v0, 16, 1
	s_delay_alu instid0(VALU_DEP_1)
	v_add3_u32 v41, v0, v1, 0x7fff
                                        ; implicit-def: $vgpr0
; %bb.1842:                             ;   in Loop: Header=BB468_8 Depth=1
	s_and_not1_saveexec_b32 s3, s2
; %bb.1843:                             ;   in Loop: Header=BB468_8 Depth=1
	v_and_b32_e32 v1, 0xffff, v0
	v_or_b32_e32 v2, 0x10000, v0
	s_delay_alu instid0(VALU_DEP_2) | instskip(NEXT) | instid1(VALU_DEP_1)
	v_cmp_eq_u32_e64 s2, 0, v1
	v_cndmask_b32_e64 v41, v2, v0, s2
; %bb.1844:                             ;   in Loop: Header=BB468_8 Depth=1
	s_or_b32 exec_lo, exec_lo, s3
	v_lshrrev_b16 v1, 8, v30
	v_mov_b32_e32 v0, 0
	s_mov_b32 s3, exec_lo
	s_delay_alu instid0(VALU_DEP_2)
	v_cmpx_ne_u16_e32 0, v1
	s_cbranch_execz .LBB468_1852
; %bb.1845:                             ;   in Loop: Header=BB468_8 Depth=1
	v_bfrev_b32_e32 v0, 1
	s_mov_b32 s17, exec_lo
	v_cmpx_ne_u16_e32 0x80, v1
	s_cbranch_execz .LBB468_1851
; %bb.1846:                             ;   in Loop: Header=BB468_8 Depth=1
	v_and_b32_e32 v2, 0xffff, v1
	v_mov_b32_e32 v0, 0x7f800001
	s_mov_b32 s19, exec_lo
	s_delay_alu instid0(VALU_DEP_2) | instskip(NEXT) | instid1(VALU_DEP_1)
	v_and_b32_e32 v1, 0x7f, v2
	v_cmpx_ne_u32_e32 0x7f, v1
	s_cbranch_execz .LBB468_1850
; %bb.1847:                             ;   in Loop: Header=BB468_8 Depth=1
	v_and_b32_e32 v18, 7, v2
	v_mov_b32_e32 v33, v19
	v_lshrrev_b32_e32 v0, 3, v1
	s_mov_b32 s21, exec_lo
	s_delay_alu instid0(VALU_DEP_3)
	v_mov_b32_e32 v32, v18
	v_cmpx_gt_u32_e32 8, v1
; %bb.1848:                             ;   in Loop: Header=BB468_8 Depth=1
	v_clz_i32_u32_e32 v0, v18
	s_delay_alu instid0(VALU_DEP_1) | instskip(NEXT) | instid1(VALU_DEP_1)
	v_min_u32_e32 v0, 32, v0
	v_subrev_nc_u32_e32 v1, 28, v0
	v_sub_nc_u32_e32 v0, 29, v0
	s_delay_alu instid0(VALU_DEP_2) | instskip(NEXT) | instid1(VALU_DEP_1)
	v_lshlrev_b64 v[1:2], v1, v[18:19]
	v_and_b32_e32 v32, 7, v1
; %bb.1849:                             ;   in Loop: Header=BB468_8 Depth=1
	s_or_b32 exec_lo, exec_lo, s21
	v_lshlrev_b32_e32 v1, 16, v30
	s_delay_alu instid0(VALU_DEP_2) | instskip(SKIP_1) | instid1(VALU_DEP_3)
	v_lshlrev_b32_e32 v2, 20, v32
	v_lshl_add_u32 v0, v0, 23, 0x3c000000
	v_and_b32_e32 v1, 0x80000000, v1
	s_delay_alu instid0(VALU_DEP_1)
	v_or3_b32 v0, v2, v1, v0
.LBB468_1850:                           ;   in Loop: Header=BB468_8 Depth=1
	s_or_b32 exec_lo, exec_lo, s19
.LBB468_1851:                           ;   in Loop: Header=BB468_8 Depth=1
	s_delay_alu instid0(SALU_CYCLE_1)
	s_or_b32 exec_lo, exec_lo, s17
.LBB468_1852:                           ;   in Loop: Header=BB468_8 Depth=1
	s_delay_alu instid0(SALU_CYCLE_1) | instskip(NEXT) | instid1(VALU_DEP_1)
	s_or_b32 exec_lo, exec_lo, s3
	v_mul_f32_e32 v0, v79, v0
                                        ; implicit-def: $vgpr42
	s_delay_alu instid0(VALU_DEP_1) | instskip(NEXT) | instid1(VALU_DEP_1)
	v_and_b32_e32 v1, 0x7f800000, v0
	v_cmp_ne_u32_e64 s2, 0x7f800000, v1
	s_delay_alu instid0(VALU_DEP_1) | instskip(NEXT) | instid1(SALU_CYCLE_1)
	s_and_saveexec_b32 s3, s2
	s_xor_b32 s2, exec_lo, s3
; %bb.1853:                             ;   in Loop: Header=BB468_8 Depth=1
	v_bfe_u32 v1, v0, 16, 1
	s_delay_alu instid0(VALU_DEP_1)
	v_add3_u32 v42, v0, v1, 0x7fff
                                        ; implicit-def: $vgpr0
; %bb.1854:                             ;   in Loop: Header=BB468_8 Depth=1
	s_and_not1_saveexec_b32 s3, s2
; %bb.1855:                             ;   in Loop: Header=BB468_8 Depth=1
	v_and_b32_e32 v1, 0xffff, v0
	v_or_b32_e32 v2, 0x10000, v0
	s_delay_alu instid0(VALU_DEP_2) | instskip(NEXT) | instid1(VALU_DEP_1)
	v_cmp_eq_u32_e64 s2, 0, v1
	v_cndmask_b32_e64 v42, v2, v0, s2
; %bb.1856:                             ;   in Loop: Header=BB468_8 Depth=1
	s_or_b32 exec_lo, exec_lo, s3
	v_lshrrev_b32_e32 v0, 16, v30
	s_mov_b32 s3, exec_lo
	s_delay_alu instid0(VALU_DEP_1) | instskip(NEXT) | instid1(VALU_DEP_1)
	v_dual_mov_b32 v1, 0 :: v_dual_and_b32 v2, 0xff, v0
	v_cmpx_ne_u16_e32 0, v2
	s_cbranch_execz .LBB468_1864
; %bb.1857:                             ;   in Loop: Header=BB468_8 Depth=1
	v_bfrev_b32_e32 v1, 1
	s_mov_b32 s17, exec_lo
	v_cmpx_ne_u16_e32 0x80, v2
	s_cbranch_execz .LBB468_1863
; %bb.1858:                             ;   in Loop: Header=BB468_8 Depth=1
	v_bfe_u32 v2, v30, 16, 7
	v_mov_b32_e32 v1, 0x7f800001
	s_mov_b32 s19, exec_lo
	s_delay_alu instid0(VALU_DEP_2)
	v_cmpx_ne_u32_e32 0x7f, v2
	s_cbranch_execz .LBB468_1862
; %bb.1859:                             ;   in Loop: Header=BB468_8 Depth=1
	v_and_b32_e32 v18, 7, v0
	v_mov_b32_e32 v33, v19
	v_lshrrev_b32_e32 v1, 3, v2
	s_mov_b32 s21, exec_lo
	s_delay_alu instid0(VALU_DEP_3)
	v_mov_b32_e32 v32, v18
	v_cmpx_gt_u32_e32 8, v2
; %bb.1860:                             ;   in Loop: Header=BB468_8 Depth=1
	v_clz_i32_u32_e32 v1, v18
	s_delay_alu instid0(VALU_DEP_1) | instskip(NEXT) | instid1(VALU_DEP_1)
	v_min_u32_e32 v1, 32, v1
	v_subrev_nc_u32_e32 v2, 28, v1
	v_sub_nc_u32_e32 v1, 29, v1
	s_delay_alu instid0(VALU_DEP_2) | instskip(NEXT) | instid1(VALU_DEP_1)
	v_lshlrev_b64 v[2:3], v2, v[18:19]
	v_and_b32_e32 v32, 7, v2
; %bb.1861:                             ;   in Loop: Header=BB468_8 Depth=1
	s_or_b32 exec_lo, exec_lo, s21
	v_lshlrev_b32_e32 v0, 24, v0
	s_delay_alu instid0(VALU_DEP_2) | instskip(SKIP_1) | instid1(VALU_DEP_3)
	v_lshlrev_b32_e32 v2, 20, v32
	v_lshl_add_u32 v1, v1, 23, 0x3c000000
	v_and_b32_e32 v0, 0x80000000, v0
	s_delay_alu instid0(VALU_DEP_1)
	v_or3_b32 v1, v2, v0, v1
.LBB468_1862:                           ;   in Loop: Header=BB468_8 Depth=1
	s_or_b32 exec_lo, exec_lo, s19
.LBB468_1863:                           ;   in Loop: Header=BB468_8 Depth=1
	s_delay_alu instid0(SALU_CYCLE_1)
	s_or_b32 exec_lo, exec_lo, s17
.LBB468_1864:                           ;   in Loop: Header=BB468_8 Depth=1
	s_delay_alu instid0(SALU_CYCLE_1) | instskip(NEXT) | instid1(VALU_DEP_1)
	s_or_b32 exec_lo, exec_lo, s3
	v_mul_f32_e32 v0, v79, v1
                                        ; implicit-def: $vgpr43
	s_delay_alu instid0(VALU_DEP_1) | instskip(NEXT) | instid1(VALU_DEP_1)
	v_and_b32_e32 v1, 0x7f800000, v0
	v_cmp_ne_u32_e64 s2, 0x7f800000, v1
	s_delay_alu instid0(VALU_DEP_1) | instskip(NEXT) | instid1(SALU_CYCLE_1)
	s_and_saveexec_b32 s3, s2
	s_xor_b32 s2, exec_lo, s3
; %bb.1865:                             ;   in Loop: Header=BB468_8 Depth=1
	v_bfe_u32 v1, v0, 16, 1
	s_delay_alu instid0(VALU_DEP_1)
	v_add3_u32 v43, v0, v1, 0x7fff
                                        ; implicit-def: $vgpr0
; %bb.1866:                             ;   in Loop: Header=BB468_8 Depth=1
	s_and_not1_saveexec_b32 s3, s2
; %bb.1867:                             ;   in Loop: Header=BB468_8 Depth=1
	v_and_b32_e32 v1, 0xffff, v0
	v_or_b32_e32 v2, 0x10000, v0
	s_delay_alu instid0(VALU_DEP_2) | instskip(NEXT) | instid1(VALU_DEP_1)
	v_cmp_eq_u32_e64 s2, 0, v1
	v_cndmask_b32_e64 v43, v2, v0, s2
; %bb.1868:                             ;   in Loop: Header=BB468_8 Depth=1
	s_or_b32 exec_lo, exec_lo, s3
	v_mov_b32_e32 v1, 0
	s_mov_b32 s3, exec_lo
	v_cmpx_lt_u32_e32 0xffffff, v30
	s_cbranch_execz .LBB468_1876
; %bb.1869:                             ;   in Loop: Header=BB468_8 Depth=1
	v_lshrrev_b32_e32 v0, 24, v30
	v_bfrev_b32_e32 v1, 1
	s_mov_b32 s17, exec_lo
	s_delay_alu instid0(VALU_DEP_2)
	v_cmpx_ne_u32_e32 0x80, v0
	s_cbranch_execz .LBB468_1875
; %bb.1870:                             ;   in Loop: Header=BB468_8 Depth=1
	v_bfe_u32 v2, v30, 24, 7
	v_mov_b32_e32 v1, 0x7f800001
	s_mov_b32 s19, exec_lo
	s_delay_alu instid0(VALU_DEP_2)
	v_cmpx_ne_u32_e32 0x7f, v2
	s_cbranch_execz .LBB468_1874
; %bb.1871:                             ;   in Loop: Header=BB468_8 Depth=1
	v_and_b32_e32 v18, 7, v0
	v_mov_b32_e32 v33, v19
	v_lshrrev_b32_e32 v1, 3, v2
	s_mov_b32 s21, exec_lo
	s_delay_alu instid0(VALU_DEP_3)
	v_mov_b32_e32 v32, v18
	v_cmpx_gt_u32_e32 8, v2
; %bb.1872:                             ;   in Loop: Header=BB468_8 Depth=1
	v_clz_i32_u32_e32 v1, v18
	s_delay_alu instid0(VALU_DEP_1) | instskip(NEXT) | instid1(VALU_DEP_1)
	v_min_u32_e32 v1, 32, v1
	v_subrev_nc_u32_e32 v2, 28, v1
	v_sub_nc_u32_e32 v1, 29, v1
	s_delay_alu instid0(VALU_DEP_2) | instskip(NEXT) | instid1(VALU_DEP_1)
	v_lshlrev_b64 v[2:3], v2, v[18:19]
	v_and_b32_e32 v32, 7, v2
; %bb.1873:                             ;   in Loop: Header=BB468_8 Depth=1
	s_or_b32 exec_lo, exec_lo, s21
	v_lshlrev_b32_e32 v0, 24, v0
	s_delay_alu instid0(VALU_DEP_2) | instskip(SKIP_1) | instid1(VALU_DEP_3)
	v_lshlrev_b32_e32 v2, 20, v32
	v_lshl_add_u32 v1, v1, 23, 0x3c000000
	v_and_b32_e32 v0, 0x80000000, v0
	s_delay_alu instid0(VALU_DEP_1)
	v_or3_b32 v1, v2, v0, v1
.LBB468_1874:                           ;   in Loop: Header=BB468_8 Depth=1
	s_or_b32 exec_lo, exec_lo, s19
.LBB468_1875:                           ;   in Loop: Header=BB468_8 Depth=1
	s_delay_alu instid0(SALU_CYCLE_1)
	s_or_b32 exec_lo, exec_lo, s17
.LBB468_1876:                           ;   in Loop: Header=BB468_8 Depth=1
	s_delay_alu instid0(SALU_CYCLE_1) | instskip(NEXT) | instid1(VALU_DEP_1)
	s_or_b32 exec_lo, exec_lo, s3
	v_mul_f32_e32 v0, v79, v1
                                        ; implicit-def: $vgpr44
	s_delay_alu instid0(VALU_DEP_1) | instskip(NEXT) | instid1(VALU_DEP_1)
	v_and_b32_e32 v1, 0x7f800000, v0
	v_cmp_ne_u32_e64 s2, 0x7f800000, v1
	s_delay_alu instid0(VALU_DEP_1) | instskip(NEXT) | instid1(SALU_CYCLE_1)
	s_and_saveexec_b32 s3, s2
	s_xor_b32 s2, exec_lo, s3
; %bb.1877:                             ;   in Loop: Header=BB468_8 Depth=1
	v_bfe_u32 v1, v0, 16, 1
	s_delay_alu instid0(VALU_DEP_1)
	v_add3_u32 v44, v0, v1, 0x7fff
                                        ; implicit-def: $vgpr0
; %bb.1878:                             ;   in Loop: Header=BB468_8 Depth=1
	s_and_not1_saveexec_b32 s3, s2
; %bb.1879:                             ;   in Loop: Header=BB468_8 Depth=1
	v_and_b32_e32 v1, 0xffff, v0
	v_or_b32_e32 v2, 0x10000, v0
	s_delay_alu instid0(VALU_DEP_2) | instskip(NEXT) | instid1(VALU_DEP_1)
	v_cmp_eq_u32_e64 s2, 0, v1
	v_cndmask_b32_e64 v44, v2, v0, s2
; %bb.1880:                             ;   in Loop: Header=BB468_8 Depth=1
	s_or_b32 exec_lo, exec_lo, s3
	v_dual_mov_b32 v18, v31 :: v_dual_and_b32 v1, 0xff, v31
	v_mov_b32_e32 v0, 0
	s_mov_b32 s3, exec_lo
	s_delay_alu instid0(VALU_DEP_2)
	v_cmpx_ne_u16_e32 0, v1
	s_cbranch_execz .LBB468_1888
; %bb.1881:                             ;   in Loop: Header=BB468_8 Depth=1
	v_bfrev_b32_e32 v0, 1
	s_mov_b32 s17, exec_lo
	v_cmpx_ne_u16_e32 0x80, v1
	s_cbranch_execz .LBB468_1887
; %bb.1882:                             ;   in Loop: Header=BB468_8 Depth=1
	v_and_b32_e32 v1, 0x7f, v31
	v_mov_b32_e32 v0, 0x7f800001
	s_mov_b32 s19, exec_lo
	s_delay_alu instid0(VALU_DEP_2)
	v_cmpx_ne_u32_e32 0x7f, v1
	s_cbranch_execz .LBB468_1886
; %bb.1883:                             ;   in Loop: Header=BB468_8 Depth=1
	v_dual_mov_b32 v33, v19 :: v_dual_mov_b32 v32, v18
	v_lshrrev_b32_e32 v0, 3, v1
	s_mov_b32 s21, exec_lo
	v_cmpx_gt_u32_e32 8, v1
; %bb.1884:                             ;   in Loop: Header=BB468_8 Depth=1
	v_and_b32_e32 v0, 7, v31
	s_delay_alu instid0(VALU_DEP_1) | instskip(NEXT) | instid1(VALU_DEP_1)
	v_clz_i32_u32_e32 v0, v0
	v_min_u32_e32 v0, 32, v0
	s_delay_alu instid0(VALU_DEP_1) | instskip(SKIP_1) | instid1(VALU_DEP_2)
	v_subrev_nc_u32_e32 v1, 28, v0
	v_sub_nc_u32_e32 v0, 29, v0
	v_lshlrev_b64 v[32:33], v1, v[18:19]
; %bb.1885:                             ;   in Loop: Header=BB468_8 Depth=1
	s_or_b32 exec_lo, exec_lo, s21
	s_delay_alu instid0(VALU_DEP_1) | instskip(SKIP_2) | instid1(VALU_DEP_3)
	v_lshlrev_b32_e32 v1, 20, v32
	v_lshlrev_b32_e32 v2, 24, v18
	v_lshl_add_u32 v0, v0, 23, 0x3c000000
	v_and_b32_e32 v1, 0x700000, v1
	s_delay_alu instid0(VALU_DEP_3) | instskip(NEXT) | instid1(VALU_DEP_1)
	v_and_b32_e32 v2, 0x80000000, v2
	v_or3_b32 v0, v1, v2, v0
.LBB468_1886:                           ;   in Loop: Header=BB468_8 Depth=1
	s_or_b32 exec_lo, exec_lo, s19
.LBB468_1887:                           ;   in Loop: Header=BB468_8 Depth=1
	s_delay_alu instid0(SALU_CYCLE_1)
	s_or_b32 exec_lo, exec_lo, s17
.LBB468_1888:                           ;   in Loop: Header=BB468_8 Depth=1
	s_delay_alu instid0(SALU_CYCLE_1) | instskip(NEXT) | instid1(VALU_DEP_1)
	s_or_b32 exec_lo, exec_lo, s3
	v_mul_f32_e32 v0, v79, v0
                                        ; implicit-def: $vgpr45
	s_delay_alu instid0(VALU_DEP_1) | instskip(NEXT) | instid1(VALU_DEP_1)
	v_and_b32_e32 v1, 0x7f800000, v0
	v_cmp_ne_u32_e64 s2, 0x7f800000, v1
	s_delay_alu instid0(VALU_DEP_1) | instskip(NEXT) | instid1(SALU_CYCLE_1)
	s_and_saveexec_b32 s3, s2
	s_xor_b32 s2, exec_lo, s3
; %bb.1889:                             ;   in Loop: Header=BB468_8 Depth=1
	v_bfe_u32 v1, v0, 16, 1
	s_delay_alu instid0(VALU_DEP_1)
	v_add3_u32 v45, v0, v1, 0x7fff
                                        ; implicit-def: $vgpr0
; %bb.1890:                             ;   in Loop: Header=BB468_8 Depth=1
	s_and_not1_saveexec_b32 s3, s2
; %bb.1891:                             ;   in Loop: Header=BB468_8 Depth=1
	v_and_b32_e32 v1, 0xffff, v0
	v_or_b32_e32 v2, 0x10000, v0
	s_delay_alu instid0(VALU_DEP_2) | instskip(NEXT) | instid1(VALU_DEP_1)
	v_cmp_eq_u32_e64 s2, 0, v1
	v_cndmask_b32_e64 v45, v2, v0, s2
; %bb.1892:                             ;   in Loop: Header=BB468_8 Depth=1
	s_or_b32 exec_lo, exec_lo, s3
	v_lshrrev_b16 v1, 8, v18
	v_mov_b32_e32 v0, 0
	s_mov_b32 s3, exec_lo
	s_delay_alu instid0(VALU_DEP_2)
	v_cmpx_ne_u16_e32 0, v1
	s_cbranch_execz .LBB468_1900
; %bb.1893:                             ;   in Loop: Header=BB468_8 Depth=1
	v_bfrev_b32_e32 v0, 1
	s_mov_b32 s17, exec_lo
	v_cmpx_ne_u16_e32 0x80, v1
	s_cbranch_execz .LBB468_1899
; %bb.1894:                             ;   in Loop: Header=BB468_8 Depth=1
	v_and_b32_e32 v2, 0xffff, v1
	v_mov_b32_e32 v0, 0x7f800001
	s_mov_b32 s19, exec_lo
	s_delay_alu instid0(VALU_DEP_2) | instskip(NEXT) | instid1(VALU_DEP_1)
	v_and_b32_e32 v1, 0x7f, v2
	v_cmpx_ne_u32_e32 0x7f, v1
	s_cbranch_execz .LBB468_1898
; %bb.1895:                             ;   in Loop: Header=BB468_8 Depth=1
	v_dual_mov_b32 v33, v19 :: v_dual_and_b32 v32, 7, v2
	v_lshrrev_b32_e32 v0, 3, v1
	s_mov_b32 s21, exec_lo
	v_cmpx_gt_u32_e32 8, v1
; %bb.1896:                             ;   in Loop: Header=BB468_8 Depth=1
	s_delay_alu instid0(VALU_DEP_3) | instskip(NEXT) | instid1(VALU_DEP_1)
	v_clz_i32_u32_e32 v0, v32
	v_min_u32_e32 v0, 32, v0
	s_delay_alu instid0(VALU_DEP_1) | instskip(SKIP_1) | instid1(VALU_DEP_2)
	v_subrev_nc_u32_e32 v1, 28, v0
	v_sub_nc_u32_e32 v0, 29, v0
	v_lshlrev_b64 v[1:2], v1, v[32:33]
	s_delay_alu instid0(VALU_DEP_1)
	v_and_b32_e32 v32, 7, v1
; %bb.1897:                             ;   in Loop: Header=BB468_8 Depth=1
	s_or_b32 exec_lo, exec_lo, s21
	v_lshlrev_b32_e32 v1, 16, v18
	s_delay_alu instid0(VALU_DEP_2) | instskip(SKIP_1) | instid1(VALU_DEP_3)
	v_lshlrev_b32_e32 v2, 20, v32
	v_lshl_add_u32 v0, v0, 23, 0x3c000000
	v_and_b32_e32 v1, 0x80000000, v1
	s_delay_alu instid0(VALU_DEP_1)
	v_or3_b32 v0, v2, v1, v0
.LBB468_1898:                           ;   in Loop: Header=BB468_8 Depth=1
	s_or_b32 exec_lo, exec_lo, s19
.LBB468_1899:                           ;   in Loop: Header=BB468_8 Depth=1
	s_delay_alu instid0(SALU_CYCLE_1)
	s_or_b32 exec_lo, exec_lo, s17
.LBB468_1900:                           ;   in Loop: Header=BB468_8 Depth=1
	s_delay_alu instid0(SALU_CYCLE_1) | instskip(NEXT) | instid1(VALU_DEP_1)
	s_or_b32 exec_lo, exec_lo, s3
	v_mul_f32_e32 v0, v79, v0
                                        ; implicit-def: $vgpr46
	s_delay_alu instid0(VALU_DEP_1) | instskip(NEXT) | instid1(VALU_DEP_1)
	v_and_b32_e32 v1, 0x7f800000, v0
	v_cmp_ne_u32_e64 s2, 0x7f800000, v1
	s_delay_alu instid0(VALU_DEP_1) | instskip(NEXT) | instid1(SALU_CYCLE_1)
	s_and_saveexec_b32 s3, s2
	s_xor_b32 s2, exec_lo, s3
; %bb.1901:                             ;   in Loop: Header=BB468_8 Depth=1
	v_bfe_u32 v1, v0, 16, 1
	s_delay_alu instid0(VALU_DEP_1)
	v_add3_u32 v46, v0, v1, 0x7fff
                                        ; implicit-def: $vgpr0
; %bb.1902:                             ;   in Loop: Header=BB468_8 Depth=1
	s_and_not1_saveexec_b32 s3, s2
; %bb.1903:                             ;   in Loop: Header=BB468_8 Depth=1
	v_and_b32_e32 v1, 0xffff, v0
	v_or_b32_e32 v2, 0x10000, v0
	s_delay_alu instid0(VALU_DEP_2) | instskip(NEXT) | instid1(VALU_DEP_1)
	v_cmp_eq_u32_e64 s2, 0, v1
	v_cndmask_b32_e64 v46, v2, v0, s2
; %bb.1904:                             ;   in Loop: Header=BB468_8 Depth=1
	s_or_b32 exec_lo, exec_lo, s3
	v_lshrrev_b32_e32 v0, 16, v31
	s_mov_b32 s3, exec_lo
	s_delay_alu instid0(VALU_DEP_1) | instskip(NEXT) | instid1(VALU_DEP_1)
	v_dual_mov_b32 v1, 0 :: v_dual_and_b32 v2, 0xff, v0
	v_cmpx_ne_u16_e32 0, v2
	s_cbranch_execz .LBB468_1912
; %bb.1905:                             ;   in Loop: Header=BB468_8 Depth=1
	v_bfrev_b32_e32 v1, 1
	s_mov_b32 s17, exec_lo
	v_cmpx_ne_u16_e32 0x80, v2
	s_cbranch_execz .LBB468_1911
; %bb.1906:                             ;   in Loop: Header=BB468_8 Depth=1
	v_bfe_u32 v2, v31, 16, 7
	v_mov_b32_e32 v1, 0x7f800001
	s_mov_b32 s19, exec_lo
	s_delay_alu instid0(VALU_DEP_2)
	v_cmpx_ne_u32_e32 0x7f, v2
	s_cbranch_execz .LBB468_1910
; %bb.1907:                             ;   in Loop: Header=BB468_8 Depth=1
	v_and_b32_e32 v18, 7, v0
	v_mov_b32_e32 v33, v19
	v_lshrrev_b32_e32 v1, 3, v2
	s_mov_b32 s21, exec_lo
	s_delay_alu instid0(VALU_DEP_3)
	v_mov_b32_e32 v32, v18
	v_cmpx_gt_u32_e32 8, v2
; %bb.1908:                             ;   in Loop: Header=BB468_8 Depth=1
	v_clz_i32_u32_e32 v1, v18
	s_delay_alu instid0(VALU_DEP_1) | instskip(NEXT) | instid1(VALU_DEP_1)
	v_min_u32_e32 v1, 32, v1
	v_subrev_nc_u32_e32 v2, 28, v1
	v_sub_nc_u32_e32 v1, 29, v1
	s_delay_alu instid0(VALU_DEP_2) | instskip(NEXT) | instid1(VALU_DEP_1)
	v_lshlrev_b64 v[2:3], v2, v[18:19]
	v_and_b32_e32 v32, 7, v2
; %bb.1909:                             ;   in Loop: Header=BB468_8 Depth=1
	s_or_b32 exec_lo, exec_lo, s21
	v_lshlrev_b32_e32 v0, 24, v0
	s_delay_alu instid0(VALU_DEP_2) | instskip(SKIP_1) | instid1(VALU_DEP_3)
	v_lshlrev_b32_e32 v2, 20, v32
	v_lshl_add_u32 v1, v1, 23, 0x3c000000
	v_and_b32_e32 v0, 0x80000000, v0
	s_delay_alu instid0(VALU_DEP_1)
	v_or3_b32 v1, v2, v0, v1
.LBB468_1910:                           ;   in Loop: Header=BB468_8 Depth=1
	s_or_b32 exec_lo, exec_lo, s19
.LBB468_1911:                           ;   in Loop: Header=BB468_8 Depth=1
	s_delay_alu instid0(SALU_CYCLE_1)
	s_or_b32 exec_lo, exec_lo, s17
.LBB468_1912:                           ;   in Loop: Header=BB468_8 Depth=1
	s_delay_alu instid0(SALU_CYCLE_1) | instskip(NEXT) | instid1(VALU_DEP_1)
	s_or_b32 exec_lo, exec_lo, s3
	v_mul_f32_e32 v0, v79, v1
                                        ; implicit-def: $vgpr47
	s_delay_alu instid0(VALU_DEP_1) | instskip(NEXT) | instid1(VALU_DEP_1)
	v_and_b32_e32 v1, 0x7f800000, v0
	v_cmp_ne_u32_e64 s2, 0x7f800000, v1
	s_delay_alu instid0(VALU_DEP_1) | instskip(NEXT) | instid1(SALU_CYCLE_1)
	s_and_saveexec_b32 s3, s2
	s_xor_b32 s2, exec_lo, s3
; %bb.1913:                             ;   in Loop: Header=BB468_8 Depth=1
	v_bfe_u32 v1, v0, 16, 1
	s_delay_alu instid0(VALU_DEP_1)
	v_add3_u32 v47, v0, v1, 0x7fff
                                        ; implicit-def: $vgpr0
; %bb.1914:                             ;   in Loop: Header=BB468_8 Depth=1
	s_and_not1_saveexec_b32 s3, s2
; %bb.1915:                             ;   in Loop: Header=BB468_8 Depth=1
	v_and_b32_e32 v1, 0xffff, v0
	v_or_b32_e32 v2, 0x10000, v0
	s_delay_alu instid0(VALU_DEP_2) | instskip(NEXT) | instid1(VALU_DEP_1)
	v_cmp_eq_u32_e64 s2, 0, v1
	v_cndmask_b32_e64 v47, v2, v0, s2
; %bb.1916:                             ;   in Loop: Header=BB468_8 Depth=1
	s_or_b32 exec_lo, exec_lo, s3
	v_mov_b32_e32 v1, 0
	s_mov_b32 s3, exec_lo
	v_cmpx_lt_u64_e64 s[4:5], v[30:31]
	s_cbranch_execz .LBB468_1924
; %bb.1917:                             ;   in Loop: Header=BB468_8 Depth=1
	v_lshrrev_b32_e32 v0, 24, v31
	v_bfrev_b32_e32 v1, 1
	s_mov_b32 s17, exec_lo
	s_delay_alu instid0(VALU_DEP_2)
	v_cmpx_ne_u32_e32 0x80, v0
	s_cbranch_execz .LBB468_1923
; %bb.1918:                             ;   in Loop: Header=BB468_8 Depth=1
	v_bfe_u32 v2, v31, 24, 7
	v_mov_b32_e32 v1, 0x7f800001
	s_mov_b32 s19, exec_lo
	s_delay_alu instid0(VALU_DEP_2)
	v_cmpx_ne_u32_e32 0x7f, v2
	s_cbranch_execz .LBB468_1922
; %bb.1919:                             ;   in Loop: Header=BB468_8 Depth=1
	v_and_b32_e32 v18, 7, v0
	v_mov_b32_e32 v31, v19
	v_lshrrev_b32_e32 v1, 3, v2
	s_mov_b32 s21, exec_lo
	s_delay_alu instid0(VALU_DEP_3)
	v_mov_b32_e32 v30, v18
	v_cmpx_gt_u32_e32 8, v2
; %bb.1920:                             ;   in Loop: Header=BB468_8 Depth=1
	v_clz_i32_u32_e32 v1, v18
	s_delay_alu instid0(VALU_DEP_1) | instskip(NEXT) | instid1(VALU_DEP_1)
	v_min_u32_e32 v1, 32, v1
	v_subrev_nc_u32_e32 v2, 28, v1
	v_sub_nc_u32_e32 v1, 29, v1
	s_delay_alu instid0(VALU_DEP_2) | instskip(NEXT) | instid1(VALU_DEP_1)
	v_lshlrev_b64 v[2:3], v2, v[18:19]
	v_and_b32_e32 v30, 7, v2
; %bb.1921:                             ;   in Loop: Header=BB468_8 Depth=1
	s_or_b32 exec_lo, exec_lo, s21
	v_lshlrev_b32_e32 v0, 24, v0
	s_delay_alu instid0(VALU_DEP_2) | instskip(SKIP_1) | instid1(VALU_DEP_3)
	v_lshlrev_b32_e32 v2, 20, v30
	v_lshl_add_u32 v1, v1, 23, 0x3c000000
	v_and_b32_e32 v0, 0x80000000, v0
	s_delay_alu instid0(VALU_DEP_1)
	v_or3_b32 v1, v2, v0, v1
.LBB468_1922:                           ;   in Loop: Header=BB468_8 Depth=1
	s_or_b32 exec_lo, exec_lo, s19
.LBB468_1923:                           ;   in Loop: Header=BB468_8 Depth=1
	s_delay_alu instid0(SALU_CYCLE_1)
	s_or_b32 exec_lo, exec_lo, s17
.LBB468_1924:                           ;   in Loop: Header=BB468_8 Depth=1
	s_delay_alu instid0(SALU_CYCLE_1) | instskip(NEXT) | instid1(VALU_DEP_1)
	s_or_b32 exec_lo, exec_lo, s3
	v_mul_f32_e32 v0, v79, v1
                                        ; implicit-def: $vgpr56
	s_delay_alu instid0(VALU_DEP_1) | instskip(NEXT) | instid1(VALU_DEP_1)
	v_and_b32_e32 v1, 0x7f800000, v0
	v_cmp_ne_u32_e64 s2, 0x7f800000, v1
	s_delay_alu instid0(VALU_DEP_1) | instskip(NEXT) | instid1(SALU_CYCLE_1)
	s_and_saveexec_b32 s3, s2
	s_xor_b32 s2, exec_lo, s3
; %bb.1925:                             ;   in Loop: Header=BB468_8 Depth=1
	v_bfe_u32 v1, v0, 16, 1
	s_delay_alu instid0(VALU_DEP_1)
	v_add3_u32 v56, v0, v1, 0x7fff
                                        ; implicit-def: $vgpr0
; %bb.1926:                             ;   in Loop: Header=BB468_8 Depth=1
	s_and_not1_saveexec_b32 s3, s2
; %bb.1927:                             ;   in Loop: Header=BB468_8 Depth=1
	v_and_b32_e32 v1, 0xffff, v0
	v_or_b32_e32 v2, 0x10000, v0
	s_delay_alu instid0(VALU_DEP_2) | instskip(NEXT) | instid1(VALU_DEP_1)
	v_cmp_eq_u32_e64 s2, 0, v1
	v_cndmask_b32_e64 v56, v2, v0, s2
; %bb.1928:                             ;   in Loop: Header=BB468_8 Depth=1
	s_or_b32 exec_lo, exec_lo, s3
	flat_load_b64 v[30:31], v[28:29] offset:1024
	s_mov_b32 s3, exec_lo
	s_waitcnt vmcnt(0) lgkmcnt(0)
	v_dual_mov_b32 v0, 0 :: v_dual_and_b32 v1, 0xff, v30
	s_delay_alu instid0(VALU_DEP_1)
	v_cmpx_ne_u16_e32 0, v1
	s_cbranch_execz .LBB468_1936
; %bb.1929:                             ;   in Loop: Header=BB468_8 Depth=1
	v_bfrev_b32_e32 v0, 1
	s_mov_b32 s17, exec_lo
	v_cmpx_ne_u16_e32 0x80, v1
	s_cbranch_execz .LBB468_1935
; %bb.1930:                             ;   in Loop: Header=BB468_8 Depth=1
	v_and_b32_e32 v1, 0x7f, v30
	v_mov_b32_e32 v0, 0x7f800001
	s_mov_b32 s19, exec_lo
	s_delay_alu instid0(VALU_DEP_2)
	v_cmpx_ne_u32_e32 0x7f, v1
	s_cbranch_execz .LBB468_1934
; %bb.1931:                             ;   in Loop: Header=BB468_8 Depth=1
	v_lshrrev_b32_e32 v0, 3, v1
	v_dual_mov_b32 v33, v31 :: v_dual_mov_b32 v32, v30
	s_mov_b32 s21, exec_lo
	v_cmpx_gt_u32_e32 8, v1
; %bb.1932:                             ;   in Loop: Header=BB468_8 Depth=1
	v_and_b32_e32 v0, 7, v30
	s_delay_alu instid0(VALU_DEP_1) | instskip(NEXT) | instid1(VALU_DEP_1)
	v_clz_i32_u32_e32 v0, v0
	v_min_u32_e32 v0, 32, v0
	s_delay_alu instid0(VALU_DEP_1) | instskip(SKIP_1) | instid1(VALU_DEP_2)
	v_subrev_nc_u32_e32 v1, 28, v0
	v_sub_nc_u32_e32 v0, 29, v0
	v_lshlrev_b64 v[32:33], v1, v[30:31]
; %bb.1933:                             ;   in Loop: Header=BB468_8 Depth=1
	s_or_b32 exec_lo, exec_lo, s21
	s_delay_alu instid0(VALU_DEP_1) | instskip(SKIP_2) | instid1(VALU_DEP_3)
	v_lshlrev_b32_e32 v1, 20, v32
	v_lshlrev_b32_e32 v2, 24, v30
	v_lshl_add_u32 v0, v0, 23, 0x3c000000
	v_and_b32_e32 v1, 0x700000, v1
	s_delay_alu instid0(VALU_DEP_3) | instskip(NEXT) | instid1(VALU_DEP_1)
	v_and_b32_e32 v2, 0x80000000, v2
	v_or3_b32 v0, v1, v2, v0
.LBB468_1934:                           ;   in Loop: Header=BB468_8 Depth=1
	s_or_b32 exec_lo, exec_lo, s19
.LBB468_1935:                           ;   in Loop: Header=BB468_8 Depth=1
	s_delay_alu instid0(SALU_CYCLE_1)
	s_or_b32 exec_lo, exec_lo, s17
.LBB468_1936:                           ;   in Loop: Header=BB468_8 Depth=1
	s_delay_alu instid0(SALU_CYCLE_1) | instskip(NEXT) | instid1(VALU_DEP_1)
	s_or_b32 exec_lo, exec_lo, s3
	v_mul_f32_e32 v0, v79, v0
                                        ; implicit-def: $vgpr57
	s_delay_alu instid0(VALU_DEP_1) | instskip(NEXT) | instid1(VALU_DEP_1)
	v_and_b32_e32 v1, 0x7f800000, v0
	v_cmp_ne_u32_e64 s2, 0x7f800000, v1
	s_delay_alu instid0(VALU_DEP_1) | instskip(NEXT) | instid1(SALU_CYCLE_1)
	s_and_saveexec_b32 s3, s2
	s_xor_b32 s2, exec_lo, s3
; %bb.1937:                             ;   in Loop: Header=BB468_8 Depth=1
	v_bfe_u32 v1, v0, 16, 1
	s_delay_alu instid0(VALU_DEP_1)
	v_add3_u32 v57, v0, v1, 0x7fff
                                        ; implicit-def: $vgpr0
; %bb.1938:                             ;   in Loop: Header=BB468_8 Depth=1
	s_and_not1_saveexec_b32 s3, s2
; %bb.1939:                             ;   in Loop: Header=BB468_8 Depth=1
	v_and_b32_e32 v1, 0xffff, v0
	v_or_b32_e32 v2, 0x10000, v0
	s_delay_alu instid0(VALU_DEP_2) | instskip(NEXT) | instid1(VALU_DEP_1)
	v_cmp_eq_u32_e64 s2, 0, v1
	v_cndmask_b32_e64 v57, v2, v0, s2
; %bb.1940:                             ;   in Loop: Header=BB468_8 Depth=1
	s_or_b32 exec_lo, exec_lo, s3
	v_lshrrev_b16 v1, 8, v30
	v_mov_b32_e32 v0, 0
	s_mov_b32 s3, exec_lo
	s_delay_alu instid0(VALU_DEP_2)
	v_cmpx_ne_u16_e32 0, v1
	s_cbranch_execz .LBB468_1948
; %bb.1941:                             ;   in Loop: Header=BB468_8 Depth=1
	v_bfrev_b32_e32 v0, 1
	s_mov_b32 s17, exec_lo
	v_cmpx_ne_u16_e32 0x80, v1
	s_cbranch_execz .LBB468_1947
; %bb.1942:                             ;   in Loop: Header=BB468_8 Depth=1
	v_and_b32_e32 v2, 0xffff, v1
	v_mov_b32_e32 v0, 0x7f800001
	s_mov_b32 s19, exec_lo
	s_delay_alu instid0(VALU_DEP_2) | instskip(NEXT) | instid1(VALU_DEP_1)
	v_and_b32_e32 v1, 0x7f, v2
	v_cmpx_ne_u32_e32 0x7f, v1
	s_cbranch_execz .LBB468_1946
; %bb.1943:                             ;   in Loop: Header=BB468_8 Depth=1
	v_and_b32_e32 v18, 7, v2
	v_mov_b32_e32 v33, v19
	v_lshrrev_b32_e32 v0, 3, v1
	s_mov_b32 s21, exec_lo
	s_delay_alu instid0(VALU_DEP_3)
	v_mov_b32_e32 v32, v18
	v_cmpx_gt_u32_e32 8, v1
; %bb.1944:                             ;   in Loop: Header=BB468_8 Depth=1
	v_clz_i32_u32_e32 v0, v18
	s_delay_alu instid0(VALU_DEP_1) | instskip(NEXT) | instid1(VALU_DEP_1)
	v_min_u32_e32 v0, 32, v0
	v_subrev_nc_u32_e32 v1, 28, v0
	v_sub_nc_u32_e32 v0, 29, v0
	s_delay_alu instid0(VALU_DEP_2) | instskip(NEXT) | instid1(VALU_DEP_1)
	v_lshlrev_b64 v[1:2], v1, v[18:19]
	v_and_b32_e32 v32, 7, v1
; %bb.1945:                             ;   in Loop: Header=BB468_8 Depth=1
	s_or_b32 exec_lo, exec_lo, s21
	v_lshlrev_b32_e32 v1, 16, v30
	s_delay_alu instid0(VALU_DEP_2) | instskip(SKIP_1) | instid1(VALU_DEP_3)
	v_lshlrev_b32_e32 v2, 20, v32
	v_lshl_add_u32 v0, v0, 23, 0x3c000000
	v_and_b32_e32 v1, 0x80000000, v1
	s_delay_alu instid0(VALU_DEP_1)
	v_or3_b32 v0, v2, v1, v0
.LBB468_1946:                           ;   in Loop: Header=BB468_8 Depth=1
	s_or_b32 exec_lo, exec_lo, s19
.LBB468_1947:                           ;   in Loop: Header=BB468_8 Depth=1
	s_delay_alu instid0(SALU_CYCLE_1)
	s_or_b32 exec_lo, exec_lo, s17
.LBB468_1948:                           ;   in Loop: Header=BB468_8 Depth=1
	s_delay_alu instid0(SALU_CYCLE_1) | instskip(NEXT) | instid1(VALU_DEP_1)
	s_or_b32 exec_lo, exec_lo, s3
	v_mul_f32_e32 v0, v79, v0
                                        ; implicit-def: $vgpr58
	s_delay_alu instid0(VALU_DEP_1) | instskip(NEXT) | instid1(VALU_DEP_1)
	v_and_b32_e32 v1, 0x7f800000, v0
	v_cmp_ne_u32_e64 s2, 0x7f800000, v1
	s_delay_alu instid0(VALU_DEP_1) | instskip(NEXT) | instid1(SALU_CYCLE_1)
	s_and_saveexec_b32 s3, s2
	s_xor_b32 s2, exec_lo, s3
; %bb.1949:                             ;   in Loop: Header=BB468_8 Depth=1
	v_bfe_u32 v1, v0, 16, 1
	s_delay_alu instid0(VALU_DEP_1)
	v_add3_u32 v58, v0, v1, 0x7fff
                                        ; implicit-def: $vgpr0
; %bb.1950:                             ;   in Loop: Header=BB468_8 Depth=1
	s_and_not1_saveexec_b32 s3, s2
; %bb.1951:                             ;   in Loop: Header=BB468_8 Depth=1
	v_and_b32_e32 v1, 0xffff, v0
	v_or_b32_e32 v2, 0x10000, v0
	s_delay_alu instid0(VALU_DEP_2) | instskip(NEXT) | instid1(VALU_DEP_1)
	v_cmp_eq_u32_e64 s2, 0, v1
	v_cndmask_b32_e64 v58, v2, v0, s2
; %bb.1952:                             ;   in Loop: Header=BB468_8 Depth=1
	s_or_b32 exec_lo, exec_lo, s3
	v_lshrrev_b32_e32 v0, 16, v30
	s_mov_b32 s3, exec_lo
	s_delay_alu instid0(VALU_DEP_1) | instskip(NEXT) | instid1(VALU_DEP_1)
	v_dual_mov_b32 v1, 0 :: v_dual_and_b32 v2, 0xff, v0
	v_cmpx_ne_u16_e32 0, v2
	s_cbranch_execz .LBB468_1960
; %bb.1953:                             ;   in Loop: Header=BB468_8 Depth=1
	v_bfrev_b32_e32 v1, 1
	s_mov_b32 s17, exec_lo
	v_cmpx_ne_u16_e32 0x80, v2
	s_cbranch_execz .LBB468_1959
; %bb.1954:                             ;   in Loop: Header=BB468_8 Depth=1
	v_bfe_u32 v2, v30, 16, 7
	v_mov_b32_e32 v1, 0x7f800001
	s_mov_b32 s19, exec_lo
	s_delay_alu instid0(VALU_DEP_2)
	v_cmpx_ne_u32_e32 0x7f, v2
	s_cbranch_execz .LBB468_1958
; %bb.1955:                             ;   in Loop: Header=BB468_8 Depth=1
	v_and_b32_e32 v18, 7, v0
	v_mov_b32_e32 v33, v19
	v_lshrrev_b32_e32 v1, 3, v2
	s_mov_b32 s21, exec_lo
	s_delay_alu instid0(VALU_DEP_3)
	v_mov_b32_e32 v32, v18
	v_cmpx_gt_u32_e32 8, v2
; %bb.1956:                             ;   in Loop: Header=BB468_8 Depth=1
	v_clz_i32_u32_e32 v1, v18
	s_delay_alu instid0(VALU_DEP_1) | instskip(NEXT) | instid1(VALU_DEP_1)
	v_min_u32_e32 v1, 32, v1
	v_subrev_nc_u32_e32 v2, 28, v1
	v_sub_nc_u32_e32 v1, 29, v1
	s_delay_alu instid0(VALU_DEP_2) | instskip(NEXT) | instid1(VALU_DEP_1)
	v_lshlrev_b64 v[2:3], v2, v[18:19]
	v_and_b32_e32 v32, 7, v2
; %bb.1957:                             ;   in Loop: Header=BB468_8 Depth=1
	s_or_b32 exec_lo, exec_lo, s21
	v_lshlrev_b32_e32 v0, 24, v0
	s_delay_alu instid0(VALU_DEP_2) | instskip(SKIP_1) | instid1(VALU_DEP_3)
	v_lshlrev_b32_e32 v2, 20, v32
	v_lshl_add_u32 v1, v1, 23, 0x3c000000
	v_and_b32_e32 v0, 0x80000000, v0
	s_delay_alu instid0(VALU_DEP_1)
	v_or3_b32 v1, v2, v0, v1
.LBB468_1958:                           ;   in Loop: Header=BB468_8 Depth=1
	s_or_b32 exec_lo, exec_lo, s19
.LBB468_1959:                           ;   in Loop: Header=BB468_8 Depth=1
	s_delay_alu instid0(SALU_CYCLE_1)
	s_or_b32 exec_lo, exec_lo, s17
.LBB468_1960:                           ;   in Loop: Header=BB468_8 Depth=1
	s_delay_alu instid0(SALU_CYCLE_1) | instskip(NEXT) | instid1(VALU_DEP_1)
	s_or_b32 exec_lo, exec_lo, s3
	v_mul_f32_e32 v0, v79, v1
                                        ; implicit-def: $vgpr59
	s_delay_alu instid0(VALU_DEP_1) | instskip(NEXT) | instid1(VALU_DEP_1)
	v_and_b32_e32 v1, 0x7f800000, v0
	v_cmp_ne_u32_e64 s2, 0x7f800000, v1
	s_delay_alu instid0(VALU_DEP_1) | instskip(NEXT) | instid1(SALU_CYCLE_1)
	s_and_saveexec_b32 s3, s2
	s_xor_b32 s2, exec_lo, s3
; %bb.1961:                             ;   in Loop: Header=BB468_8 Depth=1
	v_bfe_u32 v1, v0, 16, 1
	s_delay_alu instid0(VALU_DEP_1)
	v_add3_u32 v59, v0, v1, 0x7fff
                                        ; implicit-def: $vgpr0
; %bb.1962:                             ;   in Loop: Header=BB468_8 Depth=1
	s_and_not1_saveexec_b32 s3, s2
; %bb.1963:                             ;   in Loop: Header=BB468_8 Depth=1
	v_and_b32_e32 v1, 0xffff, v0
	v_or_b32_e32 v2, 0x10000, v0
	s_delay_alu instid0(VALU_DEP_2) | instskip(NEXT) | instid1(VALU_DEP_1)
	v_cmp_eq_u32_e64 s2, 0, v1
	v_cndmask_b32_e64 v59, v2, v0, s2
; %bb.1964:                             ;   in Loop: Header=BB468_8 Depth=1
	s_or_b32 exec_lo, exec_lo, s3
	v_mov_b32_e32 v1, 0
	s_mov_b32 s3, exec_lo
	v_cmpx_lt_u32_e32 0xffffff, v30
	s_cbranch_execz .LBB468_1972
; %bb.1965:                             ;   in Loop: Header=BB468_8 Depth=1
	v_lshrrev_b32_e32 v0, 24, v30
	v_bfrev_b32_e32 v1, 1
	s_mov_b32 s17, exec_lo
	s_delay_alu instid0(VALU_DEP_2)
	v_cmpx_ne_u32_e32 0x80, v0
	s_cbranch_execz .LBB468_1971
; %bb.1966:                             ;   in Loop: Header=BB468_8 Depth=1
	v_bfe_u32 v2, v30, 24, 7
	v_mov_b32_e32 v1, 0x7f800001
	s_mov_b32 s19, exec_lo
	s_delay_alu instid0(VALU_DEP_2)
	v_cmpx_ne_u32_e32 0x7f, v2
	s_cbranch_execz .LBB468_1970
; %bb.1967:                             ;   in Loop: Header=BB468_8 Depth=1
	v_and_b32_e32 v18, 7, v0
	v_mov_b32_e32 v33, v19
	v_lshrrev_b32_e32 v1, 3, v2
	s_mov_b32 s21, exec_lo
	s_delay_alu instid0(VALU_DEP_3)
	v_mov_b32_e32 v32, v18
	v_cmpx_gt_u32_e32 8, v2
; %bb.1968:                             ;   in Loop: Header=BB468_8 Depth=1
	v_clz_i32_u32_e32 v1, v18
	s_delay_alu instid0(VALU_DEP_1) | instskip(NEXT) | instid1(VALU_DEP_1)
	v_min_u32_e32 v1, 32, v1
	v_subrev_nc_u32_e32 v2, 28, v1
	v_sub_nc_u32_e32 v1, 29, v1
	s_delay_alu instid0(VALU_DEP_2) | instskip(NEXT) | instid1(VALU_DEP_1)
	v_lshlrev_b64 v[2:3], v2, v[18:19]
	v_and_b32_e32 v32, 7, v2
; %bb.1969:                             ;   in Loop: Header=BB468_8 Depth=1
	s_or_b32 exec_lo, exec_lo, s21
	v_lshlrev_b32_e32 v0, 24, v0
	s_delay_alu instid0(VALU_DEP_2) | instskip(SKIP_1) | instid1(VALU_DEP_3)
	v_lshlrev_b32_e32 v2, 20, v32
	v_lshl_add_u32 v1, v1, 23, 0x3c000000
	v_and_b32_e32 v0, 0x80000000, v0
	s_delay_alu instid0(VALU_DEP_1)
	v_or3_b32 v1, v2, v0, v1
.LBB468_1970:                           ;   in Loop: Header=BB468_8 Depth=1
	s_or_b32 exec_lo, exec_lo, s19
.LBB468_1971:                           ;   in Loop: Header=BB468_8 Depth=1
	s_delay_alu instid0(SALU_CYCLE_1)
	s_or_b32 exec_lo, exec_lo, s17
.LBB468_1972:                           ;   in Loop: Header=BB468_8 Depth=1
	s_delay_alu instid0(SALU_CYCLE_1) | instskip(NEXT) | instid1(VALU_DEP_1)
	s_or_b32 exec_lo, exec_lo, s3
	v_mul_f32_e32 v0, v79, v1
                                        ; implicit-def: $vgpr60
	s_delay_alu instid0(VALU_DEP_1) | instskip(NEXT) | instid1(VALU_DEP_1)
	v_and_b32_e32 v1, 0x7f800000, v0
	v_cmp_ne_u32_e64 s2, 0x7f800000, v1
	s_delay_alu instid0(VALU_DEP_1) | instskip(NEXT) | instid1(SALU_CYCLE_1)
	s_and_saveexec_b32 s3, s2
	s_xor_b32 s2, exec_lo, s3
; %bb.1973:                             ;   in Loop: Header=BB468_8 Depth=1
	v_bfe_u32 v1, v0, 16, 1
	s_delay_alu instid0(VALU_DEP_1)
	v_add3_u32 v60, v0, v1, 0x7fff
                                        ; implicit-def: $vgpr0
; %bb.1974:                             ;   in Loop: Header=BB468_8 Depth=1
	s_and_not1_saveexec_b32 s3, s2
; %bb.1975:                             ;   in Loop: Header=BB468_8 Depth=1
	v_and_b32_e32 v1, 0xffff, v0
	v_or_b32_e32 v2, 0x10000, v0
	s_delay_alu instid0(VALU_DEP_2) | instskip(NEXT) | instid1(VALU_DEP_1)
	v_cmp_eq_u32_e64 s2, 0, v1
	v_cndmask_b32_e64 v60, v2, v0, s2
; %bb.1976:                             ;   in Loop: Header=BB468_8 Depth=1
	s_or_b32 exec_lo, exec_lo, s3
	v_dual_mov_b32 v18, v31 :: v_dual_and_b32 v1, 0xff, v31
	v_mov_b32_e32 v0, 0
	s_mov_b32 s3, exec_lo
	s_delay_alu instid0(VALU_DEP_2)
	v_cmpx_ne_u16_e32 0, v1
	s_cbranch_execz .LBB468_1984
; %bb.1977:                             ;   in Loop: Header=BB468_8 Depth=1
	v_bfrev_b32_e32 v0, 1
	s_mov_b32 s17, exec_lo
	v_cmpx_ne_u16_e32 0x80, v1
	s_cbranch_execz .LBB468_1983
; %bb.1978:                             ;   in Loop: Header=BB468_8 Depth=1
	v_and_b32_e32 v1, 0x7f, v31
	v_mov_b32_e32 v0, 0x7f800001
	s_mov_b32 s19, exec_lo
	s_delay_alu instid0(VALU_DEP_2)
	v_cmpx_ne_u32_e32 0x7f, v1
	s_cbranch_execz .LBB468_1982
; %bb.1979:                             ;   in Loop: Header=BB468_8 Depth=1
	v_dual_mov_b32 v33, v19 :: v_dual_mov_b32 v32, v18
	v_lshrrev_b32_e32 v0, 3, v1
	s_mov_b32 s21, exec_lo
	v_cmpx_gt_u32_e32 8, v1
; %bb.1980:                             ;   in Loop: Header=BB468_8 Depth=1
	v_and_b32_e32 v0, 7, v31
	s_delay_alu instid0(VALU_DEP_1) | instskip(NEXT) | instid1(VALU_DEP_1)
	v_clz_i32_u32_e32 v0, v0
	v_min_u32_e32 v0, 32, v0
	s_delay_alu instid0(VALU_DEP_1) | instskip(SKIP_1) | instid1(VALU_DEP_2)
	v_subrev_nc_u32_e32 v1, 28, v0
	v_sub_nc_u32_e32 v0, 29, v0
	v_lshlrev_b64 v[32:33], v1, v[18:19]
; %bb.1981:                             ;   in Loop: Header=BB468_8 Depth=1
	s_or_b32 exec_lo, exec_lo, s21
	s_delay_alu instid0(VALU_DEP_1) | instskip(SKIP_2) | instid1(VALU_DEP_3)
	v_lshlrev_b32_e32 v1, 20, v32
	v_lshlrev_b32_e32 v2, 24, v18
	v_lshl_add_u32 v0, v0, 23, 0x3c000000
	v_and_b32_e32 v1, 0x700000, v1
	s_delay_alu instid0(VALU_DEP_3) | instskip(NEXT) | instid1(VALU_DEP_1)
	v_and_b32_e32 v2, 0x80000000, v2
	v_or3_b32 v0, v1, v2, v0
.LBB468_1982:                           ;   in Loop: Header=BB468_8 Depth=1
	s_or_b32 exec_lo, exec_lo, s19
.LBB468_1983:                           ;   in Loop: Header=BB468_8 Depth=1
	s_delay_alu instid0(SALU_CYCLE_1)
	s_or_b32 exec_lo, exec_lo, s17
.LBB468_1984:                           ;   in Loop: Header=BB468_8 Depth=1
	s_delay_alu instid0(SALU_CYCLE_1) | instskip(NEXT) | instid1(VALU_DEP_1)
	s_or_b32 exec_lo, exec_lo, s3
	v_mul_f32_e32 v0, v79, v0
                                        ; implicit-def: $vgpr61
	s_delay_alu instid0(VALU_DEP_1) | instskip(NEXT) | instid1(VALU_DEP_1)
	v_and_b32_e32 v1, 0x7f800000, v0
	v_cmp_ne_u32_e64 s2, 0x7f800000, v1
	s_delay_alu instid0(VALU_DEP_1) | instskip(NEXT) | instid1(SALU_CYCLE_1)
	s_and_saveexec_b32 s3, s2
	s_xor_b32 s2, exec_lo, s3
; %bb.1985:                             ;   in Loop: Header=BB468_8 Depth=1
	v_bfe_u32 v1, v0, 16, 1
	s_delay_alu instid0(VALU_DEP_1)
	v_add3_u32 v61, v0, v1, 0x7fff
                                        ; implicit-def: $vgpr0
; %bb.1986:                             ;   in Loop: Header=BB468_8 Depth=1
	s_and_not1_saveexec_b32 s3, s2
; %bb.1987:                             ;   in Loop: Header=BB468_8 Depth=1
	v_and_b32_e32 v1, 0xffff, v0
	v_or_b32_e32 v2, 0x10000, v0
	s_delay_alu instid0(VALU_DEP_2) | instskip(NEXT) | instid1(VALU_DEP_1)
	v_cmp_eq_u32_e64 s2, 0, v1
	v_cndmask_b32_e64 v61, v2, v0, s2
; %bb.1988:                             ;   in Loop: Header=BB468_8 Depth=1
	s_or_b32 exec_lo, exec_lo, s3
	v_lshrrev_b16 v1, 8, v18
	v_mov_b32_e32 v0, 0
	s_mov_b32 s3, exec_lo
	s_delay_alu instid0(VALU_DEP_2)
	v_cmpx_ne_u16_e32 0, v1
	s_cbranch_execz .LBB468_1996
; %bb.1989:                             ;   in Loop: Header=BB468_8 Depth=1
	v_bfrev_b32_e32 v0, 1
	s_mov_b32 s17, exec_lo
	v_cmpx_ne_u16_e32 0x80, v1
	s_cbranch_execz .LBB468_1995
; %bb.1990:                             ;   in Loop: Header=BB468_8 Depth=1
	v_and_b32_e32 v2, 0xffff, v1
	v_mov_b32_e32 v0, 0x7f800001
	s_mov_b32 s19, exec_lo
	s_delay_alu instid0(VALU_DEP_2) | instskip(NEXT) | instid1(VALU_DEP_1)
	v_and_b32_e32 v1, 0x7f, v2
	v_cmpx_ne_u32_e32 0x7f, v1
	s_cbranch_execz .LBB468_1994
; %bb.1991:                             ;   in Loop: Header=BB468_8 Depth=1
	v_dual_mov_b32 v33, v19 :: v_dual_and_b32 v32, 7, v2
	v_lshrrev_b32_e32 v0, 3, v1
	s_mov_b32 s21, exec_lo
	v_cmpx_gt_u32_e32 8, v1
; %bb.1992:                             ;   in Loop: Header=BB468_8 Depth=1
	s_delay_alu instid0(VALU_DEP_3) | instskip(NEXT) | instid1(VALU_DEP_1)
	v_clz_i32_u32_e32 v0, v32
	v_min_u32_e32 v0, 32, v0
	s_delay_alu instid0(VALU_DEP_1) | instskip(SKIP_1) | instid1(VALU_DEP_2)
	v_subrev_nc_u32_e32 v1, 28, v0
	v_sub_nc_u32_e32 v0, 29, v0
	v_lshlrev_b64 v[1:2], v1, v[32:33]
	s_delay_alu instid0(VALU_DEP_1)
	v_and_b32_e32 v32, 7, v1
; %bb.1993:                             ;   in Loop: Header=BB468_8 Depth=1
	s_or_b32 exec_lo, exec_lo, s21
	v_lshlrev_b32_e32 v1, 16, v18
	s_delay_alu instid0(VALU_DEP_2) | instskip(SKIP_1) | instid1(VALU_DEP_3)
	v_lshlrev_b32_e32 v2, 20, v32
	v_lshl_add_u32 v0, v0, 23, 0x3c000000
	v_and_b32_e32 v1, 0x80000000, v1
	s_delay_alu instid0(VALU_DEP_1)
	v_or3_b32 v0, v2, v1, v0
.LBB468_1994:                           ;   in Loop: Header=BB468_8 Depth=1
	s_or_b32 exec_lo, exec_lo, s19
.LBB468_1995:                           ;   in Loop: Header=BB468_8 Depth=1
	s_delay_alu instid0(SALU_CYCLE_1)
	s_or_b32 exec_lo, exec_lo, s17
.LBB468_1996:                           ;   in Loop: Header=BB468_8 Depth=1
	s_delay_alu instid0(SALU_CYCLE_1) | instskip(NEXT) | instid1(VALU_DEP_1)
	s_or_b32 exec_lo, exec_lo, s3
	v_mul_f32_e32 v0, v79, v0
                                        ; implicit-def: $vgpr62
	s_delay_alu instid0(VALU_DEP_1) | instskip(NEXT) | instid1(VALU_DEP_1)
	v_and_b32_e32 v1, 0x7f800000, v0
	v_cmp_ne_u32_e64 s2, 0x7f800000, v1
	s_delay_alu instid0(VALU_DEP_1) | instskip(NEXT) | instid1(SALU_CYCLE_1)
	s_and_saveexec_b32 s3, s2
	s_xor_b32 s2, exec_lo, s3
; %bb.1997:                             ;   in Loop: Header=BB468_8 Depth=1
	v_bfe_u32 v1, v0, 16, 1
	s_delay_alu instid0(VALU_DEP_1)
	v_add3_u32 v62, v0, v1, 0x7fff
                                        ; implicit-def: $vgpr0
; %bb.1998:                             ;   in Loop: Header=BB468_8 Depth=1
	s_and_not1_saveexec_b32 s3, s2
; %bb.1999:                             ;   in Loop: Header=BB468_8 Depth=1
	v_and_b32_e32 v1, 0xffff, v0
	v_or_b32_e32 v2, 0x10000, v0
	s_delay_alu instid0(VALU_DEP_2) | instskip(NEXT) | instid1(VALU_DEP_1)
	v_cmp_eq_u32_e64 s2, 0, v1
	v_cndmask_b32_e64 v62, v2, v0, s2
; %bb.2000:                             ;   in Loop: Header=BB468_8 Depth=1
	s_or_b32 exec_lo, exec_lo, s3
	v_lshrrev_b32_e32 v0, 16, v31
	s_mov_b32 s3, exec_lo
	s_delay_alu instid0(VALU_DEP_1) | instskip(NEXT) | instid1(VALU_DEP_1)
	v_dual_mov_b32 v1, 0 :: v_dual_and_b32 v2, 0xff, v0
	v_cmpx_ne_u16_e32 0, v2
	s_cbranch_execz .LBB468_2008
; %bb.2001:                             ;   in Loop: Header=BB468_8 Depth=1
	v_bfrev_b32_e32 v1, 1
	s_mov_b32 s17, exec_lo
	v_cmpx_ne_u16_e32 0x80, v2
	s_cbranch_execz .LBB468_2007
; %bb.2002:                             ;   in Loop: Header=BB468_8 Depth=1
	v_bfe_u32 v2, v31, 16, 7
	v_mov_b32_e32 v1, 0x7f800001
	s_mov_b32 s19, exec_lo
	s_delay_alu instid0(VALU_DEP_2)
	v_cmpx_ne_u32_e32 0x7f, v2
	s_cbranch_execz .LBB468_2006
; %bb.2003:                             ;   in Loop: Header=BB468_8 Depth=1
	v_and_b32_e32 v18, 7, v0
	v_mov_b32_e32 v33, v19
	v_lshrrev_b32_e32 v1, 3, v2
	s_mov_b32 s21, exec_lo
	s_delay_alu instid0(VALU_DEP_3)
	v_mov_b32_e32 v32, v18
	v_cmpx_gt_u32_e32 8, v2
; %bb.2004:                             ;   in Loop: Header=BB468_8 Depth=1
	v_clz_i32_u32_e32 v1, v18
	s_delay_alu instid0(VALU_DEP_1) | instskip(NEXT) | instid1(VALU_DEP_1)
	v_min_u32_e32 v1, 32, v1
	v_subrev_nc_u32_e32 v2, 28, v1
	v_sub_nc_u32_e32 v1, 29, v1
	s_delay_alu instid0(VALU_DEP_2) | instskip(NEXT) | instid1(VALU_DEP_1)
	v_lshlrev_b64 v[2:3], v2, v[18:19]
	v_and_b32_e32 v32, 7, v2
; %bb.2005:                             ;   in Loop: Header=BB468_8 Depth=1
	s_or_b32 exec_lo, exec_lo, s21
	v_lshlrev_b32_e32 v0, 24, v0
	s_delay_alu instid0(VALU_DEP_2) | instskip(SKIP_1) | instid1(VALU_DEP_3)
	v_lshlrev_b32_e32 v2, 20, v32
	v_lshl_add_u32 v1, v1, 23, 0x3c000000
	v_and_b32_e32 v0, 0x80000000, v0
	s_delay_alu instid0(VALU_DEP_1)
	v_or3_b32 v1, v2, v0, v1
.LBB468_2006:                           ;   in Loop: Header=BB468_8 Depth=1
	s_or_b32 exec_lo, exec_lo, s19
.LBB468_2007:                           ;   in Loop: Header=BB468_8 Depth=1
	s_delay_alu instid0(SALU_CYCLE_1)
	s_or_b32 exec_lo, exec_lo, s17
.LBB468_2008:                           ;   in Loop: Header=BB468_8 Depth=1
	s_delay_alu instid0(SALU_CYCLE_1) | instskip(NEXT) | instid1(VALU_DEP_1)
	s_or_b32 exec_lo, exec_lo, s3
	v_mul_f32_e32 v0, v79, v1
                                        ; implicit-def: $vgpr63
	s_delay_alu instid0(VALU_DEP_1) | instskip(NEXT) | instid1(VALU_DEP_1)
	v_and_b32_e32 v1, 0x7f800000, v0
	v_cmp_ne_u32_e64 s2, 0x7f800000, v1
	s_delay_alu instid0(VALU_DEP_1) | instskip(NEXT) | instid1(SALU_CYCLE_1)
	s_and_saveexec_b32 s3, s2
	s_xor_b32 s2, exec_lo, s3
; %bb.2009:                             ;   in Loop: Header=BB468_8 Depth=1
	v_bfe_u32 v1, v0, 16, 1
	s_delay_alu instid0(VALU_DEP_1)
	v_add3_u32 v63, v0, v1, 0x7fff
                                        ; implicit-def: $vgpr0
; %bb.2010:                             ;   in Loop: Header=BB468_8 Depth=1
	s_and_not1_saveexec_b32 s3, s2
; %bb.2011:                             ;   in Loop: Header=BB468_8 Depth=1
	v_and_b32_e32 v1, 0xffff, v0
	v_or_b32_e32 v2, 0x10000, v0
	s_delay_alu instid0(VALU_DEP_2) | instskip(NEXT) | instid1(VALU_DEP_1)
	v_cmp_eq_u32_e64 s2, 0, v1
	v_cndmask_b32_e64 v63, v2, v0, s2
; %bb.2012:                             ;   in Loop: Header=BB468_8 Depth=1
	s_or_b32 exec_lo, exec_lo, s3
	v_mov_b32_e32 v1, 0
	s_mov_b32 s3, exec_lo
	v_cmpx_lt_u64_e64 s[4:5], v[30:31]
	s_cbranch_execz .LBB468_2020
; %bb.2013:                             ;   in Loop: Header=BB468_8 Depth=1
	v_lshrrev_b32_e32 v0, 24, v31
	v_bfrev_b32_e32 v1, 1
	s_mov_b32 s17, exec_lo
	s_delay_alu instid0(VALU_DEP_2)
	v_cmpx_ne_u32_e32 0x80, v0
	s_cbranch_execz .LBB468_2019
; %bb.2014:                             ;   in Loop: Header=BB468_8 Depth=1
	v_bfe_u32 v2, v31, 24, 7
	v_mov_b32_e32 v1, 0x7f800001
	s_mov_b32 s19, exec_lo
	s_delay_alu instid0(VALU_DEP_2)
	v_cmpx_ne_u32_e32 0x7f, v2
	s_cbranch_execz .LBB468_2018
; %bb.2015:                             ;   in Loop: Header=BB468_8 Depth=1
	v_and_b32_e32 v18, 7, v0
	v_mov_b32_e32 v31, v19
	v_lshrrev_b32_e32 v1, 3, v2
	s_mov_b32 s21, exec_lo
	s_delay_alu instid0(VALU_DEP_3)
	v_mov_b32_e32 v30, v18
	v_cmpx_gt_u32_e32 8, v2
; %bb.2016:                             ;   in Loop: Header=BB468_8 Depth=1
	v_clz_i32_u32_e32 v1, v18
	s_delay_alu instid0(VALU_DEP_1) | instskip(NEXT) | instid1(VALU_DEP_1)
	v_min_u32_e32 v1, 32, v1
	v_subrev_nc_u32_e32 v2, 28, v1
	v_sub_nc_u32_e32 v1, 29, v1
	s_delay_alu instid0(VALU_DEP_2) | instskip(NEXT) | instid1(VALU_DEP_1)
	v_lshlrev_b64 v[2:3], v2, v[18:19]
	v_and_b32_e32 v30, 7, v2
; %bb.2017:                             ;   in Loop: Header=BB468_8 Depth=1
	s_or_b32 exec_lo, exec_lo, s21
	v_lshlrev_b32_e32 v0, 24, v0
	s_delay_alu instid0(VALU_DEP_2) | instskip(SKIP_1) | instid1(VALU_DEP_3)
	v_lshlrev_b32_e32 v2, 20, v30
	v_lshl_add_u32 v1, v1, 23, 0x3c000000
	v_and_b32_e32 v0, 0x80000000, v0
	s_delay_alu instid0(VALU_DEP_1)
	v_or3_b32 v1, v2, v0, v1
.LBB468_2018:                           ;   in Loop: Header=BB468_8 Depth=1
	s_or_b32 exec_lo, exec_lo, s19
.LBB468_2019:                           ;   in Loop: Header=BB468_8 Depth=1
	s_delay_alu instid0(SALU_CYCLE_1)
	s_or_b32 exec_lo, exec_lo, s17
.LBB468_2020:                           ;   in Loop: Header=BB468_8 Depth=1
	s_delay_alu instid0(SALU_CYCLE_1) | instskip(NEXT) | instid1(VALU_DEP_1)
	s_or_b32 exec_lo, exec_lo, s3
	v_mul_f32_e32 v0, v79, v1
                                        ; implicit-def: $vgpr74
	s_delay_alu instid0(VALU_DEP_1) | instskip(NEXT) | instid1(VALU_DEP_1)
	v_and_b32_e32 v1, 0x7f800000, v0
	v_cmp_ne_u32_e64 s2, 0x7f800000, v1
	s_delay_alu instid0(VALU_DEP_1) | instskip(NEXT) | instid1(SALU_CYCLE_1)
	s_and_saveexec_b32 s3, s2
	s_xor_b32 s2, exec_lo, s3
; %bb.2021:                             ;   in Loop: Header=BB468_8 Depth=1
	v_bfe_u32 v1, v0, 16, 1
	s_delay_alu instid0(VALU_DEP_1)
	v_add3_u32 v74, v0, v1, 0x7fff
                                        ; implicit-def: $vgpr0
; %bb.2022:                             ;   in Loop: Header=BB468_8 Depth=1
	s_and_not1_saveexec_b32 s3, s2
; %bb.2023:                             ;   in Loop: Header=BB468_8 Depth=1
	v_and_b32_e32 v1, 0xffff, v0
	v_or_b32_e32 v2, 0x10000, v0
	s_delay_alu instid0(VALU_DEP_2) | instskip(NEXT) | instid1(VALU_DEP_1)
	v_cmp_eq_u32_e64 s2, 0, v1
	v_cndmask_b32_e64 v74, v2, v0, s2
; %bb.2024:                             ;   in Loop: Header=BB468_8 Depth=1
	s_or_b32 exec_lo, exec_lo, s3
	flat_load_b64 v[30:31], v[28:29] offset:1032
	s_mov_b32 s3, exec_lo
	s_waitcnt vmcnt(0) lgkmcnt(0)
	v_dual_mov_b32 v0, 0 :: v_dual_and_b32 v1, 0xff, v30
	s_delay_alu instid0(VALU_DEP_1)
	v_cmpx_ne_u16_e32 0, v1
	s_cbranch_execz .LBB468_2032
; %bb.2025:                             ;   in Loop: Header=BB468_8 Depth=1
	v_bfrev_b32_e32 v0, 1
	s_mov_b32 s17, exec_lo
	v_cmpx_ne_u16_e32 0x80, v1
	s_cbranch_execz .LBB468_2031
; %bb.2026:                             ;   in Loop: Header=BB468_8 Depth=1
	v_and_b32_e32 v1, 0x7f, v30
	v_mov_b32_e32 v0, 0x7f800001
	s_mov_b32 s19, exec_lo
	s_delay_alu instid0(VALU_DEP_2)
	v_cmpx_ne_u32_e32 0x7f, v1
	s_cbranch_execz .LBB468_2030
; %bb.2027:                             ;   in Loop: Header=BB468_8 Depth=1
	v_lshrrev_b32_e32 v0, 3, v1
	v_dual_mov_b32 v33, v31 :: v_dual_mov_b32 v32, v30
	s_mov_b32 s21, exec_lo
	v_cmpx_gt_u32_e32 8, v1
; %bb.2028:                             ;   in Loop: Header=BB468_8 Depth=1
	v_and_b32_e32 v0, 7, v30
	s_delay_alu instid0(VALU_DEP_1) | instskip(NEXT) | instid1(VALU_DEP_1)
	v_clz_i32_u32_e32 v0, v0
	v_min_u32_e32 v0, 32, v0
	s_delay_alu instid0(VALU_DEP_1) | instskip(SKIP_1) | instid1(VALU_DEP_2)
	v_subrev_nc_u32_e32 v1, 28, v0
	v_sub_nc_u32_e32 v0, 29, v0
	v_lshlrev_b64 v[32:33], v1, v[30:31]
; %bb.2029:                             ;   in Loop: Header=BB468_8 Depth=1
	s_or_b32 exec_lo, exec_lo, s21
	s_delay_alu instid0(VALU_DEP_1) | instskip(SKIP_2) | instid1(VALU_DEP_3)
	v_lshlrev_b32_e32 v1, 20, v32
	v_lshlrev_b32_e32 v2, 24, v30
	v_lshl_add_u32 v0, v0, 23, 0x3c000000
	v_and_b32_e32 v1, 0x700000, v1
	s_delay_alu instid0(VALU_DEP_3) | instskip(NEXT) | instid1(VALU_DEP_1)
	v_and_b32_e32 v2, 0x80000000, v2
	v_or3_b32 v0, v1, v2, v0
.LBB468_2030:                           ;   in Loop: Header=BB468_8 Depth=1
	s_or_b32 exec_lo, exec_lo, s19
.LBB468_2031:                           ;   in Loop: Header=BB468_8 Depth=1
	s_delay_alu instid0(SALU_CYCLE_1)
	s_or_b32 exec_lo, exec_lo, s17
.LBB468_2032:                           ;   in Loop: Header=BB468_8 Depth=1
	s_delay_alu instid0(SALU_CYCLE_1) | instskip(NEXT) | instid1(VALU_DEP_1)
	s_or_b32 exec_lo, exec_lo, s3
	v_mul_f32_e32 v0, v79, v0
                                        ; implicit-def: $vgpr8
	s_delay_alu instid0(VALU_DEP_1) | instskip(NEXT) | instid1(VALU_DEP_1)
	v_and_b32_e32 v1, 0x7f800000, v0
	v_cmp_ne_u32_e64 s2, 0x7f800000, v1
	s_delay_alu instid0(VALU_DEP_1) | instskip(NEXT) | instid1(SALU_CYCLE_1)
	s_and_saveexec_b32 s3, s2
	s_xor_b32 s2, exec_lo, s3
; %bb.2033:                             ;   in Loop: Header=BB468_8 Depth=1
	v_bfe_u32 v1, v0, 16, 1
	s_delay_alu instid0(VALU_DEP_1)
	v_add3_u32 v8, v0, v1, 0x7fff
                                        ; implicit-def: $vgpr0
; %bb.2034:                             ;   in Loop: Header=BB468_8 Depth=1
	s_and_not1_saveexec_b32 s3, s2
; %bb.2035:                             ;   in Loop: Header=BB468_8 Depth=1
	v_and_b32_e32 v1, 0xffff, v0
	v_or_b32_e32 v2, 0x10000, v0
	s_delay_alu instid0(VALU_DEP_2) | instskip(NEXT) | instid1(VALU_DEP_1)
	v_cmp_eq_u32_e64 s2, 0, v1
	v_cndmask_b32_e64 v8, v2, v0, s2
; %bb.2036:                             ;   in Loop: Header=BB468_8 Depth=1
	s_or_b32 exec_lo, exec_lo, s3
	v_lshrrev_b16 v1, 8, v30
	v_mov_b32_e32 v0, 0
	s_mov_b32 s3, exec_lo
	s_delay_alu instid0(VALU_DEP_2)
	v_cmpx_ne_u16_e32 0, v1
	s_cbranch_execz .LBB468_2044
; %bb.2037:                             ;   in Loop: Header=BB468_8 Depth=1
	v_bfrev_b32_e32 v0, 1
	s_mov_b32 s17, exec_lo
	v_cmpx_ne_u16_e32 0x80, v1
	s_cbranch_execz .LBB468_2043
; %bb.2038:                             ;   in Loop: Header=BB468_8 Depth=1
	v_and_b32_e32 v2, 0xffff, v1
	v_mov_b32_e32 v0, 0x7f800001
	s_mov_b32 s19, exec_lo
	s_delay_alu instid0(VALU_DEP_2) | instskip(NEXT) | instid1(VALU_DEP_1)
	v_and_b32_e32 v1, 0x7f, v2
	v_cmpx_ne_u32_e32 0x7f, v1
	s_cbranch_execz .LBB468_2042
; %bb.2039:                             ;   in Loop: Header=BB468_8 Depth=1
	v_and_b32_e32 v18, 7, v2
	v_mov_b32_e32 v33, v19
	v_lshrrev_b32_e32 v0, 3, v1
	s_mov_b32 s21, exec_lo
	s_delay_alu instid0(VALU_DEP_3)
	v_mov_b32_e32 v32, v18
	v_cmpx_gt_u32_e32 8, v1
; %bb.2040:                             ;   in Loop: Header=BB468_8 Depth=1
	v_clz_i32_u32_e32 v0, v18
	s_delay_alu instid0(VALU_DEP_1) | instskip(NEXT) | instid1(VALU_DEP_1)
	v_min_u32_e32 v0, 32, v0
	v_subrev_nc_u32_e32 v1, 28, v0
	v_sub_nc_u32_e32 v0, 29, v0
	s_delay_alu instid0(VALU_DEP_2) | instskip(NEXT) | instid1(VALU_DEP_1)
	v_lshlrev_b64 v[1:2], v1, v[18:19]
	v_and_b32_e32 v32, 7, v1
; %bb.2041:                             ;   in Loop: Header=BB468_8 Depth=1
	s_or_b32 exec_lo, exec_lo, s21
	v_lshlrev_b32_e32 v1, 16, v30
	s_delay_alu instid0(VALU_DEP_2) | instskip(SKIP_1) | instid1(VALU_DEP_3)
	v_lshlrev_b32_e32 v2, 20, v32
	v_lshl_add_u32 v0, v0, 23, 0x3c000000
	v_and_b32_e32 v1, 0x80000000, v1
	s_delay_alu instid0(VALU_DEP_1)
	v_or3_b32 v0, v2, v1, v0
.LBB468_2042:                           ;   in Loop: Header=BB468_8 Depth=1
	s_or_b32 exec_lo, exec_lo, s19
.LBB468_2043:                           ;   in Loop: Header=BB468_8 Depth=1
	s_delay_alu instid0(SALU_CYCLE_1)
	s_or_b32 exec_lo, exec_lo, s17
.LBB468_2044:                           ;   in Loop: Header=BB468_8 Depth=1
	s_delay_alu instid0(SALU_CYCLE_1) | instskip(NEXT) | instid1(VALU_DEP_1)
	s_or_b32 exec_lo, exec_lo, s3
	v_mul_f32_e32 v0, v79, v0
                                        ; implicit-def: $vgpr9
	s_delay_alu instid0(VALU_DEP_1) | instskip(NEXT) | instid1(VALU_DEP_1)
	v_and_b32_e32 v1, 0x7f800000, v0
	v_cmp_ne_u32_e64 s2, 0x7f800000, v1
	s_delay_alu instid0(VALU_DEP_1) | instskip(NEXT) | instid1(SALU_CYCLE_1)
	s_and_saveexec_b32 s3, s2
	s_xor_b32 s2, exec_lo, s3
; %bb.2045:                             ;   in Loop: Header=BB468_8 Depth=1
	v_bfe_u32 v1, v0, 16, 1
	s_delay_alu instid0(VALU_DEP_1)
	v_add3_u32 v9, v0, v1, 0x7fff
                                        ; implicit-def: $vgpr0
; %bb.2046:                             ;   in Loop: Header=BB468_8 Depth=1
	s_and_not1_saveexec_b32 s3, s2
; %bb.2047:                             ;   in Loop: Header=BB468_8 Depth=1
	v_and_b32_e32 v1, 0xffff, v0
	v_or_b32_e32 v2, 0x10000, v0
	s_delay_alu instid0(VALU_DEP_2) | instskip(NEXT) | instid1(VALU_DEP_1)
	v_cmp_eq_u32_e64 s2, 0, v1
	v_cndmask_b32_e64 v9, v2, v0, s2
; %bb.2048:                             ;   in Loop: Header=BB468_8 Depth=1
	s_or_b32 exec_lo, exec_lo, s3
	v_lshrrev_b32_e32 v0, 16, v30
	s_mov_b32 s3, exec_lo
	s_delay_alu instid0(VALU_DEP_1) | instskip(NEXT) | instid1(VALU_DEP_1)
	v_dual_mov_b32 v1, 0 :: v_dual_and_b32 v2, 0xff, v0
	v_cmpx_ne_u16_e32 0, v2
	s_cbranch_execz .LBB468_2056
; %bb.2049:                             ;   in Loop: Header=BB468_8 Depth=1
	v_bfrev_b32_e32 v1, 1
	s_mov_b32 s17, exec_lo
	v_cmpx_ne_u16_e32 0x80, v2
	s_cbranch_execz .LBB468_2055
; %bb.2050:                             ;   in Loop: Header=BB468_8 Depth=1
	v_bfe_u32 v2, v30, 16, 7
	v_mov_b32_e32 v1, 0x7f800001
	s_mov_b32 s19, exec_lo
	s_delay_alu instid0(VALU_DEP_2)
	v_cmpx_ne_u32_e32 0x7f, v2
	s_cbranch_execz .LBB468_2054
; %bb.2051:                             ;   in Loop: Header=BB468_8 Depth=1
	v_and_b32_e32 v18, 7, v0
	v_mov_b32_e32 v33, v19
	v_lshrrev_b32_e32 v1, 3, v2
	s_mov_b32 s21, exec_lo
	s_delay_alu instid0(VALU_DEP_3)
	v_mov_b32_e32 v32, v18
	v_cmpx_gt_u32_e32 8, v2
; %bb.2052:                             ;   in Loop: Header=BB468_8 Depth=1
	v_clz_i32_u32_e32 v1, v18
	s_delay_alu instid0(VALU_DEP_1) | instskip(NEXT) | instid1(VALU_DEP_1)
	v_min_u32_e32 v1, 32, v1
	v_subrev_nc_u32_e32 v2, 28, v1
	v_sub_nc_u32_e32 v1, 29, v1
	s_delay_alu instid0(VALU_DEP_2) | instskip(NEXT) | instid1(VALU_DEP_1)
	v_lshlrev_b64 v[2:3], v2, v[18:19]
	v_and_b32_e32 v32, 7, v2
; %bb.2053:                             ;   in Loop: Header=BB468_8 Depth=1
	s_or_b32 exec_lo, exec_lo, s21
	v_lshlrev_b32_e32 v0, 24, v0
	s_delay_alu instid0(VALU_DEP_2) | instskip(SKIP_1) | instid1(VALU_DEP_3)
	v_lshlrev_b32_e32 v2, 20, v32
	v_lshl_add_u32 v1, v1, 23, 0x3c000000
	v_and_b32_e32 v0, 0x80000000, v0
	s_delay_alu instid0(VALU_DEP_1)
	v_or3_b32 v1, v2, v0, v1
.LBB468_2054:                           ;   in Loop: Header=BB468_8 Depth=1
	s_or_b32 exec_lo, exec_lo, s19
.LBB468_2055:                           ;   in Loop: Header=BB468_8 Depth=1
	s_delay_alu instid0(SALU_CYCLE_1)
	s_or_b32 exec_lo, exec_lo, s17
.LBB468_2056:                           ;   in Loop: Header=BB468_8 Depth=1
	s_delay_alu instid0(SALU_CYCLE_1) | instskip(NEXT) | instid1(VALU_DEP_1)
	s_or_b32 exec_lo, exec_lo, s3
	v_mul_f32_e32 v0, v79, v1
                                        ; implicit-def: $vgpr39
	s_delay_alu instid0(VALU_DEP_1) | instskip(NEXT) | instid1(VALU_DEP_1)
	v_and_b32_e32 v1, 0x7f800000, v0
	v_cmp_ne_u32_e64 s2, 0x7f800000, v1
	s_delay_alu instid0(VALU_DEP_1) | instskip(NEXT) | instid1(SALU_CYCLE_1)
	s_and_saveexec_b32 s3, s2
	s_xor_b32 s2, exec_lo, s3
; %bb.2057:                             ;   in Loop: Header=BB468_8 Depth=1
	v_bfe_u32 v1, v0, 16, 1
	s_delay_alu instid0(VALU_DEP_1)
	v_add3_u32 v39, v0, v1, 0x7fff
                                        ; implicit-def: $vgpr0
; %bb.2058:                             ;   in Loop: Header=BB468_8 Depth=1
	s_and_not1_saveexec_b32 s3, s2
; %bb.2059:                             ;   in Loop: Header=BB468_8 Depth=1
	v_and_b32_e32 v1, 0xffff, v0
	v_or_b32_e32 v2, 0x10000, v0
	s_delay_alu instid0(VALU_DEP_2) | instskip(NEXT) | instid1(VALU_DEP_1)
	v_cmp_eq_u32_e64 s2, 0, v1
	v_cndmask_b32_e64 v39, v2, v0, s2
; %bb.2060:                             ;   in Loop: Header=BB468_8 Depth=1
	s_or_b32 exec_lo, exec_lo, s3
	v_mov_b32_e32 v1, 0
	s_mov_b32 s3, exec_lo
	v_cmpx_lt_u32_e32 0xffffff, v30
	s_cbranch_execz .LBB468_2068
; %bb.2061:                             ;   in Loop: Header=BB468_8 Depth=1
	v_lshrrev_b32_e32 v0, 24, v30
	v_bfrev_b32_e32 v1, 1
	s_mov_b32 s17, exec_lo
	s_delay_alu instid0(VALU_DEP_2)
	v_cmpx_ne_u32_e32 0x80, v0
	s_cbranch_execz .LBB468_2067
; %bb.2062:                             ;   in Loop: Header=BB468_8 Depth=1
	v_bfe_u32 v2, v30, 24, 7
	v_mov_b32_e32 v1, 0x7f800001
	s_mov_b32 s19, exec_lo
	s_delay_alu instid0(VALU_DEP_2)
	v_cmpx_ne_u32_e32 0x7f, v2
	s_cbranch_execz .LBB468_2066
; %bb.2063:                             ;   in Loop: Header=BB468_8 Depth=1
	v_and_b32_e32 v18, 7, v0
	v_mov_b32_e32 v33, v19
	v_lshrrev_b32_e32 v1, 3, v2
	s_mov_b32 s21, exec_lo
	s_delay_alu instid0(VALU_DEP_3)
	v_mov_b32_e32 v32, v18
	v_cmpx_gt_u32_e32 8, v2
; %bb.2064:                             ;   in Loop: Header=BB468_8 Depth=1
	v_clz_i32_u32_e32 v1, v18
	s_delay_alu instid0(VALU_DEP_1) | instskip(NEXT) | instid1(VALU_DEP_1)
	v_min_u32_e32 v1, 32, v1
	v_subrev_nc_u32_e32 v2, 28, v1
	v_sub_nc_u32_e32 v1, 29, v1
	s_delay_alu instid0(VALU_DEP_2) | instskip(NEXT) | instid1(VALU_DEP_1)
	v_lshlrev_b64 v[2:3], v2, v[18:19]
	v_and_b32_e32 v32, 7, v2
; %bb.2065:                             ;   in Loop: Header=BB468_8 Depth=1
	s_or_b32 exec_lo, exec_lo, s21
	v_lshlrev_b32_e32 v0, 24, v0
	s_delay_alu instid0(VALU_DEP_2) | instskip(SKIP_1) | instid1(VALU_DEP_3)
	v_lshlrev_b32_e32 v2, 20, v32
	v_lshl_add_u32 v1, v1, 23, 0x3c000000
	v_and_b32_e32 v0, 0x80000000, v0
	s_delay_alu instid0(VALU_DEP_1)
	v_or3_b32 v1, v2, v0, v1
.LBB468_2066:                           ;   in Loop: Header=BB468_8 Depth=1
	s_or_b32 exec_lo, exec_lo, s19
.LBB468_2067:                           ;   in Loop: Header=BB468_8 Depth=1
	s_delay_alu instid0(SALU_CYCLE_1)
	s_or_b32 exec_lo, exec_lo, s17
.LBB468_2068:                           ;   in Loop: Header=BB468_8 Depth=1
	s_delay_alu instid0(SALU_CYCLE_1) | instskip(NEXT) | instid1(VALU_DEP_1)
	s_or_b32 exec_lo, exec_lo, s3
	v_mul_f32_e32 v0, v79, v1
                                        ; implicit-def: $vgpr77
	s_delay_alu instid0(VALU_DEP_1) | instskip(NEXT) | instid1(VALU_DEP_1)
	v_and_b32_e32 v1, 0x7f800000, v0
	v_cmp_ne_u32_e64 s2, 0x7f800000, v1
	s_delay_alu instid0(VALU_DEP_1) | instskip(NEXT) | instid1(SALU_CYCLE_1)
	s_and_saveexec_b32 s3, s2
	s_xor_b32 s2, exec_lo, s3
; %bb.2069:                             ;   in Loop: Header=BB468_8 Depth=1
	v_bfe_u32 v1, v0, 16, 1
	s_delay_alu instid0(VALU_DEP_1)
	v_add3_u32 v77, v0, v1, 0x7fff
                                        ; implicit-def: $vgpr0
; %bb.2070:                             ;   in Loop: Header=BB468_8 Depth=1
	s_and_not1_saveexec_b32 s3, s2
; %bb.2071:                             ;   in Loop: Header=BB468_8 Depth=1
	v_and_b32_e32 v1, 0xffff, v0
	v_or_b32_e32 v2, 0x10000, v0
	s_delay_alu instid0(VALU_DEP_2) | instskip(NEXT) | instid1(VALU_DEP_1)
	v_cmp_eq_u32_e64 s2, 0, v1
	v_cndmask_b32_e64 v77, v2, v0, s2
; %bb.2072:                             ;   in Loop: Header=BB468_8 Depth=1
	s_or_b32 exec_lo, exec_lo, s3
	v_dual_mov_b32 v18, v31 :: v_dual_and_b32 v1, 0xff, v31
	v_mov_b32_e32 v0, 0
	s_mov_b32 s3, exec_lo
	s_delay_alu instid0(VALU_DEP_2)
	v_cmpx_ne_u16_e32 0, v1
	s_cbranch_execz .LBB468_2080
; %bb.2073:                             ;   in Loop: Header=BB468_8 Depth=1
	v_bfrev_b32_e32 v0, 1
	s_mov_b32 s17, exec_lo
	v_cmpx_ne_u16_e32 0x80, v1
	s_cbranch_execz .LBB468_2079
; %bb.2074:                             ;   in Loop: Header=BB468_8 Depth=1
	v_and_b32_e32 v1, 0x7f, v31
	v_mov_b32_e32 v0, 0x7f800001
	s_mov_b32 s19, exec_lo
	s_delay_alu instid0(VALU_DEP_2)
	v_cmpx_ne_u32_e32 0x7f, v1
	s_cbranch_execz .LBB468_2078
; %bb.2075:                             ;   in Loop: Header=BB468_8 Depth=1
	v_dual_mov_b32 v33, v19 :: v_dual_mov_b32 v32, v18
	v_lshrrev_b32_e32 v0, 3, v1
	s_mov_b32 s21, exec_lo
	v_cmpx_gt_u32_e32 8, v1
; %bb.2076:                             ;   in Loop: Header=BB468_8 Depth=1
	v_and_b32_e32 v0, 7, v31
	s_delay_alu instid0(VALU_DEP_1) | instskip(NEXT) | instid1(VALU_DEP_1)
	v_clz_i32_u32_e32 v0, v0
	v_min_u32_e32 v0, 32, v0
	s_delay_alu instid0(VALU_DEP_1) | instskip(SKIP_1) | instid1(VALU_DEP_2)
	v_subrev_nc_u32_e32 v1, 28, v0
	v_sub_nc_u32_e32 v0, 29, v0
	v_lshlrev_b64 v[32:33], v1, v[18:19]
; %bb.2077:                             ;   in Loop: Header=BB468_8 Depth=1
	s_or_b32 exec_lo, exec_lo, s21
	s_delay_alu instid0(VALU_DEP_1) | instskip(SKIP_2) | instid1(VALU_DEP_3)
	v_lshlrev_b32_e32 v1, 20, v32
	v_lshlrev_b32_e32 v2, 24, v18
	v_lshl_add_u32 v0, v0, 23, 0x3c000000
	v_and_b32_e32 v1, 0x700000, v1
	s_delay_alu instid0(VALU_DEP_3) | instskip(NEXT) | instid1(VALU_DEP_1)
	v_and_b32_e32 v2, 0x80000000, v2
	v_or3_b32 v0, v1, v2, v0
.LBB468_2078:                           ;   in Loop: Header=BB468_8 Depth=1
	s_or_b32 exec_lo, exec_lo, s19
.LBB468_2079:                           ;   in Loop: Header=BB468_8 Depth=1
	s_delay_alu instid0(SALU_CYCLE_1)
	s_or_b32 exec_lo, exec_lo, s17
.LBB468_2080:                           ;   in Loop: Header=BB468_8 Depth=1
	s_delay_alu instid0(SALU_CYCLE_1) | instskip(NEXT) | instid1(VALU_DEP_1)
	s_or_b32 exec_lo, exec_lo, s3
	v_mul_f32_e32 v0, v79, v0
                                        ; implicit-def: $vgpr13
	s_delay_alu instid0(VALU_DEP_1) | instskip(NEXT) | instid1(VALU_DEP_1)
	v_and_b32_e32 v1, 0x7f800000, v0
	v_cmp_ne_u32_e64 s2, 0x7f800000, v1
	s_delay_alu instid0(VALU_DEP_1) | instskip(NEXT) | instid1(SALU_CYCLE_1)
	s_and_saveexec_b32 s3, s2
	s_xor_b32 s2, exec_lo, s3
; %bb.2081:                             ;   in Loop: Header=BB468_8 Depth=1
	v_bfe_u32 v1, v0, 16, 1
	s_delay_alu instid0(VALU_DEP_1)
	v_add3_u32 v13, v0, v1, 0x7fff
                                        ; implicit-def: $vgpr0
; %bb.2082:                             ;   in Loop: Header=BB468_8 Depth=1
	s_and_not1_saveexec_b32 s3, s2
; %bb.2083:                             ;   in Loop: Header=BB468_8 Depth=1
	v_and_b32_e32 v1, 0xffff, v0
	v_or_b32_e32 v2, 0x10000, v0
	s_delay_alu instid0(VALU_DEP_2) | instskip(NEXT) | instid1(VALU_DEP_1)
	v_cmp_eq_u32_e64 s2, 0, v1
	v_cndmask_b32_e64 v13, v2, v0, s2
; %bb.2084:                             ;   in Loop: Header=BB468_8 Depth=1
	s_or_b32 exec_lo, exec_lo, s3
	v_lshrrev_b16 v1, 8, v18
	v_mov_b32_e32 v0, 0
	s_mov_b32 s3, exec_lo
	s_delay_alu instid0(VALU_DEP_2)
	v_cmpx_ne_u16_e32 0, v1
	s_cbranch_execz .LBB468_2092
; %bb.2085:                             ;   in Loop: Header=BB468_8 Depth=1
	v_bfrev_b32_e32 v0, 1
	s_mov_b32 s17, exec_lo
	v_cmpx_ne_u16_e32 0x80, v1
	s_cbranch_execz .LBB468_2091
; %bb.2086:                             ;   in Loop: Header=BB468_8 Depth=1
	v_and_b32_e32 v2, 0xffff, v1
	v_mov_b32_e32 v0, 0x7f800001
	s_mov_b32 s19, exec_lo
	s_delay_alu instid0(VALU_DEP_2) | instskip(NEXT) | instid1(VALU_DEP_1)
	v_and_b32_e32 v1, 0x7f, v2
	v_cmpx_ne_u32_e32 0x7f, v1
	s_cbranch_execz .LBB468_2090
; %bb.2087:                             ;   in Loop: Header=BB468_8 Depth=1
	v_dual_mov_b32 v33, v19 :: v_dual_and_b32 v32, 7, v2
	v_lshrrev_b32_e32 v0, 3, v1
	s_mov_b32 s21, exec_lo
	v_cmpx_gt_u32_e32 8, v1
; %bb.2088:                             ;   in Loop: Header=BB468_8 Depth=1
	s_delay_alu instid0(VALU_DEP_3) | instskip(NEXT) | instid1(VALU_DEP_1)
	v_clz_i32_u32_e32 v0, v32
	v_min_u32_e32 v0, 32, v0
	s_delay_alu instid0(VALU_DEP_1) | instskip(SKIP_1) | instid1(VALU_DEP_2)
	v_subrev_nc_u32_e32 v1, 28, v0
	v_sub_nc_u32_e32 v0, 29, v0
	v_lshlrev_b64 v[1:2], v1, v[32:33]
	s_delay_alu instid0(VALU_DEP_1)
	v_and_b32_e32 v32, 7, v1
; %bb.2089:                             ;   in Loop: Header=BB468_8 Depth=1
	s_or_b32 exec_lo, exec_lo, s21
	v_lshlrev_b32_e32 v1, 16, v18
	s_delay_alu instid0(VALU_DEP_2) | instskip(SKIP_1) | instid1(VALU_DEP_3)
	v_lshlrev_b32_e32 v2, 20, v32
	v_lshl_add_u32 v0, v0, 23, 0x3c000000
	v_and_b32_e32 v1, 0x80000000, v1
	s_delay_alu instid0(VALU_DEP_1)
	v_or3_b32 v0, v2, v1, v0
.LBB468_2090:                           ;   in Loop: Header=BB468_8 Depth=1
	s_or_b32 exec_lo, exec_lo, s19
.LBB468_2091:                           ;   in Loop: Header=BB468_8 Depth=1
	s_delay_alu instid0(SALU_CYCLE_1)
	s_or_b32 exec_lo, exec_lo, s17
.LBB468_2092:                           ;   in Loop: Header=BB468_8 Depth=1
	s_delay_alu instid0(SALU_CYCLE_1) | instskip(NEXT) | instid1(VALU_DEP_1)
	s_or_b32 exec_lo, exec_lo, s3
	v_mul_f32_e32 v0, v79, v0
                                        ; implicit-def: $vgpr25
	s_delay_alu instid0(VALU_DEP_1) | instskip(NEXT) | instid1(VALU_DEP_1)
	v_and_b32_e32 v1, 0x7f800000, v0
	v_cmp_ne_u32_e64 s2, 0x7f800000, v1
	s_delay_alu instid0(VALU_DEP_1) | instskip(NEXT) | instid1(SALU_CYCLE_1)
	s_and_saveexec_b32 s3, s2
	s_xor_b32 s2, exec_lo, s3
; %bb.2093:                             ;   in Loop: Header=BB468_8 Depth=1
	v_bfe_u32 v1, v0, 16, 1
	s_delay_alu instid0(VALU_DEP_1)
	v_add3_u32 v25, v0, v1, 0x7fff
                                        ; implicit-def: $vgpr0
; %bb.2094:                             ;   in Loop: Header=BB468_8 Depth=1
	s_and_not1_saveexec_b32 s3, s2
; %bb.2095:                             ;   in Loop: Header=BB468_8 Depth=1
	v_and_b32_e32 v1, 0xffff, v0
	v_or_b32_e32 v2, 0x10000, v0
	s_delay_alu instid0(VALU_DEP_2) | instskip(NEXT) | instid1(VALU_DEP_1)
	v_cmp_eq_u32_e64 s2, 0, v1
	v_cndmask_b32_e64 v25, v2, v0, s2
; %bb.2096:                             ;   in Loop: Header=BB468_8 Depth=1
	s_or_b32 exec_lo, exec_lo, s3
	v_lshrrev_b32_e32 v0, 16, v31
	s_mov_b32 s3, exec_lo
	s_delay_alu instid0(VALU_DEP_1) | instskip(NEXT) | instid1(VALU_DEP_1)
	v_dual_mov_b32 v1, 0 :: v_dual_and_b32 v2, 0xff, v0
	v_cmpx_ne_u16_e32 0, v2
	s_cbranch_execz .LBB468_2104
; %bb.2097:                             ;   in Loop: Header=BB468_8 Depth=1
	v_bfrev_b32_e32 v1, 1
	s_mov_b32 s17, exec_lo
	v_cmpx_ne_u16_e32 0x80, v2
	s_cbranch_execz .LBB468_2103
; %bb.2098:                             ;   in Loop: Header=BB468_8 Depth=1
	v_bfe_u32 v2, v31, 16, 7
	v_mov_b32_e32 v1, 0x7f800001
	s_mov_b32 s19, exec_lo
	s_delay_alu instid0(VALU_DEP_2)
	v_cmpx_ne_u32_e32 0x7f, v2
	s_cbranch_execz .LBB468_2102
; %bb.2099:                             ;   in Loop: Header=BB468_8 Depth=1
	v_and_b32_e32 v18, 7, v0
	v_mov_b32_e32 v33, v19
	v_lshrrev_b32_e32 v1, 3, v2
	s_mov_b32 s21, exec_lo
	s_delay_alu instid0(VALU_DEP_3)
	v_mov_b32_e32 v32, v18
	v_cmpx_gt_u32_e32 8, v2
; %bb.2100:                             ;   in Loop: Header=BB468_8 Depth=1
	v_clz_i32_u32_e32 v1, v18
	s_delay_alu instid0(VALU_DEP_1) | instskip(NEXT) | instid1(VALU_DEP_1)
	v_min_u32_e32 v1, 32, v1
	v_subrev_nc_u32_e32 v2, 28, v1
	v_sub_nc_u32_e32 v1, 29, v1
	s_delay_alu instid0(VALU_DEP_2) | instskip(NEXT) | instid1(VALU_DEP_1)
	v_lshlrev_b64 v[2:3], v2, v[18:19]
	v_and_b32_e32 v32, 7, v2
; %bb.2101:                             ;   in Loop: Header=BB468_8 Depth=1
	s_or_b32 exec_lo, exec_lo, s21
	v_lshlrev_b32_e32 v0, 24, v0
	s_delay_alu instid0(VALU_DEP_2) | instskip(SKIP_1) | instid1(VALU_DEP_3)
	v_lshlrev_b32_e32 v2, 20, v32
	v_lshl_add_u32 v1, v1, 23, 0x3c000000
	v_and_b32_e32 v0, 0x80000000, v0
	s_delay_alu instid0(VALU_DEP_1)
	v_or3_b32 v1, v2, v0, v1
.LBB468_2102:                           ;   in Loop: Header=BB468_8 Depth=1
	s_or_b32 exec_lo, exec_lo, s19
.LBB468_2103:                           ;   in Loop: Header=BB468_8 Depth=1
	s_delay_alu instid0(SALU_CYCLE_1)
	s_or_b32 exec_lo, exec_lo, s17
.LBB468_2104:                           ;   in Loop: Header=BB468_8 Depth=1
	s_delay_alu instid0(SALU_CYCLE_1) | instskip(NEXT) | instid1(VALU_DEP_1)
	s_or_b32 exec_lo, exec_lo, s3
	v_mul_f32_e32 v0, v79, v1
                                        ; implicit-def: $vgpr24
	s_delay_alu instid0(VALU_DEP_1) | instskip(NEXT) | instid1(VALU_DEP_1)
	v_and_b32_e32 v1, 0x7f800000, v0
	v_cmp_ne_u32_e64 s2, 0x7f800000, v1
	s_delay_alu instid0(VALU_DEP_1) | instskip(NEXT) | instid1(SALU_CYCLE_1)
	s_and_saveexec_b32 s3, s2
	s_xor_b32 s2, exec_lo, s3
; %bb.2105:                             ;   in Loop: Header=BB468_8 Depth=1
	v_bfe_u32 v1, v0, 16, 1
	s_delay_alu instid0(VALU_DEP_1)
	v_add3_u32 v24, v0, v1, 0x7fff
                                        ; implicit-def: $vgpr0
; %bb.2106:                             ;   in Loop: Header=BB468_8 Depth=1
	s_and_not1_saveexec_b32 s3, s2
; %bb.2107:                             ;   in Loop: Header=BB468_8 Depth=1
	v_and_b32_e32 v1, 0xffff, v0
	v_or_b32_e32 v2, 0x10000, v0
	s_delay_alu instid0(VALU_DEP_2) | instskip(NEXT) | instid1(VALU_DEP_1)
	v_cmp_eq_u32_e64 s2, 0, v1
	v_cndmask_b32_e64 v24, v2, v0, s2
; %bb.2108:                             ;   in Loop: Header=BB468_8 Depth=1
	s_or_b32 exec_lo, exec_lo, s3
	v_mov_b32_e32 v1, 0
	s_mov_b32 s3, exec_lo
	v_cmpx_lt_u64_e64 s[4:5], v[30:31]
	s_cbranch_execz .LBB468_2116
; %bb.2109:                             ;   in Loop: Header=BB468_8 Depth=1
	v_lshrrev_b32_e32 v0, 24, v31
	v_bfrev_b32_e32 v1, 1
	s_mov_b32 s17, exec_lo
	s_delay_alu instid0(VALU_DEP_2)
	v_cmpx_ne_u32_e32 0x80, v0
	s_cbranch_execz .LBB468_2115
; %bb.2110:                             ;   in Loop: Header=BB468_8 Depth=1
	v_bfe_u32 v2, v31, 24, 7
	v_mov_b32_e32 v1, 0x7f800001
	s_mov_b32 s19, exec_lo
	s_delay_alu instid0(VALU_DEP_2)
	v_cmpx_ne_u32_e32 0x7f, v2
	s_cbranch_execz .LBB468_2114
; %bb.2111:                             ;   in Loop: Header=BB468_8 Depth=1
	v_and_b32_e32 v18, 7, v0
	v_mov_b32_e32 v31, v19
	v_lshrrev_b32_e32 v1, 3, v2
	s_mov_b32 s21, exec_lo
	s_delay_alu instid0(VALU_DEP_3)
	v_mov_b32_e32 v30, v18
	v_cmpx_gt_u32_e32 8, v2
; %bb.2112:                             ;   in Loop: Header=BB468_8 Depth=1
	v_clz_i32_u32_e32 v1, v18
	s_delay_alu instid0(VALU_DEP_1) | instskip(NEXT) | instid1(VALU_DEP_1)
	v_min_u32_e32 v1, 32, v1
	v_subrev_nc_u32_e32 v2, 28, v1
	v_sub_nc_u32_e32 v1, 29, v1
	s_delay_alu instid0(VALU_DEP_2) | instskip(NEXT) | instid1(VALU_DEP_1)
	v_lshlrev_b64 v[2:3], v2, v[18:19]
	v_and_b32_e32 v30, 7, v2
; %bb.2113:                             ;   in Loop: Header=BB468_8 Depth=1
	s_or_b32 exec_lo, exec_lo, s21
	v_lshlrev_b32_e32 v0, 24, v0
	s_delay_alu instid0(VALU_DEP_2) | instskip(SKIP_1) | instid1(VALU_DEP_3)
	v_lshlrev_b32_e32 v2, 20, v30
	v_lshl_add_u32 v1, v1, 23, 0x3c000000
	v_and_b32_e32 v0, 0x80000000, v0
	s_delay_alu instid0(VALU_DEP_1)
	v_or3_b32 v1, v2, v0, v1
.LBB468_2114:                           ;   in Loop: Header=BB468_8 Depth=1
	s_or_b32 exec_lo, exec_lo, s19
.LBB468_2115:                           ;   in Loop: Header=BB468_8 Depth=1
	s_delay_alu instid0(SALU_CYCLE_1)
	s_or_b32 exec_lo, exec_lo, s17
.LBB468_2116:                           ;   in Loop: Header=BB468_8 Depth=1
	s_delay_alu instid0(SALU_CYCLE_1) | instskip(NEXT) | instid1(VALU_DEP_1)
	s_or_b32 exec_lo, exec_lo, s3
	v_mul_f32_e32 v0, v79, v1
                                        ; implicit-def: $vgpr78
	s_delay_alu instid0(VALU_DEP_1) | instskip(NEXT) | instid1(VALU_DEP_1)
	v_and_b32_e32 v1, 0x7f800000, v0
	v_cmp_ne_u32_e64 s2, 0x7f800000, v1
	s_delay_alu instid0(VALU_DEP_1) | instskip(NEXT) | instid1(SALU_CYCLE_1)
	s_and_saveexec_b32 s3, s2
	s_xor_b32 s2, exec_lo, s3
; %bb.2117:                             ;   in Loop: Header=BB468_8 Depth=1
	v_bfe_u32 v1, v0, 16, 1
	s_delay_alu instid0(VALU_DEP_1)
	v_add3_u32 v78, v0, v1, 0x7fff
                                        ; implicit-def: $vgpr0
; %bb.2118:                             ;   in Loop: Header=BB468_8 Depth=1
	s_and_not1_saveexec_b32 s3, s2
; %bb.2119:                             ;   in Loop: Header=BB468_8 Depth=1
	v_and_b32_e32 v1, 0xffff, v0
	v_or_b32_e32 v2, 0x10000, v0
	s_delay_alu instid0(VALU_DEP_2) | instskip(NEXT) | instid1(VALU_DEP_1)
	v_cmp_eq_u32_e64 s2, 0, v1
	v_cndmask_b32_e64 v78, v2, v0, s2
; %bb.2120:                             ;   in Loop: Header=BB468_8 Depth=1
	s_or_b32 exec_lo, exec_lo, s3
	flat_load_b64 v[30:31], v[28:29] offset:1536
	s_mov_b32 s3, exec_lo
	s_waitcnt vmcnt(0) lgkmcnt(0)
	v_dual_mov_b32 v0, 0 :: v_dual_and_b32 v1, 0xff, v30
	s_delay_alu instid0(VALU_DEP_1)
	v_cmpx_ne_u16_e32 0, v1
	s_cbranch_execz .LBB468_2128
; %bb.2121:                             ;   in Loop: Header=BB468_8 Depth=1
	v_bfrev_b32_e32 v0, 1
	s_mov_b32 s17, exec_lo
	v_cmpx_ne_u16_e32 0x80, v1
	s_cbranch_execz .LBB468_2127
; %bb.2122:                             ;   in Loop: Header=BB468_8 Depth=1
	v_and_b32_e32 v1, 0x7f, v30
	v_mov_b32_e32 v0, 0x7f800001
	s_mov_b32 s19, exec_lo
	s_delay_alu instid0(VALU_DEP_2)
	v_cmpx_ne_u32_e32 0x7f, v1
	s_cbranch_execz .LBB468_2126
; %bb.2123:                             ;   in Loop: Header=BB468_8 Depth=1
	v_lshrrev_b32_e32 v0, 3, v1
	v_dual_mov_b32 v33, v31 :: v_dual_mov_b32 v32, v30
	s_mov_b32 s21, exec_lo
	v_cmpx_gt_u32_e32 8, v1
; %bb.2124:                             ;   in Loop: Header=BB468_8 Depth=1
	v_and_b32_e32 v0, 7, v30
	s_delay_alu instid0(VALU_DEP_1) | instskip(NEXT) | instid1(VALU_DEP_1)
	v_clz_i32_u32_e32 v0, v0
	v_min_u32_e32 v0, 32, v0
	s_delay_alu instid0(VALU_DEP_1) | instskip(SKIP_1) | instid1(VALU_DEP_2)
	v_subrev_nc_u32_e32 v1, 28, v0
	v_sub_nc_u32_e32 v0, 29, v0
	v_lshlrev_b64 v[32:33], v1, v[30:31]
; %bb.2125:                             ;   in Loop: Header=BB468_8 Depth=1
	s_or_b32 exec_lo, exec_lo, s21
	s_delay_alu instid0(VALU_DEP_1) | instskip(SKIP_2) | instid1(VALU_DEP_3)
	v_lshlrev_b32_e32 v1, 20, v32
	v_lshlrev_b32_e32 v2, 24, v30
	v_lshl_add_u32 v0, v0, 23, 0x3c000000
	v_and_b32_e32 v1, 0x700000, v1
	s_delay_alu instid0(VALU_DEP_3) | instskip(NEXT) | instid1(VALU_DEP_1)
	v_and_b32_e32 v2, 0x80000000, v2
	v_or3_b32 v0, v1, v2, v0
.LBB468_2126:                           ;   in Loop: Header=BB468_8 Depth=1
	s_or_b32 exec_lo, exec_lo, s19
.LBB468_2127:                           ;   in Loop: Header=BB468_8 Depth=1
	s_delay_alu instid0(SALU_CYCLE_1)
	s_or_b32 exec_lo, exec_lo, s17
.LBB468_2128:                           ;   in Loop: Header=BB468_8 Depth=1
	s_delay_alu instid0(SALU_CYCLE_1) | instskip(NEXT) | instid1(VALU_DEP_1)
	s_or_b32 exec_lo, exec_lo, s3
	v_mul_f32_e32 v0, v79, v0
                                        ; implicit-def: $vgpr88
	s_delay_alu instid0(VALU_DEP_1) | instskip(NEXT) | instid1(VALU_DEP_1)
	v_and_b32_e32 v1, 0x7f800000, v0
	v_cmp_ne_u32_e64 s2, 0x7f800000, v1
	s_delay_alu instid0(VALU_DEP_1) | instskip(NEXT) | instid1(SALU_CYCLE_1)
	s_and_saveexec_b32 s3, s2
	s_xor_b32 s2, exec_lo, s3
; %bb.2129:                             ;   in Loop: Header=BB468_8 Depth=1
	v_bfe_u32 v1, v0, 16, 1
	s_delay_alu instid0(VALU_DEP_1)
	v_add3_u32 v88, v0, v1, 0x7fff
                                        ; implicit-def: $vgpr0
; %bb.2130:                             ;   in Loop: Header=BB468_8 Depth=1
	s_and_not1_saveexec_b32 s3, s2
; %bb.2131:                             ;   in Loop: Header=BB468_8 Depth=1
	v_and_b32_e32 v1, 0xffff, v0
	v_or_b32_e32 v2, 0x10000, v0
	s_delay_alu instid0(VALU_DEP_2) | instskip(NEXT) | instid1(VALU_DEP_1)
	v_cmp_eq_u32_e64 s2, 0, v1
	v_cndmask_b32_e64 v88, v2, v0, s2
; %bb.2132:                             ;   in Loop: Header=BB468_8 Depth=1
	s_or_b32 exec_lo, exec_lo, s3
	v_lshrrev_b16 v1, 8, v30
	v_mov_b32_e32 v0, 0
	s_mov_b32 s3, exec_lo
	s_delay_alu instid0(VALU_DEP_2)
	v_cmpx_ne_u16_e32 0, v1
	s_cbranch_execz .LBB468_2140
; %bb.2133:                             ;   in Loop: Header=BB468_8 Depth=1
	v_bfrev_b32_e32 v0, 1
	s_mov_b32 s17, exec_lo
	v_cmpx_ne_u16_e32 0x80, v1
	s_cbranch_execz .LBB468_2139
; %bb.2134:                             ;   in Loop: Header=BB468_8 Depth=1
	v_and_b32_e32 v2, 0xffff, v1
	v_mov_b32_e32 v0, 0x7f800001
	s_mov_b32 s19, exec_lo
	s_delay_alu instid0(VALU_DEP_2) | instskip(NEXT) | instid1(VALU_DEP_1)
	v_and_b32_e32 v1, 0x7f, v2
	v_cmpx_ne_u32_e32 0x7f, v1
	s_cbranch_execz .LBB468_2138
; %bb.2135:                             ;   in Loop: Header=BB468_8 Depth=1
	v_and_b32_e32 v18, 7, v2
	v_mov_b32_e32 v33, v19
	v_lshrrev_b32_e32 v0, 3, v1
	s_mov_b32 s21, exec_lo
	s_delay_alu instid0(VALU_DEP_3)
	v_mov_b32_e32 v32, v18
	v_cmpx_gt_u32_e32 8, v1
; %bb.2136:                             ;   in Loop: Header=BB468_8 Depth=1
	v_clz_i32_u32_e32 v0, v18
	s_delay_alu instid0(VALU_DEP_1) | instskip(NEXT) | instid1(VALU_DEP_1)
	v_min_u32_e32 v0, 32, v0
	v_subrev_nc_u32_e32 v1, 28, v0
	v_sub_nc_u32_e32 v0, 29, v0
	s_delay_alu instid0(VALU_DEP_2) | instskip(NEXT) | instid1(VALU_DEP_1)
	v_lshlrev_b64 v[1:2], v1, v[18:19]
	v_and_b32_e32 v32, 7, v1
; %bb.2137:                             ;   in Loop: Header=BB468_8 Depth=1
	s_or_b32 exec_lo, exec_lo, s21
	v_lshlrev_b32_e32 v1, 16, v30
	s_delay_alu instid0(VALU_DEP_2) | instskip(SKIP_1) | instid1(VALU_DEP_3)
	v_lshlrev_b32_e32 v2, 20, v32
	v_lshl_add_u32 v0, v0, 23, 0x3c000000
	v_and_b32_e32 v1, 0x80000000, v1
	s_delay_alu instid0(VALU_DEP_1)
	v_or3_b32 v0, v2, v1, v0
.LBB468_2138:                           ;   in Loop: Header=BB468_8 Depth=1
	s_or_b32 exec_lo, exec_lo, s19
.LBB468_2139:                           ;   in Loop: Header=BB468_8 Depth=1
	s_delay_alu instid0(SALU_CYCLE_1)
	s_or_b32 exec_lo, exec_lo, s17
.LBB468_2140:                           ;   in Loop: Header=BB468_8 Depth=1
	s_delay_alu instid0(SALU_CYCLE_1) | instskip(NEXT) | instid1(VALU_DEP_1)
	s_or_b32 exec_lo, exec_lo, s3
	v_mul_f32_e32 v0, v79, v0
                                        ; implicit-def: $vgpr89
	s_delay_alu instid0(VALU_DEP_1) | instskip(NEXT) | instid1(VALU_DEP_1)
	v_and_b32_e32 v1, 0x7f800000, v0
	v_cmp_ne_u32_e64 s2, 0x7f800000, v1
	s_delay_alu instid0(VALU_DEP_1) | instskip(NEXT) | instid1(SALU_CYCLE_1)
	s_and_saveexec_b32 s3, s2
	s_xor_b32 s2, exec_lo, s3
; %bb.2141:                             ;   in Loop: Header=BB468_8 Depth=1
	v_bfe_u32 v1, v0, 16, 1
	s_delay_alu instid0(VALU_DEP_1)
	v_add3_u32 v89, v0, v1, 0x7fff
                                        ; implicit-def: $vgpr0
; %bb.2142:                             ;   in Loop: Header=BB468_8 Depth=1
	s_and_not1_saveexec_b32 s3, s2
; %bb.2143:                             ;   in Loop: Header=BB468_8 Depth=1
	v_and_b32_e32 v1, 0xffff, v0
	v_or_b32_e32 v2, 0x10000, v0
	s_delay_alu instid0(VALU_DEP_2) | instskip(NEXT) | instid1(VALU_DEP_1)
	v_cmp_eq_u32_e64 s2, 0, v1
	v_cndmask_b32_e64 v89, v2, v0, s2
; %bb.2144:                             ;   in Loop: Header=BB468_8 Depth=1
	s_or_b32 exec_lo, exec_lo, s3
	v_lshrrev_b32_e32 v0, 16, v30
	s_mov_b32 s3, exec_lo
	s_delay_alu instid0(VALU_DEP_1) | instskip(NEXT) | instid1(VALU_DEP_1)
	v_dual_mov_b32 v1, 0 :: v_dual_and_b32 v2, 0xff, v0
	v_cmpx_ne_u16_e32 0, v2
	s_cbranch_execz .LBB468_2152
; %bb.2145:                             ;   in Loop: Header=BB468_8 Depth=1
	v_bfrev_b32_e32 v1, 1
	s_mov_b32 s17, exec_lo
	v_cmpx_ne_u16_e32 0x80, v2
	s_cbranch_execz .LBB468_2151
; %bb.2146:                             ;   in Loop: Header=BB468_8 Depth=1
	v_bfe_u32 v2, v30, 16, 7
	v_mov_b32_e32 v1, 0x7f800001
	s_mov_b32 s19, exec_lo
	s_delay_alu instid0(VALU_DEP_2)
	v_cmpx_ne_u32_e32 0x7f, v2
	s_cbranch_execz .LBB468_2150
; %bb.2147:                             ;   in Loop: Header=BB468_8 Depth=1
	v_and_b32_e32 v18, 7, v0
	v_mov_b32_e32 v33, v19
	v_lshrrev_b32_e32 v1, 3, v2
	s_mov_b32 s21, exec_lo
	s_delay_alu instid0(VALU_DEP_3)
	v_mov_b32_e32 v32, v18
	v_cmpx_gt_u32_e32 8, v2
; %bb.2148:                             ;   in Loop: Header=BB468_8 Depth=1
	v_clz_i32_u32_e32 v1, v18
	s_delay_alu instid0(VALU_DEP_1) | instskip(NEXT) | instid1(VALU_DEP_1)
	v_min_u32_e32 v1, 32, v1
	v_subrev_nc_u32_e32 v2, 28, v1
	v_sub_nc_u32_e32 v1, 29, v1
	s_delay_alu instid0(VALU_DEP_2) | instskip(NEXT) | instid1(VALU_DEP_1)
	v_lshlrev_b64 v[2:3], v2, v[18:19]
	v_and_b32_e32 v32, 7, v2
; %bb.2149:                             ;   in Loop: Header=BB468_8 Depth=1
	s_or_b32 exec_lo, exec_lo, s21
	v_lshlrev_b32_e32 v0, 24, v0
	s_delay_alu instid0(VALU_DEP_2) | instskip(SKIP_1) | instid1(VALU_DEP_3)
	v_lshlrev_b32_e32 v2, 20, v32
	v_lshl_add_u32 v1, v1, 23, 0x3c000000
	v_and_b32_e32 v0, 0x80000000, v0
	s_delay_alu instid0(VALU_DEP_1)
	v_or3_b32 v1, v2, v0, v1
.LBB468_2150:                           ;   in Loop: Header=BB468_8 Depth=1
	s_or_b32 exec_lo, exec_lo, s19
.LBB468_2151:                           ;   in Loop: Header=BB468_8 Depth=1
	s_delay_alu instid0(SALU_CYCLE_1)
	s_or_b32 exec_lo, exec_lo, s17
.LBB468_2152:                           ;   in Loop: Header=BB468_8 Depth=1
	s_delay_alu instid0(SALU_CYCLE_1) | instskip(NEXT) | instid1(VALU_DEP_1)
	s_or_b32 exec_lo, exec_lo, s3
	v_mul_f32_e32 v0, v79, v1
                                        ; implicit-def: $vgpr90
	s_delay_alu instid0(VALU_DEP_1) | instskip(NEXT) | instid1(VALU_DEP_1)
	v_and_b32_e32 v1, 0x7f800000, v0
	v_cmp_ne_u32_e64 s2, 0x7f800000, v1
	s_delay_alu instid0(VALU_DEP_1) | instskip(NEXT) | instid1(SALU_CYCLE_1)
	s_and_saveexec_b32 s3, s2
	s_xor_b32 s2, exec_lo, s3
; %bb.2153:                             ;   in Loop: Header=BB468_8 Depth=1
	v_bfe_u32 v1, v0, 16, 1
	s_delay_alu instid0(VALU_DEP_1)
	v_add3_u32 v90, v0, v1, 0x7fff
                                        ; implicit-def: $vgpr0
; %bb.2154:                             ;   in Loop: Header=BB468_8 Depth=1
	s_and_not1_saveexec_b32 s3, s2
; %bb.2155:                             ;   in Loop: Header=BB468_8 Depth=1
	v_and_b32_e32 v1, 0xffff, v0
	v_or_b32_e32 v2, 0x10000, v0
	s_delay_alu instid0(VALU_DEP_2) | instskip(NEXT) | instid1(VALU_DEP_1)
	v_cmp_eq_u32_e64 s2, 0, v1
	v_cndmask_b32_e64 v90, v2, v0, s2
; %bb.2156:                             ;   in Loop: Header=BB468_8 Depth=1
	s_or_b32 exec_lo, exec_lo, s3
	v_mov_b32_e32 v1, 0
	s_mov_b32 s3, exec_lo
	v_cmpx_lt_u32_e32 0xffffff, v30
	s_cbranch_execz .LBB468_2164
; %bb.2157:                             ;   in Loop: Header=BB468_8 Depth=1
	v_lshrrev_b32_e32 v0, 24, v30
	v_bfrev_b32_e32 v1, 1
	s_mov_b32 s17, exec_lo
	s_delay_alu instid0(VALU_DEP_2)
	v_cmpx_ne_u32_e32 0x80, v0
	s_cbranch_execz .LBB468_2163
; %bb.2158:                             ;   in Loop: Header=BB468_8 Depth=1
	v_bfe_u32 v2, v30, 24, 7
	v_mov_b32_e32 v1, 0x7f800001
	s_mov_b32 s19, exec_lo
	s_delay_alu instid0(VALU_DEP_2)
	v_cmpx_ne_u32_e32 0x7f, v2
	s_cbranch_execz .LBB468_2162
; %bb.2159:                             ;   in Loop: Header=BB468_8 Depth=1
	v_and_b32_e32 v18, 7, v0
	v_mov_b32_e32 v33, v19
	v_lshrrev_b32_e32 v1, 3, v2
	s_mov_b32 s21, exec_lo
	s_delay_alu instid0(VALU_DEP_3)
	v_mov_b32_e32 v32, v18
	v_cmpx_gt_u32_e32 8, v2
; %bb.2160:                             ;   in Loop: Header=BB468_8 Depth=1
	v_clz_i32_u32_e32 v1, v18
	s_delay_alu instid0(VALU_DEP_1) | instskip(NEXT) | instid1(VALU_DEP_1)
	v_min_u32_e32 v1, 32, v1
	v_subrev_nc_u32_e32 v2, 28, v1
	v_sub_nc_u32_e32 v1, 29, v1
	s_delay_alu instid0(VALU_DEP_2) | instskip(NEXT) | instid1(VALU_DEP_1)
	v_lshlrev_b64 v[2:3], v2, v[18:19]
	v_and_b32_e32 v32, 7, v2
; %bb.2161:                             ;   in Loop: Header=BB468_8 Depth=1
	s_or_b32 exec_lo, exec_lo, s21
	v_lshlrev_b32_e32 v0, 24, v0
	s_delay_alu instid0(VALU_DEP_2) | instskip(SKIP_1) | instid1(VALU_DEP_3)
	v_lshlrev_b32_e32 v2, 20, v32
	v_lshl_add_u32 v1, v1, 23, 0x3c000000
	v_and_b32_e32 v0, 0x80000000, v0
	s_delay_alu instid0(VALU_DEP_1)
	v_or3_b32 v1, v2, v0, v1
.LBB468_2162:                           ;   in Loop: Header=BB468_8 Depth=1
	s_or_b32 exec_lo, exec_lo, s19
.LBB468_2163:                           ;   in Loop: Header=BB468_8 Depth=1
	s_delay_alu instid0(SALU_CYCLE_1)
	s_or_b32 exec_lo, exec_lo, s17
.LBB468_2164:                           ;   in Loop: Header=BB468_8 Depth=1
	s_delay_alu instid0(SALU_CYCLE_1) | instskip(NEXT) | instid1(VALU_DEP_1)
	s_or_b32 exec_lo, exec_lo, s3
	v_mul_f32_e32 v0, v79, v1
                                        ; implicit-def: $vgpr91
	s_delay_alu instid0(VALU_DEP_1) | instskip(NEXT) | instid1(VALU_DEP_1)
	v_and_b32_e32 v1, 0x7f800000, v0
	v_cmp_ne_u32_e64 s2, 0x7f800000, v1
	s_delay_alu instid0(VALU_DEP_1) | instskip(NEXT) | instid1(SALU_CYCLE_1)
	s_and_saveexec_b32 s3, s2
	s_xor_b32 s2, exec_lo, s3
; %bb.2165:                             ;   in Loop: Header=BB468_8 Depth=1
	v_bfe_u32 v1, v0, 16, 1
	s_delay_alu instid0(VALU_DEP_1)
	v_add3_u32 v91, v0, v1, 0x7fff
                                        ; implicit-def: $vgpr0
; %bb.2166:                             ;   in Loop: Header=BB468_8 Depth=1
	s_and_not1_saveexec_b32 s3, s2
; %bb.2167:                             ;   in Loop: Header=BB468_8 Depth=1
	v_and_b32_e32 v1, 0xffff, v0
	v_or_b32_e32 v2, 0x10000, v0
	s_delay_alu instid0(VALU_DEP_2) | instskip(NEXT) | instid1(VALU_DEP_1)
	v_cmp_eq_u32_e64 s2, 0, v1
	v_cndmask_b32_e64 v91, v2, v0, s2
; %bb.2168:                             ;   in Loop: Header=BB468_8 Depth=1
	s_or_b32 exec_lo, exec_lo, s3
	v_dual_mov_b32 v18, v31 :: v_dual_and_b32 v1, 0xff, v31
	v_mov_b32_e32 v0, 0
	s_mov_b32 s3, exec_lo
	s_delay_alu instid0(VALU_DEP_2)
	v_cmpx_ne_u16_e32 0, v1
	s_cbranch_execz .LBB468_2176
; %bb.2169:                             ;   in Loop: Header=BB468_8 Depth=1
	v_bfrev_b32_e32 v0, 1
	s_mov_b32 s17, exec_lo
	v_cmpx_ne_u16_e32 0x80, v1
	s_cbranch_execz .LBB468_2175
; %bb.2170:                             ;   in Loop: Header=BB468_8 Depth=1
	v_and_b32_e32 v1, 0x7f, v31
	v_mov_b32_e32 v0, 0x7f800001
	s_mov_b32 s19, exec_lo
	s_delay_alu instid0(VALU_DEP_2)
	v_cmpx_ne_u32_e32 0x7f, v1
	s_cbranch_execz .LBB468_2174
; %bb.2171:                             ;   in Loop: Header=BB468_8 Depth=1
	v_dual_mov_b32 v33, v19 :: v_dual_mov_b32 v32, v18
	v_lshrrev_b32_e32 v0, 3, v1
	s_mov_b32 s21, exec_lo
	v_cmpx_gt_u32_e32 8, v1
; %bb.2172:                             ;   in Loop: Header=BB468_8 Depth=1
	v_and_b32_e32 v0, 7, v31
	s_delay_alu instid0(VALU_DEP_1) | instskip(NEXT) | instid1(VALU_DEP_1)
	v_clz_i32_u32_e32 v0, v0
	v_min_u32_e32 v0, 32, v0
	s_delay_alu instid0(VALU_DEP_1) | instskip(SKIP_1) | instid1(VALU_DEP_2)
	v_subrev_nc_u32_e32 v1, 28, v0
	v_sub_nc_u32_e32 v0, 29, v0
	v_lshlrev_b64 v[32:33], v1, v[18:19]
; %bb.2173:                             ;   in Loop: Header=BB468_8 Depth=1
	s_or_b32 exec_lo, exec_lo, s21
	s_delay_alu instid0(VALU_DEP_1) | instskip(SKIP_2) | instid1(VALU_DEP_3)
	v_lshlrev_b32_e32 v1, 20, v32
	v_lshlrev_b32_e32 v2, 24, v18
	v_lshl_add_u32 v0, v0, 23, 0x3c000000
	v_and_b32_e32 v1, 0x700000, v1
	s_delay_alu instid0(VALU_DEP_3) | instskip(NEXT) | instid1(VALU_DEP_1)
	v_and_b32_e32 v2, 0x80000000, v2
	v_or3_b32 v0, v1, v2, v0
.LBB468_2174:                           ;   in Loop: Header=BB468_8 Depth=1
	s_or_b32 exec_lo, exec_lo, s19
.LBB468_2175:                           ;   in Loop: Header=BB468_8 Depth=1
	s_delay_alu instid0(SALU_CYCLE_1)
	s_or_b32 exec_lo, exec_lo, s17
.LBB468_2176:                           ;   in Loop: Header=BB468_8 Depth=1
	s_delay_alu instid0(SALU_CYCLE_1) | instskip(NEXT) | instid1(VALU_DEP_1)
	s_or_b32 exec_lo, exec_lo, s3
	v_mul_f32_e32 v0, v79, v0
                                        ; implicit-def: $vgpr92
	s_delay_alu instid0(VALU_DEP_1) | instskip(NEXT) | instid1(VALU_DEP_1)
	v_and_b32_e32 v1, 0x7f800000, v0
	v_cmp_ne_u32_e64 s2, 0x7f800000, v1
	s_delay_alu instid0(VALU_DEP_1) | instskip(NEXT) | instid1(SALU_CYCLE_1)
	s_and_saveexec_b32 s3, s2
	s_xor_b32 s2, exec_lo, s3
; %bb.2177:                             ;   in Loop: Header=BB468_8 Depth=1
	v_bfe_u32 v1, v0, 16, 1
	s_delay_alu instid0(VALU_DEP_1)
	v_add3_u32 v92, v0, v1, 0x7fff
                                        ; implicit-def: $vgpr0
; %bb.2178:                             ;   in Loop: Header=BB468_8 Depth=1
	s_and_not1_saveexec_b32 s3, s2
; %bb.2179:                             ;   in Loop: Header=BB468_8 Depth=1
	v_and_b32_e32 v1, 0xffff, v0
	v_or_b32_e32 v2, 0x10000, v0
	s_delay_alu instid0(VALU_DEP_2) | instskip(NEXT) | instid1(VALU_DEP_1)
	v_cmp_eq_u32_e64 s2, 0, v1
	v_cndmask_b32_e64 v92, v2, v0, s2
; %bb.2180:                             ;   in Loop: Header=BB468_8 Depth=1
	s_or_b32 exec_lo, exec_lo, s3
	v_lshrrev_b16 v1, 8, v18
	v_mov_b32_e32 v0, 0
	s_mov_b32 s3, exec_lo
	s_delay_alu instid0(VALU_DEP_2)
	v_cmpx_ne_u16_e32 0, v1
	s_cbranch_execz .LBB468_2188
; %bb.2181:                             ;   in Loop: Header=BB468_8 Depth=1
	v_bfrev_b32_e32 v0, 1
	s_mov_b32 s17, exec_lo
	v_cmpx_ne_u16_e32 0x80, v1
	s_cbranch_execz .LBB468_2187
; %bb.2182:                             ;   in Loop: Header=BB468_8 Depth=1
	v_and_b32_e32 v2, 0xffff, v1
	v_mov_b32_e32 v0, 0x7f800001
	s_mov_b32 s19, exec_lo
	s_delay_alu instid0(VALU_DEP_2) | instskip(NEXT) | instid1(VALU_DEP_1)
	v_and_b32_e32 v1, 0x7f, v2
	v_cmpx_ne_u32_e32 0x7f, v1
	s_cbranch_execz .LBB468_2186
; %bb.2183:                             ;   in Loop: Header=BB468_8 Depth=1
	v_dual_mov_b32 v33, v19 :: v_dual_and_b32 v32, 7, v2
	v_lshrrev_b32_e32 v0, 3, v1
	s_mov_b32 s21, exec_lo
	v_cmpx_gt_u32_e32 8, v1
; %bb.2184:                             ;   in Loop: Header=BB468_8 Depth=1
	s_delay_alu instid0(VALU_DEP_3) | instskip(NEXT) | instid1(VALU_DEP_1)
	v_clz_i32_u32_e32 v0, v32
	v_min_u32_e32 v0, 32, v0
	s_delay_alu instid0(VALU_DEP_1) | instskip(SKIP_1) | instid1(VALU_DEP_2)
	v_subrev_nc_u32_e32 v1, 28, v0
	v_sub_nc_u32_e32 v0, 29, v0
	v_lshlrev_b64 v[1:2], v1, v[32:33]
	s_delay_alu instid0(VALU_DEP_1)
	v_and_b32_e32 v32, 7, v1
; %bb.2185:                             ;   in Loop: Header=BB468_8 Depth=1
	s_or_b32 exec_lo, exec_lo, s21
	v_lshlrev_b32_e32 v1, 16, v18
	s_delay_alu instid0(VALU_DEP_2) | instskip(SKIP_1) | instid1(VALU_DEP_3)
	v_lshlrev_b32_e32 v2, 20, v32
	v_lshl_add_u32 v0, v0, 23, 0x3c000000
	v_and_b32_e32 v1, 0x80000000, v1
	s_delay_alu instid0(VALU_DEP_1)
	v_or3_b32 v0, v2, v1, v0
.LBB468_2186:                           ;   in Loop: Header=BB468_8 Depth=1
	s_or_b32 exec_lo, exec_lo, s19
.LBB468_2187:                           ;   in Loop: Header=BB468_8 Depth=1
	s_delay_alu instid0(SALU_CYCLE_1)
	s_or_b32 exec_lo, exec_lo, s17
.LBB468_2188:                           ;   in Loop: Header=BB468_8 Depth=1
	s_delay_alu instid0(SALU_CYCLE_1) | instskip(NEXT) | instid1(VALU_DEP_1)
	s_or_b32 exec_lo, exec_lo, s3
	v_mul_f32_e32 v0, v79, v0
                                        ; implicit-def: $vgpr93
	s_delay_alu instid0(VALU_DEP_1) | instskip(NEXT) | instid1(VALU_DEP_1)
	v_and_b32_e32 v1, 0x7f800000, v0
	v_cmp_ne_u32_e64 s2, 0x7f800000, v1
	s_delay_alu instid0(VALU_DEP_1) | instskip(NEXT) | instid1(SALU_CYCLE_1)
	s_and_saveexec_b32 s3, s2
	s_xor_b32 s2, exec_lo, s3
; %bb.2189:                             ;   in Loop: Header=BB468_8 Depth=1
	v_bfe_u32 v1, v0, 16, 1
	s_delay_alu instid0(VALU_DEP_1)
	v_add3_u32 v93, v0, v1, 0x7fff
                                        ; implicit-def: $vgpr0
; %bb.2190:                             ;   in Loop: Header=BB468_8 Depth=1
	s_and_not1_saveexec_b32 s3, s2
; %bb.2191:                             ;   in Loop: Header=BB468_8 Depth=1
	v_and_b32_e32 v1, 0xffff, v0
	v_or_b32_e32 v2, 0x10000, v0
	s_delay_alu instid0(VALU_DEP_2) | instskip(NEXT) | instid1(VALU_DEP_1)
	v_cmp_eq_u32_e64 s2, 0, v1
	v_cndmask_b32_e64 v93, v2, v0, s2
; %bb.2192:                             ;   in Loop: Header=BB468_8 Depth=1
	s_or_b32 exec_lo, exec_lo, s3
	v_lshrrev_b32_e32 v0, 16, v31
	s_mov_b32 s3, exec_lo
	s_delay_alu instid0(VALU_DEP_1) | instskip(NEXT) | instid1(VALU_DEP_1)
	v_dual_mov_b32 v1, 0 :: v_dual_and_b32 v2, 0xff, v0
	v_cmpx_ne_u16_e32 0, v2
	s_cbranch_execz .LBB468_2200
; %bb.2193:                             ;   in Loop: Header=BB468_8 Depth=1
	v_bfrev_b32_e32 v1, 1
	s_mov_b32 s17, exec_lo
	v_cmpx_ne_u16_e32 0x80, v2
	s_cbranch_execz .LBB468_2199
; %bb.2194:                             ;   in Loop: Header=BB468_8 Depth=1
	v_bfe_u32 v2, v31, 16, 7
	v_mov_b32_e32 v1, 0x7f800001
	s_mov_b32 s19, exec_lo
	s_delay_alu instid0(VALU_DEP_2)
	v_cmpx_ne_u32_e32 0x7f, v2
	s_cbranch_execz .LBB468_2198
; %bb.2195:                             ;   in Loop: Header=BB468_8 Depth=1
	v_and_b32_e32 v18, 7, v0
	v_mov_b32_e32 v33, v19
	v_lshrrev_b32_e32 v1, 3, v2
	s_mov_b32 s21, exec_lo
	s_delay_alu instid0(VALU_DEP_3)
	v_mov_b32_e32 v32, v18
	v_cmpx_gt_u32_e32 8, v2
; %bb.2196:                             ;   in Loop: Header=BB468_8 Depth=1
	v_clz_i32_u32_e32 v1, v18
	s_delay_alu instid0(VALU_DEP_1) | instskip(NEXT) | instid1(VALU_DEP_1)
	v_min_u32_e32 v1, 32, v1
	v_subrev_nc_u32_e32 v2, 28, v1
	v_sub_nc_u32_e32 v1, 29, v1
	s_delay_alu instid0(VALU_DEP_2) | instskip(NEXT) | instid1(VALU_DEP_1)
	v_lshlrev_b64 v[2:3], v2, v[18:19]
	v_and_b32_e32 v32, 7, v2
; %bb.2197:                             ;   in Loop: Header=BB468_8 Depth=1
	s_or_b32 exec_lo, exec_lo, s21
	v_lshlrev_b32_e32 v0, 24, v0
	s_delay_alu instid0(VALU_DEP_2) | instskip(SKIP_1) | instid1(VALU_DEP_3)
	v_lshlrev_b32_e32 v2, 20, v32
	v_lshl_add_u32 v1, v1, 23, 0x3c000000
	v_and_b32_e32 v0, 0x80000000, v0
	s_delay_alu instid0(VALU_DEP_1)
	v_or3_b32 v1, v2, v0, v1
.LBB468_2198:                           ;   in Loop: Header=BB468_8 Depth=1
	s_or_b32 exec_lo, exec_lo, s19
.LBB468_2199:                           ;   in Loop: Header=BB468_8 Depth=1
	s_delay_alu instid0(SALU_CYCLE_1)
	s_or_b32 exec_lo, exec_lo, s17
.LBB468_2200:                           ;   in Loop: Header=BB468_8 Depth=1
	s_delay_alu instid0(SALU_CYCLE_1) | instskip(NEXT) | instid1(VALU_DEP_1)
	s_or_b32 exec_lo, exec_lo, s3
	v_mul_f32_e32 v0, v79, v1
                                        ; implicit-def: $vgpr94
	s_delay_alu instid0(VALU_DEP_1) | instskip(NEXT) | instid1(VALU_DEP_1)
	v_and_b32_e32 v1, 0x7f800000, v0
	v_cmp_ne_u32_e64 s2, 0x7f800000, v1
	s_delay_alu instid0(VALU_DEP_1) | instskip(NEXT) | instid1(SALU_CYCLE_1)
	s_and_saveexec_b32 s3, s2
	s_xor_b32 s2, exec_lo, s3
; %bb.2201:                             ;   in Loop: Header=BB468_8 Depth=1
	v_bfe_u32 v1, v0, 16, 1
	s_delay_alu instid0(VALU_DEP_1)
	v_add3_u32 v94, v0, v1, 0x7fff
                                        ; implicit-def: $vgpr0
; %bb.2202:                             ;   in Loop: Header=BB468_8 Depth=1
	s_and_not1_saveexec_b32 s3, s2
; %bb.2203:                             ;   in Loop: Header=BB468_8 Depth=1
	v_and_b32_e32 v1, 0xffff, v0
	v_or_b32_e32 v2, 0x10000, v0
	s_delay_alu instid0(VALU_DEP_2) | instskip(NEXT) | instid1(VALU_DEP_1)
	v_cmp_eq_u32_e64 s2, 0, v1
	v_cndmask_b32_e64 v94, v2, v0, s2
; %bb.2204:                             ;   in Loop: Header=BB468_8 Depth=1
	s_or_b32 exec_lo, exec_lo, s3
	v_mov_b32_e32 v1, 0
	s_mov_b32 s3, exec_lo
	v_cmpx_lt_u64_e64 s[4:5], v[30:31]
	s_cbranch_execz .LBB468_2212
; %bb.2205:                             ;   in Loop: Header=BB468_8 Depth=1
	v_lshrrev_b32_e32 v0, 24, v31
	v_bfrev_b32_e32 v1, 1
	s_mov_b32 s17, exec_lo
	s_delay_alu instid0(VALU_DEP_2)
	v_cmpx_ne_u32_e32 0x80, v0
	s_cbranch_execz .LBB468_2211
; %bb.2206:                             ;   in Loop: Header=BB468_8 Depth=1
	v_bfe_u32 v2, v31, 24, 7
	v_mov_b32_e32 v1, 0x7f800001
	s_mov_b32 s19, exec_lo
	s_delay_alu instid0(VALU_DEP_2)
	v_cmpx_ne_u32_e32 0x7f, v2
	s_cbranch_execz .LBB468_2210
; %bb.2207:                             ;   in Loop: Header=BB468_8 Depth=1
	v_and_b32_e32 v18, 7, v0
	v_mov_b32_e32 v31, v19
	v_lshrrev_b32_e32 v1, 3, v2
	s_mov_b32 s21, exec_lo
	s_delay_alu instid0(VALU_DEP_3)
	v_mov_b32_e32 v30, v18
	v_cmpx_gt_u32_e32 8, v2
; %bb.2208:                             ;   in Loop: Header=BB468_8 Depth=1
	v_clz_i32_u32_e32 v1, v18
	s_delay_alu instid0(VALU_DEP_1) | instskip(NEXT) | instid1(VALU_DEP_1)
	v_min_u32_e32 v1, 32, v1
	v_subrev_nc_u32_e32 v2, 28, v1
	v_sub_nc_u32_e32 v1, 29, v1
	s_delay_alu instid0(VALU_DEP_2) | instskip(NEXT) | instid1(VALU_DEP_1)
	v_lshlrev_b64 v[2:3], v2, v[18:19]
	v_and_b32_e32 v30, 7, v2
; %bb.2209:                             ;   in Loop: Header=BB468_8 Depth=1
	s_or_b32 exec_lo, exec_lo, s21
	v_lshlrev_b32_e32 v0, 24, v0
	s_delay_alu instid0(VALU_DEP_2) | instskip(SKIP_1) | instid1(VALU_DEP_3)
	v_lshlrev_b32_e32 v2, 20, v30
	v_lshl_add_u32 v1, v1, 23, 0x3c000000
	v_and_b32_e32 v0, 0x80000000, v0
	s_delay_alu instid0(VALU_DEP_1)
	v_or3_b32 v1, v2, v0, v1
.LBB468_2210:                           ;   in Loop: Header=BB468_8 Depth=1
	s_or_b32 exec_lo, exec_lo, s19
.LBB468_2211:                           ;   in Loop: Header=BB468_8 Depth=1
	s_delay_alu instid0(SALU_CYCLE_1)
	s_or_b32 exec_lo, exec_lo, s17
.LBB468_2212:                           ;   in Loop: Header=BB468_8 Depth=1
	s_delay_alu instid0(SALU_CYCLE_1) | instskip(NEXT) | instid1(VALU_DEP_1)
	s_or_b32 exec_lo, exec_lo, s3
	v_mul_f32_e32 v0, v79, v1
                                        ; implicit-def: $vgpr95
	s_delay_alu instid0(VALU_DEP_1) | instskip(NEXT) | instid1(VALU_DEP_1)
	v_and_b32_e32 v1, 0x7f800000, v0
	v_cmp_ne_u32_e64 s2, 0x7f800000, v1
	s_delay_alu instid0(VALU_DEP_1) | instskip(NEXT) | instid1(SALU_CYCLE_1)
	s_and_saveexec_b32 s3, s2
	s_xor_b32 s2, exec_lo, s3
; %bb.2213:                             ;   in Loop: Header=BB468_8 Depth=1
	v_bfe_u32 v1, v0, 16, 1
	s_delay_alu instid0(VALU_DEP_1)
	v_add3_u32 v95, v0, v1, 0x7fff
                                        ; implicit-def: $vgpr0
; %bb.2214:                             ;   in Loop: Header=BB468_8 Depth=1
	s_and_not1_saveexec_b32 s3, s2
; %bb.2215:                             ;   in Loop: Header=BB468_8 Depth=1
	v_and_b32_e32 v1, 0xffff, v0
	v_or_b32_e32 v2, 0x10000, v0
	s_delay_alu instid0(VALU_DEP_2) | instskip(NEXT) | instid1(VALU_DEP_1)
	v_cmp_eq_u32_e64 s2, 0, v1
	v_cndmask_b32_e64 v95, v2, v0, s2
; %bb.2216:                             ;   in Loop: Header=BB468_8 Depth=1
	s_or_b32 exec_lo, exec_lo, s3
	flat_load_b64 v[30:31], v[28:29] offset:1544
	s_mov_b32 s3, exec_lo
	s_waitcnt vmcnt(0) lgkmcnt(0)
	v_dual_mov_b32 v0, 0 :: v_dual_and_b32 v1, 0xff, v30
	s_delay_alu instid0(VALU_DEP_1)
	v_cmpx_ne_u16_e32 0, v1
	s_cbranch_execz .LBB468_2224
; %bb.2217:                             ;   in Loop: Header=BB468_8 Depth=1
	v_bfrev_b32_e32 v0, 1
	s_mov_b32 s17, exec_lo
	v_cmpx_ne_u16_e32 0x80, v1
	s_cbranch_execz .LBB468_2223
; %bb.2218:                             ;   in Loop: Header=BB468_8 Depth=1
	v_and_b32_e32 v1, 0x7f, v30
	v_mov_b32_e32 v0, 0x7f800001
	s_mov_b32 s19, exec_lo
	s_delay_alu instid0(VALU_DEP_2)
	v_cmpx_ne_u32_e32 0x7f, v1
	s_cbranch_execz .LBB468_2222
; %bb.2219:                             ;   in Loop: Header=BB468_8 Depth=1
	v_lshrrev_b32_e32 v0, 3, v1
	v_dual_mov_b32 v33, v31 :: v_dual_mov_b32 v32, v30
	s_mov_b32 s21, exec_lo
	v_cmpx_gt_u32_e32 8, v1
; %bb.2220:                             ;   in Loop: Header=BB468_8 Depth=1
	v_and_b32_e32 v0, 7, v30
	s_delay_alu instid0(VALU_DEP_1) | instskip(NEXT) | instid1(VALU_DEP_1)
	v_clz_i32_u32_e32 v0, v0
	v_min_u32_e32 v0, 32, v0
	s_delay_alu instid0(VALU_DEP_1) | instskip(SKIP_1) | instid1(VALU_DEP_2)
	v_subrev_nc_u32_e32 v1, 28, v0
	v_sub_nc_u32_e32 v0, 29, v0
	v_lshlrev_b64 v[32:33], v1, v[30:31]
; %bb.2221:                             ;   in Loop: Header=BB468_8 Depth=1
	s_or_b32 exec_lo, exec_lo, s21
	s_delay_alu instid0(VALU_DEP_1) | instskip(SKIP_2) | instid1(VALU_DEP_3)
	v_lshlrev_b32_e32 v1, 20, v32
	v_lshlrev_b32_e32 v2, 24, v30
	v_lshl_add_u32 v0, v0, 23, 0x3c000000
	v_and_b32_e32 v1, 0x700000, v1
	s_delay_alu instid0(VALU_DEP_3) | instskip(NEXT) | instid1(VALU_DEP_1)
	v_and_b32_e32 v2, 0x80000000, v2
	v_or3_b32 v0, v1, v2, v0
.LBB468_2222:                           ;   in Loop: Header=BB468_8 Depth=1
	s_or_b32 exec_lo, exec_lo, s19
.LBB468_2223:                           ;   in Loop: Header=BB468_8 Depth=1
	s_delay_alu instid0(SALU_CYCLE_1)
	s_or_b32 exec_lo, exec_lo, s17
.LBB468_2224:                           ;   in Loop: Header=BB468_8 Depth=1
	s_delay_alu instid0(SALU_CYCLE_1) | instskip(NEXT) | instid1(VALU_DEP_1)
	s_or_b32 exec_lo, exec_lo, s3
	v_mul_f32_e32 v0, v79, v0
                                        ; implicit-def: $vgpr104
	s_delay_alu instid0(VALU_DEP_1) | instskip(NEXT) | instid1(VALU_DEP_1)
	v_and_b32_e32 v1, 0x7f800000, v0
	v_cmp_ne_u32_e64 s2, 0x7f800000, v1
	s_delay_alu instid0(VALU_DEP_1) | instskip(NEXT) | instid1(SALU_CYCLE_1)
	s_and_saveexec_b32 s3, s2
	s_xor_b32 s2, exec_lo, s3
; %bb.2225:                             ;   in Loop: Header=BB468_8 Depth=1
	v_bfe_u32 v1, v0, 16, 1
	s_delay_alu instid0(VALU_DEP_1)
	v_add3_u32 v104, v0, v1, 0x7fff
                                        ; implicit-def: $vgpr0
; %bb.2226:                             ;   in Loop: Header=BB468_8 Depth=1
	s_and_not1_saveexec_b32 s3, s2
; %bb.2227:                             ;   in Loop: Header=BB468_8 Depth=1
	v_and_b32_e32 v1, 0xffff, v0
	v_or_b32_e32 v2, 0x10000, v0
	s_delay_alu instid0(VALU_DEP_2) | instskip(NEXT) | instid1(VALU_DEP_1)
	v_cmp_eq_u32_e64 s2, 0, v1
	v_cndmask_b32_e64 v104, v2, v0, s2
; %bb.2228:                             ;   in Loop: Header=BB468_8 Depth=1
	s_or_b32 exec_lo, exec_lo, s3
	v_lshrrev_b16 v1, 8, v30
	v_mov_b32_e32 v0, 0
	s_mov_b32 s3, exec_lo
	s_delay_alu instid0(VALU_DEP_2)
	v_cmpx_ne_u16_e32 0, v1
	s_cbranch_execz .LBB468_2236
; %bb.2229:                             ;   in Loop: Header=BB468_8 Depth=1
	v_bfrev_b32_e32 v0, 1
	s_mov_b32 s17, exec_lo
	v_cmpx_ne_u16_e32 0x80, v1
	s_cbranch_execz .LBB468_2235
; %bb.2230:                             ;   in Loop: Header=BB468_8 Depth=1
	v_and_b32_e32 v2, 0xffff, v1
	v_mov_b32_e32 v0, 0x7f800001
	s_mov_b32 s19, exec_lo
	s_delay_alu instid0(VALU_DEP_2) | instskip(NEXT) | instid1(VALU_DEP_1)
	v_and_b32_e32 v1, 0x7f, v2
	v_cmpx_ne_u32_e32 0x7f, v1
	s_cbranch_execz .LBB468_2234
; %bb.2231:                             ;   in Loop: Header=BB468_8 Depth=1
	v_and_b32_e32 v18, 7, v2
	v_mov_b32_e32 v33, v19
	v_lshrrev_b32_e32 v0, 3, v1
	s_mov_b32 s21, exec_lo
	s_delay_alu instid0(VALU_DEP_3)
	v_mov_b32_e32 v32, v18
	v_cmpx_gt_u32_e32 8, v1
; %bb.2232:                             ;   in Loop: Header=BB468_8 Depth=1
	v_clz_i32_u32_e32 v0, v18
	s_delay_alu instid0(VALU_DEP_1) | instskip(NEXT) | instid1(VALU_DEP_1)
	v_min_u32_e32 v0, 32, v0
	v_subrev_nc_u32_e32 v1, 28, v0
	v_sub_nc_u32_e32 v0, 29, v0
	s_delay_alu instid0(VALU_DEP_2) | instskip(NEXT) | instid1(VALU_DEP_1)
	v_lshlrev_b64 v[1:2], v1, v[18:19]
	v_and_b32_e32 v32, 7, v1
; %bb.2233:                             ;   in Loop: Header=BB468_8 Depth=1
	s_or_b32 exec_lo, exec_lo, s21
	v_lshlrev_b32_e32 v1, 16, v30
	s_delay_alu instid0(VALU_DEP_2) | instskip(SKIP_1) | instid1(VALU_DEP_3)
	v_lshlrev_b32_e32 v2, 20, v32
	v_lshl_add_u32 v0, v0, 23, 0x3c000000
	v_and_b32_e32 v1, 0x80000000, v1
	s_delay_alu instid0(VALU_DEP_1)
	v_or3_b32 v0, v2, v1, v0
.LBB468_2234:                           ;   in Loop: Header=BB468_8 Depth=1
	s_or_b32 exec_lo, exec_lo, s19
.LBB468_2235:                           ;   in Loop: Header=BB468_8 Depth=1
	s_delay_alu instid0(SALU_CYCLE_1)
	s_or_b32 exec_lo, exec_lo, s17
.LBB468_2236:                           ;   in Loop: Header=BB468_8 Depth=1
	s_delay_alu instid0(SALU_CYCLE_1) | instskip(NEXT) | instid1(VALU_DEP_1)
	s_or_b32 exec_lo, exec_lo, s3
	v_mul_f32_e32 v0, v79, v0
                                        ; implicit-def: $vgpr105
	s_delay_alu instid0(VALU_DEP_1) | instskip(NEXT) | instid1(VALU_DEP_1)
	v_and_b32_e32 v1, 0x7f800000, v0
	v_cmp_ne_u32_e64 s2, 0x7f800000, v1
	s_delay_alu instid0(VALU_DEP_1) | instskip(NEXT) | instid1(SALU_CYCLE_1)
	s_and_saveexec_b32 s3, s2
	s_xor_b32 s2, exec_lo, s3
; %bb.2237:                             ;   in Loop: Header=BB468_8 Depth=1
	v_bfe_u32 v1, v0, 16, 1
	s_delay_alu instid0(VALU_DEP_1)
	v_add3_u32 v105, v0, v1, 0x7fff
                                        ; implicit-def: $vgpr0
; %bb.2238:                             ;   in Loop: Header=BB468_8 Depth=1
	s_and_not1_saveexec_b32 s3, s2
; %bb.2239:                             ;   in Loop: Header=BB468_8 Depth=1
	v_and_b32_e32 v1, 0xffff, v0
	v_or_b32_e32 v2, 0x10000, v0
	s_delay_alu instid0(VALU_DEP_2) | instskip(NEXT) | instid1(VALU_DEP_1)
	v_cmp_eq_u32_e64 s2, 0, v1
	v_cndmask_b32_e64 v105, v2, v0, s2
; %bb.2240:                             ;   in Loop: Header=BB468_8 Depth=1
	s_or_b32 exec_lo, exec_lo, s3
	v_lshrrev_b32_e32 v0, 16, v30
	s_mov_b32 s3, exec_lo
	s_delay_alu instid0(VALU_DEP_1) | instskip(NEXT) | instid1(VALU_DEP_1)
	v_dual_mov_b32 v1, 0 :: v_dual_and_b32 v2, 0xff, v0
	v_cmpx_ne_u16_e32 0, v2
	s_cbranch_execz .LBB468_2248
; %bb.2241:                             ;   in Loop: Header=BB468_8 Depth=1
	v_bfrev_b32_e32 v1, 1
	s_mov_b32 s17, exec_lo
	v_cmpx_ne_u16_e32 0x80, v2
	s_cbranch_execz .LBB468_2247
; %bb.2242:                             ;   in Loop: Header=BB468_8 Depth=1
	v_bfe_u32 v2, v30, 16, 7
	v_mov_b32_e32 v1, 0x7f800001
	s_mov_b32 s19, exec_lo
	s_delay_alu instid0(VALU_DEP_2)
	v_cmpx_ne_u32_e32 0x7f, v2
	s_cbranch_execz .LBB468_2246
; %bb.2243:                             ;   in Loop: Header=BB468_8 Depth=1
	v_and_b32_e32 v18, 7, v0
	v_mov_b32_e32 v33, v19
	v_lshrrev_b32_e32 v1, 3, v2
	s_mov_b32 s21, exec_lo
	s_delay_alu instid0(VALU_DEP_3)
	v_mov_b32_e32 v32, v18
	v_cmpx_gt_u32_e32 8, v2
; %bb.2244:                             ;   in Loop: Header=BB468_8 Depth=1
	v_clz_i32_u32_e32 v1, v18
	s_delay_alu instid0(VALU_DEP_1) | instskip(NEXT) | instid1(VALU_DEP_1)
	v_min_u32_e32 v1, 32, v1
	v_subrev_nc_u32_e32 v2, 28, v1
	v_sub_nc_u32_e32 v1, 29, v1
	s_delay_alu instid0(VALU_DEP_2) | instskip(NEXT) | instid1(VALU_DEP_1)
	v_lshlrev_b64 v[2:3], v2, v[18:19]
	v_and_b32_e32 v32, 7, v2
; %bb.2245:                             ;   in Loop: Header=BB468_8 Depth=1
	s_or_b32 exec_lo, exec_lo, s21
	v_lshlrev_b32_e32 v0, 24, v0
	s_delay_alu instid0(VALU_DEP_2) | instskip(SKIP_1) | instid1(VALU_DEP_3)
	v_lshlrev_b32_e32 v2, 20, v32
	v_lshl_add_u32 v1, v1, 23, 0x3c000000
	v_and_b32_e32 v0, 0x80000000, v0
	s_delay_alu instid0(VALU_DEP_1)
	v_or3_b32 v1, v2, v0, v1
.LBB468_2246:                           ;   in Loop: Header=BB468_8 Depth=1
	s_or_b32 exec_lo, exec_lo, s19
.LBB468_2247:                           ;   in Loop: Header=BB468_8 Depth=1
	s_delay_alu instid0(SALU_CYCLE_1)
	s_or_b32 exec_lo, exec_lo, s17
.LBB468_2248:                           ;   in Loop: Header=BB468_8 Depth=1
	s_delay_alu instid0(SALU_CYCLE_1) | instskip(NEXT) | instid1(VALU_DEP_1)
	s_or_b32 exec_lo, exec_lo, s3
	v_mul_f32_e32 v0, v79, v1
                                        ; implicit-def: $vgpr106
	s_delay_alu instid0(VALU_DEP_1) | instskip(NEXT) | instid1(VALU_DEP_1)
	v_and_b32_e32 v1, 0x7f800000, v0
	v_cmp_ne_u32_e64 s2, 0x7f800000, v1
	s_delay_alu instid0(VALU_DEP_1) | instskip(NEXT) | instid1(SALU_CYCLE_1)
	s_and_saveexec_b32 s3, s2
	s_xor_b32 s2, exec_lo, s3
; %bb.2249:                             ;   in Loop: Header=BB468_8 Depth=1
	v_bfe_u32 v1, v0, 16, 1
	s_delay_alu instid0(VALU_DEP_1)
	v_add3_u32 v106, v0, v1, 0x7fff
                                        ; implicit-def: $vgpr0
; %bb.2250:                             ;   in Loop: Header=BB468_8 Depth=1
	s_and_not1_saveexec_b32 s3, s2
; %bb.2251:                             ;   in Loop: Header=BB468_8 Depth=1
	v_and_b32_e32 v1, 0xffff, v0
	v_or_b32_e32 v2, 0x10000, v0
	s_delay_alu instid0(VALU_DEP_2) | instskip(NEXT) | instid1(VALU_DEP_1)
	v_cmp_eq_u32_e64 s2, 0, v1
	v_cndmask_b32_e64 v106, v2, v0, s2
; %bb.2252:                             ;   in Loop: Header=BB468_8 Depth=1
	s_or_b32 exec_lo, exec_lo, s3
	v_mov_b32_e32 v1, 0
	s_mov_b32 s3, exec_lo
	v_cmpx_lt_u32_e32 0xffffff, v30
	s_cbranch_execz .LBB468_2260
; %bb.2253:                             ;   in Loop: Header=BB468_8 Depth=1
	v_lshrrev_b32_e32 v0, 24, v30
	v_bfrev_b32_e32 v1, 1
	s_mov_b32 s17, exec_lo
	s_delay_alu instid0(VALU_DEP_2)
	v_cmpx_ne_u32_e32 0x80, v0
	s_cbranch_execz .LBB468_2259
; %bb.2254:                             ;   in Loop: Header=BB468_8 Depth=1
	v_bfe_u32 v2, v30, 24, 7
	v_mov_b32_e32 v1, 0x7f800001
	s_mov_b32 s19, exec_lo
	s_delay_alu instid0(VALU_DEP_2)
	v_cmpx_ne_u32_e32 0x7f, v2
	s_cbranch_execz .LBB468_2258
; %bb.2255:                             ;   in Loop: Header=BB468_8 Depth=1
	v_and_b32_e32 v18, 7, v0
	v_mov_b32_e32 v33, v19
	v_lshrrev_b32_e32 v1, 3, v2
	s_mov_b32 s21, exec_lo
	s_delay_alu instid0(VALU_DEP_3)
	v_mov_b32_e32 v32, v18
	v_cmpx_gt_u32_e32 8, v2
; %bb.2256:                             ;   in Loop: Header=BB468_8 Depth=1
	v_clz_i32_u32_e32 v1, v18
	s_delay_alu instid0(VALU_DEP_1) | instskip(NEXT) | instid1(VALU_DEP_1)
	v_min_u32_e32 v1, 32, v1
	v_subrev_nc_u32_e32 v2, 28, v1
	v_sub_nc_u32_e32 v1, 29, v1
	s_delay_alu instid0(VALU_DEP_2) | instskip(NEXT) | instid1(VALU_DEP_1)
	v_lshlrev_b64 v[2:3], v2, v[18:19]
	v_and_b32_e32 v32, 7, v2
; %bb.2257:                             ;   in Loop: Header=BB468_8 Depth=1
	s_or_b32 exec_lo, exec_lo, s21
	v_lshlrev_b32_e32 v0, 24, v0
	s_delay_alu instid0(VALU_DEP_2) | instskip(SKIP_1) | instid1(VALU_DEP_3)
	v_lshlrev_b32_e32 v2, 20, v32
	v_lshl_add_u32 v1, v1, 23, 0x3c000000
	v_and_b32_e32 v0, 0x80000000, v0
	s_delay_alu instid0(VALU_DEP_1)
	v_or3_b32 v1, v2, v0, v1
.LBB468_2258:                           ;   in Loop: Header=BB468_8 Depth=1
	s_or_b32 exec_lo, exec_lo, s19
.LBB468_2259:                           ;   in Loop: Header=BB468_8 Depth=1
	s_delay_alu instid0(SALU_CYCLE_1)
	s_or_b32 exec_lo, exec_lo, s17
.LBB468_2260:                           ;   in Loop: Header=BB468_8 Depth=1
	s_delay_alu instid0(SALU_CYCLE_1) | instskip(NEXT) | instid1(VALU_DEP_1)
	s_or_b32 exec_lo, exec_lo, s3
	v_mul_f32_e32 v0, v79, v1
                                        ; implicit-def: $vgpr107
	s_delay_alu instid0(VALU_DEP_1) | instskip(NEXT) | instid1(VALU_DEP_1)
	v_and_b32_e32 v1, 0x7f800000, v0
	v_cmp_ne_u32_e64 s2, 0x7f800000, v1
	s_delay_alu instid0(VALU_DEP_1) | instskip(NEXT) | instid1(SALU_CYCLE_1)
	s_and_saveexec_b32 s3, s2
	s_xor_b32 s2, exec_lo, s3
; %bb.2261:                             ;   in Loop: Header=BB468_8 Depth=1
	v_bfe_u32 v1, v0, 16, 1
	s_delay_alu instid0(VALU_DEP_1)
	v_add3_u32 v107, v0, v1, 0x7fff
                                        ; implicit-def: $vgpr0
; %bb.2262:                             ;   in Loop: Header=BB468_8 Depth=1
	s_and_not1_saveexec_b32 s3, s2
; %bb.2263:                             ;   in Loop: Header=BB468_8 Depth=1
	v_and_b32_e32 v1, 0xffff, v0
	v_or_b32_e32 v2, 0x10000, v0
	s_delay_alu instid0(VALU_DEP_2) | instskip(NEXT) | instid1(VALU_DEP_1)
	v_cmp_eq_u32_e64 s2, 0, v1
	v_cndmask_b32_e64 v107, v2, v0, s2
; %bb.2264:                             ;   in Loop: Header=BB468_8 Depth=1
	s_or_b32 exec_lo, exec_lo, s3
	v_dual_mov_b32 v18, v31 :: v_dual_and_b32 v1, 0xff, v31
	v_mov_b32_e32 v0, 0
	s_mov_b32 s3, exec_lo
	s_delay_alu instid0(VALU_DEP_2)
	v_cmpx_ne_u16_e32 0, v1
	s_cbranch_execz .LBB468_2272
; %bb.2265:                             ;   in Loop: Header=BB468_8 Depth=1
	v_bfrev_b32_e32 v0, 1
	s_mov_b32 s17, exec_lo
	v_cmpx_ne_u16_e32 0x80, v1
	s_cbranch_execz .LBB468_2271
; %bb.2266:                             ;   in Loop: Header=BB468_8 Depth=1
	v_and_b32_e32 v1, 0x7f, v31
	v_mov_b32_e32 v0, 0x7f800001
	s_mov_b32 s19, exec_lo
	s_delay_alu instid0(VALU_DEP_2)
	v_cmpx_ne_u32_e32 0x7f, v1
	s_cbranch_execz .LBB468_2270
; %bb.2267:                             ;   in Loop: Header=BB468_8 Depth=1
	v_dual_mov_b32 v33, v19 :: v_dual_mov_b32 v32, v18
	v_lshrrev_b32_e32 v0, 3, v1
	s_mov_b32 s21, exec_lo
	v_cmpx_gt_u32_e32 8, v1
; %bb.2268:                             ;   in Loop: Header=BB468_8 Depth=1
	v_and_b32_e32 v0, 7, v31
	s_delay_alu instid0(VALU_DEP_1) | instskip(NEXT) | instid1(VALU_DEP_1)
	v_clz_i32_u32_e32 v0, v0
	v_min_u32_e32 v0, 32, v0
	s_delay_alu instid0(VALU_DEP_1) | instskip(SKIP_1) | instid1(VALU_DEP_2)
	v_subrev_nc_u32_e32 v1, 28, v0
	v_sub_nc_u32_e32 v0, 29, v0
	v_lshlrev_b64 v[32:33], v1, v[18:19]
; %bb.2269:                             ;   in Loop: Header=BB468_8 Depth=1
	s_or_b32 exec_lo, exec_lo, s21
	s_delay_alu instid0(VALU_DEP_1) | instskip(SKIP_2) | instid1(VALU_DEP_3)
	v_lshlrev_b32_e32 v1, 20, v32
	v_lshlrev_b32_e32 v2, 24, v18
	v_lshl_add_u32 v0, v0, 23, 0x3c000000
	v_and_b32_e32 v1, 0x700000, v1
	s_delay_alu instid0(VALU_DEP_3) | instskip(NEXT) | instid1(VALU_DEP_1)
	v_and_b32_e32 v2, 0x80000000, v2
	v_or3_b32 v0, v1, v2, v0
.LBB468_2270:                           ;   in Loop: Header=BB468_8 Depth=1
	s_or_b32 exec_lo, exec_lo, s19
.LBB468_2271:                           ;   in Loop: Header=BB468_8 Depth=1
	s_delay_alu instid0(SALU_CYCLE_1)
	s_or_b32 exec_lo, exec_lo, s17
.LBB468_2272:                           ;   in Loop: Header=BB468_8 Depth=1
	s_delay_alu instid0(SALU_CYCLE_1) | instskip(NEXT) | instid1(VALU_DEP_1)
	s_or_b32 exec_lo, exec_lo, s3
	v_mul_f32_e32 v0, v79, v0
                                        ; implicit-def: $vgpr108
	s_delay_alu instid0(VALU_DEP_1) | instskip(NEXT) | instid1(VALU_DEP_1)
	v_and_b32_e32 v1, 0x7f800000, v0
	v_cmp_ne_u32_e64 s2, 0x7f800000, v1
	s_delay_alu instid0(VALU_DEP_1) | instskip(NEXT) | instid1(SALU_CYCLE_1)
	s_and_saveexec_b32 s3, s2
	s_xor_b32 s2, exec_lo, s3
; %bb.2273:                             ;   in Loop: Header=BB468_8 Depth=1
	v_bfe_u32 v1, v0, 16, 1
	s_delay_alu instid0(VALU_DEP_1)
	v_add3_u32 v108, v0, v1, 0x7fff
                                        ; implicit-def: $vgpr0
; %bb.2274:                             ;   in Loop: Header=BB468_8 Depth=1
	s_and_not1_saveexec_b32 s3, s2
; %bb.2275:                             ;   in Loop: Header=BB468_8 Depth=1
	v_and_b32_e32 v1, 0xffff, v0
	v_or_b32_e32 v2, 0x10000, v0
	s_delay_alu instid0(VALU_DEP_2) | instskip(NEXT) | instid1(VALU_DEP_1)
	v_cmp_eq_u32_e64 s2, 0, v1
	v_cndmask_b32_e64 v108, v2, v0, s2
; %bb.2276:                             ;   in Loop: Header=BB468_8 Depth=1
	s_or_b32 exec_lo, exec_lo, s3
	v_lshrrev_b16 v1, 8, v18
	v_mov_b32_e32 v0, 0
	s_mov_b32 s3, exec_lo
	s_delay_alu instid0(VALU_DEP_2)
	v_cmpx_ne_u16_e32 0, v1
	s_cbranch_execz .LBB468_2284
; %bb.2277:                             ;   in Loop: Header=BB468_8 Depth=1
	v_bfrev_b32_e32 v0, 1
	s_mov_b32 s17, exec_lo
	v_cmpx_ne_u16_e32 0x80, v1
	s_cbranch_execz .LBB468_2283
; %bb.2278:                             ;   in Loop: Header=BB468_8 Depth=1
	v_and_b32_e32 v2, 0xffff, v1
	v_mov_b32_e32 v0, 0x7f800001
	s_mov_b32 s19, exec_lo
	s_delay_alu instid0(VALU_DEP_2) | instskip(NEXT) | instid1(VALU_DEP_1)
	v_and_b32_e32 v1, 0x7f, v2
	v_cmpx_ne_u32_e32 0x7f, v1
	s_cbranch_execz .LBB468_2282
; %bb.2279:                             ;   in Loop: Header=BB468_8 Depth=1
	v_dual_mov_b32 v33, v19 :: v_dual_and_b32 v32, 7, v2
	v_lshrrev_b32_e32 v0, 3, v1
	s_mov_b32 s21, exec_lo
	v_cmpx_gt_u32_e32 8, v1
; %bb.2280:                             ;   in Loop: Header=BB468_8 Depth=1
	s_delay_alu instid0(VALU_DEP_3) | instskip(NEXT) | instid1(VALU_DEP_1)
	v_clz_i32_u32_e32 v0, v32
	v_min_u32_e32 v0, 32, v0
	s_delay_alu instid0(VALU_DEP_1) | instskip(SKIP_1) | instid1(VALU_DEP_2)
	v_subrev_nc_u32_e32 v1, 28, v0
	v_sub_nc_u32_e32 v0, 29, v0
	v_lshlrev_b64 v[1:2], v1, v[32:33]
	s_delay_alu instid0(VALU_DEP_1)
	v_and_b32_e32 v32, 7, v1
; %bb.2281:                             ;   in Loop: Header=BB468_8 Depth=1
	s_or_b32 exec_lo, exec_lo, s21
	v_lshlrev_b32_e32 v1, 16, v18
	s_delay_alu instid0(VALU_DEP_2) | instskip(SKIP_1) | instid1(VALU_DEP_3)
	v_lshlrev_b32_e32 v2, 20, v32
	v_lshl_add_u32 v0, v0, 23, 0x3c000000
	v_and_b32_e32 v1, 0x80000000, v1
	s_delay_alu instid0(VALU_DEP_1)
	v_or3_b32 v0, v2, v1, v0
.LBB468_2282:                           ;   in Loop: Header=BB468_8 Depth=1
	s_or_b32 exec_lo, exec_lo, s19
.LBB468_2283:                           ;   in Loop: Header=BB468_8 Depth=1
	s_delay_alu instid0(SALU_CYCLE_1)
	s_or_b32 exec_lo, exec_lo, s17
.LBB468_2284:                           ;   in Loop: Header=BB468_8 Depth=1
	s_delay_alu instid0(SALU_CYCLE_1) | instskip(NEXT) | instid1(VALU_DEP_1)
	s_or_b32 exec_lo, exec_lo, s3
	v_mul_f32_e32 v0, v79, v0
                                        ; implicit-def: $vgpr109
	s_delay_alu instid0(VALU_DEP_1) | instskip(NEXT) | instid1(VALU_DEP_1)
	v_and_b32_e32 v1, 0x7f800000, v0
	v_cmp_ne_u32_e64 s2, 0x7f800000, v1
	s_delay_alu instid0(VALU_DEP_1) | instskip(NEXT) | instid1(SALU_CYCLE_1)
	s_and_saveexec_b32 s3, s2
	s_xor_b32 s2, exec_lo, s3
; %bb.2285:                             ;   in Loop: Header=BB468_8 Depth=1
	v_bfe_u32 v1, v0, 16, 1
	s_delay_alu instid0(VALU_DEP_1)
	v_add3_u32 v109, v0, v1, 0x7fff
                                        ; implicit-def: $vgpr0
; %bb.2286:                             ;   in Loop: Header=BB468_8 Depth=1
	s_and_not1_saveexec_b32 s3, s2
; %bb.2287:                             ;   in Loop: Header=BB468_8 Depth=1
	v_and_b32_e32 v1, 0xffff, v0
	v_or_b32_e32 v2, 0x10000, v0
	s_delay_alu instid0(VALU_DEP_2) | instskip(NEXT) | instid1(VALU_DEP_1)
	v_cmp_eq_u32_e64 s2, 0, v1
	v_cndmask_b32_e64 v109, v2, v0, s2
; %bb.2288:                             ;   in Loop: Header=BB468_8 Depth=1
	s_or_b32 exec_lo, exec_lo, s3
	v_lshrrev_b32_e32 v0, 16, v31
	s_mov_b32 s3, exec_lo
	s_delay_alu instid0(VALU_DEP_1) | instskip(NEXT) | instid1(VALU_DEP_1)
	v_dual_mov_b32 v1, 0 :: v_dual_and_b32 v2, 0xff, v0
	v_cmpx_ne_u16_e32 0, v2
	s_cbranch_execz .LBB468_2296
; %bb.2289:                             ;   in Loop: Header=BB468_8 Depth=1
	v_bfrev_b32_e32 v1, 1
	s_mov_b32 s17, exec_lo
	v_cmpx_ne_u16_e32 0x80, v2
	s_cbranch_execz .LBB468_2295
; %bb.2290:                             ;   in Loop: Header=BB468_8 Depth=1
	v_bfe_u32 v2, v31, 16, 7
	v_mov_b32_e32 v1, 0x7f800001
	s_mov_b32 s19, exec_lo
	s_delay_alu instid0(VALU_DEP_2)
	v_cmpx_ne_u32_e32 0x7f, v2
	s_cbranch_execz .LBB468_2294
; %bb.2291:                             ;   in Loop: Header=BB468_8 Depth=1
	v_and_b32_e32 v18, 7, v0
	v_mov_b32_e32 v33, v19
	v_lshrrev_b32_e32 v1, 3, v2
	s_mov_b32 s21, exec_lo
	s_delay_alu instid0(VALU_DEP_3)
	v_mov_b32_e32 v32, v18
	v_cmpx_gt_u32_e32 8, v2
; %bb.2292:                             ;   in Loop: Header=BB468_8 Depth=1
	v_clz_i32_u32_e32 v1, v18
	s_delay_alu instid0(VALU_DEP_1) | instskip(NEXT) | instid1(VALU_DEP_1)
	v_min_u32_e32 v1, 32, v1
	v_subrev_nc_u32_e32 v2, 28, v1
	v_sub_nc_u32_e32 v1, 29, v1
	s_delay_alu instid0(VALU_DEP_2) | instskip(NEXT) | instid1(VALU_DEP_1)
	v_lshlrev_b64 v[2:3], v2, v[18:19]
	v_and_b32_e32 v32, 7, v2
; %bb.2293:                             ;   in Loop: Header=BB468_8 Depth=1
	s_or_b32 exec_lo, exec_lo, s21
	v_lshlrev_b32_e32 v0, 24, v0
	s_delay_alu instid0(VALU_DEP_2) | instskip(SKIP_1) | instid1(VALU_DEP_3)
	v_lshlrev_b32_e32 v2, 20, v32
	v_lshl_add_u32 v1, v1, 23, 0x3c000000
	v_and_b32_e32 v0, 0x80000000, v0
	s_delay_alu instid0(VALU_DEP_1)
	v_or3_b32 v1, v2, v0, v1
.LBB468_2294:                           ;   in Loop: Header=BB468_8 Depth=1
	s_or_b32 exec_lo, exec_lo, s19
.LBB468_2295:                           ;   in Loop: Header=BB468_8 Depth=1
	s_delay_alu instid0(SALU_CYCLE_1)
	s_or_b32 exec_lo, exec_lo, s17
.LBB468_2296:                           ;   in Loop: Header=BB468_8 Depth=1
	s_delay_alu instid0(SALU_CYCLE_1) | instskip(NEXT) | instid1(VALU_DEP_1)
	s_or_b32 exec_lo, exec_lo, s3
	v_mul_f32_e32 v0, v79, v1
                                        ; implicit-def: $vgpr110
	s_delay_alu instid0(VALU_DEP_1) | instskip(NEXT) | instid1(VALU_DEP_1)
	v_and_b32_e32 v1, 0x7f800000, v0
	v_cmp_ne_u32_e64 s2, 0x7f800000, v1
	s_delay_alu instid0(VALU_DEP_1) | instskip(NEXT) | instid1(SALU_CYCLE_1)
	s_and_saveexec_b32 s3, s2
	s_xor_b32 s2, exec_lo, s3
; %bb.2297:                             ;   in Loop: Header=BB468_8 Depth=1
	v_bfe_u32 v1, v0, 16, 1
	s_delay_alu instid0(VALU_DEP_1)
	v_add3_u32 v110, v0, v1, 0x7fff
                                        ; implicit-def: $vgpr0
; %bb.2298:                             ;   in Loop: Header=BB468_8 Depth=1
	s_and_not1_saveexec_b32 s3, s2
; %bb.2299:                             ;   in Loop: Header=BB468_8 Depth=1
	v_and_b32_e32 v1, 0xffff, v0
	v_or_b32_e32 v2, 0x10000, v0
	s_delay_alu instid0(VALU_DEP_2) | instskip(NEXT) | instid1(VALU_DEP_1)
	v_cmp_eq_u32_e64 s2, 0, v1
	v_cndmask_b32_e64 v110, v2, v0, s2
; %bb.2300:                             ;   in Loop: Header=BB468_8 Depth=1
	s_or_b32 exec_lo, exec_lo, s3
	v_mov_b32_e32 v1, 0
	s_mov_b32 s3, exec_lo
	v_cmpx_lt_u64_e64 s[4:5], v[30:31]
	s_cbranch_execz .LBB468_2308
; %bb.2301:                             ;   in Loop: Header=BB468_8 Depth=1
	v_lshrrev_b32_e32 v0, 24, v31
	v_bfrev_b32_e32 v1, 1
	s_mov_b32 s17, exec_lo
	s_delay_alu instid0(VALU_DEP_2)
	v_cmpx_ne_u32_e32 0x80, v0
	s_cbranch_execz .LBB468_2307
; %bb.2302:                             ;   in Loop: Header=BB468_8 Depth=1
	v_bfe_u32 v2, v31, 24, 7
	v_mov_b32_e32 v1, 0x7f800001
	s_mov_b32 s19, exec_lo
	s_delay_alu instid0(VALU_DEP_2)
	v_cmpx_ne_u32_e32 0x7f, v2
	s_cbranch_execz .LBB468_2306
; %bb.2303:                             ;   in Loop: Header=BB468_8 Depth=1
	v_and_b32_e32 v18, 7, v0
	v_mov_b32_e32 v31, v19
	v_lshrrev_b32_e32 v1, 3, v2
	s_mov_b32 s21, exec_lo
	s_delay_alu instid0(VALU_DEP_3)
	v_mov_b32_e32 v30, v18
	v_cmpx_gt_u32_e32 8, v2
; %bb.2304:                             ;   in Loop: Header=BB468_8 Depth=1
	v_clz_i32_u32_e32 v1, v18
	s_delay_alu instid0(VALU_DEP_1) | instskip(NEXT) | instid1(VALU_DEP_1)
	v_min_u32_e32 v1, 32, v1
	v_subrev_nc_u32_e32 v2, 28, v1
	v_sub_nc_u32_e32 v1, 29, v1
	s_delay_alu instid0(VALU_DEP_2) | instskip(NEXT) | instid1(VALU_DEP_1)
	v_lshlrev_b64 v[2:3], v2, v[18:19]
	v_and_b32_e32 v30, 7, v2
; %bb.2305:                             ;   in Loop: Header=BB468_8 Depth=1
	s_or_b32 exec_lo, exec_lo, s21
	v_lshlrev_b32_e32 v0, 24, v0
	s_delay_alu instid0(VALU_DEP_2) | instskip(SKIP_1) | instid1(VALU_DEP_3)
	v_lshlrev_b32_e32 v2, 20, v30
	v_lshl_add_u32 v1, v1, 23, 0x3c000000
	v_and_b32_e32 v0, 0x80000000, v0
	s_delay_alu instid0(VALU_DEP_1)
	v_or3_b32 v1, v2, v0, v1
.LBB468_2306:                           ;   in Loop: Header=BB468_8 Depth=1
	s_or_b32 exec_lo, exec_lo, s19
.LBB468_2307:                           ;   in Loop: Header=BB468_8 Depth=1
	s_delay_alu instid0(SALU_CYCLE_1)
	s_or_b32 exec_lo, exec_lo, s17
.LBB468_2308:                           ;   in Loop: Header=BB468_8 Depth=1
	s_delay_alu instid0(SALU_CYCLE_1) | instskip(NEXT) | instid1(VALU_DEP_1)
	s_or_b32 exec_lo, exec_lo, s3
	v_mul_f32_e32 v0, v79, v1
                                        ; implicit-def: $vgpr111
	s_delay_alu instid0(VALU_DEP_1) | instskip(NEXT) | instid1(VALU_DEP_1)
	v_and_b32_e32 v1, 0x7f800000, v0
	v_cmp_ne_u32_e64 s2, 0x7f800000, v1
	s_delay_alu instid0(VALU_DEP_1) | instskip(NEXT) | instid1(SALU_CYCLE_1)
	s_and_saveexec_b32 s3, s2
	s_xor_b32 s2, exec_lo, s3
; %bb.2309:                             ;   in Loop: Header=BB468_8 Depth=1
	v_bfe_u32 v1, v0, 16, 1
	s_delay_alu instid0(VALU_DEP_1)
	v_add3_u32 v111, v0, v1, 0x7fff
                                        ; implicit-def: $vgpr0
; %bb.2310:                             ;   in Loop: Header=BB468_8 Depth=1
	s_and_not1_saveexec_b32 s3, s2
; %bb.2311:                             ;   in Loop: Header=BB468_8 Depth=1
	v_and_b32_e32 v1, 0xffff, v0
	v_or_b32_e32 v2, 0x10000, v0
	s_delay_alu instid0(VALU_DEP_2) | instskip(NEXT) | instid1(VALU_DEP_1)
	v_cmp_eq_u32_e64 s2, 0, v1
	v_cndmask_b32_e64 v111, v2, v0, s2
; %bb.2312:                             ;   in Loop: Header=BB468_8 Depth=1
	s_or_b32 exec_lo, exec_lo, s3
	flat_load_b64 v[30:31], v[28:29] offset:2048
	s_mov_b32 s3, exec_lo
	s_waitcnt vmcnt(0) lgkmcnt(0)
	v_dual_mov_b32 v0, 0 :: v_dual_and_b32 v1, 0xff, v30
	s_delay_alu instid0(VALU_DEP_1)
	v_cmpx_ne_u16_e32 0, v1
	s_cbranch_execz .LBB468_2320
; %bb.2313:                             ;   in Loop: Header=BB468_8 Depth=1
	v_bfrev_b32_e32 v0, 1
	s_mov_b32 s17, exec_lo
	v_cmpx_ne_u16_e32 0x80, v1
	s_cbranch_execz .LBB468_2319
; %bb.2314:                             ;   in Loop: Header=BB468_8 Depth=1
	v_and_b32_e32 v1, 0x7f, v30
	v_mov_b32_e32 v0, 0x7f800001
	s_mov_b32 s19, exec_lo
	s_delay_alu instid0(VALU_DEP_2)
	v_cmpx_ne_u32_e32 0x7f, v1
	s_cbranch_execz .LBB468_2318
; %bb.2315:                             ;   in Loop: Header=BB468_8 Depth=1
	v_lshrrev_b32_e32 v0, 3, v1
	v_dual_mov_b32 v33, v31 :: v_dual_mov_b32 v32, v30
	s_mov_b32 s21, exec_lo
	v_cmpx_gt_u32_e32 8, v1
; %bb.2316:                             ;   in Loop: Header=BB468_8 Depth=1
	v_and_b32_e32 v0, 7, v30
	s_delay_alu instid0(VALU_DEP_1) | instskip(NEXT) | instid1(VALU_DEP_1)
	v_clz_i32_u32_e32 v0, v0
	v_min_u32_e32 v0, 32, v0
	s_delay_alu instid0(VALU_DEP_1) | instskip(SKIP_1) | instid1(VALU_DEP_2)
	v_subrev_nc_u32_e32 v1, 28, v0
	v_sub_nc_u32_e32 v0, 29, v0
	v_lshlrev_b64 v[32:33], v1, v[30:31]
; %bb.2317:                             ;   in Loop: Header=BB468_8 Depth=1
	s_or_b32 exec_lo, exec_lo, s21
	s_delay_alu instid0(VALU_DEP_1) | instskip(SKIP_2) | instid1(VALU_DEP_3)
	v_lshlrev_b32_e32 v1, 20, v32
	v_lshlrev_b32_e32 v2, 24, v30
	v_lshl_add_u32 v0, v0, 23, 0x3c000000
	v_and_b32_e32 v1, 0x700000, v1
	s_delay_alu instid0(VALU_DEP_3) | instskip(NEXT) | instid1(VALU_DEP_1)
	v_and_b32_e32 v2, 0x80000000, v2
	v_or3_b32 v0, v1, v2, v0
.LBB468_2318:                           ;   in Loop: Header=BB468_8 Depth=1
	s_or_b32 exec_lo, exec_lo, s19
.LBB468_2319:                           ;   in Loop: Header=BB468_8 Depth=1
	s_delay_alu instid0(SALU_CYCLE_1)
	s_or_b32 exec_lo, exec_lo, s17
.LBB468_2320:                           ;   in Loop: Header=BB468_8 Depth=1
	s_delay_alu instid0(SALU_CYCLE_1) | instskip(NEXT) | instid1(VALU_DEP_1)
	s_or_b32 exec_lo, exec_lo, s3
	v_mul_f32_e32 v0, v79, v0
                                        ; implicit-def: $vgpr120
	s_delay_alu instid0(VALU_DEP_1) | instskip(NEXT) | instid1(VALU_DEP_1)
	v_and_b32_e32 v1, 0x7f800000, v0
	v_cmp_ne_u32_e64 s2, 0x7f800000, v1
	s_delay_alu instid0(VALU_DEP_1) | instskip(NEXT) | instid1(SALU_CYCLE_1)
	s_and_saveexec_b32 s3, s2
	s_xor_b32 s2, exec_lo, s3
; %bb.2321:                             ;   in Loop: Header=BB468_8 Depth=1
	v_bfe_u32 v1, v0, 16, 1
	s_delay_alu instid0(VALU_DEP_1)
	v_add3_u32 v120, v0, v1, 0x7fff
                                        ; implicit-def: $vgpr0
; %bb.2322:                             ;   in Loop: Header=BB468_8 Depth=1
	s_and_not1_saveexec_b32 s3, s2
; %bb.2323:                             ;   in Loop: Header=BB468_8 Depth=1
	v_and_b32_e32 v1, 0xffff, v0
	v_or_b32_e32 v2, 0x10000, v0
	s_delay_alu instid0(VALU_DEP_2) | instskip(NEXT) | instid1(VALU_DEP_1)
	v_cmp_eq_u32_e64 s2, 0, v1
	v_cndmask_b32_e64 v120, v2, v0, s2
; %bb.2324:                             ;   in Loop: Header=BB468_8 Depth=1
	s_or_b32 exec_lo, exec_lo, s3
	v_lshrrev_b16 v1, 8, v30
	v_mov_b32_e32 v0, 0
	s_mov_b32 s3, exec_lo
	s_delay_alu instid0(VALU_DEP_2)
	v_cmpx_ne_u16_e32 0, v1
	s_cbranch_execz .LBB468_2332
; %bb.2325:                             ;   in Loop: Header=BB468_8 Depth=1
	v_bfrev_b32_e32 v0, 1
	s_mov_b32 s17, exec_lo
	v_cmpx_ne_u16_e32 0x80, v1
	s_cbranch_execz .LBB468_2331
; %bb.2326:                             ;   in Loop: Header=BB468_8 Depth=1
	v_and_b32_e32 v2, 0xffff, v1
	v_mov_b32_e32 v0, 0x7f800001
	s_mov_b32 s19, exec_lo
	s_delay_alu instid0(VALU_DEP_2) | instskip(NEXT) | instid1(VALU_DEP_1)
	v_and_b32_e32 v1, 0x7f, v2
	v_cmpx_ne_u32_e32 0x7f, v1
	s_cbranch_execz .LBB468_2330
; %bb.2327:                             ;   in Loop: Header=BB468_8 Depth=1
	v_and_b32_e32 v18, 7, v2
	v_mov_b32_e32 v33, v19
	v_lshrrev_b32_e32 v0, 3, v1
	s_mov_b32 s21, exec_lo
	s_delay_alu instid0(VALU_DEP_3)
	v_mov_b32_e32 v32, v18
	v_cmpx_gt_u32_e32 8, v1
; %bb.2328:                             ;   in Loop: Header=BB468_8 Depth=1
	v_clz_i32_u32_e32 v0, v18
	s_delay_alu instid0(VALU_DEP_1) | instskip(NEXT) | instid1(VALU_DEP_1)
	v_min_u32_e32 v0, 32, v0
	v_subrev_nc_u32_e32 v1, 28, v0
	v_sub_nc_u32_e32 v0, 29, v0
	s_delay_alu instid0(VALU_DEP_2) | instskip(NEXT) | instid1(VALU_DEP_1)
	v_lshlrev_b64 v[1:2], v1, v[18:19]
	v_and_b32_e32 v32, 7, v1
; %bb.2329:                             ;   in Loop: Header=BB468_8 Depth=1
	s_or_b32 exec_lo, exec_lo, s21
	v_lshlrev_b32_e32 v1, 16, v30
	s_delay_alu instid0(VALU_DEP_2) | instskip(SKIP_1) | instid1(VALU_DEP_3)
	v_lshlrev_b32_e32 v2, 20, v32
	v_lshl_add_u32 v0, v0, 23, 0x3c000000
	v_and_b32_e32 v1, 0x80000000, v1
	s_delay_alu instid0(VALU_DEP_1)
	v_or3_b32 v0, v2, v1, v0
.LBB468_2330:                           ;   in Loop: Header=BB468_8 Depth=1
	s_or_b32 exec_lo, exec_lo, s19
.LBB468_2331:                           ;   in Loop: Header=BB468_8 Depth=1
	s_delay_alu instid0(SALU_CYCLE_1)
	s_or_b32 exec_lo, exec_lo, s17
.LBB468_2332:                           ;   in Loop: Header=BB468_8 Depth=1
	s_delay_alu instid0(SALU_CYCLE_1) | instskip(NEXT) | instid1(VALU_DEP_1)
	s_or_b32 exec_lo, exec_lo, s3
	v_mul_f32_e32 v0, v79, v0
                                        ; implicit-def: $vgpr121
	s_delay_alu instid0(VALU_DEP_1) | instskip(NEXT) | instid1(VALU_DEP_1)
	v_and_b32_e32 v1, 0x7f800000, v0
	v_cmp_ne_u32_e64 s2, 0x7f800000, v1
	s_delay_alu instid0(VALU_DEP_1) | instskip(NEXT) | instid1(SALU_CYCLE_1)
	s_and_saveexec_b32 s3, s2
	s_xor_b32 s2, exec_lo, s3
; %bb.2333:                             ;   in Loop: Header=BB468_8 Depth=1
	v_bfe_u32 v1, v0, 16, 1
	s_delay_alu instid0(VALU_DEP_1)
	v_add3_u32 v121, v0, v1, 0x7fff
                                        ; implicit-def: $vgpr0
; %bb.2334:                             ;   in Loop: Header=BB468_8 Depth=1
	s_and_not1_saveexec_b32 s3, s2
; %bb.2335:                             ;   in Loop: Header=BB468_8 Depth=1
	v_and_b32_e32 v1, 0xffff, v0
	v_or_b32_e32 v2, 0x10000, v0
	s_delay_alu instid0(VALU_DEP_2) | instskip(NEXT) | instid1(VALU_DEP_1)
	v_cmp_eq_u32_e64 s2, 0, v1
	v_cndmask_b32_e64 v121, v2, v0, s2
; %bb.2336:                             ;   in Loop: Header=BB468_8 Depth=1
	s_or_b32 exec_lo, exec_lo, s3
	v_lshrrev_b32_e32 v0, 16, v30
	s_mov_b32 s3, exec_lo
	s_delay_alu instid0(VALU_DEP_1) | instskip(NEXT) | instid1(VALU_DEP_1)
	v_dual_mov_b32 v1, 0 :: v_dual_and_b32 v2, 0xff, v0
	v_cmpx_ne_u16_e32 0, v2
	s_cbranch_execz .LBB468_2344
; %bb.2337:                             ;   in Loop: Header=BB468_8 Depth=1
	v_bfrev_b32_e32 v1, 1
	s_mov_b32 s17, exec_lo
	v_cmpx_ne_u16_e32 0x80, v2
	s_cbranch_execz .LBB468_2343
; %bb.2338:                             ;   in Loop: Header=BB468_8 Depth=1
	v_bfe_u32 v2, v30, 16, 7
	v_mov_b32_e32 v1, 0x7f800001
	s_mov_b32 s19, exec_lo
	s_delay_alu instid0(VALU_DEP_2)
	v_cmpx_ne_u32_e32 0x7f, v2
	s_cbranch_execz .LBB468_2342
; %bb.2339:                             ;   in Loop: Header=BB468_8 Depth=1
	v_and_b32_e32 v18, 7, v0
	v_mov_b32_e32 v33, v19
	v_lshrrev_b32_e32 v1, 3, v2
	s_mov_b32 s21, exec_lo
	s_delay_alu instid0(VALU_DEP_3)
	v_mov_b32_e32 v32, v18
	v_cmpx_gt_u32_e32 8, v2
; %bb.2340:                             ;   in Loop: Header=BB468_8 Depth=1
	v_clz_i32_u32_e32 v1, v18
	s_delay_alu instid0(VALU_DEP_1) | instskip(NEXT) | instid1(VALU_DEP_1)
	v_min_u32_e32 v1, 32, v1
	v_subrev_nc_u32_e32 v2, 28, v1
	v_sub_nc_u32_e32 v1, 29, v1
	s_delay_alu instid0(VALU_DEP_2) | instskip(NEXT) | instid1(VALU_DEP_1)
	v_lshlrev_b64 v[2:3], v2, v[18:19]
	v_and_b32_e32 v32, 7, v2
; %bb.2341:                             ;   in Loop: Header=BB468_8 Depth=1
	s_or_b32 exec_lo, exec_lo, s21
	v_lshlrev_b32_e32 v0, 24, v0
	s_delay_alu instid0(VALU_DEP_2) | instskip(SKIP_1) | instid1(VALU_DEP_3)
	v_lshlrev_b32_e32 v2, 20, v32
	v_lshl_add_u32 v1, v1, 23, 0x3c000000
	v_and_b32_e32 v0, 0x80000000, v0
	s_delay_alu instid0(VALU_DEP_1)
	v_or3_b32 v1, v2, v0, v1
.LBB468_2342:                           ;   in Loop: Header=BB468_8 Depth=1
	s_or_b32 exec_lo, exec_lo, s19
.LBB468_2343:                           ;   in Loop: Header=BB468_8 Depth=1
	s_delay_alu instid0(SALU_CYCLE_1)
	s_or_b32 exec_lo, exec_lo, s17
.LBB468_2344:                           ;   in Loop: Header=BB468_8 Depth=1
	s_delay_alu instid0(SALU_CYCLE_1) | instskip(NEXT) | instid1(VALU_DEP_1)
	s_or_b32 exec_lo, exec_lo, s3
	v_mul_f32_e32 v0, v79, v1
                                        ; implicit-def: $vgpr122
	s_delay_alu instid0(VALU_DEP_1) | instskip(NEXT) | instid1(VALU_DEP_1)
	v_and_b32_e32 v1, 0x7f800000, v0
	v_cmp_ne_u32_e64 s2, 0x7f800000, v1
	s_delay_alu instid0(VALU_DEP_1) | instskip(NEXT) | instid1(SALU_CYCLE_1)
	s_and_saveexec_b32 s3, s2
	s_xor_b32 s2, exec_lo, s3
; %bb.2345:                             ;   in Loop: Header=BB468_8 Depth=1
	v_bfe_u32 v1, v0, 16, 1
	s_delay_alu instid0(VALU_DEP_1)
	v_add3_u32 v122, v0, v1, 0x7fff
                                        ; implicit-def: $vgpr0
; %bb.2346:                             ;   in Loop: Header=BB468_8 Depth=1
	s_and_not1_saveexec_b32 s3, s2
; %bb.2347:                             ;   in Loop: Header=BB468_8 Depth=1
	v_and_b32_e32 v1, 0xffff, v0
	v_or_b32_e32 v2, 0x10000, v0
	s_delay_alu instid0(VALU_DEP_2) | instskip(NEXT) | instid1(VALU_DEP_1)
	v_cmp_eq_u32_e64 s2, 0, v1
	v_cndmask_b32_e64 v122, v2, v0, s2
; %bb.2348:                             ;   in Loop: Header=BB468_8 Depth=1
	s_or_b32 exec_lo, exec_lo, s3
	v_mov_b32_e32 v1, 0
	s_mov_b32 s3, exec_lo
	v_cmpx_lt_u32_e32 0xffffff, v30
	s_cbranch_execz .LBB468_2356
; %bb.2349:                             ;   in Loop: Header=BB468_8 Depth=1
	v_lshrrev_b32_e32 v0, 24, v30
	v_bfrev_b32_e32 v1, 1
	s_mov_b32 s17, exec_lo
	s_delay_alu instid0(VALU_DEP_2)
	v_cmpx_ne_u32_e32 0x80, v0
	s_cbranch_execz .LBB468_2355
; %bb.2350:                             ;   in Loop: Header=BB468_8 Depth=1
	v_bfe_u32 v2, v30, 24, 7
	v_mov_b32_e32 v1, 0x7f800001
	s_mov_b32 s19, exec_lo
	s_delay_alu instid0(VALU_DEP_2)
	v_cmpx_ne_u32_e32 0x7f, v2
	s_cbranch_execz .LBB468_2354
; %bb.2351:                             ;   in Loop: Header=BB468_8 Depth=1
	v_and_b32_e32 v18, 7, v0
	v_mov_b32_e32 v33, v19
	v_lshrrev_b32_e32 v1, 3, v2
	s_mov_b32 s21, exec_lo
	s_delay_alu instid0(VALU_DEP_3)
	v_mov_b32_e32 v32, v18
	v_cmpx_gt_u32_e32 8, v2
; %bb.2352:                             ;   in Loop: Header=BB468_8 Depth=1
	v_clz_i32_u32_e32 v1, v18
	s_delay_alu instid0(VALU_DEP_1) | instskip(NEXT) | instid1(VALU_DEP_1)
	v_min_u32_e32 v1, 32, v1
	v_subrev_nc_u32_e32 v2, 28, v1
	v_sub_nc_u32_e32 v1, 29, v1
	s_delay_alu instid0(VALU_DEP_2) | instskip(NEXT) | instid1(VALU_DEP_1)
	v_lshlrev_b64 v[2:3], v2, v[18:19]
	v_and_b32_e32 v32, 7, v2
; %bb.2353:                             ;   in Loop: Header=BB468_8 Depth=1
	s_or_b32 exec_lo, exec_lo, s21
	v_lshlrev_b32_e32 v0, 24, v0
	s_delay_alu instid0(VALU_DEP_2) | instskip(SKIP_1) | instid1(VALU_DEP_3)
	v_lshlrev_b32_e32 v2, 20, v32
	v_lshl_add_u32 v1, v1, 23, 0x3c000000
	v_and_b32_e32 v0, 0x80000000, v0
	s_delay_alu instid0(VALU_DEP_1)
	v_or3_b32 v1, v2, v0, v1
.LBB468_2354:                           ;   in Loop: Header=BB468_8 Depth=1
	s_or_b32 exec_lo, exec_lo, s19
.LBB468_2355:                           ;   in Loop: Header=BB468_8 Depth=1
	s_delay_alu instid0(SALU_CYCLE_1)
	s_or_b32 exec_lo, exec_lo, s17
.LBB468_2356:                           ;   in Loop: Header=BB468_8 Depth=1
	s_delay_alu instid0(SALU_CYCLE_1) | instskip(NEXT) | instid1(VALU_DEP_1)
	s_or_b32 exec_lo, exec_lo, s3
	v_mul_f32_e32 v0, v79, v1
                                        ; implicit-def: $vgpr123
	s_delay_alu instid0(VALU_DEP_1) | instskip(NEXT) | instid1(VALU_DEP_1)
	v_and_b32_e32 v1, 0x7f800000, v0
	v_cmp_ne_u32_e64 s2, 0x7f800000, v1
	s_delay_alu instid0(VALU_DEP_1) | instskip(NEXT) | instid1(SALU_CYCLE_1)
	s_and_saveexec_b32 s3, s2
	s_xor_b32 s2, exec_lo, s3
; %bb.2357:                             ;   in Loop: Header=BB468_8 Depth=1
	v_bfe_u32 v1, v0, 16, 1
	s_delay_alu instid0(VALU_DEP_1)
	v_add3_u32 v123, v0, v1, 0x7fff
                                        ; implicit-def: $vgpr0
; %bb.2358:                             ;   in Loop: Header=BB468_8 Depth=1
	s_and_not1_saveexec_b32 s3, s2
; %bb.2359:                             ;   in Loop: Header=BB468_8 Depth=1
	v_and_b32_e32 v1, 0xffff, v0
	v_or_b32_e32 v2, 0x10000, v0
	s_delay_alu instid0(VALU_DEP_2) | instskip(NEXT) | instid1(VALU_DEP_1)
	v_cmp_eq_u32_e64 s2, 0, v1
	v_cndmask_b32_e64 v123, v2, v0, s2
; %bb.2360:                             ;   in Loop: Header=BB468_8 Depth=1
	s_or_b32 exec_lo, exec_lo, s3
	v_dual_mov_b32 v18, v31 :: v_dual_and_b32 v1, 0xff, v31
	v_mov_b32_e32 v0, 0
	s_mov_b32 s3, exec_lo
	s_delay_alu instid0(VALU_DEP_2)
	v_cmpx_ne_u16_e32 0, v1
	s_cbranch_execz .LBB468_2368
; %bb.2361:                             ;   in Loop: Header=BB468_8 Depth=1
	v_bfrev_b32_e32 v0, 1
	s_mov_b32 s17, exec_lo
	v_cmpx_ne_u16_e32 0x80, v1
	s_cbranch_execz .LBB468_2367
; %bb.2362:                             ;   in Loop: Header=BB468_8 Depth=1
	v_and_b32_e32 v1, 0x7f, v31
	v_mov_b32_e32 v0, 0x7f800001
	s_mov_b32 s19, exec_lo
	s_delay_alu instid0(VALU_DEP_2)
	v_cmpx_ne_u32_e32 0x7f, v1
	s_cbranch_execz .LBB468_2366
; %bb.2363:                             ;   in Loop: Header=BB468_8 Depth=1
	v_dual_mov_b32 v33, v19 :: v_dual_mov_b32 v32, v18
	v_lshrrev_b32_e32 v0, 3, v1
	s_mov_b32 s21, exec_lo
	v_cmpx_gt_u32_e32 8, v1
; %bb.2364:                             ;   in Loop: Header=BB468_8 Depth=1
	v_and_b32_e32 v0, 7, v31
	s_delay_alu instid0(VALU_DEP_1) | instskip(NEXT) | instid1(VALU_DEP_1)
	v_clz_i32_u32_e32 v0, v0
	v_min_u32_e32 v0, 32, v0
	s_delay_alu instid0(VALU_DEP_1) | instskip(SKIP_1) | instid1(VALU_DEP_2)
	v_subrev_nc_u32_e32 v1, 28, v0
	v_sub_nc_u32_e32 v0, 29, v0
	v_lshlrev_b64 v[32:33], v1, v[18:19]
; %bb.2365:                             ;   in Loop: Header=BB468_8 Depth=1
	s_or_b32 exec_lo, exec_lo, s21
	s_delay_alu instid0(VALU_DEP_1) | instskip(SKIP_2) | instid1(VALU_DEP_3)
	v_lshlrev_b32_e32 v1, 20, v32
	v_lshlrev_b32_e32 v2, 24, v18
	v_lshl_add_u32 v0, v0, 23, 0x3c000000
	v_and_b32_e32 v1, 0x700000, v1
	s_delay_alu instid0(VALU_DEP_3) | instskip(NEXT) | instid1(VALU_DEP_1)
	v_and_b32_e32 v2, 0x80000000, v2
	v_or3_b32 v0, v1, v2, v0
.LBB468_2366:                           ;   in Loop: Header=BB468_8 Depth=1
	s_or_b32 exec_lo, exec_lo, s19
.LBB468_2367:                           ;   in Loop: Header=BB468_8 Depth=1
	s_delay_alu instid0(SALU_CYCLE_1)
	s_or_b32 exec_lo, exec_lo, s17
.LBB468_2368:                           ;   in Loop: Header=BB468_8 Depth=1
	s_delay_alu instid0(SALU_CYCLE_1) | instskip(NEXT) | instid1(VALU_DEP_1)
	s_or_b32 exec_lo, exec_lo, s3
	v_mul_f32_e32 v0, v79, v0
                                        ; implicit-def: $vgpr124
	s_delay_alu instid0(VALU_DEP_1) | instskip(NEXT) | instid1(VALU_DEP_1)
	v_and_b32_e32 v1, 0x7f800000, v0
	v_cmp_ne_u32_e64 s2, 0x7f800000, v1
	s_delay_alu instid0(VALU_DEP_1) | instskip(NEXT) | instid1(SALU_CYCLE_1)
	s_and_saveexec_b32 s3, s2
	s_xor_b32 s2, exec_lo, s3
; %bb.2369:                             ;   in Loop: Header=BB468_8 Depth=1
	v_bfe_u32 v1, v0, 16, 1
	s_delay_alu instid0(VALU_DEP_1)
	v_add3_u32 v124, v0, v1, 0x7fff
                                        ; implicit-def: $vgpr0
; %bb.2370:                             ;   in Loop: Header=BB468_8 Depth=1
	s_and_not1_saveexec_b32 s3, s2
; %bb.2371:                             ;   in Loop: Header=BB468_8 Depth=1
	v_and_b32_e32 v1, 0xffff, v0
	v_or_b32_e32 v2, 0x10000, v0
	s_delay_alu instid0(VALU_DEP_2) | instskip(NEXT) | instid1(VALU_DEP_1)
	v_cmp_eq_u32_e64 s2, 0, v1
	v_cndmask_b32_e64 v124, v2, v0, s2
; %bb.2372:                             ;   in Loop: Header=BB468_8 Depth=1
	s_or_b32 exec_lo, exec_lo, s3
	v_lshrrev_b16 v1, 8, v18
	v_mov_b32_e32 v0, 0
	s_mov_b32 s3, exec_lo
	s_delay_alu instid0(VALU_DEP_2)
	v_cmpx_ne_u16_e32 0, v1
	s_cbranch_execz .LBB468_2380
; %bb.2373:                             ;   in Loop: Header=BB468_8 Depth=1
	v_bfrev_b32_e32 v0, 1
	s_mov_b32 s17, exec_lo
	v_cmpx_ne_u16_e32 0x80, v1
	s_cbranch_execz .LBB468_2379
; %bb.2374:                             ;   in Loop: Header=BB468_8 Depth=1
	v_and_b32_e32 v2, 0xffff, v1
	v_mov_b32_e32 v0, 0x7f800001
	s_mov_b32 s19, exec_lo
	s_delay_alu instid0(VALU_DEP_2) | instskip(NEXT) | instid1(VALU_DEP_1)
	v_and_b32_e32 v1, 0x7f, v2
	v_cmpx_ne_u32_e32 0x7f, v1
	s_cbranch_execz .LBB468_2378
; %bb.2375:                             ;   in Loop: Header=BB468_8 Depth=1
	v_dual_mov_b32 v33, v19 :: v_dual_and_b32 v32, 7, v2
	v_lshrrev_b32_e32 v0, 3, v1
	s_mov_b32 s21, exec_lo
	v_cmpx_gt_u32_e32 8, v1
; %bb.2376:                             ;   in Loop: Header=BB468_8 Depth=1
	s_delay_alu instid0(VALU_DEP_3) | instskip(NEXT) | instid1(VALU_DEP_1)
	v_clz_i32_u32_e32 v0, v32
	v_min_u32_e32 v0, 32, v0
	s_delay_alu instid0(VALU_DEP_1) | instskip(SKIP_1) | instid1(VALU_DEP_2)
	v_subrev_nc_u32_e32 v1, 28, v0
	v_sub_nc_u32_e32 v0, 29, v0
	v_lshlrev_b64 v[1:2], v1, v[32:33]
	s_delay_alu instid0(VALU_DEP_1)
	v_and_b32_e32 v32, 7, v1
; %bb.2377:                             ;   in Loop: Header=BB468_8 Depth=1
	s_or_b32 exec_lo, exec_lo, s21
	v_lshlrev_b32_e32 v1, 16, v18
	s_delay_alu instid0(VALU_DEP_2) | instskip(SKIP_1) | instid1(VALU_DEP_3)
	v_lshlrev_b32_e32 v2, 20, v32
	v_lshl_add_u32 v0, v0, 23, 0x3c000000
	v_and_b32_e32 v1, 0x80000000, v1
	s_delay_alu instid0(VALU_DEP_1)
	v_or3_b32 v0, v2, v1, v0
.LBB468_2378:                           ;   in Loop: Header=BB468_8 Depth=1
	s_or_b32 exec_lo, exec_lo, s19
.LBB468_2379:                           ;   in Loop: Header=BB468_8 Depth=1
	s_delay_alu instid0(SALU_CYCLE_1)
	s_or_b32 exec_lo, exec_lo, s17
.LBB468_2380:                           ;   in Loop: Header=BB468_8 Depth=1
	s_delay_alu instid0(SALU_CYCLE_1) | instskip(NEXT) | instid1(VALU_DEP_1)
	s_or_b32 exec_lo, exec_lo, s3
	v_mul_f32_e32 v0, v79, v0
                                        ; implicit-def: $vgpr125
	s_delay_alu instid0(VALU_DEP_1) | instskip(NEXT) | instid1(VALU_DEP_1)
	v_and_b32_e32 v1, 0x7f800000, v0
	v_cmp_ne_u32_e64 s2, 0x7f800000, v1
	s_delay_alu instid0(VALU_DEP_1) | instskip(NEXT) | instid1(SALU_CYCLE_1)
	s_and_saveexec_b32 s3, s2
	s_xor_b32 s2, exec_lo, s3
; %bb.2381:                             ;   in Loop: Header=BB468_8 Depth=1
	v_bfe_u32 v1, v0, 16, 1
	s_delay_alu instid0(VALU_DEP_1)
	v_add3_u32 v125, v0, v1, 0x7fff
                                        ; implicit-def: $vgpr0
; %bb.2382:                             ;   in Loop: Header=BB468_8 Depth=1
	s_and_not1_saveexec_b32 s3, s2
; %bb.2383:                             ;   in Loop: Header=BB468_8 Depth=1
	v_and_b32_e32 v1, 0xffff, v0
	v_or_b32_e32 v2, 0x10000, v0
	s_delay_alu instid0(VALU_DEP_2) | instskip(NEXT) | instid1(VALU_DEP_1)
	v_cmp_eq_u32_e64 s2, 0, v1
	v_cndmask_b32_e64 v125, v2, v0, s2
; %bb.2384:                             ;   in Loop: Header=BB468_8 Depth=1
	s_or_b32 exec_lo, exec_lo, s3
	v_lshrrev_b32_e32 v0, 16, v31
	s_mov_b32 s3, exec_lo
	s_delay_alu instid0(VALU_DEP_1) | instskip(NEXT) | instid1(VALU_DEP_1)
	v_dual_mov_b32 v1, 0 :: v_dual_and_b32 v2, 0xff, v0
	v_cmpx_ne_u16_e32 0, v2
	s_cbranch_execz .LBB468_2392
; %bb.2385:                             ;   in Loop: Header=BB468_8 Depth=1
	v_bfrev_b32_e32 v1, 1
	s_mov_b32 s17, exec_lo
	v_cmpx_ne_u16_e32 0x80, v2
	s_cbranch_execz .LBB468_2391
; %bb.2386:                             ;   in Loop: Header=BB468_8 Depth=1
	v_bfe_u32 v2, v31, 16, 7
	v_mov_b32_e32 v1, 0x7f800001
	s_mov_b32 s19, exec_lo
	s_delay_alu instid0(VALU_DEP_2)
	v_cmpx_ne_u32_e32 0x7f, v2
	s_cbranch_execz .LBB468_2390
; %bb.2387:                             ;   in Loop: Header=BB468_8 Depth=1
	v_and_b32_e32 v18, 7, v0
	v_mov_b32_e32 v33, v19
	v_lshrrev_b32_e32 v1, 3, v2
	s_mov_b32 s21, exec_lo
	s_delay_alu instid0(VALU_DEP_3)
	v_mov_b32_e32 v32, v18
	v_cmpx_gt_u32_e32 8, v2
; %bb.2388:                             ;   in Loop: Header=BB468_8 Depth=1
	v_clz_i32_u32_e32 v1, v18
	s_delay_alu instid0(VALU_DEP_1) | instskip(NEXT) | instid1(VALU_DEP_1)
	v_min_u32_e32 v1, 32, v1
	v_subrev_nc_u32_e32 v2, 28, v1
	v_sub_nc_u32_e32 v1, 29, v1
	s_delay_alu instid0(VALU_DEP_2) | instskip(NEXT) | instid1(VALU_DEP_1)
	v_lshlrev_b64 v[2:3], v2, v[18:19]
	v_and_b32_e32 v32, 7, v2
; %bb.2389:                             ;   in Loop: Header=BB468_8 Depth=1
	s_or_b32 exec_lo, exec_lo, s21
	v_lshlrev_b32_e32 v0, 24, v0
	s_delay_alu instid0(VALU_DEP_2) | instskip(SKIP_1) | instid1(VALU_DEP_3)
	v_lshlrev_b32_e32 v2, 20, v32
	v_lshl_add_u32 v1, v1, 23, 0x3c000000
	v_and_b32_e32 v0, 0x80000000, v0
	s_delay_alu instid0(VALU_DEP_1)
	v_or3_b32 v1, v2, v0, v1
.LBB468_2390:                           ;   in Loop: Header=BB468_8 Depth=1
	s_or_b32 exec_lo, exec_lo, s19
.LBB468_2391:                           ;   in Loop: Header=BB468_8 Depth=1
	s_delay_alu instid0(SALU_CYCLE_1)
	s_or_b32 exec_lo, exec_lo, s17
.LBB468_2392:                           ;   in Loop: Header=BB468_8 Depth=1
	s_delay_alu instid0(SALU_CYCLE_1) | instskip(NEXT) | instid1(VALU_DEP_1)
	s_or_b32 exec_lo, exec_lo, s3
	v_mul_f32_e32 v0, v79, v1
                                        ; implicit-def: $vgpr126
	s_delay_alu instid0(VALU_DEP_1) | instskip(NEXT) | instid1(VALU_DEP_1)
	v_and_b32_e32 v1, 0x7f800000, v0
	v_cmp_ne_u32_e64 s2, 0x7f800000, v1
	s_delay_alu instid0(VALU_DEP_1) | instskip(NEXT) | instid1(SALU_CYCLE_1)
	s_and_saveexec_b32 s3, s2
	s_xor_b32 s2, exec_lo, s3
; %bb.2393:                             ;   in Loop: Header=BB468_8 Depth=1
	v_bfe_u32 v1, v0, 16, 1
	s_delay_alu instid0(VALU_DEP_1)
	v_add3_u32 v126, v0, v1, 0x7fff
                                        ; implicit-def: $vgpr0
; %bb.2394:                             ;   in Loop: Header=BB468_8 Depth=1
	s_and_not1_saveexec_b32 s3, s2
; %bb.2395:                             ;   in Loop: Header=BB468_8 Depth=1
	v_and_b32_e32 v1, 0xffff, v0
	v_or_b32_e32 v2, 0x10000, v0
	s_delay_alu instid0(VALU_DEP_2) | instskip(NEXT) | instid1(VALU_DEP_1)
	v_cmp_eq_u32_e64 s2, 0, v1
	v_cndmask_b32_e64 v126, v2, v0, s2
; %bb.2396:                             ;   in Loop: Header=BB468_8 Depth=1
	s_or_b32 exec_lo, exec_lo, s3
	v_mov_b32_e32 v1, 0
	s_mov_b32 s3, exec_lo
	v_cmpx_lt_u64_e64 s[4:5], v[30:31]
	s_cbranch_execz .LBB468_2404
; %bb.2397:                             ;   in Loop: Header=BB468_8 Depth=1
	v_lshrrev_b32_e32 v0, 24, v31
	v_bfrev_b32_e32 v1, 1
	s_mov_b32 s17, exec_lo
	s_delay_alu instid0(VALU_DEP_2)
	v_cmpx_ne_u32_e32 0x80, v0
	s_cbranch_execz .LBB468_2403
; %bb.2398:                             ;   in Loop: Header=BB468_8 Depth=1
	v_bfe_u32 v2, v31, 24, 7
	v_mov_b32_e32 v1, 0x7f800001
	s_mov_b32 s19, exec_lo
	s_delay_alu instid0(VALU_DEP_2)
	v_cmpx_ne_u32_e32 0x7f, v2
	s_cbranch_execz .LBB468_2402
; %bb.2399:                             ;   in Loop: Header=BB468_8 Depth=1
	v_and_b32_e32 v18, 7, v0
	v_mov_b32_e32 v31, v19
	v_lshrrev_b32_e32 v1, 3, v2
	s_mov_b32 s21, exec_lo
	s_delay_alu instid0(VALU_DEP_3)
	v_mov_b32_e32 v30, v18
	v_cmpx_gt_u32_e32 8, v2
; %bb.2400:                             ;   in Loop: Header=BB468_8 Depth=1
	v_clz_i32_u32_e32 v1, v18
	s_delay_alu instid0(VALU_DEP_1) | instskip(NEXT) | instid1(VALU_DEP_1)
	v_min_u32_e32 v1, 32, v1
	v_subrev_nc_u32_e32 v2, 28, v1
	v_sub_nc_u32_e32 v1, 29, v1
	s_delay_alu instid0(VALU_DEP_2) | instskip(NEXT) | instid1(VALU_DEP_1)
	v_lshlrev_b64 v[2:3], v2, v[18:19]
	v_and_b32_e32 v30, 7, v2
; %bb.2401:                             ;   in Loop: Header=BB468_8 Depth=1
	s_or_b32 exec_lo, exec_lo, s21
	v_lshlrev_b32_e32 v0, 24, v0
	s_delay_alu instid0(VALU_DEP_2) | instskip(SKIP_1) | instid1(VALU_DEP_3)
	v_lshlrev_b32_e32 v2, 20, v30
	v_lshl_add_u32 v1, v1, 23, 0x3c000000
	v_and_b32_e32 v0, 0x80000000, v0
	s_delay_alu instid0(VALU_DEP_1)
	v_or3_b32 v1, v2, v0, v1
.LBB468_2402:                           ;   in Loop: Header=BB468_8 Depth=1
	s_or_b32 exec_lo, exec_lo, s19
.LBB468_2403:                           ;   in Loop: Header=BB468_8 Depth=1
	s_delay_alu instid0(SALU_CYCLE_1)
	s_or_b32 exec_lo, exec_lo, s17
.LBB468_2404:                           ;   in Loop: Header=BB468_8 Depth=1
	s_delay_alu instid0(SALU_CYCLE_1) | instskip(NEXT) | instid1(VALU_DEP_1)
	s_or_b32 exec_lo, exec_lo, s3
	v_mul_f32_e32 v0, v79, v1
                                        ; implicit-def: $vgpr127
	s_delay_alu instid0(VALU_DEP_1) | instskip(NEXT) | instid1(VALU_DEP_1)
	v_and_b32_e32 v1, 0x7f800000, v0
	v_cmp_ne_u32_e64 s2, 0x7f800000, v1
	s_delay_alu instid0(VALU_DEP_1) | instskip(NEXT) | instid1(SALU_CYCLE_1)
	s_and_saveexec_b32 s3, s2
	s_xor_b32 s2, exec_lo, s3
; %bb.2405:                             ;   in Loop: Header=BB468_8 Depth=1
	v_bfe_u32 v1, v0, 16, 1
	s_delay_alu instid0(VALU_DEP_1)
	v_add3_u32 v127, v0, v1, 0x7fff
                                        ; implicit-def: $vgpr0
; %bb.2406:                             ;   in Loop: Header=BB468_8 Depth=1
	s_and_not1_saveexec_b32 s3, s2
; %bb.2407:                             ;   in Loop: Header=BB468_8 Depth=1
	v_and_b32_e32 v1, 0xffff, v0
	v_or_b32_e32 v2, 0x10000, v0
	s_delay_alu instid0(VALU_DEP_2) | instskip(NEXT) | instid1(VALU_DEP_1)
	v_cmp_eq_u32_e64 s2, 0, v1
	v_cndmask_b32_e64 v127, v2, v0, s2
; %bb.2408:                             ;   in Loop: Header=BB468_8 Depth=1
	s_or_b32 exec_lo, exec_lo, s3
	flat_load_b64 v[30:31], v[28:29] offset:2056
	s_mov_b32 s3, exec_lo
	s_waitcnt vmcnt(0) lgkmcnt(0)
	v_dual_mov_b32 v0, 0 :: v_dual_and_b32 v1, 0xff, v30
	s_delay_alu instid0(VALU_DEP_1)
	v_cmpx_ne_u16_e32 0, v1
	s_cbranch_execz .LBB468_2416
; %bb.2409:                             ;   in Loop: Header=BB468_8 Depth=1
	v_bfrev_b32_e32 v0, 1
	s_mov_b32 s17, exec_lo
	v_cmpx_ne_u16_e32 0x80, v1
	s_cbranch_execz .LBB468_2415
; %bb.2410:                             ;   in Loop: Header=BB468_8 Depth=1
	v_and_b32_e32 v1, 0x7f, v30
	v_mov_b32_e32 v0, 0x7f800001
	s_mov_b32 s19, exec_lo
	s_delay_alu instid0(VALU_DEP_2)
	v_cmpx_ne_u32_e32 0x7f, v1
	s_cbranch_execz .LBB468_2414
; %bb.2411:                             ;   in Loop: Header=BB468_8 Depth=1
	v_lshrrev_b32_e32 v0, 3, v1
	v_dual_mov_b32 v33, v31 :: v_dual_mov_b32 v32, v30
	s_mov_b32 s21, exec_lo
	v_cmpx_gt_u32_e32 8, v1
; %bb.2412:                             ;   in Loop: Header=BB468_8 Depth=1
	v_and_b32_e32 v0, 7, v30
	s_delay_alu instid0(VALU_DEP_1) | instskip(NEXT) | instid1(VALU_DEP_1)
	v_clz_i32_u32_e32 v0, v0
	v_min_u32_e32 v0, 32, v0
	s_delay_alu instid0(VALU_DEP_1) | instskip(SKIP_1) | instid1(VALU_DEP_2)
	v_subrev_nc_u32_e32 v1, 28, v0
	v_sub_nc_u32_e32 v0, 29, v0
	v_lshlrev_b64 v[32:33], v1, v[30:31]
; %bb.2413:                             ;   in Loop: Header=BB468_8 Depth=1
	s_or_b32 exec_lo, exec_lo, s21
	s_delay_alu instid0(VALU_DEP_1) | instskip(SKIP_2) | instid1(VALU_DEP_3)
	v_lshlrev_b32_e32 v1, 20, v32
	v_lshlrev_b32_e32 v2, 24, v30
	v_lshl_add_u32 v0, v0, 23, 0x3c000000
	v_and_b32_e32 v1, 0x700000, v1
	s_delay_alu instid0(VALU_DEP_3) | instskip(NEXT) | instid1(VALU_DEP_1)
	v_and_b32_e32 v2, 0x80000000, v2
	v_or3_b32 v0, v1, v2, v0
.LBB468_2414:                           ;   in Loop: Header=BB468_8 Depth=1
	s_or_b32 exec_lo, exec_lo, s19
.LBB468_2415:                           ;   in Loop: Header=BB468_8 Depth=1
	s_delay_alu instid0(SALU_CYCLE_1)
	s_or_b32 exec_lo, exec_lo, s17
.LBB468_2416:                           ;   in Loop: Header=BB468_8 Depth=1
	s_delay_alu instid0(SALU_CYCLE_1) | instskip(NEXT) | instid1(VALU_DEP_1)
	s_or_b32 exec_lo, exec_lo, s3
	v_mul_f32_e32 v0, v79, v0
                                        ; implicit-def: $vgpr136
	s_delay_alu instid0(VALU_DEP_1) | instskip(NEXT) | instid1(VALU_DEP_1)
	v_and_b32_e32 v1, 0x7f800000, v0
	v_cmp_ne_u32_e64 s2, 0x7f800000, v1
	s_delay_alu instid0(VALU_DEP_1) | instskip(NEXT) | instid1(SALU_CYCLE_1)
	s_and_saveexec_b32 s3, s2
	s_xor_b32 s2, exec_lo, s3
; %bb.2417:                             ;   in Loop: Header=BB468_8 Depth=1
	v_bfe_u32 v1, v0, 16, 1
	s_delay_alu instid0(VALU_DEP_1)
	v_add3_u32 v136, v0, v1, 0x7fff
                                        ; implicit-def: $vgpr0
; %bb.2418:                             ;   in Loop: Header=BB468_8 Depth=1
	s_and_not1_saveexec_b32 s3, s2
; %bb.2419:                             ;   in Loop: Header=BB468_8 Depth=1
	v_and_b32_e32 v1, 0xffff, v0
	v_or_b32_e32 v2, 0x10000, v0
	s_delay_alu instid0(VALU_DEP_2) | instskip(NEXT) | instid1(VALU_DEP_1)
	v_cmp_eq_u32_e64 s2, 0, v1
	v_cndmask_b32_e64 v136, v2, v0, s2
; %bb.2420:                             ;   in Loop: Header=BB468_8 Depth=1
	s_or_b32 exec_lo, exec_lo, s3
	v_lshrrev_b16 v1, 8, v30
	v_mov_b32_e32 v0, 0
	s_mov_b32 s3, exec_lo
	s_delay_alu instid0(VALU_DEP_2)
	v_cmpx_ne_u16_e32 0, v1
	s_cbranch_execz .LBB468_2428
; %bb.2421:                             ;   in Loop: Header=BB468_8 Depth=1
	v_bfrev_b32_e32 v0, 1
	s_mov_b32 s17, exec_lo
	v_cmpx_ne_u16_e32 0x80, v1
	s_cbranch_execz .LBB468_2427
; %bb.2422:                             ;   in Loop: Header=BB468_8 Depth=1
	v_and_b32_e32 v2, 0xffff, v1
	v_mov_b32_e32 v0, 0x7f800001
	s_mov_b32 s19, exec_lo
	s_delay_alu instid0(VALU_DEP_2) | instskip(NEXT) | instid1(VALU_DEP_1)
	v_and_b32_e32 v1, 0x7f, v2
	v_cmpx_ne_u32_e32 0x7f, v1
	s_cbranch_execz .LBB468_2426
; %bb.2423:                             ;   in Loop: Header=BB468_8 Depth=1
	v_and_b32_e32 v18, 7, v2
	v_mov_b32_e32 v33, v19
	v_lshrrev_b32_e32 v0, 3, v1
	s_mov_b32 s21, exec_lo
	s_delay_alu instid0(VALU_DEP_3)
	v_mov_b32_e32 v32, v18
	v_cmpx_gt_u32_e32 8, v1
; %bb.2424:                             ;   in Loop: Header=BB468_8 Depth=1
	v_clz_i32_u32_e32 v0, v18
	s_delay_alu instid0(VALU_DEP_1) | instskip(NEXT) | instid1(VALU_DEP_1)
	v_min_u32_e32 v0, 32, v0
	v_subrev_nc_u32_e32 v1, 28, v0
	v_sub_nc_u32_e32 v0, 29, v0
	s_delay_alu instid0(VALU_DEP_2) | instskip(NEXT) | instid1(VALU_DEP_1)
	v_lshlrev_b64 v[1:2], v1, v[18:19]
	v_and_b32_e32 v32, 7, v1
; %bb.2425:                             ;   in Loop: Header=BB468_8 Depth=1
	s_or_b32 exec_lo, exec_lo, s21
	v_lshlrev_b32_e32 v1, 16, v30
	s_delay_alu instid0(VALU_DEP_2) | instskip(SKIP_1) | instid1(VALU_DEP_3)
	v_lshlrev_b32_e32 v2, 20, v32
	v_lshl_add_u32 v0, v0, 23, 0x3c000000
	v_and_b32_e32 v1, 0x80000000, v1
	s_delay_alu instid0(VALU_DEP_1)
	v_or3_b32 v0, v2, v1, v0
.LBB468_2426:                           ;   in Loop: Header=BB468_8 Depth=1
	s_or_b32 exec_lo, exec_lo, s19
.LBB468_2427:                           ;   in Loop: Header=BB468_8 Depth=1
	s_delay_alu instid0(SALU_CYCLE_1)
	s_or_b32 exec_lo, exec_lo, s17
.LBB468_2428:                           ;   in Loop: Header=BB468_8 Depth=1
	s_delay_alu instid0(SALU_CYCLE_1) | instskip(NEXT) | instid1(VALU_DEP_1)
	s_or_b32 exec_lo, exec_lo, s3
	v_mul_f32_e32 v0, v79, v0
                                        ; implicit-def: $vgpr137
	s_delay_alu instid0(VALU_DEP_1) | instskip(NEXT) | instid1(VALU_DEP_1)
	v_and_b32_e32 v1, 0x7f800000, v0
	v_cmp_ne_u32_e64 s2, 0x7f800000, v1
	s_delay_alu instid0(VALU_DEP_1) | instskip(NEXT) | instid1(SALU_CYCLE_1)
	s_and_saveexec_b32 s3, s2
	s_xor_b32 s2, exec_lo, s3
; %bb.2429:                             ;   in Loop: Header=BB468_8 Depth=1
	v_bfe_u32 v1, v0, 16, 1
	s_delay_alu instid0(VALU_DEP_1)
	v_add3_u32 v137, v0, v1, 0x7fff
                                        ; implicit-def: $vgpr0
; %bb.2430:                             ;   in Loop: Header=BB468_8 Depth=1
	s_and_not1_saveexec_b32 s3, s2
; %bb.2431:                             ;   in Loop: Header=BB468_8 Depth=1
	v_and_b32_e32 v1, 0xffff, v0
	v_or_b32_e32 v2, 0x10000, v0
	s_delay_alu instid0(VALU_DEP_2) | instskip(NEXT) | instid1(VALU_DEP_1)
	v_cmp_eq_u32_e64 s2, 0, v1
	v_cndmask_b32_e64 v137, v2, v0, s2
; %bb.2432:                             ;   in Loop: Header=BB468_8 Depth=1
	s_or_b32 exec_lo, exec_lo, s3
	v_lshrrev_b32_e32 v0, 16, v30
	s_mov_b32 s3, exec_lo
	s_delay_alu instid0(VALU_DEP_1) | instskip(NEXT) | instid1(VALU_DEP_1)
	v_dual_mov_b32 v1, 0 :: v_dual_and_b32 v2, 0xff, v0
	v_cmpx_ne_u16_e32 0, v2
	s_cbranch_execz .LBB468_2440
; %bb.2433:                             ;   in Loop: Header=BB468_8 Depth=1
	v_bfrev_b32_e32 v1, 1
	s_mov_b32 s17, exec_lo
	v_cmpx_ne_u16_e32 0x80, v2
	s_cbranch_execz .LBB468_2439
; %bb.2434:                             ;   in Loop: Header=BB468_8 Depth=1
	v_bfe_u32 v2, v30, 16, 7
	v_mov_b32_e32 v1, 0x7f800001
	s_mov_b32 s19, exec_lo
	s_delay_alu instid0(VALU_DEP_2)
	v_cmpx_ne_u32_e32 0x7f, v2
	s_cbranch_execz .LBB468_2438
; %bb.2435:                             ;   in Loop: Header=BB468_8 Depth=1
	v_and_b32_e32 v18, 7, v0
	v_mov_b32_e32 v33, v19
	v_lshrrev_b32_e32 v1, 3, v2
	s_mov_b32 s21, exec_lo
	s_delay_alu instid0(VALU_DEP_3)
	v_mov_b32_e32 v32, v18
	v_cmpx_gt_u32_e32 8, v2
; %bb.2436:                             ;   in Loop: Header=BB468_8 Depth=1
	v_clz_i32_u32_e32 v1, v18
	s_delay_alu instid0(VALU_DEP_1) | instskip(NEXT) | instid1(VALU_DEP_1)
	v_min_u32_e32 v1, 32, v1
	v_subrev_nc_u32_e32 v2, 28, v1
	v_sub_nc_u32_e32 v1, 29, v1
	s_delay_alu instid0(VALU_DEP_2) | instskip(NEXT) | instid1(VALU_DEP_1)
	v_lshlrev_b64 v[2:3], v2, v[18:19]
	v_and_b32_e32 v32, 7, v2
; %bb.2437:                             ;   in Loop: Header=BB468_8 Depth=1
	s_or_b32 exec_lo, exec_lo, s21
	v_lshlrev_b32_e32 v0, 24, v0
	s_delay_alu instid0(VALU_DEP_2) | instskip(SKIP_1) | instid1(VALU_DEP_3)
	v_lshlrev_b32_e32 v2, 20, v32
	v_lshl_add_u32 v1, v1, 23, 0x3c000000
	v_and_b32_e32 v0, 0x80000000, v0
	s_delay_alu instid0(VALU_DEP_1)
	v_or3_b32 v1, v2, v0, v1
.LBB468_2438:                           ;   in Loop: Header=BB468_8 Depth=1
	s_or_b32 exec_lo, exec_lo, s19
.LBB468_2439:                           ;   in Loop: Header=BB468_8 Depth=1
	s_delay_alu instid0(SALU_CYCLE_1)
	s_or_b32 exec_lo, exec_lo, s17
.LBB468_2440:                           ;   in Loop: Header=BB468_8 Depth=1
	s_delay_alu instid0(SALU_CYCLE_1) | instskip(NEXT) | instid1(VALU_DEP_1)
	s_or_b32 exec_lo, exec_lo, s3
	v_mul_f32_e32 v0, v79, v1
                                        ; implicit-def: $vgpr138
	s_delay_alu instid0(VALU_DEP_1) | instskip(NEXT) | instid1(VALU_DEP_1)
	v_and_b32_e32 v1, 0x7f800000, v0
	v_cmp_ne_u32_e64 s2, 0x7f800000, v1
	s_delay_alu instid0(VALU_DEP_1) | instskip(NEXT) | instid1(SALU_CYCLE_1)
	s_and_saveexec_b32 s3, s2
	s_xor_b32 s2, exec_lo, s3
; %bb.2441:                             ;   in Loop: Header=BB468_8 Depth=1
	v_bfe_u32 v1, v0, 16, 1
	s_delay_alu instid0(VALU_DEP_1)
	v_add3_u32 v138, v0, v1, 0x7fff
                                        ; implicit-def: $vgpr0
; %bb.2442:                             ;   in Loop: Header=BB468_8 Depth=1
	s_and_not1_saveexec_b32 s3, s2
; %bb.2443:                             ;   in Loop: Header=BB468_8 Depth=1
	v_and_b32_e32 v1, 0xffff, v0
	v_or_b32_e32 v2, 0x10000, v0
	s_delay_alu instid0(VALU_DEP_2) | instskip(NEXT) | instid1(VALU_DEP_1)
	v_cmp_eq_u32_e64 s2, 0, v1
	v_cndmask_b32_e64 v138, v2, v0, s2
; %bb.2444:                             ;   in Loop: Header=BB468_8 Depth=1
	s_or_b32 exec_lo, exec_lo, s3
	v_mov_b32_e32 v1, 0
	s_mov_b32 s3, exec_lo
	v_cmpx_lt_u32_e32 0xffffff, v30
	s_cbranch_execz .LBB468_2452
; %bb.2445:                             ;   in Loop: Header=BB468_8 Depth=1
	v_lshrrev_b32_e32 v0, 24, v30
	v_bfrev_b32_e32 v1, 1
	s_mov_b32 s17, exec_lo
	s_delay_alu instid0(VALU_DEP_2)
	v_cmpx_ne_u32_e32 0x80, v0
	s_cbranch_execz .LBB468_2451
; %bb.2446:                             ;   in Loop: Header=BB468_8 Depth=1
	v_bfe_u32 v2, v30, 24, 7
	v_mov_b32_e32 v1, 0x7f800001
	s_mov_b32 s19, exec_lo
	s_delay_alu instid0(VALU_DEP_2)
	v_cmpx_ne_u32_e32 0x7f, v2
	s_cbranch_execz .LBB468_2450
; %bb.2447:                             ;   in Loop: Header=BB468_8 Depth=1
	v_and_b32_e32 v18, 7, v0
	v_mov_b32_e32 v33, v19
	v_lshrrev_b32_e32 v1, 3, v2
	s_mov_b32 s21, exec_lo
	s_delay_alu instid0(VALU_DEP_3)
	v_mov_b32_e32 v32, v18
	v_cmpx_gt_u32_e32 8, v2
; %bb.2448:                             ;   in Loop: Header=BB468_8 Depth=1
	v_clz_i32_u32_e32 v1, v18
	s_delay_alu instid0(VALU_DEP_1) | instskip(NEXT) | instid1(VALU_DEP_1)
	v_min_u32_e32 v1, 32, v1
	v_subrev_nc_u32_e32 v2, 28, v1
	v_sub_nc_u32_e32 v1, 29, v1
	s_delay_alu instid0(VALU_DEP_2) | instskip(NEXT) | instid1(VALU_DEP_1)
	v_lshlrev_b64 v[2:3], v2, v[18:19]
	v_and_b32_e32 v32, 7, v2
; %bb.2449:                             ;   in Loop: Header=BB468_8 Depth=1
	s_or_b32 exec_lo, exec_lo, s21
	v_lshlrev_b32_e32 v0, 24, v0
	s_delay_alu instid0(VALU_DEP_2) | instskip(SKIP_1) | instid1(VALU_DEP_3)
	v_lshlrev_b32_e32 v2, 20, v32
	v_lshl_add_u32 v1, v1, 23, 0x3c000000
	v_and_b32_e32 v0, 0x80000000, v0
	s_delay_alu instid0(VALU_DEP_1)
	v_or3_b32 v1, v2, v0, v1
.LBB468_2450:                           ;   in Loop: Header=BB468_8 Depth=1
	s_or_b32 exec_lo, exec_lo, s19
.LBB468_2451:                           ;   in Loop: Header=BB468_8 Depth=1
	s_delay_alu instid0(SALU_CYCLE_1)
	s_or_b32 exec_lo, exec_lo, s17
.LBB468_2452:                           ;   in Loop: Header=BB468_8 Depth=1
	s_delay_alu instid0(SALU_CYCLE_1) | instskip(NEXT) | instid1(VALU_DEP_1)
	s_or_b32 exec_lo, exec_lo, s3
	v_mul_f32_e32 v0, v79, v1
                                        ; implicit-def: $vgpr139
	s_delay_alu instid0(VALU_DEP_1) | instskip(NEXT) | instid1(VALU_DEP_1)
	v_and_b32_e32 v1, 0x7f800000, v0
	v_cmp_ne_u32_e64 s2, 0x7f800000, v1
	s_delay_alu instid0(VALU_DEP_1) | instskip(NEXT) | instid1(SALU_CYCLE_1)
	s_and_saveexec_b32 s3, s2
	s_xor_b32 s2, exec_lo, s3
; %bb.2453:                             ;   in Loop: Header=BB468_8 Depth=1
	v_bfe_u32 v1, v0, 16, 1
	s_delay_alu instid0(VALU_DEP_1)
	v_add3_u32 v139, v0, v1, 0x7fff
                                        ; implicit-def: $vgpr0
; %bb.2454:                             ;   in Loop: Header=BB468_8 Depth=1
	s_and_not1_saveexec_b32 s3, s2
; %bb.2455:                             ;   in Loop: Header=BB468_8 Depth=1
	v_and_b32_e32 v1, 0xffff, v0
	v_or_b32_e32 v2, 0x10000, v0
	s_delay_alu instid0(VALU_DEP_2) | instskip(NEXT) | instid1(VALU_DEP_1)
	v_cmp_eq_u32_e64 s2, 0, v1
	v_cndmask_b32_e64 v139, v2, v0, s2
; %bb.2456:                             ;   in Loop: Header=BB468_8 Depth=1
	s_or_b32 exec_lo, exec_lo, s3
	v_dual_mov_b32 v18, v31 :: v_dual_and_b32 v1, 0xff, v31
	v_mov_b32_e32 v0, 0
	s_mov_b32 s3, exec_lo
	s_delay_alu instid0(VALU_DEP_2)
	v_cmpx_ne_u16_e32 0, v1
	s_cbranch_execz .LBB468_2464
; %bb.2457:                             ;   in Loop: Header=BB468_8 Depth=1
	v_bfrev_b32_e32 v0, 1
	s_mov_b32 s17, exec_lo
	v_cmpx_ne_u16_e32 0x80, v1
	s_cbranch_execz .LBB468_2463
; %bb.2458:                             ;   in Loop: Header=BB468_8 Depth=1
	v_and_b32_e32 v1, 0x7f, v31
	v_mov_b32_e32 v0, 0x7f800001
	s_mov_b32 s19, exec_lo
	s_delay_alu instid0(VALU_DEP_2)
	v_cmpx_ne_u32_e32 0x7f, v1
	s_cbranch_execz .LBB468_2462
; %bb.2459:                             ;   in Loop: Header=BB468_8 Depth=1
	v_dual_mov_b32 v33, v19 :: v_dual_mov_b32 v32, v18
	v_lshrrev_b32_e32 v0, 3, v1
	s_mov_b32 s21, exec_lo
	v_cmpx_gt_u32_e32 8, v1
; %bb.2460:                             ;   in Loop: Header=BB468_8 Depth=1
	v_and_b32_e32 v0, 7, v31
	s_delay_alu instid0(VALU_DEP_1) | instskip(NEXT) | instid1(VALU_DEP_1)
	v_clz_i32_u32_e32 v0, v0
	v_min_u32_e32 v0, 32, v0
	s_delay_alu instid0(VALU_DEP_1) | instskip(SKIP_1) | instid1(VALU_DEP_2)
	v_subrev_nc_u32_e32 v1, 28, v0
	v_sub_nc_u32_e32 v0, 29, v0
	v_lshlrev_b64 v[32:33], v1, v[18:19]
; %bb.2461:                             ;   in Loop: Header=BB468_8 Depth=1
	s_or_b32 exec_lo, exec_lo, s21
	s_delay_alu instid0(VALU_DEP_1) | instskip(SKIP_2) | instid1(VALU_DEP_3)
	v_lshlrev_b32_e32 v1, 20, v32
	v_lshlrev_b32_e32 v2, 24, v18
	v_lshl_add_u32 v0, v0, 23, 0x3c000000
	v_and_b32_e32 v1, 0x700000, v1
	s_delay_alu instid0(VALU_DEP_3) | instskip(NEXT) | instid1(VALU_DEP_1)
	v_and_b32_e32 v2, 0x80000000, v2
	v_or3_b32 v0, v1, v2, v0
.LBB468_2462:                           ;   in Loop: Header=BB468_8 Depth=1
	s_or_b32 exec_lo, exec_lo, s19
.LBB468_2463:                           ;   in Loop: Header=BB468_8 Depth=1
	s_delay_alu instid0(SALU_CYCLE_1)
	s_or_b32 exec_lo, exec_lo, s17
.LBB468_2464:                           ;   in Loop: Header=BB468_8 Depth=1
	s_delay_alu instid0(SALU_CYCLE_1) | instskip(NEXT) | instid1(VALU_DEP_1)
	s_or_b32 exec_lo, exec_lo, s3
	v_mul_f32_e32 v0, v79, v0
                                        ; implicit-def: $vgpr140
	s_delay_alu instid0(VALU_DEP_1) | instskip(NEXT) | instid1(VALU_DEP_1)
	v_and_b32_e32 v1, 0x7f800000, v0
	v_cmp_ne_u32_e64 s2, 0x7f800000, v1
	s_delay_alu instid0(VALU_DEP_1) | instskip(NEXT) | instid1(SALU_CYCLE_1)
	s_and_saveexec_b32 s3, s2
	s_xor_b32 s2, exec_lo, s3
; %bb.2465:                             ;   in Loop: Header=BB468_8 Depth=1
	v_bfe_u32 v1, v0, 16, 1
	s_delay_alu instid0(VALU_DEP_1)
	v_add3_u32 v140, v0, v1, 0x7fff
                                        ; implicit-def: $vgpr0
; %bb.2466:                             ;   in Loop: Header=BB468_8 Depth=1
	s_and_not1_saveexec_b32 s3, s2
; %bb.2467:                             ;   in Loop: Header=BB468_8 Depth=1
	v_and_b32_e32 v1, 0xffff, v0
	v_or_b32_e32 v2, 0x10000, v0
	s_delay_alu instid0(VALU_DEP_2) | instskip(NEXT) | instid1(VALU_DEP_1)
	v_cmp_eq_u32_e64 s2, 0, v1
	v_cndmask_b32_e64 v140, v2, v0, s2
; %bb.2468:                             ;   in Loop: Header=BB468_8 Depth=1
	s_or_b32 exec_lo, exec_lo, s3
	v_lshrrev_b16 v1, 8, v18
	v_mov_b32_e32 v0, 0
	s_mov_b32 s3, exec_lo
	s_delay_alu instid0(VALU_DEP_2)
	v_cmpx_ne_u16_e32 0, v1
	s_cbranch_execz .LBB468_2476
; %bb.2469:                             ;   in Loop: Header=BB468_8 Depth=1
	v_bfrev_b32_e32 v0, 1
	s_mov_b32 s17, exec_lo
	v_cmpx_ne_u16_e32 0x80, v1
	s_cbranch_execz .LBB468_2475
; %bb.2470:                             ;   in Loop: Header=BB468_8 Depth=1
	v_and_b32_e32 v2, 0xffff, v1
	v_mov_b32_e32 v0, 0x7f800001
	s_mov_b32 s19, exec_lo
	s_delay_alu instid0(VALU_DEP_2) | instskip(NEXT) | instid1(VALU_DEP_1)
	v_and_b32_e32 v1, 0x7f, v2
	v_cmpx_ne_u32_e32 0x7f, v1
	s_cbranch_execz .LBB468_2474
; %bb.2471:                             ;   in Loop: Header=BB468_8 Depth=1
	v_dual_mov_b32 v33, v19 :: v_dual_and_b32 v32, 7, v2
	v_lshrrev_b32_e32 v0, 3, v1
	s_mov_b32 s21, exec_lo
	v_cmpx_gt_u32_e32 8, v1
; %bb.2472:                             ;   in Loop: Header=BB468_8 Depth=1
	s_delay_alu instid0(VALU_DEP_3) | instskip(NEXT) | instid1(VALU_DEP_1)
	v_clz_i32_u32_e32 v0, v32
	v_min_u32_e32 v0, 32, v0
	s_delay_alu instid0(VALU_DEP_1) | instskip(SKIP_1) | instid1(VALU_DEP_2)
	v_subrev_nc_u32_e32 v1, 28, v0
	v_sub_nc_u32_e32 v0, 29, v0
	v_lshlrev_b64 v[1:2], v1, v[32:33]
	s_delay_alu instid0(VALU_DEP_1)
	v_and_b32_e32 v32, 7, v1
; %bb.2473:                             ;   in Loop: Header=BB468_8 Depth=1
	s_or_b32 exec_lo, exec_lo, s21
	v_lshlrev_b32_e32 v1, 16, v18
	s_delay_alu instid0(VALU_DEP_2) | instskip(SKIP_1) | instid1(VALU_DEP_3)
	v_lshlrev_b32_e32 v2, 20, v32
	v_lshl_add_u32 v0, v0, 23, 0x3c000000
	v_and_b32_e32 v1, 0x80000000, v1
	s_delay_alu instid0(VALU_DEP_1)
	v_or3_b32 v0, v2, v1, v0
.LBB468_2474:                           ;   in Loop: Header=BB468_8 Depth=1
	s_or_b32 exec_lo, exec_lo, s19
.LBB468_2475:                           ;   in Loop: Header=BB468_8 Depth=1
	s_delay_alu instid0(SALU_CYCLE_1)
	s_or_b32 exec_lo, exec_lo, s17
.LBB468_2476:                           ;   in Loop: Header=BB468_8 Depth=1
	s_delay_alu instid0(SALU_CYCLE_1) | instskip(NEXT) | instid1(VALU_DEP_1)
	s_or_b32 exec_lo, exec_lo, s3
	v_mul_f32_e32 v0, v79, v0
                                        ; implicit-def: $vgpr141
	s_delay_alu instid0(VALU_DEP_1) | instskip(NEXT) | instid1(VALU_DEP_1)
	v_and_b32_e32 v1, 0x7f800000, v0
	v_cmp_ne_u32_e64 s2, 0x7f800000, v1
	s_delay_alu instid0(VALU_DEP_1) | instskip(NEXT) | instid1(SALU_CYCLE_1)
	s_and_saveexec_b32 s3, s2
	s_xor_b32 s2, exec_lo, s3
; %bb.2477:                             ;   in Loop: Header=BB468_8 Depth=1
	v_bfe_u32 v1, v0, 16, 1
	s_delay_alu instid0(VALU_DEP_1)
	v_add3_u32 v141, v0, v1, 0x7fff
                                        ; implicit-def: $vgpr0
; %bb.2478:                             ;   in Loop: Header=BB468_8 Depth=1
	s_and_not1_saveexec_b32 s3, s2
; %bb.2479:                             ;   in Loop: Header=BB468_8 Depth=1
	v_and_b32_e32 v1, 0xffff, v0
	v_or_b32_e32 v2, 0x10000, v0
	s_delay_alu instid0(VALU_DEP_2) | instskip(NEXT) | instid1(VALU_DEP_1)
	v_cmp_eq_u32_e64 s2, 0, v1
	v_cndmask_b32_e64 v141, v2, v0, s2
; %bb.2480:                             ;   in Loop: Header=BB468_8 Depth=1
	s_or_b32 exec_lo, exec_lo, s3
	v_lshrrev_b32_e32 v0, 16, v31
	s_mov_b32 s3, exec_lo
	s_delay_alu instid0(VALU_DEP_1) | instskip(NEXT) | instid1(VALU_DEP_1)
	v_dual_mov_b32 v1, 0 :: v_dual_and_b32 v2, 0xff, v0
	v_cmpx_ne_u16_e32 0, v2
	s_cbranch_execz .LBB468_2488
; %bb.2481:                             ;   in Loop: Header=BB468_8 Depth=1
	v_bfrev_b32_e32 v1, 1
	s_mov_b32 s17, exec_lo
	v_cmpx_ne_u16_e32 0x80, v2
	s_cbranch_execz .LBB468_2487
; %bb.2482:                             ;   in Loop: Header=BB468_8 Depth=1
	v_bfe_u32 v2, v31, 16, 7
	v_mov_b32_e32 v1, 0x7f800001
	s_mov_b32 s19, exec_lo
	s_delay_alu instid0(VALU_DEP_2)
	v_cmpx_ne_u32_e32 0x7f, v2
	s_cbranch_execz .LBB468_2486
; %bb.2483:                             ;   in Loop: Header=BB468_8 Depth=1
	v_and_b32_e32 v18, 7, v0
	v_mov_b32_e32 v33, v19
	v_lshrrev_b32_e32 v1, 3, v2
	s_mov_b32 s21, exec_lo
	s_delay_alu instid0(VALU_DEP_3)
	v_mov_b32_e32 v32, v18
	v_cmpx_gt_u32_e32 8, v2
; %bb.2484:                             ;   in Loop: Header=BB468_8 Depth=1
	v_clz_i32_u32_e32 v1, v18
	s_delay_alu instid0(VALU_DEP_1) | instskip(NEXT) | instid1(VALU_DEP_1)
	v_min_u32_e32 v1, 32, v1
	v_subrev_nc_u32_e32 v2, 28, v1
	v_sub_nc_u32_e32 v1, 29, v1
	s_delay_alu instid0(VALU_DEP_2) | instskip(NEXT) | instid1(VALU_DEP_1)
	v_lshlrev_b64 v[2:3], v2, v[18:19]
	v_and_b32_e32 v32, 7, v2
; %bb.2485:                             ;   in Loop: Header=BB468_8 Depth=1
	s_or_b32 exec_lo, exec_lo, s21
	v_lshlrev_b32_e32 v0, 24, v0
	s_delay_alu instid0(VALU_DEP_2) | instskip(SKIP_1) | instid1(VALU_DEP_3)
	v_lshlrev_b32_e32 v2, 20, v32
	v_lshl_add_u32 v1, v1, 23, 0x3c000000
	v_and_b32_e32 v0, 0x80000000, v0
	s_delay_alu instid0(VALU_DEP_1)
	v_or3_b32 v1, v2, v0, v1
.LBB468_2486:                           ;   in Loop: Header=BB468_8 Depth=1
	s_or_b32 exec_lo, exec_lo, s19
.LBB468_2487:                           ;   in Loop: Header=BB468_8 Depth=1
	s_delay_alu instid0(SALU_CYCLE_1)
	s_or_b32 exec_lo, exec_lo, s17
.LBB468_2488:                           ;   in Loop: Header=BB468_8 Depth=1
	s_delay_alu instid0(SALU_CYCLE_1) | instskip(NEXT) | instid1(VALU_DEP_1)
	s_or_b32 exec_lo, exec_lo, s3
	v_mul_f32_e32 v0, v79, v1
                                        ; implicit-def: $vgpr142
	s_delay_alu instid0(VALU_DEP_1) | instskip(NEXT) | instid1(VALU_DEP_1)
	v_and_b32_e32 v1, 0x7f800000, v0
	v_cmp_ne_u32_e64 s2, 0x7f800000, v1
	s_delay_alu instid0(VALU_DEP_1) | instskip(NEXT) | instid1(SALU_CYCLE_1)
	s_and_saveexec_b32 s3, s2
	s_xor_b32 s2, exec_lo, s3
; %bb.2489:                             ;   in Loop: Header=BB468_8 Depth=1
	v_bfe_u32 v1, v0, 16, 1
	s_delay_alu instid0(VALU_DEP_1)
	v_add3_u32 v142, v0, v1, 0x7fff
                                        ; implicit-def: $vgpr0
; %bb.2490:                             ;   in Loop: Header=BB468_8 Depth=1
	s_and_not1_saveexec_b32 s3, s2
; %bb.2491:                             ;   in Loop: Header=BB468_8 Depth=1
	v_and_b32_e32 v1, 0xffff, v0
	v_or_b32_e32 v2, 0x10000, v0
	s_delay_alu instid0(VALU_DEP_2) | instskip(NEXT) | instid1(VALU_DEP_1)
	v_cmp_eq_u32_e64 s2, 0, v1
	v_cndmask_b32_e64 v142, v2, v0, s2
; %bb.2492:                             ;   in Loop: Header=BB468_8 Depth=1
	s_or_b32 exec_lo, exec_lo, s3
	v_mov_b32_e32 v1, 0
	s_mov_b32 s3, exec_lo
	v_cmpx_lt_u64_e64 s[4:5], v[30:31]
	s_cbranch_execz .LBB468_2500
; %bb.2493:                             ;   in Loop: Header=BB468_8 Depth=1
	v_lshrrev_b32_e32 v0, 24, v31
	v_bfrev_b32_e32 v1, 1
	s_mov_b32 s17, exec_lo
	s_delay_alu instid0(VALU_DEP_2)
	v_cmpx_ne_u32_e32 0x80, v0
	s_cbranch_execz .LBB468_2499
; %bb.2494:                             ;   in Loop: Header=BB468_8 Depth=1
	v_bfe_u32 v2, v31, 24, 7
	v_mov_b32_e32 v1, 0x7f800001
	s_mov_b32 s19, exec_lo
	s_delay_alu instid0(VALU_DEP_2)
	v_cmpx_ne_u32_e32 0x7f, v2
	s_cbranch_execz .LBB468_2498
; %bb.2495:                             ;   in Loop: Header=BB468_8 Depth=1
	v_and_b32_e32 v18, 7, v0
	v_mov_b32_e32 v31, v19
	v_lshrrev_b32_e32 v1, 3, v2
	s_mov_b32 s21, exec_lo
	s_delay_alu instid0(VALU_DEP_3)
	v_mov_b32_e32 v30, v18
	v_cmpx_gt_u32_e32 8, v2
; %bb.2496:                             ;   in Loop: Header=BB468_8 Depth=1
	v_clz_i32_u32_e32 v1, v18
	s_delay_alu instid0(VALU_DEP_1) | instskip(NEXT) | instid1(VALU_DEP_1)
	v_min_u32_e32 v1, 32, v1
	v_subrev_nc_u32_e32 v2, 28, v1
	v_sub_nc_u32_e32 v1, 29, v1
	s_delay_alu instid0(VALU_DEP_2) | instskip(NEXT) | instid1(VALU_DEP_1)
	v_lshlrev_b64 v[2:3], v2, v[18:19]
	v_and_b32_e32 v30, 7, v2
; %bb.2497:                             ;   in Loop: Header=BB468_8 Depth=1
	s_or_b32 exec_lo, exec_lo, s21
	v_lshlrev_b32_e32 v0, 24, v0
	s_delay_alu instid0(VALU_DEP_2) | instskip(SKIP_1) | instid1(VALU_DEP_3)
	v_lshlrev_b32_e32 v2, 20, v30
	v_lshl_add_u32 v1, v1, 23, 0x3c000000
	v_and_b32_e32 v0, 0x80000000, v0
	s_delay_alu instid0(VALU_DEP_1)
	v_or3_b32 v1, v2, v0, v1
.LBB468_2498:                           ;   in Loop: Header=BB468_8 Depth=1
	s_or_b32 exec_lo, exec_lo, s19
.LBB468_2499:                           ;   in Loop: Header=BB468_8 Depth=1
	s_delay_alu instid0(SALU_CYCLE_1)
	s_or_b32 exec_lo, exec_lo, s17
.LBB468_2500:                           ;   in Loop: Header=BB468_8 Depth=1
	s_delay_alu instid0(SALU_CYCLE_1) | instskip(NEXT) | instid1(VALU_DEP_1)
	s_or_b32 exec_lo, exec_lo, s3
	v_mul_f32_e32 v0, v79, v1
                                        ; implicit-def: $vgpr143
	s_delay_alu instid0(VALU_DEP_1) | instskip(NEXT) | instid1(VALU_DEP_1)
	v_and_b32_e32 v1, 0x7f800000, v0
	v_cmp_ne_u32_e64 s2, 0x7f800000, v1
	s_delay_alu instid0(VALU_DEP_1) | instskip(NEXT) | instid1(SALU_CYCLE_1)
	s_and_saveexec_b32 s3, s2
	s_xor_b32 s2, exec_lo, s3
; %bb.2501:                             ;   in Loop: Header=BB468_8 Depth=1
	v_bfe_u32 v1, v0, 16, 1
	s_delay_alu instid0(VALU_DEP_1)
	v_add3_u32 v143, v0, v1, 0x7fff
                                        ; implicit-def: $vgpr0
; %bb.2502:                             ;   in Loop: Header=BB468_8 Depth=1
	s_and_not1_saveexec_b32 s3, s2
; %bb.2503:                             ;   in Loop: Header=BB468_8 Depth=1
	v_and_b32_e32 v1, 0xffff, v0
	v_or_b32_e32 v2, 0x10000, v0
	s_delay_alu instid0(VALU_DEP_2) | instskip(NEXT) | instid1(VALU_DEP_1)
	v_cmp_eq_u32_e64 s2, 0, v1
	v_cndmask_b32_e64 v143, v2, v0, s2
; %bb.2504:                             ;   in Loop: Header=BB468_8 Depth=1
	s_or_b32 exec_lo, exec_lo, s3
	flat_load_b64 v[30:31], v[28:29] offset:2560
	s_mov_b32 s3, exec_lo
	s_waitcnt vmcnt(0) lgkmcnt(0)
	v_dual_mov_b32 v0, 0 :: v_dual_and_b32 v1, 0xff, v30
	s_delay_alu instid0(VALU_DEP_1)
	v_cmpx_ne_u16_e32 0, v1
	s_cbranch_execz .LBB468_2512
; %bb.2505:                             ;   in Loop: Header=BB468_8 Depth=1
	v_bfrev_b32_e32 v0, 1
	s_mov_b32 s17, exec_lo
	v_cmpx_ne_u16_e32 0x80, v1
	s_cbranch_execz .LBB468_2511
; %bb.2506:                             ;   in Loop: Header=BB468_8 Depth=1
	v_and_b32_e32 v1, 0x7f, v30
	v_mov_b32_e32 v0, 0x7f800001
	s_mov_b32 s19, exec_lo
	s_delay_alu instid0(VALU_DEP_2)
	v_cmpx_ne_u32_e32 0x7f, v1
	s_cbranch_execz .LBB468_2510
; %bb.2507:                             ;   in Loop: Header=BB468_8 Depth=1
	v_lshrrev_b32_e32 v0, 3, v1
	v_dual_mov_b32 v33, v31 :: v_dual_mov_b32 v32, v30
	s_mov_b32 s21, exec_lo
	v_cmpx_gt_u32_e32 8, v1
; %bb.2508:                             ;   in Loop: Header=BB468_8 Depth=1
	v_and_b32_e32 v0, 7, v30
	s_delay_alu instid0(VALU_DEP_1) | instskip(NEXT) | instid1(VALU_DEP_1)
	v_clz_i32_u32_e32 v0, v0
	v_min_u32_e32 v0, 32, v0
	s_delay_alu instid0(VALU_DEP_1) | instskip(SKIP_1) | instid1(VALU_DEP_2)
	v_subrev_nc_u32_e32 v1, 28, v0
	v_sub_nc_u32_e32 v0, 29, v0
	v_lshlrev_b64 v[32:33], v1, v[30:31]
; %bb.2509:                             ;   in Loop: Header=BB468_8 Depth=1
	s_or_b32 exec_lo, exec_lo, s21
	s_delay_alu instid0(VALU_DEP_1) | instskip(SKIP_2) | instid1(VALU_DEP_3)
	v_lshlrev_b32_e32 v1, 20, v32
	v_lshlrev_b32_e32 v2, 24, v30
	v_lshl_add_u32 v0, v0, 23, 0x3c000000
	v_and_b32_e32 v1, 0x700000, v1
	s_delay_alu instid0(VALU_DEP_3) | instskip(NEXT) | instid1(VALU_DEP_1)
	v_and_b32_e32 v2, 0x80000000, v2
	v_or3_b32 v0, v1, v2, v0
.LBB468_2510:                           ;   in Loop: Header=BB468_8 Depth=1
	s_or_b32 exec_lo, exec_lo, s19
.LBB468_2511:                           ;   in Loop: Header=BB468_8 Depth=1
	s_delay_alu instid0(SALU_CYCLE_1)
	s_or_b32 exec_lo, exec_lo, s17
.LBB468_2512:                           ;   in Loop: Header=BB468_8 Depth=1
	s_delay_alu instid0(SALU_CYCLE_1) | instskip(NEXT) | instid1(VALU_DEP_1)
	s_or_b32 exec_lo, exec_lo, s3
	v_mul_f32_e32 v0, v79, v0
                                        ; implicit-def: $vgpr152
	s_delay_alu instid0(VALU_DEP_1) | instskip(NEXT) | instid1(VALU_DEP_1)
	v_and_b32_e32 v1, 0x7f800000, v0
	v_cmp_ne_u32_e64 s2, 0x7f800000, v1
	s_delay_alu instid0(VALU_DEP_1) | instskip(NEXT) | instid1(SALU_CYCLE_1)
	s_and_saveexec_b32 s3, s2
	s_xor_b32 s2, exec_lo, s3
; %bb.2513:                             ;   in Loop: Header=BB468_8 Depth=1
	v_bfe_u32 v1, v0, 16, 1
	s_delay_alu instid0(VALU_DEP_1)
	v_add3_u32 v152, v0, v1, 0x7fff
                                        ; implicit-def: $vgpr0
; %bb.2514:                             ;   in Loop: Header=BB468_8 Depth=1
	s_and_not1_saveexec_b32 s3, s2
; %bb.2515:                             ;   in Loop: Header=BB468_8 Depth=1
	v_and_b32_e32 v1, 0xffff, v0
	v_or_b32_e32 v2, 0x10000, v0
	s_delay_alu instid0(VALU_DEP_2) | instskip(NEXT) | instid1(VALU_DEP_1)
	v_cmp_eq_u32_e64 s2, 0, v1
	v_cndmask_b32_e64 v152, v2, v0, s2
; %bb.2516:                             ;   in Loop: Header=BB468_8 Depth=1
	s_or_b32 exec_lo, exec_lo, s3
	v_lshrrev_b16 v1, 8, v30
	v_mov_b32_e32 v0, 0
	s_mov_b32 s3, exec_lo
	s_delay_alu instid0(VALU_DEP_2)
	v_cmpx_ne_u16_e32 0, v1
	s_cbranch_execz .LBB468_2524
; %bb.2517:                             ;   in Loop: Header=BB468_8 Depth=1
	v_bfrev_b32_e32 v0, 1
	s_mov_b32 s17, exec_lo
	v_cmpx_ne_u16_e32 0x80, v1
	s_cbranch_execz .LBB468_2523
; %bb.2518:                             ;   in Loop: Header=BB468_8 Depth=1
	v_and_b32_e32 v2, 0xffff, v1
	v_mov_b32_e32 v0, 0x7f800001
	s_mov_b32 s19, exec_lo
	s_delay_alu instid0(VALU_DEP_2) | instskip(NEXT) | instid1(VALU_DEP_1)
	v_and_b32_e32 v1, 0x7f, v2
	v_cmpx_ne_u32_e32 0x7f, v1
	s_cbranch_execz .LBB468_2522
; %bb.2519:                             ;   in Loop: Header=BB468_8 Depth=1
	v_and_b32_e32 v18, 7, v2
	v_mov_b32_e32 v33, v19
	v_lshrrev_b32_e32 v0, 3, v1
	s_mov_b32 s21, exec_lo
	s_delay_alu instid0(VALU_DEP_3)
	v_mov_b32_e32 v32, v18
	v_cmpx_gt_u32_e32 8, v1
; %bb.2520:                             ;   in Loop: Header=BB468_8 Depth=1
	v_clz_i32_u32_e32 v0, v18
	s_delay_alu instid0(VALU_DEP_1) | instskip(NEXT) | instid1(VALU_DEP_1)
	v_min_u32_e32 v0, 32, v0
	v_subrev_nc_u32_e32 v1, 28, v0
	v_sub_nc_u32_e32 v0, 29, v0
	s_delay_alu instid0(VALU_DEP_2) | instskip(NEXT) | instid1(VALU_DEP_1)
	v_lshlrev_b64 v[1:2], v1, v[18:19]
	v_and_b32_e32 v32, 7, v1
; %bb.2521:                             ;   in Loop: Header=BB468_8 Depth=1
	s_or_b32 exec_lo, exec_lo, s21
	v_lshlrev_b32_e32 v1, 16, v30
	s_delay_alu instid0(VALU_DEP_2) | instskip(SKIP_1) | instid1(VALU_DEP_3)
	v_lshlrev_b32_e32 v2, 20, v32
	v_lshl_add_u32 v0, v0, 23, 0x3c000000
	v_and_b32_e32 v1, 0x80000000, v1
	s_delay_alu instid0(VALU_DEP_1)
	v_or3_b32 v0, v2, v1, v0
.LBB468_2522:                           ;   in Loop: Header=BB468_8 Depth=1
	s_or_b32 exec_lo, exec_lo, s19
.LBB468_2523:                           ;   in Loop: Header=BB468_8 Depth=1
	s_delay_alu instid0(SALU_CYCLE_1)
	s_or_b32 exec_lo, exec_lo, s17
.LBB468_2524:                           ;   in Loop: Header=BB468_8 Depth=1
	s_delay_alu instid0(SALU_CYCLE_1) | instskip(NEXT) | instid1(VALU_DEP_1)
	s_or_b32 exec_lo, exec_lo, s3
	v_mul_f32_e32 v0, v79, v0
                                        ; implicit-def: $vgpr153
	s_delay_alu instid0(VALU_DEP_1) | instskip(NEXT) | instid1(VALU_DEP_1)
	v_and_b32_e32 v1, 0x7f800000, v0
	v_cmp_ne_u32_e64 s2, 0x7f800000, v1
	s_delay_alu instid0(VALU_DEP_1) | instskip(NEXT) | instid1(SALU_CYCLE_1)
	s_and_saveexec_b32 s3, s2
	s_xor_b32 s2, exec_lo, s3
; %bb.2525:                             ;   in Loop: Header=BB468_8 Depth=1
	v_bfe_u32 v1, v0, 16, 1
	s_delay_alu instid0(VALU_DEP_1)
	v_add3_u32 v153, v0, v1, 0x7fff
                                        ; implicit-def: $vgpr0
; %bb.2526:                             ;   in Loop: Header=BB468_8 Depth=1
	s_and_not1_saveexec_b32 s3, s2
; %bb.2527:                             ;   in Loop: Header=BB468_8 Depth=1
	v_and_b32_e32 v1, 0xffff, v0
	v_or_b32_e32 v2, 0x10000, v0
	s_delay_alu instid0(VALU_DEP_2) | instskip(NEXT) | instid1(VALU_DEP_1)
	v_cmp_eq_u32_e64 s2, 0, v1
	v_cndmask_b32_e64 v153, v2, v0, s2
; %bb.2528:                             ;   in Loop: Header=BB468_8 Depth=1
	s_or_b32 exec_lo, exec_lo, s3
	v_lshrrev_b32_e32 v0, 16, v30
	s_mov_b32 s3, exec_lo
	s_delay_alu instid0(VALU_DEP_1) | instskip(NEXT) | instid1(VALU_DEP_1)
	v_dual_mov_b32 v1, 0 :: v_dual_and_b32 v2, 0xff, v0
	v_cmpx_ne_u16_e32 0, v2
	s_cbranch_execz .LBB468_2536
; %bb.2529:                             ;   in Loop: Header=BB468_8 Depth=1
	v_bfrev_b32_e32 v1, 1
	s_mov_b32 s17, exec_lo
	v_cmpx_ne_u16_e32 0x80, v2
	s_cbranch_execz .LBB468_2535
; %bb.2530:                             ;   in Loop: Header=BB468_8 Depth=1
	v_bfe_u32 v2, v30, 16, 7
	v_mov_b32_e32 v1, 0x7f800001
	s_mov_b32 s19, exec_lo
	s_delay_alu instid0(VALU_DEP_2)
	v_cmpx_ne_u32_e32 0x7f, v2
	s_cbranch_execz .LBB468_2534
; %bb.2531:                             ;   in Loop: Header=BB468_8 Depth=1
	v_and_b32_e32 v18, 7, v0
	v_mov_b32_e32 v33, v19
	v_lshrrev_b32_e32 v1, 3, v2
	s_mov_b32 s21, exec_lo
	s_delay_alu instid0(VALU_DEP_3)
	v_mov_b32_e32 v32, v18
	v_cmpx_gt_u32_e32 8, v2
; %bb.2532:                             ;   in Loop: Header=BB468_8 Depth=1
	v_clz_i32_u32_e32 v1, v18
	s_delay_alu instid0(VALU_DEP_1) | instskip(NEXT) | instid1(VALU_DEP_1)
	v_min_u32_e32 v1, 32, v1
	v_subrev_nc_u32_e32 v2, 28, v1
	v_sub_nc_u32_e32 v1, 29, v1
	s_delay_alu instid0(VALU_DEP_2) | instskip(NEXT) | instid1(VALU_DEP_1)
	v_lshlrev_b64 v[2:3], v2, v[18:19]
	v_and_b32_e32 v32, 7, v2
; %bb.2533:                             ;   in Loop: Header=BB468_8 Depth=1
	s_or_b32 exec_lo, exec_lo, s21
	v_lshlrev_b32_e32 v0, 24, v0
	s_delay_alu instid0(VALU_DEP_2) | instskip(SKIP_1) | instid1(VALU_DEP_3)
	v_lshlrev_b32_e32 v2, 20, v32
	v_lshl_add_u32 v1, v1, 23, 0x3c000000
	v_and_b32_e32 v0, 0x80000000, v0
	s_delay_alu instid0(VALU_DEP_1)
	v_or3_b32 v1, v2, v0, v1
.LBB468_2534:                           ;   in Loop: Header=BB468_8 Depth=1
	s_or_b32 exec_lo, exec_lo, s19
.LBB468_2535:                           ;   in Loop: Header=BB468_8 Depth=1
	s_delay_alu instid0(SALU_CYCLE_1)
	s_or_b32 exec_lo, exec_lo, s17
.LBB468_2536:                           ;   in Loop: Header=BB468_8 Depth=1
	s_delay_alu instid0(SALU_CYCLE_1) | instskip(NEXT) | instid1(VALU_DEP_1)
	s_or_b32 exec_lo, exec_lo, s3
	v_mul_f32_e32 v0, v79, v1
                                        ; implicit-def: $vgpr154
	s_delay_alu instid0(VALU_DEP_1) | instskip(NEXT) | instid1(VALU_DEP_1)
	v_and_b32_e32 v1, 0x7f800000, v0
	v_cmp_ne_u32_e64 s2, 0x7f800000, v1
	s_delay_alu instid0(VALU_DEP_1) | instskip(NEXT) | instid1(SALU_CYCLE_1)
	s_and_saveexec_b32 s3, s2
	s_xor_b32 s2, exec_lo, s3
; %bb.2537:                             ;   in Loop: Header=BB468_8 Depth=1
	v_bfe_u32 v1, v0, 16, 1
	s_delay_alu instid0(VALU_DEP_1)
	v_add3_u32 v154, v0, v1, 0x7fff
                                        ; implicit-def: $vgpr0
; %bb.2538:                             ;   in Loop: Header=BB468_8 Depth=1
	s_and_not1_saveexec_b32 s3, s2
; %bb.2539:                             ;   in Loop: Header=BB468_8 Depth=1
	v_and_b32_e32 v1, 0xffff, v0
	v_or_b32_e32 v2, 0x10000, v0
	s_delay_alu instid0(VALU_DEP_2) | instskip(NEXT) | instid1(VALU_DEP_1)
	v_cmp_eq_u32_e64 s2, 0, v1
	v_cndmask_b32_e64 v154, v2, v0, s2
; %bb.2540:                             ;   in Loop: Header=BB468_8 Depth=1
	s_or_b32 exec_lo, exec_lo, s3
	v_mov_b32_e32 v1, 0
	s_mov_b32 s3, exec_lo
	v_cmpx_lt_u32_e32 0xffffff, v30
	s_cbranch_execz .LBB468_2548
; %bb.2541:                             ;   in Loop: Header=BB468_8 Depth=1
	v_lshrrev_b32_e32 v0, 24, v30
	v_bfrev_b32_e32 v1, 1
	s_mov_b32 s17, exec_lo
	s_delay_alu instid0(VALU_DEP_2)
	v_cmpx_ne_u32_e32 0x80, v0
	s_cbranch_execz .LBB468_2547
; %bb.2542:                             ;   in Loop: Header=BB468_8 Depth=1
	v_bfe_u32 v2, v30, 24, 7
	v_mov_b32_e32 v1, 0x7f800001
	s_mov_b32 s19, exec_lo
	s_delay_alu instid0(VALU_DEP_2)
	v_cmpx_ne_u32_e32 0x7f, v2
	s_cbranch_execz .LBB468_2546
; %bb.2543:                             ;   in Loop: Header=BB468_8 Depth=1
	v_and_b32_e32 v18, 7, v0
	v_mov_b32_e32 v33, v19
	v_lshrrev_b32_e32 v1, 3, v2
	s_mov_b32 s21, exec_lo
	s_delay_alu instid0(VALU_DEP_3)
	v_mov_b32_e32 v32, v18
	v_cmpx_gt_u32_e32 8, v2
; %bb.2544:                             ;   in Loop: Header=BB468_8 Depth=1
	v_clz_i32_u32_e32 v1, v18
	s_delay_alu instid0(VALU_DEP_1) | instskip(NEXT) | instid1(VALU_DEP_1)
	v_min_u32_e32 v1, 32, v1
	v_subrev_nc_u32_e32 v2, 28, v1
	v_sub_nc_u32_e32 v1, 29, v1
	s_delay_alu instid0(VALU_DEP_2) | instskip(NEXT) | instid1(VALU_DEP_1)
	v_lshlrev_b64 v[2:3], v2, v[18:19]
	v_and_b32_e32 v32, 7, v2
; %bb.2545:                             ;   in Loop: Header=BB468_8 Depth=1
	s_or_b32 exec_lo, exec_lo, s21
	v_lshlrev_b32_e32 v0, 24, v0
	s_delay_alu instid0(VALU_DEP_2) | instskip(SKIP_1) | instid1(VALU_DEP_3)
	v_lshlrev_b32_e32 v2, 20, v32
	v_lshl_add_u32 v1, v1, 23, 0x3c000000
	v_and_b32_e32 v0, 0x80000000, v0
	s_delay_alu instid0(VALU_DEP_1)
	v_or3_b32 v1, v2, v0, v1
.LBB468_2546:                           ;   in Loop: Header=BB468_8 Depth=1
	s_or_b32 exec_lo, exec_lo, s19
.LBB468_2547:                           ;   in Loop: Header=BB468_8 Depth=1
	s_delay_alu instid0(SALU_CYCLE_1)
	s_or_b32 exec_lo, exec_lo, s17
.LBB468_2548:                           ;   in Loop: Header=BB468_8 Depth=1
	s_delay_alu instid0(SALU_CYCLE_1) | instskip(NEXT) | instid1(VALU_DEP_1)
	s_or_b32 exec_lo, exec_lo, s3
	v_mul_f32_e32 v0, v79, v1
                                        ; implicit-def: $vgpr155
	s_delay_alu instid0(VALU_DEP_1) | instskip(NEXT) | instid1(VALU_DEP_1)
	v_and_b32_e32 v1, 0x7f800000, v0
	v_cmp_ne_u32_e64 s2, 0x7f800000, v1
	s_delay_alu instid0(VALU_DEP_1) | instskip(NEXT) | instid1(SALU_CYCLE_1)
	s_and_saveexec_b32 s3, s2
	s_xor_b32 s2, exec_lo, s3
; %bb.2549:                             ;   in Loop: Header=BB468_8 Depth=1
	v_bfe_u32 v1, v0, 16, 1
	s_delay_alu instid0(VALU_DEP_1)
	v_add3_u32 v155, v0, v1, 0x7fff
                                        ; implicit-def: $vgpr0
; %bb.2550:                             ;   in Loop: Header=BB468_8 Depth=1
	s_and_not1_saveexec_b32 s3, s2
; %bb.2551:                             ;   in Loop: Header=BB468_8 Depth=1
	v_and_b32_e32 v1, 0xffff, v0
	v_or_b32_e32 v2, 0x10000, v0
	s_delay_alu instid0(VALU_DEP_2) | instskip(NEXT) | instid1(VALU_DEP_1)
	v_cmp_eq_u32_e64 s2, 0, v1
	v_cndmask_b32_e64 v155, v2, v0, s2
; %bb.2552:                             ;   in Loop: Header=BB468_8 Depth=1
	s_or_b32 exec_lo, exec_lo, s3
	v_dual_mov_b32 v18, v31 :: v_dual_and_b32 v1, 0xff, v31
	v_mov_b32_e32 v0, 0
	s_mov_b32 s3, exec_lo
	s_delay_alu instid0(VALU_DEP_2)
	v_cmpx_ne_u16_e32 0, v1
	s_cbranch_execz .LBB468_2560
; %bb.2553:                             ;   in Loop: Header=BB468_8 Depth=1
	v_bfrev_b32_e32 v0, 1
	s_mov_b32 s17, exec_lo
	v_cmpx_ne_u16_e32 0x80, v1
	s_cbranch_execz .LBB468_2559
; %bb.2554:                             ;   in Loop: Header=BB468_8 Depth=1
	v_and_b32_e32 v1, 0x7f, v31
	v_mov_b32_e32 v0, 0x7f800001
	s_mov_b32 s19, exec_lo
	s_delay_alu instid0(VALU_DEP_2)
	v_cmpx_ne_u32_e32 0x7f, v1
	s_cbranch_execz .LBB468_2558
; %bb.2555:                             ;   in Loop: Header=BB468_8 Depth=1
	v_dual_mov_b32 v33, v19 :: v_dual_mov_b32 v32, v18
	v_lshrrev_b32_e32 v0, 3, v1
	s_mov_b32 s21, exec_lo
	v_cmpx_gt_u32_e32 8, v1
; %bb.2556:                             ;   in Loop: Header=BB468_8 Depth=1
	v_and_b32_e32 v0, 7, v31
	s_delay_alu instid0(VALU_DEP_1) | instskip(NEXT) | instid1(VALU_DEP_1)
	v_clz_i32_u32_e32 v0, v0
	v_min_u32_e32 v0, 32, v0
	s_delay_alu instid0(VALU_DEP_1) | instskip(SKIP_1) | instid1(VALU_DEP_2)
	v_subrev_nc_u32_e32 v1, 28, v0
	v_sub_nc_u32_e32 v0, 29, v0
	v_lshlrev_b64 v[32:33], v1, v[18:19]
; %bb.2557:                             ;   in Loop: Header=BB468_8 Depth=1
	s_or_b32 exec_lo, exec_lo, s21
	s_delay_alu instid0(VALU_DEP_1) | instskip(SKIP_2) | instid1(VALU_DEP_3)
	v_lshlrev_b32_e32 v1, 20, v32
	v_lshlrev_b32_e32 v2, 24, v18
	v_lshl_add_u32 v0, v0, 23, 0x3c000000
	v_and_b32_e32 v1, 0x700000, v1
	s_delay_alu instid0(VALU_DEP_3) | instskip(NEXT) | instid1(VALU_DEP_1)
	v_and_b32_e32 v2, 0x80000000, v2
	v_or3_b32 v0, v1, v2, v0
.LBB468_2558:                           ;   in Loop: Header=BB468_8 Depth=1
	s_or_b32 exec_lo, exec_lo, s19
.LBB468_2559:                           ;   in Loop: Header=BB468_8 Depth=1
	s_delay_alu instid0(SALU_CYCLE_1)
	s_or_b32 exec_lo, exec_lo, s17
.LBB468_2560:                           ;   in Loop: Header=BB468_8 Depth=1
	s_delay_alu instid0(SALU_CYCLE_1) | instskip(NEXT) | instid1(VALU_DEP_1)
	s_or_b32 exec_lo, exec_lo, s3
	v_mul_f32_e32 v0, v79, v0
                                        ; implicit-def: $vgpr156
	s_delay_alu instid0(VALU_DEP_1) | instskip(NEXT) | instid1(VALU_DEP_1)
	v_and_b32_e32 v1, 0x7f800000, v0
	v_cmp_ne_u32_e64 s2, 0x7f800000, v1
	s_delay_alu instid0(VALU_DEP_1) | instskip(NEXT) | instid1(SALU_CYCLE_1)
	s_and_saveexec_b32 s3, s2
	s_xor_b32 s2, exec_lo, s3
; %bb.2561:                             ;   in Loop: Header=BB468_8 Depth=1
	v_bfe_u32 v1, v0, 16, 1
	s_delay_alu instid0(VALU_DEP_1)
	v_add3_u32 v156, v0, v1, 0x7fff
                                        ; implicit-def: $vgpr0
; %bb.2562:                             ;   in Loop: Header=BB468_8 Depth=1
	s_and_not1_saveexec_b32 s3, s2
; %bb.2563:                             ;   in Loop: Header=BB468_8 Depth=1
	v_and_b32_e32 v1, 0xffff, v0
	v_or_b32_e32 v2, 0x10000, v0
	s_delay_alu instid0(VALU_DEP_2) | instskip(NEXT) | instid1(VALU_DEP_1)
	v_cmp_eq_u32_e64 s2, 0, v1
	v_cndmask_b32_e64 v156, v2, v0, s2
; %bb.2564:                             ;   in Loop: Header=BB468_8 Depth=1
	s_or_b32 exec_lo, exec_lo, s3
	v_lshrrev_b16 v1, 8, v18
	v_mov_b32_e32 v0, 0
	s_mov_b32 s3, exec_lo
	s_delay_alu instid0(VALU_DEP_2)
	v_cmpx_ne_u16_e32 0, v1
	s_cbranch_execz .LBB468_2572
; %bb.2565:                             ;   in Loop: Header=BB468_8 Depth=1
	v_bfrev_b32_e32 v0, 1
	s_mov_b32 s17, exec_lo
	v_cmpx_ne_u16_e32 0x80, v1
	s_cbranch_execz .LBB468_2571
; %bb.2566:                             ;   in Loop: Header=BB468_8 Depth=1
	v_and_b32_e32 v2, 0xffff, v1
	v_mov_b32_e32 v0, 0x7f800001
	s_mov_b32 s19, exec_lo
	s_delay_alu instid0(VALU_DEP_2) | instskip(NEXT) | instid1(VALU_DEP_1)
	v_and_b32_e32 v1, 0x7f, v2
	v_cmpx_ne_u32_e32 0x7f, v1
	s_cbranch_execz .LBB468_2570
; %bb.2567:                             ;   in Loop: Header=BB468_8 Depth=1
	v_dual_mov_b32 v33, v19 :: v_dual_and_b32 v32, 7, v2
	v_lshrrev_b32_e32 v0, 3, v1
	s_mov_b32 s21, exec_lo
	v_cmpx_gt_u32_e32 8, v1
; %bb.2568:                             ;   in Loop: Header=BB468_8 Depth=1
	s_delay_alu instid0(VALU_DEP_3) | instskip(NEXT) | instid1(VALU_DEP_1)
	v_clz_i32_u32_e32 v0, v32
	v_min_u32_e32 v0, 32, v0
	s_delay_alu instid0(VALU_DEP_1) | instskip(SKIP_1) | instid1(VALU_DEP_2)
	v_subrev_nc_u32_e32 v1, 28, v0
	v_sub_nc_u32_e32 v0, 29, v0
	v_lshlrev_b64 v[1:2], v1, v[32:33]
	s_delay_alu instid0(VALU_DEP_1)
	v_and_b32_e32 v32, 7, v1
; %bb.2569:                             ;   in Loop: Header=BB468_8 Depth=1
	s_or_b32 exec_lo, exec_lo, s21
	v_lshlrev_b32_e32 v1, 16, v18
	s_delay_alu instid0(VALU_DEP_2) | instskip(SKIP_1) | instid1(VALU_DEP_3)
	v_lshlrev_b32_e32 v2, 20, v32
	v_lshl_add_u32 v0, v0, 23, 0x3c000000
	v_and_b32_e32 v1, 0x80000000, v1
	s_delay_alu instid0(VALU_DEP_1)
	v_or3_b32 v0, v2, v1, v0
.LBB468_2570:                           ;   in Loop: Header=BB468_8 Depth=1
	s_or_b32 exec_lo, exec_lo, s19
.LBB468_2571:                           ;   in Loop: Header=BB468_8 Depth=1
	s_delay_alu instid0(SALU_CYCLE_1)
	s_or_b32 exec_lo, exec_lo, s17
.LBB468_2572:                           ;   in Loop: Header=BB468_8 Depth=1
	s_delay_alu instid0(SALU_CYCLE_1) | instskip(NEXT) | instid1(VALU_DEP_1)
	s_or_b32 exec_lo, exec_lo, s3
	v_mul_f32_e32 v0, v79, v0
                                        ; implicit-def: $vgpr157
	s_delay_alu instid0(VALU_DEP_1) | instskip(NEXT) | instid1(VALU_DEP_1)
	v_and_b32_e32 v1, 0x7f800000, v0
	v_cmp_ne_u32_e64 s2, 0x7f800000, v1
	s_delay_alu instid0(VALU_DEP_1) | instskip(NEXT) | instid1(SALU_CYCLE_1)
	s_and_saveexec_b32 s3, s2
	s_xor_b32 s2, exec_lo, s3
; %bb.2573:                             ;   in Loop: Header=BB468_8 Depth=1
	v_bfe_u32 v1, v0, 16, 1
	s_delay_alu instid0(VALU_DEP_1)
	v_add3_u32 v157, v0, v1, 0x7fff
                                        ; implicit-def: $vgpr0
; %bb.2574:                             ;   in Loop: Header=BB468_8 Depth=1
	s_and_not1_saveexec_b32 s3, s2
; %bb.2575:                             ;   in Loop: Header=BB468_8 Depth=1
	v_and_b32_e32 v1, 0xffff, v0
	v_or_b32_e32 v2, 0x10000, v0
	s_delay_alu instid0(VALU_DEP_2) | instskip(NEXT) | instid1(VALU_DEP_1)
	v_cmp_eq_u32_e64 s2, 0, v1
	v_cndmask_b32_e64 v157, v2, v0, s2
; %bb.2576:                             ;   in Loop: Header=BB468_8 Depth=1
	s_or_b32 exec_lo, exec_lo, s3
	v_lshrrev_b32_e32 v0, 16, v31
	s_mov_b32 s3, exec_lo
	s_delay_alu instid0(VALU_DEP_1) | instskip(NEXT) | instid1(VALU_DEP_1)
	v_dual_mov_b32 v1, 0 :: v_dual_and_b32 v2, 0xff, v0
	v_cmpx_ne_u16_e32 0, v2
	s_cbranch_execz .LBB468_2584
; %bb.2577:                             ;   in Loop: Header=BB468_8 Depth=1
	v_bfrev_b32_e32 v1, 1
	s_mov_b32 s17, exec_lo
	v_cmpx_ne_u16_e32 0x80, v2
	s_cbranch_execz .LBB468_2583
; %bb.2578:                             ;   in Loop: Header=BB468_8 Depth=1
	v_bfe_u32 v2, v31, 16, 7
	v_mov_b32_e32 v1, 0x7f800001
	s_mov_b32 s19, exec_lo
	s_delay_alu instid0(VALU_DEP_2)
	v_cmpx_ne_u32_e32 0x7f, v2
	s_cbranch_execz .LBB468_2582
; %bb.2579:                             ;   in Loop: Header=BB468_8 Depth=1
	v_and_b32_e32 v18, 7, v0
	v_mov_b32_e32 v33, v19
	v_lshrrev_b32_e32 v1, 3, v2
	s_mov_b32 s21, exec_lo
	s_delay_alu instid0(VALU_DEP_3)
	v_mov_b32_e32 v32, v18
	v_cmpx_gt_u32_e32 8, v2
; %bb.2580:                             ;   in Loop: Header=BB468_8 Depth=1
	v_clz_i32_u32_e32 v1, v18
	s_delay_alu instid0(VALU_DEP_1) | instskip(NEXT) | instid1(VALU_DEP_1)
	v_min_u32_e32 v1, 32, v1
	v_subrev_nc_u32_e32 v2, 28, v1
	v_sub_nc_u32_e32 v1, 29, v1
	s_delay_alu instid0(VALU_DEP_2) | instskip(NEXT) | instid1(VALU_DEP_1)
	v_lshlrev_b64 v[2:3], v2, v[18:19]
	v_and_b32_e32 v32, 7, v2
; %bb.2581:                             ;   in Loop: Header=BB468_8 Depth=1
	s_or_b32 exec_lo, exec_lo, s21
	v_lshlrev_b32_e32 v0, 24, v0
	s_delay_alu instid0(VALU_DEP_2) | instskip(SKIP_1) | instid1(VALU_DEP_3)
	v_lshlrev_b32_e32 v2, 20, v32
	v_lshl_add_u32 v1, v1, 23, 0x3c000000
	v_and_b32_e32 v0, 0x80000000, v0
	s_delay_alu instid0(VALU_DEP_1)
	v_or3_b32 v1, v2, v0, v1
.LBB468_2582:                           ;   in Loop: Header=BB468_8 Depth=1
	s_or_b32 exec_lo, exec_lo, s19
.LBB468_2583:                           ;   in Loop: Header=BB468_8 Depth=1
	s_delay_alu instid0(SALU_CYCLE_1)
	s_or_b32 exec_lo, exec_lo, s17
.LBB468_2584:                           ;   in Loop: Header=BB468_8 Depth=1
	s_delay_alu instid0(SALU_CYCLE_1) | instskip(NEXT) | instid1(VALU_DEP_1)
	s_or_b32 exec_lo, exec_lo, s3
	v_mul_f32_e32 v0, v79, v1
                                        ; implicit-def: $vgpr158
	s_delay_alu instid0(VALU_DEP_1) | instskip(NEXT) | instid1(VALU_DEP_1)
	v_and_b32_e32 v1, 0x7f800000, v0
	v_cmp_ne_u32_e64 s2, 0x7f800000, v1
	s_delay_alu instid0(VALU_DEP_1) | instskip(NEXT) | instid1(SALU_CYCLE_1)
	s_and_saveexec_b32 s3, s2
	s_xor_b32 s2, exec_lo, s3
; %bb.2585:                             ;   in Loop: Header=BB468_8 Depth=1
	v_bfe_u32 v1, v0, 16, 1
	s_delay_alu instid0(VALU_DEP_1)
	v_add3_u32 v158, v0, v1, 0x7fff
                                        ; implicit-def: $vgpr0
; %bb.2586:                             ;   in Loop: Header=BB468_8 Depth=1
	s_and_not1_saveexec_b32 s3, s2
; %bb.2587:                             ;   in Loop: Header=BB468_8 Depth=1
	v_and_b32_e32 v1, 0xffff, v0
	v_or_b32_e32 v2, 0x10000, v0
	s_delay_alu instid0(VALU_DEP_2) | instskip(NEXT) | instid1(VALU_DEP_1)
	v_cmp_eq_u32_e64 s2, 0, v1
	v_cndmask_b32_e64 v158, v2, v0, s2
; %bb.2588:                             ;   in Loop: Header=BB468_8 Depth=1
	s_or_b32 exec_lo, exec_lo, s3
	v_mov_b32_e32 v1, 0
	s_mov_b32 s3, exec_lo
	v_cmpx_lt_u64_e64 s[4:5], v[30:31]
	s_cbranch_execz .LBB468_2596
; %bb.2589:                             ;   in Loop: Header=BB468_8 Depth=1
	v_lshrrev_b32_e32 v0, 24, v31
	v_bfrev_b32_e32 v1, 1
	s_mov_b32 s17, exec_lo
	s_delay_alu instid0(VALU_DEP_2)
	v_cmpx_ne_u32_e32 0x80, v0
	s_cbranch_execz .LBB468_2595
; %bb.2590:                             ;   in Loop: Header=BB468_8 Depth=1
	v_bfe_u32 v2, v31, 24, 7
	v_mov_b32_e32 v1, 0x7f800001
	s_mov_b32 s19, exec_lo
	s_delay_alu instid0(VALU_DEP_2)
	v_cmpx_ne_u32_e32 0x7f, v2
	s_cbranch_execz .LBB468_2594
; %bb.2591:                             ;   in Loop: Header=BB468_8 Depth=1
	v_and_b32_e32 v18, 7, v0
	v_mov_b32_e32 v31, v19
	v_lshrrev_b32_e32 v1, 3, v2
	s_mov_b32 s21, exec_lo
	s_delay_alu instid0(VALU_DEP_3)
	v_mov_b32_e32 v30, v18
	v_cmpx_gt_u32_e32 8, v2
; %bb.2592:                             ;   in Loop: Header=BB468_8 Depth=1
	v_clz_i32_u32_e32 v1, v18
	s_delay_alu instid0(VALU_DEP_1) | instskip(NEXT) | instid1(VALU_DEP_1)
	v_min_u32_e32 v1, 32, v1
	v_subrev_nc_u32_e32 v2, 28, v1
	v_sub_nc_u32_e32 v1, 29, v1
	s_delay_alu instid0(VALU_DEP_2) | instskip(NEXT) | instid1(VALU_DEP_1)
	v_lshlrev_b64 v[2:3], v2, v[18:19]
	v_and_b32_e32 v30, 7, v2
; %bb.2593:                             ;   in Loop: Header=BB468_8 Depth=1
	s_or_b32 exec_lo, exec_lo, s21
	v_lshlrev_b32_e32 v0, 24, v0
	s_delay_alu instid0(VALU_DEP_2) | instskip(SKIP_1) | instid1(VALU_DEP_3)
	v_lshlrev_b32_e32 v2, 20, v30
	v_lshl_add_u32 v1, v1, 23, 0x3c000000
	v_and_b32_e32 v0, 0x80000000, v0
	s_delay_alu instid0(VALU_DEP_1)
	v_or3_b32 v1, v2, v0, v1
.LBB468_2594:                           ;   in Loop: Header=BB468_8 Depth=1
	s_or_b32 exec_lo, exec_lo, s19
.LBB468_2595:                           ;   in Loop: Header=BB468_8 Depth=1
	s_delay_alu instid0(SALU_CYCLE_1)
	s_or_b32 exec_lo, exec_lo, s17
.LBB468_2596:                           ;   in Loop: Header=BB468_8 Depth=1
	s_delay_alu instid0(SALU_CYCLE_1) | instskip(NEXT) | instid1(VALU_DEP_1)
	s_or_b32 exec_lo, exec_lo, s3
	v_mul_f32_e32 v0, v79, v1
                                        ; implicit-def: $vgpr159
	s_delay_alu instid0(VALU_DEP_1) | instskip(NEXT) | instid1(VALU_DEP_1)
	v_and_b32_e32 v1, 0x7f800000, v0
	v_cmp_ne_u32_e64 s2, 0x7f800000, v1
	s_delay_alu instid0(VALU_DEP_1) | instskip(NEXT) | instid1(SALU_CYCLE_1)
	s_and_saveexec_b32 s3, s2
	s_xor_b32 s2, exec_lo, s3
; %bb.2597:                             ;   in Loop: Header=BB468_8 Depth=1
	v_bfe_u32 v1, v0, 16, 1
	s_delay_alu instid0(VALU_DEP_1)
	v_add3_u32 v159, v0, v1, 0x7fff
                                        ; implicit-def: $vgpr0
; %bb.2598:                             ;   in Loop: Header=BB468_8 Depth=1
	s_and_not1_saveexec_b32 s3, s2
; %bb.2599:                             ;   in Loop: Header=BB468_8 Depth=1
	v_and_b32_e32 v1, 0xffff, v0
	v_or_b32_e32 v2, 0x10000, v0
	s_delay_alu instid0(VALU_DEP_2) | instskip(NEXT) | instid1(VALU_DEP_1)
	v_cmp_eq_u32_e64 s2, 0, v1
	v_cndmask_b32_e64 v159, v2, v0, s2
; %bb.2600:                             ;   in Loop: Header=BB468_8 Depth=1
	s_or_b32 exec_lo, exec_lo, s3
	flat_load_b64 v[30:31], v[28:29] offset:2568
	s_mov_b32 s3, exec_lo
	s_waitcnt vmcnt(0) lgkmcnt(0)
	v_dual_mov_b32 v0, 0 :: v_dual_and_b32 v1, 0xff, v30
	s_delay_alu instid0(VALU_DEP_1)
	v_cmpx_ne_u16_e32 0, v1
	s_cbranch_execz .LBB468_2608
; %bb.2601:                             ;   in Loop: Header=BB468_8 Depth=1
	v_bfrev_b32_e32 v0, 1
	s_mov_b32 s17, exec_lo
	v_cmpx_ne_u16_e32 0x80, v1
	s_cbranch_execz .LBB468_2607
; %bb.2602:                             ;   in Loop: Header=BB468_8 Depth=1
	v_and_b32_e32 v1, 0x7f, v30
	v_mov_b32_e32 v0, 0x7f800001
	s_mov_b32 s19, exec_lo
	s_delay_alu instid0(VALU_DEP_2)
	v_cmpx_ne_u32_e32 0x7f, v1
	s_cbranch_execz .LBB468_2606
; %bb.2603:                             ;   in Loop: Header=BB468_8 Depth=1
	v_lshrrev_b32_e32 v0, 3, v1
	v_dual_mov_b32 v33, v31 :: v_dual_mov_b32 v32, v30
	s_mov_b32 s21, exec_lo
	v_cmpx_gt_u32_e32 8, v1
; %bb.2604:                             ;   in Loop: Header=BB468_8 Depth=1
	v_and_b32_e32 v0, 7, v30
	s_delay_alu instid0(VALU_DEP_1) | instskip(NEXT) | instid1(VALU_DEP_1)
	v_clz_i32_u32_e32 v0, v0
	v_min_u32_e32 v0, 32, v0
	s_delay_alu instid0(VALU_DEP_1) | instskip(SKIP_1) | instid1(VALU_DEP_2)
	v_subrev_nc_u32_e32 v1, 28, v0
	v_sub_nc_u32_e32 v0, 29, v0
	v_lshlrev_b64 v[32:33], v1, v[30:31]
; %bb.2605:                             ;   in Loop: Header=BB468_8 Depth=1
	s_or_b32 exec_lo, exec_lo, s21
	s_delay_alu instid0(VALU_DEP_1) | instskip(SKIP_2) | instid1(VALU_DEP_3)
	v_lshlrev_b32_e32 v1, 20, v32
	v_lshlrev_b32_e32 v2, 24, v30
	v_lshl_add_u32 v0, v0, 23, 0x3c000000
	v_and_b32_e32 v1, 0x700000, v1
	s_delay_alu instid0(VALU_DEP_3) | instskip(NEXT) | instid1(VALU_DEP_1)
	v_and_b32_e32 v2, 0x80000000, v2
	v_or3_b32 v0, v1, v2, v0
.LBB468_2606:                           ;   in Loop: Header=BB468_8 Depth=1
	s_or_b32 exec_lo, exec_lo, s19
.LBB468_2607:                           ;   in Loop: Header=BB468_8 Depth=1
	s_delay_alu instid0(SALU_CYCLE_1)
	s_or_b32 exec_lo, exec_lo, s17
.LBB468_2608:                           ;   in Loop: Header=BB468_8 Depth=1
	s_delay_alu instid0(SALU_CYCLE_1) | instskip(NEXT) | instid1(VALU_DEP_1)
	s_or_b32 exec_lo, exec_lo, s3
	v_mul_f32_e32 v0, v79, v0
                                        ; implicit-def: $vgpr168
	s_delay_alu instid0(VALU_DEP_1) | instskip(NEXT) | instid1(VALU_DEP_1)
	v_and_b32_e32 v1, 0x7f800000, v0
	v_cmp_ne_u32_e64 s2, 0x7f800000, v1
	s_delay_alu instid0(VALU_DEP_1) | instskip(NEXT) | instid1(SALU_CYCLE_1)
	s_and_saveexec_b32 s3, s2
	s_xor_b32 s2, exec_lo, s3
; %bb.2609:                             ;   in Loop: Header=BB468_8 Depth=1
	v_bfe_u32 v1, v0, 16, 1
	s_delay_alu instid0(VALU_DEP_1)
	v_add3_u32 v168, v0, v1, 0x7fff
                                        ; implicit-def: $vgpr0
; %bb.2610:                             ;   in Loop: Header=BB468_8 Depth=1
	s_and_not1_saveexec_b32 s3, s2
; %bb.2611:                             ;   in Loop: Header=BB468_8 Depth=1
	v_and_b32_e32 v1, 0xffff, v0
	v_or_b32_e32 v2, 0x10000, v0
	s_delay_alu instid0(VALU_DEP_2) | instskip(NEXT) | instid1(VALU_DEP_1)
	v_cmp_eq_u32_e64 s2, 0, v1
	v_cndmask_b32_e64 v168, v2, v0, s2
; %bb.2612:                             ;   in Loop: Header=BB468_8 Depth=1
	s_or_b32 exec_lo, exec_lo, s3
	v_lshrrev_b16 v1, 8, v30
	v_mov_b32_e32 v0, 0
	s_mov_b32 s3, exec_lo
	s_delay_alu instid0(VALU_DEP_2)
	v_cmpx_ne_u16_e32 0, v1
	s_cbranch_execz .LBB468_2620
; %bb.2613:                             ;   in Loop: Header=BB468_8 Depth=1
	v_bfrev_b32_e32 v0, 1
	s_mov_b32 s17, exec_lo
	v_cmpx_ne_u16_e32 0x80, v1
	s_cbranch_execz .LBB468_2619
; %bb.2614:                             ;   in Loop: Header=BB468_8 Depth=1
	v_and_b32_e32 v2, 0xffff, v1
	v_mov_b32_e32 v0, 0x7f800001
	s_mov_b32 s19, exec_lo
	s_delay_alu instid0(VALU_DEP_2) | instskip(NEXT) | instid1(VALU_DEP_1)
	v_and_b32_e32 v1, 0x7f, v2
	v_cmpx_ne_u32_e32 0x7f, v1
	s_cbranch_execz .LBB468_2618
; %bb.2615:                             ;   in Loop: Header=BB468_8 Depth=1
	v_and_b32_e32 v18, 7, v2
	v_mov_b32_e32 v33, v19
	v_lshrrev_b32_e32 v0, 3, v1
	s_mov_b32 s21, exec_lo
	s_delay_alu instid0(VALU_DEP_3)
	v_mov_b32_e32 v32, v18
	v_cmpx_gt_u32_e32 8, v1
; %bb.2616:                             ;   in Loop: Header=BB468_8 Depth=1
	v_clz_i32_u32_e32 v0, v18
	s_delay_alu instid0(VALU_DEP_1) | instskip(NEXT) | instid1(VALU_DEP_1)
	v_min_u32_e32 v0, 32, v0
	v_subrev_nc_u32_e32 v1, 28, v0
	v_sub_nc_u32_e32 v0, 29, v0
	s_delay_alu instid0(VALU_DEP_2) | instskip(NEXT) | instid1(VALU_DEP_1)
	v_lshlrev_b64 v[1:2], v1, v[18:19]
	v_and_b32_e32 v32, 7, v1
; %bb.2617:                             ;   in Loop: Header=BB468_8 Depth=1
	s_or_b32 exec_lo, exec_lo, s21
	v_lshlrev_b32_e32 v1, 16, v30
	s_delay_alu instid0(VALU_DEP_2) | instskip(SKIP_1) | instid1(VALU_DEP_3)
	v_lshlrev_b32_e32 v2, 20, v32
	v_lshl_add_u32 v0, v0, 23, 0x3c000000
	v_and_b32_e32 v1, 0x80000000, v1
	s_delay_alu instid0(VALU_DEP_1)
	v_or3_b32 v0, v2, v1, v0
.LBB468_2618:                           ;   in Loop: Header=BB468_8 Depth=1
	s_or_b32 exec_lo, exec_lo, s19
.LBB468_2619:                           ;   in Loop: Header=BB468_8 Depth=1
	s_delay_alu instid0(SALU_CYCLE_1)
	s_or_b32 exec_lo, exec_lo, s17
.LBB468_2620:                           ;   in Loop: Header=BB468_8 Depth=1
	s_delay_alu instid0(SALU_CYCLE_1) | instskip(NEXT) | instid1(VALU_DEP_1)
	s_or_b32 exec_lo, exec_lo, s3
	v_mul_f32_e32 v0, v79, v0
                                        ; implicit-def: $vgpr169
	s_delay_alu instid0(VALU_DEP_1) | instskip(NEXT) | instid1(VALU_DEP_1)
	v_and_b32_e32 v1, 0x7f800000, v0
	v_cmp_ne_u32_e64 s2, 0x7f800000, v1
	s_delay_alu instid0(VALU_DEP_1) | instskip(NEXT) | instid1(SALU_CYCLE_1)
	s_and_saveexec_b32 s3, s2
	s_xor_b32 s2, exec_lo, s3
; %bb.2621:                             ;   in Loop: Header=BB468_8 Depth=1
	v_bfe_u32 v1, v0, 16, 1
	s_delay_alu instid0(VALU_DEP_1)
	v_add3_u32 v169, v0, v1, 0x7fff
                                        ; implicit-def: $vgpr0
; %bb.2622:                             ;   in Loop: Header=BB468_8 Depth=1
	s_and_not1_saveexec_b32 s3, s2
; %bb.2623:                             ;   in Loop: Header=BB468_8 Depth=1
	v_and_b32_e32 v1, 0xffff, v0
	v_or_b32_e32 v2, 0x10000, v0
	s_delay_alu instid0(VALU_DEP_2) | instskip(NEXT) | instid1(VALU_DEP_1)
	v_cmp_eq_u32_e64 s2, 0, v1
	v_cndmask_b32_e64 v169, v2, v0, s2
; %bb.2624:                             ;   in Loop: Header=BB468_8 Depth=1
	s_or_b32 exec_lo, exec_lo, s3
	v_lshrrev_b32_e32 v0, 16, v30
	s_mov_b32 s3, exec_lo
	s_delay_alu instid0(VALU_DEP_1) | instskip(NEXT) | instid1(VALU_DEP_1)
	v_dual_mov_b32 v1, 0 :: v_dual_and_b32 v2, 0xff, v0
	v_cmpx_ne_u16_e32 0, v2
	s_cbranch_execz .LBB468_2632
; %bb.2625:                             ;   in Loop: Header=BB468_8 Depth=1
	v_bfrev_b32_e32 v1, 1
	s_mov_b32 s17, exec_lo
	v_cmpx_ne_u16_e32 0x80, v2
	s_cbranch_execz .LBB468_2631
; %bb.2626:                             ;   in Loop: Header=BB468_8 Depth=1
	v_bfe_u32 v2, v30, 16, 7
	v_mov_b32_e32 v1, 0x7f800001
	s_mov_b32 s19, exec_lo
	s_delay_alu instid0(VALU_DEP_2)
	v_cmpx_ne_u32_e32 0x7f, v2
	s_cbranch_execz .LBB468_2630
; %bb.2627:                             ;   in Loop: Header=BB468_8 Depth=1
	v_and_b32_e32 v18, 7, v0
	v_mov_b32_e32 v33, v19
	v_lshrrev_b32_e32 v1, 3, v2
	s_mov_b32 s21, exec_lo
	s_delay_alu instid0(VALU_DEP_3)
	v_mov_b32_e32 v32, v18
	v_cmpx_gt_u32_e32 8, v2
; %bb.2628:                             ;   in Loop: Header=BB468_8 Depth=1
	v_clz_i32_u32_e32 v1, v18
	s_delay_alu instid0(VALU_DEP_1) | instskip(NEXT) | instid1(VALU_DEP_1)
	v_min_u32_e32 v1, 32, v1
	v_subrev_nc_u32_e32 v2, 28, v1
	v_sub_nc_u32_e32 v1, 29, v1
	s_delay_alu instid0(VALU_DEP_2) | instskip(NEXT) | instid1(VALU_DEP_1)
	v_lshlrev_b64 v[2:3], v2, v[18:19]
	v_and_b32_e32 v32, 7, v2
; %bb.2629:                             ;   in Loop: Header=BB468_8 Depth=1
	s_or_b32 exec_lo, exec_lo, s21
	v_lshlrev_b32_e32 v0, 24, v0
	s_delay_alu instid0(VALU_DEP_2) | instskip(SKIP_1) | instid1(VALU_DEP_3)
	v_lshlrev_b32_e32 v2, 20, v32
	v_lshl_add_u32 v1, v1, 23, 0x3c000000
	v_and_b32_e32 v0, 0x80000000, v0
	s_delay_alu instid0(VALU_DEP_1)
	v_or3_b32 v1, v2, v0, v1
.LBB468_2630:                           ;   in Loop: Header=BB468_8 Depth=1
	s_or_b32 exec_lo, exec_lo, s19
.LBB468_2631:                           ;   in Loop: Header=BB468_8 Depth=1
	s_delay_alu instid0(SALU_CYCLE_1)
	s_or_b32 exec_lo, exec_lo, s17
.LBB468_2632:                           ;   in Loop: Header=BB468_8 Depth=1
	s_delay_alu instid0(SALU_CYCLE_1) | instskip(NEXT) | instid1(VALU_DEP_1)
	s_or_b32 exec_lo, exec_lo, s3
	v_mul_f32_e32 v0, v79, v1
                                        ; implicit-def: $vgpr170
	s_delay_alu instid0(VALU_DEP_1) | instskip(NEXT) | instid1(VALU_DEP_1)
	v_and_b32_e32 v1, 0x7f800000, v0
	v_cmp_ne_u32_e64 s2, 0x7f800000, v1
	s_delay_alu instid0(VALU_DEP_1) | instskip(NEXT) | instid1(SALU_CYCLE_1)
	s_and_saveexec_b32 s3, s2
	s_xor_b32 s2, exec_lo, s3
; %bb.2633:                             ;   in Loop: Header=BB468_8 Depth=1
	v_bfe_u32 v1, v0, 16, 1
	s_delay_alu instid0(VALU_DEP_1)
	v_add3_u32 v170, v0, v1, 0x7fff
                                        ; implicit-def: $vgpr0
; %bb.2634:                             ;   in Loop: Header=BB468_8 Depth=1
	s_and_not1_saveexec_b32 s3, s2
; %bb.2635:                             ;   in Loop: Header=BB468_8 Depth=1
	v_and_b32_e32 v1, 0xffff, v0
	v_or_b32_e32 v2, 0x10000, v0
	s_delay_alu instid0(VALU_DEP_2) | instskip(NEXT) | instid1(VALU_DEP_1)
	v_cmp_eq_u32_e64 s2, 0, v1
	v_cndmask_b32_e64 v170, v2, v0, s2
; %bb.2636:                             ;   in Loop: Header=BB468_8 Depth=1
	s_or_b32 exec_lo, exec_lo, s3
	v_mov_b32_e32 v1, 0
	s_mov_b32 s3, exec_lo
	v_cmpx_lt_u32_e32 0xffffff, v30
	s_cbranch_execz .LBB468_2644
; %bb.2637:                             ;   in Loop: Header=BB468_8 Depth=1
	v_lshrrev_b32_e32 v0, 24, v30
	v_bfrev_b32_e32 v1, 1
	s_mov_b32 s17, exec_lo
	s_delay_alu instid0(VALU_DEP_2)
	v_cmpx_ne_u32_e32 0x80, v0
	s_cbranch_execz .LBB468_2643
; %bb.2638:                             ;   in Loop: Header=BB468_8 Depth=1
	v_bfe_u32 v2, v30, 24, 7
	v_mov_b32_e32 v1, 0x7f800001
	s_mov_b32 s19, exec_lo
	s_delay_alu instid0(VALU_DEP_2)
	v_cmpx_ne_u32_e32 0x7f, v2
	s_cbranch_execz .LBB468_2642
; %bb.2639:                             ;   in Loop: Header=BB468_8 Depth=1
	v_and_b32_e32 v18, 7, v0
	v_mov_b32_e32 v33, v19
	v_lshrrev_b32_e32 v1, 3, v2
	s_mov_b32 s21, exec_lo
	s_delay_alu instid0(VALU_DEP_3)
	v_mov_b32_e32 v32, v18
	v_cmpx_gt_u32_e32 8, v2
; %bb.2640:                             ;   in Loop: Header=BB468_8 Depth=1
	v_clz_i32_u32_e32 v1, v18
	s_delay_alu instid0(VALU_DEP_1) | instskip(NEXT) | instid1(VALU_DEP_1)
	v_min_u32_e32 v1, 32, v1
	v_subrev_nc_u32_e32 v2, 28, v1
	v_sub_nc_u32_e32 v1, 29, v1
	s_delay_alu instid0(VALU_DEP_2) | instskip(NEXT) | instid1(VALU_DEP_1)
	v_lshlrev_b64 v[2:3], v2, v[18:19]
	v_and_b32_e32 v32, 7, v2
; %bb.2641:                             ;   in Loop: Header=BB468_8 Depth=1
	s_or_b32 exec_lo, exec_lo, s21
	v_lshlrev_b32_e32 v0, 24, v0
	s_delay_alu instid0(VALU_DEP_2) | instskip(SKIP_1) | instid1(VALU_DEP_3)
	v_lshlrev_b32_e32 v2, 20, v32
	v_lshl_add_u32 v1, v1, 23, 0x3c000000
	v_and_b32_e32 v0, 0x80000000, v0
	s_delay_alu instid0(VALU_DEP_1)
	v_or3_b32 v1, v2, v0, v1
.LBB468_2642:                           ;   in Loop: Header=BB468_8 Depth=1
	s_or_b32 exec_lo, exec_lo, s19
.LBB468_2643:                           ;   in Loop: Header=BB468_8 Depth=1
	s_delay_alu instid0(SALU_CYCLE_1)
	s_or_b32 exec_lo, exec_lo, s17
.LBB468_2644:                           ;   in Loop: Header=BB468_8 Depth=1
	s_delay_alu instid0(SALU_CYCLE_1) | instskip(NEXT) | instid1(VALU_DEP_1)
	s_or_b32 exec_lo, exec_lo, s3
	v_mul_f32_e32 v0, v79, v1
                                        ; implicit-def: $vgpr171
	s_delay_alu instid0(VALU_DEP_1) | instskip(NEXT) | instid1(VALU_DEP_1)
	v_and_b32_e32 v1, 0x7f800000, v0
	v_cmp_ne_u32_e64 s2, 0x7f800000, v1
	s_delay_alu instid0(VALU_DEP_1) | instskip(NEXT) | instid1(SALU_CYCLE_1)
	s_and_saveexec_b32 s3, s2
	s_xor_b32 s2, exec_lo, s3
; %bb.2645:                             ;   in Loop: Header=BB468_8 Depth=1
	v_bfe_u32 v1, v0, 16, 1
	s_delay_alu instid0(VALU_DEP_1)
	v_add3_u32 v171, v0, v1, 0x7fff
                                        ; implicit-def: $vgpr0
; %bb.2646:                             ;   in Loop: Header=BB468_8 Depth=1
	s_and_not1_saveexec_b32 s3, s2
; %bb.2647:                             ;   in Loop: Header=BB468_8 Depth=1
	v_and_b32_e32 v1, 0xffff, v0
	v_or_b32_e32 v2, 0x10000, v0
	s_delay_alu instid0(VALU_DEP_2) | instskip(NEXT) | instid1(VALU_DEP_1)
	v_cmp_eq_u32_e64 s2, 0, v1
	v_cndmask_b32_e64 v171, v2, v0, s2
; %bb.2648:                             ;   in Loop: Header=BB468_8 Depth=1
	s_or_b32 exec_lo, exec_lo, s3
	v_dual_mov_b32 v18, v31 :: v_dual_and_b32 v1, 0xff, v31
	v_mov_b32_e32 v0, 0
	s_mov_b32 s3, exec_lo
	s_delay_alu instid0(VALU_DEP_2)
	v_cmpx_ne_u16_e32 0, v1
	s_cbranch_execz .LBB468_2656
; %bb.2649:                             ;   in Loop: Header=BB468_8 Depth=1
	v_bfrev_b32_e32 v0, 1
	s_mov_b32 s17, exec_lo
	v_cmpx_ne_u16_e32 0x80, v1
	s_cbranch_execz .LBB468_2655
; %bb.2650:                             ;   in Loop: Header=BB468_8 Depth=1
	v_and_b32_e32 v1, 0x7f, v31
	v_mov_b32_e32 v0, 0x7f800001
	s_mov_b32 s19, exec_lo
	s_delay_alu instid0(VALU_DEP_2)
	v_cmpx_ne_u32_e32 0x7f, v1
	s_cbranch_execz .LBB468_2654
; %bb.2651:                             ;   in Loop: Header=BB468_8 Depth=1
	v_dual_mov_b32 v33, v19 :: v_dual_mov_b32 v32, v18
	v_lshrrev_b32_e32 v0, 3, v1
	s_mov_b32 s21, exec_lo
	v_cmpx_gt_u32_e32 8, v1
; %bb.2652:                             ;   in Loop: Header=BB468_8 Depth=1
	v_and_b32_e32 v0, 7, v31
	s_delay_alu instid0(VALU_DEP_1) | instskip(NEXT) | instid1(VALU_DEP_1)
	v_clz_i32_u32_e32 v0, v0
	v_min_u32_e32 v0, 32, v0
	s_delay_alu instid0(VALU_DEP_1) | instskip(SKIP_1) | instid1(VALU_DEP_2)
	v_subrev_nc_u32_e32 v1, 28, v0
	v_sub_nc_u32_e32 v0, 29, v0
	v_lshlrev_b64 v[32:33], v1, v[18:19]
; %bb.2653:                             ;   in Loop: Header=BB468_8 Depth=1
	s_or_b32 exec_lo, exec_lo, s21
	s_delay_alu instid0(VALU_DEP_1) | instskip(SKIP_2) | instid1(VALU_DEP_3)
	v_lshlrev_b32_e32 v1, 20, v32
	v_lshlrev_b32_e32 v2, 24, v18
	v_lshl_add_u32 v0, v0, 23, 0x3c000000
	v_and_b32_e32 v1, 0x700000, v1
	s_delay_alu instid0(VALU_DEP_3) | instskip(NEXT) | instid1(VALU_DEP_1)
	v_and_b32_e32 v2, 0x80000000, v2
	v_or3_b32 v0, v1, v2, v0
.LBB468_2654:                           ;   in Loop: Header=BB468_8 Depth=1
	s_or_b32 exec_lo, exec_lo, s19
.LBB468_2655:                           ;   in Loop: Header=BB468_8 Depth=1
	s_delay_alu instid0(SALU_CYCLE_1)
	s_or_b32 exec_lo, exec_lo, s17
.LBB468_2656:                           ;   in Loop: Header=BB468_8 Depth=1
	s_delay_alu instid0(SALU_CYCLE_1) | instskip(NEXT) | instid1(VALU_DEP_1)
	s_or_b32 exec_lo, exec_lo, s3
	v_mul_f32_e32 v0, v79, v0
                                        ; implicit-def: $vgpr172
	s_delay_alu instid0(VALU_DEP_1) | instskip(NEXT) | instid1(VALU_DEP_1)
	v_and_b32_e32 v1, 0x7f800000, v0
	v_cmp_ne_u32_e64 s2, 0x7f800000, v1
	s_delay_alu instid0(VALU_DEP_1) | instskip(NEXT) | instid1(SALU_CYCLE_1)
	s_and_saveexec_b32 s3, s2
	s_xor_b32 s2, exec_lo, s3
; %bb.2657:                             ;   in Loop: Header=BB468_8 Depth=1
	v_bfe_u32 v1, v0, 16, 1
	s_delay_alu instid0(VALU_DEP_1)
	v_add3_u32 v172, v0, v1, 0x7fff
                                        ; implicit-def: $vgpr0
; %bb.2658:                             ;   in Loop: Header=BB468_8 Depth=1
	s_and_not1_saveexec_b32 s3, s2
; %bb.2659:                             ;   in Loop: Header=BB468_8 Depth=1
	v_and_b32_e32 v1, 0xffff, v0
	v_or_b32_e32 v2, 0x10000, v0
	s_delay_alu instid0(VALU_DEP_2) | instskip(NEXT) | instid1(VALU_DEP_1)
	v_cmp_eq_u32_e64 s2, 0, v1
	v_cndmask_b32_e64 v172, v2, v0, s2
; %bb.2660:                             ;   in Loop: Header=BB468_8 Depth=1
	s_or_b32 exec_lo, exec_lo, s3
	v_lshrrev_b16 v1, 8, v18
	v_mov_b32_e32 v0, 0
	s_mov_b32 s3, exec_lo
	s_delay_alu instid0(VALU_DEP_2)
	v_cmpx_ne_u16_e32 0, v1
	s_cbranch_execz .LBB468_2668
; %bb.2661:                             ;   in Loop: Header=BB468_8 Depth=1
	v_bfrev_b32_e32 v0, 1
	s_mov_b32 s17, exec_lo
	v_cmpx_ne_u16_e32 0x80, v1
	s_cbranch_execz .LBB468_2667
; %bb.2662:                             ;   in Loop: Header=BB468_8 Depth=1
	v_and_b32_e32 v2, 0xffff, v1
	v_mov_b32_e32 v0, 0x7f800001
	s_mov_b32 s19, exec_lo
	s_delay_alu instid0(VALU_DEP_2) | instskip(NEXT) | instid1(VALU_DEP_1)
	v_and_b32_e32 v1, 0x7f, v2
	v_cmpx_ne_u32_e32 0x7f, v1
	s_cbranch_execz .LBB468_2666
; %bb.2663:                             ;   in Loop: Header=BB468_8 Depth=1
	v_dual_mov_b32 v33, v19 :: v_dual_and_b32 v32, 7, v2
	v_lshrrev_b32_e32 v0, 3, v1
	s_mov_b32 s21, exec_lo
	v_cmpx_gt_u32_e32 8, v1
; %bb.2664:                             ;   in Loop: Header=BB468_8 Depth=1
	s_delay_alu instid0(VALU_DEP_3) | instskip(NEXT) | instid1(VALU_DEP_1)
	v_clz_i32_u32_e32 v0, v32
	v_min_u32_e32 v0, 32, v0
	s_delay_alu instid0(VALU_DEP_1) | instskip(SKIP_1) | instid1(VALU_DEP_2)
	v_subrev_nc_u32_e32 v1, 28, v0
	v_sub_nc_u32_e32 v0, 29, v0
	v_lshlrev_b64 v[1:2], v1, v[32:33]
	s_delay_alu instid0(VALU_DEP_1)
	v_and_b32_e32 v32, 7, v1
; %bb.2665:                             ;   in Loop: Header=BB468_8 Depth=1
	s_or_b32 exec_lo, exec_lo, s21
	v_lshlrev_b32_e32 v1, 16, v18
	s_delay_alu instid0(VALU_DEP_2) | instskip(SKIP_1) | instid1(VALU_DEP_3)
	v_lshlrev_b32_e32 v2, 20, v32
	v_lshl_add_u32 v0, v0, 23, 0x3c000000
	v_and_b32_e32 v1, 0x80000000, v1
	s_delay_alu instid0(VALU_DEP_1)
	v_or3_b32 v0, v2, v1, v0
.LBB468_2666:                           ;   in Loop: Header=BB468_8 Depth=1
	s_or_b32 exec_lo, exec_lo, s19
.LBB468_2667:                           ;   in Loop: Header=BB468_8 Depth=1
	s_delay_alu instid0(SALU_CYCLE_1)
	s_or_b32 exec_lo, exec_lo, s17
.LBB468_2668:                           ;   in Loop: Header=BB468_8 Depth=1
	s_delay_alu instid0(SALU_CYCLE_1) | instskip(NEXT) | instid1(VALU_DEP_1)
	s_or_b32 exec_lo, exec_lo, s3
	v_mul_f32_e32 v0, v79, v0
                                        ; implicit-def: $vgpr173
	s_delay_alu instid0(VALU_DEP_1) | instskip(NEXT) | instid1(VALU_DEP_1)
	v_and_b32_e32 v1, 0x7f800000, v0
	v_cmp_ne_u32_e64 s2, 0x7f800000, v1
	s_delay_alu instid0(VALU_DEP_1) | instskip(NEXT) | instid1(SALU_CYCLE_1)
	s_and_saveexec_b32 s3, s2
	s_xor_b32 s2, exec_lo, s3
; %bb.2669:                             ;   in Loop: Header=BB468_8 Depth=1
	v_bfe_u32 v1, v0, 16, 1
	s_delay_alu instid0(VALU_DEP_1)
	v_add3_u32 v173, v0, v1, 0x7fff
                                        ; implicit-def: $vgpr0
; %bb.2670:                             ;   in Loop: Header=BB468_8 Depth=1
	s_and_not1_saveexec_b32 s3, s2
; %bb.2671:                             ;   in Loop: Header=BB468_8 Depth=1
	v_and_b32_e32 v1, 0xffff, v0
	v_or_b32_e32 v2, 0x10000, v0
	s_delay_alu instid0(VALU_DEP_2) | instskip(NEXT) | instid1(VALU_DEP_1)
	v_cmp_eq_u32_e64 s2, 0, v1
	v_cndmask_b32_e64 v173, v2, v0, s2
; %bb.2672:                             ;   in Loop: Header=BB468_8 Depth=1
	s_or_b32 exec_lo, exec_lo, s3
	v_lshrrev_b32_e32 v0, 16, v31
	s_mov_b32 s3, exec_lo
	s_delay_alu instid0(VALU_DEP_1) | instskip(NEXT) | instid1(VALU_DEP_1)
	v_dual_mov_b32 v1, 0 :: v_dual_and_b32 v2, 0xff, v0
	v_cmpx_ne_u16_e32 0, v2
	s_cbranch_execz .LBB468_2680
; %bb.2673:                             ;   in Loop: Header=BB468_8 Depth=1
	v_bfrev_b32_e32 v1, 1
	s_mov_b32 s17, exec_lo
	v_cmpx_ne_u16_e32 0x80, v2
	s_cbranch_execz .LBB468_2679
; %bb.2674:                             ;   in Loop: Header=BB468_8 Depth=1
	v_bfe_u32 v2, v31, 16, 7
	v_mov_b32_e32 v1, 0x7f800001
	s_mov_b32 s19, exec_lo
	s_delay_alu instid0(VALU_DEP_2)
	v_cmpx_ne_u32_e32 0x7f, v2
	s_cbranch_execz .LBB468_2678
; %bb.2675:                             ;   in Loop: Header=BB468_8 Depth=1
	v_and_b32_e32 v18, 7, v0
	v_mov_b32_e32 v33, v19
	v_lshrrev_b32_e32 v1, 3, v2
	s_mov_b32 s21, exec_lo
	s_delay_alu instid0(VALU_DEP_3)
	v_mov_b32_e32 v32, v18
	v_cmpx_gt_u32_e32 8, v2
; %bb.2676:                             ;   in Loop: Header=BB468_8 Depth=1
	v_clz_i32_u32_e32 v1, v18
	s_delay_alu instid0(VALU_DEP_1) | instskip(NEXT) | instid1(VALU_DEP_1)
	v_min_u32_e32 v1, 32, v1
	v_subrev_nc_u32_e32 v2, 28, v1
	v_sub_nc_u32_e32 v1, 29, v1
	s_delay_alu instid0(VALU_DEP_2) | instskip(NEXT) | instid1(VALU_DEP_1)
	v_lshlrev_b64 v[2:3], v2, v[18:19]
	v_and_b32_e32 v32, 7, v2
; %bb.2677:                             ;   in Loop: Header=BB468_8 Depth=1
	s_or_b32 exec_lo, exec_lo, s21
	v_lshlrev_b32_e32 v0, 24, v0
	s_delay_alu instid0(VALU_DEP_2) | instskip(SKIP_1) | instid1(VALU_DEP_3)
	v_lshlrev_b32_e32 v2, 20, v32
	v_lshl_add_u32 v1, v1, 23, 0x3c000000
	v_and_b32_e32 v0, 0x80000000, v0
	s_delay_alu instid0(VALU_DEP_1)
	v_or3_b32 v1, v2, v0, v1
.LBB468_2678:                           ;   in Loop: Header=BB468_8 Depth=1
	s_or_b32 exec_lo, exec_lo, s19
.LBB468_2679:                           ;   in Loop: Header=BB468_8 Depth=1
	s_delay_alu instid0(SALU_CYCLE_1)
	s_or_b32 exec_lo, exec_lo, s17
.LBB468_2680:                           ;   in Loop: Header=BB468_8 Depth=1
	s_delay_alu instid0(SALU_CYCLE_1) | instskip(NEXT) | instid1(VALU_DEP_1)
	s_or_b32 exec_lo, exec_lo, s3
	v_mul_f32_e32 v0, v79, v1
                                        ; implicit-def: $vgpr174
	s_delay_alu instid0(VALU_DEP_1) | instskip(NEXT) | instid1(VALU_DEP_1)
	v_and_b32_e32 v1, 0x7f800000, v0
	v_cmp_ne_u32_e64 s2, 0x7f800000, v1
	s_delay_alu instid0(VALU_DEP_1) | instskip(NEXT) | instid1(SALU_CYCLE_1)
	s_and_saveexec_b32 s3, s2
	s_xor_b32 s2, exec_lo, s3
; %bb.2681:                             ;   in Loop: Header=BB468_8 Depth=1
	v_bfe_u32 v1, v0, 16, 1
	s_delay_alu instid0(VALU_DEP_1)
	v_add3_u32 v174, v0, v1, 0x7fff
                                        ; implicit-def: $vgpr0
; %bb.2682:                             ;   in Loop: Header=BB468_8 Depth=1
	s_and_not1_saveexec_b32 s3, s2
; %bb.2683:                             ;   in Loop: Header=BB468_8 Depth=1
	v_and_b32_e32 v1, 0xffff, v0
	v_or_b32_e32 v2, 0x10000, v0
	s_delay_alu instid0(VALU_DEP_2) | instskip(NEXT) | instid1(VALU_DEP_1)
	v_cmp_eq_u32_e64 s2, 0, v1
	v_cndmask_b32_e64 v174, v2, v0, s2
; %bb.2684:                             ;   in Loop: Header=BB468_8 Depth=1
	s_or_b32 exec_lo, exec_lo, s3
	v_mov_b32_e32 v1, 0
	s_mov_b32 s3, exec_lo
	v_cmpx_lt_u64_e64 s[4:5], v[30:31]
	s_cbranch_execz .LBB468_2692
; %bb.2685:                             ;   in Loop: Header=BB468_8 Depth=1
	v_lshrrev_b32_e32 v0, 24, v31
	v_bfrev_b32_e32 v1, 1
	s_mov_b32 s17, exec_lo
	s_delay_alu instid0(VALU_DEP_2)
	v_cmpx_ne_u32_e32 0x80, v0
	s_cbranch_execz .LBB468_2691
; %bb.2686:                             ;   in Loop: Header=BB468_8 Depth=1
	v_bfe_u32 v2, v31, 24, 7
	v_mov_b32_e32 v1, 0x7f800001
	s_mov_b32 s19, exec_lo
	s_delay_alu instid0(VALU_DEP_2)
	v_cmpx_ne_u32_e32 0x7f, v2
	s_cbranch_execz .LBB468_2690
; %bb.2687:                             ;   in Loop: Header=BB468_8 Depth=1
	v_and_b32_e32 v18, 7, v0
	v_mov_b32_e32 v31, v19
	v_lshrrev_b32_e32 v1, 3, v2
	s_mov_b32 s21, exec_lo
	s_delay_alu instid0(VALU_DEP_3)
	v_mov_b32_e32 v30, v18
	v_cmpx_gt_u32_e32 8, v2
; %bb.2688:                             ;   in Loop: Header=BB468_8 Depth=1
	v_clz_i32_u32_e32 v1, v18
	s_delay_alu instid0(VALU_DEP_1) | instskip(NEXT) | instid1(VALU_DEP_1)
	v_min_u32_e32 v1, 32, v1
	v_subrev_nc_u32_e32 v2, 28, v1
	v_sub_nc_u32_e32 v1, 29, v1
	s_delay_alu instid0(VALU_DEP_2) | instskip(NEXT) | instid1(VALU_DEP_1)
	v_lshlrev_b64 v[2:3], v2, v[18:19]
	v_and_b32_e32 v30, 7, v2
; %bb.2689:                             ;   in Loop: Header=BB468_8 Depth=1
	s_or_b32 exec_lo, exec_lo, s21
	v_lshlrev_b32_e32 v0, 24, v0
	s_delay_alu instid0(VALU_DEP_2) | instskip(SKIP_1) | instid1(VALU_DEP_3)
	v_lshlrev_b32_e32 v2, 20, v30
	v_lshl_add_u32 v1, v1, 23, 0x3c000000
	v_and_b32_e32 v0, 0x80000000, v0
	s_delay_alu instid0(VALU_DEP_1)
	v_or3_b32 v1, v2, v0, v1
.LBB468_2690:                           ;   in Loop: Header=BB468_8 Depth=1
	s_or_b32 exec_lo, exec_lo, s19
.LBB468_2691:                           ;   in Loop: Header=BB468_8 Depth=1
	s_delay_alu instid0(SALU_CYCLE_1)
	s_or_b32 exec_lo, exec_lo, s17
.LBB468_2692:                           ;   in Loop: Header=BB468_8 Depth=1
	s_delay_alu instid0(SALU_CYCLE_1) | instskip(NEXT) | instid1(VALU_DEP_1)
	s_or_b32 exec_lo, exec_lo, s3
	v_mul_f32_e32 v0, v79, v1
                                        ; implicit-def: $vgpr175
	s_delay_alu instid0(VALU_DEP_1) | instskip(NEXT) | instid1(VALU_DEP_1)
	v_and_b32_e32 v1, 0x7f800000, v0
	v_cmp_ne_u32_e64 s2, 0x7f800000, v1
	s_delay_alu instid0(VALU_DEP_1) | instskip(NEXT) | instid1(SALU_CYCLE_1)
	s_and_saveexec_b32 s3, s2
	s_xor_b32 s2, exec_lo, s3
; %bb.2693:                             ;   in Loop: Header=BB468_8 Depth=1
	v_bfe_u32 v1, v0, 16, 1
	s_delay_alu instid0(VALU_DEP_1)
	v_add3_u32 v175, v0, v1, 0x7fff
                                        ; implicit-def: $vgpr0
; %bb.2694:                             ;   in Loop: Header=BB468_8 Depth=1
	s_and_not1_saveexec_b32 s3, s2
; %bb.2695:                             ;   in Loop: Header=BB468_8 Depth=1
	v_and_b32_e32 v1, 0xffff, v0
	v_or_b32_e32 v2, 0x10000, v0
	s_delay_alu instid0(VALU_DEP_2) | instskip(NEXT) | instid1(VALU_DEP_1)
	v_cmp_eq_u32_e64 s2, 0, v1
	v_cndmask_b32_e64 v175, v2, v0, s2
; %bb.2696:                             ;   in Loop: Header=BB468_8 Depth=1
	s_or_b32 exec_lo, exec_lo, s3
	flat_load_b64 v[30:31], v[28:29] offset:3072
	s_mov_b32 s3, exec_lo
	s_waitcnt vmcnt(0) lgkmcnt(0)
	v_dual_mov_b32 v0, 0 :: v_dual_and_b32 v1, 0xff, v30
	s_delay_alu instid0(VALU_DEP_1)
	v_cmpx_ne_u16_e32 0, v1
	s_cbranch_execz .LBB468_2704
; %bb.2697:                             ;   in Loop: Header=BB468_8 Depth=1
	v_bfrev_b32_e32 v0, 1
	s_mov_b32 s17, exec_lo
	v_cmpx_ne_u16_e32 0x80, v1
	s_cbranch_execz .LBB468_2703
; %bb.2698:                             ;   in Loop: Header=BB468_8 Depth=1
	v_and_b32_e32 v1, 0x7f, v30
	v_mov_b32_e32 v0, 0x7f800001
	s_mov_b32 s19, exec_lo
	s_delay_alu instid0(VALU_DEP_2)
	v_cmpx_ne_u32_e32 0x7f, v1
	s_cbranch_execz .LBB468_2702
; %bb.2699:                             ;   in Loop: Header=BB468_8 Depth=1
	v_lshrrev_b32_e32 v0, 3, v1
	v_dual_mov_b32 v33, v31 :: v_dual_mov_b32 v32, v30
	s_mov_b32 s21, exec_lo
	v_cmpx_gt_u32_e32 8, v1
; %bb.2700:                             ;   in Loop: Header=BB468_8 Depth=1
	v_and_b32_e32 v0, 7, v30
	s_delay_alu instid0(VALU_DEP_1) | instskip(NEXT) | instid1(VALU_DEP_1)
	v_clz_i32_u32_e32 v0, v0
	v_min_u32_e32 v0, 32, v0
	s_delay_alu instid0(VALU_DEP_1) | instskip(SKIP_1) | instid1(VALU_DEP_2)
	v_subrev_nc_u32_e32 v1, 28, v0
	v_sub_nc_u32_e32 v0, 29, v0
	v_lshlrev_b64 v[32:33], v1, v[30:31]
; %bb.2701:                             ;   in Loop: Header=BB468_8 Depth=1
	s_or_b32 exec_lo, exec_lo, s21
	s_delay_alu instid0(VALU_DEP_1) | instskip(SKIP_2) | instid1(VALU_DEP_3)
	v_lshlrev_b32_e32 v1, 20, v32
	v_lshlrev_b32_e32 v2, 24, v30
	v_lshl_add_u32 v0, v0, 23, 0x3c000000
	v_and_b32_e32 v1, 0x700000, v1
	s_delay_alu instid0(VALU_DEP_3) | instskip(NEXT) | instid1(VALU_DEP_1)
	v_and_b32_e32 v2, 0x80000000, v2
	v_or3_b32 v0, v1, v2, v0
.LBB468_2702:                           ;   in Loop: Header=BB468_8 Depth=1
	s_or_b32 exec_lo, exec_lo, s19
.LBB468_2703:                           ;   in Loop: Header=BB468_8 Depth=1
	s_delay_alu instid0(SALU_CYCLE_1)
	s_or_b32 exec_lo, exec_lo, s17
.LBB468_2704:                           ;   in Loop: Header=BB468_8 Depth=1
	s_delay_alu instid0(SALU_CYCLE_1) | instskip(NEXT) | instid1(VALU_DEP_1)
	s_or_b32 exec_lo, exec_lo, s3
	v_mul_f32_e32 v0, v79, v0
                                        ; implicit-def: $vgpr184
	s_delay_alu instid0(VALU_DEP_1) | instskip(NEXT) | instid1(VALU_DEP_1)
	v_and_b32_e32 v1, 0x7f800000, v0
	v_cmp_ne_u32_e64 s2, 0x7f800000, v1
	s_delay_alu instid0(VALU_DEP_1) | instskip(NEXT) | instid1(SALU_CYCLE_1)
	s_and_saveexec_b32 s3, s2
	s_xor_b32 s2, exec_lo, s3
; %bb.2705:                             ;   in Loop: Header=BB468_8 Depth=1
	v_bfe_u32 v1, v0, 16, 1
	s_delay_alu instid0(VALU_DEP_1)
	v_add3_u32 v184, v0, v1, 0x7fff
                                        ; implicit-def: $vgpr0
; %bb.2706:                             ;   in Loop: Header=BB468_8 Depth=1
	s_and_not1_saveexec_b32 s3, s2
; %bb.2707:                             ;   in Loop: Header=BB468_8 Depth=1
	v_and_b32_e32 v1, 0xffff, v0
	v_or_b32_e32 v2, 0x10000, v0
	s_delay_alu instid0(VALU_DEP_2) | instskip(NEXT) | instid1(VALU_DEP_1)
	v_cmp_eq_u32_e64 s2, 0, v1
	v_cndmask_b32_e64 v184, v2, v0, s2
; %bb.2708:                             ;   in Loop: Header=BB468_8 Depth=1
	s_or_b32 exec_lo, exec_lo, s3
	v_lshrrev_b16 v1, 8, v30
	v_mov_b32_e32 v0, 0
	s_mov_b32 s3, exec_lo
	s_delay_alu instid0(VALU_DEP_2)
	v_cmpx_ne_u16_e32 0, v1
	s_cbranch_execz .LBB468_2716
; %bb.2709:                             ;   in Loop: Header=BB468_8 Depth=1
	v_bfrev_b32_e32 v0, 1
	s_mov_b32 s17, exec_lo
	v_cmpx_ne_u16_e32 0x80, v1
	s_cbranch_execz .LBB468_2715
; %bb.2710:                             ;   in Loop: Header=BB468_8 Depth=1
	v_and_b32_e32 v2, 0xffff, v1
	v_mov_b32_e32 v0, 0x7f800001
	s_mov_b32 s19, exec_lo
	s_delay_alu instid0(VALU_DEP_2) | instskip(NEXT) | instid1(VALU_DEP_1)
	v_and_b32_e32 v1, 0x7f, v2
	v_cmpx_ne_u32_e32 0x7f, v1
	s_cbranch_execz .LBB468_2714
; %bb.2711:                             ;   in Loop: Header=BB468_8 Depth=1
	v_and_b32_e32 v18, 7, v2
	v_mov_b32_e32 v33, v19
	v_lshrrev_b32_e32 v0, 3, v1
	s_mov_b32 s21, exec_lo
	s_delay_alu instid0(VALU_DEP_3)
	v_mov_b32_e32 v32, v18
	v_cmpx_gt_u32_e32 8, v1
; %bb.2712:                             ;   in Loop: Header=BB468_8 Depth=1
	v_clz_i32_u32_e32 v0, v18
	s_delay_alu instid0(VALU_DEP_1) | instskip(NEXT) | instid1(VALU_DEP_1)
	v_min_u32_e32 v0, 32, v0
	v_subrev_nc_u32_e32 v1, 28, v0
	v_sub_nc_u32_e32 v0, 29, v0
	s_delay_alu instid0(VALU_DEP_2) | instskip(NEXT) | instid1(VALU_DEP_1)
	v_lshlrev_b64 v[1:2], v1, v[18:19]
	v_and_b32_e32 v32, 7, v1
; %bb.2713:                             ;   in Loop: Header=BB468_8 Depth=1
	s_or_b32 exec_lo, exec_lo, s21
	v_lshlrev_b32_e32 v1, 16, v30
	s_delay_alu instid0(VALU_DEP_2) | instskip(SKIP_1) | instid1(VALU_DEP_3)
	v_lshlrev_b32_e32 v2, 20, v32
	v_lshl_add_u32 v0, v0, 23, 0x3c000000
	v_and_b32_e32 v1, 0x80000000, v1
	s_delay_alu instid0(VALU_DEP_1)
	v_or3_b32 v0, v2, v1, v0
.LBB468_2714:                           ;   in Loop: Header=BB468_8 Depth=1
	s_or_b32 exec_lo, exec_lo, s19
.LBB468_2715:                           ;   in Loop: Header=BB468_8 Depth=1
	s_delay_alu instid0(SALU_CYCLE_1)
	s_or_b32 exec_lo, exec_lo, s17
.LBB468_2716:                           ;   in Loop: Header=BB468_8 Depth=1
	s_delay_alu instid0(SALU_CYCLE_1) | instskip(NEXT) | instid1(VALU_DEP_1)
	s_or_b32 exec_lo, exec_lo, s3
	v_mul_f32_e32 v0, v79, v0
                                        ; implicit-def: $vgpr185
	s_delay_alu instid0(VALU_DEP_1) | instskip(NEXT) | instid1(VALU_DEP_1)
	v_and_b32_e32 v1, 0x7f800000, v0
	v_cmp_ne_u32_e64 s2, 0x7f800000, v1
	s_delay_alu instid0(VALU_DEP_1) | instskip(NEXT) | instid1(SALU_CYCLE_1)
	s_and_saveexec_b32 s3, s2
	s_xor_b32 s2, exec_lo, s3
; %bb.2717:                             ;   in Loop: Header=BB468_8 Depth=1
	v_bfe_u32 v1, v0, 16, 1
	s_delay_alu instid0(VALU_DEP_1)
	v_add3_u32 v185, v0, v1, 0x7fff
                                        ; implicit-def: $vgpr0
; %bb.2718:                             ;   in Loop: Header=BB468_8 Depth=1
	s_and_not1_saveexec_b32 s3, s2
; %bb.2719:                             ;   in Loop: Header=BB468_8 Depth=1
	v_and_b32_e32 v1, 0xffff, v0
	v_or_b32_e32 v2, 0x10000, v0
	s_delay_alu instid0(VALU_DEP_2) | instskip(NEXT) | instid1(VALU_DEP_1)
	v_cmp_eq_u32_e64 s2, 0, v1
	v_cndmask_b32_e64 v185, v2, v0, s2
; %bb.2720:                             ;   in Loop: Header=BB468_8 Depth=1
	s_or_b32 exec_lo, exec_lo, s3
	v_lshrrev_b32_e32 v0, 16, v30
	s_mov_b32 s3, exec_lo
	s_delay_alu instid0(VALU_DEP_1) | instskip(NEXT) | instid1(VALU_DEP_1)
	v_dual_mov_b32 v1, 0 :: v_dual_and_b32 v2, 0xff, v0
	v_cmpx_ne_u16_e32 0, v2
	s_cbranch_execz .LBB468_2728
; %bb.2721:                             ;   in Loop: Header=BB468_8 Depth=1
	v_bfrev_b32_e32 v1, 1
	s_mov_b32 s17, exec_lo
	v_cmpx_ne_u16_e32 0x80, v2
	s_cbranch_execz .LBB468_2727
; %bb.2722:                             ;   in Loop: Header=BB468_8 Depth=1
	v_bfe_u32 v2, v30, 16, 7
	v_mov_b32_e32 v1, 0x7f800001
	s_mov_b32 s19, exec_lo
	s_delay_alu instid0(VALU_DEP_2)
	v_cmpx_ne_u32_e32 0x7f, v2
	s_cbranch_execz .LBB468_2726
; %bb.2723:                             ;   in Loop: Header=BB468_8 Depth=1
	v_and_b32_e32 v18, 7, v0
	v_mov_b32_e32 v33, v19
	v_lshrrev_b32_e32 v1, 3, v2
	s_mov_b32 s21, exec_lo
	s_delay_alu instid0(VALU_DEP_3)
	v_mov_b32_e32 v32, v18
	v_cmpx_gt_u32_e32 8, v2
; %bb.2724:                             ;   in Loop: Header=BB468_8 Depth=1
	v_clz_i32_u32_e32 v1, v18
	s_delay_alu instid0(VALU_DEP_1) | instskip(NEXT) | instid1(VALU_DEP_1)
	v_min_u32_e32 v1, 32, v1
	v_subrev_nc_u32_e32 v2, 28, v1
	v_sub_nc_u32_e32 v1, 29, v1
	s_delay_alu instid0(VALU_DEP_2) | instskip(NEXT) | instid1(VALU_DEP_1)
	v_lshlrev_b64 v[2:3], v2, v[18:19]
	v_and_b32_e32 v32, 7, v2
; %bb.2725:                             ;   in Loop: Header=BB468_8 Depth=1
	s_or_b32 exec_lo, exec_lo, s21
	v_lshlrev_b32_e32 v0, 24, v0
	s_delay_alu instid0(VALU_DEP_2) | instskip(SKIP_1) | instid1(VALU_DEP_3)
	v_lshlrev_b32_e32 v2, 20, v32
	v_lshl_add_u32 v1, v1, 23, 0x3c000000
	v_and_b32_e32 v0, 0x80000000, v0
	s_delay_alu instid0(VALU_DEP_1)
	v_or3_b32 v1, v2, v0, v1
.LBB468_2726:                           ;   in Loop: Header=BB468_8 Depth=1
	s_or_b32 exec_lo, exec_lo, s19
.LBB468_2727:                           ;   in Loop: Header=BB468_8 Depth=1
	s_delay_alu instid0(SALU_CYCLE_1)
	s_or_b32 exec_lo, exec_lo, s17
.LBB468_2728:                           ;   in Loop: Header=BB468_8 Depth=1
	s_delay_alu instid0(SALU_CYCLE_1) | instskip(NEXT) | instid1(VALU_DEP_1)
	s_or_b32 exec_lo, exec_lo, s3
	v_mul_f32_e32 v0, v79, v1
                                        ; implicit-def: $vgpr186
	s_delay_alu instid0(VALU_DEP_1) | instskip(NEXT) | instid1(VALU_DEP_1)
	v_and_b32_e32 v1, 0x7f800000, v0
	v_cmp_ne_u32_e64 s2, 0x7f800000, v1
	s_delay_alu instid0(VALU_DEP_1) | instskip(NEXT) | instid1(SALU_CYCLE_1)
	s_and_saveexec_b32 s3, s2
	s_xor_b32 s2, exec_lo, s3
; %bb.2729:                             ;   in Loop: Header=BB468_8 Depth=1
	v_bfe_u32 v1, v0, 16, 1
	s_delay_alu instid0(VALU_DEP_1)
	v_add3_u32 v186, v0, v1, 0x7fff
                                        ; implicit-def: $vgpr0
; %bb.2730:                             ;   in Loop: Header=BB468_8 Depth=1
	s_and_not1_saveexec_b32 s3, s2
; %bb.2731:                             ;   in Loop: Header=BB468_8 Depth=1
	v_and_b32_e32 v1, 0xffff, v0
	v_or_b32_e32 v2, 0x10000, v0
	s_delay_alu instid0(VALU_DEP_2) | instskip(NEXT) | instid1(VALU_DEP_1)
	v_cmp_eq_u32_e64 s2, 0, v1
	v_cndmask_b32_e64 v186, v2, v0, s2
; %bb.2732:                             ;   in Loop: Header=BB468_8 Depth=1
	s_or_b32 exec_lo, exec_lo, s3
	v_mov_b32_e32 v1, 0
	s_mov_b32 s3, exec_lo
	v_cmpx_lt_u32_e32 0xffffff, v30
	s_cbranch_execz .LBB468_2740
; %bb.2733:                             ;   in Loop: Header=BB468_8 Depth=1
	v_lshrrev_b32_e32 v0, 24, v30
	v_bfrev_b32_e32 v1, 1
	s_mov_b32 s17, exec_lo
	s_delay_alu instid0(VALU_DEP_2)
	v_cmpx_ne_u32_e32 0x80, v0
	s_cbranch_execz .LBB468_2739
; %bb.2734:                             ;   in Loop: Header=BB468_8 Depth=1
	v_bfe_u32 v2, v30, 24, 7
	v_mov_b32_e32 v1, 0x7f800001
	s_mov_b32 s19, exec_lo
	s_delay_alu instid0(VALU_DEP_2)
	v_cmpx_ne_u32_e32 0x7f, v2
	s_cbranch_execz .LBB468_2738
; %bb.2735:                             ;   in Loop: Header=BB468_8 Depth=1
	v_and_b32_e32 v18, 7, v0
	v_mov_b32_e32 v33, v19
	v_lshrrev_b32_e32 v1, 3, v2
	s_mov_b32 s21, exec_lo
	s_delay_alu instid0(VALU_DEP_3)
	v_mov_b32_e32 v32, v18
	v_cmpx_gt_u32_e32 8, v2
; %bb.2736:                             ;   in Loop: Header=BB468_8 Depth=1
	v_clz_i32_u32_e32 v1, v18
	s_delay_alu instid0(VALU_DEP_1) | instskip(NEXT) | instid1(VALU_DEP_1)
	v_min_u32_e32 v1, 32, v1
	v_subrev_nc_u32_e32 v2, 28, v1
	v_sub_nc_u32_e32 v1, 29, v1
	s_delay_alu instid0(VALU_DEP_2) | instskip(NEXT) | instid1(VALU_DEP_1)
	v_lshlrev_b64 v[2:3], v2, v[18:19]
	v_and_b32_e32 v32, 7, v2
; %bb.2737:                             ;   in Loop: Header=BB468_8 Depth=1
	s_or_b32 exec_lo, exec_lo, s21
	v_lshlrev_b32_e32 v0, 24, v0
	s_delay_alu instid0(VALU_DEP_2) | instskip(SKIP_1) | instid1(VALU_DEP_3)
	v_lshlrev_b32_e32 v2, 20, v32
	v_lshl_add_u32 v1, v1, 23, 0x3c000000
	v_and_b32_e32 v0, 0x80000000, v0
	s_delay_alu instid0(VALU_DEP_1)
	v_or3_b32 v1, v2, v0, v1
.LBB468_2738:                           ;   in Loop: Header=BB468_8 Depth=1
	s_or_b32 exec_lo, exec_lo, s19
.LBB468_2739:                           ;   in Loop: Header=BB468_8 Depth=1
	s_delay_alu instid0(SALU_CYCLE_1)
	s_or_b32 exec_lo, exec_lo, s17
.LBB468_2740:                           ;   in Loop: Header=BB468_8 Depth=1
	s_delay_alu instid0(SALU_CYCLE_1) | instskip(NEXT) | instid1(VALU_DEP_1)
	s_or_b32 exec_lo, exec_lo, s3
	v_mul_f32_e32 v0, v79, v1
                                        ; implicit-def: $vgpr187
	s_delay_alu instid0(VALU_DEP_1) | instskip(NEXT) | instid1(VALU_DEP_1)
	v_and_b32_e32 v1, 0x7f800000, v0
	v_cmp_ne_u32_e64 s2, 0x7f800000, v1
	s_delay_alu instid0(VALU_DEP_1) | instskip(NEXT) | instid1(SALU_CYCLE_1)
	s_and_saveexec_b32 s3, s2
	s_xor_b32 s2, exec_lo, s3
; %bb.2741:                             ;   in Loop: Header=BB468_8 Depth=1
	v_bfe_u32 v1, v0, 16, 1
	s_delay_alu instid0(VALU_DEP_1)
	v_add3_u32 v187, v0, v1, 0x7fff
                                        ; implicit-def: $vgpr0
; %bb.2742:                             ;   in Loop: Header=BB468_8 Depth=1
	s_and_not1_saveexec_b32 s3, s2
; %bb.2743:                             ;   in Loop: Header=BB468_8 Depth=1
	v_and_b32_e32 v1, 0xffff, v0
	v_or_b32_e32 v2, 0x10000, v0
	s_delay_alu instid0(VALU_DEP_2) | instskip(NEXT) | instid1(VALU_DEP_1)
	v_cmp_eq_u32_e64 s2, 0, v1
	v_cndmask_b32_e64 v187, v2, v0, s2
; %bb.2744:                             ;   in Loop: Header=BB468_8 Depth=1
	s_or_b32 exec_lo, exec_lo, s3
	v_dual_mov_b32 v18, v31 :: v_dual_and_b32 v1, 0xff, v31
	v_mov_b32_e32 v0, 0
	s_mov_b32 s3, exec_lo
	s_delay_alu instid0(VALU_DEP_2)
	v_cmpx_ne_u16_e32 0, v1
	s_cbranch_execz .LBB468_2752
; %bb.2745:                             ;   in Loop: Header=BB468_8 Depth=1
	v_bfrev_b32_e32 v0, 1
	s_mov_b32 s17, exec_lo
	v_cmpx_ne_u16_e32 0x80, v1
	s_cbranch_execz .LBB468_2751
; %bb.2746:                             ;   in Loop: Header=BB468_8 Depth=1
	v_and_b32_e32 v1, 0x7f, v31
	v_mov_b32_e32 v0, 0x7f800001
	s_mov_b32 s19, exec_lo
	s_delay_alu instid0(VALU_DEP_2)
	v_cmpx_ne_u32_e32 0x7f, v1
	s_cbranch_execz .LBB468_2750
; %bb.2747:                             ;   in Loop: Header=BB468_8 Depth=1
	v_dual_mov_b32 v33, v19 :: v_dual_mov_b32 v32, v18
	v_lshrrev_b32_e32 v0, 3, v1
	s_mov_b32 s21, exec_lo
	v_cmpx_gt_u32_e32 8, v1
; %bb.2748:                             ;   in Loop: Header=BB468_8 Depth=1
	v_and_b32_e32 v0, 7, v31
	s_delay_alu instid0(VALU_DEP_1) | instskip(NEXT) | instid1(VALU_DEP_1)
	v_clz_i32_u32_e32 v0, v0
	v_min_u32_e32 v0, 32, v0
	s_delay_alu instid0(VALU_DEP_1) | instskip(SKIP_1) | instid1(VALU_DEP_2)
	v_subrev_nc_u32_e32 v1, 28, v0
	v_sub_nc_u32_e32 v0, 29, v0
	v_lshlrev_b64 v[32:33], v1, v[18:19]
; %bb.2749:                             ;   in Loop: Header=BB468_8 Depth=1
	s_or_b32 exec_lo, exec_lo, s21
	s_delay_alu instid0(VALU_DEP_1) | instskip(SKIP_2) | instid1(VALU_DEP_3)
	v_lshlrev_b32_e32 v1, 20, v32
	v_lshlrev_b32_e32 v2, 24, v18
	v_lshl_add_u32 v0, v0, 23, 0x3c000000
	v_and_b32_e32 v1, 0x700000, v1
	s_delay_alu instid0(VALU_DEP_3) | instskip(NEXT) | instid1(VALU_DEP_1)
	v_and_b32_e32 v2, 0x80000000, v2
	v_or3_b32 v0, v1, v2, v0
.LBB468_2750:                           ;   in Loop: Header=BB468_8 Depth=1
	s_or_b32 exec_lo, exec_lo, s19
.LBB468_2751:                           ;   in Loop: Header=BB468_8 Depth=1
	s_delay_alu instid0(SALU_CYCLE_1)
	s_or_b32 exec_lo, exec_lo, s17
.LBB468_2752:                           ;   in Loop: Header=BB468_8 Depth=1
	s_delay_alu instid0(SALU_CYCLE_1) | instskip(NEXT) | instid1(VALU_DEP_1)
	s_or_b32 exec_lo, exec_lo, s3
	v_mul_f32_e32 v0, v79, v0
                                        ; implicit-def: $vgpr188
	s_delay_alu instid0(VALU_DEP_1) | instskip(NEXT) | instid1(VALU_DEP_1)
	v_and_b32_e32 v1, 0x7f800000, v0
	v_cmp_ne_u32_e64 s2, 0x7f800000, v1
	s_delay_alu instid0(VALU_DEP_1) | instskip(NEXT) | instid1(SALU_CYCLE_1)
	s_and_saveexec_b32 s3, s2
	s_xor_b32 s2, exec_lo, s3
; %bb.2753:                             ;   in Loop: Header=BB468_8 Depth=1
	v_bfe_u32 v1, v0, 16, 1
	s_delay_alu instid0(VALU_DEP_1)
	v_add3_u32 v188, v0, v1, 0x7fff
                                        ; implicit-def: $vgpr0
; %bb.2754:                             ;   in Loop: Header=BB468_8 Depth=1
	s_and_not1_saveexec_b32 s3, s2
; %bb.2755:                             ;   in Loop: Header=BB468_8 Depth=1
	v_and_b32_e32 v1, 0xffff, v0
	v_or_b32_e32 v2, 0x10000, v0
	s_delay_alu instid0(VALU_DEP_2) | instskip(NEXT) | instid1(VALU_DEP_1)
	v_cmp_eq_u32_e64 s2, 0, v1
	v_cndmask_b32_e64 v188, v2, v0, s2
; %bb.2756:                             ;   in Loop: Header=BB468_8 Depth=1
	s_or_b32 exec_lo, exec_lo, s3
	v_lshrrev_b16 v1, 8, v18
	v_mov_b32_e32 v0, 0
	s_mov_b32 s3, exec_lo
	s_delay_alu instid0(VALU_DEP_2)
	v_cmpx_ne_u16_e32 0, v1
	s_cbranch_execz .LBB468_2764
; %bb.2757:                             ;   in Loop: Header=BB468_8 Depth=1
	v_bfrev_b32_e32 v0, 1
	s_mov_b32 s17, exec_lo
	v_cmpx_ne_u16_e32 0x80, v1
	s_cbranch_execz .LBB468_2763
; %bb.2758:                             ;   in Loop: Header=BB468_8 Depth=1
	v_and_b32_e32 v2, 0xffff, v1
	v_mov_b32_e32 v0, 0x7f800001
	s_mov_b32 s19, exec_lo
	s_delay_alu instid0(VALU_DEP_2) | instskip(NEXT) | instid1(VALU_DEP_1)
	v_and_b32_e32 v1, 0x7f, v2
	v_cmpx_ne_u32_e32 0x7f, v1
	s_cbranch_execz .LBB468_2762
; %bb.2759:                             ;   in Loop: Header=BB468_8 Depth=1
	v_dual_mov_b32 v33, v19 :: v_dual_and_b32 v32, 7, v2
	v_lshrrev_b32_e32 v0, 3, v1
	s_mov_b32 s21, exec_lo
	v_cmpx_gt_u32_e32 8, v1
; %bb.2760:                             ;   in Loop: Header=BB468_8 Depth=1
	s_delay_alu instid0(VALU_DEP_3) | instskip(NEXT) | instid1(VALU_DEP_1)
	v_clz_i32_u32_e32 v0, v32
	v_min_u32_e32 v0, 32, v0
	s_delay_alu instid0(VALU_DEP_1) | instskip(SKIP_1) | instid1(VALU_DEP_2)
	v_subrev_nc_u32_e32 v1, 28, v0
	v_sub_nc_u32_e32 v0, 29, v0
	v_lshlrev_b64 v[1:2], v1, v[32:33]
	s_delay_alu instid0(VALU_DEP_1)
	v_and_b32_e32 v32, 7, v1
; %bb.2761:                             ;   in Loop: Header=BB468_8 Depth=1
	s_or_b32 exec_lo, exec_lo, s21
	v_lshlrev_b32_e32 v1, 16, v18
	s_delay_alu instid0(VALU_DEP_2) | instskip(SKIP_1) | instid1(VALU_DEP_3)
	v_lshlrev_b32_e32 v2, 20, v32
	v_lshl_add_u32 v0, v0, 23, 0x3c000000
	v_and_b32_e32 v1, 0x80000000, v1
	s_delay_alu instid0(VALU_DEP_1)
	v_or3_b32 v0, v2, v1, v0
.LBB468_2762:                           ;   in Loop: Header=BB468_8 Depth=1
	s_or_b32 exec_lo, exec_lo, s19
.LBB468_2763:                           ;   in Loop: Header=BB468_8 Depth=1
	s_delay_alu instid0(SALU_CYCLE_1)
	s_or_b32 exec_lo, exec_lo, s17
.LBB468_2764:                           ;   in Loop: Header=BB468_8 Depth=1
	s_delay_alu instid0(SALU_CYCLE_1) | instskip(NEXT) | instid1(VALU_DEP_1)
	s_or_b32 exec_lo, exec_lo, s3
	v_mul_f32_e32 v0, v79, v0
                                        ; implicit-def: $vgpr189
	s_delay_alu instid0(VALU_DEP_1) | instskip(NEXT) | instid1(VALU_DEP_1)
	v_and_b32_e32 v1, 0x7f800000, v0
	v_cmp_ne_u32_e64 s2, 0x7f800000, v1
	s_delay_alu instid0(VALU_DEP_1) | instskip(NEXT) | instid1(SALU_CYCLE_1)
	s_and_saveexec_b32 s3, s2
	s_xor_b32 s2, exec_lo, s3
; %bb.2765:                             ;   in Loop: Header=BB468_8 Depth=1
	v_bfe_u32 v1, v0, 16, 1
	s_delay_alu instid0(VALU_DEP_1)
	v_add3_u32 v189, v0, v1, 0x7fff
                                        ; implicit-def: $vgpr0
; %bb.2766:                             ;   in Loop: Header=BB468_8 Depth=1
	s_and_not1_saveexec_b32 s3, s2
; %bb.2767:                             ;   in Loop: Header=BB468_8 Depth=1
	v_and_b32_e32 v1, 0xffff, v0
	v_or_b32_e32 v2, 0x10000, v0
	s_delay_alu instid0(VALU_DEP_2) | instskip(NEXT) | instid1(VALU_DEP_1)
	v_cmp_eq_u32_e64 s2, 0, v1
	v_cndmask_b32_e64 v189, v2, v0, s2
; %bb.2768:                             ;   in Loop: Header=BB468_8 Depth=1
	s_or_b32 exec_lo, exec_lo, s3
	v_lshrrev_b32_e32 v0, 16, v31
	s_mov_b32 s3, exec_lo
	s_delay_alu instid0(VALU_DEP_1) | instskip(NEXT) | instid1(VALU_DEP_1)
	v_dual_mov_b32 v1, 0 :: v_dual_and_b32 v2, 0xff, v0
	v_cmpx_ne_u16_e32 0, v2
	s_cbranch_execz .LBB468_2776
; %bb.2769:                             ;   in Loop: Header=BB468_8 Depth=1
	v_bfrev_b32_e32 v1, 1
	s_mov_b32 s17, exec_lo
	v_cmpx_ne_u16_e32 0x80, v2
	s_cbranch_execz .LBB468_2775
; %bb.2770:                             ;   in Loop: Header=BB468_8 Depth=1
	v_bfe_u32 v2, v31, 16, 7
	v_mov_b32_e32 v1, 0x7f800001
	s_mov_b32 s19, exec_lo
	s_delay_alu instid0(VALU_DEP_2)
	v_cmpx_ne_u32_e32 0x7f, v2
	s_cbranch_execz .LBB468_2774
; %bb.2771:                             ;   in Loop: Header=BB468_8 Depth=1
	v_and_b32_e32 v18, 7, v0
	v_mov_b32_e32 v33, v19
	v_lshrrev_b32_e32 v1, 3, v2
	s_mov_b32 s21, exec_lo
	s_delay_alu instid0(VALU_DEP_3)
	v_mov_b32_e32 v32, v18
	v_cmpx_gt_u32_e32 8, v2
; %bb.2772:                             ;   in Loop: Header=BB468_8 Depth=1
	v_clz_i32_u32_e32 v1, v18
	s_delay_alu instid0(VALU_DEP_1) | instskip(NEXT) | instid1(VALU_DEP_1)
	v_min_u32_e32 v1, 32, v1
	v_subrev_nc_u32_e32 v2, 28, v1
	v_sub_nc_u32_e32 v1, 29, v1
	s_delay_alu instid0(VALU_DEP_2) | instskip(NEXT) | instid1(VALU_DEP_1)
	v_lshlrev_b64 v[2:3], v2, v[18:19]
	v_and_b32_e32 v32, 7, v2
; %bb.2773:                             ;   in Loop: Header=BB468_8 Depth=1
	s_or_b32 exec_lo, exec_lo, s21
	v_lshlrev_b32_e32 v0, 24, v0
	s_delay_alu instid0(VALU_DEP_2) | instskip(SKIP_1) | instid1(VALU_DEP_3)
	v_lshlrev_b32_e32 v2, 20, v32
	v_lshl_add_u32 v1, v1, 23, 0x3c000000
	v_and_b32_e32 v0, 0x80000000, v0
	s_delay_alu instid0(VALU_DEP_1)
	v_or3_b32 v1, v2, v0, v1
.LBB468_2774:                           ;   in Loop: Header=BB468_8 Depth=1
	s_or_b32 exec_lo, exec_lo, s19
.LBB468_2775:                           ;   in Loop: Header=BB468_8 Depth=1
	s_delay_alu instid0(SALU_CYCLE_1)
	s_or_b32 exec_lo, exec_lo, s17
.LBB468_2776:                           ;   in Loop: Header=BB468_8 Depth=1
	s_delay_alu instid0(SALU_CYCLE_1) | instskip(NEXT) | instid1(VALU_DEP_1)
	s_or_b32 exec_lo, exec_lo, s3
	v_mul_f32_e32 v0, v79, v1
                                        ; implicit-def: $vgpr190
	s_delay_alu instid0(VALU_DEP_1) | instskip(NEXT) | instid1(VALU_DEP_1)
	v_and_b32_e32 v1, 0x7f800000, v0
	v_cmp_ne_u32_e64 s2, 0x7f800000, v1
	s_delay_alu instid0(VALU_DEP_1) | instskip(NEXT) | instid1(SALU_CYCLE_1)
	s_and_saveexec_b32 s3, s2
	s_xor_b32 s2, exec_lo, s3
; %bb.2777:                             ;   in Loop: Header=BB468_8 Depth=1
	v_bfe_u32 v1, v0, 16, 1
	s_delay_alu instid0(VALU_DEP_1)
	v_add3_u32 v190, v0, v1, 0x7fff
                                        ; implicit-def: $vgpr0
; %bb.2778:                             ;   in Loop: Header=BB468_8 Depth=1
	s_and_not1_saveexec_b32 s3, s2
; %bb.2779:                             ;   in Loop: Header=BB468_8 Depth=1
	v_and_b32_e32 v1, 0xffff, v0
	v_or_b32_e32 v2, 0x10000, v0
	s_delay_alu instid0(VALU_DEP_2) | instskip(NEXT) | instid1(VALU_DEP_1)
	v_cmp_eq_u32_e64 s2, 0, v1
	v_cndmask_b32_e64 v190, v2, v0, s2
; %bb.2780:                             ;   in Loop: Header=BB468_8 Depth=1
	s_or_b32 exec_lo, exec_lo, s3
	v_mov_b32_e32 v1, 0
	s_mov_b32 s3, exec_lo
	v_cmpx_lt_u64_e64 s[4:5], v[30:31]
	s_cbranch_execz .LBB468_2788
; %bb.2781:                             ;   in Loop: Header=BB468_8 Depth=1
	v_lshrrev_b32_e32 v0, 24, v31
	v_bfrev_b32_e32 v1, 1
	s_mov_b32 s17, exec_lo
	s_delay_alu instid0(VALU_DEP_2)
	v_cmpx_ne_u32_e32 0x80, v0
	s_cbranch_execz .LBB468_2787
; %bb.2782:                             ;   in Loop: Header=BB468_8 Depth=1
	v_bfe_u32 v2, v31, 24, 7
	v_mov_b32_e32 v1, 0x7f800001
	s_mov_b32 s19, exec_lo
	s_delay_alu instid0(VALU_DEP_2)
	v_cmpx_ne_u32_e32 0x7f, v2
	s_cbranch_execz .LBB468_2786
; %bb.2783:                             ;   in Loop: Header=BB468_8 Depth=1
	v_and_b32_e32 v18, 7, v0
	v_mov_b32_e32 v31, v19
	v_lshrrev_b32_e32 v1, 3, v2
	s_mov_b32 s21, exec_lo
	s_delay_alu instid0(VALU_DEP_3)
	v_mov_b32_e32 v30, v18
	v_cmpx_gt_u32_e32 8, v2
; %bb.2784:                             ;   in Loop: Header=BB468_8 Depth=1
	v_clz_i32_u32_e32 v1, v18
	s_delay_alu instid0(VALU_DEP_1) | instskip(NEXT) | instid1(VALU_DEP_1)
	v_min_u32_e32 v1, 32, v1
	v_subrev_nc_u32_e32 v2, 28, v1
	v_sub_nc_u32_e32 v1, 29, v1
	s_delay_alu instid0(VALU_DEP_2) | instskip(NEXT) | instid1(VALU_DEP_1)
	v_lshlrev_b64 v[2:3], v2, v[18:19]
	v_and_b32_e32 v30, 7, v2
; %bb.2785:                             ;   in Loop: Header=BB468_8 Depth=1
	s_or_b32 exec_lo, exec_lo, s21
	v_lshlrev_b32_e32 v0, 24, v0
	s_delay_alu instid0(VALU_DEP_2) | instskip(SKIP_1) | instid1(VALU_DEP_3)
	v_lshlrev_b32_e32 v2, 20, v30
	v_lshl_add_u32 v1, v1, 23, 0x3c000000
	v_and_b32_e32 v0, 0x80000000, v0
	s_delay_alu instid0(VALU_DEP_1)
	v_or3_b32 v1, v2, v0, v1
.LBB468_2786:                           ;   in Loop: Header=BB468_8 Depth=1
	s_or_b32 exec_lo, exec_lo, s19
.LBB468_2787:                           ;   in Loop: Header=BB468_8 Depth=1
	s_delay_alu instid0(SALU_CYCLE_1)
	s_or_b32 exec_lo, exec_lo, s17
.LBB468_2788:                           ;   in Loop: Header=BB468_8 Depth=1
	s_delay_alu instid0(SALU_CYCLE_1) | instskip(NEXT) | instid1(VALU_DEP_1)
	s_or_b32 exec_lo, exec_lo, s3
	v_mul_f32_e32 v0, v79, v1
                                        ; implicit-def: $vgpr191
	s_delay_alu instid0(VALU_DEP_1) | instskip(NEXT) | instid1(VALU_DEP_1)
	v_and_b32_e32 v1, 0x7f800000, v0
	v_cmp_ne_u32_e64 s2, 0x7f800000, v1
	s_delay_alu instid0(VALU_DEP_1) | instskip(NEXT) | instid1(SALU_CYCLE_1)
	s_and_saveexec_b32 s3, s2
	s_xor_b32 s2, exec_lo, s3
; %bb.2789:                             ;   in Loop: Header=BB468_8 Depth=1
	v_bfe_u32 v1, v0, 16, 1
	s_delay_alu instid0(VALU_DEP_1)
	v_add3_u32 v191, v0, v1, 0x7fff
                                        ; implicit-def: $vgpr0
; %bb.2790:                             ;   in Loop: Header=BB468_8 Depth=1
	s_and_not1_saveexec_b32 s3, s2
; %bb.2791:                             ;   in Loop: Header=BB468_8 Depth=1
	v_and_b32_e32 v1, 0xffff, v0
	v_or_b32_e32 v2, 0x10000, v0
	s_delay_alu instid0(VALU_DEP_2) | instskip(NEXT) | instid1(VALU_DEP_1)
	v_cmp_eq_u32_e64 s2, 0, v1
	v_cndmask_b32_e64 v191, v2, v0, s2
; %bb.2792:                             ;   in Loop: Header=BB468_8 Depth=1
	s_or_b32 exec_lo, exec_lo, s3
	flat_load_b64 v[30:31], v[28:29] offset:3080
	s_mov_b32 s3, exec_lo
	s_waitcnt vmcnt(0) lgkmcnt(0)
	v_dual_mov_b32 v0, 0 :: v_dual_and_b32 v1, 0xff, v30
	s_delay_alu instid0(VALU_DEP_1)
	v_cmpx_ne_u16_e32 0, v1
	s_cbranch_execz .LBB468_2800
; %bb.2793:                             ;   in Loop: Header=BB468_8 Depth=1
	v_bfrev_b32_e32 v0, 1
	s_mov_b32 s17, exec_lo
	v_cmpx_ne_u16_e32 0x80, v1
	s_cbranch_execz .LBB468_2799
; %bb.2794:                             ;   in Loop: Header=BB468_8 Depth=1
	v_and_b32_e32 v1, 0x7f, v30
	v_mov_b32_e32 v0, 0x7f800001
	s_mov_b32 s19, exec_lo
	s_delay_alu instid0(VALU_DEP_2)
	v_cmpx_ne_u32_e32 0x7f, v1
	s_cbranch_execz .LBB468_2798
; %bb.2795:                             ;   in Loop: Header=BB468_8 Depth=1
	v_lshrrev_b32_e32 v0, 3, v1
	v_dual_mov_b32 v33, v31 :: v_dual_mov_b32 v32, v30
	s_mov_b32 s21, exec_lo
	v_cmpx_gt_u32_e32 8, v1
; %bb.2796:                             ;   in Loop: Header=BB468_8 Depth=1
	v_and_b32_e32 v0, 7, v30
	s_delay_alu instid0(VALU_DEP_1) | instskip(NEXT) | instid1(VALU_DEP_1)
	v_clz_i32_u32_e32 v0, v0
	v_min_u32_e32 v0, 32, v0
	s_delay_alu instid0(VALU_DEP_1) | instskip(SKIP_1) | instid1(VALU_DEP_2)
	v_subrev_nc_u32_e32 v1, 28, v0
	v_sub_nc_u32_e32 v0, 29, v0
	v_lshlrev_b64 v[32:33], v1, v[30:31]
; %bb.2797:                             ;   in Loop: Header=BB468_8 Depth=1
	s_or_b32 exec_lo, exec_lo, s21
	s_delay_alu instid0(VALU_DEP_1) | instskip(SKIP_2) | instid1(VALU_DEP_3)
	v_lshlrev_b32_e32 v1, 20, v32
	v_lshlrev_b32_e32 v2, 24, v30
	v_lshl_add_u32 v0, v0, 23, 0x3c000000
	v_and_b32_e32 v1, 0x700000, v1
	s_delay_alu instid0(VALU_DEP_3) | instskip(NEXT) | instid1(VALU_DEP_1)
	v_and_b32_e32 v2, 0x80000000, v2
	v_or3_b32 v0, v1, v2, v0
.LBB468_2798:                           ;   in Loop: Header=BB468_8 Depth=1
	s_or_b32 exec_lo, exec_lo, s19
.LBB468_2799:                           ;   in Loop: Header=BB468_8 Depth=1
	s_delay_alu instid0(SALU_CYCLE_1)
	s_or_b32 exec_lo, exec_lo, s17
.LBB468_2800:                           ;   in Loop: Header=BB468_8 Depth=1
	s_delay_alu instid0(SALU_CYCLE_1) | instskip(NEXT) | instid1(VALU_DEP_1)
	s_or_b32 exec_lo, exec_lo, s3
	v_mul_f32_e32 v0, v79, v0
                                        ; implicit-def: $vgpr38
	s_delay_alu instid0(VALU_DEP_1) | instskip(NEXT) | instid1(VALU_DEP_1)
	v_and_b32_e32 v1, 0x7f800000, v0
	v_cmp_ne_u32_e64 s2, 0x7f800000, v1
	s_delay_alu instid0(VALU_DEP_1) | instskip(NEXT) | instid1(SALU_CYCLE_1)
	s_and_saveexec_b32 s3, s2
	s_xor_b32 s2, exec_lo, s3
; %bb.2801:                             ;   in Loop: Header=BB468_8 Depth=1
	v_bfe_u32 v1, v0, 16, 1
	s_delay_alu instid0(VALU_DEP_1)
	v_add3_u32 v38, v0, v1, 0x7fff
                                        ; implicit-def: $vgpr0
; %bb.2802:                             ;   in Loop: Header=BB468_8 Depth=1
	s_and_not1_saveexec_b32 s3, s2
; %bb.2803:                             ;   in Loop: Header=BB468_8 Depth=1
	v_and_b32_e32 v1, 0xffff, v0
	v_or_b32_e32 v2, 0x10000, v0
	s_delay_alu instid0(VALU_DEP_2) | instskip(NEXT) | instid1(VALU_DEP_1)
	v_cmp_eq_u32_e64 s2, 0, v1
	v_cndmask_b32_e64 v38, v2, v0, s2
; %bb.2804:                             ;   in Loop: Header=BB468_8 Depth=1
	s_or_b32 exec_lo, exec_lo, s3
	v_lshrrev_b16 v1, 8, v30
	v_mov_b32_e32 v0, 0
	s_mov_b32 s3, exec_lo
	s_delay_alu instid0(VALU_DEP_2)
	v_cmpx_ne_u16_e32 0, v1
	s_cbranch_execz .LBB468_2812
; %bb.2805:                             ;   in Loop: Header=BB468_8 Depth=1
	v_bfrev_b32_e32 v0, 1
	s_mov_b32 s17, exec_lo
	v_cmpx_ne_u16_e32 0x80, v1
	s_cbranch_execz .LBB468_2811
; %bb.2806:                             ;   in Loop: Header=BB468_8 Depth=1
	v_and_b32_e32 v2, 0xffff, v1
	v_mov_b32_e32 v0, 0x7f800001
	s_mov_b32 s19, exec_lo
	s_delay_alu instid0(VALU_DEP_2) | instskip(NEXT) | instid1(VALU_DEP_1)
	v_and_b32_e32 v1, 0x7f, v2
	v_cmpx_ne_u32_e32 0x7f, v1
	s_cbranch_execz .LBB468_2810
; %bb.2807:                             ;   in Loop: Header=BB468_8 Depth=1
	v_and_b32_e32 v18, 7, v2
	v_mov_b32_e32 v33, v19
	v_lshrrev_b32_e32 v0, 3, v1
	s_mov_b32 s21, exec_lo
	s_delay_alu instid0(VALU_DEP_3)
	v_mov_b32_e32 v32, v18
	v_cmpx_gt_u32_e32 8, v1
; %bb.2808:                             ;   in Loop: Header=BB468_8 Depth=1
	v_clz_i32_u32_e32 v0, v18
	s_delay_alu instid0(VALU_DEP_1) | instskip(NEXT) | instid1(VALU_DEP_1)
	v_min_u32_e32 v0, 32, v0
	v_subrev_nc_u32_e32 v1, 28, v0
	v_sub_nc_u32_e32 v0, 29, v0
	s_delay_alu instid0(VALU_DEP_2) | instskip(NEXT) | instid1(VALU_DEP_1)
	v_lshlrev_b64 v[1:2], v1, v[18:19]
	v_and_b32_e32 v32, 7, v1
; %bb.2809:                             ;   in Loop: Header=BB468_8 Depth=1
	s_or_b32 exec_lo, exec_lo, s21
	v_lshlrev_b32_e32 v1, 16, v30
	s_delay_alu instid0(VALU_DEP_2) | instskip(SKIP_1) | instid1(VALU_DEP_3)
	v_lshlrev_b32_e32 v2, 20, v32
	v_lshl_add_u32 v0, v0, 23, 0x3c000000
	v_and_b32_e32 v1, 0x80000000, v1
	s_delay_alu instid0(VALU_DEP_1)
	v_or3_b32 v0, v2, v1, v0
.LBB468_2810:                           ;   in Loop: Header=BB468_8 Depth=1
	s_or_b32 exec_lo, exec_lo, s19
.LBB468_2811:                           ;   in Loop: Header=BB468_8 Depth=1
	s_delay_alu instid0(SALU_CYCLE_1)
	s_or_b32 exec_lo, exec_lo, s17
.LBB468_2812:                           ;   in Loop: Header=BB468_8 Depth=1
	s_delay_alu instid0(SALU_CYCLE_1) | instskip(NEXT) | instid1(VALU_DEP_1)
	s_or_b32 exec_lo, exec_lo, s3
	v_mul_f32_e32 v0, v79, v0
                                        ; implicit-def: $vgpr5
	s_delay_alu instid0(VALU_DEP_1) | instskip(NEXT) | instid1(VALU_DEP_1)
	v_and_b32_e32 v1, 0x7f800000, v0
	v_cmp_ne_u32_e64 s2, 0x7f800000, v1
	s_delay_alu instid0(VALU_DEP_1) | instskip(NEXT) | instid1(SALU_CYCLE_1)
	s_and_saveexec_b32 s3, s2
	s_xor_b32 s2, exec_lo, s3
; %bb.2813:                             ;   in Loop: Header=BB468_8 Depth=1
	v_bfe_u32 v1, v0, 16, 1
	s_delay_alu instid0(VALU_DEP_1)
	v_add3_u32 v5, v0, v1, 0x7fff
                                        ; implicit-def: $vgpr0
; %bb.2814:                             ;   in Loop: Header=BB468_8 Depth=1
	s_and_not1_saveexec_b32 s3, s2
; %bb.2815:                             ;   in Loop: Header=BB468_8 Depth=1
	v_and_b32_e32 v1, 0xffff, v0
	v_or_b32_e32 v2, 0x10000, v0
	s_delay_alu instid0(VALU_DEP_2) | instskip(NEXT) | instid1(VALU_DEP_1)
	v_cmp_eq_u32_e64 s2, 0, v1
	v_cndmask_b32_e64 v5, v2, v0, s2
; %bb.2816:                             ;   in Loop: Header=BB468_8 Depth=1
	s_or_b32 exec_lo, exec_lo, s3
	v_lshrrev_b32_e32 v0, 16, v30
	s_mov_b32 s3, exec_lo
	s_delay_alu instid0(VALU_DEP_1) | instskip(NEXT) | instid1(VALU_DEP_1)
	v_dual_mov_b32 v1, 0 :: v_dual_and_b32 v2, 0xff, v0
	v_cmpx_ne_u16_e32 0, v2
	s_cbranch_execz .LBB468_2824
; %bb.2817:                             ;   in Loop: Header=BB468_8 Depth=1
	v_bfrev_b32_e32 v1, 1
	s_mov_b32 s17, exec_lo
	v_cmpx_ne_u16_e32 0x80, v2
	s_cbranch_execz .LBB468_2823
; %bb.2818:                             ;   in Loop: Header=BB468_8 Depth=1
	v_bfe_u32 v2, v30, 16, 7
	v_mov_b32_e32 v1, 0x7f800001
	s_mov_b32 s19, exec_lo
	s_delay_alu instid0(VALU_DEP_2)
	v_cmpx_ne_u32_e32 0x7f, v2
	s_cbranch_execz .LBB468_2822
; %bb.2819:                             ;   in Loop: Header=BB468_8 Depth=1
	v_and_b32_e32 v18, 7, v0
	v_mov_b32_e32 v33, v19
	v_lshrrev_b32_e32 v1, 3, v2
	s_mov_b32 s21, exec_lo
	s_delay_alu instid0(VALU_DEP_3)
	v_mov_b32_e32 v32, v18
	v_cmpx_gt_u32_e32 8, v2
; %bb.2820:                             ;   in Loop: Header=BB468_8 Depth=1
	v_clz_i32_u32_e32 v1, v18
	s_delay_alu instid0(VALU_DEP_1) | instskip(NEXT) | instid1(VALU_DEP_1)
	v_min_u32_e32 v1, 32, v1
	v_subrev_nc_u32_e32 v2, 28, v1
	v_sub_nc_u32_e32 v1, 29, v1
	s_delay_alu instid0(VALU_DEP_2) | instskip(NEXT) | instid1(VALU_DEP_1)
	v_lshlrev_b64 v[2:3], v2, v[18:19]
	v_and_b32_e32 v32, 7, v2
; %bb.2821:                             ;   in Loop: Header=BB468_8 Depth=1
	s_or_b32 exec_lo, exec_lo, s21
	v_lshlrev_b32_e32 v0, 24, v0
	s_delay_alu instid0(VALU_DEP_2) | instskip(SKIP_1) | instid1(VALU_DEP_3)
	v_lshlrev_b32_e32 v2, 20, v32
	v_lshl_add_u32 v1, v1, 23, 0x3c000000
	v_and_b32_e32 v0, 0x80000000, v0
	s_delay_alu instid0(VALU_DEP_1)
	v_or3_b32 v1, v2, v0, v1
.LBB468_2822:                           ;   in Loop: Header=BB468_8 Depth=1
	s_or_b32 exec_lo, exec_lo, s19
.LBB468_2823:                           ;   in Loop: Header=BB468_8 Depth=1
	s_delay_alu instid0(SALU_CYCLE_1)
	s_or_b32 exec_lo, exec_lo, s17
.LBB468_2824:                           ;   in Loop: Header=BB468_8 Depth=1
	s_delay_alu instid0(SALU_CYCLE_1) | instskip(NEXT) | instid1(VALU_DEP_1)
	s_or_b32 exec_lo, exec_lo, s3
	v_mul_f32_e32 v0, v79, v1
                                        ; implicit-def: $vgpr4
	s_delay_alu instid0(VALU_DEP_1) | instskip(NEXT) | instid1(VALU_DEP_1)
	v_and_b32_e32 v1, 0x7f800000, v0
	v_cmp_ne_u32_e64 s2, 0x7f800000, v1
	s_delay_alu instid0(VALU_DEP_1) | instskip(NEXT) | instid1(SALU_CYCLE_1)
	s_and_saveexec_b32 s3, s2
	s_xor_b32 s2, exec_lo, s3
; %bb.2825:                             ;   in Loop: Header=BB468_8 Depth=1
	v_bfe_u32 v1, v0, 16, 1
	s_delay_alu instid0(VALU_DEP_1)
	v_add3_u32 v4, v0, v1, 0x7fff
                                        ; implicit-def: $vgpr0
; %bb.2826:                             ;   in Loop: Header=BB468_8 Depth=1
	s_and_not1_saveexec_b32 s3, s2
; %bb.2827:                             ;   in Loop: Header=BB468_8 Depth=1
	v_and_b32_e32 v1, 0xffff, v0
	v_or_b32_e32 v2, 0x10000, v0
	s_delay_alu instid0(VALU_DEP_2) | instskip(NEXT) | instid1(VALU_DEP_1)
	v_cmp_eq_u32_e64 s2, 0, v1
	v_cndmask_b32_e64 v4, v2, v0, s2
; %bb.2828:                             ;   in Loop: Header=BB468_8 Depth=1
	s_or_b32 exec_lo, exec_lo, s3
	v_mov_b32_e32 v1, 0
	s_mov_b32 s3, exec_lo
	v_cmpx_lt_u32_e32 0xffffff, v30
	s_cbranch_execz .LBB468_2836
; %bb.2829:                             ;   in Loop: Header=BB468_8 Depth=1
	v_lshrrev_b32_e32 v0, 24, v30
	v_bfrev_b32_e32 v1, 1
	s_mov_b32 s17, exec_lo
	s_delay_alu instid0(VALU_DEP_2)
	v_cmpx_ne_u32_e32 0x80, v0
	s_cbranch_execz .LBB468_2835
; %bb.2830:                             ;   in Loop: Header=BB468_8 Depth=1
	v_bfe_u32 v2, v30, 24, 7
	v_mov_b32_e32 v1, 0x7f800001
	s_mov_b32 s19, exec_lo
	s_delay_alu instid0(VALU_DEP_2)
	v_cmpx_ne_u32_e32 0x7f, v2
	s_cbranch_execz .LBB468_2834
; %bb.2831:                             ;   in Loop: Header=BB468_8 Depth=1
	v_and_b32_e32 v18, 7, v0
	v_mov_b32_e32 v33, v19
	v_lshrrev_b32_e32 v1, 3, v2
	s_mov_b32 s21, exec_lo
	s_delay_alu instid0(VALU_DEP_3)
	v_mov_b32_e32 v32, v18
	v_cmpx_gt_u32_e32 8, v2
; %bb.2832:                             ;   in Loop: Header=BB468_8 Depth=1
	v_clz_i32_u32_e32 v1, v18
	s_delay_alu instid0(VALU_DEP_1) | instskip(NEXT) | instid1(VALU_DEP_1)
	v_min_u32_e32 v1, 32, v1
	v_subrev_nc_u32_e32 v2, 28, v1
	v_sub_nc_u32_e32 v1, 29, v1
	s_delay_alu instid0(VALU_DEP_2) | instskip(NEXT) | instid1(VALU_DEP_1)
	v_lshlrev_b64 v[2:3], v2, v[18:19]
	v_and_b32_e32 v32, 7, v2
; %bb.2833:                             ;   in Loop: Header=BB468_8 Depth=1
	s_or_b32 exec_lo, exec_lo, s21
	v_lshlrev_b32_e32 v0, 24, v0
	s_delay_alu instid0(VALU_DEP_2) | instskip(SKIP_1) | instid1(VALU_DEP_3)
	v_lshlrev_b32_e32 v2, 20, v32
	v_lshl_add_u32 v1, v1, 23, 0x3c000000
	v_and_b32_e32 v0, 0x80000000, v0
	s_delay_alu instid0(VALU_DEP_1)
	v_or3_b32 v1, v2, v0, v1
.LBB468_2834:                           ;   in Loop: Header=BB468_8 Depth=1
	s_or_b32 exec_lo, exec_lo, s19
.LBB468_2835:                           ;   in Loop: Header=BB468_8 Depth=1
	s_delay_alu instid0(SALU_CYCLE_1)
	s_or_b32 exec_lo, exec_lo, s17
.LBB468_2836:                           ;   in Loop: Header=BB468_8 Depth=1
	s_delay_alu instid0(SALU_CYCLE_1) | instskip(NEXT) | instid1(VALU_DEP_1)
	s_or_b32 exec_lo, exec_lo, s3
	v_mul_f32_e32 v0, v79, v1
                                        ; implicit-def: $vgpr35
	s_delay_alu instid0(VALU_DEP_1) | instskip(NEXT) | instid1(VALU_DEP_1)
	v_and_b32_e32 v1, 0x7f800000, v0
	v_cmp_ne_u32_e64 s2, 0x7f800000, v1
	s_delay_alu instid0(VALU_DEP_1) | instskip(NEXT) | instid1(SALU_CYCLE_1)
	s_and_saveexec_b32 s3, s2
	s_xor_b32 s2, exec_lo, s3
; %bb.2837:                             ;   in Loop: Header=BB468_8 Depth=1
	v_bfe_u32 v1, v0, 16, 1
	s_delay_alu instid0(VALU_DEP_1)
	v_add3_u32 v35, v0, v1, 0x7fff
                                        ; implicit-def: $vgpr0
; %bb.2838:                             ;   in Loop: Header=BB468_8 Depth=1
	s_and_not1_saveexec_b32 s3, s2
; %bb.2839:                             ;   in Loop: Header=BB468_8 Depth=1
	v_and_b32_e32 v1, 0xffff, v0
	v_or_b32_e32 v2, 0x10000, v0
	s_delay_alu instid0(VALU_DEP_2) | instskip(NEXT) | instid1(VALU_DEP_1)
	v_cmp_eq_u32_e64 s2, 0, v1
	v_cndmask_b32_e64 v35, v2, v0, s2
; %bb.2840:                             ;   in Loop: Header=BB468_8 Depth=1
	s_or_b32 exec_lo, exec_lo, s3
	v_dual_mov_b32 v18, v31 :: v_dual_and_b32 v1, 0xff, v31
	v_mov_b32_e32 v0, 0
	s_mov_b32 s3, exec_lo
	s_delay_alu instid0(VALU_DEP_2)
	v_cmpx_ne_u16_e32 0, v1
	s_cbranch_execz .LBB468_2848
; %bb.2841:                             ;   in Loop: Header=BB468_8 Depth=1
	v_bfrev_b32_e32 v0, 1
	s_mov_b32 s17, exec_lo
	v_cmpx_ne_u16_e32 0x80, v1
	s_cbranch_execz .LBB468_2847
; %bb.2842:                             ;   in Loop: Header=BB468_8 Depth=1
	v_and_b32_e32 v1, 0x7f, v31
	v_mov_b32_e32 v0, 0x7f800001
	s_mov_b32 s19, exec_lo
	s_delay_alu instid0(VALU_DEP_2)
	v_cmpx_ne_u32_e32 0x7f, v1
	s_cbranch_execz .LBB468_2846
; %bb.2843:                             ;   in Loop: Header=BB468_8 Depth=1
	v_dual_mov_b32 v33, v19 :: v_dual_mov_b32 v32, v18
	v_lshrrev_b32_e32 v0, 3, v1
	s_mov_b32 s21, exec_lo
	v_cmpx_gt_u32_e32 8, v1
; %bb.2844:                             ;   in Loop: Header=BB468_8 Depth=1
	v_and_b32_e32 v0, 7, v31
	s_delay_alu instid0(VALU_DEP_1) | instskip(NEXT) | instid1(VALU_DEP_1)
	v_clz_i32_u32_e32 v0, v0
	v_min_u32_e32 v0, 32, v0
	s_delay_alu instid0(VALU_DEP_1) | instskip(SKIP_1) | instid1(VALU_DEP_2)
	v_subrev_nc_u32_e32 v1, 28, v0
	v_sub_nc_u32_e32 v0, 29, v0
	v_lshlrev_b64 v[32:33], v1, v[18:19]
; %bb.2845:                             ;   in Loop: Header=BB468_8 Depth=1
	s_or_b32 exec_lo, exec_lo, s21
	s_delay_alu instid0(VALU_DEP_1) | instskip(SKIP_2) | instid1(VALU_DEP_3)
	v_lshlrev_b32_e32 v1, 20, v32
	v_lshlrev_b32_e32 v2, 24, v18
	v_lshl_add_u32 v0, v0, 23, 0x3c000000
	v_and_b32_e32 v1, 0x700000, v1
	s_delay_alu instid0(VALU_DEP_3) | instskip(NEXT) | instid1(VALU_DEP_1)
	v_and_b32_e32 v2, 0x80000000, v2
	v_or3_b32 v0, v1, v2, v0
.LBB468_2846:                           ;   in Loop: Header=BB468_8 Depth=1
	s_or_b32 exec_lo, exec_lo, s19
.LBB468_2847:                           ;   in Loop: Header=BB468_8 Depth=1
	s_delay_alu instid0(SALU_CYCLE_1)
	s_or_b32 exec_lo, exec_lo, s17
.LBB468_2848:                           ;   in Loop: Header=BB468_8 Depth=1
	s_delay_alu instid0(SALU_CYCLE_1) | instskip(NEXT) | instid1(VALU_DEP_1)
	s_or_b32 exec_lo, exec_lo, s3
	v_mul_f32_e32 v0, v79, v0
                                        ; implicit-def: $vgpr36
	s_delay_alu instid0(VALU_DEP_1) | instskip(NEXT) | instid1(VALU_DEP_1)
	v_and_b32_e32 v1, 0x7f800000, v0
	v_cmp_ne_u32_e64 s2, 0x7f800000, v1
	s_delay_alu instid0(VALU_DEP_1) | instskip(NEXT) | instid1(SALU_CYCLE_1)
	s_and_saveexec_b32 s3, s2
	s_xor_b32 s2, exec_lo, s3
; %bb.2849:                             ;   in Loop: Header=BB468_8 Depth=1
	v_bfe_u32 v1, v0, 16, 1
	s_delay_alu instid0(VALU_DEP_1)
	v_add3_u32 v36, v0, v1, 0x7fff
                                        ; implicit-def: $vgpr0
; %bb.2850:                             ;   in Loop: Header=BB468_8 Depth=1
	s_and_not1_saveexec_b32 s3, s2
; %bb.2851:                             ;   in Loop: Header=BB468_8 Depth=1
	v_and_b32_e32 v1, 0xffff, v0
	v_or_b32_e32 v2, 0x10000, v0
	s_delay_alu instid0(VALU_DEP_2) | instskip(NEXT) | instid1(VALU_DEP_1)
	v_cmp_eq_u32_e64 s2, 0, v1
	v_cndmask_b32_e64 v36, v2, v0, s2
; %bb.2852:                             ;   in Loop: Header=BB468_8 Depth=1
	s_or_b32 exec_lo, exec_lo, s3
	v_lshrrev_b16 v1, 8, v18
	v_mov_b32_e32 v0, 0
	s_mov_b32 s3, exec_lo
	s_delay_alu instid0(VALU_DEP_2)
	v_cmpx_ne_u16_e32 0, v1
	s_cbranch_execz .LBB468_2860
; %bb.2853:                             ;   in Loop: Header=BB468_8 Depth=1
	v_bfrev_b32_e32 v0, 1
	s_mov_b32 s17, exec_lo
	v_cmpx_ne_u16_e32 0x80, v1
	s_cbranch_execz .LBB468_2859
; %bb.2854:                             ;   in Loop: Header=BB468_8 Depth=1
	v_and_b32_e32 v2, 0xffff, v1
	v_mov_b32_e32 v0, 0x7f800001
	s_mov_b32 s19, exec_lo
	s_delay_alu instid0(VALU_DEP_2) | instskip(NEXT) | instid1(VALU_DEP_1)
	v_and_b32_e32 v1, 0x7f, v2
	v_cmpx_ne_u32_e32 0x7f, v1
	s_cbranch_execz .LBB468_2858
; %bb.2855:                             ;   in Loop: Header=BB468_8 Depth=1
	v_dual_mov_b32 v33, v19 :: v_dual_and_b32 v32, 7, v2
	v_lshrrev_b32_e32 v0, 3, v1
	s_mov_b32 s21, exec_lo
	v_cmpx_gt_u32_e32 8, v1
; %bb.2856:                             ;   in Loop: Header=BB468_8 Depth=1
	s_delay_alu instid0(VALU_DEP_3) | instskip(NEXT) | instid1(VALU_DEP_1)
	v_clz_i32_u32_e32 v0, v32
	v_min_u32_e32 v0, 32, v0
	s_delay_alu instid0(VALU_DEP_1) | instskip(SKIP_1) | instid1(VALU_DEP_2)
	v_subrev_nc_u32_e32 v1, 28, v0
	v_sub_nc_u32_e32 v0, 29, v0
	v_lshlrev_b64 v[1:2], v1, v[32:33]
	s_delay_alu instid0(VALU_DEP_1)
	v_and_b32_e32 v32, 7, v1
; %bb.2857:                             ;   in Loop: Header=BB468_8 Depth=1
	s_or_b32 exec_lo, exec_lo, s21
	v_lshlrev_b32_e32 v1, 16, v18
	s_delay_alu instid0(VALU_DEP_2) | instskip(SKIP_1) | instid1(VALU_DEP_3)
	v_lshlrev_b32_e32 v2, 20, v32
	v_lshl_add_u32 v0, v0, 23, 0x3c000000
	v_and_b32_e32 v1, 0x80000000, v1
	s_delay_alu instid0(VALU_DEP_1)
	v_or3_b32 v0, v2, v1, v0
.LBB468_2858:                           ;   in Loop: Header=BB468_8 Depth=1
	s_or_b32 exec_lo, exec_lo, s19
.LBB468_2859:                           ;   in Loop: Header=BB468_8 Depth=1
	s_delay_alu instid0(SALU_CYCLE_1)
	s_or_b32 exec_lo, exec_lo, s17
.LBB468_2860:                           ;   in Loop: Header=BB468_8 Depth=1
	s_delay_alu instid0(SALU_CYCLE_1) | instskip(NEXT) | instid1(VALU_DEP_1)
	s_or_b32 exec_lo, exec_lo, s3
	v_mul_f32_e32 v0, v79, v0
                                        ; implicit-def: $vgpr12
	s_delay_alu instid0(VALU_DEP_1) | instskip(NEXT) | instid1(VALU_DEP_1)
	v_and_b32_e32 v1, 0x7f800000, v0
	v_cmp_ne_u32_e64 s2, 0x7f800000, v1
	s_delay_alu instid0(VALU_DEP_1) | instskip(NEXT) | instid1(SALU_CYCLE_1)
	s_and_saveexec_b32 s3, s2
	s_xor_b32 s2, exec_lo, s3
; %bb.2861:                             ;   in Loop: Header=BB468_8 Depth=1
	v_bfe_u32 v1, v0, 16, 1
	s_delay_alu instid0(VALU_DEP_1)
	v_add3_u32 v12, v0, v1, 0x7fff
                                        ; implicit-def: $vgpr0
; %bb.2862:                             ;   in Loop: Header=BB468_8 Depth=1
	s_and_not1_saveexec_b32 s3, s2
; %bb.2863:                             ;   in Loop: Header=BB468_8 Depth=1
	v_and_b32_e32 v1, 0xffff, v0
	v_or_b32_e32 v2, 0x10000, v0
	s_delay_alu instid0(VALU_DEP_2) | instskip(NEXT) | instid1(VALU_DEP_1)
	v_cmp_eq_u32_e64 s2, 0, v1
	v_cndmask_b32_e64 v12, v2, v0, s2
; %bb.2864:                             ;   in Loop: Header=BB468_8 Depth=1
	s_or_b32 exec_lo, exec_lo, s3
	v_lshrrev_b32_e32 v0, 16, v31
	s_mov_b32 s3, exec_lo
	s_delay_alu instid0(VALU_DEP_1) | instskip(NEXT) | instid1(VALU_DEP_1)
	v_dual_mov_b32 v1, 0 :: v_dual_and_b32 v2, 0xff, v0
	v_cmpx_ne_u16_e32 0, v2
	s_cbranch_execz .LBB468_2872
; %bb.2865:                             ;   in Loop: Header=BB468_8 Depth=1
	v_bfrev_b32_e32 v1, 1
	s_mov_b32 s17, exec_lo
	v_cmpx_ne_u16_e32 0x80, v2
	s_cbranch_execz .LBB468_2871
; %bb.2866:                             ;   in Loop: Header=BB468_8 Depth=1
	v_bfe_u32 v2, v31, 16, 7
	v_mov_b32_e32 v1, 0x7f800001
	s_mov_b32 s19, exec_lo
	s_delay_alu instid0(VALU_DEP_2)
	v_cmpx_ne_u32_e32 0x7f, v2
	s_cbranch_execz .LBB468_2870
; %bb.2867:                             ;   in Loop: Header=BB468_8 Depth=1
	v_and_b32_e32 v18, 7, v0
	v_mov_b32_e32 v33, v19
	v_lshrrev_b32_e32 v1, 3, v2
	s_mov_b32 s21, exec_lo
	s_delay_alu instid0(VALU_DEP_3)
	v_mov_b32_e32 v32, v18
	v_cmpx_gt_u32_e32 8, v2
; %bb.2868:                             ;   in Loop: Header=BB468_8 Depth=1
	v_clz_i32_u32_e32 v1, v18
	s_delay_alu instid0(VALU_DEP_1) | instskip(NEXT) | instid1(VALU_DEP_1)
	v_min_u32_e32 v1, 32, v1
	v_subrev_nc_u32_e32 v2, 28, v1
	v_sub_nc_u32_e32 v1, 29, v1
	s_delay_alu instid0(VALU_DEP_2) | instskip(NEXT) | instid1(VALU_DEP_1)
	v_lshlrev_b64 v[2:3], v2, v[18:19]
	v_and_b32_e32 v32, 7, v2
; %bb.2869:                             ;   in Loop: Header=BB468_8 Depth=1
	s_or_b32 exec_lo, exec_lo, s21
	v_lshlrev_b32_e32 v0, 24, v0
	s_delay_alu instid0(VALU_DEP_2) | instskip(SKIP_1) | instid1(VALU_DEP_3)
	v_lshlrev_b32_e32 v2, 20, v32
	v_lshl_add_u32 v1, v1, 23, 0x3c000000
	v_and_b32_e32 v0, 0x80000000, v0
	s_delay_alu instid0(VALU_DEP_1)
	v_or3_b32 v1, v2, v0, v1
.LBB468_2870:                           ;   in Loop: Header=BB468_8 Depth=1
	s_or_b32 exec_lo, exec_lo, s19
.LBB468_2871:                           ;   in Loop: Header=BB468_8 Depth=1
	s_delay_alu instid0(SALU_CYCLE_1)
	s_or_b32 exec_lo, exec_lo, s17
.LBB468_2872:                           ;   in Loop: Header=BB468_8 Depth=1
	s_delay_alu instid0(SALU_CYCLE_1) | instskip(NEXT) | instid1(VALU_DEP_1)
	s_or_b32 exec_lo, exec_lo, s3
	v_mul_f32_e32 v0, v79, v1
                                        ; implicit-def: $vgpr87
	s_delay_alu instid0(VALU_DEP_1) | instskip(NEXT) | instid1(VALU_DEP_1)
	v_and_b32_e32 v1, 0x7f800000, v0
	v_cmp_ne_u32_e64 s2, 0x7f800000, v1
	s_delay_alu instid0(VALU_DEP_1) | instskip(NEXT) | instid1(SALU_CYCLE_1)
	s_and_saveexec_b32 s3, s2
	s_xor_b32 s2, exec_lo, s3
; %bb.2873:                             ;   in Loop: Header=BB468_8 Depth=1
	v_bfe_u32 v1, v0, 16, 1
	s_delay_alu instid0(VALU_DEP_1)
	v_add3_u32 v87, v0, v1, 0x7fff
                                        ; implicit-def: $vgpr0
; %bb.2874:                             ;   in Loop: Header=BB468_8 Depth=1
	s_and_not1_saveexec_b32 s3, s2
; %bb.2875:                             ;   in Loop: Header=BB468_8 Depth=1
	v_and_b32_e32 v1, 0xffff, v0
	v_or_b32_e32 v2, 0x10000, v0
	s_delay_alu instid0(VALU_DEP_2) | instskip(NEXT) | instid1(VALU_DEP_1)
	v_cmp_eq_u32_e64 s2, 0, v1
	v_cndmask_b32_e64 v87, v2, v0, s2
; %bb.2876:                             ;   in Loop: Header=BB468_8 Depth=1
	s_or_b32 exec_lo, exec_lo, s3
	v_mov_b32_e32 v1, 0
	s_mov_b32 s3, exec_lo
	v_cmpx_lt_u64_e64 s[4:5], v[30:31]
	s_cbranch_execz .LBB468_2884
; %bb.2877:                             ;   in Loop: Header=BB468_8 Depth=1
	v_lshrrev_b32_e32 v0, 24, v31
	v_bfrev_b32_e32 v1, 1
	s_mov_b32 s17, exec_lo
	s_delay_alu instid0(VALU_DEP_2)
	v_cmpx_ne_u32_e32 0x80, v0
	s_cbranch_execz .LBB468_2883
; %bb.2878:                             ;   in Loop: Header=BB468_8 Depth=1
	v_bfe_u32 v2, v31, 24, 7
	v_mov_b32_e32 v1, 0x7f800001
	s_mov_b32 s19, exec_lo
	s_delay_alu instid0(VALU_DEP_2)
	v_cmpx_ne_u32_e32 0x7f, v2
	s_cbranch_execz .LBB468_2882
; %bb.2879:                             ;   in Loop: Header=BB468_8 Depth=1
	v_and_b32_e32 v18, 7, v0
	v_mov_b32_e32 v31, v19
	v_lshrrev_b32_e32 v1, 3, v2
	s_mov_b32 s21, exec_lo
	s_delay_alu instid0(VALU_DEP_3)
	v_mov_b32_e32 v30, v18
	v_cmpx_gt_u32_e32 8, v2
; %bb.2880:                             ;   in Loop: Header=BB468_8 Depth=1
	v_clz_i32_u32_e32 v1, v18
	s_delay_alu instid0(VALU_DEP_1) | instskip(NEXT) | instid1(VALU_DEP_1)
	v_min_u32_e32 v1, 32, v1
	v_subrev_nc_u32_e32 v2, 28, v1
	v_sub_nc_u32_e32 v1, 29, v1
	s_delay_alu instid0(VALU_DEP_2) | instskip(NEXT) | instid1(VALU_DEP_1)
	v_lshlrev_b64 v[2:3], v2, v[18:19]
	v_and_b32_e32 v30, 7, v2
; %bb.2881:                             ;   in Loop: Header=BB468_8 Depth=1
	s_or_b32 exec_lo, exec_lo, s21
	v_lshlrev_b32_e32 v0, 24, v0
	s_delay_alu instid0(VALU_DEP_2) | instskip(SKIP_1) | instid1(VALU_DEP_3)
	v_lshlrev_b32_e32 v2, 20, v30
	v_lshl_add_u32 v1, v1, 23, 0x3c000000
	v_and_b32_e32 v0, 0x80000000, v0
	s_delay_alu instid0(VALU_DEP_1)
	v_or3_b32 v1, v2, v0, v1
.LBB468_2882:                           ;   in Loop: Header=BB468_8 Depth=1
	s_or_b32 exec_lo, exec_lo, s19
.LBB468_2883:                           ;   in Loop: Header=BB468_8 Depth=1
	s_delay_alu instid0(SALU_CYCLE_1)
	s_or_b32 exec_lo, exec_lo, s17
.LBB468_2884:                           ;   in Loop: Header=BB468_8 Depth=1
	s_delay_alu instid0(SALU_CYCLE_1) | instskip(NEXT) | instid1(VALU_DEP_1)
	s_or_b32 exec_lo, exec_lo, s3
	v_mul_f32_e32 v0, v79, v1
                                        ; implicit-def: $vgpr85
	s_delay_alu instid0(VALU_DEP_1) | instskip(NEXT) | instid1(VALU_DEP_1)
	v_and_b32_e32 v1, 0x7f800000, v0
	v_cmp_ne_u32_e64 s2, 0x7f800000, v1
	s_delay_alu instid0(VALU_DEP_1) | instskip(NEXT) | instid1(SALU_CYCLE_1)
	s_and_saveexec_b32 s3, s2
	s_xor_b32 s2, exec_lo, s3
; %bb.2885:                             ;   in Loop: Header=BB468_8 Depth=1
	v_bfe_u32 v1, v0, 16, 1
	s_delay_alu instid0(VALU_DEP_1)
	v_add3_u32 v85, v0, v1, 0x7fff
                                        ; implicit-def: $vgpr0
; %bb.2886:                             ;   in Loop: Header=BB468_8 Depth=1
	s_and_not1_saveexec_b32 s3, s2
; %bb.2887:                             ;   in Loop: Header=BB468_8 Depth=1
	v_and_b32_e32 v1, 0xffff, v0
	v_or_b32_e32 v2, 0x10000, v0
	s_delay_alu instid0(VALU_DEP_2) | instskip(NEXT) | instid1(VALU_DEP_1)
	v_cmp_eq_u32_e64 s2, 0, v1
	v_cndmask_b32_e64 v85, v2, v0, s2
; %bb.2888:                             ;   in Loop: Header=BB468_8 Depth=1
	s_or_b32 exec_lo, exec_lo, s3
	flat_load_b64 v[30:31], v[28:29] offset:3584
	s_mov_b32 s3, exec_lo
	s_waitcnt vmcnt(0) lgkmcnt(0)
	v_dual_mov_b32 v0, 0 :: v_dual_and_b32 v1, 0xff, v30
	s_delay_alu instid0(VALU_DEP_1)
	v_cmpx_ne_u16_e32 0, v1
	s_cbranch_execz .LBB468_2896
; %bb.2889:                             ;   in Loop: Header=BB468_8 Depth=1
	v_bfrev_b32_e32 v0, 1
	s_mov_b32 s17, exec_lo
	v_cmpx_ne_u16_e32 0x80, v1
	s_cbranch_execz .LBB468_2895
; %bb.2890:                             ;   in Loop: Header=BB468_8 Depth=1
	v_and_b32_e32 v1, 0x7f, v30
	v_mov_b32_e32 v0, 0x7f800001
	s_mov_b32 s19, exec_lo
	s_delay_alu instid0(VALU_DEP_2)
	v_cmpx_ne_u32_e32 0x7f, v1
	s_cbranch_execz .LBB468_2894
; %bb.2891:                             ;   in Loop: Header=BB468_8 Depth=1
	v_lshrrev_b32_e32 v0, 3, v1
	v_dual_mov_b32 v33, v31 :: v_dual_mov_b32 v32, v30
	s_mov_b32 s21, exec_lo
	v_cmpx_gt_u32_e32 8, v1
; %bb.2892:                             ;   in Loop: Header=BB468_8 Depth=1
	v_and_b32_e32 v0, 7, v30
	s_delay_alu instid0(VALU_DEP_1) | instskip(NEXT) | instid1(VALU_DEP_1)
	v_clz_i32_u32_e32 v0, v0
	v_min_u32_e32 v0, 32, v0
	s_delay_alu instid0(VALU_DEP_1) | instskip(SKIP_1) | instid1(VALU_DEP_2)
	v_subrev_nc_u32_e32 v1, 28, v0
	v_sub_nc_u32_e32 v0, 29, v0
	v_lshlrev_b64 v[32:33], v1, v[30:31]
; %bb.2893:                             ;   in Loop: Header=BB468_8 Depth=1
	s_or_b32 exec_lo, exec_lo, s21
	s_delay_alu instid0(VALU_DEP_1) | instskip(SKIP_2) | instid1(VALU_DEP_3)
	v_lshlrev_b32_e32 v1, 20, v32
	v_lshlrev_b32_e32 v2, 24, v30
	v_lshl_add_u32 v0, v0, 23, 0x3c000000
	v_and_b32_e32 v1, 0x700000, v1
	s_delay_alu instid0(VALU_DEP_3) | instskip(NEXT) | instid1(VALU_DEP_1)
	v_and_b32_e32 v2, 0x80000000, v2
	v_or3_b32 v0, v1, v2, v0
.LBB468_2894:                           ;   in Loop: Header=BB468_8 Depth=1
	s_or_b32 exec_lo, exec_lo, s19
.LBB468_2895:                           ;   in Loop: Header=BB468_8 Depth=1
	s_delay_alu instid0(SALU_CYCLE_1)
	s_or_b32 exec_lo, exec_lo, s17
.LBB468_2896:                           ;   in Loop: Header=BB468_8 Depth=1
	s_delay_alu instid0(SALU_CYCLE_1) | instskip(NEXT) | instid1(VALU_DEP_1)
	s_or_b32 exec_lo, exec_lo, s3
	v_mul_f32_e32 v0, v79, v0
                                        ; implicit-def: $vgpr34
	s_delay_alu instid0(VALU_DEP_1) | instskip(NEXT) | instid1(VALU_DEP_1)
	v_and_b32_e32 v1, 0x7f800000, v0
	v_cmp_ne_u32_e64 s2, 0x7f800000, v1
	s_delay_alu instid0(VALU_DEP_1) | instskip(NEXT) | instid1(SALU_CYCLE_1)
	s_and_saveexec_b32 s3, s2
	s_xor_b32 s2, exec_lo, s3
; %bb.2897:                             ;   in Loop: Header=BB468_8 Depth=1
	v_bfe_u32 v1, v0, 16, 1
	s_delay_alu instid0(VALU_DEP_1)
	v_add3_u32 v34, v0, v1, 0x7fff
                                        ; implicit-def: $vgpr0
; %bb.2898:                             ;   in Loop: Header=BB468_8 Depth=1
	s_and_not1_saveexec_b32 s3, s2
; %bb.2899:                             ;   in Loop: Header=BB468_8 Depth=1
	v_and_b32_e32 v1, 0xffff, v0
	v_or_b32_e32 v2, 0x10000, v0
	s_delay_alu instid0(VALU_DEP_2) | instskip(NEXT) | instid1(VALU_DEP_1)
	v_cmp_eq_u32_e64 s2, 0, v1
	v_cndmask_b32_e64 v34, v2, v0, s2
; %bb.2900:                             ;   in Loop: Header=BB468_8 Depth=1
	s_or_b32 exec_lo, exec_lo, s3
	v_lshrrev_b16 v1, 8, v30
	v_mov_b32_e32 v0, 0
	s_mov_b32 s3, exec_lo
	s_delay_alu instid0(VALU_DEP_2)
	v_cmpx_ne_u16_e32 0, v1
	s_cbranch_execz .LBB468_2908
; %bb.2901:                             ;   in Loop: Header=BB468_8 Depth=1
	v_bfrev_b32_e32 v0, 1
	s_mov_b32 s17, exec_lo
	v_cmpx_ne_u16_e32 0x80, v1
	s_cbranch_execz .LBB468_2907
; %bb.2902:                             ;   in Loop: Header=BB468_8 Depth=1
	v_and_b32_e32 v2, 0xffff, v1
	v_mov_b32_e32 v0, 0x7f800001
	s_mov_b32 s19, exec_lo
	s_delay_alu instid0(VALU_DEP_2) | instskip(NEXT) | instid1(VALU_DEP_1)
	v_and_b32_e32 v1, 0x7f, v2
	v_cmpx_ne_u32_e32 0x7f, v1
	s_cbranch_execz .LBB468_2906
; %bb.2903:                             ;   in Loop: Header=BB468_8 Depth=1
	v_and_b32_e32 v18, 7, v2
	v_mov_b32_e32 v33, v19
	v_lshrrev_b32_e32 v0, 3, v1
	s_mov_b32 s21, exec_lo
	s_delay_alu instid0(VALU_DEP_3)
	v_mov_b32_e32 v32, v18
	v_cmpx_gt_u32_e32 8, v1
; %bb.2904:                             ;   in Loop: Header=BB468_8 Depth=1
	v_clz_i32_u32_e32 v0, v18
	s_delay_alu instid0(VALU_DEP_1) | instskip(NEXT) | instid1(VALU_DEP_1)
	v_min_u32_e32 v0, 32, v0
	v_subrev_nc_u32_e32 v1, 28, v0
	v_sub_nc_u32_e32 v0, 29, v0
	s_delay_alu instid0(VALU_DEP_2) | instskip(NEXT) | instid1(VALU_DEP_1)
	v_lshlrev_b64 v[1:2], v1, v[18:19]
	v_and_b32_e32 v32, 7, v1
; %bb.2905:                             ;   in Loop: Header=BB468_8 Depth=1
	s_or_b32 exec_lo, exec_lo, s21
	v_lshlrev_b32_e32 v1, 16, v30
	s_delay_alu instid0(VALU_DEP_2) | instskip(SKIP_1) | instid1(VALU_DEP_3)
	v_lshlrev_b32_e32 v2, 20, v32
	v_lshl_add_u32 v0, v0, 23, 0x3c000000
	v_and_b32_e32 v1, 0x80000000, v1
	s_delay_alu instid0(VALU_DEP_1)
	v_or3_b32 v0, v2, v1, v0
.LBB468_2906:                           ;   in Loop: Header=BB468_8 Depth=1
	s_or_b32 exec_lo, exec_lo, s19
.LBB468_2907:                           ;   in Loop: Header=BB468_8 Depth=1
	s_delay_alu instid0(SALU_CYCLE_1)
	s_or_b32 exec_lo, exec_lo, s17
.LBB468_2908:                           ;   in Loop: Header=BB468_8 Depth=1
	s_delay_alu instid0(SALU_CYCLE_1) | instskip(NEXT) | instid1(VALU_DEP_1)
	s_or_b32 exec_lo, exec_lo, s3
	v_mul_f32_e32 v0, v79, v0
                                        ; implicit-def: $vgpr6
	s_delay_alu instid0(VALU_DEP_1) | instskip(NEXT) | instid1(VALU_DEP_1)
	v_and_b32_e32 v1, 0x7f800000, v0
	v_cmp_ne_u32_e64 s2, 0x7f800000, v1
	s_delay_alu instid0(VALU_DEP_1) | instskip(NEXT) | instid1(SALU_CYCLE_1)
	s_and_saveexec_b32 s3, s2
	s_xor_b32 s2, exec_lo, s3
; %bb.2909:                             ;   in Loop: Header=BB468_8 Depth=1
	v_bfe_u32 v1, v0, 16, 1
	s_delay_alu instid0(VALU_DEP_1)
	v_add3_u32 v6, v0, v1, 0x7fff
                                        ; implicit-def: $vgpr0
; %bb.2910:                             ;   in Loop: Header=BB468_8 Depth=1
	s_and_not1_saveexec_b32 s3, s2
; %bb.2911:                             ;   in Loop: Header=BB468_8 Depth=1
	v_and_b32_e32 v1, 0xffff, v0
	v_or_b32_e32 v2, 0x10000, v0
	s_delay_alu instid0(VALU_DEP_2) | instskip(NEXT) | instid1(VALU_DEP_1)
	v_cmp_eq_u32_e64 s2, 0, v1
	v_cndmask_b32_e64 v6, v2, v0, s2
; %bb.2912:                             ;   in Loop: Header=BB468_8 Depth=1
	s_or_b32 exec_lo, exec_lo, s3
	v_lshrrev_b32_e32 v0, 16, v30
	s_mov_b32 s3, exec_lo
	s_delay_alu instid0(VALU_DEP_1) | instskip(NEXT) | instid1(VALU_DEP_1)
	v_dual_mov_b32 v1, 0 :: v_dual_and_b32 v2, 0xff, v0
	v_cmpx_ne_u16_e32 0, v2
	s_cbranch_execz .LBB468_2920
; %bb.2913:                             ;   in Loop: Header=BB468_8 Depth=1
	v_bfrev_b32_e32 v1, 1
	s_mov_b32 s17, exec_lo
	v_cmpx_ne_u16_e32 0x80, v2
	s_cbranch_execz .LBB468_2919
; %bb.2914:                             ;   in Loop: Header=BB468_8 Depth=1
	v_bfe_u32 v2, v30, 16, 7
	v_mov_b32_e32 v1, 0x7f800001
	s_mov_b32 s19, exec_lo
	s_delay_alu instid0(VALU_DEP_2)
	v_cmpx_ne_u32_e32 0x7f, v2
	s_cbranch_execz .LBB468_2918
; %bb.2915:                             ;   in Loop: Header=BB468_8 Depth=1
	v_and_b32_e32 v18, 7, v0
	v_mov_b32_e32 v33, v19
	v_lshrrev_b32_e32 v1, 3, v2
	s_mov_b32 s21, exec_lo
	s_delay_alu instid0(VALU_DEP_3)
	v_mov_b32_e32 v32, v18
	v_cmpx_gt_u32_e32 8, v2
; %bb.2916:                             ;   in Loop: Header=BB468_8 Depth=1
	v_clz_i32_u32_e32 v1, v18
	s_delay_alu instid0(VALU_DEP_1) | instskip(NEXT) | instid1(VALU_DEP_1)
	v_min_u32_e32 v1, 32, v1
	v_subrev_nc_u32_e32 v2, 28, v1
	v_sub_nc_u32_e32 v1, 29, v1
	s_delay_alu instid0(VALU_DEP_2) | instskip(NEXT) | instid1(VALU_DEP_1)
	v_lshlrev_b64 v[2:3], v2, v[18:19]
	v_and_b32_e32 v32, 7, v2
; %bb.2917:                             ;   in Loop: Header=BB468_8 Depth=1
	s_or_b32 exec_lo, exec_lo, s21
	v_lshlrev_b32_e32 v0, 24, v0
	s_delay_alu instid0(VALU_DEP_2) | instskip(SKIP_1) | instid1(VALU_DEP_3)
	v_lshlrev_b32_e32 v2, 20, v32
	v_lshl_add_u32 v1, v1, 23, 0x3c000000
	v_and_b32_e32 v0, 0x80000000, v0
	s_delay_alu instid0(VALU_DEP_1)
	v_or3_b32 v1, v2, v0, v1
.LBB468_2918:                           ;   in Loop: Header=BB468_8 Depth=1
	s_or_b32 exec_lo, exec_lo, s19
.LBB468_2919:                           ;   in Loop: Header=BB468_8 Depth=1
	s_delay_alu instid0(SALU_CYCLE_1)
	s_or_b32 exec_lo, exec_lo, s17
.LBB468_2920:                           ;   in Loop: Header=BB468_8 Depth=1
	s_delay_alu instid0(SALU_CYCLE_1) | instskip(NEXT) | instid1(VALU_DEP_1)
	s_or_b32 exec_lo, exec_lo, s3
	v_mul_f32_e32 v0, v79, v1
                                        ; implicit-def: $vgpr7
	s_delay_alu instid0(VALU_DEP_1) | instskip(NEXT) | instid1(VALU_DEP_1)
	v_and_b32_e32 v1, 0x7f800000, v0
	v_cmp_ne_u32_e64 s2, 0x7f800000, v1
	s_delay_alu instid0(VALU_DEP_1) | instskip(NEXT) | instid1(SALU_CYCLE_1)
	s_and_saveexec_b32 s3, s2
	s_xor_b32 s2, exec_lo, s3
; %bb.2921:                             ;   in Loop: Header=BB468_8 Depth=1
	v_bfe_u32 v1, v0, 16, 1
	s_delay_alu instid0(VALU_DEP_1)
	v_add3_u32 v7, v0, v1, 0x7fff
                                        ; implicit-def: $vgpr0
; %bb.2922:                             ;   in Loop: Header=BB468_8 Depth=1
	s_and_not1_saveexec_b32 s3, s2
; %bb.2923:                             ;   in Loop: Header=BB468_8 Depth=1
	v_and_b32_e32 v1, 0xffff, v0
	v_or_b32_e32 v2, 0x10000, v0
	s_delay_alu instid0(VALU_DEP_2) | instskip(NEXT) | instid1(VALU_DEP_1)
	v_cmp_eq_u32_e64 s2, 0, v1
	v_cndmask_b32_e64 v7, v2, v0, s2
; %bb.2924:                             ;   in Loop: Header=BB468_8 Depth=1
	s_or_b32 exec_lo, exec_lo, s3
	v_mov_b32_e32 v1, 0
	s_mov_b32 s3, exec_lo
	v_cmpx_lt_u32_e32 0xffffff, v30
	s_cbranch_execz .LBB468_2932
; %bb.2925:                             ;   in Loop: Header=BB468_8 Depth=1
	v_lshrrev_b32_e32 v0, 24, v30
	v_bfrev_b32_e32 v1, 1
	s_mov_b32 s17, exec_lo
	s_delay_alu instid0(VALU_DEP_2)
	v_cmpx_ne_u32_e32 0x80, v0
	s_cbranch_execz .LBB468_2931
; %bb.2926:                             ;   in Loop: Header=BB468_8 Depth=1
	v_bfe_u32 v2, v30, 24, 7
	v_mov_b32_e32 v1, 0x7f800001
	s_mov_b32 s19, exec_lo
	s_delay_alu instid0(VALU_DEP_2)
	v_cmpx_ne_u32_e32 0x7f, v2
	s_cbranch_execz .LBB468_2930
; %bb.2927:                             ;   in Loop: Header=BB468_8 Depth=1
	v_and_b32_e32 v18, 7, v0
	v_mov_b32_e32 v33, v19
	v_lshrrev_b32_e32 v1, 3, v2
	s_mov_b32 s21, exec_lo
	s_delay_alu instid0(VALU_DEP_3)
	v_mov_b32_e32 v32, v18
	v_cmpx_gt_u32_e32 8, v2
; %bb.2928:                             ;   in Loop: Header=BB468_8 Depth=1
	v_clz_i32_u32_e32 v1, v18
	s_delay_alu instid0(VALU_DEP_1) | instskip(NEXT) | instid1(VALU_DEP_1)
	v_min_u32_e32 v1, 32, v1
	v_subrev_nc_u32_e32 v2, 28, v1
	v_sub_nc_u32_e32 v1, 29, v1
	s_delay_alu instid0(VALU_DEP_2) | instskip(NEXT) | instid1(VALU_DEP_1)
	v_lshlrev_b64 v[2:3], v2, v[18:19]
	v_and_b32_e32 v32, 7, v2
; %bb.2929:                             ;   in Loop: Header=BB468_8 Depth=1
	s_or_b32 exec_lo, exec_lo, s21
	v_lshlrev_b32_e32 v0, 24, v0
	s_delay_alu instid0(VALU_DEP_2) | instskip(SKIP_1) | instid1(VALU_DEP_3)
	v_lshlrev_b32_e32 v2, 20, v32
	v_lshl_add_u32 v1, v1, 23, 0x3c000000
	v_and_b32_e32 v0, 0x80000000, v0
	s_delay_alu instid0(VALU_DEP_1)
	v_or3_b32 v1, v2, v0, v1
.LBB468_2930:                           ;   in Loop: Header=BB468_8 Depth=1
	s_or_b32 exec_lo, exec_lo, s19
.LBB468_2931:                           ;   in Loop: Header=BB468_8 Depth=1
	s_delay_alu instid0(SALU_CYCLE_1)
	s_or_b32 exec_lo, exec_lo, s17
.LBB468_2932:                           ;   in Loop: Header=BB468_8 Depth=1
	s_delay_alu instid0(SALU_CYCLE_1) | instskip(NEXT) | instid1(VALU_DEP_1)
	s_or_b32 exec_lo, exec_lo, s3
	v_mul_f32_e32 v0, v79, v1
                                        ; implicit-def: $vgpr11
	s_delay_alu instid0(VALU_DEP_1) | instskip(NEXT) | instid1(VALU_DEP_1)
	v_and_b32_e32 v1, 0x7f800000, v0
	v_cmp_ne_u32_e64 s2, 0x7f800000, v1
	s_delay_alu instid0(VALU_DEP_1) | instskip(NEXT) | instid1(SALU_CYCLE_1)
	s_and_saveexec_b32 s3, s2
	s_xor_b32 s2, exec_lo, s3
; %bb.2933:                             ;   in Loop: Header=BB468_8 Depth=1
	v_bfe_u32 v1, v0, 16, 1
	s_delay_alu instid0(VALU_DEP_1)
	v_add3_u32 v11, v0, v1, 0x7fff
                                        ; implicit-def: $vgpr0
; %bb.2934:                             ;   in Loop: Header=BB468_8 Depth=1
	s_and_not1_saveexec_b32 s3, s2
; %bb.2935:                             ;   in Loop: Header=BB468_8 Depth=1
	v_and_b32_e32 v1, 0xffff, v0
	v_or_b32_e32 v2, 0x10000, v0
	s_delay_alu instid0(VALU_DEP_2) | instskip(NEXT) | instid1(VALU_DEP_1)
	v_cmp_eq_u32_e64 s2, 0, v1
	v_cndmask_b32_e64 v11, v2, v0, s2
; %bb.2936:                             ;   in Loop: Header=BB468_8 Depth=1
	s_or_b32 exec_lo, exec_lo, s3
	v_dual_mov_b32 v18, v31 :: v_dual_and_b32 v1, 0xff, v31
	v_mov_b32_e32 v0, 0
	s_mov_b32 s3, exec_lo
	s_delay_alu instid0(VALU_DEP_2)
	v_cmpx_ne_u16_e32 0, v1
	s_cbranch_execz .LBB468_2944
; %bb.2937:                             ;   in Loop: Header=BB468_8 Depth=1
	v_bfrev_b32_e32 v0, 1
	s_mov_b32 s17, exec_lo
	v_cmpx_ne_u16_e32 0x80, v1
	s_cbranch_execz .LBB468_2943
; %bb.2938:                             ;   in Loop: Header=BB468_8 Depth=1
	v_and_b32_e32 v1, 0x7f, v31
	v_mov_b32_e32 v0, 0x7f800001
	s_mov_b32 s19, exec_lo
	s_delay_alu instid0(VALU_DEP_2)
	v_cmpx_ne_u32_e32 0x7f, v1
	s_cbranch_execz .LBB468_2942
; %bb.2939:                             ;   in Loop: Header=BB468_8 Depth=1
	v_dual_mov_b32 v33, v19 :: v_dual_mov_b32 v32, v18
	v_lshrrev_b32_e32 v0, 3, v1
	s_mov_b32 s21, exec_lo
	v_cmpx_gt_u32_e32 8, v1
; %bb.2940:                             ;   in Loop: Header=BB468_8 Depth=1
	v_and_b32_e32 v0, 7, v31
	s_delay_alu instid0(VALU_DEP_1) | instskip(NEXT) | instid1(VALU_DEP_1)
	v_clz_i32_u32_e32 v0, v0
	v_min_u32_e32 v0, 32, v0
	s_delay_alu instid0(VALU_DEP_1) | instskip(SKIP_1) | instid1(VALU_DEP_2)
	v_subrev_nc_u32_e32 v1, 28, v0
	v_sub_nc_u32_e32 v0, 29, v0
	v_lshlrev_b64 v[32:33], v1, v[18:19]
; %bb.2941:                             ;   in Loop: Header=BB468_8 Depth=1
	s_or_b32 exec_lo, exec_lo, s21
	s_delay_alu instid0(VALU_DEP_1) | instskip(SKIP_2) | instid1(VALU_DEP_3)
	v_lshlrev_b32_e32 v1, 20, v32
	v_lshlrev_b32_e32 v2, 24, v18
	v_lshl_add_u32 v0, v0, 23, 0x3c000000
	v_and_b32_e32 v1, 0x700000, v1
	s_delay_alu instid0(VALU_DEP_3) | instskip(NEXT) | instid1(VALU_DEP_1)
	v_and_b32_e32 v2, 0x80000000, v2
	v_or3_b32 v0, v1, v2, v0
.LBB468_2942:                           ;   in Loop: Header=BB468_8 Depth=1
	s_or_b32 exec_lo, exec_lo, s19
.LBB468_2943:                           ;   in Loop: Header=BB468_8 Depth=1
	s_delay_alu instid0(SALU_CYCLE_1)
	s_or_b32 exec_lo, exec_lo, s17
.LBB468_2944:                           ;   in Loop: Header=BB468_8 Depth=1
	s_delay_alu instid0(SALU_CYCLE_1) | instskip(NEXT) | instid1(VALU_DEP_1)
	s_or_b32 exec_lo, exec_lo, s3
	v_mul_f32_e32 v0, v79, v0
                                        ; implicit-def: $vgpr10
	s_delay_alu instid0(VALU_DEP_1) | instskip(NEXT) | instid1(VALU_DEP_1)
	v_and_b32_e32 v1, 0x7f800000, v0
	v_cmp_ne_u32_e64 s2, 0x7f800000, v1
	s_delay_alu instid0(VALU_DEP_1) | instskip(NEXT) | instid1(SALU_CYCLE_1)
	s_and_saveexec_b32 s3, s2
	s_xor_b32 s2, exec_lo, s3
; %bb.2945:                             ;   in Loop: Header=BB468_8 Depth=1
	v_bfe_u32 v1, v0, 16, 1
	s_delay_alu instid0(VALU_DEP_1)
	v_add3_u32 v10, v0, v1, 0x7fff
                                        ; implicit-def: $vgpr0
; %bb.2946:                             ;   in Loop: Header=BB468_8 Depth=1
	s_and_not1_saveexec_b32 s3, s2
; %bb.2947:                             ;   in Loop: Header=BB468_8 Depth=1
	v_and_b32_e32 v1, 0xffff, v0
	v_or_b32_e32 v2, 0x10000, v0
	s_delay_alu instid0(VALU_DEP_2) | instskip(NEXT) | instid1(VALU_DEP_1)
	v_cmp_eq_u32_e64 s2, 0, v1
	v_cndmask_b32_e64 v10, v2, v0, s2
; %bb.2948:                             ;   in Loop: Header=BB468_8 Depth=1
	s_or_b32 exec_lo, exec_lo, s3
	v_lshrrev_b16 v1, 8, v18
	v_mov_b32_e32 v0, 0
	s_mov_b32 s3, exec_lo
	s_delay_alu instid0(VALU_DEP_2)
	v_cmpx_ne_u16_e32 0, v1
	s_cbranch_execz .LBB468_2956
; %bb.2949:                             ;   in Loop: Header=BB468_8 Depth=1
	v_bfrev_b32_e32 v0, 1
	s_mov_b32 s17, exec_lo
	v_cmpx_ne_u16_e32 0x80, v1
	s_cbranch_execz .LBB468_2955
; %bb.2950:                             ;   in Loop: Header=BB468_8 Depth=1
	v_and_b32_e32 v2, 0xffff, v1
	v_mov_b32_e32 v0, 0x7f800001
	s_mov_b32 s19, exec_lo
	s_delay_alu instid0(VALU_DEP_2) | instskip(NEXT) | instid1(VALU_DEP_1)
	v_and_b32_e32 v1, 0x7f, v2
	v_cmpx_ne_u32_e32 0x7f, v1
	s_cbranch_execz .LBB468_2954
; %bb.2951:                             ;   in Loop: Header=BB468_8 Depth=1
	v_dual_mov_b32 v33, v19 :: v_dual_and_b32 v32, 7, v2
	v_lshrrev_b32_e32 v0, 3, v1
	s_mov_b32 s21, exec_lo
	v_cmpx_gt_u32_e32 8, v1
; %bb.2952:                             ;   in Loop: Header=BB468_8 Depth=1
	s_delay_alu instid0(VALU_DEP_3) | instskip(NEXT) | instid1(VALU_DEP_1)
	v_clz_i32_u32_e32 v0, v32
	v_min_u32_e32 v0, 32, v0
	s_delay_alu instid0(VALU_DEP_1) | instskip(SKIP_1) | instid1(VALU_DEP_2)
	v_subrev_nc_u32_e32 v1, 28, v0
	v_sub_nc_u32_e32 v0, 29, v0
	v_lshlrev_b64 v[1:2], v1, v[32:33]
	s_delay_alu instid0(VALU_DEP_1)
	v_and_b32_e32 v32, 7, v1
; %bb.2953:                             ;   in Loop: Header=BB468_8 Depth=1
	s_or_b32 exec_lo, exec_lo, s21
	v_lshlrev_b32_e32 v1, 16, v18
	s_delay_alu instid0(VALU_DEP_2) | instskip(SKIP_1) | instid1(VALU_DEP_3)
	v_lshlrev_b32_e32 v2, 20, v32
	v_lshl_add_u32 v0, v0, 23, 0x3c000000
	v_and_b32_e32 v1, 0x80000000, v1
	s_delay_alu instid0(VALU_DEP_1)
	v_or3_b32 v0, v2, v1, v0
.LBB468_2954:                           ;   in Loop: Header=BB468_8 Depth=1
	s_or_b32 exec_lo, exec_lo, s19
.LBB468_2955:                           ;   in Loop: Header=BB468_8 Depth=1
	s_delay_alu instid0(SALU_CYCLE_1)
	s_or_b32 exec_lo, exec_lo, s17
.LBB468_2956:                           ;   in Loop: Header=BB468_8 Depth=1
	s_delay_alu instid0(SALU_CYCLE_1) | instskip(NEXT) | instid1(VALU_DEP_1)
	s_or_b32 exec_lo, exec_lo, s3
	v_mul_f32_e32 v0, v79, v0
                                        ; implicit-def: $vgpr2
	s_delay_alu instid0(VALU_DEP_1) | instskip(NEXT) | instid1(VALU_DEP_1)
	v_and_b32_e32 v1, 0x7f800000, v0
	v_cmp_ne_u32_e64 s2, 0x7f800000, v1
	s_delay_alu instid0(VALU_DEP_1) | instskip(NEXT) | instid1(SALU_CYCLE_1)
	s_and_saveexec_b32 s3, s2
	s_xor_b32 s2, exec_lo, s3
; %bb.2957:                             ;   in Loop: Header=BB468_8 Depth=1
	v_bfe_u32 v1, v0, 16, 1
	s_delay_alu instid0(VALU_DEP_1)
	v_add3_u32 v2, v0, v1, 0x7fff
                                        ; implicit-def: $vgpr0
; %bb.2958:                             ;   in Loop: Header=BB468_8 Depth=1
	s_and_not1_saveexec_b32 s3, s2
; %bb.2959:                             ;   in Loop: Header=BB468_8 Depth=1
	v_and_b32_e32 v1, 0xffff, v0
	v_or_b32_e32 v2, 0x10000, v0
	s_delay_alu instid0(VALU_DEP_2) | instskip(NEXT) | instid1(VALU_DEP_1)
	v_cmp_eq_u32_e64 s2, 0, v1
	v_cndmask_b32_e64 v2, v2, v0, s2
; %bb.2960:                             ;   in Loop: Header=BB468_8 Depth=1
	s_or_b32 exec_lo, exec_lo, s3
	v_lshrrev_b32_e32 v0, 16, v31
	v_mov_b32_e32 v1, 0
	s_mov_b32 s3, exec_lo
	s_delay_alu instid0(VALU_DEP_2) | instskip(NEXT) | instid1(VALU_DEP_1)
	v_and_b32_e32 v3, 0xff, v0
	v_cmpx_ne_u16_e32 0, v3
	s_cbranch_execz .LBB468_2968
; %bb.2961:                             ;   in Loop: Header=BB468_8 Depth=1
	v_bfrev_b32_e32 v1, 1
	s_mov_b32 s17, exec_lo
	v_cmpx_ne_u16_e32 0x80, v3
	s_cbranch_execz .LBB468_2967
; %bb.2962:                             ;   in Loop: Header=BB468_8 Depth=1
	v_bfe_u32 v3, v31, 16, 7
	v_mov_b32_e32 v1, 0x7f800001
	s_mov_b32 s19, exec_lo
	s_delay_alu instid0(VALU_DEP_2)
	v_cmpx_ne_u32_e32 0x7f, v3
	s_cbranch_execz .LBB468_2966
; %bb.2963:                             ;   in Loop: Header=BB468_8 Depth=1
	v_and_b32_e32 v18, 7, v0
	v_mov_b32_e32 v33, v19
	v_lshrrev_b32_e32 v1, 3, v3
	s_mov_b32 s21, exec_lo
	s_delay_alu instid0(VALU_DEP_3)
	v_mov_b32_e32 v32, v18
	v_cmpx_gt_u32_e32 8, v3
; %bb.2964:                             ;   in Loop: Header=BB468_8 Depth=1
	v_clz_i32_u32_e32 v1, v18
	s_delay_alu instid0(VALU_DEP_1) | instskip(NEXT) | instid1(VALU_DEP_1)
	v_min_u32_e32 v1, 32, v1
	v_subrev_nc_u32_e32 v3, 28, v1
	v_sub_nc_u32_e32 v1, 29, v1
	s_delay_alu instid0(VALU_DEP_2) | instskip(NEXT) | instid1(VALU_DEP_1)
	v_lshlrev_b64 v[14:15], v3, v[18:19]
	v_and_b32_e32 v32, 7, v14
; %bb.2965:                             ;   in Loop: Header=BB468_8 Depth=1
	s_or_b32 exec_lo, exec_lo, s21
	v_lshlrev_b32_e32 v0, 24, v0
	s_delay_alu instid0(VALU_DEP_2) | instskip(SKIP_1) | instid1(VALU_DEP_3)
	v_lshlrev_b32_e32 v3, 20, v32
	v_lshl_add_u32 v1, v1, 23, 0x3c000000
	v_and_b32_e32 v0, 0x80000000, v0
	s_delay_alu instid0(VALU_DEP_1)
	v_or3_b32 v1, v3, v0, v1
.LBB468_2966:                           ;   in Loop: Header=BB468_8 Depth=1
	s_or_b32 exec_lo, exec_lo, s19
.LBB468_2967:                           ;   in Loop: Header=BB468_8 Depth=1
	s_delay_alu instid0(SALU_CYCLE_1)
	s_or_b32 exec_lo, exec_lo, s17
.LBB468_2968:                           ;   in Loop: Header=BB468_8 Depth=1
	s_delay_alu instid0(SALU_CYCLE_1) | instskip(NEXT) | instid1(VALU_DEP_1)
	s_or_b32 exec_lo, exec_lo, s3
	v_mul_f32_e32 v0, v79, v1
                                        ; implicit-def: $vgpr32
	s_delay_alu instid0(VALU_DEP_1) | instskip(NEXT) | instid1(VALU_DEP_1)
	v_and_b32_e32 v1, 0x7f800000, v0
	v_cmp_ne_u32_e64 s2, 0x7f800000, v1
	s_delay_alu instid0(VALU_DEP_1) | instskip(NEXT) | instid1(SALU_CYCLE_1)
	s_and_saveexec_b32 s3, s2
	s_xor_b32 s2, exec_lo, s3
; %bb.2969:                             ;   in Loop: Header=BB468_8 Depth=1
	v_bfe_u32 v1, v0, 16, 1
	s_delay_alu instid0(VALU_DEP_1)
	v_add3_u32 v32, v0, v1, 0x7fff
                                        ; implicit-def: $vgpr0
; %bb.2970:                             ;   in Loop: Header=BB468_8 Depth=1
	s_and_not1_saveexec_b32 s3, s2
; %bb.2971:                             ;   in Loop: Header=BB468_8 Depth=1
	v_and_b32_e32 v1, 0xffff, v0
	v_or_b32_e32 v3, 0x10000, v0
	s_delay_alu instid0(VALU_DEP_2) | instskip(NEXT) | instid1(VALU_DEP_1)
	v_cmp_eq_u32_e64 s2, 0, v1
	v_cndmask_b32_e64 v32, v3, v0, s2
; %bb.2972:                             ;   in Loop: Header=BB468_8 Depth=1
	s_or_b32 exec_lo, exec_lo, s3
	v_mov_b32_e32 v1, 0
	s_mov_b32 s3, exec_lo
	v_cmpx_lt_u64_e64 s[4:5], v[30:31]
	s_cbranch_execz .LBB468_2980
; %bb.2973:                             ;   in Loop: Header=BB468_8 Depth=1
	v_lshrrev_b32_e32 v0, 24, v31
	v_bfrev_b32_e32 v1, 1
	s_mov_b32 s17, exec_lo
	s_delay_alu instid0(VALU_DEP_2)
	v_cmpx_ne_u32_e32 0x80, v0
	s_cbranch_execz .LBB468_2979
; %bb.2974:                             ;   in Loop: Header=BB468_8 Depth=1
	v_bfe_u32 v3, v31, 24, 7
	v_mov_b32_e32 v1, 0x7f800001
	s_mov_b32 s19, exec_lo
	s_delay_alu instid0(VALU_DEP_2)
	v_cmpx_ne_u32_e32 0x7f, v3
	s_cbranch_execz .LBB468_2978
; %bb.2975:                             ;   in Loop: Header=BB468_8 Depth=1
	v_and_b32_e32 v18, 7, v0
	v_mov_b32_e32 v31, v19
	v_lshrrev_b32_e32 v1, 3, v3
	s_mov_b32 s21, exec_lo
	s_delay_alu instid0(VALU_DEP_3)
	v_mov_b32_e32 v30, v18
	v_cmpx_gt_u32_e32 8, v3
; %bb.2976:                             ;   in Loop: Header=BB468_8 Depth=1
	v_clz_i32_u32_e32 v1, v18
	s_delay_alu instid0(VALU_DEP_1) | instskip(NEXT) | instid1(VALU_DEP_1)
	v_min_u32_e32 v1, 32, v1
	v_subrev_nc_u32_e32 v3, 28, v1
	v_sub_nc_u32_e32 v1, 29, v1
	s_delay_alu instid0(VALU_DEP_2) | instskip(NEXT) | instid1(VALU_DEP_1)
	v_lshlrev_b64 v[14:15], v3, v[18:19]
	v_and_b32_e32 v30, 7, v14
; %bb.2977:                             ;   in Loop: Header=BB468_8 Depth=1
	s_or_b32 exec_lo, exec_lo, s21
	v_lshlrev_b32_e32 v0, 24, v0
	s_delay_alu instid0(VALU_DEP_2) | instskip(SKIP_1) | instid1(VALU_DEP_3)
	v_lshlrev_b32_e32 v3, 20, v30
	v_lshl_add_u32 v1, v1, 23, 0x3c000000
	v_and_b32_e32 v0, 0x80000000, v0
	s_delay_alu instid0(VALU_DEP_1)
	v_or3_b32 v1, v3, v0, v1
.LBB468_2978:                           ;   in Loop: Header=BB468_8 Depth=1
	s_or_b32 exec_lo, exec_lo, s19
.LBB468_2979:                           ;   in Loop: Header=BB468_8 Depth=1
	s_delay_alu instid0(SALU_CYCLE_1)
	s_or_b32 exec_lo, exec_lo, s17
.LBB468_2980:                           ;   in Loop: Header=BB468_8 Depth=1
	s_delay_alu instid0(SALU_CYCLE_1) | instskip(NEXT) | instid1(VALU_DEP_1)
	s_or_b32 exec_lo, exec_lo, s3
	v_mul_f32_e32 v0, v79, v1
                                        ; implicit-def: $vgpr33
	s_delay_alu instid0(VALU_DEP_1) | instskip(NEXT) | instid1(VALU_DEP_1)
	v_and_b32_e32 v1, 0x7f800000, v0
	v_cmp_ne_u32_e64 s2, 0x7f800000, v1
	s_delay_alu instid0(VALU_DEP_1) | instskip(NEXT) | instid1(SALU_CYCLE_1)
	s_and_saveexec_b32 s3, s2
	s_xor_b32 s2, exec_lo, s3
; %bb.2981:                             ;   in Loop: Header=BB468_8 Depth=1
	v_bfe_u32 v1, v0, 16, 1
	s_delay_alu instid0(VALU_DEP_1)
	v_add3_u32 v33, v0, v1, 0x7fff
                                        ; implicit-def: $vgpr0
; %bb.2982:                             ;   in Loop: Header=BB468_8 Depth=1
	s_and_not1_saveexec_b32 s3, s2
; %bb.2983:                             ;   in Loop: Header=BB468_8 Depth=1
	v_and_b32_e32 v1, 0xffff, v0
	v_or_b32_e32 v3, 0x10000, v0
	s_delay_alu instid0(VALU_DEP_2) | instskip(NEXT) | instid1(VALU_DEP_1)
	v_cmp_eq_u32_e64 s2, 0, v1
	v_cndmask_b32_e64 v33, v3, v0, s2
; %bb.2984:                             ;   in Loop: Header=BB468_8 Depth=1
	s_or_b32 exec_lo, exec_lo, s3
	flat_load_b64 v[28:29], v[28:29] offset:3592
	s_mov_b32 s3, exec_lo
	s_waitcnt vmcnt(0) lgkmcnt(0)
	v_dual_mov_b32 v0, 0 :: v_dual_and_b32 v1, 0xff, v28
	s_delay_alu instid0(VALU_DEP_1)
	v_cmpx_ne_u16_e32 0, v1
	s_cbranch_execz .LBB468_2992
; %bb.2985:                             ;   in Loop: Header=BB468_8 Depth=1
	v_bfrev_b32_e32 v0, 1
	s_mov_b32 s17, exec_lo
	v_cmpx_ne_u16_e32 0x80, v1
	s_cbranch_execz .LBB468_2991
; %bb.2986:                             ;   in Loop: Header=BB468_8 Depth=1
	v_and_b32_e32 v1, 0x7f, v28
	v_mov_b32_e32 v0, 0x7f800001
	s_mov_b32 s19, exec_lo
	s_delay_alu instid0(VALU_DEP_2)
	v_cmpx_ne_u32_e32 0x7f, v1
	s_cbranch_execz .LBB468_2990
; %bb.2987:                             ;   in Loop: Header=BB468_8 Depth=1
	v_lshrrev_b32_e32 v0, 3, v1
	v_dual_mov_b32 v31, v29 :: v_dual_mov_b32 v30, v28
	s_mov_b32 s21, exec_lo
	v_cmpx_gt_u32_e32 8, v1
; %bb.2988:                             ;   in Loop: Header=BB468_8 Depth=1
	v_and_b32_e32 v0, 7, v28
	s_delay_alu instid0(VALU_DEP_1) | instskip(NEXT) | instid1(VALU_DEP_1)
	v_clz_i32_u32_e32 v0, v0
	v_min_u32_e32 v0, 32, v0
	s_delay_alu instid0(VALU_DEP_1) | instskip(SKIP_1) | instid1(VALU_DEP_2)
	v_subrev_nc_u32_e32 v1, 28, v0
	v_sub_nc_u32_e32 v0, 29, v0
	v_lshlrev_b64 v[30:31], v1, v[28:29]
; %bb.2989:                             ;   in Loop: Header=BB468_8 Depth=1
	s_or_b32 exec_lo, exec_lo, s21
	s_delay_alu instid0(VALU_DEP_1) | instskip(SKIP_2) | instid1(VALU_DEP_3)
	v_lshlrev_b32_e32 v1, 20, v30
	v_lshlrev_b32_e32 v3, 24, v28
	v_lshl_add_u32 v0, v0, 23, 0x3c000000
	v_and_b32_e32 v1, 0x700000, v1
	s_delay_alu instid0(VALU_DEP_3) | instskip(NEXT) | instid1(VALU_DEP_1)
	v_and_b32_e32 v3, 0x80000000, v3
	v_or3_b32 v0, v1, v3, v0
.LBB468_2990:                           ;   in Loop: Header=BB468_8 Depth=1
	s_or_b32 exec_lo, exec_lo, s19
.LBB468_2991:                           ;   in Loop: Header=BB468_8 Depth=1
	s_delay_alu instid0(SALU_CYCLE_1)
	s_or_b32 exec_lo, exec_lo, s17
.LBB468_2992:                           ;   in Loop: Header=BB468_8 Depth=1
	s_delay_alu instid0(SALU_CYCLE_1) | instskip(NEXT) | instid1(VALU_DEP_1)
	s_or_b32 exec_lo, exec_lo, s3
	v_mul_f32_e32 v0, v79, v0
                                        ; implicit-def: $vgpr3
	s_delay_alu instid0(VALU_DEP_1) | instskip(NEXT) | instid1(VALU_DEP_1)
	v_and_b32_e32 v1, 0x7f800000, v0
	v_cmp_ne_u32_e64 s2, 0x7f800000, v1
	s_delay_alu instid0(VALU_DEP_1) | instskip(NEXT) | instid1(SALU_CYCLE_1)
	s_and_saveexec_b32 s3, s2
	s_xor_b32 s2, exec_lo, s3
; %bb.2993:                             ;   in Loop: Header=BB468_8 Depth=1
	v_bfe_u32 v1, v0, 16, 1
	s_delay_alu instid0(VALU_DEP_1)
	v_add3_u32 v3, v0, v1, 0x7fff
                                        ; implicit-def: $vgpr0
; %bb.2994:                             ;   in Loop: Header=BB468_8 Depth=1
	s_and_not1_saveexec_b32 s3, s2
; %bb.2995:                             ;   in Loop: Header=BB468_8 Depth=1
	v_and_b32_e32 v1, 0xffff, v0
	v_or_b32_e32 v3, 0x10000, v0
	s_delay_alu instid0(VALU_DEP_2) | instskip(NEXT) | instid1(VALU_DEP_1)
	v_cmp_eq_u32_e64 s2, 0, v1
	v_cndmask_b32_e64 v3, v3, v0, s2
; %bb.2996:                             ;   in Loop: Header=BB468_8 Depth=1
	s_or_b32 exec_lo, exec_lo, s3
	v_lshrrev_b16 v1, 8, v28
	v_mov_b32_e32 v0, 0
	s_mov_b32 s3, exec_lo
	s_delay_alu instid0(VALU_DEP_2)
	v_cmpx_ne_u16_e32 0, v1
	s_cbranch_execz .LBB468_3004
; %bb.2997:                             ;   in Loop: Header=BB468_8 Depth=1
	v_bfrev_b32_e32 v0, 1
	s_mov_b32 s17, exec_lo
	v_cmpx_ne_u16_e32 0x80, v1
	s_cbranch_execz .LBB468_3003
; %bb.2998:                             ;   in Loop: Header=BB468_8 Depth=1
	v_and_b32_e32 v14, 0xffff, v1
	v_mov_b32_e32 v0, 0x7f800001
	s_mov_b32 s19, exec_lo
	s_delay_alu instid0(VALU_DEP_2) | instskip(NEXT) | instid1(VALU_DEP_1)
	v_and_b32_e32 v1, 0x7f, v14
	v_cmpx_ne_u32_e32 0x7f, v1
	s_cbranch_execz .LBB468_3002
; %bb.2999:                             ;   in Loop: Header=BB468_8 Depth=1
	v_and_b32_e32 v18, 7, v14
	v_mov_b32_e32 v31, v19
	v_lshrrev_b32_e32 v0, 3, v1
	s_mov_b32 s21, exec_lo
	s_delay_alu instid0(VALU_DEP_3)
	v_mov_b32_e32 v30, v18
	v_cmpx_gt_u32_e32 8, v1
; %bb.3000:                             ;   in Loop: Header=BB468_8 Depth=1
	v_clz_i32_u32_e32 v0, v18
	s_delay_alu instid0(VALU_DEP_1) | instskip(NEXT) | instid1(VALU_DEP_1)
	v_min_u32_e32 v0, 32, v0
	v_subrev_nc_u32_e32 v1, 28, v0
	v_sub_nc_u32_e32 v0, 29, v0
	s_delay_alu instid0(VALU_DEP_2) | instskip(NEXT) | instid1(VALU_DEP_1)
	v_lshlrev_b64 v[14:15], v1, v[18:19]
	v_and_b32_e32 v30, 7, v14
; %bb.3001:                             ;   in Loop: Header=BB468_8 Depth=1
	s_or_b32 exec_lo, exec_lo, s21
	v_lshlrev_b32_e32 v1, 16, v28
	s_delay_alu instid0(VALU_DEP_2) | instskip(SKIP_1) | instid1(VALU_DEP_3)
	v_lshlrev_b32_e32 v14, 20, v30
	v_lshl_add_u32 v0, v0, 23, 0x3c000000
	v_and_b32_e32 v1, 0x80000000, v1
	s_delay_alu instid0(VALU_DEP_1)
	v_or3_b32 v0, v14, v1, v0
.LBB468_3002:                           ;   in Loop: Header=BB468_8 Depth=1
	s_or_b32 exec_lo, exec_lo, s19
.LBB468_3003:                           ;   in Loop: Header=BB468_8 Depth=1
	s_delay_alu instid0(SALU_CYCLE_1)
	s_or_b32 exec_lo, exec_lo, s17
.LBB468_3004:                           ;   in Loop: Header=BB468_8 Depth=1
	s_delay_alu instid0(SALU_CYCLE_1) | instskip(NEXT) | instid1(VALU_DEP_1)
	s_or_b32 exec_lo, exec_lo, s3
	v_mul_f32_e32 v0, v79, v0
                                        ; implicit-def: $vgpr86
	s_delay_alu instid0(VALU_DEP_1) | instskip(NEXT) | instid1(VALU_DEP_1)
	v_and_b32_e32 v1, 0x7f800000, v0
	v_cmp_ne_u32_e64 s2, 0x7f800000, v1
	s_delay_alu instid0(VALU_DEP_1) | instskip(NEXT) | instid1(SALU_CYCLE_1)
	s_and_saveexec_b32 s3, s2
	s_xor_b32 s2, exec_lo, s3
; %bb.3005:                             ;   in Loop: Header=BB468_8 Depth=1
	v_bfe_u32 v1, v0, 16, 1
	s_delay_alu instid0(VALU_DEP_1)
	v_add3_u32 v86, v0, v1, 0x7fff
                                        ; implicit-def: $vgpr0
; %bb.3006:                             ;   in Loop: Header=BB468_8 Depth=1
	s_and_not1_saveexec_b32 s3, s2
; %bb.3007:                             ;   in Loop: Header=BB468_8 Depth=1
	v_and_b32_e32 v1, 0xffff, v0
	v_or_b32_e32 v14, 0x10000, v0
	s_delay_alu instid0(VALU_DEP_2) | instskip(NEXT) | instid1(VALU_DEP_1)
	v_cmp_eq_u32_e64 s2, 0, v1
	v_cndmask_b32_e64 v86, v14, v0, s2
; %bb.3008:                             ;   in Loop: Header=BB468_8 Depth=1
	s_or_b32 exec_lo, exec_lo, s3
	v_lshrrev_b32_e32 v0, 16, v28
	s_mov_b32 s3, exec_lo
	s_delay_alu instid0(VALU_DEP_1) | instskip(NEXT) | instid1(VALU_DEP_1)
	v_dual_mov_b32 v1, 0 :: v_dual_and_b32 v14, 0xff, v0
	v_cmpx_ne_u16_e32 0, v14
	s_cbranch_execz .LBB468_3016
; %bb.3009:                             ;   in Loop: Header=BB468_8 Depth=1
	v_bfrev_b32_e32 v1, 1
	s_mov_b32 s17, exec_lo
	v_cmpx_ne_u16_e32 0x80, v14
	s_cbranch_execz .LBB468_3015
; %bb.3010:                             ;   in Loop: Header=BB468_8 Depth=1
	v_bfe_u32 v14, v28, 16, 7
	v_mov_b32_e32 v1, 0x7f800001
	s_mov_b32 s19, exec_lo
	s_delay_alu instid0(VALU_DEP_2)
	v_cmpx_ne_u32_e32 0x7f, v14
	s_cbranch_execz .LBB468_3014
; %bb.3011:                             ;   in Loop: Header=BB468_8 Depth=1
	v_and_b32_e32 v18, 7, v0
	v_mov_b32_e32 v31, v19
	v_lshrrev_b32_e32 v1, 3, v14
	s_mov_b32 s21, exec_lo
	s_delay_alu instid0(VALU_DEP_3)
	v_mov_b32_e32 v30, v18
	v_cmpx_gt_u32_e32 8, v14
; %bb.3012:                             ;   in Loop: Header=BB468_8 Depth=1
	v_clz_i32_u32_e32 v1, v18
	s_delay_alu instid0(VALU_DEP_1) | instskip(NEXT) | instid1(VALU_DEP_1)
	v_min_u32_e32 v1, 32, v1
	v_subrev_nc_u32_e32 v14, 28, v1
	v_sub_nc_u32_e32 v1, 29, v1
	s_delay_alu instid0(VALU_DEP_2) | instskip(NEXT) | instid1(VALU_DEP_1)
	v_lshlrev_b64 v[14:15], v14, v[18:19]
	v_and_b32_e32 v30, 7, v14
; %bb.3013:                             ;   in Loop: Header=BB468_8 Depth=1
	s_or_b32 exec_lo, exec_lo, s21
	v_lshlrev_b32_e32 v0, 24, v0
	s_delay_alu instid0(VALU_DEP_2) | instskip(SKIP_1) | instid1(VALU_DEP_3)
	v_lshlrev_b32_e32 v14, 20, v30
	v_lshl_add_u32 v1, v1, 23, 0x3c000000
	v_and_b32_e32 v0, 0x80000000, v0
	s_delay_alu instid0(VALU_DEP_1)
	v_or3_b32 v1, v14, v0, v1
.LBB468_3014:                           ;   in Loop: Header=BB468_8 Depth=1
	s_or_b32 exec_lo, exec_lo, s19
.LBB468_3015:                           ;   in Loop: Header=BB468_8 Depth=1
	s_delay_alu instid0(SALU_CYCLE_1)
	s_or_b32 exec_lo, exec_lo, s17
.LBB468_3016:                           ;   in Loop: Header=BB468_8 Depth=1
	s_delay_alu instid0(SALU_CYCLE_1) | instskip(NEXT) | instid1(VALU_DEP_1)
	s_or_b32 exec_lo, exec_lo, s3
	v_mul_f32_e32 v0, v79, v1
                                        ; implicit-def: $vgpr48
	s_delay_alu instid0(VALU_DEP_1) | instskip(NEXT) | instid1(VALU_DEP_1)
	v_and_b32_e32 v1, 0x7f800000, v0
	v_cmp_ne_u32_e64 s2, 0x7f800000, v1
	s_delay_alu instid0(VALU_DEP_1) | instskip(NEXT) | instid1(SALU_CYCLE_1)
	s_and_saveexec_b32 s3, s2
	s_xor_b32 s2, exec_lo, s3
; %bb.3017:                             ;   in Loop: Header=BB468_8 Depth=1
	v_bfe_u32 v1, v0, 16, 1
	s_delay_alu instid0(VALU_DEP_1)
	v_add3_u32 v48, v0, v1, 0x7fff
                                        ; implicit-def: $vgpr0
; %bb.3018:                             ;   in Loop: Header=BB468_8 Depth=1
	s_and_not1_saveexec_b32 s3, s2
; %bb.3019:                             ;   in Loop: Header=BB468_8 Depth=1
	v_and_b32_e32 v1, 0xffff, v0
	v_or_b32_e32 v14, 0x10000, v0
	s_delay_alu instid0(VALU_DEP_2) | instskip(NEXT) | instid1(VALU_DEP_1)
	v_cmp_eq_u32_e64 s2, 0, v1
	v_cndmask_b32_e64 v48, v14, v0, s2
; %bb.3020:                             ;   in Loop: Header=BB468_8 Depth=1
	s_or_b32 exec_lo, exec_lo, s3
	v_mov_b32_e32 v1, 0
	s_mov_b32 s3, exec_lo
	v_cmpx_lt_u32_e32 0xffffff, v28
	s_cbranch_execz .LBB468_3028
; %bb.3021:                             ;   in Loop: Header=BB468_8 Depth=1
	v_lshrrev_b32_e32 v0, 24, v28
	v_bfrev_b32_e32 v1, 1
	s_mov_b32 s17, exec_lo
	s_delay_alu instid0(VALU_DEP_2)
	v_cmpx_ne_u32_e32 0x80, v0
	s_cbranch_execz .LBB468_3027
; %bb.3022:                             ;   in Loop: Header=BB468_8 Depth=1
	v_bfe_u32 v14, v28, 24, 7
	v_mov_b32_e32 v1, 0x7f800001
	s_mov_b32 s19, exec_lo
	s_delay_alu instid0(VALU_DEP_2)
	v_cmpx_ne_u32_e32 0x7f, v14
	s_cbranch_execz .LBB468_3026
; %bb.3023:                             ;   in Loop: Header=BB468_8 Depth=1
	v_and_b32_e32 v18, 7, v0
	v_mov_b32_e32 v31, v19
	v_lshrrev_b32_e32 v1, 3, v14
	s_mov_b32 s21, exec_lo
	s_delay_alu instid0(VALU_DEP_3)
	v_mov_b32_e32 v30, v18
	v_cmpx_gt_u32_e32 8, v14
; %bb.3024:                             ;   in Loop: Header=BB468_8 Depth=1
	v_clz_i32_u32_e32 v1, v18
	s_delay_alu instid0(VALU_DEP_1) | instskip(NEXT) | instid1(VALU_DEP_1)
	v_min_u32_e32 v1, 32, v1
	v_subrev_nc_u32_e32 v14, 28, v1
	v_sub_nc_u32_e32 v1, 29, v1
	s_delay_alu instid0(VALU_DEP_2) | instskip(NEXT) | instid1(VALU_DEP_1)
	v_lshlrev_b64 v[14:15], v14, v[18:19]
	v_and_b32_e32 v30, 7, v14
; %bb.3025:                             ;   in Loop: Header=BB468_8 Depth=1
	s_or_b32 exec_lo, exec_lo, s21
	v_lshlrev_b32_e32 v0, 24, v0
	s_delay_alu instid0(VALU_DEP_2) | instskip(SKIP_1) | instid1(VALU_DEP_3)
	v_lshlrev_b32_e32 v14, 20, v30
	v_lshl_add_u32 v1, v1, 23, 0x3c000000
	v_and_b32_e32 v0, 0x80000000, v0
	s_delay_alu instid0(VALU_DEP_1)
	v_or3_b32 v1, v14, v0, v1
.LBB468_3026:                           ;   in Loop: Header=BB468_8 Depth=1
	s_or_b32 exec_lo, exec_lo, s19
.LBB468_3027:                           ;   in Loop: Header=BB468_8 Depth=1
	s_delay_alu instid0(SALU_CYCLE_1)
	s_or_b32 exec_lo, exec_lo, s17
.LBB468_3028:                           ;   in Loop: Header=BB468_8 Depth=1
	s_delay_alu instid0(SALU_CYCLE_1) | instskip(NEXT) | instid1(VALU_DEP_1)
	s_or_b32 exec_lo, exec_lo, s3
	v_mul_f32_e32 v0, v79, v1
	s_delay_alu instid0(VALU_DEP_1) | instskip(NEXT) | instid1(VALU_DEP_1)
	v_and_b32_e32 v1, 0x7f800000, v0
	v_cmp_ne_u32_e64 s2, 0x7f800000, v1
                                        ; implicit-def: $vgpr1
	s_delay_alu instid0(VALU_DEP_1) | instskip(NEXT) | instid1(SALU_CYCLE_1)
	s_and_saveexec_b32 s3, s2
	s_xor_b32 s2, exec_lo, s3
; %bb.3029:                             ;   in Loop: Header=BB468_8 Depth=1
	v_bfe_u32 v1, v0, 16, 1
	s_delay_alu instid0(VALU_DEP_1)
	v_add3_u32 v1, v0, v1, 0x7fff
                                        ; implicit-def: $vgpr0
; %bb.3030:                             ;   in Loop: Header=BB468_8 Depth=1
	s_and_not1_saveexec_b32 s3, s2
; %bb.3031:                             ;   in Loop: Header=BB468_8 Depth=1
	v_and_b32_e32 v1, 0xffff, v0
	v_or_b32_e32 v14, 0x10000, v0
	s_delay_alu instid0(VALU_DEP_2) | instskip(NEXT) | instid1(VALU_DEP_1)
	v_cmp_eq_u32_e64 s2, 0, v1
	v_cndmask_b32_e64 v1, v14, v0, s2
; %bb.3032:                             ;   in Loop: Header=BB468_8 Depth=1
	s_or_b32 exec_lo, exec_lo, s3
	v_and_b32_e32 v14, 0xff, v29
	v_mov_b32_e32 v18, v29
	v_mov_b32_e32 v0, 0
	s_mov_b32 s3, exec_lo
	s_delay_alu instid0(VALU_DEP_3)
	v_cmpx_ne_u16_e32 0, v14
	s_cbranch_execz .LBB468_3040
; %bb.3033:                             ;   in Loop: Header=BB468_8 Depth=1
	v_bfrev_b32_e32 v0, 1
	s_mov_b32 s17, exec_lo
	v_cmpx_ne_u16_e32 0x80, v14
	s_cbranch_execz .LBB468_3039
; %bb.3034:                             ;   in Loop: Header=BB468_8 Depth=1
	v_and_b32_e32 v14, 0x7f, v29
	v_mov_b32_e32 v0, 0x7f800001
	s_mov_b32 s19, exec_lo
	s_delay_alu instid0(VALU_DEP_2)
	v_cmpx_ne_u32_e32 0x7f, v14
	s_cbranch_execz .LBB468_3038
; %bb.3035:                             ;   in Loop: Header=BB468_8 Depth=1
	v_dual_mov_b32 v31, v19 :: v_dual_mov_b32 v30, v18
	v_lshrrev_b32_e32 v0, 3, v14
	s_mov_b32 s21, exec_lo
	v_cmpx_gt_u32_e32 8, v14
; %bb.3036:                             ;   in Loop: Header=BB468_8 Depth=1
	v_and_b32_e32 v0, 7, v29
	s_delay_alu instid0(VALU_DEP_1) | instskip(NEXT) | instid1(VALU_DEP_1)
	v_clz_i32_u32_e32 v0, v0
	v_min_u32_e32 v0, 32, v0
	s_delay_alu instid0(VALU_DEP_1) | instskip(SKIP_1) | instid1(VALU_DEP_2)
	v_subrev_nc_u32_e32 v14, 28, v0
	v_sub_nc_u32_e32 v0, 29, v0
	v_lshlrev_b64 v[30:31], v14, v[18:19]
; %bb.3037:                             ;   in Loop: Header=BB468_8 Depth=1
	s_or_b32 exec_lo, exec_lo, s21
	s_delay_alu instid0(VALU_DEP_1) | instskip(SKIP_2) | instid1(VALU_DEP_3)
	v_lshlrev_b32_e32 v14, 20, v30
	v_lshlrev_b32_e32 v15, 24, v18
	v_lshl_add_u32 v0, v0, 23, 0x3c000000
	v_and_b32_e32 v14, 0x700000, v14
	s_delay_alu instid0(VALU_DEP_3) | instskip(NEXT) | instid1(VALU_DEP_1)
	v_and_b32_e32 v15, 0x80000000, v15
	v_or3_b32 v0, v14, v15, v0
.LBB468_3038:                           ;   in Loop: Header=BB468_8 Depth=1
	s_or_b32 exec_lo, exec_lo, s19
.LBB468_3039:                           ;   in Loop: Header=BB468_8 Depth=1
	s_delay_alu instid0(SALU_CYCLE_1)
	s_or_b32 exec_lo, exec_lo, s17
.LBB468_3040:                           ;   in Loop: Header=BB468_8 Depth=1
	s_delay_alu instid0(SALU_CYCLE_1) | instskip(NEXT) | instid1(VALU_DEP_1)
	s_or_b32 exec_lo, exec_lo, s3
	v_mul_f32_e32 v14, v79, v0
	s_delay_alu instid0(VALU_DEP_1) | instskip(NEXT) | instid1(VALU_DEP_1)
	v_and_b32_e32 v0, 0x7f800000, v14
	v_cmp_ne_u32_e64 s2, 0x7f800000, v0
                                        ; implicit-def: $vgpr0
	s_delay_alu instid0(VALU_DEP_1) | instskip(NEXT) | instid1(SALU_CYCLE_1)
	s_and_saveexec_b32 s3, s2
	s_xor_b32 s2, exec_lo, s3
; %bb.3041:                             ;   in Loop: Header=BB468_8 Depth=1
	v_bfe_u32 v0, v14, 16, 1
	s_delay_alu instid0(VALU_DEP_1)
	v_add3_u32 v0, v14, v0, 0x7fff
                                        ; implicit-def: $vgpr14
; %bb.3042:                             ;   in Loop: Header=BB468_8 Depth=1
	s_and_not1_saveexec_b32 s3, s2
; %bb.3043:                             ;   in Loop: Header=BB468_8 Depth=1
	v_and_b32_e32 v0, 0xffff, v14
	v_or_b32_e32 v15, 0x10000, v14
	s_delay_alu instid0(VALU_DEP_2) | instskip(NEXT) | instid1(VALU_DEP_1)
	v_cmp_eq_u32_e64 s2, 0, v0
	v_cndmask_b32_e64 v0, v15, v14, s2
; %bb.3044:                             ;   in Loop: Header=BB468_8 Depth=1
	s_or_b32 exec_lo, exec_lo, s3
	v_lshrrev_b16 v15, 8, v18
	v_mov_b32_e32 v14, 0
	s_mov_b32 s3, exec_lo
	s_delay_alu instid0(VALU_DEP_2)
	v_cmpx_ne_u16_e32 0, v15
	s_cbranch_execz .LBB468_3052
; %bb.3045:                             ;   in Loop: Header=BB468_8 Depth=1
	v_bfrev_b32_e32 v14, 1
	s_mov_b32 s17, exec_lo
	v_cmpx_ne_u16_e32 0x80, v15
	s_cbranch_execz .LBB468_3051
; %bb.3046:                             ;   in Loop: Header=BB468_8 Depth=1
	v_and_b32_e32 v26, 0xffff, v15
	v_mov_b32_e32 v14, 0x7f800001
	s_mov_b32 s19, exec_lo
	s_delay_alu instid0(VALU_DEP_2) | instskip(NEXT) | instid1(VALU_DEP_1)
	v_and_b32_e32 v15, 0x7f, v26
	v_cmpx_ne_u32_e32 0x7f, v15
	s_cbranch_execz .LBB468_3050
; %bb.3047:                             ;   in Loop: Header=BB468_8 Depth=1
	v_dual_mov_b32 v31, v19 :: v_dual_and_b32 v30, 7, v26
	v_lshrrev_b32_e32 v14, 3, v15
	s_mov_b32 s21, exec_lo
	v_cmpx_gt_u32_e32 8, v15
; %bb.3048:                             ;   in Loop: Header=BB468_8 Depth=1
	s_delay_alu instid0(VALU_DEP_3) | instskip(NEXT) | instid1(VALU_DEP_1)
	v_clz_i32_u32_e32 v14, v30
	v_min_u32_e32 v14, 32, v14
	s_delay_alu instid0(VALU_DEP_1) | instskip(SKIP_1) | instid1(VALU_DEP_2)
	v_subrev_nc_u32_e32 v15, 28, v14
	v_sub_nc_u32_e32 v14, 29, v14
	v_lshlrev_b64 v[26:27], v15, v[30:31]
	s_delay_alu instid0(VALU_DEP_1)
	v_and_b32_e32 v30, 7, v26
; %bb.3049:                             ;   in Loop: Header=BB468_8 Depth=1
	s_or_b32 exec_lo, exec_lo, s21
	v_lshlrev_b32_e32 v15, 16, v18
	s_delay_alu instid0(VALU_DEP_2) | instskip(SKIP_1) | instid1(VALU_DEP_3)
	v_lshlrev_b32_e32 v18, 20, v30
	v_lshl_add_u32 v14, v14, 23, 0x3c000000
	v_and_b32_e32 v15, 0x80000000, v15
	s_delay_alu instid0(VALU_DEP_1)
	v_or3_b32 v14, v18, v15, v14
.LBB468_3050:                           ;   in Loop: Header=BB468_8 Depth=1
	s_or_b32 exec_lo, exec_lo, s19
.LBB468_3051:                           ;   in Loop: Header=BB468_8 Depth=1
	s_delay_alu instid0(SALU_CYCLE_1)
	s_or_b32 exec_lo, exec_lo, s17
.LBB468_3052:                           ;   in Loop: Header=BB468_8 Depth=1
	s_delay_alu instid0(SALU_CYCLE_1) | instskip(NEXT) | instid1(VALU_DEP_1)
	s_or_b32 exec_lo, exec_lo, s3
	v_mul_f32_e32 v14, v79, v14
	s_delay_alu instid0(VALU_DEP_1) | instskip(NEXT) | instid1(VALU_DEP_1)
	v_and_b32_e32 v15, 0x7f800000, v14
	v_cmp_ne_u32_e64 s2, 0x7f800000, v15
                                        ; implicit-def: $vgpr15
	s_delay_alu instid0(VALU_DEP_1) | instskip(NEXT) | instid1(SALU_CYCLE_1)
	s_and_saveexec_b32 s3, s2
	s_xor_b32 s2, exec_lo, s3
; %bb.3053:                             ;   in Loop: Header=BB468_8 Depth=1
	v_bfe_u32 v15, v14, 16, 1
	s_delay_alu instid0(VALU_DEP_1)
	v_add3_u32 v15, v14, v15, 0x7fff
                                        ; implicit-def: $vgpr14
; %bb.3054:                             ;   in Loop: Header=BB468_8 Depth=1
	s_and_not1_saveexec_b32 s3, s2
; %bb.3055:                             ;   in Loop: Header=BB468_8 Depth=1
	v_and_b32_e32 v15, 0xffff, v14
	v_or_b32_e32 v18, 0x10000, v14
	s_delay_alu instid0(VALU_DEP_2) | instskip(NEXT) | instid1(VALU_DEP_1)
	v_cmp_eq_u32_e64 s2, 0, v15
	v_cndmask_b32_e64 v15, v18, v14, s2
; %bb.3056:                             ;   in Loop: Header=BB468_8 Depth=1
	s_or_b32 exec_lo, exec_lo, s3
	v_lshrrev_b32_e32 v14, 16, v29
	v_mov_b32_e32 v18, 0
	s_mov_b32 s3, exec_lo
	s_delay_alu instid0(VALU_DEP_2) | instskip(NEXT) | instid1(VALU_DEP_1)
	v_and_b32_e32 v26, 0xff, v14
	v_cmpx_ne_u16_e32 0, v26
	s_cbranch_execz .LBB468_3064
; %bb.3057:                             ;   in Loop: Header=BB468_8 Depth=1
	v_bfrev_b32_e32 v18, 1
	s_mov_b32 s17, exec_lo
	v_cmpx_ne_u16_e32 0x80, v26
	s_cbranch_execz .LBB468_3063
; %bb.3058:                             ;   in Loop: Header=BB468_8 Depth=1
	v_bfe_u32 v27, v29, 16, 7
	v_mov_b32_e32 v18, 0x7f800001
	s_mov_b32 s19, exec_lo
	s_delay_alu instid0(VALU_DEP_2)
	v_cmpx_ne_u32_e32 0x7f, v27
	s_cbranch_execz .LBB468_3062
; %bb.3059:                             ;   in Loop: Header=BB468_8 Depth=1
	v_and_b32_e32 v18, 7, v14
	v_mov_b32_e32 v31, v19
	v_lshrrev_b32_e32 v26, 3, v27
	s_mov_b32 s21, exec_lo
	s_delay_alu instid0(VALU_DEP_3)
	v_mov_b32_e32 v30, v18
	v_cmpx_gt_u32_e32 8, v27
; %bb.3060:                             ;   in Loop: Header=BB468_8 Depth=1
	v_clz_i32_u32_e32 v26, v18
	s_delay_alu instid0(VALU_DEP_1) | instskip(NEXT) | instid1(VALU_DEP_1)
	v_min_u32_e32 v26, 32, v26
	v_subrev_nc_u32_e32 v27, 28, v26
	v_sub_nc_u32_e32 v26, 29, v26
	s_delay_alu instid0(VALU_DEP_2) | instskip(NEXT) | instid1(VALU_DEP_1)
	v_lshlrev_b64 v[30:31], v27, v[18:19]
	v_and_b32_e32 v30, 7, v30
; %bb.3061:                             ;   in Loop: Header=BB468_8 Depth=1
	s_or_b32 exec_lo, exec_lo, s21
	v_lshlrev_b32_e32 v14, 24, v14
	s_delay_alu instid0(VALU_DEP_2) | instskip(SKIP_1) | instid1(VALU_DEP_3)
	v_lshlrev_b32_e32 v18, 20, v30
	v_lshl_add_u32 v26, v26, 23, 0x3c000000
	v_and_b32_e32 v14, 0x80000000, v14
	s_delay_alu instid0(VALU_DEP_1)
	v_or3_b32 v18, v18, v14, v26
.LBB468_3062:                           ;   in Loop: Header=BB468_8 Depth=1
	s_or_b32 exec_lo, exec_lo, s19
.LBB468_3063:                           ;   in Loop: Header=BB468_8 Depth=1
	s_delay_alu instid0(SALU_CYCLE_1)
	s_or_b32 exec_lo, exec_lo, s17
.LBB468_3064:                           ;   in Loop: Header=BB468_8 Depth=1
	s_delay_alu instid0(SALU_CYCLE_1) | instskip(NEXT) | instid1(VALU_DEP_1)
	s_or_b32 exec_lo, exec_lo, s3
	v_mul_f32_e32 v14, v79, v18
                                        ; implicit-def: $vgpr30
	s_delay_alu instid0(VALU_DEP_1) | instskip(NEXT) | instid1(VALU_DEP_1)
	v_and_b32_e32 v18, 0x7f800000, v14
	v_cmp_ne_u32_e64 s2, 0x7f800000, v18
	s_delay_alu instid0(VALU_DEP_1) | instskip(NEXT) | instid1(SALU_CYCLE_1)
	s_and_saveexec_b32 s3, s2
	s_xor_b32 s2, exec_lo, s3
; %bb.3065:                             ;   in Loop: Header=BB468_8 Depth=1
	v_bfe_u32 v18, v14, 16, 1
	s_delay_alu instid0(VALU_DEP_1)
	v_add3_u32 v30, v14, v18, 0x7fff
                                        ; implicit-def: $vgpr14
; %bb.3066:                             ;   in Loop: Header=BB468_8 Depth=1
	s_and_not1_saveexec_b32 s3, s2
; %bb.3067:                             ;   in Loop: Header=BB468_8 Depth=1
	v_and_b32_e32 v18, 0xffff, v14
	v_or_b32_e32 v26, 0x10000, v14
	s_delay_alu instid0(VALU_DEP_2) | instskip(NEXT) | instid1(VALU_DEP_1)
	v_cmp_eq_u32_e64 s2, 0, v18
	v_cndmask_b32_e64 v30, v26, v14, s2
; %bb.3068:                             ;   in Loop: Header=BB468_8 Depth=1
	s_or_b32 exec_lo, exec_lo, s3
	v_mov_b32_e32 v18, 0
	s_mov_b32 s3, exec_lo
	v_cmpx_lt_u64_e64 s[4:5], v[28:29]
	s_cbranch_execz .LBB468_3076
; %bb.3069:                             ;   in Loop: Header=BB468_8 Depth=1
	v_lshrrev_b32_e32 v14, 24, v29
	v_bfrev_b32_e32 v18, 1
	s_mov_b32 s17, exec_lo
	s_delay_alu instid0(VALU_DEP_2)
	v_cmpx_ne_u32_e32 0x80, v14
	s_cbranch_execz .LBB468_3075
; %bb.3070:                             ;   in Loop: Header=BB468_8 Depth=1
	v_bfe_u32 v27, v29, 24, 7
	v_mov_b32_e32 v18, 0x7f800001
	s_mov_b32 s19, exec_lo
	s_delay_alu instid0(VALU_DEP_2)
	v_cmpx_ne_u32_e32 0x7f, v27
	s_cbranch_execz .LBB468_3074
; %bb.3071:                             ;   in Loop: Header=BB468_8 Depth=1
	v_and_b32_e32 v18, 7, v14
	v_mov_b32_e32 v29, v19
	v_lshrrev_b32_e32 v26, 3, v27
	s_mov_b32 s21, exec_lo
	s_delay_alu instid0(VALU_DEP_3)
	v_mov_b32_e32 v28, v18
	v_cmpx_gt_u32_e32 8, v27
; %bb.3072:                             ;   in Loop: Header=BB468_8 Depth=1
	v_clz_i32_u32_e32 v26, v18
	s_delay_alu instid0(VALU_DEP_1) | instskip(NEXT) | instid1(VALU_DEP_1)
	v_min_u32_e32 v26, 32, v26
	v_subrev_nc_u32_e32 v27, 28, v26
	v_sub_nc_u32_e32 v26, 29, v26
	s_delay_alu instid0(VALU_DEP_2) | instskip(NEXT) | instid1(VALU_DEP_1)
	v_lshlrev_b64 v[27:28], v27, v[18:19]
	v_and_b32_e32 v28, 7, v27
; %bb.3073:                             ;   in Loop: Header=BB468_8 Depth=1
	s_or_b32 exec_lo, exec_lo, s21
	v_lshlrev_b32_e32 v14, 24, v14
	s_delay_alu instid0(VALU_DEP_2) | instskip(SKIP_1) | instid1(VALU_DEP_3)
	v_lshlrev_b32_e32 v18, 20, v28
	v_lshl_add_u32 v26, v26, 23, 0x3c000000
	v_and_b32_e32 v14, 0x80000000, v14
	s_delay_alu instid0(VALU_DEP_1)
	v_or3_b32 v18, v18, v14, v26
.LBB468_3074:                           ;   in Loop: Header=BB468_8 Depth=1
	s_or_b32 exec_lo, exec_lo, s19
.LBB468_3075:                           ;   in Loop: Header=BB468_8 Depth=1
	s_delay_alu instid0(SALU_CYCLE_1)
	s_or_b32 exec_lo, exec_lo, s17
.LBB468_3076:                           ;   in Loop: Header=BB468_8 Depth=1
	s_delay_alu instid0(SALU_CYCLE_1) | instskip(NEXT) | instid1(VALU_DEP_1)
	s_or_b32 exec_lo, exec_lo, s3
	v_mul_f32_e32 v14, v79, v18
	s_delay_alu instid0(VALU_DEP_1) | instskip(NEXT) | instid1(VALU_DEP_1)
	v_and_b32_e32 v18, 0x7f800000, v14
	v_cmp_ne_u32_e64 s2, 0x7f800000, v18
                                        ; implicit-def: $vgpr18
	s_delay_alu instid0(VALU_DEP_1) | instskip(NEXT) | instid1(SALU_CYCLE_1)
	s_and_saveexec_b32 s3, s2
	s_xor_b32 s2, exec_lo, s3
; %bb.3077:                             ;   in Loop: Header=BB468_8 Depth=1
	v_bfe_u32 v18, v14, 16, 1
	s_delay_alu instid0(VALU_DEP_1)
	v_add3_u32 v18, v14, v18, 0x7fff
                                        ; implicit-def: $vgpr14
; %bb.3078:                             ;   in Loop: Header=BB468_8 Depth=1
	s_and_not1_saveexec_b32 s3, s2
	s_cbranch_execz .LBB468_7
; %bb.3079:                             ;   in Loop: Header=BB468_8 Depth=1
	v_and_b32_e32 v18, 0xffff, v14
	v_or_b32_e32 v26, 0x10000, v14
	s_delay_alu instid0(VALU_DEP_2) | instskip(NEXT) | instid1(VALU_DEP_1)
	v_cmp_eq_u32_e64 s2, 0, v18
	v_cndmask_b32_e64 v18, v26, v14, s2
	s_branch .LBB468_7
.LBB468_3080:
	s_or_b32 exec_lo, exec_lo, s15
	s_clause 0xf
	scratch_load_b32 v12, off, s32 offset:1712
	scratch_load_b32 v15, off, s32 offset:1724
	;; [unrolled: 1-line block ×3, first 2 shown]
	scratch_load_b64 v[26:27], off, s32 offset:1732
	scratch_load_b32 v11, off, s32 offset:1740
	scratch_load_b32 v10, off, s32 offset:1744
	;; [unrolled: 1-line block ×7, first 2 shown]
	scratch_load_b64 v[35:36], off, s32 offset:1768
	scratch_load_b32 v13, off, s32 offset:1776
	scratch_load_b32 v85, off, s32 offset:1780
	;; [unrolled: 1-line block ×4, first 2 shown]
.LBB468_3081:
	s_or_b32 exec_lo, exec_lo, s9
	v_mbcnt_lo_u32_b32 v0, -1, 0
	s_lshr_b32 s5, s13, 16
	s_delay_alu instid0(VALU_DEP_1) | instskip(SKIP_2) | instid1(VALU_DEP_3)
	v_xor_b32_e32 v1, 16, v0
	v_xor_b32_e32 v3, 8, v0
	;; [unrolled: 1-line block ×3, first 2 shown]
	v_cmp_gt_i32_e32 vcc_lo, 32, v1
	v_cndmask_b32_e32 v1, v0, v1, vcc_lo
	s_delay_alu instid0(VALU_DEP_4) | instskip(NEXT) | instid1(VALU_DEP_2)
	v_cmp_gt_i32_e32 vcc_lo, 32, v3
	v_dual_cndmask_b32 v3, v0, v3 :: v_dual_lshlrev_b32 v2, 2, v1
	v_cmp_gt_i32_e32 vcc_lo, 32, v5
	ds_bpermute_b32 v1, v2, v72
	v_dual_max_f32 v4, v72, v72 :: v_dual_lshlrev_b32 v3, 2, v3
	v_cndmask_b32_e32 v5, v0, v5, vcc_lo
	s_waitcnt lgkmcnt(0)
	v_max_f32_e32 v1, v1, v1
	s_delay_alu instid0(VALU_DEP_1) | instskip(SKIP_3) | instid1(VALU_DEP_1)
	v_max_f32_e32 v1, v4, v1
	ds_bpermute_b32 v4, v3, v1
	s_waitcnt lgkmcnt(0)
	v_max_f32_e32 v6, v4, v4
	v_dual_max_f32 v1, v1, v6 :: v_dual_lshlrev_b32 v4, 2, v5
	v_xor_b32_e32 v6, 2, v0
	ds_bpermute_b32 v5, v4, v1
	v_cmp_gt_i32_e32 vcc_lo, 32, v6
	s_waitcnt lgkmcnt(0)
	v_dual_cndmask_b32 v6, v0, v6 :: v_dual_max_f32 v5, v5, v5
	s_delay_alu instid0(VALU_DEP_1) | instskip(SKIP_1) | instid1(VALU_DEP_1)
	v_lshlrev_b32_e32 v34, 2, v6
	v_xor_b32_e32 v6, 1, v0
	v_cmp_gt_i32_e32 vcc_lo, 32, v6
	s_delay_alu instid0(VALU_DEP_4) | instskip(SKIP_4) | instid1(VALU_DEP_1)
	v_dual_max_f32 v1, v1, v5 :: v_dual_cndmask_b32 v6, v0, v6
	ds_bpermute_b32 v5, v34, v1
	v_lshlrev_b32_e32 v113, 2, v6
	s_waitcnt lgkmcnt(0)
	v_max_f32_e32 v5, v5, v5
	v_max_f32_e32 v0, v1, v5
	scratch_load_b32 v5, off, s32 offset:1704 ; 4-byte Folded Reload
	ds_bpermute_b32 v1, v113, v0
	s_waitcnt vmcnt(0)
	v_cmp_eq_u32_e32 vcc_lo, 0, v5
	scratch_load_b32 v5, off, s32 offset:1708 ; 4-byte Folded Reload
	s_waitcnt vmcnt(0)
	v_lshlrev_b32_e32 v5, 2, v5
	s_and_saveexec_b32 s2, vcc_lo
	s_cbranch_execz .LBB468_3083
; %bb.3082:
	s_waitcnt lgkmcnt(0)
	v_dual_max_f32 v1, v1, v1 :: v_dual_max_f32 v0, v0, v0
	s_delay_alu instid0(VALU_DEP_1)
	v_max_f32_e32 v0, v0, v1
	ds_store_b32 v5, v0 offset:512
.LBB468_3083:
	s_or_b32 exec_lo, exec_lo, s2
	scratch_load_b32 v0, off, s32 offset:1704 ; 4-byte Folded Reload
	s_waitcnt vmcnt(0) lgkmcnt(0)
	s_waitcnt_vscnt null, 0x0
	s_barrier
	buffer_gl0_inv
	v_cmp_gt_u32_e64 s2, 4, v0
	v_mov_b32_e32 v0, 0xff7fffff
	s_delay_alu instid0(VALU_DEP_2)
	s_and_saveexec_b32 s3, s2
	s_cbranch_execz .LBB468_3085
; %bb.3084:
	ds_load_b32 v0, v29 offset:512
.LBB468_3085:
	s_or_b32 exec_lo, exec_lo, s3
	scratch_load_b32 v6, off, s32 offset:324 ; 4-byte Folded Reload
	s_waitcnt lgkmcnt(0)
	ds_bpermute_b32 v1, v34, v0
	s_waitcnt lgkmcnt(0)
	v_dual_max_f32 v0, v0, v0 :: v_dual_max_f32 v1, v1, v1
	s_delay_alu instid0(VALU_DEP_1)
	v_max_f32_e32 v0, v0, v1
	ds_bpermute_b32 v1, v113, v0
	s_waitcnt lgkmcnt(0)
	v_max_f32_e32 v1, v1, v1
	s_waitcnt vmcnt(0)
	v_subrev_nc_u32_e32 v7, s8, v6
	v_mov_b32_e32 v6, 0
	s_delay_alu instid0(VALU_DEP_3) | instskip(NEXT) | instid1(VALU_DEP_3)
	v_max_f32_e32 v0, v0, v1
	v_lshl_add_u32 v1, v7, 5, s6
	ds_bpermute_b32 v0, v6, v0
	v_min_i32_e32 v1, v1, v37
	s_delay_alu instid0(VALU_DEP_1) | instskip(NEXT) | instid1(VALU_DEP_1)
	v_subrev_nc_u32_e32 v1, s6, v1
	v_cmp_lt_i32_e64 s3, v12, v1
	s_delay_alu instid0(VALU_DEP_1)
	s_and_saveexec_b32 s8, s3
	s_cbranch_execz .LBB468_3089
; %bb.3086:
	s_getpc_b64 s[22:23]
	s_add_u32 s22, s22, llvm.amdgcn.dynlds.offset.table@rel32@lo+4
	s_addc_u32 s23, s23, llvm.amdgcn.dynlds.offset.table@rel32@hi+12
	s_ashr_i32 s19, s18, 31
	v_mov_b32_e32 v6, 0
	s_lshl_b64 s[24:25], s[18:19], 2
	v_mov_b32_e32 v8, v12
	s_add_u32 s22, s24, s22
	s_addc_u32 s23, s25, s23
	s_mov_b32 s9, 0
	s_load_b32 s4, s[22:23], 0x0
	s_waitcnt lgkmcnt(0)
	v_lshl_add_u32 v7, v12, 2, s4
	.p2align	6
.LBB468_3087:                           ; =>This Inner Loop Header: Depth=1
	ds_load_b32 v9, v7
	v_add_nc_u32_e32 v8, 0x80, v8
	s_delay_alu instid0(VALU_DEP_1) | instskip(NEXT) | instid1(VALU_DEP_1)
	v_cmp_ge_i32_e64 s4, v8, v1
	s_or_b32 s9, s4, s9
	s_waitcnt lgkmcnt(0)
	v_sub_f32_e32 v9, v9, v0
	s_delay_alu instid0(VALU_DEP_1) | instskip(NEXT) | instid1(VALU_DEP_1)
	v_mul_f32_e32 v9, 0x3fb8aa3b, v9
	v_exp_f32_e32 v9, v9
	ds_store_b32 v7, v9
	v_dual_add_f32 v6, v6, v9 :: v_dual_add_nc_u32 v7, 0x200, v7
	s_and_not1_b32 exec_lo, exec_lo, s9
	s_cbranch_execnz .LBB468_3087
; %bb.3088:
	s_or_b32 exec_lo, exec_lo, s9
.LBB468_3089:
	s_delay_alu instid0(SALU_CYCLE_1)
	s_or_b32 exec_lo, exec_lo, s8
	ds_bpermute_b32 v2, v2, v6
	s_waitcnt lgkmcnt(0)
	v_add_f32_e32 v2, v6, v2
	ds_bpermute_b32 v3, v3, v2
	s_waitcnt lgkmcnt(0)
	v_add_f32_e32 v2, v2, v3
	;; [unrolled: 3-line block ×5, first 2 shown]
	s_and_saveexec_b32 s4, vcc_lo
	s_cbranch_execz .LBB468_3091
; %bb.3090:
	ds_store_b32 v5, v2 offset:528
.LBB468_3091:
	s_or_b32 exec_lo, exec_lo, s4
	s_waitcnt lgkmcnt(0)
	s_barrier
	buffer_gl0_inv
	s_and_saveexec_b32 s4, s2
	s_cbranch_execz .LBB468_3093
; %bb.3092:
	ds_load_b32 v2, v29 offset:528
.LBB468_3093:
	s_or_b32 exec_lo, exec_lo, s4
	s_waitcnt lgkmcnt(0)
	ds_bpermute_b32 v3, v34, v2
	s_waitcnt lgkmcnt(0)
	v_add_f32_e32 v2, v2, v3
	ds_bpermute_b32 v3, v113, v2
	s_waitcnt lgkmcnt(0)
	v_dual_add_f32 v2, v2, v3 :: v_dual_mov_b32 v3, 0
	ds_bpermute_b32 v2, v3, v2
	s_and_saveexec_b32 s2, s3
	s_cbranch_execz .LBB468_3096
; %bb.3094:
	s_waitcnt lgkmcnt(0)
	v_add_f32_e32 v4, 0x358637bd, v2
	s_getpc_b64 s[8:9]
	s_add_u32 s8, s8, llvm.amdgcn.dynlds.offset.table@rel32@lo+4
	s_addc_u32 s9, s9, llvm.amdgcn.dynlds.offset.table@rel32@hi+12
	s_ashr_i32 s19, s18, 31
	s_delay_alu instid0(SALU_CYCLE_1) | instskip(SKIP_4) | instid1(VALU_DEP_1)
	s_lshl_b64 s[22:23], s[18:19], 2
	v_div_scale_f32 v3, null, v4, v4, 1.0
	s_add_u32 s8, s22, s8
	s_addc_u32 s9, s23, s9
	s_load_b32 s3, s[8:9], 0x0
	v_rcp_f32_e32 v5, v3
	s_waitcnt_depctr 0xfff
	v_fma_f32 v6, -v3, v5, 1.0
	s_delay_alu instid0(VALU_DEP_1) | instskip(SKIP_1) | instid1(VALU_DEP_1)
	v_fmac_f32_e32 v5, v6, v5
	v_div_scale_f32 v7, vcc_lo, 1.0, v4, 1.0
	v_mul_f32_e32 v6, v7, v5
	s_delay_alu instid0(VALU_DEP_1) | instskip(NEXT) | instid1(VALU_DEP_1)
	v_fma_f32 v8, -v3, v6, v7
	v_fmac_f32_e32 v6, v8, v5
	s_delay_alu instid0(VALU_DEP_1) | instskip(NEXT) | instid1(VALU_DEP_1)
	v_fma_f32 v3, -v3, v6, v7
	v_div_fmas_f32 v5, v3, v5, v6
	s_waitcnt lgkmcnt(0)
	v_lshl_add_u32 v3, v12, 2, s3
	s_mov_b32 s3, 0
	s_delay_alu instid0(VALU_DEP_2)
	v_div_fixup_f32 v4, v5, v4, 1.0
	v_mov_b32_e32 v5, v12
.LBB468_3095:                           ; =>This Inner Loop Header: Depth=1
	ds_load_b32 v6, v3
	s_waitcnt lgkmcnt(0)
	v_dual_mul_f32 v6, v4, v6 :: v_dual_add_nc_u32 v5, 0x80, v5
	s_delay_alu instid0(VALU_DEP_1) | instskip(SKIP_3) | instid1(SALU_CYCLE_1)
	v_cmp_ge_i32_e32 vcc_lo, v5, v1
	ds_store_b32 v3, v6
	v_add_nc_u32_e32 v3, 0x200, v3
	s_or_b32 s3, vcc_lo, s3
	s_and_not1_b32 exec_lo, exec_lo, s3
	s_cbranch_execnz .LBB468_3095
.LBB468_3096:
	s_or_b32 exec_lo, exec_lo, s2
	v_cmp_ne_u16_e64 s2, s5, 0
	s_waitcnt lgkmcnt(0)
	s_barrier
	buffer_gl0_inv
	s_cmp_lg_u32 s2, 0
	s_mov_b32 s2, exec_lo
	s_addc_u32 s17, s7, 0
	v_cmpx_eq_u32_e32 0, v12
	s_cbranch_execz .LBB468_3098
; %bb.3097:
	s_mul_i32 s3, s17, s10
	s_mul_i32 s4, s17, s12
	;; [unrolled: 1-line block ×3, first 2 shown]
	s_ashr_i32 s5, s4, 31
	s_ashr_i32 s15, s14, 31
	;; [unrolled: 1-line block ×3, first 2 shown]
	s_lshl_b64 s[4:5], s[4:5], 2
	s_lshl_b64 s[12:13], s[14:15], 2
	;; [unrolled: 1-line block ×3, first 2 shown]
	s_add_u32 s3, s12, s4
	s_addc_u32 s4, s13, s5
	s_add_u32 s3, s3, s8
	s_addc_u32 s4, s4, s9
	v_add_co_u32 v3, vcc_lo, s3, v28
	v_add_co_ci_u32_e32 v4, vcc_lo, s4, v25, vcc_lo
	v_add_co_u32 v5, vcc_lo, s3, v24
	v_add_co_ci_u32_e32 v6, vcc_lo, s4, v22, vcc_lo
	flat_store_b32 v[3:4], v0
	flat_store_b32 v[5:6], v2
.LBB468_3098:
	s_or_b32 exec_lo, exec_lo, s2
                                        ; implicit-def: $sgpr2
	s_and_saveexec_b32 s3, s1
	s_delay_alu instid0(SALU_CYCLE_1)
	s_xor_b32 s1, exec_lo, s3
; %bb.3099:
	s_ashr_i32 s19, s18, 31
	s_mov_b32 s2, 0
                                        ; implicit-def: $vgpr0
                                        ; implicit-def: $vgpr37
                                        ; implicit-def: $vgpr13
                                        ; kill: killed $vgpr0
                                        ; implicit-def: $vgpr16
                                        ; implicit-def: $vgpr10
                                        ; implicit-def: $vgpr11
                                        ; implicit-def: $vgpr14
                                        ; implicit-def: $vgpr15
                                        ; implicit-def: $vgpr0
                                        ; kill: killed $vgpr0
                                        ; implicit-def: $vgpr26_vgpr27
                                        ; implicit-def: $vgpr85
                                        ; implicit-def: $vgpr86
                                        ; implicit-def: $vgpr35_vgpr36
                                        ; implicit-def: $vgpr18
; %bb.3100:
	s_or_saveexec_b32 s15, s1
	v_dual_mov_b32 v81, s2 :: v_dual_mov_b32 v0, s18
	v_dual_mov_b32 v1, s19 :: v_dual_and_b32 v114, 3, v12
	v_dual_mov_b32 v84, s2 :: v_dual_mov_b32 v83, s2
	v_dual_mov_b32 v82, s2 :: v_dual_mov_b32 v71, s2
	;; [unrolled: 1-line block ×15, first 2 shown]
	v_mov_b32_e32 v24, s2
	s_xor_b32 exec_lo, exec_lo, s15
	s_cbranch_execz .LBB468_7296
; %bb.3101:
	v_add_co_u32 v0, vcc_lo, v10, v85
	v_lshlrev_b32_e32 v2, 3, v12
	v_add_co_ci_u32_e32 v1, vcc_lo, v11, v86, vcc_lo
	s_clause 0x1
	scratch_store_b32 off, v34, s32 offset:888
	scratch_store_b32 off, v113, s32 offset:884
	s_getpc_b64 s[2:3]
	s_add_u32 s2, s2, llvm.amdgcn.dynlds.offset.table@rel32@lo+4
	s_addc_u32 s3, s3, llvm.amdgcn.dynlds.offset.table@rel32@hi+12
	v_mov_b32_e32 v21, 0
	scratch_store_b64 off, v[0:1], s32 offset:800 ; 8-byte Folded Spill
	v_dual_mov_b32 v25, 0 :: v_dual_add_nc_u32 v0, -1, v13
	v_dual_mov_b32 v13, 0 :: v_dual_and_b32 v4, 0xf8, v2
	s_ashr_i32 s19, s18, 31
	scratch_store_b32 off, v0, s32 offset:812 ; 4-byte Folded Spill
	s_lshl_b64 s[4:5], s[18:19], 2
	flat_load_b32 v26, v[26:27]
	v_or_b32_e32 v0, 0x1000, v4
	v_or_b32_e32 v5, 0x1d00, v4
	s_add_u32 s2, s4, s2
	s_addc_u32 s3, s5, s3
	v_dual_mov_b32 v24, 0 :: v_dual_and_b32 v3, 24, v2
	scratch_store_b32 off, v0, s32 offset:816 ; 4-byte Folded Spill
	v_or_b32_e32 v0, 0x1100, v4
	s_load_b32 s1, s[2:3], 0x0
	v_or_b32_e32 v2, 0x1f00, v2
	v_add3_u32 v117, s6, v18, v3
	v_dual_mov_b32 v28, 0 :: v_dual_mov_b32 v33, 0
	scratch_store_b32 off, v0, s32 offset:820 ; 4-byte Folded Spill
	v_or_b32_e32 v0, 0x1200, v4
	v_dual_mov_b32 v30, 0 :: v_dual_mov_b32 v39, 0
	v_dual_mov_b32 v32, 0 :: v_dual_mov_b32 v49, 0
	scratch_store_b32 off, v0, s32 offset:824 ; 4-byte Folded Spill
	v_or_b32_e32 v0, 0x1300, v4
	v_dual_mov_b32 v38, 0 :: v_dual_mov_b32 v51, 0
	;; [unrolled: 4-line block ×6, first 2 shown]
	v_mov_b32_e32 v80, 0
	v_mov_b32_e32 v82, 0
	scratch_store_b32 off, v0, s32 offset:844 ; 4-byte Folded Spill
	v_or_b32_e32 v0, 0x1800, v4
	v_mov_b32_e32 v84, 0
	s_mov_b32 s12, -1
	s_mov_b32 s13, 0xffffff
	s_mov_b32 s21, 0
	scratch_store_b32 off, v0, s32 offset:848 ; 4-byte Folded Spill
	v_or_b32_e32 v0, 0x1900, v4
	v_mov_b32_e32 v29, 0
	v_mov_b32_e32 v31, 0
	scratch_store_b32 off, v0, s32 offset:852 ; 4-byte Folded Spill
	v_or_b32_e32 v0, 0x1a00, v4
	scratch_store_b32 off, v0, s32 offset:856 ; 4-byte Folded Spill
	v_or_b32_e32 v0, 0x1b00, v4
	;; [unrolled: 2-line block ×3, first 2 shown]
	s_clause 0x2
	scratch_store_b32 off, v0, s32 offset:864
	scratch_store_b32 off, v5, s32 offset:868
	scratch_store_b32 off, v4, s32 offset:808
	v_or_b32_e32 v4, 0x1e00, v4
	v_lshlrev_b64 v[0:1], 2, v[16:17]
	s_clause 0x2
	scratch_store_b32 off, v4, s32 offset:872
	scratch_store_b32 off, v2, s32 offset:876
	;; [unrolled: 1-line block ×3, first 2 shown]
	scratch_load_b32 v4, off, s32 offset:1708 ; 4-byte Folded Reload
	v_lshlrev_b32_e32 v2, 5, v114
	v_add_co_u32 v0, vcc_lo, v35, v0
	v_add_co_ci_u32_e32 v1, vcc_lo, v36, v1, vcc_lo
	s_delay_alu instid0(VALU_DEP_2) | instskip(NEXT) | instid1(VALU_DEP_2)
	v_add_co_u32 v14, vcc_lo, v14, v0
	v_add_co_ci_u32_e32 v15, vcc_lo, v15, v1, vcc_lo
	s_waitcnt vmcnt(0)
	v_lshl_or_b32 v2, v4, 7, v2
	s_waitcnt lgkmcnt(0)
	s_delay_alu instid0(VALU_DEP_1)
	v_add_nc_u32_e32 v118, s1, v2
	s_branch .LBB468_3103
.LBB468_3102:                           ;   in Loop: Header=BB468_3103 Depth=1
	s_or_b32 exec_lo, exec_lo, s1
	v_and_b32_e32 v85, 0xffff0000, v188
	v_and_b32_e32 v87, 0xffff0000, v186
	;; [unrolled: 1-line block ×8, first 2 shown]
	s_delay_alu instid0(VALU_DEP_4) | instskip(SKIP_1) | instid1(VALU_DEP_3)
	v_dual_add_f32 v87, v96, v87 :: v_dual_and_b32 v34, 0xffff0000, v34
	v_and_b32_e32 v86, 0xffff0000, v187
	v_dual_add_f32 v4, v4, v5 :: v_dual_and_b32 v35, 0xffff0000, v35
	v_and_b32_e32 v96, 0xffff0000, v175
	v_and_b32_e32 v1, 0xffff0000, v1
	s_delay_alu instid0(VALU_DEP_4) | instskip(SKIP_2) | instid1(VALU_DEP_3)
	v_dual_add_f32 v85, v86, v85 :: v_dual_and_b32 v86, 0xffff0000, v170
	v_and_b32_e32 v0, 0xffff0000, v0
	v_and_b32_e32 v3, 0xffff0000, v3
	v_dual_add_f32 v85, v87, v85 :: v_dual_and_b32 v2, 0xffff0000, v2
	v_and_b32_e32 v9, 0xffff0000, v189
	s_delay_alu instid0(VALU_DEP_4) | instskip(SKIP_2) | instid1(VALU_DEP_4)
	v_dual_add_f32 v5, v34, v35 :: v_dual_add_f32 v0, v0, v1
	v_and_b32_e32 v17, 0xffff0000, v17
	v_and_b32_e32 v36, 0xffff0000, v36
	v_dual_add_f32 v8, v9, v8 :: v_dual_add_f32 v9, v160, v18
	v_and_b32_e32 v18, 0xffff0000, v172
	v_and_b32_e32 v87, 0xffff0000, v169
	;; [unrolled: 1-line block ×3, first 2 shown]
	s_delay_alu instid0(VALU_DEP_4) | instskip(SKIP_1) | instid1(VALU_DEP_4)
	v_dual_add_f32 v8, v85, v8 :: v_dual_and_b32 v85, 0xffff0000, v171
	v_and_b32_e32 v34, 0xffff0000, v94
	v_add_f32_e32 v86, v87, v86
	v_and_b32_e32 v22, 0xffff0000, v22
	s_delay_alu instid0(VALU_DEP_4) | instskip(SKIP_2) | instid1(VALU_DEP_3)
	v_add_f32_e32 v8, v8, v9
	v_dual_add_f32 v18, v85, v18 :: v_dual_and_b32 v9, 0xffff0000, v173
	v_add_nc_u32_e32 v16, 4, v16
	v_dual_add_f32 v24, v24, v8 :: v_dual_and_b32 v85, 0xffff0000, v155
	v_and_b32_e32 v8, 0xffff0000, v174
	s_delay_alu instid0(VALU_DEP_4) | instskip(SKIP_2) | instid1(VALU_DEP_4)
	v_add_f32_e32 v18, v86, v18
	v_and_b32_e32 v86, 0xffff0000, v154
	v_and_b32_e32 v87, 0xffff0000, v153
	v_dual_add_f32 v1, v2, v3 :: v_dual_add_f32 v8, v9, v8
	v_dual_add_f32 v9, v96, v160 :: v_dual_and_b32 v96, 0xffff0000, v159
	s_delay_alu instid0(VALU_DEP_3) | instskip(SKIP_1) | instid1(VALU_DEP_4)
	v_add_f32_e32 v86, v87, v86
	v_and_b32_e32 v160, 0xffff0000, v168
	v_add_f32_e32 v8, v18, v8
	v_and_b32_e32 v18, 0xffff0000, v156
	v_and_b32_e32 v87, 0xffff0000, v137
	v_add_f32_e32 v0, v0, v1
	v_add_co_u32 v14, vcc_lo, v14, 16
	v_add_f32_e32 v8, v8, v9
	v_dual_add_f32 v18, v85, v18 :: v_dual_and_b32 v9, 0xffff0000, v157
	v_and_b32_e32 v85, 0xffff0000, v139
	v_add_co_ci_u32_e32 v15, vcc_lo, 0, v15, vcc_lo
	s_delay_alu instid0(VALU_DEP_4) | instskip(NEXT) | instid1(VALU_DEP_4)
	v_dual_add_f32 v25, v25, v8 :: v_dual_and_b32 v8, 0xffff0000, v158
	v_add_f32_e32 v18, v86, v18
	v_and_b32_e32 v86, 0xffff0000, v138
	v_add_nc_u32_e32 v118, 0x200, v118
	v_and_b32_e32 v35, 0xffff0000, v108
	v_add_f32_e32 v8, v9, v8
	s_delay_alu instid0(VALU_DEP_4) | instskip(SKIP_2) | instid1(VALU_DEP_4)
	v_dual_add_f32 v9, v96, v160 :: v_dual_add_f32 v86, v87, v86
	v_and_b32_e32 v87, 0xffff0000, v127
	v_and_b32_e32 v96, 0xffff0000, v143
	v_add_f32_e32 v8, v18, v8
	v_and_b32_e32 v18, 0xffff0000, v140
	v_and_b32_e32 v160, 0xffff0000, v152
	v_add_nc_u32_e32 v117, 0x80, v117
	s_delay_alu instid0(VALU_DEP_4) | instskip(NEXT) | instid1(VALU_DEP_4)
	v_add_f32_e32 v8, v8, v9
	v_dual_add_f32 v18, v85, v18 :: v_dual_and_b32 v9, 0xffff0000, v141
	s_delay_alu instid0(VALU_DEP_2) | instskip(SKIP_1) | instid1(VALU_DEP_3)
	v_dual_add_f32 v28, v28, v8 :: v_dual_and_b32 v85, 0xffff0000, v123
	v_and_b32_e32 v8, 0xffff0000, v142
	v_add_f32_e32 v18, v86, v18
	v_and_b32_e32 v86, 0xffff0000, v122
	s_delay_alu instid0(VALU_DEP_3) | instskip(SKIP_1) | instid1(VALU_DEP_3)
	v_add_f32_e32 v8, v9, v8
	v_add_f32_e32 v9, v96, v160
	;; [unrolled: 1-line block ×3, first 2 shown]
	v_and_b32_e32 v96, 0xffff0000, v136
	s_delay_alu instid0(VALU_DEP_4) | instskip(SKIP_1) | instid1(VALU_DEP_2)
	v_add_f32_e32 v8, v18, v8
	v_and_b32_e32 v18, 0xffff0000, v124
	v_add_f32_e32 v8, v8, v9
	s_delay_alu instid0(VALU_DEP_2) | instskip(NEXT) | instid1(VALU_DEP_2)
	v_dual_add_f32 v18, v85, v18 :: v_dual_and_b32 v9, 0xffff0000, v125
	v_dual_add_f32 v29, v29, v8 :: v_dual_and_b32 v8, 0xffff0000, v126
	s_delay_alu instid0(VALU_DEP_2) | instskip(SKIP_1) | instid1(VALU_DEP_3)
	v_add_f32_e32 v18, v36, v18
	v_and_b32_e32 v36, 0xffff0000, v110
	v_add_f32_e32 v8, v9, v8
	v_add_f32_e32 v9, v87, v96
	s_delay_alu instid0(VALU_DEP_2) | instskip(SKIP_1) | instid1(VALU_DEP_2)
	v_add_f32_e32 v8, v18, v8
	v_and_b32_e32 v18, 0xffff0000, v111
	v_dual_add_f32 v8, v8, v9 :: v_dual_and_b32 v9, 0xffff0000, v120
	s_delay_alu instid0(VALU_DEP_2) | instskip(SKIP_1) | instid1(VALU_DEP_3)
	v_add_f32_e32 v18, v36, v18
	v_and_b32_e32 v36, 0xffff0000, v109
	v_add_f32_e32 v30, v30, v8
	v_and_b32_e32 v8, 0xffff0000, v121
	s_delay_alu instid0(VALU_DEP_1) | instskip(SKIP_1) | instid1(VALU_DEP_2)
	v_add_f32_e32 v8, v9, v8
	v_and_b32_e32 v9, 0xffff0000, v104
	v_add_f32_e32 v8, v18, v8
	v_and_b32_e32 v18, 0xffff0000, v95
	s_delay_alu instid0(VALU_DEP_2) | instskip(SKIP_1) | instid1(VALU_DEP_3)
	v_add_f32_e32 v4, v8, v4
	v_and_b32_e32 v8, 0xffff0000, v105
	v_add_f32_e32 v18, v34, v18
	v_and_b32_e32 v34, 0xffff0000, v78
	s_delay_alu instid0(VALU_DEP_4) | instskip(NEXT) | instid1(VALU_DEP_4)
	v_dual_add_f32 v4, v4, v5 :: v_dual_and_b32 v5, 0xffff0000, v106
	v_add_f32_e32 v8, v9, v8
	v_and_b32_e32 v9, 0xffff0000, v88
	s_delay_alu instid0(VALU_DEP_3) | instskip(NEXT) | instid1(VALU_DEP_3)
	v_dual_add_f32 v31, v31, v4 :: v_dual_and_b32 v4, 0xffff0000, v107
	v_add_f32_e32 v8, v18, v8
	v_and_b32_e32 v18, 0xffff0000, v79
	s_delay_alu instid0(VALU_DEP_3) | instskip(NEXT) | instid1(VALU_DEP_2)
	v_add_f32_e32 v4, v5, v4
	v_dual_add_f32 v5, v35, v36 :: v_dual_add_f32 v18, v34, v18
	v_and_b32_e32 v35, 0xffff0000, v92
	v_and_b32_e32 v36, 0xffff0000, v93
	s_delay_alu instid0(VALU_DEP_4) | instskip(SKIP_2) | instid1(VALU_DEP_3)
	v_add_f32_e32 v4, v8, v4
	v_and_b32_e32 v8, 0xffff0000, v89
	v_and_b32_e32 v34, 0xffff0000, v62
	v_dual_add_f32 v4, v4, v5 :: v_dual_and_b32 v5, 0xffff0000, v90
	s_delay_alu instid0(VALU_DEP_3) | instskip(SKIP_1) | instid1(VALU_DEP_3)
	v_add_f32_e32 v8, v9, v8
	v_and_b32_e32 v9, 0xffff0000, v72
	v_add_f32_e32 v32, v32, v4
	v_and_b32_e32 v4, 0xffff0000, v91
	s_delay_alu instid0(VALU_DEP_4) | instskip(SKIP_1) | instid1(VALU_DEP_3)
	v_add_f32_e32 v8, v18, v8
	v_and_b32_e32 v18, 0xffff0000, v63
	v_add_f32_e32 v4, v5, v4
	s_delay_alu instid0(VALU_DEP_2) | instskip(SKIP_2) | instid1(VALU_DEP_4)
	v_dual_add_f32 v5, v35, v36 :: v_dual_add_f32 v18, v34, v18
	v_and_b32_e32 v35, 0xffff0000, v76
	v_and_b32_e32 v36, 0xffff0000, v77
	v_add_f32_e32 v4, v8, v4
	v_and_b32_e32 v8, 0xffff0000, v73
	v_and_b32_e32 v34, 0xffff0000, v46
	s_delay_alu instid0(VALU_DEP_3) | instskip(NEXT) | instid1(VALU_DEP_3)
	v_dual_add_f32 v4, v4, v5 :: v_dual_and_b32 v5, 0xffff0000, v74
	v_add_f32_e32 v8, v9, v8
	v_and_b32_e32 v9, 0xffff0000, v56
	s_delay_alu instid0(VALU_DEP_3) | instskip(NEXT) | instid1(VALU_DEP_3)
	v_dual_add_f32 v33, v33, v4 :: v_dual_and_b32 v4, 0xffff0000, v75
	v_add_f32_e32 v8, v18, v8
	v_and_b32_e32 v18, 0xffff0000, v47
	s_delay_alu instid0(VALU_DEP_3) | instskip(NEXT) | instid1(VALU_DEP_2)
	v_add_f32_e32 v4, v5, v4
	v_dual_add_f32 v5, v35, v36 :: v_dual_add_f32 v18, v34, v18
	v_and_b32_e32 v35, 0xffff0000, v60
	v_and_b32_e32 v36, 0xffff0000, v61
	s_delay_alu instid0(VALU_DEP_4) | instskip(SKIP_2) | instid1(VALU_DEP_3)
	v_add_f32_e32 v4, v8, v4
	v_and_b32_e32 v8, 0xffff0000, v57
	v_and_b32_e32 v34, 0xffff0000, v182
	v_dual_add_f32 v4, v4, v5 :: v_dual_and_b32 v5, 0xffff0000, v58
	s_delay_alu instid0(VALU_DEP_3) | instskip(SKIP_1) | instid1(VALU_DEP_3)
	v_add_f32_e32 v8, v9, v8
	v_and_b32_e32 v9, 0xffff0000, v40
	v_add_f32_e32 v38, v38, v4
	v_and_b32_e32 v4, 0xffff0000, v59
	s_delay_alu instid0(VALU_DEP_4) | instskip(SKIP_1) | instid1(VALU_DEP_3)
	v_add_f32_e32 v8, v18, v8
	v_and_b32_e32 v18, 0xffff0000, v183
	v_add_f32_e32 v4, v5, v4
	s_delay_alu instid0(VALU_DEP_2) | instskip(SKIP_2) | instid1(VALU_DEP_4)
	v_dual_add_f32 v5, v35, v36 :: v_dual_add_f32 v18, v34, v18
	v_and_b32_e32 v35, 0xffff0000, v44
	v_and_b32_e32 v36, 0xffff0000, v45
	v_add_f32_e32 v4, v8, v4
	v_and_b32_e32 v8, 0xffff0000, v41
	v_and_b32_e32 v34, 0xffff0000, v150
	s_delay_alu instid0(VALU_DEP_3) | instskip(NEXT) | instid1(VALU_DEP_3)
	;; [unrolled: 34-line block ×3, first 2 shown]
	v_dual_add_f32 v4, v4, v5 :: v_dual_and_b32 v5, 0xffff0000, v146
	v_add_f32_e32 v8, v9, v8
	v_and_b32_e32 v9, 0xffff0000, v128
	s_delay_alu instid0(VALU_DEP_3) | instskip(NEXT) | instid1(VALU_DEP_3)
	v_dual_add_f32 v49, v49, v4 :: v_dual_and_b32 v4, 0xffff0000, v147
	v_add_f32_e32 v8, v18, v8
	v_and_b32_e32 v18, 0xffff0000, v119
	s_delay_alu instid0(VALU_DEP_3) | instskip(NEXT) | instid1(VALU_DEP_2)
	v_add_f32_e32 v4, v5, v4
	v_dual_add_f32 v5, v35, v36 :: v_dual_add_f32 v18, v22, v18
	s_delay_alu instid0(VALU_DEP_2) | instskip(SKIP_1) | instid1(VALU_DEP_2)
	v_dual_add_f32 v4, v8, v4 :: v_dual_and_b32 v35, 0xffff0000, v133
	v_and_b32_e32 v8, 0xffff0000, v129
	v_dual_add_f32 v4, v4, v5 :: v_dual_and_b32 v5, 0xffff0000, v130
	s_delay_alu instid0(VALU_DEP_2) | instskip(NEXT) | instid1(VALU_DEP_2)
	v_dual_add_f32 v8, v9, v8 :: v_dual_and_b32 v9, 0xffff0000, v27
	v_add_f32_e32 v50, v50, v4
	v_and_b32_e32 v4, 0xffff0000, v131
	s_delay_alu instid0(VALU_DEP_3) | instskip(SKIP_1) | instid1(VALU_DEP_3)
	v_add_f32_e32 v8, v18, v8
	v_and_b32_e32 v18, 0xffff0000, v20
	v_dual_add_f32 v4, v5, v4 :: v_dual_add_f32 v5, v34, v35
	s_delay_alu instid0(VALU_DEP_1) | instskip(SKIP_2) | instid1(VALU_DEP_3)
	v_add_f32_e32 v4, v8, v4
	v_and_b32_e32 v8, 0xffff0000, v10
	v_and_b32_e32 v10, 0xffff0000, v116
	v_dual_add_f32 v4, v4, v5 :: v_dual_and_b32 v5, 0xffff0000, v11
	s_delay_alu instid0(VALU_DEP_3) | instskip(SKIP_1) | instid1(VALU_DEP_3)
	v_dual_add_f32 v8, v9, v8 :: v_dual_and_b32 v11, 0xffff0000, v115
	v_and_b32_e32 v9, 0xffff0000, v102
	v_dual_add_f32 v51, v51, v4 :: v_dual_and_b32 v4, 0xffff0000, v19
	s_delay_alu instid0(VALU_DEP_3) | instskip(SKIP_1) | instid1(VALU_DEP_3)
	v_dual_add_f32 v10, v11, v10 :: v_dual_and_b32 v19, 0xffff0000, v23
	v_and_b32_e32 v11, 0xffff0000, v100
	v_add_f32_e32 v4, v5, v4
	s_delay_alu instid0(VALU_DEP_3) | instskip(NEXT) | instid1(VALU_DEP_4)
	v_add_f32_e32 v8, v10, v8
	v_dual_add_f32 v5, v18, v19 :: v_dual_and_b32 v10, 0xffff0000, v101
	v_and_b32_e32 v18, 0xffff0000, v114
	s_delay_alu instid0(VALU_DEP_3) | instskip(SKIP_1) | instid1(VALU_DEP_4)
	v_add_f32_e32 v4, v8, v4
	v_and_b32_e32 v8, 0xffff0000, v103
	v_add_f32_e32 v10, v11, v10
	scratch_load_b32 v11, off, s32 offset:780 ; 4-byte Folded Reload
	v_dual_add_f32 v4, v4, v5 :: v_dual_and_b32 v5, 0xffff0000, v112
	v_add_f32_e32 v8, v9, v8
	scratch_load_b32 v9, off, s32 offset:788 ; 4-byte Folded Reload
	v_add_f32_e32 v52, v52, v4
	v_and_b32_e32 v4, 0xffff0000, v113
	v_add_f32_e32 v8, v10, v8
	scratch_load_b32 v10, off, s32 offset:784 ; 4-byte Folded Reload
	v_dual_add_f32 v4, v5, v4 :: v_dual_add_f32 v5, v18, v17
	v_and_b32_e32 v17, 0xffff0000, v98
	v_and_b32_e32 v18, 0xffff0000, v99
	s_delay_alu instid0(VALU_DEP_3)
	v_add_f32_e32 v4, v8, v4
	scratch_load_b32 v8, off, s32 offset:792 ; 4-byte Folded Reload
	v_add_f32_e32 v4, v4, v5
	scratch_load_b32 v5, off, s32 offset:796 ; 4-byte Folded Reload
	v_dual_add_f32 v53, v53, v4 :: v_dual_and_b32 v4, 0xffff0000, v97
	s_waitcnt vmcnt(4)
	v_and_b32_e32 v11, 0xffff0000, v11
	s_waitcnt vmcnt(3)
	v_and_b32_e32 v9, 0xffff0000, v9
	;; [unrolled: 2-line block ×3, first 2 shown]
	s_delay_alu instid0(VALU_DEP_1) | instskip(SKIP_4) | instid1(VALU_DEP_1)
	v_add_f32_e32 v10, v11, v10
	scratch_load_b32 v11, off, s32 offset:748 ; 4-byte Folded Reload
	s_waitcnt vmcnt(2)
	v_and_b32_e32 v8, 0xffff0000, v8
	s_waitcnt vmcnt(1)
	v_dual_add_f32 v8, v9, v8 :: v_dual_and_b32 v5, 0xffff0000, v5
	scratch_load_b32 v9, off, s32 offset:756 ; 4-byte Folded Reload
	v_add_f32_e32 v4, v5, v4
	v_dual_add_f32 v8, v10, v8 :: v_dual_add_f32 v5, v17, v18
	s_clause 0x2
	scratch_load_b32 v10, off, s32 offset:752
	scratch_load_b32 v17, off, s32 offset:772
	;; [unrolled: 1-line block ×3, first 2 shown]
	v_add_f32_e32 v4, v8, v4
	scratch_load_b32 v8, off, s32 offset:760 ; 4-byte Folded Reload
	v_add_f32_e32 v4, v4, v5
	scratch_load_b32 v5, off, s32 offset:764 ; 4-byte Folded Reload
	v_add_f32_e32 v54, v54, v4
	scratch_load_b32 v4, off, s32 offset:768 ; 4-byte Folded Reload
	s_waitcnt vmcnt(7)
	v_and_b32_e32 v11, 0xffff0000, v11
	s_waitcnt vmcnt(6)
	v_and_b32_e32 v9, 0xffff0000, v9
	;; [unrolled: 2-line block ×6, first 2 shown]
	v_add_f32_e32 v10, v11, v10
	scratch_load_b32 v11, off, s32 offset:716 ; 4-byte Folded Reload
	s_waitcnt vmcnt(2)
	v_dual_add_f32 v8, v9, v8 :: v_dual_and_b32 v5, 0xffff0000, v5
	scratch_load_b32 v9, off, s32 offset:724 ; 4-byte Folded Reload
	s_waitcnt vmcnt(2)
	v_and_b32_e32 v4, 0xffff0000, v4
	v_add_f32_e32 v8, v10, v8
	scratch_load_b32 v10, off, s32 offset:720 ; 4-byte Folded Reload
	v_add_f32_e32 v4, v5, v4
	v_add_f32_e32 v5, v17, v18
	s_clause 0x1
	scratch_load_b32 v17, off, s32 offset:740
	scratch_load_b32 v18, off, s32 offset:744
	v_add_f32_e32 v4, v8, v4
	scratch_load_b32 v8, off, s32 offset:728 ; 4-byte Folded Reload
	v_add_f32_e32 v4, v4, v5
	scratch_load_b32 v5, off, s32 offset:732 ; 4-byte Folded Reload
	;; [unrolled: 2-line block ×3, first 2 shown]
	s_waitcnt vmcnt(7)
	v_and_b32_e32 v11, 0xffff0000, v11
	s_waitcnt vmcnt(6)
	v_and_b32_e32 v9, 0xffff0000, v9
	;; [unrolled: 2-line block ×3, first 2 shown]
	s_waitcnt vmcnt(4)
	s_delay_alu instid0(VALU_DEP_1)
	v_dual_add_f32 v10, v11, v10 :: v_dual_and_b32 v17, 0xffff0000, v17
	s_waitcnt vmcnt(3)
	v_and_b32_e32 v18, 0xffff0000, v18
	scratch_load_b32 v11, off, s32 offset:684 ; 4-byte Folded Reload
	s_waitcnt vmcnt(3)
	v_and_b32_e32 v8, 0xffff0000, v8
	s_waitcnt vmcnt(2)
	s_delay_alu instid0(VALU_DEP_1)
	v_dual_add_f32 v8, v9, v8 :: v_dual_and_b32 v5, 0xffff0000, v5
	scratch_load_b32 v9, off, s32 offset:692 ; 4-byte Folded Reload
	s_waitcnt vmcnt(2)
	v_and_b32_e32 v4, 0xffff0000, v4
	v_add_f32_e32 v8, v10, v8
	scratch_load_b32 v10, off, s32 offset:688 ; 4-byte Folded Reload
	v_add_f32_e32 v4, v5, v4
	v_add_f32_e32 v5, v17, v18
	s_clause 0x1
	scratch_load_b32 v17, off, s32 offset:708
	scratch_load_b32 v18, off, s32 offset:712
	v_add_f32_e32 v4, v8, v4
	scratch_load_b32 v8, off, s32 offset:696 ; 4-byte Folded Reload
	v_add_f32_e32 v4, v4, v5
	scratch_load_b32 v5, off, s32 offset:700 ; 4-byte Folded Reload
	v_add_f32_e32 v64, v64, v4
	scratch_load_b32 v4, off, s32 offset:704 ; 4-byte Folded Reload
	s_waitcnt vmcnt(7)
	v_and_b32_e32 v11, 0xffff0000, v11
	s_waitcnt vmcnt(6)
	v_and_b32_e32 v9, 0xffff0000, v9
	s_waitcnt vmcnt(5)
	v_and_b32_e32 v10, 0xffff0000, v10
	s_waitcnt vmcnt(4)
	v_and_b32_e32 v17, 0xffff0000, v17
	s_waitcnt vmcnt(3)
	v_and_b32_e32 v18, 0xffff0000, v18
	v_add_f32_e32 v10, v11, v10
	scratch_load_b32 v11, off, s32 offset:648 ; 4-byte Folded Reload
	s_waitcnt vmcnt(3)
	v_and_b32_e32 v8, 0xffff0000, v8
	s_waitcnt vmcnt(2)
	s_delay_alu instid0(VALU_DEP_1)
	v_dual_add_f32 v8, v9, v8 :: v_dual_and_b32 v5, 0xffff0000, v5
	scratch_load_b32 v9, off, s32 offset:660 ; 4-byte Folded Reload
	s_waitcnt vmcnt(2)
	v_and_b32_e32 v4, 0xffff0000, v4
	v_add_f32_e32 v8, v10, v8
	scratch_load_b32 v10, off, s32 offset:652 ; 4-byte Folded Reload
	v_add_f32_e32 v4, v5, v4
	v_add_f32_e32 v5, v17, v18
	s_clause 0x1
	scratch_load_b32 v17, off, s32 offset:676
	scratch_load_b32 v18, off, s32 offset:680
	v_add_f32_e32 v4, v8, v4
	scratch_load_b32 v8, off, s32 offset:664 ; 4-byte Folded Reload
	v_add_f32_e32 v4, v4, v5
	scratch_load_b32 v5, off, s32 offset:668 ; 4-byte Folded Reload
	v_add_f32_e32 v65, v65, v4
	scratch_load_b32 v4, off, s32 offset:672 ; 4-byte Folded Reload
	s_waitcnt vmcnt(7)
	v_and_b32_e32 v11, 0xffff0000, v11
	s_waitcnt vmcnt(6)
	v_and_b32_e32 v9, 0xffff0000, v9
	s_waitcnt vmcnt(5)
	v_and_b32_e32 v10, 0xffff0000, v10
	s_waitcnt vmcnt(4)
	v_and_b32_e32 v17, 0xffff0000, v17
	s_waitcnt vmcnt(3)
	v_and_b32_e32 v18, 0xffff0000, v18
	v_add_f32_e32 v10, v11, v10
	scratch_load_b32 v11, off, s32 offset:616 ; 4-byte Folded Reload
	s_waitcnt vmcnt(3)
	v_and_b32_e32 v8, 0xffff0000, v8
	s_waitcnt vmcnt(2)
	s_delay_alu instid0(VALU_DEP_1)
	v_dual_add_f32 v8, v9, v8 :: v_dual_and_b32 v5, 0xffff0000, v5
	scratch_load_b32 v9, off, s32 offset:624 ; 4-byte Folded Reload
	s_waitcnt vmcnt(2)
	v_and_b32_e32 v4, 0xffff0000, v4
	v_add_f32_e32 v8, v10, v8
	scratch_load_b32 v10, off, s32 offset:620 ; 4-byte Folded Reload
	v_add_f32_e32 v4, v5, v4
	v_add_f32_e32 v5, v17, v18
	s_clause 0x1
	scratch_load_b32 v17, off, s32 offset:640
	scratch_load_b32 v18, off, s32 offset:644
	v_add_f32_e32 v4, v8, v4
	scratch_load_b32 v8, off, s32 offset:628 ; 4-byte Folded Reload
	v_add_f32_e32 v4, v4, v5
	scratch_load_b32 v5, off, s32 offset:632 ; 4-byte Folded Reload
	v_add_f32_e32 v66, v66, v4
	scratch_load_b32 v4, off, s32 offset:636 ; 4-byte Folded Reload
	s_waitcnt vmcnt(7)
	v_and_b32_e32 v11, 0xffff0000, v11
	s_waitcnt vmcnt(6)
	v_and_b32_e32 v9, 0xffff0000, v9
	s_waitcnt vmcnt(5)
	v_and_b32_e32 v10, 0xffff0000, v10
	s_waitcnt vmcnt(4)
	v_and_b32_e32 v17, 0xffff0000, v17
	s_waitcnt vmcnt(3)
	v_and_b32_e32 v18, 0xffff0000, v18
	v_add_f32_e32 v10, v11, v10
	scratch_load_b32 v11, off, s32 offset:584 ; 4-byte Folded Reload
	s_waitcnt vmcnt(3)
	v_and_b32_e32 v8, 0xffff0000, v8
	s_waitcnt vmcnt(2)
	s_delay_alu instid0(VALU_DEP_1)
	v_dual_add_f32 v8, v9, v8 :: v_dual_and_b32 v5, 0xffff0000, v5
	scratch_load_b32 v9, off, s32 offset:592 ; 4-byte Folded Reload
	s_waitcnt vmcnt(2)
	v_and_b32_e32 v4, 0xffff0000, v4
	v_add_f32_e32 v8, v10, v8
	scratch_load_b32 v10, off, s32 offset:588 ; 4-byte Folded Reload
	v_add_f32_e32 v4, v5, v4
	v_add_f32_e32 v5, v17, v18
	s_clause 0x1
	scratch_load_b32 v17, off, s32 offset:608
	scratch_load_b32 v18, off, s32 offset:612
	v_add_f32_e32 v4, v8, v4
	scratch_load_b32 v8, off, s32 offset:596 ; 4-byte Folded Reload
	v_add_f32_e32 v4, v4, v5
	scratch_load_b32 v5, off, s32 offset:600 ; 4-byte Folded Reload
	v_add_f32_e32 v67, v67, v4
	scratch_load_b32 v4, off, s32 offset:604 ; 4-byte Folded Reload
	s_waitcnt vmcnt(7)
	v_and_b32_e32 v11, 0xffff0000, v11
	s_waitcnt vmcnt(6)
	v_and_b32_e32 v9, 0xffff0000, v9
	s_waitcnt vmcnt(5)
	v_and_b32_e32 v10, 0xffff0000, v10
	s_waitcnt vmcnt(4)
	v_and_b32_e32 v17, 0xffff0000, v17
	s_waitcnt vmcnt(3)
	v_and_b32_e32 v18, 0xffff0000, v18
	v_add_f32_e32 v10, v11, v10
	scratch_load_b32 v11, off, s32 offset:552 ; 4-byte Folded Reload
	s_waitcnt vmcnt(3)
	v_and_b32_e32 v8, 0xffff0000, v8
	s_waitcnt vmcnt(2)
	s_delay_alu instid0(VALU_DEP_1)
	v_dual_add_f32 v8, v9, v8 :: v_dual_and_b32 v5, 0xffff0000, v5
	scratch_load_b32 v9, off, s32 offset:560 ; 4-byte Folded Reload
	s_waitcnt vmcnt(2)
	v_and_b32_e32 v4, 0xffff0000, v4
	v_add_f32_e32 v8, v10, v8
	scratch_load_b32 v10, off, s32 offset:556 ; 4-byte Folded Reload
	v_add_f32_e32 v4, v5, v4
	v_add_f32_e32 v5, v17, v18
	s_clause 0x1
	scratch_load_b32 v17, off, s32 offset:576
	scratch_load_b32 v18, off, s32 offset:580
	v_add_f32_e32 v4, v8, v4
	scratch_load_b32 v8, off, s32 offset:564 ; 4-byte Folded Reload
	v_add_f32_e32 v4, v4, v5
	scratch_load_b32 v5, off, s32 offset:568 ; 4-byte Folded Reload
	v_add_f32_e32 v68, v68, v4
	scratch_load_b32 v4, off, s32 offset:572 ; 4-byte Folded Reload
	s_waitcnt vmcnt(7)
	v_and_b32_e32 v11, 0xffff0000, v11
	s_waitcnt vmcnt(6)
	v_and_b32_e32 v9, 0xffff0000, v9
	s_waitcnt vmcnt(5)
	v_and_b32_e32 v10, 0xffff0000, v10
	s_waitcnt vmcnt(4)
	v_and_b32_e32 v17, 0xffff0000, v17
	s_waitcnt vmcnt(3)
	v_and_b32_e32 v18, 0xffff0000, v18
	v_add_f32_e32 v10, v11, v10
	scratch_load_b32 v11, off, s32 offset:520 ; 4-byte Folded Reload
	s_waitcnt vmcnt(3)
	v_and_b32_e32 v8, 0xffff0000, v8
	s_waitcnt vmcnt(2)
	s_delay_alu instid0(VALU_DEP_1)
	v_dual_add_f32 v8, v9, v8 :: v_dual_and_b32 v5, 0xffff0000, v5
	scratch_load_b32 v9, off, s32 offset:528 ; 4-byte Folded Reload
	s_waitcnt vmcnt(2)
	v_and_b32_e32 v4, 0xffff0000, v4
	v_add_f32_e32 v8, v10, v8
	scratch_load_b32 v10, off, s32 offset:524 ; 4-byte Folded Reload
	v_add_f32_e32 v4, v5, v4
	v_add_f32_e32 v5, v17, v18
	s_clause 0x1
	scratch_load_b32 v17, off, s32 offset:544
	scratch_load_b32 v18, off, s32 offset:548
	v_add_f32_e32 v4, v8, v4
	scratch_load_b32 v8, off, s32 offset:532 ; 4-byte Folded Reload
	v_add_f32_e32 v4, v4, v5
	scratch_load_b32 v5, off, s32 offset:536 ; 4-byte Folded Reload
	v_add_f32_e32 v69, v69, v4
	scratch_load_b32 v4, off, s32 offset:540 ; 4-byte Folded Reload
	s_waitcnt vmcnt(7)
	v_and_b32_e32 v11, 0xffff0000, v11
	s_waitcnt vmcnt(6)
	v_and_b32_e32 v9, 0xffff0000, v9
	s_waitcnt vmcnt(5)
	v_and_b32_e32 v10, 0xffff0000, v10
	s_waitcnt vmcnt(4)
	v_and_b32_e32 v17, 0xffff0000, v17
	s_waitcnt vmcnt(3)
	v_and_b32_e32 v18, 0xffff0000, v18
	v_add_f32_e32 v10, v11, v10
	scratch_load_b32 v11, off, s32 offset:488 ; 4-byte Folded Reload
	s_waitcnt vmcnt(3)
	v_and_b32_e32 v8, 0xffff0000, v8
	s_waitcnt vmcnt(2)
	s_delay_alu instid0(VALU_DEP_1)
	v_dual_add_f32 v8, v9, v8 :: v_dual_and_b32 v5, 0xffff0000, v5
	scratch_load_b32 v9, off, s32 offset:496 ; 4-byte Folded Reload
	s_waitcnt vmcnt(2)
	v_and_b32_e32 v4, 0xffff0000, v4
	v_add_f32_e32 v8, v10, v8
	scratch_load_b32 v10, off, s32 offset:492 ; 4-byte Folded Reload
	v_add_f32_e32 v4, v5, v4
	v_add_f32_e32 v5, v17, v18
	s_clause 0x1
	scratch_load_b32 v17, off, s32 offset:512
	scratch_load_b32 v18, off, s32 offset:516
	v_add_f32_e32 v4, v8, v4
	scratch_load_b32 v8, off, s32 offset:500 ; 4-byte Folded Reload
	v_add_f32_e32 v4, v4, v5
	scratch_load_b32 v5, off, s32 offset:504 ; 4-byte Folded Reload
	v_add_f32_e32 v70, v70, v4
	scratch_load_b32 v4, off, s32 offset:508 ; 4-byte Folded Reload
	s_waitcnt vmcnt(7)
	v_and_b32_e32 v11, 0xffff0000, v11
	s_waitcnt vmcnt(6)
	v_and_b32_e32 v9, 0xffff0000, v9
	s_waitcnt vmcnt(5)
	v_and_b32_e32 v10, 0xffff0000, v10
	s_waitcnt vmcnt(4)
	v_and_b32_e32 v17, 0xffff0000, v17
	s_waitcnt vmcnt(3)
	v_and_b32_e32 v18, 0xffff0000, v18
	v_add_f32_e32 v10, v11, v10
	scratch_load_b32 v11, off, s32 offset:456 ; 4-byte Folded Reload
	s_waitcnt vmcnt(3)
	v_and_b32_e32 v8, 0xffff0000, v8
	s_waitcnt vmcnt(2)
	s_delay_alu instid0(VALU_DEP_1)
	v_dual_add_f32 v8, v9, v8 :: v_dual_and_b32 v5, 0xffff0000, v5
	scratch_load_b32 v9, off, s32 offset:464 ; 4-byte Folded Reload
	s_waitcnt vmcnt(2)
	v_and_b32_e32 v4, 0xffff0000, v4
	v_add_f32_e32 v8, v10, v8
	scratch_load_b32 v10, off, s32 offset:460 ; 4-byte Folded Reload
	v_add_f32_e32 v4, v5, v4
	v_add_f32_e32 v5, v17, v18
	s_clause 0x1
	scratch_load_b32 v17, off, s32 offset:480
	scratch_load_b32 v18, off, s32 offset:484
	v_add_f32_e32 v4, v8, v4
	scratch_load_b32 v8, off, s32 offset:468 ; 4-byte Folded Reload
	v_add_f32_e32 v4, v4, v5
	scratch_load_b32 v5, off, s32 offset:472 ; 4-byte Folded Reload
	v_add_f32_e32 v71, v71, v4
	scratch_load_b32 v4, off, s32 offset:476 ; 4-byte Folded Reload
	s_waitcnt vmcnt(7)
	v_and_b32_e32 v11, 0xffff0000, v11
	s_waitcnt vmcnt(6)
	v_and_b32_e32 v9, 0xffff0000, v9
	s_waitcnt vmcnt(5)
	v_and_b32_e32 v10, 0xffff0000, v10
	s_waitcnt vmcnt(4)
	v_and_b32_e32 v17, 0xffff0000, v17
	s_waitcnt vmcnt(3)
	v_and_b32_e32 v18, 0xffff0000, v18
	v_add_f32_e32 v10, v11, v10
	scratch_load_b32 v11, off, s32 offset:424 ; 4-byte Folded Reload
	s_waitcnt vmcnt(3)
	v_and_b32_e32 v8, 0xffff0000, v8
	s_waitcnt vmcnt(2)
	s_delay_alu instid0(VALU_DEP_1)
	v_dual_add_f32 v8, v9, v8 :: v_dual_and_b32 v5, 0xffff0000, v5
	scratch_load_b32 v9, off, s32 offset:432 ; 4-byte Folded Reload
	s_waitcnt vmcnt(2)
	v_and_b32_e32 v4, 0xffff0000, v4
	v_add_f32_e32 v8, v10, v8
	scratch_load_b32 v10, off, s32 offset:428 ; 4-byte Folded Reload
	v_add_f32_e32 v4, v5, v4
	v_add_f32_e32 v5, v17, v18
	s_clause 0x1
	scratch_load_b32 v17, off, s32 offset:448
	scratch_load_b32 v18, off, s32 offset:452
	v_add_f32_e32 v4, v8, v4
	scratch_load_b32 v8, off, s32 offset:436 ; 4-byte Folded Reload
	v_add_f32_e32 v4, v4, v5
	scratch_load_b32 v5, off, s32 offset:440 ; 4-byte Folded Reload
	v_add_f32_e32 v80, v80, v4
	scratch_load_b32 v4, off, s32 offset:444 ; 4-byte Folded Reload
	s_waitcnt vmcnt(7)
	v_and_b32_e32 v11, 0xffff0000, v11
	s_waitcnt vmcnt(6)
	v_and_b32_e32 v9, 0xffff0000, v9
	s_waitcnt vmcnt(5)
	v_and_b32_e32 v10, 0xffff0000, v10
	s_waitcnt vmcnt(4)
	v_and_b32_e32 v17, 0xffff0000, v17
	s_waitcnt vmcnt(3)
	v_and_b32_e32 v18, 0xffff0000, v18
	v_add_f32_e32 v10, v11, v10
	scratch_load_b32 v11, off, s32 offset:392 ; 4-byte Folded Reload
	s_waitcnt vmcnt(3)
	v_and_b32_e32 v8, 0xffff0000, v8
	s_waitcnt vmcnt(2)
	s_delay_alu instid0(VALU_DEP_1)
	v_dual_add_f32 v8, v9, v8 :: v_dual_and_b32 v5, 0xffff0000, v5
	scratch_load_b32 v9, off, s32 offset:400 ; 4-byte Folded Reload
	s_waitcnt vmcnt(2)
	v_and_b32_e32 v4, 0xffff0000, v4
	v_add_f32_e32 v8, v10, v8
	scratch_load_b32 v10, off, s32 offset:396 ; 4-byte Folded Reload
	v_add_f32_e32 v4, v5, v4
	v_add_f32_e32 v5, v17, v18
	s_clause 0x1
	scratch_load_b32 v17, off, s32 offset:416
	scratch_load_b32 v18, off, s32 offset:420
	v_add_f32_e32 v4, v8, v4
	scratch_load_b32 v8, off, s32 offset:404 ; 4-byte Folded Reload
	v_add_f32_e32 v4, v4, v5
	scratch_load_b32 v5, off, s32 offset:408 ; 4-byte Folded Reload
	v_add_f32_e32 v82, v82, v4
	scratch_load_b32 v4, off, s32 offset:412 ; 4-byte Folded Reload
	s_waitcnt vmcnt(7)
	v_and_b32_e32 v11, 0xffff0000, v11
	s_waitcnt vmcnt(6)
	v_and_b32_e32 v9, 0xffff0000, v9
	s_waitcnt vmcnt(5)
	v_and_b32_e32 v10, 0xffff0000, v10
	s_waitcnt vmcnt(4)
	v_and_b32_e32 v17, 0xffff0000, v17
	s_waitcnt vmcnt(3)
	v_and_b32_e32 v18, 0xffff0000, v18
	v_add_f32_e32 v10, v11, v10
	scratch_load_b32 v11, off, s32 offset:360 ; 4-byte Folded Reload
	s_waitcnt vmcnt(3)
	v_and_b32_e32 v8, 0xffff0000, v8
	s_waitcnt vmcnt(2)
	s_delay_alu instid0(VALU_DEP_1)
	v_dual_add_f32 v8, v9, v8 :: v_dual_and_b32 v5, 0xffff0000, v5
	scratch_load_b32 v9, off, s32 offset:368 ; 4-byte Folded Reload
	s_waitcnt vmcnt(2)
	v_and_b32_e32 v4, 0xffff0000, v4
	v_add_f32_e32 v8, v10, v8
	scratch_load_b32 v10, off, s32 offset:364 ; 4-byte Folded Reload
	v_add_f32_e32 v4, v5, v4
	v_add_f32_e32 v5, v17, v18
	s_clause 0x1
	scratch_load_b32 v17, off, s32 offset:384
	scratch_load_b32 v18, off, s32 offset:388
	v_add_f32_e32 v4, v8, v4
	scratch_load_b32 v8, off, s32 offset:372 ; 4-byte Folded Reload
	v_add_f32_e32 v4, v4, v5
	scratch_load_b32 v5, off, s32 offset:376 ; 4-byte Folded Reload
	v_add_f32_e32 v83, v83, v4
	scratch_load_b32 v4, off, s32 offset:380 ; 4-byte Folded Reload
	s_waitcnt vmcnt(7)
	v_and_b32_e32 v11, 0xffff0000, v11
	s_waitcnt vmcnt(6)
	v_and_b32_e32 v9, 0xffff0000, v9
	s_waitcnt vmcnt(5)
	v_and_b32_e32 v10, 0xffff0000, v10
	s_waitcnt vmcnt(4)
	v_and_b32_e32 v17, 0xffff0000, v17
	s_waitcnt vmcnt(3)
	v_and_b32_e32 v18, 0xffff0000, v18
	v_add_f32_e32 v10, v11, v10
	scratch_load_b32 v11, off, s32 offset:328 ; 4-byte Folded Reload
	s_waitcnt vmcnt(3)
	v_and_b32_e32 v8, 0xffff0000, v8
	s_waitcnt vmcnt(2)
	s_delay_alu instid0(VALU_DEP_1)
	v_dual_add_f32 v8, v9, v8 :: v_dual_and_b32 v5, 0xffff0000, v5
	scratch_load_b32 v9, off, s32 offset:336 ; 4-byte Folded Reload
	s_waitcnt vmcnt(2)
	v_and_b32_e32 v4, 0xffff0000, v4
	v_add_f32_e32 v8, v10, v8
	scratch_load_b32 v10, off, s32 offset:332 ; 4-byte Folded Reload
	v_add_f32_e32 v4, v5, v4
	v_add_f32_e32 v5, v17, v18
	s_clause 0x1
	scratch_load_b32 v17, off, s32 offset:352
	scratch_load_b32 v18, off, s32 offset:356
	v_add_f32_e32 v4, v8, v4
	scratch_load_b32 v8, off, s32 offset:340 ; 4-byte Folded Reload
	v_add_f32_e32 v4, v4, v5
	scratch_load_b32 v5, off, s32 offset:344 ; 4-byte Folded Reload
	v_add_f32_e32 v84, v84, v4
	scratch_load_b32 v4, off, s32 offset:348 ; 4-byte Folded Reload
	s_waitcnt vmcnt(7)
	v_and_b32_e32 v11, 0xffff0000, v11
	s_waitcnt vmcnt(6)
	v_and_b32_e32 v9, 0xffff0000, v9
	s_waitcnt vmcnt(5)
	v_and_b32_e32 v10, 0xffff0000, v10
	s_waitcnt vmcnt(4)
	v_and_b32_e32 v17, 0xffff0000, v17
	s_waitcnt vmcnt(3)
	v_and_b32_e32 v18, 0xffff0000, v18
	v_add_f32_e32 v10, v11, v10
	s_waitcnt vmcnt(2)
	v_and_b32_e32 v8, 0xffff0000, v8
	s_waitcnt vmcnt(1)
	s_delay_alu instid0(VALU_DEP_1) | instskip(SKIP_2) | instid1(VALU_DEP_2)
	v_dual_add_f32 v8, v9, v8 :: v_dual_and_b32 v5, 0xffff0000, v5
	s_waitcnt vmcnt(0)
	v_and_b32_e32 v4, 0xffff0000, v4
	v_add_f32_e32 v8, v10, v8
	s_delay_alu instid0(VALU_DEP_2) | instskip(NEXT) | instid1(VALU_DEP_1)
	v_add_f32_e32 v4, v5, v4
	v_dual_add_f32 v5, v17, v18 :: v_dual_add_f32 v4, v8, v4
	s_delay_alu instid0(VALU_DEP_1) | instskip(SKIP_2) | instid1(VALU_DEP_3)
	v_dual_add_f32 v4, v4, v5 :: v_dual_and_b32 v5, 0xffff0000, v6
	v_and_b32_e32 v6, 0xffff0000, v7
	v_and_b32_e32 v7, 0xffff0000, v151
	v_add_f32_e32 v81, v81, v4
	v_and_b32_e32 v4, 0xffff0000, v12
	s_delay_alu instid0(VALU_DEP_1) | instskip(NEXT) | instid1(VALU_DEP_1)
	v_add_f32_e32 v1, v5, v4
	v_dual_add_f32 v0, v0, v1 :: v_dual_add_f32 v1, v6, v7
	s_delay_alu instid0(VALU_DEP_1) | instskip(NEXT) | instid1(VALU_DEP_1)
	v_add_f32_e32 v0, v0, v1
	v_add_f32_e32 v21, v21, v0
	scratch_load_b32 v0, off, s32 offset:324 ; 4-byte Folded Reload
	s_waitcnt vmcnt(0)
	v_cmp_ge_i32_e32 vcc_lo, v16, v0
	s_or_b32 s21, vcc_lo, s21
	s_delay_alu instid0(SALU_CYCLE_1)
	s_and_not1_b32 exec_lo, exec_lo, s21
	s_cbranch_execz .LBB468_7295
.LBB468_3103:                           ; =>This Inner Loop Header: Depth=1
	flat_load_b32 v12, v[14:15]
	ds_load_2addr_b64 v[6:9], v118 offset1:1
	ds_load_2addr_b64 v[0:3], v118 offset0:2 offset1:3
	s_mov_b32 s1, exec_lo
                                        ; implicit-def: $vgpr20
	s_waitcnt lgkmcnt(1)
	v_and_b32_e32 v4, 0x7f800000, v6
	s_delay_alu instid0(VALU_DEP_1)
	v_cmpx_ne_u32_e32 0x7f800000, v4
	s_xor_b32 s1, exec_lo, s1
; %bb.3104:                             ;   in Loop: Header=BB468_3103 Depth=1
	v_bfe_u32 v4, v6, 16, 1
	s_delay_alu instid0(VALU_DEP_1)
	v_add3_u32 v20, v6, v4, 0x7fff
; %bb.3105:                             ;   in Loop: Header=BB468_3103 Depth=1
	s_and_not1_saveexec_b32 s1, s1
; %bb.3106:                             ;   in Loop: Header=BB468_3103 Depth=1
	v_and_b32_e32 v4, 0xffff, v6
	v_or_b32_e32 v5, 0x10000, v6
	s_delay_alu instid0(VALU_DEP_2) | instskip(NEXT) | instid1(VALU_DEP_2)
	v_cmp_eq_u32_e32 vcc_lo, 0, v4
	v_cndmask_b32_e32 v20, v5, v6, vcc_lo
; %bb.3107:                             ;   in Loop: Header=BB468_3103 Depth=1
	s_or_b32 exec_lo, exec_lo, s1
	v_and_b32_e32 v4, 0x7f800000, v7
	s_mov_b32 s1, exec_lo
                                        ; implicit-def: $vgpr19
	s_delay_alu instid0(VALU_DEP_1)
	v_cmpx_ne_u32_e32 0x7f800000, v4
	s_xor_b32 s1, exec_lo, s1
; %bb.3108:                             ;   in Loop: Header=BB468_3103 Depth=1
	v_bfe_u32 v4, v7, 16, 1
	s_delay_alu instid0(VALU_DEP_1)
	v_add3_u32 v19, v7, v4, 0x7fff
; %bb.3109:                             ;   in Loop: Header=BB468_3103 Depth=1
	s_and_not1_saveexec_b32 s1, s1
; %bb.3110:                             ;   in Loop: Header=BB468_3103 Depth=1
	v_and_b32_e32 v4, 0xffff, v7
	v_or_b32_e32 v5, 0x10000, v7
	s_delay_alu instid0(VALU_DEP_2) | instskip(NEXT) | instid1(VALU_DEP_2)
	v_cmp_eq_u32_e32 vcc_lo, 0, v4
	v_cndmask_b32_e32 v19, v5, v7, vcc_lo
; %bb.3111:                             ;   in Loop: Header=BB468_3103 Depth=1
	s_or_b32 exec_lo, exec_lo, s1
	v_and_b32_e32 v4, 0x7f800000, v8
	s_mov_b32 s1, exec_lo
                                        ; implicit-def: $vgpr18
	s_delay_alu instid0(VALU_DEP_1)
	v_cmpx_ne_u32_e32 0x7f800000, v4
	s_xor_b32 s1, exec_lo, s1
; %bb.3112:                             ;   in Loop: Header=BB468_3103 Depth=1
	v_bfe_u32 v4, v8, 16, 1
	s_delay_alu instid0(VALU_DEP_1)
	v_add3_u32 v18, v8, v4, 0x7fff
; %bb.3113:                             ;   in Loop: Header=BB468_3103 Depth=1
	s_and_not1_saveexec_b32 s1, s1
; %bb.3114:                             ;   in Loop: Header=BB468_3103 Depth=1
	v_and_b32_e32 v4, 0xffff, v8
	v_or_b32_e32 v5, 0x10000, v8
	s_delay_alu instid0(VALU_DEP_2) | instskip(NEXT) | instid1(VALU_DEP_2)
	v_cmp_eq_u32_e32 vcc_lo, 0, v4
	v_cndmask_b32_e32 v18, v5, v8, vcc_lo
; %bb.3115:                             ;   in Loop: Header=BB468_3103 Depth=1
	s_or_b32 exec_lo, exec_lo, s1
	v_and_b32_e32 v4, 0x7f800000, v9
	s_mov_b32 s1, exec_lo
                                        ; implicit-def: $vgpr17
	s_delay_alu instid0(VALU_DEP_1)
	v_cmpx_ne_u32_e32 0x7f800000, v4
	s_xor_b32 s1, exec_lo, s1
; %bb.3116:                             ;   in Loop: Header=BB468_3103 Depth=1
	v_bfe_u32 v4, v9, 16, 1
	s_delay_alu instid0(VALU_DEP_1)
	v_add3_u32 v17, v9, v4, 0x7fff
                                        ; implicit-def: $vgpr6_vgpr7_vgpr8_vgpr9
; %bb.3117:                             ;   in Loop: Header=BB468_3103 Depth=1
	s_and_not1_saveexec_b32 s1, s1
; %bb.3118:                             ;   in Loop: Header=BB468_3103 Depth=1
	v_and_b32_e32 v4, 0xffff, v9
	v_or_b32_e32 v5, 0x10000, v9
	s_delay_alu instid0(VALU_DEP_2) | instskip(NEXT) | instid1(VALU_DEP_2)
	v_cmp_eq_u32_e32 vcc_lo, 0, v4
	v_cndmask_b32_e32 v17, v5, v9, vcc_lo
; %bb.3119:                             ;   in Loop: Header=BB468_3103 Depth=1
	s_or_b32 exec_lo, exec_lo, s1
	s_waitcnt lgkmcnt(0)
	v_and_b32_e32 v4, 0x7f800000, v0
	s_mov_b32 s1, exec_lo
                                        ; implicit-def: $vgpr11
	s_delay_alu instid0(VALU_DEP_1)
	v_cmpx_ne_u32_e32 0x7f800000, v4
	s_xor_b32 s1, exec_lo, s1
; %bb.3120:                             ;   in Loop: Header=BB468_3103 Depth=1
	v_bfe_u32 v4, v0, 16, 1
	s_delay_alu instid0(VALU_DEP_1)
	v_add3_u32 v11, v0, v4, 0x7fff
; %bb.3121:                             ;   in Loop: Header=BB468_3103 Depth=1
	s_and_not1_saveexec_b32 s1, s1
; %bb.3122:                             ;   in Loop: Header=BB468_3103 Depth=1
	v_and_b32_e32 v4, 0xffff, v0
	v_or_b32_e32 v5, 0x10000, v0
	s_delay_alu instid0(VALU_DEP_2) | instskip(NEXT) | instid1(VALU_DEP_2)
	v_cmp_eq_u32_e32 vcc_lo, 0, v4
	v_cndmask_b32_e32 v11, v5, v0, vcc_lo
; %bb.3123:                             ;   in Loop: Header=BB468_3103 Depth=1
	s_or_b32 exec_lo, exec_lo, s1
	v_and_b32_e32 v0, 0x7f800000, v1
	s_mov_b32 s1, exec_lo
                                        ; implicit-def: $vgpr10
	s_delay_alu instid0(VALU_DEP_1)
	v_cmpx_ne_u32_e32 0x7f800000, v0
	s_xor_b32 s1, exec_lo, s1
; %bb.3124:                             ;   in Loop: Header=BB468_3103 Depth=1
	v_bfe_u32 v0, v1, 16, 1
	s_delay_alu instid0(VALU_DEP_1)
	v_add3_u32 v10, v1, v0, 0x7fff
; %bb.3125:                             ;   in Loop: Header=BB468_3103 Depth=1
	s_and_not1_saveexec_b32 s1, s1
; %bb.3126:                             ;   in Loop: Header=BB468_3103 Depth=1
	v_and_b32_e32 v0, 0xffff, v1
	v_or_b32_e32 v4, 0x10000, v1
	s_delay_alu instid0(VALU_DEP_2) | instskip(NEXT) | instid1(VALU_DEP_2)
	v_cmp_eq_u32_e32 vcc_lo, 0, v0
	v_cndmask_b32_e32 v10, v4, v1, vcc_lo
; %bb.3127:                             ;   in Loop: Header=BB468_3103 Depth=1
	s_or_b32 exec_lo, exec_lo, s1
	v_and_b32_e32 v0, 0x7f800000, v2
	s_mov_b32 s1, exec_lo
                                        ; implicit-def: $vgpr5
	s_delay_alu instid0(VALU_DEP_1)
	v_cmpx_ne_u32_e32 0x7f800000, v0
	s_xor_b32 s1, exec_lo, s1
; %bb.3128:                             ;   in Loop: Header=BB468_3103 Depth=1
	v_bfe_u32 v0, v2, 16, 1
	s_delay_alu instid0(VALU_DEP_1)
	v_add3_u32 v5, v2, v0, 0x7fff
; %bb.3129:                             ;   in Loop: Header=BB468_3103 Depth=1
	s_and_not1_saveexec_b32 s1, s1
; %bb.3130:                             ;   in Loop: Header=BB468_3103 Depth=1
	v_and_b32_e32 v0, 0xffff, v2
	v_or_b32_e32 v1, 0x10000, v2
	s_delay_alu instid0(VALU_DEP_2) | instskip(NEXT) | instid1(VALU_DEP_2)
	v_cmp_eq_u32_e32 vcc_lo, 0, v0
	v_cndmask_b32_e32 v5, v1, v2, vcc_lo
; %bb.3131:                             ;   in Loop: Header=BB468_3103 Depth=1
	s_or_b32 exec_lo, exec_lo, s1
	v_and_b32_e32 v0, 0x7f800000, v3
	s_mov_b32 s1, exec_lo
                                        ; implicit-def: $vgpr4
	s_delay_alu instid0(VALU_DEP_1)
	v_cmpx_ne_u32_e32 0x7f800000, v0
	s_xor_b32 s1, exec_lo, s1
; %bb.3132:                             ;   in Loop: Header=BB468_3103 Depth=1
	v_bfe_u32 v0, v3, 16, 1
	s_delay_alu instid0(VALU_DEP_1)
	v_add3_u32 v4, v3, v0, 0x7fff
                                        ; implicit-def: $vgpr0_vgpr1_vgpr2_vgpr3
; %bb.3133:                             ;   in Loop: Header=BB468_3103 Depth=1
	s_and_not1_saveexec_b32 s1, s1
; %bb.3134:                             ;   in Loop: Header=BB468_3103 Depth=1
	v_and_b32_e32 v0, 0xffff, v3
	v_or_b32_e32 v1, 0x10000, v3
	s_delay_alu instid0(VALU_DEP_2) | instskip(NEXT) | instid1(VALU_DEP_2)
	v_cmp_eq_u32_e32 vcc_lo, 0, v0
	v_cndmask_b32_e32 v4, v1, v3, vcc_lo
; %bb.3135:                             ;   in Loop: Header=BB468_3103 Depth=1
	s_or_b32 exec_lo, exec_lo, s1
	s_clause 0x1
	scratch_load_b32 v2, off, s32 offset:320
	scratch_load_b64 v[6:7], off, s32 offset:800
	s_mov_b32 s1, exec_lo
	v_mov_b32_e32 v8, 0
	s_waitcnt vmcnt(0)
	v_mad_i64_i32 v[0:1], null, v12, v2, v[6:7]
	scratch_load_b32 v2, off, s32 offset:808 ; 4-byte Folded Reload
	s_waitcnt vmcnt(0)
	v_add_co_u32 v2, vcc_lo, v0, v2
	v_add_co_ci_u32_e32 v3, vcc_lo, 0, v1, vcc_lo
	flat_load_b64 v[6:7], v[2:3]
	s_waitcnt vmcnt(0) lgkmcnt(0)
	v_and_b32_e32 v9, 0xff, v6
	s_delay_alu instid0(VALU_DEP_1)
	v_cmpx_ne_u16_e32 0, v9
	s_cbranch_execz .LBB468_3143
; %bb.3136:                             ;   in Loop: Header=BB468_3103 Depth=1
	v_bfrev_b32_e32 v8, 1
	s_mov_b32 s2, exec_lo
	v_cmpx_ne_u16_e32 0x80, v9
	s_cbranch_execz .LBB468_3142
; %bb.3137:                             ;   in Loop: Header=BB468_3103 Depth=1
	v_and_b32_e32 v9, 0x7f, v6
	v_mov_b32_e32 v8, 0x7f800001
	s_mov_b32 s3, exec_lo
	s_delay_alu instid0(VALU_DEP_2)
	v_cmpx_ne_u32_e32 0x7f, v9
	s_cbranch_execz .LBB468_3141
; %bb.3138:                             ;   in Loop: Header=BB468_3103 Depth=1
	v_lshrrev_b32_e32 v12, 3, v9
	v_cmp_gt_u32_e32 vcc_lo, 8, v9
	v_dual_mov_b32 v9, v7 :: v_dual_mov_b32 v8, v6
	s_and_saveexec_b32 s4, vcc_lo
; %bb.3139:                             ;   in Loop: Header=BB468_3103 Depth=1
	v_and_b32_e32 v8, 7, v6
	s_delay_alu instid0(VALU_DEP_1) | instskip(NEXT) | instid1(VALU_DEP_1)
	v_clz_i32_u32_e32 v8, v8
	v_min_u32_e32 v12, 32, v8
	s_delay_alu instid0(VALU_DEP_1) | instskip(SKIP_1) | instid1(VALU_DEP_2)
	v_subrev_nc_u32_e32 v8, 28, v12
	v_sub_nc_u32_e32 v12, 29, v12
	v_lshlrev_b64 v[8:9], v8, v[6:7]
; %bb.3140:                             ;   in Loop: Header=BB468_3103 Depth=1
	s_or_b32 exec_lo, exec_lo, s4
	s_delay_alu instid0(VALU_DEP_1) | instskip(SKIP_2) | instid1(VALU_DEP_3)
	v_lshlrev_b32_e32 v8, 20, v8
	v_lshlrev_b32_e32 v9, 24, v6
	v_lshl_add_u32 v12, v12, 23, 0x3c000000
	v_and_b32_e32 v8, 0x700000, v8
	s_delay_alu instid0(VALU_DEP_3) | instskip(NEXT) | instid1(VALU_DEP_1)
	v_and_b32_e32 v9, 0x80000000, v9
	v_or3_b32 v8, v8, v9, v12
.LBB468_3141:                           ;   in Loop: Header=BB468_3103 Depth=1
	s_or_b32 exec_lo, exec_lo, s3
.LBB468_3142:                           ;   in Loop: Header=BB468_3103 Depth=1
	s_delay_alu instid0(SALU_CYCLE_1)
	s_or_b32 exec_lo, exec_lo, s2
.LBB468_3143:                           ;   in Loop: Header=BB468_3103 Depth=1
	s_delay_alu instid0(SALU_CYCLE_1) | instskip(NEXT) | instid1(VALU_DEP_1)
	s_or_b32 exec_lo, exec_lo, s1
	v_mul_f32_e32 v8, v26, v8
	s_mov_b32 s1, exec_lo
                                        ; implicit-def: $vgpr22
	s_delay_alu instid0(VALU_DEP_1) | instskip(NEXT) | instid1(VALU_DEP_1)
	v_and_b32_e32 v9, 0x7f800000, v8
	v_cmpx_ne_u32_e32 0x7f800000, v9
	s_xor_b32 s1, exec_lo, s1
; %bb.3144:                             ;   in Loop: Header=BB468_3103 Depth=1
	v_bfe_u32 v9, v8, 16, 1
	s_delay_alu instid0(VALU_DEP_1)
	v_add3_u32 v22, v8, v9, 0x7fff
                                        ; implicit-def: $vgpr8
; %bb.3145:                             ;   in Loop: Header=BB468_3103 Depth=1
	s_and_not1_saveexec_b32 s1, s1
; %bb.3146:                             ;   in Loop: Header=BB468_3103 Depth=1
	v_and_b32_e32 v9, 0xffff, v8
	v_or_b32_e32 v12, 0x10000, v8
	s_delay_alu instid0(VALU_DEP_2) | instskip(NEXT) | instid1(VALU_DEP_2)
	v_cmp_eq_u32_e32 vcc_lo, 0, v9
	v_cndmask_b32_e32 v22, v12, v8, vcc_lo
; %bb.3147:                             ;   in Loop: Header=BB468_3103 Depth=1
	s_or_b32 exec_lo, exec_lo, s1
	v_lshrrev_b16 v9, 8, v6
	v_mov_b32_e32 v8, 0
	s_mov_b32 s1, exec_lo
	s_delay_alu instid0(VALU_DEP_2)
	v_cmpx_ne_u16_e32 0, v9
	s_cbranch_execz .LBB468_3155
; %bb.3148:                             ;   in Loop: Header=BB468_3103 Depth=1
	v_bfrev_b32_e32 v8, 1
	s_mov_b32 s2, exec_lo
	v_cmpx_ne_u16_e32 0x80, v9
	s_cbranch_execz .LBB468_3154
; %bb.3149:                             ;   in Loop: Header=BB468_3103 Depth=1
	v_and_b32_e32 v12, 0xffff, v9
	v_mov_b32_e32 v8, 0x7f800001
	s_mov_b32 s3, exec_lo
	s_delay_alu instid0(VALU_DEP_2) | instskip(NEXT) | instid1(VALU_DEP_1)
	v_and_b32_e32 v9, 0x7f, v12
	v_cmpx_ne_u32_e32 0x7f, v9
	s_cbranch_execz .LBB468_3153
; %bb.3150:                             ;   in Loop: Header=BB468_3103 Depth=1
	v_and_b32_e32 v12, 7, v12
	v_lshrrev_b32_e32 v23, 3, v9
	v_cmp_gt_u32_e32 vcc_lo, 8, v9
	s_delay_alu instid0(VALU_DEP_3)
	v_dual_mov_b32 v8, v12 :: v_dual_mov_b32 v9, v13
	s_and_saveexec_b32 s4, vcc_lo
; %bb.3151:                             ;   in Loop: Header=BB468_3103 Depth=1
	v_clz_i32_u32_e32 v8, v12
	s_delay_alu instid0(VALU_DEP_1) | instskip(NEXT) | instid1(VALU_DEP_1)
	v_min_u32_e32 v23, 32, v8
	v_subrev_nc_u32_e32 v8, 28, v23
	v_sub_nc_u32_e32 v23, 29, v23
	s_delay_alu instid0(VALU_DEP_2) | instskip(NEXT) | instid1(VALU_DEP_1)
	v_lshlrev_b64 v[8:9], v8, v[12:13]
	v_and_b32_e32 v8, 7, v8
; %bb.3152:                             ;   in Loop: Header=BB468_3103 Depth=1
	s_or_b32 exec_lo, exec_lo, s4
	v_lshlrev_b32_e32 v9, 16, v6
	s_delay_alu instid0(VALU_DEP_2) | instskip(SKIP_1) | instid1(VALU_DEP_3)
	v_lshlrev_b32_e32 v8, 20, v8
	v_lshl_add_u32 v12, v23, 23, 0x3c000000
	v_and_b32_e32 v9, 0x80000000, v9
	s_delay_alu instid0(VALU_DEP_1)
	v_or3_b32 v8, v8, v9, v12
.LBB468_3153:                           ;   in Loop: Header=BB468_3103 Depth=1
	s_or_b32 exec_lo, exec_lo, s3
.LBB468_3154:                           ;   in Loop: Header=BB468_3103 Depth=1
	s_delay_alu instid0(SALU_CYCLE_1)
	s_or_b32 exec_lo, exec_lo, s2
.LBB468_3155:                           ;   in Loop: Header=BB468_3103 Depth=1
	s_delay_alu instid0(SALU_CYCLE_1) | instskip(NEXT) | instid1(VALU_DEP_1)
	s_or_b32 exec_lo, exec_lo, s1
	v_mul_f32_e32 v8, v26, v8
	s_mov_b32 s1, exec_lo
                                        ; implicit-def: $vgpr23
	s_delay_alu instid0(VALU_DEP_1) | instskip(NEXT) | instid1(VALU_DEP_1)
	v_and_b32_e32 v9, 0x7f800000, v8
	v_cmpx_ne_u32_e32 0x7f800000, v9
	s_xor_b32 s1, exec_lo, s1
; %bb.3156:                             ;   in Loop: Header=BB468_3103 Depth=1
	v_bfe_u32 v9, v8, 16, 1
	s_delay_alu instid0(VALU_DEP_1)
	v_add3_u32 v23, v8, v9, 0x7fff
                                        ; implicit-def: $vgpr8
; %bb.3157:                             ;   in Loop: Header=BB468_3103 Depth=1
	s_and_not1_saveexec_b32 s1, s1
; %bb.3158:                             ;   in Loop: Header=BB468_3103 Depth=1
	v_and_b32_e32 v9, 0xffff, v8
	v_or_b32_e32 v12, 0x10000, v8
	s_delay_alu instid0(VALU_DEP_2) | instskip(NEXT) | instid1(VALU_DEP_2)
	v_cmp_eq_u32_e32 vcc_lo, 0, v9
	v_cndmask_b32_e32 v23, v12, v8, vcc_lo
; %bb.3159:                             ;   in Loop: Header=BB468_3103 Depth=1
	s_or_b32 exec_lo, exec_lo, s1
	v_lshrrev_b32_e32 v27, 16, v6
	s_mov_b32 s1, exec_lo
	s_delay_alu instid0(VALU_DEP_1) | instskip(NEXT) | instid1(VALU_DEP_1)
	v_dual_mov_b32 v8, 0 :: v_dual_and_b32 v9, 0xff, v27
	v_cmpx_ne_u16_e32 0, v9
	s_cbranch_execz .LBB468_3167
; %bb.3160:                             ;   in Loop: Header=BB468_3103 Depth=1
	v_bfrev_b32_e32 v8, 1
	s_mov_b32 s2, exec_lo
	v_cmpx_ne_u16_e32 0x80, v9
	s_cbranch_execz .LBB468_3166
; %bb.3161:                             ;   in Loop: Header=BB468_3103 Depth=1
	v_bfe_u32 v9, v6, 16, 7
	v_mov_b32_e32 v8, 0x7f800001
	s_mov_b32 s3, exec_lo
	s_delay_alu instid0(VALU_DEP_2)
	v_cmpx_ne_u32_e32 0x7f, v9
	s_cbranch_execz .LBB468_3165
; %bb.3162:                             ;   in Loop: Header=BB468_3103 Depth=1
	v_and_b32_e32 v12, 7, v27
	v_lshrrev_b32_e32 v34, 3, v9
	v_cmp_gt_u32_e32 vcc_lo, 8, v9
	s_delay_alu instid0(VALU_DEP_3)
	v_dual_mov_b32 v8, v12 :: v_dual_mov_b32 v9, v13
	s_and_saveexec_b32 s4, vcc_lo
; %bb.3163:                             ;   in Loop: Header=BB468_3103 Depth=1
	v_clz_i32_u32_e32 v8, v12
	s_delay_alu instid0(VALU_DEP_1) | instskip(NEXT) | instid1(VALU_DEP_1)
	v_min_u32_e32 v34, 32, v8
	v_subrev_nc_u32_e32 v8, 28, v34
	v_sub_nc_u32_e32 v34, 29, v34
	s_delay_alu instid0(VALU_DEP_2) | instskip(NEXT) | instid1(VALU_DEP_1)
	v_lshlrev_b64 v[8:9], v8, v[12:13]
	v_and_b32_e32 v8, 7, v8
; %bb.3164:                             ;   in Loop: Header=BB468_3103 Depth=1
	s_or_b32 exec_lo, exec_lo, s4
	v_lshlrev_b32_e32 v9, 24, v27
	s_delay_alu instid0(VALU_DEP_2) | instskip(SKIP_1) | instid1(VALU_DEP_3)
	v_lshlrev_b32_e32 v8, 20, v8
	v_lshl_add_u32 v12, v34, 23, 0x3c000000
	v_and_b32_e32 v9, 0x80000000, v9
	s_delay_alu instid0(VALU_DEP_1)
	v_or3_b32 v8, v8, v9, v12
.LBB468_3165:                           ;   in Loop: Header=BB468_3103 Depth=1
	s_or_b32 exec_lo, exec_lo, s3
.LBB468_3166:                           ;   in Loop: Header=BB468_3103 Depth=1
	s_delay_alu instid0(SALU_CYCLE_1)
	s_or_b32 exec_lo, exec_lo, s2
.LBB468_3167:                           ;   in Loop: Header=BB468_3103 Depth=1
	s_delay_alu instid0(SALU_CYCLE_1) | instskip(NEXT) | instid1(VALU_DEP_1)
	s_or_b32 exec_lo, exec_lo, s1
	v_mul_f32_e32 v8, v26, v8
	s_mov_b32 s1, exec_lo
                                        ; implicit-def: $vgpr27
	s_delay_alu instid0(VALU_DEP_1) | instskip(NEXT) | instid1(VALU_DEP_1)
	v_and_b32_e32 v9, 0x7f800000, v8
	v_cmpx_ne_u32_e32 0x7f800000, v9
	s_xor_b32 s1, exec_lo, s1
; %bb.3168:                             ;   in Loop: Header=BB468_3103 Depth=1
	v_bfe_u32 v9, v8, 16, 1
	s_delay_alu instid0(VALU_DEP_1)
	v_add3_u32 v27, v8, v9, 0x7fff
                                        ; implicit-def: $vgpr8
; %bb.3169:                             ;   in Loop: Header=BB468_3103 Depth=1
	s_and_not1_saveexec_b32 s1, s1
; %bb.3170:                             ;   in Loop: Header=BB468_3103 Depth=1
	v_and_b32_e32 v9, 0xffff, v8
	v_or_b32_e32 v12, 0x10000, v8
	s_delay_alu instid0(VALU_DEP_2) | instskip(NEXT) | instid1(VALU_DEP_2)
	v_cmp_eq_u32_e32 vcc_lo, 0, v9
	v_cndmask_b32_e32 v27, v12, v8, vcc_lo
; %bb.3171:                             ;   in Loop: Header=BB468_3103 Depth=1
	s_or_b32 exec_lo, exec_lo, s1
	v_mov_b32_e32 v8, 0
	s_mov_b32 s1, exec_lo
	v_cmpx_lt_u32_e32 0xffffff, v6
	s_cbranch_execz .LBB468_3179
; %bb.3172:                             ;   in Loop: Header=BB468_3103 Depth=1
	v_lshrrev_b32_e32 v34, 24, v6
	v_bfrev_b32_e32 v8, 1
	s_mov_b32 s2, exec_lo
	s_delay_alu instid0(VALU_DEP_2)
	v_cmpx_ne_u32_e32 0x80, v34
	s_cbranch_execz .LBB468_3178
; %bb.3173:                             ;   in Loop: Header=BB468_3103 Depth=1
	v_bfe_u32 v9, v6, 24, 7
	v_mov_b32_e32 v8, 0x7f800001
	s_mov_b32 s3, exec_lo
	s_delay_alu instid0(VALU_DEP_2)
	v_cmpx_ne_u32_e32 0x7f, v9
	s_cbranch_execz .LBB468_3177
; %bb.3174:                             ;   in Loop: Header=BB468_3103 Depth=1
	v_and_b32_e32 v12, 7, v34
	v_lshrrev_b32_e32 v35, 3, v9
	v_cmp_gt_u32_e32 vcc_lo, 8, v9
	s_delay_alu instid0(VALU_DEP_3)
	v_dual_mov_b32 v8, v12 :: v_dual_mov_b32 v9, v13
	s_and_saveexec_b32 s4, vcc_lo
; %bb.3175:                             ;   in Loop: Header=BB468_3103 Depth=1
	v_clz_i32_u32_e32 v8, v12
	s_delay_alu instid0(VALU_DEP_1) | instskip(NEXT) | instid1(VALU_DEP_1)
	v_min_u32_e32 v35, 32, v8
	v_subrev_nc_u32_e32 v8, 28, v35
	v_sub_nc_u32_e32 v35, 29, v35
	s_delay_alu instid0(VALU_DEP_2) | instskip(NEXT) | instid1(VALU_DEP_1)
	v_lshlrev_b64 v[8:9], v8, v[12:13]
	v_and_b32_e32 v8, 7, v8
; %bb.3176:                             ;   in Loop: Header=BB468_3103 Depth=1
	s_or_b32 exec_lo, exec_lo, s4
	v_lshlrev_b32_e32 v9, 24, v34
	s_delay_alu instid0(VALU_DEP_2) | instskip(SKIP_1) | instid1(VALU_DEP_3)
	v_lshlrev_b32_e32 v8, 20, v8
	v_lshl_add_u32 v12, v35, 23, 0x3c000000
	v_and_b32_e32 v9, 0x80000000, v9
	s_delay_alu instid0(VALU_DEP_1)
	v_or3_b32 v8, v8, v9, v12
.LBB468_3177:                           ;   in Loop: Header=BB468_3103 Depth=1
	s_or_b32 exec_lo, exec_lo, s3
.LBB468_3178:                           ;   in Loop: Header=BB468_3103 Depth=1
	s_delay_alu instid0(SALU_CYCLE_1)
	s_or_b32 exec_lo, exec_lo, s2
.LBB468_3179:                           ;   in Loop: Header=BB468_3103 Depth=1
	s_delay_alu instid0(SALU_CYCLE_1) | instskip(NEXT) | instid1(VALU_DEP_1)
	s_or_b32 exec_lo, exec_lo, s1
	v_mul_f32_e32 v8, v26, v8
	s_mov_b32 s1, exec_lo
                                        ; implicit-def: $vgpr34
	s_delay_alu instid0(VALU_DEP_1) | instskip(NEXT) | instid1(VALU_DEP_1)
	v_and_b32_e32 v9, 0x7f800000, v8
	v_cmpx_ne_u32_e32 0x7f800000, v9
	s_xor_b32 s1, exec_lo, s1
; %bb.3180:                             ;   in Loop: Header=BB468_3103 Depth=1
	v_bfe_u32 v9, v8, 16, 1
	s_delay_alu instid0(VALU_DEP_1)
	v_add3_u32 v34, v8, v9, 0x7fff
                                        ; implicit-def: $vgpr8
; %bb.3181:                             ;   in Loop: Header=BB468_3103 Depth=1
	s_and_not1_saveexec_b32 s1, s1
; %bb.3182:                             ;   in Loop: Header=BB468_3103 Depth=1
	v_and_b32_e32 v9, 0xffff, v8
	v_or_b32_e32 v12, 0x10000, v8
	s_delay_alu instid0(VALU_DEP_2) | instskip(NEXT) | instid1(VALU_DEP_2)
	v_cmp_eq_u32_e32 vcc_lo, 0, v9
	v_cndmask_b32_e32 v34, v12, v8, vcc_lo
; %bb.3183:                             ;   in Loop: Header=BB468_3103 Depth=1
	s_or_b32 exec_lo, exec_lo, s1
	v_dual_mov_b32 v12, v7 :: v_dual_and_b32 v9, 0xff, v7
	v_mov_b32_e32 v8, 0
	s_mov_b32 s1, exec_lo
	s_delay_alu instid0(VALU_DEP_2)
	v_cmpx_ne_u16_e32 0, v9
	s_cbranch_execz .LBB468_3191
; %bb.3184:                             ;   in Loop: Header=BB468_3103 Depth=1
	v_bfrev_b32_e32 v8, 1
	s_mov_b32 s2, exec_lo
	v_cmpx_ne_u16_e32 0x80, v9
	s_cbranch_execz .LBB468_3190
; %bb.3185:                             ;   in Loop: Header=BB468_3103 Depth=1
	v_and_b32_e32 v9, 0x7f, v7
	v_mov_b32_e32 v8, 0x7f800001
	s_mov_b32 s3, exec_lo
	s_delay_alu instid0(VALU_DEP_2)
	v_cmpx_ne_u32_e32 0x7f, v9
	s_cbranch_execz .LBB468_3189
; %bb.3186:                             ;   in Loop: Header=BB468_3103 Depth=1
	v_lshrrev_b32_e32 v35, 3, v9
	v_cmp_gt_u32_e32 vcc_lo, 8, v9
	v_dual_mov_b32 v8, v12 :: v_dual_mov_b32 v9, v13
	s_and_saveexec_b32 s4, vcc_lo
; %bb.3187:                             ;   in Loop: Header=BB468_3103 Depth=1
	v_and_b32_e32 v8, 7, v7
	s_delay_alu instid0(VALU_DEP_1) | instskip(NEXT) | instid1(VALU_DEP_1)
	v_clz_i32_u32_e32 v8, v8
	v_min_u32_e32 v35, 32, v8
	s_delay_alu instid0(VALU_DEP_1) | instskip(SKIP_1) | instid1(VALU_DEP_2)
	v_subrev_nc_u32_e32 v8, 28, v35
	v_sub_nc_u32_e32 v35, 29, v35
	v_lshlrev_b64 v[8:9], v8, v[12:13]
; %bb.3188:                             ;   in Loop: Header=BB468_3103 Depth=1
	s_or_b32 exec_lo, exec_lo, s4
	s_delay_alu instid0(VALU_DEP_1) | instskip(SKIP_2) | instid1(VALU_DEP_3)
	v_lshlrev_b32_e32 v8, 20, v8
	v_lshlrev_b32_e32 v9, 24, v12
	v_lshl_add_u32 v35, v35, 23, 0x3c000000
	v_and_b32_e32 v8, 0x700000, v8
	s_delay_alu instid0(VALU_DEP_3) | instskip(NEXT) | instid1(VALU_DEP_1)
	v_and_b32_e32 v9, 0x80000000, v9
	v_or3_b32 v8, v8, v9, v35
.LBB468_3189:                           ;   in Loop: Header=BB468_3103 Depth=1
	s_or_b32 exec_lo, exec_lo, s3
.LBB468_3190:                           ;   in Loop: Header=BB468_3103 Depth=1
	s_delay_alu instid0(SALU_CYCLE_1)
	s_or_b32 exec_lo, exec_lo, s2
.LBB468_3191:                           ;   in Loop: Header=BB468_3103 Depth=1
	s_delay_alu instid0(SALU_CYCLE_1) | instskip(NEXT) | instid1(VALU_DEP_1)
	s_or_b32 exec_lo, exec_lo, s1
	v_mul_f32_e32 v8, v26, v8
	s_mov_b32 s1, exec_lo
                                        ; implicit-def: $vgpr35
	s_delay_alu instid0(VALU_DEP_1) | instskip(NEXT) | instid1(VALU_DEP_1)
	v_and_b32_e32 v9, 0x7f800000, v8
	v_cmpx_ne_u32_e32 0x7f800000, v9
	s_xor_b32 s1, exec_lo, s1
; %bb.3192:                             ;   in Loop: Header=BB468_3103 Depth=1
	v_bfe_u32 v9, v8, 16, 1
	s_delay_alu instid0(VALU_DEP_1)
	v_add3_u32 v35, v8, v9, 0x7fff
                                        ; implicit-def: $vgpr8
; %bb.3193:                             ;   in Loop: Header=BB468_3103 Depth=1
	s_and_not1_saveexec_b32 s1, s1
; %bb.3194:                             ;   in Loop: Header=BB468_3103 Depth=1
	v_and_b32_e32 v9, 0xffff, v8
	v_or_b32_e32 v35, 0x10000, v8
	s_delay_alu instid0(VALU_DEP_2) | instskip(NEXT) | instid1(VALU_DEP_2)
	v_cmp_eq_u32_e32 vcc_lo, 0, v9
	v_cndmask_b32_e32 v35, v35, v8, vcc_lo
; %bb.3195:                             ;   in Loop: Header=BB468_3103 Depth=1
	s_or_b32 exec_lo, exec_lo, s1
	v_lshrrev_b16 v9, 8, v12
	v_mov_b32_e32 v8, 0
	s_mov_b32 s1, exec_lo
	s_delay_alu instid0(VALU_DEP_2)
	v_cmpx_ne_u16_e32 0, v9
	s_cbranch_execz .LBB468_3203
; %bb.3196:                             ;   in Loop: Header=BB468_3103 Depth=1
	v_bfrev_b32_e32 v8, 1
	s_mov_b32 s2, exec_lo
	v_cmpx_ne_u16_e32 0x80, v9
	s_cbranch_execz .LBB468_3202
; %bb.3197:                             ;   in Loop: Header=BB468_3103 Depth=1
	v_and_b32_e32 v9, 0xffff, v9
	v_mov_b32_e32 v8, 0x7f800001
	s_mov_b32 s3, exec_lo
	s_delay_alu instid0(VALU_DEP_2) | instskip(NEXT) | instid1(VALU_DEP_1)
	v_and_b32_e32 v85, 0x7f, v9
	v_cmpx_ne_u32_e32 0x7f, v85
	s_cbranch_execz .LBB468_3201
; %bb.3198:                             ;   in Loop: Header=BB468_3103 Depth=1
	v_dual_mov_b32 v9, v13 :: v_dual_and_b32 v8, 7, v9
	v_lshrrev_b32_e32 v36, 3, v85
	s_mov_b32 s4, exec_lo
	v_cmpx_gt_u32_e32 8, v85
; %bb.3199:                             ;   in Loop: Header=BB468_3103 Depth=1
	s_delay_alu instid0(VALU_DEP_3) | instskip(NEXT) | instid1(VALU_DEP_1)
	v_clz_i32_u32_e32 v36, v8
	v_min_u32_e32 v36, 32, v36
	s_delay_alu instid0(VALU_DEP_1) | instskip(SKIP_1) | instid1(VALU_DEP_2)
	v_subrev_nc_u32_e32 v85, 28, v36
	v_sub_nc_u32_e32 v36, 29, v36
	v_lshlrev_b64 v[8:9], v85, v[8:9]
	s_delay_alu instid0(VALU_DEP_1)
	v_and_b32_e32 v8, 7, v8
; %bb.3200:                             ;   in Loop: Header=BB468_3103 Depth=1
	s_or_b32 exec_lo, exec_lo, s4
	v_lshlrev_b32_e32 v9, 16, v12
	s_delay_alu instid0(VALU_DEP_2) | instskip(SKIP_1) | instid1(VALU_DEP_3)
	v_lshlrev_b32_e32 v8, 20, v8
	v_lshl_add_u32 v12, v36, 23, 0x3c000000
	v_and_b32_e32 v9, 0x80000000, v9
	s_delay_alu instid0(VALU_DEP_1)
	v_or3_b32 v8, v8, v9, v12
.LBB468_3201:                           ;   in Loop: Header=BB468_3103 Depth=1
	s_or_b32 exec_lo, exec_lo, s3
.LBB468_3202:                           ;   in Loop: Header=BB468_3103 Depth=1
	s_delay_alu instid0(SALU_CYCLE_1)
	s_or_b32 exec_lo, exec_lo, s2
.LBB468_3203:                           ;   in Loop: Header=BB468_3103 Depth=1
	s_delay_alu instid0(SALU_CYCLE_1) | instskip(NEXT) | instid1(VALU_DEP_1)
	s_or_b32 exec_lo, exec_lo, s1
	v_mul_f32_e32 v8, v26, v8
	s_mov_b32 s1, exec_lo
                                        ; implicit-def: $vgpr36
	s_delay_alu instid0(VALU_DEP_1) | instskip(NEXT) | instid1(VALU_DEP_1)
	v_and_b32_e32 v9, 0x7f800000, v8
	v_cmpx_ne_u32_e32 0x7f800000, v9
	s_xor_b32 s1, exec_lo, s1
; %bb.3204:                             ;   in Loop: Header=BB468_3103 Depth=1
	v_bfe_u32 v9, v8, 16, 1
	s_delay_alu instid0(VALU_DEP_1)
	v_add3_u32 v36, v8, v9, 0x7fff
                                        ; implicit-def: $vgpr8
; %bb.3205:                             ;   in Loop: Header=BB468_3103 Depth=1
	s_and_not1_saveexec_b32 s1, s1
; %bb.3206:                             ;   in Loop: Header=BB468_3103 Depth=1
	v_and_b32_e32 v9, 0xffff, v8
	v_or_b32_e32 v12, 0x10000, v8
	s_delay_alu instid0(VALU_DEP_2) | instskip(NEXT) | instid1(VALU_DEP_2)
	v_cmp_eq_u32_e32 vcc_lo, 0, v9
	v_cndmask_b32_e32 v36, v12, v8, vcc_lo
; %bb.3207:                             ;   in Loop: Header=BB468_3103 Depth=1
	s_or_b32 exec_lo, exec_lo, s1
	v_lshrrev_b32_e32 v85, 16, v7
	s_mov_b32 s1, exec_lo
	s_delay_alu instid0(VALU_DEP_1) | instskip(NEXT) | instid1(VALU_DEP_1)
	v_dual_mov_b32 v8, 0 :: v_dual_and_b32 v9, 0xff, v85
	v_cmpx_ne_u16_e32 0, v9
	s_cbranch_execz .LBB468_3215
; %bb.3208:                             ;   in Loop: Header=BB468_3103 Depth=1
	v_bfrev_b32_e32 v8, 1
	s_mov_b32 s2, exec_lo
	v_cmpx_ne_u16_e32 0x80, v9
	s_cbranch_execz .LBB468_3214
; %bb.3209:                             ;   in Loop: Header=BB468_3103 Depth=1
	v_bfe_u32 v9, v7, 16, 7
	v_mov_b32_e32 v8, 0x7f800001
	s_mov_b32 s3, exec_lo
	s_delay_alu instid0(VALU_DEP_2)
	v_cmpx_ne_u32_e32 0x7f, v9
	s_cbranch_execz .LBB468_3213
; %bb.3210:                             ;   in Loop: Header=BB468_3103 Depth=1
	v_and_b32_e32 v12, 7, v85
	v_lshrrev_b32_e32 v86, 3, v9
	v_cmp_gt_u32_e32 vcc_lo, 8, v9
	s_delay_alu instid0(VALU_DEP_3)
	v_dual_mov_b32 v8, v12 :: v_dual_mov_b32 v9, v13
	s_and_saveexec_b32 s4, vcc_lo
; %bb.3211:                             ;   in Loop: Header=BB468_3103 Depth=1
	v_clz_i32_u32_e32 v8, v12
	s_delay_alu instid0(VALU_DEP_1) | instskip(NEXT) | instid1(VALU_DEP_1)
	v_min_u32_e32 v86, 32, v8
	v_subrev_nc_u32_e32 v8, 28, v86
	v_sub_nc_u32_e32 v86, 29, v86
	s_delay_alu instid0(VALU_DEP_2) | instskip(NEXT) | instid1(VALU_DEP_1)
	v_lshlrev_b64 v[8:9], v8, v[12:13]
	v_and_b32_e32 v8, 7, v8
; %bb.3212:                             ;   in Loop: Header=BB468_3103 Depth=1
	s_or_b32 exec_lo, exec_lo, s4
	v_lshlrev_b32_e32 v9, 24, v85
	s_delay_alu instid0(VALU_DEP_2) | instskip(SKIP_1) | instid1(VALU_DEP_3)
	v_lshlrev_b32_e32 v8, 20, v8
	v_lshl_add_u32 v12, v86, 23, 0x3c000000
	v_and_b32_e32 v9, 0x80000000, v9
	s_delay_alu instid0(VALU_DEP_1)
	v_or3_b32 v8, v8, v9, v12
.LBB468_3213:                           ;   in Loop: Header=BB468_3103 Depth=1
	s_or_b32 exec_lo, exec_lo, s3
.LBB468_3214:                           ;   in Loop: Header=BB468_3103 Depth=1
	s_delay_alu instid0(SALU_CYCLE_1)
	s_or_b32 exec_lo, exec_lo, s2
.LBB468_3215:                           ;   in Loop: Header=BB468_3103 Depth=1
	s_delay_alu instid0(SALU_CYCLE_1) | instskip(NEXT) | instid1(VALU_DEP_1)
	s_or_b32 exec_lo, exec_lo, s1
	v_mul_f32_e32 v8, v26, v8
	s_mov_b32 s1, exec_lo
                                        ; implicit-def: $vgpr85
	s_delay_alu instid0(VALU_DEP_1) | instskip(NEXT) | instid1(VALU_DEP_1)
	v_and_b32_e32 v9, 0x7f800000, v8
	v_cmpx_ne_u32_e32 0x7f800000, v9
	s_xor_b32 s1, exec_lo, s1
; %bb.3216:                             ;   in Loop: Header=BB468_3103 Depth=1
	v_bfe_u32 v9, v8, 16, 1
	s_delay_alu instid0(VALU_DEP_1)
	v_add3_u32 v85, v8, v9, 0x7fff
                                        ; implicit-def: $vgpr8
; %bb.3217:                             ;   in Loop: Header=BB468_3103 Depth=1
	s_and_not1_saveexec_b32 s1, s1
; %bb.3218:                             ;   in Loop: Header=BB468_3103 Depth=1
	v_and_b32_e32 v9, 0xffff, v8
	v_or_b32_e32 v12, 0x10000, v8
	s_delay_alu instid0(VALU_DEP_2) | instskip(NEXT) | instid1(VALU_DEP_2)
	v_cmp_eq_u32_e32 vcc_lo, 0, v9
	v_cndmask_b32_e32 v85, v12, v8, vcc_lo
; %bb.3219:                             ;   in Loop: Header=BB468_3103 Depth=1
	s_or_b32 exec_lo, exec_lo, s1
	v_cmp_lt_u64_e32 vcc_lo, s[12:13], v[6:7]
	v_mov_b32_e32 v6, 0
	s_and_saveexec_b32 s1, vcc_lo
	s_cbranch_execz .LBB468_3227
; %bb.3220:                             ;   in Loop: Header=BB468_3103 Depth=1
	v_lshrrev_b32_e32 v8, 24, v7
	v_bfrev_b32_e32 v6, 1
	s_mov_b32 s2, exec_lo
	s_delay_alu instid0(VALU_DEP_2)
	v_cmpx_ne_u32_e32 0x80, v8
	s_cbranch_execz .LBB468_3226
; %bb.3221:                             ;   in Loop: Header=BB468_3103 Depth=1
	v_bfe_u32 v7, v7, 24, 7
	v_mov_b32_e32 v6, 0x7f800001
	s_mov_b32 s3, exec_lo
	s_delay_alu instid0(VALU_DEP_2)
	v_cmpx_ne_u32_e32 0x7f, v7
	s_cbranch_execz .LBB468_3225
; %bb.3222:                             ;   in Loop: Header=BB468_3103 Depth=1
	v_and_b32_e32 v12, 7, v8
	v_lshrrev_b32_e32 v9, 3, v7
	v_cmp_gt_u32_e32 vcc_lo, 8, v7
	s_delay_alu instid0(VALU_DEP_3)
	v_dual_mov_b32 v6, v12 :: v_dual_mov_b32 v7, v13
	s_and_saveexec_b32 s4, vcc_lo
; %bb.3223:                             ;   in Loop: Header=BB468_3103 Depth=1
	v_clz_i32_u32_e32 v6, v12
	s_delay_alu instid0(VALU_DEP_1) | instskip(NEXT) | instid1(VALU_DEP_1)
	v_min_u32_e32 v9, 32, v6
	v_subrev_nc_u32_e32 v6, 28, v9
	v_sub_nc_u32_e32 v9, 29, v9
	s_delay_alu instid0(VALU_DEP_2) | instskip(NEXT) | instid1(VALU_DEP_1)
	v_lshlrev_b64 v[6:7], v6, v[12:13]
	v_and_b32_e32 v6, 7, v6
; %bb.3224:                             ;   in Loop: Header=BB468_3103 Depth=1
	s_or_b32 exec_lo, exec_lo, s4
	v_lshlrev_b32_e32 v7, 24, v8
	s_delay_alu instid0(VALU_DEP_2) | instskip(SKIP_1) | instid1(VALU_DEP_3)
	v_lshlrev_b32_e32 v6, 20, v6
	v_lshl_add_u32 v8, v9, 23, 0x3c000000
	v_and_b32_e32 v7, 0x80000000, v7
	s_delay_alu instid0(VALU_DEP_1)
	v_or3_b32 v6, v6, v7, v8
.LBB468_3225:                           ;   in Loop: Header=BB468_3103 Depth=1
	s_or_b32 exec_lo, exec_lo, s3
.LBB468_3226:                           ;   in Loop: Header=BB468_3103 Depth=1
	s_delay_alu instid0(SALU_CYCLE_1)
	s_or_b32 exec_lo, exec_lo, s2
.LBB468_3227:                           ;   in Loop: Header=BB468_3103 Depth=1
	s_delay_alu instid0(SALU_CYCLE_1) | instskip(NEXT) | instid1(VALU_DEP_1)
	s_or_b32 exec_lo, exec_lo, s1
	v_mul_f32_e32 v7, v26, v6
	s_delay_alu instid0(VALU_DEP_1) | instskip(NEXT) | instid1(VALU_DEP_1)
	v_and_b32_e32 v6, 0x7f800000, v7
	v_cmp_ne_u32_e32 vcc_lo, 0x7f800000, v6
                                        ; implicit-def: $vgpr6
	s_and_saveexec_b32 s1, vcc_lo
	s_delay_alu instid0(SALU_CYCLE_1)
	s_xor_b32 s1, exec_lo, s1
; %bb.3228:                             ;   in Loop: Header=BB468_3103 Depth=1
	v_bfe_u32 v6, v7, 16, 1
	s_delay_alu instid0(VALU_DEP_1)
	v_add3_u32 v6, v7, v6, 0x7fff
                                        ; implicit-def: $vgpr7
; %bb.3229:                             ;   in Loop: Header=BB468_3103 Depth=1
	s_and_not1_saveexec_b32 s1, s1
; %bb.3230:                             ;   in Loop: Header=BB468_3103 Depth=1
	v_and_b32_e32 v6, 0xffff, v7
	v_or_b32_e32 v8, 0x10000, v7
	s_delay_alu instid0(VALU_DEP_2) | instskip(NEXT) | instid1(VALU_DEP_2)
	v_cmp_eq_u32_e32 vcc_lo, 0, v6
	v_cndmask_b32_e32 v6, v8, v7, vcc_lo
; %bb.3231:                             ;   in Loop: Header=BB468_3103 Depth=1
	s_or_b32 exec_lo, exec_lo, s1
	scratch_load_b32 v9, off, s32 offset:812 ; 4-byte Folded Reload
	v_add_nc_u32_e32 v7, 1, v117
	v_add_nc_u32_e32 v8, 2, v117
	;; [unrolled: 1-line block ×4, first 2 shown]
	v_cmp_lt_i32_e32 vcc_lo, v117, v37
	v_cmp_lt_i32_e64 s1, v7, v37
	v_cmp_lt_i32_e64 s2, v8, v37
	v_add_nc_u32_e32 v7, 3, v117
	v_add_nc_u32_e32 v8, 4, v117
	v_cmp_lt_i32_e64 s7, v12, v37
	v_cmp_lt_i32_e64 s8, v86, v37
	v_lshrrev_b32_e32 v12, 16, v34
	v_cmp_lt_i32_e64 s4, v7, v37
	v_cmp_lt_i32_e64 s5, v8, v37
	v_lshrrev_b32_e32 v8, 16, v36
	v_lshrrev_b32_e32 v27, 16, v27
	;; [unrolled: 1-line block ×6, first 2 shown]
	s_waitcnt vmcnt(0)
	v_cmp_eq_u32_e64 s3, v9, v16
	v_add_nc_u32_e32 v9, 5, v117
	s_delay_alu instid0(VALU_DEP_1) | instskip(SKIP_1) | instid1(VALU_DEP_4)
	v_cmp_lt_i32_e64 s6, v9, v37
	v_lshrrev_b32_e32 v9, 16, v35
	s_and_saveexec_b32 s9, s3
; %bb.3232:                             ;   in Loop: Header=BB468_3103 Depth=1
	v_cndmask_b32_e32 v22, 0, v22, vcc_lo
	v_cndmask_b32_e64 v23, 0, v23, s1
	v_cndmask_b32_e64 v27, 0, v27, s2
	;; [unrolled: 1-line block ×7, first 2 shown]
; %bb.3233:                             ;   in Loop: Header=BB468_3103 Depth=1
	s_or_b32 exec_lo, exec_lo, s9
	v_and_b32_e32 v151, 0xffff0000, v20
	v_lshlrev_b32_e32 v20, 16, v22
	s_delay_alu instid0(VALU_DEP_1) | instskip(NEXT) | instid1(VALU_DEP_1)
	v_mul_f32_e32 v20, v151, v20
	v_and_b32_e32 v22, 0x7f800000, v20
	s_delay_alu instid0(VALU_DEP_1) | instskip(NEXT) | instid1(VALU_DEP_1)
	v_cmp_ne_u32_e64 s9, 0x7f800000, v22
                                        ; implicit-def: $vgpr22
                                        ; kill: killed $vgpr22
	s_and_saveexec_b32 s22, s9
	s_delay_alu instid0(SALU_CYCLE_1)
	s_xor_b32 s9, exec_lo, s22
	s_cbranch_execz .LBB468_3235
; %bb.3234:                             ;   in Loop: Header=BB468_3103 Depth=1
	v_bfe_u32 v22, v20, 16, 1
	s_delay_alu instid0(VALU_DEP_1)
	v_add3_u32 v20, v20, v22, 0x7fff
	scratch_store_b32 off, v20, s32 offset:328 ; 4-byte Folded Spill
                                        ; implicit-def: $vgpr20
.LBB468_3235:                           ;   in Loop: Header=BB468_3103 Depth=1
	s_and_not1_saveexec_b32 s22, s9
	s_cbranch_execz .LBB468_3237
; %bb.3236:                             ;   in Loop: Header=BB468_3103 Depth=1
	v_and_b32_e32 v22, 0xffff, v20
	v_or_b32_e32 v34, 0x10000, v20
	s_delay_alu instid0(VALU_DEP_2) | instskip(NEXT) | instid1(VALU_DEP_1)
	v_cmp_eq_u32_e64 s9, 0, v22
	v_cndmask_b32_e64 v20, v34, v20, s9
	scratch_store_b32 off, v20, s32 offset:328 ; 4-byte Folded Spill
.LBB468_3237:                           ;   in Loop: Header=BB468_3103 Depth=1
	s_or_b32 exec_lo, exec_lo, s22
	v_and_b32_e32 v160, 0xffff0000, v19
	v_lshlrev_b32_e32 v19, 16, v23
	s_delay_alu instid0(VALU_DEP_1) | instskip(NEXT) | instid1(VALU_DEP_1)
	v_mul_f32_e32 v19, v160, v19
	v_and_b32_e32 v20, 0x7f800000, v19
	s_delay_alu instid0(VALU_DEP_1) | instskip(NEXT) | instid1(VALU_DEP_1)
	v_cmp_ne_u32_e64 s9, 0x7f800000, v20
                                        ; implicit-def: $vgpr20
                                        ; kill: killed $vgpr20
	s_and_saveexec_b32 s22, s9
	s_delay_alu instid0(SALU_CYCLE_1)
	s_xor_b32 s9, exec_lo, s22
	s_cbranch_execz .LBB468_3239
; %bb.3238:                             ;   in Loop: Header=BB468_3103 Depth=1
	v_bfe_u32 v20, v19, 16, 1
	s_delay_alu instid0(VALU_DEP_1)
	v_add3_u32 v19, v19, v20, 0x7fff
	scratch_store_b32 off, v19, s32 offset:332 ; 4-byte Folded Spill
                                        ; implicit-def: $vgpr19
.LBB468_3239:                           ;   in Loop: Header=BB468_3103 Depth=1
	s_and_not1_saveexec_b32 s22, s9
	s_cbranch_execz .LBB468_3241
; %bb.3240:                             ;   in Loop: Header=BB468_3103 Depth=1
	v_and_b32_e32 v20, 0xffff, v19
	v_or_b32_e32 v22, 0x10000, v19
	s_delay_alu instid0(VALU_DEP_2) | instskip(NEXT) | instid1(VALU_DEP_1)
	v_cmp_eq_u32_e64 s9, 0, v20
	v_cndmask_b32_e64 v19, v22, v19, s9
	scratch_store_b32 off, v19, s32 offset:332 ; 4-byte Folded Spill
.LBB468_3241:                           ;   in Loop: Header=BB468_3103 Depth=1
	s_or_b32 exec_lo, exec_lo, s22
	v_and_b32_e32 v161, 0xffff0000, v18
	v_lshlrev_b32_e32 v18, 16, v27
	s_delay_alu instid0(VALU_DEP_1) | instskip(NEXT) | instid1(VALU_DEP_1)
	v_mul_f32_e32 v18, v161, v18
	v_and_b32_e32 v19, 0x7f800000, v18
	s_delay_alu instid0(VALU_DEP_1) | instskip(NEXT) | instid1(VALU_DEP_1)
	v_cmp_ne_u32_e64 s9, 0x7f800000, v19
                                        ; implicit-def: $vgpr19
                                        ; kill: killed $vgpr19
	s_and_saveexec_b32 s22, s9
	s_delay_alu instid0(SALU_CYCLE_1)
	s_xor_b32 s9, exec_lo, s22
	s_cbranch_execz .LBB468_3243
; %bb.3242:                             ;   in Loop: Header=BB468_3103 Depth=1
	v_bfe_u32 v19, v18, 16, 1
	s_delay_alu instid0(VALU_DEP_1)
	v_add3_u32 v18, v18, v19, 0x7fff
	scratch_store_b32 off, v18, s32 offset:336 ; 4-byte Folded Spill
                                        ; implicit-def: $vgpr18
.LBB468_3243:                           ;   in Loop: Header=BB468_3103 Depth=1
	s_and_not1_saveexec_b32 s22, s9
	s_cbranch_execz .LBB468_3245
; %bb.3244:                             ;   in Loop: Header=BB468_3103 Depth=1
	v_and_b32_e32 v19, 0xffff, v18
	v_or_b32_e32 v20, 0x10000, v18
	s_delay_alu instid0(VALU_DEP_2) | instskip(NEXT) | instid1(VALU_DEP_1)
	v_cmp_eq_u32_e64 s9, 0, v19
	v_cndmask_b32_e64 v18, v20, v18, s9
	scratch_store_b32 off, v18, s32 offset:336 ; 4-byte Folded Spill
.LBB468_3245:                           ;   in Loop: Header=BB468_3103 Depth=1
	s_or_b32 exec_lo, exec_lo, s22
	v_and_b32_e32 v162, 0xffff0000, v17
	v_lshlrev_b32_e32 v12, 16, v12
	s_delay_alu instid0(VALU_DEP_1) | instskip(NEXT) | instid1(VALU_DEP_1)
	v_mul_f32_e32 v12, v162, v12
	v_and_b32_e32 v17, 0x7f800000, v12
	s_delay_alu instid0(VALU_DEP_1) | instskip(NEXT) | instid1(VALU_DEP_1)
	v_cmp_ne_u32_e64 s9, 0x7f800000, v17
                                        ; implicit-def: $vgpr17
                                        ; kill: killed $vgpr17
	s_and_saveexec_b32 s22, s9
	s_delay_alu instid0(SALU_CYCLE_1)
	s_xor_b32 s9, exec_lo, s22
	s_cbranch_execz .LBB468_3247
; %bb.3246:                             ;   in Loop: Header=BB468_3103 Depth=1
	v_bfe_u32 v17, v12, 16, 1
	s_delay_alu instid0(VALU_DEP_1)
	v_add3_u32 v12, v12, v17, 0x7fff
	scratch_store_b32 off, v12, s32 offset:340 ; 4-byte Folded Spill
                                        ; implicit-def: $vgpr12
.LBB468_3247:                           ;   in Loop: Header=BB468_3103 Depth=1
	s_and_not1_saveexec_b32 s22, s9
	s_cbranch_execz .LBB468_3249
; %bb.3248:                             ;   in Loop: Header=BB468_3103 Depth=1
	v_and_b32_e32 v17, 0xffff, v12
	v_or_b32_e32 v18, 0x10000, v12
	s_delay_alu instid0(VALU_DEP_2) | instskip(NEXT) | instid1(VALU_DEP_1)
	v_cmp_eq_u32_e64 s9, 0, v17
	v_cndmask_b32_e64 v12, v18, v12, s9
	scratch_store_b32 off, v12, s32 offset:340 ; 4-byte Folded Spill
.LBB468_3249:                           ;   in Loop: Header=BB468_3103 Depth=1
	s_or_b32 exec_lo, exec_lo, s22
	v_and_b32_e32 v163, 0xffff0000, v11
	v_lshlrev_b32_e32 v9, 16, v9
	s_delay_alu instid0(VALU_DEP_1) | instskip(NEXT) | instid1(VALU_DEP_1)
	v_mul_f32_e32 v9, v163, v9
	v_and_b32_e32 v11, 0x7f800000, v9
	s_delay_alu instid0(VALU_DEP_1) | instskip(NEXT) | instid1(VALU_DEP_1)
	v_cmp_ne_u32_e64 s9, 0x7f800000, v11
                                        ; implicit-def: $vgpr11
                                        ; kill: killed $vgpr11
	s_and_saveexec_b32 s22, s9
	s_delay_alu instid0(SALU_CYCLE_1)
	s_xor_b32 s9, exec_lo, s22
	s_cbranch_execz .LBB468_3251
; %bb.3250:                             ;   in Loop: Header=BB468_3103 Depth=1
	v_bfe_u32 v11, v9, 16, 1
	s_delay_alu instid0(VALU_DEP_1)
	v_add3_u32 v9, v9, v11, 0x7fff
	scratch_store_b32 off, v9, s32 offset:344 ; 4-byte Folded Spill
                                        ; implicit-def: $vgpr9
.LBB468_3251:                           ;   in Loop: Header=BB468_3103 Depth=1
	s_and_not1_saveexec_b32 s22, s9
	s_cbranch_execz .LBB468_3253
; %bb.3252:                             ;   in Loop: Header=BB468_3103 Depth=1
	v_and_b32_e32 v11, 0xffff, v9
	v_or_b32_e32 v12, 0x10000, v9
	s_delay_alu instid0(VALU_DEP_2) | instskip(NEXT) | instid1(VALU_DEP_1)
	v_cmp_eq_u32_e64 s9, 0, v11
	v_cndmask_b32_e64 v9, v12, v9, s9
	scratch_store_b32 off, v9, s32 offset:344 ; 4-byte Folded Spill
.LBB468_3253:                           ;   in Loop: Header=BB468_3103 Depth=1
	s_or_b32 exec_lo, exec_lo, s22
	v_and_b32_e32 v164, 0xffff0000, v10
	v_lshlrev_b32_e32 v8, 16, v8
	s_delay_alu instid0(VALU_DEP_1) | instskip(NEXT) | instid1(VALU_DEP_1)
	v_mul_f32_e32 v8, v164, v8
	v_and_b32_e32 v9, 0x7f800000, v8
	s_delay_alu instid0(VALU_DEP_1) | instskip(NEXT) | instid1(VALU_DEP_1)
	v_cmp_ne_u32_e64 s9, 0x7f800000, v9
                                        ; implicit-def: $vgpr9
                                        ; kill: killed $vgpr9
	s_and_saveexec_b32 s22, s9
	s_delay_alu instid0(SALU_CYCLE_1)
	s_xor_b32 s9, exec_lo, s22
	s_cbranch_execz .LBB468_3255
; %bb.3254:                             ;   in Loop: Header=BB468_3103 Depth=1
	v_bfe_u32 v9, v8, 16, 1
	s_delay_alu instid0(VALU_DEP_1)
	v_add3_u32 v8, v8, v9, 0x7fff
	scratch_store_b32 off, v8, s32 offset:348 ; 4-byte Folded Spill
                                        ; implicit-def: $vgpr8
.LBB468_3255:                           ;   in Loop: Header=BB468_3103 Depth=1
	s_and_not1_saveexec_b32 s22, s9
	s_cbranch_execz .LBB468_3257
; %bb.3256:                             ;   in Loop: Header=BB468_3103 Depth=1
	v_and_b32_e32 v9, 0xffff, v8
	v_or_b32_e32 v10, 0x10000, v8
	s_delay_alu instid0(VALU_DEP_2) | instskip(NEXT) | instid1(VALU_DEP_1)
	v_cmp_eq_u32_e64 s9, 0, v9
	v_cndmask_b32_e64 v8, v10, v8, s9
	scratch_store_b32 off, v8, s32 offset:348 ; 4-byte Folded Spill
.LBB468_3257:                           ;   in Loop: Header=BB468_3103 Depth=1
	s_or_b32 exec_lo, exec_lo, s22
	v_and_b32_e32 v165, 0xffff0000, v5
	v_lshlrev_b32_e32 v5, 16, v7
	s_delay_alu instid0(VALU_DEP_1) | instskip(NEXT) | instid1(VALU_DEP_1)
	v_mul_f32_e32 v5, v165, v5
	v_and_b32_e32 v7, 0x7f800000, v5
	s_delay_alu instid0(VALU_DEP_1) | instskip(NEXT) | instid1(VALU_DEP_1)
	v_cmp_ne_u32_e64 s9, 0x7f800000, v7
                                        ; implicit-def: $vgpr7
                                        ; kill: killed $vgpr7
	s_and_saveexec_b32 s22, s9
	s_delay_alu instid0(SALU_CYCLE_1)
	s_xor_b32 s9, exec_lo, s22
	s_cbranch_execz .LBB468_3259
; %bb.3258:                             ;   in Loop: Header=BB468_3103 Depth=1
	v_bfe_u32 v7, v5, 16, 1
	s_delay_alu instid0(VALU_DEP_1)
	v_add3_u32 v5, v5, v7, 0x7fff
	scratch_store_b32 off, v5, s32 offset:352 ; 4-byte Folded Spill
                                        ; implicit-def: $vgpr5
.LBB468_3259:                           ;   in Loop: Header=BB468_3103 Depth=1
	s_and_not1_saveexec_b32 s22, s9
	s_cbranch_execz .LBB468_3261
; %bb.3260:                             ;   in Loop: Header=BB468_3103 Depth=1
	v_and_b32_e32 v7, 0xffff, v5
	v_or_b32_e32 v8, 0x10000, v5
	s_delay_alu instid0(VALU_DEP_2) | instskip(NEXT) | instid1(VALU_DEP_1)
	v_cmp_eq_u32_e64 s9, 0, v7
	v_cndmask_b32_e64 v5, v8, v5, s9
	scratch_store_b32 off, v5, s32 offset:352 ; 4-byte Folded Spill
.LBB468_3261:                           ;   in Loop: Header=BB468_3103 Depth=1
	s_or_b32 exec_lo, exec_lo, s22
	v_and_b32_e32 v166, 0xffff0000, v4
	v_lshlrev_b32_e32 v4, 16, v6
	s_delay_alu instid0(VALU_DEP_1) | instskip(NEXT) | instid1(VALU_DEP_1)
	v_mul_f32_e32 v4, v166, v4
	v_and_b32_e32 v5, 0x7f800000, v4
	s_delay_alu instid0(VALU_DEP_1) | instskip(NEXT) | instid1(VALU_DEP_1)
	v_cmp_ne_u32_e64 s9, 0x7f800000, v5
                                        ; implicit-def: $vgpr5
                                        ; kill: killed $vgpr5
	s_and_saveexec_b32 s22, s9
	s_delay_alu instid0(SALU_CYCLE_1)
	s_xor_b32 s9, exec_lo, s22
	s_cbranch_execz .LBB468_3263
; %bb.3262:                             ;   in Loop: Header=BB468_3103 Depth=1
	v_bfe_u32 v5, v4, 16, 1
	s_delay_alu instid0(VALU_DEP_1)
	v_add3_u32 v4, v4, v5, 0x7fff
	scratch_store_b32 off, v4, s32 offset:356 ; 4-byte Folded Spill
                                        ; implicit-def: $vgpr4
.LBB468_3263:                           ;   in Loop: Header=BB468_3103 Depth=1
	s_and_not1_saveexec_b32 s22, s9
	s_cbranch_execz .LBB468_3265
; %bb.3264:                             ;   in Loop: Header=BB468_3103 Depth=1
	v_and_b32_e32 v5, 0xffff, v4
	v_or_b32_e32 v6, 0x10000, v4
	s_delay_alu instid0(VALU_DEP_2) | instskip(NEXT) | instid1(VALU_DEP_1)
	v_cmp_eq_u32_e64 s9, 0, v5
	v_cndmask_b32_e64 v4, v6, v4, s9
	scratch_store_b32 off, v4, s32 offset:356 ; 4-byte Folded Spill
.LBB468_3265:                           ;   in Loop: Header=BB468_3103 Depth=1
	s_or_b32 exec_lo, exec_lo, s22
	flat_load_b64 v[6:7], v[2:3] offset:256
	s_mov_b32 s22, exec_lo
	s_waitcnt vmcnt(0) lgkmcnt(0)
	v_dual_mov_b32 v4, 0 :: v_dual_and_b32 v5, 0xff, v6
	s_delay_alu instid0(VALU_DEP_1)
	v_cmpx_ne_u16_e32 0, v5
	s_cbranch_execz .LBB468_3273
; %bb.3266:                             ;   in Loop: Header=BB468_3103 Depth=1
	v_bfrev_b32_e32 v4, 1
	s_mov_b32 s23, exec_lo
	v_cmpx_ne_u16_e32 0x80, v5
	s_cbranch_execz .LBB468_3272
; %bb.3267:                             ;   in Loop: Header=BB468_3103 Depth=1
	v_and_b32_e32 v5, 0x7f, v6
	v_mov_b32_e32 v4, 0x7f800001
	s_mov_b32 s24, exec_lo
	s_delay_alu instid0(VALU_DEP_2)
	v_cmpx_ne_u32_e32 0x7f, v5
	s_cbranch_execz .LBB468_3271
; %bb.3268:                             ;   in Loop: Header=BB468_3103 Depth=1
	v_lshrrev_b32_e32 v4, 3, v5
	v_dual_mov_b32 v9, v7 :: v_dual_mov_b32 v8, v6
	s_mov_b32 s25, exec_lo
	v_cmpx_gt_u32_e32 8, v5
; %bb.3269:                             ;   in Loop: Header=BB468_3103 Depth=1
	v_and_b32_e32 v4, 7, v6
	s_delay_alu instid0(VALU_DEP_1) | instskip(NEXT) | instid1(VALU_DEP_1)
	v_clz_i32_u32_e32 v4, v4
	v_min_u32_e32 v4, 32, v4
	s_delay_alu instid0(VALU_DEP_1) | instskip(SKIP_1) | instid1(VALU_DEP_2)
	v_subrev_nc_u32_e32 v5, 28, v4
	v_sub_nc_u32_e32 v4, 29, v4
	v_lshlrev_b64 v[8:9], v5, v[6:7]
; %bb.3270:                             ;   in Loop: Header=BB468_3103 Depth=1
	s_or_b32 exec_lo, exec_lo, s25
	s_delay_alu instid0(VALU_DEP_1) | instskip(SKIP_2) | instid1(VALU_DEP_3)
	v_lshlrev_b32_e32 v5, 20, v8
	v_lshlrev_b32_e32 v8, 24, v6
	v_lshl_add_u32 v4, v4, 23, 0x3c000000
	v_and_b32_e32 v5, 0x700000, v5
	s_delay_alu instid0(VALU_DEP_3) | instskip(NEXT) | instid1(VALU_DEP_1)
	v_and_b32_e32 v8, 0x80000000, v8
	v_or3_b32 v4, v5, v8, v4
.LBB468_3271:                           ;   in Loop: Header=BB468_3103 Depth=1
	s_or_b32 exec_lo, exec_lo, s24
.LBB468_3272:                           ;   in Loop: Header=BB468_3103 Depth=1
	s_delay_alu instid0(SALU_CYCLE_1)
	s_or_b32 exec_lo, exec_lo, s23
.LBB468_3273:                           ;   in Loop: Header=BB468_3103 Depth=1
	s_delay_alu instid0(SALU_CYCLE_1) | instskip(NEXT) | instid1(VALU_DEP_1)
	s_or_b32 exec_lo, exec_lo, s22
	v_mul_f32_e32 v5, v26, v4
	s_delay_alu instid0(VALU_DEP_1) | instskip(NEXT) | instid1(VALU_DEP_1)
	v_and_b32_e32 v4, 0x7f800000, v5
	v_cmp_ne_u32_e64 s9, 0x7f800000, v4
                                        ; implicit-def: $vgpr4
	s_delay_alu instid0(VALU_DEP_1) | instskip(NEXT) | instid1(SALU_CYCLE_1)
	s_and_saveexec_b32 s22, s9
	s_xor_b32 s9, exec_lo, s22
; %bb.3274:                             ;   in Loop: Header=BB468_3103 Depth=1
	v_bfe_u32 v4, v5, 16, 1
	s_delay_alu instid0(VALU_DEP_1)
	v_add3_u32 v4, v5, v4, 0x7fff
                                        ; implicit-def: $vgpr5
; %bb.3275:                             ;   in Loop: Header=BB468_3103 Depth=1
	s_and_not1_saveexec_b32 s22, s9
; %bb.3276:                             ;   in Loop: Header=BB468_3103 Depth=1
	v_and_b32_e32 v4, 0xffff, v5
	v_or_b32_e32 v8, 0x10000, v5
	s_delay_alu instid0(VALU_DEP_2) | instskip(NEXT) | instid1(VALU_DEP_1)
	v_cmp_eq_u32_e64 s9, 0, v4
	v_cndmask_b32_e64 v4, v8, v5, s9
; %bb.3277:                             ;   in Loop: Header=BB468_3103 Depth=1
	s_or_b32 exec_lo, exec_lo, s22
	v_lshrrev_b16 v8, 8, v6
	v_mov_b32_e32 v5, 0
	s_mov_b32 s22, exec_lo
	s_delay_alu instid0(VALU_DEP_2)
	v_cmpx_ne_u16_e32 0, v8
	s_cbranch_execz .LBB468_3285
; %bb.3278:                             ;   in Loop: Header=BB468_3103 Depth=1
	v_bfrev_b32_e32 v5, 1
	s_mov_b32 s23, exec_lo
	v_cmpx_ne_u16_e32 0x80, v8
	s_cbranch_execz .LBB468_3284
; %bb.3279:                             ;   in Loop: Header=BB468_3103 Depth=1
	v_and_b32_e32 v9, 0xffff, v8
	v_mov_b32_e32 v5, 0x7f800001
	s_mov_b32 s24, exec_lo
	s_delay_alu instid0(VALU_DEP_2) | instskip(NEXT) | instid1(VALU_DEP_1)
	v_and_b32_e32 v8, 0x7f, v9
	v_cmpx_ne_u32_e32 0x7f, v8
	s_cbranch_execz .LBB468_3283
; %bb.3280:                             ;   in Loop: Header=BB468_3103 Depth=1
	v_and_b32_e32 v12, 7, v9
	v_lshrrev_b32_e32 v5, 3, v8
	v_cmp_gt_u32_e64 s9, 8, v8
	s_delay_alu instid0(VALU_DEP_3) | instskip(NEXT) | instid1(VALU_DEP_2)
	v_dual_mov_b32 v8, v12 :: v_dual_mov_b32 v9, v13
	s_and_saveexec_b32 s25, s9
; %bb.3281:                             ;   in Loop: Header=BB468_3103 Depth=1
	v_clz_i32_u32_e32 v5, v12
	s_delay_alu instid0(VALU_DEP_1) | instskip(NEXT) | instid1(VALU_DEP_1)
	v_min_u32_e32 v5, 32, v5
	v_subrev_nc_u32_e32 v8, 28, v5
	v_sub_nc_u32_e32 v5, 29, v5
	s_delay_alu instid0(VALU_DEP_2) | instskip(NEXT) | instid1(VALU_DEP_1)
	v_lshlrev_b64 v[8:9], v8, v[12:13]
	v_and_b32_e32 v8, 7, v8
; %bb.3282:                             ;   in Loop: Header=BB468_3103 Depth=1
	s_or_b32 exec_lo, exec_lo, s25
	v_lshlrev_b32_e32 v9, 16, v6
	s_delay_alu instid0(VALU_DEP_2) | instskip(SKIP_1) | instid1(VALU_DEP_3)
	v_lshlrev_b32_e32 v8, 20, v8
	v_lshl_add_u32 v5, v5, 23, 0x3c000000
	v_and_b32_e32 v9, 0x80000000, v9
	s_delay_alu instid0(VALU_DEP_1)
	v_or3_b32 v5, v8, v9, v5
.LBB468_3283:                           ;   in Loop: Header=BB468_3103 Depth=1
	s_or_b32 exec_lo, exec_lo, s24
.LBB468_3284:                           ;   in Loop: Header=BB468_3103 Depth=1
	s_delay_alu instid0(SALU_CYCLE_1)
	s_or_b32 exec_lo, exec_lo, s23
.LBB468_3285:                           ;   in Loop: Header=BB468_3103 Depth=1
	s_delay_alu instid0(SALU_CYCLE_1) | instskip(NEXT) | instid1(VALU_DEP_1)
	s_or_b32 exec_lo, exec_lo, s22
	v_mul_f32_e32 v8, v26, v5
	s_delay_alu instid0(VALU_DEP_1) | instskip(NEXT) | instid1(VALU_DEP_1)
	v_and_b32_e32 v5, 0x7f800000, v8
	v_cmp_ne_u32_e64 s9, 0x7f800000, v5
                                        ; implicit-def: $vgpr5
	s_delay_alu instid0(VALU_DEP_1) | instskip(NEXT) | instid1(SALU_CYCLE_1)
	s_and_saveexec_b32 s22, s9
	s_xor_b32 s9, exec_lo, s22
; %bb.3286:                             ;   in Loop: Header=BB468_3103 Depth=1
	v_bfe_u32 v5, v8, 16, 1
	s_delay_alu instid0(VALU_DEP_1)
	v_add3_u32 v5, v8, v5, 0x7fff
                                        ; implicit-def: $vgpr8
; %bb.3287:                             ;   in Loop: Header=BB468_3103 Depth=1
	s_and_not1_saveexec_b32 s22, s9
; %bb.3288:                             ;   in Loop: Header=BB468_3103 Depth=1
	v_and_b32_e32 v5, 0xffff, v8
	v_or_b32_e32 v9, 0x10000, v8
	s_delay_alu instid0(VALU_DEP_2) | instskip(NEXT) | instid1(VALU_DEP_1)
	v_cmp_eq_u32_e64 s9, 0, v5
	v_cndmask_b32_e64 v5, v9, v8, s9
; %bb.3289:                             ;   in Loop: Header=BB468_3103 Depth=1
	s_or_b32 exec_lo, exec_lo, s22
	v_lshrrev_b32_e32 v10, 16, v6
	s_mov_b32 s22, exec_lo
	s_delay_alu instid0(VALU_DEP_1) | instskip(NEXT) | instid1(VALU_DEP_1)
	v_dual_mov_b32 v8, 0 :: v_dual_and_b32 v9, 0xff, v10
	v_cmpx_ne_u16_e32 0, v9
	s_cbranch_execz .LBB468_3297
; %bb.3290:                             ;   in Loop: Header=BB468_3103 Depth=1
	v_bfrev_b32_e32 v8, 1
	s_mov_b32 s23, exec_lo
	v_cmpx_ne_u16_e32 0x80, v9
	s_cbranch_execz .LBB468_3296
; %bb.3291:                             ;   in Loop: Header=BB468_3103 Depth=1
	v_bfe_u32 v9, v6, 16, 7
	v_mov_b32_e32 v8, 0x7f800001
	s_mov_b32 s24, exec_lo
	s_delay_alu instid0(VALU_DEP_2)
	v_cmpx_ne_u32_e32 0x7f, v9
	s_cbranch_execz .LBB468_3295
; %bb.3292:                             ;   in Loop: Header=BB468_3103 Depth=1
	v_and_b32_e32 v12, 7, v10
	v_lshrrev_b32_e32 v11, 3, v9
	v_cmp_gt_u32_e64 s9, 8, v9
	s_delay_alu instid0(VALU_DEP_3) | instskip(NEXT) | instid1(VALU_DEP_2)
	v_dual_mov_b32 v8, v12 :: v_dual_mov_b32 v9, v13
	s_and_saveexec_b32 s25, s9
; %bb.3293:                             ;   in Loop: Header=BB468_3103 Depth=1
	v_clz_i32_u32_e32 v8, v12
	s_delay_alu instid0(VALU_DEP_1) | instskip(NEXT) | instid1(VALU_DEP_1)
	v_min_u32_e32 v11, 32, v8
	v_subrev_nc_u32_e32 v8, 28, v11
	v_sub_nc_u32_e32 v11, 29, v11
	s_delay_alu instid0(VALU_DEP_2) | instskip(NEXT) | instid1(VALU_DEP_1)
	v_lshlrev_b64 v[8:9], v8, v[12:13]
	v_and_b32_e32 v8, 7, v8
; %bb.3294:                             ;   in Loop: Header=BB468_3103 Depth=1
	s_or_b32 exec_lo, exec_lo, s25
	v_lshlrev_b32_e32 v9, 24, v10
	s_delay_alu instid0(VALU_DEP_2) | instskip(SKIP_1) | instid1(VALU_DEP_3)
	v_lshlrev_b32_e32 v8, 20, v8
	v_lshl_add_u32 v10, v11, 23, 0x3c000000
	v_and_b32_e32 v9, 0x80000000, v9
	s_delay_alu instid0(VALU_DEP_1)
	v_or3_b32 v8, v8, v9, v10
.LBB468_3295:                           ;   in Loop: Header=BB468_3103 Depth=1
	s_or_b32 exec_lo, exec_lo, s24
.LBB468_3296:                           ;   in Loop: Header=BB468_3103 Depth=1
	s_delay_alu instid0(SALU_CYCLE_1)
	s_or_b32 exec_lo, exec_lo, s23
.LBB468_3297:                           ;   in Loop: Header=BB468_3103 Depth=1
	s_delay_alu instid0(SALU_CYCLE_1) | instskip(NEXT) | instid1(VALU_DEP_1)
	s_or_b32 exec_lo, exec_lo, s22
	v_mul_f32_e32 v8, v26, v8
                                        ; implicit-def: $vgpr10
	s_delay_alu instid0(VALU_DEP_1) | instskip(NEXT) | instid1(VALU_DEP_1)
	v_and_b32_e32 v9, 0x7f800000, v8
	v_cmp_ne_u32_e64 s9, 0x7f800000, v9
	s_delay_alu instid0(VALU_DEP_1) | instskip(NEXT) | instid1(SALU_CYCLE_1)
	s_and_saveexec_b32 s22, s9
	s_xor_b32 s9, exec_lo, s22
; %bb.3298:                             ;   in Loop: Header=BB468_3103 Depth=1
	v_bfe_u32 v9, v8, 16, 1
	s_delay_alu instid0(VALU_DEP_1)
	v_add3_u32 v10, v8, v9, 0x7fff
                                        ; implicit-def: $vgpr8
; %bb.3299:                             ;   in Loop: Header=BB468_3103 Depth=1
	s_and_not1_saveexec_b32 s22, s9
; %bb.3300:                             ;   in Loop: Header=BB468_3103 Depth=1
	v_and_b32_e32 v9, 0xffff, v8
	v_or_b32_e32 v10, 0x10000, v8
	s_delay_alu instid0(VALU_DEP_2) | instskip(NEXT) | instid1(VALU_DEP_1)
	v_cmp_eq_u32_e64 s9, 0, v9
	v_cndmask_b32_e64 v10, v10, v8, s9
; %bb.3301:                             ;   in Loop: Header=BB468_3103 Depth=1
	s_or_b32 exec_lo, exec_lo, s22
	v_mov_b32_e32 v8, 0
	s_mov_b32 s22, exec_lo
	v_cmpx_lt_u32_e32 0xffffff, v6
	s_cbranch_execz .LBB468_3309
; %bb.3302:                             ;   in Loop: Header=BB468_3103 Depth=1
	v_lshrrev_b32_e32 v11, 24, v6
	v_bfrev_b32_e32 v8, 1
	s_mov_b32 s23, exec_lo
	s_delay_alu instid0(VALU_DEP_2)
	v_cmpx_ne_u32_e32 0x80, v11
	s_cbranch_execz .LBB468_3308
; %bb.3303:                             ;   in Loop: Header=BB468_3103 Depth=1
	v_bfe_u32 v9, v6, 24, 7
	v_mov_b32_e32 v8, 0x7f800001
	s_mov_b32 s24, exec_lo
	s_delay_alu instid0(VALU_DEP_2)
	v_cmpx_ne_u32_e32 0x7f, v9
	s_cbranch_execz .LBB468_3307
; %bb.3304:                             ;   in Loop: Header=BB468_3103 Depth=1
	v_and_b32_e32 v12, 7, v11
	v_lshrrev_b32_e32 v17, 3, v9
	v_cmp_gt_u32_e64 s9, 8, v9
	s_delay_alu instid0(VALU_DEP_3) | instskip(NEXT) | instid1(VALU_DEP_2)
	v_dual_mov_b32 v8, v12 :: v_dual_mov_b32 v9, v13
	s_and_saveexec_b32 s25, s9
; %bb.3305:                             ;   in Loop: Header=BB468_3103 Depth=1
	v_clz_i32_u32_e32 v8, v12
	s_delay_alu instid0(VALU_DEP_1) | instskip(NEXT) | instid1(VALU_DEP_1)
	v_min_u32_e32 v17, 32, v8
	v_subrev_nc_u32_e32 v8, 28, v17
	v_sub_nc_u32_e32 v17, 29, v17
	s_delay_alu instid0(VALU_DEP_2) | instskip(NEXT) | instid1(VALU_DEP_1)
	v_lshlrev_b64 v[8:9], v8, v[12:13]
	v_and_b32_e32 v8, 7, v8
; %bb.3306:                             ;   in Loop: Header=BB468_3103 Depth=1
	s_or_b32 exec_lo, exec_lo, s25
	v_lshlrev_b32_e32 v9, 24, v11
	s_delay_alu instid0(VALU_DEP_2) | instskip(SKIP_1) | instid1(VALU_DEP_3)
	v_lshlrev_b32_e32 v8, 20, v8
	v_lshl_add_u32 v11, v17, 23, 0x3c000000
	v_and_b32_e32 v9, 0x80000000, v9
	s_delay_alu instid0(VALU_DEP_1)
	v_or3_b32 v8, v8, v9, v11
.LBB468_3307:                           ;   in Loop: Header=BB468_3103 Depth=1
	s_or_b32 exec_lo, exec_lo, s24
.LBB468_3308:                           ;   in Loop: Header=BB468_3103 Depth=1
	s_delay_alu instid0(SALU_CYCLE_1)
	s_or_b32 exec_lo, exec_lo, s23
.LBB468_3309:                           ;   in Loop: Header=BB468_3103 Depth=1
	s_delay_alu instid0(SALU_CYCLE_1) | instskip(NEXT) | instid1(VALU_DEP_1)
	s_or_b32 exec_lo, exec_lo, s22
	v_mul_f32_e32 v8, v26, v8
                                        ; implicit-def: $vgpr11
	s_delay_alu instid0(VALU_DEP_1) | instskip(NEXT) | instid1(VALU_DEP_1)
	v_and_b32_e32 v9, 0x7f800000, v8
	v_cmp_ne_u32_e64 s9, 0x7f800000, v9
	s_delay_alu instid0(VALU_DEP_1) | instskip(NEXT) | instid1(SALU_CYCLE_1)
	s_and_saveexec_b32 s22, s9
	s_xor_b32 s9, exec_lo, s22
; %bb.3310:                             ;   in Loop: Header=BB468_3103 Depth=1
	v_bfe_u32 v9, v8, 16, 1
	s_delay_alu instid0(VALU_DEP_1)
	v_add3_u32 v11, v8, v9, 0x7fff
                                        ; implicit-def: $vgpr8
; %bb.3311:                             ;   in Loop: Header=BB468_3103 Depth=1
	s_and_not1_saveexec_b32 s22, s9
; %bb.3312:                             ;   in Loop: Header=BB468_3103 Depth=1
	v_and_b32_e32 v9, 0xffff, v8
	v_or_b32_e32 v11, 0x10000, v8
	s_delay_alu instid0(VALU_DEP_2) | instskip(NEXT) | instid1(VALU_DEP_1)
	v_cmp_eq_u32_e64 s9, 0, v9
	v_cndmask_b32_e64 v11, v11, v8, s9
; %bb.3313:                             ;   in Loop: Header=BB468_3103 Depth=1
	s_or_b32 exec_lo, exec_lo, s22
	v_dual_mov_b32 v12, v7 :: v_dual_and_b32 v9, 0xff, v7
	v_mov_b32_e32 v8, 0
	s_mov_b32 s22, exec_lo
	s_delay_alu instid0(VALU_DEP_2)
	v_cmpx_ne_u16_e32 0, v9
	s_cbranch_execz .LBB468_3321
; %bb.3314:                             ;   in Loop: Header=BB468_3103 Depth=1
	v_bfrev_b32_e32 v8, 1
	s_mov_b32 s23, exec_lo
	v_cmpx_ne_u16_e32 0x80, v9
	s_cbranch_execz .LBB468_3320
; %bb.3315:                             ;   in Loop: Header=BB468_3103 Depth=1
	v_and_b32_e32 v9, 0x7f, v7
	v_mov_b32_e32 v8, 0x7f800001
	s_mov_b32 s24, exec_lo
	s_delay_alu instid0(VALU_DEP_2)
	v_cmpx_ne_u32_e32 0x7f, v9
	s_cbranch_execz .LBB468_3319
; %bb.3316:                             ;   in Loop: Header=BB468_3103 Depth=1
	v_lshrrev_b32_e32 v17, 3, v9
	v_cmp_gt_u32_e64 s9, 8, v9
	v_dual_mov_b32 v8, v12 :: v_dual_mov_b32 v9, v13
	s_delay_alu instid0(VALU_DEP_2)
	s_and_saveexec_b32 s25, s9
; %bb.3317:                             ;   in Loop: Header=BB468_3103 Depth=1
	v_and_b32_e32 v8, 7, v7
	s_delay_alu instid0(VALU_DEP_1) | instskip(NEXT) | instid1(VALU_DEP_1)
	v_clz_i32_u32_e32 v8, v8
	v_min_u32_e32 v17, 32, v8
	s_delay_alu instid0(VALU_DEP_1) | instskip(SKIP_1) | instid1(VALU_DEP_2)
	v_subrev_nc_u32_e32 v8, 28, v17
	v_sub_nc_u32_e32 v17, 29, v17
	v_lshlrev_b64 v[8:9], v8, v[12:13]
; %bb.3318:                             ;   in Loop: Header=BB468_3103 Depth=1
	s_or_b32 exec_lo, exec_lo, s25
	s_delay_alu instid0(VALU_DEP_1) | instskip(SKIP_2) | instid1(VALU_DEP_3)
	v_lshlrev_b32_e32 v8, 20, v8
	v_lshlrev_b32_e32 v9, 24, v12
	v_lshl_add_u32 v17, v17, 23, 0x3c000000
	v_and_b32_e32 v8, 0x700000, v8
	s_delay_alu instid0(VALU_DEP_3) | instskip(NEXT) | instid1(VALU_DEP_1)
	v_and_b32_e32 v9, 0x80000000, v9
	v_or3_b32 v8, v8, v9, v17
.LBB468_3319:                           ;   in Loop: Header=BB468_3103 Depth=1
	s_or_b32 exec_lo, exec_lo, s24
.LBB468_3320:                           ;   in Loop: Header=BB468_3103 Depth=1
	s_delay_alu instid0(SALU_CYCLE_1)
	s_or_b32 exec_lo, exec_lo, s23
.LBB468_3321:                           ;   in Loop: Header=BB468_3103 Depth=1
	s_delay_alu instid0(SALU_CYCLE_1) | instskip(NEXT) | instid1(VALU_DEP_1)
	s_or_b32 exec_lo, exec_lo, s22
	v_mul_f32_e32 v8, v26, v8
                                        ; implicit-def: $vgpr17
	s_delay_alu instid0(VALU_DEP_1) | instskip(NEXT) | instid1(VALU_DEP_1)
	v_and_b32_e32 v9, 0x7f800000, v8
	v_cmp_ne_u32_e64 s9, 0x7f800000, v9
	s_delay_alu instid0(VALU_DEP_1) | instskip(NEXT) | instid1(SALU_CYCLE_1)
	s_and_saveexec_b32 s22, s9
	s_xor_b32 s9, exec_lo, s22
; %bb.3322:                             ;   in Loop: Header=BB468_3103 Depth=1
	v_bfe_u32 v9, v8, 16, 1
	s_delay_alu instid0(VALU_DEP_1)
	v_add3_u32 v17, v8, v9, 0x7fff
                                        ; implicit-def: $vgpr8
; %bb.3323:                             ;   in Loop: Header=BB468_3103 Depth=1
	s_and_not1_saveexec_b32 s22, s9
; %bb.3324:                             ;   in Loop: Header=BB468_3103 Depth=1
	v_and_b32_e32 v9, 0xffff, v8
	v_or_b32_e32 v17, 0x10000, v8
	s_delay_alu instid0(VALU_DEP_2) | instskip(NEXT) | instid1(VALU_DEP_1)
	v_cmp_eq_u32_e64 s9, 0, v9
	v_cndmask_b32_e64 v17, v17, v8, s9
; %bb.3325:                             ;   in Loop: Header=BB468_3103 Depth=1
	s_or_b32 exec_lo, exec_lo, s22
	v_lshrrev_b16 v9, 8, v12
	v_mov_b32_e32 v8, 0
	s_mov_b32 s22, exec_lo
	s_delay_alu instid0(VALU_DEP_2)
	v_cmpx_ne_u16_e32 0, v9
	s_cbranch_execz .LBB468_3333
; %bb.3326:                             ;   in Loop: Header=BB468_3103 Depth=1
	v_bfrev_b32_e32 v8, 1
	s_mov_b32 s23, exec_lo
	v_cmpx_ne_u16_e32 0x80, v9
	s_cbranch_execz .LBB468_3332
; %bb.3327:                             ;   in Loop: Header=BB468_3103 Depth=1
	v_and_b32_e32 v9, 0xffff, v9
	v_mov_b32_e32 v8, 0x7f800001
	s_mov_b32 s24, exec_lo
	s_delay_alu instid0(VALU_DEP_2) | instskip(NEXT) | instid1(VALU_DEP_1)
	v_and_b32_e32 v19, 0x7f, v9
	v_cmpx_ne_u32_e32 0x7f, v19
	s_cbranch_execz .LBB468_3331
; %bb.3328:                             ;   in Loop: Header=BB468_3103 Depth=1
	v_dual_mov_b32 v9, v13 :: v_dual_and_b32 v8, 7, v9
	v_lshrrev_b32_e32 v18, 3, v19
	s_mov_b32 s25, exec_lo
	v_cmpx_gt_u32_e32 8, v19
; %bb.3329:                             ;   in Loop: Header=BB468_3103 Depth=1
	s_delay_alu instid0(VALU_DEP_3) | instskip(NEXT) | instid1(VALU_DEP_1)
	v_clz_i32_u32_e32 v18, v8
	v_min_u32_e32 v18, 32, v18
	s_delay_alu instid0(VALU_DEP_1) | instskip(SKIP_1) | instid1(VALU_DEP_2)
	v_subrev_nc_u32_e32 v19, 28, v18
	v_sub_nc_u32_e32 v18, 29, v18
	v_lshlrev_b64 v[8:9], v19, v[8:9]
	s_delay_alu instid0(VALU_DEP_1)
	v_and_b32_e32 v8, 7, v8
; %bb.3330:                             ;   in Loop: Header=BB468_3103 Depth=1
	s_or_b32 exec_lo, exec_lo, s25
	v_lshlrev_b32_e32 v9, 16, v12
	s_delay_alu instid0(VALU_DEP_2) | instskip(SKIP_1) | instid1(VALU_DEP_3)
	v_lshlrev_b32_e32 v8, 20, v8
	v_lshl_add_u32 v12, v18, 23, 0x3c000000
	v_and_b32_e32 v9, 0x80000000, v9
	s_delay_alu instid0(VALU_DEP_1)
	v_or3_b32 v8, v8, v9, v12
.LBB468_3331:                           ;   in Loop: Header=BB468_3103 Depth=1
	s_or_b32 exec_lo, exec_lo, s24
.LBB468_3332:                           ;   in Loop: Header=BB468_3103 Depth=1
	s_delay_alu instid0(SALU_CYCLE_1)
	s_or_b32 exec_lo, exec_lo, s23
.LBB468_3333:                           ;   in Loop: Header=BB468_3103 Depth=1
	s_delay_alu instid0(SALU_CYCLE_1) | instskip(NEXT) | instid1(VALU_DEP_1)
	s_or_b32 exec_lo, exec_lo, s22
	v_mul_f32_e32 v8, v26, v8
                                        ; implicit-def: $vgpr18
	s_delay_alu instid0(VALU_DEP_1) | instskip(NEXT) | instid1(VALU_DEP_1)
	v_and_b32_e32 v9, 0x7f800000, v8
	v_cmp_ne_u32_e64 s9, 0x7f800000, v9
	s_delay_alu instid0(VALU_DEP_1) | instskip(NEXT) | instid1(SALU_CYCLE_1)
	s_and_saveexec_b32 s22, s9
	s_xor_b32 s9, exec_lo, s22
; %bb.3334:                             ;   in Loop: Header=BB468_3103 Depth=1
	v_bfe_u32 v9, v8, 16, 1
	s_delay_alu instid0(VALU_DEP_1)
	v_add3_u32 v18, v8, v9, 0x7fff
                                        ; implicit-def: $vgpr8
; %bb.3335:                             ;   in Loop: Header=BB468_3103 Depth=1
	s_and_not1_saveexec_b32 s22, s9
; %bb.3336:                             ;   in Loop: Header=BB468_3103 Depth=1
	v_and_b32_e32 v9, 0xffff, v8
	v_or_b32_e32 v12, 0x10000, v8
	s_delay_alu instid0(VALU_DEP_2) | instskip(NEXT) | instid1(VALU_DEP_1)
	v_cmp_eq_u32_e64 s9, 0, v9
	v_cndmask_b32_e64 v18, v12, v8, s9
; %bb.3337:                             ;   in Loop: Header=BB468_3103 Depth=1
	s_or_b32 exec_lo, exec_lo, s22
	v_lshrrev_b32_e32 v19, 16, v7
	s_mov_b32 s22, exec_lo
	s_delay_alu instid0(VALU_DEP_1) | instskip(NEXT) | instid1(VALU_DEP_1)
	v_dual_mov_b32 v8, 0 :: v_dual_and_b32 v9, 0xff, v19
	v_cmpx_ne_u16_e32 0, v9
	s_cbranch_execz .LBB468_3345
; %bb.3338:                             ;   in Loop: Header=BB468_3103 Depth=1
	v_bfrev_b32_e32 v8, 1
	s_mov_b32 s23, exec_lo
	v_cmpx_ne_u16_e32 0x80, v9
	s_cbranch_execz .LBB468_3344
; %bb.3339:                             ;   in Loop: Header=BB468_3103 Depth=1
	v_bfe_u32 v9, v7, 16, 7
	v_mov_b32_e32 v8, 0x7f800001
	s_mov_b32 s24, exec_lo
	s_delay_alu instid0(VALU_DEP_2)
	v_cmpx_ne_u32_e32 0x7f, v9
	s_cbranch_execz .LBB468_3343
; %bb.3340:                             ;   in Loop: Header=BB468_3103 Depth=1
	v_and_b32_e32 v12, 7, v19
	v_lshrrev_b32_e32 v20, 3, v9
	v_cmp_gt_u32_e64 s9, 8, v9
	s_delay_alu instid0(VALU_DEP_3) | instskip(NEXT) | instid1(VALU_DEP_2)
	v_dual_mov_b32 v8, v12 :: v_dual_mov_b32 v9, v13
	s_and_saveexec_b32 s25, s9
; %bb.3341:                             ;   in Loop: Header=BB468_3103 Depth=1
	v_clz_i32_u32_e32 v8, v12
	s_delay_alu instid0(VALU_DEP_1) | instskip(NEXT) | instid1(VALU_DEP_1)
	v_min_u32_e32 v20, 32, v8
	v_subrev_nc_u32_e32 v8, 28, v20
	v_sub_nc_u32_e32 v20, 29, v20
	s_delay_alu instid0(VALU_DEP_2) | instskip(NEXT) | instid1(VALU_DEP_1)
	v_lshlrev_b64 v[8:9], v8, v[12:13]
	v_and_b32_e32 v8, 7, v8
; %bb.3342:                             ;   in Loop: Header=BB468_3103 Depth=1
	s_or_b32 exec_lo, exec_lo, s25
	v_lshlrev_b32_e32 v9, 24, v19
	s_delay_alu instid0(VALU_DEP_2) | instskip(SKIP_1) | instid1(VALU_DEP_3)
	v_lshlrev_b32_e32 v8, 20, v8
	v_lshl_add_u32 v12, v20, 23, 0x3c000000
	v_and_b32_e32 v9, 0x80000000, v9
	s_delay_alu instid0(VALU_DEP_1)
	v_or3_b32 v8, v8, v9, v12
.LBB468_3343:                           ;   in Loop: Header=BB468_3103 Depth=1
	s_or_b32 exec_lo, exec_lo, s24
.LBB468_3344:                           ;   in Loop: Header=BB468_3103 Depth=1
	s_delay_alu instid0(SALU_CYCLE_1)
	s_or_b32 exec_lo, exec_lo, s23
.LBB468_3345:                           ;   in Loop: Header=BB468_3103 Depth=1
	s_delay_alu instid0(SALU_CYCLE_1) | instskip(NEXT) | instid1(VALU_DEP_1)
	s_or_b32 exec_lo, exec_lo, s22
	v_mul_f32_e32 v8, v26, v8
	s_delay_alu instid0(VALU_DEP_1) | instskip(NEXT) | instid1(VALU_DEP_1)
	v_and_b32_e32 v9, 0x7f800000, v8
	v_cmp_ne_u32_e64 s9, 0x7f800000, v9
                                        ; implicit-def: $vgpr9
	s_delay_alu instid0(VALU_DEP_1) | instskip(NEXT) | instid1(SALU_CYCLE_1)
	s_and_saveexec_b32 s22, s9
	s_xor_b32 s9, exec_lo, s22
; %bb.3346:                             ;   in Loop: Header=BB468_3103 Depth=1
	v_bfe_u32 v9, v8, 16, 1
	s_delay_alu instid0(VALU_DEP_1)
	v_add3_u32 v9, v8, v9, 0x7fff
                                        ; implicit-def: $vgpr8
; %bb.3347:                             ;   in Loop: Header=BB468_3103 Depth=1
	s_and_not1_saveexec_b32 s22, s9
; %bb.3348:                             ;   in Loop: Header=BB468_3103 Depth=1
	v_and_b32_e32 v9, 0xffff, v8
	v_or_b32_e32 v12, 0x10000, v8
	s_delay_alu instid0(VALU_DEP_2) | instskip(NEXT) | instid1(VALU_DEP_1)
	v_cmp_eq_u32_e64 s9, 0, v9
	v_cndmask_b32_e64 v9, v12, v8, s9
; %bb.3349:                             ;   in Loop: Header=BB468_3103 Depth=1
	s_or_b32 exec_lo, exec_lo, s22
	v_cmp_lt_u64_e64 s9, s[12:13], v[6:7]
	v_mov_b32_e32 v6, 0
	s_delay_alu instid0(VALU_DEP_2)
	s_and_saveexec_b32 s22, s9
	s_cbranch_execz .LBB468_3357
; %bb.3350:                             ;   in Loop: Header=BB468_3103 Depth=1
	v_lshrrev_b32_e32 v8, 24, v7
	v_bfrev_b32_e32 v6, 1
	s_mov_b32 s23, exec_lo
	s_delay_alu instid0(VALU_DEP_2)
	v_cmpx_ne_u32_e32 0x80, v8
	s_cbranch_execz .LBB468_3356
; %bb.3351:                             ;   in Loop: Header=BB468_3103 Depth=1
	v_bfe_u32 v7, v7, 24, 7
	v_mov_b32_e32 v6, 0x7f800001
	s_mov_b32 s24, exec_lo
	s_delay_alu instid0(VALU_DEP_2)
	v_cmpx_ne_u32_e32 0x7f, v7
	s_cbranch_execz .LBB468_3355
; %bb.3352:                             ;   in Loop: Header=BB468_3103 Depth=1
	v_and_b32_e32 v12, 7, v8
	v_lshrrev_b32_e32 v19, 3, v7
	v_cmp_gt_u32_e64 s9, 8, v7
	s_delay_alu instid0(VALU_DEP_3) | instskip(NEXT) | instid1(VALU_DEP_2)
	v_dual_mov_b32 v6, v12 :: v_dual_mov_b32 v7, v13
	s_and_saveexec_b32 s25, s9
; %bb.3353:                             ;   in Loop: Header=BB468_3103 Depth=1
	v_clz_i32_u32_e32 v6, v12
	s_delay_alu instid0(VALU_DEP_1) | instskip(NEXT) | instid1(VALU_DEP_1)
	v_min_u32_e32 v19, 32, v6
	v_subrev_nc_u32_e32 v6, 28, v19
	v_sub_nc_u32_e32 v19, 29, v19
	s_delay_alu instid0(VALU_DEP_2) | instskip(NEXT) | instid1(VALU_DEP_1)
	v_lshlrev_b64 v[6:7], v6, v[12:13]
	v_and_b32_e32 v6, 7, v6
; %bb.3354:                             ;   in Loop: Header=BB468_3103 Depth=1
	s_or_b32 exec_lo, exec_lo, s25
	v_lshlrev_b32_e32 v7, 24, v8
	s_delay_alu instid0(VALU_DEP_2) | instskip(SKIP_1) | instid1(VALU_DEP_3)
	v_lshlrev_b32_e32 v6, 20, v6
	v_lshl_add_u32 v8, v19, 23, 0x3c000000
	v_and_b32_e32 v7, 0x80000000, v7
	s_delay_alu instid0(VALU_DEP_1)
	v_or3_b32 v6, v6, v7, v8
.LBB468_3355:                           ;   in Loop: Header=BB468_3103 Depth=1
	s_or_b32 exec_lo, exec_lo, s24
.LBB468_3356:                           ;   in Loop: Header=BB468_3103 Depth=1
	s_delay_alu instid0(SALU_CYCLE_1)
	s_or_b32 exec_lo, exec_lo, s23
.LBB468_3357:                           ;   in Loop: Header=BB468_3103 Depth=1
	s_delay_alu instid0(SALU_CYCLE_1) | instskip(NEXT) | instid1(VALU_DEP_1)
	s_or_b32 exec_lo, exec_lo, s22
	v_mul_f32_e32 v6, v26, v6
                                        ; implicit-def: $vgpr19
	s_delay_alu instid0(VALU_DEP_1) | instskip(NEXT) | instid1(VALU_DEP_1)
	v_and_b32_e32 v7, 0x7f800000, v6
	v_cmp_ne_u32_e64 s9, 0x7f800000, v7
	s_delay_alu instid0(VALU_DEP_1) | instskip(NEXT) | instid1(SALU_CYCLE_1)
	s_and_saveexec_b32 s22, s9
	s_xor_b32 s9, exec_lo, s22
; %bb.3358:                             ;   in Loop: Header=BB468_3103 Depth=1
	v_bfe_u32 v7, v6, 16, 1
	s_delay_alu instid0(VALU_DEP_1)
	v_add3_u32 v19, v6, v7, 0x7fff
                                        ; implicit-def: $vgpr6
; %bb.3359:                             ;   in Loop: Header=BB468_3103 Depth=1
	s_and_not1_saveexec_b32 s22, s9
; %bb.3360:                             ;   in Loop: Header=BB468_3103 Depth=1
	v_and_b32_e32 v7, 0xffff, v6
	v_or_b32_e32 v8, 0x10000, v6
	s_delay_alu instid0(VALU_DEP_2) | instskip(NEXT) | instid1(VALU_DEP_1)
	v_cmp_eq_u32_e64 s9, 0, v7
	v_cndmask_b32_e64 v19, v8, v6, s9
; %bb.3361:                             ;   in Loop: Header=BB468_3103 Depth=1
	s_or_b32 exec_lo, exec_lo, s22
	v_lshrrev_b32_e32 v6, 16, v18
	v_lshrrev_b32_e32 v7, 16, v17
	;; [unrolled: 1-line block ×8, first 2 shown]
	s_and_saveexec_b32 s9, s3
; %bb.3362:                             ;   in Loop: Header=BB468_3103 Depth=1
	s_delay_alu instid0(VALU_DEP_3)
	v_cndmask_b32_e32 v12, 0, v12, vcc_lo
	v_cndmask_b32_e64 v11, 0, v11, s1
	v_cndmask_b32_e64 v10, 0, v10, s2
	;; [unrolled: 1-line block ×7, first 2 shown]
; %bb.3363:                             ;   in Loop: Header=BB468_3103 Depth=1
	s_or_b32 exec_lo, exec_lo, s9
	v_lshlrev_b32_e32 v9, 16, v12
	s_delay_alu instid0(VALU_DEP_1) | instskip(NEXT) | instid1(VALU_DEP_1)
	v_mul_f32_e32 v9, v151, v9
	v_and_b32_e32 v12, 0x7f800000, v9
	s_delay_alu instid0(VALU_DEP_1) | instskip(NEXT) | instid1(VALU_DEP_1)
	v_cmp_ne_u32_e64 s9, 0x7f800000, v12
                                        ; implicit-def: $vgpr12
                                        ; kill: killed $vgpr12
	s_and_saveexec_b32 s22, s9
	s_delay_alu instid0(SALU_CYCLE_1)
	s_xor_b32 s9, exec_lo, s22
	s_cbranch_execz .LBB468_3365
; %bb.3364:                             ;   in Loop: Header=BB468_3103 Depth=1
	v_bfe_u32 v12, v9, 16, 1
	s_delay_alu instid0(VALU_DEP_1)
	v_add3_u32 v9, v9, v12, 0x7fff
	scratch_store_b32 off, v9, s32 offset:360 ; 4-byte Folded Spill
                                        ; implicit-def: $vgpr9
.LBB468_3365:                           ;   in Loop: Header=BB468_3103 Depth=1
	s_and_not1_saveexec_b32 s22, s9
	s_cbranch_execz .LBB468_3367
; %bb.3366:                             ;   in Loop: Header=BB468_3103 Depth=1
	v_and_b32_e32 v12, 0xffff, v9
	v_or_b32_e32 v17, 0x10000, v9
	s_delay_alu instid0(VALU_DEP_2) | instskip(NEXT) | instid1(VALU_DEP_1)
	v_cmp_eq_u32_e64 s9, 0, v12
	v_cndmask_b32_e64 v9, v17, v9, s9
	scratch_store_b32 off, v9, s32 offset:360 ; 4-byte Folded Spill
.LBB468_3367:                           ;   in Loop: Header=BB468_3103 Depth=1
	s_or_b32 exec_lo, exec_lo, s22
	v_lshlrev_b32_e32 v9, 16, v11
	s_delay_alu instid0(VALU_DEP_1) | instskip(NEXT) | instid1(VALU_DEP_1)
	v_mul_f32_e32 v9, v160, v9
	v_and_b32_e32 v11, 0x7f800000, v9
	s_delay_alu instid0(VALU_DEP_1) | instskip(NEXT) | instid1(VALU_DEP_1)
	v_cmp_ne_u32_e64 s9, 0x7f800000, v11
                                        ; implicit-def: $vgpr11
                                        ; kill: killed $vgpr11
	s_and_saveexec_b32 s22, s9
	s_delay_alu instid0(SALU_CYCLE_1)
	s_xor_b32 s9, exec_lo, s22
	s_cbranch_execz .LBB468_3369
; %bb.3368:                             ;   in Loop: Header=BB468_3103 Depth=1
	v_bfe_u32 v11, v9, 16, 1
	s_delay_alu instid0(VALU_DEP_1)
	v_add3_u32 v9, v9, v11, 0x7fff
	scratch_store_b32 off, v9, s32 offset:364 ; 4-byte Folded Spill
                                        ; implicit-def: $vgpr9
.LBB468_3369:                           ;   in Loop: Header=BB468_3103 Depth=1
	s_and_not1_saveexec_b32 s22, s9
	s_cbranch_execz .LBB468_3371
; %bb.3370:                             ;   in Loop: Header=BB468_3103 Depth=1
	v_and_b32_e32 v11, 0xffff, v9
	v_or_b32_e32 v12, 0x10000, v9
	s_delay_alu instid0(VALU_DEP_2) | instskip(NEXT) | instid1(VALU_DEP_1)
	v_cmp_eq_u32_e64 s9, 0, v11
	v_cndmask_b32_e64 v9, v12, v9, s9
	scratch_store_b32 off, v9, s32 offset:364 ; 4-byte Folded Spill
.LBB468_3371:                           ;   in Loop: Header=BB468_3103 Depth=1
	s_or_b32 exec_lo, exec_lo, s22
	v_lshlrev_b32_e32 v9, 16, v10
	s_delay_alu instid0(VALU_DEP_1) | instskip(NEXT) | instid1(VALU_DEP_1)
	v_mul_f32_e32 v9, v161, v9
	v_and_b32_e32 v10, 0x7f800000, v9
	s_delay_alu instid0(VALU_DEP_1) | instskip(NEXT) | instid1(VALU_DEP_1)
	v_cmp_ne_u32_e64 s9, 0x7f800000, v10
                                        ; implicit-def: $vgpr10
                                        ; kill: killed $vgpr10
	s_and_saveexec_b32 s22, s9
	s_delay_alu instid0(SALU_CYCLE_1)
	s_xor_b32 s9, exec_lo, s22
	s_cbranch_execz .LBB468_3373
; %bb.3372:                             ;   in Loop: Header=BB468_3103 Depth=1
	v_bfe_u32 v10, v9, 16, 1
	s_delay_alu instid0(VALU_DEP_1)
	v_add3_u32 v9, v9, v10, 0x7fff
	scratch_store_b32 off, v9, s32 offset:368 ; 4-byte Folded Spill
                                        ; implicit-def: $vgpr9
.LBB468_3373:                           ;   in Loop: Header=BB468_3103 Depth=1
	s_and_not1_saveexec_b32 s22, s9
	s_cbranch_execz .LBB468_3375
; %bb.3374:                             ;   in Loop: Header=BB468_3103 Depth=1
	v_and_b32_e32 v10, 0xffff, v9
	v_or_b32_e32 v11, 0x10000, v9
	s_delay_alu instid0(VALU_DEP_2) | instskip(NEXT) | instid1(VALU_DEP_1)
	v_cmp_eq_u32_e64 s9, 0, v10
	v_cndmask_b32_e64 v9, v11, v9, s9
	scratch_store_b32 off, v9, s32 offset:368 ; 4-byte Folded Spill
.LBB468_3375:                           ;   in Loop: Header=BB468_3103 Depth=1
	s_or_b32 exec_lo, exec_lo, s22
	v_lshlrev_b32_e32 v8, 16, v8
	s_delay_alu instid0(VALU_DEP_1) | instskip(NEXT) | instid1(VALU_DEP_1)
	v_mul_f32_e32 v8, v162, v8
	v_and_b32_e32 v9, 0x7f800000, v8
	s_delay_alu instid0(VALU_DEP_1) | instskip(NEXT) | instid1(VALU_DEP_1)
	v_cmp_ne_u32_e64 s9, 0x7f800000, v9
                                        ; implicit-def: $vgpr9
                                        ; kill: killed $vgpr9
	s_and_saveexec_b32 s22, s9
	s_delay_alu instid0(SALU_CYCLE_1)
	s_xor_b32 s9, exec_lo, s22
	s_cbranch_execz .LBB468_3377
; %bb.3376:                             ;   in Loop: Header=BB468_3103 Depth=1
	v_bfe_u32 v9, v8, 16, 1
	s_delay_alu instid0(VALU_DEP_1)
	v_add3_u32 v8, v8, v9, 0x7fff
	scratch_store_b32 off, v8, s32 offset:372 ; 4-byte Folded Spill
                                        ; implicit-def: $vgpr8
.LBB468_3377:                           ;   in Loop: Header=BB468_3103 Depth=1
	s_and_not1_saveexec_b32 s22, s9
	s_cbranch_execz .LBB468_3379
; %bb.3378:                             ;   in Loop: Header=BB468_3103 Depth=1
	v_and_b32_e32 v9, 0xffff, v8
	v_or_b32_e32 v10, 0x10000, v8
	s_delay_alu instid0(VALU_DEP_2) | instskip(NEXT) | instid1(VALU_DEP_1)
	v_cmp_eq_u32_e64 s9, 0, v9
	v_cndmask_b32_e64 v8, v10, v8, s9
	scratch_store_b32 off, v8, s32 offset:372 ; 4-byte Folded Spill
.LBB468_3379:                           ;   in Loop: Header=BB468_3103 Depth=1
	s_or_b32 exec_lo, exec_lo, s22
	v_lshlrev_b32_e32 v7, 16, v7
	s_delay_alu instid0(VALU_DEP_1) | instskip(NEXT) | instid1(VALU_DEP_1)
	v_mul_f32_e32 v7, v163, v7
	v_and_b32_e32 v8, 0x7f800000, v7
	s_delay_alu instid0(VALU_DEP_1) | instskip(NEXT) | instid1(VALU_DEP_1)
	v_cmp_ne_u32_e64 s9, 0x7f800000, v8
                                        ; implicit-def: $vgpr8
                                        ; kill: killed $vgpr8
	s_and_saveexec_b32 s22, s9
	s_delay_alu instid0(SALU_CYCLE_1)
	s_xor_b32 s9, exec_lo, s22
	s_cbranch_execz .LBB468_3381
; %bb.3380:                             ;   in Loop: Header=BB468_3103 Depth=1
	v_bfe_u32 v8, v7, 16, 1
	s_delay_alu instid0(VALU_DEP_1)
	v_add3_u32 v7, v7, v8, 0x7fff
	scratch_store_b32 off, v7, s32 offset:376 ; 4-byte Folded Spill
                                        ; implicit-def: $vgpr7
.LBB468_3381:                           ;   in Loop: Header=BB468_3103 Depth=1
	s_and_not1_saveexec_b32 s22, s9
	s_cbranch_execz .LBB468_3383
; %bb.3382:                             ;   in Loop: Header=BB468_3103 Depth=1
	v_and_b32_e32 v8, 0xffff, v7
	v_or_b32_e32 v9, 0x10000, v7
	s_delay_alu instid0(VALU_DEP_2) | instskip(NEXT) | instid1(VALU_DEP_1)
	v_cmp_eq_u32_e64 s9, 0, v8
	v_cndmask_b32_e64 v7, v9, v7, s9
	scratch_store_b32 off, v7, s32 offset:376 ; 4-byte Folded Spill
.LBB468_3383:                           ;   in Loop: Header=BB468_3103 Depth=1
	s_or_b32 exec_lo, exec_lo, s22
	v_lshlrev_b32_e32 v6, 16, v6
	s_delay_alu instid0(VALU_DEP_1) | instskip(NEXT) | instid1(VALU_DEP_1)
	v_mul_f32_e32 v6, v164, v6
	v_and_b32_e32 v7, 0x7f800000, v6
	s_delay_alu instid0(VALU_DEP_1) | instskip(NEXT) | instid1(VALU_DEP_1)
	v_cmp_ne_u32_e64 s9, 0x7f800000, v7
                                        ; implicit-def: $vgpr7
                                        ; kill: killed $vgpr7
	s_and_saveexec_b32 s22, s9
	s_delay_alu instid0(SALU_CYCLE_1)
	s_xor_b32 s9, exec_lo, s22
	s_cbranch_execz .LBB468_3385
; %bb.3384:                             ;   in Loop: Header=BB468_3103 Depth=1
	v_bfe_u32 v7, v6, 16, 1
	s_delay_alu instid0(VALU_DEP_1)
	v_add3_u32 v6, v6, v7, 0x7fff
	scratch_store_b32 off, v6, s32 offset:380 ; 4-byte Folded Spill
                                        ; implicit-def: $vgpr6
.LBB468_3385:                           ;   in Loop: Header=BB468_3103 Depth=1
	s_and_not1_saveexec_b32 s22, s9
	s_cbranch_execz .LBB468_3387
; %bb.3386:                             ;   in Loop: Header=BB468_3103 Depth=1
	v_and_b32_e32 v7, 0xffff, v6
	v_or_b32_e32 v8, 0x10000, v6
	s_delay_alu instid0(VALU_DEP_2) | instskip(NEXT) | instid1(VALU_DEP_1)
	v_cmp_eq_u32_e64 s9, 0, v7
	v_cndmask_b32_e64 v6, v8, v6, s9
	scratch_store_b32 off, v6, s32 offset:380 ; 4-byte Folded Spill
.LBB468_3387:                           ;   in Loop: Header=BB468_3103 Depth=1
	s_or_b32 exec_lo, exec_lo, s22
	v_lshlrev_b32_e32 v5, 16, v5
	s_delay_alu instid0(VALU_DEP_1) | instskip(NEXT) | instid1(VALU_DEP_1)
	v_mul_f32_e32 v5, v165, v5
	v_and_b32_e32 v6, 0x7f800000, v5
	s_delay_alu instid0(VALU_DEP_1) | instskip(NEXT) | instid1(VALU_DEP_1)
	v_cmp_ne_u32_e64 s9, 0x7f800000, v6
                                        ; implicit-def: $vgpr6
                                        ; kill: killed $vgpr6
	s_and_saveexec_b32 s22, s9
	s_delay_alu instid0(SALU_CYCLE_1)
	s_xor_b32 s9, exec_lo, s22
	s_cbranch_execz .LBB468_3389
; %bb.3388:                             ;   in Loop: Header=BB468_3103 Depth=1
	v_bfe_u32 v6, v5, 16, 1
	s_delay_alu instid0(VALU_DEP_1)
	v_add3_u32 v5, v5, v6, 0x7fff
	scratch_store_b32 off, v5, s32 offset:384 ; 4-byte Folded Spill
                                        ; implicit-def: $vgpr5
.LBB468_3389:                           ;   in Loop: Header=BB468_3103 Depth=1
	s_and_not1_saveexec_b32 s22, s9
	s_cbranch_execz .LBB468_3391
; %bb.3390:                             ;   in Loop: Header=BB468_3103 Depth=1
	v_and_b32_e32 v6, 0xffff, v5
	v_or_b32_e32 v7, 0x10000, v5
	s_delay_alu instid0(VALU_DEP_2) | instskip(NEXT) | instid1(VALU_DEP_1)
	v_cmp_eq_u32_e64 s9, 0, v6
	v_cndmask_b32_e64 v5, v7, v5, s9
	scratch_store_b32 off, v5, s32 offset:384 ; 4-byte Folded Spill
.LBB468_3391:                           ;   in Loop: Header=BB468_3103 Depth=1
	s_or_b32 exec_lo, exec_lo, s22
	v_lshlrev_b32_e32 v4, 16, v4
	s_delay_alu instid0(VALU_DEP_1) | instskip(NEXT) | instid1(VALU_DEP_1)
	v_mul_f32_e32 v4, v166, v4
	v_and_b32_e32 v5, 0x7f800000, v4
	s_delay_alu instid0(VALU_DEP_1) | instskip(NEXT) | instid1(VALU_DEP_1)
	v_cmp_ne_u32_e64 s9, 0x7f800000, v5
                                        ; implicit-def: $vgpr5
                                        ; kill: killed $vgpr5
	s_and_saveexec_b32 s22, s9
	s_delay_alu instid0(SALU_CYCLE_1)
	s_xor_b32 s9, exec_lo, s22
	s_cbranch_execz .LBB468_3393
; %bb.3392:                             ;   in Loop: Header=BB468_3103 Depth=1
	v_bfe_u32 v5, v4, 16, 1
	s_delay_alu instid0(VALU_DEP_1)
	v_add3_u32 v4, v4, v5, 0x7fff
	scratch_store_b32 off, v4, s32 offset:388 ; 4-byte Folded Spill
                                        ; implicit-def: $vgpr4
.LBB468_3393:                           ;   in Loop: Header=BB468_3103 Depth=1
	s_and_not1_saveexec_b32 s22, s9
	s_cbranch_execz .LBB468_3395
; %bb.3394:                             ;   in Loop: Header=BB468_3103 Depth=1
	v_and_b32_e32 v5, 0xffff, v4
	v_or_b32_e32 v6, 0x10000, v4
	s_delay_alu instid0(VALU_DEP_2) | instskip(NEXT) | instid1(VALU_DEP_1)
	v_cmp_eq_u32_e64 s9, 0, v5
	v_cndmask_b32_e64 v4, v6, v4, s9
	scratch_store_b32 off, v4, s32 offset:388 ; 4-byte Folded Spill
.LBB468_3395:                           ;   in Loop: Header=BB468_3103 Depth=1
	s_or_b32 exec_lo, exec_lo, s22
	flat_load_b64 v[6:7], v[2:3] offset:512
	s_mov_b32 s22, exec_lo
	s_waitcnt vmcnt(0) lgkmcnt(0)
	v_dual_mov_b32 v4, 0 :: v_dual_and_b32 v5, 0xff, v6
	s_delay_alu instid0(VALU_DEP_1)
	v_cmpx_ne_u16_e32 0, v5
	s_cbranch_execz .LBB468_3403
; %bb.3396:                             ;   in Loop: Header=BB468_3103 Depth=1
	v_bfrev_b32_e32 v4, 1
	s_mov_b32 s23, exec_lo
	v_cmpx_ne_u16_e32 0x80, v5
	s_cbranch_execz .LBB468_3402
; %bb.3397:                             ;   in Loop: Header=BB468_3103 Depth=1
	v_and_b32_e32 v5, 0x7f, v6
	v_mov_b32_e32 v4, 0x7f800001
	s_mov_b32 s24, exec_lo
	s_delay_alu instid0(VALU_DEP_2)
	v_cmpx_ne_u32_e32 0x7f, v5
	s_cbranch_execz .LBB468_3401
; %bb.3398:                             ;   in Loop: Header=BB468_3103 Depth=1
	v_lshrrev_b32_e32 v4, 3, v5
	v_dual_mov_b32 v9, v7 :: v_dual_mov_b32 v8, v6
	s_mov_b32 s25, exec_lo
	v_cmpx_gt_u32_e32 8, v5
; %bb.3399:                             ;   in Loop: Header=BB468_3103 Depth=1
	v_and_b32_e32 v4, 7, v6
	s_delay_alu instid0(VALU_DEP_1) | instskip(NEXT) | instid1(VALU_DEP_1)
	v_clz_i32_u32_e32 v4, v4
	v_min_u32_e32 v4, 32, v4
	s_delay_alu instid0(VALU_DEP_1) | instskip(SKIP_1) | instid1(VALU_DEP_2)
	v_subrev_nc_u32_e32 v5, 28, v4
	v_sub_nc_u32_e32 v4, 29, v4
	v_lshlrev_b64 v[8:9], v5, v[6:7]
; %bb.3400:                             ;   in Loop: Header=BB468_3103 Depth=1
	s_or_b32 exec_lo, exec_lo, s25
	s_delay_alu instid0(VALU_DEP_1) | instskip(SKIP_2) | instid1(VALU_DEP_3)
	v_lshlrev_b32_e32 v5, 20, v8
	v_lshlrev_b32_e32 v8, 24, v6
	v_lshl_add_u32 v4, v4, 23, 0x3c000000
	v_and_b32_e32 v5, 0x700000, v5
	s_delay_alu instid0(VALU_DEP_3) | instskip(NEXT) | instid1(VALU_DEP_1)
	v_and_b32_e32 v8, 0x80000000, v8
	v_or3_b32 v4, v5, v8, v4
.LBB468_3401:                           ;   in Loop: Header=BB468_3103 Depth=1
	s_or_b32 exec_lo, exec_lo, s24
.LBB468_3402:                           ;   in Loop: Header=BB468_3103 Depth=1
	s_delay_alu instid0(SALU_CYCLE_1)
	s_or_b32 exec_lo, exec_lo, s23
.LBB468_3403:                           ;   in Loop: Header=BB468_3103 Depth=1
	s_delay_alu instid0(SALU_CYCLE_1) | instskip(NEXT) | instid1(VALU_DEP_1)
	s_or_b32 exec_lo, exec_lo, s22
	v_mul_f32_e32 v5, v26, v4
	s_delay_alu instid0(VALU_DEP_1) | instskip(NEXT) | instid1(VALU_DEP_1)
	v_and_b32_e32 v4, 0x7f800000, v5
	v_cmp_ne_u32_e64 s9, 0x7f800000, v4
                                        ; implicit-def: $vgpr4
	s_delay_alu instid0(VALU_DEP_1) | instskip(NEXT) | instid1(SALU_CYCLE_1)
	s_and_saveexec_b32 s22, s9
	s_xor_b32 s9, exec_lo, s22
; %bb.3404:                             ;   in Loop: Header=BB468_3103 Depth=1
	v_bfe_u32 v4, v5, 16, 1
	s_delay_alu instid0(VALU_DEP_1)
	v_add3_u32 v4, v5, v4, 0x7fff
                                        ; implicit-def: $vgpr5
; %bb.3405:                             ;   in Loop: Header=BB468_3103 Depth=1
	s_and_not1_saveexec_b32 s22, s9
; %bb.3406:                             ;   in Loop: Header=BB468_3103 Depth=1
	v_and_b32_e32 v4, 0xffff, v5
	v_or_b32_e32 v8, 0x10000, v5
	s_delay_alu instid0(VALU_DEP_2) | instskip(NEXT) | instid1(VALU_DEP_1)
	v_cmp_eq_u32_e64 s9, 0, v4
	v_cndmask_b32_e64 v4, v8, v5, s9
; %bb.3407:                             ;   in Loop: Header=BB468_3103 Depth=1
	s_or_b32 exec_lo, exec_lo, s22
	v_lshrrev_b16 v8, 8, v6
	v_mov_b32_e32 v5, 0
	s_mov_b32 s22, exec_lo
	s_delay_alu instid0(VALU_DEP_2)
	v_cmpx_ne_u16_e32 0, v8
	s_cbranch_execz .LBB468_3415
; %bb.3408:                             ;   in Loop: Header=BB468_3103 Depth=1
	v_bfrev_b32_e32 v5, 1
	s_mov_b32 s23, exec_lo
	v_cmpx_ne_u16_e32 0x80, v8
	s_cbranch_execz .LBB468_3414
; %bb.3409:                             ;   in Loop: Header=BB468_3103 Depth=1
	v_and_b32_e32 v9, 0xffff, v8
	v_mov_b32_e32 v5, 0x7f800001
	s_mov_b32 s24, exec_lo
	s_delay_alu instid0(VALU_DEP_2) | instskip(NEXT) | instid1(VALU_DEP_1)
	v_and_b32_e32 v8, 0x7f, v9
	v_cmpx_ne_u32_e32 0x7f, v8
	s_cbranch_execz .LBB468_3413
; %bb.3410:                             ;   in Loop: Header=BB468_3103 Depth=1
	v_and_b32_e32 v12, 7, v9
	v_lshrrev_b32_e32 v5, 3, v8
	v_cmp_gt_u32_e64 s9, 8, v8
	s_delay_alu instid0(VALU_DEP_3) | instskip(NEXT) | instid1(VALU_DEP_2)
	v_dual_mov_b32 v8, v12 :: v_dual_mov_b32 v9, v13
	s_and_saveexec_b32 s25, s9
; %bb.3411:                             ;   in Loop: Header=BB468_3103 Depth=1
	v_clz_i32_u32_e32 v5, v12
	s_delay_alu instid0(VALU_DEP_1) | instskip(NEXT) | instid1(VALU_DEP_1)
	v_min_u32_e32 v5, 32, v5
	v_subrev_nc_u32_e32 v8, 28, v5
	v_sub_nc_u32_e32 v5, 29, v5
	s_delay_alu instid0(VALU_DEP_2) | instskip(NEXT) | instid1(VALU_DEP_1)
	v_lshlrev_b64 v[8:9], v8, v[12:13]
	v_and_b32_e32 v8, 7, v8
; %bb.3412:                             ;   in Loop: Header=BB468_3103 Depth=1
	s_or_b32 exec_lo, exec_lo, s25
	v_lshlrev_b32_e32 v9, 16, v6
	s_delay_alu instid0(VALU_DEP_2) | instskip(SKIP_1) | instid1(VALU_DEP_3)
	v_lshlrev_b32_e32 v8, 20, v8
	v_lshl_add_u32 v5, v5, 23, 0x3c000000
	v_and_b32_e32 v9, 0x80000000, v9
	s_delay_alu instid0(VALU_DEP_1)
	v_or3_b32 v5, v8, v9, v5
.LBB468_3413:                           ;   in Loop: Header=BB468_3103 Depth=1
	s_or_b32 exec_lo, exec_lo, s24
.LBB468_3414:                           ;   in Loop: Header=BB468_3103 Depth=1
	s_delay_alu instid0(SALU_CYCLE_1)
	s_or_b32 exec_lo, exec_lo, s23
.LBB468_3415:                           ;   in Loop: Header=BB468_3103 Depth=1
	s_delay_alu instid0(SALU_CYCLE_1) | instskip(NEXT) | instid1(VALU_DEP_1)
	s_or_b32 exec_lo, exec_lo, s22
	v_mul_f32_e32 v8, v26, v5
	s_delay_alu instid0(VALU_DEP_1) | instskip(NEXT) | instid1(VALU_DEP_1)
	v_and_b32_e32 v5, 0x7f800000, v8
	v_cmp_ne_u32_e64 s9, 0x7f800000, v5
                                        ; implicit-def: $vgpr5
	s_delay_alu instid0(VALU_DEP_1) | instskip(NEXT) | instid1(SALU_CYCLE_1)
	s_and_saveexec_b32 s22, s9
	s_xor_b32 s9, exec_lo, s22
; %bb.3416:                             ;   in Loop: Header=BB468_3103 Depth=1
	v_bfe_u32 v5, v8, 16, 1
	s_delay_alu instid0(VALU_DEP_1)
	v_add3_u32 v5, v8, v5, 0x7fff
                                        ; implicit-def: $vgpr8
; %bb.3417:                             ;   in Loop: Header=BB468_3103 Depth=1
	s_and_not1_saveexec_b32 s22, s9
; %bb.3418:                             ;   in Loop: Header=BB468_3103 Depth=1
	v_and_b32_e32 v5, 0xffff, v8
	v_or_b32_e32 v9, 0x10000, v8
	s_delay_alu instid0(VALU_DEP_2) | instskip(NEXT) | instid1(VALU_DEP_1)
	v_cmp_eq_u32_e64 s9, 0, v5
	v_cndmask_b32_e64 v5, v9, v8, s9
; %bb.3419:                             ;   in Loop: Header=BB468_3103 Depth=1
	s_or_b32 exec_lo, exec_lo, s22
	v_lshrrev_b32_e32 v10, 16, v6
	s_mov_b32 s22, exec_lo
	s_delay_alu instid0(VALU_DEP_1) | instskip(NEXT) | instid1(VALU_DEP_1)
	v_dual_mov_b32 v8, 0 :: v_dual_and_b32 v9, 0xff, v10
	v_cmpx_ne_u16_e32 0, v9
	s_cbranch_execz .LBB468_3427
; %bb.3420:                             ;   in Loop: Header=BB468_3103 Depth=1
	v_bfrev_b32_e32 v8, 1
	s_mov_b32 s23, exec_lo
	v_cmpx_ne_u16_e32 0x80, v9
	s_cbranch_execz .LBB468_3426
; %bb.3421:                             ;   in Loop: Header=BB468_3103 Depth=1
	v_bfe_u32 v9, v6, 16, 7
	v_mov_b32_e32 v8, 0x7f800001
	s_mov_b32 s24, exec_lo
	s_delay_alu instid0(VALU_DEP_2)
	v_cmpx_ne_u32_e32 0x7f, v9
	s_cbranch_execz .LBB468_3425
; %bb.3422:                             ;   in Loop: Header=BB468_3103 Depth=1
	v_and_b32_e32 v12, 7, v10
	v_lshrrev_b32_e32 v11, 3, v9
	v_cmp_gt_u32_e64 s9, 8, v9
	s_delay_alu instid0(VALU_DEP_3) | instskip(NEXT) | instid1(VALU_DEP_2)
	v_dual_mov_b32 v8, v12 :: v_dual_mov_b32 v9, v13
	s_and_saveexec_b32 s25, s9
; %bb.3423:                             ;   in Loop: Header=BB468_3103 Depth=1
	v_clz_i32_u32_e32 v8, v12
	s_delay_alu instid0(VALU_DEP_1) | instskip(NEXT) | instid1(VALU_DEP_1)
	v_min_u32_e32 v11, 32, v8
	v_subrev_nc_u32_e32 v8, 28, v11
	v_sub_nc_u32_e32 v11, 29, v11
	s_delay_alu instid0(VALU_DEP_2) | instskip(NEXT) | instid1(VALU_DEP_1)
	v_lshlrev_b64 v[8:9], v8, v[12:13]
	v_and_b32_e32 v8, 7, v8
; %bb.3424:                             ;   in Loop: Header=BB468_3103 Depth=1
	s_or_b32 exec_lo, exec_lo, s25
	v_lshlrev_b32_e32 v9, 24, v10
	s_delay_alu instid0(VALU_DEP_2) | instskip(SKIP_1) | instid1(VALU_DEP_3)
	v_lshlrev_b32_e32 v8, 20, v8
	v_lshl_add_u32 v10, v11, 23, 0x3c000000
	v_and_b32_e32 v9, 0x80000000, v9
	s_delay_alu instid0(VALU_DEP_1)
	v_or3_b32 v8, v8, v9, v10
.LBB468_3425:                           ;   in Loop: Header=BB468_3103 Depth=1
	s_or_b32 exec_lo, exec_lo, s24
.LBB468_3426:                           ;   in Loop: Header=BB468_3103 Depth=1
	s_delay_alu instid0(SALU_CYCLE_1)
	s_or_b32 exec_lo, exec_lo, s23
.LBB468_3427:                           ;   in Loop: Header=BB468_3103 Depth=1
	s_delay_alu instid0(SALU_CYCLE_1) | instskip(NEXT) | instid1(VALU_DEP_1)
	s_or_b32 exec_lo, exec_lo, s22
	v_mul_f32_e32 v8, v26, v8
                                        ; implicit-def: $vgpr10
	s_delay_alu instid0(VALU_DEP_1) | instskip(NEXT) | instid1(VALU_DEP_1)
	v_and_b32_e32 v9, 0x7f800000, v8
	v_cmp_ne_u32_e64 s9, 0x7f800000, v9
	s_delay_alu instid0(VALU_DEP_1) | instskip(NEXT) | instid1(SALU_CYCLE_1)
	s_and_saveexec_b32 s22, s9
	s_xor_b32 s9, exec_lo, s22
; %bb.3428:                             ;   in Loop: Header=BB468_3103 Depth=1
	v_bfe_u32 v9, v8, 16, 1
	s_delay_alu instid0(VALU_DEP_1)
	v_add3_u32 v10, v8, v9, 0x7fff
                                        ; implicit-def: $vgpr8
; %bb.3429:                             ;   in Loop: Header=BB468_3103 Depth=1
	s_and_not1_saveexec_b32 s22, s9
; %bb.3430:                             ;   in Loop: Header=BB468_3103 Depth=1
	v_and_b32_e32 v9, 0xffff, v8
	v_or_b32_e32 v10, 0x10000, v8
	s_delay_alu instid0(VALU_DEP_2) | instskip(NEXT) | instid1(VALU_DEP_1)
	v_cmp_eq_u32_e64 s9, 0, v9
	v_cndmask_b32_e64 v10, v10, v8, s9
; %bb.3431:                             ;   in Loop: Header=BB468_3103 Depth=1
	s_or_b32 exec_lo, exec_lo, s22
	v_mov_b32_e32 v8, 0
	s_mov_b32 s22, exec_lo
	v_cmpx_lt_u32_e32 0xffffff, v6
	s_cbranch_execz .LBB468_3439
; %bb.3432:                             ;   in Loop: Header=BB468_3103 Depth=1
	v_lshrrev_b32_e32 v11, 24, v6
	v_bfrev_b32_e32 v8, 1
	s_mov_b32 s23, exec_lo
	s_delay_alu instid0(VALU_DEP_2)
	v_cmpx_ne_u32_e32 0x80, v11
	s_cbranch_execz .LBB468_3438
; %bb.3433:                             ;   in Loop: Header=BB468_3103 Depth=1
	v_bfe_u32 v9, v6, 24, 7
	v_mov_b32_e32 v8, 0x7f800001
	s_mov_b32 s24, exec_lo
	s_delay_alu instid0(VALU_DEP_2)
	v_cmpx_ne_u32_e32 0x7f, v9
	s_cbranch_execz .LBB468_3437
; %bb.3434:                             ;   in Loop: Header=BB468_3103 Depth=1
	v_and_b32_e32 v12, 7, v11
	v_lshrrev_b32_e32 v17, 3, v9
	v_cmp_gt_u32_e64 s9, 8, v9
	s_delay_alu instid0(VALU_DEP_3) | instskip(NEXT) | instid1(VALU_DEP_2)
	v_dual_mov_b32 v8, v12 :: v_dual_mov_b32 v9, v13
	s_and_saveexec_b32 s25, s9
; %bb.3435:                             ;   in Loop: Header=BB468_3103 Depth=1
	v_clz_i32_u32_e32 v8, v12
	s_delay_alu instid0(VALU_DEP_1) | instskip(NEXT) | instid1(VALU_DEP_1)
	v_min_u32_e32 v17, 32, v8
	v_subrev_nc_u32_e32 v8, 28, v17
	v_sub_nc_u32_e32 v17, 29, v17
	s_delay_alu instid0(VALU_DEP_2) | instskip(NEXT) | instid1(VALU_DEP_1)
	v_lshlrev_b64 v[8:9], v8, v[12:13]
	v_and_b32_e32 v8, 7, v8
; %bb.3436:                             ;   in Loop: Header=BB468_3103 Depth=1
	s_or_b32 exec_lo, exec_lo, s25
	v_lshlrev_b32_e32 v9, 24, v11
	s_delay_alu instid0(VALU_DEP_2) | instskip(SKIP_1) | instid1(VALU_DEP_3)
	v_lshlrev_b32_e32 v8, 20, v8
	v_lshl_add_u32 v11, v17, 23, 0x3c000000
	v_and_b32_e32 v9, 0x80000000, v9
	s_delay_alu instid0(VALU_DEP_1)
	v_or3_b32 v8, v8, v9, v11
.LBB468_3437:                           ;   in Loop: Header=BB468_3103 Depth=1
	s_or_b32 exec_lo, exec_lo, s24
.LBB468_3438:                           ;   in Loop: Header=BB468_3103 Depth=1
	s_delay_alu instid0(SALU_CYCLE_1)
	s_or_b32 exec_lo, exec_lo, s23
.LBB468_3439:                           ;   in Loop: Header=BB468_3103 Depth=1
	s_delay_alu instid0(SALU_CYCLE_1) | instskip(NEXT) | instid1(VALU_DEP_1)
	s_or_b32 exec_lo, exec_lo, s22
	v_mul_f32_e32 v8, v26, v8
                                        ; implicit-def: $vgpr11
	s_delay_alu instid0(VALU_DEP_1) | instskip(NEXT) | instid1(VALU_DEP_1)
	v_and_b32_e32 v9, 0x7f800000, v8
	v_cmp_ne_u32_e64 s9, 0x7f800000, v9
	s_delay_alu instid0(VALU_DEP_1) | instskip(NEXT) | instid1(SALU_CYCLE_1)
	s_and_saveexec_b32 s22, s9
	s_xor_b32 s9, exec_lo, s22
; %bb.3440:                             ;   in Loop: Header=BB468_3103 Depth=1
	v_bfe_u32 v9, v8, 16, 1
	s_delay_alu instid0(VALU_DEP_1)
	v_add3_u32 v11, v8, v9, 0x7fff
                                        ; implicit-def: $vgpr8
; %bb.3441:                             ;   in Loop: Header=BB468_3103 Depth=1
	s_and_not1_saveexec_b32 s22, s9
; %bb.3442:                             ;   in Loop: Header=BB468_3103 Depth=1
	v_and_b32_e32 v9, 0xffff, v8
	v_or_b32_e32 v11, 0x10000, v8
	s_delay_alu instid0(VALU_DEP_2) | instskip(NEXT) | instid1(VALU_DEP_1)
	v_cmp_eq_u32_e64 s9, 0, v9
	v_cndmask_b32_e64 v11, v11, v8, s9
; %bb.3443:                             ;   in Loop: Header=BB468_3103 Depth=1
	s_or_b32 exec_lo, exec_lo, s22
	v_dual_mov_b32 v12, v7 :: v_dual_and_b32 v9, 0xff, v7
	v_mov_b32_e32 v8, 0
	s_mov_b32 s22, exec_lo
	s_delay_alu instid0(VALU_DEP_2)
	v_cmpx_ne_u16_e32 0, v9
	s_cbranch_execz .LBB468_3451
; %bb.3444:                             ;   in Loop: Header=BB468_3103 Depth=1
	v_bfrev_b32_e32 v8, 1
	s_mov_b32 s23, exec_lo
	v_cmpx_ne_u16_e32 0x80, v9
	s_cbranch_execz .LBB468_3450
; %bb.3445:                             ;   in Loop: Header=BB468_3103 Depth=1
	v_and_b32_e32 v9, 0x7f, v7
	v_mov_b32_e32 v8, 0x7f800001
	s_mov_b32 s24, exec_lo
	s_delay_alu instid0(VALU_DEP_2)
	v_cmpx_ne_u32_e32 0x7f, v9
	s_cbranch_execz .LBB468_3449
; %bb.3446:                             ;   in Loop: Header=BB468_3103 Depth=1
	v_lshrrev_b32_e32 v17, 3, v9
	v_cmp_gt_u32_e64 s9, 8, v9
	v_dual_mov_b32 v8, v12 :: v_dual_mov_b32 v9, v13
	s_delay_alu instid0(VALU_DEP_2)
	s_and_saveexec_b32 s25, s9
; %bb.3447:                             ;   in Loop: Header=BB468_3103 Depth=1
	v_and_b32_e32 v8, 7, v7
	s_delay_alu instid0(VALU_DEP_1) | instskip(NEXT) | instid1(VALU_DEP_1)
	v_clz_i32_u32_e32 v8, v8
	v_min_u32_e32 v17, 32, v8
	s_delay_alu instid0(VALU_DEP_1) | instskip(SKIP_1) | instid1(VALU_DEP_2)
	v_subrev_nc_u32_e32 v8, 28, v17
	v_sub_nc_u32_e32 v17, 29, v17
	v_lshlrev_b64 v[8:9], v8, v[12:13]
; %bb.3448:                             ;   in Loop: Header=BB468_3103 Depth=1
	s_or_b32 exec_lo, exec_lo, s25
	s_delay_alu instid0(VALU_DEP_1) | instskip(SKIP_2) | instid1(VALU_DEP_3)
	v_lshlrev_b32_e32 v8, 20, v8
	v_lshlrev_b32_e32 v9, 24, v12
	v_lshl_add_u32 v17, v17, 23, 0x3c000000
	v_and_b32_e32 v8, 0x700000, v8
	s_delay_alu instid0(VALU_DEP_3) | instskip(NEXT) | instid1(VALU_DEP_1)
	v_and_b32_e32 v9, 0x80000000, v9
	v_or3_b32 v8, v8, v9, v17
.LBB468_3449:                           ;   in Loop: Header=BB468_3103 Depth=1
	s_or_b32 exec_lo, exec_lo, s24
.LBB468_3450:                           ;   in Loop: Header=BB468_3103 Depth=1
	s_delay_alu instid0(SALU_CYCLE_1)
	s_or_b32 exec_lo, exec_lo, s23
.LBB468_3451:                           ;   in Loop: Header=BB468_3103 Depth=1
	s_delay_alu instid0(SALU_CYCLE_1) | instskip(NEXT) | instid1(VALU_DEP_1)
	s_or_b32 exec_lo, exec_lo, s22
	v_mul_f32_e32 v8, v26, v8
                                        ; implicit-def: $vgpr17
	s_delay_alu instid0(VALU_DEP_1) | instskip(NEXT) | instid1(VALU_DEP_1)
	v_and_b32_e32 v9, 0x7f800000, v8
	v_cmp_ne_u32_e64 s9, 0x7f800000, v9
	s_delay_alu instid0(VALU_DEP_1) | instskip(NEXT) | instid1(SALU_CYCLE_1)
	s_and_saveexec_b32 s22, s9
	s_xor_b32 s9, exec_lo, s22
; %bb.3452:                             ;   in Loop: Header=BB468_3103 Depth=1
	v_bfe_u32 v9, v8, 16, 1
	s_delay_alu instid0(VALU_DEP_1)
	v_add3_u32 v17, v8, v9, 0x7fff
                                        ; implicit-def: $vgpr8
; %bb.3453:                             ;   in Loop: Header=BB468_3103 Depth=1
	s_and_not1_saveexec_b32 s22, s9
; %bb.3454:                             ;   in Loop: Header=BB468_3103 Depth=1
	v_and_b32_e32 v9, 0xffff, v8
	v_or_b32_e32 v17, 0x10000, v8
	s_delay_alu instid0(VALU_DEP_2) | instskip(NEXT) | instid1(VALU_DEP_1)
	v_cmp_eq_u32_e64 s9, 0, v9
	v_cndmask_b32_e64 v17, v17, v8, s9
; %bb.3455:                             ;   in Loop: Header=BB468_3103 Depth=1
	s_or_b32 exec_lo, exec_lo, s22
	v_lshrrev_b16 v9, 8, v12
	v_mov_b32_e32 v8, 0
	s_mov_b32 s22, exec_lo
	s_delay_alu instid0(VALU_DEP_2)
	v_cmpx_ne_u16_e32 0, v9
	s_cbranch_execz .LBB468_3463
; %bb.3456:                             ;   in Loop: Header=BB468_3103 Depth=1
	v_bfrev_b32_e32 v8, 1
	s_mov_b32 s23, exec_lo
	v_cmpx_ne_u16_e32 0x80, v9
	s_cbranch_execz .LBB468_3462
; %bb.3457:                             ;   in Loop: Header=BB468_3103 Depth=1
	v_and_b32_e32 v9, 0xffff, v9
	v_mov_b32_e32 v8, 0x7f800001
	s_mov_b32 s24, exec_lo
	s_delay_alu instid0(VALU_DEP_2) | instskip(NEXT) | instid1(VALU_DEP_1)
	v_and_b32_e32 v19, 0x7f, v9
	v_cmpx_ne_u32_e32 0x7f, v19
	s_cbranch_execz .LBB468_3461
; %bb.3458:                             ;   in Loop: Header=BB468_3103 Depth=1
	v_dual_mov_b32 v9, v13 :: v_dual_and_b32 v8, 7, v9
	v_lshrrev_b32_e32 v18, 3, v19
	s_mov_b32 s25, exec_lo
	v_cmpx_gt_u32_e32 8, v19
; %bb.3459:                             ;   in Loop: Header=BB468_3103 Depth=1
	s_delay_alu instid0(VALU_DEP_3) | instskip(NEXT) | instid1(VALU_DEP_1)
	v_clz_i32_u32_e32 v18, v8
	v_min_u32_e32 v18, 32, v18
	s_delay_alu instid0(VALU_DEP_1) | instskip(SKIP_1) | instid1(VALU_DEP_2)
	v_subrev_nc_u32_e32 v19, 28, v18
	v_sub_nc_u32_e32 v18, 29, v18
	v_lshlrev_b64 v[8:9], v19, v[8:9]
	s_delay_alu instid0(VALU_DEP_1)
	v_and_b32_e32 v8, 7, v8
; %bb.3460:                             ;   in Loop: Header=BB468_3103 Depth=1
	s_or_b32 exec_lo, exec_lo, s25
	v_lshlrev_b32_e32 v9, 16, v12
	s_delay_alu instid0(VALU_DEP_2) | instskip(SKIP_1) | instid1(VALU_DEP_3)
	v_lshlrev_b32_e32 v8, 20, v8
	v_lshl_add_u32 v12, v18, 23, 0x3c000000
	v_and_b32_e32 v9, 0x80000000, v9
	s_delay_alu instid0(VALU_DEP_1)
	v_or3_b32 v8, v8, v9, v12
.LBB468_3461:                           ;   in Loop: Header=BB468_3103 Depth=1
	s_or_b32 exec_lo, exec_lo, s24
.LBB468_3462:                           ;   in Loop: Header=BB468_3103 Depth=1
	s_delay_alu instid0(SALU_CYCLE_1)
	s_or_b32 exec_lo, exec_lo, s23
.LBB468_3463:                           ;   in Loop: Header=BB468_3103 Depth=1
	s_delay_alu instid0(SALU_CYCLE_1) | instskip(NEXT) | instid1(VALU_DEP_1)
	s_or_b32 exec_lo, exec_lo, s22
	v_mul_f32_e32 v8, v26, v8
                                        ; implicit-def: $vgpr18
	s_delay_alu instid0(VALU_DEP_1) | instskip(NEXT) | instid1(VALU_DEP_1)
	v_and_b32_e32 v9, 0x7f800000, v8
	v_cmp_ne_u32_e64 s9, 0x7f800000, v9
	s_delay_alu instid0(VALU_DEP_1) | instskip(NEXT) | instid1(SALU_CYCLE_1)
	s_and_saveexec_b32 s22, s9
	s_xor_b32 s9, exec_lo, s22
; %bb.3464:                             ;   in Loop: Header=BB468_3103 Depth=1
	v_bfe_u32 v9, v8, 16, 1
	s_delay_alu instid0(VALU_DEP_1)
	v_add3_u32 v18, v8, v9, 0x7fff
                                        ; implicit-def: $vgpr8
; %bb.3465:                             ;   in Loop: Header=BB468_3103 Depth=1
	s_and_not1_saveexec_b32 s22, s9
; %bb.3466:                             ;   in Loop: Header=BB468_3103 Depth=1
	v_and_b32_e32 v9, 0xffff, v8
	v_or_b32_e32 v12, 0x10000, v8
	s_delay_alu instid0(VALU_DEP_2) | instskip(NEXT) | instid1(VALU_DEP_1)
	v_cmp_eq_u32_e64 s9, 0, v9
	v_cndmask_b32_e64 v18, v12, v8, s9
; %bb.3467:                             ;   in Loop: Header=BB468_3103 Depth=1
	s_or_b32 exec_lo, exec_lo, s22
	v_lshrrev_b32_e32 v19, 16, v7
	s_mov_b32 s22, exec_lo
	s_delay_alu instid0(VALU_DEP_1) | instskip(NEXT) | instid1(VALU_DEP_1)
	v_dual_mov_b32 v8, 0 :: v_dual_and_b32 v9, 0xff, v19
	v_cmpx_ne_u16_e32 0, v9
	s_cbranch_execz .LBB468_3475
; %bb.3468:                             ;   in Loop: Header=BB468_3103 Depth=1
	v_bfrev_b32_e32 v8, 1
	s_mov_b32 s23, exec_lo
	v_cmpx_ne_u16_e32 0x80, v9
	s_cbranch_execz .LBB468_3474
; %bb.3469:                             ;   in Loop: Header=BB468_3103 Depth=1
	v_bfe_u32 v9, v7, 16, 7
	v_mov_b32_e32 v8, 0x7f800001
	s_mov_b32 s24, exec_lo
	s_delay_alu instid0(VALU_DEP_2)
	v_cmpx_ne_u32_e32 0x7f, v9
	s_cbranch_execz .LBB468_3473
; %bb.3470:                             ;   in Loop: Header=BB468_3103 Depth=1
	v_and_b32_e32 v12, 7, v19
	v_lshrrev_b32_e32 v20, 3, v9
	v_cmp_gt_u32_e64 s9, 8, v9
	s_delay_alu instid0(VALU_DEP_3) | instskip(NEXT) | instid1(VALU_DEP_2)
	v_dual_mov_b32 v8, v12 :: v_dual_mov_b32 v9, v13
	s_and_saveexec_b32 s25, s9
; %bb.3471:                             ;   in Loop: Header=BB468_3103 Depth=1
	v_clz_i32_u32_e32 v8, v12
	s_delay_alu instid0(VALU_DEP_1) | instskip(NEXT) | instid1(VALU_DEP_1)
	v_min_u32_e32 v20, 32, v8
	v_subrev_nc_u32_e32 v8, 28, v20
	v_sub_nc_u32_e32 v20, 29, v20
	s_delay_alu instid0(VALU_DEP_2) | instskip(NEXT) | instid1(VALU_DEP_1)
	v_lshlrev_b64 v[8:9], v8, v[12:13]
	v_and_b32_e32 v8, 7, v8
; %bb.3472:                             ;   in Loop: Header=BB468_3103 Depth=1
	s_or_b32 exec_lo, exec_lo, s25
	v_lshlrev_b32_e32 v9, 24, v19
	s_delay_alu instid0(VALU_DEP_2) | instskip(SKIP_1) | instid1(VALU_DEP_3)
	v_lshlrev_b32_e32 v8, 20, v8
	v_lshl_add_u32 v12, v20, 23, 0x3c000000
	v_and_b32_e32 v9, 0x80000000, v9
	s_delay_alu instid0(VALU_DEP_1)
	v_or3_b32 v8, v8, v9, v12
.LBB468_3473:                           ;   in Loop: Header=BB468_3103 Depth=1
	s_or_b32 exec_lo, exec_lo, s24
.LBB468_3474:                           ;   in Loop: Header=BB468_3103 Depth=1
	s_delay_alu instid0(SALU_CYCLE_1)
	s_or_b32 exec_lo, exec_lo, s23
.LBB468_3475:                           ;   in Loop: Header=BB468_3103 Depth=1
	s_delay_alu instid0(SALU_CYCLE_1) | instskip(NEXT) | instid1(VALU_DEP_1)
	s_or_b32 exec_lo, exec_lo, s22
	v_mul_f32_e32 v8, v26, v8
	s_delay_alu instid0(VALU_DEP_1) | instskip(NEXT) | instid1(VALU_DEP_1)
	v_and_b32_e32 v9, 0x7f800000, v8
	v_cmp_ne_u32_e64 s9, 0x7f800000, v9
                                        ; implicit-def: $vgpr9
	s_delay_alu instid0(VALU_DEP_1) | instskip(NEXT) | instid1(SALU_CYCLE_1)
	s_and_saveexec_b32 s22, s9
	s_xor_b32 s9, exec_lo, s22
; %bb.3476:                             ;   in Loop: Header=BB468_3103 Depth=1
	v_bfe_u32 v9, v8, 16, 1
	s_delay_alu instid0(VALU_DEP_1)
	v_add3_u32 v9, v8, v9, 0x7fff
                                        ; implicit-def: $vgpr8
; %bb.3477:                             ;   in Loop: Header=BB468_3103 Depth=1
	s_and_not1_saveexec_b32 s22, s9
; %bb.3478:                             ;   in Loop: Header=BB468_3103 Depth=1
	v_and_b32_e32 v9, 0xffff, v8
	v_or_b32_e32 v12, 0x10000, v8
	s_delay_alu instid0(VALU_DEP_2) | instskip(NEXT) | instid1(VALU_DEP_1)
	v_cmp_eq_u32_e64 s9, 0, v9
	v_cndmask_b32_e64 v9, v12, v8, s9
; %bb.3479:                             ;   in Loop: Header=BB468_3103 Depth=1
	s_or_b32 exec_lo, exec_lo, s22
	v_cmp_lt_u64_e64 s9, s[12:13], v[6:7]
	v_mov_b32_e32 v6, 0
	s_delay_alu instid0(VALU_DEP_2)
	s_and_saveexec_b32 s22, s9
	s_cbranch_execz .LBB468_3487
; %bb.3480:                             ;   in Loop: Header=BB468_3103 Depth=1
	v_lshrrev_b32_e32 v8, 24, v7
	v_bfrev_b32_e32 v6, 1
	s_mov_b32 s23, exec_lo
	s_delay_alu instid0(VALU_DEP_2)
	v_cmpx_ne_u32_e32 0x80, v8
	s_cbranch_execz .LBB468_3486
; %bb.3481:                             ;   in Loop: Header=BB468_3103 Depth=1
	v_bfe_u32 v7, v7, 24, 7
	v_mov_b32_e32 v6, 0x7f800001
	s_mov_b32 s24, exec_lo
	s_delay_alu instid0(VALU_DEP_2)
	v_cmpx_ne_u32_e32 0x7f, v7
	s_cbranch_execz .LBB468_3485
; %bb.3482:                             ;   in Loop: Header=BB468_3103 Depth=1
	v_and_b32_e32 v12, 7, v8
	v_lshrrev_b32_e32 v19, 3, v7
	v_cmp_gt_u32_e64 s9, 8, v7
	s_delay_alu instid0(VALU_DEP_3) | instskip(NEXT) | instid1(VALU_DEP_2)
	v_dual_mov_b32 v6, v12 :: v_dual_mov_b32 v7, v13
	s_and_saveexec_b32 s25, s9
; %bb.3483:                             ;   in Loop: Header=BB468_3103 Depth=1
	v_clz_i32_u32_e32 v6, v12
	s_delay_alu instid0(VALU_DEP_1) | instskip(NEXT) | instid1(VALU_DEP_1)
	v_min_u32_e32 v19, 32, v6
	v_subrev_nc_u32_e32 v6, 28, v19
	v_sub_nc_u32_e32 v19, 29, v19
	s_delay_alu instid0(VALU_DEP_2) | instskip(NEXT) | instid1(VALU_DEP_1)
	v_lshlrev_b64 v[6:7], v6, v[12:13]
	v_and_b32_e32 v6, 7, v6
; %bb.3484:                             ;   in Loop: Header=BB468_3103 Depth=1
	s_or_b32 exec_lo, exec_lo, s25
	v_lshlrev_b32_e32 v7, 24, v8
	s_delay_alu instid0(VALU_DEP_2) | instskip(SKIP_1) | instid1(VALU_DEP_3)
	v_lshlrev_b32_e32 v6, 20, v6
	v_lshl_add_u32 v8, v19, 23, 0x3c000000
	v_and_b32_e32 v7, 0x80000000, v7
	s_delay_alu instid0(VALU_DEP_1)
	v_or3_b32 v6, v6, v7, v8
.LBB468_3485:                           ;   in Loop: Header=BB468_3103 Depth=1
	s_or_b32 exec_lo, exec_lo, s24
.LBB468_3486:                           ;   in Loop: Header=BB468_3103 Depth=1
	s_delay_alu instid0(SALU_CYCLE_1)
	s_or_b32 exec_lo, exec_lo, s23
.LBB468_3487:                           ;   in Loop: Header=BB468_3103 Depth=1
	s_delay_alu instid0(SALU_CYCLE_1) | instskip(NEXT) | instid1(VALU_DEP_1)
	s_or_b32 exec_lo, exec_lo, s22
	v_mul_f32_e32 v6, v26, v6
                                        ; implicit-def: $vgpr19
	s_delay_alu instid0(VALU_DEP_1) | instskip(NEXT) | instid1(VALU_DEP_1)
	v_and_b32_e32 v7, 0x7f800000, v6
	v_cmp_ne_u32_e64 s9, 0x7f800000, v7
	s_delay_alu instid0(VALU_DEP_1) | instskip(NEXT) | instid1(SALU_CYCLE_1)
	s_and_saveexec_b32 s22, s9
	s_xor_b32 s9, exec_lo, s22
; %bb.3488:                             ;   in Loop: Header=BB468_3103 Depth=1
	v_bfe_u32 v7, v6, 16, 1
	s_delay_alu instid0(VALU_DEP_1)
	v_add3_u32 v19, v6, v7, 0x7fff
                                        ; implicit-def: $vgpr6
; %bb.3489:                             ;   in Loop: Header=BB468_3103 Depth=1
	s_and_not1_saveexec_b32 s22, s9
; %bb.3490:                             ;   in Loop: Header=BB468_3103 Depth=1
	v_and_b32_e32 v7, 0xffff, v6
	v_or_b32_e32 v8, 0x10000, v6
	s_delay_alu instid0(VALU_DEP_2) | instskip(NEXT) | instid1(VALU_DEP_1)
	v_cmp_eq_u32_e64 s9, 0, v7
	v_cndmask_b32_e64 v19, v8, v6, s9
; %bb.3491:                             ;   in Loop: Header=BB468_3103 Depth=1
	s_or_b32 exec_lo, exec_lo, s22
	v_lshrrev_b32_e32 v6, 16, v18
	v_lshrrev_b32_e32 v7, 16, v17
	;; [unrolled: 1-line block ×8, first 2 shown]
	s_and_saveexec_b32 s9, s3
; %bb.3492:                             ;   in Loop: Header=BB468_3103 Depth=1
	s_delay_alu instid0(VALU_DEP_3)
	v_cndmask_b32_e32 v12, 0, v12, vcc_lo
	v_cndmask_b32_e64 v11, 0, v11, s1
	v_cndmask_b32_e64 v10, 0, v10, s2
	;; [unrolled: 1-line block ×7, first 2 shown]
; %bb.3493:                             ;   in Loop: Header=BB468_3103 Depth=1
	s_or_b32 exec_lo, exec_lo, s9
	v_lshlrev_b32_e32 v9, 16, v12
	s_delay_alu instid0(VALU_DEP_1) | instskip(NEXT) | instid1(VALU_DEP_1)
	v_mul_f32_e32 v9, v151, v9
	v_and_b32_e32 v12, 0x7f800000, v9
	s_delay_alu instid0(VALU_DEP_1) | instskip(NEXT) | instid1(VALU_DEP_1)
	v_cmp_ne_u32_e64 s9, 0x7f800000, v12
                                        ; implicit-def: $vgpr12
                                        ; kill: killed $vgpr12
	s_and_saveexec_b32 s22, s9
	s_delay_alu instid0(SALU_CYCLE_1)
	s_xor_b32 s9, exec_lo, s22
	s_cbranch_execz .LBB468_3495
; %bb.3494:                             ;   in Loop: Header=BB468_3103 Depth=1
	v_bfe_u32 v12, v9, 16, 1
	s_delay_alu instid0(VALU_DEP_1)
	v_add3_u32 v9, v9, v12, 0x7fff
	scratch_store_b32 off, v9, s32 offset:392 ; 4-byte Folded Spill
                                        ; implicit-def: $vgpr9
.LBB468_3495:                           ;   in Loop: Header=BB468_3103 Depth=1
	s_and_not1_saveexec_b32 s22, s9
	s_cbranch_execz .LBB468_3497
; %bb.3496:                             ;   in Loop: Header=BB468_3103 Depth=1
	v_and_b32_e32 v12, 0xffff, v9
	v_or_b32_e32 v17, 0x10000, v9
	s_delay_alu instid0(VALU_DEP_2) | instskip(NEXT) | instid1(VALU_DEP_1)
	v_cmp_eq_u32_e64 s9, 0, v12
	v_cndmask_b32_e64 v9, v17, v9, s9
	scratch_store_b32 off, v9, s32 offset:392 ; 4-byte Folded Spill
.LBB468_3497:                           ;   in Loop: Header=BB468_3103 Depth=1
	s_or_b32 exec_lo, exec_lo, s22
	v_lshlrev_b32_e32 v9, 16, v11
	s_delay_alu instid0(VALU_DEP_1) | instskip(NEXT) | instid1(VALU_DEP_1)
	v_mul_f32_e32 v9, v160, v9
	v_and_b32_e32 v11, 0x7f800000, v9
	s_delay_alu instid0(VALU_DEP_1) | instskip(NEXT) | instid1(VALU_DEP_1)
	v_cmp_ne_u32_e64 s9, 0x7f800000, v11
                                        ; implicit-def: $vgpr11
                                        ; kill: killed $vgpr11
	s_and_saveexec_b32 s22, s9
	s_delay_alu instid0(SALU_CYCLE_1)
	s_xor_b32 s9, exec_lo, s22
	s_cbranch_execz .LBB468_3499
; %bb.3498:                             ;   in Loop: Header=BB468_3103 Depth=1
	v_bfe_u32 v11, v9, 16, 1
	s_delay_alu instid0(VALU_DEP_1)
	v_add3_u32 v9, v9, v11, 0x7fff
	scratch_store_b32 off, v9, s32 offset:396 ; 4-byte Folded Spill
                                        ; implicit-def: $vgpr9
.LBB468_3499:                           ;   in Loop: Header=BB468_3103 Depth=1
	s_and_not1_saveexec_b32 s22, s9
	s_cbranch_execz .LBB468_3501
; %bb.3500:                             ;   in Loop: Header=BB468_3103 Depth=1
	v_and_b32_e32 v11, 0xffff, v9
	v_or_b32_e32 v12, 0x10000, v9
	s_delay_alu instid0(VALU_DEP_2) | instskip(NEXT) | instid1(VALU_DEP_1)
	v_cmp_eq_u32_e64 s9, 0, v11
	v_cndmask_b32_e64 v9, v12, v9, s9
	scratch_store_b32 off, v9, s32 offset:396 ; 4-byte Folded Spill
.LBB468_3501:                           ;   in Loop: Header=BB468_3103 Depth=1
	s_or_b32 exec_lo, exec_lo, s22
	v_lshlrev_b32_e32 v9, 16, v10
	s_delay_alu instid0(VALU_DEP_1) | instskip(NEXT) | instid1(VALU_DEP_1)
	v_mul_f32_e32 v9, v161, v9
	v_and_b32_e32 v10, 0x7f800000, v9
	s_delay_alu instid0(VALU_DEP_1) | instskip(NEXT) | instid1(VALU_DEP_1)
	v_cmp_ne_u32_e64 s9, 0x7f800000, v10
                                        ; implicit-def: $vgpr10
                                        ; kill: killed $vgpr10
	s_and_saveexec_b32 s22, s9
	s_delay_alu instid0(SALU_CYCLE_1)
	s_xor_b32 s9, exec_lo, s22
	s_cbranch_execz .LBB468_3503
; %bb.3502:                             ;   in Loop: Header=BB468_3103 Depth=1
	v_bfe_u32 v10, v9, 16, 1
	s_delay_alu instid0(VALU_DEP_1)
	v_add3_u32 v9, v9, v10, 0x7fff
	scratch_store_b32 off, v9, s32 offset:400 ; 4-byte Folded Spill
                                        ; implicit-def: $vgpr9
.LBB468_3503:                           ;   in Loop: Header=BB468_3103 Depth=1
	s_and_not1_saveexec_b32 s22, s9
	s_cbranch_execz .LBB468_3505
; %bb.3504:                             ;   in Loop: Header=BB468_3103 Depth=1
	v_and_b32_e32 v10, 0xffff, v9
	v_or_b32_e32 v11, 0x10000, v9
	s_delay_alu instid0(VALU_DEP_2) | instskip(NEXT) | instid1(VALU_DEP_1)
	v_cmp_eq_u32_e64 s9, 0, v10
	v_cndmask_b32_e64 v9, v11, v9, s9
	scratch_store_b32 off, v9, s32 offset:400 ; 4-byte Folded Spill
.LBB468_3505:                           ;   in Loop: Header=BB468_3103 Depth=1
	s_or_b32 exec_lo, exec_lo, s22
	v_lshlrev_b32_e32 v8, 16, v8
	s_delay_alu instid0(VALU_DEP_1) | instskip(NEXT) | instid1(VALU_DEP_1)
	v_mul_f32_e32 v8, v162, v8
	v_and_b32_e32 v9, 0x7f800000, v8
	s_delay_alu instid0(VALU_DEP_1) | instskip(NEXT) | instid1(VALU_DEP_1)
	v_cmp_ne_u32_e64 s9, 0x7f800000, v9
                                        ; implicit-def: $vgpr9
                                        ; kill: killed $vgpr9
	s_and_saveexec_b32 s22, s9
	s_delay_alu instid0(SALU_CYCLE_1)
	s_xor_b32 s9, exec_lo, s22
	s_cbranch_execz .LBB468_3507
; %bb.3506:                             ;   in Loop: Header=BB468_3103 Depth=1
	v_bfe_u32 v9, v8, 16, 1
	s_delay_alu instid0(VALU_DEP_1)
	v_add3_u32 v8, v8, v9, 0x7fff
	scratch_store_b32 off, v8, s32 offset:404 ; 4-byte Folded Spill
                                        ; implicit-def: $vgpr8
.LBB468_3507:                           ;   in Loop: Header=BB468_3103 Depth=1
	s_and_not1_saveexec_b32 s22, s9
	s_cbranch_execz .LBB468_3509
; %bb.3508:                             ;   in Loop: Header=BB468_3103 Depth=1
	v_and_b32_e32 v9, 0xffff, v8
	v_or_b32_e32 v10, 0x10000, v8
	s_delay_alu instid0(VALU_DEP_2) | instskip(NEXT) | instid1(VALU_DEP_1)
	v_cmp_eq_u32_e64 s9, 0, v9
	v_cndmask_b32_e64 v8, v10, v8, s9
	scratch_store_b32 off, v8, s32 offset:404 ; 4-byte Folded Spill
.LBB468_3509:                           ;   in Loop: Header=BB468_3103 Depth=1
	s_or_b32 exec_lo, exec_lo, s22
	v_lshlrev_b32_e32 v7, 16, v7
	s_delay_alu instid0(VALU_DEP_1) | instskip(NEXT) | instid1(VALU_DEP_1)
	v_mul_f32_e32 v7, v163, v7
	v_and_b32_e32 v8, 0x7f800000, v7
	s_delay_alu instid0(VALU_DEP_1) | instskip(NEXT) | instid1(VALU_DEP_1)
	v_cmp_ne_u32_e64 s9, 0x7f800000, v8
                                        ; implicit-def: $vgpr8
                                        ; kill: killed $vgpr8
	s_and_saveexec_b32 s22, s9
	s_delay_alu instid0(SALU_CYCLE_1)
	s_xor_b32 s9, exec_lo, s22
	s_cbranch_execz .LBB468_3511
; %bb.3510:                             ;   in Loop: Header=BB468_3103 Depth=1
	v_bfe_u32 v8, v7, 16, 1
	s_delay_alu instid0(VALU_DEP_1)
	v_add3_u32 v7, v7, v8, 0x7fff
	scratch_store_b32 off, v7, s32 offset:408 ; 4-byte Folded Spill
                                        ; implicit-def: $vgpr7
.LBB468_3511:                           ;   in Loop: Header=BB468_3103 Depth=1
	s_and_not1_saveexec_b32 s22, s9
	s_cbranch_execz .LBB468_3513
; %bb.3512:                             ;   in Loop: Header=BB468_3103 Depth=1
	v_and_b32_e32 v8, 0xffff, v7
	v_or_b32_e32 v9, 0x10000, v7
	s_delay_alu instid0(VALU_DEP_2) | instskip(NEXT) | instid1(VALU_DEP_1)
	v_cmp_eq_u32_e64 s9, 0, v8
	v_cndmask_b32_e64 v7, v9, v7, s9
	scratch_store_b32 off, v7, s32 offset:408 ; 4-byte Folded Spill
.LBB468_3513:                           ;   in Loop: Header=BB468_3103 Depth=1
	s_or_b32 exec_lo, exec_lo, s22
	v_lshlrev_b32_e32 v6, 16, v6
	s_delay_alu instid0(VALU_DEP_1) | instskip(NEXT) | instid1(VALU_DEP_1)
	v_mul_f32_e32 v6, v164, v6
	v_and_b32_e32 v7, 0x7f800000, v6
	s_delay_alu instid0(VALU_DEP_1) | instskip(NEXT) | instid1(VALU_DEP_1)
	v_cmp_ne_u32_e64 s9, 0x7f800000, v7
                                        ; implicit-def: $vgpr7
                                        ; kill: killed $vgpr7
	s_and_saveexec_b32 s22, s9
	s_delay_alu instid0(SALU_CYCLE_1)
	s_xor_b32 s9, exec_lo, s22
	s_cbranch_execz .LBB468_3515
; %bb.3514:                             ;   in Loop: Header=BB468_3103 Depth=1
	v_bfe_u32 v7, v6, 16, 1
	s_delay_alu instid0(VALU_DEP_1)
	v_add3_u32 v6, v6, v7, 0x7fff
	scratch_store_b32 off, v6, s32 offset:412 ; 4-byte Folded Spill
                                        ; implicit-def: $vgpr6
.LBB468_3515:                           ;   in Loop: Header=BB468_3103 Depth=1
	s_and_not1_saveexec_b32 s22, s9
	s_cbranch_execz .LBB468_3517
; %bb.3516:                             ;   in Loop: Header=BB468_3103 Depth=1
	v_and_b32_e32 v7, 0xffff, v6
	v_or_b32_e32 v8, 0x10000, v6
	s_delay_alu instid0(VALU_DEP_2) | instskip(NEXT) | instid1(VALU_DEP_1)
	v_cmp_eq_u32_e64 s9, 0, v7
	v_cndmask_b32_e64 v6, v8, v6, s9
	scratch_store_b32 off, v6, s32 offset:412 ; 4-byte Folded Spill
.LBB468_3517:                           ;   in Loop: Header=BB468_3103 Depth=1
	s_or_b32 exec_lo, exec_lo, s22
	v_lshlrev_b32_e32 v5, 16, v5
	s_delay_alu instid0(VALU_DEP_1) | instskip(NEXT) | instid1(VALU_DEP_1)
	v_mul_f32_e32 v5, v165, v5
	v_and_b32_e32 v6, 0x7f800000, v5
	s_delay_alu instid0(VALU_DEP_1) | instskip(NEXT) | instid1(VALU_DEP_1)
	v_cmp_ne_u32_e64 s9, 0x7f800000, v6
                                        ; implicit-def: $vgpr6
                                        ; kill: killed $vgpr6
	s_and_saveexec_b32 s22, s9
	s_delay_alu instid0(SALU_CYCLE_1)
	s_xor_b32 s9, exec_lo, s22
	s_cbranch_execz .LBB468_3519
; %bb.3518:                             ;   in Loop: Header=BB468_3103 Depth=1
	v_bfe_u32 v6, v5, 16, 1
	s_delay_alu instid0(VALU_DEP_1)
	v_add3_u32 v5, v5, v6, 0x7fff
	scratch_store_b32 off, v5, s32 offset:416 ; 4-byte Folded Spill
                                        ; implicit-def: $vgpr5
.LBB468_3519:                           ;   in Loop: Header=BB468_3103 Depth=1
	s_and_not1_saveexec_b32 s22, s9
	s_cbranch_execz .LBB468_3521
; %bb.3520:                             ;   in Loop: Header=BB468_3103 Depth=1
	v_and_b32_e32 v6, 0xffff, v5
	v_or_b32_e32 v7, 0x10000, v5
	s_delay_alu instid0(VALU_DEP_2) | instskip(NEXT) | instid1(VALU_DEP_1)
	v_cmp_eq_u32_e64 s9, 0, v6
	v_cndmask_b32_e64 v5, v7, v5, s9
	scratch_store_b32 off, v5, s32 offset:416 ; 4-byte Folded Spill
.LBB468_3521:                           ;   in Loop: Header=BB468_3103 Depth=1
	s_or_b32 exec_lo, exec_lo, s22
	v_lshlrev_b32_e32 v4, 16, v4
	s_delay_alu instid0(VALU_DEP_1) | instskip(NEXT) | instid1(VALU_DEP_1)
	v_mul_f32_e32 v4, v166, v4
	v_and_b32_e32 v5, 0x7f800000, v4
	s_delay_alu instid0(VALU_DEP_1) | instskip(NEXT) | instid1(VALU_DEP_1)
	v_cmp_ne_u32_e64 s9, 0x7f800000, v5
                                        ; implicit-def: $vgpr5
                                        ; kill: killed $vgpr5
	s_and_saveexec_b32 s22, s9
	s_delay_alu instid0(SALU_CYCLE_1)
	s_xor_b32 s9, exec_lo, s22
	s_cbranch_execz .LBB468_3523
; %bb.3522:                             ;   in Loop: Header=BB468_3103 Depth=1
	v_bfe_u32 v5, v4, 16, 1
	s_delay_alu instid0(VALU_DEP_1)
	v_add3_u32 v4, v4, v5, 0x7fff
	scratch_store_b32 off, v4, s32 offset:420 ; 4-byte Folded Spill
                                        ; implicit-def: $vgpr4
.LBB468_3523:                           ;   in Loop: Header=BB468_3103 Depth=1
	s_and_not1_saveexec_b32 s22, s9
	s_cbranch_execz .LBB468_3525
; %bb.3524:                             ;   in Loop: Header=BB468_3103 Depth=1
	v_and_b32_e32 v5, 0xffff, v4
	v_or_b32_e32 v6, 0x10000, v4
	s_delay_alu instid0(VALU_DEP_2) | instskip(NEXT) | instid1(VALU_DEP_1)
	v_cmp_eq_u32_e64 s9, 0, v5
	v_cndmask_b32_e64 v4, v6, v4, s9
	scratch_store_b32 off, v4, s32 offset:420 ; 4-byte Folded Spill
.LBB468_3525:                           ;   in Loop: Header=BB468_3103 Depth=1
	s_or_b32 exec_lo, exec_lo, s22
	flat_load_b64 v[6:7], v[2:3] offset:768
	s_mov_b32 s22, exec_lo
	s_waitcnt vmcnt(0) lgkmcnt(0)
	v_dual_mov_b32 v4, 0 :: v_dual_and_b32 v5, 0xff, v6
	s_delay_alu instid0(VALU_DEP_1)
	v_cmpx_ne_u16_e32 0, v5
	s_cbranch_execz .LBB468_3533
; %bb.3526:                             ;   in Loop: Header=BB468_3103 Depth=1
	v_bfrev_b32_e32 v4, 1
	s_mov_b32 s23, exec_lo
	v_cmpx_ne_u16_e32 0x80, v5
	s_cbranch_execz .LBB468_3532
; %bb.3527:                             ;   in Loop: Header=BB468_3103 Depth=1
	v_and_b32_e32 v5, 0x7f, v6
	v_mov_b32_e32 v4, 0x7f800001
	s_mov_b32 s24, exec_lo
	s_delay_alu instid0(VALU_DEP_2)
	v_cmpx_ne_u32_e32 0x7f, v5
	s_cbranch_execz .LBB468_3531
; %bb.3528:                             ;   in Loop: Header=BB468_3103 Depth=1
	v_lshrrev_b32_e32 v4, 3, v5
	v_dual_mov_b32 v9, v7 :: v_dual_mov_b32 v8, v6
	s_mov_b32 s25, exec_lo
	v_cmpx_gt_u32_e32 8, v5
; %bb.3529:                             ;   in Loop: Header=BB468_3103 Depth=1
	v_and_b32_e32 v4, 7, v6
	s_delay_alu instid0(VALU_DEP_1) | instskip(NEXT) | instid1(VALU_DEP_1)
	v_clz_i32_u32_e32 v4, v4
	v_min_u32_e32 v4, 32, v4
	s_delay_alu instid0(VALU_DEP_1) | instskip(SKIP_1) | instid1(VALU_DEP_2)
	v_subrev_nc_u32_e32 v5, 28, v4
	v_sub_nc_u32_e32 v4, 29, v4
	v_lshlrev_b64 v[8:9], v5, v[6:7]
; %bb.3530:                             ;   in Loop: Header=BB468_3103 Depth=1
	s_or_b32 exec_lo, exec_lo, s25
	s_delay_alu instid0(VALU_DEP_1) | instskip(SKIP_2) | instid1(VALU_DEP_3)
	v_lshlrev_b32_e32 v5, 20, v8
	v_lshlrev_b32_e32 v8, 24, v6
	v_lshl_add_u32 v4, v4, 23, 0x3c000000
	v_and_b32_e32 v5, 0x700000, v5
	s_delay_alu instid0(VALU_DEP_3) | instskip(NEXT) | instid1(VALU_DEP_1)
	v_and_b32_e32 v8, 0x80000000, v8
	v_or3_b32 v4, v5, v8, v4
.LBB468_3531:                           ;   in Loop: Header=BB468_3103 Depth=1
	s_or_b32 exec_lo, exec_lo, s24
.LBB468_3532:                           ;   in Loop: Header=BB468_3103 Depth=1
	s_delay_alu instid0(SALU_CYCLE_1)
	s_or_b32 exec_lo, exec_lo, s23
.LBB468_3533:                           ;   in Loop: Header=BB468_3103 Depth=1
	s_delay_alu instid0(SALU_CYCLE_1) | instskip(NEXT) | instid1(VALU_DEP_1)
	s_or_b32 exec_lo, exec_lo, s22
	v_mul_f32_e32 v5, v26, v4
	s_delay_alu instid0(VALU_DEP_1) | instskip(NEXT) | instid1(VALU_DEP_1)
	v_and_b32_e32 v4, 0x7f800000, v5
	v_cmp_ne_u32_e64 s9, 0x7f800000, v4
                                        ; implicit-def: $vgpr4
	s_delay_alu instid0(VALU_DEP_1) | instskip(NEXT) | instid1(SALU_CYCLE_1)
	s_and_saveexec_b32 s22, s9
	s_xor_b32 s9, exec_lo, s22
; %bb.3534:                             ;   in Loop: Header=BB468_3103 Depth=1
	v_bfe_u32 v4, v5, 16, 1
	s_delay_alu instid0(VALU_DEP_1)
	v_add3_u32 v4, v5, v4, 0x7fff
                                        ; implicit-def: $vgpr5
; %bb.3535:                             ;   in Loop: Header=BB468_3103 Depth=1
	s_and_not1_saveexec_b32 s22, s9
; %bb.3536:                             ;   in Loop: Header=BB468_3103 Depth=1
	v_and_b32_e32 v4, 0xffff, v5
	v_or_b32_e32 v8, 0x10000, v5
	s_delay_alu instid0(VALU_DEP_2) | instskip(NEXT) | instid1(VALU_DEP_1)
	v_cmp_eq_u32_e64 s9, 0, v4
	v_cndmask_b32_e64 v4, v8, v5, s9
; %bb.3537:                             ;   in Loop: Header=BB468_3103 Depth=1
	s_or_b32 exec_lo, exec_lo, s22
	v_lshrrev_b16 v8, 8, v6
	v_mov_b32_e32 v5, 0
	s_mov_b32 s22, exec_lo
	s_delay_alu instid0(VALU_DEP_2)
	v_cmpx_ne_u16_e32 0, v8
	s_cbranch_execz .LBB468_3545
; %bb.3538:                             ;   in Loop: Header=BB468_3103 Depth=1
	v_bfrev_b32_e32 v5, 1
	s_mov_b32 s23, exec_lo
	v_cmpx_ne_u16_e32 0x80, v8
	s_cbranch_execz .LBB468_3544
; %bb.3539:                             ;   in Loop: Header=BB468_3103 Depth=1
	v_and_b32_e32 v9, 0xffff, v8
	v_mov_b32_e32 v5, 0x7f800001
	s_mov_b32 s24, exec_lo
	s_delay_alu instid0(VALU_DEP_2) | instskip(NEXT) | instid1(VALU_DEP_1)
	v_and_b32_e32 v8, 0x7f, v9
	v_cmpx_ne_u32_e32 0x7f, v8
	s_cbranch_execz .LBB468_3543
; %bb.3540:                             ;   in Loop: Header=BB468_3103 Depth=1
	v_and_b32_e32 v12, 7, v9
	v_lshrrev_b32_e32 v5, 3, v8
	v_cmp_gt_u32_e64 s9, 8, v8
	s_delay_alu instid0(VALU_DEP_3) | instskip(NEXT) | instid1(VALU_DEP_2)
	v_dual_mov_b32 v8, v12 :: v_dual_mov_b32 v9, v13
	s_and_saveexec_b32 s25, s9
; %bb.3541:                             ;   in Loop: Header=BB468_3103 Depth=1
	v_clz_i32_u32_e32 v5, v12
	s_delay_alu instid0(VALU_DEP_1) | instskip(NEXT) | instid1(VALU_DEP_1)
	v_min_u32_e32 v5, 32, v5
	v_subrev_nc_u32_e32 v8, 28, v5
	v_sub_nc_u32_e32 v5, 29, v5
	s_delay_alu instid0(VALU_DEP_2) | instskip(NEXT) | instid1(VALU_DEP_1)
	v_lshlrev_b64 v[8:9], v8, v[12:13]
	v_and_b32_e32 v8, 7, v8
; %bb.3542:                             ;   in Loop: Header=BB468_3103 Depth=1
	s_or_b32 exec_lo, exec_lo, s25
	v_lshlrev_b32_e32 v9, 16, v6
	s_delay_alu instid0(VALU_DEP_2) | instskip(SKIP_1) | instid1(VALU_DEP_3)
	v_lshlrev_b32_e32 v8, 20, v8
	v_lshl_add_u32 v5, v5, 23, 0x3c000000
	v_and_b32_e32 v9, 0x80000000, v9
	s_delay_alu instid0(VALU_DEP_1)
	v_or3_b32 v5, v8, v9, v5
.LBB468_3543:                           ;   in Loop: Header=BB468_3103 Depth=1
	s_or_b32 exec_lo, exec_lo, s24
.LBB468_3544:                           ;   in Loop: Header=BB468_3103 Depth=1
	s_delay_alu instid0(SALU_CYCLE_1)
	s_or_b32 exec_lo, exec_lo, s23
.LBB468_3545:                           ;   in Loop: Header=BB468_3103 Depth=1
	s_delay_alu instid0(SALU_CYCLE_1) | instskip(NEXT) | instid1(VALU_DEP_1)
	s_or_b32 exec_lo, exec_lo, s22
	v_mul_f32_e32 v8, v26, v5
	s_delay_alu instid0(VALU_DEP_1) | instskip(NEXT) | instid1(VALU_DEP_1)
	v_and_b32_e32 v5, 0x7f800000, v8
	v_cmp_ne_u32_e64 s9, 0x7f800000, v5
                                        ; implicit-def: $vgpr5
	s_delay_alu instid0(VALU_DEP_1) | instskip(NEXT) | instid1(SALU_CYCLE_1)
	s_and_saveexec_b32 s22, s9
	s_xor_b32 s9, exec_lo, s22
; %bb.3546:                             ;   in Loop: Header=BB468_3103 Depth=1
	v_bfe_u32 v5, v8, 16, 1
	s_delay_alu instid0(VALU_DEP_1)
	v_add3_u32 v5, v8, v5, 0x7fff
                                        ; implicit-def: $vgpr8
; %bb.3547:                             ;   in Loop: Header=BB468_3103 Depth=1
	s_and_not1_saveexec_b32 s22, s9
; %bb.3548:                             ;   in Loop: Header=BB468_3103 Depth=1
	v_and_b32_e32 v5, 0xffff, v8
	v_or_b32_e32 v9, 0x10000, v8
	s_delay_alu instid0(VALU_DEP_2) | instskip(NEXT) | instid1(VALU_DEP_1)
	v_cmp_eq_u32_e64 s9, 0, v5
	v_cndmask_b32_e64 v5, v9, v8, s9
; %bb.3549:                             ;   in Loop: Header=BB468_3103 Depth=1
	s_or_b32 exec_lo, exec_lo, s22
	v_lshrrev_b32_e32 v10, 16, v6
	s_mov_b32 s22, exec_lo
	s_delay_alu instid0(VALU_DEP_1) | instskip(NEXT) | instid1(VALU_DEP_1)
	v_dual_mov_b32 v8, 0 :: v_dual_and_b32 v9, 0xff, v10
	v_cmpx_ne_u16_e32 0, v9
	s_cbranch_execz .LBB468_3557
; %bb.3550:                             ;   in Loop: Header=BB468_3103 Depth=1
	v_bfrev_b32_e32 v8, 1
	s_mov_b32 s23, exec_lo
	v_cmpx_ne_u16_e32 0x80, v9
	s_cbranch_execz .LBB468_3556
; %bb.3551:                             ;   in Loop: Header=BB468_3103 Depth=1
	v_bfe_u32 v9, v6, 16, 7
	v_mov_b32_e32 v8, 0x7f800001
	s_mov_b32 s24, exec_lo
	s_delay_alu instid0(VALU_DEP_2)
	v_cmpx_ne_u32_e32 0x7f, v9
	s_cbranch_execz .LBB468_3555
; %bb.3552:                             ;   in Loop: Header=BB468_3103 Depth=1
	v_and_b32_e32 v12, 7, v10
	v_lshrrev_b32_e32 v11, 3, v9
	v_cmp_gt_u32_e64 s9, 8, v9
	s_delay_alu instid0(VALU_DEP_3) | instskip(NEXT) | instid1(VALU_DEP_2)
	v_dual_mov_b32 v8, v12 :: v_dual_mov_b32 v9, v13
	s_and_saveexec_b32 s25, s9
; %bb.3553:                             ;   in Loop: Header=BB468_3103 Depth=1
	v_clz_i32_u32_e32 v8, v12
	s_delay_alu instid0(VALU_DEP_1) | instskip(NEXT) | instid1(VALU_DEP_1)
	v_min_u32_e32 v11, 32, v8
	v_subrev_nc_u32_e32 v8, 28, v11
	v_sub_nc_u32_e32 v11, 29, v11
	s_delay_alu instid0(VALU_DEP_2) | instskip(NEXT) | instid1(VALU_DEP_1)
	v_lshlrev_b64 v[8:9], v8, v[12:13]
	v_and_b32_e32 v8, 7, v8
; %bb.3554:                             ;   in Loop: Header=BB468_3103 Depth=1
	s_or_b32 exec_lo, exec_lo, s25
	v_lshlrev_b32_e32 v9, 24, v10
	s_delay_alu instid0(VALU_DEP_2) | instskip(SKIP_1) | instid1(VALU_DEP_3)
	v_lshlrev_b32_e32 v8, 20, v8
	v_lshl_add_u32 v10, v11, 23, 0x3c000000
	v_and_b32_e32 v9, 0x80000000, v9
	s_delay_alu instid0(VALU_DEP_1)
	v_or3_b32 v8, v8, v9, v10
.LBB468_3555:                           ;   in Loop: Header=BB468_3103 Depth=1
	s_or_b32 exec_lo, exec_lo, s24
.LBB468_3556:                           ;   in Loop: Header=BB468_3103 Depth=1
	s_delay_alu instid0(SALU_CYCLE_1)
	s_or_b32 exec_lo, exec_lo, s23
.LBB468_3557:                           ;   in Loop: Header=BB468_3103 Depth=1
	s_delay_alu instid0(SALU_CYCLE_1) | instskip(NEXT) | instid1(VALU_DEP_1)
	s_or_b32 exec_lo, exec_lo, s22
	v_mul_f32_e32 v8, v26, v8
                                        ; implicit-def: $vgpr10
	s_delay_alu instid0(VALU_DEP_1) | instskip(NEXT) | instid1(VALU_DEP_1)
	v_and_b32_e32 v9, 0x7f800000, v8
	v_cmp_ne_u32_e64 s9, 0x7f800000, v9
	s_delay_alu instid0(VALU_DEP_1) | instskip(NEXT) | instid1(SALU_CYCLE_1)
	s_and_saveexec_b32 s22, s9
	s_xor_b32 s9, exec_lo, s22
; %bb.3558:                             ;   in Loop: Header=BB468_3103 Depth=1
	v_bfe_u32 v9, v8, 16, 1
	s_delay_alu instid0(VALU_DEP_1)
	v_add3_u32 v10, v8, v9, 0x7fff
                                        ; implicit-def: $vgpr8
; %bb.3559:                             ;   in Loop: Header=BB468_3103 Depth=1
	s_and_not1_saveexec_b32 s22, s9
; %bb.3560:                             ;   in Loop: Header=BB468_3103 Depth=1
	v_and_b32_e32 v9, 0xffff, v8
	v_or_b32_e32 v10, 0x10000, v8
	s_delay_alu instid0(VALU_DEP_2) | instskip(NEXT) | instid1(VALU_DEP_1)
	v_cmp_eq_u32_e64 s9, 0, v9
	v_cndmask_b32_e64 v10, v10, v8, s9
; %bb.3561:                             ;   in Loop: Header=BB468_3103 Depth=1
	s_or_b32 exec_lo, exec_lo, s22
	v_mov_b32_e32 v8, 0
	s_mov_b32 s22, exec_lo
	v_cmpx_lt_u32_e32 0xffffff, v6
	s_cbranch_execz .LBB468_3569
; %bb.3562:                             ;   in Loop: Header=BB468_3103 Depth=1
	v_lshrrev_b32_e32 v11, 24, v6
	v_bfrev_b32_e32 v8, 1
	s_mov_b32 s23, exec_lo
	s_delay_alu instid0(VALU_DEP_2)
	v_cmpx_ne_u32_e32 0x80, v11
	s_cbranch_execz .LBB468_3568
; %bb.3563:                             ;   in Loop: Header=BB468_3103 Depth=1
	v_bfe_u32 v9, v6, 24, 7
	v_mov_b32_e32 v8, 0x7f800001
	s_mov_b32 s24, exec_lo
	s_delay_alu instid0(VALU_DEP_2)
	v_cmpx_ne_u32_e32 0x7f, v9
	s_cbranch_execz .LBB468_3567
; %bb.3564:                             ;   in Loop: Header=BB468_3103 Depth=1
	v_and_b32_e32 v12, 7, v11
	v_lshrrev_b32_e32 v17, 3, v9
	v_cmp_gt_u32_e64 s9, 8, v9
	s_delay_alu instid0(VALU_DEP_3) | instskip(NEXT) | instid1(VALU_DEP_2)
	v_dual_mov_b32 v8, v12 :: v_dual_mov_b32 v9, v13
	s_and_saveexec_b32 s25, s9
; %bb.3565:                             ;   in Loop: Header=BB468_3103 Depth=1
	v_clz_i32_u32_e32 v8, v12
	s_delay_alu instid0(VALU_DEP_1) | instskip(NEXT) | instid1(VALU_DEP_1)
	v_min_u32_e32 v17, 32, v8
	v_subrev_nc_u32_e32 v8, 28, v17
	v_sub_nc_u32_e32 v17, 29, v17
	s_delay_alu instid0(VALU_DEP_2) | instskip(NEXT) | instid1(VALU_DEP_1)
	v_lshlrev_b64 v[8:9], v8, v[12:13]
	v_and_b32_e32 v8, 7, v8
; %bb.3566:                             ;   in Loop: Header=BB468_3103 Depth=1
	s_or_b32 exec_lo, exec_lo, s25
	v_lshlrev_b32_e32 v9, 24, v11
	s_delay_alu instid0(VALU_DEP_2) | instskip(SKIP_1) | instid1(VALU_DEP_3)
	v_lshlrev_b32_e32 v8, 20, v8
	v_lshl_add_u32 v11, v17, 23, 0x3c000000
	v_and_b32_e32 v9, 0x80000000, v9
	s_delay_alu instid0(VALU_DEP_1)
	v_or3_b32 v8, v8, v9, v11
.LBB468_3567:                           ;   in Loop: Header=BB468_3103 Depth=1
	s_or_b32 exec_lo, exec_lo, s24
.LBB468_3568:                           ;   in Loop: Header=BB468_3103 Depth=1
	s_delay_alu instid0(SALU_CYCLE_1)
	s_or_b32 exec_lo, exec_lo, s23
.LBB468_3569:                           ;   in Loop: Header=BB468_3103 Depth=1
	s_delay_alu instid0(SALU_CYCLE_1) | instskip(NEXT) | instid1(VALU_DEP_1)
	s_or_b32 exec_lo, exec_lo, s22
	v_mul_f32_e32 v8, v26, v8
                                        ; implicit-def: $vgpr11
	s_delay_alu instid0(VALU_DEP_1) | instskip(NEXT) | instid1(VALU_DEP_1)
	v_and_b32_e32 v9, 0x7f800000, v8
	v_cmp_ne_u32_e64 s9, 0x7f800000, v9
	s_delay_alu instid0(VALU_DEP_1) | instskip(NEXT) | instid1(SALU_CYCLE_1)
	s_and_saveexec_b32 s22, s9
	s_xor_b32 s9, exec_lo, s22
; %bb.3570:                             ;   in Loop: Header=BB468_3103 Depth=1
	v_bfe_u32 v9, v8, 16, 1
	s_delay_alu instid0(VALU_DEP_1)
	v_add3_u32 v11, v8, v9, 0x7fff
                                        ; implicit-def: $vgpr8
; %bb.3571:                             ;   in Loop: Header=BB468_3103 Depth=1
	s_and_not1_saveexec_b32 s22, s9
; %bb.3572:                             ;   in Loop: Header=BB468_3103 Depth=1
	v_and_b32_e32 v9, 0xffff, v8
	v_or_b32_e32 v11, 0x10000, v8
	s_delay_alu instid0(VALU_DEP_2) | instskip(NEXT) | instid1(VALU_DEP_1)
	v_cmp_eq_u32_e64 s9, 0, v9
	v_cndmask_b32_e64 v11, v11, v8, s9
; %bb.3573:                             ;   in Loop: Header=BB468_3103 Depth=1
	s_or_b32 exec_lo, exec_lo, s22
	v_dual_mov_b32 v12, v7 :: v_dual_and_b32 v9, 0xff, v7
	v_mov_b32_e32 v8, 0
	s_mov_b32 s22, exec_lo
	s_delay_alu instid0(VALU_DEP_2)
	v_cmpx_ne_u16_e32 0, v9
	s_cbranch_execz .LBB468_3581
; %bb.3574:                             ;   in Loop: Header=BB468_3103 Depth=1
	v_bfrev_b32_e32 v8, 1
	s_mov_b32 s23, exec_lo
	v_cmpx_ne_u16_e32 0x80, v9
	s_cbranch_execz .LBB468_3580
; %bb.3575:                             ;   in Loop: Header=BB468_3103 Depth=1
	v_and_b32_e32 v9, 0x7f, v7
	v_mov_b32_e32 v8, 0x7f800001
	s_mov_b32 s24, exec_lo
	s_delay_alu instid0(VALU_DEP_2)
	v_cmpx_ne_u32_e32 0x7f, v9
	s_cbranch_execz .LBB468_3579
; %bb.3576:                             ;   in Loop: Header=BB468_3103 Depth=1
	v_lshrrev_b32_e32 v17, 3, v9
	v_cmp_gt_u32_e64 s9, 8, v9
	v_dual_mov_b32 v8, v12 :: v_dual_mov_b32 v9, v13
	s_delay_alu instid0(VALU_DEP_2)
	s_and_saveexec_b32 s25, s9
; %bb.3577:                             ;   in Loop: Header=BB468_3103 Depth=1
	v_and_b32_e32 v8, 7, v7
	s_delay_alu instid0(VALU_DEP_1) | instskip(NEXT) | instid1(VALU_DEP_1)
	v_clz_i32_u32_e32 v8, v8
	v_min_u32_e32 v17, 32, v8
	s_delay_alu instid0(VALU_DEP_1) | instskip(SKIP_1) | instid1(VALU_DEP_2)
	v_subrev_nc_u32_e32 v8, 28, v17
	v_sub_nc_u32_e32 v17, 29, v17
	v_lshlrev_b64 v[8:9], v8, v[12:13]
; %bb.3578:                             ;   in Loop: Header=BB468_3103 Depth=1
	s_or_b32 exec_lo, exec_lo, s25
	s_delay_alu instid0(VALU_DEP_1) | instskip(SKIP_2) | instid1(VALU_DEP_3)
	v_lshlrev_b32_e32 v8, 20, v8
	v_lshlrev_b32_e32 v9, 24, v12
	v_lshl_add_u32 v17, v17, 23, 0x3c000000
	v_and_b32_e32 v8, 0x700000, v8
	s_delay_alu instid0(VALU_DEP_3) | instskip(NEXT) | instid1(VALU_DEP_1)
	v_and_b32_e32 v9, 0x80000000, v9
	v_or3_b32 v8, v8, v9, v17
.LBB468_3579:                           ;   in Loop: Header=BB468_3103 Depth=1
	s_or_b32 exec_lo, exec_lo, s24
.LBB468_3580:                           ;   in Loop: Header=BB468_3103 Depth=1
	s_delay_alu instid0(SALU_CYCLE_1)
	s_or_b32 exec_lo, exec_lo, s23
.LBB468_3581:                           ;   in Loop: Header=BB468_3103 Depth=1
	s_delay_alu instid0(SALU_CYCLE_1) | instskip(NEXT) | instid1(VALU_DEP_1)
	s_or_b32 exec_lo, exec_lo, s22
	v_mul_f32_e32 v8, v26, v8
                                        ; implicit-def: $vgpr17
	s_delay_alu instid0(VALU_DEP_1) | instskip(NEXT) | instid1(VALU_DEP_1)
	v_and_b32_e32 v9, 0x7f800000, v8
	v_cmp_ne_u32_e64 s9, 0x7f800000, v9
	s_delay_alu instid0(VALU_DEP_1) | instskip(NEXT) | instid1(SALU_CYCLE_1)
	s_and_saveexec_b32 s22, s9
	s_xor_b32 s9, exec_lo, s22
; %bb.3582:                             ;   in Loop: Header=BB468_3103 Depth=1
	v_bfe_u32 v9, v8, 16, 1
	s_delay_alu instid0(VALU_DEP_1)
	v_add3_u32 v17, v8, v9, 0x7fff
                                        ; implicit-def: $vgpr8
; %bb.3583:                             ;   in Loop: Header=BB468_3103 Depth=1
	s_and_not1_saveexec_b32 s22, s9
; %bb.3584:                             ;   in Loop: Header=BB468_3103 Depth=1
	v_and_b32_e32 v9, 0xffff, v8
	v_or_b32_e32 v17, 0x10000, v8
	s_delay_alu instid0(VALU_DEP_2) | instskip(NEXT) | instid1(VALU_DEP_1)
	v_cmp_eq_u32_e64 s9, 0, v9
	v_cndmask_b32_e64 v17, v17, v8, s9
; %bb.3585:                             ;   in Loop: Header=BB468_3103 Depth=1
	s_or_b32 exec_lo, exec_lo, s22
	v_lshrrev_b16 v9, 8, v12
	v_mov_b32_e32 v8, 0
	s_mov_b32 s22, exec_lo
	s_delay_alu instid0(VALU_DEP_2)
	v_cmpx_ne_u16_e32 0, v9
	s_cbranch_execz .LBB468_3593
; %bb.3586:                             ;   in Loop: Header=BB468_3103 Depth=1
	v_bfrev_b32_e32 v8, 1
	s_mov_b32 s23, exec_lo
	v_cmpx_ne_u16_e32 0x80, v9
	s_cbranch_execz .LBB468_3592
; %bb.3587:                             ;   in Loop: Header=BB468_3103 Depth=1
	v_and_b32_e32 v9, 0xffff, v9
	v_mov_b32_e32 v8, 0x7f800001
	s_mov_b32 s24, exec_lo
	s_delay_alu instid0(VALU_DEP_2) | instskip(NEXT) | instid1(VALU_DEP_1)
	v_and_b32_e32 v19, 0x7f, v9
	v_cmpx_ne_u32_e32 0x7f, v19
	s_cbranch_execz .LBB468_3591
; %bb.3588:                             ;   in Loop: Header=BB468_3103 Depth=1
	v_dual_mov_b32 v9, v13 :: v_dual_and_b32 v8, 7, v9
	v_lshrrev_b32_e32 v18, 3, v19
	s_mov_b32 s25, exec_lo
	v_cmpx_gt_u32_e32 8, v19
; %bb.3589:                             ;   in Loop: Header=BB468_3103 Depth=1
	s_delay_alu instid0(VALU_DEP_3) | instskip(NEXT) | instid1(VALU_DEP_1)
	v_clz_i32_u32_e32 v18, v8
	v_min_u32_e32 v18, 32, v18
	s_delay_alu instid0(VALU_DEP_1) | instskip(SKIP_1) | instid1(VALU_DEP_2)
	v_subrev_nc_u32_e32 v19, 28, v18
	v_sub_nc_u32_e32 v18, 29, v18
	v_lshlrev_b64 v[8:9], v19, v[8:9]
	s_delay_alu instid0(VALU_DEP_1)
	v_and_b32_e32 v8, 7, v8
; %bb.3590:                             ;   in Loop: Header=BB468_3103 Depth=1
	s_or_b32 exec_lo, exec_lo, s25
	v_lshlrev_b32_e32 v9, 16, v12
	s_delay_alu instid0(VALU_DEP_2) | instskip(SKIP_1) | instid1(VALU_DEP_3)
	v_lshlrev_b32_e32 v8, 20, v8
	v_lshl_add_u32 v12, v18, 23, 0x3c000000
	v_and_b32_e32 v9, 0x80000000, v9
	s_delay_alu instid0(VALU_DEP_1)
	v_or3_b32 v8, v8, v9, v12
.LBB468_3591:                           ;   in Loop: Header=BB468_3103 Depth=1
	s_or_b32 exec_lo, exec_lo, s24
.LBB468_3592:                           ;   in Loop: Header=BB468_3103 Depth=1
	s_delay_alu instid0(SALU_CYCLE_1)
	s_or_b32 exec_lo, exec_lo, s23
.LBB468_3593:                           ;   in Loop: Header=BB468_3103 Depth=1
	s_delay_alu instid0(SALU_CYCLE_1) | instskip(NEXT) | instid1(VALU_DEP_1)
	s_or_b32 exec_lo, exec_lo, s22
	v_mul_f32_e32 v8, v26, v8
                                        ; implicit-def: $vgpr18
	s_delay_alu instid0(VALU_DEP_1) | instskip(NEXT) | instid1(VALU_DEP_1)
	v_and_b32_e32 v9, 0x7f800000, v8
	v_cmp_ne_u32_e64 s9, 0x7f800000, v9
	s_delay_alu instid0(VALU_DEP_1) | instskip(NEXT) | instid1(SALU_CYCLE_1)
	s_and_saveexec_b32 s22, s9
	s_xor_b32 s9, exec_lo, s22
; %bb.3594:                             ;   in Loop: Header=BB468_3103 Depth=1
	v_bfe_u32 v9, v8, 16, 1
	s_delay_alu instid0(VALU_DEP_1)
	v_add3_u32 v18, v8, v9, 0x7fff
                                        ; implicit-def: $vgpr8
; %bb.3595:                             ;   in Loop: Header=BB468_3103 Depth=1
	s_and_not1_saveexec_b32 s22, s9
; %bb.3596:                             ;   in Loop: Header=BB468_3103 Depth=1
	v_and_b32_e32 v9, 0xffff, v8
	v_or_b32_e32 v12, 0x10000, v8
	s_delay_alu instid0(VALU_DEP_2) | instskip(NEXT) | instid1(VALU_DEP_1)
	v_cmp_eq_u32_e64 s9, 0, v9
	v_cndmask_b32_e64 v18, v12, v8, s9
; %bb.3597:                             ;   in Loop: Header=BB468_3103 Depth=1
	s_or_b32 exec_lo, exec_lo, s22
	v_lshrrev_b32_e32 v19, 16, v7
	s_mov_b32 s22, exec_lo
	s_delay_alu instid0(VALU_DEP_1) | instskip(NEXT) | instid1(VALU_DEP_1)
	v_dual_mov_b32 v8, 0 :: v_dual_and_b32 v9, 0xff, v19
	v_cmpx_ne_u16_e32 0, v9
	s_cbranch_execz .LBB468_3605
; %bb.3598:                             ;   in Loop: Header=BB468_3103 Depth=1
	v_bfrev_b32_e32 v8, 1
	s_mov_b32 s23, exec_lo
	v_cmpx_ne_u16_e32 0x80, v9
	s_cbranch_execz .LBB468_3604
; %bb.3599:                             ;   in Loop: Header=BB468_3103 Depth=1
	v_bfe_u32 v9, v7, 16, 7
	v_mov_b32_e32 v8, 0x7f800001
	s_mov_b32 s24, exec_lo
	s_delay_alu instid0(VALU_DEP_2)
	v_cmpx_ne_u32_e32 0x7f, v9
	s_cbranch_execz .LBB468_3603
; %bb.3600:                             ;   in Loop: Header=BB468_3103 Depth=1
	v_and_b32_e32 v12, 7, v19
	v_lshrrev_b32_e32 v20, 3, v9
	v_cmp_gt_u32_e64 s9, 8, v9
	s_delay_alu instid0(VALU_DEP_3) | instskip(NEXT) | instid1(VALU_DEP_2)
	v_dual_mov_b32 v8, v12 :: v_dual_mov_b32 v9, v13
	s_and_saveexec_b32 s25, s9
; %bb.3601:                             ;   in Loop: Header=BB468_3103 Depth=1
	v_clz_i32_u32_e32 v8, v12
	s_delay_alu instid0(VALU_DEP_1) | instskip(NEXT) | instid1(VALU_DEP_1)
	v_min_u32_e32 v20, 32, v8
	v_subrev_nc_u32_e32 v8, 28, v20
	v_sub_nc_u32_e32 v20, 29, v20
	s_delay_alu instid0(VALU_DEP_2) | instskip(NEXT) | instid1(VALU_DEP_1)
	v_lshlrev_b64 v[8:9], v8, v[12:13]
	v_and_b32_e32 v8, 7, v8
; %bb.3602:                             ;   in Loop: Header=BB468_3103 Depth=1
	s_or_b32 exec_lo, exec_lo, s25
	v_lshlrev_b32_e32 v9, 24, v19
	s_delay_alu instid0(VALU_DEP_2) | instskip(SKIP_1) | instid1(VALU_DEP_3)
	v_lshlrev_b32_e32 v8, 20, v8
	v_lshl_add_u32 v12, v20, 23, 0x3c000000
	v_and_b32_e32 v9, 0x80000000, v9
	s_delay_alu instid0(VALU_DEP_1)
	v_or3_b32 v8, v8, v9, v12
.LBB468_3603:                           ;   in Loop: Header=BB468_3103 Depth=1
	s_or_b32 exec_lo, exec_lo, s24
.LBB468_3604:                           ;   in Loop: Header=BB468_3103 Depth=1
	s_delay_alu instid0(SALU_CYCLE_1)
	s_or_b32 exec_lo, exec_lo, s23
.LBB468_3605:                           ;   in Loop: Header=BB468_3103 Depth=1
	s_delay_alu instid0(SALU_CYCLE_1) | instskip(NEXT) | instid1(VALU_DEP_1)
	s_or_b32 exec_lo, exec_lo, s22
	v_mul_f32_e32 v8, v26, v8
	s_delay_alu instid0(VALU_DEP_1) | instskip(NEXT) | instid1(VALU_DEP_1)
	v_and_b32_e32 v9, 0x7f800000, v8
	v_cmp_ne_u32_e64 s9, 0x7f800000, v9
                                        ; implicit-def: $vgpr9
	s_delay_alu instid0(VALU_DEP_1) | instskip(NEXT) | instid1(SALU_CYCLE_1)
	s_and_saveexec_b32 s22, s9
	s_xor_b32 s9, exec_lo, s22
; %bb.3606:                             ;   in Loop: Header=BB468_3103 Depth=1
	v_bfe_u32 v9, v8, 16, 1
	s_delay_alu instid0(VALU_DEP_1)
	v_add3_u32 v9, v8, v9, 0x7fff
                                        ; implicit-def: $vgpr8
; %bb.3607:                             ;   in Loop: Header=BB468_3103 Depth=1
	s_and_not1_saveexec_b32 s22, s9
; %bb.3608:                             ;   in Loop: Header=BB468_3103 Depth=1
	v_and_b32_e32 v9, 0xffff, v8
	v_or_b32_e32 v12, 0x10000, v8
	s_delay_alu instid0(VALU_DEP_2) | instskip(NEXT) | instid1(VALU_DEP_1)
	v_cmp_eq_u32_e64 s9, 0, v9
	v_cndmask_b32_e64 v9, v12, v8, s9
; %bb.3609:                             ;   in Loop: Header=BB468_3103 Depth=1
	s_or_b32 exec_lo, exec_lo, s22
	v_cmp_lt_u64_e64 s9, s[12:13], v[6:7]
	v_mov_b32_e32 v6, 0
	s_delay_alu instid0(VALU_DEP_2)
	s_and_saveexec_b32 s22, s9
	s_cbranch_execz .LBB468_3617
; %bb.3610:                             ;   in Loop: Header=BB468_3103 Depth=1
	v_lshrrev_b32_e32 v8, 24, v7
	v_bfrev_b32_e32 v6, 1
	s_mov_b32 s23, exec_lo
	s_delay_alu instid0(VALU_DEP_2)
	v_cmpx_ne_u32_e32 0x80, v8
	s_cbranch_execz .LBB468_3616
; %bb.3611:                             ;   in Loop: Header=BB468_3103 Depth=1
	v_bfe_u32 v7, v7, 24, 7
	v_mov_b32_e32 v6, 0x7f800001
	s_mov_b32 s24, exec_lo
	s_delay_alu instid0(VALU_DEP_2)
	v_cmpx_ne_u32_e32 0x7f, v7
	s_cbranch_execz .LBB468_3615
; %bb.3612:                             ;   in Loop: Header=BB468_3103 Depth=1
	v_and_b32_e32 v12, 7, v8
	v_lshrrev_b32_e32 v19, 3, v7
	v_cmp_gt_u32_e64 s9, 8, v7
	s_delay_alu instid0(VALU_DEP_3) | instskip(NEXT) | instid1(VALU_DEP_2)
	v_dual_mov_b32 v6, v12 :: v_dual_mov_b32 v7, v13
	s_and_saveexec_b32 s25, s9
; %bb.3613:                             ;   in Loop: Header=BB468_3103 Depth=1
	v_clz_i32_u32_e32 v6, v12
	s_delay_alu instid0(VALU_DEP_1) | instskip(NEXT) | instid1(VALU_DEP_1)
	v_min_u32_e32 v19, 32, v6
	v_subrev_nc_u32_e32 v6, 28, v19
	v_sub_nc_u32_e32 v19, 29, v19
	s_delay_alu instid0(VALU_DEP_2) | instskip(NEXT) | instid1(VALU_DEP_1)
	v_lshlrev_b64 v[6:7], v6, v[12:13]
	v_and_b32_e32 v6, 7, v6
; %bb.3614:                             ;   in Loop: Header=BB468_3103 Depth=1
	s_or_b32 exec_lo, exec_lo, s25
	v_lshlrev_b32_e32 v7, 24, v8
	s_delay_alu instid0(VALU_DEP_2) | instskip(SKIP_1) | instid1(VALU_DEP_3)
	v_lshlrev_b32_e32 v6, 20, v6
	v_lshl_add_u32 v8, v19, 23, 0x3c000000
	v_and_b32_e32 v7, 0x80000000, v7
	s_delay_alu instid0(VALU_DEP_1)
	v_or3_b32 v6, v6, v7, v8
.LBB468_3615:                           ;   in Loop: Header=BB468_3103 Depth=1
	s_or_b32 exec_lo, exec_lo, s24
.LBB468_3616:                           ;   in Loop: Header=BB468_3103 Depth=1
	s_delay_alu instid0(SALU_CYCLE_1)
	s_or_b32 exec_lo, exec_lo, s23
.LBB468_3617:                           ;   in Loop: Header=BB468_3103 Depth=1
	s_delay_alu instid0(SALU_CYCLE_1) | instskip(NEXT) | instid1(VALU_DEP_1)
	s_or_b32 exec_lo, exec_lo, s22
	v_mul_f32_e32 v6, v26, v6
                                        ; implicit-def: $vgpr19
	s_delay_alu instid0(VALU_DEP_1) | instskip(NEXT) | instid1(VALU_DEP_1)
	v_and_b32_e32 v7, 0x7f800000, v6
	v_cmp_ne_u32_e64 s9, 0x7f800000, v7
	s_delay_alu instid0(VALU_DEP_1) | instskip(NEXT) | instid1(SALU_CYCLE_1)
	s_and_saveexec_b32 s22, s9
	s_xor_b32 s9, exec_lo, s22
; %bb.3618:                             ;   in Loop: Header=BB468_3103 Depth=1
	v_bfe_u32 v7, v6, 16, 1
	s_delay_alu instid0(VALU_DEP_1)
	v_add3_u32 v19, v6, v7, 0x7fff
                                        ; implicit-def: $vgpr6
; %bb.3619:                             ;   in Loop: Header=BB468_3103 Depth=1
	s_and_not1_saveexec_b32 s22, s9
; %bb.3620:                             ;   in Loop: Header=BB468_3103 Depth=1
	v_and_b32_e32 v7, 0xffff, v6
	v_or_b32_e32 v8, 0x10000, v6
	s_delay_alu instid0(VALU_DEP_2) | instskip(NEXT) | instid1(VALU_DEP_1)
	v_cmp_eq_u32_e64 s9, 0, v7
	v_cndmask_b32_e64 v19, v8, v6, s9
; %bb.3621:                             ;   in Loop: Header=BB468_3103 Depth=1
	s_or_b32 exec_lo, exec_lo, s22
	v_lshrrev_b32_e32 v6, 16, v18
	v_lshrrev_b32_e32 v7, 16, v17
	;; [unrolled: 1-line block ×8, first 2 shown]
	s_and_saveexec_b32 s9, s3
; %bb.3622:                             ;   in Loop: Header=BB468_3103 Depth=1
	s_delay_alu instid0(VALU_DEP_3)
	v_cndmask_b32_e32 v12, 0, v12, vcc_lo
	v_cndmask_b32_e64 v11, 0, v11, s1
	v_cndmask_b32_e64 v10, 0, v10, s2
	;; [unrolled: 1-line block ×7, first 2 shown]
; %bb.3623:                             ;   in Loop: Header=BB468_3103 Depth=1
	s_or_b32 exec_lo, exec_lo, s9
	v_lshlrev_b32_e32 v9, 16, v12
	s_delay_alu instid0(VALU_DEP_1) | instskip(NEXT) | instid1(VALU_DEP_1)
	v_mul_f32_e32 v9, v151, v9
	v_and_b32_e32 v12, 0x7f800000, v9
	s_delay_alu instid0(VALU_DEP_1) | instskip(NEXT) | instid1(VALU_DEP_1)
	v_cmp_ne_u32_e64 s9, 0x7f800000, v12
                                        ; implicit-def: $vgpr12
                                        ; kill: killed $vgpr12
	s_and_saveexec_b32 s22, s9
	s_delay_alu instid0(SALU_CYCLE_1)
	s_xor_b32 s9, exec_lo, s22
	s_cbranch_execz .LBB468_3625
; %bb.3624:                             ;   in Loop: Header=BB468_3103 Depth=1
	v_bfe_u32 v12, v9, 16, 1
	s_delay_alu instid0(VALU_DEP_1)
	v_add3_u32 v9, v9, v12, 0x7fff
	scratch_store_b32 off, v9, s32 offset:424 ; 4-byte Folded Spill
                                        ; implicit-def: $vgpr9
.LBB468_3625:                           ;   in Loop: Header=BB468_3103 Depth=1
	s_and_not1_saveexec_b32 s22, s9
	s_cbranch_execz .LBB468_3627
; %bb.3626:                             ;   in Loop: Header=BB468_3103 Depth=1
	v_and_b32_e32 v12, 0xffff, v9
	v_or_b32_e32 v17, 0x10000, v9
	s_delay_alu instid0(VALU_DEP_2) | instskip(NEXT) | instid1(VALU_DEP_1)
	v_cmp_eq_u32_e64 s9, 0, v12
	v_cndmask_b32_e64 v9, v17, v9, s9
	scratch_store_b32 off, v9, s32 offset:424 ; 4-byte Folded Spill
.LBB468_3627:                           ;   in Loop: Header=BB468_3103 Depth=1
	s_or_b32 exec_lo, exec_lo, s22
	v_lshlrev_b32_e32 v9, 16, v11
	s_delay_alu instid0(VALU_DEP_1) | instskip(NEXT) | instid1(VALU_DEP_1)
	v_mul_f32_e32 v9, v160, v9
	v_and_b32_e32 v11, 0x7f800000, v9
	s_delay_alu instid0(VALU_DEP_1) | instskip(NEXT) | instid1(VALU_DEP_1)
	v_cmp_ne_u32_e64 s9, 0x7f800000, v11
                                        ; implicit-def: $vgpr11
                                        ; kill: killed $vgpr11
	s_and_saveexec_b32 s22, s9
	s_delay_alu instid0(SALU_CYCLE_1)
	s_xor_b32 s9, exec_lo, s22
	s_cbranch_execz .LBB468_3629
; %bb.3628:                             ;   in Loop: Header=BB468_3103 Depth=1
	v_bfe_u32 v11, v9, 16, 1
	s_delay_alu instid0(VALU_DEP_1)
	v_add3_u32 v9, v9, v11, 0x7fff
	scratch_store_b32 off, v9, s32 offset:428 ; 4-byte Folded Spill
                                        ; implicit-def: $vgpr9
.LBB468_3629:                           ;   in Loop: Header=BB468_3103 Depth=1
	s_and_not1_saveexec_b32 s22, s9
	s_cbranch_execz .LBB468_3631
; %bb.3630:                             ;   in Loop: Header=BB468_3103 Depth=1
	v_and_b32_e32 v11, 0xffff, v9
	v_or_b32_e32 v12, 0x10000, v9
	s_delay_alu instid0(VALU_DEP_2) | instskip(NEXT) | instid1(VALU_DEP_1)
	v_cmp_eq_u32_e64 s9, 0, v11
	v_cndmask_b32_e64 v9, v12, v9, s9
	scratch_store_b32 off, v9, s32 offset:428 ; 4-byte Folded Spill
.LBB468_3631:                           ;   in Loop: Header=BB468_3103 Depth=1
	s_or_b32 exec_lo, exec_lo, s22
	v_lshlrev_b32_e32 v9, 16, v10
	s_delay_alu instid0(VALU_DEP_1) | instskip(NEXT) | instid1(VALU_DEP_1)
	v_mul_f32_e32 v9, v161, v9
	v_and_b32_e32 v10, 0x7f800000, v9
	s_delay_alu instid0(VALU_DEP_1) | instskip(NEXT) | instid1(VALU_DEP_1)
	v_cmp_ne_u32_e64 s9, 0x7f800000, v10
                                        ; implicit-def: $vgpr10
                                        ; kill: killed $vgpr10
	s_and_saveexec_b32 s22, s9
	s_delay_alu instid0(SALU_CYCLE_1)
	s_xor_b32 s9, exec_lo, s22
	s_cbranch_execz .LBB468_3633
; %bb.3632:                             ;   in Loop: Header=BB468_3103 Depth=1
	v_bfe_u32 v10, v9, 16, 1
	s_delay_alu instid0(VALU_DEP_1)
	v_add3_u32 v9, v9, v10, 0x7fff
	scratch_store_b32 off, v9, s32 offset:432 ; 4-byte Folded Spill
                                        ; implicit-def: $vgpr9
.LBB468_3633:                           ;   in Loop: Header=BB468_3103 Depth=1
	s_and_not1_saveexec_b32 s22, s9
	s_cbranch_execz .LBB468_3635
; %bb.3634:                             ;   in Loop: Header=BB468_3103 Depth=1
	v_and_b32_e32 v10, 0xffff, v9
	v_or_b32_e32 v11, 0x10000, v9
	s_delay_alu instid0(VALU_DEP_2) | instskip(NEXT) | instid1(VALU_DEP_1)
	v_cmp_eq_u32_e64 s9, 0, v10
	v_cndmask_b32_e64 v9, v11, v9, s9
	scratch_store_b32 off, v9, s32 offset:432 ; 4-byte Folded Spill
.LBB468_3635:                           ;   in Loop: Header=BB468_3103 Depth=1
	s_or_b32 exec_lo, exec_lo, s22
	v_lshlrev_b32_e32 v8, 16, v8
	s_delay_alu instid0(VALU_DEP_1) | instskip(NEXT) | instid1(VALU_DEP_1)
	v_mul_f32_e32 v8, v162, v8
	v_and_b32_e32 v9, 0x7f800000, v8
	s_delay_alu instid0(VALU_DEP_1) | instskip(NEXT) | instid1(VALU_DEP_1)
	v_cmp_ne_u32_e64 s9, 0x7f800000, v9
                                        ; implicit-def: $vgpr9
                                        ; kill: killed $vgpr9
	s_and_saveexec_b32 s22, s9
	s_delay_alu instid0(SALU_CYCLE_1)
	s_xor_b32 s9, exec_lo, s22
	s_cbranch_execz .LBB468_3637
; %bb.3636:                             ;   in Loop: Header=BB468_3103 Depth=1
	v_bfe_u32 v9, v8, 16, 1
	s_delay_alu instid0(VALU_DEP_1)
	v_add3_u32 v8, v8, v9, 0x7fff
	scratch_store_b32 off, v8, s32 offset:436 ; 4-byte Folded Spill
                                        ; implicit-def: $vgpr8
.LBB468_3637:                           ;   in Loop: Header=BB468_3103 Depth=1
	s_and_not1_saveexec_b32 s22, s9
	s_cbranch_execz .LBB468_3639
; %bb.3638:                             ;   in Loop: Header=BB468_3103 Depth=1
	v_and_b32_e32 v9, 0xffff, v8
	v_or_b32_e32 v10, 0x10000, v8
	s_delay_alu instid0(VALU_DEP_2) | instskip(NEXT) | instid1(VALU_DEP_1)
	v_cmp_eq_u32_e64 s9, 0, v9
	v_cndmask_b32_e64 v8, v10, v8, s9
	scratch_store_b32 off, v8, s32 offset:436 ; 4-byte Folded Spill
.LBB468_3639:                           ;   in Loop: Header=BB468_3103 Depth=1
	s_or_b32 exec_lo, exec_lo, s22
	v_lshlrev_b32_e32 v7, 16, v7
	s_delay_alu instid0(VALU_DEP_1) | instskip(NEXT) | instid1(VALU_DEP_1)
	v_mul_f32_e32 v7, v163, v7
	v_and_b32_e32 v8, 0x7f800000, v7
	s_delay_alu instid0(VALU_DEP_1) | instskip(NEXT) | instid1(VALU_DEP_1)
	v_cmp_ne_u32_e64 s9, 0x7f800000, v8
                                        ; implicit-def: $vgpr8
                                        ; kill: killed $vgpr8
	s_and_saveexec_b32 s22, s9
	s_delay_alu instid0(SALU_CYCLE_1)
	s_xor_b32 s9, exec_lo, s22
	s_cbranch_execz .LBB468_3641
; %bb.3640:                             ;   in Loop: Header=BB468_3103 Depth=1
	v_bfe_u32 v8, v7, 16, 1
	s_delay_alu instid0(VALU_DEP_1)
	v_add3_u32 v7, v7, v8, 0x7fff
	scratch_store_b32 off, v7, s32 offset:440 ; 4-byte Folded Spill
                                        ; implicit-def: $vgpr7
.LBB468_3641:                           ;   in Loop: Header=BB468_3103 Depth=1
	s_and_not1_saveexec_b32 s22, s9
	s_cbranch_execz .LBB468_3643
; %bb.3642:                             ;   in Loop: Header=BB468_3103 Depth=1
	v_and_b32_e32 v8, 0xffff, v7
	v_or_b32_e32 v9, 0x10000, v7
	s_delay_alu instid0(VALU_DEP_2) | instskip(NEXT) | instid1(VALU_DEP_1)
	v_cmp_eq_u32_e64 s9, 0, v8
	v_cndmask_b32_e64 v7, v9, v7, s9
	scratch_store_b32 off, v7, s32 offset:440 ; 4-byte Folded Spill
.LBB468_3643:                           ;   in Loop: Header=BB468_3103 Depth=1
	s_or_b32 exec_lo, exec_lo, s22
	v_lshlrev_b32_e32 v6, 16, v6
	s_delay_alu instid0(VALU_DEP_1) | instskip(NEXT) | instid1(VALU_DEP_1)
	v_mul_f32_e32 v6, v164, v6
	v_and_b32_e32 v7, 0x7f800000, v6
	s_delay_alu instid0(VALU_DEP_1) | instskip(NEXT) | instid1(VALU_DEP_1)
	v_cmp_ne_u32_e64 s9, 0x7f800000, v7
                                        ; implicit-def: $vgpr7
                                        ; kill: killed $vgpr7
	s_and_saveexec_b32 s22, s9
	s_delay_alu instid0(SALU_CYCLE_1)
	s_xor_b32 s9, exec_lo, s22
	s_cbranch_execz .LBB468_3645
; %bb.3644:                             ;   in Loop: Header=BB468_3103 Depth=1
	v_bfe_u32 v7, v6, 16, 1
	s_delay_alu instid0(VALU_DEP_1)
	v_add3_u32 v6, v6, v7, 0x7fff
	scratch_store_b32 off, v6, s32 offset:444 ; 4-byte Folded Spill
                                        ; implicit-def: $vgpr6
.LBB468_3645:                           ;   in Loop: Header=BB468_3103 Depth=1
	s_and_not1_saveexec_b32 s22, s9
	s_cbranch_execz .LBB468_3647
; %bb.3646:                             ;   in Loop: Header=BB468_3103 Depth=1
	v_and_b32_e32 v7, 0xffff, v6
	v_or_b32_e32 v8, 0x10000, v6
	s_delay_alu instid0(VALU_DEP_2) | instskip(NEXT) | instid1(VALU_DEP_1)
	v_cmp_eq_u32_e64 s9, 0, v7
	v_cndmask_b32_e64 v6, v8, v6, s9
	scratch_store_b32 off, v6, s32 offset:444 ; 4-byte Folded Spill
.LBB468_3647:                           ;   in Loop: Header=BB468_3103 Depth=1
	s_or_b32 exec_lo, exec_lo, s22
	v_lshlrev_b32_e32 v5, 16, v5
	s_delay_alu instid0(VALU_DEP_1) | instskip(NEXT) | instid1(VALU_DEP_1)
	v_mul_f32_e32 v5, v165, v5
	v_and_b32_e32 v6, 0x7f800000, v5
	s_delay_alu instid0(VALU_DEP_1) | instskip(NEXT) | instid1(VALU_DEP_1)
	v_cmp_ne_u32_e64 s9, 0x7f800000, v6
                                        ; implicit-def: $vgpr6
                                        ; kill: killed $vgpr6
	s_and_saveexec_b32 s22, s9
	s_delay_alu instid0(SALU_CYCLE_1)
	s_xor_b32 s9, exec_lo, s22
	s_cbranch_execz .LBB468_3649
; %bb.3648:                             ;   in Loop: Header=BB468_3103 Depth=1
	v_bfe_u32 v6, v5, 16, 1
	s_delay_alu instid0(VALU_DEP_1)
	v_add3_u32 v5, v5, v6, 0x7fff
	scratch_store_b32 off, v5, s32 offset:448 ; 4-byte Folded Spill
                                        ; implicit-def: $vgpr5
.LBB468_3649:                           ;   in Loop: Header=BB468_3103 Depth=1
	s_and_not1_saveexec_b32 s22, s9
	s_cbranch_execz .LBB468_3651
; %bb.3650:                             ;   in Loop: Header=BB468_3103 Depth=1
	v_and_b32_e32 v6, 0xffff, v5
	v_or_b32_e32 v7, 0x10000, v5
	s_delay_alu instid0(VALU_DEP_2) | instskip(NEXT) | instid1(VALU_DEP_1)
	v_cmp_eq_u32_e64 s9, 0, v6
	v_cndmask_b32_e64 v5, v7, v5, s9
	scratch_store_b32 off, v5, s32 offset:448 ; 4-byte Folded Spill
.LBB468_3651:                           ;   in Loop: Header=BB468_3103 Depth=1
	s_or_b32 exec_lo, exec_lo, s22
	v_lshlrev_b32_e32 v4, 16, v4
	s_delay_alu instid0(VALU_DEP_1) | instskip(NEXT) | instid1(VALU_DEP_1)
	v_mul_f32_e32 v4, v166, v4
	v_and_b32_e32 v5, 0x7f800000, v4
	s_delay_alu instid0(VALU_DEP_1) | instskip(NEXT) | instid1(VALU_DEP_1)
	v_cmp_ne_u32_e64 s9, 0x7f800000, v5
                                        ; implicit-def: $vgpr5
                                        ; kill: killed $vgpr5
	s_and_saveexec_b32 s22, s9
	s_delay_alu instid0(SALU_CYCLE_1)
	s_xor_b32 s9, exec_lo, s22
	s_cbranch_execz .LBB468_3653
; %bb.3652:                             ;   in Loop: Header=BB468_3103 Depth=1
	v_bfe_u32 v5, v4, 16, 1
	s_delay_alu instid0(VALU_DEP_1)
	v_add3_u32 v4, v4, v5, 0x7fff
	scratch_store_b32 off, v4, s32 offset:452 ; 4-byte Folded Spill
                                        ; implicit-def: $vgpr4
.LBB468_3653:                           ;   in Loop: Header=BB468_3103 Depth=1
	s_and_not1_saveexec_b32 s22, s9
	s_cbranch_execz .LBB468_3655
; %bb.3654:                             ;   in Loop: Header=BB468_3103 Depth=1
	v_and_b32_e32 v5, 0xffff, v4
	v_or_b32_e32 v6, 0x10000, v4
	s_delay_alu instid0(VALU_DEP_2) | instskip(NEXT) | instid1(VALU_DEP_1)
	v_cmp_eq_u32_e64 s9, 0, v5
	v_cndmask_b32_e64 v4, v6, v4, s9
	scratch_store_b32 off, v4, s32 offset:452 ; 4-byte Folded Spill
.LBB468_3655:                           ;   in Loop: Header=BB468_3103 Depth=1
	s_or_b32 exec_lo, exec_lo, s22
	flat_load_b64 v[6:7], v[2:3] offset:1024
	s_mov_b32 s22, exec_lo
	s_waitcnt vmcnt(0) lgkmcnt(0)
	v_dual_mov_b32 v4, 0 :: v_dual_and_b32 v5, 0xff, v6
	s_delay_alu instid0(VALU_DEP_1)
	v_cmpx_ne_u16_e32 0, v5
	s_cbranch_execz .LBB468_3663
; %bb.3656:                             ;   in Loop: Header=BB468_3103 Depth=1
	v_bfrev_b32_e32 v4, 1
	s_mov_b32 s23, exec_lo
	v_cmpx_ne_u16_e32 0x80, v5
	s_cbranch_execz .LBB468_3662
; %bb.3657:                             ;   in Loop: Header=BB468_3103 Depth=1
	v_and_b32_e32 v5, 0x7f, v6
	v_mov_b32_e32 v4, 0x7f800001
	s_mov_b32 s24, exec_lo
	s_delay_alu instid0(VALU_DEP_2)
	v_cmpx_ne_u32_e32 0x7f, v5
	s_cbranch_execz .LBB468_3661
; %bb.3658:                             ;   in Loop: Header=BB468_3103 Depth=1
	v_lshrrev_b32_e32 v4, 3, v5
	v_dual_mov_b32 v9, v7 :: v_dual_mov_b32 v8, v6
	s_mov_b32 s25, exec_lo
	v_cmpx_gt_u32_e32 8, v5
; %bb.3659:                             ;   in Loop: Header=BB468_3103 Depth=1
	v_and_b32_e32 v4, 7, v6
	s_delay_alu instid0(VALU_DEP_1) | instskip(NEXT) | instid1(VALU_DEP_1)
	v_clz_i32_u32_e32 v4, v4
	v_min_u32_e32 v4, 32, v4
	s_delay_alu instid0(VALU_DEP_1) | instskip(SKIP_1) | instid1(VALU_DEP_2)
	v_subrev_nc_u32_e32 v5, 28, v4
	v_sub_nc_u32_e32 v4, 29, v4
	v_lshlrev_b64 v[8:9], v5, v[6:7]
; %bb.3660:                             ;   in Loop: Header=BB468_3103 Depth=1
	s_or_b32 exec_lo, exec_lo, s25
	s_delay_alu instid0(VALU_DEP_1) | instskip(SKIP_2) | instid1(VALU_DEP_3)
	v_lshlrev_b32_e32 v5, 20, v8
	v_lshlrev_b32_e32 v8, 24, v6
	v_lshl_add_u32 v4, v4, 23, 0x3c000000
	v_and_b32_e32 v5, 0x700000, v5
	s_delay_alu instid0(VALU_DEP_3) | instskip(NEXT) | instid1(VALU_DEP_1)
	v_and_b32_e32 v8, 0x80000000, v8
	v_or3_b32 v4, v5, v8, v4
.LBB468_3661:                           ;   in Loop: Header=BB468_3103 Depth=1
	s_or_b32 exec_lo, exec_lo, s24
.LBB468_3662:                           ;   in Loop: Header=BB468_3103 Depth=1
	s_delay_alu instid0(SALU_CYCLE_1)
	s_or_b32 exec_lo, exec_lo, s23
.LBB468_3663:                           ;   in Loop: Header=BB468_3103 Depth=1
	s_delay_alu instid0(SALU_CYCLE_1) | instskip(NEXT) | instid1(VALU_DEP_1)
	s_or_b32 exec_lo, exec_lo, s22
	v_mul_f32_e32 v5, v26, v4
	s_delay_alu instid0(VALU_DEP_1) | instskip(NEXT) | instid1(VALU_DEP_1)
	v_and_b32_e32 v4, 0x7f800000, v5
	v_cmp_ne_u32_e64 s9, 0x7f800000, v4
                                        ; implicit-def: $vgpr4
	s_delay_alu instid0(VALU_DEP_1) | instskip(NEXT) | instid1(SALU_CYCLE_1)
	s_and_saveexec_b32 s22, s9
	s_xor_b32 s9, exec_lo, s22
; %bb.3664:                             ;   in Loop: Header=BB468_3103 Depth=1
	v_bfe_u32 v4, v5, 16, 1
	s_delay_alu instid0(VALU_DEP_1)
	v_add3_u32 v4, v5, v4, 0x7fff
                                        ; implicit-def: $vgpr5
; %bb.3665:                             ;   in Loop: Header=BB468_3103 Depth=1
	s_and_not1_saveexec_b32 s22, s9
; %bb.3666:                             ;   in Loop: Header=BB468_3103 Depth=1
	v_and_b32_e32 v4, 0xffff, v5
	v_or_b32_e32 v8, 0x10000, v5
	s_delay_alu instid0(VALU_DEP_2) | instskip(NEXT) | instid1(VALU_DEP_1)
	v_cmp_eq_u32_e64 s9, 0, v4
	v_cndmask_b32_e64 v4, v8, v5, s9
; %bb.3667:                             ;   in Loop: Header=BB468_3103 Depth=1
	s_or_b32 exec_lo, exec_lo, s22
	v_lshrrev_b16 v8, 8, v6
	v_mov_b32_e32 v5, 0
	s_mov_b32 s22, exec_lo
	s_delay_alu instid0(VALU_DEP_2)
	v_cmpx_ne_u16_e32 0, v8
	s_cbranch_execz .LBB468_3675
; %bb.3668:                             ;   in Loop: Header=BB468_3103 Depth=1
	v_bfrev_b32_e32 v5, 1
	s_mov_b32 s23, exec_lo
	v_cmpx_ne_u16_e32 0x80, v8
	s_cbranch_execz .LBB468_3674
; %bb.3669:                             ;   in Loop: Header=BB468_3103 Depth=1
	v_and_b32_e32 v9, 0xffff, v8
	v_mov_b32_e32 v5, 0x7f800001
	s_mov_b32 s24, exec_lo
	s_delay_alu instid0(VALU_DEP_2) | instskip(NEXT) | instid1(VALU_DEP_1)
	v_and_b32_e32 v8, 0x7f, v9
	v_cmpx_ne_u32_e32 0x7f, v8
	s_cbranch_execz .LBB468_3673
; %bb.3670:                             ;   in Loop: Header=BB468_3103 Depth=1
	v_and_b32_e32 v12, 7, v9
	v_lshrrev_b32_e32 v5, 3, v8
	v_cmp_gt_u32_e64 s9, 8, v8
	s_delay_alu instid0(VALU_DEP_3) | instskip(NEXT) | instid1(VALU_DEP_2)
	v_dual_mov_b32 v8, v12 :: v_dual_mov_b32 v9, v13
	s_and_saveexec_b32 s25, s9
; %bb.3671:                             ;   in Loop: Header=BB468_3103 Depth=1
	v_clz_i32_u32_e32 v5, v12
	s_delay_alu instid0(VALU_DEP_1) | instskip(NEXT) | instid1(VALU_DEP_1)
	v_min_u32_e32 v5, 32, v5
	v_subrev_nc_u32_e32 v8, 28, v5
	v_sub_nc_u32_e32 v5, 29, v5
	s_delay_alu instid0(VALU_DEP_2) | instskip(NEXT) | instid1(VALU_DEP_1)
	v_lshlrev_b64 v[8:9], v8, v[12:13]
	v_and_b32_e32 v8, 7, v8
; %bb.3672:                             ;   in Loop: Header=BB468_3103 Depth=1
	s_or_b32 exec_lo, exec_lo, s25
	v_lshlrev_b32_e32 v9, 16, v6
	s_delay_alu instid0(VALU_DEP_2) | instskip(SKIP_1) | instid1(VALU_DEP_3)
	v_lshlrev_b32_e32 v8, 20, v8
	v_lshl_add_u32 v5, v5, 23, 0x3c000000
	v_and_b32_e32 v9, 0x80000000, v9
	s_delay_alu instid0(VALU_DEP_1)
	v_or3_b32 v5, v8, v9, v5
.LBB468_3673:                           ;   in Loop: Header=BB468_3103 Depth=1
	s_or_b32 exec_lo, exec_lo, s24
.LBB468_3674:                           ;   in Loop: Header=BB468_3103 Depth=1
	s_delay_alu instid0(SALU_CYCLE_1)
	s_or_b32 exec_lo, exec_lo, s23
.LBB468_3675:                           ;   in Loop: Header=BB468_3103 Depth=1
	s_delay_alu instid0(SALU_CYCLE_1) | instskip(NEXT) | instid1(VALU_DEP_1)
	s_or_b32 exec_lo, exec_lo, s22
	v_mul_f32_e32 v8, v26, v5
	s_delay_alu instid0(VALU_DEP_1) | instskip(NEXT) | instid1(VALU_DEP_1)
	v_and_b32_e32 v5, 0x7f800000, v8
	v_cmp_ne_u32_e64 s9, 0x7f800000, v5
                                        ; implicit-def: $vgpr5
	s_delay_alu instid0(VALU_DEP_1) | instskip(NEXT) | instid1(SALU_CYCLE_1)
	s_and_saveexec_b32 s22, s9
	s_xor_b32 s9, exec_lo, s22
; %bb.3676:                             ;   in Loop: Header=BB468_3103 Depth=1
	v_bfe_u32 v5, v8, 16, 1
	s_delay_alu instid0(VALU_DEP_1)
	v_add3_u32 v5, v8, v5, 0x7fff
                                        ; implicit-def: $vgpr8
; %bb.3677:                             ;   in Loop: Header=BB468_3103 Depth=1
	s_and_not1_saveexec_b32 s22, s9
; %bb.3678:                             ;   in Loop: Header=BB468_3103 Depth=1
	v_and_b32_e32 v5, 0xffff, v8
	v_or_b32_e32 v9, 0x10000, v8
	s_delay_alu instid0(VALU_DEP_2) | instskip(NEXT) | instid1(VALU_DEP_1)
	v_cmp_eq_u32_e64 s9, 0, v5
	v_cndmask_b32_e64 v5, v9, v8, s9
; %bb.3679:                             ;   in Loop: Header=BB468_3103 Depth=1
	s_or_b32 exec_lo, exec_lo, s22
	v_lshrrev_b32_e32 v10, 16, v6
	s_mov_b32 s22, exec_lo
	s_delay_alu instid0(VALU_DEP_1) | instskip(NEXT) | instid1(VALU_DEP_1)
	v_dual_mov_b32 v8, 0 :: v_dual_and_b32 v9, 0xff, v10
	v_cmpx_ne_u16_e32 0, v9
	s_cbranch_execz .LBB468_3687
; %bb.3680:                             ;   in Loop: Header=BB468_3103 Depth=1
	v_bfrev_b32_e32 v8, 1
	s_mov_b32 s23, exec_lo
	v_cmpx_ne_u16_e32 0x80, v9
	s_cbranch_execz .LBB468_3686
; %bb.3681:                             ;   in Loop: Header=BB468_3103 Depth=1
	v_bfe_u32 v9, v6, 16, 7
	v_mov_b32_e32 v8, 0x7f800001
	s_mov_b32 s24, exec_lo
	s_delay_alu instid0(VALU_DEP_2)
	v_cmpx_ne_u32_e32 0x7f, v9
	s_cbranch_execz .LBB468_3685
; %bb.3682:                             ;   in Loop: Header=BB468_3103 Depth=1
	v_and_b32_e32 v12, 7, v10
	v_lshrrev_b32_e32 v11, 3, v9
	v_cmp_gt_u32_e64 s9, 8, v9
	s_delay_alu instid0(VALU_DEP_3) | instskip(NEXT) | instid1(VALU_DEP_2)
	v_dual_mov_b32 v8, v12 :: v_dual_mov_b32 v9, v13
	s_and_saveexec_b32 s25, s9
; %bb.3683:                             ;   in Loop: Header=BB468_3103 Depth=1
	v_clz_i32_u32_e32 v8, v12
	s_delay_alu instid0(VALU_DEP_1) | instskip(NEXT) | instid1(VALU_DEP_1)
	v_min_u32_e32 v11, 32, v8
	v_subrev_nc_u32_e32 v8, 28, v11
	v_sub_nc_u32_e32 v11, 29, v11
	s_delay_alu instid0(VALU_DEP_2) | instskip(NEXT) | instid1(VALU_DEP_1)
	v_lshlrev_b64 v[8:9], v8, v[12:13]
	v_and_b32_e32 v8, 7, v8
; %bb.3684:                             ;   in Loop: Header=BB468_3103 Depth=1
	s_or_b32 exec_lo, exec_lo, s25
	v_lshlrev_b32_e32 v9, 24, v10
	s_delay_alu instid0(VALU_DEP_2) | instskip(SKIP_1) | instid1(VALU_DEP_3)
	v_lshlrev_b32_e32 v8, 20, v8
	v_lshl_add_u32 v10, v11, 23, 0x3c000000
	v_and_b32_e32 v9, 0x80000000, v9
	s_delay_alu instid0(VALU_DEP_1)
	v_or3_b32 v8, v8, v9, v10
.LBB468_3685:                           ;   in Loop: Header=BB468_3103 Depth=1
	s_or_b32 exec_lo, exec_lo, s24
.LBB468_3686:                           ;   in Loop: Header=BB468_3103 Depth=1
	s_delay_alu instid0(SALU_CYCLE_1)
	s_or_b32 exec_lo, exec_lo, s23
.LBB468_3687:                           ;   in Loop: Header=BB468_3103 Depth=1
	s_delay_alu instid0(SALU_CYCLE_1) | instskip(NEXT) | instid1(VALU_DEP_1)
	s_or_b32 exec_lo, exec_lo, s22
	v_mul_f32_e32 v8, v26, v8
                                        ; implicit-def: $vgpr10
	s_delay_alu instid0(VALU_DEP_1) | instskip(NEXT) | instid1(VALU_DEP_1)
	v_and_b32_e32 v9, 0x7f800000, v8
	v_cmp_ne_u32_e64 s9, 0x7f800000, v9
	s_delay_alu instid0(VALU_DEP_1) | instskip(NEXT) | instid1(SALU_CYCLE_1)
	s_and_saveexec_b32 s22, s9
	s_xor_b32 s9, exec_lo, s22
; %bb.3688:                             ;   in Loop: Header=BB468_3103 Depth=1
	v_bfe_u32 v9, v8, 16, 1
	s_delay_alu instid0(VALU_DEP_1)
	v_add3_u32 v10, v8, v9, 0x7fff
                                        ; implicit-def: $vgpr8
; %bb.3689:                             ;   in Loop: Header=BB468_3103 Depth=1
	s_and_not1_saveexec_b32 s22, s9
; %bb.3690:                             ;   in Loop: Header=BB468_3103 Depth=1
	v_and_b32_e32 v9, 0xffff, v8
	v_or_b32_e32 v10, 0x10000, v8
	s_delay_alu instid0(VALU_DEP_2) | instskip(NEXT) | instid1(VALU_DEP_1)
	v_cmp_eq_u32_e64 s9, 0, v9
	v_cndmask_b32_e64 v10, v10, v8, s9
; %bb.3691:                             ;   in Loop: Header=BB468_3103 Depth=1
	s_or_b32 exec_lo, exec_lo, s22
	v_mov_b32_e32 v8, 0
	s_mov_b32 s22, exec_lo
	v_cmpx_lt_u32_e32 0xffffff, v6
	s_cbranch_execz .LBB468_3699
; %bb.3692:                             ;   in Loop: Header=BB468_3103 Depth=1
	v_lshrrev_b32_e32 v11, 24, v6
	v_bfrev_b32_e32 v8, 1
	s_mov_b32 s23, exec_lo
	s_delay_alu instid0(VALU_DEP_2)
	v_cmpx_ne_u32_e32 0x80, v11
	s_cbranch_execz .LBB468_3698
; %bb.3693:                             ;   in Loop: Header=BB468_3103 Depth=1
	v_bfe_u32 v9, v6, 24, 7
	v_mov_b32_e32 v8, 0x7f800001
	s_mov_b32 s24, exec_lo
	s_delay_alu instid0(VALU_DEP_2)
	v_cmpx_ne_u32_e32 0x7f, v9
	s_cbranch_execz .LBB468_3697
; %bb.3694:                             ;   in Loop: Header=BB468_3103 Depth=1
	v_and_b32_e32 v12, 7, v11
	v_lshrrev_b32_e32 v17, 3, v9
	v_cmp_gt_u32_e64 s9, 8, v9
	s_delay_alu instid0(VALU_DEP_3) | instskip(NEXT) | instid1(VALU_DEP_2)
	v_dual_mov_b32 v8, v12 :: v_dual_mov_b32 v9, v13
	s_and_saveexec_b32 s25, s9
; %bb.3695:                             ;   in Loop: Header=BB468_3103 Depth=1
	v_clz_i32_u32_e32 v8, v12
	s_delay_alu instid0(VALU_DEP_1) | instskip(NEXT) | instid1(VALU_DEP_1)
	v_min_u32_e32 v17, 32, v8
	v_subrev_nc_u32_e32 v8, 28, v17
	v_sub_nc_u32_e32 v17, 29, v17
	s_delay_alu instid0(VALU_DEP_2) | instskip(NEXT) | instid1(VALU_DEP_1)
	v_lshlrev_b64 v[8:9], v8, v[12:13]
	v_and_b32_e32 v8, 7, v8
; %bb.3696:                             ;   in Loop: Header=BB468_3103 Depth=1
	s_or_b32 exec_lo, exec_lo, s25
	v_lshlrev_b32_e32 v9, 24, v11
	s_delay_alu instid0(VALU_DEP_2) | instskip(SKIP_1) | instid1(VALU_DEP_3)
	v_lshlrev_b32_e32 v8, 20, v8
	v_lshl_add_u32 v11, v17, 23, 0x3c000000
	v_and_b32_e32 v9, 0x80000000, v9
	s_delay_alu instid0(VALU_DEP_1)
	v_or3_b32 v8, v8, v9, v11
.LBB468_3697:                           ;   in Loop: Header=BB468_3103 Depth=1
	s_or_b32 exec_lo, exec_lo, s24
.LBB468_3698:                           ;   in Loop: Header=BB468_3103 Depth=1
	s_delay_alu instid0(SALU_CYCLE_1)
	s_or_b32 exec_lo, exec_lo, s23
.LBB468_3699:                           ;   in Loop: Header=BB468_3103 Depth=1
	s_delay_alu instid0(SALU_CYCLE_1) | instskip(NEXT) | instid1(VALU_DEP_1)
	s_or_b32 exec_lo, exec_lo, s22
	v_mul_f32_e32 v8, v26, v8
                                        ; implicit-def: $vgpr11
	s_delay_alu instid0(VALU_DEP_1) | instskip(NEXT) | instid1(VALU_DEP_1)
	v_and_b32_e32 v9, 0x7f800000, v8
	v_cmp_ne_u32_e64 s9, 0x7f800000, v9
	s_delay_alu instid0(VALU_DEP_1) | instskip(NEXT) | instid1(SALU_CYCLE_1)
	s_and_saveexec_b32 s22, s9
	s_xor_b32 s9, exec_lo, s22
; %bb.3700:                             ;   in Loop: Header=BB468_3103 Depth=1
	v_bfe_u32 v9, v8, 16, 1
	s_delay_alu instid0(VALU_DEP_1)
	v_add3_u32 v11, v8, v9, 0x7fff
                                        ; implicit-def: $vgpr8
; %bb.3701:                             ;   in Loop: Header=BB468_3103 Depth=1
	s_and_not1_saveexec_b32 s22, s9
; %bb.3702:                             ;   in Loop: Header=BB468_3103 Depth=1
	v_and_b32_e32 v9, 0xffff, v8
	v_or_b32_e32 v11, 0x10000, v8
	s_delay_alu instid0(VALU_DEP_2) | instskip(NEXT) | instid1(VALU_DEP_1)
	v_cmp_eq_u32_e64 s9, 0, v9
	v_cndmask_b32_e64 v11, v11, v8, s9
; %bb.3703:                             ;   in Loop: Header=BB468_3103 Depth=1
	s_or_b32 exec_lo, exec_lo, s22
	v_dual_mov_b32 v12, v7 :: v_dual_and_b32 v9, 0xff, v7
	v_mov_b32_e32 v8, 0
	s_mov_b32 s22, exec_lo
	s_delay_alu instid0(VALU_DEP_2)
	v_cmpx_ne_u16_e32 0, v9
	s_cbranch_execz .LBB468_3711
; %bb.3704:                             ;   in Loop: Header=BB468_3103 Depth=1
	v_bfrev_b32_e32 v8, 1
	s_mov_b32 s23, exec_lo
	v_cmpx_ne_u16_e32 0x80, v9
	s_cbranch_execz .LBB468_3710
; %bb.3705:                             ;   in Loop: Header=BB468_3103 Depth=1
	v_and_b32_e32 v9, 0x7f, v7
	v_mov_b32_e32 v8, 0x7f800001
	s_mov_b32 s24, exec_lo
	s_delay_alu instid0(VALU_DEP_2)
	v_cmpx_ne_u32_e32 0x7f, v9
	s_cbranch_execz .LBB468_3709
; %bb.3706:                             ;   in Loop: Header=BB468_3103 Depth=1
	v_lshrrev_b32_e32 v17, 3, v9
	v_cmp_gt_u32_e64 s9, 8, v9
	v_dual_mov_b32 v8, v12 :: v_dual_mov_b32 v9, v13
	s_delay_alu instid0(VALU_DEP_2)
	s_and_saveexec_b32 s25, s9
; %bb.3707:                             ;   in Loop: Header=BB468_3103 Depth=1
	v_and_b32_e32 v8, 7, v7
	s_delay_alu instid0(VALU_DEP_1) | instskip(NEXT) | instid1(VALU_DEP_1)
	v_clz_i32_u32_e32 v8, v8
	v_min_u32_e32 v17, 32, v8
	s_delay_alu instid0(VALU_DEP_1) | instskip(SKIP_1) | instid1(VALU_DEP_2)
	v_subrev_nc_u32_e32 v8, 28, v17
	v_sub_nc_u32_e32 v17, 29, v17
	v_lshlrev_b64 v[8:9], v8, v[12:13]
; %bb.3708:                             ;   in Loop: Header=BB468_3103 Depth=1
	s_or_b32 exec_lo, exec_lo, s25
	s_delay_alu instid0(VALU_DEP_1) | instskip(SKIP_2) | instid1(VALU_DEP_3)
	v_lshlrev_b32_e32 v8, 20, v8
	v_lshlrev_b32_e32 v9, 24, v12
	v_lshl_add_u32 v17, v17, 23, 0x3c000000
	v_and_b32_e32 v8, 0x700000, v8
	s_delay_alu instid0(VALU_DEP_3) | instskip(NEXT) | instid1(VALU_DEP_1)
	v_and_b32_e32 v9, 0x80000000, v9
	v_or3_b32 v8, v8, v9, v17
.LBB468_3709:                           ;   in Loop: Header=BB468_3103 Depth=1
	s_or_b32 exec_lo, exec_lo, s24
.LBB468_3710:                           ;   in Loop: Header=BB468_3103 Depth=1
	s_delay_alu instid0(SALU_CYCLE_1)
	s_or_b32 exec_lo, exec_lo, s23
.LBB468_3711:                           ;   in Loop: Header=BB468_3103 Depth=1
	s_delay_alu instid0(SALU_CYCLE_1) | instskip(NEXT) | instid1(VALU_DEP_1)
	s_or_b32 exec_lo, exec_lo, s22
	v_mul_f32_e32 v8, v26, v8
                                        ; implicit-def: $vgpr17
	s_delay_alu instid0(VALU_DEP_1) | instskip(NEXT) | instid1(VALU_DEP_1)
	v_and_b32_e32 v9, 0x7f800000, v8
	v_cmp_ne_u32_e64 s9, 0x7f800000, v9
	s_delay_alu instid0(VALU_DEP_1) | instskip(NEXT) | instid1(SALU_CYCLE_1)
	s_and_saveexec_b32 s22, s9
	s_xor_b32 s9, exec_lo, s22
; %bb.3712:                             ;   in Loop: Header=BB468_3103 Depth=1
	v_bfe_u32 v9, v8, 16, 1
	s_delay_alu instid0(VALU_DEP_1)
	v_add3_u32 v17, v8, v9, 0x7fff
                                        ; implicit-def: $vgpr8
; %bb.3713:                             ;   in Loop: Header=BB468_3103 Depth=1
	s_and_not1_saveexec_b32 s22, s9
; %bb.3714:                             ;   in Loop: Header=BB468_3103 Depth=1
	v_and_b32_e32 v9, 0xffff, v8
	v_or_b32_e32 v17, 0x10000, v8
	s_delay_alu instid0(VALU_DEP_2) | instskip(NEXT) | instid1(VALU_DEP_1)
	v_cmp_eq_u32_e64 s9, 0, v9
	v_cndmask_b32_e64 v17, v17, v8, s9
; %bb.3715:                             ;   in Loop: Header=BB468_3103 Depth=1
	s_or_b32 exec_lo, exec_lo, s22
	v_lshrrev_b16 v9, 8, v12
	v_mov_b32_e32 v8, 0
	s_mov_b32 s22, exec_lo
	s_delay_alu instid0(VALU_DEP_2)
	v_cmpx_ne_u16_e32 0, v9
	s_cbranch_execz .LBB468_3723
; %bb.3716:                             ;   in Loop: Header=BB468_3103 Depth=1
	v_bfrev_b32_e32 v8, 1
	s_mov_b32 s23, exec_lo
	v_cmpx_ne_u16_e32 0x80, v9
	s_cbranch_execz .LBB468_3722
; %bb.3717:                             ;   in Loop: Header=BB468_3103 Depth=1
	v_and_b32_e32 v9, 0xffff, v9
	v_mov_b32_e32 v8, 0x7f800001
	s_mov_b32 s24, exec_lo
	s_delay_alu instid0(VALU_DEP_2) | instskip(NEXT) | instid1(VALU_DEP_1)
	v_and_b32_e32 v19, 0x7f, v9
	v_cmpx_ne_u32_e32 0x7f, v19
	s_cbranch_execz .LBB468_3721
; %bb.3718:                             ;   in Loop: Header=BB468_3103 Depth=1
	v_dual_mov_b32 v9, v13 :: v_dual_and_b32 v8, 7, v9
	v_lshrrev_b32_e32 v18, 3, v19
	s_mov_b32 s25, exec_lo
	v_cmpx_gt_u32_e32 8, v19
; %bb.3719:                             ;   in Loop: Header=BB468_3103 Depth=1
	s_delay_alu instid0(VALU_DEP_3) | instskip(NEXT) | instid1(VALU_DEP_1)
	v_clz_i32_u32_e32 v18, v8
	v_min_u32_e32 v18, 32, v18
	s_delay_alu instid0(VALU_DEP_1) | instskip(SKIP_1) | instid1(VALU_DEP_2)
	v_subrev_nc_u32_e32 v19, 28, v18
	v_sub_nc_u32_e32 v18, 29, v18
	v_lshlrev_b64 v[8:9], v19, v[8:9]
	s_delay_alu instid0(VALU_DEP_1)
	v_and_b32_e32 v8, 7, v8
; %bb.3720:                             ;   in Loop: Header=BB468_3103 Depth=1
	s_or_b32 exec_lo, exec_lo, s25
	v_lshlrev_b32_e32 v9, 16, v12
	s_delay_alu instid0(VALU_DEP_2) | instskip(SKIP_1) | instid1(VALU_DEP_3)
	v_lshlrev_b32_e32 v8, 20, v8
	v_lshl_add_u32 v12, v18, 23, 0x3c000000
	v_and_b32_e32 v9, 0x80000000, v9
	s_delay_alu instid0(VALU_DEP_1)
	v_or3_b32 v8, v8, v9, v12
.LBB468_3721:                           ;   in Loop: Header=BB468_3103 Depth=1
	s_or_b32 exec_lo, exec_lo, s24
.LBB468_3722:                           ;   in Loop: Header=BB468_3103 Depth=1
	s_delay_alu instid0(SALU_CYCLE_1)
	s_or_b32 exec_lo, exec_lo, s23
.LBB468_3723:                           ;   in Loop: Header=BB468_3103 Depth=1
	s_delay_alu instid0(SALU_CYCLE_1) | instskip(NEXT) | instid1(VALU_DEP_1)
	s_or_b32 exec_lo, exec_lo, s22
	v_mul_f32_e32 v8, v26, v8
                                        ; implicit-def: $vgpr18
	s_delay_alu instid0(VALU_DEP_1) | instskip(NEXT) | instid1(VALU_DEP_1)
	v_and_b32_e32 v9, 0x7f800000, v8
	v_cmp_ne_u32_e64 s9, 0x7f800000, v9
	s_delay_alu instid0(VALU_DEP_1) | instskip(NEXT) | instid1(SALU_CYCLE_1)
	s_and_saveexec_b32 s22, s9
	s_xor_b32 s9, exec_lo, s22
; %bb.3724:                             ;   in Loop: Header=BB468_3103 Depth=1
	v_bfe_u32 v9, v8, 16, 1
	s_delay_alu instid0(VALU_DEP_1)
	v_add3_u32 v18, v8, v9, 0x7fff
                                        ; implicit-def: $vgpr8
; %bb.3725:                             ;   in Loop: Header=BB468_3103 Depth=1
	s_and_not1_saveexec_b32 s22, s9
; %bb.3726:                             ;   in Loop: Header=BB468_3103 Depth=1
	v_and_b32_e32 v9, 0xffff, v8
	v_or_b32_e32 v12, 0x10000, v8
	s_delay_alu instid0(VALU_DEP_2) | instskip(NEXT) | instid1(VALU_DEP_1)
	v_cmp_eq_u32_e64 s9, 0, v9
	v_cndmask_b32_e64 v18, v12, v8, s9
; %bb.3727:                             ;   in Loop: Header=BB468_3103 Depth=1
	s_or_b32 exec_lo, exec_lo, s22
	v_lshrrev_b32_e32 v19, 16, v7
	s_mov_b32 s22, exec_lo
	s_delay_alu instid0(VALU_DEP_1) | instskip(NEXT) | instid1(VALU_DEP_1)
	v_dual_mov_b32 v8, 0 :: v_dual_and_b32 v9, 0xff, v19
	v_cmpx_ne_u16_e32 0, v9
	s_cbranch_execz .LBB468_3735
; %bb.3728:                             ;   in Loop: Header=BB468_3103 Depth=1
	v_bfrev_b32_e32 v8, 1
	s_mov_b32 s23, exec_lo
	v_cmpx_ne_u16_e32 0x80, v9
	s_cbranch_execz .LBB468_3734
; %bb.3729:                             ;   in Loop: Header=BB468_3103 Depth=1
	v_bfe_u32 v9, v7, 16, 7
	v_mov_b32_e32 v8, 0x7f800001
	s_mov_b32 s24, exec_lo
	s_delay_alu instid0(VALU_DEP_2)
	v_cmpx_ne_u32_e32 0x7f, v9
	s_cbranch_execz .LBB468_3733
; %bb.3730:                             ;   in Loop: Header=BB468_3103 Depth=1
	v_and_b32_e32 v12, 7, v19
	v_lshrrev_b32_e32 v20, 3, v9
	v_cmp_gt_u32_e64 s9, 8, v9
	s_delay_alu instid0(VALU_DEP_3) | instskip(NEXT) | instid1(VALU_DEP_2)
	v_dual_mov_b32 v8, v12 :: v_dual_mov_b32 v9, v13
	s_and_saveexec_b32 s25, s9
; %bb.3731:                             ;   in Loop: Header=BB468_3103 Depth=1
	v_clz_i32_u32_e32 v8, v12
	s_delay_alu instid0(VALU_DEP_1) | instskip(NEXT) | instid1(VALU_DEP_1)
	v_min_u32_e32 v20, 32, v8
	v_subrev_nc_u32_e32 v8, 28, v20
	v_sub_nc_u32_e32 v20, 29, v20
	s_delay_alu instid0(VALU_DEP_2) | instskip(NEXT) | instid1(VALU_DEP_1)
	v_lshlrev_b64 v[8:9], v8, v[12:13]
	v_and_b32_e32 v8, 7, v8
; %bb.3732:                             ;   in Loop: Header=BB468_3103 Depth=1
	s_or_b32 exec_lo, exec_lo, s25
	v_lshlrev_b32_e32 v9, 24, v19
	s_delay_alu instid0(VALU_DEP_2) | instskip(SKIP_1) | instid1(VALU_DEP_3)
	v_lshlrev_b32_e32 v8, 20, v8
	v_lshl_add_u32 v12, v20, 23, 0x3c000000
	v_and_b32_e32 v9, 0x80000000, v9
	s_delay_alu instid0(VALU_DEP_1)
	v_or3_b32 v8, v8, v9, v12
.LBB468_3733:                           ;   in Loop: Header=BB468_3103 Depth=1
	s_or_b32 exec_lo, exec_lo, s24
.LBB468_3734:                           ;   in Loop: Header=BB468_3103 Depth=1
	s_delay_alu instid0(SALU_CYCLE_1)
	s_or_b32 exec_lo, exec_lo, s23
.LBB468_3735:                           ;   in Loop: Header=BB468_3103 Depth=1
	s_delay_alu instid0(SALU_CYCLE_1) | instskip(NEXT) | instid1(VALU_DEP_1)
	s_or_b32 exec_lo, exec_lo, s22
	v_mul_f32_e32 v8, v26, v8
	s_delay_alu instid0(VALU_DEP_1) | instskip(NEXT) | instid1(VALU_DEP_1)
	v_and_b32_e32 v9, 0x7f800000, v8
	v_cmp_ne_u32_e64 s9, 0x7f800000, v9
                                        ; implicit-def: $vgpr9
	s_delay_alu instid0(VALU_DEP_1) | instskip(NEXT) | instid1(SALU_CYCLE_1)
	s_and_saveexec_b32 s22, s9
	s_xor_b32 s9, exec_lo, s22
; %bb.3736:                             ;   in Loop: Header=BB468_3103 Depth=1
	v_bfe_u32 v9, v8, 16, 1
	s_delay_alu instid0(VALU_DEP_1)
	v_add3_u32 v9, v8, v9, 0x7fff
                                        ; implicit-def: $vgpr8
; %bb.3737:                             ;   in Loop: Header=BB468_3103 Depth=1
	s_and_not1_saveexec_b32 s22, s9
; %bb.3738:                             ;   in Loop: Header=BB468_3103 Depth=1
	v_and_b32_e32 v9, 0xffff, v8
	v_or_b32_e32 v12, 0x10000, v8
	s_delay_alu instid0(VALU_DEP_2) | instskip(NEXT) | instid1(VALU_DEP_1)
	v_cmp_eq_u32_e64 s9, 0, v9
	v_cndmask_b32_e64 v9, v12, v8, s9
; %bb.3739:                             ;   in Loop: Header=BB468_3103 Depth=1
	s_or_b32 exec_lo, exec_lo, s22
	v_cmp_lt_u64_e64 s9, s[12:13], v[6:7]
	v_mov_b32_e32 v6, 0
	s_delay_alu instid0(VALU_DEP_2)
	s_and_saveexec_b32 s22, s9
	s_cbranch_execz .LBB468_3747
; %bb.3740:                             ;   in Loop: Header=BB468_3103 Depth=1
	v_lshrrev_b32_e32 v8, 24, v7
	v_bfrev_b32_e32 v6, 1
	s_mov_b32 s23, exec_lo
	s_delay_alu instid0(VALU_DEP_2)
	v_cmpx_ne_u32_e32 0x80, v8
	s_cbranch_execz .LBB468_3746
; %bb.3741:                             ;   in Loop: Header=BB468_3103 Depth=1
	v_bfe_u32 v7, v7, 24, 7
	v_mov_b32_e32 v6, 0x7f800001
	s_mov_b32 s24, exec_lo
	s_delay_alu instid0(VALU_DEP_2)
	v_cmpx_ne_u32_e32 0x7f, v7
	s_cbranch_execz .LBB468_3745
; %bb.3742:                             ;   in Loop: Header=BB468_3103 Depth=1
	v_and_b32_e32 v12, 7, v8
	v_lshrrev_b32_e32 v19, 3, v7
	v_cmp_gt_u32_e64 s9, 8, v7
	s_delay_alu instid0(VALU_DEP_3) | instskip(NEXT) | instid1(VALU_DEP_2)
	v_dual_mov_b32 v6, v12 :: v_dual_mov_b32 v7, v13
	s_and_saveexec_b32 s25, s9
; %bb.3743:                             ;   in Loop: Header=BB468_3103 Depth=1
	v_clz_i32_u32_e32 v6, v12
	s_delay_alu instid0(VALU_DEP_1) | instskip(NEXT) | instid1(VALU_DEP_1)
	v_min_u32_e32 v19, 32, v6
	v_subrev_nc_u32_e32 v6, 28, v19
	v_sub_nc_u32_e32 v19, 29, v19
	s_delay_alu instid0(VALU_DEP_2) | instskip(NEXT) | instid1(VALU_DEP_1)
	v_lshlrev_b64 v[6:7], v6, v[12:13]
	v_and_b32_e32 v6, 7, v6
; %bb.3744:                             ;   in Loop: Header=BB468_3103 Depth=1
	s_or_b32 exec_lo, exec_lo, s25
	v_lshlrev_b32_e32 v7, 24, v8
	s_delay_alu instid0(VALU_DEP_2) | instskip(SKIP_1) | instid1(VALU_DEP_3)
	v_lshlrev_b32_e32 v6, 20, v6
	v_lshl_add_u32 v8, v19, 23, 0x3c000000
	v_and_b32_e32 v7, 0x80000000, v7
	s_delay_alu instid0(VALU_DEP_1)
	v_or3_b32 v6, v6, v7, v8
.LBB468_3745:                           ;   in Loop: Header=BB468_3103 Depth=1
	s_or_b32 exec_lo, exec_lo, s24
.LBB468_3746:                           ;   in Loop: Header=BB468_3103 Depth=1
	s_delay_alu instid0(SALU_CYCLE_1)
	s_or_b32 exec_lo, exec_lo, s23
.LBB468_3747:                           ;   in Loop: Header=BB468_3103 Depth=1
	s_delay_alu instid0(SALU_CYCLE_1) | instskip(NEXT) | instid1(VALU_DEP_1)
	s_or_b32 exec_lo, exec_lo, s22
	v_mul_f32_e32 v6, v26, v6
                                        ; implicit-def: $vgpr19
	s_delay_alu instid0(VALU_DEP_1) | instskip(NEXT) | instid1(VALU_DEP_1)
	v_and_b32_e32 v7, 0x7f800000, v6
	v_cmp_ne_u32_e64 s9, 0x7f800000, v7
	s_delay_alu instid0(VALU_DEP_1) | instskip(NEXT) | instid1(SALU_CYCLE_1)
	s_and_saveexec_b32 s22, s9
	s_xor_b32 s9, exec_lo, s22
; %bb.3748:                             ;   in Loop: Header=BB468_3103 Depth=1
	v_bfe_u32 v7, v6, 16, 1
	s_delay_alu instid0(VALU_DEP_1)
	v_add3_u32 v19, v6, v7, 0x7fff
                                        ; implicit-def: $vgpr6
; %bb.3749:                             ;   in Loop: Header=BB468_3103 Depth=1
	s_and_not1_saveexec_b32 s22, s9
; %bb.3750:                             ;   in Loop: Header=BB468_3103 Depth=1
	v_and_b32_e32 v7, 0xffff, v6
	v_or_b32_e32 v8, 0x10000, v6
	s_delay_alu instid0(VALU_DEP_2) | instskip(NEXT) | instid1(VALU_DEP_1)
	v_cmp_eq_u32_e64 s9, 0, v7
	v_cndmask_b32_e64 v19, v8, v6, s9
; %bb.3751:                             ;   in Loop: Header=BB468_3103 Depth=1
	s_or_b32 exec_lo, exec_lo, s22
	v_lshrrev_b32_e32 v6, 16, v18
	v_lshrrev_b32_e32 v7, 16, v17
	;; [unrolled: 1-line block ×8, first 2 shown]
	s_and_saveexec_b32 s9, s3
; %bb.3752:                             ;   in Loop: Header=BB468_3103 Depth=1
	s_delay_alu instid0(VALU_DEP_3)
	v_cndmask_b32_e32 v12, 0, v12, vcc_lo
	v_cndmask_b32_e64 v11, 0, v11, s1
	v_cndmask_b32_e64 v10, 0, v10, s2
	;; [unrolled: 1-line block ×7, first 2 shown]
; %bb.3753:                             ;   in Loop: Header=BB468_3103 Depth=1
	s_or_b32 exec_lo, exec_lo, s9
	v_lshlrev_b32_e32 v9, 16, v12
	s_delay_alu instid0(VALU_DEP_1) | instskip(NEXT) | instid1(VALU_DEP_1)
	v_mul_f32_e32 v9, v151, v9
	v_and_b32_e32 v12, 0x7f800000, v9
	s_delay_alu instid0(VALU_DEP_1) | instskip(NEXT) | instid1(VALU_DEP_1)
	v_cmp_ne_u32_e64 s9, 0x7f800000, v12
                                        ; implicit-def: $vgpr12
                                        ; kill: killed $vgpr12
	s_and_saveexec_b32 s22, s9
	s_delay_alu instid0(SALU_CYCLE_1)
	s_xor_b32 s9, exec_lo, s22
	s_cbranch_execz .LBB468_3755
; %bb.3754:                             ;   in Loop: Header=BB468_3103 Depth=1
	v_bfe_u32 v12, v9, 16, 1
	s_delay_alu instid0(VALU_DEP_1)
	v_add3_u32 v9, v9, v12, 0x7fff
	scratch_store_b32 off, v9, s32 offset:456 ; 4-byte Folded Spill
                                        ; implicit-def: $vgpr9
.LBB468_3755:                           ;   in Loop: Header=BB468_3103 Depth=1
	s_and_not1_saveexec_b32 s22, s9
	s_cbranch_execz .LBB468_3757
; %bb.3756:                             ;   in Loop: Header=BB468_3103 Depth=1
	v_and_b32_e32 v12, 0xffff, v9
	v_or_b32_e32 v17, 0x10000, v9
	s_delay_alu instid0(VALU_DEP_2) | instskip(NEXT) | instid1(VALU_DEP_1)
	v_cmp_eq_u32_e64 s9, 0, v12
	v_cndmask_b32_e64 v9, v17, v9, s9
	scratch_store_b32 off, v9, s32 offset:456 ; 4-byte Folded Spill
.LBB468_3757:                           ;   in Loop: Header=BB468_3103 Depth=1
	s_or_b32 exec_lo, exec_lo, s22
	v_lshlrev_b32_e32 v9, 16, v11
	s_delay_alu instid0(VALU_DEP_1) | instskip(NEXT) | instid1(VALU_DEP_1)
	v_mul_f32_e32 v9, v160, v9
	v_and_b32_e32 v11, 0x7f800000, v9
	s_delay_alu instid0(VALU_DEP_1) | instskip(NEXT) | instid1(VALU_DEP_1)
	v_cmp_ne_u32_e64 s9, 0x7f800000, v11
                                        ; implicit-def: $vgpr11
                                        ; kill: killed $vgpr11
	s_and_saveexec_b32 s22, s9
	s_delay_alu instid0(SALU_CYCLE_1)
	s_xor_b32 s9, exec_lo, s22
	s_cbranch_execz .LBB468_3759
; %bb.3758:                             ;   in Loop: Header=BB468_3103 Depth=1
	v_bfe_u32 v11, v9, 16, 1
	s_delay_alu instid0(VALU_DEP_1)
	v_add3_u32 v9, v9, v11, 0x7fff
	scratch_store_b32 off, v9, s32 offset:460 ; 4-byte Folded Spill
                                        ; implicit-def: $vgpr9
.LBB468_3759:                           ;   in Loop: Header=BB468_3103 Depth=1
	s_and_not1_saveexec_b32 s22, s9
	s_cbranch_execz .LBB468_3761
; %bb.3760:                             ;   in Loop: Header=BB468_3103 Depth=1
	v_and_b32_e32 v11, 0xffff, v9
	v_or_b32_e32 v12, 0x10000, v9
	s_delay_alu instid0(VALU_DEP_2) | instskip(NEXT) | instid1(VALU_DEP_1)
	v_cmp_eq_u32_e64 s9, 0, v11
	v_cndmask_b32_e64 v9, v12, v9, s9
	scratch_store_b32 off, v9, s32 offset:460 ; 4-byte Folded Spill
.LBB468_3761:                           ;   in Loop: Header=BB468_3103 Depth=1
	s_or_b32 exec_lo, exec_lo, s22
	v_lshlrev_b32_e32 v9, 16, v10
	s_delay_alu instid0(VALU_DEP_1) | instskip(NEXT) | instid1(VALU_DEP_1)
	v_mul_f32_e32 v9, v161, v9
	v_and_b32_e32 v10, 0x7f800000, v9
	s_delay_alu instid0(VALU_DEP_1) | instskip(NEXT) | instid1(VALU_DEP_1)
	v_cmp_ne_u32_e64 s9, 0x7f800000, v10
                                        ; implicit-def: $vgpr10
                                        ; kill: killed $vgpr10
	s_and_saveexec_b32 s22, s9
	s_delay_alu instid0(SALU_CYCLE_1)
	s_xor_b32 s9, exec_lo, s22
	s_cbranch_execz .LBB468_3763
; %bb.3762:                             ;   in Loop: Header=BB468_3103 Depth=1
	v_bfe_u32 v10, v9, 16, 1
	s_delay_alu instid0(VALU_DEP_1)
	v_add3_u32 v9, v9, v10, 0x7fff
	scratch_store_b32 off, v9, s32 offset:464 ; 4-byte Folded Spill
                                        ; implicit-def: $vgpr9
.LBB468_3763:                           ;   in Loop: Header=BB468_3103 Depth=1
	s_and_not1_saveexec_b32 s22, s9
	s_cbranch_execz .LBB468_3765
; %bb.3764:                             ;   in Loop: Header=BB468_3103 Depth=1
	v_and_b32_e32 v10, 0xffff, v9
	v_or_b32_e32 v11, 0x10000, v9
	s_delay_alu instid0(VALU_DEP_2) | instskip(NEXT) | instid1(VALU_DEP_1)
	v_cmp_eq_u32_e64 s9, 0, v10
	v_cndmask_b32_e64 v9, v11, v9, s9
	scratch_store_b32 off, v9, s32 offset:464 ; 4-byte Folded Spill
.LBB468_3765:                           ;   in Loop: Header=BB468_3103 Depth=1
	s_or_b32 exec_lo, exec_lo, s22
	v_lshlrev_b32_e32 v8, 16, v8
	s_delay_alu instid0(VALU_DEP_1) | instskip(NEXT) | instid1(VALU_DEP_1)
	v_mul_f32_e32 v8, v162, v8
	v_and_b32_e32 v9, 0x7f800000, v8
	s_delay_alu instid0(VALU_DEP_1) | instskip(NEXT) | instid1(VALU_DEP_1)
	v_cmp_ne_u32_e64 s9, 0x7f800000, v9
                                        ; implicit-def: $vgpr9
                                        ; kill: killed $vgpr9
	s_and_saveexec_b32 s22, s9
	s_delay_alu instid0(SALU_CYCLE_1)
	s_xor_b32 s9, exec_lo, s22
	s_cbranch_execz .LBB468_3767
; %bb.3766:                             ;   in Loop: Header=BB468_3103 Depth=1
	v_bfe_u32 v9, v8, 16, 1
	s_delay_alu instid0(VALU_DEP_1)
	v_add3_u32 v8, v8, v9, 0x7fff
	scratch_store_b32 off, v8, s32 offset:468 ; 4-byte Folded Spill
                                        ; implicit-def: $vgpr8
.LBB468_3767:                           ;   in Loop: Header=BB468_3103 Depth=1
	s_and_not1_saveexec_b32 s22, s9
	s_cbranch_execz .LBB468_3769
; %bb.3768:                             ;   in Loop: Header=BB468_3103 Depth=1
	v_and_b32_e32 v9, 0xffff, v8
	v_or_b32_e32 v10, 0x10000, v8
	s_delay_alu instid0(VALU_DEP_2) | instskip(NEXT) | instid1(VALU_DEP_1)
	v_cmp_eq_u32_e64 s9, 0, v9
	v_cndmask_b32_e64 v8, v10, v8, s9
	scratch_store_b32 off, v8, s32 offset:468 ; 4-byte Folded Spill
.LBB468_3769:                           ;   in Loop: Header=BB468_3103 Depth=1
	s_or_b32 exec_lo, exec_lo, s22
	v_lshlrev_b32_e32 v7, 16, v7
	s_delay_alu instid0(VALU_DEP_1) | instskip(NEXT) | instid1(VALU_DEP_1)
	v_mul_f32_e32 v7, v163, v7
	v_and_b32_e32 v8, 0x7f800000, v7
	s_delay_alu instid0(VALU_DEP_1) | instskip(NEXT) | instid1(VALU_DEP_1)
	v_cmp_ne_u32_e64 s9, 0x7f800000, v8
                                        ; implicit-def: $vgpr8
                                        ; kill: killed $vgpr8
	s_and_saveexec_b32 s22, s9
	s_delay_alu instid0(SALU_CYCLE_1)
	s_xor_b32 s9, exec_lo, s22
	s_cbranch_execz .LBB468_3771
; %bb.3770:                             ;   in Loop: Header=BB468_3103 Depth=1
	v_bfe_u32 v8, v7, 16, 1
	s_delay_alu instid0(VALU_DEP_1)
	v_add3_u32 v7, v7, v8, 0x7fff
	scratch_store_b32 off, v7, s32 offset:472 ; 4-byte Folded Spill
                                        ; implicit-def: $vgpr7
.LBB468_3771:                           ;   in Loop: Header=BB468_3103 Depth=1
	s_and_not1_saveexec_b32 s22, s9
	s_cbranch_execz .LBB468_3773
; %bb.3772:                             ;   in Loop: Header=BB468_3103 Depth=1
	v_and_b32_e32 v8, 0xffff, v7
	v_or_b32_e32 v9, 0x10000, v7
	s_delay_alu instid0(VALU_DEP_2) | instskip(NEXT) | instid1(VALU_DEP_1)
	v_cmp_eq_u32_e64 s9, 0, v8
	v_cndmask_b32_e64 v7, v9, v7, s9
	scratch_store_b32 off, v7, s32 offset:472 ; 4-byte Folded Spill
.LBB468_3773:                           ;   in Loop: Header=BB468_3103 Depth=1
	s_or_b32 exec_lo, exec_lo, s22
	v_lshlrev_b32_e32 v6, 16, v6
	s_delay_alu instid0(VALU_DEP_1) | instskip(NEXT) | instid1(VALU_DEP_1)
	v_mul_f32_e32 v6, v164, v6
	v_and_b32_e32 v7, 0x7f800000, v6
	s_delay_alu instid0(VALU_DEP_1) | instskip(NEXT) | instid1(VALU_DEP_1)
	v_cmp_ne_u32_e64 s9, 0x7f800000, v7
                                        ; implicit-def: $vgpr7
                                        ; kill: killed $vgpr7
	s_and_saveexec_b32 s22, s9
	s_delay_alu instid0(SALU_CYCLE_1)
	s_xor_b32 s9, exec_lo, s22
	s_cbranch_execz .LBB468_3775
; %bb.3774:                             ;   in Loop: Header=BB468_3103 Depth=1
	v_bfe_u32 v7, v6, 16, 1
	s_delay_alu instid0(VALU_DEP_1)
	v_add3_u32 v6, v6, v7, 0x7fff
	scratch_store_b32 off, v6, s32 offset:476 ; 4-byte Folded Spill
                                        ; implicit-def: $vgpr6
.LBB468_3775:                           ;   in Loop: Header=BB468_3103 Depth=1
	s_and_not1_saveexec_b32 s22, s9
	s_cbranch_execz .LBB468_3777
; %bb.3776:                             ;   in Loop: Header=BB468_3103 Depth=1
	v_and_b32_e32 v7, 0xffff, v6
	v_or_b32_e32 v8, 0x10000, v6
	s_delay_alu instid0(VALU_DEP_2) | instskip(NEXT) | instid1(VALU_DEP_1)
	v_cmp_eq_u32_e64 s9, 0, v7
	v_cndmask_b32_e64 v6, v8, v6, s9
	scratch_store_b32 off, v6, s32 offset:476 ; 4-byte Folded Spill
.LBB468_3777:                           ;   in Loop: Header=BB468_3103 Depth=1
	s_or_b32 exec_lo, exec_lo, s22
	v_lshlrev_b32_e32 v5, 16, v5
	s_delay_alu instid0(VALU_DEP_1) | instskip(NEXT) | instid1(VALU_DEP_1)
	v_mul_f32_e32 v5, v165, v5
	v_and_b32_e32 v6, 0x7f800000, v5
	s_delay_alu instid0(VALU_DEP_1) | instskip(NEXT) | instid1(VALU_DEP_1)
	v_cmp_ne_u32_e64 s9, 0x7f800000, v6
                                        ; implicit-def: $vgpr6
                                        ; kill: killed $vgpr6
	s_and_saveexec_b32 s22, s9
	s_delay_alu instid0(SALU_CYCLE_1)
	s_xor_b32 s9, exec_lo, s22
	s_cbranch_execz .LBB468_3779
; %bb.3778:                             ;   in Loop: Header=BB468_3103 Depth=1
	v_bfe_u32 v6, v5, 16, 1
	s_delay_alu instid0(VALU_DEP_1)
	v_add3_u32 v5, v5, v6, 0x7fff
	scratch_store_b32 off, v5, s32 offset:480 ; 4-byte Folded Spill
                                        ; implicit-def: $vgpr5
.LBB468_3779:                           ;   in Loop: Header=BB468_3103 Depth=1
	s_and_not1_saveexec_b32 s22, s9
	s_cbranch_execz .LBB468_3781
; %bb.3780:                             ;   in Loop: Header=BB468_3103 Depth=1
	v_and_b32_e32 v6, 0xffff, v5
	v_or_b32_e32 v7, 0x10000, v5
	s_delay_alu instid0(VALU_DEP_2) | instskip(NEXT) | instid1(VALU_DEP_1)
	v_cmp_eq_u32_e64 s9, 0, v6
	v_cndmask_b32_e64 v5, v7, v5, s9
	scratch_store_b32 off, v5, s32 offset:480 ; 4-byte Folded Spill
.LBB468_3781:                           ;   in Loop: Header=BB468_3103 Depth=1
	s_or_b32 exec_lo, exec_lo, s22
	v_lshlrev_b32_e32 v4, 16, v4
	s_delay_alu instid0(VALU_DEP_1) | instskip(NEXT) | instid1(VALU_DEP_1)
	v_mul_f32_e32 v4, v166, v4
	v_and_b32_e32 v5, 0x7f800000, v4
	s_delay_alu instid0(VALU_DEP_1) | instskip(NEXT) | instid1(VALU_DEP_1)
	v_cmp_ne_u32_e64 s9, 0x7f800000, v5
                                        ; implicit-def: $vgpr5
                                        ; kill: killed $vgpr5
	s_and_saveexec_b32 s22, s9
	s_delay_alu instid0(SALU_CYCLE_1)
	s_xor_b32 s9, exec_lo, s22
	s_cbranch_execz .LBB468_3783
; %bb.3782:                             ;   in Loop: Header=BB468_3103 Depth=1
	v_bfe_u32 v5, v4, 16, 1
	s_delay_alu instid0(VALU_DEP_1)
	v_add3_u32 v4, v4, v5, 0x7fff
	scratch_store_b32 off, v4, s32 offset:484 ; 4-byte Folded Spill
                                        ; implicit-def: $vgpr4
.LBB468_3783:                           ;   in Loop: Header=BB468_3103 Depth=1
	s_and_not1_saveexec_b32 s22, s9
	s_cbranch_execz .LBB468_3785
; %bb.3784:                             ;   in Loop: Header=BB468_3103 Depth=1
	v_and_b32_e32 v5, 0xffff, v4
	v_or_b32_e32 v6, 0x10000, v4
	s_delay_alu instid0(VALU_DEP_2) | instskip(NEXT) | instid1(VALU_DEP_1)
	v_cmp_eq_u32_e64 s9, 0, v5
	v_cndmask_b32_e64 v4, v6, v4, s9
	scratch_store_b32 off, v4, s32 offset:484 ; 4-byte Folded Spill
.LBB468_3785:                           ;   in Loop: Header=BB468_3103 Depth=1
	s_or_b32 exec_lo, exec_lo, s22
	flat_load_b64 v[6:7], v[2:3] offset:1280
	s_mov_b32 s22, exec_lo
	s_waitcnt vmcnt(0) lgkmcnt(0)
	v_dual_mov_b32 v4, 0 :: v_dual_and_b32 v5, 0xff, v6
	s_delay_alu instid0(VALU_DEP_1)
	v_cmpx_ne_u16_e32 0, v5
	s_cbranch_execz .LBB468_3793
; %bb.3786:                             ;   in Loop: Header=BB468_3103 Depth=1
	v_bfrev_b32_e32 v4, 1
	s_mov_b32 s23, exec_lo
	v_cmpx_ne_u16_e32 0x80, v5
	s_cbranch_execz .LBB468_3792
; %bb.3787:                             ;   in Loop: Header=BB468_3103 Depth=1
	v_and_b32_e32 v5, 0x7f, v6
	v_mov_b32_e32 v4, 0x7f800001
	s_mov_b32 s24, exec_lo
	s_delay_alu instid0(VALU_DEP_2)
	v_cmpx_ne_u32_e32 0x7f, v5
	s_cbranch_execz .LBB468_3791
; %bb.3788:                             ;   in Loop: Header=BB468_3103 Depth=1
	v_lshrrev_b32_e32 v4, 3, v5
	v_dual_mov_b32 v9, v7 :: v_dual_mov_b32 v8, v6
	s_mov_b32 s25, exec_lo
	v_cmpx_gt_u32_e32 8, v5
; %bb.3789:                             ;   in Loop: Header=BB468_3103 Depth=1
	v_and_b32_e32 v4, 7, v6
	s_delay_alu instid0(VALU_DEP_1) | instskip(NEXT) | instid1(VALU_DEP_1)
	v_clz_i32_u32_e32 v4, v4
	v_min_u32_e32 v4, 32, v4
	s_delay_alu instid0(VALU_DEP_1) | instskip(SKIP_1) | instid1(VALU_DEP_2)
	v_subrev_nc_u32_e32 v5, 28, v4
	v_sub_nc_u32_e32 v4, 29, v4
	v_lshlrev_b64 v[8:9], v5, v[6:7]
; %bb.3790:                             ;   in Loop: Header=BB468_3103 Depth=1
	s_or_b32 exec_lo, exec_lo, s25
	s_delay_alu instid0(VALU_DEP_1) | instskip(SKIP_2) | instid1(VALU_DEP_3)
	v_lshlrev_b32_e32 v5, 20, v8
	v_lshlrev_b32_e32 v8, 24, v6
	v_lshl_add_u32 v4, v4, 23, 0x3c000000
	v_and_b32_e32 v5, 0x700000, v5
	s_delay_alu instid0(VALU_DEP_3) | instskip(NEXT) | instid1(VALU_DEP_1)
	v_and_b32_e32 v8, 0x80000000, v8
	v_or3_b32 v4, v5, v8, v4
.LBB468_3791:                           ;   in Loop: Header=BB468_3103 Depth=1
	s_or_b32 exec_lo, exec_lo, s24
.LBB468_3792:                           ;   in Loop: Header=BB468_3103 Depth=1
	s_delay_alu instid0(SALU_CYCLE_1)
	s_or_b32 exec_lo, exec_lo, s23
.LBB468_3793:                           ;   in Loop: Header=BB468_3103 Depth=1
	s_delay_alu instid0(SALU_CYCLE_1) | instskip(NEXT) | instid1(VALU_DEP_1)
	s_or_b32 exec_lo, exec_lo, s22
	v_mul_f32_e32 v5, v26, v4
	s_delay_alu instid0(VALU_DEP_1) | instskip(NEXT) | instid1(VALU_DEP_1)
	v_and_b32_e32 v4, 0x7f800000, v5
	v_cmp_ne_u32_e64 s9, 0x7f800000, v4
                                        ; implicit-def: $vgpr4
	s_delay_alu instid0(VALU_DEP_1) | instskip(NEXT) | instid1(SALU_CYCLE_1)
	s_and_saveexec_b32 s22, s9
	s_xor_b32 s9, exec_lo, s22
; %bb.3794:                             ;   in Loop: Header=BB468_3103 Depth=1
	v_bfe_u32 v4, v5, 16, 1
	s_delay_alu instid0(VALU_DEP_1)
	v_add3_u32 v4, v5, v4, 0x7fff
                                        ; implicit-def: $vgpr5
; %bb.3795:                             ;   in Loop: Header=BB468_3103 Depth=1
	s_and_not1_saveexec_b32 s22, s9
; %bb.3796:                             ;   in Loop: Header=BB468_3103 Depth=1
	v_and_b32_e32 v4, 0xffff, v5
	v_or_b32_e32 v8, 0x10000, v5
	s_delay_alu instid0(VALU_DEP_2) | instskip(NEXT) | instid1(VALU_DEP_1)
	v_cmp_eq_u32_e64 s9, 0, v4
	v_cndmask_b32_e64 v4, v8, v5, s9
; %bb.3797:                             ;   in Loop: Header=BB468_3103 Depth=1
	s_or_b32 exec_lo, exec_lo, s22
	v_lshrrev_b16 v8, 8, v6
	v_mov_b32_e32 v5, 0
	s_mov_b32 s22, exec_lo
	s_delay_alu instid0(VALU_DEP_2)
	v_cmpx_ne_u16_e32 0, v8
	s_cbranch_execz .LBB468_3805
; %bb.3798:                             ;   in Loop: Header=BB468_3103 Depth=1
	v_bfrev_b32_e32 v5, 1
	s_mov_b32 s23, exec_lo
	v_cmpx_ne_u16_e32 0x80, v8
	s_cbranch_execz .LBB468_3804
; %bb.3799:                             ;   in Loop: Header=BB468_3103 Depth=1
	v_and_b32_e32 v9, 0xffff, v8
	v_mov_b32_e32 v5, 0x7f800001
	s_mov_b32 s24, exec_lo
	s_delay_alu instid0(VALU_DEP_2) | instskip(NEXT) | instid1(VALU_DEP_1)
	v_and_b32_e32 v8, 0x7f, v9
	v_cmpx_ne_u32_e32 0x7f, v8
	s_cbranch_execz .LBB468_3803
; %bb.3800:                             ;   in Loop: Header=BB468_3103 Depth=1
	v_and_b32_e32 v12, 7, v9
	v_lshrrev_b32_e32 v5, 3, v8
	v_cmp_gt_u32_e64 s9, 8, v8
	s_delay_alu instid0(VALU_DEP_3) | instskip(NEXT) | instid1(VALU_DEP_2)
	v_dual_mov_b32 v8, v12 :: v_dual_mov_b32 v9, v13
	s_and_saveexec_b32 s25, s9
; %bb.3801:                             ;   in Loop: Header=BB468_3103 Depth=1
	v_clz_i32_u32_e32 v5, v12
	s_delay_alu instid0(VALU_DEP_1) | instskip(NEXT) | instid1(VALU_DEP_1)
	v_min_u32_e32 v5, 32, v5
	v_subrev_nc_u32_e32 v8, 28, v5
	v_sub_nc_u32_e32 v5, 29, v5
	s_delay_alu instid0(VALU_DEP_2) | instskip(NEXT) | instid1(VALU_DEP_1)
	v_lshlrev_b64 v[8:9], v8, v[12:13]
	v_and_b32_e32 v8, 7, v8
; %bb.3802:                             ;   in Loop: Header=BB468_3103 Depth=1
	s_or_b32 exec_lo, exec_lo, s25
	v_lshlrev_b32_e32 v9, 16, v6
	s_delay_alu instid0(VALU_DEP_2) | instskip(SKIP_1) | instid1(VALU_DEP_3)
	v_lshlrev_b32_e32 v8, 20, v8
	v_lshl_add_u32 v5, v5, 23, 0x3c000000
	v_and_b32_e32 v9, 0x80000000, v9
	s_delay_alu instid0(VALU_DEP_1)
	v_or3_b32 v5, v8, v9, v5
.LBB468_3803:                           ;   in Loop: Header=BB468_3103 Depth=1
	s_or_b32 exec_lo, exec_lo, s24
.LBB468_3804:                           ;   in Loop: Header=BB468_3103 Depth=1
	s_delay_alu instid0(SALU_CYCLE_1)
	s_or_b32 exec_lo, exec_lo, s23
.LBB468_3805:                           ;   in Loop: Header=BB468_3103 Depth=1
	s_delay_alu instid0(SALU_CYCLE_1) | instskip(NEXT) | instid1(VALU_DEP_1)
	s_or_b32 exec_lo, exec_lo, s22
	v_mul_f32_e32 v8, v26, v5
	s_delay_alu instid0(VALU_DEP_1) | instskip(NEXT) | instid1(VALU_DEP_1)
	v_and_b32_e32 v5, 0x7f800000, v8
	v_cmp_ne_u32_e64 s9, 0x7f800000, v5
                                        ; implicit-def: $vgpr5
	s_delay_alu instid0(VALU_DEP_1) | instskip(NEXT) | instid1(SALU_CYCLE_1)
	s_and_saveexec_b32 s22, s9
	s_xor_b32 s9, exec_lo, s22
; %bb.3806:                             ;   in Loop: Header=BB468_3103 Depth=1
	v_bfe_u32 v5, v8, 16, 1
	s_delay_alu instid0(VALU_DEP_1)
	v_add3_u32 v5, v8, v5, 0x7fff
                                        ; implicit-def: $vgpr8
; %bb.3807:                             ;   in Loop: Header=BB468_3103 Depth=1
	s_and_not1_saveexec_b32 s22, s9
; %bb.3808:                             ;   in Loop: Header=BB468_3103 Depth=1
	v_and_b32_e32 v5, 0xffff, v8
	v_or_b32_e32 v9, 0x10000, v8
	s_delay_alu instid0(VALU_DEP_2) | instskip(NEXT) | instid1(VALU_DEP_1)
	v_cmp_eq_u32_e64 s9, 0, v5
	v_cndmask_b32_e64 v5, v9, v8, s9
; %bb.3809:                             ;   in Loop: Header=BB468_3103 Depth=1
	s_or_b32 exec_lo, exec_lo, s22
	v_lshrrev_b32_e32 v10, 16, v6
	s_mov_b32 s22, exec_lo
	s_delay_alu instid0(VALU_DEP_1) | instskip(NEXT) | instid1(VALU_DEP_1)
	v_dual_mov_b32 v8, 0 :: v_dual_and_b32 v9, 0xff, v10
	v_cmpx_ne_u16_e32 0, v9
	s_cbranch_execz .LBB468_3817
; %bb.3810:                             ;   in Loop: Header=BB468_3103 Depth=1
	v_bfrev_b32_e32 v8, 1
	s_mov_b32 s23, exec_lo
	v_cmpx_ne_u16_e32 0x80, v9
	s_cbranch_execz .LBB468_3816
; %bb.3811:                             ;   in Loop: Header=BB468_3103 Depth=1
	v_bfe_u32 v9, v6, 16, 7
	v_mov_b32_e32 v8, 0x7f800001
	s_mov_b32 s24, exec_lo
	s_delay_alu instid0(VALU_DEP_2)
	v_cmpx_ne_u32_e32 0x7f, v9
	s_cbranch_execz .LBB468_3815
; %bb.3812:                             ;   in Loop: Header=BB468_3103 Depth=1
	v_and_b32_e32 v12, 7, v10
	v_lshrrev_b32_e32 v11, 3, v9
	v_cmp_gt_u32_e64 s9, 8, v9
	s_delay_alu instid0(VALU_DEP_3) | instskip(NEXT) | instid1(VALU_DEP_2)
	v_dual_mov_b32 v8, v12 :: v_dual_mov_b32 v9, v13
	s_and_saveexec_b32 s25, s9
; %bb.3813:                             ;   in Loop: Header=BB468_3103 Depth=1
	v_clz_i32_u32_e32 v8, v12
	s_delay_alu instid0(VALU_DEP_1) | instskip(NEXT) | instid1(VALU_DEP_1)
	v_min_u32_e32 v11, 32, v8
	v_subrev_nc_u32_e32 v8, 28, v11
	v_sub_nc_u32_e32 v11, 29, v11
	s_delay_alu instid0(VALU_DEP_2) | instskip(NEXT) | instid1(VALU_DEP_1)
	v_lshlrev_b64 v[8:9], v8, v[12:13]
	v_and_b32_e32 v8, 7, v8
; %bb.3814:                             ;   in Loop: Header=BB468_3103 Depth=1
	s_or_b32 exec_lo, exec_lo, s25
	v_lshlrev_b32_e32 v9, 24, v10
	s_delay_alu instid0(VALU_DEP_2) | instskip(SKIP_1) | instid1(VALU_DEP_3)
	v_lshlrev_b32_e32 v8, 20, v8
	v_lshl_add_u32 v10, v11, 23, 0x3c000000
	v_and_b32_e32 v9, 0x80000000, v9
	s_delay_alu instid0(VALU_DEP_1)
	v_or3_b32 v8, v8, v9, v10
.LBB468_3815:                           ;   in Loop: Header=BB468_3103 Depth=1
	s_or_b32 exec_lo, exec_lo, s24
.LBB468_3816:                           ;   in Loop: Header=BB468_3103 Depth=1
	s_delay_alu instid0(SALU_CYCLE_1)
	s_or_b32 exec_lo, exec_lo, s23
.LBB468_3817:                           ;   in Loop: Header=BB468_3103 Depth=1
	s_delay_alu instid0(SALU_CYCLE_1) | instskip(NEXT) | instid1(VALU_DEP_1)
	s_or_b32 exec_lo, exec_lo, s22
	v_mul_f32_e32 v8, v26, v8
                                        ; implicit-def: $vgpr10
	s_delay_alu instid0(VALU_DEP_1) | instskip(NEXT) | instid1(VALU_DEP_1)
	v_and_b32_e32 v9, 0x7f800000, v8
	v_cmp_ne_u32_e64 s9, 0x7f800000, v9
	s_delay_alu instid0(VALU_DEP_1) | instskip(NEXT) | instid1(SALU_CYCLE_1)
	s_and_saveexec_b32 s22, s9
	s_xor_b32 s9, exec_lo, s22
; %bb.3818:                             ;   in Loop: Header=BB468_3103 Depth=1
	v_bfe_u32 v9, v8, 16, 1
	s_delay_alu instid0(VALU_DEP_1)
	v_add3_u32 v10, v8, v9, 0x7fff
                                        ; implicit-def: $vgpr8
; %bb.3819:                             ;   in Loop: Header=BB468_3103 Depth=1
	s_and_not1_saveexec_b32 s22, s9
; %bb.3820:                             ;   in Loop: Header=BB468_3103 Depth=1
	v_and_b32_e32 v9, 0xffff, v8
	v_or_b32_e32 v10, 0x10000, v8
	s_delay_alu instid0(VALU_DEP_2) | instskip(NEXT) | instid1(VALU_DEP_1)
	v_cmp_eq_u32_e64 s9, 0, v9
	v_cndmask_b32_e64 v10, v10, v8, s9
; %bb.3821:                             ;   in Loop: Header=BB468_3103 Depth=1
	s_or_b32 exec_lo, exec_lo, s22
	v_mov_b32_e32 v8, 0
	s_mov_b32 s22, exec_lo
	v_cmpx_lt_u32_e32 0xffffff, v6
	s_cbranch_execz .LBB468_3829
; %bb.3822:                             ;   in Loop: Header=BB468_3103 Depth=1
	v_lshrrev_b32_e32 v11, 24, v6
	v_bfrev_b32_e32 v8, 1
	s_mov_b32 s23, exec_lo
	s_delay_alu instid0(VALU_DEP_2)
	v_cmpx_ne_u32_e32 0x80, v11
	s_cbranch_execz .LBB468_3828
; %bb.3823:                             ;   in Loop: Header=BB468_3103 Depth=1
	v_bfe_u32 v9, v6, 24, 7
	v_mov_b32_e32 v8, 0x7f800001
	s_mov_b32 s24, exec_lo
	s_delay_alu instid0(VALU_DEP_2)
	v_cmpx_ne_u32_e32 0x7f, v9
	s_cbranch_execz .LBB468_3827
; %bb.3824:                             ;   in Loop: Header=BB468_3103 Depth=1
	v_and_b32_e32 v12, 7, v11
	v_lshrrev_b32_e32 v17, 3, v9
	v_cmp_gt_u32_e64 s9, 8, v9
	s_delay_alu instid0(VALU_DEP_3) | instskip(NEXT) | instid1(VALU_DEP_2)
	v_dual_mov_b32 v8, v12 :: v_dual_mov_b32 v9, v13
	s_and_saveexec_b32 s25, s9
; %bb.3825:                             ;   in Loop: Header=BB468_3103 Depth=1
	v_clz_i32_u32_e32 v8, v12
	s_delay_alu instid0(VALU_DEP_1) | instskip(NEXT) | instid1(VALU_DEP_1)
	v_min_u32_e32 v17, 32, v8
	v_subrev_nc_u32_e32 v8, 28, v17
	v_sub_nc_u32_e32 v17, 29, v17
	s_delay_alu instid0(VALU_DEP_2) | instskip(NEXT) | instid1(VALU_DEP_1)
	v_lshlrev_b64 v[8:9], v8, v[12:13]
	v_and_b32_e32 v8, 7, v8
; %bb.3826:                             ;   in Loop: Header=BB468_3103 Depth=1
	s_or_b32 exec_lo, exec_lo, s25
	v_lshlrev_b32_e32 v9, 24, v11
	s_delay_alu instid0(VALU_DEP_2) | instskip(SKIP_1) | instid1(VALU_DEP_3)
	v_lshlrev_b32_e32 v8, 20, v8
	v_lshl_add_u32 v11, v17, 23, 0x3c000000
	v_and_b32_e32 v9, 0x80000000, v9
	s_delay_alu instid0(VALU_DEP_1)
	v_or3_b32 v8, v8, v9, v11
.LBB468_3827:                           ;   in Loop: Header=BB468_3103 Depth=1
	s_or_b32 exec_lo, exec_lo, s24
.LBB468_3828:                           ;   in Loop: Header=BB468_3103 Depth=1
	s_delay_alu instid0(SALU_CYCLE_1)
	s_or_b32 exec_lo, exec_lo, s23
.LBB468_3829:                           ;   in Loop: Header=BB468_3103 Depth=1
	s_delay_alu instid0(SALU_CYCLE_1) | instskip(NEXT) | instid1(VALU_DEP_1)
	s_or_b32 exec_lo, exec_lo, s22
	v_mul_f32_e32 v8, v26, v8
                                        ; implicit-def: $vgpr11
	s_delay_alu instid0(VALU_DEP_1) | instskip(NEXT) | instid1(VALU_DEP_1)
	v_and_b32_e32 v9, 0x7f800000, v8
	v_cmp_ne_u32_e64 s9, 0x7f800000, v9
	s_delay_alu instid0(VALU_DEP_1) | instskip(NEXT) | instid1(SALU_CYCLE_1)
	s_and_saveexec_b32 s22, s9
	s_xor_b32 s9, exec_lo, s22
; %bb.3830:                             ;   in Loop: Header=BB468_3103 Depth=1
	v_bfe_u32 v9, v8, 16, 1
	s_delay_alu instid0(VALU_DEP_1)
	v_add3_u32 v11, v8, v9, 0x7fff
                                        ; implicit-def: $vgpr8
; %bb.3831:                             ;   in Loop: Header=BB468_3103 Depth=1
	s_and_not1_saveexec_b32 s22, s9
; %bb.3832:                             ;   in Loop: Header=BB468_3103 Depth=1
	v_and_b32_e32 v9, 0xffff, v8
	v_or_b32_e32 v11, 0x10000, v8
	s_delay_alu instid0(VALU_DEP_2) | instskip(NEXT) | instid1(VALU_DEP_1)
	v_cmp_eq_u32_e64 s9, 0, v9
	v_cndmask_b32_e64 v11, v11, v8, s9
; %bb.3833:                             ;   in Loop: Header=BB468_3103 Depth=1
	s_or_b32 exec_lo, exec_lo, s22
	v_dual_mov_b32 v12, v7 :: v_dual_and_b32 v9, 0xff, v7
	v_mov_b32_e32 v8, 0
	s_mov_b32 s22, exec_lo
	s_delay_alu instid0(VALU_DEP_2)
	v_cmpx_ne_u16_e32 0, v9
	s_cbranch_execz .LBB468_3841
; %bb.3834:                             ;   in Loop: Header=BB468_3103 Depth=1
	v_bfrev_b32_e32 v8, 1
	s_mov_b32 s23, exec_lo
	v_cmpx_ne_u16_e32 0x80, v9
	s_cbranch_execz .LBB468_3840
; %bb.3835:                             ;   in Loop: Header=BB468_3103 Depth=1
	v_and_b32_e32 v9, 0x7f, v7
	v_mov_b32_e32 v8, 0x7f800001
	s_mov_b32 s24, exec_lo
	s_delay_alu instid0(VALU_DEP_2)
	v_cmpx_ne_u32_e32 0x7f, v9
	s_cbranch_execz .LBB468_3839
; %bb.3836:                             ;   in Loop: Header=BB468_3103 Depth=1
	v_lshrrev_b32_e32 v17, 3, v9
	v_cmp_gt_u32_e64 s9, 8, v9
	v_dual_mov_b32 v8, v12 :: v_dual_mov_b32 v9, v13
	s_delay_alu instid0(VALU_DEP_2)
	s_and_saveexec_b32 s25, s9
; %bb.3837:                             ;   in Loop: Header=BB468_3103 Depth=1
	v_and_b32_e32 v8, 7, v7
	s_delay_alu instid0(VALU_DEP_1) | instskip(NEXT) | instid1(VALU_DEP_1)
	v_clz_i32_u32_e32 v8, v8
	v_min_u32_e32 v17, 32, v8
	s_delay_alu instid0(VALU_DEP_1) | instskip(SKIP_1) | instid1(VALU_DEP_2)
	v_subrev_nc_u32_e32 v8, 28, v17
	v_sub_nc_u32_e32 v17, 29, v17
	v_lshlrev_b64 v[8:9], v8, v[12:13]
; %bb.3838:                             ;   in Loop: Header=BB468_3103 Depth=1
	s_or_b32 exec_lo, exec_lo, s25
	s_delay_alu instid0(VALU_DEP_1) | instskip(SKIP_2) | instid1(VALU_DEP_3)
	v_lshlrev_b32_e32 v8, 20, v8
	v_lshlrev_b32_e32 v9, 24, v12
	v_lshl_add_u32 v17, v17, 23, 0x3c000000
	v_and_b32_e32 v8, 0x700000, v8
	s_delay_alu instid0(VALU_DEP_3) | instskip(NEXT) | instid1(VALU_DEP_1)
	v_and_b32_e32 v9, 0x80000000, v9
	v_or3_b32 v8, v8, v9, v17
.LBB468_3839:                           ;   in Loop: Header=BB468_3103 Depth=1
	s_or_b32 exec_lo, exec_lo, s24
.LBB468_3840:                           ;   in Loop: Header=BB468_3103 Depth=1
	s_delay_alu instid0(SALU_CYCLE_1)
	s_or_b32 exec_lo, exec_lo, s23
.LBB468_3841:                           ;   in Loop: Header=BB468_3103 Depth=1
	s_delay_alu instid0(SALU_CYCLE_1) | instskip(NEXT) | instid1(VALU_DEP_1)
	s_or_b32 exec_lo, exec_lo, s22
	v_mul_f32_e32 v8, v26, v8
                                        ; implicit-def: $vgpr17
	s_delay_alu instid0(VALU_DEP_1) | instskip(NEXT) | instid1(VALU_DEP_1)
	v_and_b32_e32 v9, 0x7f800000, v8
	v_cmp_ne_u32_e64 s9, 0x7f800000, v9
	s_delay_alu instid0(VALU_DEP_1) | instskip(NEXT) | instid1(SALU_CYCLE_1)
	s_and_saveexec_b32 s22, s9
	s_xor_b32 s9, exec_lo, s22
; %bb.3842:                             ;   in Loop: Header=BB468_3103 Depth=1
	v_bfe_u32 v9, v8, 16, 1
	s_delay_alu instid0(VALU_DEP_1)
	v_add3_u32 v17, v8, v9, 0x7fff
                                        ; implicit-def: $vgpr8
; %bb.3843:                             ;   in Loop: Header=BB468_3103 Depth=1
	s_and_not1_saveexec_b32 s22, s9
; %bb.3844:                             ;   in Loop: Header=BB468_3103 Depth=1
	v_and_b32_e32 v9, 0xffff, v8
	v_or_b32_e32 v17, 0x10000, v8
	s_delay_alu instid0(VALU_DEP_2) | instskip(NEXT) | instid1(VALU_DEP_1)
	v_cmp_eq_u32_e64 s9, 0, v9
	v_cndmask_b32_e64 v17, v17, v8, s9
; %bb.3845:                             ;   in Loop: Header=BB468_3103 Depth=1
	s_or_b32 exec_lo, exec_lo, s22
	v_lshrrev_b16 v9, 8, v12
	v_mov_b32_e32 v8, 0
	s_mov_b32 s22, exec_lo
	s_delay_alu instid0(VALU_DEP_2)
	v_cmpx_ne_u16_e32 0, v9
	s_cbranch_execz .LBB468_3853
; %bb.3846:                             ;   in Loop: Header=BB468_3103 Depth=1
	v_bfrev_b32_e32 v8, 1
	s_mov_b32 s23, exec_lo
	v_cmpx_ne_u16_e32 0x80, v9
	s_cbranch_execz .LBB468_3852
; %bb.3847:                             ;   in Loop: Header=BB468_3103 Depth=1
	v_and_b32_e32 v9, 0xffff, v9
	v_mov_b32_e32 v8, 0x7f800001
	s_mov_b32 s24, exec_lo
	s_delay_alu instid0(VALU_DEP_2) | instskip(NEXT) | instid1(VALU_DEP_1)
	v_and_b32_e32 v19, 0x7f, v9
	v_cmpx_ne_u32_e32 0x7f, v19
	s_cbranch_execz .LBB468_3851
; %bb.3848:                             ;   in Loop: Header=BB468_3103 Depth=1
	v_dual_mov_b32 v9, v13 :: v_dual_and_b32 v8, 7, v9
	v_lshrrev_b32_e32 v18, 3, v19
	s_mov_b32 s25, exec_lo
	v_cmpx_gt_u32_e32 8, v19
; %bb.3849:                             ;   in Loop: Header=BB468_3103 Depth=1
	s_delay_alu instid0(VALU_DEP_3) | instskip(NEXT) | instid1(VALU_DEP_1)
	v_clz_i32_u32_e32 v18, v8
	v_min_u32_e32 v18, 32, v18
	s_delay_alu instid0(VALU_DEP_1) | instskip(SKIP_1) | instid1(VALU_DEP_2)
	v_subrev_nc_u32_e32 v19, 28, v18
	v_sub_nc_u32_e32 v18, 29, v18
	v_lshlrev_b64 v[8:9], v19, v[8:9]
	s_delay_alu instid0(VALU_DEP_1)
	v_and_b32_e32 v8, 7, v8
; %bb.3850:                             ;   in Loop: Header=BB468_3103 Depth=1
	s_or_b32 exec_lo, exec_lo, s25
	v_lshlrev_b32_e32 v9, 16, v12
	s_delay_alu instid0(VALU_DEP_2) | instskip(SKIP_1) | instid1(VALU_DEP_3)
	v_lshlrev_b32_e32 v8, 20, v8
	v_lshl_add_u32 v12, v18, 23, 0x3c000000
	v_and_b32_e32 v9, 0x80000000, v9
	s_delay_alu instid0(VALU_DEP_1)
	v_or3_b32 v8, v8, v9, v12
.LBB468_3851:                           ;   in Loop: Header=BB468_3103 Depth=1
	s_or_b32 exec_lo, exec_lo, s24
.LBB468_3852:                           ;   in Loop: Header=BB468_3103 Depth=1
	s_delay_alu instid0(SALU_CYCLE_1)
	s_or_b32 exec_lo, exec_lo, s23
.LBB468_3853:                           ;   in Loop: Header=BB468_3103 Depth=1
	s_delay_alu instid0(SALU_CYCLE_1) | instskip(NEXT) | instid1(VALU_DEP_1)
	s_or_b32 exec_lo, exec_lo, s22
	v_mul_f32_e32 v8, v26, v8
                                        ; implicit-def: $vgpr18
	s_delay_alu instid0(VALU_DEP_1) | instskip(NEXT) | instid1(VALU_DEP_1)
	v_and_b32_e32 v9, 0x7f800000, v8
	v_cmp_ne_u32_e64 s9, 0x7f800000, v9
	s_delay_alu instid0(VALU_DEP_1) | instskip(NEXT) | instid1(SALU_CYCLE_1)
	s_and_saveexec_b32 s22, s9
	s_xor_b32 s9, exec_lo, s22
; %bb.3854:                             ;   in Loop: Header=BB468_3103 Depth=1
	v_bfe_u32 v9, v8, 16, 1
	s_delay_alu instid0(VALU_DEP_1)
	v_add3_u32 v18, v8, v9, 0x7fff
                                        ; implicit-def: $vgpr8
; %bb.3855:                             ;   in Loop: Header=BB468_3103 Depth=1
	s_and_not1_saveexec_b32 s22, s9
; %bb.3856:                             ;   in Loop: Header=BB468_3103 Depth=1
	v_and_b32_e32 v9, 0xffff, v8
	v_or_b32_e32 v12, 0x10000, v8
	s_delay_alu instid0(VALU_DEP_2) | instskip(NEXT) | instid1(VALU_DEP_1)
	v_cmp_eq_u32_e64 s9, 0, v9
	v_cndmask_b32_e64 v18, v12, v8, s9
; %bb.3857:                             ;   in Loop: Header=BB468_3103 Depth=1
	s_or_b32 exec_lo, exec_lo, s22
	v_lshrrev_b32_e32 v19, 16, v7
	s_mov_b32 s22, exec_lo
	s_delay_alu instid0(VALU_DEP_1) | instskip(NEXT) | instid1(VALU_DEP_1)
	v_dual_mov_b32 v8, 0 :: v_dual_and_b32 v9, 0xff, v19
	v_cmpx_ne_u16_e32 0, v9
	s_cbranch_execz .LBB468_3865
; %bb.3858:                             ;   in Loop: Header=BB468_3103 Depth=1
	v_bfrev_b32_e32 v8, 1
	s_mov_b32 s23, exec_lo
	v_cmpx_ne_u16_e32 0x80, v9
	s_cbranch_execz .LBB468_3864
; %bb.3859:                             ;   in Loop: Header=BB468_3103 Depth=1
	v_bfe_u32 v9, v7, 16, 7
	v_mov_b32_e32 v8, 0x7f800001
	s_mov_b32 s24, exec_lo
	s_delay_alu instid0(VALU_DEP_2)
	v_cmpx_ne_u32_e32 0x7f, v9
	s_cbranch_execz .LBB468_3863
; %bb.3860:                             ;   in Loop: Header=BB468_3103 Depth=1
	v_and_b32_e32 v12, 7, v19
	v_lshrrev_b32_e32 v20, 3, v9
	v_cmp_gt_u32_e64 s9, 8, v9
	s_delay_alu instid0(VALU_DEP_3) | instskip(NEXT) | instid1(VALU_DEP_2)
	v_dual_mov_b32 v8, v12 :: v_dual_mov_b32 v9, v13
	s_and_saveexec_b32 s25, s9
; %bb.3861:                             ;   in Loop: Header=BB468_3103 Depth=1
	v_clz_i32_u32_e32 v8, v12
	s_delay_alu instid0(VALU_DEP_1) | instskip(NEXT) | instid1(VALU_DEP_1)
	v_min_u32_e32 v20, 32, v8
	v_subrev_nc_u32_e32 v8, 28, v20
	v_sub_nc_u32_e32 v20, 29, v20
	s_delay_alu instid0(VALU_DEP_2) | instskip(NEXT) | instid1(VALU_DEP_1)
	v_lshlrev_b64 v[8:9], v8, v[12:13]
	v_and_b32_e32 v8, 7, v8
; %bb.3862:                             ;   in Loop: Header=BB468_3103 Depth=1
	s_or_b32 exec_lo, exec_lo, s25
	v_lshlrev_b32_e32 v9, 24, v19
	s_delay_alu instid0(VALU_DEP_2) | instskip(SKIP_1) | instid1(VALU_DEP_3)
	v_lshlrev_b32_e32 v8, 20, v8
	v_lshl_add_u32 v12, v20, 23, 0x3c000000
	v_and_b32_e32 v9, 0x80000000, v9
	s_delay_alu instid0(VALU_DEP_1)
	v_or3_b32 v8, v8, v9, v12
.LBB468_3863:                           ;   in Loop: Header=BB468_3103 Depth=1
	s_or_b32 exec_lo, exec_lo, s24
.LBB468_3864:                           ;   in Loop: Header=BB468_3103 Depth=1
	s_delay_alu instid0(SALU_CYCLE_1)
	s_or_b32 exec_lo, exec_lo, s23
.LBB468_3865:                           ;   in Loop: Header=BB468_3103 Depth=1
	s_delay_alu instid0(SALU_CYCLE_1) | instskip(NEXT) | instid1(VALU_DEP_1)
	s_or_b32 exec_lo, exec_lo, s22
	v_mul_f32_e32 v8, v26, v8
	s_delay_alu instid0(VALU_DEP_1) | instskip(NEXT) | instid1(VALU_DEP_1)
	v_and_b32_e32 v9, 0x7f800000, v8
	v_cmp_ne_u32_e64 s9, 0x7f800000, v9
                                        ; implicit-def: $vgpr9
	s_delay_alu instid0(VALU_DEP_1) | instskip(NEXT) | instid1(SALU_CYCLE_1)
	s_and_saveexec_b32 s22, s9
	s_xor_b32 s9, exec_lo, s22
; %bb.3866:                             ;   in Loop: Header=BB468_3103 Depth=1
	v_bfe_u32 v9, v8, 16, 1
	s_delay_alu instid0(VALU_DEP_1)
	v_add3_u32 v9, v8, v9, 0x7fff
                                        ; implicit-def: $vgpr8
; %bb.3867:                             ;   in Loop: Header=BB468_3103 Depth=1
	s_and_not1_saveexec_b32 s22, s9
; %bb.3868:                             ;   in Loop: Header=BB468_3103 Depth=1
	v_and_b32_e32 v9, 0xffff, v8
	v_or_b32_e32 v12, 0x10000, v8
	s_delay_alu instid0(VALU_DEP_2) | instskip(NEXT) | instid1(VALU_DEP_1)
	v_cmp_eq_u32_e64 s9, 0, v9
	v_cndmask_b32_e64 v9, v12, v8, s9
; %bb.3869:                             ;   in Loop: Header=BB468_3103 Depth=1
	s_or_b32 exec_lo, exec_lo, s22
	v_cmp_lt_u64_e64 s9, s[12:13], v[6:7]
	v_mov_b32_e32 v6, 0
	s_delay_alu instid0(VALU_DEP_2)
	s_and_saveexec_b32 s22, s9
	s_cbranch_execz .LBB468_3877
; %bb.3870:                             ;   in Loop: Header=BB468_3103 Depth=1
	v_lshrrev_b32_e32 v8, 24, v7
	v_bfrev_b32_e32 v6, 1
	s_mov_b32 s23, exec_lo
	s_delay_alu instid0(VALU_DEP_2)
	v_cmpx_ne_u32_e32 0x80, v8
	s_cbranch_execz .LBB468_3876
; %bb.3871:                             ;   in Loop: Header=BB468_3103 Depth=1
	v_bfe_u32 v7, v7, 24, 7
	v_mov_b32_e32 v6, 0x7f800001
	s_mov_b32 s24, exec_lo
	s_delay_alu instid0(VALU_DEP_2)
	v_cmpx_ne_u32_e32 0x7f, v7
	s_cbranch_execz .LBB468_3875
; %bb.3872:                             ;   in Loop: Header=BB468_3103 Depth=1
	v_and_b32_e32 v12, 7, v8
	v_lshrrev_b32_e32 v19, 3, v7
	v_cmp_gt_u32_e64 s9, 8, v7
	s_delay_alu instid0(VALU_DEP_3) | instskip(NEXT) | instid1(VALU_DEP_2)
	v_dual_mov_b32 v6, v12 :: v_dual_mov_b32 v7, v13
	s_and_saveexec_b32 s25, s9
; %bb.3873:                             ;   in Loop: Header=BB468_3103 Depth=1
	v_clz_i32_u32_e32 v6, v12
	s_delay_alu instid0(VALU_DEP_1) | instskip(NEXT) | instid1(VALU_DEP_1)
	v_min_u32_e32 v19, 32, v6
	v_subrev_nc_u32_e32 v6, 28, v19
	v_sub_nc_u32_e32 v19, 29, v19
	s_delay_alu instid0(VALU_DEP_2) | instskip(NEXT) | instid1(VALU_DEP_1)
	v_lshlrev_b64 v[6:7], v6, v[12:13]
	v_and_b32_e32 v6, 7, v6
; %bb.3874:                             ;   in Loop: Header=BB468_3103 Depth=1
	s_or_b32 exec_lo, exec_lo, s25
	v_lshlrev_b32_e32 v7, 24, v8
	s_delay_alu instid0(VALU_DEP_2) | instskip(SKIP_1) | instid1(VALU_DEP_3)
	v_lshlrev_b32_e32 v6, 20, v6
	v_lshl_add_u32 v8, v19, 23, 0x3c000000
	v_and_b32_e32 v7, 0x80000000, v7
	s_delay_alu instid0(VALU_DEP_1)
	v_or3_b32 v6, v6, v7, v8
.LBB468_3875:                           ;   in Loop: Header=BB468_3103 Depth=1
	s_or_b32 exec_lo, exec_lo, s24
.LBB468_3876:                           ;   in Loop: Header=BB468_3103 Depth=1
	s_delay_alu instid0(SALU_CYCLE_1)
	s_or_b32 exec_lo, exec_lo, s23
.LBB468_3877:                           ;   in Loop: Header=BB468_3103 Depth=1
	s_delay_alu instid0(SALU_CYCLE_1) | instskip(NEXT) | instid1(VALU_DEP_1)
	s_or_b32 exec_lo, exec_lo, s22
	v_mul_f32_e32 v6, v26, v6
                                        ; implicit-def: $vgpr19
	s_delay_alu instid0(VALU_DEP_1) | instskip(NEXT) | instid1(VALU_DEP_1)
	v_and_b32_e32 v7, 0x7f800000, v6
	v_cmp_ne_u32_e64 s9, 0x7f800000, v7
	s_delay_alu instid0(VALU_DEP_1) | instskip(NEXT) | instid1(SALU_CYCLE_1)
	s_and_saveexec_b32 s22, s9
	s_xor_b32 s9, exec_lo, s22
; %bb.3878:                             ;   in Loop: Header=BB468_3103 Depth=1
	v_bfe_u32 v7, v6, 16, 1
	s_delay_alu instid0(VALU_DEP_1)
	v_add3_u32 v19, v6, v7, 0x7fff
                                        ; implicit-def: $vgpr6
; %bb.3879:                             ;   in Loop: Header=BB468_3103 Depth=1
	s_and_not1_saveexec_b32 s22, s9
; %bb.3880:                             ;   in Loop: Header=BB468_3103 Depth=1
	v_and_b32_e32 v7, 0xffff, v6
	v_or_b32_e32 v8, 0x10000, v6
	s_delay_alu instid0(VALU_DEP_2) | instskip(NEXT) | instid1(VALU_DEP_1)
	v_cmp_eq_u32_e64 s9, 0, v7
	v_cndmask_b32_e64 v19, v8, v6, s9
; %bb.3881:                             ;   in Loop: Header=BB468_3103 Depth=1
	s_or_b32 exec_lo, exec_lo, s22
	v_lshrrev_b32_e32 v6, 16, v18
	v_lshrrev_b32_e32 v7, 16, v17
	v_lshrrev_b32_e32 v8, 16, v11
	v_lshrrev_b32_e32 v10, 16, v10
	v_lshrrev_b32_e32 v11, 16, v5
	v_lshrrev_b32_e32 v12, 16, v4
	v_lshrrev_b32_e32 v5, 16, v9
	v_lshrrev_b32_e32 v4, 16, v19
	s_and_saveexec_b32 s9, s3
; %bb.3882:                             ;   in Loop: Header=BB468_3103 Depth=1
	s_delay_alu instid0(VALU_DEP_3)
	v_cndmask_b32_e32 v12, 0, v12, vcc_lo
	v_cndmask_b32_e64 v11, 0, v11, s1
	v_cndmask_b32_e64 v10, 0, v10, s2
	;; [unrolled: 1-line block ×7, first 2 shown]
; %bb.3883:                             ;   in Loop: Header=BB468_3103 Depth=1
	s_or_b32 exec_lo, exec_lo, s9
	v_lshlrev_b32_e32 v9, 16, v12
	s_delay_alu instid0(VALU_DEP_1) | instskip(NEXT) | instid1(VALU_DEP_1)
	v_mul_f32_e32 v9, v151, v9
	v_and_b32_e32 v12, 0x7f800000, v9
	s_delay_alu instid0(VALU_DEP_1) | instskip(NEXT) | instid1(VALU_DEP_1)
	v_cmp_ne_u32_e64 s9, 0x7f800000, v12
                                        ; implicit-def: $vgpr12
                                        ; kill: killed $vgpr12
	s_and_saveexec_b32 s22, s9
	s_delay_alu instid0(SALU_CYCLE_1)
	s_xor_b32 s9, exec_lo, s22
	s_cbranch_execz .LBB468_3885
; %bb.3884:                             ;   in Loop: Header=BB468_3103 Depth=1
	v_bfe_u32 v12, v9, 16, 1
	s_delay_alu instid0(VALU_DEP_1)
	v_add3_u32 v9, v9, v12, 0x7fff
	scratch_store_b32 off, v9, s32 offset:488 ; 4-byte Folded Spill
                                        ; implicit-def: $vgpr9
.LBB468_3885:                           ;   in Loop: Header=BB468_3103 Depth=1
	s_and_not1_saveexec_b32 s22, s9
	s_cbranch_execz .LBB468_3887
; %bb.3886:                             ;   in Loop: Header=BB468_3103 Depth=1
	v_and_b32_e32 v12, 0xffff, v9
	v_or_b32_e32 v17, 0x10000, v9
	s_delay_alu instid0(VALU_DEP_2) | instskip(NEXT) | instid1(VALU_DEP_1)
	v_cmp_eq_u32_e64 s9, 0, v12
	v_cndmask_b32_e64 v9, v17, v9, s9
	scratch_store_b32 off, v9, s32 offset:488 ; 4-byte Folded Spill
.LBB468_3887:                           ;   in Loop: Header=BB468_3103 Depth=1
	s_or_b32 exec_lo, exec_lo, s22
	v_lshlrev_b32_e32 v9, 16, v11
	s_delay_alu instid0(VALU_DEP_1) | instskip(NEXT) | instid1(VALU_DEP_1)
	v_mul_f32_e32 v9, v160, v9
	v_and_b32_e32 v11, 0x7f800000, v9
	s_delay_alu instid0(VALU_DEP_1) | instskip(NEXT) | instid1(VALU_DEP_1)
	v_cmp_ne_u32_e64 s9, 0x7f800000, v11
                                        ; implicit-def: $vgpr11
                                        ; kill: killed $vgpr11
	s_and_saveexec_b32 s22, s9
	s_delay_alu instid0(SALU_CYCLE_1)
	s_xor_b32 s9, exec_lo, s22
	s_cbranch_execz .LBB468_3889
; %bb.3888:                             ;   in Loop: Header=BB468_3103 Depth=1
	v_bfe_u32 v11, v9, 16, 1
	s_delay_alu instid0(VALU_DEP_1)
	v_add3_u32 v9, v9, v11, 0x7fff
	scratch_store_b32 off, v9, s32 offset:492 ; 4-byte Folded Spill
                                        ; implicit-def: $vgpr9
.LBB468_3889:                           ;   in Loop: Header=BB468_3103 Depth=1
	s_and_not1_saveexec_b32 s22, s9
	s_cbranch_execz .LBB468_3891
; %bb.3890:                             ;   in Loop: Header=BB468_3103 Depth=1
	v_and_b32_e32 v11, 0xffff, v9
	v_or_b32_e32 v12, 0x10000, v9
	s_delay_alu instid0(VALU_DEP_2) | instskip(NEXT) | instid1(VALU_DEP_1)
	v_cmp_eq_u32_e64 s9, 0, v11
	v_cndmask_b32_e64 v9, v12, v9, s9
	scratch_store_b32 off, v9, s32 offset:492 ; 4-byte Folded Spill
.LBB468_3891:                           ;   in Loop: Header=BB468_3103 Depth=1
	s_or_b32 exec_lo, exec_lo, s22
	v_lshlrev_b32_e32 v9, 16, v10
	s_delay_alu instid0(VALU_DEP_1) | instskip(NEXT) | instid1(VALU_DEP_1)
	v_mul_f32_e32 v9, v161, v9
	v_and_b32_e32 v10, 0x7f800000, v9
	s_delay_alu instid0(VALU_DEP_1) | instskip(NEXT) | instid1(VALU_DEP_1)
	v_cmp_ne_u32_e64 s9, 0x7f800000, v10
                                        ; implicit-def: $vgpr10
                                        ; kill: killed $vgpr10
	s_and_saveexec_b32 s22, s9
	s_delay_alu instid0(SALU_CYCLE_1)
	s_xor_b32 s9, exec_lo, s22
	s_cbranch_execz .LBB468_3893
; %bb.3892:                             ;   in Loop: Header=BB468_3103 Depth=1
	v_bfe_u32 v10, v9, 16, 1
	s_delay_alu instid0(VALU_DEP_1)
	v_add3_u32 v9, v9, v10, 0x7fff
	scratch_store_b32 off, v9, s32 offset:496 ; 4-byte Folded Spill
                                        ; implicit-def: $vgpr9
.LBB468_3893:                           ;   in Loop: Header=BB468_3103 Depth=1
	s_and_not1_saveexec_b32 s22, s9
	s_cbranch_execz .LBB468_3895
; %bb.3894:                             ;   in Loop: Header=BB468_3103 Depth=1
	v_and_b32_e32 v10, 0xffff, v9
	v_or_b32_e32 v11, 0x10000, v9
	s_delay_alu instid0(VALU_DEP_2) | instskip(NEXT) | instid1(VALU_DEP_1)
	v_cmp_eq_u32_e64 s9, 0, v10
	v_cndmask_b32_e64 v9, v11, v9, s9
	scratch_store_b32 off, v9, s32 offset:496 ; 4-byte Folded Spill
.LBB468_3895:                           ;   in Loop: Header=BB468_3103 Depth=1
	s_or_b32 exec_lo, exec_lo, s22
	v_lshlrev_b32_e32 v8, 16, v8
	s_delay_alu instid0(VALU_DEP_1) | instskip(NEXT) | instid1(VALU_DEP_1)
	v_mul_f32_e32 v8, v162, v8
	v_and_b32_e32 v9, 0x7f800000, v8
	s_delay_alu instid0(VALU_DEP_1) | instskip(NEXT) | instid1(VALU_DEP_1)
	v_cmp_ne_u32_e64 s9, 0x7f800000, v9
                                        ; implicit-def: $vgpr9
                                        ; kill: killed $vgpr9
	s_and_saveexec_b32 s22, s9
	s_delay_alu instid0(SALU_CYCLE_1)
	s_xor_b32 s9, exec_lo, s22
	s_cbranch_execz .LBB468_3897
; %bb.3896:                             ;   in Loop: Header=BB468_3103 Depth=1
	v_bfe_u32 v9, v8, 16, 1
	s_delay_alu instid0(VALU_DEP_1)
	v_add3_u32 v8, v8, v9, 0x7fff
	scratch_store_b32 off, v8, s32 offset:500 ; 4-byte Folded Spill
                                        ; implicit-def: $vgpr8
.LBB468_3897:                           ;   in Loop: Header=BB468_3103 Depth=1
	s_and_not1_saveexec_b32 s22, s9
	s_cbranch_execz .LBB468_3899
; %bb.3898:                             ;   in Loop: Header=BB468_3103 Depth=1
	v_and_b32_e32 v9, 0xffff, v8
	v_or_b32_e32 v10, 0x10000, v8
	s_delay_alu instid0(VALU_DEP_2) | instskip(NEXT) | instid1(VALU_DEP_1)
	v_cmp_eq_u32_e64 s9, 0, v9
	v_cndmask_b32_e64 v8, v10, v8, s9
	scratch_store_b32 off, v8, s32 offset:500 ; 4-byte Folded Spill
.LBB468_3899:                           ;   in Loop: Header=BB468_3103 Depth=1
	s_or_b32 exec_lo, exec_lo, s22
	v_lshlrev_b32_e32 v7, 16, v7
	s_delay_alu instid0(VALU_DEP_1) | instskip(NEXT) | instid1(VALU_DEP_1)
	v_mul_f32_e32 v7, v163, v7
	v_and_b32_e32 v8, 0x7f800000, v7
	s_delay_alu instid0(VALU_DEP_1) | instskip(NEXT) | instid1(VALU_DEP_1)
	v_cmp_ne_u32_e64 s9, 0x7f800000, v8
                                        ; implicit-def: $vgpr8
                                        ; kill: killed $vgpr8
	s_and_saveexec_b32 s22, s9
	s_delay_alu instid0(SALU_CYCLE_1)
	s_xor_b32 s9, exec_lo, s22
	s_cbranch_execz .LBB468_3901
; %bb.3900:                             ;   in Loop: Header=BB468_3103 Depth=1
	v_bfe_u32 v8, v7, 16, 1
	s_delay_alu instid0(VALU_DEP_1)
	v_add3_u32 v7, v7, v8, 0x7fff
	scratch_store_b32 off, v7, s32 offset:504 ; 4-byte Folded Spill
                                        ; implicit-def: $vgpr7
.LBB468_3901:                           ;   in Loop: Header=BB468_3103 Depth=1
	s_and_not1_saveexec_b32 s22, s9
	s_cbranch_execz .LBB468_3903
; %bb.3902:                             ;   in Loop: Header=BB468_3103 Depth=1
	v_and_b32_e32 v8, 0xffff, v7
	v_or_b32_e32 v9, 0x10000, v7
	s_delay_alu instid0(VALU_DEP_2) | instskip(NEXT) | instid1(VALU_DEP_1)
	v_cmp_eq_u32_e64 s9, 0, v8
	v_cndmask_b32_e64 v7, v9, v7, s9
	scratch_store_b32 off, v7, s32 offset:504 ; 4-byte Folded Spill
.LBB468_3903:                           ;   in Loop: Header=BB468_3103 Depth=1
	s_or_b32 exec_lo, exec_lo, s22
	v_lshlrev_b32_e32 v6, 16, v6
	s_delay_alu instid0(VALU_DEP_1) | instskip(NEXT) | instid1(VALU_DEP_1)
	v_mul_f32_e32 v6, v164, v6
	v_and_b32_e32 v7, 0x7f800000, v6
	s_delay_alu instid0(VALU_DEP_1) | instskip(NEXT) | instid1(VALU_DEP_1)
	v_cmp_ne_u32_e64 s9, 0x7f800000, v7
                                        ; implicit-def: $vgpr7
                                        ; kill: killed $vgpr7
	s_and_saveexec_b32 s22, s9
	s_delay_alu instid0(SALU_CYCLE_1)
	s_xor_b32 s9, exec_lo, s22
	s_cbranch_execz .LBB468_3905
; %bb.3904:                             ;   in Loop: Header=BB468_3103 Depth=1
	v_bfe_u32 v7, v6, 16, 1
	s_delay_alu instid0(VALU_DEP_1)
	v_add3_u32 v6, v6, v7, 0x7fff
	scratch_store_b32 off, v6, s32 offset:508 ; 4-byte Folded Spill
                                        ; implicit-def: $vgpr6
.LBB468_3905:                           ;   in Loop: Header=BB468_3103 Depth=1
	s_and_not1_saveexec_b32 s22, s9
	s_cbranch_execz .LBB468_3907
; %bb.3906:                             ;   in Loop: Header=BB468_3103 Depth=1
	v_and_b32_e32 v7, 0xffff, v6
	v_or_b32_e32 v8, 0x10000, v6
	s_delay_alu instid0(VALU_DEP_2) | instskip(NEXT) | instid1(VALU_DEP_1)
	v_cmp_eq_u32_e64 s9, 0, v7
	v_cndmask_b32_e64 v6, v8, v6, s9
	scratch_store_b32 off, v6, s32 offset:508 ; 4-byte Folded Spill
.LBB468_3907:                           ;   in Loop: Header=BB468_3103 Depth=1
	s_or_b32 exec_lo, exec_lo, s22
	v_lshlrev_b32_e32 v5, 16, v5
	s_delay_alu instid0(VALU_DEP_1) | instskip(NEXT) | instid1(VALU_DEP_1)
	v_mul_f32_e32 v5, v165, v5
	v_and_b32_e32 v6, 0x7f800000, v5
	s_delay_alu instid0(VALU_DEP_1) | instskip(NEXT) | instid1(VALU_DEP_1)
	v_cmp_ne_u32_e64 s9, 0x7f800000, v6
                                        ; implicit-def: $vgpr6
                                        ; kill: killed $vgpr6
	s_and_saveexec_b32 s22, s9
	s_delay_alu instid0(SALU_CYCLE_1)
	s_xor_b32 s9, exec_lo, s22
	s_cbranch_execz .LBB468_3909
; %bb.3908:                             ;   in Loop: Header=BB468_3103 Depth=1
	v_bfe_u32 v6, v5, 16, 1
	s_delay_alu instid0(VALU_DEP_1)
	v_add3_u32 v5, v5, v6, 0x7fff
	scratch_store_b32 off, v5, s32 offset:512 ; 4-byte Folded Spill
                                        ; implicit-def: $vgpr5
.LBB468_3909:                           ;   in Loop: Header=BB468_3103 Depth=1
	s_and_not1_saveexec_b32 s22, s9
	s_cbranch_execz .LBB468_3911
; %bb.3910:                             ;   in Loop: Header=BB468_3103 Depth=1
	v_and_b32_e32 v6, 0xffff, v5
	v_or_b32_e32 v7, 0x10000, v5
	s_delay_alu instid0(VALU_DEP_2) | instskip(NEXT) | instid1(VALU_DEP_1)
	v_cmp_eq_u32_e64 s9, 0, v6
	v_cndmask_b32_e64 v5, v7, v5, s9
	scratch_store_b32 off, v5, s32 offset:512 ; 4-byte Folded Spill
.LBB468_3911:                           ;   in Loop: Header=BB468_3103 Depth=1
	s_or_b32 exec_lo, exec_lo, s22
	v_lshlrev_b32_e32 v4, 16, v4
	s_delay_alu instid0(VALU_DEP_1) | instskip(NEXT) | instid1(VALU_DEP_1)
	v_mul_f32_e32 v4, v166, v4
	v_and_b32_e32 v5, 0x7f800000, v4
	s_delay_alu instid0(VALU_DEP_1) | instskip(NEXT) | instid1(VALU_DEP_1)
	v_cmp_ne_u32_e64 s9, 0x7f800000, v5
                                        ; implicit-def: $vgpr5
                                        ; kill: killed $vgpr5
	s_and_saveexec_b32 s22, s9
	s_delay_alu instid0(SALU_CYCLE_1)
	s_xor_b32 s9, exec_lo, s22
	s_cbranch_execz .LBB468_3913
; %bb.3912:                             ;   in Loop: Header=BB468_3103 Depth=1
	v_bfe_u32 v5, v4, 16, 1
	s_delay_alu instid0(VALU_DEP_1)
	v_add3_u32 v4, v4, v5, 0x7fff
	scratch_store_b32 off, v4, s32 offset:516 ; 4-byte Folded Spill
                                        ; implicit-def: $vgpr4
.LBB468_3913:                           ;   in Loop: Header=BB468_3103 Depth=1
	s_and_not1_saveexec_b32 s22, s9
	s_cbranch_execz .LBB468_3915
; %bb.3914:                             ;   in Loop: Header=BB468_3103 Depth=1
	v_and_b32_e32 v5, 0xffff, v4
	v_or_b32_e32 v6, 0x10000, v4
	s_delay_alu instid0(VALU_DEP_2) | instskip(NEXT) | instid1(VALU_DEP_1)
	v_cmp_eq_u32_e64 s9, 0, v5
	v_cndmask_b32_e64 v4, v6, v4, s9
	scratch_store_b32 off, v4, s32 offset:516 ; 4-byte Folded Spill
.LBB468_3915:                           ;   in Loop: Header=BB468_3103 Depth=1
	s_or_b32 exec_lo, exec_lo, s22
	flat_load_b64 v[6:7], v[2:3] offset:1536
	s_mov_b32 s22, exec_lo
	s_waitcnt vmcnt(0) lgkmcnt(0)
	v_dual_mov_b32 v4, 0 :: v_dual_and_b32 v5, 0xff, v6
	s_delay_alu instid0(VALU_DEP_1)
	v_cmpx_ne_u16_e32 0, v5
	s_cbranch_execz .LBB468_3923
; %bb.3916:                             ;   in Loop: Header=BB468_3103 Depth=1
	v_bfrev_b32_e32 v4, 1
	s_mov_b32 s23, exec_lo
	v_cmpx_ne_u16_e32 0x80, v5
	s_cbranch_execz .LBB468_3922
; %bb.3917:                             ;   in Loop: Header=BB468_3103 Depth=1
	v_and_b32_e32 v5, 0x7f, v6
	v_mov_b32_e32 v4, 0x7f800001
	s_mov_b32 s24, exec_lo
	s_delay_alu instid0(VALU_DEP_2)
	v_cmpx_ne_u32_e32 0x7f, v5
	s_cbranch_execz .LBB468_3921
; %bb.3918:                             ;   in Loop: Header=BB468_3103 Depth=1
	v_lshrrev_b32_e32 v4, 3, v5
	v_dual_mov_b32 v9, v7 :: v_dual_mov_b32 v8, v6
	s_mov_b32 s25, exec_lo
	v_cmpx_gt_u32_e32 8, v5
; %bb.3919:                             ;   in Loop: Header=BB468_3103 Depth=1
	v_and_b32_e32 v4, 7, v6
	s_delay_alu instid0(VALU_DEP_1) | instskip(NEXT) | instid1(VALU_DEP_1)
	v_clz_i32_u32_e32 v4, v4
	v_min_u32_e32 v4, 32, v4
	s_delay_alu instid0(VALU_DEP_1) | instskip(SKIP_1) | instid1(VALU_DEP_2)
	v_subrev_nc_u32_e32 v5, 28, v4
	v_sub_nc_u32_e32 v4, 29, v4
	v_lshlrev_b64 v[8:9], v5, v[6:7]
; %bb.3920:                             ;   in Loop: Header=BB468_3103 Depth=1
	s_or_b32 exec_lo, exec_lo, s25
	s_delay_alu instid0(VALU_DEP_1) | instskip(SKIP_2) | instid1(VALU_DEP_3)
	v_lshlrev_b32_e32 v5, 20, v8
	v_lshlrev_b32_e32 v8, 24, v6
	v_lshl_add_u32 v4, v4, 23, 0x3c000000
	v_and_b32_e32 v5, 0x700000, v5
	s_delay_alu instid0(VALU_DEP_3) | instskip(NEXT) | instid1(VALU_DEP_1)
	v_and_b32_e32 v8, 0x80000000, v8
	v_or3_b32 v4, v5, v8, v4
.LBB468_3921:                           ;   in Loop: Header=BB468_3103 Depth=1
	s_or_b32 exec_lo, exec_lo, s24
.LBB468_3922:                           ;   in Loop: Header=BB468_3103 Depth=1
	s_delay_alu instid0(SALU_CYCLE_1)
	s_or_b32 exec_lo, exec_lo, s23
.LBB468_3923:                           ;   in Loop: Header=BB468_3103 Depth=1
	s_delay_alu instid0(SALU_CYCLE_1) | instskip(NEXT) | instid1(VALU_DEP_1)
	s_or_b32 exec_lo, exec_lo, s22
	v_mul_f32_e32 v5, v26, v4
	s_delay_alu instid0(VALU_DEP_1) | instskip(NEXT) | instid1(VALU_DEP_1)
	v_and_b32_e32 v4, 0x7f800000, v5
	v_cmp_ne_u32_e64 s9, 0x7f800000, v4
                                        ; implicit-def: $vgpr4
	s_delay_alu instid0(VALU_DEP_1) | instskip(NEXT) | instid1(SALU_CYCLE_1)
	s_and_saveexec_b32 s22, s9
	s_xor_b32 s9, exec_lo, s22
; %bb.3924:                             ;   in Loop: Header=BB468_3103 Depth=1
	v_bfe_u32 v4, v5, 16, 1
	s_delay_alu instid0(VALU_DEP_1)
	v_add3_u32 v4, v5, v4, 0x7fff
                                        ; implicit-def: $vgpr5
; %bb.3925:                             ;   in Loop: Header=BB468_3103 Depth=1
	s_and_not1_saveexec_b32 s22, s9
; %bb.3926:                             ;   in Loop: Header=BB468_3103 Depth=1
	v_and_b32_e32 v4, 0xffff, v5
	v_or_b32_e32 v8, 0x10000, v5
	s_delay_alu instid0(VALU_DEP_2) | instskip(NEXT) | instid1(VALU_DEP_1)
	v_cmp_eq_u32_e64 s9, 0, v4
	v_cndmask_b32_e64 v4, v8, v5, s9
; %bb.3927:                             ;   in Loop: Header=BB468_3103 Depth=1
	s_or_b32 exec_lo, exec_lo, s22
	v_lshrrev_b16 v8, 8, v6
	v_mov_b32_e32 v5, 0
	s_mov_b32 s22, exec_lo
	s_delay_alu instid0(VALU_DEP_2)
	v_cmpx_ne_u16_e32 0, v8
	s_cbranch_execz .LBB468_3935
; %bb.3928:                             ;   in Loop: Header=BB468_3103 Depth=1
	v_bfrev_b32_e32 v5, 1
	s_mov_b32 s23, exec_lo
	v_cmpx_ne_u16_e32 0x80, v8
	s_cbranch_execz .LBB468_3934
; %bb.3929:                             ;   in Loop: Header=BB468_3103 Depth=1
	v_and_b32_e32 v9, 0xffff, v8
	v_mov_b32_e32 v5, 0x7f800001
	s_mov_b32 s24, exec_lo
	s_delay_alu instid0(VALU_DEP_2) | instskip(NEXT) | instid1(VALU_DEP_1)
	v_and_b32_e32 v8, 0x7f, v9
	v_cmpx_ne_u32_e32 0x7f, v8
	s_cbranch_execz .LBB468_3933
; %bb.3930:                             ;   in Loop: Header=BB468_3103 Depth=1
	v_and_b32_e32 v12, 7, v9
	v_lshrrev_b32_e32 v5, 3, v8
	v_cmp_gt_u32_e64 s9, 8, v8
	s_delay_alu instid0(VALU_DEP_3) | instskip(NEXT) | instid1(VALU_DEP_2)
	v_dual_mov_b32 v8, v12 :: v_dual_mov_b32 v9, v13
	s_and_saveexec_b32 s25, s9
; %bb.3931:                             ;   in Loop: Header=BB468_3103 Depth=1
	v_clz_i32_u32_e32 v5, v12
	s_delay_alu instid0(VALU_DEP_1) | instskip(NEXT) | instid1(VALU_DEP_1)
	v_min_u32_e32 v5, 32, v5
	v_subrev_nc_u32_e32 v8, 28, v5
	v_sub_nc_u32_e32 v5, 29, v5
	s_delay_alu instid0(VALU_DEP_2) | instskip(NEXT) | instid1(VALU_DEP_1)
	v_lshlrev_b64 v[8:9], v8, v[12:13]
	v_and_b32_e32 v8, 7, v8
; %bb.3932:                             ;   in Loop: Header=BB468_3103 Depth=1
	s_or_b32 exec_lo, exec_lo, s25
	v_lshlrev_b32_e32 v9, 16, v6
	s_delay_alu instid0(VALU_DEP_2) | instskip(SKIP_1) | instid1(VALU_DEP_3)
	v_lshlrev_b32_e32 v8, 20, v8
	v_lshl_add_u32 v5, v5, 23, 0x3c000000
	v_and_b32_e32 v9, 0x80000000, v9
	s_delay_alu instid0(VALU_DEP_1)
	v_or3_b32 v5, v8, v9, v5
.LBB468_3933:                           ;   in Loop: Header=BB468_3103 Depth=1
	s_or_b32 exec_lo, exec_lo, s24
.LBB468_3934:                           ;   in Loop: Header=BB468_3103 Depth=1
	s_delay_alu instid0(SALU_CYCLE_1)
	s_or_b32 exec_lo, exec_lo, s23
.LBB468_3935:                           ;   in Loop: Header=BB468_3103 Depth=1
	s_delay_alu instid0(SALU_CYCLE_1) | instskip(NEXT) | instid1(VALU_DEP_1)
	s_or_b32 exec_lo, exec_lo, s22
	v_mul_f32_e32 v8, v26, v5
	s_delay_alu instid0(VALU_DEP_1) | instskip(NEXT) | instid1(VALU_DEP_1)
	v_and_b32_e32 v5, 0x7f800000, v8
	v_cmp_ne_u32_e64 s9, 0x7f800000, v5
                                        ; implicit-def: $vgpr5
	s_delay_alu instid0(VALU_DEP_1) | instskip(NEXT) | instid1(SALU_CYCLE_1)
	s_and_saveexec_b32 s22, s9
	s_xor_b32 s9, exec_lo, s22
; %bb.3936:                             ;   in Loop: Header=BB468_3103 Depth=1
	v_bfe_u32 v5, v8, 16, 1
	s_delay_alu instid0(VALU_DEP_1)
	v_add3_u32 v5, v8, v5, 0x7fff
                                        ; implicit-def: $vgpr8
; %bb.3937:                             ;   in Loop: Header=BB468_3103 Depth=1
	s_and_not1_saveexec_b32 s22, s9
; %bb.3938:                             ;   in Loop: Header=BB468_3103 Depth=1
	v_and_b32_e32 v5, 0xffff, v8
	v_or_b32_e32 v9, 0x10000, v8
	s_delay_alu instid0(VALU_DEP_2) | instskip(NEXT) | instid1(VALU_DEP_1)
	v_cmp_eq_u32_e64 s9, 0, v5
	v_cndmask_b32_e64 v5, v9, v8, s9
; %bb.3939:                             ;   in Loop: Header=BB468_3103 Depth=1
	s_or_b32 exec_lo, exec_lo, s22
	v_lshrrev_b32_e32 v10, 16, v6
	s_mov_b32 s22, exec_lo
	s_delay_alu instid0(VALU_DEP_1) | instskip(NEXT) | instid1(VALU_DEP_1)
	v_dual_mov_b32 v8, 0 :: v_dual_and_b32 v9, 0xff, v10
	v_cmpx_ne_u16_e32 0, v9
	s_cbranch_execz .LBB468_3947
; %bb.3940:                             ;   in Loop: Header=BB468_3103 Depth=1
	v_bfrev_b32_e32 v8, 1
	s_mov_b32 s23, exec_lo
	v_cmpx_ne_u16_e32 0x80, v9
	s_cbranch_execz .LBB468_3946
; %bb.3941:                             ;   in Loop: Header=BB468_3103 Depth=1
	v_bfe_u32 v9, v6, 16, 7
	v_mov_b32_e32 v8, 0x7f800001
	s_mov_b32 s24, exec_lo
	s_delay_alu instid0(VALU_DEP_2)
	v_cmpx_ne_u32_e32 0x7f, v9
	s_cbranch_execz .LBB468_3945
; %bb.3942:                             ;   in Loop: Header=BB468_3103 Depth=1
	v_and_b32_e32 v12, 7, v10
	v_lshrrev_b32_e32 v11, 3, v9
	v_cmp_gt_u32_e64 s9, 8, v9
	s_delay_alu instid0(VALU_DEP_3) | instskip(NEXT) | instid1(VALU_DEP_2)
	v_dual_mov_b32 v8, v12 :: v_dual_mov_b32 v9, v13
	s_and_saveexec_b32 s25, s9
; %bb.3943:                             ;   in Loop: Header=BB468_3103 Depth=1
	v_clz_i32_u32_e32 v8, v12
	s_delay_alu instid0(VALU_DEP_1) | instskip(NEXT) | instid1(VALU_DEP_1)
	v_min_u32_e32 v11, 32, v8
	v_subrev_nc_u32_e32 v8, 28, v11
	v_sub_nc_u32_e32 v11, 29, v11
	s_delay_alu instid0(VALU_DEP_2) | instskip(NEXT) | instid1(VALU_DEP_1)
	v_lshlrev_b64 v[8:9], v8, v[12:13]
	v_and_b32_e32 v8, 7, v8
; %bb.3944:                             ;   in Loop: Header=BB468_3103 Depth=1
	s_or_b32 exec_lo, exec_lo, s25
	v_lshlrev_b32_e32 v9, 24, v10
	s_delay_alu instid0(VALU_DEP_2) | instskip(SKIP_1) | instid1(VALU_DEP_3)
	v_lshlrev_b32_e32 v8, 20, v8
	v_lshl_add_u32 v10, v11, 23, 0x3c000000
	v_and_b32_e32 v9, 0x80000000, v9
	s_delay_alu instid0(VALU_DEP_1)
	v_or3_b32 v8, v8, v9, v10
.LBB468_3945:                           ;   in Loop: Header=BB468_3103 Depth=1
	s_or_b32 exec_lo, exec_lo, s24
.LBB468_3946:                           ;   in Loop: Header=BB468_3103 Depth=1
	s_delay_alu instid0(SALU_CYCLE_1)
	s_or_b32 exec_lo, exec_lo, s23
.LBB468_3947:                           ;   in Loop: Header=BB468_3103 Depth=1
	s_delay_alu instid0(SALU_CYCLE_1) | instskip(NEXT) | instid1(VALU_DEP_1)
	s_or_b32 exec_lo, exec_lo, s22
	v_mul_f32_e32 v8, v26, v8
                                        ; implicit-def: $vgpr10
	s_delay_alu instid0(VALU_DEP_1) | instskip(NEXT) | instid1(VALU_DEP_1)
	v_and_b32_e32 v9, 0x7f800000, v8
	v_cmp_ne_u32_e64 s9, 0x7f800000, v9
	s_delay_alu instid0(VALU_DEP_1) | instskip(NEXT) | instid1(SALU_CYCLE_1)
	s_and_saveexec_b32 s22, s9
	s_xor_b32 s9, exec_lo, s22
; %bb.3948:                             ;   in Loop: Header=BB468_3103 Depth=1
	v_bfe_u32 v9, v8, 16, 1
	s_delay_alu instid0(VALU_DEP_1)
	v_add3_u32 v10, v8, v9, 0x7fff
                                        ; implicit-def: $vgpr8
; %bb.3949:                             ;   in Loop: Header=BB468_3103 Depth=1
	s_and_not1_saveexec_b32 s22, s9
; %bb.3950:                             ;   in Loop: Header=BB468_3103 Depth=1
	v_and_b32_e32 v9, 0xffff, v8
	v_or_b32_e32 v10, 0x10000, v8
	s_delay_alu instid0(VALU_DEP_2) | instskip(NEXT) | instid1(VALU_DEP_1)
	v_cmp_eq_u32_e64 s9, 0, v9
	v_cndmask_b32_e64 v10, v10, v8, s9
; %bb.3951:                             ;   in Loop: Header=BB468_3103 Depth=1
	s_or_b32 exec_lo, exec_lo, s22
	v_mov_b32_e32 v8, 0
	s_mov_b32 s22, exec_lo
	v_cmpx_lt_u32_e32 0xffffff, v6
	s_cbranch_execz .LBB468_3959
; %bb.3952:                             ;   in Loop: Header=BB468_3103 Depth=1
	v_lshrrev_b32_e32 v11, 24, v6
	v_bfrev_b32_e32 v8, 1
	s_mov_b32 s23, exec_lo
	s_delay_alu instid0(VALU_DEP_2)
	v_cmpx_ne_u32_e32 0x80, v11
	s_cbranch_execz .LBB468_3958
; %bb.3953:                             ;   in Loop: Header=BB468_3103 Depth=1
	v_bfe_u32 v9, v6, 24, 7
	v_mov_b32_e32 v8, 0x7f800001
	s_mov_b32 s24, exec_lo
	s_delay_alu instid0(VALU_DEP_2)
	v_cmpx_ne_u32_e32 0x7f, v9
	s_cbranch_execz .LBB468_3957
; %bb.3954:                             ;   in Loop: Header=BB468_3103 Depth=1
	v_and_b32_e32 v12, 7, v11
	v_lshrrev_b32_e32 v17, 3, v9
	v_cmp_gt_u32_e64 s9, 8, v9
	s_delay_alu instid0(VALU_DEP_3) | instskip(NEXT) | instid1(VALU_DEP_2)
	v_dual_mov_b32 v8, v12 :: v_dual_mov_b32 v9, v13
	s_and_saveexec_b32 s25, s9
; %bb.3955:                             ;   in Loop: Header=BB468_3103 Depth=1
	v_clz_i32_u32_e32 v8, v12
	s_delay_alu instid0(VALU_DEP_1) | instskip(NEXT) | instid1(VALU_DEP_1)
	v_min_u32_e32 v17, 32, v8
	v_subrev_nc_u32_e32 v8, 28, v17
	v_sub_nc_u32_e32 v17, 29, v17
	s_delay_alu instid0(VALU_DEP_2) | instskip(NEXT) | instid1(VALU_DEP_1)
	v_lshlrev_b64 v[8:9], v8, v[12:13]
	v_and_b32_e32 v8, 7, v8
; %bb.3956:                             ;   in Loop: Header=BB468_3103 Depth=1
	s_or_b32 exec_lo, exec_lo, s25
	v_lshlrev_b32_e32 v9, 24, v11
	s_delay_alu instid0(VALU_DEP_2) | instskip(SKIP_1) | instid1(VALU_DEP_3)
	v_lshlrev_b32_e32 v8, 20, v8
	v_lshl_add_u32 v11, v17, 23, 0x3c000000
	v_and_b32_e32 v9, 0x80000000, v9
	s_delay_alu instid0(VALU_DEP_1)
	v_or3_b32 v8, v8, v9, v11
.LBB468_3957:                           ;   in Loop: Header=BB468_3103 Depth=1
	s_or_b32 exec_lo, exec_lo, s24
.LBB468_3958:                           ;   in Loop: Header=BB468_3103 Depth=1
	s_delay_alu instid0(SALU_CYCLE_1)
	s_or_b32 exec_lo, exec_lo, s23
.LBB468_3959:                           ;   in Loop: Header=BB468_3103 Depth=1
	s_delay_alu instid0(SALU_CYCLE_1) | instskip(NEXT) | instid1(VALU_DEP_1)
	s_or_b32 exec_lo, exec_lo, s22
	v_mul_f32_e32 v8, v26, v8
                                        ; implicit-def: $vgpr11
	s_delay_alu instid0(VALU_DEP_1) | instskip(NEXT) | instid1(VALU_DEP_1)
	v_and_b32_e32 v9, 0x7f800000, v8
	v_cmp_ne_u32_e64 s9, 0x7f800000, v9
	s_delay_alu instid0(VALU_DEP_1) | instskip(NEXT) | instid1(SALU_CYCLE_1)
	s_and_saveexec_b32 s22, s9
	s_xor_b32 s9, exec_lo, s22
; %bb.3960:                             ;   in Loop: Header=BB468_3103 Depth=1
	v_bfe_u32 v9, v8, 16, 1
	s_delay_alu instid0(VALU_DEP_1)
	v_add3_u32 v11, v8, v9, 0x7fff
                                        ; implicit-def: $vgpr8
; %bb.3961:                             ;   in Loop: Header=BB468_3103 Depth=1
	s_and_not1_saveexec_b32 s22, s9
; %bb.3962:                             ;   in Loop: Header=BB468_3103 Depth=1
	v_and_b32_e32 v9, 0xffff, v8
	v_or_b32_e32 v11, 0x10000, v8
	s_delay_alu instid0(VALU_DEP_2) | instskip(NEXT) | instid1(VALU_DEP_1)
	v_cmp_eq_u32_e64 s9, 0, v9
	v_cndmask_b32_e64 v11, v11, v8, s9
; %bb.3963:                             ;   in Loop: Header=BB468_3103 Depth=1
	s_or_b32 exec_lo, exec_lo, s22
	v_dual_mov_b32 v12, v7 :: v_dual_and_b32 v9, 0xff, v7
	v_mov_b32_e32 v8, 0
	s_mov_b32 s22, exec_lo
	s_delay_alu instid0(VALU_DEP_2)
	v_cmpx_ne_u16_e32 0, v9
	s_cbranch_execz .LBB468_3971
; %bb.3964:                             ;   in Loop: Header=BB468_3103 Depth=1
	v_bfrev_b32_e32 v8, 1
	s_mov_b32 s23, exec_lo
	v_cmpx_ne_u16_e32 0x80, v9
	s_cbranch_execz .LBB468_3970
; %bb.3965:                             ;   in Loop: Header=BB468_3103 Depth=1
	v_and_b32_e32 v9, 0x7f, v7
	v_mov_b32_e32 v8, 0x7f800001
	s_mov_b32 s24, exec_lo
	s_delay_alu instid0(VALU_DEP_2)
	v_cmpx_ne_u32_e32 0x7f, v9
	s_cbranch_execz .LBB468_3969
; %bb.3966:                             ;   in Loop: Header=BB468_3103 Depth=1
	v_lshrrev_b32_e32 v17, 3, v9
	v_cmp_gt_u32_e64 s9, 8, v9
	v_dual_mov_b32 v8, v12 :: v_dual_mov_b32 v9, v13
	s_delay_alu instid0(VALU_DEP_2)
	s_and_saveexec_b32 s25, s9
; %bb.3967:                             ;   in Loop: Header=BB468_3103 Depth=1
	v_and_b32_e32 v8, 7, v7
	s_delay_alu instid0(VALU_DEP_1) | instskip(NEXT) | instid1(VALU_DEP_1)
	v_clz_i32_u32_e32 v8, v8
	v_min_u32_e32 v17, 32, v8
	s_delay_alu instid0(VALU_DEP_1) | instskip(SKIP_1) | instid1(VALU_DEP_2)
	v_subrev_nc_u32_e32 v8, 28, v17
	v_sub_nc_u32_e32 v17, 29, v17
	v_lshlrev_b64 v[8:9], v8, v[12:13]
; %bb.3968:                             ;   in Loop: Header=BB468_3103 Depth=1
	s_or_b32 exec_lo, exec_lo, s25
	s_delay_alu instid0(VALU_DEP_1) | instskip(SKIP_2) | instid1(VALU_DEP_3)
	v_lshlrev_b32_e32 v8, 20, v8
	v_lshlrev_b32_e32 v9, 24, v12
	v_lshl_add_u32 v17, v17, 23, 0x3c000000
	v_and_b32_e32 v8, 0x700000, v8
	s_delay_alu instid0(VALU_DEP_3) | instskip(NEXT) | instid1(VALU_DEP_1)
	v_and_b32_e32 v9, 0x80000000, v9
	v_or3_b32 v8, v8, v9, v17
.LBB468_3969:                           ;   in Loop: Header=BB468_3103 Depth=1
	s_or_b32 exec_lo, exec_lo, s24
.LBB468_3970:                           ;   in Loop: Header=BB468_3103 Depth=1
	s_delay_alu instid0(SALU_CYCLE_1)
	s_or_b32 exec_lo, exec_lo, s23
.LBB468_3971:                           ;   in Loop: Header=BB468_3103 Depth=1
	s_delay_alu instid0(SALU_CYCLE_1) | instskip(NEXT) | instid1(VALU_DEP_1)
	s_or_b32 exec_lo, exec_lo, s22
	v_mul_f32_e32 v8, v26, v8
                                        ; implicit-def: $vgpr17
	s_delay_alu instid0(VALU_DEP_1) | instskip(NEXT) | instid1(VALU_DEP_1)
	v_and_b32_e32 v9, 0x7f800000, v8
	v_cmp_ne_u32_e64 s9, 0x7f800000, v9
	s_delay_alu instid0(VALU_DEP_1) | instskip(NEXT) | instid1(SALU_CYCLE_1)
	s_and_saveexec_b32 s22, s9
	s_xor_b32 s9, exec_lo, s22
; %bb.3972:                             ;   in Loop: Header=BB468_3103 Depth=1
	v_bfe_u32 v9, v8, 16, 1
	s_delay_alu instid0(VALU_DEP_1)
	v_add3_u32 v17, v8, v9, 0x7fff
                                        ; implicit-def: $vgpr8
; %bb.3973:                             ;   in Loop: Header=BB468_3103 Depth=1
	s_and_not1_saveexec_b32 s22, s9
; %bb.3974:                             ;   in Loop: Header=BB468_3103 Depth=1
	v_and_b32_e32 v9, 0xffff, v8
	v_or_b32_e32 v17, 0x10000, v8
	s_delay_alu instid0(VALU_DEP_2) | instskip(NEXT) | instid1(VALU_DEP_1)
	v_cmp_eq_u32_e64 s9, 0, v9
	v_cndmask_b32_e64 v17, v17, v8, s9
; %bb.3975:                             ;   in Loop: Header=BB468_3103 Depth=1
	s_or_b32 exec_lo, exec_lo, s22
	v_lshrrev_b16 v9, 8, v12
	v_mov_b32_e32 v8, 0
	s_mov_b32 s22, exec_lo
	s_delay_alu instid0(VALU_DEP_2)
	v_cmpx_ne_u16_e32 0, v9
	s_cbranch_execz .LBB468_3983
; %bb.3976:                             ;   in Loop: Header=BB468_3103 Depth=1
	v_bfrev_b32_e32 v8, 1
	s_mov_b32 s23, exec_lo
	v_cmpx_ne_u16_e32 0x80, v9
	s_cbranch_execz .LBB468_3982
; %bb.3977:                             ;   in Loop: Header=BB468_3103 Depth=1
	v_and_b32_e32 v9, 0xffff, v9
	v_mov_b32_e32 v8, 0x7f800001
	s_mov_b32 s24, exec_lo
	s_delay_alu instid0(VALU_DEP_2) | instskip(NEXT) | instid1(VALU_DEP_1)
	v_and_b32_e32 v19, 0x7f, v9
	v_cmpx_ne_u32_e32 0x7f, v19
	s_cbranch_execz .LBB468_3981
; %bb.3978:                             ;   in Loop: Header=BB468_3103 Depth=1
	v_dual_mov_b32 v9, v13 :: v_dual_and_b32 v8, 7, v9
	v_lshrrev_b32_e32 v18, 3, v19
	s_mov_b32 s25, exec_lo
	v_cmpx_gt_u32_e32 8, v19
; %bb.3979:                             ;   in Loop: Header=BB468_3103 Depth=1
	s_delay_alu instid0(VALU_DEP_3) | instskip(NEXT) | instid1(VALU_DEP_1)
	v_clz_i32_u32_e32 v18, v8
	v_min_u32_e32 v18, 32, v18
	s_delay_alu instid0(VALU_DEP_1) | instskip(SKIP_1) | instid1(VALU_DEP_2)
	v_subrev_nc_u32_e32 v19, 28, v18
	v_sub_nc_u32_e32 v18, 29, v18
	v_lshlrev_b64 v[8:9], v19, v[8:9]
	s_delay_alu instid0(VALU_DEP_1)
	v_and_b32_e32 v8, 7, v8
; %bb.3980:                             ;   in Loop: Header=BB468_3103 Depth=1
	s_or_b32 exec_lo, exec_lo, s25
	v_lshlrev_b32_e32 v9, 16, v12
	s_delay_alu instid0(VALU_DEP_2) | instskip(SKIP_1) | instid1(VALU_DEP_3)
	v_lshlrev_b32_e32 v8, 20, v8
	v_lshl_add_u32 v12, v18, 23, 0x3c000000
	v_and_b32_e32 v9, 0x80000000, v9
	s_delay_alu instid0(VALU_DEP_1)
	v_or3_b32 v8, v8, v9, v12
.LBB468_3981:                           ;   in Loop: Header=BB468_3103 Depth=1
	s_or_b32 exec_lo, exec_lo, s24
.LBB468_3982:                           ;   in Loop: Header=BB468_3103 Depth=1
	s_delay_alu instid0(SALU_CYCLE_1)
	s_or_b32 exec_lo, exec_lo, s23
.LBB468_3983:                           ;   in Loop: Header=BB468_3103 Depth=1
	s_delay_alu instid0(SALU_CYCLE_1) | instskip(NEXT) | instid1(VALU_DEP_1)
	s_or_b32 exec_lo, exec_lo, s22
	v_mul_f32_e32 v8, v26, v8
                                        ; implicit-def: $vgpr18
	s_delay_alu instid0(VALU_DEP_1) | instskip(NEXT) | instid1(VALU_DEP_1)
	v_and_b32_e32 v9, 0x7f800000, v8
	v_cmp_ne_u32_e64 s9, 0x7f800000, v9
	s_delay_alu instid0(VALU_DEP_1) | instskip(NEXT) | instid1(SALU_CYCLE_1)
	s_and_saveexec_b32 s22, s9
	s_xor_b32 s9, exec_lo, s22
; %bb.3984:                             ;   in Loop: Header=BB468_3103 Depth=1
	v_bfe_u32 v9, v8, 16, 1
	s_delay_alu instid0(VALU_DEP_1)
	v_add3_u32 v18, v8, v9, 0x7fff
                                        ; implicit-def: $vgpr8
; %bb.3985:                             ;   in Loop: Header=BB468_3103 Depth=1
	s_and_not1_saveexec_b32 s22, s9
; %bb.3986:                             ;   in Loop: Header=BB468_3103 Depth=1
	v_and_b32_e32 v9, 0xffff, v8
	v_or_b32_e32 v12, 0x10000, v8
	s_delay_alu instid0(VALU_DEP_2) | instskip(NEXT) | instid1(VALU_DEP_1)
	v_cmp_eq_u32_e64 s9, 0, v9
	v_cndmask_b32_e64 v18, v12, v8, s9
; %bb.3987:                             ;   in Loop: Header=BB468_3103 Depth=1
	s_or_b32 exec_lo, exec_lo, s22
	v_lshrrev_b32_e32 v19, 16, v7
	s_mov_b32 s22, exec_lo
	s_delay_alu instid0(VALU_DEP_1) | instskip(NEXT) | instid1(VALU_DEP_1)
	v_dual_mov_b32 v8, 0 :: v_dual_and_b32 v9, 0xff, v19
	v_cmpx_ne_u16_e32 0, v9
	s_cbranch_execz .LBB468_3995
; %bb.3988:                             ;   in Loop: Header=BB468_3103 Depth=1
	v_bfrev_b32_e32 v8, 1
	s_mov_b32 s23, exec_lo
	v_cmpx_ne_u16_e32 0x80, v9
	s_cbranch_execz .LBB468_3994
; %bb.3989:                             ;   in Loop: Header=BB468_3103 Depth=1
	v_bfe_u32 v9, v7, 16, 7
	v_mov_b32_e32 v8, 0x7f800001
	s_mov_b32 s24, exec_lo
	s_delay_alu instid0(VALU_DEP_2)
	v_cmpx_ne_u32_e32 0x7f, v9
	s_cbranch_execz .LBB468_3993
; %bb.3990:                             ;   in Loop: Header=BB468_3103 Depth=1
	v_and_b32_e32 v12, 7, v19
	v_lshrrev_b32_e32 v20, 3, v9
	v_cmp_gt_u32_e64 s9, 8, v9
	s_delay_alu instid0(VALU_DEP_3) | instskip(NEXT) | instid1(VALU_DEP_2)
	v_dual_mov_b32 v8, v12 :: v_dual_mov_b32 v9, v13
	s_and_saveexec_b32 s25, s9
; %bb.3991:                             ;   in Loop: Header=BB468_3103 Depth=1
	v_clz_i32_u32_e32 v8, v12
	s_delay_alu instid0(VALU_DEP_1) | instskip(NEXT) | instid1(VALU_DEP_1)
	v_min_u32_e32 v20, 32, v8
	v_subrev_nc_u32_e32 v8, 28, v20
	v_sub_nc_u32_e32 v20, 29, v20
	s_delay_alu instid0(VALU_DEP_2) | instskip(NEXT) | instid1(VALU_DEP_1)
	v_lshlrev_b64 v[8:9], v8, v[12:13]
	v_and_b32_e32 v8, 7, v8
; %bb.3992:                             ;   in Loop: Header=BB468_3103 Depth=1
	s_or_b32 exec_lo, exec_lo, s25
	v_lshlrev_b32_e32 v9, 24, v19
	s_delay_alu instid0(VALU_DEP_2) | instskip(SKIP_1) | instid1(VALU_DEP_3)
	v_lshlrev_b32_e32 v8, 20, v8
	v_lshl_add_u32 v12, v20, 23, 0x3c000000
	v_and_b32_e32 v9, 0x80000000, v9
	s_delay_alu instid0(VALU_DEP_1)
	v_or3_b32 v8, v8, v9, v12
.LBB468_3993:                           ;   in Loop: Header=BB468_3103 Depth=1
	s_or_b32 exec_lo, exec_lo, s24
.LBB468_3994:                           ;   in Loop: Header=BB468_3103 Depth=1
	s_delay_alu instid0(SALU_CYCLE_1)
	s_or_b32 exec_lo, exec_lo, s23
.LBB468_3995:                           ;   in Loop: Header=BB468_3103 Depth=1
	s_delay_alu instid0(SALU_CYCLE_1) | instskip(NEXT) | instid1(VALU_DEP_1)
	s_or_b32 exec_lo, exec_lo, s22
	v_mul_f32_e32 v8, v26, v8
	s_delay_alu instid0(VALU_DEP_1) | instskip(NEXT) | instid1(VALU_DEP_1)
	v_and_b32_e32 v9, 0x7f800000, v8
	v_cmp_ne_u32_e64 s9, 0x7f800000, v9
                                        ; implicit-def: $vgpr9
	s_delay_alu instid0(VALU_DEP_1) | instskip(NEXT) | instid1(SALU_CYCLE_1)
	s_and_saveexec_b32 s22, s9
	s_xor_b32 s9, exec_lo, s22
; %bb.3996:                             ;   in Loop: Header=BB468_3103 Depth=1
	v_bfe_u32 v9, v8, 16, 1
	s_delay_alu instid0(VALU_DEP_1)
	v_add3_u32 v9, v8, v9, 0x7fff
                                        ; implicit-def: $vgpr8
; %bb.3997:                             ;   in Loop: Header=BB468_3103 Depth=1
	s_and_not1_saveexec_b32 s22, s9
; %bb.3998:                             ;   in Loop: Header=BB468_3103 Depth=1
	v_and_b32_e32 v9, 0xffff, v8
	v_or_b32_e32 v12, 0x10000, v8
	s_delay_alu instid0(VALU_DEP_2) | instskip(NEXT) | instid1(VALU_DEP_1)
	v_cmp_eq_u32_e64 s9, 0, v9
	v_cndmask_b32_e64 v9, v12, v8, s9
; %bb.3999:                             ;   in Loop: Header=BB468_3103 Depth=1
	s_or_b32 exec_lo, exec_lo, s22
	v_cmp_lt_u64_e64 s9, s[12:13], v[6:7]
	v_mov_b32_e32 v6, 0
	s_delay_alu instid0(VALU_DEP_2)
	s_and_saveexec_b32 s22, s9
	s_cbranch_execz .LBB468_4007
; %bb.4000:                             ;   in Loop: Header=BB468_3103 Depth=1
	v_lshrrev_b32_e32 v8, 24, v7
	v_bfrev_b32_e32 v6, 1
	s_mov_b32 s23, exec_lo
	s_delay_alu instid0(VALU_DEP_2)
	v_cmpx_ne_u32_e32 0x80, v8
	s_cbranch_execz .LBB468_4006
; %bb.4001:                             ;   in Loop: Header=BB468_3103 Depth=1
	v_bfe_u32 v7, v7, 24, 7
	v_mov_b32_e32 v6, 0x7f800001
	s_mov_b32 s24, exec_lo
	s_delay_alu instid0(VALU_DEP_2)
	v_cmpx_ne_u32_e32 0x7f, v7
	s_cbranch_execz .LBB468_4005
; %bb.4002:                             ;   in Loop: Header=BB468_3103 Depth=1
	v_and_b32_e32 v12, 7, v8
	v_lshrrev_b32_e32 v19, 3, v7
	v_cmp_gt_u32_e64 s9, 8, v7
	s_delay_alu instid0(VALU_DEP_3) | instskip(NEXT) | instid1(VALU_DEP_2)
	v_dual_mov_b32 v6, v12 :: v_dual_mov_b32 v7, v13
	s_and_saveexec_b32 s25, s9
; %bb.4003:                             ;   in Loop: Header=BB468_3103 Depth=1
	v_clz_i32_u32_e32 v6, v12
	s_delay_alu instid0(VALU_DEP_1) | instskip(NEXT) | instid1(VALU_DEP_1)
	v_min_u32_e32 v19, 32, v6
	v_subrev_nc_u32_e32 v6, 28, v19
	v_sub_nc_u32_e32 v19, 29, v19
	s_delay_alu instid0(VALU_DEP_2) | instskip(NEXT) | instid1(VALU_DEP_1)
	v_lshlrev_b64 v[6:7], v6, v[12:13]
	v_and_b32_e32 v6, 7, v6
; %bb.4004:                             ;   in Loop: Header=BB468_3103 Depth=1
	s_or_b32 exec_lo, exec_lo, s25
	v_lshlrev_b32_e32 v7, 24, v8
	s_delay_alu instid0(VALU_DEP_2) | instskip(SKIP_1) | instid1(VALU_DEP_3)
	v_lshlrev_b32_e32 v6, 20, v6
	v_lshl_add_u32 v8, v19, 23, 0x3c000000
	v_and_b32_e32 v7, 0x80000000, v7
	s_delay_alu instid0(VALU_DEP_1)
	v_or3_b32 v6, v6, v7, v8
.LBB468_4005:                           ;   in Loop: Header=BB468_3103 Depth=1
	s_or_b32 exec_lo, exec_lo, s24
.LBB468_4006:                           ;   in Loop: Header=BB468_3103 Depth=1
	s_delay_alu instid0(SALU_CYCLE_1)
	s_or_b32 exec_lo, exec_lo, s23
.LBB468_4007:                           ;   in Loop: Header=BB468_3103 Depth=1
	s_delay_alu instid0(SALU_CYCLE_1) | instskip(NEXT) | instid1(VALU_DEP_1)
	s_or_b32 exec_lo, exec_lo, s22
	v_mul_f32_e32 v6, v26, v6
                                        ; implicit-def: $vgpr19
	s_delay_alu instid0(VALU_DEP_1) | instskip(NEXT) | instid1(VALU_DEP_1)
	v_and_b32_e32 v7, 0x7f800000, v6
	v_cmp_ne_u32_e64 s9, 0x7f800000, v7
	s_delay_alu instid0(VALU_DEP_1) | instskip(NEXT) | instid1(SALU_CYCLE_1)
	s_and_saveexec_b32 s22, s9
	s_xor_b32 s9, exec_lo, s22
; %bb.4008:                             ;   in Loop: Header=BB468_3103 Depth=1
	v_bfe_u32 v7, v6, 16, 1
	s_delay_alu instid0(VALU_DEP_1)
	v_add3_u32 v19, v6, v7, 0x7fff
                                        ; implicit-def: $vgpr6
; %bb.4009:                             ;   in Loop: Header=BB468_3103 Depth=1
	s_and_not1_saveexec_b32 s22, s9
; %bb.4010:                             ;   in Loop: Header=BB468_3103 Depth=1
	v_and_b32_e32 v7, 0xffff, v6
	v_or_b32_e32 v8, 0x10000, v6
	s_delay_alu instid0(VALU_DEP_2) | instskip(NEXT) | instid1(VALU_DEP_1)
	v_cmp_eq_u32_e64 s9, 0, v7
	v_cndmask_b32_e64 v19, v8, v6, s9
; %bb.4011:                             ;   in Loop: Header=BB468_3103 Depth=1
	s_or_b32 exec_lo, exec_lo, s22
	v_lshrrev_b32_e32 v6, 16, v18
	v_lshrrev_b32_e32 v7, 16, v17
	;; [unrolled: 1-line block ×8, first 2 shown]
	s_and_saveexec_b32 s9, s3
; %bb.4012:                             ;   in Loop: Header=BB468_3103 Depth=1
	s_delay_alu instid0(VALU_DEP_3)
	v_cndmask_b32_e32 v12, 0, v12, vcc_lo
	v_cndmask_b32_e64 v11, 0, v11, s1
	v_cndmask_b32_e64 v10, 0, v10, s2
	;; [unrolled: 1-line block ×7, first 2 shown]
; %bb.4013:                             ;   in Loop: Header=BB468_3103 Depth=1
	s_or_b32 exec_lo, exec_lo, s9
	v_lshlrev_b32_e32 v9, 16, v12
	s_delay_alu instid0(VALU_DEP_1) | instskip(NEXT) | instid1(VALU_DEP_1)
	v_mul_f32_e32 v9, v151, v9
	v_and_b32_e32 v12, 0x7f800000, v9
	s_delay_alu instid0(VALU_DEP_1) | instskip(NEXT) | instid1(VALU_DEP_1)
	v_cmp_ne_u32_e64 s9, 0x7f800000, v12
                                        ; implicit-def: $vgpr12
                                        ; kill: killed $vgpr12
	s_and_saveexec_b32 s22, s9
	s_delay_alu instid0(SALU_CYCLE_1)
	s_xor_b32 s9, exec_lo, s22
	s_cbranch_execz .LBB468_4015
; %bb.4014:                             ;   in Loop: Header=BB468_3103 Depth=1
	v_bfe_u32 v12, v9, 16, 1
	s_delay_alu instid0(VALU_DEP_1)
	v_add3_u32 v9, v9, v12, 0x7fff
	scratch_store_b32 off, v9, s32 offset:520 ; 4-byte Folded Spill
                                        ; implicit-def: $vgpr9
.LBB468_4015:                           ;   in Loop: Header=BB468_3103 Depth=1
	s_and_not1_saveexec_b32 s22, s9
	s_cbranch_execz .LBB468_4017
; %bb.4016:                             ;   in Loop: Header=BB468_3103 Depth=1
	v_and_b32_e32 v12, 0xffff, v9
	v_or_b32_e32 v17, 0x10000, v9
	s_delay_alu instid0(VALU_DEP_2) | instskip(NEXT) | instid1(VALU_DEP_1)
	v_cmp_eq_u32_e64 s9, 0, v12
	v_cndmask_b32_e64 v9, v17, v9, s9
	scratch_store_b32 off, v9, s32 offset:520 ; 4-byte Folded Spill
.LBB468_4017:                           ;   in Loop: Header=BB468_3103 Depth=1
	s_or_b32 exec_lo, exec_lo, s22
	v_lshlrev_b32_e32 v9, 16, v11
	s_delay_alu instid0(VALU_DEP_1) | instskip(NEXT) | instid1(VALU_DEP_1)
	v_mul_f32_e32 v9, v160, v9
	v_and_b32_e32 v11, 0x7f800000, v9
	s_delay_alu instid0(VALU_DEP_1) | instskip(NEXT) | instid1(VALU_DEP_1)
	v_cmp_ne_u32_e64 s9, 0x7f800000, v11
                                        ; implicit-def: $vgpr11
                                        ; kill: killed $vgpr11
	s_and_saveexec_b32 s22, s9
	s_delay_alu instid0(SALU_CYCLE_1)
	s_xor_b32 s9, exec_lo, s22
	s_cbranch_execz .LBB468_4019
; %bb.4018:                             ;   in Loop: Header=BB468_3103 Depth=1
	v_bfe_u32 v11, v9, 16, 1
	s_delay_alu instid0(VALU_DEP_1)
	v_add3_u32 v9, v9, v11, 0x7fff
	scratch_store_b32 off, v9, s32 offset:524 ; 4-byte Folded Spill
                                        ; implicit-def: $vgpr9
.LBB468_4019:                           ;   in Loop: Header=BB468_3103 Depth=1
	s_and_not1_saveexec_b32 s22, s9
	s_cbranch_execz .LBB468_4021
; %bb.4020:                             ;   in Loop: Header=BB468_3103 Depth=1
	v_and_b32_e32 v11, 0xffff, v9
	v_or_b32_e32 v12, 0x10000, v9
	s_delay_alu instid0(VALU_DEP_2) | instskip(NEXT) | instid1(VALU_DEP_1)
	v_cmp_eq_u32_e64 s9, 0, v11
	v_cndmask_b32_e64 v9, v12, v9, s9
	scratch_store_b32 off, v9, s32 offset:524 ; 4-byte Folded Spill
.LBB468_4021:                           ;   in Loop: Header=BB468_3103 Depth=1
	s_or_b32 exec_lo, exec_lo, s22
	v_lshlrev_b32_e32 v9, 16, v10
	s_delay_alu instid0(VALU_DEP_1) | instskip(NEXT) | instid1(VALU_DEP_1)
	v_mul_f32_e32 v9, v161, v9
	v_and_b32_e32 v10, 0x7f800000, v9
	s_delay_alu instid0(VALU_DEP_1) | instskip(NEXT) | instid1(VALU_DEP_1)
	v_cmp_ne_u32_e64 s9, 0x7f800000, v10
                                        ; implicit-def: $vgpr10
                                        ; kill: killed $vgpr10
	s_and_saveexec_b32 s22, s9
	s_delay_alu instid0(SALU_CYCLE_1)
	s_xor_b32 s9, exec_lo, s22
	s_cbranch_execz .LBB468_4023
; %bb.4022:                             ;   in Loop: Header=BB468_3103 Depth=1
	v_bfe_u32 v10, v9, 16, 1
	s_delay_alu instid0(VALU_DEP_1)
	v_add3_u32 v9, v9, v10, 0x7fff
	scratch_store_b32 off, v9, s32 offset:528 ; 4-byte Folded Spill
                                        ; implicit-def: $vgpr9
.LBB468_4023:                           ;   in Loop: Header=BB468_3103 Depth=1
	s_and_not1_saveexec_b32 s22, s9
	s_cbranch_execz .LBB468_4025
; %bb.4024:                             ;   in Loop: Header=BB468_3103 Depth=1
	v_and_b32_e32 v10, 0xffff, v9
	v_or_b32_e32 v11, 0x10000, v9
	s_delay_alu instid0(VALU_DEP_2) | instskip(NEXT) | instid1(VALU_DEP_1)
	v_cmp_eq_u32_e64 s9, 0, v10
	v_cndmask_b32_e64 v9, v11, v9, s9
	scratch_store_b32 off, v9, s32 offset:528 ; 4-byte Folded Spill
.LBB468_4025:                           ;   in Loop: Header=BB468_3103 Depth=1
	s_or_b32 exec_lo, exec_lo, s22
	v_lshlrev_b32_e32 v8, 16, v8
	s_delay_alu instid0(VALU_DEP_1) | instskip(NEXT) | instid1(VALU_DEP_1)
	v_mul_f32_e32 v8, v162, v8
	v_and_b32_e32 v9, 0x7f800000, v8
	s_delay_alu instid0(VALU_DEP_1) | instskip(NEXT) | instid1(VALU_DEP_1)
	v_cmp_ne_u32_e64 s9, 0x7f800000, v9
                                        ; implicit-def: $vgpr9
                                        ; kill: killed $vgpr9
	s_and_saveexec_b32 s22, s9
	s_delay_alu instid0(SALU_CYCLE_1)
	s_xor_b32 s9, exec_lo, s22
	s_cbranch_execz .LBB468_4027
; %bb.4026:                             ;   in Loop: Header=BB468_3103 Depth=1
	v_bfe_u32 v9, v8, 16, 1
	s_delay_alu instid0(VALU_DEP_1)
	v_add3_u32 v8, v8, v9, 0x7fff
	scratch_store_b32 off, v8, s32 offset:532 ; 4-byte Folded Spill
                                        ; implicit-def: $vgpr8
.LBB468_4027:                           ;   in Loop: Header=BB468_3103 Depth=1
	s_and_not1_saveexec_b32 s22, s9
	s_cbranch_execz .LBB468_4029
; %bb.4028:                             ;   in Loop: Header=BB468_3103 Depth=1
	v_and_b32_e32 v9, 0xffff, v8
	v_or_b32_e32 v10, 0x10000, v8
	s_delay_alu instid0(VALU_DEP_2) | instskip(NEXT) | instid1(VALU_DEP_1)
	v_cmp_eq_u32_e64 s9, 0, v9
	v_cndmask_b32_e64 v8, v10, v8, s9
	scratch_store_b32 off, v8, s32 offset:532 ; 4-byte Folded Spill
.LBB468_4029:                           ;   in Loop: Header=BB468_3103 Depth=1
	s_or_b32 exec_lo, exec_lo, s22
	v_lshlrev_b32_e32 v7, 16, v7
	s_delay_alu instid0(VALU_DEP_1) | instskip(NEXT) | instid1(VALU_DEP_1)
	v_mul_f32_e32 v7, v163, v7
	v_and_b32_e32 v8, 0x7f800000, v7
	s_delay_alu instid0(VALU_DEP_1) | instskip(NEXT) | instid1(VALU_DEP_1)
	v_cmp_ne_u32_e64 s9, 0x7f800000, v8
                                        ; implicit-def: $vgpr8
                                        ; kill: killed $vgpr8
	s_and_saveexec_b32 s22, s9
	s_delay_alu instid0(SALU_CYCLE_1)
	s_xor_b32 s9, exec_lo, s22
	s_cbranch_execz .LBB468_4031
; %bb.4030:                             ;   in Loop: Header=BB468_3103 Depth=1
	v_bfe_u32 v8, v7, 16, 1
	s_delay_alu instid0(VALU_DEP_1)
	v_add3_u32 v7, v7, v8, 0x7fff
	scratch_store_b32 off, v7, s32 offset:536 ; 4-byte Folded Spill
                                        ; implicit-def: $vgpr7
.LBB468_4031:                           ;   in Loop: Header=BB468_3103 Depth=1
	s_and_not1_saveexec_b32 s22, s9
	s_cbranch_execz .LBB468_4033
; %bb.4032:                             ;   in Loop: Header=BB468_3103 Depth=1
	v_and_b32_e32 v8, 0xffff, v7
	v_or_b32_e32 v9, 0x10000, v7
	s_delay_alu instid0(VALU_DEP_2) | instskip(NEXT) | instid1(VALU_DEP_1)
	v_cmp_eq_u32_e64 s9, 0, v8
	v_cndmask_b32_e64 v7, v9, v7, s9
	scratch_store_b32 off, v7, s32 offset:536 ; 4-byte Folded Spill
.LBB468_4033:                           ;   in Loop: Header=BB468_3103 Depth=1
	s_or_b32 exec_lo, exec_lo, s22
	v_lshlrev_b32_e32 v6, 16, v6
	s_delay_alu instid0(VALU_DEP_1) | instskip(NEXT) | instid1(VALU_DEP_1)
	v_mul_f32_e32 v6, v164, v6
	v_and_b32_e32 v7, 0x7f800000, v6
	s_delay_alu instid0(VALU_DEP_1) | instskip(NEXT) | instid1(VALU_DEP_1)
	v_cmp_ne_u32_e64 s9, 0x7f800000, v7
                                        ; implicit-def: $vgpr7
                                        ; kill: killed $vgpr7
	s_and_saveexec_b32 s22, s9
	s_delay_alu instid0(SALU_CYCLE_1)
	s_xor_b32 s9, exec_lo, s22
	s_cbranch_execz .LBB468_4035
; %bb.4034:                             ;   in Loop: Header=BB468_3103 Depth=1
	v_bfe_u32 v7, v6, 16, 1
	s_delay_alu instid0(VALU_DEP_1)
	v_add3_u32 v6, v6, v7, 0x7fff
	scratch_store_b32 off, v6, s32 offset:540 ; 4-byte Folded Spill
                                        ; implicit-def: $vgpr6
.LBB468_4035:                           ;   in Loop: Header=BB468_3103 Depth=1
	s_and_not1_saveexec_b32 s22, s9
	s_cbranch_execz .LBB468_4037
; %bb.4036:                             ;   in Loop: Header=BB468_3103 Depth=1
	v_and_b32_e32 v7, 0xffff, v6
	v_or_b32_e32 v8, 0x10000, v6
	s_delay_alu instid0(VALU_DEP_2) | instskip(NEXT) | instid1(VALU_DEP_1)
	v_cmp_eq_u32_e64 s9, 0, v7
	v_cndmask_b32_e64 v6, v8, v6, s9
	scratch_store_b32 off, v6, s32 offset:540 ; 4-byte Folded Spill
.LBB468_4037:                           ;   in Loop: Header=BB468_3103 Depth=1
	s_or_b32 exec_lo, exec_lo, s22
	v_lshlrev_b32_e32 v5, 16, v5
	s_delay_alu instid0(VALU_DEP_1) | instskip(NEXT) | instid1(VALU_DEP_1)
	v_mul_f32_e32 v5, v165, v5
	v_and_b32_e32 v6, 0x7f800000, v5
	s_delay_alu instid0(VALU_DEP_1) | instskip(NEXT) | instid1(VALU_DEP_1)
	v_cmp_ne_u32_e64 s9, 0x7f800000, v6
                                        ; implicit-def: $vgpr6
                                        ; kill: killed $vgpr6
	s_and_saveexec_b32 s22, s9
	s_delay_alu instid0(SALU_CYCLE_1)
	s_xor_b32 s9, exec_lo, s22
	s_cbranch_execz .LBB468_4039
; %bb.4038:                             ;   in Loop: Header=BB468_3103 Depth=1
	v_bfe_u32 v6, v5, 16, 1
	s_delay_alu instid0(VALU_DEP_1)
	v_add3_u32 v5, v5, v6, 0x7fff
	scratch_store_b32 off, v5, s32 offset:544 ; 4-byte Folded Spill
                                        ; implicit-def: $vgpr5
.LBB468_4039:                           ;   in Loop: Header=BB468_3103 Depth=1
	s_and_not1_saveexec_b32 s22, s9
	s_cbranch_execz .LBB468_4041
; %bb.4040:                             ;   in Loop: Header=BB468_3103 Depth=1
	v_and_b32_e32 v6, 0xffff, v5
	v_or_b32_e32 v7, 0x10000, v5
	s_delay_alu instid0(VALU_DEP_2) | instskip(NEXT) | instid1(VALU_DEP_1)
	v_cmp_eq_u32_e64 s9, 0, v6
	v_cndmask_b32_e64 v5, v7, v5, s9
	scratch_store_b32 off, v5, s32 offset:544 ; 4-byte Folded Spill
.LBB468_4041:                           ;   in Loop: Header=BB468_3103 Depth=1
	s_or_b32 exec_lo, exec_lo, s22
	v_lshlrev_b32_e32 v4, 16, v4
	s_delay_alu instid0(VALU_DEP_1) | instskip(NEXT) | instid1(VALU_DEP_1)
	v_mul_f32_e32 v4, v166, v4
	v_and_b32_e32 v5, 0x7f800000, v4
	s_delay_alu instid0(VALU_DEP_1) | instskip(NEXT) | instid1(VALU_DEP_1)
	v_cmp_ne_u32_e64 s9, 0x7f800000, v5
                                        ; implicit-def: $vgpr5
                                        ; kill: killed $vgpr5
	s_and_saveexec_b32 s22, s9
	s_delay_alu instid0(SALU_CYCLE_1)
	s_xor_b32 s9, exec_lo, s22
	s_cbranch_execz .LBB468_4043
; %bb.4042:                             ;   in Loop: Header=BB468_3103 Depth=1
	v_bfe_u32 v5, v4, 16, 1
	s_delay_alu instid0(VALU_DEP_1)
	v_add3_u32 v4, v4, v5, 0x7fff
	scratch_store_b32 off, v4, s32 offset:548 ; 4-byte Folded Spill
                                        ; implicit-def: $vgpr4
.LBB468_4043:                           ;   in Loop: Header=BB468_3103 Depth=1
	s_and_not1_saveexec_b32 s22, s9
	s_cbranch_execz .LBB468_4045
; %bb.4044:                             ;   in Loop: Header=BB468_3103 Depth=1
	v_and_b32_e32 v5, 0xffff, v4
	v_or_b32_e32 v6, 0x10000, v4
	s_delay_alu instid0(VALU_DEP_2) | instskip(NEXT) | instid1(VALU_DEP_1)
	v_cmp_eq_u32_e64 s9, 0, v5
	v_cndmask_b32_e64 v4, v6, v4, s9
	scratch_store_b32 off, v4, s32 offset:548 ; 4-byte Folded Spill
.LBB468_4045:                           ;   in Loop: Header=BB468_3103 Depth=1
	s_or_b32 exec_lo, exec_lo, s22
	flat_load_b64 v[6:7], v[2:3] offset:1792
	s_mov_b32 s22, exec_lo
	s_waitcnt vmcnt(0) lgkmcnt(0)
	v_dual_mov_b32 v4, 0 :: v_dual_and_b32 v5, 0xff, v6
	s_delay_alu instid0(VALU_DEP_1)
	v_cmpx_ne_u16_e32 0, v5
	s_cbranch_execz .LBB468_4053
; %bb.4046:                             ;   in Loop: Header=BB468_3103 Depth=1
	v_bfrev_b32_e32 v4, 1
	s_mov_b32 s23, exec_lo
	v_cmpx_ne_u16_e32 0x80, v5
	s_cbranch_execz .LBB468_4052
; %bb.4047:                             ;   in Loop: Header=BB468_3103 Depth=1
	v_and_b32_e32 v5, 0x7f, v6
	v_mov_b32_e32 v4, 0x7f800001
	s_mov_b32 s24, exec_lo
	s_delay_alu instid0(VALU_DEP_2)
	v_cmpx_ne_u32_e32 0x7f, v5
	s_cbranch_execz .LBB468_4051
; %bb.4048:                             ;   in Loop: Header=BB468_3103 Depth=1
	v_lshrrev_b32_e32 v4, 3, v5
	v_dual_mov_b32 v9, v7 :: v_dual_mov_b32 v8, v6
	s_mov_b32 s25, exec_lo
	v_cmpx_gt_u32_e32 8, v5
; %bb.4049:                             ;   in Loop: Header=BB468_3103 Depth=1
	v_and_b32_e32 v4, 7, v6
	s_delay_alu instid0(VALU_DEP_1) | instskip(NEXT) | instid1(VALU_DEP_1)
	v_clz_i32_u32_e32 v4, v4
	v_min_u32_e32 v4, 32, v4
	s_delay_alu instid0(VALU_DEP_1) | instskip(SKIP_1) | instid1(VALU_DEP_2)
	v_subrev_nc_u32_e32 v5, 28, v4
	v_sub_nc_u32_e32 v4, 29, v4
	v_lshlrev_b64 v[8:9], v5, v[6:7]
; %bb.4050:                             ;   in Loop: Header=BB468_3103 Depth=1
	s_or_b32 exec_lo, exec_lo, s25
	s_delay_alu instid0(VALU_DEP_1) | instskip(SKIP_2) | instid1(VALU_DEP_3)
	v_lshlrev_b32_e32 v5, 20, v8
	v_lshlrev_b32_e32 v8, 24, v6
	v_lshl_add_u32 v4, v4, 23, 0x3c000000
	v_and_b32_e32 v5, 0x700000, v5
	s_delay_alu instid0(VALU_DEP_3) | instskip(NEXT) | instid1(VALU_DEP_1)
	v_and_b32_e32 v8, 0x80000000, v8
	v_or3_b32 v4, v5, v8, v4
.LBB468_4051:                           ;   in Loop: Header=BB468_3103 Depth=1
	s_or_b32 exec_lo, exec_lo, s24
.LBB468_4052:                           ;   in Loop: Header=BB468_3103 Depth=1
	s_delay_alu instid0(SALU_CYCLE_1)
	s_or_b32 exec_lo, exec_lo, s23
.LBB468_4053:                           ;   in Loop: Header=BB468_3103 Depth=1
	s_delay_alu instid0(SALU_CYCLE_1) | instskip(NEXT) | instid1(VALU_DEP_1)
	s_or_b32 exec_lo, exec_lo, s22
	v_mul_f32_e32 v5, v26, v4
	s_delay_alu instid0(VALU_DEP_1) | instskip(NEXT) | instid1(VALU_DEP_1)
	v_and_b32_e32 v4, 0x7f800000, v5
	v_cmp_ne_u32_e64 s9, 0x7f800000, v4
                                        ; implicit-def: $vgpr4
	s_delay_alu instid0(VALU_DEP_1) | instskip(NEXT) | instid1(SALU_CYCLE_1)
	s_and_saveexec_b32 s22, s9
	s_xor_b32 s9, exec_lo, s22
; %bb.4054:                             ;   in Loop: Header=BB468_3103 Depth=1
	v_bfe_u32 v4, v5, 16, 1
	s_delay_alu instid0(VALU_DEP_1)
	v_add3_u32 v4, v5, v4, 0x7fff
                                        ; implicit-def: $vgpr5
; %bb.4055:                             ;   in Loop: Header=BB468_3103 Depth=1
	s_and_not1_saveexec_b32 s22, s9
; %bb.4056:                             ;   in Loop: Header=BB468_3103 Depth=1
	v_and_b32_e32 v4, 0xffff, v5
	v_or_b32_e32 v8, 0x10000, v5
	s_delay_alu instid0(VALU_DEP_2) | instskip(NEXT) | instid1(VALU_DEP_1)
	v_cmp_eq_u32_e64 s9, 0, v4
	v_cndmask_b32_e64 v4, v8, v5, s9
; %bb.4057:                             ;   in Loop: Header=BB468_3103 Depth=1
	s_or_b32 exec_lo, exec_lo, s22
	v_lshrrev_b16 v8, 8, v6
	v_mov_b32_e32 v5, 0
	s_mov_b32 s22, exec_lo
	s_delay_alu instid0(VALU_DEP_2)
	v_cmpx_ne_u16_e32 0, v8
	s_cbranch_execz .LBB468_4065
; %bb.4058:                             ;   in Loop: Header=BB468_3103 Depth=1
	v_bfrev_b32_e32 v5, 1
	s_mov_b32 s23, exec_lo
	v_cmpx_ne_u16_e32 0x80, v8
	s_cbranch_execz .LBB468_4064
; %bb.4059:                             ;   in Loop: Header=BB468_3103 Depth=1
	v_and_b32_e32 v9, 0xffff, v8
	v_mov_b32_e32 v5, 0x7f800001
	s_mov_b32 s24, exec_lo
	s_delay_alu instid0(VALU_DEP_2) | instskip(NEXT) | instid1(VALU_DEP_1)
	v_and_b32_e32 v8, 0x7f, v9
	v_cmpx_ne_u32_e32 0x7f, v8
	s_cbranch_execz .LBB468_4063
; %bb.4060:                             ;   in Loop: Header=BB468_3103 Depth=1
	v_and_b32_e32 v12, 7, v9
	v_lshrrev_b32_e32 v5, 3, v8
	v_cmp_gt_u32_e64 s9, 8, v8
	s_delay_alu instid0(VALU_DEP_3) | instskip(NEXT) | instid1(VALU_DEP_2)
	v_dual_mov_b32 v8, v12 :: v_dual_mov_b32 v9, v13
	s_and_saveexec_b32 s25, s9
; %bb.4061:                             ;   in Loop: Header=BB468_3103 Depth=1
	v_clz_i32_u32_e32 v5, v12
	s_delay_alu instid0(VALU_DEP_1) | instskip(NEXT) | instid1(VALU_DEP_1)
	v_min_u32_e32 v5, 32, v5
	v_subrev_nc_u32_e32 v8, 28, v5
	v_sub_nc_u32_e32 v5, 29, v5
	s_delay_alu instid0(VALU_DEP_2) | instskip(NEXT) | instid1(VALU_DEP_1)
	v_lshlrev_b64 v[8:9], v8, v[12:13]
	v_and_b32_e32 v8, 7, v8
; %bb.4062:                             ;   in Loop: Header=BB468_3103 Depth=1
	s_or_b32 exec_lo, exec_lo, s25
	v_lshlrev_b32_e32 v9, 16, v6
	s_delay_alu instid0(VALU_DEP_2) | instskip(SKIP_1) | instid1(VALU_DEP_3)
	v_lshlrev_b32_e32 v8, 20, v8
	v_lshl_add_u32 v5, v5, 23, 0x3c000000
	v_and_b32_e32 v9, 0x80000000, v9
	s_delay_alu instid0(VALU_DEP_1)
	v_or3_b32 v5, v8, v9, v5
.LBB468_4063:                           ;   in Loop: Header=BB468_3103 Depth=1
	s_or_b32 exec_lo, exec_lo, s24
.LBB468_4064:                           ;   in Loop: Header=BB468_3103 Depth=1
	s_delay_alu instid0(SALU_CYCLE_1)
	s_or_b32 exec_lo, exec_lo, s23
.LBB468_4065:                           ;   in Loop: Header=BB468_3103 Depth=1
	s_delay_alu instid0(SALU_CYCLE_1) | instskip(NEXT) | instid1(VALU_DEP_1)
	s_or_b32 exec_lo, exec_lo, s22
	v_mul_f32_e32 v8, v26, v5
	s_delay_alu instid0(VALU_DEP_1) | instskip(NEXT) | instid1(VALU_DEP_1)
	v_and_b32_e32 v5, 0x7f800000, v8
	v_cmp_ne_u32_e64 s9, 0x7f800000, v5
                                        ; implicit-def: $vgpr5
	s_delay_alu instid0(VALU_DEP_1) | instskip(NEXT) | instid1(SALU_CYCLE_1)
	s_and_saveexec_b32 s22, s9
	s_xor_b32 s9, exec_lo, s22
; %bb.4066:                             ;   in Loop: Header=BB468_3103 Depth=1
	v_bfe_u32 v5, v8, 16, 1
	s_delay_alu instid0(VALU_DEP_1)
	v_add3_u32 v5, v8, v5, 0x7fff
                                        ; implicit-def: $vgpr8
; %bb.4067:                             ;   in Loop: Header=BB468_3103 Depth=1
	s_and_not1_saveexec_b32 s22, s9
; %bb.4068:                             ;   in Loop: Header=BB468_3103 Depth=1
	v_and_b32_e32 v5, 0xffff, v8
	v_or_b32_e32 v9, 0x10000, v8
	s_delay_alu instid0(VALU_DEP_2) | instskip(NEXT) | instid1(VALU_DEP_1)
	v_cmp_eq_u32_e64 s9, 0, v5
	v_cndmask_b32_e64 v5, v9, v8, s9
; %bb.4069:                             ;   in Loop: Header=BB468_3103 Depth=1
	s_or_b32 exec_lo, exec_lo, s22
	v_lshrrev_b32_e32 v10, 16, v6
	s_mov_b32 s22, exec_lo
	s_delay_alu instid0(VALU_DEP_1) | instskip(NEXT) | instid1(VALU_DEP_1)
	v_dual_mov_b32 v8, 0 :: v_dual_and_b32 v9, 0xff, v10
	v_cmpx_ne_u16_e32 0, v9
	s_cbranch_execz .LBB468_4077
; %bb.4070:                             ;   in Loop: Header=BB468_3103 Depth=1
	v_bfrev_b32_e32 v8, 1
	s_mov_b32 s23, exec_lo
	v_cmpx_ne_u16_e32 0x80, v9
	s_cbranch_execz .LBB468_4076
; %bb.4071:                             ;   in Loop: Header=BB468_3103 Depth=1
	v_bfe_u32 v9, v6, 16, 7
	v_mov_b32_e32 v8, 0x7f800001
	s_mov_b32 s24, exec_lo
	s_delay_alu instid0(VALU_DEP_2)
	v_cmpx_ne_u32_e32 0x7f, v9
	s_cbranch_execz .LBB468_4075
; %bb.4072:                             ;   in Loop: Header=BB468_3103 Depth=1
	v_and_b32_e32 v12, 7, v10
	v_lshrrev_b32_e32 v11, 3, v9
	v_cmp_gt_u32_e64 s9, 8, v9
	s_delay_alu instid0(VALU_DEP_3) | instskip(NEXT) | instid1(VALU_DEP_2)
	v_dual_mov_b32 v8, v12 :: v_dual_mov_b32 v9, v13
	s_and_saveexec_b32 s25, s9
; %bb.4073:                             ;   in Loop: Header=BB468_3103 Depth=1
	v_clz_i32_u32_e32 v8, v12
	s_delay_alu instid0(VALU_DEP_1) | instskip(NEXT) | instid1(VALU_DEP_1)
	v_min_u32_e32 v11, 32, v8
	v_subrev_nc_u32_e32 v8, 28, v11
	v_sub_nc_u32_e32 v11, 29, v11
	s_delay_alu instid0(VALU_DEP_2) | instskip(NEXT) | instid1(VALU_DEP_1)
	v_lshlrev_b64 v[8:9], v8, v[12:13]
	v_and_b32_e32 v8, 7, v8
; %bb.4074:                             ;   in Loop: Header=BB468_3103 Depth=1
	s_or_b32 exec_lo, exec_lo, s25
	v_lshlrev_b32_e32 v9, 24, v10
	s_delay_alu instid0(VALU_DEP_2) | instskip(SKIP_1) | instid1(VALU_DEP_3)
	v_lshlrev_b32_e32 v8, 20, v8
	v_lshl_add_u32 v10, v11, 23, 0x3c000000
	v_and_b32_e32 v9, 0x80000000, v9
	s_delay_alu instid0(VALU_DEP_1)
	v_or3_b32 v8, v8, v9, v10
.LBB468_4075:                           ;   in Loop: Header=BB468_3103 Depth=1
	s_or_b32 exec_lo, exec_lo, s24
.LBB468_4076:                           ;   in Loop: Header=BB468_3103 Depth=1
	s_delay_alu instid0(SALU_CYCLE_1)
	s_or_b32 exec_lo, exec_lo, s23
.LBB468_4077:                           ;   in Loop: Header=BB468_3103 Depth=1
	s_delay_alu instid0(SALU_CYCLE_1) | instskip(NEXT) | instid1(VALU_DEP_1)
	s_or_b32 exec_lo, exec_lo, s22
	v_mul_f32_e32 v8, v26, v8
                                        ; implicit-def: $vgpr10
	s_delay_alu instid0(VALU_DEP_1) | instskip(NEXT) | instid1(VALU_DEP_1)
	v_and_b32_e32 v9, 0x7f800000, v8
	v_cmp_ne_u32_e64 s9, 0x7f800000, v9
	s_delay_alu instid0(VALU_DEP_1) | instskip(NEXT) | instid1(SALU_CYCLE_1)
	s_and_saveexec_b32 s22, s9
	s_xor_b32 s9, exec_lo, s22
; %bb.4078:                             ;   in Loop: Header=BB468_3103 Depth=1
	v_bfe_u32 v9, v8, 16, 1
	s_delay_alu instid0(VALU_DEP_1)
	v_add3_u32 v10, v8, v9, 0x7fff
                                        ; implicit-def: $vgpr8
; %bb.4079:                             ;   in Loop: Header=BB468_3103 Depth=1
	s_and_not1_saveexec_b32 s22, s9
; %bb.4080:                             ;   in Loop: Header=BB468_3103 Depth=1
	v_and_b32_e32 v9, 0xffff, v8
	v_or_b32_e32 v10, 0x10000, v8
	s_delay_alu instid0(VALU_DEP_2) | instskip(NEXT) | instid1(VALU_DEP_1)
	v_cmp_eq_u32_e64 s9, 0, v9
	v_cndmask_b32_e64 v10, v10, v8, s9
; %bb.4081:                             ;   in Loop: Header=BB468_3103 Depth=1
	s_or_b32 exec_lo, exec_lo, s22
	v_mov_b32_e32 v8, 0
	s_mov_b32 s22, exec_lo
	v_cmpx_lt_u32_e32 0xffffff, v6
	s_cbranch_execz .LBB468_4089
; %bb.4082:                             ;   in Loop: Header=BB468_3103 Depth=1
	v_lshrrev_b32_e32 v11, 24, v6
	v_bfrev_b32_e32 v8, 1
	s_mov_b32 s23, exec_lo
	s_delay_alu instid0(VALU_DEP_2)
	v_cmpx_ne_u32_e32 0x80, v11
	s_cbranch_execz .LBB468_4088
; %bb.4083:                             ;   in Loop: Header=BB468_3103 Depth=1
	v_bfe_u32 v9, v6, 24, 7
	v_mov_b32_e32 v8, 0x7f800001
	s_mov_b32 s24, exec_lo
	s_delay_alu instid0(VALU_DEP_2)
	v_cmpx_ne_u32_e32 0x7f, v9
	s_cbranch_execz .LBB468_4087
; %bb.4084:                             ;   in Loop: Header=BB468_3103 Depth=1
	v_and_b32_e32 v12, 7, v11
	v_lshrrev_b32_e32 v17, 3, v9
	v_cmp_gt_u32_e64 s9, 8, v9
	s_delay_alu instid0(VALU_DEP_3) | instskip(NEXT) | instid1(VALU_DEP_2)
	v_dual_mov_b32 v8, v12 :: v_dual_mov_b32 v9, v13
	s_and_saveexec_b32 s25, s9
; %bb.4085:                             ;   in Loop: Header=BB468_3103 Depth=1
	v_clz_i32_u32_e32 v8, v12
	s_delay_alu instid0(VALU_DEP_1) | instskip(NEXT) | instid1(VALU_DEP_1)
	v_min_u32_e32 v17, 32, v8
	v_subrev_nc_u32_e32 v8, 28, v17
	v_sub_nc_u32_e32 v17, 29, v17
	s_delay_alu instid0(VALU_DEP_2) | instskip(NEXT) | instid1(VALU_DEP_1)
	v_lshlrev_b64 v[8:9], v8, v[12:13]
	v_and_b32_e32 v8, 7, v8
; %bb.4086:                             ;   in Loop: Header=BB468_3103 Depth=1
	s_or_b32 exec_lo, exec_lo, s25
	v_lshlrev_b32_e32 v9, 24, v11
	s_delay_alu instid0(VALU_DEP_2) | instskip(SKIP_1) | instid1(VALU_DEP_3)
	v_lshlrev_b32_e32 v8, 20, v8
	v_lshl_add_u32 v11, v17, 23, 0x3c000000
	v_and_b32_e32 v9, 0x80000000, v9
	s_delay_alu instid0(VALU_DEP_1)
	v_or3_b32 v8, v8, v9, v11
.LBB468_4087:                           ;   in Loop: Header=BB468_3103 Depth=1
	s_or_b32 exec_lo, exec_lo, s24
.LBB468_4088:                           ;   in Loop: Header=BB468_3103 Depth=1
	s_delay_alu instid0(SALU_CYCLE_1)
	s_or_b32 exec_lo, exec_lo, s23
.LBB468_4089:                           ;   in Loop: Header=BB468_3103 Depth=1
	s_delay_alu instid0(SALU_CYCLE_1) | instskip(NEXT) | instid1(VALU_DEP_1)
	s_or_b32 exec_lo, exec_lo, s22
	v_mul_f32_e32 v8, v26, v8
                                        ; implicit-def: $vgpr11
	s_delay_alu instid0(VALU_DEP_1) | instskip(NEXT) | instid1(VALU_DEP_1)
	v_and_b32_e32 v9, 0x7f800000, v8
	v_cmp_ne_u32_e64 s9, 0x7f800000, v9
	s_delay_alu instid0(VALU_DEP_1) | instskip(NEXT) | instid1(SALU_CYCLE_1)
	s_and_saveexec_b32 s22, s9
	s_xor_b32 s9, exec_lo, s22
; %bb.4090:                             ;   in Loop: Header=BB468_3103 Depth=1
	v_bfe_u32 v9, v8, 16, 1
	s_delay_alu instid0(VALU_DEP_1)
	v_add3_u32 v11, v8, v9, 0x7fff
                                        ; implicit-def: $vgpr8
; %bb.4091:                             ;   in Loop: Header=BB468_3103 Depth=1
	s_and_not1_saveexec_b32 s22, s9
; %bb.4092:                             ;   in Loop: Header=BB468_3103 Depth=1
	v_and_b32_e32 v9, 0xffff, v8
	v_or_b32_e32 v11, 0x10000, v8
	s_delay_alu instid0(VALU_DEP_2) | instskip(NEXT) | instid1(VALU_DEP_1)
	v_cmp_eq_u32_e64 s9, 0, v9
	v_cndmask_b32_e64 v11, v11, v8, s9
; %bb.4093:                             ;   in Loop: Header=BB468_3103 Depth=1
	s_or_b32 exec_lo, exec_lo, s22
	v_dual_mov_b32 v12, v7 :: v_dual_and_b32 v9, 0xff, v7
	v_mov_b32_e32 v8, 0
	s_mov_b32 s22, exec_lo
	s_delay_alu instid0(VALU_DEP_2)
	v_cmpx_ne_u16_e32 0, v9
	s_cbranch_execz .LBB468_4101
; %bb.4094:                             ;   in Loop: Header=BB468_3103 Depth=1
	v_bfrev_b32_e32 v8, 1
	s_mov_b32 s23, exec_lo
	v_cmpx_ne_u16_e32 0x80, v9
	s_cbranch_execz .LBB468_4100
; %bb.4095:                             ;   in Loop: Header=BB468_3103 Depth=1
	v_and_b32_e32 v9, 0x7f, v7
	v_mov_b32_e32 v8, 0x7f800001
	s_mov_b32 s24, exec_lo
	s_delay_alu instid0(VALU_DEP_2)
	v_cmpx_ne_u32_e32 0x7f, v9
	s_cbranch_execz .LBB468_4099
; %bb.4096:                             ;   in Loop: Header=BB468_3103 Depth=1
	v_lshrrev_b32_e32 v17, 3, v9
	v_cmp_gt_u32_e64 s9, 8, v9
	v_dual_mov_b32 v8, v12 :: v_dual_mov_b32 v9, v13
	s_delay_alu instid0(VALU_DEP_2)
	s_and_saveexec_b32 s25, s9
; %bb.4097:                             ;   in Loop: Header=BB468_3103 Depth=1
	v_and_b32_e32 v8, 7, v7
	s_delay_alu instid0(VALU_DEP_1) | instskip(NEXT) | instid1(VALU_DEP_1)
	v_clz_i32_u32_e32 v8, v8
	v_min_u32_e32 v17, 32, v8
	s_delay_alu instid0(VALU_DEP_1) | instskip(SKIP_1) | instid1(VALU_DEP_2)
	v_subrev_nc_u32_e32 v8, 28, v17
	v_sub_nc_u32_e32 v17, 29, v17
	v_lshlrev_b64 v[8:9], v8, v[12:13]
; %bb.4098:                             ;   in Loop: Header=BB468_3103 Depth=1
	s_or_b32 exec_lo, exec_lo, s25
	s_delay_alu instid0(VALU_DEP_1) | instskip(SKIP_2) | instid1(VALU_DEP_3)
	v_lshlrev_b32_e32 v8, 20, v8
	v_lshlrev_b32_e32 v9, 24, v12
	v_lshl_add_u32 v17, v17, 23, 0x3c000000
	v_and_b32_e32 v8, 0x700000, v8
	s_delay_alu instid0(VALU_DEP_3) | instskip(NEXT) | instid1(VALU_DEP_1)
	v_and_b32_e32 v9, 0x80000000, v9
	v_or3_b32 v8, v8, v9, v17
.LBB468_4099:                           ;   in Loop: Header=BB468_3103 Depth=1
	s_or_b32 exec_lo, exec_lo, s24
.LBB468_4100:                           ;   in Loop: Header=BB468_3103 Depth=1
	s_delay_alu instid0(SALU_CYCLE_1)
	s_or_b32 exec_lo, exec_lo, s23
.LBB468_4101:                           ;   in Loop: Header=BB468_3103 Depth=1
	s_delay_alu instid0(SALU_CYCLE_1) | instskip(NEXT) | instid1(VALU_DEP_1)
	s_or_b32 exec_lo, exec_lo, s22
	v_mul_f32_e32 v8, v26, v8
                                        ; implicit-def: $vgpr17
	s_delay_alu instid0(VALU_DEP_1) | instskip(NEXT) | instid1(VALU_DEP_1)
	v_and_b32_e32 v9, 0x7f800000, v8
	v_cmp_ne_u32_e64 s9, 0x7f800000, v9
	s_delay_alu instid0(VALU_DEP_1) | instskip(NEXT) | instid1(SALU_CYCLE_1)
	s_and_saveexec_b32 s22, s9
	s_xor_b32 s9, exec_lo, s22
; %bb.4102:                             ;   in Loop: Header=BB468_3103 Depth=1
	v_bfe_u32 v9, v8, 16, 1
	s_delay_alu instid0(VALU_DEP_1)
	v_add3_u32 v17, v8, v9, 0x7fff
                                        ; implicit-def: $vgpr8
; %bb.4103:                             ;   in Loop: Header=BB468_3103 Depth=1
	s_and_not1_saveexec_b32 s22, s9
; %bb.4104:                             ;   in Loop: Header=BB468_3103 Depth=1
	v_and_b32_e32 v9, 0xffff, v8
	v_or_b32_e32 v17, 0x10000, v8
	s_delay_alu instid0(VALU_DEP_2) | instskip(NEXT) | instid1(VALU_DEP_1)
	v_cmp_eq_u32_e64 s9, 0, v9
	v_cndmask_b32_e64 v17, v17, v8, s9
; %bb.4105:                             ;   in Loop: Header=BB468_3103 Depth=1
	s_or_b32 exec_lo, exec_lo, s22
	v_lshrrev_b16 v9, 8, v12
	v_mov_b32_e32 v8, 0
	s_mov_b32 s22, exec_lo
	s_delay_alu instid0(VALU_DEP_2)
	v_cmpx_ne_u16_e32 0, v9
	s_cbranch_execz .LBB468_4113
; %bb.4106:                             ;   in Loop: Header=BB468_3103 Depth=1
	v_bfrev_b32_e32 v8, 1
	s_mov_b32 s23, exec_lo
	v_cmpx_ne_u16_e32 0x80, v9
	s_cbranch_execz .LBB468_4112
; %bb.4107:                             ;   in Loop: Header=BB468_3103 Depth=1
	v_and_b32_e32 v9, 0xffff, v9
	v_mov_b32_e32 v8, 0x7f800001
	s_mov_b32 s24, exec_lo
	s_delay_alu instid0(VALU_DEP_2) | instskip(NEXT) | instid1(VALU_DEP_1)
	v_and_b32_e32 v19, 0x7f, v9
	v_cmpx_ne_u32_e32 0x7f, v19
	s_cbranch_execz .LBB468_4111
; %bb.4108:                             ;   in Loop: Header=BB468_3103 Depth=1
	v_dual_mov_b32 v9, v13 :: v_dual_and_b32 v8, 7, v9
	v_lshrrev_b32_e32 v18, 3, v19
	s_mov_b32 s25, exec_lo
	v_cmpx_gt_u32_e32 8, v19
; %bb.4109:                             ;   in Loop: Header=BB468_3103 Depth=1
	s_delay_alu instid0(VALU_DEP_3) | instskip(NEXT) | instid1(VALU_DEP_1)
	v_clz_i32_u32_e32 v18, v8
	v_min_u32_e32 v18, 32, v18
	s_delay_alu instid0(VALU_DEP_1) | instskip(SKIP_1) | instid1(VALU_DEP_2)
	v_subrev_nc_u32_e32 v19, 28, v18
	v_sub_nc_u32_e32 v18, 29, v18
	v_lshlrev_b64 v[8:9], v19, v[8:9]
	s_delay_alu instid0(VALU_DEP_1)
	v_and_b32_e32 v8, 7, v8
; %bb.4110:                             ;   in Loop: Header=BB468_3103 Depth=1
	s_or_b32 exec_lo, exec_lo, s25
	v_lshlrev_b32_e32 v9, 16, v12
	s_delay_alu instid0(VALU_DEP_2) | instskip(SKIP_1) | instid1(VALU_DEP_3)
	v_lshlrev_b32_e32 v8, 20, v8
	v_lshl_add_u32 v12, v18, 23, 0x3c000000
	v_and_b32_e32 v9, 0x80000000, v9
	s_delay_alu instid0(VALU_DEP_1)
	v_or3_b32 v8, v8, v9, v12
.LBB468_4111:                           ;   in Loop: Header=BB468_3103 Depth=1
	s_or_b32 exec_lo, exec_lo, s24
.LBB468_4112:                           ;   in Loop: Header=BB468_3103 Depth=1
	s_delay_alu instid0(SALU_CYCLE_1)
	s_or_b32 exec_lo, exec_lo, s23
.LBB468_4113:                           ;   in Loop: Header=BB468_3103 Depth=1
	s_delay_alu instid0(SALU_CYCLE_1) | instskip(NEXT) | instid1(VALU_DEP_1)
	s_or_b32 exec_lo, exec_lo, s22
	v_mul_f32_e32 v8, v26, v8
                                        ; implicit-def: $vgpr18
	s_delay_alu instid0(VALU_DEP_1) | instskip(NEXT) | instid1(VALU_DEP_1)
	v_and_b32_e32 v9, 0x7f800000, v8
	v_cmp_ne_u32_e64 s9, 0x7f800000, v9
	s_delay_alu instid0(VALU_DEP_1) | instskip(NEXT) | instid1(SALU_CYCLE_1)
	s_and_saveexec_b32 s22, s9
	s_xor_b32 s9, exec_lo, s22
; %bb.4114:                             ;   in Loop: Header=BB468_3103 Depth=1
	v_bfe_u32 v9, v8, 16, 1
	s_delay_alu instid0(VALU_DEP_1)
	v_add3_u32 v18, v8, v9, 0x7fff
                                        ; implicit-def: $vgpr8
; %bb.4115:                             ;   in Loop: Header=BB468_3103 Depth=1
	s_and_not1_saveexec_b32 s22, s9
; %bb.4116:                             ;   in Loop: Header=BB468_3103 Depth=1
	v_and_b32_e32 v9, 0xffff, v8
	v_or_b32_e32 v12, 0x10000, v8
	s_delay_alu instid0(VALU_DEP_2) | instskip(NEXT) | instid1(VALU_DEP_1)
	v_cmp_eq_u32_e64 s9, 0, v9
	v_cndmask_b32_e64 v18, v12, v8, s9
; %bb.4117:                             ;   in Loop: Header=BB468_3103 Depth=1
	s_or_b32 exec_lo, exec_lo, s22
	v_lshrrev_b32_e32 v19, 16, v7
	s_mov_b32 s22, exec_lo
	s_delay_alu instid0(VALU_DEP_1) | instskip(NEXT) | instid1(VALU_DEP_1)
	v_dual_mov_b32 v8, 0 :: v_dual_and_b32 v9, 0xff, v19
	v_cmpx_ne_u16_e32 0, v9
	s_cbranch_execz .LBB468_4125
; %bb.4118:                             ;   in Loop: Header=BB468_3103 Depth=1
	v_bfrev_b32_e32 v8, 1
	s_mov_b32 s23, exec_lo
	v_cmpx_ne_u16_e32 0x80, v9
	s_cbranch_execz .LBB468_4124
; %bb.4119:                             ;   in Loop: Header=BB468_3103 Depth=1
	v_bfe_u32 v9, v7, 16, 7
	v_mov_b32_e32 v8, 0x7f800001
	s_mov_b32 s24, exec_lo
	s_delay_alu instid0(VALU_DEP_2)
	v_cmpx_ne_u32_e32 0x7f, v9
	s_cbranch_execz .LBB468_4123
; %bb.4120:                             ;   in Loop: Header=BB468_3103 Depth=1
	v_and_b32_e32 v12, 7, v19
	v_lshrrev_b32_e32 v20, 3, v9
	v_cmp_gt_u32_e64 s9, 8, v9
	s_delay_alu instid0(VALU_DEP_3) | instskip(NEXT) | instid1(VALU_DEP_2)
	v_dual_mov_b32 v8, v12 :: v_dual_mov_b32 v9, v13
	s_and_saveexec_b32 s25, s9
; %bb.4121:                             ;   in Loop: Header=BB468_3103 Depth=1
	v_clz_i32_u32_e32 v8, v12
	s_delay_alu instid0(VALU_DEP_1) | instskip(NEXT) | instid1(VALU_DEP_1)
	v_min_u32_e32 v20, 32, v8
	v_subrev_nc_u32_e32 v8, 28, v20
	v_sub_nc_u32_e32 v20, 29, v20
	s_delay_alu instid0(VALU_DEP_2) | instskip(NEXT) | instid1(VALU_DEP_1)
	v_lshlrev_b64 v[8:9], v8, v[12:13]
	v_and_b32_e32 v8, 7, v8
; %bb.4122:                             ;   in Loop: Header=BB468_3103 Depth=1
	s_or_b32 exec_lo, exec_lo, s25
	v_lshlrev_b32_e32 v9, 24, v19
	s_delay_alu instid0(VALU_DEP_2) | instskip(SKIP_1) | instid1(VALU_DEP_3)
	v_lshlrev_b32_e32 v8, 20, v8
	v_lshl_add_u32 v12, v20, 23, 0x3c000000
	v_and_b32_e32 v9, 0x80000000, v9
	s_delay_alu instid0(VALU_DEP_1)
	v_or3_b32 v8, v8, v9, v12
.LBB468_4123:                           ;   in Loop: Header=BB468_3103 Depth=1
	s_or_b32 exec_lo, exec_lo, s24
.LBB468_4124:                           ;   in Loop: Header=BB468_3103 Depth=1
	s_delay_alu instid0(SALU_CYCLE_1)
	s_or_b32 exec_lo, exec_lo, s23
.LBB468_4125:                           ;   in Loop: Header=BB468_3103 Depth=1
	s_delay_alu instid0(SALU_CYCLE_1) | instskip(NEXT) | instid1(VALU_DEP_1)
	s_or_b32 exec_lo, exec_lo, s22
	v_mul_f32_e32 v8, v26, v8
	s_delay_alu instid0(VALU_DEP_1) | instskip(NEXT) | instid1(VALU_DEP_1)
	v_and_b32_e32 v9, 0x7f800000, v8
	v_cmp_ne_u32_e64 s9, 0x7f800000, v9
                                        ; implicit-def: $vgpr9
	s_delay_alu instid0(VALU_DEP_1) | instskip(NEXT) | instid1(SALU_CYCLE_1)
	s_and_saveexec_b32 s22, s9
	s_xor_b32 s9, exec_lo, s22
; %bb.4126:                             ;   in Loop: Header=BB468_3103 Depth=1
	v_bfe_u32 v9, v8, 16, 1
	s_delay_alu instid0(VALU_DEP_1)
	v_add3_u32 v9, v8, v9, 0x7fff
                                        ; implicit-def: $vgpr8
; %bb.4127:                             ;   in Loop: Header=BB468_3103 Depth=1
	s_and_not1_saveexec_b32 s22, s9
; %bb.4128:                             ;   in Loop: Header=BB468_3103 Depth=1
	v_and_b32_e32 v9, 0xffff, v8
	v_or_b32_e32 v12, 0x10000, v8
	s_delay_alu instid0(VALU_DEP_2) | instskip(NEXT) | instid1(VALU_DEP_1)
	v_cmp_eq_u32_e64 s9, 0, v9
	v_cndmask_b32_e64 v9, v12, v8, s9
; %bb.4129:                             ;   in Loop: Header=BB468_3103 Depth=1
	s_or_b32 exec_lo, exec_lo, s22
	v_cmp_lt_u64_e64 s9, s[12:13], v[6:7]
	v_mov_b32_e32 v6, 0
	s_delay_alu instid0(VALU_DEP_2)
	s_and_saveexec_b32 s22, s9
	s_cbranch_execz .LBB468_4137
; %bb.4130:                             ;   in Loop: Header=BB468_3103 Depth=1
	v_lshrrev_b32_e32 v8, 24, v7
	v_bfrev_b32_e32 v6, 1
	s_mov_b32 s23, exec_lo
	s_delay_alu instid0(VALU_DEP_2)
	v_cmpx_ne_u32_e32 0x80, v8
	s_cbranch_execz .LBB468_4136
; %bb.4131:                             ;   in Loop: Header=BB468_3103 Depth=1
	v_bfe_u32 v7, v7, 24, 7
	v_mov_b32_e32 v6, 0x7f800001
	s_mov_b32 s24, exec_lo
	s_delay_alu instid0(VALU_DEP_2)
	v_cmpx_ne_u32_e32 0x7f, v7
	s_cbranch_execz .LBB468_4135
; %bb.4132:                             ;   in Loop: Header=BB468_3103 Depth=1
	v_and_b32_e32 v12, 7, v8
	v_lshrrev_b32_e32 v19, 3, v7
	v_cmp_gt_u32_e64 s9, 8, v7
	s_delay_alu instid0(VALU_DEP_3) | instskip(NEXT) | instid1(VALU_DEP_2)
	v_dual_mov_b32 v6, v12 :: v_dual_mov_b32 v7, v13
	s_and_saveexec_b32 s25, s9
; %bb.4133:                             ;   in Loop: Header=BB468_3103 Depth=1
	v_clz_i32_u32_e32 v6, v12
	s_delay_alu instid0(VALU_DEP_1) | instskip(NEXT) | instid1(VALU_DEP_1)
	v_min_u32_e32 v19, 32, v6
	v_subrev_nc_u32_e32 v6, 28, v19
	v_sub_nc_u32_e32 v19, 29, v19
	s_delay_alu instid0(VALU_DEP_2) | instskip(NEXT) | instid1(VALU_DEP_1)
	v_lshlrev_b64 v[6:7], v6, v[12:13]
	v_and_b32_e32 v6, 7, v6
; %bb.4134:                             ;   in Loop: Header=BB468_3103 Depth=1
	s_or_b32 exec_lo, exec_lo, s25
	v_lshlrev_b32_e32 v7, 24, v8
	s_delay_alu instid0(VALU_DEP_2) | instskip(SKIP_1) | instid1(VALU_DEP_3)
	v_lshlrev_b32_e32 v6, 20, v6
	v_lshl_add_u32 v8, v19, 23, 0x3c000000
	v_and_b32_e32 v7, 0x80000000, v7
	s_delay_alu instid0(VALU_DEP_1)
	v_or3_b32 v6, v6, v7, v8
.LBB468_4135:                           ;   in Loop: Header=BB468_3103 Depth=1
	s_or_b32 exec_lo, exec_lo, s24
.LBB468_4136:                           ;   in Loop: Header=BB468_3103 Depth=1
	s_delay_alu instid0(SALU_CYCLE_1)
	s_or_b32 exec_lo, exec_lo, s23
.LBB468_4137:                           ;   in Loop: Header=BB468_3103 Depth=1
	s_delay_alu instid0(SALU_CYCLE_1) | instskip(NEXT) | instid1(VALU_DEP_1)
	s_or_b32 exec_lo, exec_lo, s22
	v_mul_f32_e32 v6, v26, v6
                                        ; implicit-def: $vgpr19
	s_delay_alu instid0(VALU_DEP_1) | instskip(NEXT) | instid1(VALU_DEP_1)
	v_and_b32_e32 v7, 0x7f800000, v6
	v_cmp_ne_u32_e64 s9, 0x7f800000, v7
	s_delay_alu instid0(VALU_DEP_1) | instskip(NEXT) | instid1(SALU_CYCLE_1)
	s_and_saveexec_b32 s22, s9
	s_xor_b32 s9, exec_lo, s22
; %bb.4138:                             ;   in Loop: Header=BB468_3103 Depth=1
	v_bfe_u32 v7, v6, 16, 1
	s_delay_alu instid0(VALU_DEP_1)
	v_add3_u32 v19, v6, v7, 0x7fff
                                        ; implicit-def: $vgpr6
; %bb.4139:                             ;   in Loop: Header=BB468_3103 Depth=1
	s_and_not1_saveexec_b32 s22, s9
; %bb.4140:                             ;   in Loop: Header=BB468_3103 Depth=1
	v_and_b32_e32 v7, 0xffff, v6
	v_or_b32_e32 v8, 0x10000, v6
	s_delay_alu instid0(VALU_DEP_2) | instskip(NEXT) | instid1(VALU_DEP_1)
	v_cmp_eq_u32_e64 s9, 0, v7
	v_cndmask_b32_e64 v19, v8, v6, s9
; %bb.4141:                             ;   in Loop: Header=BB468_3103 Depth=1
	s_or_b32 exec_lo, exec_lo, s22
	v_lshrrev_b32_e32 v6, 16, v18
	v_lshrrev_b32_e32 v7, 16, v17
	;; [unrolled: 1-line block ×8, first 2 shown]
	s_and_saveexec_b32 s9, s3
; %bb.4142:                             ;   in Loop: Header=BB468_3103 Depth=1
	s_delay_alu instid0(VALU_DEP_3)
	v_cndmask_b32_e32 v12, 0, v12, vcc_lo
	v_cndmask_b32_e64 v11, 0, v11, s1
	v_cndmask_b32_e64 v10, 0, v10, s2
	;; [unrolled: 1-line block ×7, first 2 shown]
; %bb.4143:                             ;   in Loop: Header=BB468_3103 Depth=1
	s_or_b32 exec_lo, exec_lo, s9
	v_lshlrev_b32_e32 v9, 16, v12
	s_delay_alu instid0(VALU_DEP_1) | instskip(NEXT) | instid1(VALU_DEP_1)
	v_mul_f32_e32 v9, v151, v9
	v_and_b32_e32 v12, 0x7f800000, v9
	s_delay_alu instid0(VALU_DEP_1) | instskip(NEXT) | instid1(VALU_DEP_1)
	v_cmp_ne_u32_e64 s9, 0x7f800000, v12
                                        ; implicit-def: $vgpr12
                                        ; kill: killed $vgpr12
	s_and_saveexec_b32 s22, s9
	s_delay_alu instid0(SALU_CYCLE_1)
	s_xor_b32 s9, exec_lo, s22
	s_cbranch_execz .LBB468_4145
; %bb.4144:                             ;   in Loop: Header=BB468_3103 Depth=1
	v_bfe_u32 v12, v9, 16, 1
	s_delay_alu instid0(VALU_DEP_1)
	v_add3_u32 v9, v9, v12, 0x7fff
	scratch_store_b32 off, v9, s32 offset:552 ; 4-byte Folded Spill
                                        ; implicit-def: $vgpr9
.LBB468_4145:                           ;   in Loop: Header=BB468_3103 Depth=1
	s_and_not1_saveexec_b32 s22, s9
	s_cbranch_execz .LBB468_4147
; %bb.4146:                             ;   in Loop: Header=BB468_3103 Depth=1
	v_and_b32_e32 v12, 0xffff, v9
	v_or_b32_e32 v17, 0x10000, v9
	s_delay_alu instid0(VALU_DEP_2) | instskip(NEXT) | instid1(VALU_DEP_1)
	v_cmp_eq_u32_e64 s9, 0, v12
	v_cndmask_b32_e64 v9, v17, v9, s9
	scratch_store_b32 off, v9, s32 offset:552 ; 4-byte Folded Spill
.LBB468_4147:                           ;   in Loop: Header=BB468_3103 Depth=1
	s_or_b32 exec_lo, exec_lo, s22
	v_lshlrev_b32_e32 v9, 16, v11
	s_delay_alu instid0(VALU_DEP_1) | instskip(NEXT) | instid1(VALU_DEP_1)
	v_mul_f32_e32 v9, v160, v9
	v_and_b32_e32 v11, 0x7f800000, v9
	s_delay_alu instid0(VALU_DEP_1) | instskip(NEXT) | instid1(VALU_DEP_1)
	v_cmp_ne_u32_e64 s9, 0x7f800000, v11
                                        ; implicit-def: $vgpr11
                                        ; kill: killed $vgpr11
	s_and_saveexec_b32 s22, s9
	s_delay_alu instid0(SALU_CYCLE_1)
	s_xor_b32 s9, exec_lo, s22
	s_cbranch_execz .LBB468_4149
; %bb.4148:                             ;   in Loop: Header=BB468_3103 Depth=1
	v_bfe_u32 v11, v9, 16, 1
	s_delay_alu instid0(VALU_DEP_1)
	v_add3_u32 v9, v9, v11, 0x7fff
	scratch_store_b32 off, v9, s32 offset:556 ; 4-byte Folded Spill
                                        ; implicit-def: $vgpr9
.LBB468_4149:                           ;   in Loop: Header=BB468_3103 Depth=1
	s_and_not1_saveexec_b32 s22, s9
	s_cbranch_execz .LBB468_4151
; %bb.4150:                             ;   in Loop: Header=BB468_3103 Depth=1
	v_and_b32_e32 v11, 0xffff, v9
	v_or_b32_e32 v12, 0x10000, v9
	s_delay_alu instid0(VALU_DEP_2) | instskip(NEXT) | instid1(VALU_DEP_1)
	v_cmp_eq_u32_e64 s9, 0, v11
	v_cndmask_b32_e64 v9, v12, v9, s9
	scratch_store_b32 off, v9, s32 offset:556 ; 4-byte Folded Spill
.LBB468_4151:                           ;   in Loop: Header=BB468_3103 Depth=1
	s_or_b32 exec_lo, exec_lo, s22
	v_lshlrev_b32_e32 v9, 16, v10
	s_delay_alu instid0(VALU_DEP_1) | instskip(NEXT) | instid1(VALU_DEP_1)
	v_mul_f32_e32 v9, v161, v9
	v_and_b32_e32 v10, 0x7f800000, v9
	s_delay_alu instid0(VALU_DEP_1) | instskip(NEXT) | instid1(VALU_DEP_1)
	v_cmp_ne_u32_e64 s9, 0x7f800000, v10
                                        ; implicit-def: $vgpr10
                                        ; kill: killed $vgpr10
	s_and_saveexec_b32 s22, s9
	s_delay_alu instid0(SALU_CYCLE_1)
	s_xor_b32 s9, exec_lo, s22
	s_cbranch_execz .LBB468_4153
; %bb.4152:                             ;   in Loop: Header=BB468_3103 Depth=1
	v_bfe_u32 v10, v9, 16, 1
	s_delay_alu instid0(VALU_DEP_1)
	v_add3_u32 v9, v9, v10, 0x7fff
	scratch_store_b32 off, v9, s32 offset:560 ; 4-byte Folded Spill
                                        ; implicit-def: $vgpr9
.LBB468_4153:                           ;   in Loop: Header=BB468_3103 Depth=1
	s_and_not1_saveexec_b32 s22, s9
	s_cbranch_execz .LBB468_4155
; %bb.4154:                             ;   in Loop: Header=BB468_3103 Depth=1
	v_and_b32_e32 v10, 0xffff, v9
	v_or_b32_e32 v11, 0x10000, v9
	s_delay_alu instid0(VALU_DEP_2) | instskip(NEXT) | instid1(VALU_DEP_1)
	v_cmp_eq_u32_e64 s9, 0, v10
	v_cndmask_b32_e64 v9, v11, v9, s9
	scratch_store_b32 off, v9, s32 offset:560 ; 4-byte Folded Spill
.LBB468_4155:                           ;   in Loop: Header=BB468_3103 Depth=1
	s_or_b32 exec_lo, exec_lo, s22
	v_lshlrev_b32_e32 v8, 16, v8
	s_delay_alu instid0(VALU_DEP_1) | instskip(NEXT) | instid1(VALU_DEP_1)
	v_mul_f32_e32 v8, v162, v8
	v_and_b32_e32 v9, 0x7f800000, v8
	s_delay_alu instid0(VALU_DEP_1) | instskip(NEXT) | instid1(VALU_DEP_1)
	v_cmp_ne_u32_e64 s9, 0x7f800000, v9
                                        ; implicit-def: $vgpr9
                                        ; kill: killed $vgpr9
	s_and_saveexec_b32 s22, s9
	s_delay_alu instid0(SALU_CYCLE_1)
	s_xor_b32 s9, exec_lo, s22
	s_cbranch_execz .LBB468_4157
; %bb.4156:                             ;   in Loop: Header=BB468_3103 Depth=1
	v_bfe_u32 v9, v8, 16, 1
	s_delay_alu instid0(VALU_DEP_1)
	v_add3_u32 v8, v8, v9, 0x7fff
	scratch_store_b32 off, v8, s32 offset:564 ; 4-byte Folded Spill
                                        ; implicit-def: $vgpr8
.LBB468_4157:                           ;   in Loop: Header=BB468_3103 Depth=1
	s_and_not1_saveexec_b32 s22, s9
	s_cbranch_execz .LBB468_4159
; %bb.4158:                             ;   in Loop: Header=BB468_3103 Depth=1
	v_and_b32_e32 v9, 0xffff, v8
	v_or_b32_e32 v10, 0x10000, v8
	s_delay_alu instid0(VALU_DEP_2) | instskip(NEXT) | instid1(VALU_DEP_1)
	v_cmp_eq_u32_e64 s9, 0, v9
	v_cndmask_b32_e64 v8, v10, v8, s9
	scratch_store_b32 off, v8, s32 offset:564 ; 4-byte Folded Spill
.LBB468_4159:                           ;   in Loop: Header=BB468_3103 Depth=1
	s_or_b32 exec_lo, exec_lo, s22
	v_lshlrev_b32_e32 v7, 16, v7
	s_delay_alu instid0(VALU_DEP_1) | instskip(NEXT) | instid1(VALU_DEP_1)
	v_mul_f32_e32 v7, v163, v7
	v_and_b32_e32 v8, 0x7f800000, v7
	s_delay_alu instid0(VALU_DEP_1) | instskip(NEXT) | instid1(VALU_DEP_1)
	v_cmp_ne_u32_e64 s9, 0x7f800000, v8
                                        ; implicit-def: $vgpr8
                                        ; kill: killed $vgpr8
	s_and_saveexec_b32 s22, s9
	s_delay_alu instid0(SALU_CYCLE_1)
	s_xor_b32 s9, exec_lo, s22
	s_cbranch_execz .LBB468_4161
; %bb.4160:                             ;   in Loop: Header=BB468_3103 Depth=1
	v_bfe_u32 v8, v7, 16, 1
	s_delay_alu instid0(VALU_DEP_1)
	v_add3_u32 v7, v7, v8, 0x7fff
	scratch_store_b32 off, v7, s32 offset:568 ; 4-byte Folded Spill
                                        ; implicit-def: $vgpr7
.LBB468_4161:                           ;   in Loop: Header=BB468_3103 Depth=1
	s_and_not1_saveexec_b32 s22, s9
	s_cbranch_execz .LBB468_4163
; %bb.4162:                             ;   in Loop: Header=BB468_3103 Depth=1
	v_and_b32_e32 v8, 0xffff, v7
	v_or_b32_e32 v9, 0x10000, v7
	s_delay_alu instid0(VALU_DEP_2) | instskip(NEXT) | instid1(VALU_DEP_1)
	v_cmp_eq_u32_e64 s9, 0, v8
	v_cndmask_b32_e64 v7, v9, v7, s9
	scratch_store_b32 off, v7, s32 offset:568 ; 4-byte Folded Spill
.LBB468_4163:                           ;   in Loop: Header=BB468_3103 Depth=1
	s_or_b32 exec_lo, exec_lo, s22
	v_lshlrev_b32_e32 v6, 16, v6
	s_delay_alu instid0(VALU_DEP_1) | instskip(NEXT) | instid1(VALU_DEP_1)
	v_mul_f32_e32 v6, v164, v6
	v_and_b32_e32 v7, 0x7f800000, v6
	s_delay_alu instid0(VALU_DEP_1) | instskip(NEXT) | instid1(VALU_DEP_1)
	v_cmp_ne_u32_e64 s9, 0x7f800000, v7
                                        ; implicit-def: $vgpr7
                                        ; kill: killed $vgpr7
	s_and_saveexec_b32 s22, s9
	s_delay_alu instid0(SALU_CYCLE_1)
	s_xor_b32 s9, exec_lo, s22
	s_cbranch_execz .LBB468_4165
; %bb.4164:                             ;   in Loop: Header=BB468_3103 Depth=1
	v_bfe_u32 v7, v6, 16, 1
	s_delay_alu instid0(VALU_DEP_1)
	v_add3_u32 v6, v6, v7, 0x7fff
	scratch_store_b32 off, v6, s32 offset:572 ; 4-byte Folded Spill
                                        ; implicit-def: $vgpr6
.LBB468_4165:                           ;   in Loop: Header=BB468_3103 Depth=1
	s_and_not1_saveexec_b32 s22, s9
	s_cbranch_execz .LBB468_4167
; %bb.4166:                             ;   in Loop: Header=BB468_3103 Depth=1
	v_and_b32_e32 v7, 0xffff, v6
	v_or_b32_e32 v8, 0x10000, v6
	s_delay_alu instid0(VALU_DEP_2) | instskip(NEXT) | instid1(VALU_DEP_1)
	v_cmp_eq_u32_e64 s9, 0, v7
	v_cndmask_b32_e64 v6, v8, v6, s9
	scratch_store_b32 off, v6, s32 offset:572 ; 4-byte Folded Spill
.LBB468_4167:                           ;   in Loop: Header=BB468_3103 Depth=1
	s_or_b32 exec_lo, exec_lo, s22
	v_lshlrev_b32_e32 v5, 16, v5
	s_delay_alu instid0(VALU_DEP_1) | instskip(NEXT) | instid1(VALU_DEP_1)
	v_mul_f32_e32 v5, v165, v5
	v_and_b32_e32 v6, 0x7f800000, v5
	s_delay_alu instid0(VALU_DEP_1) | instskip(NEXT) | instid1(VALU_DEP_1)
	v_cmp_ne_u32_e64 s9, 0x7f800000, v6
                                        ; implicit-def: $vgpr6
                                        ; kill: killed $vgpr6
	s_and_saveexec_b32 s22, s9
	s_delay_alu instid0(SALU_CYCLE_1)
	s_xor_b32 s9, exec_lo, s22
	s_cbranch_execz .LBB468_4169
; %bb.4168:                             ;   in Loop: Header=BB468_3103 Depth=1
	v_bfe_u32 v6, v5, 16, 1
	s_delay_alu instid0(VALU_DEP_1)
	v_add3_u32 v5, v5, v6, 0x7fff
	scratch_store_b32 off, v5, s32 offset:576 ; 4-byte Folded Spill
                                        ; implicit-def: $vgpr5
.LBB468_4169:                           ;   in Loop: Header=BB468_3103 Depth=1
	s_and_not1_saveexec_b32 s22, s9
	s_cbranch_execz .LBB468_4171
; %bb.4170:                             ;   in Loop: Header=BB468_3103 Depth=1
	v_and_b32_e32 v6, 0xffff, v5
	v_or_b32_e32 v7, 0x10000, v5
	s_delay_alu instid0(VALU_DEP_2) | instskip(NEXT) | instid1(VALU_DEP_1)
	v_cmp_eq_u32_e64 s9, 0, v6
	v_cndmask_b32_e64 v5, v7, v5, s9
	scratch_store_b32 off, v5, s32 offset:576 ; 4-byte Folded Spill
.LBB468_4171:                           ;   in Loop: Header=BB468_3103 Depth=1
	s_or_b32 exec_lo, exec_lo, s22
	v_lshlrev_b32_e32 v4, 16, v4
	s_delay_alu instid0(VALU_DEP_1) | instskip(NEXT) | instid1(VALU_DEP_1)
	v_mul_f32_e32 v4, v166, v4
	v_and_b32_e32 v5, 0x7f800000, v4
	s_delay_alu instid0(VALU_DEP_1) | instskip(NEXT) | instid1(VALU_DEP_1)
	v_cmp_ne_u32_e64 s9, 0x7f800000, v5
                                        ; implicit-def: $vgpr5
                                        ; kill: killed $vgpr5
	s_and_saveexec_b32 s22, s9
	s_delay_alu instid0(SALU_CYCLE_1)
	s_xor_b32 s9, exec_lo, s22
	s_cbranch_execz .LBB468_4173
; %bb.4172:                             ;   in Loop: Header=BB468_3103 Depth=1
	v_bfe_u32 v5, v4, 16, 1
	s_delay_alu instid0(VALU_DEP_1)
	v_add3_u32 v4, v4, v5, 0x7fff
	scratch_store_b32 off, v4, s32 offset:580 ; 4-byte Folded Spill
                                        ; implicit-def: $vgpr4
.LBB468_4173:                           ;   in Loop: Header=BB468_3103 Depth=1
	s_and_not1_saveexec_b32 s22, s9
	s_cbranch_execz .LBB468_4175
; %bb.4174:                             ;   in Loop: Header=BB468_3103 Depth=1
	v_and_b32_e32 v5, 0xffff, v4
	v_or_b32_e32 v6, 0x10000, v4
	s_delay_alu instid0(VALU_DEP_2) | instskip(NEXT) | instid1(VALU_DEP_1)
	v_cmp_eq_u32_e64 s9, 0, v5
	v_cndmask_b32_e64 v4, v6, v4, s9
	scratch_store_b32 off, v4, s32 offset:580 ; 4-byte Folded Spill
.LBB468_4175:                           ;   in Loop: Header=BB468_3103 Depth=1
	s_or_b32 exec_lo, exec_lo, s22
	flat_load_b64 v[6:7], v[2:3] offset:2048
	s_mov_b32 s22, exec_lo
	s_waitcnt vmcnt(0) lgkmcnt(0)
	v_dual_mov_b32 v4, 0 :: v_dual_and_b32 v5, 0xff, v6
	s_delay_alu instid0(VALU_DEP_1)
	v_cmpx_ne_u16_e32 0, v5
	s_cbranch_execz .LBB468_4183
; %bb.4176:                             ;   in Loop: Header=BB468_3103 Depth=1
	v_bfrev_b32_e32 v4, 1
	s_mov_b32 s23, exec_lo
	v_cmpx_ne_u16_e32 0x80, v5
	s_cbranch_execz .LBB468_4182
; %bb.4177:                             ;   in Loop: Header=BB468_3103 Depth=1
	v_and_b32_e32 v5, 0x7f, v6
	v_mov_b32_e32 v4, 0x7f800001
	s_mov_b32 s24, exec_lo
	s_delay_alu instid0(VALU_DEP_2)
	v_cmpx_ne_u32_e32 0x7f, v5
	s_cbranch_execz .LBB468_4181
; %bb.4178:                             ;   in Loop: Header=BB468_3103 Depth=1
	v_lshrrev_b32_e32 v4, 3, v5
	v_dual_mov_b32 v9, v7 :: v_dual_mov_b32 v8, v6
	s_mov_b32 s25, exec_lo
	v_cmpx_gt_u32_e32 8, v5
; %bb.4179:                             ;   in Loop: Header=BB468_3103 Depth=1
	v_and_b32_e32 v4, 7, v6
	s_delay_alu instid0(VALU_DEP_1) | instskip(NEXT) | instid1(VALU_DEP_1)
	v_clz_i32_u32_e32 v4, v4
	v_min_u32_e32 v4, 32, v4
	s_delay_alu instid0(VALU_DEP_1) | instskip(SKIP_1) | instid1(VALU_DEP_2)
	v_subrev_nc_u32_e32 v5, 28, v4
	v_sub_nc_u32_e32 v4, 29, v4
	v_lshlrev_b64 v[8:9], v5, v[6:7]
; %bb.4180:                             ;   in Loop: Header=BB468_3103 Depth=1
	s_or_b32 exec_lo, exec_lo, s25
	s_delay_alu instid0(VALU_DEP_1) | instskip(SKIP_2) | instid1(VALU_DEP_3)
	v_lshlrev_b32_e32 v5, 20, v8
	v_lshlrev_b32_e32 v8, 24, v6
	v_lshl_add_u32 v4, v4, 23, 0x3c000000
	v_and_b32_e32 v5, 0x700000, v5
	s_delay_alu instid0(VALU_DEP_3) | instskip(NEXT) | instid1(VALU_DEP_1)
	v_and_b32_e32 v8, 0x80000000, v8
	v_or3_b32 v4, v5, v8, v4
.LBB468_4181:                           ;   in Loop: Header=BB468_3103 Depth=1
	s_or_b32 exec_lo, exec_lo, s24
.LBB468_4182:                           ;   in Loop: Header=BB468_3103 Depth=1
	s_delay_alu instid0(SALU_CYCLE_1)
	s_or_b32 exec_lo, exec_lo, s23
.LBB468_4183:                           ;   in Loop: Header=BB468_3103 Depth=1
	s_delay_alu instid0(SALU_CYCLE_1) | instskip(NEXT) | instid1(VALU_DEP_1)
	s_or_b32 exec_lo, exec_lo, s22
	v_mul_f32_e32 v5, v26, v4
	s_delay_alu instid0(VALU_DEP_1) | instskip(NEXT) | instid1(VALU_DEP_1)
	v_and_b32_e32 v4, 0x7f800000, v5
	v_cmp_ne_u32_e64 s9, 0x7f800000, v4
                                        ; implicit-def: $vgpr4
	s_delay_alu instid0(VALU_DEP_1) | instskip(NEXT) | instid1(SALU_CYCLE_1)
	s_and_saveexec_b32 s22, s9
	s_xor_b32 s9, exec_lo, s22
; %bb.4184:                             ;   in Loop: Header=BB468_3103 Depth=1
	v_bfe_u32 v4, v5, 16, 1
	s_delay_alu instid0(VALU_DEP_1)
	v_add3_u32 v4, v5, v4, 0x7fff
                                        ; implicit-def: $vgpr5
; %bb.4185:                             ;   in Loop: Header=BB468_3103 Depth=1
	s_and_not1_saveexec_b32 s22, s9
; %bb.4186:                             ;   in Loop: Header=BB468_3103 Depth=1
	v_and_b32_e32 v4, 0xffff, v5
	v_or_b32_e32 v8, 0x10000, v5
	s_delay_alu instid0(VALU_DEP_2) | instskip(NEXT) | instid1(VALU_DEP_1)
	v_cmp_eq_u32_e64 s9, 0, v4
	v_cndmask_b32_e64 v4, v8, v5, s9
; %bb.4187:                             ;   in Loop: Header=BB468_3103 Depth=1
	s_or_b32 exec_lo, exec_lo, s22
	v_lshrrev_b16 v8, 8, v6
	v_mov_b32_e32 v5, 0
	s_mov_b32 s22, exec_lo
	s_delay_alu instid0(VALU_DEP_2)
	v_cmpx_ne_u16_e32 0, v8
	s_cbranch_execz .LBB468_4195
; %bb.4188:                             ;   in Loop: Header=BB468_3103 Depth=1
	v_bfrev_b32_e32 v5, 1
	s_mov_b32 s23, exec_lo
	v_cmpx_ne_u16_e32 0x80, v8
	s_cbranch_execz .LBB468_4194
; %bb.4189:                             ;   in Loop: Header=BB468_3103 Depth=1
	v_and_b32_e32 v9, 0xffff, v8
	v_mov_b32_e32 v5, 0x7f800001
	s_mov_b32 s24, exec_lo
	s_delay_alu instid0(VALU_DEP_2) | instskip(NEXT) | instid1(VALU_DEP_1)
	v_and_b32_e32 v8, 0x7f, v9
	v_cmpx_ne_u32_e32 0x7f, v8
	s_cbranch_execz .LBB468_4193
; %bb.4190:                             ;   in Loop: Header=BB468_3103 Depth=1
	v_and_b32_e32 v12, 7, v9
	v_lshrrev_b32_e32 v5, 3, v8
	v_cmp_gt_u32_e64 s9, 8, v8
	s_delay_alu instid0(VALU_DEP_3) | instskip(NEXT) | instid1(VALU_DEP_2)
	v_dual_mov_b32 v8, v12 :: v_dual_mov_b32 v9, v13
	s_and_saveexec_b32 s25, s9
; %bb.4191:                             ;   in Loop: Header=BB468_3103 Depth=1
	v_clz_i32_u32_e32 v5, v12
	s_delay_alu instid0(VALU_DEP_1) | instskip(NEXT) | instid1(VALU_DEP_1)
	v_min_u32_e32 v5, 32, v5
	v_subrev_nc_u32_e32 v8, 28, v5
	v_sub_nc_u32_e32 v5, 29, v5
	s_delay_alu instid0(VALU_DEP_2) | instskip(NEXT) | instid1(VALU_DEP_1)
	v_lshlrev_b64 v[8:9], v8, v[12:13]
	v_and_b32_e32 v8, 7, v8
; %bb.4192:                             ;   in Loop: Header=BB468_3103 Depth=1
	s_or_b32 exec_lo, exec_lo, s25
	v_lshlrev_b32_e32 v9, 16, v6
	s_delay_alu instid0(VALU_DEP_2) | instskip(SKIP_1) | instid1(VALU_DEP_3)
	v_lshlrev_b32_e32 v8, 20, v8
	v_lshl_add_u32 v5, v5, 23, 0x3c000000
	v_and_b32_e32 v9, 0x80000000, v9
	s_delay_alu instid0(VALU_DEP_1)
	v_or3_b32 v5, v8, v9, v5
.LBB468_4193:                           ;   in Loop: Header=BB468_3103 Depth=1
	s_or_b32 exec_lo, exec_lo, s24
.LBB468_4194:                           ;   in Loop: Header=BB468_3103 Depth=1
	s_delay_alu instid0(SALU_CYCLE_1)
	s_or_b32 exec_lo, exec_lo, s23
.LBB468_4195:                           ;   in Loop: Header=BB468_3103 Depth=1
	s_delay_alu instid0(SALU_CYCLE_1) | instskip(NEXT) | instid1(VALU_DEP_1)
	s_or_b32 exec_lo, exec_lo, s22
	v_mul_f32_e32 v8, v26, v5
	s_delay_alu instid0(VALU_DEP_1) | instskip(NEXT) | instid1(VALU_DEP_1)
	v_and_b32_e32 v5, 0x7f800000, v8
	v_cmp_ne_u32_e64 s9, 0x7f800000, v5
                                        ; implicit-def: $vgpr5
	s_delay_alu instid0(VALU_DEP_1) | instskip(NEXT) | instid1(SALU_CYCLE_1)
	s_and_saveexec_b32 s22, s9
	s_xor_b32 s9, exec_lo, s22
; %bb.4196:                             ;   in Loop: Header=BB468_3103 Depth=1
	v_bfe_u32 v5, v8, 16, 1
	s_delay_alu instid0(VALU_DEP_1)
	v_add3_u32 v5, v8, v5, 0x7fff
                                        ; implicit-def: $vgpr8
; %bb.4197:                             ;   in Loop: Header=BB468_3103 Depth=1
	s_and_not1_saveexec_b32 s22, s9
; %bb.4198:                             ;   in Loop: Header=BB468_3103 Depth=1
	v_and_b32_e32 v5, 0xffff, v8
	v_or_b32_e32 v9, 0x10000, v8
	s_delay_alu instid0(VALU_DEP_2) | instskip(NEXT) | instid1(VALU_DEP_1)
	v_cmp_eq_u32_e64 s9, 0, v5
	v_cndmask_b32_e64 v5, v9, v8, s9
; %bb.4199:                             ;   in Loop: Header=BB468_3103 Depth=1
	s_or_b32 exec_lo, exec_lo, s22
	v_lshrrev_b32_e32 v10, 16, v6
	s_mov_b32 s22, exec_lo
	s_delay_alu instid0(VALU_DEP_1) | instskip(NEXT) | instid1(VALU_DEP_1)
	v_dual_mov_b32 v8, 0 :: v_dual_and_b32 v9, 0xff, v10
	v_cmpx_ne_u16_e32 0, v9
	s_cbranch_execz .LBB468_4207
; %bb.4200:                             ;   in Loop: Header=BB468_3103 Depth=1
	v_bfrev_b32_e32 v8, 1
	s_mov_b32 s23, exec_lo
	v_cmpx_ne_u16_e32 0x80, v9
	s_cbranch_execz .LBB468_4206
; %bb.4201:                             ;   in Loop: Header=BB468_3103 Depth=1
	v_bfe_u32 v9, v6, 16, 7
	v_mov_b32_e32 v8, 0x7f800001
	s_mov_b32 s24, exec_lo
	s_delay_alu instid0(VALU_DEP_2)
	v_cmpx_ne_u32_e32 0x7f, v9
	s_cbranch_execz .LBB468_4205
; %bb.4202:                             ;   in Loop: Header=BB468_3103 Depth=1
	v_and_b32_e32 v12, 7, v10
	v_lshrrev_b32_e32 v11, 3, v9
	v_cmp_gt_u32_e64 s9, 8, v9
	s_delay_alu instid0(VALU_DEP_3) | instskip(NEXT) | instid1(VALU_DEP_2)
	v_dual_mov_b32 v8, v12 :: v_dual_mov_b32 v9, v13
	s_and_saveexec_b32 s25, s9
; %bb.4203:                             ;   in Loop: Header=BB468_3103 Depth=1
	v_clz_i32_u32_e32 v8, v12
	s_delay_alu instid0(VALU_DEP_1) | instskip(NEXT) | instid1(VALU_DEP_1)
	v_min_u32_e32 v11, 32, v8
	v_subrev_nc_u32_e32 v8, 28, v11
	v_sub_nc_u32_e32 v11, 29, v11
	s_delay_alu instid0(VALU_DEP_2) | instskip(NEXT) | instid1(VALU_DEP_1)
	v_lshlrev_b64 v[8:9], v8, v[12:13]
	v_and_b32_e32 v8, 7, v8
; %bb.4204:                             ;   in Loop: Header=BB468_3103 Depth=1
	s_or_b32 exec_lo, exec_lo, s25
	v_lshlrev_b32_e32 v9, 24, v10
	s_delay_alu instid0(VALU_DEP_2) | instskip(SKIP_1) | instid1(VALU_DEP_3)
	v_lshlrev_b32_e32 v8, 20, v8
	v_lshl_add_u32 v10, v11, 23, 0x3c000000
	v_and_b32_e32 v9, 0x80000000, v9
	s_delay_alu instid0(VALU_DEP_1)
	v_or3_b32 v8, v8, v9, v10
.LBB468_4205:                           ;   in Loop: Header=BB468_3103 Depth=1
	s_or_b32 exec_lo, exec_lo, s24
.LBB468_4206:                           ;   in Loop: Header=BB468_3103 Depth=1
	s_delay_alu instid0(SALU_CYCLE_1)
	s_or_b32 exec_lo, exec_lo, s23
.LBB468_4207:                           ;   in Loop: Header=BB468_3103 Depth=1
	s_delay_alu instid0(SALU_CYCLE_1) | instskip(NEXT) | instid1(VALU_DEP_1)
	s_or_b32 exec_lo, exec_lo, s22
	v_mul_f32_e32 v8, v26, v8
                                        ; implicit-def: $vgpr10
	s_delay_alu instid0(VALU_DEP_1) | instskip(NEXT) | instid1(VALU_DEP_1)
	v_and_b32_e32 v9, 0x7f800000, v8
	v_cmp_ne_u32_e64 s9, 0x7f800000, v9
	s_delay_alu instid0(VALU_DEP_1) | instskip(NEXT) | instid1(SALU_CYCLE_1)
	s_and_saveexec_b32 s22, s9
	s_xor_b32 s9, exec_lo, s22
; %bb.4208:                             ;   in Loop: Header=BB468_3103 Depth=1
	v_bfe_u32 v9, v8, 16, 1
	s_delay_alu instid0(VALU_DEP_1)
	v_add3_u32 v10, v8, v9, 0x7fff
                                        ; implicit-def: $vgpr8
; %bb.4209:                             ;   in Loop: Header=BB468_3103 Depth=1
	s_and_not1_saveexec_b32 s22, s9
; %bb.4210:                             ;   in Loop: Header=BB468_3103 Depth=1
	v_and_b32_e32 v9, 0xffff, v8
	v_or_b32_e32 v10, 0x10000, v8
	s_delay_alu instid0(VALU_DEP_2) | instskip(NEXT) | instid1(VALU_DEP_1)
	v_cmp_eq_u32_e64 s9, 0, v9
	v_cndmask_b32_e64 v10, v10, v8, s9
; %bb.4211:                             ;   in Loop: Header=BB468_3103 Depth=1
	s_or_b32 exec_lo, exec_lo, s22
	v_mov_b32_e32 v8, 0
	s_mov_b32 s22, exec_lo
	v_cmpx_lt_u32_e32 0xffffff, v6
	s_cbranch_execz .LBB468_4219
; %bb.4212:                             ;   in Loop: Header=BB468_3103 Depth=1
	v_lshrrev_b32_e32 v11, 24, v6
	v_bfrev_b32_e32 v8, 1
	s_mov_b32 s23, exec_lo
	s_delay_alu instid0(VALU_DEP_2)
	v_cmpx_ne_u32_e32 0x80, v11
	s_cbranch_execz .LBB468_4218
; %bb.4213:                             ;   in Loop: Header=BB468_3103 Depth=1
	v_bfe_u32 v9, v6, 24, 7
	v_mov_b32_e32 v8, 0x7f800001
	s_mov_b32 s24, exec_lo
	s_delay_alu instid0(VALU_DEP_2)
	v_cmpx_ne_u32_e32 0x7f, v9
	s_cbranch_execz .LBB468_4217
; %bb.4214:                             ;   in Loop: Header=BB468_3103 Depth=1
	v_and_b32_e32 v12, 7, v11
	v_lshrrev_b32_e32 v17, 3, v9
	v_cmp_gt_u32_e64 s9, 8, v9
	s_delay_alu instid0(VALU_DEP_3) | instskip(NEXT) | instid1(VALU_DEP_2)
	v_dual_mov_b32 v8, v12 :: v_dual_mov_b32 v9, v13
	s_and_saveexec_b32 s25, s9
; %bb.4215:                             ;   in Loop: Header=BB468_3103 Depth=1
	v_clz_i32_u32_e32 v8, v12
	s_delay_alu instid0(VALU_DEP_1) | instskip(NEXT) | instid1(VALU_DEP_1)
	v_min_u32_e32 v17, 32, v8
	v_subrev_nc_u32_e32 v8, 28, v17
	v_sub_nc_u32_e32 v17, 29, v17
	s_delay_alu instid0(VALU_DEP_2) | instskip(NEXT) | instid1(VALU_DEP_1)
	v_lshlrev_b64 v[8:9], v8, v[12:13]
	v_and_b32_e32 v8, 7, v8
; %bb.4216:                             ;   in Loop: Header=BB468_3103 Depth=1
	s_or_b32 exec_lo, exec_lo, s25
	v_lshlrev_b32_e32 v9, 24, v11
	s_delay_alu instid0(VALU_DEP_2) | instskip(SKIP_1) | instid1(VALU_DEP_3)
	v_lshlrev_b32_e32 v8, 20, v8
	v_lshl_add_u32 v11, v17, 23, 0x3c000000
	v_and_b32_e32 v9, 0x80000000, v9
	s_delay_alu instid0(VALU_DEP_1)
	v_or3_b32 v8, v8, v9, v11
.LBB468_4217:                           ;   in Loop: Header=BB468_3103 Depth=1
	s_or_b32 exec_lo, exec_lo, s24
.LBB468_4218:                           ;   in Loop: Header=BB468_3103 Depth=1
	s_delay_alu instid0(SALU_CYCLE_1)
	s_or_b32 exec_lo, exec_lo, s23
.LBB468_4219:                           ;   in Loop: Header=BB468_3103 Depth=1
	s_delay_alu instid0(SALU_CYCLE_1) | instskip(NEXT) | instid1(VALU_DEP_1)
	s_or_b32 exec_lo, exec_lo, s22
	v_mul_f32_e32 v8, v26, v8
                                        ; implicit-def: $vgpr11
	s_delay_alu instid0(VALU_DEP_1) | instskip(NEXT) | instid1(VALU_DEP_1)
	v_and_b32_e32 v9, 0x7f800000, v8
	v_cmp_ne_u32_e64 s9, 0x7f800000, v9
	s_delay_alu instid0(VALU_DEP_1) | instskip(NEXT) | instid1(SALU_CYCLE_1)
	s_and_saveexec_b32 s22, s9
	s_xor_b32 s9, exec_lo, s22
; %bb.4220:                             ;   in Loop: Header=BB468_3103 Depth=1
	v_bfe_u32 v9, v8, 16, 1
	s_delay_alu instid0(VALU_DEP_1)
	v_add3_u32 v11, v8, v9, 0x7fff
                                        ; implicit-def: $vgpr8
; %bb.4221:                             ;   in Loop: Header=BB468_3103 Depth=1
	s_and_not1_saveexec_b32 s22, s9
; %bb.4222:                             ;   in Loop: Header=BB468_3103 Depth=1
	v_and_b32_e32 v9, 0xffff, v8
	v_or_b32_e32 v11, 0x10000, v8
	s_delay_alu instid0(VALU_DEP_2) | instskip(NEXT) | instid1(VALU_DEP_1)
	v_cmp_eq_u32_e64 s9, 0, v9
	v_cndmask_b32_e64 v11, v11, v8, s9
; %bb.4223:                             ;   in Loop: Header=BB468_3103 Depth=1
	s_or_b32 exec_lo, exec_lo, s22
	v_dual_mov_b32 v12, v7 :: v_dual_and_b32 v9, 0xff, v7
	v_mov_b32_e32 v8, 0
	s_mov_b32 s22, exec_lo
	s_delay_alu instid0(VALU_DEP_2)
	v_cmpx_ne_u16_e32 0, v9
	s_cbranch_execz .LBB468_4231
; %bb.4224:                             ;   in Loop: Header=BB468_3103 Depth=1
	v_bfrev_b32_e32 v8, 1
	s_mov_b32 s23, exec_lo
	v_cmpx_ne_u16_e32 0x80, v9
	s_cbranch_execz .LBB468_4230
; %bb.4225:                             ;   in Loop: Header=BB468_3103 Depth=1
	v_and_b32_e32 v9, 0x7f, v7
	v_mov_b32_e32 v8, 0x7f800001
	s_mov_b32 s24, exec_lo
	s_delay_alu instid0(VALU_DEP_2)
	v_cmpx_ne_u32_e32 0x7f, v9
	s_cbranch_execz .LBB468_4229
; %bb.4226:                             ;   in Loop: Header=BB468_3103 Depth=1
	v_lshrrev_b32_e32 v17, 3, v9
	v_cmp_gt_u32_e64 s9, 8, v9
	v_dual_mov_b32 v8, v12 :: v_dual_mov_b32 v9, v13
	s_delay_alu instid0(VALU_DEP_2)
	s_and_saveexec_b32 s25, s9
; %bb.4227:                             ;   in Loop: Header=BB468_3103 Depth=1
	v_and_b32_e32 v8, 7, v7
	s_delay_alu instid0(VALU_DEP_1) | instskip(NEXT) | instid1(VALU_DEP_1)
	v_clz_i32_u32_e32 v8, v8
	v_min_u32_e32 v17, 32, v8
	s_delay_alu instid0(VALU_DEP_1) | instskip(SKIP_1) | instid1(VALU_DEP_2)
	v_subrev_nc_u32_e32 v8, 28, v17
	v_sub_nc_u32_e32 v17, 29, v17
	v_lshlrev_b64 v[8:9], v8, v[12:13]
; %bb.4228:                             ;   in Loop: Header=BB468_3103 Depth=1
	s_or_b32 exec_lo, exec_lo, s25
	s_delay_alu instid0(VALU_DEP_1) | instskip(SKIP_2) | instid1(VALU_DEP_3)
	v_lshlrev_b32_e32 v8, 20, v8
	v_lshlrev_b32_e32 v9, 24, v12
	v_lshl_add_u32 v17, v17, 23, 0x3c000000
	v_and_b32_e32 v8, 0x700000, v8
	s_delay_alu instid0(VALU_DEP_3) | instskip(NEXT) | instid1(VALU_DEP_1)
	v_and_b32_e32 v9, 0x80000000, v9
	v_or3_b32 v8, v8, v9, v17
.LBB468_4229:                           ;   in Loop: Header=BB468_3103 Depth=1
	s_or_b32 exec_lo, exec_lo, s24
.LBB468_4230:                           ;   in Loop: Header=BB468_3103 Depth=1
	s_delay_alu instid0(SALU_CYCLE_1)
	s_or_b32 exec_lo, exec_lo, s23
.LBB468_4231:                           ;   in Loop: Header=BB468_3103 Depth=1
	s_delay_alu instid0(SALU_CYCLE_1) | instskip(NEXT) | instid1(VALU_DEP_1)
	s_or_b32 exec_lo, exec_lo, s22
	v_mul_f32_e32 v8, v26, v8
                                        ; implicit-def: $vgpr17
	s_delay_alu instid0(VALU_DEP_1) | instskip(NEXT) | instid1(VALU_DEP_1)
	v_and_b32_e32 v9, 0x7f800000, v8
	v_cmp_ne_u32_e64 s9, 0x7f800000, v9
	s_delay_alu instid0(VALU_DEP_1) | instskip(NEXT) | instid1(SALU_CYCLE_1)
	s_and_saveexec_b32 s22, s9
	s_xor_b32 s9, exec_lo, s22
; %bb.4232:                             ;   in Loop: Header=BB468_3103 Depth=1
	v_bfe_u32 v9, v8, 16, 1
	s_delay_alu instid0(VALU_DEP_1)
	v_add3_u32 v17, v8, v9, 0x7fff
                                        ; implicit-def: $vgpr8
; %bb.4233:                             ;   in Loop: Header=BB468_3103 Depth=1
	s_and_not1_saveexec_b32 s22, s9
; %bb.4234:                             ;   in Loop: Header=BB468_3103 Depth=1
	v_and_b32_e32 v9, 0xffff, v8
	v_or_b32_e32 v17, 0x10000, v8
	s_delay_alu instid0(VALU_DEP_2) | instskip(NEXT) | instid1(VALU_DEP_1)
	v_cmp_eq_u32_e64 s9, 0, v9
	v_cndmask_b32_e64 v17, v17, v8, s9
; %bb.4235:                             ;   in Loop: Header=BB468_3103 Depth=1
	s_or_b32 exec_lo, exec_lo, s22
	v_lshrrev_b16 v9, 8, v12
	v_mov_b32_e32 v8, 0
	s_mov_b32 s22, exec_lo
	s_delay_alu instid0(VALU_DEP_2)
	v_cmpx_ne_u16_e32 0, v9
	s_cbranch_execz .LBB468_4243
; %bb.4236:                             ;   in Loop: Header=BB468_3103 Depth=1
	v_bfrev_b32_e32 v8, 1
	s_mov_b32 s23, exec_lo
	v_cmpx_ne_u16_e32 0x80, v9
	s_cbranch_execz .LBB468_4242
; %bb.4237:                             ;   in Loop: Header=BB468_3103 Depth=1
	v_and_b32_e32 v9, 0xffff, v9
	v_mov_b32_e32 v8, 0x7f800001
	s_mov_b32 s24, exec_lo
	s_delay_alu instid0(VALU_DEP_2) | instskip(NEXT) | instid1(VALU_DEP_1)
	v_and_b32_e32 v19, 0x7f, v9
	v_cmpx_ne_u32_e32 0x7f, v19
	s_cbranch_execz .LBB468_4241
; %bb.4238:                             ;   in Loop: Header=BB468_3103 Depth=1
	v_dual_mov_b32 v9, v13 :: v_dual_and_b32 v8, 7, v9
	v_lshrrev_b32_e32 v18, 3, v19
	s_mov_b32 s25, exec_lo
	v_cmpx_gt_u32_e32 8, v19
; %bb.4239:                             ;   in Loop: Header=BB468_3103 Depth=1
	s_delay_alu instid0(VALU_DEP_3) | instskip(NEXT) | instid1(VALU_DEP_1)
	v_clz_i32_u32_e32 v18, v8
	v_min_u32_e32 v18, 32, v18
	s_delay_alu instid0(VALU_DEP_1) | instskip(SKIP_1) | instid1(VALU_DEP_2)
	v_subrev_nc_u32_e32 v19, 28, v18
	v_sub_nc_u32_e32 v18, 29, v18
	v_lshlrev_b64 v[8:9], v19, v[8:9]
	s_delay_alu instid0(VALU_DEP_1)
	v_and_b32_e32 v8, 7, v8
; %bb.4240:                             ;   in Loop: Header=BB468_3103 Depth=1
	s_or_b32 exec_lo, exec_lo, s25
	v_lshlrev_b32_e32 v9, 16, v12
	s_delay_alu instid0(VALU_DEP_2) | instskip(SKIP_1) | instid1(VALU_DEP_3)
	v_lshlrev_b32_e32 v8, 20, v8
	v_lshl_add_u32 v12, v18, 23, 0x3c000000
	v_and_b32_e32 v9, 0x80000000, v9
	s_delay_alu instid0(VALU_DEP_1)
	v_or3_b32 v8, v8, v9, v12
.LBB468_4241:                           ;   in Loop: Header=BB468_3103 Depth=1
	s_or_b32 exec_lo, exec_lo, s24
.LBB468_4242:                           ;   in Loop: Header=BB468_3103 Depth=1
	s_delay_alu instid0(SALU_CYCLE_1)
	s_or_b32 exec_lo, exec_lo, s23
.LBB468_4243:                           ;   in Loop: Header=BB468_3103 Depth=1
	s_delay_alu instid0(SALU_CYCLE_1) | instskip(NEXT) | instid1(VALU_DEP_1)
	s_or_b32 exec_lo, exec_lo, s22
	v_mul_f32_e32 v8, v26, v8
                                        ; implicit-def: $vgpr18
	s_delay_alu instid0(VALU_DEP_1) | instskip(NEXT) | instid1(VALU_DEP_1)
	v_and_b32_e32 v9, 0x7f800000, v8
	v_cmp_ne_u32_e64 s9, 0x7f800000, v9
	s_delay_alu instid0(VALU_DEP_1) | instskip(NEXT) | instid1(SALU_CYCLE_1)
	s_and_saveexec_b32 s22, s9
	s_xor_b32 s9, exec_lo, s22
; %bb.4244:                             ;   in Loop: Header=BB468_3103 Depth=1
	v_bfe_u32 v9, v8, 16, 1
	s_delay_alu instid0(VALU_DEP_1)
	v_add3_u32 v18, v8, v9, 0x7fff
                                        ; implicit-def: $vgpr8
; %bb.4245:                             ;   in Loop: Header=BB468_3103 Depth=1
	s_and_not1_saveexec_b32 s22, s9
; %bb.4246:                             ;   in Loop: Header=BB468_3103 Depth=1
	v_and_b32_e32 v9, 0xffff, v8
	v_or_b32_e32 v12, 0x10000, v8
	s_delay_alu instid0(VALU_DEP_2) | instskip(NEXT) | instid1(VALU_DEP_1)
	v_cmp_eq_u32_e64 s9, 0, v9
	v_cndmask_b32_e64 v18, v12, v8, s9
; %bb.4247:                             ;   in Loop: Header=BB468_3103 Depth=1
	s_or_b32 exec_lo, exec_lo, s22
	v_lshrrev_b32_e32 v19, 16, v7
	s_mov_b32 s22, exec_lo
	s_delay_alu instid0(VALU_DEP_1) | instskip(NEXT) | instid1(VALU_DEP_1)
	v_dual_mov_b32 v8, 0 :: v_dual_and_b32 v9, 0xff, v19
	v_cmpx_ne_u16_e32 0, v9
	s_cbranch_execz .LBB468_4255
; %bb.4248:                             ;   in Loop: Header=BB468_3103 Depth=1
	v_bfrev_b32_e32 v8, 1
	s_mov_b32 s23, exec_lo
	v_cmpx_ne_u16_e32 0x80, v9
	s_cbranch_execz .LBB468_4254
; %bb.4249:                             ;   in Loop: Header=BB468_3103 Depth=1
	v_bfe_u32 v9, v7, 16, 7
	v_mov_b32_e32 v8, 0x7f800001
	s_mov_b32 s24, exec_lo
	s_delay_alu instid0(VALU_DEP_2)
	v_cmpx_ne_u32_e32 0x7f, v9
	s_cbranch_execz .LBB468_4253
; %bb.4250:                             ;   in Loop: Header=BB468_3103 Depth=1
	v_and_b32_e32 v12, 7, v19
	v_lshrrev_b32_e32 v20, 3, v9
	v_cmp_gt_u32_e64 s9, 8, v9
	s_delay_alu instid0(VALU_DEP_3) | instskip(NEXT) | instid1(VALU_DEP_2)
	v_dual_mov_b32 v8, v12 :: v_dual_mov_b32 v9, v13
	s_and_saveexec_b32 s25, s9
; %bb.4251:                             ;   in Loop: Header=BB468_3103 Depth=1
	v_clz_i32_u32_e32 v8, v12
	s_delay_alu instid0(VALU_DEP_1) | instskip(NEXT) | instid1(VALU_DEP_1)
	v_min_u32_e32 v20, 32, v8
	v_subrev_nc_u32_e32 v8, 28, v20
	v_sub_nc_u32_e32 v20, 29, v20
	s_delay_alu instid0(VALU_DEP_2) | instskip(NEXT) | instid1(VALU_DEP_1)
	v_lshlrev_b64 v[8:9], v8, v[12:13]
	v_and_b32_e32 v8, 7, v8
; %bb.4252:                             ;   in Loop: Header=BB468_3103 Depth=1
	s_or_b32 exec_lo, exec_lo, s25
	v_lshlrev_b32_e32 v9, 24, v19
	s_delay_alu instid0(VALU_DEP_2) | instskip(SKIP_1) | instid1(VALU_DEP_3)
	v_lshlrev_b32_e32 v8, 20, v8
	v_lshl_add_u32 v12, v20, 23, 0x3c000000
	v_and_b32_e32 v9, 0x80000000, v9
	s_delay_alu instid0(VALU_DEP_1)
	v_or3_b32 v8, v8, v9, v12
.LBB468_4253:                           ;   in Loop: Header=BB468_3103 Depth=1
	s_or_b32 exec_lo, exec_lo, s24
.LBB468_4254:                           ;   in Loop: Header=BB468_3103 Depth=1
	s_delay_alu instid0(SALU_CYCLE_1)
	s_or_b32 exec_lo, exec_lo, s23
.LBB468_4255:                           ;   in Loop: Header=BB468_3103 Depth=1
	s_delay_alu instid0(SALU_CYCLE_1) | instskip(NEXT) | instid1(VALU_DEP_1)
	s_or_b32 exec_lo, exec_lo, s22
	v_mul_f32_e32 v8, v26, v8
	s_delay_alu instid0(VALU_DEP_1) | instskip(NEXT) | instid1(VALU_DEP_1)
	v_and_b32_e32 v9, 0x7f800000, v8
	v_cmp_ne_u32_e64 s9, 0x7f800000, v9
                                        ; implicit-def: $vgpr9
	s_delay_alu instid0(VALU_DEP_1) | instskip(NEXT) | instid1(SALU_CYCLE_1)
	s_and_saveexec_b32 s22, s9
	s_xor_b32 s9, exec_lo, s22
; %bb.4256:                             ;   in Loop: Header=BB468_3103 Depth=1
	v_bfe_u32 v9, v8, 16, 1
	s_delay_alu instid0(VALU_DEP_1)
	v_add3_u32 v9, v8, v9, 0x7fff
                                        ; implicit-def: $vgpr8
; %bb.4257:                             ;   in Loop: Header=BB468_3103 Depth=1
	s_and_not1_saveexec_b32 s22, s9
; %bb.4258:                             ;   in Loop: Header=BB468_3103 Depth=1
	v_and_b32_e32 v9, 0xffff, v8
	v_or_b32_e32 v12, 0x10000, v8
	s_delay_alu instid0(VALU_DEP_2) | instskip(NEXT) | instid1(VALU_DEP_1)
	v_cmp_eq_u32_e64 s9, 0, v9
	v_cndmask_b32_e64 v9, v12, v8, s9
; %bb.4259:                             ;   in Loop: Header=BB468_3103 Depth=1
	s_or_b32 exec_lo, exec_lo, s22
	v_cmp_lt_u64_e64 s9, s[12:13], v[6:7]
	v_mov_b32_e32 v6, 0
	s_delay_alu instid0(VALU_DEP_2)
	s_and_saveexec_b32 s22, s9
	s_cbranch_execz .LBB468_4267
; %bb.4260:                             ;   in Loop: Header=BB468_3103 Depth=1
	v_lshrrev_b32_e32 v8, 24, v7
	v_bfrev_b32_e32 v6, 1
	s_mov_b32 s23, exec_lo
	s_delay_alu instid0(VALU_DEP_2)
	v_cmpx_ne_u32_e32 0x80, v8
	s_cbranch_execz .LBB468_4266
; %bb.4261:                             ;   in Loop: Header=BB468_3103 Depth=1
	v_bfe_u32 v7, v7, 24, 7
	v_mov_b32_e32 v6, 0x7f800001
	s_mov_b32 s24, exec_lo
	s_delay_alu instid0(VALU_DEP_2)
	v_cmpx_ne_u32_e32 0x7f, v7
	s_cbranch_execz .LBB468_4265
; %bb.4262:                             ;   in Loop: Header=BB468_3103 Depth=1
	v_and_b32_e32 v12, 7, v8
	v_lshrrev_b32_e32 v19, 3, v7
	v_cmp_gt_u32_e64 s9, 8, v7
	s_delay_alu instid0(VALU_DEP_3) | instskip(NEXT) | instid1(VALU_DEP_2)
	v_dual_mov_b32 v6, v12 :: v_dual_mov_b32 v7, v13
	s_and_saveexec_b32 s25, s9
; %bb.4263:                             ;   in Loop: Header=BB468_3103 Depth=1
	v_clz_i32_u32_e32 v6, v12
	s_delay_alu instid0(VALU_DEP_1) | instskip(NEXT) | instid1(VALU_DEP_1)
	v_min_u32_e32 v19, 32, v6
	v_subrev_nc_u32_e32 v6, 28, v19
	v_sub_nc_u32_e32 v19, 29, v19
	s_delay_alu instid0(VALU_DEP_2) | instskip(NEXT) | instid1(VALU_DEP_1)
	v_lshlrev_b64 v[6:7], v6, v[12:13]
	v_and_b32_e32 v6, 7, v6
; %bb.4264:                             ;   in Loop: Header=BB468_3103 Depth=1
	s_or_b32 exec_lo, exec_lo, s25
	v_lshlrev_b32_e32 v7, 24, v8
	s_delay_alu instid0(VALU_DEP_2) | instskip(SKIP_1) | instid1(VALU_DEP_3)
	v_lshlrev_b32_e32 v6, 20, v6
	v_lshl_add_u32 v8, v19, 23, 0x3c000000
	v_and_b32_e32 v7, 0x80000000, v7
	s_delay_alu instid0(VALU_DEP_1)
	v_or3_b32 v6, v6, v7, v8
.LBB468_4265:                           ;   in Loop: Header=BB468_3103 Depth=1
	s_or_b32 exec_lo, exec_lo, s24
.LBB468_4266:                           ;   in Loop: Header=BB468_3103 Depth=1
	s_delay_alu instid0(SALU_CYCLE_1)
	s_or_b32 exec_lo, exec_lo, s23
.LBB468_4267:                           ;   in Loop: Header=BB468_3103 Depth=1
	s_delay_alu instid0(SALU_CYCLE_1) | instskip(NEXT) | instid1(VALU_DEP_1)
	s_or_b32 exec_lo, exec_lo, s22
	v_mul_f32_e32 v6, v26, v6
                                        ; implicit-def: $vgpr19
	s_delay_alu instid0(VALU_DEP_1) | instskip(NEXT) | instid1(VALU_DEP_1)
	v_and_b32_e32 v7, 0x7f800000, v6
	v_cmp_ne_u32_e64 s9, 0x7f800000, v7
	s_delay_alu instid0(VALU_DEP_1) | instskip(NEXT) | instid1(SALU_CYCLE_1)
	s_and_saveexec_b32 s22, s9
	s_xor_b32 s9, exec_lo, s22
; %bb.4268:                             ;   in Loop: Header=BB468_3103 Depth=1
	v_bfe_u32 v7, v6, 16, 1
	s_delay_alu instid0(VALU_DEP_1)
	v_add3_u32 v19, v6, v7, 0x7fff
                                        ; implicit-def: $vgpr6
; %bb.4269:                             ;   in Loop: Header=BB468_3103 Depth=1
	s_and_not1_saveexec_b32 s22, s9
; %bb.4270:                             ;   in Loop: Header=BB468_3103 Depth=1
	v_and_b32_e32 v7, 0xffff, v6
	v_or_b32_e32 v8, 0x10000, v6
	s_delay_alu instid0(VALU_DEP_2) | instskip(NEXT) | instid1(VALU_DEP_1)
	v_cmp_eq_u32_e64 s9, 0, v7
	v_cndmask_b32_e64 v19, v8, v6, s9
; %bb.4271:                             ;   in Loop: Header=BB468_3103 Depth=1
	s_or_b32 exec_lo, exec_lo, s22
	v_lshrrev_b32_e32 v6, 16, v18
	v_lshrrev_b32_e32 v7, 16, v17
	;; [unrolled: 1-line block ×8, first 2 shown]
	s_and_saveexec_b32 s9, s3
; %bb.4272:                             ;   in Loop: Header=BB468_3103 Depth=1
	s_delay_alu instid0(VALU_DEP_3)
	v_cndmask_b32_e32 v12, 0, v12, vcc_lo
	v_cndmask_b32_e64 v11, 0, v11, s1
	v_cndmask_b32_e64 v10, 0, v10, s2
	v_cndmask_b32_e64 v8, 0, v8, s4
	v_cndmask_b32_e64 v7, 0, v7, s5
	v_cndmask_b32_e64 v6, 0, v6, s6
	v_cndmask_b32_e64 v5, 0, v5, s7
	v_cndmask_b32_e64 v4, 0, v4, s8
; %bb.4273:                             ;   in Loop: Header=BB468_3103 Depth=1
	s_or_b32 exec_lo, exec_lo, s9
	v_lshlrev_b32_e32 v9, 16, v12
	s_delay_alu instid0(VALU_DEP_1) | instskip(NEXT) | instid1(VALU_DEP_1)
	v_mul_f32_e32 v9, v151, v9
	v_and_b32_e32 v12, 0x7f800000, v9
	s_delay_alu instid0(VALU_DEP_1) | instskip(NEXT) | instid1(VALU_DEP_1)
	v_cmp_ne_u32_e64 s9, 0x7f800000, v12
                                        ; implicit-def: $vgpr12
                                        ; kill: killed $vgpr12
	s_and_saveexec_b32 s22, s9
	s_delay_alu instid0(SALU_CYCLE_1)
	s_xor_b32 s9, exec_lo, s22
	s_cbranch_execz .LBB468_4275
; %bb.4274:                             ;   in Loop: Header=BB468_3103 Depth=1
	v_bfe_u32 v12, v9, 16, 1
	s_delay_alu instid0(VALU_DEP_1)
	v_add3_u32 v9, v9, v12, 0x7fff
	scratch_store_b32 off, v9, s32 offset:584 ; 4-byte Folded Spill
                                        ; implicit-def: $vgpr9
.LBB468_4275:                           ;   in Loop: Header=BB468_3103 Depth=1
	s_and_not1_saveexec_b32 s22, s9
	s_cbranch_execz .LBB468_4277
; %bb.4276:                             ;   in Loop: Header=BB468_3103 Depth=1
	v_and_b32_e32 v12, 0xffff, v9
	v_or_b32_e32 v17, 0x10000, v9
	s_delay_alu instid0(VALU_DEP_2) | instskip(NEXT) | instid1(VALU_DEP_1)
	v_cmp_eq_u32_e64 s9, 0, v12
	v_cndmask_b32_e64 v9, v17, v9, s9
	scratch_store_b32 off, v9, s32 offset:584 ; 4-byte Folded Spill
.LBB468_4277:                           ;   in Loop: Header=BB468_3103 Depth=1
	s_or_b32 exec_lo, exec_lo, s22
	v_lshlrev_b32_e32 v9, 16, v11
	s_delay_alu instid0(VALU_DEP_1) | instskip(NEXT) | instid1(VALU_DEP_1)
	v_mul_f32_e32 v9, v160, v9
	v_and_b32_e32 v11, 0x7f800000, v9
	s_delay_alu instid0(VALU_DEP_1) | instskip(NEXT) | instid1(VALU_DEP_1)
	v_cmp_ne_u32_e64 s9, 0x7f800000, v11
                                        ; implicit-def: $vgpr11
                                        ; kill: killed $vgpr11
	s_and_saveexec_b32 s22, s9
	s_delay_alu instid0(SALU_CYCLE_1)
	s_xor_b32 s9, exec_lo, s22
	s_cbranch_execz .LBB468_4279
; %bb.4278:                             ;   in Loop: Header=BB468_3103 Depth=1
	v_bfe_u32 v11, v9, 16, 1
	s_delay_alu instid0(VALU_DEP_1)
	v_add3_u32 v9, v9, v11, 0x7fff
	scratch_store_b32 off, v9, s32 offset:588 ; 4-byte Folded Spill
                                        ; implicit-def: $vgpr9
.LBB468_4279:                           ;   in Loop: Header=BB468_3103 Depth=1
	s_and_not1_saveexec_b32 s22, s9
	s_cbranch_execz .LBB468_4281
; %bb.4280:                             ;   in Loop: Header=BB468_3103 Depth=1
	v_and_b32_e32 v11, 0xffff, v9
	v_or_b32_e32 v12, 0x10000, v9
	s_delay_alu instid0(VALU_DEP_2) | instskip(NEXT) | instid1(VALU_DEP_1)
	v_cmp_eq_u32_e64 s9, 0, v11
	v_cndmask_b32_e64 v9, v12, v9, s9
	scratch_store_b32 off, v9, s32 offset:588 ; 4-byte Folded Spill
.LBB468_4281:                           ;   in Loop: Header=BB468_3103 Depth=1
	s_or_b32 exec_lo, exec_lo, s22
	v_lshlrev_b32_e32 v9, 16, v10
	s_delay_alu instid0(VALU_DEP_1) | instskip(NEXT) | instid1(VALU_DEP_1)
	v_mul_f32_e32 v9, v161, v9
	v_and_b32_e32 v10, 0x7f800000, v9
	s_delay_alu instid0(VALU_DEP_1) | instskip(NEXT) | instid1(VALU_DEP_1)
	v_cmp_ne_u32_e64 s9, 0x7f800000, v10
                                        ; implicit-def: $vgpr10
                                        ; kill: killed $vgpr10
	s_and_saveexec_b32 s22, s9
	s_delay_alu instid0(SALU_CYCLE_1)
	s_xor_b32 s9, exec_lo, s22
	s_cbranch_execz .LBB468_4283
; %bb.4282:                             ;   in Loop: Header=BB468_3103 Depth=1
	v_bfe_u32 v10, v9, 16, 1
	s_delay_alu instid0(VALU_DEP_1)
	v_add3_u32 v9, v9, v10, 0x7fff
	scratch_store_b32 off, v9, s32 offset:592 ; 4-byte Folded Spill
                                        ; implicit-def: $vgpr9
.LBB468_4283:                           ;   in Loop: Header=BB468_3103 Depth=1
	s_and_not1_saveexec_b32 s22, s9
	s_cbranch_execz .LBB468_4285
; %bb.4284:                             ;   in Loop: Header=BB468_3103 Depth=1
	v_and_b32_e32 v10, 0xffff, v9
	v_or_b32_e32 v11, 0x10000, v9
	s_delay_alu instid0(VALU_DEP_2) | instskip(NEXT) | instid1(VALU_DEP_1)
	v_cmp_eq_u32_e64 s9, 0, v10
	v_cndmask_b32_e64 v9, v11, v9, s9
	scratch_store_b32 off, v9, s32 offset:592 ; 4-byte Folded Spill
.LBB468_4285:                           ;   in Loop: Header=BB468_3103 Depth=1
	s_or_b32 exec_lo, exec_lo, s22
	v_lshlrev_b32_e32 v8, 16, v8
	s_delay_alu instid0(VALU_DEP_1) | instskip(NEXT) | instid1(VALU_DEP_1)
	v_mul_f32_e32 v8, v162, v8
	v_and_b32_e32 v9, 0x7f800000, v8
	s_delay_alu instid0(VALU_DEP_1) | instskip(NEXT) | instid1(VALU_DEP_1)
	v_cmp_ne_u32_e64 s9, 0x7f800000, v9
                                        ; implicit-def: $vgpr9
                                        ; kill: killed $vgpr9
	s_and_saveexec_b32 s22, s9
	s_delay_alu instid0(SALU_CYCLE_1)
	s_xor_b32 s9, exec_lo, s22
	s_cbranch_execz .LBB468_4287
; %bb.4286:                             ;   in Loop: Header=BB468_3103 Depth=1
	v_bfe_u32 v9, v8, 16, 1
	s_delay_alu instid0(VALU_DEP_1)
	v_add3_u32 v8, v8, v9, 0x7fff
	scratch_store_b32 off, v8, s32 offset:596 ; 4-byte Folded Spill
                                        ; implicit-def: $vgpr8
.LBB468_4287:                           ;   in Loop: Header=BB468_3103 Depth=1
	s_and_not1_saveexec_b32 s22, s9
	s_cbranch_execz .LBB468_4289
; %bb.4288:                             ;   in Loop: Header=BB468_3103 Depth=1
	v_and_b32_e32 v9, 0xffff, v8
	v_or_b32_e32 v10, 0x10000, v8
	s_delay_alu instid0(VALU_DEP_2) | instskip(NEXT) | instid1(VALU_DEP_1)
	v_cmp_eq_u32_e64 s9, 0, v9
	v_cndmask_b32_e64 v8, v10, v8, s9
	scratch_store_b32 off, v8, s32 offset:596 ; 4-byte Folded Spill
.LBB468_4289:                           ;   in Loop: Header=BB468_3103 Depth=1
	s_or_b32 exec_lo, exec_lo, s22
	v_lshlrev_b32_e32 v7, 16, v7
	s_delay_alu instid0(VALU_DEP_1) | instskip(NEXT) | instid1(VALU_DEP_1)
	v_mul_f32_e32 v7, v163, v7
	v_and_b32_e32 v8, 0x7f800000, v7
	s_delay_alu instid0(VALU_DEP_1) | instskip(NEXT) | instid1(VALU_DEP_1)
	v_cmp_ne_u32_e64 s9, 0x7f800000, v8
                                        ; implicit-def: $vgpr8
                                        ; kill: killed $vgpr8
	s_and_saveexec_b32 s22, s9
	s_delay_alu instid0(SALU_CYCLE_1)
	s_xor_b32 s9, exec_lo, s22
	s_cbranch_execz .LBB468_4291
; %bb.4290:                             ;   in Loop: Header=BB468_3103 Depth=1
	v_bfe_u32 v8, v7, 16, 1
	s_delay_alu instid0(VALU_DEP_1)
	v_add3_u32 v7, v7, v8, 0x7fff
	scratch_store_b32 off, v7, s32 offset:600 ; 4-byte Folded Spill
                                        ; implicit-def: $vgpr7
.LBB468_4291:                           ;   in Loop: Header=BB468_3103 Depth=1
	s_and_not1_saveexec_b32 s22, s9
	s_cbranch_execz .LBB468_4293
; %bb.4292:                             ;   in Loop: Header=BB468_3103 Depth=1
	v_and_b32_e32 v8, 0xffff, v7
	v_or_b32_e32 v9, 0x10000, v7
	s_delay_alu instid0(VALU_DEP_2) | instskip(NEXT) | instid1(VALU_DEP_1)
	v_cmp_eq_u32_e64 s9, 0, v8
	v_cndmask_b32_e64 v7, v9, v7, s9
	scratch_store_b32 off, v7, s32 offset:600 ; 4-byte Folded Spill
.LBB468_4293:                           ;   in Loop: Header=BB468_3103 Depth=1
	s_or_b32 exec_lo, exec_lo, s22
	v_lshlrev_b32_e32 v6, 16, v6
	s_delay_alu instid0(VALU_DEP_1) | instskip(NEXT) | instid1(VALU_DEP_1)
	v_mul_f32_e32 v6, v164, v6
	v_and_b32_e32 v7, 0x7f800000, v6
	s_delay_alu instid0(VALU_DEP_1) | instskip(NEXT) | instid1(VALU_DEP_1)
	v_cmp_ne_u32_e64 s9, 0x7f800000, v7
                                        ; implicit-def: $vgpr7
                                        ; kill: killed $vgpr7
	s_and_saveexec_b32 s22, s9
	s_delay_alu instid0(SALU_CYCLE_1)
	s_xor_b32 s9, exec_lo, s22
	s_cbranch_execz .LBB468_4295
; %bb.4294:                             ;   in Loop: Header=BB468_3103 Depth=1
	v_bfe_u32 v7, v6, 16, 1
	s_delay_alu instid0(VALU_DEP_1)
	v_add3_u32 v6, v6, v7, 0x7fff
	scratch_store_b32 off, v6, s32 offset:604 ; 4-byte Folded Spill
                                        ; implicit-def: $vgpr6
.LBB468_4295:                           ;   in Loop: Header=BB468_3103 Depth=1
	s_and_not1_saveexec_b32 s22, s9
	s_cbranch_execz .LBB468_4297
; %bb.4296:                             ;   in Loop: Header=BB468_3103 Depth=1
	v_and_b32_e32 v7, 0xffff, v6
	v_or_b32_e32 v8, 0x10000, v6
	s_delay_alu instid0(VALU_DEP_2) | instskip(NEXT) | instid1(VALU_DEP_1)
	v_cmp_eq_u32_e64 s9, 0, v7
	v_cndmask_b32_e64 v6, v8, v6, s9
	scratch_store_b32 off, v6, s32 offset:604 ; 4-byte Folded Spill
.LBB468_4297:                           ;   in Loop: Header=BB468_3103 Depth=1
	s_or_b32 exec_lo, exec_lo, s22
	v_lshlrev_b32_e32 v5, 16, v5
	s_delay_alu instid0(VALU_DEP_1) | instskip(NEXT) | instid1(VALU_DEP_1)
	v_mul_f32_e32 v5, v165, v5
	v_and_b32_e32 v6, 0x7f800000, v5
	s_delay_alu instid0(VALU_DEP_1) | instskip(NEXT) | instid1(VALU_DEP_1)
	v_cmp_ne_u32_e64 s9, 0x7f800000, v6
                                        ; implicit-def: $vgpr6
                                        ; kill: killed $vgpr6
	s_and_saveexec_b32 s22, s9
	s_delay_alu instid0(SALU_CYCLE_1)
	s_xor_b32 s9, exec_lo, s22
	s_cbranch_execz .LBB468_4299
; %bb.4298:                             ;   in Loop: Header=BB468_3103 Depth=1
	v_bfe_u32 v6, v5, 16, 1
	s_delay_alu instid0(VALU_DEP_1)
	v_add3_u32 v5, v5, v6, 0x7fff
	scratch_store_b32 off, v5, s32 offset:608 ; 4-byte Folded Spill
                                        ; implicit-def: $vgpr5
.LBB468_4299:                           ;   in Loop: Header=BB468_3103 Depth=1
	s_and_not1_saveexec_b32 s22, s9
	s_cbranch_execz .LBB468_4301
; %bb.4300:                             ;   in Loop: Header=BB468_3103 Depth=1
	v_and_b32_e32 v6, 0xffff, v5
	v_or_b32_e32 v7, 0x10000, v5
	s_delay_alu instid0(VALU_DEP_2) | instskip(NEXT) | instid1(VALU_DEP_1)
	v_cmp_eq_u32_e64 s9, 0, v6
	v_cndmask_b32_e64 v5, v7, v5, s9
	scratch_store_b32 off, v5, s32 offset:608 ; 4-byte Folded Spill
.LBB468_4301:                           ;   in Loop: Header=BB468_3103 Depth=1
	s_or_b32 exec_lo, exec_lo, s22
	v_lshlrev_b32_e32 v4, 16, v4
	s_delay_alu instid0(VALU_DEP_1) | instskip(NEXT) | instid1(VALU_DEP_1)
	v_mul_f32_e32 v4, v166, v4
	v_and_b32_e32 v5, 0x7f800000, v4
	s_delay_alu instid0(VALU_DEP_1) | instskip(NEXT) | instid1(VALU_DEP_1)
	v_cmp_ne_u32_e64 s9, 0x7f800000, v5
                                        ; implicit-def: $vgpr5
                                        ; kill: killed $vgpr5
	s_and_saveexec_b32 s22, s9
	s_delay_alu instid0(SALU_CYCLE_1)
	s_xor_b32 s9, exec_lo, s22
	s_cbranch_execz .LBB468_4303
; %bb.4302:                             ;   in Loop: Header=BB468_3103 Depth=1
	v_bfe_u32 v5, v4, 16, 1
	s_delay_alu instid0(VALU_DEP_1)
	v_add3_u32 v4, v4, v5, 0x7fff
	scratch_store_b32 off, v4, s32 offset:612 ; 4-byte Folded Spill
                                        ; implicit-def: $vgpr4
.LBB468_4303:                           ;   in Loop: Header=BB468_3103 Depth=1
	s_and_not1_saveexec_b32 s22, s9
	s_cbranch_execz .LBB468_4305
; %bb.4304:                             ;   in Loop: Header=BB468_3103 Depth=1
	v_and_b32_e32 v5, 0xffff, v4
	v_or_b32_e32 v6, 0x10000, v4
	s_delay_alu instid0(VALU_DEP_2) | instskip(NEXT) | instid1(VALU_DEP_1)
	v_cmp_eq_u32_e64 s9, 0, v5
	v_cndmask_b32_e64 v4, v6, v4, s9
	scratch_store_b32 off, v4, s32 offset:612 ; 4-byte Folded Spill
.LBB468_4305:                           ;   in Loop: Header=BB468_3103 Depth=1
	s_or_b32 exec_lo, exec_lo, s22
	flat_load_b64 v[6:7], v[2:3] offset:2304
	s_mov_b32 s22, exec_lo
	s_waitcnt vmcnt(0) lgkmcnt(0)
	v_dual_mov_b32 v4, 0 :: v_dual_and_b32 v5, 0xff, v6
	s_delay_alu instid0(VALU_DEP_1)
	v_cmpx_ne_u16_e32 0, v5
	s_cbranch_execz .LBB468_4313
; %bb.4306:                             ;   in Loop: Header=BB468_3103 Depth=1
	v_bfrev_b32_e32 v4, 1
	s_mov_b32 s23, exec_lo
	v_cmpx_ne_u16_e32 0x80, v5
	s_cbranch_execz .LBB468_4312
; %bb.4307:                             ;   in Loop: Header=BB468_3103 Depth=1
	v_and_b32_e32 v5, 0x7f, v6
	v_mov_b32_e32 v4, 0x7f800001
	s_mov_b32 s24, exec_lo
	s_delay_alu instid0(VALU_DEP_2)
	v_cmpx_ne_u32_e32 0x7f, v5
	s_cbranch_execz .LBB468_4311
; %bb.4308:                             ;   in Loop: Header=BB468_3103 Depth=1
	v_lshrrev_b32_e32 v4, 3, v5
	v_dual_mov_b32 v9, v7 :: v_dual_mov_b32 v8, v6
	s_mov_b32 s25, exec_lo
	v_cmpx_gt_u32_e32 8, v5
; %bb.4309:                             ;   in Loop: Header=BB468_3103 Depth=1
	v_and_b32_e32 v4, 7, v6
	s_delay_alu instid0(VALU_DEP_1) | instskip(NEXT) | instid1(VALU_DEP_1)
	v_clz_i32_u32_e32 v4, v4
	v_min_u32_e32 v4, 32, v4
	s_delay_alu instid0(VALU_DEP_1) | instskip(SKIP_1) | instid1(VALU_DEP_2)
	v_subrev_nc_u32_e32 v5, 28, v4
	v_sub_nc_u32_e32 v4, 29, v4
	v_lshlrev_b64 v[8:9], v5, v[6:7]
; %bb.4310:                             ;   in Loop: Header=BB468_3103 Depth=1
	s_or_b32 exec_lo, exec_lo, s25
	s_delay_alu instid0(VALU_DEP_1) | instskip(SKIP_2) | instid1(VALU_DEP_3)
	v_lshlrev_b32_e32 v5, 20, v8
	v_lshlrev_b32_e32 v8, 24, v6
	v_lshl_add_u32 v4, v4, 23, 0x3c000000
	v_and_b32_e32 v5, 0x700000, v5
	s_delay_alu instid0(VALU_DEP_3) | instskip(NEXT) | instid1(VALU_DEP_1)
	v_and_b32_e32 v8, 0x80000000, v8
	v_or3_b32 v4, v5, v8, v4
.LBB468_4311:                           ;   in Loop: Header=BB468_3103 Depth=1
	s_or_b32 exec_lo, exec_lo, s24
.LBB468_4312:                           ;   in Loop: Header=BB468_3103 Depth=1
	s_delay_alu instid0(SALU_CYCLE_1)
	s_or_b32 exec_lo, exec_lo, s23
.LBB468_4313:                           ;   in Loop: Header=BB468_3103 Depth=1
	s_delay_alu instid0(SALU_CYCLE_1) | instskip(NEXT) | instid1(VALU_DEP_1)
	s_or_b32 exec_lo, exec_lo, s22
	v_mul_f32_e32 v5, v26, v4
	s_delay_alu instid0(VALU_DEP_1) | instskip(NEXT) | instid1(VALU_DEP_1)
	v_and_b32_e32 v4, 0x7f800000, v5
	v_cmp_ne_u32_e64 s9, 0x7f800000, v4
                                        ; implicit-def: $vgpr4
	s_delay_alu instid0(VALU_DEP_1) | instskip(NEXT) | instid1(SALU_CYCLE_1)
	s_and_saveexec_b32 s22, s9
	s_xor_b32 s9, exec_lo, s22
; %bb.4314:                             ;   in Loop: Header=BB468_3103 Depth=1
	v_bfe_u32 v4, v5, 16, 1
	s_delay_alu instid0(VALU_DEP_1)
	v_add3_u32 v4, v5, v4, 0x7fff
                                        ; implicit-def: $vgpr5
; %bb.4315:                             ;   in Loop: Header=BB468_3103 Depth=1
	s_and_not1_saveexec_b32 s22, s9
; %bb.4316:                             ;   in Loop: Header=BB468_3103 Depth=1
	v_and_b32_e32 v4, 0xffff, v5
	v_or_b32_e32 v8, 0x10000, v5
	s_delay_alu instid0(VALU_DEP_2) | instskip(NEXT) | instid1(VALU_DEP_1)
	v_cmp_eq_u32_e64 s9, 0, v4
	v_cndmask_b32_e64 v4, v8, v5, s9
; %bb.4317:                             ;   in Loop: Header=BB468_3103 Depth=1
	s_or_b32 exec_lo, exec_lo, s22
	v_lshrrev_b16 v8, 8, v6
	v_mov_b32_e32 v5, 0
	s_mov_b32 s22, exec_lo
	s_delay_alu instid0(VALU_DEP_2)
	v_cmpx_ne_u16_e32 0, v8
	s_cbranch_execz .LBB468_4325
; %bb.4318:                             ;   in Loop: Header=BB468_3103 Depth=1
	v_bfrev_b32_e32 v5, 1
	s_mov_b32 s23, exec_lo
	v_cmpx_ne_u16_e32 0x80, v8
	s_cbranch_execz .LBB468_4324
; %bb.4319:                             ;   in Loop: Header=BB468_3103 Depth=1
	v_and_b32_e32 v9, 0xffff, v8
	v_mov_b32_e32 v5, 0x7f800001
	s_mov_b32 s24, exec_lo
	s_delay_alu instid0(VALU_DEP_2) | instskip(NEXT) | instid1(VALU_DEP_1)
	v_and_b32_e32 v8, 0x7f, v9
	v_cmpx_ne_u32_e32 0x7f, v8
	s_cbranch_execz .LBB468_4323
; %bb.4320:                             ;   in Loop: Header=BB468_3103 Depth=1
	v_and_b32_e32 v12, 7, v9
	v_lshrrev_b32_e32 v5, 3, v8
	v_cmp_gt_u32_e64 s9, 8, v8
	s_delay_alu instid0(VALU_DEP_3) | instskip(NEXT) | instid1(VALU_DEP_2)
	v_dual_mov_b32 v8, v12 :: v_dual_mov_b32 v9, v13
	s_and_saveexec_b32 s25, s9
; %bb.4321:                             ;   in Loop: Header=BB468_3103 Depth=1
	v_clz_i32_u32_e32 v5, v12
	s_delay_alu instid0(VALU_DEP_1) | instskip(NEXT) | instid1(VALU_DEP_1)
	v_min_u32_e32 v5, 32, v5
	v_subrev_nc_u32_e32 v8, 28, v5
	v_sub_nc_u32_e32 v5, 29, v5
	s_delay_alu instid0(VALU_DEP_2) | instskip(NEXT) | instid1(VALU_DEP_1)
	v_lshlrev_b64 v[8:9], v8, v[12:13]
	v_and_b32_e32 v8, 7, v8
; %bb.4322:                             ;   in Loop: Header=BB468_3103 Depth=1
	s_or_b32 exec_lo, exec_lo, s25
	v_lshlrev_b32_e32 v9, 16, v6
	s_delay_alu instid0(VALU_DEP_2) | instskip(SKIP_1) | instid1(VALU_DEP_3)
	v_lshlrev_b32_e32 v8, 20, v8
	v_lshl_add_u32 v5, v5, 23, 0x3c000000
	v_and_b32_e32 v9, 0x80000000, v9
	s_delay_alu instid0(VALU_DEP_1)
	v_or3_b32 v5, v8, v9, v5
.LBB468_4323:                           ;   in Loop: Header=BB468_3103 Depth=1
	s_or_b32 exec_lo, exec_lo, s24
.LBB468_4324:                           ;   in Loop: Header=BB468_3103 Depth=1
	s_delay_alu instid0(SALU_CYCLE_1)
	s_or_b32 exec_lo, exec_lo, s23
.LBB468_4325:                           ;   in Loop: Header=BB468_3103 Depth=1
	s_delay_alu instid0(SALU_CYCLE_1) | instskip(NEXT) | instid1(VALU_DEP_1)
	s_or_b32 exec_lo, exec_lo, s22
	v_mul_f32_e32 v8, v26, v5
	s_delay_alu instid0(VALU_DEP_1) | instskip(NEXT) | instid1(VALU_DEP_1)
	v_and_b32_e32 v5, 0x7f800000, v8
	v_cmp_ne_u32_e64 s9, 0x7f800000, v5
                                        ; implicit-def: $vgpr5
	s_delay_alu instid0(VALU_DEP_1) | instskip(NEXT) | instid1(SALU_CYCLE_1)
	s_and_saveexec_b32 s22, s9
	s_xor_b32 s9, exec_lo, s22
; %bb.4326:                             ;   in Loop: Header=BB468_3103 Depth=1
	v_bfe_u32 v5, v8, 16, 1
	s_delay_alu instid0(VALU_DEP_1)
	v_add3_u32 v5, v8, v5, 0x7fff
                                        ; implicit-def: $vgpr8
; %bb.4327:                             ;   in Loop: Header=BB468_3103 Depth=1
	s_and_not1_saveexec_b32 s22, s9
; %bb.4328:                             ;   in Loop: Header=BB468_3103 Depth=1
	v_and_b32_e32 v5, 0xffff, v8
	v_or_b32_e32 v9, 0x10000, v8
	s_delay_alu instid0(VALU_DEP_2) | instskip(NEXT) | instid1(VALU_DEP_1)
	v_cmp_eq_u32_e64 s9, 0, v5
	v_cndmask_b32_e64 v5, v9, v8, s9
; %bb.4329:                             ;   in Loop: Header=BB468_3103 Depth=1
	s_or_b32 exec_lo, exec_lo, s22
	v_lshrrev_b32_e32 v10, 16, v6
	s_mov_b32 s22, exec_lo
	s_delay_alu instid0(VALU_DEP_1) | instskip(NEXT) | instid1(VALU_DEP_1)
	v_dual_mov_b32 v8, 0 :: v_dual_and_b32 v9, 0xff, v10
	v_cmpx_ne_u16_e32 0, v9
	s_cbranch_execz .LBB468_4337
; %bb.4330:                             ;   in Loop: Header=BB468_3103 Depth=1
	v_bfrev_b32_e32 v8, 1
	s_mov_b32 s23, exec_lo
	v_cmpx_ne_u16_e32 0x80, v9
	s_cbranch_execz .LBB468_4336
; %bb.4331:                             ;   in Loop: Header=BB468_3103 Depth=1
	v_bfe_u32 v9, v6, 16, 7
	v_mov_b32_e32 v8, 0x7f800001
	s_mov_b32 s24, exec_lo
	s_delay_alu instid0(VALU_DEP_2)
	v_cmpx_ne_u32_e32 0x7f, v9
	s_cbranch_execz .LBB468_4335
; %bb.4332:                             ;   in Loop: Header=BB468_3103 Depth=1
	v_and_b32_e32 v12, 7, v10
	v_lshrrev_b32_e32 v11, 3, v9
	v_cmp_gt_u32_e64 s9, 8, v9
	s_delay_alu instid0(VALU_DEP_3) | instskip(NEXT) | instid1(VALU_DEP_2)
	v_dual_mov_b32 v8, v12 :: v_dual_mov_b32 v9, v13
	s_and_saveexec_b32 s25, s9
; %bb.4333:                             ;   in Loop: Header=BB468_3103 Depth=1
	v_clz_i32_u32_e32 v8, v12
	s_delay_alu instid0(VALU_DEP_1) | instskip(NEXT) | instid1(VALU_DEP_1)
	v_min_u32_e32 v11, 32, v8
	v_subrev_nc_u32_e32 v8, 28, v11
	v_sub_nc_u32_e32 v11, 29, v11
	s_delay_alu instid0(VALU_DEP_2) | instskip(NEXT) | instid1(VALU_DEP_1)
	v_lshlrev_b64 v[8:9], v8, v[12:13]
	v_and_b32_e32 v8, 7, v8
; %bb.4334:                             ;   in Loop: Header=BB468_3103 Depth=1
	s_or_b32 exec_lo, exec_lo, s25
	v_lshlrev_b32_e32 v9, 24, v10
	s_delay_alu instid0(VALU_DEP_2) | instskip(SKIP_1) | instid1(VALU_DEP_3)
	v_lshlrev_b32_e32 v8, 20, v8
	v_lshl_add_u32 v10, v11, 23, 0x3c000000
	v_and_b32_e32 v9, 0x80000000, v9
	s_delay_alu instid0(VALU_DEP_1)
	v_or3_b32 v8, v8, v9, v10
.LBB468_4335:                           ;   in Loop: Header=BB468_3103 Depth=1
	s_or_b32 exec_lo, exec_lo, s24
.LBB468_4336:                           ;   in Loop: Header=BB468_3103 Depth=1
	s_delay_alu instid0(SALU_CYCLE_1)
	s_or_b32 exec_lo, exec_lo, s23
.LBB468_4337:                           ;   in Loop: Header=BB468_3103 Depth=1
	s_delay_alu instid0(SALU_CYCLE_1) | instskip(NEXT) | instid1(VALU_DEP_1)
	s_or_b32 exec_lo, exec_lo, s22
	v_mul_f32_e32 v8, v26, v8
                                        ; implicit-def: $vgpr10
	s_delay_alu instid0(VALU_DEP_1) | instskip(NEXT) | instid1(VALU_DEP_1)
	v_and_b32_e32 v9, 0x7f800000, v8
	v_cmp_ne_u32_e64 s9, 0x7f800000, v9
	s_delay_alu instid0(VALU_DEP_1) | instskip(NEXT) | instid1(SALU_CYCLE_1)
	s_and_saveexec_b32 s22, s9
	s_xor_b32 s9, exec_lo, s22
; %bb.4338:                             ;   in Loop: Header=BB468_3103 Depth=1
	v_bfe_u32 v9, v8, 16, 1
	s_delay_alu instid0(VALU_DEP_1)
	v_add3_u32 v10, v8, v9, 0x7fff
                                        ; implicit-def: $vgpr8
; %bb.4339:                             ;   in Loop: Header=BB468_3103 Depth=1
	s_and_not1_saveexec_b32 s22, s9
; %bb.4340:                             ;   in Loop: Header=BB468_3103 Depth=1
	v_and_b32_e32 v9, 0xffff, v8
	v_or_b32_e32 v10, 0x10000, v8
	s_delay_alu instid0(VALU_DEP_2) | instskip(NEXT) | instid1(VALU_DEP_1)
	v_cmp_eq_u32_e64 s9, 0, v9
	v_cndmask_b32_e64 v10, v10, v8, s9
; %bb.4341:                             ;   in Loop: Header=BB468_3103 Depth=1
	s_or_b32 exec_lo, exec_lo, s22
	v_mov_b32_e32 v8, 0
	s_mov_b32 s22, exec_lo
	v_cmpx_lt_u32_e32 0xffffff, v6
	s_cbranch_execz .LBB468_4349
; %bb.4342:                             ;   in Loop: Header=BB468_3103 Depth=1
	v_lshrrev_b32_e32 v11, 24, v6
	v_bfrev_b32_e32 v8, 1
	s_mov_b32 s23, exec_lo
	s_delay_alu instid0(VALU_DEP_2)
	v_cmpx_ne_u32_e32 0x80, v11
	s_cbranch_execz .LBB468_4348
; %bb.4343:                             ;   in Loop: Header=BB468_3103 Depth=1
	v_bfe_u32 v9, v6, 24, 7
	v_mov_b32_e32 v8, 0x7f800001
	s_mov_b32 s24, exec_lo
	s_delay_alu instid0(VALU_DEP_2)
	v_cmpx_ne_u32_e32 0x7f, v9
	s_cbranch_execz .LBB468_4347
; %bb.4344:                             ;   in Loop: Header=BB468_3103 Depth=1
	v_and_b32_e32 v12, 7, v11
	v_lshrrev_b32_e32 v17, 3, v9
	v_cmp_gt_u32_e64 s9, 8, v9
	s_delay_alu instid0(VALU_DEP_3) | instskip(NEXT) | instid1(VALU_DEP_2)
	v_dual_mov_b32 v8, v12 :: v_dual_mov_b32 v9, v13
	s_and_saveexec_b32 s25, s9
; %bb.4345:                             ;   in Loop: Header=BB468_3103 Depth=1
	v_clz_i32_u32_e32 v8, v12
	s_delay_alu instid0(VALU_DEP_1) | instskip(NEXT) | instid1(VALU_DEP_1)
	v_min_u32_e32 v17, 32, v8
	v_subrev_nc_u32_e32 v8, 28, v17
	v_sub_nc_u32_e32 v17, 29, v17
	s_delay_alu instid0(VALU_DEP_2) | instskip(NEXT) | instid1(VALU_DEP_1)
	v_lshlrev_b64 v[8:9], v8, v[12:13]
	v_and_b32_e32 v8, 7, v8
; %bb.4346:                             ;   in Loop: Header=BB468_3103 Depth=1
	s_or_b32 exec_lo, exec_lo, s25
	v_lshlrev_b32_e32 v9, 24, v11
	s_delay_alu instid0(VALU_DEP_2) | instskip(SKIP_1) | instid1(VALU_DEP_3)
	v_lshlrev_b32_e32 v8, 20, v8
	v_lshl_add_u32 v11, v17, 23, 0x3c000000
	v_and_b32_e32 v9, 0x80000000, v9
	s_delay_alu instid0(VALU_DEP_1)
	v_or3_b32 v8, v8, v9, v11
.LBB468_4347:                           ;   in Loop: Header=BB468_3103 Depth=1
	s_or_b32 exec_lo, exec_lo, s24
.LBB468_4348:                           ;   in Loop: Header=BB468_3103 Depth=1
	s_delay_alu instid0(SALU_CYCLE_1)
	s_or_b32 exec_lo, exec_lo, s23
.LBB468_4349:                           ;   in Loop: Header=BB468_3103 Depth=1
	s_delay_alu instid0(SALU_CYCLE_1) | instskip(NEXT) | instid1(VALU_DEP_1)
	s_or_b32 exec_lo, exec_lo, s22
	v_mul_f32_e32 v8, v26, v8
                                        ; implicit-def: $vgpr11
	s_delay_alu instid0(VALU_DEP_1) | instskip(NEXT) | instid1(VALU_DEP_1)
	v_and_b32_e32 v9, 0x7f800000, v8
	v_cmp_ne_u32_e64 s9, 0x7f800000, v9
	s_delay_alu instid0(VALU_DEP_1) | instskip(NEXT) | instid1(SALU_CYCLE_1)
	s_and_saveexec_b32 s22, s9
	s_xor_b32 s9, exec_lo, s22
; %bb.4350:                             ;   in Loop: Header=BB468_3103 Depth=1
	v_bfe_u32 v9, v8, 16, 1
	s_delay_alu instid0(VALU_DEP_1)
	v_add3_u32 v11, v8, v9, 0x7fff
                                        ; implicit-def: $vgpr8
; %bb.4351:                             ;   in Loop: Header=BB468_3103 Depth=1
	s_and_not1_saveexec_b32 s22, s9
; %bb.4352:                             ;   in Loop: Header=BB468_3103 Depth=1
	v_and_b32_e32 v9, 0xffff, v8
	v_or_b32_e32 v11, 0x10000, v8
	s_delay_alu instid0(VALU_DEP_2) | instskip(NEXT) | instid1(VALU_DEP_1)
	v_cmp_eq_u32_e64 s9, 0, v9
	v_cndmask_b32_e64 v11, v11, v8, s9
; %bb.4353:                             ;   in Loop: Header=BB468_3103 Depth=1
	s_or_b32 exec_lo, exec_lo, s22
	v_dual_mov_b32 v12, v7 :: v_dual_and_b32 v9, 0xff, v7
	v_mov_b32_e32 v8, 0
	s_mov_b32 s22, exec_lo
	s_delay_alu instid0(VALU_DEP_2)
	v_cmpx_ne_u16_e32 0, v9
	s_cbranch_execz .LBB468_4361
; %bb.4354:                             ;   in Loop: Header=BB468_3103 Depth=1
	v_bfrev_b32_e32 v8, 1
	s_mov_b32 s23, exec_lo
	v_cmpx_ne_u16_e32 0x80, v9
	s_cbranch_execz .LBB468_4360
; %bb.4355:                             ;   in Loop: Header=BB468_3103 Depth=1
	v_and_b32_e32 v9, 0x7f, v7
	v_mov_b32_e32 v8, 0x7f800001
	s_mov_b32 s24, exec_lo
	s_delay_alu instid0(VALU_DEP_2)
	v_cmpx_ne_u32_e32 0x7f, v9
	s_cbranch_execz .LBB468_4359
; %bb.4356:                             ;   in Loop: Header=BB468_3103 Depth=1
	v_lshrrev_b32_e32 v17, 3, v9
	v_cmp_gt_u32_e64 s9, 8, v9
	v_dual_mov_b32 v8, v12 :: v_dual_mov_b32 v9, v13
	s_delay_alu instid0(VALU_DEP_2)
	s_and_saveexec_b32 s25, s9
; %bb.4357:                             ;   in Loop: Header=BB468_3103 Depth=1
	v_and_b32_e32 v8, 7, v7
	s_delay_alu instid0(VALU_DEP_1) | instskip(NEXT) | instid1(VALU_DEP_1)
	v_clz_i32_u32_e32 v8, v8
	v_min_u32_e32 v17, 32, v8
	s_delay_alu instid0(VALU_DEP_1) | instskip(SKIP_1) | instid1(VALU_DEP_2)
	v_subrev_nc_u32_e32 v8, 28, v17
	v_sub_nc_u32_e32 v17, 29, v17
	v_lshlrev_b64 v[8:9], v8, v[12:13]
; %bb.4358:                             ;   in Loop: Header=BB468_3103 Depth=1
	s_or_b32 exec_lo, exec_lo, s25
	s_delay_alu instid0(VALU_DEP_1) | instskip(SKIP_2) | instid1(VALU_DEP_3)
	v_lshlrev_b32_e32 v8, 20, v8
	v_lshlrev_b32_e32 v9, 24, v12
	v_lshl_add_u32 v17, v17, 23, 0x3c000000
	v_and_b32_e32 v8, 0x700000, v8
	s_delay_alu instid0(VALU_DEP_3) | instskip(NEXT) | instid1(VALU_DEP_1)
	v_and_b32_e32 v9, 0x80000000, v9
	v_or3_b32 v8, v8, v9, v17
.LBB468_4359:                           ;   in Loop: Header=BB468_3103 Depth=1
	s_or_b32 exec_lo, exec_lo, s24
.LBB468_4360:                           ;   in Loop: Header=BB468_3103 Depth=1
	s_delay_alu instid0(SALU_CYCLE_1)
	s_or_b32 exec_lo, exec_lo, s23
.LBB468_4361:                           ;   in Loop: Header=BB468_3103 Depth=1
	s_delay_alu instid0(SALU_CYCLE_1) | instskip(NEXT) | instid1(VALU_DEP_1)
	s_or_b32 exec_lo, exec_lo, s22
	v_mul_f32_e32 v8, v26, v8
                                        ; implicit-def: $vgpr17
	s_delay_alu instid0(VALU_DEP_1) | instskip(NEXT) | instid1(VALU_DEP_1)
	v_and_b32_e32 v9, 0x7f800000, v8
	v_cmp_ne_u32_e64 s9, 0x7f800000, v9
	s_delay_alu instid0(VALU_DEP_1) | instskip(NEXT) | instid1(SALU_CYCLE_1)
	s_and_saveexec_b32 s22, s9
	s_xor_b32 s9, exec_lo, s22
; %bb.4362:                             ;   in Loop: Header=BB468_3103 Depth=1
	v_bfe_u32 v9, v8, 16, 1
	s_delay_alu instid0(VALU_DEP_1)
	v_add3_u32 v17, v8, v9, 0x7fff
                                        ; implicit-def: $vgpr8
; %bb.4363:                             ;   in Loop: Header=BB468_3103 Depth=1
	s_and_not1_saveexec_b32 s22, s9
; %bb.4364:                             ;   in Loop: Header=BB468_3103 Depth=1
	v_and_b32_e32 v9, 0xffff, v8
	v_or_b32_e32 v17, 0x10000, v8
	s_delay_alu instid0(VALU_DEP_2) | instskip(NEXT) | instid1(VALU_DEP_1)
	v_cmp_eq_u32_e64 s9, 0, v9
	v_cndmask_b32_e64 v17, v17, v8, s9
; %bb.4365:                             ;   in Loop: Header=BB468_3103 Depth=1
	s_or_b32 exec_lo, exec_lo, s22
	v_lshrrev_b16 v9, 8, v12
	v_mov_b32_e32 v8, 0
	s_mov_b32 s22, exec_lo
	s_delay_alu instid0(VALU_DEP_2)
	v_cmpx_ne_u16_e32 0, v9
	s_cbranch_execz .LBB468_4373
; %bb.4366:                             ;   in Loop: Header=BB468_3103 Depth=1
	v_bfrev_b32_e32 v8, 1
	s_mov_b32 s23, exec_lo
	v_cmpx_ne_u16_e32 0x80, v9
	s_cbranch_execz .LBB468_4372
; %bb.4367:                             ;   in Loop: Header=BB468_3103 Depth=1
	v_and_b32_e32 v9, 0xffff, v9
	v_mov_b32_e32 v8, 0x7f800001
	s_mov_b32 s24, exec_lo
	s_delay_alu instid0(VALU_DEP_2) | instskip(NEXT) | instid1(VALU_DEP_1)
	v_and_b32_e32 v19, 0x7f, v9
	v_cmpx_ne_u32_e32 0x7f, v19
	s_cbranch_execz .LBB468_4371
; %bb.4368:                             ;   in Loop: Header=BB468_3103 Depth=1
	v_dual_mov_b32 v9, v13 :: v_dual_and_b32 v8, 7, v9
	v_lshrrev_b32_e32 v18, 3, v19
	s_mov_b32 s25, exec_lo
	v_cmpx_gt_u32_e32 8, v19
; %bb.4369:                             ;   in Loop: Header=BB468_3103 Depth=1
	s_delay_alu instid0(VALU_DEP_3) | instskip(NEXT) | instid1(VALU_DEP_1)
	v_clz_i32_u32_e32 v18, v8
	v_min_u32_e32 v18, 32, v18
	s_delay_alu instid0(VALU_DEP_1) | instskip(SKIP_1) | instid1(VALU_DEP_2)
	v_subrev_nc_u32_e32 v19, 28, v18
	v_sub_nc_u32_e32 v18, 29, v18
	v_lshlrev_b64 v[8:9], v19, v[8:9]
	s_delay_alu instid0(VALU_DEP_1)
	v_and_b32_e32 v8, 7, v8
; %bb.4370:                             ;   in Loop: Header=BB468_3103 Depth=1
	s_or_b32 exec_lo, exec_lo, s25
	v_lshlrev_b32_e32 v9, 16, v12
	s_delay_alu instid0(VALU_DEP_2) | instskip(SKIP_1) | instid1(VALU_DEP_3)
	v_lshlrev_b32_e32 v8, 20, v8
	v_lshl_add_u32 v12, v18, 23, 0x3c000000
	v_and_b32_e32 v9, 0x80000000, v9
	s_delay_alu instid0(VALU_DEP_1)
	v_or3_b32 v8, v8, v9, v12
.LBB468_4371:                           ;   in Loop: Header=BB468_3103 Depth=1
	s_or_b32 exec_lo, exec_lo, s24
.LBB468_4372:                           ;   in Loop: Header=BB468_3103 Depth=1
	s_delay_alu instid0(SALU_CYCLE_1)
	s_or_b32 exec_lo, exec_lo, s23
.LBB468_4373:                           ;   in Loop: Header=BB468_3103 Depth=1
	s_delay_alu instid0(SALU_CYCLE_1) | instskip(NEXT) | instid1(VALU_DEP_1)
	s_or_b32 exec_lo, exec_lo, s22
	v_mul_f32_e32 v8, v26, v8
                                        ; implicit-def: $vgpr18
	s_delay_alu instid0(VALU_DEP_1) | instskip(NEXT) | instid1(VALU_DEP_1)
	v_and_b32_e32 v9, 0x7f800000, v8
	v_cmp_ne_u32_e64 s9, 0x7f800000, v9
	s_delay_alu instid0(VALU_DEP_1) | instskip(NEXT) | instid1(SALU_CYCLE_1)
	s_and_saveexec_b32 s22, s9
	s_xor_b32 s9, exec_lo, s22
; %bb.4374:                             ;   in Loop: Header=BB468_3103 Depth=1
	v_bfe_u32 v9, v8, 16, 1
	s_delay_alu instid0(VALU_DEP_1)
	v_add3_u32 v18, v8, v9, 0x7fff
                                        ; implicit-def: $vgpr8
; %bb.4375:                             ;   in Loop: Header=BB468_3103 Depth=1
	s_and_not1_saveexec_b32 s22, s9
; %bb.4376:                             ;   in Loop: Header=BB468_3103 Depth=1
	v_and_b32_e32 v9, 0xffff, v8
	v_or_b32_e32 v12, 0x10000, v8
	s_delay_alu instid0(VALU_DEP_2) | instskip(NEXT) | instid1(VALU_DEP_1)
	v_cmp_eq_u32_e64 s9, 0, v9
	v_cndmask_b32_e64 v18, v12, v8, s9
; %bb.4377:                             ;   in Loop: Header=BB468_3103 Depth=1
	s_or_b32 exec_lo, exec_lo, s22
	v_lshrrev_b32_e32 v19, 16, v7
	s_mov_b32 s22, exec_lo
	s_delay_alu instid0(VALU_DEP_1) | instskip(NEXT) | instid1(VALU_DEP_1)
	v_dual_mov_b32 v8, 0 :: v_dual_and_b32 v9, 0xff, v19
	v_cmpx_ne_u16_e32 0, v9
	s_cbranch_execz .LBB468_4385
; %bb.4378:                             ;   in Loop: Header=BB468_3103 Depth=1
	v_bfrev_b32_e32 v8, 1
	s_mov_b32 s23, exec_lo
	v_cmpx_ne_u16_e32 0x80, v9
	s_cbranch_execz .LBB468_4384
; %bb.4379:                             ;   in Loop: Header=BB468_3103 Depth=1
	v_bfe_u32 v9, v7, 16, 7
	v_mov_b32_e32 v8, 0x7f800001
	s_mov_b32 s24, exec_lo
	s_delay_alu instid0(VALU_DEP_2)
	v_cmpx_ne_u32_e32 0x7f, v9
	s_cbranch_execz .LBB468_4383
; %bb.4380:                             ;   in Loop: Header=BB468_3103 Depth=1
	v_and_b32_e32 v12, 7, v19
	v_lshrrev_b32_e32 v20, 3, v9
	v_cmp_gt_u32_e64 s9, 8, v9
	s_delay_alu instid0(VALU_DEP_3) | instskip(NEXT) | instid1(VALU_DEP_2)
	v_dual_mov_b32 v8, v12 :: v_dual_mov_b32 v9, v13
	s_and_saveexec_b32 s25, s9
; %bb.4381:                             ;   in Loop: Header=BB468_3103 Depth=1
	v_clz_i32_u32_e32 v8, v12
	s_delay_alu instid0(VALU_DEP_1) | instskip(NEXT) | instid1(VALU_DEP_1)
	v_min_u32_e32 v20, 32, v8
	v_subrev_nc_u32_e32 v8, 28, v20
	v_sub_nc_u32_e32 v20, 29, v20
	s_delay_alu instid0(VALU_DEP_2) | instskip(NEXT) | instid1(VALU_DEP_1)
	v_lshlrev_b64 v[8:9], v8, v[12:13]
	v_and_b32_e32 v8, 7, v8
; %bb.4382:                             ;   in Loop: Header=BB468_3103 Depth=1
	s_or_b32 exec_lo, exec_lo, s25
	v_lshlrev_b32_e32 v9, 24, v19
	s_delay_alu instid0(VALU_DEP_2) | instskip(SKIP_1) | instid1(VALU_DEP_3)
	v_lshlrev_b32_e32 v8, 20, v8
	v_lshl_add_u32 v12, v20, 23, 0x3c000000
	v_and_b32_e32 v9, 0x80000000, v9
	s_delay_alu instid0(VALU_DEP_1)
	v_or3_b32 v8, v8, v9, v12
.LBB468_4383:                           ;   in Loop: Header=BB468_3103 Depth=1
	s_or_b32 exec_lo, exec_lo, s24
.LBB468_4384:                           ;   in Loop: Header=BB468_3103 Depth=1
	s_delay_alu instid0(SALU_CYCLE_1)
	s_or_b32 exec_lo, exec_lo, s23
.LBB468_4385:                           ;   in Loop: Header=BB468_3103 Depth=1
	s_delay_alu instid0(SALU_CYCLE_1) | instskip(NEXT) | instid1(VALU_DEP_1)
	s_or_b32 exec_lo, exec_lo, s22
	v_mul_f32_e32 v8, v26, v8
	s_delay_alu instid0(VALU_DEP_1) | instskip(NEXT) | instid1(VALU_DEP_1)
	v_and_b32_e32 v9, 0x7f800000, v8
	v_cmp_ne_u32_e64 s9, 0x7f800000, v9
                                        ; implicit-def: $vgpr9
	s_delay_alu instid0(VALU_DEP_1) | instskip(NEXT) | instid1(SALU_CYCLE_1)
	s_and_saveexec_b32 s22, s9
	s_xor_b32 s9, exec_lo, s22
; %bb.4386:                             ;   in Loop: Header=BB468_3103 Depth=1
	v_bfe_u32 v9, v8, 16, 1
	s_delay_alu instid0(VALU_DEP_1)
	v_add3_u32 v9, v8, v9, 0x7fff
                                        ; implicit-def: $vgpr8
; %bb.4387:                             ;   in Loop: Header=BB468_3103 Depth=1
	s_and_not1_saveexec_b32 s22, s9
; %bb.4388:                             ;   in Loop: Header=BB468_3103 Depth=1
	v_and_b32_e32 v9, 0xffff, v8
	v_or_b32_e32 v12, 0x10000, v8
	s_delay_alu instid0(VALU_DEP_2) | instskip(NEXT) | instid1(VALU_DEP_1)
	v_cmp_eq_u32_e64 s9, 0, v9
	v_cndmask_b32_e64 v9, v12, v8, s9
; %bb.4389:                             ;   in Loop: Header=BB468_3103 Depth=1
	s_or_b32 exec_lo, exec_lo, s22
	v_cmp_lt_u64_e64 s9, s[12:13], v[6:7]
	v_mov_b32_e32 v6, 0
	s_delay_alu instid0(VALU_DEP_2)
	s_and_saveexec_b32 s22, s9
	s_cbranch_execz .LBB468_4397
; %bb.4390:                             ;   in Loop: Header=BB468_3103 Depth=1
	v_lshrrev_b32_e32 v8, 24, v7
	v_bfrev_b32_e32 v6, 1
	s_mov_b32 s23, exec_lo
	s_delay_alu instid0(VALU_DEP_2)
	v_cmpx_ne_u32_e32 0x80, v8
	s_cbranch_execz .LBB468_4396
; %bb.4391:                             ;   in Loop: Header=BB468_3103 Depth=1
	v_bfe_u32 v7, v7, 24, 7
	v_mov_b32_e32 v6, 0x7f800001
	s_mov_b32 s24, exec_lo
	s_delay_alu instid0(VALU_DEP_2)
	v_cmpx_ne_u32_e32 0x7f, v7
	s_cbranch_execz .LBB468_4395
; %bb.4392:                             ;   in Loop: Header=BB468_3103 Depth=1
	v_and_b32_e32 v12, 7, v8
	v_lshrrev_b32_e32 v19, 3, v7
	v_cmp_gt_u32_e64 s9, 8, v7
	s_delay_alu instid0(VALU_DEP_3) | instskip(NEXT) | instid1(VALU_DEP_2)
	v_dual_mov_b32 v6, v12 :: v_dual_mov_b32 v7, v13
	s_and_saveexec_b32 s25, s9
; %bb.4393:                             ;   in Loop: Header=BB468_3103 Depth=1
	v_clz_i32_u32_e32 v6, v12
	s_delay_alu instid0(VALU_DEP_1) | instskip(NEXT) | instid1(VALU_DEP_1)
	v_min_u32_e32 v19, 32, v6
	v_subrev_nc_u32_e32 v6, 28, v19
	v_sub_nc_u32_e32 v19, 29, v19
	s_delay_alu instid0(VALU_DEP_2) | instskip(NEXT) | instid1(VALU_DEP_1)
	v_lshlrev_b64 v[6:7], v6, v[12:13]
	v_and_b32_e32 v6, 7, v6
; %bb.4394:                             ;   in Loop: Header=BB468_3103 Depth=1
	s_or_b32 exec_lo, exec_lo, s25
	v_lshlrev_b32_e32 v7, 24, v8
	s_delay_alu instid0(VALU_DEP_2) | instskip(SKIP_1) | instid1(VALU_DEP_3)
	v_lshlrev_b32_e32 v6, 20, v6
	v_lshl_add_u32 v8, v19, 23, 0x3c000000
	v_and_b32_e32 v7, 0x80000000, v7
	s_delay_alu instid0(VALU_DEP_1)
	v_or3_b32 v6, v6, v7, v8
.LBB468_4395:                           ;   in Loop: Header=BB468_3103 Depth=1
	s_or_b32 exec_lo, exec_lo, s24
.LBB468_4396:                           ;   in Loop: Header=BB468_3103 Depth=1
	s_delay_alu instid0(SALU_CYCLE_1)
	s_or_b32 exec_lo, exec_lo, s23
.LBB468_4397:                           ;   in Loop: Header=BB468_3103 Depth=1
	s_delay_alu instid0(SALU_CYCLE_1) | instskip(NEXT) | instid1(VALU_DEP_1)
	s_or_b32 exec_lo, exec_lo, s22
	v_mul_f32_e32 v6, v26, v6
                                        ; implicit-def: $vgpr19
	s_delay_alu instid0(VALU_DEP_1) | instskip(NEXT) | instid1(VALU_DEP_1)
	v_and_b32_e32 v7, 0x7f800000, v6
	v_cmp_ne_u32_e64 s9, 0x7f800000, v7
	s_delay_alu instid0(VALU_DEP_1) | instskip(NEXT) | instid1(SALU_CYCLE_1)
	s_and_saveexec_b32 s22, s9
	s_xor_b32 s9, exec_lo, s22
; %bb.4398:                             ;   in Loop: Header=BB468_3103 Depth=1
	v_bfe_u32 v7, v6, 16, 1
	s_delay_alu instid0(VALU_DEP_1)
	v_add3_u32 v19, v6, v7, 0x7fff
                                        ; implicit-def: $vgpr6
; %bb.4399:                             ;   in Loop: Header=BB468_3103 Depth=1
	s_and_not1_saveexec_b32 s22, s9
; %bb.4400:                             ;   in Loop: Header=BB468_3103 Depth=1
	v_and_b32_e32 v7, 0xffff, v6
	v_or_b32_e32 v8, 0x10000, v6
	s_delay_alu instid0(VALU_DEP_2) | instskip(NEXT) | instid1(VALU_DEP_1)
	v_cmp_eq_u32_e64 s9, 0, v7
	v_cndmask_b32_e64 v19, v8, v6, s9
; %bb.4401:                             ;   in Loop: Header=BB468_3103 Depth=1
	s_or_b32 exec_lo, exec_lo, s22
	v_lshrrev_b32_e32 v6, 16, v18
	v_lshrrev_b32_e32 v7, 16, v17
	;; [unrolled: 1-line block ×8, first 2 shown]
	s_and_saveexec_b32 s9, s3
; %bb.4402:                             ;   in Loop: Header=BB468_3103 Depth=1
	s_delay_alu instid0(VALU_DEP_3)
	v_cndmask_b32_e32 v12, 0, v12, vcc_lo
	v_cndmask_b32_e64 v11, 0, v11, s1
	v_cndmask_b32_e64 v10, 0, v10, s2
	;; [unrolled: 1-line block ×7, first 2 shown]
; %bb.4403:                             ;   in Loop: Header=BB468_3103 Depth=1
	s_or_b32 exec_lo, exec_lo, s9
	v_lshlrev_b32_e32 v9, 16, v12
	s_delay_alu instid0(VALU_DEP_1) | instskip(NEXT) | instid1(VALU_DEP_1)
	v_mul_f32_e32 v9, v151, v9
	v_and_b32_e32 v12, 0x7f800000, v9
	s_delay_alu instid0(VALU_DEP_1) | instskip(NEXT) | instid1(VALU_DEP_1)
	v_cmp_ne_u32_e64 s9, 0x7f800000, v12
                                        ; implicit-def: $vgpr12
                                        ; kill: killed $vgpr12
	s_and_saveexec_b32 s22, s9
	s_delay_alu instid0(SALU_CYCLE_1)
	s_xor_b32 s9, exec_lo, s22
	s_cbranch_execz .LBB468_4405
; %bb.4404:                             ;   in Loop: Header=BB468_3103 Depth=1
	v_bfe_u32 v12, v9, 16, 1
	s_delay_alu instid0(VALU_DEP_1)
	v_add3_u32 v9, v9, v12, 0x7fff
	scratch_store_b32 off, v9, s32 offset:616 ; 4-byte Folded Spill
                                        ; implicit-def: $vgpr9
.LBB468_4405:                           ;   in Loop: Header=BB468_3103 Depth=1
	s_and_not1_saveexec_b32 s22, s9
	s_cbranch_execz .LBB468_4407
; %bb.4406:                             ;   in Loop: Header=BB468_3103 Depth=1
	v_and_b32_e32 v12, 0xffff, v9
	v_or_b32_e32 v17, 0x10000, v9
	s_delay_alu instid0(VALU_DEP_2) | instskip(NEXT) | instid1(VALU_DEP_1)
	v_cmp_eq_u32_e64 s9, 0, v12
	v_cndmask_b32_e64 v9, v17, v9, s9
	scratch_store_b32 off, v9, s32 offset:616 ; 4-byte Folded Spill
.LBB468_4407:                           ;   in Loop: Header=BB468_3103 Depth=1
	s_or_b32 exec_lo, exec_lo, s22
	v_lshlrev_b32_e32 v9, 16, v11
	s_delay_alu instid0(VALU_DEP_1) | instskip(NEXT) | instid1(VALU_DEP_1)
	v_mul_f32_e32 v9, v160, v9
	v_and_b32_e32 v11, 0x7f800000, v9
	s_delay_alu instid0(VALU_DEP_1) | instskip(NEXT) | instid1(VALU_DEP_1)
	v_cmp_ne_u32_e64 s9, 0x7f800000, v11
                                        ; implicit-def: $vgpr11
                                        ; kill: killed $vgpr11
	s_and_saveexec_b32 s22, s9
	s_delay_alu instid0(SALU_CYCLE_1)
	s_xor_b32 s9, exec_lo, s22
	s_cbranch_execz .LBB468_4409
; %bb.4408:                             ;   in Loop: Header=BB468_3103 Depth=1
	v_bfe_u32 v11, v9, 16, 1
	s_delay_alu instid0(VALU_DEP_1)
	v_add3_u32 v9, v9, v11, 0x7fff
	scratch_store_b32 off, v9, s32 offset:620 ; 4-byte Folded Spill
                                        ; implicit-def: $vgpr9
.LBB468_4409:                           ;   in Loop: Header=BB468_3103 Depth=1
	s_and_not1_saveexec_b32 s22, s9
	s_cbranch_execz .LBB468_4411
; %bb.4410:                             ;   in Loop: Header=BB468_3103 Depth=1
	v_and_b32_e32 v11, 0xffff, v9
	v_or_b32_e32 v12, 0x10000, v9
	s_delay_alu instid0(VALU_DEP_2) | instskip(NEXT) | instid1(VALU_DEP_1)
	v_cmp_eq_u32_e64 s9, 0, v11
	v_cndmask_b32_e64 v9, v12, v9, s9
	scratch_store_b32 off, v9, s32 offset:620 ; 4-byte Folded Spill
.LBB468_4411:                           ;   in Loop: Header=BB468_3103 Depth=1
	s_or_b32 exec_lo, exec_lo, s22
	v_lshlrev_b32_e32 v9, 16, v10
	s_delay_alu instid0(VALU_DEP_1) | instskip(NEXT) | instid1(VALU_DEP_1)
	v_mul_f32_e32 v9, v161, v9
	v_and_b32_e32 v10, 0x7f800000, v9
	s_delay_alu instid0(VALU_DEP_1) | instskip(NEXT) | instid1(VALU_DEP_1)
	v_cmp_ne_u32_e64 s9, 0x7f800000, v10
                                        ; implicit-def: $vgpr10
                                        ; kill: killed $vgpr10
	s_and_saveexec_b32 s22, s9
	s_delay_alu instid0(SALU_CYCLE_1)
	s_xor_b32 s9, exec_lo, s22
	s_cbranch_execz .LBB468_4413
; %bb.4412:                             ;   in Loop: Header=BB468_3103 Depth=1
	v_bfe_u32 v10, v9, 16, 1
	s_delay_alu instid0(VALU_DEP_1)
	v_add3_u32 v9, v9, v10, 0x7fff
	scratch_store_b32 off, v9, s32 offset:624 ; 4-byte Folded Spill
                                        ; implicit-def: $vgpr9
.LBB468_4413:                           ;   in Loop: Header=BB468_3103 Depth=1
	s_and_not1_saveexec_b32 s22, s9
	s_cbranch_execz .LBB468_4415
; %bb.4414:                             ;   in Loop: Header=BB468_3103 Depth=1
	v_and_b32_e32 v10, 0xffff, v9
	v_or_b32_e32 v11, 0x10000, v9
	s_delay_alu instid0(VALU_DEP_2) | instskip(NEXT) | instid1(VALU_DEP_1)
	v_cmp_eq_u32_e64 s9, 0, v10
	v_cndmask_b32_e64 v9, v11, v9, s9
	scratch_store_b32 off, v9, s32 offset:624 ; 4-byte Folded Spill
.LBB468_4415:                           ;   in Loop: Header=BB468_3103 Depth=1
	s_or_b32 exec_lo, exec_lo, s22
	v_lshlrev_b32_e32 v8, 16, v8
	s_delay_alu instid0(VALU_DEP_1) | instskip(NEXT) | instid1(VALU_DEP_1)
	v_mul_f32_e32 v8, v162, v8
	v_and_b32_e32 v9, 0x7f800000, v8
	s_delay_alu instid0(VALU_DEP_1) | instskip(NEXT) | instid1(VALU_DEP_1)
	v_cmp_ne_u32_e64 s9, 0x7f800000, v9
                                        ; implicit-def: $vgpr9
                                        ; kill: killed $vgpr9
	s_and_saveexec_b32 s22, s9
	s_delay_alu instid0(SALU_CYCLE_1)
	s_xor_b32 s9, exec_lo, s22
	s_cbranch_execz .LBB468_4417
; %bb.4416:                             ;   in Loop: Header=BB468_3103 Depth=1
	v_bfe_u32 v9, v8, 16, 1
	s_delay_alu instid0(VALU_DEP_1)
	v_add3_u32 v8, v8, v9, 0x7fff
	scratch_store_b32 off, v8, s32 offset:628 ; 4-byte Folded Spill
                                        ; implicit-def: $vgpr8
.LBB468_4417:                           ;   in Loop: Header=BB468_3103 Depth=1
	s_and_not1_saveexec_b32 s22, s9
	s_cbranch_execz .LBB468_4419
; %bb.4418:                             ;   in Loop: Header=BB468_3103 Depth=1
	v_and_b32_e32 v9, 0xffff, v8
	v_or_b32_e32 v10, 0x10000, v8
	s_delay_alu instid0(VALU_DEP_2) | instskip(NEXT) | instid1(VALU_DEP_1)
	v_cmp_eq_u32_e64 s9, 0, v9
	v_cndmask_b32_e64 v8, v10, v8, s9
	scratch_store_b32 off, v8, s32 offset:628 ; 4-byte Folded Spill
.LBB468_4419:                           ;   in Loop: Header=BB468_3103 Depth=1
	s_or_b32 exec_lo, exec_lo, s22
	v_lshlrev_b32_e32 v7, 16, v7
	s_delay_alu instid0(VALU_DEP_1) | instskip(NEXT) | instid1(VALU_DEP_1)
	v_mul_f32_e32 v7, v163, v7
	v_and_b32_e32 v8, 0x7f800000, v7
	s_delay_alu instid0(VALU_DEP_1) | instskip(NEXT) | instid1(VALU_DEP_1)
	v_cmp_ne_u32_e64 s9, 0x7f800000, v8
                                        ; implicit-def: $vgpr8
                                        ; kill: killed $vgpr8
	s_and_saveexec_b32 s22, s9
	s_delay_alu instid0(SALU_CYCLE_1)
	s_xor_b32 s9, exec_lo, s22
	s_cbranch_execz .LBB468_4421
; %bb.4420:                             ;   in Loop: Header=BB468_3103 Depth=1
	v_bfe_u32 v8, v7, 16, 1
	s_delay_alu instid0(VALU_DEP_1)
	v_add3_u32 v7, v7, v8, 0x7fff
	scratch_store_b32 off, v7, s32 offset:632 ; 4-byte Folded Spill
                                        ; implicit-def: $vgpr7
.LBB468_4421:                           ;   in Loop: Header=BB468_3103 Depth=1
	s_and_not1_saveexec_b32 s22, s9
	s_cbranch_execz .LBB468_4423
; %bb.4422:                             ;   in Loop: Header=BB468_3103 Depth=1
	v_and_b32_e32 v8, 0xffff, v7
	v_or_b32_e32 v9, 0x10000, v7
	s_delay_alu instid0(VALU_DEP_2) | instskip(NEXT) | instid1(VALU_DEP_1)
	v_cmp_eq_u32_e64 s9, 0, v8
	v_cndmask_b32_e64 v7, v9, v7, s9
	scratch_store_b32 off, v7, s32 offset:632 ; 4-byte Folded Spill
.LBB468_4423:                           ;   in Loop: Header=BB468_3103 Depth=1
	s_or_b32 exec_lo, exec_lo, s22
	v_lshlrev_b32_e32 v6, 16, v6
	s_delay_alu instid0(VALU_DEP_1) | instskip(NEXT) | instid1(VALU_DEP_1)
	v_mul_f32_e32 v6, v164, v6
	v_and_b32_e32 v7, 0x7f800000, v6
	s_delay_alu instid0(VALU_DEP_1) | instskip(NEXT) | instid1(VALU_DEP_1)
	v_cmp_ne_u32_e64 s9, 0x7f800000, v7
                                        ; implicit-def: $vgpr7
                                        ; kill: killed $vgpr7
	s_and_saveexec_b32 s22, s9
	s_delay_alu instid0(SALU_CYCLE_1)
	s_xor_b32 s9, exec_lo, s22
	s_cbranch_execz .LBB468_4425
; %bb.4424:                             ;   in Loop: Header=BB468_3103 Depth=1
	v_bfe_u32 v7, v6, 16, 1
	s_delay_alu instid0(VALU_DEP_1)
	v_add3_u32 v6, v6, v7, 0x7fff
	scratch_store_b32 off, v6, s32 offset:636 ; 4-byte Folded Spill
                                        ; implicit-def: $vgpr6
.LBB468_4425:                           ;   in Loop: Header=BB468_3103 Depth=1
	s_and_not1_saveexec_b32 s22, s9
	s_cbranch_execz .LBB468_4427
; %bb.4426:                             ;   in Loop: Header=BB468_3103 Depth=1
	v_and_b32_e32 v7, 0xffff, v6
	v_or_b32_e32 v8, 0x10000, v6
	s_delay_alu instid0(VALU_DEP_2) | instskip(NEXT) | instid1(VALU_DEP_1)
	v_cmp_eq_u32_e64 s9, 0, v7
	v_cndmask_b32_e64 v6, v8, v6, s9
	scratch_store_b32 off, v6, s32 offset:636 ; 4-byte Folded Spill
.LBB468_4427:                           ;   in Loop: Header=BB468_3103 Depth=1
	s_or_b32 exec_lo, exec_lo, s22
	v_lshlrev_b32_e32 v5, 16, v5
	s_delay_alu instid0(VALU_DEP_1) | instskip(NEXT) | instid1(VALU_DEP_1)
	v_mul_f32_e32 v5, v165, v5
	v_and_b32_e32 v6, 0x7f800000, v5
	s_delay_alu instid0(VALU_DEP_1) | instskip(NEXT) | instid1(VALU_DEP_1)
	v_cmp_ne_u32_e64 s9, 0x7f800000, v6
                                        ; implicit-def: $vgpr6
                                        ; kill: killed $vgpr6
	s_and_saveexec_b32 s22, s9
	s_delay_alu instid0(SALU_CYCLE_1)
	s_xor_b32 s9, exec_lo, s22
	s_cbranch_execz .LBB468_4429
; %bb.4428:                             ;   in Loop: Header=BB468_3103 Depth=1
	v_bfe_u32 v6, v5, 16, 1
	s_delay_alu instid0(VALU_DEP_1)
	v_add3_u32 v5, v5, v6, 0x7fff
	scratch_store_b32 off, v5, s32 offset:640 ; 4-byte Folded Spill
                                        ; implicit-def: $vgpr5
.LBB468_4429:                           ;   in Loop: Header=BB468_3103 Depth=1
	s_and_not1_saveexec_b32 s22, s9
	s_cbranch_execz .LBB468_4431
; %bb.4430:                             ;   in Loop: Header=BB468_3103 Depth=1
	v_and_b32_e32 v6, 0xffff, v5
	v_or_b32_e32 v7, 0x10000, v5
	s_delay_alu instid0(VALU_DEP_2) | instskip(NEXT) | instid1(VALU_DEP_1)
	v_cmp_eq_u32_e64 s9, 0, v6
	v_cndmask_b32_e64 v5, v7, v5, s9
	scratch_store_b32 off, v5, s32 offset:640 ; 4-byte Folded Spill
.LBB468_4431:                           ;   in Loop: Header=BB468_3103 Depth=1
	s_or_b32 exec_lo, exec_lo, s22
	v_lshlrev_b32_e32 v4, 16, v4
	s_delay_alu instid0(VALU_DEP_1) | instskip(NEXT) | instid1(VALU_DEP_1)
	v_mul_f32_e32 v4, v166, v4
	v_and_b32_e32 v5, 0x7f800000, v4
	s_delay_alu instid0(VALU_DEP_1) | instskip(NEXT) | instid1(VALU_DEP_1)
	v_cmp_ne_u32_e64 s9, 0x7f800000, v5
                                        ; implicit-def: $vgpr5
                                        ; kill: killed $vgpr5
	s_and_saveexec_b32 s22, s9
	s_delay_alu instid0(SALU_CYCLE_1)
	s_xor_b32 s9, exec_lo, s22
	s_cbranch_execz .LBB468_4433
; %bb.4432:                             ;   in Loop: Header=BB468_3103 Depth=1
	v_bfe_u32 v5, v4, 16, 1
	s_delay_alu instid0(VALU_DEP_1)
	v_add3_u32 v4, v4, v5, 0x7fff
	scratch_store_b32 off, v4, s32 offset:644 ; 4-byte Folded Spill
                                        ; implicit-def: $vgpr4
.LBB468_4433:                           ;   in Loop: Header=BB468_3103 Depth=1
	s_and_not1_saveexec_b32 s22, s9
	s_cbranch_execz .LBB468_4435
; %bb.4434:                             ;   in Loop: Header=BB468_3103 Depth=1
	v_and_b32_e32 v5, 0xffff, v4
	v_or_b32_e32 v6, 0x10000, v4
	s_delay_alu instid0(VALU_DEP_2) | instskip(NEXT) | instid1(VALU_DEP_1)
	v_cmp_eq_u32_e64 s9, 0, v5
	v_cndmask_b32_e64 v4, v6, v4, s9
	scratch_store_b32 off, v4, s32 offset:644 ; 4-byte Folded Spill
.LBB468_4435:                           ;   in Loop: Header=BB468_3103 Depth=1
	s_or_b32 exec_lo, exec_lo, s22
	flat_load_b64 v[6:7], v[2:3] offset:2560
	s_mov_b32 s22, exec_lo
	s_waitcnt vmcnt(0) lgkmcnt(0)
	v_dual_mov_b32 v4, 0 :: v_dual_and_b32 v5, 0xff, v6
	s_delay_alu instid0(VALU_DEP_1)
	v_cmpx_ne_u16_e32 0, v5
	s_cbranch_execz .LBB468_4443
; %bb.4436:                             ;   in Loop: Header=BB468_3103 Depth=1
	v_bfrev_b32_e32 v4, 1
	s_mov_b32 s23, exec_lo
	v_cmpx_ne_u16_e32 0x80, v5
	s_cbranch_execz .LBB468_4442
; %bb.4437:                             ;   in Loop: Header=BB468_3103 Depth=1
	v_and_b32_e32 v5, 0x7f, v6
	v_mov_b32_e32 v4, 0x7f800001
	s_mov_b32 s24, exec_lo
	s_delay_alu instid0(VALU_DEP_2)
	v_cmpx_ne_u32_e32 0x7f, v5
	s_cbranch_execz .LBB468_4441
; %bb.4438:                             ;   in Loop: Header=BB468_3103 Depth=1
	v_lshrrev_b32_e32 v4, 3, v5
	v_dual_mov_b32 v9, v7 :: v_dual_mov_b32 v8, v6
	s_mov_b32 s25, exec_lo
	v_cmpx_gt_u32_e32 8, v5
; %bb.4439:                             ;   in Loop: Header=BB468_3103 Depth=1
	v_and_b32_e32 v4, 7, v6
	s_delay_alu instid0(VALU_DEP_1) | instskip(NEXT) | instid1(VALU_DEP_1)
	v_clz_i32_u32_e32 v4, v4
	v_min_u32_e32 v4, 32, v4
	s_delay_alu instid0(VALU_DEP_1) | instskip(SKIP_1) | instid1(VALU_DEP_2)
	v_subrev_nc_u32_e32 v5, 28, v4
	v_sub_nc_u32_e32 v4, 29, v4
	v_lshlrev_b64 v[8:9], v5, v[6:7]
; %bb.4440:                             ;   in Loop: Header=BB468_3103 Depth=1
	s_or_b32 exec_lo, exec_lo, s25
	s_delay_alu instid0(VALU_DEP_1) | instskip(SKIP_2) | instid1(VALU_DEP_3)
	v_lshlrev_b32_e32 v5, 20, v8
	v_lshlrev_b32_e32 v8, 24, v6
	v_lshl_add_u32 v4, v4, 23, 0x3c000000
	v_and_b32_e32 v5, 0x700000, v5
	s_delay_alu instid0(VALU_DEP_3) | instskip(NEXT) | instid1(VALU_DEP_1)
	v_and_b32_e32 v8, 0x80000000, v8
	v_or3_b32 v4, v5, v8, v4
.LBB468_4441:                           ;   in Loop: Header=BB468_3103 Depth=1
	s_or_b32 exec_lo, exec_lo, s24
.LBB468_4442:                           ;   in Loop: Header=BB468_3103 Depth=1
	s_delay_alu instid0(SALU_CYCLE_1)
	s_or_b32 exec_lo, exec_lo, s23
.LBB468_4443:                           ;   in Loop: Header=BB468_3103 Depth=1
	s_delay_alu instid0(SALU_CYCLE_1) | instskip(NEXT) | instid1(VALU_DEP_1)
	s_or_b32 exec_lo, exec_lo, s22
	v_mul_f32_e32 v5, v26, v4
	s_delay_alu instid0(VALU_DEP_1) | instskip(NEXT) | instid1(VALU_DEP_1)
	v_and_b32_e32 v4, 0x7f800000, v5
	v_cmp_ne_u32_e64 s9, 0x7f800000, v4
                                        ; implicit-def: $vgpr4
	s_delay_alu instid0(VALU_DEP_1) | instskip(NEXT) | instid1(SALU_CYCLE_1)
	s_and_saveexec_b32 s22, s9
	s_xor_b32 s9, exec_lo, s22
; %bb.4444:                             ;   in Loop: Header=BB468_3103 Depth=1
	v_bfe_u32 v4, v5, 16, 1
	s_delay_alu instid0(VALU_DEP_1)
	v_add3_u32 v4, v5, v4, 0x7fff
                                        ; implicit-def: $vgpr5
; %bb.4445:                             ;   in Loop: Header=BB468_3103 Depth=1
	s_and_not1_saveexec_b32 s22, s9
; %bb.4446:                             ;   in Loop: Header=BB468_3103 Depth=1
	v_and_b32_e32 v4, 0xffff, v5
	v_or_b32_e32 v8, 0x10000, v5
	s_delay_alu instid0(VALU_DEP_2) | instskip(NEXT) | instid1(VALU_DEP_1)
	v_cmp_eq_u32_e64 s9, 0, v4
	v_cndmask_b32_e64 v4, v8, v5, s9
; %bb.4447:                             ;   in Loop: Header=BB468_3103 Depth=1
	s_or_b32 exec_lo, exec_lo, s22
	v_lshrrev_b16 v8, 8, v6
	v_mov_b32_e32 v5, 0
	s_mov_b32 s22, exec_lo
	s_delay_alu instid0(VALU_DEP_2)
	v_cmpx_ne_u16_e32 0, v8
	s_cbranch_execz .LBB468_4455
; %bb.4448:                             ;   in Loop: Header=BB468_3103 Depth=1
	v_bfrev_b32_e32 v5, 1
	s_mov_b32 s23, exec_lo
	v_cmpx_ne_u16_e32 0x80, v8
	s_cbranch_execz .LBB468_4454
; %bb.4449:                             ;   in Loop: Header=BB468_3103 Depth=1
	v_and_b32_e32 v9, 0xffff, v8
	v_mov_b32_e32 v5, 0x7f800001
	s_mov_b32 s24, exec_lo
	s_delay_alu instid0(VALU_DEP_2) | instskip(NEXT) | instid1(VALU_DEP_1)
	v_and_b32_e32 v8, 0x7f, v9
	v_cmpx_ne_u32_e32 0x7f, v8
	s_cbranch_execz .LBB468_4453
; %bb.4450:                             ;   in Loop: Header=BB468_3103 Depth=1
	v_and_b32_e32 v12, 7, v9
	v_lshrrev_b32_e32 v5, 3, v8
	v_cmp_gt_u32_e64 s9, 8, v8
	s_delay_alu instid0(VALU_DEP_3) | instskip(NEXT) | instid1(VALU_DEP_2)
	v_dual_mov_b32 v8, v12 :: v_dual_mov_b32 v9, v13
	s_and_saveexec_b32 s25, s9
; %bb.4451:                             ;   in Loop: Header=BB468_3103 Depth=1
	v_clz_i32_u32_e32 v5, v12
	s_delay_alu instid0(VALU_DEP_1) | instskip(NEXT) | instid1(VALU_DEP_1)
	v_min_u32_e32 v5, 32, v5
	v_subrev_nc_u32_e32 v8, 28, v5
	v_sub_nc_u32_e32 v5, 29, v5
	s_delay_alu instid0(VALU_DEP_2) | instskip(NEXT) | instid1(VALU_DEP_1)
	v_lshlrev_b64 v[8:9], v8, v[12:13]
	v_and_b32_e32 v8, 7, v8
; %bb.4452:                             ;   in Loop: Header=BB468_3103 Depth=1
	s_or_b32 exec_lo, exec_lo, s25
	v_lshlrev_b32_e32 v9, 16, v6
	s_delay_alu instid0(VALU_DEP_2) | instskip(SKIP_1) | instid1(VALU_DEP_3)
	v_lshlrev_b32_e32 v8, 20, v8
	v_lshl_add_u32 v5, v5, 23, 0x3c000000
	v_and_b32_e32 v9, 0x80000000, v9
	s_delay_alu instid0(VALU_DEP_1)
	v_or3_b32 v5, v8, v9, v5
.LBB468_4453:                           ;   in Loop: Header=BB468_3103 Depth=1
	s_or_b32 exec_lo, exec_lo, s24
.LBB468_4454:                           ;   in Loop: Header=BB468_3103 Depth=1
	s_delay_alu instid0(SALU_CYCLE_1)
	s_or_b32 exec_lo, exec_lo, s23
.LBB468_4455:                           ;   in Loop: Header=BB468_3103 Depth=1
	s_delay_alu instid0(SALU_CYCLE_1) | instskip(NEXT) | instid1(VALU_DEP_1)
	s_or_b32 exec_lo, exec_lo, s22
	v_mul_f32_e32 v8, v26, v5
	s_delay_alu instid0(VALU_DEP_1) | instskip(NEXT) | instid1(VALU_DEP_1)
	v_and_b32_e32 v5, 0x7f800000, v8
	v_cmp_ne_u32_e64 s9, 0x7f800000, v5
                                        ; implicit-def: $vgpr5
	s_delay_alu instid0(VALU_DEP_1) | instskip(NEXT) | instid1(SALU_CYCLE_1)
	s_and_saveexec_b32 s22, s9
	s_xor_b32 s9, exec_lo, s22
; %bb.4456:                             ;   in Loop: Header=BB468_3103 Depth=1
	v_bfe_u32 v5, v8, 16, 1
	s_delay_alu instid0(VALU_DEP_1)
	v_add3_u32 v5, v8, v5, 0x7fff
                                        ; implicit-def: $vgpr8
; %bb.4457:                             ;   in Loop: Header=BB468_3103 Depth=1
	s_and_not1_saveexec_b32 s22, s9
; %bb.4458:                             ;   in Loop: Header=BB468_3103 Depth=1
	v_and_b32_e32 v5, 0xffff, v8
	v_or_b32_e32 v9, 0x10000, v8
	s_delay_alu instid0(VALU_DEP_2) | instskip(NEXT) | instid1(VALU_DEP_1)
	v_cmp_eq_u32_e64 s9, 0, v5
	v_cndmask_b32_e64 v5, v9, v8, s9
; %bb.4459:                             ;   in Loop: Header=BB468_3103 Depth=1
	s_or_b32 exec_lo, exec_lo, s22
	v_lshrrev_b32_e32 v10, 16, v6
	s_mov_b32 s22, exec_lo
	s_delay_alu instid0(VALU_DEP_1) | instskip(NEXT) | instid1(VALU_DEP_1)
	v_dual_mov_b32 v8, 0 :: v_dual_and_b32 v9, 0xff, v10
	v_cmpx_ne_u16_e32 0, v9
	s_cbranch_execz .LBB468_4467
; %bb.4460:                             ;   in Loop: Header=BB468_3103 Depth=1
	v_bfrev_b32_e32 v8, 1
	s_mov_b32 s23, exec_lo
	v_cmpx_ne_u16_e32 0x80, v9
	s_cbranch_execz .LBB468_4466
; %bb.4461:                             ;   in Loop: Header=BB468_3103 Depth=1
	v_bfe_u32 v9, v6, 16, 7
	v_mov_b32_e32 v8, 0x7f800001
	s_mov_b32 s24, exec_lo
	s_delay_alu instid0(VALU_DEP_2)
	v_cmpx_ne_u32_e32 0x7f, v9
	s_cbranch_execz .LBB468_4465
; %bb.4462:                             ;   in Loop: Header=BB468_3103 Depth=1
	v_and_b32_e32 v12, 7, v10
	v_lshrrev_b32_e32 v11, 3, v9
	v_cmp_gt_u32_e64 s9, 8, v9
	s_delay_alu instid0(VALU_DEP_3) | instskip(NEXT) | instid1(VALU_DEP_2)
	v_dual_mov_b32 v8, v12 :: v_dual_mov_b32 v9, v13
	s_and_saveexec_b32 s25, s9
; %bb.4463:                             ;   in Loop: Header=BB468_3103 Depth=1
	v_clz_i32_u32_e32 v8, v12
	s_delay_alu instid0(VALU_DEP_1) | instskip(NEXT) | instid1(VALU_DEP_1)
	v_min_u32_e32 v11, 32, v8
	v_subrev_nc_u32_e32 v8, 28, v11
	v_sub_nc_u32_e32 v11, 29, v11
	s_delay_alu instid0(VALU_DEP_2) | instskip(NEXT) | instid1(VALU_DEP_1)
	v_lshlrev_b64 v[8:9], v8, v[12:13]
	v_and_b32_e32 v8, 7, v8
; %bb.4464:                             ;   in Loop: Header=BB468_3103 Depth=1
	s_or_b32 exec_lo, exec_lo, s25
	v_lshlrev_b32_e32 v9, 24, v10
	s_delay_alu instid0(VALU_DEP_2) | instskip(SKIP_1) | instid1(VALU_DEP_3)
	v_lshlrev_b32_e32 v8, 20, v8
	v_lshl_add_u32 v10, v11, 23, 0x3c000000
	v_and_b32_e32 v9, 0x80000000, v9
	s_delay_alu instid0(VALU_DEP_1)
	v_or3_b32 v8, v8, v9, v10
.LBB468_4465:                           ;   in Loop: Header=BB468_3103 Depth=1
	s_or_b32 exec_lo, exec_lo, s24
.LBB468_4466:                           ;   in Loop: Header=BB468_3103 Depth=1
	s_delay_alu instid0(SALU_CYCLE_1)
	s_or_b32 exec_lo, exec_lo, s23
.LBB468_4467:                           ;   in Loop: Header=BB468_3103 Depth=1
	s_delay_alu instid0(SALU_CYCLE_1) | instskip(NEXT) | instid1(VALU_DEP_1)
	s_or_b32 exec_lo, exec_lo, s22
	v_mul_f32_e32 v8, v26, v8
                                        ; implicit-def: $vgpr10
	s_delay_alu instid0(VALU_DEP_1) | instskip(NEXT) | instid1(VALU_DEP_1)
	v_and_b32_e32 v9, 0x7f800000, v8
	v_cmp_ne_u32_e64 s9, 0x7f800000, v9
	s_delay_alu instid0(VALU_DEP_1) | instskip(NEXT) | instid1(SALU_CYCLE_1)
	s_and_saveexec_b32 s22, s9
	s_xor_b32 s9, exec_lo, s22
; %bb.4468:                             ;   in Loop: Header=BB468_3103 Depth=1
	v_bfe_u32 v9, v8, 16, 1
	s_delay_alu instid0(VALU_DEP_1)
	v_add3_u32 v10, v8, v9, 0x7fff
                                        ; implicit-def: $vgpr8
; %bb.4469:                             ;   in Loop: Header=BB468_3103 Depth=1
	s_and_not1_saveexec_b32 s22, s9
; %bb.4470:                             ;   in Loop: Header=BB468_3103 Depth=1
	v_and_b32_e32 v9, 0xffff, v8
	v_or_b32_e32 v10, 0x10000, v8
	s_delay_alu instid0(VALU_DEP_2) | instskip(NEXT) | instid1(VALU_DEP_1)
	v_cmp_eq_u32_e64 s9, 0, v9
	v_cndmask_b32_e64 v10, v10, v8, s9
; %bb.4471:                             ;   in Loop: Header=BB468_3103 Depth=1
	s_or_b32 exec_lo, exec_lo, s22
	v_mov_b32_e32 v8, 0
	s_mov_b32 s22, exec_lo
	v_cmpx_lt_u32_e32 0xffffff, v6
	s_cbranch_execz .LBB468_4479
; %bb.4472:                             ;   in Loop: Header=BB468_3103 Depth=1
	v_lshrrev_b32_e32 v11, 24, v6
	v_bfrev_b32_e32 v8, 1
	s_mov_b32 s23, exec_lo
	s_delay_alu instid0(VALU_DEP_2)
	v_cmpx_ne_u32_e32 0x80, v11
	s_cbranch_execz .LBB468_4478
; %bb.4473:                             ;   in Loop: Header=BB468_3103 Depth=1
	v_bfe_u32 v9, v6, 24, 7
	v_mov_b32_e32 v8, 0x7f800001
	s_mov_b32 s24, exec_lo
	s_delay_alu instid0(VALU_DEP_2)
	v_cmpx_ne_u32_e32 0x7f, v9
	s_cbranch_execz .LBB468_4477
; %bb.4474:                             ;   in Loop: Header=BB468_3103 Depth=1
	v_and_b32_e32 v12, 7, v11
	v_lshrrev_b32_e32 v17, 3, v9
	v_cmp_gt_u32_e64 s9, 8, v9
	s_delay_alu instid0(VALU_DEP_3) | instskip(NEXT) | instid1(VALU_DEP_2)
	v_dual_mov_b32 v8, v12 :: v_dual_mov_b32 v9, v13
	s_and_saveexec_b32 s25, s9
; %bb.4475:                             ;   in Loop: Header=BB468_3103 Depth=1
	v_clz_i32_u32_e32 v8, v12
	s_delay_alu instid0(VALU_DEP_1) | instskip(NEXT) | instid1(VALU_DEP_1)
	v_min_u32_e32 v17, 32, v8
	v_subrev_nc_u32_e32 v8, 28, v17
	v_sub_nc_u32_e32 v17, 29, v17
	s_delay_alu instid0(VALU_DEP_2) | instskip(NEXT) | instid1(VALU_DEP_1)
	v_lshlrev_b64 v[8:9], v8, v[12:13]
	v_and_b32_e32 v8, 7, v8
; %bb.4476:                             ;   in Loop: Header=BB468_3103 Depth=1
	s_or_b32 exec_lo, exec_lo, s25
	v_lshlrev_b32_e32 v9, 24, v11
	s_delay_alu instid0(VALU_DEP_2) | instskip(SKIP_1) | instid1(VALU_DEP_3)
	v_lshlrev_b32_e32 v8, 20, v8
	v_lshl_add_u32 v11, v17, 23, 0x3c000000
	v_and_b32_e32 v9, 0x80000000, v9
	s_delay_alu instid0(VALU_DEP_1)
	v_or3_b32 v8, v8, v9, v11
.LBB468_4477:                           ;   in Loop: Header=BB468_3103 Depth=1
	s_or_b32 exec_lo, exec_lo, s24
.LBB468_4478:                           ;   in Loop: Header=BB468_3103 Depth=1
	s_delay_alu instid0(SALU_CYCLE_1)
	s_or_b32 exec_lo, exec_lo, s23
.LBB468_4479:                           ;   in Loop: Header=BB468_3103 Depth=1
	s_delay_alu instid0(SALU_CYCLE_1) | instskip(NEXT) | instid1(VALU_DEP_1)
	s_or_b32 exec_lo, exec_lo, s22
	v_mul_f32_e32 v8, v26, v8
                                        ; implicit-def: $vgpr11
	s_delay_alu instid0(VALU_DEP_1) | instskip(NEXT) | instid1(VALU_DEP_1)
	v_and_b32_e32 v9, 0x7f800000, v8
	v_cmp_ne_u32_e64 s9, 0x7f800000, v9
	s_delay_alu instid0(VALU_DEP_1) | instskip(NEXT) | instid1(SALU_CYCLE_1)
	s_and_saveexec_b32 s22, s9
	s_xor_b32 s9, exec_lo, s22
; %bb.4480:                             ;   in Loop: Header=BB468_3103 Depth=1
	v_bfe_u32 v9, v8, 16, 1
	s_delay_alu instid0(VALU_DEP_1)
	v_add3_u32 v11, v8, v9, 0x7fff
                                        ; implicit-def: $vgpr8
; %bb.4481:                             ;   in Loop: Header=BB468_3103 Depth=1
	s_and_not1_saveexec_b32 s22, s9
; %bb.4482:                             ;   in Loop: Header=BB468_3103 Depth=1
	v_and_b32_e32 v9, 0xffff, v8
	v_or_b32_e32 v11, 0x10000, v8
	s_delay_alu instid0(VALU_DEP_2) | instskip(NEXT) | instid1(VALU_DEP_1)
	v_cmp_eq_u32_e64 s9, 0, v9
	v_cndmask_b32_e64 v11, v11, v8, s9
; %bb.4483:                             ;   in Loop: Header=BB468_3103 Depth=1
	s_or_b32 exec_lo, exec_lo, s22
	v_dual_mov_b32 v12, v7 :: v_dual_and_b32 v9, 0xff, v7
	v_mov_b32_e32 v8, 0
	s_mov_b32 s22, exec_lo
	s_delay_alu instid0(VALU_DEP_2)
	v_cmpx_ne_u16_e32 0, v9
	s_cbranch_execz .LBB468_4491
; %bb.4484:                             ;   in Loop: Header=BB468_3103 Depth=1
	v_bfrev_b32_e32 v8, 1
	s_mov_b32 s23, exec_lo
	v_cmpx_ne_u16_e32 0x80, v9
	s_cbranch_execz .LBB468_4490
; %bb.4485:                             ;   in Loop: Header=BB468_3103 Depth=1
	v_and_b32_e32 v9, 0x7f, v7
	v_mov_b32_e32 v8, 0x7f800001
	s_mov_b32 s24, exec_lo
	s_delay_alu instid0(VALU_DEP_2)
	v_cmpx_ne_u32_e32 0x7f, v9
	s_cbranch_execz .LBB468_4489
; %bb.4486:                             ;   in Loop: Header=BB468_3103 Depth=1
	v_lshrrev_b32_e32 v17, 3, v9
	v_cmp_gt_u32_e64 s9, 8, v9
	v_dual_mov_b32 v8, v12 :: v_dual_mov_b32 v9, v13
	s_delay_alu instid0(VALU_DEP_2)
	s_and_saveexec_b32 s25, s9
; %bb.4487:                             ;   in Loop: Header=BB468_3103 Depth=1
	v_and_b32_e32 v8, 7, v7
	s_delay_alu instid0(VALU_DEP_1) | instskip(NEXT) | instid1(VALU_DEP_1)
	v_clz_i32_u32_e32 v8, v8
	v_min_u32_e32 v17, 32, v8
	s_delay_alu instid0(VALU_DEP_1) | instskip(SKIP_1) | instid1(VALU_DEP_2)
	v_subrev_nc_u32_e32 v8, 28, v17
	v_sub_nc_u32_e32 v17, 29, v17
	v_lshlrev_b64 v[8:9], v8, v[12:13]
; %bb.4488:                             ;   in Loop: Header=BB468_3103 Depth=1
	s_or_b32 exec_lo, exec_lo, s25
	s_delay_alu instid0(VALU_DEP_1) | instskip(SKIP_2) | instid1(VALU_DEP_3)
	v_lshlrev_b32_e32 v8, 20, v8
	v_lshlrev_b32_e32 v9, 24, v12
	v_lshl_add_u32 v17, v17, 23, 0x3c000000
	v_and_b32_e32 v8, 0x700000, v8
	s_delay_alu instid0(VALU_DEP_3) | instskip(NEXT) | instid1(VALU_DEP_1)
	v_and_b32_e32 v9, 0x80000000, v9
	v_or3_b32 v8, v8, v9, v17
.LBB468_4489:                           ;   in Loop: Header=BB468_3103 Depth=1
	s_or_b32 exec_lo, exec_lo, s24
.LBB468_4490:                           ;   in Loop: Header=BB468_3103 Depth=1
	s_delay_alu instid0(SALU_CYCLE_1)
	s_or_b32 exec_lo, exec_lo, s23
.LBB468_4491:                           ;   in Loop: Header=BB468_3103 Depth=1
	s_delay_alu instid0(SALU_CYCLE_1) | instskip(NEXT) | instid1(VALU_DEP_1)
	s_or_b32 exec_lo, exec_lo, s22
	v_mul_f32_e32 v8, v26, v8
                                        ; implicit-def: $vgpr17
	s_delay_alu instid0(VALU_DEP_1) | instskip(NEXT) | instid1(VALU_DEP_1)
	v_and_b32_e32 v9, 0x7f800000, v8
	v_cmp_ne_u32_e64 s9, 0x7f800000, v9
	s_delay_alu instid0(VALU_DEP_1) | instskip(NEXT) | instid1(SALU_CYCLE_1)
	s_and_saveexec_b32 s22, s9
	s_xor_b32 s9, exec_lo, s22
; %bb.4492:                             ;   in Loop: Header=BB468_3103 Depth=1
	v_bfe_u32 v9, v8, 16, 1
	s_delay_alu instid0(VALU_DEP_1)
	v_add3_u32 v17, v8, v9, 0x7fff
                                        ; implicit-def: $vgpr8
; %bb.4493:                             ;   in Loop: Header=BB468_3103 Depth=1
	s_and_not1_saveexec_b32 s22, s9
; %bb.4494:                             ;   in Loop: Header=BB468_3103 Depth=1
	v_and_b32_e32 v9, 0xffff, v8
	v_or_b32_e32 v17, 0x10000, v8
	s_delay_alu instid0(VALU_DEP_2) | instskip(NEXT) | instid1(VALU_DEP_1)
	v_cmp_eq_u32_e64 s9, 0, v9
	v_cndmask_b32_e64 v17, v17, v8, s9
; %bb.4495:                             ;   in Loop: Header=BB468_3103 Depth=1
	s_or_b32 exec_lo, exec_lo, s22
	v_lshrrev_b16 v9, 8, v12
	v_mov_b32_e32 v8, 0
	s_mov_b32 s22, exec_lo
	s_delay_alu instid0(VALU_DEP_2)
	v_cmpx_ne_u16_e32 0, v9
	s_cbranch_execz .LBB468_4503
; %bb.4496:                             ;   in Loop: Header=BB468_3103 Depth=1
	v_bfrev_b32_e32 v8, 1
	s_mov_b32 s23, exec_lo
	v_cmpx_ne_u16_e32 0x80, v9
	s_cbranch_execz .LBB468_4502
; %bb.4497:                             ;   in Loop: Header=BB468_3103 Depth=1
	v_and_b32_e32 v9, 0xffff, v9
	v_mov_b32_e32 v8, 0x7f800001
	s_mov_b32 s24, exec_lo
	s_delay_alu instid0(VALU_DEP_2) | instskip(NEXT) | instid1(VALU_DEP_1)
	v_and_b32_e32 v19, 0x7f, v9
	v_cmpx_ne_u32_e32 0x7f, v19
	s_cbranch_execz .LBB468_4501
; %bb.4498:                             ;   in Loop: Header=BB468_3103 Depth=1
	v_dual_mov_b32 v9, v13 :: v_dual_and_b32 v8, 7, v9
	v_lshrrev_b32_e32 v18, 3, v19
	s_mov_b32 s25, exec_lo
	v_cmpx_gt_u32_e32 8, v19
; %bb.4499:                             ;   in Loop: Header=BB468_3103 Depth=1
	s_delay_alu instid0(VALU_DEP_3) | instskip(NEXT) | instid1(VALU_DEP_1)
	v_clz_i32_u32_e32 v18, v8
	v_min_u32_e32 v18, 32, v18
	s_delay_alu instid0(VALU_DEP_1) | instskip(SKIP_1) | instid1(VALU_DEP_2)
	v_subrev_nc_u32_e32 v19, 28, v18
	v_sub_nc_u32_e32 v18, 29, v18
	v_lshlrev_b64 v[8:9], v19, v[8:9]
	s_delay_alu instid0(VALU_DEP_1)
	v_and_b32_e32 v8, 7, v8
; %bb.4500:                             ;   in Loop: Header=BB468_3103 Depth=1
	s_or_b32 exec_lo, exec_lo, s25
	v_lshlrev_b32_e32 v9, 16, v12
	s_delay_alu instid0(VALU_DEP_2) | instskip(SKIP_1) | instid1(VALU_DEP_3)
	v_lshlrev_b32_e32 v8, 20, v8
	v_lshl_add_u32 v12, v18, 23, 0x3c000000
	v_and_b32_e32 v9, 0x80000000, v9
	s_delay_alu instid0(VALU_DEP_1)
	v_or3_b32 v8, v8, v9, v12
.LBB468_4501:                           ;   in Loop: Header=BB468_3103 Depth=1
	s_or_b32 exec_lo, exec_lo, s24
.LBB468_4502:                           ;   in Loop: Header=BB468_3103 Depth=1
	s_delay_alu instid0(SALU_CYCLE_1)
	s_or_b32 exec_lo, exec_lo, s23
.LBB468_4503:                           ;   in Loop: Header=BB468_3103 Depth=1
	s_delay_alu instid0(SALU_CYCLE_1) | instskip(NEXT) | instid1(VALU_DEP_1)
	s_or_b32 exec_lo, exec_lo, s22
	v_mul_f32_e32 v8, v26, v8
                                        ; implicit-def: $vgpr18
	s_delay_alu instid0(VALU_DEP_1) | instskip(NEXT) | instid1(VALU_DEP_1)
	v_and_b32_e32 v9, 0x7f800000, v8
	v_cmp_ne_u32_e64 s9, 0x7f800000, v9
	s_delay_alu instid0(VALU_DEP_1) | instskip(NEXT) | instid1(SALU_CYCLE_1)
	s_and_saveexec_b32 s22, s9
	s_xor_b32 s9, exec_lo, s22
; %bb.4504:                             ;   in Loop: Header=BB468_3103 Depth=1
	v_bfe_u32 v9, v8, 16, 1
	s_delay_alu instid0(VALU_DEP_1)
	v_add3_u32 v18, v8, v9, 0x7fff
                                        ; implicit-def: $vgpr8
; %bb.4505:                             ;   in Loop: Header=BB468_3103 Depth=1
	s_and_not1_saveexec_b32 s22, s9
; %bb.4506:                             ;   in Loop: Header=BB468_3103 Depth=1
	v_and_b32_e32 v9, 0xffff, v8
	v_or_b32_e32 v12, 0x10000, v8
	s_delay_alu instid0(VALU_DEP_2) | instskip(NEXT) | instid1(VALU_DEP_1)
	v_cmp_eq_u32_e64 s9, 0, v9
	v_cndmask_b32_e64 v18, v12, v8, s9
; %bb.4507:                             ;   in Loop: Header=BB468_3103 Depth=1
	s_or_b32 exec_lo, exec_lo, s22
	v_lshrrev_b32_e32 v19, 16, v7
	s_mov_b32 s22, exec_lo
	s_delay_alu instid0(VALU_DEP_1) | instskip(NEXT) | instid1(VALU_DEP_1)
	v_dual_mov_b32 v8, 0 :: v_dual_and_b32 v9, 0xff, v19
	v_cmpx_ne_u16_e32 0, v9
	s_cbranch_execz .LBB468_4515
; %bb.4508:                             ;   in Loop: Header=BB468_3103 Depth=1
	v_bfrev_b32_e32 v8, 1
	s_mov_b32 s23, exec_lo
	v_cmpx_ne_u16_e32 0x80, v9
	s_cbranch_execz .LBB468_4514
; %bb.4509:                             ;   in Loop: Header=BB468_3103 Depth=1
	v_bfe_u32 v9, v7, 16, 7
	v_mov_b32_e32 v8, 0x7f800001
	s_mov_b32 s24, exec_lo
	s_delay_alu instid0(VALU_DEP_2)
	v_cmpx_ne_u32_e32 0x7f, v9
	s_cbranch_execz .LBB468_4513
; %bb.4510:                             ;   in Loop: Header=BB468_3103 Depth=1
	v_and_b32_e32 v12, 7, v19
	v_lshrrev_b32_e32 v20, 3, v9
	v_cmp_gt_u32_e64 s9, 8, v9
	s_delay_alu instid0(VALU_DEP_3) | instskip(NEXT) | instid1(VALU_DEP_2)
	v_dual_mov_b32 v8, v12 :: v_dual_mov_b32 v9, v13
	s_and_saveexec_b32 s25, s9
; %bb.4511:                             ;   in Loop: Header=BB468_3103 Depth=1
	v_clz_i32_u32_e32 v8, v12
	s_delay_alu instid0(VALU_DEP_1) | instskip(NEXT) | instid1(VALU_DEP_1)
	v_min_u32_e32 v20, 32, v8
	v_subrev_nc_u32_e32 v8, 28, v20
	v_sub_nc_u32_e32 v20, 29, v20
	s_delay_alu instid0(VALU_DEP_2) | instskip(NEXT) | instid1(VALU_DEP_1)
	v_lshlrev_b64 v[8:9], v8, v[12:13]
	v_and_b32_e32 v8, 7, v8
; %bb.4512:                             ;   in Loop: Header=BB468_3103 Depth=1
	s_or_b32 exec_lo, exec_lo, s25
	v_lshlrev_b32_e32 v9, 24, v19
	s_delay_alu instid0(VALU_DEP_2) | instskip(SKIP_1) | instid1(VALU_DEP_3)
	v_lshlrev_b32_e32 v8, 20, v8
	v_lshl_add_u32 v12, v20, 23, 0x3c000000
	v_and_b32_e32 v9, 0x80000000, v9
	s_delay_alu instid0(VALU_DEP_1)
	v_or3_b32 v8, v8, v9, v12
.LBB468_4513:                           ;   in Loop: Header=BB468_3103 Depth=1
	s_or_b32 exec_lo, exec_lo, s24
.LBB468_4514:                           ;   in Loop: Header=BB468_3103 Depth=1
	s_delay_alu instid0(SALU_CYCLE_1)
	s_or_b32 exec_lo, exec_lo, s23
.LBB468_4515:                           ;   in Loop: Header=BB468_3103 Depth=1
	s_delay_alu instid0(SALU_CYCLE_1) | instskip(NEXT) | instid1(VALU_DEP_1)
	s_or_b32 exec_lo, exec_lo, s22
	v_mul_f32_e32 v8, v26, v8
	s_delay_alu instid0(VALU_DEP_1) | instskip(NEXT) | instid1(VALU_DEP_1)
	v_and_b32_e32 v9, 0x7f800000, v8
	v_cmp_ne_u32_e64 s9, 0x7f800000, v9
                                        ; implicit-def: $vgpr9
	s_delay_alu instid0(VALU_DEP_1) | instskip(NEXT) | instid1(SALU_CYCLE_1)
	s_and_saveexec_b32 s22, s9
	s_xor_b32 s9, exec_lo, s22
; %bb.4516:                             ;   in Loop: Header=BB468_3103 Depth=1
	v_bfe_u32 v9, v8, 16, 1
	s_delay_alu instid0(VALU_DEP_1)
	v_add3_u32 v9, v8, v9, 0x7fff
                                        ; implicit-def: $vgpr8
; %bb.4517:                             ;   in Loop: Header=BB468_3103 Depth=1
	s_and_not1_saveexec_b32 s22, s9
; %bb.4518:                             ;   in Loop: Header=BB468_3103 Depth=1
	v_and_b32_e32 v9, 0xffff, v8
	v_or_b32_e32 v12, 0x10000, v8
	s_delay_alu instid0(VALU_DEP_2) | instskip(NEXT) | instid1(VALU_DEP_1)
	v_cmp_eq_u32_e64 s9, 0, v9
	v_cndmask_b32_e64 v9, v12, v8, s9
; %bb.4519:                             ;   in Loop: Header=BB468_3103 Depth=1
	s_or_b32 exec_lo, exec_lo, s22
	v_cmp_lt_u64_e64 s9, s[12:13], v[6:7]
	v_mov_b32_e32 v6, 0
	s_delay_alu instid0(VALU_DEP_2)
	s_and_saveexec_b32 s22, s9
	s_cbranch_execz .LBB468_4527
; %bb.4520:                             ;   in Loop: Header=BB468_3103 Depth=1
	v_lshrrev_b32_e32 v8, 24, v7
	v_bfrev_b32_e32 v6, 1
	s_mov_b32 s23, exec_lo
	s_delay_alu instid0(VALU_DEP_2)
	v_cmpx_ne_u32_e32 0x80, v8
	s_cbranch_execz .LBB468_4526
; %bb.4521:                             ;   in Loop: Header=BB468_3103 Depth=1
	v_bfe_u32 v7, v7, 24, 7
	v_mov_b32_e32 v6, 0x7f800001
	s_mov_b32 s24, exec_lo
	s_delay_alu instid0(VALU_DEP_2)
	v_cmpx_ne_u32_e32 0x7f, v7
	s_cbranch_execz .LBB468_4525
; %bb.4522:                             ;   in Loop: Header=BB468_3103 Depth=1
	v_and_b32_e32 v12, 7, v8
	v_lshrrev_b32_e32 v19, 3, v7
	v_cmp_gt_u32_e64 s9, 8, v7
	s_delay_alu instid0(VALU_DEP_3) | instskip(NEXT) | instid1(VALU_DEP_2)
	v_dual_mov_b32 v6, v12 :: v_dual_mov_b32 v7, v13
	s_and_saveexec_b32 s25, s9
; %bb.4523:                             ;   in Loop: Header=BB468_3103 Depth=1
	v_clz_i32_u32_e32 v6, v12
	s_delay_alu instid0(VALU_DEP_1) | instskip(NEXT) | instid1(VALU_DEP_1)
	v_min_u32_e32 v19, 32, v6
	v_subrev_nc_u32_e32 v6, 28, v19
	v_sub_nc_u32_e32 v19, 29, v19
	s_delay_alu instid0(VALU_DEP_2) | instskip(NEXT) | instid1(VALU_DEP_1)
	v_lshlrev_b64 v[6:7], v6, v[12:13]
	v_and_b32_e32 v6, 7, v6
; %bb.4524:                             ;   in Loop: Header=BB468_3103 Depth=1
	s_or_b32 exec_lo, exec_lo, s25
	v_lshlrev_b32_e32 v7, 24, v8
	s_delay_alu instid0(VALU_DEP_2) | instskip(SKIP_1) | instid1(VALU_DEP_3)
	v_lshlrev_b32_e32 v6, 20, v6
	v_lshl_add_u32 v8, v19, 23, 0x3c000000
	v_and_b32_e32 v7, 0x80000000, v7
	s_delay_alu instid0(VALU_DEP_1)
	v_or3_b32 v6, v6, v7, v8
.LBB468_4525:                           ;   in Loop: Header=BB468_3103 Depth=1
	s_or_b32 exec_lo, exec_lo, s24
.LBB468_4526:                           ;   in Loop: Header=BB468_3103 Depth=1
	s_delay_alu instid0(SALU_CYCLE_1)
	s_or_b32 exec_lo, exec_lo, s23
.LBB468_4527:                           ;   in Loop: Header=BB468_3103 Depth=1
	s_delay_alu instid0(SALU_CYCLE_1) | instskip(NEXT) | instid1(VALU_DEP_1)
	s_or_b32 exec_lo, exec_lo, s22
	v_mul_f32_e32 v6, v26, v6
                                        ; implicit-def: $vgpr19
	s_delay_alu instid0(VALU_DEP_1) | instskip(NEXT) | instid1(VALU_DEP_1)
	v_and_b32_e32 v7, 0x7f800000, v6
	v_cmp_ne_u32_e64 s9, 0x7f800000, v7
	s_delay_alu instid0(VALU_DEP_1) | instskip(NEXT) | instid1(SALU_CYCLE_1)
	s_and_saveexec_b32 s22, s9
	s_xor_b32 s9, exec_lo, s22
; %bb.4528:                             ;   in Loop: Header=BB468_3103 Depth=1
	v_bfe_u32 v7, v6, 16, 1
	s_delay_alu instid0(VALU_DEP_1)
	v_add3_u32 v19, v6, v7, 0x7fff
                                        ; implicit-def: $vgpr6
; %bb.4529:                             ;   in Loop: Header=BB468_3103 Depth=1
	s_and_not1_saveexec_b32 s22, s9
; %bb.4530:                             ;   in Loop: Header=BB468_3103 Depth=1
	v_and_b32_e32 v7, 0xffff, v6
	v_or_b32_e32 v8, 0x10000, v6
	s_delay_alu instid0(VALU_DEP_2) | instskip(NEXT) | instid1(VALU_DEP_1)
	v_cmp_eq_u32_e64 s9, 0, v7
	v_cndmask_b32_e64 v19, v8, v6, s9
; %bb.4531:                             ;   in Loop: Header=BB468_3103 Depth=1
	s_or_b32 exec_lo, exec_lo, s22
	v_lshrrev_b32_e32 v6, 16, v18
	v_lshrrev_b32_e32 v7, 16, v17
	;; [unrolled: 1-line block ×8, first 2 shown]
	s_and_saveexec_b32 s9, s3
; %bb.4532:                             ;   in Loop: Header=BB468_3103 Depth=1
	s_delay_alu instid0(VALU_DEP_3)
	v_cndmask_b32_e32 v12, 0, v12, vcc_lo
	v_cndmask_b32_e64 v11, 0, v11, s1
	v_cndmask_b32_e64 v10, 0, v10, s2
	;; [unrolled: 1-line block ×7, first 2 shown]
; %bb.4533:                             ;   in Loop: Header=BB468_3103 Depth=1
	s_or_b32 exec_lo, exec_lo, s9
	v_lshlrev_b32_e32 v9, 16, v12
	s_delay_alu instid0(VALU_DEP_1) | instskip(NEXT) | instid1(VALU_DEP_1)
	v_mul_f32_e32 v9, v151, v9
	v_and_b32_e32 v12, 0x7f800000, v9
	s_delay_alu instid0(VALU_DEP_1) | instskip(NEXT) | instid1(VALU_DEP_1)
	v_cmp_ne_u32_e64 s9, 0x7f800000, v12
                                        ; implicit-def: $vgpr12
                                        ; kill: killed $vgpr12
	s_and_saveexec_b32 s22, s9
	s_delay_alu instid0(SALU_CYCLE_1)
	s_xor_b32 s9, exec_lo, s22
	s_cbranch_execz .LBB468_4535
; %bb.4534:                             ;   in Loop: Header=BB468_3103 Depth=1
	v_bfe_u32 v12, v9, 16, 1
	s_delay_alu instid0(VALU_DEP_1)
	v_add3_u32 v9, v9, v12, 0x7fff
	scratch_store_b32 off, v9, s32 offset:648 ; 4-byte Folded Spill
                                        ; implicit-def: $vgpr9
.LBB468_4535:                           ;   in Loop: Header=BB468_3103 Depth=1
	s_and_not1_saveexec_b32 s22, s9
	s_cbranch_execz .LBB468_4537
; %bb.4536:                             ;   in Loop: Header=BB468_3103 Depth=1
	v_and_b32_e32 v12, 0xffff, v9
	v_or_b32_e32 v17, 0x10000, v9
	s_delay_alu instid0(VALU_DEP_2) | instskip(NEXT) | instid1(VALU_DEP_1)
	v_cmp_eq_u32_e64 s9, 0, v12
	v_cndmask_b32_e64 v9, v17, v9, s9
	scratch_store_b32 off, v9, s32 offset:648 ; 4-byte Folded Spill
.LBB468_4537:                           ;   in Loop: Header=BB468_3103 Depth=1
	s_or_b32 exec_lo, exec_lo, s22
	v_lshlrev_b32_e32 v9, 16, v11
	s_delay_alu instid0(VALU_DEP_1) | instskip(NEXT) | instid1(VALU_DEP_1)
	v_mul_f32_e32 v9, v160, v9
	v_and_b32_e32 v11, 0x7f800000, v9
	s_delay_alu instid0(VALU_DEP_1) | instskip(NEXT) | instid1(VALU_DEP_1)
	v_cmp_ne_u32_e64 s9, 0x7f800000, v11
                                        ; implicit-def: $vgpr11
                                        ; kill: killed $vgpr11
	s_and_saveexec_b32 s22, s9
	s_delay_alu instid0(SALU_CYCLE_1)
	s_xor_b32 s9, exec_lo, s22
	s_cbranch_execz .LBB468_4539
; %bb.4538:                             ;   in Loop: Header=BB468_3103 Depth=1
	v_bfe_u32 v11, v9, 16, 1
	s_delay_alu instid0(VALU_DEP_1)
	v_add3_u32 v9, v9, v11, 0x7fff
	scratch_store_b32 off, v9, s32 offset:652 ; 4-byte Folded Spill
                                        ; implicit-def: $vgpr9
.LBB468_4539:                           ;   in Loop: Header=BB468_3103 Depth=1
	s_and_not1_saveexec_b32 s22, s9
	s_cbranch_execz .LBB468_4541
; %bb.4540:                             ;   in Loop: Header=BB468_3103 Depth=1
	v_and_b32_e32 v11, 0xffff, v9
	v_or_b32_e32 v12, 0x10000, v9
	s_delay_alu instid0(VALU_DEP_2) | instskip(NEXT) | instid1(VALU_DEP_1)
	v_cmp_eq_u32_e64 s9, 0, v11
	v_cndmask_b32_e64 v9, v12, v9, s9
	scratch_store_b32 off, v9, s32 offset:652 ; 4-byte Folded Spill
.LBB468_4541:                           ;   in Loop: Header=BB468_3103 Depth=1
	s_or_b32 exec_lo, exec_lo, s22
	v_lshlrev_b32_e32 v9, 16, v10
	s_delay_alu instid0(VALU_DEP_1) | instskip(NEXT) | instid1(VALU_DEP_1)
	v_mul_f32_e32 v9, v161, v9
	v_and_b32_e32 v10, 0x7f800000, v9
	s_delay_alu instid0(VALU_DEP_1) | instskip(NEXT) | instid1(VALU_DEP_1)
	v_cmp_ne_u32_e64 s9, 0x7f800000, v10
                                        ; implicit-def: $vgpr10
                                        ; kill: killed $vgpr10
	s_and_saveexec_b32 s22, s9
	s_delay_alu instid0(SALU_CYCLE_1)
	s_xor_b32 s9, exec_lo, s22
	s_cbranch_execz .LBB468_4543
; %bb.4542:                             ;   in Loop: Header=BB468_3103 Depth=1
	v_bfe_u32 v10, v9, 16, 1
	s_delay_alu instid0(VALU_DEP_1)
	v_add3_u32 v9, v9, v10, 0x7fff
	scratch_store_b32 off, v9, s32 offset:660 ; 4-byte Folded Spill
                                        ; implicit-def: $vgpr9
.LBB468_4543:                           ;   in Loop: Header=BB468_3103 Depth=1
	s_and_not1_saveexec_b32 s22, s9
	s_cbranch_execz .LBB468_4545
; %bb.4544:                             ;   in Loop: Header=BB468_3103 Depth=1
	v_and_b32_e32 v10, 0xffff, v9
	v_or_b32_e32 v11, 0x10000, v9
	s_delay_alu instid0(VALU_DEP_2) | instskip(NEXT) | instid1(VALU_DEP_1)
	v_cmp_eq_u32_e64 s9, 0, v10
	v_cndmask_b32_e64 v9, v11, v9, s9
	scratch_store_b32 off, v9, s32 offset:660 ; 4-byte Folded Spill
.LBB468_4545:                           ;   in Loop: Header=BB468_3103 Depth=1
	s_or_b32 exec_lo, exec_lo, s22
	v_lshlrev_b32_e32 v8, 16, v8
	s_delay_alu instid0(VALU_DEP_1) | instskip(NEXT) | instid1(VALU_DEP_1)
	v_mul_f32_e32 v8, v162, v8
	v_and_b32_e32 v9, 0x7f800000, v8
	s_delay_alu instid0(VALU_DEP_1) | instskip(NEXT) | instid1(VALU_DEP_1)
	v_cmp_ne_u32_e64 s9, 0x7f800000, v9
                                        ; implicit-def: $vgpr9
                                        ; kill: killed $vgpr9
	s_and_saveexec_b32 s22, s9
	s_delay_alu instid0(SALU_CYCLE_1)
	s_xor_b32 s9, exec_lo, s22
	s_cbranch_execz .LBB468_4547
; %bb.4546:                             ;   in Loop: Header=BB468_3103 Depth=1
	v_bfe_u32 v9, v8, 16, 1
	s_delay_alu instid0(VALU_DEP_1)
	v_add3_u32 v8, v8, v9, 0x7fff
	scratch_store_b32 off, v8, s32 offset:664 ; 4-byte Folded Spill
                                        ; implicit-def: $vgpr8
.LBB468_4547:                           ;   in Loop: Header=BB468_3103 Depth=1
	s_and_not1_saveexec_b32 s22, s9
	s_cbranch_execz .LBB468_4549
; %bb.4548:                             ;   in Loop: Header=BB468_3103 Depth=1
	v_and_b32_e32 v9, 0xffff, v8
	v_or_b32_e32 v10, 0x10000, v8
	s_delay_alu instid0(VALU_DEP_2) | instskip(NEXT) | instid1(VALU_DEP_1)
	v_cmp_eq_u32_e64 s9, 0, v9
	v_cndmask_b32_e64 v8, v10, v8, s9
	scratch_store_b32 off, v8, s32 offset:664 ; 4-byte Folded Spill
.LBB468_4549:                           ;   in Loop: Header=BB468_3103 Depth=1
	s_or_b32 exec_lo, exec_lo, s22
	v_lshlrev_b32_e32 v7, 16, v7
	s_delay_alu instid0(VALU_DEP_1) | instskip(NEXT) | instid1(VALU_DEP_1)
	v_mul_f32_e32 v7, v163, v7
	v_and_b32_e32 v8, 0x7f800000, v7
	s_delay_alu instid0(VALU_DEP_1) | instskip(NEXT) | instid1(VALU_DEP_1)
	v_cmp_ne_u32_e64 s9, 0x7f800000, v8
                                        ; implicit-def: $vgpr8
                                        ; kill: killed $vgpr8
	s_and_saveexec_b32 s22, s9
	s_delay_alu instid0(SALU_CYCLE_1)
	s_xor_b32 s9, exec_lo, s22
	s_cbranch_execz .LBB468_4551
; %bb.4550:                             ;   in Loop: Header=BB468_3103 Depth=1
	v_bfe_u32 v8, v7, 16, 1
	s_delay_alu instid0(VALU_DEP_1)
	v_add3_u32 v7, v7, v8, 0x7fff
	scratch_store_b32 off, v7, s32 offset:668 ; 4-byte Folded Spill
                                        ; implicit-def: $vgpr7
.LBB468_4551:                           ;   in Loop: Header=BB468_3103 Depth=1
	s_and_not1_saveexec_b32 s22, s9
	s_cbranch_execz .LBB468_4553
; %bb.4552:                             ;   in Loop: Header=BB468_3103 Depth=1
	v_and_b32_e32 v8, 0xffff, v7
	v_or_b32_e32 v9, 0x10000, v7
	s_delay_alu instid0(VALU_DEP_2) | instskip(NEXT) | instid1(VALU_DEP_1)
	v_cmp_eq_u32_e64 s9, 0, v8
	v_cndmask_b32_e64 v7, v9, v7, s9
	scratch_store_b32 off, v7, s32 offset:668 ; 4-byte Folded Spill
.LBB468_4553:                           ;   in Loop: Header=BB468_3103 Depth=1
	s_or_b32 exec_lo, exec_lo, s22
	v_lshlrev_b32_e32 v6, 16, v6
	s_delay_alu instid0(VALU_DEP_1) | instskip(NEXT) | instid1(VALU_DEP_1)
	v_mul_f32_e32 v6, v164, v6
	v_and_b32_e32 v7, 0x7f800000, v6
	s_delay_alu instid0(VALU_DEP_1) | instskip(NEXT) | instid1(VALU_DEP_1)
	v_cmp_ne_u32_e64 s9, 0x7f800000, v7
                                        ; implicit-def: $vgpr7
                                        ; kill: killed $vgpr7
	s_and_saveexec_b32 s22, s9
	s_delay_alu instid0(SALU_CYCLE_1)
	s_xor_b32 s9, exec_lo, s22
	s_cbranch_execz .LBB468_4555
; %bb.4554:                             ;   in Loop: Header=BB468_3103 Depth=1
	v_bfe_u32 v7, v6, 16, 1
	s_delay_alu instid0(VALU_DEP_1)
	v_add3_u32 v6, v6, v7, 0x7fff
	scratch_store_b32 off, v6, s32 offset:672 ; 4-byte Folded Spill
                                        ; implicit-def: $vgpr6
.LBB468_4555:                           ;   in Loop: Header=BB468_3103 Depth=1
	s_and_not1_saveexec_b32 s22, s9
	s_cbranch_execz .LBB468_4557
; %bb.4556:                             ;   in Loop: Header=BB468_3103 Depth=1
	v_and_b32_e32 v7, 0xffff, v6
	v_or_b32_e32 v8, 0x10000, v6
	s_delay_alu instid0(VALU_DEP_2) | instskip(NEXT) | instid1(VALU_DEP_1)
	v_cmp_eq_u32_e64 s9, 0, v7
	v_cndmask_b32_e64 v6, v8, v6, s9
	scratch_store_b32 off, v6, s32 offset:672 ; 4-byte Folded Spill
.LBB468_4557:                           ;   in Loop: Header=BB468_3103 Depth=1
	s_or_b32 exec_lo, exec_lo, s22
	v_lshlrev_b32_e32 v5, 16, v5
	s_delay_alu instid0(VALU_DEP_1) | instskip(NEXT) | instid1(VALU_DEP_1)
	v_mul_f32_e32 v5, v165, v5
	v_and_b32_e32 v6, 0x7f800000, v5
	s_delay_alu instid0(VALU_DEP_1) | instskip(NEXT) | instid1(VALU_DEP_1)
	v_cmp_ne_u32_e64 s9, 0x7f800000, v6
                                        ; implicit-def: $vgpr6
                                        ; kill: killed $vgpr6
	s_and_saveexec_b32 s22, s9
	s_delay_alu instid0(SALU_CYCLE_1)
	s_xor_b32 s9, exec_lo, s22
	s_cbranch_execz .LBB468_4559
; %bb.4558:                             ;   in Loop: Header=BB468_3103 Depth=1
	v_bfe_u32 v6, v5, 16, 1
	s_delay_alu instid0(VALU_DEP_1)
	v_add3_u32 v5, v5, v6, 0x7fff
	scratch_store_b32 off, v5, s32 offset:676 ; 4-byte Folded Spill
                                        ; implicit-def: $vgpr5
.LBB468_4559:                           ;   in Loop: Header=BB468_3103 Depth=1
	s_and_not1_saveexec_b32 s22, s9
	s_cbranch_execz .LBB468_4561
; %bb.4560:                             ;   in Loop: Header=BB468_3103 Depth=1
	v_and_b32_e32 v6, 0xffff, v5
	v_or_b32_e32 v7, 0x10000, v5
	s_delay_alu instid0(VALU_DEP_2) | instskip(NEXT) | instid1(VALU_DEP_1)
	v_cmp_eq_u32_e64 s9, 0, v6
	v_cndmask_b32_e64 v5, v7, v5, s9
	scratch_store_b32 off, v5, s32 offset:676 ; 4-byte Folded Spill
.LBB468_4561:                           ;   in Loop: Header=BB468_3103 Depth=1
	s_or_b32 exec_lo, exec_lo, s22
	v_lshlrev_b32_e32 v4, 16, v4
	s_delay_alu instid0(VALU_DEP_1) | instskip(NEXT) | instid1(VALU_DEP_1)
	v_mul_f32_e32 v4, v166, v4
	v_and_b32_e32 v5, 0x7f800000, v4
	s_delay_alu instid0(VALU_DEP_1) | instskip(NEXT) | instid1(VALU_DEP_1)
	v_cmp_ne_u32_e64 s9, 0x7f800000, v5
                                        ; implicit-def: $vgpr5
                                        ; kill: killed $vgpr5
	s_and_saveexec_b32 s22, s9
	s_delay_alu instid0(SALU_CYCLE_1)
	s_xor_b32 s9, exec_lo, s22
	s_cbranch_execz .LBB468_4563
; %bb.4562:                             ;   in Loop: Header=BB468_3103 Depth=1
	v_bfe_u32 v5, v4, 16, 1
	s_delay_alu instid0(VALU_DEP_1)
	v_add3_u32 v4, v4, v5, 0x7fff
	scratch_store_b32 off, v4, s32 offset:680 ; 4-byte Folded Spill
                                        ; implicit-def: $vgpr4
.LBB468_4563:                           ;   in Loop: Header=BB468_3103 Depth=1
	s_and_not1_saveexec_b32 s22, s9
	s_cbranch_execz .LBB468_4565
; %bb.4564:                             ;   in Loop: Header=BB468_3103 Depth=1
	v_and_b32_e32 v5, 0xffff, v4
	v_or_b32_e32 v6, 0x10000, v4
	s_delay_alu instid0(VALU_DEP_2) | instskip(NEXT) | instid1(VALU_DEP_1)
	v_cmp_eq_u32_e64 s9, 0, v5
	v_cndmask_b32_e64 v4, v6, v4, s9
	scratch_store_b32 off, v4, s32 offset:680 ; 4-byte Folded Spill
.LBB468_4565:                           ;   in Loop: Header=BB468_3103 Depth=1
	s_or_b32 exec_lo, exec_lo, s22
	flat_load_b64 v[6:7], v[2:3] offset:2816
	s_mov_b32 s22, exec_lo
	s_waitcnt vmcnt(0) lgkmcnt(0)
	v_dual_mov_b32 v4, 0 :: v_dual_and_b32 v5, 0xff, v6
	s_delay_alu instid0(VALU_DEP_1)
	v_cmpx_ne_u16_e32 0, v5
	s_cbranch_execz .LBB468_4573
; %bb.4566:                             ;   in Loop: Header=BB468_3103 Depth=1
	v_bfrev_b32_e32 v4, 1
	s_mov_b32 s23, exec_lo
	v_cmpx_ne_u16_e32 0x80, v5
	s_cbranch_execz .LBB468_4572
; %bb.4567:                             ;   in Loop: Header=BB468_3103 Depth=1
	v_and_b32_e32 v5, 0x7f, v6
	v_mov_b32_e32 v4, 0x7f800001
	s_mov_b32 s24, exec_lo
	s_delay_alu instid0(VALU_DEP_2)
	v_cmpx_ne_u32_e32 0x7f, v5
	s_cbranch_execz .LBB468_4571
; %bb.4568:                             ;   in Loop: Header=BB468_3103 Depth=1
	v_lshrrev_b32_e32 v4, 3, v5
	v_dual_mov_b32 v9, v7 :: v_dual_mov_b32 v8, v6
	s_mov_b32 s25, exec_lo
	v_cmpx_gt_u32_e32 8, v5
; %bb.4569:                             ;   in Loop: Header=BB468_3103 Depth=1
	v_and_b32_e32 v4, 7, v6
	s_delay_alu instid0(VALU_DEP_1) | instskip(NEXT) | instid1(VALU_DEP_1)
	v_clz_i32_u32_e32 v4, v4
	v_min_u32_e32 v4, 32, v4
	s_delay_alu instid0(VALU_DEP_1) | instskip(SKIP_1) | instid1(VALU_DEP_2)
	v_subrev_nc_u32_e32 v5, 28, v4
	v_sub_nc_u32_e32 v4, 29, v4
	v_lshlrev_b64 v[8:9], v5, v[6:7]
; %bb.4570:                             ;   in Loop: Header=BB468_3103 Depth=1
	s_or_b32 exec_lo, exec_lo, s25
	s_delay_alu instid0(VALU_DEP_1) | instskip(SKIP_2) | instid1(VALU_DEP_3)
	v_lshlrev_b32_e32 v5, 20, v8
	v_lshlrev_b32_e32 v8, 24, v6
	v_lshl_add_u32 v4, v4, 23, 0x3c000000
	v_and_b32_e32 v5, 0x700000, v5
	s_delay_alu instid0(VALU_DEP_3) | instskip(NEXT) | instid1(VALU_DEP_1)
	v_and_b32_e32 v8, 0x80000000, v8
	v_or3_b32 v4, v5, v8, v4
.LBB468_4571:                           ;   in Loop: Header=BB468_3103 Depth=1
	s_or_b32 exec_lo, exec_lo, s24
.LBB468_4572:                           ;   in Loop: Header=BB468_3103 Depth=1
	s_delay_alu instid0(SALU_CYCLE_1)
	s_or_b32 exec_lo, exec_lo, s23
.LBB468_4573:                           ;   in Loop: Header=BB468_3103 Depth=1
	s_delay_alu instid0(SALU_CYCLE_1) | instskip(NEXT) | instid1(VALU_DEP_1)
	s_or_b32 exec_lo, exec_lo, s22
	v_mul_f32_e32 v5, v26, v4
	s_delay_alu instid0(VALU_DEP_1) | instskip(NEXT) | instid1(VALU_DEP_1)
	v_and_b32_e32 v4, 0x7f800000, v5
	v_cmp_ne_u32_e64 s9, 0x7f800000, v4
                                        ; implicit-def: $vgpr4
	s_delay_alu instid0(VALU_DEP_1) | instskip(NEXT) | instid1(SALU_CYCLE_1)
	s_and_saveexec_b32 s22, s9
	s_xor_b32 s9, exec_lo, s22
; %bb.4574:                             ;   in Loop: Header=BB468_3103 Depth=1
	v_bfe_u32 v4, v5, 16, 1
	s_delay_alu instid0(VALU_DEP_1)
	v_add3_u32 v4, v5, v4, 0x7fff
                                        ; implicit-def: $vgpr5
; %bb.4575:                             ;   in Loop: Header=BB468_3103 Depth=1
	s_and_not1_saveexec_b32 s22, s9
; %bb.4576:                             ;   in Loop: Header=BB468_3103 Depth=1
	v_and_b32_e32 v4, 0xffff, v5
	v_or_b32_e32 v8, 0x10000, v5
	s_delay_alu instid0(VALU_DEP_2) | instskip(NEXT) | instid1(VALU_DEP_1)
	v_cmp_eq_u32_e64 s9, 0, v4
	v_cndmask_b32_e64 v4, v8, v5, s9
; %bb.4577:                             ;   in Loop: Header=BB468_3103 Depth=1
	s_or_b32 exec_lo, exec_lo, s22
	v_lshrrev_b16 v8, 8, v6
	v_mov_b32_e32 v5, 0
	s_mov_b32 s22, exec_lo
	s_delay_alu instid0(VALU_DEP_2)
	v_cmpx_ne_u16_e32 0, v8
	s_cbranch_execz .LBB468_4585
; %bb.4578:                             ;   in Loop: Header=BB468_3103 Depth=1
	v_bfrev_b32_e32 v5, 1
	s_mov_b32 s23, exec_lo
	v_cmpx_ne_u16_e32 0x80, v8
	s_cbranch_execz .LBB468_4584
; %bb.4579:                             ;   in Loop: Header=BB468_3103 Depth=1
	v_and_b32_e32 v9, 0xffff, v8
	v_mov_b32_e32 v5, 0x7f800001
	s_mov_b32 s24, exec_lo
	s_delay_alu instid0(VALU_DEP_2) | instskip(NEXT) | instid1(VALU_DEP_1)
	v_and_b32_e32 v8, 0x7f, v9
	v_cmpx_ne_u32_e32 0x7f, v8
	s_cbranch_execz .LBB468_4583
; %bb.4580:                             ;   in Loop: Header=BB468_3103 Depth=1
	v_and_b32_e32 v12, 7, v9
	v_lshrrev_b32_e32 v5, 3, v8
	v_cmp_gt_u32_e64 s9, 8, v8
	s_delay_alu instid0(VALU_DEP_3) | instskip(NEXT) | instid1(VALU_DEP_2)
	v_dual_mov_b32 v8, v12 :: v_dual_mov_b32 v9, v13
	s_and_saveexec_b32 s25, s9
; %bb.4581:                             ;   in Loop: Header=BB468_3103 Depth=1
	v_clz_i32_u32_e32 v5, v12
	s_delay_alu instid0(VALU_DEP_1) | instskip(NEXT) | instid1(VALU_DEP_1)
	v_min_u32_e32 v5, 32, v5
	v_subrev_nc_u32_e32 v8, 28, v5
	v_sub_nc_u32_e32 v5, 29, v5
	s_delay_alu instid0(VALU_DEP_2) | instskip(NEXT) | instid1(VALU_DEP_1)
	v_lshlrev_b64 v[8:9], v8, v[12:13]
	v_and_b32_e32 v8, 7, v8
; %bb.4582:                             ;   in Loop: Header=BB468_3103 Depth=1
	s_or_b32 exec_lo, exec_lo, s25
	v_lshlrev_b32_e32 v9, 16, v6
	s_delay_alu instid0(VALU_DEP_2) | instskip(SKIP_1) | instid1(VALU_DEP_3)
	v_lshlrev_b32_e32 v8, 20, v8
	v_lshl_add_u32 v5, v5, 23, 0x3c000000
	v_and_b32_e32 v9, 0x80000000, v9
	s_delay_alu instid0(VALU_DEP_1)
	v_or3_b32 v5, v8, v9, v5
.LBB468_4583:                           ;   in Loop: Header=BB468_3103 Depth=1
	s_or_b32 exec_lo, exec_lo, s24
.LBB468_4584:                           ;   in Loop: Header=BB468_3103 Depth=1
	s_delay_alu instid0(SALU_CYCLE_1)
	s_or_b32 exec_lo, exec_lo, s23
.LBB468_4585:                           ;   in Loop: Header=BB468_3103 Depth=1
	s_delay_alu instid0(SALU_CYCLE_1) | instskip(NEXT) | instid1(VALU_DEP_1)
	s_or_b32 exec_lo, exec_lo, s22
	v_mul_f32_e32 v8, v26, v5
	s_delay_alu instid0(VALU_DEP_1) | instskip(NEXT) | instid1(VALU_DEP_1)
	v_and_b32_e32 v5, 0x7f800000, v8
	v_cmp_ne_u32_e64 s9, 0x7f800000, v5
                                        ; implicit-def: $vgpr5
	s_delay_alu instid0(VALU_DEP_1) | instskip(NEXT) | instid1(SALU_CYCLE_1)
	s_and_saveexec_b32 s22, s9
	s_xor_b32 s9, exec_lo, s22
; %bb.4586:                             ;   in Loop: Header=BB468_3103 Depth=1
	v_bfe_u32 v5, v8, 16, 1
	s_delay_alu instid0(VALU_DEP_1)
	v_add3_u32 v5, v8, v5, 0x7fff
                                        ; implicit-def: $vgpr8
; %bb.4587:                             ;   in Loop: Header=BB468_3103 Depth=1
	s_and_not1_saveexec_b32 s22, s9
; %bb.4588:                             ;   in Loop: Header=BB468_3103 Depth=1
	v_and_b32_e32 v5, 0xffff, v8
	v_or_b32_e32 v9, 0x10000, v8
	s_delay_alu instid0(VALU_DEP_2) | instskip(NEXT) | instid1(VALU_DEP_1)
	v_cmp_eq_u32_e64 s9, 0, v5
	v_cndmask_b32_e64 v5, v9, v8, s9
; %bb.4589:                             ;   in Loop: Header=BB468_3103 Depth=1
	s_or_b32 exec_lo, exec_lo, s22
	v_lshrrev_b32_e32 v10, 16, v6
	s_mov_b32 s22, exec_lo
	s_delay_alu instid0(VALU_DEP_1) | instskip(NEXT) | instid1(VALU_DEP_1)
	v_dual_mov_b32 v8, 0 :: v_dual_and_b32 v9, 0xff, v10
	v_cmpx_ne_u16_e32 0, v9
	s_cbranch_execz .LBB468_4597
; %bb.4590:                             ;   in Loop: Header=BB468_3103 Depth=1
	v_bfrev_b32_e32 v8, 1
	s_mov_b32 s23, exec_lo
	v_cmpx_ne_u16_e32 0x80, v9
	s_cbranch_execz .LBB468_4596
; %bb.4591:                             ;   in Loop: Header=BB468_3103 Depth=1
	v_bfe_u32 v9, v6, 16, 7
	v_mov_b32_e32 v8, 0x7f800001
	s_mov_b32 s24, exec_lo
	s_delay_alu instid0(VALU_DEP_2)
	v_cmpx_ne_u32_e32 0x7f, v9
	s_cbranch_execz .LBB468_4595
; %bb.4592:                             ;   in Loop: Header=BB468_3103 Depth=1
	v_and_b32_e32 v12, 7, v10
	v_lshrrev_b32_e32 v11, 3, v9
	v_cmp_gt_u32_e64 s9, 8, v9
	s_delay_alu instid0(VALU_DEP_3) | instskip(NEXT) | instid1(VALU_DEP_2)
	v_dual_mov_b32 v8, v12 :: v_dual_mov_b32 v9, v13
	s_and_saveexec_b32 s25, s9
; %bb.4593:                             ;   in Loop: Header=BB468_3103 Depth=1
	v_clz_i32_u32_e32 v8, v12
	s_delay_alu instid0(VALU_DEP_1) | instskip(NEXT) | instid1(VALU_DEP_1)
	v_min_u32_e32 v11, 32, v8
	v_subrev_nc_u32_e32 v8, 28, v11
	v_sub_nc_u32_e32 v11, 29, v11
	s_delay_alu instid0(VALU_DEP_2) | instskip(NEXT) | instid1(VALU_DEP_1)
	v_lshlrev_b64 v[8:9], v8, v[12:13]
	v_and_b32_e32 v8, 7, v8
; %bb.4594:                             ;   in Loop: Header=BB468_3103 Depth=1
	s_or_b32 exec_lo, exec_lo, s25
	v_lshlrev_b32_e32 v9, 24, v10
	s_delay_alu instid0(VALU_DEP_2) | instskip(SKIP_1) | instid1(VALU_DEP_3)
	v_lshlrev_b32_e32 v8, 20, v8
	v_lshl_add_u32 v10, v11, 23, 0x3c000000
	v_and_b32_e32 v9, 0x80000000, v9
	s_delay_alu instid0(VALU_DEP_1)
	v_or3_b32 v8, v8, v9, v10
.LBB468_4595:                           ;   in Loop: Header=BB468_3103 Depth=1
	s_or_b32 exec_lo, exec_lo, s24
.LBB468_4596:                           ;   in Loop: Header=BB468_3103 Depth=1
	s_delay_alu instid0(SALU_CYCLE_1)
	s_or_b32 exec_lo, exec_lo, s23
.LBB468_4597:                           ;   in Loop: Header=BB468_3103 Depth=1
	s_delay_alu instid0(SALU_CYCLE_1) | instskip(NEXT) | instid1(VALU_DEP_1)
	s_or_b32 exec_lo, exec_lo, s22
	v_mul_f32_e32 v8, v26, v8
                                        ; implicit-def: $vgpr10
	s_delay_alu instid0(VALU_DEP_1) | instskip(NEXT) | instid1(VALU_DEP_1)
	v_and_b32_e32 v9, 0x7f800000, v8
	v_cmp_ne_u32_e64 s9, 0x7f800000, v9
	s_delay_alu instid0(VALU_DEP_1) | instskip(NEXT) | instid1(SALU_CYCLE_1)
	s_and_saveexec_b32 s22, s9
	s_xor_b32 s9, exec_lo, s22
; %bb.4598:                             ;   in Loop: Header=BB468_3103 Depth=1
	v_bfe_u32 v9, v8, 16, 1
	s_delay_alu instid0(VALU_DEP_1)
	v_add3_u32 v10, v8, v9, 0x7fff
                                        ; implicit-def: $vgpr8
; %bb.4599:                             ;   in Loop: Header=BB468_3103 Depth=1
	s_and_not1_saveexec_b32 s22, s9
; %bb.4600:                             ;   in Loop: Header=BB468_3103 Depth=1
	v_and_b32_e32 v9, 0xffff, v8
	v_or_b32_e32 v10, 0x10000, v8
	s_delay_alu instid0(VALU_DEP_2) | instskip(NEXT) | instid1(VALU_DEP_1)
	v_cmp_eq_u32_e64 s9, 0, v9
	v_cndmask_b32_e64 v10, v10, v8, s9
; %bb.4601:                             ;   in Loop: Header=BB468_3103 Depth=1
	s_or_b32 exec_lo, exec_lo, s22
	v_mov_b32_e32 v8, 0
	s_mov_b32 s22, exec_lo
	v_cmpx_lt_u32_e32 0xffffff, v6
	s_cbranch_execz .LBB468_4609
; %bb.4602:                             ;   in Loop: Header=BB468_3103 Depth=1
	v_lshrrev_b32_e32 v11, 24, v6
	v_bfrev_b32_e32 v8, 1
	s_mov_b32 s23, exec_lo
	s_delay_alu instid0(VALU_DEP_2)
	v_cmpx_ne_u32_e32 0x80, v11
	s_cbranch_execz .LBB468_4608
; %bb.4603:                             ;   in Loop: Header=BB468_3103 Depth=1
	v_bfe_u32 v9, v6, 24, 7
	v_mov_b32_e32 v8, 0x7f800001
	s_mov_b32 s24, exec_lo
	s_delay_alu instid0(VALU_DEP_2)
	v_cmpx_ne_u32_e32 0x7f, v9
	s_cbranch_execz .LBB468_4607
; %bb.4604:                             ;   in Loop: Header=BB468_3103 Depth=1
	v_and_b32_e32 v12, 7, v11
	v_lshrrev_b32_e32 v17, 3, v9
	v_cmp_gt_u32_e64 s9, 8, v9
	s_delay_alu instid0(VALU_DEP_3) | instskip(NEXT) | instid1(VALU_DEP_2)
	v_dual_mov_b32 v8, v12 :: v_dual_mov_b32 v9, v13
	s_and_saveexec_b32 s25, s9
; %bb.4605:                             ;   in Loop: Header=BB468_3103 Depth=1
	v_clz_i32_u32_e32 v8, v12
	s_delay_alu instid0(VALU_DEP_1) | instskip(NEXT) | instid1(VALU_DEP_1)
	v_min_u32_e32 v17, 32, v8
	v_subrev_nc_u32_e32 v8, 28, v17
	v_sub_nc_u32_e32 v17, 29, v17
	s_delay_alu instid0(VALU_DEP_2) | instskip(NEXT) | instid1(VALU_DEP_1)
	v_lshlrev_b64 v[8:9], v8, v[12:13]
	v_and_b32_e32 v8, 7, v8
; %bb.4606:                             ;   in Loop: Header=BB468_3103 Depth=1
	s_or_b32 exec_lo, exec_lo, s25
	v_lshlrev_b32_e32 v9, 24, v11
	s_delay_alu instid0(VALU_DEP_2) | instskip(SKIP_1) | instid1(VALU_DEP_3)
	v_lshlrev_b32_e32 v8, 20, v8
	v_lshl_add_u32 v11, v17, 23, 0x3c000000
	v_and_b32_e32 v9, 0x80000000, v9
	s_delay_alu instid0(VALU_DEP_1)
	v_or3_b32 v8, v8, v9, v11
.LBB468_4607:                           ;   in Loop: Header=BB468_3103 Depth=1
	s_or_b32 exec_lo, exec_lo, s24
.LBB468_4608:                           ;   in Loop: Header=BB468_3103 Depth=1
	s_delay_alu instid0(SALU_CYCLE_1)
	s_or_b32 exec_lo, exec_lo, s23
.LBB468_4609:                           ;   in Loop: Header=BB468_3103 Depth=1
	s_delay_alu instid0(SALU_CYCLE_1) | instskip(NEXT) | instid1(VALU_DEP_1)
	s_or_b32 exec_lo, exec_lo, s22
	v_mul_f32_e32 v8, v26, v8
                                        ; implicit-def: $vgpr11
	s_delay_alu instid0(VALU_DEP_1) | instskip(NEXT) | instid1(VALU_DEP_1)
	v_and_b32_e32 v9, 0x7f800000, v8
	v_cmp_ne_u32_e64 s9, 0x7f800000, v9
	s_delay_alu instid0(VALU_DEP_1) | instskip(NEXT) | instid1(SALU_CYCLE_1)
	s_and_saveexec_b32 s22, s9
	s_xor_b32 s9, exec_lo, s22
; %bb.4610:                             ;   in Loop: Header=BB468_3103 Depth=1
	v_bfe_u32 v9, v8, 16, 1
	s_delay_alu instid0(VALU_DEP_1)
	v_add3_u32 v11, v8, v9, 0x7fff
                                        ; implicit-def: $vgpr8
; %bb.4611:                             ;   in Loop: Header=BB468_3103 Depth=1
	s_and_not1_saveexec_b32 s22, s9
; %bb.4612:                             ;   in Loop: Header=BB468_3103 Depth=1
	v_and_b32_e32 v9, 0xffff, v8
	v_or_b32_e32 v11, 0x10000, v8
	s_delay_alu instid0(VALU_DEP_2) | instskip(NEXT) | instid1(VALU_DEP_1)
	v_cmp_eq_u32_e64 s9, 0, v9
	v_cndmask_b32_e64 v11, v11, v8, s9
; %bb.4613:                             ;   in Loop: Header=BB468_3103 Depth=1
	s_or_b32 exec_lo, exec_lo, s22
	v_dual_mov_b32 v12, v7 :: v_dual_and_b32 v9, 0xff, v7
	v_mov_b32_e32 v8, 0
	s_mov_b32 s22, exec_lo
	s_delay_alu instid0(VALU_DEP_2)
	v_cmpx_ne_u16_e32 0, v9
	s_cbranch_execz .LBB468_4621
; %bb.4614:                             ;   in Loop: Header=BB468_3103 Depth=1
	v_bfrev_b32_e32 v8, 1
	s_mov_b32 s23, exec_lo
	v_cmpx_ne_u16_e32 0x80, v9
	s_cbranch_execz .LBB468_4620
; %bb.4615:                             ;   in Loop: Header=BB468_3103 Depth=1
	v_and_b32_e32 v9, 0x7f, v7
	v_mov_b32_e32 v8, 0x7f800001
	s_mov_b32 s24, exec_lo
	s_delay_alu instid0(VALU_DEP_2)
	v_cmpx_ne_u32_e32 0x7f, v9
	s_cbranch_execz .LBB468_4619
; %bb.4616:                             ;   in Loop: Header=BB468_3103 Depth=1
	v_lshrrev_b32_e32 v17, 3, v9
	v_cmp_gt_u32_e64 s9, 8, v9
	v_dual_mov_b32 v8, v12 :: v_dual_mov_b32 v9, v13
	s_delay_alu instid0(VALU_DEP_2)
	s_and_saveexec_b32 s25, s9
; %bb.4617:                             ;   in Loop: Header=BB468_3103 Depth=1
	v_and_b32_e32 v8, 7, v7
	s_delay_alu instid0(VALU_DEP_1) | instskip(NEXT) | instid1(VALU_DEP_1)
	v_clz_i32_u32_e32 v8, v8
	v_min_u32_e32 v17, 32, v8
	s_delay_alu instid0(VALU_DEP_1) | instskip(SKIP_1) | instid1(VALU_DEP_2)
	v_subrev_nc_u32_e32 v8, 28, v17
	v_sub_nc_u32_e32 v17, 29, v17
	v_lshlrev_b64 v[8:9], v8, v[12:13]
; %bb.4618:                             ;   in Loop: Header=BB468_3103 Depth=1
	s_or_b32 exec_lo, exec_lo, s25
	s_delay_alu instid0(VALU_DEP_1) | instskip(SKIP_2) | instid1(VALU_DEP_3)
	v_lshlrev_b32_e32 v8, 20, v8
	v_lshlrev_b32_e32 v9, 24, v12
	v_lshl_add_u32 v17, v17, 23, 0x3c000000
	v_and_b32_e32 v8, 0x700000, v8
	s_delay_alu instid0(VALU_DEP_3) | instskip(NEXT) | instid1(VALU_DEP_1)
	v_and_b32_e32 v9, 0x80000000, v9
	v_or3_b32 v8, v8, v9, v17
.LBB468_4619:                           ;   in Loop: Header=BB468_3103 Depth=1
	s_or_b32 exec_lo, exec_lo, s24
.LBB468_4620:                           ;   in Loop: Header=BB468_3103 Depth=1
	s_delay_alu instid0(SALU_CYCLE_1)
	s_or_b32 exec_lo, exec_lo, s23
.LBB468_4621:                           ;   in Loop: Header=BB468_3103 Depth=1
	s_delay_alu instid0(SALU_CYCLE_1) | instskip(NEXT) | instid1(VALU_DEP_1)
	s_or_b32 exec_lo, exec_lo, s22
	v_mul_f32_e32 v8, v26, v8
                                        ; implicit-def: $vgpr17
	s_delay_alu instid0(VALU_DEP_1) | instskip(NEXT) | instid1(VALU_DEP_1)
	v_and_b32_e32 v9, 0x7f800000, v8
	v_cmp_ne_u32_e64 s9, 0x7f800000, v9
	s_delay_alu instid0(VALU_DEP_1) | instskip(NEXT) | instid1(SALU_CYCLE_1)
	s_and_saveexec_b32 s22, s9
	s_xor_b32 s9, exec_lo, s22
; %bb.4622:                             ;   in Loop: Header=BB468_3103 Depth=1
	v_bfe_u32 v9, v8, 16, 1
	s_delay_alu instid0(VALU_DEP_1)
	v_add3_u32 v17, v8, v9, 0x7fff
                                        ; implicit-def: $vgpr8
; %bb.4623:                             ;   in Loop: Header=BB468_3103 Depth=1
	s_and_not1_saveexec_b32 s22, s9
; %bb.4624:                             ;   in Loop: Header=BB468_3103 Depth=1
	v_and_b32_e32 v9, 0xffff, v8
	v_or_b32_e32 v17, 0x10000, v8
	s_delay_alu instid0(VALU_DEP_2) | instskip(NEXT) | instid1(VALU_DEP_1)
	v_cmp_eq_u32_e64 s9, 0, v9
	v_cndmask_b32_e64 v17, v17, v8, s9
; %bb.4625:                             ;   in Loop: Header=BB468_3103 Depth=1
	s_or_b32 exec_lo, exec_lo, s22
	v_lshrrev_b16 v9, 8, v12
	v_mov_b32_e32 v8, 0
	s_mov_b32 s22, exec_lo
	s_delay_alu instid0(VALU_DEP_2)
	v_cmpx_ne_u16_e32 0, v9
	s_cbranch_execz .LBB468_4633
; %bb.4626:                             ;   in Loop: Header=BB468_3103 Depth=1
	v_bfrev_b32_e32 v8, 1
	s_mov_b32 s23, exec_lo
	v_cmpx_ne_u16_e32 0x80, v9
	s_cbranch_execz .LBB468_4632
; %bb.4627:                             ;   in Loop: Header=BB468_3103 Depth=1
	v_and_b32_e32 v9, 0xffff, v9
	v_mov_b32_e32 v8, 0x7f800001
	s_mov_b32 s24, exec_lo
	s_delay_alu instid0(VALU_DEP_2) | instskip(NEXT) | instid1(VALU_DEP_1)
	v_and_b32_e32 v19, 0x7f, v9
	v_cmpx_ne_u32_e32 0x7f, v19
	s_cbranch_execz .LBB468_4631
; %bb.4628:                             ;   in Loop: Header=BB468_3103 Depth=1
	v_dual_mov_b32 v9, v13 :: v_dual_and_b32 v8, 7, v9
	v_lshrrev_b32_e32 v18, 3, v19
	s_mov_b32 s25, exec_lo
	v_cmpx_gt_u32_e32 8, v19
; %bb.4629:                             ;   in Loop: Header=BB468_3103 Depth=1
	s_delay_alu instid0(VALU_DEP_3) | instskip(NEXT) | instid1(VALU_DEP_1)
	v_clz_i32_u32_e32 v18, v8
	v_min_u32_e32 v18, 32, v18
	s_delay_alu instid0(VALU_DEP_1) | instskip(SKIP_1) | instid1(VALU_DEP_2)
	v_subrev_nc_u32_e32 v19, 28, v18
	v_sub_nc_u32_e32 v18, 29, v18
	v_lshlrev_b64 v[8:9], v19, v[8:9]
	s_delay_alu instid0(VALU_DEP_1)
	v_and_b32_e32 v8, 7, v8
; %bb.4630:                             ;   in Loop: Header=BB468_3103 Depth=1
	s_or_b32 exec_lo, exec_lo, s25
	v_lshlrev_b32_e32 v9, 16, v12
	s_delay_alu instid0(VALU_DEP_2) | instskip(SKIP_1) | instid1(VALU_DEP_3)
	v_lshlrev_b32_e32 v8, 20, v8
	v_lshl_add_u32 v12, v18, 23, 0x3c000000
	v_and_b32_e32 v9, 0x80000000, v9
	s_delay_alu instid0(VALU_DEP_1)
	v_or3_b32 v8, v8, v9, v12
.LBB468_4631:                           ;   in Loop: Header=BB468_3103 Depth=1
	s_or_b32 exec_lo, exec_lo, s24
.LBB468_4632:                           ;   in Loop: Header=BB468_3103 Depth=1
	s_delay_alu instid0(SALU_CYCLE_1)
	s_or_b32 exec_lo, exec_lo, s23
.LBB468_4633:                           ;   in Loop: Header=BB468_3103 Depth=1
	s_delay_alu instid0(SALU_CYCLE_1) | instskip(NEXT) | instid1(VALU_DEP_1)
	s_or_b32 exec_lo, exec_lo, s22
	v_mul_f32_e32 v8, v26, v8
                                        ; implicit-def: $vgpr18
	s_delay_alu instid0(VALU_DEP_1) | instskip(NEXT) | instid1(VALU_DEP_1)
	v_and_b32_e32 v9, 0x7f800000, v8
	v_cmp_ne_u32_e64 s9, 0x7f800000, v9
	s_delay_alu instid0(VALU_DEP_1) | instskip(NEXT) | instid1(SALU_CYCLE_1)
	s_and_saveexec_b32 s22, s9
	s_xor_b32 s9, exec_lo, s22
; %bb.4634:                             ;   in Loop: Header=BB468_3103 Depth=1
	v_bfe_u32 v9, v8, 16, 1
	s_delay_alu instid0(VALU_DEP_1)
	v_add3_u32 v18, v8, v9, 0x7fff
                                        ; implicit-def: $vgpr8
; %bb.4635:                             ;   in Loop: Header=BB468_3103 Depth=1
	s_and_not1_saveexec_b32 s22, s9
; %bb.4636:                             ;   in Loop: Header=BB468_3103 Depth=1
	v_and_b32_e32 v9, 0xffff, v8
	v_or_b32_e32 v12, 0x10000, v8
	s_delay_alu instid0(VALU_DEP_2) | instskip(NEXT) | instid1(VALU_DEP_1)
	v_cmp_eq_u32_e64 s9, 0, v9
	v_cndmask_b32_e64 v18, v12, v8, s9
; %bb.4637:                             ;   in Loop: Header=BB468_3103 Depth=1
	s_or_b32 exec_lo, exec_lo, s22
	v_lshrrev_b32_e32 v19, 16, v7
	s_mov_b32 s22, exec_lo
	s_delay_alu instid0(VALU_DEP_1) | instskip(NEXT) | instid1(VALU_DEP_1)
	v_dual_mov_b32 v8, 0 :: v_dual_and_b32 v9, 0xff, v19
	v_cmpx_ne_u16_e32 0, v9
	s_cbranch_execz .LBB468_4645
; %bb.4638:                             ;   in Loop: Header=BB468_3103 Depth=1
	v_bfrev_b32_e32 v8, 1
	s_mov_b32 s23, exec_lo
	v_cmpx_ne_u16_e32 0x80, v9
	s_cbranch_execz .LBB468_4644
; %bb.4639:                             ;   in Loop: Header=BB468_3103 Depth=1
	v_bfe_u32 v9, v7, 16, 7
	v_mov_b32_e32 v8, 0x7f800001
	s_mov_b32 s24, exec_lo
	s_delay_alu instid0(VALU_DEP_2)
	v_cmpx_ne_u32_e32 0x7f, v9
	s_cbranch_execz .LBB468_4643
; %bb.4640:                             ;   in Loop: Header=BB468_3103 Depth=1
	v_and_b32_e32 v12, 7, v19
	v_lshrrev_b32_e32 v20, 3, v9
	v_cmp_gt_u32_e64 s9, 8, v9
	s_delay_alu instid0(VALU_DEP_3) | instskip(NEXT) | instid1(VALU_DEP_2)
	v_dual_mov_b32 v8, v12 :: v_dual_mov_b32 v9, v13
	s_and_saveexec_b32 s25, s9
; %bb.4641:                             ;   in Loop: Header=BB468_3103 Depth=1
	v_clz_i32_u32_e32 v8, v12
	s_delay_alu instid0(VALU_DEP_1) | instskip(NEXT) | instid1(VALU_DEP_1)
	v_min_u32_e32 v20, 32, v8
	v_subrev_nc_u32_e32 v8, 28, v20
	v_sub_nc_u32_e32 v20, 29, v20
	s_delay_alu instid0(VALU_DEP_2) | instskip(NEXT) | instid1(VALU_DEP_1)
	v_lshlrev_b64 v[8:9], v8, v[12:13]
	v_and_b32_e32 v8, 7, v8
; %bb.4642:                             ;   in Loop: Header=BB468_3103 Depth=1
	s_or_b32 exec_lo, exec_lo, s25
	v_lshlrev_b32_e32 v9, 24, v19
	s_delay_alu instid0(VALU_DEP_2) | instskip(SKIP_1) | instid1(VALU_DEP_3)
	v_lshlrev_b32_e32 v8, 20, v8
	v_lshl_add_u32 v12, v20, 23, 0x3c000000
	v_and_b32_e32 v9, 0x80000000, v9
	s_delay_alu instid0(VALU_DEP_1)
	v_or3_b32 v8, v8, v9, v12
.LBB468_4643:                           ;   in Loop: Header=BB468_3103 Depth=1
	s_or_b32 exec_lo, exec_lo, s24
.LBB468_4644:                           ;   in Loop: Header=BB468_3103 Depth=1
	s_delay_alu instid0(SALU_CYCLE_1)
	s_or_b32 exec_lo, exec_lo, s23
.LBB468_4645:                           ;   in Loop: Header=BB468_3103 Depth=1
	s_delay_alu instid0(SALU_CYCLE_1) | instskip(NEXT) | instid1(VALU_DEP_1)
	s_or_b32 exec_lo, exec_lo, s22
	v_mul_f32_e32 v8, v26, v8
	s_delay_alu instid0(VALU_DEP_1) | instskip(NEXT) | instid1(VALU_DEP_1)
	v_and_b32_e32 v9, 0x7f800000, v8
	v_cmp_ne_u32_e64 s9, 0x7f800000, v9
                                        ; implicit-def: $vgpr9
	s_delay_alu instid0(VALU_DEP_1) | instskip(NEXT) | instid1(SALU_CYCLE_1)
	s_and_saveexec_b32 s22, s9
	s_xor_b32 s9, exec_lo, s22
; %bb.4646:                             ;   in Loop: Header=BB468_3103 Depth=1
	v_bfe_u32 v9, v8, 16, 1
	s_delay_alu instid0(VALU_DEP_1)
	v_add3_u32 v9, v8, v9, 0x7fff
                                        ; implicit-def: $vgpr8
; %bb.4647:                             ;   in Loop: Header=BB468_3103 Depth=1
	s_and_not1_saveexec_b32 s22, s9
; %bb.4648:                             ;   in Loop: Header=BB468_3103 Depth=1
	v_and_b32_e32 v9, 0xffff, v8
	v_or_b32_e32 v12, 0x10000, v8
	s_delay_alu instid0(VALU_DEP_2) | instskip(NEXT) | instid1(VALU_DEP_1)
	v_cmp_eq_u32_e64 s9, 0, v9
	v_cndmask_b32_e64 v9, v12, v8, s9
; %bb.4649:                             ;   in Loop: Header=BB468_3103 Depth=1
	s_or_b32 exec_lo, exec_lo, s22
	v_cmp_lt_u64_e64 s9, s[12:13], v[6:7]
	v_mov_b32_e32 v6, 0
	s_delay_alu instid0(VALU_DEP_2)
	s_and_saveexec_b32 s22, s9
	s_cbranch_execz .LBB468_4657
; %bb.4650:                             ;   in Loop: Header=BB468_3103 Depth=1
	v_lshrrev_b32_e32 v8, 24, v7
	v_bfrev_b32_e32 v6, 1
	s_mov_b32 s23, exec_lo
	s_delay_alu instid0(VALU_DEP_2)
	v_cmpx_ne_u32_e32 0x80, v8
	s_cbranch_execz .LBB468_4656
; %bb.4651:                             ;   in Loop: Header=BB468_3103 Depth=1
	v_bfe_u32 v7, v7, 24, 7
	v_mov_b32_e32 v6, 0x7f800001
	s_mov_b32 s24, exec_lo
	s_delay_alu instid0(VALU_DEP_2)
	v_cmpx_ne_u32_e32 0x7f, v7
	s_cbranch_execz .LBB468_4655
; %bb.4652:                             ;   in Loop: Header=BB468_3103 Depth=1
	v_and_b32_e32 v12, 7, v8
	v_lshrrev_b32_e32 v19, 3, v7
	v_cmp_gt_u32_e64 s9, 8, v7
	s_delay_alu instid0(VALU_DEP_3) | instskip(NEXT) | instid1(VALU_DEP_2)
	v_dual_mov_b32 v6, v12 :: v_dual_mov_b32 v7, v13
	s_and_saveexec_b32 s25, s9
; %bb.4653:                             ;   in Loop: Header=BB468_3103 Depth=1
	v_clz_i32_u32_e32 v6, v12
	s_delay_alu instid0(VALU_DEP_1) | instskip(NEXT) | instid1(VALU_DEP_1)
	v_min_u32_e32 v19, 32, v6
	v_subrev_nc_u32_e32 v6, 28, v19
	v_sub_nc_u32_e32 v19, 29, v19
	s_delay_alu instid0(VALU_DEP_2) | instskip(NEXT) | instid1(VALU_DEP_1)
	v_lshlrev_b64 v[6:7], v6, v[12:13]
	v_and_b32_e32 v6, 7, v6
; %bb.4654:                             ;   in Loop: Header=BB468_3103 Depth=1
	s_or_b32 exec_lo, exec_lo, s25
	v_lshlrev_b32_e32 v7, 24, v8
	s_delay_alu instid0(VALU_DEP_2) | instskip(SKIP_1) | instid1(VALU_DEP_3)
	v_lshlrev_b32_e32 v6, 20, v6
	v_lshl_add_u32 v8, v19, 23, 0x3c000000
	v_and_b32_e32 v7, 0x80000000, v7
	s_delay_alu instid0(VALU_DEP_1)
	v_or3_b32 v6, v6, v7, v8
.LBB468_4655:                           ;   in Loop: Header=BB468_3103 Depth=1
	s_or_b32 exec_lo, exec_lo, s24
.LBB468_4656:                           ;   in Loop: Header=BB468_3103 Depth=1
	s_delay_alu instid0(SALU_CYCLE_1)
	s_or_b32 exec_lo, exec_lo, s23
.LBB468_4657:                           ;   in Loop: Header=BB468_3103 Depth=1
	s_delay_alu instid0(SALU_CYCLE_1) | instskip(NEXT) | instid1(VALU_DEP_1)
	s_or_b32 exec_lo, exec_lo, s22
	v_mul_f32_e32 v6, v26, v6
                                        ; implicit-def: $vgpr19
	s_delay_alu instid0(VALU_DEP_1) | instskip(NEXT) | instid1(VALU_DEP_1)
	v_and_b32_e32 v7, 0x7f800000, v6
	v_cmp_ne_u32_e64 s9, 0x7f800000, v7
	s_delay_alu instid0(VALU_DEP_1) | instskip(NEXT) | instid1(SALU_CYCLE_1)
	s_and_saveexec_b32 s22, s9
	s_xor_b32 s9, exec_lo, s22
; %bb.4658:                             ;   in Loop: Header=BB468_3103 Depth=1
	v_bfe_u32 v7, v6, 16, 1
	s_delay_alu instid0(VALU_DEP_1)
	v_add3_u32 v19, v6, v7, 0x7fff
                                        ; implicit-def: $vgpr6
; %bb.4659:                             ;   in Loop: Header=BB468_3103 Depth=1
	s_and_not1_saveexec_b32 s22, s9
; %bb.4660:                             ;   in Loop: Header=BB468_3103 Depth=1
	v_and_b32_e32 v7, 0xffff, v6
	v_or_b32_e32 v8, 0x10000, v6
	s_delay_alu instid0(VALU_DEP_2) | instskip(NEXT) | instid1(VALU_DEP_1)
	v_cmp_eq_u32_e64 s9, 0, v7
	v_cndmask_b32_e64 v19, v8, v6, s9
; %bb.4661:                             ;   in Loop: Header=BB468_3103 Depth=1
	s_or_b32 exec_lo, exec_lo, s22
	v_lshrrev_b32_e32 v6, 16, v18
	v_lshrrev_b32_e32 v7, 16, v17
	;; [unrolled: 1-line block ×8, first 2 shown]
	s_and_saveexec_b32 s9, s3
; %bb.4662:                             ;   in Loop: Header=BB468_3103 Depth=1
	s_delay_alu instid0(VALU_DEP_3)
	v_cndmask_b32_e32 v12, 0, v12, vcc_lo
	v_cndmask_b32_e64 v11, 0, v11, s1
	v_cndmask_b32_e64 v10, 0, v10, s2
	;; [unrolled: 1-line block ×7, first 2 shown]
; %bb.4663:                             ;   in Loop: Header=BB468_3103 Depth=1
	s_or_b32 exec_lo, exec_lo, s9
	v_lshlrev_b32_e32 v9, 16, v12
	s_delay_alu instid0(VALU_DEP_1) | instskip(NEXT) | instid1(VALU_DEP_1)
	v_mul_f32_e32 v9, v151, v9
	v_and_b32_e32 v12, 0x7f800000, v9
	s_delay_alu instid0(VALU_DEP_1) | instskip(NEXT) | instid1(VALU_DEP_1)
	v_cmp_ne_u32_e64 s9, 0x7f800000, v12
                                        ; implicit-def: $vgpr12
                                        ; kill: killed $vgpr12
	s_and_saveexec_b32 s22, s9
	s_delay_alu instid0(SALU_CYCLE_1)
	s_xor_b32 s9, exec_lo, s22
	s_cbranch_execz .LBB468_4665
; %bb.4664:                             ;   in Loop: Header=BB468_3103 Depth=1
	v_bfe_u32 v12, v9, 16, 1
	s_delay_alu instid0(VALU_DEP_1)
	v_add3_u32 v9, v9, v12, 0x7fff
	scratch_store_b32 off, v9, s32 offset:684 ; 4-byte Folded Spill
                                        ; implicit-def: $vgpr9
.LBB468_4665:                           ;   in Loop: Header=BB468_3103 Depth=1
	s_and_not1_saveexec_b32 s22, s9
	s_cbranch_execz .LBB468_4667
; %bb.4666:                             ;   in Loop: Header=BB468_3103 Depth=1
	v_and_b32_e32 v12, 0xffff, v9
	v_or_b32_e32 v17, 0x10000, v9
	s_delay_alu instid0(VALU_DEP_2) | instskip(NEXT) | instid1(VALU_DEP_1)
	v_cmp_eq_u32_e64 s9, 0, v12
	v_cndmask_b32_e64 v9, v17, v9, s9
	scratch_store_b32 off, v9, s32 offset:684 ; 4-byte Folded Spill
.LBB468_4667:                           ;   in Loop: Header=BB468_3103 Depth=1
	s_or_b32 exec_lo, exec_lo, s22
	v_lshlrev_b32_e32 v9, 16, v11
	s_delay_alu instid0(VALU_DEP_1) | instskip(NEXT) | instid1(VALU_DEP_1)
	v_mul_f32_e32 v9, v160, v9
	v_and_b32_e32 v11, 0x7f800000, v9
	s_delay_alu instid0(VALU_DEP_1) | instskip(NEXT) | instid1(VALU_DEP_1)
	v_cmp_ne_u32_e64 s9, 0x7f800000, v11
                                        ; implicit-def: $vgpr11
                                        ; kill: killed $vgpr11
	s_and_saveexec_b32 s22, s9
	s_delay_alu instid0(SALU_CYCLE_1)
	s_xor_b32 s9, exec_lo, s22
	s_cbranch_execz .LBB468_4669
; %bb.4668:                             ;   in Loop: Header=BB468_3103 Depth=1
	v_bfe_u32 v11, v9, 16, 1
	s_delay_alu instid0(VALU_DEP_1)
	v_add3_u32 v9, v9, v11, 0x7fff
	scratch_store_b32 off, v9, s32 offset:688 ; 4-byte Folded Spill
                                        ; implicit-def: $vgpr9
.LBB468_4669:                           ;   in Loop: Header=BB468_3103 Depth=1
	s_and_not1_saveexec_b32 s22, s9
	s_cbranch_execz .LBB468_4671
; %bb.4670:                             ;   in Loop: Header=BB468_3103 Depth=1
	v_and_b32_e32 v11, 0xffff, v9
	v_or_b32_e32 v12, 0x10000, v9
	s_delay_alu instid0(VALU_DEP_2) | instskip(NEXT) | instid1(VALU_DEP_1)
	v_cmp_eq_u32_e64 s9, 0, v11
	v_cndmask_b32_e64 v9, v12, v9, s9
	scratch_store_b32 off, v9, s32 offset:688 ; 4-byte Folded Spill
.LBB468_4671:                           ;   in Loop: Header=BB468_3103 Depth=1
	s_or_b32 exec_lo, exec_lo, s22
	v_lshlrev_b32_e32 v9, 16, v10
	s_delay_alu instid0(VALU_DEP_1) | instskip(NEXT) | instid1(VALU_DEP_1)
	v_mul_f32_e32 v9, v161, v9
	v_and_b32_e32 v10, 0x7f800000, v9
	s_delay_alu instid0(VALU_DEP_1) | instskip(NEXT) | instid1(VALU_DEP_1)
	v_cmp_ne_u32_e64 s9, 0x7f800000, v10
                                        ; implicit-def: $vgpr10
                                        ; kill: killed $vgpr10
	s_and_saveexec_b32 s22, s9
	s_delay_alu instid0(SALU_CYCLE_1)
	s_xor_b32 s9, exec_lo, s22
	s_cbranch_execz .LBB468_4673
; %bb.4672:                             ;   in Loop: Header=BB468_3103 Depth=1
	v_bfe_u32 v10, v9, 16, 1
	s_delay_alu instid0(VALU_DEP_1)
	v_add3_u32 v9, v9, v10, 0x7fff
	scratch_store_b32 off, v9, s32 offset:692 ; 4-byte Folded Spill
                                        ; implicit-def: $vgpr9
.LBB468_4673:                           ;   in Loop: Header=BB468_3103 Depth=1
	s_and_not1_saveexec_b32 s22, s9
	s_cbranch_execz .LBB468_4675
; %bb.4674:                             ;   in Loop: Header=BB468_3103 Depth=1
	v_and_b32_e32 v10, 0xffff, v9
	v_or_b32_e32 v11, 0x10000, v9
	s_delay_alu instid0(VALU_DEP_2) | instskip(NEXT) | instid1(VALU_DEP_1)
	v_cmp_eq_u32_e64 s9, 0, v10
	v_cndmask_b32_e64 v9, v11, v9, s9
	scratch_store_b32 off, v9, s32 offset:692 ; 4-byte Folded Spill
.LBB468_4675:                           ;   in Loop: Header=BB468_3103 Depth=1
	s_or_b32 exec_lo, exec_lo, s22
	v_lshlrev_b32_e32 v8, 16, v8
	s_delay_alu instid0(VALU_DEP_1) | instskip(NEXT) | instid1(VALU_DEP_1)
	v_mul_f32_e32 v8, v162, v8
	v_and_b32_e32 v9, 0x7f800000, v8
	s_delay_alu instid0(VALU_DEP_1) | instskip(NEXT) | instid1(VALU_DEP_1)
	v_cmp_ne_u32_e64 s9, 0x7f800000, v9
                                        ; implicit-def: $vgpr9
                                        ; kill: killed $vgpr9
	s_and_saveexec_b32 s22, s9
	s_delay_alu instid0(SALU_CYCLE_1)
	s_xor_b32 s9, exec_lo, s22
	s_cbranch_execz .LBB468_4677
; %bb.4676:                             ;   in Loop: Header=BB468_3103 Depth=1
	v_bfe_u32 v9, v8, 16, 1
	s_delay_alu instid0(VALU_DEP_1)
	v_add3_u32 v8, v8, v9, 0x7fff
	scratch_store_b32 off, v8, s32 offset:696 ; 4-byte Folded Spill
                                        ; implicit-def: $vgpr8
.LBB468_4677:                           ;   in Loop: Header=BB468_3103 Depth=1
	s_and_not1_saveexec_b32 s22, s9
	s_cbranch_execz .LBB468_4679
; %bb.4678:                             ;   in Loop: Header=BB468_3103 Depth=1
	v_and_b32_e32 v9, 0xffff, v8
	v_or_b32_e32 v10, 0x10000, v8
	s_delay_alu instid0(VALU_DEP_2) | instskip(NEXT) | instid1(VALU_DEP_1)
	v_cmp_eq_u32_e64 s9, 0, v9
	v_cndmask_b32_e64 v8, v10, v8, s9
	scratch_store_b32 off, v8, s32 offset:696 ; 4-byte Folded Spill
.LBB468_4679:                           ;   in Loop: Header=BB468_3103 Depth=1
	s_or_b32 exec_lo, exec_lo, s22
	v_lshlrev_b32_e32 v7, 16, v7
	s_delay_alu instid0(VALU_DEP_1) | instskip(NEXT) | instid1(VALU_DEP_1)
	v_mul_f32_e32 v7, v163, v7
	v_and_b32_e32 v8, 0x7f800000, v7
	s_delay_alu instid0(VALU_DEP_1) | instskip(NEXT) | instid1(VALU_DEP_1)
	v_cmp_ne_u32_e64 s9, 0x7f800000, v8
                                        ; implicit-def: $vgpr8
                                        ; kill: killed $vgpr8
	s_and_saveexec_b32 s22, s9
	s_delay_alu instid0(SALU_CYCLE_1)
	s_xor_b32 s9, exec_lo, s22
	s_cbranch_execz .LBB468_4681
; %bb.4680:                             ;   in Loop: Header=BB468_3103 Depth=1
	v_bfe_u32 v8, v7, 16, 1
	s_delay_alu instid0(VALU_DEP_1)
	v_add3_u32 v7, v7, v8, 0x7fff
	scratch_store_b32 off, v7, s32 offset:700 ; 4-byte Folded Spill
                                        ; implicit-def: $vgpr7
.LBB468_4681:                           ;   in Loop: Header=BB468_3103 Depth=1
	s_and_not1_saveexec_b32 s22, s9
	s_cbranch_execz .LBB468_4683
; %bb.4682:                             ;   in Loop: Header=BB468_3103 Depth=1
	v_and_b32_e32 v8, 0xffff, v7
	v_or_b32_e32 v9, 0x10000, v7
	s_delay_alu instid0(VALU_DEP_2) | instskip(NEXT) | instid1(VALU_DEP_1)
	v_cmp_eq_u32_e64 s9, 0, v8
	v_cndmask_b32_e64 v7, v9, v7, s9
	scratch_store_b32 off, v7, s32 offset:700 ; 4-byte Folded Spill
.LBB468_4683:                           ;   in Loop: Header=BB468_3103 Depth=1
	s_or_b32 exec_lo, exec_lo, s22
	v_lshlrev_b32_e32 v6, 16, v6
	s_delay_alu instid0(VALU_DEP_1) | instskip(NEXT) | instid1(VALU_DEP_1)
	v_mul_f32_e32 v6, v164, v6
	v_and_b32_e32 v7, 0x7f800000, v6
	s_delay_alu instid0(VALU_DEP_1) | instskip(NEXT) | instid1(VALU_DEP_1)
	v_cmp_ne_u32_e64 s9, 0x7f800000, v7
                                        ; implicit-def: $vgpr7
                                        ; kill: killed $vgpr7
	s_and_saveexec_b32 s22, s9
	s_delay_alu instid0(SALU_CYCLE_1)
	s_xor_b32 s9, exec_lo, s22
	s_cbranch_execz .LBB468_4685
; %bb.4684:                             ;   in Loop: Header=BB468_3103 Depth=1
	v_bfe_u32 v7, v6, 16, 1
	s_delay_alu instid0(VALU_DEP_1)
	v_add3_u32 v6, v6, v7, 0x7fff
	scratch_store_b32 off, v6, s32 offset:704 ; 4-byte Folded Spill
                                        ; implicit-def: $vgpr6
.LBB468_4685:                           ;   in Loop: Header=BB468_3103 Depth=1
	s_and_not1_saveexec_b32 s22, s9
	s_cbranch_execz .LBB468_4687
; %bb.4686:                             ;   in Loop: Header=BB468_3103 Depth=1
	v_and_b32_e32 v7, 0xffff, v6
	v_or_b32_e32 v8, 0x10000, v6
	s_delay_alu instid0(VALU_DEP_2) | instskip(NEXT) | instid1(VALU_DEP_1)
	v_cmp_eq_u32_e64 s9, 0, v7
	v_cndmask_b32_e64 v6, v8, v6, s9
	scratch_store_b32 off, v6, s32 offset:704 ; 4-byte Folded Spill
.LBB468_4687:                           ;   in Loop: Header=BB468_3103 Depth=1
	s_or_b32 exec_lo, exec_lo, s22
	v_lshlrev_b32_e32 v5, 16, v5
	s_delay_alu instid0(VALU_DEP_1) | instskip(NEXT) | instid1(VALU_DEP_1)
	v_mul_f32_e32 v5, v165, v5
	v_and_b32_e32 v6, 0x7f800000, v5
	s_delay_alu instid0(VALU_DEP_1) | instskip(NEXT) | instid1(VALU_DEP_1)
	v_cmp_ne_u32_e64 s9, 0x7f800000, v6
                                        ; implicit-def: $vgpr6
                                        ; kill: killed $vgpr6
	s_and_saveexec_b32 s22, s9
	s_delay_alu instid0(SALU_CYCLE_1)
	s_xor_b32 s9, exec_lo, s22
	s_cbranch_execz .LBB468_4689
; %bb.4688:                             ;   in Loop: Header=BB468_3103 Depth=1
	v_bfe_u32 v6, v5, 16, 1
	s_delay_alu instid0(VALU_DEP_1)
	v_add3_u32 v5, v5, v6, 0x7fff
	scratch_store_b32 off, v5, s32 offset:708 ; 4-byte Folded Spill
                                        ; implicit-def: $vgpr5
.LBB468_4689:                           ;   in Loop: Header=BB468_3103 Depth=1
	s_and_not1_saveexec_b32 s22, s9
	s_cbranch_execz .LBB468_4691
; %bb.4690:                             ;   in Loop: Header=BB468_3103 Depth=1
	v_and_b32_e32 v6, 0xffff, v5
	v_or_b32_e32 v7, 0x10000, v5
	s_delay_alu instid0(VALU_DEP_2) | instskip(NEXT) | instid1(VALU_DEP_1)
	v_cmp_eq_u32_e64 s9, 0, v6
	v_cndmask_b32_e64 v5, v7, v5, s9
	scratch_store_b32 off, v5, s32 offset:708 ; 4-byte Folded Spill
.LBB468_4691:                           ;   in Loop: Header=BB468_3103 Depth=1
	s_or_b32 exec_lo, exec_lo, s22
	v_lshlrev_b32_e32 v4, 16, v4
	s_delay_alu instid0(VALU_DEP_1) | instskip(NEXT) | instid1(VALU_DEP_1)
	v_mul_f32_e32 v4, v166, v4
	v_and_b32_e32 v5, 0x7f800000, v4
	s_delay_alu instid0(VALU_DEP_1) | instskip(NEXT) | instid1(VALU_DEP_1)
	v_cmp_ne_u32_e64 s9, 0x7f800000, v5
                                        ; implicit-def: $vgpr5
                                        ; kill: killed $vgpr5
	s_and_saveexec_b32 s22, s9
	s_delay_alu instid0(SALU_CYCLE_1)
	s_xor_b32 s9, exec_lo, s22
	s_cbranch_execz .LBB468_4693
; %bb.4692:                             ;   in Loop: Header=BB468_3103 Depth=1
	v_bfe_u32 v5, v4, 16, 1
	s_delay_alu instid0(VALU_DEP_1)
	v_add3_u32 v4, v4, v5, 0x7fff
	scratch_store_b32 off, v4, s32 offset:712 ; 4-byte Folded Spill
                                        ; implicit-def: $vgpr4
.LBB468_4693:                           ;   in Loop: Header=BB468_3103 Depth=1
	s_and_not1_saveexec_b32 s22, s9
	s_cbranch_execz .LBB468_4695
; %bb.4694:                             ;   in Loop: Header=BB468_3103 Depth=1
	v_and_b32_e32 v5, 0xffff, v4
	v_or_b32_e32 v6, 0x10000, v4
	s_delay_alu instid0(VALU_DEP_2) | instskip(NEXT) | instid1(VALU_DEP_1)
	v_cmp_eq_u32_e64 s9, 0, v5
	v_cndmask_b32_e64 v4, v6, v4, s9
	scratch_store_b32 off, v4, s32 offset:712 ; 4-byte Folded Spill
.LBB468_4695:                           ;   in Loop: Header=BB468_3103 Depth=1
	s_or_b32 exec_lo, exec_lo, s22
	flat_load_b64 v[6:7], v[2:3] offset:3072
	s_mov_b32 s22, exec_lo
	s_waitcnt vmcnt(0) lgkmcnt(0)
	v_dual_mov_b32 v4, 0 :: v_dual_and_b32 v5, 0xff, v6
	s_delay_alu instid0(VALU_DEP_1)
	v_cmpx_ne_u16_e32 0, v5
	s_cbranch_execz .LBB468_4703
; %bb.4696:                             ;   in Loop: Header=BB468_3103 Depth=1
	v_bfrev_b32_e32 v4, 1
	s_mov_b32 s23, exec_lo
	v_cmpx_ne_u16_e32 0x80, v5
	s_cbranch_execz .LBB468_4702
; %bb.4697:                             ;   in Loop: Header=BB468_3103 Depth=1
	v_and_b32_e32 v5, 0x7f, v6
	v_mov_b32_e32 v4, 0x7f800001
	s_mov_b32 s24, exec_lo
	s_delay_alu instid0(VALU_DEP_2)
	v_cmpx_ne_u32_e32 0x7f, v5
	s_cbranch_execz .LBB468_4701
; %bb.4698:                             ;   in Loop: Header=BB468_3103 Depth=1
	v_lshrrev_b32_e32 v4, 3, v5
	v_dual_mov_b32 v9, v7 :: v_dual_mov_b32 v8, v6
	s_mov_b32 s25, exec_lo
	v_cmpx_gt_u32_e32 8, v5
; %bb.4699:                             ;   in Loop: Header=BB468_3103 Depth=1
	v_and_b32_e32 v4, 7, v6
	s_delay_alu instid0(VALU_DEP_1) | instskip(NEXT) | instid1(VALU_DEP_1)
	v_clz_i32_u32_e32 v4, v4
	v_min_u32_e32 v4, 32, v4
	s_delay_alu instid0(VALU_DEP_1) | instskip(SKIP_1) | instid1(VALU_DEP_2)
	v_subrev_nc_u32_e32 v5, 28, v4
	v_sub_nc_u32_e32 v4, 29, v4
	v_lshlrev_b64 v[8:9], v5, v[6:7]
; %bb.4700:                             ;   in Loop: Header=BB468_3103 Depth=1
	s_or_b32 exec_lo, exec_lo, s25
	s_delay_alu instid0(VALU_DEP_1) | instskip(SKIP_2) | instid1(VALU_DEP_3)
	v_lshlrev_b32_e32 v5, 20, v8
	v_lshlrev_b32_e32 v8, 24, v6
	v_lshl_add_u32 v4, v4, 23, 0x3c000000
	v_and_b32_e32 v5, 0x700000, v5
	s_delay_alu instid0(VALU_DEP_3) | instskip(NEXT) | instid1(VALU_DEP_1)
	v_and_b32_e32 v8, 0x80000000, v8
	v_or3_b32 v4, v5, v8, v4
.LBB468_4701:                           ;   in Loop: Header=BB468_3103 Depth=1
	s_or_b32 exec_lo, exec_lo, s24
.LBB468_4702:                           ;   in Loop: Header=BB468_3103 Depth=1
	s_delay_alu instid0(SALU_CYCLE_1)
	s_or_b32 exec_lo, exec_lo, s23
.LBB468_4703:                           ;   in Loop: Header=BB468_3103 Depth=1
	s_delay_alu instid0(SALU_CYCLE_1) | instskip(NEXT) | instid1(VALU_DEP_1)
	s_or_b32 exec_lo, exec_lo, s22
	v_mul_f32_e32 v5, v26, v4
	s_delay_alu instid0(VALU_DEP_1) | instskip(NEXT) | instid1(VALU_DEP_1)
	v_and_b32_e32 v4, 0x7f800000, v5
	v_cmp_ne_u32_e64 s9, 0x7f800000, v4
                                        ; implicit-def: $vgpr4
	s_delay_alu instid0(VALU_DEP_1) | instskip(NEXT) | instid1(SALU_CYCLE_1)
	s_and_saveexec_b32 s22, s9
	s_xor_b32 s9, exec_lo, s22
; %bb.4704:                             ;   in Loop: Header=BB468_3103 Depth=1
	v_bfe_u32 v4, v5, 16, 1
	s_delay_alu instid0(VALU_DEP_1)
	v_add3_u32 v4, v5, v4, 0x7fff
                                        ; implicit-def: $vgpr5
; %bb.4705:                             ;   in Loop: Header=BB468_3103 Depth=1
	s_and_not1_saveexec_b32 s22, s9
; %bb.4706:                             ;   in Loop: Header=BB468_3103 Depth=1
	v_and_b32_e32 v4, 0xffff, v5
	v_or_b32_e32 v8, 0x10000, v5
	s_delay_alu instid0(VALU_DEP_2) | instskip(NEXT) | instid1(VALU_DEP_1)
	v_cmp_eq_u32_e64 s9, 0, v4
	v_cndmask_b32_e64 v4, v8, v5, s9
; %bb.4707:                             ;   in Loop: Header=BB468_3103 Depth=1
	s_or_b32 exec_lo, exec_lo, s22
	v_lshrrev_b16 v8, 8, v6
	v_mov_b32_e32 v5, 0
	s_mov_b32 s22, exec_lo
	s_delay_alu instid0(VALU_DEP_2)
	v_cmpx_ne_u16_e32 0, v8
	s_cbranch_execz .LBB468_4715
; %bb.4708:                             ;   in Loop: Header=BB468_3103 Depth=1
	v_bfrev_b32_e32 v5, 1
	s_mov_b32 s23, exec_lo
	v_cmpx_ne_u16_e32 0x80, v8
	s_cbranch_execz .LBB468_4714
; %bb.4709:                             ;   in Loop: Header=BB468_3103 Depth=1
	v_and_b32_e32 v9, 0xffff, v8
	v_mov_b32_e32 v5, 0x7f800001
	s_mov_b32 s24, exec_lo
	s_delay_alu instid0(VALU_DEP_2) | instskip(NEXT) | instid1(VALU_DEP_1)
	v_and_b32_e32 v8, 0x7f, v9
	v_cmpx_ne_u32_e32 0x7f, v8
	s_cbranch_execz .LBB468_4713
; %bb.4710:                             ;   in Loop: Header=BB468_3103 Depth=1
	v_and_b32_e32 v12, 7, v9
	v_lshrrev_b32_e32 v5, 3, v8
	v_cmp_gt_u32_e64 s9, 8, v8
	s_delay_alu instid0(VALU_DEP_3) | instskip(NEXT) | instid1(VALU_DEP_2)
	v_dual_mov_b32 v8, v12 :: v_dual_mov_b32 v9, v13
	s_and_saveexec_b32 s25, s9
; %bb.4711:                             ;   in Loop: Header=BB468_3103 Depth=1
	v_clz_i32_u32_e32 v5, v12
	s_delay_alu instid0(VALU_DEP_1) | instskip(NEXT) | instid1(VALU_DEP_1)
	v_min_u32_e32 v5, 32, v5
	v_subrev_nc_u32_e32 v8, 28, v5
	v_sub_nc_u32_e32 v5, 29, v5
	s_delay_alu instid0(VALU_DEP_2) | instskip(NEXT) | instid1(VALU_DEP_1)
	v_lshlrev_b64 v[8:9], v8, v[12:13]
	v_and_b32_e32 v8, 7, v8
; %bb.4712:                             ;   in Loop: Header=BB468_3103 Depth=1
	s_or_b32 exec_lo, exec_lo, s25
	v_lshlrev_b32_e32 v9, 16, v6
	s_delay_alu instid0(VALU_DEP_2) | instskip(SKIP_1) | instid1(VALU_DEP_3)
	v_lshlrev_b32_e32 v8, 20, v8
	v_lshl_add_u32 v5, v5, 23, 0x3c000000
	v_and_b32_e32 v9, 0x80000000, v9
	s_delay_alu instid0(VALU_DEP_1)
	v_or3_b32 v5, v8, v9, v5
.LBB468_4713:                           ;   in Loop: Header=BB468_3103 Depth=1
	s_or_b32 exec_lo, exec_lo, s24
.LBB468_4714:                           ;   in Loop: Header=BB468_3103 Depth=1
	s_delay_alu instid0(SALU_CYCLE_1)
	s_or_b32 exec_lo, exec_lo, s23
.LBB468_4715:                           ;   in Loop: Header=BB468_3103 Depth=1
	s_delay_alu instid0(SALU_CYCLE_1) | instskip(NEXT) | instid1(VALU_DEP_1)
	s_or_b32 exec_lo, exec_lo, s22
	v_mul_f32_e32 v8, v26, v5
	s_delay_alu instid0(VALU_DEP_1) | instskip(NEXT) | instid1(VALU_DEP_1)
	v_and_b32_e32 v5, 0x7f800000, v8
	v_cmp_ne_u32_e64 s9, 0x7f800000, v5
                                        ; implicit-def: $vgpr5
	s_delay_alu instid0(VALU_DEP_1) | instskip(NEXT) | instid1(SALU_CYCLE_1)
	s_and_saveexec_b32 s22, s9
	s_xor_b32 s9, exec_lo, s22
; %bb.4716:                             ;   in Loop: Header=BB468_3103 Depth=1
	v_bfe_u32 v5, v8, 16, 1
	s_delay_alu instid0(VALU_DEP_1)
	v_add3_u32 v5, v8, v5, 0x7fff
                                        ; implicit-def: $vgpr8
; %bb.4717:                             ;   in Loop: Header=BB468_3103 Depth=1
	s_and_not1_saveexec_b32 s22, s9
; %bb.4718:                             ;   in Loop: Header=BB468_3103 Depth=1
	v_and_b32_e32 v5, 0xffff, v8
	v_or_b32_e32 v9, 0x10000, v8
	s_delay_alu instid0(VALU_DEP_2) | instskip(NEXT) | instid1(VALU_DEP_1)
	v_cmp_eq_u32_e64 s9, 0, v5
	v_cndmask_b32_e64 v5, v9, v8, s9
; %bb.4719:                             ;   in Loop: Header=BB468_3103 Depth=1
	s_or_b32 exec_lo, exec_lo, s22
	v_lshrrev_b32_e32 v10, 16, v6
	s_mov_b32 s22, exec_lo
	s_delay_alu instid0(VALU_DEP_1) | instskip(NEXT) | instid1(VALU_DEP_1)
	v_dual_mov_b32 v8, 0 :: v_dual_and_b32 v9, 0xff, v10
	v_cmpx_ne_u16_e32 0, v9
	s_cbranch_execz .LBB468_4727
; %bb.4720:                             ;   in Loop: Header=BB468_3103 Depth=1
	v_bfrev_b32_e32 v8, 1
	s_mov_b32 s23, exec_lo
	v_cmpx_ne_u16_e32 0x80, v9
	s_cbranch_execz .LBB468_4726
; %bb.4721:                             ;   in Loop: Header=BB468_3103 Depth=1
	v_bfe_u32 v9, v6, 16, 7
	v_mov_b32_e32 v8, 0x7f800001
	s_mov_b32 s24, exec_lo
	s_delay_alu instid0(VALU_DEP_2)
	v_cmpx_ne_u32_e32 0x7f, v9
	s_cbranch_execz .LBB468_4725
; %bb.4722:                             ;   in Loop: Header=BB468_3103 Depth=1
	v_and_b32_e32 v12, 7, v10
	v_lshrrev_b32_e32 v11, 3, v9
	v_cmp_gt_u32_e64 s9, 8, v9
	s_delay_alu instid0(VALU_DEP_3) | instskip(NEXT) | instid1(VALU_DEP_2)
	v_dual_mov_b32 v8, v12 :: v_dual_mov_b32 v9, v13
	s_and_saveexec_b32 s25, s9
; %bb.4723:                             ;   in Loop: Header=BB468_3103 Depth=1
	v_clz_i32_u32_e32 v8, v12
	s_delay_alu instid0(VALU_DEP_1) | instskip(NEXT) | instid1(VALU_DEP_1)
	v_min_u32_e32 v11, 32, v8
	v_subrev_nc_u32_e32 v8, 28, v11
	v_sub_nc_u32_e32 v11, 29, v11
	s_delay_alu instid0(VALU_DEP_2) | instskip(NEXT) | instid1(VALU_DEP_1)
	v_lshlrev_b64 v[8:9], v8, v[12:13]
	v_and_b32_e32 v8, 7, v8
; %bb.4724:                             ;   in Loop: Header=BB468_3103 Depth=1
	s_or_b32 exec_lo, exec_lo, s25
	v_lshlrev_b32_e32 v9, 24, v10
	s_delay_alu instid0(VALU_DEP_2) | instskip(SKIP_1) | instid1(VALU_DEP_3)
	v_lshlrev_b32_e32 v8, 20, v8
	v_lshl_add_u32 v10, v11, 23, 0x3c000000
	v_and_b32_e32 v9, 0x80000000, v9
	s_delay_alu instid0(VALU_DEP_1)
	v_or3_b32 v8, v8, v9, v10
.LBB468_4725:                           ;   in Loop: Header=BB468_3103 Depth=1
	s_or_b32 exec_lo, exec_lo, s24
.LBB468_4726:                           ;   in Loop: Header=BB468_3103 Depth=1
	s_delay_alu instid0(SALU_CYCLE_1)
	s_or_b32 exec_lo, exec_lo, s23
.LBB468_4727:                           ;   in Loop: Header=BB468_3103 Depth=1
	s_delay_alu instid0(SALU_CYCLE_1) | instskip(NEXT) | instid1(VALU_DEP_1)
	s_or_b32 exec_lo, exec_lo, s22
	v_mul_f32_e32 v8, v26, v8
                                        ; implicit-def: $vgpr10
	s_delay_alu instid0(VALU_DEP_1) | instskip(NEXT) | instid1(VALU_DEP_1)
	v_and_b32_e32 v9, 0x7f800000, v8
	v_cmp_ne_u32_e64 s9, 0x7f800000, v9
	s_delay_alu instid0(VALU_DEP_1) | instskip(NEXT) | instid1(SALU_CYCLE_1)
	s_and_saveexec_b32 s22, s9
	s_xor_b32 s9, exec_lo, s22
; %bb.4728:                             ;   in Loop: Header=BB468_3103 Depth=1
	v_bfe_u32 v9, v8, 16, 1
	s_delay_alu instid0(VALU_DEP_1)
	v_add3_u32 v10, v8, v9, 0x7fff
                                        ; implicit-def: $vgpr8
; %bb.4729:                             ;   in Loop: Header=BB468_3103 Depth=1
	s_and_not1_saveexec_b32 s22, s9
; %bb.4730:                             ;   in Loop: Header=BB468_3103 Depth=1
	v_and_b32_e32 v9, 0xffff, v8
	v_or_b32_e32 v10, 0x10000, v8
	s_delay_alu instid0(VALU_DEP_2) | instskip(NEXT) | instid1(VALU_DEP_1)
	v_cmp_eq_u32_e64 s9, 0, v9
	v_cndmask_b32_e64 v10, v10, v8, s9
; %bb.4731:                             ;   in Loop: Header=BB468_3103 Depth=1
	s_or_b32 exec_lo, exec_lo, s22
	v_mov_b32_e32 v8, 0
	s_mov_b32 s22, exec_lo
	v_cmpx_lt_u32_e32 0xffffff, v6
	s_cbranch_execz .LBB468_4739
; %bb.4732:                             ;   in Loop: Header=BB468_3103 Depth=1
	v_lshrrev_b32_e32 v11, 24, v6
	v_bfrev_b32_e32 v8, 1
	s_mov_b32 s23, exec_lo
	s_delay_alu instid0(VALU_DEP_2)
	v_cmpx_ne_u32_e32 0x80, v11
	s_cbranch_execz .LBB468_4738
; %bb.4733:                             ;   in Loop: Header=BB468_3103 Depth=1
	v_bfe_u32 v9, v6, 24, 7
	v_mov_b32_e32 v8, 0x7f800001
	s_mov_b32 s24, exec_lo
	s_delay_alu instid0(VALU_DEP_2)
	v_cmpx_ne_u32_e32 0x7f, v9
	s_cbranch_execz .LBB468_4737
; %bb.4734:                             ;   in Loop: Header=BB468_3103 Depth=1
	v_and_b32_e32 v12, 7, v11
	v_lshrrev_b32_e32 v17, 3, v9
	v_cmp_gt_u32_e64 s9, 8, v9
	s_delay_alu instid0(VALU_DEP_3) | instskip(NEXT) | instid1(VALU_DEP_2)
	v_dual_mov_b32 v8, v12 :: v_dual_mov_b32 v9, v13
	s_and_saveexec_b32 s25, s9
; %bb.4735:                             ;   in Loop: Header=BB468_3103 Depth=1
	v_clz_i32_u32_e32 v8, v12
	s_delay_alu instid0(VALU_DEP_1) | instskip(NEXT) | instid1(VALU_DEP_1)
	v_min_u32_e32 v17, 32, v8
	v_subrev_nc_u32_e32 v8, 28, v17
	v_sub_nc_u32_e32 v17, 29, v17
	s_delay_alu instid0(VALU_DEP_2) | instskip(NEXT) | instid1(VALU_DEP_1)
	v_lshlrev_b64 v[8:9], v8, v[12:13]
	v_and_b32_e32 v8, 7, v8
; %bb.4736:                             ;   in Loop: Header=BB468_3103 Depth=1
	s_or_b32 exec_lo, exec_lo, s25
	v_lshlrev_b32_e32 v9, 24, v11
	s_delay_alu instid0(VALU_DEP_2) | instskip(SKIP_1) | instid1(VALU_DEP_3)
	v_lshlrev_b32_e32 v8, 20, v8
	v_lshl_add_u32 v11, v17, 23, 0x3c000000
	v_and_b32_e32 v9, 0x80000000, v9
	s_delay_alu instid0(VALU_DEP_1)
	v_or3_b32 v8, v8, v9, v11
.LBB468_4737:                           ;   in Loop: Header=BB468_3103 Depth=1
	s_or_b32 exec_lo, exec_lo, s24
.LBB468_4738:                           ;   in Loop: Header=BB468_3103 Depth=1
	s_delay_alu instid0(SALU_CYCLE_1)
	s_or_b32 exec_lo, exec_lo, s23
.LBB468_4739:                           ;   in Loop: Header=BB468_3103 Depth=1
	s_delay_alu instid0(SALU_CYCLE_1) | instskip(NEXT) | instid1(VALU_DEP_1)
	s_or_b32 exec_lo, exec_lo, s22
	v_mul_f32_e32 v8, v26, v8
                                        ; implicit-def: $vgpr11
	s_delay_alu instid0(VALU_DEP_1) | instskip(NEXT) | instid1(VALU_DEP_1)
	v_and_b32_e32 v9, 0x7f800000, v8
	v_cmp_ne_u32_e64 s9, 0x7f800000, v9
	s_delay_alu instid0(VALU_DEP_1) | instskip(NEXT) | instid1(SALU_CYCLE_1)
	s_and_saveexec_b32 s22, s9
	s_xor_b32 s9, exec_lo, s22
; %bb.4740:                             ;   in Loop: Header=BB468_3103 Depth=1
	v_bfe_u32 v9, v8, 16, 1
	s_delay_alu instid0(VALU_DEP_1)
	v_add3_u32 v11, v8, v9, 0x7fff
                                        ; implicit-def: $vgpr8
; %bb.4741:                             ;   in Loop: Header=BB468_3103 Depth=1
	s_and_not1_saveexec_b32 s22, s9
; %bb.4742:                             ;   in Loop: Header=BB468_3103 Depth=1
	v_and_b32_e32 v9, 0xffff, v8
	v_or_b32_e32 v11, 0x10000, v8
	s_delay_alu instid0(VALU_DEP_2) | instskip(NEXT) | instid1(VALU_DEP_1)
	v_cmp_eq_u32_e64 s9, 0, v9
	v_cndmask_b32_e64 v11, v11, v8, s9
; %bb.4743:                             ;   in Loop: Header=BB468_3103 Depth=1
	s_or_b32 exec_lo, exec_lo, s22
	v_dual_mov_b32 v12, v7 :: v_dual_and_b32 v9, 0xff, v7
	v_mov_b32_e32 v8, 0
	s_mov_b32 s22, exec_lo
	s_delay_alu instid0(VALU_DEP_2)
	v_cmpx_ne_u16_e32 0, v9
	s_cbranch_execz .LBB468_4751
; %bb.4744:                             ;   in Loop: Header=BB468_3103 Depth=1
	v_bfrev_b32_e32 v8, 1
	s_mov_b32 s23, exec_lo
	v_cmpx_ne_u16_e32 0x80, v9
	s_cbranch_execz .LBB468_4750
; %bb.4745:                             ;   in Loop: Header=BB468_3103 Depth=1
	v_and_b32_e32 v9, 0x7f, v7
	v_mov_b32_e32 v8, 0x7f800001
	s_mov_b32 s24, exec_lo
	s_delay_alu instid0(VALU_DEP_2)
	v_cmpx_ne_u32_e32 0x7f, v9
	s_cbranch_execz .LBB468_4749
; %bb.4746:                             ;   in Loop: Header=BB468_3103 Depth=1
	v_lshrrev_b32_e32 v17, 3, v9
	v_cmp_gt_u32_e64 s9, 8, v9
	v_dual_mov_b32 v8, v12 :: v_dual_mov_b32 v9, v13
	s_delay_alu instid0(VALU_DEP_2)
	s_and_saveexec_b32 s25, s9
; %bb.4747:                             ;   in Loop: Header=BB468_3103 Depth=1
	v_and_b32_e32 v8, 7, v7
	s_delay_alu instid0(VALU_DEP_1) | instskip(NEXT) | instid1(VALU_DEP_1)
	v_clz_i32_u32_e32 v8, v8
	v_min_u32_e32 v17, 32, v8
	s_delay_alu instid0(VALU_DEP_1) | instskip(SKIP_1) | instid1(VALU_DEP_2)
	v_subrev_nc_u32_e32 v8, 28, v17
	v_sub_nc_u32_e32 v17, 29, v17
	v_lshlrev_b64 v[8:9], v8, v[12:13]
; %bb.4748:                             ;   in Loop: Header=BB468_3103 Depth=1
	s_or_b32 exec_lo, exec_lo, s25
	s_delay_alu instid0(VALU_DEP_1) | instskip(SKIP_2) | instid1(VALU_DEP_3)
	v_lshlrev_b32_e32 v8, 20, v8
	v_lshlrev_b32_e32 v9, 24, v12
	v_lshl_add_u32 v17, v17, 23, 0x3c000000
	v_and_b32_e32 v8, 0x700000, v8
	s_delay_alu instid0(VALU_DEP_3) | instskip(NEXT) | instid1(VALU_DEP_1)
	v_and_b32_e32 v9, 0x80000000, v9
	v_or3_b32 v8, v8, v9, v17
.LBB468_4749:                           ;   in Loop: Header=BB468_3103 Depth=1
	s_or_b32 exec_lo, exec_lo, s24
.LBB468_4750:                           ;   in Loop: Header=BB468_3103 Depth=1
	s_delay_alu instid0(SALU_CYCLE_1)
	s_or_b32 exec_lo, exec_lo, s23
.LBB468_4751:                           ;   in Loop: Header=BB468_3103 Depth=1
	s_delay_alu instid0(SALU_CYCLE_1) | instskip(NEXT) | instid1(VALU_DEP_1)
	s_or_b32 exec_lo, exec_lo, s22
	v_mul_f32_e32 v8, v26, v8
                                        ; implicit-def: $vgpr17
	s_delay_alu instid0(VALU_DEP_1) | instskip(NEXT) | instid1(VALU_DEP_1)
	v_and_b32_e32 v9, 0x7f800000, v8
	v_cmp_ne_u32_e64 s9, 0x7f800000, v9
	s_delay_alu instid0(VALU_DEP_1) | instskip(NEXT) | instid1(SALU_CYCLE_1)
	s_and_saveexec_b32 s22, s9
	s_xor_b32 s9, exec_lo, s22
; %bb.4752:                             ;   in Loop: Header=BB468_3103 Depth=1
	v_bfe_u32 v9, v8, 16, 1
	s_delay_alu instid0(VALU_DEP_1)
	v_add3_u32 v17, v8, v9, 0x7fff
                                        ; implicit-def: $vgpr8
; %bb.4753:                             ;   in Loop: Header=BB468_3103 Depth=1
	s_and_not1_saveexec_b32 s22, s9
; %bb.4754:                             ;   in Loop: Header=BB468_3103 Depth=1
	v_and_b32_e32 v9, 0xffff, v8
	v_or_b32_e32 v17, 0x10000, v8
	s_delay_alu instid0(VALU_DEP_2) | instskip(NEXT) | instid1(VALU_DEP_1)
	v_cmp_eq_u32_e64 s9, 0, v9
	v_cndmask_b32_e64 v17, v17, v8, s9
; %bb.4755:                             ;   in Loop: Header=BB468_3103 Depth=1
	s_or_b32 exec_lo, exec_lo, s22
	v_lshrrev_b16 v9, 8, v12
	v_mov_b32_e32 v8, 0
	s_mov_b32 s22, exec_lo
	s_delay_alu instid0(VALU_DEP_2)
	v_cmpx_ne_u16_e32 0, v9
	s_cbranch_execz .LBB468_4763
; %bb.4756:                             ;   in Loop: Header=BB468_3103 Depth=1
	v_bfrev_b32_e32 v8, 1
	s_mov_b32 s23, exec_lo
	v_cmpx_ne_u16_e32 0x80, v9
	s_cbranch_execz .LBB468_4762
; %bb.4757:                             ;   in Loop: Header=BB468_3103 Depth=1
	v_and_b32_e32 v9, 0xffff, v9
	v_mov_b32_e32 v8, 0x7f800001
	s_mov_b32 s24, exec_lo
	s_delay_alu instid0(VALU_DEP_2) | instskip(NEXT) | instid1(VALU_DEP_1)
	v_and_b32_e32 v19, 0x7f, v9
	v_cmpx_ne_u32_e32 0x7f, v19
	s_cbranch_execz .LBB468_4761
; %bb.4758:                             ;   in Loop: Header=BB468_3103 Depth=1
	v_dual_mov_b32 v9, v13 :: v_dual_and_b32 v8, 7, v9
	v_lshrrev_b32_e32 v18, 3, v19
	s_mov_b32 s25, exec_lo
	v_cmpx_gt_u32_e32 8, v19
; %bb.4759:                             ;   in Loop: Header=BB468_3103 Depth=1
	s_delay_alu instid0(VALU_DEP_3) | instskip(NEXT) | instid1(VALU_DEP_1)
	v_clz_i32_u32_e32 v18, v8
	v_min_u32_e32 v18, 32, v18
	s_delay_alu instid0(VALU_DEP_1) | instskip(SKIP_1) | instid1(VALU_DEP_2)
	v_subrev_nc_u32_e32 v19, 28, v18
	v_sub_nc_u32_e32 v18, 29, v18
	v_lshlrev_b64 v[8:9], v19, v[8:9]
	s_delay_alu instid0(VALU_DEP_1)
	v_and_b32_e32 v8, 7, v8
; %bb.4760:                             ;   in Loop: Header=BB468_3103 Depth=1
	s_or_b32 exec_lo, exec_lo, s25
	v_lshlrev_b32_e32 v9, 16, v12
	s_delay_alu instid0(VALU_DEP_2) | instskip(SKIP_1) | instid1(VALU_DEP_3)
	v_lshlrev_b32_e32 v8, 20, v8
	v_lshl_add_u32 v12, v18, 23, 0x3c000000
	v_and_b32_e32 v9, 0x80000000, v9
	s_delay_alu instid0(VALU_DEP_1)
	v_or3_b32 v8, v8, v9, v12
.LBB468_4761:                           ;   in Loop: Header=BB468_3103 Depth=1
	s_or_b32 exec_lo, exec_lo, s24
.LBB468_4762:                           ;   in Loop: Header=BB468_3103 Depth=1
	s_delay_alu instid0(SALU_CYCLE_1)
	s_or_b32 exec_lo, exec_lo, s23
.LBB468_4763:                           ;   in Loop: Header=BB468_3103 Depth=1
	s_delay_alu instid0(SALU_CYCLE_1) | instskip(NEXT) | instid1(VALU_DEP_1)
	s_or_b32 exec_lo, exec_lo, s22
	v_mul_f32_e32 v8, v26, v8
                                        ; implicit-def: $vgpr18
	s_delay_alu instid0(VALU_DEP_1) | instskip(NEXT) | instid1(VALU_DEP_1)
	v_and_b32_e32 v9, 0x7f800000, v8
	v_cmp_ne_u32_e64 s9, 0x7f800000, v9
	s_delay_alu instid0(VALU_DEP_1) | instskip(NEXT) | instid1(SALU_CYCLE_1)
	s_and_saveexec_b32 s22, s9
	s_xor_b32 s9, exec_lo, s22
; %bb.4764:                             ;   in Loop: Header=BB468_3103 Depth=1
	v_bfe_u32 v9, v8, 16, 1
	s_delay_alu instid0(VALU_DEP_1)
	v_add3_u32 v18, v8, v9, 0x7fff
                                        ; implicit-def: $vgpr8
; %bb.4765:                             ;   in Loop: Header=BB468_3103 Depth=1
	s_and_not1_saveexec_b32 s22, s9
; %bb.4766:                             ;   in Loop: Header=BB468_3103 Depth=1
	v_and_b32_e32 v9, 0xffff, v8
	v_or_b32_e32 v12, 0x10000, v8
	s_delay_alu instid0(VALU_DEP_2) | instskip(NEXT) | instid1(VALU_DEP_1)
	v_cmp_eq_u32_e64 s9, 0, v9
	v_cndmask_b32_e64 v18, v12, v8, s9
; %bb.4767:                             ;   in Loop: Header=BB468_3103 Depth=1
	s_or_b32 exec_lo, exec_lo, s22
	v_lshrrev_b32_e32 v19, 16, v7
	s_mov_b32 s22, exec_lo
	s_delay_alu instid0(VALU_DEP_1) | instskip(NEXT) | instid1(VALU_DEP_1)
	v_dual_mov_b32 v8, 0 :: v_dual_and_b32 v9, 0xff, v19
	v_cmpx_ne_u16_e32 0, v9
	s_cbranch_execz .LBB468_4775
; %bb.4768:                             ;   in Loop: Header=BB468_3103 Depth=1
	v_bfrev_b32_e32 v8, 1
	s_mov_b32 s23, exec_lo
	v_cmpx_ne_u16_e32 0x80, v9
	s_cbranch_execz .LBB468_4774
; %bb.4769:                             ;   in Loop: Header=BB468_3103 Depth=1
	v_bfe_u32 v9, v7, 16, 7
	v_mov_b32_e32 v8, 0x7f800001
	s_mov_b32 s24, exec_lo
	s_delay_alu instid0(VALU_DEP_2)
	v_cmpx_ne_u32_e32 0x7f, v9
	s_cbranch_execz .LBB468_4773
; %bb.4770:                             ;   in Loop: Header=BB468_3103 Depth=1
	v_and_b32_e32 v12, 7, v19
	v_lshrrev_b32_e32 v20, 3, v9
	v_cmp_gt_u32_e64 s9, 8, v9
	s_delay_alu instid0(VALU_DEP_3) | instskip(NEXT) | instid1(VALU_DEP_2)
	v_dual_mov_b32 v8, v12 :: v_dual_mov_b32 v9, v13
	s_and_saveexec_b32 s25, s9
; %bb.4771:                             ;   in Loop: Header=BB468_3103 Depth=1
	v_clz_i32_u32_e32 v8, v12
	s_delay_alu instid0(VALU_DEP_1) | instskip(NEXT) | instid1(VALU_DEP_1)
	v_min_u32_e32 v20, 32, v8
	v_subrev_nc_u32_e32 v8, 28, v20
	v_sub_nc_u32_e32 v20, 29, v20
	s_delay_alu instid0(VALU_DEP_2) | instskip(NEXT) | instid1(VALU_DEP_1)
	v_lshlrev_b64 v[8:9], v8, v[12:13]
	v_and_b32_e32 v8, 7, v8
; %bb.4772:                             ;   in Loop: Header=BB468_3103 Depth=1
	s_or_b32 exec_lo, exec_lo, s25
	v_lshlrev_b32_e32 v9, 24, v19
	s_delay_alu instid0(VALU_DEP_2) | instskip(SKIP_1) | instid1(VALU_DEP_3)
	v_lshlrev_b32_e32 v8, 20, v8
	v_lshl_add_u32 v12, v20, 23, 0x3c000000
	v_and_b32_e32 v9, 0x80000000, v9
	s_delay_alu instid0(VALU_DEP_1)
	v_or3_b32 v8, v8, v9, v12
.LBB468_4773:                           ;   in Loop: Header=BB468_3103 Depth=1
	s_or_b32 exec_lo, exec_lo, s24
.LBB468_4774:                           ;   in Loop: Header=BB468_3103 Depth=1
	s_delay_alu instid0(SALU_CYCLE_1)
	s_or_b32 exec_lo, exec_lo, s23
.LBB468_4775:                           ;   in Loop: Header=BB468_3103 Depth=1
	s_delay_alu instid0(SALU_CYCLE_1) | instskip(NEXT) | instid1(VALU_DEP_1)
	s_or_b32 exec_lo, exec_lo, s22
	v_mul_f32_e32 v8, v26, v8
	s_delay_alu instid0(VALU_DEP_1) | instskip(NEXT) | instid1(VALU_DEP_1)
	v_and_b32_e32 v9, 0x7f800000, v8
	v_cmp_ne_u32_e64 s9, 0x7f800000, v9
                                        ; implicit-def: $vgpr9
	s_delay_alu instid0(VALU_DEP_1) | instskip(NEXT) | instid1(SALU_CYCLE_1)
	s_and_saveexec_b32 s22, s9
	s_xor_b32 s9, exec_lo, s22
; %bb.4776:                             ;   in Loop: Header=BB468_3103 Depth=1
	v_bfe_u32 v9, v8, 16, 1
	s_delay_alu instid0(VALU_DEP_1)
	v_add3_u32 v9, v8, v9, 0x7fff
                                        ; implicit-def: $vgpr8
; %bb.4777:                             ;   in Loop: Header=BB468_3103 Depth=1
	s_and_not1_saveexec_b32 s22, s9
; %bb.4778:                             ;   in Loop: Header=BB468_3103 Depth=1
	v_and_b32_e32 v9, 0xffff, v8
	v_or_b32_e32 v12, 0x10000, v8
	s_delay_alu instid0(VALU_DEP_2) | instskip(NEXT) | instid1(VALU_DEP_1)
	v_cmp_eq_u32_e64 s9, 0, v9
	v_cndmask_b32_e64 v9, v12, v8, s9
; %bb.4779:                             ;   in Loop: Header=BB468_3103 Depth=1
	s_or_b32 exec_lo, exec_lo, s22
	v_cmp_lt_u64_e64 s9, s[12:13], v[6:7]
	v_mov_b32_e32 v6, 0
	s_delay_alu instid0(VALU_DEP_2)
	s_and_saveexec_b32 s22, s9
	s_cbranch_execz .LBB468_4787
; %bb.4780:                             ;   in Loop: Header=BB468_3103 Depth=1
	v_lshrrev_b32_e32 v8, 24, v7
	v_bfrev_b32_e32 v6, 1
	s_mov_b32 s23, exec_lo
	s_delay_alu instid0(VALU_DEP_2)
	v_cmpx_ne_u32_e32 0x80, v8
	s_cbranch_execz .LBB468_4786
; %bb.4781:                             ;   in Loop: Header=BB468_3103 Depth=1
	v_bfe_u32 v7, v7, 24, 7
	v_mov_b32_e32 v6, 0x7f800001
	s_mov_b32 s24, exec_lo
	s_delay_alu instid0(VALU_DEP_2)
	v_cmpx_ne_u32_e32 0x7f, v7
	s_cbranch_execz .LBB468_4785
; %bb.4782:                             ;   in Loop: Header=BB468_3103 Depth=1
	v_and_b32_e32 v12, 7, v8
	v_lshrrev_b32_e32 v19, 3, v7
	v_cmp_gt_u32_e64 s9, 8, v7
	s_delay_alu instid0(VALU_DEP_3) | instskip(NEXT) | instid1(VALU_DEP_2)
	v_dual_mov_b32 v6, v12 :: v_dual_mov_b32 v7, v13
	s_and_saveexec_b32 s25, s9
; %bb.4783:                             ;   in Loop: Header=BB468_3103 Depth=1
	v_clz_i32_u32_e32 v6, v12
	s_delay_alu instid0(VALU_DEP_1) | instskip(NEXT) | instid1(VALU_DEP_1)
	v_min_u32_e32 v19, 32, v6
	v_subrev_nc_u32_e32 v6, 28, v19
	v_sub_nc_u32_e32 v19, 29, v19
	s_delay_alu instid0(VALU_DEP_2) | instskip(NEXT) | instid1(VALU_DEP_1)
	v_lshlrev_b64 v[6:7], v6, v[12:13]
	v_and_b32_e32 v6, 7, v6
; %bb.4784:                             ;   in Loop: Header=BB468_3103 Depth=1
	s_or_b32 exec_lo, exec_lo, s25
	v_lshlrev_b32_e32 v7, 24, v8
	s_delay_alu instid0(VALU_DEP_2) | instskip(SKIP_1) | instid1(VALU_DEP_3)
	v_lshlrev_b32_e32 v6, 20, v6
	v_lshl_add_u32 v8, v19, 23, 0x3c000000
	v_and_b32_e32 v7, 0x80000000, v7
	s_delay_alu instid0(VALU_DEP_1)
	v_or3_b32 v6, v6, v7, v8
.LBB468_4785:                           ;   in Loop: Header=BB468_3103 Depth=1
	s_or_b32 exec_lo, exec_lo, s24
.LBB468_4786:                           ;   in Loop: Header=BB468_3103 Depth=1
	s_delay_alu instid0(SALU_CYCLE_1)
	s_or_b32 exec_lo, exec_lo, s23
.LBB468_4787:                           ;   in Loop: Header=BB468_3103 Depth=1
	s_delay_alu instid0(SALU_CYCLE_1) | instskip(NEXT) | instid1(VALU_DEP_1)
	s_or_b32 exec_lo, exec_lo, s22
	v_mul_f32_e32 v6, v26, v6
                                        ; implicit-def: $vgpr19
	s_delay_alu instid0(VALU_DEP_1) | instskip(NEXT) | instid1(VALU_DEP_1)
	v_and_b32_e32 v7, 0x7f800000, v6
	v_cmp_ne_u32_e64 s9, 0x7f800000, v7
	s_delay_alu instid0(VALU_DEP_1) | instskip(NEXT) | instid1(SALU_CYCLE_1)
	s_and_saveexec_b32 s22, s9
	s_xor_b32 s9, exec_lo, s22
; %bb.4788:                             ;   in Loop: Header=BB468_3103 Depth=1
	v_bfe_u32 v7, v6, 16, 1
	s_delay_alu instid0(VALU_DEP_1)
	v_add3_u32 v19, v6, v7, 0x7fff
                                        ; implicit-def: $vgpr6
; %bb.4789:                             ;   in Loop: Header=BB468_3103 Depth=1
	s_and_not1_saveexec_b32 s22, s9
; %bb.4790:                             ;   in Loop: Header=BB468_3103 Depth=1
	v_and_b32_e32 v7, 0xffff, v6
	v_or_b32_e32 v8, 0x10000, v6
	s_delay_alu instid0(VALU_DEP_2) | instskip(NEXT) | instid1(VALU_DEP_1)
	v_cmp_eq_u32_e64 s9, 0, v7
	v_cndmask_b32_e64 v19, v8, v6, s9
; %bb.4791:                             ;   in Loop: Header=BB468_3103 Depth=1
	s_or_b32 exec_lo, exec_lo, s22
	v_lshrrev_b32_e32 v6, 16, v18
	v_lshrrev_b32_e32 v7, 16, v17
	;; [unrolled: 1-line block ×8, first 2 shown]
	s_and_saveexec_b32 s9, s3
; %bb.4792:                             ;   in Loop: Header=BB468_3103 Depth=1
	s_delay_alu instid0(VALU_DEP_3)
	v_cndmask_b32_e32 v12, 0, v12, vcc_lo
	v_cndmask_b32_e64 v11, 0, v11, s1
	v_cndmask_b32_e64 v10, 0, v10, s2
	;; [unrolled: 1-line block ×7, first 2 shown]
; %bb.4793:                             ;   in Loop: Header=BB468_3103 Depth=1
	s_or_b32 exec_lo, exec_lo, s9
	v_lshlrev_b32_e32 v9, 16, v12
	s_delay_alu instid0(VALU_DEP_1) | instskip(NEXT) | instid1(VALU_DEP_1)
	v_mul_f32_e32 v9, v151, v9
	v_and_b32_e32 v12, 0x7f800000, v9
	s_delay_alu instid0(VALU_DEP_1) | instskip(NEXT) | instid1(VALU_DEP_1)
	v_cmp_ne_u32_e64 s9, 0x7f800000, v12
                                        ; implicit-def: $vgpr12
                                        ; kill: killed $vgpr12
	s_and_saveexec_b32 s22, s9
	s_delay_alu instid0(SALU_CYCLE_1)
	s_xor_b32 s9, exec_lo, s22
	s_cbranch_execz .LBB468_4795
; %bb.4794:                             ;   in Loop: Header=BB468_3103 Depth=1
	v_bfe_u32 v12, v9, 16, 1
	s_delay_alu instid0(VALU_DEP_1)
	v_add3_u32 v9, v9, v12, 0x7fff
	scratch_store_b32 off, v9, s32 offset:716 ; 4-byte Folded Spill
                                        ; implicit-def: $vgpr9
.LBB468_4795:                           ;   in Loop: Header=BB468_3103 Depth=1
	s_and_not1_saveexec_b32 s22, s9
	s_cbranch_execz .LBB468_4797
; %bb.4796:                             ;   in Loop: Header=BB468_3103 Depth=1
	v_and_b32_e32 v12, 0xffff, v9
	v_or_b32_e32 v17, 0x10000, v9
	s_delay_alu instid0(VALU_DEP_2) | instskip(NEXT) | instid1(VALU_DEP_1)
	v_cmp_eq_u32_e64 s9, 0, v12
	v_cndmask_b32_e64 v9, v17, v9, s9
	scratch_store_b32 off, v9, s32 offset:716 ; 4-byte Folded Spill
.LBB468_4797:                           ;   in Loop: Header=BB468_3103 Depth=1
	s_or_b32 exec_lo, exec_lo, s22
	v_lshlrev_b32_e32 v9, 16, v11
	s_delay_alu instid0(VALU_DEP_1) | instskip(NEXT) | instid1(VALU_DEP_1)
	v_mul_f32_e32 v9, v160, v9
	v_and_b32_e32 v11, 0x7f800000, v9
	s_delay_alu instid0(VALU_DEP_1) | instskip(NEXT) | instid1(VALU_DEP_1)
	v_cmp_ne_u32_e64 s9, 0x7f800000, v11
                                        ; implicit-def: $vgpr11
                                        ; kill: killed $vgpr11
	s_and_saveexec_b32 s22, s9
	s_delay_alu instid0(SALU_CYCLE_1)
	s_xor_b32 s9, exec_lo, s22
	s_cbranch_execz .LBB468_4799
; %bb.4798:                             ;   in Loop: Header=BB468_3103 Depth=1
	v_bfe_u32 v11, v9, 16, 1
	s_delay_alu instid0(VALU_DEP_1)
	v_add3_u32 v9, v9, v11, 0x7fff
	scratch_store_b32 off, v9, s32 offset:720 ; 4-byte Folded Spill
                                        ; implicit-def: $vgpr9
.LBB468_4799:                           ;   in Loop: Header=BB468_3103 Depth=1
	s_and_not1_saveexec_b32 s22, s9
	s_cbranch_execz .LBB468_4801
; %bb.4800:                             ;   in Loop: Header=BB468_3103 Depth=1
	v_and_b32_e32 v11, 0xffff, v9
	v_or_b32_e32 v12, 0x10000, v9
	s_delay_alu instid0(VALU_DEP_2) | instskip(NEXT) | instid1(VALU_DEP_1)
	v_cmp_eq_u32_e64 s9, 0, v11
	v_cndmask_b32_e64 v9, v12, v9, s9
	scratch_store_b32 off, v9, s32 offset:720 ; 4-byte Folded Spill
.LBB468_4801:                           ;   in Loop: Header=BB468_3103 Depth=1
	s_or_b32 exec_lo, exec_lo, s22
	v_lshlrev_b32_e32 v9, 16, v10
	s_delay_alu instid0(VALU_DEP_1) | instskip(NEXT) | instid1(VALU_DEP_1)
	v_mul_f32_e32 v9, v161, v9
	v_and_b32_e32 v10, 0x7f800000, v9
	s_delay_alu instid0(VALU_DEP_1) | instskip(NEXT) | instid1(VALU_DEP_1)
	v_cmp_ne_u32_e64 s9, 0x7f800000, v10
                                        ; implicit-def: $vgpr10
                                        ; kill: killed $vgpr10
	s_and_saveexec_b32 s22, s9
	s_delay_alu instid0(SALU_CYCLE_1)
	s_xor_b32 s9, exec_lo, s22
	s_cbranch_execz .LBB468_4803
; %bb.4802:                             ;   in Loop: Header=BB468_3103 Depth=1
	v_bfe_u32 v10, v9, 16, 1
	s_delay_alu instid0(VALU_DEP_1)
	v_add3_u32 v9, v9, v10, 0x7fff
	scratch_store_b32 off, v9, s32 offset:724 ; 4-byte Folded Spill
                                        ; implicit-def: $vgpr9
.LBB468_4803:                           ;   in Loop: Header=BB468_3103 Depth=1
	s_and_not1_saveexec_b32 s22, s9
	s_cbranch_execz .LBB468_4805
; %bb.4804:                             ;   in Loop: Header=BB468_3103 Depth=1
	v_and_b32_e32 v10, 0xffff, v9
	v_or_b32_e32 v11, 0x10000, v9
	s_delay_alu instid0(VALU_DEP_2) | instskip(NEXT) | instid1(VALU_DEP_1)
	v_cmp_eq_u32_e64 s9, 0, v10
	v_cndmask_b32_e64 v9, v11, v9, s9
	scratch_store_b32 off, v9, s32 offset:724 ; 4-byte Folded Spill
.LBB468_4805:                           ;   in Loop: Header=BB468_3103 Depth=1
	s_or_b32 exec_lo, exec_lo, s22
	v_lshlrev_b32_e32 v8, 16, v8
	s_delay_alu instid0(VALU_DEP_1) | instskip(NEXT) | instid1(VALU_DEP_1)
	v_mul_f32_e32 v8, v162, v8
	v_and_b32_e32 v9, 0x7f800000, v8
	s_delay_alu instid0(VALU_DEP_1) | instskip(NEXT) | instid1(VALU_DEP_1)
	v_cmp_ne_u32_e64 s9, 0x7f800000, v9
                                        ; implicit-def: $vgpr9
                                        ; kill: killed $vgpr9
	s_and_saveexec_b32 s22, s9
	s_delay_alu instid0(SALU_CYCLE_1)
	s_xor_b32 s9, exec_lo, s22
	s_cbranch_execz .LBB468_4807
; %bb.4806:                             ;   in Loop: Header=BB468_3103 Depth=1
	v_bfe_u32 v9, v8, 16, 1
	s_delay_alu instid0(VALU_DEP_1)
	v_add3_u32 v8, v8, v9, 0x7fff
	scratch_store_b32 off, v8, s32 offset:728 ; 4-byte Folded Spill
                                        ; implicit-def: $vgpr8
.LBB468_4807:                           ;   in Loop: Header=BB468_3103 Depth=1
	s_and_not1_saveexec_b32 s22, s9
	s_cbranch_execz .LBB468_4809
; %bb.4808:                             ;   in Loop: Header=BB468_3103 Depth=1
	v_and_b32_e32 v9, 0xffff, v8
	v_or_b32_e32 v10, 0x10000, v8
	s_delay_alu instid0(VALU_DEP_2) | instskip(NEXT) | instid1(VALU_DEP_1)
	v_cmp_eq_u32_e64 s9, 0, v9
	v_cndmask_b32_e64 v8, v10, v8, s9
	scratch_store_b32 off, v8, s32 offset:728 ; 4-byte Folded Spill
.LBB468_4809:                           ;   in Loop: Header=BB468_3103 Depth=1
	s_or_b32 exec_lo, exec_lo, s22
	v_lshlrev_b32_e32 v7, 16, v7
	s_delay_alu instid0(VALU_DEP_1) | instskip(NEXT) | instid1(VALU_DEP_1)
	v_mul_f32_e32 v7, v163, v7
	v_and_b32_e32 v8, 0x7f800000, v7
	s_delay_alu instid0(VALU_DEP_1) | instskip(NEXT) | instid1(VALU_DEP_1)
	v_cmp_ne_u32_e64 s9, 0x7f800000, v8
                                        ; implicit-def: $vgpr8
                                        ; kill: killed $vgpr8
	s_and_saveexec_b32 s22, s9
	s_delay_alu instid0(SALU_CYCLE_1)
	s_xor_b32 s9, exec_lo, s22
	s_cbranch_execz .LBB468_4811
; %bb.4810:                             ;   in Loop: Header=BB468_3103 Depth=1
	v_bfe_u32 v8, v7, 16, 1
	s_delay_alu instid0(VALU_DEP_1)
	v_add3_u32 v7, v7, v8, 0x7fff
	scratch_store_b32 off, v7, s32 offset:732 ; 4-byte Folded Spill
                                        ; implicit-def: $vgpr7
.LBB468_4811:                           ;   in Loop: Header=BB468_3103 Depth=1
	s_and_not1_saveexec_b32 s22, s9
	s_cbranch_execz .LBB468_4813
; %bb.4812:                             ;   in Loop: Header=BB468_3103 Depth=1
	v_and_b32_e32 v8, 0xffff, v7
	v_or_b32_e32 v9, 0x10000, v7
	s_delay_alu instid0(VALU_DEP_2) | instskip(NEXT) | instid1(VALU_DEP_1)
	v_cmp_eq_u32_e64 s9, 0, v8
	v_cndmask_b32_e64 v7, v9, v7, s9
	scratch_store_b32 off, v7, s32 offset:732 ; 4-byte Folded Spill
.LBB468_4813:                           ;   in Loop: Header=BB468_3103 Depth=1
	s_or_b32 exec_lo, exec_lo, s22
	v_lshlrev_b32_e32 v6, 16, v6
	s_delay_alu instid0(VALU_DEP_1) | instskip(NEXT) | instid1(VALU_DEP_1)
	v_mul_f32_e32 v6, v164, v6
	v_and_b32_e32 v7, 0x7f800000, v6
	s_delay_alu instid0(VALU_DEP_1) | instskip(NEXT) | instid1(VALU_DEP_1)
	v_cmp_ne_u32_e64 s9, 0x7f800000, v7
                                        ; implicit-def: $vgpr7
                                        ; kill: killed $vgpr7
	s_and_saveexec_b32 s22, s9
	s_delay_alu instid0(SALU_CYCLE_1)
	s_xor_b32 s9, exec_lo, s22
	s_cbranch_execz .LBB468_4815
; %bb.4814:                             ;   in Loop: Header=BB468_3103 Depth=1
	v_bfe_u32 v7, v6, 16, 1
	s_delay_alu instid0(VALU_DEP_1)
	v_add3_u32 v6, v6, v7, 0x7fff
	scratch_store_b32 off, v6, s32 offset:736 ; 4-byte Folded Spill
                                        ; implicit-def: $vgpr6
.LBB468_4815:                           ;   in Loop: Header=BB468_3103 Depth=1
	s_and_not1_saveexec_b32 s22, s9
	s_cbranch_execz .LBB468_4817
; %bb.4816:                             ;   in Loop: Header=BB468_3103 Depth=1
	v_and_b32_e32 v7, 0xffff, v6
	v_or_b32_e32 v8, 0x10000, v6
	s_delay_alu instid0(VALU_DEP_2) | instskip(NEXT) | instid1(VALU_DEP_1)
	v_cmp_eq_u32_e64 s9, 0, v7
	v_cndmask_b32_e64 v6, v8, v6, s9
	scratch_store_b32 off, v6, s32 offset:736 ; 4-byte Folded Spill
.LBB468_4817:                           ;   in Loop: Header=BB468_3103 Depth=1
	s_or_b32 exec_lo, exec_lo, s22
	v_lshlrev_b32_e32 v5, 16, v5
	s_delay_alu instid0(VALU_DEP_1) | instskip(NEXT) | instid1(VALU_DEP_1)
	v_mul_f32_e32 v5, v165, v5
	v_and_b32_e32 v6, 0x7f800000, v5
	s_delay_alu instid0(VALU_DEP_1) | instskip(NEXT) | instid1(VALU_DEP_1)
	v_cmp_ne_u32_e64 s9, 0x7f800000, v6
                                        ; implicit-def: $vgpr6
                                        ; kill: killed $vgpr6
	s_and_saveexec_b32 s22, s9
	s_delay_alu instid0(SALU_CYCLE_1)
	s_xor_b32 s9, exec_lo, s22
	s_cbranch_execz .LBB468_4819
; %bb.4818:                             ;   in Loop: Header=BB468_3103 Depth=1
	v_bfe_u32 v6, v5, 16, 1
	s_delay_alu instid0(VALU_DEP_1)
	v_add3_u32 v5, v5, v6, 0x7fff
	scratch_store_b32 off, v5, s32 offset:740 ; 4-byte Folded Spill
                                        ; implicit-def: $vgpr5
.LBB468_4819:                           ;   in Loop: Header=BB468_3103 Depth=1
	s_and_not1_saveexec_b32 s22, s9
	s_cbranch_execz .LBB468_4821
; %bb.4820:                             ;   in Loop: Header=BB468_3103 Depth=1
	v_and_b32_e32 v6, 0xffff, v5
	v_or_b32_e32 v7, 0x10000, v5
	s_delay_alu instid0(VALU_DEP_2) | instskip(NEXT) | instid1(VALU_DEP_1)
	v_cmp_eq_u32_e64 s9, 0, v6
	v_cndmask_b32_e64 v5, v7, v5, s9
	scratch_store_b32 off, v5, s32 offset:740 ; 4-byte Folded Spill
.LBB468_4821:                           ;   in Loop: Header=BB468_3103 Depth=1
	s_or_b32 exec_lo, exec_lo, s22
	v_lshlrev_b32_e32 v4, 16, v4
	s_delay_alu instid0(VALU_DEP_1) | instskip(NEXT) | instid1(VALU_DEP_1)
	v_mul_f32_e32 v4, v166, v4
	v_and_b32_e32 v5, 0x7f800000, v4
	s_delay_alu instid0(VALU_DEP_1) | instskip(NEXT) | instid1(VALU_DEP_1)
	v_cmp_ne_u32_e64 s9, 0x7f800000, v5
                                        ; implicit-def: $vgpr5
                                        ; kill: killed $vgpr5
	s_and_saveexec_b32 s22, s9
	s_delay_alu instid0(SALU_CYCLE_1)
	s_xor_b32 s9, exec_lo, s22
	s_cbranch_execz .LBB468_4823
; %bb.4822:                             ;   in Loop: Header=BB468_3103 Depth=1
	v_bfe_u32 v5, v4, 16, 1
	s_delay_alu instid0(VALU_DEP_1)
	v_add3_u32 v4, v4, v5, 0x7fff
	scratch_store_b32 off, v4, s32 offset:744 ; 4-byte Folded Spill
                                        ; implicit-def: $vgpr4
.LBB468_4823:                           ;   in Loop: Header=BB468_3103 Depth=1
	s_and_not1_saveexec_b32 s22, s9
	s_cbranch_execz .LBB468_4825
; %bb.4824:                             ;   in Loop: Header=BB468_3103 Depth=1
	v_and_b32_e32 v5, 0xffff, v4
	v_or_b32_e32 v6, 0x10000, v4
	s_delay_alu instid0(VALU_DEP_2) | instskip(NEXT) | instid1(VALU_DEP_1)
	v_cmp_eq_u32_e64 s9, 0, v5
	v_cndmask_b32_e64 v4, v6, v4, s9
	scratch_store_b32 off, v4, s32 offset:744 ; 4-byte Folded Spill
.LBB468_4825:                           ;   in Loop: Header=BB468_3103 Depth=1
	s_or_b32 exec_lo, exec_lo, s22
	flat_load_b64 v[6:7], v[2:3] offset:3328
	s_mov_b32 s22, exec_lo
	s_waitcnt vmcnt(0) lgkmcnt(0)
	v_dual_mov_b32 v4, 0 :: v_dual_and_b32 v5, 0xff, v6
	s_delay_alu instid0(VALU_DEP_1)
	v_cmpx_ne_u16_e32 0, v5
	s_cbranch_execz .LBB468_4833
; %bb.4826:                             ;   in Loop: Header=BB468_3103 Depth=1
	v_bfrev_b32_e32 v4, 1
	s_mov_b32 s23, exec_lo
	v_cmpx_ne_u16_e32 0x80, v5
	s_cbranch_execz .LBB468_4832
; %bb.4827:                             ;   in Loop: Header=BB468_3103 Depth=1
	v_and_b32_e32 v5, 0x7f, v6
	v_mov_b32_e32 v4, 0x7f800001
	s_mov_b32 s24, exec_lo
	s_delay_alu instid0(VALU_DEP_2)
	v_cmpx_ne_u32_e32 0x7f, v5
	s_cbranch_execz .LBB468_4831
; %bb.4828:                             ;   in Loop: Header=BB468_3103 Depth=1
	v_lshrrev_b32_e32 v4, 3, v5
	v_dual_mov_b32 v9, v7 :: v_dual_mov_b32 v8, v6
	s_mov_b32 s25, exec_lo
	v_cmpx_gt_u32_e32 8, v5
; %bb.4829:                             ;   in Loop: Header=BB468_3103 Depth=1
	v_and_b32_e32 v4, 7, v6
	s_delay_alu instid0(VALU_DEP_1) | instskip(NEXT) | instid1(VALU_DEP_1)
	v_clz_i32_u32_e32 v4, v4
	v_min_u32_e32 v4, 32, v4
	s_delay_alu instid0(VALU_DEP_1) | instskip(SKIP_1) | instid1(VALU_DEP_2)
	v_subrev_nc_u32_e32 v5, 28, v4
	v_sub_nc_u32_e32 v4, 29, v4
	v_lshlrev_b64 v[8:9], v5, v[6:7]
; %bb.4830:                             ;   in Loop: Header=BB468_3103 Depth=1
	s_or_b32 exec_lo, exec_lo, s25
	s_delay_alu instid0(VALU_DEP_1) | instskip(SKIP_2) | instid1(VALU_DEP_3)
	v_lshlrev_b32_e32 v5, 20, v8
	v_lshlrev_b32_e32 v8, 24, v6
	v_lshl_add_u32 v4, v4, 23, 0x3c000000
	v_and_b32_e32 v5, 0x700000, v5
	s_delay_alu instid0(VALU_DEP_3) | instskip(NEXT) | instid1(VALU_DEP_1)
	v_and_b32_e32 v8, 0x80000000, v8
	v_or3_b32 v4, v5, v8, v4
.LBB468_4831:                           ;   in Loop: Header=BB468_3103 Depth=1
	s_or_b32 exec_lo, exec_lo, s24
.LBB468_4832:                           ;   in Loop: Header=BB468_3103 Depth=1
	s_delay_alu instid0(SALU_CYCLE_1)
	s_or_b32 exec_lo, exec_lo, s23
.LBB468_4833:                           ;   in Loop: Header=BB468_3103 Depth=1
	s_delay_alu instid0(SALU_CYCLE_1) | instskip(NEXT) | instid1(VALU_DEP_1)
	s_or_b32 exec_lo, exec_lo, s22
	v_mul_f32_e32 v5, v26, v4
	s_delay_alu instid0(VALU_DEP_1) | instskip(NEXT) | instid1(VALU_DEP_1)
	v_and_b32_e32 v4, 0x7f800000, v5
	v_cmp_ne_u32_e64 s9, 0x7f800000, v4
                                        ; implicit-def: $vgpr4
	s_delay_alu instid0(VALU_DEP_1) | instskip(NEXT) | instid1(SALU_CYCLE_1)
	s_and_saveexec_b32 s22, s9
	s_xor_b32 s9, exec_lo, s22
; %bb.4834:                             ;   in Loop: Header=BB468_3103 Depth=1
	v_bfe_u32 v4, v5, 16, 1
	s_delay_alu instid0(VALU_DEP_1)
	v_add3_u32 v4, v5, v4, 0x7fff
                                        ; implicit-def: $vgpr5
; %bb.4835:                             ;   in Loop: Header=BB468_3103 Depth=1
	s_and_not1_saveexec_b32 s22, s9
; %bb.4836:                             ;   in Loop: Header=BB468_3103 Depth=1
	v_and_b32_e32 v4, 0xffff, v5
	v_or_b32_e32 v8, 0x10000, v5
	s_delay_alu instid0(VALU_DEP_2) | instskip(NEXT) | instid1(VALU_DEP_1)
	v_cmp_eq_u32_e64 s9, 0, v4
	v_cndmask_b32_e64 v4, v8, v5, s9
; %bb.4837:                             ;   in Loop: Header=BB468_3103 Depth=1
	s_or_b32 exec_lo, exec_lo, s22
	v_lshrrev_b16 v8, 8, v6
	v_mov_b32_e32 v5, 0
	s_mov_b32 s22, exec_lo
	s_delay_alu instid0(VALU_DEP_2)
	v_cmpx_ne_u16_e32 0, v8
	s_cbranch_execz .LBB468_4845
; %bb.4838:                             ;   in Loop: Header=BB468_3103 Depth=1
	v_bfrev_b32_e32 v5, 1
	s_mov_b32 s23, exec_lo
	v_cmpx_ne_u16_e32 0x80, v8
	s_cbranch_execz .LBB468_4844
; %bb.4839:                             ;   in Loop: Header=BB468_3103 Depth=1
	v_and_b32_e32 v9, 0xffff, v8
	v_mov_b32_e32 v5, 0x7f800001
	s_mov_b32 s24, exec_lo
	s_delay_alu instid0(VALU_DEP_2) | instskip(NEXT) | instid1(VALU_DEP_1)
	v_and_b32_e32 v8, 0x7f, v9
	v_cmpx_ne_u32_e32 0x7f, v8
	s_cbranch_execz .LBB468_4843
; %bb.4840:                             ;   in Loop: Header=BB468_3103 Depth=1
	v_and_b32_e32 v12, 7, v9
	v_lshrrev_b32_e32 v5, 3, v8
	v_cmp_gt_u32_e64 s9, 8, v8
	s_delay_alu instid0(VALU_DEP_3) | instskip(NEXT) | instid1(VALU_DEP_2)
	v_dual_mov_b32 v8, v12 :: v_dual_mov_b32 v9, v13
	s_and_saveexec_b32 s25, s9
; %bb.4841:                             ;   in Loop: Header=BB468_3103 Depth=1
	v_clz_i32_u32_e32 v5, v12
	s_delay_alu instid0(VALU_DEP_1) | instskip(NEXT) | instid1(VALU_DEP_1)
	v_min_u32_e32 v5, 32, v5
	v_subrev_nc_u32_e32 v8, 28, v5
	v_sub_nc_u32_e32 v5, 29, v5
	s_delay_alu instid0(VALU_DEP_2) | instskip(NEXT) | instid1(VALU_DEP_1)
	v_lshlrev_b64 v[8:9], v8, v[12:13]
	v_and_b32_e32 v8, 7, v8
; %bb.4842:                             ;   in Loop: Header=BB468_3103 Depth=1
	s_or_b32 exec_lo, exec_lo, s25
	v_lshlrev_b32_e32 v9, 16, v6
	s_delay_alu instid0(VALU_DEP_2) | instskip(SKIP_1) | instid1(VALU_DEP_3)
	v_lshlrev_b32_e32 v8, 20, v8
	v_lshl_add_u32 v5, v5, 23, 0x3c000000
	v_and_b32_e32 v9, 0x80000000, v9
	s_delay_alu instid0(VALU_DEP_1)
	v_or3_b32 v5, v8, v9, v5
.LBB468_4843:                           ;   in Loop: Header=BB468_3103 Depth=1
	s_or_b32 exec_lo, exec_lo, s24
.LBB468_4844:                           ;   in Loop: Header=BB468_3103 Depth=1
	s_delay_alu instid0(SALU_CYCLE_1)
	s_or_b32 exec_lo, exec_lo, s23
.LBB468_4845:                           ;   in Loop: Header=BB468_3103 Depth=1
	s_delay_alu instid0(SALU_CYCLE_1) | instskip(NEXT) | instid1(VALU_DEP_1)
	s_or_b32 exec_lo, exec_lo, s22
	v_mul_f32_e32 v8, v26, v5
	s_delay_alu instid0(VALU_DEP_1) | instskip(NEXT) | instid1(VALU_DEP_1)
	v_and_b32_e32 v5, 0x7f800000, v8
	v_cmp_ne_u32_e64 s9, 0x7f800000, v5
                                        ; implicit-def: $vgpr5
	s_delay_alu instid0(VALU_DEP_1) | instskip(NEXT) | instid1(SALU_CYCLE_1)
	s_and_saveexec_b32 s22, s9
	s_xor_b32 s9, exec_lo, s22
; %bb.4846:                             ;   in Loop: Header=BB468_3103 Depth=1
	v_bfe_u32 v5, v8, 16, 1
	s_delay_alu instid0(VALU_DEP_1)
	v_add3_u32 v5, v8, v5, 0x7fff
                                        ; implicit-def: $vgpr8
; %bb.4847:                             ;   in Loop: Header=BB468_3103 Depth=1
	s_and_not1_saveexec_b32 s22, s9
; %bb.4848:                             ;   in Loop: Header=BB468_3103 Depth=1
	v_and_b32_e32 v5, 0xffff, v8
	v_or_b32_e32 v9, 0x10000, v8
	s_delay_alu instid0(VALU_DEP_2) | instskip(NEXT) | instid1(VALU_DEP_1)
	v_cmp_eq_u32_e64 s9, 0, v5
	v_cndmask_b32_e64 v5, v9, v8, s9
; %bb.4849:                             ;   in Loop: Header=BB468_3103 Depth=1
	s_or_b32 exec_lo, exec_lo, s22
	v_lshrrev_b32_e32 v10, 16, v6
	s_mov_b32 s22, exec_lo
	s_delay_alu instid0(VALU_DEP_1) | instskip(NEXT) | instid1(VALU_DEP_1)
	v_dual_mov_b32 v8, 0 :: v_dual_and_b32 v9, 0xff, v10
	v_cmpx_ne_u16_e32 0, v9
	s_cbranch_execz .LBB468_4857
; %bb.4850:                             ;   in Loop: Header=BB468_3103 Depth=1
	v_bfrev_b32_e32 v8, 1
	s_mov_b32 s23, exec_lo
	v_cmpx_ne_u16_e32 0x80, v9
	s_cbranch_execz .LBB468_4856
; %bb.4851:                             ;   in Loop: Header=BB468_3103 Depth=1
	v_bfe_u32 v9, v6, 16, 7
	v_mov_b32_e32 v8, 0x7f800001
	s_mov_b32 s24, exec_lo
	s_delay_alu instid0(VALU_DEP_2)
	v_cmpx_ne_u32_e32 0x7f, v9
	s_cbranch_execz .LBB468_4855
; %bb.4852:                             ;   in Loop: Header=BB468_3103 Depth=1
	v_and_b32_e32 v12, 7, v10
	v_lshrrev_b32_e32 v11, 3, v9
	v_cmp_gt_u32_e64 s9, 8, v9
	s_delay_alu instid0(VALU_DEP_3) | instskip(NEXT) | instid1(VALU_DEP_2)
	v_dual_mov_b32 v8, v12 :: v_dual_mov_b32 v9, v13
	s_and_saveexec_b32 s25, s9
; %bb.4853:                             ;   in Loop: Header=BB468_3103 Depth=1
	v_clz_i32_u32_e32 v8, v12
	s_delay_alu instid0(VALU_DEP_1) | instskip(NEXT) | instid1(VALU_DEP_1)
	v_min_u32_e32 v11, 32, v8
	v_subrev_nc_u32_e32 v8, 28, v11
	v_sub_nc_u32_e32 v11, 29, v11
	s_delay_alu instid0(VALU_DEP_2) | instskip(NEXT) | instid1(VALU_DEP_1)
	v_lshlrev_b64 v[8:9], v8, v[12:13]
	v_and_b32_e32 v8, 7, v8
; %bb.4854:                             ;   in Loop: Header=BB468_3103 Depth=1
	s_or_b32 exec_lo, exec_lo, s25
	v_lshlrev_b32_e32 v9, 24, v10
	s_delay_alu instid0(VALU_DEP_2) | instskip(SKIP_1) | instid1(VALU_DEP_3)
	v_lshlrev_b32_e32 v8, 20, v8
	v_lshl_add_u32 v10, v11, 23, 0x3c000000
	v_and_b32_e32 v9, 0x80000000, v9
	s_delay_alu instid0(VALU_DEP_1)
	v_or3_b32 v8, v8, v9, v10
.LBB468_4855:                           ;   in Loop: Header=BB468_3103 Depth=1
	s_or_b32 exec_lo, exec_lo, s24
.LBB468_4856:                           ;   in Loop: Header=BB468_3103 Depth=1
	s_delay_alu instid0(SALU_CYCLE_1)
	s_or_b32 exec_lo, exec_lo, s23
.LBB468_4857:                           ;   in Loop: Header=BB468_3103 Depth=1
	s_delay_alu instid0(SALU_CYCLE_1) | instskip(NEXT) | instid1(VALU_DEP_1)
	s_or_b32 exec_lo, exec_lo, s22
	v_mul_f32_e32 v8, v26, v8
                                        ; implicit-def: $vgpr10
	s_delay_alu instid0(VALU_DEP_1) | instskip(NEXT) | instid1(VALU_DEP_1)
	v_and_b32_e32 v9, 0x7f800000, v8
	v_cmp_ne_u32_e64 s9, 0x7f800000, v9
	s_delay_alu instid0(VALU_DEP_1) | instskip(NEXT) | instid1(SALU_CYCLE_1)
	s_and_saveexec_b32 s22, s9
	s_xor_b32 s9, exec_lo, s22
; %bb.4858:                             ;   in Loop: Header=BB468_3103 Depth=1
	v_bfe_u32 v9, v8, 16, 1
	s_delay_alu instid0(VALU_DEP_1)
	v_add3_u32 v10, v8, v9, 0x7fff
                                        ; implicit-def: $vgpr8
; %bb.4859:                             ;   in Loop: Header=BB468_3103 Depth=1
	s_and_not1_saveexec_b32 s22, s9
; %bb.4860:                             ;   in Loop: Header=BB468_3103 Depth=1
	v_and_b32_e32 v9, 0xffff, v8
	v_or_b32_e32 v10, 0x10000, v8
	s_delay_alu instid0(VALU_DEP_2) | instskip(NEXT) | instid1(VALU_DEP_1)
	v_cmp_eq_u32_e64 s9, 0, v9
	v_cndmask_b32_e64 v10, v10, v8, s9
; %bb.4861:                             ;   in Loop: Header=BB468_3103 Depth=1
	s_or_b32 exec_lo, exec_lo, s22
	v_mov_b32_e32 v8, 0
	s_mov_b32 s22, exec_lo
	v_cmpx_lt_u32_e32 0xffffff, v6
	s_cbranch_execz .LBB468_4869
; %bb.4862:                             ;   in Loop: Header=BB468_3103 Depth=1
	v_lshrrev_b32_e32 v11, 24, v6
	v_bfrev_b32_e32 v8, 1
	s_mov_b32 s23, exec_lo
	s_delay_alu instid0(VALU_DEP_2)
	v_cmpx_ne_u32_e32 0x80, v11
	s_cbranch_execz .LBB468_4868
; %bb.4863:                             ;   in Loop: Header=BB468_3103 Depth=1
	v_bfe_u32 v9, v6, 24, 7
	v_mov_b32_e32 v8, 0x7f800001
	s_mov_b32 s24, exec_lo
	s_delay_alu instid0(VALU_DEP_2)
	v_cmpx_ne_u32_e32 0x7f, v9
	s_cbranch_execz .LBB468_4867
; %bb.4864:                             ;   in Loop: Header=BB468_3103 Depth=1
	v_and_b32_e32 v12, 7, v11
	v_lshrrev_b32_e32 v17, 3, v9
	v_cmp_gt_u32_e64 s9, 8, v9
	s_delay_alu instid0(VALU_DEP_3) | instskip(NEXT) | instid1(VALU_DEP_2)
	v_dual_mov_b32 v8, v12 :: v_dual_mov_b32 v9, v13
	s_and_saveexec_b32 s25, s9
; %bb.4865:                             ;   in Loop: Header=BB468_3103 Depth=1
	v_clz_i32_u32_e32 v8, v12
	s_delay_alu instid0(VALU_DEP_1) | instskip(NEXT) | instid1(VALU_DEP_1)
	v_min_u32_e32 v17, 32, v8
	v_subrev_nc_u32_e32 v8, 28, v17
	v_sub_nc_u32_e32 v17, 29, v17
	s_delay_alu instid0(VALU_DEP_2) | instskip(NEXT) | instid1(VALU_DEP_1)
	v_lshlrev_b64 v[8:9], v8, v[12:13]
	v_and_b32_e32 v8, 7, v8
; %bb.4866:                             ;   in Loop: Header=BB468_3103 Depth=1
	s_or_b32 exec_lo, exec_lo, s25
	v_lshlrev_b32_e32 v9, 24, v11
	s_delay_alu instid0(VALU_DEP_2) | instskip(SKIP_1) | instid1(VALU_DEP_3)
	v_lshlrev_b32_e32 v8, 20, v8
	v_lshl_add_u32 v11, v17, 23, 0x3c000000
	v_and_b32_e32 v9, 0x80000000, v9
	s_delay_alu instid0(VALU_DEP_1)
	v_or3_b32 v8, v8, v9, v11
.LBB468_4867:                           ;   in Loop: Header=BB468_3103 Depth=1
	s_or_b32 exec_lo, exec_lo, s24
.LBB468_4868:                           ;   in Loop: Header=BB468_3103 Depth=1
	s_delay_alu instid0(SALU_CYCLE_1)
	s_or_b32 exec_lo, exec_lo, s23
.LBB468_4869:                           ;   in Loop: Header=BB468_3103 Depth=1
	s_delay_alu instid0(SALU_CYCLE_1) | instskip(NEXT) | instid1(VALU_DEP_1)
	s_or_b32 exec_lo, exec_lo, s22
	v_mul_f32_e32 v8, v26, v8
                                        ; implicit-def: $vgpr11
	s_delay_alu instid0(VALU_DEP_1) | instskip(NEXT) | instid1(VALU_DEP_1)
	v_and_b32_e32 v9, 0x7f800000, v8
	v_cmp_ne_u32_e64 s9, 0x7f800000, v9
	s_delay_alu instid0(VALU_DEP_1) | instskip(NEXT) | instid1(SALU_CYCLE_1)
	s_and_saveexec_b32 s22, s9
	s_xor_b32 s9, exec_lo, s22
; %bb.4870:                             ;   in Loop: Header=BB468_3103 Depth=1
	v_bfe_u32 v9, v8, 16, 1
	s_delay_alu instid0(VALU_DEP_1)
	v_add3_u32 v11, v8, v9, 0x7fff
                                        ; implicit-def: $vgpr8
; %bb.4871:                             ;   in Loop: Header=BB468_3103 Depth=1
	s_and_not1_saveexec_b32 s22, s9
; %bb.4872:                             ;   in Loop: Header=BB468_3103 Depth=1
	v_and_b32_e32 v9, 0xffff, v8
	v_or_b32_e32 v11, 0x10000, v8
	s_delay_alu instid0(VALU_DEP_2) | instskip(NEXT) | instid1(VALU_DEP_1)
	v_cmp_eq_u32_e64 s9, 0, v9
	v_cndmask_b32_e64 v11, v11, v8, s9
; %bb.4873:                             ;   in Loop: Header=BB468_3103 Depth=1
	s_or_b32 exec_lo, exec_lo, s22
	v_dual_mov_b32 v12, v7 :: v_dual_and_b32 v9, 0xff, v7
	v_mov_b32_e32 v8, 0
	s_mov_b32 s22, exec_lo
	s_delay_alu instid0(VALU_DEP_2)
	v_cmpx_ne_u16_e32 0, v9
	s_cbranch_execz .LBB468_4881
; %bb.4874:                             ;   in Loop: Header=BB468_3103 Depth=1
	v_bfrev_b32_e32 v8, 1
	s_mov_b32 s23, exec_lo
	v_cmpx_ne_u16_e32 0x80, v9
	s_cbranch_execz .LBB468_4880
; %bb.4875:                             ;   in Loop: Header=BB468_3103 Depth=1
	v_and_b32_e32 v9, 0x7f, v7
	v_mov_b32_e32 v8, 0x7f800001
	s_mov_b32 s24, exec_lo
	s_delay_alu instid0(VALU_DEP_2)
	v_cmpx_ne_u32_e32 0x7f, v9
	s_cbranch_execz .LBB468_4879
; %bb.4876:                             ;   in Loop: Header=BB468_3103 Depth=1
	v_lshrrev_b32_e32 v17, 3, v9
	v_cmp_gt_u32_e64 s9, 8, v9
	v_dual_mov_b32 v8, v12 :: v_dual_mov_b32 v9, v13
	s_delay_alu instid0(VALU_DEP_2)
	s_and_saveexec_b32 s25, s9
; %bb.4877:                             ;   in Loop: Header=BB468_3103 Depth=1
	v_and_b32_e32 v8, 7, v7
	s_delay_alu instid0(VALU_DEP_1) | instskip(NEXT) | instid1(VALU_DEP_1)
	v_clz_i32_u32_e32 v8, v8
	v_min_u32_e32 v17, 32, v8
	s_delay_alu instid0(VALU_DEP_1) | instskip(SKIP_1) | instid1(VALU_DEP_2)
	v_subrev_nc_u32_e32 v8, 28, v17
	v_sub_nc_u32_e32 v17, 29, v17
	v_lshlrev_b64 v[8:9], v8, v[12:13]
; %bb.4878:                             ;   in Loop: Header=BB468_3103 Depth=1
	s_or_b32 exec_lo, exec_lo, s25
	s_delay_alu instid0(VALU_DEP_1) | instskip(SKIP_2) | instid1(VALU_DEP_3)
	v_lshlrev_b32_e32 v8, 20, v8
	v_lshlrev_b32_e32 v9, 24, v12
	v_lshl_add_u32 v17, v17, 23, 0x3c000000
	v_and_b32_e32 v8, 0x700000, v8
	s_delay_alu instid0(VALU_DEP_3) | instskip(NEXT) | instid1(VALU_DEP_1)
	v_and_b32_e32 v9, 0x80000000, v9
	v_or3_b32 v8, v8, v9, v17
.LBB468_4879:                           ;   in Loop: Header=BB468_3103 Depth=1
	s_or_b32 exec_lo, exec_lo, s24
.LBB468_4880:                           ;   in Loop: Header=BB468_3103 Depth=1
	s_delay_alu instid0(SALU_CYCLE_1)
	s_or_b32 exec_lo, exec_lo, s23
.LBB468_4881:                           ;   in Loop: Header=BB468_3103 Depth=1
	s_delay_alu instid0(SALU_CYCLE_1) | instskip(NEXT) | instid1(VALU_DEP_1)
	s_or_b32 exec_lo, exec_lo, s22
	v_mul_f32_e32 v8, v26, v8
                                        ; implicit-def: $vgpr17
	s_delay_alu instid0(VALU_DEP_1) | instskip(NEXT) | instid1(VALU_DEP_1)
	v_and_b32_e32 v9, 0x7f800000, v8
	v_cmp_ne_u32_e64 s9, 0x7f800000, v9
	s_delay_alu instid0(VALU_DEP_1) | instskip(NEXT) | instid1(SALU_CYCLE_1)
	s_and_saveexec_b32 s22, s9
	s_xor_b32 s9, exec_lo, s22
; %bb.4882:                             ;   in Loop: Header=BB468_3103 Depth=1
	v_bfe_u32 v9, v8, 16, 1
	s_delay_alu instid0(VALU_DEP_1)
	v_add3_u32 v17, v8, v9, 0x7fff
                                        ; implicit-def: $vgpr8
; %bb.4883:                             ;   in Loop: Header=BB468_3103 Depth=1
	s_and_not1_saveexec_b32 s22, s9
; %bb.4884:                             ;   in Loop: Header=BB468_3103 Depth=1
	v_and_b32_e32 v9, 0xffff, v8
	v_or_b32_e32 v17, 0x10000, v8
	s_delay_alu instid0(VALU_DEP_2) | instskip(NEXT) | instid1(VALU_DEP_1)
	v_cmp_eq_u32_e64 s9, 0, v9
	v_cndmask_b32_e64 v17, v17, v8, s9
; %bb.4885:                             ;   in Loop: Header=BB468_3103 Depth=1
	s_or_b32 exec_lo, exec_lo, s22
	v_lshrrev_b16 v9, 8, v12
	v_mov_b32_e32 v8, 0
	s_mov_b32 s22, exec_lo
	s_delay_alu instid0(VALU_DEP_2)
	v_cmpx_ne_u16_e32 0, v9
	s_cbranch_execz .LBB468_4893
; %bb.4886:                             ;   in Loop: Header=BB468_3103 Depth=1
	v_bfrev_b32_e32 v8, 1
	s_mov_b32 s23, exec_lo
	v_cmpx_ne_u16_e32 0x80, v9
	s_cbranch_execz .LBB468_4892
; %bb.4887:                             ;   in Loop: Header=BB468_3103 Depth=1
	v_and_b32_e32 v9, 0xffff, v9
	v_mov_b32_e32 v8, 0x7f800001
	s_mov_b32 s24, exec_lo
	s_delay_alu instid0(VALU_DEP_2) | instskip(NEXT) | instid1(VALU_DEP_1)
	v_and_b32_e32 v19, 0x7f, v9
	v_cmpx_ne_u32_e32 0x7f, v19
	s_cbranch_execz .LBB468_4891
; %bb.4888:                             ;   in Loop: Header=BB468_3103 Depth=1
	v_dual_mov_b32 v9, v13 :: v_dual_and_b32 v8, 7, v9
	v_lshrrev_b32_e32 v18, 3, v19
	s_mov_b32 s25, exec_lo
	v_cmpx_gt_u32_e32 8, v19
; %bb.4889:                             ;   in Loop: Header=BB468_3103 Depth=1
	s_delay_alu instid0(VALU_DEP_3) | instskip(NEXT) | instid1(VALU_DEP_1)
	v_clz_i32_u32_e32 v18, v8
	v_min_u32_e32 v18, 32, v18
	s_delay_alu instid0(VALU_DEP_1) | instskip(SKIP_1) | instid1(VALU_DEP_2)
	v_subrev_nc_u32_e32 v19, 28, v18
	v_sub_nc_u32_e32 v18, 29, v18
	v_lshlrev_b64 v[8:9], v19, v[8:9]
	s_delay_alu instid0(VALU_DEP_1)
	v_and_b32_e32 v8, 7, v8
; %bb.4890:                             ;   in Loop: Header=BB468_3103 Depth=1
	s_or_b32 exec_lo, exec_lo, s25
	v_lshlrev_b32_e32 v9, 16, v12
	s_delay_alu instid0(VALU_DEP_2) | instskip(SKIP_1) | instid1(VALU_DEP_3)
	v_lshlrev_b32_e32 v8, 20, v8
	v_lshl_add_u32 v12, v18, 23, 0x3c000000
	v_and_b32_e32 v9, 0x80000000, v9
	s_delay_alu instid0(VALU_DEP_1)
	v_or3_b32 v8, v8, v9, v12
.LBB468_4891:                           ;   in Loop: Header=BB468_3103 Depth=1
	s_or_b32 exec_lo, exec_lo, s24
.LBB468_4892:                           ;   in Loop: Header=BB468_3103 Depth=1
	s_delay_alu instid0(SALU_CYCLE_1)
	s_or_b32 exec_lo, exec_lo, s23
.LBB468_4893:                           ;   in Loop: Header=BB468_3103 Depth=1
	s_delay_alu instid0(SALU_CYCLE_1) | instskip(NEXT) | instid1(VALU_DEP_1)
	s_or_b32 exec_lo, exec_lo, s22
	v_mul_f32_e32 v8, v26, v8
                                        ; implicit-def: $vgpr18
	s_delay_alu instid0(VALU_DEP_1) | instskip(NEXT) | instid1(VALU_DEP_1)
	v_and_b32_e32 v9, 0x7f800000, v8
	v_cmp_ne_u32_e64 s9, 0x7f800000, v9
	s_delay_alu instid0(VALU_DEP_1) | instskip(NEXT) | instid1(SALU_CYCLE_1)
	s_and_saveexec_b32 s22, s9
	s_xor_b32 s9, exec_lo, s22
; %bb.4894:                             ;   in Loop: Header=BB468_3103 Depth=1
	v_bfe_u32 v9, v8, 16, 1
	s_delay_alu instid0(VALU_DEP_1)
	v_add3_u32 v18, v8, v9, 0x7fff
                                        ; implicit-def: $vgpr8
; %bb.4895:                             ;   in Loop: Header=BB468_3103 Depth=1
	s_and_not1_saveexec_b32 s22, s9
; %bb.4896:                             ;   in Loop: Header=BB468_3103 Depth=1
	v_and_b32_e32 v9, 0xffff, v8
	v_or_b32_e32 v12, 0x10000, v8
	s_delay_alu instid0(VALU_DEP_2) | instskip(NEXT) | instid1(VALU_DEP_1)
	v_cmp_eq_u32_e64 s9, 0, v9
	v_cndmask_b32_e64 v18, v12, v8, s9
; %bb.4897:                             ;   in Loop: Header=BB468_3103 Depth=1
	s_or_b32 exec_lo, exec_lo, s22
	v_lshrrev_b32_e32 v19, 16, v7
	s_mov_b32 s22, exec_lo
	s_delay_alu instid0(VALU_DEP_1) | instskip(NEXT) | instid1(VALU_DEP_1)
	v_dual_mov_b32 v8, 0 :: v_dual_and_b32 v9, 0xff, v19
	v_cmpx_ne_u16_e32 0, v9
	s_cbranch_execz .LBB468_4905
; %bb.4898:                             ;   in Loop: Header=BB468_3103 Depth=1
	v_bfrev_b32_e32 v8, 1
	s_mov_b32 s23, exec_lo
	v_cmpx_ne_u16_e32 0x80, v9
	s_cbranch_execz .LBB468_4904
; %bb.4899:                             ;   in Loop: Header=BB468_3103 Depth=1
	v_bfe_u32 v9, v7, 16, 7
	v_mov_b32_e32 v8, 0x7f800001
	s_mov_b32 s24, exec_lo
	s_delay_alu instid0(VALU_DEP_2)
	v_cmpx_ne_u32_e32 0x7f, v9
	s_cbranch_execz .LBB468_4903
; %bb.4900:                             ;   in Loop: Header=BB468_3103 Depth=1
	v_and_b32_e32 v12, 7, v19
	v_lshrrev_b32_e32 v20, 3, v9
	v_cmp_gt_u32_e64 s9, 8, v9
	s_delay_alu instid0(VALU_DEP_3) | instskip(NEXT) | instid1(VALU_DEP_2)
	v_dual_mov_b32 v8, v12 :: v_dual_mov_b32 v9, v13
	s_and_saveexec_b32 s25, s9
; %bb.4901:                             ;   in Loop: Header=BB468_3103 Depth=1
	v_clz_i32_u32_e32 v8, v12
	s_delay_alu instid0(VALU_DEP_1) | instskip(NEXT) | instid1(VALU_DEP_1)
	v_min_u32_e32 v20, 32, v8
	v_subrev_nc_u32_e32 v8, 28, v20
	v_sub_nc_u32_e32 v20, 29, v20
	s_delay_alu instid0(VALU_DEP_2) | instskip(NEXT) | instid1(VALU_DEP_1)
	v_lshlrev_b64 v[8:9], v8, v[12:13]
	v_and_b32_e32 v8, 7, v8
; %bb.4902:                             ;   in Loop: Header=BB468_3103 Depth=1
	s_or_b32 exec_lo, exec_lo, s25
	v_lshlrev_b32_e32 v9, 24, v19
	s_delay_alu instid0(VALU_DEP_2) | instskip(SKIP_1) | instid1(VALU_DEP_3)
	v_lshlrev_b32_e32 v8, 20, v8
	v_lshl_add_u32 v12, v20, 23, 0x3c000000
	v_and_b32_e32 v9, 0x80000000, v9
	s_delay_alu instid0(VALU_DEP_1)
	v_or3_b32 v8, v8, v9, v12
.LBB468_4903:                           ;   in Loop: Header=BB468_3103 Depth=1
	s_or_b32 exec_lo, exec_lo, s24
.LBB468_4904:                           ;   in Loop: Header=BB468_3103 Depth=1
	s_delay_alu instid0(SALU_CYCLE_1)
	s_or_b32 exec_lo, exec_lo, s23
.LBB468_4905:                           ;   in Loop: Header=BB468_3103 Depth=1
	s_delay_alu instid0(SALU_CYCLE_1) | instskip(NEXT) | instid1(VALU_DEP_1)
	s_or_b32 exec_lo, exec_lo, s22
	v_mul_f32_e32 v8, v26, v8
	s_delay_alu instid0(VALU_DEP_1) | instskip(NEXT) | instid1(VALU_DEP_1)
	v_and_b32_e32 v9, 0x7f800000, v8
	v_cmp_ne_u32_e64 s9, 0x7f800000, v9
                                        ; implicit-def: $vgpr9
	s_delay_alu instid0(VALU_DEP_1) | instskip(NEXT) | instid1(SALU_CYCLE_1)
	s_and_saveexec_b32 s22, s9
	s_xor_b32 s9, exec_lo, s22
; %bb.4906:                             ;   in Loop: Header=BB468_3103 Depth=1
	v_bfe_u32 v9, v8, 16, 1
	s_delay_alu instid0(VALU_DEP_1)
	v_add3_u32 v9, v8, v9, 0x7fff
                                        ; implicit-def: $vgpr8
; %bb.4907:                             ;   in Loop: Header=BB468_3103 Depth=1
	s_and_not1_saveexec_b32 s22, s9
; %bb.4908:                             ;   in Loop: Header=BB468_3103 Depth=1
	v_and_b32_e32 v9, 0xffff, v8
	v_or_b32_e32 v12, 0x10000, v8
	s_delay_alu instid0(VALU_DEP_2) | instskip(NEXT) | instid1(VALU_DEP_1)
	v_cmp_eq_u32_e64 s9, 0, v9
	v_cndmask_b32_e64 v9, v12, v8, s9
; %bb.4909:                             ;   in Loop: Header=BB468_3103 Depth=1
	s_or_b32 exec_lo, exec_lo, s22
	v_cmp_lt_u64_e64 s9, s[12:13], v[6:7]
	v_mov_b32_e32 v6, 0
	s_delay_alu instid0(VALU_DEP_2)
	s_and_saveexec_b32 s22, s9
	s_cbranch_execz .LBB468_4917
; %bb.4910:                             ;   in Loop: Header=BB468_3103 Depth=1
	v_lshrrev_b32_e32 v8, 24, v7
	v_bfrev_b32_e32 v6, 1
	s_mov_b32 s23, exec_lo
	s_delay_alu instid0(VALU_DEP_2)
	v_cmpx_ne_u32_e32 0x80, v8
	s_cbranch_execz .LBB468_4916
; %bb.4911:                             ;   in Loop: Header=BB468_3103 Depth=1
	v_bfe_u32 v7, v7, 24, 7
	v_mov_b32_e32 v6, 0x7f800001
	s_mov_b32 s24, exec_lo
	s_delay_alu instid0(VALU_DEP_2)
	v_cmpx_ne_u32_e32 0x7f, v7
	s_cbranch_execz .LBB468_4915
; %bb.4912:                             ;   in Loop: Header=BB468_3103 Depth=1
	v_and_b32_e32 v12, 7, v8
	v_lshrrev_b32_e32 v19, 3, v7
	v_cmp_gt_u32_e64 s9, 8, v7
	s_delay_alu instid0(VALU_DEP_3) | instskip(NEXT) | instid1(VALU_DEP_2)
	v_dual_mov_b32 v6, v12 :: v_dual_mov_b32 v7, v13
	s_and_saveexec_b32 s25, s9
; %bb.4913:                             ;   in Loop: Header=BB468_3103 Depth=1
	v_clz_i32_u32_e32 v6, v12
	s_delay_alu instid0(VALU_DEP_1) | instskip(NEXT) | instid1(VALU_DEP_1)
	v_min_u32_e32 v19, 32, v6
	v_subrev_nc_u32_e32 v6, 28, v19
	v_sub_nc_u32_e32 v19, 29, v19
	s_delay_alu instid0(VALU_DEP_2) | instskip(NEXT) | instid1(VALU_DEP_1)
	v_lshlrev_b64 v[6:7], v6, v[12:13]
	v_and_b32_e32 v6, 7, v6
; %bb.4914:                             ;   in Loop: Header=BB468_3103 Depth=1
	s_or_b32 exec_lo, exec_lo, s25
	v_lshlrev_b32_e32 v7, 24, v8
	s_delay_alu instid0(VALU_DEP_2) | instskip(SKIP_1) | instid1(VALU_DEP_3)
	v_lshlrev_b32_e32 v6, 20, v6
	v_lshl_add_u32 v8, v19, 23, 0x3c000000
	v_and_b32_e32 v7, 0x80000000, v7
	s_delay_alu instid0(VALU_DEP_1)
	v_or3_b32 v6, v6, v7, v8
.LBB468_4915:                           ;   in Loop: Header=BB468_3103 Depth=1
	s_or_b32 exec_lo, exec_lo, s24
.LBB468_4916:                           ;   in Loop: Header=BB468_3103 Depth=1
	s_delay_alu instid0(SALU_CYCLE_1)
	s_or_b32 exec_lo, exec_lo, s23
.LBB468_4917:                           ;   in Loop: Header=BB468_3103 Depth=1
	s_delay_alu instid0(SALU_CYCLE_1) | instskip(NEXT) | instid1(VALU_DEP_1)
	s_or_b32 exec_lo, exec_lo, s22
	v_mul_f32_e32 v6, v26, v6
                                        ; implicit-def: $vgpr19
	s_delay_alu instid0(VALU_DEP_1) | instskip(NEXT) | instid1(VALU_DEP_1)
	v_and_b32_e32 v7, 0x7f800000, v6
	v_cmp_ne_u32_e64 s9, 0x7f800000, v7
	s_delay_alu instid0(VALU_DEP_1) | instskip(NEXT) | instid1(SALU_CYCLE_1)
	s_and_saveexec_b32 s22, s9
	s_xor_b32 s9, exec_lo, s22
; %bb.4918:                             ;   in Loop: Header=BB468_3103 Depth=1
	v_bfe_u32 v7, v6, 16, 1
	s_delay_alu instid0(VALU_DEP_1)
	v_add3_u32 v19, v6, v7, 0x7fff
                                        ; implicit-def: $vgpr6
; %bb.4919:                             ;   in Loop: Header=BB468_3103 Depth=1
	s_and_not1_saveexec_b32 s22, s9
; %bb.4920:                             ;   in Loop: Header=BB468_3103 Depth=1
	v_and_b32_e32 v7, 0xffff, v6
	v_or_b32_e32 v8, 0x10000, v6
	s_delay_alu instid0(VALU_DEP_2) | instskip(NEXT) | instid1(VALU_DEP_1)
	v_cmp_eq_u32_e64 s9, 0, v7
	v_cndmask_b32_e64 v19, v8, v6, s9
; %bb.4921:                             ;   in Loop: Header=BB468_3103 Depth=1
	s_or_b32 exec_lo, exec_lo, s22
	v_lshrrev_b32_e32 v6, 16, v18
	v_lshrrev_b32_e32 v7, 16, v17
	;; [unrolled: 1-line block ×8, first 2 shown]
	s_and_saveexec_b32 s9, s3
; %bb.4922:                             ;   in Loop: Header=BB468_3103 Depth=1
	s_delay_alu instid0(VALU_DEP_3)
	v_cndmask_b32_e32 v12, 0, v12, vcc_lo
	v_cndmask_b32_e64 v11, 0, v11, s1
	v_cndmask_b32_e64 v10, 0, v10, s2
	;; [unrolled: 1-line block ×7, first 2 shown]
; %bb.4923:                             ;   in Loop: Header=BB468_3103 Depth=1
	s_or_b32 exec_lo, exec_lo, s9
	v_lshlrev_b32_e32 v9, 16, v12
	s_delay_alu instid0(VALU_DEP_1) | instskip(NEXT) | instid1(VALU_DEP_1)
	v_mul_f32_e32 v9, v151, v9
	v_and_b32_e32 v12, 0x7f800000, v9
	s_delay_alu instid0(VALU_DEP_1) | instskip(NEXT) | instid1(VALU_DEP_1)
	v_cmp_ne_u32_e64 s9, 0x7f800000, v12
                                        ; implicit-def: $vgpr12
                                        ; kill: killed $vgpr12
	s_and_saveexec_b32 s22, s9
	s_delay_alu instid0(SALU_CYCLE_1)
	s_xor_b32 s9, exec_lo, s22
	s_cbranch_execz .LBB468_4925
; %bb.4924:                             ;   in Loop: Header=BB468_3103 Depth=1
	v_bfe_u32 v12, v9, 16, 1
	s_delay_alu instid0(VALU_DEP_1)
	v_add3_u32 v9, v9, v12, 0x7fff
	scratch_store_b32 off, v9, s32 offset:748 ; 4-byte Folded Spill
                                        ; implicit-def: $vgpr9
.LBB468_4925:                           ;   in Loop: Header=BB468_3103 Depth=1
	s_and_not1_saveexec_b32 s22, s9
	s_cbranch_execz .LBB468_4927
; %bb.4926:                             ;   in Loop: Header=BB468_3103 Depth=1
	v_and_b32_e32 v12, 0xffff, v9
	v_or_b32_e32 v17, 0x10000, v9
	s_delay_alu instid0(VALU_DEP_2) | instskip(NEXT) | instid1(VALU_DEP_1)
	v_cmp_eq_u32_e64 s9, 0, v12
	v_cndmask_b32_e64 v9, v17, v9, s9
	scratch_store_b32 off, v9, s32 offset:748 ; 4-byte Folded Spill
.LBB468_4927:                           ;   in Loop: Header=BB468_3103 Depth=1
	s_or_b32 exec_lo, exec_lo, s22
	v_lshlrev_b32_e32 v9, 16, v11
	s_delay_alu instid0(VALU_DEP_1) | instskip(NEXT) | instid1(VALU_DEP_1)
	v_mul_f32_e32 v9, v160, v9
	v_and_b32_e32 v11, 0x7f800000, v9
	s_delay_alu instid0(VALU_DEP_1) | instskip(NEXT) | instid1(VALU_DEP_1)
	v_cmp_ne_u32_e64 s9, 0x7f800000, v11
                                        ; implicit-def: $vgpr11
                                        ; kill: killed $vgpr11
	s_and_saveexec_b32 s22, s9
	s_delay_alu instid0(SALU_CYCLE_1)
	s_xor_b32 s9, exec_lo, s22
	s_cbranch_execz .LBB468_4929
; %bb.4928:                             ;   in Loop: Header=BB468_3103 Depth=1
	v_bfe_u32 v11, v9, 16, 1
	s_delay_alu instid0(VALU_DEP_1)
	v_add3_u32 v9, v9, v11, 0x7fff
	scratch_store_b32 off, v9, s32 offset:752 ; 4-byte Folded Spill
                                        ; implicit-def: $vgpr9
.LBB468_4929:                           ;   in Loop: Header=BB468_3103 Depth=1
	s_and_not1_saveexec_b32 s22, s9
	s_cbranch_execz .LBB468_4931
; %bb.4930:                             ;   in Loop: Header=BB468_3103 Depth=1
	v_and_b32_e32 v11, 0xffff, v9
	v_or_b32_e32 v12, 0x10000, v9
	s_delay_alu instid0(VALU_DEP_2) | instskip(NEXT) | instid1(VALU_DEP_1)
	v_cmp_eq_u32_e64 s9, 0, v11
	v_cndmask_b32_e64 v9, v12, v9, s9
	scratch_store_b32 off, v9, s32 offset:752 ; 4-byte Folded Spill
.LBB468_4931:                           ;   in Loop: Header=BB468_3103 Depth=1
	s_or_b32 exec_lo, exec_lo, s22
	v_lshlrev_b32_e32 v9, 16, v10
	s_delay_alu instid0(VALU_DEP_1) | instskip(NEXT) | instid1(VALU_DEP_1)
	v_mul_f32_e32 v9, v161, v9
	v_and_b32_e32 v10, 0x7f800000, v9
	s_delay_alu instid0(VALU_DEP_1) | instskip(NEXT) | instid1(VALU_DEP_1)
	v_cmp_ne_u32_e64 s9, 0x7f800000, v10
                                        ; implicit-def: $vgpr10
                                        ; kill: killed $vgpr10
	s_and_saveexec_b32 s22, s9
	s_delay_alu instid0(SALU_CYCLE_1)
	s_xor_b32 s9, exec_lo, s22
	s_cbranch_execz .LBB468_4933
; %bb.4932:                             ;   in Loop: Header=BB468_3103 Depth=1
	v_bfe_u32 v10, v9, 16, 1
	s_delay_alu instid0(VALU_DEP_1)
	v_add3_u32 v9, v9, v10, 0x7fff
	scratch_store_b32 off, v9, s32 offset:756 ; 4-byte Folded Spill
                                        ; implicit-def: $vgpr9
.LBB468_4933:                           ;   in Loop: Header=BB468_3103 Depth=1
	s_and_not1_saveexec_b32 s22, s9
	s_cbranch_execz .LBB468_4935
; %bb.4934:                             ;   in Loop: Header=BB468_3103 Depth=1
	v_and_b32_e32 v10, 0xffff, v9
	v_or_b32_e32 v11, 0x10000, v9
	s_delay_alu instid0(VALU_DEP_2) | instskip(NEXT) | instid1(VALU_DEP_1)
	v_cmp_eq_u32_e64 s9, 0, v10
	v_cndmask_b32_e64 v9, v11, v9, s9
	scratch_store_b32 off, v9, s32 offset:756 ; 4-byte Folded Spill
.LBB468_4935:                           ;   in Loop: Header=BB468_3103 Depth=1
	s_or_b32 exec_lo, exec_lo, s22
	v_lshlrev_b32_e32 v8, 16, v8
	s_delay_alu instid0(VALU_DEP_1) | instskip(NEXT) | instid1(VALU_DEP_1)
	v_mul_f32_e32 v8, v162, v8
	v_and_b32_e32 v9, 0x7f800000, v8
	s_delay_alu instid0(VALU_DEP_1) | instskip(NEXT) | instid1(VALU_DEP_1)
	v_cmp_ne_u32_e64 s9, 0x7f800000, v9
                                        ; implicit-def: $vgpr9
                                        ; kill: killed $vgpr9
	s_and_saveexec_b32 s22, s9
	s_delay_alu instid0(SALU_CYCLE_1)
	s_xor_b32 s9, exec_lo, s22
	s_cbranch_execz .LBB468_4937
; %bb.4936:                             ;   in Loop: Header=BB468_3103 Depth=1
	v_bfe_u32 v9, v8, 16, 1
	s_delay_alu instid0(VALU_DEP_1)
	v_add3_u32 v8, v8, v9, 0x7fff
	scratch_store_b32 off, v8, s32 offset:760 ; 4-byte Folded Spill
                                        ; implicit-def: $vgpr8
.LBB468_4937:                           ;   in Loop: Header=BB468_3103 Depth=1
	s_and_not1_saveexec_b32 s22, s9
	s_cbranch_execz .LBB468_4939
; %bb.4938:                             ;   in Loop: Header=BB468_3103 Depth=1
	v_and_b32_e32 v9, 0xffff, v8
	v_or_b32_e32 v10, 0x10000, v8
	s_delay_alu instid0(VALU_DEP_2) | instskip(NEXT) | instid1(VALU_DEP_1)
	v_cmp_eq_u32_e64 s9, 0, v9
	v_cndmask_b32_e64 v8, v10, v8, s9
	scratch_store_b32 off, v8, s32 offset:760 ; 4-byte Folded Spill
.LBB468_4939:                           ;   in Loop: Header=BB468_3103 Depth=1
	s_or_b32 exec_lo, exec_lo, s22
	v_lshlrev_b32_e32 v7, 16, v7
	s_delay_alu instid0(VALU_DEP_1) | instskip(NEXT) | instid1(VALU_DEP_1)
	v_mul_f32_e32 v7, v163, v7
	v_and_b32_e32 v8, 0x7f800000, v7
	s_delay_alu instid0(VALU_DEP_1) | instskip(NEXT) | instid1(VALU_DEP_1)
	v_cmp_ne_u32_e64 s9, 0x7f800000, v8
                                        ; implicit-def: $vgpr8
                                        ; kill: killed $vgpr8
	s_and_saveexec_b32 s22, s9
	s_delay_alu instid0(SALU_CYCLE_1)
	s_xor_b32 s9, exec_lo, s22
	s_cbranch_execz .LBB468_4941
; %bb.4940:                             ;   in Loop: Header=BB468_3103 Depth=1
	v_bfe_u32 v8, v7, 16, 1
	s_delay_alu instid0(VALU_DEP_1)
	v_add3_u32 v7, v7, v8, 0x7fff
	scratch_store_b32 off, v7, s32 offset:764 ; 4-byte Folded Spill
                                        ; implicit-def: $vgpr7
.LBB468_4941:                           ;   in Loop: Header=BB468_3103 Depth=1
	s_and_not1_saveexec_b32 s22, s9
	s_cbranch_execz .LBB468_4943
; %bb.4942:                             ;   in Loop: Header=BB468_3103 Depth=1
	v_and_b32_e32 v8, 0xffff, v7
	v_or_b32_e32 v9, 0x10000, v7
	s_delay_alu instid0(VALU_DEP_2) | instskip(NEXT) | instid1(VALU_DEP_1)
	v_cmp_eq_u32_e64 s9, 0, v8
	v_cndmask_b32_e64 v7, v9, v7, s9
	scratch_store_b32 off, v7, s32 offset:764 ; 4-byte Folded Spill
.LBB468_4943:                           ;   in Loop: Header=BB468_3103 Depth=1
	s_or_b32 exec_lo, exec_lo, s22
	v_lshlrev_b32_e32 v6, 16, v6
	s_delay_alu instid0(VALU_DEP_1) | instskip(NEXT) | instid1(VALU_DEP_1)
	v_mul_f32_e32 v6, v164, v6
	v_and_b32_e32 v7, 0x7f800000, v6
	s_delay_alu instid0(VALU_DEP_1) | instskip(NEXT) | instid1(VALU_DEP_1)
	v_cmp_ne_u32_e64 s9, 0x7f800000, v7
                                        ; implicit-def: $vgpr7
                                        ; kill: killed $vgpr7
	s_and_saveexec_b32 s22, s9
	s_delay_alu instid0(SALU_CYCLE_1)
	s_xor_b32 s9, exec_lo, s22
	s_cbranch_execz .LBB468_4945
; %bb.4944:                             ;   in Loop: Header=BB468_3103 Depth=1
	v_bfe_u32 v7, v6, 16, 1
	s_delay_alu instid0(VALU_DEP_1)
	v_add3_u32 v6, v6, v7, 0x7fff
	scratch_store_b32 off, v6, s32 offset:768 ; 4-byte Folded Spill
                                        ; implicit-def: $vgpr6
.LBB468_4945:                           ;   in Loop: Header=BB468_3103 Depth=1
	s_and_not1_saveexec_b32 s22, s9
	s_cbranch_execz .LBB468_4947
; %bb.4946:                             ;   in Loop: Header=BB468_3103 Depth=1
	v_and_b32_e32 v7, 0xffff, v6
	v_or_b32_e32 v8, 0x10000, v6
	s_delay_alu instid0(VALU_DEP_2) | instskip(NEXT) | instid1(VALU_DEP_1)
	v_cmp_eq_u32_e64 s9, 0, v7
	v_cndmask_b32_e64 v6, v8, v6, s9
	scratch_store_b32 off, v6, s32 offset:768 ; 4-byte Folded Spill
.LBB468_4947:                           ;   in Loop: Header=BB468_3103 Depth=1
	s_or_b32 exec_lo, exec_lo, s22
	v_lshlrev_b32_e32 v5, 16, v5
	s_delay_alu instid0(VALU_DEP_1) | instskip(NEXT) | instid1(VALU_DEP_1)
	v_mul_f32_e32 v5, v165, v5
	v_and_b32_e32 v6, 0x7f800000, v5
	s_delay_alu instid0(VALU_DEP_1) | instskip(NEXT) | instid1(VALU_DEP_1)
	v_cmp_ne_u32_e64 s9, 0x7f800000, v6
                                        ; implicit-def: $vgpr6
                                        ; kill: killed $vgpr6
	s_and_saveexec_b32 s22, s9
	s_delay_alu instid0(SALU_CYCLE_1)
	s_xor_b32 s9, exec_lo, s22
	s_cbranch_execz .LBB468_4949
; %bb.4948:                             ;   in Loop: Header=BB468_3103 Depth=1
	v_bfe_u32 v6, v5, 16, 1
	s_delay_alu instid0(VALU_DEP_1)
	v_add3_u32 v5, v5, v6, 0x7fff
	scratch_store_b32 off, v5, s32 offset:772 ; 4-byte Folded Spill
                                        ; implicit-def: $vgpr5
.LBB468_4949:                           ;   in Loop: Header=BB468_3103 Depth=1
	s_and_not1_saveexec_b32 s22, s9
	s_cbranch_execz .LBB468_4951
; %bb.4950:                             ;   in Loop: Header=BB468_3103 Depth=1
	v_and_b32_e32 v6, 0xffff, v5
	v_or_b32_e32 v7, 0x10000, v5
	s_delay_alu instid0(VALU_DEP_2) | instskip(NEXT) | instid1(VALU_DEP_1)
	v_cmp_eq_u32_e64 s9, 0, v6
	v_cndmask_b32_e64 v5, v7, v5, s9
	scratch_store_b32 off, v5, s32 offset:772 ; 4-byte Folded Spill
.LBB468_4951:                           ;   in Loop: Header=BB468_3103 Depth=1
	s_or_b32 exec_lo, exec_lo, s22
	v_lshlrev_b32_e32 v4, 16, v4
	s_delay_alu instid0(VALU_DEP_1) | instskip(NEXT) | instid1(VALU_DEP_1)
	v_mul_f32_e32 v4, v166, v4
	v_and_b32_e32 v5, 0x7f800000, v4
	s_delay_alu instid0(VALU_DEP_1) | instskip(NEXT) | instid1(VALU_DEP_1)
	v_cmp_ne_u32_e64 s9, 0x7f800000, v5
                                        ; implicit-def: $vgpr5
                                        ; kill: killed $vgpr5
	s_and_saveexec_b32 s22, s9
	s_delay_alu instid0(SALU_CYCLE_1)
	s_xor_b32 s9, exec_lo, s22
	s_cbranch_execz .LBB468_4953
; %bb.4952:                             ;   in Loop: Header=BB468_3103 Depth=1
	v_bfe_u32 v5, v4, 16, 1
	s_delay_alu instid0(VALU_DEP_1)
	v_add3_u32 v4, v4, v5, 0x7fff
	scratch_store_b32 off, v4, s32 offset:776 ; 4-byte Folded Spill
                                        ; implicit-def: $vgpr4
.LBB468_4953:                           ;   in Loop: Header=BB468_3103 Depth=1
	s_and_not1_saveexec_b32 s22, s9
	s_cbranch_execz .LBB468_4955
; %bb.4954:                             ;   in Loop: Header=BB468_3103 Depth=1
	v_and_b32_e32 v5, 0xffff, v4
	v_or_b32_e32 v6, 0x10000, v4
	s_delay_alu instid0(VALU_DEP_2) | instskip(NEXT) | instid1(VALU_DEP_1)
	v_cmp_eq_u32_e64 s9, 0, v5
	v_cndmask_b32_e64 v4, v6, v4, s9
	scratch_store_b32 off, v4, s32 offset:776 ; 4-byte Folded Spill
.LBB468_4955:                           ;   in Loop: Header=BB468_3103 Depth=1
	s_or_b32 exec_lo, exec_lo, s22
	flat_load_b64 v[6:7], v[2:3] offset:3584
	s_mov_b32 s22, exec_lo
	s_waitcnt vmcnt(0) lgkmcnt(0)
	v_dual_mov_b32 v4, 0 :: v_dual_and_b32 v5, 0xff, v6
	s_delay_alu instid0(VALU_DEP_1)
	v_cmpx_ne_u16_e32 0, v5
	s_cbranch_execz .LBB468_4963
; %bb.4956:                             ;   in Loop: Header=BB468_3103 Depth=1
	v_bfrev_b32_e32 v4, 1
	s_mov_b32 s23, exec_lo
	v_cmpx_ne_u16_e32 0x80, v5
	s_cbranch_execz .LBB468_4962
; %bb.4957:                             ;   in Loop: Header=BB468_3103 Depth=1
	v_and_b32_e32 v5, 0x7f, v6
	v_mov_b32_e32 v4, 0x7f800001
	s_mov_b32 s24, exec_lo
	s_delay_alu instid0(VALU_DEP_2)
	v_cmpx_ne_u32_e32 0x7f, v5
	s_cbranch_execz .LBB468_4961
; %bb.4958:                             ;   in Loop: Header=BB468_3103 Depth=1
	v_lshrrev_b32_e32 v4, 3, v5
	v_dual_mov_b32 v9, v7 :: v_dual_mov_b32 v8, v6
	s_mov_b32 s25, exec_lo
	v_cmpx_gt_u32_e32 8, v5
; %bb.4959:                             ;   in Loop: Header=BB468_3103 Depth=1
	v_and_b32_e32 v4, 7, v6
	s_delay_alu instid0(VALU_DEP_1) | instskip(NEXT) | instid1(VALU_DEP_1)
	v_clz_i32_u32_e32 v4, v4
	v_min_u32_e32 v4, 32, v4
	s_delay_alu instid0(VALU_DEP_1) | instskip(SKIP_1) | instid1(VALU_DEP_2)
	v_subrev_nc_u32_e32 v5, 28, v4
	v_sub_nc_u32_e32 v4, 29, v4
	v_lshlrev_b64 v[8:9], v5, v[6:7]
; %bb.4960:                             ;   in Loop: Header=BB468_3103 Depth=1
	s_or_b32 exec_lo, exec_lo, s25
	s_delay_alu instid0(VALU_DEP_1) | instskip(SKIP_2) | instid1(VALU_DEP_3)
	v_lshlrev_b32_e32 v5, 20, v8
	v_lshlrev_b32_e32 v8, 24, v6
	v_lshl_add_u32 v4, v4, 23, 0x3c000000
	v_and_b32_e32 v5, 0x700000, v5
	s_delay_alu instid0(VALU_DEP_3) | instskip(NEXT) | instid1(VALU_DEP_1)
	v_and_b32_e32 v8, 0x80000000, v8
	v_or3_b32 v4, v5, v8, v4
.LBB468_4961:                           ;   in Loop: Header=BB468_3103 Depth=1
	s_or_b32 exec_lo, exec_lo, s24
.LBB468_4962:                           ;   in Loop: Header=BB468_3103 Depth=1
	s_delay_alu instid0(SALU_CYCLE_1)
	s_or_b32 exec_lo, exec_lo, s23
.LBB468_4963:                           ;   in Loop: Header=BB468_3103 Depth=1
	s_delay_alu instid0(SALU_CYCLE_1) | instskip(NEXT) | instid1(VALU_DEP_1)
	s_or_b32 exec_lo, exec_lo, s22
	v_mul_f32_e32 v5, v26, v4
	s_delay_alu instid0(VALU_DEP_1) | instskip(NEXT) | instid1(VALU_DEP_1)
	v_and_b32_e32 v4, 0x7f800000, v5
	v_cmp_ne_u32_e64 s9, 0x7f800000, v4
                                        ; implicit-def: $vgpr4
	s_delay_alu instid0(VALU_DEP_1) | instskip(NEXT) | instid1(SALU_CYCLE_1)
	s_and_saveexec_b32 s22, s9
	s_xor_b32 s9, exec_lo, s22
; %bb.4964:                             ;   in Loop: Header=BB468_3103 Depth=1
	v_bfe_u32 v4, v5, 16, 1
	s_delay_alu instid0(VALU_DEP_1)
	v_add3_u32 v4, v5, v4, 0x7fff
                                        ; implicit-def: $vgpr5
; %bb.4965:                             ;   in Loop: Header=BB468_3103 Depth=1
	s_and_not1_saveexec_b32 s22, s9
; %bb.4966:                             ;   in Loop: Header=BB468_3103 Depth=1
	v_and_b32_e32 v4, 0xffff, v5
	v_or_b32_e32 v8, 0x10000, v5
	s_delay_alu instid0(VALU_DEP_2) | instskip(NEXT) | instid1(VALU_DEP_1)
	v_cmp_eq_u32_e64 s9, 0, v4
	v_cndmask_b32_e64 v4, v8, v5, s9
; %bb.4967:                             ;   in Loop: Header=BB468_3103 Depth=1
	s_or_b32 exec_lo, exec_lo, s22
	v_lshrrev_b16 v8, 8, v6
	v_mov_b32_e32 v5, 0
	s_mov_b32 s22, exec_lo
	s_delay_alu instid0(VALU_DEP_2)
	v_cmpx_ne_u16_e32 0, v8
	s_cbranch_execz .LBB468_4975
; %bb.4968:                             ;   in Loop: Header=BB468_3103 Depth=1
	v_bfrev_b32_e32 v5, 1
	s_mov_b32 s23, exec_lo
	v_cmpx_ne_u16_e32 0x80, v8
	s_cbranch_execz .LBB468_4974
; %bb.4969:                             ;   in Loop: Header=BB468_3103 Depth=1
	v_and_b32_e32 v9, 0xffff, v8
	v_mov_b32_e32 v5, 0x7f800001
	s_mov_b32 s24, exec_lo
	s_delay_alu instid0(VALU_DEP_2) | instskip(NEXT) | instid1(VALU_DEP_1)
	v_and_b32_e32 v8, 0x7f, v9
	v_cmpx_ne_u32_e32 0x7f, v8
	s_cbranch_execz .LBB468_4973
; %bb.4970:                             ;   in Loop: Header=BB468_3103 Depth=1
	v_and_b32_e32 v12, 7, v9
	v_lshrrev_b32_e32 v5, 3, v8
	v_cmp_gt_u32_e64 s9, 8, v8
	s_delay_alu instid0(VALU_DEP_3) | instskip(NEXT) | instid1(VALU_DEP_2)
	v_dual_mov_b32 v8, v12 :: v_dual_mov_b32 v9, v13
	s_and_saveexec_b32 s25, s9
; %bb.4971:                             ;   in Loop: Header=BB468_3103 Depth=1
	v_clz_i32_u32_e32 v5, v12
	s_delay_alu instid0(VALU_DEP_1) | instskip(NEXT) | instid1(VALU_DEP_1)
	v_min_u32_e32 v5, 32, v5
	v_subrev_nc_u32_e32 v8, 28, v5
	v_sub_nc_u32_e32 v5, 29, v5
	s_delay_alu instid0(VALU_DEP_2) | instskip(NEXT) | instid1(VALU_DEP_1)
	v_lshlrev_b64 v[8:9], v8, v[12:13]
	v_and_b32_e32 v8, 7, v8
; %bb.4972:                             ;   in Loop: Header=BB468_3103 Depth=1
	s_or_b32 exec_lo, exec_lo, s25
	v_lshlrev_b32_e32 v9, 16, v6
	s_delay_alu instid0(VALU_DEP_2) | instskip(SKIP_1) | instid1(VALU_DEP_3)
	v_lshlrev_b32_e32 v8, 20, v8
	v_lshl_add_u32 v5, v5, 23, 0x3c000000
	v_and_b32_e32 v9, 0x80000000, v9
	s_delay_alu instid0(VALU_DEP_1)
	v_or3_b32 v5, v8, v9, v5
.LBB468_4973:                           ;   in Loop: Header=BB468_3103 Depth=1
	s_or_b32 exec_lo, exec_lo, s24
.LBB468_4974:                           ;   in Loop: Header=BB468_3103 Depth=1
	s_delay_alu instid0(SALU_CYCLE_1)
	s_or_b32 exec_lo, exec_lo, s23
.LBB468_4975:                           ;   in Loop: Header=BB468_3103 Depth=1
	s_delay_alu instid0(SALU_CYCLE_1) | instskip(NEXT) | instid1(VALU_DEP_1)
	s_or_b32 exec_lo, exec_lo, s22
	v_mul_f32_e32 v8, v26, v5
	s_delay_alu instid0(VALU_DEP_1) | instskip(NEXT) | instid1(VALU_DEP_1)
	v_and_b32_e32 v5, 0x7f800000, v8
	v_cmp_ne_u32_e64 s9, 0x7f800000, v5
                                        ; implicit-def: $vgpr5
	s_delay_alu instid0(VALU_DEP_1) | instskip(NEXT) | instid1(SALU_CYCLE_1)
	s_and_saveexec_b32 s22, s9
	s_xor_b32 s9, exec_lo, s22
; %bb.4976:                             ;   in Loop: Header=BB468_3103 Depth=1
	v_bfe_u32 v5, v8, 16, 1
	s_delay_alu instid0(VALU_DEP_1)
	v_add3_u32 v5, v8, v5, 0x7fff
                                        ; implicit-def: $vgpr8
; %bb.4977:                             ;   in Loop: Header=BB468_3103 Depth=1
	s_and_not1_saveexec_b32 s22, s9
; %bb.4978:                             ;   in Loop: Header=BB468_3103 Depth=1
	v_and_b32_e32 v5, 0xffff, v8
	v_or_b32_e32 v9, 0x10000, v8
	s_delay_alu instid0(VALU_DEP_2) | instskip(NEXT) | instid1(VALU_DEP_1)
	v_cmp_eq_u32_e64 s9, 0, v5
	v_cndmask_b32_e64 v5, v9, v8, s9
; %bb.4979:                             ;   in Loop: Header=BB468_3103 Depth=1
	s_or_b32 exec_lo, exec_lo, s22
	v_lshrrev_b32_e32 v10, 16, v6
	s_mov_b32 s22, exec_lo
	s_delay_alu instid0(VALU_DEP_1) | instskip(NEXT) | instid1(VALU_DEP_1)
	v_dual_mov_b32 v8, 0 :: v_dual_and_b32 v9, 0xff, v10
	v_cmpx_ne_u16_e32 0, v9
	s_cbranch_execz .LBB468_4987
; %bb.4980:                             ;   in Loop: Header=BB468_3103 Depth=1
	v_bfrev_b32_e32 v8, 1
	s_mov_b32 s23, exec_lo
	v_cmpx_ne_u16_e32 0x80, v9
	s_cbranch_execz .LBB468_4986
; %bb.4981:                             ;   in Loop: Header=BB468_3103 Depth=1
	v_bfe_u32 v9, v6, 16, 7
	v_mov_b32_e32 v8, 0x7f800001
	s_mov_b32 s24, exec_lo
	s_delay_alu instid0(VALU_DEP_2)
	v_cmpx_ne_u32_e32 0x7f, v9
	s_cbranch_execz .LBB468_4985
; %bb.4982:                             ;   in Loop: Header=BB468_3103 Depth=1
	v_and_b32_e32 v12, 7, v10
	v_lshrrev_b32_e32 v11, 3, v9
	v_cmp_gt_u32_e64 s9, 8, v9
	s_delay_alu instid0(VALU_DEP_3) | instskip(NEXT) | instid1(VALU_DEP_2)
	v_dual_mov_b32 v8, v12 :: v_dual_mov_b32 v9, v13
	s_and_saveexec_b32 s25, s9
; %bb.4983:                             ;   in Loop: Header=BB468_3103 Depth=1
	v_clz_i32_u32_e32 v8, v12
	s_delay_alu instid0(VALU_DEP_1) | instskip(NEXT) | instid1(VALU_DEP_1)
	v_min_u32_e32 v11, 32, v8
	v_subrev_nc_u32_e32 v8, 28, v11
	v_sub_nc_u32_e32 v11, 29, v11
	s_delay_alu instid0(VALU_DEP_2) | instskip(NEXT) | instid1(VALU_DEP_1)
	v_lshlrev_b64 v[8:9], v8, v[12:13]
	v_and_b32_e32 v8, 7, v8
; %bb.4984:                             ;   in Loop: Header=BB468_3103 Depth=1
	s_or_b32 exec_lo, exec_lo, s25
	v_lshlrev_b32_e32 v9, 24, v10
	s_delay_alu instid0(VALU_DEP_2) | instskip(SKIP_1) | instid1(VALU_DEP_3)
	v_lshlrev_b32_e32 v8, 20, v8
	v_lshl_add_u32 v10, v11, 23, 0x3c000000
	v_and_b32_e32 v9, 0x80000000, v9
	s_delay_alu instid0(VALU_DEP_1)
	v_or3_b32 v8, v8, v9, v10
.LBB468_4985:                           ;   in Loop: Header=BB468_3103 Depth=1
	s_or_b32 exec_lo, exec_lo, s24
.LBB468_4986:                           ;   in Loop: Header=BB468_3103 Depth=1
	s_delay_alu instid0(SALU_CYCLE_1)
	s_or_b32 exec_lo, exec_lo, s23
.LBB468_4987:                           ;   in Loop: Header=BB468_3103 Depth=1
	s_delay_alu instid0(SALU_CYCLE_1) | instskip(NEXT) | instid1(VALU_DEP_1)
	s_or_b32 exec_lo, exec_lo, s22
	v_mul_f32_e32 v8, v26, v8
                                        ; implicit-def: $vgpr10
	s_delay_alu instid0(VALU_DEP_1) | instskip(NEXT) | instid1(VALU_DEP_1)
	v_and_b32_e32 v9, 0x7f800000, v8
	v_cmp_ne_u32_e64 s9, 0x7f800000, v9
	s_delay_alu instid0(VALU_DEP_1) | instskip(NEXT) | instid1(SALU_CYCLE_1)
	s_and_saveexec_b32 s22, s9
	s_xor_b32 s9, exec_lo, s22
; %bb.4988:                             ;   in Loop: Header=BB468_3103 Depth=1
	v_bfe_u32 v9, v8, 16, 1
	s_delay_alu instid0(VALU_DEP_1)
	v_add3_u32 v10, v8, v9, 0x7fff
                                        ; implicit-def: $vgpr8
; %bb.4989:                             ;   in Loop: Header=BB468_3103 Depth=1
	s_and_not1_saveexec_b32 s22, s9
; %bb.4990:                             ;   in Loop: Header=BB468_3103 Depth=1
	v_and_b32_e32 v9, 0xffff, v8
	v_or_b32_e32 v10, 0x10000, v8
	s_delay_alu instid0(VALU_DEP_2) | instskip(NEXT) | instid1(VALU_DEP_1)
	v_cmp_eq_u32_e64 s9, 0, v9
	v_cndmask_b32_e64 v10, v10, v8, s9
; %bb.4991:                             ;   in Loop: Header=BB468_3103 Depth=1
	s_or_b32 exec_lo, exec_lo, s22
	v_mov_b32_e32 v8, 0
	s_mov_b32 s22, exec_lo
	v_cmpx_lt_u32_e32 0xffffff, v6
	s_cbranch_execz .LBB468_4999
; %bb.4992:                             ;   in Loop: Header=BB468_3103 Depth=1
	v_lshrrev_b32_e32 v11, 24, v6
	v_bfrev_b32_e32 v8, 1
	s_mov_b32 s23, exec_lo
	s_delay_alu instid0(VALU_DEP_2)
	v_cmpx_ne_u32_e32 0x80, v11
	s_cbranch_execz .LBB468_4998
; %bb.4993:                             ;   in Loop: Header=BB468_3103 Depth=1
	v_bfe_u32 v9, v6, 24, 7
	v_mov_b32_e32 v8, 0x7f800001
	s_mov_b32 s24, exec_lo
	s_delay_alu instid0(VALU_DEP_2)
	v_cmpx_ne_u32_e32 0x7f, v9
	s_cbranch_execz .LBB468_4997
; %bb.4994:                             ;   in Loop: Header=BB468_3103 Depth=1
	v_and_b32_e32 v12, 7, v11
	v_lshrrev_b32_e32 v17, 3, v9
	v_cmp_gt_u32_e64 s9, 8, v9
	s_delay_alu instid0(VALU_DEP_3) | instskip(NEXT) | instid1(VALU_DEP_2)
	v_dual_mov_b32 v8, v12 :: v_dual_mov_b32 v9, v13
	s_and_saveexec_b32 s25, s9
; %bb.4995:                             ;   in Loop: Header=BB468_3103 Depth=1
	v_clz_i32_u32_e32 v8, v12
	s_delay_alu instid0(VALU_DEP_1) | instskip(NEXT) | instid1(VALU_DEP_1)
	v_min_u32_e32 v17, 32, v8
	v_subrev_nc_u32_e32 v8, 28, v17
	v_sub_nc_u32_e32 v17, 29, v17
	s_delay_alu instid0(VALU_DEP_2) | instskip(NEXT) | instid1(VALU_DEP_1)
	v_lshlrev_b64 v[8:9], v8, v[12:13]
	v_and_b32_e32 v8, 7, v8
; %bb.4996:                             ;   in Loop: Header=BB468_3103 Depth=1
	s_or_b32 exec_lo, exec_lo, s25
	v_lshlrev_b32_e32 v9, 24, v11
	s_delay_alu instid0(VALU_DEP_2) | instskip(SKIP_1) | instid1(VALU_DEP_3)
	v_lshlrev_b32_e32 v8, 20, v8
	v_lshl_add_u32 v11, v17, 23, 0x3c000000
	v_and_b32_e32 v9, 0x80000000, v9
	s_delay_alu instid0(VALU_DEP_1)
	v_or3_b32 v8, v8, v9, v11
.LBB468_4997:                           ;   in Loop: Header=BB468_3103 Depth=1
	s_or_b32 exec_lo, exec_lo, s24
.LBB468_4998:                           ;   in Loop: Header=BB468_3103 Depth=1
	s_delay_alu instid0(SALU_CYCLE_1)
	s_or_b32 exec_lo, exec_lo, s23
.LBB468_4999:                           ;   in Loop: Header=BB468_3103 Depth=1
	s_delay_alu instid0(SALU_CYCLE_1) | instskip(NEXT) | instid1(VALU_DEP_1)
	s_or_b32 exec_lo, exec_lo, s22
	v_mul_f32_e32 v8, v26, v8
                                        ; implicit-def: $vgpr11
	s_delay_alu instid0(VALU_DEP_1) | instskip(NEXT) | instid1(VALU_DEP_1)
	v_and_b32_e32 v9, 0x7f800000, v8
	v_cmp_ne_u32_e64 s9, 0x7f800000, v9
	s_delay_alu instid0(VALU_DEP_1) | instskip(NEXT) | instid1(SALU_CYCLE_1)
	s_and_saveexec_b32 s22, s9
	s_xor_b32 s9, exec_lo, s22
; %bb.5000:                             ;   in Loop: Header=BB468_3103 Depth=1
	v_bfe_u32 v9, v8, 16, 1
	s_delay_alu instid0(VALU_DEP_1)
	v_add3_u32 v11, v8, v9, 0x7fff
                                        ; implicit-def: $vgpr8
; %bb.5001:                             ;   in Loop: Header=BB468_3103 Depth=1
	s_and_not1_saveexec_b32 s22, s9
; %bb.5002:                             ;   in Loop: Header=BB468_3103 Depth=1
	v_and_b32_e32 v9, 0xffff, v8
	v_or_b32_e32 v11, 0x10000, v8
	s_delay_alu instid0(VALU_DEP_2) | instskip(NEXT) | instid1(VALU_DEP_1)
	v_cmp_eq_u32_e64 s9, 0, v9
	v_cndmask_b32_e64 v11, v11, v8, s9
; %bb.5003:                             ;   in Loop: Header=BB468_3103 Depth=1
	s_or_b32 exec_lo, exec_lo, s22
	v_dual_mov_b32 v12, v7 :: v_dual_and_b32 v9, 0xff, v7
	v_mov_b32_e32 v8, 0
	s_mov_b32 s22, exec_lo
	s_delay_alu instid0(VALU_DEP_2)
	v_cmpx_ne_u16_e32 0, v9
	s_cbranch_execz .LBB468_5011
; %bb.5004:                             ;   in Loop: Header=BB468_3103 Depth=1
	v_bfrev_b32_e32 v8, 1
	s_mov_b32 s23, exec_lo
	v_cmpx_ne_u16_e32 0x80, v9
	s_cbranch_execz .LBB468_5010
; %bb.5005:                             ;   in Loop: Header=BB468_3103 Depth=1
	v_and_b32_e32 v9, 0x7f, v7
	v_mov_b32_e32 v8, 0x7f800001
	s_mov_b32 s24, exec_lo
	s_delay_alu instid0(VALU_DEP_2)
	v_cmpx_ne_u32_e32 0x7f, v9
	s_cbranch_execz .LBB468_5009
; %bb.5006:                             ;   in Loop: Header=BB468_3103 Depth=1
	v_lshrrev_b32_e32 v17, 3, v9
	v_cmp_gt_u32_e64 s9, 8, v9
	v_dual_mov_b32 v8, v12 :: v_dual_mov_b32 v9, v13
	s_delay_alu instid0(VALU_DEP_2)
	s_and_saveexec_b32 s25, s9
; %bb.5007:                             ;   in Loop: Header=BB468_3103 Depth=1
	v_and_b32_e32 v8, 7, v7
	s_delay_alu instid0(VALU_DEP_1) | instskip(NEXT) | instid1(VALU_DEP_1)
	v_clz_i32_u32_e32 v8, v8
	v_min_u32_e32 v17, 32, v8
	s_delay_alu instid0(VALU_DEP_1) | instskip(SKIP_1) | instid1(VALU_DEP_2)
	v_subrev_nc_u32_e32 v8, 28, v17
	v_sub_nc_u32_e32 v17, 29, v17
	v_lshlrev_b64 v[8:9], v8, v[12:13]
; %bb.5008:                             ;   in Loop: Header=BB468_3103 Depth=1
	s_or_b32 exec_lo, exec_lo, s25
	s_delay_alu instid0(VALU_DEP_1) | instskip(SKIP_2) | instid1(VALU_DEP_3)
	v_lshlrev_b32_e32 v8, 20, v8
	v_lshlrev_b32_e32 v9, 24, v12
	v_lshl_add_u32 v17, v17, 23, 0x3c000000
	v_and_b32_e32 v8, 0x700000, v8
	s_delay_alu instid0(VALU_DEP_3) | instskip(NEXT) | instid1(VALU_DEP_1)
	v_and_b32_e32 v9, 0x80000000, v9
	v_or3_b32 v8, v8, v9, v17
.LBB468_5009:                           ;   in Loop: Header=BB468_3103 Depth=1
	s_or_b32 exec_lo, exec_lo, s24
.LBB468_5010:                           ;   in Loop: Header=BB468_3103 Depth=1
	s_delay_alu instid0(SALU_CYCLE_1)
	s_or_b32 exec_lo, exec_lo, s23
.LBB468_5011:                           ;   in Loop: Header=BB468_3103 Depth=1
	s_delay_alu instid0(SALU_CYCLE_1) | instskip(NEXT) | instid1(VALU_DEP_1)
	s_or_b32 exec_lo, exec_lo, s22
	v_mul_f32_e32 v8, v26, v8
                                        ; implicit-def: $vgpr17
	s_delay_alu instid0(VALU_DEP_1) | instskip(NEXT) | instid1(VALU_DEP_1)
	v_and_b32_e32 v9, 0x7f800000, v8
	v_cmp_ne_u32_e64 s9, 0x7f800000, v9
	s_delay_alu instid0(VALU_DEP_1) | instskip(NEXT) | instid1(SALU_CYCLE_1)
	s_and_saveexec_b32 s22, s9
	s_xor_b32 s9, exec_lo, s22
; %bb.5012:                             ;   in Loop: Header=BB468_3103 Depth=1
	v_bfe_u32 v9, v8, 16, 1
	s_delay_alu instid0(VALU_DEP_1)
	v_add3_u32 v17, v8, v9, 0x7fff
                                        ; implicit-def: $vgpr8
; %bb.5013:                             ;   in Loop: Header=BB468_3103 Depth=1
	s_and_not1_saveexec_b32 s22, s9
; %bb.5014:                             ;   in Loop: Header=BB468_3103 Depth=1
	v_and_b32_e32 v9, 0xffff, v8
	v_or_b32_e32 v17, 0x10000, v8
	s_delay_alu instid0(VALU_DEP_2) | instskip(NEXT) | instid1(VALU_DEP_1)
	v_cmp_eq_u32_e64 s9, 0, v9
	v_cndmask_b32_e64 v17, v17, v8, s9
; %bb.5015:                             ;   in Loop: Header=BB468_3103 Depth=1
	s_or_b32 exec_lo, exec_lo, s22
	v_lshrrev_b16 v9, 8, v12
	v_mov_b32_e32 v8, 0
	s_mov_b32 s22, exec_lo
	s_delay_alu instid0(VALU_DEP_2)
	v_cmpx_ne_u16_e32 0, v9
	s_cbranch_execz .LBB468_5023
; %bb.5016:                             ;   in Loop: Header=BB468_3103 Depth=1
	v_bfrev_b32_e32 v8, 1
	s_mov_b32 s23, exec_lo
	v_cmpx_ne_u16_e32 0x80, v9
	s_cbranch_execz .LBB468_5022
; %bb.5017:                             ;   in Loop: Header=BB468_3103 Depth=1
	v_and_b32_e32 v9, 0xffff, v9
	v_mov_b32_e32 v8, 0x7f800001
	s_mov_b32 s24, exec_lo
	s_delay_alu instid0(VALU_DEP_2) | instskip(NEXT) | instid1(VALU_DEP_1)
	v_and_b32_e32 v19, 0x7f, v9
	v_cmpx_ne_u32_e32 0x7f, v19
	s_cbranch_execz .LBB468_5021
; %bb.5018:                             ;   in Loop: Header=BB468_3103 Depth=1
	v_dual_mov_b32 v9, v13 :: v_dual_and_b32 v8, 7, v9
	v_lshrrev_b32_e32 v18, 3, v19
	s_mov_b32 s25, exec_lo
	v_cmpx_gt_u32_e32 8, v19
; %bb.5019:                             ;   in Loop: Header=BB468_3103 Depth=1
	s_delay_alu instid0(VALU_DEP_3) | instskip(NEXT) | instid1(VALU_DEP_1)
	v_clz_i32_u32_e32 v18, v8
	v_min_u32_e32 v18, 32, v18
	s_delay_alu instid0(VALU_DEP_1) | instskip(SKIP_1) | instid1(VALU_DEP_2)
	v_subrev_nc_u32_e32 v19, 28, v18
	v_sub_nc_u32_e32 v18, 29, v18
	v_lshlrev_b64 v[8:9], v19, v[8:9]
	s_delay_alu instid0(VALU_DEP_1)
	v_and_b32_e32 v8, 7, v8
; %bb.5020:                             ;   in Loop: Header=BB468_3103 Depth=1
	s_or_b32 exec_lo, exec_lo, s25
	v_lshlrev_b32_e32 v9, 16, v12
	s_delay_alu instid0(VALU_DEP_2) | instskip(SKIP_1) | instid1(VALU_DEP_3)
	v_lshlrev_b32_e32 v8, 20, v8
	v_lshl_add_u32 v12, v18, 23, 0x3c000000
	v_and_b32_e32 v9, 0x80000000, v9
	s_delay_alu instid0(VALU_DEP_1)
	v_or3_b32 v8, v8, v9, v12
.LBB468_5021:                           ;   in Loop: Header=BB468_3103 Depth=1
	s_or_b32 exec_lo, exec_lo, s24
.LBB468_5022:                           ;   in Loop: Header=BB468_3103 Depth=1
	s_delay_alu instid0(SALU_CYCLE_1)
	s_or_b32 exec_lo, exec_lo, s23
.LBB468_5023:                           ;   in Loop: Header=BB468_3103 Depth=1
	s_delay_alu instid0(SALU_CYCLE_1) | instskip(NEXT) | instid1(VALU_DEP_1)
	s_or_b32 exec_lo, exec_lo, s22
	v_mul_f32_e32 v8, v26, v8
                                        ; implicit-def: $vgpr18
	s_delay_alu instid0(VALU_DEP_1) | instskip(NEXT) | instid1(VALU_DEP_1)
	v_and_b32_e32 v9, 0x7f800000, v8
	v_cmp_ne_u32_e64 s9, 0x7f800000, v9
	s_delay_alu instid0(VALU_DEP_1) | instskip(NEXT) | instid1(SALU_CYCLE_1)
	s_and_saveexec_b32 s22, s9
	s_xor_b32 s9, exec_lo, s22
; %bb.5024:                             ;   in Loop: Header=BB468_3103 Depth=1
	v_bfe_u32 v9, v8, 16, 1
	s_delay_alu instid0(VALU_DEP_1)
	v_add3_u32 v18, v8, v9, 0x7fff
                                        ; implicit-def: $vgpr8
; %bb.5025:                             ;   in Loop: Header=BB468_3103 Depth=1
	s_and_not1_saveexec_b32 s22, s9
; %bb.5026:                             ;   in Loop: Header=BB468_3103 Depth=1
	v_and_b32_e32 v9, 0xffff, v8
	v_or_b32_e32 v12, 0x10000, v8
	s_delay_alu instid0(VALU_DEP_2) | instskip(NEXT) | instid1(VALU_DEP_1)
	v_cmp_eq_u32_e64 s9, 0, v9
	v_cndmask_b32_e64 v18, v12, v8, s9
; %bb.5027:                             ;   in Loop: Header=BB468_3103 Depth=1
	s_or_b32 exec_lo, exec_lo, s22
	v_lshrrev_b32_e32 v19, 16, v7
	s_mov_b32 s22, exec_lo
	s_delay_alu instid0(VALU_DEP_1) | instskip(NEXT) | instid1(VALU_DEP_1)
	v_dual_mov_b32 v8, 0 :: v_dual_and_b32 v9, 0xff, v19
	v_cmpx_ne_u16_e32 0, v9
	s_cbranch_execz .LBB468_5035
; %bb.5028:                             ;   in Loop: Header=BB468_3103 Depth=1
	v_bfrev_b32_e32 v8, 1
	s_mov_b32 s23, exec_lo
	v_cmpx_ne_u16_e32 0x80, v9
	s_cbranch_execz .LBB468_5034
; %bb.5029:                             ;   in Loop: Header=BB468_3103 Depth=1
	v_bfe_u32 v9, v7, 16, 7
	v_mov_b32_e32 v8, 0x7f800001
	s_mov_b32 s24, exec_lo
	s_delay_alu instid0(VALU_DEP_2)
	v_cmpx_ne_u32_e32 0x7f, v9
	s_cbranch_execz .LBB468_5033
; %bb.5030:                             ;   in Loop: Header=BB468_3103 Depth=1
	v_and_b32_e32 v12, 7, v19
	v_lshrrev_b32_e32 v20, 3, v9
	v_cmp_gt_u32_e64 s9, 8, v9
	s_delay_alu instid0(VALU_DEP_3) | instskip(NEXT) | instid1(VALU_DEP_2)
	v_dual_mov_b32 v8, v12 :: v_dual_mov_b32 v9, v13
	s_and_saveexec_b32 s25, s9
; %bb.5031:                             ;   in Loop: Header=BB468_3103 Depth=1
	v_clz_i32_u32_e32 v8, v12
	s_delay_alu instid0(VALU_DEP_1) | instskip(NEXT) | instid1(VALU_DEP_1)
	v_min_u32_e32 v20, 32, v8
	v_subrev_nc_u32_e32 v8, 28, v20
	v_sub_nc_u32_e32 v20, 29, v20
	s_delay_alu instid0(VALU_DEP_2) | instskip(NEXT) | instid1(VALU_DEP_1)
	v_lshlrev_b64 v[8:9], v8, v[12:13]
	v_and_b32_e32 v8, 7, v8
; %bb.5032:                             ;   in Loop: Header=BB468_3103 Depth=1
	s_or_b32 exec_lo, exec_lo, s25
	v_lshlrev_b32_e32 v9, 24, v19
	s_delay_alu instid0(VALU_DEP_2) | instskip(SKIP_1) | instid1(VALU_DEP_3)
	v_lshlrev_b32_e32 v8, 20, v8
	v_lshl_add_u32 v12, v20, 23, 0x3c000000
	v_and_b32_e32 v9, 0x80000000, v9
	s_delay_alu instid0(VALU_DEP_1)
	v_or3_b32 v8, v8, v9, v12
.LBB468_5033:                           ;   in Loop: Header=BB468_3103 Depth=1
	s_or_b32 exec_lo, exec_lo, s24
.LBB468_5034:                           ;   in Loop: Header=BB468_3103 Depth=1
	s_delay_alu instid0(SALU_CYCLE_1)
	s_or_b32 exec_lo, exec_lo, s23
.LBB468_5035:                           ;   in Loop: Header=BB468_3103 Depth=1
	s_delay_alu instid0(SALU_CYCLE_1) | instskip(NEXT) | instid1(VALU_DEP_1)
	s_or_b32 exec_lo, exec_lo, s22
	v_mul_f32_e32 v8, v26, v8
	s_delay_alu instid0(VALU_DEP_1) | instskip(NEXT) | instid1(VALU_DEP_1)
	v_and_b32_e32 v9, 0x7f800000, v8
	v_cmp_ne_u32_e64 s9, 0x7f800000, v9
                                        ; implicit-def: $vgpr9
	s_delay_alu instid0(VALU_DEP_1) | instskip(NEXT) | instid1(SALU_CYCLE_1)
	s_and_saveexec_b32 s22, s9
	s_xor_b32 s9, exec_lo, s22
; %bb.5036:                             ;   in Loop: Header=BB468_3103 Depth=1
	v_bfe_u32 v9, v8, 16, 1
	s_delay_alu instid0(VALU_DEP_1)
	v_add3_u32 v9, v8, v9, 0x7fff
                                        ; implicit-def: $vgpr8
; %bb.5037:                             ;   in Loop: Header=BB468_3103 Depth=1
	s_and_not1_saveexec_b32 s22, s9
; %bb.5038:                             ;   in Loop: Header=BB468_3103 Depth=1
	v_and_b32_e32 v9, 0xffff, v8
	v_or_b32_e32 v12, 0x10000, v8
	s_delay_alu instid0(VALU_DEP_2) | instskip(NEXT) | instid1(VALU_DEP_1)
	v_cmp_eq_u32_e64 s9, 0, v9
	v_cndmask_b32_e64 v9, v12, v8, s9
; %bb.5039:                             ;   in Loop: Header=BB468_3103 Depth=1
	s_or_b32 exec_lo, exec_lo, s22
	v_cmp_lt_u64_e64 s9, s[12:13], v[6:7]
	v_mov_b32_e32 v6, 0
	s_delay_alu instid0(VALU_DEP_2)
	s_and_saveexec_b32 s22, s9
	s_cbranch_execz .LBB468_5047
; %bb.5040:                             ;   in Loop: Header=BB468_3103 Depth=1
	v_lshrrev_b32_e32 v8, 24, v7
	v_bfrev_b32_e32 v6, 1
	s_mov_b32 s23, exec_lo
	s_delay_alu instid0(VALU_DEP_2)
	v_cmpx_ne_u32_e32 0x80, v8
	s_cbranch_execz .LBB468_5046
; %bb.5041:                             ;   in Loop: Header=BB468_3103 Depth=1
	v_bfe_u32 v7, v7, 24, 7
	v_mov_b32_e32 v6, 0x7f800001
	s_mov_b32 s24, exec_lo
	s_delay_alu instid0(VALU_DEP_2)
	v_cmpx_ne_u32_e32 0x7f, v7
	s_cbranch_execz .LBB468_5045
; %bb.5042:                             ;   in Loop: Header=BB468_3103 Depth=1
	v_and_b32_e32 v12, 7, v8
	v_lshrrev_b32_e32 v19, 3, v7
	v_cmp_gt_u32_e64 s9, 8, v7
	s_delay_alu instid0(VALU_DEP_3) | instskip(NEXT) | instid1(VALU_DEP_2)
	v_dual_mov_b32 v6, v12 :: v_dual_mov_b32 v7, v13
	s_and_saveexec_b32 s25, s9
; %bb.5043:                             ;   in Loop: Header=BB468_3103 Depth=1
	v_clz_i32_u32_e32 v6, v12
	s_delay_alu instid0(VALU_DEP_1) | instskip(NEXT) | instid1(VALU_DEP_1)
	v_min_u32_e32 v19, 32, v6
	v_subrev_nc_u32_e32 v6, 28, v19
	v_sub_nc_u32_e32 v19, 29, v19
	s_delay_alu instid0(VALU_DEP_2) | instskip(NEXT) | instid1(VALU_DEP_1)
	v_lshlrev_b64 v[6:7], v6, v[12:13]
	v_and_b32_e32 v6, 7, v6
; %bb.5044:                             ;   in Loop: Header=BB468_3103 Depth=1
	s_or_b32 exec_lo, exec_lo, s25
	v_lshlrev_b32_e32 v7, 24, v8
	s_delay_alu instid0(VALU_DEP_2) | instskip(SKIP_1) | instid1(VALU_DEP_3)
	v_lshlrev_b32_e32 v6, 20, v6
	v_lshl_add_u32 v8, v19, 23, 0x3c000000
	v_and_b32_e32 v7, 0x80000000, v7
	s_delay_alu instid0(VALU_DEP_1)
	v_or3_b32 v6, v6, v7, v8
.LBB468_5045:                           ;   in Loop: Header=BB468_3103 Depth=1
	s_or_b32 exec_lo, exec_lo, s24
.LBB468_5046:                           ;   in Loop: Header=BB468_3103 Depth=1
	s_delay_alu instid0(SALU_CYCLE_1)
	s_or_b32 exec_lo, exec_lo, s23
.LBB468_5047:                           ;   in Loop: Header=BB468_3103 Depth=1
	s_delay_alu instid0(SALU_CYCLE_1) | instskip(NEXT) | instid1(VALU_DEP_1)
	s_or_b32 exec_lo, exec_lo, s22
	v_mul_f32_e32 v6, v26, v6
                                        ; implicit-def: $vgpr19
	s_delay_alu instid0(VALU_DEP_1) | instskip(NEXT) | instid1(VALU_DEP_1)
	v_and_b32_e32 v7, 0x7f800000, v6
	v_cmp_ne_u32_e64 s9, 0x7f800000, v7
	s_delay_alu instid0(VALU_DEP_1) | instskip(NEXT) | instid1(SALU_CYCLE_1)
	s_and_saveexec_b32 s22, s9
	s_xor_b32 s9, exec_lo, s22
; %bb.5048:                             ;   in Loop: Header=BB468_3103 Depth=1
	v_bfe_u32 v7, v6, 16, 1
	s_delay_alu instid0(VALU_DEP_1)
	v_add3_u32 v19, v6, v7, 0x7fff
                                        ; implicit-def: $vgpr6
; %bb.5049:                             ;   in Loop: Header=BB468_3103 Depth=1
	s_and_not1_saveexec_b32 s22, s9
; %bb.5050:                             ;   in Loop: Header=BB468_3103 Depth=1
	v_and_b32_e32 v7, 0xffff, v6
	v_or_b32_e32 v8, 0x10000, v6
	s_delay_alu instid0(VALU_DEP_2) | instskip(NEXT) | instid1(VALU_DEP_1)
	v_cmp_eq_u32_e64 s9, 0, v7
	v_cndmask_b32_e64 v19, v8, v6, s9
; %bb.5051:                             ;   in Loop: Header=BB468_3103 Depth=1
	s_or_b32 exec_lo, exec_lo, s22
	v_lshrrev_b32_e32 v6, 16, v18
	v_lshrrev_b32_e32 v7, 16, v17
	;; [unrolled: 1-line block ×8, first 2 shown]
	s_and_saveexec_b32 s9, s3
; %bb.5052:                             ;   in Loop: Header=BB468_3103 Depth=1
	s_delay_alu instid0(VALU_DEP_3)
	v_cndmask_b32_e32 v12, 0, v12, vcc_lo
	v_cndmask_b32_e64 v11, 0, v11, s1
	v_cndmask_b32_e64 v10, 0, v10, s2
	;; [unrolled: 1-line block ×7, first 2 shown]
; %bb.5053:                             ;   in Loop: Header=BB468_3103 Depth=1
	s_or_b32 exec_lo, exec_lo, s9
	v_lshlrev_b32_e32 v9, 16, v12
	s_delay_alu instid0(VALU_DEP_1) | instskip(NEXT) | instid1(VALU_DEP_1)
	v_mul_f32_e32 v9, v151, v9
	v_and_b32_e32 v12, 0x7f800000, v9
	s_delay_alu instid0(VALU_DEP_1) | instskip(NEXT) | instid1(VALU_DEP_1)
	v_cmp_ne_u32_e64 s9, 0x7f800000, v12
                                        ; implicit-def: $vgpr12
                                        ; kill: killed $vgpr12
	s_and_saveexec_b32 s22, s9
	s_delay_alu instid0(SALU_CYCLE_1)
	s_xor_b32 s9, exec_lo, s22
	s_cbranch_execz .LBB468_5055
; %bb.5054:                             ;   in Loop: Header=BB468_3103 Depth=1
	v_bfe_u32 v12, v9, 16, 1
	s_delay_alu instid0(VALU_DEP_1)
	v_add3_u32 v9, v9, v12, 0x7fff
	scratch_store_b32 off, v9, s32 offset:780 ; 4-byte Folded Spill
                                        ; implicit-def: $vgpr9
.LBB468_5055:                           ;   in Loop: Header=BB468_3103 Depth=1
	s_and_not1_saveexec_b32 s22, s9
	s_cbranch_execz .LBB468_5057
; %bb.5056:                             ;   in Loop: Header=BB468_3103 Depth=1
	v_and_b32_e32 v12, 0xffff, v9
	v_or_b32_e32 v17, 0x10000, v9
	s_delay_alu instid0(VALU_DEP_2) | instskip(NEXT) | instid1(VALU_DEP_1)
	v_cmp_eq_u32_e64 s9, 0, v12
	v_cndmask_b32_e64 v9, v17, v9, s9
	scratch_store_b32 off, v9, s32 offset:780 ; 4-byte Folded Spill
.LBB468_5057:                           ;   in Loop: Header=BB468_3103 Depth=1
	s_or_b32 exec_lo, exec_lo, s22
	v_lshlrev_b32_e32 v9, 16, v11
	s_delay_alu instid0(VALU_DEP_1) | instskip(NEXT) | instid1(VALU_DEP_1)
	v_mul_f32_e32 v9, v160, v9
	v_and_b32_e32 v11, 0x7f800000, v9
	s_delay_alu instid0(VALU_DEP_1) | instskip(NEXT) | instid1(VALU_DEP_1)
	v_cmp_ne_u32_e64 s9, 0x7f800000, v11
                                        ; implicit-def: $vgpr11
                                        ; kill: killed $vgpr11
	s_and_saveexec_b32 s22, s9
	s_delay_alu instid0(SALU_CYCLE_1)
	s_xor_b32 s9, exec_lo, s22
	s_cbranch_execz .LBB468_5059
; %bb.5058:                             ;   in Loop: Header=BB468_3103 Depth=1
	v_bfe_u32 v11, v9, 16, 1
	s_delay_alu instid0(VALU_DEP_1)
	v_add3_u32 v9, v9, v11, 0x7fff
	scratch_store_b32 off, v9, s32 offset:784 ; 4-byte Folded Spill
                                        ; implicit-def: $vgpr9
.LBB468_5059:                           ;   in Loop: Header=BB468_3103 Depth=1
	s_and_not1_saveexec_b32 s22, s9
	s_cbranch_execz .LBB468_5061
; %bb.5060:                             ;   in Loop: Header=BB468_3103 Depth=1
	v_and_b32_e32 v11, 0xffff, v9
	v_or_b32_e32 v12, 0x10000, v9
	s_delay_alu instid0(VALU_DEP_2) | instskip(NEXT) | instid1(VALU_DEP_1)
	v_cmp_eq_u32_e64 s9, 0, v11
	v_cndmask_b32_e64 v9, v12, v9, s9
	scratch_store_b32 off, v9, s32 offset:784 ; 4-byte Folded Spill
.LBB468_5061:                           ;   in Loop: Header=BB468_3103 Depth=1
	s_or_b32 exec_lo, exec_lo, s22
	v_lshlrev_b32_e32 v9, 16, v10
	s_delay_alu instid0(VALU_DEP_1) | instskip(NEXT) | instid1(VALU_DEP_1)
	v_mul_f32_e32 v9, v161, v9
	v_and_b32_e32 v10, 0x7f800000, v9
	s_delay_alu instid0(VALU_DEP_1) | instskip(NEXT) | instid1(VALU_DEP_1)
	v_cmp_ne_u32_e64 s9, 0x7f800000, v10
                                        ; implicit-def: $vgpr10
                                        ; kill: killed $vgpr10
	s_and_saveexec_b32 s22, s9
	s_delay_alu instid0(SALU_CYCLE_1)
	s_xor_b32 s9, exec_lo, s22
	s_cbranch_execz .LBB468_5063
; %bb.5062:                             ;   in Loop: Header=BB468_3103 Depth=1
	v_bfe_u32 v10, v9, 16, 1
	s_delay_alu instid0(VALU_DEP_1)
	v_add3_u32 v9, v9, v10, 0x7fff
	scratch_store_b32 off, v9, s32 offset:788 ; 4-byte Folded Spill
                                        ; implicit-def: $vgpr9
.LBB468_5063:                           ;   in Loop: Header=BB468_3103 Depth=1
	s_and_not1_saveexec_b32 s22, s9
	s_cbranch_execz .LBB468_5065
; %bb.5064:                             ;   in Loop: Header=BB468_3103 Depth=1
	v_and_b32_e32 v10, 0xffff, v9
	v_or_b32_e32 v11, 0x10000, v9
	s_delay_alu instid0(VALU_DEP_2) | instskip(NEXT) | instid1(VALU_DEP_1)
	v_cmp_eq_u32_e64 s9, 0, v10
	v_cndmask_b32_e64 v9, v11, v9, s9
	scratch_store_b32 off, v9, s32 offset:788 ; 4-byte Folded Spill
.LBB468_5065:                           ;   in Loop: Header=BB468_3103 Depth=1
	s_or_b32 exec_lo, exec_lo, s22
	v_lshlrev_b32_e32 v8, 16, v8
	s_delay_alu instid0(VALU_DEP_1) | instskip(NEXT) | instid1(VALU_DEP_1)
	v_mul_f32_e32 v8, v162, v8
	v_and_b32_e32 v9, 0x7f800000, v8
	s_delay_alu instid0(VALU_DEP_1) | instskip(NEXT) | instid1(VALU_DEP_1)
	v_cmp_ne_u32_e64 s9, 0x7f800000, v9
                                        ; implicit-def: $vgpr9
                                        ; kill: killed $vgpr9
	s_and_saveexec_b32 s22, s9
	s_delay_alu instid0(SALU_CYCLE_1)
	s_xor_b32 s9, exec_lo, s22
	s_cbranch_execz .LBB468_5067
; %bb.5066:                             ;   in Loop: Header=BB468_3103 Depth=1
	v_bfe_u32 v9, v8, 16, 1
	s_delay_alu instid0(VALU_DEP_1)
	v_add3_u32 v8, v8, v9, 0x7fff
	scratch_store_b32 off, v8, s32 offset:792 ; 4-byte Folded Spill
                                        ; implicit-def: $vgpr8
.LBB468_5067:                           ;   in Loop: Header=BB468_3103 Depth=1
	s_and_not1_saveexec_b32 s22, s9
	s_cbranch_execz .LBB468_5069
; %bb.5068:                             ;   in Loop: Header=BB468_3103 Depth=1
	v_and_b32_e32 v9, 0xffff, v8
	v_or_b32_e32 v10, 0x10000, v8
	s_delay_alu instid0(VALU_DEP_2) | instskip(NEXT) | instid1(VALU_DEP_1)
	v_cmp_eq_u32_e64 s9, 0, v9
	v_cndmask_b32_e64 v8, v10, v8, s9
	scratch_store_b32 off, v8, s32 offset:792 ; 4-byte Folded Spill
.LBB468_5069:                           ;   in Loop: Header=BB468_3103 Depth=1
	s_or_b32 exec_lo, exec_lo, s22
	v_lshlrev_b32_e32 v7, 16, v7
	s_delay_alu instid0(VALU_DEP_1) | instskip(NEXT) | instid1(VALU_DEP_1)
	v_mul_f32_e32 v7, v163, v7
	v_and_b32_e32 v8, 0x7f800000, v7
	s_delay_alu instid0(VALU_DEP_1) | instskip(NEXT) | instid1(VALU_DEP_1)
	v_cmp_ne_u32_e64 s9, 0x7f800000, v8
                                        ; implicit-def: $vgpr8
                                        ; kill: killed $vgpr8
	s_and_saveexec_b32 s22, s9
	s_delay_alu instid0(SALU_CYCLE_1)
	s_xor_b32 s9, exec_lo, s22
	s_cbranch_execz .LBB468_5071
; %bb.5070:                             ;   in Loop: Header=BB468_3103 Depth=1
	v_bfe_u32 v8, v7, 16, 1
	s_delay_alu instid0(VALU_DEP_1)
	v_add3_u32 v7, v7, v8, 0x7fff
	scratch_store_b32 off, v7, s32 offset:796 ; 4-byte Folded Spill
                                        ; implicit-def: $vgpr7
.LBB468_5071:                           ;   in Loop: Header=BB468_3103 Depth=1
	s_and_not1_saveexec_b32 s22, s9
	s_cbranch_execz .LBB468_5073
; %bb.5072:                             ;   in Loop: Header=BB468_3103 Depth=1
	v_and_b32_e32 v8, 0xffff, v7
	v_or_b32_e32 v9, 0x10000, v7
	s_delay_alu instid0(VALU_DEP_2) | instskip(NEXT) | instid1(VALU_DEP_1)
	v_cmp_eq_u32_e64 s9, 0, v8
	v_cndmask_b32_e64 v7, v9, v7, s9
	scratch_store_b32 off, v7, s32 offset:796 ; 4-byte Folded Spill
.LBB468_5073:                           ;   in Loop: Header=BB468_3103 Depth=1
	s_or_b32 exec_lo, exec_lo, s22
	v_lshlrev_b32_e32 v6, 16, v6
                                        ; implicit-def: $vgpr97
	s_delay_alu instid0(VALU_DEP_1) | instskip(NEXT) | instid1(VALU_DEP_1)
	v_mul_f32_e32 v6, v164, v6
	v_and_b32_e32 v7, 0x7f800000, v6
	s_delay_alu instid0(VALU_DEP_1) | instskip(NEXT) | instid1(VALU_DEP_1)
	v_cmp_ne_u32_e64 s9, 0x7f800000, v7
	s_and_saveexec_b32 s22, s9
	s_delay_alu instid0(SALU_CYCLE_1)
	s_xor_b32 s9, exec_lo, s22
; %bb.5074:                             ;   in Loop: Header=BB468_3103 Depth=1
	v_bfe_u32 v7, v6, 16, 1
	s_delay_alu instid0(VALU_DEP_1)
	v_add3_u32 v97, v6, v7, 0x7fff
                                        ; implicit-def: $vgpr6
; %bb.5075:                             ;   in Loop: Header=BB468_3103 Depth=1
	s_and_not1_saveexec_b32 s22, s9
; %bb.5076:                             ;   in Loop: Header=BB468_3103 Depth=1
	v_and_b32_e32 v7, 0xffff, v6
	v_or_b32_e32 v8, 0x10000, v6
	s_delay_alu instid0(VALU_DEP_2) | instskip(NEXT) | instid1(VALU_DEP_1)
	v_cmp_eq_u32_e64 s9, 0, v7
	v_cndmask_b32_e64 v97, v8, v6, s9
; %bb.5077:                             ;   in Loop: Header=BB468_3103 Depth=1
	s_or_b32 exec_lo, exec_lo, s22
	v_lshlrev_b32_e32 v5, 16, v5
                                        ; implicit-def: $vgpr98
	s_delay_alu instid0(VALU_DEP_1) | instskip(NEXT) | instid1(VALU_DEP_1)
	v_mul_f32_e32 v5, v165, v5
	v_and_b32_e32 v6, 0x7f800000, v5
	s_delay_alu instid0(VALU_DEP_1) | instskip(NEXT) | instid1(VALU_DEP_1)
	v_cmp_ne_u32_e64 s9, 0x7f800000, v6
	s_and_saveexec_b32 s22, s9
	s_delay_alu instid0(SALU_CYCLE_1)
	s_xor_b32 s9, exec_lo, s22
; %bb.5078:                             ;   in Loop: Header=BB468_3103 Depth=1
	v_bfe_u32 v6, v5, 16, 1
	s_delay_alu instid0(VALU_DEP_1)
	v_add3_u32 v98, v5, v6, 0x7fff
                                        ; implicit-def: $vgpr5
; %bb.5079:                             ;   in Loop: Header=BB468_3103 Depth=1
	s_and_not1_saveexec_b32 s22, s9
; %bb.5080:                             ;   in Loop: Header=BB468_3103 Depth=1
	v_and_b32_e32 v6, 0xffff, v5
	v_or_b32_e32 v7, 0x10000, v5
	s_delay_alu instid0(VALU_DEP_2) | instskip(NEXT) | instid1(VALU_DEP_1)
	v_cmp_eq_u32_e64 s9, 0, v6
	v_cndmask_b32_e64 v98, v7, v5, s9
; %bb.5081:                             ;   in Loop: Header=BB468_3103 Depth=1
	s_or_b32 exec_lo, exec_lo, s22
	v_lshlrev_b32_e32 v4, 16, v4
                                        ; implicit-def: $vgpr99
	s_delay_alu instid0(VALU_DEP_1) | instskip(NEXT) | instid1(VALU_DEP_1)
	v_mul_f32_e32 v4, v166, v4
	v_and_b32_e32 v5, 0x7f800000, v4
	s_delay_alu instid0(VALU_DEP_1) | instskip(NEXT) | instid1(VALU_DEP_1)
	v_cmp_ne_u32_e64 s9, 0x7f800000, v5
	s_and_saveexec_b32 s22, s9
	s_delay_alu instid0(SALU_CYCLE_1)
	s_xor_b32 s9, exec_lo, s22
; %bb.5082:                             ;   in Loop: Header=BB468_3103 Depth=1
	v_bfe_u32 v5, v4, 16, 1
	s_delay_alu instid0(VALU_DEP_1)
	v_add3_u32 v99, v4, v5, 0x7fff
                                        ; implicit-def: $vgpr4
; %bb.5083:                             ;   in Loop: Header=BB468_3103 Depth=1
	s_and_not1_saveexec_b32 s22, s9
; %bb.5084:                             ;   in Loop: Header=BB468_3103 Depth=1
	v_and_b32_e32 v5, 0xffff, v4
	v_or_b32_e32 v6, 0x10000, v4
	s_delay_alu instid0(VALU_DEP_2) | instskip(NEXT) | instid1(VALU_DEP_1)
	v_cmp_eq_u32_e64 s9, 0, v5
	v_cndmask_b32_e64 v99, v6, v4, s9
; %bb.5085:                             ;   in Loop: Header=BB468_3103 Depth=1
	s_or_b32 exec_lo, exec_lo, s22
	flat_load_b64 v[2:3], v[2:3] offset:3840
	s_mov_b32 s22, exec_lo
	s_waitcnt vmcnt(0) lgkmcnt(0)
	v_dual_mov_b32 v4, 0 :: v_dual_and_b32 v5, 0xff, v2
	s_delay_alu instid0(VALU_DEP_1)
	v_cmpx_ne_u16_e32 0, v5
	s_cbranch_execz .LBB468_5093
; %bb.5086:                             ;   in Loop: Header=BB468_3103 Depth=1
	v_bfrev_b32_e32 v4, 1
	s_mov_b32 s23, exec_lo
	v_cmpx_ne_u16_e32 0x80, v5
	s_cbranch_execz .LBB468_5092
; %bb.5087:                             ;   in Loop: Header=BB468_3103 Depth=1
	v_and_b32_e32 v5, 0x7f, v2
	v_mov_b32_e32 v4, 0x7f800001
	s_mov_b32 s24, exec_lo
	s_delay_alu instid0(VALU_DEP_2)
	v_cmpx_ne_u32_e32 0x7f, v5
	s_cbranch_execz .LBB468_5091
; %bb.5088:                             ;   in Loop: Header=BB468_3103 Depth=1
	v_lshrrev_b32_e32 v4, 3, v5
	v_dual_mov_b32 v7, v3 :: v_dual_mov_b32 v6, v2
	s_mov_b32 s25, exec_lo
	v_cmpx_gt_u32_e32 8, v5
; %bb.5089:                             ;   in Loop: Header=BB468_3103 Depth=1
	v_and_b32_e32 v4, 7, v2
	s_delay_alu instid0(VALU_DEP_1) | instskip(NEXT) | instid1(VALU_DEP_1)
	v_clz_i32_u32_e32 v4, v4
	v_min_u32_e32 v4, 32, v4
	s_delay_alu instid0(VALU_DEP_1) | instskip(SKIP_1) | instid1(VALU_DEP_2)
	v_subrev_nc_u32_e32 v5, 28, v4
	v_sub_nc_u32_e32 v4, 29, v4
	v_lshlrev_b64 v[6:7], v5, v[2:3]
; %bb.5090:                             ;   in Loop: Header=BB468_3103 Depth=1
	s_or_b32 exec_lo, exec_lo, s25
	s_delay_alu instid0(VALU_DEP_1) | instskip(SKIP_2) | instid1(VALU_DEP_3)
	v_lshlrev_b32_e32 v5, 20, v6
	v_lshlrev_b32_e32 v6, 24, v2
	v_lshl_add_u32 v4, v4, 23, 0x3c000000
	v_and_b32_e32 v5, 0x700000, v5
	s_delay_alu instid0(VALU_DEP_3) | instskip(NEXT) | instid1(VALU_DEP_1)
	v_and_b32_e32 v6, 0x80000000, v6
	v_or3_b32 v4, v5, v6, v4
.LBB468_5091:                           ;   in Loop: Header=BB468_3103 Depth=1
	s_or_b32 exec_lo, exec_lo, s24
.LBB468_5092:                           ;   in Loop: Header=BB468_3103 Depth=1
	s_delay_alu instid0(SALU_CYCLE_1)
	s_or_b32 exec_lo, exec_lo, s23
.LBB468_5093:                           ;   in Loop: Header=BB468_3103 Depth=1
	s_delay_alu instid0(SALU_CYCLE_1) | instskip(NEXT) | instid1(VALU_DEP_1)
	s_or_b32 exec_lo, exec_lo, s22
	v_mul_f32_e32 v5, v26, v4
	s_delay_alu instid0(VALU_DEP_1) | instskip(NEXT) | instid1(VALU_DEP_1)
	v_and_b32_e32 v4, 0x7f800000, v5
	v_cmp_ne_u32_e64 s9, 0x7f800000, v4
                                        ; implicit-def: $vgpr4
	s_delay_alu instid0(VALU_DEP_1) | instskip(NEXT) | instid1(SALU_CYCLE_1)
	s_and_saveexec_b32 s22, s9
	s_xor_b32 s9, exec_lo, s22
; %bb.5094:                             ;   in Loop: Header=BB468_3103 Depth=1
	v_bfe_u32 v4, v5, 16, 1
	s_delay_alu instid0(VALU_DEP_1)
	v_add3_u32 v4, v5, v4, 0x7fff
                                        ; implicit-def: $vgpr5
; %bb.5095:                             ;   in Loop: Header=BB468_3103 Depth=1
	s_and_not1_saveexec_b32 s22, s9
; %bb.5096:                             ;   in Loop: Header=BB468_3103 Depth=1
	v_and_b32_e32 v4, 0xffff, v5
	v_or_b32_e32 v6, 0x10000, v5
	s_delay_alu instid0(VALU_DEP_2) | instskip(NEXT) | instid1(VALU_DEP_1)
	v_cmp_eq_u32_e64 s9, 0, v4
	v_cndmask_b32_e64 v4, v6, v5, s9
; %bb.5097:                             ;   in Loop: Header=BB468_3103 Depth=1
	s_or_b32 exec_lo, exec_lo, s22
	v_lshrrev_b16 v6, 8, v2
	v_mov_b32_e32 v5, 0
	s_mov_b32 s22, exec_lo
	s_delay_alu instid0(VALU_DEP_2)
	v_cmpx_ne_u16_e32 0, v6
	s_cbranch_execz .LBB468_5105
; %bb.5098:                             ;   in Loop: Header=BB468_3103 Depth=1
	v_bfrev_b32_e32 v5, 1
	s_mov_b32 s23, exec_lo
	v_cmpx_ne_u16_e32 0x80, v6
	s_cbranch_execz .LBB468_5104
; %bb.5099:                             ;   in Loop: Header=BB468_3103 Depth=1
	v_and_b32_e32 v6, 0xffff, v6
	v_mov_b32_e32 v5, 0x7f800001
	s_mov_b32 s24, exec_lo
	s_delay_alu instid0(VALU_DEP_2) | instskip(NEXT) | instid1(VALU_DEP_1)
	v_and_b32_e32 v8, 0x7f, v6
	v_cmpx_ne_u32_e32 0x7f, v8
	s_cbranch_execz .LBB468_5103
; %bb.5100:                             ;   in Loop: Header=BB468_3103 Depth=1
	v_and_b32_e32 v12, 7, v6
	v_lshrrev_b32_e32 v5, 3, v8
	s_mov_b32 s25, exec_lo
	s_delay_alu instid0(VALU_DEP_2)
	v_dual_mov_b32 v6, v12 :: v_dual_mov_b32 v7, v13
	v_cmpx_gt_u32_e32 8, v8
; %bb.5101:                             ;   in Loop: Header=BB468_3103 Depth=1
	v_clz_i32_u32_e32 v5, v12
	s_delay_alu instid0(VALU_DEP_1) | instskip(NEXT) | instid1(VALU_DEP_1)
	v_min_u32_e32 v5, 32, v5
	v_subrev_nc_u32_e32 v6, 28, v5
	v_sub_nc_u32_e32 v5, 29, v5
	s_delay_alu instid0(VALU_DEP_2) | instskip(NEXT) | instid1(VALU_DEP_1)
	v_lshlrev_b64 v[6:7], v6, v[12:13]
	v_and_b32_e32 v6, 7, v6
; %bb.5102:                             ;   in Loop: Header=BB468_3103 Depth=1
	s_or_b32 exec_lo, exec_lo, s25
	v_lshlrev_b32_e32 v7, 16, v2
	s_delay_alu instid0(VALU_DEP_2) | instskip(SKIP_1) | instid1(VALU_DEP_3)
	v_lshlrev_b32_e32 v6, 20, v6
	v_lshl_add_u32 v5, v5, 23, 0x3c000000
	v_and_b32_e32 v7, 0x80000000, v7
	s_delay_alu instid0(VALU_DEP_1)
	v_or3_b32 v5, v6, v7, v5
.LBB468_5103:                           ;   in Loop: Header=BB468_3103 Depth=1
	s_or_b32 exec_lo, exec_lo, s24
.LBB468_5104:                           ;   in Loop: Header=BB468_3103 Depth=1
	s_delay_alu instid0(SALU_CYCLE_1)
	s_or_b32 exec_lo, exec_lo, s23
.LBB468_5105:                           ;   in Loop: Header=BB468_3103 Depth=1
	s_delay_alu instid0(SALU_CYCLE_1) | instskip(NEXT) | instid1(VALU_DEP_1)
	s_or_b32 exec_lo, exec_lo, s22
	v_mul_f32_e32 v6, v26, v5
	s_delay_alu instid0(VALU_DEP_1) | instskip(NEXT) | instid1(VALU_DEP_1)
	v_and_b32_e32 v5, 0x7f800000, v6
	v_cmp_ne_u32_e64 s9, 0x7f800000, v5
                                        ; implicit-def: $vgpr5
	s_delay_alu instid0(VALU_DEP_1) | instskip(NEXT) | instid1(SALU_CYCLE_1)
	s_and_saveexec_b32 s22, s9
	s_xor_b32 s9, exec_lo, s22
; %bb.5106:                             ;   in Loop: Header=BB468_3103 Depth=1
	v_bfe_u32 v5, v6, 16, 1
	s_delay_alu instid0(VALU_DEP_1)
	v_add3_u32 v5, v6, v5, 0x7fff
                                        ; implicit-def: $vgpr6
; %bb.5107:                             ;   in Loop: Header=BB468_3103 Depth=1
	s_and_not1_saveexec_b32 s22, s9
; %bb.5108:                             ;   in Loop: Header=BB468_3103 Depth=1
	v_and_b32_e32 v5, 0xffff, v6
	v_or_b32_e32 v7, 0x10000, v6
	s_delay_alu instid0(VALU_DEP_2) | instskip(NEXT) | instid1(VALU_DEP_1)
	v_cmp_eq_u32_e64 s9, 0, v5
	v_cndmask_b32_e64 v5, v7, v6, s9
; %bb.5109:                             ;   in Loop: Header=BB468_3103 Depth=1
	s_or_b32 exec_lo, exec_lo, s22
	v_lshrrev_b32_e32 v8, 16, v2
	s_mov_b32 s22, exec_lo
	s_delay_alu instid0(VALU_DEP_1) | instskip(NEXT) | instid1(VALU_DEP_1)
	v_dual_mov_b32 v6, 0 :: v_dual_and_b32 v7, 0xff, v8
	v_cmpx_ne_u16_e32 0, v7
	s_cbranch_execz .LBB468_5117
; %bb.5110:                             ;   in Loop: Header=BB468_3103 Depth=1
	v_bfrev_b32_e32 v6, 1
	s_mov_b32 s23, exec_lo
	v_cmpx_ne_u16_e32 0x80, v7
	s_cbranch_execz .LBB468_5116
; %bb.5111:                             ;   in Loop: Header=BB468_3103 Depth=1
	v_bfe_u32 v9, v2, 16, 7
	v_mov_b32_e32 v6, 0x7f800001
	s_mov_b32 s24, exec_lo
	s_delay_alu instid0(VALU_DEP_2)
	v_cmpx_ne_u32_e32 0x7f, v9
	s_cbranch_execz .LBB468_5115
; %bb.5112:                             ;   in Loop: Header=BB468_3103 Depth=1
	v_and_b32_e32 v12, 7, v8
	s_mov_b32 s25, exec_lo
	s_delay_alu instid0(VALU_DEP_1)
	v_dual_mov_b32 v6, v12 :: v_dual_mov_b32 v7, v13
	v_lshrrev_b32_e32 v7, 3, v9
	v_cmpx_gt_u32_e32 8, v9
; %bb.5113:                             ;   in Loop: Header=BB468_3103 Depth=1
	v_clz_i32_u32_e32 v6, v12
	s_delay_alu instid0(VALU_DEP_1) | instskip(NEXT) | instid1(VALU_DEP_1)
	v_min_u32_e32 v9, 32, v6
	v_subrev_nc_u32_e32 v6, 28, v9
	s_delay_alu instid0(VALU_DEP_1) | instskip(SKIP_1) | instid1(VALU_DEP_2)
	v_lshlrev_b64 v[6:7], v6, v[12:13]
	v_sub_nc_u32_e32 v7, 29, v9
	v_and_b32_e32 v6, 7, v6
; %bb.5114:                             ;   in Loop: Header=BB468_3103 Depth=1
	s_or_b32 exec_lo, exec_lo, s25
	v_lshlrev_b32_e32 v8, 24, v8
	s_delay_alu instid0(VALU_DEP_2) | instskip(SKIP_1) | instid1(VALU_DEP_3)
	v_lshlrev_b32_e32 v6, 20, v6
	v_lshl_add_u32 v7, v7, 23, 0x3c000000
	v_and_b32_e32 v8, 0x80000000, v8
	s_delay_alu instid0(VALU_DEP_1)
	v_or3_b32 v6, v6, v8, v7
.LBB468_5115:                           ;   in Loop: Header=BB468_3103 Depth=1
	s_or_b32 exec_lo, exec_lo, s24
.LBB468_5116:                           ;   in Loop: Header=BB468_3103 Depth=1
	s_delay_alu instid0(SALU_CYCLE_1)
	s_or_b32 exec_lo, exec_lo, s23
.LBB468_5117:                           ;   in Loop: Header=BB468_3103 Depth=1
	s_delay_alu instid0(SALU_CYCLE_1) | instskip(NEXT) | instid1(VALU_DEP_1)
	s_or_b32 exec_lo, exec_lo, s22
	v_mul_f32_e32 v6, v26, v6
                                        ; implicit-def: $vgpr10
	s_delay_alu instid0(VALU_DEP_1) | instskip(NEXT) | instid1(VALU_DEP_1)
	v_and_b32_e32 v7, 0x7f800000, v6
	v_cmp_ne_u32_e64 s9, 0x7f800000, v7
	s_delay_alu instid0(VALU_DEP_1) | instskip(NEXT) | instid1(SALU_CYCLE_1)
	s_and_saveexec_b32 s22, s9
	s_xor_b32 s9, exec_lo, s22
; %bb.5118:                             ;   in Loop: Header=BB468_3103 Depth=1
	v_bfe_u32 v7, v6, 16, 1
	s_delay_alu instid0(VALU_DEP_1)
	v_add3_u32 v10, v6, v7, 0x7fff
                                        ; implicit-def: $vgpr6
; %bb.5119:                             ;   in Loop: Header=BB468_3103 Depth=1
	s_and_not1_saveexec_b32 s22, s9
; %bb.5120:                             ;   in Loop: Header=BB468_3103 Depth=1
	v_and_b32_e32 v7, 0xffff, v6
	v_or_b32_e32 v8, 0x10000, v6
	s_delay_alu instid0(VALU_DEP_2) | instskip(NEXT) | instid1(VALU_DEP_1)
	v_cmp_eq_u32_e64 s9, 0, v7
	v_cndmask_b32_e64 v10, v8, v6, s9
; %bb.5121:                             ;   in Loop: Header=BB468_3103 Depth=1
	s_or_b32 exec_lo, exec_lo, s22
	v_mov_b32_e32 v6, 0
	s_mov_b32 s22, exec_lo
	v_cmpx_lt_u32_e32 0xffffff, v2
	s_cbranch_execz .LBB468_5129
; %bb.5122:                             ;   in Loop: Header=BB468_3103 Depth=1
	v_lshrrev_b32_e32 v8, 24, v2
	v_bfrev_b32_e32 v6, 1
	s_mov_b32 s23, exec_lo
	s_delay_alu instid0(VALU_DEP_2)
	v_cmpx_ne_u32_e32 0x80, v8
	s_cbranch_execz .LBB468_5128
; %bb.5123:                             ;   in Loop: Header=BB468_3103 Depth=1
	v_bfe_u32 v9, v2, 24, 7
	v_mov_b32_e32 v6, 0x7f800001
	s_mov_b32 s24, exec_lo
	s_delay_alu instid0(VALU_DEP_2)
	v_cmpx_ne_u32_e32 0x7f, v9
	s_cbranch_execz .LBB468_5127
; %bb.5124:                             ;   in Loop: Header=BB468_3103 Depth=1
	v_and_b32_e32 v12, 7, v8
	s_mov_b32 s25, exec_lo
	s_delay_alu instid0(VALU_DEP_1)
	v_dual_mov_b32 v6, v12 :: v_dual_mov_b32 v7, v13
	v_lshrrev_b32_e32 v7, 3, v9
	v_cmpx_gt_u32_e32 8, v9
; %bb.5125:                             ;   in Loop: Header=BB468_3103 Depth=1
	v_clz_i32_u32_e32 v6, v12
	s_delay_alu instid0(VALU_DEP_1) | instskip(NEXT) | instid1(VALU_DEP_1)
	v_min_u32_e32 v9, 32, v6
	v_subrev_nc_u32_e32 v6, 28, v9
	s_delay_alu instid0(VALU_DEP_1) | instskip(SKIP_1) | instid1(VALU_DEP_2)
	v_lshlrev_b64 v[6:7], v6, v[12:13]
	v_sub_nc_u32_e32 v7, 29, v9
	v_and_b32_e32 v6, 7, v6
; %bb.5126:                             ;   in Loop: Header=BB468_3103 Depth=1
	s_or_b32 exec_lo, exec_lo, s25
	v_lshlrev_b32_e32 v8, 24, v8
	s_delay_alu instid0(VALU_DEP_2) | instskip(SKIP_1) | instid1(VALU_DEP_3)
	v_lshlrev_b32_e32 v6, 20, v6
	v_lshl_add_u32 v7, v7, 23, 0x3c000000
	v_and_b32_e32 v8, 0x80000000, v8
	s_delay_alu instid0(VALU_DEP_1)
	v_or3_b32 v6, v6, v8, v7
.LBB468_5127:                           ;   in Loop: Header=BB468_3103 Depth=1
	s_or_b32 exec_lo, exec_lo, s24
.LBB468_5128:                           ;   in Loop: Header=BB468_3103 Depth=1
	s_delay_alu instid0(SALU_CYCLE_1)
	s_or_b32 exec_lo, exec_lo, s23
.LBB468_5129:                           ;   in Loop: Header=BB468_3103 Depth=1
	s_delay_alu instid0(SALU_CYCLE_1) | instskip(NEXT) | instid1(VALU_DEP_1)
	s_or_b32 exec_lo, exec_lo, s22
	v_mul_f32_e32 v6, v26, v6
                                        ; implicit-def: $vgpr11
	s_delay_alu instid0(VALU_DEP_1) | instskip(NEXT) | instid1(VALU_DEP_1)
	v_and_b32_e32 v7, 0x7f800000, v6
	v_cmp_ne_u32_e64 s9, 0x7f800000, v7
	s_delay_alu instid0(VALU_DEP_1) | instskip(NEXT) | instid1(SALU_CYCLE_1)
	s_and_saveexec_b32 s22, s9
	s_xor_b32 s9, exec_lo, s22
; %bb.5130:                             ;   in Loop: Header=BB468_3103 Depth=1
	v_bfe_u32 v7, v6, 16, 1
	s_delay_alu instid0(VALU_DEP_1)
	v_add3_u32 v11, v6, v7, 0x7fff
                                        ; implicit-def: $vgpr6
; %bb.5131:                             ;   in Loop: Header=BB468_3103 Depth=1
	s_and_not1_saveexec_b32 s22, s9
; %bb.5132:                             ;   in Loop: Header=BB468_3103 Depth=1
	v_and_b32_e32 v7, 0xffff, v6
	v_or_b32_e32 v8, 0x10000, v6
	s_delay_alu instid0(VALU_DEP_2) | instskip(NEXT) | instid1(VALU_DEP_1)
	v_cmp_eq_u32_e64 s9, 0, v7
	v_cndmask_b32_e64 v11, v8, v6, s9
; %bb.5133:                             ;   in Loop: Header=BB468_3103 Depth=1
	s_or_b32 exec_lo, exec_lo, s22
	v_dual_mov_b32 v12, v3 :: v_dual_and_b32 v7, 0xff, v3
	v_mov_b32_e32 v6, 0
	s_mov_b32 s22, exec_lo
	s_delay_alu instid0(VALU_DEP_2)
	v_cmpx_ne_u16_e32 0, v7
	s_cbranch_execz .LBB468_5141
; %bb.5134:                             ;   in Loop: Header=BB468_3103 Depth=1
	v_bfrev_b32_e32 v6, 1
	s_mov_b32 s23, exec_lo
	v_cmpx_ne_u16_e32 0x80, v7
	s_cbranch_execz .LBB468_5140
; %bb.5135:                             ;   in Loop: Header=BB468_3103 Depth=1
	v_and_b32_e32 v8, 0x7f, v3
	v_mov_b32_e32 v6, 0x7f800001
	s_mov_b32 s24, exec_lo
	s_delay_alu instid0(VALU_DEP_2)
	v_cmpx_ne_u32_e32 0x7f, v8
	s_cbranch_execz .LBB468_5139
; %bb.5136:                             ;   in Loop: Header=BB468_3103 Depth=1
	v_dual_mov_b32 v6, v12 :: v_dual_mov_b32 v7, v13
	v_lshrrev_b32_e32 v7, 3, v8
	s_mov_b32 s25, exec_lo
	v_cmpx_gt_u32_e32 8, v8
; %bb.5137:                             ;   in Loop: Header=BB468_3103 Depth=1
	v_and_b32_e32 v6, 7, v3
	s_delay_alu instid0(VALU_DEP_1) | instskip(NEXT) | instid1(VALU_DEP_1)
	v_clz_i32_u32_e32 v6, v6
	v_min_u32_e32 v8, 32, v6
	s_delay_alu instid0(VALU_DEP_1) | instskip(NEXT) | instid1(VALU_DEP_1)
	v_subrev_nc_u32_e32 v6, 28, v8
	v_lshlrev_b64 v[6:7], v6, v[12:13]
	v_sub_nc_u32_e32 v7, 29, v8
; %bb.5138:                             ;   in Loop: Header=BB468_3103 Depth=1
	s_or_b32 exec_lo, exec_lo, s25
	s_delay_alu instid0(VALU_DEP_2) | instskip(SKIP_1) | instid1(VALU_DEP_3)
	v_lshlrev_b32_e32 v6, 20, v6
	v_lshlrev_b32_e32 v8, 24, v12
	v_lshl_add_u32 v7, v7, 23, 0x3c000000
	s_delay_alu instid0(VALU_DEP_3) | instskip(NEXT) | instid1(VALU_DEP_3)
	v_and_b32_e32 v6, 0x700000, v6
	v_and_b32_e32 v8, 0x80000000, v8
	s_delay_alu instid0(VALU_DEP_1)
	v_or3_b32 v6, v6, v8, v7
.LBB468_5139:                           ;   in Loop: Header=BB468_3103 Depth=1
	s_or_b32 exec_lo, exec_lo, s24
.LBB468_5140:                           ;   in Loop: Header=BB468_3103 Depth=1
	s_delay_alu instid0(SALU_CYCLE_1)
	s_or_b32 exec_lo, exec_lo, s23
.LBB468_5141:                           ;   in Loop: Header=BB468_3103 Depth=1
	s_delay_alu instid0(SALU_CYCLE_1) | instskip(NEXT) | instid1(VALU_DEP_1)
	s_or_b32 exec_lo, exec_lo, s22
	v_mul_f32_e32 v6, v26, v6
                                        ; implicit-def: $vgpr8
	s_delay_alu instid0(VALU_DEP_1) | instskip(NEXT) | instid1(VALU_DEP_1)
	v_and_b32_e32 v7, 0x7f800000, v6
	v_cmp_ne_u32_e64 s9, 0x7f800000, v7
	s_delay_alu instid0(VALU_DEP_1) | instskip(NEXT) | instid1(SALU_CYCLE_1)
	s_and_saveexec_b32 s22, s9
	s_xor_b32 s9, exec_lo, s22
; %bb.5142:                             ;   in Loop: Header=BB468_3103 Depth=1
	v_bfe_u32 v7, v6, 16, 1
	s_delay_alu instid0(VALU_DEP_1)
	v_add3_u32 v8, v6, v7, 0x7fff
                                        ; implicit-def: $vgpr6
; %bb.5143:                             ;   in Loop: Header=BB468_3103 Depth=1
	s_and_not1_saveexec_b32 s22, s9
; %bb.5144:                             ;   in Loop: Header=BB468_3103 Depth=1
	v_and_b32_e32 v7, 0xffff, v6
	v_or_b32_e32 v8, 0x10000, v6
	s_delay_alu instid0(VALU_DEP_2) | instskip(NEXT) | instid1(VALU_DEP_1)
	v_cmp_eq_u32_e64 s9, 0, v7
	v_cndmask_b32_e64 v8, v8, v6, s9
; %bb.5145:                             ;   in Loop: Header=BB468_3103 Depth=1
	s_or_b32 exec_lo, exec_lo, s22
	v_lshrrev_b16 v7, 8, v12
	v_mov_b32_e32 v6, 0
	s_mov_b32 s22, exec_lo
	s_delay_alu instid0(VALU_DEP_2)
	v_cmpx_ne_u16_e32 0, v7
	s_cbranch_execz .LBB468_5153
; %bb.5146:                             ;   in Loop: Header=BB468_3103 Depth=1
	v_bfrev_b32_e32 v6, 1
	s_mov_b32 s23, exec_lo
	v_cmpx_ne_u16_e32 0x80, v7
	s_cbranch_execz .LBB468_5152
; %bb.5147:                             ;   in Loop: Header=BB468_3103 Depth=1
	v_and_b32_e32 v7, 0xffff, v7
	v_mov_b32_e32 v6, 0x7f800001
	s_mov_b32 s24, exec_lo
	s_delay_alu instid0(VALU_DEP_2) | instskip(NEXT) | instid1(VALU_DEP_1)
	v_and_b32_e32 v17, 0x7f, v7
	v_cmpx_ne_u32_e32 0x7f, v17
	s_cbranch_execz .LBB468_5151
; %bb.5148:                             ;   in Loop: Header=BB468_3103 Depth=1
	v_dual_mov_b32 v7, v13 :: v_dual_and_b32 v6, 7, v7
	v_lshrrev_b32_e32 v9, 3, v17
	s_mov_b32 s25, exec_lo
	v_cmpx_gt_u32_e32 8, v17
; %bb.5149:                             ;   in Loop: Header=BB468_3103 Depth=1
	s_delay_alu instid0(VALU_DEP_3) | instskip(NEXT) | instid1(VALU_DEP_1)
	v_clz_i32_u32_e32 v9, v6
	v_min_u32_e32 v9, 32, v9
	s_delay_alu instid0(VALU_DEP_1) | instskip(SKIP_1) | instid1(VALU_DEP_2)
	v_subrev_nc_u32_e32 v17, 28, v9
	v_sub_nc_u32_e32 v9, 29, v9
	v_lshlrev_b64 v[6:7], v17, v[6:7]
	s_delay_alu instid0(VALU_DEP_1)
	v_and_b32_e32 v6, 7, v6
; %bb.5150:                             ;   in Loop: Header=BB468_3103 Depth=1
	s_or_b32 exec_lo, exec_lo, s25
	v_lshlrev_b32_e32 v7, 16, v12
	s_delay_alu instid0(VALU_DEP_2) | instskip(SKIP_1) | instid1(VALU_DEP_3)
	v_lshlrev_b32_e32 v6, 20, v6
	v_lshl_add_u32 v9, v9, 23, 0x3c000000
	v_and_b32_e32 v7, 0x80000000, v7
	s_delay_alu instid0(VALU_DEP_1)
	v_or3_b32 v6, v6, v7, v9
.LBB468_5151:                           ;   in Loop: Header=BB468_3103 Depth=1
	s_or_b32 exec_lo, exec_lo, s24
.LBB468_5152:                           ;   in Loop: Header=BB468_3103 Depth=1
	s_delay_alu instid0(SALU_CYCLE_1)
	s_or_b32 exec_lo, exec_lo, s23
.LBB468_5153:                           ;   in Loop: Header=BB468_3103 Depth=1
	s_delay_alu instid0(SALU_CYCLE_1) | instskip(NEXT) | instid1(VALU_DEP_1)
	s_or_b32 exec_lo, exec_lo, s22
	v_mul_f32_e32 v6, v26, v6
                                        ; implicit-def: $vgpr9
	s_delay_alu instid0(VALU_DEP_1) | instskip(NEXT) | instid1(VALU_DEP_1)
	v_and_b32_e32 v7, 0x7f800000, v6
	v_cmp_ne_u32_e64 s9, 0x7f800000, v7
	s_delay_alu instid0(VALU_DEP_1) | instskip(NEXT) | instid1(SALU_CYCLE_1)
	s_and_saveexec_b32 s22, s9
	s_xor_b32 s9, exec_lo, s22
; %bb.5154:                             ;   in Loop: Header=BB468_3103 Depth=1
	v_bfe_u32 v7, v6, 16, 1
	s_delay_alu instid0(VALU_DEP_1)
	v_add3_u32 v9, v6, v7, 0x7fff
                                        ; implicit-def: $vgpr6
; %bb.5155:                             ;   in Loop: Header=BB468_3103 Depth=1
	s_and_not1_saveexec_b32 s22, s9
; %bb.5156:                             ;   in Loop: Header=BB468_3103 Depth=1
	v_and_b32_e32 v7, 0xffff, v6
	v_or_b32_e32 v9, 0x10000, v6
	s_delay_alu instid0(VALU_DEP_2) | instskip(NEXT) | instid1(VALU_DEP_1)
	v_cmp_eq_u32_e64 s9, 0, v7
	v_cndmask_b32_e64 v9, v9, v6, s9
; %bb.5157:                             ;   in Loop: Header=BB468_3103 Depth=1
	s_or_b32 exec_lo, exec_lo, s22
	v_lshrrev_b32_e32 v17, 16, v3
	s_mov_b32 s22, exec_lo
	s_delay_alu instid0(VALU_DEP_1) | instskip(NEXT) | instid1(VALU_DEP_1)
	v_dual_mov_b32 v6, 0 :: v_dual_and_b32 v7, 0xff, v17
	v_cmpx_ne_u16_e32 0, v7
	s_cbranch_execz .LBB468_5165
; %bb.5158:                             ;   in Loop: Header=BB468_3103 Depth=1
	v_bfrev_b32_e32 v6, 1
	s_mov_b32 s23, exec_lo
	v_cmpx_ne_u16_e32 0x80, v7
	s_cbranch_execz .LBB468_5164
; %bb.5159:                             ;   in Loop: Header=BB468_3103 Depth=1
	v_bfe_u32 v18, v3, 16, 7
	v_mov_b32_e32 v6, 0x7f800001
	s_mov_b32 s24, exec_lo
	s_delay_alu instid0(VALU_DEP_2)
	v_cmpx_ne_u32_e32 0x7f, v18
	s_cbranch_execz .LBB468_5163
; %bb.5160:                             ;   in Loop: Header=BB468_3103 Depth=1
	v_and_b32_e32 v12, 7, v17
	s_mov_b32 s25, exec_lo
	s_delay_alu instid0(VALU_DEP_1)
	v_dual_mov_b32 v6, v12 :: v_dual_mov_b32 v7, v13
	v_lshrrev_b32_e32 v7, 3, v18
	v_cmpx_gt_u32_e32 8, v18
; %bb.5161:                             ;   in Loop: Header=BB468_3103 Depth=1
	v_clz_i32_u32_e32 v6, v12
	s_delay_alu instid0(VALU_DEP_1) | instskip(NEXT) | instid1(VALU_DEP_1)
	v_min_u32_e32 v18, 32, v6
	v_subrev_nc_u32_e32 v6, 28, v18
	s_delay_alu instid0(VALU_DEP_1) | instskip(SKIP_1) | instid1(VALU_DEP_2)
	v_lshlrev_b64 v[6:7], v6, v[12:13]
	v_sub_nc_u32_e32 v7, 29, v18
	v_and_b32_e32 v6, 7, v6
; %bb.5162:                             ;   in Loop: Header=BB468_3103 Depth=1
	s_or_b32 exec_lo, exec_lo, s25
	v_lshlrev_b32_e32 v12, 24, v17
	s_delay_alu instid0(VALU_DEP_2) | instskip(SKIP_1) | instid1(VALU_DEP_3)
	v_lshlrev_b32_e32 v6, 20, v6
	v_lshl_add_u32 v7, v7, 23, 0x3c000000
	v_and_b32_e32 v12, 0x80000000, v12
	s_delay_alu instid0(VALU_DEP_1)
	v_or3_b32 v6, v6, v12, v7
.LBB468_5163:                           ;   in Loop: Header=BB468_3103 Depth=1
	s_or_b32 exec_lo, exec_lo, s24
.LBB468_5164:                           ;   in Loop: Header=BB468_3103 Depth=1
	s_delay_alu instid0(SALU_CYCLE_1)
	s_or_b32 exec_lo, exec_lo, s23
.LBB468_5165:                           ;   in Loop: Header=BB468_3103 Depth=1
	s_delay_alu instid0(SALU_CYCLE_1) | instskip(NEXT) | instid1(VALU_DEP_1)
	s_or_b32 exec_lo, exec_lo, s22
	v_mul_f32_e32 v6, v26, v6
                                        ; implicit-def: $vgpr17
	s_delay_alu instid0(VALU_DEP_1) | instskip(NEXT) | instid1(VALU_DEP_1)
	v_and_b32_e32 v7, 0x7f800000, v6
	v_cmp_ne_u32_e64 s9, 0x7f800000, v7
	s_delay_alu instid0(VALU_DEP_1) | instskip(NEXT) | instid1(SALU_CYCLE_1)
	s_and_saveexec_b32 s22, s9
	s_xor_b32 s9, exec_lo, s22
; %bb.5166:                             ;   in Loop: Header=BB468_3103 Depth=1
	v_bfe_u32 v7, v6, 16, 1
	s_delay_alu instid0(VALU_DEP_1)
	v_add3_u32 v17, v6, v7, 0x7fff
                                        ; implicit-def: $vgpr6
; %bb.5167:                             ;   in Loop: Header=BB468_3103 Depth=1
	s_and_not1_saveexec_b32 s22, s9
; %bb.5168:                             ;   in Loop: Header=BB468_3103 Depth=1
	v_and_b32_e32 v7, 0xffff, v6
	v_or_b32_e32 v12, 0x10000, v6
	s_delay_alu instid0(VALU_DEP_2) | instskip(NEXT) | instid1(VALU_DEP_1)
	v_cmp_eq_u32_e64 s9, 0, v7
	v_cndmask_b32_e64 v17, v12, v6, s9
; %bb.5169:                             ;   in Loop: Header=BB468_3103 Depth=1
	s_or_b32 exec_lo, exec_lo, s22
	v_cmp_lt_u64_e64 s9, s[12:13], v[2:3]
	v_mov_b32_e32 v2, 0
	s_delay_alu instid0(VALU_DEP_2)
	s_and_saveexec_b32 s22, s9
	s_cbranch_execz .LBB468_5177
; %bb.5170:                             ;   in Loop: Header=BB468_3103 Depth=1
	v_lshrrev_b32_e32 v6, 24, v3
	v_bfrev_b32_e32 v2, 1
	s_mov_b32 s23, exec_lo
	s_delay_alu instid0(VALU_DEP_2)
	v_cmpx_ne_u32_e32 0x80, v6
	s_cbranch_execz .LBB468_5176
; %bb.5171:                             ;   in Loop: Header=BB468_3103 Depth=1
	v_bfe_u32 v7, v3, 24, 7
	v_mov_b32_e32 v2, 0x7f800001
	s_mov_b32 s24, exec_lo
	s_delay_alu instid0(VALU_DEP_2)
	v_cmpx_ne_u32_e32 0x7f, v7
	s_cbranch_execz .LBB468_5175
; %bb.5172:                             ;   in Loop: Header=BB468_3103 Depth=1
	v_and_b32_e32 v12, 7, v6
	s_mov_b32 s25, exec_lo
	s_delay_alu instid0(VALU_DEP_1)
	v_dual_mov_b32 v2, v12 :: v_dual_mov_b32 v3, v13
	v_lshrrev_b32_e32 v3, 3, v7
	v_cmpx_gt_u32_e32 8, v7
; %bb.5173:                             ;   in Loop: Header=BB468_3103 Depth=1
	v_clz_i32_u32_e32 v2, v12
	s_delay_alu instid0(VALU_DEP_1) | instskip(NEXT) | instid1(VALU_DEP_1)
	v_min_u32_e32 v7, 32, v2
	v_subrev_nc_u32_e32 v2, 28, v7
	s_delay_alu instid0(VALU_DEP_1) | instskip(SKIP_1) | instid1(VALU_DEP_2)
	v_lshlrev_b64 v[2:3], v2, v[12:13]
	v_sub_nc_u32_e32 v3, 29, v7
	v_and_b32_e32 v2, 7, v2
; %bb.5174:                             ;   in Loop: Header=BB468_3103 Depth=1
	s_or_b32 exec_lo, exec_lo, s25
	v_lshlrev_b32_e32 v6, 24, v6
	s_delay_alu instid0(VALU_DEP_2) | instskip(SKIP_1) | instid1(VALU_DEP_3)
	v_lshlrev_b32_e32 v2, 20, v2
	v_lshl_add_u32 v3, v3, 23, 0x3c000000
	v_and_b32_e32 v6, 0x80000000, v6
	s_delay_alu instid0(VALU_DEP_1)
	v_or3_b32 v2, v2, v6, v3
.LBB468_5175:                           ;   in Loop: Header=BB468_3103 Depth=1
	s_or_b32 exec_lo, exec_lo, s24
.LBB468_5176:                           ;   in Loop: Header=BB468_3103 Depth=1
	s_delay_alu instid0(SALU_CYCLE_1)
	s_or_b32 exec_lo, exec_lo, s23
.LBB468_5177:                           ;   in Loop: Header=BB468_3103 Depth=1
	s_delay_alu instid0(SALU_CYCLE_1) | instskip(NEXT) | instid1(VALU_DEP_1)
	s_or_b32 exec_lo, exec_lo, s22
	v_mul_f32_e32 v3, v26, v2
	s_delay_alu instid0(VALU_DEP_1) | instskip(NEXT) | instid1(VALU_DEP_1)
	v_and_b32_e32 v2, 0x7f800000, v3
	v_cmp_ne_u32_e64 s9, 0x7f800000, v2
                                        ; implicit-def: $vgpr2
	s_delay_alu instid0(VALU_DEP_1) | instskip(NEXT) | instid1(SALU_CYCLE_1)
	s_and_saveexec_b32 s22, s9
	s_xor_b32 s9, exec_lo, s22
; %bb.5178:                             ;   in Loop: Header=BB468_3103 Depth=1
	v_bfe_u32 v2, v3, 16, 1
	s_delay_alu instid0(VALU_DEP_1)
	v_add3_u32 v2, v3, v2, 0x7fff
                                        ; implicit-def: $vgpr3
; %bb.5179:                             ;   in Loop: Header=BB468_3103 Depth=1
	s_and_not1_saveexec_b32 s22, s9
; %bb.5180:                             ;   in Loop: Header=BB468_3103 Depth=1
	v_and_b32_e32 v2, 0xffff, v3
	v_or_b32_e32 v6, 0x10000, v3
	s_delay_alu instid0(VALU_DEP_2) | instskip(NEXT) | instid1(VALU_DEP_1)
	v_cmp_eq_u32_e64 s9, 0, v2
	v_cndmask_b32_e64 v2, v6, v3, s9
; %bb.5181:                             ;   in Loop: Header=BB468_3103 Depth=1
	s_or_b32 exec_lo, exec_lo, s22
	v_lshrrev_b32_e32 v6, 16, v9
	v_lshrrev_b32_e32 v7, 16, v8
	;; [unrolled: 1-line block ×8, first 2 shown]
	s_and_saveexec_b32 s9, s3
; %bb.5182:                             ;   in Loop: Header=BB468_3103 Depth=1
	s_delay_alu instid0(VALU_DEP_3)
	v_cndmask_b32_e32 v4, 0, v4, vcc_lo
	v_cndmask_b32_e64 v5, 0, v5, s1
	v_cndmask_b32_e64 v9, 0, v9, s2
	;; [unrolled: 1-line block ×7, first 2 shown]
; %bb.5183:                             ;   in Loop: Header=BB468_3103 Depth=1
	s_or_b32 exec_lo, exec_lo, s9
	v_lshlrev_b32_e32 v4, 16, v4
                                        ; implicit-def: $vgpr100
	s_delay_alu instid0(VALU_DEP_1) | instskip(NEXT) | instid1(VALU_DEP_1)
	v_mul_f32_e32 v4, v151, v4
	v_and_b32_e32 v10, 0x7f800000, v4
	s_delay_alu instid0(VALU_DEP_1) | instskip(NEXT) | instid1(VALU_DEP_1)
	v_cmp_ne_u32_e64 s9, 0x7f800000, v10
	s_and_saveexec_b32 s22, s9
	s_delay_alu instid0(SALU_CYCLE_1)
	s_xor_b32 s9, exec_lo, s22
; %bb.5184:                             ;   in Loop: Header=BB468_3103 Depth=1
	v_bfe_u32 v10, v4, 16, 1
	s_delay_alu instid0(VALU_DEP_1)
	v_add3_u32 v100, v4, v10, 0x7fff
                                        ; implicit-def: $vgpr4
; %bb.5185:                             ;   in Loop: Header=BB468_3103 Depth=1
	s_and_not1_saveexec_b32 s22, s9
; %bb.5186:                             ;   in Loop: Header=BB468_3103 Depth=1
	v_and_b32_e32 v10, 0xffff, v4
	v_or_b32_e32 v11, 0x10000, v4
	s_delay_alu instid0(VALU_DEP_2) | instskip(NEXT) | instid1(VALU_DEP_1)
	v_cmp_eq_u32_e64 s9, 0, v10
	v_cndmask_b32_e64 v100, v11, v4, s9
; %bb.5187:                             ;   in Loop: Header=BB468_3103 Depth=1
	s_or_b32 exec_lo, exec_lo, s22
	v_lshlrev_b32_e32 v4, 16, v5
                                        ; implicit-def: $vgpr101
	s_delay_alu instid0(VALU_DEP_1) | instskip(NEXT) | instid1(VALU_DEP_1)
	v_mul_f32_e32 v4, v160, v4
	v_and_b32_e32 v5, 0x7f800000, v4
	s_delay_alu instid0(VALU_DEP_1) | instskip(NEXT) | instid1(VALU_DEP_1)
	v_cmp_ne_u32_e64 s9, 0x7f800000, v5
	s_and_saveexec_b32 s22, s9
	s_delay_alu instid0(SALU_CYCLE_1)
	s_xor_b32 s9, exec_lo, s22
; %bb.5188:                             ;   in Loop: Header=BB468_3103 Depth=1
	v_bfe_u32 v5, v4, 16, 1
	s_delay_alu instid0(VALU_DEP_1)
	v_add3_u32 v101, v4, v5, 0x7fff
                                        ; implicit-def: $vgpr4
; %bb.5189:                             ;   in Loop: Header=BB468_3103 Depth=1
	s_and_not1_saveexec_b32 s22, s9
; %bb.5190:                             ;   in Loop: Header=BB468_3103 Depth=1
	v_and_b32_e32 v5, 0xffff, v4
	v_or_b32_e32 v10, 0x10000, v4
	s_delay_alu instid0(VALU_DEP_2) | instskip(NEXT) | instid1(VALU_DEP_1)
	v_cmp_eq_u32_e64 s9, 0, v5
	v_cndmask_b32_e64 v101, v10, v4, s9
; %bb.5191:                             ;   in Loop: Header=BB468_3103 Depth=1
	s_or_b32 exec_lo, exec_lo, s22
	v_lshlrev_b32_e32 v4, 16, v9
                                        ; implicit-def: $vgpr102
	s_delay_alu instid0(VALU_DEP_1) | instskip(NEXT) | instid1(VALU_DEP_1)
	v_mul_f32_e32 v4, v161, v4
	v_and_b32_e32 v5, 0x7f800000, v4
	s_delay_alu instid0(VALU_DEP_1) | instskip(NEXT) | instid1(VALU_DEP_1)
	v_cmp_ne_u32_e64 s9, 0x7f800000, v5
	s_and_saveexec_b32 s22, s9
	s_delay_alu instid0(SALU_CYCLE_1)
	s_xor_b32 s9, exec_lo, s22
; %bb.5192:                             ;   in Loop: Header=BB468_3103 Depth=1
	v_bfe_u32 v5, v4, 16, 1
	s_delay_alu instid0(VALU_DEP_1)
	v_add3_u32 v102, v4, v5, 0x7fff
                                        ; implicit-def: $vgpr4
; %bb.5193:                             ;   in Loop: Header=BB468_3103 Depth=1
	s_and_not1_saveexec_b32 s22, s9
; %bb.5194:                             ;   in Loop: Header=BB468_3103 Depth=1
	v_and_b32_e32 v5, 0xffff, v4
	v_or_b32_e32 v9, 0x10000, v4
	s_delay_alu instid0(VALU_DEP_2) | instskip(NEXT) | instid1(VALU_DEP_1)
	v_cmp_eq_u32_e64 s9, 0, v5
	v_cndmask_b32_e64 v102, v9, v4, s9
; %bb.5195:                             ;   in Loop: Header=BB468_3103 Depth=1
	s_or_b32 exec_lo, exec_lo, s22
	v_lshlrev_b32_e32 v4, 16, v8
                                        ; implicit-def: $vgpr103
	s_delay_alu instid0(VALU_DEP_1) | instskip(NEXT) | instid1(VALU_DEP_1)
	v_mul_f32_e32 v4, v162, v4
	v_and_b32_e32 v5, 0x7f800000, v4
	s_delay_alu instid0(VALU_DEP_1) | instskip(NEXT) | instid1(VALU_DEP_1)
	v_cmp_ne_u32_e64 s9, 0x7f800000, v5
	s_and_saveexec_b32 s22, s9
	s_delay_alu instid0(SALU_CYCLE_1)
	s_xor_b32 s9, exec_lo, s22
; %bb.5196:                             ;   in Loop: Header=BB468_3103 Depth=1
	v_bfe_u32 v5, v4, 16, 1
	s_delay_alu instid0(VALU_DEP_1)
	v_add3_u32 v103, v4, v5, 0x7fff
                                        ; implicit-def: $vgpr4
; %bb.5197:                             ;   in Loop: Header=BB468_3103 Depth=1
	s_and_not1_saveexec_b32 s22, s9
; %bb.5198:                             ;   in Loop: Header=BB468_3103 Depth=1
	v_and_b32_e32 v5, 0xffff, v4
	v_or_b32_e32 v8, 0x10000, v4
	s_delay_alu instid0(VALU_DEP_2) | instskip(NEXT) | instid1(VALU_DEP_1)
	v_cmp_eq_u32_e64 s9, 0, v5
	v_cndmask_b32_e64 v103, v8, v4, s9
; %bb.5199:                             ;   in Loop: Header=BB468_3103 Depth=1
	s_or_b32 exec_lo, exec_lo, s22
	v_lshlrev_b32_e32 v4, 16, v7
                                        ; implicit-def: $vgpr112
	s_delay_alu instid0(VALU_DEP_1) | instskip(NEXT) | instid1(VALU_DEP_1)
	v_mul_f32_e32 v4, v163, v4
	v_and_b32_e32 v5, 0x7f800000, v4
	s_delay_alu instid0(VALU_DEP_1) | instskip(NEXT) | instid1(VALU_DEP_1)
	v_cmp_ne_u32_e64 s9, 0x7f800000, v5
	s_and_saveexec_b32 s22, s9
	s_delay_alu instid0(SALU_CYCLE_1)
	s_xor_b32 s9, exec_lo, s22
; %bb.5200:                             ;   in Loop: Header=BB468_3103 Depth=1
	v_bfe_u32 v5, v4, 16, 1
	s_delay_alu instid0(VALU_DEP_1)
	v_add3_u32 v112, v4, v5, 0x7fff
                                        ; implicit-def: $vgpr4
; %bb.5201:                             ;   in Loop: Header=BB468_3103 Depth=1
	s_and_not1_saveexec_b32 s22, s9
; %bb.5202:                             ;   in Loop: Header=BB468_3103 Depth=1
	v_and_b32_e32 v5, 0xffff, v4
	v_or_b32_e32 v7, 0x10000, v4
	s_delay_alu instid0(VALU_DEP_2) | instskip(NEXT) | instid1(VALU_DEP_1)
	v_cmp_eq_u32_e64 s9, 0, v5
	v_cndmask_b32_e64 v112, v7, v4, s9
; %bb.5203:                             ;   in Loop: Header=BB468_3103 Depth=1
	s_or_b32 exec_lo, exec_lo, s22
	v_lshlrev_b32_e32 v4, 16, v6
                                        ; implicit-def: $vgpr113
	s_delay_alu instid0(VALU_DEP_1) | instskip(NEXT) | instid1(VALU_DEP_1)
	v_mul_f32_e32 v4, v164, v4
	v_and_b32_e32 v5, 0x7f800000, v4
	s_delay_alu instid0(VALU_DEP_1) | instskip(NEXT) | instid1(VALU_DEP_1)
	v_cmp_ne_u32_e64 s9, 0x7f800000, v5
	s_and_saveexec_b32 s22, s9
	s_delay_alu instid0(SALU_CYCLE_1)
	s_xor_b32 s9, exec_lo, s22
; %bb.5204:                             ;   in Loop: Header=BB468_3103 Depth=1
	v_bfe_u32 v5, v4, 16, 1
	s_delay_alu instid0(VALU_DEP_1)
	v_add3_u32 v113, v4, v5, 0x7fff
                                        ; implicit-def: $vgpr4
; %bb.5205:                             ;   in Loop: Header=BB468_3103 Depth=1
	s_and_not1_saveexec_b32 s22, s9
; %bb.5206:                             ;   in Loop: Header=BB468_3103 Depth=1
	v_and_b32_e32 v5, 0xffff, v4
	v_or_b32_e32 v6, 0x10000, v4
	s_delay_alu instid0(VALU_DEP_2) | instskip(NEXT) | instid1(VALU_DEP_1)
	v_cmp_eq_u32_e64 s9, 0, v5
	v_cndmask_b32_e64 v113, v6, v4, s9
; %bb.5207:                             ;   in Loop: Header=BB468_3103 Depth=1
	s_or_b32 exec_lo, exec_lo, s22
	v_lshlrev_b32_e32 v3, 16, v3
                                        ; implicit-def: $vgpr114
	s_delay_alu instid0(VALU_DEP_1) | instskip(NEXT) | instid1(VALU_DEP_1)
	v_mul_f32_e32 v3, v165, v3
	v_and_b32_e32 v4, 0x7f800000, v3
	s_delay_alu instid0(VALU_DEP_1) | instskip(NEXT) | instid1(VALU_DEP_1)
	v_cmp_ne_u32_e64 s9, 0x7f800000, v4
	s_and_saveexec_b32 s22, s9
	s_delay_alu instid0(SALU_CYCLE_1)
	s_xor_b32 s9, exec_lo, s22
; %bb.5208:                             ;   in Loop: Header=BB468_3103 Depth=1
	v_bfe_u32 v4, v3, 16, 1
	s_delay_alu instid0(VALU_DEP_1)
	v_add3_u32 v114, v3, v4, 0x7fff
                                        ; implicit-def: $vgpr3
; %bb.5209:                             ;   in Loop: Header=BB468_3103 Depth=1
	s_and_not1_saveexec_b32 s22, s9
; %bb.5210:                             ;   in Loop: Header=BB468_3103 Depth=1
	v_and_b32_e32 v4, 0xffff, v3
	v_or_b32_e32 v5, 0x10000, v3
	s_delay_alu instid0(VALU_DEP_2) | instskip(NEXT) | instid1(VALU_DEP_1)
	v_cmp_eq_u32_e64 s9, 0, v4
	v_cndmask_b32_e64 v114, v5, v3, s9
; %bb.5211:                             ;   in Loop: Header=BB468_3103 Depth=1
	s_or_b32 exec_lo, exec_lo, s22
	v_lshlrev_b32_e32 v2, 16, v2
                                        ; implicit-def: $vgpr17
	s_delay_alu instid0(VALU_DEP_1) | instskip(NEXT) | instid1(VALU_DEP_1)
	v_mul_f32_e32 v2, v166, v2
	v_and_b32_e32 v3, 0x7f800000, v2
	s_delay_alu instid0(VALU_DEP_1) | instskip(NEXT) | instid1(VALU_DEP_1)
	v_cmp_ne_u32_e64 s9, 0x7f800000, v3
	s_and_saveexec_b32 s22, s9
	s_delay_alu instid0(SALU_CYCLE_1)
	s_xor_b32 s9, exec_lo, s22
; %bb.5212:                             ;   in Loop: Header=BB468_3103 Depth=1
	v_bfe_u32 v3, v2, 16, 1
	s_delay_alu instid0(VALU_DEP_1)
	v_add3_u32 v17, v2, v3, 0x7fff
                                        ; implicit-def: $vgpr2
; %bb.5213:                             ;   in Loop: Header=BB468_3103 Depth=1
	s_and_not1_saveexec_b32 s22, s9
; %bb.5214:                             ;   in Loop: Header=BB468_3103 Depth=1
	v_and_b32_e32 v3, 0xffff, v2
	v_or_b32_e32 v4, 0x10000, v2
	s_delay_alu instid0(VALU_DEP_2) | instskip(NEXT) | instid1(VALU_DEP_1)
	v_cmp_eq_u32_e64 s9, 0, v3
	v_cndmask_b32_e64 v17, v4, v2, s9
; %bb.5215:                             ;   in Loop: Header=BB468_3103 Depth=1
	s_or_b32 exec_lo, exec_lo, s22
	scratch_load_b32 v2, off, s32 offset:816 ; 4-byte Folded Reload
	s_mov_b32 s22, exec_lo
	v_mov_b32_e32 v4, 0
	s_waitcnt vmcnt(0)
	v_add_co_u32 v2, s9, v0, v2
	s_delay_alu instid0(VALU_DEP_1) | instskip(SKIP_3) | instid1(VALU_DEP_1)
	v_add_co_ci_u32_e64 v3, s9, 0, v1, s9
	flat_load_b64 v[2:3], v[2:3]
	s_waitcnt vmcnt(0) lgkmcnt(0)
	v_and_b32_e32 v5, 0xff, v2
	v_cmpx_ne_u16_e32 0, v5
	s_cbranch_execz .LBB468_5223
; %bb.5216:                             ;   in Loop: Header=BB468_3103 Depth=1
	v_bfrev_b32_e32 v4, 1
	s_mov_b32 s23, exec_lo
	v_cmpx_ne_u16_e32 0x80, v5
	s_cbranch_execz .LBB468_5222
; %bb.5217:                             ;   in Loop: Header=BB468_3103 Depth=1
	v_and_b32_e32 v5, 0x7f, v2
	v_mov_b32_e32 v4, 0x7f800001
	s_mov_b32 s24, exec_lo
	s_delay_alu instid0(VALU_DEP_2)
	v_cmpx_ne_u32_e32 0x7f, v5
	s_cbranch_execz .LBB468_5221
; %bb.5218:                             ;   in Loop: Header=BB468_3103 Depth=1
	v_lshrrev_b32_e32 v4, 3, v5
	v_dual_mov_b32 v7, v3 :: v_dual_mov_b32 v6, v2
	s_mov_b32 s25, exec_lo
	v_cmpx_gt_u32_e32 8, v5
; %bb.5219:                             ;   in Loop: Header=BB468_3103 Depth=1
	v_and_b32_e32 v4, 7, v2
	s_delay_alu instid0(VALU_DEP_1) | instskip(NEXT) | instid1(VALU_DEP_1)
	v_clz_i32_u32_e32 v4, v4
	v_min_u32_e32 v4, 32, v4
	s_delay_alu instid0(VALU_DEP_1) | instskip(SKIP_1) | instid1(VALU_DEP_2)
	v_subrev_nc_u32_e32 v5, 28, v4
	v_sub_nc_u32_e32 v4, 29, v4
	v_lshlrev_b64 v[6:7], v5, v[2:3]
; %bb.5220:                             ;   in Loop: Header=BB468_3103 Depth=1
	s_or_b32 exec_lo, exec_lo, s25
	s_delay_alu instid0(VALU_DEP_1) | instskip(SKIP_2) | instid1(VALU_DEP_3)
	v_lshlrev_b32_e32 v5, 20, v6
	v_lshlrev_b32_e32 v6, 24, v2
	v_lshl_add_u32 v4, v4, 23, 0x3c000000
	v_and_b32_e32 v5, 0x700000, v5
	s_delay_alu instid0(VALU_DEP_3) | instskip(NEXT) | instid1(VALU_DEP_1)
	v_and_b32_e32 v6, 0x80000000, v6
	v_or3_b32 v4, v5, v6, v4
.LBB468_5221:                           ;   in Loop: Header=BB468_3103 Depth=1
	s_or_b32 exec_lo, exec_lo, s24
.LBB468_5222:                           ;   in Loop: Header=BB468_3103 Depth=1
	s_delay_alu instid0(SALU_CYCLE_1)
	s_or_b32 exec_lo, exec_lo, s23
.LBB468_5223:                           ;   in Loop: Header=BB468_3103 Depth=1
	s_delay_alu instid0(SALU_CYCLE_1) | instskip(NEXT) | instid1(VALU_DEP_1)
	s_or_b32 exec_lo, exec_lo, s22
	v_mul_f32_e32 v5, v26, v4
	s_delay_alu instid0(VALU_DEP_1) | instskip(NEXT) | instid1(VALU_DEP_1)
	v_and_b32_e32 v4, 0x7f800000, v5
	v_cmp_ne_u32_e64 s9, 0x7f800000, v4
                                        ; implicit-def: $vgpr4
	s_delay_alu instid0(VALU_DEP_1) | instskip(NEXT) | instid1(SALU_CYCLE_1)
	s_and_saveexec_b32 s22, s9
	s_xor_b32 s9, exec_lo, s22
; %bb.5224:                             ;   in Loop: Header=BB468_3103 Depth=1
	v_bfe_u32 v4, v5, 16, 1
	s_delay_alu instid0(VALU_DEP_1)
	v_add3_u32 v4, v5, v4, 0x7fff
                                        ; implicit-def: $vgpr5
; %bb.5225:                             ;   in Loop: Header=BB468_3103 Depth=1
	s_and_not1_saveexec_b32 s22, s9
; %bb.5226:                             ;   in Loop: Header=BB468_3103 Depth=1
	v_and_b32_e32 v4, 0xffff, v5
	v_or_b32_e32 v6, 0x10000, v5
	s_delay_alu instid0(VALU_DEP_2) | instskip(NEXT) | instid1(VALU_DEP_1)
	v_cmp_eq_u32_e64 s9, 0, v4
	v_cndmask_b32_e64 v4, v6, v5, s9
; %bb.5227:                             ;   in Loop: Header=BB468_3103 Depth=1
	s_or_b32 exec_lo, exec_lo, s22
	v_lshrrev_b16 v6, 8, v2
	v_mov_b32_e32 v5, 0
	s_mov_b32 s22, exec_lo
	s_delay_alu instid0(VALU_DEP_2)
	v_cmpx_ne_u16_e32 0, v6
	s_cbranch_execz .LBB468_5235
; %bb.5228:                             ;   in Loop: Header=BB468_3103 Depth=1
	v_bfrev_b32_e32 v5, 1
	s_mov_b32 s23, exec_lo
	v_cmpx_ne_u16_e32 0x80, v6
	s_cbranch_execz .LBB468_5234
; %bb.5229:                             ;   in Loop: Header=BB468_3103 Depth=1
	v_and_b32_e32 v6, 0xffff, v6
	v_mov_b32_e32 v5, 0x7f800001
	s_mov_b32 s24, exec_lo
	s_delay_alu instid0(VALU_DEP_2) | instskip(NEXT) | instid1(VALU_DEP_1)
	v_and_b32_e32 v8, 0x7f, v6
	v_cmpx_ne_u32_e32 0x7f, v8
	s_cbranch_execz .LBB468_5233
; %bb.5230:                             ;   in Loop: Header=BB468_3103 Depth=1
	v_and_b32_e32 v12, 7, v6
	v_lshrrev_b32_e32 v5, 3, v8
	s_mov_b32 s25, exec_lo
	s_delay_alu instid0(VALU_DEP_2)
	v_dual_mov_b32 v6, v12 :: v_dual_mov_b32 v7, v13
	v_cmpx_gt_u32_e32 8, v8
; %bb.5231:                             ;   in Loop: Header=BB468_3103 Depth=1
	v_clz_i32_u32_e32 v5, v12
	s_delay_alu instid0(VALU_DEP_1) | instskip(NEXT) | instid1(VALU_DEP_1)
	v_min_u32_e32 v5, 32, v5
	v_subrev_nc_u32_e32 v6, 28, v5
	v_sub_nc_u32_e32 v5, 29, v5
	s_delay_alu instid0(VALU_DEP_2) | instskip(NEXT) | instid1(VALU_DEP_1)
	v_lshlrev_b64 v[6:7], v6, v[12:13]
	v_and_b32_e32 v6, 7, v6
; %bb.5232:                             ;   in Loop: Header=BB468_3103 Depth=1
	s_or_b32 exec_lo, exec_lo, s25
	v_lshlrev_b32_e32 v7, 16, v2
	s_delay_alu instid0(VALU_DEP_2) | instskip(SKIP_1) | instid1(VALU_DEP_3)
	v_lshlrev_b32_e32 v6, 20, v6
	v_lshl_add_u32 v5, v5, 23, 0x3c000000
	v_and_b32_e32 v7, 0x80000000, v7
	s_delay_alu instid0(VALU_DEP_1)
	v_or3_b32 v5, v6, v7, v5
.LBB468_5233:                           ;   in Loop: Header=BB468_3103 Depth=1
	s_or_b32 exec_lo, exec_lo, s24
.LBB468_5234:                           ;   in Loop: Header=BB468_3103 Depth=1
	s_delay_alu instid0(SALU_CYCLE_1)
	s_or_b32 exec_lo, exec_lo, s23
.LBB468_5235:                           ;   in Loop: Header=BB468_3103 Depth=1
	s_delay_alu instid0(SALU_CYCLE_1) | instskip(NEXT) | instid1(VALU_DEP_1)
	s_or_b32 exec_lo, exec_lo, s22
	v_mul_f32_e32 v6, v26, v5
	s_delay_alu instid0(VALU_DEP_1) | instskip(NEXT) | instid1(VALU_DEP_1)
	v_and_b32_e32 v5, 0x7f800000, v6
	v_cmp_ne_u32_e64 s9, 0x7f800000, v5
                                        ; implicit-def: $vgpr5
	s_delay_alu instid0(VALU_DEP_1) | instskip(NEXT) | instid1(SALU_CYCLE_1)
	s_and_saveexec_b32 s22, s9
	s_xor_b32 s9, exec_lo, s22
; %bb.5236:                             ;   in Loop: Header=BB468_3103 Depth=1
	v_bfe_u32 v5, v6, 16, 1
	s_delay_alu instid0(VALU_DEP_1)
	v_add3_u32 v5, v6, v5, 0x7fff
                                        ; implicit-def: $vgpr6
; %bb.5237:                             ;   in Loop: Header=BB468_3103 Depth=1
	s_and_not1_saveexec_b32 s22, s9
; %bb.5238:                             ;   in Loop: Header=BB468_3103 Depth=1
	v_and_b32_e32 v5, 0xffff, v6
	v_or_b32_e32 v7, 0x10000, v6
	s_delay_alu instid0(VALU_DEP_2) | instskip(NEXT) | instid1(VALU_DEP_1)
	v_cmp_eq_u32_e64 s9, 0, v5
	v_cndmask_b32_e64 v5, v7, v6, s9
; %bb.5239:                             ;   in Loop: Header=BB468_3103 Depth=1
	s_or_b32 exec_lo, exec_lo, s22
	v_lshrrev_b32_e32 v8, 16, v2
	s_mov_b32 s22, exec_lo
	s_delay_alu instid0(VALU_DEP_1) | instskip(NEXT) | instid1(VALU_DEP_1)
	v_dual_mov_b32 v6, 0 :: v_dual_and_b32 v7, 0xff, v8
	v_cmpx_ne_u16_e32 0, v7
	s_cbranch_execz .LBB468_5247
; %bb.5240:                             ;   in Loop: Header=BB468_3103 Depth=1
	v_bfrev_b32_e32 v6, 1
	s_mov_b32 s23, exec_lo
	v_cmpx_ne_u16_e32 0x80, v7
	s_cbranch_execz .LBB468_5246
; %bb.5241:                             ;   in Loop: Header=BB468_3103 Depth=1
	v_bfe_u32 v9, v2, 16, 7
	v_mov_b32_e32 v6, 0x7f800001
	s_mov_b32 s24, exec_lo
	s_delay_alu instid0(VALU_DEP_2)
	v_cmpx_ne_u32_e32 0x7f, v9
	s_cbranch_execz .LBB468_5245
; %bb.5242:                             ;   in Loop: Header=BB468_3103 Depth=1
	v_and_b32_e32 v12, 7, v8
	s_mov_b32 s25, exec_lo
	s_delay_alu instid0(VALU_DEP_1)
	v_dual_mov_b32 v6, v12 :: v_dual_mov_b32 v7, v13
	v_lshrrev_b32_e32 v7, 3, v9
	v_cmpx_gt_u32_e32 8, v9
; %bb.5243:                             ;   in Loop: Header=BB468_3103 Depth=1
	v_clz_i32_u32_e32 v6, v12
	s_delay_alu instid0(VALU_DEP_1) | instskip(NEXT) | instid1(VALU_DEP_1)
	v_min_u32_e32 v9, 32, v6
	v_subrev_nc_u32_e32 v6, 28, v9
	s_delay_alu instid0(VALU_DEP_1) | instskip(SKIP_1) | instid1(VALU_DEP_2)
	v_lshlrev_b64 v[6:7], v6, v[12:13]
	v_sub_nc_u32_e32 v7, 29, v9
	v_and_b32_e32 v6, 7, v6
; %bb.5244:                             ;   in Loop: Header=BB468_3103 Depth=1
	s_or_b32 exec_lo, exec_lo, s25
	v_lshlrev_b32_e32 v8, 24, v8
	s_delay_alu instid0(VALU_DEP_2) | instskip(SKIP_1) | instid1(VALU_DEP_3)
	v_lshlrev_b32_e32 v6, 20, v6
	v_lshl_add_u32 v7, v7, 23, 0x3c000000
	v_and_b32_e32 v8, 0x80000000, v8
	s_delay_alu instid0(VALU_DEP_1)
	v_or3_b32 v6, v6, v8, v7
.LBB468_5245:                           ;   in Loop: Header=BB468_3103 Depth=1
	s_or_b32 exec_lo, exec_lo, s24
.LBB468_5246:                           ;   in Loop: Header=BB468_3103 Depth=1
	s_delay_alu instid0(SALU_CYCLE_1)
	s_or_b32 exec_lo, exec_lo, s23
.LBB468_5247:                           ;   in Loop: Header=BB468_3103 Depth=1
	s_delay_alu instid0(SALU_CYCLE_1) | instskip(NEXT) | instid1(VALU_DEP_1)
	s_or_b32 exec_lo, exec_lo, s22
	v_mul_f32_e32 v6, v26, v6
                                        ; implicit-def: $vgpr10
	s_delay_alu instid0(VALU_DEP_1) | instskip(NEXT) | instid1(VALU_DEP_1)
	v_and_b32_e32 v7, 0x7f800000, v6
	v_cmp_ne_u32_e64 s9, 0x7f800000, v7
	s_delay_alu instid0(VALU_DEP_1) | instskip(NEXT) | instid1(SALU_CYCLE_1)
	s_and_saveexec_b32 s22, s9
	s_xor_b32 s9, exec_lo, s22
; %bb.5248:                             ;   in Loop: Header=BB468_3103 Depth=1
	v_bfe_u32 v7, v6, 16, 1
	s_delay_alu instid0(VALU_DEP_1)
	v_add3_u32 v10, v6, v7, 0x7fff
                                        ; implicit-def: $vgpr6
; %bb.5249:                             ;   in Loop: Header=BB468_3103 Depth=1
	s_and_not1_saveexec_b32 s22, s9
; %bb.5250:                             ;   in Loop: Header=BB468_3103 Depth=1
	v_and_b32_e32 v7, 0xffff, v6
	v_or_b32_e32 v8, 0x10000, v6
	s_delay_alu instid0(VALU_DEP_2) | instskip(NEXT) | instid1(VALU_DEP_1)
	v_cmp_eq_u32_e64 s9, 0, v7
	v_cndmask_b32_e64 v10, v8, v6, s9
; %bb.5251:                             ;   in Loop: Header=BB468_3103 Depth=1
	s_or_b32 exec_lo, exec_lo, s22
	v_mov_b32_e32 v6, 0
	s_mov_b32 s22, exec_lo
	v_cmpx_lt_u32_e32 0xffffff, v2
	s_cbranch_execz .LBB468_5259
; %bb.5252:                             ;   in Loop: Header=BB468_3103 Depth=1
	v_lshrrev_b32_e32 v8, 24, v2
	v_bfrev_b32_e32 v6, 1
	s_mov_b32 s23, exec_lo
	s_delay_alu instid0(VALU_DEP_2)
	v_cmpx_ne_u32_e32 0x80, v8
	s_cbranch_execz .LBB468_5258
; %bb.5253:                             ;   in Loop: Header=BB468_3103 Depth=1
	v_bfe_u32 v9, v2, 24, 7
	v_mov_b32_e32 v6, 0x7f800001
	s_mov_b32 s24, exec_lo
	s_delay_alu instid0(VALU_DEP_2)
	v_cmpx_ne_u32_e32 0x7f, v9
	s_cbranch_execz .LBB468_5257
; %bb.5254:                             ;   in Loop: Header=BB468_3103 Depth=1
	v_and_b32_e32 v12, 7, v8
	s_mov_b32 s25, exec_lo
	s_delay_alu instid0(VALU_DEP_1)
	v_dual_mov_b32 v6, v12 :: v_dual_mov_b32 v7, v13
	v_lshrrev_b32_e32 v7, 3, v9
	v_cmpx_gt_u32_e32 8, v9
; %bb.5255:                             ;   in Loop: Header=BB468_3103 Depth=1
	v_clz_i32_u32_e32 v6, v12
	s_delay_alu instid0(VALU_DEP_1) | instskip(NEXT) | instid1(VALU_DEP_1)
	v_min_u32_e32 v9, 32, v6
	v_subrev_nc_u32_e32 v6, 28, v9
	s_delay_alu instid0(VALU_DEP_1) | instskip(SKIP_1) | instid1(VALU_DEP_2)
	v_lshlrev_b64 v[6:7], v6, v[12:13]
	v_sub_nc_u32_e32 v7, 29, v9
	v_and_b32_e32 v6, 7, v6
; %bb.5256:                             ;   in Loop: Header=BB468_3103 Depth=1
	s_or_b32 exec_lo, exec_lo, s25
	v_lshlrev_b32_e32 v8, 24, v8
	s_delay_alu instid0(VALU_DEP_2) | instskip(SKIP_1) | instid1(VALU_DEP_3)
	v_lshlrev_b32_e32 v6, 20, v6
	v_lshl_add_u32 v7, v7, 23, 0x3c000000
	v_and_b32_e32 v8, 0x80000000, v8
	s_delay_alu instid0(VALU_DEP_1)
	v_or3_b32 v6, v6, v8, v7
.LBB468_5257:                           ;   in Loop: Header=BB468_3103 Depth=1
	s_or_b32 exec_lo, exec_lo, s24
.LBB468_5258:                           ;   in Loop: Header=BB468_3103 Depth=1
	s_delay_alu instid0(SALU_CYCLE_1)
	s_or_b32 exec_lo, exec_lo, s23
.LBB468_5259:                           ;   in Loop: Header=BB468_3103 Depth=1
	s_delay_alu instid0(SALU_CYCLE_1) | instskip(NEXT) | instid1(VALU_DEP_1)
	s_or_b32 exec_lo, exec_lo, s22
	v_mul_f32_e32 v6, v26, v6
                                        ; implicit-def: $vgpr11
	s_delay_alu instid0(VALU_DEP_1) | instskip(NEXT) | instid1(VALU_DEP_1)
	v_and_b32_e32 v7, 0x7f800000, v6
	v_cmp_ne_u32_e64 s9, 0x7f800000, v7
	s_delay_alu instid0(VALU_DEP_1) | instskip(NEXT) | instid1(SALU_CYCLE_1)
	s_and_saveexec_b32 s22, s9
	s_xor_b32 s9, exec_lo, s22
; %bb.5260:                             ;   in Loop: Header=BB468_3103 Depth=1
	v_bfe_u32 v7, v6, 16, 1
	s_delay_alu instid0(VALU_DEP_1)
	v_add3_u32 v11, v6, v7, 0x7fff
                                        ; implicit-def: $vgpr6
; %bb.5261:                             ;   in Loop: Header=BB468_3103 Depth=1
	s_and_not1_saveexec_b32 s22, s9
; %bb.5262:                             ;   in Loop: Header=BB468_3103 Depth=1
	v_and_b32_e32 v7, 0xffff, v6
	v_or_b32_e32 v8, 0x10000, v6
	s_delay_alu instid0(VALU_DEP_2) | instskip(NEXT) | instid1(VALU_DEP_1)
	v_cmp_eq_u32_e64 s9, 0, v7
	v_cndmask_b32_e64 v11, v8, v6, s9
; %bb.5263:                             ;   in Loop: Header=BB468_3103 Depth=1
	s_or_b32 exec_lo, exec_lo, s22
	v_dual_mov_b32 v12, v3 :: v_dual_and_b32 v7, 0xff, v3
	v_mov_b32_e32 v6, 0
	s_mov_b32 s22, exec_lo
	s_delay_alu instid0(VALU_DEP_2)
	v_cmpx_ne_u16_e32 0, v7
	s_cbranch_execz .LBB468_5271
; %bb.5264:                             ;   in Loop: Header=BB468_3103 Depth=1
	v_bfrev_b32_e32 v6, 1
	s_mov_b32 s23, exec_lo
	v_cmpx_ne_u16_e32 0x80, v7
	s_cbranch_execz .LBB468_5270
; %bb.5265:                             ;   in Loop: Header=BB468_3103 Depth=1
	v_and_b32_e32 v8, 0x7f, v3
	v_mov_b32_e32 v6, 0x7f800001
	s_mov_b32 s24, exec_lo
	s_delay_alu instid0(VALU_DEP_2)
	v_cmpx_ne_u32_e32 0x7f, v8
	s_cbranch_execz .LBB468_5269
; %bb.5266:                             ;   in Loop: Header=BB468_3103 Depth=1
	v_dual_mov_b32 v6, v12 :: v_dual_mov_b32 v7, v13
	v_lshrrev_b32_e32 v7, 3, v8
	s_mov_b32 s25, exec_lo
	v_cmpx_gt_u32_e32 8, v8
; %bb.5267:                             ;   in Loop: Header=BB468_3103 Depth=1
	v_and_b32_e32 v6, 7, v3
	s_delay_alu instid0(VALU_DEP_1) | instskip(NEXT) | instid1(VALU_DEP_1)
	v_clz_i32_u32_e32 v6, v6
	v_min_u32_e32 v8, 32, v6
	s_delay_alu instid0(VALU_DEP_1) | instskip(NEXT) | instid1(VALU_DEP_1)
	v_subrev_nc_u32_e32 v6, 28, v8
	v_lshlrev_b64 v[6:7], v6, v[12:13]
	v_sub_nc_u32_e32 v7, 29, v8
; %bb.5268:                             ;   in Loop: Header=BB468_3103 Depth=1
	s_or_b32 exec_lo, exec_lo, s25
	s_delay_alu instid0(VALU_DEP_2) | instskip(SKIP_1) | instid1(VALU_DEP_3)
	v_lshlrev_b32_e32 v6, 20, v6
	v_lshlrev_b32_e32 v8, 24, v12
	v_lshl_add_u32 v7, v7, 23, 0x3c000000
	s_delay_alu instid0(VALU_DEP_3) | instskip(NEXT) | instid1(VALU_DEP_3)
	v_and_b32_e32 v6, 0x700000, v6
	v_and_b32_e32 v8, 0x80000000, v8
	s_delay_alu instid0(VALU_DEP_1)
	v_or3_b32 v6, v6, v8, v7
.LBB468_5269:                           ;   in Loop: Header=BB468_3103 Depth=1
	s_or_b32 exec_lo, exec_lo, s24
.LBB468_5270:                           ;   in Loop: Header=BB468_3103 Depth=1
	s_delay_alu instid0(SALU_CYCLE_1)
	s_or_b32 exec_lo, exec_lo, s23
.LBB468_5271:                           ;   in Loop: Header=BB468_3103 Depth=1
	s_delay_alu instid0(SALU_CYCLE_1) | instskip(NEXT) | instid1(VALU_DEP_1)
	s_or_b32 exec_lo, exec_lo, s22
	v_mul_f32_e32 v6, v26, v6
                                        ; implicit-def: $vgpr8
	s_delay_alu instid0(VALU_DEP_1) | instskip(NEXT) | instid1(VALU_DEP_1)
	v_and_b32_e32 v7, 0x7f800000, v6
	v_cmp_ne_u32_e64 s9, 0x7f800000, v7
	s_delay_alu instid0(VALU_DEP_1) | instskip(NEXT) | instid1(SALU_CYCLE_1)
	s_and_saveexec_b32 s22, s9
	s_xor_b32 s9, exec_lo, s22
; %bb.5272:                             ;   in Loop: Header=BB468_3103 Depth=1
	v_bfe_u32 v7, v6, 16, 1
	s_delay_alu instid0(VALU_DEP_1)
	v_add3_u32 v8, v6, v7, 0x7fff
                                        ; implicit-def: $vgpr6
; %bb.5273:                             ;   in Loop: Header=BB468_3103 Depth=1
	s_and_not1_saveexec_b32 s22, s9
; %bb.5274:                             ;   in Loop: Header=BB468_3103 Depth=1
	v_and_b32_e32 v7, 0xffff, v6
	v_or_b32_e32 v8, 0x10000, v6
	s_delay_alu instid0(VALU_DEP_2) | instskip(NEXT) | instid1(VALU_DEP_1)
	v_cmp_eq_u32_e64 s9, 0, v7
	v_cndmask_b32_e64 v8, v8, v6, s9
; %bb.5275:                             ;   in Loop: Header=BB468_3103 Depth=1
	s_or_b32 exec_lo, exec_lo, s22
	v_lshrrev_b16 v7, 8, v12
	v_mov_b32_e32 v6, 0
	s_mov_b32 s22, exec_lo
	s_delay_alu instid0(VALU_DEP_2)
	v_cmpx_ne_u16_e32 0, v7
	s_cbranch_execz .LBB468_5283
; %bb.5276:                             ;   in Loop: Header=BB468_3103 Depth=1
	v_bfrev_b32_e32 v6, 1
	s_mov_b32 s23, exec_lo
	v_cmpx_ne_u16_e32 0x80, v7
	s_cbranch_execz .LBB468_5282
; %bb.5277:                             ;   in Loop: Header=BB468_3103 Depth=1
	v_and_b32_e32 v7, 0xffff, v7
	v_mov_b32_e32 v6, 0x7f800001
	s_mov_b32 s24, exec_lo
	s_delay_alu instid0(VALU_DEP_2) | instskip(NEXT) | instid1(VALU_DEP_1)
	v_and_b32_e32 v18, 0x7f, v7
	v_cmpx_ne_u32_e32 0x7f, v18
	s_cbranch_execz .LBB468_5281
; %bb.5278:                             ;   in Loop: Header=BB468_3103 Depth=1
	v_dual_mov_b32 v7, v13 :: v_dual_and_b32 v6, 7, v7
	v_lshrrev_b32_e32 v9, 3, v18
	s_mov_b32 s25, exec_lo
	v_cmpx_gt_u32_e32 8, v18
; %bb.5279:                             ;   in Loop: Header=BB468_3103 Depth=1
	s_delay_alu instid0(VALU_DEP_3) | instskip(NEXT) | instid1(VALU_DEP_1)
	v_clz_i32_u32_e32 v9, v6
	v_min_u32_e32 v9, 32, v9
	s_delay_alu instid0(VALU_DEP_1) | instskip(SKIP_1) | instid1(VALU_DEP_2)
	v_subrev_nc_u32_e32 v18, 28, v9
	v_sub_nc_u32_e32 v9, 29, v9
	v_lshlrev_b64 v[6:7], v18, v[6:7]
	s_delay_alu instid0(VALU_DEP_1)
	v_and_b32_e32 v6, 7, v6
; %bb.5280:                             ;   in Loop: Header=BB468_3103 Depth=1
	s_or_b32 exec_lo, exec_lo, s25
	v_lshlrev_b32_e32 v7, 16, v12
	s_delay_alu instid0(VALU_DEP_2) | instskip(SKIP_1) | instid1(VALU_DEP_3)
	v_lshlrev_b32_e32 v6, 20, v6
	v_lshl_add_u32 v9, v9, 23, 0x3c000000
	v_and_b32_e32 v7, 0x80000000, v7
	s_delay_alu instid0(VALU_DEP_1)
	v_or3_b32 v6, v6, v7, v9
.LBB468_5281:                           ;   in Loop: Header=BB468_3103 Depth=1
	s_or_b32 exec_lo, exec_lo, s24
.LBB468_5282:                           ;   in Loop: Header=BB468_3103 Depth=1
	s_delay_alu instid0(SALU_CYCLE_1)
	s_or_b32 exec_lo, exec_lo, s23
.LBB468_5283:                           ;   in Loop: Header=BB468_3103 Depth=1
	s_delay_alu instid0(SALU_CYCLE_1) | instskip(NEXT) | instid1(VALU_DEP_1)
	s_or_b32 exec_lo, exec_lo, s22
	v_mul_f32_e32 v6, v26, v6
                                        ; implicit-def: $vgpr9
	s_delay_alu instid0(VALU_DEP_1) | instskip(NEXT) | instid1(VALU_DEP_1)
	v_and_b32_e32 v7, 0x7f800000, v6
	v_cmp_ne_u32_e64 s9, 0x7f800000, v7
	s_delay_alu instid0(VALU_DEP_1) | instskip(NEXT) | instid1(SALU_CYCLE_1)
	s_and_saveexec_b32 s22, s9
	s_xor_b32 s9, exec_lo, s22
; %bb.5284:                             ;   in Loop: Header=BB468_3103 Depth=1
	v_bfe_u32 v7, v6, 16, 1
	s_delay_alu instid0(VALU_DEP_1)
	v_add3_u32 v9, v6, v7, 0x7fff
                                        ; implicit-def: $vgpr6
; %bb.5285:                             ;   in Loop: Header=BB468_3103 Depth=1
	s_and_not1_saveexec_b32 s22, s9
; %bb.5286:                             ;   in Loop: Header=BB468_3103 Depth=1
	v_and_b32_e32 v7, 0xffff, v6
	v_or_b32_e32 v9, 0x10000, v6
	s_delay_alu instid0(VALU_DEP_2) | instskip(NEXT) | instid1(VALU_DEP_1)
	v_cmp_eq_u32_e64 s9, 0, v7
	v_cndmask_b32_e64 v9, v9, v6, s9
; %bb.5287:                             ;   in Loop: Header=BB468_3103 Depth=1
	s_or_b32 exec_lo, exec_lo, s22
	v_lshrrev_b32_e32 v18, 16, v3
	s_mov_b32 s22, exec_lo
	s_delay_alu instid0(VALU_DEP_1) | instskip(NEXT) | instid1(VALU_DEP_1)
	v_dual_mov_b32 v6, 0 :: v_dual_and_b32 v7, 0xff, v18
	v_cmpx_ne_u16_e32 0, v7
	s_cbranch_execz .LBB468_5295
; %bb.5288:                             ;   in Loop: Header=BB468_3103 Depth=1
	v_bfrev_b32_e32 v6, 1
	s_mov_b32 s23, exec_lo
	v_cmpx_ne_u16_e32 0x80, v7
	s_cbranch_execz .LBB468_5294
; %bb.5289:                             ;   in Loop: Header=BB468_3103 Depth=1
	v_bfe_u32 v19, v3, 16, 7
	v_mov_b32_e32 v6, 0x7f800001
	s_mov_b32 s24, exec_lo
	s_delay_alu instid0(VALU_DEP_2)
	v_cmpx_ne_u32_e32 0x7f, v19
	s_cbranch_execz .LBB468_5293
; %bb.5290:                             ;   in Loop: Header=BB468_3103 Depth=1
	v_and_b32_e32 v12, 7, v18
	s_mov_b32 s25, exec_lo
	s_delay_alu instid0(VALU_DEP_1)
	v_dual_mov_b32 v6, v12 :: v_dual_mov_b32 v7, v13
	v_lshrrev_b32_e32 v7, 3, v19
	v_cmpx_gt_u32_e32 8, v19
; %bb.5291:                             ;   in Loop: Header=BB468_3103 Depth=1
	v_clz_i32_u32_e32 v6, v12
	s_delay_alu instid0(VALU_DEP_1) | instskip(NEXT) | instid1(VALU_DEP_1)
	v_min_u32_e32 v19, 32, v6
	v_subrev_nc_u32_e32 v6, 28, v19
	s_delay_alu instid0(VALU_DEP_1) | instskip(SKIP_1) | instid1(VALU_DEP_2)
	v_lshlrev_b64 v[6:7], v6, v[12:13]
	v_sub_nc_u32_e32 v7, 29, v19
	v_and_b32_e32 v6, 7, v6
; %bb.5292:                             ;   in Loop: Header=BB468_3103 Depth=1
	s_or_b32 exec_lo, exec_lo, s25
	v_lshlrev_b32_e32 v12, 24, v18
	s_delay_alu instid0(VALU_DEP_2) | instskip(SKIP_1) | instid1(VALU_DEP_3)
	v_lshlrev_b32_e32 v6, 20, v6
	v_lshl_add_u32 v7, v7, 23, 0x3c000000
	v_and_b32_e32 v12, 0x80000000, v12
	s_delay_alu instid0(VALU_DEP_1)
	v_or3_b32 v6, v6, v12, v7
.LBB468_5293:                           ;   in Loop: Header=BB468_3103 Depth=1
	s_or_b32 exec_lo, exec_lo, s24
.LBB468_5294:                           ;   in Loop: Header=BB468_3103 Depth=1
	s_delay_alu instid0(SALU_CYCLE_1)
	s_or_b32 exec_lo, exec_lo, s23
.LBB468_5295:                           ;   in Loop: Header=BB468_3103 Depth=1
	s_delay_alu instid0(SALU_CYCLE_1) | instskip(NEXT) | instid1(VALU_DEP_1)
	s_or_b32 exec_lo, exec_lo, s22
	v_mul_f32_e32 v6, v26, v6
                                        ; implicit-def: $vgpr18
	s_delay_alu instid0(VALU_DEP_1) | instskip(NEXT) | instid1(VALU_DEP_1)
	v_and_b32_e32 v7, 0x7f800000, v6
	v_cmp_ne_u32_e64 s9, 0x7f800000, v7
	s_delay_alu instid0(VALU_DEP_1) | instskip(NEXT) | instid1(SALU_CYCLE_1)
	s_and_saveexec_b32 s22, s9
	s_xor_b32 s9, exec_lo, s22
; %bb.5296:                             ;   in Loop: Header=BB468_3103 Depth=1
	v_bfe_u32 v7, v6, 16, 1
	s_delay_alu instid0(VALU_DEP_1)
	v_add3_u32 v18, v6, v7, 0x7fff
                                        ; implicit-def: $vgpr6
; %bb.5297:                             ;   in Loop: Header=BB468_3103 Depth=1
	s_and_not1_saveexec_b32 s22, s9
; %bb.5298:                             ;   in Loop: Header=BB468_3103 Depth=1
	v_and_b32_e32 v7, 0xffff, v6
	v_or_b32_e32 v12, 0x10000, v6
	s_delay_alu instid0(VALU_DEP_2) | instskip(NEXT) | instid1(VALU_DEP_1)
	v_cmp_eq_u32_e64 s9, 0, v7
	v_cndmask_b32_e64 v18, v12, v6, s9
; %bb.5299:                             ;   in Loop: Header=BB468_3103 Depth=1
	s_or_b32 exec_lo, exec_lo, s22
	v_cmp_lt_u64_e64 s9, s[12:13], v[2:3]
	v_mov_b32_e32 v2, 0
	s_delay_alu instid0(VALU_DEP_2)
	s_and_saveexec_b32 s22, s9
	s_cbranch_execz .LBB468_5307
; %bb.5300:                             ;   in Loop: Header=BB468_3103 Depth=1
	v_lshrrev_b32_e32 v6, 24, v3
	v_bfrev_b32_e32 v2, 1
	s_mov_b32 s23, exec_lo
	s_delay_alu instid0(VALU_DEP_2)
	v_cmpx_ne_u32_e32 0x80, v6
	s_cbranch_execz .LBB468_5306
; %bb.5301:                             ;   in Loop: Header=BB468_3103 Depth=1
	v_bfe_u32 v7, v3, 24, 7
	v_mov_b32_e32 v2, 0x7f800001
	s_mov_b32 s24, exec_lo
	s_delay_alu instid0(VALU_DEP_2)
	v_cmpx_ne_u32_e32 0x7f, v7
	s_cbranch_execz .LBB468_5305
; %bb.5302:                             ;   in Loop: Header=BB468_3103 Depth=1
	v_and_b32_e32 v12, 7, v6
	s_mov_b32 s25, exec_lo
	s_delay_alu instid0(VALU_DEP_1)
	v_dual_mov_b32 v2, v12 :: v_dual_mov_b32 v3, v13
	v_lshrrev_b32_e32 v3, 3, v7
	v_cmpx_gt_u32_e32 8, v7
; %bb.5303:                             ;   in Loop: Header=BB468_3103 Depth=1
	v_clz_i32_u32_e32 v2, v12
	s_delay_alu instid0(VALU_DEP_1) | instskip(NEXT) | instid1(VALU_DEP_1)
	v_min_u32_e32 v7, 32, v2
	v_subrev_nc_u32_e32 v2, 28, v7
	s_delay_alu instid0(VALU_DEP_1) | instskip(SKIP_1) | instid1(VALU_DEP_2)
	v_lshlrev_b64 v[2:3], v2, v[12:13]
	v_sub_nc_u32_e32 v3, 29, v7
	v_and_b32_e32 v2, 7, v2
; %bb.5304:                             ;   in Loop: Header=BB468_3103 Depth=1
	s_or_b32 exec_lo, exec_lo, s25
	v_lshlrev_b32_e32 v6, 24, v6
	s_delay_alu instid0(VALU_DEP_2) | instskip(SKIP_1) | instid1(VALU_DEP_3)
	v_lshlrev_b32_e32 v2, 20, v2
	v_lshl_add_u32 v3, v3, 23, 0x3c000000
	v_and_b32_e32 v6, 0x80000000, v6
	s_delay_alu instid0(VALU_DEP_1)
	v_or3_b32 v2, v2, v6, v3
.LBB468_5305:                           ;   in Loop: Header=BB468_3103 Depth=1
	s_or_b32 exec_lo, exec_lo, s24
.LBB468_5306:                           ;   in Loop: Header=BB468_3103 Depth=1
	s_delay_alu instid0(SALU_CYCLE_1)
	s_or_b32 exec_lo, exec_lo, s23
.LBB468_5307:                           ;   in Loop: Header=BB468_3103 Depth=1
	s_delay_alu instid0(SALU_CYCLE_1) | instskip(NEXT) | instid1(VALU_DEP_1)
	s_or_b32 exec_lo, exec_lo, s22
	v_mul_f32_e32 v3, v26, v2
	s_delay_alu instid0(VALU_DEP_1) | instskip(NEXT) | instid1(VALU_DEP_1)
	v_and_b32_e32 v2, 0x7f800000, v3
	v_cmp_ne_u32_e64 s9, 0x7f800000, v2
                                        ; implicit-def: $vgpr2
	s_delay_alu instid0(VALU_DEP_1) | instskip(NEXT) | instid1(SALU_CYCLE_1)
	s_and_saveexec_b32 s22, s9
	s_xor_b32 s9, exec_lo, s22
; %bb.5308:                             ;   in Loop: Header=BB468_3103 Depth=1
	v_bfe_u32 v2, v3, 16, 1
	s_delay_alu instid0(VALU_DEP_1)
	v_add3_u32 v2, v3, v2, 0x7fff
                                        ; implicit-def: $vgpr3
; %bb.5309:                             ;   in Loop: Header=BB468_3103 Depth=1
	s_and_not1_saveexec_b32 s22, s9
; %bb.5310:                             ;   in Loop: Header=BB468_3103 Depth=1
	v_and_b32_e32 v2, 0xffff, v3
	v_or_b32_e32 v6, 0x10000, v3
	s_delay_alu instid0(VALU_DEP_2) | instskip(NEXT) | instid1(VALU_DEP_1)
	v_cmp_eq_u32_e64 s9, 0, v2
	v_cndmask_b32_e64 v2, v6, v3, s9
; %bb.5311:                             ;   in Loop: Header=BB468_3103 Depth=1
	s_or_b32 exec_lo, exec_lo, s22
	v_lshrrev_b32_e32 v6, 16, v9
	v_lshrrev_b32_e32 v7, 16, v8
	;; [unrolled: 1-line block ×8, first 2 shown]
	s_and_saveexec_b32 s9, s3
; %bb.5312:                             ;   in Loop: Header=BB468_3103 Depth=1
	s_delay_alu instid0(VALU_DEP_3)
	v_cndmask_b32_e32 v4, 0, v4, vcc_lo
	v_cndmask_b32_e64 v5, 0, v5, s1
	v_cndmask_b32_e64 v9, 0, v9, s2
	;; [unrolled: 1-line block ×7, first 2 shown]
; %bb.5313:                             ;   in Loop: Header=BB468_3103 Depth=1
	s_or_b32 exec_lo, exec_lo, s9
	v_lshlrev_b32_e32 v4, 16, v4
                                        ; implicit-def: $vgpr115
	s_delay_alu instid0(VALU_DEP_1) | instskip(NEXT) | instid1(VALU_DEP_1)
	v_mul_f32_e32 v4, v151, v4
	v_and_b32_e32 v10, 0x7f800000, v4
	s_delay_alu instid0(VALU_DEP_1) | instskip(NEXT) | instid1(VALU_DEP_1)
	v_cmp_ne_u32_e64 s9, 0x7f800000, v10
	s_and_saveexec_b32 s22, s9
	s_delay_alu instid0(SALU_CYCLE_1)
	s_xor_b32 s9, exec_lo, s22
; %bb.5314:                             ;   in Loop: Header=BB468_3103 Depth=1
	v_bfe_u32 v10, v4, 16, 1
	s_delay_alu instid0(VALU_DEP_1)
	v_add3_u32 v115, v4, v10, 0x7fff
                                        ; implicit-def: $vgpr4
; %bb.5315:                             ;   in Loop: Header=BB468_3103 Depth=1
	s_and_not1_saveexec_b32 s22, s9
; %bb.5316:                             ;   in Loop: Header=BB468_3103 Depth=1
	v_and_b32_e32 v10, 0xffff, v4
	v_or_b32_e32 v11, 0x10000, v4
	s_delay_alu instid0(VALU_DEP_2) | instskip(NEXT) | instid1(VALU_DEP_1)
	v_cmp_eq_u32_e64 s9, 0, v10
	v_cndmask_b32_e64 v115, v11, v4, s9
; %bb.5317:                             ;   in Loop: Header=BB468_3103 Depth=1
	s_or_b32 exec_lo, exec_lo, s22
	v_lshlrev_b32_e32 v4, 16, v5
                                        ; implicit-def: $vgpr116
	s_delay_alu instid0(VALU_DEP_1) | instskip(NEXT) | instid1(VALU_DEP_1)
	v_mul_f32_e32 v4, v160, v4
	v_and_b32_e32 v5, 0x7f800000, v4
	s_delay_alu instid0(VALU_DEP_1) | instskip(NEXT) | instid1(VALU_DEP_1)
	v_cmp_ne_u32_e64 s9, 0x7f800000, v5
	s_and_saveexec_b32 s22, s9
	s_delay_alu instid0(SALU_CYCLE_1)
	s_xor_b32 s9, exec_lo, s22
; %bb.5318:                             ;   in Loop: Header=BB468_3103 Depth=1
	v_bfe_u32 v5, v4, 16, 1
	s_delay_alu instid0(VALU_DEP_1)
	v_add3_u32 v116, v4, v5, 0x7fff
                                        ; implicit-def: $vgpr4
; %bb.5319:                             ;   in Loop: Header=BB468_3103 Depth=1
	s_and_not1_saveexec_b32 s22, s9
; %bb.5320:                             ;   in Loop: Header=BB468_3103 Depth=1
	v_and_b32_e32 v5, 0xffff, v4
	v_or_b32_e32 v10, 0x10000, v4
	s_delay_alu instid0(VALU_DEP_2) | instskip(NEXT) | instid1(VALU_DEP_1)
	v_cmp_eq_u32_e64 s9, 0, v5
	v_cndmask_b32_e64 v116, v10, v4, s9
; %bb.5321:                             ;   in Loop: Header=BB468_3103 Depth=1
	s_or_b32 exec_lo, exec_lo, s22
	v_lshlrev_b32_e32 v4, 16, v9
                                        ; implicit-def: $vgpr27
	s_delay_alu instid0(VALU_DEP_1) | instskip(NEXT) | instid1(VALU_DEP_1)
	v_mul_f32_e32 v4, v161, v4
	v_and_b32_e32 v5, 0x7f800000, v4
	s_delay_alu instid0(VALU_DEP_1) | instskip(NEXT) | instid1(VALU_DEP_1)
	v_cmp_ne_u32_e64 s9, 0x7f800000, v5
	s_and_saveexec_b32 s22, s9
	s_delay_alu instid0(SALU_CYCLE_1)
	s_xor_b32 s9, exec_lo, s22
; %bb.5322:                             ;   in Loop: Header=BB468_3103 Depth=1
	v_bfe_u32 v5, v4, 16, 1
	s_delay_alu instid0(VALU_DEP_1)
	v_add3_u32 v27, v4, v5, 0x7fff
                                        ; implicit-def: $vgpr4
; %bb.5323:                             ;   in Loop: Header=BB468_3103 Depth=1
	s_and_not1_saveexec_b32 s22, s9
; %bb.5324:                             ;   in Loop: Header=BB468_3103 Depth=1
	v_and_b32_e32 v5, 0xffff, v4
	v_or_b32_e32 v9, 0x10000, v4
	s_delay_alu instid0(VALU_DEP_2) | instskip(NEXT) | instid1(VALU_DEP_1)
	v_cmp_eq_u32_e64 s9, 0, v5
	v_cndmask_b32_e64 v27, v9, v4, s9
; %bb.5325:                             ;   in Loop: Header=BB468_3103 Depth=1
	s_or_b32 exec_lo, exec_lo, s22
	v_lshlrev_b32_e32 v4, 16, v8
                                        ; implicit-def: $vgpr10
	s_delay_alu instid0(VALU_DEP_1) | instskip(NEXT) | instid1(VALU_DEP_1)
	v_mul_f32_e32 v4, v162, v4
	v_and_b32_e32 v5, 0x7f800000, v4
	s_delay_alu instid0(VALU_DEP_1) | instskip(NEXT) | instid1(VALU_DEP_1)
	v_cmp_ne_u32_e64 s9, 0x7f800000, v5
	s_and_saveexec_b32 s22, s9
	s_delay_alu instid0(SALU_CYCLE_1)
	s_xor_b32 s9, exec_lo, s22
; %bb.5326:                             ;   in Loop: Header=BB468_3103 Depth=1
	v_bfe_u32 v5, v4, 16, 1
	s_delay_alu instid0(VALU_DEP_1)
	v_add3_u32 v10, v4, v5, 0x7fff
                                        ; implicit-def: $vgpr4
; %bb.5327:                             ;   in Loop: Header=BB468_3103 Depth=1
	s_and_not1_saveexec_b32 s22, s9
; %bb.5328:                             ;   in Loop: Header=BB468_3103 Depth=1
	v_and_b32_e32 v5, 0xffff, v4
	v_or_b32_e32 v8, 0x10000, v4
	s_delay_alu instid0(VALU_DEP_2) | instskip(NEXT) | instid1(VALU_DEP_1)
	v_cmp_eq_u32_e64 s9, 0, v5
	v_cndmask_b32_e64 v10, v8, v4, s9
; %bb.5329:                             ;   in Loop: Header=BB468_3103 Depth=1
	s_or_b32 exec_lo, exec_lo, s22
	v_lshlrev_b32_e32 v4, 16, v7
                                        ; implicit-def: $vgpr11
	s_delay_alu instid0(VALU_DEP_1) | instskip(NEXT) | instid1(VALU_DEP_1)
	v_mul_f32_e32 v4, v163, v4
	v_and_b32_e32 v5, 0x7f800000, v4
	s_delay_alu instid0(VALU_DEP_1) | instskip(NEXT) | instid1(VALU_DEP_1)
	v_cmp_ne_u32_e64 s9, 0x7f800000, v5
	s_and_saveexec_b32 s22, s9
	s_delay_alu instid0(SALU_CYCLE_1)
	s_xor_b32 s9, exec_lo, s22
; %bb.5330:                             ;   in Loop: Header=BB468_3103 Depth=1
	v_bfe_u32 v5, v4, 16, 1
	s_delay_alu instid0(VALU_DEP_1)
	v_add3_u32 v11, v4, v5, 0x7fff
                                        ; implicit-def: $vgpr4
; %bb.5331:                             ;   in Loop: Header=BB468_3103 Depth=1
	s_and_not1_saveexec_b32 s22, s9
; %bb.5332:                             ;   in Loop: Header=BB468_3103 Depth=1
	v_and_b32_e32 v5, 0xffff, v4
	v_or_b32_e32 v7, 0x10000, v4
	s_delay_alu instid0(VALU_DEP_2) | instskip(NEXT) | instid1(VALU_DEP_1)
	v_cmp_eq_u32_e64 s9, 0, v5
	v_cndmask_b32_e64 v11, v7, v4, s9
; %bb.5333:                             ;   in Loop: Header=BB468_3103 Depth=1
	s_or_b32 exec_lo, exec_lo, s22
	v_lshlrev_b32_e32 v4, 16, v6
                                        ; implicit-def: $vgpr19
	s_delay_alu instid0(VALU_DEP_1) | instskip(NEXT) | instid1(VALU_DEP_1)
	v_mul_f32_e32 v4, v164, v4
	v_and_b32_e32 v5, 0x7f800000, v4
	s_delay_alu instid0(VALU_DEP_1) | instskip(NEXT) | instid1(VALU_DEP_1)
	v_cmp_ne_u32_e64 s9, 0x7f800000, v5
	s_and_saveexec_b32 s22, s9
	s_delay_alu instid0(SALU_CYCLE_1)
	s_xor_b32 s9, exec_lo, s22
; %bb.5334:                             ;   in Loop: Header=BB468_3103 Depth=1
	v_bfe_u32 v5, v4, 16, 1
	s_delay_alu instid0(VALU_DEP_1)
	v_add3_u32 v19, v4, v5, 0x7fff
                                        ; implicit-def: $vgpr4
; %bb.5335:                             ;   in Loop: Header=BB468_3103 Depth=1
	s_and_not1_saveexec_b32 s22, s9
; %bb.5336:                             ;   in Loop: Header=BB468_3103 Depth=1
	v_and_b32_e32 v5, 0xffff, v4
	v_or_b32_e32 v6, 0x10000, v4
	s_delay_alu instid0(VALU_DEP_2) | instskip(NEXT) | instid1(VALU_DEP_1)
	v_cmp_eq_u32_e64 s9, 0, v5
	v_cndmask_b32_e64 v19, v6, v4, s9
; %bb.5337:                             ;   in Loop: Header=BB468_3103 Depth=1
	s_or_b32 exec_lo, exec_lo, s22
	v_lshlrev_b32_e32 v3, 16, v3
                                        ; implicit-def: $vgpr20
	s_delay_alu instid0(VALU_DEP_1) | instskip(NEXT) | instid1(VALU_DEP_1)
	v_mul_f32_e32 v3, v165, v3
	v_and_b32_e32 v4, 0x7f800000, v3
	s_delay_alu instid0(VALU_DEP_1) | instskip(NEXT) | instid1(VALU_DEP_1)
	v_cmp_ne_u32_e64 s9, 0x7f800000, v4
	s_and_saveexec_b32 s22, s9
	s_delay_alu instid0(SALU_CYCLE_1)
	s_xor_b32 s9, exec_lo, s22
; %bb.5338:                             ;   in Loop: Header=BB468_3103 Depth=1
	v_bfe_u32 v4, v3, 16, 1
	s_delay_alu instid0(VALU_DEP_1)
	v_add3_u32 v20, v3, v4, 0x7fff
                                        ; implicit-def: $vgpr3
; %bb.5339:                             ;   in Loop: Header=BB468_3103 Depth=1
	s_and_not1_saveexec_b32 s22, s9
; %bb.5340:                             ;   in Loop: Header=BB468_3103 Depth=1
	v_and_b32_e32 v4, 0xffff, v3
	v_or_b32_e32 v5, 0x10000, v3
	s_delay_alu instid0(VALU_DEP_2) | instskip(NEXT) | instid1(VALU_DEP_1)
	v_cmp_eq_u32_e64 s9, 0, v4
	v_cndmask_b32_e64 v20, v5, v3, s9
; %bb.5341:                             ;   in Loop: Header=BB468_3103 Depth=1
	s_or_b32 exec_lo, exec_lo, s22
	v_lshlrev_b32_e32 v2, 16, v2
                                        ; implicit-def: $vgpr23
	s_delay_alu instid0(VALU_DEP_1) | instskip(NEXT) | instid1(VALU_DEP_1)
	v_mul_f32_e32 v2, v166, v2
	v_and_b32_e32 v3, 0x7f800000, v2
	s_delay_alu instid0(VALU_DEP_1) | instskip(NEXT) | instid1(VALU_DEP_1)
	v_cmp_ne_u32_e64 s9, 0x7f800000, v3
	s_and_saveexec_b32 s22, s9
	s_delay_alu instid0(SALU_CYCLE_1)
	s_xor_b32 s9, exec_lo, s22
; %bb.5342:                             ;   in Loop: Header=BB468_3103 Depth=1
	v_bfe_u32 v3, v2, 16, 1
	s_delay_alu instid0(VALU_DEP_1)
	v_add3_u32 v23, v2, v3, 0x7fff
                                        ; implicit-def: $vgpr2
; %bb.5343:                             ;   in Loop: Header=BB468_3103 Depth=1
	s_and_not1_saveexec_b32 s22, s9
; %bb.5344:                             ;   in Loop: Header=BB468_3103 Depth=1
	v_and_b32_e32 v3, 0xffff, v2
	v_or_b32_e32 v4, 0x10000, v2
	s_delay_alu instid0(VALU_DEP_2) | instskip(NEXT) | instid1(VALU_DEP_1)
	v_cmp_eq_u32_e64 s9, 0, v3
	v_cndmask_b32_e64 v23, v4, v2, s9
; %bb.5345:                             ;   in Loop: Header=BB468_3103 Depth=1
	s_or_b32 exec_lo, exec_lo, s22
	scratch_load_b32 v2, off, s32 offset:820 ; 4-byte Folded Reload
	s_mov_b32 s22, exec_lo
	v_mov_b32_e32 v4, 0
	s_waitcnt vmcnt(0)
	v_add_co_u32 v2, s9, v0, v2
	s_delay_alu instid0(VALU_DEP_1) | instskip(SKIP_3) | instid1(VALU_DEP_1)
	v_add_co_ci_u32_e64 v3, s9, 0, v1, s9
	flat_load_b64 v[2:3], v[2:3]
	s_waitcnt vmcnt(0) lgkmcnt(0)
	v_and_b32_e32 v5, 0xff, v2
	v_cmpx_ne_u16_e32 0, v5
	s_cbranch_execz .LBB468_5353
; %bb.5346:                             ;   in Loop: Header=BB468_3103 Depth=1
	v_bfrev_b32_e32 v4, 1
	s_mov_b32 s23, exec_lo
	v_cmpx_ne_u16_e32 0x80, v5
	s_cbranch_execz .LBB468_5352
; %bb.5347:                             ;   in Loop: Header=BB468_3103 Depth=1
	v_and_b32_e32 v5, 0x7f, v2
	v_mov_b32_e32 v4, 0x7f800001
	s_mov_b32 s24, exec_lo
	s_delay_alu instid0(VALU_DEP_2)
	v_cmpx_ne_u32_e32 0x7f, v5
	s_cbranch_execz .LBB468_5351
; %bb.5348:                             ;   in Loop: Header=BB468_3103 Depth=1
	v_lshrrev_b32_e32 v4, 3, v5
	v_dual_mov_b32 v7, v3 :: v_dual_mov_b32 v6, v2
	s_mov_b32 s25, exec_lo
	v_cmpx_gt_u32_e32 8, v5
; %bb.5349:                             ;   in Loop: Header=BB468_3103 Depth=1
	v_and_b32_e32 v4, 7, v2
	s_delay_alu instid0(VALU_DEP_1) | instskip(NEXT) | instid1(VALU_DEP_1)
	v_clz_i32_u32_e32 v4, v4
	v_min_u32_e32 v4, 32, v4
	s_delay_alu instid0(VALU_DEP_1) | instskip(SKIP_1) | instid1(VALU_DEP_2)
	v_subrev_nc_u32_e32 v5, 28, v4
	v_sub_nc_u32_e32 v4, 29, v4
	v_lshlrev_b64 v[6:7], v5, v[2:3]
; %bb.5350:                             ;   in Loop: Header=BB468_3103 Depth=1
	s_or_b32 exec_lo, exec_lo, s25
	s_delay_alu instid0(VALU_DEP_1) | instskip(SKIP_2) | instid1(VALU_DEP_3)
	v_lshlrev_b32_e32 v5, 20, v6
	v_lshlrev_b32_e32 v6, 24, v2
	v_lshl_add_u32 v4, v4, 23, 0x3c000000
	v_and_b32_e32 v5, 0x700000, v5
	s_delay_alu instid0(VALU_DEP_3) | instskip(NEXT) | instid1(VALU_DEP_1)
	v_and_b32_e32 v6, 0x80000000, v6
	v_or3_b32 v4, v5, v6, v4
.LBB468_5351:                           ;   in Loop: Header=BB468_3103 Depth=1
	s_or_b32 exec_lo, exec_lo, s24
.LBB468_5352:                           ;   in Loop: Header=BB468_3103 Depth=1
	s_delay_alu instid0(SALU_CYCLE_1)
	s_or_b32 exec_lo, exec_lo, s23
.LBB468_5353:                           ;   in Loop: Header=BB468_3103 Depth=1
	s_delay_alu instid0(SALU_CYCLE_1) | instskip(NEXT) | instid1(VALU_DEP_1)
	s_or_b32 exec_lo, exec_lo, s22
	v_mul_f32_e32 v5, v26, v4
	s_delay_alu instid0(VALU_DEP_1) | instskip(NEXT) | instid1(VALU_DEP_1)
	v_and_b32_e32 v4, 0x7f800000, v5
	v_cmp_ne_u32_e64 s9, 0x7f800000, v4
                                        ; implicit-def: $vgpr4
	s_delay_alu instid0(VALU_DEP_1) | instskip(NEXT) | instid1(SALU_CYCLE_1)
	s_and_saveexec_b32 s22, s9
	s_xor_b32 s9, exec_lo, s22
; %bb.5354:                             ;   in Loop: Header=BB468_3103 Depth=1
	v_bfe_u32 v4, v5, 16, 1
	s_delay_alu instid0(VALU_DEP_1)
	v_add3_u32 v4, v5, v4, 0x7fff
                                        ; implicit-def: $vgpr5
; %bb.5355:                             ;   in Loop: Header=BB468_3103 Depth=1
	s_and_not1_saveexec_b32 s22, s9
; %bb.5356:                             ;   in Loop: Header=BB468_3103 Depth=1
	v_and_b32_e32 v4, 0xffff, v5
	v_or_b32_e32 v6, 0x10000, v5
	s_delay_alu instid0(VALU_DEP_2) | instskip(NEXT) | instid1(VALU_DEP_1)
	v_cmp_eq_u32_e64 s9, 0, v4
	v_cndmask_b32_e64 v4, v6, v5, s9
; %bb.5357:                             ;   in Loop: Header=BB468_3103 Depth=1
	s_or_b32 exec_lo, exec_lo, s22
	v_lshrrev_b16 v6, 8, v2
	v_mov_b32_e32 v5, 0
	s_mov_b32 s22, exec_lo
	s_delay_alu instid0(VALU_DEP_2)
	v_cmpx_ne_u16_e32 0, v6
	s_cbranch_execz .LBB468_5365
; %bb.5358:                             ;   in Loop: Header=BB468_3103 Depth=1
	v_bfrev_b32_e32 v5, 1
	s_mov_b32 s23, exec_lo
	v_cmpx_ne_u16_e32 0x80, v6
	s_cbranch_execz .LBB468_5364
; %bb.5359:                             ;   in Loop: Header=BB468_3103 Depth=1
	v_and_b32_e32 v6, 0xffff, v6
	v_mov_b32_e32 v5, 0x7f800001
	s_mov_b32 s24, exec_lo
	s_delay_alu instid0(VALU_DEP_2) | instskip(NEXT) | instid1(VALU_DEP_1)
	v_and_b32_e32 v8, 0x7f, v6
	v_cmpx_ne_u32_e32 0x7f, v8
	s_cbranch_execz .LBB468_5363
; %bb.5360:                             ;   in Loop: Header=BB468_3103 Depth=1
	v_and_b32_e32 v12, 7, v6
	v_lshrrev_b32_e32 v5, 3, v8
	s_mov_b32 s25, exec_lo
	s_delay_alu instid0(VALU_DEP_2)
	v_dual_mov_b32 v6, v12 :: v_dual_mov_b32 v7, v13
	v_cmpx_gt_u32_e32 8, v8
; %bb.5361:                             ;   in Loop: Header=BB468_3103 Depth=1
	v_clz_i32_u32_e32 v5, v12
	s_delay_alu instid0(VALU_DEP_1) | instskip(NEXT) | instid1(VALU_DEP_1)
	v_min_u32_e32 v5, 32, v5
	v_subrev_nc_u32_e32 v6, 28, v5
	v_sub_nc_u32_e32 v5, 29, v5
	s_delay_alu instid0(VALU_DEP_2) | instskip(NEXT) | instid1(VALU_DEP_1)
	v_lshlrev_b64 v[6:7], v6, v[12:13]
	v_and_b32_e32 v6, 7, v6
; %bb.5362:                             ;   in Loop: Header=BB468_3103 Depth=1
	s_or_b32 exec_lo, exec_lo, s25
	v_lshlrev_b32_e32 v7, 16, v2
	s_delay_alu instid0(VALU_DEP_2) | instskip(SKIP_1) | instid1(VALU_DEP_3)
	v_lshlrev_b32_e32 v6, 20, v6
	v_lshl_add_u32 v5, v5, 23, 0x3c000000
	v_and_b32_e32 v7, 0x80000000, v7
	s_delay_alu instid0(VALU_DEP_1)
	v_or3_b32 v5, v6, v7, v5
.LBB468_5363:                           ;   in Loop: Header=BB468_3103 Depth=1
	s_or_b32 exec_lo, exec_lo, s24
.LBB468_5364:                           ;   in Loop: Header=BB468_3103 Depth=1
	s_delay_alu instid0(SALU_CYCLE_1)
	s_or_b32 exec_lo, exec_lo, s23
.LBB468_5365:                           ;   in Loop: Header=BB468_3103 Depth=1
	s_delay_alu instid0(SALU_CYCLE_1) | instskip(NEXT) | instid1(VALU_DEP_1)
	s_or_b32 exec_lo, exec_lo, s22
	v_mul_f32_e32 v6, v26, v5
	s_delay_alu instid0(VALU_DEP_1) | instskip(NEXT) | instid1(VALU_DEP_1)
	v_and_b32_e32 v5, 0x7f800000, v6
	v_cmp_ne_u32_e64 s9, 0x7f800000, v5
                                        ; implicit-def: $vgpr5
	s_delay_alu instid0(VALU_DEP_1) | instskip(NEXT) | instid1(SALU_CYCLE_1)
	s_and_saveexec_b32 s22, s9
	s_xor_b32 s9, exec_lo, s22
; %bb.5366:                             ;   in Loop: Header=BB468_3103 Depth=1
	v_bfe_u32 v5, v6, 16, 1
	s_delay_alu instid0(VALU_DEP_1)
	v_add3_u32 v5, v6, v5, 0x7fff
                                        ; implicit-def: $vgpr6
; %bb.5367:                             ;   in Loop: Header=BB468_3103 Depth=1
	s_and_not1_saveexec_b32 s22, s9
; %bb.5368:                             ;   in Loop: Header=BB468_3103 Depth=1
	v_and_b32_e32 v5, 0xffff, v6
	v_or_b32_e32 v7, 0x10000, v6
	s_delay_alu instid0(VALU_DEP_2) | instskip(NEXT) | instid1(VALU_DEP_1)
	v_cmp_eq_u32_e64 s9, 0, v5
	v_cndmask_b32_e64 v5, v7, v6, s9
; %bb.5369:                             ;   in Loop: Header=BB468_3103 Depth=1
	s_or_b32 exec_lo, exec_lo, s22
	v_lshrrev_b32_e32 v8, 16, v2
	s_mov_b32 s22, exec_lo
	s_delay_alu instid0(VALU_DEP_1) | instskip(NEXT) | instid1(VALU_DEP_1)
	v_dual_mov_b32 v6, 0 :: v_dual_and_b32 v7, 0xff, v8
	v_cmpx_ne_u16_e32 0, v7
	s_cbranch_execz .LBB468_5377
; %bb.5370:                             ;   in Loop: Header=BB468_3103 Depth=1
	v_bfrev_b32_e32 v6, 1
	s_mov_b32 s23, exec_lo
	v_cmpx_ne_u16_e32 0x80, v7
	s_cbranch_execz .LBB468_5376
; %bb.5371:                             ;   in Loop: Header=BB468_3103 Depth=1
	v_bfe_u32 v9, v2, 16, 7
	v_mov_b32_e32 v6, 0x7f800001
	s_mov_b32 s24, exec_lo
	s_delay_alu instid0(VALU_DEP_2)
	v_cmpx_ne_u32_e32 0x7f, v9
	s_cbranch_execz .LBB468_5375
; %bb.5372:                             ;   in Loop: Header=BB468_3103 Depth=1
	v_and_b32_e32 v12, 7, v8
	s_mov_b32 s25, exec_lo
	s_delay_alu instid0(VALU_DEP_1)
	v_dual_mov_b32 v6, v12 :: v_dual_mov_b32 v7, v13
	v_lshrrev_b32_e32 v7, 3, v9
	v_cmpx_gt_u32_e32 8, v9
; %bb.5373:                             ;   in Loop: Header=BB468_3103 Depth=1
	v_clz_i32_u32_e32 v6, v12
	s_delay_alu instid0(VALU_DEP_1) | instskip(NEXT) | instid1(VALU_DEP_1)
	v_min_u32_e32 v9, 32, v6
	v_subrev_nc_u32_e32 v6, 28, v9
	s_delay_alu instid0(VALU_DEP_1) | instskip(SKIP_1) | instid1(VALU_DEP_2)
	v_lshlrev_b64 v[6:7], v6, v[12:13]
	v_sub_nc_u32_e32 v7, 29, v9
	v_and_b32_e32 v6, 7, v6
; %bb.5374:                             ;   in Loop: Header=BB468_3103 Depth=1
	s_or_b32 exec_lo, exec_lo, s25
	v_lshlrev_b32_e32 v8, 24, v8
	s_delay_alu instid0(VALU_DEP_2) | instskip(SKIP_1) | instid1(VALU_DEP_3)
	v_lshlrev_b32_e32 v6, 20, v6
	v_lshl_add_u32 v7, v7, 23, 0x3c000000
	v_and_b32_e32 v8, 0x80000000, v8
	s_delay_alu instid0(VALU_DEP_1)
	v_or3_b32 v6, v6, v8, v7
.LBB468_5375:                           ;   in Loop: Header=BB468_3103 Depth=1
	s_or_b32 exec_lo, exec_lo, s24
.LBB468_5376:                           ;   in Loop: Header=BB468_3103 Depth=1
	s_delay_alu instid0(SALU_CYCLE_1)
	s_or_b32 exec_lo, exec_lo, s23
.LBB468_5377:                           ;   in Loop: Header=BB468_3103 Depth=1
	s_delay_alu instid0(SALU_CYCLE_1) | instskip(NEXT) | instid1(VALU_DEP_1)
	s_or_b32 exec_lo, exec_lo, s22
	v_mul_f32_e32 v6, v26, v6
                                        ; implicit-def: $vgpr18
	s_delay_alu instid0(VALU_DEP_1) | instskip(NEXT) | instid1(VALU_DEP_1)
	v_and_b32_e32 v7, 0x7f800000, v6
	v_cmp_ne_u32_e64 s9, 0x7f800000, v7
	s_delay_alu instid0(VALU_DEP_1) | instskip(NEXT) | instid1(SALU_CYCLE_1)
	s_and_saveexec_b32 s22, s9
	s_xor_b32 s9, exec_lo, s22
; %bb.5378:                             ;   in Loop: Header=BB468_3103 Depth=1
	v_bfe_u32 v7, v6, 16, 1
	s_delay_alu instid0(VALU_DEP_1)
	v_add3_u32 v18, v6, v7, 0x7fff
                                        ; implicit-def: $vgpr6
; %bb.5379:                             ;   in Loop: Header=BB468_3103 Depth=1
	s_and_not1_saveexec_b32 s22, s9
; %bb.5380:                             ;   in Loop: Header=BB468_3103 Depth=1
	v_and_b32_e32 v7, 0xffff, v6
	v_or_b32_e32 v8, 0x10000, v6
	s_delay_alu instid0(VALU_DEP_2) | instskip(NEXT) | instid1(VALU_DEP_1)
	v_cmp_eq_u32_e64 s9, 0, v7
	v_cndmask_b32_e64 v18, v8, v6, s9
; %bb.5381:                             ;   in Loop: Header=BB468_3103 Depth=1
	s_or_b32 exec_lo, exec_lo, s22
	v_mov_b32_e32 v6, 0
	s_mov_b32 s22, exec_lo
	v_cmpx_lt_u32_e32 0xffffff, v2
	s_cbranch_execz .LBB468_5389
; %bb.5382:                             ;   in Loop: Header=BB468_3103 Depth=1
	v_lshrrev_b32_e32 v8, 24, v2
	v_bfrev_b32_e32 v6, 1
	s_mov_b32 s23, exec_lo
	s_delay_alu instid0(VALU_DEP_2)
	v_cmpx_ne_u32_e32 0x80, v8
	s_cbranch_execz .LBB468_5388
; %bb.5383:                             ;   in Loop: Header=BB468_3103 Depth=1
	v_bfe_u32 v9, v2, 24, 7
	v_mov_b32_e32 v6, 0x7f800001
	s_mov_b32 s24, exec_lo
	s_delay_alu instid0(VALU_DEP_2)
	v_cmpx_ne_u32_e32 0x7f, v9
	s_cbranch_execz .LBB468_5387
; %bb.5384:                             ;   in Loop: Header=BB468_3103 Depth=1
	v_and_b32_e32 v12, 7, v8
	s_mov_b32 s25, exec_lo
	s_delay_alu instid0(VALU_DEP_1)
	v_dual_mov_b32 v6, v12 :: v_dual_mov_b32 v7, v13
	v_lshrrev_b32_e32 v7, 3, v9
	v_cmpx_gt_u32_e32 8, v9
; %bb.5385:                             ;   in Loop: Header=BB468_3103 Depth=1
	v_clz_i32_u32_e32 v6, v12
	s_delay_alu instid0(VALU_DEP_1) | instskip(NEXT) | instid1(VALU_DEP_1)
	v_min_u32_e32 v9, 32, v6
	v_subrev_nc_u32_e32 v6, 28, v9
	s_delay_alu instid0(VALU_DEP_1) | instskip(SKIP_1) | instid1(VALU_DEP_2)
	v_lshlrev_b64 v[6:7], v6, v[12:13]
	v_sub_nc_u32_e32 v7, 29, v9
	v_and_b32_e32 v6, 7, v6
; %bb.5386:                             ;   in Loop: Header=BB468_3103 Depth=1
	s_or_b32 exec_lo, exec_lo, s25
	v_lshlrev_b32_e32 v8, 24, v8
	s_delay_alu instid0(VALU_DEP_2) | instskip(SKIP_1) | instid1(VALU_DEP_3)
	v_lshlrev_b32_e32 v6, 20, v6
	v_lshl_add_u32 v7, v7, 23, 0x3c000000
	v_and_b32_e32 v8, 0x80000000, v8
	s_delay_alu instid0(VALU_DEP_1)
	v_or3_b32 v6, v6, v8, v7
.LBB468_5387:                           ;   in Loop: Header=BB468_3103 Depth=1
	s_or_b32 exec_lo, exec_lo, s24
.LBB468_5388:                           ;   in Loop: Header=BB468_3103 Depth=1
	s_delay_alu instid0(SALU_CYCLE_1)
	s_or_b32 exec_lo, exec_lo, s23
.LBB468_5389:                           ;   in Loop: Header=BB468_3103 Depth=1
	s_delay_alu instid0(SALU_CYCLE_1) | instskip(NEXT) | instid1(VALU_DEP_1)
	s_or_b32 exec_lo, exec_lo, s22
	v_mul_f32_e32 v6, v26, v6
                                        ; implicit-def: $vgpr22
	s_delay_alu instid0(VALU_DEP_1) | instskip(NEXT) | instid1(VALU_DEP_1)
	v_and_b32_e32 v7, 0x7f800000, v6
	v_cmp_ne_u32_e64 s9, 0x7f800000, v7
	s_delay_alu instid0(VALU_DEP_1) | instskip(NEXT) | instid1(SALU_CYCLE_1)
	s_and_saveexec_b32 s22, s9
	s_xor_b32 s9, exec_lo, s22
; %bb.5390:                             ;   in Loop: Header=BB468_3103 Depth=1
	v_bfe_u32 v7, v6, 16, 1
	s_delay_alu instid0(VALU_DEP_1)
	v_add3_u32 v22, v6, v7, 0x7fff
                                        ; implicit-def: $vgpr6
; %bb.5391:                             ;   in Loop: Header=BB468_3103 Depth=1
	s_and_not1_saveexec_b32 s22, s9
; %bb.5392:                             ;   in Loop: Header=BB468_3103 Depth=1
	v_and_b32_e32 v7, 0xffff, v6
	v_or_b32_e32 v8, 0x10000, v6
	s_delay_alu instid0(VALU_DEP_2) | instskip(NEXT) | instid1(VALU_DEP_1)
	v_cmp_eq_u32_e64 s9, 0, v7
	v_cndmask_b32_e64 v22, v8, v6, s9
; %bb.5393:                             ;   in Loop: Header=BB468_3103 Depth=1
	s_or_b32 exec_lo, exec_lo, s22
	v_dual_mov_b32 v12, v3 :: v_dual_and_b32 v7, 0xff, v3
	v_mov_b32_e32 v6, 0
	s_mov_b32 s22, exec_lo
	s_delay_alu instid0(VALU_DEP_2)
	v_cmpx_ne_u16_e32 0, v7
	s_cbranch_execz .LBB468_5401
; %bb.5394:                             ;   in Loop: Header=BB468_3103 Depth=1
	v_bfrev_b32_e32 v6, 1
	s_mov_b32 s23, exec_lo
	v_cmpx_ne_u16_e32 0x80, v7
	s_cbranch_execz .LBB468_5400
; %bb.5395:                             ;   in Loop: Header=BB468_3103 Depth=1
	v_and_b32_e32 v8, 0x7f, v3
	v_mov_b32_e32 v6, 0x7f800001
	s_mov_b32 s24, exec_lo
	s_delay_alu instid0(VALU_DEP_2)
	v_cmpx_ne_u32_e32 0x7f, v8
	s_cbranch_execz .LBB468_5399
; %bb.5396:                             ;   in Loop: Header=BB468_3103 Depth=1
	v_dual_mov_b32 v6, v12 :: v_dual_mov_b32 v7, v13
	v_lshrrev_b32_e32 v7, 3, v8
	s_mov_b32 s25, exec_lo
	v_cmpx_gt_u32_e32 8, v8
; %bb.5397:                             ;   in Loop: Header=BB468_3103 Depth=1
	v_and_b32_e32 v6, 7, v3
	s_delay_alu instid0(VALU_DEP_1) | instskip(NEXT) | instid1(VALU_DEP_1)
	v_clz_i32_u32_e32 v6, v6
	v_min_u32_e32 v8, 32, v6
	s_delay_alu instid0(VALU_DEP_1) | instskip(NEXT) | instid1(VALU_DEP_1)
	v_subrev_nc_u32_e32 v6, 28, v8
	v_lshlrev_b64 v[6:7], v6, v[12:13]
	v_sub_nc_u32_e32 v7, 29, v8
; %bb.5398:                             ;   in Loop: Header=BB468_3103 Depth=1
	s_or_b32 exec_lo, exec_lo, s25
	s_delay_alu instid0(VALU_DEP_2) | instskip(SKIP_1) | instid1(VALU_DEP_3)
	v_lshlrev_b32_e32 v6, 20, v6
	v_lshlrev_b32_e32 v8, 24, v12
	v_lshl_add_u32 v7, v7, 23, 0x3c000000
	s_delay_alu instid0(VALU_DEP_3) | instskip(NEXT) | instid1(VALU_DEP_3)
	v_and_b32_e32 v6, 0x700000, v6
	v_and_b32_e32 v8, 0x80000000, v8
	s_delay_alu instid0(VALU_DEP_1)
	v_or3_b32 v6, v6, v8, v7
.LBB468_5399:                           ;   in Loop: Header=BB468_3103 Depth=1
	s_or_b32 exec_lo, exec_lo, s24
.LBB468_5400:                           ;   in Loop: Header=BB468_3103 Depth=1
	s_delay_alu instid0(SALU_CYCLE_1)
	s_or_b32 exec_lo, exec_lo, s23
.LBB468_5401:                           ;   in Loop: Header=BB468_3103 Depth=1
	s_delay_alu instid0(SALU_CYCLE_1) | instskip(NEXT) | instid1(VALU_DEP_1)
	s_or_b32 exec_lo, exec_lo, s22
	v_mul_f32_e32 v6, v26, v6
                                        ; implicit-def: $vgpr8
	s_delay_alu instid0(VALU_DEP_1) | instskip(NEXT) | instid1(VALU_DEP_1)
	v_and_b32_e32 v7, 0x7f800000, v6
	v_cmp_ne_u32_e64 s9, 0x7f800000, v7
	s_delay_alu instid0(VALU_DEP_1) | instskip(NEXT) | instid1(SALU_CYCLE_1)
	s_and_saveexec_b32 s22, s9
	s_xor_b32 s9, exec_lo, s22
; %bb.5402:                             ;   in Loop: Header=BB468_3103 Depth=1
	v_bfe_u32 v7, v6, 16, 1
	s_delay_alu instid0(VALU_DEP_1)
	v_add3_u32 v8, v6, v7, 0x7fff
                                        ; implicit-def: $vgpr6
; %bb.5403:                             ;   in Loop: Header=BB468_3103 Depth=1
	s_and_not1_saveexec_b32 s22, s9
; %bb.5404:                             ;   in Loop: Header=BB468_3103 Depth=1
	v_and_b32_e32 v7, 0xffff, v6
	v_or_b32_e32 v8, 0x10000, v6
	s_delay_alu instid0(VALU_DEP_2) | instskip(NEXT) | instid1(VALU_DEP_1)
	v_cmp_eq_u32_e64 s9, 0, v7
	v_cndmask_b32_e64 v8, v8, v6, s9
; %bb.5405:                             ;   in Loop: Header=BB468_3103 Depth=1
	s_or_b32 exec_lo, exec_lo, s22
	v_lshrrev_b16 v7, 8, v12
	v_mov_b32_e32 v6, 0
	s_mov_b32 s22, exec_lo
	s_delay_alu instid0(VALU_DEP_2)
	v_cmpx_ne_u16_e32 0, v7
	s_cbranch_execz .LBB468_5413
; %bb.5406:                             ;   in Loop: Header=BB468_3103 Depth=1
	v_bfrev_b32_e32 v6, 1
	s_mov_b32 s23, exec_lo
	v_cmpx_ne_u16_e32 0x80, v7
	s_cbranch_execz .LBB468_5412
; %bb.5407:                             ;   in Loop: Header=BB468_3103 Depth=1
	v_and_b32_e32 v7, 0xffff, v7
	v_mov_b32_e32 v6, 0x7f800001
	s_mov_b32 s24, exec_lo
	s_delay_alu instid0(VALU_DEP_2) | instskip(NEXT) | instid1(VALU_DEP_1)
	v_and_b32_e32 v34, 0x7f, v7
	v_cmpx_ne_u32_e32 0x7f, v34
	s_cbranch_execz .LBB468_5411
; %bb.5408:                             ;   in Loop: Header=BB468_3103 Depth=1
	v_dual_mov_b32 v7, v13 :: v_dual_and_b32 v6, 7, v7
	v_lshrrev_b32_e32 v9, 3, v34
	s_mov_b32 s25, exec_lo
	v_cmpx_gt_u32_e32 8, v34
; %bb.5409:                             ;   in Loop: Header=BB468_3103 Depth=1
	s_delay_alu instid0(VALU_DEP_3) | instskip(NEXT) | instid1(VALU_DEP_1)
	v_clz_i32_u32_e32 v9, v6
	v_min_u32_e32 v9, 32, v9
	s_delay_alu instid0(VALU_DEP_1) | instskip(SKIP_1) | instid1(VALU_DEP_2)
	v_subrev_nc_u32_e32 v34, 28, v9
	v_sub_nc_u32_e32 v9, 29, v9
	v_lshlrev_b64 v[6:7], v34, v[6:7]
	s_delay_alu instid0(VALU_DEP_1)
	v_and_b32_e32 v6, 7, v6
; %bb.5410:                             ;   in Loop: Header=BB468_3103 Depth=1
	s_or_b32 exec_lo, exec_lo, s25
	v_lshlrev_b32_e32 v7, 16, v12
	s_delay_alu instid0(VALU_DEP_2) | instskip(SKIP_1) | instid1(VALU_DEP_3)
	v_lshlrev_b32_e32 v6, 20, v6
	v_lshl_add_u32 v9, v9, 23, 0x3c000000
	v_and_b32_e32 v7, 0x80000000, v7
	s_delay_alu instid0(VALU_DEP_1)
	v_or3_b32 v6, v6, v7, v9
.LBB468_5411:                           ;   in Loop: Header=BB468_3103 Depth=1
	s_or_b32 exec_lo, exec_lo, s24
.LBB468_5412:                           ;   in Loop: Header=BB468_3103 Depth=1
	s_delay_alu instid0(SALU_CYCLE_1)
	s_or_b32 exec_lo, exec_lo, s23
.LBB468_5413:                           ;   in Loop: Header=BB468_3103 Depth=1
	s_delay_alu instid0(SALU_CYCLE_1) | instskip(NEXT) | instid1(VALU_DEP_1)
	s_or_b32 exec_lo, exec_lo, s22
	v_mul_f32_e32 v6, v26, v6
                                        ; implicit-def: $vgpr9
	s_delay_alu instid0(VALU_DEP_1) | instskip(NEXT) | instid1(VALU_DEP_1)
	v_and_b32_e32 v7, 0x7f800000, v6
	v_cmp_ne_u32_e64 s9, 0x7f800000, v7
	s_delay_alu instid0(VALU_DEP_1) | instskip(NEXT) | instid1(SALU_CYCLE_1)
	s_and_saveexec_b32 s22, s9
	s_xor_b32 s9, exec_lo, s22
; %bb.5414:                             ;   in Loop: Header=BB468_3103 Depth=1
	v_bfe_u32 v7, v6, 16, 1
	s_delay_alu instid0(VALU_DEP_1)
	v_add3_u32 v9, v6, v7, 0x7fff
                                        ; implicit-def: $vgpr6
; %bb.5415:                             ;   in Loop: Header=BB468_3103 Depth=1
	s_and_not1_saveexec_b32 s22, s9
; %bb.5416:                             ;   in Loop: Header=BB468_3103 Depth=1
	v_and_b32_e32 v7, 0xffff, v6
	v_or_b32_e32 v9, 0x10000, v6
	s_delay_alu instid0(VALU_DEP_2) | instskip(NEXT) | instid1(VALU_DEP_1)
	v_cmp_eq_u32_e64 s9, 0, v7
	v_cndmask_b32_e64 v9, v9, v6, s9
; %bb.5417:                             ;   in Loop: Header=BB468_3103 Depth=1
	s_or_b32 exec_lo, exec_lo, s22
	v_lshrrev_b32_e32 v34, 16, v3
	s_mov_b32 s22, exec_lo
	s_delay_alu instid0(VALU_DEP_1) | instskip(NEXT) | instid1(VALU_DEP_1)
	v_dual_mov_b32 v6, 0 :: v_dual_and_b32 v7, 0xff, v34
	v_cmpx_ne_u16_e32 0, v7
	s_cbranch_execz .LBB468_5425
; %bb.5418:                             ;   in Loop: Header=BB468_3103 Depth=1
	v_bfrev_b32_e32 v6, 1
	s_mov_b32 s23, exec_lo
	v_cmpx_ne_u16_e32 0x80, v7
	s_cbranch_execz .LBB468_5424
; %bb.5419:                             ;   in Loop: Header=BB468_3103 Depth=1
	v_bfe_u32 v35, v3, 16, 7
	v_mov_b32_e32 v6, 0x7f800001
	s_mov_b32 s24, exec_lo
	s_delay_alu instid0(VALU_DEP_2)
	v_cmpx_ne_u32_e32 0x7f, v35
	s_cbranch_execz .LBB468_5423
; %bb.5420:                             ;   in Loop: Header=BB468_3103 Depth=1
	v_and_b32_e32 v12, 7, v34
	s_mov_b32 s25, exec_lo
	s_delay_alu instid0(VALU_DEP_1)
	v_dual_mov_b32 v6, v12 :: v_dual_mov_b32 v7, v13
	v_lshrrev_b32_e32 v7, 3, v35
	v_cmpx_gt_u32_e32 8, v35
; %bb.5421:                             ;   in Loop: Header=BB468_3103 Depth=1
	v_clz_i32_u32_e32 v6, v12
	s_delay_alu instid0(VALU_DEP_1) | instskip(NEXT) | instid1(VALU_DEP_1)
	v_min_u32_e32 v35, 32, v6
	v_subrev_nc_u32_e32 v6, 28, v35
	s_delay_alu instid0(VALU_DEP_1) | instskip(SKIP_1) | instid1(VALU_DEP_2)
	v_lshlrev_b64 v[6:7], v6, v[12:13]
	v_sub_nc_u32_e32 v7, 29, v35
	v_and_b32_e32 v6, 7, v6
; %bb.5422:                             ;   in Loop: Header=BB468_3103 Depth=1
	s_or_b32 exec_lo, exec_lo, s25
	v_lshlrev_b32_e32 v12, 24, v34
	s_delay_alu instid0(VALU_DEP_2) | instskip(SKIP_1) | instid1(VALU_DEP_3)
	v_lshlrev_b32_e32 v6, 20, v6
	v_lshl_add_u32 v7, v7, 23, 0x3c000000
	v_and_b32_e32 v12, 0x80000000, v12
	s_delay_alu instid0(VALU_DEP_1)
	v_or3_b32 v6, v6, v12, v7
.LBB468_5423:                           ;   in Loop: Header=BB468_3103 Depth=1
	s_or_b32 exec_lo, exec_lo, s24
.LBB468_5424:                           ;   in Loop: Header=BB468_3103 Depth=1
	s_delay_alu instid0(SALU_CYCLE_1)
	s_or_b32 exec_lo, exec_lo, s23
.LBB468_5425:                           ;   in Loop: Header=BB468_3103 Depth=1
	s_delay_alu instid0(SALU_CYCLE_1) | instskip(NEXT) | instid1(VALU_DEP_1)
	s_or_b32 exec_lo, exec_lo, s22
	v_mul_f32_e32 v6, v26, v6
                                        ; implicit-def: $vgpr34
	s_delay_alu instid0(VALU_DEP_1) | instskip(NEXT) | instid1(VALU_DEP_1)
	v_and_b32_e32 v7, 0x7f800000, v6
	v_cmp_ne_u32_e64 s9, 0x7f800000, v7
	s_delay_alu instid0(VALU_DEP_1) | instskip(NEXT) | instid1(SALU_CYCLE_1)
	s_and_saveexec_b32 s22, s9
	s_xor_b32 s9, exec_lo, s22
; %bb.5426:                             ;   in Loop: Header=BB468_3103 Depth=1
	v_bfe_u32 v7, v6, 16, 1
	s_delay_alu instid0(VALU_DEP_1)
	v_add3_u32 v34, v6, v7, 0x7fff
                                        ; implicit-def: $vgpr6
; %bb.5427:                             ;   in Loop: Header=BB468_3103 Depth=1
	s_and_not1_saveexec_b32 s22, s9
; %bb.5428:                             ;   in Loop: Header=BB468_3103 Depth=1
	v_and_b32_e32 v7, 0xffff, v6
	v_or_b32_e32 v12, 0x10000, v6
	s_delay_alu instid0(VALU_DEP_2) | instskip(NEXT) | instid1(VALU_DEP_1)
	v_cmp_eq_u32_e64 s9, 0, v7
	v_cndmask_b32_e64 v34, v12, v6, s9
; %bb.5429:                             ;   in Loop: Header=BB468_3103 Depth=1
	s_or_b32 exec_lo, exec_lo, s22
	v_cmp_lt_u64_e64 s9, s[12:13], v[2:3]
	v_mov_b32_e32 v2, 0
	s_delay_alu instid0(VALU_DEP_2)
	s_and_saveexec_b32 s22, s9
	s_cbranch_execz .LBB468_5437
; %bb.5430:                             ;   in Loop: Header=BB468_3103 Depth=1
	v_lshrrev_b32_e32 v6, 24, v3
	v_bfrev_b32_e32 v2, 1
	s_mov_b32 s23, exec_lo
	s_delay_alu instid0(VALU_DEP_2)
	v_cmpx_ne_u32_e32 0x80, v6
	s_cbranch_execz .LBB468_5436
; %bb.5431:                             ;   in Loop: Header=BB468_3103 Depth=1
	v_bfe_u32 v7, v3, 24, 7
	v_mov_b32_e32 v2, 0x7f800001
	s_mov_b32 s24, exec_lo
	s_delay_alu instid0(VALU_DEP_2)
	v_cmpx_ne_u32_e32 0x7f, v7
	s_cbranch_execz .LBB468_5435
; %bb.5432:                             ;   in Loop: Header=BB468_3103 Depth=1
	v_and_b32_e32 v12, 7, v6
	s_mov_b32 s25, exec_lo
	s_delay_alu instid0(VALU_DEP_1)
	v_dual_mov_b32 v2, v12 :: v_dual_mov_b32 v3, v13
	v_lshrrev_b32_e32 v3, 3, v7
	v_cmpx_gt_u32_e32 8, v7
; %bb.5433:                             ;   in Loop: Header=BB468_3103 Depth=1
	v_clz_i32_u32_e32 v2, v12
	s_delay_alu instid0(VALU_DEP_1) | instskip(NEXT) | instid1(VALU_DEP_1)
	v_min_u32_e32 v7, 32, v2
	v_subrev_nc_u32_e32 v2, 28, v7
	s_delay_alu instid0(VALU_DEP_1) | instskip(SKIP_1) | instid1(VALU_DEP_2)
	v_lshlrev_b64 v[2:3], v2, v[12:13]
	v_sub_nc_u32_e32 v3, 29, v7
	v_and_b32_e32 v2, 7, v2
; %bb.5434:                             ;   in Loop: Header=BB468_3103 Depth=1
	s_or_b32 exec_lo, exec_lo, s25
	v_lshlrev_b32_e32 v6, 24, v6
	s_delay_alu instid0(VALU_DEP_2) | instskip(SKIP_1) | instid1(VALU_DEP_3)
	v_lshlrev_b32_e32 v2, 20, v2
	v_lshl_add_u32 v3, v3, 23, 0x3c000000
	v_and_b32_e32 v6, 0x80000000, v6
	s_delay_alu instid0(VALU_DEP_1)
	v_or3_b32 v2, v2, v6, v3
.LBB468_5435:                           ;   in Loop: Header=BB468_3103 Depth=1
	s_or_b32 exec_lo, exec_lo, s24
.LBB468_5436:                           ;   in Loop: Header=BB468_3103 Depth=1
	s_delay_alu instid0(SALU_CYCLE_1)
	s_or_b32 exec_lo, exec_lo, s23
.LBB468_5437:                           ;   in Loop: Header=BB468_3103 Depth=1
	s_delay_alu instid0(SALU_CYCLE_1) | instskip(NEXT) | instid1(VALU_DEP_1)
	s_or_b32 exec_lo, exec_lo, s22
	v_mul_f32_e32 v3, v26, v2
	s_delay_alu instid0(VALU_DEP_1) | instskip(NEXT) | instid1(VALU_DEP_1)
	v_and_b32_e32 v2, 0x7f800000, v3
	v_cmp_ne_u32_e64 s9, 0x7f800000, v2
                                        ; implicit-def: $vgpr2
	s_delay_alu instid0(VALU_DEP_1) | instskip(NEXT) | instid1(SALU_CYCLE_1)
	s_and_saveexec_b32 s22, s9
	s_xor_b32 s9, exec_lo, s22
; %bb.5438:                             ;   in Loop: Header=BB468_3103 Depth=1
	v_bfe_u32 v2, v3, 16, 1
	s_delay_alu instid0(VALU_DEP_1)
	v_add3_u32 v2, v3, v2, 0x7fff
                                        ; implicit-def: $vgpr3
; %bb.5439:                             ;   in Loop: Header=BB468_3103 Depth=1
	s_and_not1_saveexec_b32 s22, s9
; %bb.5440:                             ;   in Loop: Header=BB468_3103 Depth=1
	v_and_b32_e32 v2, 0xffff, v3
	v_or_b32_e32 v6, 0x10000, v3
	s_delay_alu instid0(VALU_DEP_2) | instskip(NEXT) | instid1(VALU_DEP_1)
	v_cmp_eq_u32_e64 s9, 0, v2
	v_cndmask_b32_e64 v2, v6, v3, s9
; %bb.5441:                             ;   in Loop: Header=BB468_3103 Depth=1
	s_or_b32 exec_lo, exec_lo, s22
	v_lshrrev_b32_e32 v6, 16, v9
	v_lshrrev_b32_e32 v7, 16, v8
	;; [unrolled: 1-line block ×8, first 2 shown]
	s_and_saveexec_b32 s9, s3
; %bb.5442:                             ;   in Loop: Header=BB468_3103 Depth=1
	s_delay_alu instid0(VALU_DEP_3)
	v_cndmask_b32_e32 v4, 0, v4, vcc_lo
	v_cndmask_b32_e64 v5, 0, v5, s1
	v_cndmask_b32_e64 v9, 0, v9, s2
	;; [unrolled: 1-line block ×7, first 2 shown]
; %bb.5443:                             ;   in Loop: Header=BB468_3103 Depth=1
	s_or_b32 exec_lo, exec_lo, s9
	v_lshlrev_b32_e32 v4, 16, v4
                                        ; implicit-def: $vgpr22
	s_delay_alu instid0(VALU_DEP_1) | instskip(NEXT) | instid1(VALU_DEP_1)
	v_mul_f32_e32 v4, v151, v4
	v_and_b32_e32 v12, 0x7f800000, v4
	s_delay_alu instid0(VALU_DEP_1) | instskip(NEXT) | instid1(VALU_DEP_1)
	v_cmp_ne_u32_e64 s9, 0x7f800000, v12
	s_and_saveexec_b32 s22, s9
	s_delay_alu instid0(SALU_CYCLE_1)
	s_xor_b32 s9, exec_lo, s22
; %bb.5444:                             ;   in Loop: Header=BB468_3103 Depth=1
	v_bfe_u32 v12, v4, 16, 1
	s_delay_alu instid0(VALU_DEP_1)
	v_add3_u32 v22, v4, v12, 0x7fff
                                        ; implicit-def: $vgpr4
; %bb.5445:                             ;   in Loop: Header=BB468_3103 Depth=1
	s_and_not1_saveexec_b32 s22, s9
; %bb.5446:                             ;   in Loop: Header=BB468_3103 Depth=1
	v_and_b32_e32 v12, 0xffff, v4
	v_or_b32_e32 v18, 0x10000, v4
	s_delay_alu instid0(VALU_DEP_2) | instskip(NEXT) | instid1(VALU_DEP_1)
	v_cmp_eq_u32_e64 s9, 0, v12
	v_cndmask_b32_e64 v22, v18, v4, s9
; %bb.5447:                             ;   in Loop: Header=BB468_3103 Depth=1
	s_or_b32 exec_lo, exec_lo, s22
	v_lshlrev_b32_e32 v4, 16, v5
                                        ; implicit-def: $vgpr119
	s_delay_alu instid0(VALU_DEP_1) | instskip(NEXT) | instid1(VALU_DEP_1)
	v_mul_f32_e32 v4, v160, v4
	v_and_b32_e32 v5, 0x7f800000, v4
	s_delay_alu instid0(VALU_DEP_1) | instskip(NEXT) | instid1(VALU_DEP_1)
	v_cmp_ne_u32_e64 s9, 0x7f800000, v5
	s_and_saveexec_b32 s22, s9
	s_delay_alu instid0(SALU_CYCLE_1)
	s_xor_b32 s9, exec_lo, s22
; %bb.5448:                             ;   in Loop: Header=BB468_3103 Depth=1
	v_bfe_u32 v5, v4, 16, 1
	s_delay_alu instid0(VALU_DEP_1)
	v_add3_u32 v119, v4, v5, 0x7fff
                                        ; implicit-def: $vgpr4
; %bb.5449:                             ;   in Loop: Header=BB468_3103 Depth=1
	s_and_not1_saveexec_b32 s22, s9
; %bb.5450:                             ;   in Loop: Header=BB468_3103 Depth=1
	v_and_b32_e32 v5, 0xffff, v4
	v_or_b32_e32 v12, 0x10000, v4
	s_delay_alu instid0(VALU_DEP_2) | instskip(NEXT) | instid1(VALU_DEP_1)
	v_cmp_eq_u32_e64 s9, 0, v5
	v_cndmask_b32_e64 v119, v12, v4, s9
; %bb.5451:                             ;   in Loop: Header=BB468_3103 Depth=1
	s_or_b32 exec_lo, exec_lo, s22
	v_lshlrev_b32_e32 v4, 16, v9
                                        ; implicit-def: $vgpr128
	s_delay_alu instid0(VALU_DEP_1) | instskip(NEXT) | instid1(VALU_DEP_1)
	v_mul_f32_e32 v4, v161, v4
	v_and_b32_e32 v5, 0x7f800000, v4
	s_delay_alu instid0(VALU_DEP_1) | instskip(NEXT) | instid1(VALU_DEP_1)
	v_cmp_ne_u32_e64 s9, 0x7f800000, v5
	s_and_saveexec_b32 s22, s9
	s_delay_alu instid0(SALU_CYCLE_1)
	s_xor_b32 s9, exec_lo, s22
; %bb.5452:                             ;   in Loop: Header=BB468_3103 Depth=1
	v_bfe_u32 v5, v4, 16, 1
	s_delay_alu instid0(VALU_DEP_1)
	v_add3_u32 v128, v4, v5, 0x7fff
                                        ; implicit-def: $vgpr4
; %bb.5453:                             ;   in Loop: Header=BB468_3103 Depth=1
	s_and_not1_saveexec_b32 s22, s9
; %bb.5454:                             ;   in Loop: Header=BB468_3103 Depth=1
	v_and_b32_e32 v5, 0xffff, v4
	v_or_b32_e32 v9, 0x10000, v4
	s_delay_alu instid0(VALU_DEP_2) | instskip(NEXT) | instid1(VALU_DEP_1)
	v_cmp_eq_u32_e64 s9, 0, v5
	v_cndmask_b32_e64 v128, v9, v4, s9
; %bb.5455:                             ;   in Loop: Header=BB468_3103 Depth=1
	s_or_b32 exec_lo, exec_lo, s22
	v_lshlrev_b32_e32 v4, 16, v8
                                        ; implicit-def: $vgpr129
	s_delay_alu instid0(VALU_DEP_1) | instskip(NEXT) | instid1(VALU_DEP_1)
	v_mul_f32_e32 v4, v162, v4
	v_and_b32_e32 v5, 0x7f800000, v4
	s_delay_alu instid0(VALU_DEP_1) | instskip(NEXT) | instid1(VALU_DEP_1)
	v_cmp_ne_u32_e64 s9, 0x7f800000, v5
	s_and_saveexec_b32 s22, s9
	s_delay_alu instid0(SALU_CYCLE_1)
	s_xor_b32 s9, exec_lo, s22
; %bb.5456:                             ;   in Loop: Header=BB468_3103 Depth=1
	v_bfe_u32 v5, v4, 16, 1
	s_delay_alu instid0(VALU_DEP_1)
	v_add3_u32 v129, v4, v5, 0x7fff
                                        ; implicit-def: $vgpr4
; %bb.5457:                             ;   in Loop: Header=BB468_3103 Depth=1
	s_and_not1_saveexec_b32 s22, s9
; %bb.5458:                             ;   in Loop: Header=BB468_3103 Depth=1
	v_and_b32_e32 v5, 0xffff, v4
	v_or_b32_e32 v8, 0x10000, v4
	s_delay_alu instid0(VALU_DEP_2) | instskip(NEXT) | instid1(VALU_DEP_1)
	v_cmp_eq_u32_e64 s9, 0, v5
	v_cndmask_b32_e64 v129, v8, v4, s9
; %bb.5459:                             ;   in Loop: Header=BB468_3103 Depth=1
	s_or_b32 exec_lo, exec_lo, s22
	v_lshlrev_b32_e32 v4, 16, v7
                                        ; implicit-def: $vgpr130
	s_delay_alu instid0(VALU_DEP_1) | instskip(NEXT) | instid1(VALU_DEP_1)
	v_mul_f32_e32 v4, v163, v4
	v_and_b32_e32 v5, 0x7f800000, v4
	s_delay_alu instid0(VALU_DEP_1) | instskip(NEXT) | instid1(VALU_DEP_1)
	v_cmp_ne_u32_e64 s9, 0x7f800000, v5
	s_and_saveexec_b32 s22, s9
	s_delay_alu instid0(SALU_CYCLE_1)
	s_xor_b32 s9, exec_lo, s22
; %bb.5460:                             ;   in Loop: Header=BB468_3103 Depth=1
	v_bfe_u32 v5, v4, 16, 1
	s_delay_alu instid0(VALU_DEP_1)
	v_add3_u32 v130, v4, v5, 0x7fff
                                        ; implicit-def: $vgpr4
; %bb.5461:                             ;   in Loop: Header=BB468_3103 Depth=1
	s_and_not1_saveexec_b32 s22, s9
; %bb.5462:                             ;   in Loop: Header=BB468_3103 Depth=1
	v_and_b32_e32 v5, 0xffff, v4
	v_or_b32_e32 v7, 0x10000, v4
	s_delay_alu instid0(VALU_DEP_2) | instskip(NEXT) | instid1(VALU_DEP_1)
	v_cmp_eq_u32_e64 s9, 0, v5
	v_cndmask_b32_e64 v130, v7, v4, s9
; %bb.5463:                             ;   in Loop: Header=BB468_3103 Depth=1
	s_or_b32 exec_lo, exec_lo, s22
	v_lshlrev_b32_e32 v4, 16, v6
                                        ; implicit-def: $vgpr131
	s_delay_alu instid0(VALU_DEP_1) | instskip(NEXT) | instid1(VALU_DEP_1)
	v_mul_f32_e32 v4, v164, v4
	v_and_b32_e32 v5, 0x7f800000, v4
	s_delay_alu instid0(VALU_DEP_1) | instskip(NEXT) | instid1(VALU_DEP_1)
	v_cmp_ne_u32_e64 s9, 0x7f800000, v5
	s_and_saveexec_b32 s22, s9
	s_delay_alu instid0(SALU_CYCLE_1)
	s_xor_b32 s9, exec_lo, s22
; %bb.5464:                             ;   in Loop: Header=BB468_3103 Depth=1
	v_bfe_u32 v5, v4, 16, 1
	s_delay_alu instid0(VALU_DEP_1)
	v_add3_u32 v131, v4, v5, 0x7fff
                                        ; implicit-def: $vgpr4
; %bb.5465:                             ;   in Loop: Header=BB468_3103 Depth=1
	s_and_not1_saveexec_b32 s22, s9
; %bb.5466:                             ;   in Loop: Header=BB468_3103 Depth=1
	v_and_b32_e32 v5, 0xffff, v4
	v_or_b32_e32 v6, 0x10000, v4
	s_delay_alu instid0(VALU_DEP_2) | instskip(NEXT) | instid1(VALU_DEP_1)
	v_cmp_eq_u32_e64 s9, 0, v5
	v_cndmask_b32_e64 v131, v6, v4, s9
; %bb.5467:                             ;   in Loop: Header=BB468_3103 Depth=1
	s_or_b32 exec_lo, exec_lo, s22
	v_lshlrev_b32_e32 v3, 16, v3
                                        ; implicit-def: $vgpr132
	s_delay_alu instid0(VALU_DEP_1) | instskip(NEXT) | instid1(VALU_DEP_1)
	v_mul_f32_e32 v3, v165, v3
	v_and_b32_e32 v4, 0x7f800000, v3
	s_delay_alu instid0(VALU_DEP_1) | instskip(NEXT) | instid1(VALU_DEP_1)
	v_cmp_ne_u32_e64 s9, 0x7f800000, v4
	s_and_saveexec_b32 s22, s9
	s_delay_alu instid0(SALU_CYCLE_1)
	s_xor_b32 s9, exec_lo, s22
; %bb.5468:                             ;   in Loop: Header=BB468_3103 Depth=1
	v_bfe_u32 v4, v3, 16, 1
	s_delay_alu instid0(VALU_DEP_1)
	v_add3_u32 v132, v3, v4, 0x7fff
                                        ; implicit-def: $vgpr3
; %bb.5469:                             ;   in Loop: Header=BB468_3103 Depth=1
	s_and_not1_saveexec_b32 s22, s9
; %bb.5470:                             ;   in Loop: Header=BB468_3103 Depth=1
	v_and_b32_e32 v4, 0xffff, v3
	v_or_b32_e32 v5, 0x10000, v3
	s_delay_alu instid0(VALU_DEP_2) | instskip(NEXT) | instid1(VALU_DEP_1)
	v_cmp_eq_u32_e64 s9, 0, v4
	v_cndmask_b32_e64 v132, v5, v3, s9
; %bb.5471:                             ;   in Loop: Header=BB468_3103 Depth=1
	s_or_b32 exec_lo, exec_lo, s22
	v_lshlrev_b32_e32 v2, 16, v2
                                        ; implicit-def: $vgpr133
	s_delay_alu instid0(VALU_DEP_1) | instskip(NEXT) | instid1(VALU_DEP_1)
	v_mul_f32_e32 v2, v166, v2
	v_and_b32_e32 v3, 0x7f800000, v2
	s_delay_alu instid0(VALU_DEP_1) | instskip(NEXT) | instid1(VALU_DEP_1)
	v_cmp_ne_u32_e64 s9, 0x7f800000, v3
	s_and_saveexec_b32 s22, s9
	s_delay_alu instid0(SALU_CYCLE_1)
	s_xor_b32 s9, exec_lo, s22
; %bb.5472:                             ;   in Loop: Header=BB468_3103 Depth=1
	v_bfe_u32 v3, v2, 16, 1
	s_delay_alu instid0(VALU_DEP_1)
	v_add3_u32 v133, v2, v3, 0x7fff
                                        ; implicit-def: $vgpr2
; %bb.5473:                             ;   in Loop: Header=BB468_3103 Depth=1
	s_and_not1_saveexec_b32 s22, s9
; %bb.5474:                             ;   in Loop: Header=BB468_3103 Depth=1
	v_and_b32_e32 v3, 0xffff, v2
	v_or_b32_e32 v4, 0x10000, v2
	s_delay_alu instid0(VALU_DEP_2) | instskip(NEXT) | instid1(VALU_DEP_1)
	v_cmp_eq_u32_e64 s9, 0, v3
	v_cndmask_b32_e64 v133, v4, v2, s9
; %bb.5475:                             ;   in Loop: Header=BB468_3103 Depth=1
	s_or_b32 exec_lo, exec_lo, s22
	scratch_load_b32 v2, off, s32 offset:824 ; 4-byte Folded Reload
	s_mov_b32 s22, exec_lo
	v_mov_b32_e32 v4, 0
	s_waitcnt vmcnt(0)
	v_add_co_u32 v2, s9, v0, v2
	s_delay_alu instid0(VALU_DEP_1) | instskip(SKIP_3) | instid1(VALU_DEP_1)
	v_add_co_ci_u32_e64 v3, s9, 0, v1, s9
	flat_load_b64 v[2:3], v[2:3]
	s_waitcnt vmcnt(0) lgkmcnt(0)
	v_and_b32_e32 v5, 0xff, v2
	v_cmpx_ne_u16_e32 0, v5
	s_cbranch_execz .LBB468_5483
; %bb.5476:                             ;   in Loop: Header=BB468_3103 Depth=1
	v_bfrev_b32_e32 v4, 1
	s_mov_b32 s23, exec_lo
	v_cmpx_ne_u16_e32 0x80, v5
	s_cbranch_execz .LBB468_5482
; %bb.5477:                             ;   in Loop: Header=BB468_3103 Depth=1
	v_and_b32_e32 v5, 0x7f, v2
	v_mov_b32_e32 v4, 0x7f800001
	s_mov_b32 s24, exec_lo
	s_delay_alu instid0(VALU_DEP_2)
	v_cmpx_ne_u32_e32 0x7f, v5
	s_cbranch_execz .LBB468_5481
; %bb.5478:                             ;   in Loop: Header=BB468_3103 Depth=1
	v_lshrrev_b32_e32 v4, 3, v5
	v_dual_mov_b32 v7, v3 :: v_dual_mov_b32 v6, v2
	s_mov_b32 s25, exec_lo
	v_cmpx_gt_u32_e32 8, v5
; %bb.5479:                             ;   in Loop: Header=BB468_3103 Depth=1
	v_and_b32_e32 v4, 7, v2
	s_delay_alu instid0(VALU_DEP_1) | instskip(NEXT) | instid1(VALU_DEP_1)
	v_clz_i32_u32_e32 v4, v4
	v_min_u32_e32 v4, 32, v4
	s_delay_alu instid0(VALU_DEP_1) | instskip(SKIP_1) | instid1(VALU_DEP_2)
	v_subrev_nc_u32_e32 v5, 28, v4
	v_sub_nc_u32_e32 v4, 29, v4
	v_lshlrev_b64 v[6:7], v5, v[2:3]
; %bb.5480:                             ;   in Loop: Header=BB468_3103 Depth=1
	s_or_b32 exec_lo, exec_lo, s25
	s_delay_alu instid0(VALU_DEP_1) | instskip(SKIP_2) | instid1(VALU_DEP_3)
	v_lshlrev_b32_e32 v5, 20, v6
	v_lshlrev_b32_e32 v6, 24, v2
	v_lshl_add_u32 v4, v4, 23, 0x3c000000
	v_and_b32_e32 v5, 0x700000, v5
	s_delay_alu instid0(VALU_DEP_3) | instskip(NEXT) | instid1(VALU_DEP_1)
	v_and_b32_e32 v6, 0x80000000, v6
	v_or3_b32 v4, v5, v6, v4
.LBB468_5481:                           ;   in Loop: Header=BB468_3103 Depth=1
	s_or_b32 exec_lo, exec_lo, s24
.LBB468_5482:                           ;   in Loop: Header=BB468_3103 Depth=1
	s_delay_alu instid0(SALU_CYCLE_1)
	s_or_b32 exec_lo, exec_lo, s23
.LBB468_5483:                           ;   in Loop: Header=BB468_3103 Depth=1
	s_delay_alu instid0(SALU_CYCLE_1) | instskip(NEXT) | instid1(VALU_DEP_1)
	s_or_b32 exec_lo, exec_lo, s22
	v_mul_f32_e32 v5, v26, v4
	s_delay_alu instid0(VALU_DEP_1) | instskip(NEXT) | instid1(VALU_DEP_1)
	v_and_b32_e32 v4, 0x7f800000, v5
	v_cmp_ne_u32_e64 s9, 0x7f800000, v4
                                        ; implicit-def: $vgpr4
	s_delay_alu instid0(VALU_DEP_1) | instskip(NEXT) | instid1(SALU_CYCLE_1)
	s_and_saveexec_b32 s22, s9
	s_xor_b32 s9, exec_lo, s22
; %bb.5484:                             ;   in Loop: Header=BB468_3103 Depth=1
	v_bfe_u32 v4, v5, 16, 1
	s_delay_alu instid0(VALU_DEP_1)
	v_add3_u32 v4, v5, v4, 0x7fff
                                        ; implicit-def: $vgpr5
; %bb.5485:                             ;   in Loop: Header=BB468_3103 Depth=1
	s_and_not1_saveexec_b32 s22, s9
; %bb.5486:                             ;   in Loop: Header=BB468_3103 Depth=1
	v_and_b32_e32 v4, 0xffff, v5
	v_or_b32_e32 v6, 0x10000, v5
	s_delay_alu instid0(VALU_DEP_2) | instskip(NEXT) | instid1(VALU_DEP_1)
	v_cmp_eq_u32_e64 s9, 0, v4
	v_cndmask_b32_e64 v4, v6, v5, s9
; %bb.5487:                             ;   in Loop: Header=BB468_3103 Depth=1
	s_or_b32 exec_lo, exec_lo, s22
	v_lshrrev_b16 v6, 8, v2
	v_mov_b32_e32 v5, 0
	s_mov_b32 s22, exec_lo
	s_delay_alu instid0(VALU_DEP_2)
	v_cmpx_ne_u16_e32 0, v6
	s_cbranch_execz .LBB468_5495
; %bb.5488:                             ;   in Loop: Header=BB468_3103 Depth=1
	v_bfrev_b32_e32 v5, 1
	s_mov_b32 s23, exec_lo
	v_cmpx_ne_u16_e32 0x80, v6
	s_cbranch_execz .LBB468_5494
; %bb.5489:                             ;   in Loop: Header=BB468_3103 Depth=1
	v_and_b32_e32 v6, 0xffff, v6
	v_mov_b32_e32 v5, 0x7f800001
	s_mov_b32 s24, exec_lo
	s_delay_alu instid0(VALU_DEP_2) | instskip(NEXT) | instid1(VALU_DEP_1)
	v_and_b32_e32 v8, 0x7f, v6
	v_cmpx_ne_u32_e32 0x7f, v8
	s_cbranch_execz .LBB468_5493
; %bb.5490:                             ;   in Loop: Header=BB468_3103 Depth=1
	v_and_b32_e32 v12, 7, v6
	v_lshrrev_b32_e32 v5, 3, v8
	s_mov_b32 s25, exec_lo
	s_delay_alu instid0(VALU_DEP_2)
	v_dual_mov_b32 v6, v12 :: v_dual_mov_b32 v7, v13
	v_cmpx_gt_u32_e32 8, v8
; %bb.5491:                             ;   in Loop: Header=BB468_3103 Depth=1
	v_clz_i32_u32_e32 v5, v12
	s_delay_alu instid0(VALU_DEP_1) | instskip(NEXT) | instid1(VALU_DEP_1)
	v_min_u32_e32 v5, 32, v5
	v_subrev_nc_u32_e32 v6, 28, v5
	v_sub_nc_u32_e32 v5, 29, v5
	s_delay_alu instid0(VALU_DEP_2) | instskip(NEXT) | instid1(VALU_DEP_1)
	v_lshlrev_b64 v[6:7], v6, v[12:13]
	v_and_b32_e32 v6, 7, v6
; %bb.5492:                             ;   in Loop: Header=BB468_3103 Depth=1
	s_or_b32 exec_lo, exec_lo, s25
	v_lshlrev_b32_e32 v7, 16, v2
	s_delay_alu instid0(VALU_DEP_2) | instskip(SKIP_1) | instid1(VALU_DEP_3)
	v_lshlrev_b32_e32 v6, 20, v6
	v_lshl_add_u32 v5, v5, 23, 0x3c000000
	v_and_b32_e32 v7, 0x80000000, v7
	s_delay_alu instid0(VALU_DEP_1)
	v_or3_b32 v5, v6, v7, v5
.LBB468_5493:                           ;   in Loop: Header=BB468_3103 Depth=1
	s_or_b32 exec_lo, exec_lo, s24
.LBB468_5494:                           ;   in Loop: Header=BB468_3103 Depth=1
	s_delay_alu instid0(SALU_CYCLE_1)
	s_or_b32 exec_lo, exec_lo, s23
.LBB468_5495:                           ;   in Loop: Header=BB468_3103 Depth=1
	s_delay_alu instid0(SALU_CYCLE_1) | instskip(NEXT) | instid1(VALU_DEP_1)
	s_or_b32 exec_lo, exec_lo, s22
	v_mul_f32_e32 v6, v26, v5
	s_delay_alu instid0(VALU_DEP_1) | instskip(NEXT) | instid1(VALU_DEP_1)
	v_and_b32_e32 v5, 0x7f800000, v6
	v_cmp_ne_u32_e64 s9, 0x7f800000, v5
                                        ; implicit-def: $vgpr5
	s_delay_alu instid0(VALU_DEP_1) | instskip(NEXT) | instid1(SALU_CYCLE_1)
	s_and_saveexec_b32 s22, s9
	s_xor_b32 s9, exec_lo, s22
; %bb.5496:                             ;   in Loop: Header=BB468_3103 Depth=1
	v_bfe_u32 v5, v6, 16, 1
	s_delay_alu instid0(VALU_DEP_1)
	v_add3_u32 v5, v6, v5, 0x7fff
                                        ; implicit-def: $vgpr6
; %bb.5497:                             ;   in Loop: Header=BB468_3103 Depth=1
	s_and_not1_saveexec_b32 s22, s9
; %bb.5498:                             ;   in Loop: Header=BB468_3103 Depth=1
	v_and_b32_e32 v5, 0xffff, v6
	v_or_b32_e32 v7, 0x10000, v6
	s_delay_alu instid0(VALU_DEP_2) | instskip(NEXT) | instid1(VALU_DEP_1)
	v_cmp_eq_u32_e64 s9, 0, v5
	v_cndmask_b32_e64 v5, v7, v6, s9
; %bb.5499:                             ;   in Loop: Header=BB468_3103 Depth=1
	s_or_b32 exec_lo, exec_lo, s22
	v_lshrrev_b32_e32 v8, 16, v2
	s_mov_b32 s22, exec_lo
	s_delay_alu instid0(VALU_DEP_1) | instskip(NEXT) | instid1(VALU_DEP_1)
	v_dual_mov_b32 v6, 0 :: v_dual_and_b32 v7, 0xff, v8
	v_cmpx_ne_u16_e32 0, v7
	s_cbranch_execz .LBB468_5507
; %bb.5500:                             ;   in Loop: Header=BB468_3103 Depth=1
	v_bfrev_b32_e32 v6, 1
	s_mov_b32 s23, exec_lo
	v_cmpx_ne_u16_e32 0x80, v7
	s_cbranch_execz .LBB468_5506
; %bb.5501:                             ;   in Loop: Header=BB468_3103 Depth=1
	v_bfe_u32 v9, v2, 16, 7
	v_mov_b32_e32 v6, 0x7f800001
	s_mov_b32 s24, exec_lo
	s_delay_alu instid0(VALU_DEP_2)
	v_cmpx_ne_u32_e32 0x7f, v9
	s_cbranch_execz .LBB468_5505
; %bb.5502:                             ;   in Loop: Header=BB468_3103 Depth=1
	v_and_b32_e32 v12, 7, v8
	s_mov_b32 s25, exec_lo
	s_delay_alu instid0(VALU_DEP_1)
	v_dual_mov_b32 v6, v12 :: v_dual_mov_b32 v7, v13
	v_lshrrev_b32_e32 v7, 3, v9
	v_cmpx_gt_u32_e32 8, v9
; %bb.5503:                             ;   in Loop: Header=BB468_3103 Depth=1
	v_clz_i32_u32_e32 v6, v12
	s_delay_alu instid0(VALU_DEP_1) | instskip(NEXT) | instid1(VALU_DEP_1)
	v_min_u32_e32 v9, 32, v6
	v_subrev_nc_u32_e32 v6, 28, v9
	s_delay_alu instid0(VALU_DEP_1) | instskip(SKIP_1) | instid1(VALU_DEP_2)
	v_lshlrev_b64 v[6:7], v6, v[12:13]
	v_sub_nc_u32_e32 v7, 29, v9
	v_and_b32_e32 v6, 7, v6
; %bb.5504:                             ;   in Loop: Header=BB468_3103 Depth=1
	s_or_b32 exec_lo, exec_lo, s25
	v_lshlrev_b32_e32 v8, 24, v8
	s_delay_alu instid0(VALU_DEP_2) | instskip(SKIP_1) | instid1(VALU_DEP_3)
	v_lshlrev_b32_e32 v6, 20, v6
	v_lshl_add_u32 v7, v7, 23, 0x3c000000
	v_and_b32_e32 v8, 0x80000000, v8
	s_delay_alu instid0(VALU_DEP_1)
	v_or3_b32 v6, v6, v8, v7
.LBB468_5505:                           ;   in Loop: Header=BB468_3103 Depth=1
	s_or_b32 exec_lo, exec_lo, s24
.LBB468_5506:                           ;   in Loop: Header=BB468_3103 Depth=1
	s_delay_alu instid0(SALU_CYCLE_1)
	s_or_b32 exec_lo, exec_lo, s23
.LBB468_5507:                           ;   in Loop: Header=BB468_3103 Depth=1
	s_delay_alu instid0(SALU_CYCLE_1) | instskip(NEXT) | instid1(VALU_DEP_1)
	s_or_b32 exec_lo, exec_lo, s22
	v_mul_f32_e32 v6, v26, v6
                                        ; implicit-def: $vgpr18
	s_delay_alu instid0(VALU_DEP_1) | instskip(NEXT) | instid1(VALU_DEP_1)
	v_and_b32_e32 v7, 0x7f800000, v6
	v_cmp_ne_u32_e64 s9, 0x7f800000, v7
	s_delay_alu instid0(VALU_DEP_1) | instskip(NEXT) | instid1(SALU_CYCLE_1)
	s_and_saveexec_b32 s22, s9
	s_xor_b32 s9, exec_lo, s22
; %bb.5508:                             ;   in Loop: Header=BB468_3103 Depth=1
	v_bfe_u32 v7, v6, 16, 1
	s_delay_alu instid0(VALU_DEP_1)
	v_add3_u32 v18, v6, v7, 0x7fff
                                        ; implicit-def: $vgpr6
; %bb.5509:                             ;   in Loop: Header=BB468_3103 Depth=1
	s_and_not1_saveexec_b32 s22, s9
; %bb.5510:                             ;   in Loop: Header=BB468_3103 Depth=1
	v_and_b32_e32 v7, 0xffff, v6
	v_or_b32_e32 v8, 0x10000, v6
	s_delay_alu instid0(VALU_DEP_2) | instskip(NEXT) | instid1(VALU_DEP_1)
	v_cmp_eq_u32_e64 s9, 0, v7
	v_cndmask_b32_e64 v18, v8, v6, s9
; %bb.5511:                             ;   in Loop: Header=BB468_3103 Depth=1
	s_or_b32 exec_lo, exec_lo, s22
	v_mov_b32_e32 v6, 0
	s_mov_b32 s22, exec_lo
	v_cmpx_lt_u32_e32 0xffffff, v2
	s_cbranch_execz .LBB468_5519
; %bb.5512:                             ;   in Loop: Header=BB468_3103 Depth=1
	v_lshrrev_b32_e32 v8, 24, v2
	v_bfrev_b32_e32 v6, 1
	s_mov_b32 s23, exec_lo
	s_delay_alu instid0(VALU_DEP_2)
	v_cmpx_ne_u32_e32 0x80, v8
	s_cbranch_execz .LBB468_5518
; %bb.5513:                             ;   in Loop: Header=BB468_3103 Depth=1
	v_bfe_u32 v9, v2, 24, 7
	v_mov_b32_e32 v6, 0x7f800001
	s_mov_b32 s24, exec_lo
	s_delay_alu instid0(VALU_DEP_2)
	v_cmpx_ne_u32_e32 0x7f, v9
	s_cbranch_execz .LBB468_5517
; %bb.5514:                             ;   in Loop: Header=BB468_3103 Depth=1
	v_and_b32_e32 v12, 7, v8
	s_mov_b32 s25, exec_lo
	s_delay_alu instid0(VALU_DEP_1)
	v_dual_mov_b32 v6, v12 :: v_dual_mov_b32 v7, v13
	v_lshrrev_b32_e32 v7, 3, v9
	v_cmpx_gt_u32_e32 8, v9
; %bb.5515:                             ;   in Loop: Header=BB468_3103 Depth=1
	v_clz_i32_u32_e32 v6, v12
	s_delay_alu instid0(VALU_DEP_1) | instskip(NEXT) | instid1(VALU_DEP_1)
	v_min_u32_e32 v9, 32, v6
	v_subrev_nc_u32_e32 v6, 28, v9
	s_delay_alu instid0(VALU_DEP_1) | instskip(SKIP_1) | instid1(VALU_DEP_2)
	v_lshlrev_b64 v[6:7], v6, v[12:13]
	v_sub_nc_u32_e32 v7, 29, v9
	v_and_b32_e32 v6, 7, v6
; %bb.5516:                             ;   in Loop: Header=BB468_3103 Depth=1
	s_or_b32 exec_lo, exec_lo, s25
	v_lshlrev_b32_e32 v8, 24, v8
	s_delay_alu instid0(VALU_DEP_2) | instskip(SKIP_1) | instid1(VALU_DEP_3)
	v_lshlrev_b32_e32 v6, 20, v6
	v_lshl_add_u32 v7, v7, 23, 0x3c000000
	v_and_b32_e32 v8, 0x80000000, v8
	s_delay_alu instid0(VALU_DEP_1)
	v_or3_b32 v6, v6, v8, v7
.LBB468_5517:                           ;   in Loop: Header=BB468_3103 Depth=1
	s_or_b32 exec_lo, exec_lo, s24
.LBB468_5518:                           ;   in Loop: Header=BB468_3103 Depth=1
	s_delay_alu instid0(SALU_CYCLE_1)
	s_or_b32 exec_lo, exec_lo, s23
.LBB468_5519:                           ;   in Loop: Header=BB468_3103 Depth=1
	s_delay_alu instid0(SALU_CYCLE_1) | instskip(NEXT) | instid1(VALU_DEP_1)
	s_or_b32 exec_lo, exec_lo, s22
	v_mul_f32_e32 v6, v26, v6
                                        ; implicit-def: $vgpr34
	s_delay_alu instid0(VALU_DEP_1) | instskip(NEXT) | instid1(VALU_DEP_1)
	v_and_b32_e32 v7, 0x7f800000, v6
	v_cmp_ne_u32_e64 s9, 0x7f800000, v7
	s_delay_alu instid0(VALU_DEP_1) | instskip(NEXT) | instid1(SALU_CYCLE_1)
	s_and_saveexec_b32 s22, s9
	s_xor_b32 s9, exec_lo, s22
; %bb.5520:                             ;   in Loop: Header=BB468_3103 Depth=1
	v_bfe_u32 v7, v6, 16, 1
	s_delay_alu instid0(VALU_DEP_1)
	v_add3_u32 v34, v6, v7, 0x7fff
                                        ; implicit-def: $vgpr6
; %bb.5521:                             ;   in Loop: Header=BB468_3103 Depth=1
	s_and_not1_saveexec_b32 s22, s9
; %bb.5522:                             ;   in Loop: Header=BB468_3103 Depth=1
	v_and_b32_e32 v7, 0xffff, v6
	v_or_b32_e32 v8, 0x10000, v6
	s_delay_alu instid0(VALU_DEP_2) | instskip(NEXT) | instid1(VALU_DEP_1)
	v_cmp_eq_u32_e64 s9, 0, v7
	v_cndmask_b32_e64 v34, v8, v6, s9
; %bb.5523:                             ;   in Loop: Header=BB468_3103 Depth=1
	s_or_b32 exec_lo, exec_lo, s22
	v_dual_mov_b32 v12, v3 :: v_dual_and_b32 v7, 0xff, v3
	v_mov_b32_e32 v6, 0
	s_mov_b32 s22, exec_lo
	s_delay_alu instid0(VALU_DEP_2)
	v_cmpx_ne_u16_e32 0, v7
	s_cbranch_execz .LBB468_5531
; %bb.5524:                             ;   in Loop: Header=BB468_3103 Depth=1
	v_bfrev_b32_e32 v6, 1
	s_mov_b32 s23, exec_lo
	v_cmpx_ne_u16_e32 0x80, v7
	s_cbranch_execz .LBB468_5530
; %bb.5525:                             ;   in Loop: Header=BB468_3103 Depth=1
	v_and_b32_e32 v8, 0x7f, v3
	v_mov_b32_e32 v6, 0x7f800001
	s_mov_b32 s24, exec_lo
	s_delay_alu instid0(VALU_DEP_2)
	v_cmpx_ne_u32_e32 0x7f, v8
	s_cbranch_execz .LBB468_5529
; %bb.5526:                             ;   in Loop: Header=BB468_3103 Depth=1
	v_dual_mov_b32 v6, v12 :: v_dual_mov_b32 v7, v13
	v_lshrrev_b32_e32 v7, 3, v8
	s_mov_b32 s25, exec_lo
	v_cmpx_gt_u32_e32 8, v8
; %bb.5527:                             ;   in Loop: Header=BB468_3103 Depth=1
	v_and_b32_e32 v6, 7, v3
	s_delay_alu instid0(VALU_DEP_1) | instskip(NEXT) | instid1(VALU_DEP_1)
	v_clz_i32_u32_e32 v6, v6
	v_min_u32_e32 v8, 32, v6
	s_delay_alu instid0(VALU_DEP_1) | instskip(NEXT) | instid1(VALU_DEP_1)
	v_subrev_nc_u32_e32 v6, 28, v8
	v_lshlrev_b64 v[6:7], v6, v[12:13]
	v_sub_nc_u32_e32 v7, 29, v8
; %bb.5528:                             ;   in Loop: Header=BB468_3103 Depth=1
	s_or_b32 exec_lo, exec_lo, s25
	s_delay_alu instid0(VALU_DEP_2) | instskip(SKIP_1) | instid1(VALU_DEP_3)
	v_lshlrev_b32_e32 v6, 20, v6
	v_lshlrev_b32_e32 v8, 24, v12
	v_lshl_add_u32 v7, v7, 23, 0x3c000000
	s_delay_alu instid0(VALU_DEP_3) | instskip(NEXT) | instid1(VALU_DEP_3)
	v_and_b32_e32 v6, 0x700000, v6
	v_and_b32_e32 v8, 0x80000000, v8
	s_delay_alu instid0(VALU_DEP_1)
	v_or3_b32 v6, v6, v8, v7
.LBB468_5529:                           ;   in Loop: Header=BB468_3103 Depth=1
	s_or_b32 exec_lo, exec_lo, s24
.LBB468_5530:                           ;   in Loop: Header=BB468_3103 Depth=1
	s_delay_alu instid0(SALU_CYCLE_1)
	s_or_b32 exec_lo, exec_lo, s23
.LBB468_5531:                           ;   in Loop: Header=BB468_3103 Depth=1
	s_delay_alu instid0(SALU_CYCLE_1) | instskip(NEXT) | instid1(VALU_DEP_1)
	s_or_b32 exec_lo, exec_lo, s22
	v_mul_f32_e32 v6, v26, v6
                                        ; implicit-def: $vgpr8
	s_delay_alu instid0(VALU_DEP_1) | instskip(NEXT) | instid1(VALU_DEP_1)
	v_and_b32_e32 v7, 0x7f800000, v6
	v_cmp_ne_u32_e64 s9, 0x7f800000, v7
	s_delay_alu instid0(VALU_DEP_1) | instskip(NEXT) | instid1(SALU_CYCLE_1)
	s_and_saveexec_b32 s22, s9
	s_xor_b32 s9, exec_lo, s22
; %bb.5532:                             ;   in Loop: Header=BB468_3103 Depth=1
	v_bfe_u32 v7, v6, 16, 1
	s_delay_alu instid0(VALU_DEP_1)
	v_add3_u32 v8, v6, v7, 0x7fff
                                        ; implicit-def: $vgpr6
; %bb.5533:                             ;   in Loop: Header=BB468_3103 Depth=1
	s_and_not1_saveexec_b32 s22, s9
; %bb.5534:                             ;   in Loop: Header=BB468_3103 Depth=1
	v_and_b32_e32 v7, 0xffff, v6
	v_or_b32_e32 v8, 0x10000, v6
	s_delay_alu instid0(VALU_DEP_2) | instskip(NEXT) | instid1(VALU_DEP_1)
	v_cmp_eq_u32_e64 s9, 0, v7
	v_cndmask_b32_e64 v8, v8, v6, s9
; %bb.5535:                             ;   in Loop: Header=BB468_3103 Depth=1
	s_or_b32 exec_lo, exec_lo, s22
	v_lshrrev_b16 v7, 8, v12
	v_mov_b32_e32 v6, 0
	s_mov_b32 s22, exec_lo
	s_delay_alu instid0(VALU_DEP_2)
	v_cmpx_ne_u16_e32 0, v7
	s_cbranch_execz .LBB468_5543
; %bb.5536:                             ;   in Loop: Header=BB468_3103 Depth=1
	v_bfrev_b32_e32 v6, 1
	s_mov_b32 s23, exec_lo
	v_cmpx_ne_u16_e32 0x80, v7
	s_cbranch_execz .LBB468_5542
; %bb.5537:                             ;   in Loop: Header=BB468_3103 Depth=1
	v_and_b32_e32 v7, 0xffff, v7
	v_mov_b32_e32 v6, 0x7f800001
	s_mov_b32 s24, exec_lo
	s_delay_alu instid0(VALU_DEP_2) | instskip(NEXT) | instid1(VALU_DEP_1)
	v_and_b32_e32 v35, 0x7f, v7
	v_cmpx_ne_u32_e32 0x7f, v35
	s_cbranch_execz .LBB468_5541
; %bb.5538:                             ;   in Loop: Header=BB468_3103 Depth=1
	v_dual_mov_b32 v7, v13 :: v_dual_and_b32 v6, 7, v7
	v_lshrrev_b32_e32 v9, 3, v35
	s_mov_b32 s25, exec_lo
	v_cmpx_gt_u32_e32 8, v35
; %bb.5539:                             ;   in Loop: Header=BB468_3103 Depth=1
	s_delay_alu instid0(VALU_DEP_3) | instskip(NEXT) | instid1(VALU_DEP_1)
	v_clz_i32_u32_e32 v9, v6
	v_min_u32_e32 v9, 32, v9
	s_delay_alu instid0(VALU_DEP_1) | instskip(SKIP_1) | instid1(VALU_DEP_2)
	v_subrev_nc_u32_e32 v35, 28, v9
	v_sub_nc_u32_e32 v9, 29, v9
	v_lshlrev_b64 v[6:7], v35, v[6:7]
	s_delay_alu instid0(VALU_DEP_1)
	v_and_b32_e32 v6, 7, v6
; %bb.5540:                             ;   in Loop: Header=BB468_3103 Depth=1
	s_or_b32 exec_lo, exec_lo, s25
	v_lshlrev_b32_e32 v7, 16, v12
	s_delay_alu instid0(VALU_DEP_2) | instskip(SKIP_1) | instid1(VALU_DEP_3)
	v_lshlrev_b32_e32 v6, 20, v6
	v_lshl_add_u32 v9, v9, 23, 0x3c000000
	v_and_b32_e32 v7, 0x80000000, v7
	s_delay_alu instid0(VALU_DEP_1)
	v_or3_b32 v6, v6, v7, v9
.LBB468_5541:                           ;   in Loop: Header=BB468_3103 Depth=1
	s_or_b32 exec_lo, exec_lo, s24
.LBB468_5542:                           ;   in Loop: Header=BB468_3103 Depth=1
	s_delay_alu instid0(SALU_CYCLE_1)
	s_or_b32 exec_lo, exec_lo, s23
.LBB468_5543:                           ;   in Loop: Header=BB468_3103 Depth=1
	s_delay_alu instid0(SALU_CYCLE_1) | instskip(NEXT) | instid1(VALU_DEP_1)
	s_or_b32 exec_lo, exec_lo, s22
	v_mul_f32_e32 v6, v26, v6
                                        ; implicit-def: $vgpr9
	s_delay_alu instid0(VALU_DEP_1) | instskip(NEXT) | instid1(VALU_DEP_1)
	v_and_b32_e32 v7, 0x7f800000, v6
	v_cmp_ne_u32_e64 s9, 0x7f800000, v7
	s_delay_alu instid0(VALU_DEP_1) | instskip(NEXT) | instid1(SALU_CYCLE_1)
	s_and_saveexec_b32 s22, s9
	s_xor_b32 s9, exec_lo, s22
; %bb.5544:                             ;   in Loop: Header=BB468_3103 Depth=1
	v_bfe_u32 v7, v6, 16, 1
	s_delay_alu instid0(VALU_DEP_1)
	v_add3_u32 v9, v6, v7, 0x7fff
                                        ; implicit-def: $vgpr6
; %bb.5545:                             ;   in Loop: Header=BB468_3103 Depth=1
	s_and_not1_saveexec_b32 s22, s9
; %bb.5546:                             ;   in Loop: Header=BB468_3103 Depth=1
	v_and_b32_e32 v7, 0xffff, v6
	v_or_b32_e32 v9, 0x10000, v6
	s_delay_alu instid0(VALU_DEP_2) | instskip(NEXT) | instid1(VALU_DEP_1)
	v_cmp_eq_u32_e64 s9, 0, v7
	v_cndmask_b32_e64 v9, v9, v6, s9
; %bb.5547:                             ;   in Loop: Header=BB468_3103 Depth=1
	s_or_b32 exec_lo, exec_lo, s22
	v_lshrrev_b32_e32 v35, 16, v3
	s_mov_b32 s22, exec_lo
	s_delay_alu instid0(VALU_DEP_1) | instskip(NEXT) | instid1(VALU_DEP_1)
	v_dual_mov_b32 v6, 0 :: v_dual_and_b32 v7, 0xff, v35
	v_cmpx_ne_u16_e32 0, v7
	s_cbranch_execz .LBB468_5555
; %bb.5548:                             ;   in Loop: Header=BB468_3103 Depth=1
	v_bfrev_b32_e32 v6, 1
	s_mov_b32 s23, exec_lo
	v_cmpx_ne_u16_e32 0x80, v7
	s_cbranch_execz .LBB468_5554
; %bb.5549:                             ;   in Loop: Header=BB468_3103 Depth=1
	v_bfe_u32 v36, v3, 16, 7
	v_mov_b32_e32 v6, 0x7f800001
	s_mov_b32 s24, exec_lo
	s_delay_alu instid0(VALU_DEP_2)
	v_cmpx_ne_u32_e32 0x7f, v36
	s_cbranch_execz .LBB468_5553
; %bb.5550:                             ;   in Loop: Header=BB468_3103 Depth=1
	v_and_b32_e32 v12, 7, v35
	s_mov_b32 s25, exec_lo
	s_delay_alu instid0(VALU_DEP_1)
	v_dual_mov_b32 v6, v12 :: v_dual_mov_b32 v7, v13
	v_lshrrev_b32_e32 v7, 3, v36
	v_cmpx_gt_u32_e32 8, v36
; %bb.5551:                             ;   in Loop: Header=BB468_3103 Depth=1
	v_clz_i32_u32_e32 v6, v12
	s_delay_alu instid0(VALU_DEP_1) | instskip(NEXT) | instid1(VALU_DEP_1)
	v_min_u32_e32 v36, 32, v6
	v_subrev_nc_u32_e32 v6, 28, v36
	s_delay_alu instid0(VALU_DEP_1) | instskip(SKIP_1) | instid1(VALU_DEP_2)
	v_lshlrev_b64 v[6:7], v6, v[12:13]
	v_sub_nc_u32_e32 v7, 29, v36
	v_and_b32_e32 v6, 7, v6
; %bb.5552:                             ;   in Loop: Header=BB468_3103 Depth=1
	s_or_b32 exec_lo, exec_lo, s25
	v_lshlrev_b32_e32 v12, 24, v35
	s_delay_alu instid0(VALU_DEP_2) | instskip(SKIP_1) | instid1(VALU_DEP_3)
	v_lshlrev_b32_e32 v6, 20, v6
	v_lshl_add_u32 v7, v7, 23, 0x3c000000
	v_and_b32_e32 v12, 0x80000000, v12
	s_delay_alu instid0(VALU_DEP_1)
	v_or3_b32 v6, v6, v12, v7
.LBB468_5553:                           ;   in Loop: Header=BB468_3103 Depth=1
	s_or_b32 exec_lo, exec_lo, s24
.LBB468_5554:                           ;   in Loop: Header=BB468_3103 Depth=1
	s_delay_alu instid0(SALU_CYCLE_1)
	s_or_b32 exec_lo, exec_lo, s23
.LBB468_5555:                           ;   in Loop: Header=BB468_3103 Depth=1
	s_delay_alu instid0(SALU_CYCLE_1) | instskip(NEXT) | instid1(VALU_DEP_1)
	s_or_b32 exec_lo, exec_lo, s22
	v_mul_f32_e32 v6, v26, v6
                                        ; implicit-def: $vgpr35
	s_delay_alu instid0(VALU_DEP_1) | instskip(NEXT) | instid1(VALU_DEP_1)
	v_and_b32_e32 v7, 0x7f800000, v6
	v_cmp_ne_u32_e64 s9, 0x7f800000, v7
	s_delay_alu instid0(VALU_DEP_1) | instskip(NEXT) | instid1(SALU_CYCLE_1)
	s_and_saveexec_b32 s22, s9
	s_xor_b32 s9, exec_lo, s22
; %bb.5556:                             ;   in Loop: Header=BB468_3103 Depth=1
	v_bfe_u32 v7, v6, 16, 1
	s_delay_alu instid0(VALU_DEP_1)
	v_add3_u32 v35, v6, v7, 0x7fff
                                        ; implicit-def: $vgpr6
; %bb.5557:                             ;   in Loop: Header=BB468_3103 Depth=1
	s_and_not1_saveexec_b32 s22, s9
; %bb.5558:                             ;   in Loop: Header=BB468_3103 Depth=1
	v_and_b32_e32 v7, 0xffff, v6
	v_or_b32_e32 v12, 0x10000, v6
	s_delay_alu instid0(VALU_DEP_2) | instskip(NEXT) | instid1(VALU_DEP_1)
	v_cmp_eq_u32_e64 s9, 0, v7
	v_cndmask_b32_e64 v35, v12, v6, s9
; %bb.5559:                             ;   in Loop: Header=BB468_3103 Depth=1
	s_or_b32 exec_lo, exec_lo, s22
	v_cmp_lt_u64_e64 s9, s[12:13], v[2:3]
	v_mov_b32_e32 v2, 0
	s_delay_alu instid0(VALU_DEP_2)
	s_and_saveexec_b32 s22, s9
	s_cbranch_execz .LBB468_5567
; %bb.5560:                             ;   in Loop: Header=BB468_3103 Depth=1
	v_lshrrev_b32_e32 v6, 24, v3
	v_bfrev_b32_e32 v2, 1
	s_mov_b32 s23, exec_lo
	s_delay_alu instid0(VALU_DEP_2)
	v_cmpx_ne_u32_e32 0x80, v6
	s_cbranch_execz .LBB468_5566
; %bb.5561:                             ;   in Loop: Header=BB468_3103 Depth=1
	v_bfe_u32 v7, v3, 24, 7
	v_mov_b32_e32 v2, 0x7f800001
	s_mov_b32 s24, exec_lo
	s_delay_alu instid0(VALU_DEP_2)
	v_cmpx_ne_u32_e32 0x7f, v7
	s_cbranch_execz .LBB468_5565
; %bb.5562:                             ;   in Loop: Header=BB468_3103 Depth=1
	v_and_b32_e32 v12, 7, v6
	s_mov_b32 s25, exec_lo
	s_delay_alu instid0(VALU_DEP_1)
	v_dual_mov_b32 v2, v12 :: v_dual_mov_b32 v3, v13
	v_lshrrev_b32_e32 v3, 3, v7
	v_cmpx_gt_u32_e32 8, v7
; %bb.5563:                             ;   in Loop: Header=BB468_3103 Depth=1
	v_clz_i32_u32_e32 v2, v12
	s_delay_alu instid0(VALU_DEP_1) | instskip(NEXT) | instid1(VALU_DEP_1)
	v_min_u32_e32 v7, 32, v2
	v_subrev_nc_u32_e32 v2, 28, v7
	s_delay_alu instid0(VALU_DEP_1) | instskip(SKIP_1) | instid1(VALU_DEP_2)
	v_lshlrev_b64 v[2:3], v2, v[12:13]
	v_sub_nc_u32_e32 v3, 29, v7
	v_and_b32_e32 v2, 7, v2
; %bb.5564:                             ;   in Loop: Header=BB468_3103 Depth=1
	s_or_b32 exec_lo, exec_lo, s25
	v_lshlrev_b32_e32 v6, 24, v6
	s_delay_alu instid0(VALU_DEP_2) | instskip(SKIP_1) | instid1(VALU_DEP_3)
	v_lshlrev_b32_e32 v2, 20, v2
	v_lshl_add_u32 v3, v3, 23, 0x3c000000
	v_and_b32_e32 v6, 0x80000000, v6
	s_delay_alu instid0(VALU_DEP_1)
	v_or3_b32 v2, v2, v6, v3
.LBB468_5565:                           ;   in Loop: Header=BB468_3103 Depth=1
	s_or_b32 exec_lo, exec_lo, s24
.LBB468_5566:                           ;   in Loop: Header=BB468_3103 Depth=1
	s_delay_alu instid0(SALU_CYCLE_1)
	s_or_b32 exec_lo, exec_lo, s23
.LBB468_5567:                           ;   in Loop: Header=BB468_3103 Depth=1
	s_delay_alu instid0(SALU_CYCLE_1) | instskip(NEXT) | instid1(VALU_DEP_1)
	s_or_b32 exec_lo, exec_lo, s22
	v_mul_f32_e32 v3, v26, v2
	s_delay_alu instid0(VALU_DEP_1) | instskip(NEXT) | instid1(VALU_DEP_1)
	v_and_b32_e32 v2, 0x7f800000, v3
	v_cmp_ne_u32_e64 s9, 0x7f800000, v2
                                        ; implicit-def: $vgpr2
	s_delay_alu instid0(VALU_DEP_1) | instskip(NEXT) | instid1(SALU_CYCLE_1)
	s_and_saveexec_b32 s22, s9
	s_xor_b32 s9, exec_lo, s22
; %bb.5568:                             ;   in Loop: Header=BB468_3103 Depth=1
	v_bfe_u32 v2, v3, 16, 1
	s_delay_alu instid0(VALU_DEP_1)
	v_add3_u32 v2, v3, v2, 0x7fff
                                        ; implicit-def: $vgpr3
; %bb.5569:                             ;   in Loop: Header=BB468_3103 Depth=1
	s_and_not1_saveexec_b32 s22, s9
; %bb.5570:                             ;   in Loop: Header=BB468_3103 Depth=1
	v_and_b32_e32 v2, 0xffff, v3
	v_or_b32_e32 v6, 0x10000, v3
	s_delay_alu instid0(VALU_DEP_2) | instskip(NEXT) | instid1(VALU_DEP_1)
	v_cmp_eq_u32_e64 s9, 0, v2
	v_cndmask_b32_e64 v2, v6, v3, s9
; %bb.5571:                             ;   in Loop: Header=BB468_3103 Depth=1
	s_or_b32 exec_lo, exec_lo, s22
	v_lshrrev_b32_e32 v6, 16, v9
	v_lshrrev_b32_e32 v7, 16, v8
	;; [unrolled: 1-line block ×8, first 2 shown]
	s_and_saveexec_b32 s9, s3
; %bb.5572:                             ;   in Loop: Header=BB468_3103 Depth=1
	s_delay_alu instid0(VALU_DEP_3)
	v_cndmask_b32_e32 v4, 0, v4, vcc_lo
	v_cndmask_b32_e64 v5, 0, v5, s1
	v_cndmask_b32_e64 v9, 0, v9, s2
	v_cndmask_b32_e64 v8, 0, v8, s4
	v_cndmask_b32_e64 v7, 0, v7, s5
	v_cndmask_b32_e64 v6, 0, v6, s6
	v_cndmask_b32_e64 v3, 0, v3, s7
	v_cndmask_b32_e64 v2, 0, v2, s8
; %bb.5573:                             ;   in Loop: Header=BB468_3103 Depth=1
	s_or_b32 exec_lo, exec_lo, s9
	v_lshlrev_b32_e32 v4, 16, v4
                                        ; implicit-def: $vgpr134
	s_delay_alu instid0(VALU_DEP_1) | instskip(NEXT) | instid1(VALU_DEP_1)
	v_mul_f32_e32 v4, v151, v4
	v_and_b32_e32 v12, 0x7f800000, v4
	s_delay_alu instid0(VALU_DEP_1) | instskip(NEXT) | instid1(VALU_DEP_1)
	v_cmp_ne_u32_e64 s9, 0x7f800000, v12
	s_and_saveexec_b32 s22, s9
	s_delay_alu instid0(SALU_CYCLE_1)
	s_xor_b32 s9, exec_lo, s22
; %bb.5574:                             ;   in Loop: Header=BB468_3103 Depth=1
	v_bfe_u32 v12, v4, 16, 1
	s_delay_alu instid0(VALU_DEP_1)
	v_add3_u32 v134, v4, v12, 0x7fff
                                        ; implicit-def: $vgpr4
; %bb.5575:                             ;   in Loop: Header=BB468_3103 Depth=1
	s_and_not1_saveexec_b32 s22, s9
; %bb.5576:                             ;   in Loop: Header=BB468_3103 Depth=1
	v_and_b32_e32 v12, 0xffff, v4
	v_or_b32_e32 v18, 0x10000, v4
	s_delay_alu instid0(VALU_DEP_2) | instskip(NEXT) | instid1(VALU_DEP_1)
	v_cmp_eq_u32_e64 s9, 0, v12
	v_cndmask_b32_e64 v134, v18, v4, s9
; %bb.5577:                             ;   in Loop: Header=BB468_3103 Depth=1
	s_or_b32 exec_lo, exec_lo, s22
	v_lshlrev_b32_e32 v4, 16, v5
                                        ; implicit-def: $vgpr135
	s_delay_alu instid0(VALU_DEP_1) | instskip(NEXT) | instid1(VALU_DEP_1)
	v_mul_f32_e32 v4, v160, v4
	v_and_b32_e32 v5, 0x7f800000, v4
	s_delay_alu instid0(VALU_DEP_1) | instskip(NEXT) | instid1(VALU_DEP_1)
	v_cmp_ne_u32_e64 s9, 0x7f800000, v5
	s_and_saveexec_b32 s22, s9
	s_delay_alu instid0(SALU_CYCLE_1)
	s_xor_b32 s9, exec_lo, s22
; %bb.5578:                             ;   in Loop: Header=BB468_3103 Depth=1
	v_bfe_u32 v5, v4, 16, 1
	s_delay_alu instid0(VALU_DEP_1)
	v_add3_u32 v135, v4, v5, 0x7fff
                                        ; implicit-def: $vgpr4
; %bb.5579:                             ;   in Loop: Header=BB468_3103 Depth=1
	s_and_not1_saveexec_b32 s22, s9
; %bb.5580:                             ;   in Loop: Header=BB468_3103 Depth=1
	v_and_b32_e32 v5, 0xffff, v4
	v_or_b32_e32 v12, 0x10000, v4
	s_delay_alu instid0(VALU_DEP_2) | instskip(NEXT) | instid1(VALU_DEP_1)
	v_cmp_eq_u32_e64 s9, 0, v5
	v_cndmask_b32_e64 v135, v12, v4, s9
; %bb.5581:                             ;   in Loop: Header=BB468_3103 Depth=1
	s_or_b32 exec_lo, exec_lo, s22
	v_lshlrev_b32_e32 v4, 16, v9
                                        ; implicit-def: $vgpr144
	s_delay_alu instid0(VALU_DEP_1) | instskip(NEXT) | instid1(VALU_DEP_1)
	v_mul_f32_e32 v4, v161, v4
	v_and_b32_e32 v5, 0x7f800000, v4
	s_delay_alu instid0(VALU_DEP_1) | instskip(NEXT) | instid1(VALU_DEP_1)
	v_cmp_ne_u32_e64 s9, 0x7f800000, v5
	s_and_saveexec_b32 s22, s9
	s_delay_alu instid0(SALU_CYCLE_1)
	s_xor_b32 s9, exec_lo, s22
; %bb.5582:                             ;   in Loop: Header=BB468_3103 Depth=1
	v_bfe_u32 v5, v4, 16, 1
	s_delay_alu instid0(VALU_DEP_1)
	v_add3_u32 v144, v4, v5, 0x7fff
                                        ; implicit-def: $vgpr4
; %bb.5583:                             ;   in Loop: Header=BB468_3103 Depth=1
	s_and_not1_saveexec_b32 s22, s9
; %bb.5584:                             ;   in Loop: Header=BB468_3103 Depth=1
	v_and_b32_e32 v5, 0xffff, v4
	v_or_b32_e32 v9, 0x10000, v4
	s_delay_alu instid0(VALU_DEP_2) | instskip(NEXT) | instid1(VALU_DEP_1)
	v_cmp_eq_u32_e64 s9, 0, v5
	v_cndmask_b32_e64 v144, v9, v4, s9
; %bb.5585:                             ;   in Loop: Header=BB468_3103 Depth=1
	s_or_b32 exec_lo, exec_lo, s22
	v_lshlrev_b32_e32 v4, 16, v8
                                        ; implicit-def: $vgpr145
	s_delay_alu instid0(VALU_DEP_1) | instskip(NEXT) | instid1(VALU_DEP_1)
	v_mul_f32_e32 v4, v162, v4
	v_and_b32_e32 v5, 0x7f800000, v4
	s_delay_alu instid0(VALU_DEP_1) | instskip(NEXT) | instid1(VALU_DEP_1)
	v_cmp_ne_u32_e64 s9, 0x7f800000, v5
	s_and_saveexec_b32 s22, s9
	s_delay_alu instid0(SALU_CYCLE_1)
	s_xor_b32 s9, exec_lo, s22
; %bb.5586:                             ;   in Loop: Header=BB468_3103 Depth=1
	v_bfe_u32 v5, v4, 16, 1
	s_delay_alu instid0(VALU_DEP_1)
	v_add3_u32 v145, v4, v5, 0x7fff
                                        ; implicit-def: $vgpr4
; %bb.5587:                             ;   in Loop: Header=BB468_3103 Depth=1
	s_and_not1_saveexec_b32 s22, s9
; %bb.5588:                             ;   in Loop: Header=BB468_3103 Depth=1
	v_and_b32_e32 v5, 0xffff, v4
	v_or_b32_e32 v8, 0x10000, v4
	s_delay_alu instid0(VALU_DEP_2) | instskip(NEXT) | instid1(VALU_DEP_1)
	v_cmp_eq_u32_e64 s9, 0, v5
	v_cndmask_b32_e64 v145, v8, v4, s9
; %bb.5589:                             ;   in Loop: Header=BB468_3103 Depth=1
	s_or_b32 exec_lo, exec_lo, s22
	v_lshlrev_b32_e32 v4, 16, v7
                                        ; implicit-def: $vgpr146
	s_delay_alu instid0(VALU_DEP_1) | instskip(NEXT) | instid1(VALU_DEP_1)
	v_mul_f32_e32 v4, v163, v4
	v_and_b32_e32 v5, 0x7f800000, v4
	s_delay_alu instid0(VALU_DEP_1) | instskip(NEXT) | instid1(VALU_DEP_1)
	v_cmp_ne_u32_e64 s9, 0x7f800000, v5
	s_and_saveexec_b32 s22, s9
	s_delay_alu instid0(SALU_CYCLE_1)
	s_xor_b32 s9, exec_lo, s22
; %bb.5590:                             ;   in Loop: Header=BB468_3103 Depth=1
	v_bfe_u32 v5, v4, 16, 1
	s_delay_alu instid0(VALU_DEP_1)
	v_add3_u32 v146, v4, v5, 0x7fff
                                        ; implicit-def: $vgpr4
; %bb.5591:                             ;   in Loop: Header=BB468_3103 Depth=1
	s_and_not1_saveexec_b32 s22, s9
; %bb.5592:                             ;   in Loop: Header=BB468_3103 Depth=1
	v_and_b32_e32 v5, 0xffff, v4
	v_or_b32_e32 v7, 0x10000, v4
	s_delay_alu instid0(VALU_DEP_2) | instskip(NEXT) | instid1(VALU_DEP_1)
	v_cmp_eq_u32_e64 s9, 0, v5
	v_cndmask_b32_e64 v146, v7, v4, s9
; %bb.5593:                             ;   in Loop: Header=BB468_3103 Depth=1
	s_or_b32 exec_lo, exec_lo, s22
	v_lshlrev_b32_e32 v4, 16, v6
                                        ; implicit-def: $vgpr147
	s_delay_alu instid0(VALU_DEP_1) | instskip(NEXT) | instid1(VALU_DEP_1)
	v_mul_f32_e32 v4, v164, v4
	v_and_b32_e32 v5, 0x7f800000, v4
	s_delay_alu instid0(VALU_DEP_1) | instskip(NEXT) | instid1(VALU_DEP_1)
	v_cmp_ne_u32_e64 s9, 0x7f800000, v5
	s_and_saveexec_b32 s22, s9
	s_delay_alu instid0(SALU_CYCLE_1)
	s_xor_b32 s9, exec_lo, s22
; %bb.5594:                             ;   in Loop: Header=BB468_3103 Depth=1
	v_bfe_u32 v5, v4, 16, 1
	s_delay_alu instid0(VALU_DEP_1)
	v_add3_u32 v147, v4, v5, 0x7fff
                                        ; implicit-def: $vgpr4
; %bb.5595:                             ;   in Loop: Header=BB468_3103 Depth=1
	s_and_not1_saveexec_b32 s22, s9
; %bb.5596:                             ;   in Loop: Header=BB468_3103 Depth=1
	v_and_b32_e32 v5, 0xffff, v4
	v_or_b32_e32 v6, 0x10000, v4
	s_delay_alu instid0(VALU_DEP_2) | instskip(NEXT) | instid1(VALU_DEP_1)
	v_cmp_eq_u32_e64 s9, 0, v5
	v_cndmask_b32_e64 v147, v6, v4, s9
; %bb.5597:                             ;   in Loop: Header=BB468_3103 Depth=1
	s_or_b32 exec_lo, exec_lo, s22
	v_lshlrev_b32_e32 v3, 16, v3
                                        ; implicit-def: $vgpr148
	s_delay_alu instid0(VALU_DEP_1) | instskip(NEXT) | instid1(VALU_DEP_1)
	v_mul_f32_e32 v3, v165, v3
	v_and_b32_e32 v4, 0x7f800000, v3
	s_delay_alu instid0(VALU_DEP_1) | instskip(NEXT) | instid1(VALU_DEP_1)
	v_cmp_ne_u32_e64 s9, 0x7f800000, v4
	s_and_saveexec_b32 s22, s9
	s_delay_alu instid0(SALU_CYCLE_1)
	s_xor_b32 s9, exec_lo, s22
; %bb.5598:                             ;   in Loop: Header=BB468_3103 Depth=1
	v_bfe_u32 v4, v3, 16, 1
	s_delay_alu instid0(VALU_DEP_1)
	v_add3_u32 v148, v3, v4, 0x7fff
                                        ; implicit-def: $vgpr3
; %bb.5599:                             ;   in Loop: Header=BB468_3103 Depth=1
	s_and_not1_saveexec_b32 s22, s9
; %bb.5600:                             ;   in Loop: Header=BB468_3103 Depth=1
	v_and_b32_e32 v4, 0xffff, v3
	v_or_b32_e32 v5, 0x10000, v3
	s_delay_alu instid0(VALU_DEP_2) | instskip(NEXT) | instid1(VALU_DEP_1)
	v_cmp_eq_u32_e64 s9, 0, v4
	v_cndmask_b32_e64 v148, v5, v3, s9
; %bb.5601:                             ;   in Loop: Header=BB468_3103 Depth=1
	s_or_b32 exec_lo, exec_lo, s22
	v_lshlrev_b32_e32 v2, 16, v2
                                        ; implicit-def: $vgpr149
	s_delay_alu instid0(VALU_DEP_1) | instskip(NEXT) | instid1(VALU_DEP_1)
	v_mul_f32_e32 v2, v166, v2
	v_and_b32_e32 v3, 0x7f800000, v2
	s_delay_alu instid0(VALU_DEP_1) | instskip(NEXT) | instid1(VALU_DEP_1)
	v_cmp_ne_u32_e64 s9, 0x7f800000, v3
	s_and_saveexec_b32 s22, s9
	s_delay_alu instid0(SALU_CYCLE_1)
	s_xor_b32 s9, exec_lo, s22
; %bb.5602:                             ;   in Loop: Header=BB468_3103 Depth=1
	v_bfe_u32 v3, v2, 16, 1
	s_delay_alu instid0(VALU_DEP_1)
	v_add3_u32 v149, v2, v3, 0x7fff
                                        ; implicit-def: $vgpr2
; %bb.5603:                             ;   in Loop: Header=BB468_3103 Depth=1
	s_and_not1_saveexec_b32 s22, s9
; %bb.5604:                             ;   in Loop: Header=BB468_3103 Depth=1
	v_and_b32_e32 v3, 0xffff, v2
	v_or_b32_e32 v4, 0x10000, v2
	s_delay_alu instid0(VALU_DEP_2) | instskip(NEXT) | instid1(VALU_DEP_1)
	v_cmp_eq_u32_e64 s9, 0, v3
	v_cndmask_b32_e64 v149, v4, v2, s9
; %bb.5605:                             ;   in Loop: Header=BB468_3103 Depth=1
	s_or_b32 exec_lo, exec_lo, s22
	scratch_load_b32 v2, off, s32 offset:828 ; 4-byte Folded Reload
	s_mov_b32 s22, exec_lo
	v_mov_b32_e32 v4, 0
	s_waitcnt vmcnt(0)
	v_add_co_u32 v2, s9, v0, v2
	s_delay_alu instid0(VALU_DEP_1) | instskip(SKIP_3) | instid1(VALU_DEP_1)
	v_add_co_ci_u32_e64 v3, s9, 0, v1, s9
	flat_load_b64 v[2:3], v[2:3]
	s_waitcnt vmcnt(0) lgkmcnt(0)
	v_and_b32_e32 v5, 0xff, v2
	v_cmpx_ne_u16_e32 0, v5
	s_cbranch_execz .LBB468_5613
; %bb.5606:                             ;   in Loop: Header=BB468_3103 Depth=1
	v_bfrev_b32_e32 v4, 1
	s_mov_b32 s23, exec_lo
	v_cmpx_ne_u16_e32 0x80, v5
	s_cbranch_execz .LBB468_5612
; %bb.5607:                             ;   in Loop: Header=BB468_3103 Depth=1
	v_and_b32_e32 v5, 0x7f, v2
	v_mov_b32_e32 v4, 0x7f800001
	s_mov_b32 s24, exec_lo
	s_delay_alu instid0(VALU_DEP_2)
	v_cmpx_ne_u32_e32 0x7f, v5
	s_cbranch_execz .LBB468_5611
; %bb.5608:                             ;   in Loop: Header=BB468_3103 Depth=1
	v_lshrrev_b32_e32 v4, 3, v5
	v_dual_mov_b32 v7, v3 :: v_dual_mov_b32 v6, v2
	s_mov_b32 s25, exec_lo
	v_cmpx_gt_u32_e32 8, v5
; %bb.5609:                             ;   in Loop: Header=BB468_3103 Depth=1
	v_and_b32_e32 v4, 7, v2
	s_delay_alu instid0(VALU_DEP_1) | instskip(NEXT) | instid1(VALU_DEP_1)
	v_clz_i32_u32_e32 v4, v4
	v_min_u32_e32 v4, 32, v4
	s_delay_alu instid0(VALU_DEP_1) | instskip(SKIP_1) | instid1(VALU_DEP_2)
	v_subrev_nc_u32_e32 v5, 28, v4
	v_sub_nc_u32_e32 v4, 29, v4
	v_lshlrev_b64 v[6:7], v5, v[2:3]
; %bb.5610:                             ;   in Loop: Header=BB468_3103 Depth=1
	s_or_b32 exec_lo, exec_lo, s25
	s_delay_alu instid0(VALU_DEP_1) | instskip(SKIP_2) | instid1(VALU_DEP_3)
	v_lshlrev_b32_e32 v5, 20, v6
	v_lshlrev_b32_e32 v6, 24, v2
	v_lshl_add_u32 v4, v4, 23, 0x3c000000
	v_and_b32_e32 v5, 0x700000, v5
	s_delay_alu instid0(VALU_DEP_3) | instskip(NEXT) | instid1(VALU_DEP_1)
	v_and_b32_e32 v6, 0x80000000, v6
	v_or3_b32 v4, v5, v6, v4
.LBB468_5611:                           ;   in Loop: Header=BB468_3103 Depth=1
	s_or_b32 exec_lo, exec_lo, s24
.LBB468_5612:                           ;   in Loop: Header=BB468_3103 Depth=1
	s_delay_alu instid0(SALU_CYCLE_1)
	s_or_b32 exec_lo, exec_lo, s23
.LBB468_5613:                           ;   in Loop: Header=BB468_3103 Depth=1
	s_delay_alu instid0(SALU_CYCLE_1) | instskip(NEXT) | instid1(VALU_DEP_1)
	s_or_b32 exec_lo, exec_lo, s22
	v_mul_f32_e32 v5, v26, v4
	s_delay_alu instid0(VALU_DEP_1) | instskip(NEXT) | instid1(VALU_DEP_1)
	v_and_b32_e32 v4, 0x7f800000, v5
	v_cmp_ne_u32_e64 s9, 0x7f800000, v4
                                        ; implicit-def: $vgpr4
	s_delay_alu instid0(VALU_DEP_1) | instskip(NEXT) | instid1(SALU_CYCLE_1)
	s_and_saveexec_b32 s22, s9
	s_xor_b32 s9, exec_lo, s22
; %bb.5614:                             ;   in Loop: Header=BB468_3103 Depth=1
	v_bfe_u32 v4, v5, 16, 1
	s_delay_alu instid0(VALU_DEP_1)
	v_add3_u32 v4, v5, v4, 0x7fff
                                        ; implicit-def: $vgpr5
; %bb.5615:                             ;   in Loop: Header=BB468_3103 Depth=1
	s_and_not1_saveexec_b32 s22, s9
; %bb.5616:                             ;   in Loop: Header=BB468_3103 Depth=1
	v_and_b32_e32 v4, 0xffff, v5
	v_or_b32_e32 v6, 0x10000, v5
	s_delay_alu instid0(VALU_DEP_2) | instskip(NEXT) | instid1(VALU_DEP_1)
	v_cmp_eq_u32_e64 s9, 0, v4
	v_cndmask_b32_e64 v4, v6, v5, s9
; %bb.5617:                             ;   in Loop: Header=BB468_3103 Depth=1
	s_or_b32 exec_lo, exec_lo, s22
	v_lshrrev_b16 v6, 8, v2
	v_mov_b32_e32 v5, 0
	s_mov_b32 s22, exec_lo
	s_delay_alu instid0(VALU_DEP_2)
	v_cmpx_ne_u16_e32 0, v6
	s_cbranch_execz .LBB468_5625
; %bb.5618:                             ;   in Loop: Header=BB468_3103 Depth=1
	v_bfrev_b32_e32 v5, 1
	s_mov_b32 s23, exec_lo
	v_cmpx_ne_u16_e32 0x80, v6
	s_cbranch_execz .LBB468_5624
; %bb.5619:                             ;   in Loop: Header=BB468_3103 Depth=1
	v_and_b32_e32 v6, 0xffff, v6
	v_mov_b32_e32 v5, 0x7f800001
	s_mov_b32 s24, exec_lo
	s_delay_alu instid0(VALU_DEP_2) | instskip(NEXT) | instid1(VALU_DEP_1)
	v_and_b32_e32 v8, 0x7f, v6
	v_cmpx_ne_u32_e32 0x7f, v8
	s_cbranch_execz .LBB468_5623
; %bb.5620:                             ;   in Loop: Header=BB468_3103 Depth=1
	v_and_b32_e32 v12, 7, v6
	v_lshrrev_b32_e32 v5, 3, v8
	s_mov_b32 s25, exec_lo
	s_delay_alu instid0(VALU_DEP_2)
	v_dual_mov_b32 v6, v12 :: v_dual_mov_b32 v7, v13
	v_cmpx_gt_u32_e32 8, v8
; %bb.5621:                             ;   in Loop: Header=BB468_3103 Depth=1
	v_clz_i32_u32_e32 v5, v12
	s_delay_alu instid0(VALU_DEP_1) | instskip(NEXT) | instid1(VALU_DEP_1)
	v_min_u32_e32 v5, 32, v5
	v_subrev_nc_u32_e32 v6, 28, v5
	v_sub_nc_u32_e32 v5, 29, v5
	s_delay_alu instid0(VALU_DEP_2) | instskip(NEXT) | instid1(VALU_DEP_1)
	v_lshlrev_b64 v[6:7], v6, v[12:13]
	v_and_b32_e32 v6, 7, v6
; %bb.5622:                             ;   in Loop: Header=BB468_3103 Depth=1
	s_or_b32 exec_lo, exec_lo, s25
	v_lshlrev_b32_e32 v7, 16, v2
	s_delay_alu instid0(VALU_DEP_2) | instskip(SKIP_1) | instid1(VALU_DEP_3)
	v_lshlrev_b32_e32 v6, 20, v6
	v_lshl_add_u32 v5, v5, 23, 0x3c000000
	v_and_b32_e32 v7, 0x80000000, v7
	s_delay_alu instid0(VALU_DEP_1)
	v_or3_b32 v5, v6, v7, v5
.LBB468_5623:                           ;   in Loop: Header=BB468_3103 Depth=1
	s_or_b32 exec_lo, exec_lo, s24
.LBB468_5624:                           ;   in Loop: Header=BB468_3103 Depth=1
	s_delay_alu instid0(SALU_CYCLE_1)
	s_or_b32 exec_lo, exec_lo, s23
.LBB468_5625:                           ;   in Loop: Header=BB468_3103 Depth=1
	s_delay_alu instid0(SALU_CYCLE_1) | instskip(NEXT) | instid1(VALU_DEP_1)
	s_or_b32 exec_lo, exec_lo, s22
	v_mul_f32_e32 v6, v26, v5
	s_delay_alu instid0(VALU_DEP_1) | instskip(NEXT) | instid1(VALU_DEP_1)
	v_and_b32_e32 v5, 0x7f800000, v6
	v_cmp_ne_u32_e64 s9, 0x7f800000, v5
                                        ; implicit-def: $vgpr5
	s_delay_alu instid0(VALU_DEP_1) | instskip(NEXT) | instid1(SALU_CYCLE_1)
	s_and_saveexec_b32 s22, s9
	s_xor_b32 s9, exec_lo, s22
; %bb.5626:                             ;   in Loop: Header=BB468_3103 Depth=1
	v_bfe_u32 v5, v6, 16, 1
	s_delay_alu instid0(VALU_DEP_1)
	v_add3_u32 v5, v6, v5, 0x7fff
                                        ; implicit-def: $vgpr6
; %bb.5627:                             ;   in Loop: Header=BB468_3103 Depth=1
	s_and_not1_saveexec_b32 s22, s9
; %bb.5628:                             ;   in Loop: Header=BB468_3103 Depth=1
	v_and_b32_e32 v5, 0xffff, v6
	v_or_b32_e32 v7, 0x10000, v6
	s_delay_alu instid0(VALU_DEP_2) | instskip(NEXT) | instid1(VALU_DEP_1)
	v_cmp_eq_u32_e64 s9, 0, v5
	v_cndmask_b32_e64 v5, v7, v6, s9
; %bb.5629:                             ;   in Loop: Header=BB468_3103 Depth=1
	s_or_b32 exec_lo, exec_lo, s22
	v_lshrrev_b32_e32 v8, 16, v2
	s_mov_b32 s22, exec_lo
	s_delay_alu instid0(VALU_DEP_1) | instskip(NEXT) | instid1(VALU_DEP_1)
	v_dual_mov_b32 v6, 0 :: v_dual_and_b32 v7, 0xff, v8
	v_cmpx_ne_u16_e32 0, v7
	s_cbranch_execz .LBB468_5637
; %bb.5630:                             ;   in Loop: Header=BB468_3103 Depth=1
	v_bfrev_b32_e32 v6, 1
	s_mov_b32 s23, exec_lo
	v_cmpx_ne_u16_e32 0x80, v7
	s_cbranch_execz .LBB468_5636
; %bb.5631:                             ;   in Loop: Header=BB468_3103 Depth=1
	v_bfe_u32 v9, v2, 16, 7
	v_mov_b32_e32 v6, 0x7f800001
	s_mov_b32 s24, exec_lo
	s_delay_alu instid0(VALU_DEP_2)
	v_cmpx_ne_u32_e32 0x7f, v9
	s_cbranch_execz .LBB468_5635
; %bb.5632:                             ;   in Loop: Header=BB468_3103 Depth=1
	v_and_b32_e32 v12, 7, v8
	s_mov_b32 s25, exec_lo
	s_delay_alu instid0(VALU_DEP_1)
	v_dual_mov_b32 v6, v12 :: v_dual_mov_b32 v7, v13
	v_lshrrev_b32_e32 v7, 3, v9
	v_cmpx_gt_u32_e32 8, v9
; %bb.5633:                             ;   in Loop: Header=BB468_3103 Depth=1
	v_clz_i32_u32_e32 v6, v12
	s_delay_alu instid0(VALU_DEP_1) | instskip(NEXT) | instid1(VALU_DEP_1)
	v_min_u32_e32 v9, 32, v6
	v_subrev_nc_u32_e32 v6, 28, v9
	s_delay_alu instid0(VALU_DEP_1) | instskip(SKIP_1) | instid1(VALU_DEP_2)
	v_lshlrev_b64 v[6:7], v6, v[12:13]
	v_sub_nc_u32_e32 v7, 29, v9
	v_and_b32_e32 v6, 7, v6
; %bb.5634:                             ;   in Loop: Header=BB468_3103 Depth=1
	s_or_b32 exec_lo, exec_lo, s25
	v_lshlrev_b32_e32 v8, 24, v8
	s_delay_alu instid0(VALU_DEP_2) | instskip(SKIP_1) | instid1(VALU_DEP_3)
	v_lshlrev_b32_e32 v6, 20, v6
	v_lshl_add_u32 v7, v7, 23, 0x3c000000
	v_and_b32_e32 v8, 0x80000000, v8
	s_delay_alu instid0(VALU_DEP_1)
	v_or3_b32 v6, v6, v8, v7
.LBB468_5635:                           ;   in Loop: Header=BB468_3103 Depth=1
	s_or_b32 exec_lo, exec_lo, s24
.LBB468_5636:                           ;   in Loop: Header=BB468_3103 Depth=1
	s_delay_alu instid0(SALU_CYCLE_1)
	s_or_b32 exec_lo, exec_lo, s23
.LBB468_5637:                           ;   in Loop: Header=BB468_3103 Depth=1
	s_delay_alu instid0(SALU_CYCLE_1) | instskip(NEXT) | instid1(VALU_DEP_1)
	s_or_b32 exec_lo, exec_lo, s22
	v_mul_f32_e32 v6, v26, v6
                                        ; implicit-def: $vgpr18
	s_delay_alu instid0(VALU_DEP_1) | instskip(NEXT) | instid1(VALU_DEP_1)
	v_and_b32_e32 v7, 0x7f800000, v6
	v_cmp_ne_u32_e64 s9, 0x7f800000, v7
	s_delay_alu instid0(VALU_DEP_1) | instskip(NEXT) | instid1(SALU_CYCLE_1)
	s_and_saveexec_b32 s22, s9
	s_xor_b32 s9, exec_lo, s22
; %bb.5638:                             ;   in Loop: Header=BB468_3103 Depth=1
	v_bfe_u32 v7, v6, 16, 1
	s_delay_alu instid0(VALU_DEP_1)
	v_add3_u32 v18, v6, v7, 0x7fff
                                        ; implicit-def: $vgpr6
; %bb.5639:                             ;   in Loop: Header=BB468_3103 Depth=1
	s_and_not1_saveexec_b32 s22, s9
; %bb.5640:                             ;   in Loop: Header=BB468_3103 Depth=1
	v_and_b32_e32 v7, 0xffff, v6
	v_or_b32_e32 v8, 0x10000, v6
	s_delay_alu instid0(VALU_DEP_2) | instskip(NEXT) | instid1(VALU_DEP_1)
	v_cmp_eq_u32_e64 s9, 0, v7
	v_cndmask_b32_e64 v18, v8, v6, s9
; %bb.5641:                             ;   in Loop: Header=BB468_3103 Depth=1
	s_or_b32 exec_lo, exec_lo, s22
	v_mov_b32_e32 v6, 0
	s_mov_b32 s22, exec_lo
	v_cmpx_lt_u32_e32 0xffffff, v2
	s_cbranch_execz .LBB468_5649
; %bb.5642:                             ;   in Loop: Header=BB468_3103 Depth=1
	v_lshrrev_b32_e32 v8, 24, v2
	v_bfrev_b32_e32 v6, 1
	s_mov_b32 s23, exec_lo
	s_delay_alu instid0(VALU_DEP_2)
	v_cmpx_ne_u32_e32 0x80, v8
	s_cbranch_execz .LBB468_5648
; %bb.5643:                             ;   in Loop: Header=BB468_3103 Depth=1
	v_bfe_u32 v9, v2, 24, 7
	v_mov_b32_e32 v6, 0x7f800001
	s_mov_b32 s24, exec_lo
	s_delay_alu instid0(VALU_DEP_2)
	v_cmpx_ne_u32_e32 0x7f, v9
	s_cbranch_execz .LBB468_5647
; %bb.5644:                             ;   in Loop: Header=BB468_3103 Depth=1
	v_and_b32_e32 v12, 7, v8
	s_mov_b32 s25, exec_lo
	s_delay_alu instid0(VALU_DEP_1)
	v_dual_mov_b32 v6, v12 :: v_dual_mov_b32 v7, v13
	v_lshrrev_b32_e32 v7, 3, v9
	v_cmpx_gt_u32_e32 8, v9
; %bb.5645:                             ;   in Loop: Header=BB468_3103 Depth=1
	v_clz_i32_u32_e32 v6, v12
	s_delay_alu instid0(VALU_DEP_1) | instskip(NEXT) | instid1(VALU_DEP_1)
	v_min_u32_e32 v9, 32, v6
	v_subrev_nc_u32_e32 v6, 28, v9
	s_delay_alu instid0(VALU_DEP_1) | instskip(SKIP_1) | instid1(VALU_DEP_2)
	v_lshlrev_b64 v[6:7], v6, v[12:13]
	v_sub_nc_u32_e32 v7, 29, v9
	v_and_b32_e32 v6, 7, v6
; %bb.5646:                             ;   in Loop: Header=BB468_3103 Depth=1
	s_or_b32 exec_lo, exec_lo, s25
	v_lshlrev_b32_e32 v8, 24, v8
	s_delay_alu instid0(VALU_DEP_2) | instskip(SKIP_1) | instid1(VALU_DEP_3)
	v_lshlrev_b32_e32 v6, 20, v6
	v_lshl_add_u32 v7, v7, 23, 0x3c000000
	v_and_b32_e32 v8, 0x80000000, v8
	s_delay_alu instid0(VALU_DEP_1)
	v_or3_b32 v6, v6, v8, v7
.LBB468_5647:                           ;   in Loop: Header=BB468_3103 Depth=1
	s_or_b32 exec_lo, exec_lo, s24
.LBB468_5648:                           ;   in Loop: Header=BB468_3103 Depth=1
	s_delay_alu instid0(SALU_CYCLE_1)
	s_or_b32 exec_lo, exec_lo, s23
.LBB468_5649:                           ;   in Loop: Header=BB468_3103 Depth=1
	s_delay_alu instid0(SALU_CYCLE_1) | instskip(NEXT) | instid1(VALU_DEP_1)
	s_or_b32 exec_lo, exec_lo, s22
	v_mul_f32_e32 v6, v26, v6
                                        ; implicit-def: $vgpr34
	s_delay_alu instid0(VALU_DEP_1) | instskip(NEXT) | instid1(VALU_DEP_1)
	v_and_b32_e32 v7, 0x7f800000, v6
	v_cmp_ne_u32_e64 s9, 0x7f800000, v7
	s_delay_alu instid0(VALU_DEP_1) | instskip(NEXT) | instid1(SALU_CYCLE_1)
	s_and_saveexec_b32 s22, s9
	s_xor_b32 s9, exec_lo, s22
; %bb.5650:                             ;   in Loop: Header=BB468_3103 Depth=1
	v_bfe_u32 v7, v6, 16, 1
	s_delay_alu instid0(VALU_DEP_1)
	v_add3_u32 v34, v6, v7, 0x7fff
                                        ; implicit-def: $vgpr6
; %bb.5651:                             ;   in Loop: Header=BB468_3103 Depth=1
	s_and_not1_saveexec_b32 s22, s9
; %bb.5652:                             ;   in Loop: Header=BB468_3103 Depth=1
	v_and_b32_e32 v7, 0xffff, v6
	v_or_b32_e32 v8, 0x10000, v6
	s_delay_alu instid0(VALU_DEP_2) | instskip(NEXT) | instid1(VALU_DEP_1)
	v_cmp_eq_u32_e64 s9, 0, v7
	v_cndmask_b32_e64 v34, v8, v6, s9
; %bb.5653:                             ;   in Loop: Header=BB468_3103 Depth=1
	s_or_b32 exec_lo, exec_lo, s22
	v_dual_mov_b32 v12, v3 :: v_dual_and_b32 v7, 0xff, v3
	v_mov_b32_e32 v6, 0
	s_mov_b32 s22, exec_lo
	s_delay_alu instid0(VALU_DEP_2)
	v_cmpx_ne_u16_e32 0, v7
	s_cbranch_execz .LBB468_5661
; %bb.5654:                             ;   in Loop: Header=BB468_3103 Depth=1
	v_bfrev_b32_e32 v6, 1
	s_mov_b32 s23, exec_lo
	v_cmpx_ne_u16_e32 0x80, v7
	s_cbranch_execz .LBB468_5660
; %bb.5655:                             ;   in Loop: Header=BB468_3103 Depth=1
	v_and_b32_e32 v8, 0x7f, v3
	v_mov_b32_e32 v6, 0x7f800001
	s_mov_b32 s24, exec_lo
	s_delay_alu instid0(VALU_DEP_2)
	v_cmpx_ne_u32_e32 0x7f, v8
	s_cbranch_execz .LBB468_5659
; %bb.5656:                             ;   in Loop: Header=BB468_3103 Depth=1
	v_dual_mov_b32 v6, v12 :: v_dual_mov_b32 v7, v13
	v_lshrrev_b32_e32 v7, 3, v8
	s_mov_b32 s25, exec_lo
	v_cmpx_gt_u32_e32 8, v8
; %bb.5657:                             ;   in Loop: Header=BB468_3103 Depth=1
	v_and_b32_e32 v6, 7, v3
	s_delay_alu instid0(VALU_DEP_1) | instskip(NEXT) | instid1(VALU_DEP_1)
	v_clz_i32_u32_e32 v6, v6
	v_min_u32_e32 v8, 32, v6
	s_delay_alu instid0(VALU_DEP_1) | instskip(NEXT) | instid1(VALU_DEP_1)
	v_subrev_nc_u32_e32 v6, 28, v8
	v_lshlrev_b64 v[6:7], v6, v[12:13]
	v_sub_nc_u32_e32 v7, 29, v8
; %bb.5658:                             ;   in Loop: Header=BB468_3103 Depth=1
	s_or_b32 exec_lo, exec_lo, s25
	s_delay_alu instid0(VALU_DEP_2) | instskip(SKIP_1) | instid1(VALU_DEP_3)
	v_lshlrev_b32_e32 v6, 20, v6
	v_lshlrev_b32_e32 v8, 24, v12
	v_lshl_add_u32 v7, v7, 23, 0x3c000000
	s_delay_alu instid0(VALU_DEP_3) | instskip(NEXT) | instid1(VALU_DEP_3)
	v_and_b32_e32 v6, 0x700000, v6
	v_and_b32_e32 v8, 0x80000000, v8
	s_delay_alu instid0(VALU_DEP_1)
	v_or3_b32 v6, v6, v8, v7
.LBB468_5659:                           ;   in Loop: Header=BB468_3103 Depth=1
	s_or_b32 exec_lo, exec_lo, s24
.LBB468_5660:                           ;   in Loop: Header=BB468_3103 Depth=1
	s_delay_alu instid0(SALU_CYCLE_1)
	s_or_b32 exec_lo, exec_lo, s23
.LBB468_5661:                           ;   in Loop: Header=BB468_3103 Depth=1
	s_delay_alu instid0(SALU_CYCLE_1) | instskip(NEXT) | instid1(VALU_DEP_1)
	s_or_b32 exec_lo, exec_lo, s22
	v_mul_f32_e32 v6, v26, v6
                                        ; implicit-def: $vgpr8
	s_delay_alu instid0(VALU_DEP_1) | instskip(NEXT) | instid1(VALU_DEP_1)
	v_and_b32_e32 v7, 0x7f800000, v6
	v_cmp_ne_u32_e64 s9, 0x7f800000, v7
	s_delay_alu instid0(VALU_DEP_1) | instskip(NEXT) | instid1(SALU_CYCLE_1)
	s_and_saveexec_b32 s22, s9
	s_xor_b32 s9, exec_lo, s22
; %bb.5662:                             ;   in Loop: Header=BB468_3103 Depth=1
	v_bfe_u32 v7, v6, 16, 1
	s_delay_alu instid0(VALU_DEP_1)
	v_add3_u32 v8, v6, v7, 0x7fff
                                        ; implicit-def: $vgpr6
; %bb.5663:                             ;   in Loop: Header=BB468_3103 Depth=1
	s_and_not1_saveexec_b32 s22, s9
; %bb.5664:                             ;   in Loop: Header=BB468_3103 Depth=1
	v_and_b32_e32 v7, 0xffff, v6
	v_or_b32_e32 v8, 0x10000, v6
	s_delay_alu instid0(VALU_DEP_2) | instskip(NEXT) | instid1(VALU_DEP_1)
	v_cmp_eq_u32_e64 s9, 0, v7
	v_cndmask_b32_e64 v8, v8, v6, s9
; %bb.5665:                             ;   in Loop: Header=BB468_3103 Depth=1
	s_or_b32 exec_lo, exec_lo, s22
	v_lshrrev_b16 v7, 8, v12
	v_mov_b32_e32 v6, 0
	s_mov_b32 s22, exec_lo
	s_delay_alu instid0(VALU_DEP_2)
	v_cmpx_ne_u16_e32 0, v7
	s_cbranch_execz .LBB468_5673
; %bb.5666:                             ;   in Loop: Header=BB468_3103 Depth=1
	v_bfrev_b32_e32 v6, 1
	s_mov_b32 s23, exec_lo
	v_cmpx_ne_u16_e32 0x80, v7
	s_cbranch_execz .LBB468_5672
; %bb.5667:                             ;   in Loop: Header=BB468_3103 Depth=1
	v_and_b32_e32 v7, 0xffff, v7
	v_mov_b32_e32 v6, 0x7f800001
	s_mov_b32 s24, exec_lo
	s_delay_alu instid0(VALU_DEP_2) | instskip(NEXT) | instid1(VALU_DEP_1)
	v_and_b32_e32 v35, 0x7f, v7
	v_cmpx_ne_u32_e32 0x7f, v35
	s_cbranch_execz .LBB468_5671
; %bb.5668:                             ;   in Loop: Header=BB468_3103 Depth=1
	v_dual_mov_b32 v7, v13 :: v_dual_and_b32 v6, 7, v7
	v_lshrrev_b32_e32 v9, 3, v35
	s_mov_b32 s25, exec_lo
	v_cmpx_gt_u32_e32 8, v35
; %bb.5669:                             ;   in Loop: Header=BB468_3103 Depth=1
	s_delay_alu instid0(VALU_DEP_3) | instskip(NEXT) | instid1(VALU_DEP_1)
	v_clz_i32_u32_e32 v9, v6
	v_min_u32_e32 v9, 32, v9
	s_delay_alu instid0(VALU_DEP_1) | instskip(SKIP_1) | instid1(VALU_DEP_2)
	v_subrev_nc_u32_e32 v35, 28, v9
	v_sub_nc_u32_e32 v9, 29, v9
	v_lshlrev_b64 v[6:7], v35, v[6:7]
	s_delay_alu instid0(VALU_DEP_1)
	v_and_b32_e32 v6, 7, v6
; %bb.5670:                             ;   in Loop: Header=BB468_3103 Depth=1
	s_or_b32 exec_lo, exec_lo, s25
	v_lshlrev_b32_e32 v7, 16, v12
	s_delay_alu instid0(VALU_DEP_2) | instskip(SKIP_1) | instid1(VALU_DEP_3)
	v_lshlrev_b32_e32 v6, 20, v6
	v_lshl_add_u32 v9, v9, 23, 0x3c000000
	v_and_b32_e32 v7, 0x80000000, v7
	s_delay_alu instid0(VALU_DEP_1)
	v_or3_b32 v6, v6, v7, v9
.LBB468_5671:                           ;   in Loop: Header=BB468_3103 Depth=1
	s_or_b32 exec_lo, exec_lo, s24
.LBB468_5672:                           ;   in Loop: Header=BB468_3103 Depth=1
	s_delay_alu instid0(SALU_CYCLE_1)
	s_or_b32 exec_lo, exec_lo, s23
.LBB468_5673:                           ;   in Loop: Header=BB468_3103 Depth=1
	s_delay_alu instid0(SALU_CYCLE_1) | instskip(NEXT) | instid1(VALU_DEP_1)
	s_or_b32 exec_lo, exec_lo, s22
	v_mul_f32_e32 v6, v26, v6
                                        ; implicit-def: $vgpr9
	s_delay_alu instid0(VALU_DEP_1) | instskip(NEXT) | instid1(VALU_DEP_1)
	v_and_b32_e32 v7, 0x7f800000, v6
	v_cmp_ne_u32_e64 s9, 0x7f800000, v7
	s_delay_alu instid0(VALU_DEP_1) | instskip(NEXT) | instid1(SALU_CYCLE_1)
	s_and_saveexec_b32 s22, s9
	s_xor_b32 s9, exec_lo, s22
; %bb.5674:                             ;   in Loop: Header=BB468_3103 Depth=1
	v_bfe_u32 v7, v6, 16, 1
	s_delay_alu instid0(VALU_DEP_1)
	v_add3_u32 v9, v6, v7, 0x7fff
                                        ; implicit-def: $vgpr6
; %bb.5675:                             ;   in Loop: Header=BB468_3103 Depth=1
	s_and_not1_saveexec_b32 s22, s9
; %bb.5676:                             ;   in Loop: Header=BB468_3103 Depth=1
	v_and_b32_e32 v7, 0xffff, v6
	v_or_b32_e32 v9, 0x10000, v6
	s_delay_alu instid0(VALU_DEP_2) | instskip(NEXT) | instid1(VALU_DEP_1)
	v_cmp_eq_u32_e64 s9, 0, v7
	v_cndmask_b32_e64 v9, v9, v6, s9
; %bb.5677:                             ;   in Loop: Header=BB468_3103 Depth=1
	s_or_b32 exec_lo, exec_lo, s22
	v_lshrrev_b32_e32 v35, 16, v3
	s_mov_b32 s22, exec_lo
	s_delay_alu instid0(VALU_DEP_1) | instskip(NEXT) | instid1(VALU_DEP_1)
	v_dual_mov_b32 v6, 0 :: v_dual_and_b32 v7, 0xff, v35
	v_cmpx_ne_u16_e32 0, v7
	s_cbranch_execz .LBB468_5685
; %bb.5678:                             ;   in Loop: Header=BB468_3103 Depth=1
	v_bfrev_b32_e32 v6, 1
	s_mov_b32 s23, exec_lo
	v_cmpx_ne_u16_e32 0x80, v7
	s_cbranch_execz .LBB468_5684
; %bb.5679:                             ;   in Loop: Header=BB468_3103 Depth=1
	v_bfe_u32 v36, v3, 16, 7
	v_mov_b32_e32 v6, 0x7f800001
	s_mov_b32 s24, exec_lo
	s_delay_alu instid0(VALU_DEP_2)
	v_cmpx_ne_u32_e32 0x7f, v36
	s_cbranch_execz .LBB468_5683
; %bb.5680:                             ;   in Loop: Header=BB468_3103 Depth=1
	v_and_b32_e32 v12, 7, v35
	s_mov_b32 s25, exec_lo
	s_delay_alu instid0(VALU_DEP_1)
	v_dual_mov_b32 v6, v12 :: v_dual_mov_b32 v7, v13
	v_lshrrev_b32_e32 v7, 3, v36
	v_cmpx_gt_u32_e32 8, v36
; %bb.5681:                             ;   in Loop: Header=BB468_3103 Depth=1
	v_clz_i32_u32_e32 v6, v12
	s_delay_alu instid0(VALU_DEP_1) | instskip(NEXT) | instid1(VALU_DEP_1)
	v_min_u32_e32 v36, 32, v6
	v_subrev_nc_u32_e32 v6, 28, v36
	s_delay_alu instid0(VALU_DEP_1) | instskip(SKIP_1) | instid1(VALU_DEP_2)
	v_lshlrev_b64 v[6:7], v6, v[12:13]
	v_sub_nc_u32_e32 v7, 29, v36
	v_and_b32_e32 v6, 7, v6
; %bb.5682:                             ;   in Loop: Header=BB468_3103 Depth=1
	s_or_b32 exec_lo, exec_lo, s25
	v_lshlrev_b32_e32 v12, 24, v35
	s_delay_alu instid0(VALU_DEP_2) | instskip(SKIP_1) | instid1(VALU_DEP_3)
	v_lshlrev_b32_e32 v6, 20, v6
	v_lshl_add_u32 v7, v7, 23, 0x3c000000
	v_and_b32_e32 v12, 0x80000000, v12
	s_delay_alu instid0(VALU_DEP_1)
	v_or3_b32 v6, v6, v12, v7
.LBB468_5683:                           ;   in Loop: Header=BB468_3103 Depth=1
	s_or_b32 exec_lo, exec_lo, s24
.LBB468_5684:                           ;   in Loop: Header=BB468_3103 Depth=1
	s_delay_alu instid0(SALU_CYCLE_1)
	s_or_b32 exec_lo, exec_lo, s23
.LBB468_5685:                           ;   in Loop: Header=BB468_3103 Depth=1
	s_delay_alu instid0(SALU_CYCLE_1) | instskip(NEXT) | instid1(VALU_DEP_1)
	s_or_b32 exec_lo, exec_lo, s22
	v_mul_f32_e32 v6, v26, v6
                                        ; implicit-def: $vgpr35
	s_delay_alu instid0(VALU_DEP_1) | instskip(NEXT) | instid1(VALU_DEP_1)
	v_and_b32_e32 v7, 0x7f800000, v6
	v_cmp_ne_u32_e64 s9, 0x7f800000, v7
	s_delay_alu instid0(VALU_DEP_1) | instskip(NEXT) | instid1(SALU_CYCLE_1)
	s_and_saveexec_b32 s22, s9
	s_xor_b32 s9, exec_lo, s22
; %bb.5686:                             ;   in Loop: Header=BB468_3103 Depth=1
	v_bfe_u32 v7, v6, 16, 1
	s_delay_alu instid0(VALU_DEP_1)
	v_add3_u32 v35, v6, v7, 0x7fff
                                        ; implicit-def: $vgpr6
; %bb.5687:                             ;   in Loop: Header=BB468_3103 Depth=1
	s_and_not1_saveexec_b32 s22, s9
; %bb.5688:                             ;   in Loop: Header=BB468_3103 Depth=1
	v_and_b32_e32 v7, 0xffff, v6
	v_or_b32_e32 v12, 0x10000, v6
	s_delay_alu instid0(VALU_DEP_2) | instskip(NEXT) | instid1(VALU_DEP_1)
	v_cmp_eq_u32_e64 s9, 0, v7
	v_cndmask_b32_e64 v35, v12, v6, s9
; %bb.5689:                             ;   in Loop: Header=BB468_3103 Depth=1
	s_or_b32 exec_lo, exec_lo, s22
	v_cmp_lt_u64_e64 s9, s[12:13], v[2:3]
	v_mov_b32_e32 v2, 0
	s_delay_alu instid0(VALU_DEP_2)
	s_and_saveexec_b32 s22, s9
	s_cbranch_execz .LBB468_5697
; %bb.5690:                             ;   in Loop: Header=BB468_3103 Depth=1
	v_lshrrev_b32_e32 v6, 24, v3
	v_bfrev_b32_e32 v2, 1
	s_mov_b32 s23, exec_lo
	s_delay_alu instid0(VALU_DEP_2)
	v_cmpx_ne_u32_e32 0x80, v6
	s_cbranch_execz .LBB468_5696
; %bb.5691:                             ;   in Loop: Header=BB468_3103 Depth=1
	v_bfe_u32 v7, v3, 24, 7
	v_mov_b32_e32 v2, 0x7f800001
	s_mov_b32 s24, exec_lo
	s_delay_alu instid0(VALU_DEP_2)
	v_cmpx_ne_u32_e32 0x7f, v7
	s_cbranch_execz .LBB468_5695
; %bb.5692:                             ;   in Loop: Header=BB468_3103 Depth=1
	v_and_b32_e32 v12, 7, v6
	s_mov_b32 s25, exec_lo
	s_delay_alu instid0(VALU_DEP_1)
	v_dual_mov_b32 v2, v12 :: v_dual_mov_b32 v3, v13
	v_lshrrev_b32_e32 v3, 3, v7
	v_cmpx_gt_u32_e32 8, v7
; %bb.5693:                             ;   in Loop: Header=BB468_3103 Depth=1
	v_clz_i32_u32_e32 v2, v12
	s_delay_alu instid0(VALU_DEP_1) | instskip(NEXT) | instid1(VALU_DEP_1)
	v_min_u32_e32 v7, 32, v2
	v_subrev_nc_u32_e32 v2, 28, v7
	s_delay_alu instid0(VALU_DEP_1) | instskip(SKIP_1) | instid1(VALU_DEP_2)
	v_lshlrev_b64 v[2:3], v2, v[12:13]
	v_sub_nc_u32_e32 v3, 29, v7
	v_and_b32_e32 v2, 7, v2
; %bb.5694:                             ;   in Loop: Header=BB468_3103 Depth=1
	s_or_b32 exec_lo, exec_lo, s25
	v_lshlrev_b32_e32 v6, 24, v6
	s_delay_alu instid0(VALU_DEP_2) | instskip(SKIP_1) | instid1(VALU_DEP_3)
	v_lshlrev_b32_e32 v2, 20, v2
	v_lshl_add_u32 v3, v3, 23, 0x3c000000
	v_and_b32_e32 v6, 0x80000000, v6
	s_delay_alu instid0(VALU_DEP_1)
	v_or3_b32 v2, v2, v6, v3
.LBB468_5695:                           ;   in Loop: Header=BB468_3103 Depth=1
	s_or_b32 exec_lo, exec_lo, s24
.LBB468_5696:                           ;   in Loop: Header=BB468_3103 Depth=1
	s_delay_alu instid0(SALU_CYCLE_1)
	s_or_b32 exec_lo, exec_lo, s23
.LBB468_5697:                           ;   in Loop: Header=BB468_3103 Depth=1
	s_delay_alu instid0(SALU_CYCLE_1) | instskip(NEXT) | instid1(VALU_DEP_1)
	s_or_b32 exec_lo, exec_lo, s22
	v_mul_f32_e32 v3, v26, v2
	s_delay_alu instid0(VALU_DEP_1) | instskip(NEXT) | instid1(VALU_DEP_1)
	v_and_b32_e32 v2, 0x7f800000, v3
	v_cmp_ne_u32_e64 s9, 0x7f800000, v2
                                        ; implicit-def: $vgpr2
	s_delay_alu instid0(VALU_DEP_1) | instskip(NEXT) | instid1(SALU_CYCLE_1)
	s_and_saveexec_b32 s22, s9
	s_xor_b32 s9, exec_lo, s22
; %bb.5698:                             ;   in Loop: Header=BB468_3103 Depth=1
	v_bfe_u32 v2, v3, 16, 1
	s_delay_alu instid0(VALU_DEP_1)
	v_add3_u32 v2, v3, v2, 0x7fff
                                        ; implicit-def: $vgpr3
; %bb.5699:                             ;   in Loop: Header=BB468_3103 Depth=1
	s_and_not1_saveexec_b32 s22, s9
; %bb.5700:                             ;   in Loop: Header=BB468_3103 Depth=1
	v_and_b32_e32 v2, 0xffff, v3
	v_or_b32_e32 v6, 0x10000, v3
	s_delay_alu instid0(VALU_DEP_2) | instskip(NEXT) | instid1(VALU_DEP_1)
	v_cmp_eq_u32_e64 s9, 0, v2
	v_cndmask_b32_e64 v2, v6, v3, s9
; %bb.5701:                             ;   in Loop: Header=BB468_3103 Depth=1
	s_or_b32 exec_lo, exec_lo, s22
	v_lshrrev_b32_e32 v6, 16, v9
	v_lshrrev_b32_e32 v7, 16, v8
	;; [unrolled: 1-line block ×8, first 2 shown]
	s_and_saveexec_b32 s9, s3
; %bb.5702:                             ;   in Loop: Header=BB468_3103 Depth=1
	s_delay_alu instid0(VALU_DEP_3)
	v_cndmask_b32_e32 v4, 0, v4, vcc_lo
	v_cndmask_b32_e64 v5, 0, v5, s1
	v_cndmask_b32_e64 v9, 0, v9, s2
	;; [unrolled: 1-line block ×7, first 2 shown]
; %bb.5703:                             ;   in Loop: Header=BB468_3103 Depth=1
	s_or_b32 exec_lo, exec_lo, s9
	v_lshlrev_b32_e32 v4, 16, v4
                                        ; implicit-def: $vgpr150
	s_delay_alu instid0(VALU_DEP_1) | instskip(NEXT) | instid1(VALU_DEP_1)
	v_mul_f32_e32 v4, v151, v4
	v_and_b32_e32 v12, 0x7f800000, v4
	s_delay_alu instid0(VALU_DEP_1) | instskip(NEXT) | instid1(VALU_DEP_1)
	v_cmp_ne_u32_e64 s9, 0x7f800000, v12
	s_and_saveexec_b32 s22, s9
	s_delay_alu instid0(SALU_CYCLE_1)
	s_xor_b32 s9, exec_lo, s22
; %bb.5704:                             ;   in Loop: Header=BB468_3103 Depth=1
	v_bfe_u32 v12, v4, 16, 1
	s_delay_alu instid0(VALU_DEP_1)
	v_add3_u32 v150, v4, v12, 0x7fff
                                        ; implicit-def: $vgpr4
; %bb.5705:                             ;   in Loop: Header=BB468_3103 Depth=1
	s_and_not1_saveexec_b32 s22, s9
; %bb.5706:                             ;   in Loop: Header=BB468_3103 Depth=1
	v_and_b32_e32 v12, 0xffff, v4
	v_or_b32_e32 v18, 0x10000, v4
	s_delay_alu instid0(VALU_DEP_2) | instskip(NEXT) | instid1(VALU_DEP_1)
	v_cmp_eq_u32_e64 s9, 0, v12
	v_cndmask_b32_e64 v150, v18, v4, s9
; %bb.5707:                             ;   in Loop: Header=BB468_3103 Depth=1
	s_or_b32 exec_lo, exec_lo, s22
	v_lshlrev_b32_e32 v4, 16, v5
                                        ; implicit-def: $vgpr167
	s_delay_alu instid0(VALU_DEP_1) | instskip(NEXT) | instid1(VALU_DEP_1)
	v_mul_f32_e32 v4, v160, v4
	v_and_b32_e32 v5, 0x7f800000, v4
	s_delay_alu instid0(VALU_DEP_1) | instskip(NEXT) | instid1(VALU_DEP_1)
	v_cmp_ne_u32_e64 s9, 0x7f800000, v5
	s_and_saveexec_b32 s22, s9
	s_delay_alu instid0(SALU_CYCLE_1)
	s_xor_b32 s9, exec_lo, s22
; %bb.5708:                             ;   in Loop: Header=BB468_3103 Depth=1
	v_bfe_u32 v5, v4, 16, 1
	s_delay_alu instid0(VALU_DEP_1)
	v_add3_u32 v167, v4, v5, 0x7fff
                                        ; implicit-def: $vgpr4
; %bb.5709:                             ;   in Loop: Header=BB468_3103 Depth=1
	s_and_not1_saveexec_b32 s22, s9
; %bb.5710:                             ;   in Loop: Header=BB468_3103 Depth=1
	v_and_b32_e32 v5, 0xffff, v4
	v_or_b32_e32 v12, 0x10000, v4
	s_delay_alu instid0(VALU_DEP_2) | instskip(NEXT) | instid1(VALU_DEP_1)
	v_cmp_eq_u32_e64 s9, 0, v5
	v_cndmask_b32_e64 v167, v12, v4, s9
; %bb.5711:                             ;   in Loop: Header=BB468_3103 Depth=1
	s_or_b32 exec_lo, exec_lo, s22
	v_lshlrev_b32_e32 v4, 16, v9
                                        ; implicit-def: $vgpr176
	s_delay_alu instid0(VALU_DEP_1) | instskip(NEXT) | instid1(VALU_DEP_1)
	v_mul_f32_e32 v4, v161, v4
	v_and_b32_e32 v5, 0x7f800000, v4
	s_delay_alu instid0(VALU_DEP_1) | instskip(NEXT) | instid1(VALU_DEP_1)
	v_cmp_ne_u32_e64 s9, 0x7f800000, v5
	s_and_saveexec_b32 s22, s9
	s_delay_alu instid0(SALU_CYCLE_1)
	s_xor_b32 s9, exec_lo, s22
; %bb.5712:                             ;   in Loop: Header=BB468_3103 Depth=1
	v_bfe_u32 v5, v4, 16, 1
	s_delay_alu instid0(VALU_DEP_1)
	v_add3_u32 v176, v4, v5, 0x7fff
                                        ; implicit-def: $vgpr4
; %bb.5713:                             ;   in Loop: Header=BB468_3103 Depth=1
	s_and_not1_saveexec_b32 s22, s9
; %bb.5714:                             ;   in Loop: Header=BB468_3103 Depth=1
	v_and_b32_e32 v5, 0xffff, v4
	v_or_b32_e32 v9, 0x10000, v4
	s_delay_alu instid0(VALU_DEP_2) | instskip(NEXT) | instid1(VALU_DEP_1)
	v_cmp_eq_u32_e64 s9, 0, v5
	v_cndmask_b32_e64 v176, v9, v4, s9
; %bb.5715:                             ;   in Loop: Header=BB468_3103 Depth=1
	s_or_b32 exec_lo, exec_lo, s22
	v_lshlrev_b32_e32 v4, 16, v8
                                        ; implicit-def: $vgpr177
	s_delay_alu instid0(VALU_DEP_1) | instskip(NEXT) | instid1(VALU_DEP_1)
	v_mul_f32_e32 v4, v162, v4
	v_and_b32_e32 v5, 0x7f800000, v4
	s_delay_alu instid0(VALU_DEP_1) | instskip(NEXT) | instid1(VALU_DEP_1)
	v_cmp_ne_u32_e64 s9, 0x7f800000, v5
	s_and_saveexec_b32 s22, s9
	s_delay_alu instid0(SALU_CYCLE_1)
	s_xor_b32 s9, exec_lo, s22
; %bb.5716:                             ;   in Loop: Header=BB468_3103 Depth=1
	v_bfe_u32 v5, v4, 16, 1
	s_delay_alu instid0(VALU_DEP_1)
	v_add3_u32 v177, v4, v5, 0x7fff
                                        ; implicit-def: $vgpr4
; %bb.5717:                             ;   in Loop: Header=BB468_3103 Depth=1
	s_and_not1_saveexec_b32 s22, s9
; %bb.5718:                             ;   in Loop: Header=BB468_3103 Depth=1
	v_and_b32_e32 v5, 0xffff, v4
	v_or_b32_e32 v8, 0x10000, v4
	s_delay_alu instid0(VALU_DEP_2) | instskip(NEXT) | instid1(VALU_DEP_1)
	v_cmp_eq_u32_e64 s9, 0, v5
	v_cndmask_b32_e64 v177, v8, v4, s9
; %bb.5719:                             ;   in Loop: Header=BB468_3103 Depth=1
	s_or_b32 exec_lo, exec_lo, s22
	v_lshlrev_b32_e32 v4, 16, v7
                                        ; implicit-def: $vgpr178
	s_delay_alu instid0(VALU_DEP_1) | instskip(NEXT) | instid1(VALU_DEP_1)
	v_mul_f32_e32 v4, v163, v4
	v_and_b32_e32 v5, 0x7f800000, v4
	s_delay_alu instid0(VALU_DEP_1) | instskip(NEXT) | instid1(VALU_DEP_1)
	v_cmp_ne_u32_e64 s9, 0x7f800000, v5
	s_and_saveexec_b32 s22, s9
	s_delay_alu instid0(SALU_CYCLE_1)
	s_xor_b32 s9, exec_lo, s22
; %bb.5720:                             ;   in Loop: Header=BB468_3103 Depth=1
	v_bfe_u32 v5, v4, 16, 1
	s_delay_alu instid0(VALU_DEP_1)
	v_add3_u32 v178, v4, v5, 0x7fff
                                        ; implicit-def: $vgpr4
; %bb.5721:                             ;   in Loop: Header=BB468_3103 Depth=1
	s_and_not1_saveexec_b32 s22, s9
; %bb.5722:                             ;   in Loop: Header=BB468_3103 Depth=1
	v_and_b32_e32 v5, 0xffff, v4
	v_or_b32_e32 v7, 0x10000, v4
	s_delay_alu instid0(VALU_DEP_2) | instskip(NEXT) | instid1(VALU_DEP_1)
	v_cmp_eq_u32_e64 s9, 0, v5
	v_cndmask_b32_e64 v178, v7, v4, s9
; %bb.5723:                             ;   in Loop: Header=BB468_3103 Depth=1
	s_or_b32 exec_lo, exec_lo, s22
	v_lshlrev_b32_e32 v4, 16, v6
                                        ; implicit-def: $vgpr179
	s_delay_alu instid0(VALU_DEP_1) | instskip(NEXT) | instid1(VALU_DEP_1)
	v_mul_f32_e32 v4, v164, v4
	v_and_b32_e32 v5, 0x7f800000, v4
	s_delay_alu instid0(VALU_DEP_1) | instskip(NEXT) | instid1(VALU_DEP_1)
	v_cmp_ne_u32_e64 s9, 0x7f800000, v5
	s_and_saveexec_b32 s22, s9
	s_delay_alu instid0(SALU_CYCLE_1)
	s_xor_b32 s9, exec_lo, s22
; %bb.5724:                             ;   in Loop: Header=BB468_3103 Depth=1
	v_bfe_u32 v5, v4, 16, 1
	s_delay_alu instid0(VALU_DEP_1)
	v_add3_u32 v179, v4, v5, 0x7fff
                                        ; implicit-def: $vgpr4
; %bb.5725:                             ;   in Loop: Header=BB468_3103 Depth=1
	s_and_not1_saveexec_b32 s22, s9
; %bb.5726:                             ;   in Loop: Header=BB468_3103 Depth=1
	v_and_b32_e32 v5, 0xffff, v4
	v_or_b32_e32 v6, 0x10000, v4
	s_delay_alu instid0(VALU_DEP_2) | instskip(NEXT) | instid1(VALU_DEP_1)
	v_cmp_eq_u32_e64 s9, 0, v5
	v_cndmask_b32_e64 v179, v6, v4, s9
; %bb.5727:                             ;   in Loop: Header=BB468_3103 Depth=1
	s_or_b32 exec_lo, exec_lo, s22
	v_lshlrev_b32_e32 v3, 16, v3
                                        ; implicit-def: $vgpr180
	s_delay_alu instid0(VALU_DEP_1) | instskip(NEXT) | instid1(VALU_DEP_1)
	v_mul_f32_e32 v3, v165, v3
	v_and_b32_e32 v4, 0x7f800000, v3
	s_delay_alu instid0(VALU_DEP_1) | instskip(NEXT) | instid1(VALU_DEP_1)
	v_cmp_ne_u32_e64 s9, 0x7f800000, v4
	s_and_saveexec_b32 s22, s9
	s_delay_alu instid0(SALU_CYCLE_1)
	s_xor_b32 s9, exec_lo, s22
; %bb.5728:                             ;   in Loop: Header=BB468_3103 Depth=1
	v_bfe_u32 v4, v3, 16, 1
	s_delay_alu instid0(VALU_DEP_1)
	v_add3_u32 v180, v3, v4, 0x7fff
                                        ; implicit-def: $vgpr3
; %bb.5729:                             ;   in Loop: Header=BB468_3103 Depth=1
	s_and_not1_saveexec_b32 s22, s9
; %bb.5730:                             ;   in Loop: Header=BB468_3103 Depth=1
	v_and_b32_e32 v4, 0xffff, v3
	v_or_b32_e32 v5, 0x10000, v3
	s_delay_alu instid0(VALU_DEP_2) | instskip(NEXT) | instid1(VALU_DEP_1)
	v_cmp_eq_u32_e64 s9, 0, v4
	v_cndmask_b32_e64 v180, v5, v3, s9
; %bb.5731:                             ;   in Loop: Header=BB468_3103 Depth=1
	s_or_b32 exec_lo, exec_lo, s22
	v_lshlrev_b32_e32 v2, 16, v2
                                        ; implicit-def: $vgpr181
	s_delay_alu instid0(VALU_DEP_1) | instskip(NEXT) | instid1(VALU_DEP_1)
	v_mul_f32_e32 v2, v166, v2
	v_and_b32_e32 v3, 0x7f800000, v2
	s_delay_alu instid0(VALU_DEP_1) | instskip(NEXT) | instid1(VALU_DEP_1)
	v_cmp_ne_u32_e64 s9, 0x7f800000, v3
	s_and_saveexec_b32 s22, s9
	s_delay_alu instid0(SALU_CYCLE_1)
	s_xor_b32 s9, exec_lo, s22
; %bb.5732:                             ;   in Loop: Header=BB468_3103 Depth=1
	v_bfe_u32 v3, v2, 16, 1
	s_delay_alu instid0(VALU_DEP_1)
	v_add3_u32 v181, v2, v3, 0x7fff
                                        ; implicit-def: $vgpr2
; %bb.5733:                             ;   in Loop: Header=BB468_3103 Depth=1
	s_and_not1_saveexec_b32 s22, s9
; %bb.5734:                             ;   in Loop: Header=BB468_3103 Depth=1
	v_and_b32_e32 v3, 0xffff, v2
	v_or_b32_e32 v4, 0x10000, v2
	s_delay_alu instid0(VALU_DEP_2) | instskip(NEXT) | instid1(VALU_DEP_1)
	v_cmp_eq_u32_e64 s9, 0, v3
	v_cndmask_b32_e64 v181, v4, v2, s9
; %bb.5735:                             ;   in Loop: Header=BB468_3103 Depth=1
	s_or_b32 exec_lo, exec_lo, s22
	scratch_load_b32 v2, off, s32 offset:832 ; 4-byte Folded Reload
	s_mov_b32 s22, exec_lo
	v_mov_b32_e32 v4, 0
	s_waitcnt vmcnt(0)
	v_add_co_u32 v2, s9, v0, v2
	s_delay_alu instid0(VALU_DEP_1) | instskip(SKIP_3) | instid1(VALU_DEP_1)
	v_add_co_ci_u32_e64 v3, s9, 0, v1, s9
	flat_load_b64 v[2:3], v[2:3]
	s_waitcnt vmcnt(0) lgkmcnt(0)
	v_and_b32_e32 v5, 0xff, v2
	v_cmpx_ne_u16_e32 0, v5
	s_cbranch_execz .LBB468_5743
; %bb.5736:                             ;   in Loop: Header=BB468_3103 Depth=1
	v_bfrev_b32_e32 v4, 1
	s_mov_b32 s23, exec_lo
	v_cmpx_ne_u16_e32 0x80, v5
	s_cbranch_execz .LBB468_5742
; %bb.5737:                             ;   in Loop: Header=BB468_3103 Depth=1
	v_and_b32_e32 v5, 0x7f, v2
	v_mov_b32_e32 v4, 0x7f800001
	s_mov_b32 s24, exec_lo
	s_delay_alu instid0(VALU_DEP_2)
	v_cmpx_ne_u32_e32 0x7f, v5
	s_cbranch_execz .LBB468_5741
; %bb.5738:                             ;   in Loop: Header=BB468_3103 Depth=1
	v_lshrrev_b32_e32 v4, 3, v5
	v_dual_mov_b32 v7, v3 :: v_dual_mov_b32 v6, v2
	s_mov_b32 s25, exec_lo
	v_cmpx_gt_u32_e32 8, v5
; %bb.5739:                             ;   in Loop: Header=BB468_3103 Depth=1
	v_and_b32_e32 v4, 7, v2
	s_delay_alu instid0(VALU_DEP_1) | instskip(NEXT) | instid1(VALU_DEP_1)
	v_clz_i32_u32_e32 v4, v4
	v_min_u32_e32 v4, 32, v4
	s_delay_alu instid0(VALU_DEP_1) | instskip(SKIP_1) | instid1(VALU_DEP_2)
	v_subrev_nc_u32_e32 v5, 28, v4
	v_sub_nc_u32_e32 v4, 29, v4
	v_lshlrev_b64 v[6:7], v5, v[2:3]
; %bb.5740:                             ;   in Loop: Header=BB468_3103 Depth=1
	s_or_b32 exec_lo, exec_lo, s25
	s_delay_alu instid0(VALU_DEP_1) | instskip(SKIP_2) | instid1(VALU_DEP_3)
	v_lshlrev_b32_e32 v5, 20, v6
	v_lshlrev_b32_e32 v6, 24, v2
	v_lshl_add_u32 v4, v4, 23, 0x3c000000
	v_and_b32_e32 v5, 0x700000, v5
	s_delay_alu instid0(VALU_DEP_3) | instskip(NEXT) | instid1(VALU_DEP_1)
	v_and_b32_e32 v6, 0x80000000, v6
	v_or3_b32 v4, v5, v6, v4
.LBB468_5741:                           ;   in Loop: Header=BB468_3103 Depth=1
	s_or_b32 exec_lo, exec_lo, s24
.LBB468_5742:                           ;   in Loop: Header=BB468_3103 Depth=1
	s_delay_alu instid0(SALU_CYCLE_1)
	s_or_b32 exec_lo, exec_lo, s23
.LBB468_5743:                           ;   in Loop: Header=BB468_3103 Depth=1
	s_delay_alu instid0(SALU_CYCLE_1) | instskip(NEXT) | instid1(VALU_DEP_1)
	s_or_b32 exec_lo, exec_lo, s22
	v_mul_f32_e32 v5, v26, v4
	s_delay_alu instid0(VALU_DEP_1) | instskip(NEXT) | instid1(VALU_DEP_1)
	v_and_b32_e32 v4, 0x7f800000, v5
	v_cmp_ne_u32_e64 s9, 0x7f800000, v4
                                        ; implicit-def: $vgpr4
	s_delay_alu instid0(VALU_DEP_1) | instskip(NEXT) | instid1(SALU_CYCLE_1)
	s_and_saveexec_b32 s22, s9
	s_xor_b32 s9, exec_lo, s22
; %bb.5744:                             ;   in Loop: Header=BB468_3103 Depth=1
	v_bfe_u32 v4, v5, 16, 1
	s_delay_alu instid0(VALU_DEP_1)
	v_add3_u32 v4, v5, v4, 0x7fff
                                        ; implicit-def: $vgpr5
; %bb.5745:                             ;   in Loop: Header=BB468_3103 Depth=1
	s_and_not1_saveexec_b32 s22, s9
; %bb.5746:                             ;   in Loop: Header=BB468_3103 Depth=1
	v_and_b32_e32 v4, 0xffff, v5
	v_or_b32_e32 v6, 0x10000, v5
	s_delay_alu instid0(VALU_DEP_2) | instskip(NEXT) | instid1(VALU_DEP_1)
	v_cmp_eq_u32_e64 s9, 0, v4
	v_cndmask_b32_e64 v4, v6, v5, s9
; %bb.5747:                             ;   in Loop: Header=BB468_3103 Depth=1
	s_or_b32 exec_lo, exec_lo, s22
	v_lshrrev_b16 v6, 8, v2
	v_mov_b32_e32 v5, 0
	s_mov_b32 s22, exec_lo
	s_delay_alu instid0(VALU_DEP_2)
	v_cmpx_ne_u16_e32 0, v6
	s_cbranch_execz .LBB468_5755
; %bb.5748:                             ;   in Loop: Header=BB468_3103 Depth=1
	v_bfrev_b32_e32 v5, 1
	s_mov_b32 s23, exec_lo
	v_cmpx_ne_u16_e32 0x80, v6
	s_cbranch_execz .LBB468_5754
; %bb.5749:                             ;   in Loop: Header=BB468_3103 Depth=1
	v_and_b32_e32 v6, 0xffff, v6
	v_mov_b32_e32 v5, 0x7f800001
	s_mov_b32 s24, exec_lo
	s_delay_alu instid0(VALU_DEP_2) | instskip(NEXT) | instid1(VALU_DEP_1)
	v_and_b32_e32 v8, 0x7f, v6
	v_cmpx_ne_u32_e32 0x7f, v8
	s_cbranch_execz .LBB468_5753
; %bb.5750:                             ;   in Loop: Header=BB468_3103 Depth=1
	v_and_b32_e32 v12, 7, v6
	v_lshrrev_b32_e32 v5, 3, v8
	s_mov_b32 s25, exec_lo
	s_delay_alu instid0(VALU_DEP_2)
	v_dual_mov_b32 v6, v12 :: v_dual_mov_b32 v7, v13
	v_cmpx_gt_u32_e32 8, v8
; %bb.5751:                             ;   in Loop: Header=BB468_3103 Depth=1
	v_clz_i32_u32_e32 v5, v12
	s_delay_alu instid0(VALU_DEP_1) | instskip(NEXT) | instid1(VALU_DEP_1)
	v_min_u32_e32 v5, 32, v5
	v_subrev_nc_u32_e32 v6, 28, v5
	v_sub_nc_u32_e32 v5, 29, v5
	s_delay_alu instid0(VALU_DEP_2) | instskip(NEXT) | instid1(VALU_DEP_1)
	v_lshlrev_b64 v[6:7], v6, v[12:13]
	v_and_b32_e32 v6, 7, v6
; %bb.5752:                             ;   in Loop: Header=BB468_3103 Depth=1
	s_or_b32 exec_lo, exec_lo, s25
	v_lshlrev_b32_e32 v7, 16, v2
	s_delay_alu instid0(VALU_DEP_2) | instskip(SKIP_1) | instid1(VALU_DEP_3)
	v_lshlrev_b32_e32 v6, 20, v6
	v_lshl_add_u32 v5, v5, 23, 0x3c000000
	v_and_b32_e32 v7, 0x80000000, v7
	s_delay_alu instid0(VALU_DEP_1)
	v_or3_b32 v5, v6, v7, v5
.LBB468_5753:                           ;   in Loop: Header=BB468_3103 Depth=1
	s_or_b32 exec_lo, exec_lo, s24
.LBB468_5754:                           ;   in Loop: Header=BB468_3103 Depth=1
	s_delay_alu instid0(SALU_CYCLE_1)
	s_or_b32 exec_lo, exec_lo, s23
.LBB468_5755:                           ;   in Loop: Header=BB468_3103 Depth=1
	s_delay_alu instid0(SALU_CYCLE_1) | instskip(NEXT) | instid1(VALU_DEP_1)
	s_or_b32 exec_lo, exec_lo, s22
	v_mul_f32_e32 v6, v26, v5
	s_delay_alu instid0(VALU_DEP_1) | instskip(NEXT) | instid1(VALU_DEP_1)
	v_and_b32_e32 v5, 0x7f800000, v6
	v_cmp_ne_u32_e64 s9, 0x7f800000, v5
                                        ; implicit-def: $vgpr5
	s_delay_alu instid0(VALU_DEP_1) | instskip(NEXT) | instid1(SALU_CYCLE_1)
	s_and_saveexec_b32 s22, s9
	s_xor_b32 s9, exec_lo, s22
; %bb.5756:                             ;   in Loop: Header=BB468_3103 Depth=1
	v_bfe_u32 v5, v6, 16, 1
	s_delay_alu instid0(VALU_DEP_1)
	v_add3_u32 v5, v6, v5, 0x7fff
                                        ; implicit-def: $vgpr6
; %bb.5757:                             ;   in Loop: Header=BB468_3103 Depth=1
	s_and_not1_saveexec_b32 s22, s9
; %bb.5758:                             ;   in Loop: Header=BB468_3103 Depth=1
	v_and_b32_e32 v5, 0xffff, v6
	v_or_b32_e32 v7, 0x10000, v6
	s_delay_alu instid0(VALU_DEP_2) | instskip(NEXT) | instid1(VALU_DEP_1)
	v_cmp_eq_u32_e64 s9, 0, v5
	v_cndmask_b32_e64 v5, v7, v6, s9
; %bb.5759:                             ;   in Loop: Header=BB468_3103 Depth=1
	s_or_b32 exec_lo, exec_lo, s22
	v_lshrrev_b32_e32 v8, 16, v2
	s_mov_b32 s22, exec_lo
	s_delay_alu instid0(VALU_DEP_1) | instskip(NEXT) | instid1(VALU_DEP_1)
	v_dual_mov_b32 v6, 0 :: v_dual_and_b32 v7, 0xff, v8
	v_cmpx_ne_u16_e32 0, v7
	s_cbranch_execz .LBB468_5767
; %bb.5760:                             ;   in Loop: Header=BB468_3103 Depth=1
	v_bfrev_b32_e32 v6, 1
	s_mov_b32 s23, exec_lo
	v_cmpx_ne_u16_e32 0x80, v7
	s_cbranch_execz .LBB468_5766
; %bb.5761:                             ;   in Loop: Header=BB468_3103 Depth=1
	v_bfe_u32 v9, v2, 16, 7
	v_mov_b32_e32 v6, 0x7f800001
	s_mov_b32 s24, exec_lo
	s_delay_alu instid0(VALU_DEP_2)
	v_cmpx_ne_u32_e32 0x7f, v9
	s_cbranch_execz .LBB468_5765
; %bb.5762:                             ;   in Loop: Header=BB468_3103 Depth=1
	v_and_b32_e32 v12, 7, v8
	s_mov_b32 s25, exec_lo
	s_delay_alu instid0(VALU_DEP_1)
	v_dual_mov_b32 v6, v12 :: v_dual_mov_b32 v7, v13
	v_lshrrev_b32_e32 v7, 3, v9
	v_cmpx_gt_u32_e32 8, v9
; %bb.5763:                             ;   in Loop: Header=BB468_3103 Depth=1
	v_clz_i32_u32_e32 v6, v12
	s_delay_alu instid0(VALU_DEP_1) | instskip(NEXT) | instid1(VALU_DEP_1)
	v_min_u32_e32 v9, 32, v6
	v_subrev_nc_u32_e32 v6, 28, v9
	s_delay_alu instid0(VALU_DEP_1) | instskip(SKIP_1) | instid1(VALU_DEP_2)
	v_lshlrev_b64 v[6:7], v6, v[12:13]
	v_sub_nc_u32_e32 v7, 29, v9
	v_and_b32_e32 v6, 7, v6
; %bb.5764:                             ;   in Loop: Header=BB468_3103 Depth=1
	s_or_b32 exec_lo, exec_lo, s25
	v_lshlrev_b32_e32 v8, 24, v8
	s_delay_alu instid0(VALU_DEP_2) | instskip(SKIP_1) | instid1(VALU_DEP_3)
	v_lshlrev_b32_e32 v6, 20, v6
	v_lshl_add_u32 v7, v7, 23, 0x3c000000
	v_and_b32_e32 v8, 0x80000000, v8
	s_delay_alu instid0(VALU_DEP_1)
	v_or3_b32 v6, v6, v8, v7
.LBB468_5765:                           ;   in Loop: Header=BB468_3103 Depth=1
	s_or_b32 exec_lo, exec_lo, s24
.LBB468_5766:                           ;   in Loop: Header=BB468_3103 Depth=1
	s_delay_alu instid0(SALU_CYCLE_1)
	s_or_b32 exec_lo, exec_lo, s23
.LBB468_5767:                           ;   in Loop: Header=BB468_3103 Depth=1
	s_delay_alu instid0(SALU_CYCLE_1) | instskip(NEXT) | instid1(VALU_DEP_1)
	s_or_b32 exec_lo, exec_lo, s22
	v_mul_f32_e32 v6, v26, v6
                                        ; implicit-def: $vgpr18
	s_delay_alu instid0(VALU_DEP_1) | instskip(NEXT) | instid1(VALU_DEP_1)
	v_and_b32_e32 v7, 0x7f800000, v6
	v_cmp_ne_u32_e64 s9, 0x7f800000, v7
	s_delay_alu instid0(VALU_DEP_1) | instskip(NEXT) | instid1(SALU_CYCLE_1)
	s_and_saveexec_b32 s22, s9
	s_xor_b32 s9, exec_lo, s22
; %bb.5768:                             ;   in Loop: Header=BB468_3103 Depth=1
	v_bfe_u32 v7, v6, 16, 1
	s_delay_alu instid0(VALU_DEP_1)
	v_add3_u32 v18, v6, v7, 0x7fff
                                        ; implicit-def: $vgpr6
; %bb.5769:                             ;   in Loop: Header=BB468_3103 Depth=1
	s_and_not1_saveexec_b32 s22, s9
; %bb.5770:                             ;   in Loop: Header=BB468_3103 Depth=1
	v_and_b32_e32 v7, 0xffff, v6
	v_or_b32_e32 v8, 0x10000, v6
	s_delay_alu instid0(VALU_DEP_2) | instskip(NEXT) | instid1(VALU_DEP_1)
	v_cmp_eq_u32_e64 s9, 0, v7
	v_cndmask_b32_e64 v18, v8, v6, s9
; %bb.5771:                             ;   in Loop: Header=BB468_3103 Depth=1
	s_or_b32 exec_lo, exec_lo, s22
	v_mov_b32_e32 v6, 0
	s_mov_b32 s22, exec_lo
	v_cmpx_lt_u32_e32 0xffffff, v2
	s_cbranch_execz .LBB468_5779
; %bb.5772:                             ;   in Loop: Header=BB468_3103 Depth=1
	v_lshrrev_b32_e32 v8, 24, v2
	v_bfrev_b32_e32 v6, 1
	s_mov_b32 s23, exec_lo
	s_delay_alu instid0(VALU_DEP_2)
	v_cmpx_ne_u32_e32 0x80, v8
	s_cbranch_execz .LBB468_5778
; %bb.5773:                             ;   in Loop: Header=BB468_3103 Depth=1
	v_bfe_u32 v9, v2, 24, 7
	v_mov_b32_e32 v6, 0x7f800001
	s_mov_b32 s24, exec_lo
	s_delay_alu instid0(VALU_DEP_2)
	v_cmpx_ne_u32_e32 0x7f, v9
	s_cbranch_execz .LBB468_5777
; %bb.5774:                             ;   in Loop: Header=BB468_3103 Depth=1
	v_and_b32_e32 v12, 7, v8
	s_mov_b32 s25, exec_lo
	s_delay_alu instid0(VALU_DEP_1)
	v_dual_mov_b32 v6, v12 :: v_dual_mov_b32 v7, v13
	v_lshrrev_b32_e32 v7, 3, v9
	v_cmpx_gt_u32_e32 8, v9
; %bb.5775:                             ;   in Loop: Header=BB468_3103 Depth=1
	v_clz_i32_u32_e32 v6, v12
	s_delay_alu instid0(VALU_DEP_1) | instskip(NEXT) | instid1(VALU_DEP_1)
	v_min_u32_e32 v9, 32, v6
	v_subrev_nc_u32_e32 v6, 28, v9
	s_delay_alu instid0(VALU_DEP_1) | instskip(SKIP_1) | instid1(VALU_DEP_2)
	v_lshlrev_b64 v[6:7], v6, v[12:13]
	v_sub_nc_u32_e32 v7, 29, v9
	v_and_b32_e32 v6, 7, v6
; %bb.5776:                             ;   in Loop: Header=BB468_3103 Depth=1
	s_or_b32 exec_lo, exec_lo, s25
	v_lshlrev_b32_e32 v8, 24, v8
	s_delay_alu instid0(VALU_DEP_2) | instskip(SKIP_1) | instid1(VALU_DEP_3)
	v_lshlrev_b32_e32 v6, 20, v6
	v_lshl_add_u32 v7, v7, 23, 0x3c000000
	v_and_b32_e32 v8, 0x80000000, v8
	s_delay_alu instid0(VALU_DEP_1)
	v_or3_b32 v6, v6, v8, v7
.LBB468_5777:                           ;   in Loop: Header=BB468_3103 Depth=1
	s_or_b32 exec_lo, exec_lo, s24
.LBB468_5778:                           ;   in Loop: Header=BB468_3103 Depth=1
	s_delay_alu instid0(SALU_CYCLE_1)
	s_or_b32 exec_lo, exec_lo, s23
.LBB468_5779:                           ;   in Loop: Header=BB468_3103 Depth=1
	s_delay_alu instid0(SALU_CYCLE_1) | instskip(NEXT) | instid1(VALU_DEP_1)
	s_or_b32 exec_lo, exec_lo, s22
	v_mul_f32_e32 v6, v26, v6
                                        ; implicit-def: $vgpr34
	s_delay_alu instid0(VALU_DEP_1) | instskip(NEXT) | instid1(VALU_DEP_1)
	v_and_b32_e32 v7, 0x7f800000, v6
	v_cmp_ne_u32_e64 s9, 0x7f800000, v7
	s_delay_alu instid0(VALU_DEP_1) | instskip(NEXT) | instid1(SALU_CYCLE_1)
	s_and_saveexec_b32 s22, s9
	s_xor_b32 s9, exec_lo, s22
; %bb.5780:                             ;   in Loop: Header=BB468_3103 Depth=1
	v_bfe_u32 v7, v6, 16, 1
	s_delay_alu instid0(VALU_DEP_1)
	v_add3_u32 v34, v6, v7, 0x7fff
                                        ; implicit-def: $vgpr6
; %bb.5781:                             ;   in Loop: Header=BB468_3103 Depth=1
	s_and_not1_saveexec_b32 s22, s9
; %bb.5782:                             ;   in Loop: Header=BB468_3103 Depth=1
	v_and_b32_e32 v7, 0xffff, v6
	v_or_b32_e32 v8, 0x10000, v6
	s_delay_alu instid0(VALU_DEP_2) | instskip(NEXT) | instid1(VALU_DEP_1)
	v_cmp_eq_u32_e64 s9, 0, v7
	v_cndmask_b32_e64 v34, v8, v6, s9
; %bb.5783:                             ;   in Loop: Header=BB468_3103 Depth=1
	s_or_b32 exec_lo, exec_lo, s22
	v_dual_mov_b32 v12, v3 :: v_dual_and_b32 v7, 0xff, v3
	v_mov_b32_e32 v6, 0
	s_mov_b32 s22, exec_lo
	s_delay_alu instid0(VALU_DEP_2)
	v_cmpx_ne_u16_e32 0, v7
	s_cbranch_execz .LBB468_5791
; %bb.5784:                             ;   in Loop: Header=BB468_3103 Depth=1
	v_bfrev_b32_e32 v6, 1
	s_mov_b32 s23, exec_lo
	v_cmpx_ne_u16_e32 0x80, v7
	s_cbranch_execz .LBB468_5790
; %bb.5785:                             ;   in Loop: Header=BB468_3103 Depth=1
	v_and_b32_e32 v8, 0x7f, v3
	v_mov_b32_e32 v6, 0x7f800001
	s_mov_b32 s24, exec_lo
	s_delay_alu instid0(VALU_DEP_2)
	v_cmpx_ne_u32_e32 0x7f, v8
	s_cbranch_execz .LBB468_5789
; %bb.5786:                             ;   in Loop: Header=BB468_3103 Depth=1
	v_dual_mov_b32 v6, v12 :: v_dual_mov_b32 v7, v13
	v_lshrrev_b32_e32 v7, 3, v8
	s_mov_b32 s25, exec_lo
	v_cmpx_gt_u32_e32 8, v8
; %bb.5787:                             ;   in Loop: Header=BB468_3103 Depth=1
	v_and_b32_e32 v6, 7, v3
	s_delay_alu instid0(VALU_DEP_1) | instskip(NEXT) | instid1(VALU_DEP_1)
	v_clz_i32_u32_e32 v6, v6
	v_min_u32_e32 v8, 32, v6
	s_delay_alu instid0(VALU_DEP_1) | instskip(NEXT) | instid1(VALU_DEP_1)
	v_subrev_nc_u32_e32 v6, 28, v8
	v_lshlrev_b64 v[6:7], v6, v[12:13]
	v_sub_nc_u32_e32 v7, 29, v8
; %bb.5788:                             ;   in Loop: Header=BB468_3103 Depth=1
	s_or_b32 exec_lo, exec_lo, s25
	s_delay_alu instid0(VALU_DEP_2) | instskip(SKIP_1) | instid1(VALU_DEP_3)
	v_lshlrev_b32_e32 v6, 20, v6
	v_lshlrev_b32_e32 v8, 24, v12
	v_lshl_add_u32 v7, v7, 23, 0x3c000000
	s_delay_alu instid0(VALU_DEP_3) | instskip(NEXT) | instid1(VALU_DEP_3)
	v_and_b32_e32 v6, 0x700000, v6
	v_and_b32_e32 v8, 0x80000000, v8
	s_delay_alu instid0(VALU_DEP_1)
	v_or3_b32 v6, v6, v8, v7
.LBB468_5789:                           ;   in Loop: Header=BB468_3103 Depth=1
	s_or_b32 exec_lo, exec_lo, s24
.LBB468_5790:                           ;   in Loop: Header=BB468_3103 Depth=1
	s_delay_alu instid0(SALU_CYCLE_1)
	s_or_b32 exec_lo, exec_lo, s23
.LBB468_5791:                           ;   in Loop: Header=BB468_3103 Depth=1
	s_delay_alu instid0(SALU_CYCLE_1) | instskip(NEXT) | instid1(VALU_DEP_1)
	s_or_b32 exec_lo, exec_lo, s22
	v_mul_f32_e32 v6, v26, v6
                                        ; implicit-def: $vgpr8
	s_delay_alu instid0(VALU_DEP_1) | instskip(NEXT) | instid1(VALU_DEP_1)
	v_and_b32_e32 v7, 0x7f800000, v6
	v_cmp_ne_u32_e64 s9, 0x7f800000, v7
	s_delay_alu instid0(VALU_DEP_1) | instskip(NEXT) | instid1(SALU_CYCLE_1)
	s_and_saveexec_b32 s22, s9
	s_xor_b32 s9, exec_lo, s22
; %bb.5792:                             ;   in Loop: Header=BB468_3103 Depth=1
	v_bfe_u32 v7, v6, 16, 1
	s_delay_alu instid0(VALU_DEP_1)
	v_add3_u32 v8, v6, v7, 0x7fff
                                        ; implicit-def: $vgpr6
; %bb.5793:                             ;   in Loop: Header=BB468_3103 Depth=1
	s_and_not1_saveexec_b32 s22, s9
; %bb.5794:                             ;   in Loop: Header=BB468_3103 Depth=1
	v_and_b32_e32 v7, 0xffff, v6
	v_or_b32_e32 v8, 0x10000, v6
	s_delay_alu instid0(VALU_DEP_2) | instskip(NEXT) | instid1(VALU_DEP_1)
	v_cmp_eq_u32_e64 s9, 0, v7
	v_cndmask_b32_e64 v8, v8, v6, s9
; %bb.5795:                             ;   in Loop: Header=BB468_3103 Depth=1
	s_or_b32 exec_lo, exec_lo, s22
	v_lshrrev_b16 v7, 8, v12
	v_mov_b32_e32 v6, 0
	s_mov_b32 s22, exec_lo
	s_delay_alu instid0(VALU_DEP_2)
	v_cmpx_ne_u16_e32 0, v7
	s_cbranch_execz .LBB468_5803
; %bb.5796:                             ;   in Loop: Header=BB468_3103 Depth=1
	v_bfrev_b32_e32 v6, 1
	s_mov_b32 s23, exec_lo
	v_cmpx_ne_u16_e32 0x80, v7
	s_cbranch_execz .LBB468_5802
; %bb.5797:                             ;   in Loop: Header=BB468_3103 Depth=1
	v_and_b32_e32 v7, 0xffff, v7
	v_mov_b32_e32 v6, 0x7f800001
	s_mov_b32 s24, exec_lo
	s_delay_alu instid0(VALU_DEP_2) | instskip(NEXT) | instid1(VALU_DEP_1)
	v_and_b32_e32 v35, 0x7f, v7
	v_cmpx_ne_u32_e32 0x7f, v35
	s_cbranch_execz .LBB468_5801
; %bb.5798:                             ;   in Loop: Header=BB468_3103 Depth=1
	v_dual_mov_b32 v7, v13 :: v_dual_and_b32 v6, 7, v7
	v_lshrrev_b32_e32 v9, 3, v35
	s_mov_b32 s25, exec_lo
	v_cmpx_gt_u32_e32 8, v35
; %bb.5799:                             ;   in Loop: Header=BB468_3103 Depth=1
	s_delay_alu instid0(VALU_DEP_3) | instskip(NEXT) | instid1(VALU_DEP_1)
	v_clz_i32_u32_e32 v9, v6
	v_min_u32_e32 v9, 32, v9
	s_delay_alu instid0(VALU_DEP_1) | instskip(SKIP_1) | instid1(VALU_DEP_2)
	v_subrev_nc_u32_e32 v35, 28, v9
	v_sub_nc_u32_e32 v9, 29, v9
	v_lshlrev_b64 v[6:7], v35, v[6:7]
	s_delay_alu instid0(VALU_DEP_1)
	v_and_b32_e32 v6, 7, v6
; %bb.5800:                             ;   in Loop: Header=BB468_3103 Depth=1
	s_or_b32 exec_lo, exec_lo, s25
	v_lshlrev_b32_e32 v7, 16, v12
	s_delay_alu instid0(VALU_DEP_2) | instskip(SKIP_1) | instid1(VALU_DEP_3)
	v_lshlrev_b32_e32 v6, 20, v6
	v_lshl_add_u32 v9, v9, 23, 0x3c000000
	v_and_b32_e32 v7, 0x80000000, v7
	s_delay_alu instid0(VALU_DEP_1)
	v_or3_b32 v6, v6, v7, v9
.LBB468_5801:                           ;   in Loop: Header=BB468_3103 Depth=1
	s_or_b32 exec_lo, exec_lo, s24
.LBB468_5802:                           ;   in Loop: Header=BB468_3103 Depth=1
	s_delay_alu instid0(SALU_CYCLE_1)
	s_or_b32 exec_lo, exec_lo, s23
.LBB468_5803:                           ;   in Loop: Header=BB468_3103 Depth=1
	s_delay_alu instid0(SALU_CYCLE_1) | instskip(NEXT) | instid1(VALU_DEP_1)
	s_or_b32 exec_lo, exec_lo, s22
	v_mul_f32_e32 v6, v26, v6
                                        ; implicit-def: $vgpr9
	s_delay_alu instid0(VALU_DEP_1) | instskip(NEXT) | instid1(VALU_DEP_1)
	v_and_b32_e32 v7, 0x7f800000, v6
	v_cmp_ne_u32_e64 s9, 0x7f800000, v7
	s_delay_alu instid0(VALU_DEP_1) | instskip(NEXT) | instid1(SALU_CYCLE_1)
	s_and_saveexec_b32 s22, s9
	s_xor_b32 s9, exec_lo, s22
; %bb.5804:                             ;   in Loop: Header=BB468_3103 Depth=1
	v_bfe_u32 v7, v6, 16, 1
	s_delay_alu instid0(VALU_DEP_1)
	v_add3_u32 v9, v6, v7, 0x7fff
                                        ; implicit-def: $vgpr6
; %bb.5805:                             ;   in Loop: Header=BB468_3103 Depth=1
	s_and_not1_saveexec_b32 s22, s9
; %bb.5806:                             ;   in Loop: Header=BB468_3103 Depth=1
	v_and_b32_e32 v7, 0xffff, v6
	v_or_b32_e32 v9, 0x10000, v6
	s_delay_alu instid0(VALU_DEP_2) | instskip(NEXT) | instid1(VALU_DEP_1)
	v_cmp_eq_u32_e64 s9, 0, v7
	v_cndmask_b32_e64 v9, v9, v6, s9
; %bb.5807:                             ;   in Loop: Header=BB468_3103 Depth=1
	s_or_b32 exec_lo, exec_lo, s22
	v_lshrrev_b32_e32 v35, 16, v3
	s_mov_b32 s22, exec_lo
	s_delay_alu instid0(VALU_DEP_1) | instskip(NEXT) | instid1(VALU_DEP_1)
	v_dual_mov_b32 v6, 0 :: v_dual_and_b32 v7, 0xff, v35
	v_cmpx_ne_u16_e32 0, v7
	s_cbranch_execz .LBB468_5815
; %bb.5808:                             ;   in Loop: Header=BB468_3103 Depth=1
	v_bfrev_b32_e32 v6, 1
	s_mov_b32 s23, exec_lo
	v_cmpx_ne_u16_e32 0x80, v7
	s_cbranch_execz .LBB468_5814
; %bb.5809:                             ;   in Loop: Header=BB468_3103 Depth=1
	v_bfe_u32 v36, v3, 16, 7
	v_mov_b32_e32 v6, 0x7f800001
	s_mov_b32 s24, exec_lo
	s_delay_alu instid0(VALU_DEP_2)
	v_cmpx_ne_u32_e32 0x7f, v36
	s_cbranch_execz .LBB468_5813
; %bb.5810:                             ;   in Loop: Header=BB468_3103 Depth=1
	v_and_b32_e32 v12, 7, v35
	s_mov_b32 s25, exec_lo
	s_delay_alu instid0(VALU_DEP_1)
	v_dual_mov_b32 v6, v12 :: v_dual_mov_b32 v7, v13
	v_lshrrev_b32_e32 v7, 3, v36
	v_cmpx_gt_u32_e32 8, v36
; %bb.5811:                             ;   in Loop: Header=BB468_3103 Depth=1
	v_clz_i32_u32_e32 v6, v12
	s_delay_alu instid0(VALU_DEP_1) | instskip(NEXT) | instid1(VALU_DEP_1)
	v_min_u32_e32 v36, 32, v6
	v_subrev_nc_u32_e32 v6, 28, v36
	s_delay_alu instid0(VALU_DEP_1) | instskip(SKIP_1) | instid1(VALU_DEP_2)
	v_lshlrev_b64 v[6:7], v6, v[12:13]
	v_sub_nc_u32_e32 v7, 29, v36
	v_and_b32_e32 v6, 7, v6
; %bb.5812:                             ;   in Loop: Header=BB468_3103 Depth=1
	s_or_b32 exec_lo, exec_lo, s25
	v_lshlrev_b32_e32 v12, 24, v35
	s_delay_alu instid0(VALU_DEP_2) | instskip(SKIP_1) | instid1(VALU_DEP_3)
	v_lshlrev_b32_e32 v6, 20, v6
	v_lshl_add_u32 v7, v7, 23, 0x3c000000
	v_and_b32_e32 v12, 0x80000000, v12
	s_delay_alu instid0(VALU_DEP_1)
	v_or3_b32 v6, v6, v12, v7
.LBB468_5813:                           ;   in Loop: Header=BB468_3103 Depth=1
	s_or_b32 exec_lo, exec_lo, s24
.LBB468_5814:                           ;   in Loop: Header=BB468_3103 Depth=1
	s_delay_alu instid0(SALU_CYCLE_1)
	s_or_b32 exec_lo, exec_lo, s23
.LBB468_5815:                           ;   in Loop: Header=BB468_3103 Depth=1
	s_delay_alu instid0(SALU_CYCLE_1) | instskip(NEXT) | instid1(VALU_DEP_1)
	s_or_b32 exec_lo, exec_lo, s22
	v_mul_f32_e32 v6, v26, v6
                                        ; implicit-def: $vgpr35
	s_delay_alu instid0(VALU_DEP_1) | instskip(NEXT) | instid1(VALU_DEP_1)
	v_and_b32_e32 v7, 0x7f800000, v6
	v_cmp_ne_u32_e64 s9, 0x7f800000, v7
	s_delay_alu instid0(VALU_DEP_1) | instskip(NEXT) | instid1(SALU_CYCLE_1)
	s_and_saveexec_b32 s22, s9
	s_xor_b32 s9, exec_lo, s22
; %bb.5816:                             ;   in Loop: Header=BB468_3103 Depth=1
	v_bfe_u32 v7, v6, 16, 1
	s_delay_alu instid0(VALU_DEP_1)
	v_add3_u32 v35, v6, v7, 0x7fff
                                        ; implicit-def: $vgpr6
; %bb.5817:                             ;   in Loop: Header=BB468_3103 Depth=1
	s_and_not1_saveexec_b32 s22, s9
; %bb.5818:                             ;   in Loop: Header=BB468_3103 Depth=1
	v_and_b32_e32 v7, 0xffff, v6
	v_or_b32_e32 v12, 0x10000, v6
	s_delay_alu instid0(VALU_DEP_2) | instskip(NEXT) | instid1(VALU_DEP_1)
	v_cmp_eq_u32_e64 s9, 0, v7
	v_cndmask_b32_e64 v35, v12, v6, s9
; %bb.5819:                             ;   in Loop: Header=BB468_3103 Depth=1
	s_or_b32 exec_lo, exec_lo, s22
	v_cmp_lt_u64_e64 s9, s[12:13], v[2:3]
	v_mov_b32_e32 v2, 0
	s_delay_alu instid0(VALU_DEP_2)
	s_and_saveexec_b32 s22, s9
	s_cbranch_execz .LBB468_5827
; %bb.5820:                             ;   in Loop: Header=BB468_3103 Depth=1
	v_lshrrev_b32_e32 v6, 24, v3
	v_bfrev_b32_e32 v2, 1
	s_mov_b32 s23, exec_lo
	s_delay_alu instid0(VALU_DEP_2)
	v_cmpx_ne_u32_e32 0x80, v6
	s_cbranch_execz .LBB468_5826
; %bb.5821:                             ;   in Loop: Header=BB468_3103 Depth=1
	v_bfe_u32 v7, v3, 24, 7
	v_mov_b32_e32 v2, 0x7f800001
	s_mov_b32 s24, exec_lo
	s_delay_alu instid0(VALU_DEP_2)
	v_cmpx_ne_u32_e32 0x7f, v7
	s_cbranch_execz .LBB468_5825
; %bb.5822:                             ;   in Loop: Header=BB468_3103 Depth=1
	v_and_b32_e32 v12, 7, v6
	s_mov_b32 s25, exec_lo
	s_delay_alu instid0(VALU_DEP_1)
	v_dual_mov_b32 v2, v12 :: v_dual_mov_b32 v3, v13
	v_lshrrev_b32_e32 v3, 3, v7
	v_cmpx_gt_u32_e32 8, v7
; %bb.5823:                             ;   in Loop: Header=BB468_3103 Depth=1
	v_clz_i32_u32_e32 v2, v12
	s_delay_alu instid0(VALU_DEP_1) | instskip(NEXT) | instid1(VALU_DEP_1)
	v_min_u32_e32 v7, 32, v2
	v_subrev_nc_u32_e32 v2, 28, v7
	s_delay_alu instid0(VALU_DEP_1) | instskip(SKIP_1) | instid1(VALU_DEP_2)
	v_lshlrev_b64 v[2:3], v2, v[12:13]
	v_sub_nc_u32_e32 v3, 29, v7
	v_and_b32_e32 v2, 7, v2
; %bb.5824:                             ;   in Loop: Header=BB468_3103 Depth=1
	s_or_b32 exec_lo, exec_lo, s25
	v_lshlrev_b32_e32 v6, 24, v6
	s_delay_alu instid0(VALU_DEP_2) | instskip(SKIP_1) | instid1(VALU_DEP_3)
	v_lshlrev_b32_e32 v2, 20, v2
	v_lshl_add_u32 v3, v3, 23, 0x3c000000
	v_and_b32_e32 v6, 0x80000000, v6
	s_delay_alu instid0(VALU_DEP_1)
	v_or3_b32 v2, v2, v6, v3
.LBB468_5825:                           ;   in Loop: Header=BB468_3103 Depth=1
	s_or_b32 exec_lo, exec_lo, s24
.LBB468_5826:                           ;   in Loop: Header=BB468_3103 Depth=1
	s_delay_alu instid0(SALU_CYCLE_1)
	s_or_b32 exec_lo, exec_lo, s23
.LBB468_5827:                           ;   in Loop: Header=BB468_3103 Depth=1
	s_delay_alu instid0(SALU_CYCLE_1) | instskip(NEXT) | instid1(VALU_DEP_1)
	s_or_b32 exec_lo, exec_lo, s22
	v_mul_f32_e32 v3, v26, v2
	s_delay_alu instid0(VALU_DEP_1) | instskip(NEXT) | instid1(VALU_DEP_1)
	v_and_b32_e32 v2, 0x7f800000, v3
	v_cmp_ne_u32_e64 s9, 0x7f800000, v2
                                        ; implicit-def: $vgpr2
	s_delay_alu instid0(VALU_DEP_1) | instskip(NEXT) | instid1(SALU_CYCLE_1)
	s_and_saveexec_b32 s22, s9
	s_xor_b32 s9, exec_lo, s22
; %bb.5828:                             ;   in Loop: Header=BB468_3103 Depth=1
	v_bfe_u32 v2, v3, 16, 1
	s_delay_alu instid0(VALU_DEP_1)
	v_add3_u32 v2, v3, v2, 0x7fff
                                        ; implicit-def: $vgpr3
; %bb.5829:                             ;   in Loop: Header=BB468_3103 Depth=1
	s_and_not1_saveexec_b32 s22, s9
; %bb.5830:                             ;   in Loop: Header=BB468_3103 Depth=1
	v_and_b32_e32 v2, 0xffff, v3
	v_or_b32_e32 v6, 0x10000, v3
	s_delay_alu instid0(VALU_DEP_2) | instskip(NEXT) | instid1(VALU_DEP_1)
	v_cmp_eq_u32_e64 s9, 0, v2
	v_cndmask_b32_e64 v2, v6, v3, s9
; %bb.5831:                             ;   in Loop: Header=BB468_3103 Depth=1
	s_or_b32 exec_lo, exec_lo, s22
	v_lshrrev_b32_e32 v6, 16, v9
	v_lshrrev_b32_e32 v7, 16, v8
	;; [unrolled: 1-line block ×8, first 2 shown]
	s_and_saveexec_b32 s9, s3
; %bb.5832:                             ;   in Loop: Header=BB468_3103 Depth=1
	s_delay_alu instid0(VALU_DEP_3)
	v_cndmask_b32_e32 v4, 0, v4, vcc_lo
	v_cndmask_b32_e64 v5, 0, v5, s1
	v_cndmask_b32_e64 v9, 0, v9, s2
	v_cndmask_b32_e64 v8, 0, v8, s4
	v_cndmask_b32_e64 v7, 0, v7, s5
	v_cndmask_b32_e64 v6, 0, v6, s6
	v_cndmask_b32_e64 v3, 0, v3, s7
	v_cndmask_b32_e64 v2, 0, v2, s8
; %bb.5833:                             ;   in Loop: Header=BB468_3103 Depth=1
	s_or_b32 exec_lo, exec_lo, s9
	v_lshlrev_b32_e32 v4, 16, v4
                                        ; implicit-def: $vgpr182
	s_delay_alu instid0(VALU_DEP_1) | instskip(NEXT) | instid1(VALU_DEP_1)
	v_mul_f32_e32 v4, v151, v4
	v_and_b32_e32 v12, 0x7f800000, v4
	s_delay_alu instid0(VALU_DEP_1) | instskip(NEXT) | instid1(VALU_DEP_1)
	v_cmp_ne_u32_e64 s9, 0x7f800000, v12
	s_and_saveexec_b32 s22, s9
	s_delay_alu instid0(SALU_CYCLE_1)
	s_xor_b32 s9, exec_lo, s22
; %bb.5834:                             ;   in Loop: Header=BB468_3103 Depth=1
	v_bfe_u32 v12, v4, 16, 1
	s_delay_alu instid0(VALU_DEP_1)
	v_add3_u32 v182, v4, v12, 0x7fff
                                        ; implicit-def: $vgpr4
; %bb.5835:                             ;   in Loop: Header=BB468_3103 Depth=1
	s_and_not1_saveexec_b32 s22, s9
; %bb.5836:                             ;   in Loop: Header=BB468_3103 Depth=1
	v_and_b32_e32 v12, 0xffff, v4
	v_or_b32_e32 v18, 0x10000, v4
	s_delay_alu instid0(VALU_DEP_2) | instskip(NEXT) | instid1(VALU_DEP_1)
	v_cmp_eq_u32_e64 s9, 0, v12
	v_cndmask_b32_e64 v182, v18, v4, s9
; %bb.5837:                             ;   in Loop: Header=BB468_3103 Depth=1
	s_or_b32 exec_lo, exec_lo, s22
	v_lshlrev_b32_e32 v4, 16, v5
                                        ; implicit-def: $vgpr183
	s_delay_alu instid0(VALU_DEP_1) | instskip(NEXT) | instid1(VALU_DEP_1)
	v_mul_f32_e32 v4, v160, v4
	v_and_b32_e32 v5, 0x7f800000, v4
	s_delay_alu instid0(VALU_DEP_1) | instskip(NEXT) | instid1(VALU_DEP_1)
	v_cmp_ne_u32_e64 s9, 0x7f800000, v5
	s_and_saveexec_b32 s22, s9
	s_delay_alu instid0(SALU_CYCLE_1)
	s_xor_b32 s9, exec_lo, s22
; %bb.5838:                             ;   in Loop: Header=BB468_3103 Depth=1
	v_bfe_u32 v5, v4, 16, 1
	s_delay_alu instid0(VALU_DEP_1)
	v_add3_u32 v183, v4, v5, 0x7fff
                                        ; implicit-def: $vgpr4
; %bb.5839:                             ;   in Loop: Header=BB468_3103 Depth=1
	s_and_not1_saveexec_b32 s22, s9
; %bb.5840:                             ;   in Loop: Header=BB468_3103 Depth=1
	v_and_b32_e32 v5, 0xffff, v4
	v_or_b32_e32 v12, 0x10000, v4
	s_delay_alu instid0(VALU_DEP_2) | instskip(NEXT) | instid1(VALU_DEP_1)
	v_cmp_eq_u32_e64 s9, 0, v5
	v_cndmask_b32_e64 v183, v12, v4, s9
; %bb.5841:                             ;   in Loop: Header=BB468_3103 Depth=1
	s_or_b32 exec_lo, exec_lo, s22
	v_lshlrev_b32_e32 v4, 16, v9
                                        ; implicit-def: $vgpr40
	s_delay_alu instid0(VALU_DEP_1) | instskip(NEXT) | instid1(VALU_DEP_1)
	v_mul_f32_e32 v4, v161, v4
	v_and_b32_e32 v5, 0x7f800000, v4
	s_delay_alu instid0(VALU_DEP_1) | instskip(NEXT) | instid1(VALU_DEP_1)
	v_cmp_ne_u32_e64 s9, 0x7f800000, v5
	s_and_saveexec_b32 s22, s9
	s_delay_alu instid0(SALU_CYCLE_1)
	s_xor_b32 s9, exec_lo, s22
; %bb.5842:                             ;   in Loop: Header=BB468_3103 Depth=1
	v_bfe_u32 v5, v4, 16, 1
	s_delay_alu instid0(VALU_DEP_1)
	v_add3_u32 v40, v4, v5, 0x7fff
                                        ; implicit-def: $vgpr4
; %bb.5843:                             ;   in Loop: Header=BB468_3103 Depth=1
	s_and_not1_saveexec_b32 s22, s9
; %bb.5844:                             ;   in Loop: Header=BB468_3103 Depth=1
	v_and_b32_e32 v5, 0xffff, v4
	v_or_b32_e32 v9, 0x10000, v4
	s_delay_alu instid0(VALU_DEP_2) | instskip(NEXT) | instid1(VALU_DEP_1)
	v_cmp_eq_u32_e64 s9, 0, v5
	v_cndmask_b32_e64 v40, v9, v4, s9
; %bb.5845:                             ;   in Loop: Header=BB468_3103 Depth=1
	s_or_b32 exec_lo, exec_lo, s22
	v_lshlrev_b32_e32 v4, 16, v8
                                        ; implicit-def: $vgpr41
	s_delay_alu instid0(VALU_DEP_1) | instskip(NEXT) | instid1(VALU_DEP_1)
	v_mul_f32_e32 v4, v162, v4
	v_and_b32_e32 v5, 0x7f800000, v4
	s_delay_alu instid0(VALU_DEP_1) | instskip(NEXT) | instid1(VALU_DEP_1)
	v_cmp_ne_u32_e64 s9, 0x7f800000, v5
	s_and_saveexec_b32 s22, s9
	s_delay_alu instid0(SALU_CYCLE_1)
	s_xor_b32 s9, exec_lo, s22
; %bb.5846:                             ;   in Loop: Header=BB468_3103 Depth=1
	v_bfe_u32 v5, v4, 16, 1
	s_delay_alu instid0(VALU_DEP_1)
	v_add3_u32 v41, v4, v5, 0x7fff
                                        ; implicit-def: $vgpr4
; %bb.5847:                             ;   in Loop: Header=BB468_3103 Depth=1
	s_and_not1_saveexec_b32 s22, s9
; %bb.5848:                             ;   in Loop: Header=BB468_3103 Depth=1
	v_and_b32_e32 v5, 0xffff, v4
	v_or_b32_e32 v8, 0x10000, v4
	s_delay_alu instid0(VALU_DEP_2) | instskip(NEXT) | instid1(VALU_DEP_1)
	v_cmp_eq_u32_e64 s9, 0, v5
	v_cndmask_b32_e64 v41, v8, v4, s9
; %bb.5849:                             ;   in Loop: Header=BB468_3103 Depth=1
	s_or_b32 exec_lo, exec_lo, s22
	v_lshlrev_b32_e32 v4, 16, v7
                                        ; implicit-def: $vgpr42
	s_delay_alu instid0(VALU_DEP_1) | instskip(NEXT) | instid1(VALU_DEP_1)
	v_mul_f32_e32 v4, v163, v4
	v_and_b32_e32 v5, 0x7f800000, v4
	s_delay_alu instid0(VALU_DEP_1) | instskip(NEXT) | instid1(VALU_DEP_1)
	v_cmp_ne_u32_e64 s9, 0x7f800000, v5
	s_and_saveexec_b32 s22, s9
	s_delay_alu instid0(SALU_CYCLE_1)
	s_xor_b32 s9, exec_lo, s22
; %bb.5850:                             ;   in Loop: Header=BB468_3103 Depth=1
	v_bfe_u32 v5, v4, 16, 1
	s_delay_alu instid0(VALU_DEP_1)
	v_add3_u32 v42, v4, v5, 0x7fff
                                        ; implicit-def: $vgpr4
; %bb.5851:                             ;   in Loop: Header=BB468_3103 Depth=1
	s_and_not1_saveexec_b32 s22, s9
; %bb.5852:                             ;   in Loop: Header=BB468_3103 Depth=1
	v_and_b32_e32 v5, 0xffff, v4
	v_or_b32_e32 v7, 0x10000, v4
	s_delay_alu instid0(VALU_DEP_2) | instskip(NEXT) | instid1(VALU_DEP_1)
	v_cmp_eq_u32_e64 s9, 0, v5
	v_cndmask_b32_e64 v42, v7, v4, s9
; %bb.5853:                             ;   in Loop: Header=BB468_3103 Depth=1
	s_or_b32 exec_lo, exec_lo, s22
	v_lshlrev_b32_e32 v4, 16, v6
                                        ; implicit-def: $vgpr43
	s_delay_alu instid0(VALU_DEP_1) | instskip(NEXT) | instid1(VALU_DEP_1)
	v_mul_f32_e32 v4, v164, v4
	v_and_b32_e32 v5, 0x7f800000, v4
	s_delay_alu instid0(VALU_DEP_1) | instskip(NEXT) | instid1(VALU_DEP_1)
	v_cmp_ne_u32_e64 s9, 0x7f800000, v5
	s_and_saveexec_b32 s22, s9
	s_delay_alu instid0(SALU_CYCLE_1)
	s_xor_b32 s9, exec_lo, s22
; %bb.5854:                             ;   in Loop: Header=BB468_3103 Depth=1
	v_bfe_u32 v5, v4, 16, 1
	s_delay_alu instid0(VALU_DEP_1)
	v_add3_u32 v43, v4, v5, 0x7fff
                                        ; implicit-def: $vgpr4
; %bb.5855:                             ;   in Loop: Header=BB468_3103 Depth=1
	s_and_not1_saveexec_b32 s22, s9
; %bb.5856:                             ;   in Loop: Header=BB468_3103 Depth=1
	v_and_b32_e32 v5, 0xffff, v4
	v_or_b32_e32 v6, 0x10000, v4
	s_delay_alu instid0(VALU_DEP_2) | instskip(NEXT) | instid1(VALU_DEP_1)
	v_cmp_eq_u32_e64 s9, 0, v5
	v_cndmask_b32_e64 v43, v6, v4, s9
; %bb.5857:                             ;   in Loop: Header=BB468_3103 Depth=1
	s_or_b32 exec_lo, exec_lo, s22
	v_lshlrev_b32_e32 v3, 16, v3
                                        ; implicit-def: $vgpr44
	s_delay_alu instid0(VALU_DEP_1) | instskip(NEXT) | instid1(VALU_DEP_1)
	v_mul_f32_e32 v3, v165, v3
	v_and_b32_e32 v4, 0x7f800000, v3
	s_delay_alu instid0(VALU_DEP_1) | instskip(NEXT) | instid1(VALU_DEP_1)
	v_cmp_ne_u32_e64 s9, 0x7f800000, v4
	s_and_saveexec_b32 s22, s9
	s_delay_alu instid0(SALU_CYCLE_1)
	s_xor_b32 s9, exec_lo, s22
; %bb.5858:                             ;   in Loop: Header=BB468_3103 Depth=1
	v_bfe_u32 v4, v3, 16, 1
	s_delay_alu instid0(VALU_DEP_1)
	v_add3_u32 v44, v3, v4, 0x7fff
                                        ; implicit-def: $vgpr3
; %bb.5859:                             ;   in Loop: Header=BB468_3103 Depth=1
	s_and_not1_saveexec_b32 s22, s9
; %bb.5860:                             ;   in Loop: Header=BB468_3103 Depth=1
	v_and_b32_e32 v4, 0xffff, v3
	v_or_b32_e32 v5, 0x10000, v3
	s_delay_alu instid0(VALU_DEP_2) | instskip(NEXT) | instid1(VALU_DEP_1)
	v_cmp_eq_u32_e64 s9, 0, v4
	v_cndmask_b32_e64 v44, v5, v3, s9
; %bb.5861:                             ;   in Loop: Header=BB468_3103 Depth=1
	s_or_b32 exec_lo, exec_lo, s22
	v_lshlrev_b32_e32 v2, 16, v2
                                        ; implicit-def: $vgpr45
	s_delay_alu instid0(VALU_DEP_1) | instskip(NEXT) | instid1(VALU_DEP_1)
	v_mul_f32_e32 v2, v166, v2
	v_and_b32_e32 v3, 0x7f800000, v2
	s_delay_alu instid0(VALU_DEP_1) | instskip(NEXT) | instid1(VALU_DEP_1)
	v_cmp_ne_u32_e64 s9, 0x7f800000, v3
	s_and_saveexec_b32 s22, s9
	s_delay_alu instid0(SALU_CYCLE_1)
	s_xor_b32 s9, exec_lo, s22
; %bb.5862:                             ;   in Loop: Header=BB468_3103 Depth=1
	v_bfe_u32 v3, v2, 16, 1
	s_delay_alu instid0(VALU_DEP_1)
	v_add3_u32 v45, v2, v3, 0x7fff
                                        ; implicit-def: $vgpr2
; %bb.5863:                             ;   in Loop: Header=BB468_3103 Depth=1
	s_and_not1_saveexec_b32 s22, s9
; %bb.5864:                             ;   in Loop: Header=BB468_3103 Depth=1
	v_and_b32_e32 v3, 0xffff, v2
	v_or_b32_e32 v4, 0x10000, v2
	s_delay_alu instid0(VALU_DEP_2) | instskip(NEXT) | instid1(VALU_DEP_1)
	v_cmp_eq_u32_e64 s9, 0, v3
	v_cndmask_b32_e64 v45, v4, v2, s9
; %bb.5865:                             ;   in Loop: Header=BB468_3103 Depth=1
	s_or_b32 exec_lo, exec_lo, s22
	scratch_load_b32 v2, off, s32 offset:836 ; 4-byte Folded Reload
	s_mov_b32 s22, exec_lo
	v_mov_b32_e32 v4, 0
	s_waitcnt vmcnt(0)
	v_add_co_u32 v2, s9, v0, v2
	s_delay_alu instid0(VALU_DEP_1) | instskip(SKIP_3) | instid1(VALU_DEP_1)
	v_add_co_ci_u32_e64 v3, s9, 0, v1, s9
	flat_load_b64 v[2:3], v[2:3]
	s_waitcnt vmcnt(0) lgkmcnt(0)
	v_and_b32_e32 v5, 0xff, v2
	v_cmpx_ne_u16_e32 0, v5
	s_cbranch_execz .LBB468_5873
; %bb.5866:                             ;   in Loop: Header=BB468_3103 Depth=1
	v_bfrev_b32_e32 v4, 1
	s_mov_b32 s23, exec_lo
	v_cmpx_ne_u16_e32 0x80, v5
	s_cbranch_execz .LBB468_5872
; %bb.5867:                             ;   in Loop: Header=BB468_3103 Depth=1
	v_and_b32_e32 v5, 0x7f, v2
	v_mov_b32_e32 v4, 0x7f800001
	s_mov_b32 s24, exec_lo
	s_delay_alu instid0(VALU_DEP_2)
	v_cmpx_ne_u32_e32 0x7f, v5
	s_cbranch_execz .LBB468_5871
; %bb.5868:                             ;   in Loop: Header=BB468_3103 Depth=1
	v_lshrrev_b32_e32 v4, 3, v5
	v_dual_mov_b32 v7, v3 :: v_dual_mov_b32 v6, v2
	s_mov_b32 s25, exec_lo
	v_cmpx_gt_u32_e32 8, v5
; %bb.5869:                             ;   in Loop: Header=BB468_3103 Depth=1
	v_and_b32_e32 v4, 7, v2
	s_delay_alu instid0(VALU_DEP_1) | instskip(NEXT) | instid1(VALU_DEP_1)
	v_clz_i32_u32_e32 v4, v4
	v_min_u32_e32 v4, 32, v4
	s_delay_alu instid0(VALU_DEP_1) | instskip(SKIP_1) | instid1(VALU_DEP_2)
	v_subrev_nc_u32_e32 v5, 28, v4
	v_sub_nc_u32_e32 v4, 29, v4
	v_lshlrev_b64 v[6:7], v5, v[2:3]
; %bb.5870:                             ;   in Loop: Header=BB468_3103 Depth=1
	s_or_b32 exec_lo, exec_lo, s25
	s_delay_alu instid0(VALU_DEP_1) | instskip(SKIP_2) | instid1(VALU_DEP_3)
	v_lshlrev_b32_e32 v5, 20, v6
	v_lshlrev_b32_e32 v6, 24, v2
	v_lshl_add_u32 v4, v4, 23, 0x3c000000
	v_and_b32_e32 v5, 0x700000, v5
	s_delay_alu instid0(VALU_DEP_3) | instskip(NEXT) | instid1(VALU_DEP_1)
	v_and_b32_e32 v6, 0x80000000, v6
	v_or3_b32 v4, v5, v6, v4
.LBB468_5871:                           ;   in Loop: Header=BB468_3103 Depth=1
	s_or_b32 exec_lo, exec_lo, s24
.LBB468_5872:                           ;   in Loop: Header=BB468_3103 Depth=1
	s_delay_alu instid0(SALU_CYCLE_1)
	s_or_b32 exec_lo, exec_lo, s23
.LBB468_5873:                           ;   in Loop: Header=BB468_3103 Depth=1
	s_delay_alu instid0(SALU_CYCLE_1) | instskip(NEXT) | instid1(VALU_DEP_1)
	s_or_b32 exec_lo, exec_lo, s22
	v_mul_f32_e32 v5, v26, v4
	s_delay_alu instid0(VALU_DEP_1) | instskip(NEXT) | instid1(VALU_DEP_1)
	v_and_b32_e32 v4, 0x7f800000, v5
	v_cmp_ne_u32_e64 s9, 0x7f800000, v4
                                        ; implicit-def: $vgpr4
	s_delay_alu instid0(VALU_DEP_1) | instskip(NEXT) | instid1(SALU_CYCLE_1)
	s_and_saveexec_b32 s22, s9
	s_xor_b32 s9, exec_lo, s22
; %bb.5874:                             ;   in Loop: Header=BB468_3103 Depth=1
	v_bfe_u32 v4, v5, 16, 1
	s_delay_alu instid0(VALU_DEP_1)
	v_add3_u32 v4, v5, v4, 0x7fff
                                        ; implicit-def: $vgpr5
; %bb.5875:                             ;   in Loop: Header=BB468_3103 Depth=1
	s_and_not1_saveexec_b32 s22, s9
; %bb.5876:                             ;   in Loop: Header=BB468_3103 Depth=1
	v_and_b32_e32 v4, 0xffff, v5
	v_or_b32_e32 v6, 0x10000, v5
	s_delay_alu instid0(VALU_DEP_2) | instskip(NEXT) | instid1(VALU_DEP_1)
	v_cmp_eq_u32_e64 s9, 0, v4
	v_cndmask_b32_e64 v4, v6, v5, s9
; %bb.5877:                             ;   in Loop: Header=BB468_3103 Depth=1
	s_or_b32 exec_lo, exec_lo, s22
	v_lshrrev_b16 v6, 8, v2
	v_mov_b32_e32 v5, 0
	s_mov_b32 s22, exec_lo
	s_delay_alu instid0(VALU_DEP_2)
	v_cmpx_ne_u16_e32 0, v6
	s_cbranch_execz .LBB468_5885
; %bb.5878:                             ;   in Loop: Header=BB468_3103 Depth=1
	v_bfrev_b32_e32 v5, 1
	s_mov_b32 s23, exec_lo
	v_cmpx_ne_u16_e32 0x80, v6
	s_cbranch_execz .LBB468_5884
; %bb.5879:                             ;   in Loop: Header=BB468_3103 Depth=1
	v_and_b32_e32 v6, 0xffff, v6
	v_mov_b32_e32 v5, 0x7f800001
	s_mov_b32 s24, exec_lo
	s_delay_alu instid0(VALU_DEP_2) | instskip(NEXT) | instid1(VALU_DEP_1)
	v_and_b32_e32 v8, 0x7f, v6
	v_cmpx_ne_u32_e32 0x7f, v8
	s_cbranch_execz .LBB468_5883
; %bb.5880:                             ;   in Loop: Header=BB468_3103 Depth=1
	v_and_b32_e32 v12, 7, v6
	v_lshrrev_b32_e32 v5, 3, v8
	s_mov_b32 s25, exec_lo
	s_delay_alu instid0(VALU_DEP_2)
	v_dual_mov_b32 v6, v12 :: v_dual_mov_b32 v7, v13
	v_cmpx_gt_u32_e32 8, v8
; %bb.5881:                             ;   in Loop: Header=BB468_3103 Depth=1
	v_clz_i32_u32_e32 v5, v12
	s_delay_alu instid0(VALU_DEP_1) | instskip(NEXT) | instid1(VALU_DEP_1)
	v_min_u32_e32 v5, 32, v5
	v_subrev_nc_u32_e32 v6, 28, v5
	v_sub_nc_u32_e32 v5, 29, v5
	s_delay_alu instid0(VALU_DEP_2) | instskip(NEXT) | instid1(VALU_DEP_1)
	v_lshlrev_b64 v[6:7], v6, v[12:13]
	v_and_b32_e32 v6, 7, v6
; %bb.5882:                             ;   in Loop: Header=BB468_3103 Depth=1
	s_or_b32 exec_lo, exec_lo, s25
	v_lshlrev_b32_e32 v7, 16, v2
	s_delay_alu instid0(VALU_DEP_2) | instskip(SKIP_1) | instid1(VALU_DEP_3)
	v_lshlrev_b32_e32 v6, 20, v6
	v_lshl_add_u32 v5, v5, 23, 0x3c000000
	v_and_b32_e32 v7, 0x80000000, v7
	s_delay_alu instid0(VALU_DEP_1)
	v_or3_b32 v5, v6, v7, v5
.LBB468_5883:                           ;   in Loop: Header=BB468_3103 Depth=1
	s_or_b32 exec_lo, exec_lo, s24
.LBB468_5884:                           ;   in Loop: Header=BB468_3103 Depth=1
	s_delay_alu instid0(SALU_CYCLE_1)
	s_or_b32 exec_lo, exec_lo, s23
.LBB468_5885:                           ;   in Loop: Header=BB468_3103 Depth=1
	s_delay_alu instid0(SALU_CYCLE_1) | instskip(NEXT) | instid1(VALU_DEP_1)
	s_or_b32 exec_lo, exec_lo, s22
	v_mul_f32_e32 v6, v26, v5
	s_delay_alu instid0(VALU_DEP_1) | instskip(NEXT) | instid1(VALU_DEP_1)
	v_and_b32_e32 v5, 0x7f800000, v6
	v_cmp_ne_u32_e64 s9, 0x7f800000, v5
                                        ; implicit-def: $vgpr5
	s_delay_alu instid0(VALU_DEP_1) | instskip(NEXT) | instid1(SALU_CYCLE_1)
	s_and_saveexec_b32 s22, s9
	s_xor_b32 s9, exec_lo, s22
; %bb.5886:                             ;   in Loop: Header=BB468_3103 Depth=1
	v_bfe_u32 v5, v6, 16, 1
	s_delay_alu instid0(VALU_DEP_1)
	v_add3_u32 v5, v6, v5, 0x7fff
                                        ; implicit-def: $vgpr6
; %bb.5887:                             ;   in Loop: Header=BB468_3103 Depth=1
	s_and_not1_saveexec_b32 s22, s9
; %bb.5888:                             ;   in Loop: Header=BB468_3103 Depth=1
	v_and_b32_e32 v5, 0xffff, v6
	v_or_b32_e32 v7, 0x10000, v6
	s_delay_alu instid0(VALU_DEP_2) | instskip(NEXT) | instid1(VALU_DEP_1)
	v_cmp_eq_u32_e64 s9, 0, v5
	v_cndmask_b32_e64 v5, v7, v6, s9
; %bb.5889:                             ;   in Loop: Header=BB468_3103 Depth=1
	s_or_b32 exec_lo, exec_lo, s22
	v_lshrrev_b32_e32 v8, 16, v2
	s_mov_b32 s22, exec_lo
	s_delay_alu instid0(VALU_DEP_1) | instskip(NEXT) | instid1(VALU_DEP_1)
	v_dual_mov_b32 v6, 0 :: v_dual_and_b32 v7, 0xff, v8
	v_cmpx_ne_u16_e32 0, v7
	s_cbranch_execz .LBB468_5897
; %bb.5890:                             ;   in Loop: Header=BB468_3103 Depth=1
	v_bfrev_b32_e32 v6, 1
	s_mov_b32 s23, exec_lo
	v_cmpx_ne_u16_e32 0x80, v7
	s_cbranch_execz .LBB468_5896
; %bb.5891:                             ;   in Loop: Header=BB468_3103 Depth=1
	v_bfe_u32 v9, v2, 16, 7
	v_mov_b32_e32 v6, 0x7f800001
	s_mov_b32 s24, exec_lo
	s_delay_alu instid0(VALU_DEP_2)
	v_cmpx_ne_u32_e32 0x7f, v9
	s_cbranch_execz .LBB468_5895
; %bb.5892:                             ;   in Loop: Header=BB468_3103 Depth=1
	v_and_b32_e32 v12, 7, v8
	s_mov_b32 s25, exec_lo
	s_delay_alu instid0(VALU_DEP_1)
	v_dual_mov_b32 v6, v12 :: v_dual_mov_b32 v7, v13
	v_lshrrev_b32_e32 v7, 3, v9
	v_cmpx_gt_u32_e32 8, v9
; %bb.5893:                             ;   in Loop: Header=BB468_3103 Depth=1
	v_clz_i32_u32_e32 v6, v12
	s_delay_alu instid0(VALU_DEP_1) | instskip(NEXT) | instid1(VALU_DEP_1)
	v_min_u32_e32 v9, 32, v6
	v_subrev_nc_u32_e32 v6, 28, v9
	s_delay_alu instid0(VALU_DEP_1) | instskip(SKIP_1) | instid1(VALU_DEP_2)
	v_lshlrev_b64 v[6:7], v6, v[12:13]
	v_sub_nc_u32_e32 v7, 29, v9
	v_and_b32_e32 v6, 7, v6
; %bb.5894:                             ;   in Loop: Header=BB468_3103 Depth=1
	s_or_b32 exec_lo, exec_lo, s25
	v_lshlrev_b32_e32 v8, 24, v8
	s_delay_alu instid0(VALU_DEP_2) | instskip(SKIP_1) | instid1(VALU_DEP_3)
	v_lshlrev_b32_e32 v6, 20, v6
	v_lshl_add_u32 v7, v7, 23, 0x3c000000
	v_and_b32_e32 v8, 0x80000000, v8
	s_delay_alu instid0(VALU_DEP_1)
	v_or3_b32 v6, v6, v8, v7
.LBB468_5895:                           ;   in Loop: Header=BB468_3103 Depth=1
	s_or_b32 exec_lo, exec_lo, s24
.LBB468_5896:                           ;   in Loop: Header=BB468_3103 Depth=1
	s_delay_alu instid0(SALU_CYCLE_1)
	s_or_b32 exec_lo, exec_lo, s23
.LBB468_5897:                           ;   in Loop: Header=BB468_3103 Depth=1
	s_delay_alu instid0(SALU_CYCLE_1) | instskip(NEXT) | instid1(VALU_DEP_1)
	s_or_b32 exec_lo, exec_lo, s22
	v_mul_f32_e32 v6, v26, v6
                                        ; implicit-def: $vgpr18
	s_delay_alu instid0(VALU_DEP_1) | instskip(NEXT) | instid1(VALU_DEP_1)
	v_and_b32_e32 v7, 0x7f800000, v6
	v_cmp_ne_u32_e64 s9, 0x7f800000, v7
	s_delay_alu instid0(VALU_DEP_1) | instskip(NEXT) | instid1(SALU_CYCLE_1)
	s_and_saveexec_b32 s22, s9
	s_xor_b32 s9, exec_lo, s22
; %bb.5898:                             ;   in Loop: Header=BB468_3103 Depth=1
	v_bfe_u32 v7, v6, 16, 1
	s_delay_alu instid0(VALU_DEP_1)
	v_add3_u32 v18, v6, v7, 0x7fff
                                        ; implicit-def: $vgpr6
; %bb.5899:                             ;   in Loop: Header=BB468_3103 Depth=1
	s_and_not1_saveexec_b32 s22, s9
; %bb.5900:                             ;   in Loop: Header=BB468_3103 Depth=1
	v_and_b32_e32 v7, 0xffff, v6
	v_or_b32_e32 v8, 0x10000, v6
	s_delay_alu instid0(VALU_DEP_2) | instskip(NEXT) | instid1(VALU_DEP_1)
	v_cmp_eq_u32_e64 s9, 0, v7
	v_cndmask_b32_e64 v18, v8, v6, s9
; %bb.5901:                             ;   in Loop: Header=BB468_3103 Depth=1
	s_or_b32 exec_lo, exec_lo, s22
	v_mov_b32_e32 v6, 0
	s_mov_b32 s22, exec_lo
	v_cmpx_lt_u32_e32 0xffffff, v2
	s_cbranch_execz .LBB468_5909
; %bb.5902:                             ;   in Loop: Header=BB468_3103 Depth=1
	v_lshrrev_b32_e32 v8, 24, v2
	v_bfrev_b32_e32 v6, 1
	s_mov_b32 s23, exec_lo
	s_delay_alu instid0(VALU_DEP_2)
	v_cmpx_ne_u32_e32 0x80, v8
	s_cbranch_execz .LBB468_5908
; %bb.5903:                             ;   in Loop: Header=BB468_3103 Depth=1
	v_bfe_u32 v9, v2, 24, 7
	v_mov_b32_e32 v6, 0x7f800001
	s_mov_b32 s24, exec_lo
	s_delay_alu instid0(VALU_DEP_2)
	v_cmpx_ne_u32_e32 0x7f, v9
	s_cbranch_execz .LBB468_5907
; %bb.5904:                             ;   in Loop: Header=BB468_3103 Depth=1
	v_and_b32_e32 v12, 7, v8
	s_mov_b32 s25, exec_lo
	s_delay_alu instid0(VALU_DEP_1)
	v_dual_mov_b32 v6, v12 :: v_dual_mov_b32 v7, v13
	v_lshrrev_b32_e32 v7, 3, v9
	v_cmpx_gt_u32_e32 8, v9
; %bb.5905:                             ;   in Loop: Header=BB468_3103 Depth=1
	v_clz_i32_u32_e32 v6, v12
	s_delay_alu instid0(VALU_DEP_1) | instskip(NEXT) | instid1(VALU_DEP_1)
	v_min_u32_e32 v9, 32, v6
	v_subrev_nc_u32_e32 v6, 28, v9
	s_delay_alu instid0(VALU_DEP_1) | instskip(SKIP_1) | instid1(VALU_DEP_2)
	v_lshlrev_b64 v[6:7], v6, v[12:13]
	v_sub_nc_u32_e32 v7, 29, v9
	v_and_b32_e32 v6, 7, v6
; %bb.5906:                             ;   in Loop: Header=BB468_3103 Depth=1
	s_or_b32 exec_lo, exec_lo, s25
	v_lshlrev_b32_e32 v8, 24, v8
	s_delay_alu instid0(VALU_DEP_2) | instskip(SKIP_1) | instid1(VALU_DEP_3)
	v_lshlrev_b32_e32 v6, 20, v6
	v_lshl_add_u32 v7, v7, 23, 0x3c000000
	v_and_b32_e32 v8, 0x80000000, v8
	s_delay_alu instid0(VALU_DEP_1)
	v_or3_b32 v6, v6, v8, v7
.LBB468_5907:                           ;   in Loop: Header=BB468_3103 Depth=1
	s_or_b32 exec_lo, exec_lo, s24
.LBB468_5908:                           ;   in Loop: Header=BB468_3103 Depth=1
	s_delay_alu instid0(SALU_CYCLE_1)
	s_or_b32 exec_lo, exec_lo, s23
.LBB468_5909:                           ;   in Loop: Header=BB468_3103 Depth=1
	s_delay_alu instid0(SALU_CYCLE_1) | instskip(NEXT) | instid1(VALU_DEP_1)
	s_or_b32 exec_lo, exec_lo, s22
	v_mul_f32_e32 v6, v26, v6
                                        ; implicit-def: $vgpr34
	s_delay_alu instid0(VALU_DEP_1) | instskip(NEXT) | instid1(VALU_DEP_1)
	v_and_b32_e32 v7, 0x7f800000, v6
	v_cmp_ne_u32_e64 s9, 0x7f800000, v7
	s_delay_alu instid0(VALU_DEP_1) | instskip(NEXT) | instid1(SALU_CYCLE_1)
	s_and_saveexec_b32 s22, s9
	s_xor_b32 s9, exec_lo, s22
; %bb.5910:                             ;   in Loop: Header=BB468_3103 Depth=1
	v_bfe_u32 v7, v6, 16, 1
	s_delay_alu instid0(VALU_DEP_1)
	v_add3_u32 v34, v6, v7, 0x7fff
                                        ; implicit-def: $vgpr6
; %bb.5911:                             ;   in Loop: Header=BB468_3103 Depth=1
	s_and_not1_saveexec_b32 s22, s9
; %bb.5912:                             ;   in Loop: Header=BB468_3103 Depth=1
	v_and_b32_e32 v7, 0xffff, v6
	v_or_b32_e32 v8, 0x10000, v6
	s_delay_alu instid0(VALU_DEP_2) | instskip(NEXT) | instid1(VALU_DEP_1)
	v_cmp_eq_u32_e64 s9, 0, v7
	v_cndmask_b32_e64 v34, v8, v6, s9
; %bb.5913:                             ;   in Loop: Header=BB468_3103 Depth=1
	s_or_b32 exec_lo, exec_lo, s22
	v_dual_mov_b32 v12, v3 :: v_dual_and_b32 v7, 0xff, v3
	v_mov_b32_e32 v6, 0
	s_mov_b32 s22, exec_lo
	s_delay_alu instid0(VALU_DEP_2)
	v_cmpx_ne_u16_e32 0, v7
	s_cbranch_execz .LBB468_5921
; %bb.5914:                             ;   in Loop: Header=BB468_3103 Depth=1
	v_bfrev_b32_e32 v6, 1
	s_mov_b32 s23, exec_lo
	v_cmpx_ne_u16_e32 0x80, v7
	s_cbranch_execz .LBB468_5920
; %bb.5915:                             ;   in Loop: Header=BB468_3103 Depth=1
	v_and_b32_e32 v8, 0x7f, v3
	v_mov_b32_e32 v6, 0x7f800001
	s_mov_b32 s24, exec_lo
	s_delay_alu instid0(VALU_DEP_2)
	v_cmpx_ne_u32_e32 0x7f, v8
	s_cbranch_execz .LBB468_5919
; %bb.5916:                             ;   in Loop: Header=BB468_3103 Depth=1
	v_dual_mov_b32 v6, v12 :: v_dual_mov_b32 v7, v13
	v_lshrrev_b32_e32 v7, 3, v8
	s_mov_b32 s25, exec_lo
	v_cmpx_gt_u32_e32 8, v8
; %bb.5917:                             ;   in Loop: Header=BB468_3103 Depth=1
	v_and_b32_e32 v6, 7, v3
	s_delay_alu instid0(VALU_DEP_1) | instskip(NEXT) | instid1(VALU_DEP_1)
	v_clz_i32_u32_e32 v6, v6
	v_min_u32_e32 v8, 32, v6
	s_delay_alu instid0(VALU_DEP_1) | instskip(NEXT) | instid1(VALU_DEP_1)
	v_subrev_nc_u32_e32 v6, 28, v8
	v_lshlrev_b64 v[6:7], v6, v[12:13]
	v_sub_nc_u32_e32 v7, 29, v8
; %bb.5918:                             ;   in Loop: Header=BB468_3103 Depth=1
	s_or_b32 exec_lo, exec_lo, s25
	s_delay_alu instid0(VALU_DEP_2) | instskip(SKIP_1) | instid1(VALU_DEP_3)
	v_lshlrev_b32_e32 v6, 20, v6
	v_lshlrev_b32_e32 v8, 24, v12
	v_lshl_add_u32 v7, v7, 23, 0x3c000000
	s_delay_alu instid0(VALU_DEP_3) | instskip(NEXT) | instid1(VALU_DEP_3)
	v_and_b32_e32 v6, 0x700000, v6
	v_and_b32_e32 v8, 0x80000000, v8
	s_delay_alu instid0(VALU_DEP_1)
	v_or3_b32 v6, v6, v8, v7
.LBB468_5919:                           ;   in Loop: Header=BB468_3103 Depth=1
	s_or_b32 exec_lo, exec_lo, s24
.LBB468_5920:                           ;   in Loop: Header=BB468_3103 Depth=1
	s_delay_alu instid0(SALU_CYCLE_1)
	s_or_b32 exec_lo, exec_lo, s23
.LBB468_5921:                           ;   in Loop: Header=BB468_3103 Depth=1
	s_delay_alu instid0(SALU_CYCLE_1) | instskip(NEXT) | instid1(VALU_DEP_1)
	s_or_b32 exec_lo, exec_lo, s22
	v_mul_f32_e32 v6, v26, v6
                                        ; implicit-def: $vgpr8
	s_delay_alu instid0(VALU_DEP_1) | instskip(NEXT) | instid1(VALU_DEP_1)
	v_and_b32_e32 v7, 0x7f800000, v6
	v_cmp_ne_u32_e64 s9, 0x7f800000, v7
	s_delay_alu instid0(VALU_DEP_1) | instskip(NEXT) | instid1(SALU_CYCLE_1)
	s_and_saveexec_b32 s22, s9
	s_xor_b32 s9, exec_lo, s22
; %bb.5922:                             ;   in Loop: Header=BB468_3103 Depth=1
	v_bfe_u32 v7, v6, 16, 1
	s_delay_alu instid0(VALU_DEP_1)
	v_add3_u32 v8, v6, v7, 0x7fff
                                        ; implicit-def: $vgpr6
; %bb.5923:                             ;   in Loop: Header=BB468_3103 Depth=1
	s_and_not1_saveexec_b32 s22, s9
; %bb.5924:                             ;   in Loop: Header=BB468_3103 Depth=1
	v_and_b32_e32 v7, 0xffff, v6
	v_or_b32_e32 v8, 0x10000, v6
	s_delay_alu instid0(VALU_DEP_2) | instskip(NEXT) | instid1(VALU_DEP_1)
	v_cmp_eq_u32_e64 s9, 0, v7
	v_cndmask_b32_e64 v8, v8, v6, s9
; %bb.5925:                             ;   in Loop: Header=BB468_3103 Depth=1
	s_or_b32 exec_lo, exec_lo, s22
	v_lshrrev_b16 v7, 8, v12
	v_mov_b32_e32 v6, 0
	s_mov_b32 s22, exec_lo
	s_delay_alu instid0(VALU_DEP_2)
	v_cmpx_ne_u16_e32 0, v7
	s_cbranch_execz .LBB468_5933
; %bb.5926:                             ;   in Loop: Header=BB468_3103 Depth=1
	v_bfrev_b32_e32 v6, 1
	s_mov_b32 s23, exec_lo
	v_cmpx_ne_u16_e32 0x80, v7
	s_cbranch_execz .LBB468_5932
; %bb.5927:                             ;   in Loop: Header=BB468_3103 Depth=1
	v_and_b32_e32 v7, 0xffff, v7
	v_mov_b32_e32 v6, 0x7f800001
	s_mov_b32 s24, exec_lo
	s_delay_alu instid0(VALU_DEP_2) | instskip(NEXT) | instid1(VALU_DEP_1)
	v_and_b32_e32 v35, 0x7f, v7
	v_cmpx_ne_u32_e32 0x7f, v35
	s_cbranch_execz .LBB468_5931
; %bb.5928:                             ;   in Loop: Header=BB468_3103 Depth=1
	v_dual_mov_b32 v7, v13 :: v_dual_and_b32 v6, 7, v7
	v_lshrrev_b32_e32 v9, 3, v35
	s_mov_b32 s25, exec_lo
	v_cmpx_gt_u32_e32 8, v35
; %bb.5929:                             ;   in Loop: Header=BB468_3103 Depth=1
	s_delay_alu instid0(VALU_DEP_3) | instskip(NEXT) | instid1(VALU_DEP_1)
	v_clz_i32_u32_e32 v9, v6
	v_min_u32_e32 v9, 32, v9
	s_delay_alu instid0(VALU_DEP_1) | instskip(SKIP_1) | instid1(VALU_DEP_2)
	v_subrev_nc_u32_e32 v35, 28, v9
	v_sub_nc_u32_e32 v9, 29, v9
	v_lshlrev_b64 v[6:7], v35, v[6:7]
	s_delay_alu instid0(VALU_DEP_1)
	v_and_b32_e32 v6, 7, v6
; %bb.5930:                             ;   in Loop: Header=BB468_3103 Depth=1
	s_or_b32 exec_lo, exec_lo, s25
	v_lshlrev_b32_e32 v7, 16, v12
	s_delay_alu instid0(VALU_DEP_2) | instskip(SKIP_1) | instid1(VALU_DEP_3)
	v_lshlrev_b32_e32 v6, 20, v6
	v_lshl_add_u32 v9, v9, 23, 0x3c000000
	v_and_b32_e32 v7, 0x80000000, v7
	s_delay_alu instid0(VALU_DEP_1)
	v_or3_b32 v6, v6, v7, v9
.LBB468_5931:                           ;   in Loop: Header=BB468_3103 Depth=1
	s_or_b32 exec_lo, exec_lo, s24
.LBB468_5932:                           ;   in Loop: Header=BB468_3103 Depth=1
	s_delay_alu instid0(SALU_CYCLE_1)
	s_or_b32 exec_lo, exec_lo, s23
.LBB468_5933:                           ;   in Loop: Header=BB468_3103 Depth=1
	s_delay_alu instid0(SALU_CYCLE_1) | instskip(NEXT) | instid1(VALU_DEP_1)
	s_or_b32 exec_lo, exec_lo, s22
	v_mul_f32_e32 v6, v26, v6
                                        ; implicit-def: $vgpr9
	s_delay_alu instid0(VALU_DEP_1) | instskip(NEXT) | instid1(VALU_DEP_1)
	v_and_b32_e32 v7, 0x7f800000, v6
	v_cmp_ne_u32_e64 s9, 0x7f800000, v7
	s_delay_alu instid0(VALU_DEP_1) | instskip(NEXT) | instid1(SALU_CYCLE_1)
	s_and_saveexec_b32 s22, s9
	s_xor_b32 s9, exec_lo, s22
; %bb.5934:                             ;   in Loop: Header=BB468_3103 Depth=1
	v_bfe_u32 v7, v6, 16, 1
	s_delay_alu instid0(VALU_DEP_1)
	v_add3_u32 v9, v6, v7, 0x7fff
                                        ; implicit-def: $vgpr6
; %bb.5935:                             ;   in Loop: Header=BB468_3103 Depth=1
	s_and_not1_saveexec_b32 s22, s9
; %bb.5936:                             ;   in Loop: Header=BB468_3103 Depth=1
	v_and_b32_e32 v7, 0xffff, v6
	v_or_b32_e32 v9, 0x10000, v6
	s_delay_alu instid0(VALU_DEP_2) | instskip(NEXT) | instid1(VALU_DEP_1)
	v_cmp_eq_u32_e64 s9, 0, v7
	v_cndmask_b32_e64 v9, v9, v6, s9
; %bb.5937:                             ;   in Loop: Header=BB468_3103 Depth=1
	s_or_b32 exec_lo, exec_lo, s22
	v_lshrrev_b32_e32 v35, 16, v3
	s_mov_b32 s22, exec_lo
	s_delay_alu instid0(VALU_DEP_1) | instskip(NEXT) | instid1(VALU_DEP_1)
	v_dual_mov_b32 v6, 0 :: v_dual_and_b32 v7, 0xff, v35
	v_cmpx_ne_u16_e32 0, v7
	s_cbranch_execz .LBB468_5945
; %bb.5938:                             ;   in Loop: Header=BB468_3103 Depth=1
	v_bfrev_b32_e32 v6, 1
	s_mov_b32 s23, exec_lo
	v_cmpx_ne_u16_e32 0x80, v7
	s_cbranch_execz .LBB468_5944
; %bb.5939:                             ;   in Loop: Header=BB468_3103 Depth=1
	v_bfe_u32 v36, v3, 16, 7
	v_mov_b32_e32 v6, 0x7f800001
	s_mov_b32 s24, exec_lo
	s_delay_alu instid0(VALU_DEP_2)
	v_cmpx_ne_u32_e32 0x7f, v36
	s_cbranch_execz .LBB468_5943
; %bb.5940:                             ;   in Loop: Header=BB468_3103 Depth=1
	v_and_b32_e32 v12, 7, v35
	s_mov_b32 s25, exec_lo
	s_delay_alu instid0(VALU_DEP_1)
	v_dual_mov_b32 v6, v12 :: v_dual_mov_b32 v7, v13
	v_lshrrev_b32_e32 v7, 3, v36
	v_cmpx_gt_u32_e32 8, v36
; %bb.5941:                             ;   in Loop: Header=BB468_3103 Depth=1
	v_clz_i32_u32_e32 v6, v12
	s_delay_alu instid0(VALU_DEP_1) | instskip(NEXT) | instid1(VALU_DEP_1)
	v_min_u32_e32 v36, 32, v6
	v_subrev_nc_u32_e32 v6, 28, v36
	s_delay_alu instid0(VALU_DEP_1) | instskip(SKIP_1) | instid1(VALU_DEP_2)
	v_lshlrev_b64 v[6:7], v6, v[12:13]
	v_sub_nc_u32_e32 v7, 29, v36
	v_and_b32_e32 v6, 7, v6
; %bb.5942:                             ;   in Loop: Header=BB468_3103 Depth=1
	s_or_b32 exec_lo, exec_lo, s25
	v_lshlrev_b32_e32 v12, 24, v35
	s_delay_alu instid0(VALU_DEP_2) | instskip(SKIP_1) | instid1(VALU_DEP_3)
	v_lshlrev_b32_e32 v6, 20, v6
	v_lshl_add_u32 v7, v7, 23, 0x3c000000
	v_and_b32_e32 v12, 0x80000000, v12
	s_delay_alu instid0(VALU_DEP_1)
	v_or3_b32 v6, v6, v12, v7
.LBB468_5943:                           ;   in Loop: Header=BB468_3103 Depth=1
	s_or_b32 exec_lo, exec_lo, s24
.LBB468_5944:                           ;   in Loop: Header=BB468_3103 Depth=1
	s_delay_alu instid0(SALU_CYCLE_1)
	s_or_b32 exec_lo, exec_lo, s23
.LBB468_5945:                           ;   in Loop: Header=BB468_3103 Depth=1
	s_delay_alu instid0(SALU_CYCLE_1) | instskip(NEXT) | instid1(VALU_DEP_1)
	s_or_b32 exec_lo, exec_lo, s22
	v_mul_f32_e32 v6, v26, v6
                                        ; implicit-def: $vgpr35
	s_delay_alu instid0(VALU_DEP_1) | instskip(NEXT) | instid1(VALU_DEP_1)
	v_and_b32_e32 v7, 0x7f800000, v6
	v_cmp_ne_u32_e64 s9, 0x7f800000, v7
	s_delay_alu instid0(VALU_DEP_1) | instskip(NEXT) | instid1(SALU_CYCLE_1)
	s_and_saveexec_b32 s22, s9
	s_xor_b32 s9, exec_lo, s22
; %bb.5946:                             ;   in Loop: Header=BB468_3103 Depth=1
	v_bfe_u32 v7, v6, 16, 1
	s_delay_alu instid0(VALU_DEP_1)
	v_add3_u32 v35, v6, v7, 0x7fff
                                        ; implicit-def: $vgpr6
; %bb.5947:                             ;   in Loop: Header=BB468_3103 Depth=1
	s_and_not1_saveexec_b32 s22, s9
; %bb.5948:                             ;   in Loop: Header=BB468_3103 Depth=1
	v_and_b32_e32 v7, 0xffff, v6
	v_or_b32_e32 v12, 0x10000, v6
	s_delay_alu instid0(VALU_DEP_2) | instskip(NEXT) | instid1(VALU_DEP_1)
	v_cmp_eq_u32_e64 s9, 0, v7
	v_cndmask_b32_e64 v35, v12, v6, s9
; %bb.5949:                             ;   in Loop: Header=BB468_3103 Depth=1
	s_or_b32 exec_lo, exec_lo, s22
	v_cmp_lt_u64_e64 s9, s[12:13], v[2:3]
	v_mov_b32_e32 v2, 0
	s_delay_alu instid0(VALU_DEP_2)
	s_and_saveexec_b32 s22, s9
	s_cbranch_execz .LBB468_5957
; %bb.5950:                             ;   in Loop: Header=BB468_3103 Depth=1
	v_lshrrev_b32_e32 v6, 24, v3
	v_bfrev_b32_e32 v2, 1
	s_mov_b32 s23, exec_lo
	s_delay_alu instid0(VALU_DEP_2)
	v_cmpx_ne_u32_e32 0x80, v6
	s_cbranch_execz .LBB468_5956
; %bb.5951:                             ;   in Loop: Header=BB468_3103 Depth=1
	v_bfe_u32 v7, v3, 24, 7
	v_mov_b32_e32 v2, 0x7f800001
	s_mov_b32 s24, exec_lo
	s_delay_alu instid0(VALU_DEP_2)
	v_cmpx_ne_u32_e32 0x7f, v7
	s_cbranch_execz .LBB468_5955
; %bb.5952:                             ;   in Loop: Header=BB468_3103 Depth=1
	v_and_b32_e32 v12, 7, v6
	s_mov_b32 s25, exec_lo
	s_delay_alu instid0(VALU_DEP_1)
	v_dual_mov_b32 v2, v12 :: v_dual_mov_b32 v3, v13
	v_lshrrev_b32_e32 v3, 3, v7
	v_cmpx_gt_u32_e32 8, v7
; %bb.5953:                             ;   in Loop: Header=BB468_3103 Depth=1
	v_clz_i32_u32_e32 v2, v12
	s_delay_alu instid0(VALU_DEP_1) | instskip(NEXT) | instid1(VALU_DEP_1)
	v_min_u32_e32 v7, 32, v2
	v_subrev_nc_u32_e32 v2, 28, v7
	s_delay_alu instid0(VALU_DEP_1) | instskip(SKIP_1) | instid1(VALU_DEP_2)
	v_lshlrev_b64 v[2:3], v2, v[12:13]
	v_sub_nc_u32_e32 v3, 29, v7
	v_and_b32_e32 v2, 7, v2
; %bb.5954:                             ;   in Loop: Header=BB468_3103 Depth=1
	s_or_b32 exec_lo, exec_lo, s25
	v_lshlrev_b32_e32 v6, 24, v6
	s_delay_alu instid0(VALU_DEP_2) | instskip(SKIP_1) | instid1(VALU_DEP_3)
	v_lshlrev_b32_e32 v2, 20, v2
	v_lshl_add_u32 v3, v3, 23, 0x3c000000
	v_and_b32_e32 v6, 0x80000000, v6
	s_delay_alu instid0(VALU_DEP_1)
	v_or3_b32 v2, v2, v6, v3
.LBB468_5955:                           ;   in Loop: Header=BB468_3103 Depth=1
	s_or_b32 exec_lo, exec_lo, s24
.LBB468_5956:                           ;   in Loop: Header=BB468_3103 Depth=1
	s_delay_alu instid0(SALU_CYCLE_1)
	s_or_b32 exec_lo, exec_lo, s23
.LBB468_5957:                           ;   in Loop: Header=BB468_3103 Depth=1
	s_delay_alu instid0(SALU_CYCLE_1) | instskip(NEXT) | instid1(VALU_DEP_1)
	s_or_b32 exec_lo, exec_lo, s22
	v_mul_f32_e32 v3, v26, v2
	s_delay_alu instid0(VALU_DEP_1) | instskip(NEXT) | instid1(VALU_DEP_1)
	v_and_b32_e32 v2, 0x7f800000, v3
	v_cmp_ne_u32_e64 s9, 0x7f800000, v2
                                        ; implicit-def: $vgpr2
	s_delay_alu instid0(VALU_DEP_1) | instskip(NEXT) | instid1(SALU_CYCLE_1)
	s_and_saveexec_b32 s22, s9
	s_xor_b32 s9, exec_lo, s22
; %bb.5958:                             ;   in Loop: Header=BB468_3103 Depth=1
	v_bfe_u32 v2, v3, 16, 1
	s_delay_alu instid0(VALU_DEP_1)
	v_add3_u32 v2, v3, v2, 0x7fff
                                        ; implicit-def: $vgpr3
; %bb.5959:                             ;   in Loop: Header=BB468_3103 Depth=1
	s_and_not1_saveexec_b32 s22, s9
; %bb.5960:                             ;   in Loop: Header=BB468_3103 Depth=1
	v_and_b32_e32 v2, 0xffff, v3
	v_or_b32_e32 v6, 0x10000, v3
	s_delay_alu instid0(VALU_DEP_2) | instskip(NEXT) | instid1(VALU_DEP_1)
	v_cmp_eq_u32_e64 s9, 0, v2
	v_cndmask_b32_e64 v2, v6, v3, s9
; %bb.5961:                             ;   in Loop: Header=BB468_3103 Depth=1
	s_or_b32 exec_lo, exec_lo, s22
	v_lshrrev_b32_e32 v6, 16, v9
	v_lshrrev_b32_e32 v7, 16, v8
	;; [unrolled: 1-line block ×8, first 2 shown]
	s_and_saveexec_b32 s9, s3
; %bb.5962:                             ;   in Loop: Header=BB468_3103 Depth=1
	s_delay_alu instid0(VALU_DEP_3)
	v_cndmask_b32_e32 v4, 0, v4, vcc_lo
	v_cndmask_b32_e64 v5, 0, v5, s1
	v_cndmask_b32_e64 v9, 0, v9, s2
	;; [unrolled: 1-line block ×7, first 2 shown]
; %bb.5963:                             ;   in Loop: Header=BB468_3103 Depth=1
	s_or_b32 exec_lo, exec_lo, s9
	v_lshlrev_b32_e32 v4, 16, v4
                                        ; implicit-def: $vgpr46
	s_delay_alu instid0(VALU_DEP_1) | instskip(NEXT) | instid1(VALU_DEP_1)
	v_mul_f32_e32 v4, v151, v4
	v_and_b32_e32 v12, 0x7f800000, v4
	s_delay_alu instid0(VALU_DEP_1) | instskip(NEXT) | instid1(VALU_DEP_1)
	v_cmp_ne_u32_e64 s9, 0x7f800000, v12
	s_and_saveexec_b32 s22, s9
	s_delay_alu instid0(SALU_CYCLE_1)
	s_xor_b32 s9, exec_lo, s22
; %bb.5964:                             ;   in Loop: Header=BB468_3103 Depth=1
	v_bfe_u32 v12, v4, 16, 1
	s_delay_alu instid0(VALU_DEP_1)
	v_add3_u32 v46, v4, v12, 0x7fff
                                        ; implicit-def: $vgpr4
; %bb.5965:                             ;   in Loop: Header=BB468_3103 Depth=1
	s_and_not1_saveexec_b32 s22, s9
; %bb.5966:                             ;   in Loop: Header=BB468_3103 Depth=1
	v_and_b32_e32 v12, 0xffff, v4
	v_or_b32_e32 v18, 0x10000, v4
	s_delay_alu instid0(VALU_DEP_2) | instskip(NEXT) | instid1(VALU_DEP_1)
	v_cmp_eq_u32_e64 s9, 0, v12
	v_cndmask_b32_e64 v46, v18, v4, s9
; %bb.5967:                             ;   in Loop: Header=BB468_3103 Depth=1
	s_or_b32 exec_lo, exec_lo, s22
	v_lshlrev_b32_e32 v4, 16, v5
                                        ; implicit-def: $vgpr47
	s_delay_alu instid0(VALU_DEP_1) | instskip(NEXT) | instid1(VALU_DEP_1)
	v_mul_f32_e32 v4, v160, v4
	v_and_b32_e32 v5, 0x7f800000, v4
	s_delay_alu instid0(VALU_DEP_1) | instskip(NEXT) | instid1(VALU_DEP_1)
	v_cmp_ne_u32_e64 s9, 0x7f800000, v5
	s_and_saveexec_b32 s22, s9
	s_delay_alu instid0(SALU_CYCLE_1)
	s_xor_b32 s9, exec_lo, s22
; %bb.5968:                             ;   in Loop: Header=BB468_3103 Depth=1
	v_bfe_u32 v5, v4, 16, 1
	s_delay_alu instid0(VALU_DEP_1)
	v_add3_u32 v47, v4, v5, 0x7fff
                                        ; implicit-def: $vgpr4
; %bb.5969:                             ;   in Loop: Header=BB468_3103 Depth=1
	s_and_not1_saveexec_b32 s22, s9
; %bb.5970:                             ;   in Loop: Header=BB468_3103 Depth=1
	v_and_b32_e32 v5, 0xffff, v4
	v_or_b32_e32 v12, 0x10000, v4
	s_delay_alu instid0(VALU_DEP_2) | instskip(NEXT) | instid1(VALU_DEP_1)
	v_cmp_eq_u32_e64 s9, 0, v5
	v_cndmask_b32_e64 v47, v12, v4, s9
; %bb.5971:                             ;   in Loop: Header=BB468_3103 Depth=1
	s_or_b32 exec_lo, exec_lo, s22
	v_lshlrev_b32_e32 v4, 16, v9
                                        ; implicit-def: $vgpr56
	s_delay_alu instid0(VALU_DEP_1) | instskip(NEXT) | instid1(VALU_DEP_1)
	v_mul_f32_e32 v4, v161, v4
	v_and_b32_e32 v5, 0x7f800000, v4
	s_delay_alu instid0(VALU_DEP_1) | instskip(NEXT) | instid1(VALU_DEP_1)
	v_cmp_ne_u32_e64 s9, 0x7f800000, v5
	s_and_saveexec_b32 s22, s9
	s_delay_alu instid0(SALU_CYCLE_1)
	s_xor_b32 s9, exec_lo, s22
; %bb.5972:                             ;   in Loop: Header=BB468_3103 Depth=1
	v_bfe_u32 v5, v4, 16, 1
	s_delay_alu instid0(VALU_DEP_1)
	v_add3_u32 v56, v4, v5, 0x7fff
                                        ; implicit-def: $vgpr4
; %bb.5973:                             ;   in Loop: Header=BB468_3103 Depth=1
	s_and_not1_saveexec_b32 s22, s9
; %bb.5974:                             ;   in Loop: Header=BB468_3103 Depth=1
	v_and_b32_e32 v5, 0xffff, v4
	v_or_b32_e32 v9, 0x10000, v4
	s_delay_alu instid0(VALU_DEP_2) | instskip(NEXT) | instid1(VALU_DEP_1)
	v_cmp_eq_u32_e64 s9, 0, v5
	v_cndmask_b32_e64 v56, v9, v4, s9
; %bb.5975:                             ;   in Loop: Header=BB468_3103 Depth=1
	s_or_b32 exec_lo, exec_lo, s22
	v_lshlrev_b32_e32 v4, 16, v8
                                        ; implicit-def: $vgpr57
	s_delay_alu instid0(VALU_DEP_1) | instskip(NEXT) | instid1(VALU_DEP_1)
	v_mul_f32_e32 v4, v162, v4
	v_and_b32_e32 v5, 0x7f800000, v4
	s_delay_alu instid0(VALU_DEP_1) | instskip(NEXT) | instid1(VALU_DEP_1)
	v_cmp_ne_u32_e64 s9, 0x7f800000, v5
	s_and_saveexec_b32 s22, s9
	s_delay_alu instid0(SALU_CYCLE_1)
	s_xor_b32 s9, exec_lo, s22
; %bb.5976:                             ;   in Loop: Header=BB468_3103 Depth=1
	v_bfe_u32 v5, v4, 16, 1
	s_delay_alu instid0(VALU_DEP_1)
	v_add3_u32 v57, v4, v5, 0x7fff
                                        ; implicit-def: $vgpr4
; %bb.5977:                             ;   in Loop: Header=BB468_3103 Depth=1
	s_and_not1_saveexec_b32 s22, s9
; %bb.5978:                             ;   in Loop: Header=BB468_3103 Depth=1
	v_and_b32_e32 v5, 0xffff, v4
	v_or_b32_e32 v8, 0x10000, v4
	s_delay_alu instid0(VALU_DEP_2) | instskip(NEXT) | instid1(VALU_DEP_1)
	v_cmp_eq_u32_e64 s9, 0, v5
	v_cndmask_b32_e64 v57, v8, v4, s9
; %bb.5979:                             ;   in Loop: Header=BB468_3103 Depth=1
	s_or_b32 exec_lo, exec_lo, s22
	v_lshlrev_b32_e32 v4, 16, v7
                                        ; implicit-def: $vgpr58
	s_delay_alu instid0(VALU_DEP_1) | instskip(NEXT) | instid1(VALU_DEP_1)
	v_mul_f32_e32 v4, v163, v4
	v_and_b32_e32 v5, 0x7f800000, v4
	s_delay_alu instid0(VALU_DEP_1) | instskip(NEXT) | instid1(VALU_DEP_1)
	v_cmp_ne_u32_e64 s9, 0x7f800000, v5
	s_and_saveexec_b32 s22, s9
	s_delay_alu instid0(SALU_CYCLE_1)
	s_xor_b32 s9, exec_lo, s22
; %bb.5980:                             ;   in Loop: Header=BB468_3103 Depth=1
	v_bfe_u32 v5, v4, 16, 1
	s_delay_alu instid0(VALU_DEP_1)
	v_add3_u32 v58, v4, v5, 0x7fff
                                        ; implicit-def: $vgpr4
; %bb.5981:                             ;   in Loop: Header=BB468_3103 Depth=1
	s_and_not1_saveexec_b32 s22, s9
; %bb.5982:                             ;   in Loop: Header=BB468_3103 Depth=1
	v_and_b32_e32 v5, 0xffff, v4
	v_or_b32_e32 v7, 0x10000, v4
	s_delay_alu instid0(VALU_DEP_2) | instskip(NEXT) | instid1(VALU_DEP_1)
	v_cmp_eq_u32_e64 s9, 0, v5
	v_cndmask_b32_e64 v58, v7, v4, s9
; %bb.5983:                             ;   in Loop: Header=BB468_3103 Depth=1
	s_or_b32 exec_lo, exec_lo, s22
	v_lshlrev_b32_e32 v4, 16, v6
                                        ; implicit-def: $vgpr59
	s_delay_alu instid0(VALU_DEP_1) | instskip(NEXT) | instid1(VALU_DEP_1)
	v_mul_f32_e32 v4, v164, v4
	v_and_b32_e32 v5, 0x7f800000, v4
	s_delay_alu instid0(VALU_DEP_1) | instskip(NEXT) | instid1(VALU_DEP_1)
	v_cmp_ne_u32_e64 s9, 0x7f800000, v5
	s_and_saveexec_b32 s22, s9
	s_delay_alu instid0(SALU_CYCLE_1)
	s_xor_b32 s9, exec_lo, s22
; %bb.5984:                             ;   in Loop: Header=BB468_3103 Depth=1
	v_bfe_u32 v5, v4, 16, 1
	s_delay_alu instid0(VALU_DEP_1)
	v_add3_u32 v59, v4, v5, 0x7fff
                                        ; implicit-def: $vgpr4
; %bb.5985:                             ;   in Loop: Header=BB468_3103 Depth=1
	s_and_not1_saveexec_b32 s22, s9
; %bb.5986:                             ;   in Loop: Header=BB468_3103 Depth=1
	v_and_b32_e32 v5, 0xffff, v4
	v_or_b32_e32 v6, 0x10000, v4
	s_delay_alu instid0(VALU_DEP_2) | instskip(NEXT) | instid1(VALU_DEP_1)
	v_cmp_eq_u32_e64 s9, 0, v5
	v_cndmask_b32_e64 v59, v6, v4, s9
; %bb.5987:                             ;   in Loop: Header=BB468_3103 Depth=1
	s_or_b32 exec_lo, exec_lo, s22
	v_lshlrev_b32_e32 v3, 16, v3
                                        ; implicit-def: $vgpr60
	s_delay_alu instid0(VALU_DEP_1) | instskip(NEXT) | instid1(VALU_DEP_1)
	v_mul_f32_e32 v3, v165, v3
	v_and_b32_e32 v4, 0x7f800000, v3
	s_delay_alu instid0(VALU_DEP_1) | instskip(NEXT) | instid1(VALU_DEP_1)
	v_cmp_ne_u32_e64 s9, 0x7f800000, v4
	s_and_saveexec_b32 s22, s9
	s_delay_alu instid0(SALU_CYCLE_1)
	s_xor_b32 s9, exec_lo, s22
; %bb.5988:                             ;   in Loop: Header=BB468_3103 Depth=1
	v_bfe_u32 v4, v3, 16, 1
	s_delay_alu instid0(VALU_DEP_1)
	v_add3_u32 v60, v3, v4, 0x7fff
                                        ; implicit-def: $vgpr3
; %bb.5989:                             ;   in Loop: Header=BB468_3103 Depth=1
	s_and_not1_saveexec_b32 s22, s9
; %bb.5990:                             ;   in Loop: Header=BB468_3103 Depth=1
	v_and_b32_e32 v4, 0xffff, v3
	v_or_b32_e32 v5, 0x10000, v3
	s_delay_alu instid0(VALU_DEP_2) | instskip(NEXT) | instid1(VALU_DEP_1)
	v_cmp_eq_u32_e64 s9, 0, v4
	v_cndmask_b32_e64 v60, v5, v3, s9
; %bb.5991:                             ;   in Loop: Header=BB468_3103 Depth=1
	s_or_b32 exec_lo, exec_lo, s22
	v_lshlrev_b32_e32 v2, 16, v2
                                        ; implicit-def: $vgpr61
	s_delay_alu instid0(VALU_DEP_1) | instskip(NEXT) | instid1(VALU_DEP_1)
	v_mul_f32_e32 v2, v166, v2
	v_and_b32_e32 v3, 0x7f800000, v2
	s_delay_alu instid0(VALU_DEP_1) | instskip(NEXT) | instid1(VALU_DEP_1)
	v_cmp_ne_u32_e64 s9, 0x7f800000, v3
	s_and_saveexec_b32 s22, s9
	s_delay_alu instid0(SALU_CYCLE_1)
	s_xor_b32 s9, exec_lo, s22
; %bb.5992:                             ;   in Loop: Header=BB468_3103 Depth=1
	v_bfe_u32 v3, v2, 16, 1
	s_delay_alu instid0(VALU_DEP_1)
	v_add3_u32 v61, v2, v3, 0x7fff
                                        ; implicit-def: $vgpr2
; %bb.5993:                             ;   in Loop: Header=BB468_3103 Depth=1
	s_and_not1_saveexec_b32 s22, s9
; %bb.5994:                             ;   in Loop: Header=BB468_3103 Depth=1
	v_and_b32_e32 v3, 0xffff, v2
	v_or_b32_e32 v4, 0x10000, v2
	s_delay_alu instid0(VALU_DEP_2) | instskip(NEXT) | instid1(VALU_DEP_1)
	v_cmp_eq_u32_e64 s9, 0, v3
	v_cndmask_b32_e64 v61, v4, v2, s9
; %bb.5995:                             ;   in Loop: Header=BB468_3103 Depth=1
	s_or_b32 exec_lo, exec_lo, s22
	scratch_load_b32 v2, off, s32 offset:840 ; 4-byte Folded Reload
	s_mov_b32 s22, exec_lo
	v_mov_b32_e32 v4, 0
	s_waitcnt vmcnt(0)
	v_add_co_u32 v2, s9, v0, v2
	s_delay_alu instid0(VALU_DEP_1) | instskip(SKIP_3) | instid1(VALU_DEP_1)
	v_add_co_ci_u32_e64 v3, s9, 0, v1, s9
	flat_load_b64 v[2:3], v[2:3]
	s_waitcnt vmcnt(0) lgkmcnt(0)
	v_and_b32_e32 v5, 0xff, v2
	v_cmpx_ne_u16_e32 0, v5
	s_cbranch_execz .LBB468_6003
; %bb.5996:                             ;   in Loop: Header=BB468_3103 Depth=1
	v_bfrev_b32_e32 v4, 1
	s_mov_b32 s23, exec_lo
	v_cmpx_ne_u16_e32 0x80, v5
	s_cbranch_execz .LBB468_6002
; %bb.5997:                             ;   in Loop: Header=BB468_3103 Depth=1
	v_and_b32_e32 v5, 0x7f, v2
	v_mov_b32_e32 v4, 0x7f800001
	s_mov_b32 s24, exec_lo
	s_delay_alu instid0(VALU_DEP_2)
	v_cmpx_ne_u32_e32 0x7f, v5
	s_cbranch_execz .LBB468_6001
; %bb.5998:                             ;   in Loop: Header=BB468_3103 Depth=1
	v_lshrrev_b32_e32 v4, 3, v5
	v_dual_mov_b32 v7, v3 :: v_dual_mov_b32 v6, v2
	s_mov_b32 s25, exec_lo
	v_cmpx_gt_u32_e32 8, v5
; %bb.5999:                             ;   in Loop: Header=BB468_3103 Depth=1
	v_and_b32_e32 v4, 7, v2
	s_delay_alu instid0(VALU_DEP_1) | instskip(NEXT) | instid1(VALU_DEP_1)
	v_clz_i32_u32_e32 v4, v4
	v_min_u32_e32 v4, 32, v4
	s_delay_alu instid0(VALU_DEP_1) | instskip(SKIP_1) | instid1(VALU_DEP_2)
	v_subrev_nc_u32_e32 v5, 28, v4
	v_sub_nc_u32_e32 v4, 29, v4
	v_lshlrev_b64 v[6:7], v5, v[2:3]
; %bb.6000:                             ;   in Loop: Header=BB468_3103 Depth=1
	s_or_b32 exec_lo, exec_lo, s25
	s_delay_alu instid0(VALU_DEP_1) | instskip(SKIP_2) | instid1(VALU_DEP_3)
	v_lshlrev_b32_e32 v5, 20, v6
	v_lshlrev_b32_e32 v6, 24, v2
	v_lshl_add_u32 v4, v4, 23, 0x3c000000
	v_and_b32_e32 v5, 0x700000, v5
	s_delay_alu instid0(VALU_DEP_3) | instskip(NEXT) | instid1(VALU_DEP_1)
	v_and_b32_e32 v6, 0x80000000, v6
	v_or3_b32 v4, v5, v6, v4
.LBB468_6001:                           ;   in Loop: Header=BB468_3103 Depth=1
	s_or_b32 exec_lo, exec_lo, s24
.LBB468_6002:                           ;   in Loop: Header=BB468_3103 Depth=1
	s_delay_alu instid0(SALU_CYCLE_1)
	s_or_b32 exec_lo, exec_lo, s23
.LBB468_6003:                           ;   in Loop: Header=BB468_3103 Depth=1
	s_delay_alu instid0(SALU_CYCLE_1) | instskip(NEXT) | instid1(VALU_DEP_1)
	s_or_b32 exec_lo, exec_lo, s22
	v_mul_f32_e32 v5, v26, v4
	s_delay_alu instid0(VALU_DEP_1) | instskip(NEXT) | instid1(VALU_DEP_1)
	v_and_b32_e32 v4, 0x7f800000, v5
	v_cmp_ne_u32_e64 s9, 0x7f800000, v4
                                        ; implicit-def: $vgpr4
	s_delay_alu instid0(VALU_DEP_1) | instskip(NEXT) | instid1(SALU_CYCLE_1)
	s_and_saveexec_b32 s22, s9
	s_xor_b32 s9, exec_lo, s22
; %bb.6004:                             ;   in Loop: Header=BB468_3103 Depth=1
	v_bfe_u32 v4, v5, 16, 1
	s_delay_alu instid0(VALU_DEP_1)
	v_add3_u32 v4, v5, v4, 0x7fff
                                        ; implicit-def: $vgpr5
; %bb.6005:                             ;   in Loop: Header=BB468_3103 Depth=1
	s_and_not1_saveexec_b32 s22, s9
; %bb.6006:                             ;   in Loop: Header=BB468_3103 Depth=1
	v_and_b32_e32 v4, 0xffff, v5
	v_or_b32_e32 v6, 0x10000, v5
	s_delay_alu instid0(VALU_DEP_2) | instskip(NEXT) | instid1(VALU_DEP_1)
	v_cmp_eq_u32_e64 s9, 0, v4
	v_cndmask_b32_e64 v4, v6, v5, s9
; %bb.6007:                             ;   in Loop: Header=BB468_3103 Depth=1
	s_or_b32 exec_lo, exec_lo, s22
	v_lshrrev_b16 v6, 8, v2
	v_mov_b32_e32 v5, 0
	s_mov_b32 s22, exec_lo
	s_delay_alu instid0(VALU_DEP_2)
	v_cmpx_ne_u16_e32 0, v6
	s_cbranch_execz .LBB468_6015
; %bb.6008:                             ;   in Loop: Header=BB468_3103 Depth=1
	v_bfrev_b32_e32 v5, 1
	s_mov_b32 s23, exec_lo
	v_cmpx_ne_u16_e32 0x80, v6
	s_cbranch_execz .LBB468_6014
; %bb.6009:                             ;   in Loop: Header=BB468_3103 Depth=1
	v_and_b32_e32 v6, 0xffff, v6
	v_mov_b32_e32 v5, 0x7f800001
	s_mov_b32 s24, exec_lo
	s_delay_alu instid0(VALU_DEP_2) | instskip(NEXT) | instid1(VALU_DEP_1)
	v_and_b32_e32 v8, 0x7f, v6
	v_cmpx_ne_u32_e32 0x7f, v8
	s_cbranch_execz .LBB468_6013
; %bb.6010:                             ;   in Loop: Header=BB468_3103 Depth=1
	v_and_b32_e32 v12, 7, v6
	v_lshrrev_b32_e32 v5, 3, v8
	s_mov_b32 s25, exec_lo
	s_delay_alu instid0(VALU_DEP_2)
	v_dual_mov_b32 v6, v12 :: v_dual_mov_b32 v7, v13
	v_cmpx_gt_u32_e32 8, v8
; %bb.6011:                             ;   in Loop: Header=BB468_3103 Depth=1
	v_clz_i32_u32_e32 v5, v12
	s_delay_alu instid0(VALU_DEP_1) | instskip(NEXT) | instid1(VALU_DEP_1)
	v_min_u32_e32 v5, 32, v5
	v_subrev_nc_u32_e32 v6, 28, v5
	v_sub_nc_u32_e32 v5, 29, v5
	s_delay_alu instid0(VALU_DEP_2) | instskip(NEXT) | instid1(VALU_DEP_1)
	v_lshlrev_b64 v[6:7], v6, v[12:13]
	v_and_b32_e32 v6, 7, v6
; %bb.6012:                             ;   in Loop: Header=BB468_3103 Depth=1
	s_or_b32 exec_lo, exec_lo, s25
	v_lshlrev_b32_e32 v7, 16, v2
	s_delay_alu instid0(VALU_DEP_2) | instskip(SKIP_1) | instid1(VALU_DEP_3)
	v_lshlrev_b32_e32 v6, 20, v6
	v_lshl_add_u32 v5, v5, 23, 0x3c000000
	v_and_b32_e32 v7, 0x80000000, v7
	s_delay_alu instid0(VALU_DEP_1)
	v_or3_b32 v5, v6, v7, v5
.LBB468_6013:                           ;   in Loop: Header=BB468_3103 Depth=1
	s_or_b32 exec_lo, exec_lo, s24
.LBB468_6014:                           ;   in Loop: Header=BB468_3103 Depth=1
	s_delay_alu instid0(SALU_CYCLE_1)
	s_or_b32 exec_lo, exec_lo, s23
.LBB468_6015:                           ;   in Loop: Header=BB468_3103 Depth=1
	s_delay_alu instid0(SALU_CYCLE_1) | instskip(NEXT) | instid1(VALU_DEP_1)
	s_or_b32 exec_lo, exec_lo, s22
	v_mul_f32_e32 v6, v26, v5
	s_delay_alu instid0(VALU_DEP_1) | instskip(NEXT) | instid1(VALU_DEP_1)
	v_and_b32_e32 v5, 0x7f800000, v6
	v_cmp_ne_u32_e64 s9, 0x7f800000, v5
                                        ; implicit-def: $vgpr5
	s_delay_alu instid0(VALU_DEP_1) | instskip(NEXT) | instid1(SALU_CYCLE_1)
	s_and_saveexec_b32 s22, s9
	s_xor_b32 s9, exec_lo, s22
; %bb.6016:                             ;   in Loop: Header=BB468_3103 Depth=1
	v_bfe_u32 v5, v6, 16, 1
	s_delay_alu instid0(VALU_DEP_1)
	v_add3_u32 v5, v6, v5, 0x7fff
                                        ; implicit-def: $vgpr6
; %bb.6017:                             ;   in Loop: Header=BB468_3103 Depth=1
	s_and_not1_saveexec_b32 s22, s9
; %bb.6018:                             ;   in Loop: Header=BB468_3103 Depth=1
	v_and_b32_e32 v5, 0xffff, v6
	v_or_b32_e32 v7, 0x10000, v6
	s_delay_alu instid0(VALU_DEP_2) | instskip(NEXT) | instid1(VALU_DEP_1)
	v_cmp_eq_u32_e64 s9, 0, v5
	v_cndmask_b32_e64 v5, v7, v6, s9
; %bb.6019:                             ;   in Loop: Header=BB468_3103 Depth=1
	s_or_b32 exec_lo, exec_lo, s22
	v_lshrrev_b32_e32 v8, 16, v2
	s_mov_b32 s22, exec_lo
	s_delay_alu instid0(VALU_DEP_1) | instskip(NEXT) | instid1(VALU_DEP_1)
	v_dual_mov_b32 v6, 0 :: v_dual_and_b32 v7, 0xff, v8
	v_cmpx_ne_u16_e32 0, v7
	s_cbranch_execz .LBB468_6027
; %bb.6020:                             ;   in Loop: Header=BB468_3103 Depth=1
	v_bfrev_b32_e32 v6, 1
	s_mov_b32 s23, exec_lo
	v_cmpx_ne_u16_e32 0x80, v7
	s_cbranch_execz .LBB468_6026
; %bb.6021:                             ;   in Loop: Header=BB468_3103 Depth=1
	v_bfe_u32 v9, v2, 16, 7
	v_mov_b32_e32 v6, 0x7f800001
	s_mov_b32 s24, exec_lo
	s_delay_alu instid0(VALU_DEP_2)
	v_cmpx_ne_u32_e32 0x7f, v9
	s_cbranch_execz .LBB468_6025
; %bb.6022:                             ;   in Loop: Header=BB468_3103 Depth=1
	v_and_b32_e32 v12, 7, v8
	s_mov_b32 s25, exec_lo
	s_delay_alu instid0(VALU_DEP_1)
	v_dual_mov_b32 v6, v12 :: v_dual_mov_b32 v7, v13
	v_lshrrev_b32_e32 v7, 3, v9
	v_cmpx_gt_u32_e32 8, v9
; %bb.6023:                             ;   in Loop: Header=BB468_3103 Depth=1
	v_clz_i32_u32_e32 v6, v12
	s_delay_alu instid0(VALU_DEP_1) | instskip(NEXT) | instid1(VALU_DEP_1)
	v_min_u32_e32 v9, 32, v6
	v_subrev_nc_u32_e32 v6, 28, v9
	s_delay_alu instid0(VALU_DEP_1) | instskip(SKIP_1) | instid1(VALU_DEP_2)
	v_lshlrev_b64 v[6:7], v6, v[12:13]
	v_sub_nc_u32_e32 v7, 29, v9
	v_and_b32_e32 v6, 7, v6
; %bb.6024:                             ;   in Loop: Header=BB468_3103 Depth=1
	s_or_b32 exec_lo, exec_lo, s25
	v_lshlrev_b32_e32 v8, 24, v8
	s_delay_alu instid0(VALU_DEP_2) | instskip(SKIP_1) | instid1(VALU_DEP_3)
	v_lshlrev_b32_e32 v6, 20, v6
	v_lshl_add_u32 v7, v7, 23, 0x3c000000
	v_and_b32_e32 v8, 0x80000000, v8
	s_delay_alu instid0(VALU_DEP_1)
	v_or3_b32 v6, v6, v8, v7
.LBB468_6025:                           ;   in Loop: Header=BB468_3103 Depth=1
	s_or_b32 exec_lo, exec_lo, s24
.LBB468_6026:                           ;   in Loop: Header=BB468_3103 Depth=1
	s_delay_alu instid0(SALU_CYCLE_1)
	s_or_b32 exec_lo, exec_lo, s23
.LBB468_6027:                           ;   in Loop: Header=BB468_3103 Depth=1
	s_delay_alu instid0(SALU_CYCLE_1) | instskip(NEXT) | instid1(VALU_DEP_1)
	s_or_b32 exec_lo, exec_lo, s22
	v_mul_f32_e32 v6, v26, v6
                                        ; implicit-def: $vgpr18
	s_delay_alu instid0(VALU_DEP_1) | instskip(NEXT) | instid1(VALU_DEP_1)
	v_and_b32_e32 v7, 0x7f800000, v6
	v_cmp_ne_u32_e64 s9, 0x7f800000, v7
	s_delay_alu instid0(VALU_DEP_1) | instskip(NEXT) | instid1(SALU_CYCLE_1)
	s_and_saveexec_b32 s22, s9
	s_xor_b32 s9, exec_lo, s22
; %bb.6028:                             ;   in Loop: Header=BB468_3103 Depth=1
	v_bfe_u32 v7, v6, 16, 1
	s_delay_alu instid0(VALU_DEP_1)
	v_add3_u32 v18, v6, v7, 0x7fff
                                        ; implicit-def: $vgpr6
; %bb.6029:                             ;   in Loop: Header=BB468_3103 Depth=1
	s_and_not1_saveexec_b32 s22, s9
; %bb.6030:                             ;   in Loop: Header=BB468_3103 Depth=1
	v_and_b32_e32 v7, 0xffff, v6
	v_or_b32_e32 v8, 0x10000, v6
	s_delay_alu instid0(VALU_DEP_2) | instskip(NEXT) | instid1(VALU_DEP_1)
	v_cmp_eq_u32_e64 s9, 0, v7
	v_cndmask_b32_e64 v18, v8, v6, s9
; %bb.6031:                             ;   in Loop: Header=BB468_3103 Depth=1
	s_or_b32 exec_lo, exec_lo, s22
	v_mov_b32_e32 v6, 0
	s_mov_b32 s22, exec_lo
	v_cmpx_lt_u32_e32 0xffffff, v2
	s_cbranch_execz .LBB468_6039
; %bb.6032:                             ;   in Loop: Header=BB468_3103 Depth=1
	v_lshrrev_b32_e32 v8, 24, v2
	v_bfrev_b32_e32 v6, 1
	s_mov_b32 s23, exec_lo
	s_delay_alu instid0(VALU_DEP_2)
	v_cmpx_ne_u32_e32 0x80, v8
	s_cbranch_execz .LBB468_6038
; %bb.6033:                             ;   in Loop: Header=BB468_3103 Depth=1
	v_bfe_u32 v9, v2, 24, 7
	v_mov_b32_e32 v6, 0x7f800001
	s_mov_b32 s24, exec_lo
	s_delay_alu instid0(VALU_DEP_2)
	v_cmpx_ne_u32_e32 0x7f, v9
	s_cbranch_execz .LBB468_6037
; %bb.6034:                             ;   in Loop: Header=BB468_3103 Depth=1
	v_and_b32_e32 v12, 7, v8
	s_mov_b32 s25, exec_lo
	s_delay_alu instid0(VALU_DEP_1)
	v_dual_mov_b32 v6, v12 :: v_dual_mov_b32 v7, v13
	v_lshrrev_b32_e32 v7, 3, v9
	v_cmpx_gt_u32_e32 8, v9
; %bb.6035:                             ;   in Loop: Header=BB468_3103 Depth=1
	v_clz_i32_u32_e32 v6, v12
	s_delay_alu instid0(VALU_DEP_1) | instskip(NEXT) | instid1(VALU_DEP_1)
	v_min_u32_e32 v9, 32, v6
	v_subrev_nc_u32_e32 v6, 28, v9
	s_delay_alu instid0(VALU_DEP_1) | instskip(SKIP_1) | instid1(VALU_DEP_2)
	v_lshlrev_b64 v[6:7], v6, v[12:13]
	v_sub_nc_u32_e32 v7, 29, v9
	v_and_b32_e32 v6, 7, v6
; %bb.6036:                             ;   in Loop: Header=BB468_3103 Depth=1
	s_or_b32 exec_lo, exec_lo, s25
	v_lshlrev_b32_e32 v8, 24, v8
	s_delay_alu instid0(VALU_DEP_2) | instskip(SKIP_1) | instid1(VALU_DEP_3)
	v_lshlrev_b32_e32 v6, 20, v6
	v_lshl_add_u32 v7, v7, 23, 0x3c000000
	v_and_b32_e32 v8, 0x80000000, v8
	s_delay_alu instid0(VALU_DEP_1)
	v_or3_b32 v6, v6, v8, v7
.LBB468_6037:                           ;   in Loop: Header=BB468_3103 Depth=1
	s_or_b32 exec_lo, exec_lo, s24
.LBB468_6038:                           ;   in Loop: Header=BB468_3103 Depth=1
	s_delay_alu instid0(SALU_CYCLE_1)
	s_or_b32 exec_lo, exec_lo, s23
.LBB468_6039:                           ;   in Loop: Header=BB468_3103 Depth=1
	s_delay_alu instid0(SALU_CYCLE_1) | instskip(NEXT) | instid1(VALU_DEP_1)
	s_or_b32 exec_lo, exec_lo, s22
	v_mul_f32_e32 v6, v26, v6
                                        ; implicit-def: $vgpr34
	s_delay_alu instid0(VALU_DEP_1) | instskip(NEXT) | instid1(VALU_DEP_1)
	v_and_b32_e32 v7, 0x7f800000, v6
	v_cmp_ne_u32_e64 s9, 0x7f800000, v7
	s_delay_alu instid0(VALU_DEP_1) | instskip(NEXT) | instid1(SALU_CYCLE_1)
	s_and_saveexec_b32 s22, s9
	s_xor_b32 s9, exec_lo, s22
; %bb.6040:                             ;   in Loop: Header=BB468_3103 Depth=1
	v_bfe_u32 v7, v6, 16, 1
	s_delay_alu instid0(VALU_DEP_1)
	v_add3_u32 v34, v6, v7, 0x7fff
                                        ; implicit-def: $vgpr6
; %bb.6041:                             ;   in Loop: Header=BB468_3103 Depth=1
	s_and_not1_saveexec_b32 s22, s9
; %bb.6042:                             ;   in Loop: Header=BB468_3103 Depth=1
	v_and_b32_e32 v7, 0xffff, v6
	v_or_b32_e32 v8, 0x10000, v6
	s_delay_alu instid0(VALU_DEP_2) | instskip(NEXT) | instid1(VALU_DEP_1)
	v_cmp_eq_u32_e64 s9, 0, v7
	v_cndmask_b32_e64 v34, v8, v6, s9
; %bb.6043:                             ;   in Loop: Header=BB468_3103 Depth=1
	s_or_b32 exec_lo, exec_lo, s22
	v_dual_mov_b32 v12, v3 :: v_dual_and_b32 v7, 0xff, v3
	v_mov_b32_e32 v6, 0
	s_mov_b32 s22, exec_lo
	s_delay_alu instid0(VALU_DEP_2)
	v_cmpx_ne_u16_e32 0, v7
	s_cbranch_execz .LBB468_6051
; %bb.6044:                             ;   in Loop: Header=BB468_3103 Depth=1
	v_bfrev_b32_e32 v6, 1
	s_mov_b32 s23, exec_lo
	v_cmpx_ne_u16_e32 0x80, v7
	s_cbranch_execz .LBB468_6050
; %bb.6045:                             ;   in Loop: Header=BB468_3103 Depth=1
	v_and_b32_e32 v8, 0x7f, v3
	v_mov_b32_e32 v6, 0x7f800001
	s_mov_b32 s24, exec_lo
	s_delay_alu instid0(VALU_DEP_2)
	v_cmpx_ne_u32_e32 0x7f, v8
	s_cbranch_execz .LBB468_6049
; %bb.6046:                             ;   in Loop: Header=BB468_3103 Depth=1
	v_dual_mov_b32 v6, v12 :: v_dual_mov_b32 v7, v13
	v_lshrrev_b32_e32 v7, 3, v8
	s_mov_b32 s25, exec_lo
	v_cmpx_gt_u32_e32 8, v8
; %bb.6047:                             ;   in Loop: Header=BB468_3103 Depth=1
	v_and_b32_e32 v6, 7, v3
	s_delay_alu instid0(VALU_DEP_1) | instskip(NEXT) | instid1(VALU_DEP_1)
	v_clz_i32_u32_e32 v6, v6
	v_min_u32_e32 v8, 32, v6
	s_delay_alu instid0(VALU_DEP_1) | instskip(NEXT) | instid1(VALU_DEP_1)
	v_subrev_nc_u32_e32 v6, 28, v8
	v_lshlrev_b64 v[6:7], v6, v[12:13]
	v_sub_nc_u32_e32 v7, 29, v8
; %bb.6048:                             ;   in Loop: Header=BB468_3103 Depth=1
	s_or_b32 exec_lo, exec_lo, s25
	s_delay_alu instid0(VALU_DEP_2) | instskip(SKIP_1) | instid1(VALU_DEP_3)
	v_lshlrev_b32_e32 v6, 20, v6
	v_lshlrev_b32_e32 v8, 24, v12
	v_lshl_add_u32 v7, v7, 23, 0x3c000000
	s_delay_alu instid0(VALU_DEP_3) | instskip(NEXT) | instid1(VALU_DEP_3)
	v_and_b32_e32 v6, 0x700000, v6
	v_and_b32_e32 v8, 0x80000000, v8
	s_delay_alu instid0(VALU_DEP_1)
	v_or3_b32 v6, v6, v8, v7
.LBB468_6049:                           ;   in Loop: Header=BB468_3103 Depth=1
	s_or_b32 exec_lo, exec_lo, s24
.LBB468_6050:                           ;   in Loop: Header=BB468_3103 Depth=1
	s_delay_alu instid0(SALU_CYCLE_1)
	s_or_b32 exec_lo, exec_lo, s23
.LBB468_6051:                           ;   in Loop: Header=BB468_3103 Depth=1
	s_delay_alu instid0(SALU_CYCLE_1) | instskip(NEXT) | instid1(VALU_DEP_1)
	s_or_b32 exec_lo, exec_lo, s22
	v_mul_f32_e32 v6, v26, v6
                                        ; implicit-def: $vgpr8
	s_delay_alu instid0(VALU_DEP_1) | instskip(NEXT) | instid1(VALU_DEP_1)
	v_and_b32_e32 v7, 0x7f800000, v6
	v_cmp_ne_u32_e64 s9, 0x7f800000, v7
	s_delay_alu instid0(VALU_DEP_1) | instskip(NEXT) | instid1(SALU_CYCLE_1)
	s_and_saveexec_b32 s22, s9
	s_xor_b32 s9, exec_lo, s22
; %bb.6052:                             ;   in Loop: Header=BB468_3103 Depth=1
	v_bfe_u32 v7, v6, 16, 1
	s_delay_alu instid0(VALU_DEP_1)
	v_add3_u32 v8, v6, v7, 0x7fff
                                        ; implicit-def: $vgpr6
; %bb.6053:                             ;   in Loop: Header=BB468_3103 Depth=1
	s_and_not1_saveexec_b32 s22, s9
; %bb.6054:                             ;   in Loop: Header=BB468_3103 Depth=1
	v_and_b32_e32 v7, 0xffff, v6
	v_or_b32_e32 v8, 0x10000, v6
	s_delay_alu instid0(VALU_DEP_2) | instskip(NEXT) | instid1(VALU_DEP_1)
	v_cmp_eq_u32_e64 s9, 0, v7
	v_cndmask_b32_e64 v8, v8, v6, s9
; %bb.6055:                             ;   in Loop: Header=BB468_3103 Depth=1
	s_or_b32 exec_lo, exec_lo, s22
	v_lshrrev_b16 v7, 8, v12
	v_mov_b32_e32 v6, 0
	s_mov_b32 s22, exec_lo
	s_delay_alu instid0(VALU_DEP_2)
	v_cmpx_ne_u16_e32 0, v7
	s_cbranch_execz .LBB468_6063
; %bb.6056:                             ;   in Loop: Header=BB468_3103 Depth=1
	v_bfrev_b32_e32 v6, 1
	s_mov_b32 s23, exec_lo
	v_cmpx_ne_u16_e32 0x80, v7
	s_cbranch_execz .LBB468_6062
; %bb.6057:                             ;   in Loop: Header=BB468_3103 Depth=1
	v_and_b32_e32 v7, 0xffff, v7
	v_mov_b32_e32 v6, 0x7f800001
	s_mov_b32 s24, exec_lo
	s_delay_alu instid0(VALU_DEP_2) | instskip(NEXT) | instid1(VALU_DEP_1)
	v_and_b32_e32 v35, 0x7f, v7
	v_cmpx_ne_u32_e32 0x7f, v35
	s_cbranch_execz .LBB468_6061
; %bb.6058:                             ;   in Loop: Header=BB468_3103 Depth=1
	v_dual_mov_b32 v7, v13 :: v_dual_and_b32 v6, 7, v7
	v_lshrrev_b32_e32 v9, 3, v35
	s_mov_b32 s25, exec_lo
	v_cmpx_gt_u32_e32 8, v35
; %bb.6059:                             ;   in Loop: Header=BB468_3103 Depth=1
	s_delay_alu instid0(VALU_DEP_3) | instskip(NEXT) | instid1(VALU_DEP_1)
	v_clz_i32_u32_e32 v9, v6
	v_min_u32_e32 v9, 32, v9
	s_delay_alu instid0(VALU_DEP_1) | instskip(SKIP_1) | instid1(VALU_DEP_2)
	v_subrev_nc_u32_e32 v35, 28, v9
	v_sub_nc_u32_e32 v9, 29, v9
	v_lshlrev_b64 v[6:7], v35, v[6:7]
	s_delay_alu instid0(VALU_DEP_1)
	v_and_b32_e32 v6, 7, v6
; %bb.6060:                             ;   in Loop: Header=BB468_3103 Depth=1
	s_or_b32 exec_lo, exec_lo, s25
	v_lshlrev_b32_e32 v7, 16, v12
	s_delay_alu instid0(VALU_DEP_2) | instskip(SKIP_1) | instid1(VALU_DEP_3)
	v_lshlrev_b32_e32 v6, 20, v6
	v_lshl_add_u32 v9, v9, 23, 0x3c000000
	v_and_b32_e32 v7, 0x80000000, v7
	s_delay_alu instid0(VALU_DEP_1)
	v_or3_b32 v6, v6, v7, v9
.LBB468_6061:                           ;   in Loop: Header=BB468_3103 Depth=1
	s_or_b32 exec_lo, exec_lo, s24
.LBB468_6062:                           ;   in Loop: Header=BB468_3103 Depth=1
	s_delay_alu instid0(SALU_CYCLE_1)
	s_or_b32 exec_lo, exec_lo, s23
.LBB468_6063:                           ;   in Loop: Header=BB468_3103 Depth=1
	s_delay_alu instid0(SALU_CYCLE_1) | instskip(NEXT) | instid1(VALU_DEP_1)
	s_or_b32 exec_lo, exec_lo, s22
	v_mul_f32_e32 v6, v26, v6
                                        ; implicit-def: $vgpr9
	s_delay_alu instid0(VALU_DEP_1) | instskip(NEXT) | instid1(VALU_DEP_1)
	v_and_b32_e32 v7, 0x7f800000, v6
	v_cmp_ne_u32_e64 s9, 0x7f800000, v7
	s_delay_alu instid0(VALU_DEP_1) | instskip(NEXT) | instid1(SALU_CYCLE_1)
	s_and_saveexec_b32 s22, s9
	s_xor_b32 s9, exec_lo, s22
; %bb.6064:                             ;   in Loop: Header=BB468_3103 Depth=1
	v_bfe_u32 v7, v6, 16, 1
	s_delay_alu instid0(VALU_DEP_1)
	v_add3_u32 v9, v6, v7, 0x7fff
                                        ; implicit-def: $vgpr6
; %bb.6065:                             ;   in Loop: Header=BB468_3103 Depth=1
	s_and_not1_saveexec_b32 s22, s9
; %bb.6066:                             ;   in Loop: Header=BB468_3103 Depth=1
	v_and_b32_e32 v7, 0xffff, v6
	v_or_b32_e32 v9, 0x10000, v6
	s_delay_alu instid0(VALU_DEP_2) | instskip(NEXT) | instid1(VALU_DEP_1)
	v_cmp_eq_u32_e64 s9, 0, v7
	v_cndmask_b32_e64 v9, v9, v6, s9
; %bb.6067:                             ;   in Loop: Header=BB468_3103 Depth=1
	s_or_b32 exec_lo, exec_lo, s22
	v_lshrrev_b32_e32 v35, 16, v3
	s_mov_b32 s22, exec_lo
	s_delay_alu instid0(VALU_DEP_1) | instskip(NEXT) | instid1(VALU_DEP_1)
	v_dual_mov_b32 v6, 0 :: v_dual_and_b32 v7, 0xff, v35
	v_cmpx_ne_u16_e32 0, v7
	s_cbranch_execz .LBB468_6075
; %bb.6068:                             ;   in Loop: Header=BB468_3103 Depth=1
	v_bfrev_b32_e32 v6, 1
	s_mov_b32 s23, exec_lo
	v_cmpx_ne_u16_e32 0x80, v7
	s_cbranch_execz .LBB468_6074
; %bb.6069:                             ;   in Loop: Header=BB468_3103 Depth=1
	v_bfe_u32 v36, v3, 16, 7
	v_mov_b32_e32 v6, 0x7f800001
	s_mov_b32 s24, exec_lo
	s_delay_alu instid0(VALU_DEP_2)
	v_cmpx_ne_u32_e32 0x7f, v36
	s_cbranch_execz .LBB468_6073
; %bb.6070:                             ;   in Loop: Header=BB468_3103 Depth=1
	v_and_b32_e32 v12, 7, v35
	s_mov_b32 s25, exec_lo
	s_delay_alu instid0(VALU_DEP_1)
	v_dual_mov_b32 v6, v12 :: v_dual_mov_b32 v7, v13
	v_lshrrev_b32_e32 v7, 3, v36
	v_cmpx_gt_u32_e32 8, v36
; %bb.6071:                             ;   in Loop: Header=BB468_3103 Depth=1
	v_clz_i32_u32_e32 v6, v12
	s_delay_alu instid0(VALU_DEP_1) | instskip(NEXT) | instid1(VALU_DEP_1)
	v_min_u32_e32 v36, 32, v6
	v_subrev_nc_u32_e32 v6, 28, v36
	s_delay_alu instid0(VALU_DEP_1) | instskip(SKIP_1) | instid1(VALU_DEP_2)
	v_lshlrev_b64 v[6:7], v6, v[12:13]
	v_sub_nc_u32_e32 v7, 29, v36
	v_and_b32_e32 v6, 7, v6
; %bb.6072:                             ;   in Loop: Header=BB468_3103 Depth=1
	s_or_b32 exec_lo, exec_lo, s25
	v_lshlrev_b32_e32 v12, 24, v35
	s_delay_alu instid0(VALU_DEP_2) | instskip(SKIP_1) | instid1(VALU_DEP_3)
	v_lshlrev_b32_e32 v6, 20, v6
	v_lshl_add_u32 v7, v7, 23, 0x3c000000
	v_and_b32_e32 v12, 0x80000000, v12
	s_delay_alu instid0(VALU_DEP_1)
	v_or3_b32 v6, v6, v12, v7
.LBB468_6073:                           ;   in Loop: Header=BB468_3103 Depth=1
	s_or_b32 exec_lo, exec_lo, s24
.LBB468_6074:                           ;   in Loop: Header=BB468_3103 Depth=1
	s_delay_alu instid0(SALU_CYCLE_1)
	s_or_b32 exec_lo, exec_lo, s23
.LBB468_6075:                           ;   in Loop: Header=BB468_3103 Depth=1
	s_delay_alu instid0(SALU_CYCLE_1) | instskip(NEXT) | instid1(VALU_DEP_1)
	s_or_b32 exec_lo, exec_lo, s22
	v_mul_f32_e32 v6, v26, v6
                                        ; implicit-def: $vgpr35
	s_delay_alu instid0(VALU_DEP_1) | instskip(NEXT) | instid1(VALU_DEP_1)
	v_and_b32_e32 v7, 0x7f800000, v6
	v_cmp_ne_u32_e64 s9, 0x7f800000, v7
	s_delay_alu instid0(VALU_DEP_1) | instskip(NEXT) | instid1(SALU_CYCLE_1)
	s_and_saveexec_b32 s22, s9
	s_xor_b32 s9, exec_lo, s22
; %bb.6076:                             ;   in Loop: Header=BB468_3103 Depth=1
	v_bfe_u32 v7, v6, 16, 1
	s_delay_alu instid0(VALU_DEP_1)
	v_add3_u32 v35, v6, v7, 0x7fff
                                        ; implicit-def: $vgpr6
; %bb.6077:                             ;   in Loop: Header=BB468_3103 Depth=1
	s_and_not1_saveexec_b32 s22, s9
; %bb.6078:                             ;   in Loop: Header=BB468_3103 Depth=1
	v_and_b32_e32 v7, 0xffff, v6
	v_or_b32_e32 v12, 0x10000, v6
	s_delay_alu instid0(VALU_DEP_2) | instskip(NEXT) | instid1(VALU_DEP_1)
	v_cmp_eq_u32_e64 s9, 0, v7
	v_cndmask_b32_e64 v35, v12, v6, s9
; %bb.6079:                             ;   in Loop: Header=BB468_3103 Depth=1
	s_or_b32 exec_lo, exec_lo, s22
	v_cmp_lt_u64_e64 s9, s[12:13], v[2:3]
	v_mov_b32_e32 v2, 0
	s_delay_alu instid0(VALU_DEP_2)
	s_and_saveexec_b32 s22, s9
	s_cbranch_execz .LBB468_6087
; %bb.6080:                             ;   in Loop: Header=BB468_3103 Depth=1
	v_lshrrev_b32_e32 v6, 24, v3
	v_bfrev_b32_e32 v2, 1
	s_mov_b32 s23, exec_lo
	s_delay_alu instid0(VALU_DEP_2)
	v_cmpx_ne_u32_e32 0x80, v6
	s_cbranch_execz .LBB468_6086
; %bb.6081:                             ;   in Loop: Header=BB468_3103 Depth=1
	v_bfe_u32 v7, v3, 24, 7
	v_mov_b32_e32 v2, 0x7f800001
	s_mov_b32 s24, exec_lo
	s_delay_alu instid0(VALU_DEP_2)
	v_cmpx_ne_u32_e32 0x7f, v7
	s_cbranch_execz .LBB468_6085
; %bb.6082:                             ;   in Loop: Header=BB468_3103 Depth=1
	v_and_b32_e32 v12, 7, v6
	s_mov_b32 s25, exec_lo
	s_delay_alu instid0(VALU_DEP_1)
	v_dual_mov_b32 v2, v12 :: v_dual_mov_b32 v3, v13
	v_lshrrev_b32_e32 v3, 3, v7
	v_cmpx_gt_u32_e32 8, v7
; %bb.6083:                             ;   in Loop: Header=BB468_3103 Depth=1
	v_clz_i32_u32_e32 v2, v12
	s_delay_alu instid0(VALU_DEP_1) | instskip(NEXT) | instid1(VALU_DEP_1)
	v_min_u32_e32 v7, 32, v2
	v_subrev_nc_u32_e32 v2, 28, v7
	s_delay_alu instid0(VALU_DEP_1) | instskip(SKIP_1) | instid1(VALU_DEP_2)
	v_lshlrev_b64 v[2:3], v2, v[12:13]
	v_sub_nc_u32_e32 v3, 29, v7
	v_and_b32_e32 v2, 7, v2
; %bb.6084:                             ;   in Loop: Header=BB468_3103 Depth=1
	s_or_b32 exec_lo, exec_lo, s25
	v_lshlrev_b32_e32 v6, 24, v6
	s_delay_alu instid0(VALU_DEP_2) | instskip(SKIP_1) | instid1(VALU_DEP_3)
	v_lshlrev_b32_e32 v2, 20, v2
	v_lshl_add_u32 v3, v3, 23, 0x3c000000
	v_and_b32_e32 v6, 0x80000000, v6
	s_delay_alu instid0(VALU_DEP_1)
	v_or3_b32 v2, v2, v6, v3
.LBB468_6085:                           ;   in Loop: Header=BB468_3103 Depth=1
	s_or_b32 exec_lo, exec_lo, s24
.LBB468_6086:                           ;   in Loop: Header=BB468_3103 Depth=1
	s_delay_alu instid0(SALU_CYCLE_1)
	s_or_b32 exec_lo, exec_lo, s23
.LBB468_6087:                           ;   in Loop: Header=BB468_3103 Depth=1
	s_delay_alu instid0(SALU_CYCLE_1) | instskip(NEXT) | instid1(VALU_DEP_1)
	s_or_b32 exec_lo, exec_lo, s22
	v_mul_f32_e32 v3, v26, v2
	s_delay_alu instid0(VALU_DEP_1) | instskip(NEXT) | instid1(VALU_DEP_1)
	v_and_b32_e32 v2, 0x7f800000, v3
	v_cmp_ne_u32_e64 s9, 0x7f800000, v2
                                        ; implicit-def: $vgpr2
	s_delay_alu instid0(VALU_DEP_1) | instskip(NEXT) | instid1(SALU_CYCLE_1)
	s_and_saveexec_b32 s22, s9
	s_xor_b32 s9, exec_lo, s22
; %bb.6088:                             ;   in Loop: Header=BB468_3103 Depth=1
	v_bfe_u32 v2, v3, 16, 1
	s_delay_alu instid0(VALU_DEP_1)
	v_add3_u32 v2, v3, v2, 0x7fff
                                        ; implicit-def: $vgpr3
; %bb.6089:                             ;   in Loop: Header=BB468_3103 Depth=1
	s_and_not1_saveexec_b32 s22, s9
; %bb.6090:                             ;   in Loop: Header=BB468_3103 Depth=1
	v_and_b32_e32 v2, 0xffff, v3
	v_or_b32_e32 v6, 0x10000, v3
	s_delay_alu instid0(VALU_DEP_2) | instskip(NEXT) | instid1(VALU_DEP_1)
	v_cmp_eq_u32_e64 s9, 0, v2
	v_cndmask_b32_e64 v2, v6, v3, s9
; %bb.6091:                             ;   in Loop: Header=BB468_3103 Depth=1
	s_or_b32 exec_lo, exec_lo, s22
	v_lshrrev_b32_e32 v6, 16, v9
	v_lshrrev_b32_e32 v7, 16, v8
	;; [unrolled: 1-line block ×8, first 2 shown]
	s_and_saveexec_b32 s9, s3
; %bb.6092:                             ;   in Loop: Header=BB468_3103 Depth=1
	s_delay_alu instid0(VALU_DEP_3)
	v_cndmask_b32_e32 v4, 0, v4, vcc_lo
	v_cndmask_b32_e64 v5, 0, v5, s1
	v_cndmask_b32_e64 v9, 0, v9, s2
	v_cndmask_b32_e64 v8, 0, v8, s4
	v_cndmask_b32_e64 v7, 0, v7, s5
	v_cndmask_b32_e64 v6, 0, v6, s6
	v_cndmask_b32_e64 v3, 0, v3, s7
	v_cndmask_b32_e64 v2, 0, v2, s8
; %bb.6093:                             ;   in Loop: Header=BB468_3103 Depth=1
	s_or_b32 exec_lo, exec_lo, s9
	v_lshlrev_b32_e32 v4, 16, v4
                                        ; implicit-def: $vgpr62
	s_delay_alu instid0(VALU_DEP_1) | instskip(NEXT) | instid1(VALU_DEP_1)
	v_mul_f32_e32 v4, v151, v4
	v_and_b32_e32 v12, 0x7f800000, v4
	s_delay_alu instid0(VALU_DEP_1) | instskip(NEXT) | instid1(VALU_DEP_1)
	v_cmp_ne_u32_e64 s9, 0x7f800000, v12
	s_and_saveexec_b32 s22, s9
	s_delay_alu instid0(SALU_CYCLE_1)
	s_xor_b32 s9, exec_lo, s22
; %bb.6094:                             ;   in Loop: Header=BB468_3103 Depth=1
	v_bfe_u32 v12, v4, 16, 1
	s_delay_alu instid0(VALU_DEP_1)
	v_add3_u32 v62, v4, v12, 0x7fff
                                        ; implicit-def: $vgpr4
; %bb.6095:                             ;   in Loop: Header=BB468_3103 Depth=1
	s_and_not1_saveexec_b32 s22, s9
; %bb.6096:                             ;   in Loop: Header=BB468_3103 Depth=1
	v_and_b32_e32 v12, 0xffff, v4
	v_or_b32_e32 v18, 0x10000, v4
	s_delay_alu instid0(VALU_DEP_2) | instskip(NEXT) | instid1(VALU_DEP_1)
	v_cmp_eq_u32_e64 s9, 0, v12
	v_cndmask_b32_e64 v62, v18, v4, s9
; %bb.6097:                             ;   in Loop: Header=BB468_3103 Depth=1
	s_or_b32 exec_lo, exec_lo, s22
	v_lshlrev_b32_e32 v4, 16, v5
                                        ; implicit-def: $vgpr63
	s_delay_alu instid0(VALU_DEP_1) | instskip(NEXT) | instid1(VALU_DEP_1)
	v_mul_f32_e32 v4, v160, v4
	v_and_b32_e32 v5, 0x7f800000, v4
	s_delay_alu instid0(VALU_DEP_1) | instskip(NEXT) | instid1(VALU_DEP_1)
	v_cmp_ne_u32_e64 s9, 0x7f800000, v5
	s_and_saveexec_b32 s22, s9
	s_delay_alu instid0(SALU_CYCLE_1)
	s_xor_b32 s9, exec_lo, s22
; %bb.6098:                             ;   in Loop: Header=BB468_3103 Depth=1
	v_bfe_u32 v5, v4, 16, 1
	s_delay_alu instid0(VALU_DEP_1)
	v_add3_u32 v63, v4, v5, 0x7fff
                                        ; implicit-def: $vgpr4
; %bb.6099:                             ;   in Loop: Header=BB468_3103 Depth=1
	s_and_not1_saveexec_b32 s22, s9
; %bb.6100:                             ;   in Loop: Header=BB468_3103 Depth=1
	v_and_b32_e32 v5, 0xffff, v4
	v_or_b32_e32 v12, 0x10000, v4
	s_delay_alu instid0(VALU_DEP_2) | instskip(NEXT) | instid1(VALU_DEP_1)
	v_cmp_eq_u32_e64 s9, 0, v5
	v_cndmask_b32_e64 v63, v12, v4, s9
; %bb.6101:                             ;   in Loop: Header=BB468_3103 Depth=1
	s_or_b32 exec_lo, exec_lo, s22
	v_lshlrev_b32_e32 v4, 16, v9
                                        ; implicit-def: $vgpr72
	s_delay_alu instid0(VALU_DEP_1) | instskip(NEXT) | instid1(VALU_DEP_1)
	v_mul_f32_e32 v4, v161, v4
	v_and_b32_e32 v5, 0x7f800000, v4
	s_delay_alu instid0(VALU_DEP_1) | instskip(NEXT) | instid1(VALU_DEP_1)
	v_cmp_ne_u32_e64 s9, 0x7f800000, v5
	s_and_saveexec_b32 s22, s9
	s_delay_alu instid0(SALU_CYCLE_1)
	s_xor_b32 s9, exec_lo, s22
; %bb.6102:                             ;   in Loop: Header=BB468_3103 Depth=1
	v_bfe_u32 v5, v4, 16, 1
	s_delay_alu instid0(VALU_DEP_1)
	v_add3_u32 v72, v4, v5, 0x7fff
                                        ; implicit-def: $vgpr4
; %bb.6103:                             ;   in Loop: Header=BB468_3103 Depth=1
	s_and_not1_saveexec_b32 s22, s9
; %bb.6104:                             ;   in Loop: Header=BB468_3103 Depth=1
	v_and_b32_e32 v5, 0xffff, v4
	v_or_b32_e32 v9, 0x10000, v4
	s_delay_alu instid0(VALU_DEP_2) | instskip(NEXT) | instid1(VALU_DEP_1)
	v_cmp_eq_u32_e64 s9, 0, v5
	v_cndmask_b32_e64 v72, v9, v4, s9
; %bb.6105:                             ;   in Loop: Header=BB468_3103 Depth=1
	s_or_b32 exec_lo, exec_lo, s22
	v_lshlrev_b32_e32 v4, 16, v8
                                        ; implicit-def: $vgpr73
	s_delay_alu instid0(VALU_DEP_1) | instskip(NEXT) | instid1(VALU_DEP_1)
	v_mul_f32_e32 v4, v162, v4
	v_and_b32_e32 v5, 0x7f800000, v4
	s_delay_alu instid0(VALU_DEP_1) | instskip(NEXT) | instid1(VALU_DEP_1)
	v_cmp_ne_u32_e64 s9, 0x7f800000, v5
	s_and_saveexec_b32 s22, s9
	s_delay_alu instid0(SALU_CYCLE_1)
	s_xor_b32 s9, exec_lo, s22
; %bb.6106:                             ;   in Loop: Header=BB468_3103 Depth=1
	v_bfe_u32 v5, v4, 16, 1
	s_delay_alu instid0(VALU_DEP_1)
	v_add3_u32 v73, v4, v5, 0x7fff
                                        ; implicit-def: $vgpr4
; %bb.6107:                             ;   in Loop: Header=BB468_3103 Depth=1
	s_and_not1_saveexec_b32 s22, s9
; %bb.6108:                             ;   in Loop: Header=BB468_3103 Depth=1
	v_and_b32_e32 v5, 0xffff, v4
	v_or_b32_e32 v8, 0x10000, v4
	s_delay_alu instid0(VALU_DEP_2) | instskip(NEXT) | instid1(VALU_DEP_1)
	v_cmp_eq_u32_e64 s9, 0, v5
	v_cndmask_b32_e64 v73, v8, v4, s9
; %bb.6109:                             ;   in Loop: Header=BB468_3103 Depth=1
	s_or_b32 exec_lo, exec_lo, s22
	v_lshlrev_b32_e32 v4, 16, v7
                                        ; implicit-def: $vgpr74
	s_delay_alu instid0(VALU_DEP_1) | instskip(NEXT) | instid1(VALU_DEP_1)
	v_mul_f32_e32 v4, v163, v4
	v_and_b32_e32 v5, 0x7f800000, v4
	s_delay_alu instid0(VALU_DEP_1) | instskip(NEXT) | instid1(VALU_DEP_1)
	v_cmp_ne_u32_e64 s9, 0x7f800000, v5
	s_and_saveexec_b32 s22, s9
	s_delay_alu instid0(SALU_CYCLE_1)
	s_xor_b32 s9, exec_lo, s22
; %bb.6110:                             ;   in Loop: Header=BB468_3103 Depth=1
	v_bfe_u32 v5, v4, 16, 1
	s_delay_alu instid0(VALU_DEP_1)
	v_add3_u32 v74, v4, v5, 0x7fff
                                        ; implicit-def: $vgpr4
; %bb.6111:                             ;   in Loop: Header=BB468_3103 Depth=1
	s_and_not1_saveexec_b32 s22, s9
; %bb.6112:                             ;   in Loop: Header=BB468_3103 Depth=1
	v_and_b32_e32 v5, 0xffff, v4
	v_or_b32_e32 v7, 0x10000, v4
	s_delay_alu instid0(VALU_DEP_2) | instskip(NEXT) | instid1(VALU_DEP_1)
	v_cmp_eq_u32_e64 s9, 0, v5
	v_cndmask_b32_e64 v74, v7, v4, s9
; %bb.6113:                             ;   in Loop: Header=BB468_3103 Depth=1
	s_or_b32 exec_lo, exec_lo, s22
	v_lshlrev_b32_e32 v4, 16, v6
                                        ; implicit-def: $vgpr75
	s_delay_alu instid0(VALU_DEP_1) | instskip(NEXT) | instid1(VALU_DEP_1)
	v_mul_f32_e32 v4, v164, v4
	v_and_b32_e32 v5, 0x7f800000, v4
	s_delay_alu instid0(VALU_DEP_1) | instskip(NEXT) | instid1(VALU_DEP_1)
	v_cmp_ne_u32_e64 s9, 0x7f800000, v5
	s_and_saveexec_b32 s22, s9
	s_delay_alu instid0(SALU_CYCLE_1)
	s_xor_b32 s9, exec_lo, s22
; %bb.6114:                             ;   in Loop: Header=BB468_3103 Depth=1
	v_bfe_u32 v5, v4, 16, 1
	s_delay_alu instid0(VALU_DEP_1)
	v_add3_u32 v75, v4, v5, 0x7fff
                                        ; implicit-def: $vgpr4
; %bb.6115:                             ;   in Loop: Header=BB468_3103 Depth=1
	s_and_not1_saveexec_b32 s22, s9
; %bb.6116:                             ;   in Loop: Header=BB468_3103 Depth=1
	v_and_b32_e32 v5, 0xffff, v4
	v_or_b32_e32 v6, 0x10000, v4
	s_delay_alu instid0(VALU_DEP_2) | instskip(NEXT) | instid1(VALU_DEP_1)
	v_cmp_eq_u32_e64 s9, 0, v5
	v_cndmask_b32_e64 v75, v6, v4, s9
; %bb.6117:                             ;   in Loop: Header=BB468_3103 Depth=1
	s_or_b32 exec_lo, exec_lo, s22
	v_lshlrev_b32_e32 v3, 16, v3
                                        ; implicit-def: $vgpr76
	s_delay_alu instid0(VALU_DEP_1) | instskip(NEXT) | instid1(VALU_DEP_1)
	v_mul_f32_e32 v3, v165, v3
	v_and_b32_e32 v4, 0x7f800000, v3
	s_delay_alu instid0(VALU_DEP_1) | instskip(NEXT) | instid1(VALU_DEP_1)
	v_cmp_ne_u32_e64 s9, 0x7f800000, v4
	s_and_saveexec_b32 s22, s9
	s_delay_alu instid0(SALU_CYCLE_1)
	s_xor_b32 s9, exec_lo, s22
; %bb.6118:                             ;   in Loop: Header=BB468_3103 Depth=1
	v_bfe_u32 v4, v3, 16, 1
	s_delay_alu instid0(VALU_DEP_1)
	v_add3_u32 v76, v3, v4, 0x7fff
                                        ; implicit-def: $vgpr3
; %bb.6119:                             ;   in Loop: Header=BB468_3103 Depth=1
	s_and_not1_saveexec_b32 s22, s9
; %bb.6120:                             ;   in Loop: Header=BB468_3103 Depth=1
	v_and_b32_e32 v4, 0xffff, v3
	v_or_b32_e32 v5, 0x10000, v3
	s_delay_alu instid0(VALU_DEP_2) | instskip(NEXT) | instid1(VALU_DEP_1)
	v_cmp_eq_u32_e64 s9, 0, v4
	v_cndmask_b32_e64 v76, v5, v3, s9
; %bb.6121:                             ;   in Loop: Header=BB468_3103 Depth=1
	s_or_b32 exec_lo, exec_lo, s22
	v_lshlrev_b32_e32 v2, 16, v2
                                        ; implicit-def: $vgpr77
	s_delay_alu instid0(VALU_DEP_1) | instskip(NEXT) | instid1(VALU_DEP_1)
	v_mul_f32_e32 v2, v166, v2
	v_and_b32_e32 v3, 0x7f800000, v2
	s_delay_alu instid0(VALU_DEP_1) | instskip(NEXT) | instid1(VALU_DEP_1)
	v_cmp_ne_u32_e64 s9, 0x7f800000, v3
	s_and_saveexec_b32 s22, s9
	s_delay_alu instid0(SALU_CYCLE_1)
	s_xor_b32 s9, exec_lo, s22
; %bb.6122:                             ;   in Loop: Header=BB468_3103 Depth=1
	v_bfe_u32 v3, v2, 16, 1
	s_delay_alu instid0(VALU_DEP_1)
	v_add3_u32 v77, v2, v3, 0x7fff
                                        ; implicit-def: $vgpr2
; %bb.6123:                             ;   in Loop: Header=BB468_3103 Depth=1
	s_and_not1_saveexec_b32 s22, s9
; %bb.6124:                             ;   in Loop: Header=BB468_3103 Depth=1
	v_and_b32_e32 v3, 0xffff, v2
	v_or_b32_e32 v4, 0x10000, v2
	s_delay_alu instid0(VALU_DEP_2) | instskip(NEXT) | instid1(VALU_DEP_1)
	v_cmp_eq_u32_e64 s9, 0, v3
	v_cndmask_b32_e64 v77, v4, v2, s9
; %bb.6125:                             ;   in Loop: Header=BB468_3103 Depth=1
	s_or_b32 exec_lo, exec_lo, s22
	scratch_load_b32 v2, off, s32 offset:844 ; 4-byte Folded Reload
	s_mov_b32 s22, exec_lo
	v_mov_b32_e32 v4, 0
	s_waitcnt vmcnt(0)
	v_add_co_u32 v2, s9, v0, v2
	s_delay_alu instid0(VALU_DEP_1) | instskip(SKIP_3) | instid1(VALU_DEP_1)
	v_add_co_ci_u32_e64 v3, s9, 0, v1, s9
	flat_load_b64 v[2:3], v[2:3]
	s_waitcnt vmcnt(0) lgkmcnt(0)
	v_and_b32_e32 v5, 0xff, v2
	v_cmpx_ne_u16_e32 0, v5
	s_cbranch_execz .LBB468_6133
; %bb.6126:                             ;   in Loop: Header=BB468_3103 Depth=1
	v_bfrev_b32_e32 v4, 1
	s_mov_b32 s23, exec_lo
	v_cmpx_ne_u16_e32 0x80, v5
	s_cbranch_execz .LBB468_6132
; %bb.6127:                             ;   in Loop: Header=BB468_3103 Depth=1
	v_and_b32_e32 v5, 0x7f, v2
	v_mov_b32_e32 v4, 0x7f800001
	s_mov_b32 s24, exec_lo
	s_delay_alu instid0(VALU_DEP_2)
	v_cmpx_ne_u32_e32 0x7f, v5
	s_cbranch_execz .LBB468_6131
; %bb.6128:                             ;   in Loop: Header=BB468_3103 Depth=1
	v_lshrrev_b32_e32 v4, 3, v5
	v_dual_mov_b32 v7, v3 :: v_dual_mov_b32 v6, v2
	s_mov_b32 s25, exec_lo
	v_cmpx_gt_u32_e32 8, v5
; %bb.6129:                             ;   in Loop: Header=BB468_3103 Depth=1
	v_and_b32_e32 v4, 7, v2
	s_delay_alu instid0(VALU_DEP_1) | instskip(NEXT) | instid1(VALU_DEP_1)
	v_clz_i32_u32_e32 v4, v4
	v_min_u32_e32 v4, 32, v4
	s_delay_alu instid0(VALU_DEP_1) | instskip(SKIP_1) | instid1(VALU_DEP_2)
	v_subrev_nc_u32_e32 v5, 28, v4
	v_sub_nc_u32_e32 v4, 29, v4
	v_lshlrev_b64 v[6:7], v5, v[2:3]
; %bb.6130:                             ;   in Loop: Header=BB468_3103 Depth=1
	s_or_b32 exec_lo, exec_lo, s25
	s_delay_alu instid0(VALU_DEP_1) | instskip(SKIP_2) | instid1(VALU_DEP_3)
	v_lshlrev_b32_e32 v5, 20, v6
	v_lshlrev_b32_e32 v6, 24, v2
	v_lshl_add_u32 v4, v4, 23, 0x3c000000
	v_and_b32_e32 v5, 0x700000, v5
	s_delay_alu instid0(VALU_DEP_3) | instskip(NEXT) | instid1(VALU_DEP_1)
	v_and_b32_e32 v6, 0x80000000, v6
	v_or3_b32 v4, v5, v6, v4
.LBB468_6131:                           ;   in Loop: Header=BB468_3103 Depth=1
	s_or_b32 exec_lo, exec_lo, s24
.LBB468_6132:                           ;   in Loop: Header=BB468_3103 Depth=1
	s_delay_alu instid0(SALU_CYCLE_1)
	s_or_b32 exec_lo, exec_lo, s23
.LBB468_6133:                           ;   in Loop: Header=BB468_3103 Depth=1
	s_delay_alu instid0(SALU_CYCLE_1) | instskip(NEXT) | instid1(VALU_DEP_1)
	s_or_b32 exec_lo, exec_lo, s22
	v_mul_f32_e32 v5, v26, v4
	s_delay_alu instid0(VALU_DEP_1) | instskip(NEXT) | instid1(VALU_DEP_1)
	v_and_b32_e32 v4, 0x7f800000, v5
	v_cmp_ne_u32_e64 s9, 0x7f800000, v4
                                        ; implicit-def: $vgpr4
	s_delay_alu instid0(VALU_DEP_1) | instskip(NEXT) | instid1(SALU_CYCLE_1)
	s_and_saveexec_b32 s22, s9
	s_xor_b32 s9, exec_lo, s22
; %bb.6134:                             ;   in Loop: Header=BB468_3103 Depth=1
	v_bfe_u32 v4, v5, 16, 1
	s_delay_alu instid0(VALU_DEP_1)
	v_add3_u32 v4, v5, v4, 0x7fff
                                        ; implicit-def: $vgpr5
; %bb.6135:                             ;   in Loop: Header=BB468_3103 Depth=1
	s_and_not1_saveexec_b32 s22, s9
; %bb.6136:                             ;   in Loop: Header=BB468_3103 Depth=1
	v_and_b32_e32 v4, 0xffff, v5
	v_or_b32_e32 v6, 0x10000, v5
	s_delay_alu instid0(VALU_DEP_2) | instskip(NEXT) | instid1(VALU_DEP_1)
	v_cmp_eq_u32_e64 s9, 0, v4
	v_cndmask_b32_e64 v4, v6, v5, s9
; %bb.6137:                             ;   in Loop: Header=BB468_3103 Depth=1
	s_or_b32 exec_lo, exec_lo, s22
	v_lshrrev_b16 v6, 8, v2
	v_mov_b32_e32 v5, 0
	s_mov_b32 s22, exec_lo
	s_delay_alu instid0(VALU_DEP_2)
	v_cmpx_ne_u16_e32 0, v6
	s_cbranch_execz .LBB468_6145
; %bb.6138:                             ;   in Loop: Header=BB468_3103 Depth=1
	v_bfrev_b32_e32 v5, 1
	s_mov_b32 s23, exec_lo
	v_cmpx_ne_u16_e32 0x80, v6
	s_cbranch_execz .LBB468_6144
; %bb.6139:                             ;   in Loop: Header=BB468_3103 Depth=1
	v_and_b32_e32 v6, 0xffff, v6
	v_mov_b32_e32 v5, 0x7f800001
	s_mov_b32 s24, exec_lo
	s_delay_alu instid0(VALU_DEP_2) | instskip(NEXT) | instid1(VALU_DEP_1)
	v_and_b32_e32 v8, 0x7f, v6
	v_cmpx_ne_u32_e32 0x7f, v8
	s_cbranch_execz .LBB468_6143
; %bb.6140:                             ;   in Loop: Header=BB468_3103 Depth=1
	v_and_b32_e32 v12, 7, v6
	v_lshrrev_b32_e32 v5, 3, v8
	s_mov_b32 s25, exec_lo
	s_delay_alu instid0(VALU_DEP_2)
	v_dual_mov_b32 v6, v12 :: v_dual_mov_b32 v7, v13
	v_cmpx_gt_u32_e32 8, v8
; %bb.6141:                             ;   in Loop: Header=BB468_3103 Depth=1
	v_clz_i32_u32_e32 v5, v12
	s_delay_alu instid0(VALU_DEP_1) | instskip(NEXT) | instid1(VALU_DEP_1)
	v_min_u32_e32 v5, 32, v5
	v_subrev_nc_u32_e32 v6, 28, v5
	v_sub_nc_u32_e32 v5, 29, v5
	s_delay_alu instid0(VALU_DEP_2) | instskip(NEXT) | instid1(VALU_DEP_1)
	v_lshlrev_b64 v[6:7], v6, v[12:13]
	v_and_b32_e32 v6, 7, v6
; %bb.6142:                             ;   in Loop: Header=BB468_3103 Depth=1
	s_or_b32 exec_lo, exec_lo, s25
	v_lshlrev_b32_e32 v7, 16, v2
	s_delay_alu instid0(VALU_DEP_2) | instskip(SKIP_1) | instid1(VALU_DEP_3)
	v_lshlrev_b32_e32 v6, 20, v6
	v_lshl_add_u32 v5, v5, 23, 0x3c000000
	v_and_b32_e32 v7, 0x80000000, v7
	s_delay_alu instid0(VALU_DEP_1)
	v_or3_b32 v5, v6, v7, v5
.LBB468_6143:                           ;   in Loop: Header=BB468_3103 Depth=1
	s_or_b32 exec_lo, exec_lo, s24
.LBB468_6144:                           ;   in Loop: Header=BB468_3103 Depth=1
	s_delay_alu instid0(SALU_CYCLE_1)
	s_or_b32 exec_lo, exec_lo, s23
.LBB468_6145:                           ;   in Loop: Header=BB468_3103 Depth=1
	s_delay_alu instid0(SALU_CYCLE_1) | instskip(NEXT) | instid1(VALU_DEP_1)
	s_or_b32 exec_lo, exec_lo, s22
	v_mul_f32_e32 v6, v26, v5
	s_delay_alu instid0(VALU_DEP_1) | instskip(NEXT) | instid1(VALU_DEP_1)
	v_and_b32_e32 v5, 0x7f800000, v6
	v_cmp_ne_u32_e64 s9, 0x7f800000, v5
                                        ; implicit-def: $vgpr5
	s_delay_alu instid0(VALU_DEP_1) | instskip(NEXT) | instid1(SALU_CYCLE_1)
	s_and_saveexec_b32 s22, s9
	s_xor_b32 s9, exec_lo, s22
; %bb.6146:                             ;   in Loop: Header=BB468_3103 Depth=1
	v_bfe_u32 v5, v6, 16, 1
	s_delay_alu instid0(VALU_DEP_1)
	v_add3_u32 v5, v6, v5, 0x7fff
                                        ; implicit-def: $vgpr6
; %bb.6147:                             ;   in Loop: Header=BB468_3103 Depth=1
	s_and_not1_saveexec_b32 s22, s9
; %bb.6148:                             ;   in Loop: Header=BB468_3103 Depth=1
	v_and_b32_e32 v5, 0xffff, v6
	v_or_b32_e32 v7, 0x10000, v6
	s_delay_alu instid0(VALU_DEP_2) | instskip(NEXT) | instid1(VALU_DEP_1)
	v_cmp_eq_u32_e64 s9, 0, v5
	v_cndmask_b32_e64 v5, v7, v6, s9
; %bb.6149:                             ;   in Loop: Header=BB468_3103 Depth=1
	s_or_b32 exec_lo, exec_lo, s22
	v_lshrrev_b32_e32 v8, 16, v2
	s_mov_b32 s22, exec_lo
	s_delay_alu instid0(VALU_DEP_1) | instskip(NEXT) | instid1(VALU_DEP_1)
	v_dual_mov_b32 v6, 0 :: v_dual_and_b32 v7, 0xff, v8
	v_cmpx_ne_u16_e32 0, v7
	s_cbranch_execz .LBB468_6157
; %bb.6150:                             ;   in Loop: Header=BB468_3103 Depth=1
	v_bfrev_b32_e32 v6, 1
	s_mov_b32 s23, exec_lo
	v_cmpx_ne_u16_e32 0x80, v7
	s_cbranch_execz .LBB468_6156
; %bb.6151:                             ;   in Loop: Header=BB468_3103 Depth=1
	v_bfe_u32 v9, v2, 16, 7
	v_mov_b32_e32 v6, 0x7f800001
	s_mov_b32 s24, exec_lo
	s_delay_alu instid0(VALU_DEP_2)
	v_cmpx_ne_u32_e32 0x7f, v9
	s_cbranch_execz .LBB468_6155
; %bb.6152:                             ;   in Loop: Header=BB468_3103 Depth=1
	v_and_b32_e32 v12, 7, v8
	s_mov_b32 s25, exec_lo
	s_delay_alu instid0(VALU_DEP_1)
	v_dual_mov_b32 v6, v12 :: v_dual_mov_b32 v7, v13
	v_lshrrev_b32_e32 v7, 3, v9
	v_cmpx_gt_u32_e32 8, v9
; %bb.6153:                             ;   in Loop: Header=BB468_3103 Depth=1
	v_clz_i32_u32_e32 v6, v12
	s_delay_alu instid0(VALU_DEP_1) | instskip(NEXT) | instid1(VALU_DEP_1)
	v_min_u32_e32 v9, 32, v6
	v_subrev_nc_u32_e32 v6, 28, v9
	s_delay_alu instid0(VALU_DEP_1) | instskip(SKIP_1) | instid1(VALU_DEP_2)
	v_lshlrev_b64 v[6:7], v6, v[12:13]
	v_sub_nc_u32_e32 v7, 29, v9
	v_and_b32_e32 v6, 7, v6
; %bb.6154:                             ;   in Loop: Header=BB468_3103 Depth=1
	s_or_b32 exec_lo, exec_lo, s25
	v_lshlrev_b32_e32 v8, 24, v8
	s_delay_alu instid0(VALU_DEP_2) | instskip(SKIP_1) | instid1(VALU_DEP_3)
	v_lshlrev_b32_e32 v6, 20, v6
	v_lshl_add_u32 v7, v7, 23, 0x3c000000
	v_and_b32_e32 v8, 0x80000000, v8
	s_delay_alu instid0(VALU_DEP_1)
	v_or3_b32 v6, v6, v8, v7
.LBB468_6155:                           ;   in Loop: Header=BB468_3103 Depth=1
	s_or_b32 exec_lo, exec_lo, s24
.LBB468_6156:                           ;   in Loop: Header=BB468_3103 Depth=1
	s_delay_alu instid0(SALU_CYCLE_1)
	s_or_b32 exec_lo, exec_lo, s23
.LBB468_6157:                           ;   in Loop: Header=BB468_3103 Depth=1
	s_delay_alu instid0(SALU_CYCLE_1) | instskip(NEXT) | instid1(VALU_DEP_1)
	s_or_b32 exec_lo, exec_lo, s22
	v_mul_f32_e32 v6, v26, v6
                                        ; implicit-def: $vgpr18
	s_delay_alu instid0(VALU_DEP_1) | instskip(NEXT) | instid1(VALU_DEP_1)
	v_and_b32_e32 v7, 0x7f800000, v6
	v_cmp_ne_u32_e64 s9, 0x7f800000, v7
	s_delay_alu instid0(VALU_DEP_1) | instskip(NEXT) | instid1(SALU_CYCLE_1)
	s_and_saveexec_b32 s22, s9
	s_xor_b32 s9, exec_lo, s22
; %bb.6158:                             ;   in Loop: Header=BB468_3103 Depth=1
	v_bfe_u32 v7, v6, 16, 1
	s_delay_alu instid0(VALU_DEP_1)
	v_add3_u32 v18, v6, v7, 0x7fff
                                        ; implicit-def: $vgpr6
; %bb.6159:                             ;   in Loop: Header=BB468_3103 Depth=1
	s_and_not1_saveexec_b32 s22, s9
; %bb.6160:                             ;   in Loop: Header=BB468_3103 Depth=1
	v_and_b32_e32 v7, 0xffff, v6
	v_or_b32_e32 v8, 0x10000, v6
	s_delay_alu instid0(VALU_DEP_2) | instskip(NEXT) | instid1(VALU_DEP_1)
	v_cmp_eq_u32_e64 s9, 0, v7
	v_cndmask_b32_e64 v18, v8, v6, s9
; %bb.6161:                             ;   in Loop: Header=BB468_3103 Depth=1
	s_or_b32 exec_lo, exec_lo, s22
	v_mov_b32_e32 v6, 0
	s_mov_b32 s22, exec_lo
	v_cmpx_lt_u32_e32 0xffffff, v2
	s_cbranch_execz .LBB468_6169
; %bb.6162:                             ;   in Loop: Header=BB468_3103 Depth=1
	v_lshrrev_b32_e32 v8, 24, v2
	v_bfrev_b32_e32 v6, 1
	s_mov_b32 s23, exec_lo
	s_delay_alu instid0(VALU_DEP_2)
	v_cmpx_ne_u32_e32 0x80, v8
	s_cbranch_execz .LBB468_6168
; %bb.6163:                             ;   in Loop: Header=BB468_3103 Depth=1
	v_bfe_u32 v9, v2, 24, 7
	v_mov_b32_e32 v6, 0x7f800001
	s_mov_b32 s24, exec_lo
	s_delay_alu instid0(VALU_DEP_2)
	v_cmpx_ne_u32_e32 0x7f, v9
	s_cbranch_execz .LBB468_6167
; %bb.6164:                             ;   in Loop: Header=BB468_3103 Depth=1
	v_and_b32_e32 v12, 7, v8
	s_mov_b32 s25, exec_lo
	s_delay_alu instid0(VALU_DEP_1)
	v_dual_mov_b32 v6, v12 :: v_dual_mov_b32 v7, v13
	v_lshrrev_b32_e32 v7, 3, v9
	v_cmpx_gt_u32_e32 8, v9
; %bb.6165:                             ;   in Loop: Header=BB468_3103 Depth=1
	v_clz_i32_u32_e32 v6, v12
	s_delay_alu instid0(VALU_DEP_1) | instskip(NEXT) | instid1(VALU_DEP_1)
	v_min_u32_e32 v9, 32, v6
	v_subrev_nc_u32_e32 v6, 28, v9
	s_delay_alu instid0(VALU_DEP_1) | instskip(SKIP_1) | instid1(VALU_DEP_2)
	v_lshlrev_b64 v[6:7], v6, v[12:13]
	v_sub_nc_u32_e32 v7, 29, v9
	v_and_b32_e32 v6, 7, v6
; %bb.6166:                             ;   in Loop: Header=BB468_3103 Depth=1
	s_or_b32 exec_lo, exec_lo, s25
	v_lshlrev_b32_e32 v8, 24, v8
	s_delay_alu instid0(VALU_DEP_2) | instskip(SKIP_1) | instid1(VALU_DEP_3)
	v_lshlrev_b32_e32 v6, 20, v6
	v_lshl_add_u32 v7, v7, 23, 0x3c000000
	v_and_b32_e32 v8, 0x80000000, v8
	s_delay_alu instid0(VALU_DEP_1)
	v_or3_b32 v6, v6, v8, v7
.LBB468_6167:                           ;   in Loop: Header=BB468_3103 Depth=1
	s_or_b32 exec_lo, exec_lo, s24
.LBB468_6168:                           ;   in Loop: Header=BB468_3103 Depth=1
	s_delay_alu instid0(SALU_CYCLE_1)
	s_or_b32 exec_lo, exec_lo, s23
.LBB468_6169:                           ;   in Loop: Header=BB468_3103 Depth=1
	s_delay_alu instid0(SALU_CYCLE_1) | instskip(NEXT) | instid1(VALU_DEP_1)
	s_or_b32 exec_lo, exec_lo, s22
	v_mul_f32_e32 v6, v26, v6
                                        ; implicit-def: $vgpr34
	s_delay_alu instid0(VALU_DEP_1) | instskip(NEXT) | instid1(VALU_DEP_1)
	v_and_b32_e32 v7, 0x7f800000, v6
	v_cmp_ne_u32_e64 s9, 0x7f800000, v7
	s_delay_alu instid0(VALU_DEP_1) | instskip(NEXT) | instid1(SALU_CYCLE_1)
	s_and_saveexec_b32 s22, s9
	s_xor_b32 s9, exec_lo, s22
; %bb.6170:                             ;   in Loop: Header=BB468_3103 Depth=1
	v_bfe_u32 v7, v6, 16, 1
	s_delay_alu instid0(VALU_DEP_1)
	v_add3_u32 v34, v6, v7, 0x7fff
                                        ; implicit-def: $vgpr6
; %bb.6171:                             ;   in Loop: Header=BB468_3103 Depth=1
	s_and_not1_saveexec_b32 s22, s9
; %bb.6172:                             ;   in Loop: Header=BB468_3103 Depth=1
	v_and_b32_e32 v7, 0xffff, v6
	v_or_b32_e32 v8, 0x10000, v6
	s_delay_alu instid0(VALU_DEP_2) | instskip(NEXT) | instid1(VALU_DEP_1)
	v_cmp_eq_u32_e64 s9, 0, v7
	v_cndmask_b32_e64 v34, v8, v6, s9
; %bb.6173:                             ;   in Loop: Header=BB468_3103 Depth=1
	s_or_b32 exec_lo, exec_lo, s22
	v_dual_mov_b32 v12, v3 :: v_dual_and_b32 v7, 0xff, v3
	v_mov_b32_e32 v6, 0
	s_mov_b32 s22, exec_lo
	s_delay_alu instid0(VALU_DEP_2)
	v_cmpx_ne_u16_e32 0, v7
	s_cbranch_execz .LBB468_6181
; %bb.6174:                             ;   in Loop: Header=BB468_3103 Depth=1
	v_bfrev_b32_e32 v6, 1
	s_mov_b32 s23, exec_lo
	v_cmpx_ne_u16_e32 0x80, v7
	s_cbranch_execz .LBB468_6180
; %bb.6175:                             ;   in Loop: Header=BB468_3103 Depth=1
	v_and_b32_e32 v8, 0x7f, v3
	v_mov_b32_e32 v6, 0x7f800001
	s_mov_b32 s24, exec_lo
	s_delay_alu instid0(VALU_DEP_2)
	v_cmpx_ne_u32_e32 0x7f, v8
	s_cbranch_execz .LBB468_6179
; %bb.6176:                             ;   in Loop: Header=BB468_3103 Depth=1
	v_dual_mov_b32 v6, v12 :: v_dual_mov_b32 v7, v13
	v_lshrrev_b32_e32 v7, 3, v8
	s_mov_b32 s25, exec_lo
	v_cmpx_gt_u32_e32 8, v8
; %bb.6177:                             ;   in Loop: Header=BB468_3103 Depth=1
	v_and_b32_e32 v6, 7, v3
	s_delay_alu instid0(VALU_DEP_1) | instskip(NEXT) | instid1(VALU_DEP_1)
	v_clz_i32_u32_e32 v6, v6
	v_min_u32_e32 v8, 32, v6
	s_delay_alu instid0(VALU_DEP_1) | instskip(NEXT) | instid1(VALU_DEP_1)
	v_subrev_nc_u32_e32 v6, 28, v8
	v_lshlrev_b64 v[6:7], v6, v[12:13]
	v_sub_nc_u32_e32 v7, 29, v8
; %bb.6178:                             ;   in Loop: Header=BB468_3103 Depth=1
	s_or_b32 exec_lo, exec_lo, s25
	s_delay_alu instid0(VALU_DEP_2) | instskip(SKIP_1) | instid1(VALU_DEP_3)
	v_lshlrev_b32_e32 v6, 20, v6
	v_lshlrev_b32_e32 v8, 24, v12
	v_lshl_add_u32 v7, v7, 23, 0x3c000000
	s_delay_alu instid0(VALU_DEP_3) | instskip(NEXT) | instid1(VALU_DEP_3)
	v_and_b32_e32 v6, 0x700000, v6
	v_and_b32_e32 v8, 0x80000000, v8
	s_delay_alu instid0(VALU_DEP_1)
	v_or3_b32 v6, v6, v8, v7
.LBB468_6179:                           ;   in Loop: Header=BB468_3103 Depth=1
	s_or_b32 exec_lo, exec_lo, s24
.LBB468_6180:                           ;   in Loop: Header=BB468_3103 Depth=1
	s_delay_alu instid0(SALU_CYCLE_1)
	s_or_b32 exec_lo, exec_lo, s23
.LBB468_6181:                           ;   in Loop: Header=BB468_3103 Depth=1
	s_delay_alu instid0(SALU_CYCLE_1) | instskip(NEXT) | instid1(VALU_DEP_1)
	s_or_b32 exec_lo, exec_lo, s22
	v_mul_f32_e32 v6, v26, v6
                                        ; implicit-def: $vgpr8
	s_delay_alu instid0(VALU_DEP_1) | instskip(NEXT) | instid1(VALU_DEP_1)
	v_and_b32_e32 v7, 0x7f800000, v6
	v_cmp_ne_u32_e64 s9, 0x7f800000, v7
	s_delay_alu instid0(VALU_DEP_1) | instskip(NEXT) | instid1(SALU_CYCLE_1)
	s_and_saveexec_b32 s22, s9
	s_xor_b32 s9, exec_lo, s22
; %bb.6182:                             ;   in Loop: Header=BB468_3103 Depth=1
	v_bfe_u32 v7, v6, 16, 1
	s_delay_alu instid0(VALU_DEP_1)
	v_add3_u32 v8, v6, v7, 0x7fff
                                        ; implicit-def: $vgpr6
; %bb.6183:                             ;   in Loop: Header=BB468_3103 Depth=1
	s_and_not1_saveexec_b32 s22, s9
; %bb.6184:                             ;   in Loop: Header=BB468_3103 Depth=1
	v_and_b32_e32 v7, 0xffff, v6
	v_or_b32_e32 v8, 0x10000, v6
	s_delay_alu instid0(VALU_DEP_2) | instskip(NEXT) | instid1(VALU_DEP_1)
	v_cmp_eq_u32_e64 s9, 0, v7
	v_cndmask_b32_e64 v8, v8, v6, s9
; %bb.6185:                             ;   in Loop: Header=BB468_3103 Depth=1
	s_or_b32 exec_lo, exec_lo, s22
	v_lshrrev_b16 v7, 8, v12
	v_mov_b32_e32 v6, 0
	s_mov_b32 s22, exec_lo
	s_delay_alu instid0(VALU_DEP_2)
	v_cmpx_ne_u16_e32 0, v7
	s_cbranch_execz .LBB468_6193
; %bb.6186:                             ;   in Loop: Header=BB468_3103 Depth=1
	v_bfrev_b32_e32 v6, 1
	s_mov_b32 s23, exec_lo
	v_cmpx_ne_u16_e32 0x80, v7
	s_cbranch_execz .LBB468_6192
; %bb.6187:                             ;   in Loop: Header=BB468_3103 Depth=1
	v_and_b32_e32 v7, 0xffff, v7
	v_mov_b32_e32 v6, 0x7f800001
	s_mov_b32 s24, exec_lo
	s_delay_alu instid0(VALU_DEP_2) | instskip(NEXT) | instid1(VALU_DEP_1)
	v_and_b32_e32 v35, 0x7f, v7
	v_cmpx_ne_u32_e32 0x7f, v35
	s_cbranch_execz .LBB468_6191
; %bb.6188:                             ;   in Loop: Header=BB468_3103 Depth=1
	v_dual_mov_b32 v7, v13 :: v_dual_and_b32 v6, 7, v7
	v_lshrrev_b32_e32 v9, 3, v35
	s_mov_b32 s25, exec_lo
	v_cmpx_gt_u32_e32 8, v35
; %bb.6189:                             ;   in Loop: Header=BB468_3103 Depth=1
	s_delay_alu instid0(VALU_DEP_3) | instskip(NEXT) | instid1(VALU_DEP_1)
	v_clz_i32_u32_e32 v9, v6
	v_min_u32_e32 v9, 32, v9
	s_delay_alu instid0(VALU_DEP_1) | instskip(SKIP_1) | instid1(VALU_DEP_2)
	v_subrev_nc_u32_e32 v35, 28, v9
	v_sub_nc_u32_e32 v9, 29, v9
	v_lshlrev_b64 v[6:7], v35, v[6:7]
	s_delay_alu instid0(VALU_DEP_1)
	v_and_b32_e32 v6, 7, v6
; %bb.6190:                             ;   in Loop: Header=BB468_3103 Depth=1
	s_or_b32 exec_lo, exec_lo, s25
	v_lshlrev_b32_e32 v7, 16, v12
	s_delay_alu instid0(VALU_DEP_2) | instskip(SKIP_1) | instid1(VALU_DEP_3)
	v_lshlrev_b32_e32 v6, 20, v6
	v_lshl_add_u32 v9, v9, 23, 0x3c000000
	v_and_b32_e32 v7, 0x80000000, v7
	s_delay_alu instid0(VALU_DEP_1)
	v_or3_b32 v6, v6, v7, v9
.LBB468_6191:                           ;   in Loop: Header=BB468_3103 Depth=1
	s_or_b32 exec_lo, exec_lo, s24
.LBB468_6192:                           ;   in Loop: Header=BB468_3103 Depth=1
	s_delay_alu instid0(SALU_CYCLE_1)
	s_or_b32 exec_lo, exec_lo, s23
.LBB468_6193:                           ;   in Loop: Header=BB468_3103 Depth=1
	s_delay_alu instid0(SALU_CYCLE_1) | instskip(NEXT) | instid1(VALU_DEP_1)
	s_or_b32 exec_lo, exec_lo, s22
	v_mul_f32_e32 v6, v26, v6
                                        ; implicit-def: $vgpr9
	s_delay_alu instid0(VALU_DEP_1) | instskip(NEXT) | instid1(VALU_DEP_1)
	v_and_b32_e32 v7, 0x7f800000, v6
	v_cmp_ne_u32_e64 s9, 0x7f800000, v7
	s_delay_alu instid0(VALU_DEP_1) | instskip(NEXT) | instid1(SALU_CYCLE_1)
	s_and_saveexec_b32 s22, s9
	s_xor_b32 s9, exec_lo, s22
; %bb.6194:                             ;   in Loop: Header=BB468_3103 Depth=1
	v_bfe_u32 v7, v6, 16, 1
	s_delay_alu instid0(VALU_DEP_1)
	v_add3_u32 v9, v6, v7, 0x7fff
                                        ; implicit-def: $vgpr6
; %bb.6195:                             ;   in Loop: Header=BB468_3103 Depth=1
	s_and_not1_saveexec_b32 s22, s9
; %bb.6196:                             ;   in Loop: Header=BB468_3103 Depth=1
	v_and_b32_e32 v7, 0xffff, v6
	v_or_b32_e32 v9, 0x10000, v6
	s_delay_alu instid0(VALU_DEP_2) | instskip(NEXT) | instid1(VALU_DEP_1)
	v_cmp_eq_u32_e64 s9, 0, v7
	v_cndmask_b32_e64 v9, v9, v6, s9
; %bb.6197:                             ;   in Loop: Header=BB468_3103 Depth=1
	s_or_b32 exec_lo, exec_lo, s22
	v_lshrrev_b32_e32 v35, 16, v3
	s_mov_b32 s22, exec_lo
	s_delay_alu instid0(VALU_DEP_1) | instskip(NEXT) | instid1(VALU_DEP_1)
	v_dual_mov_b32 v6, 0 :: v_dual_and_b32 v7, 0xff, v35
	v_cmpx_ne_u16_e32 0, v7
	s_cbranch_execz .LBB468_6205
; %bb.6198:                             ;   in Loop: Header=BB468_3103 Depth=1
	v_bfrev_b32_e32 v6, 1
	s_mov_b32 s23, exec_lo
	v_cmpx_ne_u16_e32 0x80, v7
	s_cbranch_execz .LBB468_6204
; %bb.6199:                             ;   in Loop: Header=BB468_3103 Depth=1
	v_bfe_u32 v36, v3, 16, 7
	v_mov_b32_e32 v6, 0x7f800001
	s_mov_b32 s24, exec_lo
	s_delay_alu instid0(VALU_DEP_2)
	v_cmpx_ne_u32_e32 0x7f, v36
	s_cbranch_execz .LBB468_6203
; %bb.6200:                             ;   in Loop: Header=BB468_3103 Depth=1
	v_and_b32_e32 v12, 7, v35
	s_mov_b32 s25, exec_lo
	s_delay_alu instid0(VALU_DEP_1)
	v_dual_mov_b32 v6, v12 :: v_dual_mov_b32 v7, v13
	v_lshrrev_b32_e32 v7, 3, v36
	v_cmpx_gt_u32_e32 8, v36
; %bb.6201:                             ;   in Loop: Header=BB468_3103 Depth=1
	v_clz_i32_u32_e32 v6, v12
	s_delay_alu instid0(VALU_DEP_1) | instskip(NEXT) | instid1(VALU_DEP_1)
	v_min_u32_e32 v36, 32, v6
	v_subrev_nc_u32_e32 v6, 28, v36
	s_delay_alu instid0(VALU_DEP_1) | instskip(SKIP_1) | instid1(VALU_DEP_2)
	v_lshlrev_b64 v[6:7], v6, v[12:13]
	v_sub_nc_u32_e32 v7, 29, v36
	v_and_b32_e32 v6, 7, v6
; %bb.6202:                             ;   in Loop: Header=BB468_3103 Depth=1
	s_or_b32 exec_lo, exec_lo, s25
	v_lshlrev_b32_e32 v12, 24, v35
	s_delay_alu instid0(VALU_DEP_2) | instskip(SKIP_1) | instid1(VALU_DEP_3)
	v_lshlrev_b32_e32 v6, 20, v6
	v_lshl_add_u32 v7, v7, 23, 0x3c000000
	v_and_b32_e32 v12, 0x80000000, v12
	s_delay_alu instid0(VALU_DEP_1)
	v_or3_b32 v6, v6, v12, v7
.LBB468_6203:                           ;   in Loop: Header=BB468_3103 Depth=1
	s_or_b32 exec_lo, exec_lo, s24
.LBB468_6204:                           ;   in Loop: Header=BB468_3103 Depth=1
	s_delay_alu instid0(SALU_CYCLE_1)
	s_or_b32 exec_lo, exec_lo, s23
.LBB468_6205:                           ;   in Loop: Header=BB468_3103 Depth=1
	s_delay_alu instid0(SALU_CYCLE_1) | instskip(NEXT) | instid1(VALU_DEP_1)
	s_or_b32 exec_lo, exec_lo, s22
	v_mul_f32_e32 v6, v26, v6
                                        ; implicit-def: $vgpr35
	s_delay_alu instid0(VALU_DEP_1) | instskip(NEXT) | instid1(VALU_DEP_1)
	v_and_b32_e32 v7, 0x7f800000, v6
	v_cmp_ne_u32_e64 s9, 0x7f800000, v7
	s_delay_alu instid0(VALU_DEP_1) | instskip(NEXT) | instid1(SALU_CYCLE_1)
	s_and_saveexec_b32 s22, s9
	s_xor_b32 s9, exec_lo, s22
; %bb.6206:                             ;   in Loop: Header=BB468_3103 Depth=1
	v_bfe_u32 v7, v6, 16, 1
	s_delay_alu instid0(VALU_DEP_1)
	v_add3_u32 v35, v6, v7, 0x7fff
                                        ; implicit-def: $vgpr6
; %bb.6207:                             ;   in Loop: Header=BB468_3103 Depth=1
	s_and_not1_saveexec_b32 s22, s9
; %bb.6208:                             ;   in Loop: Header=BB468_3103 Depth=1
	v_and_b32_e32 v7, 0xffff, v6
	v_or_b32_e32 v12, 0x10000, v6
	s_delay_alu instid0(VALU_DEP_2) | instskip(NEXT) | instid1(VALU_DEP_1)
	v_cmp_eq_u32_e64 s9, 0, v7
	v_cndmask_b32_e64 v35, v12, v6, s9
; %bb.6209:                             ;   in Loop: Header=BB468_3103 Depth=1
	s_or_b32 exec_lo, exec_lo, s22
	v_cmp_lt_u64_e64 s9, s[12:13], v[2:3]
	v_mov_b32_e32 v2, 0
	s_delay_alu instid0(VALU_DEP_2)
	s_and_saveexec_b32 s22, s9
	s_cbranch_execz .LBB468_6217
; %bb.6210:                             ;   in Loop: Header=BB468_3103 Depth=1
	v_lshrrev_b32_e32 v6, 24, v3
	v_bfrev_b32_e32 v2, 1
	s_mov_b32 s23, exec_lo
	s_delay_alu instid0(VALU_DEP_2)
	v_cmpx_ne_u32_e32 0x80, v6
	s_cbranch_execz .LBB468_6216
; %bb.6211:                             ;   in Loop: Header=BB468_3103 Depth=1
	v_bfe_u32 v7, v3, 24, 7
	v_mov_b32_e32 v2, 0x7f800001
	s_mov_b32 s24, exec_lo
	s_delay_alu instid0(VALU_DEP_2)
	v_cmpx_ne_u32_e32 0x7f, v7
	s_cbranch_execz .LBB468_6215
; %bb.6212:                             ;   in Loop: Header=BB468_3103 Depth=1
	v_and_b32_e32 v12, 7, v6
	s_mov_b32 s25, exec_lo
	s_delay_alu instid0(VALU_DEP_1)
	v_dual_mov_b32 v2, v12 :: v_dual_mov_b32 v3, v13
	v_lshrrev_b32_e32 v3, 3, v7
	v_cmpx_gt_u32_e32 8, v7
; %bb.6213:                             ;   in Loop: Header=BB468_3103 Depth=1
	v_clz_i32_u32_e32 v2, v12
	s_delay_alu instid0(VALU_DEP_1) | instskip(NEXT) | instid1(VALU_DEP_1)
	v_min_u32_e32 v7, 32, v2
	v_subrev_nc_u32_e32 v2, 28, v7
	s_delay_alu instid0(VALU_DEP_1) | instskip(SKIP_1) | instid1(VALU_DEP_2)
	v_lshlrev_b64 v[2:3], v2, v[12:13]
	v_sub_nc_u32_e32 v3, 29, v7
	v_and_b32_e32 v2, 7, v2
; %bb.6214:                             ;   in Loop: Header=BB468_3103 Depth=1
	s_or_b32 exec_lo, exec_lo, s25
	v_lshlrev_b32_e32 v6, 24, v6
	s_delay_alu instid0(VALU_DEP_2) | instskip(SKIP_1) | instid1(VALU_DEP_3)
	v_lshlrev_b32_e32 v2, 20, v2
	v_lshl_add_u32 v3, v3, 23, 0x3c000000
	v_and_b32_e32 v6, 0x80000000, v6
	s_delay_alu instid0(VALU_DEP_1)
	v_or3_b32 v2, v2, v6, v3
.LBB468_6215:                           ;   in Loop: Header=BB468_3103 Depth=1
	s_or_b32 exec_lo, exec_lo, s24
.LBB468_6216:                           ;   in Loop: Header=BB468_3103 Depth=1
	s_delay_alu instid0(SALU_CYCLE_1)
	s_or_b32 exec_lo, exec_lo, s23
.LBB468_6217:                           ;   in Loop: Header=BB468_3103 Depth=1
	s_delay_alu instid0(SALU_CYCLE_1) | instskip(NEXT) | instid1(VALU_DEP_1)
	s_or_b32 exec_lo, exec_lo, s22
	v_mul_f32_e32 v3, v26, v2
	s_delay_alu instid0(VALU_DEP_1) | instskip(NEXT) | instid1(VALU_DEP_1)
	v_and_b32_e32 v2, 0x7f800000, v3
	v_cmp_ne_u32_e64 s9, 0x7f800000, v2
                                        ; implicit-def: $vgpr2
	s_delay_alu instid0(VALU_DEP_1) | instskip(NEXT) | instid1(SALU_CYCLE_1)
	s_and_saveexec_b32 s22, s9
	s_xor_b32 s9, exec_lo, s22
; %bb.6218:                             ;   in Loop: Header=BB468_3103 Depth=1
	v_bfe_u32 v2, v3, 16, 1
	s_delay_alu instid0(VALU_DEP_1)
	v_add3_u32 v2, v3, v2, 0x7fff
                                        ; implicit-def: $vgpr3
; %bb.6219:                             ;   in Loop: Header=BB468_3103 Depth=1
	s_and_not1_saveexec_b32 s22, s9
; %bb.6220:                             ;   in Loop: Header=BB468_3103 Depth=1
	v_and_b32_e32 v2, 0xffff, v3
	v_or_b32_e32 v6, 0x10000, v3
	s_delay_alu instid0(VALU_DEP_2) | instskip(NEXT) | instid1(VALU_DEP_1)
	v_cmp_eq_u32_e64 s9, 0, v2
	v_cndmask_b32_e64 v2, v6, v3, s9
; %bb.6221:                             ;   in Loop: Header=BB468_3103 Depth=1
	s_or_b32 exec_lo, exec_lo, s22
	v_lshrrev_b32_e32 v6, 16, v9
	v_lshrrev_b32_e32 v7, 16, v8
	;; [unrolled: 1-line block ×8, first 2 shown]
	s_and_saveexec_b32 s9, s3
; %bb.6222:                             ;   in Loop: Header=BB468_3103 Depth=1
	s_delay_alu instid0(VALU_DEP_3)
	v_cndmask_b32_e32 v4, 0, v4, vcc_lo
	v_cndmask_b32_e64 v5, 0, v5, s1
	v_cndmask_b32_e64 v9, 0, v9, s2
	;; [unrolled: 1-line block ×7, first 2 shown]
; %bb.6223:                             ;   in Loop: Header=BB468_3103 Depth=1
	s_or_b32 exec_lo, exec_lo, s9
	v_lshlrev_b32_e32 v4, 16, v4
                                        ; implicit-def: $vgpr78
	s_delay_alu instid0(VALU_DEP_1) | instskip(NEXT) | instid1(VALU_DEP_1)
	v_mul_f32_e32 v4, v151, v4
	v_and_b32_e32 v12, 0x7f800000, v4
	s_delay_alu instid0(VALU_DEP_1) | instskip(NEXT) | instid1(VALU_DEP_1)
	v_cmp_ne_u32_e64 s9, 0x7f800000, v12
	s_and_saveexec_b32 s22, s9
	s_delay_alu instid0(SALU_CYCLE_1)
	s_xor_b32 s9, exec_lo, s22
; %bb.6224:                             ;   in Loop: Header=BB468_3103 Depth=1
	v_bfe_u32 v12, v4, 16, 1
	s_delay_alu instid0(VALU_DEP_1)
	v_add3_u32 v78, v4, v12, 0x7fff
                                        ; implicit-def: $vgpr4
; %bb.6225:                             ;   in Loop: Header=BB468_3103 Depth=1
	s_and_not1_saveexec_b32 s22, s9
; %bb.6226:                             ;   in Loop: Header=BB468_3103 Depth=1
	v_and_b32_e32 v12, 0xffff, v4
	v_or_b32_e32 v18, 0x10000, v4
	s_delay_alu instid0(VALU_DEP_2) | instskip(NEXT) | instid1(VALU_DEP_1)
	v_cmp_eq_u32_e64 s9, 0, v12
	v_cndmask_b32_e64 v78, v18, v4, s9
; %bb.6227:                             ;   in Loop: Header=BB468_3103 Depth=1
	s_or_b32 exec_lo, exec_lo, s22
	v_lshlrev_b32_e32 v4, 16, v5
                                        ; implicit-def: $vgpr79
	s_delay_alu instid0(VALU_DEP_1) | instskip(NEXT) | instid1(VALU_DEP_1)
	v_mul_f32_e32 v4, v160, v4
	v_and_b32_e32 v5, 0x7f800000, v4
	s_delay_alu instid0(VALU_DEP_1) | instskip(NEXT) | instid1(VALU_DEP_1)
	v_cmp_ne_u32_e64 s9, 0x7f800000, v5
	s_and_saveexec_b32 s22, s9
	s_delay_alu instid0(SALU_CYCLE_1)
	s_xor_b32 s9, exec_lo, s22
; %bb.6228:                             ;   in Loop: Header=BB468_3103 Depth=1
	v_bfe_u32 v5, v4, 16, 1
	s_delay_alu instid0(VALU_DEP_1)
	v_add3_u32 v79, v4, v5, 0x7fff
                                        ; implicit-def: $vgpr4
; %bb.6229:                             ;   in Loop: Header=BB468_3103 Depth=1
	s_and_not1_saveexec_b32 s22, s9
; %bb.6230:                             ;   in Loop: Header=BB468_3103 Depth=1
	v_and_b32_e32 v5, 0xffff, v4
	v_or_b32_e32 v12, 0x10000, v4
	s_delay_alu instid0(VALU_DEP_2) | instskip(NEXT) | instid1(VALU_DEP_1)
	v_cmp_eq_u32_e64 s9, 0, v5
	v_cndmask_b32_e64 v79, v12, v4, s9
; %bb.6231:                             ;   in Loop: Header=BB468_3103 Depth=1
	s_or_b32 exec_lo, exec_lo, s22
	v_lshlrev_b32_e32 v4, 16, v9
                                        ; implicit-def: $vgpr88
	s_delay_alu instid0(VALU_DEP_1) | instskip(NEXT) | instid1(VALU_DEP_1)
	v_mul_f32_e32 v4, v161, v4
	v_and_b32_e32 v5, 0x7f800000, v4
	s_delay_alu instid0(VALU_DEP_1) | instskip(NEXT) | instid1(VALU_DEP_1)
	v_cmp_ne_u32_e64 s9, 0x7f800000, v5
	s_and_saveexec_b32 s22, s9
	s_delay_alu instid0(SALU_CYCLE_1)
	s_xor_b32 s9, exec_lo, s22
; %bb.6232:                             ;   in Loop: Header=BB468_3103 Depth=1
	v_bfe_u32 v5, v4, 16, 1
	s_delay_alu instid0(VALU_DEP_1)
	v_add3_u32 v88, v4, v5, 0x7fff
                                        ; implicit-def: $vgpr4
; %bb.6233:                             ;   in Loop: Header=BB468_3103 Depth=1
	s_and_not1_saveexec_b32 s22, s9
; %bb.6234:                             ;   in Loop: Header=BB468_3103 Depth=1
	v_and_b32_e32 v5, 0xffff, v4
	v_or_b32_e32 v9, 0x10000, v4
	s_delay_alu instid0(VALU_DEP_2) | instskip(NEXT) | instid1(VALU_DEP_1)
	v_cmp_eq_u32_e64 s9, 0, v5
	v_cndmask_b32_e64 v88, v9, v4, s9
; %bb.6235:                             ;   in Loop: Header=BB468_3103 Depth=1
	s_or_b32 exec_lo, exec_lo, s22
	v_lshlrev_b32_e32 v4, 16, v8
                                        ; implicit-def: $vgpr89
	s_delay_alu instid0(VALU_DEP_1) | instskip(NEXT) | instid1(VALU_DEP_1)
	v_mul_f32_e32 v4, v162, v4
	v_and_b32_e32 v5, 0x7f800000, v4
	s_delay_alu instid0(VALU_DEP_1) | instskip(NEXT) | instid1(VALU_DEP_1)
	v_cmp_ne_u32_e64 s9, 0x7f800000, v5
	s_and_saveexec_b32 s22, s9
	s_delay_alu instid0(SALU_CYCLE_1)
	s_xor_b32 s9, exec_lo, s22
; %bb.6236:                             ;   in Loop: Header=BB468_3103 Depth=1
	v_bfe_u32 v5, v4, 16, 1
	s_delay_alu instid0(VALU_DEP_1)
	v_add3_u32 v89, v4, v5, 0x7fff
                                        ; implicit-def: $vgpr4
; %bb.6237:                             ;   in Loop: Header=BB468_3103 Depth=1
	s_and_not1_saveexec_b32 s22, s9
; %bb.6238:                             ;   in Loop: Header=BB468_3103 Depth=1
	v_and_b32_e32 v5, 0xffff, v4
	v_or_b32_e32 v8, 0x10000, v4
	s_delay_alu instid0(VALU_DEP_2) | instskip(NEXT) | instid1(VALU_DEP_1)
	v_cmp_eq_u32_e64 s9, 0, v5
	v_cndmask_b32_e64 v89, v8, v4, s9
; %bb.6239:                             ;   in Loop: Header=BB468_3103 Depth=1
	s_or_b32 exec_lo, exec_lo, s22
	v_lshlrev_b32_e32 v4, 16, v7
                                        ; implicit-def: $vgpr90
	s_delay_alu instid0(VALU_DEP_1) | instskip(NEXT) | instid1(VALU_DEP_1)
	v_mul_f32_e32 v4, v163, v4
	v_and_b32_e32 v5, 0x7f800000, v4
	s_delay_alu instid0(VALU_DEP_1) | instskip(NEXT) | instid1(VALU_DEP_1)
	v_cmp_ne_u32_e64 s9, 0x7f800000, v5
	s_and_saveexec_b32 s22, s9
	s_delay_alu instid0(SALU_CYCLE_1)
	s_xor_b32 s9, exec_lo, s22
; %bb.6240:                             ;   in Loop: Header=BB468_3103 Depth=1
	v_bfe_u32 v5, v4, 16, 1
	s_delay_alu instid0(VALU_DEP_1)
	v_add3_u32 v90, v4, v5, 0x7fff
                                        ; implicit-def: $vgpr4
; %bb.6241:                             ;   in Loop: Header=BB468_3103 Depth=1
	s_and_not1_saveexec_b32 s22, s9
; %bb.6242:                             ;   in Loop: Header=BB468_3103 Depth=1
	v_and_b32_e32 v5, 0xffff, v4
	v_or_b32_e32 v7, 0x10000, v4
	s_delay_alu instid0(VALU_DEP_2) | instskip(NEXT) | instid1(VALU_DEP_1)
	v_cmp_eq_u32_e64 s9, 0, v5
	v_cndmask_b32_e64 v90, v7, v4, s9
; %bb.6243:                             ;   in Loop: Header=BB468_3103 Depth=1
	s_or_b32 exec_lo, exec_lo, s22
	v_lshlrev_b32_e32 v4, 16, v6
                                        ; implicit-def: $vgpr91
	s_delay_alu instid0(VALU_DEP_1) | instskip(NEXT) | instid1(VALU_DEP_1)
	v_mul_f32_e32 v4, v164, v4
	v_and_b32_e32 v5, 0x7f800000, v4
	s_delay_alu instid0(VALU_DEP_1) | instskip(NEXT) | instid1(VALU_DEP_1)
	v_cmp_ne_u32_e64 s9, 0x7f800000, v5
	s_and_saveexec_b32 s22, s9
	s_delay_alu instid0(SALU_CYCLE_1)
	s_xor_b32 s9, exec_lo, s22
; %bb.6244:                             ;   in Loop: Header=BB468_3103 Depth=1
	v_bfe_u32 v5, v4, 16, 1
	s_delay_alu instid0(VALU_DEP_1)
	v_add3_u32 v91, v4, v5, 0x7fff
                                        ; implicit-def: $vgpr4
; %bb.6245:                             ;   in Loop: Header=BB468_3103 Depth=1
	s_and_not1_saveexec_b32 s22, s9
; %bb.6246:                             ;   in Loop: Header=BB468_3103 Depth=1
	v_and_b32_e32 v5, 0xffff, v4
	v_or_b32_e32 v6, 0x10000, v4
	s_delay_alu instid0(VALU_DEP_2) | instskip(NEXT) | instid1(VALU_DEP_1)
	v_cmp_eq_u32_e64 s9, 0, v5
	v_cndmask_b32_e64 v91, v6, v4, s9
; %bb.6247:                             ;   in Loop: Header=BB468_3103 Depth=1
	s_or_b32 exec_lo, exec_lo, s22
	v_lshlrev_b32_e32 v3, 16, v3
                                        ; implicit-def: $vgpr92
	s_delay_alu instid0(VALU_DEP_1) | instskip(NEXT) | instid1(VALU_DEP_1)
	v_mul_f32_e32 v3, v165, v3
	v_and_b32_e32 v4, 0x7f800000, v3
	s_delay_alu instid0(VALU_DEP_1) | instskip(NEXT) | instid1(VALU_DEP_1)
	v_cmp_ne_u32_e64 s9, 0x7f800000, v4
	s_and_saveexec_b32 s22, s9
	s_delay_alu instid0(SALU_CYCLE_1)
	s_xor_b32 s9, exec_lo, s22
; %bb.6248:                             ;   in Loop: Header=BB468_3103 Depth=1
	v_bfe_u32 v4, v3, 16, 1
	s_delay_alu instid0(VALU_DEP_1)
	v_add3_u32 v92, v3, v4, 0x7fff
                                        ; implicit-def: $vgpr3
; %bb.6249:                             ;   in Loop: Header=BB468_3103 Depth=1
	s_and_not1_saveexec_b32 s22, s9
; %bb.6250:                             ;   in Loop: Header=BB468_3103 Depth=1
	v_and_b32_e32 v4, 0xffff, v3
	v_or_b32_e32 v5, 0x10000, v3
	s_delay_alu instid0(VALU_DEP_2) | instskip(NEXT) | instid1(VALU_DEP_1)
	v_cmp_eq_u32_e64 s9, 0, v4
	v_cndmask_b32_e64 v92, v5, v3, s9
; %bb.6251:                             ;   in Loop: Header=BB468_3103 Depth=1
	s_or_b32 exec_lo, exec_lo, s22
	v_lshlrev_b32_e32 v2, 16, v2
                                        ; implicit-def: $vgpr93
	s_delay_alu instid0(VALU_DEP_1) | instskip(NEXT) | instid1(VALU_DEP_1)
	v_mul_f32_e32 v2, v166, v2
	v_and_b32_e32 v3, 0x7f800000, v2
	s_delay_alu instid0(VALU_DEP_1) | instskip(NEXT) | instid1(VALU_DEP_1)
	v_cmp_ne_u32_e64 s9, 0x7f800000, v3
	s_and_saveexec_b32 s22, s9
	s_delay_alu instid0(SALU_CYCLE_1)
	s_xor_b32 s9, exec_lo, s22
; %bb.6252:                             ;   in Loop: Header=BB468_3103 Depth=1
	v_bfe_u32 v3, v2, 16, 1
	s_delay_alu instid0(VALU_DEP_1)
	v_add3_u32 v93, v2, v3, 0x7fff
                                        ; implicit-def: $vgpr2
; %bb.6253:                             ;   in Loop: Header=BB468_3103 Depth=1
	s_and_not1_saveexec_b32 s22, s9
; %bb.6254:                             ;   in Loop: Header=BB468_3103 Depth=1
	v_and_b32_e32 v3, 0xffff, v2
	v_or_b32_e32 v4, 0x10000, v2
	s_delay_alu instid0(VALU_DEP_2) | instskip(NEXT) | instid1(VALU_DEP_1)
	v_cmp_eq_u32_e64 s9, 0, v3
	v_cndmask_b32_e64 v93, v4, v2, s9
; %bb.6255:                             ;   in Loop: Header=BB468_3103 Depth=1
	s_or_b32 exec_lo, exec_lo, s22
	scratch_load_b32 v2, off, s32 offset:848 ; 4-byte Folded Reload
	s_mov_b32 s22, exec_lo
	v_mov_b32_e32 v4, 0
	s_waitcnt vmcnt(0)
	v_add_co_u32 v2, s9, v0, v2
	s_delay_alu instid0(VALU_DEP_1) | instskip(SKIP_3) | instid1(VALU_DEP_1)
	v_add_co_ci_u32_e64 v3, s9, 0, v1, s9
	flat_load_b64 v[2:3], v[2:3]
	s_waitcnt vmcnt(0) lgkmcnt(0)
	v_and_b32_e32 v5, 0xff, v2
	v_cmpx_ne_u16_e32 0, v5
	s_cbranch_execz .LBB468_6263
; %bb.6256:                             ;   in Loop: Header=BB468_3103 Depth=1
	v_bfrev_b32_e32 v4, 1
	s_mov_b32 s23, exec_lo
	v_cmpx_ne_u16_e32 0x80, v5
	s_cbranch_execz .LBB468_6262
; %bb.6257:                             ;   in Loop: Header=BB468_3103 Depth=1
	v_and_b32_e32 v5, 0x7f, v2
	v_mov_b32_e32 v4, 0x7f800001
	s_mov_b32 s24, exec_lo
	s_delay_alu instid0(VALU_DEP_2)
	v_cmpx_ne_u32_e32 0x7f, v5
	s_cbranch_execz .LBB468_6261
; %bb.6258:                             ;   in Loop: Header=BB468_3103 Depth=1
	v_lshrrev_b32_e32 v4, 3, v5
	v_dual_mov_b32 v7, v3 :: v_dual_mov_b32 v6, v2
	s_mov_b32 s25, exec_lo
	v_cmpx_gt_u32_e32 8, v5
; %bb.6259:                             ;   in Loop: Header=BB468_3103 Depth=1
	v_and_b32_e32 v4, 7, v2
	s_delay_alu instid0(VALU_DEP_1) | instskip(NEXT) | instid1(VALU_DEP_1)
	v_clz_i32_u32_e32 v4, v4
	v_min_u32_e32 v4, 32, v4
	s_delay_alu instid0(VALU_DEP_1) | instskip(SKIP_1) | instid1(VALU_DEP_2)
	v_subrev_nc_u32_e32 v5, 28, v4
	v_sub_nc_u32_e32 v4, 29, v4
	v_lshlrev_b64 v[6:7], v5, v[2:3]
; %bb.6260:                             ;   in Loop: Header=BB468_3103 Depth=1
	s_or_b32 exec_lo, exec_lo, s25
	s_delay_alu instid0(VALU_DEP_1) | instskip(SKIP_2) | instid1(VALU_DEP_3)
	v_lshlrev_b32_e32 v5, 20, v6
	v_lshlrev_b32_e32 v6, 24, v2
	v_lshl_add_u32 v4, v4, 23, 0x3c000000
	v_and_b32_e32 v5, 0x700000, v5
	s_delay_alu instid0(VALU_DEP_3) | instskip(NEXT) | instid1(VALU_DEP_1)
	v_and_b32_e32 v6, 0x80000000, v6
	v_or3_b32 v4, v5, v6, v4
.LBB468_6261:                           ;   in Loop: Header=BB468_3103 Depth=1
	s_or_b32 exec_lo, exec_lo, s24
.LBB468_6262:                           ;   in Loop: Header=BB468_3103 Depth=1
	s_delay_alu instid0(SALU_CYCLE_1)
	s_or_b32 exec_lo, exec_lo, s23
.LBB468_6263:                           ;   in Loop: Header=BB468_3103 Depth=1
	s_delay_alu instid0(SALU_CYCLE_1) | instskip(NEXT) | instid1(VALU_DEP_1)
	s_or_b32 exec_lo, exec_lo, s22
	v_mul_f32_e32 v5, v26, v4
	s_delay_alu instid0(VALU_DEP_1) | instskip(NEXT) | instid1(VALU_DEP_1)
	v_and_b32_e32 v4, 0x7f800000, v5
	v_cmp_ne_u32_e64 s9, 0x7f800000, v4
                                        ; implicit-def: $vgpr4
	s_delay_alu instid0(VALU_DEP_1) | instskip(NEXT) | instid1(SALU_CYCLE_1)
	s_and_saveexec_b32 s22, s9
	s_xor_b32 s9, exec_lo, s22
; %bb.6264:                             ;   in Loop: Header=BB468_3103 Depth=1
	v_bfe_u32 v4, v5, 16, 1
	s_delay_alu instid0(VALU_DEP_1)
	v_add3_u32 v4, v5, v4, 0x7fff
                                        ; implicit-def: $vgpr5
; %bb.6265:                             ;   in Loop: Header=BB468_3103 Depth=1
	s_and_not1_saveexec_b32 s22, s9
; %bb.6266:                             ;   in Loop: Header=BB468_3103 Depth=1
	v_and_b32_e32 v4, 0xffff, v5
	v_or_b32_e32 v6, 0x10000, v5
	s_delay_alu instid0(VALU_DEP_2) | instskip(NEXT) | instid1(VALU_DEP_1)
	v_cmp_eq_u32_e64 s9, 0, v4
	v_cndmask_b32_e64 v4, v6, v5, s9
; %bb.6267:                             ;   in Loop: Header=BB468_3103 Depth=1
	s_or_b32 exec_lo, exec_lo, s22
	v_lshrrev_b16 v6, 8, v2
	v_mov_b32_e32 v5, 0
	s_mov_b32 s22, exec_lo
	s_delay_alu instid0(VALU_DEP_2)
	v_cmpx_ne_u16_e32 0, v6
	s_cbranch_execz .LBB468_6275
; %bb.6268:                             ;   in Loop: Header=BB468_3103 Depth=1
	v_bfrev_b32_e32 v5, 1
	s_mov_b32 s23, exec_lo
	v_cmpx_ne_u16_e32 0x80, v6
	s_cbranch_execz .LBB468_6274
; %bb.6269:                             ;   in Loop: Header=BB468_3103 Depth=1
	v_and_b32_e32 v6, 0xffff, v6
	v_mov_b32_e32 v5, 0x7f800001
	s_mov_b32 s24, exec_lo
	s_delay_alu instid0(VALU_DEP_2) | instskip(NEXT) | instid1(VALU_DEP_1)
	v_and_b32_e32 v8, 0x7f, v6
	v_cmpx_ne_u32_e32 0x7f, v8
	s_cbranch_execz .LBB468_6273
; %bb.6270:                             ;   in Loop: Header=BB468_3103 Depth=1
	v_and_b32_e32 v12, 7, v6
	v_lshrrev_b32_e32 v5, 3, v8
	s_mov_b32 s25, exec_lo
	s_delay_alu instid0(VALU_DEP_2)
	v_dual_mov_b32 v6, v12 :: v_dual_mov_b32 v7, v13
	v_cmpx_gt_u32_e32 8, v8
; %bb.6271:                             ;   in Loop: Header=BB468_3103 Depth=1
	v_clz_i32_u32_e32 v5, v12
	s_delay_alu instid0(VALU_DEP_1) | instskip(NEXT) | instid1(VALU_DEP_1)
	v_min_u32_e32 v5, 32, v5
	v_subrev_nc_u32_e32 v6, 28, v5
	v_sub_nc_u32_e32 v5, 29, v5
	s_delay_alu instid0(VALU_DEP_2) | instskip(NEXT) | instid1(VALU_DEP_1)
	v_lshlrev_b64 v[6:7], v6, v[12:13]
	v_and_b32_e32 v6, 7, v6
; %bb.6272:                             ;   in Loop: Header=BB468_3103 Depth=1
	s_or_b32 exec_lo, exec_lo, s25
	v_lshlrev_b32_e32 v7, 16, v2
	s_delay_alu instid0(VALU_DEP_2) | instskip(SKIP_1) | instid1(VALU_DEP_3)
	v_lshlrev_b32_e32 v6, 20, v6
	v_lshl_add_u32 v5, v5, 23, 0x3c000000
	v_and_b32_e32 v7, 0x80000000, v7
	s_delay_alu instid0(VALU_DEP_1)
	v_or3_b32 v5, v6, v7, v5
.LBB468_6273:                           ;   in Loop: Header=BB468_3103 Depth=1
	s_or_b32 exec_lo, exec_lo, s24
.LBB468_6274:                           ;   in Loop: Header=BB468_3103 Depth=1
	s_delay_alu instid0(SALU_CYCLE_1)
	s_or_b32 exec_lo, exec_lo, s23
.LBB468_6275:                           ;   in Loop: Header=BB468_3103 Depth=1
	s_delay_alu instid0(SALU_CYCLE_1) | instskip(NEXT) | instid1(VALU_DEP_1)
	s_or_b32 exec_lo, exec_lo, s22
	v_mul_f32_e32 v6, v26, v5
	s_delay_alu instid0(VALU_DEP_1) | instskip(NEXT) | instid1(VALU_DEP_1)
	v_and_b32_e32 v5, 0x7f800000, v6
	v_cmp_ne_u32_e64 s9, 0x7f800000, v5
                                        ; implicit-def: $vgpr5
	s_delay_alu instid0(VALU_DEP_1) | instskip(NEXT) | instid1(SALU_CYCLE_1)
	s_and_saveexec_b32 s22, s9
	s_xor_b32 s9, exec_lo, s22
; %bb.6276:                             ;   in Loop: Header=BB468_3103 Depth=1
	v_bfe_u32 v5, v6, 16, 1
	s_delay_alu instid0(VALU_DEP_1)
	v_add3_u32 v5, v6, v5, 0x7fff
                                        ; implicit-def: $vgpr6
; %bb.6277:                             ;   in Loop: Header=BB468_3103 Depth=1
	s_and_not1_saveexec_b32 s22, s9
; %bb.6278:                             ;   in Loop: Header=BB468_3103 Depth=1
	v_and_b32_e32 v5, 0xffff, v6
	v_or_b32_e32 v7, 0x10000, v6
	s_delay_alu instid0(VALU_DEP_2) | instskip(NEXT) | instid1(VALU_DEP_1)
	v_cmp_eq_u32_e64 s9, 0, v5
	v_cndmask_b32_e64 v5, v7, v6, s9
; %bb.6279:                             ;   in Loop: Header=BB468_3103 Depth=1
	s_or_b32 exec_lo, exec_lo, s22
	v_lshrrev_b32_e32 v8, 16, v2
	s_mov_b32 s22, exec_lo
	s_delay_alu instid0(VALU_DEP_1) | instskip(NEXT) | instid1(VALU_DEP_1)
	v_dual_mov_b32 v6, 0 :: v_dual_and_b32 v7, 0xff, v8
	v_cmpx_ne_u16_e32 0, v7
	s_cbranch_execz .LBB468_6287
; %bb.6280:                             ;   in Loop: Header=BB468_3103 Depth=1
	v_bfrev_b32_e32 v6, 1
	s_mov_b32 s23, exec_lo
	v_cmpx_ne_u16_e32 0x80, v7
	s_cbranch_execz .LBB468_6286
; %bb.6281:                             ;   in Loop: Header=BB468_3103 Depth=1
	v_bfe_u32 v9, v2, 16, 7
	v_mov_b32_e32 v6, 0x7f800001
	s_mov_b32 s24, exec_lo
	s_delay_alu instid0(VALU_DEP_2)
	v_cmpx_ne_u32_e32 0x7f, v9
	s_cbranch_execz .LBB468_6285
; %bb.6282:                             ;   in Loop: Header=BB468_3103 Depth=1
	v_and_b32_e32 v12, 7, v8
	s_mov_b32 s25, exec_lo
	s_delay_alu instid0(VALU_DEP_1)
	v_dual_mov_b32 v6, v12 :: v_dual_mov_b32 v7, v13
	v_lshrrev_b32_e32 v7, 3, v9
	v_cmpx_gt_u32_e32 8, v9
; %bb.6283:                             ;   in Loop: Header=BB468_3103 Depth=1
	v_clz_i32_u32_e32 v6, v12
	s_delay_alu instid0(VALU_DEP_1) | instskip(NEXT) | instid1(VALU_DEP_1)
	v_min_u32_e32 v9, 32, v6
	v_subrev_nc_u32_e32 v6, 28, v9
	s_delay_alu instid0(VALU_DEP_1) | instskip(SKIP_1) | instid1(VALU_DEP_2)
	v_lshlrev_b64 v[6:7], v6, v[12:13]
	v_sub_nc_u32_e32 v7, 29, v9
	v_and_b32_e32 v6, 7, v6
; %bb.6284:                             ;   in Loop: Header=BB468_3103 Depth=1
	s_or_b32 exec_lo, exec_lo, s25
	v_lshlrev_b32_e32 v8, 24, v8
	s_delay_alu instid0(VALU_DEP_2) | instskip(SKIP_1) | instid1(VALU_DEP_3)
	v_lshlrev_b32_e32 v6, 20, v6
	v_lshl_add_u32 v7, v7, 23, 0x3c000000
	v_and_b32_e32 v8, 0x80000000, v8
	s_delay_alu instid0(VALU_DEP_1)
	v_or3_b32 v6, v6, v8, v7
.LBB468_6285:                           ;   in Loop: Header=BB468_3103 Depth=1
	s_or_b32 exec_lo, exec_lo, s24
.LBB468_6286:                           ;   in Loop: Header=BB468_3103 Depth=1
	s_delay_alu instid0(SALU_CYCLE_1)
	s_or_b32 exec_lo, exec_lo, s23
.LBB468_6287:                           ;   in Loop: Header=BB468_3103 Depth=1
	s_delay_alu instid0(SALU_CYCLE_1) | instskip(NEXT) | instid1(VALU_DEP_1)
	s_or_b32 exec_lo, exec_lo, s22
	v_mul_f32_e32 v6, v26, v6
                                        ; implicit-def: $vgpr18
	s_delay_alu instid0(VALU_DEP_1) | instskip(NEXT) | instid1(VALU_DEP_1)
	v_and_b32_e32 v7, 0x7f800000, v6
	v_cmp_ne_u32_e64 s9, 0x7f800000, v7
	s_delay_alu instid0(VALU_DEP_1) | instskip(NEXT) | instid1(SALU_CYCLE_1)
	s_and_saveexec_b32 s22, s9
	s_xor_b32 s9, exec_lo, s22
; %bb.6288:                             ;   in Loop: Header=BB468_3103 Depth=1
	v_bfe_u32 v7, v6, 16, 1
	s_delay_alu instid0(VALU_DEP_1)
	v_add3_u32 v18, v6, v7, 0x7fff
                                        ; implicit-def: $vgpr6
; %bb.6289:                             ;   in Loop: Header=BB468_3103 Depth=1
	s_and_not1_saveexec_b32 s22, s9
; %bb.6290:                             ;   in Loop: Header=BB468_3103 Depth=1
	v_and_b32_e32 v7, 0xffff, v6
	v_or_b32_e32 v8, 0x10000, v6
	s_delay_alu instid0(VALU_DEP_2) | instskip(NEXT) | instid1(VALU_DEP_1)
	v_cmp_eq_u32_e64 s9, 0, v7
	v_cndmask_b32_e64 v18, v8, v6, s9
; %bb.6291:                             ;   in Loop: Header=BB468_3103 Depth=1
	s_or_b32 exec_lo, exec_lo, s22
	v_mov_b32_e32 v6, 0
	s_mov_b32 s22, exec_lo
	v_cmpx_lt_u32_e32 0xffffff, v2
	s_cbranch_execz .LBB468_6299
; %bb.6292:                             ;   in Loop: Header=BB468_3103 Depth=1
	v_lshrrev_b32_e32 v8, 24, v2
	v_bfrev_b32_e32 v6, 1
	s_mov_b32 s23, exec_lo
	s_delay_alu instid0(VALU_DEP_2)
	v_cmpx_ne_u32_e32 0x80, v8
	s_cbranch_execz .LBB468_6298
; %bb.6293:                             ;   in Loop: Header=BB468_3103 Depth=1
	v_bfe_u32 v9, v2, 24, 7
	v_mov_b32_e32 v6, 0x7f800001
	s_mov_b32 s24, exec_lo
	s_delay_alu instid0(VALU_DEP_2)
	v_cmpx_ne_u32_e32 0x7f, v9
	s_cbranch_execz .LBB468_6297
; %bb.6294:                             ;   in Loop: Header=BB468_3103 Depth=1
	v_and_b32_e32 v12, 7, v8
	s_mov_b32 s25, exec_lo
	s_delay_alu instid0(VALU_DEP_1)
	v_dual_mov_b32 v6, v12 :: v_dual_mov_b32 v7, v13
	v_lshrrev_b32_e32 v7, 3, v9
	v_cmpx_gt_u32_e32 8, v9
; %bb.6295:                             ;   in Loop: Header=BB468_3103 Depth=1
	v_clz_i32_u32_e32 v6, v12
	s_delay_alu instid0(VALU_DEP_1) | instskip(NEXT) | instid1(VALU_DEP_1)
	v_min_u32_e32 v9, 32, v6
	v_subrev_nc_u32_e32 v6, 28, v9
	s_delay_alu instid0(VALU_DEP_1) | instskip(SKIP_1) | instid1(VALU_DEP_2)
	v_lshlrev_b64 v[6:7], v6, v[12:13]
	v_sub_nc_u32_e32 v7, 29, v9
	v_and_b32_e32 v6, 7, v6
; %bb.6296:                             ;   in Loop: Header=BB468_3103 Depth=1
	s_or_b32 exec_lo, exec_lo, s25
	v_lshlrev_b32_e32 v8, 24, v8
	s_delay_alu instid0(VALU_DEP_2) | instskip(SKIP_1) | instid1(VALU_DEP_3)
	v_lshlrev_b32_e32 v6, 20, v6
	v_lshl_add_u32 v7, v7, 23, 0x3c000000
	v_and_b32_e32 v8, 0x80000000, v8
	s_delay_alu instid0(VALU_DEP_1)
	v_or3_b32 v6, v6, v8, v7
.LBB468_6297:                           ;   in Loop: Header=BB468_3103 Depth=1
	s_or_b32 exec_lo, exec_lo, s24
.LBB468_6298:                           ;   in Loop: Header=BB468_3103 Depth=1
	s_delay_alu instid0(SALU_CYCLE_1)
	s_or_b32 exec_lo, exec_lo, s23
.LBB468_6299:                           ;   in Loop: Header=BB468_3103 Depth=1
	s_delay_alu instid0(SALU_CYCLE_1) | instskip(NEXT) | instid1(VALU_DEP_1)
	s_or_b32 exec_lo, exec_lo, s22
	v_mul_f32_e32 v6, v26, v6
                                        ; implicit-def: $vgpr34
	s_delay_alu instid0(VALU_DEP_1) | instskip(NEXT) | instid1(VALU_DEP_1)
	v_and_b32_e32 v7, 0x7f800000, v6
	v_cmp_ne_u32_e64 s9, 0x7f800000, v7
	s_delay_alu instid0(VALU_DEP_1) | instskip(NEXT) | instid1(SALU_CYCLE_1)
	s_and_saveexec_b32 s22, s9
	s_xor_b32 s9, exec_lo, s22
; %bb.6300:                             ;   in Loop: Header=BB468_3103 Depth=1
	v_bfe_u32 v7, v6, 16, 1
	s_delay_alu instid0(VALU_DEP_1)
	v_add3_u32 v34, v6, v7, 0x7fff
                                        ; implicit-def: $vgpr6
; %bb.6301:                             ;   in Loop: Header=BB468_3103 Depth=1
	s_and_not1_saveexec_b32 s22, s9
; %bb.6302:                             ;   in Loop: Header=BB468_3103 Depth=1
	v_and_b32_e32 v7, 0xffff, v6
	v_or_b32_e32 v8, 0x10000, v6
	s_delay_alu instid0(VALU_DEP_2) | instskip(NEXT) | instid1(VALU_DEP_1)
	v_cmp_eq_u32_e64 s9, 0, v7
	v_cndmask_b32_e64 v34, v8, v6, s9
; %bb.6303:                             ;   in Loop: Header=BB468_3103 Depth=1
	s_or_b32 exec_lo, exec_lo, s22
	v_dual_mov_b32 v12, v3 :: v_dual_and_b32 v7, 0xff, v3
	v_mov_b32_e32 v6, 0
	s_mov_b32 s22, exec_lo
	s_delay_alu instid0(VALU_DEP_2)
	v_cmpx_ne_u16_e32 0, v7
	s_cbranch_execz .LBB468_6311
; %bb.6304:                             ;   in Loop: Header=BB468_3103 Depth=1
	v_bfrev_b32_e32 v6, 1
	s_mov_b32 s23, exec_lo
	v_cmpx_ne_u16_e32 0x80, v7
	s_cbranch_execz .LBB468_6310
; %bb.6305:                             ;   in Loop: Header=BB468_3103 Depth=1
	v_and_b32_e32 v8, 0x7f, v3
	v_mov_b32_e32 v6, 0x7f800001
	s_mov_b32 s24, exec_lo
	s_delay_alu instid0(VALU_DEP_2)
	v_cmpx_ne_u32_e32 0x7f, v8
	s_cbranch_execz .LBB468_6309
; %bb.6306:                             ;   in Loop: Header=BB468_3103 Depth=1
	v_dual_mov_b32 v6, v12 :: v_dual_mov_b32 v7, v13
	v_lshrrev_b32_e32 v7, 3, v8
	s_mov_b32 s25, exec_lo
	v_cmpx_gt_u32_e32 8, v8
; %bb.6307:                             ;   in Loop: Header=BB468_3103 Depth=1
	v_and_b32_e32 v6, 7, v3
	s_delay_alu instid0(VALU_DEP_1) | instskip(NEXT) | instid1(VALU_DEP_1)
	v_clz_i32_u32_e32 v6, v6
	v_min_u32_e32 v8, 32, v6
	s_delay_alu instid0(VALU_DEP_1) | instskip(NEXT) | instid1(VALU_DEP_1)
	v_subrev_nc_u32_e32 v6, 28, v8
	v_lshlrev_b64 v[6:7], v6, v[12:13]
	v_sub_nc_u32_e32 v7, 29, v8
; %bb.6308:                             ;   in Loop: Header=BB468_3103 Depth=1
	s_or_b32 exec_lo, exec_lo, s25
	s_delay_alu instid0(VALU_DEP_2) | instskip(SKIP_1) | instid1(VALU_DEP_3)
	v_lshlrev_b32_e32 v6, 20, v6
	v_lshlrev_b32_e32 v8, 24, v12
	v_lshl_add_u32 v7, v7, 23, 0x3c000000
	s_delay_alu instid0(VALU_DEP_3) | instskip(NEXT) | instid1(VALU_DEP_3)
	v_and_b32_e32 v6, 0x700000, v6
	v_and_b32_e32 v8, 0x80000000, v8
	s_delay_alu instid0(VALU_DEP_1)
	v_or3_b32 v6, v6, v8, v7
.LBB468_6309:                           ;   in Loop: Header=BB468_3103 Depth=1
	s_or_b32 exec_lo, exec_lo, s24
.LBB468_6310:                           ;   in Loop: Header=BB468_3103 Depth=1
	s_delay_alu instid0(SALU_CYCLE_1)
	s_or_b32 exec_lo, exec_lo, s23
.LBB468_6311:                           ;   in Loop: Header=BB468_3103 Depth=1
	s_delay_alu instid0(SALU_CYCLE_1) | instskip(NEXT) | instid1(VALU_DEP_1)
	s_or_b32 exec_lo, exec_lo, s22
	v_mul_f32_e32 v6, v26, v6
                                        ; implicit-def: $vgpr8
	s_delay_alu instid0(VALU_DEP_1) | instskip(NEXT) | instid1(VALU_DEP_1)
	v_and_b32_e32 v7, 0x7f800000, v6
	v_cmp_ne_u32_e64 s9, 0x7f800000, v7
	s_delay_alu instid0(VALU_DEP_1) | instskip(NEXT) | instid1(SALU_CYCLE_1)
	s_and_saveexec_b32 s22, s9
	s_xor_b32 s9, exec_lo, s22
; %bb.6312:                             ;   in Loop: Header=BB468_3103 Depth=1
	v_bfe_u32 v7, v6, 16, 1
	s_delay_alu instid0(VALU_DEP_1)
	v_add3_u32 v8, v6, v7, 0x7fff
                                        ; implicit-def: $vgpr6
; %bb.6313:                             ;   in Loop: Header=BB468_3103 Depth=1
	s_and_not1_saveexec_b32 s22, s9
; %bb.6314:                             ;   in Loop: Header=BB468_3103 Depth=1
	v_and_b32_e32 v7, 0xffff, v6
	v_or_b32_e32 v8, 0x10000, v6
	s_delay_alu instid0(VALU_DEP_2) | instskip(NEXT) | instid1(VALU_DEP_1)
	v_cmp_eq_u32_e64 s9, 0, v7
	v_cndmask_b32_e64 v8, v8, v6, s9
; %bb.6315:                             ;   in Loop: Header=BB468_3103 Depth=1
	s_or_b32 exec_lo, exec_lo, s22
	v_lshrrev_b16 v7, 8, v12
	v_mov_b32_e32 v6, 0
	s_mov_b32 s22, exec_lo
	s_delay_alu instid0(VALU_DEP_2)
	v_cmpx_ne_u16_e32 0, v7
	s_cbranch_execz .LBB468_6323
; %bb.6316:                             ;   in Loop: Header=BB468_3103 Depth=1
	v_bfrev_b32_e32 v6, 1
	s_mov_b32 s23, exec_lo
	v_cmpx_ne_u16_e32 0x80, v7
	s_cbranch_execz .LBB468_6322
; %bb.6317:                             ;   in Loop: Header=BB468_3103 Depth=1
	v_and_b32_e32 v7, 0xffff, v7
	v_mov_b32_e32 v6, 0x7f800001
	s_mov_b32 s24, exec_lo
	s_delay_alu instid0(VALU_DEP_2) | instskip(NEXT) | instid1(VALU_DEP_1)
	v_and_b32_e32 v35, 0x7f, v7
	v_cmpx_ne_u32_e32 0x7f, v35
	s_cbranch_execz .LBB468_6321
; %bb.6318:                             ;   in Loop: Header=BB468_3103 Depth=1
	v_dual_mov_b32 v7, v13 :: v_dual_and_b32 v6, 7, v7
	v_lshrrev_b32_e32 v9, 3, v35
	s_mov_b32 s25, exec_lo
	v_cmpx_gt_u32_e32 8, v35
; %bb.6319:                             ;   in Loop: Header=BB468_3103 Depth=1
	s_delay_alu instid0(VALU_DEP_3) | instskip(NEXT) | instid1(VALU_DEP_1)
	v_clz_i32_u32_e32 v9, v6
	v_min_u32_e32 v9, 32, v9
	s_delay_alu instid0(VALU_DEP_1) | instskip(SKIP_1) | instid1(VALU_DEP_2)
	v_subrev_nc_u32_e32 v35, 28, v9
	v_sub_nc_u32_e32 v9, 29, v9
	v_lshlrev_b64 v[6:7], v35, v[6:7]
	s_delay_alu instid0(VALU_DEP_1)
	v_and_b32_e32 v6, 7, v6
; %bb.6320:                             ;   in Loop: Header=BB468_3103 Depth=1
	s_or_b32 exec_lo, exec_lo, s25
	v_lshlrev_b32_e32 v7, 16, v12
	s_delay_alu instid0(VALU_DEP_2) | instskip(SKIP_1) | instid1(VALU_DEP_3)
	v_lshlrev_b32_e32 v6, 20, v6
	v_lshl_add_u32 v9, v9, 23, 0x3c000000
	v_and_b32_e32 v7, 0x80000000, v7
	s_delay_alu instid0(VALU_DEP_1)
	v_or3_b32 v6, v6, v7, v9
.LBB468_6321:                           ;   in Loop: Header=BB468_3103 Depth=1
	s_or_b32 exec_lo, exec_lo, s24
.LBB468_6322:                           ;   in Loop: Header=BB468_3103 Depth=1
	s_delay_alu instid0(SALU_CYCLE_1)
	s_or_b32 exec_lo, exec_lo, s23
.LBB468_6323:                           ;   in Loop: Header=BB468_3103 Depth=1
	s_delay_alu instid0(SALU_CYCLE_1) | instskip(NEXT) | instid1(VALU_DEP_1)
	s_or_b32 exec_lo, exec_lo, s22
	v_mul_f32_e32 v6, v26, v6
                                        ; implicit-def: $vgpr9
	s_delay_alu instid0(VALU_DEP_1) | instskip(NEXT) | instid1(VALU_DEP_1)
	v_and_b32_e32 v7, 0x7f800000, v6
	v_cmp_ne_u32_e64 s9, 0x7f800000, v7
	s_delay_alu instid0(VALU_DEP_1) | instskip(NEXT) | instid1(SALU_CYCLE_1)
	s_and_saveexec_b32 s22, s9
	s_xor_b32 s9, exec_lo, s22
; %bb.6324:                             ;   in Loop: Header=BB468_3103 Depth=1
	v_bfe_u32 v7, v6, 16, 1
	s_delay_alu instid0(VALU_DEP_1)
	v_add3_u32 v9, v6, v7, 0x7fff
                                        ; implicit-def: $vgpr6
; %bb.6325:                             ;   in Loop: Header=BB468_3103 Depth=1
	s_and_not1_saveexec_b32 s22, s9
; %bb.6326:                             ;   in Loop: Header=BB468_3103 Depth=1
	v_and_b32_e32 v7, 0xffff, v6
	v_or_b32_e32 v9, 0x10000, v6
	s_delay_alu instid0(VALU_DEP_2) | instskip(NEXT) | instid1(VALU_DEP_1)
	v_cmp_eq_u32_e64 s9, 0, v7
	v_cndmask_b32_e64 v9, v9, v6, s9
; %bb.6327:                             ;   in Loop: Header=BB468_3103 Depth=1
	s_or_b32 exec_lo, exec_lo, s22
	v_lshrrev_b32_e32 v35, 16, v3
	s_mov_b32 s22, exec_lo
	s_delay_alu instid0(VALU_DEP_1) | instskip(NEXT) | instid1(VALU_DEP_1)
	v_dual_mov_b32 v6, 0 :: v_dual_and_b32 v7, 0xff, v35
	v_cmpx_ne_u16_e32 0, v7
	s_cbranch_execz .LBB468_6335
; %bb.6328:                             ;   in Loop: Header=BB468_3103 Depth=1
	v_bfrev_b32_e32 v6, 1
	s_mov_b32 s23, exec_lo
	v_cmpx_ne_u16_e32 0x80, v7
	s_cbranch_execz .LBB468_6334
; %bb.6329:                             ;   in Loop: Header=BB468_3103 Depth=1
	v_bfe_u32 v36, v3, 16, 7
	v_mov_b32_e32 v6, 0x7f800001
	s_mov_b32 s24, exec_lo
	s_delay_alu instid0(VALU_DEP_2)
	v_cmpx_ne_u32_e32 0x7f, v36
	s_cbranch_execz .LBB468_6333
; %bb.6330:                             ;   in Loop: Header=BB468_3103 Depth=1
	v_and_b32_e32 v12, 7, v35
	s_mov_b32 s25, exec_lo
	s_delay_alu instid0(VALU_DEP_1)
	v_dual_mov_b32 v6, v12 :: v_dual_mov_b32 v7, v13
	v_lshrrev_b32_e32 v7, 3, v36
	v_cmpx_gt_u32_e32 8, v36
; %bb.6331:                             ;   in Loop: Header=BB468_3103 Depth=1
	v_clz_i32_u32_e32 v6, v12
	s_delay_alu instid0(VALU_DEP_1) | instskip(NEXT) | instid1(VALU_DEP_1)
	v_min_u32_e32 v36, 32, v6
	v_subrev_nc_u32_e32 v6, 28, v36
	s_delay_alu instid0(VALU_DEP_1) | instskip(SKIP_1) | instid1(VALU_DEP_2)
	v_lshlrev_b64 v[6:7], v6, v[12:13]
	v_sub_nc_u32_e32 v7, 29, v36
	v_and_b32_e32 v6, 7, v6
; %bb.6332:                             ;   in Loop: Header=BB468_3103 Depth=1
	s_or_b32 exec_lo, exec_lo, s25
	v_lshlrev_b32_e32 v12, 24, v35
	s_delay_alu instid0(VALU_DEP_2) | instskip(SKIP_1) | instid1(VALU_DEP_3)
	v_lshlrev_b32_e32 v6, 20, v6
	v_lshl_add_u32 v7, v7, 23, 0x3c000000
	v_and_b32_e32 v12, 0x80000000, v12
	s_delay_alu instid0(VALU_DEP_1)
	v_or3_b32 v6, v6, v12, v7
.LBB468_6333:                           ;   in Loop: Header=BB468_3103 Depth=1
	s_or_b32 exec_lo, exec_lo, s24
.LBB468_6334:                           ;   in Loop: Header=BB468_3103 Depth=1
	s_delay_alu instid0(SALU_CYCLE_1)
	s_or_b32 exec_lo, exec_lo, s23
.LBB468_6335:                           ;   in Loop: Header=BB468_3103 Depth=1
	s_delay_alu instid0(SALU_CYCLE_1) | instskip(NEXT) | instid1(VALU_DEP_1)
	s_or_b32 exec_lo, exec_lo, s22
	v_mul_f32_e32 v6, v26, v6
                                        ; implicit-def: $vgpr35
	s_delay_alu instid0(VALU_DEP_1) | instskip(NEXT) | instid1(VALU_DEP_1)
	v_and_b32_e32 v7, 0x7f800000, v6
	v_cmp_ne_u32_e64 s9, 0x7f800000, v7
	s_delay_alu instid0(VALU_DEP_1) | instskip(NEXT) | instid1(SALU_CYCLE_1)
	s_and_saveexec_b32 s22, s9
	s_xor_b32 s9, exec_lo, s22
; %bb.6336:                             ;   in Loop: Header=BB468_3103 Depth=1
	v_bfe_u32 v7, v6, 16, 1
	s_delay_alu instid0(VALU_DEP_1)
	v_add3_u32 v35, v6, v7, 0x7fff
                                        ; implicit-def: $vgpr6
; %bb.6337:                             ;   in Loop: Header=BB468_3103 Depth=1
	s_and_not1_saveexec_b32 s22, s9
; %bb.6338:                             ;   in Loop: Header=BB468_3103 Depth=1
	v_and_b32_e32 v7, 0xffff, v6
	v_or_b32_e32 v12, 0x10000, v6
	s_delay_alu instid0(VALU_DEP_2) | instskip(NEXT) | instid1(VALU_DEP_1)
	v_cmp_eq_u32_e64 s9, 0, v7
	v_cndmask_b32_e64 v35, v12, v6, s9
; %bb.6339:                             ;   in Loop: Header=BB468_3103 Depth=1
	s_or_b32 exec_lo, exec_lo, s22
	v_cmp_lt_u64_e64 s9, s[12:13], v[2:3]
	v_mov_b32_e32 v2, 0
	s_delay_alu instid0(VALU_DEP_2)
	s_and_saveexec_b32 s22, s9
	s_cbranch_execz .LBB468_6347
; %bb.6340:                             ;   in Loop: Header=BB468_3103 Depth=1
	v_lshrrev_b32_e32 v6, 24, v3
	v_bfrev_b32_e32 v2, 1
	s_mov_b32 s23, exec_lo
	s_delay_alu instid0(VALU_DEP_2)
	v_cmpx_ne_u32_e32 0x80, v6
	s_cbranch_execz .LBB468_6346
; %bb.6341:                             ;   in Loop: Header=BB468_3103 Depth=1
	v_bfe_u32 v7, v3, 24, 7
	v_mov_b32_e32 v2, 0x7f800001
	s_mov_b32 s24, exec_lo
	s_delay_alu instid0(VALU_DEP_2)
	v_cmpx_ne_u32_e32 0x7f, v7
	s_cbranch_execz .LBB468_6345
; %bb.6342:                             ;   in Loop: Header=BB468_3103 Depth=1
	v_and_b32_e32 v12, 7, v6
	s_mov_b32 s25, exec_lo
	s_delay_alu instid0(VALU_DEP_1)
	v_dual_mov_b32 v2, v12 :: v_dual_mov_b32 v3, v13
	v_lshrrev_b32_e32 v3, 3, v7
	v_cmpx_gt_u32_e32 8, v7
; %bb.6343:                             ;   in Loop: Header=BB468_3103 Depth=1
	v_clz_i32_u32_e32 v2, v12
	s_delay_alu instid0(VALU_DEP_1) | instskip(NEXT) | instid1(VALU_DEP_1)
	v_min_u32_e32 v7, 32, v2
	v_subrev_nc_u32_e32 v2, 28, v7
	s_delay_alu instid0(VALU_DEP_1) | instskip(SKIP_1) | instid1(VALU_DEP_2)
	v_lshlrev_b64 v[2:3], v2, v[12:13]
	v_sub_nc_u32_e32 v3, 29, v7
	v_and_b32_e32 v2, 7, v2
; %bb.6344:                             ;   in Loop: Header=BB468_3103 Depth=1
	s_or_b32 exec_lo, exec_lo, s25
	v_lshlrev_b32_e32 v6, 24, v6
	s_delay_alu instid0(VALU_DEP_2) | instskip(SKIP_1) | instid1(VALU_DEP_3)
	v_lshlrev_b32_e32 v2, 20, v2
	v_lshl_add_u32 v3, v3, 23, 0x3c000000
	v_and_b32_e32 v6, 0x80000000, v6
	s_delay_alu instid0(VALU_DEP_1)
	v_or3_b32 v2, v2, v6, v3
.LBB468_6345:                           ;   in Loop: Header=BB468_3103 Depth=1
	s_or_b32 exec_lo, exec_lo, s24
.LBB468_6346:                           ;   in Loop: Header=BB468_3103 Depth=1
	s_delay_alu instid0(SALU_CYCLE_1)
	s_or_b32 exec_lo, exec_lo, s23
.LBB468_6347:                           ;   in Loop: Header=BB468_3103 Depth=1
	s_delay_alu instid0(SALU_CYCLE_1) | instskip(NEXT) | instid1(VALU_DEP_1)
	s_or_b32 exec_lo, exec_lo, s22
	v_mul_f32_e32 v3, v26, v2
	s_delay_alu instid0(VALU_DEP_1) | instskip(NEXT) | instid1(VALU_DEP_1)
	v_and_b32_e32 v2, 0x7f800000, v3
	v_cmp_ne_u32_e64 s9, 0x7f800000, v2
                                        ; implicit-def: $vgpr2
	s_delay_alu instid0(VALU_DEP_1) | instskip(NEXT) | instid1(SALU_CYCLE_1)
	s_and_saveexec_b32 s22, s9
	s_xor_b32 s9, exec_lo, s22
; %bb.6348:                             ;   in Loop: Header=BB468_3103 Depth=1
	v_bfe_u32 v2, v3, 16, 1
	s_delay_alu instid0(VALU_DEP_1)
	v_add3_u32 v2, v3, v2, 0x7fff
                                        ; implicit-def: $vgpr3
; %bb.6349:                             ;   in Loop: Header=BB468_3103 Depth=1
	s_and_not1_saveexec_b32 s22, s9
; %bb.6350:                             ;   in Loop: Header=BB468_3103 Depth=1
	v_and_b32_e32 v2, 0xffff, v3
	v_or_b32_e32 v6, 0x10000, v3
	s_delay_alu instid0(VALU_DEP_2) | instskip(NEXT) | instid1(VALU_DEP_1)
	v_cmp_eq_u32_e64 s9, 0, v2
	v_cndmask_b32_e64 v2, v6, v3, s9
; %bb.6351:                             ;   in Loop: Header=BB468_3103 Depth=1
	s_or_b32 exec_lo, exec_lo, s22
	v_lshrrev_b32_e32 v6, 16, v9
	v_lshrrev_b32_e32 v7, 16, v8
	;; [unrolled: 1-line block ×8, first 2 shown]
	s_and_saveexec_b32 s9, s3
; %bb.6352:                             ;   in Loop: Header=BB468_3103 Depth=1
	s_delay_alu instid0(VALU_DEP_3)
	v_cndmask_b32_e32 v4, 0, v4, vcc_lo
	v_cndmask_b32_e64 v5, 0, v5, s1
	v_cndmask_b32_e64 v9, 0, v9, s2
	;; [unrolled: 1-line block ×7, first 2 shown]
; %bb.6353:                             ;   in Loop: Header=BB468_3103 Depth=1
	s_or_b32 exec_lo, exec_lo, s9
	v_lshlrev_b32_e32 v4, 16, v4
                                        ; implicit-def: $vgpr94
	s_delay_alu instid0(VALU_DEP_1) | instskip(NEXT) | instid1(VALU_DEP_1)
	v_mul_f32_e32 v4, v151, v4
	v_and_b32_e32 v12, 0x7f800000, v4
	s_delay_alu instid0(VALU_DEP_1) | instskip(NEXT) | instid1(VALU_DEP_1)
	v_cmp_ne_u32_e64 s9, 0x7f800000, v12
	s_and_saveexec_b32 s22, s9
	s_delay_alu instid0(SALU_CYCLE_1)
	s_xor_b32 s9, exec_lo, s22
; %bb.6354:                             ;   in Loop: Header=BB468_3103 Depth=1
	v_bfe_u32 v12, v4, 16, 1
	s_delay_alu instid0(VALU_DEP_1)
	v_add3_u32 v94, v4, v12, 0x7fff
                                        ; implicit-def: $vgpr4
; %bb.6355:                             ;   in Loop: Header=BB468_3103 Depth=1
	s_and_not1_saveexec_b32 s22, s9
; %bb.6356:                             ;   in Loop: Header=BB468_3103 Depth=1
	v_and_b32_e32 v12, 0xffff, v4
	v_or_b32_e32 v18, 0x10000, v4
	s_delay_alu instid0(VALU_DEP_2) | instskip(NEXT) | instid1(VALU_DEP_1)
	v_cmp_eq_u32_e64 s9, 0, v12
	v_cndmask_b32_e64 v94, v18, v4, s9
; %bb.6357:                             ;   in Loop: Header=BB468_3103 Depth=1
	s_or_b32 exec_lo, exec_lo, s22
	v_lshlrev_b32_e32 v4, 16, v5
                                        ; implicit-def: $vgpr95
	s_delay_alu instid0(VALU_DEP_1) | instskip(NEXT) | instid1(VALU_DEP_1)
	v_mul_f32_e32 v4, v160, v4
	v_and_b32_e32 v5, 0x7f800000, v4
	s_delay_alu instid0(VALU_DEP_1) | instskip(NEXT) | instid1(VALU_DEP_1)
	v_cmp_ne_u32_e64 s9, 0x7f800000, v5
	s_and_saveexec_b32 s22, s9
	s_delay_alu instid0(SALU_CYCLE_1)
	s_xor_b32 s9, exec_lo, s22
; %bb.6358:                             ;   in Loop: Header=BB468_3103 Depth=1
	v_bfe_u32 v5, v4, 16, 1
	s_delay_alu instid0(VALU_DEP_1)
	v_add3_u32 v95, v4, v5, 0x7fff
                                        ; implicit-def: $vgpr4
; %bb.6359:                             ;   in Loop: Header=BB468_3103 Depth=1
	s_and_not1_saveexec_b32 s22, s9
; %bb.6360:                             ;   in Loop: Header=BB468_3103 Depth=1
	v_and_b32_e32 v5, 0xffff, v4
	v_or_b32_e32 v12, 0x10000, v4
	s_delay_alu instid0(VALU_DEP_2) | instskip(NEXT) | instid1(VALU_DEP_1)
	v_cmp_eq_u32_e64 s9, 0, v5
	v_cndmask_b32_e64 v95, v12, v4, s9
; %bb.6361:                             ;   in Loop: Header=BB468_3103 Depth=1
	s_or_b32 exec_lo, exec_lo, s22
	v_lshlrev_b32_e32 v4, 16, v9
                                        ; implicit-def: $vgpr104
	s_delay_alu instid0(VALU_DEP_1) | instskip(NEXT) | instid1(VALU_DEP_1)
	v_mul_f32_e32 v4, v161, v4
	v_and_b32_e32 v5, 0x7f800000, v4
	s_delay_alu instid0(VALU_DEP_1) | instskip(NEXT) | instid1(VALU_DEP_1)
	v_cmp_ne_u32_e64 s9, 0x7f800000, v5
	s_and_saveexec_b32 s22, s9
	s_delay_alu instid0(SALU_CYCLE_1)
	s_xor_b32 s9, exec_lo, s22
; %bb.6362:                             ;   in Loop: Header=BB468_3103 Depth=1
	v_bfe_u32 v5, v4, 16, 1
	s_delay_alu instid0(VALU_DEP_1)
	v_add3_u32 v104, v4, v5, 0x7fff
                                        ; implicit-def: $vgpr4
; %bb.6363:                             ;   in Loop: Header=BB468_3103 Depth=1
	s_and_not1_saveexec_b32 s22, s9
; %bb.6364:                             ;   in Loop: Header=BB468_3103 Depth=1
	v_and_b32_e32 v5, 0xffff, v4
	v_or_b32_e32 v9, 0x10000, v4
	s_delay_alu instid0(VALU_DEP_2) | instskip(NEXT) | instid1(VALU_DEP_1)
	v_cmp_eq_u32_e64 s9, 0, v5
	v_cndmask_b32_e64 v104, v9, v4, s9
; %bb.6365:                             ;   in Loop: Header=BB468_3103 Depth=1
	s_or_b32 exec_lo, exec_lo, s22
	v_lshlrev_b32_e32 v4, 16, v8
                                        ; implicit-def: $vgpr105
	s_delay_alu instid0(VALU_DEP_1) | instskip(NEXT) | instid1(VALU_DEP_1)
	v_mul_f32_e32 v4, v162, v4
	v_and_b32_e32 v5, 0x7f800000, v4
	s_delay_alu instid0(VALU_DEP_1) | instskip(NEXT) | instid1(VALU_DEP_1)
	v_cmp_ne_u32_e64 s9, 0x7f800000, v5
	s_and_saveexec_b32 s22, s9
	s_delay_alu instid0(SALU_CYCLE_1)
	s_xor_b32 s9, exec_lo, s22
; %bb.6366:                             ;   in Loop: Header=BB468_3103 Depth=1
	v_bfe_u32 v5, v4, 16, 1
	s_delay_alu instid0(VALU_DEP_1)
	v_add3_u32 v105, v4, v5, 0x7fff
                                        ; implicit-def: $vgpr4
; %bb.6367:                             ;   in Loop: Header=BB468_3103 Depth=1
	s_and_not1_saveexec_b32 s22, s9
; %bb.6368:                             ;   in Loop: Header=BB468_3103 Depth=1
	v_and_b32_e32 v5, 0xffff, v4
	v_or_b32_e32 v8, 0x10000, v4
	s_delay_alu instid0(VALU_DEP_2) | instskip(NEXT) | instid1(VALU_DEP_1)
	v_cmp_eq_u32_e64 s9, 0, v5
	v_cndmask_b32_e64 v105, v8, v4, s9
; %bb.6369:                             ;   in Loop: Header=BB468_3103 Depth=1
	s_or_b32 exec_lo, exec_lo, s22
	v_lshlrev_b32_e32 v4, 16, v7
                                        ; implicit-def: $vgpr106
	s_delay_alu instid0(VALU_DEP_1) | instskip(NEXT) | instid1(VALU_DEP_1)
	v_mul_f32_e32 v4, v163, v4
	v_and_b32_e32 v5, 0x7f800000, v4
	s_delay_alu instid0(VALU_DEP_1) | instskip(NEXT) | instid1(VALU_DEP_1)
	v_cmp_ne_u32_e64 s9, 0x7f800000, v5
	s_and_saveexec_b32 s22, s9
	s_delay_alu instid0(SALU_CYCLE_1)
	s_xor_b32 s9, exec_lo, s22
; %bb.6370:                             ;   in Loop: Header=BB468_3103 Depth=1
	v_bfe_u32 v5, v4, 16, 1
	s_delay_alu instid0(VALU_DEP_1)
	v_add3_u32 v106, v4, v5, 0x7fff
                                        ; implicit-def: $vgpr4
; %bb.6371:                             ;   in Loop: Header=BB468_3103 Depth=1
	s_and_not1_saveexec_b32 s22, s9
; %bb.6372:                             ;   in Loop: Header=BB468_3103 Depth=1
	v_and_b32_e32 v5, 0xffff, v4
	v_or_b32_e32 v7, 0x10000, v4
	s_delay_alu instid0(VALU_DEP_2) | instskip(NEXT) | instid1(VALU_DEP_1)
	v_cmp_eq_u32_e64 s9, 0, v5
	v_cndmask_b32_e64 v106, v7, v4, s9
; %bb.6373:                             ;   in Loop: Header=BB468_3103 Depth=1
	s_or_b32 exec_lo, exec_lo, s22
	v_lshlrev_b32_e32 v4, 16, v6
                                        ; implicit-def: $vgpr107
	s_delay_alu instid0(VALU_DEP_1) | instskip(NEXT) | instid1(VALU_DEP_1)
	v_mul_f32_e32 v4, v164, v4
	v_and_b32_e32 v5, 0x7f800000, v4
	s_delay_alu instid0(VALU_DEP_1) | instskip(NEXT) | instid1(VALU_DEP_1)
	v_cmp_ne_u32_e64 s9, 0x7f800000, v5
	s_and_saveexec_b32 s22, s9
	s_delay_alu instid0(SALU_CYCLE_1)
	s_xor_b32 s9, exec_lo, s22
; %bb.6374:                             ;   in Loop: Header=BB468_3103 Depth=1
	v_bfe_u32 v5, v4, 16, 1
	s_delay_alu instid0(VALU_DEP_1)
	v_add3_u32 v107, v4, v5, 0x7fff
                                        ; implicit-def: $vgpr4
; %bb.6375:                             ;   in Loop: Header=BB468_3103 Depth=1
	s_and_not1_saveexec_b32 s22, s9
; %bb.6376:                             ;   in Loop: Header=BB468_3103 Depth=1
	v_and_b32_e32 v5, 0xffff, v4
	v_or_b32_e32 v6, 0x10000, v4
	s_delay_alu instid0(VALU_DEP_2) | instskip(NEXT) | instid1(VALU_DEP_1)
	v_cmp_eq_u32_e64 s9, 0, v5
	v_cndmask_b32_e64 v107, v6, v4, s9
; %bb.6377:                             ;   in Loop: Header=BB468_3103 Depth=1
	s_or_b32 exec_lo, exec_lo, s22
	v_lshlrev_b32_e32 v3, 16, v3
                                        ; implicit-def: $vgpr108
	s_delay_alu instid0(VALU_DEP_1) | instskip(NEXT) | instid1(VALU_DEP_1)
	v_mul_f32_e32 v3, v165, v3
	v_and_b32_e32 v4, 0x7f800000, v3
	s_delay_alu instid0(VALU_DEP_1) | instskip(NEXT) | instid1(VALU_DEP_1)
	v_cmp_ne_u32_e64 s9, 0x7f800000, v4
	s_and_saveexec_b32 s22, s9
	s_delay_alu instid0(SALU_CYCLE_1)
	s_xor_b32 s9, exec_lo, s22
; %bb.6378:                             ;   in Loop: Header=BB468_3103 Depth=1
	v_bfe_u32 v4, v3, 16, 1
	s_delay_alu instid0(VALU_DEP_1)
	v_add3_u32 v108, v3, v4, 0x7fff
                                        ; implicit-def: $vgpr3
; %bb.6379:                             ;   in Loop: Header=BB468_3103 Depth=1
	s_and_not1_saveexec_b32 s22, s9
; %bb.6380:                             ;   in Loop: Header=BB468_3103 Depth=1
	v_and_b32_e32 v4, 0xffff, v3
	v_or_b32_e32 v5, 0x10000, v3
	s_delay_alu instid0(VALU_DEP_2) | instskip(NEXT) | instid1(VALU_DEP_1)
	v_cmp_eq_u32_e64 s9, 0, v4
	v_cndmask_b32_e64 v108, v5, v3, s9
; %bb.6381:                             ;   in Loop: Header=BB468_3103 Depth=1
	s_or_b32 exec_lo, exec_lo, s22
	v_lshlrev_b32_e32 v2, 16, v2
                                        ; implicit-def: $vgpr109
	s_delay_alu instid0(VALU_DEP_1) | instskip(NEXT) | instid1(VALU_DEP_1)
	v_mul_f32_e32 v2, v166, v2
	v_and_b32_e32 v3, 0x7f800000, v2
	s_delay_alu instid0(VALU_DEP_1) | instskip(NEXT) | instid1(VALU_DEP_1)
	v_cmp_ne_u32_e64 s9, 0x7f800000, v3
	s_and_saveexec_b32 s22, s9
	s_delay_alu instid0(SALU_CYCLE_1)
	s_xor_b32 s9, exec_lo, s22
; %bb.6382:                             ;   in Loop: Header=BB468_3103 Depth=1
	v_bfe_u32 v3, v2, 16, 1
	s_delay_alu instid0(VALU_DEP_1)
	v_add3_u32 v109, v2, v3, 0x7fff
                                        ; implicit-def: $vgpr2
; %bb.6383:                             ;   in Loop: Header=BB468_3103 Depth=1
	s_and_not1_saveexec_b32 s22, s9
; %bb.6384:                             ;   in Loop: Header=BB468_3103 Depth=1
	v_and_b32_e32 v3, 0xffff, v2
	v_or_b32_e32 v4, 0x10000, v2
	s_delay_alu instid0(VALU_DEP_2) | instskip(NEXT) | instid1(VALU_DEP_1)
	v_cmp_eq_u32_e64 s9, 0, v3
	v_cndmask_b32_e64 v109, v4, v2, s9
; %bb.6385:                             ;   in Loop: Header=BB468_3103 Depth=1
	s_or_b32 exec_lo, exec_lo, s22
	scratch_load_b32 v2, off, s32 offset:852 ; 4-byte Folded Reload
	s_mov_b32 s22, exec_lo
	v_mov_b32_e32 v4, 0
	s_waitcnt vmcnt(0)
	v_add_co_u32 v2, s9, v0, v2
	s_delay_alu instid0(VALU_DEP_1) | instskip(SKIP_3) | instid1(VALU_DEP_1)
	v_add_co_ci_u32_e64 v3, s9, 0, v1, s9
	flat_load_b64 v[2:3], v[2:3]
	s_waitcnt vmcnt(0) lgkmcnt(0)
	v_and_b32_e32 v5, 0xff, v2
	v_cmpx_ne_u16_e32 0, v5
	s_cbranch_execz .LBB468_6393
; %bb.6386:                             ;   in Loop: Header=BB468_3103 Depth=1
	v_bfrev_b32_e32 v4, 1
	s_mov_b32 s23, exec_lo
	v_cmpx_ne_u16_e32 0x80, v5
	s_cbranch_execz .LBB468_6392
; %bb.6387:                             ;   in Loop: Header=BB468_3103 Depth=1
	v_and_b32_e32 v5, 0x7f, v2
	v_mov_b32_e32 v4, 0x7f800001
	s_mov_b32 s24, exec_lo
	s_delay_alu instid0(VALU_DEP_2)
	v_cmpx_ne_u32_e32 0x7f, v5
	s_cbranch_execz .LBB468_6391
; %bb.6388:                             ;   in Loop: Header=BB468_3103 Depth=1
	v_lshrrev_b32_e32 v4, 3, v5
	v_dual_mov_b32 v7, v3 :: v_dual_mov_b32 v6, v2
	s_mov_b32 s25, exec_lo
	v_cmpx_gt_u32_e32 8, v5
; %bb.6389:                             ;   in Loop: Header=BB468_3103 Depth=1
	v_and_b32_e32 v4, 7, v2
	s_delay_alu instid0(VALU_DEP_1) | instskip(NEXT) | instid1(VALU_DEP_1)
	v_clz_i32_u32_e32 v4, v4
	v_min_u32_e32 v4, 32, v4
	s_delay_alu instid0(VALU_DEP_1) | instskip(SKIP_1) | instid1(VALU_DEP_2)
	v_subrev_nc_u32_e32 v5, 28, v4
	v_sub_nc_u32_e32 v4, 29, v4
	v_lshlrev_b64 v[6:7], v5, v[2:3]
; %bb.6390:                             ;   in Loop: Header=BB468_3103 Depth=1
	s_or_b32 exec_lo, exec_lo, s25
	s_delay_alu instid0(VALU_DEP_1) | instskip(SKIP_2) | instid1(VALU_DEP_3)
	v_lshlrev_b32_e32 v5, 20, v6
	v_lshlrev_b32_e32 v6, 24, v2
	v_lshl_add_u32 v4, v4, 23, 0x3c000000
	v_and_b32_e32 v5, 0x700000, v5
	s_delay_alu instid0(VALU_DEP_3) | instskip(NEXT) | instid1(VALU_DEP_1)
	v_and_b32_e32 v6, 0x80000000, v6
	v_or3_b32 v4, v5, v6, v4
.LBB468_6391:                           ;   in Loop: Header=BB468_3103 Depth=1
	s_or_b32 exec_lo, exec_lo, s24
.LBB468_6392:                           ;   in Loop: Header=BB468_3103 Depth=1
	s_delay_alu instid0(SALU_CYCLE_1)
	s_or_b32 exec_lo, exec_lo, s23
.LBB468_6393:                           ;   in Loop: Header=BB468_3103 Depth=1
	s_delay_alu instid0(SALU_CYCLE_1) | instskip(NEXT) | instid1(VALU_DEP_1)
	s_or_b32 exec_lo, exec_lo, s22
	v_mul_f32_e32 v5, v26, v4
	s_delay_alu instid0(VALU_DEP_1) | instskip(NEXT) | instid1(VALU_DEP_1)
	v_and_b32_e32 v4, 0x7f800000, v5
	v_cmp_ne_u32_e64 s9, 0x7f800000, v4
                                        ; implicit-def: $vgpr4
	s_delay_alu instid0(VALU_DEP_1) | instskip(NEXT) | instid1(SALU_CYCLE_1)
	s_and_saveexec_b32 s22, s9
	s_xor_b32 s9, exec_lo, s22
; %bb.6394:                             ;   in Loop: Header=BB468_3103 Depth=1
	v_bfe_u32 v4, v5, 16, 1
	s_delay_alu instid0(VALU_DEP_1)
	v_add3_u32 v4, v5, v4, 0x7fff
                                        ; implicit-def: $vgpr5
; %bb.6395:                             ;   in Loop: Header=BB468_3103 Depth=1
	s_and_not1_saveexec_b32 s22, s9
; %bb.6396:                             ;   in Loop: Header=BB468_3103 Depth=1
	v_and_b32_e32 v4, 0xffff, v5
	v_or_b32_e32 v6, 0x10000, v5
	s_delay_alu instid0(VALU_DEP_2) | instskip(NEXT) | instid1(VALU_DEP_1)
	v_cmp_eq_u32_e64 s9, 0, v4
	v_cndmask_b32_e64 v4, v6, v5, s9
; %bb.6397:                             ;   in Loop: Header=BB468_3103 Depth=1
	s_or_b32 exec_lo, exec_lo, s22
	v_lshrrev_b16 v6, 8, v2
	v_mov_b32_e32 v5, 0
	s_mov_b32 s22, exec_lo
	s_delay_alu instid0(VALU_DEP_2)
	v_cmpx_ne_u16_e32 0, v6
	s_cbranch_execz .LBB468_6405
; %bb.6398:                             ;   in Loop: Header=BB468_3103 Depth=1
	v_bfrev_b32_e32 v5, 1
	s_mov_b32 s23, exec_lo
	v_cmpx_ne_u16_e32 0x80, v6
	s_cbranch_execz .LBB468_6404
; %bb.6399:                             ;   in Loop: Header=BB468_3103 Depth=1
	v_and_b32_e32 v6, 0xffff, v6
	v_mov_b32_e32 v5, 0x7f800001
	s_mov_b32 s24, exec_lo
	s_delay_alu instid0(VALU_DEP_2) | instskip(NEXT) | instid1(VALU_DEP_1)
	v_and_b32_e32 v8, 0x7f, v6
	v_cmpx_ne_u32_e32 0x7f, v8
	s_cbranch_execz .LBB468_6403
; %bb.6400:                             ;   in Loop: Header=BB468_3103 Depth=1
	v_and_b32_e32 v12, 7, v6
	v_lshrrev_b32_e32 v5, 3, v8
	s_mov_b32 s25, exec_lo
	s_delay_alu instid0(VALU_DEP_2)
	v_dual_mov_b32 v6, v12 :: v_dual_mov_b32 v7, v13
	v_cmpx_gt_u32_e32 8, v8
; %bb.6401:                             ;   in Loop: Header=BB468_3103 Depth=1
	v_clz_i32_u32_e32 v5, v12
	s_delay_alu instid0(VALU_DEP_1) | instskip(NEXT) | instid1(VALU_DEP_1)
	v_min_u32_e32 v5, 32, v5
	v_subrev_nc_u32_e32 v6, 28, v5
	v_sub_nc_u32_e32 v5, 29, v5
	s_delay_alu instid0(VALU_DEP_2) | instskip(NEXT) | instid1(VALU_DEP_1)
	v_lshlrev_b64 v[6:7], v6, v[12:13]
	v_and_b32_e32 v6, 7, v6
; %bb.6402:                             ;   in Loop: Header=BB468_3103 Depth=1
	s_or_b32 exec_lo, exec_lo, s25
	v_lshlrev_b32_e32 v7, 16, v2
	s_delay_alu instid0(VALU_DEP_2) | instskip(SKIP_1) | instid1(VALU_DEP_3)
	v_lshlrev_b32_e32 v6, 20, v6
	v_lshl_add_u32 v5, v5, 23, 0x3c000000
	v_and_b32_e32 v7, 0x80000000, v7
	s_delay_alu instid0(VALU_DEP_1)
	v_or3_b32 v5, v6, v7, v5
.LBB468_6403:                           ;   in Loop: Header=BB468_3103 Depth=1
	s_or_b32 exec_lo, exec_lo, s24
.LBB468_6404:                           ;   in Loop: Header=BB468_3103 Depth=1
	s_delay_alu instid0(SALU_CYCLE_1)
	s_or_b32 exec_lo, exec_lo, s23
.LBB468_6405:                           ;   in Loop: Header=BB468_3103 Depth=1
	s_delay_alu instid0(SALU_CYCLE_1) | instskip(NEXT) | instid1(VALU_DEP_1)
	s_or_b32 exec_lo, exec_lo, s22
	v_mul_f32_e32 v6, v26, v5
	s_delay_alu instid0(VALU_DEP_1) | instskip(NEXT) | instid1(VALU_DEP_1)
	v_and_b32_e32 v5, 0x7f800000, v6
	v_cmp_ne_u32_e64 s9, 0x7f800000, v5
                                        ; implicit-def: $vgpr5
	s_delay_alu instid0(VALU_DEP_1) | instskip(NEXT) | instid1(SALU_CYCLE_1)
	s_and_saveexec_b32 s22, s9
	s_xor_b32 s9, exec_lo, s22
; %bb.6406:                             ;   in Loop: Header=BB468_3103 Depth=1
	v_bfe_u32 v5, v6, 16, 1
	s_delay_alu instid0(VALU_DEP_1)
	v_add3_u32 v5, v6, v5, 0x7fff
                                        ; implicit-def: $vgpr6
; %bb.6407:                             ;   in Loop: Header=BB468_3103 Depth=1
	s_and_not1_saveexec_b32 s22, s9
; %bb.6408:                             ;   in Loop: Header=BB468_3103 Depth=1
	v_and_b32_e32 v5, 0xffff, v6
	v_or_b32_e32 v7, 0x10000, v6
	s_delay_alu instid0(VALU_DEP_2) | instskip(NEXT) | instid1(VALU_DEP_1)
	v_cmp_eq_u32_e64 s9, 0, v5
	v_cndmask_b32_e64 v5, v7, v6, s9
; %bb.6409:                             ;   in Loop: Header=BB468_3103 Depth=1
	s_or_b32 exec_lo, exec_lo, s22
	v_lshrrev_b32_e32 v8, 16, v2
	s_mov_b32 s22, exec_lo
	s_delay_alu instid0(VALU_DEP_1) | instskip(NEXT) | instid1(VALU_DEP_1)
	v_dual_mov_b32 v6, 0 :: v_dual_and_b32 v7, 0xff, v8
	v_cmpx_ne_u16_e32 0, v7
	s_cbranch_execz .LBB468_6417
; %bb.6410:                             ;   in Loop: Header=BB468_3103 Depth=1
	v_bfrev_b32_e32 v6, 1
	s_mov_b32 s23, exec_lo
	v_cmpx_ne_u16_e32 0x80, v7
	s_cbranch_execz .LBB468_6416
; %bb.6411:                             ;   in Loop: Header=BB468_3103 Depth=1
	v_bfe_u32 v9, v2, 16, 7
	v_mov_b32_e32 v6, 0x7f800001
	s_mov_b32 s24, exec_lo
	s_delay_alu instid0(VALU_DEP_2)
	v_cmpx_ne_u32_e32 0x7f, v9
	s_cbranch_execz .LBB468_6415
; %bb.6412:                             ;   in Loop: Header=BB468_3103 Depth=1
	v_and_b32_e32 v12, 7, v8
	s_mov_b32 s25, exec_lo
	s_delay_alu instid0(VALU_DEP_1)
	v_dual_mov_b32 v6, v12 :: v_dual_mov_b32 v7, v13
	v_lshrrev_b32_e32 v7, 3, v9
	v_cmpx_gt_u32_e32 8, v9
; %bb.6413:                             ;   in Loop: Header=BB468_3103 Depth=1
	v_clz_i32_u32_e32 v6, v12
	s_delay_alu instid0(VALU_DEP_1) | instskip(NEXT) | instid1(VALU_DEP_1)
	v_min_u32_e32 v9, 32, v6
	v_subrev_nc_u32_e32 v6, 28, v9
	s_delay_alu instid0(VALU_DEP_1) | instskip(SKIP_1) | instid1(VALU_DEP_2)
	v_lshlrev_b64 v[6:7], v6, v[12:13]
	v_sub_nc_u32_e32 v7, 29, v9
	v_and_b32_e32 v6, 7, v6
; %bb.6414:                             ;   in Loop: Header=BB468_3103 Depth=1
	s_or_b32 exec_lo, exec_lo, s25
	v_lshlrev_b32_e32 v8, 24, v8
	s_delay_alu instid0(VALU_DEP_2) | instskip(SKIP_1) | instid1(VALU_DEP_3)
	v_lshlrev_b32_e32 v6, 20, v6
	v_lshl_add_u32 v7, v7, 23, 0x3c000000
	v_and_b32_e32 v8, 0x80000000, v8
	s_delay_alu instid0(VALU_DEP_1)
	v_or3_b32 v6, v6, v8, v7
.LBB468_6415:                           ;   in Loop: Header=BB468_3103 Depth=1
	s_or_b32 exec_lo, exec_lo, s24
.LBB468_6416:                           ;   in Loop: Header=BB468_3103 Depth=1
	s_delay_alu instid0(SALU_CYCLE_1)
	s_or_b32 exec_lo, exec_lo, s23
.LBB468_6417:                           ;   in Loop: Header=BB468_3103 Depth=1
	s_delay_alu instid0(SALU_CYCLE_1) | instskip(NEXT) | instid1(VALU_DEP_1)
	s_or_b32 exec_lo, exec_lo, s22
	v_mul_f32_e32 v6, v26, v6
                                        ; implicit-def: $vgpr18
	s_delay_alu instid0(VALU_DEP_1) | instskip(NEXT) | instid1(VALU_DEP_1)
	v_and_b32_e32 v7, 0x7f800000, v6
	v_cmp_ne_u32_e64 s9, 0x7f800000, v7
	s_delay_alu instid0(VALU_DEP_1) | instskip(NEXT) | instid1(SALU_CYCLE_1)
	s_and_saveexec_b32 s22, s9
	s_xor_b32 s9, exec_lo, s22
; %bb.6418:                             ;   in Loop: Header=BB468_3103 Depth=1
	v_bfe_u32 v7, v6, 16, 1
	s_delay_alu instid0(VALU_DEP_1)
	v_add3_u32 v18, v6, v7, 0x7fff
                                        ; implicit-def: $vgpr6
; %bb.6419:                             ;   in Loop: Header=BB468_3103 Depth=1
	s_and_not1_saveexec_b32 s22, s9
; %bb.6420:                             ;   in Loop: Header=BB468_3103 Depth=1
	v_and_b32_e32 v7, 0xffff, v6
	v_or_b32_e32 v8, 0x10000, v6
	s_delay_alu instid0(VALU_DEP_2) | instskip(NEXT) | instid1(VALU_DEP_1)
	v_cmp_eq_u32_e64 s9, 0, v7
	v_cndmask_b32_e64 v18, v8, v6, s9
; %bb.6421:                             ;   in Loop: Header=BB468_3103 Depth=1
	s_or_b32 exec_lo, exec_lo, s22
	v_mov_b32_e32 v6, 0
	s_mov_b32 s22, exec_lo
	v_cmpx_lt_u32_e32 0xffffff, v2
	s_cbranch_execz .LBB468_6429
; %bb.6422:                             ;   in Loop: Header=BB468_3103 Depth=1
	v_lshrrev_b32_e32 v8, 24, v2
	v_bfrev_b32_e32 v6, 1
	s_mov_b32 s23, exec_lo
	s_delay_alu instid0(VALU_DEP_2)
	v_cmpx_ne_u32_e32 0x80, v8
	s_cbranch_execz .LBB468_6428
; %bb.6423:                             ;   in Loop: Header=BB468_3103 Depth=1
	v_bfe_u32 v9, v2, 24, 7
	v_mov_b32_e32 v6, 0x7f800001
	s_mov_b32 s24, exec_lo
	s_delay_alu instid0(VALU_DEP_2)
	v_cmpx_ne_u32_e32 0x7f, v9
	s_cbranch_execz .LBB468_6427
; %bb.6424:                             ;   in Loop: Header=BB468_3103 Depth=1
	v_and_b32_e32 v12, 7, v8
	s_mov_b32 s25, exec_lo
	s_delay_alu instid0(VALU_DEP_1)
	v_dual_mov_b32 v6, v12 :: v_dual_mov_b32 v7, v13
	v_lshrrev_b32_e32 v7, 3, v9
	v_cmpx_gt_u32_e32 8, v9
; %bb.6425:                             ;   in Loop: Header=BB468_3103 Depth=1
	v_clz_i32_u32_e32 v6, v12
	s_delay_alu instid0(VALU_DEP_1) | instskip(NEXT) | instid1(VALU_DEP_1)
	v_min_u32_e32 v9, 32, v6
	v_subrev_nc_u32_e32 v6, 28, v9
	s_delay_alu instid0(VALU_DEP_1) | instskip(SKIP_1) | instid1(VALU_DEP_2)
	v_lshlrev_b64 v[6:7], v6, v[12:13]
	v_sub_nc_u32_e32 v7, 29, v9
	v_and_b32_e32 v6, 7, v6
; %bb.6426:                             ;   in Loop: Header=BB468_3103 Depth=1
	s_or_b32 exec_lo, exec_lo, s25
	v_lshlrev_b32_e32 v8, 24, v8
	s_delay_alu instid0(VALU_DEP_2) | instskip(SKIP_1) | instid1(VALU_DEP_3)
	v_lshlrev_b32_e32 v6, 20, v6
	v_lshl_add_u32 v7, v7, 23, 0x3c000000
	v_and_b32_e32 v8, 0x80000000, v8
	s_delay_alu instid0(VALU_DEP_1)
	v_or3_b32 v6, v6, v8, v7
.LBB468_6427:                           ;   in Loop: Header=BB468_3103 Depth=1
	s_or_b32 exec_lo, exec_lo, s24
.LBB468_6428:                           ;   in Loop: Header=BB468_3103 Depth=1
	s_delay_alu instid0(SALU_CYCLE_1)
	s_or_b32 exec_lo, exec_lo, s23
.LBB468_6429:                           ;   in Loop: Header=BB468_3103 Depth=1
	s_delay_alu instid0(SALU_CYCLE_1) | instskip(NEXT) | instid1(VALU_DEP_1)
	s_or_b32 exec_lo, exec_lo, s22
	v_mul_f32_e32 v6, v26, v6
                                        ; implicit-def: $vgpr34
	s_delay_alu instid0(VALU_DEP_1) | instskip(NEXT) | instid1(VALU_DEP_1)
	v_and_b32_e32 v7, 0x7f800000, v6
	v_cmp_ne_u32_e64 s9, 0x7f800000, v7
	s_delay_alu instid0(VALU_DEP_1) | instskip(NEXT) | instid1(SALU_CYCLE_1)
	s_and_saveexec_b32 s22, s9
	s_xor_b32 s9, exec_lo, s22
; %bb.6430:                             ;   in Loop: Header=BB468_3103 Depth=1
	v_bfe_u32 v7, v6, 16, 1
	s_delay_alu instid0(VALU_DEP_1)
	v_add3_u32 v34, v6, v7, 0x7fff
                                        ; implicit-def: $vgpr6
; %bb.6431:                             ;   in Loop: Header=BB468_3103 Depth=1
	s_and_not1_saveexec_b32 s22, s9
; %bb.6432:                             ;   in Loop: Header=BB468_3103 Depth=1
	v_and_b32_e32 v7, 0xffff, v6
	v_or_b32_e32 v8, 0x10000, v6
	s_delay_alu instid0(VALU_DEP_2) | instskip(NEXT) | instid1(VALU_DEP_1)
	v_cmp_eq_u32_e64 s9, 0, v7
	v_cndmask_b32_e64 v34, v8, v6, s9
; %bb.6433:                             ;   in Loop: Header=BB468_3103 Depth=1
	s_or_b32 exec_lo, exec_lo, s22
	v_dual_mov_b32 v12, v3 :: v_dual_and_b32 v7, 0xff, v3
	v_mov_b32_e32 v6, 0
	s_mov_b32 s22, exec_lo
	s_delay_alu instid0(VALU_DEP_2)
	v_cmpx_ne_u16_e32 0, v7
	s_cbranch_execz .LBB468_6441
; %bb.6434:                             ;   in Loop: Header=BB468_3103 Depth=1
	v_bfrev_b32_e32 v6, 1
	s_mov_b32 s23, exec_lo
	v_cmpx_ne_u16_e32 0x80, v7
	s_cbranch_execz .LBB468_6440
; %bb.6435:                             ;   in Loop: Header=BB468_3103 Depth=1
	v_and_b32_e32 v8, 0x7f, v3
	v_mov_b32_e32 v6, 0x7f800001
	s_mov_b32 s24, exec_lo
	s_delay_alu instid0(VALU_DEP_2)
	v_cmpx_ne_u32_e32 0x7f, v8
	s_cbranch_execz .LBB468_6439
; %bb.6436:                             ;   in Loop: Header=BB468_3103 Depth=1
	v_dual_mov_b32 v6, v12 :: v_dual_mov_b32 v7, v13
	v_lshrrev_b32_e32 v7, 3, v8
	s_mov_b32 s25, exec_lo
	v_cmpx_gt_u32_e32 8, v8
; %bb.6437:                             ;   in Loop: Header=BB468_3103 Depth=1
	v_and_b32_e32 v6, 7, v3
	s_delay_alu instid0(VALU_DEP_1) | instskip(NEXT) | instid1(VALU_DEP_1)
	v_clz_i32_u32_e32 v6, v6
	v_min_u32_e32 v8, 32, v6
	s_delay_alu instid0(VALU_DEP_1) | instskip(NEXT) | instid1(VALU_DEP_1)
	v_subrev_nc_u32_e32 v6, 28, v8
	v_lshlrev_b64 v[6:7], v6, v[12:13]
	v_sub_nc_u32_e32 v7, 29, v8
; %bb.6438:                             ;   in Loop: Header=BB468_3103 Depth=1
	s_or_b32 exec_lo, exec_lo, s25
	s_delay_alu instid0(VALU_DEP_2) | instskip(SKIP_1) | instid1(VALU_DEP_3)
	v_lshlrev_b32_e32 v6, 20, v6
	v_lshlrev_b32_e32 v8, 24, v12
	v_lshl_add_u32 v7, v7, 23, 0x3c000000
	s_delay_alu instid0(VALU_DEP_3) | instskip(NEXT) | instid1(VALU_DEP_3)
	v_and_b32_e32 v6, 0x700000, v6
	v_and_b32_e32 v8, 0x80000000, v8
	s_delay_alu instid0(VALU_DEP_1)
	v_or3_b32 v6, v6, v8, v7
.LBB468_6439:                           ;   in Loop: Header=BB468_3103 Depth=1
	s_or_b32 exec_lo, exec_lo, s24
.LBB468_6440:                           ;   in Loop: Header=BB468_3103 Depth=1
	s_delay_alu instid0(SALU_CYCLE_1)
	s_or_b32 exec_lo, exec_lo, s23
.LBB468_6441:                           ;   in Loop: Header=BB468_3103 Depth=1
	s_delay_alu instid0(SALU_CYCLE_1) | instskip(NEXT) | instid1(VALU_DEP_1)
	s_or_b32 exec_lo, exec_lo, s22
	v_mul_f32_e32 v6, v26, v6
                                        ; implicit-def: $vgpr8
	s_delay_alu instid0(VALU_DEP_1) | instskip(NEXT) | instid1(VALU_DEP_1)
	v_and_b32_e32 v7, 0x7f800000, v6
	v_cmp_ne_u32_e64 s9, 0x7f800000, v7
	s_delay_alu instid0(VALU_DEP_1) | instskip(NEXT) | instid1(SALU_CYCLE_1)
	s_and_saveexec_b32 s22, s9
	s_xor_b32 s9, exec_lo, s22
; %bb.6442:                             ;   in Loop: Header=BB468_3103 Depth=1
	v_bfe_u32 v7, v6, 16, 1
	s_delay_alu instid0(VALU_DEP_1)
	v_add3_u32 v8, v6, v7, 0x7fff
                                        ; implicit-def: $vgpr6
; %bb.6443:                             ;   in Loop: Header=BB468_3103 Depth=1
	s_and_not1_saveexec_b32 s22, s9
; %bb.6444:                             ;   in Loop: Header=BB468_3103 Depth=1
	v_and_b32_e32 v7, 0xffff, v6
	v_or_b32_e32 v8, 0x10000, v6
	s_delay_alu instid0(VALU_DEP_2) | instskip(NEXT) | instid1(VALU_DEP_1)
	v_cmp_eq_u32_e64 s9, 0, v7
	v_cndmask_b32_e64 v8, v8, v6, s9
; %bb.6445:                             ;   in Loop: Header=BB468_3103 Depth=1
	s_or_b32 exec_lo, exec_lo, s22
	v_lshrrev_b16 v7, 8, v12
	v_mov_b32_e32 v6, 0
	s_mov_b32 s22, exec_lo
	s_delay_alu instid0(VALU_DEP_2)
	v_cmpx_ne_u16_e32 0, v7
	s_cbranch_execz .LBB468_6453
; %bb.6446:                             ;   in Loop: Header=BB468_3103 Depth=1
	v_bfrev_b32_e32 v6, 1
	s_mov_b32 s23, exec_lo
	v_cmpx_ne_u16_e32 0x80, v7
	s_cbranch_execz .LBB468_6452
; %bb.6447:                             ;   in Loop: Header=BB468_3103 Depth=1
	v_and_b32_e32 v7, 0xffff, v7
	v_mov_b32_e32 v6, 0x7f800001
	s_mov_b32 s24, exec_lo
	s_delay_alu instid0(VALU_DEP_2) | instskip(NEXT) | instid1(VALU_DEP_1)
	v_and_b32_e32 v35, 0x7f, v7
	v_cmpx_ne_u32_e32 0x7f, v35
	s_cbranch_execz .LBB468_6451
; %bb.6448:                             ;   in Loop: Header=BB468_3103 Depth=1
	v_dual_mov_b32 v7, v13 :: v_dual_and_b32 v6, 7, v7
	v_lshrrev_b32_e32 v9, 3, v35
	s_mov_b32 s25, exec_lo
	v_cmpx_gt_u32_e32 8, v35
; %bb.6449:                             ;   in Loop: Header=BB468_3103 Depth=1
	s_delay_alu instid0(VALU_DEP_3) | instskip(NEXT) | instid1(VALU_DEP_1)
	v_clz_i32_u32_e32 v9, v6
	v_min_u32_e32 v9, 32, v9
	s_delay_alu instid0(VALU_DEP_1) | instskip(SKIP_1) | instid1(VALU_DEP_2)
	v_subrev_nc_u32_e32 v35, 28, v9
	v_sub_nc_u32_e32 v9, 29, v9
	v_lshlrev_b64 v[6:7], v35, v[6:7]
	s_delay_alu instid0(VALU_DEP_1)
	v_and_b32_e32 v6, 7, v6
; %bb.6450:                             ;   in Loop: Header=BB468_3103 Depth=1
	s_or_b32 exec_lo, exec_lo, s25
	v_lshlrev_b32_e32 v7, 16, v12
	s_delay_alu instid0(VALU_DEP_2) | instskip(SKIP_1) | instid1(VALU_DEP_3)
	v_lshlrev_b32_e32 v6, 20, v6
	v_lshl_add_u32 v9, v9, 23, 0x3c000000
	v_and_b32_e32 v7, 0x80000000, v7
	s_delay_alu instid0(VALU_DEP_1)
	v_or3_b32 v6, v6, v7, v9
.LBB468_6451:                           ;   in Loop: Header=BB468_3103 Depth=1
	s_or_b32 exec_lo, exec_lo, s24
.LBB468_6452:                           ;   in Loop: Header=BB468_3103 Depth=1
	s_delay_alu instid0(SALU_CYCLE_1)
	s_or_b32 exec_lo, exec_lo, s23
.LBB468_6453:                           ;   in Loop: Header=BB468_3103 Depth=1
	s_delay_alu instid0(SALU_CYCLE_1) | instskip(NEXT) | instid1(VALU_DEP_1)
	s_or_b32 exec_lo, exec_lo, s22
	v_mul_f32_e32 v6, v26, v6
                                        ; implicit-def: $vgpr9
	s_delay_alu instid0(VALU_DEP_1) | instskip(NEXT) | instid1(VALU_DEP_1)
	v_and_b32_e32 v7, 0x7f800000, v6
	v_cmp_ne_u32_e64 s9, 0x7f800000, v7
	s_delay_alu instid0(VALU_DEP_1) | instskip(NEXT) | instid1(SALU_CYCLE_1)
	s_and_saveexec_b32 s22, s9
	s_xor_b32 s9, exec_lo, s22
; %bb.6454:                             ;   in Loop: Header=BB468_3103 Depth=1
	v_bfe_u32 v7, v6, 16, 1
	s_delay_alu instid0(VALU_DEP_1)
	v_add3_u32 v9, v6, v7, 0x7fff
                                        ; implicit-def: $vgpr6
; %bb.6455:                             ;   in Loop: Header=BB468_3103 Depth=1
	s_and_not1_saveexec_b32 s22, s9
; %bb.6456:                             ;   in Loop: Header=BB468_3103 Depth=1
	v_and_b32_e32 v7, 0xffff, v6
	v_or_b32_e32 v9, 0x10000, v6
	s_delay_alu instid0(VALU_DEP_2) | instskip(NEXT) | instid1(VALU_DEP_1)
	v_cmp_eq_u32_e64 s9, 0, v7
	v_cndmask_b32_e64 v9, v9, v6, s9
; %bb.6457:                             ;   in Loop: Header=BB468_3103 Depth=1
	s_or_b32 exec_lo, exec_lo, s22
	v_lshrrev_b32_e32 v35, 16, v3
	s_mov_b32 s22, exec_lo
	s_delay_alu instid0(VALU_DEP_1) | instskip(NEXT) | instid1(VALU_DEP_1)
	v_dual_mov_b32 v6, 0 :: v_dual_and_b32 v7, 0xff, v35
	v_cmpx_ne_u16_e32 0, v7
	s_cbranch_execz .LBB468_6465
; %bb.6458:                             ;   in Loop: Header=BB468_3103 Depth=1
	v_bfrev_b32_e32 v6, 1
	s_mov_b32 s23, exec_lo
	v_cmpx_ne_u16_e32 0x80, v7
	s_cbranch_execz .LBB468_6464
; %bb.6459:                             ;   in Loop: Header=BB468_3103 Depth=1
	v_bfe_u32 v36, v3, 16, 7
	v_mov_b32_e32 v6, 0x7f800001
	s_mov_b32 s24, exec_lo
	s_delay_alu instid0(VALU_DEP_2)
	v_cmpx_ne_u32_e32 0x7f, v36
	s_cbranch_execz .LBB468_6463
; %bb.6460:                             ;   in Loop: Header=BB468_3103 Depth=1
	v_and_b32_e32 v12, 7, v35
	s_mov_b32 s25, exec_lo
	s_delay_alu instid0(VALU_DEP_1)
	v_dual_mov_b32 v6, v12 :: v_dual_mov_b32 v7, v13
	v_lshrrev_b32_e32 v7, 3, v36
	v_cmpx_gt_u32_e32 8, v36
; %bb.6461:                             ;   in Loop: Header=BB468_3103 Depth=1
	v_clz_i32_u32_e32 v6, v12
	s_delay_alu instid0(VALU_DEP_1) | instskip(NEXT) | instid1(VALU_DEP_1)
	v_min_u32_e32 v36, 32, v6
	v_subrev_nc_u32_e32 v6, 28, v36
	s_delay_alu instid0(VALU_DEP_1) | instskip(SKIP_1) | instid1(VALU_DEP_2)
	v_lshlrev_b64 v[6:7], v6, v[12:13]
	v_sub_nc_u32_e32 v7, 29, v36
	v_and_b32_e32 v6, 7, v6
; %bb.6462:                             ;   in Loop: Header=BB468_3103 Depth=1
	s_or_b32 exec_lo, exec_lo, s25
	v_lshlrev_b32_e32 v12, 24, v35
	s_delay_alu instid0(VALU_DEP_2) | instskip(SKIP_1) | instid1(VALU_DEP_3)
	v_lshlrev_b32_e32 v6, 20, v6
	v_lshl_add_u32 v7, v7, 23, 0x3c000000
	v_and_b32_e32 v12, 0x80000000, v12
	s_delay_alu instid0(VALU_DEP_1)
	v_or3_b32 v6, v6, v12, v7
.LBB468_6463:                           ;   in Loop: Header=BB468_3103 Depth=1
	s_or_b32 exec_lo, exec_lo, s24
.LBB468_6464:                           ;   in Loop: Header=BB468_3103 Depth=1
	s_delay_alu instid0(SALU_CYCLE_1)
	s_or_b32 exec_lo, exec_lo, s23
.LBB468_6465:                           ;   in Loop: Header=BB468_3103 Depth=1
	s_delay_alu instid0(SALU_CYCLE_1) | instskip(NEXT) | instid1(VALU_DEP_1)
	s_or_b32 exec_lo, exec_lo, s22
	v_mul_f32_e32 v6, v26, v6
                                        ; implicit-def: $vgpr35
	s_delay_alu instid0(VALU_DEP_1) | instskip(NEXT) | instid1(VALU_DEP_1)
	v_and_b32_e32 v7, 0x7f800000, v6
	v_cmp_ne_u32_e64 s9, 0x7f800000, v7
	s_delay_alu instid0(VALU_DEP_1) | instskip(NEXT) | instid1(SALU_CYCLE_1)
	s_and_saveexec_b32 s22, s9
	s_xor_b32 s9, exec_lo, s22
; %bb.6466:                             ;   in Loop: Header=BB468_3103 Depth=1
	v_bfe_u32 v7, v6, 16, 1
	s_delay_alu instid0(VALU_DEP_1)
	v_add3_u32 v35, v6, v7, 0x7fff
                                        ; implicit-def: $vgpr6
; %bb.6467:                             ;   in Loop: Header=BB468_3103 Depth=1
	s_and_not1_saveexec_b32 s22, s9
; %bb.6468:                             ;   in Loop: Header=BB468_3103 Depth=1
	v_and_b32_e32 v7, 0xffff, v6
	v_or_b32_e32 v12, 0x10000, v6
	s_delay_alu instid0(VALU_DEP_2) | instskip(NEXT) | instid1(VALU_DEP_1)
	v_cmp_eq_u32_e64 s9, 0, v7
	v_cndmask_b32_e64 v35, v12, v6, s9
; %bb.6469:                             ;   in Loop: Header=BB468_3103 Depth=1
	s_or_b32 exec_lo, exec_lo, s22
	v_cmp_lt_u64_e64 s9, s[12:13], v[2:3]
	v_mov_b32_e32 v2, 0
	s_delay_alu instid0(VALU_DEP_2)
	s_and_saveexec_b32 s22, s9
	s_cbranch_execz .LBB468_6477
; %bb.6470:                             ;   in Loop: Header=BB468_3103 Depth=1
	v_lshrrev_b32_e32 v6, 24, v3
	v_bfrev_b32_e32 v2, 1
	s_mov_b32 s23, exec_lo
	s_delay_alu instid0(VALU_DEP_2)
	v_cmpx_ne_u32_e32 0x80, v6
	s_cbranch_execz .LBB468_6476
; %bb.6471:                             ;   in Loop: Header=BB468_3103 Depth=1
	v_bfe_u32 v7, v3, 24, 7
	v_mov_b32_e32 v2, 0x7f800001
	s_mov_b32 s24, exec_lo
	s_delay_alu instid0(VALU_DEP_2)
	v_cmpx_ne_u32_e32 0x7f, v7
	s_cbranch_execz .LBB468_6475
; %bb.6472:                             ;   in Loop: Header=BB468_3103 Depth=1
	v_and_b32_e32 v12, 7, v6
	s_mov_b32 s25, exec_lo
	s_delay_alu instid0(VALU_DEP_1)
	v_dual_mov_b32 v2, v12 :: v_dual_mov_b32 v3, v13
	v_lshrrev_b32_e32 v3, 3, v7
	v_cmpx_gt_u32_e32 8, v7
; %bb.6473:                             ;   in Loop: Header=BB468_3103 Depth=1
	v_clz_i32_u32_e32 v2, v12
	s_delay_alu instid0(VALU_DEP_1) | instskip(NEXT) | instid1(VALU_DEP_1)
	v_min_u32_e32 v7, 32, v2
	v_subrev_nc_u32_e32 v2, 28, v7
	s_delay_alu instid0(VALU_DEP_1) | instskip(SKIP_1) | instid1(VALU_DEP_2)
	v_lshlrev_b64 v[2:3], v2, v[12:13]
	v_sub_nc_u32_e32 v3, 29, v7
	v_and_b32_e32 v2, 7, v2
; %bb.6474:                             ;   in Loop: Header=BB468_3103 Depth=1
	s_or_b32 exec_lo, exec_lo, s25
	v_lshlrev_b32_e32 v6, 24, v6
	s_delay_alu instid0(VALU_DEP_2) | instskip(SKIP_1) | instid1(VALU_DEP_3)
	v_lshlrev_b32_e32 v2, 20, v2
	v_lshl_add_u32 v3, v3, 23, 0x3c000000
	v_and_b32_e32 v6, 0x80000000, v6
	s_delay_alu instid0(VALU_DEP_1)
	v_or3_b32 v2, v2, v6, v3
.LBB468_6475:                           ;   in Loop: Header=BB468_3103 Depth=1
	s_or_b32 exec_lo, exec_lo, s24
.LBB468_6476:                           ;   in Loop: Header=BB468_3103 Depth=1
	s_delay_alu instid0(SALU_CYCLE_1)
	s_or_b32 exec_lo, exec_lo, s23
.LBB468_6477:                           ;   in Loop: Header=BB468_3103 Depth=1
	s_delay_alu instid0(SALU_CYCLE_1) | instskip(NEXT) | instid1(VALU_DEP_1)
	s_or_b32 exec_lo, exec_lo, s22
	v_mul_f32_e32 v3, v26, v2
	s_delay_alu instid0(VALU_DEP_1) | instskip(NEXT) | instid1(VALU_DEP_1)
	v_and_b32_e32 v2, 0x7f800000, v3
	v_cmp_ne_u32_e64 s9, 0x7f800000, v2
                                        ; implicit-def: $vgpr2
	s_delay_alu instid0(VALU_DEP_1) | instskip(NEXT) | instid1(SALU_CYCLE_1)
	s_and_saveexec_b32 s22, s9
	s_xor_b32 s9, exec_lo, s22
; %bb.6478:                             ;   in Loop: Header=BB468_3103 Depth=1
	v_bfe_u32 v2, v3, 16, 1
	s_delay_alu instid0(VALU_DEP_1)
	v_add3_u32 v2, v3, v2, 0x7fff
                                        ; implicit-def: $vgpr3
; %bb.6479:                             ;   in Loop: Header=BB468_3103 Depth=1
	s_and_not1_saveexec_b32 s22, s9
; %bb.6480:                             ;   in Loop: Header=BB468_3103 Depth=1
	v_and_b32_e32 v2, 0xffff, v3
	v_or_b32_e32 v6, 0x10000, v3
	s_delay_alu instid0(VALU_DEP_2) | instskip(NEXT) | instid1(VALU_DEP_1)
	v_cmp_eq_u32_e64 s9, 0, v2
	v_cndmask_b32_e64 v2, v6, v3, s9
; %bb.6481:                             ;   in Loop: Header=BB468_3103 Depth=1
	s_or_b32 exec_lo, exec_lo, s22
	v_lshrrev_b32_e32 v6, 16, v9
	v_lshrrev_b32_e32 v7, 16, v8
	;; [unrolled: 1-line block ×8, first 2 shown]
	s_and_saveexec_b32 s9, s3
; %bb.6482:                             ;   in Loop: Header=BB468_3103 Depth=1
	s_delay_alu instid0(VALU_DEP_3)
	v_cndmask_b32_e32 v4, 0, v4, vcc_lo
	v_cndmask_b32_e64 v5, 0, v5, s1
	v_cndmask_b32_e64 v9, 0, v9, s2
	;; [unrolled: 1-line block ×7, first 2 shown]
; %bb.6483:                             ;   in Loop: Header=BB468_3103 Depth=1
	s_or_b32 exec_lo, exec_lo, s9
	v_lshlrev_b32_e32 v4, 16, v4
                                        ; implicit-def: $vgpr110
	s_delay_alu instid0(VALU_DEP_1) | instskip(NEXT) | instid1(VALU_DEP_1)
	v_mul_f32_e32 v4, v151, v4
	v_and_b32_e32 v12, 0x7f800000, v4
	s_delay_alu instid0(VALU_DEP_1) | instskip(NEXT) | instid1(VALU_DEP_1)
	v_cmp_ne_u32_e64 s9, 0x7f800000, v12
	s_and_saveexec_b32 s22, s9
	s_delay_alu instid0(SALU_CYCLE_1)
	s_xor_b32 s9, exec_lo, s22
; %bb.6484:                             ;   in Loop: Header=BB468_3103 Depth=1
	v_bfe_u32 v12, v4, 16, 1
	s_delay_alu instid0(VALU_DEP_1)
	v_add3_u32 v110, v4, v12, 0x7fff
                                        ; implicit-def: $vgpr4
; %bb.6485:                             ;   in Loop: Header=BB468_3103 Depth=1
	s_and_not1_saveexec_b32 s22, s9
; %bb.6486:                             ;   in Loop: Header=BB468_3103 Depth=1
	v_and_b32_e32 v12, 0xffff, v4
	v_or_b32_e32 v18, 0x10000, v4
	s_delay_alu instid0(VALU_DEP_2) | instskip(NEXT) | instid1(VALU_DEP_1)
	v_cmp_eq_u32_e64 s9, 0, v12
	v_cndmask_b32_e64 v110, v18, v4, s9
; %bb.6487:                             ;   in Loop: Header=BB468_3103 Depth=1
	s_or_b32 exec_lo, exec_lo, s22
	v_lshlrev_b32_e32 v4, 16, v5
                                        ; implicit-def: $vgpr111
	s_delay_alu instid0(VALU_DEP_1) | instskip(NEXT) | instid1(VALU_DEP_1)
	v_mul_f32_e32 v4, v160, v4
	v_and_b32_e32 v5, 0x7f800000, v4
	s_delay_alu instid0(VALU_DEP_1) | instskip(NEXT) | instid1(VALU_DEP_1)
	v_cmp_ne_u32_e64 s9, 0x7f800000, v5
	s_and_saveexec_b32 s22, s9
	s_delay_alu instid0(SALU_CYCLE_1)
	s_xor_b32 s9, exec_lo, s22
; %bb.6488:                             ;   in Loop: Header=BB468_3103 Depth=1
	v_bfe_u32 v5, v4, 16, 1
	s_delay_alu instid0(VALU_DEP_1)
	v_add3_u32 v111, v4, v5, 0x7fff
                                        ; implicit-def: $vgpr4
; %bb.6489:                             ;   in Loop: Header=BB468_3103 Depth=1
	s_and_not1_saveexec_b32 s22, s9
; %bb.6490:                             ;   in Loop: Header=BB468_3103 Depth=1
	v_and_b32_e32 v5, 0xffff, v4
	v_or_b32_e32 v12, 0x10000, v4
	s_delay_alu instid0(VALU_DEP_2) | instskip(NEXT) | instid1(VALU_DEP_1)
	v_cmp_eq_u32_e64 s9, 0, v5
	v_cndmask_b32_e64 v111, v12, v4, s9
; %bb.6491:                             ;   in Loop: Header=BB468_3103 Depth=1
	s_or_b32 exec_lo, exec_lo, s22
	v_lshlrev_b32_e32 v4, 16, v9
                                        ; implicit-def: $vgpr120
	s_delay_alu instid0(VALU_DEP_1) | instskip(NEXT) | instid1(VALU_DEP_1)
	v_mul_f32_e32 v4, v161, v4
	v_and_b32_e32 v5, 0x7f800000, v4
	s_delay_alu instid0(VALU_DEP_1) | instskip(NEXT) | instid1(VALU_DEP_1)
	v_cmp_ne_u32_e64 s9, 0x7f800000, v5
	s_and_saveexec_b32 s22, s9
	s_delay_alu instid0(SALU_CYCLE_1)
	s_xor_b32 s9, exec_lo, s22
; %bb.6492:                             ;   in Loop: Header=BB468_3103 Depth=1
	v_bfe_u32 v5, v4, 16, 1
	s_delay_alu instid0(VALU_DEP_1)
	v_add3_u32 v120, v4, v5, 0x7fff
                                        ; implicit-def: $vgpr4
; %bb.6493:                             ;   in Loop: Header=BB468_3103 Depth=1
	s_and_not1_saveexec_b32 s22, s9
; %bb.6494:                             ;   in Loop: Header=BB468_3103 Depth=1
	v_and_b32_e32 v5, 0xffff, v4
	v_or_b32_e32 v9, 0x10000, v4
	s_delay_alu instid0(VALU_DEP_2) | instskip(NEXT) | instid1(VALU_DEP_1)
	v_cmp_eq_u32_e64 s9, 0, v5
	v_cndmask_b32_e64 v120, v9, v4, s9
; %bb.6495:                             ;   in Loop: Header=BB468_3103 Depth=1
	s_or_b32 exec_lo, exec_lo, s22
	v_lshlrev_b32_e32 v4, 16, v8
                                        ; implicit-def: $vgpr121
	s_delay_alu instid0(VALU_DEP_1) | instskip(NEXT) | instid1(VALU_DEP_1)
	v_mul_f32_e32 v4, v162, v4
	v_and_b32_e32 v5, 0x7f800000, v4
	s_delay_alu instid0(VALU_DEP_1) | instskip(NEXT) | instid1(VALU_DEP_1)
	v_cmp_ne_u32_e64 s9, 0x7f800000, v5
	s_and_saveexec_b32 s22, s9
	s_delay_alu instid0(SALU_CYCLE_1)
	s_xor_b32 s9, exec_lo, s22
; %bb.6496:                             ;   in Loop: Header=BB468_3103 Depth=1
	v_bfe_u32 v5, v4, 16, 1
	s_delay_alu instid0(VALU_DEP_1)
	v_add3_u32 v121, v4, v5, 0x7fff
                                        ; implicit-def: $vgpr4
; %bb.6497:                             ;   in Loop: Header=BB468_3103 Depth=1
	s_and_not1_saveexec_b32 s22, s9
; %bb.6498:                             ;   in Loop: Header=BB468_3103 Depth=1
	v_and_b32_e32 v5, 0xffff, v4
	v_or_b32_e32 v8, 0x10000, v4
	s_delay_alu instid0(VALU_DEP_2) | instskip(NEXT) | instid1(VALU_DEP_1)
	v_cmp_eq_u32_e64 s9, 0, v5
	v_cndmask_b32_e64 v121, v8, v4, s9
; %bb.6499:                             ;   in Loop: Header=BB468_3103 Depth=1
	s_or_b32 exec_lo, exec_lo, s22
	v_lshlrev_b32_e32 v4, 16, v7
	s_delay_alu instid0(VALU_DEP_1) | instskip(NEXT) | instid1(VALU_DEP_1)
	v_mul_f32_e32 v5, v163, v4
	v_and_b32_e32 v4, 0x7f800000, v5
	s_delay_alu instid0(VALU_DEP_1) | instskip(NEXT) | instid1(VALU_DEP_1)
	v_cmp_ne_u32_e64 s9, 0x7f800000, v4
                                        ; implicit-def: $vgpr4
	s_and_saveexec_b32 s22, s9
	s_delay_alu instid0(SALU_CYCLE_1)
	s_xor_b32 s9, exec_lo, s22
; %bb.6500:                             ;   in Loop: Header=BB468_3103 Depth=1
	v_bfe_u32 v4, v5, 16, 1
	s_delay_alu instid0(VALU_DEP_1)
	v_add3_u32 v4, v5, v4, 0x7fff
                                        ; implicit-def: $vgpr5
; %bb.6501:                             ;   in Loop: Header=BB468_3103 Depth=1
	s_and_not1_saveexec_b32 s22, s9
; %bb.6502:                             ;   in Loop: Header=BB468_3103 Depth=1
	v_and_b32_e32 v4, 0xffff, v5
	v_or_b32_e32 v7, 0x10000, v5
	s_delay_alu instid0(VALU_DEP_2) | instskip(NEXT) | instid1(VALU_DEP_1)
	v_cmp_eq_u32_e64 s9, 0, v4
	v_cndmask_b32_e64 v4, v7, v5, s9
; %bb.6503:                             ;   in Loop: Header=BB468_3103 Depth=1
	s_or_b32 exec_lo, exec_lo, s22
	v_lshlrev_b32_e32 v5, 16, v6
	s_delay_alu instid0(VALU_DEP_1) | instskip(NEXT) | instid1(VALU_DEP_1)
	v_mul_f32_e32 v6, v164, v5
	v_and_b32_e32 v5, 0x7f800000, v6
	s_delay_alu instid0(VALU_DEP_1) | instskip(NEXT) | instid1(VALU_DEP_1)
	v_cmp_ne_u32_e64 s9, 0x7f800000, v5
                                        ; implicit-def: $vgpr5
	s_and_saveexec_b32 s22, s9
	s_delay_alu instid0(SALU_CYCLE_1)
	s_xor_b32 s9, exec_lo, s22
; %bb.6504:                             ;   in Loop: Header=BB468_3103 Depth=1
	v_bfe_u32 v5, v6, 16, 1
	s_delay_alu instid0(VALU_DEP_1)
	v_add3_u32 v5, v6, v5, 0x7fff
                                        ; implicit-def: $vgpr6
; %bb.6505:                             ;   in Loop: Header=BB468_3103 Depth=1
	s_and_not1_saveexec_b32 s22, s9
; %bb.6506:                             ;   in Loop: Header=BB468_3103 Depth=1
	v_and_b32_e32 v5, 0xffff, v6
	v_or_b32_e32 v7, 0x10000, v6
	s_delay_alu instid0(VALU_DEP_2) | instskip(NEXT) | instid1(VALU_DEP_1)
	v_cmp_eq_u32_e64 s9, 0, v5
	v_cndmask_b32_e64 v5, v7, v6, s9
; %bb.6507:                             ;   in Loop: Header=BB468_3103 Depth=1
	s_or_b32 exec_lo, exec_lo, s22
	v_lshlrev_b32_e32 v3, 16, v3
                                        ; implicit-def: $vgpr34
	s_delay_alu instid0(VALU_DEP_1) | instskip(NEXT) | instid1(VALU_DEP_1)
	v_mul_f32_e32 v3, v165, v3
	v_and_b32_e32 v6, 0x7f800000, v3
	s_delay_alu instid0(VALU_DEP_1) | instskip(NEXT) | instid1(VALU_DEP_1)
	v_cmp_ne_u32_e64 s9, 0x7f800000, v6
	s_and_saveexec_b32 s22, s9
	s_delay_alu instid0(SALU_CYCLE_1)
	s_xor_b32 s9, exec_lo, s22
; %bb.6508:                             ;   in Loop: Header=BB468_3103 Depth=1
	v_bfe_u32 v6, v3, 16, 1
	s_delay_alu instid0(VALU_DEP_1)
	v_add3_u32 v34, v3, v6, 0x7fff
                                        ; implicit-def: $vgpr3
; %bb.6509:                             ;   in Loop: Header=BB468_3103 Depth=1
	s_and_not1_saveexec_b32 s22, s9
; %bb.6510:                             ;   in Loop: Header=BB468_3103 Depth=1
	v_and_b32_e32 v6, 0xffff, v3
	v_or_b32_e32 v7, 0x10000, v3
	s_delay_alu instid0(VALU_DEP_2) | instskip(NEXT) | instid1(VALU_DEP_1)
	v_cmp_eq_u32_e64 s9, 0, v6
	v_cndmask_b32_e64 v34, v7, v3, s9
; %bb.6511:                             ;   in Loop: Header=BB468_3103 Depth=1
	s_or_b32 exec_lo, exec_lo, s22
	v_lshlrev_b32_e32 v2, 16, v2
                                        ; implicit-def: $vgpr35
	s_delay_alu instid0(VALU_DEP_1) | instskip(NEXT) | instid1(VALU_DEP_1)
	v_mul_f32_e32 v2, v166, v2
	v_and_b32_e32 v3, 0x7f800000, v2
	s_delay_alu instid0(VALU_DEP_1) | instskip(NEXT) | instid1(VALU_DEP_1)
	v_cmp_ne_u32_e64 s9, 0x7f800000, v3
	s_and_saveexec_b32 s22, s9
	s_delay_alu instid0(SALU_CYCLE_1)
	s_xor_b32 s9, exec_lo, s22
; %bb.6512:                             ;   in Loop: Header=BB468_3103 Depth=1
	v_bfe_u32 v3, v2, 16, 1
	s_delay_alu instid0(VALU_DEP_1)
	v_add3_u32 v35, v2, v3, 0x7fff
                                        ; implicit-def: $vgpr2
; %bb.6513:                             ;   in Loop: Header=BB468_3103 Depth=1
	s_and_not1_saveexec_b32 s22, s9
; %bb.6514:                             ;   in Loop: Header=BB468_3103 Depth=1
	v_and_b32_e32 v3, 0xffff, v2
	v_or_b32_e32 v6, 0x10000, v2
	s_delay_alu instid0(VALU_DEP_2) | instskip(NEXT) | instid1(VALU_DEP_1)
	v_cmp_eq_u32_e64 s9, 0, v3
	v_cndmask_b32_e64 v35, v6, v2, s9
; %bb.6515:                             ;   in Loop: Header=BB468_3103 Depth=1
	s_or_b32 exec_lo, exec_lo, s22
	scratch_load_b32 v2, off, s32 offset:856 ; 4-byte Folded Reload
	s_mov_b32 s22, exec_lo
	v_mov_b32_e32 v6, 0
	s_waitcnt vmcnt(0)
	v_add_co_u32 v2, s9, v0, v2
	s_delay_alu instid0(VALU_DEP_1) | instskip(SKIP_3) | instid1(VALU_DEP_1)
	v_add_co_ci_u32_e64 v3, s9, 0, v1, s9
	flat_load_b64 v[2:3], v[2:3]
	s_waitcnt vmcnt(0) lgkmcnt(0)
	v_and_b32_e32 v7, 0xff, v2
	v_cmpx_ne_u16_e32 0, v7
	s_cbranch_execz .LBB468_6523
; %bb.6516:                             ;   in Loop: Header=BB468_3103 Depth=1
	v_bfrev_b32_e32 v6, 1
	s_mov_b32 s23, exec_lo
	v_cmpx_ne_u16_e32 0x80, v7
	s_cbranch_execz .LBB468_6522
; %bb.6517:                             ;   in Loop: Header=BB468_3103 Depth=1
	v_and_b32_e32 v7, 0x7f, v2
	v_mov_b32_e32 v6, 0x7f800001
	s_mov_b32 s24, exec_lo
	s_delay_alu instid0(VALU_DEP_2)
	v_cmpx_ne_u32_e32 0x7f, v7
	s_cbranch_execz .LBB468_6521
; %bb.6518:                             ;   in Loop: Header=BB468_3103 Depth=1
	v_lshrrev_b32_e32 v8, 3, v7
	v_cmp_gt_u32_e64 s9, 8, v7
	v_dual_mov_b32 v7, v3 :: v_dual_mov_b32 v6, v2
	s_delay_alu instid0(VALU_DEP_2)
	s_and_saveexec_b32 s25, s9
; %bb.6519:                             ;   in Loop: Header=BB468_3103 Depth=1
	v_and_b32_e32 v6, 7, v2
	s_delay_alu instid0(VALU_DEP_1) | instskip(NEXT) | instid1(VALU_DEP_1)
	v_clz_i32_u32_e32 v6, v6
	v_min_u32_e32 v8, 32, v6
	s_delay_alu instid0(VALU_DEP_1) | instskip(SKIP_1) | instid1(VALU_DEP_2)
	v_subrev_nc_u32_e32 v6, 28, v8
	v_sub_nc_u32_e32 v8, 29, v8
	v_lshlrev_b64 v[6:7], v6, v[2:3]
; %bb.6520:                             ;   in Loop: Header=BB468_3103 Depth=1
	s_or_b32 exec_lo, exec_lo, s25
	s_delay_alu instid0(VALU_DEP_1) | instskip(SKIP_2) | instid1(VALU_DEP_3)
	v_lshlrev_b32_e32 v6, 20, v6
	v_lshlrev_b32_e32 v7, 24, v2
	v_lshl_add_u32 v8, v8, 23, 0x3c000000
	v_and_b32_e32 v6, 0x700000, v6
	s_delay_alu instid0(VALU_DEP_3) | instskip(NEXT) | instid1(VALU_DEP_1)
	v_and_b32_e32 v7, 0x80000000, v7
	v_or3_b32 v6, v6, v7, v8
.LBB468_6521:                           ;   in Loop: Header=BB468_3103 Depth=1
	s_or_b32 exec_lo, exec_lo, s24
.LBB468_6522:                           ;   in Loop: Header=BB468_3103 Depth=1
	s_delay_alu instid0(SALU_CYCLE_1)
	s_or_b32 exec_lo, exec_lo, s23
.LBB468_6523:                           ;   in Loop: Header=BB468_3103 Depth=1
	s_delay_alu instid0(SALU_CYCLE_1) | instskip(NEXT) | instid1(VALU_DEP_1)
	s_or_b32 exec_lo, exec_lo, s22
	v_mul_f32_e32 v6, v26, v6
                                        ; implicit-def: $vgpr18
	s_delay_alu instid0(VALU_DEP_1) | instskip(NEXT) | instid1(VALU_DEP_1)
	v_and_b32_e32 v7, 0x7f800000, v6
	v_cmp_ne_u32_e64 s9, 0x7f800000, v7
	s_delay_alu instid0(VALU_DEP_1) | instskip(NEXT) | instid1(SALU_CYCLE_1)
	s_and_saveexec_b32 s22, s9
	s_xor_b32 s9, exec_lo, s22
; %bb.6524:                             ;   in Loop: Header=BB468_3103 Depth=1
	v_bfe_u32 v7, v6, 16, 1
	s_delay_alu instid0(VALU_DEP_1)
	v_add3_u32 v18, v6, v7, 0x7fff
                                        ; implicit-def: $vgpr6
; %bb.6525:                             ;   in Loop: Header=BB468_3103 Depth=1
	s_and_not1_saveexec_b32 s22, s9
; %bb.6526:                             ;   in Loop: Header=BB468_3103 Depth=1
	v_and_b32_e32 v7, 0xffff, v6
	v_or_b32_e32 v8, 0x10000, v6
	s_delay_alu instid0(VALU_DEP_2) | instskip(NEXT) | instid1(VALU_DEP_1)
	v_cmp_eq_u32_e64 s9, 0, v7
	v_cndmask_b32_e64 v18, v8, v6, s9
; %bb.6527:                             ;   in Loop: Header=BB468_3103 Depth=1
	s_or_b32 exec_lo, exec_lo, s22
	v_lshrrev_b16 v7, 8, v2
	v_mov_b32_e32 v6, 0
	s_mov_b32 s22, exec_lo
	s_delay_alu instid0(VALU_DEP_2)
	v_cmpx_ne_u16_e32 0, v7
	s_cbranch_execz .LBB468_6535
; %bb.6528:                             ;   in Loop: Header=BB468_3103 Depth=1
	v_bfrev_b32_e32 v6, 1
	s_mov_b32 s23, exec_lo
	v_cmpx_ne_u16_e32 0x80, v7
	s_cbranch_execz .LBB468_6534
; %bb.6529:                             ;   in Loop: Header=BB468_3103 Depth=1
	v_and_b32_e32 v7, 0xffff, v7
	v_mov_b32_e32 v6, 0x7f800001
	s_mov_b32 s24, exec_lo
	s_delay_alu instid0(VALU_DEP_2) | instskip(NEXT) | instid1(VALU_DEP_1)
	v_and_b32_e32 v8, 0x7f, v7
	v_cmpx_ne_u32_e32 0x7f, v8
	s_cbranch_execz .LBB468_6533
; %bb.6530:                             ;   in Loop: Header=BB468_3103 Depth=1
	v_and_b32_e32 v12, 7, v7
	s_mov_b32 s25, exec_lo
	s_delay_alu instid0(VALU_DEP_1)
	v_dual_mov_b32 v6, v12 :: v_dual_mov_b32 v7, v13
	v_lshrrev_b32_e32 v7, 3, v8
	v_cmpx_gt_u32_e32 8, v8
; %bb.6531:                             ;   in Loop: Header=BB468_3103 Depth=1
	v_clz_i32_u32_e32 v6, v12
	s_delay_alu instid0(VALU_DEP_1) | instskip(NEXT) | instid1(VALU_DEP_1)
	v_min_u32_e32 v8, 32, v6
	v_subrev_nc_u32_e32 v6, 28, v8
	s_delay_alu instid0(VALU_DEP_1) | instskip(SKIP_1) | instid1(VALU_DEP_2)
	v_lshlrev_b64 v[6:7], v6, v[12:13]
	v_sub_nc_u32_e32 v7, 29, v8
	v_and_b32_e32 v6, 7, v6
; %bb.6532:                             ;   in Loop: Header=BB468_3103 Depth=1
	s_or_b32 exec_lo, exec_lo, s25
	v_lshlrev_b32_e32 v8, 16, v2
	s_delay_alu instid0(VALU_DEP_2) | instskip(SKIP_1) | instid1(VALU_DEP_3)
	v_lshlrev_b32_e32 v6, 20, v6
	v_lshl_add_u32 v7, v7, 23, 0x3c000000
	v_and_b32_e32 v8, 0x80000000, v8
	s_delay_alu instid0(VALU_DEP_1)
	v_or3_b32 v6, v6, v8, v7
.LBB468_6533:                           ;   in Loop: Header=BB468_3103 Depth=1
	s_or_b32 exec_lo, exec_lo, s24
.LBB468_6534:                           ;   in Loop: Header=BB468_3103 Depth=1
	s_delay_alu instid0(SALU_CYCLE_1)
	s_or_b32 exec_lo, exec_lo, s23
.LBB468_6535:                           ;   in Loop: Header=BB468_3103 Depth=1
	s_delay_alu instid0(SALU_CYCLE_1) | instskip(NEXT) | instid1(VALU_DEP_1)
	s_or_b32 exec_lo, exec_lo, s22
	v_mul_f32_e32 v6, v26, v6
                                        ; implicit-def: $vgpr36
	s_delay_alu instid0(VALU_DEP_1) | instskip(NEXT) | instid1(VALU_DEP_1)
	v_and_b32_e32 v7, 0x7f800000, v6
	v_cmp_ne_u32_e64 s9, 0x7f800000, v7
	s_delay_alu instid0(VALU_DEP_1) | instskip(NEXT) | instid1(SALU_CYCLE_1)
	s_and_saveexec_b32 s22, s9
	s_xor_b32 s9, exec_lo, s22
; %bb.6536:                             ;   in Loop: Header=BB468_3103 Depth=1
	v_bfe_u32 v7, v6, 16, 1
	s_delay_alu instid0(VALU_DEP_1)
	v_add3_u32 v36, v6, v7, 0x7fff
                                        ; implicit-def: $vgpr6
; %bb.6537:                             ;   in Loop: Header=BB468_3103 Depth=1
	s_and_not1_saveexec_b32 s22, s9
; %bb.6538:                             ;   in Loop: Header=BB468_3103 Depth=1
	v_and_b32_e32 v7, 0xffff, v6
	v_or_b32_e32 v8, 0x10000, v6
	s_delay_alu instid0(VALU_DEP_2) | instskip(NEXT) | instid1(VALU_DEP_1)
	v_cmp_eq_u32_e64 s9, 0, v7
	v_cndmask_b32_e64 v36, v8, v6, s9
; %bb.6539:                             ;   in Loop: Header=BB468_3103 Depth=1
	s_or_b32 exec_lo, exec_lo, s22
	v_lshrrev_b32_e32 v8, 16, v2
	s_mov_b32 s22, exec_lo
	s_delay_alu instid0(VALU_DEP_1) | instskip(NEXT) | instid1(VALU_DEP_1)
	v_dual_mov_b32 v6, 0 :: v_dual_and_b32 v7, 0xff, v8
	v_cmpx_ne_u16_e32 0, v7
	s_cbranch_execz .LBB468_6547
; %bb.6540:                             ;   in Loop: Header=BB468_3103 Depth=1
	v_bfrev_b32_e32 v6, 1
	s_mov_b32 s23, exec_lo
	v_cmpx_ne_u16_e32 0x80, v7
	s_cbranch_execz .LBB468_6546
; %bb.6541:                             ;   in Loop: Header=BB468_3103 Depth=1
	v_bfe_u32 v9, v2, 16, 7
	v_mov_b32_e32 v6, 0x7f800001
	s_mov_b32 s24, exec_lo
	s_delay_alu instid0(VALU_DEP_2)
	v_cmpx_ne_u32_e32 0x7f, v9
	s_cbranch_execz .LBB468_6545
; %bb.6542:                             ;   in Loop: Header=BB468_3103 Depth=1
	v_and_b32_e32 v12, 7, v8
	s_mov_b32 s25, exec_lo
	s_delay_alu instid0(VALU_DEP_1)
	v_dual_mov_b32 v6, v12 :: v_dual_mov_b32 v7, v13
	v_lshrrev_b32_e32 v7, 3, v9
	v_cmpx_gt_u32_e32 8, v9
; %bb.6543:                             ;   in Loop: Header=BB468_3103 Depth=1
	v_clz_i32_u32_e32 v6, v12
	s_delay_alu instid0(VALU_DEP_1) | instskip(NEXT) | instid1(VALU_DEP_1)
	v_min_u32_e32 v9, 32, v6
	v_subrev_nc_u32_e32 v6, 28, v9
	s_delay_alu instid0(VALU_DEP_1) | instskip(SKIP_1) | instid1(VALU_DEP_2)
	v_lshlrev_b64 v[6:7], v6, v[12:13]
	v_sub_nc_u32_e32 v7, 29, v9
	v_and_b32_e32 v6, 7, v6
; %bb.6544:                             ;   in Loop: Header=BB468_3103 Depth=1
	s_or_b32 exec_lo, exec_lo, s25
	v_lshlrev_b32_e32 v8, 24, v8
	s_delay_alu instid0(VALU_DEP_2) | instskip(SKIP_1) | instid1(VALU_DEP_3)
	v_lshlrev_b32_e32 v6, 20, v6
	v_lshl_add_u32 v7, v7, 23, 0x3c000000
	v_and_b32_e32 v8, 0x80000000, v8
	s_delay_alu instid0(VALU_DEP_1)
	v_or3_b32 v6, v6, v8, v7
.LBB468_6545:                           ;   in Loop: Header=BB468_3103 Depth=1
	s_or_b32 exec_lo, exec_lo, s24
.LBB468_6546:                           ;   in Loop: Header=BB468_3103 Depth=1
	s_delay_alu instid0(SALU_CYCLE_1)
	s_or_b32 exec_lo, exec_lo, s23
.LBB468_6547:                           ;   in Loop: Header=BB468_3103 Depth=1
	s_delay_alu instid0(SALU_CYCLE_1) | instskip(NEXT) | instid1(VALU_DEP_1)
	s_or_b32 exec_lo, exec_lo, s22
	v_mul_f32_e32 v6, v26, v6
                                        ; implicit-def: $vgpr122
	s_delay_alu instid0(VALU_DEP_1) | instskip(NEXT) | instid1(VALU_DEP_1)
	v_and_b32_e32 v7, 0x7f800000, v6
	v_cmp_ne_u32_e64 s9, 0x7f800000, v7
	s_delay_alu instid0(VALU_DEP_1) | instskip(NEXT) | instid1(SALU_CYCLE_1)
	s_and_saveexec_b32 s22, s9
	s_xor_b32 s9, exec_lo, s22
; %bb.6548:                             ;   in Loop: Header=BB468_3103 Depth=1
	v_bfe_u32 v7, v6, 16, 1
	s_delay_alu instid0(VALU_DEP_1)
	v_add3_u32 v122, v6, v7, 0x7fff
                                        ; implicit-def: $vgpr6
; %bb.6549:                             ;   in Loop: Header=BB468_3103 Depth=1
	s_and_not1_saveexec_b32 s22, s9
; %bb.6550:                             ;   in Loop: Header=BB468_3103 Depth=1
	v_and_b32_e32 v7, 0xffff, v6
	v_or_b32_e32 v8, 0x10000, v6
	s_delay_alu instid0(VALU_DEP_2) | instskip(NEXT) | instid1(VALU_DEP_1)
	v_cmp_eq_u32_e64 s9, 0, v7
	v_cndmask_b32_e64 v122, v8, v6, s9
; %bb.6551:                             ;   in Loop: Header=BB468_3103 Depth=1
	s_or_b32 exec_lo, exec_lo, s22
	v_mov_b32_e32 v6, 0
	s_mov_b32 s22, exec_lo
	v_cmpx_lt_u32_e32 0xffffff, v2
	s_cbranch_execz .LBB468_6559
; %bb.6552:                             ;   in Loop: Header=BB468_3103 Depth=1
	v_lshrrev_b32_e32 v8, 24, v2
	v_bfrev_b32_e32 v6, 1
	s_mov_b32 s23, exec_lo
	s_delay_alu instid0(VALU_DEP_2)
	v_cmpx_ne_u32_e32 0x80, v8
	s_cbranch_execz .LBB468_6558
; %bb.6553:                             ;   in Loop: Header=BB468_3103 Depth=1
	v_bfe_u32 v9, v2, 24, 7
	v_mov_b32_e32 v6, 0x7f800001
	s_mov_b32 s24, exec_lo
	s_delay_alu instid0(VALU_DEP_2)
	v_cmpx_ne_u32_e32 0x7f, v9
	s_cbranch_execz .LBB468_6557
; %bb.6554:                             ;   in Loop: Header=BB468_3103 Depth=1
	v_and_b32_e32 v12, 7, v8
	s_mov_b32 s25, exec_lo
	s_delay_alu instid0(VALU_DEP_1)
	v_dual_mov_b32 v6, v12 :: v_dual_mov_b32 v7, v13
	v_lshrrev_b32_e32 v7, 3, v9
	v_cmpx_gt_u32_e32 8, v9
; %bb.6555:                             ;   in Loop: Header=BB468_3103 Depth=1
	v_clz_i32_u32_e32 v6, v12
	s_delay_alu instid0(VALU_DEP_1) | instskip(NEXT) | instid1(VALU_DEP_1)
	v_min_u32_e32 v9, 32, v6
	v_subrev_nc_u32_e32 v6, 28, v9
	s_delay_alu instid0(VALU_DEP_1) | instskip(SKIP_1) | instid1(VALU_DEP_2)
	v_lshlrev_b64 v[6:7], v6, v[12:13]
	v_sub_nc_u32_e32 v7, 29, v9
	v_and_b32_e32 v6, 7, v6
; %bb.6556:                             ;   in Loop: Header=BB468_3103 Depth=1
	s_or_b32 exec_lo, exec_lo, s25
	v_lshlrev_b32_e32 v8, 24, v8
	s_delay_alu instid0(VALU_DEP_2) | instskip(SKIP_1) | instid1(VALU_DEP_3)
	v_lshlrev_b32_e32 v6, 20, v6
	v_lshl_add_u32 v7, v7, 23, 0x3c000000
	v_and_b32_e32 v8, 0x80000000, v8
	s_delay_alu instid0(VALU_DEP_1)
	v_or3_b32 v6, v6, v8, v7
.LBB468_6557:                           ;   in Loop: Header=BB468_3103 Depth=1
	s_or_b32 exec_lo, exec_lo, s24
.LBB468_6558:                           ;   in Loop: Header=BB468_3103 Depth=1
	s_delay_alu instid0(SALU_CYCLE_1)
	s_or_b32 exec_lo, exec_lo, s23
.LBB468_6559:                           ;   in Loop: Header=BB468_3103 Depth=1
	s_delay_alu instid0(SALU_CYCLE_1) | instskip(NEXT) | instid1(VALU_DEP_1)
	s_or_b32 exec_lo, exec_lo, s22
	v_mul_f32_e32 v6, v26, v6
                                        ; implicit-def: $vgpr85
	s_delay_alu instid0(VALU_DEP_1) | instskip(NEXT) | instid1(VALU_DEP_1)
	v_and_b32_e32 v7, 0x7f800000, v6
	v_cmp_ne_u32_e64 s9, 0x7f800000, v7
	s_delay_alu instid0(VALU_DEP_1) | instskip(NEXT) | instid1(SALU_CYCLE_1)
	s_and_saveexec_b32 s22, s9
	s_xor_b32 s9, exec_lo, s22
; %bb.6560:                             ;   in Loop: Header=BB468_3103 Depth=1
	v_bfe_u32 v7, v6, 16, 1
	s_delay_alu instid0(VALU_DEP_1)
	v_add3_u32 v85, v6, v7, 0x7fff
                                        ; implicit-def: $vgpr6
; %bb.6561:                             ;   in Loop: Header=BB468_3103 Depth=1
	s_and_not1_saveexec_b32 s22, s9
; %bb.6562:                             ;   in Loop: Header=BB468_3103 Depth=1
	v_and_b32_e32 v7, 0xffff, v6
	v_or_b32_e32 v8, 0x10000, v6
	s_delay_alu instid0(VALU_DEP_2) | instskip(NEXT) | instid1(VALU_DEP_1)
	v_cmp_eq_u32_e64 s9, 0, v7
	v_cndmask_b32_e64 v85, v8, v6, s9
; %bb.6563:                             ;   in Loop: Header=BB468_3103 Depth=1
	s_or_b32 exec_lo, exec_lo, s22
	v_dual_mov_b32 v12, v3 :: v_dual_and_b32 v7, 0xff, v3
	v_mov_b32_e32 v6, 0
	s_mov_b32 s22, exec_lo
	s_delay_alu instid0(VALU_DEP_2)
	v_cmpx_ne_u16_e32 0, v7
	s_cbranch_execz .LBB468_6571
; %bb.6564:                             ;   in Loop: Header=BB468_3103 Depth=1
	v_bfrev_b32_e32 v6, 1
	s_mov_b32 s23, exec_lo
	v_cmpx_ne_u16_e32 0x80, v7
	s_cbranch_execz .LBB468_6570
; %bb.6565:                             ;   in Loop: Header=BB468_3103 Depth=1
	v_and_b32_e32 v8, 0x7f, v3
	v_mov_b32_e32 v6, 0x7f800001
	s_mov_b32 s24, exec_lo
	s_delay_alu instid0(VALU_DEP_2)
	v_cmpx_ne_u32_e32 0x7f, v8
	s_cbranch_execz .LBB468_6569
; %bb.6566:                             ;   in Loop: Header=BB468_3103 Depth=1
	v_dual_mov_b32 v6, v12 :: v_dual_mov_b32 v7, v13
	v_lshrrev_b32_e32 v7, 3, v8
	s_mov_b32 s25, exec_lo
	v_cmpx_gt_u32_e32 8, v8
; %bb.6567:                             ;   in Loop: Header=BB468_3103 Depth=1
	v_and_b32_e32 v6, 7, v3
	s_delay_alu instid0(VALU_DEP_1) | instskip(NEXT) | instid1(VALU_DEP_1)
	v_clz_i32_u32_e32 v6, v6
	v_min_u32_e32 v8, 32, v6
	s_delay_alu instid0(VALU_DEP_1) | instskip(NEXT) | instid1(VALU_DEP_1)
	v_subrev_nc_u32_e32 v6, 28, v8
	v_lshlrev_b64 v[6:7], v6, v[12:13]
	v_sub_nc_u32_e32 v7, 29, v8
; %bb.6568:                             ;   in Loop: Header=BB468_3103 Depth=1
	s_or_b32 exec_lo, exec_lo, s25
	s_delay_alu instid0(VALU_DEP_2) | instskip(SKIP_1) | instid1(VALU_DEP_3)
	v_lshlrev_b32_e32 v6, 20, v6
	v_lshlrev_b32_e32 v8, 24, v12
	v_lshl_add_u32 v7, v7, 23, 0x3c000000
	s_delay_alu instid0(VALU_DEP_3) | instskip(NEXT) | instid1(VALU_DEP_3)
	v_and_b32_e32 v6, 0x700000, v6
	v_and_b32_e32 v8, 0x80000000, v8
	s_delay_alu instid0(VALU_DEP_1)
	v_or3_b32 v6, v6, v8, v7
.LBB468_6569:                           ;   in Loop: Header=BB468_3103 Depth=1
	s_or_b32 exec_lo, exec_lo, s24
.LBB468_6570:                           ;   in Loop: Header=BB468_3103 Depth=1
	s_delay_alu instid0(SALU_CYCLE_1)
	s_or_b32 exec_lo, exec_lo, s23
.LBB468_6571:                           ;   in Loop: Header=BB468_3103 Depth=1
	s_delay_alu instid0(SALU_CYCLE_1) | instskip(NEXT) | instid1(VALU_DEP_1)
	s_or_b32 exec_lo, exec_lo, s22
	v_mul_f32_e32 v6, v26, v6
                                        ; implicit-def: $vgpr8
	s_delay_alu instid0(VALU_DEP_1) | instskip(NEXT) | instid1(VALU_DEP_1)
	v_and_b32_e32 v7, 0x7f800000, v6
	v_cmp_ne_u32_e64 s9, 0x7f800000, v7
	s_delay_alu instid0(VALU_DEP_1) | instskip(NEXT) | instid1(SALU_CYCLE_1)
	s_and_saveexec_b32 s22, s9
	s_xor_b32 s9, exec_lo, s22
; %bb.6572:                             ;   in Loop: Header=BB468_3103 Depth=1
	v_bfe_u32 v7, v6, 16, 1
	s_delay_alu instid0(VALU_DEP_1)
	v_add3_u32 v8, v6, v7, 0x7fff
                                        ; implicit-def: $vgpr6
; %bb.6573:                             ;   in Loop: Header=BB468_3103 Depth=1
	s_and_not1_saveexec_b32 s22, s9
; %bb.6574:                             ;   in Loop: Header=BB468_3103 Depth=1
	v_and_b32_e32 v7, 0xffff, v6
	v_or_b32_e32 v8, 0x10000, v6
	s_delay_alu instid0(VALU_DEP_2) | instskip(NEXT) | instid1(VALU_DEP_1)
	v_cmp_eq_u32_e64 s9, 0, v7
	v_cndmask_b32_e64 v8, v8, v6, s9
; %bb.6575:                             ;   in Loop: Header=BB468_3103 Depth=1
	s_or_b32 exec_lo, exec_lo, s22
	v_lshrrev_b16 v7, 8, v12
	v_mov_b32_e32 v6, 0
	s_mov_b32 s22, exec_lo
	s_delay_alu instid0(VALU_DEP_2)
	v_cmpx_ne_u16_e32 0, v7
	s_cbranch_execz .LBB468_6583
; %bb.6576:                             ;   in Loop: Header=BB468_3103 Depth=1
	v_bfrev_b32_e32 v6, 1
	s_mov_b32 s23, exec_lo
	v_cmpx_ne_u16_e32 0x80, v7
	s_cbranch_execz .LBB468_6582
; %bb.6577:                             ;   in Loop: Header=BB468_3103 Depth=1
	v_and_b32_e32 v7, 0xffff, v7
	v_mov_b32_e32 v6, 0x7f800001
	s_mov_b32 s24, exec_lo
	s_delay_alu instid0(VALU_DEP_2) | instskip(NEXT) | instid1(VALU_DEP_1)
	v_and_b32_e32 v86, 0x7f, v7
	v_cmpx_ne_u32_e32 0x7f, v86
	s_cbranch_execz .LBB468_6581
; %bb.6578:                             ;   in Loop: Header=BB468_3103 Depth=1
	v_dual_mov_b32 v7, v13 :: v_dual_and_b32 v6, 7, v7
	v_lshrrev_b32_e32 v9, 3, v86
	s_mov_b32 s25, exec_lo
	v_cmpx_gt_u32_e32 8, v86
; %bb.6579:                             ;   in Loop: Header=BB468_3103 Depth=1
	s_delay_alu instid0(VALU_DEP_3) | instskip(NEXT) | instid1(VALU_DEP_1)
	v_clz_i32_u32_e32 v9, v6
	v_min_u32_e32 v9, 32, v9
	s_delay_alu instid0(VALU_DEP_1) | instskip(SKIP_1) | instid1(VALU_DEP_2)
	v_subrev_nc_u32_e32 v86, 28, v9
	v_sub_nc_u32_e32 v9, 29, v9
	v_lshlrev_b64 v[6:7], v86, v[6:7]
	s_delay_alu instid0(VALU_DEP_1)
	v_and_b32_e32 v6, 7, v6
; %bb.6580:                             ;   in Loop: Header=BB468_3103 Depth=1
	s_or_b32 exec_lo, exec_lo, s25
	v_lshlrev_b32_e32 v7, 16, v12
	s_delay_alu instid0(VALU_DEP_2) | instskip(SKIP_1) | instid1(VALU_DEP_3)
	v_lshlrev_b32_e32 v6, 20, v6
	v_lshl_add_u32 v9, v9, 23, 0x3c000000
	v_and_b32_e32 v7, 0x80000000, v7
	s_delay_alu instid0(VALU_DEP_1)
	v_or3_b32 v6, v6, v7, v9
.LBB468_6581:                           ;   in Loop: Header=BB468_3103 Depth=1
	s_or_b32 exec_lo, exec_lo, s24
.LBB468_6582:                           ;   in Loop: Header=BB468_3103 Depth=1
	s_delay_alu instid0(SALU_CYCLE_1)
	s_or_b32 exec_lo, exec_lo, s23
.LBB468_6583:                           ;   in Loop: Header=BB468_3103 Depth=1
	s_delay_alu instid0(SALU_CYCLE_1) | instskip(NEXT) | instid1(VALU_DEP_1)
	s_or_b32 exec_lo, exec_lo, s22
	v_mul_f32_e32 v6, v26, v6
                                        ; implicit-def: $vgpr9
	s_delay_alu instid0(VALU_DEP_1) | instskip(NEXT) | instid1(VALU_DEP_1)
	v_and_b32_e32 v7, 0x7f800000, v6
	v_cmp_ne_u32_e64 s9, 0x7f800000, v7
	s_delay_alu instid0(VALU_DEP_1) | instskip(NEXT) | instid1(SALU_CYCLE_1)
	s_and_saveexec_b32 s22, s9
	s_xor_b32 s9, exec_lo, s22
; %bb.6584:                             ;   in Loop: Header=BB468_3103 Depth=1
	v_bfe_u32 v7, v6, 16, 1
	s_delay_alu instid0(VALU_DEP_1)
	v_add3_u32 v9, v6, v7, 0x7fff
                                        ; implicit-def: $vgpr6
; %bb.6585:                             ;   in Loop: Header=BB468_3103 Depth=1
	s_and_not1_saveexec_b32 s22, s9
; %bb.6586:                             ;   in Loop: Header=BB468_3103 Depth=1
	v_and_b32_e32 v7, 0xffff, v6
	v_or_b32_e32 v9, 0x10000, v6
	s_delay_alu instid0(VALU_DEP_2) | instskip(NEXT) | instid1(VALU_DEP_1)
	v_cmp_eq_u32_e64 s9, 0, v7
	v_cndmask_b32_e64 v9, v9, v6, s9
; %bb.6587:                             ;   in Loop: Header=BB468_3103 Depth=1
	s_or_b32 exec_lo, exec_lo, s22
	v_lshrrev_b32_e32 v86, 16, v3
	s_mov_b32 s22, exec_lo
	s_delay_alu instid0(VALU_DEP_1) | instskip(NEXT) | instid1(VALU_DEP_1)
	v_dual_mov_b32 v6, 0 :: v_dual_and_b32 v7, 0xff, v86
	v_cmpx_ne_u16_e32 0, v7
	s_cbranch_execz .LBB468_6595
; %bb.6588:                             ;   in Loop: Header=BB468_3103 Depth=1
	v_bfrev_b32_e32 v6, 1
	s_mov_b32 s23, exec_lo
	v_cmpx_ne_u16_e32 0x80, v7
	s_cbranch_execz .LBB468_6594
; %bb.6589:                             ;   in Loop: Header=BB468_3103 Depth=1
	v_bfe_u32 v87, v3, 16, 7
	v_mov_b32_e32 v6, 0x7f800001
	s_mov_b32 s24, exec_lo
	s_delay_alu instid0(VALU_DEP_2)
	v_cmpx_ne_u32_e32 0x7f, v87
	s_cbranch_execz .LBB468_6593
; %bb.6590:                             ;   in Loop: Header=BB468_3103 Depth=1
	v_and_b32_e32 v12, 7, v86
	s_mov_b32 s25, exec_lo
	s_delay_alu instid0(VALU_DEP_1)
	v_dual_mov_b32 v6, v12 :: v_dual_mov_b32 v7, v13
	v_lshrrev_b32_e32 v7, 3, v87
	v_cmpx_gt_u32_e32 8, v87
; %bb.6591:                             ;   in Loop: Header=BB468_3103 Depth=1
	v_clz_i32_u32_e32 v6, v12
	s_delay_alu instid0(VALU_DEP_1) | instskip(NEXT) | instid1(VALU_DEP_1)
	v_min_u32_e32 v87, 32, v6
	v_subrev_nc_u32_e32 v6, 28, v87
	s_delay_alu instid0(VALU_DEP_1) | instskip(SKIP_1) | instid1(VALU_DEP_2)
	v_lshlrev_b64 v[6:7], v6, v[12:13]
	v_sub_nc_u32_e32 v7, 29, v87
	v_and_b32_e32 v6, 7, v6
; %bb.6592:                             ;   in Loop: Header=BB468_3103 Depth=1
	s_or_b32 exec_lo, exec_lo, s25
	v_lshlrev_b32_e32 v12, 24, v86
	s_delay_alu instid0(VALU_DEP_2) | instskip(SKIP_1) | instid1(VALU_DEP_3)
	v_lshlrev_b32_e32 v6, 20, v6
	v_lshl_add_u32 v7, v7, 23, 0x3c000000
	v_and_b32_e32 v12, 0x80000000, v12
	s_delay_alu instid0(VALU_DEP_1)
	v_or3_b32 v6, v6, v12, v7
.LBB468_6593:                           ;   in Loop: Header=BB468_3103 Depth=1
	s_or_b32 exec_lo, exec_lo, s24
.LBB468_6594:                           ;   in Loop: Header=BB468_3103 Depth=1
	s_delay_alu instid0(SALU_CYCLE_1)
	s_or_b32 exec_lo, exec_lo, s23
.LBB468_6595:                           ;   in Loop: Header=BB468_3103 Depth=1
	s_delay_alu instid0(SALU_CYCLE_1) | instskip(NEXT) | instid1(VALU_DEP_1)
	s_or_b32 exec_lo, exec_lo, s22
	v_mul_f32_e32 v6, v26, v6
                                        ; implicit-def: $vgpr86
	s_delay_alu instid0(VALU_DEP_1) | instskip(NEXT) | instid1(VALU_DEP_1)
	v_and_b32_e32 v7, 0x7f800000, v6
	v_cmp_ne_u32_e64 s9, 0x7f800000, v7
	s_delay_alu instid0(VALU_DEP_1) | instskip(NEXT) | instid1(SALU_CYCLE_1)
	s_and_saveexec_b32 s22, s9
	s_xor_b32 s9, exec_lo, s22
; %bb.6596:                             ;   in Loop: Header=BB468_3103 Depth=1
	v_bfe_u32 v7, v6, 16, 1
	s_delay_alu instid0(VALU_DEP_1)
	v_add3_u32 v86, v6, v7, 0x7fff
                                        ; implicit-def: $vgpr6
; %bb.6597:                             ;   in Loop: Header=BB468_3103 Depth=1
	s_and_not1_saveexec_b32 s22, s9
; %bb.6598:                             ;   in Loop: Header=BB468_3103 Depth=1
	v_and_b32_e32 v7, 0xffff, v6
	v_or_b32_e32 v12, 0x10000, v6
	s_delay_alu instid0(VALU_DEP_2) | instskip(NEXT) | instid1(VALU_DEP_1)
	v_cmp_eq_u32_e64 s9, 0, v7
	v_cndmask_b32_e64 v86, v12, v6, s9
; %bb.6599:                             ;   in Loop: Header=BB468_3103 Depth=1
	s_or_b32 exec_lo, exec_lo, s22
	v_cmp_lt_u64_e64 s9, s[12:13], v[2:3]
	v_mov_b32_e32 v2, 0
	s_delay_alu instid0(VALU_DEP_2)
	s_and_saveexec_b32 s22, s9
	s_cbranch_execz .LBB468_6607
; %bb.6600:                             ;   in Loop: Header=BB468_3103 Depth=1
	v_lshrrev_b32_e32 v6, 24, v3
	v_bfrev_b32_e32 v2, 1
	s_mov_b32 s23, exec_lo
	s_delay_alu instid0(VALU_DEP_2)
	v_cmpx_ne_u32_e32 0x80, v6
	s_cbranch_execz .LBB468_6606
; %bb.6601:                             ;   in Loop: Header=BB468_3103 Depth=1
	v_bfe_u32 v7, v3, 24, 7
	v_mov_b32_e32 v2, 0x7f800001
	s_mov_b32 s24, exec_lo
	s_delay_alu instid0(VALU_DEP_2)
	v_cmpx_ne_u32_e32 0x7f, v7
	s_cbranch_execz .LBB468_6605
; %bb.6602:                             ;   in Loop: Header=BB468_3103 Depth=1
	v_and_b32_e32 v12, 7, v6
	s_mov_b32 s25, exec_lo
	s_delay_alu instid0(VALU_DEP_1)
	v_dual_mov_b32 v2, v12 :: v_dual_mov_b32 v3, v13
	v_lshrrev_b32_e32 v3, 3, v7
	v_cmpx_gt_u32_e32 8, v7
; %bb.6603:                             ;   in Loop: Header=BB468_3103 Depth=1
	v_clz_i32_u32_e32 v2, v12
	s_delay_alu instid0(VALU_DEP_1) | instskip(NEXT) | instid1(VALU_DEP_1)
	v_min_u32_e32 v7, 32, v2
	v_subrev_nc_u32_e32 v2, 28, v7
	s_delay_alu instid0(VALU_DEP_1) | instskip(SKIP_1) | instid1(VALU_DEP_2)
	v_lshlrev_b64 v[2:3], v2, v[12:13]
	v_sub_nc_u32_e32 v3, 29, v7
	v_and_b32_e32 v2, 7, v2
; %bb.6604:                             ;   in Loop: Header=BB468_3103 Depth=1
	s_or_b32 exec_lo, exec_lo, s25
	v_lshlrev_b32_e32 v6, 24, v6
	s_delay_alu instid0(VALU_DEP_2) | instskip(SKIP_1) | instid1(VALU_DEP_3)
	v_lshlrev_b32_e32 v2, 20, v2
	v_lshl_add_u32 v3, v3, 23, 0x3c000000
	v_and_b32_e32 v6, 0x80000000, v6
	s_delay_alu instid0(VALU_DEP_1)
	v_or3_b32 v2, v2, v6, v3
.LBB468_6605:                           ;   in Loop: Header=BB468_3103 Depth=1
	s_or_b32 exec_lo, exec_lo, s24
.LBB468_6606:                           ;   in Loop: Header=BB468_3103 Depth=1
	s_delay_alu instid0(SALU_CYCLE_1)
	s_or_b32 exec_lo, exec_lo, s23
.LBB468_6607:                           ;   in Loop: Header=BB468_3103 Depth=1
	s_delay_alu instid0(SALU_CYCLE_1) | instskip(NEXT) | instid1(VALU_DEP_1)
	s_or_b32 exec_lo, exec_lo, s22
	v_mul_f32_e32 v3, v26, v2
	s_delay_alu instid0(VALU_DEP_1) | instskip(NEXT) | instid1(VALU_DEP_1)
	v_and_b32_e32 v2, 0x7f800000, v3
	v_cmp_ne_u32_e64 s9, 0x7f800000, v2
                                        ; implicit-def: $vgpr2
	s_delay_alu instid0(VALU_DEP_1) | instskip(NEXT) | instid1(SALU_CYCLE_1)
	s_and_saveexec_b32 s22, s9
	s_xor_b32 s9, exec_lo, s22
; %bb.6608:                             ;   in Loop: Header=BB468_3103 Depth=1
	v_bfe_u32 v2, v3, 16, 1
	s_delay_alu instid0(VALU_DEP_1)
	v_add3_u32 v2, v3, v2, 0x7fff
                                        ; implicit-def: $vgpr3
; %bb.6609:                             ;   in Loop: Header=BB468_3103 Depth=1
	s_and_not1_saveexec_b32 s22, s9
; %bb.6610:                             ;   in Loop: Header=BB468_3103 Depth=1
	v_and_b32_e32 v2, 0xffff, v3
	v_or_b32_e32 v6, 0x10000, v3
	s_delay_alu instid0(VALU_DEP_2) | instskip(NEXT) | instid1(VALU_DEP_1)
	v_cmp_eq_u32_e64 s9, 0, v2
	v_cndmask_b32_e64 v2, v6, v3, s9
; %bb.6611:                             ;   in Loop: Header=BB468_3103 Depth=1
	s_or_b32 exec_lo, exec_lo, s22
	v_lshrrev_b32_e32 v6, 16, v9
	v_lshrrev_b32_e32 v7, 16, v8
	;; [unrolled: 1-line block ×8, first 2 shown]
	s_and_saveexec_b32 s9, s3
; %bb.6612:                             ;   in Loop: Header=BB468_3103 Depth=1
	s_delay_alu instid0(VALU_DEP_3)
	v_cndmask_b32_e32 v18, 0, v18, vcc_lo
	v_cndmask_b32_e64 v12, 0, v12, s1
	v_cndmask_b32_e64 v9, 0, v9, s2
	;; [unrolled: 1-line block ×7, first 2 shown]
; %bb.6613:                             ;   in Loop: Header=BB468_3103 Depth=1
	s_or_b32 exec_lo, exec_lo, s9
	v_lshlrev_b32_e32 v18, 16, v18
	s_delay_alu instid0(VALU_DEP_1) | instskip(NEXT) | instid1(VALU_DEP_1)
	v_mul_f32_e32 v18, v151, v18
	v_and_b32_e32 v36, 0x7f800000, v18
	s_delay_alu instid0(VALU_DEP_1) | instskip(NEXT) | instid1(VALU_DEP_1)
	v_cmp_ne_u32_e64 s9, 0x7f800000, v36
                                        ; implicit-def: $vgpr36
	s_and_saveexec_b32 s22, s9
	s_delay_alu instid0(SALU_CYCLE_1)
	s_xor_b32 s9, exec_lo, s22
; %bb.6614:                             ;   in Loop: Header=BB468_3103 Depth=1
	v_bfe_u32 v36, v18, 16, 1
	s_delay_alu instid0(VALU_DEP_1)
	v_add3_u32 v36, v18, v36, 0x7fff
                                        ; implicit-def: $vgpr18
; %bb.6615:                             ;   in Loop: Header=BB468_3103 Depth=1
	s_and_not1_saveexec_b32 s22, s9
; %bb.6616:                             ;   in Loop: Header=BB468_3103 Depth=1
	v_and_b32_e32 v36, 0xffff, v18
	v_or_b32_e32 v85, 0x10000, v18
	s_delay_alu instid0(VALU_DEP_2) | instskip(NEXT) | instid1(VALU_DEP_1)
	v_cmp_eq_u32_e64 s9, 0, v36
	v_cndmask_b32_e64 v36, v85, v18, s9
; %bb.6617:                             ;   in Loop: Header=BB468_3103 Depth=1
	s_or_b32 exec_lo, exec_lo, s22
	v_lshlrev_b32_e32 v12, 16, v12
                                        ; implicit-def: $vgpr122
	s_delay_alu instid0(VALU_DEP_1) | instskip(NEXT) | instid1(VALU_DEP_1)
	v_mul_f32_e32 v12, v160, v12
	v_and_b32_e32 v18, 0x7f800000, v12
	s_delay_alu instid0(VALU_DEP_1) | instskip(NEXT) | instid1(VALU_DEP_1)
	v_cmp_ne_u32_e64 s9, 0x7f800000, v18
	s_and_saveexec_b32 s22, s9
	s_delay_alu instid0(SALU_CYCLE_1)
	s_xor_b32 s9, exec_lo, s22
; %bb.6618:                             ;   in Loop: Header=BB468_3103 Depth=1
	v_bfe_u32 v18, v12, 16, 1
	s_delay_alu instid0(VALU_DEP_1)
	v_add3_u32 v122, v12, v18, 0x7fff
                                        ; implicit-def: $vgpr12
; %bb.6619:                             ;   in Loop: Header=BB468_3103 Depth=1
	s_and_not1_saveexec_b32 s22, s9
; %bb.6620:                             ;   in Loop: Header=BB468_3103 Depth=1
	v_and_b32_e32 v18, 0xffff, v12
	v_or_b32_e32 v85, 0x10000, v12
	s_delay_alu instid0(VALU_DEP_2) | instskip(NEXT) | instid1(VALU_DEP_1)
	v_cmp_eq_u32_e64 s9, 0, v18
	v_cndmask_b32_e64 v122, v85, v12, s9
; %bb.6621:                             ;   in Loop: Header=BB468_3103 Depth=1
	s_or_b32 exec_lo, exec_lo, s22
	v_lshlrev_b32_e32 v9, 16, v9
                                        ; implicit-def: $vgpr123
	s_delay_alu instid0(VALU_DEP_1) | instskip(NEXT) | instid1(VALU_DEP_1)
	v_mul_f32_e32 v9, v161, v9
	v_and_b32_e32 v12, 0x7f800000, v9
	s_delay_alu instid0(VALU_DEP_1) | instskip(NEXT) | instid1(VALU_DEP_1)
	v_cmp_ne_u32_e64 s9, 0x7f800000, v12
	s_and_saveexec_b32 s22, s9
	s_delay_alu instid0(SALU_CYCLE_1)
	s_xor_b32 s9, exec_lo, s22
; %bb.6622:                             ;   in Loop: Header=BB468_3103 Depth=1
	v_bfe_u32 v12, v9, 16, 1
	s_delay_alu instid0(VALU_DEP_1)
	v_add3_u32 v123, v9, v12, 0x7fff
                                        ; implicit-def: $vgpr9
; %bb.6623:                             ;   in Loop: Header=BB468_3103 Depth=1
	s_and_not1_saveexec_b32 s22, s9
; %bb.6624:                             ;   in Loop: Header=BB468_3103 Depth=1
	v_and_b32_e32 v12, 0xffff, v9
	v_or_b32_e32 v18, 0x10000, v9
	s_delay_alu instid0(VALU_DEP_2) | instskip(NEXT) | instid1(VALU_DEP_1)
	v_cmp_eq_u32_e64 s9, 0, v12
	v_cndmask_b32_e64 v123, v18, v9, s9
; %bb.6625:                             ;   in Loop: Header=BB468_3103 Depth=1
	s_or_b32 exec_lo, exec_lo, s22
	v_lshlrev_b32_e32 v8, 16, v8
                                        ; implicit-def: $vgpr124
	s_delay_alu instid0(VALU_DEP_1) | instskip(NEXT) | instid1(VALU_DEP_1)
	v_mul_f32_e32 v8, v162, v8
	v_and_b32_e32 v9, 0x7f800000, v8
	s_delay_alu instid0(VALU_DEP_1) | instskip(NEXT) | instid1(VALU_DEP_1)
	v_cmp_ne_u32_e64 s9, 0x7f800000, v9
	s_and_saveexec_b32 s22, s9
	s_delay_alu instid0(SALU_CYCLE_1)
	s_xor_b32 s9, exec_lo, s22
; %bb.6626:                             ;   in Loop: Header=BB468_3103 Depth=1
	v_bfe_u32 v9, v8, 16, 1
	s_delay_alu instid0(VALU_DEP_1)
	v_add3_u32 v124, v8, v9, 0x7fff
                                        ; implicit-def: $vgpr8
; %bb.6627:                             ;   in Loop: Header=BB468_3103 Depth=1
	s_and_not1_saveexec_b32 s22, s9
; %bb.6628:                             ;   in Loop: Header=BB468_3103 Depth=1
	v_and_b32_e32 v9, 0xffff, v8
	v_or_b32_e32 v12, 0x10000, v8
	s_delay_alu instid0(VALU_DEP_2) | instskip(NEXT) | instid1(VALU_DEP_1)
	v_cmp_eq_u32_e64 s9, 0, v9
	v_cndmask_b32_e64 v124, v12, v8, s9
; %bb.6629:                             ;   in Loop: Header=BB468_3103 Depth=1
	s_or_b32 exec_lo, exec_lo, s22
	v_lshlrev_b32_e32 v7, 16, v7
                                        ; implicit-def: $vgpr125
	s_delay_alu instid0(VALU_DEP_1) | instskip(NEXT) | instid1(VALU_DEP_1)
	v_mul_f32_e32 v7, v163, v7
	v_and_b32_e32 v8, 0x7f800000, v7
	s_delay_alu instid0(VALU_DEP_1) | instskip(NEXT) | instid1(VALU_DEP_1)
	v_cmp_ne_u32_e64 s9, 0x7f800000, v8
	s_and_saveexec_b32 s22, s9
	s_delay_alu instid0(SALU_CYCLE_1)
	s_xor_b32 s9, exec_lo, s22
; %bb.6630:                             ;   in Loop: Header=BB468_3103 Depth=1
	v_bfe_u32 v8, v7, 16, 1
	s_delay_alu instid0(VALU_DEP_1)
	v_add3_u32 v125, v7, v8, 0x7fff
                                        ; implicit-def: $vgpr7
; %bb.6631:                             ;   in Loop: Header=BB468_3103 Depth=1
	s_and_not1_saveexec_b32 s22, s9
; %bb.6632:                             ;   in Loop: Header=BB468_3103 Depth=1
	v_and_b32_e32 v8, 0xffff, v7
	v_or_b32_e32 v9, 0x10000, v7
	s_delay_alu instid0(VALU_DEP_2) | instskip(NEXT) | instid1(VALU_DEP_1)
	v_cmp_eq_u32_e64 s9, 0, v8
	v_cndmask_b32_e64 v125, v9, v7, s9
; %bb.6633:                             ;   in Loop: Header=BB468_3103 Depth=1
	s_or_b32 exec_lo, exec_lo, s22
	v_lshlrev_b32_e32 v6, 16, v6
                                        ; implicit-def: $vgpr126
	s_delay_alu instid0(VALU_DEP_1) | instskip(NEXT) | instid1(VALU_DEP_1)
	v_mul_f32_e32 v6, v164, v6
	v_and_b32_e32 v7, 0x7f800000, v6
	s_delay_alu instid0(VALU_DEP_1) | instskip(NEXT) | instid1(VALU_DEP_1)
	v_cmp_ne_u32_e64 s9, 0x7f800000, v7
	s_and_saveexec_b32 s22, s9
	s_delay_alu instid0(SALU_CYCLE_1)
	s_xor_b32 s9, exec_lo, s22
; %bb.6634:                             ;   in Loop: Header=BB468_3103 Depth=1
	v_bfe_u32 v7, v6, 16, 1
	s_delay_alu instid0(VALU_DEP_1)
	v_add3_u32 v126, v6, v7, 0x7fff
                                        ; implicit-def: $vgpr6
; %bb.6635:                             ;   in Loop: Header=BB468_3103 Depth=1
	s_and_not1_saveexec_b32 s22, s9
; %bb.6636:                             ;   in Loop: Header=BB468_3103 Depth=1
	v_and_b32_e32 v7, 0xffff, v6
	v_or_b32_e32 v8, 0x10000, v6
	s_delay_alu instid0(VALU_DEP_2) | instskip(NEXT) | instid1(VALU_DEP_1)
	v_cmp_eq_u32_e64 s9, 0, v7
	v_cndmask_b32_e64 v126, v8, v6, s9
; %bb.6637:                             ;   in Loop: Header=BB468_3103 Depth=1
	s_or_b32 exec_lo, exec_lo, s22
	v_lshlrev_b32_e32 v3, 16, v3
                                        ; implicit-def: $vgpr127
	s_delay_alu instid0(VALU_DEP_1) | instskip(NEXT) | instid1(VALU_DEP_1)
	v_mul_f32_e32 v3, v165, v3
	v_and_b32_e32 v6, 0x7f800000, v3
	s_delay_alu instid0(VALU_DEP_1) | instskip(NEXT) | instid1(VALU_DEP_1)
	v_cmp_ne_u32_e64 s9, 0x7f800000, v6
	s_and_saveexec_b32 s22, s9
	s_delay_alu instid0(SALU_CYCLE_1)
	s_xor_b32 s9, exec_lo, s22
; %bb.6638:                             ;   in Loop: Header=BB468_3103 Depth=1
	v_bfe_u32 v6, v3, 16, 1
	s_delay_alu instid0(VALU_DEP_1)
	v_add3_u32 v127, v3, v6, 0x7fff
                                        ; implicit-def: $vgpr3
; %bb.6639:                             ;   in Loop: Header=BB468_3103 Depth=1
	s_and_not1_saveexec_b32 s22, s9
; %bb.6640:                             ;   in Loop: Header=BB468_3103 Depth=1
	v_and_b32_e32 v6, 0xffff, v3
	v_or_b32_e32 v7, 0x10000, v3
	s_delay_alu instid0(VALU_DEP_2) | instskip(NEXT) | instid1(VALU_DEP_1)
	v_cmp_eq_u32_e64 s9, 0, v6
	v_cndmask_b32_e64 v127, v7, v3, s9
; %bb.6641:                             ;   in Loop: Header=BB468_3103 Depth=1
	s_or_b32 exec_lo, exec_lo, s22
	v_lshlrev_b32_e32 v2, 16, v2
                                        ; implicit-def: $vgpr136
	s_delay_alu instid0(VALU_DEP_1) | instskip(NEXT) | instid1(VALU_DEP_1)
	v_mul_f32_e32 v2, v166, v2
	v_and_b32_e32 v3, 0x7f800000, v2
	s_delay_alu instid0(VALU_DEP_1) | instskip(NEXT) | instid1(VALU_DEP_1)
	v_cmp_ne_u32_e64 s9, 0x7f800000, v3
	s_and_saveexec_b32 s22, s9
	s_delay_alu instid0(SALU_CYCLE_1)
	s_xor_b32 s9, exec_lo, s22
; %bb.6642:                             ;   in Loop: Header=BB468_3103 Depth=1
	v_bfe_u32 v3, v2, 16, 1
	s_delay_alu instid0(VALU_DEP_1)
	v_add3_u32 v136, v2, v3, 0x7fff
                                        ; implicit-def: $vgpr2
; %bb.6643:                             ;   in Loop: Header=BB468_3103 Depth=1
	s_and_not1_saveexec_b32 s22, s9
; %bb.6644:                             ;   in Loop: Header=BB468_3103 Depth=1
	v_and_b32_e32 v3, 0xffff, v2
	v_or_b32_e32 v6, 0x10000, v2
	s_delay_alu instid0(VALU_DEP_2) | instskip(NEXT) | instid1(VALU_DEP_1)
	v_cmp_eq_u32_e64 s9, 0, v3
	v_cndmask_b32_e64 v136, v6, v2, s9
; %bb.6645:                             ;   in Loop: Header=BB468_3103 Depth=1
	s_or_b32 exec_lo, exec_lo, s22
	scratch_load_b32 v2, off, s32 offset:860 ; 4-byte Folded Reload
	s_mov_b32 s22, exec_lo
	v_mov_b32_e32 v6, 0
	s_waitcnt vmcnt(0)
	v_add_co_u32 v2, s9, v0, v2
	s_delay_alu instid0(VALU_DEP_1) | instskip(SKIP_3) | instid1(VALU_DEP_1)
	v_add_co_ci_u32_e64 v3, s9, 0, v1, s9
	flat_load_b64 v[2:3], v[2:3]
	s_waitcnt vmcnt(0) lgkmcnt(0)
	v_and_b32_e32 v7, 0xff, v2
	v_cmpx_ne_u16_e32 0, v7
	s_cbranch_execz .LBB468_6653
; %bb.6646:                             ;   in Loop: Header=BB468_3103 Depth=1
	v_bfrev_b32_e32 v6, 1
	s_mov_b32 s23, exec_lo
	v_cmpx_ne_u16_e32 0x80, v7
	s_cbranch_execz .LBB468_6652
; %bb.6647:                             ;   in Loop: Header=BB468_3103 Depth=1
	v_and_b32_e32 v7, 0x7f, v2
	v_mov_b32_e32 v6, 0x7f800001
	s_mov_b32 s24, exec_lo
	s_delay_alu instid0(VALU_DEP_2)
	v_cmpx_ne_u32_e32 0x7f, v7
	s_cbranch_execz .LBB468_6651
; %bb.6648:                             ;   in Loop: Header=BB468_3103 Depth=1
	v_lshrrev_b32_e32 v8, 3, v7
	v_cmp_gt_u32_e64 s9, 8, v7
	v_dual_mov_b32 v7, v3 :: v_dual_mov_b32 v6, v2
	s_delay_alu instid0(VALU_DEP_2)
	s_and_saveexec_b32 s25, s9
; %bb.6649:                             ;   in Loop: Header=BB468_3103 Depth=1
	v_and_b32_e32 v6, 7, v2
	s_delay_alu instid0(VALU_DEP_1) | instskip(NEXT) | instid1(VALU_DEP_1)
	v_clz_i32_u32_e32 v6, v6
	v_min_u32_e32 v8, 32, v6
	s_delay_alu instid0(VALU_DEP_1) | instskip(SKIP_1) | instid1(VALU_DEP_2)
	v_subrev_nc_u32_e32 v6, 28, v8
	v_sub_nc_u32_e32 v8, 29, v8
	v_lshlrev_b64 v[6:7], v6, v[2:3]
; %bb.6650:                             ;   in Loop: Header=BB468_3103 Depth=1
	s_or_b32 exec_lo, exec_lo, s25
	s_delay_alu instid0(VALU_DEP_1) | instskip(SKIP_2) | instid1(VALU_DEP_3)
	v_lshlrev_b32_e32 v6, 20, v6
	v_lshlrev_b32_e32 v7, 24, v2
	v_lshl_add_u32 v8, v8, 23, 0x3c000000
	v_and_b32_e32 v6, 0x700000, v6
	s_delay_alu instid0(VALU_DEP_3) | instskip(NEXT) | instid1(VALU_DEP_1)
	v_and_b32_e32 v7, 0x80000000, v7
	v_or3_b32 v6, v6, v7, v8
.LBB468_6651:                           ;   in Loop: Header=BB468_3103 Depth=1
	s_or_b32 exec_lo, exec_lo, s24
.LBB468_6652:                           ;   in Loop: Header=BB468_3103 Depth=1
	s_delay_alu instid0(SALU_CYCLE_1)
	s_or_b32 exec_lo, exec_lo, s23
.LBB468_6653:                           ;   in Loop: Header=BB468_3103 Depth=1
	s_delay_alu instid0(SALU_CYCLE_1) | instskip(NEXT) | instid1(VALU_DEP_1)
	s_or_b32 exec_lo, exec_lo, s22
	v_mul_f32_e32 v6, v26, v6
                                        ; implicit-def: $vgpr18
	s_delay_alu instid0(VALU_DEP_1) | instskip(NEXT) | instid1(VALU_DEP_1)
	v_and_b32_e32 v7, 0x7f800000, v6
	v_cmp_ne_u32_e64 s9, 0x7f800000, v7
	s_delay_alu instid0(VALU_DEP_1) | instskip(NEXT) | instid1(SALU_CYCLE_1)
	s_and_saveexec_b32 s22, s9
	s_xor_b32 s9, exec_lo, s22
; %bb.6654:                             ;   in Loop: Header=BB468_3103 Depth=1
	v_bfe_u32 v7, v6, 16, 1
	s_delay_alu instid0(VALU_DEP_1)
	v_add3_u32 v18, v6, v7, 0x7fff
                                        ; implicit-def: $vgpr6
; %bb.6655:                             ;   in Loop: Header=BB468_3103 Depth=1
	s_and_not1_saveexec_b32 s22, s9
; %bb.6656:                             ;   in Loop: Header=BB468_3103 Depth=1
	v_and_b32_e32 v7, 0xffff, v6
	v_or_b32_e32 v8, 0x10000, v6
	s_delay_alu instid0(VALU_DEP_2) | instskip(NEXT) | instid1(VALU_DEP_1)
	v_cmp_eq_u32_e64 s9, 0, v7
	v_cndmask_b32_e64 v18, v8, v6, s9
; %bb.6657:                             ;   in Loop: Header=BB468_3103 Depth=1
	s_or_b32 exec_lo, exec_lo, s22
	v_lshrrev_b16 v7, 8, v2
	v_mov_b32_e32 v6, 0
	s_mov_b32 s22, exec_lo
	s_delay_alu instid0(VALU_DEP_2)
	v_cmpx_ne_u16_e32 0, v7
	s_cbranch_execz .LBB468_6665
; %bb.6658:                             ;   in Loop: Header=BB468_3103 Depth=1
	v_bfrev_b32_e32 v6, 1
	s_mov_b32 s23, exec_lo
	v_cmpx_ne_u16_e32 0x80, v7
	s_cbranch_execz .LBB468_6664
; %bb.6659:                             ;   in Loop: Header=BB468_3103 Depth=1
	v_and_b32_e32 v7, 0xffff, v7
	v_mov_b32_e32 v6, 0x7f800001
	s_mov_b32 s24, exec_lo
	s_delay_alu instid0(VALU_DEP_2) | instskip(NEXT) | instid1(VALU_DEP_1)
	v_and_b32_e32 v8, 0x7f, v7
	v_cmpx_ne_u32_e32 0x7f, v8
	s_cbranch_execz .LBB468_6663
; %bb.6660:                             ;   in Loop: Header=BB468_3103 Depth=1
	v_and_b32_e32 v12, 7, v7
	s_mov_b32 s25, exec_lo
	s_delay_alu instid0(VALU_DEP_1)
	v_dual_mov_b32 v6, v12 :: v_dual_mov_b32 v7, v13
	v_lshrrev_b32_e32 v7, 3, v8
	v_cmpx_gt_u32_e32 8, v8
; %bb.6661:                             ;   in Loop: Header=BB468_3103 Depth=1
	v_clz_i32_u32_e32 v6, v12
	s_delay_alu instid0(VALU_DEP_1) | instskip(NEXT) | instid1(VALU_DEP_1)
	v_min_u32_e32 v8, 32, v6
	v_subrev_nc_u32_e32 v6, 28, v8
	s_delay_alu instid0(VALU_DEP_1) | instskip(SKIP_1) | instid1(VALU_DEP_2)
	v_lshlrev_b64 v[6:7], v6, v[12:13]
	v_sub_nc_u32_e32 v7, 29, v8
	v_and_b32_e32 v6, 7, v6
; %bb.6662:                             ;   in Loop: Header=BB468_3103 Depth=1
	s_or_b32 exec_lo, exec_lo, s25
	v_lshlrev_b32_e32 v8, 16, v2
	s_delay_alu instid0(VALU_DEP_2) | instskip(SKIP_1) | instid1(VALU_DEP_3)
	v_lshlrev_b32_e32 v6, 20, v6
	v_lshl_add_u32 v7, v7, 23, 0x3c000000
	v_and_b32_e32 v8, 0x80000000, v8
	s_delay_alu instid0(VALU_DEP_1)
	v_or3_b32 v6, v6, v8, v7
.LBB468_6663:                           ;   in Loop: Header=BB468_3103 Depth=1
	s_or_b32 exec_lo, exec_lo, s24
.LBB468_6664:                           ;   in Loop: Header=BB468_3103 Depth=1
	s_delay_alu instid0(SALU_CYCLE_1)
	s_or_b32 exec_lo, exec_lo, s23
.LBB468_6665:                           ;   in Loop: Header=BB468_3103 Depth=1
	s_delay_alu instid0(SALU_CYCLE_1) | instskip(NEXT) | instid1(VALU_DEP_1)
	s_or_b32 exec_lo, exec_lo, s22
	v_mul_f32_e32 v6, v26, v6
                                        ; implicit-def: $vgpr137
	s_delay_alu instid0(VALU_DEP_1) | instskip(NEXT) | instid1(VALU_DEP_1)
	v_and_b32_e32 v7, 0x7f800000, v6
	v_cmp_ne_u32_e64 s9, 0x7f800000, v7
	s_delay_alu instid0(VALU_DEP_1) | instskip(NEXT) | instid1(SALU_CYCLE_1)
	s_and_saveexec_b32 s22, s9
	s_xor_b32 s9, exec_lo, s22
; %bb.6666:                             ;   in Loop: Header=BB468_3103 Depth=1
	v_bfe_u32 v7, v6, 16, 1
	s_delay_alu instid0(VALU_DEP_1)
	v_add3_u32 v137, v6, v7, 0x7fff
                                        ; implicit-def: $vgpr6
; %bb.6667:                             ;   in Loop: Header=BB468_3103 Depth=1
	s_and_not1_saveexec_b32 s22, s9
; %bb.6668:                             ;   in Loop: Header=BB468_3103 Depth=1
	v_and_b32_e32 v7, 0xffff, v6
	v_or_b32_e32 v8, 0x10000, v6
	s_delay_alu instid0(VALU_DEP_2) | instskip(NEXT) | instid1(VALU_DEP_1)
	v_cmp_eq_u32_e64 s9, 0, v7
	v_cndmask_b32_e64 v137, v8, v6, s9
; %bb.6669:                             ;   in Loop: Header=BB468_3103 Depth=1
	s_or_b32 exec_lo, exec_lo, s22
	v_lshrrev_b32_e32 v8, 16, v2
	s_mov_b32 s22, exec_lo
	s_delay_alu instid0(VALU_DEP_1) | instskip(NEXT) | instid1(VALU_DEP_1)
	v_dual_mov_b32 v6, 0 :: v_dual_and_b32 v7, 0xff, v8
	v_cmpx_ne_u16_e32 0, v7
	s_cbranch_execz .LBB468_6677
; %bb.6670:                             ;   in Loop: Header=BB468_3103 Depth=1
	v_bfrev_b32_e32 v6, 1
	s_mov_b32 s23, exec_lo
	v_cmpx_ne_u16_e32 0x80, v7
	s_cbranch_execz .LBB468_6676
; %bb.6671:                             ;   in Loop: Header=BB468_3103 Depth=1
	v_bfe_u32 v9, v2, 16, 7
	v_mov_b32_e32 v6, 0x7f800001
	s_mov_b32 s24, exec_lo
	s_delay_alu instid0(VALU_DEP_2)
	v_cmpx_ne_u32_e32 0x7f, v9
	s_cbranch_execz .LBB468_6675
; %bb.6672:                             ;   in Loop: Header=BB468_3103 Depth=1
	v_and_b32_e32 v12, 7, v8
	s_mov_b32 s25, exec_lo
	s_delay_alu instid0(VALU_DEP_1)
	v_dual_mov_b32 v6, v12 :: v_dual_mov_b32 v7, v13
	v_lshrrev_b32_e32 v7, 3, v9
	v_cmpx_gt_u32_e32 8, v9
; %bb.6673:                             ;   in Loop: Header=BB468_3103 Depth=1
	v_clz_i32_u32_e32 v6, v12
	s_delay_alu instid0(VALU_DEP_1) | instskip(NEXT) | instid1(VALU_DEP_1)
	v_min_u32_e32 v9, 32, v6
	v_subrev_nc_u32_e32 v6, 28, v9
	s_delay_alu instid0(VALU_DEP_1) | instskip(SKIP_1) | instid1(VALU_DEP_2)
	v_lshlrev_b64 v[6:7], v6, v[12:13]
	v_sub_nc_u32_e32 v7, 29, v9
	v_and_b32_e32 v6, 7, v6
; %bb.6674:                             ;   in Loop: Header=BB468_3103 Depth=1
	s_or_b32 exec_lo, exec_lo, s25
	v_lshlrev_b32_e32 v8, 24, v8
	s_delay_alu instid0(VALU_DEP_2) | instskip(SKIP_1) | instid1(VALU_DEP_3)
	v_lshlrev_b32_e32 v6, 20, v6
	v_lshl_add_u32 v7, v7, 23, 0x3c000000
	v_and_b32_e32 v8, 0x80000000, v8
	s_delay_alu instid0(VALU_DEP_1)
	v_or3_b32 v6, v6, v8, v7
.LBB468_6675:                           ;   in Loop: Header=BB468_3103 Depth=1
	s_or_b32 exec_lo, exec_lo, s24
.LBB468_6676:                           ;   in Loop: Header=BB468_3103 Depth=1
	s_delay_alu instid0(SALU_CYCLE_1)
	s_or_b32 exec_lo, exec_lo, s23
.LBB468_6677:                           ;   in Loop: Header=BB468_3103 Depth=1
	s_delay_alu instid0(SALU_CYCLE_1) | instskip(NEXT) | instid1(VALU_DEP_1)
	s_or_b32 exec_lo, exec_lo, s22
	v_mul_f32_e32 v6, v26, v6
                                        ; implicit-def: $vgpr138
	s_delay_alu instid0(VALU_DEP_1) | instskip(NEXT) | instid1(VALU_DEP_1)
	v_and_b32_e32 v7, 0x7f800000, v6
	v_cmp_ne_u32_e64 s9, 0x7f800000, v7
	s_delay_alu instid0(VALU_DEP_1) | instskip(NEXT) | instid1(SALU_CYCLE_1)
	s_and_saveexec_b32 s22, s9
	s_xor_b32 s9, exec_lo, s22
; %bb.6678:                             ;   in Loop: Header=BB468_3103 Depth=1
	v_bfe_u32 v7, v6, 16, 1
	s_delay_alu instid0(VALU_DEP_1)
	v_add3_u32 v138, v6, v7, 0x7fff
                                        ; implicit-def: $vgpr6
; %bb.6679:                             ;   in Loop: Header=BB468_3103 Depth=1
	s_and_not1_saveexec_b32 s22, s9
; %bb.6680:                             ;   in Loop: Header=BB468_3103 Depth=1
	v_and_b32_e32 v7, 0xffff, v6
	v_or_b32_e32 v8, 0x10000, v6
	s_delay_alu instid0(VALU_DEP_2) | instskip(NEXT) | instid1(VALU_DEP_1)
	v_cmp_eq_u32_e64 s9, 0, v7
	v_cndmask_b32_e64 v138, v8, v6, s9
; %bb.6681:                             ;   in Loop: Header=BB468_3103 Depth=1
	s_or_b32 exec_lo, exec_lo, s22
	v_mov_b32_e32 v6, 0
	s_mov_b32 s22, exec_lo
	v_cmpx_lt_u32_e32 0xffffff, v2
	s_cbranch_execz .LBB468_6689
; %bb.6682:                             ;   in Loop: Header=BB468_3103 Depth=1
	v_lshrrev_b32_e32 v8, 24, v2
	v_bfrev_b32_e32 v6, 1
	s_mov_b32 s23, exec_lo
	s_delay_alu instid0(VALU_DEP_2)
	v_cmpx_ne_u32_e32 0x80, v8
	s_cbranch_execz .LBB468_6688
; %bb.6683:                             ;   in Loop: Header=BB468_3103 Depth=1
	v_bfe_u32 v9, v2, 24, 7
	v_mov_b32_e32 v6, 0x7f800001
	s_mov_b32 s24, exec_lo
	s_delay_alu instid0(VALU_DEP_2)
	v_cmpx_ne_u32_e32 0x7f, v9
	s_cbranch_execz .LBB468_6687
; %bb.6684:                             ;   in Loop: Header=BB468_3103 Depth=1
	v_and_b32_e32 v12, 7, v8
	s_mov_b32 s25, exec_lo
	s_delay_alu instid0(VALU_DEP_1)
	v_dual_mov_b32 v6, v12 :: v_dual_mov_b32 v7, v13
	v_lshrrev_b32_e32 v7, 3, v9
	v_cmpx_gt_u32_e32 8, v9
; %bb.6685:                             ;   in Loop: Header=BB468_3103 Depth=1
	v_clz_i32_u32_e32 v6, v12
	s_delay_alu instid0(VALU_DEP_1) | instskip(NEXT) | instid1(VALU_DEP_1)
	v_min_u32_e32 v9, 32, v6
	v_subrev_nc_u32_e32 v6, 28, v9
	s_delay_alu instid0(VALU_DEP_1) | instskip(SKIP_1) | instid1(VALU_DEP_2)
	v_lshlrev_b64 v[6:7], v6, v[12:13]
	v_sub_nc_u32_e32 v7, 29, v9
	v_and_b32_e32 v6, 7, v6
; %bb.6686:                             ;   in Loop: Header=BB468_3103 Depth=1
	s_or_b32 exec_lo, exec_lo, s25
	v_lshlrev_b32_e32 v8, 24, v8
	s_delay_alu instid0(VALU_DEP_2) | instskip(SKIP_1) | instid1(VALU_DEP_3)
	v_lshlrev_b32_e32 v6, 20, v6
	v_lshl_add_u32 v7, v7, 23, 0x3c000000
	v_and_b32_e32 v8, 0x80000000, v8
	s_delay_alu instid0(VALU_DEP_1)
	v_or3_b32 v6, v6, v8, v7
.LBB468_6687:                           ;   in Loop: Header=BB468_3103 Depth=1
	s_or_b32 exec_lo, exec_lo, s24
.LBB468_6688:                           ;   in Loop: Header=BB468_3103 Depth=1
	s_delay_alu instid0(SALU_CYCLE_1)
	s_or_b32 exec_lo, exec_lo, s23
.LBB468_6689:                           ;   in Loop: Header=BB468_3103 Depth=1
	s_delay_alu instid0(SALU_CYCLE_1) | instskip(NEXT) | instid1(VALU_DEP_1)
	s_or_b32 exec_lo, exec_lo, s22
	v_mul_f32_e32 v6, v26, v6
                                        ; implicit-def: $vgpr85
	s_delay_alu instid0(VALU_DEP_1) | instskip(NEXT) | instid1(VALU_DEP_1)
	v_and_b32_e32 v7, 0x7f800000, v6
	v_cmp_ne_u32_e64 s9, 0x7f800000, v7
	s_delay_alu instid0(VALU_DEP_1) | instskip(NEXT) | instid1(SALU_CYCLE_1)
	s_and_saveexec_b32 s22, s9
	s_xor_b32 s9, exec_lo, s22
; %bb.6690:                             ;   in Loop: Header=BB468_3103 Depth=1
	v_bfe_u32 v7, v6, 16, 1
	s_delay_alu instid0(VALU_DEP_1)
	v_add3_u32 v85, v6, v7, 0x7fff
                                        ; implicit-def: $vgpr6
; %bb.6691:                             ;   in Loop: Header=BB468_3103 Depth=1
	s_and_not1_saveexec_b32 s22, s9
; %bb.6692:                             ;   in Loop: Header=BB468_3103 Depth=1
	v_and_b32_e32 v7, 0xffff, v6
	v_or_b32_e32 v8, 0x10000, v6
	s_delay_alu instid0(VALU_DEP_2) | instskip(NEXT) | instid1(VALU_DEP_1)
	v_cmp_eq_u32_e64 s9, 0, v7
	v_cndmask_b32_e64 v85, v8, v6, s9
; %bb.6693:                             ;   in Loop: Header=BB468_3103 Depth=1
	s_or_b32 exec_lo, exec_lo, s22
	v_dual_mov_b32 v12, v3 :: v_dual_and_b32 v7, 0xff, v3
	v_mov_b32_e32 v6, 0
	s_mov_b32 s22, exec_lo
	s_delay_alu instid0(VALU_DEP_2)
	v_cmpx_ne_u16_e32 0, v7
	s_cbranch_execz .LBB468_6701
; %bb.6694:                             ;   in Loop: Header=BB468_3103 Depth=1
	v_bfrev_b32_e32 v6, 1
	s_mov_b32 s23, exec_lo
	v_cmpx_ne_u16_e32 0x80, v7
	s_cbranch_execz .LBB468_6700
; %bb.6695:                             ;   in Loop: Header=BB468_3103 Depth=1
	v_and_b32_e32 v8, 0x7f, v3
	v_mov_b32_e32 v6, 0x7f800001
	s_mov_b32 s24, exec_lo
	s_delay_alu instid0(VALU_DEP_2)
	v_cmpx_ne_u32_e32 0x7f, v8
	s_cbranch_execz .LBB468_6699
; %bb.6696:                             ;   in Loop: Header=BB468_3103 Depth=1
	v_dual_mov_b32 v6, v12 :: v_dual_mov_b32 v7, v13
	v_lshrrev_b32_e32 v7, 3, v8
	s_mov_b32 s25, exec_lo
	v_cmpx_gt_u32_e32 8, v8
; %bb.6697:                             ;   in Loop: Header=BB468_3103 Depth=1
	v_and_b32_e32 v6, 7, v3
	s_delay_alu instid0(VALU_DEP_1) | instskip(NEXT) | instid1(VALU_DEP_1)
	v_clz_i32_u32_e32 v6, v6
	v_min_u32_e32 v8, 32, v6
	s_delay_alu instid0(VALU_DEP_1) | instskip(NEXT) | instid1(VALU_DEP_1)
	v_subrev_nc_u32_e32 v6, 28, v8
	v_lshlrev_b64 v[6:7], v6, v[12:13]
	v_sub_nc_u32_e32 v7, 29, v8
; %bb.6698:                             ;   in Loop: Header=BB468_3103 Depth=1
	s_or_b32 exec_lo, exec_lo, s25
	s_delay_alu instid0(VALU_DEP_2) | instskip(SKIP_1) | instid1(VALU_DEP_3)
	v_lshlrev_b32_e32 v6, 20, v6
	v_lshlrev_b32_e32 v8, 24, v12
	v_lshl_add_u32 v7, v7, 23, 0x3c000000
	s_delay_alu instid0(VALU_DEP_3) | instskip(NEXT) | instid1(VALU_DEP_3)
	v_and_b32_e32 v6, 0x700000, v6
	v_and_b32_e32 v8, 0x80000000, v8
	s_delay_alu instid0(VALU_DEP_1)
	v_or3_b32 v6, v6, v8, v7
.LBB468_6699:                           ;   in Loop: Header=BB468_3103 Depth=1
	s_or_b32 exec_lo, exec_lo, s24
.LBB468_6700:                           ;   in Loop: Header=BB468_3103 Depth=1
	s_delay_alu instid0(SALU_CYCLE_1)
	s_or_b32 exec_lo, exec_lo, s23
.LBB468_6701:                           ;   in Loop: Header=BB468_3103 Depth=1
	s_delay_alu instid0(SALU_CYCLE_1) | instskip(NEXT) | instid1(VALU_DEP_1)
	s_or_b32 exec_lo, exec_lo, s22
	v_mul_f32_e32 v6, v26, v6
                                        ; implicit-def: $vgpr8
	s_delay_alu instid0(VALU_DEP_1) | instskip(NEXT) | instid1(VALU_DEP_1)
	v_and_b32_e32 v7, 0x7f800000, v6
	v_cmp_ne_u32_e64 s9, 0x7f800000, v7
	s_delay_alu instid0(VALU_DEP_1) | instskip(NEXT) | instid1(SALU_CYCLE_1)
	s_and_saveexec_b32 s22, s9
	s_xor_b32 s9, exec_lo, s22
; %bb.6702:                             ;   in Loop: Header=BB468_3103 Depth=1
	v_bfe_u32 v7, v6, 16, 1
	s_delay_alu instid0(VALU_DEP_1)
	v_add3_u32 v8, v6, v7, 0x7fff
                                        ; implicit-def: $vgpr6
; %bb.6703:                             ;   in Loop: Header=BB468_3103 Depth=1
	s_and_not1_saveexec_b32 s22, s9
; %bb.6704:                             ;   in Loop: Header=BB468_3103 Depth=1
	v_and_b32_e32 v7, 0xffff, v6
	v_or_b32_e32 v8, 0x10000, v6
	s_delay_alu instid0(VALU_DEP_2) | instskip(NEXT) | instid1(VALU_DEP_1)
	v_cmp_eq_u32_e64 s9, 0, v7
	v_cndmask_b32_e64 v8, v8, v6, s9
; %bb.6705:                             ;   in Loop: Header=BB468_3103 Depth=1
	s_or_b32 exec_lo, exec_lo, s22
	v_lshrrev_b16 v7, 8, v12
	v_mov_b32_e32 v6, 0
	s_mov_b32 s22, exec_lo
	s_delay_alu instid0(VALU_DEP_2)
	v_cmpx_ne_u16_e32 0, v7
	s_cbranch_execz .LBB468_6713
; %bb.6706:                             ;   in Loop: Header=BB468_3103 Depth=1
	v_bfrev_b32_e32 v6, 1
	s_mov_b32 s23, exec_lo
	v_cmpx_ne_u16_e32 0x80, v7
	s_cbranch_execz .LBB468_6712
; %bb.6707:                             ;   in Loop: Header=BB468_3103 Depth=1
	v_and_b32_e32 v7, 0xffff, v7
	v_mov_b32_e32 v6, 0x7f800001
	s_mov_b32 s24, exec_lo
	s_delay_alu instid0(VALU_DEP_2) | instskip(NEXT) | instid1(VALU_DEP_1)
	v_and_b32_e32 v86, 0x7f, v7
	v_cmpx_ne_u32_e32 0x7f, v86
	s_cbranch_execz .LBB468_6711
; %bb.6708:                             ;   in Loop: Header=BB468_3103 Depth=1
	v_dual_mov_b32 v7, v13 :: v_dual_and_b32 v6, 7, v7
	v_lshrrev_b32_e32 v9, 3, v86
	s_mov_b32 s25, exec_lo
	v_cmpx_gt_u32_e32 8, v86
; %bb.6709:                             ;   in Loop: Header=BB468_3103 Depth=1
	s_delay_alu instid0(VALU_DEP_3) | instskip(NEXT) | instid1(VALU_DEP_1)
	v_clz_i32_u32_e32 v9, v6
	v_min_u32_e32 v9, 32, v9
	s_delay_alu instid0(VALU_DEP_1) | instskip(SKIP_1) | instid1(VALU_DEP_2)
	v_subrev_nc_u32_e32 v86, 28, v9
	v_sub_nc_u32_e32 v9, 29, v9
	v_lshlrev_b64 v[6:7], v86, v[6:7]
	s_delay_alu instid0(VALU_DEP_1)
	v_and_b32_e32 v6, 7, v6
; %bb.6710:                             ;   in Loop: Header=BB468_3103 Depth=1
	s_or_b32 exec_lo, exec_lo, s25
	v_lshlrev_b32_e32 v7, 16, v12
	s_delay_alu instid0(VALU_DEP_2) | instskip(SKIP_1) | instid1(VALU_DEP_3)
	v_lshlrev_b32_e32 v6, 20, v6
	v_lshl_add_u32 v9, v9, 23, 0x3c000000
	v_and_b32_e32 v7, 0x80000000, v7
	s_delay_alu instid0(VALU_DEP_1)
	v_or3_b32 v6, v6, v7, v9
.LBB468_6711:                           ;   in Loop: Header=BB468_3103 Depth=1
	s_or_b32 exec_lo, exec_lo, s24
.LBB468_6712:                           ;   in Loop: Header=BB468_3103 Depth=1
	s_delay_alu instid0(SALU_CYCLE_1)
	s_or_b32 exec_lo, exec_lo, s23
.LBB468_6713:                           ;   in Loop: Header=BB468_3103 Depth=1
	s_delay_alu instid0(SALU_CYCLE_1) | instskip(NEXT) | instid1(VALU_DEP_1)
	s_or_b32 exec_lo, exec_lo, s22
	v_mul_f32_e32 v6, v26, v6
                                        ; implicit-def: $vgpr9
	s_delay_alu instid0(VALU_DEP_1) | instskip(NEXT) | instid1(VALU_DEP_1)
	v_and_b32_e32 v7, 0x7f800000, v6
	v_cmp_ne_u32_e64 s9, 0x7f800000, v7
	s_delay_alu instid0(VALU_DEP_1) | instskip(NEXT) | instid1(SALU_CYCLE_1)
	s_and_saveexec_b32 s22, s9
	s_xor_b32 s9, exec_lo, s22
; %bb.6714:                             ;   in Loop: Header=BB468_3103 Depth=1
	v_bfe_u32 v7, v6, 16, 1
	s_delay_alu instid0(VALU_DEP_1)
	v_add3_u32 v9, v6, v7, 0x7fff
                                        ; implicit-def: $vgpr6
; %bb.6715:                             ;   in Loop: Header=BB468_3103 Depth=1
	s_and_not1_saveexec_b32 s22, s9
; %bb.6716:                             ;   in Loop: Header=BB468_3103 Depth=1
	v_and_b32_e32 v7, 0xffff, v6
	v_or_b32_e32 v9, 0x10000, v6
	s_delay_alu instid0(VALU_DEP_2) | instskip(NEXT) | instid1(VALU_DEP_1)
	v_cmp_eq_u32_e64 s9, 0, v7
	v_cndmask_b32_e64 v9, v9, v6, s9
; %bb.6717:                             ;   in Loop: Header=BB468_3103 Depth=1
	s_or_b32 exec_lo, exec_lo, s22
	v_lshrrev_b32_e32 v86, 16, v3
	s_mov_b32 s22, exec_lo
	s_delay_alu instid0(VALU_DEP_1) | instskip(NEXT) | instid1(VALU_DEP_1)
	v_dual_mov_b32 v6, 0 :: v_dual_and_b32 v7, 0xff, v86
	v_cmpx_ne_u16_e32 0, v7
	s_cbranch_execz .LBB468_6725
; %bb.6718:                             ;   in Loop: Header=BB468_3103 Depth=1
	v_bfrev_b32_e32 v6, 1
	s_mov_b32 s23, exec_lo
	v_cmpx_ne_u16_e32 0x80, v7
	s_cbranch_execz .LBB468_6724
; %bb.6719:                             ;   in Loop: Header=BB468_3103 Depth=1
	v_bfe_u32 v87, v3, 16, 7
	v_mov_b32_e32 v6, 0x7f800001
	s_mov_b32 s24, exec_lo
	s_delay_alu instid0(VALU_DEP_2)
	v_cmpx_ne_u32_e32 0x7f, v87
	s_cbranch_execz .LBB468_6723
; %bb.6720:                             ;   in Loop: Header=BB468_3103 Depth=1
	v_and_b32_e32 v12, 7, v86
	s_mov_b32 s25, exec_lo
	s_delay_alu instid0(VALU_DEP_1)
	v_dual_mov_b32 v6, v12 :: v_dual_mov_b32 v7, v13
	v_lshrrev_b32_e32 v7, 3, v87
	v_cmpx_gt_u32_e32 8, v87
; %bb.6721:                             ;   in Loop: Header=BB468_3103 Depth=1
	v_clz_i32_u32_e32 v6, v12
	s_delay_alu instid0(VALU_DEP_1) | instskip(NEXT) | instid1(VALU_DEP_1)
	v_min_u32_e32 v87, 32, v6
	v_subrev_nc_u32_e32 v6, 28, v87
	s_delay_alu instid0(VALU_DEP_1) | instskip(SKIP_1) | instid1(VALU_DEP_2)
	v_lshlrev_b64 v[6:7], v6, v[12:13]
	v_sub_nc_u32_e32 v7, 29, v87
	v_and_b32_e32 v6, 7, v6
; %bb.6722:                             ;   in Loop: Header=BB468_3103 Depth=1
	s_or_b32 exec_lo, exec_lo, s25
	v_lshlrev_b32_e32 v12, 24, v86
	s_delay_alu instid0(VALU_DEP_2) | instskip(SKIP_1) | instid1(VALU_DEP_3)
	v_lshlrev_b32_e32 v6, 20, v6
	v_lshl_add_u32 v7, v7, 23, 0x3c000000
	v_and_b32_e32 v12, 0x80000000, v12
	s_delay_alu instid0(VALU_DEP_1)
	v_or3_b32 v6, v6, v12, v7
.LBB468_6723:                           ;   in Loop: Header=BB468_3103 Depth=1
	s_or_b32 exec_lo, exec_lo, s24
.LBB468_6724:                           ;   in Loop: Header=BB468_3103 Depth=1
	s_delay_alu instid0(SALU_CYCLE_1)
	s_or_b32 exec_lo, exec_lo, s23
.LBB468_6725:                           ;   in Loop: Header=BB468_3103 Depth=1
	s_delay_alu instid0(SALU_CYCLE_1) | instskip(NEXT) | instid1(VALU_DEP_1)
	s_or_b32 exec_lo, exec_lo, s22
	v_mul_f32_e32 v6, v26, v6
                                        ; implicit-def: $vgpr86
	s_delay_alu instid0(VALU_DEP_1) | instskip(NEXT) | instid1(VALU_DEP_1)
	v_and_b32_e32 v7, 0x7f800000, v6
	v_cmp_ne_u32_e64 s9, 0x7f800000, v7
	s_delay_alu instid0(VALU_DEP_1) | instskip(NEXT) | instid1(SALU_CYCLE_1)
	s_and_saveexec_b32 s22, s9
	s_xor_b32 s9, exec_lo, s22
; %bb.6726:                             ;   in Loop: Header=BB468_3103 Depth=1
	v_bfe_u32 v7, v6, 16, 1
	s_delay_alu instid0(VALU_DEP_1)
	v_add3_u32 v86, v6, v7, 0x7fff
                                        ; implicit-def: $vgpr6
; %bb.6727:                             ;   in Loop: Header=BB468_3103 Depth=1
	s_and_not1_saveexec_b32 s22, s9
; %bb.6728:                             ;   in Loop: Header=BB468_3103 Depth=1
	v_and_b32_e32 v7, 0xffff, v6
	v_or_b32_e32 v12, 0x10000, v6
	s_delay_alu instid0(VALU_DEP_2) | instskip(NEXT) | instid1(VALU_DEP_1)
	v_cmp_eq_u32_e64 s9, 0, v7
	v_cndmask_b32_e64 v86, v12, v6, s9
; %bb.6729:                             ;   in Loop: Header=BB468_3103 Depth=1
	s_or_b32 exec_lo, exec_lo, s22
	v_cmp_lt_u64_e64 s9, s[12:13], v[2:3]
	v_mov_b32_e32 v2, 0
	s_delay_alu instid0(VALU_DEP_2)
	s_and_saveexec_b32 s22, s9
	s_cbranch_execz .LBB468_6737
; %bb.6730:                             ;   in Loop: Header=BB468_3103 Depth=1
	v_lshrrev_b32_e32 v6, 24, v3
	v_bfrev_b32_e32 v2, 1
	s_mov_b32 s23, exec_lo
	s_delay_alu instid0(VALU_DEP_2)
	v_cmpx_ne_u32_e32 0x80, v6
	s_cbranch_execz .LBB468_6736
; %bb.6731:                             ;   in Loop: Header=BB468_3103 Depth=1
	v_bfe_u32 v7, v3, 24, 7
	v_mov_b32_e32 v2, 0x7f800001
	s_mov_b32 s24, exec_lo
	s_delay_alu instid0(VALU_DEP_2)
	v_cmpx_ne_u32_e32 0x7f, v7
	s_cbranch_execz .LBB468_6735
; %bb.6732:                             ;   in Loop: Header=BB468_3103 Depth=1
	v_and_b32_e32 v12, 7, v6
	s_mov_b32 s25, exec_lo
	s_delay_alu instid0(VALU_DEP_1)
	v_dual_mov_b32 v2, v12 :: v_dual_mov_b32 v3, v13
	v_lshrrev_b32_e32 v3, 3, v7
	v_cmpx_gt_u32_e32 8, v7
; %bb.6733:                             ;   in Loop: Header=BB468_3103 Depth=1
	v_clz_i32_u32_e32 v2, v12
	s_delay_alu instid0(VALU_DEP_1) | instskip(NEXT) | instid1(VALU_DEP_1)
	v_min_u32_e32 v7, 32, v2
	v_subrev_nc_u32_e32 v2, 28, v7
	s_delay_alu instid0(VALU_DEP_1) | instskip(SKIP_1) | instid1(VALU_DEP_2)
	v_lshlrev_b64 v[2:3], v2, v[12:13]
	v_sub_nc_u32_e32 v3, 29, v7
	v_and_b32_e32 v2, 7, v2
; %bb.6734:                             ;   in Loop: Header=BB468_3103 Depth=1
	s_or_b32 exec_lo, exec_lo, s25
	v_lshlrev_b32_e32 v6, 24, v6
	s_delay_alu instid0(VALU_DEP_2) | instskip(SKIP_1) | instid1(VALU_DEP_3)
	v_lshlrev_b32_e32 v2, 20, v2
	v_lshl_add_u32 v3, v3, 23, 0x3c000000
	v_and_b32_e32 v6, 0x80000000, v6
	s_delay_alu instid0(VALU_DEP_1)
	v_or3_b32 v2, v2, v6, v3
.LBB468_6735:                           ;   in Loop: Header=BB468_3103 Depth=1
	s_or_b32 exec_lo, exec_lo, s24
.LBB468_6736:                           ;   in Loop: Header=BB468_3103 Depth=1
	s_delay_alu instid0(SALU_CYCLE_1)
	s_or_b32 exec_lo, exec_lo, s23
.LBB468_6737:                           ;   in Loop: Header=BB468_3103 Depth=1
	s_delay_alu instid0(SALU_CYCLE_1) | instskip(NEXT) | instid1(VALU_DEP_1)
	s_or_b32 exec_lo, exec_lo, s22
	v_mul_f32_e32 v3, v26, v2
	s_delay_alu instid0(VALU_DEP_1) | instskip(NEXT) | instid1(VALU_DEP_1)
	v_and_b32_e32 v2, 0x7f800000, v3
	v_cmp_ne_u32_e64 s9, 0x7f800000, v2
                                        ; implicit-def: $vgpr2
	s_delay_alu instid0(VALU_DEP_1) | instskip(NEXT) | instid1(SALU_CYCLE_1)
	s_and_saveexec_b32 s22, s9
	s_xor_b32 s9, exec_lo, s22
; %bb.6738:                             ;   in Loop: Header=BB468_3103 Depth=1
	v_bfe_u32 v2, v3, 16, 1
	s_delay_alu instid0(VALU_DEP_1)
	v_add3_u32 v2, v3, v2, 0x7fff
                                        ; implicit-def: $vgpr3
; %bb.6739:                             ;   in Loop: Header=BB468_3103 Depth=1
	s_and_not1_saveexec_b32 s22, s9
; %bb.6740:                             ;   in Loop: Header=BB468_3103 Depth=1
	v_and_b32_e32 v2, 0xffff, v3
	v_or_b32_e32 v6, 0x10000, v3
	s_delay_alu instid0(VALU_DEP_2) | instskip(NEXT) | instid1(VALU_DEP_1)
	v_cmp_eq_u32_e64 s9, 0, v2
	v_cndmask_b32_e64 v2, v6, v3, s9
; %bb.6741:                             ;   in Loop: Header=BB468_3103 Depth=1
	s_or_b32 exec_lo, exec_lo, s22
	v_lshrrev_b32_e32 v6, 16, v9
	v_lshrrev_b32_e32 v7, 16, v8
	;; [unrolled: 1-line block ×8, first 2 shown]
	s_and_saveexec_b32 s9, s3
; %bb.6742:                             ;   in Loop: Header=BB468_3103 Depth=1
	s_delay_alu instid0(VALU_DEP_3)
	v_cndmask_b32_e32 v18, 0, v18, vcc_lo
	v_cndmask_b32_e64 v12, 0, v12, s1
	v_cndmask_b32_e64 v9, 0, v9, s2
	;; [unrolled: 1-line block ×7, first 2 shown]
; %bb.6743:                             ;   in Loop: Header=BB468_3103 Depth=1
	s_or_b32 exec_lo, exec_lo, s9
	v_lshlrev_b32_e32 v18, 16, v18
                                        ; implicit-def: $vgpr137
	s_delay_alu instid0(VALU_DEP_1) | instskip(NEXT) | instid1(VALU_DEP_1)
	v_mul_f32_e32 v18, v151, v18
	v_and_b32_e32 v85, 0x7f800000, v18
	s_delay_alu instid0(VALU_DEP_1) | instskip(NEXT) | instid1(VALU_DEP_1)
	v_cmp_ne_u32_e64 s9, 0x7f800000, v85
	s_and_saveexec_b32 s22, s9
	s_delay_alu instid0(SALU_CYCLE_1)
	s_xor_b32 s9, exec_lo, s22
; %bb.6744:                             ;   in Loop: Header=BB468_3103 Depth=1
	v_bfe_u32 v85, v18, 16, 1
	s_delay_alu instid0(VALU_DEP_1)
	v_add3_u32 v137, v18, v85, 0x7fff
                                        ; implicit-def: $vgpr18
; %bb.6745:                             ;   in Loop: Header=BB468_3103 Depth=1
	s_and_not1_saveexec_b32 s22, s9
; %bb.6746:                             ;   in Loop: Header=BB468_3103 Depth=1
	v_and_b32_e32 v85, 0xffff, v18
	v_or_b32_e32 v86, 0x10000, v18
	s_delay_alu instid0(VALU_DEP_2) | instskip(NEXT) | instid1(VALU_DEP_1)
	v_cmp_eq_u32_e64 s9, 0, v85
	v_cndmask_b32_e64 v137, v86, v18, s9
; %bb.6747:                             ;   in Loop: Header=BB468_3103 Depth=1
	s_or_b32 exec_lo, exec_lo, s22
	v_lshlrev_b32_e32 v12, 16, v12
                                        ; implicit-def: $vgpr138
	s_delay_alu instid0(VALU_DEP_1) | instskip(NEXT) | instid1(VALU_DEP_1)
	v_mul_f32_e32 v12, v160, v12
	v_and_b32_e32 v18, 0x7f800000, v12
	s_delay_alu instid0(VALU_DEP_1) | instskip(NEXT) | instid1(VALU_DEP_1)
	v_cmp_ne_u32_e64 s9, 0x7f800000, v18
	s_and_saveexec_b32 s22, s9
	s_delay_alu instid0(SALU_CYCLE_1)
	s_xor_b32 s9, exec_lo, s22
; %bb.6748:                             ;   in Loop: Header=BB468_3103 Depth=1
	v_bfe_u32 v18, v12, 16, 1
	s_delay_alu instid0(VALU_DEP_1)
	v_add3_u32 v138, v12, v18, 0x7fff
                                        ; implicit-def: $vgpr12
; %bb.6749:                             ;   in Loop: Header=BB468_3103 Depth=1
	s_and_not1_saveexec_b32 s22, s9
; %bb.6750:                             ;   in Loop: Header=BB468_3103 Depth=1
	v_and_b32_e32 v18, 0xffff, v12
	v_or_b32_e32 v85, 0x10000, v12
	s_delay_alu instid0(VALU_DEP_2) | instskip(NEXT) | instid1(VALU_DEP_1)
	v_cmp_eq_u32_e64 s9, 0, v18
	v_cndmask_b32_e64 v138, v85, v12, s9
; %bb.6751:                             ;   in Loop: Header=BB468_3103 Depth=1
	s_or_b32 exec_lo, exec_lo, s22
	v_lshlrev_b32_e32 v9, 16, v9
                                        ; implicit-def: $vgpr139
	s_delay_alu instid0(VALU_DEP_1) | instskip(NEXT) | instid1(VALU_DEP_1)
	v_mul_f32_e32 v9, v161, v9
	v_and_b32_e32 v12, 0x7f800000, v9
	s_delay_alu instid0(VALU_DEP_1) | instskip(NEXT) | instid1(VALU_DEP_1)
	v_cmp_ne_u32_e64 s9, 0x7f800000, v12
	s_and_saveexec_b32 s22, s9
	s_delay_alu instid0(SALU_CYCLE_1)
	s_xor_b32 s9, exec_lo, s22
; %bb.6752:                             ;   in Loop: Header=BB468_3103 Depth=1
	v_bfe_u32 v12, v9, 16, 1
	s_delay_alu instid0(VALU_DEP_1)
	v_add3_u32 v139, v9, v12, 0x7fff
                                        ; implicit-def: $vgpr9
; %bb.6753:                             ;   in Loop: Header=BB468_3103 Depth=1
	s_and_not1_saveexec_b32 s22, s9
; %bb.6754:                             ;   in Loop: Header=BB468_3103 Depth=1
	v_and_b32_e32 v12, 0xffff, v9
	v_or_b32_e32 v18, 0x10000, v9
	s_delay_alu instid0(VALU_DEP_2) | instskip(NEXT) | instid1(VALU_DEP_1)
	v_cmp_eq_u32_e64 s9, 0, v12
	v_cndmask_b32_e64 v139, v18, v9, s9
; %bb.6755:                             ;   in Loop: Header=BB468_3103 Depth=1
	s_or_b32 exec_lo, exec_lo, s22
	v_lshlrev_b32_e32 v8, 16, v8
                                        ; implicit-def: $vgpr140
	s_delay_alu instid0(VALU_DEP_1) | instskip(NEXT) | instid1(VALU_DEP_1)
	v_mul_f32_e32 v8, v162, v8
	v_and_b32_e32 v9, 0x7f800000, v8
	s_delay_alu instid0(VALU_DEP_1) | instskip(NEXT) | instid1(VALU_DEP_1)
	v_cmp_ne_u32_e64 s9, 0x7f800000, v9
	s_and_saveexec_b32 s22, s9
	s_delay_alu instid0(SALU_CYCLE_1)
	s_xor_b32 s9, exec_lo, s22
; %bb.6756:                             ;   in Loop: Header=BB468_3103 Depth=1
	v_bfe_u32 v9, v8, 16, 1
	s_delay_alu instid0(VALU_DEP_1)
	v_add3_u32 v140, v8, v9, 0x7fff
                                        ; implicit-def: $vgpr8
; %bb.6757:                             ;   in Loop: Header=BB468_3103 Depth=1
	s_and_not1_saveexec_b32 s22, s9
; %bb.6758:                             ;   in Loop: Header=BB468_3103 Depth=1
	v_and_b32_e32 v9, 0xffff, v8
	v_or_b32_e32 v12, 0x10000, v8
	s_delay_alu instid0(VALU_DEP_2) | instskip(NEXT) | instid1(VALU_DEP_1)
	v_cmp_eq_u32_e64 s9, 0, v9
	v_cndmask_b32_e64 v140, v12, v8, s9
; %bb.6759:                             ;   in Loop: Header=BB468_3103 Depth=1
	s_or_b32 exec_lo, exec_lo, s22
	v_lshlrev_b32_e32 v7, 16, v7
                                        ; implicit-def: $vgpr141
	s_delay_alu instid0(VALU_DEP_1) | instskip(NEXT) | instid1(VALU_DEP_1)
	v_mul_f32_e32 v7, v163, v7
	v_and_b32_e32 v8, 0x7f800000, v7
	s_delay_alu instid0(VALU_DEP_1) | instskip(NEXT) | instid1(VALU_DEP_1)
	v_cmp_ne_u32_e64 s9, 0x7f800000, v8
	s_and_saveexec_b32 s22, s9
	s_delay_alu instid0(SALU_CYCLE_1)
	s_xor_b32 s9, exec_lo, s22
; %bb.6760:                             ;   in Loop: Header=BB468_3103 Depth=1
	v_bfe_u32 v8, v7, 16, 1
	s_delay_alu instid0(VALU_DEP_1)
	v_add3_u32 v141, v7, v8, 0x7fff
                                        ; implicit-def: $vgpr7
; %bb.6761:                             ;   in Loop: Header=BB468_3103 Depth=1
	s_and_not1_saveexec_b32 s22, s9
; %bb.6762:                             ;   in Loop: Header=BB468_3103 Depth=1
	v_and_b32_e32 v8, 0xffff, v7
	v_or_b32_e32 v9, 0x10000, v7
	s_delay_alu instid0(VALU_DEP_2) | instskip(NEXT) | instid1(VALU_DEP_1)
	v_cmp_eq_u32_e64 s9, 0, v8
	v_cndmask_b32_e64 v141, v9, v7, s9
; %bb.6763:                             ;   in Loop: Header=BB468_3103 Depth=1
	s_or_b32 exec_lo, exec_lo, s22
	v_lshlrev_b32_e32 v6, 16, v6
                                        ; implicit-def: $vgpr142
	s_delay_alu instid0(VALU_DEP_1) | instskip(NEXT) | instid1(VALU_DEP_1)
	v_mul_f32_e32 v6, v164, v6
	v_and_b32_e32 v7, 0x7f800000, v6
	s_delay_alu instid0(VALU_DEP_1) | instskip(NEXT) | instid1(VALU_DEP_1)
	v_cmp_ne_u32_e64 s9, 0x7f800000, v7
	s_and_saveexec_b32 s22, s9
	s_delay_alu instid0(SALU_CYCLE_1)
	s_xor_b32 s9, exec_lo, s22
; %bb.6764:                             ;   in Loop: Header=BB468_3103 Depth=1
	v_bfe_u32 v7, v6, 16, 1
	s_delay_alu instid0(VALU_DEP_1)
	v_add3_u32 v142, v6, v7, 0x7fff
                                        ; implicit-def: $vgpr6
; %bb.6765:                             ;   in Loop: Header=BB468_3103 Depth=1
	s_and_not1_saveexec_b32 s22, s9
; %bb.6766:                             ;   in Loop: Header=BB468_3103 Depth=1
	v_and_b32_e32 v7, 0xffff, v6
	v_or_b32_e32 v8, 0x10000, v6
	s_delay_alu instid0(VALU_DEP_2) | instskip(NEXT) | instid1(VALU_DEP_1)
	v_cmp_eq_u32_e64 s9, 0, v7
	v_cndmask_b32_e64 v142, v8, v6, s9
; %bb.6767:                             ;   in Loop: Header=BB468_3103 Depth=1
	s_or_b32 exec_lo, exec_lo, s22
	v_lshlrev_b32_e32 v3, 16, v3
                                        ; implicit-def: $vgpr143
	s_delay_alu instid0(VALU_DEP_1) | instskip(NEXT) | instid1(VALU_DEP_1)
	v_mul_f32_e32 v3, v165, v3
	v_and_b32_e32 v6, 0x7f800000, v3
	s_delay_alu instid0(VALU_DEP_1) | instskip(NEXT) | instid1(VALU_DEP_1)
	v_cmp_ne_u32_e64 s9, 0x7f800000, v6
	s_and_saveexec_b32 s22, s9
	s_delay_alu instid0(SALU_CYCLE_1)
	s_xor_b32 s9, exec_lo, s22
; %bb.6768:                             ;   in Loop: Header=BB468_3103 Depth=1
	v_bfe_u32 v6, v3, 16, 1
	s_delay_alu instid0(VALU_DEP_1)
	v_add3_u32 v143, v3, v6, 0x7fff
                                        ; implicit-def: $vgpr3
; %bb.6769:                             ;   in Loop: Header=BB468_3103 Depth=1
	s_and_not1_saveexec_b32 s22, s9
; %bb.6770:                             ;   in Loop: Header=BB468_3103 Depth=1
	v_and_b32_e32 v6, 0xffff, v3
	v_or_b32_e32 v7, 0x10000, v3
	s_delay_alu instid0(VALU_DEP_2) | instskip(NEXT) | instid1(VALU_DEP_1)
	v_cmp_eq_u32_e64 s9, 0, v6
	v_cndmask_b32_e64 v143, v7, v3, s9
; %bb.6771:                             ;   in Loop: Header=BB468_3103 Depth=1
	s_or_b32 exec_lo, exec_lo, s22
	v_lshlrev_b32_e32 v2, 16, v2
                                        ; implicit-def: $vgpr152
	s_delay_alu instid0(VALU_DEP_1) | instskip(NEXT) | instid1(VALU_DEP_1)
	v_mul_f32_e32 v2, v166, v2
	v_and_b32_e32 v3, 0x7f800000, v2
	s_delay_alu instid0(VALU_DEP_1) | instskip(NEXT) | instid1(VALU_DEP_1)
	v_cmp_ne_u32_e64 s9, 0x7f800000, v3
	s_and_saveexec_b32 s22, s9
	s_delay_alu instid0(SALU_CYCLE_1)
	s_xor_b32 s9, exec_lo, s22
; %bb.6772:                             ;   in Loop: Header=BB468_3103 Depth=1
	v_bfe_u32 v3, v2, 16, 1
	s_delay_alu instid0(VALU_DEP_1)
	v_add3_u32 v152, v2, v3, 0x7fff
                                        ; implicit-def: $vgpr2
; %bb.6773:                             ;   in Loop: Header=BB468_3103 Depth=1
	s_and_not1_saveexec_b32 s22, s9
; %bb.6774:                             ;   in Loop: Header=BB468_3103 Depth=1
	v_and_b32_e32 v3, 0xffff, v2
	v_or_b32_e32 v6, 0x10000, v2
	s_delay_alu instid0(VALU_DEP_2) | instskip(NEXT) | instid1(VALU_DEP_1)
	v_cmp_eq_u32_e64 s9, 0, v3
	v_cndmask_b32_e64 v152, v6, v2, s9
; %bb.6775:                             ;   in Loop: Header=BB468_3103 Depth=1
	s_or_b32 exec_lo, exec_lo, s22
	scratch_load_b32 v2, off, s32 offset:864 ; 4-byte Folded Reload
	s_mov_b32 s22, exec_lo
	v_mov_b32_e32 v6, 0
	s_waitcnt vmcnt(0)
	v_add_co_u32 v2, s9, v0, v2
	s_delay_alu instid0(VALU_DEP_1) | instskip(SKIP_3) | instid1(VALU_DEP_1)
	v_add_co_ci_u32_e64 v3, s9, 0, v1, s9
	flat_load_b64 v[2:3], v[2:3]
	s_waitcnt vmcnt(0) lgkmcnt(0)
	v_and_b32_e32 v7, 0xff, v2
	v_cmpx_ne_u16_e32 0, v7
	s_cbranch_execz .LBB468_6783
; %bb.6776:                             ;   in Loop: Header=BB468_3103 Depth=1
	v_bfrev_b32_e32 v6, 1
	s_mov_b32 s23, exec_lo
	v_cmpx_ne_u16_e32 0x80, v7
	s_cbranch_execz .LBB468_6782
; %bb.6777:                             ;   in Loop: Header=BB468_3103 Depth=1
	v_and_b32_e32 v7, 0x7f, v2
	v_mov_b32_e32 v6, 0x7f800001
	s_mov_b32 s24, exec_lo
	s_delay_alu instid0(VALU_DEP_2)
	v_cmpx_ne_u32_e32 0x7f, v7
	s_cbranch_execz .LBB468_6781
; %bb.6778:                             ;   in Loop: Header=BB468_3103 Depth=1
	v_lshrrev_b32_e32 v8, 3, v7
	v_cmp_gt_u32_e64 s9, 8, v7
	v_dual_mov_b32 v7, v3 :: v_dual_mov_b32 v6, v2
	s_delay_alu instid0(VALU_DEP_2)
	s_and_saveexec_b32 s25, s9
; %bb.6779:                             ;   in Loop: Header=BB468_3103 Depth=1
	v_and_b32_e32 v6, 7, v2
	s_delay_alu instid0(VALU_DEP_1) | instskip(NEXT) | instid1(VALU_DEP_1)
	v_clz_i32_u32_e32 v6, v6
	v_min_u32_e32 v8, 32, v6
	s_delay_alu instid0(VALU_DEP_1) | instskip(SKIP_1) | instid1(VALU_DEP_2)
	v_subrev_nc_u32_e32 v6, 28, v8
	v_sub_nc_u32_e32 v8, 29, v8
	v_lshlrev_b64 v[6:7], v6, v[2:3]
; %bb.6780:                             ;   in Loop: Header=BB468_3103 Depth=1
	s_or_b32 exec_lo, exec_lo, s25
	s_delay_alu instid0(VALU_DEP_1) | instskip(SKIP_2) | instid1(VALU_DEP_3)
	v_lshlrev_b32_e32 v6, 20, v6
	v_lshlrev_b32_e32 v7, 24, v2
	v_lshl_add_u32 v8, v8, 23, 0x3c000000
	v_and_b32_e32 v6, 0x700000, v6
	s_delay_alu instid0(VALU_DEP_3) | instskip(NEXT) | instid1(VALU_DEP_1)
	v_and_b32_e32 v7, 0x80000000, v7
	v_or3_b32 v6, v6, v7, v8
.LBB468_6781:                           ;   in Loop: Header=BB468_3103 Depth=1
	s_or_b32 exec_lo, exec_lo, s24
.LBB468_6782:                           ;   in Loop: Header=BB468_3103 Depth=1
	s_delay_alu instid0(SALU_CYCLE_1)
	s_or_b32 exec_lo, exec_lo, s23
.LBB468_6783:                           ;   in Loop: Header=BB468_3103 Depth=1
	s_delay_alu instid0(SALU_CYCLE_1) | instskip(NEXT) | instid1(VALU_DEP_1)
	s_or_b32 exec_lo, exec_lo, s22
	v_mul_f32_e32 v6, v26, v6
                                        ; implicit-def: $vgpr18
	s_delay_alu instid0(VALU_DEP_1) | instskip(NEXT) | instid1(VALU_DEP_1)
	v_and_b32_e32 v7, 0x7f800000, v6
	v_cmp_ne_u32_e64 s9, 0x7f800000, v7
	s_delay_alu instid0(VALU_DEP_1) | instskip(NEXT) | instid1(SALU_CYCLE_1)
	s_and_saveexec_b32 s22, s9
	s_xor_b32 s9, exec_lo, s22
; %bb.6784:                             ;   in Loop: Header=BB468_3103 Depth=1
	v_bfe_u32 v7, v6, 16, 1
	s_delay_alu instid0(VALU_DEP_1)
	v_add3_u32 v18, v6, v7, 0x7fff
                                        ; implicit-def: $vgpr6
; %bb.6785:                             ;   in Loop: Header=BB468_3103 Depth=1
	s_and_not1_saveexec_b32 s22, s9
; %bb.6786:                             ;   in Loop: Header=BB468_3103 Depth=1
	v_and_b32_e32 v7, 0xffff, v6
	v_or_b32_e32 v8, 0x10000, v6
	s_delay_alu instid0(VALU_DEP_2) | instskip(NEXT) | instid1(VALU_DEP_1)
	v_cmp_eq_u32_e64 s9, 0, v7
	v_cndmask_b32_e64 v18, v8, v6, s9
; %bb.6787:                             ;   in Loop: Header=BB468_3103 Depth=1
	s_or_b32 exec_lo, exec_lo, s22
	v_lshrrev_b16 v7, 8, v2
	v_mov_b32_e32 v6, 0
	s_mov_b32 s22, exec_lo
	s_delay_alu instid0(VALU_DEP_2)
	v_cmpx_ne_u16_e32 0, v7
	s_cbranch_execz .LBB468_6795
; %bb.6788:                             ;   in Loop: Header=BB468_3103 Depth=1
	v_bfrev_b32_e32 v6, 1
	s_mov_b32 s23, exec_lo
	v_cmpx_ne_u16_e32 0x80, v7
	s_cbranch_execz .LBB468_6794
; %bb.6789:                             ;   in Loop: Header=BB468_3103 Depth=1
	v_and_b32_e32 v7, 0xffff, v7
	v_mov_b32_e32 v6, 0x7f800001
	s_mov_b32 s24, exec_lo
	s_delay_alu instid0(VALU_DEP_2) | instskip(NEXT) | instid1(VALU_DEP_1)
	v_and_b32_e32 v8, 0x7f, v7
	v_cmpx_ne_u32_e32 0x7f, v8
	s_cbranch_execz .LBB468_6793
; %bb.6790:                             ;   in Loop: Header=BB468_3103 Depth=1
	v_and_b32_e32 v12, 7, v7
	s_mov_b32 s25, exec_lo
	s_delay_alu instid0(VALU_DEP_1)
	v_dual_mov_b32 v6, v12 :: v_dual_mov_b32 v7, v13
	v_lshrrev_b32_e32 v7, 3, v8
	v_cmpx_gt_u32_e32 8, v8
; %bb.6791:                             ;   in Loop: Header=BB468_3103 Depth=1
	v_clz_i32_u32_e32 v6, v12
	s_delay_alu instid0(VALU_DEP_1) | instskip(NEXT) | instid1(VALU_DEP_1)
	v_min_u32_e32 v8, 32, v6
	v_subrev_nc_u32_e32 v6, 28, v8
	s_delay_alu instid0(VALU_DEP_1) | instskip(SKIP_1) | instid1(VALU_DEP_2)
	v_lshlrev_b64 v[6:7], v6, v[12:13]
	v_sub_nc_u32_e32 v7, 29, v8
	v_and_b32_e32 v6, 7, v6
; %bb.6792:                             ;   in Loop: Header=BB468_3103 Depth=1
	s_or_b32 exec_lo, exec_lo, s25
	v_lshlrev_b32_e32 v8, 16, v2
	s_delay_alu instid0(VALU_DEP_2) | instskip(SKIP_1) | instid1(VALU_DEP_3)
	v_lshlrev_b32_e32 v6, 20, v6
	v_lshl_add_u32 v7, v7, 23, 0x3c000000
	v_and_b32_e32 v8, 0x80000000, v8
	s_delay_alu instid0(VALU_DEP_1)
	v_or3_b32 v6, v6, v8, v7
.LBB468_6793:                           ;   in Loop: Header=BB468_3103 Depth=1
	s_or_b32 exec_lo, exec_lo, s24
.LBB468_6794:                           ;   in Loop: Header=BB468_3103 Depth=1
	s_delay_alu instid0(SALU_CYCLE_1)
	s_or_b32 exec_lo, exec_lo, s23
.LBB468_6795:                           ;   in Loop: Header=BB468_3103 Depth=1
	s_delay_alu instid0(SALU_CYCLE_1) | instskip(NEXT) | instid1(VALU_DEP_1)
	s_or_b32 exec_lo, exec_lo, s22
	v_mul_f32_e32 v6, v26, v6
                                        ; implicit-def: $vgpr153
	s_delay_alu instid0(VALU_DEP_1) | instskip(NEXT) | instid1(VALU_DEP_1)
	v_and_b32_e32 v7, 0x7f800000, v6
	v_cmp_ne_u32_e64 s9, 0x7f800000, v7
	s_delay_alu instid0(VALU_DEP_1) | instskip(NEXT) | instid1(SALU_CYCLE_1)
	s_and_saveexec_b32 s22, s9
	s_xor_b32 s9, exec_lo, s22
; %bb.6796:                             ;   in Loop: Header=BB468_3103 Depth=1
	v_bfe_u32 v7, v6, 16, 1
	s_delay_alu instid0(VALU_DEP_1)
	v_add3_u32 v153, v6, v7, 0x7fff
                                        ; implicit-def: $vgpr6
; %bb.6797:                             ;   in Loop: Header=BB468_3103 Depth=1
	s_and_not1_saveexec_b32 s22, s9
; %bb.6798:                             ;   in Loop: Header=BB468_3103 Depth=1
	v_and_b32_e32 v7, 0xffff, v6
	v_or_b32_e32 v8, 0x10000, v6
	s_delay_alu instid0(VALU_DEP_2) | instskip(NEXT) | instid1(VALU_DEP_1)
	v_cmp_eq_u32_e64 s9, 0, v7
	v_cndmask_b32_e64 v153, v8, v6, s9
; %bb.6799:                             ;   in Loop: Header=BB468_3103 Depth=1
	s_or_b32 exec_lo, exec_lo, s22
	v_lshrrev_b32_e32 v8, 16, v2
	s_mov_b32 s22, exec_lo
	s_delay_alu instid0(VALU_DEP_1) | instskip(NEXT) | instid1(VALU_DEP_1)
	v_dual_mov_b32 v6, 0 :: v_dual_and_b32 v7, 0xff, v8
	v_cmpx_ne_u16_e32 0, v7
	s_cbranch_execz .LBB468_6807
; %bb.6800:                             ;   in Loop: Header=BB468_3103 Depth=1
	v_bfrev_b32_e32 v6, 1
	s_mov_b32 s23, exec_lo
	v_cmpx_ne_u16_e32 0x80, v7
	s_cbranch_execz .LBB468_6806
; %bb.6801:                             ;   in Loop: Header=BB468_3103 Depth=1
	v_bfe_u32 v9, v2, 16, 7
	v_mov_b32_e32 v6, 0x7f800001
	s_mov_b32 s24, exec_lo
	s_delay_alu instid0(VALU_DEP_2)
	v_cmpx_ne_u32_e32 0x7f, v9
	s_cbranch_execz .LBB468_6805
; %bb.6802:                             ;   in Loop: Header=BB468_3103 Depth=1
	v_and_b32_e32 v12, 7, v8
	s_mov_b32 s25, exec_lo
	s_delay_alu instid0(VALU_DEP_1)
	v_dual_mov_b32 v6, v12 :: v_dual_mov_b32 v7, v13
	v_lshrrev_b32_e32 v7, 3, v9
	v_cmpx_gt_u32_e32 8, v9
; %bb.6803:                             ;   in Loop: Header=BB468_3103 Depth=1
	v_clz_i32_u32_e32 v6, v12
	s_delay_alu instid0(VALU_DEP_1) | instskip(NEXT) | instid1(VALU_DEP_1)
	v_min_u32_e32 v9, 32, v6
	v_subrev_nc_u32_e32 v6, 28, v9
	s_delay_alu instid0(VALU_DEP_1) | instskip(SKIP_1) | instid1(VALU_DEP_2)
	v_lshlrev_b64 v[6:7], v6, v[12:13]
	v_sub_nc_u32_e32 v7, 29, v9
	v_and_b32_e32 v6, 7, v6
; %bb.6804:                             ;   in Loop: Header=BB468_3103 Depth=1
	s_or_b32 exec_lo, exec_lo, s25
	v_lshlrev_b32_e32 v8, 24, v8
	s_delay_alu instid0(VALU_DEP_2) | instskip(SKIP_1) | instid1(VALU_DEP_3)
	v_lshlrev_b32_e32 v6, 20, v6
	v_lshl_add_u32 v7, v7, 23, 0x3c000000
	v_and_b32_e32 v8, 0x80000000, v8
	s_delay_alu instid0(VALU_DEP_1)
	v_or3_b32 v6, v6, v8, v7
.LBB468_6805:                           ;   in Loop: Header=BB468_3103 Depth=1
	s_or_b32 exec_lo, exec_lo, s24
.LBB468_6806:                           ;   in Loop: Header=BB468_3103 Depth=1
	s_delay_alu instid0(SALU_CYCLE_1)
	s_or_b32 exec_lo, exec_lo, s23
.LBB468_6807:                           ;   in Loop: Header=BB468_3103 Depth=1
	s_delay_alu instid0(SALU_CYCLE_1) | instskip(NEXT) | instid1(VALU_DEP_1)
	s_or_b32 exec_lo, exec_lo, s22
	v_mul_f32_e32 v6, v26, v6
                                        ; implicit-def: $vgpr154
	s_delay_alu instid0(VALU_DEP_1) | instskip(NEXT) | instid1(VALU_DEP_1)
	v_and_b32_e32 v7, 0x7f800000, v6
	v_cmp_ne_u32_e64 s9, 0x7f800000, v7
	s_delay_alu instid0(VALU_DEP_1) | instskip(NEXT) | instid1(SALU_CYCLE_1)
	s_and_saveexec_b32 s22, s9
	s_xor_b32 s9, exec_lo, s22
; %bb.6808:                             ;   in Loop: Header=BB468_3103 Depth=1
	v_bfe_u32 v7, v6, 16, 1
	s_delay_alu instid0(VALU_DEP_1)
	v_add3_u32 v154, v6, v7, 0x7fff
                                        ; implicit-def: $vgpr6
; %bb.6809:                             ;   in Loop: Header=BB468_3103 Depth=1
	s_and_not1_saveexec_b32 s22, s9
; %bb.6810:                             ;   in Loop: Header=BB468_3103 Depth=1
	v_and_b32_e32 v7, 0xffff, v6
	v_or_b32_e32 v8, 0x10000, v6
	s_delay_alu instid0(VALU_DEP_2) | instskip(NEXT) | instid1(VALU_DEP_1)
	v_cmp_eq_u32_e64 s9, 0, v7
	v_cndmask_b32_e64 v154, v8, v6, s9
; %bb.6811:                             ;   in Loop: Header=BB468_3103 Depth=1
	s_or_b32 exec_lo, exec_lo, s22
	v_mov_b32_e32 v6, 0
	s_mov_b32 s22, exec_lo
	v_cmpx_lt_u32_e32 0xffffff, v2
	s_cbranch_execz .LBB468_6819
; %bb.6812:                             ;   in Loop: Header=BB468_3103 Depth=1
	v_lshrrev_b32_e32 v8, 24, v2
	v_bfrev_b32_e32 v6, 1
	s_mov_b32 s23, exec_lo
	s_delay_alu instid0(VALU_DEP_2)
	v_cmpx_ne_u32_e32 0x80, v8
	s_cbranch_execz .LBB468_6818
; %bb.6813:                             ;   in Loop: Header=BB468_3103 Depth=1
	v_bfe_u32 v9, v2, 24, 7
	v_mov_b32_e32 v6, 0x7f800001
	s_mov_b32 s24, exec_lo
	s_delay_alu instid0(VALU_DEP_2)
	v_cmpx_ne_u32_e32 0x7f, v9
	s_cbranch_execz .LBB468_6817
; %bb.6814:                             ;   in Loop: Header=BB468_3103 Depth=1
	v_and_b32_e32 v12, 7, v8
	s_mov_b32 s25, exec_lo
	s_delay_alu instid0(VALU_DEP_1)
	v_dual_mov_b32 v6, v12 :: v_dual_mov_b32 v7, v13
	v_lshrrev_b32_e32 v7, 3, v9
	v_cmpx_gt_u32_e32 8, v9
; %bb.6815:                             ;   in Loop: Header=BB468_3103 Depth=1
	v_clz_i32_u32_e32 v6, v12
	s_delay_alu instid0(VALU_DEP_1) | instskip(NEXT) | instid1(VALU_DEP_1)
	v_min_u32_e32 v9, 32, v6
	v_subrev_nc_u32_e32 v6, 28, v9
	s_delay_alu instid0(VALU_DEP_1) | instskip(SKIP_1) | instid1(VALU_DEP_2)
	v_lshlrev_b64 v[6:7], v6, v[12:13]
	v_sub_nc_u32_e32 v7, 29, v9
	v_and_b32_e32 v6, 7, v6
; %bb.6816:                             ;   in Loop: Header=BB468_3103 Depth=1
	s_or_b32 exec_lo, exec_lo, s25
	v_lshlrev_b32_e32 v8, 24, v8
	s_delay_alu instid0(VALU_DEP_2) | instskip(SKIP_1) | instid1(VALU_DEP_3)
	v_lshlrev_b32_e32 v6, 20, v6
	v_lshl_add_u32 v7, v7, 23, 0x3c000000
	v_and_b32_e32 v8, 0x80000000, v8
	s_delay_alu instid0(VALU_DEP_1)
	v_or3_b32 v6, v6, v8, v7
.LBB468_6817:                           ;   in Loop: Header=BB468_3103 Depth=1
	s_or_b32 exec_lo, exec_lo, s24
.LBB468_6818:                           ;   in Loop: Header=BB468_3103 Depth=1
	s_delay_alu instid0(SALU_CYCLE_1)
	s_or_b32 exec_lo, exec_lo, s23
.LBB468_6819:                           ;   in Loop: Header=BB468_3103 Depth=1
	s_delay_alu instid0(SALU_CYCLE_1) | instskip(NEXT) | instid1(VALU_DEP_1)
	s_or_b32 exec_lo, exec_lo, s22
	v_mul_f32_e32 v6, v26, v6
                                        ; implicit-def: $vgpr85
	s_delay_alu instid0(VALU_DEP_1) | instskip(NEXT) | instid1(VALU_DEP_1)
	v_and_b32_e32 v7, 0x7f800000, v6
	v_cmp_ne_u32_e64 s9, 0x7f800000, v7
	s_delay_alu instid0(VALU_DEP_1) | instskip(NEXT) | instid1(SALU_CYCLE_1)
	s_and_saveexec_b32 s22, s9
	s_xor_b32 s9, exec_lo, s22
; %bb.6820:                             ;   in Loop: Header=BB468_3103 Depth=1
	v_bfe_u32 v7, v6, 16, 1
	s_delay_alu instid0(VALU_DEP_1)
	v_add3_u32 v85, v6, v7, 0x7fff
                                        ; implicit-def: $vgpr6
; %bb.6821:                             ;   in Loop: Header=BB468_3103 Depth=1
	s_and_not1_saveexec_b32 s22, s9
; %bb.6822:                             ;   in Loop: Header=BB468_3103 Depth=1
	v_and_b32_e32 v7, 0xffff, v6
	v_or_b32_e32 v8, 0x10000, v6
	s_delay_alu instid0(VALU_DEP_2) | instskip(NEXT) | instid1(VALU_DEP_1)
	v_cmp_eq_u32_e64 s9, 0, v7
	v_cndmask_b32_e64 v85, v8, v6, s9
; %bb.6823:                             ;   in Loop: Header=BB468_3103 Depth=1
	s_or_b32 exec_lo, exec_lo, s22
	v_dual_mov_b32 v12, v3 :: v_dual_and_b32 v7, 0xff, v3
	v_mov_b32_e32 v6, 0
	s_mov_b32 s22, exec_lo
	s_delay_alu instid0(VALU_DEP_2)
	v_cmpx_ne_u16_e32 0, v7
	s_cbranch_execz .LBB468_6831
; %bb.6824:                             ;   in Loop: Header=BB468_3103 Depth=1
	v_bfrev_b32_e32 v6, 1
	s_mov_b32 s23, exec_lo
	v_cmpx_ne_u16_e32 0x80, v7
	s_cbranch_execz .LBB468_6830
; %bb.6825:                             ;   in Loop: Header=BB468_3103 Depth=1
	v_and_b32_e32 v8, 0x7f, v3
	v_mov_b32_e32 v6, 0x7f800001
	s_mov_b32 s24, exec_lo
	s_delay_alu instid0(VALU_DEP_2)
	v_cmpx_ne_u32_e32 0x7f, v8
	s_cbranch_execz .LBB468_6829
; %bb.6826:                             ;   in Loop: Header=BB468_3103 Depth=1
	v_dual_mov_b32 v6, v12 :: v_dual_mov_b32 v7, v13
	v_lshrrev_b32_e32 v7, 3, v8
	s_mov_b32 s25, exec_lo
	v_cmpx_gt_u32_e32 8, v8
; %bb.6827:                             ;   in Loop: Header=BB468_3103 Depth=1
	v_and_b32_e32 v6, 7, v3
	s_delay_alu instid0(VALU_DEP_1) | instskip(NEXT) | instid1(VALU_DEP_1)
	v_clz_i32_u32_e32 v6, v6
	v_min_u32_e32 v8, 32, v6
	s_delay_alu instid0(VALU_DEP_1) | instskip(NEXT) | instid1(VALU_DEP_1)
	v_subrev_nc_u32_e32 v6, 28, v8
	v_lshlrev_b64 v[6:7], v6, v[12:13]
	v_sub_nc_u32_e32 v7, 29, v8
; %bb.6828:                             ;   in Loop: Header=BB468_3103 Depth=1
	s_or_b32 exec_lo, exec_lo, s25
	s_delay_alu instid0(VALU_DEP_2) | instskip(SKIP_1) | instid1(VALU_DEP_3)
	v_lshlrev_b32_e32 v6, 20, v6
	v_lshlrev_b32_e32 v8, 24, v12
	v_lshl_add_u32 v7, v7, 23, 0x3c000000
	s_delay_alu instid0(VALU_DEP_3) | instskip(NEXT) | instid1(VALU_DEP_3)
	v_and_b32_e32 v6, 0x700000, v6
	v_and_b32_e32 v8, 0x80000000, v8
	s_delay_alu instid0(VALU_DEP_1)
	v_or3_b32 v6, v6, v8, v7
.LBB468_6829:                           ;   in Loop: Header=BB468_3103 Depth=1
	s_or_b32 exec_lo, exec_lo, s24
.LBB468_6830:                           ;   in Loop: Header=BB468_3103 Depth=1
	s_delay_alu instid0(SALU_CYCLE_1)
	s_or_b32 exec_lo, exec_lo, s23
.LBB468_6831:                           ;   in Loop: Header=BB468_3103 Depth=1
	s_delay_alu instid0(SALU_CYCLE_1) | instskip(NEXT) | instid1(VALU_DEP_1)
	s_or_b32 exec_lo, exec_lo, s22
	v_mul_f32_e32 v6, v26, v6
                                        ; implicit-def: $vgpr8
	s_delay_alu instid0(VALU_DEP_1) | instskip(NEXT) | instid1(VALU_DEP_1)
	v_and_b32_e32 v7, 0x7f800000, v6
	v_cmp_ne_u32_e64 s9, 0x7f800000, v7
	s_delay_alu instid0(VALU_DEP_1) | instskip(NEXT) | instid1(SALU_CYCLE_1)
	s_and_saveexec_b32 s22, s9
	s_xor_b32 s9, exec_lo, s22
; %bb.6832:                             ;   in Loop: Header=BB468_3103 Depth=1
	v_bfe_u32 v7, v6, 16, 1
	s_delay_alu instid0(VALU_DEP_1)
	v_add3_u32 v8, v6, v7, 0x7fff
                                        ; implicit-def: $vgpr6
; %bb.6833:                             ;   in Loop: Header=BB468_3103 Depth=1
	s_and_not1_saveexec_b32 s22, s9
; %bb.6834:                             ;   in Loop: Header=BB468_3103 Depth=1
	v_and_b32_e32 v7, 0xffff, v6
	v_or_b32_e32 v8, 0x10000, v6
	s_delay_alu instid0(VALU_DEP_2) | instskip(NEXT) | instid1(VALU_DEP_1)
	v_cmp_eq_u32_e64 s9, 0, v7
	v_cndmask_b32_e64 v8, v8, v6, s9
; %bb.6835:                             ;   in Loop: Header=BB468_3103 Depth=1
	s_or_b32 exec_lo, exec_lo, s22
	v_lshrrev_b16 v7, 8, v12
	v_mov_b32_e32 v6, 0
	s_mov_b32 s22, exec_lo
	s_delay_alu instid0(VALU_DEP_2)
	v_cmpx_ne_u16_e32 0, v7
	s_cbranch_execz .LBB468_6843
; %bb.6836:                             ;   in Loop: Header=BB468_3103 Depth=1
	v_bfrev_b32_e32 v6, 1
	s_mov_b32 s23, exec_lo
	v_cmpx_ne_u16_e32 0x80, v7
	s_cbranch_execz .LBB468_6842
; %bb.6837:                             ;   in Loop: Header=BB468_3103 Depth=1
	v_and_b32_e32 v7, 0xffff, v7
	v_mov_b32_e32 v6, 0x7f800001
	s_mov_b32 s24, exec_lo
	s_delay_alu instid0(VALU_DEP_2) | instskip(NEXT) | instid1(VALU_DEP_1)
	v_and_b32_e32 v86, 0x7f, v7
	v_cmpx_ne_u32_e32 0x7f, v86
	s_cbranch_execz .LBB468_6841
; %bb.6838:                             ;   in Loop: Header=BB468_3103 Depth=1
	v_dual_mov_b32 v7, v13 :: v_dual_and_b32 v6, 7, v7
	v_lshrrev_b32_e32 v9, 3, v86
	s_mov_b32 s25, exec_lo
	v_cmpx_gt_u32_e32 8, v86
; %bb.6839:                             ;   in Loop: Header=BB468_3103 Depth=1
	s_delay_alu instid0(VALU_DEP_3) | instskip(NEXT) | instid1(VALU_DEP_1)
	v_clz_i32_u32_e32 v9, v6
	v_min_u32_e32 v9, 32, v9
	s_delay_alu instid0(VALU_DEP_1) | instskip(SKIP_1) | instid1(VALU_DEP_2)
	v_subrev_nc_u32_e32 v86, 28, v9
	v_sub_nc_u32_e32 v9, 29, v9
	v_lshlrev_b64 v[6:7], v86, v[6:7]
	s_delay_alu instid0(VALU_DEP_1)
	v_and_b32_e32 v6, 7, v6
; %bb.6840:                             ;   in Loop: Header=BB468_3103 Depth=1
	s_or_b32 exec_lo, exec_lo, s25
	v_lshlrev_b32_e32 v7, 16, v12
	s_delay_alu instid0(VALU_DEP_2) | instskip(SKIP_1) | instid1(VALU_DEP_3)
	v_lshlrev_b32_e32 v6, 20, v6
	v_lshl_add_u32 v9, v9, 23, 0x3c000000
	v_and_b32_e32 v7, 0x80000000, v7
	s_delay_alu instid0(VALU_DEP_1)
	v_or3_b32 v6, v6, v7, v9
.LBB468_6841:                           ;   in Loop: Header=BB468_3103 Depth=1
	s_or_b32 exec_lo, exec_lo, s24
.LBB468_6842:                           ;   in Loop: Header=BB468_3103 Depth=1
	s_delay_alu instid0(SALU_CYCLE_1)
	s_or_b32 exec_lo, exec_lo, s23
.LBB468_6843:                           ;   in Loop: Header=BB468_3103 Depth=1
	s_delay_alu instid0(SALU_CYCLE_1) | instskip(NEXT) | instid1(VALU_DEP_1)
	s_or_b32 exec_lo, exec_lo, s22
	v_mul_f32_e32 v6, v26, v6
                                        ; implicit-def: $vgpr9
	s_delay_alu instid0(VALU_DEP_1) | instskip(NEXT) | instid1(VALU_DEP_1)
	v_and_b32_e32 v7, 0x7f800000, v6
	v_cmp_ne_u32_e64 s9, 0x7f800000, v7
	s_delay_alu instid0(VALU_DEP_1) | instskip(NEXT) | instid1(SALU_CYCLE_1)
	s_and_saveexec_b32 s22, s9
	s_xor_b32 s9, exec_lo, s22
; %bb.6844:                             ;   in Loop: Header=BB468_3103 Depth=1
	v_bfe_u32 v7, v6, 16, 1
	s_delay_alu instid0(VALU_DEP_1)
	v_add3_u32 v9, v6, v7, 0x7fff
                                        ; implicit-def: $vgpr6
; %bb.6845:                             ;   in Loop: Header=BB468_3103 Depth=1
	s_and_not1_saveexec_b32 s22, s9
; %bb.6846:                             ;   in Loop: Header=BB468_3103 Depth=1
	v_and_b32_e32 v7, 0xffff, v6
	v_or_b32_e32 v9, 0x10000, v6
	s_delay_alu instid0(VALU_DEP_2) | instskip(NEXT) | instid1(VALU_DEP_1)
	v_cmp_eq_u32_e64 s9, 0, v7
	v_cndmask_b32_e64 v9, v9, v6, s9
; %bb.6847:                             ;   in Loop: Header=BB468_3103 Depth=1
	s_or_b32 exec_lo, exec_lo, s22
	v_lshrrev_b32_e32 v86, 16, v3
	s_mov_b32 s22, exec_lo
	s_delay_alu instid0(VALU_DEP_1) | instskip(NEXT) | instid1(VALU_DEP_1)
	v_dual_mov_b32 v6, 0 :: v_dual_and_b32 v7, 0xff, v86
	v_cmpx_ne_u16_e32 0, v7
	s_cbranch_execz .LBB468_6855
; %bb.6848:                             ;   in Loop: Header=BB468_3103 Depth=1
	v_bfrev_b32_e32 v6, 1
	s_mov_b32 s23, exec_lo
	v_cmpx_ne_u16_e32 0x80, v7
	s_cbranch_execz .LBB468_6854
; %bb.6849:                             ;   in Loop: Header=BB468_3103 Depth=1
	v_bfe_u32 v87, v3, 16, 7
	v_mov_b32_e32 v6, 0x7f800001
	s_mov_b32 s24, exec_lo
	s_delay_alu instid0(VALU_DEP_2)
	v_cmpx_ne_u32_e32 0x7f, v87
	s_cbranch_execz .LBB468_6853
; %bb.6850:                             ;   in Loop: Header=BB468_3103 Depth=1
	v_and_b32_e32 v12, 7, v86
	s_mov_b32 s25, exec_lo
	s_delay_alu instid0(VALU_DEP_1)
	v_dual_mov_b32 v6, v12 :: v_dual_mov_b32 v7, v13
	v_lshrrev_b32_e32 v7, 3, v87
	v_cmpx_gt_u32_e32 8, v87
; %bb.6851:                             ;   in Loop: Header=BB468_3103 Depth=1
	v_clz_i32_u32_e32 v6, v12
	s_delay_alu instid0(VALU_DEP_1) | instskip(NEXT) | instid1(VALU_DEP_1)
	v_min_u32_e32 v87, 32, v6
	v_subrev_nc_u32_e32 v6, 28, v87
	s_delay_alu instid0(VALU_DEP_1) | instskip(SKIP_1) | instid1(VALU_DEP_2)
	v_lshlrev_b64 v[6:7], v6, v[12:13]
	v_sub_nc_u32_e32 v7, 29, v87
	v_and_b32_e32 v6, 7, v6
; %bb.6852:                             ;   in Loop: Header=BB468_3103 Depth=1
	s_or_b32 exec_lo, exec_lo, s25
	v_lshlrev_b32_e32 v12, 24, v86
	s_delay_alu instid0(VALU_DEP_2) | instskip(SKIP_1) | instid1(VALU_DEP_3)
	v_lshlrev_b32_e32 v6, 20, v6
	v_lshl_add_u32 v7, v7, 23, 0x3c000000
	v_and_b32_e32 v12, 0x80000000, v12
	s_delay_alu instid0(VALU_DEP_1)
	v_or3_b32 v6, v6, v12, v7
.LBB468_6853:                           ;   in Loop: Header=BB468_3103 Depth=1
	s_or_b32 exec_lo, exec_lo, s24
.LBB468_6854:                           ;   in Loop: Header=BB468_3103 Depth=1
	s_delay_alu instid0(SALU_CYCLE_1)
	s_or_b32 exec_lo, exec_lo, s23
.LBB468_6855:                           ;   in Loop: Header=BB468_3103 Depth=1
	s_delay_alu instid0(SALU_CYCLE_1) | instskip(NEXT) | instid1(VALU_DEP_1)
	s_or_b32 exec_lo, exec_lo, s22
	v_mul_f32_e32 v6, v26, v6
                                        ; implicit-def: $vgpr86
	s_delay_alu instid0(VALU_DEP_1) | instskip(NEXT) | instid1(VALU_DEP_1)
	v_and_b32_e32 v7, 0x7f800000, v6
	v_cmp_ne_u32_e64 s9, 0x7f800000, v7
	s_delay_alu instid0(VALU_DEP_1) | instskip(NEXT) | instid1(SALU_CYCLE_1)
	s_and_saveexec_b32 s22, s9
	s_xor_b32 s9, exec_lo, s22
; %bb.6856:                             ;   in Loop: Header=BB468_3103 Depth=1
	v_bfe_u32 v7, v6, 16, 1
	s_delay_alu instid0(VALU_DEP_1)
	v_add3_u32 v86, v6, v7, 0x7fff
                                        ; implicit-def: $vgpr6
; %bb.6857:                             ;   in Loop: Header=BB468_3103 Depth=1
	s_and_not1_saveexec_b32 s22, s9
; %bb.6858:                             ;   in Loop: Header=BB468_3103 Depth=1
	v_and_b32_e32 v7, 0xffff, v6
	v_or_b32_e32 v12, 0x10000, v6
	s_delay_alu instid0(VALU_DEP_2) | instskip(NEXT) | instid1(VALU_DEP_1)
	v_cmp_eq_u32_e64 s9, 0, v7
	v_cndmask_b32_e64 v86, v12, v6, s9
; %bb.6859:                             ;   in Loop: Header=BB468_3103 Depth=1
	s_or_b32 exec_lo, exec_lo, s22
	v_cmp_lt_u64_e64 s9, s[12:13], v[2:3]
	v_mov_b32_e32 v2, 0
	s_delay_alu instid0(VALU_DEP_2)
	s_and_saveexec_b32 s22, s9
	s_cbranch_execz .LBB468_6867
; %bb.6860:                             ;   in Loop: Header=BB468_3103 Depth=1
	v_lshrrev_b32_e32 v6, 24, v3
	v_bfrev_b32_e32 v2, 1
	s_mov_b32 s23, exec_lo
	s_delay_alu instid0(VALU_DEP_2)
	v_cmpx_ne_u32_e32 0x80, v6
	s_cbranch_execz .LBB468_6866
; %bb.6861:                             ;   in Loop: Header=BB468_3103 Depth=1
	v_bfe_u32 v7, v3, 24, 7
	v_mov_b32_e32 v2, 0x7f800001
	s_mov_b32 s24, exec_lo
	s_delay_alu instid0(VALU_DEP_2)
	v_cmpx_ne_u32_e32 0x7f, v7
	s_cbranch_execz .LBB468_6865
; %bb.6862:                             ;   in Loop: Header=BB468_3103 Depth=1
	v_and_b32_e32 v12, 7, v6
	s_mov_b32 s25, exec_lo
	s_delay_alu instid0(VALU_DEP_1)
	v_dual_mov_b32 v2, v12 :: v_dual_mov_b32 v3, v13
	v_lshrrev_b32_e32 v3, 3, v7
	v_cmpx_gt_u32_e32 8, v7
; %bb.6863:                             ;   in Loop: Header=BB468_3103 Depth=1
	v_clz_i32_u32_e32 v2, v12
	s_delay_alu instid0(VALU_DEP_1) | instskip(NEXT) | instid1(VALU_DEP_1)
	v_min_u32_e32 v7, 32, v2
	v_subrev_nc_u32_e32 v2, 28, v7
	s_delay_alu instid0(VALU_DEP_1) | instskip(SKIP_1) | instid1(VALU_DEP_2)
	v_lshlrev_b64 v[2:3], v2, v[12:13]
	v_sub_nc_u32_e32 v3, 29, v7
	v_and_b32_e32 v2, 7, v2
; %bb.6864:                             ;   in Loop: Header=BB468_3103 Depth=1
	s_or_b32 exec_lo, exec_lo, s25
	v_lshlrev_b32_e32 v6, 24, v6
	s_delay_alu instid0(VALU_DEP_2) | instskip(SKIP_1) | instid1(VALU_DEP_3)
	v_lshlrev_b32_e32 v2, 20, v2
	v_lshl_add_u32 v3, v3, 23, 0x3c000000
	v_and_b32_e32 v6, 0x80000000, v6
	s_delay_alu instid0(VALU_DEP_1)
	v_or3_b32 v2, v2, v6, v3
.LBB468_6865:                           ;   in Loop: Header=BB468_3103 Depth=1
	s_or_b32 exec_lo, exec_lo, s24
.LBB468_6866:                           ;   in Loop: Header=BB468_3103 Depth=1
	s_delay_alu instid0(SALU_CYCLE_1)
	s_or_b32 exec_lo, exec_lo, s23
.LBB468_6867:                           ;   in Loop: Header=BB468_3103 Depth=1
	s_delay_alu instid0(SALU_CYCLE_1) | instskip(NEXT) | instid1(VALU_DEP_1)
	s_or_b32 exec_lo, exec_lo, s22
	v_mul_f32_e32 v3, v26, v2
	s_delay_alu instid0(VALU_DEP_1) | instskip(NEXT) | instid1(VALU_DEP_1)
	v_and_b32_e32 v2, 0x7f800000, v3
	v_cmp_ne_u32_e64 s9, 0x7f800000, v2
                                        ; implicit-def: $vgpr2
	s_delay_alu instid0(VALU_DEP_1) | instskip(NEXT) | instid1(SALU_CYCLE_1)
	s_and_saveexec_b32 s22, s9
	s_xor_b32 s9, exec_lo, s22
; %bb.6868:                             ;   in Loop: Header=BB468_3103 Depth=1
	v_bfe_u32 v2, v3, 16, 1
	s_delay_alu instid0(VALU_DEP_1)
	v_add3_u32 v2, v3, v2, 0x7fff
                                        ; implicit-def: $vgpr3
; %bb.6869:                             ;   in Loop: Header=BB468_3103 Depth=1
	s_and_not1_saveexec_b32 s22, s9
; %bb.6870:                             ;   in Loop: Header=BB468_3103 Depth=1
	v_and_b32_e32 v2, 0xffff, v3
	v_or_b32_e32 v6, 0x10000, v3
	s_delay_alu instid0(VALU_DEP_2) | instskip(NEXT) | instid1(VALU_DEP_1)
	v_cmp_eq_u32_e64 s9, 0, v2
	v_cndmask_b32_e64 v2, v6, v3, s9
; %bb.6871:                             ;   in Loop: Header=BB468_3103 Depth=1
	s_or_b32 exec_lo, exec_lo, s22
	v_lshrrev_b32_e32 v6, 16, v9
	v_lshrrev_b32_e32 v7, 16, v8
	;; [unrolled: 1-line block ×8, first 2 shown]
	s_and_saveexec_b32 s9, s3
; %bb.6872:                             ;   in Loop: Header=BB468_3103 Depth=1
	s_delay_alu instid0(VALU_DEP_3)
	v_cndmask_b32_e32 v18, 0, v18, vcc_lo
	v_cndmask_b32_e64 v12, 0, v12, s1
	v_cndmask_b32_e64 v9, 0, v9, s2
	;; [unrolled: 1-line block ×7, first 2 shown]
; %bb.6873:                             ;   in Loop: Header=BB468_3103 Depth=1
	s_or_b32 exec_lo, exec_lo, s9
	v_lshlrev_b32_e32 v18, 16, v18
                                        ; implicit-def: $vgpr153
	s_delay_alu instid0(VALU_DEP_1) | instskip(NEXT) | instid1(VALU_DEP_1)
	v_mul_f32_e32 v18, v151, v18
	v_and_b32_e32 v85, 0x7f800000, v18
	s_delay_alu instid0(VALU_DEP_1) | instskip(NEXT) | instid1(VALU_DEP_1)
	v_cmp_ne_u32_e64 s9, 0x7f800000, v85
	s_and_saveexec_b32 s22, s9
	s_delay_alu instid0(SALU_CYCLE_1)
	s_xor_b32 s9, exec_lo, s22
; %bb.6874:                             ;   in Loop: Header=BB468_3103 Depth=1
	v_bfe_u32 v85, v18, 16, 1
	s_delay_alu instid0(VALU_DEP_1)
	v_add3_u32 v153, v18, v85, 0x7fff
                                        ; implicit-def: $vgpr18
; %bb.6875:                             ;   in Loop: Header=BB468_3103 Depth=1
	s_and_not1_saveexec_b32 s22, s9
; %bb.6876:                             ;   in Loop: Header=BB468_3103 Depth=1
	v_and_b32_e32 v85, 0xffff, v18
	v_or_b32_e32 v86, 0x10000, v18
	s_delay_alu instid0(VALU_DEP_2) | instskip(NEXT) | instid1(VALU_DEP_1)
	v_cmp_eq_u32_e64 s9, 0, v85
	v_cndmask_b32_e64 v153, v86, v18, s9
; %bb.6877:                             ;   in Loop: Header=BB468_3103 Depth=1
	s_or_b32 exec_lo, exec_lo, s22
	v_lshlrev_b32_e32 v12, 16, v12
                                        ; implicit-def: $vgpr154
	s_delay_alu instid0(VALU_DEP_1) | instskip(NEXT) | instid1(VALU_DEP_1)
	v_mul_f32_e32 v12, v160, v12
	v_and_b32_e32 v18, 0x7f800000, v12
	s_delay_alu instid0(VALU_DEP_1) | instskip(NEXT) | instid1(VALU_DEP_1)
	v_cmp_ne_u32_e64 s9, 0x7f800000, v18
	s_and_saveexec_b32 s22, s9
	s_delay_alu instid0(SALU_CYCLE_1)
	s_xor_b32 s9, exec_lo, s22
; %bb.6878:                             ;   in Loop: Header=BB468_3103 Depth=1
	v_bfe_u32 v18, v12, 16, 1
	s_delay_alu instid0(VALU_DEP_1)
	v_add3_u32 v154, v12, v18, 0x7fff
                                        ; implicit-def: $vgpr12
; %bb.6879:                             ;   in Loop: Header=BB468_3103 Depth=1
	s_and_not1_saveexec_b32 s22, s9
; %bb.6880:                             ;   in Loop: Header=BB468_3103 Depth=1
	v_and_b32_e32 v18, 0xffff, v12
	v_or_b32_e32 v85, 0x10000, v12
	s_delay_alu instid0(VALU_DEP_2) | instskip(NEXT) | instid1(VALU_DEP_1)
	v_cmp_eq_u32_e64 s9, 0, v18
	v_cndmask_b32_e64 v154, v85, v12, s9
; %bb.6881:                             ;   in Loop: Header=BB468_3103 Depth=1
	s_or_b32 exec_lo, exec_lo, s22
	v_lshlrev_b32_e32 v9, 16, v9
                                        ; implicit-def: $vgpr155
	s_delay_alu instid0(VALU_DEP_1) | instskip(NEXT) | instid1(VALU_DEP_1)
	v_mul_f32_e32 v9, v161, v9
	v_and_b32_e32 v12, 0x7f800000, v9
	s_delay_alu instid0(VALU_DEP_1) | instskip(NEXT) | instid1(VALU_DEP_1)
	v_cmp_ne_u32_e64 s9, 0x7f800000, v12
	s_and_saveexec_b32 s22, s9
	s_delay_alu instid0(SALU_CYCLE_1)
	s_xor_b32 s9, exec_lo, s22
; %bb.6882:                             ;   in Loop: Header=BB468_3103 Depth=1
	v_bfe_u32 v12, v9, 16, 1
	s_delay_alu instid0(VALU_DEP_1)
	v_add3_u32 v155, v9, v12, 0x7fff
                                        ; implicit-def: $vgpr9
; %bb.6883:                             ;   in Loop: Header=BB468_3103 Depth=1
	s_and_not1_saveexec_b32 s22, s9
; %bb.6884:                             ;   in Loop: Header=BB468_3103 Depth=1
	v_and_b32_e32 v12, 0xffff, v9
	v_or_b32_e32 v18, 0x10000, v9
	s_delay_alu instid0(VALU_DEP_2) | instskip(NEXT) | instid1(VALU_DEP_1)
	v_cmp_eq_u32_e64 s9, 0, v12
	v_cndmask_b32_e64 v155, v18, v9, s9
; %bb.6885:                             ;   in Loop: Header=BB468_3103 Depth=1
	s_or_b32 exec_lo, exec_lo, s22
	v_lshlrev_b32_e32 v8, 16, v8
                                        ; implicit-def: $vgpr156
	s_delay_alu instid0(VALU_DEP_1) | instskip(NEXT) | instid1(VALU_DEP_1)
	v_mul_f32_e32 v8, v162, v8
	v_and_b32_e32 v9, 0x7f800000, v8
	s_delay_alu instid0(VALU_DEP_1) | instskip(NEXT) | instid1(VALU_DEP_1)
	v_cmp_ne_u32_e64 s9, 0x7f800000, v9
	s_and_saveexec_b32 s22, s9
	s_delay_alu instid0(SALU_CYCLE_1)
	s_xor_b32 s9, exec_lo, s22
; %bb.6886:                             ;   in Loop: Header=BB468_3103 Depth=1
	v_bfe_u32 v9, v8, 16, 1
	s_delay_alu instid0(VALU_DEP_1)
	v_add3_u32 v156, v8, v9, 0x7fff
                                        ; implicit-def: $vgpr8
; %bb.6887:                             ;   in Loop: Header=BB468_3103 Depth=1
	s_and_not1_saveexec_b32 s22, s9
; %bb.6888:                             ;   in Loop: Header=BB468_3103 Depth=1
	v_and_b32_e32 v9, 0xffff, v8
	v_or_b32_e32 v12, 0x10000, v8
	s_delay_alu instid0(VALU_DEP_2) | instskip(NEXT) | instid1(VALU_DEP_1)
	v_cmp_eq_u32_e64 s9, 0, v9
	v_cndmask_b32_e64 v156, v12, v8, s9
; %bb.6889:                             ;   in Loop: Header=BB468_3103 Depth=1
	s_or_b32 exec_lo, exec_lo, s22
	v_lshlrev_b32_e32 v7, 16, v7
                                        ; implicit-def: $vgpr157
	s_delay_alu instid0(VALU_DEP_1) | instskip(NEXT) | instid1(VALU_DEP_1)
	v_mul_f32_e32 v7, v163, v7
	v_and_b32_e32 v8, 0x7f800000, v7
	s_delay_alu instid0(VALU_DEP_1) | instskip(NEXT) | instid1(VALU_DEP_1)
	v_cmp_ne_u32_e64 s9, 0x7f800000, v8
	s_and_saveexec_b32 s22, s9
	s_delay_alu instid0(SALU_CYCLE_1)
	s_xor_b32 s9, exec_lo, s22
; %bb.6890:                             ;   in Loop: Header=BB468_3103 Depth=1
	v_bfe_u32 v8, v7, 16, 1
	s_delay_alu instid0(VALU_DEP_1)
	v_add3_u32 v157, v7, v8, 0x7fff
                                        ; implicit-def: $vgpr7
; %bb.6891:                             ;   in Loop: Header=BB468_3103 Depth=1
	s_and_not1_saveexec_b32 s22, s9
; %bb.6892:                             ;   in Loop: Header=BB468_3103 Depth=1
	v_and_b32_e32 v8, 0xffff, v7
	v_or_b32_e32 v9, 0x10000, v7
	s_delay_alu instid0(VALU_DEP_2) | instskip(NEXT) | instid1(VALU_DEP_1)
	v_cmp_eq_u32_e64 s9, 0, v8
	v_cndmask_b32_e64 v157, v9, v7, s9
; %bb.6893:                             ;   in Loop: Header=BB468_3103 Depth=1
	s_or_b32 exec_lo, exec_lo, s22
	v_lshlrev_b32_e32 v6, 16, v6
                                        ; implicit-def: $vgpr158
	s_delay_alu instid0(VALU_DEP_1) | instskip(NEXT) | instid1(VALU_DEP_1)
	v_mul_f32_e32 v6, v164, v6
	v_and_b32_e32 v7, 0x7f800000, v6
	s_delay_alu instid0(VALU_DEP_1) | instskip(NEXT) | instid1(VALU_DEP_1)
	v_cmp_ne_u32_e64 s9, 0x7f800000, v7
	s_and_saveexec_b32 s22, s9
	s_delay_alu instid0(SALU_CYCLE_1)
	s_xor_b32 s9, exec_lo, s22
; %bb.6894:                             ;   in Loop: Header=BB468_3103 Depth=1
	v_bfe_u32 v7, v6, 16, 1
	s_delay_alu instid0(VALU_DEP_1)
	v_add3_u32 v158, v6, v7, 0x7fff
                                        ; implicit-def: $vgpr6
; %bb.6895:                             ;   in Loop: Header=BB468_3103 Depth=1
	s_and_not1_saveexec_b32 s22, s9
; %bb.6896:                             ;   in Loop: Header=BB468_3103 Depth=1
	v_and_b32_e32 v7, 0xffff, v6
	v_or_b32_e32 v8, 0x10000, v6
	s_delay_alu instid0(VALU_DEP_2) | instskip(NEXT) | instid1(VALU_DEP_1)
	v_cmp_eq_u32_e64 s9, 0, v7
	v_cndmask_b32_e64 v158, v8, v6, s9
; %bb.6897:                             ;   in Loop: Header=BB468_3103 Depth=1
	s_or_b32 exec_lo, exec_lo, s22
	v_lshlrev_b32_e32 v3, 16, v3
                                        ; implicit-def: $vgpr159
	s_delay_alu instid0(VALU_DEP_1) | instskip(NEXT) | instid1(VALU_DEP_1)
	v_mul_f32_e32 v3, v165, v3
	v_and_b32_e32 v6, 0x7f800000, v3
	s_delay_alu instid0(VALU_DEP_1) | instskip(NEXT) | instid1(VALU_DEP_1)
	v_cmp_ne_u32_e64 s9, 0x7f800000, v6
	s_and_saveexec_b32 s22, s9
	s_delay_alu instid0(SALU_CYCLE_1)
	s_xor_b32 s9, exec_lo, s22
; %bb.6898:                             ;   in Loop: Header=BB468_3103 Depth=1
	v_bfe_u32 v6, v3, 16, 1
	s_delay_alu instid0(VALU_DEP_1)
	v_add3_u32 v159, v3, v6, 0x7fff
                                        ; implicit-def: $vgpr3
; %bb.6899:                             ;   in Loop: Header=BB468_3103 Depth=1
	s_and_not1_saveexec_b32 s22, s9
; %bb.6900:                             ;   in Loop: Header=BB468_3103 Depth=1
	v_and_b32_e32 v6, 0xffff, v3
	v_or_b32_e32 v7, 0x10000, v3
	s_delay_alu instid0(VALU_DEP_2) | instskip(NEXT) | instid1(VALU_DEP_1)
	v_cmp_eq_u32_e64 s9, 0, v6
	v_cndmask_b32_e64 v159, v7, v3, s9
; %bb.6901:                             ;   in Loop: Header=BB468_3103 Depth=1
	s_or_b32 exec_lo, exec_lo, s22
	v_lshlrev_b32_e32 v2, 16, v2
                                        ; implicit-def: $vgpr168
	s_delay_alu instid0(VALU_DEP_1) | instskip(NEXT) | instid1(VALU_DEP_1)
	v_mul_f32_e32 v2, v166, v2
	v_and_b32_e32 v3, 0x7f800000, v2
	s_delay_alu instid0(VALU_DEP_1) | instskip(NEXT) | instid1(VALU_DEP_1)
	v_cmp_ne_u32_e64 s9, 0x7f800000, v3
	s_and_saveexec_b32 s22, s9
	s_delay_alu instid0(SALU_CYCLE_1)
	s_xor_b32 s9, exec_lo, s22
; %bb.6902:                             ;   in Loop: Header=BB468_3103 Depth=1
	v_bfe_u32 v3, v2, 16, 1
	s_delay_alu instid0(VALU_DEP_1)
	v_add3_u32 v168, v2, v3, 0x7fff
                                        ; implicit-def: $vgpr2
; %bb.6903:                             ;   in Loop: Header=BB468_3103 Depth=1
	s_and_not1_saveexec_b32 s22, s9
; %bb.6904:                             ;   in Loop: Header=BB468_3103 Depth=1
	v_and_b32_e32 v3, 0xffff, v2
	v_or_b32_e32 v6, 0x10000, v2
	s_delay_alu instid0(VALU_DEP_2) | instskip(NEXT) | instid1(VALU_DEP_1)
	v_cmp_eq_u32_e64 s9, 0, v3
	v_cndmask_b32_e64 v168, v6, v2, s9
; %bb.6905:                             ;   in Loop: Header=BB468_3103 Depth=1
	s_or_b32 exec_lo, exec_lo, s22
	scratch_load_b32 v2, off, s32 offset:868 ; 4-byte Folded Reload
	s_mov_b32 s22, exec_lo
	v_mov_b32_e32 v6, 0
	s_waitcnt vmcnt(0)
	v_add_co_u32 v2, s9, v0, v2
	s_delay_alu instid0(VALU_DEP_1) | instskip(SKIP_3) | instid1(VALU_DEP_1)
	v_add_co_ci_u32_e64 v3, s9, 0, v1, s9
	flat_load_b64 v[2:3], v[2:3]
	s_waitcnt vmcnt(0) lgkmcnt(0)
	v_and_b32_e32 v7, 0xff, v2
	v_cmpx_ne_u16_e32 0, v7
	s_cbranch_execz .LBB468_6913
; %bb.6906:                             ;   in Loop: Header=BB468_3103 Depth=1
	v_bfrev_b32_e32 v6, 1
	s_mov_b32 s23, exec_lo
	v_cmpx_ne_u16_e32 0x80, v7
	s_cbranch_execz .LBB468_6912
; %bb.6907:                             ;   in Loop: Header=BB468_3103 Depth=1
	v_and_b32_e32 v7, 0x7f, v2
	v_mov_b32_e32 v6, 0x7f800001
	s_mov_b32 s24, exec_lo
	s_delay_alu instid0(VALU_DEP_2)
	v_cmpx_ne_u32_e32 0x7f, v7
	s_cbranch_execz .LBB468_6911
; %bb.6908:                             ;   in Loop: Header=BB468_3103 Depth=1
	v_lshrrev_b32_e32 v8, 3, v7
	v_cmp_gt_u32_e64 s9, 8, v7
	v_dual_mov_b32 v7, v3 :: v_dual_mov_b32 v6, v2
	s_delay_alu instid0(VALU_DEP_2)
	s_and_saveexec_b32 s25, s9
; %bb.6909:                             ;   in Loop: Header=BB468_3103 Depth=1
	v_and_b32_e32 v6, 7, v2
	s_delay_alu instid0(VALU_DEP_1) | instskip(NEXT) | instid1(VALU_DEP_1)
	v_clz_i32_u32_e32 v6, v6
	v_min_u32_e32 v8, 32, v6
	s_delay_alu instid0(VALU_DEP_1) | instskip(SKIP_1) | instid1(VALU_DEP_2)
	v_subrev_nc_u32_e32 v6, 28, v8
	v_sub_nc_u32_e32 v8, 29, v8
	v_lshlrev_b64 v[6:7], v6, v[2:3]
; %bb.6910:                             ;   in Loop: Header=BB468_3103 Depth=1
	s_or_b32 exec_lo, exec_lo, s25
	s_delay_alu instid0(VALU_DEP_1) | instskip(SKIP_2) | instid1(VALU_DEP_3)
	v_lshlrev_b32_e32 v6, 20, v6
	v_lshlrev_b32_e32 v7, 24, v2
	v_lshl_add_u32 v8, v8, 23, 0x3c000000
	v_and_b32_e32 v6, 0x700000, v6
	s_delay_alu instid0(VALU_DEP_3) | instskip(NEXT) | instid1(VALU_DEP_1)
	v_and_b32_e32 v7, 0x80000000, v7
	v_or3_b32 v6, v6, v7, v8
.LBB468_6911:                           ;   in Loop: Header=BB468_3103 Depth=1
	s_or_b32 exec_lo, exec_lo, s24
.LBB468_6912:                           ;   in Loop: Header=BB468_3103 Depth=1
	s_delay_alu instid0(SALU_CYCLE_1)
	s_or_b32 exec_lo, exec_lo, s23
.LBB468_6913:                           ;   in Loop: Header=BB468_3103 Depth=1
	s_delay_alu instid0(SALU_CYCLE_1) | instskip(NEXT) | instid1(VALU_DEP_1)
	s_or_b32 exec_lo, exec_lo, s22
	v_mul_f32_e32 v6, v26, v6
                                        ; implicit-def: $vgpr18
	s_delay_alu instid0(VALU_DEP_1) | instskip(NEXT) | instid1(VALU_DEP_1)
	v_and_b32_e32 v7, 0x7f800000, v6
	v_cmp_ne_u32_e64 s9, 0x7f800000, v7
	s_delay_alu instid0(VALU_DEP_1) | instskip(NEXT) | instid1(SALU_CYCLE_1)
	s_and_saveexec_b32 s22, s9
	s_xor_b32 s9, exec_lo, s22
; %bb.6914:                             ;   in Loop: Header=BB468_3103 Depth=1
	v_bfe_u32 v7, v6, 16, 1
	s_delay_alu instid0(VALU_DEP_1)
	v_add3_u32 v18, v6, v7, 0x7fff
                                        ; implicit-def: $vgpr6
; %bb.6915:                             ;   in Loop: Header=BB468_3103 Depth=1
	s_and_not1_saveexec_b32 s22, s9
; %bb.6916:                             ;   in Loop: Header=BB468_3103 Depth=1
	v_and_b32_e32 v7, 0xffff, v6
	v_or_b32_e32 v8, 0x10000, v6
	s_delay_alu instid0(VALU_DEP_2) | instskip(NEXT) | instid1(VALU_DEP_1)
	v_cmp_eq_u32_e64 s9, 0, v7
	v_cndmask_b32_e64 v18, v8, v6, s9
; %bb.6917:                             ;   in Loop: Header=BB468_3103 Depth=1
	s_or_b32 exec_lo, exec_lo, s22
	v_lshrrev_b16 v7, 8, v2
	v_mov_b32_e32 v6, 0
	s_mov_b32 s22, exec_lo
	s_delay_alu instid0(VALU_DEP_2)
	v_cmpx_ne_u16_e32 0, v7
	s_cbranch_execz .LBB468_6925
; %bb.6918:                             ;   in Loop: Header=BB468_3103 Depth=1
	v_bfrev_b32_e32 v6, 1
	s_mov_b32 s23, exec_lo
	v_cmpx_ne_u16_e32 0x80, v7
	s_cbranch_execz .LBB468_6924
; %bb.6919:                             ;   in Loop: Header=BB468_3103 Depth=1
	v_and_b32_e32 v7, 0xffff, v7
	v_mov_b32_e32 v6, 0x7f800001
	s_mov_b32 s24, exec_lo
	s_delay_alu instid0(VALU_DEP_2) | instskip(NEXT) | instid1(VALU_DEP_1)
	v_and_b32_e32 v8, 0x7f, v7
	v_cmpx_ne_u32_e32 0x7f, v8
	s_cbranch_execz .LBB468_6923
; %bb.6920:                             ;   in Loop: Header=BB468_3103 Depth=1
	v_and_b32_e32 v12, 7, v7
	s_mov_b32 s25, exec_lo
	s_delay_alu instid0(VALU_DEP_1)
	v_dual_mov_b32 v6, v12 :: v_dual_mov_b32 v7, v13
	v_lshrrev_b32_e32 v7, 3, v8
	v_cmpx_gt_u32_e32 8, v8
; %bb.6921:                             ;   in Loop: Header=BB468_3103 Depth=1
	v_clz_i32_u32_e32 v6, v12
	s_delay_alu instid0(VALU_DEP_1) | instskip(NEXT) | instid1(VALU_DEP_1)
	v_min_u32_e32 v8, 32, v6
	v_subrev_nc_u32_e32 v6, 28, v8
	s_delay_alu instid0(VALU_DEP_1) | instskip(SKIP_1) | instid1(VALU_DEP_2)
	v_lshlrev_b64 v[6:7], v6, v[12:13]
	v_sub_nc_u32_e32 v7, 29, v8
	v_and_b32_e32 v6, 7, v6
; %bb.6922:                             ;   in Loop: Header=BB468_3103 Depth=1
	s_or_b32 exec_lo, exec_lo, s25
	v_lshlrev_b32_e32 v8, 16, v2
	s_delay_alu instid0(VALU_DEP_2) | instskip(SKIP_1) | instid1(VALU_DEP_3)
	v_lshlrev_b32_e32 v6, 20, v6
	v_lshl_add_u32 v7, v7, 23, 0x3c000000
	v_and_b32_e32 v8, 0x80000000, v8
	s_delay_alu instid0(VALU_DEP_1)
	v_or3_b32 v6, v6, v8, v7
.LBB468_6923:                           ;   in Loop: Header=BB468_3103 Depth=1
	s_or_b32 exec_lo, exec_lo, s24
.LBB468_6924:                           ;   in Loop: Header=BB468_3103 Depth=1
	s_delay_alu instid0(SALU_CYCLE_1)
	s_or_b32 exec_lo, exec_lo, s23
.LBB468_6925:                           ;   in Loop: Header=BB468_3103 Depth=1
	s_delay_alu instid0(SALU_CYCLE_1) | instskip(NEXT) | instid1(VALU_DEP_1)
	s_or_b32 exec_lo, exec_lo, s22
	v_mul_f32_e32 v6, v26, v6
                                        ; implicit-def: $vgpr169
	s_delay_alu instid0(VALU_DEP_1) | instskip(NEXT) | instid1(VALU_DEP_1)
	v_and_b32_e32 v7, 0x7f800000, v6
	v_cmp_ne_u32_e64 s9, 0x7f800000, v7
	s_delay_alu instid0(VALU_DEP_1) | instskip(NEXT) | instid1(SALU_CYCLE_1)
	s_and_saveexec_b32 s22, s9
	s_xor_b32 s9, exec_lo, s22
; %bb.6926:                             ;   in Loop: Header=BB468_3103 Depth=1
	v_bfe_u32 v7, v6, 16, 1
	s_delay_alu instid0(VALU_DEP_1)
	v_add3_u32 v169, v6, v7, 0x7fff
                                        ; implicit-def: $vgpr6
; %bb.6927:                             ;   in Loop: Header=BB468_3103 Depth=1
	s_and_not1_saveexec_b32 s22, s9
; %bb.6928:                             ;   in Loop: Header=BB468_3103 Depth=1
	v_and_b32_e32 v7, 0xffff, v6
	v_or_b32_e32 v8, 0x10000, v6
	s_delay_alu instid0(VALU_DEP_2) | instskip(NEXT) | instid1(VALU_DEP_1)
	v_cmp_eq_u32_e64 s9, 0, v7
	v_cndmask_b32_e64 v169, v8, v6, s9
; %bb.6929:                             ;   in Loop: Header=BB468_3103 Depth=1
	s_or_b32 exec_lo, exec_lo, s22
	v_lshrrev_b32_e32 v8, 16, v2
	s_mov_b32 s22, exec_lo
	s_delay_alu instid0(VALU_DEP_1) | instskip(NEXT) | instid1(VALU_DEP_1)
	v_dual_mov_b32 v6, 0 :: v_dual_and_b32 v7, 0xff, v8
	v_cmpx_ne_u16_e32 0, v7
	s_cbranch_execz .LBB468_6937
; %bb.6930:                             ;   in Loop: Header=BB468_3103 Depth=1
	v_bfrev_b32_e32 v6, 1
	s_mov_b32 s23, exec_lo
	v_cmpx_ne_u16_e32 0x80, v7
	s_cbranch_execz .LBB468_6936
; %bb.6931:                             ;   in Loop: Header=BB468_3103 Depth=1
	v_bfe_u32 v9, v2, 16, 7
	v_mov_b32_e32 v6, 0x7f800001
	s_mov_b32 s24, exec_lo
	s_delay_alu instid0(VALU_DEP_2)
	v_cmpx_ne_u32_e32 0x7f, v9
	s_cbranch_execz .LBB468_6935
; %bb.6932:                             ;   in Loop: Header=BB468_3103 Depth=1
	v_and_b32_e32 v12, 7, v8
	s_mov_b32 s25, exec_lo
	s_delay_alu instid0(VALU_DEP_1)
	v_dual_mov_b32 v6, v12 :: v_dual_mov_b32 v7, v13
	v_lshrrev_b32_e32 v7, 3, v9
	v_cmpx_gt_u32_e32 8, v9
; %bb.6933:                             ;   in Loop: Header=BB468_3103 Depth=1
	v_clz_i32_u32_e32 v6, v12
	s_delay_alu instid0(VALU_DEP_1) | instskip(NEXT) | instid1(VALU_DEP_1)
	v_min_u32_e32 v9, 32, v6
	v_subrev_nc_u32_e32 v6, 28, v9
	s_delay_alu instid0(VALU_DEP_1) | instskip(SKIP_1) | instid1(VALU_DEP_2)
	v_lshlrev_b64 v[6:7], v6, v[12:13]
	v_sub_nc_u32_e32 v7, 29, v9
	v_and_b32_e32 v6, 7, v6
; %bb.6934:                             ;   in Loop: Header=BB468_3103 Depth=1
	s_or_b32 exec_lo, exec_lo, s25
	v_lshlrev_b32_e32 v8, 24, v8
	s_delay_alu instid0(VALU_DEP_2) | instskip(SKIP_1) | instid1(VALU_DEP_3)
	v_lshlrev_b32_e32 v6, 20, v6
	v_lshl_add_u32 v7, v7, 23, 0x3c000000
	v_and_b32_e32 v8, 0x80000000, v8
	s_delay_alu instid0(VALU_DEP_1)
	v_or3_b32 v6, v6, v8, v7
.LBB468_6935:                           ;   in Loop: Header=BB468_3103 Depth=1
	s_or_b32 exec_lo, exec_lo, s24
.LBB468_6936:                           ;   in Loop: Header=BB468_3103 Depth=1
	s_delay_alu instid0(SALU_CYCLE_1)
	s_or_b32 exec_lo, exec_lo, s23
.LBB468_6937:                           ;   in Loop: Header=BB468_3103 Depth=1
	s_delay_alu instid0(SALU_CYCLE_1) | instskip(NEXT) | instid1(VALU_DEP_1)
	s_or_b32 exec_lo, exec_lo, s22
	v_mul_f32_e32 v6, v26, v6
                                        ; implicit-def: $vgpr170
	s_delay_alu instid0(VALU_DEP_1) | instskip(NEXT) | instid1(VALU_DEP_1)
	v_and_b32_e32 v7, 0x7f800000, v6
	v_cmp_ne_u32_e64 s9, 0x7f800000, v7
	s_delay_alu instid0(VALU_DEP_1) | instskip(NEXT) | instid1(SALU_CYCLE_1)
	s_and_saveexec_b32 s22, s9
	s_xor_b32 s9, exec_lo, s22
; %bb.6938:                             ;   in Loop: Header=BB468_3103 Depth=1
	v_bfe_u32 v7, v6, 16, 1
	s_delay_alu instid0(VALU_DEP_1)
	v_add3_u32 v170, v6, v7, 0x7fff
                                        ; implicit-def: $vgpr6
; %bb.6939:                             ;   in Loop: Header=BB468_3103 Depth=1
	s_and_not1_saveexec_b32 s22, s9
; %bb.6940:                             ;   in Loop: Header=BB468_3103 Depth=1
	v_and_b32_e32 v7, 0xffff, v6
	v_or_b32_e32 v8, 0x10000, v6
	s_delay_alu instid0(VALU_DEP_2) | instskip(NEXT) | instid1(VALU_DEP_1)
	v_cmp_eq_u32_e64 s9, 0, v7
	v_cndmask_b32_e64 v170, v8, v6, s9
; %bb.6941:                             ;   in Loop: Header=BB468_3103 Depth=1
	s_or_b32 exec_lo, exec_lo, s22
	v_mov_b32_e32 v6, 0
	s_mov_b32 s22, exec_lo
	v_cmpx_lt_u32_e32 0xffffff, v2
	s_cbranch_execz .LBB468_6949
; %bb.6942:                             ;   in Loop: Header=BB468_3103 Depth=1
	v_lshrrev_b32_e32 v8, 24, v2
	v_bfrev_b32_e32 v6, 1
	s_mov_b32 s23, exec_lo
	s_delay_alu instid0(VALU_DEP_2)
	v_cmpx_ne_u32_e32 0x80, v8
	s_cbranch_execz .LBB468_6948
; %bb.6943:                             ;   in Loop: Header=BB468_3103 Depth=1
	v_bfe_u32 v9, v2, 24, 7
	v_mov_b32_e32 v6, 0x7f800001
	s_mov_b32 s24, exec_lo
	s_delay_alu instid0(VALU_DEP_2)
	v_cmpx_ne_u32_e32 0x7f, v9
	s_cbranch_execz .LBB468_6947
; %bb.6944:                             ;   in Loop: Header=BB468_3103 Depth=1
	v_and_b32_e32 v12, 7, v8
	s_mov_b32 s25, exec_lo
	s_delay_alu instid0(VALU_DEP_1)
	v_dual_mov_b32 v6, v12 :: v_dual_mov_b32 v7, v13
	v_lshrrev_b32_e32 v7, 3, v9
	v_cmpx_gt_u32_e32 8, v9
; %bb.6945:                             ;   in Loop: Header=BB468_3103 Depth=1
	v_clz_i32_u32_e32 v6, v12
	s_delay_alu instid0(VALU_DEP_1) | instskip(NEXT) | instid1(VALU_DEP_1)
	v_min_u32_e32 v9, 32, v6
	v_subrev_nc_u32_e32 v6, 28, v9
	s_delay_alu instid0(VALU_DEP_1) | instskip(SKIP_1) | instid1(VALU_DEP_2)
	v_lshlrev_b64 v[6:7], v6, v[12:13]
	v_sub_nc_u32_e32 v7, 29, v9
	v_and_b32_e32 v6, 7, v6
; %bb.6946:                             ;   in Loop: Header=BB468_3103 Depth=1
	s_or_b32 exec_lo, exec_lo, s25
	v_lshlrev_b32_e32 v8, 24, v8
	s_delay_alu instid0(VALU_DEP_2) | instskip(SKIP_1) | instid1(VALU_DEP_3)
	v_lshlrev_b32_e32 v6, 20, v6
	v_lshl_add_u32 v7, v7, 23, 0x3c000000
	v_and_b32_e32 v8, 0x80000000, v8
	s_delay_alu instid0(VALU_DEP_1)
	v_or3_b32 v6, v6, v8, v7
.LBB468_6947:                           ;   in Loop: Header=BB468_3103 Depth=1
	s_or_b32 exec_lo, exec_lo, s24
.LBB468_6948:                           ;   in Loop: Header=BB468_3103 Depth=1
	s_delay_alu instid0(SALU_CYCLE_1)
	s_or_b32 exec_lo, exec_lo, s23
.LBB468_6949:                           ;   in Loop: Header=BB468_3103 Depth=1
	s_delay_alu instid0(SALU_CYCLE_1) | instskip(NEXT) | instid1(VALU_DEP_1)
	s_or_b32 exec_lo, exec_lo, s22
	v_mul_f32_e32 v6, v26, v6
                                        ; implicit-def: $vgpr85
	s_delay_alu instid0(VALU_DEP_1) | instskip(NEXT) | instid1(VALU_DEP_1)
	v_and_b32_e32 v7, 0x7f800000, v6
	v_cmp_ne_u32_e64 s9, 0x7f800000, v7
	s_delay_alu instid0(VALU_DEP_1) | instskip(NEXT) | instid1(SALU_CYCLE_1)
	s_and_saveexec_b32 s22, s9
	s_xor_b32 s9, exec_lo, s22
; %bb.6950:                             ;   in Loop: Header=BB468_3103 Depth=1
	v_bfe_u32 v7, v6, 16, 1
	s_delay_alu instid0(VALU_DEP_1)
	v_add3_u32 v85, v6, v7, 0x7fff
                                        ; implicit-def: $vgpr6
; %bb.6951:                             ;   in Loop: Header=BB468_3103 Depth=1
	s_and_not1_saveexec_b32 s22, s9
; %bb.6952:                             ;   in Loop: Header=BB468_3103 Depth=1
	v_and_b32_e32 v7, 0xffff, v6
	v_or_b32_e32 v8, 0x10000, v6
	s_delay_alu instid0(VALU_DEP_2) | instskip(NEXT) | instid1(VALU_DEP_1)
	v_cmp_eq_u32_e64 s9, 0, v7
	v_cndmask_b32_e64 v85, v8, v6, s9
; %bb.6953:                             ;   in Loop: Header=BB468_3103 Depth=1
	s_or_b32 exec_lo, exec_lo, s22
	v_dual_mov_b32 v12, v3 :: v_dual_and_b32 v7, 0xff, v3
	v_mov_b32_e32 v6, 0
	s_mov_b32 s22, exec_lo
	s_delay_alu instid0(VALU_DEP_2)
	v_cmpx_ne_u16_e32 0, v7
	s_cbranch_execz .LBB468_6961
; %bb.6954:                             ;   in Loop: Header=BB468_3103 Depth=1
	v_bfrev_b32_e32 v6, 1
	s_mov_b32 s23, exec_lo
	v_cmpx_ne_u16_e32 0x80, v7
	s_cbranch_execz .LBB468_6960
; %bb.6955:                             ;   in Loop: Header=BB468_3103 Depth=1
	v_and_b32_e32 v8, 0x7f, v3
	v_mov_b32_e32 v6, 0x7f800001
	s_mov_b32 s24, exec_lo
	s_delay_alu instid0(VALU_DEP_2)
	v_cmpx_ne_u32_e32 0x7f, v8
	s_cbranch_execz .LBB468_6959
; %bb.6956:                             ;   in Loop: Header=BB468_3103 Depth=1
	v_dual_mov_b32 v6, v12 :: v_dual_mov_b32 v7, v13
	v_lshrrev_b32_e32 v7, 3, v8
	s_mov_b32 s25, exec_lo
	v_cmpx_gt_u32_e32 8, v8
; %bb.6957:                             ;   in Loop: Header=BB468_3103 Depth=1
	v_and_b32_e32 v6, 7, v3
	s_delay_alu instid0(VALU_DEP_1) | instskip(NEXT) | instid1(VALU_DEP_1)
	v_clz_i32_u32_e32 v6, v6
	v_min_u32_e32 v8, 32, v6
	s_delay_alu instid0(VALU_DEP_1) | instskip(NEXT) | instid1(VALU_DEP_1)
	v_subrev_nc_u32_e32 v6, 28, v8
	v_lshlrev_b64 v[6:7], v6, v[12:13]
	v_sub_nc_u32_e32 v7, 29, v8
; %bb.6958:                             ;   in Loop: Header=BB468_3103 Depth=1
	s_or_b32 exec_lo, exec_lo, s25
	s_delay_alu instid0(VALU_DEP_2) | instskip(SKIP_1) | instid1(VALU_DEP_3)
	v_lshlrev_b32_e32 v6, 20, v6
	v_lshlrev_b32_e32 v8, 24, v12
	v_lshl_add_u32 v7, v7, 23, 0x3c000000
	s_delay_alu instid0(VALU_DEP_3) | instskip(NEXT) | instid1(VALU_DEP_3)
	v_and_b32_e32 v6, 0x700000, v6
	v_and_b32_e32 v8, 0x80000000, v8
	s_delay_alu instid0(VALU_DEP_1)
	v_or3_b32 v6, v6, v8, v7
.LBB468_6959:                           ;   in Loop: Header=BB468_3103 Depth=1
	s_or_b32 exec_lo, exec_lo, s24
.LBB468_6960:                           ;   in Loop: Header=BB468_3103 Depth=1
	s_delay_alu instid0(SALU_CYCLE_1)
	s_or_b32 exec_lo, exec_lo, s23
.LBB468_6961:                           ;   in Loop: Header=BB468_3103 Depth=1
	s_delay_alu instid0(SALU_CYCLE_1) | instskip(NEXT) | instid1(VALU_DEP_1)
	s_or_b32 exec_lo, exec_lo, s22
	v_mul_f32_e32 v6, v26, v6
                                        ; implicit-def: $vgpr8
	s_delay_alu instid0(VALU_DEP_1) | instskip(NEXT) | instid1(VALU_DEP_1)
	v_and_b32_e32 v7, 0x7f800000, v6
	v_cmp_ne_u32_e64 s9, 0x7f800000, v7
	s_delay_alu instid0(VALU_DEP_1) | instskip(NEXT) | instid1(SALU_CYCLE_1)
	s_and_saveexec_b32 s22, s9
	s_xor_b32 s9, exec_lo, s22
; %bb.6962:                             ;   in Loop: Header=BB468_3103 Depth=1
	v_bfe_u32 v7, v6, 16, 1
	s_delay_alu instid0(VALU_DEP_1)
	v_add3_u32 v8, v6, v7, 0x7fff
                                        ; implicit-def: $vgpr6
; %bb.6963:                             ;   in Loop: Header=BB468_3103 Depth=1
	s_and_not1_saveexec_b32 s22, s9
; %bb.6964:                             ;   in Loop: Header=BB468_3103 Depth=1
	v_and_b32_e32 v7, 0xffff, v6
	v_or_b32_e32 v8, 0x10000, v6
	s_delay_alu instid0(VALU_DEP_2) | instskip(NEXT) | instid1(VALU_DEP_1)
	v_cmp_eq_u32_e64 s9, 0, v7
	v_cndmask_b32_e64 v8, v8, v6, s9
; %bb.6965:                             ;   in Loop: Header=BB468_3103 Depth=1
	s_or_b32 exec_lo, exec_lo, s22
	v_lshrrev_b16 v7, 8, v12
	v_mov_b32_e32 v6, 0
	s_mov_b32 s22, exec_lo
	s_delay_alu instid0(VALU_DEP_2)
	v_cmpx_ne_u16_e32 0, v7
	s_cbranch_execz .LBB468_6973
; %bb.6966:                             ;   in Loop: Header=BB468_3103 Depth=1
	v_bfrev_b32_e32 v6, 1
	s_mov_b32 s23, exec_lo
	v_cmpx_ne_u16_e32 0x80, v7
	s_cbranch_execz .LBB468_6972
; %bb.6967:                             ;   in Loop: Header=BB468_3103 Depth=1
	v_and_b32_e32 v7, 0xffff, v7
	v_mov_b32_e32 v6, 0x7f800001
	s_mov_b32 s24, exec_lo
	s_delay_alu instid0(VALU_DEP_2) | instskip(NEXT) | instid1(VALU_DEP_1)
	v_and_b32_e32 v86, 0x7f, v7
	v_cmpx_ne_u32_e32 0x7f, v86
	s_cbranch_execz .LBB468_6971
; %bb.6968:                             ;   in Loop: Header=BB468_3103 Depth=1
	v_dual_mov_b32 v7, v13 :: v_dual_and_b32 v6, 7, v7
	v_lshrrev_b32_e32 v9, 3, v86
	s_mov_b32 s25, exec_lo
	v_cmpx_gt_u32_e32 8, v86
; %bb.6969:                             ;   in Loop: Header=BB468_3103 Depth=1
	s_delay_alu instid0(VALU_DEP_3) | instskip(NEXT) | instid1(VALU_DEP_1)
	v_clz_i32_u32_e32 v9, v6
	v_min_u32_e32 v9, 32, v9
	s_delay_alu instid0(VALU_DEP_1) | instskip(SKIP_1) | instid1(VALU_DEP_2)
	v_subrev_nc_u32_e32 v86, 28, v9
	v_sub_nc_u32_e32 v9, 29, v9
	v_lshlrev_b64 v[6:7], v86, v[6:7]
	s_delay_alu instid0(VALU_DEP_1)
	v_and_b32_e32 v6, 7, v6
; %bb.6970:                             ;   in Loop: Header=BB468_3103 Depth=1
	s_or_b32 exec_lo, exec_lo, s25
	v_lshlrev_b32_e32 v7, 16, v12
	s_delay_alu instid0(VALU_DEP_2) | instskip(SKIP_1) | instid1(VALU_DEP_3)
	v_lshlrev_b32_e32 v6, 20, v6
	v_lshl_add_u32 v9, v9, 23, 0x3c000000
	v_and_b32_e32 v7, 0x80000000, v7
	s_delay_alu instid0(VALU_DEP_1)
	v_or3_b32 v6, v6, v7, v9
.LBB468_6971:                           ;   in Loop: Header=BB468_3103 Depth=1
	s_or_b32 exec_lo, exec_lo, s24
.LBB468_6972:                           ;   in Loop: Header=BB468_3103 Depth=1
	s_delay_alu instid0(SALU_CYCLE_1)
	s_or_b32 exec_lo, exec_lo, s23
.LBB468_6973:                           ;   in Loop: Header=BB468_3103 Depth=1
	s_delay_alu instid0(SALU_CYCLE_1) | instskip(NEXT) | instid1(VALU_DEP_1)
	s_or_b32 exec_lo, exec_lo, s22
	v_mul_f32_e32 v6, v26, v6
                                        ; implicit-def: $vgpr9
	s_delay_alu instid0(VALU_DEP_1) | instskip(NEXT) | instid1(VALU_DEP_1)
	v_and_b32_e32 v7, 0x7f800000, v6
	v_cmp_ne_u32_e64 s9, 0x7f800000, v7
	s_delay_alu instid0(VALU_DEP_1) | instskip(NEXT) | instid1(SALU_CYCLE_1)
	s_and_saveexec_b32 s22, s9
	s_xor_b32 s9, exec_lo, s22
; %bb.6974:                             ;   in Loop: Header=BB468_3103 Depth=1
	v_bfe_u32 v7, v6, 16, 1
	s_delay_alu instid0(VALU_DEP_1)
	v_add3_u32 v9, v6, v7, 0x7fff
                                        ; implicit-def: $vgpr6
; %bb.6975:                             ;   in Loop: Header=BB468_3103 Depth=1
	s_and_not1_saveexec_b32 s22, s9
; %bb.6976:                             ;   in Loop: Header=BB468_3103 Depth=1
	v_and_b32_e32 v7, 0xffff, v6
	v_or_b32_e32 v9, 0x10000, v6
	s_delay_alu instid0(VALU_DEP_2) | instskip(NEXT) | instid1(VALU_DEP_1)
	v_cmp_eq_u32_e64 s9, 0, v7
	v_cndmask_b32_e64 v9, v9, v6, s9
; %bb.6977:                             ;   in Loop: Header=BB468_3103 Depth=1
	s_or_b32 exec_lo, exec_lo, s22
	v_lshrrev_b32_e32 v86, 16, v3
	s_mov_b32 s22, exec_lo
	s_delay_alu instid0(VALU_DEP_1) | instskip(NEXT) | instid1(VALU_DEP_1)
	v_dual_mov_b32 v6, 0 :: v_dual_and_b32 v7, 0xff, v86
	v_cmpx_ne_u16_e32 0, v7
	s_cbranch_execz .LBB468_6985
; %bb.6978:                             ;   in Loop: Header=BB468_3103 Depth=1
	v_bfrev_b32_e32 v6, 1
	s_mov_b32 s23, exec_lo
	v_cmpx_ne_u16_e32 0x80, v7
	s_cbranch_execz .LBB468_6984
; %bb.6979:                             ;   in Loop: Header=BB468_3103 Depth=1
	v_bfe_u32 v87, v3, 16, 7
	v_mov_b32_e32 v6, 0x7f800001
	s_mov_b32 s24, exec_lo
	s_delay_alu instid0(VALU_DEP_2)
	v_cmpx_ne_u32_e32 0x7f, v87
	s_cbranch_execz .LBB468_6983
; %bb.6980:                             ;   in Loop: Header=BB468_3103 Depth=1
	v_and_b32_e32 v12, 7, v86
	s_mov_b32 s25, exec_lo
	s_delay_alu instid0(VALU_DEP_1)
	v_dual_mov_b32 v6, v12 :: v_dual_mov_b32 v7, v13
	v_lshrrev_b32_e32 v7, 3, v87
	v_cmpx_gt_u32_e32 8, v87
; %bb.6981:                             ;   in Loop: Header=BB468_3103 Depth=1
	v_clz_i32_u32_e32 v6, v12
	s_delay_alu instid0(VALU_DEP_1) | instskip(NEXT) | instid1(VALU_DEP_1)
	v_min_u32_e32 v87, 32, v6
	v_subrev_nc_u32_e32 v6, 28, v87
	s_delay_alu instid0(VALU_DEP_1) | instskip(SKIP_1) | instid1(VALU_DEP_2)
	v_lshlrev_b64 v[6:7], v6, v[12:13]
	v_sub_nc_u32_e32 v7, 29, v87
	v_and_b32_e32 v6, 7, v6
; %bb.6982:                             ;   in Loop: Header=BB468_3103 Depth=1
	s_or_b32 exec_lo, exec_lo, s25
	v_lshlrev_b32_e32 v12, 24, v86
	s_delay_alu instid0(VALU_DEP_2) | instskip(SKIP_1) | instid1(VALU_DEP_3)
	v_lshlrev_b32_e32 v6, 20, v6
	v_lshl_add_u32 v7, v7, 23, 0x3c000000
	v_and_b32_e32 v12, 0x80000000, v12
	s_delay_alu instid0(VALU_DEP_1)
	v_or3_b32 v6, v6, v12, v7
.LBB468_6983:                           ;   in Loop: Header=BB468_3103 Depth=1
	s_or_b32 exec_lo, exec_lo, s24
.LBB468_6984:                           ;   in Loop: Header=BB468_3103 Depth=1
	s_delay_alu instid0(SALU_CYCLE_1)
	s_or_b32 exec_lo, exec_lo, s23
.LBB468_6985:                           ;   in Loop: Header=BB468_3103 Depth=1
	s_delay_alu instid0(SALU_CYCLE_1) | instskip(NEXT) | instid1(VALU_DEP_1)
	s_or_b32 exec_lo, exec_lo, s22
	v_mul_f32_e32 v6, v26, v6
                                        ; implicit-def: $vgpr86
	s_delay_alu instid0(VALU_DEP_1) | instskip(NEXT) | instid1(VALU_DEP_1)
	v_and_b32_e32 v7, 0x7f800000, v6
	v_cmp_ne_u32_e64 s9, 0x7f800000, v7
	s_delay_alu instid0(VALU_DEP_1) | instskip(NEXT) | instid1(SALU_CYCLE_1)
	s_and_saveexec_b32 s22, s9
	s_xor_b32 s9, exec_lo, s22
; %bb.6986:                             ;   in Loop: Header=BB468_3103 Depth=1
	v_bfe_u32 v7, v6, 16, 1
	s_delay_alu instid0(VALU_DEP_1)
	v_add3_u32 v86, v6, v7, 0x7fff
                                        ; implicit-def: $vgpr6
; %bb.6987:                             ;   in Loop: Header=BB468_3103 Depth=1
	s_and_not1_saveexec_b32 s22, s9
; %bb.6988:                             ;   in Loop: Header=BB468_3103 Depth=1
	v_and_b32_e32 v7, 0xffff, v6
	v_or_b32_e32 v12, 0x10000, v6
	s_delay_alu instid0(VALU_DEP_2) | instskip(NEXT) | instid1(VALU_DEP_1)
	v_cmp_eq_u32_e64 s9, 0, v7
	v_cndmask_b32_e64 v86, v12, v6, s9
; %bb.6989:                             ;   in Loop: Header=BB468_3103 Depth=1
	s_or_b32 exec_lo, exec_lo, s22
	v_cmp_lt_u64_e64 s9, s[12:13], v[2:3]
	v_mov_b32_e32 v2, 0
	s_delay_alu instid0(VALU_DEP_2)
	s_and_saveexec_b32 s22, s9
	s_cbranch_execz .LBB468_6997
; %bb.6990:                             ;   in Loop: Header=BB468_3103 Depth=1
	v_lshrrev_b32_e32 v6, 24, v3
	v_bfrev_b32_e32 v2, 1
	s_mov_b32 s23, exec_lo
	s_delay_alu instid0(VALU_DEP_2)
	v_cmpx_ne_u32_e32 0x80, v6
	s_cbranch_execz .LBB468_6996
; %bb.6991:                             ;   in Loop: Header=BB468_3103 Depth=1
	v_bfe_u32 v7, v3, 24, 7
	v_mov_b32_e32 v2, 0x7f800001
	s_mov_b32 s24, exec_lo
	s_delay_alu instid0(VALU_DEP_2)
	v_cmpx_ne_u32_e32 0x7f, v7
	s_cbranch_execz .LBB468_6995
; %bb.6992:                             ;   in Loop: Header=BB468_3103 Depth=1
	v_and_b32_e32 v12, 7, v6
	s_mov_b32 s25, exec_lo
	s_delay_alu instid0(VALU_DEP_1)
	v_dual_mov_b32 v2, v12 :: v_dual_mov_b32 v3, v13
	v_lshrrev_b32_e32 v3, 3, v7
	v_cmpx_gt_u32_e32 8, v7
; %bb.6993:                             ;   in Loop: Header=BB468_3103 Depth=1
	v_clz_i32_u32_e32 v2, v12
	s_delay_alu instid0(VALU_DEP_1) | instskip(NEXT) | instid1(VALU_DEP_1)
	v_min_u32_e32 v7, 32, v2
	v_subrev_nc_u32_e32 v2, 28, v7
	s_delay_alu instid0(VALU_DEP_1) | instskip(SKIP_1) | instid1(VALU_DEP_2)
	v_lshlrev_b64 v[2:3], v2, v[12:13]
	v_sub_nc_u32_e32 v3, 29, v7
	v_and_b32_e32 v2, 7, v2
; %bb.6994:                             ;   in Loop: Header=BB468_3103 Depth=1
	s_or_b32 exec_lo, exec_lo, s25
	v_lshlrev_b32_e32 v6, 24, v6
	s_delay_alu instid0(VALU_DEP_2) | instskip(SKIP_1) | instid1(VALU_DEP_3)
	v_lshlrev_b32_e32 v2, 20, v2
	v_lshl_add_u32 v3, v3, 23, 0x3c000000
	v_and_b32_e32 v6, 0x80000000, v6
	s_delay_alu instid0(VALU_DEP_1)
	v_or3_b32 v2, v2, v6, v3
.LBB468_6995:                           ;   in Loop: Header=BB468_3103 Depth=1
	s_or_b32 exec_lo, exec_lo, s24
.LBB468_6996:                           ;   in Loop: Header=BB468_3103 Depth=1
	s_delay_alu instid0(SALU_CYCLE_1)
	s_or_b32 exec_lo, exec_lo, s23
.LBB468_6997:                           ;   in Loop: Header=BB468_3103 Depth=1
	s_delay_alu instid0(SALU_CYCLE_1) | instskip(NEXT) | instid1(VALU_DEP_1)
	s_or_b32 exec_lo, exec_lo, s22
	v_mul_f32_e32 v3, v26, v2
	s_delay_alu instid0(VALU_DEP_1) | instskip(NEXT) | instid1(VALU_DEP_1)
	v_and_b32_e32 v2, 0x7f800000, v3
	v_cmp_ne_u32_e64 s9, 0x7f800000, v2
                                        ; implicit-def: $vgpr2
	s_delay_alu instid0(VALU_DEP_1) | instskip(NEXT) | instid1(SALU_CYCLE_1)
	s_and_saveexec_b32 s22, s9
	s_xor_b32 s9, exec_lo, s22
; %bb.6998:                             ;   in Loop: Header=BB468_3103 Depth=1
	v_bfe_u32 v2, v3, 16, 1
	s_delay_alu instid0(VALU_DEP_1)
	v_add3_u32 v2, v3, v2, 0x7fff
                                        ; implicit-def: $vgpr3
; %bb.6999:                             ;   in Loop: Header=BB468_3103 Depth=1
	s_and_not1_saveexec_b32 s22, s9
; %bb.7000:                             ;   in Loop: Header=BB468_3103 Depth=1
	v_and_b32_e32 v2, 0xffff, v3
	v_or_b32_e32 v6, 0x10000, v3
	s_delay_alu instid0(VALU_DEP_2) | instskip(NEXT) | instid1(VALU_DEP_1)
	v_cmp_eq_u32_e64 s9, 0, v2
	v_cndmask_b32_e64 v2, v6, v3, s9
; %bb.7001:                             ;   in Loop: Header=BB468_3103 Depth=1
	s_or_b32 exec_lo, exec_lo, s22
	v_lshrrev_b32_e32 v6, 16, v9
	v_lshrrev_b32_e32 v7, 16, v8
	;; [unrolled: 1-line block ×8, first 2 shown]
	s_and_saveexec_b32 s9, s3
; %bb.7002:                             ;   in Loop: Header=BB468_3103 Depth=1
	s_delay_alu instid0(VALU_DEP_3)
	v_cndmask_b32_e32 v18, 0, v18, vcc_lo
	v_cndmask_b32_e64 v12, 0, v12, s1
	v_cndmask_b32_e64 v9, 0, v9, s2
	;; [unrolled: 1-line block ×7, first 2 shown]
; %bb.7003:                             ;   in Loop: Header=BB468_3103 Depth=1
	s_or_b32 exec_lo, exec_lo, s9
	v_lshlrev_b32_e32 v18, 16, v18
                                        ; implicit-def: $vgpr169
	s_delay_alu instid0(VALU_DEP_1) | instskip(NEXT) | instid1(VALU_DEP_1)
	v_mul_f32_e32 v18, v151, v18
	v_and_b32_e32 v85, 0x7f800000, v18
	s_delay_alu instid0(VALU_DEP_1) | instskip(NEXT) | instid1(VALU_DEP_1)
	v_cmp_ne_u32_e64 s9, 0x7f800000, v85
	s_and_saveexec_b32 s22, s9
	s_delay_alu instid0(SALU_CYCLE_1)
	s_xor_b32 s9, exec_lo, s22
; %bb.7004:                             ;   in Loop: Header=BB468_3103 Depth=1
	v_bfe_u32 v85, v18, 16, 1
	s_delay_alu instid0(VALU_DEP_1)
	v_add3_u32 v169, v18, v85, 0x7fff
                                        ; implicit-def: $vgpr18
; %bb.7005:                             ;   in Loop: Header=BB468_3103 Depth=1
	s_and_not1_saveexec_b32 s22, s9
; %bb.7006:                             ;   in Loop: Header=BB468_3103 Depth=1
	v_and_b32_e32 v85, 0xffff, v18
	v_or_b32_e32 v86, 0x10000, v18
	s_delay_alu instid0(VALU_DEP_2) | instskip(NEXT) | instid1(VALU_DEP_1)
	v_cmp_eq_u32_e64 s9, 0, v85
	v_cndmask_b32_e64 v169, v86, v18, s9
; %bb.7007:                             ;   in Loop: Header=BB468_3103 Depth=1
	s_or_b32 exec_lo, exec_lo, s22
	v_lshlrev_b32_e32 v12, 16, v12
                                        ; implicit-def: $vgpr170
	s_delay_alu instid0(VALU_DEP_1) | instskip(NEXT) | instid1(VALU_DEP_1)
	v_mul_f32_e32 v12, v160, v12
	v_and_b32_e32 v18, 0x7f800000, v12
	s_delay_alu instid0(VALU_DEP_1) | instskip(NEXT) | instid1(VALU_DEP_1)
	v_cmp_ne_u32_e64 s9, 0x7f800000, v18
	s_and_saveexec_b32 s22, s9
	s_delay_alu instid0(SALU_CYCLE_1)
	s_xor_b32 s9, exec_lo, s22
; %bb.7008:                             ;   in Loop: Header=BB468_3103 Depth=1
	v_bfe_u32 v18, v12, 16, 1
	s_delay_alu instid0(VALU_DEP_1)
	v_add3_u32 v170, v12, v18, 0x7fff
                                        ; implicit-def: $vgpr12
; %bb.7009:                             ;   in Loop: Header=BB468_3103 Depth=1
	s_and_not1_saveexec_b32 s22, s9
; %bb.7010:                             ;   in Loop: Header=BB468_3103 Depth=1
	v_and_b32_e32 v18, 0xffff, v12
	v_or_b32_e32 v85, 0x10000, v12
	s_delay_alu instid0(VALU_DEP_2) | instskip(NEXT) | instid1(VALU_DEP_1)
	v_cmp_eq_u32_e64 s9, 0, v18
	v_cndmask_b32_e64 v170, v85, v12, s9
; %bb.7011:                             ;   in Loop: Header=BB468_3103 Depth=1
	s_or_b32 exec_lo, exec_lo, s22
	v_lshlrev_b32_e32 v9, 16, v9
                                        ; implicit-def: $vgpr171
	s_delay_alu instid0(VALU_DEP_1) | instskip(NEXT) | instid1(VALU_DEP_1)
	v_mul_f32_e32 v9, v161, v9
	v_and_b32_e32 v12, 0x7f800000, v9
	s_delay_alu instid0(VALU_DEP_1) | instskip(NEXT) | instid1(VALU_DEP_1)
	v_cmp_ne_u32_e64 s9, 0x7f800000, v12
	s_and_saveexec_b32 s22, s9
	s_delay_alu instid0(SALU_CYCLE_1)
	s_xor_b32 s9, exec_lo, s22
; %bb.7012:                             ;   in Loop: Header=BB468_3103 Depth=1
	v_bfe_u32 v12, v9, 16, 1
	s_delay_alu instid0(VALU_DEP_1)
	v_add3_u32 v171, v9, v12, 0x7fff
                                        ; implicit-def: $vgpr9
; %bb.7013:                             ;   in Loop: Header=BB468_3103 Depth=1
	s_and_not1_saveexec_b32 s22, s9
; %bb.7014:                             ;   in Loop: Header=BB468_3103 Depth=1
	v_and_b32_e32 v12, 0xffff, v9
	v_or_b32_e32 v18, 0x10000, v9
	s_delay_alu instid0(VALU_DEP_2) | instskip(NEXT) | instid1(VALU_DEP_1)
	v_cmp_eq_u32_e64 s9, 0, v12
	v_cndmask_b32_e64 v171, v18, v9, s9
; %bb.7015:                             ;   in Loop: Header=BB468_3103 Depth=1
	s_or_b32 exec_lo, exec_lo, s22
	v_lshlrev_b32_e32 v8, 16, v8
                                        ; implicit-def: $vgpr172
	s_delay_alu instid0(VALU_DEP_1) | instskip(NEXT) | instid1(VALU_DEP_1)
	v_mul_f32_e32 v8, v162, v8
	v_and_b32_e32 v9, 0x7f800000, v8
	s_delay_alu instid0(VALU_DEP_1) | instskip(NEXT) | instid1(VALU_DEP_1)
	v_cmp_ne_u32_e64 s9, 0x7f800000, v9
	s_and_saveexec_b32 s22, s9
	s_delay_alu instid0(SALU_CYCLE_1)
	s_xor_b32 s9, exec_lo, s22
; %bb.7016:                             ;   in Loop: Header=BB468_3103 Depth=1
	v_bfe_u32 v9, v8, 16, 1
	s_delay_alu instid0(VALU_DEP_1)
	v_add3_u32 v172, v8, v9, 0x7fff
                                        ; implicit-def: $vgpr8
; %bb.7017:                             ;   in Loop: Header=BB468_3103 Depth=1
	s_and_not1_saveexec_b32 s22, s9
; %bb.7018:                             ;   in Loop: Header=BB468_3103 Depth=1
	v_and_b32_e32 v9, 0xffff, v8
	v_or_b32_e32 v12, 0x10000, v8
	s_delay_alu instid0(VALU_DEP_2) | instskip(NEXT) | instid1(VALU_DEP_1)
	v_cmp_eq_u32_e64 s9, 0, v9
	v_cndmask_b32_e64 v172, v12, v8, s9
; %bb.7019:                             ;   in Loop: Header=BB468_3103 Depth=1
	s_or_b32 exec_lo, exec_lo, s22
	v_lshlrev_b32_e32 v7, 16, v7
                                        ; implicit-def: $vgpr173
	s_delay_alu instid0(VALU_DEP_1) | instskip(NEXT) | instid1(VALU_DEP_1)
	v_mul_f32_e32 v7, v163, v7
	v_and_b32_e32 v8, 0x7f800000, v7
	s_delay_alu instid0(VALU_DEP_1) | instskip(NEXT) | instid1(VALU_DEP_1)
	v_cmp_ne_u32_e64 s9, 0x7f800000, v8
	s_and_saveexec_b32 s22, s9
	s_delay_alu instid0(SALU_CYCLE_1)
	s_xor_b32 s9, exec_lo, s22
; %bb.7020:                             ;   in Loop: Header=BB468_3103 Depth=1
	v_bfe_u32 v8, v7, 16, 1
	s_delay_alu instid0(VALU_DEP_1)
	v_add3_u32 v173, v7, v8, 0x7fff
                                        ; implicit-def: $vgpr7
; %bb.7021:                             ;   in Loop: Header=BB468_3103 Depth=1
	s_and_not1_saveexec_b32 s22, s9
; %bb.7022:                             ;   in Loop: Header=BB468_3103 Depth=1
	v_and_b32_e32 v8, 0xffff, v7
	v_or_b32_e32 v9, 0x10000, v7
	s_delay_alu instid0(VALU_DEP_2) | instskip(NEXT) | instid1(VALU_DEP_1)
	v_cmp_eq_u32_e64 s9, 0, v8
	v_cndmask_b32_e64 v173, v9, v7, s9
; %bb.7023:                             ;   in Loop: Header=BB468_3103 Depth=1
	s_or_b32 exec_lo, exec_lo, s22
	v_lshlrev_b32_e32 v6, 16, v6
                                        ; implicit-def: $vgpr174
	s_delay_alu instid0(VALU_DEP_1) | instskip(NEXT) | instid1(VALU_DEP_1)
	v_mul_f32_e32 v6, v164, v6
	v_and_b32_e32 v7, 0x7f800000, v6
	s_delay_alu instid0(VALU_DEP_1) | instskip(NEXT) | instid1(VALU_DEP_1)
	v_cmp_ne_u32_e64 s9, 0x7f800000, v7
	s_and_saveexec_b32 s22, s9
	s_delay_alu instid0(SALU_CYCLE_1)
	s_xor_b32 s9, exec_lo, s22
; %bb.7024:                             ;   in Loop: Header=BB468_3103 Depth=1
	v_bfe_u32 v7, v6, 16, 1
	s_delay_alu instid0(VALU_DEP_1)
	v_add3_u32 v174, v6, v7, 0x7fff
                                        ; implicit-def: $vgpr6
; %bb.7025:                             ;   in Loop: Header=BB468_3103 Depth=1
	s_and_not1_saveexec_b32 s22, s9
; %bb.7026:                             ;   in Loop: Header=BB468_3103 Depth=1
	v_and_b32_e32 v7, 0xffff, v6
	v_or_b32_e32 v8, 0x10000, v6
	s_delay_alu instid0(VALU_DEP_2) | instskip(NEXT) | instid1(VALU_DEP_1)
	v_cmp_eq_u32_e64 s9, 0, v7
	v_cndmask_b32_e64 v174, v8, v6, s9
; %bb.7027:                             ;   in Loop: Header=BB468_3103 Depth=1
	s_or_b32 exec_lo, exec_lo, s22
	v_lshlrev_b32_e32 v3, 16, v3
                                        ; implicit-def: $vgpr175
	s_delay_alu instid0(VALU_DEP_1) | instskip(NEXT) | instid1(VALU_DEP_1)
	v_mul_f32_e32 v3, v165, v3
	v_and_b32_e32 v6, 0x7f800000, v3
	s_delay_alu instid0(VALU_DEP_1) | instskip(NEXT) | instid1(VALU_DEP_1)
	v_cmp_ne_u32_e64 s9, 0x7f800000, v6
	s_and_saveexec_b32 s22, s9
	s_delay_alu instid0(SALU_CYCLE_1)
	s_xor_b32 s9, exec_lo, s22
; %bb.7028:                             ;   in Loop: Header=BB468_3103 Depth=1
	v_bfe_u32 v6, v3, 16, 1
	s_delay_alu instid0(VALU_DEP_1)
	v_add3_u32 v175, v3, v6, 0x7fff
                                        ; implicit-def: $vgpr3
; %bb.7029:                             ;   in Loop: Header=BB468_3103 Depth=1
	s_and_not1_saveexec_b32 s22, s9
; %bb.7030:                             ;   in Loop: Header=BB468_3103 Depth=1
	v_and_b32_e32 v6, 0xffff, v3
	v_or_b32_e32 v7, 0x10000, v3
	s_delay_alu instid0(VALU_DEP_2) | instskip(NEXT) | instid1(VALU_DEP_1)
	v_cmp_eq_u32_e64 s9, 0, v6
	v_cndmask_b32_e64 v175, v7, v3, s9
; %bb.7031:                             ;   in Loop: Header=BB468_3103 Depth=1
	s_or_b32 exec_lo, exec_lo, s22
	v_lshlrev_b32_e32 v2, 16, v2
                                        ; implicit-def: $vgpr184
	s_delay_alu instid0(VALU_DEP_1) | instskip(NEXT) | instid1(VALU_DEP_1)
	v_mul_f32_e32 v2, v166, v2
	v_and_b32_e32 v3, 0x7f800000, v2
	s_delay_alu instid0(VALU_DEP_1) | instskip(NEXT) | instid1(VALU_DEP_1)
	v_cmp_ne_u32_e64 s9, 0x7f800000, v3
	s_and_saveexec_b32 s22, s9
	s_delay_alu instid0(SALU_CYCLE_1)
	s_xor_b32 s9, exec_lo, s22
; %bb.7032:                             ;   in Loop: Header=BB468_3103 Depth=1
	v_bfe_u32 v3, v2, 16, 1
	s_delay_alu instid0(VALU_DEP_1)
	v_add3_u32 v184, v2, v3, 0x7fff
                                        ; implicit-def: $vgpr2
; %bb.7033:                             ;   in Loop: Header=BB468_3103 Depth=1
	s_and_not1_saveexec_b32 s22, s9
; %bb.7034:                             ;   in Loop: Header=BB468_3103 Depth=1
	v_and_b32_e32 v3, 0xffff, v2
	v_or_b32_e32 v6, 0x10000, v2
	s_delay_alu instid0(VALU_DEP_2) | instskip(NEXT) | instid1(VALU_DEP_1)
	v_cmp_eq_u32_e64 s9, 0, v3
	v_cndmask_b32_e64 v184, v6, v2, s9
; %bb.7035:                             ;   in Loop: Header=BB468_3103 Depth=1
	s_or_b32 exec_lo, exec_lo, s22
	scratch_load_b32 v2, off, s32 offset:872 ; 4-byte Folded Reload
	s_mov_b32 s22, exec_lo
	v_mov_b32_e32 v6, 0
	s_waitcnt vmcnt(0)
	v_add_co_u32 v2, s9, v0, v2
	s_delay_alu instid0(VALU_DEP_1) | instskip(SKIP_3) | instid1(VALU_DEP_1)
	v_add_co_ci_u32_e64 v3, s9, 0, v1, s9
	flat_load_b64 v[2:3], v[2:3]
	s_waitcnt vmcnt(0) lgkmcnt(0)
	v_and_b32_e32 v7, 0xff, v2
	v_cmpx_ne_u16_e32 0, v7
	s_cbranch_execz .LBB468_7043
; %bb.7036:                             ;   in Loop: Header=BB468_3103 Depth=1
	v_bfrev_b32_e32 v6, 1
	s_mov_b32 s23, exec_lo
	v_cmpx_ne_u16_e32 0x80, v7
	s_cbranch_execz .LBB468_7042
; %bb.7037:                             ;   in Loop: Header=BB468_3103 Depth=1
	v_and_b32_e32 v7, 0x7f, v2
	v_mov_b32_e32 v6, 0x7f800001
	s_mov_b32 s24, exec_lo
	s_delay_alu instid0(VALU_DEP_2)
	v_cmpx_ne_u32_e32 0x7f, v7
	s_cbranch_execz .LBB468_7041
; %bb.7038:                             ;   in Loop: Header=BB468_3103 Depth=1
	v_lshrrev_b32_e32 v8, 3, v7
	v_cmp_gt_u32_e64 s9, 8, v7
	v_dual_mov_b32 v7, v3 :: v_dual_mov_b32 v6, v2
	s_delay_alu instid0(VALU_DEP_2)
	s_and_saveexec_b32 s25, s9
; %bb.7039:                             ;   in Loop: Header=BB468_3103 Depth=1
	v_and_b32_e32 v6, 7, v2
	s_delay_alu instid0(VALU_DEP_1) | instskip(NEXT) | instid1(VALU_DEP_1)
	v_clz_i32_u32_e32 v6, v6
	v_min_u32_e32 v8, 32, v6
	s_delay_alu instid0(VALU_DEP_1) | instskip(SKIP_1) | instid1(VALU_DEP_2)
	v_subrev_nc_u32_e32 v6, 28, v8
	v_sub_nc_u32_e32 v8, 29, v8
	v_lshlrev_b64 v[6:7], v6, v[2:3]
; %bb.7040:                             ;   in Loop: Header=BB468_3103 Depth=1
	s_or_b32 exec_lo, exec_lo, s25
	s_delay_alu instid0(VALU_DEP_1) | instskip(SKIP_2) | instid1(VALU_DEP_3)
	v_lshlrev_b32_e32 v6, 20, v6
	v_lshlrev_b32_e32 v7, 24, v2
	v_lshl_add_u32 v8, v8, 23, 0x3c000000
	v_and_b32_e32 v6, 0x700000, v6
	s_delay_alu instid0(VALU_DEP_3) | instskip(NEXT) | instid1(VALU_DEP_1)
	v_and_b32_e32 v7, 0x80000000, v7
	v_or3_b32 v6, v6, v7, v8
.LBB468_7041:                           ;   in Loop: Header=BB468_3103 Depth=1
	s_or_b32 exec_lo, exec_lo, s24
.LBB468_7042:                           ;   in Loop: Header=BB468_3103 Depth=1
	s_delay_alu instid0(SALU_CYCLE_1)
	s_or_b32 exec_lo, exec_lo, s23
.LBB468_7043:                           ;   in Loop: Header=BB468_3103 Depth=1
	s_delay_alu instid0(SALU_CYCLE_1) | instskip(NEXT) | instid1(VALU_DEP_1)
	s_or_b32 exec_lo, exec_lo, s22
	v_mul_f32_e32 v6, v26, v6
                                        ; implicit-def: $vgpr18
	s_delay_alu instid0(VALU_DEP_1) | instskip(NEXT) | instid1(VALU_DEP_1)
	v_and_b32_e32 v7, 0x7f800000, v6
	v_cmp_ne_u32_e64 s9, 0x7f800000, v7
	s_delay_alu instid0(VALU_DEP_1) | instskip(NEXT) | instid1(SALU_CYCLE_1)
	s_and_saveexec_b32 s22, s9
	s_xor_b32 s9, exec_lo, s22
; %bb.7044:                             ;   in Loop: Header=BB468_3103 Depth=1
	v_bfe_u32 v7, v6, 16, 1
	s_delay_alu instid0(VALU_DEP_1)
	v_add3_u32 v18, v6, v7, 0x7fff
                                        ; implicit-def: $vgpr6
; %bb.7045:                             ;   in Loop: Header=BB468_3103 Depth=1
	s_and_not1_saveexec_b32 s22, s9
; %bb.7046:                             ;   in Loop: Header=BB468_3103 Depth=1
	v_and_b32_e32 v7, 0xffff, v6
	v_or_b32_e32 v8, 0x10000, v6
	s_delay_alu instid0(VALU_DEP_2) | instskip(NEXT) | instid1(VALU_DEP_1)
	v_cmp_eq_u32_e64 s9, 0, v7
	v_cndmask_b32_e64 v18, v8, v6, s9
; %bb.7047:                             ;   in Loop: Header=BB468_3103 Depth=1
	s_or_b32 exec_lo, exec_lo, s22
	v_lshrrev_b16 v7, 8, v2
	v_mov_b32_e32 v6, 0
	s_mov_b32 s22, exec_lo
	s_delay_alu instid0(VALU_DEP_2)
	v_cmpx_ne_u16_e32 0, v7
	s_cbranch_execz .LBB468_7055
; %bb.7048:                             ;   in Loop: Header=BB468_3103 Depth=1
	v_bfrev_b32_e32 v6, 1
	s_mov_b32 s23, exec_lo
	v_cmpx_ne_u16_e32 0x80, v7
	s_cbranch_execz .LBB468_7054
; %bb.7049:                             ;   in Loop: Header=BB468_3103 Depth=1
	v_and_b32_e32 v7, 0xffff, v7
	v_mov_b32_e32 v6, 0x7f800001
	s_mov_b32 s24, exec_lo
	s_delay_alu instid0(VALU_DEP_2) | instskip(NEXT) | instid1(VALU_DEP_1)
	v_and_b32_e32 v8, 0x7f, v7
	v_cmpx_ne_u32_e32 0x7f, v8
	s_cbranch_execz .LBB468_7053
; %bb.7050:                             ;   in Loop: Header=BB468_3103 Depth=1
	v_and_b32_e32 v12, 7, v7
	s_mov_b32 s25, exec_lo
	s_delay_alu instid0(VALU_DEP_1)
	v_dual_mov_b32 v6, v12 :: v_dual_mov_b32 v7, v13
	v_lshrrev_b32_e32 v7, 3, v8
	v_cmpx_gt_u32_e32 8, v8
; %bb.7051:                             ;   in Loop: Header=BB468_3103 Depth=1
	v_clz_i32_u32_e32 v6, v12
	s_delay_alu instid0(VALU_DEP_1) | instskip(NEXT) | instid1(VALU_DEP_1)
	v_min_u32_e32 v8, 32, v6
	v_subrev_nc_u32_e32 v6, 28, v8
	s_delay_alu instid0(VALU_DEP_1) | instskip(SKIP_1) | instid1(VALU_DEP_2)
	v_lshlrev_b64 v[6:7], v6, v[12:13]
	v_sub_nc_u32_e32 v7, 29, v8
	v_and_b32_e32 v6, 7, v6
; %bb.7052:                             ;   in Loop: Header=BB468_3103 Depth=1
	s_or_b32 exec_lo, exec_lo, s25
	v_lshlrev_b32_e32 v8, 16, v2
	s_delay_alu instid0(VALU_DEP_2) | instskip(SKIP_1) | instid1(VALU_DEP_3)
	v_lshlrev_b32_e32 v6, 20, v6
	v_lshl_add_u32 v7, v7, 23, 0x3c000000
	v_and_b32_e32 v8, 0x80000000, v8
	s_delay_alu instid0(VALU_DEP_1)
	v_or3_b32 v6, v6, v8, v7
.LBB468_7053:                           ;   in Loop: Header=BB468_3103 Depth=1
	s_or_b32 exec_lo, exec_lo, s24
.LBB468_7054:                           ;   in Loop: Header=BB468_3103 Depth=1
	s_delay_alu instid0(SALU_CYCLE_1)
	s_or_b32 exec_lo, exec_lo, s23
.LBB468_7055:                           ;   in Loop: Header=BB468_3103 Depth=1
	s_delay_alu instid0(SALU_CYCLE_1) | instskip(NEXT) | instid1(VALU_DEP_1)
	s_or_b32 exec_lo, exec_lo, s22
	v_mul_f32_e32 v6, v26, v6
                                        ; implicit-def: $vgpr185
	s_delay_alu instid0(VALU_DEP_1) | instskip(NEXT) | instid1(VALU_DEP_1)
	v_and_b32_e32 v7, 0x7f800000, v6
	v_cmp_ne_u32_e64 s9, 0x7f800000, v7
	s_delay_alu instid0(VALU_DEP_1) | instskip(NEXT) | instid1(SALU_CYCLE_1)
	s_and_saveexec_b32 s22, s9
	s_xor_b32 s9, exec_lo, s22
; %bb.7056:                             ;   in Loop: Header=BB468_3103 Depth=1
	v_bfe_u32 v7, v6, 16, 1
	s_delay_alu instid0(VALU_DEP_1)
	v_add3_u32 v185, v6, v7, 0x7fff
                                        ; implicit-def: $vgpr6
; %bb.7057:                             ;   in Loop: Header=BB468_3103 Depth=1
	s_and_not1_saveexec_b32 s22, s9
; %bb.7058:                             ;   in Loop: Header=BB468_3103 Depth=1
	v_and_b32_e32 v7, 0xffff, v6
	v_or_b32_e32 v8, 0x10000, v6
	s_delay_alu instid0(VALU_DEP_2) | instskip(NEXT) | instid1(VALU_DEP_1)
	v_cmp_eq_u32_e64 s9, 0, v7
	v_cndmask_b32_e64 v185, v8, v6, s9
; %bb.7059:                             ;   in Loop: Header=BB468_3103 Depth=1
	s_or_b32 exec_lo, exec_lo, s22
	v_lshrrev_b32_e32 v8, 16, v2
	s_mov_b32 s22, exec_lo
	s_delay_alu instid0(VALU_DEP_1) | instskip(NEXT) | instid1(VALU_DEP_1)
	v_dual_mov_b32 v6, 0 :: v_dual_and_b32 v7, 0xff, v8
	v_cmpx_ne_u16_e32 0, v7
	s_cbranch_execz .LBB468_7067
; %bb.7060:                             ;   in Loop: Header=BB468_3103 Depth=1
	v_bfrev_b32_e32 v6, 1
	s_mov_b32 s23, exec_lo
	v_cmpx_ne_u16_e32 0x80, v7
	s_cbranch_execz .LBB468_7066
; %bb.7061:                             ;   in Loop: Header=BB468_3103 Depth=1
	v_bfe_u32 v9, v2, 16, 7
	v_mov_b32_e32 v6, 0x7f800001
	s_mov_b32 s24, exec_lo
	s_delay_alu instid0(VALU_DEP_2)
	v_cmpx_ne_u32_e32 0x7f, v9
	s_cbranch_execz .LBB468_7065
; %bb.7062:                             ;   in Loop: Header=BB468_3103 Depth=1
	v_and_b32_e32 v12, 7, v8
	s_mov_b32 s25, exec_lo
	s_delay_alu instid0(VALU_DEP_1)
	v_dual_mov_b32 v6, v12 :: v_dual_mov_b32 v7, v13
	v_lshrrev_b32_e32 v7, 3, v9
	v_cmpx_gt_u32_e32 8, v9
; %bb.7063:                             ;   in Loop: Header=BB468_3103 Depth=1
	v_clz_i32_u32_e32 v6, v12
	s_delay_alu instid0(VALU_DEP_1) | instskip(NEXT) | instid1(VALU_DEP_1)
	v_min_u32_e32 v9, 32, v6
	v_subrev_nc_u32_e32 v6, 28, v9
	s_delay_alu instid0(VALU_DEP_1) | instskip(SKIP_1) | instid1(VALU_DEP_2)
	v_lshlrev_b64 v[6:7], v6, v[12:13]
	v_sub_nc_u32_e32 v7, 29, v9
	v_and_b32_e32 v6, 7, v6
; %bb.7064:                             ;   in Loop: Header=BB468_3103 Depth=1
	s_or_b32 exec_lo, exec_lo, s25
	v_lshlrev_b32_e32 v8, 24, v8
	s_delay_alu instid0(VALU_DEP_2) | instskip(SKIP_1) | instid1(VALU_DEP_3)
	v_lshlrev_b32_e32 v6, 20, v6
	v_lshl_add_u32 v7, v7, 23, 0x3c000000
	v_and_b32_e32 v8, 0x80000000, v8
	s_delay_alu instid0(VALU_DEP_1)
	v_or3_b32 v6, v6, v8, v7
.LBB468_7065:                           ;   in Loop: Header=BB468_3103 Depth=1
	s_or_b32 exec_lo, exec_lo, s24
.LBB468_7066:                           ;   in Loop: Header=BB468_3103 Depth=1
	s_delay_alu instid0(SALU_CYCLE_1)
	s_or_b32 exec_lo, exec_lo, s23
.LBB468_7067:                           ;   in Loop: Header=BB468_3103 Depth=1
	s_delay_alu instid0(SALU_CYCLE_1) | instskip(NEXT) | instid1(VALU_DEP_1)
	s_or_b32 exec_lo, exec_lo, s22
	v_mul_f32_e32 v6, v26, v6
                                        ; implicit-def: $vgpr186
	s_delay_alu instid0(VALU_DEP_1) | instskip(NEXT) | instid1(VALU_DEP_1)
	v_and_b32_e32 v7, 0x7f800000, v6
	v_cmp_ne_u32_e64 s9, 0x7f800000, v7
	s_delay_alu instid0(VALU_DEP_1) | instskip(NEXT) | instid1(SALU_CYCLE_1)
	s_and_saveexec_b32 s22, s9
	s_xor_b32 s9, exec_lo, s22
; %bb.7068:                             ;   in Loop: Header=BB468_3103 Depth=1
	v_bfe_u32 v7, v6, 16, 1
	s_delay_alu instid0(VALU_DEP_1)
	v_add3_u32 v186, v6, v7, 0x7fff
                                        ; implicit-def: $vgpr6
; %bb.7069:                             ;   in Loop: Header=BB468_3103 Depth=1
	s_and_not1_saveexec_b32 s22, s9
; %bb.7070:                             ;   in Loop: Header=BB468_3103 Depth=1
	v_and_b32_e32 v7, 0xffff, v6
	v_or_b32_e32 v8, 0x10000, v6
	s_delay_alu instid0(VALU_DEP_2) | instskip(NEXT) | instid1(VALU_DEP_1)
	v_cmp_eq_u32_e64 s9, 0, v7
	v_cndmask_b32_e64 v186, v8, v6, s9
; %bb.7071:                             ;   in Loop: Header=BB468_3103 Depth=1
	s_or_b32 exec_lo, exec_lo, s22
	v_mov_b32_e32 v6, 0
	s_mov_b32 s22, exec_lo
	v_cmpx_lt_u32_e32 0xffffff, v2
	s_cbranch_execz .LBB468_7079
; %bb.7072:                             ;   in Loop: Header=BB468_3103 Depth=1
	v_lshrrev_b32_e32 v8, 24, v2
	v_bfrev_b32_e32 v6, 1
	s_mov_b32 s23, exec_lo
	s_delay_alu instid0(VALU_DEP_2)
	v_cmpx_ne_u32_e32 0x80, v8
	s_cbranch_execz .LBB468_7078
; %bb.7073:                             ;   in Loop: Header=BB468_3103 Depth=1
	v_bfe_u32 v9, v2, 24, 7
	v_mov_b32_e32 v6, 0x7f800001
	s_mov_b32 s24, exec_lo
	s_delay_alu instid0(VALU_DEP_2)
	v_cmpx_ne_u32_e32 0x7f, v9
	s_cbranch_execz .LBB468_7077
; %bb.7074:                             ;   in Loop: Header=BB468_3103 Depth=1
	v_and_b32_e32 v12, 7, v8
	s_mov_b32 s25, exec_lo
	s_delay_alu instid0(VALU_DEP_1)
	v_dual_mov_b32 v6, v12 :: v_dual_mov_b32 v7, v13
	v_lshrrev_b32_e32 v7, 3, v9
	v_cmpx_gt_u32_e32 8, v9
; %bb.7075:                             ;   in Loop: Header=BB468_3103 Depth=1
	v_clz_i32_u32_e32 v6, v12
	s_delay_alu instid0(VALU_DEP_1) | instskip(NEXT) | instid1(VALU_DEP_1)
	v_min_u32_e32 v9, 32, v6
	v_subrev_nc_u32_e32 v6, 28, v9
	s_delay_alu instid0(VALU_DEP_1) | instskip(SKIP_1) | instid1(VALU_DEP_2)
	v_lshlrev_b64 v[6:7], v6, v[12:13]
	v_sub_nc_u32_e32 v7, 29, v9
	v_and_b32_e32 v6, 7, v6
; %bb.7076:                             ;   in Loop: Header=BB468_3103 Depth=1
	s_or_b32 exec_lo, exec_lo, s25
	v_lshlrev_b32_e32 v8, 24, v8
	s_delay_alu instid0(VALU_DEP_2) | instskip(SKIP_1) | instid1(VALU_DEP_3)
	v_lshlrev_b32_e32 v6, 20, v6
	v_lshl_add_u32 v7, v7, 23, 0x3c000000
	v_and_b32_e32 v8, 0x80000000, v8
	s_delay_alu instid0(VALU_DEP_1)
	v_or3_b32 v6, v6, v8, v7
.LBB468_7077:                           ;   in Loop: Header=BB468_3103 Depth=1
	s_or_b32 exec_lo, exec_lo, s24
.LBB468_7078:                           ;   in Loop: Header=BB468_3103 Depth=1
	s_delay_alu instid0(SALU_CYCLE_1)
	s_or_b32 exec_lo, exec_lo, s23
.LBB468_7079:                           ;   in Loop: Header=BB468_3103 Depth=1
	s_delay_alu instid0(SALU_CYCLE_1) | instskip(NEXT) | instid1(VALU_DEP_1)
	s_or_b32 exec_lo, exec_lo, s22
	v_mul_f32_e32 v6, v26, v6
                                        ; implicit-def: $vgpr85
	s_delay_alu instid0(VALU_DEP_1) | instskip(NEXT) | instid1(VALU_DEP_1)
	v_and_b32_e32 v7, 0x7f800000, v6
	v_cmp_ne_u32_e64 s9, 0x7f800000, v7
	s_delay_alu instid0(VALU_DEP_1) | instskip(NEXT) | instid1(SALU_CYCLE_1)
	s_and_saveexec_b32 s22, s9
	s_xor_b32 s9, exec_lo, s22
; %bb.7080:                             ;   in Loop: Header=BB468_3103 Depth=1
	v_bfe_u32 v7, v6, 16, 1
	s_delay_alu instid0(VALU_DEP_1)
	v_add3_u32 v85, v6, v7, 0x7fff
                                        ; implicit-def: $vgpr6
; %bb.7081:                             ;   in Loop: Header=BB468_3103 Depth=1
	s_and_not1_saveexec_b32 s22, s9
; %bb.7082:                             ;   in Loop: Header=BB468_3103 Depth=1
	v_and_b32_e32 v7, 0xffff, v6
	v_or_b32_e32 v8, 0x10000, v6
	s_delay_alu instid0(VALU_DEP_2) | instskip(NEXT) | instid1(VALU_DEP_1)
	v_cmp_eq_u32_e64 s9, 0, v7
	v_cndmask_b32_e64 v85, v8, v6, s9
; %bb.7083:                             ;   in Loop: Header=BB468_3103 Depth=1
	s_or_b32 exec_lo, exec_lo, s22
	v_dual_mov_b32 v12, v3 :: v_dual_and_b32 v7, 0xff, v3
	v_mov_b32_e32 v6, 0
	s_mov_b32 s22, exec_lo
	s_delay_alu instid0(VALU_DEP_2)
	v_cmpx_ne_u16_e32 0, v7
	s_cbranch_execz .LBB468_7091
; %bb.7084:                             ;   in Loop: Header=BB468_3103 Depth=1
	v_bfrev_b32_e32 v6, 1
	s_mov_b32 s23, exec_lo
	v_cmpx_ne_u16_e32 0x80, v7
	s_cbranch_execz .LBB468_7090
; %bb.7085:                             ;   in Loop: Header=BB468_3103 Depth=1
	v_and_b32_e32 v8, 0x7f, v3
	v_mov_b32_e32 v6, 0x7f800001
	s_mov_b32 s24, exec_lo
	s_delay_alu instid0(VALU_DEP_2)
	v_cmpx_ne_u32_e32 0x7f, v8
	s_cbranch_execz .LBB468_7089
; %bb.7086:                             ;   in Loop: Header=BB468_3103 Depth=1
	v_dual_mov_b32 v6, v12 :: v_dual_mov_b32 v7, v13
	v_lshrrev_b32_e32 v7, 3, v8
	s_mov_b32 s25, exec_lo
	v_cmpx_gt_u32_e32 8, v8
; %bb.7087:                             ;   in Loop: Header=BB468_3103 Depth=1
	v_and_b32_e32 v6, 7, v3
	s_delay_alu instid0(VALU_DEP_1) | instskip(NEXT) | instid1(VALU_DEP_1)
	v_clz_i32_u32_e32 v6, v6
	v_min_u32_e32 v8, 32, v6
	s_delay_alu instid0(VALU_DEP_1) | instskip(NEXT) | instid1(VALU_DEP_1)
	v_subrev_nc_u32_e32 v6, 28, v8
	v_lshlrev_b64 v[6:7], v6, v[12:13]
	v_sub_nc_u32_e32 v7, 29, v8
; %bb.7088:                             ;   in Loop: Header=BB468_3103 Depth=1
	s_or_b32 exec_lo, exec_lo, s25
	s_delay_alu instid0(VALU_DEP_2) | instskip(SKIP_1) | instid1(VALU_DEP_3)
	v_lshlrev_b32_e32 v6, 20, v6
	v_lshlrev_b32_e32 v8, 24, v12
	v_lshl_add_u32 v7, v7, 23, 0x3c000000
	s_delay_alu instid0(VALU_DEP_3) | instskip(NEXT) | instid1(VALU_DEP_3)
	v_and_b32_e32 v6, 0x700000, v6
	v_and_b32_e32 v8, 0x80000000, v8
	s_delay_alu instid0(VALU_DEP_1)
	v_or3_b32 v6, v6, v8, v7
.LBB468_7089:                           ;   in Loop: Header=BB468_3103 Depth=1
	s_or_b32 exec_lo, exec_lo, s24
.LBB468_7090:                           ;   in Loop: Header=BB468_3103 Depth=1
	s_delay_alu instid0(SALU_CYCLE_1)
	s_or_b32 exec_lo, exec_lo, s23
.LBB468_7091:                           ;   in Loop: Header=BB468_3103 Depth=1
	s_delay_alu instid0(SALU_CYCLE_1) | instskip(NEXT) | instid1(VALU_DEP_1)
	s_or_b32 exec_lo, exec_lo, s22
	v_mul_f32_e32 v6, v26, v6
                                        ; implicit-def: $vgpr8
	s_delay_alu instid0(VALU_DEP_1) | instskip(NEXT) | instid1(VALU_DEP_1)
	v_and_b32_e32 v7, 0x7f800000, v6
	v_cmp_ne_u32_e64 s9, 0x7f800000, v7
	s_delay_alu instid0(VALU_DEP_1) | instskip(NEXT) | instid1(SALU_CYCLE_1)
	s_and_saveexec_b32 s22, s9
	s_xor_b32 s9, exec_lo, s22
; %bb.7092:                             ;   in Loop: Header=BB468_3103 Depth=1
	v_bfe_u32 v7, v6, 16, 1
	s_delay_alu instid0(VALU_DEP_1)
	v_add3_u32 v8, v6, v7, 0x7fff
                                        ; implicit-def: $vgpr6
; %bb.7093:                             ;   in Loop: Header=BB468_3103 Depth=1
	s_and_not1_saveexec_b32 s22, s9
; %bb.7094:                             ;   in Loop: Header=BB468_3103 Depth=1
	v_and_b32_e32 v7, 0xffff, v6
	v_or_b32_e32 v8, 0x10000, v6
	s_delay_alu instid0(VALU_DEP_2) | instskip(NEXT) | instid1(VALU_DEP_1)
	v_cmp_eq_u32_e64 s9, 0, v7
	v_cndmask_b32_e64 v8, v8, v6, s9
; %bb.7095:                             ;   in Loop: Header=BB468_3103 Depth=1
	s_or_b32 exec_lo, exec_lo, s22
	v_lshrrev_b16 v7, 8, v12
	v_mov_b32_e32 v6, 0
	s_mov_b32 s22, exec_lo
	s_delay_alu instid0(VALU_DEP_2)
	v_cmpx_ne_u16_e32 0, v7
	s_cbranch_execz .LBB468_7103
; %bb.7096:                             ;   in Loop: Header=BB468_3103 Depth=1
	v_bfrev_b32_e32 v6, 1
	s_mov_b32 s23, exec_lo
	v_cmpx_ne_u16_e32 0x80, v7
	s_cbranch_execz .LBB468_7102
; %bb.7097:                             ;   in Loop: Header=BB468_3103 Depth=1
	v_and_b32_e32 v7, 0xffff, v7
	v_mov_b32_e32 v6, 0x7f800001
	s_mov_b32 s24, exec_lo
	s_delay_alu instid0(VALU_DEP_2) | instskip(NEXT) | instid1(VALU_DEP_1)
	v_and_b32_e32 v86, 0x7f, v7
	v_cmpx_ne_u32_e32 0x7f, v86
	s_cbranch_execz .LBB468_7101
; %bb.7098:                             ;   in Loop: Header=BB468_3103 Depth=1
	v_dual_mov_b32 v7, v13 :: v_dual_and_b32 v6, 7, v7
	v_lshrrev_b32_e32 v9, 3, v86
	s_mov_b32 s25, exec_lo
	v_cmpx_gt_u32_e32 8, v86
; %bb.7099:                             ;   in Loop: Header=BB468_3103 Depth=1
	s_delay_alu instid0(VALU_DEP_3) | instskip(NEXT) | instid1(VALU_DEP_1)
	v_clz_i32_u32_e32 v9, v6
	v_min_u32_e32 v9, 32, v9
	s_delay_alu instid0(VALU_DEP_1) | instskip(SKIP_1) | instid1(VALU_DEP_2)
	v_subrev_nc_u32_e32 v86, 28, v9
	v_sub_nc_u32_e32 v9, 29, v9
	v_lshlrev_b64 v[6:7], v86, v[6:7]
	s_delay_alu instid0(VALU_DEP_1)
	v_and_b32_e32 v6, 7, v6
; %bb.7100:                             ;   in Loop: Header=BB468_3103 Depth=1
	s_or_b32 exec_lo, exec_lo, s25
	v_lshlrev_b32_e32 v7, 16, v12
	s_delay_alu instid0(VALU_DEP_2) | instskip(SKIP_1) | instid1(VALU_DEP_3)
	v_lshlrev_b32_e32 v6, 20, v6
	v_lshl_add_u32 v9, v9, 23, 0x3c000000
	v_and_b32_e32 v7, 0x80000000, v7
	s_delay_alu instid0(VALU_DEP_1)
	v_or3_b32 v6, v6, v7, v9
.LBB468_7101:                           ;   in Loop: Header=BB468_3103 Depth=1
	s_or_b32 exec_lo, exec_lo, s24
.LBB468_7102:                           ;   in Loop: Header=BB468_3103 Depth=1
	s_delay_alu instid0(SALU_CYCLE_1)
	s_or_b32 exec_lo, exec_lo, s23
.LBB468_7103:                           ;   in Loop: Header=BB468_3103 Depth=1
	s_delay_alu instid0(SALU_CYCLE_1) | instskip(NEXT) | instid1(VALU_DEP_1)
	s_or_b32 exec_lo, exec_lo, s22
	v_mul_f32_e32 v6, v26, v6
                                        ; implicit-def: $vgpr9
	s_delay_alu instid0(VALU_DEP_1) | instskip(NEXT) | instid1(VALU_DEP_1)
	v_and_b32_e32 v7, 0x7f800000, v6
	v_cmp_ne_u32_e64 s9, 0x7f800000, v7
	s_delay_alu instid0(VALU_DEP_1) | instskip(NEXT) | instid1(SALU_CYCLE_1)
	s_and_saveexec_b32 s22, s9
	s_xor_b32 s9, exec_lo, s22
; %bb.7104:                             ;   in Loop: Header=BB468_3103 Depth=1
	v_bfe_u32 v7, v6, 16, 1
	s_delay_alu instid0(VALU_DEP_1)
	v_add3_u32 v9, v6, v7, 0x7fff
                                        ; implicit-def: $vgpr6
; %bb.7105:                             ;   in Loop: Header=BB468_3103 Depth=1
	s_and_not1_saveexec_b32 s22, s9
; %bb.7106:                             ;   in Loop: Header=BB468_3103 Depth=1
	v_and_b32_e32 v7, 0xffff, v6
	v_or_b32_e32 v9, 0x10000, v6
	s_delay_alu instid0(VALU_DEP_2) | instskip(NEXT) | instid1(VALU_DEP_1)
	v_cmp_eq_u32_e64 s9, 0, v7
	v_cndmask_b32_e64 v9, v9, v6, s9
; %bb.7107:                             ;   in Loop: Header=BB468_3103 Depth=1
	s_or_b32 exec_lo, exec_lo, s22
	v_lshrrev_b32_e32 v86, 16, v3
	s_mov_b32 s22, exec_lo
	s_delay_alu instid0(VALU_DEP_1) | instskip(NEXT) | instid1(VALU_DEP_1)
	v_dual_mov_b32 v6, 0 :: v_dual_and_b32 v7, 0xff, v86
	v_cmpx_ne_u16_e32 0, v7
	s_cbranch_execz .LBB468_7115
; %bb.7108:                             ;   in Loop: Header=BB468_3103 Depth=1
	v_bfrev_b32_e32 v6, 1
	s_mov_b32 s23, exec_lo
	v_cmpx_ne_u16_e32 0x80, v7
	s_cbranch_execz .LBB468_7114
; %bb.7109:                             ;   in Loop: Header=BB468_3103 Depth=1
	v_bfe_u32 v87, v3, 16, 7
	v_mov_b32_e32 v6, 0x7f800001
	s_mov_b32 s24, exec_lo
	s_delay_alu instid0(VALU_DEP_2)
	v_cmpx_ne_u32_e32 0x7f, v87
	s_cbranch_execz .LBB468_7113
; %bb.7110:                             ;   in Loop: Header=BB468_3103 Depth=1
	v_and_b32_e32 v12, 7, v86
	s_mov_b32 s25, exec_lo
	s_delay_alu instid0(VALU_DEP_1)
	v_dual_mov_b32 v6, v12 :: v_dual_mov_b32 v7, v13
	v_lshrrev_b32_e32 v7, 3, v87
	v_cmpx_gt_u32_e32 8, v87
; %bb.7111:                             ;   in Loop: Header=BB468_3103 Depth=1
	v_clz_i32_u32_e32 v6, v12
	s_delay_alu instid0(VALU_DEP_1) | instskip(NEXT) | instid1(VALU_DEP_1)
	v_min_u32_e32 v87, 32, v6
	v_subrev_nc_u32_e32 v6, 28, v87
	s_delay_alu instid0(VALU_DEP_1) | instskip(SKIP_1) | instid1(VALU_DEP_2)
	v_lshlrev_b64 v[6:7], v6, v[12:13]
	v_sub_nc_u32_e32 v7, 29, v87
	v_and_b32_e32 v6, 7, v6
; %bb.7112:                             ;   in Loop: Header=BB468_3103 Depth=1
	s_or_b32 exec_lo, exec_lo, s25
	v_lshlrev_b32_e32 v12, 24, v86
	s_delay_alu instid0(VALU_DEP_2) | instskip(SKIP_1) | instid1(VALU_DEP_3)
	v_lshlrev_b32_e32 v6, 20, v6
	v_lshl_add_u32 v7, v7, 23, 0x3c000000
	v_and_b32_e32 v12, 0x80000000, v12
	s_delay_alu instid0(VALU_DEP_1)
	v_or3_b32 v6, v6, v12, v7
.LBB468_7113:                           ;   in Loop: Header=BB468_3103 Depth=1
	s_or_b32 exec_lo, exec_lo, s24
.LBB468_7114:                           ;   in Loop: Header=BB468_3103 Depth=1
	s_delay_alu instid0(SALU_CYCLE_1)
	s_or_b32 exec_lo, exec_lo, s23
.LBB468_7115:                           ;   in Loop: Header=BB468_3103 Depth=1
	s_delay_alu instid0(SALU_CYCLE_1) | instskip(NEXT) | instid1(VALU_DEP_1)
	s_or_b32 exec_lo, exec_lo, s22
	v_mul_f32_e32 v6, v26, v6
                                        ; implicit-def: $vgpr86
	s_delay_alu instid0(VALU_DEP_1) | instskip(NEXT) | instid1(VALU_DEP_1)
	v_and_b32_e32 v7, 0x7f800000, v6
	v_cmp_ne_u32_e64 s9, 0x7f800000, v7
	s_delay_alu instid0(VALU_DEP_1) | instskip(NEXT) | instid1(SALU_CYCLE_1)
	s_and_saveexec_b32 s22, s9
	s_xor_b32 s9, exec_lo, s22
; %bb.7116:                             ;   in Loop: Header=BB468_3103 Depth=1
	v_bfe_u32 v7, v6, 16, 1
	s_delay_alu instid0(VALU_DEP_1)
	v_add3_u32 v86, v6, v7, 0x7fff
                                        ; implicit-def: $vgpr6
; %bb.7117:                             ;   in Loop: Header=BB468_3103 Depth=1
	s_and_not1_saveexec_b32 s22, s9
; %bb.7118:                             ;   in Loop: Header=BB468_3103 Depth=1
	v_and_b32_e32 v7, 0xffff, v6
	v_or_b32_e32 v12, 0x10000, v6
	s_delay_alu instid0(VALU_DEP_2) | instskip(NEXT) | instid1(VALU_DEP_1)
	v_cmp_eq_u32_e64 s9, 0, v7
	v_cndmask_b32_e64 v86, v12, v6, s9
; %bb.7119:                             ;   in Loop: Header=BB468_3103 Depth=1
	s_or_b32 exec_lo, exec_lo, s22
	v_cmp_lt_u64_e64 s9, s[12:13], v[2:3]
	v_mov_b32_e32 v2, 0
	s_delay_alu instid0(VALU_DEP_2)
	s_and_saveexec_b32 s22, s9
	s_cbranch_execz .LBB468_7127
; %bb.7120:                             ;   in Loop: Header=BB468_3103 Depth=1
	v_lshrrev_b32_e32 v6, 24, v3
	v_bfrev_b32_e32 v2, 1
	s_mov_b32 s23, exec_lo
	s_delay_alu instid0(VALU_DEP_2)
	v_cmpx_ne_u32_e32 0x80, v6
	s_cbranch_execz .LBB468_7126
; %bb.7121:                             ;   in Loop: Header=BB468_3103 Depth=1
	v_bfe_u32 v7, v3, 24, 7
	v_mov_b32_e32 v2, 0x7f800001
	s_mov_b32 s24, exec_lo
	s_delay_alu instid0(VALU_DEP_2)
	v_cmpx_ne_u32_e32 0x7f, v7
	s_cbranch_execz .LBB468_7125
; %bb.7122:                             ;   in Loop: Header=BB468_3103 Depth=1
	v_and_b32_e32 v12, 7, v6
	s_mov_b32 s25, exec_lo
	s_delay_alu instid0(VALU_DEP_1)
	v_dual_mov_b32 v2, v12 :: v_dual_mov_b32 v3, v13
	v_lshrrev_b32_e32 v3, 3, v7
	v_cmpx_gt_u32_e32 8, v7
; %bb.7123:                             ;   in Loop: Header=BB468_3103 Depth=1
	v_clz_i32_u32_e32 v2, v12
	s_delay_alu instid0(VALU_DEP_1) | instskip(NEXT) | instid1(VALU_DEP_1)
	v_min_u32_e32 v7, 32, v2
	v_subrev_nc_u32_e32 v2, 28, v7
	s_delay_alu instid0(VALU_DEP_1) | instskip(SKIP_1) | instid1(VALU_DEP_2)
	v_lshlrev_b64 v[2:3], v2, v[12:13]
	v_sub_nc_u32_e32 v3, 29, v7
	v_and_b32_e32 v2, 7, v2
; %bb.7124:                             ;   in Loop: Header=BB468_3103 Depth=1
	s_or_b32 exec_lo, exec_lo, s25
	v_lshlrev_b32_e32 v6, 24, v6
	s_delay_alu instid0(VALU_DEP_2) | instskip(SKIP_1) | instid1(VALU_DEP_3)
	v_lshlrev_b32_e32 v2, 20, v2
	v_lshl_add_u32 v3, v3, 23, 0x3c000000
	v_and_b32_e32 v6, 0x80000000, v6
	s_delay_alu instid0(VALU_DEP_1)
	v_or3_b32 v2, v2, v6, v3
.LBB468_7125:                           ;   in Loop: Header=BB468_3103 Depth=1
	s_or_b32 exec_lo, exec_lo, s24
.LBB468_7126:                           ;   in Loop: Header=BB468_3103 Depth=1
	s_delay_alu instid0(SALU_CYCLE_1)
	s_or_b32 exec_lo, exec_lo, s23
.LBB468_7127:                           ;   in Loop: Header=BB468_3103 Depth=1
	s_delay_alu instid0(SALU_CYCLE_1) | instskip(NEXT) | instid1(VALU_DEP_1)
	s_or_b32 exec_lo, exec_lo, s22
	v_mul_f32_e32 v3, v26, v2
	s_delay_alu instid0(VALU_DEP_1) | instskip(NEXT) | instid1(VALU_DEP_1)
	v_and_b32_e32 v2, 0x7f800000, v3
	v_cmp_ne_u32_e64 s9, 0x7f800000, v2
                                        ; implicit-def: $vgpr2
	s_delay_alu instid0(VALU_DEP_1) | instskip(NEXT) | instid1(SALU_CYCLE_1)
	s_and_saveexec_b32 s22, s9
	s_xor_b32 s9, exec_lo, s22
; %bb.7128:                             ;   in Loop: Header=BB468_3103 Depth=1
	v_bfe_u32 v2, v3, 16, 1
	s_delay_alu instid0(VALU_DEP_1)
	v_add3_u32 v2, v3, v2, 0x7fff
                                        ; implicit-def: $vgpr3
; %bb.7129:                             ;   in Loop: Header=BB468_3103 Depth=1
	s_and_not1_saveexec_b32 s22, s9
; %bb.7130:                             ;   in Loop: Header=BB468_3103 Depth=1
	v_and_b32_e32 v2, 0xffff, v3
	v_or_b32_e32 v6, 0x10000, v3
	s_delay_alu instid0(VALU_DEP_2) | instskip(NEXT) | instid1(VALU_DEP_1)
	v_cmp_eq_u32_e64 s9, 0, v2
	v_cndmask_b32_e64 v2, v6, v3, s9
; %bb.7131:                             ;   in Loop: Header=BB468_3103 Depth=1
	s_or_b32 exec_lo, exec_lo, s22
	v_lshrrev_b32_e32 v6, 16, v9
	v_lshrrev_b32_e32 v7, 16, v8
	;; [unrolled: 1-line block ×8, first 2 shown]
	s_and_saveexec_b32 s9, s3
; %bb.7132:                             ;   in Loop: Header=BB468_3103 Depth=1
	s_delay_alu instid0(VALU_DEP_3)
	v_cndmask_b32_e32 v18, 0, v18, vcc_lo
	v_cndmask_b32_e64 v12, 0, v12, s1
	v_cndmask_b32_e64 v9, 0, v9, s2
	;; [unrolled: 1-line block ×7, first 2 shown]
; %bb.7133:                             ;   in Loop: Header=BB468_3103 Depth=1
	s_or_b32 exec_lo, exec_lo, s9
	v_lshlrev_b32_e32 v18, 16, v18
                                        ; implicit-def: $vgpr185
	s_delay_alu instid0(VALU_DEP_1) | instskip(NEXT) | instid1(VALU_DEP_1)
	v_mul_f32_e32 v18, v151, v18
	v_and_b32_e32 v85, 0x7f800000, v18
	s_delay_alu instid0(VALU_DEP_1) | instskip(NEXT) | instid1(VALU_DEP_1)
	v_cmp_ne_u32_e64 s9, 0x7f800000, v85
	s_and_saveexec_b32 s22, s9
	s_delay_alu instid0(SALU_CYCLE_1)
	s_xor_b32 s9, exec_lo, s22
; %bb.7134:                             ;   in Loop: Header=BB468_3103 Depth=1
	v_bfe_u32 v85, v18, 16, 1
	s_delay_alu instid0(VALU_DEP_1)
	v_add3_u32 v185, v18, v85, 0x7fff
                                        ; implicit-def: $vgpr18
; %bb.7135:                             ;   in Loop: Header=BB468_3103 Depth=1
	s_and_not1_saveexec_b32 s22, s9
; %bb.7136:                             ;   in Loop: Header=BB468_3103 Depth=1
	v_and_b32_e32 v85, 0xffff, v18
	v_or_b32_e32 v86, 0x10000, v18
	s_delay_alu instid0(VALU_DEP_2) | instskip(NEXT) | instid1(VALU_DEP_1)
	v_cmp_eq_u32_e64 s9, 0, v85
	v_cndmask_b32_e64 v185, v86, v18, s9
; %bb.7137:                             ;   in Loop: Header=BB468_3103 Depth=1
	s_or_b32 exec_lo, exec_lo, s22
	v_lshlrev_b32_e32 v12, 16, v12
                                        ; implicit-def: $vgpr186
	s_delay_alu instid0(VALU_DEP_1) | instskip(NEXT) | instid1(VALU_DEP_1)
	v_mul_f32_e32 v12, v160, v12
	v_and_b32_e32 v18, 0x7f800000, v12
	s_delay_alu instid0(VALU_DEP_1) | instskip(NEXT) | instid1(VALU_DEP_1)
	v_cmp_ne_u32_e64 s9, 0x7f800000, v18
	s_and_saveexec_b32 s22, s9
	s_delay_alu instid0(SALU_CYCLE_1)
	s_xor_b32 s9, exec_lo, s22
; %bb.7138:                             ;   in Loop: Header=BB468_3103 Depth=1
	v_bfe_u32 v18, v12, 16, 1
	s_delay_alu instid0(VALU_DEP_1)
	v_add3_u32 v186, v12, v18, 0x7fff
                                        ; implicit-def: $vgpr12
; %bb.7139:                             ;   in Loop: Header=BB468_3103 Depth=1
	s_and_not1_saveexec_b32 s22, s9
; %bb.7140:                             ;   in Loop: Header=BB468_3103 Depth=1
	v_and_b32_e32 v18, 0xffff, v12
	v_or_b32_e32 v85, 0x10000, v12
	s_delay_alu instid0(VALU_DEP_2) | instskip(NEXT) | instid1(VALU_DEP_1)
	v_cmp_eq_u32_e64 s9, 0, v18
	v_cndmask_b32_e64 v186, v85, v12, s9
; %bb.7141:                             ;   in Loop: Header=BB468_3103 Depth=1
	s_or_b32 exec_lo, exec_lo, s22
	v_lshlrev_b32_e32 v9, 16, v9
                                        ; implicit-def: $vgpr187
	s_delay_alu instid0(VALU_DEP_1) | instskip(NEXT) | instid1(VALU_DEP_1)
	v_mul_f32_e32 v9, v161, v9
	v_and_b32_e32 v12, 0x7f800000, v9
	s_delay_alu instid0(VALU_DEP_1) | instskip(NEXT) | instid1(VALU_DEP_1)
	v_cmp_ne_u32_e64 s9, 0x7f800000, v12
	s_and_saveexec_b32 s22, s9
	s_delay_alu instid0(SALU_CYCLE_1)
	s_xor_b32 s9, exec_lo, s22
; %bb.7142:                             ;   in Loop: Header=BB468_3103 Depth=1
	v_bfe_u32 v12, v9, 16, 1
	s_delay_alu instid0(VALU_DEP_1)
	v_add3_u32 v187, v9, v12, 0x7fff
                                        ; implicit-def: $vgpr9
; %bb.7143:                             ;   in Loop: Header=BB468_3103 Depth=1
	s_and_not1_saveexec_b32 s22, s9
; %bb.7144:                             ;   in Loop: Header=BB468_3103 Depth=1
	v_and_b32_e32 v12, 0xffff, v9
	v_or_b32_e32 v18, 0x10000, v9
	s_delay_alu instid0(VALU_DEP_2) | instskip(NEXT) | instid1(VALU_DEP_1)
	v_cmp_eq_u32_e64 s9, 0, v12
	v_cndmask_b32_e64 v187, v18, v9, s9
; %bb.7145:                             ;   in Loop: Header=BB468_3103 Depth=1
	s_or_b32 exec_lo, exec_lo, s22
	v_lshlrev_b32_e32 v8, 16, v8
                                        ; implicit-def: $vgpr188
	s_delay_alu instid0(VALU_DEP_1) | instskip(NEXT) | instid1(VALU_DEP_1)
	v_mul_f32_e32 v8, v162, v8
	v_and_b32_e32 v9, 0x7f800000, v8
	s_delay_alu instid0(VALU_DEP_1) | instskip(NEXT) | instid1(VALU_DEP_1)
	v_cmp_ne_u32_e64 s9, 0x7f800000, v9
	s_and_saveexec_b32 s22, s9
	s_delay_alu instid0(SALU_CYCLE_1)
	s_xor_b32 s9, exec_lo, s22
; %bb.7146:                             ;   in Loop: Header=BB468_3103 Depth=1
	v_bfe_u32 v9, v8, 16, 1
	s_delay_alu instid0(VALU_DEP_1)
	v_add3_u32 v188, v8, v9, 0x7fff
                                        ; implicit-def: $vgpr8
; %bb.7147:                             ;   in Loop: Header=BB468_3103 Depth=1
	s_and_not1_saveexec_b32 s22, s9
; %bb.7148:                             ;   in Loop: Header=BB468_3103 Depth=1
	v_and_b32_e32 v9, 0xffff, v8
	v_or_b32_e32 v12, 0x10000, v8
	s_delay_alu instid0(VALU_DEP_2) | instskip(NEXT) | instid1(VALU_DEP_1)
	v_cmp_eq_u32_e64 s9, 0, v9
	v_cndmask_b32_e64 v188, v12, v8, s9
; %bb.7149:                             ;   in Loop: Header=BB468_3103 Depth=1
	s_or_b32 exec_lo, exec_lo, s22
	v_lshlrev_b32_e32 v7, 16, v7
                                        ; implicit-def: $vgpr189
	s_delay_alu instid0(VALU_DEP_1) | instskip(NEXT) | instid1(VALU_DEP_1)
	v_mul_f32_e32 v7, v163, v7
	v_and_b32_e32 v8, 0x7f800000, v7
	s_delay_alu instid0(VALU_DEP_1) | instskip(NEXT) | instid1(VALU_DEP_1)
	v_cmp_ne_u32_e64 s9, 0x7f800000, v8
	s_and_saveexec_b32 s22, s9
	s_delay_alu instid0(SALU_CYCLE_1)
	s_xor_b32 s9, exec_lo, s22
; %bb.7150:                             ;   in Loop: Header=BB468_3103 Depth=1
	v_bfe_u32 v8, v7, 16, 1
	s_delay_alu instid0(VALU_DEP_1)
	v_add3_u32 v189, v7, v8, 0x7fff
                                        ; implicit-def: $vgpr7
; %bb.7151:                             ;   in Loop: Header=BB468_3103 Depth=1
	s_and_not1_saveexec_b32 s22, s9
; %bb.7152:                             ;   in Loop: Header=BB468_3103 Depth=1
	v_and_b32_e32 v8, 0xffff, v7
	v_or_b32_e32 v9, 0x10000, v7
	s_delay_alu instid0(VALU_DEP_2) | instskip(NEXT) | instid1(VALU_DEP_1)
	v_cmp_eq_u32_e64 s9, 0, v8
	v_cndmask_b32_e64 v189, v9, v7, s9
; %bb.7153:                             ;   in Loop: Header=BB468_3103 Depth=1
	s_or_b32 exec_lo, exec_lo, s22
	v_lshlrev_b32_e32 v6, 16, v6
                                        ; implicit-def: $vgpr190
	s_delay_alu instid0(VALU_DEP_1) | instskip(NEXT) | instid1(VALU_DEP_1)
	v_mul_f32_e32 v6, v164, v6
	v_and_b32_e32 v7, 0x7f800000, v6
	s_delay_alu instid0(VALU_DEP_1) | instskip(NEXT) | instid1(VALU_DEP_1)
	v_cmp_ne_u32_e64 s9, 0x7f800000, v7
	s_and_saveexec_b32 s22, s9
	s_delay_alu instid0(SALU_CYCLE_1)
	s_xor_b32 s9, exec_lo, s22
; %bb.7154:                             ;   in Loop: Header=BB468_3103 Depth=1
	v_bfe_u32 v7, v6, 16, 1
	s_delay_alu instid0(VALU_DEP_1)
	v_add3_u32 v190, v6, v7, 0x7fff
                                        ; implicit-def: $vgpr6
; %bb.7155:                             ;   in Loop: Header=BB468_3103 Depth=1
	s_and_not1_saveexec_b32 s22, s9
; %bb.7156:                             ;   in Loop: Header=BB468_3103 Depth=1
	v_and_b32_e32 v7, 0xffff, v6
	v_or_b32_e32 v8, 0x10000, v6
	s_delay_alu instid0(VALU_DEP_2) | instskip(NEXT) | instid1(VALU_DEP_1)
	v_cmp_eq_u32_e64 s9, 0, v7
	v_cndmask_b32_e64 v190, v8, v6, s9
; %bb.7157:                             ;   in Loop: Header=BB468_3103 Depth=1
	s_or_b32 exec_lo, exec_lo, s22
	v_lshlrev_b32_e32 v3, 16, v3
                                        ; implicit-def: $vgpr191
	s_delay_alu instid0(VALU_DEP_1) | instskip(NEXT) | instid1(VALU_DEP_1)
	v_mul_f32_e32 v3, v165, v3
	v_and_b32_e32 v6, 0x7f800000, v3
	s_delay_alu instid0(VALU_DEP_1) | instskip(NEXT) | instid1(VALU_DEP_1)
	v_cmp_ne_u32_e64 s9, 0x7f800000, v6
	s_and_saveexec_b32 s22, s9
	s_delay_alu instid0(SALU_CYCLE_1)
	s_xor_b32 s9, exec_lo, s22
; %bb.7158:                             ;   in Loop: Header=BB468_3103 Depth=1
	v_bfe_u32 v6, v3, 16, 1
	s_delay_alu instid0(VALU_DEP_1)
	v_add3_u32 v191, v3, v6, 0x7fff
                                        ; implicit-def: $vgpr3
; %bb.7159:                             ;   in Loop: Header=BB468_3103 Depth=1
	s_and_not1_saveexec_b32 s22, s9
; %bb.7160:                             ;   in Loop: Header=BB468_3103 Depth=1
	v_and_b32_e32 v6, 0xffff, v3
	v_or_b32_e32 v7, 0x10000, v3
	s_delay_alu instid0(VALU_DEP_2) | instskip(NEXT) | instid1(VALU_DEP_1)
	v_cmp_eq_u32_e64 s9, 0, v6
	v_cndmask_b32_e64 v191, v7, v3, s9
; %bb.7161:                             ;   in Loop: Header=BB468_3103 Depth=1
	s_or_b32 exec_lo, exec_lo, s22
	v_lshlrev_b32_e32 v2, 16, v2
                                        ; implicit-def: $vgpr18
	s_delay_alu instid0(VALU_DEP_1) | instskip(NEXT) | instid1(VALU_DEP_1)
	v_mul_f32_e32 v2, v166, v2
	v_and_b32_e32 v3, 0x7f800000, v2
	s_delay_alu instid0(VALU_DEP_1) | instskip(NEXT) | instid1(VALU_DEP_1)
	v_cmp_ne_u32_e64 s9, 0x7f800000, v3
	s_and_saveexec_b32 s22, s9
	s_delay_alu instid0(SALU_CYCLE_1)
	s_xor_b32 s9, exec_lo, s22
; %bb.7162:                             ;   in Loop: Header=BB468_3103 Depth=1
	v_bfe_u32 v3, v2, 16, 1
	s_delay_alu instid0(VALU_DEP_1)
	v_add3_u32 v18, v2, v3, 0x7fff
                                        ; implicit-def: $vgpr2
; %bb.7163:                             ;   in Loop: Header=BB468_3103 Depth=1
	s_and_not1_saveexec_b32 s22, s9
; %bb.7164:                             ;   in Loop: Header=BB468_3103 Depth=1
	v_and_b32_e32 v3, 0xffff, v2
	v_or_b32_e32 v6, 0x10000, v2
	s_delay_alu instid0(VALU_DEP_2) | instskip(NEXT) | instid1(VALU_DEP_1)
	v_cmp_eq_u32_e64 s9, 0, v3
	v_cndmask_b32_e64 v18, v6, v2, s9
; %bb.7165:                             ;   in Loop: Header=BB468_3103 Depth=1
	s_or_b32 exec_lo, exec_lo, s22
	scratch_load_b32 v2, off, s32 offset:876 ; 4-byte Folded Reload
	s_mov_b32 s22, exec_lo
	s_waitcnt vmcnt(0)
	v_add_co_u32 v0, s9, v0, v2
	s_delay_alu instid0(VALU_DEP_1) | instskip(SKIP_4) | instid1(VALU_DEP_1)
	v_add_co_ci_u32_e64 v1, s9, 0, v1, s9
	v_mov_b32_e32 v2, 0
	flat_load_b64 v[0:1], v[0:1]
	s_waitcnt vmcnt(0) lgkmcnt(0)
	v_and_b32_e32 v3, 0xff, v0
	v_cmpx_ne_u16_e32 0, v3
	s_cbranch_execz .LBB468_7173
; %bb.7166:                             ;   in Loop: Header=BB468_3103 Depth=1
	v_bfrev_b32_e32 v2, 1
	s_mov_b32 s23, exec_lo
	v_cmpx_ne_u16_e32 0x80, v3
	s_cbranch_execz .LBB468_7172
; %bb.7167:                             ;   in Loop: Header=BB468_3103 Depth=1
	v_and_b32_e32 v3, 0x7f, v0
	v_mov_b32_e32 v2, 0x7f800001
	s_mov_b32 s24, exec_lo
	s_delay_alu instid0(VALU_DEP_2)
	v_cmpx_ne_u32_e32 0x7f, v3
	s_cbranch_execz .LBB468_7171
; %bb.7168:                             ;   in Loop: Header=BB468_3103 Depth=1
	v_lshrrev_b32_e32 v6, 3, v3
	v_cmp_gt_u32_e64 s9, 8, v3
	v_dual_mov_b32 v3, v1 :: v_dual_mov_b32 v2, v0
	s_delay_alu instid0(VALU_DEP_2)
	s_and_saveexec_b32 s25, s9
; %bb.7169:                             ;   in Loop: Header=BB468_3103 Depth=1
	v_and_b32_e32 v2, 7, v0
	s_delay_alu instid0(VALU_DEP_1) | instskip(NEXT) | instid1(VALU_DEP_1)
	v_clz_i32_u32_e32 v2, v2
	v_min_u32_e32 v6, 32, v2
	s_delay_alu instid0(VALU_DEP_1) | instskip(SKIP_1) | instid1(VALU_DEP_2)
	v_subrev_nc_u32_e32 v2, 28, v6
	v_sub_nc_u32_e32 v6, 29, v6
	v_lshlrev_b64 v[2:3], v2, v[0:1]
; %bb.7170:                             ;   in Loop: Header=BB468_3103 Depth=1
	s_or_b32 exec_lo, exec_lo, s25
	s_delay_alu instid0(VALU_DEP_1) | instskip(SKIP_2) | instid1(VALU_DEP_3)
	v_lshlrev_b32_e32 v2, 20, v2
	v_lshlrev_b32_e32 v3, 24, v0
	v_lshl_add_u32 v6, v6, 23, 0x3c000000
	v_and_b32_e32 v2, 0x700000, v2
	s_delay_alu instid0(VALU_DEP_3) | instskip(NEXT) | instid1(VALU_DEP_1)
	v_and_b32_e32 v3, 0x80000000, v3
	v_or3_b32 v2, v2, v3, v6
.LBB468_7171:                           ;   in Loop: Header=BB468_3103 Depth=1
	s_or_b32 exec_lo, exec_lo, s24
.LBB468_7172:                           ;   in Loop: Header=BB468_3103 Depth=1
	s_delay_alu instid0(SALU_CYCLE_1)
	s_or_b32 exec_lo, exec_lo, s23
.LBB468_7173:                           ;   in Loop: Header=BB468_3103 Depth=1
	s_delay_alu instid0(SALU_CYCLE_1) | instskip(NEXT) | instid1(VALU_DEP_1)
	s_or_b32 exec_lo, exec_lo, s22
	v_mul_f32_e32 v2, v26, v2
                                        ; implicit-def: $vgpr6
	s_delay_alu instid0(VALU_DEP_1) | instskip(NEXT) | instid1(VALU_DEP_1)
	v_and_b32_e32 v3, 0x7f800000, v2
	v_cmp_ne_u32_e64 s9, 0x7f800000, v3
	s_delay_alu instid0(VALU_DEP_1) | instskip(NEXT) | instid1(SALU_CYCLE_1)
	s_and_saveexec_b32 s22, s9
	s_xor_b32 s9, exec_lo, s22
; %bb.7174:                             ;   in Loop: Header=BB468_3103 Depth=1
	v_bfe_u32 v3, v2, 16, 1
	s_delay_alu instid0(VALU_DEP_1)
	v_add3_u32 v6, v2, v3, 0x7fff
                                        ; implicit-def: $vgpr2
; %bb.7175:                             ;   in Loop: Header=BB468_3103 Depth=1
	s_and_not1_saveexec_b32 s22, s9
; %bb.7176:                             ;   in Loop: Header=BB468_3103 Depth=1
	v_and_b32_e32 v3, 0xffff, v2
	v_or_b32_e32 v6, 0x10000, v2
	s_delay_alu instid0(VALU_DEP_2) | instskip(NEXT) | instid1(VALU_DEP_1)
	v_cmp_eq_u32_e64 s9, 0, v3
	v_cndmask_b32_e64 v6, v6, v2, s9
; %bb.7177:                             ;   in Loop: Header=BB468_3103 Depth=1
	s_or_b32 exec_lo, exec_lo, s22
	v_lshrrev_b16 v3, 8, v0
	v_mov_b32_e32 v2, 0
	s_mov_b32 s22, exec_lo
	s_delay_alu instid0(VALU_DEP_2)
	v_cmpx_ne_u16_e32 0, v3
	s_cbranch_execz .LBB468_7185
; %bb.7178:                             ;   in Loop: Header=BB468_3103 Depth=1
	v_bfrev_b32_e32 v2, 1
	s_mov_b32 s23, exec_lo
	v_cmpx_ne_u16_e32 0x80, v3
	s_cbranch_execz .LBB468_7184
; %bb.7179:                             ;   in Loop: Header=BB468_3103 Depth=1
	v_and_b32_e32 v3, 0xffff, v3
	v_mov_b32_e32 v2, 0x7f800001
	s_mov_b32 s24, exec_lo
	s_delay_alu instid0(VALU_DEP_2) | instskip(NEXT) | instid1(VALU_DEP_1)
	v_and_b32_e32 v7, 0x7f, v3
	v_cmpx_ne_u32_e32 0x7f, v7
	s_cbranch_execz .LBB468_7183
; %bb.7180:                             ;   in Loop: Header=BB468_3103 Depth=1
	v_and_b32_e32 v12, 7, v3
	s_mov_b32 s25, exec_lo
	s_delay_alu instid0(VALU_DEP_1)
	v_dual_mov_b32 v2, v12 :: v_dual_mov_b32 v3, v13
	v_lshrrev_b32_e32 v3, 3, v7
	v_cmpx_gt_u32_e32 8, v7
; %bb.7181:                             ;   in Loop: Header=BB468_3103 Depth=1
	v_clz_i32_u32_e32 v2, v12
	s_delay_alu instid0(VALU_DEP_1) | instskip(NEXT) | instid1(VALU_DEP_1)
	v_min_u32_e32 v7, 32, v2
	v_subrev_nc_u32_e32 v2, 28, v7
	s_delay_alu instid0(VALU_DEP_1) | instskip(SKIP_1) | instid1(VALU_DEP_2)
	v_lshlrev_b64 v[2:3], v2, v[12:13]
	v_sub_nc_u32_e32 v3, 29, v7
	v_and_b32_e32 v2, 7, v2
; %bb.7182:                             ;   in Loop: Header=BB468_3103 Depth=1
	s_or_b32 exec_lo, exec_lo, s25
	v_lshlrev_b32_e32 v7, 16, v0
	s_delay_alu instid0(VALU_DEP_2) | instskip(SKIP_1) | instid1(VALU_DEP_3)
	v_lshlrev_b32_e32 v2, 20, v2
	v_lshl_add_u32 v3, v3, 23, 0x3c000000
	v_and_b32_e32 v7, 0x80000000, v7
	s_delay_alu instid0(VALU_DEP_1)
	v_or3_b32 v2, v2, v7, v3
.LBB468_7183:                           ;   in Loop: Header=BB468_3103 Depth=1
	s_or_b32 exec_lo, exec_lo, s24
.LBB468_7184:                           ;   in Loop: Header=BB468_3103 Depth=1
	s_delay_alu instid0(SALU_CYCLE_1)
	s_or_b32 exec_lo, exec_lo, s23
.LBB468_7185:                           ;   in Loop: Header=BB468_3103 Depth=1
	s_delay_alu instid0(SALU_CYCLE_1) | instskip(NEXT) | instid1(VALU_DEP_1)
	s_or_b32 exec_lo, exec_lo, s22
	v_mul_f32_e32 v2, v26, v2
                                        ; implicit-def: $vgpr7
	s_delay_alu instid0(VALU_DEP_1) | instskip(NEXT) | instid1(VALU_DEP_1)
	v_and_b32_e32 v3, 0x7f800000, v2
	v_cmp_ne_u32_e64 s9, 0x7f800000, v3
	s_delay_alu instid0(VALU_DEP_1) | instskip(NEXT) | instid1(SALU_CYCLE_1)
	s_and_saveexec_b32 s22, s9
	s_xor_b32 s9, exec_lo, s22
; %bb.7186:                             ;   in Loop: Header=BB468_3103 Depth=1
	v_bfe_u32 v3, v2, 16, 1
	s_delay_alu instid0(VALU_DEP_1)
	v_add3_u32 v7, v2, v3, 0x7fff
                                        ; implicit-def: $vgpr2
; %bb.7187:                             ;   in Loop: Header=BB468_3103 Depth=1
	s_and_not1_saveexec_b32 s22, s9
; %bb.7188:                             ;   in Loop: Header=BB468_3103 Depth=1
	v_and_b32_e32 v3, 0xffff, v2
	v_or_b32_e32 v7, 0x10000, v2
	s_delay_alu instid0(VALU_DEP_2) | instskip(NEXT) | instid1(VALU_DEP_1)
	v_cmp_eq_u32_e64 s9, 0, v3
	v_cndmask_b32_e64 v7, v7, v2, s9
; %bb.7189:                             ;   in Loop: Header=BB468_3103 Depth=1
	s_or_b32 exec_lo, exec_lo, s22
	v_lshrrev_b32_e32 v8, 16, v0
	s_mov_b32 s22, exec_lo
	s_delay_alu instid0(VALU_DEP_1) | instskip(NEXT) | instid1(VALU_DEP_1)
	v_dual_mov_b32 v2, 0 :: v_dual_and_b32 v3, 0xff, v8
	v_cmpx_ne_u16_e32 0, v3
	s_cbranch_execz .LBB468_7197
; %bb.7190:                             ;   in Loop: Header=BB468_3103 Depth=1
	v_bfrev_b32_e32 v2, 1
	s_mov_b32 s23, exec_lo
	v_cmpx_ne_u16_e32 0x80, v3
	s_cbranch_execz .LBB468_7196
; %bb.7191:                             ;   in Loop: Header=BB468_3103 Depth=1
	v_bfe_u32 v9, v0, 16, 7
	v_mov_b32_e32 v2, 0x7f800001
	s_mov_b32 s24, exec_lo
	s_delay_alu instid0(VALU_DEP_2)
	v_cmpx_ne_u32_e32 0x7f, v9
	s_cbranch_execz .LBB468_7195
; %bb.7192:                             ;   in Loop: Header=BB468_3103 Depth=1
	v_and_b32_e32 v12, 7, v8
	s_mov_b32 s25, exec_lo
	s_delay_alu instid0(VALU_DEP_1)
	v_dual_mov_b32 v2, v12 :: v_dual_mov_b32 v3, v13
	v_lshrrev_b32_e32 v3, 3, v9
	v_cmpx_gt_u32_e32 8, v9
; %bb.7193:                             ;   in Loop: Header=BB468_3103 Depth=1
	v_clz_i32_u32_e32 v2, v12
	s_delay_alu instid0(VALU_DEP_1) | instskip(NEXT) | instid1(VALU_DEP_1)
	v_min_u32_e32 v9, 32, v2
	v_subrev_nc_u32_e32 v2, 28, v9
	s_delay_alu instid0(VALU_DEP_1) | instskip(SKIP_1) | instid1(VALU_DEP_2)
	v_lshlrev_b64 v[2:3], v2, v[12:13]
	v_sub_nc_u32_e32 v3, 29, v9
	v_and_b32_e32 v2, 7, v2
; %bb.7194:                             ;   in Loop: Header=BB468_3103 Depth=1
	s_or_b32 exec_lo, exec_lo, s25
	v_lshlrev_b32_e32 v8, 24, v8
	s_delay_alu instid0(VALU_DEP_2) | instskip(SKIP_1) | instid1(VALU_DEP_3)
	v_lshlrev_b32_e32 v2, 20, v2
	v_lshl_add_u32 v3, v3, 23, 0x3c000000
	v_and_b32_e32 v8, 0x80000000, v8
	s_delay_alu instid0(VALU_DEP_1)
	v_or3_b32 v2, v2, v8, v3
.LBB468_7195:                           ;   in Loop: Header=BB468_3103 Depth=1
	s_or_b32 exec_lo, exec_lo, s24
.LBB468_7196:                           ;   in Loop: Header=BB468_3103 Depth=1
	s_delay_alu instid0(SALU_CYCLE_1)
	s_or_b32 exec_lo, exec_lo, s23
.LBB468_7197:                           ;   in Loop: Header=BB468_3103 Depth=1
	s_delay_alu instid0(SALU_CYCLE_1) | instskip(NEXT) | instid1(VALU_DEP_1)
	s_or_b32 exec_lo, exec_lo, s22
	v_mul_f32_e32 v2, v26, v2
                                        ; implicit-def: $vgpr85
	s_delay_alu instid0(VALU_DEP_1) | instskip(NEXT) | instid1(VALU_DEP_1)
	v_and_b32_e32 v3, 0x7f800000, v2
	v_cmp_ne_u32_e64 s9, 0x7f800000, v3
	s_delay_alu instid0(VALU_DEP_1) | instskip(NEXT) | instid1(SALU_CYCLE_1)
	s_and_saveexec_b32 s22, s9
	s_xor_b32 s9, exec_lo, s22
; %bb.7198:                             ;   in Loop: Header=BB468_3103 Depth=1
	v_bfe_u32 v3, v2, 16, 1
	s_delay_alu instid0(VALU_DEP_1)
	v_add3_u32 v85, v2, v3, 0x7fff
                                        ; implicit-def: $vgpr2
; %bb.7199:                             ;   in Loop: Header=BB468_3103 Depth=1
	s_and_not1_saveexec_b32 s22, s9
; %bb.7200:                             ;   in Loop: Header=BB468_3103 Depth=1
	v_and_b32_e32 v3, 0xffff, v2
	v_or_b32_e32 v8, 0x10000, v2
	s_delay_alu instid0(VALU_DEP_2) | instskip(NEXT) | instid1(VALU_DEP_1)
	v_cmp_eq_u32_e64 s9, 0, v3
	v_cndmask_b32_e64 v85, v8, v2, s9
; %bb.7201:                             ;   in Loop: Header=BB468_3103 Depth=1
	s_or_b32 exec_lo, exec_lo, s22
	v_mov_b32_e32 v2, 0
	s_mov_b32 s22, exec_lo
	v_cmpx_lt_u32_e32 0xffffff, v0
	s_cbranch_execz .LBB468_7209
; %bb.7202:                             ;   in Loop: Header=BB468_3103 Depth=1
	v_lshrrev_b32_e32 v8, 24, v0
	v_bfrev_b32_e32 v2, 1
	s_mov_b32 s23, exec_lo
	s_delay_alu instid0(VALU_DEP_2)
	v_cmpx_ne_u32_e32 0x80, v8
	s_cbranch_execz .LBB468_7208
; %bb.7203:                             ;   in Loop: Header=BB468_3103 Depth=1
	v_bfe_u32 v9, v0, 24, 7
	v_mov_b32_e32 v2, 0x7f800001
	s_mov_b32 s24, exec_lo
	s_delay_alu instid0(VALU_DEP_2)
	v_cmpx_ne_u32_e32 0x7f, v9
	s_cbranch_execz .LBB468_7207
; %bb.7204:                             ;   in Loop: Header=BB468_3103 Depth=1
	v_and_b32_e32 v12, 7, v8
	s_mov_b32 s25, exec_lo
	s_delay_alu instid0(VALU_DEP_1)
	v_dual_mov_b32 v2, v12 :: v_dual_mov_b32 v3, v13
	v_lshrrev_b32_e32 v3, 3, v9
	v_cmpx_gt_u32_e32 8, v9
; %bb.7205:                             ;   in Loop: Header=BB468_3103 Depth=1
	v_clz_i32_u32_e32 v2, v12
	s_delay_alu instid0(VALU_DEP_1) | instskip(NEXT) | instid1(VALU_DEP_1)
	v_min_u32_e32 v9, 32, v2
	v_subrev_nc_u32_e32 v2, 28, v9
	s_delay_alu instid0(VALU_DEP_1) | instskip(SKIP_1) | instid1(VALU_DEP_2)
	v_lshlrev_b64 v[2:3], v2, v[12:13]
	v_sub_nc_u32_e32 v3, 29, v9
	v_and_b32_e32 v2, 7, v2
; %bb.7206:                             ;   in Loop: Header=BB468_3103 Depth=1
	s_or_b32 exec_lo, exec_lo, s25
	v_lshlrev_b32_e32 v8, 24, v8
	s_delay_alu instid0(VALU_DEP_2) | instskip(SKIP_1) | instid1(VALU_DEP_3)
	v_lshlrev_b32_e32 v2, 20, v2
	v_lshl_add_u32 v3, v3, 23, 0x3c000000
	v_and_b32_e32 v8, 0x80000000, v8
	s_delay_alu instid0(VALU_DEP_1)
	v_or3_b32 v2, v2, v8, v3
.LBB468_7207:                           ;   in Loop: Header=BB468_3103 Depth=1
	s_or_b32 exec_lo, exec_lo, s24
.LBB468_7208:                           ;   in Loop: Header=BB468_3103 Depth=1
	s_delay_alu instid0(SALU_CYCLE_1)
	s_or_b32 exec_lo, exec_lo, s23
.LBB468_7209:                           ;   in Loop: Header=BB468_3103 Depth=1
	s_delay_alu instid0(SALU_CYCLE_1) | instskip(NEXT) | instid1(VALU_DEP_1)
	s_or_b32 exec_lo, exec_lo, s22
	v_mul_f32_e32 v2, v26, v2
                                        ; implicit-def: $vgpr8
	s_delay_alu instid0(VALU_DEP_1) | instskip(NEXT) | instid1(VALU_DEP_1)
	v_and_b32_e32 v3, 0x7f800000, v2
	v_cmp_ne_u32_e64 s9, 0x7f800000, v3
	s_delay_alu instid0(VALU_DEP_1) | instskip(NEXT) | instid1(SALU_CYCLE_1)
	s_and_saveexec_b32 s22, s9
	s_xor_b32 s9, exec_lo, s22
; %bb.7210:                             ;   in Loop: Header=BB468_3103 Depth=1
	v_bfe_u32 v3, v2, 16, 1
	s_delay_alu instid0(VALU_DEP_1)
	v_add3_u32 v8, v2, v3, 0x7fff
                                        ; implicit-def: $vgpr2
; %bb.7211:                             ;   in Loop: Header=BB468_3103 Depth=1
	s_and_not1_saveexec_b32 s22, s9
; %bb.7212:                             ;   in Loop: Header=BB468_3103 Depth=1
	v_and_b32_e32 v3, 0xffff, v2
	v_or_b32_e32 v8, 0x10000, v2
	s_delay_alu instid0(VALU_DEP_2) | instskip(NEXT) | instid1(VALU_DEP_1)
	v_cmp_eq_u32_e64 s9, 0, v3
	v_cndmask_b32_e64 v8, v8, v2, s9
; %bb.7213:                             ;   in Loop: Header=BB468_3103 Depth=1
	s_or_b32 exec_lo, exec_lo, s22
	v_dual_mov_b32 v12, v1 :: v_dual_and_b32 v3, 0xff, v1
	v_mov_b32_e32 v2, 0
	s_mov_b32 s22, exec_lo
	s_delay_alu instid0(VALU_DEP_2)
	v_cmpx_ne_u16_e32 0, v3
	s_cbranch_execz .LBB468_7221
; %bb.7214:                             ;   in Loop: Header=BB468_3103 Depth=1
	v_bfrev_b32_e32 v2, 1
	s_mov_b32 s23, exec_lo
	v_cmpx_ne_u16_e32 0x80, v3
	s_cbranch_execz .LBB468_7220
; %bb.7215:                             ;   in Loop: Header=BB468_3103 Depth=1
	v_and_b32_e32 v9, 0x7f, v1
	v_mov_b32_e32 v2, 0x7f800001
	s_mov_b32 s24, exec_lo
	s_delay_alu instid0(VALU_DEP_2)
	v_cmpx_ne_u32_e32 0x7f, v9
	s_cbranch_execz .LBB468_7219
; %bb.7216:                             ;   in Loop: Header=BB468_3103 Depth=1
	v_dual_mov_b32 v2, v12 :: v_dual_mov_b32 v3, v13
	v_lshrrev_b32_e32 v3, 3, v9
	s_mov_b32 s25, exec_lo
	v_cmpx_gt_u32_e32 8, v9
; %bb.7217:                             ;   in Loop: Header=BB468_3103 Depth=1
	v_and_b32_e32 v2, 7, v1
	s_delay_alu instid0(VALU_DEP_1) | instskip(NEXT) | instid1(VALU_DEP_1)
	v_clz_i32_u32_e32 v2, v2
	v_min_u32_e32 v9, 32, v2
	s_delay_alu instid0(VALU_DEP_1) | instskip(NEXT) | instid1(VALU_DEP_1)
	v_subrev_nc_u32_e32 v2, 28, v9
	v_lshlrev_b64 v[2:3], v2, v[12:13]
	v_sub_nc_u32_e32 v3, 29, v9
; %bb.7218:                             ;   in Loop: Header=BB468_3103 Depth=1
	s_or_b32 exec_lo, exec_lo, s25
	s_delay_alu instid0(VALU_DEP_2) | instskip(SKIP_1) | instid1(VALU_DEP_3)
	v_lshlrev_b32_e32 v2, 20, v2
	v_lshlrev_b32_e32 v9, 24, v12
	v_lshl_add_u32 v3, v3, 23, 0x3c000000
	s_delay_alu instid0(VALU_DEP_3) | instskip(NEXT) | instid1(VALU_DEP_3)
	v_and_b32_e32 v2, 0x700000, v2
	v_and_b32_e32 v9, 0x80000000, v9
	s_delay_alu instid0(VALU_DEP_1)
	v_or3_b32 v2, v2, v9, v3
.LBB468_7219:                           ;   in Loop: Header=BB468_3103 Depth=1
	s_or_b32 exec_lo, exec_lo, s24
.LBB468_7220:                           ;   in Loop: Header=BB468_3103 Depth=1
	s_delay_alu instid0(SALU_CYCLE_1)
	s_or_b32 exec_lo, exec_lo, s23
.LBB468_7221:                           ;   in Loop: Header=BB468_3103 Depth=1
	s_delay_alu instid0(SALU_CYCLE_1) | instskip(NEXT) | instid1(VALU_DEP_1)
	s_or_b32 exec_lo, exec_lo, s22
	v_mul_f32_e32 v2, v26, v2
                                        ; implicit-def: $vgpr9
	s_delay_alu instid0(VALU_DEP_1) | instskip(NEXT) | instid1(VALU_DEP_1)
	v_and_b32_e32 v3, 0x7f800000, v2
	v_cmp_ne_u32_e64 s9, 0x7f800000, v3
	s_delay_alu instid0(VALU_DEP_1) | instskip(NEXT) | instid1(SALU_CYCLE_1)
	s_and_saveexec_b32 s22, s9
	s_xor_b32 s9, exec_lo, s22
; %bb.7222:                             ;   in Loop: Header=BB468_3103 Depth=1
	v_bfe_u32 v3, v2, 16, 1
	s_delay_alu instid0(VALU_DEP_1)
	v_add3_u32 v9, v2, v3, 0x7fff
                                        ; implicit-def: $vgpr2
; %bb.7223:                             ;   in Loop: Header=BB468_3103 Depth=1
	s_and_not1_saveexec_b32 s22, s9
; %bb.7224:                             ;   in Loop: Header=BB468_3103 Depth=1
	v_and_b32_e32 v3, 0xffff, v2
	v_or_b32_e32 v9, 0x10000, v2
	s_delay_alu instid0(VALU_DEP_2) | instskip(NEXT) | instid1(VALU_DEP_1)
	v_cmp_eq_u32_e64 s9, 0, v3
	v_cndmask_b32_e64 v9, v9, v2, s9
; %bb.7225:                             ;   in Loop: Header=BB468_3103 Depth=1
	s_or_b32 exec_lo, exec_lo, s22
	v_lshrrev_b16 v3, 8, v12
	v_mov_b32_e32 v2, 0
	s_mov_b32 s22, exec_lo
	s_delay_alu instid0(VALU_DEP_2)
	v_cmpx_ne_u16_e32 0, v3
	s_cbranch_execz .LBB468_7233
; %bb.7226:                             ;   in Loop: Header=BB468_3103 Depth=1
	v_bfrev_b32_e32 v2, 1
	s_mov_b32 s23, exec_lo
	v_cmpx_ne_u16_e32 0x80, v3
	s_cbranch_execz .LBB468_7232
; %bb.7227:                             ;   in Loop: Header=BB468_3103 Depth=1
	v_and_b32_e32 v3, 0xffff, v3
	v_mov_b32_e32 v2, 0x7f800001
	s_mov_b32 s24, exec_lo
	s_delay_alu instid0(VALU_DEP_2) | instskip(NEXT) | instid1(VALU_DEP_1)
	v_and_b32_e32 v87, 0x7f, v3
	v_cmpx_ne_u32_e32 0x7f, v87
	s_cbranch_execz .LBB468_7231
; %bb.7228:                             ;   in Loop: Header=BB468_3103 Depth=1
	v_dual_mov_b32 v3, v13 :: v_dual_and_b32 v2, 7, v3
	v_lshrrev_b32_e32 v86, 3, v87
	s_mov_b32 s25, exec_lo
	v_cmpx_gt_u32_e32 8, v87
; %bb.7229:                             ;   in Loop: Header=BB468_3103 Depth=1
	s_delay_alu instid0(VALU_DEP_3) | instskip(NEXT) | instid1(VALU_DEP_1)
	v_clz_i32_u32_e32 v86, v2
	v_min_u32_e32 v86, 32, v86
	s_delay_alu instid0(VALU_DEP_1) | instskip(SKIP_1) | instid1(VALU_DEP_2)
	v_subrev_nc_u32_e32 v87, 28, v86
	v_sub_nc_u32_e32 v86, 29, v86
	v_lshlrev_b64 v[2:3], v87, v[2:3]
	s_delay_alu instid0(VALU_DEP_1)
	v_and_b32_e32 v2, 7, v2
; %bb.7230:                             ;   in Loop: Header=BB468_3103 Depth=1
	s_or_b32 exec_lo, exec_lo, s25
	v_lshlrev_b32_e32 v3, 16, v12
	s_delay_alu instid0(VALU_DEP_2) | instskip(SKIP_1) | instid1(VALU_DEP_3)
	v_lshlrev_b32_e32 v2, 20, v2
	v_lshl_add_u32 v12, v86, 23, 0x3c000000
	v_and_b32_e32 v3, 0x80000000, v3
	s_delay_alu instid0(VALU_DEP_1)
	v_or3_b32 v2, v2, v3, v12
.LBB468_7231:                           ;   in Loop: Header=BB468_3103 Depth=1
	s_or_b32 exec_lo, exec_lo, s24
.LBB468_7232:                           ;   in Loop: Header=BB468_3103 Depth=1
	s_delay_alu instid0(SALU_CYCLE_1)
	s_or_b32 exec_lo, exec_lo, s23
.LBB468_7233:                           ;   in Loop: Header=BB468_3103 Depth=1
	s_delay_alu instid0(SALU_CYCLE_1) | instskip(NEXT) | instid1(VALU_DEP_1)
	s_or_b32 exec_lo, exec_lo, s22
	v_mul_f32_e32 v2, v26, v2
                                        ; implicit-def: $vgpr86
	s_delay_alu instid0(VALU_DEP_1) | instskip(NEXT) | instid1(VALU_DEP_1)
	v_and_b32_e32 v3, 0x7f800000, v2
	v_cmp_ne_u32_e64 s9, 0x7f800000, v3
	s_delay_alu instid0(VALU_DEP_1) | instskip(NEXT) | instid1(SALU_CYCLE_1)
	s_and_saveexec_b32 s22, s9
	s_xor_b32 s9, exec_lo, s22
; %bb.7234:                             ;   in Loop: Header=BB468_3103 Depth=1
	v_bfe_u32 v3, v2, 16, 1
	s_delay_alu instid0(VALU_DEP_1)
	v_add3_u32 v86, v2, v3, 0x7fff
                                        ; implicit-def: $vgpr2
; %bb.7235:                             ;   in Loop: Header=BB468_3103 Depth=1
	s_and_not1_saveexec_b32 s22, s9
; %bb.7236:                             ;   in Loop: Header=BB468_3103 Depth=1
	v_and_b32_e32 v3, 0xffff, v2
	v_or_b32_e32 v12, 0x10000, v2
	s_delay_alu instid0(VALU_DEP_2) | instskip(NEXT) | instid1(VALU_DEP_1)
	v_cmp_eq_u32_e64 s9, 0, v3
	v_cndmask_b32_e64 v86, v12, v2, s9
; %bb.7237:                             ;   in Loop: Header=BB468_3103 Depth=1
	s_or_b32 exec_lo, exec_lo, s22
	v_lshrrev_b32_e32 v87, 16, v1
	s_mov_b32 s22, exec_lo
	s_delay_alu instid0(VALU_DEP_1) | instskip(NEXT) | instid1(VALU_DEP_1)
	v_dual_mov_b32 v2, 0 :: v_dual_and_b32 v3, 0xff, v87
	v_cmpx_ne_u16_e32 0, v3
	s_cbranch_execz .LBB468_7245
; %bb.7238:                             ;   in Loop: Header=BB468_3103 Depth=1
	v_bfrev_b32_e32 v2, 1
	s_mov_b32 s23, exec_lo
	v_cmpx_ne_u16_e32 0x80, v3
	s_cbranch_execz .LBB468_7244
; %bb.7239:                             ;   in Loop: Header=BB468_3103 Depth=1
	v_bfe_u32 v96, v1, 16, 7
	v_mov_b32_e32 v2, 0x7f800001
	s_mov_b32 s24, exec_lo
	s_delay_alu instid0(VALU_DEP_2)
	v_cmpx_ne_u32_e32 0x7f, v96
	s_cbranch_execz .LBB468_7243
; %bb.7240:                             ;   in Loop: Header=BB468_3103 Depth=1
	v_and_b32_e32 v12, 7, v87
	s_mov_b32 s25, exec_lo
	s_delay_alu instid0(VALU_DEP_1)
	v_dual_mov_b32 v2, v12 :: v_dual_mov_b32 v3, v13
	v_lshrrev_b32_e32 v3, 3, v96
	v_cmpx_gt_u32_e32 8, v96
; %bb.7241:                             ;   in Loop: Header=BB468_3103 Depth=1
	v_clz_i32_u32_e32 v2, v12
	s_delay_alu instid0(VALU_DEP_1) | instskip(NEXT) | instid1(VALU_DEP_1)
	v_min_u32_e32 v96, 32, v2
	v_subrev_nc_u32_e32 v2, 28, v96
	s_delay_alu instid0(VALU_DEP_1) | instskip(SKIP_1) | instid1(VALU_DEP_2)
	v_lshlrev_b64 v[2:3], v2, v[12:13]
	v_sub_nc_u32_e32 v3, 29, v96
	v_and_b32_e32 v2, 7, v2
; %bb.7242:                             ;   in Loop: Header=BB468_3103 Depth=1
	s_or_b32 exec_lo, exec_lo, s25
	v_lshlrev_b32_e32 v12, 24, v87
	s_delay_alu instid0(VALU_DEP_2) | instskip(SKIP_1) | instid1(VALU_DEP_3)
	v_lshlrev_b32_e32 v2, 20, v2
	v_lshl_add_u32 v3, v3, 23, 0x3c000000
	v_and_b32_e32 v12, 0x80000000, v12
	s_delay_alu instid0(VALU_DEP_1)
	v_or3_b32 v2, v2, v12, v3
.LBB468_7243:                           ;   in Loop: Header=BB468_3103 Depth=1
	s_or_b32 exec_lo, exec_lo, s24
.LBB468_7244:                           ;   in Loop: Header=BB468_3103 Depth=1
	s_delay_alu instid0(SALU_CYCLE_1)
	s_or_b32 exec_lo, exec_lo, s23
.LBB468_7245:                           ;   in Loop: Header=BB468_3103 Depth=1
	s_delay_alu instid0(SALU_CYCLE_1) | instskip(NEXT) | instid1(VALU_DEP_1)
	s_or_b32 exec_lo, exec_lo, s22
	v_mul_f32_e32 v3, v26, v2
	s_delay_alu instid0(VALU_DEP_1) | instskip(NEXT) | instid1(VALU_DEP_1)
	v_and_b32_e32 v2, 0x7f800000, v3
	v_cmp_ne_u32_e64 s9, 0x7f800000, v2
                                        ; implicit-def: $vgpr2
	s_delay_alu instid0(VALU_DEP_1) | instskip(NEXT) | instid1(SALU_CYCLE_1)
	s_and_saveexec_b32 s22, s9
	s_xor_b32 s9, exec_lo, s22
; %bb.7246:                             ;   in Loop: Header=BB468_3103 Depth=1
	v_bfe_u32 v2, v3, 16, 1
	s_delay_alu instid0(VALU_DEP_1)
	v_add3_u32 v2, v3, v2, 0x7fff
                                        ; implicit-def: $vgpr3
; %bb.7247:                             ;   in Loop: Header=BB468_3103 Depth=1
	s_and_not1_saveexec_b32 s22, s9
; %bb.7248:                             ;   in Loop: Header=BB468_3103 Depth=1
	v_and_b32_e32 v2, 0xffff, v3
	v_or_b32_e32 v12, 0x10000, v3
	s_delay_alu instid0(VALU_DEP_2) | instskip(NEXT) | instid1(VALU_DEP_1)
	v_cmp_eq_u32_e64 s9, 0, v2
	v_cndmask_b32_e64 v2, v12, v3, s9
; %bb.7249:                             ;   in Loop: Header=BB468_3103 Depth=1
	s_or_b32 exec_lo, exec_lo, s22
	v_cmp_lt_u64_e64 s9, s[12:13], v[0:1]
	v_mov_b32_e32 v0, 0
	s_delay_alu instid0(VALU_DEP_2)
	s_and_saveexec_b32 s22, s9
	s_cbranch_execz .LBB468_7257
; %bb.7250:                             ;   in Loop: Header=BB468_3103 Depth=1
	v_lshrrev_b32_e32 v3, 24, v1
	v_bfrev_b32_e32 v0, 1
	s_mov_b32 s23, exec_lo
	s_delay_alu instid0(VALU_DEP_2)
	v_cmpx_ne_u32_e32 0x80, v3
	s_cbranch_execz .LBB468_7256
; %bb.7251:                             ;   in Loop: Header=BB468_3103 Depth=1
	v_bfe_u32 v87, v1, 24, 7
	v_mov_b32_e32 v0, 0x7f800001
	s_mov_b32 s24, exec_lo
	s_delay_alu instid0(VALU_DEP_2)
	v_cmpx_ne_u32_e32 0x7f, v87
	s_cbranch_execz .LBB468_7255
; %bb.7252:                             ;   in Loop: Header=BB468_3103 Depth=1
	v_and_b32_e32 v12, 7, v3
	s_mov_b32 s25, exec_lo
	s_delay_alu instid0(VALU_DEP_1)
	v_dual_mov_b32 v0, v12 :: v_dual_mov_b32 v1, v13
	v_lshrrev_b32_e32 v1, 3, v87
	v_cmpx_gt_u32_e32 8, v87
; %bb.7253:                             ;   in Loop: Header=BB468_3103 Depth=1
	v_clz_i32_u32_e32 v0, v12
	s_delay_alu instid0(VALU_DEP_1) | instskip(NEXT) | instid1(VALU_DEP_1)
	v_min_u32_e32 v87, 32, v0
	v_subrev_nc_u32_e32 v0, 28, v87
	s_delay_alu instid0(VALU_DEP_1) | instskip(SKIP_1) | instid1(VALU_DEP_2)
	v_lshlrev_b64 v[0:1], v0, v[12:13]
	v_sub_nc_u32_e32 v1, 29, v87
	v_and_b32_e32 v0, 7, v0
; %bb.7254:                             ;   in Loop: Header=BB468_3103 Depth=1
	s_or_b32 exec_lo, exec_lo, s25
	v_lshlrev_b32_e32 v3, 24, v3
	s_delay_alu instid0(VALU_DEP_2) | instskip(SKIP_1) | instid1(VALU_DEP_3)
	v_lshlrev_b32_e32 v0, 20, v0
	v_lshl_add_u32 v1, v1, 23, 0x3c000000
	v_and_b32_e32 v3, 0x80000000, v3
	s_delay_alu instid0(VALU_DEP_1)
	v_or3_b32 v0, v0, v3, v1
.LBB468_7255:                           ;   in Loop: Header=BB468_3103 Depth=1
	s_or_b32 exec_lo, exec_lo, s24
.LBB468_7256:                           ;   in Loop: Header=BB468_3103 Depth=1
	s_delay_alu instid0(SALU_CYCLE_1)
	s_or_b32 exec_lo, exec_lo, s23
.LBB468_7257:                           ;   in Loop: Header=BB468_3103 Depth=1
	s_delay_alu instid0(SALU_CYCLE_1) | instskip(NEXT) | instid1(VALU_DEP_1)
	s_or_b32 exec_lo, exec_lo, s22
	v_mul_f32_e32 v0, v26, v0
                                        ; implicit-def: $vgpr87
	s_delay_alu instid0(VALU_DEP_1) | instskip(NEXT) | instid1(VALU_DEP_1)
	v_and_b32_e32 v1, 0x7f800000, v0
	v_cmp_ne_u32_e64 s9, 0x7f800000, v1
	s_delay_alu instid0(VALU_DEP_1) | instskip(NEXT) | instid1(SALU_CYCLE_1)
	s_and_saveexec_b32 s22, s9
	s_xor_b32 s9, exec_lo, s22
; %bb.7258:                             ;   in Loop: Header=BB468_3103 Depth=1
	v_bfe_u32 v1, v0, 16, 1
	s_delay_alu instid0(VALU_DEP_1)
	v_add3_u32 v87, v0, v1, 0x7fff
                                        ; implicit-def: $vgpr0
; %bb.7259:                             ;   in Loop: Header=BB468_3103 Depth=1
	s_and_not1_saveexec_b32 s22, s9
; %bb.7260:                             ;   in Loop: Header=BB468_3103 Depth=1
	v_and_b32_e32 v1, 0xffff, v0
	v_or_b32_e32 v3, 0x10000, v0
	s_delay_alu instid0(VALU_DEP_2) | instskip(NEXT) | instid1(VALU_DEP_1)
	v_cmp_eq_u32_e64 s9, 0, v1
	v_cndmask_b32_e64 v87, v3, v0, s9
; %bb.7261:                             ;   in Loop: Header=BB468_3103 Depth=1
	s_or_b32 exec_lo, exec_lo, s22
	v_lshrrev_b32_e32 v12, 16, v86
	v_lshrrev_b32_e32 v9, 16, v9
	;; [unrolled: 1-line block ×8, first 2 shown]
	s_and_saveexec_b32 s9, s3
; %bb.7262:                             ;   in Loop: Header=BB468_3103 Depth=1
	s_delay_alu instid0(VALU_DEP_3)
	v_cndmask_b32_e32 v0, 0, v0, vcc_lo
	v_cndmask_b32_e64 v1, 0, v1, s1
	v_cndmask_b32_e64 v85, 0, v85, s2
	;; [unrolled: 1-line block ×7, first 2 shown]
; %bb.7263:                             ;   in Loop: Header=BB468_3103 Depth=1
	s_or_b32 exec_lo, exec_lo, s9
	v_lshlrev_b32_e32 v0, 16, v0
	s_delay_alu instid0(VALU_DEP_1) | instskip(NEXT) | instid1(VALU_DEP_1)
	v_mul_f32_e32 v2, v151, v0
	v_and_b32_e32 v0, 0x7f800000, v2
	s_delay_alu instid0(VALU_DEP_1) | instskip(SKIP_1) | instid1(SALU_CYCLE_1)
	v_cmp_ne_u32_e32 vcc_lo, 0x7f800000, v0
                                        ; implicit-def: $vgpr0
	s_and_saveexec_b32 s1, vcc_lo
	s_xor_b32 s1, exec_lo, s1
; %bb.7264:                             ;   in Loop: Header=BB468_3103 Depth=1
	v_bfe_u32 v0, v2, 16, 1
	s_delay_alu instid0(VALU_DEP_1)
	v_add3_u32 v0, v2, v0, 0x7fff
                                        ; implicit-def: $vgpr2
; %bb.7265:                             ;   in Loop: Header=BB468_3103 Depth=1
	s_and_not1_saveexec_b32 s1, s1
; %bb.7266:                             ;   in Loop: Header=BB468_3103 Depth=1
	v_and_b32_e32 v0, 0xffff, v2
	v_or_b32_e32 v6, 0x10000, v2
	s_delay_alu instid0(VALU_DEP_2) | instskip(NEXT) | instid1(VALU_DEP_2)
	v_cmp_eq_u32_e32 vcc_lo, 0, v0
	v_cndmask_b32_e32 v0, v6, v2, vcc_lo
; %bb.7267:                             ;   in Loop: Header=BB468_3103 Depth=1
	s_or_b32 exec_lo, exec_lo, s1
	v_lshlrev_b32_e32 v1, 16, v1
	s_delay_alu instid0(VALU_DEP_1) | instskip(NEXT) | instid1(VALU_DEP_1)
	v_mul_f32_e32 v2, v160, v1
	v_and_b32_e32 v1, 0x7f800000, v2
	s_delay_alu instid0(VALU_DEP_1) | instskip(SKIP_1) | instid1(SALU_CYCLE_1)
	v_cmp_ne_u32_e32 vcc_lo, 0x7f800000, v1
                                        ; implicit-def: $vgpr1
	s_and_saveexec_b32 s1, vcc_lo
	s_xor_b32 s1, exec_lo, s1
; %bb.7268:                             ;   in Loop: Header=BB468_3103 Depth=1
	v_bfe_u32 v1, v2, 16, 1
	s_delay_alu instid0(VALU_DEP_1)
	v_add3_u32 v1, v2, v1, 0x7fff
                                        ; implicit-def: $vgpr2
; %bb.7269:                             ;   in Loop: Header=BB468_3103 Depth=1
	s_and_not1_saveexec_b32 s1, s1
; %bb.7270:                             ;   in Loop: Header=BB468_3103 Depth=1
	v_and_b32_e32 v1, 0xffff, v2
	v_or_b32_e32 v6, 0x10000, v2
	s_delay_alu instid0(VALU_DEP_2) | instskip(NEXT) | instid1(VALU_DEP_2)
	v_cmp_eq_u32_e32 vcc_lo, 0, v1
	v_cndmask_b32_e32 v1, v6, v2, vcc_lo
; %bb.7271:                             ;   in Loop: Header=BB468_3103 Depth=1
	s_or_b32 exec_lo, exec_lo, s1
	v_lshlrev_b32_e32 v2, 16, v85
	s_delay_alu instid0(VALU_DEP_1) | instskip(NEXT) | instid1(VALU_DEP_1)
	v_mul_f32_e32 v6, v161, v2
	v_and_b32_e32 v2, 0x7f800000, v6
	s_delay_alu instid0(VALU_DEP_1) | instskip(SKIP_1) | instid1(SALU_CYCLE_1)
	v_cmp_ne_u32_e32 vcc_lo, 0x7f800000, v2
                                        ; implicit-def: $vgpr2
	s_and_saveexec_b32 s1, vcc_lo
	s_xor_b32 s1, exec_lo, s1
; %bb.7272:                             ;   in Loop: Header=BB468_3103 Depth=1
	v_bfe_u32 v2, v6, 16, 1
	s_delay_alu instid0(VALU_DEP_1)
	v_add3_u32 v2, v6, v2, 0x7fff
                                        ; implicit-def: $vgpr6
; %bb.7273:                             ;   in Loop: Header=BB468_3103 Depth=1
	s_and_not1_saveexec_b32 s1, s1
; %bb.7274:                             ;   in Loop: Header=BB468_3103 Depth=1
	v_and_b32_e32 v2, 0xffff, v6
	v_or_b32_e32 v85, 0x10000, v6
	s_delay_alu instid0(VALU_DEP_2) | instskip(NEXT) | instid1(VALU_DEP_2)
	v_cmp_eq_u32_e32 vcc_lo, 0, v2
	v_cndmask_b32_e32 v2, v85, v6, vcc_lo
; %bb.7275:                             ;   in Loop: Header=BB468_3103 Depth=1
	s_or_b32 exec_lo, exec_lo, s1
	v_lshlrev_b32_e32 v3, 16, v3
	s_delay_alu instid0(VALU_DEP_1) | instskip(NEXT) | instid1(VALU_DEP_1)
	v_mul_f32_e32 v6, v162, v3
	v_and_b32_e32 v3, 0x7f800000, v6
	s_delay_alu instid0(VALU_DEP_1) | instskip(SKIP_1) | instid1(SALU_CYCLE_1)
	v_cmp_ne_u32_e32 vcc_lo, 0x7f800000, v3
                                        ; implicit-def: $vgpr3
	s_and_saveexec_b32 s1, vcc_lo
	s_xor_b32 s1, exec_lo, s1
; %bb.7276:                             ;   in Loop: Header=BB468_3103 Depth=1
	v_bfe_u32 v3, v6, 16, 1
	s_delay_alu instid0(VALU_DEP_1)
	v_add3_u32 v3, v6, v3, 0x7fff
                                        ; implicit-def: $vgpr6
; %bb.7277:                             ;   in Loop: Header=BB468_3103 Depth=1
	s_and_not1_saveexec_b32 s1, s1
; %bb.7278:                             ;   in Loop: Header=BB468_3103 Depth=1
	v_and_b32_e32 v3, 0xffff, v6
	v_or_b32_e32 v85, 0x10000, v6
	s_delay_alu instid0(VALU_DEP_2) | instskip(NEXT) | instid1(VALU_DEP_2)
	v_cmp_eq_u32_e32 vcc_lo, 0, v3
	v_cndmask_b32_e32 v3, v85, v6, vcc_lo
; %bb.7279:                             ;   in Loop: Header=BB468_3103 Depth=1
	s_or_b32 exec_lo, exec_lo, s1
	v_lshlrev_b32_e32 v6, 16, v9
	s_delay_alu instid0(VALU_DEP_1) | instskip(NEXT) | instid1(VALU_DEP_1)
	v_mul_f32_e32 v9, v163, v6
	v_and_b32_e32 v6, 0x7f800000, v9
	s_delay_alu instid0(VALU_DEP_1) | instskip(SKIP_1) | instid1(SALU_CYCLE_1)
	v_cmp_ne_u32_e32 vcc_lo, 0x7f800000, v6
                                        ; implicit-def: $vgpr6
	s_and_saveexec_b32 s1, vcc_lo
	s_xor_b32 s1, exec_lo, s1
; %bb.7280:                             ;   in Loop: Header=BB468_3103 Depth=1
	v_bfe_u32 v6, v9, 16, 1
	s_delay_alu instid0(VALU_DEP_1)
	v_add3_u32 v6, v9, v6, 0x7fff
                                        ; implicit-def: $vgpr9
; %bb.7281:                             ;   in Loop: Header=BB468_3103 Depth=1
	s_and_not1_saveexec_b32 s1, s1
; %bb.7282:                             ;   in Loop: Header=BB468_3103 Depth=1
	v_and_b32_e32 v6, 0xffff, v9
	v_or_b32_e32 v85, 0x10000, v9
	s_delay_alu instid0(VALU_DEP_2) | instskip(NEXT) | instid1(VALU_DEP_2)
	v_cmp_eq_u32_e32 vcc_lo, 0, v6
	v_cndmask_b32_e32 v6, v85, v9, vcc_lo
; %bb.7283:                             ;   in Loop: Header=BB468_3103 Depth=1
	s_or_b32 exec_lo, exec_lo, s1
	v_lshlrev_b32_e32 v9, 16, v12
	s_delay_alu instid0(VALU_DEP_1) | instskip(NEXT) | instid1(VALU_DEP_1)
	v_mul_f32_e32 v9, v164, v9
	v_and_b32_e32 v12, 0x7f800000, v9
	s_delay_alu instid0(VALU_DEP_1) | instskip(SKIP_1) | instid1(SALU_CYCLE_1)
	v_cmp_ne_u32_e32 vcc_lo, 0x7f800000, v12
                                        ; implicit-def: $vgpr12
	s_and_saveexec_b32 s1, vcc_lo
	s_xor_b32 s1, exec_lo, s1
; %bb.7284:                             ;   in Loop: Header=BB468_3103 Depth=1
	v_bfe_u32 v12, v9, 16, 1
	s_delay_alu instid0(VALU_DEP_1)
	v_add3_u32 v12, v9, v12, 0x7fff
                                        ; implicit-def: $vgpr9
; %bb.7285:                             ;   in Loop: Header=BB468_3103 Depth=1
	s_and_not1_saveexec_b32 s1, s1
; %bb.7286:                             ;   in Loop: Header=BB468_3103 Depth=1
	v_and_b32_e32 v12, 0xffff, v9
	v_or_b32_e32 v85, 0x10000, v9
	s_delay_alu instid0(VALU_DEP_2) | instskip(NEXT) | instid1(VALU_DEP_2)
	v_cmp_eq_u32_e32 vcc_lo, 0, v12
	v_cndmask_b32_e32 v12, v85, v9, vcc_lo
; %bb.7287:                             ;   in Loop: Header=BB468_3103 Depth=1
	s_or_b32 exec_lo, exec_lo, s1
	v_lshlrev_b32_e32 v7, 16, v7
	s_delay_alu instid0(VALU_DEP_1) | instskip(NEXT) | instid1(VALU_DEP_1)
	v_mul_f32_e32 v9, v165, v7
	v_and_b32_e32 v7, 0x7f800000, v9
	s_delay_alu instid0(VALU_DEP_1) | instskip(SKIP_1) | instid1(SALU_CYCLE_1)
	v_cmp_ne_u32_e32 vcc_lo, 0x7f800000, v7
                                        ; implicit-def: $vgpr7
	s_and_saveexec_b32 s1, vcc_lo
	s_xor_b32 s1, exec_lo, s1
; %bb.7288:                             ;   in Loop: Header=BB468_3103 Depth=1
	v_bfe_u32 v7, v9, 16, 1
	s_delay_alu instid0(VALU_DEP_1)
	v_add3_u32 v7, v9, v7, 0x7fff
                                        ; implicit-def: $vgpr9
; %bb.7289:                             ;   in Loop: Header=BB468_3103 Depth=1
	s_and_not1_saveexec_b32 s1, s1
; %bb.7290:                             ;   in Loop: Header=BB468_3103 Depth=1
	v_and_b32_e32 v7, 0xffff, v9
	v_or_b32_e32 v85, 0x10000, v9
	s_delay_alu instid0(VALU_DEP_2) | instskip(NEXT) | instid1(VALU_DEP_2)
	v_cmp_eq_u32_e32 vcc_lo, 0, v7
	v_cndmask_b32_e32 v7, v85, v9, vcc_lo
; %bb.7291:                             ;   in Loop: Header=BB468_3103 Depth=1
	s_or_b32 exec_lo, exec_lo, s1
	v_lshlrev_b32_e32 v8, 16, v8
	s_mov_b32 s1, exec_lo
                                        ; implicit-def: $vgpr151
	s_delay_alu instid0(VALU_DEP_1) | instskip(NEXT) | instid1(VALU_DEP_1)
	v_mul_f32_e32 v8, v166, v8
	v_and_b32_e32 v9, 0x7f800000, v8
	s_delay_alu instid0(VALU_DEP_1)
	v_cmpx_ne_u32_e32 0x7f800000, v9
	s_xor_b32 s1, exec_lo, s1
; %bb.7292:                             ;   in Loop: Header=BB468_3103 Depth=1
	v_bfe_u32 v9, v8, 16, 1
	s_delay_alu instid0(VALU_DEP_1)
	v_add3_u32 v151, v8, v9, 0x7fff
                                        ; implicit-def: $vgpr8
; %bb.7293:                             ;   in Loop: Header=BB468_3103 Depth=1
	s_and_not1_saveexec_b32 s1, s1
	s_cbranch_execz .LBB468_3102
; %bb.7294:                             ;   in Loop: Header=BB468_3103 Depth=1
	v_and_b32_e32 v9, 0xffff, v8
	v_or_b32_e32 v85, 0x10000, v8
	s_delay_alu instid0(VALU_DEP_2) | instskip(NEXT) | instid1(VALU_DEP_2)
	v_cmp_eq_u32_e32 vcc_lo, 0, v9
	v_cndmask_b32_e32 v151, v85, v8, vcc_lo
	s_branch .LBB468_3102
.LBB468_7295:
	s_or_b32 exec_lo, exec_lo, s21
	s_clause 0x2
	scratch_load_b32 v114, off, s32 offset:880
	scratch_load_b32 v113, off, s32 offset:884
	;; [unrolled: 1-line block ×3, first 2 shown]
	v_dual_mov_b32 v0, s18 :: v_dual_mov_b32 v1, s19
.LBB468_7296:
	s_or_b32 exec_lo, exec_lo, s15
	s_waitcnt vmcnt(0)
	ds_bpermute_b32 v6, v34, v71
	ds_bpermute_b32 v7, v34, v70
	;; [unrolled: 1-line block ×12, first 2 shown]
	s_waitcnt lgkmcnt(0)
	s_waitcnt_vscnt null, 0x0
	s_barrier
	buffer_gl0_inv
	ds_bpermute_b32 v2, v34, v84
	scratch_load_b32 v35, off, s32 offset:1712 ; 4-byte Folded Reload
	ds_bpermute_b32 v3, v34, v83
	ds_bpermute_b32 v8, v34, v69
	;; [unrolled: 1-line block ×3, first 2 shown]
	v_dual_add_f32 v6, v71, v6 :: v_dual_add_f32 v7, v70, v7
	v_dual_add_f32 v10, v67, v10 :: v_dual_add_f32 v33, v33, v27
	ds_bpermute_b32 v15, v34, v54
	ds_bpermute_b32 v18, v34, v51
	;; [unrolled: 1-line block ×5, first 2 shown]
	v_add_f32_e32 v36, v32, v36
	ds_bpermute_b32 v87, v34, v28
	ds_bpermute_b32 v98, v34, v21
	v_dual_add_f32 v11, v66, v11 :: v_dual_add_f32 v12, v65, v12
	v_dual_add_f32 v13, v64, v13 :: v_dual_add_f32 v14, v55, v14
	v_add_f32_e32 v39, v39, v23
	v_dual_add_f32 v55, v25, v96 :: v_dual_add_f32 v64, v24, v97
	ds_bpermute_b32 v23, v113, v6
	ds_bpermute_b32 v24, v113, v7
	;; [unrolled: 1-line block ×4, first 2 shown]
	v_lshlrev_b64 v[0:1], 2, v[0:1]
	s_getpc_b64 s[2:3]
	s_add_u32 s2, s2, llvm.amdgcn.dynlds.offset.table@rel32@lo+4
	s_addc_u32 s3, s3, llvm.amdgcn.dynlds.offset.table@rel32@hi+12
	s_waitcnt lgkmcnt(13)
	v_dual_add_f32 v2, v84, v2 :: v_dual_add_f32 v3, v83, v3
	ds_bpermute_b32 v4, v34, v82
	ds_bpermute_b32 v5, v34, v80
	v_add_co_u32 v0, vcc_lo, v0, s2
	v_add_co_ci_u32_e32 v1, vcc_lo, s3, v1, vcc_lo
	ds_bpermute_b32 v16, v34, v53
	ds_bpermute_b32 v17, v34, v52
	;; [unrolled: 1-line block ×3, first 2 shown]
	global_load_b32 v1, v[0:1], off
	ds_bpermute_b32 v0, v34, v81
	ds_bpermute_b32 v22, v34, v48
	;; [unrolled: 1-line block ×4, first 2 shown]
	scratch_load_b32 v34, off, s32 offset:1704 ; 4-byte Folded Reload
	s_waitcnt lgkmcnt(20)
	v_dual_add_f32 v8, v69, v8 :: v_dual_add_f32 v9, v68, v9
	s_waitcnt lgkmcnt(19)
	v_add_f32_e32 v15, v54, v15
	s_waitcnt lgkmcnt(17)
	v_dual_add_f32 v51, v51, v18 :: v_dual_add_f32 v50, v50, v19
	s_waitcnt lgkmcnt(14)
	v_dual_add_f32 v37, v31, v37 :: v_dual_add_f32 v54, v28, v87
	ds_bpermute_b32 v19, v113, v2
	s_waitcnt lgkmcnt(14)
	v_add_f32_e32 v65, v21, v98
	ds_bpermute_b32 v68, v113, v11
	ds_bpermute_b32 v98, v113, v36
	s_waitcnt lgkmcnt(14)
	v_dual_add_f32 v28, v6, v23 :: v_dual_add_f32 v27, v7, v24
	s_waitcnt lgkmcnt(13)
	v_add_f32_e32 v24, v10, v67
	s_waitcnt lgkmcnt(12)
	v_add_f32_e32 v10, v33, v97
	scratch_load_b32 v33, off, s32 offset:1708 ; 4-byte Folded Reload
	s_waitcnt lgkmcnt(10)
	v_dual_add_f32 v4, v82, v4 :: v_dual_add_f32 v5, v80, v5
	s_waitcnt lgkmcnt(8)
	v_dual_add_f32 v16, v53, v16 :: v_dual_add_f32 v17, v52, v17
	;; [unrolled: 2-line block ×3, first 2 shown]
	v_add_f32_e32 v38, v38, v26
	s_waitcnt lgkmcnt(3)
	v_dual_add_f32 v52, v30, v85 :: v_dual_add_f32 v53, v29, v86
	ds_bpermute_b32 v20, v113, v3
	ds_bpermute_b32 v21, v113, v4
	;; [unrolled: 1-line block ×22, first 2 shown]
	s_waitcnt lgkmcnt(24)
	v_add_f32_e32 v32, v2, v19
	s_waitcnt lgkmcnt(19)
	v_dual_add_f32 v30, v4, v21 :: v_dual_add_f32 v29, v5, v22
	s_waitcnt lgkmcnt(17)
	v_dual_add_f32 v26, v8, v25 :: v_dual_add_f32 v25, v9, v66
	;; [unrolled: 2-line block ×3, first 2 shown]
	s_waitcnt lgkmcnt(15)
	v_add_f32_e32 v21, v13, v70
	v_add_f32_e32 v9, v36, v98
	s_mov_b32 s1, exec_lo
	v_add_f32_e32 v0, v81, v0
	ds_bpermute_b32 v81, v113, v16
	s_waitcnt lgkmcnt(7)
	v_dual_add_f32 v12, v39, v87 :: v_dual_add_f32 v11, v38, v96
	s_waitcnt lgkmcnt(5)
	v_dual_add_f32 v8, v37, v99 :: v_dual_add_f32 v7, v52, v100
	;; [unrolled: 2-line block ×3, first 2 shown]
	s_waitcnt lgkmcnt(2)
	v_add_f32_e32 v4, v55, v103
	ds_bpermute_b32 v18, v113, v0
	ds_bpermute_b32 v113, v113, v65
	v_add_f32_e32 v31, v3, v20
	s_waitcnt lgkmcnt(3)
	v_dual_add_f32 v3, v64, v112 :: v_dual_add_f32 v20, v14, v71
	v_add_f32_e32 v19, v15, v80
	v_add_f32_e32 v17, v17, v82
	v_dual_add_f32 v15, v50, v84 :: v_dual_add_f32 v14, v49, v85
	v_add_f32_e32 v13, v48, v86
	s_waitcnt lgkmcnt(1)
	v_add_f32_e32 v0, v0, v18
	v_add_f32_e32 v18, v16, v81
	;; [unrolled: 1-line block ×3, first 2 shown]
	s_waitcnt vmcnt(3) lgkmcnt(0)
	v_dual_add_f32 v2, v65, v113 :: v_dual_and_b32 v35, 0x3c3, v35
	s_waitcnt vmcnt(1)
	v_lshrrev_b32_e32 v34, 2, v34
	s_waitcnt vmcnt(0)
	v_lshl_add_u32 v33, v33, 10, v1
	v_cmpx_eq_u32_e32 64, v35
	s_cbranch_execz .LBB468_7298
; %bb.7297:
	v_lshlrev_b32_e32 v36, 2, v34
	s_delay_alu instid0(VALU_DEP_1)
	v_add3_u32 v36, v33, v36, 0xfffff800
	ds_store_2addr_b32 v36, v0, v32 offset1:8
	ds_store_2addr_b32 v36, v31, v30 offset0:16 offset1:24
	ds_store_2addr_b32 v36, v29, v28 offset0:32 offset1:40
	;; [unrolled: 1-line block ×15, first 2 shown]
.LBB468_7298:
	s_or_b32 exec_lo, exec_lo, s1
	s_delay_alu instid0(VALU_DEP_2)
	v_lshl_add_u32 v33, v34, 2, v33
	s_mov_b32 s1, exec_lo
	s_waitcnt lgkmcnt(0)
	s_barrier
	buffer_gl0_inv
	v_cmpx_eq_u32_e32 0, v35
	s_cbranch_execz .LBB468_7300
; %bb.7299:
	ds_load_2addr_b32 v[35:36], v33 offset1:8
	ds_load_2addr_b32 v[37:38], v33 offset0:16 offset1:24
	ds_load_2addr_b32 v[48:49], v33 offset0:32 offset1:40
	;; [unrolled: 1-line block ×12, first 2 shown]
	s_waitcnt lgkmcnt(11)
	v_dual_add_f32 v0, v35, v0 :: v_dual_add_f32 v31, v37, v31
	s_waitcnt lgkmcnt(9)
	v_dual_add_f32 v32, v36, v32 :: v_dual_add_f32 v27, v50, v27
	v_dual_add_f32 v30, v38, v30 :: v_dual_add_f32 v29, v48, v29
	s_waitcnt lgkmcnt(8)
	v_dual_add_f32 v28, v49, v28 :: v_dual_add_f32 v25, v52, v25
	ds_load_2addr_b32 v[35:36], v33 offset0:208 offset1:216
	ds_load_2addr_b32 v[37:38], v33 offset0:224 offset1:232
	;; [unrolled: 1-line block ×3, first 2 shown]
	s_waitcnt lgkmcnt(10)
	v_dual_add_f32 v26, v51, v26 :: v_dual_add_f32 v23, v54, v23
	s_waitcnt lgkmcnt(9)
	v_dual_add_f32 v24, v53, v24 :: v_dual_add_f32 v21, v64, v21
	;; [unrolled: 2-line block ×8, first 2 shown]
	v_add_f32_e32 v10, v83, v10
	s_waitcnt lgkmcnt(2)
	v_dual_add_f32 v8, v85, v8 :: v_dual_add_f32 v7, v35, v7
	s_waitcnt lgkmcnt(1)
	v_dual_add_f32 v6, v36, v6 :: v_dual_add_f32 v5, v37, v5
	;; [unrolled: 2-line block ×3, first 2 shown]
	v_add_f32_e32 v2, v49, v2
.LBB468_7300:
	s_or_b32 exec_lo, exec_lo, s1
	scratch_load_b32 v35, off, s32 offset:1712 ; 4-byte Folded Reload
	s_mov_b32 s1, exec_lo
	s_waitcnt vmcnt(0)
	s_barrier
	buffer_gl0_inv
	v_and_b32_e32 v35, 0x3e3, v35
	s_delay_alu instid0(VALU_DEP_1)
	v_cmpx_eq_u32_e32 32, v35
	s_cbranch_execz .LBB468_7302
; %bb.7301:
	v_lshl_add_u32 v1, v34, 2, v1
	ds_store_2addr_b32 v1, v0, v32 offset1:8
	ds_store_2addr_b32 v1, v31, v30 offset0:16 offset1:24
	ds_store_2addr_b32 v1, v29, v28 offset0:32 offset1:40
	;; [unrolled: 1-line block ×15, first 2 shown]
.LBB468_7302:
	s_or_b32 exec_lo, exec_lo, s1
	s_delay_alu instid0(SALU_CYCLE_1)
	s_mov_b32 s1, exec_lo
	s_waitcnt lgkmcnt(0)
	s_barrier
	buffer_gl0_inv
	v_cmpx_eq_u32_e32 0, v35
	s_cbranch_execz .LBB468_7304
; %bb.7303:
	ds_load_2addr_b32 v[34:35], v33 offset1:8
	ds_load_2addr_b32 v[36:37], v33 offset0:16 offset1:24
	ds_load_2addr_b32 v[38:39], v33 offset0:32 offset1:40
	;; [unrolled: 1-line block ×12, first 2 shown]
	s_waitcnt lgkmcnt(11)
	v_dual_add_f32 v0, v34, v0 :: v_dual_add_f32 v31, v36, v31
	s_waitcnt lgkmcnt(10)
	v_dual_add_f32 v32, v35, v32 :: v_dual_add_f32 v29, v38, v29
	;; [unrolled: 2-line block ×4, first 2 shown]
	ds_load_2addr_b32 v[34:35], v33 offset0:208 offset1:216
	ds_load_2addr_b32 v[36:37], v33 offset0:224 offset1:232
	;; [unrolled: 1-line block ×3, first 2 shown]
	s_waitcnt lgkmcnt(10)
	v_dual_add_f32 v26, v49, v26 :: v_dual_add_f32 v23, v52, v23
	s_waitcnt lgkmcnt(9)
	v_dual_add_f32 v24, v51, v24 :: v_dual_add_f32 v21, v54, v21
	;; [unrolled: 2-line block ×11, first 2 shown]
	v_add_f32_e32 v4, v37, v4
	v_add_f32_e32 v2, v39, v2
.LBB468_7304:
	s_or_b32 exec_lo, exec_lo, s1
	s_barrier
	buffer_gl0_inv
	s_and_b32 exec_lo, exec_lo, s0
	s_cbranch_execz .LBB468_7435
; %bb.7305:
	v_cmp_eq_u32_e32 vcc_lo, 0, v114
	s_and_b32 exec_lo, exec_lo, vcc_lo
	s_cbranch_execz .LBB468_7435
; %bb.7306:
	v_and_b32_e32 v1, 0x7f800000, v0
	s_mov_b32 s0, exec_lo
                                        ; implicit-def: $vgpr33
	s_delay_alu instid0(VALU_DEP_1)
	v_cmpx_ne_u32_e32 0x7f800000, v1
	s_xor_b32 s0, exec_lo, s0
; %bb.7307:
	v_bfe_u32 v1, v0, 16, 1
	s_delay_alu instid0(VALU_DEP_1)
	v_add3_u32 v33, v0, v1, 0x7fff
                                        ; implicit-def: $vgpr0
; %bb.7308:
	s_and_not1_saveexec_b32 s0, s0
; %bb.7309:
	v_and_b32_e32 v1, 0xffff, v0
	v_or_b32_e32 v33, 0x10000, v0
	s_delay_alu instid0(VALU_DEP_2) | instskip(NEXT) | instid1(VALU_DEP_2)
	v_cmp_eq_u32_e32 vcc_lo, 0, v1
	v_cndmask_b32_e32 v33, v33, v0, vcc_lo
; %bb.7310:
	s_or_b32 exec_lo, exec_lo, s0
	s_clause 0x2
	scratch_load_b32 v0, off, s32 offset:1712
	scratch_load_b32 v34, off, s32 offset:1716
	;; [unrolled: 1-line block ×3, first 2 shown]
	s_mul_i32 s1, s17, s10
	s_mul_i32 s0, s16, s17
	;; [unrolled: 1-line block ×3, first 2 shown]
	s_lshl_b32 s2, s14, 8
	s_lshl_b32 s4, s1, 8
	s_ashr_i32 s1, s0, 31
	s_ashr_i32 s3, s2, 31
	;; [unrolled: 1-line block ×3, first 2 shown]
	s_lshl_b64 s[0:1], s[0:1], 1
	s_lshl_b64 s[2:3], s[2:3], 1
	;; [unrolled: 1-line block ×3, first 2 shown]
	s_add_u32 s0, s2, s0
	s_addc_u32 s1, s3, s1
	s_add_u32 s0, s0, s4
	s_addc_u32 s1, s1, s5
	v_and_b32_e32 v35, 0x7f800000, v32
	s_waitcnt vmcnt(2)
	v_lshrrev_b32_e32 v0, 1, v0
	s_waitcnt vmcnt(0)
	v_add_co_u32 v1, vcc_lo, s0, v1
	v_add_co_ci_u32_e32 v34, vcc_lo, s1, v34, vcc_lo
	s_delay_alu instid0(VALU_DEP_3) | instskip(SKIP_1) | instid1(VALU_DEP_1)
	v_and_b32_e32 v0, 0x1fe, v0
	s_mov_b32 s0, exec_lo
	v_add_co_u32 v0, vcc_lo, v1, v0
	s_delay_alu instid0(VALU_DEP_3)
	v_add_co_ci_u32_e32 v1, vcc_lo, 0, v34, vcc_lo
	flat_store_d16_hi_b16 v[0:1], v33
                                        ; implicit-def: $vgpr33
	v_cmpx_ne_u32_e32 0x7f800000, v35
	s_xor_b32 s0, exec_lo, s0
; %bb.7311:
	v_bfe_u32 v33, v32, 16, 1
	s_delay_alu instid0(VALU_DEP_1)
	v_add3_u32 v33, v32, v33, 0x7fff
                                        ; implicit-def: $vgpr32
; %bb.7312:
	s_and_not1_saveexec_b32 s0, s0
; %bb.7313:
	v_and_b32_e32 v33, 0xffff, v32
	v_or_b32_e32 v34, 0x10000, v32
	s_delay_alu instid0(VALU_DEP_2) | instskip(NEXT) | instid1(VALU_DEP_2)
	v_cmp_eq_u32_e32 vcc_lo, 0, v33
	v_cndmask_b32_e32 v33, v34, v32, vcc_lo
; %bb.7314:
	s_or_b32 exec_lo, exec_lo, s0
	v_and_b32_e32 v32, 0x7f800000, v31
	flat_store_d16_hi_b16 v[0:1], v33 offset:16
	v_cmp_ne_u32_e32 vcc_lo, 0x7f800000, v32
                                        ; implicit-def: $vgpr32
	s_and_saveexec_b32 s0, vcc_lo
	s_delay_alu instid0(SALU_CYCLE_1)
	s_xor_b32 s0, exec_lo, s0
; %bb.7315:
	v_bfe_u32 v32, v31, 16, 1
	s_delay_alu instid0(VALU_DEP_1)
	v_add3_u32 v32, v31, v32, 0x7fff
                                        ; implicit-def: $vgpr31
; %bb.7316:
	s_and_not1_saveexec_b32 s0, s0
; %bb.7317:
	v_and_b32_e32 v32, 0xffff, v31
	v_or_b32_e32 v33, 0x10000, v31
	s_delay_alu instid0(VALU_DEP_2) | instskip(NEXT) | instid1(VALU_DEP_2)
	v_cmp_eq_u32_e32 vcc_lo, 0, v32
	v_cndmask_b32_e32 v32, v33, v31, vcc_lo
; %bb.7318:
	s_or_b32 exec_lo, exec_lo, s0
	v_and_b32_e32 v31, 0x7f800000, v30
	flat_store_d16_hi_b16 v[0:1], v32 offset:32
	v_cmp_ne_u32_e32 vcc_lo, 0x7f800000, v31
                                        ; implicit-def: $vgpr31
	s_and_saveexec_b32 s0, vcc_lo
	s_delay_alu instid0(SALU_CYCLE_1)
	s_xor_b32 s0, exec_lo, s0
; %bb.7319:
	v_bfe_u32 v31, v30, 16, 1
	s_delay_alu instid0(VALU_DEP_1)
	v_add3_u32 v31, v30, v31, 0x7fff
                                        ; implicit-def: $vgpr30
; %bb.7320:
	s_and_not1_saveexec_b32 s0, s0
; %bb.7321:
	v_and_b32_e32 v31, 0xffff, v30
	v_or_b32_e32 v32, 0x10000, v30
	s_delay_alu instid0(VALU_DEP_2) | instskip(NEXT) | instid1(VALU_DEP_2)
	v_cmp_eq_u32_e32 vcc_lo, 0, v31
	v_cndmask_b32_e32 v31, v32, v30, vcc_lo
; %bb.7322:
	s_or_b32 exec_lo, exec_lo, s0
	v_and_b32_e32 v30, 0x7f800000, v29
	flat_store_d16_hi_b16 v[0:1], v31 offset:48
	v_cmp_ne_u32_e32 vcc_lo, 0x7f800000, v30
                                        ; implicit-def: $vgpr30
	s_and_saveexec_b32 s0, vcc_lo
	s_delay_alu instid0(SALU_CYCLE_1)
	s_xor_b32 s0, exec_lo, s0
; %bb.7323:
	v_bfe_u32 v30, v29, 16, 1
	s_delay_alu instid0(VALU_DEP_1)
	v_add3_u32 v30, v29, v30, 0x7fff
                                        ; implicit-def: $vgpr29
; %bb.7324:
	s_and_not1_saveexec_b32 s0, s0
; %bb.7325:
	v_and_b32_e32 v30, 0xffff, v29
	v_or_b32_e32 v31, 0x10000, v29
	s_delay_alu instid0(VALU_DEP_2) | instskip(NEXT) | instid1(VALU_DEP_2)
	v_cmp_eq_u32_e32 vcc_lo, 0, v30
	v_cndmask_b32_e32 v30, v31, v29, vcc_lo
; %bb.7326:
	s_or_b32 exec_lo, exec_lo, s0
	v_and_b32_e32 v29, 0x7f800000, v28
	flat_store_d16_hi_b16 v[0:1], v30 offset:64
	v_cmp_ne_u32_e32 vcc_lo, 0x7f800000, v29
                                        ; implicit-def: $vgpr29
	s_and_saveexec_b32 s0, vcc_lo
	s_delay_alu instid0(SALU_CYCLE_1)
	s_xor_b32 s0, exec_lo, s0
; %bb.7327:
	v_bfe_u32 v29, v28, 16, 1
	s_delay_alu instid0(VALU_DEP_1)
	v_add3_u32 v29, v28, v29, 0x7fff
                                        ; implicit-def: $vgpr28
; %bb.7328:
	s_and_not1_saveexec_b32 s0, s0
; %bb.7329:
	v_and_b32_e32 v29, 0xffff, v28
	v_or_b32_e32 v30, 0x10000, v28
	s_delay_alu instid0(VALU_DEP_2) | instskip(NEXT) | instid1(VALU_DEP_2)
	v_cmp_eq_u32_e32 vcc_lo, 0, v29
	v_cndmask_b32_e32 v29, v30, v28, vcc_lo
; %bb.7330:
	s_or_b32 exec_lo, exec_lo, s0
	v_and_b32_e32 v28, 0x7f800000, v27
	flat_store_d16_hi_b16 v[0:1], v29 offset:80
	v_cmp_ne_u32_e32 vcc_lo, 0x7f800000, v28
                                        ; implicit-def: $vgpr28
	s_and_saveexec_b32 s0, vcc_lo
	s_delay_alu instid0(SALU_CYCLE_1)
	s_xor_b32 s0, exec_lo, s0
; %bb.7331:
	v_bfe_u32 v28, v27, 16, 1
	s_delay_alu instid0(VALU_DEP_1)
	v_add3_u32 v28, v27, v28, 0x7fff
                                        ; implicit-def: $vgpr27
; %bb.7332:
	s_and_not1_saveexec_b32 s0, s0
; %bb.7333:
	v_and_b32_e32 v28, 0xffff, v27
	v_or_b32_e32 v29, 0x10000, v27
	s_delay_alu instid0(VALU_DEP_2) | instskip(NEXT) | instid1(VALU_DEP_2)
	v_cmp_eq_u32_e32 vcc_lo, 0, v28
	v_cndmask_b32_e32 v28, v29, v27, vcc_lo
; %bb.7334:
	s_or_b32 exec_lo, exec_lo, s0
	v_and_b32_e32 v27, 0x7f800000, v26
	flat_store_d16_hi_b16 v[0:1], v28 offset:96
	v_cmp_ne_u32_e32 vcc_lo, 0x7f800000, v27
                                        ; implicit-def: $vgpr27
	s_and_saveexec_b32 s0, vcc_lo
	s_delay_alu instid0(SALU_CYCLE_1)
	s_xor_b32 s0, exec_lo, s0
; %bb.7335:
	v_bfe_u32 v27, v26, 16, 1
	s_delay_alu instid0(VALU_DEP_1)
	v_add3_u32 v27, v26, v27, 0x7fff
                                        ; implicit-def: $vgpr26
; %bb.7336:
	s_and_not1_saveexec_b32 s0, s0
; %bb.7337:
	v_and_b32_e32 v27, 0xffff, v26
	v_or_b32_e32 v28, 0x10000, v26
	s_delay_alu instid0(VALU_DEP_2) | instskip(NEXT) | instid1(VALU_DEP_2)
	v_cmp_eq_u32_e32 vcc_lo, 0, v27
	v_cndmask_b32_e32 v27, v28, v26, vcc_lo
; %bb.7338:
	s_or_b32 exec_lo, exec_lo, s0
	v_and_b32_e32 v26, 0x7f800000, v25
	flat_store_d16_hi_b16 v[0:1], v27 offset:112
	v_cmp_ne_u32_e32 vcc_lo, 0x7f800000, v26
                                        ; implicit-def: $vgpr26
	s_and_saveexec_b32 s0, vcc_lo
	s_delay_alu instid0(SALU_CYCLE_1)
	s_xor_b32 s0, exec_lo, s0
; %bb.7339:
	v_bfe_u32 v26, v25, 16, 1
	s_delay_alu instid0(VALU_DEP_1)
	v_add3_u32 v26, v25, v26, 0x7fff
                                        ; implicit-def: $vgpr25
; %bb.7340:
	s_and_not1_saveexec_b32 s0, s0
; %bb.7341:
	v_and_b32_e32 v26, 0xffff, v25
	v_or_b32_e32 v27, 0x10000, v25
	s_delay_alu instid0(VALU_DEP_2) | instskip(NEXT) | instid1(VALU_DEP_2)
	v_cmp_eq_u32_e32 vcc_lo, 0, v26
	v_cndmask_b32_e32 v26, v27, v25, vcc_lo
; %bb.7342:
	s_or_b32 exec_lo, exec_lo, s0
	v_and_b32_e32 v25, 0x7f800000, v24
	flat_store_d16_hi_b16 v[0:1], v26 offset:128
	v_cmp_ne_u32_e32 vcc_lo, 0x7f800000, v25
                                        ; implicit-def: $vgpr25
	s_and_saveexec_b32 s0, vcc_lo
	s_delay_alu instid0(SALU_CYCLE_1)
	s_xor_b32 s0, exec_lo, s0
; %bb.7343:
	v_bfe_u32 v25, v24, 16, 1
	s_delay_alu instid0(VALU_DEP_1)
	v_add3_u32 v25, v24, v25, 0x7fff
                                        ; implicit-def: $vgpr24
; %bb.7344:
	s_and_not1_saveexec_b32 s0, s0
; %bb.7345:
	v_and_b32_e32 v25, 0xffff, v24
	v_or_b32_e32 v26, 0x10000, v24
	s_delay_alu instid0(VALU_DEP_2) | instskip(NEXT) | instid1(VALU_DEP_2)
	v_cmp_eq_u32_e32 vcc_lo, 0, v25
	v_cndmask_b32_e32 v25, v26, v24, vcc_lo
; %bb.7346:
	s_or_b32 exec_lo, exec_lo, s0
	v_and_b32_e32 v24, 0x7f800000, v23
	flat_store_d16_hi_b16 v[0:1], v25 offset:144
	v_cmp_ne_u32_e32 vcc_lo, 0x7f800000, v24
                                        ; implicit-def: $vgpr24
	s_and_saveexec_b32 s0, vcc_lo
	s_delay_alu instid0(SALU_CYCLE_1)
	s_xor_b32 s0, exec_lo, s0
; %bb.7347:
	v_bfe_u32 v24, v23, 16, 1
	s_delay_alu instid0(VALU_DEP_1)
	v_add3_u32 v24, v23, v24, 0x7fff
                                        ; implicit-def: $vgpr23
; %bb.7348:
	s_and_not1_saveexec_b32 s0, s0
; %bb.7349:
	v_and_b32_e32 v24, 0xffff, v23
	v_or_b32_e32 v25, 0x10000, v23
	s_delay_alu instid0(VALU_DEP_2) | instskip(NEXT) | instid1(VALU_DEP_2)
	v_cmp_eq_u32_e32 vcc_lo, 0, v24
	v_cndmask_b32_e32 v24, v25, v23, vcc_lo
; %bb.7350:
	s_or_b32 exec_lo, exec_lo, s0
	v_and_b32_e32 v23, 0x7f800000, v22
	flat_store_d16_hi_b16 v[0:1], v24 offset:160
	v_cmp_ne_u32_e32 vcc_lo, 0x7f800000, v23
                                        ; implicit-def: $vgpr23
	s_and_saveexec_b32 s0, vcc_lo
	s_delay_alu instid0(SALU_CYCLE_1)
	s_xor_b32 s0, exec_lo, s0
; %bb.7351:
	v_bfe_u32 v23, v22, 16, 1
	s_delay_alu instid0(VALU_DEP_1)
	v_add3_u32 v23, v22, v23, 0x7fff
                                        ; implicit-def: $vgpr22
; %bb.7352:
	s_and_not1_saveexec_b32 s0, s0
; %bb.7353:
	v_and_b32_e32 v23, 0xffff, v22
	v_or_b32_e32 v24, 0x10000, v22
	s_delay_alu instid0(VALU_DEP_2) | instskip(NEXT) | instid1(VALU_DEP_2)
	v_cmp_eq_u32_e32 vcc_lo, 0, v23
	v_cndmask_b32_e32 v23, v24, v22, vcc_lo
; %bb.7354:
	s_or_b32 exec_lo, exec_lo, s0
	v_and_b32_e32 v22, 0x7f800000, v21
	flat_store_d16_hi_b16 v[0:1], v23 offset:176
	v_cmp_ne_u32_e32 vcc_lo, 0x7f800000, v22
                                        ; implicit-def: $vgpr22
	s_and_saveexec_b32 s0, vcc_lo
	s_delay_alu instid0(SALU_CYCLE_1)
	s_xor_b32 s0, exec_lo, s0
; %bb.7355:
	v_bfe_u32 v22, v21, 16, 1
	s_delay_alu instid0(VALU_DEP_1)
	v_add3_u32 v22, v21, v22, 0x7fff
                                        ; implicit-def: $vgpr21
; %bb.7356:
	s_and_not1_saveexec_b32 s0, s0
; %bb.7357:
	v_and_b32_e32 v22, 0xffff, v21
	v_or_b32_e32 v23, 0x10000, v21
	s_delay_alu instid0(VALU_DEP_2) | instskip(NEXT) | instid1(VALU_DEP_2)
	v_cmp_eq_u32_e32 vcc_lo, 0, v22
	v_cndmask_b32_e32 v22, v23, v21, vcc_lo
; %bb.7358:
	s_or_b32 exec_lo, exec_lo, s0
	v_and_b32_e32 v21, 0x7f800000, v20
	flat_store_d16_hi_b16 v[0:1], v22 offset:192
	v_cmp_ne_u32_e32 vcc_lo, 0x7f800000, v21
                                        ; implicit-def: $vgpr21
	s_and_saveexec_b32 s0, vcc_lo
	s_delay_alu instid0(SALU_CYCLE_1)
	s_xor_b32 s0, exec_lo, s0
; %bb.7359:
	v_bfe_u32 v21, v20, 16, 1
	s_delay_alu instid0(VALU_DEP_1)
	v_add3_u32 v21, v20, v21, 0x7fff
                                        ; implicit-def: $vgpr20
; %bb.7360:
	s_and_not1_saveexec_b32 s0, s0
; %bb.7361:
	v_and_b32_e32 v21, 0xffff, v20
	v_or_b32_e32 v22, 0x10000, v20
	s_delay_alu instid0(VALU_DEP_2) | instskip(NEXT) | instid1(VALU_DEP_2)
	v_cmp_eq_u32_e32 vcc_lo, 0, v21
	v_cndmask_b32_e32 v21, v22, v20, vcc_lo
; %bb.7362:
	s_or_b32 exec_lo, exec_lo, s0
	v_and_b32_e32 v20, 0x7f800000, v19
	flat_store_d16_hi_b16 v[0:1], v21 offset:208
	v_cmp_ne_u32_e32 vcc_lo, 0x7f800000, v20
                                        ; implicit-def: $vgpr20
	s_and_saveexec_b32 s0, vcc_lo
	s_delay_alu instid0(SALU_CYCLE_1)
	s_xor_b32 s0, exec_lo, s0
; %bb.7363:
	v_bfe_u32 v20, v19, 16, 1
	s_delay_alu instid0(VALU_DEP_1)
	v_add3_u32 v20, v19, v20, 0x7fff
                                        ; implicit-def: $vgpr19
; %bb.7364:
	s_and_not1_saveexec_b32 s0, s0
; %bb.7365:
	v_and_b32_e32 v20, 0xffff, v19
	v_or_b32_e32 v21, 0x10000, v19
	s_delay_alu instid0(VALU_DEP_2) | instskip(NEXT) | instid1(VALU_DEP_2)
	v_cmp_eq_u32_e32 vcc_lo, 0, v20
	v_cndmask_b32_e32 v20, v21, v19, vcc_lo
; %bb.7366:
	s_or_b32 exec_lo, exec_lo, s0
	v_and_b32_e32 v19, 0x7f800000, v18
	flat_store_d16_hi_b16 v[0:1], v20 offset:224
	v_cmp_ne_u32_e32 vcc_lo, 0x7f800000, v19
                                        ; implicit-def: $vgpr19
	s_and_saveexec_b32 s0, vcc_lo
	s_delay_alu instid0(SALU_CYCLE_1)
	s_xor_b32 s0, exec_lo, s0
; %bb.7367:
	v_bfe_u32 v19, v18, 16, 1
	s_delay_alu instid0(VALU_DEP_1)
	v_add3_u32 v19, v18, v19, 0x7fff
                                        ; implicit-def: $vgpr18
; %bb.7368:
	s_and_not1_saveexec_b32 s0, s0
; %bb.7369:
	v_and_b32_e32 v19, 0xffff, v18
	v_or_b32_e32 v20, 0x10000, v18
	s_delay_alu instid0(VALU_DEP_2) | instskip(NEXT) | instid1(VALU_DEP_2)
	v_cmp_eq_u32_e32 vcc_lo, 0, v19
	v_cndmask_b32_e32 v19, v20, v18, vcc_lo
; %bb.7370:
	s_or_b32 exec_lo, exec_lo, s0
	v_and_b32_e32 v18, 0x7f800000, v17
	flat_store_d16_hi_b16 v[0:1], v19 offset:240
	v_cmp_ne_u32_e32 vcc_lo, 0x7f800000, v18
                                        ; implicit-def: $vgpr18
	s_and_saveexec_b32 s0, vcc_lo
	s_delay_alu instid0(SALU_CYCLE_1)
	s_xor_b32 s0, exec_lo, s0
; %bb.7371:
	v_bfe_u32 v18, v17, 16, 1
	s_delay_alu instid0(VALU_DEP_1)
	v_add3_u32 v18, v17, v18, 0x7fff
                                        ; implicit-def: $vgpr17
; %bb.7372:
	s_and_not1_saveexec_b32 s0, s0
; %bb.7373:
	v_and_b32_e32 v18, 0xffff, v17
	v_or_b32_e32 v19, 0x10000, v17
	s_delay_alu instid0(VALU_DEP_2) | instskip(NEXT) | instid1(VALU_DEP_2)
	v_cmp_eq_u32_e32 vcc_lo, 0, v18
	v_cndmask_b32_e32 v18, v19, v17, vcc_lo
; %bb.7374:
	s_or_b32 exec_lo, exec_lo, s0
	v_and_b32_e32 v17, 0x7f800000, v16
	flat_store_d16_hi_b16 v[0:1], v18 offset:256
	v_cmp_ne_u32_e32 vcc_lo, 0x7f800000, v17
                                        ; implicit-def: $vgpr17
	s_and_saveexec_b32 s0, vcc_lo
	s_delay_alu instid0(SALU_CYCLE_1)
	s_xor_b32 s0, exec_lo, s0
; %bb.7375:
	v_bfe_u32 v17, v16, 16, 1
	s_delay_alu instid0(VALU_DEP_1)
	v_add3_u32 v17, v16, v17, 0x7fff
                                        ; implicit-def: $vgpr16
; %bb.7376:
	s_and_not1_saveexec_b32 s0, s0
; %bb.7377:
	v_and_b32_e32 v17, 0xffff, v16
	v_or_b32_e32 v18, 0x10000, v16
	s_delay_alu instid0(VALU_DEP_2) | instskip(NEXT) | instid1(VALU_DEP_2)
	v_cmp_eq_u32_e32 vcc_lo, 0, v17
	v_cndmask_b32_e32 v17, v18, v16, vcc_lo
; %bb.7378:
	s_or_b32 exec_lo, exec_lo, s0
	v_and_b32_e32 v16, 0x7f800000, v15
	flat_store_d16_hi_b16 v[0:1], v17 offset:272
	v_cmp_ne_u32_e32 vcc_lo, 0x7f800000, v16
                                        ; implicit-def: $vgpr16
	s_and_saveexec_b32 s0, vcc_lo
	s_delay_alu instid0(SALU_CYCLE_1)
	s_xor_b32 s0, exec_lo, s0
; %bb.7379:
	v_bfe_u32 v16, v15, 16, 1
	s_delay_alu instid0(VALU_DEP_1)
	v_add3_u32 v16, v15, v16, 0x7fff
                                        ; implicit-def: $vgpr15
; %bb.7380:
	s_and_not1_saveexec_b32 s0, s0
; %bb.7381:
	v_and_b32_e32 v16, 0xffff, v15
	v_or_b32_e32 v17, 0x10000, v15
	s_delay_alu instid0(VALU_DEP_2) | instskip(NEXT) | instid1(VALU_DEP_2)
	v_cmp_eq_u32_e32 vcc_lo, 0, v16
	v_cndmask_b32_e32 v16, v17, v15, vcc_lo
; %bb.7382:
	s_or_b32 exec_lo, exec_lo, s0
	v_and_b32_e32 v15, 0x7f800000, v14
	flat_store_d16_hi_b16 v[0:1], v16 offset:288
	v_cmp_ne_u32_e32 vcc_lo, 0x7f800000, v15
                                        ; implicit-def: $vgpr15
	s_and_saveexec_b32 s0, vcc_lo
	s_delay_alu instid0(SALU_CYCLE_1)
	s_xor_b32 s0, exec_lo, s0
; %bb.7383:
	v_bfe_u32 v15, v14, 16, 1
	s_delay_alu instid0(VALU_DEP_1)
	v_add3_u32 v15, v14, v15, 0x7fff
                                        ; implicit-def: $vgpr14
; %bb.7384:
	s_and_not1_saveexec_b32 s0, s0
; %bb.7385:
	v_and_b32_e32 v15, 0xffff, v14
	v_or_b32_e32 v16, 0x10000, v14
	s_delay_alu instid0(VALU_DEP_2) | instskip(NEXT) | instid1(VALU_DEP_2)
	v_cmp_eq_u32_e32 vcc_lo, 0, v15
	v_cndmask_b32_e32 v15, v16, v14, vcc_lo
; %bb.7386:
	s_or_b32 exec_lo, exec_lo, s0
	v_and_b32_e32 v14, 0x7f800000, v13
	flat_store_d16_hi_b16 v[0:1], v15 offset:304
	v_cmp_ne_u32_e32 vcc_lo, 0x7f800000, v14
                                        ; implicit-def: $vgpr14
	s_and_saveexec_b32 s0, vcc_lo
	s_delay_alu instid0(SALU_CYCLE_1)
	s_xor_b32 s0, exec_lo, s0
; %bb.7387:
	v_bfe_u32 v14, v13, 16, 1
	s_delay_alu instid0(VALU_DEP_1)
	v_add3_u32 v14, v13, v14, 0x7fff
                                        ; implicit-def: $vgpr13
; %bb.7388:
	s_and_not1_saveexec_b32 s0, s0
; %bb.7389:
	v_and_b32_e32 v14, 0xffff, v13
	v_or_b32_e32 v15, 0x10000, v13
	s_delay_alu instid0(VALU_DEP_2) | instskip(NEXT) | instid1(VALU_DEP_2)
	v_cmp_eq_u32_e32 vcc_lo, 0, v14
	v_cndmask_b32_e32 v14, v15, v13, vcc_lo
; %bb.7390:
	s_or_b32 exec_lo, exec_lo, s0
	v_and_b32_e32 v13, 0x7f800000, v12
	flat_store_d16_hi_b16 v[0:1], v14 offset:320
	v_cmp_ne_u32_e32 vcc_lo, 0x7f800000, v13
                                        ; implicit-def: $vgpr13
	s_and_saveexec_b32 s0, vcc_lo
	s_delay_alu instid0(SALU_CYCLE_1)
	s_xor_b32 s0, exec_lo, s0
; %bb.7391:
	v_bfe_u32 v13, v12, 16, 1
	s_delay_alu instid0(VALU_DEP_1)
	v_add3_u32 v13, v12, v13, 0x7fff
                                        ; implicit-def: $vgpr12
; %bb.7392:
	s_and_not1_saveexec_b32 s0, s0
; %bb.7393:
	v_and_b32_e32 v13, 0xffff, v12
	v_or_b32_e32 v14, 0x10000, v12
	s_delay_alu instid0(VALU_DEP_2) | instskip(NEXT) | instid1(VALU_DEP_2)
	v_cmp_eq_u32_e32 vcc_lo, 0, v13
	v_cndmask_b32_e32 v13, v14, v12, vcc_lo
; %bb.7394:
	s_or_b32 exec_lo, exec_lo, s0
	v_and_b32_e32 v12, 0x7f800000, v11
	flat_store_d16_hi_b16 v[0:1], v13 offset:336
	v_cmp_ne_u32_e32 vcc_lo, 0x7f800000, v12
                                        ; implicit-def: $vgpr12
	s_and_saveexec_b32 s0, vcc_lo
	s_delay_alu instid0(SALU_CYCLE_1)
	s_xor_b32 s0, exec_lo, s0
; %bb.7395:
	v_bfe_u32 v12, v11, 16, 1
	s_delay_alu instid0(VALU_DEP_1)
	v_add3_u32 v12, v11, v12, 0x7fff
                                        ; implicit-def: $vgpr11
; %bb.7396:
	s_and_not1_saveexec_b32 s0, s0
; %bb.7397:
	v_and_b32_e32 v12, 0xffff, v11
	v_or_b32_e32 v13, 0x10000, v11
	s_delay_alu instid0(VALU_DEP_2) | instskip(NEXT) | instid1(VALU_DEP_2)
	v_cmp_eq_u32_e32 vcc_lo, 0, v12
	v_cndmask_b32_e32 v12, v13, v11, vcc_lo
; %bb.7398:
	s_or_b32 exec_lo, exec_lo, s0
	v_and_b32_e32 v11, 0x7f800000, v10
	flat_store_d16_hi_b16 v[0:1], v12 offset:352
	v_cmp_ne_u32_e32 vcc_lo, 0x7f800000, v11
                                        ; implicit-def: $vgpr11
	s_and_saveexec_b32 s0, vcc_lo
	s_delay_alu instid0(SALU_CYCLE_1)
	s_xor_b32 s0, exec_lo, s0
; %bb.7399:
	v_bfe_u32 v11, v10, 16, 1
	s_delay_alu instid0(VALU_DEP_1)
	v_add3_u32 v11, v10, v11, 0x7fff
                                        ; implicit-def: $vgpr10
; %bb.7400:
	s_and_not1_saveexec_b32 s0, s0
; %bb.7401:
	v_and_b32_e32 v11, 0xffff, v10
	v_or_b32_e32 v12, 0x10000, v10
	s_delay_alu instid0(VALU_DEP_2) | instskip(NEXT) | instid1(VALU_DEP_2)
	v_cmp_eq_u32_e32 vcc_lo, 0, v11
	v_cndmask_b32_e32 v11, v12, v10, vcc_lo
; %bb.7402:
	s_or_b32 exec_lo, exec_lo, s0
	v_and_b32_e32 v10, 0x7f800000, v9
	flat_store_d16_hi_b16 v[0:1], v11 offset:368
	v_cmp_ne_u32_e32 vcc_lo, 0x7f800000, v10
                                        ; implicit-def: $vgpr10
	s_and_saveexec_b32 s0, vcc_lo
	s_delay_alu instid0(SALU_CYCLE_1)
	s_xor_b32 s0, exec_lo, s0
; %bb.7403:
	v_bfe_u32 v10, v9, 16, 1
	s_delay_alu instid0(VALU_DEP_1)
	v_add3_u32 v10, v9, v10, 0x7fff
                                        ; implicit-def: $vgpr9
; %bb.7404:
	s_and_not1_saveexec_b32 s0, s0
; %bb.7405:
	v_and_b32_e32 v10, 0xffff, v9
	v_or_b32_e32 v11, 0x10000, v9
	s_delay_alu instid0(VALU_DEP_2) | instskip(NEXT) | instid1(VALU_DEP_2)
	v_cmp_eq_u32_e32 vcc_lo, 0, v10
	v_cndmask_b32_e32 v10, v11, v9, vcc_lo
; %bb.7406:
	s_or_b32 exec_lo, exec_lo, s0
	v_and_b32_e32 v9, 0x7f800000, v8
	flat_store_d16_hi_b16 v[0:1], v10 offset:384
	v_cmp_ne_u32_e32 vcc_lo, 0x7f800000, v9
                                        ; implicit-def: $vgpr9
	s_and_saveexec_b32 s0, vcc_lo
	s_delay_alu instid0(SALU_CYCLE_1)
	s_xor_b32 s0, exec_lo, s0
; %bb.7407:
	v_bfe_u32 v9, v8, 16, 1
	s_delay_alu instid0(VALU_DEP_1)
	v_add3_u32 v9, v8, v9, 0x7fff
                                        ; implicit-def: $vgpr8
; %bb.7408:
	s_and_not1_saveexec_b32 s0, s0
; %bb.7409:
	v_and_b32_e32 v9, 0xffff, v8
	v_or_b32_e32 v10, 0x10000, v8
	s_delay_alu instid0(VALU_DEP_2) | instskip(NEXT) | instid1(VALU_DEP_2)
	v_cmp_eq_u32_e32 vcc_lo, 0, v9
	v_cndmask_b32_e32 v9, v10, v8, vcc_lo
; %bb.7410:
	s_or_b32 exec_lo, exec_lo, s0
	v_and_b32_e32 v8, 0x7f800000, v7
	flat_store_d16_hi_b16 v[0:1], v9 offset:400
	v_cmp_ne_u32_e32 vcc_lo, 0x7f800000, v8
                                        ; implicit-def: $vgpr8
	s_and_saveexec_b32 s0, vcc_lo
	s_delay_alu instid0(SALU_CYCLE_1)
	s_xor_b32 s0, exec_lo, s0
; %bb.7411:
	v_bfe_u32 v8, v7, 16, 1
	s_delay_alu instid0(VALU_DEP_1)
	v_add3_u32 v8, v7, v8, 0x7fff
                                        ; implicit-def: $vgpr7
; %bb.7412:
	s_and_not1_saveexec_b32 s0, s0
; %bb.7413:
	v_and_b32_e32 v8, 0xffff, v7
	v_or_b32_e32 v9, 0x10000, v7
	s_delay_alu instid0(VALU_DEP_2) | instskip(NEXT) | instid1(VALU_DEP_2)
	v_cmp_eq_u32_e32 vcc_lo, 0, v8
	v_cndmask_b32_e32 v8, v9, v7, vcc_lo
; %bb.7414:
	s_or_b32 exec_lo, exec_lo, s0
	v_and_b32_e32 v7, 0x7f800000, v6
	flat_store_d16_hi_b16 v[0:1], v8 offset:416
	v_cmp_ne_u32_e32 vcc_lo, 0x7f800000, v7
                                        ; implicit-def: $vgpr7
	s_and_saveexec_b32 s0, vcc_lo
	s_delay_alu instid0(SALU_CYCLE_1)
	s_xor_b32 s0, exec_lo, s0
; %bb.7415:
	v_bfe_u32 v7, v6, 16, 1
	s_delay_alu instid0(VALU_DEP_1)
	v_add3_u32 v7, v6, v7, 0x7fff
                                        ; implicit-def: $vgpr6
; %bb.7416:
	s_and_not1_saveexec_b32 s0, s0
; %bb.7417:
	v_and_b32_e32 v7, 0xffff, v6
	v_or_b32_e32 v8, 0x10000, v6
	s_delay_alu instid0(VALU_DEP_2) | instskip(NEXT) | instid1(VALU_DEP_2)
	v_cmp_eq_u32_e32 vcc_lo, 0, v7
	v_cndmask_b32_e32 v7, v8, v6, vcc_lo
; %bb.7418:
	s_or_b32 exec_lo, exec_lo, s0
	v_and_b32_e32 v6, 0x7f800000, v5
	flat_store_d16_hi_b16 v[0:1], v7 offset:432
	v_cmp_ne_u32_e32 vcc_lo, 0x7f800000, v6
                                        ; implicit-def: $vgpr6
	s_and_saveexec_b32 s0, vcc_lo
	s_delay_alu instid0(SALU_CYCLE_1)
	s_xor_b32 s0, exec_lo, s0
; %bb.7419:
	v_bfe_u32 v6, v5, 16, 1
	s_delay_alu instid0(VALU_DEP_1)
	v_add3_u32 v6, v5, v6, 0x7fff
                                        ; implicit-def: $vgpr5
; %bb.7420:
	s_and_not1_saveexec_b32 s0, s0
; %bb.7421:
	v_and_b32_e32 v6, 0xffff, v5
	v_or_b32_e32 v7, 0x10000, v5
	s_delay_alu instid0(VALU_DEP_2) | instskip(NEXT) | instid1(VALU_DEP_2)
	v_cmp_eq_u32_e32 vcc_lo, 0, v6
	v_cndmask_b32_e32 v6, v7, v5, vcc_lo
; %bb.7422:
	s_or_b32 exec_lo, exec_lo, s0
	v_and_b32_e32 v5, 0x7f800000, v4
	flat_store_d16_hi_b16 v[0:1], v6 offset:448
	v_cmp_ne_u32_e32 vcc_lo, 0x7f800000, v5
                                        ; implicit-def: $vgpr5
	s_and_saveexec_b32 s0, vcc_lo
	s_delay_alu instid0(SALU_CYCLE_1)
	s_xor_b32 s0, exec_lo, s0
; %bb.7423:
	v_bfe_u32 v5, v4, 16, 1
	s_delay_alu instid0(VALU_DEP_1)
	v_add3_u32 v5, v4, v5, 0x7fff
                                        ; implicit-def: $vgpr4
; %bb.7424:
	s_and_not1_saveexec_b32 s0, s0
; %bb.7425:
	v_and_b32_e32 v5, 0xffff, v4
	v_or_b32_e32 v6, 0x10000, v4
	s_delay_alu instid0(VALU_DEP_2) | instskip(NEXT) | instid1(VALU_DEP_2)
	v_cmp_eq_u32_e32 vcc_lo, 0, v5
	v_cndmask_b32_e32 v5, v6, v4, vcc_lo
; %bb.7426:
	s_or_b32 exec_lo, exec_lo, s0
	v_and_b32_e32 v4, 0x7f800000, v3
	flat_store_d16_hi_b16 v[0:1], v5 offset:464
	v_cmp_ne_u32_e32 vcc_lo, 0x7f800000, v4
                                        ; implicit-def: $vgpr4
	s_and_saveexec_b32 s0, vcc_lo
	s_delay_alu instid0(SALU_CYCLE_1)
	s_xor_b32 s0, exec_lo, s0
; %bb.7427:
	v_bfe_u32 v4, v3, 16, 1
	s_delay_alu instid0(VALU_DEP_1)
	v_add3_u32 v4, v3, v4, 0x7fff
                                        ; implicit-def: $vgpr3
; %bb.7428:
	s_and_not1_saveexec_b32 s0, s0
; %bb.7429:
	v_and_b32_e32 v4, 0xffff, v3
	v_or_b32_e32 v5, 0x10000, v3
	s_delay_alu instid0(VALU_DEP_2) | instskip(NEXT) | instid1(VALU_DEP_2)
	v_cmp_eq_u32_e32 vcc_lo, 0, v4
	v_cndmask_b32_e32 v4, v5, v3, vcc_lo
; %bb.7430:
	s_or_b32 exec_lo, exec_lo, s0
	v_and_b32_e32 v3, 0x7f800000, v2
	flat_store_d16_hi_b16 v[0:1], v4 offset:480
	v_cmp_ne_u32_e32 vcc_lo, 0x7f800000, v3
                                        ; implicit-def: $vgpr3
	s_and_saveexec_b32 s0, vcc_lo
	s_delay_alu instid0(SALU_CYCLE_1)
	s_xor_b32 s0, exec_lo, s0
; %bb.7431:
	v_bfe_u32 v3, v2, 16, 1
	s_delay_alu instid0(VALU_DEP_1)
	v_add3_u32 v3, v2, v3, 0x7fff
                                        ; implicit-def: $vgpr2
; %bb.7432:
	s_and_not1_saveexec_b32 s0, s0
; %bb.7433:
	v_and_b32_e32 v3, 0xffff, v2
	v_or_b32_e32 v4, 0x10000, v2
	s_delay_alu instid0(VALU_DEP_2) | instskip(NEXT) | instid1(VALU_DEP_2)
	v_cmp_eq_u32_e32 vcc_lo, 0, v3
	v_cndmask_b32_e32 v3, v4, v2, vcc_lo
; %bb.7434:
	s_or_b32 exec_lo, exec_lo, s0
	flat_store_d16_hi_b16 v[0:1], v3 offset:496
.LBB468_7435:
	s_or_b32 exec_lo, exec_lo, s11
	s_clause 0x1f
	scratch_load_b32 v191, off, s32
	scratch_load_b32 v190, off, s32 offset:4
	scratch_load_b32 v189, off, s32 offset:8
	;; [unrolled: 1-line block ×31, first 2 shown]
	s_clause 0x1f
	scratch_load_b32 v127, off, s32 offset:128
	scratch_load_b32 v126, off, s32 offset:132
	;; [unrolled: 1-line block ×32, first 2 shown]
	s_clause 0xf
	scratch_load_b32 v63, off, s32 offset:256
	scratch_load_b32 v62, off, s32 offset:260
	;; [unrolled: 1-line block ×16, first 2 shown]
	s_waitcnt vmcnt(0) lgkmcnt(0)
	s_setpc_b64 s[30:31]
.Lfunc_end468:
	.size	_ZN4vllm22paged_attention_kernelI14__hip_bfloat16hLi256ELi32ELi128ELNS_18Fp8KVCacheDataTypeE1ELb0ELi512EEEvPfS3_PT_PKS4_PKT0_SA_ifPKiSC_iPKfiiiSE_SE_iiiii, .Lfunc_end468-_ZN4vllm22paged_attention_kernelI14__hip_bfloat16hLi256ELi32ELi128ELNS_18Fp8KVCacheDataTypeE1ELb0ELi512EEEvPfS3_PT_PKS4_PKT0_SA_ifPKiSC_iPKfiiiSE_SE_iiiii
                                        ; -- End function
	.section	.AMDGPU.csdata,"",@progbits
; Function info:
; codeLenInByte = 235336
; NumSgprs: 35
; NumVgprs: 192
; ScratchSize: 1796
; MemoryBound: 0
	.section	.text._ZN4vllm25paged_attention_v2_kernelI14__hip_bfloat16hLi256ELi32ELi128ELNS_18Fp8KVCacheDataTypeE1ELb0ELi512EEEvPfS3_PT_PKS4_PKT0_SA_ifPKiSC_iPKfiiiSE_SE_iiiii,"axG",@progbits,_ZN4vllm25paged_attention_v2_kernelI14__hip_bfloat16hLi256ELi32ELi128ELNS_18Fp8KVCacheDataTypeE1ELb0ELi512EEEvPfS3_PT_PKS4_PKT0_SA_ifPKiSC_iPKfiiiSE_SE_iiiii,comdat
	.protected	_ZN4vllm25paged_attention_v2_kernelI14__hip_bfloat16hLi256ELi32ELi128ELNS_18Fp8KVCacheDataTypeE1ELb0ELi512EEEvPfS3_PT_PKS4_PKT0_SA_ifPKiSC_iPKfiiiSE_SE_iiiii ; -- Begin function _ZN4vllm25paged_attention_v2_kernelI14__hip_bfloat16hLi256ELi32ELi128ELNS_18Fp8KVCacheDataTypeE1ELb0ELi512EEEvPfS3_PT_PKS4_PKT0_SA_ifPKiSC_iPKfiiiSE_SE_iiiii
	.globl	_ZN4vllm25paged_attention_v2_kernelI14__hip_bfloat16hLi256ELi32ELi128ELNS_18Fp8KVCacheDataTypeE1ELb0ELi512EEEvPfS3_PT_PKS4_PKT0_SA_ifPKiSC_iPKfiiiSE_SE_iiiii
	.p2align	8
	.type	_ZN4vllm25paged_attention_v2_kernelI14__hip_bfloat16hLi256ELi32ELi128ELNS_18Fp8KVCacheDataTypeE1ELb0ELi512EEEvPfS3_PT_PKS4_PKT0_SA_ifPKiSC_iPKfiiiSE_SE_iiiii,@function
_ZN4vllm25paged_attention_v2_kernelI14__hip_bfloat16hLi256ELi32ELi128ELNS_18Fp8KVCacheDataTypeE1ELb0ELi512EEEvPfS3_PT_PKS4_PKT0_SA_ifPKiSC_iPKfiiiSE_SE_iiiii: ; @_ZN4vllm25paged_attention_v2_kernelI14__hip_bfloat16hLi256ELi32ELi128ELNS_18Fp8KVCacheDataTypeE1ELb0ELi512EEEvPfS3_PT_PKS4_PKT0_SA_ifPKiSC_iPKfiiiSE_SE_iiiii
; %bb.0:
	s_clause 0x5
	s_load_b256 s[24:31], s[0:1], 0x0
	s_load_b256 s[16:23], s[0:1], 0x20
	s_load_b64 s[2:3], s[0:1], 0x40
	s_load_b64 s[4:5], s[0:1], 0x50
	s_load_b32 s6, s[0:1], 0x48
	s_load_b256 s[36:43], s[0:1], 0x58
	v_mov_b32_e32 v31, v0
	s_add_u32 s8, s0, 0x90
	s_mov_b32 s12, s13
	s_addc_u32 s9, s1, 0
	s_mov_b32 s13, s14
	s_mov_b32 s14, s15
	;; [unrolled: 1-line block ×4, first 2 shown]
	s_getpc_b64 s[0:1]
	s_add_u32 s0, s0, _ZN4vllm22paged_attention_kernelI14__hip_bfloat16hLi256ELi32ELi128ELNS_18Fp8KVCacheDataTypeE1ELb0ELi512EEEvPfS3_PT_PKS4_PKT0_SA_ifPKiSC_iPKfiiiSE_SE_iiiii@rel32@lo+4
	s_addc_u32 s1, s1, _ZN4vllm22paged_attention_kernelI14__hip_bfloat16hLi256ELi32ELi128ELNS_18Fp8KVCacheDataTypeE1ELb0ELi512EEEvPfS3_PT_PKS4_PKT0_SA_ifPKiSC_iPKfiiiSE_SE_iiiii@rel32@hi+12
	s_waitcnt lgkmcnt(0)
	v_dual_mov_b32 v0, s24 :: v_dual_mov_b32 v1, s25
	v_dual_mov_b32 v2, s26 :: v_dual_mov_b32 v3, s27
	;; [unrolled: 1-line block ×14, first 2 shown]
	s_swappc_b64 s[30:31], s[0:1]
	s_endpgm
	.section	.rodata,"a",@progbits
	.p2align	6, 0x0
	.amdhsa_kernel _ZN4vllm25paged_attention_v2_kernelI14__hip_bfloat16hLi256ELi32ELi128ELNS_18Fp8KVCacheDataTypeE1ELb0ELi512EEEvPfS3_PT_PKS4_PKT0_SA_ifPKiSC_iPKfiiiSE_SE_iiiii
		.amdhsa_group_segment_fixed_size 544
		.amdhsa_private_segment_fixed_size 1796
		.amdhsa_kernarg_size 400
		.amdhsa_user_sgpr_count 13
		.amdhsa_user_sgpr_dispatch_ptr 0
		.amdhsa_user_sgpr_queue_ptr 0
		.amdhsa_user_sgpr_kernarg_segment_ptr 1
		.amdhsa_user_sgpr_dispatch_id 0
		.amdhsa_user_sgpr_private_segment_size 0
		.amdhsa_wavefront_size32 1
		.amdhsa_uses_dynamic_stack 0
		.amdhsa_enable_private_segment 1
		.amdhsa_system_sgpr_workgroup_id_x 1
		.amdhsa_system_sgpr_workgroup_id_y 1
		.amdhsa_system_sgpr_workgroup_id_z 1
		.amdhsa_system_sgpr_workgroup_info 0
		.amdhsa_system_vgpr_workitem_id 0
		.amdhsa_next_free_vgpr 192
		.amdhsa_next_free_sgpr 44
		.amdhsa_reserve_vcc 1
		.amdhsa_float_round_mode_32 0
		.amdhsa_float_round_mode_16_64 0
		.amdhsa_float_denorm_mode_32 3
		.amdhsa_float_denorm_mode_16_64 3
		.amdhsa_dx10_clamp 1
		.amdhsa_ieee_mode 1
		.amdhsa_fp16_overflow 0
		.amdhsa_workgroup_processor_mode 1
		.amdhsa_memory_ordered 1
		.amdhsa_forward_progress 0
		.amdhsa_shared_vgpr_count 0
		.amdhsa_exception_fp_ieee_invalid_op 0
		.amdhsa_exception_fp_denorm_src 0
		.amdhsa_exception_fp_ieee_div_zero 0
		.amdhsa_exception_fp_ieee_overflow 0
		.amdhsa_exception_fp_ieee_underflow 0
		.amdhsa_exception_fp_ieee_inexact 0
		.amdhsa_exception_int_div_zero 0
	.end_amdhsa_kernel
	.section	.text._ZN4vllm25paged_attention_v2_kernelI14__hip_bfloat16hLi256ELi32ELi128ELNS_18Fp8KVCacheDataTypeE1ELb0ELi512EEEvPfS3_PT_PKS4_PKT0_SA_ifPKiSC_iPKfiiiSE_SE_iiiii,"axG",@progbits,_ZN4vllm25paged_attention_v2_kernelI14__hip_bfloat16hLi256ELi32ELi128ELNS_18Fp8KVCacheDataTypeE1ELb0ELi512EEEvPfS3_PT_PKS4_PKT0_SA_ifPKiSC_iPKfiiiSE_SE_iiiii,comdat
.Lfunc_end469:
	.size	_ZN4vllm25paged_attention_v2_kernelI14__hip_bfloat16hLi256ELi32ELi128ELNS_18Fp8KVCacheDataTypeE1ELb0ELi512EEEvPfS3_PT_PKS4_PKT0_SA_ifPKiSC_iPKfiiiSE_SE_iiiii, .Lfunc_end469-_ZN4vllm25paged_attention_v2_kernelI14__hip_bfloat16hLi256ELi32ELi128ELNS_18Fp8KVCacheDataTypeE1ELb0ELi512EEEvPfS3_PT_PKS4_PKT0_SA_ifPKiSC_iPKfiiiSE_SE_iiiii
                                        ; -- End function
	.section	.AMDGPU.csdata,"",@progbits
; Kernel info:
; codeLenInByte = 232
; NumSgprs: 46
; NumVgprs: 192
; ScratchSize: 1796
; MemoryBound: 0
; FloatMode: 240
; IeeeMode: 1
; LDSByteSize: 544 bytes/workgroup (compile time only)
; SGPRBlocks: 5
; VGPRBlocks: 23
; NumSGPRsForWavesPerEU: 46
; NumVGPRsForWavesPerEU: 192
; Occupancy: 8
; WaveLimiterHint : 1
; COMPUTE_PGM_RSRC2:SCRATCH_EN: 1
; COMPUTE_PGM_RSRC2:USER_SGPR: 13
; COMPUTE_PGM_RSRC2:TRAP_HANDLER: 0
; COMPUTE_PGM_RSRC2:TGID_X_EN: 1
; COMPUTE_PGM_RSRC2:TGID_Y_EN: 1
; COMPUTE_PGM_RSRC2:TGID_Z_EN: 1
; COMPUTE_PGM_RSRC2:TIDIG_COMP_CNT: 0
	.text
	.p2alignl 7, 3214868480
	.fill 96, 4, 3214868480
	.type	__hip_cuid_7e5a9ccf2e11dc73,@object ; @__hip_cuid_7e5a9ccf2e11dc73
	.section	.bss,"aw",@nobits
	.globl	__hip_cuid_7e5a9ccf2e11dc73
__hip_cuid_7e5a9ccf2e11dc73:
	.byte	0                               ; 0x0
	.size	__hip_cuid_7e5a9ccf2e11dc73, 1

	.type	llvm.amdgcn.dynlds.offset.table,@object ; @llvm.amdgcn.dynlds.offset.table
	.section	.data.rel.ro,"aw",@progbits
	.p2align	4, 0x0
llvm.amdgcn.dynlds.offset.table:
	.long	256
	.long	256
	;; [unrolled: 1-line block ×119, first 2 shown]
	.size	llvm.amdgcn.dynlds.offset.table, 476

	.ident	"AMD clang version 19.0.0git (https://github.com/RadeonOpenCompute/llvm-project roc-6.4.0 25133 c7fe45cf4b819c5991fe208aaa96edf142730f1d)"
	.section	".note.GNU-stack","",@progbits
	.addrsig
	.addrsig_sym __hip_cuid_7e5a9ccf2e11dc73
	.amdgpu_metadata
---
amdhsa.kernels:
  - .args:
      - .actual_access:  write_only
        .address_space:  global
        .offset:         0
        .size:           8
        .value_kind:     global_buffer
      - .actual_access:  write_only
        .address_space:  global
        .offset:         8
        .size:           8
        .value_kind:     global_buffer
      - .actual_access:  write_only
        .address_space:  global
        .offset:         16
        .size:           8
        .value_kind:     global_buffer
      - .actual_access:  read_only
        .address_space:  global
        .offset:         24
        .size:           8
        .value_kind:     global_buffer
      - .actual_access:  read_only
        .address_space:  global
        .offset:         32
        .size:           8
        .value_kind:     global_buffer
      - .actual_access:  read_only
        .address_space:  global
        .offset:         40
        .size:           8
        .value_kind:     global_buffer
      - .offset:         48
        .size:           4
        .value_kind:     by_value
      - .offset:         52
        .size:           4
        .value_kind:     by_value
      - .actual_access:  read_only
        .address_space:  global
        .offset:         56
        .size:           8
        .value_kind:     global_buffer
      - .actual_access:  read_only
        .address_space:  global
        .offset:         64
        .size:           8
        .value_kind:     global_buffer
      - .offset:         72
        .size:           4
        .value_kind:     by_value
      - .actual_access:  read_only
        .address_space:  global
        .offset:         80
        .size:           8
        .value_kind:     global_buffer
      - .offset:         88
        .size:           4
        .value_kind:     by_value
      - .offset:         92
        .size:           4
        .value_kind:     by_value
      - .offset:         96
        .size:           4
        .value_kind:     by_value
      - .address_space:  global
        .offset:         104
        .size:           8
        .value_kind:     global_buffer
      - .address_space:  global
        .offset:         112
        .size:           8
        .value_kind:     global_buffer
      - .offset:         120
        .size:           4
        .value_kind:     by_value
      - .offset:         124
        .size:           4
        .value_kind:     by_value
      - .offset:         128
        .size:           4
        .value_kind:     by_value
      - .offset:         132
        .size:           4
        .value_kind:     by_value
      - .offset:         136
        .size:           4
        .value_kind:     by_value
      - .offset:         144
        .size:           4
        .value_kind:     hidden_block_count_x
      - .offset:         148
        .size:           4
        .value_kind:     hidden_block_count_y
      - .offset:         152
        .size:           4
        .value_kind:     hidden_block_count_z
      - .offset:         156
        .size:           2
        .value_kind:     hidden_group_size_x
      - .offset:         158
        .size:           2
        .value_kind:     hidden_group_size_y
      - .offset:         160
        .size:           2
        .value_kind:     hidden_group_size_z
      - .offset:         162
        .size:           2
        .value_kind:     hidden_remainder_x
      - .offset:         164
        .size:           2
        .value_kind:     hidden_remainder_y
      - .offset:         166
        .size:           2
        .value_kind:     hidden_remainder_z
      - .offset:         184
        .size:           8
        .value_kind:     hidden_global_offset_x
      - .offset:         192
        .size:           8
        .value_kind:     hidden_global_offset_y
      - .offset:         200
        .size:           8
        .value_kind:     hidden_global_offset_z
      - .offset:         208
        .size:           2
        .value_kind:     hidden_grid_dims
      - .offset:         264
        .size:           4
        .value_kind:     hidden_dynamic_lds_size
    .group_segment_fixed_size: 160
    .kernarg_segment_align: 8
    .kernarg_segment_size: 400
    .language:       OpenCL C
    .language_version:
      - 2
      - 0
    .max_flat_workgroup_size: 1024
    .name:           _ZN4vllm25paged_attention_v2_kernelIffLi32ELi8ELi128ELNS_18Fp8KVCacheDataTypeE0ELb1ELi512EEEvPfS2_PT_PKS3_PKT0_S9_ifPKiSB_iPKfiiiSD_SD_iiiii
    .private_segment_fixed_size: 0
    .sgpr_count:     48
    .sgpr_spill_count: 0
    .symbol:         _ZN4vllm25paged_attention_v2_kernelIffLi32ELi8ELi128ELNS_18Fp8KVCacheDataTypeE0ELb1ELi512EEEvPfS2_PT_PKS3_PKT0_S9_ifPKiSB_iPKfiiiSD_SD_iiiii.kd
    .uniform_work_group_size: 1
    .uses_dynamic_stack: false
    .vgpr_count:     38
    .vgpr_spill_count: 0
    .wavefront_size: 32
    .workgroup_processor_mode: 1
  - .args:
      - .actual_access:  write_only
        .address_space:  global
        .offset:         0
        .size:           8
        .value_kind:     global_buffer
      - .actual_access:  read_only
        .address_space:  global
        .offset:         8
        .size:           8
        .value_kind:     global_buffer
      - .actual_access:  read_only
        .address_space:  global
        .offset:         16
        .size:           8
        .value_kind:     global_buffer
      - .actual_access:  read_only
        .address_space:  global
        .offset:         24
        .size:           8
        .value_kind:     global_buffer
      - .actual_access:  read_only
        .address_space:  global
        .offset:         32
        .size:           8
        .value_kind:     global_buffer
      - .offset:         40
        .size:           4
        .value_kind:     by_value
      - .offset:         48
        .size:           4
        .value_kind:     hidden_block_count_x
      - .offset:         52
        .size:           4
        .value_kind:     hidden_block_count_y
      - .offset:         56
        .size:           4
        .value_kind:     hidden_block_count_z
      - .offset:         60
        .size:           2
        .value_kind:     hidden_group_size_x
      - .offset:         62
        .size:           2
        .value_kind:     hidden_group_size_y
      - .offset:         64
        .size:           2
        .value_kind:     hidden_group_size_z
      - .offset:         66
        .size:           2
        .value_kind:     hidden_remainder_x
      - .offset:         68
        .size:           2
        .value_kind:     hidden_remainder_y
      - .offset:         70
        .size:           2
        .value_kind:     hidden_remainder_z
      - .offset:         88
        .size:           8
        .value_kind:     hidden_global_offset_x
      - .offset:         96
        .size:           8
        .value_kind:     hidden_global_offset_y
      - .offset:         104
        .size:           8
        .value_kind:     hidden_global_offset_z
      - .offset:         112
        .size:           2
        .value_kind:     hidden_grid_dims
      - .offset:         168
        .size:           4
        .value_kind:     hidden_dynamic_lds_size
    .group_segment_fixed_size: 32
    .kernarg_segment_align: 8
    .kernarg_segment_size: 304
    .language:       OpenCL C
    .language_version:
      - 2
      - 0
    .max_flat_workgroup_size: 1024
    .name:           _ZN4vllm32paged_attention_v2_reduce_kernelIfLi32ELi128ELi512EEEvPT_PKfS4_PKS1_PKii
    .private_segment_fixed_size: 0
    .sgpr_count:     31
    .sgpr_spill_count: 0
    .symbol:         _ZN4vllm32paged_attention_v2_reduce_kernelIfLi32ELi128ELi512EEEvPT_PKfS4_PKS1_PKii.kd
    .uniform_work_group_size: 1
    .uses_dynamic_stack: false
    .vgpr_count:     19
    .vgpr_spill_count: 0
    .wavefront_size: 32
    .workgroup_processor_mode: 1
  - .args:
      - .actual_access:  write_only
        .address_space:  global
        .offset:         0
        .size:           8
        .value_kind:     global_buffer
      - .actual_access:  write_only
        .address_space:  global
        .offset:         8
        .size:           8
        .value_kind:     global_buffer
      - .actual_access:  write_only
        .address_space:  global
        .offset:         16
        .size:           8
        .value_kind:     global_buffer
      - .actual_access:  read_only
        .address_space:  global
        .offset:         24
        .size:           8
        .value_kind:     global_buffer
      - .actual_access:  read_only
        .address_space:  global
        .offset:         32
        .size:           8
        .value_kind:     global_buffer
      - .actual_access:  read_only
        .address_space:  global
        .offset:         40
        .size:           8
        .value_kind:     global_buffer
      - .offset:         48
        .size:           4
        .value_kind:     by_value
      - .offset:         52
        .size:           4
        .value_kind:     by_value
      - .actual_access:  read_only
        .address_space:  global
        .offset:         56
        .size:           8
        .value_kind:     global_buffer
      - .actual_access:  read_only
        .address_space:  global
        .offset:         64
        .size:           8
        .value_kind:     global_buffer
      - .offset:         72
        .size:           4
        .value_kind:     by_value
      - .actual_access:  read_only
        .address_space:  global
        .offset:         80
        .size:           8
        .value_kind:     global_buffer
      - .offset:         88
        .size:           4
        .value_kind:     by_value
      - .offset:         92
        .size:           4
        .value_kind:     by_value
      - .offset:         96
        .size:           4
        .value_kind:     by_value
      - .address_space:  global
        .offset:         104
        .size:           8
        .value_kind:     global_buffer
      - .address_space:  global
        .offset:         112
        .size:           8
        .value_kind:     global_buffer
      - .offset:         120
        .size:           4
        .value_kind:     by_value
      - .offset:         124
        .size:           4
        .value_kind:     by_value
      - .offset:         128
        .size:           4
        .value_kind:     by_value
      - .offset:         132
        .size:           4
        .value_kind:     by_value
      - .offset:         136
        .size:           4
        .value_kind:     by_value
      - .offset:         144
        .size:           4
        .value_kind:     hidden_block_count_x
      - .offset:         148
        .size:           4
        .value_kind:     hidden_block_count_y
      - .offset:         152
        .size:           4
        .value_kind:     hidden_block_count_z
      - .offset:         156
        .size:           2
        .value_kind:     hidden_group_size_x
      - .offset:         158
        .size:           2
        .value_kind:     hidden_group_size_y
      - .offset:         160
        .size:           2
        .value_kind:     hidden_group_size_z
      - .offset:         162
        .size:           2
        .value_kind:     hidden_remainder_x
      - .offset:         164
        .size:           2
        .value_kind:     hidden_remainder_y
      - .offset:         166
        .size:           2
        .value_kind:     hidden_remainder_z
      - .offset:         184
        .size:           8
        .value_kind:     hidden_global_offset_x
      - .offset:         192
        .size:           8
        .value_kind:     hidden_global_offset_y
      - .offset:         200
        .size:           8
        .value_kind:     hidden_global_offset_z
      - .offset:         208
        .size:           2
        .value_kind:     hidden_grid_dims
      - .offset:         264
        .size:           4
        .value_kind:     hidden_dynamic_lds_size
    .group_segment_fixed_size: 288
    .kernarg_segment_align: 8
    .kernarg_segment_size: 400
    .language:       OpenCL C
    .language_version:
      - 2
      - 0
    .max_flat_workgroup_size: 1024
    .name:           _ZN4vllm25paged_attention_v2_kernelIffLi64ELi8ELi128ELNS_18Fp8KVCacheDataTypeE0ELb1ELi512EEEvPfS2_PT_PKS3_PKT0_S9_ifPKiSB_iPKfiiiSD_SD_iiiii
    .private_segment_fixed_size: 0
    .sgpr_count:     48
    .sgpr_spill_count: 0
    .symbol:         _ZN4vllm25paged_attention_v2_kernelIffLi64ELi8ELi128ELNS_18Fp8KVCacheDataTypeE0ELb1ELi512EEEvPfS2_PT_PKS3_PKT0_S9_ifPKiSB_iPKfiiiSD_SD_iiiii.kd
    .uniform_work_group_size: 1
    .uses_dynamic_stack: false
    .vgpr_count:     46
    .vgpr_spill_count: 0
    .wavefront_size: 32
    .workgroup_processor_mode: 1
  - .args:
      - .actual_access:  write_only
        .address_space:  global
        .offset:         0
        .size:           8
        .value_kind:     global_buffer
      - .actual_access:  read_only
        .address_space:  global
        .offset:         8
        .size:           8
        .value_kind:     global_buffer
      - .actual_access:  read_only
        .address_space:  global
        .offset:         16
        .size:           8
        .value_kind:     global_buffer
      - .actual_access:  read_only
        .address_space:  global
        .offset:         24
        .size:           8
        .value_kind:     global_buffer
      - .actual_access:  read_only
        .address_space:  global
        .offset:         32
        .size:           8
        .value_kind:     global_buffer
      - .offset:         40
        .size:           4
        .value_kind:     by_value
      - .offset:         48
        .size:           4
        .value_kind:     hidden_block_count_x
      - .offset:         52
        .size:           4
        .value_kind:     hidden_block_count_y
      - .offset:         56
        .size:           4
        .value_kind:     hidden_block_count_z
      - .offset:         60
        .size:           2
        .value_kind:     hidden_group_size_x
      - .offset:         62
        .size:           2
        .value_kind:     hidden_group_size_y
      - .offset:         64
        .size:           2
        .value_kind:     hidden_group_size_z
      - .offset:         66
        .size:           2
        .value_kind:     hidden_remainder_x
      - .offset:         68
        .size:           2
        .value_kind:     hidden_remainder_y
      - .offset:         70
        .size:           2
        .value_kind:     hidden_remainder_z
      - .offset:         88
        .size:           8
        .value_kind:     hidden_global_offset_x
      - .offset:         96
        .size:           8
        .value_kind:     hidden_global_offset_y
      - .offset:         104
        .size:           8
        .value_kind:     hidden_global_offset_z
      - .offset:         112
        .size:           2
        .value_kind:     hidden_grid_dims
      - .offset:         168
        .size:           4
        .value_kind:     hidden_dynamic_lds_size
    .group_segment_fixed_size: 32
    .kernarg_segment_align: 8
    .kernarg_segment_size: 304
    .language:       OpenCL C
    .language_version:
      - 2
      - 0
    .max_flat_workgroup_size: 1024
    .name:           _ZN4vllm32paged_attention_v2_reduce_kernelIfLi64ELi128ELi512EEEvPT_PKfS4_PKS1_PKii
    .private_segment_fixed_size: 0
    .sgpr_count:     31
    .sgpr_spill_count: 0
    .symbol:         _ZN4vllm32paged_attention_v2_reduce_kernelIfLi64ELi128ELi512EEEvPT_PKfS4_PKS1_PKii.kd
    .uniform_work_group_size: 1
    .uses_dynamic_stack: false
    .vgpr_count:     19
    .vgpr_spill_count: 0
    .wavefront_size: 32
    .workgroup_processor_mode: 1
  - .args:
      - .actual_access:  write_only
        .address_space:  global
        .offset:         0
        .size:           8
        .value_kind:     global_buffer
      - .actual_access:  write_only
        .address_space:  global
        .offset:         8
        .size:           8
        .value_kind:     global_buffer
      - .actual_access:  write_only
        .address_space:  global
        .offset:         16
        .size:           8
        .value_kind:     global_buffer
      - .actual_access:  read_only
        .address_space:  global
        .offset:         24
        .size:           8
        .value_kind:     global_buffer
      - .actual_access:  read_only
        .address_space:  global
        .offset:         32
        .size:           8
        .value_kind:     global_buffer
      - .actual_access:  read_only
        .address_space:  global
        .offset:         40
        .size:           8
        .value_kind:     global_buffer
      - .offset:         48
        .size:           4
        .value_kind:     by_value
      - .offset:         52
        .size:           4
        .value_kind:     by_value
      - .actual_access:  read_only
        .address_space:  global
        .offset:         56
        .size:           8
        .value_kind:     global_buffer
      - .actual_access:  read_only
        .address_space:  global
        .offset:         64
        .size:           8
        .value_kind:     global_buffer
      - .offset:         72
        .size:           4
        .value_kind:     by_value
      - .actual_access:  read_only
        .address_space:  global
        .offset:         80
        .size:           8
        .value_kind:     global_buffer
      - .offset:         88
        .size:           4
        .value_kind:     by_value
      - .offset:         92
        .size:           4
        .value_kind:     by_value
      - .offset:         96
        .size:           4
        .value_kind:     by_value
      - .address_space:  global
        .offset:         104
        .size:           8
        .value_kind:     global_buffer
      - .address_space:  global
        .offset:         112
        .size:           8
        .value_kind:     global_buffer
      - .offset:         120
        .size:           4
        .value_kind:     by_value
      - .offset:         124
        .size:           4
        .value_kind:     by_value
      - .offset:         128
        .size:           4
        .value_kind:     by_value
      - .offset:         132
        .size:           4
        .value_kind:     by_value
      - .offset:         136
        .size:           4
        .value_kind:     by_value
      - .offset:         144
        .size:           4
        .value_kind:     hidden_block_count_x
      - .offset:         148
        .size:           4
        .value_kind:     hidden_block_count_y
      - .offset:         152
        .size:           4
        .value_kind:     hidden_block_count_z
      - .offset:         156
        .size:           2
        .value_kind:     hidden_group_size_x
      - .offset:         158
        .size:           2
        .value_kind:     hidden_group_size_y
      - .offset:         160
        .size:           2
        .value_kind:     hidden_group_size_z
      - .offset:         162
        .size:           2
        .value_kind:     hidden_remainder_x
      - .offset:         164
        .size:           2
        .value_kind:     hidden_remainder_y
      - .offset:         166
        .size:           2
        .value_kind:     hidden_remainder_z
      - .offset:         184
        .size:           8
        .value_kind:     hidden_global_offset_x
      - .offset:         192
        .size:           8
        .value_kind:     hidden_global_offset_y
      - .offset:         200
        .size:           8
        .value_kind:     hidden_global_offset_z
      - .offset:         208
        .size:           2
        .value_kind:     hidden_grid_dims
      - .offset:         264
        .size:           4
        .value_kind:     hidden_dynamic_lds_size
    .group_segment_fixed_size: 352
    .kernarg_segment_align: 8
    .kernarg_segment_size: 400
    .language:       OpenCL C
    .language_version:
      - 2
      - 0
    .max_flat_workgroup_size: 1024
    .name:           _ZN4vllm25paged_attention_v2_kernelIffLi80ELi8ELi128ELNS_18Fp8KVCacheDataTypeE0ELb1ELi512EEEvPfS2_PT_PKS3_PKT0_S9_ifPKiSB_iPKfiiiSD_SD_iiiii
    .private_segment_fixed_size: 0
    .sgpr_count:     48
    .sgpr_spill_count: 0
    .symbol:         _ZN4vllm25paged_attention_v2_kernelIffLi80ELi8ELi128ELNS_18Fp8KVCacheDataTypeE0ELb1ELi512EEEvPfS2_PT_PKS3_PKT0_S9_ifPKiSB_iPKfiiiSD_SD_iiiii.kd
    .uniform_work_group_size: 1
    .uses_dynamic_stack: false
    .vgpr_count:     50
    .vgpr_spill_count: 0
    .wavefront_size: 32
    .workgroup_processor_mode: 1
  - .args:
      - .actual_access:  write_only
        .address_space:  global
        .offset:         0
        .size:           8
        .value_kind:     global_buffer
      - .actual_access:  read_only
        .address_space:  global
        .offset:         8
        .size:           8
        .value_kind:     global_buffer
      - .actual_access:  read_only
        .address_space:  global
        .offset:         16
        .size:           8
        .value_kind:     global_buffer
      - .actual_access:  read_only
        .address_space:  global
        .offset:         24
        .size:           8
        .value_kind:     global_buffer
      - .actual_access:  read_only
        .address_space:  global
        .offset:         32
        .size:           8
        .value_kind:     global_buffer
      - .offset:         40
        .size:           4
        .value_kind:     by_value
      - .offset:         48
        .size:           4
        .value_kind:     hidden_block_count_x
      - .offset:         52
        .size:           4
        .value_kind:     hidden_block_count_y
      - .offset:         56
        .size:           4
        .value_kind:     hidden_block_count_z
      - .offset:         60
        .size:           2
        .value_kind:     hidden_group_size_x
      - .offset:         62
        .size:           2
        .value_kind:     hidden_group_size_y
      - .offset:         64
        .size:           2
        .value_kind:     hidden_group_size_z
      - .offset:         66
        .size:           2
        .value_kind:     hidden_remainder_x
      - .offset:         68
        .size:           2
        .value_kind:     hidden_remainder_y
      - .offset:         70
        .size:           2
        .value_kind:     hidden_remainder_z
      - .offset:         88
        .size:           8
        .value_kind:     hidden_global_offset_x
      - .offset:         96
        .size:           8
        .value_kind:     hidden_global_offset_y
      - .offset:         104
        .size:           8
        .value_kind:     hidden_global_offset_z
      - .offset:         112
        .size:           2
        .value_kind:     hidden_grid_dims
      - .offset:         168
        .size:           4
        .value_kind:     hidden_dynamic_lds_size
    .group_segment_fixed_size: 32
    .kernarg_segment_align: 8
    .kernarg_segment_size: 304
    .language:       OpenCL C
    .language_version:
      - 2
      - 0
    .max_flat_workgroup_size: 1024
    .name:           _ZN4vllm32paged_attention_v2_reduce_kernelIfLi80ELi128ELi512EEEvPT_PKfS4_PKS1_PKii
    .private_segment_fixed_size: 0
    .sgpr_count:     31
    .sgpr_spill_count: 0
    .symbol:         _ZN4vllm32paged_attention_v2_reduce_kernelIfLi80ELi128ELi512EEEvPT_PKfS4_PKS1_PKii.kd
    .uniform_work_group_size: 1
    .uses_dynamic_stack: false
    .vgpr_count:     19
    .vgpr_spill_count: 0
    .wavefront_size: 32
    .workgroup_processor_mode: 1
  - .args:
      - .actual_access:  write_only
        .address_space:  global
        .offset:         0
        .size:           8
        .value_kind:     global_buffer
      - .actual_access:  write_only
        .address_space:  global
        .offset:         8
        .size:           8
        .value_kind:     global_buffer
      - .actual_access:  write_only
        .address_space:  global
        .offset:         16
        .size:           8
        .value_kind:     global_buffer
      - .actual_access:  read_only
        .address_space:  global
        .offset:         24
        .size:           8
        .value_kind:     global_buffer
      - .actual_access:  read_only
        .address_space:  global
        .offset:         32
        .size:           8
        .value_kind:     global_buffer
      - .actual_access:  read_only
        .address_space:  global
        .offset:         40
        .size:           8
        .value_kind:     global_buffer
      - .offset:         48
        .size:           4
        .value_kind:     by_value
      - .offset:         52
        .size:           4
        .value_kind:     by_value
      - .actual_access:  read_only
        .address_space:  global
        .offset:         56
        .size:           8
        .value_kind:     global_buffer
      - .actual_access:  read_only
        .address_space:  global
        .offset:         64
        .size:           8
        .value_kind:     global_buffer
      - .offset:         72
        .size:           4
        .value_kind:     by_value
      - .actual_access:  read_only
        .address_space:  global
        .offset:         80
        .size:           8
        .value_kind:     global_buffer
      - .offset:         88
        .size:           4
        .value_kind:     by_value
      - .offset:         92
        .size:           4
        .value_kind:     by_value
      - .offset:         96
        .size:           4
        .value_kind:     by_value
      - .address_space:  global
        .offset:         104
        .size:           8
        .value_kind:     global_buffer
      - .address_space:  global
        .offset:         112
        .size:           8
        .value_kind:     global_buffer
      - .offset:         120
        .size:           4
        .value_kind:     by_value
      - .offset:         124
        .size:           4
        .value_kind:     by_value
      - .offset:         128
        .size:           4
        .value_kind:     by_value
      - .offset:         132
        .size:           4
        .value_kind:     by_value
      - .offset:         136
        .size:           4
        .value_kind:     by_value
      - .offset:         144
        .size:           4
        .value_kind:     hidden_block_count_x
      - .offset:         148
        .size:           4
        .value_kind:     hidden_block_count_y
      - .offset:         152
        .size:           4
        .value_kind:     hidden_block_count_z
      - .offset:         156
        .size:           2
        .value_kind:     hidden_group_size_x
      - .offset:         158
        .size:           2
        .value_kind:     hidden_group_size_y
      - .offset:         160
        .size:           2
        .value_kind:     hidden_group_size_z
      - .offset:         162
        .size:           2
        .value_kind:     hidden_remainder_x
      - .offset:         164
        .size:           2
        .value_kind:     hidden_remainder_y
      - .offset:         166
        .size:           2
        .value_kind:     hidden_remainder_z
      - .offset:         184
        .size:           8
        .value_kind:     hidden_global_offset_x
      - .offset:         192
        .size:           8
        .value_kind:     hidden_global_offset_y
      - .offset:         200
        .size:           8
        .value_kind:     hidden_global_offset_z
      - .offset:         208
        .size:           2
        .value_kind:     hidden_grid_dims
      - .offset:         264
        .size:           4
        .value_kind:     hidden_dynamic_lds_size
    .group_segment_fixed_size: 416
    .kernarg_segment_align: 8
    .kernarg_segment_size: 400
    .language:       OpenCL C
    .language_version:
      - 2
      - 0
    .max_flat_workgroup_size: 1024
    .name:           _ZN4vllm25paged_attention_v2_kernelIffLi96ELi8ELi128ELNS_18Fp8KVCacheDataTypeE0ELb1ELi512EEEvPfS2_PT_PKS3_PKT0_S9_ifPKiSB_iPKfiiiSD_SD_iiiii
    .private_segment_fixed_size: 0
    .sgpr_count:     48
    .sgpr_spill_count: 0
    .symbol:         _ZN4vllm25paged_attention_v2_kernelIffLi96ELi8ELi128ELNS_18Fp8KVCacheDataTypeE0ELb1ELi512EEEvPfS2_PT_PKS3_PKT0_S9_ifPKiSB_iPKfiiiSD_SD_iiiii.kd
    .uniform_work_group_size: 1
    .uses_dynamic_stack: false
    .vgpr_count:     54
    .vgpr_spill_count: 0
    .wavefront_size: 32
    .workgroup_processor_mode: 1
  - .args:
      - .actual_access:  write_only
        .address_space:  global
        .offset:         0
        .size:           8
        .value_kind:     global_buffer
      - .actual_access:  read_only
        .address_space:  global
        .offset:         8
        .size:           8
        .value_kind:     global_buffer
      - .actual_access:  read_only
        .address_space:  global
        .offset:         16
        .size:           8
        .value_kind:     global_buffer
      - .actual_access:  read_only
        .address_space:  global
        .offset:         24
        .size:           8
        .value_kind:     global_buffer
      - .actual_access:  read_only
        .address_space:  global
        .offset:         32
        .size:           8
        .value_kind:     global_buffer
      - .offset:         40
        .size:           4
        .value_kind:     by_value
      - .offset:         48
        .size:           4
        .value_kind:     hidden_block_count_x
      - .offset:         52
        .size:           4
        .value_kind:     hidden_block_count_y
      - .offset:         56
        .size:           4
        .value_kind:     hidden_block_count_z
      - .offset:         60
        .size:           2
        .value_kind:     hidden_group_size_x
      - .offset:         62
        .size:           2
        .value_kind:     hidden_group_size_y
      - .offset:         64
        .size:           2
        .value_kind:     hidden_group_size_z
      - .offset:         66
        .size:           2
        .value_kind:     hidden_remainder_x
      - .offset:         68
        .size:           2
        .value_kind:     hidden_remainder_y
      - .offset:         70
        .size:           2
        .value_kind:     hidden_remainder_z
      - .offset:         88
        .size:           8
        .value_kind:     hidden_global_offset_x
      - .offset:         96
        .size:           8
        .value_kind:     hidden_global_offset_y
      - .offset:         104
        .size:           8
        .value_kind:     hidden_global_offset_z
      - .offset:         112
        .size:           2
        .value_kind:     hidden_grid_dims
      - .offset:         168
        .size:           4
        .value_kind:     hidden_dynamic_lds_size
    .group_segment_fixed_size: 32
    .kernarg_segment_align: 8
    .kernarg_segment_size: 304
    .language:       OpenCL C
    .language_version:
      - 2
      - 0
    .max_flat_workgroup_size: 1024
    .name:           _ZN4vllm32paged_attention_v2_reduce_kernelIfLi96ELi128ELi512EEEvPT_PKfS4_PKS1_PKii
    .private_segment_fixed_size: 0
    .sgpr_count:     31
    .sgpr_spill_count: 0
    .symbol:         _ZN4vllm32paged_attention_v2_reduce_kernelIfLi96ELi128ELi512EEEvPT_PKfS4_PKS1_PKii.kd
    .uniform_work_group_size: 1
    .uses_dynamic_stack: false
    .vgpr_count:     19
    .vgpr_spill_count: 0
    .wavefront_size: 32
    .workgroup_processor_mode: 1
  - .args:
      - .actual_access:  write_only
        .address_space:  global
        .offset:         0
        .size:           8
        .value_kind:     global_buffer
      - .actual_access:  write_only
        .address_space:  global
        .offset:         8
        .size:           8
        .value_kind:     global_buffer
      - .actual_access:  write_only
        .address_space:  global
        .offset:         16
        .size:           8
        .value_kind:     global_buffer
      - .actual_access:  read_only
        .address_space:  global
        .offset:         24
        .size:           8
        .value_kind:     global_buffer
      - .actual_access:  read_only
        .address_space:  global
        .offset:         32
        .size:           8
        .value_kind:     global_buffer
      - .actual_access:  read_only
        .address_space:  global
        .offset:         40
        .size:           8
        .value_kind:     global_buffer
      - .offset:         48
        .size:           4
        .value_kind:     by_value
      - .offset:         52
        .size:           4
        .value_kind:     by_value
      - .actual_access:  read_only
        .address_space:  global
        .offset:         56
        .size:           8
        .value_kind:     global_buffer
      - .actual_access:  read_only
        .address_space:  global
        .offset:         64
        .size:           8
        .value_kind:     global_buffer
      - .offset:         72
        .size:           4
        .value_kind:     by_value
      - .actual_access:  read_only
        .address_space:  global
        .offset:         80
        .size:           8
        .value_kind:     global_buffer
      - .offset:         88
        .size:           4
        .value_kind:     by_value
      - .offset:         92
        .size:           4
        .value_kind:     by_value
      - .offset:         96
        .size:           4
        .value_kind:     by_value
      - .address_space:  global
        .offset:         104
        .size:           8
        .value_kind:     global_buffer
      - .address_space:  global
        .offset:         112
        .size:           8
        .value_kind:     global_buffer
      - .offset:         120
        .size:           4
        .value_kind:     by_value
      - .offset:         124
        .size:           4
        .value_kind:     by_value
      - .offset:         128
        .size:           4
        .value_kind:     by_value
      - .offset:         132
        .size:           4
        .value_kind:     by_value
      - .offset:         136
        .size:           4
        .value_kind:     by_value
      - .offset:         144
        .size:           4
        .value_kind:     hidden_block_count_x
      - .offset:         148
        .size:           4
        .value_kind:     hidden_block_count_y
      - .offset:         152
        .size:           4
        .value_kind:     hidden_block_count_z
      - .offset:         156
        .size:           2
        .value_kind:     hidden_group_size_x
      - .offset:         158
        .size:           2
        .value_kind:     hidden_group_size_y
      - .offset:         160
        .size:           2
        .value_kind:     hidden_group_size_z
      - .offset:         162
        .size:           2
        .value_kind:     hidden_remainder_x
      - .offset:         164
        .size:           2
        .value_kind:     hidden_remainder_y
      - .offset:         166
        .size:           2
        .value_kind:     hidden_remainder_z
      - .offset:         184
        .size:           8
        .value_kind:     hidden_global_offset_x
      - .offset:         192
        .size:           8
        .value_kind:     hidden_global_offset_y
      - .offset:         200
        .size:           8
        .value_kind:     hidden_global_offset_z
      - .offset:         208
        .size:           2
        .value_kind:     hidden_grid_dims
      - .offset:         264
        .size:           4
        .value_kind:     hidden_dynamic_lds_size
    .group_segment_fixed_size: 480
    .kernarg_segment_align: 8
    .kernarg_segment_size: 400
    .language:       OpenCL C
    .language_version:
      - 2
      - 0
    .max_flat_workgroup_size: 1024
    .name:           _ZN4vllm25paged_attention_v2_kernelIffLi112ELi8ELi128ELNS_18Fp8KVCacheDataTypeE0ELb1ELi512EEEvPfS2_PT_PKS3_PKT0_S9_ifPKiSB_iPKfiiiSD_SD_iiiii
    .private_segment_fixed_size: 0
    .sgpr_count:     48
    .sgpr_spill_count: 0
    .symbol:         _ZN4vllm25paged_attention_v2_kernelIffLi112ELi8ELi128ELNS_18Fp8KVCacheDataTypeE0ELb1ELi512EEEvPfS2_PT_PKS3_PKT0_S9_ifPKiSB_iPKfiiiSD_SD_iiiii.kd
    .uniform_work_group_size: 1
    .uses_dynamic_stack: false
    .vgpr_count:     58
    .vgpr_spill_count: 0
    .wavefront_size: 32
    .workgroup_processor_mode: 1
  - .args:
      - .actual_access:  write_only
        .address_space:  global
        .offset:         0
        .size:           8
        .value_kind:     global_buffer
      - .actual_access:  read_only
        .address_space:  global
        .offset:         8
        .size:           8
        .value_kind:     global_buffer
      - .actual_access:  read_only
        .address_space:  global
        .offset:         16
        .size:           8
        .value_kind:     global_buffer
      - .actual_access:  read_only
        .address_space:  global
        .offset:         24
        .size:           8
        .value_kind:     global_buffer
      - .actual_access:  read_only
        .address_space:  global
        .offset:         32
        .size:           8
        .value_kind:     global_buffer
      - .offset:         40
        .size:           4
        .value_kind:     by_value
      - .offset:         48
        .size:           4
        .value_kind:     hidden_block_count_x
      - .offset:         52
        .size:           4
        .value_kind:     hidden_block_count_y
      - .offset:         56
        .size:           4
        .value_kind:     hidden_block_count_z
      - .offset:         60
        .size:           2
        .value_kind:     hidden_group_size_x
      - .offset:         62
        .size:           2
        .value_kind:     hidden_group_size_y
      - .offset:         64
        .size:           2
        .value_kind:     hidden_group_size_z
      - .offset:         66
        .size:           2
        .value_kind:     hidden_remainder_x
      - .offset:         68
        .size:           2
        .value_kind:     hidden_remainder_y
      - .offset:         70
        .size:           2
        .value_kind:     hidden_remainder_z
      - .offset:         88
        .size:           8
        .value_kind:     hidden_global_offset_x
      - .offset:         96
        .size:           8
        .value_kind:     hidden_global_offset_y
      - .offset:         104
        .size:           8
        .value_kind:     hidden_global_offset_z
      - .offset:         112
        .size:           2
        .value_kind:     hidden_grid_dims
      - .offset:         168
        .size:           4
        .value_kind:     hidden_dynamic_lds_size
    .group_segment_fixed_size: 32
    .kernarg_segment_align: 8
    .kernarg_segment_size: 304
    .language:       OpenCL C
    .language_version:
      - 2
      - 0
    .max_flat_workgroup_size: 1024
    .name:           _ZN4vllm32paged_attention_v2_reduce_kernelIfLi112ELi128ELi512EEEvPT_PKfS4_PKS1_PKii
    .private_segment_fixed_size: 0
    .sgpr_count:     31
    .sgpr_spill_count: 0
    .symbol:         _ZN4vllm32paged_attention_v2_reduce_kernelIfLi112ELi128ELi512EEEvPT_PKfS4_PKS1_PKii.kd
    .uniform_work_group_size: 1
    .uses_dynamic_stack: false
    .vgpr_count:     19
    .vgpr_spill_count: 0
    .wavefront_size: 32
    .workgroup_processor_mode: 1
  - .args:
      - .actual_access:  write_only
        .address_space:  global
        .offset:         0
        .size:           8
        .value_kind:     global_buffer
      - .actual_access:  write_only
        .address_space:  global
        .offset:         8
        .size:           8
        .value_kind:     global_buffer
      - .actual_access:  write_only
        .address_space:  global
        .offset:         16
        .size:           8
        .value_kind:     global_buffer
      - .actual_access:  read_only
        .address_space:  global
        .offset:         24
        .size:           8
        .value_kind:     global_buffer
      - .actual_access:  read_only
        .address_space:  global
        .offset:         32
        .size:           8
        .value_kind:     global_buffer
      - .actual_access:  read_only
        .address_space:  global
        .offset:         40
        .size:           8
        .value_kind:     global_buffer
      - .offset:         48
        .size:           4
        .value_kind:     by_value
      - .offset:         52
        .size:           4
        .value_kind:     by_value
      - .actual_access:  read_only
        .address_space:  global
        .offset:         56
        .size:           8
        .value_kind:     global_buffer
      - .actual_access:  read_only
        .address_space:  global
        .offset:         64
        .size:           8
        .value_kind:     global_buffer
      - .offset:         72
        .size:           4
        .value_kind:     by_value
      - .actual_access:  read_only
        .address_space:  global
        .offset:         80
        .size:           8
        .value_kind:     global_buffer
      - .offset:         88
        .size:           4
        .value_kind:     by_value
      - .offset:         92
        .size:           4
        .value_kind:     by_value
      - .offset:         96
        .size:           4
        .value_kind:     by_value
      - .address_space:  global
        .offset:         104
        .size:           8
        .value_kind:     global_buffer
      - .address_space:  global
        .offset:         112
        .size:           8
        .value_kind:     global_buffer
      - .offset:         120
        .size:           4
        .value_kind:     by_value
      - .offset:         124
        .size:           4
        .value_kind:     by_value
      - .offset:         128
        .size:           4
        .value_kind:     by_value
      - .offset:         132
        .size:           4
        .value_kind:     by_value
      - .offset:         136
        .size:           4
        .value_kind:     by_value
      - .offset:         144
        .size:           4
        .value_kind:     hidden_block_count_x
      - .offset:         148
        .size:           4
        .value_kind:     hidden_block_count_y
      - .offset:         152
        .size:           4
        .value_kind:     hidden_block_count_z
      - .offset:         156
        .size:           2
        .value_kind:     hidden_group_size_x
      - .offset:         158
        .size:           2
        .value_kind:     hidden_group_size_y
      - .offset:         160
        .size:           2
        .value_kind:     hidden_group_size_z
      - .offset:         162
        .size:           2
        .value_kind:     hidden_remainder_x
      - .offset:         164
        .size:           2
        .value_kind:     hidden_remainder_y
      - .offset:         166
        .size:           2
        .value_kind:     hidden_remainder_z
      - .offset:         184
        .size:           8
        .value_kind:     hidden_global_offset_x
      - .offset:         192
        .size:           8
        .value_kind:     hidden_global_offset_y
      - .offset:         200
        .size:           8
        .value_kind:     hidden_global_offset_z
      - .offset:         208
        .size:           2
        .value_kind:     hidden_grid_dims
      - .offset:         264
        .size:           4
        .value_kind:     hidden_dynamic_lds_size
    .group_segment_fixed_size: 512
    .kernarg_segment_align: 8
    .kernarg_segment_size: 400
    .language:       OpenCL C
    .language_version:
      - 2
      - 0
    .max_flat_workgroup_size: 1024
    .name:           _ZN4vllm25paged_attention_v2_kernelIffLi120ELi8ELi128ELNS_18Fp8KVCacheDataTypeE0ELb1ELi512EEEvPfS2_PT_PKS3_PKT0_S9_ifPKiSB_iPKfiiiSD_SD_iiiii
    .private_segment_fixed_size: 0
    .sgpr_count:     48
    .sgpr_spill_count: 0
    .symbol:         _ZN4vllm25paged_attention_v2_kernelIffLi120ELi8ELi128ELNS_18Fp8KVCacheDataTypeE0ELb1ELi512EEEvPfS2_PT_PKS3_PKT0_S9_ifPKiSB_iPKfiiiSD_SD_iiiii.kd
    .uniform_work_group_size: 1
    .uses_dynamic_stack: false
    .vgpr_count:     61
    .vgpr_spill_count: 0
    .wavefront_size: 32
    .workgroup_processor_mode: 1
  - .args:
      - .actual_access:  write_only
        .address_space:  global
        .offset:         0
        .size:           8
        .value_kind:     global_buffer
      - .actual_access:  read_only
        .address_space:  global
        .offset:         8
        .size:           8
        .value_kind:     global_buffer
      - .actual_access:  read_only
        .address_space:  global
        .offset:         16
        .size:           8
        .value_kind:     global_buffer
      - .actual_access:  read_only
        .address_space:  global
        .offset:         24
        .size:           8
        .value_kind:     global_buffer
      - .actual_access:  read_only
        .address_space:  global
        .offset:         32
        .size:           8
        .value_kind:     global_buffer
      - .offset:         40
        .size:           4
        .value_kind:     by_value
      - .offset:         48
        .size:           4
        .value_kind:     hidden_block_count_x
      - .offset:         52
        .size:           4
        .value_kind:     hidden_block_count_y
      - .offset:         56
        .size:           4
        .value_kind:     hidden_block_count_z
      - .offset:         60
        .size:           2
        .value_kind:     hidden_group_size_x
      - .offset:         62
        .size:           2
        .value_kind:     hidden_group_size_y
      - .offset:         64
        .size:           2
        .value_kind:     hidden_group_size_z
      - .offset:         66
        .size:           2
        .value_kind:     hidden_remainder_x
      - .offset:         68
        .size:           2
        .value_kind:     hidden_remainder_y
      - .offset:         70
        .size:           2
        .value_kind:     hidden_remainder_z
      - .offset:         88
        .size:           8
        .value_kind:     hidden_global_offset_x
      - .offset:         96
        .size:           8
        .value_kind:     hidden_global_offset_y
      - .offset:         104
        .size:           8
        .value_kind:     hidden_global_offset_z
      - .offset:         112
        .size:           2
        .value_kind:     hidden_grid_dims
      - .offset:         168
        .size:           4
        .value_kind:     hidden_dynamic_lds_size
    .group_segment_fixed_size: 32
    .kernarg_segment_align: 8
    .kernarg_segment_size: 304
    .language:       OpenCL C
    .language_version:
      - 2
      - 0
    .max_flat_workgroup_size: 1024
    .name:           _ZN4vllm32paged_attention_v2_reduce_kernelIfLi120ELi128ELi512EEEvPT_PKfS4_PKS1_PKii
    .private_segment_fixed_size: 0
    .sgpr_count:     31
    .sgpr_spill_count: 0
    .symbol:         _ZN4vllm32paged_attention_v2_reduce_kernelIfLi120ELi128ELi512EEEvPT_PKfS4_PKS1_PKii.kd
    .uniform_work_group_size: 1
    .uses_dynamic_stack: false
    .vgpr_count:     19
    .vgpr_spill_count: 0
    .wavefront_size: 32
    .workgroup_processor_mode: 1
  - .args:
      - .actual_access:  write_only
        .address_space:  global
        .offset:         0
        .size:           8
        .value_kind:     global_buffer
      - .actual_access:  write_only
        .address_space:  global
        .offset:         8
        .size:           8
        .value_kind:     global_buffer
      - .actual_access:  write_only
        .address_space:  global
        .offset:         16
        .size:           8
        .value_kind:     global_buffer
      - .actual_access:  read_only
        .address_space:  global
        .offset:         24
        .size:           8
        .value_kind:     global_buffer
      - .actual_access:  read_only
        .address_space:  global
        .offset:         32
        .size:           8
        .value_kind:     global_buffer
      - .actual_access:  read_only
        .address_space:  global
        .offset:         40
        .size:           8
        .value_kind:     global_buffer
      - .offset:         48
        .size:           4
        .value_kind:     by_value
      - .offset:         52
        .size:           4
        .value_kind:     by_value
      - .actual_access:  read_only
        .address_space:  global
        .offset:         56
        .size:           8
        .value_kind:     global_buffer
      - .actual_access:  read_only
        .address_space:  global
        .offset:         64
        .size:           8
        .value_kind:     global_buffer
      - .offset:         72
        .size:           4
        .value_kind:     by_value
      - .actual_access:  read_only
        .address_space:  global
        .offset:         80
        .size:           8
        .value_kind:     global_buffer
      - .offset:         88
        .size:           4
        .value_kind:     by_value
      - .offset:         92
        .size:           4
        .value_kind:     by_value
      - .offset:         96
        .size:           4
        .value_kind:     by_value
      - .address_space:  global
        .offset:         104
        .size:           8
        .value_kind:     global_buffer
      - .address_space:  global
        .offset:         112
        .size:           8
        .value_kind:     global_buffer
      - .offset:         120
        .size:           4
        .value_kind:     by_value
      - .offset:         124
        .size:           4
        .value_kind:     by_value
      - .offset:         128
        .size:           4
        .value_kind:     by_value
      - .offset:         132
        .size:           4
        .value_kind:     by_value
      - .offset:         136
        .size:           4
        .value_kind:     by_value
      - .offset:         144
        .size:           4
        .value_kind:     hidden_block_count_x
      - .offset:         148
        .size:           4
        .value_kind:     hidden_block_count_y
      - .offset:         152
        .size:           4
        .value_kind:     hidden_block_count_z
      - .offset:         156
        .size:           2
        .value_kind:     hidden_group_size_x
      - .offset:         158
        .size:           2
        .value_kind:     hidden_group_size_y
      - .offset:         160
        .size:           2
        .value_kind:     hidden_group_size_z
      - .offset:         162
        .size:           2
        .value_kind:     hidden_remainder_x
      - .offset:         164
        .size:           2
        .value_kind:     hidden_remainder_y
      - .offset:         166
        .size:           2
        .value_kind:     hidden_remainder_z
      - .offset:         184
        .size:           8
        .value_kind:     hidden_global_offset_x
      - .offset:         192
        .size:           8
        .value_kind:     hidden_global_offset_y
      - .offset:         200
        .size:           8
        .value_kind:     hidden_global_offset_z
      - .offset:         208
        .size:           2
        .value_kind:     hidden_grid_dims
      - .offset:         264
        .size:           4
        .value_kind:     hidden_dynamic_lds_size
    .group_segment_fixed_size: 544
    .kernarg_segment_align: 8
    .kernarg_segment_size: 400
    .language:       OpenCL C
    .language_version:
      - 2
      - 0
    .max_flat_workgroup_size: 1024
    .name:           _ZN4vllm25paged_attention_v2_kernelIffLi128ELi8ELi128ELNS_18Fp8KVCacheDataTypeE0ELb1ELi512EEEvPfS2_PT_PKS3_PKT0_S9_ifPKiSB_iPKfiiiSD_SD_iiiii
    .private_segment_fixed_size: 0
    .sgpr_count:     48
    .sgpr_spill_count: 0
    .symbol:         _ZN4vllm25paged_attention_v2_kernelIffLi128ELi8ELi128ELNS_18Fp8KVCacheDataTypeE0ELb1ELi512EEEvPfS2_PT_PKS3_PKT0_S9_ifPKiSB_iPKfiiiSD_SD_iiiii.kd
    .uniform_work_group_size: 1
    .uses_dynamic_stack: false
    .vgpr_count:     62
    .vgpr_spill_count: 0
    .wavefront_size: 32
    .workgroup_processor_mode: 1
  - .args:
      - .actual_access:  write_only
        .address_space:  global
        .offset:         0
        .size:           8
        .value_kind:     global_buffer
      - .actual_access:  read_only
        .address_space:  global
        .offset:         8
        .size:           8
        .value_kind:     global_buffer
      - .actual_access:  read_only
        .address_space:  global
        .offset:         16
        .size:           8
        .value_kind:     global_buffer
      - .actual_access:  read_only
        .address_space:  global
        .offset:         24
        .size:           8
        .value_kind:     global_buffer
      - .actual_access:  read_only
        .address_space:  global
        .offset:         32
        .size:           8
        .value_kind:     global_buffer
      - .offset:         40
        .size:           4
        .value_kind:     by_value
      - .offset:         48
        .size:           4
        .value_kind:     hidden_block_count_x
      - .offset:         52
        .size:           4
        .value_kind:     hidden_block_count_y
      - .offset:         56
        .size:           4
        .value_kind:     hidden_block_count_z
      - .offset:         60
        .size:           2
        .value_kind:     hidden_group_size_x
      - .offset:         62
        .size:           2
        .value_kind:     hidden_group_size_y
      - .offset:         64
        .size:           2
        .value_kind:     hidden_group_size_z
      - .offset:         66
        .size:           2
        .value_kind:     hidden_remainder_x
      - .offset:         68
        .size:           2
        .value_kind:     hidden_remainder_y
      - .offset:         70
        .size:           2
        .value_kind:     hidden_remainder_z
      - .offset:         88
        .size:           8
        .value_kind:     hidden_global_offset_x
      - .offset:         96
        .size:           8
        .value_kind:     hidden_global_offset_y
      - .offset:         104
        .size:           8
        .value_kind:     hidden_global_offset_z
      - .offset:         112
        .size:           2
        .value_kind:     hidden_grid_dims
      - .offset:         168
        .size:           4
        .value_kind:     hidden_dynamic_lds_size
    .group_segment_fixed_size: 32
    .kernarg_segment_align: 8
    .kernarg_segment_size: 304
    .language:       OpenCL C
    .language_version:
      - 2
      - 0
    .max_flat_workgroup_size: 1024
    .name:           _ZN4vllm32paged_attention_v2_reduce_kernelIfLi128ELi128ELi512EEEvPT_PKfS4_PKS1_PKii
    .private_segment_fixed_size: 0
    .sgpr_count:     31
    .sgpr_spill_count: 0
    .symbol:         _ZN4vllm32paged_attention_v2_reduce_kernelIfLi128ELi128ELi512EEEvPT_PKfS4_PKS1_PKii.kd
    .uniform_work_group_size: 1
    .uses_dynamic_stack: false
    .vgpr_count:     19
    .vgpr_spill_count: 0
    .wavefront_size: 32
    .workgroup_processor_mode: 1
  - .args:
      - .actual_access:  write_only
        .address_space:  global
        .offset:         0
        .size:           8
        .value_kind:     global_buffer
      - .actual_access:  write_only
        .address_space:  global
        .offset:         8
        .size:           8
        .value_kind:     global_buffer
      - .actual_access:  write_only
        .address_space:  global
        .offset:         16
        .size:           8
        .value_kind:     global_buffer
      - .actual_access:  read_only
        .address_space:  global
        .offset:         24
        .size:           8
        .value_kind:     global_buffer
      - .actual_access:  read_only
        .address_space:  global
        .offset:         32
        .size:           8
        .value_kind:     global_buffer
      - .actual_access:  read_only
        .address_space:  global
        .offset:         40
        .size:           8
        .value_kind:     global_buffer
      - .offset:         48
        .size:           4
        .value_kind:     by_value
      - .offset:         52
        .size:           4
        .value_kind:     by_value
      - .actual_access:  read_only
        .address_space:  global
        .offset:         56
        .size:           8
        .value_kind:     global_buffer
      - .actual_access:  read_only
        .address_space:  global
        .offset:         64
        .size:           8
        .value_kind:     global_buffer
      - .offset:         72
        .size:           4
        .value_kind:     by_value
      - .actual_access:  read_only
        .address_space:  global
        .offset:         80
        .size:           8
        .value_kind:     global_buffer
      - .offset:         88
        .size:           4
        .value_kind:     by_value
      - .offset:         92
        .size:           4
        .value_kind:     by_value
      - .offset:         96
        .size:           4
        .value_kind:     by_value
      - .address_space:  global
        .offset:         104
        .size:           8
        .value_kind:     global_buffer
      - .address_space:  global
        .offset:         112
        .size:           8
        .value_kind:     global_buffer
      - .offset:         120
        .size:           4
        .value_kind:     by_value
      - .offset:         124
        .size:           4
        .value_kind:     by_value
      - .offset:         128
        .size:           4
        .value_kind:     by_value
      - .offset:         132
        .size:           4
        .value_kind:     by_value
      - .offset:         136
        .size:           4
        .value_kind:     by_value
      - .offset:         144
        .size:           4
        .value_kind:     hidden_block_count_x
      - .offset:         148
        .size:           4
        .value_kind:     hidden_block_count_y
      - .offset:         152
        .size:           4
        .value_kind:     hidden_block_count_z
      - .offset:         156
        .size:           2
        .value_kind:     hidden_group_size_x
      - .offset:         158
        .size:           2
        .value_kind:     hidden_group_size_y
      - .offset:         160
        .size:           2
        .value_kind:     hidden_group_size_z
      - .offset:         162
        .size:           2
        .value_kind:     hidden_remainder_x
      - .offset:         164
        .size:           2
        .value_kind:     hidden_remainder_y
      - .offset:         166
        .size:           2
        .value_kind:     hidden_remainder_z
      - .offset:         184
        .size:           8
        .value_kind:     hidden_global_offset_x
      - .offset:         192
        .size:           8
        .value_kind:     hidden_global_offset_y
      - .offset:         200
        .size:           8
        .value_kind:     hidden_global_offset_z
      - .offset:         208
        .size:           2
        .value_kind:     hidden_grid_dims
      - .offset:         264
        .size:           4
        .value_kind:     hidden_dynamic_lds_size
    .group_segment_fixed_size: 800
    .kernarg_segment_align: 8
    .kernarg_segment_size: 400
    .language:       OpenCL C
    .language_version:
      - 2
      - 0
    .max_flat_workgroup_size: 1024
    .name:           _ZN4vllm25paged_attention_v2_kernelIffLi192ELi8ELi128ELNS_18Fp8KVCacheDataTypeE0ELb1ELi512EEEvPfS2_PT_PKS3_PKT0_S9_ifPKiSB_iPKfiiiSD_SD_iiiii
    .private_segment_fixed_size: 0
    .sgpr_count:     48
    .sgpr_spill_count: 0
    .symbol:         _ZN4vllm25paged_attention_v2_kernelIffLi192ELi8ELi128ELNS_18Fp8KVCacheDataTypeE0ELb1ELi512EEEvPfS2_PT_PKS3_PKT0_S9_ifPKiSB_iPKfiiiSD_SD_iiiii.kd
    .uniform_work_group_size: 1
    .uses_dynamic_stack: false
    .vgpr_count:     85
    .vgpr_spill_count: 0
    .wavefront_size: 32
    .workgroup_processor_mode: 1
  - .args:
      - .actual_access:  write_only
        .address_space:  global
        .offset:         0
        .size:           8
        .value_kind:     global_buffer
      - .actual_access:  read_only
        .address_space:  global
        .offset:         8
        .size:           8
        .value_kind:     global_buffer
      - .actual_access:  read_only
        .address_space:  global
        .offset:         16
        .size:           8
        .value_kind:     global_buffer
      - .actual_access:  read_only
        .address_space:  global
        .offset:         24
        .size:           8
        .value_kind:     global_buffer
      - .actual_access:  read_only
        .address_space:  global
        .offset:         32
        .size:           8
        .value_kind:     global_buffer
      - .offset:         40
        .size:           4
        .value_kind:     by_value
      - .offset:         48
        .size:           4
        .value_kind:     hidden_block_count_x
      - .offset:         52
        .size:           4
        .value_kind:     hidden_block_count_y
      - .offset:         56
        .size:           4
        .value_kind:     hidden_block_count_z
      - .offset:         60
        .size:           2
        .value_kind:     hidden_group_size_x
      - .offset:         62
        .size:           2
        .value_kind:     hidden_group_size_y
      - .offset:         64
        .size:           2
        .value_kind:     hidden_group_size_z
      - .offset:         66
        .size:           2
        .value_kind:     hidden_remainder_x
      - .offset:         68
        .size:           2
        .value_kind:     hidden_remainder_y
      - .offset:         70
        .size:           2
        .value_kind:     hidden_remainder_z
      - .offset:         88
        .size:           8
        .value_kind:     hidden_global_offset_x
      - .offset:         96
        .size:           8
        .value_kind:     hidden_global_offset_y
      - .offset:         104
        .size:           8
        .value_kind:     hidden_global_offset_z
      - .offset:         112
        .size:           2
        .value_kind:     hidden_grid_dims
      - .offset:         168
        .size:           4
        .value_kind:     hidden_dynamic_lds_size
    .group_segment_fixed_size: 32
    .kernarg_segment_align: 8
    .kernarg_segment_size: 304
    .language:       OpenCL C
    .language_version:
      - 2
      - 0
    .max_flat_workgroup_size: 1024
    .name:           _ZN4vllm32paged_attention_v2_reduce_kernelIfLi192ELi128ELi512EEEvPT_PKfS4_PKS1_PKii
    .private_segment_fixed_size: 0
    .sgpr_count:     31
    .sgpr_spill_count: 0
    .symbol:         _ZN4vllm32paged_attention_v2_reduce_kernelIfLi192ELi128ELi512EEEvPT_PKfS4_PKS1_PKii.kd
    .uniform_work_group_size: 1
    .uses_dynamic_stack: false
    .vgpr_count:     19
    .vgpr_spill_count: 0
    .wavefront_size: 32
    .workgroup_processor_mode: 1
  - .args:
      - .actual_access:  write_only
        .address_space:  global
        .offset:         0
        .size:           8
        .value_kind:     global_buffer
      - .actual_access:  write_only
        .address_space:  global
        .offset:         8
        .size:           8
        .value_kind:     global_buffer
      - .actual_access:  write_only
        .address_space:  global
        .offset:         16
        .size:           8
        .value_kind:     global_buffer
      - .actual_access:  read_only
        .address_space:  global
        .offset:         24
        .size:           8
        .value_kind:     global_buffer
      - .actual_access:  read_only
        .address_space:  global
        .offset:         32
        .size:           8
        .value_kind:     global_buffer
      - .actual_access:  read_only
        .address_space:  global
        .offset:         40
        .size:           8
        .value_kind:     global_buffer
      - .offset:         48
        .size:           4
        .value_kind:     by_value
      - .offset:         52
        .size:           4
        .value_kind:     by_value
      - .actual_access:  read_only
        .address_space:  global
        .offset:         56
        .size:           8
        .value_kind:     global_buffer
      - .actual_access:  read_only
        .address_space:  global
        .offset:         64
        .size:           8
        .value_kind:     global_buffer
      - .offset:         72
        .size:           4
        .value_kind:     by_value
      - .actual_access:  read_only
        .address_space:  global
        .offset:         80
        .size:           8
        .value_kind:     global_buffer
      - .offset:         88
        .size:           4
        .value_kind:     by_value
      - .offset:         92
        .size:           4
        .value_kind:     by_value
      - .offset:         96
        .size:           4
        .value_kind:     by_value
      - .address_space:  global
        .offset:         104
        .size:           8
        .value_kind:     global_buffer
      - .address_space:  global
        .offset:         112
        .size:           8
        .value_kind:     global_buffer
      - .offset:         120
        .size:           4
        .value_kind:     by_value
      - .offset:         124
        .size:           4
        .value_kind:     by_value
      - .offset:         128
        .size:           4
        .value_kind:     by_value
      - .offset:         132
        .size:           4
        .value_kind:     by_value
      - .offset:         136
        .size:           4
        .value_kind:     by_value
      - .offset:         144
        .size:           4
        .value_kind:     hidden_block_count_x
      - .offset:         148
        .size:           4
        .value_kind:     hidden_block_count_y
      - .offset:         152
        .size:           4
        .value_kind:     hidden_block_count_z
      - .offset:         156
        .size:           2
        .value_kind:     hidden_group_size_x
      - .offset:         158
        .size:           2
        .value_kind:     hidden_group_size_y
      - .offset:         160
        .size:           2
        .value_kind:     hidden_group_size_z
      - .offset:         162
        .size:           2
        .value_kind:     hidden_remainder_x
      - .offset:         164
        .size:           2
        .value_kind:     hidden_remainder_y
      - .offset:         166
        .size:           2
        .value_kind:     hidden_remainder_z
      - .offset:         184
        .size:           8
        .value_kind:     hidden_global_offset_x
      - .offset:         192
        .size:           8
        .value_kind:     hidden_global_offset_y
      - .offset:         200
        .size:           8
        .value_kind:     hidden_global_offset_z
      - .offset:         208
        .size:           2
        .value_kind:     hidden_grid_dims
      - .offset:         264
        .size:           4
        .value_kind:     hidden_dynamic_lds_size
    .group_segment_fixed_size: 1056
    .kernarg_segment_align: 8
    .kernarg_segment_size: 400
    .language:       OpenCL C
    .language_version:
      - 2
      - 0
    .max_flat_workgroup_size: 1024
    .name:           _ZN4vllm25paged_attention_v2_kernelIffLi256ELi8ELi128ELNS_18Fp8KVCacheDataTypeE0ELb1ELi512EEEvPfS2_PT_PKS3_PKT0_S9_ifPKiSB_iPKfiiiSD_SD_iiiii
    .private_segment_fixed_size: 0
    .sgpr_count:     48
    .sgpr_spill_count: 0
    .symbol:         _ZN4vllm25paged_attention_v2_kernelIffLi256ELi8ELi128ELNS_18Fp8KVCacheDataTypeE0ELb1ELi512EEEvPfS2_PT_PKS3_PKT0_S9_ifPKiSB_iPKfiiiSD_SD_iiiii.kd
    .uniform_work_group_size: 1
    .uses_dynamic_stack: false
    .vgpr_count:     109
    .vgpr_spill_count: 0
    .wavefront_size: 32
    .workgroup_processor_mode: 1
  - .args:
      - .actual_access:  write_only
        .address_space:  global
        .offset:         0
        .size:           8
        .value_kind:     global_buffer
      - .actual_access:  read_only
        .address_space:  global
        .offset:         8
        .size:           8
        .value_kind:     global_buffer
      - .actual_access:  read_only
        .address_space:  global
        .offset:         16
        .size:           8
        .value_kind:     global_buffer
      - .actual_access:  read_only
        .address_space:  global
        .offset:         24
        .size:           8
        .value_kind:     global_buffer
      - .actual_access:  read_only
        .address_space:  global
        .offset:         32
        .size:           8
        .value_kind:     global_buffer
      - .offset:         40
        .size:           4
        .value_kind:     by_value
      - .offset:         48
        .size:           4
        .value_kind:     hidden_block_count_x
      - .offset:         52
        .size:           4
        .value_kind:     hidden_block_count_y
      - .offset:         56
        .size:           4
        .value_kind:     hidden_block_count_z
      - .offset:         60
        .size:           2
        .value_kind:     hidden_group_size_x
      - .offset:         62
        .size:           2
        .value_kind:     hidden_group_size_y
      - .offset:         64
        .size:           2
        .value_kind:     hidden_group_size_z
      - .offset:         66
        .size:           2
        .value_kind:     hidden_remainder_x
      - .offset:         68
        .size:           2
        .value_kind:     hidden_remainder_y
      - .offset:         70
        .size:           2
        .value_kind:     hidden_remainder_z
      - .offset:         88
        .size:           8
        .value_kind:     hidden_global_offset_x
      - .offset:         96
        .size:           8
        .value_kind:     hidden_global_offset_y
      - .offset:         104
        .size:           8
        .value_kind:     hidden_global_offset_z
      - .offset:         112
        .size:           2
        .value_kind:     hidden_grid_dims
      - .offset:         168
        .size:           4
        .value_kind:     hidden_dynamic_lds_size
    .group_segment_fixed_size: 32
    .kernarg_segment_align: 8
    .kernarg_segment_size: 304
    .language:       OpenCL C
    .language_version:
      - 2
      - 0
    .max_flat_workgroup_size: 1024
    .name:           _ZN4vllm32paged_attention_v2_reduce_kernelIfLi256ELi128ELi512EEEvPT_PKfS4_PKS1_PKii
    .private_segment_fixed_size: 0
    .sgpr_count:     31
    .sgpr_spill_count: 0
    .symbol:         _ZN4vllm32paged_attention_v2_reduce_kernelIfLi256ELi128ELi512EEEvPT_PKfS4_PKS1_PKii.kd
    .uniform_work_group_size: 1
    .uses_dynamic_stack: false
    .vgpr_count:     19
    .vgpr_spill_count: 0
    .wavefront_size: 32
    .workgroup_processor_mode: 1
  - .args:
      - .actual_access:  write_only
        .address_space:  global
        .offset:         0
        .size:           8
        .value_kind:     global_buffer
      - .actual_access:  write_only
        .address_space:  global
        .offset:         8
        .size:           8
        .value_kind:     global_buffer
      - .actual_access:  write_only
        .address_space:  global
        .offset:         16
        .size:           8
        .value_kind:     global_buffer
      - .actual_access:  read_only
        .address_space:  global
        .offset:         24
        .size:           8
        .value_kind:     global_buffer
      - .actual_access:  read_only
        .address_space:  global
        .offset:         32
        .size:           8
        .value_kind:     global_buffer
      - .actual_access:  read_only
        .address_space:  global
        .offset:         40
        .size:           8
        .value_kind:     global_buffer
      - .offset:         48
        .size:           4
        .value_kind:     by_value
      - .offset:         52
        .size:           4
        .value_kind:     by_value
      - .actual_access:  read_only
        .address_space:  global
        .offset:         56
        .size:           8
        .value_kind:     global_buffer
      - .actual_access:  read_only
        .address_space:  global
        .offset:         64
        .size:           8
        .value_kind:     global_buffer
      - .offset:         72
        .size:           4
        .value_kind:     by_value
      - .actual_access:  read_only
        .address_space:  global
        .offset:         80
        .size:           8
        .value_kind:     global_buffer
      - .offset:         88
        .size:           4
        .value_kind:     by_value
      - .offset:         92
        .size:           4
        .value_kind:     by_value
      - .offset:         96
        .size:           4
        .value_kind:     by_value
      - .address_space:  global
        .offset:         104
        .size:           8
        .value_kind:     global_buffer
      - .address_space:  global
        .offset:         112
        .size:           8
        .value_kind:     global_buffer
      - .offset:         120
        .size:           4
        .value_kind:     by_value
      - .offset:         124
        .size:           4
        .value_kind:     by_value
      - .offset:         128
        .size:           4
        .value_kind:     by_value
      - .offset:         132
        .size:           4
        .value_kind:     by_value
      - .offset:         136
        .size:           4
        .value_kind:     by_value
      - .offset:         144
        .size:           4
        .value_kind:     hidden_block_count_x
      - .offset:         148
        .size:           4
        .value_kind:     hidden_block_count_y
      - .offset:         152
        .size:           4
        .value_kind:     hidden_block_count_z
      - .offset:         156
        .size:           2
        .value_kind:     hidden_group_size_x
      - .offset:         158
        .size:           2
        .value_kind:     hidden_group_size_y
      - .offset:         160
        .size:           2
        .value_kind:     hidden_group_size_z
      - .offset:         162
        .size:           2
        .value_kind:     hidden_remainder_x
      - .offset:         164
        .size:           2
        .value_kind:     hidden_remainder_y
      - .offset:         166
        .size:           2
        .value_kind:     hidden_remainder_z
      - .offset:         184
        .size:           8
        .value_kind:     hidden_global_offset_x
      - .offset:         192
        .size:           8
        .value_kind:     hidden_global_offset_y
      - .offset:         200
        .size:           8
        .value_kind:     hidden_global_offset_z
      - .offset:         208
        .size:           2
        .value_kind:     hidden_grid_dims
      - .offset:         264
        .size:           4
        .value_kind:     hidden_dynamic_lds_size
    .group_segment_fixed_size: 160
    .kernarg_segment_align: 8
    .kernarg_segment_size: 400
    .language:       OpenCL C
    .language_version:
      - 2
      - 0
    .max_flat_workgroup_size: 1024
    .name:           _ZN4vllm25paged_attention_v2_kernelIffLi32ELi8ELi128ELNS_18Fp8KVCacheDataTypeE0ELb0ELi512EEEvPfS2_PT_PKS3_PKT0_S9_ifPKiSB_iPKfiiiSD_SD_iiiii
    .private_segment_fixed_size: 0
    .sgpr_count:     42
    .sgpr_spill_count: 0
    .symbol:         _ZN4vllm25paged_attention_v2_kernelIffLi32ELi8ELi128ELNS_18Fp8KVCacheDataTypeE0ELb0ELi512EEEvPfS2_PT_PKS3_PKT0_S9_ifPKiSB_iPKfiiiSD_SD_iiiii.kd
    .uniform_work_group_size: 1
    .uses_dynamic_stack: false
    .vgpr_count:     34
    .vgpr_spill_count: 0
    .wavefront_size: 32
    .workgroup_processor_mode: 1
  - .args:
      - .actual_access:  write_only
        .address_space:  global
        .offset:         0
        .size:           8
        .value_kind:     global_buffer
      - .actual_access:  write_only
        .address_space:  global
        .offset:         8
        .size:           8
        .value_kind:     global_buffer
      - .actual_access:  write_only
        .address_space:  global
        .offset:         16
        .size:           8
        .value_kind:     global_buffer
      - .actual_access:  read_only
        .address_space:  global
        .offset:         24
        .size:           8
        .value_kind:     global_buffer
      - .actual_access:  read_only
        .address_space:  global
        .offset:         32
        .size:           8
        .value_kind:     global_buffer
      - .actual_access:  read_only
        .address_space:  global
        .offset:         40
        .size:           8
        .value_kind:     global_buffer
      - .offset:         48
        .size:           4
        .value_kind:     by_value
      - .offset:         52
        .size:           4
        .value_kind:     by_value
      - .actual_access:  read_only
        .address_space:  global
        .offset:         56
        .size:           8
        .value_kind:     global_buffer
      - .actual_access:  read_only
        .address_space:  global
        .offset:         64
        .size:           8
        .value_kind:     global_buffer
      - .offset:         72
        .size:           4
        .value_kind:     by_value
      - .actual_access:  read_only
        .address_space:  global
        .offset:         80
        .size:           8
        .value_kind:     global_buffer
      - .offset:         88
        .size:           4
        .value_kind:     by_value
      - .offset:         92
        .size:           4
        .value_kind:     by_value
      - .offset:         96
        .size:           4
        .value_kind:     by_value
      - .address_space:  global
        .offset:         104
        .size:           8
        .value_kind:     global_buffer
      - .address_space:  global
        .offset:         112
        .size:           8
        .value_kind:     global_buffer
      - .offset:         120
        .size:           4
        .value_kind:     by_value
      - .offset:         124
        .size:           4
        .value_kind:     by_value
      - .offset:         128
        .size:           4
        .value_kind:     by_value
      - .offset:         132
        .size:           4
        .value_kind:     by_value
      - .offset:         136
        .size:           4
        .value_kind:     by_value
      - .offset:         144
        .size:           4
        .value_kind:     hidden_block_count_x
      - .offset:         148
        .size:           4
        .value_kind:     hidden_block_count_y
      - .offset:         152
        .size:           4
        .value_kind:     hidden_block_count_z
      - .offset:         156
        .size:           2
        .value_kind:     hidden_group_size_x
      - .offset:         158
        .size:           2
        .value_kind:     hidden_group_size_y
      - .offset:         160
        .size:           2
        .value_kind:     hidden_group_size_z
      - .offset:         162
        .size:           2
        .value_kind:     hidden_remainder_x
      - .offset:         164
        .size:           2
        .value_kind:     hidden_remainder_y
      - .offset:         166
        .size:           2
        .value_kind:     hidden_remainder_z
      - .offset:         184
        .size:           8
        .value_kind:     hidden_global_offset_x
      - .offset:         192
        .size:           8
        .value_kind:     hidden_global_offset_y
      - .offset:         200
        .size:           8
        .value_kind:     hidden_global_offset_z
      - .offset:         208
        .size:           2
        .value_kind:     hidden_grid_dims
      - .offset:         264
        .size:           4
        .value_kind:     hidden_dynamic_lds_size
    .group_segment_fixed_size: 288
    .kernarg_segment_align: 8
    .kernarg_segment_size: 400
    .language:       OpenCL C
    .language_version:
      - 2
      - 0
    .max_flat_workgroup_size: 1024
    .name:           _ZN4vllm25paged_attention_v2_kernelIffLi64ELi8ELi128ELNS_18Fp8KVCacheDataTypeE0ELb0ELi512EEEvPfS2_PT_PKS3_PKT0_S9_ifPKiSB_iPKfiiiSD_SD_iiiii
    .private_segment_fixed_size: 0
    .sgpr_count:     42
    .sgpr_spill_count: 0
    .symbol:         _ZN4vllm25paged_attention_v2_kernelIffLi64ELi8ELi128ELNS_18Fp8KVCacheDataTypeE0ELb0ELi512EEEvPfS2_PT_PKS3_PKT0_S9_ifPKiSB_iPKfiiiSD_SD_iiiii.kd
    .uniform_work_group_size: 1
    .uses_dynamic_stack: false
    .vgpr_count:     50
    .vgpr_spill_count: 0
    .wavefront_size: 32
    .workgroup_processor_mode: 1
  - .args:
      - .actual_access:  write_only
        .address_space:  global
        .offset:         0
        .size:           8
        .value_kind:     global_buffer
      - .actual_access:  write_only
        .address_space:  global
        .offset:         8
        .size:           8
        .value_kind:     global_buffer
      - .actual_access:  write_only
        .address_space:  global
        .offset:         16
        .size:           8
        .value_kind:     global_buffer
      - .actual_access:  read_only
        .address_space:  global
        .offset:         24
        .size:           8
        .value_kind:     global_buffer
      - .actual_access:  read_only
        .address_space:  global
        .offset:         32
        .size:           8
        .value_kind:     global_buffer
      - .actual_access:  read_only
        .address_space:  global
        .offset:         40
        .size:           8
        .value_kind:     global_buffer
      - .offset:         48
        .size:           4
        .value_kind:     by_value
      - .offset:         52
        .size:           4
        .value_kind:     by_value
      - .actual_access:  read_only
        .address_space:  global
        .offset:         56
        .size:           8
        .value_kind:     global_buffer
      - .actual_access:  read_only
        .address_space:  global
        .offset:         64
        .size:           8
        .value_kind:     global_buffer
      - .offset:         72
        .size:           4
        .value_kind:     by_value
      - .actual_access:  read_only
        .address_space:  global
        .offset:         80
        .size:           8
        .value_kind:     global_buffer
      - .offset:         88
        .size:           4
        .value_kind:     by_value
      - .offset:         92
        .size:           4
        .value_kind:     by_value
      - .offset:         96
        .size:           4
        .value_kind:     by_value
      - .address_space:  global
        .offset:         104
        .size:           8
        .value_kind:     global_buffer
      - .address_space:  global
        .offset:         112
        .size:           8
        .value_kind:     global_buffer
      - .offset:         120
        .size:           4
        .value_kind:     by_value
      - .offset:         124
        .size:           4
        .value_kind:     by_value
      - .offset:         128
        .size:           4
        .value_kind:     by_value
      - .offset:         132
        .size:           4
        .value_kind:     by_value
      - .offset:         136
        .size:           4
        .value_kind:     by_value
      - .offset:         144
        .size:           4
        .value_kind:     hidden_block_count_x
      - .offset:         148
        .size:           4
        .value_kind:     hidden_block_count_y
      - .offset:         152
        .size:           4
        .value_kind:     hidden_block_count_z
      - .offset:         156
        .size:           2
        .value_kind:     hidden_group_size_x
      - .offset:         158
        .size:           2
        .value_kind:     hidden_group_size_y
      - .offset:         160
        .size:           2
        .value_kind:     hidden_group_size_z
      - .offset:         162
        .size:           2
        .value_kind:     hidden_remainder_x
      - .offset:         164
        .size:           2
        .value_kind:     hidden_remainder_y
      - .offset:         166
        .size:           2
        .value_kind:     hidden_remainder_z
      - .offset:         184
        .size:           8
        .value_kind:     hidden_global_offset_x
      - .offset:         192
        .size:           8
        .value_kind:     hidden_global_offset_y
      - .offset:         200
        .size:           8
        .value_kind:     hidden_global_offset_z
      - .offset:         208
        .size:           2
        .value_kind:     hidden_grid_dims
      - .offset:         264
        .size:           4
        .value_kind:     hidden_dynamic_lds_size
    .group_segment_fixed_size: 352
    .kernarg_segment_align: 8
    .kernarg_segment_size: 400
    .language:       OpenCL C
    .language_version:
      - 2
      - 0
    .max_flat_workgroup_size: 1024
    .name:           _ZN4vllm25paged_attention_v2_kernelIffLi80ELi8ELi128ELNS_18Fp8KVCacheDataTypeE0ELb0ELi512EEEvPfS2_PT_PKS3_PKT0_S9_ifPKiSB_iPKfiiiSD_SD_iiiii
    .private_segment_fixed_size: 0
    .sgpr_count:     40
    .sgpr_spill_count: 0
    .symbol:         _ZN4vllm25paged_attention_v2_kernelIffLi80ELi8ELi128ELNS_18Fp8KVCacheDataTypeE0ELb0ELi512EEEvPfS2_PT_PKS3_PKT0_S9_ifPKiSB_iPKfiiiSD_SD_iiiii.kd
    .uniform_work_group_size: 1
    .uses_dynamic_stack: false
    .vgpr_count:     58
    .vgpr_spill_count: 0
    .wavefront_size: 32
    .workgroup_processor_mode: 1
  - .args:
      - .actual_access:  write_only
        .address_space:  global
        .offset:         0
        .size:           8
        .value_kind:     global_buffer
      - .actual_access:  write_only
        .address_space:  global
        .offset:         8
        .size:           8
        .value_kind:     global_buffer
      - .actual_access:  write_only
        .address_space:  global
        .offset:         16
        .size:           8
        .value_kind:     global_buffer
      - .actual_access:  read_only
        .address_space:  global
        .offset:         24
        .size:           8
        .value_kind:     global_buffer
      - .actual_access:  read_only
        .address_space:  global
        .offset:         32
        .size:           8
        .value_kind:     global_buffer
      - .actual_access:  read_only
        .address_space:  global
        .offset:         40
        .size:           8
        .value_kind:     global_buffer
      - .offset:         48
        .size:           4
        .value_kind:     by_value
      - .offset:         52
        .size:           4
        .value_kind:     by_value
      - .actual_access:  read_only
        .address_space:  global
        .offset:         56
        .size:           8
        .value_kind:     global_buffer
      - .actual_access:  read_only
        .address_space:  global
        .offset:         64
        .size:           8
        .value_kind:     global_buffer
      - .offset:         72
        .size:           4
        .value_kind:     by_value
      - .actual_access:  read_only
        .address_space:  global
        .offset:         80
        .size:           8
        .value_kind:     global_buffer
      - .offset:         88
        .size:           4
        .value_kind:     by_value
      - .offset:         92
        .size:           4
        .value_kind:     by_value
      - .offset:         96
        .size:           4
        .value_kind:     by_value
      - .address_space:  global
        .offset:         104
        .size:           8
        .value_kind:     global_buffer
      - .address_space:  global
        .offset:         112
        .size:           8
        .value_kind:     global_buffer
      - .offset:         120
        .size:           4
        .value_kind:     by_value
      - .offset:         124
        .size:           4
        .value_kind:     by_value
      - .offset:         128
        .size:           4
        .value_kind:     by_value
      - .offset:         132
        .size:           4
        .value_kind:     by_value
      - .offset:         136
        .size:           4
        .value_kind:     by_value
      - .offset:         144
        .size:           4
        .value_kind:     hidden_block_count_x
      - .offset:         148
        .size:           4
        .value_kind:     hidden_block_count_y
      - .offset:         152
        .size:           4
        .value_kind:     hidden_block_count_z
      - .offset:         156
        .size:           2
        .value_kind:     hidden_group_size_x
      - .offset:         158
        .size:           2
        .value_kind:     hidden_group_size_y
      - .offset:         160
        .size:           2
        .value_kind:     hidden_group_size_z
      - .offset:         162
        .size:           2
        .value_kind:     hidden_remainder_x
      - .offset:         164
        .size:           2
        .value_kind:     hidden_remainder_y
      - .offset:         166
        .size:           2
        .value_kind:     hidden_remainder_z
      - .offset:         184
        .size:           8
        .value_kind:     hidden_global_offset_x
      - .offset:         192
        .size:           8
        .value_kind:     hidden_global_offset_y
      - .offset:         200
        .size:           8
        .value_kind:     hidden_global_offset_z
      - .offset:         208
        .size:           2
        .value_kind:     hidden_grid_dims
      - .offset:         264
        .size:           4
        .value_kind:     hidden_dynamic_lds_size
    .group_segment_fixed_size: 416
    .kernarg_segment_align: 8
    .kernarg_segment_size: 400
    .language:       OpenCL C
    .language_version:
      - 2
      - 0
    .max_flat_workgroup_size: 1024
    .name:           _ZN4vllm25paged_attention_v2_kernelIffLi96ELi8ELi128ELNS_18Fp8KVCacheDataTypeE0ELb0ELi512EEEvPfS2_PT_PKS3_PKT0_S9_ifPKiSB_iPKfiiiSD_SD_iiiii
    .private_segment_fixed_size: 0
    .sgpr_count:     40
    .sgpr_spill_count: 0
    .symbol:         _ZN4vllm25paged_attention_v2_kernelIffLi96ELi8ELi128ELNS_18Fp8KVCacheDataTypeE0ELb0ELi512EEEvPfS2_PT_PKS3_PKT0_S9_ifPKiSB_iPKfiiiSD_SD_iiiii.kd
    .uniform_work_group_size: 1
    .uses_dynamic_stack: false
    .vgpr_count:     66
    .vgpr_spill_count: 0
    .wavefront_size: 32
    .workgroup_processor_mode: 1
  - .args:
      - .actual_access:  write_only
        .address_space:  global
        .offset:         0
        .size:           8
        .value_kind:     global_buffer
      - .actual_access:  write_only
        .address_space:  global
        .offset:         8
        .size:           8
        .value_kind:     global_buffer
      - .actual_access:  write_only
        .address_space:  global
        .offset:         16
        .size:           8
        .value_kind:     global_buffer
      - .actual_access:  read_only
        .address_space:  global
        .offset:         24
        .size:           8
        .value_kind:     global_buffer
      - .actual_access:  read_only
        .address_space:  global
        .offset:         32
        .size:           8
        .value_kind:     global_buffer
      - .actual_access:  read_only
        .address_space:  global
        .offset:         40
        .size:           8
        .value_kind:     global_buffer
      - .offset:         48
        .size:           4
        .value_kind:     by_value
      - .offset:         52
        .size:           4
        .value_kind:     by_value
      - .actual_access:  read_only
        .address_space:  global
        .offset:         56
        .size:           8
        .value_kind:     global_buffer
      - .actual_access:  read_only
        .address_space:  global
        .offset:         64
        .size:           8
        .value_kind:     global_buffer
      - .offset:         72
        .size:           4
        .value_kind:     by_value
      - .actual_access:  read_only
        .address_space:  global
        .offset:         80
        .size:           8
        .value_kind:     global_buffer
      - .offset:         88
        .size:           4
        .value_kind:     by_value
      - .offset:         92
        .size:           4
        .value_kind:     by_value
      - .offset:         96
        .size:           4
        .value_kind:     by_value
      - .address_space:  global
        .offset:         104
        .size:           8
        .value_kind:     global_buffer
      - .address_space:  global
        .offset:         112
        .size:           8
        .value_kind:     global_buffer
      - .offset:         120
        .size:           4
        .value_kind:     by_value
      - .offset:         124
        .size:           4
        .value_kind:     by_value
      - .offset:         128
        .size:           4
        .value_kind:     by_value
      - .offset:         132
        .size:           4
        .value_kind:     by_value
      - .offset:         136
        .size:           4
        .value_kind:     by_value
      - .offset:         144
        .size:           4
        .value_kind:     hidden_block_count_x
      - .offset:         148
        .size:           4
        .value_kind:     hidden_block_count_y
      - .offset:         152
        .size:           4
        .value_kind:     hidden_block_count_z
      - .offset:         156
        .size:           2
        .value_kind:     hidden_group_size_x
      - .offset:         158
        .size:           2
        .value_kind:     hidden_group_size_y
      - .offset:         160
        .size:           2
        .value_kind:     hidden_group_size_z
      - .offset:         162
        .size:           2
        .value_kind:     hidden_remainder_x
      - .offset:         164
        .size:           2
        .value_kind:     hidden_remainder_y
      - .offset:         166
        .size:           2
        .value_kind:     hidden_remainder_z
      - .offset:         184
        .size:           8
        .value_kind:     hidden_global_offset_x
      - .offset:         192
        .size:           8
        .value_kind:     hidden_global_offset_y
      - .offset:         200
        .size:           8
        .value_kind:     hidden_global_offset_z
      - .offset:         208
        .size:           2
        .value_kind:     hidden_grid_dims
      - .offset:         264
        .size:           4
        .value_kind:     hidden_dynamic_lds_size
    .group_segment_fixed_size: 480
    .kernarg_segment_align: 8
    .kernarg_segment_size: 400
    .language:       OpenCL C
    .language_version:
      - 2
      - 0
    .max_flat_workgroup_size: 1024
    .name:           _ZN4vllm25paged_attention_v2_kernelIffLi112ELi8ELi128ELNS_18Fp8KVCacheDataTypeE0ELb0ELi512EEEvPfS2_PT_PKS3_PKT0_S9_ifPKiSB_iPKfiiiSD_SD_iiiii
    .private_segment_fixed_size: 0
    .sgpr_count:     40
    .sgpr_spill_count: 0
    .symbol:         _ZN4vllm25paged_attention_v2_kernelIffLi112ELi8ELi128ELNS_18Fp8KVCacheDataTypeE0ELb0ELi512EEEvPfS2_PT_PKS3_PKT0_S9_ifPKiSB_iPKfiiiSD_SD_iiiii.kd
    .uniform_work_group_size: 1
    .uses_dynamic_stack: false
    .vgpr_count:     74
    .vgpr_spill_count: 0
    .wavefront_size: 32
    .workgroup_processor_mode: 1
  - .args:
      - .actual_access:  write_only
        .address_space:  global
        .offset:         0
        .size:           8
        .value_kind:     global_buffer
      - .actual_access:  write_only
        .address_space:  global
        .offset:         8
        .size:           8
        .value_kind:     global_buffer
      - .actual_access:  write_only
        .address_space:  global
        .offset:         16
        .size:           8
        .value_kind:     global_buffer
      - .actual_access:  read_only
        .address_space:  global
        .offset:         24
        .size:           8
        .value_kind:     global_buffer
      - .actual_access:  read_only
        .address_space:  global
        .offset:         32
        .size:           8
        .value_kind:     global_buffer
      - .actual_access:  read_only
        .address_space:  global
        .offset:         40
        .size:           8
        .value_kind:     global_buffer
      - .offset:         48
        .size:           4
        .value_kind:     by_value
      - .offset:         52
        .size:           4
        .value_kind:     by_value
      - .actual_access:  read_only
        .address_space:  global
        .offset:         56
        .size:           8
        .value_kind:     global_buffer
      - .actual_access:  read_only
        .address_space:  global
        .offset:         64
        .size:           8
        .value_kind:     global_buffer
      - .offset:         72
        .size:           4
        .value_kind:     by_value
      - .actual_access:  read_only
        .address_space:  global
        .offset:         80
        .size:           8
        .value_kind:     global_buffer
      - .offset:         88
        .size:           4
        .value_kind:     by_value
      - .offset:         92
        .size:           4
        .value_kind:     by_value
      - .offset:         96
        .size:           4
        .value_kind:     by_value
      - .address_space:  global
        .offset:         104
        .size:           8
        .value_kind:     global_buffer
      - .address_space:  global
        .offset:         112
        .size:           8
        .value_kind:     global_buffer
      - .offset:         120
        .size:           4
        .value_kind:     by_value
      - .offset:         124
        .size:           4
        .value_kind:     by_value
      - .offset:         128
        .size:           4
        .value_kind:     by_value
      - .offset:         132
        .size:           4
        .value_kind:     by_value
      - .offset:         136
        .size:           4
        .value_kind:     by_value
      - .offset:         144
        .size:           4
        .value_kind:     hidden_block_count_x
      - .offset:         148
        .size:           4
        .value_kind:     hidden_block_count_y
      - .offset:         152
        .size:           4
        .value_kind:     hidden_block_count_z
      - .offset:         156
        .size:           2
        .value_kind:     hidden_group_size_x
      - .offset:         158
        .size:           2
        .value_kind:     hidden_group_size_y
      - .offset:         160
        .size:           2
        .value_kind:     hidden_group_size_z
      - .offset:         162
        .size:           2
        .value_kind:     hidden_remainder_x
      - .offset:         164
        .size:           2
        .value_kind:     hidden_remainder_y
      - .offset:         166
        .size:           2
        .value_kind:     hidden_remainder_z
      - .offset:         184
        .size:           8
        .value_kind:     hidden_global_offset_x
      - .offset:         192
        .size:           8
        .value_kind:     hidden_global_offset_y
      - .offset:         200
        .size:           8
        .value_kind:     hidden_global_offset_z
      - .offset:         208
        .size:           2
        .value_kind:     hidden_grid_dims
      - .offset:         264
        .size:           4
        .value_kind:     hidden_dynamic_lds_size
    .group_segment_fixed_size: 512
    .kernarg_segment_align: 8
    .kernarg_segment_size: 400
    .language:       OpenCL C
    .language_version:
      - 2
      - 0
    .max_flat_workgroup_size: 1024
    .name:           _ZN4vllm25paged_attention_v2_kernelIffLi120ELi8ELi128ELNS_18Fp8KVCacheDataTypeE0ELb0ELi512EEEvPfS2_PT_PKS3_PKT0_S9_ifPKiSB_iPKfiiiSD_SD_iiiii
    .private_segment_fixed_size: 0
    .sgpr_count:     40
    .sgpr_spill_count: 0
    .symbol:         _ZN4vllm25paged_attention_v2_kernelIffLi120ELi8ELi128ELNS_18Fp8KVCacheDataTypeE0ELb0ELi512EEEvPfS2_PT_PKS3_PKT0_S9_ifPKiSB_iPKfiiiSD_SD_iiiii.kd
    .uniform_work_group_size: 1
    .uses_dynamic_stack: false
    .vgpr_count:     78
    .vgpr_spill_count: 0
    .wavefront_size: 32
    .workgroup_processor_mode: 1
  - .args:
      - .actual_access:  write_only
        .address_space:  global
        .offset:         0
        .size:           8
        .value_kind:     global_buffer
      - .actual_access:  write_only
        .address_space:  global
        .offset:         8
        .size:           8
        .value_kind:     global_buffer
      - .actual_access:  write_only
        .address_space:  global
        .offset:         16
        .size:           8
        .value_kind:     global_buffer
      - .actual_access:  read_only
        .address_space:  global
        .offset:         24
        .size:           8
        .value_kind:     global_buffer
      - .actual_access:  read_only
        .address_space:  global
        .offset:         32
        .size:           8
        .value_kind:     global_buffer
      - .actual_access:  read_only
        .address_space:  global
        .offset:         40
        .size:           8
        .value_kind:     global_buffer
      - .offset:         48
        .size:           4
        .value_kind:     by_value
      - .offset:         52
        .size:           4
        .value_kind:     by_value
      - .actual_access:  read_only
        .address_space:  global
        .offset:         56
        .size:           8
        .value_kind:     global_buffer
      - .actual_access:  read_only
        .address_space:  global
        .offset:         64
        .size:           8
        .value_kind:     global_buffer
      - .offset:         72
        .size:           4
        .value_kind:     by_value
      - .actual_access:  read_only
        .address_space:  global
        .offset:         80
        .size:           8
        .value_kind:     global_buffer
      - .offset:         88
        .size:           4
        .value_kind:     by_value
      - .offset:         92
        .size:           4
        .value_kind:     by_value
      - .offset:         96
        .size:           4
        .value_kind:     by_value
      - .address_space:  global
        .offset:         104
        .size:           8
        .value_kind:     global_buffer
      - .address_space:  global
        .offset:         112
        .size:           8
        .value_kind:     global_buffer
      - .offset:         120
        .size:           4
        .value_kind:     by_value
      - .offset:         124
        .size:           4
        .value_kind:     by_value
      - .offset:         128
        .size:           4
        .value_kind:     by_value
      - .offset:         132
        .size:           4
        .value_kind:     by_value
      - .offset:         136
        .size:           4
        .value_kind:     by_value
      - .offset:         144
        .size:           4
        .value_kind:     hidden_block_count_x
      - .offset:         148
        .size:           4
        .value_kind:     hidden_block_count_y
      - .offset:         152
        .size:           4
        .value_kind:     hidden_block_count_z
      - .offset:         156
        .size:           2
        .value_kind:     hidden_group_size_x
      - .offset:         158
        .size:           2
        .value_kind:     hidden_group_size_y
      - .offset:         160
        .size:           2
        .value_kind:     hidden_group_size_z
      - .offset:         162
        .size:           2
        .value_kind:     hidden_remainder_x
      - .offset:         164
        .size:           2
        .value_kind:     hidden_remainder_y
      - .offset:         166
        .size:           2
        .value_kind:     hidden_remainder_z
      - .offset:         184
        .size:           8
        .value_kind:     hidden_global_offset_x
      - .offset:         192
        .size:           8
        .value_kind:     hidden_global_offset_y
      - .offset:         200
        .size:           8
        .value_kind:     hidden_global_offset_z
      - .offset:         208
        .size:           2
        .value_kind:     hidden_grid_dims
      - .offset:         264
        .size:           4
        .value_kind:     hidden_dynamic_lds_size
    .group_segment_fixed_size: 544
    .kernarg_segment_align: 8
    .kernarg_segment_size: 400
    .language:       OpenCL C
    .language_version:
      - 2
      - 0
    .max_flat_workgroup_size: 1024
    .name:           _ZN4vllm25paged_attention_v2_kernelIffLi128ELi8ELi128ELNS_18Fp8KVCacheDataTypeE0ELb0ELi512EEEvPfS2_PT_PKS3_PKT0_S9_ifPKiSB_iPKfiiiSD_SD_iiiii
    .private_segment_fixed_size: 0
    .sgpr_count:     40
    .sgpr_spill_count: 0
    .symbol:         _ZN4vllm25paged_attention_v2_kernelIffLi128ELi8ELi128ELNS_18Fp8KVCacheDataTypeE0ELb0ELi512EEEvPfS2_PT_PKS3_PKT0_S9_ifPKiSB_iPKfiiiSD_SD_iiiii.kd
    .uniform_work_group_size: 1
    .uses_dynamic_stack: false
    .vgpr_count:     82
    .vgpr_spill_count: 0
    .wavefront_size: 32
    .workgroup_processor_mode: 1
  - .args:
      - .actual_access:  write_only
        .address_space:  global
        .offset:         0
        .size:           8
        .value_kind:     global_buffer
      - .actual_access:  write_only
        .address_space:  global
        .offset:         8
        .size:           8
        .value_kind:     global_buffer
      - .actual_access:  write_only
        .address_space:  global
        .offset:         16
        .size:           8
        .value_kind:     global_buffer
      - .actual_access:  read_only
        .address_space:  global
        .offset:         24
        .size:           8
        .value_kind:     global_buffer
      - .actual_access:  read_only
        .address_space:  global
        .offset:         32
        .size:           8
        .value_kind:     global_buffer
      - .actual_access:  read_only
        .address_space:  global
        .offset:         40
        .size:           8
        .value_kind:     global_buffer
      - .offset:         48
        .size:           4
        .value_kind:     by_value
      - .offset:         52
        .size:           4
        .value_kind:     by_value
      - .actual_access:  read_only
        .address_space:  global
        .offset:         56
        .size:           8
        .value_kind:     global_buffer
      - .actual_access:  read_only
        .address_space:  global
        .offset:         64
        .size:           8
        .value_kind:     global_buffer
      - .offset:         72
        .size:           4
        .value_kind:     by_value
      - .actual_access:  read_only
        .address_space:  global
        .offset:         80
        .size:           8
        .value_kind:     global_buffer
      - .offset:         88
        .size:           4
        .value_kind:     by_value
      - .offset:         92
        .size:           4
        .value_kind:     by_value
      - .offset:         96
        .size:           4
        .value_kind:     by_value
      - .address_space:  global
        .offset:         104
        .size:           8
        .value_kind:     global_buffer
      - .address_space:  global
        .offset:         112
        .size:           8
        .value_kind:     global_buffer
      - .offset:         120
        .size:           4
        .value_kind:     by_value
      - .offset:         124
        .size:           4
        .value_kind:     by_value
      - .offset:         128
        .size:           4
        .value_kind:     by_value
      - .offset:         132
        .size:           4
        .value_kind:     by_value
      - .offset:         136
        .size:           4
        .value_kind:     by_value
      - .offset:         144
        .size:           4
        .value_kind:     hidden_block_count_x
      - .offset:         148
        .size:           4
        .value_kind:     hidden_block_count_y
      - .offset:         152
        .size:           4
        .value_kind:     hidden_block_count_z
      - .offset:         156
        .size:           2
        .value_kind:     hidden_group_size_x
      - .offset:         158
        .size:           2
        .value_kind:     hidden_group_size_y
      - .offset:         160
        .size:           2
        .value_kind:     hidden_group_size_z
      - .offset:         162
        .size:           2
        .value_kind:     hidden_remainder_x
      - .offset:         164
        .size:           2
        .value_kind:     hidden_remainder_y
      - .offset:         166
        .size:           2
        .value_kind:     hidden_remainder_z
      - .offset:         184
        .size:           8
        .value_kind:     hidden_global_offset_x
      - .offset:         192
        .size:           8
        .value_kind:     hidden_global_offset_y
      - .offset:         200
        .size:           8
        .value_kind:     hidden_global_offset_z
      - .offset:         208
        .size:           2
        .value_kind:     hidden_grid_dims
      - .offset:         264
        .size:           4
        .value_kind:     hidden_dynamic_lds_size
    .group_segment_fixed_size: 800
    .kernarg_segment_align: 8
    .kernarg_segment_size: 400
    .language:       OpenCL C
    .language_version:
      - 2
      - 0
    .max_flat_workgroup_size: 1024
    .name:           _ZN4vllm25paged_attention_v2_kernelIffLi192ELi8ELi128ELNS_18Fp8KVCacheDataTypeE0ELb0ELi512EEEvPfS2_PT_PKS3_PKT0_S9_ifPKiSB_iPKfiiiSD_SD_iiiii
    .private_segment_fixed_size: 0
    .sgpr_count:     44
    .sgpr_spill_count: 0
    .symbol:         _ZN4vllm25paged_attention_v2_kernelIffLi192ELi8ELi128ELNS_18Fp8KVCacheDataTypeE0ELb0ELi512EEEvPfS2_PT_PKS3_PKT0_S9_ifPKiSB_iPKfiiiSD_SD_iiiii.kd
    .uniform_work_group_size: 1
    .uses_dynamic_stack: false
    .vgpr_count:     113
    .vgpr_spill_count: 0
    .wavefront_size: 32
    .workgroup_processor_mode: 1
  - .args:
      - .actual_access:  write_only
        .address_space:  global
        .offset:         0
        .size:           8
        .value_kind:     global_buffer
      - .actual_access:  write_only
        .address_space:  global
        .offset:         8
        .size:           8
        .value_kind:     global_buffer
      - .actual_access:  write_only
        .address_space:  global
        .offset:         16
        .size:           8
        .value_kind:     global_buffer
      - .actual_access:  read_only
        .address_space:  global
        .offset:         24
        .size:           8
        .value_kind:     global_buffer
      - .actual_access:  read_only
        .address_space:  global
        .offset:         32
        .size:           8
        .value_kind:     global_buffer
      - .actual_access:  read_only
        .address_space:  global
        .offset:         40
        .size:           8
        .value_kind:     global_buffer
      - .offset:         48
        .size:           4
        .value_kind:     by_value
      - .offset:         52
        .size:           4
        .value_kind:     by_value
      - .actual_access:  read_only
        .address_space:  global
        .offset:         56
        .size:           8
        .value_kind:     global_buffer
      - .actual_access:  read_only
        .address_space:  global
        .offset:         64
        .size:           8
        .value_kind:     global_buffer
      - .offset:         72
        .size:           4
        .value_kind:     by_value
      - .actual_access:  read_only
        .address_space:  global
        .offset:         80
        .size:           8
        .value_kind:     global_buffer
      - .offset:         88
        .size:           4
        .value_kind:     by_value
      - .offset:         92
        .size:           4
        .value_kind:     by_value
      - .offset:         96
        .size:           4
        .value_kind:     by_value
      - .address_space:  global
        .offset:         104
        .size:           8
        .value_kind:     global_buffer
      - .address_space:  global
        .offset:         112
        .size:           8
        .value_kind:     global_buffer
      - .offset:         120
        .size:           4
        .value_kind:     by_value
      - .offset:         124
        .size:           4
        .value_kind:     by_value
      - .offset:         128
        .size:           4
        .value_kind:     by_value
      - .offset:         132
        .size:           4
        .value_kind:     by_value
      - .offset:         136
        .size:           4
        .value_kind:     by_value
      - .offset:         144
        .size:           4
        .value_kind:     hidden_block_count_x
      - .offset:         148
        .size:           4
        .value_kind:     hidden_block_count_y
      - .offset:         152
        .size:           4
        .value_kind:     hidden_block_count_z
      - .offset:         156
        .size:           2
        .value_kind:     hidden_group_size_x
      - .offset:         158
        .size:           2
        .value_kind:     hidden_group_size_y
      - .offset:         160
        .size:           2
        .value_kind:     hidden_group_size_z
      - .offset:         162
        .size:           2
        .value_kind:     hidden_remainder_x
      - .offset:         164
        .size:           2
        .value_kind:     hidden_remainder_y
      - .offset:         166
        .size:           2
        .value_kind:     hidden_remainder_z
      - .offset:         184
        .size:           8
        .value_kind:     hidden_global_offset_x
      - .offset:         192
        .size:           8
        .value_kind:     hidden_global_offset_y
      - .offset:         200
        .size:           8
        .value_kind:     hidden_global_offset_z
      - .offset:         208
        .size:           2
        .value_kind:     hidden_grid_dims
      - .offset:         264
        .size:           4
        .value_kind:     hidden_dynamic_lds_size
    .group_segment_fixed_size: 1056
    .kernarg_segment_align: 8
    .kernarg_segment_size: 400
    .language:       OpenCL C
    .language_version:
      - 2
      - 0
    .max_flat_workgroup_size: 1024
    .name:           _ZN4vllm25paged_attention_v2_kernelIffLi256ELi8ELi128ELNS_18Fp8KVCacheDataTypeE0ELb0ELi512EEEvPfS2_PT_PKS3_PKT0_S9_ifPKiSB_iPKfiiiSD_SD_iiiii
    .private_segment_fixed_size: 0
    .sgpr_count:     44
    .sgpr_spill_count: 0
    .symbol:         _ZN4vllm25paged_attention_v2_kernelIffLi256ELi8ELi128ELNS_18Fp8KVCacheDataTypeE0ELb0ELi512EEEvPfS2_PT_PKS3_PKT0_S9_ifPKiSB_iPKfiiiSD_SD_iiiii.kd
    .uniform_work_group_size: 1
    .uses_dynamic_stack: false
    .vgpr_count:     145
    .vgpr_spill_count: 0
    .wavefront_size: 32
    .workgroup_processor_mode: 1
  - .args:
      - .actual_access:  write_only
        .address_space:  global
        .offset:         0
        .size:           8
        .value_kind:     global_buffer
      - .actual_access:  write_only
        .address_space:  global
        .offset:         8
        .size:           8
        .value_kind:     global_buffer
      - .actual_access:  write_only
        .address_space:  global
        .offset:         16
        .size:           8
        .value_kind:     global_buffer
      - .actual_access:  read_only
        .address_space:  global
        .offset:         24
        .size:           8
        .value_kind:     global_buffer
      - .actual_access:  read_only
        .address_space:  global
        .offset:         32
        .size:           8
        .value_kind:     global_buffer
      - .actual_access:  read_only
        .address_space:  global
        .offset:         40
        .size:           8
        .value_kind:     global_buffer
      - .offset:         48
        .size:           4
        .value_kind:     by_value
      - .offset:         52
        .size:           4
        .value_kind:     by_value
      - .actual_access:  read_only
        .address_space:  global
        .offset:         56
        .size:           8
        .value_kind:     global_buffer
      - .actual_access:  read_only
        .address_space:  global
        .offset:         64
        .size:           8
        .value_kind:     global_buffer
      - .offset:         72
        .size:           4
        .value_kind:     by_value
      - .actual_access:  read_only
        .address_space:  global
        .offset:         80
        .size:           8
        .value_kind:     global_buffer
      - .offset:         88
        .size:           4
        .value_kind:     by_value
      - .offset:         92
        .size:           4
        .value_kind:     by_value
      - .offset:         96
        .size:           4
        .value_kind:     by_value
      - .address_space:  global
        .offset:         104
        .size:           8
        .value_kind:     global_buffer
      - .address_space:  global
        .offset:         112
        .size:           8
        .value_kind:     global_buffer
      - .offset:         120
        .size:           4
        .value_kind:     by_value
      - .offset:         124
        .size:           4
        .value_kind:     by_value
      - .offset:         128
        .size:           4
        .value_kind:     by_value
      - .offset:         132
        .size:           4
        .value_kind:     by_value
      - .offset:         136
        .size:           4
        .value_kind:     by_value
      - .offset:         144
        .size:           4
        .value_kind:     hidden_block_count_x
      - .offset:         148
        .size:           4
        .value_kind:     hidden_block_count_y
      - .offset:         152
        .size:           4
        .value_kind:     hidden_block_count_z
      - .offset:         156
        .size:           2
        .value_kind:     hidden_group_size_x
      - .offset:         158
        .size:           2
        .value_kind:     hidden_group_size_y
      - .offset:         160
        .size:           2
        .value_kind:     hidden_group_size_z
      - .offset:         162
        .size:           2
        .value_kind:     hidden_remainder_x
      - .offset:         164
        .size:           2
        .value_kind:     hidden_remainder_y
      - .offset:         166
        .size:           2
        .value_kind:     hidden_remainder_z
      - .offset:         184
        .size:           8
        .value_kind:     hidden_global_offset_x
      - .offset:         192
        .size:           8
        .value_kind:     hidden_global_offset_y
      - .offset:         200
        .size:           8
        .value_kind:     hidden_global_offset_z
      - .offset:         208
        .size:           2
        .value_kind:     hidden_grid_dims
      - .offset:         264
        .size:           4
        .value_kind:     hidden_dynamic_lds_size
    .group_segment_fixed_size: 160
    .kernarg_segment_align: 8
    .kernarg_segment_size: 400
    .language:       OpenCL C
    .language_version:
      - 2
      - 0
    .max_flat_workgroup_size: 1024
    .name:           _ZN4vllm25paged_attention_v2_kernelIffLi32ELi16ELi128ELNS_18Fp8KVCacheDataTypeE0ELb1ELi512EEEvPfS2_PT_PKS3_PKT0_S9_ifPKiSB_iPKfiiiSD_SD_iiiii
    .private_segment_fixed_size: 0
    .sgpr_count:     48
    .sgpr_spill_count: 0
    .symbol:         _ZN4vllm25paged_attention_v2_kernelIffLi32ELi16ELi128ELNS_18Fp8KVCacheDataTypeE0ELb1ELi512EEEvPfS2_PT_PKS3_PKT0_S9_ifPKiSB_iPKfiiiSD_SD_iiiii.kd
    .uniform_work_group_size: 1
    .uses_dynamic_stack: false
    .vgpr_count:     49
    .vgpr_spill_count: 0
    .wavefront_size: 32
    .workgroup_processor_mode: 1
  - .args:
      - .actual_access:  write_only
        .address_space:  global
        .offset:         0
        .size:           8
        .value_kind:     global_buffer
      - .actual_access:  write_only
        .address_space:  global
        .offset:         8
        .size:           8
        .value_kind:     global_buffer
      - .actual_access:  write_only
        .address_space:  global
        .offset:         16
        .size:           8
        .value_kind:     global_buffer
      - .actual_access:  read_only
        .address_space:  global
        .offset:         24
        .size:           8
        .value_kind:     global_buffer
      - .actual_access:  read_only
        .address_space:  global
        .offset:         32
        .size:           8
        .value_kind:     global_buffer
      - .actual_access:  read_only
        .address_space:  global
        .offset:         40
        .size:           8
        .value_kind:     global_buffer
      - .offset:         48
        .size:           4
        .value_kind:     by_value
      - .offset:         52
        .size:           4
        .value_kind:     by_value
      - .actual_access:  read_only
        .address_space:  global
        .offset:         56
        .size:           8
        .value_kind:     global_buffer
      - .actual_access:  read_only
        .address_space:  global
        .offset:         64
        .size:           8
        .value_kind:     global_buffer
      - .offset:         72
        .size:           4
        .value_kind:     by_value
      - .actual_access:  read_only
        .address_space:  global
        .offset:         80
        .size:           8
        .value_kind:     global_buffer
      - .offset:         88
        .size:           4
        .value_kind:     by_value
      - .offset:         92
        .size:           4
        .value_kind:     by_value
      - .offset:         96
        .size:           4
        .value_kind:     by_value
      - .address_space:  global
        .offset:         104
        .size:           8
        .value_kind:     global_buffer
      - .address_space:  global
        .offset:         112
        .size:           8
        .value_kind:     global_buffer
      - .offset:         120
        .size:           4
        .value_kind:     by_value
      - .offset:         124
        .size:           4
        .value_kind:     by_value
      - .offset:         128
        .size:           4
        .value_kind:     by_value
      - .offset:         132
        .size:           4
        .value_kind:     by_value
      - .offset:         136
        .size:           4
        .value_kind:     by_value
      - .offset:         144
        .size:           4
        .value_kind:     hidden_block_count_x
      - .offset:         148
        .size:           4
        .value_kind:     hidden_block_count_y
      - .offset:         152
        .size:           4
        .value_kind:     hidden_block_count_z
      - .offset:         156
        .size:           2
        .value_kind:     hidden_group_size_x
      - .offset:         158
        .size:           2
        .value_kind:     hidden_group_size_y
      - .offset:         160
        .size:           2
        .value_kind:     hidden_group_size_z
      - .offset:         162
        .size:           2
        .value_kind:     hidden_remainder_x
      - .offset:         164
        .size:           2
        .value_kind:     hidden_remainder_y
      - .offset:         166
        .size:           2
        .value_kind:     hidden_remainder_z
      - .offset:         184
        .size:           8
        .value_kind:     hidden_global_offset_x
      - .offset:         192
        .size:           8
        .value_kind:     hidden_global_offset_y
      - .offset:         200
        .size:           8
        .value_kind:     hidden_global_offset_z
      - .offset:         208
        .size:           2
        .value_kind:     hidden_grid_dims
      - .offset:         264
        .size:           4
        .value_kind:     hidden_dynamic_lds_size
    .group_segment_fixed_size: 288
    .kernarg_segment_align: 8
    .kernarg_segment_size: 400
    .language:       OpenCL C
    .language_version:
      - 2
      - 0
    .max_flat_workgroup_size: 1024
    .name:           _ZN4vllm25paged_attention_v2_kernelIffLi64ELi16ELi128ELNS_18Fp8KVCacheDataTypeE0ELb1ELi512EEEvPfS2_PT_PKS3_PKT0_S9_ifPKiSB_iPKfiiiSD_SD_iiiii
    .private_segment_fixed_size: 0
    .sgpr_count:     50
    .sgpr_spill_count: 0
    .symbol:         _ZN4vllm25paged_attention_v2_kernelIffLi64ELi16ELi128ELNS_18Fp8KVCacheDataTypeE0ELb1ELi512EEEvPfS2_PT_PKS3_PKT0_S9_ifPKiSB_iPKfiiiSD_SD_iiiii.kd
    .uniform_work_group_size: 1
    .uses_dynamic_stack: false
    .vgpr_count:     66
    .vgpr_spill_count: 0
    .wavefront_size: 32
    .workgroup_processor_mode: 1
  - .args:
      - .actual_access:  write_only
        .address_space:  global
        .offset:         0
        .size:           8
        .value_kind:     global_buffer
      - .actual_access:  write_only
        .address_space:  global
        .offset:         8
        .size:           8
        .value_kind:     global_buffer
      - .actual_access:  write_only
        .address_space:  global
        .offset:         16
        .size:           8
        .value_kind:     global_buffer
      - .actual_access:  read_only
        .address_space:  global
        .offset:         24
        .size:           8
        .value_kind:     global_buffer
      - .actual_access:  read_only
        .address_space:  global
        .offset:         32
        .size:           8
        .value_kind:     global_buffer
      - .actual_access:  read_only
        .address_space:  global
        .offset:         40
        .size:           8
        .value_kind:     global_buffer
      - .offset:         48
        .size:           4
        .value_kind:     by_value
      - .offset:         52
        .size:           4
        .value_kind:     by_value
      - .actual_access:  read_only
        .address_space:  global
        .offset:         56
        .size:           8
        .value_kind:     global_buffer
      - .actual_access:  read_only
        .address_space:  global
        .offset:         64
        .size:           8
        .value_kind:     global_buffer
      - .offset:         72
        .size:           4
        .value_kind:     by_value
      - .actual_access:  read_only
        .address_space:  global
        .offset:         80
        .size:           8
        .value_kind:     global_buffer
      - .offset:         88
        .size:           4
        .value_kind:     by_value
      - .offset:         92
        .size:           4
        .value_kind:     by_value
      - .offset:         96
        .size:           4
        .value_kind:     by_value
      - .address_space:  global
        .offset:         104
        .size:           8
        .value_kind:     global_buffer
      - .address_space:  global
        .offset:         112
        .size:           8
        .value_kind:     global_buffer
      - .offset:         120
        .size:           4
        .value_kind:     by_value
      - .offset:         124
        .size:           4
        .value_kind:     by_value
      - .offset:         128
        .size:           4
        .value_kind:     by_value
      - .offset:         132
        .size:           4
        .value_kind:     by_value
      - .offset:         136
        .size:           4
        .value_kind:     by_value
      - .offset:         144
        .size:           4
        .value_kind:     hidden_block_count_x
      - .offset:         148
        .size:           4
        .value_kind:     hidden_block_count_y
      - .offset:         152
        .size:           4
        .value_kind:     hidden_block_count_z
      - .offset:         156
        .size:           2
        .value_kind:     hidden_group_size_x
      - .offset:         158
        .size:           2
        .value_kind:     hidden_group_size_y
      - .offset:         160
        .size:           2
        .value_kind:     hidden_group_size_z
      - .offset:         162
        .size:           2
        .value_kind:     hidden_remainder_x
      - .offset:         164
        .size:           2
        .value_kind:     hidden_remainder_y
      - .offset:         166
        .size:           2
        .value_kind:     hidden_remainder_z
      - .offset:         184
        .size:           8
        .value_kind:     hidden_global_offset_x
      - .offset:         192
        .size:           8
        .value_kind:     hidden_global_offset_y
      - .offset:         200
        .size:           8
        .value_kind:     hidden_global_offset_z
      - .offset:         208
        .size:           2
        .value_kind:     hidden_grid_dims
      - .offset:         264
        .size:           4
        .value_kind:     hidden_dynamic_lds_size
    .group_segment_fixed_size: 352
    .kernarg_segment_align: 8
    .kernarg_segment_size: 400
    .language:       OpenCL C
    .language_version:
      - 2
      - 0
    .max_flat_workgroup_size: 1024
    .name:           _ZN4vllm25paged_attention_v2_kernelIffLi80ELi16ELi128ELNS_18Fp8KVCacheDataTypeE0ELb1ELi512EEEvPfS2_PT_PKS3_PKT0_S9_ifPKiSB_iPKfiiiSD_SD_iiiii
    .private_segment_fixed_size: 0
    .sgpr_count:     48
    .sgpr_spill_count: 0
    .symbol:         _ZN4vllm25paged_attention_v2_kernelIffLi80ELi16ELi128ELNS_18Fp8KVCacheDataTypeE0ELb1ELi512EEEvPfS2_PT_PKS3_PKT0_S9_ifPKiSB_iPKfiiiSD_SD_iiiii.kd
    .uniform_work_group_size: 1
    .uses_dynamic_stack: false
    .vgpr_count:     74
    .vgpr_spill_count: 0
    .wavefront_size: 32
    .workgroup_processor_mode: 1
  - .args:
      - .actual_access:  write_only
        .address_space:  global
        .offset:         0
        .size:           8
        .value_kind:     global_buffer
      - .actual_access:  write_only
        .address_space:  global
        .offset:         8
        .size:           8
        .value_kind:     global_buffer
      - .actual_access:  write_only
        .address_space:  global
        .offset:         16
        .size:           8
        .value_kind:     global_buffer
      - .actual_access:  read_only
        .address_space:  global
        .offset:         24
        .size:           8
        .value_kind:     global_buffer
      - .actual_access:  read_only
        .address_space:  global
        .offset:         32
        .size:           8
        .value_kind:     global_buffer
      - .actual_access:  read_only
        .address_space:  global
        .offset:         40
        .size:           8
        .value_kind:     global_buffer
      - .offset:         48
        .size:           4
        .value_kind:     by_value
      - .offset:         52
        .size:           4
        .value_kind:     by_value
      - .actual_access:  read_only
        .address_space:  global
        .offset:         56
        .size:           8
        .value_kind:     global_buffer
      - .actual_access:  read_only
        .address_space:  global
        .offset:         64
        .size:           8
        .value_kind:     global_buffer
      - .offset:         72
        .size:           4
        .value_kind:     by_value
      - .actual_access:  read_only
        .address_space:  global
        .offset:         80
        .size:           8
        .value_kind:     global_buffer
      - .offset:         88
        .size:           4
        .value_kind:     by_value
      - .offset:         92
        .size:           4
        .value_kind:     by_value
      - .offset:         96
        .size:           4
        .value_kind:     by_value
      - .address_space:  global
        .offset:         104
        .size:           8
        .value_kind:     global_buffer
      - .address_space:  global
        .offset:         112
        .size:           8
        .value_kind:     global_buffer
      - .offset:         120
        .size:           4
        .value_kind:     by_value
      - .offset:         124
        .size:           4
        .value_kind:     by_value
      - .offset:         128
        .size:           4
        .value_kind:     by_value
      - .offset:         132
        .size:           4
        .value_kind:     by_value
      - .offset:         136
        .size:           4
        .value_kind:     by_value
      - .offset:         144
        .size:           4
        .value_kind:     hidden_block_count_x
      - .offset:         148
        .size:           4
        .value_kind:     hidden_block_count_y
      - .offset:         152
        .size:           4
        .value_kind:     hidden_block_count_z
      - .offset:         156
        .size:           2
        .value_kind:     hidden_group_size_x
      - .offset:         158
        .size:           2
        .value_kind:     hidden_group_size_y
      - .offset:         160
        .size:           2
        .value_kind:     hidden_group_size_z
      - .offset:         162
        .size:           2
        .value_kind:     hidden_remainder_x
      - .offset:         164
        .size:           2
        .value_kind:     hidden_remainder_y
      - .offset:         166
        .size:           2
        .value_kind:     hidden_remainder_z
      - .offset:         184
        .size:           8
        .value_kind:     hidden_global_offset_x
      - .offset:         192
        .size:           8
        .value_kind:     hidden_global_offset_y
      - .offset:         200
        .size:           8
        .value_kind:     hidden_global_offset_z
      - .offset:         208
        .size:           2
        .value_kind:     hidden_grid_dims
      - .offset:         264
        .size:           4
        .value_kind:     hidden_dynamic_lds_size
    .group_segment_fixed_size: 416
    .kernarg_segment_align: 8
    .kernarg_segment_size: 400
    .language:       OpenCL C
    .language_version:
      - 2
      - 0
    .max_flat_workgroup_size: 1024
    .name:           _ZN4vllm25paged_attention_v2_kernelIffLi96ELi16ELi128ELNS_18Fp8KVCacheDataTypeE0ELb1ELi512EEEvPfS2_PT_PKS3_PKT0_S9_ifPKiSB_iPKfiiiSD_SD_iiiii
    .private_segment_fixed_size: 0
    .sgpr_count:     48
    .sgpr_spill_count: 0
    .symbol:         _ZN4vllm25paged_attention_v2_kernelIffLi96ELi16ELi128ELNS_18Fp8KVCacheDataTypeE0ELb1ELi512EEEvPfS2_PT_PKS3_PKT0_S9_ifPKiSB_iPKfiiiSD_SD_iiiii.kd
    .uniform_work_group_size: 1
    .uses_dynamic_stack: false
    .vgpr_count:     86
    .vgpr_spill_count: 0
    .wavefront_size: 32
    .workgroup_processor_mode: 1
  - .args:
      - .actual_access:  write_only
        .address_space:  global
        .offset:         0
        .size:           8
        .value_kind:     global_buffer
      - .actual_access:  write_only
        .address_space:  global
        .offset:         8
        .size:           8
        .value_kind:     global_buffer
      - .actual_access:  write_only
        .address_space:  global
        .offset:         16
        .size:           8
        .value_kind:     global_buffer
      - .actual_access:  read_only
        .address_space:  global
        .offset:         24
        .size:           8
        .value_kind:     global_buffer
      - .actual_access:  read_only
        .address_space:  global
        .offset:         32
        .size:           8
        .value_kind:     global_buffer
      - .actual_access:  read_only
        .address_space:  global
        .offset:         40
        .size:           8
        .value_kind:     global_buffer
      - .offset:         48
        .size:           4
        .value_kind:     by_value
      - .offset:         52
        .size:           4
        .value_kind:     by_value
      - .actual_access:  read_only
        .address_space:  global
        .offset:         56
        .size:           8
        .value_kind:     global_buffer
      - .actual_access:  read_only
        .address_space:  global
        .offset:         64
        .size:           8
        .value_kind:     global_buffer
      - .offset:         72
        .size:           4
        .value_kind:     by_value
      - .actual_access:  read_only
        .address_space:  global
        .offset:         80
        .size:           8
        .value_kind:     global_buffer
      - .offset:         88
        .size:           4
        .value_kind:     by_value
      - .offset:         92
        .size:           4
        .value_kind:     by_value
      - .offset:         96
        .size:           4
        .value_kind:     by_value
      - .address_space:  global
        .offset:         104
        .size:           8
        .value_kind:     global_buffer
      - .address_space:  global
        .offset:         112
        .size:           8
        .value_kind:     global_buffer
      - .offset:         120
        .size:           4
        .value_kind:     by_value
      - .offset:         124
        .size:           4
        .value_kind:     by_value
      - .offset:         128
        .size:           4
        .value_kind:     by_value
      - .offset:         132
        .size:           4
        .value_kind:     by_value
      - .offset:         136
        .size:           4
        .value_kind:     by_value
      - .offset:         144
        .size:           4
        .value_kind:     hidden_block_count_x
      - .offset:         148
        .size:           4
        .value_kind:     hidden_block_count_y
      - .offset:         152
        .size:           4
        .value_kind:     hidden_block_count_z
      - .offset:         156
        .size:           2
        .value_kind:     hidden_group_size_x
      - .offset:         158
        .size:           2
        .value_kind:     hidden_group_size_y
      - .offset:         160
        .size:           2
        .value_kind:     hidden_group_size_z
      - .offset:         162
        .size:           2
        .value_kind:     hidden_remainder_x
      - .offset:         164
        .size:           2
        .value_kind:     hidden_remainder_y
      - .offset:         166
        .size:           2
        .value_kind:     hidden_remainder_z
      - .offset:         184
        .size:           8
        .value_kind:     hidden_global_offset_x
      - .offset:         192
        .size:           8
        .value_kind:     hidden_global_offset_y
      - .offset:         200
        .size:           8
        .value_kind:     hidden_global_offset_z
      - .offset:         208
        .size:           2
        .value_kind:     hidden_grid_dims
      - .offset:         264
        .size:           4
        .value_kind:     hidden_dynamic_lds_size
    .group_segment_fixed_size: 480
    .kernarg_segment_align: 8
    .kernarg_segment_size: 400
    .language:       OpenCL C
    .language_version:
      - 2
      - 0
    .max_flat_workgroup_size: 1024
    .name:           _ZN4vllm25paged_attention_v2_kernelIffLi112ELi16ELi128ELNS_18Fp8KVCacheDataTypeE0ELb1ELi512EEEvPfS2_PT_PKS3_PKT0_S9_ifPKiSB_iPKfiiiSD_SD_iiiii
    .private_segment_fixed_size: 0
    .sgpr_count:     48
    .sgpr_spill_count: 0
    .symbol:         _ZN4vllm25paged_attention_v2_kernelIffLi112ELi16ELi128ELNS_18Fp8KVCacheDataTypeE0ELb1ELi512EEEvPfS2_PT_PKS3_PKT0_S9_ifPKiSB_iPKfiiiSD_SD_iiiii.kd
    .uniform_work_group_size: 1
    .uses_dynamic_stack: false
    .vgpr_count:     98
    .vgpr_spill_count: 0
    .wavefront_size: 32
    .workgroup_processor_mode: 1
  - .args:
      - .actual_access:  write_only
        .address_space:  global
        .offset:         0
        .size:           8
        .value_kind:     global_buffer
      - .actual_access:  write_only
        .address_space:  global
        .offset:         8
        .size:           8
        .value_kind:     global_buffer
      - .actual_access:  write_only
        .address_space:  global
        .offset:         16
        .size:           8
        .value_kind:     global_buffer
      - .actual_access:  read_only
        .address_space:  global
        .offset:         24
        .size:           8
        .value_kind:     global_buffer
      - .actual_access:  read_only
        .address_space:  global
        .offset:         32
        .size:           8
        .value_kind:     global_buffer
      - .actual_access:  read_only
        .address_space:  global
        .offset:         40
        .size:           8
        .value_kind:     global_buffer
      - .offset:         48
        .size:           4
        .value_kind:     by_value
      - .offset:         52
        .size:           4
        .value_kind:     by_value
      - .actual_access:  read_only
        .address_space:  global
        .offset:         56
        .size:           8
        .value_kind:     global_buffer
      - .actual_access:  read_only
        .address_space:  global
        .offset:         64
        .size:           8
        .value_kind:     global_buffer
      - .offset:         72
        .size:           4
        .value_kind:     by_value
      - .actual_access:  read_only
        .address_space:  global
        .offset:         80
        .size:           8
        .value_kind:     global_buffer
      - .offset:         88
        .size:           4
        .value_kind:     by_value
      - .offset:         92
        .size:           4
        .value_kind:     by_value
      - .offset:         96
        .size:           4
        .value_kind:     by_value
      - .address_space:  global
        .offset:         104
        .size:           8
        .value_kind:     global_buffer
      - .address_space:  global
        .offset:         112
        .size:           8
        .value_kind:     global_buffer
      - .offset:         120
        .size:           4
        .value_kind:     by_value
      - .offset:         124
        .size:           4
        .value_kind:     by_value
      - .offset:         128
        .size:           4
        .value_kind:     by_value
      - .offset:         132
        .size:           4
        .value_kind:     by_value
      - .offset:         136
        .size:           4
        .value_kind:     by_value
      - .offset:         144
        .size:           4
        .value_kind:     hidden_block_count_x
      - .offset:         148
        .size:           4
        .value_kind:     hidden_block_count_y
      - .offset:         152
        .size:           4
        .value_kind:     hidden_block_count_z
      - .offset:         156
        .size:           2
        .value_kind:     hidden_group_size_x
      - .offset:         158
        .size:           2
        .value_kind:     hidden_group_size_y
      - .offset:         160
        .size:           2
        .value_kind:     hidden_group_size_z
      - .offset:         162
        .size:           2
        .value_kind:     hidden_remainder_x
      - .offset:         164
        .size:           2
        .value_kind:     hidden_remainder_y
      - .offset:         166
        .size:           2
        .value_kind:     hidden_remainder_z
      - .offset:         184
        .size:           8
        .value_kind:     hidden_global_offset_x
      - .offset:         192
        .size:           8
        .value_kind:     hidden_global_offset_y
      - .offset:         200
        .size:           8
        .value_kind:     hidden_global_offset_z
      - .offset:         208
        .size:           2
        .value_kind:     hidden_grid_dims
      - .offset:         264
        .size:           4
        .value_kind:     hidden_dynamic_lds_size
    .group_segment_fixed_size: 512
    .kernarg_segment_align: 8
    .kernarg_segment_size: 400
    .language:       OpenCL C
    .language_version:
      - 2
      - 0
    .max_flat_workgroup_size: 1024
    .name:           _ZN4vllm25paged_attention_v2_kernelIffLi120ELi16ELi128ELNS_18Fp8KVCacheDataTypeE0ELb1ELi512EEEvPfS2_PT_PKS3_PKT0_S9_ifPKiSB_iPKfiiiSD_SD_iiiii
    .private_segment_fixed_size: 0
    .sgpr_count:     48
    .sgpr_spill_count: 0
    .symbol:         _ZN4vllm25paged_attention_v2_kernelIffLi120ELi16ELi128ELNS_18Fp8KVCacheDataTypeE0ELb1ELi512EEEvPfS2_PT_PKS3_PKT0_S9_ifPKiSB_iPKfiiiSD_SD_iiiii.kd
    .uniform_work_group_size: 1
    .uses_dynamic_stack: false
    .vgpr_count:     104
    .vgpr_spill_count: 0
    .wavefront_size: 32
    .workgroup_processor_mode: 1
  - .args:
      - .actual_access:  write_only
        .address_space:  global
        .offset:         0
        .size:           8
        .value_kind:     global_buffer
      - .actual_access:  write_only
        .address_space:  global
        .offset:         8
        .size:           8
        .value_kind:     global_buffer
      - .actual_access:  write_only
        .address_space:  global
        .offset:         16
        .size:           8
        .value_kind:     global_buffer
      - .actual_access:  read_only
        .address_space:  global
        .offset:         24
        .size:           8
        .value_kind:     global_buffer
      - .actual_access:  read_only
        .address_space:  global
        .offset:         32
        .size:           8
        .value_kind:     global_buffer
      - .actual_access:  read_only
        .address_space:  global
        .offset:         40
        .size:           8
        .value_kind:     global_buffer
      - .offset:         48
        .size:           4
        .value_kind:     by_value
      - .offset:         52
        .size:           4
        .value_kind:     by_value
      - .actual_access:  read_only
        .address_space:  global
        .offset:         56
        .size:           8
        .value_kind:     global_buffer
      - .actual_access:  read_only
        .address_space:  global
        .offset:         64
        .size:           8
        .value_kind:     global_buffer
      - .offset:         72
        .size:           4
        .value_kind:     by_value
      - .actual_access:  read_only
        .address_space:  global
        .offset:         80
        .size:           8
        .value_kind:     global_buffer
      - .offset:         88
        .size:           4
        .value_kind:     by_value
      - .offset:         92
        .size:           4
        .value_kind:     by_value
      - .offset:         96
        .size:           4
        .value_kind:     by_value
      - .address_space:  global
        .offset:         104
        .size:           8
        .value_kind:     global_buffer
      - .address_space:  global
        .offset:         112
        .size:           8
        .value_kind:     global_buffer
      - .offset:         120
        .size:           4
        .value_kind:     by_value
      - .offset:         124
        .size:           4
        .value_kind:     by_value
      - .offset:         128
        .size:           4
        .value_kind:     by_value
      - .offset:         132
        .size:           4
        .value_kind:     by_value
      - .offset:         136
        .size:           4
        .value_kind:     by_value
      - .offset:         144
        .size:           4
        .value_kind:     hidden_block_count_x
      - .offset:         148
        .size:           4
        .value_kind:     hidden_block_count_y
      - .offset:         152
        .size:           4
        .value_kind:     hidden_block_count_z
      - .offset:         156
        .size:           2
        .value_kind:     hidden_group_size_x
      - .offset:         158
        .size:           2
        .value_kind:     hidden_group_size_y
      - .offset:         160
        .size:           2
        .value_kind:     hidden_group_size_z
      - .offset:         162
        .size:           2
        .value_kind:     hidden_remainder_x
      - .offset:         164
        .size:           2
        .value_kind:     hidden_remainder_y
      - .offset:         166
        .size:           2
        .value_kind:     hidden_remainder_z
      - .offset:         184
        .size:           8
        .value_kind:     hidden_global_offset_x
      - .offset:         192
        .size:           8
        .value_kind:     hidden_global_offset_y
      - .offset:         200
        .size:           8
        .value_kind:     hidden_global_offset_z
      - .offset:         208
        .size:           2
        .value_kind:     hidden_grid_dims
      - .offset:         264
        .size:           4
        .value_kind:     hidden_dynamic_lds_size
    .group_segment_fixed_size: 544
    .kernarg_segment_align: 8
    .kernarg_segment_size: 400
    .language:       OpenCL C
    .language_version:
      - 2
      - 0
    .max_flat_workgroup_size: 1024
    .name:           _ZN4vllm25paged_attention_v2_kernelIffLi128ELi16ELi128ELNS_18Fp8KVCacheDataTypeE0ELb1ELi512EEEvPfS2_PT_PKS3_PKT0_S9_ifPKiSB_iPKfiiiSD_SD_iiiii
    .private_segment_fixed_size: 0
    .sgpr_count:     50
    .sgpr_spill_count: 0
    .symbol:         _ZN4vllm25paged_attention_v2_kernelIffLi128ELi16ELi128ELNS_18Fp8KVCacheDataTypeE0ELb1ELi512EEEvPfS2_PT_PKS3_PKT0_S9_ifPKiSB_iPKfiiiSD_SD_iiiii.kd
    .uniform_work_group_size: 1
    .uses_dynamic_stack: false
    .vgpr_count:     110
    .vgpr_spill_count: 0
    .wavefront_size: 32
    .workgroup_processor_mode: 1
  - .args:
      - .actual_access:  write_only
        .address_space:  global
        .offset:         0
        .size:           8
        .value_kind:     global_buffer
      - .actual_access:  write_only
        .address_space:  global
        .offset:         8
        .size:           8
        .value_kind:     global_buffer
      - .actual_access:  write_only
        .address_space:  global
        .offset:         16
        .size:           8
        .value_kind:     global_buffer
      - .actual_access:  read_only
        .address_space:  global
        .offset:         24
        .size:           8
        .value_kind:     global_buffer
      - .actual_access:  read_only
        .address_space:  global
        .offset:         32
        .size:           8
        .value_kind:     global_buffer
      - .actual_access:  read_only
        .address_space:  global
        .offset:         40
        .size:           8
        .value_kind:     global_buffer
      - .offset:         48
        .size:           4
        .value_kind:     by_value
      - .offset:         52
        .size:           4
        .value_kind:     by_value
      - .actual_access:  read_only
        .address_space:  global
        .offset:         56
        .size:           8
        .value_kind:     global_buffer
      - .actual_access:  read_only
        .address_space:  global
        .offset:         64
        .size:           8
        .value_kind:     global_buffer
      - .offset:         72
        .size:           4
        .value_kind:     by_value
      - .actual_access:  read_only
        .address_space:  global
        .offset:         80
        .size:           8
        .value_kind:     global_buffer
      - .offset:         88
        .size:           4
        .value_kind:     by_value
      - .offset:         92
        .size:           4
        .value_kind:     by_value
      - .offset:         96
        .size:           4
        .value_kind:     by_value
      - .address_space:  global
        .offset:         104
        .size:           8
        .value_kind:     global_buffer
      - .address_space:  global
        .offset:         112
        .size:           8
        .value_kind:     global_buffer
      - .offset:         120
        .size:           4
        .value_kind:     by_value
      - .offset:         124
        .size:           4
        .value_kind:     by_value
      - .offset:         128
        .size:           4
        .value_kind:     by_value
      - .offset:         132
        .size:           4
        .value_kind:     by_value
      - .offset:         136
        .size:           4
        .value_kind:     by_value
      - .offset:         144
        .size:           4
        .value_kind:     hidden_block_count_x
      - .offset:         148
        .size:           4
        .value_kind:     hidden_block_count_y
      - .offset:         152
        .size:           4
        .value_kind:     hidden_block_count_z
      - .offset:         156
        .size:           2
        .value_kind:     hidden_group_size_x
      - .offset:         158
        .size:           2
        .value_kind:     hidden_group_size_y
      - .offset:         160
        .size:           2
        .value_kind:     hidden_group_size_z
      - .offset:         162
        .size:           2
        .value_kind:     hidden_remainder_x
      - .offset:         164
        .size:           2
        .value_kind:     hidden_remainder_y
      - .offset:         166
        .size:           2
        .value_kind:     hidden_remainder_z
      - .offset:         184
        .size:           8
        .value_kind:     hidden_global_offset_x
      - .offset:         192
        .size:           8
        .value_kind:     hidden_global_offset_y
      - .offset:         200
        .size:           8
        .value_kind:     hidden_global_offset_z
      - .offset:         208
        .size:           2
        .value_kind:     hidden_grid_dims
      - .offset:         264
        .size:           4
        .value_kind:     hidden_dynamic_lds_size
    .group_segment_fixed_size: 800
    .kernarg_segment_align: 8
    .kernarg_segment_size: 400
    .language:       OpenCL C
    .language_version:
      - 2
      - 0
    .max_flat_workgroup_size: 1024
    .name:           _ZN4vllm25paged_attention_v2_kernelIffLi192ELi16ELi128ELNS_18Fp8KVCacheDataTypeE0ELb1ELi512EEEvPfS2_PT_PKS3_PKT0_S9_ifPKiSB_iPKfiiiSD_SD_iiiii
    .private_segment_fixed_size: 0
    .sgpr_count:     48
    .sgpr_spill_count: 0
    .symbol:         _ZN4vllm25paged_attention_v2_kernelIffLi192ELi16ELi128ELNS_18Fp8KVCacheDataTypeE0ELb1ELi512EEEvPfS2_PT_PKS3_PKT0_S9_ifPKiSB_iPKfiiiSD_SD_iiiii.kd
    .uniform_work_group_size: 1
    .uses_dynamic_stack: false
    .vgpr_count:     158
    .vgpr_spill_count: 0
    .wavefront_size: 32
    .workgroup_processor_mode: 1
  - .args:
      - .actual_access:  write_only
        .address_space:  global
        .offset:         0
        .size:           8
        .value_kind:     global_buffer
      - .actual_access:  write_only
        .address_space:  global
        .offset:         8
        .size:           8
        .value_kind:     global_buffer
      - .actual_access:  write_only
        .address_space:  global
        .offset:         16
        .size:           8
        .value_kind:     global_buffer
      - .actual_access:  read_only
        .address_space:  global
        .offset:         24
        .size:           8
        .value_kind:     global_buffer
      - .actual_access:  read_only
        .address_space:  global
        .offset:         32
        .size:           8
        .value_kind:     global_buffer
      - .actual_access:  read_only
        .address_space:  global
        .offset:         40
        .size:           8
        .value_kind:     global_buffer
      - .offset:         48
        .size:           4
        .value_kind:     by_value
      - .offset:         52
        .size:           4
        .value_kind:     by_value
      - .actual_access:  read_only
        .address_space:  global
        .offset:         56
        .size:           8
        .value_kind:     global_buffer
      - .actual_access:  read_only
        .address_space:  global
        .offset:         64
        .size:           8
        .value_kind:     global_buffer
      - .offset:         72
        .size:           4
        .value_kind:     by_value
      - .actual_access:  read_only
        .address_space:  global
        .offset:         80
        .size:           8
        .value_kind:     global_buffer
      - .offset:         88
        .size:           4
        .value_kind:     by_value
      - .offset:         92
        .size:           4
        .value_kind:     by_value
      - .offset:         96
        .size:           4
        .value_kind:     by_value
      - .address_space:  global
        .offset:         104
        .size:           8
        .value_kind:     global_buffer
      - .address_space:  global
        .offset:         112
        .size:           8
        .value_kind:     global_buffer
      - .offset:         120
        .size:           4
        .value_kind:     by_value
      - .offset:         124
        .size:           4
        .value_kind:     by_value
      - .offset:         128
        .size:           4
        .value_kind:     by_value
      - .offset:         132
        .size:           4
        .value_kind:     by_value
      - .offset:         136
        .size:           4
        .value_kind:     by_value
      - .offset:         144
        .size:           4
        .value_kind:     hidden_block_count_x
      - .offset:         148
        .size:           4
        .value_kind:     hidden_block_count_y
      - .offset:         152
        .size:           4
        .value_kind:     hidden_block_count_z
      - .offset:         156
        .size:           2
        .value_kind:     hidden_group_size_x
      - .offset:         158
        .size:           2
        .value_kind:     hidden_group_size_y
      - .offset:         160
        .size:           2
        .value_kind:     hidden_group_size_z
      - .offset:         162
        .size:           2
        .value_kind:     hidden_remainder_x
      - .offset:         164
        .size:           2
        .value_kind:     hidden_remainder_y
      - .offset:         166
        .size:           2
        .value_kind:     hidden_remainder_z
      - .offset:         184
        .size:           8
        .value_kind:     hidden_global_offset_x
      - .offset:         192
        .size:           8
        .value_kind:     hidden_global_offset_y
      - .offset:         200
        .size:           8
        .value_kind:     hidden_global_offset_z
      - .offset:         208
        .size:           2
        .value_kind:     hidden_grid_dims
      - .offset:         264
        .size:           4
        .value_kind:     hidden_dynamic_lds_size
    .group_segment_fixed_size: 1056
    .kernarg_segment_align: 8
    .kernarg_segment_size: 400
    .language:       OpenCL C
    .language_version:
      - 2
      - 0
    .max_flat_workgroup_size: 1024
    .name:           _ZN4vllm25paged_attention_v2_kernelIffLi256ELi16ELi128ELNS_18Fp8KVCacheDataTypeE0ELb1ELi512EEEvPfS2_PT_PKS3_PKT0_S9_ifPKiSB_iPKfiiiSD_SD_iiiii
    .private_segment_fixed_size: 48
    .sgpr_count:     48
    .sgpr_spill_count: 0
    .symbol:         _ZN4vllm25paged_attention_v2_kernelIffLi256ELi16ELi128ELNS_18Fp8KVCacheDataTypeE0ELb1ELi512EEEvPfS2_PT_PKS3_PKT0_S9_ifPKiSB_iPKfiiiSD_SD_iiiii.kd
    .uniform_work_group_size: 1
    .uses_dynamic_stack: false
    .vgpr_count:     192
    .vgpr_spill_count: 11
    .wavefront_size: 32
    .workgroup_processor_mode: 1
  - .args:
      - .actual_access:  write_only
        .address_space:  global
        .offset:         0
        .size:           8
        .value_kind:     global_buffer
      - .actual_access:  write_only
        .address_space:  global
        .offset:         8
        .size:           8
        .value_kind:     global_buffer
      - .actual_access:  write_only
        .address_space:  global
        .offset:         16
        .size:           8
        .value_kind:     global_buffer
      - .actual_access:  read_only
        .address_space:  global
        .offset:         24
        .size:           8
        .value_kind:     global_buffer
      - .actual_access:  read_only
        .address_space:  global
        .offset:         32
        .size:           8
        .value_kind:     global_buffer
      - .actual_access:  read_only
        .address_space:  global
        .offset:         40
        .size:           8
        .value_kind:     global_buffer
      - .offset:         48
        .size:           4
        .value_kind:     by_value
      - .offset:         52
        .size:           4
        .value_kind:     by_value
      - .actual_access:  read_only
        .address_space:  global
        .offset:         56
        .size:           8
        .value_kind:     global_buffer
      - .actual_access:  read_only
        .address_space:  global
        .offset:         64
        .size:           8
        .value_kind:     global_buffer
      - .offset:         72
        .size:           4
        .value_kind:     by_value
      - .actual_access:  read_only
        .address_space:  global
        .offset:         80
        .size:           8
        .value_kind:     global_buffer
      - .offset:         88
        .size:           4
        .value_kind:     by_value
      - .offset:         92
        .size:           4
        .value_kind:     by_value
      - .offset:         96
        .size:           4
        .value_kind:     by_value
      - .address_space:  global
        .offset:         104
        .size:           8
        .value_kind:     global_buffer
      - .address_space:  global
        .offset:         112
        .size:           8
        .value_kind:     global_buffer
      - .offset:         120
        .size:           4
        .value_kind:     by_value
      - .offset:         124
        .size:           4
        .value_kind:     by_value
      - .offset:         128
        .size:           4
        .value_kind:     by_value
      - .offset:         132
        .size:           4
        .value_kind:     by_value
      - .offset:         136
        .size:           4
        .value_kind:     by_value
      - .offset:         144
        .size:           4
        .value_kind:     hidden_block_count_x
      - .offset:         148
        .size:           4
        .value_kind:     hidden_block_count_y
      - .offset:         152
        .size:           4
        .value_kind:     hidden_block_count_z
      - .offset:         156
        .size:           2
        .value_kind:     hidden_group_size_x
      - .offset:         158
        .size:           2
        .value_kind:     hidden_group_size_y
      - .offset:         160
        .size:           2
        .value_kind:     hidden_group_size_z
      - .offset:         162
        .size:           2
        .value_kind:     hidden_remainder_x
      - .offset:         164
        .size:           2
        .value_kind:     hidden_remainder_y
      - .offset:         166
        .size:           2
        .value_kind:     hidden_remainder_z
      - .offset:         184
        .size:           8
        .value_kind:     hidden_global_offset_x
      - .offset:         192
        .size:           8
        .value_kind:     hidden_global_offset_y
      - .offset:         200
        .size:           8
        .value_kind:     hidden_global_offset_z
      - .offset:         208
        .size:           2
        .value_kind:     hidden_grid_dims
      - .offset:         264
        .size:           4
        .value_kind:     hidden_dynamic_lds_size
    .group_segment_fixed_size: 160
    .kernarg_segment_align: 8
    .kernarg_segment_size: 400
    .language:       OpenCL C
    .language_version:
      - 2
      - 0
    .max_flat_workgroup_size: 1024
    .name:           _ZN4vllm25paged_attention_v2_kernelIffLi32ELi16ELi128ELNS_18Fp8KVCacheDataTypeE0ELb0ELi512EEEvPfS2_PT_PKS3_PKT0_S9_ifPKiSB_iPKfiiiSD_SD_iiiii
    .private_segment_fixed_size: 0
    .sgpr_count:     42
    .sgpr_spill_count: 0
    .symbol:         _ZN4vllm25paged_attention_v2_kernelIffLi32ELi16ELi128ELNS_18Fp8KVCacheDataTypeE0ELb0ELi512EEEvPfS2_PT_PKS3_PKT0_S9_ifPKiSB_iPKfiiiSD_SD_iiiii.kd
    .uniform_work_group_size: 1
    .uses_dynamic_stack: false
    .vgpr_count:     48
    .vgpr_spill_count: 0
    .wavefront_size: 32
    .workgroup_processor_mode: 1
  - .args:
      - .actual_access:  write_only
        .address_space:  global
        .offset:         0
        .size:           8
        .value_kind:     global_buffer
      - .actual_access:  write_only
        .address_space:  global
        .offset:         8
        .size:           8
        .value_kind:     global_buffer
      - .actual_access:  write_only
        .address_space:  global
        .offset:         16
        .size:           8
        .value_kind:     global_buffer
      - .actual_access:  read_only
        .address_space:  global
        .offset:         24
        .size:           8
        .value_kind:     global_buffer
      - .actual_access:  read_only
        .address_space:  global
        .offset:         32
        .size:           8
        .value_kind:     global_buffer
      - .actual_access:  read_only
        .address_space:  global
        .offset:         40
        .size:           8
        .value_kind:     global_buffer
      - .offset:         48
        .size:           4
        .value_kind:     by_value
      - .offset:         52
        .size:           4
        .value_kind:     by_value
      - .actual_access:  read_only
        .address_space:  global
        .offset:         56
        .size:           8
        .value_kind:     global_buffer
      - .actual_access:  read_only
        .address_space:  global
        .offset:         64
        .size:           8
        .value_kind:     global_buffer
      - .offset:         72
        .size:           4
        .value_kind:     by_value
      - .actual_access:  read_only
        .address_space:  global
        .offset:         80
        .size:           8
        .value_kind:     global_buffer
      - .offset:         88
        .size:           4
        .value_kind:     by_value
      - .offset:         92
        .size:           4
        .value_kind:     by_value
      - .offset:         96
        .size:           4
        .value_kind:     by_value
      - .address_space:  global
        .offset:         104
        .size:           8
        .value_kind:     global_buffer
      - .address_space:  global
        .offset:         112
        .size:           8
        .value_kind:     global_buffer
      - .offset:         120
        .size:           4
        .value_kind:     by_value
      - .offset:         124
        .size:           4
        .value_kind:     by_value
      - .offset:         128
        .size:           4
        .value_kind:     by_value
      - .offset:         132
        .size:           4
        .value_kind:     by_value
      - .offset:         136
        .size:           4
        .value_kind:     by_value
      - .offset:         144
        .size:           4
        .value_kind:     hidden_block_count_x
      - .offset:         148
        .size:           4
        .value_kind:     hidden_block_count_y
      - .offset:         152
        .size:           4
        .value_kind:     hidden_block_count_z
      - .offset:         156
        .size:           2
        .value_kind:     hidden_group_size_x
      - .offset:         158
        .size:           2
        .value_kind:     hidden_group_size_y
      - .offset:         160
        .size:           2
        .value_kind:     hidden_group_size_z
      - .offset:         162
        .size:           2
        .value_kind:     hidden_remainder_x
      - .offset:         164
        .size:           2
        .value_kind:     hidden_remainder_y
      - .offset:         166
        .size:           2
        .value_kind:     hidden_remainder_z
      - .offset:         184
        .size:           8
        .value_kind:     hidden_global_offset_x
      - .offset:         192
        .size:           8
        .value_kind:     hidden_global_offset_y
      - .offset:         200
        .size:           8
        .value_kind:     hidden_global_offset_z
      - .offset:         208
        .size:           2
        .value_kind:     hidden_grid_dims
      - .offset:         264
        .size:           4
        .value_kind:     hidden_dynamic_lds_size
    .group_segment_fixed_size: 288
    .kernarg_segment_align: 8
    .kernarg_segment_size: 400
    .language:       OpenCL C
    .language_version:
      - 2
      - 0
    .max_flat_workgroup_size: 1024
    .name:           _ZN4vllm25paged_attention_v2_kernelIffLi64ELi16ELi128ELNS_18Fp8KVCacheDataTypeE0ELb0ELi512EEEvPfS2_PT_PKS3_PKT0_S9_ifPKiSB_iPKfiiiSD_SD_iiiii
    .private_segment_fixed_size: 0
    .sgpr_count:     42
    .sgpr_spill_count: 0
    .symbol:         _ZN4vllm25paged_attention_v2_kernelIffLi64ELi16ELi128ELNS_18Fp8KVCacheDataTypeE0ELb0ELi512EEEvPfS2_PT_PKS3_PKT0_S9_ifPKiSB_iPKfiiiSD_SD_iiiii.kd
    .uniform_work_group_size: 1
    .uses_dynamic_stack: false
    .vgpr_count:     80
    .vgpr_spill_count: 0
    .wavefront_size: 32
    .workgroup_processor_mode: 1
  - .args:
      - .actual_access:  write_only
        .address_space:  global
        .offset:         0
        .size:           8
        .value_kind:     global_buffer
      - .actual_access:  write_only
        .address_space:  global
        .offset:         8
        .size:           8
        .value_kind:     global_buffer
      - .actual_access:  write_only
        .address_space:  global
        .offset:         16
        .size:           8
        .value_kind:     global_buffer
      - .actual_access:  read_only
        .address_space:  global
        .offset:         24
        .size:           8
        .value_kind:     global_buffer
      - .actual_access:  read_only
        .address_space:  global
        .offset:         32
        .size:           8
        .value_kind:     global_buffer
      - .actual_access:  read_only
        .address_space:  global
        .offset:         40
        .size:           8
        .value_kind:     global_buffer
      - .offset:         48
        .size:           4
        .value_kind:     by_value
      - .offset:         52
        .size:           4
        .value_kind:     by_value
      - .actual_access:  read_only
        .address_space:  global
        .offset:         56
        .size:           8
        .value_kind:     global_buffer
      - .actual_access:  read_only
        .address_space:  global
        .offset:         64
        .size:           8
        .value_kind:     global_buffer
      - .offset:         72
        .size:           4
        .value_kind:     by_value
      - .actual_access:  read_only
        .address_space:  global
        .offset:         80
        .size:           8
        .value_kind:     global_buffer
      - .offset:         88
        .size:           4
        .value_kind:     by_value
      - .offset:         92
        .size:           4
        .value_kind:     by_value
      - .offset:         96
        .size:           4
        .value_kind:     by_value
      - .address_space:  global
        .offset:         104
        .size:           8
        .value_kind:     global_buffer
      - .address_space:  global
        .offset:         112
        .size:           8
        .value_kind:     global_buffer
      - .offset:         120
        .size:           4
        .value_kind:     by_value
      - .offset:         124
        .size:           4
        .value_kind:     by_value
      - .offset:         128
        .size:           4
        .value_kind:     by_value
      - .offset:         132
        .size:           4
        .value_kind:     by_value
      - .offset:         136
        .size:           4
        .value_kind:     by_value
      - .offset:         144
        .size:           4
        .value_kind:     hidden_block_count_x
      - .offset:         148
        .size:           4
        .value_kind:     hidden_block_count_y
      - .offset:         152
        .size:           4
        .value_kind:     hidden_block_count_z
      - .offset:         156
        .size:           2
        .value_kind:     hidden_group_size_x
      - .offset:         158
        .size:           2
        .value_kind:     hidden_group_size_y
      - .offset:         160
        .size:           2
        .value_kind:     hidden_group_size_z
      - .offset:         162
        .size:           2
        .value_kind:     hidden_remainder_x
      - .offset:         164
        .size:           2
        .value_kind:     hidden_remainder_y
      - .offset:         166
        .size:           2
        .value_kind:     hidden_remainder_z
      - .offset:         184
        .size:           8
        .value_kind:     hidden_global_offset_x
      - .offset:         192
        .size:           8
        .value_kind:     hidden_global_offset_y
      - .offset:         200
        .size:           8
        .value_kind:     hidden_global_offset_z
      - .offset:         208
        .size:           2
        .value_kind:     hidden_grid_dims
      - .offset:         264
        .size:           4
        .value_kind:     hidden_dynamic_lds_size
    .group_segment_fixed_size: 352
    .kernarg_segment_align: 8
    .kernarg_segment_size: 400
    .language:       OpenCL C
    .language_version:
      - 2
      - 0
    .max_flat_workgroup_size: 1024
    .name:           _ZN4vllm25paged_attention_v2_kernelIffLi80ELi16ELi128ELNS_18Fp8KVCacheDataTypeE0ELb0ELi512EEEvPfS2_PT_PKS3_PKT0_S9_ifPKiSB_iPKfiiiSD_SD_iiiii
    .private_segment_fixed_size: 0
    .sgpr_count:     40
    .sgpr_spill_count: 0
    .symbol:         _ZN4vllm25paged_attention_v2_kernelIffLi80ELi16ELi128ELNS_18Fp8KVCacheDataTypeE0ELb0ELi512EEEvPfS2_PT_PKS3_PKT0_S9_ifPKiSB_iPKfiiiSD_SD_iiiii.kd
    .uniform_work_group_size: 1
    .uses_dynamic_stack: false
    .vgpr_count:     96
    .vgpr_spill_count: 0
    .wavefront_size: 32
    .workgroup_processor_mode: 1
  - .args:
      - .actual_access:  write_only
        .address_space:  global
        .offset:         0
        .size:           8
        .value_kind:     global_buffer
      - .actual_access:  write_only
        .address_space:  global
        .offset:         8
        .size:           8
        .value_kind:     global_buffer
      - .actual_access:  write_only
        .address_space:  global
        .offset:         16
        .size:           8
        .value_kind:     global_buffer
      - .actual_access:  read_only
        .address_space:  global
        .offset:         24
        .size:           8
        .value_kind:     global_buffer
      - .actual_access:  read_only
        .address_space:  global
        .offset:         32
        .size:           8
        .value_kind:     global_buffer
      - .actual_access:  read_only
        .address_space:  global
        .offset:         40
        .size:           8
        .value_kind:     global_buffer
      - .offset:         48
        .size:           4
        .value_kind:     by_value
      - .offset:         52
        .size:           4
        .value_kind:     by_value
      - .actual_access:  read_only
        .address_space:  global
        .offset:         56
        .size:           8
        .value_kind:     global_buffer
      - .actual_access:  read_only
        .address_space:  global
        .offset:         64
        .size:           8
        .value_kind:     global_buffer
      - .offset:         72
        .size:           4
        .value_kind:     by_value
      - .actual_access:  read_only
        .address_space:  global
        .offset:         80
        .size:           8
        .value_kind:     global_buffer
      - .offset:         88
        .size:           4
        .value_kind:     by_value
      - .offset:         92
        .size:           4
        .value_kind:     by_value
      - .offset:         96
        .size:           4
        .value_kind:     by_value
      - .address_space:  global
        .offset:         104
        .size:           8
        .value_kind:     global_buffer
      - .address_space:  global
        .offset:         112
        .size:           8
        .value_kind:     global_buffer
      - .offset:         120
        .size:           4
        .value_kind:     by_value
      - .offset:         124
        .size:           4
        .value_kind:     by_value
      - .offset:         128
        .size:           4
        .value_kind:     by_value
      - .offset:         132
        .size:           4
        .value_kind:     by_value
      - .offset:         136
        .size:           4
        .value_kind:     by_value
      - .offset:         144
        .size:           4
        .value_kind:     hidden_block_count_x
      - .offset:         148
        .size:           4
        .value_kind:     hidden_block_count_y
      - .offset:         152
        .size:           4
        .value_kind:     hidden_block_count_z
      - .offset:         156
        .size:           2
        .value_kind:     hidden_group_size_x
      - .offset:         158
        .size:           2
        .value_kind:     hidden_group_size_y
      - .offset:         160
        .size:           2
        .value_kind:     hidden_group_size_z
      - .offset:         162
        .size:           2
        .value_kind:     hidden_remainder_x
      - .offset:         164
        .size:           2
        .value_kind:     hidden_remainder_y
      - .offset:         166
        .size:           2
        .value_kind:     hidden_remainder_z
      - .offset:         184
        .size:           8
        .value_kind:     hidden_global_offset_x
      - .offset:         192
        .size:           8
        .value_kind:     hidden_global_offset_y
      - .offset:         200
        .size:           8
        .value_kind:     hidden_global_offset_z
      - .offset:         208
        .size:           2
        .value_kind:     hidden_grid_dims
      - .offset:         264
        .size:           4
        .value_kind:     hidden_dynamic_lds_size
    .group_segment_fixed_size: 416
    .kernarg_segment_align: 8
    .kernarg_segment_size: 400
    .language:       OpenCL C
    .language_version:
      - 2
      - 0
    .max_flat_workgroup_size: 1024
    .name:           _ZN4vllm25paged_attention_v2_kernelIffLi96ELi16ELi128ELNS_18Fp8KVCacheDataTypeE0ELb0ELi512EEEvPfS2_PT_PKS3_PKT0_S9_ifPKiSB_iPKfiiiSD_SD_iiiii
    .private_segment_fixed_size: 0
    .sgpr_count:     40
    .sgpr_spill_count: 0
    .symbol:         _ZN4vllm25paged_attention_v2_kernelIffLi96ELi16ELi128ELNS_18Fp8KVCacheDataTypeE0ELb0ELi512EEEvPfS2_PT_PKS3_PKT0_S9_ifPKiSB_iPKfiiiSD_SD_iiiii.kd
    .uniform_work_group_size: 1
    .uses_dynamic_stack: false
    .vgpr_count:     112
    .vgpr_spill_count: 0
    .wavefront_size: 32
    .workgroup_processor_mode: 1
  - .args:
      - .actual_access:  write_only
        .address_space:  global
        .offset:         0
        .size:           8
        .value_kind:     global_buffer
      - .actual_access:  write_only
        .address_space:  global
        .offset:         8
        .size:           8
        .value_kind:     global_buffer
      - .actual_access:  write_only
        .address_space:  global
        .offset:         16
        .size:           8
        .value_kind:     global_buffer
      - .actual_access:  read_only
        .address_space:  global
        .offset:         24
        .size:           8
        .value_kind:     global_buffer
      - .actual_access:  read_only
        .address_space:  global
        .offset:         32
        .size:           8
        .value_kind:     global_buffer
      - .actual_access:  read_only
        .address_space:  global
        .offset:         40
        .size:           8
        .value_kind:     global_buffer
      - .offset:         48
        .size:           4
        .value_kind:     by_value
      - .offset:         52
        .size:           4
        .value_kind:     by_value
      - .actual_access:  read_only
        .address_space:  global
        .offset:         56
        .size:           8
        .value_kind:     global_buffer
      - .actual_access:  read_only
        .address_space:  global
        .offset:         64
        .size:           8
        .value_kind:     global_buffer
      - .offset:         72
        .size:           4
        .value_kind:     by_value
      - .actual_access:  read_only
        .address_space:  global
        .offset:         80
        .size:           8
        .value_kind:     global_buffer
      - .offset:         88
        .size:           4
        .value_kind:     by_value
      - .offset:         92
        .size:           4
        .value_kind:     by_value
      - .offset:         96
        .size:           4
        .value_kind:     by_value
      - .address_space:  global
        .offset:         104
        .size:           8
        .value_kind:     global_buffer
      - .address_space:  global
        .offset:         112
        .size:           8
        .value_kind:     global_buffer
      - .offset:         120
        .size:           4
        .value_kind:     by_value
      - .offset:         124
        .size:           4
        .value_kind:     by_value
      - .offset:         128
        .size:           4
        .value_kind:     by_value
      - .offset:         132
        .size:           4
        .value_kind:     by_value
      - .offset:         136
        .size:           4
        .value_kind:     by_value
      - .offset:         144
        .size:           4
        .value_kind:     hidden_block_count_x
      - .offset:         148
        .size:           4
        .value_kind:     hidden_block_count_y
      - .offset:         152
        .size:           4
        .value_kind:     hidden_block_count_z
      - .offset:         156
        .size:           2
        .value_kind:     hidden_group_size_x
      - .offset:         158
        .size:           2
        .value_kind:     hidden_group_size_y
      - .offset:         160
        .size:           2
        .value_kind:     hidden_group_size_z
      - .offset:         162
        .size:           2
        .value_kind:     hidden_remainder_x
      - .offset:         164
        .size:           2
        .value_kind:     hidden_remainder_y
      - .offset:         166
        .size:           2
        .value_kind:     hidden_remainder_z
      - .offset:         184
        .size:           8
        .value_kind:     hidden_global_offset_x
      - .offset:         192
        .size:           8
        .value_kind:     hidden_global_offset_y
      - .offset:         200
        .size:           8
        .value_kind:     hidden_global_offset_z
      - .offset:         208
        .size:           2
        .value_kind:     hidden_grid_dims
      - .offset:         264
        .size:           4
        .value_kind:     hidden_dynamic_lds_size
    .group_segment_fixed_size: 480
    .kernarg_segment_align: 8
    .kernarg_segment_size: 400
    .language:       OpenCL C
    .language_version:
      - 2
      - 0
    .max_flat_workgroup_size: 1024
    .name:           _ZN4vllm25paged_attention_v2_kernelIffLi112ELi16ELi128ELNS_18Fp8KVCacheDataTypeE0ELb0ELi512EEEvPfS2_PT_PKS3_PKT0_S9_ifPKiSB_iPKfiiiSD_SD_iiiii
    .private_segment_fixed_size: 0
    .sgpr_count:     40
    .sgpr_spill_count: 0
    .symbol:         _ZN4vllm25paged_attention_v2_kernelIffLi112ELi16ELi128ELNS_18Fp8KVCacheDataTypeE0ELb0ELi512EEEvPfS2_PT_PKS3_PKT0_S9_ifPKiSB_iPKfiiiSD_SD_iiiii.kd
    .uniform_work_group_size: 1
    .uses_dynamic_stack: false
    .vgpr_count:     126
    .vgpr_spill_count: 0
    .wavefront_size: 32
    .workgroup_processor_mode: 1
  - .args:
      - .actual_access:  write_only
        .address_space:  global
        .offset:         0
        .size:           8
        .value_kind:     global_buffer
      - .actual_access:  write_only
        .address_space:  global
        .offset:         8
        .size:           8
        .value_kind:     global_buffer
      - .actual_access:  write_only
        .address_space:  global
        .offset:         16
        .size:           8
        .value_kind:     global_buffer
      - .actual_access:  read_only
        .address_space:  global
        .offset:         24
        .size:           8
        .value_kind:     global_buffer
      - .actual_access:  read_only
        .address_space:  global
        .offset:         32
        .size:           8
        .value_kind:     global_buffer
      - .actual_access:  read_only
        .address_space:  global
        .offset:         40
        .size:           8
        .value_kind:     global_buffer
      - .offset:         48
        .size:           4
        .value_kind:     by_value
      - .offset:         52
        .size:           4
        .value_kind:     by_value
      - .actual_access:  read_only
        .address_space:  global
        .offset:         56
        .size:           8
        .value_kind:     global_buffer
      - .actual_access:  read_only
        .address_space:  global
        .offset:         64
        .size:           8
        .value_kind:     global_buffer
      - .offset:         72
        .size:           4
        .value_kind:     by_value
      - .actual_access:  read_only
        .address_space:  global
        .offset:         80
        .size:           8
        .value_kind:     global_buffer
      - .offset:         88
        .size:           4
        .value_kind:     by_value
      - .offset:         92
        .size:           4
        .value_kind:     by_value
      - .offset:         96
        .size:           4
        .value_kind:     by_value
      - .address_space:  global
        .offset:         104
        .size:           8
        .value_kind:     global_buffer
      - .address_space:  global
        .offset:         112
        .size:           8
        .value_kind:     global_buffer
      - .offset:         120
        .size:           4
        .value_kind:     by_value
      - .offset:         124
        .size:           4
        .value_kind:     by_value
      - .offset:         128
        .size:           4
        .value_kind:     by_value
      - .offset:         132
        .size:           4
        .value_kind:     by_value
      - .offset:         136
        .size:           4
        .value_kind:     by_value
      - .offset:         144
        .size:           4
        .value_kind:     hidden_block_count_x
      - .offset:         148
        .size:           4
        .value_kind:     hidden_block_count_y
      - .offset:         152
        .size:           4
        .value_kind:     hidden_block_count_z
      - .offset:         156
        .size:           2
        .value_kind:     hidden_group_size_x
      - .offset:         158
        .size:           2
        .value_kind:     hidden_group_size_y
      - .offset:         160
        .size:           2
        .value_kind:     hidden_group_size_z
      - .offset:         162
        .size:           2
        .value_kind:     hidden_remainder_x
      - .offset:         164
        .size:           2
        .value_kind:     hidden_remainder_y
      - .offset:         166
        .size:           2
        .value_kind:     hidden_remainder_z
      - .offset:         184
        .size:           8
        .value_kind:     hidden_global_offset_x
      - .offset:         192
        .size:           8
        .value_kind:     hidden_global_offset_y
      - .offset:         200
        .size:           8
        .value_kind:     hidden_global_offset_z
      - .offset:         208
        .size:           2
        .value_kind:     hidden_grid_dims
      - .offset:         264
        .size:           4
        .value_kind:     hidden_dynamic_lds_size
    .group_segment_fixed_size: 512
    .kernarg_segment_align: 8
    .kernarg_segment_size: 400
    .language:       OpenCL C
    .language_version:
      - 2
      - 0
    .max_flat_workgroup_size: 1024
    .name:           _ZN4vllm25paged_attention_v2_kernelIffLi120ELi16ELi128ELNS_18Fp8KVCacheDataTypeE0ELb0ELi512EEEvPfS2_PT_PKS3_PKT0_S9_ifPKiSB_iPKfiiiSD_SD_iiiii
    .private_segment_fixed_size: 0
    .sgpr_count:     40
    .sgpr_spill_count: 0
    .symbol:         _ZN4vllm25paged_attention_v2_kernelIffLi120ELi16ELi128ELNS_18Fp8KVCacheDataTypeE0ELb0ELi512EEEvPfS2_PT_PKS3_PKT0_S9_ifPKiSB_iPKfiiiSD_SD_iiiii.kd
    .uniform_work_group_size: 1
    .uses_dynamic_stack: false
    .vgpr_count:     126
    .vgpr_spill_count: 0
    .wavefront_size: 32
    .workgroup_processor_mode: 1
  - .args:
      - .actual_access:  write_only
        .address_space:  global
        .offset:         0
        .size:           8
        .value_kind:     global_buffer
      - .actual_access:  write_only
        .address_space:  global
        .offset:         8
        .size:           8
        .value_kind:     global_buffer
      - .actual_access:  write_only
        .address_space:  global
        .offset:         16
        .size:           8
        .value_kind:     global_buffer
      - .actual_access:  read_only
        .address_space:  global
        .offset:         24
        .size:           8
        .value_kind:     global_buffer
      - .actual_access:  read_only
        .address_space:  global
        .offset:         32
        .size:           8
        .value_kind:     global_buffer
      - .actual_access:  read_only
        .address_space:  global
        .offset:         40
        .size:           8
        .value_kind:     global_buffer
      - .offset:         48
        .size:           4
        .value_kind:     by_value
      - .offset:         52
        .size:           4
        .value_kind:     by_value
      - .actual_access:  read_only
        .address_space:  global
        .offset:         56
        .size:           8
        .value_kind:     global_buffer
      - .actual_access:  read_only
        .address_space:  global
        .offset:         64
        .size:           8
        .value_kind:     global_buffer
      - .offset:         72
        .size:           4
        .value_kind:     by_value
      - .actual_access:  read_only
        .address_space:  global
        .offset:         80
        .size:           8
        .value_kind:     global_buffer
      - .offset:         88
        .size:           4
        .value_kind:     by_value
      - .offset:         92
        .size:           4
        .value_kind:     by_value
      - .offset:         96
        .size:           4
        .value_kind:     by_value
      - .address_space:  global
        .offset:         104
        .size:           8
        .value_kind:     global_buffer
      - .address_space:  global
        .offset:         112
        .size:           8
        .value_kind:     global_buffer
      - .offset:         120
        .size:           4
        .value_kind:     by_value
      - .offset:         124
        .size:           4
        .value_kind:     by_value
      - .offset:         128
        .size:           4
        .value_kind:     by_value
      - .offset:         132
        .size:           4
        .value_kind:     by_value
      - .offset:         136
        .size:           4
        .value_kind:     by_value
      - .offset:         144
        .size:           4
        .value_kind:     hidden_block_count_x
      - .offset:         148
        .size:           4
        .value_kind:     hidden_block_count_y
      - .offset:         152
        .size:           4
        .value_kind:     hidden_block_count_z
      - .offset:         156
        .size:           2
        .value_kind:     hidden_group_size_x
      - .offset:         158
        .size:           2
        .value_kind:     hidden_group_size_y
      - .offset:         160
        .size:           2
        .value_kind:     hidden_group_size_z
      - .offset:         162
        .size:           2
        .value_kind:     hidden_remainder_x
      - .offset:         164
        .size:           2
        .value_kind:     hidden_remainder_y
      - .offset:         166
        .size:           2
        .value_kind:     hidden_remainder_z
      - .offset:         184
        .size:           8
        .value_kind:     hidden_global_offset_x
      - .offset:         192
        .size:           8
        .value_kind:     hidden_global_offset_y
      - .offset:         200
        .size:           8
        .value_kind:     hidden_global_offset_z
      - .offset:         208
        .size:           2
        .value_kind:     hidden_grid_dims
      - .offset:         264
        .size:           4
        .value_kind:     hidden_dynamic_lds_size
    .group_segment_fixed_size: 544
    .kernarg_segment_align: 8
    .kernarg_segment_size: 400
    .language:       OpenCL C
    .language_version:
      - 2
      - 0
    .max_flat_workgroup_size: 1024
    .name:           _ZN4vllm25paged_attention_v2_kernelIffLi128ELi16ELi128ELNS_18Fp8KVCacheDataTypeE0ELb0ELi512EEEvPfS2_PT_PKS3_PKT0_S9_ifPKiSB_iPKfiiiSD_SD_iiiii
    .private_segment_fixed_size: 0
    .sgpr_count:     42
    .sgpr_spill_count: 0
    .symbol:         _ZN4vllm25paged_attention_v2_kernelIffLi128ELi16ELi128ELNS_18Fp8KVCacheDataTypeE0ELb0ELi512EEEvPfS2_PT_PKS3_PKT0_S9_ifPKiSB_iPKfiiiSD_SD_iiiii.kd
    .uniform_work_group_size: 1
    .uses_dynamic_stack: false
    .vgpr_count:     126
    .vgpr_spill_count: 0
    .wavefront_size: 32
    .workgroup_processor_mode: 1
  - .args:
      - .actual_access:  write_only
        .address_space:  global
        .offset:         0
        .size:           8
        .value_kind:     global_buffer
      - .actual_access:  write_only
        .address_space:  global
        .offset:         8
        .size:           8
        .value_kind:     global_buffer
      - .actual_access:  write_only
        .address_space:  global
        .offset:         16
        .size:           8
        .value_kind:     global_buffer
      - .actual_access:  read_only
        .address_space:  global
        .offset:         24
        .size:           8
        .value_kind:     global_buffer
      - .actual_access:  read_only
        .address_space:  global
        .offset:         32
        .size:           8
        .value_kind:     global_buffer
      - .actual_access:  read_only
        .address_space:  global
        .offset:         40
        .size:           8
        .value_kind:     global_buffer
      - .offset:         48
        .size:           4
        .value_kind:     by_value
      - .offset:         52
        .size:           4
        .value_kind:     by_value
      - .actual_access:  read_only
        .address_space:  global
        .offset:         56
        .size:           8
        .value_kind:     global_buffer
      - .actual_access:  read_only
        .address_space:  global
        .offset:         64
        .size:           8
        .value_kind:     global_buffer
      - .offset:         72
        .size:           4
        .value_kind:     by_value
      - .actual_access:  read_only
        .address_space:  global
        .offset:         80
        .size:           8
        .value_kind:     global_buffer
      - .offset:         88
        .size:           4
        .value_kind:     by_value
      - .offset:         92
        .size:           4
        .value_kind:     by_value
      - .offset:         96
        .size:           4
        .value_kind:     by_value
      - .address_space:  global
        .offset:         104
        .size:           8
        .value_kind:     global_buffer
      - .address_space:  global
        .offset:         112
        .size:           8
        .value_kind:     global_buffer
      - .offset:         120
        .size:           4
        .value_kind:     by_value
      - .offset:         124
        .size:           4
        .value_kind:     by_value
      - .offset:         128
        .size:           4
        .value_kind:     by_value
      - .offset:         132
        .size:           4
        .value_kind:     by_value
      - .offset:         136
        .size:           4
        .value_kind:     by_value
      - .offset:         144
        .size:           4
        .value_kind:     hidden_block_count_x
      - .offset:         148
        .size:           4
        .value_kind:     hidden_block_count_y
      - .offset:         152
        .size:           4
        .value_kind:     hidden_block_count_z
      - .offset:         156
        .size:           2
        .value_kind:     hidden_group_size_x
      - .offset:         158
        .size:           2
        .value_kind:     hidden_group_size_y
      - .offset:         160
        .size:           2
        .value_kind:     hidden_group_size_z
      - .offset:         162
        .size:           2
        .value_kind:     hidden_remainder_x
      - .offset:         164
        .size:           2
        .value_kind:     hidden_remainder_y
      - .offset:         166
        .size:           2
        .value_kind:     hidden_remainder_z
      - .offset:         184
        .size:           8
        .value_kind:     hidden_global_offset_x
      - .offset:         192
        .size:           8
        .value_kind:     hidden_global_offset_y
      - .offset:         200
        .size:           8
        .value_kind:     hidden_global_offset_z
      - .offset:         208
        .size:           2
        .value_kind:     hidden_grid_dims
      - .offset:         264
        .size:           4
        .value_kind:     hidden_dynamic_lds_size
    .group_segment_fixed_size: 800
    .kernarg_segment_align: 8
    .kernarg_segment_size: 400
    .language:       OpenCL C
    .language_version:
      - 2
      - 0
    .max_flat_workgroup_size: 1024
    .name:           _ZN4vllm25paged_attention_v2_kernelIffLi192ELi16ELi128ELNS_18Fp8KVCacheDataTypeE0ELb0ELi512EEEvPfS2_PT_PKS3_PKT0_S9_ifPKiSB_iPKfiiiSD_SD_iiiii
    .private_segment_fixed_size: 0
    .sgpr_count:     40
    .sgpr_spill_count: 0
    .symbol:         _ZN4vllm25paged_attention_v2_kernelIffLi192ELi16ELi128ELNS_18Fp8KVCacheDataTypeE0ELb0ELi512EEEvPfS2_PT_PKS3_PKT0_S9_ifPKiSB_iPKfiiiSD_SD_iiiii.kd
    .uniform_work_group_size: 1
    .uses_dynamic_stack: false
    .vgpr_count:     174
    .vgpr_spill_count: 0
    .wavefront_size: 32
    .workgroup_processor_mode: 1
  - .args:
      - .actual_access:  write_only
        .address_space:  global
        .offset:         0
        .size:           8
        .value_kind:     global_buffer
      - .actual_access:  write_only
        .address_space:  global
        .offset:         8
        .size:           8
        .value_kind:     global_buffer
      - .actual_access:  write_only
        .address_space:  global
        .offset:         16
        .size:           8
        .value_kind:     global_buffer
      - .actual_access:  read_only
        .address_space:  global
        .offset:         24
        .size:           8
        .value_kind:     global_buffer
      - .actual_access:  read_only
        .address_space:  global
        .offset:         32
        .size:           8
        .value_kind:     global_buffer
      - .actual_access:  read_only
        .address_space:  global
        .offset:         40
        .size:           8
        .value_kind:     global_buffer
      - .offset:         48
        .size:           4
        .value_kind:     by_value
      - .offset:         52
        .size:           4
        .value_kind:     by_value
      - .actual_access:  read_only
        .address_space:  global
        .offset:         56
        .size:           8
        .value_kind:     global_buffer
      - .actual_access:  read_only
        .address_space:  global
        .offset:         64
        .size:           8
        .value_kind:     global_buffer
      - .offset:         72
        .size:           4
        .value_kind:     by_value
      - .actual_access:  read_only
        .address_space:  global
        .offset:         80
        .size:           8
        .value_kind:     global_buffer
      - .offset:         88
        .size:           4
        .value_kind:     by_value
      - .offset:         92
        .size:           4
        .value_kind:     by_value
      - .offset:         96
        .size:           4
        .value_kind:     by_value
      - .address_space:  global
        .offset:         104
        .size:           8
        .value_kind:     global_buffer
      - .address_space:  global
        .offset:         112
        .size:           8
        .value_kind:     global_buffer
      - .offset:         120
        .size:           4
        .value_kind:     by_value
      - .offset:         124
        .size:           4
        .value_kind:     by_value
      - .offset:         128
        .size:           4
        .value_kind:     by_value
      - .offset:         132
        .size:           4
        .value_kind:     by_value
      - .offset:         136
        .size:           4
        .value_kind:     by_value
      - .offset:         144
        .size:           4
        .value_kind:     hidden_block_count_x
      - .offset:         148
        .size:           4
        .value_kind:     hidden_block_count_y
      - .offset:         152
        .size:           4
        .value_kind:     hidden_block_count_z
      - .offset:         156
        .size:           2
        .value_kind:     hidden_group_size_x
      - .offset:         158
        .size:           2
        .value_kind:     hidden_group_size_y
      - .offset:         160
        .size:           2
        .value_kind:     hidden_group_size_z
      - .offset:         162
        .size:           2
        .value_kind:     hidden_remainder_x
      - .offset:         164
        .size:           2
        .value_kind:     hidden_remainder_y
      - .offset:         166
        .size:           2
        .value_kind:     hidden_remainder_z
      - .offset:         184
        .size:           8
        .value_kind:     hidden_global_offset_x
      - .offset:         192
        .size:           8
        .value_kind:     hidden_global_offset_y
      - .offset:         200
        .size:           8
        .value_kind:     hidden_global_offset_z
      - .offset:         208
        .size:           2
        .value_kind:     hidden_grid_dims
      - .offset:         264
        .size:           4
        .value_kind:     hidden_dynamic_lds_size
    .group_segment_fixed_size: 1056
    .kernarg_segment_align: 8
    .kernarg_segment_size: 400
    .language:       OpenCL C
    .language_version:
      - 2
      - 0
    .max_flat_workgroup_size: 1024
    .name:           _ZN4vllm25paged_attention_v2_kernelIffLi256ELi16ELi128ELNS_18Fp8KVCacheDataTypeE0ELb0ELi512EEEvPfS2_PT_PKS3_PKT0_S9_ifPKiSB_iPKfiiiSD_SD_iiiii
    .private_segment_fixed_size: 36
    .sgpr_count:     40
    .sgpr_spill_count: 0
    .symbol:         _ZN4vllm25paged_attention_v2_kernelIffLi256ELi16ELi128ELNS_18Fp8KVCacheDataTypeE0ELb0ELi512EEEvPfS2_PT_PKS3_PKT0_S9_ifPKiSB_iPKfiiiSD_SD_iiiii.kd
    .uniform_work_group_size: 1
    .uses_dynamic_stack: false
    .vgpr_count:     192
    .vgpr_spill_count: 8
    .wavefront_size: 32
    .workgroup_processor_mode: 1
  - .args:
      - .actual_access:  write_only
        .address_space:  global
        .offset:         0
        .size:           8
        .value_kind:     global_buffer
      - .actual_access:  write_only
        .address_space:  global
        .offset:         8
        .size:           8
        .value_kind:     global_buffer
      - .actual_access:  write_only
        .address_space:  global
        .offset:         16
        .size:           8
        .value_kind:     global_buffer
      - .actual_access:  read_only
        .address_space:  global
        .offset:         24
        .size:           8
        .value_kind:     global_buffer
      - .actual_access:  read_only
        .address_space:  global
        .offset:         32
        .size:           8
        .value_kind:     global_buffer
      - .actual_access:  read_only
        .address_space:  global
        .offset:         40
        .size:           8
        .value_kind:     global_buffer
      - .offset:         48
        .size:           4
        .value_kind:     by_value
      - .offset:         52
        .size:           4
        .value_kind:     by_value
      - .actual_access:  read_only
        .address_space:  global
        .offset:         56
        .size:           8
        .value_kind:     global_buffer
      - .actual_access:  read_only
        .address_space:  global
        .offset:         64
        .size:           8
        .value_kind:     global_buffer
      - .offset:         72
        .size:           4
        .value_kind:     by_value
      - .actual_access:  read_only
        .address_space:  global
        .offset:         80
        .size:           8
        .value_kind:     global_buffer
      - .offset:         88
        .size:           4
        .value_kind:     by_value
      - .offset:         92
        .size:           4
        .value_kind:     by_value
      - .offset:         96
        .size:           4
        .value_kind:     by_value
      - .address_space:  global
        .offset:         104
        .size:           8
        .value_kind:     global_buffer
      - .address_space:  global
        .offset:         112
        .size:           8
        .value_kind:     global_buffer
      - .offset:         120
        .size:           4
        .value_kind:     by_value
      - .offset:         124
        .size:           4
        .value_kind:     by_value
      - .offset:         128
        .size:           4
        .value_kind:     by_value
      - .offset:         132
        .size:           4
        .value_kind:     by_value
      - .offset:         136
        .size:           4
        .value_kind:     by_value
      - .offset:         144
        .size:           4
        .value_kind:     hidden_block_count_x
      - .offset:         148
        .size:           4
        .value_kind:     hidden_block_count_y
      - .offset:         152
        .size:           4
        .value_kind:     hidden_block_count_z
      - .offset:         156
        .size:           2
        .value_kind:     hidden_group_size_x
      - .offset:         158
        .size:           2
        .value_kind:     hidden_group_size_y
      - .offset:         160
        .size:           2
        .value_kind:     hidden_group_size_z
      - .offset:         162
        .size:           2
        .value_kind:     hidden_remainder_x
      - .offset:         164
        .size:           2
        .value_kind:     hidden_remainder_y
      - .offset:         166
        .size:           2
        .value_kind:     hidden_remainder_z
      - .offset:         184
        .size:           8
        .value_kind:     hidden_global_offset_x
      - .offset:         192
        .size:           8
        .value_kind:     hidden_global_offset_y
      - .offset:         200
        .size:           8
        .value_kind:     hidden_global_offset_z
      - .offset:         208
        .size:           2
        .value_kind:     hidden_grid_dims
      - .offset:         264
        .size:           4
        .value_kind:     hidden_dynamic_lds_size
    .group_segment_fixed_size: 160
    .kernarg_segment_align: 8
    .kernarg_segment_size: 400
    .language:       OpenCL C
    .language_version:
      - 2
      - 0
    .max_flat_workgroup_size: 1024
    .name:           _ZN4vllm25paged_attention_v2_kernelIffLi32ELi32ELi128ELNS_18Fp8KVCacheDataTypeE0ELb1ELi512EEEvPfS2_PT_PKS3_PKT0_S9_ifPKiSB_iPKfiiiSD_SD_iiiii
    .private_segment_fixed_size: 0
    .sgpr_count:     48
    .sgpr_spill_count: 0
    .symbol:         _ZN4vllm25paged_attention_v2_kernelIffLi32ELi32ELi128ELNS_18Fp8KVCacheDataTypeE0ELb1ELi512EEEvPfS2_PT_PKS3_PKT0_S9_ifPKiSB_iPKfiiiSD_SD_iiiii.kd
    .uniform_work_group_size: 1
    .uses_dynamic_stack: false
    .vgpr_count:     83
    .vgpr_spill_count: 0
    .wavefront_size: 32
    .workgroup_processor_mode: 1
  - .args:
      - .actual_access:  write_only
        .address_space:  global
        .offset:         0
        .size:           8
        .value_kind:     global_buffer
      - .actual_access:  write_only
        .address_space:  global
        .offset:         8
        .size:           8
        .value_kind:     global_buffer
      - .actual_access:  write_only
        .address_space:  global
        .offset:         16
        .size:           8
        .value_kind:     global_buffer
      - .actual_access:  read_only
        .address_space:  global
        .offset:         24
        .size:           8
        .value_kind:     global_buffer
      - .actual_access:  read_only
        .address_space:  global
        .offset:         32
        .size:           8
        .value_kind:     global_buffer
      - .actual_access:  read_only
        .address_space:  global
        .offset:         40
        .size:           8
        .value_kind:     global_buffer
      - .offset:         48
        .size:           4
        .value_kind:     by_value
      - .offset:         52
        .size:           4
        .value_kind:     by_value
      - .actual_access:  read_only
        .address_space:  global
        .offset:         56
        .size:           8
        .value_kind:     global_buffer
      - .actual_access:  read_only
        .address_space:  global
        .offset:         64
        .size:           8
        .value_kind:     global_buffer
      - .offset:         72
        .size:           4
        .value_kind:     by_value
      - .actual_access:  read_only
        .address_space:  global
        .offset:         80
        .size:           8
        .value_kind:     global_buffer
      - .offset:         88
        .size:           4
        .value_kind:     by_value
      - .offset:         92
        .size:           4
        .value_kind:     by_value
      - .offset:         96
        .size:           4
        .value_kind:     by_value
      - .address_space:  global
        .offset:         104
        .size:           8
        .value_kind:     global_buffer
      - .address_space:  global
        .offset:         112
        .size:           8
        .value_kind:     global_buffer
      - .offset:         120
        .size:           4
        .value_kind:     by_value
      - .offset:         124
        .size:           4
        .value_kind:     by_value
      - .offset:         128
        .size:           4
        .value_kind:     by_value
      - .offset:         132
        .size:           4
        .value_kind:     by_value
      - .offset:         136
        .size:           4
        .value_kind:     by_value
      - .offset:         144
        .size:           4
        .value_kind:     hidden_block_count_x
      - .offset:         148
        .size:           4
        .value_kind:     hidden_block_count_y
      - .offset:         152
        .size:           4
        .value_kind:     hidden_block_count_z
      - .offset:         156
        .size:           2
        .value_kind:     hidden_group_size_x
      - .offset:         158
        .size:           2
        .value_kind:     hidden_group_size_y
      - .offset:         160
        .size:           2
        .value_kind:     hidden_group_size_z
      - .offset:         162
        .size:           2
        .value_kind:     hidden_remainder_x
      - .offset:         164
        .size:           2
        .value_kind:     hidden_remainder_y
      - .offset:         166
        .size:           2
        .value_kind:     hidden_remainder_z
      - .offset:         184
        .size:           8
        .value_kind:     hidden_global_offset_x
      - .offset:         192
        .size:           8
        .value_kind:     hidden_global_offset_y
      - .offset:         200
        .size:           8
        .value_kind:     hidden_global_offset_z
      - .offset:         208
        .size:           2
        .value_kind:     hidden_grid_dims
      - .offset:         264
        .size:           4
        .value_kind:     hidden_dynamic_lds_size
    .group_segment_fixed_size: 288
    .kernarg_segment_align: 8
    .kernarg_segment_size: 400
    .language:       OpenCL C
    .language_version:
      - 2
      - 0
    .max_flat_workgroup_size: 1024
    .name:           _ZN4vllm25paged_attention_v2_kernelIffLi64ELi32ELi128ELNS_18Fp8KVCacheDataTypeE0ELb1ELi512EEEvPfS2_PT_PKS3_PKT0_S9_ifPKiSB_iPKfiiiSD_SD_iiiii
    .private_segment_fixed_size: 0
    .sgpr_count:     48
    .sgpr_spill_count: 0
    .symbol:         _ZN4vllm25paged_attention_v2_kernelIffLi64ELi32ELi128ELNS_18Fp8KVCacheDataTypeE0ELb1ELi512EEEvPfS2_PT_PKS3_PKT0_S9_ifPKiSB_iPKfiiiSD_SD_iiiii.kd
    .uniform_work_group_size: 1
    .uses_dynamic_stack: false
    .vgpr_count:     124
    .vgpr_spill_count: 0
    .wavefront_size: 32
    .workgroup_processor_mode: 1
  - .args:
      - .actual_access:  write_only
        .address_space:  global
        .offset:         0
        .size:           8
        .value_kind:     global_buffer
      - .actual_access:  write_only
        .address_space:  global
        .offset:         8
        .size:           8
        .value_kind:     global_buffer
      - .actual_access:  write_only
        .address_space:  global
        .offset:         16
        .size:           8
        .value_kind:     global_buffer
      - .actual_access:  read_only
        .address_space:  global
        .offset:         24
        .size:           8
        .value_kind:     global_buffer
      - .actual_access:  read_only
        .address_space:  global
        .offset:         32
        .size:           8
        .value_kind:     global_buffer
      - .actual_access:  read_only
        .address_space:  global
        .offset:         40
        .size:           8
        .value_kind:     global_buffer
      - .offset:         48
        .size:           4
        .value_kind:     by_value
      - .offset:         52
        .size:           4
        .value_kind:     by_value
      - .actual_access:  read_only
        .address_space:  global
        .offset:         56
        .size:           8
        .value_kind:     global_buffer
      - .actual_access:  read_only
        .address_space:  global
        .offset:         64
        .size:           8
        .value_kind:     global_buffer
      - .offset:         72
        .size:           4
        .value_kind:     by_value
      - .actual_access:  read_only
        .address_space:  global
        .offset:         80
        .size:           8
        .value_kind:     global_buffer
      - .offset:         88
        .size:           4
        .value_kind:     by_value
      - .offset:         92
        .size:           4
        .value_kind:     by_value
      - .offset:         96
        .size:           4
        .value_kind:     by_value
      - .address_space:  global
        .offset:         104
        .size:           8
        .value_kind:     global_buffer
      - .address_space:  global
        .offset:         112
        .size:           8
        .value_kind:     global_buffer
      - .offset:         120
        .size:           4
        .value_kind:     by_value
      - .offset:         124
        .size:           4
        .value_kind:     by_value
      - .offset:         128
        .size:           4
        .value_kind:     by_value
      - .offset:         132
        .size:           4
        .value_kind:     by_value
      - .offset:         136
        .size:           4
        .value_kind:     by_value
      - .offset:         144
        .size:           4
        .value_kind:     hidden_block_count_x
      - .offset:         148
        .size:           4
        .value_kind:     hidden_block_count_y
      - .offset:         152
        .size:           4
        .value_kind:     hidden_block_count_z
      - .offset:         156
        .size:           2
        .value_kind:     hidden_group_size_x
      - .offset:         158
        .size:           2
        .value_kind:     hidden_group_size_y
      - .offset:         160
        .size:           2
        .value_kind:     hidden_group_size_z
      - .offset:         162
        .size:           2
        .value_kind:     hidden_remainder_x
      - .offset:         164
        .size:           2
        .value_kind:     hidden_remainder_y
      - .offset:         166
        .size:           2
        .value_kind:     hidden_remainder_z
      - .offset:         184
        .size:           8
        .value_kind:     hidden_global_offset_x
      - .offset:         192
        .size:           8
        .value_kind:     hidden_global_offset_y
      - .offset:         200
        .size:           8
        .value_kind:     hidden_global_offset_z
      - .offset:         208
        .size:           2
        .value_kind:     hidden_grid_dims
      - .offset:         264
        .size:           4
        .value_kind:     hidden_dynamic_lds_size
    .group_segment_fixed_size: 352
    .kernarg_segment_align: 8
    .kernarg_segment_size: 400
    .language:       OpenCL C
    .language_version:
      - 2
      - 0
    .max_flat_workgroup_size: 1024
    .name:           _ZN4vllm25paged_attention_v2_kernelIffLi80ELi32ELi128ELNS_18Fp8KVCacheDataTypeE0ELb1ELi512EEEvPfS2_PT_PKS3_PKT0_S9_ifPKiSB_iPKfiiiSD_SD_iiiii
    .private_segment_fixed_size: 0
    .sgpr_count:     48
    .sgpr_spill_count: 0
    .symbol:         _ZN4vllm25paged_attention_v2_kernelIffLi80ELi32ELi128ELNS_18Fp8KVCacheDataTypeE0ELb1ELi512EEEvPfS2_PT_PKS3_PKT0_S9_ifPKiSB_iPKfiiiSD_SD_iiiii.kd
    .uniform_work_group_size: 1
    .uses_dynamic_stack: false
    .vgpr_count:     148
    .vgpr_spill_count: 0
    .wavefront_size: 32
    .workgroup_processor_mode: 1
  - .args:
      - .actual_access:  write_only
        .address_space:  global
        .offset:         0
        .size:           8
        .value_kind:     global_buffer
      - .actual_access:  write_only
        .address_space:  global
        .offset:         8
        .size:           8
        .value_kind:     global_buffer
      - .actual_access:  write_only
        .address_space:  global
        .offset:         16
        .size:           8
        .value_kind:     global_buffer
      - .actual_access:  read_only
        .address_space:  global
        .offset:         24
        .size:           8
        .value_kind:     global_buffer
      - .actual_access:  read_only
        .address_space:  global
        .offset:         32
        .size:           8
        .value_kind:     global_buffer
      - .actual_access:  read_only
        .address_space:  global
        .offset:         40
        .size:           8
        .value_kind:     global_buffer
      - .offset:         48
        .size:           4
        .value_kind:     by_value
      - .offset:         52
        .size:           4
        .value_kind:     by_value
      - .actual_access:  read_only
        .address_space:  global
        .offset:         56
        .size:           8
        .value_kind:     global_buffer
      - .actual_access:  read_only
        .address_space:  global
        .offset:         64
        .size:           8
        .value_kind:     global_buffer
      - .offset:         72
        .size:           4
        .value_kind:     by_value
      - .actual_access:  read_only
        .address_space:  global
        .offset:         80
        .size:           8
        .value_kind:     global_buffer
      - .offset:         88
        .size:           4
        .value_kind:     by_value
      - .offset:         92
        .size:           4
        .value_kind:     by_value
      - .offset:         96
        .size:           4
        .value_kind:     by_value
      - .address_space:  global
        .offset:         104
        .size:           8
        .value_kind:     global_buffer
      - .address_space:  global
        .offset:         112
        .size:           8
        .value_kind:     global_buffer
      - .offset:         120
        .size:           4
        .value_kind:     by_value
      - .offset:         124
        .size:           4
        .value_kind:     by_value
      - .offset:         128
        .size:           4
        .value_kind:     by_value
      - .offset:         132
        .size:           4
        .value_kind:     by_value
      - .offset:         136
        .size:           4
        .value_kind:     by_value
      - .offset:         144
        .size:           4
        .value_kind:     hidden_block_count_x
      - .offset:         148
        .size:           4
        .value_kind:     hidden_block_count_y
      - .offset:         152
        .size:           4
        .value_kind:     hidden_block_count_z
      - .offset:         156
        .size:           2
        .value_kind:     hidden_group_size_x
      - .offset:         158
        .size:           2
        .value_kind:     hidden_group_size_y
      - .offset:         160
        .size:           2
        .value_kind:     hidden_group_size_z
      - .offset:         162
        .size:           2
        .value_kind:     hidden_remainder_x
      - .offset:         164
        .size:           2
        .value_kind:     hidden_remainder_y
      - .offset:         166
        .size:           2
        .value_kind:     hidden_remainder_z
      - .offset:         184
        .size:           8
        .value_kind:     hidden_global_offset_x
      - .offset:         192
        .size:           8
        .value_kind:     hidden_global_offset_y
      - .offset:         200
        .size:           8
        .value_kind:     hidden_global_offset_z
      - .offset:         208
        .size:           2
        .value_kind:     hidden_grid_dims
      - .offset:         264
        .size:           4
        .value_kind:     hidden_dynamic_lds_size
    .group_segment_fixed_size: 416
    .kernarg_segment_align: 8
    .kernarg_segment_size: 400
    .language:       OpenCL C
    .language_version:
      - 2
      - 0
    .max_flat_workgroup_size: 1024
    .name:           _ZN4vllm25paged_attention_v2_kernelIffLi96ELi32ELi128ELNS_18Fp8KVCacheDataTypeE0ELb1ELi512EEEvPfS2_PT_PKS3_PKT0_S9_ifPKiSB_iPKfiiiSD_SD_iiiii
    .private_segment_fixed_size: 0
    .sgpr_count:     48
    .sgpr_spill_count: 0
    .symbol:         _ZN4vllm25paged_attention_v2_kernelIffLi96ELi32ELi128ELNS_18Fp8KVCacheDataTypeE0ELb1ELi512EEEvPfS2_PT_PKS3_PKT0_S9_ifPKiSB_iPKfiiiSD_SD_iiiii.kd
    .uniform_work_group_size: 1
    .uses_dynamic_stack: false
    .vgpr_count:     172
    .vgpr_spill_count: 0
    .wavefront_size: 32
    .workgroup_processor_mode: 1
  - .args:
      - .actual_access:  write_only
        .address_space:  global
        .offset:         0
        .size:           8
        .value_kind:     global_buffer
      - .actual_access:  write_only
        .address_space:  global
        .offset:         8
        .size:           8
        .value_kind:     global_buffer
      - .actual_access:  write_only
        .address_space:  global
        .offset:         16
        .size:           8
        .value_kind:     global_buffer
      - .actual_access:  read_only
        .address_space:  global
        .offset:         24
        .size:           8
        .value_kind:     global_buffer
      - .actual_access:  read_only
        .address_space:  global
        .offset:         32
        .size:           8
        .value_kind:     global_buffer
      - .actual_access:  read_only
        .address_space:  global
        .offset:         40
        .size:           8
        .value_kind:     global_buffer
      - .offset:         48
        .size:           4
        .value_kind:     by_value
      - .offset:         52
        .size:           4
        .value_kind:     by_value
      - .actual_access:  read_only
        .address_space:  global
        .offset:         56
        .size:           8
        .value_kind:     global_buffer
      - .actual_access:  read_only
        .address_space:  global
        .offset:         64
        .size:           8
        .value_kind:     global_buffer
      - .offset:         72
        .size:           4
        .value_kind:     by_value
      - .actual_access:  read_only
        .address_space:  global
        .offset:         80
        .size:           8
        .value_kind:     global_buffer
      - .offset:         88
        .size:           4
        .value_kind:     by_value
      - .offset:         92
        .size:           4
        .value_kind:     by_value
      - .offset:         96
        .size:           4
        .value_kind:     by_value
      - .address_space:  global
        .offset:         104
        .size:           8
        .value_kind:     global_buffer
      - .address_space:  global
        .offset:         112
        .size:           8
        .value_kind:     global_buffer
      - .offset:         120
        .size:           4
        .value_kind:     by_value
      - .offset:         124
        .size:           4
        .value_kind:     by_value
      - .offset:         128
        .size:           4
        .value_kind:     by_value
      - .offset:         132
        .size:           4
        .value_kind:     by_value
      - .offset:         136
        .size:           4
        .value_kind:     by_value
      - .offset:         144
        .size:           4
        .value_kind:     hidden_block_count_x
      - .offset:         148
        .size:           4
        .value_kind:     hidden_block_count_y
      - .offset:         152
        .size:           4
        .value_kind:     hidden_block_count_z
      - .offset:         156
        .size:           2
        .value_kind:     hidden_group_size_x
      - .offset:         158
        .size:           2
        .value_kind:     hidden_group_size_y
      - .offset:         160
        .size:           2
        .value_kind:     hidden_group_size_z
      - .offset:         162
        .size:           2
        .value_kind:     hidden_remainder_x
      - .offset:         164
        .size:           2
        .value_kind:     hidden_remainder_y
      - .offset:         166
        .size:           2
        .value_kind:     hidden_remainder_z
      - .offset:         184
        .size:           8
        .value_kind:     hidden_global_offset_x
      - .offset:         192
        .size:           8
        .value_kind:     hidden_global_offset_y
      - .offset:         200
        .size:           8
        .value_kind:     hidden_global_offset_z
      - .offset:         208
        .size:           2
        .value_kind:     hidden_grid_dims
      - .offset:         264
        .size:           4
        .value_kind:     hidden_dynamic_lds_size
    .group_segment_fixed_size: 480
    .kernarg_segment_align: 8
    .kernarg_segment_size: 400
    .language:       OpenCL C
    .language_version:
      - 2
      - 0
    .max_flat_workgroup_size: 1024
    .name:           _ZN4vllm25paged_attention_v2_kernelIffLi112ELi32ELi128ELNS_18Fp8KVCacheDataTypeE0ELb1ELi512EEEvPfS2_PT_PKS3_PKT0_S9_ifPKiSB_iPKfiiiSD_SD_iiiii
    .private_segment_fixed_size: 0
    .sgpr_count:     48
    .sgpr_spill_count: 0
    .symbol:         _ZN4vllm25paged_attention_v2_kernelIffLi112ELi32ELi128ELNS_18Fp8KVCacheDataTypeE0ELb1ELi512EEEvPfS2_PT_PKS3_PKT0_S9_ifPKiSB_iPKfiiiSD_SD_iiiii.kd
    .uniform_work_group_size: 1
    .uses_dynamic_stack: false
    .vgpr_count:     183
    .vgpr_spill_count: 0
    .wavefront_size: 32
    .workgroup_processor_mode: 1
  - .args:
      - .actual_access:  write_only
        .address_space:  global
        .offset:         0
        .size:           8
        .value_kind:     global_buffer
      - .actual_access:  write_only
        .address_space:  global
        .offset:         8
        .size:           8
        .value_kind:     global_buffer
      - .actual_access:  write_only
        .address_space:  global
        .offset:         16
        .size:           8
        .value_kind:     global_buffer
      - .actual_access:  read_only
        .address_space:  global
        .offset:         24
        .size:           8
        .value_kind:     global_buffer
      - .actual_access:  read_only
        .address_space:  global
        .offset:         32
        .size:           8
        .value_kind:     global_buffer
      - .actual_access:  read_only
        .address_space:  global
        .offset:         40
        .size:           8
        .value_kind:     global_buffer
      - .offset:         48
        .size:           4
        .value_kind:     by_value
      - .offset:         52
        .size:           4
        .value_kind:     by_value
      - .actual_access:  read_only
        .address_space:  global
        .offset:         56
        .size:           8
        .value_kind:     global_buffer
      - .actual_access:  read_only
        .address_space:  global
        .offset:         64
        .size:           8
        .value_kind:     global_buffer
      - .offset:         72
        .size:           4
        .value_kind:     by_value
      - .actual_access:  read_only
        .address_space:  global
        .offset:         80
        .size:           8
        .value_kind:     global_buffer
      - .offset:         88
        .size:           4
        .value_kind:     by_value
      - .offset:         92
        .size:           4
        .value_kind:     by_value
      - .offset:         96
        .size:           4
        .value_kind:     by_value
      - .address_space:  global
        .offset:         104
        .size:           8
        .value_kind:     global_buffer
      - .address_space:  global
        .offset:         112
        .size:           8
        .value_kind:     global_buffer
      - .offset:         120
        .size:           4
        .value_kind:     by_value
      - .offset:         124
        .size:           4
        .value_kind:     by_value
      - .offset:         128
        .size:           4
        .value_kind:     by_value
      - .offset:         132
        .size:           4
        .value_kind:     by_value
      - .offset:         136
        .size:           4
        .value_kind:     by_value
      - .offset:         144
        .size:           4
        .value_kind:     hidden_block_count_x
      - .offset:         148
        .size:           4
        .value_kind:     hidden_block_count_y
      - .offset:         152
        .size:           4
        .value_kind:     hidden_block_count_z
      - .offset:         156
        .size:           2
        .value_kind:     hidden_group_size_x
      - .offset:         158
        .size:           2
        .value_kind:     hidden_group_size_y
      - .offset:         160
        .size:           2
        .value_kind:     hidden_group_size_z
      - .offset:         162
        .size:           2
        .value_kind:     hidden_remainder_x
      - .offset:         164
        .size:           2
        .value_kind:     hidden_remainder_y
      - .offset:         166
        .size:           2
        .value_kind:     hidden_remainder_z
      - .offset:         184
        .size:           8
        .value_kind:     hidden_global_offset_x
      - .offset:         192
        .size:           8
        .value_kind:     hidden_global_offset_y
      - .offset:         200
        .size:           8
        .value_kind:     hidden_global_offset_z
      - .offset:         208
        .size:           2
        .value_kind:     hidden_grid_dims
      - .offset:         264
        .size:           4
        .value_kind:     hidden_dynamic_lds_size
    .group_segment_fixed_size: 512
    .kernarg_segment_align: 8
    .kernarg_segment_size: 400
    .language:       OpenCL C
    .language_version:
      - 2
      - 0
    .max_flat_workgroup_size: 1024
    .name:           _ZN4vllm25paged_attention_v2_kernelIffLi120ELi32ELi128ELNS_18Fp8KVCacheDataTypeE0ELb1ELi512EEEvPfS2_PT_PKS3_PKT0_S9_ifPKiSB_iPKfiiiSD_SD_iiiii
    .private_segment_fixed_size: 0
    .sgpr_count:     48
    .sgpr_spill_count: 0
    .symbol:         _ZN4vllm25paged_attention_v2_kernelIffLi120ELi32ELi128ELNS_18Fp8KVCacheDataTypeE0ELb1ELi512EEEvPfS2_PT_PKS3_PKT0_S9_ifPKiSB_iPKfiiiSD_SD_iiiii.kd
    .uniform_work_group_size: 1
    .uses_dynamic_stack: false
    .vgpr_count:     192
    .vgpr_spill_count: 0
    .wavefront_size: 32
    .workgroup_processor_mode: 1
  - .args:
      - .actual_access:  write_only
        .address_space:  global
        .offset:         0
        .size:           8
        .value_kind:     global_buffer
      - .actual_access:  write_only
        .address_space:  global
        .offset:         8
        .size:           8
        .value_kind:     global_buffer
      - .actual_access:  write_only
        .address_space:  global
        .offset:         16
        .size:           8
        .value_kind:     global_buffer
      - .actual_access:  read_only
        .address_space:  global
        .offset:         24
        .size:           8
        .value_kind:     global_buffer
      - .actual_access:  read_only
        .address_space:  global
        .offset:         32
        .size:           8
        .value_kind:     global_buffer
      - .actual_access:  read_only
        .address_space:  global
        .offset:         40
        .size:           8
        .value_kind:     global_buffer
      - .offset:         48
        .size:           4
        .value_kind:     by_value
      - .offset:         52
        .size:           4
        .value_kind:     by_value
      - .actual_access:  read_only
        .address_space:  global
        .offset:         56
        .size:           8
        .value_kind:     global_buffer
      - .actual_access:  read_only
        .address_space:  global
        .offset:         64
        .size:           8
        .value_kind:     global_buffer
      - .offset:         72
        .size:           4
        .value_kind:     by_value
      - .actual_access:  read_only
        .address_space:  global
        .offset:         80
        .size:           8
        .value_kind:     global_buffer
      - .offset:         88
        .size:           4
        .value_kind:     by_value
      - .offset:         92
        .size:           4
        .value_kind:     by_value
      - .offset:         96
        .size:           4
        .value_kind:     by_value
      - .address_space:  global
        .offset:         104
        .size:           8
        .value_kind:     global_buffer
      - .address_space:  global
        .offset:         112
        .size:           8
        .value_kind:     global_buffer
      - .offset:         120
        .size:           4
        .value_kind:     by_value
      - .offset:         124
        .size:           4
        .value_kind:     by_value
      - .offset:         128
        .size:           4
        .value_kind:     by_value
      - .offset:         132
        .size:           4
        .value_kind:     by_value
      - .offset:         136
        .size:           4
        .value_kind:     by_value
      - .offset:         144
        .size:           4
        .value_kind:     hidden_block_count_x
      - .offset:         148
        .size:           4
        .value_kind:     hidden_block_count_y
      - .offset:         152
        .size:           4
        .value_kind:     hidden_block_count_z
      - .offset:         156
        .size:           2
        .value_kind:     hidden_group_size_x
      - .offset:         158
        .size:           2
        .value_kind:     hidden_group_size_y
      - .offset:         160
        .size:           2
        .value_kind:     hidden_group_size_z
      - .offset:         162
        .size:           2
        .value_kind:     hidden_remainder_x
      - .offset:         164
        .size:           2
        .value_kind:     hidden_remainder_y
      - .offset:         166
        .size:           2
        .value_kind:     hidden_remainder_z
      - .offset:         184
        .size:           8
        .value_kind:     hidden_global_offset_x
      - .offset:         192
        .size:           8
        .value_kind:     hidden_global_offset_y
      - .offset:         200
        .size:           8
        .value_kind:     hidden_global_offset_z
      - .offset:         208
        .size:           2
        .value_kind:     hidden_grid_dims
      - .offset:         264
        .size:           4
        .value_kind:     hidden_dynamic_lds_size
    .group_segment_fixed_size: 544
    .kernarg_segment_align: 8
    .kernarg_segment_size: 400
    .language:       OpenCL C
    .language_version:
      - 2
      - 0
    .max_flat_workgroup_size: 1024
    .name:           _ZN4vllm25paged_attention_v2_kernelIffLi128ELi32ELi128ELNS_18Fp8KVCacheDataTypeE0ELb1ELi512EEEvPfS2_PT_PKS3_PKT0_S9_ifPKiSB_iPKfiiiSD_SD_iiiii
    .private_segment_fixed_size: 52
    .sgpr_count:     50
    .sgpr_spill_count: 0
    .symbol:         _ZN4vllm25paged_attention_v2_kernelIffLi128ELi32ELi128ELNS_18Fp8KVCacheDataTypeE0ELb1ELi512EEEvPfS2_PT_PKS3_PKT0_S9_ifPKiSB_iPKfiiiSD_SD_iiiii.kd
    .uniform_work_group_size: 1
    .uses_dynamic_stack: false
    .vgpr_count:     192
    .vgpr_spill_count: 12
    .wavefront_size: 32
    .workgroup_processor_mode: 1
  - .args:
      - .actual_access:  write_only
        .address_space:  global
        .offset:         0
        .size:           8
        .value_kind:     global_buffer
      - .actual_access:  write_only
        .address_space:  global
        .offset:         8
        .size:           8
        .value_kind:     global_buffer
      - .actual_access:  write_only
        .address_space:  global
        .offset:         16
        .size:           8
        .value_kind:     global_buffer
      - .actual_access:  read_only
        .address_space:  global
        .offset:         24
        .size:           8
        .value_kind:     global_buffer
      - .actual_access:  read_only
        .address_space:  global
        .offset:         32
        .size:           8
        .value_kind:     global_buffer
      - .actual_access:  read_only
        .address_space:  global
        .offset:         40
        .size:           8
        .value_kind:     global_buffer
      - .offset:         48
        .size:           4
        .value_kind:     by_value
      - .offset:         52
        .size:           4
        .value_kind:     by_value
      - .actual_access:  read_only
        .address_space:  global
        .offset:         56
        .size:           8
        .value_kind:     global_buffer
      - .actual_access:  read_only
        .address_space:  global
        .offset:         64
        .size:           8
        .value_kind:     global_buffer
      - .offset:         72
        .size:           4
        .value_kind:     by_value
      - .actual_access:  read_only
        .address_space:  global
        .offset:         80
        .size:           8
        .value_kind:     global_buffer
      - .offset:         88
        .size:           4
        .value_kind:     by_value
      - .offset:         92
        .size:           4
        .value_kind:     by_value
      - .offset:         96
        .size:           4
        .value_kind:     by_value
      - .address_space:  global
        .offset:         104
        .size:           8
        .value_kind:     global_buffer
      - .address_space:  global
        .offset:         112
        .size:           8
        .value_kind:     global_buffer
      - .offset:         120
        .size:           4
        .value_kind:     by_value
      - .offset:         124
        .size:           4
        .value_kind:     by_value
      - .offset:         128
        .size:           4
        .value_kind:     by_value
      - .offset:         132
        .size:           4
        .value_kind:     by_value
      - .offset:         136
        .size:           4
        .value_kind:     by_value
      - .offset:         144
        .size:           4
        .value_kind:     hidden_block_count_x
      - .offset:         148
        .size:           4
        .value_kind:     hidden_block_count_y
      - .offset:         152
        .size:           4
        .value_kind:     hidden_block_count_z
      - .offset:         156
        .size:           2
        .value_kind:     hidden_group_size_x
      - .offset:         158
        .size:           2
        .value_kind:     hidden_group_size_y
      - .offset:         160
        .size:           2
        .value_kind:     hidden_group_size_z
      - .offset:         162
        .size:           2
        .value_kind:     hidden_remainder_x
      - .offset:         164
        .size:           2
        .value_kind:     hidden_remainder_y
      - .offset:         166
        .size:           2
        .value_kind:     hidden_remainder_z
      - .offset:         184
        .size:           8
        .value_kind:     hidden_global_offset_x
      - .offset:         192
        .size:           8
        .value_kind:     hidden_global_offset_y
      - .offset:         200
        .size:           8
        .value_kind:     hidden_global_offset_z
      - .offset:         208
        .size:           2
        .value_kind:     hidden_grid_dims
      - .offset:         264
        .size:           4
        .value_kind:     hidden_dynamic_lds_size
    .group_segment_fixed_size: 800
    .kernarg_segment_align: 8
    .kernarg_segment_size: 400
    .language:       OpenCL C
    .language_version:
      - 2
      - 0
    .max_flat_workgroup_size: 1024
    .name:           _ZN4vllm25paged_attention_v2_kernelIffLi192ELi32ELi128ELNS_18Fp8KVCacheDataTypeE0ELb1ELi512EEEvPfS2_PT_PKS3_PKT0_S9_ifPKiSB_iPKfiiiSD_SD_iiiii
    .private_segment_fixed_size: 512
    .sgpr_count:     46
    .sgpr_spill_count: 0
    .symbol:         _ZN4vllm25paged_attention_v2_kernelIffLi192ELi32ELi128ELNS_18Fp8KVCacheDataTypeE0ELb1ELi512EEEvPfS2_PT_PKS3_PKT0_S9_ifPKiSB_iPKfiiiSD_SD_iiiii.kd
    .uniform_work_group_size: 1
    .uses_dynamic_stack: false
    .vgpr_count:     192
    .vgpr_spill_count: 153
    .wavefront_size: 32
    .workgroup_processor_mode: 1
  - .args:
      - .actual_access:  write_only
        .address_space:  global
        .offset:         0
        .size:           8
        .value_kind:     global_buffer
      - .actual_access:  write_only
        .address_space:  global
        .offset:         8
        .size:           8
        .value_kind:     global_buffer
      - .actual_access:  write_only
        .address_space:  global
        .offset:         16
        .size:           8
        .value_kind:     global_buffer
      - .actual_access:  read_only
        .address_space:  global
        .offset:         24
        .size:           8
        .value_kind:     global_buffer
      - .actual_access:  read_only
        .address_space:  global
        .offset:         32
        .size:           8
        .value_kind:     global_buffer
      - .actual_access:  read_only
        .address_space:  global
        .offset:         40
        .size:           8
        .value_kind:     global_buffer
      - .offset:         48
        .size:           4
        .value_kind:     by_value
      - .offset:         52
        .size:           4
        .value_kind:     by_value
      - .actual_access:  read_only
        .address_space:  global
        .offset:         56
        .size:           8
        .value_kind:     global_buffer
      - .actual_access:  read_only
        .address_space:  global
        .offset:         64
        .size:           8
        .value_kind:     global_buffer
      - .offset:         72
        .size:           4
        .value_kind:     by_value
      - .address_space:  global
        .offset:         80
        .size:           8
        .value_kind:     global_buffer
      - .offset:         88
        .size:           4
        .value_kind:     by_value
      - .offset:         92
        .size:           4
        .value_kind:     by_value
      - .offset:         96
        .size:           4
        .value_kind:     by_value
      - .address_space:  global
        .offset:         104
        .size:           8
        .value_kind:     global_buffer
      - .address_space:  global
        .offset:         112
        .size:           8
        .value_kind:     global_buffer
      - .offset:         120
        .size:           4
        .value_kind:     by_value
      - .offset:         124
        .size:           4
        .value_kind:     by_value
      - .offset:         128
        .size:           4
        .value_kind:     by_value
      - .offset:         132
        .size:           4
        .value_kind:     by_value
      - .offset:         136
        .size:           4
        .value_kind:     by_value
      - .offset:         144
        .size:           4
        .value_kind:     hidden_block_count_x
      - .offset:         148
        .size:           4
        .value_kind:     hidden_block_count_y
      - .offset:         152
        .size:           4
        .value_kind:     hidden_block_count_z
      - .offset:         156
        .size:           2
        .value_kind:     hidden_group_size_x
      - .offset:         158
        .size:           2
        .value_kind:     hidden_group_size_y
      - .offset:         160
        .size:           2
        .value_kind:     hidden_group_size_z
      - .offset:         162
        .size:           2
        .value_kind:     hidden_remainder_x
      - .offset:         164
        .size:           2
        .value_kind:     hidden_remainder_y
      - .offset:         166
        .size:           2
        .value_kind:     hidden_remainder_z
      - .offset:         184
        .size:           8
        .value_kind:     hidden_global_offset_x
      - .offset:         192
        .size:           8
        .value_kind:     hidden_global_offset_y
      - .offset:         200
        .size:           8
        .value_kind:     hidden_global_offset_z
      - .offset:         208
        .size:           2
        .value_kind:     hidden_grid_dims
      - .offset:         264
        .size:           4
        .value_kind:     hidden_dynamic_lds_size
    .group_segment_fixed_size: 1056
    .kernarg_segment_align: 8
    .kernarg_segment_size: 400
    .language:       OpenCL C
    .language_version:
      - 2
      - 0
    .max_flat_workgroup_size: 1024
    .name:           _ZN4vllm25paged_attention_v2_kernelIffLi256ELi32ELi128ELNS_18Fp8KVCacheDataTypeE0ELb1ELi512EEEvPfS2_PT_PKS3_PKT0_S9_ifPKiSB_iPKfiiiSD_SD_iiiii
    .private_segment_fixed_size: 1308
    .sgpr_count:     42
    .sgpr_spill_count: 0
    .symbol:         _ZN4vllm25paged_attention_v2_kernelIffLi256ELi32ELi128ELNS_18Fp8KVCacheDataTypeE0ELb1ELi512EEEvPfS2_PT_PKS3_PKT0_S9_ifPKiSB_iPKfiiiSD_SD_iiiii.kd
    .uniform_work_group_size: 1
    .uses_dynamic_stack: false
    .vgpr_count:     192
    .vgpr_spill_count: 0
    .wavefront_size: 32
    .workgroup_processor_mode: 1
  - .args:
      - .actual_access:  write_only
        .address_space:  global
        .offset:         0
        .size:           8
        .value_kind:     global_buffer
      - .actual_access:  write_only
        .address_space:  global
        .offset:         8
        .size:           8
        .value_kind:     global_buffer
      - .actual_access:  write_only
        .address_space:  global
        .offset:         16
        .size:           8
        .value_kind:     global_buffer
      - .actual_access:  read_only
        .address_space:  global
        .offset:         24
        .size:           8
        .value_kind:     global_buffer
      - .actual_access:  read_only
        .address_space:  global
        .offset:         32
        .size:           8
        .value_kind:     global_buffer
      - .actual_access:  read_only
        .address_space:  global
        .offset:         40
        .size:           8
        .value_kind:     global_buffer
      - .offset:         48
        .size:           4
        .value_kind:     by_value
      - .offset:         52
        .size:           4
        .value_kind:     by_value
      - .actual_access:  read_only
        .address_space:  global
        .offset:         56
        .size:           8
        .value_kind:     global_buffer
      - .actual_access:  read_only
        .address_space:  global
        .offset:         64
        .size:           8
        .value_kind:     global_buffer
      - .offset:         72
        .size:           4
        .value_kind:     by_value
      - .actual_access:  read_only
        .address_space:  global
        .offset:         80
        .size:           8
        .value_kind:     global_buffer
      - .offset:         88
        .size:           4
        .value_kind:     by_value
      - .offset:         92
        .size:           4
        .value_kind:     by_value
      - .offset:         96
        .size:           4
        .value_kind:     by_value
      - .address_space:  global
        .offset:         104
        .size:           8
        .value_kind:     global_buffer
      - .address_space:  global
        .offset:         112
        .size:           8
        .value_kind:     global_buffer
      - .offset:         120
        .size:           4
        .value_kind:     by_value
      - .offset:         124
        .size:           4
        .value_kind:     by_value
      - .offset:         128
        .size:           4
        .value_kind:     by_value
      - .offset:         132
        .size:           4
        .value_kind:     by_value
      - .offset:         136
        .size:           4
        .value_kind:     by_value
      - .offset:         144
        .size:           4
        .value_kind:     hidden_block_count_x
      - .offset:         148
        .size:           4
        .value_kind:     hidden_block_count_y
      - .offset:         152
        .size:           4
        .value_kind:     hidden_block_count_z
      - .offset:         156
        .size:           2
        .value_kind:     hidden_group_size_x
      - .offset:         158
        .size:           2
        .value_kind:     hidden_group_size_y
      - .offset:         160
        .size:           2
        .value_kind:     hidden_group_size_z
      - .offset:         162
        .size:           2
        .value_kind:     hidden_remainder_x
      - .offset:         164
        .size:           2
        .value_kind:     hidden_remainder_y
      - .offset:         166
        .size:           2
        .value_kind:     hidden_remainder_z
      - .offset:         184
        .size:           8
        .value_kind:     hidden_global_offset_x
      - .offset:         192
        .size:           8
        .value_kind:     hidden_global_offset_y
      - .offset:         200
        .size:           8
        .value_kind:     hidden_global_offset_z
      - .offset:         208
        .size:           2
        .value_kind:     hidden_grid_dims
      - .offset:         264
        .size:           4
        .value_kind:     hidden_dynamic_lds_size
    .group_segment_fixed_size: 160
    .kernarg_segment_align: 8
    .kernarg_segment_size: 400
    .language:       OpenCL C
    .language_version:
      - 2
      - 0
    .max_flat_workgroup_size: 1024
    .name:           _ZN4vllm25paged_attention_v2_kernelIffLi32ELi32ELi128ELNS_18Fp8KVCacheDataTypeE0ELb0ELi512EEEvPfS2_PT_PKS3_PKT0_S9_ifPKiSB_iPKfiiiSD_SD_iiiii
    .private_segment_fixed_size: 0
    .sgpr_count:     42
    .sgpr_spill_count: 0
    .symbol:         _ZN4vllm25paged_attention_v2_kernelIffLi32ELi32ELi128ELNS_18Fp8KVCacheDataTypeE0ELb0ELi512EEEvPfS2_PT_PKS3_PKT0_S9_ifPKiSB_iPKfiiiSD_SD_iiiii.kd
    .uniform_work_group_size: 1
    .uses_dynamic_stack: false
    .vgpr_count:     81
    .vgpr_spill_count: 0
    .wavefront_size: 32
    .workgroup_processor_mode: 1
  - .args:
      - .actual_access:  write_only
        .address_space:  global
        .offset:         0
        .size:           8
        .value_kind:     global_buffer
      - .actual_access:  write_only
        .address_space:  global
        .offset:         8
        .size:           8
        .value_kind:     global_buffer
      - .actual_access:  write_only
        .address_space:  global
        .offset:         16
        .size:           8
        .value_kind:     global_buffer
      - .actual_access:  read_only
        .address_space:  global
        .offset:         24
        .size:           8
        .value_kind:     global_buffer
      - .actual_access:  read_only
        .address_space:  global
        .offset:         32
        .size:           8
        .value_kind:     global_buffer
      - .actual_access:  read_only
        .address_space:  global
        .offset:         40
        .size:           8
        .value_kind:     global_buffer
      - .offset:         48
        .size:           4
        .value_kind:     by_value
      - .offset:         52
        .size:           4
        .value_kind:     by_value
      - .actual_access:  read_only
        .address_space:  global
        .offset:         56
        .size:           8
        .value_kind:     global_buffer
      - .actual_access:  read_only
        .address_space:  global
        .offset:         64
        .size:           8
        .value_kind:     global_buffer
      - .offset:         72
        .size:           4
        .value_kind:     by_value
      - .actual_access:  read_only
        .address_space:  global
        .offset:         80
        .size:           8
        .value_kind:     global_buffer
      - .offset:         88
        .size:           4
        .value_kind:     by_value
      - .offset:         92
        .size:           4
        .value_kind:     by_value
      - .offset:         96
        .size:           4
        .value_kind:     by_value
      - .address_space:  global
        .offset:         104
        .size:           8
        .value_kind:     global_buffer
      - .address_space:  global
        .offset:         112
        .size:           8
        .value_kind:     global_buffer
      - .offset:         120
        .size:           4
        .value_kind:     by_value
      - .offset:         124
        .size:           4
        .value_kind:     by_value
      - .offset:         128
        .size:           4
        .value_kind:     by_value
      - .offset:         132
        .size:           4
        .value_kind:     by_value
      - .offset:         136
        .size:           4
        .value_kind:     by_value
      - .offset:         144
        .size:           4
        .value_kind:     hidden_block_count_x
      - .offset:         148
        .size:           4
        .value_kind:     hidden_block_count_y
      - .offset:         152
        .size:           4
        .value_kind:     hidden_block_count_z
      - .offset:         156
        .size:           2
        .value_kind:     hidden_group_size_x
      - .offset:         158
        .size:           2
        .value_kind:     hidden_group_size_y
      - .offset:         160
        .size:           2
        .value_kind:     hidden_group_size_z
      - .offset:         162
        .size:           2
        .value_kind:     hidden_remainder_x
      - .offset:         164
        .size:           2
        .value_kind:     hidden_remainder_y
      - .offset:         166
        .size:           2
        .value_kind:     hidden_remainder_z
      - .offset:         184
        .size:           8
        .value_kind:     hidden_global_offset_x
      - .offset:         192
        .size:           8
        .value_kind:     hidden_global_offset_y
      - .offset:         200
        .size:           8
        .value_kind:     hidden_global_offset_z
      - .offset:         208
        .size:           2
        .value_kind:     hidden_grid_dims
      - .offset:         264
        .size:           4
        .value_kind:     hidden_dynamic_lds_size
    .group_segment_fixed_size: 288
    .kernarg_segment_align: 8
    .kernarg_segment_size: 400
    .language:       OpenCL C
    .language_version:
      - 2
      - 0
    .max_flat_workgroup_size: 1024
    .name:           _ZN4vllm25paged_attention_v2_kernelIffLi64ELi32ELi128ELNS_18Fp8KVCacheDataTypeE0ELb0ELi512EEEvPfS2_PT_PKS3_PKT0_S9_ifPKiSB_iPKfiiiSD_SD_iiiii
    .private_segment_fixed_size: 0
    .sgpr_count:     42
    .sgpr_spill_count: 0
    .symbol:         _ZN4vllm25paged_attention_v2_kernelIffLi64ELi32ELi128ELNS_18Fp8KVCacheDataTypeE0ELb0ELi512EEEvPfS2_PT_PKS3_PKT0_S9_ifPKiSB_iPKfiiiSD_SD_iiiii.kd
    .uniform_work_group_size: 1
    .uses_dynamic_stack: false
    .vgpr_count:     122
    .vgpr_spill_count: 0
    .wavefront_size: 32
    .workgroup_processor_mode: 1
  - .args:
      - .actual_access:  write_only
        .address_space:  global
        .offset:         0
        .size:           8
        .value_kind:     global_buffer
      - .actual_access:  write_only
        .address_space:  global
        .offset:         8
        .size:           8
        .value_kind:     global_buffer
      - .actual_access:  write_only
        .address_space:  global
        .offset:         16
        .size:           8
        .value_kind:     global_buffer
      - .actual_access:  read_only
        .address_space:  global
        .offset:         24
        .size:           8
        .value_kind:     global_buffer
      - .actual_access:  read_only
        .address_space:  global
        .offset:         32
        .size:           8
        .value_kind:     global_buffer
      - .actual_access:  read_only
        .address_space:  global
        .offset:         40
        .size:           8
        .value_kind:     global_buffer
      - .offset:         48
        .size:           4
        .value_kind:     by_value
      - .offset:         52
        .size:           4
        .value_kind:     by_value
      - .actual_access:  read_only
        .address_space:  global
        .offset:         56
        .size:           8
        .value_kind:     global_buffer
      - .actual_access:  read_only
        .address_space:  global
        .offset:         64
        .size:           8
        .value_kind:     global_buffer
      - .offset:         72
        .size:           4
        .value_kind:     by_value
      - .actual_access:  read_only
        .address_space:  global
        .offset:         80
        .size:           8
        .value_kind:     global_buffer
      - .offset:         88
        .size:           4
        .value_kind:     by_value
      - .offset:         92
        .size:           4
        .value_kind:     by_value
      - .offset:         96
        .size:           4
        .value_kind:     by_value
      - .address_space:  global
        .offset:         104
        .size:           8
        .value_kind:     global_buffer
      - .address_space:  global
        .offset:         112
        .size:           8
        .value_kind:     global_buffer
      - .offset:         120
        .size:           4
        .value_kind:     by_value
      - .offset:         124
        .size:           4
        .value_kind:     by_value
      - .offset:         128
        .size:           4
        .value_kind:     by_value
      - .offset:         132
        .size:           4
        .value_kind:     by_value
      - .offset:         136
        .size:           4
        .value_kind:     by_value
      - .offset:         144
        .size:           4
        .value_kind:     hidden_block_count_x
      - .offset:         148
        .size:           4
        .value_kind:     hidden_block_count_y
      - .offset:         152
        .size:           4
        .value_kind:     hidden_block_count_z
      - .offset:         156
        .size:           2
        .value_kind:     hidden_group_size_x
      - .offset:         158
        .size:           2
        .value_kind:     hidden_group_size_y
      - .offset:         160
        .size:           2
        .value_kind:     hidden_group_size_z
      - .offset:         162
        .size:           2
        .value_kind:     hidden_remainder_x
      - .offset:         164
        .size:           2
        .value_kind:     hidden_remainder_y
      - .offset:         166
        .size:           2
        .value_kind:     hidden_remainder_z
      - .offset:         184
        .size:           8
        .value_kind:     hidden_global_offset_x
      - .offset:         192
        .size:           8
        .value_kind:     hidden_global_offset_y
      - .offset:         200
        .size:           8
        .value_kind:     hidden_global_offset_z
      - .offset:         208
        .size:           2
        .value_kind:     hidden_grid_dims
      - .offset:         264
        .size:           4
        .value_kind:     hidden_dynamic_lds_size
    .group_segment_fixed_size: 352
    .kernarg_segment_align: 8
    .kernarg_segment_size: 400
    .language:       OpenCL C
    .language_version:
      - 2
      - 0
    .max_flat_workgroup_size: 1024
    .name:           _ZN4vllm25paged_attention_v2_kernelIffLi80ELi32ELi128ELNS_18Fp8KVCacheDataTypeE0ELb0ELi512EEEvPfS2_PT_PKS3_PKT0_S9_ifPKiSB_iPKfiiiSD_SD_iiiii
    .private_segment_fixed_size: 0
    .sgpr_count:     42
    .sgpr_spill_count: 0
    .symbol:         _ZN4vllm25paged_attention_v2_kernelIffLi80ELi32ELi128ELNS_18Fp8KVCacheDataTypeE0ELb0ELi512EEEvPfS2_PT_PKS3_PKT0_S9_ifPKiSB_iPKfiiiSD_SD_iiiii.kd
    .uniform_work_group_size: 1
    .uses_dynamic_stack: false
    .vgpr_count:     146
    .vgpr_spill_count: 0
    .wavefront_size: 32
    .workgroup_processor_mode: 1
  - .args:
      - .actual_access:  write_only
        .address_space:  global
        .offset:         0
        .size:           8
        .value_kind:     global_buffer
      - .actual_access:  write_only
        .address_space:  global
        .offset:         8
        .size:           8
        .value_kind:     global_buffer
      - .actual_access:  write_only
        .address_space:  global
        .offset:         16
        .size:           8
        .value_kind:     global_buffer
      - .actual_access:  read_only
        .address_space:  global
        .offset:         24
        .size:           8
        .value_kind:     global_buffer
      - .actual_access:  read_only
        .address_space:  global
        .offset:         32
        .size:           8
        .value_kind:     global_buffer
      - .actual_access:  read_only
        .address_space:  global
        .offset:         40
        .size:           8
        .value_kind:     global_buffer
      - .offset:         48
        .size:           4
        .value_kind:     by_value
      - .offset:         52
        .size:           4
        .value_kind:     by_value
      - .actual_access:  read_only
        .address_space:  global
        .offset:         56
        .size:           8
        .value_kind:     global_buffer
      - .actual_access:  read_only
        .address_space:  global
        .offset:         64
        .size:           8
        .value_kind:     global_buffer
      - .offset:         72
        .size:           4
        .value_kind:     by_value
      - .actual_access:  read_only
        .address_space:  global
        .offset:         80
        .size:           8
        .value_kind:     global_buffer
      - .offset:         88
        .size:           4
        .value_kind:     by_value
      - .offset:         92
        .size:           4
        .value_kind:     by_value
      - .offset:         96
        .size:           4
        .value_kind:     by_value
      - .address_space:  global
        .offset:         104
        .size:           8
        .value_kind:     global_buffer
      - .address_space:  global
        .offset:         112
        .size:           8
        .value_kind:     global_buffer
      - .offset:         120
        .size:           4
        .value_kind:     by_value
      - .offset:         124
        .size:           4
        .value_kind:     by_value
      - .offset:         128
        .size:           4
        .value_kind:     by_value
      - .offset:         132
        .size:           4
        .value_kind:     by_value
      - .offset:         136
        .size:           4
        .value_kind:     by_value
      - .offset:         144
        .size:           4
        .value_kind:     hidden_block_count_x
      - .offset:         148
        .size:           4
        .value_kind:     hidden_block_count_y
      - .offset:         152
        .size:           4
        .value_kind:     hidden_block_count_z
      - .offset:         156
        .size:           2
        .value_kind:     hidden_group_size_x
      - .offset:         158
        .size:           2
        .value_kind:     hidden_group_size_y
      - .offset:         160
        .size:           2
        .value_kind:     hidden_group_size_z
      - .offset:         162
        .size:           2
        .value_kind:     hidden_remainder_x
      - .offset:         164
        .size:           2
        .value_kind:     hidden_remainder_y
      - .offset:         166
        .size:           2
        .value_kind:     hidden_remainder_z
      - .offset:         184
        .size:           8
        .value_kind:     hidden_global_offset_x
      - .offset:         192
        .size:           8
        .value_kind:     hidden_global_offset_y
      - .offset:         200
        .size:           8
        .value_kind:     hidden_global_offset_z
      - .offset:         208
        .size:           2
        .value_kind:     hidden_grid_dims
      - .offset:         264
        .size:           4
        .value_kind:     hidden_dynamic_lds_size
    .group_segment_fixed_size: 416
    .kernarg_segment_align: 8
    .kernarg_segment_size: 400
    .language:       OpenCL C
    .language_version:
      - 2
      - 0
    .max_flat_workgroup_size: 1024
    .name:           _ZN4vllm25paged_attention_v2_kernelIffLi96ELi32ELi128ELNS_18Fp8KVCacheDataTypeE0ELb0ELi512EEEvPfS2_PT_PKS3_PKT0_S9_ifPKiSB_iPKfiiiSD_SD_iiiii
    .private_segment_fixed_size: 0
    .sgpr_count:     42
    .sgpr_spill_count: 0
    .symbol:         _ZN4vllm25paged_attention_v2_kernelIffLi96ELi32ELi128ELNS_18Fp8KVCacheDataTypeE0ELb0ELi512EEEvPfS2_PT_PKS3_PKT0_S9_ifPKiSB_iPKfiiiSD_SD_iiiii.kd
    .uniform_work_group_size: 1
    .uses_dynamic_stack: false
    .vgpr_count:     170
    .vgpr_spill_count: 0
    .wavefront_size: 32
    .workgroup_processor_mode: 1
  - .args:
      - .actual_access:  write_only
        .address_space:  global
        .offset:         0
        .size:           8
        .value_kind:     global_buffer
      - .actual_access:  write_only
        .address_space:  global
        .offset:         8
        .size:           8
        .value_kind:     global_buffer
      - .actual_access:  write_only
        .address_space:  global
        .offset:         16
        .size:           8
        .value_kind:     global_buffer
      - .actual_access:  read_only
        .address_space:  global
        .offset:         24
        .size:           8
        .value_kind:     global_buffer
      - .actual_access:  read_only
        .address_space:  global
        .offset:         32
        .size:           8
        .value_kind:     global_buffer
      - .actual_access:  read_only
        .address_space:  global
        .offset:         40
        .size:           8
        .value_kind:     global_buffer
      - .offset:         48
        .size:           4
        .value_kind:     by_value
      - .offset:         52
        .size:           4
        .value_kind:     by_value
      - .actual_access:  read_only
        .address_space:  global
        .offset:         56
        .size:           8
        .value_kind:     global_buffer
      - .actual_access:  read_only
        .address_space:  global
        .offset:         64
        .size:           8
        .value_kind:     global_buffer
      - .offset:         72
        .size:           4
        .value_kind:     by_value
      - .actual_access:  read_only
        .address_space:  global
        .offset:         80
        .size:           8
        .value_kind:     global_buffer
      - .offset:         88
        .size:           4
        .value_kind:     by_value
      - .offset:         92
        .size:           4
        .value_kind:     by_value
      - .offset:         96
        .size:           4
        .value_kind:     by_value
      - .address_space:  global
        .offset:         104
        .size:           8
        .value_kind:     global_buffer
      - .address_space:  global
        .offset:         112
        .size:           8
        .value_kind:     global_buffer
      - .offset:         120
        .size:           4
        .value_kind:     by_value
      - .offset:         124
        .size:           4
        .value_kind:     by_value
      - .offset:         128
        .size:           4
        .value_kind:     by_value
      - .offset:         132
        .size:           4
        .value_kind:     by_value
      - .offset:         136
        .size:           4
        .value_kind:     by_value
      - .offset:         144
        .size:           4
        .value_kind:     hidden_block_count_x
      - .offset:         148
        .size:           4
        .value_kind:     hidden_block_count_y
      - .offset:         152
        .size:           4
        .value_kind:     hidden_block_count_z
      - .offset:         156
        .size:           2
        .value_kind:     hidden_group_size_x
      - .offset:         158
        .size:           2
        .value_kind:     hidden_group_size_y
      - .offset:         160
        .size:           2
        .value_kind:     hidden_group_size_z
      - .offset:         162
        .size:           2
        .value_kind:     hidden_remainder_x
      - .offset:         164
        .size:           2
        .value_kind:     hidden_remainder_y
      - .offset:         166
        .size:           2
        .value_kind:     hidden_remainder_z
      - .offset:         184
        .size:           8
        .value_kind:     hidden_global_offset_x
      - .offset:         192
        .size:           8
        .value_kind:     hidden_global_offset_y
      - .offset:         200
        .size:           8
        .value_kind:     hidden_global_offset_z
      - .offset:         208
        .size:           2
        .value_kind:     hidden_grid_dims
      - .offset:         264
        .size:           4
        .value_kind:     hidden_dynamic_lds_size
    .group_segment_fixed_size: 480
    .kernarg_segment_align: 8
    .kernarg_segment_size: 400
    .language:       OpenCL C
    .language_version:
      - 2
      - 0
    .max_flat_workgroup_size: 1024
    .name:           _ZN4vllm25paged_attention_v2_kernelIffLi112ELi32ELi128ELNS_18Fp8KVCacheDataTypeE0ELb0ELi512EEEvPfS2_PT_PKS3_PKT0_S9_ifPKiSB_iPKfiiiSD_SD_iiiii
    .private_segment_fixed_size: 0
    .sgpr_count:     42
    .sgpr_spill_count: 0
    .symbol:         _ZN4vllm25paged_attention_v2_kernelIffLi112ELi32ELi128ELNS_18Fp8KVCacheDataTypeE0ELb0ELi512EEEvPfS2_PT_PKS3_PKT0_S9_ifPKiSB_iPKfiiiSD_SD_iiiii.kd
    .uniform_work_group_size: 1
    .uses_dynamic_stack: false
    .vgpr_count:     180
    .vgpr_spill_count: 0
    .wavefront_size: 32
    .workgroup_processor_mode: 1
  - .args:
      - .actual_access:  write_only
        .address_space:  global
        .offset:         0
        .size:           8
        .value_kind:     global_buffer
      - .actual_access:  write_only
        .address_space:  global
        .offset:         8
        .size:           8
        .value_kind:     global_buffer
      - .actual_access:  write_only
        .address_space:  global
        .offset:         16
        .size:           8
        .value_kind:     global_buffer
      - .actual_access:  read_only
        .address_space:  global
        .offset:         24
        .size:           8
        .value_kind:     global_buffer
      - .actual_access:  read_only
        .address_space:  global
        .offset:         32
        .size:           8
        .value_kind:     global_buffer
      - .actual_access:  read_only
        .address_space:  global
        .offset:         40
        .size:           8
        .value_kind:     global_buffer
      - .offset:         48
        .size:           4
        .value_kind:     by_value
      - .offset:         52
        .size:           4
        .value_kind:     by_value
      - .actual_access:  read_only
        .address_space:  global
        .offset:         56
        .size:           8
        .value_kind:     global_buffer
      - .actual_access:  read_only
        .address_space:  global
        .offset:         64
        .size:           8
        .value_kind:     global_buffer
      - .offset:         72
        .size:           4
        .value_kind:     by_value
      - .actual_access:  read_only
        .address_space:  global
        .offset:         80
        .size:           8
        .value_kind:     global_buffer
      - .offset:         88
        .size:           4
        .value_kind:     by_value
      - .offset:         92
        .size:           4
        .value_kind:     by_value
      - .offset:         96
        .size:           4
        .value_kind:     by_value
      - .address_space:  global
        .offset:         104
        .size:           8
        .value_kind:     global_buffer
      - .address_space:  global
        .offset:         112
        .size:           8
        .value_kind:     global_buffer
      - .offset:         120
        .size:           4
        .value_kind:     by_value
      - .offset:         124
        .size:           4
        .value_kind:     by_value
      - .offset:         128
        .size:           4
        .value_kind:     by_value
      - .offset:         132
        .size:           4
        .value_kind:     by_value
      - .offset:         136
        .size:           4
        .value_kind:     by_value
      - .offset:         144
        .size:           4
        .value_kind:     hidden_block_count_x
      - .offset:         148
        .size:           4
        .value_kind:     hidden_block_count_y
      - .offset:         152
        .size:           4
        .value_kind:     hidden_block_count_z
      - .offset:         156
        .size:           2
        .value_kind:     hidden_group_size_x
      - .offset:         158
        .size:           2
        .value_kind:     hidden_group_size_y
      - .offset:         160
        .size:           2
        .value_kind:     hidden_group_size_z
      - .offset:         162
        .size:           2
        .value_kind:     hidden_remainder_x
      - .offset:         164
        .size:           2
        .value_kind:     hidden_remainder_y
      - .offset:         166
        .size:           2
        .value_kind:     hidden_remainder_z
      - .offset:         184
        .size:           8
        .value_kind:     hidden_global_offset_x
      - .offset:         192
        .size:           8
        .value_kind:     hidden_global_offset_y
      - .offset:         200
        .size:           8
        .value_kind:     hidden_global_offset_z
      - .offset:         208
        .size:           2
        .value_kind:     hidden_grid_dims
      - .offset:         264
        .size:           4
        .value_kind:     hidden_dynamic_lds_size
    .group_segment_fixed_size: 512
    .kernarg_segment_align: 8
    .kernarg_segment_size: 400
    .language:       OpenCL C
    .language_version:
      - 2
      - 0
    .max_flat_workgroup_size: 1024
    .name:           _ZN4vllm25paged_attention_v2_kernelIffLi120ELi32ELi128ELNS_18Fp8KVCacheDataTypeE0ELb0ELi512EEEvPfS2_PT_PKS3_PKT0_S9_ifPKiSB_iPKfiiiSD_SD_iiiii
    .private_segment_fixed_size: 0
    .sgpr_count:     42
    .sgpr_spill_count: 0
    .symbol:         _ZN4vllm25paged_attention_v2_kernelIffLi120ELi32ELi128ELNS_18Fp8KVCacheDataTypeE0ELb0ELi512EEEvPfS2_PT_PKS3_PKT0_S9_ifPKiSB_iPKfiiiSD_SD_iiiii.kd
    .uniform_work_group_size: 1
    .uses_dynamic_stack: false
    .vgpr_count:     192
    .vgpr_spill_count: 0
    .wavefront_size: 32
    .workgroup_processor_mode: 1
  - .args:
      - .actual_access:  write_only
        .address_space:  global
        .offset:         0
        .size:           8
        .value_kind:     global_buffer
      - .actual_access:  write_only
        .address_space:  global
        .offset:         8
        .size:           8
        .value_kind:     global_buffer
      - .actual_access:  write_only
        .address_space:  global
        .offset:         16
        .size:           8
        .value_kind:     global_buffer
      - .actual_access:  read_only
        .address_space:  global
        .offset:         24
        .size:           8
        .value_kind:     global_buffer
      - .actual_access:  read_only
        .address_space:  global
        .offset:         32
        .size:           8
        .value_kind:     global_buffer
      - .actual_access:  read_only
        .address_space:  global
        .offset:         40
        .size:           8
        .value_kind:     global_buffer
      - .offset:         48
        .size:           4
        .value_kind:     by_value
      - .offset:         52
        .size:           4
        .value_kind:     by_value
      - .actual_access:  read_only
        .address_space:  global
        .offset:         56
        .size:           8
        .value_kind:     global_buffer
      - .actual_access:  read_only
        .address_space:  global
        .offset:         64
        .size:           8
        .value_kind:     global_buffer
      - .offset:         72
        .size:           4
        .value_kind:     by_value
      - .actual_access:  read_only
        .address_space:  global
        .offset:         80
        .size:           8
        .value_kind:     global_buffer
      - .offset:         88
        .size:           4
        .value_kind:     by_value
      - .offset:         92
        .size:           4
        .value_kind:     by_value
      - .offset:         96
        .size:           4
        .value_kind:     by_value
      - .address_space:  global
        .offset:         104
        .size:           8
        .value_kind:     global_buffer
      - .address_space:  global
        .offset:         112
        .size:           8
        .value_kind:     global_buffer
      - .offset:         120
        .size:           4
        .value_kind:     by_value
      - .offset:         124
        .size:           4
        .value_kind:     by_value
      - .offset:         128
        .size:           4
        .value_kind:     by_value
      - .offset:         132
        .size:           4
        .value_kind:     by_value
      - .offset:         136
        .size:           4
        .value_kind:     by_value
      - .offset:         144
        .size:           4
        .value_kind:     hidden_block_count_x
      - .offset:         148
        .size:           4
        .value_kind:     hidden_block_count_y
      - .offset:         152
        .size:           4
        .value_kind:     hidden_block_count_z
      - .offset:         156
        .size:           2
        .value_kind:     hidden_group_size_x
      - .offset:         158
        .size:           2
        .value_kind:     hidden_group_size_y
      - .offset:         160
        .size:           2
        .value_kind:     hidden_group_size_z
      - .offset:         162
        .size:           2
        .value_kind:     hidden_remainder_x
      - .offset:         164
        .size:           2
        .value_kind:     hidden_remainder_y
      - .offset:         166
        .size:           2
        .value_kind:     hidden_remainder_z
      - .offset:         184
        .size:           8
        .value_kind:     hidden_global_offset_x
      - .offset:         192
        .size:           8
        .value_kind:     hidden_global_offset_y
      - .offset:         200
        .size:           8
        .value_kind:     hidden_global_offset_z
      - .offset:         208
        .size:           2
        .value_kind:     hidden_grid_dims
      - .offset:         264
        .size:           4
        .value_kind:     hidden_dynamic_lds_size
    .group_segment_fixed_size: 544
    .kernarg_segment_align: 8
    .kernarg_segment_size: 400
    .language:       OpenCL C
    .language_version:
      - 2
      - 0
    .max_flat_workgroup_size: 1024
    .name:           _ZN4vllm25paged_attention_v2_kernelIffLi128ELi32ELi128ELNS_18Fp8KVCacheDataTypeE0ELb0ELi512EEEvPfS2_PT_PKS3_PKT0_S9_ifPKiSB_iPKfiiiSD_SD_iiiii
    .private_segment_fixed_size: 52
    .sgpr_count:     42
    .sgpr_spill_count: 0
    .symbol:         _ZN4vllm25paged_attention_v2_kernelIffLi128ELi32ELi128ELNS_18Fp8KVCacheDataTypeE0ELb0ELi512EEEvPfS2_PT_PKS3_PKT0_S9_ifPKiSB_iPKfiiiSD_SD_iiiii.kd
    .uniform_work_group_size: 1
    .uses_dynamic_stack: false
    .vgpr_count:     192
    .vgpr_spill_count: 12
    .wavefront_size: 32
    .workgroup_processor_mode: 1
  - .args:
      - .actual_access:  write_only
        .address_space:  global
        .offset:         0
        .size:           8
        .value_kind:     global_buffer
      - .actual_access:  write_only
        .address_space:  global
        .offset:         8
        .size:           8
        .value_kind:     global_buffer
      - .actual_access:  write_only
        .address_space:  global
        .offset:         16
        .size:           8
        .value_kind:     global_buffer
      - .actual_access:  read_only
        .address_space:  global
        .offset:         24
        .size:           8
        .value_kind:     global_buffer
      - .actual_access:  read_only
        .address_space:  global
        .offset:         32
        .size:           8
        .value_kind:     global_buffer
      - .actual_access:  read_only
        .address_space:  global
        .offset:         40
        .size:           8
        .value_kind:     global_buffer
      - .offset:         48
        .size:           4
        .value_kind:     by_value
      - .offset:         52
        .size:           4
        .value_kind:     by_value
      - .actual_access:  read_only
        .address_space:  global
        .offset:         56
        .size:           8
        .value_kind:     global_buffer
      - .actual_access:  read_only
        .address_space:  global
        .offset:         64
        .size:           8
        .value_kind:     global_buffer
      - .offset:         72
        .size:           4
        .value_kind:     by_value
      - .actual_access:  read_only
        .address_space:  global
        .offset:         80
        .size:           8
        .value_kind:     global_buffer
      - .offset:         88
        .size:           4
        .value_kind:     by_value
      - .offset:         92
        .size:           4
        .value_kind:     by_value
      - .offset:         96
        .size:           4
        .value_kind:     by_value
      - .address_space:  global
        .offset:         104
        .size:           8
        .value_kind:     global_buffer
      - .address_space:  global
        .offset:         112
        .size:           8
        .value_kind:     global_buffer
      - .offset:         120
        .size:           4
        .value_kind:     by_value
      - .offset:         124
        .size:           4
        .value_kind:     by_value
      - .offset:         128
        .size:           4
        .value_kind:     by_value
      - .offset:         132
        .size:           4
        .value_kind:     by_value
      - .offset:         136
        .size:           4
        .value_kind:     by_value
      - .offset:         144
        .size:           4
        .value_kind:     hidden_block_count_x
      - .offset:         148
        .size:           4
        .value_kind:     hidden_block_count_y
      - .offset:         152
        .size:           4
        .value_kind:     hidden_block_count_z
      - .offset:         156
        .size:           2
        .value_kind:     hidden_group_size_x
      - .offset:         158
        .size:           2
        .value_kind:     hidden_group_size_y
      - .offset:         160
        .size:           2
        .value_kind:     hidden_group_size_z
      - .offset:         162
        .size:           2
        .value_kind:     hidden_remainder_x
      - .offset:         164
        .size:           2
        .value_kind:     hidden_remainder_y
      - .offset:         166
        .size:           2
        .value_kind:     hidden_remainder_z
      - .offset:         184
        .size:           8
        .value_kind:     hidden_global_offset_x
      - .offset:         192
        .size:           8
        .value_kind:     hidden_global_offset_y
      - .offset:         200
        .size:           8
        .value_kind:     hidden_global_offset_z
      - .offset:         208
        .size:           2
        .value_kind:     hidden_grid_dims
      - .offset:         264
        .size:           4
        .value_kind:     hidden_dynamic_lds_size
    .group_segment_fixed_size: 800
    .kernarg_segment_align: 8
    .kernarg_segment_size: 400
    .language:       OpenCL C
    .language_version:
      - 2
      - 0
    .max_flat_workgroup_size: 1024
    .name:           _ZN4vllm25paged_attention_v2_kernelIffLi192ELi32ELi128ELNS_18Fp8KVCacheDataTypeE0ELb0ELi512EEEvPfS2_PT_PKS3_PKT0_S9_ifPKiSB_iPKfiiiSD_SD_iiiii
    .private_segment_fixed_size: 496
    .sgpr_count:     40
    .sgpr_spill_count: 0
    .symbol:         _ZN4vllm25paged_attention_v2_kernelIffLi192ELi32ELi128ELNS_18Fp8KVCacheDataTypeE0ELb0ELi512EEEvPfS2_PT_PKS3_PKT0_S9_ifPKiSB_iPKfiiiSD_SD_iiiii.kd
    .uniform_work_group_size: 1
    .uses_dynamic_stack: false
    .vgpr_count:     192
    .vgpr_spill_count: 194
    .wavefront_size: 32
    .workgroup_processor_mode: 1
  - .args:
      - .actual_access:  write_only
        .address_space:  global
        .offset:         0
        .size:           8
        .value_kind:     global_buffer
      - .actual_access:  write_only
        .address_space:  global
        .offset:         8
        .size:           8
        .value_kind:     global_buffer
      - .actual_access:  write_only
        .address_space:  global
        .offset:         16
        .size:           8
        .value_kind:     global_buffer
      - .actual_access:  read_only
        .address_space:  global
        .offset:         24
        .size:           8
        .value_kind:     global_buffer
      - .actual_access:  read_only
        .address_space:  global
        .offset:         32
        .size:           8
        .value_kind:     global_buffer
      - .actual_access:  read_only
        .address_space:  global
        .offset:         40
        .size:           8
        .value_kind:     global_buffer
      - .offset:         48
        .size:           4
        .value_kind:     by_value
      - .offset:         52
        .size:           4
        .value_kind:     by_value
      - .actual_access:  read_only
        .address_space:  global
        .offset:         56
        .size:           8
        .value_kind:     global_buffer
      - .actual_access:  read_only
        .address_space:  global
        .offset:         64
        .size:           8
        .value_kind:     global_buffer
      - .offset:         72
        .size:           4
        .value_kind:     by_value
      - .address_space:  global
        .offset:         80
        .size:           8
        .value_kind:     global_buffer
      - .offset:         88
        .size:           4
        .value_kind:     by_value
      - .offset:         92
        .size:           4
        .value_kind:     by_value
      - .offset:         96
        .size:           4
        .value_kind:     by_value
      - .address_space:  global
        .offset:         104
        .size:           8
        .value_kind:     global_buffer
      - .address_space:  global
        .offset:         112
        .size:           8
        .value_kind:     global_buffer
      - .offset:         120
        .size:           4
        .value_kind:     by_value
      - .offset:         124
        .size:           4
        .value_kind:     by_value
      - .offset:         128
        .size:           4
        .value_kind:     by_value
      - .offset:         132
        .size:           4
        .value_kind:     by_value
      - .offset:         136
        .size:           4
        .value_kind:     by_value
      - .offset:         144
        .size:           4
        .value_kind:     hidden_block_count_x
      - .offset:         148
        .size:           4
        .value_kind:     hidden_block_count_y
      - .offset:         152
        .size:           4
        .value_kind:     hidden_block_count_z
      - .offset:         156
        .size:           2
        .value_kind:     hidden_group_size_x
      - .offset:         158
        .size:           2
        .value_kind:     hidden_group_size_y
      - .offset:         160
        .size:           2
        .value_kind:     hidden_group_size_z
      - .offset:         162
        .size:           2
        .value_kind:     hidden_remainder_x
      - .offset:         164
        .size:           2
        .value_kind:     hidden_remainder_y
      - .offset:         166
        .size:           2
        .value_kind:     hidden_remainder_z
      - .offset:         184
        .size:           8
        .value_kind:     hidden_global_offset_x
      - .offset:         192
        .size:           8
        .value_kind:     hidden_global_offset_y
      - .offset:         200
        .size:           8
        .value_kind:     hidden_global_offset_z
      - .offset:         208
        .size:           2
        .value_kind:     hidden_grid_dims
      - .offset:         264
        .size:           4
        .value_kind:     hidden_dynamic_lds_size
    .group_segment_fixed_size: 1056
    .kernarg_segment_align: 8
    .kernarg_segment_size: 400
    .language:       OpenCL C
    .language_version:
      - 2
      - 0
    .max_flat_workgroup_size: 1024
    .name:           _ZN4vllm25paged_attention_v2_kernelIffLi256ELi32ELi128ELNS_18Fp8KVCacheDataTypeE0ELb0ELi512EEEvPfS2_PT_PKS3_PKT0_S9_ifPKiSB_iPKfiiiSD_SD_iiiii
    .private_segment_fixed_size: 1248
    .sgpr_count:     35
    .sgpr_spill_count: 0
    .symbol:         _ZN4vllm25paged_attention_v2_kernelIffLi256ELi32ELi128ELNS_18Fp8KVCacheDataTypeE0ELb0ELi512EEEvPfS2_PT_PKS3_PKT0_S9_ifPKiSB_iPKfiiiSD_SD_iiiii.kd
    .uniform_work_group_size: 1
    .uses_dynamic_stack: false
    .vgpr_count:     192
    .vgpr_spill_count: 0
    .wavefront_size: 32
    .workgroup_processor_mode: 1
  - .args:
      - .actual_access:  write_only
        .address_space:  global
        .offset:         0
        .size:           8
        .value_kind:     global_buffer
      - .actual_access:  write_only
        .address_space:  global
        .offset:         8
        .size:           8
        .value_kind:     global_buffer
      - .actual_access:  write_only
        .address_space:  global
        .offset:         16
        .size:           8
        .value_kind:     global_buffer
      - .actual_access:  read_only
        .address_space:  global
        .offset:         24
        .size:           8
        .value_kind:     global_buffer
      - .actual_access:  read_only
        .address_space:  global
        .offset:         32
        .size:           8
        .value_kind:     global_buffer
      - .actual_access:  read_only
        .address_space:  global
        .offset:         40
        .size:           8
        .value_kind:     global_buffer
      - .offset:         48
        .size:           4
        .value_kind:     by_value
      - .offset:         52
        .size:           4
        .value_kind:     by_value
      - .actual_access:  read_only
        .address_space:  global
        .offset:         56
        .size:           8
        .value_kind:     global_buffer
      - .actual_access:  read_only
        .address_space:  global
        .offset:         64
        .size:           8
        .value_kind:     global_buffer
      - .offset:         72
        .size:           4
        .value_kind:     by_value
      - .actual_access:  read_only
        .address_space:  global
        .offset:         80
        .size:           8
        .value_kind:     global_buffer
      - .offset:         88
        .size:           4
        .value_kind:     by_value
      - .offset:         92
        .size:           4
        .value_kind:     by_value
      - .offset:         96
        .size:           4
        .value_kind:     by_value
      - .address_space:  global
        .offset:         104
        .size:           8
        .value_kind:     global_buffer
      - .address_space:  global
        .offset:         112
        .size:           8
        .value_kind:     global_buffer
      - .offset:         120
        .size:           4
        .value_kind:     by_value
      - .offset:         124
        .size:           4
        .value_kind:     by_value
      - .offset:         128
        .size:           4
        .value_kind:     by_value
      - .offset:         132
        .size:           4
        .value_kind:     by_value
      - .offset:         136
        .size:           4
        .value_kind:     by_value
      - .offset:         144
        .size:           4
        .value_kind:     hidden_block_count_x
      - .offset:         148
        .size:           4
        .value_kind:     hidden_block_count_y
      - .offset:         152
        .size:           4
        .value_kind:     hidden_block_count_z
      - .offset:         156
        .size:           2
        .value_kind:     hidden_group_size_x
      - .offset:         158
        .size:           2
        .value_kind:     hidden_group_size_y
      - .offset:         160
        .size:           2
        .value_kind:     hidden_group_size_z
      - .offset:         162
        .size:           2
        .value_kind:     hidden_remainder_x
      - .offset:         164
        .size:           2
        .value_kind:     hidden_remainder_y
      - .offset:         166
        .size:           2
        .value_kind:     hidden_remainder_z
      - .offset:         184
        .size:           8
        .value_kind:     hidden_global_offset_x
      - .offset:         192
        .size:           8
        .value_kind:     hidden_global_offset_y
      - .offset:         200
        .size:           8
        .value_kind:     hidden_global_offset_z
      - .offset:         208
        .size:           2
        .value_kind:     hidden_grid_dims
      - .offset:         264
        .size:           4
        .value_kind:     hidden_dynamic_lds_size
    .group_segment_fixed_size: 96
    .kernarg_segment_align: 8
    .kernarg_segment_size: 400
    .language:       OpenCL C
    .language_version:
      - 2
      - 0
    .max_flat_workgroup_size: 1024
    .name:           _ZN4vllm25paged_attention_v2_kernelIttLi32ELi8ELi128ELNS_18Fp8KVCacheDataTypeE0ELb1ELi512EEEvPfS2_PT_PKS3_PKT0_S9_ifPKiSB_iPKfiiiSD_SD_iiiii
    .private_segment_fixed_size: 0
    .sgpr_count:     47
    .sgpr_spill_count: 0
    .symbol:         _ZN4vllm25paged_attention_v2_kernelIttLi32ELi8ELi128ELNS_18Fp8KVCacheDataTypeE0ELb1ELi512EEEvPfS2_PT_PKS3_PKT0_S9_ifPKiSB_iPKfiiiSD_SD_iiiii.kd
    .uniform_work_group_size: 1
    .uses_dynamic_stack: false
    .vgpr_count:     35
    .vgpr_spill_count: 0
    .wavefront_size: 32
    .workgroup_processor_mode: 1
  - .args:
      - .actual_access:  write_only
        .address_space:  global
        .offset:         0
        .size:           8
        .value_kind:     global_buffer
      - .actual_access:  read_only
        .address_space:  global
        .offset:         8
        .size:           8
        .value_kind:     global_buffer
      - .actual_access:  read_only
        .address_space:  global
        .offset:         16
        .size:           8
        .value_kind:     global_buffer
      - .actual_access:  read_only
        .address_space:  global
        .offset:         24
        .size:           8
        .value_kind:     global_buffer
      - .actual_access:  read_only
        .address_space:  global
        .offset:         32
        .size:           8
        .value_kind:     global_buffer
      - .offset:         40
        .size:           4
        .value_kind:     by_value
      - .offset:         48
        .size:           4
        .value_kind:     hidden_block_count_x
      - .offset:         52
        .size:           4
        .value_kind:     hidden_block_count_y
      - .offset:         56
        .size:           4
        .value_kind:     hidden_block_count_z
      - .offset:         60
        .size:           2
        .value_kind:     hidden_group_size_x
      - .offset:         62
        .size:           2
        .value_kind:     hidden_group_size_y
      - .offset:         64
        .size:           2
        .value_kind:     hidden_group_size_z
      - .offset:         66
        .size:           2
        .value_kind:     hidden_remainder_x
      - .offset:         68
        .size:           2
        .value_kind:     hidden_remainder_y
      - .offset:         70
        .size:           2
        .value_kind:     hidden_remainder_z
      - .offset:         88
        .size:           8
        .value_kind:     hidden_global_offset_x
      - .offset:         96
        .size:           8
        .value_kind:     hidden_global_offset_y
      - .offset:         104
        .size:           8
        .value_kind:     hidden_global_offset_z
      - .offset:         112
        .size:           2
        .value_kind:     hidden_grid_dims
      - .offset:         168
        .size:           4
        .value_kind:     hidden_dynamic_lds_size
    .group_segment_fixed_size: 32
    .kernarg_segment_align: 8
    .kernarg_segment_size: 304
    .language:       OpenCL C
    .language_version:
      - 2
      - 0
    .max_flat_workgroup_size: 1024
    .name:           _ZN4vllm32paged_attention_v2_reduce_kernelItLi32ELi128ELi512EEEvPT_PKfS4_PKS1_PKii
    .private_segment_fixed_size: 0
    .sgpr_count:     31
    .sgpr_spill_count: 0
    .symbol:         _ZN4vllm32paged_attention_v2_reduce_kernelItLi32ELi128ELi512EEEvPT_PKfS4_PKS1_PKii.kd
    .uniform_work_group_size: 1
    .uses_dynamic_stack: false
    .vgpr_count:     19
    .vgpr_spill_count: 0
    .wavefront_size: 32
    .workgroup_processor_mode: 1
  - .args:
      - .actual_access:  write_only
        .address_space:  global
        .offset:         0
        .size:           8
        .value_kind:     global_buffer
      - .actual_access:  write_only
        .address_space:  global
        .offset:         8
        .size:           8
        .value_kind:     global_buffer
      - .actual_access:  write_only
        .address_space:  global
        .offset:         16
        .size:           8
        .value_kind:     global_buffer
      - .actual_access:  read_only
        .address_space:  global
        .offset:         24
        .size:           8
        .value_kind:     global_buffer
      - .actual_access:  read_only
        .address_space:  global
        .offset:         32
        .size:           8
        .value_kind:     global_buffer
      - .actual_access:  read_only
        .address_space:  global
        .offset:         40
        .size:           8
        .value_kind:     global_buffer
      - .offset:         48
        .size:           4
        .value_kind:     by_value
      - .offset:         52
        .size:           4
        .value_kind:     by_value
      - .actual_access:  read_only
        .address_space:  global
        .offset:         56
        .size:           8
        .value_kind:     global_buffer
      - .actual_access:  read_only
        .address_space:  global
        .offset:         64
        .size:           8
        .value_kind:     global_buffer
      - .offset:         72
        .size:           4
        .value_kind:     by_value
      - .actual_access:  read_only
        .address_space:  global
        .offset:         80
        .size:           8
        .value_kind:     global_buffer
      - .offset:         88
        .size:           4
        .value_kind:     by_value
      - .offset:         92
        .size:           4
        .value_kind:     by_value
      - .offset:         96
        .size:           4
        .value_kind:     by_value
      - .address_space:  global
        .offset:         104
        .size:           8
        .value_kind:     global_buffer
      - .address_space:  global
        .offset:         112
        .size:           8
        .value_kind:     global_buffer
      - .offset:         120
        .size:           4
        .value_kind:     by_value
      - .offset:         124
        .size:           4
        .value_kind:     by_value
      - .offset:         128
        .size:           4
        .value_kind:     by_value
      - .offset:         132
        .size:           4
        .value_kind:     by_value
      - .offset:         136
        .size:           4
        .value_kind:     by_value
      - .offset:         144
        .size:           4
        .value_kind:     hidden_block_count_x
      - .offset:         148
        .size:           4
        .value_kind:     hidden_block_count_y
      - .offset:         152
        .size:           4
        .value_kind:     hidden_block_count_z
      - .offset:         156
        .size:           2
        .value_kind:     hidden_group_size_x
      - .offset:         158
        .size:           2
        .value_kind:     hidden_group_size_y
      - .offset:         160
        .size:           2
        .value_kind:     hidden_group_size_z
      - .offset:         162
        .size:           2
        .value_kind:     hidden_remainder_x
      - .offset:         164
        .size:           2
        .value_kind:     hidden_remainder_y
      - .offset:         166
        .size:           2
        .value_kind:     hidden_remainder_z
      - .offset:         184
        .size:           8
        .value_kind:     hidden_global_offset_x
      - .offset:         192
        .size:           8
        .value_kind:     hidden_global_offset_y
      - .offset:         200
        .size:           8
        .value_kind:     hidden_global_offset_z
      - .offset:         208
        .size:           2
        .value_kind:     hidden_grid_dims
      - .offset:         264
        .size:           4
        .value_kind:     hidden_dynamic_lds_size
    .group_segment_fixed_size: 160
    .kernarg_segment_align: 8
    .kernarg_segment_size: 400
    .language:       OpenCL C
    .language_version:
      - 2
      - 0
    .max_flat_workgroup_size: 1024
    .name:           _ZN4vllm25paged_attention_v2_kernelIttLi64ELi8ELi128ELNS_18Fp8KVCacheDataTypeE0ELb1ELi512EEEvPfS2_PT_PKS3_PKT0_S9_ifPKiSB_iPKfiiiSD_SD_iiiii
    .private_segment_fixed_size: 0
    .sgpr_count:     48
    .sgpr_spill_count: 0
    .symbol:         _ZN4vllm25paged_attention_v2_kernelIttLi64ELi8ELi128ELNS_18Fp8KVCacheDataTypeE0ELb1ELi512EEEvPfS2_PT_PKS3_PKT0_S9_ifPKiSB_iPKfiiiSD_SD_iiiii.kd
    .uniform_work_group_size: 1
    .uses_dynamic_stack: false
    .vgpr_count:     49
    .vgpr_spill_count: 0
    .wavefront_size: 32
    .workgroup_processor_mode: 1
  - .args:
      - .actual_access:  write_only
        .address_space:  global
        .offset:         0
        .size:           8
        .value_kind:     global_buffer
      - .actual_access:  read_only
        .address_space:  global
        .offset:         8
        .size:           8
        .value_kind:     global_buffer
      - .actual_access:  read_only
        .address_space:  global
        .offset:         16
        .size:           8
        .value_kind:     global_buffer
      - .actual_access:  read_only
        .address_space:  global
        .offset:         24
        .size:           8
        .value_kind:     global_buffer
      - .actual_access:  read_only
        .address_space:  global
        .offset:         32
        .size:           8
        .value_kind:     global_buffer
      - .offset:         40
        .size:           4
        .value_kind:     by_value
      - .offset:         48
        .size:           4
        .value_kind:     hidden_block_count_x
      - .offset:         52
        .size:           4
        .value_kind:     hidden_block_count_y
      - .offset:         56
        .size:           4
        .value_kind:     hidden_block_count_z
      - .offset:         60
        .size:           2
        .value_kind:     hidden_group_size_x
      - .offset:         62
        .size:           2
        .value_kind:     hidden_group_size_y
      - .offset:         64
        .size:           2
        .value_kind:     hidden_group_size_z
      - .offset:         66
        .size:           2
        .value_kind:     hidden_remainder_x
      - .offset:         68
        .size:           2
        .value_kind:     hidden_remainder_y
      - .offset:         70
        .size:           2
        .value_kind:     hidden_remainder_z
      - .offset:         88
        .size:           8
        .value_kind:     hidden_global_offset_x
      - .offset:         96
        .size:           8
        .value_kind:     hidden_global_offset_y
      - .offset:         104
        .size:           8
        .value_kind:     hidden_global_offset_z
      - .offset:         112
        .size:           2
        .value_kind:     hidden_grid_dims
      - .offset:         168
        .size:           4
        .value_kind:     hidden_dynamic_lds_size
    .group_segment_fixed_size: 32
    .kernarg_segment_align: 8
    .kernarg_segment_size: 304
    .language:       OpenCL C
    .language_version:
      - 2
      - 0
    .max_flat_workgroup_size: 1024
    .name:           _ZN4vllm32paged_attention_v2_reduce_kernelItLi64ELi128ELi512EEEvPT_PKfS4_PKS1_PKii
    .private_segment_fixed_size: 0
    .sgpr_count:     31
    .sgpr_spill_count: 0
    .symbol:         _ZN4vllm32paged_attention_v2_reduce_kernelItLi64ELi128ELi512EEEvPT_PKfS4_PKS1_PKii.kd
    .uniform_work_group_size: 1
    .uses_dynamic_stack: false
    .vgpr_count:     19
    .vgpr_spill_count: 0
    .wavefront_size: 32
    .workgroup_processor_mode: 1
  - .args:
      - .actual_access:  write_only
        .address_space:  global
        .offset:         0
        .size:           8
        .value_kind:     global_buffer
      - .actual_access:  write_only
        .address_space:  global
        .offset:         8
        .size:           8
        .value_kind:     global_buffer
      - .actual_access:  write_only
        .address_space:  global
        .offset:         16
        .size:           8
        .value_kind:     global_buffer
      - .actual_access:  read_only
        .address_space:  global
        .offset:         24
        .size:           8
        .value_kind:     global_buffer
      - .actual_access:  read_only
        .address_space:  global
        .offset:         32
        .size:           8
        .value_kind:     global_buffer
      - .actual_access:  read_only
        .address_space:  global
        .offset:         40
        .size:           8
        .value_kind:     global_buffer
      - .offset:         48
        .size:           4
        .value_kind:     by_value
      - .offset:         52
        .size:           4
        .value_kind:     by_value
      - .actual_access:  read_only
        .address_space:  global
        .offset:         56
        .size:           8
        .value_kind:     global_buffer
      - .actual_access:  read_only
        .address_space:  global
        .offset:         64
        .size:           8
        .value_kind:     global_buffer
      - .offset:         72
        .size:           4
        .value_kind:     by_value
      - .actual_access:  read_only
        .address_space:  global
        .offset:         80
        .size:           8
        .value_kind:     global_buffer
      - .offset:         88
        .size:           4
        .value_kind:     by_value
      - .offset:         92
        .size:           4
        .value_kind:     by_value
      - .offset:         96
        .size:           4
        .value_kind:     by_value
      - .address_space:  global
        .offset:         104
        .size:           8
        .value_kind:     global_buffer
      - .address_space:  global
        .offset:         112
        .size:           8
        .value_kind:     global_buffer
      - .offset:         120
        .size:           4
        .value_kind:     by_value
      - .offset:         124
        .size:           4
        .value_kind:     by_value
      - .offset:         128
        .size:           4
        .value_kind:     by_value
      - .offset:         132
        .size:           4
        .value_kind:     by_value
      - .offset:         136
        .size:           4
        .value_kind:     by_value
      - .offset:         144
        .size:           4
        .value_kind:     hidden_block_count_x
      - .offset:         148
        .size:           4
        .value_kind:     hidden_block_count_y
      - .offset:         152
        .size:           4
        .value_kind:     hidden_block_count_z
      - .offset:         156
        .size:           2
        .value_kind:     hidden_group_size_x
      - .offset:         158
        .size:           2
        .value_kind:     hidden_group_size_y
      - .offset:         160
        .size:           2
        .value_kind:     hidden_group_size_z
      - .offset:         162
        .size:           2
        .value_kind:     hidden_remainder_x
      - .offset:         164
        .size:           2
        .value_kind:     hidden_remainder_y
      - .offset:         166
        .size:           2
        .value_kind:     hidden_remainder_z
      - .offset:         184
        .size:           8
        .value_kind:     hidden_global_offset_x
      - .offset:         192
        .size:           8
        .value_kind:     hidden_global_offset_y
      - .offset:         200
        .size:           8
        .value_kind:     hidden_global_offset_z
      - .offset:         208
        .size:           2
        .value_kind:     hidden_grid_dims
      - .offset:         264
        .size:           4
        .value_kind:     hidden_dynamic_lds_size
    .group_segment_fixed_size: 192
    .kernarg_segment_align: 8
    .kernarg_segment_size: 400
    .language:       OpenCL C
    .language_version:
      - 2
      - 0
    .max_flat_workgroup_size: 1024
    .name:           _ZN4vllm25paged_attention_v2_kernelIttLi80ELi8ELi128ELNS_18Fp8KVCacheDataTypeE0ELb1ELi512EEEvPfS2_PT_PKS3_PKT0_S9_ifPKiSB_iPKfiiiSD_SD_iiiii
    .private_segment_fixed_size: 0
    .sgpr_count:     48
    .sgpr_spill_count: 0
    .symbol:         _ZN4vllm25paged_attention_v2_kernelIttLi80ELi8ELi128ELNS_18Fp8KVCacheDataTypeE0ELb1ELi512EEEvPfS2_PT_PKS3_PKT0_S9_ifPKiSB_iPKfiiiSD_SD_iiiii.kd
    .uniform_work_group_size: 1
    .uses_dynamic_stack: false
    .vgpr_count:     56
    .vgpr_spill_count: 0
    .wavefront_size: 32
    .workgroup_processor_mode: 1
  - .args:
      - .actual_access:  write_only
        .address_space:  global
        .offset:         0
        .size:           8
        .value_kind:     global_buffer
      - .actual_access:  read_only
        .address_space:  global
        .offset:         8
        .size:           8
        .value_kind:     global_buffer
      - .actual_access:  read_only
        .address_space:  global
        .offset:         16
        .size:           8
        .value_kind:     global_buffer
      - .actual_access:  read_only
        .address_space:  global
        .offset:         24
        .size:           8
        .value_kind:     global_buffer
      - .actual_access:  read_only
        .address_space:  global
        .offset:         32
        .size:           8
        .value_kind:     global_buffer
      - .offset:         40
        .size:           4
        .value_kind:     by_value
      - .offset:         48
        .size:           4
        .value_kind:     hidden_block_count_x
      - .offset:         52
        .size:           4
        .value_kind:     hidden_block_count_y
      - .offset:         56
        .size:           4
        .value_kind:     hidden_block_count_z
      - .offset:         60
        .size:           2
        .value_kind:     hidden_group_size_x
      - .offset:         62
        .size:           2
        .value_kind:     hidden_group_size_y
      - .offset:         64
        .size:           2
        .value_kind:     hidden_group_size_z
      - .offset:         66
        .size:           2
        .value_kind:     hidden_remainder_x
      - .offset:         68
        .size:           2
        .value_kind:     hidden_remainder_y
      - .offset:         70
        .size:           2
        .value_kind:     hidden_remainder_z
      - .offset:         88
        .size:           8
        .value_kind:     hidden_global_offset_x
      - .offset:         96
        .size:           8
        .value_kind:     hidden_global_offset_y
      - .offset:         104
        .size:           8
        .value_kind:     hidden_global_offset_z
      - .offset:         112
        .size:           2
        .value_kind:     hidden_grid_dims
      - .offset:         168
        .size:           4
        .value_kind:     hidden_dynamic_lds_size
    .group_segment_fixed_size: 32
    .kernarg_segment_align: 8
    .kernarg_segment_size: 304
    .language:       OpenCL C
    .language_version:
      - 2
      - 0
    .max_flat_workgroup_size: 1024
    .name:           _ZN4vllm32paged_attention_v2_reduce_kernelItLi80ELi128ELi512EEEvPT_PKfS4_PKS1_PKii
    .private_segment_fixed_size: 0
    .sgpr_count:     31
    .sgpr_spill_count: 0
    .symbol:         _ZN4vllm32paged_attention_v2_reduce_kernelItLi80ELi128ELi512EEEvPT_PKfS4_PKS1_PKii.kd
    .uniform_work_group_size: 1
    .uses_dynamic_stack: false
    .vgpr_count:     19
    .vgpr_spill_count: 0
    .wavefront_size: 32
    .workgroup_processor_mode: 1
  - .args:
      - .actual_access:  write_only
        .address_space:  global
        .offset:         0
        .size:           8
        .value_kind:     global_buffer
      - .actual_access:  write_only
        .address_space:  global
        .offset:         8
        .size:           8
        .value_kind:     global_buffer
      - .actual_access:  write_only
        .address_space:  global
        .offset:         16
        .size:           8
        .value_kind:     global_buffer
      - .actual_access:  read_only
        .address_space:  global
        .offset:         24
        .size:           8
        .value_kind:     global_buffer
      - .actual_access:  read_only
        .address_space:  global
        .offset:         32
        .size:           8
        .value_kind:     global_buffer
      - .actual_access:  read_only
        .address_space:  global
        .offset:         40
        .size:           8
        .value_kind:     global_buffer
      - .offset:         48
        .size:           4
        .value_kind:     by_value
      - .offset:         52
        .size:           4
        .value_kind:     by_value
      - .actual_access:  read_only
        .address_space:  global
        .offset:         56
        .size:           8
        .value_kind:     global_buffer
      - .actual_access:  read_only
        .address_space:  global
        .offset:         64
        .size:           8
        .value_kind:     global_buffer
      - .offset:         72
        .size:           4
        .value_kind:     by_value
      - .actual_access:  read_only
        .address_space:  global
        .offset:         80
        .size:           8
        .value_kind:     global_buffer
      - .offset:         88
        .size:           4
        .value_kind:     by_value
      - .offset:         92
        .size:           4
        .value_kind:     by_value
      - .offset:         96
        .size:           4
        .value_kind:     by_value
      - .address_space:  global
        .offset:         104
        .size:           8
        .value_kind:     global_buffer
      - .address_space:  global
        .offset:         112
        .size:           8
        .value_kind:     global_buffer
      - .offset:         120
        .size:           4
        .value_kind:     by_value
      - .offset:         124
        .size:           4
        .value_kind:     by_value
      - .offset:         128
        .size:           4
        .value_kind:     by_value
      - .offset:         132
        .size:           4
        .value_kind:     by_value
      - .offset:         136
        .size:           4
        .value_kind:     by_value
      - .offset:         144
        .size:           4
        .value_kind:     hidden_block_count_x
      - .offset:         148
        .size:           4
        .value_kind:     hidden_block_count_y
      - .offset:         152
        .size:           4
        .value_kind:     hidden_block_count_z
      - .offset:         156
        .size:           2
        .value_kind:     hidden_group_size_x
      - .offset:         158
        .size:           2
        .value_kind:     hidden_group_size_y
      - .offset:         160
        .size:           2
        .value_kind:     hidden_group_size_z
      - .offset:         162
        .size:           2
        .value_kind:     hidden_remainder_x
      - .offset:         164
        .size:           2
        .value_kind:     hidden_remainder_y
      - .offset:         166
        .size:           2
        .value_kind:     hidden_remainder_z
      - .offset:         184
        .size:           8
        .value_kind:     hidden_global_offset_x
      - .offset:         192
        .size:           8
        .value_kind:     hidden_global_offset_y
      - .offset:         200
        .size:           8
        .value_kind:     hidden_global_offset_z
      - .offset:         208
        .size:           2
        .value_kind:     hidden_grid_dims
      - .offset:         264
        .size:           4
        .value_kind:     hidden_dynamic_lds_size
    .group_segment_fixed_size: 224
    .kernarg_segment_align: 8
    .kernarg_segment_size: 400
    .language:       OpenCL C
    .language_version:
      - 2
      - 0
    .max_flat_workgroup_size: 1024
    .name:           _ZN4vllm25paged_attention_v2_kernelIttLi96ELi8ELi128ELNS_18Fp8KVCacheDataTypeE0ELb1ELi512EEEvPfS2_PT_PKS3_PKT0_S9_ifPKiSB_iPKfiiiSD_SD_iiiii
    .private_segment_fixed_size: 0
    .sgpr_count:     47
    .sgpr_spill_count: 0
    .symbol:         _ZN4vllm25paged_attention_v2_kernelIttLi96ELi8ELi128ELNS_18Fp8KVCacheDataTypeE0ELb1ELi512EEEvPfS2_PT_PKS3_PKT0_S9_ifPKiSB_iPKfiiiSD_SD_iiiii.kd
    .uniform_work_group_size: 1
    .uses_dynamic_stack: false
    .vgpr_count:     63
    .vgpr_spill_count: 0
    .wavefront_size: 32
    .workgroup_processor_mode: 1
  - .args:
      - .actual_access:  write_only
        .address_space:  global
        .offset:         0
        .size:           8
        .value_kind:     global_buffer
      - .actual_access:  read_only
        .address_space:  global
        .offset:         8
        .size:           8
        .value_kind:     global_buffer
      - .actual_access:  read_only
        .address_space:  global
        .offset:         16
        .size:           8
        .value_kind:     global_buffer
      - .actual_access:  read_only
        .address_space:  global
        .offset:         24
        .size:           8
        .value_kind:     global_buffer
      - .actual_access:  read_only
        .address_space:  global
        .offset:         32
        .size:           8
        .value_kind:     global_buffer
      - .offset:         40
        .size:           4
        .value_kind:     by_value
      - .offset:         48
        .size:           4
        .value_kind:     hidden_block_count_x
      - .offset:         52
        .size:           4
        .value_kind:     hidden_block_count_y
      - .offset:         56
        .size:           4
        .value_kind:     hidden_block_count_z
      - .offset:         60
        .size:           2
        .value_kind:     hidden_group_size_x
      - .offset:         62
        .size:           2
        .value_kind:     hidden_group_size_y
      - .offset:         64
        .size:           2
        .value_kind:     hidden_group_size_z
      - .offset:         66
        .size:           2
        .value_kind:     hidden_remainder_x
      - .offset:         68
        .size:           2
        .value_kind:     hidden_remainder_y
      - .offset:         70
        .size:           2
        .value_kind:     hidden_remainder_z
      - .offset:         88
        .size:           8
        .value_kind:     hidden_global_offset_x
      - .offset:         96
        .size:           8
        .value_kind:     hidden_global_offset_y
      - .offset:         104
        .size:           8
        .value_kind:     hidden_global_offset_z
      - .offset:         112
        .size:           2
        .value_kind:     hidden_grid_dims
      - .offset:         168
        .size:           4
        .value_kind:     hidden_dynamic_lds_size
    .group_segment_fixed_size: 32
    .kernarg_segment_align: 8
    .kernarg_segment_size: 304
    .language:       OpenCL C
    .language_version:
      - 2
      - 0
    .max_flat_workgroup_size: 1024
    .name:           _ZN4vllm32paged_attention_v2_reduce_kernelItLi96ELi128ELi512EEEvPT_PKfS4_PKS1_PKii
    .private_segment_fixed_size: 0
    .sgpr_count:     31
    .sgpr_spill_count: 0
    .symbol:         _ZN4vllm32paged_attention_v2_reduce_kernelItLi96ELi128ELi512EEEvPT_PKfS4_PKS1_PKii.kd
    .uniform_work_group_size: 1
    .uses_dynamic_stack: false
    .vgpr_count:     19
    .vgpr_spill_count: 0
    .wavefront_size: 32
    .workgroup_processor_mode: 1
  - .args:
      - .actual_access:  write_only
        .address_space:  global
        .offset:         0
        .size:           8
        .value_kind:     global_buffer
      - .actual_access:  write_only
        .address_space:  global
        .offset:         8
        .size:           8
        .value_kind:     global_buffer
      - .actual_access:  write_only
        .address_space:  global
        .offset:         16
        .size:           8
        .value_kind:     global_buffer
      - .actual_access:  read_only
        .address_space:  global
        .offset:         24
        .size:           8
        .value_kind:     global_buffer
      - .actual_access:  read_only
        .address_space:  global
        .offset:         32
        .size:           8
        .value_kind:     global_buffer
      - .actual_access:  read_only
        .address_space:  global
        .offset:         40
        .size:           8
        .value_kind:     global_buffer
      - .offset:         48
        .size:           4
        .value_kind:     by_value
      - .offset:         52
        .size:           4
        .value_kind:     by_value
      - .actual_access:  read_only
        .address_space:  global
        .offset:         56
        .size:           8
        .value_kind:     global_buffer
      - .actual_access:  read_only
        .address_space:  global
        .offset:         64
        .size:           8
        .value_kind:     global_buffer
      - .offset:         72
        .size:           4
        .value_kind:     by_value
      - .actual_access:  read_only
        .address_space:  global
        .offset:         80
        .size:           8
        .value_kind:     global_buffer
      - .offset:         88
        .size:           4
        .value_kind:     by_value
      - .offset:         92
        .size:           4
        .value_kind:     by_value
      - .offset:         96
        .size:           4
        .value_kind:     by_value
      - .address_space:  global
        .offset:         104
        .size:           8
        .value_kind:     global_buffer
      - .address_space:  global
        .offset:         112
        .size:           8
        .value_kind:     global_buffer
      - .offset:         120
        .size:           4
        .value_kind:     by_value
      - .offset:         124
        .size:           4
        .value_kind:     by_value
      - .offset:         128
        .size:           4
        .value_kind:     by_value
      - .offset:         132
        .size:           4
        .value_kind:     by_value
      - .offset:         136
        .size:           4
        .value_kind:     by_value
      - .offset:         144
        .size:           4
        .value_kind:     hidden_block_count_x
      - .offset:         148
        .size:           4
        .value_kind:     hidden_block_count_y
      - .offset:         152
        .size:           4
        .value_kind:     hidden_block_count_z
      - .offset:         156
        .size:           2
        .value_kind:     hidden_group_size_x
      - .offset:         158
        .size:           2
        .value_kind:     hidden_group_size_y
      - .offset:         160
        .size:           2
        .value_kind:     hidden_group_size_z
      - .offset:         162
        .size:           2
        .value_kind:     hidden_remainder_x
      - .offset:         164
        .size:           2
        .value_kind:     hidden_remainder_y
      - .offset:         166
        .size:           2
        .value_kind:     hidden_remainder_z
      - .offset:         184
        .size:           8
        .value_kind:     hidden_global_offset_x
      - .offset:         192
        .size:           8
        .value_kind:     hidden_global_offset_y
      - .offset:         200
        .size:           8
        .value_kind:     hidden_global_offset_z
      - .offset:         208
        .size:           2
        .value_kind:     hidden_grid_dims
      - .offset:         264
        .size:           4
        .value_kind:     hidden_dynamic_lds_size
    .group_segment_fixed_size: 256
    .kernarg_segment_align: 8
    .kernarg_segment_size: 400
    .language:       OpenCL C
    .language_version:
      - 2
      - 0
    .max_flat_workgroup_size: 1024
    .name:           _ZN4vllm25paged_attention_v2_kernelIttLi112ELi8ELi128ELNS_18Fp8KVCacheDataTypeE0ELb1ELi512EEEvPfS2_PT_PKS3_PKT0_S9_ifPKiSB_iPKfiiiSD_SD_iiiii
    .private_segment_fixed_size: 0
    .sgpr_count:     48
    .sgpr_spill_count: 0
    .symbol:         _ZN4vllm25paged_attention_v2_kernelIttLi112ELi8ELi128ELNS_18Fp8KVCacheDataTypeE0ELb1ELi512EEEvPfS2_PT_PKS3_PKT0_S9_ifPKiSB_iPKfiiiSD_SD_iiiii.kd
    .uniform_work_group_size: 1
    .uses_dynamic_stack: false
    .vgpr_count:     69
    .vgpr_spill_count: 0
    .wavefront_size: 32
    .workgroup_processor_mode: 1
  - .args:
      - .actual_access:  write_only
        .address_space:  global
        .offset:         0
        .size:           8
        .value_kind:     global_buffer
      - .actual_access:  read_only
        .address_space:  global
        .offset:         8
        .size:           8
        .value_kind:     global_buffer
      - .actual_access:  read_only
        .address_space:  global
        .offset:         16
        .size:           8
        .value_kind:     global_buffer
      - .actual_access:  read_only
        .address_space:  global
        .offset:         24
        .size:           8
        .value_kind:     global_buffer
      - .actual_access:  read_only
        .address_space:  global
        .offset:         32
        .size:           8
        .value_kind:     global_buffer
      - .offset:         40
        .size:           4
        .value_kind:     by_value
      - .offset:         48
        .size:           4
        .value_kind:     hidden_block_count_x
      - .offset:         52
        .size:           4
        .value_kind:     hidden_block_count_y
      - .offset:         56
        .size:           4
        .value_kind:     hidden_block_count_z
      - .offset:         60
        .size:           2
        .value_kind:     hidden_group_size_x
      - .offset:         62
        .size:           2
        .value_kind:     hidden_group_size_y
      - .offset:         64
        .size:           2
        .value_kind:     hidden_group_size_z
      - .offset:         66
        .size:           2
        .value_kind:     hidden_remainder_x
      - .offset:         68
        .size:           2
        .value_kind:     hidden_remainder_y
      - .offset:         70
        .size:           2
        .value_kind:     hidden_remainder_z
      - .offset:         88
        .size:           8
        .value_kind:     hidden_global_offset_x
      - .offset:         96
        .size:           8
        .value_kind:     hidden_global_offset_y
      - .offset:         104
        .size:           8
        .value_kind:     hidden_global_offset_z
      - .offset:         112
        .size:           2
        .value_kind:     hidden_grid_dims
      - .offset:         168
        .size:           4
        .value_kind:     hidden_dynamic_lds_size
    .group_segment_fixed_size: 32
    .kernarg_segment_align: 8
    .kernarg_segment_size: 304
    .language:       OpenCL C
    .language_version:
      - 2
      - 0
    .max_flat_workgroup_size: 1024
    .name:           _ZN4vllm32paged_attention_v2_reduce_kernelItLi112ELi128ELi512EEEvPT_PKfS4_PKS1_PKii
    .private_segment_fixed_size: 0
    .sgpr_count:     31
    .sgpr_spill_count: 0
    .symbol:         _ZN4vllm32paged_attention_v2_reduce_kernelItLi112ELi128ELi512EEEvPT_PKfS4_PKS1_PKii.kd
    .uniform_work_group_size: 1
    .uses_dynamic_stack: false
    .vgpr_count:     19
    .vgpr_spill_count: 0
    .wavefront_size: 32
    .workgroup_processor_mode: 1
  - .args:
      - .actual_access:  write_only
        .address_space:  global
        .offset:         0
        .size:           8
        .value_kind:     global_buffer
      - .actual_access:  write_only
        .address_space:  global
        .offset:         8
        .size:           8
        .value_kind:     global_buffer
      - .actual_access:  write_only
        .address_space:  global
        .offset:         16
        .size:           8
        .value_kind:     global_buffer
      - .actual_access:  read_only
        .address_space:  global
        .offset:         24
        .size:           8
        .value_kind:     global_buffer
      - .actual_access:  read_only
        .address_space:  global
        .offset:         32
        .size:           8
        .value_kind:     global_buffer
      - .actual_access:  read_only
        .address_space:  global
        .offset:         40
        .size:           8
        .value_kind:     global_buffer
      - .offset:         48
        .size:           4
        .value_kind:     by_value
      - .offset:         52
        .size:           4
        .value_kind:     by_value
      - .actual_access:  read_only
        .address_space:  global
        .offset:         56
        .size:           8
        .value_kind:     global_buffer
      - .actual_access:  read_only
        .address_space:  global
        .offset:         64
        .size:           8
        .value_kind:     global_buffer
      - .offset:         72
        .size:           4
        .value_kind:     by_value
      - .actual_access:  read_only
        .address_space:  global
        .offset:         80
        .size:           8
        .value_kind:     global_buffer
      - .offset:         88
        .size:           4
        .value_kind:     by_value
      - .offset:         92
        .size:           4
        .value_kind:     by_value
      - .offset:         96
        .size:           4
        .value_kind:     by_value
      - .address_space:  global
        .offset:         104
        .size:           8
        .value_kind:     global_buffer
      - .address_space:  global
        .offset:         112
        .size:           8
        .value_kind:     global_buffer
      - .offset:         120
        .size:           4
        .value_kind:     by_value
      - .offset:         124
        .size:           4
        .value_kind:     by_value
      - .offset:         128
        .size:           4
        .value_kind:     by_value
      - .offset:         132
        .size:           4
        .value_kind:     by_value
      - .offset:         136
        .size:           4
        .value_kind:     by_value
      - .offset:         144
        .size:           4
        .value_kind:     hidden_block_count_x
      - .offset:         148
        .size:           4
        .value_kind:     hidden_block_count_y
      - .offset:         152
        .size:           4
        .value_kind:     hidden_block_count_z
      - .offset:         156
        .size:           2
        .value_kind:     hidden_group_size_x
      - .offset:         158
        .size:           2
        .value_kind:     hidden_group_size_y
      - .offset:         160
        .size:           2
        .value_kind:     hidden_group_size_z
      - .offset:         162
        .size:           2
        .value_kind:     hidden_remainder_x
      - .offset:         164
        .size:           2
        .value_kind:     hidden_remainder_y
      - .offset:         166
        .size:           2
        .value_kind:     hidden_remainder_z
      - .offset:         184
        .size:           8
        .value_kind:     hidden_global_offset_x
      - .offset:         192
        .size:           8
        .value_kind:     hidden_global_offset_y
      - .offset:         200
        .size:           8
        .value_kind:     hidden_global_offset_z
      - .offset:         208
        .size:           2
        .value_kind:     hidden_grid_dims
      - .offset:         264
        .size:           4
        .value_kind:     hidden_dynamic_lds_size
    .group_segment_fixed_size: 272
    .kernarg_segment_align: 8
    .kernarg_segment_size: 400
    .language:       OpenCL C
    .language_version:
      - 2
      - 0
    .max_flat_workgroup_size: 1024
    .name:           _ZN4vllm25paged_attention_v2_kernelIttLi120ELi8ELi128ELNS_18Fp8KVCacheDataTypeE0ELb1ELi512EEEvPfS2_PT_PKS3_PKT0_S9_ifPKiSB_iPKfiiiSD_SD_iiiii
    .private_segment_fixed_size: 0
    .sgpr_count:     48
    .sgpr_spill_count: 0
    .symbol:         _ZN4vllm25paged_attention_v2_kernelIttLi120ELi8ELi128ELNS_18Fp8KVCacheDataTypeE0ELb1ELi512EEEvPfS2_PT_PKS3_PKT0_S9_ifPKiSB_iPKfiiiSD_SD_iiiii.kd
    .uniform_work_group_size: 1
    .uses_dynamic_stack: false
    .vgpr_count:     73
    .vgpr_spill_count: 0
    .wavefront_size: 32
    .workgroup_processor_mode: 1
  - .args:
      - .actual_access:  write_only
        .address_space:  global
        .offset:         0
        .size:           8
        .value_kind:     global_buffer
      - .actual_access:  read_only
        .address_space:  global
        .offset:         8
        .size:           8
        .value_kind:     global_buffer
      - .actual_access:  read_only
        .address_space:  global
        .offset:         16
        .size:           8
        .value_kind:     global_buffer
      - .actual_access:  read_only
        .address_space:  global
        .offset:         24
        .size:           8
        .value_kind:     global_buffer
      - .actual_access:  read_only
        .address_space:  global
        .offset:         32
        .size:           8
        .value_kind:     global_buffer
      - .offset:         40
        .size:           4
        .value_kind:     by_value
      - .offset:         48
        .size:           4
        .value_kind:     hidden_block_count_x
      - .offset:         52
        .size:           4
        .value_kind:     hidden_block_count_y
      - .offset:         56
        .size:           4
        .value_kind:     hidden_block_count_z
      - .offset:         60
        .size:           2
        .value_kind:     hidden_group_size_x
      - .offset:         62
        .size:           2
        .value_kind:     hidden_group_size_y
      - .offset:         64
        .size:           2
        .value_kind:     hidden_group_size_z
      - .offset:         66
        .size:           2
        .value_kind:     hidden_remainder_x
      - .offset:         68
        .size:           2
        .value_kind:     hidden_remainder_y
      - .offset:         70
        .size:           2
        .value_kind:     hidden_remainder_z
      - .offset:         88
        .size:           8
        .value_kind:     hidden_global_offset_x
      - .offset:         96
        .size:           8
        .value_kind:     hidden_global_offset_y
      - .offset:         104
        .size:           8
        .value_kind:     hidden_global_offset_z
      - .offset:         112
        .size:           2
        .value_kind:     hidden_grid_dims
      - .offset:         168
        .size:           4
        .value_kind:     hidden_dynamic_lds_size
    .group_segment_fixed_size: 32
    .kernarg_segment_align: 8
    .kernarg_segment_size: 304
    .language:       OpenCL C
    .language_version:
      - 2
      - 0
    .max_flat_workgroup_size: 1024
    .name:           _ZN4vllm32paged_attention_v2_reduce_kernelItLi120ELi128ELi512EEEvPT_PKfS4_PKS1_PKii
    .private_segment_fixed_size: 0
    .sgpr_count:     31
    .sgpr_spill_count: 0
    .symbol:         _ZN4vllm32paged_attention_v2_reduce_kernelItLi120ELi128ELi512EEEvPT_PKfS4_PKS1_PKii.kd
    .uniform_work_group_size: 1
    .uses_dynamic_stack: false
    .vgpr_count:     19
    .vgpr_spill_count: 0
    .wavefront_size: 32
    .workgroup_processor_mode: 1
  - .args:
      - .actual_access:  write_only
        .address_space:  global
        .offset:         0
        .size:           8
        .value_kind:     global_buffer
      - .actual_access:  write_only
        .address_space:  global
        .offset:         8
        .size:           8
        .value_kind:     global_buffer
      - .actual_access:  write_only
        .address_space:  global
        .offset:         16
        .size:           8
        .value_kind:     global_buffer
      - .actual_access:  read_only
        .address_space:  global
        .offset:         24
        .size:           8
        .value_kind:     global_buffer
      - .actual_access:  read_only
        .address_space:  global
        .offset:         32
        .size:           8
        .value_kind:     global_buffer
      - .actual_access:  read_only
        .address_space:  global
        .offset:         40
        .size:           8
        .value_kind:     global_buffer
      - .offset:         48
        .size:           4
        .value_kind:     by_value
      - .offset:         52
        .size:           4
        .value_kind:     by_value
      - .actual_access:  read_only
        .address_space:  global
        .offset:         56
        .size:           8
        .value_kind:     global_buffer
      - .actual_access:  read_only
        .address_space:  global
        .offset:         64
        .size:           8
        .value_kind:     global_buffer
      - .offset:         72
        .size:           4
        .value_kind:     by_value
      - .actual_access:  read_only
        .address_space:  global
        .offset:         80
        .size:           8
        .value_kind:     global_buffer
      - .offset:         88
        .size:           4
        .value_kind:     by_value
      - .offset:         92
        .size:           4
        .value_kind:     by_value
      - .offset:         96
        .size:           4
        .value_kind:     by_value
      - .address_space:  global
        .offset:         104
        .size:           8
        .value_kind:     global_buffer
      - .address_space:  global
        .offset:         112
        .size:           8
        .value_kind:     global_buffer
      - .offset:         120
        .size:           4
        .value_kind:     by_value
      - .offset:         124
        .size:           4
        .value_kind:     by_value
      - .offset:         128
        .size:           4
        .value_kind:     by_value
      - .offset:         132
        .size:           4
        .value_kind:     by_value
      - .offset:         136
        .size:           4
        .value_kind:     by_value
      - .offset:         144
        .size:           4
        .value_kind:     hidden_block_count_x
      - .offset:         148
        .size:           4
        .value_kind:     hidden_block_count_y
      - .offset:         152
        .size:           4
        .value_kind:     hidden_block_count_z
      - .offset:         156
        .size:           2
        .value_kind:     hidden_group_size_x
      - .offset:         158
        .size:           2
        .value_kind:     hidden_group_size_y
      - .offset:         160
        .size:           2
        .value_kind:     hidden_group_size_z
      - .offset:         162
        .size:           2
        .value_kind:     hidden_remainder_x
      - .offset:         164
        .size:           2
        .value_kind:     hidden_remainder_y
      - .offset:         166
        .size:           2
        .value_kind:     hidden_remainder_z
      - .offset:         184
        .size:           8
        .value_kind:     hidden_global_offset_x
      - .offset:         192
        .size:           8
        .value_kind:     hidden_global_offset_y
      - .offset:         200
        .size:           8
        .value_kind:     hidden_global_offset_z
      - .offset:         208
        .size:           2
        .value_kind:     hidden_grid_dims
      - .offset:         264
        .size:           4
        .value_kind:     hidden_dynamic_lds_size
    .group_segment_fixed_size: 288
    .kernarg_segment_align: 8
    .kernarg_segment_size: 400
    .language:       OpenCL C
    .language_version:
      - 2
      - 0
    .max_flat_workgroup_size: 1024
    .name:           _ZN4vllm25paged_attention_v2_kernelIttLi128ELi8ELi128ELNS_18Fp8KVCacheDataTypeE0ELb1ELi512EEEvPfS2_PT_PKS3_PKT0_S9_ifPKiSB_iPKfiiiSD_SD_iiiii
    .private_segment_fixed_size: 0
    .sgpr_count:     48
    .sgpr_spill_count: 0
    .symbol:         _ZN4vllm25paged_attention_v2_kernelIttLi128ELi8ELi128ELNS_18Fp8KVCacheDataTypeE0ELb1ELi512EEEvPfS2_PT_PKS3_PKT0_S9_ifPKiSB_iPKfiiiSD_SD_iiiii.kd
    .uniform_work_group_size: 1
    .uses_dynamic_stack: false
    .vgpr_count:     78
    .vgpr_spill_count: 0
    .wavefront_size: 32
    .workgroup_processor_mode: 1
  - .args:
      - .actual_access:  write_only
        .address_space:  global
        .offset:         0
        .size:           8
        .value_kind:     global_buffer
      - .actual_access:  read_only
        .address_space:  global
        .offset:         8
        .size:           8
        .value_kind:     global_buffer
      - .actual_access:  read_only
        .address_space:  global
        .offset:         16
        .size:           8
        .value_kind:     global_buffer
      - .actual_access:  read_only
        .address_space:  global
        .offset:         24
        .size:           8
        .value_kind:     global_buffer
      - .actual_access:  read_only
        .address_space:  global
        .offset:         32
        .size:           8
        .value_kind:     global_buffer
      - .offset:         40
        .size:           4
        .value_kind:     by_value
      - .offset:         48
        .size:           4
        .value_kind:     hidden_block_count_x
      - .offset:         52
        .size:           4
        .value_kind:     hidden_block_count_y
      - .offset:         56
        .size:           4
        .value_kind:     hidden_block_count_z
      - .offset:         60
        .size:           2
        .value_kind:     hidden_group_size_x
      - .offset:         62
        .size:           2
        .value_kind:     hidden_group_size_y
      - .offset:         64
        .size:           2
        .value_kind:     hidden_group_size_z
      - .offset:         66
        .size:           2
        .value_kind:     hidden_remainder_x
      - .offset:         68
        .size:           2
        .value_kind:     hidden_remainder_y
      - .offset:         70
        .size:           2
        .value_kind:     hidden_remainder_z
      - .offset:         88
        .size:           8
        .value_kind:     hidden_global_offset_x
      - .offset:         96
        .size:           8
        .value_kind:     hidden_global_offset_y
      - .offset:         104
        .size:           8
        .value_kind:     hidden_global_offset_z
      - .offset:         112
        .size:           2
        .value_kind:     hidden_grid_dims
      - .offset:         168
        .size:           4
        .value_kind:     hidden_dynamic_lds_size
    .group_segment_fixed_size: 32
    .kernarg_segment_align: 8
    .kernarg_segment_size: 304
    .language:       OpenCL C
    .language_version:
      - 2
      - 0
    .max_flat_workgroup_size: 1024
    .name:           _ZN4vllm32paged_attention_v2_reduce_kernelItLi128ELi128ELi512EEEvPT_PKfS4_PKS1_PKii
    .private_segment_fixed_size: 0
    .sgpr_count:     31
    .sgpr_spill_count: 0
    .symbol:         _ZN4vllm32paged_attention_v2_reduce_kernelItLi128ELi128ELi512EEEvPT_PKfS4_PKS1_PKii.kd
    .uniform_work_group_size: 1
    .uses_dynamic_stack: false
    .vgpr_count:     19
    .vgpr_spill_count: 0
    .wavefront_size: 32
    .workgroup_processor_mode: 1
  - .args:
      - .actual_access:  write_only
        .address_space:  global
        .offset:         0
        .size:           8
        .value_kind:     global_buffer
      - .actual_access:  write_only
        .address_space:  global
        .offset:         8
        .size:           8
        .value_kind:     global_buffer
      - .actual_access:  write_only
        .address_space:  global
        .offset:         16
        .size:           8
        .value_kind:     global_buffer
      - .actual_access:  read_only
        .address_space:  global
        .offset:         24
        .size:           8
        .value_kind:     global_buffer
      - .actual_access:  read_only
        .address_space:  global
        .offset:         32
        .size:           8
        .value_kind:     global_buffer
      - .actual_access:  read_only
        .address_space:  global
        .offset:         40
        .size:           8
        .value_kind:     global_buffer
      - .offset:         48
        .size:           4
        .value_kind:     by_value
      - .offset:         52
        .size:           4
        .value_kind:     by_value
      - .actual_access:  read_only
        .address_space:  global
        .offset:         56
        .size:           8
        .value_kind:     global_buffer
      - .actual_access:  read_only
        .address_space:  global
        .offset:         64
        .size:           8
        .value_kind:     global_buffer
      - .offset:         72
        .size:           4
        .value_kind:     by_value
      - .actual_access:  read_only
        .address_space:  global
        .offset:         80
        .size:           8
        .value_kind:     global_buffer
      - .offset:         88
        .size:           4
        .value_kind:     by_value
      - .offset:         92
        .size:           4
        .value_kind:     by_value
      - .offset:         96
        .size:           4
        .value_kind:     by_value
      - .address_space:  global
        .offset:         104
        .size:           8
        .value_kind:     global_buffer
      - .address_space:  global
        .offset:         112
        .size:           8
        .value_kind:     global_buffer
      - .offset:         120
        .size:           4
        .value_kind:     by_value
      - .offset:         124
        .size:           4
        .value_kind:     by_value
      - .offset:         128
        .size:           4
        .value_kind:     by_value
      - .offset:         132
        .size:           4
        .value_kind:     by_value
      - .offset:         136
        .size:           4
        .value_kind:     by_value
      - .offset:         144
        .size:           4
        .value_kind:     hidden_block_count_x
      - .offset:         148
        .size:           4
        .value_kind:     hidden_block_count_y
      - .offset:         152
        .size:           4
        .value_kind:     hidden_block_count_z
      - .offset:         156
        .size:           2
        .value_kind:     hidden_group_size_x
      - .offset:         158
        .size:           2
        .value_kind:     hidden_group_size_y
      - .offset:         160
        .size:           2
        .value_kind:     hidden_group_size_z
      - .offset:         162
        .size:           2
        .value_kind:     hidden_remainder_x
      - .offset:         164
        .size:           2
        .value_kind:     hidden_remainder_y
      - .offset:         166
        .size:           2
        .value_kind:     hidden_remainder_z
      - .offset:         184
        .size:           8
        .value_kind:     hidden_global_offset_x
      - .offset:         192
        .size:           8
        .value_kind:     hidden_global_offset_y
      - .offset:         200
        .size:           8
        .value_kind:     hidden_global_offset_z
      - .offset:         208
        .size:           2
        .value_kind:     hidden_grid_dims
      - .offset:         264
        .size:           4
        .value_kind:     hidden_dynamic_lds_size
    .group_segment_fixed_size: 416
    .kernarg_segment_align: 8
    .kernarg_segment_size: 400
    .language:       OpenCL C
    .language_version:
      - 2
      - 0
    .max_flat_workgroup_size: 1024
    .name:           _ZN4vllm25paged_attention_v2_kernelIttLi192ELi8ELi128ELNS_18Fp8KVCacheDataTypeE0ELb1ELi512EEEvPfS2_PT_PKS3_PKT0_S9_ifPKiSB_iPKfiiiSD_SD_iiiii
    .private_segment_fixed_size: 0
    .sgpr_count:     47
    .sgpr_spill_count: 0
    .symbol:         _ZN4vllm25paged_attention_v2_kernelIttLi192ELi8ELi128ELNS_18Fp8KVCacheDataTypeE0ELb1ELi512EEEvPfS2_PT_PKS3_PKT0_S9_ifPKiSB_iPKfiiiSD_SD_iiiii.kd
    .uniform_work_group_size: 1
    .uses_dynamic_stack: false
    .vgpr_count:     104
    .vgpr_spill_count: 0
    .wavefront_size: 32
    .workgroup_processor_mode: 1
  - .args:
      - .actual_access:  write_only
        .address_space:  global
        .offset:         0
        .size:           8
        .value_kind:     global_buffer
      - .actual_access:  read_only
        .address_space:  global
        .offset:         8
        .size:           8
        .value_kind:     global_buffer
      - .actual_access:  read_only
        .address_space:  global
        .offset:         16
        .size:           8
        .value_kind:     global_buffer
      - .actual_access:  read_only
        .address_space:  global
        .offset:         24
        .size:           8
        .value_kind:     global_buffer
      - .actual_access:  read_only
        .address_space:  global
        .offset:         32
        .size:           8
        .value_kind:     global_buffer
      - .offset:         40
        .size:           4
        .value_kind:     by_value
      - .offset:         48
        .size:           4
        .value_kind:     hidden_block_count_x
      - .offset:         52
        .size:           4
        .value_kind:     hidden_block_count_y
      - .offset:         56
        .size:           4
        .value_kind:     hidden_block_count_z
      - .offset:         60
        .size:           2
        .value_kind:     hidden_group_size_x
      - .offset:         62
        .size:           2
        .value_kind:     hidden_group_size_y
      - .offset:         64
        .size:           2
        .value_kind:     hidden_group_size_z
      - .offset:         66
        .size:           2
        .value_kind:     hidden_remainder_x
      - .offset:         68
        .size:           2
        .value_kind:     hidden_remainder_y
      - .offset:         70
        .size:           2
        .value_kind:     hidden_remainder_z
      - .offset:         88
        .size:           8
        .value_kind:     hidden_global_offset_x
      - .offset:         96
        .size:           8
        .value_kind:     hidden_global_offset_y
      - .offset:         104
        .size:           8
        .value_kind:     hidden_global_offset_z
      - .offset:         112
        .size:           2
        .value_kind:     hidden_grid_dims
      - .offset:         168
        .size:           4
        .value_kind:     hidden_dynamic_lds_size
    .group_segment_fixed_size: 32
    .kernarg_segment_align: 8
    .kernarg_segment_size: 304
    .language:       OpenCL C
    .language_version:
      - 2
      - 0
    .max_flat_workgroup_size: 1024
    .name:           _ZN4vllm32paged_attention_v2_reduce_kernelItLi192ELi128ELi512EEEvPT_PKfS4_PKS1_PKii
    .private_segment_fixed_size: 0
    .sgpr_count:     31
    .sgpr_spill_count: 0
    .symbol:         _ZN4vllm32paged_attention_v2_reduce_kernelItLi192ELi128ELi512EEEvPT_PKfS4_PKS1_PKii.kd
    .uniform_work_group_size: 1
    .uses_dynamic_stack: false
    .vgpr_count:     19
    .vgpr_spill_count: 0
    .wavefront_size: 32
    .workgroup_processor_mode: 1
  - .args:
      - .actual_access:  write_only
        .address_space:  global
        .offset:         0
        .size:           8
        .value_kind:     global_buffer
      - .actual_access:  write_only
        .address_space:  global
        .offset:         8
        .size:           8
        .value_kind:     global_buffer
      - .actual_access:  write_only
        .address_space:  global
        .offset:         16
        .size:           8
        .value_kind:     global_buffer
      - .actual_access:  read_only
        .address_space:  global
        .offset:         24
        .size:           8
        .value_kind:     global_buffer
      - .actual_access:  read_only
        .address_space:  global
        .offset:         32
        .size:           8
        .value_kind:     global_buffer
      - .actual_access:  read_only
        .address_space:  global
        .offset:         40
        .size:           8
        .value_kind:     global_buffer
      - .offset:         48
        .size:           4
        .value_kind:     by_value
      - .offset:         52
        .size:           4
        .value_kind:     by_value
      - .actual_access:  read_only
        .address_space:  global
        .offset:         56
        .size:           8
        .value_kind:     global_buffer
      - .actual_access:  read_only
        .address_space:  global
        .offset:         64
        .size:           8
        .value_kind:     global_buffer
      - .offset:         72
        .size:           4
        .value_kind:     by_value
      - .actual_access:  read_only
        .address_space:  global
        .offset:         80
        .size:           8
        .value_kind:     global_buffer
      - .offset:         88
        .size:           4
        .value_kind:     by_value
      - .offset:         92
        .size:           4
        .value_kind:     by_value
      - .offset:         96
        .size:           4
        .value_kind:     by_value
      - .address_space:  global
        .offset:         104
        .size:           8
        .value_kind:     global_buffer
      - .address_space:  global
        .offset:         112
        .size:           8
        .value_kind:     global_buffer
      - .offset:         120
        .size:           4
        .value_kind:     by_value
      - .offset:         124
        .size:           4
        .value_kind:     by_value
      - .offset:         128
        .size:           4
        .value_kind:     by_value
      - .offset:         132
        .size:           4
        .value_kind:     by_value
      - .offset:         136
        .size:           4
        .value_kind:     by_value
      - .offset:         144
        .size:           4
        .value_kind:     hidden_block_count_x
      - .offset:         148
        .size:           4
        .value_kind:     hidden_block_count_y
      - .offset:         152
        .size:           4
        .value_kind:     hidden_block_count_z
      - .offset:         156
        .size:           2
        .value_kind:     hidden_group_size_x
      - .offset:         158
        .size:           2
        .value_kind:     hidden_group_size_y
      - .offset:         160
        .size:           2
        .value_kind:     hidden_group_size_z
      - .offset:         162
        .size:           2
        .value_kind:     hidden_remainder_x
      - .offset:         164
        .size:           2
        .value_kind:     hidden_remainder_y
      - .offset:         166
        .size:           2
        .value_kind:     hidden_remainder_z
      - .offset:         184
        .size:           8
        .value_kind:     hidden_global_offset_x
      - .offset:         192
        .size:           8
        .value_kind:     hidden_global_offset_y
      - .offset:         200
        .size:           8
        .value_kind:     hidden_global_offset_z
      - .offset:         208
        .size:           2
        .value_kind:     hidden_grid_dims
      - .offset:         264
        .size:           4
        .value_kind:     hidden_dynamic_lds_size
    .group_segment_fixed_size: 544
    .kernarg_segment_align: 8
    .kernarg_segment_size: 400
    .language:       OpenCL C
    .language_version:
      - 2
      - 0
    .max_flat_workgroup_size: 1024
    .name:           _ZN4vllm25paged_attention_v2_kernelIttLi256ELi8ELi128ELNS_18Fp8KVCacheDataTypeE0ELb1ELi512EEEvPfS2_PT_PKS3_PKT0_S9_ifPKiSB_iPKfiiiSD_SD_iiiii
    .private_segment_fixed_size: 0
    .sgpr_count:     47
    .sgpr_spill_count: 0
    .symbol:         _ZN4vllm25paged_attention_v2_kernelIttLi256ELi8ELi128ELNS_18Fp8KVCacheDataTypeE0ELb1ELi512EEEvPfS2_PT_PKS3_PKT0_S9_ifPKiSB_iPKfiiiSD_SD_iiiii.kd
    .uniform_work_group_size: 1
    .uses_dynamic_stack: false
    .vgpr_count:     130
    .vgpr_spill_count: 0
    .wavefront_size: 32
    .workgroup_processor_mode: 1
  - .args:
      - .actual_access:  write_only
        .address_space:  global
        .offset:         0
        .size:           8
        .value_kind:     global_buffer
      - .actual_access:  read_only
        .address_space:  global
        .offset:         8
        .size:           8
        .value_kind:     global_buffer
      - .actual_access:  read_only
        .address_space:  global
        .offset:         16
        .size:           8
        .value_kind:     global_buffer
      - .actual_access:  read_only
        .address_space:  global
        .offset:         24
        .size:           8
        .value_kind:     global_buffer
      - .actual_access:  read_only
        .address_space:  global
        .offset:         32
        .size:           8
        .value_kind:     global_buffer
      - .offset:         40
        .size:           4
        .value_kind:     by_value
      - .offset:         48
        .size:           4
        .value_kind:     hidden_block_count_x
      - .offset:         52
        .size:           4
        .value_kind:     hidden_block_count_y
      - .offset:         56
        .size:           4
        .value_kind:     hidden_block_count_z
      - .offset:         60
        .size:           2
        .value_kind:     hidden_group_size_x
      - .offset:         62
        .size:           2
        .value_kind:     hidden_group_size_y
      - .offset:         64
        .size:           2
        .value_kind:     hidden_group_size_z
      - .offset:         66
        .size:           2
        .value_kind:     hidden_remainder_x
      - .offset:         68
        .size:           2
        .value_kind:     hidden_remainder_y
      - .offset:         70
        .size:           2
        .value_kind:     hidden_remainder_z
      - .offset:         88
        .size:           8
        .value_kind:     hidden_global_offset_x
      - .offset:         96
        .size:           8
        .value_kind:     hidden_global_offset_y
      - .offset:         104
        .size:           8
        .value_kind:     hidden_global_offset_z
      - .offset:         112
        .size:           2
        .value_kind:     hidden_grid_dims
      - .offset:         168
        .size:           4
        .value_kind:     hidden_dynamic_lds_size
    .group_segment_fixed_size: 32
    .kernarg_segment_align: 8
    .kernarg_segment_size: 304
    .language:       OpenCL C
    .language_version:
      - 2
      - 0
    .max_flat_workgroup_size: 1024
    .name:           _ZN4vllm32paged_attention_v2_reduce_kernelItLi256ELi128ELi512EEEvPT_PKfS4_PKS1_PKii
    .private_segment_fixed_size: 0
    .sgpr_count:     31
    .sgpr_spill_count: 0
    .symbol:         _ZN4vllm32paged_attention_v2_reduce_kernelItLi256ELi128ELi512EEEvPT_PKfS4_PKS1_PKii.kd
    .uniform_work_group_size: 1
    .uses_dynamic_stack: false
    .vgpr_count:     19
    .vgpr_spill_count: 0
    .wavefront_size: 32
    .workgroup_processor_mode: 1
  - .args:
      - .actual_access:  write_only
        .address_space:  global
        .offset:         0
        .size:           8
        .value_kind:     global_buffer
      - .actual_access:  write_only
        .address_space:  global
        .offset:         8
        .size:           8
        .value_kind:     global_buffer
      - .actual_access:  write_only
        .address_space:  global
        .offset:         16
        .size:           8
        .value_kind:     global_buffer
      - .actual_access:  read_only
        .address_space:  global
        .offset:         24
        .size:           8
        .value_kind:     global_buffer
      - .actual_access:  read_only
        .address_space:  global
        .offset:         32
        .size:           8
        .value_kind:     global_buffer
      - .actual_access:  read_only
        .address_space:  global
        .offset:         40
        .size:           8
        .value_kind:     global_buffer
      - .offset:         48
        .size:           4
        .value_kind:     by_value
      - .offset:         52
        .size:           4
        .value_kind:     by_value
      - .actual_access:  read_only
        .address_space:  global
        .offset:         56
        .size:           8
        .value_kind:     global_buffer
      - .actual_access:  read_only
        .address_space:  global
        .offset:         64
        .size:           8
        .value_kind:     global_buffer
      - .offset:         72
        .size:           4
        .value_kind:     by_value
      - .actual_access:  read_only
        .address_space:  global
        .offset:         80
        .size:           8
        .value_kind:     global_buffer
      - .offset:         88
        .size:           4
        .value_kind:     by_value
      - .offset:         92
        .size:           4
        .value_kind:     by_value
      - .offset:         96
        .size:           4
        .value_kind:     by_value
      - .address_space:  global
        .offset:         104
        .size:           8
        .value_kind:     global_buffer
      - .address_space:  global
        .offset:         112
        .size:           8
        .value_kind:     global_buffer
      - .offset:         120
        .size:           4
        .value_kind:     by_value
      - .offset:         124
        .size:           4
        .value_kind:     by_value
      - .offset:         128
        .size:           4
        .value_kind:     by_value
      - .offset:         132
        .size:           4
        .value_kind:     by_value
      - .offset:         136
        .size:           4
        .value_kind:     by_value
      - .offset:         144
        .size:           4
        .value_kind:     hidden_block_count_x
      - .offset:         148
        .size:           4
        .value_kind:     hidden_block_count_y
      - .offset:         152
        .size:           4
        .value_kind:     hidden_block_count_z
      - .offset:         156
        .size:           2
        .value_kind:     hidden_group_size_x
      - .offset:         158
        .size:           2
        .value_kind:     hidden_group_size_y
      - .offset:         160
        .size:           2
        .value_kind:     hidden_group_size_z
      - .offset:         162
        .size:           2
        .value_kind:     hidden_remainder_x
      - .offset:         164
        .size:           2
        .value_kind:     hidden_remainder_y
      - .offset:         166
        .size:           2
        .value_kind:     hidden_remainder_z
      - .offset:         184
        .size:           8
        .value_kind:     hidden_global_offset_x
      - .offset:         192
        .size:           8
        .value_kind:     hidden_global_offset_y
      - .offset:         200
        .size:           8
        .value_kind:     hidden_global_offset_z
      - .offset:         208
        .size:           2
        .value_kind:     hidden_grid_dims
      - .offset:         264
        .size:           4
        .value_kind:     hidden_dynamic_lds_size
    .group_segment_fixed_size: 96
    .kernarg_segment_align: 8
    .kernarg_segment_size: 400
    .language:       OpenCL C
    .language_version:
      - 2
      - 0
    .max_flat_workgroup_size: 1024
    .name:           _ZN4vllm25paged_attention_v2_kernelIttLi32ELi8ELi128ELNS_18Fp8KVCacheDataTypeE0ELb0ELi512EEEvPfS2_PT_PKS3_PKT0_S9_ifPKiSB_iPKfiiiSD_SD_iiiii
    .private_segment_fixed_size: 0
    .sgpr_count:     40
    .sgpr_spill_count: 0
    .symbol:         _ZN4vllm25paged_attention_v2_kernelIttLi32ELi8ELi128ELNS_18Fp8KVCacheDataTypeE0ELb0ELi512EEEvPfS2_PT_PKS3_PKT0_S9_ifPKiSB_iPKfiiiSD_SD_iiiii.kd
    .uniform_work_group_size: 1
    .uses_dynamic_stack: false
    .vgpr_count:     32
    .vgpr_spill_count: 0
    .wavefront_size: 32
    .workgroup_processor_mode: 1
  - .args:
      - .actual_access:  write_only
        .address_space:  global
        .offset:         0
        .size:           8
        .value_kind:     global_buffer
      - .actual_access:  write_only
        .address_space:  global
        .offset:         8
        .size:           8
        .value_kind:     global_buffer
      - .actual_access:  write_only
        .address_space:  global
        .offset:         16
        .size:           8
        .value_kind:     global_buffer
      - .actual_access:  read_only
        .address_space:  global
        .offset:         24
        .size:           8
        .value_kind:     global_buffer
      - .actual_access:  read_only
        .address_space:  global
        .offset:         32
        .size:           8
        .value_kind:     global_buffer
      - .actual_access:  read_only
        .address_space:  global
        .offset:         40
        .size:           8
        .value_kind:     global_buffer
      - .offset:         48
        .size:           4
        .value_kind:     by_value
      - .offset:         52
        .size:           4
        .value_kind:     by_value
      - .actual_access:  read_only
        .address_space:  global
        .offset:         56
        .size:           8
        .value_kind:     global_buffer
      - .actual_access:  read_only
        .address_space:  global
        .offset:         64
        .size:           8
        .value_kind:     global_buffer
      - .offset:         72
        .size:           4
        .value_kind:     by_value
      - .actual_access:  read_only
        .address_space:  global
        .offset:         80
        .size:           8
        .value_kind:     global_buffer
      - .offset:         88
        .size:           4
        .value_kind:     by_value
      - .offset:         92
        .size:           4
        .value_kind:     by_value
      - .offset:         96
        .size:           4
        .value_kind:     by_value
      - .address_space:  global
        .offset:         104
        .size:           8
        .value_kind:     global_buffer
      - .address_space:  global
        .offset:         112
        .size:           8
        .value_kind:     global_buffer
      - .offset:         120
        .size:           4
        .value_kind:     by_value
      - .offset:         124
        .size:           4
        .value_kind:     by_value
      - .offset:         128
        .size:           4
        .value_kind:     by_value
      - .offset:         132
        .size:           4
        .value_kind:     by_value
      - .offset:         136
        .size:           4
        .value_kind:     by_value
      - .offset:         144
        .size:           4
        .value_kind:     hidden_block_count_x
      - .offset:         148
        .size:           4
        .value_kind:     hidden_block_count_y
      - .offset:         152
        .size:           4
        .value_kind:     hidden_block_count_z
      - .offset:         156
        .size:           2
        .value_kind:     hidden_group_size_x
      - .offset:         158
        .size:           2
        .value_kind:     hidden_group_size_y
      - .offset:         160
        .size:           2
        .value_kind:     hidden_group_size_z
      - .offset:         162
        .size:           2
        .value_kind:     hidden_remainder_x
      - .offset:         164
        .size:           2
        .value_kind:     hidden_remainder_y
      - .offset:         166
        .size:           2
        .value_kind:     hidden_remainder_z
      - .offset:         184
        .size:           8
        .value_kind:     hidden_global_offset_x
      - .offset:         192
        .size:           8
        .value_kind:     hidden_global_offset_y
      - .offset:         200
        .size:           8
        .value_kind:     hidden_global_offset_z
      - .offset:         208
        .size:           2
        .value_kind:     hidden_grid_dims
      - .offset:         264
        .size:           4
        .value_kind:     hidden_dynamic_lds_size
    .group_segment_fixed_size: 160
    .kernarg_segment_align: 8
    .kernarg_segment_size: 400
    .language:       OpenCL C
    .language_version:
      - 2
      - 0
    .max_flat_workgroup_size: 1024
    .name:           _ZN4vllm25paged_attention_v2_kernelIttLi64ELi8ELi128ELNS_18Fp8KVCacheDataTypeE0ELb0ELi512EEEvPfS2_PT_PKS3_PKT0_S9_ifPKiSB_iPKfiiiSD_SD_iiiii
    .private_segment_fixed_size: 0
    .sgpr_count:     42
    .sgpr_spill_count: 0
    .symbol:         _ZN4vllm25paged_attention_v2_kernelIttLi64ELi8ELi128ELNS_18Fp8KVCacheDataTypeE0ELb0ELi512EEEvPfS2_PT_PKS3_PKT0_S9_ifPKiSB_iPKfiiiSD_SD_iiiii.kd
    .uniform_work_group_size: 1
    .uses_dynamic_stack: false
    .vgpr_count:     45
    .vgpr_spill_count: 0
    .wavefront_size: 32
    .workgroup_processor_mode: 1
  - .args:
      - .actual_access:  write_only
        .address_space:  global
        .offset:         0
        .size:           8
        .value_kind:     global_buffer
      - .actual_access:  write_only
        .address_space:  global
        .offset:         8
        .size:           8
        .value_kind:     global_buffer
      - .actual_access:  write_only
        .address_space:  global
        .offset:         16
        .size:           8
        .value_kind:     global_buffer
      - .actual_access:  read_only
        .address_space:  global
        .offset:         24
        .size:           8
        .value_kind:     global_buffer
      - .actual_access:  read_only
        .address_space:  global
        .offset:         32
        .size:           8
        .value_kind:     global_buffer
      - .actual_access:  read_only
        .address_space:  global
        .offset:         40
        .size:           8
        .value_kind:     global_buffer
      - .offset:         48
        .size:           4
        .value_kind:     by_value
      - .offset:         52
        .size:           4
        .value_kind:     by_value
      - .actual_access:  read_only
        .address_space:  global
        .offset:         56
        .size:           8
        .value_kind:     global_buffer
      - .actual_access:  read_only
        .address_space:  global
        .offset:         64
        .size:           8
        .value_kind:     global_buffer
      - .offset:         72
        .size:           4
        .value_kind:     by_value
      - .actual_access:  read_only
        .address_space:  global
        .offset:         80
        .size:           8
        .value_kind:     global_buffer
      - .offset:         88
        .size:           4
        .value_kind:     by_value
      - .offset:         92
        .size:           4
        .value_kind:     by_value
      - .offset:         96
        .size:           4
        .value_kind:     by_value
      - .address_space:  global
        .offset:         104
        .size:           8
        .value_kind:     global_buffer
      - .address_space:  global
        .offset:         112
        .size:           8
        .value_kind:     global_buffer
      - .offset:         120
        .size:           4
        .value_kind:     by_value
      - .offset:         124
        .size:           4
        .value_kind:     by_value
      - .offset:         128
        .size:           4
        .value_kind:     by_value
      - .offset:         132
        .size:           4
        .value_kind:     by_value
      - .offset:         136
        .size:           4
        .value_kind:     by_value
      - .offset:         144
        .size:           4
        .value_kind:     hidden_block_count_x
      - .offset:         148
        .size:           4
        .value_kind:     hidden_block_count_y
      - .offset:         152
        .size:           4
        .value_kind:     hidden_block_count_z
      - .offset:         156
        .size:           2
        .value_kind:     hidden_group_size_x
      - .offset:         158
        .size:           2
        .value_kind:     hidden_group_size_y
      - .offset:         160
        .size:           2
        .value_kind:     hidden_group_size_z
      - .offset:         162
        .size:           2
        .value_kind:     hidden_remainder_x
      - .offset:         164
        .size:           2
        .value_kind:     hidden_remainder_y
      - .offset:         166
        .size:           2
        .value_kind:     hidden_remainder_z
      - .offset:         184
        .size:           8
        .value_kind:     hidden_global_offset_x
      - .offset:         192
        .size:           8
        .value_kind:     hidden_global_offset_y
      - .offset:         200
        .size:           8
        .value_kind:     hidden_global_offset_z
      - .offset:         208
        .size:           2
        .value_kind:     hidden_grid_dims
      - .offset:         264
        .size:           4
        .value_kind:     hidden_dynamic_lds_size
    .group_segment_fixed_size: 192
    .kernarg_segment_align: 8
    .kernarg_segment_size: 400
    .language:       OpenCL C
    .language_version:
      - 2
      - 0
    .max_flat_workgroup_size: 1024
    .name:           _ZN4vllm25paged_attention_v2_kernelIttLi80ELi8ELi128ELNS_18Fp8KVCacheDataTypeE0ELb0ELi512EEEvPfS2_PT_PKS3_PKT0_S9_ifPKiSB_iPKfiiiSD_SD_iiiii
    .private_segment_fixed_size: 0
    .sgpr_count:     42
    .sgpr_spill_count: 0
    .symbol:         _ZN4vllm25paged_attention_v2_kernelIttLi80ELi8ELi128ELNS_18Fp8KVCacheDataTypeE0ELb0ELi512EEEvPfS2_PT_PKS3_PKT0_S9_ifPKiSB_iPKfiiiSD_SD_iiiii.kd
    .uniform_work_group_size: 1
    .uses_dynamic_stack: false
    .vgpr_count:     52
    .vgpr_spill_count: 0
    .wavefront_size: 32
    .workgroup_processor_mode: 1
  - .args:
      - .actual_access:  write_only
        .address_space:  global
        .offset:         0
        .size:           8
        .value_kind:     global_buffer
      - .actual_access:  write_only
        .address_space:  global
        .offset:         8
        .size:           8
        .value_kind:     global_buffer
      - .actual_access:  write_only
        .address_space:  global
        .offset:         16
        .size:           8
        .value_kind:     global_buffer
      - .actual_access:  read_only
        .address_space:  global
        .offset:         24
        .size:           8
        .value_kind:     global_buffer
      - .actual_access:  read_only
        .address_space:  global
        .offset:         32
        .size:           8
        .value_kind:     global_buffer
      - .actual_access:  read_only
        .address_space:  global
        .offset:         40
        .size:           8
        .value_kind:     global_buffer
      - .offset:         48
        .size:           4
        .value_kind:     by_value
      - .offset:         52
        .size:           4
        .value_kind:     by_value
      - .actual_access:  read_only
        .address_space:  global
        .offset:         56
        .size:           8
        .value_kind:     global_buffer
      - .actual_access:  read_only
        .address_space:  global
        .offset:         64
        .size:           8
        .value_kind:     global_buffer
      - .offset:         72
        .size:           4
        .value_kind:     by_value
      - .actual_access:  read_only
        .address_space:  global
        .offset:         80
        .size:           8
        .value_kind:     global_buffer
      - .offset:         88
        .size:           4
        .value_kind:     by_value
      - .offset:         92
        .size:           4
        .value_kind:     by_value
      - .offset:         96
        .size:           4
        .value_kind:     by_value
      - .address_space:  global
        .offset:         104
        .size:           8
        .value_kind:     global_buffer
      - .address_space:  global
        .offset:         112
        .size:           8
        .value_kind:     global_buffer
      - .offset:         120
        .size:           4
        .value_kind:     by_value
      - .offset:         124
        .size:           4
        .value_kind:     by_value
      - .offset:         128
        .size:           4
        .value_kind:     by_value
      - .offset:         132
        .size:           4
        .value_kind:     by_value
      - .offset:         136
        .size:           4
        .value_kind:     by_value
      - .offset:         144
        .size:           4
        .value_kind:     hidden_block_count_x
      - .offset:         148
        .size:           4
        .value_kind:     hidden_block_count_y
      - .offset:         152
        .size:           4
        .value_kind:     hidden_block_count_z
      - .offset:         156
        .size:           2
        .value_kind:     hidden_group_size_x
      - .offset:         158
        .size:           2
        .value_kind:     hidden_group_size_y
      - .offset:         160
        .size:           2
        .value_kind:     hidden_group_size_z
      - .offset:         162
        .size:           2
        .value_kind:     hidden_remainder_x
      - .offset:         164
        .size:           2
        .value_kind:     hidden_remainder_y
      - .offset:         166
        .size:           2
        .value_kind:     hidden_remainder_z
      - .offset:         184
        .size:           8
        .value_kind:     hidden_global_offset_x
      - .offset:         192
        .size:           8
        .value_kind:     hidden_global_offset_y
      - .offset:         200
        .size:           8
        .value_kind:     hidden_global_offset_z
      - .offset:         208
        .size:           2
        .value_kind:     hidden_grid_dims
      - .offset:         264
        .size:           4
        .value_kind:     hidden_dynamic_lds_size
    .group_segment_fixed_size: 224
    .kernarg_segment_align: 8
    .kernarg_segment_size: 400
    .language:       OpenCL C
    .language_version:
      - 2
      - 0
    .max_flat_workgroup_size: 1024
    .name:           _ZN4vllm25paged_attention_v2_kernelIttLi96ELi8ELi128ELNS_18Fp8KVCacheDataTypeE0ELb0ELi512EEEvPfS2_PT_PKS3_PKT0_S9_ifPKiSB_iPKfiiiSD_SD_iiiii
    .private_segment_fixed_size: 0
    .sgpr_count:     40
    .sgpr_spill_count: 0
    .symbol:         _ZN4vllm25paged_attention_v2_kernelIttLi96ELi8ELi128ELNS_18Fp8KVCacheDataTypeE0ELb0ELi512EEEvPfS2_PT_PKS3_PKT0_S9_ifPKiSB_iPKfiiiSD_SD_iiiii.kd
    .uniform_work_group_size: 1
    .uses_dynamic_stack: false
    .vgpr_count:     59
    .vgpr_spill_count: 0
    .wavefront_size: 32
    .workgroup_processor_mode: 1
  - .args:
      - .actual_access:  write_only
        .address_space:  global
        .offset:         0
        .size:           8
        .value_kind:     global_buffer
      - .actual_access:  write_only
        .address_space:  global
        .offset:         8
        .size:           8
        .value_kind:     global_buffer
      - .actual_access:  write_only
        .address_space:  global
        .offset:         16
        .size:           8
        .value_kind:     global_buffer
      - .actual_access:  read_only
        .address_space:  global
        .offset:         24
        .size:           8
        .value_kind:     global_buffer
      - .actual_access:  read_only
        .address_space:  global
        .offset:         32
        .size:           8
        .value_kind:     global_buffer
      - .actual_access:  read_only
        .address_space:  global
        .offset:         40
        .size:           8
        .value_kind:     global_buffer
      - .offset:         48
        .size:           4
        .value_kind:     by_value
      - .offset:         52
        .size:           4
        .value_kind:     by_value
      - .actual_access:  read_only
        .address_space:  global
        .offset:         56
        .size:           8
        .value_kind:     global_buffer
      - .actual_access:  read_only
        .address_space:  global
        .offset:         64
        .size:           8
        .value_kind:     global_buffer
      - .offset:         72
        .size:           4
        .value_kind:     by_value
      - .actual_access:  read_only
        .address_space:  global
        .offset:         80
        .size:           8
        .value_kind:     global_buffer
      - .offset:         88
        .size:           4
        .value_kind:     by_value
      - .offset:         92
        .size:           4
        .value_kind:     by_value
      - .offset:         96
        .size:           4
        .value_kind:     by_value
      - .address_space:  global
        .offset:         104
        .size:           8
        .value_kind:     global_buffer
      - .address_space:  global
        .offset:         112
        .size:           8
        .value_kind:     global_buffer
      - .offset:         120
        .size:           4
        .value_kind:     by_value
      - .offset:         124
        .size:           4
        .value_kind:     by_value
      - .offset:         128
        .size:           4
        .value_kind:     by_value
      - .offset:         132
        .size:           4
        .value_kind:     by_value
      - .offset:         136
        .size:           4
        .value_kind:     by_value
      - .offset:         144
        .size:           4
        .value_kind:     hidden_block_count_x
      - .offset:         148
        .size:           4
        .value_kind:     hidden_block_count_y
      - .offset:         152
        .size:           4
        .value_kind:     hidden_block_count_z
      - .offset:         156
        .size:           2
        .value_kind:     hidden_group_size_x
      - .offset:         158
        .size:           2
        .value_kind:     hidden_group_size_y
      - .offset:         160
        .size:           2
        .value_kind:     hidden_group_size_z
      - .offset:         162
        .size:           2
        .value_kind:     hidden_remainder_x
      - .offset:         164
        .size:           2
        .value_kind:     hidden_remainder_y
      - .offset:         166
        .size:           2
        .value_kind:     hidden_remainder_z
      - .offset:         184
        .size:           8
        .value_kind:     hidden_global_offset_x
      - .offset:         192
        .size:           8
        .value_kind:     hidden_global_offset_y
      - .offset:         200
        .size:           8
        .value_kind:     hidden_global_offset_z
      - .offset:         208
        .size:           2
        .value_kind:     hidden_grid_dims
      - .offset:         264
        .size:           4
        .value_kind:     hidden_dynamic_lds_size
    .group_segment_fixed_size: 256
    .kernarg_segment_align: 8
    .kernarg_segment_size: 400
    .language:       OpenCL C
    .language_version:
      - 2
      - 0
    .max_flat_workgroup_size: 1024
    .name:           _ZN4vllm25paged_attention_v2_kernelIttLi112ELi8ELi128ELNS_18Fp8KVCacheDataTypeE0ELb0ELi512EEEvPfS2_PT_PKS3_PKT0_S9_ifPKiSB_iPKfiiiSD_SD_iiiii
    .private_segment_fixed_size: 0
    .sgpr_count:     42
    .sgpr_spill_count: 0
    .symbol:         _ZN4vllm25paged_attention_v2_kernelIttLi112ELi8ELi128ELNS_18Fp8KVCacheDataTypeE0ELb0ELi512EEEvPfS2_PT_PKS3_PKT0_S9_ifPKiSB_iPKfiiiSD_SD_iiiii.kd
    .uniform_work_group_size: 1
    .uses_dynamic_stack: false
    .vgpr_count:     65
    .vgpr_spill_count: 0
    .wavefront_size: 32
    .workgroup_processor_mode: 1
  - .args:
      - .actual_access:  write_only
        .address_space:  global
        .offset:         0
        .size:           8
        .value_kind:     global_buffer
      - .actual_access:  write_only
        .address_space:  global
        .offset:         8
        .size:           8
        .value_kind:     global_buffer
      - .actual_access:  write_only
        .address_space:  global
        .offset:         16
        .size:           8
        .value_kind:     global_buffer
      - .actual_access:  read_only
        .address_space:  global
        .offset:         24
        .size:           8
        .value_kind:     global_buffer
      - .actual_access:  read_only
        .address_space:  global
        .offset:         32
        .size:           8
        .value_kind:     global_buffer
      - .actual_access:  read_only
        .address_space:  global
        .offset:         40
        .size:           8
        .value_kind:     global_buffer
      - .offset:         48
        .size:           4
        .value_kind:     by_value
      - .offset:         52
        .size:           4
        .value_kind:     by_value
      - .actual_access:  read_only
        .address_space:  global
        .offset:         56
        .size:           8
        .value_kind:     global_buffer
      - .actual_access:  read_only
        .address_space:  global
        .offset:         64
        .size:           8
        .value_kind:     global_buffer
      - .offset:         72
        .size:           4
        .value_kind:     by_value
      - .actual_access:  read_only
        .address_space:  global
        .offset:         80
        .size:           8
        .value_kind:     global_buffer
      - .offset:         88
        .size:           4
        .value_kind:     by_value
      - .offset:         92
        .size:           4
        .value_kind:     by_value
      - .offset:         96
        .size:           4
        .value_kind:     by_value
      - .address_space:  global
        .offset:         104
        .size:           8
        .value_kind:     global_buffer
      - .address_space:  global
        .offset:         112
        .size:           8
        .value_kind:     global_buffer
      - .offset:         120
        .size:           4
        .value_kind:     by_value
      - .offset:         124
        .size:           4
        .value_kind:     by_value
      - .offset:         128
        .size:           4
        .value_kind:     by_value
      - .offset:         132
        .size:           4
        .value_kind:     by_value
      - .offset:         136
        .size:           4
        .value_kind:     by_value
      - .offset:         144
        .size:           4
        .value_kind:     hidden_block_count_x
      - .offset:         148
        .size:           4
        .value_kind:     hidden_block_count_y
      - .offset:         152
        .size:           4
        .value_kind:     hidden_block_count_z
      - .offset:         156
        .size:           2
        .value_kind:     hidden_group_size_x
      - .offset:         158
        .size:           2
        .value_kind:     hidden_group_size_y
      - .offset:         160
        .size:           2
        .value_kind:     hidden_group_size_z
      - .offset:         162
        .size:           2
        .value_kind:     hidden_remainder_x
      - .offset:         164
        .size:           2
        .value_kind:     hidden_remainder_y
      - .offset:         166
        .size:           2
        .value_kind:     hidden_remainder_z
      - .offset:         184
        .size:           8
        .value_kind:     hidden_global_offset_x
      - .offset:         192
        .size:           8
        .value_kind:     hidden_global_offset_y
      - .offset:         200
        .size:           8
        .value_kind:     hidden_global_offset_z
      - .offset:         208
        .size:           2
        .value_kind:     hidden_grid_dims
      - .offset:         264
        .size:           4
        .value_kind:     hidden_dynamic_lds_size
    .group_segment_fixed_size: 272
    .kernarg_segment_align: 8
    .kernarg_segment_size: 400
    .language:       OpenCL C
    .language_version:
      - 2
      - 0
    .max_flat_workgroup_size: 1024
    .name:           _ZN4vllm25paged_attention_v2_kernelIttLi120ELi8ELi128ELNS_18Fp8KVCacheDataTypeE0ELb0ELi512EEEvPfS2_PT_PKS3_PKT0_S9_ifPKiSB_iPKfiiiSD_SD_iiiii
    .private_segment_fixed_size: 0
    .sgpr_count:     42
    .sgpr_spill_count: 0
    .symbol:         _ZN4vllm25paged_attention_v2_kernelIttLi120ELi8ELi128ELNS_18Fp8KVCacheDataTypeE0ELb0ELi512EEEvPfS2_PT_PKS3_PKT0_S9_ifPKiSB_iPKfiiiSD_SD_iiiii.kd
    .uniform_work_group_size: 1
    .uses_dynamic_stack: false
    .vgpr_count:     69
    .vgpr_spill_count: 0
    .wavefront_size: 32
    .workgroup_processor_mode: 1
  - .args:
      - .actual_access:  write_only
        .address_space:  global
        .offset:         0
        .size:           8
        .value_kind:     global_buffer
      - .actual_access:  write_only
        .address_space:  global
        .offset:         8
        .size:           8
        .value_kind:     global_buffer
      - .actual_access:  write_only
        .address_space:  global
        .offset:         16
        .size:           8
        .value_kind:     global_buffer
      - .actual_access:  read_only
        .address_space:  global
        .offset:         24
        .size:           8
        .value_kind:     global_buffer
      - .actual_access:  read_only
        .address_space:  global
        .offset:         32
        .size:           8
        .value_kind:     global_buffer
      - .actual_access:  read_only
        .address_space:  global
        .offset:         40
        .size:           8
        .value_kind:     global_buffer
      - .offset:         48
        .size:           4
        .value_kind:     by_value
      - .offset:         52
        .size:           4
        .value_kind:     by_value
      - .actual_access:  read_only
        .address_space:  global
        .offset:         56
        .size:           8
        .value_kind:     global_buffer
      - .actual_access:  read_only
        .address_space:  global
        .offset:         64
        .size:           8
        .value_kind:     global_buffer
      - .offset:         72
        .size:           4
        .value_kind:     by_value
      - .actual_access:  read_only
        .address_space:  global
        .offset:         80
        .size:           8
        .value_kind:     global_buffer
      - .offset:         88
        .size:           4
        .value_kind:     by_value
      - .offset:         92
        .size:           4
        .value_kind:     by_value
      - .offset:         96
        .size:           4
        .value_kind:     by_value
      - .address_space:  global
        .offset:         104
        .size:           8
        .value_kind:     global_buffer
      - .address_space:  global
        .offset:         112
        .size:           8
        .value_kind:     global_buffer
      - .offset:         120
        .size:           4
        .value_kind:     by_value
      - .offset:         124
        .size:           4
        .value_kind:     by_value
      - .offset:         128
        .size:           4
        .value_kind:     by_value
      - .offset:         132
        .size:           4
        .value_kind:     by_value
      - .offset:         136
        .size:           4
        .value_kind:     by_value
      - .offset:         144
        .size:           4
        .value_kind:     hidden_block_count_x
      - .offset:         148
        .size:           4
        .value_kind:     hidden_block_count_y
      - .offset:         152
        .size:           4
        .value_kind:     hidden_block_count_z
      - .offset:         156
        .size:           2
        .value_kind:     hidden_group_size_x
      - .offset:         158
        .size:           2
        .value_kind:     hidden_group_size_y
      - .offset:         160
        .size:           2
        .value_kind:     hidden_group_size_z
      - .offset:         162
        .size:           2
        .value_kind:     hidden_remainder_x
      - .offset:         164
        .size:           2
        .value_kind:     hidden_remainder_y
      - .offset:         166
        .size:           2
        .value_kind:     hidden_remainder_z
      - .offset:         184
        .size:           8
        .value_kind:     hidden_global_offset_x
      - .offset:         192
        .size:           8
        .value_kind:     hidden_global_offset_y
      - .offset:         200
        .size:           8
        .value_kind:     hidden_global_offset_z
      - .offset:         208
        .size:           2
        .value_kind:     hidden_grid_dims
      - .offset:         264
        .size:           4
        .value_kind:     hidden_dynamic_lds_size
    .group_segment_fixed_size: 288
    .kernarg_segment_align: 8
    .kernarg_segment_size: 400
    .language:       OpenCL C
    .language_version:
      - 2
      - 0
    .max_flat_workgroup_size: 1024
    .name:           _ZN4vllm25paged_attention_v2_kernelIttLi128ELi8ELi128ELNS_18Fp8KVCacheDataTypeE0ELb0ELi512EEEvPfS2_PT_PKS3_PKT0_S9_ifPKiSB_iPKfiiiSD_SD_iiiii
    .private_segment_fixed_size: 0
    .sgpr_count:     42
    .sgpr_spill_count: 0
    .symbol:         _ZN4vllm25paged_attention_v2_kernelIttLi128ELi8ELi128ELNS_18Fp8KVCacheDataTypeE0ELb0ELi512EEEvPfS2_PT_PKS3_PKT0_S9_ifPKiSB_iPKfiiiSD_SD_iiiii.kd
    .uniform_work_group_size: 1
    .uses_dynamic_stack: false
    .vgpr_count:     74
    .vgpr_spill_count: 0
    .wavefront_size: 32
    .workgroup_processor_mode: 1
  - .args:
      - .actual_access:  write_only
        .address_space:  global
        .offset:         0
        .size:           8
        .value_kind:     global_buffer
      - .actual_access:  write_only
        .address_space:  global
        .offset:         8
        .size:           8
        .value_kind:     global_buffer
      - .actual_access:  write_only
        .address_space:  global
        .offset:         16
        .size:           8
        .value_kind:     global_buffer
      - .actual_access:  read_only
        .address_space:  global
        .offset:         24
        .size:           8
        .value_kind:     global_buffer
      - .actual_access:  read_only
        .address_space:  global
        .offset:         32
        .size:           8
        .value_kind:     global_buffer
      - .actual_access:  read_only
        .address_space:  global
        .offset:         40
        .size:           8
        .value_kind:     global_buffer
      - .offset:         48
        .size:           4
        .value_kind:     by_value
      - .offset:         52
        .size:           4
        .value_kind:     by_value
      - .actual_access:  read_only
        .address_space:  global
        .offset:         56
        .size:           8
        .value_kind:     global_buffer
      - .actual_access:  read_only
        .address_space:  global
        .offset:         64
        .size:           8
        .value_kind:     global_buffer
      - .offset:         72
        .size:           4
        .value_kind:     by_value
      - .actual_access:  read_only
        .address_space:  global
        .offset:         80
        .size:           8
        .value_kind:     global_buffer
      - .offset:         88
        .size:           4
        .value_kind:     by_value
      - .offset:         92
        .size:           4
        .value_kind:     by_value
      - .offset:         96
        .size:           4
        .value_kind:     by_value
      - .address_space:  global
        .offset:         104
        .size:           8
        .value_kind:     global_buffer
      - .address_space:  global
        .offset:         112
        .size:           8
        .value_kind:     global_buffer
      - .offset:         120
        .size:           4
        .value_kind:     by_value
      - .offset:         124
        .size:           4
        .value_kind:     by_value
      - .offset:         128
        .size:           4
        .value_kind:     by_value
      - .offset:         132
        .size:           4
        .value_kind:     by_value
      - .offset:         136
        .size:           4
        .value_kind:     by_value
      - .offset:         144
        .size:           4
        .value_kind:     hidden_block_count_x
      - .offset:         148
        .size:           4
        .value_kind:     hidden_block_count_y
      - .offset:         152
        .size:           4
        .value_kind:     hidden_block_count_z
      - .offset:         156
        .size:           2
        .value_kind:     hidden_group_size_x
      - .offset:         158
        .size:           2
        .value_kind:     hidden_group_size_y
      - .offset:         160
        .size:           2
        .value_kind:     hidden_group_size_z
      - .offset:         162
        .size:           2
        .value_kind:     hidden_remainder_x
      - .offset:         164
        .size:           2
        .value_kind:     hidden_remainder_y
      - .offset:         166
        .size:           2
        .value_kind:     hidden_remainder_z
      - .offset:         184
        .size:           8
        .value_kind:     hidden_global_offset_x
      - .offset:         192
        .size:           8
        .value_kind:     hidden_global_offset_y
      - .offset:         200
        .size:           8
        .value_kind:     hidden_global_offset_z
      - .offset:         208
        .size:           2
        .value_kind:     hidden_grid_dims
      - .offset:         264
        .size:           4
        .value_kind:     hidden_dynamic_lds_size
    .group_segment_fixed_size: 416
    .kernarg_segment_align: 8
    .kernarg_segment_size: 400
    .language:       OpenCL C
    .language_version:
      - 2
      - 0
    .max_flat_workgroup_size: 1024
    .name:           _ZN4vllm25paged_attention_v2_kernelIttLi192ELi8ELi128ELNS_18Fp8KVCacheDataTypeE0ELb0ELi512EEEvPfS2_PT_PKS3_PKT0_S9_ifPKiSB_iPKfiiiSD_SD_iiiii
    .private_segment_fixed_size: 0
    .sgpr_count:     40
    .sgpr_spill_count: 0
    .symbol:         _ZN4vllm25paged_attention_v2_kernelIttLi192ELi8ELi128ELNS_18Fp8KVCacheDataTypeE0ELb0ELi512EEEvPfS2_PT_PKS3_PKT0_S9_ifPKiSB_iPKfiiiSD_SD_iiiii.kd
    .uniform_work_group_size: 1
    .uses_dynamic_stack: false
    .vgpr_count:     100
    .vgpr_spill_count: 0
    .wavefront_size: 32
    .workgroup_processor_mode: 1
  - .args:
      - .actual_access:  write_only
        .address_space:  global
        .offset:         0
        .size:           8
        .value_kind:     global_buffer
      - .actual_access:  write_only
        .address_space:  global
        .offset:         8
        .size:           8
        .value_kind:     global_buffer
      - .actual_access:  write_only
        .address_space:  global
        .offset:         16
        .size:           8
        .value_kind:     global_buffer
      - .actual_access:  read_only
        .address_space:  global
        .offset:         24
        .size:           8
        .value_kind:     global_buffer
      - .actual_access:  read_only
        .address_space:  global
        .offset:         32
        .size:           8
        .value_kind:     global_buffer
      - .actual_access:  read_only
        .address_space:  global
        .offset:         40
        .size:           8
        .value_kind:     global_buffer
      - .offset:         48
        .size:           4
        .value_kind:     by_value
      - .offset:         52
        .size:           4
        .value_kind:     by_value
      - .actual_access:  read_only
        .address_space:  global
        .offset:         56
        .size:           8
        .value_kind:     global_buffer
      - .actual_access:  read_only
        .address_space:  global
        .offset:         64
        .size:           8
        .value_kind:     global_buffer
      - .offset:         72
        .size:           4
        .value_kind:     by_value
      - .actual_access:  read_only
        .address_space:  global
        .offset:         80
        .size:           8
        .value_kind:     global_buffer
      - .offset:         88
        .size:           4
        .value_kind:     by_value
      - .offset:         92
        .size:           4
        .value_kind:     by_value
      - .offset:         96
        .size:           4
        .value_kind:     by_value
      - .address_space:  global
        .offset:         104
        .size:           8
        .value_kind:     global_buffer
      - .address_space:  global
        .offset:         112
        .size:           8
        .value_kind:     global_buffer
      - .offset:         120
        .size:           4
        .value_kind:     by_value
      - .offset:         124
        .size:           4
        .value_kind:     by_value
      - .offset:         128
        .size:           4
        .value_kind:     by_value
      - .offset:         132
        .size:           4
        .value_kind:     by_value
      - .offset:         136
        .size:           4
        .value_kind:     by_value
      - .offset:         144
        .size:           4
        .value_kind:     hidden_block_count_x
      - .offset:         148
        .size:           4
        .value_kind:     hidden_block_count_y
      - .offset:         152
        .size:           4
        .value_kind:     hidden_block_count_z
      - .offset:         156
        .size:           2
        .value_kind:     hidden_group_size_x
      - .offset:         158
        .size:           2
        .value_kind:     hidden_group_size_y
      - .offset:         160
        .size:           2
        .value_kind:     hidden_group_size_z
      - .offset:         162
        .size:           2
        .value_kind:     hidden_remainder_x
      - .offset:         164
        .size:           2
        .value_kind:     hidden_remainder_y
      - .offset:         166
        .size:           2
        .value_kind:     hidden_remainder_z
      - .offset:         184
        .size:           8
        .value_kind:     hidden_global_offset_x
      - .offset:         192
        .size:           8
        .value_kind:     hidden_global_offset_y
      - .offset:         200
        .size:           8
        .value_kind:     hidden_global_offset_z
      - .offset:         208
        .size:           2
        .value_kind:     hidden_grid_dims
      - .offset:         264
        .size:           4
        .value_kind:     hidden_dynamic_lds_size
    .group_segment_fixed_size: 544
    .kernarg_segment_align: 8
    .kernarg_segment_size: 400
    .language:       OpenCL C
    .language_version:
      - 2
      - 0
    .max_flat_workgroup_size: 1024
    .name:           _ZN4vllm25paged_attention_v2_kernelIttLi256ELi8ELi128ELNS_18Fp8KVCacheDataTypeE0ELb0ELi512EEEvPfS2_PT_PKS3_PKT0_S9_ifPKiSB_iPKfiiiSD_SD_iiiii
    .private_segment_fixed_size: 0
    .sgpr_count:     40
    .sgpr_spill_count: 0
    .symbol:         _ZN4vllm25paged_attention_v2_kernelIttLi256ELi8ELi128ELNS_18Fp8KVCacheDataTypeE0ELb0ELi512EEEvPfS2_PT_PKS3_PKT0_S9_ifPKiSB_iPKfiiiSD_SD_iiiii.kd
    .uniform_work_group_size: 1
    .uses_dynamic_stack: false
    .vgpr_count:     103
    .vgpr_spill_count: 0
    .wavefront_size: 32
    .workgroup_processor_mode: 1
  - .args:
      - .actual_access:  write_only
        .address_space:  global
        .offset:         0
        .size:           8
        .value_kind:     global_buffer
      - .actual_access:  write_only
        .address_space:  global
        .offset:         8
        .size:           8
        .value_kind:     global_buffer
      - .actual_access:  write_only
        .address_space:  global
        .offset:         16
        .size:           8
        .value_kind:     global_buffer
      - .actual_access:  read_only
        .address_space:  global
        .offset:         24
        .size:           8
        .value_kind:     global_buffer
      - .actual_access:  read_only
        .address_space:  global
        .offset:         32
        .size:           8
        .value_kind:     global_buffer
      - .actual_access:  read_only
        .address_space:  global
        .offset:         40
        .size:           8
        .value_kind:     global_buffer
      - .offset:         48
        .size:           4
        .value_kind:     by_value
      - .offset:         52
        .size:           4
        .value_kind:     by_value
      - .actual_access:  read_only
        .address_space:  global
        .offset:         56
        .size:           8
        .value_kind:     global_buffer
      - .actual_access:  read_only
        .address_space:  global
        .offset:         64
        .size:           8
        .value_kind:     global_buffer
      - .offset:         72
        .size:           4
        .value_kind:     by_value
      - .actual_access:  read_only
        .address_space:  global
        .offset:         80
        .size:           8
        .value_kind:     global_buffer
      - .offset:         88
        .size:           4
        .value_kind:     by_value
      - .offset:         92
        .size:           4
        .value_kind:     by_value
      - .offset:         96
        .size:           4
        .value_kind:     by_value
      - .address_space:  global
        .offset:         104
        .size:           8
        .value_kind:     global_buffer
      - .address_space:  global
        .offset:         112
        .size:           8
        .value_kind:     global_buffer
      - .offset:         120
        .size:           4
        .value_kind:     by_value
      - .offset:         124
        .size:           4
        .value_kind:     by_value
      - .offset:         128
        .size:           4
        .value_kind:     by_value
      - .offset:         132
        .size:           4
        .value_kind:     by_value
      - .offset:         136
        .size:           4
        .value_kind:     by_value
      - .offset:         144
        .size:           4
        .value_kind:     hidden_block_count_x
      - .offset:         148
        .size:           4
        .value_kind:     hidden_block_count_y
      - .offset:         152
        .size:           4
        .value_kind:     hidden_block_count_z
      - .offset:         156
        .size:           2
        .value_kind:     hidden_group_size_x
      - .offset:         158
        .size:           2
        .value_kind:     hidden_group_size_y
      - .offset:         160
        .size:           2
        .value_kind:     hidden_group_size_z
      - .offset:         162
        .size:           2
        .value_kind:     hidden_remainder_x
      - .offset:         164
        .size:           2
        .value_kind:     hidden_remainder_y
      - .offset:         166
        .size:           2
        .value_kind:     hidden_remainder_z
      - .offset:         184
        .size:           8
        .value_kind:     hidden_global_offset_x
      - .offset:         192
        .size:           8
        .value_kind:     hidden_global_offset_y
      - .offset:         200
        .size:           8
        .value_kind:     hidden_global_offset_z
      - .offset:         208
        .size:           2
        .value_kind:     hidden_grid_dims
      - .offset:         264
        .size:           4
        .value_kind:     hidden_dynamic_lds_size
    .group_segment_fixed_size: 96
    .kernarg_segment_align: 8
    .kernarg_segment_size: 400
    .language:       OpenCL C
    .language_version:
      - 2
      - 0
    .max_flat_workgroup_size: 1024
    .name:           _ZN4vllm25paged_attention_v2_kernelIttLi32ELi16ELi128ELNS_18Fp8KVCacheDataTypeE0ELb1ELi512EEEvPfS2_PT_PKS3_PKT0_S9_ifPKiSB_iPKfiiiSD_SD_iiiii
    .private_segment_fixed_size: 0
    .sgpr_count:     47
    .sgpr_spill_count: 0
    .symbol:         _ZN4vllm25paged_attention_v2_kernelIttLi32ELi16ELi128ELNS_18Fp8KVCacheDataTypeE0ELb1ELi512EEEvPfS2_PT_PKS3_PKT0_S9_ifPKiSB_iPKfiiiSD_SD_iiiii.kd
    .uniform_work_group_size: 1
    .uses_dynamic_stack: false
    .vgpr_count:     52
    .vgpr_spill_count: 0
    .wavefront_size: 32
    .workgroup_processor_mode: 1
  - .args:
      - .actual_access:  write_only
        .address_space:  global
        .offset:         0
        .size:           8
        .value_kind:     global_buffer
      - .actual_access:  write_only
        .address_space:  global
        .offset:         8
        .size:           8
        .value_kind:     global_buffer
      - .actual_access:  write_only
        .address_space:  global
        .offset:         16
        .size:           8
        .value_kind:     global_buffer
      - .actual_access:  read_only
        .address_space:  global
        .offset:         24
        .size:           8
        .value_kind:     global_buffer
      - .actual_access:  read_only
        .address_space:  global
        .offset:         32
        .size:           8
        .value_kind:     global_buffer
      - .actual_access:  read_only
        .address_space:  global
        .offset:         40
        .size:           8
        .value_kind:     global_buffer
      - .offset:         48
        .size:           4
        .value_kind:     by_value
      - .offset:         52
        .size:           4
        .value_kind:     by_value
      - .actual_access:  read_only
        .address_space:  global
        .offset:         56
        .size:           8
        .value_kind:     global_buffer
      - .actual_access:  read_only
        .address_space:  global
        .offset:         64
        .size:           8
        .value_kind:     global_buffer
      - .offset:         72
        .size:           4
        .value_kind:     by_value
      - .actual_access:  read_only
        .address_space:  global
        .offset:         80
        .size:           8
        .value_kind:     global_buffer
      - .offset:         88
        .size:           4
        .value_kind:     by_value
      - .offset:         92
        .size:           4
        .value_kind:     by_value
      - .offset:         96
        .size:           4
        .value_kind:     by_value
      - .address_space:  global
        .offset:         104
        .size:           8
        .value_kind:     global_buffer
      - .address_space:  global
        .offset:         112
        .size:           8
        .value_kind:     global_buffer
      - .offset:         120
        .size:           4
        .value_kind:     by_value
      - .offset:         124
        .size:           4
        .value_kind:     by_value
      - .offset:         128
        .size:           4
        .value_kind:     by_value
      - .offset:         132
        .size:           4
        .value_kind:     by_value
      - .offset:         136
        .size:           4
        .value_kind:     by_value
      - .offset:         144
        .size:           4
        .value_kind:     hidden_block_count_x
      - .offset:         148
        .size:           4
        .value_kind:     hidden_block_count_y
      - .offset:         152
        .size:           4
        .value_kind:     hidden_block_count_z
      - .offset:         156
        .size:           2
        .value_kind:     hidden_group_size_x
      - .offset:         158
        .size:           2
        .value_kind:     hidden_group_size_y
      - .offset:         160
        .size:           2
        .value_kind:     hidden_group_size_z
      - .offset:         162
        .size:           2
        .value_kind:     hidden_remainder_x
      - .offset:         164
        .size:           2
        .value_kind:     hidden_remainder_y
      - .offset:         166
        .size:           2
        .value_kind:     hidden_remainder_z
      - .offset:         184
        .size:           8
        .value_kind:     hidden_global_offset_x
      - .offset:         192
        .size:           8
        .value_kind:     hidden_global_offset_y
      - .offset:         200
        .size:           8
        .value_kind:     hidden_global_offset_z
      - .offset:         208
        .size:           2
        .value_kind:     hidden_grid_dims
      - .offset:         264
        .size:           4
        .value_kind:     hidden_dynamic_lds_size
    .group_segment_fixed_size: 160
    .kernarg_segment_align: 8
    .kernarg_segment_size: 400
    .language:       OpenCL C
    .language_version:
      - 2
      - 0
    .max_flat_workgroup_size: 1024
    .name:           _ZN4vllm25paged_attention_v2_kernelIttLi64ELi16ELi128ELNS_18Fp8KVCacheDataTypeE0ELb1ELi512EEEvPfS2_PT_PKS3_PKT0_S9_ifPKiSB_iPKfiiiSD_SD_iiiii
    .private_segment_fixed_size: 0
    .sgpr_count:     48
    .sgpr_spill_count: 0
    .symbol:         _ZN4vllm25paged_attention_v2_kernelIttLi64ELi16ELi128ELNS_18Fp8KVCacheDataTypeE0ELb1ELi512EEEvPfS2_PT_PKS3_PKT0_S9_ifPKiSB_iPKfiiiSD_SD_iiiii.kd
    .uniform_work_group_size: 1
    .uses_dynamic_stack: false
    .vgpr_count:     79
    .vgpr_spill_count: 0
    .wavefront_size: 32
    .workgroup_processor_mode: 1
  - .args:
      - .actual_access:  write_only
        .address_space:  global
        .offset:         0
        .size:           8
        .value_kind:     global_buffer
      - .actual_access:  write_only
        .address_space:  global
        .offset:         8
        .size:           8
        .value_kind:     global_buffer
      - .actual_access:  write_only
        .address_space:  global
        .offset:         16
        .size:           8
        .value_kind:     global_buffer
      - .actual_access:  read_only
        .address_space:  global
        .offset:         24
        .size:           8
        .value_kind:     global_buffer
      - .actual_access:  read_only
        .address_space:  global
        .offset:         32
        .size:           8
        .value_kind:     global_buffer
      - .actual_access:  read_only
        .address_space:  global
        .offset:         40
        .size:           8
        .value_kind:     global_buffer
      - .offset:         48
        .size:           4
        .value_kind:     by_value
      - .offset:         52
        .size:           4
        .value_kind:     by_value
      - .actual_access:  read_only
        .address_space:  global
        .offset:         56
        .size:           8
        .value_kind:     global_buffer
      - .actual_access:  read_only
        .address_space:  global
        .offset:         64
        .size:           8
        .value_kind:     global_buffer
      - .offset:         72
        .size:           4
        .value_kind:     by_value
      - .actual_access:  read_only
        .address_space:  global
        .offset:         80
        .size:           8
        .value_kind:     global_buffer
      - .offset:         88
        .size:           4
        .value_kind:     by_value
      - .offset:         92
        .size:           4
        .value_kind:     by_value
      - .offset:         96
        .size:           4
        .value_kind:     by_value
      - .address_space:  global
        .offset:         104
        .size:           8
        .value_kind:     global_buffer
      - .address_space:  global
        .offset:         112
        .size:           8
        .value_kind:     global_buffer
      - .offset:         120
        .size:           4
        .value_kind:     by_value
      - .offset:         124
        .size:           4
        .value_kind:     by_value
      - .offset:         128
        .size:           4
        .value_kind:     by_value
      - .offset:         132
        .size:           4
        .value_kind:     by_value
      - .offset:         136
        .size:           4
        .value_kind:     by_value
      - .offset:         144
        .size:           4
        .value_kind:     hidden_block_count_x
      - .offset:         148
        .size:           4
        .value_kind:     hidden_block_count_y
      - .offset:         152
        .size:           4
        .value_kind:     hidden_block_count_z
      - .offset:         156
        .size:           2
        .value_kind:     hidden_group_size_x
      - .offset:         158
        .size:           2
        .value_kind:     hidden_group_size_y
      - .offset:         160
        .size:           2
        .value_kind:     hidden_group_size_z
      - .offset:         162
        .size:           2
        .value_kind:     hidden_remainder_x
      - .offset:         164
        .size:           2
        .value_kind:     hidden_remainder_y
      - .offset:         166
        .size:           2
        .value_kind:     hidden_remainder_z
      - .offset:         184
        .size:           8
        .value_kind:     hidden_global_offset_x
      - .offset:         192
        .size:           8
        .value_kind:     hidden_global_offset_y
      - .offset:         200
        .size:           8
        .value_kind:     hidden_global_offset_z
      - .offset:         208
        .size:           2
        .value_kind:     hidden_grid_dims
      - .offset:         264
        .size:           4
        .value_kind:     hidden_dynamic_lds_size
    .group_segment_fixed_size: 192
    .kernarg_segment_align: 8
    .kernarg_segment_size: 400
    .language:       OpenCL C
    .language_version:
      - 2
      - 0
    .max_flat_workgroup_size: 1024
    .name:           _ZN4vllm25paged_attention_v2_kernelIttLi80ELi16ELi128ELNS_18Fp8KVCacheDataTypeE0ELb1ELi512EEEvPfS2_PT_PKS3_PKT0_S9_ifPKiSB_iPKfiiiSD_SD_iiiii
    .private_segment_fixed_size: 0
    .sgpr_count:     48
    .sgpr_spill_count: 0
    .symbol:         _ZN4vllm25paged_attention_v2_kernelIttLi80ELi16ELi128ELNS_18Fp8KVCacheDataTypeE0ELb1ELi512EEEvPfS2_PT_PKS3_PKT0_S9_ifPKiSB_iPKfiiiSD_SD_iiiii.kd
    .uniform_work_group_size: 1
    .uses_dynamic_stack: false
    .vgpr_count:     92
    .vgpr_spill_count: 0
    .wavefront_size: 32
    .workgroup_processor_mode: 1
  - .args:
      - .actual_access:  write_only
        .address_space:  global
        .offset:         0
        .size:           8
        .value_kind:     global_buffer
      - .actual_access:  write_only
        .address_space:  global
        .offset:         8
        .size:           8
        .value_kind:     global_buffer
      - .actual_access:  write_only
        .address_space:  global
        .offset:         16
        .size:           8
        .value_kind:     global_buffer
      - .actual_access:  read_only
        .address_space:  global
        .offset:         24
        .size:           8
        .value_kind:     global_buffer
      - .actual_access:  read_only
        .address_space:  global
        .offset:         32
        .size:           8
        .value_kind:     global_buffer
      - .actual_access:  read_only
        .address_space:  global
        .offset:         40
        .size:           8
        .value_kind:     global_buffer
      - .offset:         48
        .size:           4
        .value_kind:     by_value
      - .offset:         52
        .size:           4
        .value_kind:     by_value
      - .actual_access:  read_only
        .address_space:  global
        .offset:         56
        .size:           8
        .value_kind:     global_buffer
      - .actual_access:  read_only
        .address_space:  global
        .offset:         64
        .size:           8
        .value_kind:     global_buffer
      - .offset:         72
        .size:           4
        .value_kind:     by_value
      - .actual_access:  read_only
        .address_space:  global
        .offset:         80
        .size:           8
        .value_kind:     global_buffer
      - .offset:         88
        .size:           4
        .value_kind:     by_value
      - .offset:         92
        .size:           4
        .value_kind:     by_value
      - .offset:         96
        .size:           4
        .value_kind:     by_value
      - .address_space:  global
        .offset:         104
        .size:           8
        .value_kind:     global_buffer
      - .address_space:  global
        .offset:         112
        .size:           8
        .value_kind:     global_buffer
      - .offset:         120
        .size:           4
        .value_kind:     by_value
      - .offset:         124
        .size:           4
        .value_kind:     by_value
      - .offset:         128
        .size:           4
        .value_kind:     by_value
      - .offset:         132
        .size:           4
        .value_kind:     by_value
      - .offset:         136
        .size:           4
        .value_kind:     by_value
      - .offset:         144
        .size:           4
        .value_kind:     hidden_block_count_x
      - .offset:         148
        .size:           4
        .value_kind:     hidden_block_count_y
      - .offset:         152
        .size:           4
        .value_kind:     hidden_block_count_z
      - .offset:         156
        .size:           2
        .value_kind:     hidden_group_size_x
      - .offset:         158
        .size:           2
        .value_kind:     hidden_group_size_y
      - .offset:         160
        .size:           2
        .value_kind:     hidden_group_size_z
      - .offset:         162
        .size:           2
        .value_kind:     hidden_remainder_x
      - .offset:         164
        .size:           2
        .value_kind:     hidden_remainder_y
      - .offset:         166
        .size:           2
        .value_kind:     hidden_remainder_z
      - .offset:         184
        .size:           8
        .value_kind:     hidden_global_offset_x
      - .offset:         192
        .size:           8
        .value_kind:     hidden_global_offset_y
      - .offset:         200
        .size:           8
        .value_kind:     hidden_global_offset_z
      - .offset:         208
        .size:           2
        .value_kind:     hidden_grid_dims
      - .offset:         264
        .size:           4
        .value_kind:     hidden_dynamic_lds_size
    .group_segment_fixed_size: 224
    .kernarg_segment_align: 8
    .kernarg_segment_size: 400
    .language:       OpenCL C
    .language_version:
      - 2
      - 0
    .max_flat_workgroup_size: 1024
    .name:           _ZN4vllm25paged_attention_v2_kernelIttLi96ELi16ELi128ELNS_18Fp8KVCacheDataTypeE0ELb1ELi512EEEvPfS2_PT_PKS3_PKT0_S9_ifPKiSB_iPKfiiiSD_SD_iiiii
    .private_segment_fixed_size: 0
    .sgpr_count:     48
    .sgpr_spill_count: 0
    .symbol:         _ZN4vllm25paged_attention_v2_kernelIttLi96ELi16ELi128ELNS_18Fp8KVCacheDataTypeE0ELb1ELi512EEEvPfS2_PT_PKS3_PKT0_S9_ifPKiSB_iPKfiiiSD_SD_iiiii.kd
    .uniform_work_group_size: 1
    .uses_dynamic_stack: false
    .vgpr_count:     105
    .vgpr_spill_count: 0
    .wavefront_size: 32
    .workgroup_processor_mode: 1
  - .args:
      - .actual_access:  write_only
        .address_space:  global
        .offset:         0
        .size:           8
        .value_kind:     global_buffer
      - .actual_access:  write_only
        .address_space:  global
        .offset:         8
        .size:           8
        .value_kind:     global_buffer
      - .actual_access:  write_only
        .address_space:  global
        .offset:         16
        .size:           8
        .value_kind:     global_buffer
      - .actual_access:  read_only
        .address_space:  global
        .offset:         24
        .size:           8
        .value_kind:     global_buffer
      - .actual_access:  read_only
        .address_space:  global
        .offset:         32
        .size:           8
        .value_kind:     global_buffer
      - .actual_access:  read_only
        .address_space:  global
        .offset:         40
        .size:           8
        .value_kind:     global_buffer
      - .offset:         48
        .size:           4
        .value_kind:     by_value
      - .offset:         52
        .size:           4
        .value_kind:     by_value
      - .actual_access:  read_only
        .address_space:  global
        .offset:         56
        .size:           8
        .value_kind:     global_buffer
      - .actual_access:  read_only
        .address_space:  global
        .offset:         64
        .size:           8
        .value_kind:     global_buffer
      - .offset:         72
        .size:           4
        .value_kind:     by_value
      - .actual_access:  read_only
        .address_space:  global
        .offset:         80
        .size:           8
        .value_kind:     global_buffer
      - .offset:         88
        .size:           4
        .value_kind:     by_value
      - .offset:         92
        .size:           4
        .value_kind:     by_value
      - .offset:         96
        .size:           4
        .value_kind:     by_value
      - .address_space:  global
        .offset:         104
        .size:           8
        .value_kind:     global_buffer
      - .address_space:  global
        .offset:         112
        .size:           8
        .value_kind:     global_buffer
      - .offset:         120
        .size:           4
        .value_kind:     by_value
      - .offset:         124
        .size:           4
        .value_kind:     by_value
      - .offset:         128
        .size:           4
        .value_kind:     by_value
      - .offset:         132
        .size:           4
        .value_kind:     by_value
      - .offset:         136
        .size:           4
        .value_kind:     by_value
      - .offset:         144
        .size:           4
        .value_kind:     hidden_block_count_x
      - .offset:         148
        .size:           4
        .value_kind:     hidden_block_count_y
      - .offset:         152
        .size:           4
        .value_kind:     hidden_block_count_z
      - .offset:         156
        .size:           2
        .value_kind:     hidden_group_size_x
      - .offset:         158
        .size:           2
        .value_kind:     hidden_group_size_y
      - .offset:         160
        .size:           2
        .value_kind:     hidden_group_size_z
      - .offset:         162
        .size:           2
        .value_kind:     hidden_remainder_x
      - .offset:         164
        .size:           2
        .value_kind:     hidden_remainder_y
      - .offset:         166
        .size:           2
        .value_kind:     hidden_remainder_z
      - .offset:         184
        .size:           8
        .value_kind:     hidden_global_offset_x
      - .offset:         192
        .size:           8
        .value_kind:     hidden_global_offset_y
      - .offset:         200
        .size:           8
        .value_kind:     hidden_global_offset_z
      - .offset:         208
        .size:           2
        .value_kind:     hidden_grid_dims
      - .offset:         264
        .size:           4
        .value_kind:     hidden_dynamic_lds_size
    .group_segment_fixed_size: 256
    .kernarg_segment_align: 8
    .kernarg_segment_size: 400
    .language:       OpenCL C
    .language_version:
      - 2
      - 0
    .max_flat_workgroup_size: 1024
    .name:           _ZN4vllm25paged_attention_v2_kernelIttLi112ELi16ELi128ELNS_18Fp8KVCacheDataTypeE0ELb1ELi512EEEvPfS2_PT_PKS3_PKT0_S9_ifPKiSB_iPKfiiiSD_SD_iiiii
    .private_segment_fixed_size: 0
    .sgpr_count:     47
    .sgpr_spill_count: 0
    .symbol:         _ZN4vllm25paged_attention_v2_kernelIttLi112ELi16ELi128ELNS_18Fp8KVCacheDataTypeE0ELb1ELi512EEEvPfS2_PT_PKS3_PKT0_S9_ifPKiSB_iPKfiiiSD_SD_iiiii.kd
    .uniform_work_group_size: 1
    .uses_dynamic_stack: false
    .vgpr_count:     119
    .vgpr_spill_count: 0
    .wavefront_size: 32
    .workgroup_processor_mode: 1
  - .args:
      - .actual_access:  write_only
        .address_space:  global
        .offset:         0
        .size:           8
        .value_kind:     global_buffer
      - .actual_access:  write_only
        .address_space:  global
        .offset:         8
        .size:           8
        .value_kind:     global_buffer
      - .actual_access:  write_only
        .address_space:  global
        .offset:         16
        .size:           8
        .value_kind:     global_buffer
      - .actual_access:  read_only
        .address_space:  global
        .offset:         24
        .size:           8
        .value_kind:     global_buffer
      - .actual_access:  read_only
        .address_space:  global
        .offset:         32
        .size:           8
        .value_kind:     global_buffer
      - .actual_access:  read_only
        .address_space:  global
        .offset:         40
        .size:           8
        .value_kind:     global_buffer
      - .offset:         48
        .size:           4
        .value_kind:     by_value
      - .offset:         52
        .size:           4
        .value_kind:     by_value
      - .actual_access:  read_only
        .address_space:  global
        .offset:         56
        .size:           8
        .value_kind:     global_buffer
      - .actual_access:  read_only
        .address_space:  global
        .offset:         64
        .size:           8
        .value_kind:     global_buffer
      - .offset:         72
        .size:           4
        .value_kind:     by_value
      - .actual_access:  read_only
        .address_space:  global
        .offset:         80
        .size:           8
        .value_kind:     global_buffer
      - .offset:         88
        .size:           4
        .value_kind:     by_value
      - .offset:         92
        .size:           4
        .value_kind:     by_value
      - .offset:         96
        .size:           4
        .value_kind:     by_value
      - .address_space:  global
        .offset:         104
        .size:           8
        .value_kind:     global_buffer
      - .address_space:  global
        .offset:         112
        .size:           8
        .value_kind:     global_buffer
      - .offset:         120
        .size:           4
        .value_kind:     by_value
      - .offset:         124
        .size:           4
        .value_kind:     by_value
      - .offset:         128
        .size:           4
        .value_kind:     by_value
      - .offset:         132
        .size:           4
        .value_kind:     by_value
      - .offset:         136
        .size:           4
        .value_kind:     by_value
      - .offset:         144
        .size:           4
        .value_kind:     hidden_block_count_x
      - .offset:         148
        .size:           4
        .value_kind:     hidden_block_count_y
      - .offset:         152
        .size:           4
        .value_kind:     hidden_block_count_z
      - .offset:         156
        .size:           2
        .value_kind:     hidden_group_size_x
      - .offset:         158
        .size:           2
        .value_kind:     hidden_group_size_y
      - .offset:         160
        .size:           2
        .value_kind:     hidden_group_size_z
      - .offset:         162
        .size:           2
        .value_kind:     hidden_remainder_x
      - .offset:         164
        .size:           2
        .value_kind:     hidden_remainder_y
      - .offset:         166
        .size:           2
        .value_kind:     hidden_remainder_z
      - .offset:         184
        .size:           8
        .value_kind:     hidden_global_offset_x
      - .offset:         192
        .size:           8
        .value_kind:     hidden_global_offset_y
      - .offset:         200
        .size:           8
        .value_kind:     hidden_global_offset_z
      - .offset:         208
        .size:           2
        .value_kind:     hidden_grid_dims
      - .offset:         264
        .size:           4
        .value_kind:     hidden_dynamic_lds_size
    .group_segment_fixed_size: 272
    .kernarg_segment_align: 8
    .kernarg_segment_size: 400
    .language:       OpenCL C
    .language_version:
      - 2
      - 0
    .max_flat_workgroup_size: 1024
    .name:           _ZN4vllm25paged_attention_v2_kernelIttLi120ELi16ELi128ELNS_18Fp8KVCacheDataTypeE0ELb1ELi512EEEvPfS2_PT_PKS3_PKT0_S9_ifPKiSB_iPKfiiiSD_SD_iiiii
    .private_segment_fixed_size: 0
    .sgpr_count:     48
    .sgpr_spill_count: 0
    .symbol:         _ZN4vllm25paged_attention_v2_kernelIttLi120ELi16ELi128ELNS_18Fp8KVCacheDataTypeE0ELb1ELi512EEEvPfS2_PT_PKS3_PKT0_S9_ifPKiSB_iPKfiiiSD_SD_iiiii.kd
    .uniform_work_group_size: 1
    .uses_dynamic_stack: false
    .vgpr_count:     125
    .vgpr_spill_count: 0
    .wavefront_size: 32
    .workgroup_processor_mode: 1
  - .args:
      - .actual_access:  write_only
        .address_space:  global
        .offset:         0
        .size:           8
        .value_kind:     global_buffer
      - .actual_access:  write_only
        .address_space:  global
        .offset:         8
        .size:           8
        .value_kind:     global_buffer
      - .actual_access:  write_only
        .address_space:  global
        .offset:         16
        .size:           8
        .value_kind:     global_buffer
      - .actual_access:  read_only
        .address_space:  global
        .offset:         24
        .size:           8
        .value_kind:     global_buffer
      - .actual_access:  read_only
        .address_space:  global
        .offset:         32
        .size:           8
        .value_kind:     global_buffer
      - .actual_access:  read_only
        .address_space:  global
        .offset:         40
        .size:           8
        .value_kind:     global_buffer
      - .offset:         48
        .size:           4
        .value_kind:     by_value
      - .offset:         52
        .size:           4
        .value_kind:     by_value
      - .actual_access:  read_only
        .address_space:  global
        .offset:         56
        .size:           8
        .value_kind:     global_buffer
      - .actual_access:  read_only
        .address_space:  global
        .offset:         64
        .size:           8
        .value_kind:     global_buffer
      - .offset:         72
        .size:           4
        .value_kind:     by_value
      - .actual_access:  read_only
        .address_space:  global
        .offset:         80
        .size:           8
        .value_kind:     global_buffer
      - .offset:         88
        .size:           4
        .value_kind:     by_value
      - .offset:         92
        .size:           4
        .value_kind:     by_value
      - .offset:         96
        .size:           4
        .value_kind:     by_value
      - .address_space:  global
        .offset:         104
        .size:           8
        .value_kind:     global_buffer
      - .address_space:  global
        .offset:         112
        .size:           8
        .value_kind:     global_buffer
      - .offset:         120
        .size:           4
        .value_kind:     by_value
      - .offset:         124
        .size:           4
        .value_kind:     by_value
      - .offset:         128
        .size:           4
        .value_kind:     by_value
      - .offset:         132
        .size:           4
        .value_kind:     by_value
      - .offset:         136
        .size:           4
        .value_kind:     by_value
      - .offset:         144
        .size:           4
        .value_kind:     hidden_block_count_x
      - .offset:         148
        .size:           4
        .value_kind:     hidden_block_count_y
      - .offset:         152
        .size:           4
        .value_kind:     hidden_block_count_z
      - .offset:         156
        .size:           2
        .value_kind:     hidden_group_size_x
      - .offset:         158
        .size:           2
        .value_kind:     hidden_group_size_y
      - .offset:         160
        .size:           2
        .value_kind:     hidden_group_size_z
      - .offset:         162
        .size:           2
        .value_kind:     hidden_remainder_x
      - .offset:         164
        .size:           2
        .value_kind:     hidden_remainder_y
      - .offset:         166
        .size:           2
        .value_kind:     hidden_remainder_z
      - .offset:         184
        .size:           8
        .value_kind:     hidden_global_offset_x
      - .offset:         192
        .size:           8
        .value_kind:     hidden_global_offset_y
      - .offset:         200
        .size:           8
        .value_kind:     hidden_global_offset_z
      - .offset:         208
        .size:           2
        .value_kind:     hidden_grid_dims
      - .offset:         264
        .size:           4
        .value_kind:     hidden_dynamic_lds_size
    .group_segment_fixed_size: 288
    .kernarg_segment_align: 8
    .kernarg_segment_size: 400
    .language:       OpenCL C
    .language_version:
      - 2
      - 0
    .max_flat_workgroup_size: 1024
    .name:           _ZN4vllm25paged_attention_v2_kernelIttLi128ELi16ELi128ELNS_18Fp8KVCacheDataTypeE0ELb1ELi512EEEvPfS2_PT_PKS3_PKT0_S9_ifPKiSB_iPKfiiiSD_SD_iiiii
    .private_segment_fixed_size: 0
    .sgpr_count:     48
    .sgpr_spill_count: 0
    .symbol:         _ZN4vllm25paged_attention_v2_kernelIttLi128ELi16ELi128ELNS_18Fp8KVCacheDataTypeE0ELb1ELi512EEEvPfS2_PT_PKS3_PKT0_S9_ifPKiSB_iPKfiiiSD_SD_iiiii.kd
    .uniform_work_group_size: 1
    .uses_dynamic_stack: false
    .vgpr_count:     132
    .vgpr_spill_count: 0
    .wavefront_size: 32
    .workgroup_processor_mode: 1
  - .args:
      - .actual_access:  write_only
        .address_space:  global
        .offset:         0
        .size:           8
        .value_kind:     global_buffer
      - .actual_access:  write_only
        .address_space:  global
        .offset:         8
        .size:           8
        .value_kind:     global_buffer
      - .actual_access:  write_only
        .address_space:  global
        .offset:         16
        .size:           8
        .value_kind:     global_buffer
      - .actual_access:  read_only
        .address_space:  global
        .offset:         24
        .size:           8
        .value_kind:     global_buffer
      - .actual_access:  read_only
        .address_space:  global
        .offset:         32
        .size:           8
        .value_kind:     global_buffer
      - .actual_access:  read_only
        .address_space:  global
        .offset:         40
        .size:           8
        .value_kind:     global_buffer
      - .offset:         48
        .size:           4
        .value_kind:     by_value
      - .offset:         52
        .size:           4
        .value_kind:     by_value
      - .actual_access:  read_only
        .address_space:  global
        .offset:         56
        .size:           8
        .value_kind:     global_buffer
      - .actual_access:  read_only
        .address_space:  global
        .offset:         64
        .size:           8
        .value_kind:     global_buffer
      - .offset:         72
        .size:           4
        .value_kind:     by_value
      - .actual_access:  read_only
        .address_space:  global
        .offset:         80
        .size:           8
        .value_kind:     global_buffer
      - .offset:         88
        .size:           4
        .value_kind:     by_value
      - .offset:         92
        .size:           4
        .value_kind:     by_value
      - .offset:         96
        .size:           4
        .value_kind:     by_value
      - .address_space:  global
        .offset:         104
        .size:           8
        .value_kind:     global_buffer
      - .address_space:  global
        .offset:         112
        .size:           8
        .value_kind:     global_buffer
      - .offset:         120
        .size:           4
        .value_kind:     by_value
      - .offset:         124
        .size:           4
        .value_kind:     by_value
      - .offset:         128
        .size:           4
        .value_kind:     by_value
      - .offset:         132
        .size:           4
        .value_kind:     by_value
      - .offset:         136
        .size:           4
        .value_kind:     by_value
      - .offset:         144
        .size:           4
        .value_kind:     hidden_block_count_x
      - .offset:         148
        .size:           4
        .value_kind:     hidden_block_count_y
      - .offset:         152
        .size:           4
        .value_kind:     hidden_block_count_z
      - .offset:         156
        .size:           2
        .value_kind:     hidden_group_size_x
      - .offset:         158
        .size:           2
        .value_kind:     hidden_group_size_y
      - .offset:         160
        .size:           2
        .value_kind:     hidden_group_size_z
      - .offset:         162
        .size:           2
        .value_kind:     hidden_remainder_x
      - .offset:         164
        .size:           2
        .value_kind:     hidden_remainder_y
      - .offset:         166
        .size:           2
        .value_kind:     hidden_remainder_z
      - .offset:         184
        .size:           8
        .value_kind:     hidden_global_offset_x
      - .offset:         192
        .size:           8
        .value_kind:     hidden_global_offset_y
      - .offset:         200
        .size:           8
        .value_kind:     hidden_global_offset_z
      - .offset:         208
        .size:           2
        .value_kind:     hidden_grid_dims
      - .offset:         264
        .size:           4
        .value_kind:     hidden_dynamic_lds_size
    .group_segment_fixed_size: 416
    .kernarg_segment_align: 8
    .kernarg_segment_size: 400
    .language:       OpenCL C
    .language_version:
      - 2
      - 0
    .max_flat_workgroup_size: 1024
    .name:           _ZN4vllm25paged_attention_v2_kernelIttLi192ELi16ELi128ELNS_18Fp8KVCacheDataTypeE0ELb1ELi512EEEvPfS2_PT_PKS3_PKT0_S9_ifPKiSB_iPKfiiiSD_SD_iiiii
    .private_segment_fixed_size: 0
    .sgpr_count:     47
    .sgpr_spill_count: 0
    .symbol:         _ZN4vllm25paged_attention_v2_kernelIttLi192ELi16ELi128ELNS_18Fp8KVCacheDataTypeE0ELb1ELi512EEEvPfS2_PT_PKS3_PKT0_S9_ifPKiSB_iPKfiiiSD_SD_iiiii.kd
    .uniform_work_group_size: 1
    .uses_dynamic_stack: false
    .vgpr_count:     135
    .vgpr_spill_count: 0
    .wavefront_size: 32
    .workgroup_processor_mode: 1
  - .args:
      - .actual_access:  write_only
        .address_space:  global
        .offset:         0
        .size:           8
        .value_kind:     global_buffer
      - .actual_access:  write_only
        .address_space:  global
        .offset:         8
        .size:           8
        .value_kind:     global_buffer
      - .actual_access:  write_only
        .address_space:  global
        .offset:         16
        .size:           8
        .value_kind:     global_buffer
      - .actual_access:  read_only
        .address_space:  global
        .offset:         24
        .size:           8
        .value_kind:     global_buffer
      - .actual_access:  read_only
        .address_space:  global
        .offset:         32
        .size:           8
        .value_kind:     global_buffer
      - .actual_access:  read_only
        .address_space:  global
        .offset:         40
        .size:           8
        .value_kind:     global_buffer
      - .offset:         48
        .size:           4
        .value_kind:     by_value
      - .offset:         52
        .size:           4
        .value_kind:     by_value
      - .actual_access:  read_only
        .address_space:  global
        .offset:         56
        .size:           8
        .value_kind:     global_buffer
      - .actual_access:  read_only
        .address_space:  global
        .offset:         64
        .size:           8
        .value_kind:     global_buffer
      - .offset:         72
        .size:           4
        .value_kind:     by_value
      - .actual_access:  read_only
        .address_space:  global
        .offset:         80
        .size:           8
        .value_kind:     global_buffer
      - .offset:         88
        .size:           4
        .value_kind:     by_value
      - .offset:         92
        .size:           4
        .value_kind:     by_value
      - .offset:         96
        .size:           4
        .value_kind:     by_value
      - .address_space:  global
        .offset:         104
        .size:           8
        .value_kind:     global_buffer
      - .address_space:  global
        .offset:         112
        .size:           8
        .value_kind:     global_buffer
      - .offset:         120
        .size:           4
        .value_kind:     by_value
      - .offset:         124
        .size:           4
        .value_kind:     by_value
      - .offset:         128
        .size:           4
        .value_kind:     by_value
      - .offset:         132
        .size:           4
        .value_kind:     by_value
      - .offset:         136
        .size:           4
        .value_kind:     by_value
      - .offset:         144
        .size:           4
        .value_kind:     hidden_block_count_x
      - .offset:         148
        .size:           4
        .value_kind:     hidden_block_count_y
      - .offset:         152
        .size:           4
        .value_kind:     hidden_block_count_z
      - .offset:         156
        .size:           2
        .value_kind:     hidden_group_size_x
      - .offset:         158
        .size:           2
        .value_kind:     hidden_group_size_y
      - .offset:         160
        .size:           2
        .value_kind:     hidden_group_size_z
      - .offset:         162
        .size:           2
        .value_kind:     hidden_remainder_x
      - .offset:         164
        .size:           2
        .value_kind:     hidden_remainder_y
      - .offset:         166
        .size:           2
        .value_kind:     hidden_remainder_z
      - .offset:         184
        .size:           8
        .value_kind:     hidden_global_offset_x
      - .offset:         192
        .size:           8
        .value_kind:     hidden_global_offset_y
      - .offset:         200
        .size:           8
        .value_kind:     hidden_global_offset_z
      - .offset:         208
        .size:           2
        .value_kind:     hidden_grid_dims
      - .offset:         264
        .size:           4
        .value_kind:     hidden_dynamic_lds_size
    .group_segment_fixed_size: 544
    .kernarg_segment_align: 8
    .kernarg_segment_size: 400
    .language:       OpenCL C
    .language_version:
      - 2
      - 0
    .max_flat_workgroup_size: 1024
    .name:           _ZN4vllm25paged_attention_v2_kernelIttLi256ELi16ELi128ELNS_18Fp8KVCacheDataTypeE0ELb1ELi512EEEvPfS2_PT_PKS3_PKT0_S9_ifPKiSB_iPKfiiiSD_SD_iiiii
    .private_segment_fixed_size: 0
    .sgpr_count:     48
    .sgpr_spill_count: 0
    .symbol:         _ZN4vllm25paged_attention_v2_kernelIttLi256ELi16ELi128ELNS_18Fp8KVCacheDataTypeE0ELb1ELi512EEEvPfS2_PT_PKS3_PKT0_S9_ifPKiSB_iPKfiiiSD_SD_iiiii.kd
    .uniform_work_group_size: 1
    .uses_dynamic_stack: false
    .vgpr_count:     134
    .vgpr_spill_count: 0
    .wavefront_size: 32
    .workgroup_processor_mode: 1
  - .args:
      - .actual_access:  write_only
        .address_space:  global
        .offset:         0
        .size:           8
        .value_kind:     global_buffer
      - .actual_access:  write_only
        .address_space:  global
        .offset:         8
        .size:           8
        .value_kind:     global_buffer
      - .actual_access:  write_only
        .address_space:  global
        .offset:         16
        .size:           8
        .value_kind:     global_buffer
      - .actual_access:  read_only
        .address_space:  global
        .offset:         24
        .size:           8
        .value_kind:     global_buffer
      - .actual_access:  read_only
        .address_space:  global
        .offset:         32
        .size:           8
        .value_kind:     global_buffer
      - .actual_access:  read_only
        .address_space:  global
        .offset:         40
        .size:           8
        .value_kind:     global_buffer
      - .offset:         48
        .size:           4
        .value_kind:     by_value
      - .offset:         52
        .size:           4
        .value_kind:     by_value
      - .actual_access:  read_only
        .address_space:  global
        .offset:         56
        .size:           8
        .value_kind:     global_buffer
      - .actual_access:  read_only
        .address_space:  global
        .offset:         64
        .size:           8
        .value_kind:     global_buffer
      - .offset:         72
        .size:           4
        .value_kind:     by_value
      - .actual_access:  read_only
        .address_space:  global
        .offset:         80
        .size:           8
        .value_kind:     global_buffer
      - .offset:         88
        .size:           4
        .value_kind:     by_value
      - .offset:         92
        .size:           4
        .value_kind:     by_value
      - .offset:         96
        .size:           4
        .value_kind:     by_value
      - .address_space:  global
        .offset:         104
        .size:           8
        .value_kind:     global_buffer
      - .address_space:  global
        .offset:         112
        .size:           8
        .value_kind:     global_buffer
      - .offset:         120
        .size:           4
        .value_kind:     by_value
      - .offset:         124
        .size:           4
        .value_kind:     by_value
      - .offset:         128
        .size:           4
        .value_kind:     by_value
      - .offset:         132
        .size:           4
        .value_kind:     by_value
      - .offset:         136
        .size:           4
        .value_kind:     by_value
      - .offset:         144
        .size:           4
        .value_kind:     hidden_block_count_x
      - .offset:         148
        .size:           4
        .value_kind:     hidden_block_count_y
      - .offset:         152
        .size:           4
        .value_kind:     hidden_block_count_z
      - .offset:         156
        .size:           2
        .value_kind:     hidden_group_size_x
      - .offset:         158
        .size:           2
        .value_kind:     hidden_group_size_y
      - .offset:         160
        .size:           2
        .value_kind:     hidden_group_size_z
      - .offset:         162
        .size:           2
        .value_kind:     hidden_remainder_x
      - .offset:         164
        .size:           2
        .value_kind:     hidden_remainder_y
      - .offset:         166
        .size:           2
        .value_kind:     hidden_remainder_z
      - .offset:         184
        .size:           8
        .value_kind:     hidden_global_offset_x
      - .offset:         192
        .size:           8
        .value_kind:     hidden_global_offset_y
      - .offset:         200
        .size:           8
        .value_kind:     hidden_global_offset_z
      - .offset:         208
        .size:           2
        .value_kind:     hidden_grid_dims
      - .offset:         264
        .size:           4
        .value_kind:     hidden_dynamic_lds_size
    .group_segment_fixed_size: 96
    .kernarg_segment_align: 8
    .kernarg_segment_size: 400
    .language:       OpenCL C
    .language_version:
      - 2
      - 0
    .max_flat_workgroup_size: 1024
    .name:           _ZN4vllm25paged_attention_v2_kernelIttLi32ELi16ELi128ELNS_18Fp8KVCacheDataTypeE0ELb0ELi512EEEvPfS2_PT_PKS3_PKT0_S9_ifPKiSB_iPKfiiiSD_SD_iiiii
    .private_segment_fixed_size: 0
    .sgpr_count:     40
    .sgpr_spill_count: 0
    .symbol:         _ZN4vllm25paged_attention_v2_kernelIttLi32ELi16ELi128ELNS_18Fp8KVCacheDataTypeE0ELb0ELi512EEEvPfS2_PT_PKS3_PKT0_S9_ifPKiSB_iPKfiiiSD_SD_iiiii.kd
    .uniform_work_group_size: 1
    .uses_dynamic_stack: false
    .vgpr_count:     49
    .vgpr_spill_count: 0
    .wavefront_size: 32
    .workgroup_processor_mode: 1
  - .args:
      - .actual_access:  write_only
        .address_space:  global
        .offset:         0
        .size:           8
        .value_kind:     global_buffer
      - .actual_access:  write_only
        .address_space:  global
        .offset:         8
        .size:           8
        .value_kind:     global_buffer
      - .actual_access:  write_only
        .address_space:  global
        .offset:         16
        .size:           8
        .value_kind:     global_buffer
      - .actual_access:  read_only
        .address_space:  global
        .offset:         24
        .size:           8
        .value_kind:     global_buffer
      - .actual_access:  read_only
        .address_space:  global
        .offset:         32
        .size:           8
        .value_kind:     global_buffer
      - .actual_access:  read_only
        .address_space:  global
        .offset:         40
        .size:           8
        .value_kind:     global_buffer
      - .offset:         48
        .size:           4
        .value_kind:     by_value
      - .offset:         52
        .size:           4
        .value_kind:     by_value
      - .actual_access:  read_only
        .address_space:  global
        .offset:         56
        .size:           8
        .value_kind:     global_buffer
      - .actual_access:  read_only
        .address_space:  global
        .offset:         64
        .size:           8
        .value_kind:     global_buffer
      - .offset:         72
        .size:           4
        .value_kind:     by_value
      - .actual_access:  read_only
        .address_space:  global
        .offset:         80
        .size:           8
        .value_kind:     global_buffer
      - .offset:         88
        .size:           4
        .value_kind:     by_value
      - .offset:         92
        .size:           4
        .value_kind:     by_value
      - .offset:         96
        .size:           4
        .value_kind:     by_value
      - .address_space:  global
        .offset:         104
        .size:           8
        .value_kind:     global_buffer
      - .address_space:  global
        .offset:         112
        .size:           8
        .value_kind:     global_buffer
      - .offset:         120
        .size:           4
        .value_kind:     by_value
      - .offset:         124
        .size:           4
        .value_kind:     by_value
      - .offset:         128
        .size:           4
        .value_kind:     by_value
      - .offset:         132
        .size:           4
        .value_kind:     by_value
      - .offset:         136
        .size:           4
        .value_kind:     by_value
      - .offset:         144
        .size:           4
        .value_kind:     hidden_block_count_x
      - .offset:         148
        .size:           4
        .value_kind:     hidden_block_count_y
      - .offset:         152
        .size:           4
        .value_kind:     hidden_block_count_z
      - .offset:         156
        .size:           2
        .value_kind:     hidden_group_size_x
      - .offset:         158
        .size:           2
        .value_kind:     hidden_group_size_y
      - .offset:         160
        .size:           2
        .value_kind:     hidden_group_size_z
      - .offset:         162
        .size:           2
        .value_kind:     hidden_remainder_x
      - .offset:         164
        .size:           2
        .value_kind:     hidden_remainder_y
      - .offset:         166
        .size:           2
        .value_kind:     hidden_remainder_z
      - .offset:         184
        .size:           8
        .value_kind:     hidden_global_offset_x
      - .offset:         192
        .size:           8
        .value_kind:     hidden_global_offset_y
      - .offset:         200
        .size:           8
        .value_kind:     hidden_global_offset_z
      - .offset:         208
        .size:           2
        .value_kind:     hidden_grid_dims
      - .offset:         264
        .size:           4
        .value_kind:     hidden_dynamic_lds_size
    .group_segment_fixed_size: 160
    .kernarg_segment_align: 8
    .kernarg_segment_size: 400
    .language:       OpenCL C
    .language_version:
      - 2
      - 0
    .max_flat_workgroup_size: 1024
    .name:           _ZN4vllm25paged_attention_v2_kernelIttLi64ELi16ELi128ELNS_18Fp8KVCacheDataTypeE0ELb0ELi512EEEvPfS2_PT_PKS3_PKT0_S9_ifPKiSB_iPKfiiiSD_SD_iiiii
    .private_segment_fixed_size: 0
    .sgpr_count:     42
    .sgpr_spill_count: 0
    .symbol:         _ZN4vllm25paged_attention_v2_kernelIttLi64ELi16ELi128ELNS_18Fp8KVCacheDataTypeE0ELb0ELi512EEEvPfS2_PT_PKS3_PKT0_S9_ifPKiSB_iPKfiiiSD_SD_iiiii.kd
    .uniform_work_group_size: 1
    .uses_dynamic_stack: false
    .vgpr_count:     76
    .vgpr_spill_count: 0
    .wavefront_size: 32
    .workgroup_processor_mode: 1
  - .args:
      - .actual_access:  write_only
        .address_space:  global
        .offset:         0
        .size:           8
        .value_kind:     global_buffer
      - .actual_access:  write_only
        .address_space:  global
        .offset:         8
        .size:           8
        .value_kind:     global_buffer
      - .actual_access:  write_only
        .address_space:  global
        .offset:         16
        .size:           8
        .value_kind:     global_buffer
      - .actual_access:  read_only
        .address_space:  global
        .offset:         24
        .size:           8
        .value_kind:     global_buffer
      - .actual_access:  read_only
        .address_space:  global
        .offset:         32
        .size:           8
        .value_kind:     global_buffer
      - .actual_access:  read_only
        .address_space:  global
        .offset:         40
        .size:           8
        .value_kind:     global_buffer
      - .offset:         48
        .size:           4
        .value_kind:     by_value
      - .offset:         52
        .size:           4
        .value_kind:     by_value
      - .actual_access:  read_only
        .address_space:  global
        .offset:         56
        .size:           8
        .value_kind:     global_buffer
      - .actual_access:  read_only
        .address_space:  global
        .offset:         64
        .size:           8
        .value_kind:     global_buffer
      - .offset:         72
        .size:           4
        .value_kind:     by_value
      - .actual_access:  read_only
        .address_space:  global
        .offset:         80
        .size:           8
        .value_kind:     global_buffer
      - .offset:         88
        .size:           4
        .value_kind:     by_value
      - .offset:         92
        .size:           4
        .value_kind:     by_value
      - .offset:         96
        .size:           4
        .value_kind:     by_value
      - .address_space:  global
        .offset:         104
        .size:           8
        .value_kind:     global_buffer
      - .address_space:  global
        .offset:         112
        .size:           8
        .value_kind:     global_buffer
      - .offset:         120
        .size:           4
        .value_kind:     by_value
      - .offset:         124
        .size:           4
        .value_kind:     by_value
      - .offset:         128
        .size:           4
        .value_kind:     by_value
      - .offset:         132
        .size:           4
        .value_kind:     by_value
      - .offset:         136
        .size:           4
        .value_kind:     by_value
      - .offset:         144
        .size:           4
        .value_kind:     hidden_block_count_x
      - .offset:         148
        .size:           4
        .value_kind:     hidden_block_count_y
      - .offset:         152
        .size:           4
        .value_kind:     hidden_block_count_z
      - .offset:         156
        .size:           2
        .value_kind:     hidden_group_size_x
      - .offset:         158
        .size:           2
        .value_kind:     hidden_group_size_y
      - .offset:         160
        .size:           2
        .value_kind:     hidden_group_size_z
      - .offset:         162
        .size:           2
        .value_kind:     hidden_remainder_x
      - .offset:         164
        .size:           2
        .value_kind:     hidden_remainder_y
      - .offset:         166
        .size:           2
        .value_kind:     hidden_remainder_z
      - .offset:         184
        .size:           8
        .value_kind:     hidden_global_offset_x
      - .offset:         192
        .size:           8
        .value_kind:     hidden_global_offset_y
      - .offset:         200
        .size:           8
        .value_kind:     hidden_global_offset_z
      - .offset:         208
        .size:           2
        .value_kind:     hidden_grid_dims
      - .offset:         264
        .size:           4
        .value_kind:     hidden_dynamic_lds_size
    .group_segment_fixed_size: 192
    .kernarg_segment_align: 8
    .kernarg_segment_size: 400
    .language:       OpenCL C
    .language_version:
      - 2
      - 0
    .max_flat_workgroup_size: 1024
    .name:           _ZN4vllm25paged_attention_v2_kernelIttLi80ELi16ELi128ELNS_18Fp8KVCacheDataTypeE0ELb0ELi512EEEvPfS2_PT_PKS3_PKT0_S9_ifPKiSB_iPKfiiiSD_SD_iiiii
    .private_segment_fixed_size: 0
    .sgpr_count:     42
    .sgpr_spill_count: 0
    .symbol:         _ZN4vllm25paged_attention_v2_kernelIttLi80ELi16ELi128ELNS_18Fp8KVCacheDataTypeE0ELb0ELi512EEEvPfS2_PT_PKS3_PKT0_S9_ifPKiSB_iPKfiiiSD_SD_iiiii.kd
    .uniform_work_group_size: 1
    .uses_dynamic_stack: false
    .vgpr_count:     89
    .vgpr_spill_count: 0
    .wavefront_size: 32
    .workgroup_processor_mode: 1
  - .args:
      - .actual_access:  write_only
        .address_space:  global
        .offset:         0
        .size:           8
        .value_kind:     global_buffer
      - .actual_access:  write_only
        .address_space:  global
        .offset:         8
        .size:           8
        .value_kind:     global_buffer
      - .actual_access:  write_only
        .address_space:  global
        .offset:         16
        .size:           8
        .value_kind:     global_buffer
      - .actual_access:  read_only
        .address_space:  global
        .offset:         24
        .size:           8
        .value_kind:     global_buffer
      - .actual_access:  read_only
        .address_space:  global
        .offset:         32
        .size:           8
        .value_kind:     global_buffer
      - .actual_access:  read_only
        .address_space:  global
        .offset:         40
        .size:           8
        .value_kind:     global_buffer
      - .offset:         48
        .size:           4
        .value_kind:     by_value
      - .offset:         52
        .size:           4
        .value_kind:     by_value
      - .actual_access:  read_only
        .address_space:  global
        .offset:         56
        .size:           8
        .value_kind:     global_buffer
      - .actual_access:  read_only
        .address_space:  global
        .offset:         64
        .size:           8
        .value_kind:     global_buffer
      - .offset:         72
        .size:           4
        .value_kind:     by_value
      - .actual_access:  read_only
        .address_space:  global
        .offset:         80
        .size:           8
        .value_kind:     global_buffer
      - .offset:         88
        .size:           4
        .value_kind:     by_value
      - .offset:         92
        .size:           4
        .value_kind:     by_value
      - .offset:         96
        .size:           4
        .value_kind:     by_value
      - .address_space:  global
        .offset:         104
        .size:           8
        .value_kind:     global_buffer
      - .address_space:  global
        .offset:         112
        .size:           8
        .value_kind:     global_buffer
      - .offset:         120
        .size:           4
        .value_kind:     by_value
      - .offset:         124
        .size:           4
        .value_kind:     by_value
      - .offset:         128
        .size:           4
        .value_kind:     by_value
      - .offset:         132
        .size:           4
        .value_kind:     by_value
      - .offset:         136
        .size:           4
        .value_kind:     by_value
      - .offset:         144
        .size:           4
        .value_kind:     hidden_block_count_x
      - .offset:         148
        .size:           4
        .value_kind:     hidden_block_count_y
      - .offset:         152
        .size:           4
        .value_kind:     hidden_block_count_z
      - .offset:         156
        .size:           2
        .value_kind:     hidden_group_size_x
      - .offset:         158
        .size:           2
        .value_kind:     hidden_group_size_y
      - .offset:         160
        .size:           2
        .value_kind:     hidden_group_size_z
      - .offset:         162
        .size:           2
        .value_kind:     hidden_remainder_x
      - .offset:         164
        .size:           2
        .value_kind:     hidden_remainder_y
      - .offset:         166
        .size:           2
        .value_kind:     hidden_remainder_z
      - .offset:         184
        .size:           8
        .value_kind:     hidden_global_offset_x
      - .offset:         192
        .size:           8
        .value_kind:     hidden_global_offset_y
      - .offset:         200
        .size:           8
        .value_kind:     hidden_global_offset_z
      - .offset:         208
        .size:           2
        .value_kind:     hidden_grid_dims
      - .offset:         264
        .size:           4
        .value_kind:     hidden_dynamic_lds_size
    .group_segment_fixed_size: 224
    .kernarg_segment_align: 8
    .kernarg_segment_size: 400
    .language:       OpenCL C
    .language_version:
      - 2
      - 0
    .max_flat_workgroup_size: 1024
    .name:           _ZN4vllm25paged_attention_v2_kernelIttLi96ELi16ELi128ELNS_18Fp8KVCacheDataTypeE0ELb0ELi512EEEvPfS2_PT_PKS3_PKT0_S9_ifPKiSB_iPKfiiiSD_SD_iiiii
    .private_segment_fixed_size: 0
    .sgpr_count:     42
    .sgpr_spill_count: 0
    .symbol:         _ZN4vllm25paged_attention_v2_kernelIttLi96ELi16ELi128ELNS_18Fp8KVCacheDataTypeE0ELb0ELi512EEEvPfS2_PT_PKS3_PKT0_S9_ifPKiSB_iPKfiiiSD_SD_iiiii.kd
    .uniform_work_group_size: 1
    .uses_dynamic_stack: false
    .vgpr_count:     102
    .vgpr_spill_count: 0
    .wavefront_size: 32
    .workgroup_processor_mode: 1
  - .args:
      - .actual_access:  write_only
        .address_space:  global
        .offset:         0
        .size:           8
        .value_kind:     global_buffer
      - .actual_access:  write_only
        .address_space:  global
        .offset:         8
        .size:           8
        .value_kind:     global_buffer
      - .actual_access:  write_only
        .address_space:  global
        .offset:         16
        .size:           8
        .value_kind:     global_buffer
      - .actual_access:  read_only
        .address_space:  global
        .offset:         24
        .size:           8
        .value_kind:     global_buffer
      - .actual_access:  read_only
        .address_space:  global
        .offset:         32
        .size:           8
        .value_kind:     global_buffer
      - .actual_access:  read_only
        .address_space:  global
        .offset:         40
        .size:           8
        .value_kind:     global_buffer
      - .offset:         48
        .size:           4
        .value_kind:     by_value
      - .offset:         52
        .size:           4
        .value_kind:     by_value
      - .actual_access:  read_only
        .address_space:  global
        .offset:         56
        .size:           8
        .value_kind:     global_buffer
      - .actual_access:  read_only
        .address_space:  global
        .offset:         64
        .size:           8
        .value_kind:     global_buffer
      - .offset:         72
        .size:           4
        .value_kind:     by_value
      - .actual_access:  read_only
        .address_space:  global
        .offset:         80
        .size:           8
        .value_kind:     global_buffer
      - .offset:         88
        .size:           4
        .value_kind:     by_value
      - .offset:         92
        .size:           4
        .value_kind:     by_value
      - .offset:         96
        .size:           4
        .value_kind:     by_value
      - .address_space:  global
        .offset:         104
        .size:           8
        .value_kind:     global_buffer
      - .address_space:  global
        .offset:         112
        .size:           8
        .value_kind:     global_buffer
      - .offset:         120
        .size:           4
        .value_kind:     by_value
      - .offset:         124
        .size:           4
        .value_kind:     by_value
      - .offset:         128
        .size:           4
        .value_kind:     by_value
      - .offset:         132
        .size:           4
        .value_kind:     by_value
      - .offset:         136
        .size:           4
        .value_kind:     by_value
      - .offset:         144
        .size:           4
        .value_kind:     hidden_block_count_x
      - .offset:         148
        .size:           4
        .value_kind:     hidden_block_count_y
      - .offset:         152
        .size:           4
        .value_kind:     hidden_block_count_z
      - .offset:         156
        .size:           2
        .value_kind:     hidden_group_size_x
      - .offset:         158
        .size:           2
        .value_kind:     hidden_group_size_y
      - .offset:         160
        .size:           2
        .value_kind:     hidden_group_size_z
      - .offset:         162
        .size:           2
        .value_kind:     hidden_remainder_x
      - .offset:         164
        .size:           2
        .value_kind:     hidden_remainder_y
      - .offset:         166
        .size:           2
        .value_kind:     hidden_remainder_z
      - .offset:         184
        .size:           8
        .value_kind:     hidden_global_offset_x
      - .offset:         192
        .size:           8
        .value_kind:     hidden_global_offset_y
      - .offset:         200
        .size:           8
        .value_kind:     hidden_global_offset_z
      - .offset:         208
        .size:           2
        .value_kind:     hidden_grid_dims
      - .offset:         264
        .size:           4
        .value_kind:     hidden_dynamic_lds_size
    .group_segment_fixed_size: 256
    .kernarg_segment_align: 8
    .kernarg_segment_size: 400
    .language:       OpenCL C
    .language_version:
      - 2
      - 0
    .max_flat_workgroup_size: 1024
    .name:           _ZN4vllm25paged_attention_v2_kernelIttLi112ELi16ELi128ELNS_18Fp8KVCacheDataTypeE0ELb0ELi512EEEvPfS2_PT_PKS3_PKT0_S9_ifPKiSB_iPKfiiiSD_SD_iiiii
    .private_segment_fixed_size: 0
    .sgpr_count:     40
    .sgpr_spill_count: 0
    .symbol:         _ZN4vllm25paged_attention_v2_kernelIttLi112ELi16ELi128ELNS_18Fp8KVCacheDataTypeE0ELb0ELi512EEEvPfS2_PT_PKS3_PKT0_S9_ifPKiSB_iPKfiiiSD_SD_iiiii.kd
    .uniform_work_group_size: 1
    .uses_dynamic_stack: false
    .vgpr_count:     117
    .vgpr_spill_count: 0
    .wavefront_size: 32
    .workgroup_processor_mode: 1
  - .args:
      - .actual_access:  write_only
        .address_space:  global
        .offset:         0
        .size:           8
        .value_kind:     global_buffer
      - .actual_access:  write_only
        .address_space:  global
        .offset:         8
        .size:           8
        .value_kind:     global_buffer
      - .actual_access:  write_only
        .address_space:  global
        .offset:         16
        .size:           8
        .value_kind:     global_buffer
      - .actual_access:  read_only
        .address_space:  global
        .offset:         24
        .size:           8
        .value_kind:     global_buffer
      - .actual_access:  read_only
        .address_space:  global
        .offset:         32
        .size:           8
        .value_kind:     global_buffer
      - .actual_access:  read_only
        .address_space:  global
        .offset:         40
        .size:           8
        .value_kind:     global_buffer
      - .offset:         48
        .size:           4
        .value_kind:     by_value
      - .offset:         52
        .size:           4
        .value_kind:     by_value
      - .actual_access:  read_only
        .address_space:  global
        .offset:         56
        .size:           8
        .value_kind:     global_buffer
      - .actual_access:  read_only
        .address_space:  global
        .offset:         64
        .size:           8
        .value_kind:     global_buffer
      - .offset:         72
        .size:           4
        .value_kind:     by_value
      - .actual_access:  read_only
        .address_space:  global
        .offset:         80
        .size:           8
        .value_kind:     global_buffer
      - .offset:         88
        .size:           4
        .value_kind:     by_value
      - .offset:         92
        .size:           4
        .value_kind:     by_value
      - .offset:         96
        .size:           4
        .value_kind:     by_value
      - .address_space:  global
        .offset:         104
        .size:           8
        .value_kind:     global_buffer
      - .address_space:  global
        .offset:         112
        .size:           8
        .value_kind:     global_buffer
      - .offset:         120
        .size:           4
        .value_kind:     by_value
      - .offset:         124
        .size:           4
        .value_kind:     by_value
      - .offset:         128
        .size:           4
        .value_kind:     by_value
      - .offset:         132
        .size:           4
        .value_kind:     by_value
      - .offset:         136
        .size:           4
        .value_kind:     by_value
      - .offset:         144
        .size:           4
        .value_kind:     hidden_block_count_x
      - .offset:         148
        .size:           4
        .value_kind:     hidden_block_count_y
      - .offset:         152
        .size:           4
        .value_kind:     hidden_block_count_z
      - .offset:         156
        .size:           2
        .value_kind:     hidden_group_size_x
      - .offset:         158
        .size:           2
        .value_kind:     hidden_group_size_y
      - .offset:         160
        .size:           2
        .value_kind:     hidden_group_size_z
      - .offset:         162
        .size:           2
        .value_kind:     hidden_remainder_x
      - .offset:         164
        .size:           2
        .value_kind:     hidden_remainder_y
      - .offset:         166
        .size:           2
        .value_kind:     hidden_remainder_z
      - .offset:         184
        .size:           8
        .value_kind:     hidden_global_offset_x
      - .offset:         192
        .size:           8
        .value_kind:     hidden_global_offset_y
      - .offset:         200
        .size:           8
        .value_kind:     hidden_global_offset_z
      - .offset:         208
        .size:           2
        .value_kind:     hidden_grid_dims
      - .offset:         264
        .size:           4
        .value_kind:     hidden_dynamic_lds_size
    .group_segment_fixed_size: 272
    .kernarg_segment_align: 8
    .kernarg_segment_size: 400
    .language:       OpenCL C
    .language_version:
      - 2
      - 0
    .max_flat_workgroup_size: 1024
    .name:           _ZN4vllm25paged_attention_v2_kernelIttLi120ELi16ELi128ELNS_18Fp8KVCacheDataTypeE0ELb0ELi512EEEvPfS2_PT_PKS3_PKT0_S9_ifPKiSB_iPKfiiiSD_SD_iiiii
    .private_segment_fixed_size: 0
    .sgpr_count:     42
    .sgpr_spill_count: 0
    .symbol:         _ZN4vllm25paged_attention_v2_kernelIttLi120ELi16ELi128ELNS_18Fp8KVCacheDataTypeE0ELb0ELi512EEEvPfS2_PT_PKS3_PKT0_S9_ifPKiSB_iPKfiiiSD_SD_iiiii.kd
    .uniform_work_group_size: 1
    .uses_dynamic_stack: false
    .vgpr_count:     122
    .vgpr_spill_count: 0
    .wavefront_size: 32
    .workgroup_processor_mode: 1
  - .args:
      - .actual_access:  write_only
        .address_space:  global
        .offset:         0
        .size:           8
        .value_kind:     global_buffer
      - .actual_access:  write_only
        .address_space:  global
        .offset:         8
        .size:           8
        .value_kind:     global_buffer
      - .actual_access:  write_only
        .address_space:  global
        .offset:         16
        .size:           8
        .value_kind:     global_buffer
      - .actual_access:  read_only
        .address_space:  global
        .offset:         24
        .size:           8
        .value_kind:     global_buffer
      - .actual_access:  read_only
        .address_space:  global
        .offset:         32
        .size:           8
        .value_kind:     global_buffer
      - .actual_access:  read_only
        .address_space:  global
        .offset:         40
        .size:           8
        .value_kind:     global_buffer
      - .offset:         48
        .size:           4
        .value_kind:     by_value
      - .offset:         52
        .size:           4
        .value_kind:     by_value
      - .actual_access:  read_only
        .address_space:  global
        .offset:         56
        .size:           8
        .value_kind:     global_buffer
      - .actual_access:  read_only
        .address_space:  global
        .offset:         64
        .size:           8
        .value_kind:     global_buffer
      - .offset:         72
        .size:           4
        .value_kind:     by_value
      - .actual_access:  read_only
        .address_space:  global
        .offset:         80
        .size:           8
        .value_kind:     global_buffer
      - .offset:         88
        .size:           4
        .value_kind:     by_value
      - .offset:         92
        .size:           4
        .value_kind:     by_value
      - .offset:         96
        .size:           4
        .value_kind:     by_value
      - .address_space:  global
        .offset:         104
        .size:           8
        .value_kind:     global_buffer
      - .address_space:  global
        .offset:         112
        .size:           8
        .value_kind:     global_buffer
      - .offset:         120
        .size:           4
        .value_kind:     by_value
      - .offset:         124
        .size:           4
        .value_kind:     by_value
      - .offset:         128
        .size:           4
        .value_kind:     by_value
      - .offset:         132
        .size:           4
        .value_kind:     by_value
      - .offset:         136
        .size:           4
        .value_kind:     by_value
      - .offset:         144
        .size:           4
        .value_kind:     hidden_block_count_x
      - .offset:         148
        .size:           4
        .value_kind:     hidden_block_count_y
      - .offset:         152
        .size:           4
        .value_kind:     hidden_block_count_z
      - .offset:         156
        .size:           2
        .value_kind:     hidden_group_size_x
      - .offset:         158
        .size:           2
        .value_kind:     hidden_group_size_y
      - .offset:         160
        .size:           2
        .value_kind:     hidden_group_size_z
      - .offset:         162
        .size:           2
        .value_kind:     hidden_remainder_x
      - .offset:         164
        .size:           2
        .value_kind:     hidden_remainder_y
      - .offset:         166
        .size:           2
        .value_kind:     hidden_remainder_z
      - .offset:         184
        .size:           8
        .value_kind:     hidden_global_offset_x
      - .offset:         192
        .size:           8
        .value_kind:     hidden_global_offset_y
      - .offset:         200
        .size:           8
        .value_kind:     hidden_global_offset_z
      - .offset:         208
        .size:           2
        .value_kind:     hidden_grid_dims
      - .offset:         264
        .size:           4
        .value_kind:     hidden_dynamic_lds_size
    .group_segment_fixed_size: 288
    .kernarg_segment_align: 8
    .kernarg_segment_size: 400
    .language:       OpenCL C
    .language_version:
      - 2
      - 0
    .max_flat_workgroup_size: 1024
    .name:           _ZN4vllm25paged_attention_v2_kernelIttLi128ELi16ELi128ELNS_18Fp8KVCacheDataTypeE0ELb0ELi512EEEvPfS2_PT_PKS3_PKT0_S9_ifPKiSB_iPKfiiiSD_SD_iiiii
    .private_segment_fixed_size: 0
    .sgpr_count:     42
    .sgpr_spill_count: 0
    .symbol:         _ZN4vllm25paged_attention_v2_kernelIttLi128ELi16ELi128ELNS_18Fp8KVCacheDataTypeE0ELb0ELi512EEEvPfS2_PT_PKS3_PKT0_S9_ifPKiSB_iPKfiiiSD_SD_iiiii.kd
    .uniform_work_group_size: 1
    .uses_dynamic_stack: false
    .vgpr_count:     129
    .vgpr_spill_count: 0
    .wavefront_size: 32
    .workgroup_processor_mode: 1
  - .args:
      - .actual_access:  write_only
        .address_space:  global
        .offset:         0
        .size:           8
        .value_kind:     global_buffer
      - .actual_access:  write_only
        .address_space:  global
        .offset:         8
        .size:           8
        .value_kind:     global_buffer
      - .actual_access:  write_only
        .address_space:  global
        .offset:         16
        .size:           8
        .value_kind:     global_buffer
      - .actual_access:  read_only
        .address_space:  global
        .offset:         24
        .size:           8
        .value_kind:     global_buffer
      - .actual_access:  read_only
        .address_space:  global
        .offset:         32
        .size:           8
        .value_kind:     global_buffer
      - .actual_access:  read_only
        .address_space:  global
        .offset:         40
        .size:           8
        .value_kind:     global_buffer
      - .offset:         48
        .size:           4
        .value_kind:     by_value
      - .offset:         52
        .size:           4
        .value_kind:     by_value
      - .actual_access:  read_only
        .address_space:  global
        .offset:         56
        .size:           8
        .value_kind:     global_buffer
      - .actual_access:  read_only
        .address_space:  global
        .offset:         64
        .size:           8
        .value_kind:     global_buffer
      - .offset:         72
        .size:           4
        .value_kind:     by_value
      - .actual_access:  read_only
        .address_space:  global
        .offset:         80
        .size:           8
        .value_kind:     global_buffer
      - .offset:         88
        .size:           4
        .value_kind:     by_value
      - .offset:         92
        .size:           4
        .value_kind:     by_value
      - .offset:         96
        .size:           4
        .value_kind:     by_value
      - .address_space:  global
        .offset:         104
        .size:           8
        .value_kind:     global_buffer
      - .address_space:  global
        .offset:         112
        .size:           8
        .value_kind:     global_buffer
      - .offset:         120
        .size:           4
        .value_kind:     by_value
      - .offset:         124
        .size:           4
        .value_kind:     by_value
      - .offset:         128
        .size:           4
        .value_kind:     by_value
      - .offset:         132
        .size:           4
        .value_kind:     by_value
      - .offset:         136
        .size:           4
        .value_kind:     by_value
      - .offset:         144
        .size:           4
        .value_kind:     hidden_block_count_x
      - .offset:         148
        .size:           4
        .value_kind:     hidden_block_count_y
      - .offset:         152
        .size:           4
        .value_kind:     hidden_block_count_z
      - .offset:         156
        .size:           2
        .value_kind:     hidden_group_size_x
      - .offset:         158
        .size:           2
        .value_kind:     hidden_group_size_y
      - .offset:         160
        .size:           2
        .value_kind:     hidden_group_size_z
      - .offset:         162
        .size:           2
        .value_kind:     hidden_remainder_x
      - .offset:         164
        .size:           2
        .value_kind:     hidden_remainder_y
      - .offset:         166
        .size:           2
        .value_kind:     hidden_remainder_z
      - .offset:         184
        .size:           8
        .value_kind:     hidden_global_offset_x
      - .offset:         192
        .size:           8
        .value_kind:     hidden_global_offset_y
      - .offset:         200
        .size:           8
        .value_kind:     hidden_global_offset_z
      - .offset:         208
        .size:           2
        .value_kind:     hidden_grid_dims
      - .offset:         264
        .size:           4
        .value_kind:     hidden_dynamic_lds_size
    .group_segment_fixed_size: 416
    .kernarg_segment_align: 8
    .kernarg_segment_size: 400
    .language:       OpenCL C
    .language_version:
      - 2
      - 0
    .max_flat_workgroup_size: 1024
    .name:           _ZN4vllm25paged_attention_v2_kernelIttLi192ELi16ELi128ELNS_18Fp8KVCacheDataTypeE0ELb0ELi512EEEvPfS2_PT_PKS3_PKT0_S9_ifPKiSB_iPKfiiiSD_SD_iiiii
    .private_segment_fixed_size: 0
    .sgpr_count:     40
    .sgpr_spill_count: 0
    .symbol:         _ZN4vllm25paged_attention_v2_kernelIttLi192ELi16ELi128ELNS_18Fp8KVCacheDataTypeE0ELb0ELi512EEEvPfS2_PT_PKS3_PKT0_S9_ifPKiSB_iPKfiiiSD_SD_iiiii.kd
    .uniform_work_group_size: 1
    .uses_dynamic_stack: false
    .vgpr_count:     132
    .vgpr_spill_count: 0
    .wavefront_size: 32
    .workgroup_processor_mode: 1
  - .args:
      - .actual_access:  write_only
        .address_space:  global
        .offset:         0
        .size:           8
        .value_kind:     global_buffer
      - .actual_access:  write_only
        .address_space:  global
        .offset:         8
        .size:           8
        .value_kind:     global_buffer
      - .actual_access:  write_only
        .address_space:  global
        .offset:         16
        .size:           8
        .value_kind:     global_buffer
      - .actual_access:  read_only
        .address_space:  global
        .offset:         24
        .size:           8
        .value_kind:     global_buffer
      - .actual_access:  read_only
        .address_space:  global
        .offset:         32
        .size:           8
        .value_kind:     global_buffer
      - .actual_access:  read_only
        .address_space:  global
        .offset:         40
        .size:           8
        .value_kind:     global_buffer
      - .offset:         48
        .size:           4
        .value_kind:     by_value
      - .offset:         52
        .size:           4
        .value_kind:     by_value
      - .actual_access:  read_only
        .address_space:  global
        .offset:         56
        .size:           8
        .value_kind:     global_buffer
      - .actual_access:  read_only
        .address_space:  global
        .offset:         64
        .size:           8
        .value_kind:     global_buffer
      - .offset:         72
        .size:           4
        .value_kind:     by_value
      - .actual_access:  read_only
        .address_space:  global
        .offset:         80
        .size:           8
        .value_kind:     global_buffer
      - .offset:         88
        .size:           4
        .value_kind:     by_value
      - .offset:         92
        .size:           4
        .value_kind:     by_value
      - .offset:         96
        .size:           4
        .value_kind:     by_value
      - .address_space:  global
        .offset:         104
        .size:           8
        .value_kind:     global_buffer
      - .address_space:  global
        .offset:         112
        .size:           8
        .value_kind:     global_buffer
      - .offset:         120
        .size:           4
        .value_kind:     by_value
      - .offset:         124
        .size:           4
        .value_kind:     by_value
      - .offset:         128
        .size:           4
        .value_kind:     by_value
      - .offset:         132
        .size:           4
        .value_kind:     by_value
      - .offset:         136
        .size:           4
        .value_kind:     by_value
      - .offset:         144
        .size:           4
        .value_kind:     hidden_block_count_x
      - .offset:         148
        .size:           4
        .value_kind:     hidden_block_count_y
      - .offset:         152
        .size:           4
        .value_kind:     hidden_block_count_z
      - .offset:         156
        .size:           2
        .value_kind:     hidden_group_size_x
      - .offset:         158
        .size:           2
        .value_kind:     hidden_group_size_y
      - .offset:         160
        .size:           2
        .value_kind:     hidden_group_size_z
      - .offset:         162
        .size:           2
        .value_kind:     hidden_remainder_x
      - .offset:         164
        .size:           2
        .value_kind:     hidden_remainder_y
      - .offset:         166
        .size:           2
        .value_kind:     hidden_remainder_z
      - .offset:         184
        .size:           8
        .value_kind:     hidden_global_offset_x
      - .offset:         192
        .size:           8
        .value_kind:     hidden_global_offset_y
      - .offset:         200
        .size:           8
        .value_kind:     hidden_global_offset_z
      - .offset:         208
        .size:           2
        .value_kind:     hidden_grid_dims
      - .offset:         264
        .size:           4
        .value_kind:     hidden_dynamic_lds_size
    .group_segment_fixed_size: 544
    .kernarg_segment_align: 8
    .kernarg_segment_size: 400
    .language:       OpenCL C
    .language_version:
      - 2
      - 0
    .max_flat_workgroup_size: 1024
    .name:           _ZN4vllm25paged_attention_v2_kernelIttLi256ELi16ELi128ELNS_18Fp8KVCacheDataTypeE0ELb0ELi512EEEvPfS2_PT_PKS3_PKT0_S9_ifPKiSB_iPKfiiiSD_SD_iiiii
    .private_segment_fixed_size: 0
    .sgpr_count:     42
    .sgpr_spill_count: 0
    .symbol:         _ZN4vllm25paged_attention_v2_kernelIttLi256ELi16ELi128ELNS_18Fp8KVCacheDataTypeE0ELb0ELi512EEEvPfS2_PT_PKS3_PKT0_S9_ifPKiSB_iPKfiiiSD_SD_iiiii.kd
    .uniform_work_group_size: 1
    .uses_dynamic_stack: false
    .vgpr_count:     131
    .vgpr_spill_count: 0
    .wavefront_size: 32
    .workgroup_processor_mode: 1
  - .args:
      - .actual_access:  write_only
        .address_space:  global
        .offset:         0
        .size:           8
        .value_kind:     global_buffer
      - .actual_access:  write_only
        .address_space:  global
        .offset:         8
        .size:           8
        .value_kind:     global_buffer
      - .actual_access:  write_only
        .address_space:  global
        .offset:         16
        .size:           8
        .value_kind:     global_buffer
      - .actual_access:  read_only
        .address_space:  global
        .offset:         24
        .size:           8
        .value_kind:     global_buffer
      - .actual_access:  read_only
        .address_space:  global
        .offset:         32
        .size:           8
        .value_kind:     global_buffer
      - .actual_access:  read_only
        .address_space:  global
        .offset:         40
        .size:           8
        .value_kind:     global_buffer
      - .offset:         48
        .size:           4
        .value_kind:     by_value
      - .offset:         52
        .size:           4
        .value_kind:     by_value
      - .actual_access:  read_only
        .address_space:  global
        .offset:         56
        .size:           8
        .value_kind:     global_buffer
      - .actual_access:  read_only
        .address_space:  global
        .offset:         64
        .size:           8
        .value_kind:     global_buffer
      - .offset:         72
        .size:           4
        .value_kind:     by_value
      - .actual_access:  read_only
        .address_space:  global
        .offset:         80
        .size:           8
        .value_kind:     global_buffer
      - .offset:         88
        .size:           4
        .value_kind:     by_value
      - .offset:         92
        .size:           4
        .value_kind:     by_value
      - .offset:         96
        .size:           4
        .value_kind:     by_value
      - .address_space:  global
        .offset:         104
        .size:           8
        .value_kind:     global_buffer
      - .address_space:  global
        .offset:         112
        .size:           8
        .value_kind:     global_buffer
      - .offset:         120
        .size:           4
        .value_kind:     by_value
      - .offset:         124
        .size:           4
        .value_kind:     by_value
      - .offset:         128
        .size:           4
        .value_kind:     by_value
      - .offset:         132
        .size:           4
        .value_kind:     by_value
      - .offset:         136
        .size:           4
        .value_kind:     by_value
      - .offset:         144
        .size:           4
        .value_kind:     hidden_block_count_x
      - .offset:         148
        .size:           4
        .value_kind:     hidden_block_count_y
      - .offset:         152
        .size:           4
        .value_kind:     hidden_block_count_z
      - .offset:         156
        .size:           2
        .value_kind:     hidden_group_size_x
      - .offset:         158
        .size:           2
        .value_kind:     hidden_group_size_y
      - .offset:         160
        .size:           2
        .value_kind:     hidden_group_size_z
      - .offset:         162
        .size:           2
        .value_kind:     hidden_remainder_x
      - .offset:         164
        .size:           2
        .value_kind:     hidden_remainder_y
      - .offset:         166
        .size:           2
        .value_kind:     hidden_remainder_z
      - .offset:         184
        .size:           8
        .value_kind:     hidden_global_offset_x
      - .offset:         192
        .size:           8
        .value_kind:     hidden_global_offset_y
      - .offset:         200
        .size:           8
        .value_kind:     hidden_global_offset_z
      - .offset:         208
        .size:           2
        .value_kind:     hidden_grid_dims
      - .offset:         264
        .size:           4
        .value_kind:     hidden_dynamic_lds_size
    .group_segment_fixed_size: 96
    .kernarg_segment_align: 8
    .kernarg_segment_size: 400
    .language:       OpenCL C
    .language_version:
      - 2
      - 0
    .max_flat_workgroup_size: 1024
    .name:           _ZN4vllm25paged_attention_v2_kernelIttLi32ELi32ELi128ELNS_18Fp8KVCacheDataTypeE0ELb1ELi512EEEvPfS2_PT_PKS3_PKT0_S9_ifPKiSB_iPKfiiiSD_SD_iiiii
    .private_segment_fixed_size: 0
    .sgpr_count:     48
    .sgpr_spill_count: 0
    .symbol:         _ZN4vllm25paged_attention_v2_kernelIttLi32ELi32ELi128ELNS_18Fp8KVCacheDataTypeE0ELb1ELi512EEEvPfS2_PT_PKS3_PKT0_S9_ifPKiSB_iPKfiiiSD_SD_iiiii.kd
    .uniform_work_group_size: 1
    .uses_dynamic_stack: false
    .vgpr_count:     77
    .vgpr_spill_count: 0
    .wavefront_size: 32
    .workgroup_processor_mode: 1
  - .args:
      - .actual_access:  write_only
        .address_space:  global
        .offset:         0
        .size:           8
        .value_kind:     global_buffer
      - .actual_access:  write_only
        .address_space:  global
        .offset:         8
        .size:           8
        .value_kind:     global_buffer
      - .actual_access:  write_only
        .address_space:  global
        .offset:         16
        .size:           8
        .value_kind:     global_buffer
      - .actual_access:  read_only
        .address_space:  global
        .offset:         24
        .size:           8
        .value_kind:     global_buffer
      - .actual_access:  read_only
        .address_space:  global
        .offset:         32
        .size:           8
        .value_kind:     global_buffer
      - .actual_access:  read_only
        .address_space:  global
        .offset:         40
        .size:           8
        .value_kind:     global_buffer
      - .offset:         48
        .size:           4
        .value_kind:     by_value
      - .offset:         52
        .size:           4
        .value_kind:     by_value
      - .actual_access:  read_only
        .address_space:  global
        .offset:         56
        .size:           8
        .value_kind:     global_buffer
      - .actual_access:  read_only
        .address_space:  global
        .offset:         64
        .size:           8
        .value_kind:     global_buffer
      - .offset:         72
        .size:           4
        .value_kind:     by_value
      - .actual_access:  read_only
        .address_space:  global
        .offset:         80
        .size:           8
        .value_kind:     global_buffer
      - .offset:         88
        .size:           4
        .value_kind:     by_value
      - .offset:         92
        .size:           4
        .value_kind:     by_value
      - .offset:         96
        .size:           4
        .value_kind:     by_value
      - .address_space:  global
        .offset:         104
        .size:           8
        .value_kind:     global_buffer
      - .address_space:  global
        .offset:         112
        .size:           8
        .value_kind:     global_buffer
      - .offset:         120
        .size:           4
        .value_kind:     by_value
      - .offset:         124
        .size:           4
        .value_kind:     by_value
      - .offset:         128
        .size:           4
        .value_kind:     by_value
      - .offset:         132
        .size:           4
        .value_kind:     by_value
      - .offset:         136
        .size:           4
        .value_kind:     by_value
      - .offset:         144
        .size:           4
        .value_kind:     hidden_block_count_x
      - .offset:         148
        .size:           4
        .value_kind:     hidden_block_count_y
      - .offset:         152
        .size:           4
        .value_kind:     hidden_block_count_z
      - .offset:         156
        .size:           2
        .value_kind:     hidden_group_size_x
      - .offset:         158
        .size:           2
        .value_kind:     hidden_group_size_y
      - .offset:         160
        .size:           2
        .value_kind:     hidden_group_size_z
      - .offset:         162
        .size:           2
        .value_kind:     hidden_remainder_x
      - .offset:         164
        .size:           2
        .value_kind:     hidden_remainder_y
      - .offset:         166
        .size:           2
        .value_kind:     hidden_remainder_z
      - .offset:         184
        .size:           8
        .value_kind:     hidden_global_offset_x
      - .offset:         192
        .size:           8
        .value_kind:     hidden_global_offset_y
      - .offset:         200
        .size:           8
        .value_kind:     hidden_global_offset_z
      - .offset:         208
        .size:           2
        .value_kind:     hidden_grid_dims
      - .offset:         264
        .size:           4
        .value_kind:     hidden_dynamic_lds_size
    .group_segment_fixed_size: 160
    .kernarg_segment_align: 8
    .kernarg_segment_size: 400
    .language:       OpenCL C
    .language_version:
      - 2
      - 0
    .max_flat_workgroup_size: 1024
    .name:           _ZN4vllm25paged_attention_v2_kernelIttLi64ELi32ELi128ELNS_18Fp8KVCacheDataTypeE0ELb1ELi512EEEvPfS2_PT_PKS3_PKT0_S9_ifPKiSB_iPKfiiiSD_SD_iiiii
    .private_segment_fixed_size: 0
    .sgpr_count:     46
    .sgpr_spill_count: 0
    .symbol:         _ZN4vllm25paged_attention_v2_kernelIttLi64ELi32ELi128ELNS_18Fp8KVCacheDataTypeE0ELb1ELi512EEEvPfS2_PT_PKS3_PKT0_S9_ifPKiSB_iPKfiiiSD_SD_iiiii.kd
    .uniform_work_group_size: 1
    .uses_dynamic_stack: false
    .vgpr_count:     126
    .vgpr_spill_count: 0
    .wavefront_size: 32
    .workgroup_processor_mode: 1
  - .args:
      - .actual_access:  write_only
        .address_space:  global
        .offset:         0
        .size:           8
        .value_kind:     global_buffer
      - .actual_access:  write_only
        .address_space:  global
        .offset:         8
        .size:           8
        .value_kind:     global_buffer
      - .actual_access:  write_only
        .address_space:  global
        .offset:         16
        .size:           8
        .value_kind:     global_buffer
      - .actual_access:  read_only
        .address_space:  global
        .offset:         24
        .size:           8
        .value_kind:     global_buffer
      - .actual_access:  read_only
        .address_space:  global
        .offset:         32
        .size:           8
        .value_kind:     global_buffer
      - .actual_access:  read_only
        .address_space:  global
        .offset:         40
        .size:           8
        .value_kind:     global_buffer
      - .offset:         48
        .size:           4
        .value_kind:     by_value
      - .offset:         52
        .size:           4
        .value_kind:     by_value
      - .actual_access:  read_only
        .address_space:  global
        .offset:         56
        .size:           8
        .value_kind:     global_buffer
      - .actual_access:  read_only
        .address_space:  global
        .offset:         64
        .size:           8
        .value_kind:     global_buffer
      - .offset:         72
        .size:           4
        .value_kind:     by_value
      - .actual_access:  read_only
        .address_space:  global
        .offset:         80
        .size:           8
        .value_kind:     global_buffer
      - .offset:         88
        .size:           4
        .value_kind:     by_value
      - .offset:         92
        .size:           4
        .value_kind:     by_value
      - .offset:         96
        .size:           4
        .value_kind:     by_value
      - .address_space:  global
        .offset:         104
        .size:           8
        .value_kind:     global_buffer
      - .address_space:  global
        .offset:         112
        .size:           8
        .value_kind:     global_buffer
      - .offset:         120
        .size:           4
        .value_kind:     by_value
      - .offset:         124
        .size:           4
        .value_kind:     by_value
      - .offset:         128
        .size:           4
        .value_kind:     by_value
      - .offset:         132
        .size:           4
        .value_kind:     by_value
      - .offset:         136
        .size:           4
        .value_kind:     by_value
      - .offset:         144
        .size:           4
        .value_kind:     hidden_block_count_x
      - .offset:         148
        .size:           4
        .value_kind:     hidden_block_count_y
      - .offset:         152
        .size:           4
        .value_kind:     hidden_block_count_z
      - .offset:         156
        .size:           2
        .value_kind:     hidden_group_size_x
      - .offset:         158
        .size:           2
        .value_kind:     hidden_group_size_y
      - .offset:         160
        .size:           2
        .value_kind:     hidden_group_size_z
      - .offset:         162
        .size:           2
        .value_kind:     hidden_remainder_x
      - .offset:         164
        .size:           2
        .value_kind:     hidden_remainder_y
      - .offset:         166
        .size:           2
        .value_kind:     hidden_remainder_z
      - .offset:         184
        .size:           8
        .value_kind:     hidden_global_offset_x
      - .offset:         192
        .size:           8
        .value_kind:     hidden_global_offset_y
      - .offset:         200
        .size:           8
        .value_kind:     hidden_global_offset_z
      - .offset:         208
        .size:           2
        .value_kind:     hidden_grid_dims
      - .offset:         264
        .size:           4
        .value_kind:     hidden_dynamic_lds_size
    .group_segment_fixed_size: 192
    .kernarg_segment_align: 8
    .kernarg_segment_size: 400
    .language:       OpenCL C
    .language_version:
      - 2
      - 0
    .max_flat_workgroup_size: 1024
    .name:           _ZN4vllm25paged_attention_v2_kernelIttLi80ELi32ELi128ELNS_18Fp8KVCacheDataTypeE0ELb1ELi512EEEvPfS2_PT_PKS3_PKT0_S9_ifPKiSB_iPKfiiiSD_SD_iiiii
    .private_segment_fixed_size: 0
    .sgpr_count:     48
    .sgpr_spill_count: 0
    .symbol:         _ZN4vllm25paged_attention_v2_kernelIttLi80ELi32ELi128ELNS_18Fp8KVCacheDataTypeE0ELb1ELi512EEEvPfS2_PT_PKS3_PKT0_S9_ifPKiSB_iPKfiiiSD_SD_iiiii.kd
    .uniform_work_group_size: 1
    .uses_dynamic_stack: false
    .vgpr_count:     125
    .vgpr_spill_count: 0
    .wavefront_size: 32
    .workgroup_processor_mode: 1
  - .args:
      - .actual_access:  write_only
        .address_space:  global
        .offset:         0
        .size:           8
        .value_kind:     global_buffer
      - .actual_access:  write_only
        .address_space:  global
        .offset:         8
        .size:           8
        .value_kind:     global_buffer
      - .actual_access:  write_only
        .address_space:  global
        .offset:         16
        .size:           8
        .value_kind:     global_buffer
      - .actual_access:  read_only
        .address_space:  global
        .offset:         24
        .size:           8
        .value_kind:     global_buffer
      - .actual_access:  read_only
        .address_space:  global
        .offset:         32
        .size:           8
        .value_kind:     global_buffer
      - .actual_access:  read_only
        .address_space:  global
        .offset:         40
        .size:           8
        .value_kind:     global_buffer
      - .offset:         48
        .size:           4
        .value_kind:     by_value
      - .offset:         52
        .size:           4
        .value_kind:     by_value
      - .actual_access:  read_only
        .address_space:  global
        .offset:         56
        .size:           8
        .value_kind:     global_buffer
      - .actual_access:  read_only
        .address_space:  global
        .offset:         64
        .size:           8
        .value_kind:     global_buffer
      - .offset:         72
        .size:           4
        .value_kind:     by_value
      - .actual_access:  read_only
        .address_space:  global
        .offset:         80
        .size:           8
        .value_kind:     global_buffer
      - .offset:         88
        .size:           4
        .value_kind:     by_value
      - .offset:         92
        .size:           4
        .value_kind:     by_value
      - .offset:         96
        .size:           4
        .value_kind:     by_value
      - .address_space:  global
        .offset:         104
        .size:           8
        .value_kind:     global_buffer
      - .address_space:  global
        .offset:         112
        .size:           8
        .value_kind:     global_buffer
      - .offset:         120
        .size:           4
        .value_kind:     by_value
      - .offset:         124
        .size:           4
        .value_kind:     by_value
      - .offset:         128
        .size:           4
        .value_kind:     by_value
      - .offset:         132
        .size:           4
        .value_kind:     by_value
      - .offset:         136
        .size:           4
        .value_kind:     by_value
      - .offset:         144
        .size:           4
        .value_kind:     hidden_block_count_x
      - .offset:         148
        .size:           4
        .value_kind:     hidden_block_count_y
      - .offset:         152
        .size:           4
        .value_kind:     hidden_block_count_z
      - .offset:         156
        .size:           2
        .value_kind:     hidden_group_size_x
      - .offset:         158
        .size:           2
        .value_kind:     hidden_group_size_y
      - .offset:         160
        .size:           2
        .value_kind:     hidden_group_size_z
      - .offset:         162
        .size:           2
        .value_kind:     hidden_remainder_x
      - .offset:         164
        .size:           2
        .value_kind:     hidden_remainder_y
      - .offset:         166
        .size:           2
        .value_kind:     hidden_remainder_z
      - .offset:         184
        .size:           8
        .value_kind:     hidden_global_offset_x
      - .offset:         192
        .size:           8
        .value_kind:     hidden_global_offset_y
      - .offset:         200
        .size:           8
        .value_kind:     hidden_global_offset_z
      - .offset:         208
        .size:           2
        .value_kind:     hidden_grid_dims
      - .offset:         264
        .size:           4
        .value_kind:     hidden_dynamic_lds_size
    .group_segment_fixed_size: 224
    .kernarg_segment_align: 8
    .kernarg_segment_size: 400
    .language:       OpenCL C
    .language_version:
      - 2
      - 0
    .max_flat_workgroup_size: 1024
    .name:           _ZN4vllm25paged_attention_v2_kernelIttLi96ELi32ELi128ELNS_18Fp8KVCacheDataTypeE0ELb1ELi512EEEvPfS2_PT_PKS3_PKT0_S9_ifPKiSB_iPKfiiiSD_SD_iiiii
    .private_segment_fixed_size: 0
    .sgpr_count:     46
    .sgpr_spill_count: 0
    .symbol:         _ZN4vllm25paged_attention_v2_kernelIttLi96ELi32ELi128ELNS_18Fp8KVCacheDataTypeE0ELb1ELi512EEEvPfS2_PT_PKS3_PKT0_S9_ifPKiSB_iPKfiiiSD_SD_iiiii.kd
    .uniform_work_group_size: 1
    .uses_dynamic_stack: false
    .vgpr_count:     155
    .vgpr_spill_count: 0
    .wavefront_size: 32
    .workgroup_processor_mode: 1
  - .args:
      - .actual_access:  write_only
        .address_space:  global
        .offset:         0
        .size:           8
        .value_kind:     global_buffer
      - .actual_access:  write_only
        .address_space:  global
        .offset:         8
        .size:           8
        .value_kind:     global_buffer
      - .actual_access:  write_only
        .address_space:  global
        .offset:         16
        .size:           8
        .value_kind:     global_buffer
      - .actual_access:  read_only
        .address_space:  global
        .offset:         24
        .size:           8
        .value_kind:     global_buffer
      - .actual_access:  read_only
        .address_space:  global
        .offset:         32
        .size:           8
        .value_kind:     global_buffer
      - .actual_access:  read_only
        .address_space:  global
        .offset:         40
        .size:           8
        .value_kind:     global_buffer
      - .offset:         48
        .size:           4
        .value_kind:     by_value
      - .offset:         52
        .size:           4
        .value_kind:     by_value
      - .actual_access:  read_only
        .address_space:  global
        .offset:         56
        .size:           8
        .value_kind:     global_buffer
      - .actual_access:  read_only
        .address_space:  global
        .offset:         64
        .size:           8
        .value_kind:     global_buffer
      - .offset:         72
        .size:           4
        .value_kind:     by_value
      - .actual_access:  read_only
        .address_space:  global
        .offset:         80
        .size:           8
        .value_kind:     global_buffer
      - .offset:         88
        .size:           4
        .value_kind:     by_value
      - .offset:         92
        .size:           4
        .value_kind:     by_value
      - .offset:         96
        .size:           4
        .value_kind:     by_value
      - .address_space:  global
        .offset:         104
        .size:           8
        .value_kind:     global_buffer
      - .address_space:  global
        .offset:         112
        .size:           8
        .value_kind:     global_buffer
      - .offset:         120
        .size:           4
        .value_kind:     by_value
      - .offset:         124
        .size:           4
        .value_kind:     by_value
      - .offset:         128
        .size:           4
        .value_kind:     by_value
      - .offset:         132
        .size:           4
        .value_kind:     by_value
      - .offset:         136
        .size:           4
        .value_kind:     by_value
      - .offset:         144
        .size:           4
        .value_kind:     hidden_block_count_x
      - .offset:         148
        .size:           4
        .value_kind:     hidden_block_count_y
      - .offset:         152
        .size:           4
        .value_kind:     hidden_block_count_z
      - .offset:         156
        .size:           2
        .value_kind:     hidden_group_size_x
      - .offset:         158
        .size:           2
        .value_kind:     hidden_group_size_y
      - .offset:         160
        .size:           2
        .value_kind:     hidden_group_size_z
      - .offset:         162
        .size:           2
        .value_kind:     hidden_remainder_x
      - .offset:         164
        .size:           2
        .value_kind:     hidden_remainder_y
      - .offset:         166
        .size:           2
        .value_kind:     hidden_remainder_z
      - .offset:         184
        .size:           8
        .value_kind:     hidden_global_offset_x
      - .offset:         192
        .size:           8
        .value_kind:     hidden_global_offset_y
      - .offset:         200
        .size:           8
        .value_kind:     hidden_global_offset_z
      - .offset:         208
        .size:           2
        .value_kind:     hidden_grid_dims
      - .offset:         264
        .size:           4
        .value_kind:     hidden_dynamic_lds_size
    .group_segment_fixed_size: 256
    .kernarg_segment_align: 8
    .kernarg_segment_size: 400
    .language:       OpenCL C
    .language_version:
      - 2
      - 0
    .max_flat_workgroup_size: 1024
    .name:           _ZN4vllm25paged_attention_v2_kernelIttLi112ELi32ELi128ELNS_18Fp8KVCacheDataTypeE0ELb1ELi512EEEvPfS2_PT_PKS3_PKT0_S9_ifPKiSB_iPKfiiiSD_SD_iiiii
    .private_segment_fixed_size: 0
    .sgpr_count:     46
    .sgpr_spill_count: 0
    .symbol:         _ZN4vllm25paged_attention_v2_kernelIttLi112ELi32ELi128ELNS_18Fp8KVCacheDataTypeE0ELb1ELi512EEEvPfS2_PT_PKS3_PKT0_S9_ifPKiSB_iPKfiiiSD_SD_iiiii.kd
    .uniform_work_group_size: 1
    .uses_dynamic_stack: false
    .vgpr_count:     180
    .vgpr_spill_count: 0
    .wavefront_size: 32
    .workgroup_processor_mode: 1
  - .args:
      - .actual_access:  write_only
        .address_space:  global
        .offset:         0
        .size:           8
        .value_kind:     global_buffer
      - .actual_access:  write_only
        .address_space:  global
        .offset:         8
        .size:           8
        .value_kind:     global_buffer
      - .actual_access:  write_only
        .address_space:  global
        .offset:         16
        .size:           8
        .value_kind:     global_buffer
      - .actual_access:  read_only
        .address_space:  global
        .offset:         24
        .size:           8
        .value_kind:     global_buffer
      - .actual_access:  read_only
        .address_space:  global
        .offset:         32
        .size:           8
        .value_kind:     global_buffer
      - .actual_access:  read_only
        .address_space:  global
        .offset:         40
        .size:           8
        .value_kind:     global_buffer
      - .offset:         48
        .size:           4
        .value_kind:     by_value
      - .offset:         52
        .size:           4
        .value_kind:     by_value
      - .actual_access:  read_only
        .address_space:  global
        .offset:         56
        .size:           8
        .value_kind:     global_buffer
      - .actual_access:  read_only
        .address_space:  global
        .offset:         64
        .size:           8
        .value_kind:     global_buffer
      - .offset:         72
        .size:           4
        .value_kind:     by_value
      - .actual_access:  read_only
        .address_space:  global
        .offset:         80
        .size:           8
        .value_kind:     global_buffer
      - .offset:         88
        .size:           4
        .value_kind:     by_value
      - .offset:         92
        .size:           4
        .value_kind:     by_value
      - .offset:         96
        .size:           4
        .value_kind:     by_value
      - .address_space:  global
        .offset:         104
        .size:           8
        .value_kind:     global_buffer
      - .address_space:  global
        .offset:         112
        .size:           8
        .value_kind:     global_buffer
      - .offset:         120
        .size:           4
        .value_kind:     by_value
      - .offset:         124
        .size:           4
        .value_kind:     by_value
      - .offset:         128
        .size:           4
        .value_kind:     by_value
      - .offset:         132
        .size:           4
        .value_kind:     by_value
      - .offset:         136
        .size:           4
        .value_kind:     by_value
      - .offset:         144
        .size:           4
        .value_kind:     hidden_block_count_x
      - .offset:         148
        .size:           4
        .value_kind:     hidden_block_count_y
      - .offset:         152
        .size:           4
        .value_kind:     hidden_block_count_z
      - .offset:         156
        .size:           2
        .value_kind:     hidden_group_size_x
      - .offset:         158
        .size:           2
        .value_kind:     hidden_group_size_y
      - .offset:         160
        .size:           2
        .value_kind:     hidden_group_size_z
      - .offset:         162
        .size:           2
        .value_kind:     hidden_remainder_x
      - .offset:         164
        .size:           2
        .value_kind:     hidden_remainder_y
      - .offset:         166
        .size:           2
        .value_kind:     hidden_remainder_z
      - .offset:         184
        .size:           8
        .value_kind:     hidden_global_offset_x
      - .offset:         192
        .size:           8
        .value_kind:     hidden_global_offset_y
      - .offset:         200
        .size:           8
        .value_kind:     hidden_global_offset_z
      - .offset:         208
        .size:           2
        .value_kind:     hidden_grid_dims
      - .offset:         264
        .size:           4
        .value_kind:     hidden_dynamic_lds_size
    .group_segment_fixed_size: 272
    .kernarg_segment_align: 8
    .kernarg_segment_size: 400
    .language:       OpenCL C
    .language_version:
      - 2
      - 0
    .max_flat_workgroup_size: 1024
    .name:           _ZN4vllm25paged_attention_v2_kernelIttLi120ELi32ELi128ELNS_18Fp8KVCacheDataTypeE0ELb1ELi512EEEvPfS2_PT_PKS3_PKT0_S9_ifPKiSB_iPKfiiiSD_SD_iiiii
    .private_segment_fixed_size: 0
    .sgpr_count:     46
    .sgpr_spill_count: 0
    .symbol:         _ZN4vllm25paged_attention_v2_kernelIttLi120ELi32ELi128ELNS_18Fp8KVCacheDataTypeE0ELb1ELi512EEEvPfS2_PT_PKS3_PKT0_S9_ifPKiSB_iPKfiiiSD_SD_iiiii.kd
    .uniform_work_group_size: 1
    .uses_dynamic_stack: false
    .vgpr_count:     100
    .vgpr_spill_count: 0
    .wavefront_size: 32
    .workgroup_processor_mode: 1
  - .args:
      - .actual_access:  write_only
        .address_space:  global
        .offset:         0
        .size:           8
        .value_kind:     global_buffer
      - .actual_access:  write_only
        .address_space:  global
        .offset:         8
        .size:           8
        .value_kind:     global_buffer
      - .actual_access:  write_only
        .address_space:  global
        .offset:         16
        .size:           8
        .value_kind:     global_buffer
      - .actual_access:  read_only
        .address_space:  global
        .offset:         24
        .size:           8
        .value_kind:     global_buffer
      - .actual_access:  read_only
        .address_space:  global
        .offset:         32
        .size:           8
        .value_kind:     global_buffer
      - .actual_access:  read_only
        .address_space:  global
        .offset:         40
        .size:           8
        .value_kind:     global_buffer
      - .offset:         48
        .size:           4
        .value_kind:     by_value
      - .offset:         52
        .size:           4
        .value_kind:     by_value
      - .actual_access:  read_only
        .address_space:  global
        .offset:         56
        .size:           8
        .value_kind:     global_buffer
      - .actual_access:  read_only
        .address_space:  global
        .offset:         64
        .size:           8
        .value_kind:     global_buffer
      - .offset:         72
        .size:           4
        .value_kind:     by_value
      - .actual_access:  read_only
        .address_space:  global
        .offset:         80
        .size:           8
        .value_kind:     global_buffer
      - .offset:         88
        .size:           4
        .value_kind:     by_value
      - .offset:         92
        .size:           4
        .value_kind:     by_value
      - .offset:         96
        .size:           4
        .value_kind:     by_value
      - .address_space:  global
        .offset:         104
        .size:           8
        .value_kind:     global_buffer
      - .address_space:  global
        .offset:         112
        .size:           8
        .value_kind:     global_buffer
      - .offset:         120
        .size:           4
        .value_kind:     by_value
      - .offset:         124
        .size:           4
        .value_kind:     by_value
      - .offset:         128
        .size:           4
        .value_kind:     by_value
      - .offset:         132
        .size:           4
        .value_kind:     by_value
      - .offset:         136
        .size:           4
        .value_kind:     by_value
      - .offset:         144
        .size:           4
        .value_kind:     hidden_block_count_x
      - .offset:         148
        .size:           4
        .value_kind:     hidden_block_count_y
      - .offset:         152
        .size:           4
        .value_kind:     hidden_block_count_z
      - .offset:         156
        .size:           2
        .value_kind:     hidden_group_size_x
      - .offset:         158
        .size:           2
        .value_kind:     hidden_group_size_y
      - .offset:         160
        .size:           2
        .value_kind:     hidden_group_size_z
      - .offset:         162
        .size:           2
        .value_kind:     hidden_remainder_x
      - .offset:         164
        .size:           2
        .value_kind:     hidden_remainder_y
      - .offset:         166
        .size:           2
        .value_kind:     hidden_remainder_z
      - .offset:         184
        .size:           8
        .value_kind:     hidden_global_offset_x
      - .offset:         192
        .size:           8
        .value_kind:     hidden_global_offset_y
      - .offset:         200
        .size:           8
        .value_kind:     hidden_global_offset_z
      - .offset:         208
        .size:           2
        .value_kind:     hidden_grid_dims
      - .offset:         264
        .size:           4
        .value_kind:     hidden_dynamic_lds_size
    .group_segment_fixed_size: 288
    .kernarg_segment_align: 8
    .kernarg_segment_size: 400
    .language:       OpenCL C
    .language_version:
      - 2
      - 0
    .max_flat_workgroup_size: 1024
    .name:           _ZN4vllm25paged_attention_v2_kernelIttLi128ELi32ELi128ELNS_18Fp8KVCacheDataTypeE0ELb1ELi512EEEvPfS2_PT_PKS3_PKT0_S9_ifPKiSB_iPKfiiiSD_SD_iiiii
    .private_segment_fixed_size: 0
    .sgpr_count:     46
    .sgpr_spill_count: 0
    .symbol:         _ZN4vllm25paged_attention_v2_kernelIttLi128ELi32ELi128ELNS_18Fp8KVCacheDataTypeE0ELb1ELi512EEEvPfS2_PT_PKS3_PKT0_S9_ifPKiSB_iPKfiiiSD_SD_iiiii.kd
    .uniform_work_group_size: 1
    .uses_dynamic_stack: false
    .vgpr_count:     102
    .vgpr_spill_count: 0
    .wavefront_size: 32
    .workgroup_processor_mode: 1
  - .args:
      - .actual_access:  write_only
        .address_space:  global
        .offset:         0
        .size:           8
        .value_kind:     global_buffer
      - .actual_access:  write_only
        .address_space:  global
        .offset:         8
        .size:           8
        .value_kind:     global_buffer
      - .actual_access:  write_only
        .address_space:  global
        .offset:         16
        .size:           8
        .value_kind:     global_buffer
      - .actual_access:  read_only
        .address_space:  global
        .offset:         24
        .size:           8
        .value_kind:     global_buffer
      - .actual_access:  read_only
        .address_space:  global
        .offset:         32
        .size:           8
        .value_kind:     global_buffer
      - .actual_access:  read_only
        .address_space:  global
        .offset:         40
        .size:           8
        .value_kind:     global_buffer
      - .offset:         48
        .size:           4
        .value_kind:     by_value
      - .offset:         52
        .size:           4
        .value_kind:     by_value
      - .actual_access:  read_only
        .address_space:  global
        .offset:         56
        .size:           8
        .value_kind:     global_buffer
      - .actual_access:  read_only
        .address_space:  global
        .offset:         64
        .size:           8
        .value_kind:     global_buffer
      - .offset:         72
        .size:           4
        .value_kind:     by_value
      - .address_space:  global
        .offset:         80
        .size:           8
        .value_kind:     global_buffer
      - .offset:         88
        .size:           4
        .value_kind:     by_value
      - .offset:         92
        .size:           4
        .value_kind:     by_value
      - .offset:         96
        .size:           4
        .value_kind:     by_value
      - .address_space:  global
        .offset:         104
        .size:           8
        .value_kind:     global_buffer
      - .address_space:  global
        .offset:         112
        .size:           8
        .value_kind:     global_buffer
      - .offset:         120
        .size:           4
        .value_kind:     by_value
      - .offset:         124
        .size:           4
        .value_kind:     by_value
      - .offset:         128
        .size:           4
        .value_kind:     by_value
      - .offset:         132
        .size:           4
        .value_kind:     by_value
      - .offset:         136
        .size:           4
        .value_kind:     by_value
      - .offset:         144
        .size:           4
        .value_kind:     hidden_block_count_x
      - .offset:         148
        .size:           4
        .value_kind:     hidden_block_count_y
      - .offset:         152
        .size:           4
        .value_kind:     hidden_block_count_z
      - .offset:         156
        .size:           2
        .value_kind:     hidden_group_size_x
      - .offset:         158
        .size:           2
        .value_kind:     hidden_group_size_y
      - .offset:         160
        .size:           2
        .value_kind:     hidden_group_size_z
      - .offset:         162
        .size:           2
        .value_kind:     hidden_remainder_x
      - .offset:         164
        .size:           2
        .value_kind:     hidden_remainder_y
      - .offset:         166
        .size:           2
        .value_kind:     hidden_remainder_z
      - .offset:         184
        .size:           8
        .value_kind:     hidden_global_offset_x
      - .offset:         192
        .size:           8
        .value_kind:     hidden_global_offset_y
      - .offset:         200
        .size:           8
        .value_kind:     hidden_global_offset_z
      - .offset:         208
        .size:           2
        .value_kind:     hidden_grid_dims
      - .offset:         264
        .size:           4
        .value_kind:     hidden_dynamic_lds_size
    .group_segment_fixed_size: 416
    .kernarg_segment_align: 8
    .kernarg_segment_size: 400
    .language:       OpenCL C
    .language_version:
      - 2
      - 0
    .max_flat_workgroup_size: 1024
    .name:           _ZN4vllm25paged_attention_v2_kernelIttLi192ELi32ELi128ELNS_18Fp8KVCacheDataTypeE0ELb1ELi512EEEvPfS2_PT_PKS3_PKT0_S9_ifPKiSB_iPKfiiiSD_SD_iiiii
    .private_segment_fixed_size: 208
    .sgpr_count:     42
    .sgpr_spill_count: 0
    .symbol:         _ZN4vllm25paged_attention_v2_kernelIttLi192ELi32ELi128ELNS_18Fp8KVCacheDataTypeE0ELb1ELi512EEEvPfS2_PT_PKS3_PKT0_S9_ifPKiSB_iPKfiiiSD_SD_iiiii.kd
    .uniform_work_group_size: 1
    .uses_dynamic_stack: false
    .vgpr_count:     184
    .vgpr_spill_count: 0
    .wavefront_size: 32
    .workgroup_processor_mode: 1
  - .args:
      - .actual_access:  write_only
        .address_space:  global
        .offset:         0
        .size:           8
        .value_kind:     global_buffer
      - .actual_access:  write_only
        .address_space:  global
        .offset:         8
        .size:           8
        .value_kind:     global_buffer
      - .actual_access:  write_only
        .address_space:  global
        .offset:         16
        .size:           8
        .value_kind:     global_buffer
      - .actual_access:  read_only
        .address_space:  global
        .offset:         24
        .size:           8
        .value_kind:     global_buffer
      - .actual_access:  read_only
        .address_space:  global
        .offset:         32
        .size:           8
        .value_kind:     global_buffer
      - .actual_access:  read_only
        .address_space:  global
        .offset:         40
        .size:           8
        .value_kind:     global_buffer
      - .offset:         48
        .size:           4
        .value_kind:     by_value
      - .offset:         52
        .size:           4
        .value_kind:     by_value
      - .actual_access:  read_only
        .address_space:  global
        .offset:         56
        .size:           8
        .value_kind:     global_buffer
      - .actual_access:  read_only
        .address_space:  global
        .offset:         64
        .size:           8
        .value_kind:     global_buffer
      - .offset:         72
        .size:           4
        .value_kind:     by_value
      - .address_space:  global
        .offset:         80
        .size:           8
        .value_kind:     global_buffer
      - .offset:         88
        .size:           4
        .value_kind:     by_value
      - .offset:         92
        .size:           4
        .value_kind:     by_value
      - .offset:         96
        .size:           4
        .value_kind:     by_value
      - .address_space:  global
        .offset:         104
        .size:           8
        .value_kind:     global_buffer
      - .address_space:  global
        .offset:         112
        .size:           8
        .value_kind:     global_buffer
      - .offset:         120
        .size:           4
        .value_kind:     by_value
      - .offset:         124
        .size:           4
        .value_kind:     by_value
      - .offset:         128
        .size:           4
        .value_kind:     by_value
      - .offset:         132
        .size:           4
        .value_kind:     by_value
      - .offset:         136
        .size:           4
        .value_kind:     by_value
      - .offset:         144
        .size:           4
        .value_kind:     hidden_block_count_x
      - .offset:         148
        .size:           4
        .value_kind:     hidden_block_count_y
      - .offset:         152
        .size:           4
        .value_kind:     hidden_block_count_z
      - .offset:         156
        .size:           2
        .value_kind:     hidden_group_size_x
      - .offset:         158
        .size:           2
        .value_kind:     hidden_group_size_y
      - .offset:         160
        .size:           2
        .value_kind:     hidden_group_size_z
      - .offset:         162
        .size:           2
        .value_kind:     hidden_remainder_x
      - .offset:         164
        .size:           2
        .value_kind:     hidden_remainder_y
      - .offset:         166
        .size:           2
        .value_kind:     hidden_remainder_z
      - .offset:         184
        .size:           8
        .value_kind:     hidden_global_offset_x
      - .offset:         192
        .size:           8
        .value_kind:     hidden_global_offset_y
      - .offset:         200
        .size:           8
        .value_kind:     hidden_global_offset_z
      - .offset:         208
        .size:           2
        .value_kind:     hidden_grid_dims
      - .offset:         264
        .size:           4
        .value_kind:     hidden_dynamic_lds_size
    .group_segment_fixed_size: 544
    .kernarg_segment_align: 8
    .kernarg_segment_size: 400
    .language:       OpenCL C
    .language_version:
      - 2
      - 0
    .max_flat_workgroup_size: 1024
    .name:           _ZN4vllm25paged_attention_v2_kernelIttLi256ELi32ELi128ELNS_18Fp8KVCacheDataTypeE0ELb1ELi512EEEvPfS2_PT_PKS3_PKT0_S9_ifPKiSB_iPKfiiiSD_SD_iiiii
    .private_segment_fixed_size: 328
    .sgpr_count:     42
    .sgpr_spill_count: 0
    .symbol:         _ZN4vllm25paged_attention_v2_kernelIttLi256ELi32ELi128ELNS_18Fp8KVCacheDataTypeE0ELb1ELi512EEEvPfS2_PT_PKS3_PKT0_S9_ifPKiSB_iPKfiiiSD_SD_iiiii.kd
    .uniform_work_group_size: 1
    .uses_dynamic_stack: false
    .vgpr_count:     192
    .vgpr_spill_count: 0
    .wavefront_size: 32
    .workgroup_processor_mode: 1
  - .args:
      - .actual_access:  write_only
        .address_space:  global
        .offset:         0
        .size:           8
        .value_kind:     global_buffer
      - .actual_access:  write_only
        .address_space:  global
        .offset:         8
        .size:           8
        .value_kind:     global_buffer
      - .actual_access:  write_only
        .address_space:  global
        .offset:         16
        .size:           8
        .value_kind:     global_buffer
      - .actual_access:  read_only
        .address_space:  global
        .offset:         24
        .size:           8
        .value_kind:     global_buffer
      - .actual_access:  read_only
        .address_space:  global
        .offset:         32
        .size:           8
        .value_kind:     global_buffer
      - .actual_access:  read_only
        .address_space:  global
        .offset:         40
        .size:           8
        .value_kind:     global_buffer
      - .offset:         48
        .size:           4
        .value_kind:     by_value
      - .offset:         52
        .size:           4
        .value_kind:     by_value
      - .actual_access:  read_only
        .address_space:  global
        .offset:         56
        .size:           8
        .value_kind:     global_buffer
      - .actual_access:  read_only
        .address_space:  global
        .offset:         64
        .size:           8
        .value_kind:     global_buffer
      - .offset:         72
        .size:           4
        .value_kind:     by_value
      - .actual_access:  read_only
        .address_space:  global
        .offset:         80
        .size:           8
        .value_kind:     global_buffer
      - .offset:         88
        .size:           4
        .value_kind:     by_value
      - .offset:         92
        .size:           4
        .value_kind:     by_value
      - .offset:         96
        .size:           4
        .value_kind:     by_value
      - .address_space:  global
        .offset:         104
        .size:           8
        .value_kind:     global_buffer
      - .address_space:  global
        .offset:         112
        .size:           8
        .value_kind:     global_buffer
      - .offset:         120
        .size:           4
        .value_kind:     by_value
      - .offset:         124
        .size:           4
        .value_kind:     by_value
      - .offset:         128
        .size:           4
        .value_kind:     by_value
      - .offset:         132
        .size:           4
        .value_kind:     by_value
      - .offset:         136
        .size:           4
        .value_kind:     by_value
      - .offset:         144
        .size:           4
        .value_kind:     hidden_block_count_x
      - .offset:         148
        .size:           4
        .value_kind:     hidden_block_count_y
      - .offset:         152
        .size:           4
        .value_kind:     hidden_block_count_z
      - .offset:         156
        .size:           2
        .value_kind:     hidden_group_size_x
      - .offset:         158
        .size:           2
        .value_kind:     hidden_group_size_y
      - .offset:         160
        .size:           2
        .value_kind:     hidden_group_size_z
      - .offset:         162
        .size:           2
        .value_kind:     hidden_remainder_x
      - .offset:         164
        .size:           2
        .value_kind:     hidden_remainder_y
      - .offset:         166
        .size:           2
        .value_kind:     hidden_remainder_z
      - .offset:         184
        .size:           8
        .value_kind:     hidden_global_offset_x
      - .offset:         192
        .size:           8
        .value_kind:     hidden_global_offset_y
      - .offset:         200
        .size:           8
        .value_kind:     hidden_global_offset_z
      - .offset:         208
        .size:           2
        .value_kind:     hidden_grid_dims
      - .offset:         264
        .size:           4
        .value_kind:     hidden_dynamic_lds_size
    .group_segment_fixed_size: 96
    .kernarg_segment_align: 8
    .kernarg_segment_size: 400
    .language:       OpenCL C
    .language_version:
      - 2
      - 0
    .max_flat_workgroup_size: 1024
    .name:           _ZN4vllm25paged_attention_v2_kernelIttLi32ELi32ELi128ELNS_18Fp8KVCacheDataTypeE0ELb0ELi512EEEvPfS2_PT_PKS3_PKT0_S9_ifPKiSB_iPKfiiiSD_SD_iiiii
    .private_segment_fixed_size: 0
    .sgpr_count:     40
    .sgpr_spill_count: 0
    .symbol:         _ZN4vllm25paged_attention_v2_kernelIttLi32ELi32ELi128ELNS_18Fp8KVCacheDataTypeE0ELb0ELi512EEEvPfS2_PT_PKS3_PKT0_S9_ifPKiSB_iPKfiiiSD_SD_iiiii.kd
    .uniform_work_group_size: 1
    .uses_dynamic_stack: false
    .vgpr_count:     71
    .vgpr_spill_count: 0
    .wavefront_size: 32
    .workgroup_processor_mode: 1
  - .args:
      - .actual_access:  write_only
        .address_space:  global
        .offset:         0
        .size:           8
        .value_kind:     global_buffer
      - .actual_access:  write_only
        .address_space:  global
        .offset:         8
        .size:           8
        .value_kind:     global_buffer
      - .actual_access:  write_only
        .address_space:  global
        .offset:         16
        .size:           8
        .value_kind:     global_buffer
      - .actual_access:  read_only
        .address_space:  global
        .offset:         24
        .size:           8
        .value_kind:     global_buffer
      - .actual_access:  read_only
        .address_space:  global
        .offset:         32
        .size:           8
        .value_kind:     global_buffer
      - .actual_access:  read_only
        .address_space:  global
        .offset:         40
        .size:           8
        .value_kind:     global_buffer
      - .offset:         48
        .size:           4
        .value_kind:     by_value
      - .offset:         52
        .size:           4
        .value_kind:     by_value
      - .actual_access:  read_only
        .address_space:  global
        .offset:         56
        .size:           8
        .value_kind:     global_buffer
      - .actual_access:  read_only
        .address_space:  global
        .offset:         64
        .size:           8
        .value_kind:     global_buffer
      - .offset:         72
        .size:           4
        .value_kind:     by_value
      - .actual_access:  read_only
        .address_space:  global
        .offset:         80
        .size:           8
        .value_kind:     global_buffer
      - .offset:         88
        .size:           4
        .value_kind:     by_value
      - .offset:         92
        .size:           4
        .value_kind:     by_value
      - .offset:         96
        .size:           4
        .value_kind:     by_value
      - .address_space:  global
        .offset:         104
        .size:           8
        .value_kind:     global_buffer
      - .address_space:  global
        .offset:         112
        .size:           8
        .value_kind:     global_buffer
      - .offset:         120
        .size:           4
        .value_kind:     by_value
      - .offset:         124
        .size:           4
        .value_kind:     by_value
      - .offset:         128
        .size:           4
        .value_kind:     by_value
      - .offset:         132
        .size:           4
        .value_kind:     by_value
      - .offset:         136
        .size:           4
        .value_kind:     by_value
      - .offset:         144
        .size:           4
        .value_kind:     hidden_block_count_x
      - .offset:         148
        .size:           4
        .value_kind:     hidden_block_count_y
      - .offset:         152
        .size:           4
        .value_kind:     hidden_block_count_z
      - .offset:         156
        .size:           2
        .value_kind:     hidden_group_size_x
      - .offset:         158
        .size:           2
        .value_kind:     hidden_group_size_y
      - .offset:         160
        .size:           2
        .value_kind:     hidden_group_size_z
      - .offset:         162
        .size:           2
        .value_kind:     hidden_remainder_x
      - .offset:         164
        .size:           2
        .value_kind:     hidden_remainder_y
      - .offset:         166
        .size:           2
        .value_kind:     hidden_remainder_z
      - .offset:         184
        .size:           8
        .value_kind:     hidden_global_offset_x
      - .offset:         192
        .size:           8
        .value_kind:     hidden_global_offset_y
      - .offset:         200
        .size:           8
        .value_kind:     hidden_global_offset_z
      - .offset:         208
        .size:           2
        .value_kind:     hidden_grid_dims
      - .offset:         264
        .size:           4
        .value_kind:     hidden_dynamic_lds_size
    .group_segment_fixed_size: 160
    .kernarg_segment_align: 8
    .kernarg_segment_size: 400
    .language:       OpenCL C
    .language_version:
      - 2
      - 0
    .max_flat_workgroup_size: 1024
    .name:           _ZN4vllm25paged_attention_v2_kernelIttLi64ELi32ELi128ELNS_18Fp8KVCacheDataTypeE0ELb0ELi512EEEvPfS2_PT_PKS3_PKT0_S9_ifPKiSB_iPKfiiiSD_SD_iiiii
    .private_segment_fixed_size: 0
    .sgpr_count:     40
    .sgpr_spill_count: 0
    .symbol:         _ZN4vllm25paged_attention_v2_kernelIttLi64ELi32ELi128ELNS_18Fp8KVCacheDataTypeE0ELb0ELi512EEEvPfS2_PT_PKS3_PKT0_S9_ifPKiSB_iPKfiiiSD_SD_iiiii.kd
    .uniform_work_group_size: 1
    .uses_dynamic_stack: false
    .vgpr_count:     103
    .vgpr_spill_count: 0
    .wavefront_size: 32
    .workgroup_processor_mode: 1
  - .args:
      - .actual_access:  write_only
        .address_space:  global
        .offset:         0
        .size:           8
        .value_kind:     global_buffer
      - .actual_access:  write_only
        .address_space:  global
        .offset:         8
        .size:           8
        .value_kind:     global_buffer
      - .actual_access:  write_only
        .address_space:  global
        .offset:         16
        .size:           8
        .value_kind:     global_buffer
      - .actual_access:  read_only
        .address_space:  global
        .offset:         24
        .size:           8
        .value_kind:     global_buffer
      - .actual_access:  read_only
        .address_space:  global
        .offset:         32
        .size:           8
        .value_kind:     global_buffer
      - .actual_access:  read_only
        .address_space:  global
        .offset:         40
        .size:           8
        .value_kind:     global_buffer
      - .offset:         48
        .size:           4
        .value_kind:     by_value
      - .offset:         52
        .size:           4
        .value_kind:     by_value
      - .actual_access:  read_only
        .address_space:  global
        .offset:         56
        .size:           8
        .value_kind:     global_buffer
      - .actual_access:  read_only
        .address_space:  global
        .offset:         64
        .size:           8
        .value_kind:     global_buffer
      - .offset:         72
        .size:           4
        .value_kind:     by_value
      - .actual_access:  read_only
        .address_space:  global
        .offset:         80
        .size:           8
        .value_kind:     global_buffer
      - .offset:         88
        .size:           4
        .value_kind:     by_value
      - .offset:         92
        .size:           4
        .value_kind:     by_value
      - .offset:         96
        .size:           4
        .value_kind:     by_value
      - .address_space:  global
        .offset:         104
        .size:           8
        .value_kind:     global_buffer
      - .address_space:  global
        .offset:         112
        .size:           8
        .value_kind:     global_buffer
      - .offset:         120
        .size:           4
        .value_kind:     by_value
      - .offset:         124
        .size:           4
        .value_kind:     by_value
      - .offset:         128
        .size:           4
        .value_kind:     by_value
      - .offset:         132
        .size:           4
        .value_kind:     by_value
      - .offset:         136
        .size:           4
        .value_kind:     by_value
      - .offset:         144
        .size:           4
        .value_kind:     hidden_block_count_x
      - .offset:         148
        .size:           4
        .value_kind:     hidden_block_count_y
      - .offset:         152
        .size:           4
        .value_kind:     hidden_block_count_z
      - .offset:         156
        .size:           2
        .value_kind:     hidden_group_size_x
      - .offset:         158
        .size:           2
        .value_kind:     hidden_group_size_y
      - .offset:         160
        .size:           2
        .value_kind:     hidden_group_size_z
      - .offset:         162
        .size:           2
        .value_kind:     hidden_remainder_x
      - .offset:         164
        .size:           2
        .value_kind:     hidden_remainder_y
      - .offset:         166
        .size:           2
        .value_kind:     hidden_remainder_z
      - .offset:         184
        .size:           8
        .value_kind:     hidden_global_offset_x
      - .offset:         192
        .size:           8
        .value_kind:     hidden_global_offset_y
      - .offset:         200
        .size:           8
        .value_kind:     hidden_global_offset_z
      - .offset:         208
        .size:           2
        .value_kind:     hidden_grid_dims
      - .offset:         264
        .size:           4
        .value_kind:     hidden_dynamic_lds_size
    .group_segment_fixed_size: 192
    .kernarg_segment_align: 8
    .kernarg_segment_size: 400
    .language:       OpenCL C
    .language_version:
      - 2
      - 0
    .max_flat_workgroup_size: 1024
    .name:           _ZN4vllm25paged_attention_v2_kernelIttLi80ELi32ELi128ELNS_18Fp8KVCacheDataTypeE0ELb0ELi512EEEvPfS2_PT_PKS3_PKT0_S9_ifPKiSB_iPKfiiiSD_SD_iiiii
    .private_segment_fixed_size: 0
    .sgpr_count:     40
    .sgpr_spill_count: 0
    .symbol:         _ZN4vllm25paged_attention_v2_kernelIttLi80ELi32ELi128ELNS_18Fp8KVCacheDataTypeE0ELb0ELi512EEEvPfS2_PT_PKS3_PKT0_S9_ifPKiSB_iPKfiiiSD_SD_iiiii.kd
    .uniform_work_group_size: 1
    .uses_dynamic_stack: false
    .vgpr_count:     118
    .vgpr_spill_count: 0
    .wavefront_size: 32
    .workgroup_processor_mode: 1
  - .args:
      - .actual_access:  write_only
        .address_space:  global
        .offset:         0
        .size:           8
        .value_kind:     global_buffer
      - .actual_access:  write_only
        .address_space:  global
        .offset:         8
        .size:           8
        .value_kind:     global_buffer
      - .actual_access:  write_only
        .address_space:  global
        .offset:         16
        .size:           8
        .value_kind:     global_buffer
      - .actual_access:  read_only
        .address_space:  global
        .offset:         24
        .size:           8
        .value_kind:     global_buffer
      - .actual_access:  read_only
        .address_space:  global
        .offset:         32
        .size:           8
        .value_kind:     global_buffer
      - .actual_access:  read_only
        .address_space:  global
        .offset:         40
        .size:           8
        .value_kind:     global_buffer
      - .offset:         48
        .size:           4
        .value_kind:     by_value
      - .offset:         52
        .size:           4
        .value_kind:     by_value
      - .actual_access:  read_only
        .address_space:  global
        .offset:         56
        .size:           8
        .value_kind:     global_buffer
      - .actual_access:  read_only
        .address_space:  global
        .offset:         64
        .size:           8
        .value_kind:     global_buffer
      - .offset:         72
        .size:           4
        .value_kind:     by_value
      - .actual_access:  read_only
        .address_space:  global
        .offset:         80
        .size:           8
        .value_kind:     global_buffer
      - .offset:         88
        .size:           4
        .value_kind:     by_value
      - .offset:         92
        .size:           4
        .value_kind:     by_value
      - .offset:         96
        .size:           4
        .value_kind:     by_value
      - .address_space:  global
        .offset:         104
        .size:           8
        .value_kind:     global_buffer
      - .address_space:  global
        .offset:         112
        .size:           8
        .value_kind:     global_buffer
      - .offset:         120
        .size:           4
        .value_kind:     by_value
      - .offset:         124
        .size:           4
        .value_kind:     by_value
      - .offset:         128
        .size:           4
        .value_kind:     by_value
      - .offset:         132
        .size:           4
        .value_kind:     by_value
      - .offset:         136
        .size:           4
        .value_kind:     by_value
      - .offset:         144
        .size:           4
        .value_kind:     hidden_block_count_x
      - .offset:         148
        .size:           4
        .value_kind:     hidden_block_count_y
      - .offset:         152
        .size:           4
        .value_kind:     hidden_block_count_z
      - .offset:         156
        .size:           2
        .value_kind:     hidden_group_size_x
      - .offset:         158
        .size:           2
        .value_kind:     hidden_group_size_y
      - .offset:         160
        .size:           2
        .value_kind:     hidden_group_size_z
      - .offset:         162
        .size:           2
        .value_kind:     hidden_remainder_x
      - .offset:         164
        .size:           2
        .value_kind:     hidden_remainder_y
      - .offset:         166
        .size:           2
        .value_kind:     hidden_remainder_z
      - .offset:         184
        .size:           8
        .value_kind:     hidden_global_offset_x
      - .offset:         192
        .size:           8
        .value_kind:     hidden_global_offset_y
      - .offset:         200
        .size:           8
        .value_kind:     hidden_global_offset_z
      - .offset:         208
        .size:           2
        .value_kind:     hidden_grid_dims
      - .offset:         264
        .size:           4
        .value_kind:     hidden_dynamic_lds_size
    .group_segment_fixed_size: 224
    .kernarg_segment_align: 8
    .kernarg_segment_size: 400
    .language:       OpenCL C
    .language_version:
      - 2
      - 0
    .max_flat_workgroup_size: 1024
    .name:           _ZN4vllm25paged_attention_v2_kernelIttLi96ELi32ELi128ELNS_18Fp8KVCacheDataTypeE0ELb0ELi512EEEvPfS2_PT_PKS3_PKT0_S9_ifPKiSB_iPKfiiiSD_SD_iiiii
    .private_segment_fixed_size: 0
    .sgpr_count:     40
    .sgpr_spill_count: 0
    .symbol:         _ZN4vllm25paged_attention_v2_kernelIttLi96ELi32ELi128ELNS_18Fp8KVCacheDataTypeE0ELb0ELi512EEEvPfS2_PT_PKS3_PKT0_S9_ifPKiSB_iPKfiiiSD_SD_iiiii.kd
    .uniform_work_group_size: 1
    .uses_dynamic_stack: false
    .vgpr_count:     134
    .vgpr_spill_count: 0
    .wavefront_size: 32
    .workgroup_processor_mode: 1
  - .args:
      - .actual_access:  write_only
        .address_space:  global
        .offset:         0
        .size:           8
        .value_kind:     global_buffer
      - .actual_access:  write_only
        .address_space:  global
        .offset:         8
        .size:           8
        .value_kind:     global_buffer
      - .actual_access:  write_only
        .address_space:  global
        .offset:         16
        .size:           8
        .value_kind:     global_buffer
      - .actual_access:  read_only
        .address_space:  global
        .offset:         24
        .size:           8
        .value_kind:     global_buffer
      - .actual_access:  read_only
        .address_space:  global
        .offset:         32
        .size:           8
        .value_kind:     global_buffer
      - .actual_access:  read_only
        .address_space:  global
        .offset:         40
        .size:           8
        .value_kind:     global_buffer
      - .offset:         48
        .size:           4
        .value_kind:     by_value
      - .offset:         52
        .size:           4
        .value_kind:     by_value
      - .actual_access:  read_only
        .address_space:  global
        .offset:         56
        .size:           8
        .value_kind:     global_buffer
      - .actual_access:  read_only
        .address_space:  global
        .offset:         64
        .size:           8
        .value_kind:     global_buffer
      - .offset:         72
        .size:           4
        .value_kind:     by_value
      - .actual_access:  read_only
        .address_space:  global
        .offset:         80
        .size:           8
        .value_kind:     global_buffer
      - .offset:         88
        .size:           4
        .value_kind:     by_value
      - .offset:         92
        .size:           4
        .value_kind:     by_value
      - .offset:         96
        .size:           4
        .value_kind:     by_value
      - .address_space:  global
        .offset:         104
        .size:           8
        .value_kind:     global_buffer
      - .address_space:  global
        .offset:         112
        .size:           8
        .value_kind:     global_buffer
      - .offset:         120
        .size:           4
        .value_kind:     by_value
      - .offset:         124
        .size:           4
        .value_kind:     by_value
      - .offset:         128
        .size:           4
        .value_kind:     by_value
      - .offset:         132
        .size:           4
        .value_kind:     by_value
      - .offset:         136
        .size:           4
        .value_kind:     by_value
      - .offset:         144
        .size:           4
        .value_kind:     hidden_block_count_x
      - .offset:         148
        .size:           4
        .value_kind:     hidden_block_count_y
      - .offset:         152
        .size:           4
        .value_kind:     hidden_block_count_z
      - .offset:         156
        .size:           2
        .value_kind:     hidden_group_size_x
      - .offset:         158
        .size:           2
        .value_kind:     hidden_group_size_y
      - .offset:         160
        .size:           2
        .value_kind:     hidden_group_size_z
      - .offset:         162
        .size:           2
        .value_kind:     hidden_remainder_x
      - .offset:         164
        .size:           2
        .value_kind:     hidden_remainder_y
      - .offset:         166
        .size:           2
        .value_kind:     hidden_remainder_z
      - .offset:         184
        .size:           8
        .value_kind:     hidden_global_offset_x
      - .offset:         192
        .size:           8
        .value_kind:     hidden_global_offset_y
      - .offset:         200
        .size:           8
        .value_kind:     hidden_global_offset_z
      - .offset:         208
        .size:           2
        .value_kind:     hidden_grid_dims
      - .offset:         264
        .size:           4
        .value_kind:     hidden_dynamic_lds_size
    .group_segment_fixed_size: 256
    .kernarg_segment_align: 8
    .kernarg_segment_size: 400
    .language:       OpenCL C
    .language_version:
      - 2
      - 0
    .max_flat_workgroup_size: 1024
    .name:           _ZN4vllm25paged_attention_v2_kernelIttLi112ELi32ELi128ELNS_18Fp8KVCacheDataTypeE0ELb0ELi512EEEvPfS2_PT_PKS3_PKT0_S9_ifPKiSB_iPKfiiiSD_SD_iiiii
    .private_segment_fixed_size: 0
    .sgpr_count:     40
    .sgpr_spill_count: 0
    .symbol:         _ZN4vllm25paged_attention_v2_kernelIttLi112ELi32ELi128ELNS_18Fp8KVCacheDataTypeE0ELb0ELi512EEEvPfS2_PT_PKS3_PKT0_S9_ifPKiSB_iPKfiiiSD_SD_iiiii.kd
    .uniform_work_group_size: 1
    .uses_dynamic_stack: false
    .vgpr_count:     158
    .vgpr_spill_count: 0
    .wavefront_size: 32
    .workgroup_processor_mode: 1
  - .args:
      - .actual_access:  write_only
        .address_space:  global
        .offset:         0
        .size:           8
        .value_kind:     global_buffer
      - .actual_access:  write_only
        .address_space:  global
        .offset:         8
        .size:           8
        .value_kind:     global_buffer
      - .actual_access:  write_only
        .address_space:  global
        .offset:         16
        .size:           8
        .value_kind:     global_buffer
      - .actual_access:  read_only
        .address_space:  global
        .offset:         24
        .size:           8
        .value_kind:     global_buffer
      - .actual_access:  read_only
        .address_space:  global
        .offset:         32
        .size:           8
        .value_kind:     global_buffer
      - .actual_access:  read_only
        .address_space:  global
        .offset:         40
        .size:           8
        .value_kind:     global_buffer
      - .offset:         48
        .size:           4
        .value_kind:     by_value
      - .offset:         52
        .size:           4
        .value_kind:     by_value
      - .actual_access:  read_only
        .address_space:  global
        .offset:         56
        .size:           8
        .value_kind:     global_buffer
      - .actual_access:  read_only
        .address_space:  global
        .offset:         64
        .size:           8
        .value_kind:     global_buffer
      - .offset:         72
        .size:           4
        .value_kind:     by_value
      - .actual_access:  read_only
        .address_space:  global
        .offset:         80
        .size:           8
        .value_kind:     global_buffer
      - .offset:         88
        .size:           4
        .value_kind:     by_value
      - .offset:         92
        .size:           4
        .value_kind:     by_value
      - .offset:         96
        .size:           4
        .value_kind:     by_value
      - .address_space:  global
        .offset:         104
        .size:           8
        .value_kind:     global_buffer
      - .address_space:  global
        .offset:         112
        .size:           8
        .value_kind:     global_buffer
      - .offset:         120
        .size:           4
        .value_kind:     by_value
      - .offset:         124
        .size:           4
        .value_kind:     by_value
      - .offset:         128
        .size:           4
        .value_kind:     by_value
      - .offset:         132
        .size:           4
        .value_kind:     by_value
      - .offset:         136
        .size:           4
        .value_kind:     by_value
      - .offset:         144
        .size:           4
        .value_kind:     hidden_block_count_x
      - .offset:         148
        .size:           4
        .value_kind:     hidden_block_count_y
      - .offset:         152
        .size:           4
        .value_kind:     hidden_block_count_z
      - .offset:         156
        .size:           2
        .value_kind:     hidden_group_size_x
      - .offset:         158
        .size:           2
        .value_kind:     hidden_group_size_y
      - .offset:         160
        .size:           2
        .value_kind:     hidden_group_size_z
      - .offset:         162
        .size:           2
        .value_kind:     hidden_remainder_x
      - .offset:         164
        .size:           2
        .value_kind:     hidden_remainder_y
      - .offset:         166
        .size:           2
        .value_kind:     hidden_remainder_z
      - .offset:         184
        .size:           8
        .value_kind:     hidden_global_offset_x
      - .offset:         192
        .size:           8
        .value_kind:     hidden_global_offset_y
      - .offset:         200
        .size:           8
        .value_kind:     hidden_global_offset_z
      - .offset:         208
        .size:           2
        .value_kind:     hidden_grid_dims
      - .offset:         264
        .size:           4
        .value_kind:     hidden_dynamic_lds_size
    .group_segment_fixed_size: 272
    .kernarg_segment_align: 8
    .kernarg_segment_size: 400
    .language:       OpenCL C
    .language_version:
      - 2
      - 0
    .max_flat_workgroup_size: 1024
    .name:           _ZN4vllm25paged_attention_v2_kernelIttLi120ELi32ELi128ELNS_18Fp8KVCacheDataTypeE0ELb0ELi512EEEvPfS2_PT_PKS3_PKT0_S9_ifPKiSB_iPKfiiiSD_SD_iiiii
    .private_segment_fixed_size: 0
    .sgpr_count:     40
    .sgpr_spill_count: 0
    .symbol:         _ZN4vllm25paged_attention_v2_kernelIttLi120ELi32ELi128ELNS_18Fp8KVCacheDataTypeE0ELb0ELi512EEEvPfS2_PT_PKS3_PKT0_S9_ifPKiSB_iPKfiiiSD_SD_iiiii.kd
    .uniform_work_group_size: 1
    .uses_dynamic_stack: false
    .vgpr_count:     95
    .vgpr_spill_count: 0
    .wavefront_size: 32
    .workgroup_processor_mode: 1
  - .args:
      - .actual_access:  write_only
        .address_space:  global
        .offset:         0
        .size:           8
        .value_kind:     global_buffer
      - .actual_access:  write_only
        .address_space:  global
        .offset:         8
        .size:           8
        .value_kind:     global_buffer
      - .actual_access:  write_only
        .address_space:  global
        .offset:         16
        .size:           8
        .value_kind:     global_buffer
      - .actual_access:  read_only
        .address_space:  global
        .offset:         24
        .size:           8
        .value_kind:     global_buffer
      - .actual_access:  read_only
        .address_space:  global
        .offset:         32
        .size:           8
        .value_kind:     global_buffer
      - .actual_access:  read_only
        .address_space:  global
        .offset:         40
        .size:           8
        .value_kind:     global_buffer
      - .offset:         48
        .size:           4
        .value_kind:     by_value
      - .offset:         52
        .size:           4
        .value_kind:     by_value
      - .actual_access:  read_only
        .address_space:  global
        .offset:         56
        .size:           8
        .value_kind:     global_buffer
      - .actual_access:  read_only
        .address_space:  global
        .offset:         64
        .size:           8
        .value_kind:     global_buffer
      - .offset:         72
        .size:           4
        .value_kind:     by_value
      - .actual_access:  read_only
        .address_space:  global
        .offset:         80
        .size:           8
        .value_kind:     global_buffer
      - .offset:         88
        .size:           4
        .value_kind:     by_value
      - .offset:         92
        .size:           4
        .value_kind:     by_value
      - .offset:         96
        .size:           4
        .value_kind:     by_value
      - .address_space:  global
        .offset:         104
        .size:           8
        .value_kind:     global_buffer
      - .address_space:  global
        .offset:         112
        .size:           8
        .value_kind:     global_buffer
      - .offset:         120
        .size:           4
        .value_kind:     by_value
      - .offset:         124
        .size:           4
        .value_kind:     by_value
      - .offset:         128
        .size:           4
        .value_kind:     by_value
      - .offset:         132
        .size:           4
        .value_kind:     by_value
      - .offset:         136
        .size:           4
        .value_kind:     by_value
      - .offset:         144
        .size:           4
        .value_kind:     hidden_block_count_x
      - .offset:         148
        .size:           4
        .value_kind:     hidden_block_count_y
      - .offset:         152
        .size:           4
        .value_kind:     hidden_block_count_z
      - .offset:         156
        .size:           2
        .value_kind:     hidden_group_size_x
      - .offset:         158
        .size:           2
        .value_kind:     hidden_group_size_y
      - .offset:         160
        .size:           2
        .value_kind:     hidden_group_size_z
      - .offset:         162
        .size:           2
        .value_kind:     hidden_remainder_x
      - .offset:         164
        .size:           2
        .value_kind:     hidden_remainder_y
      - .offset:         166
        .size:           2
        .value_kind:     hidden_remainder_z
      - .offset:         184
        .size:           8
        .value_kind:     hidden_global_offset_x
      - .offset:         192
        .size:           8
        .value_kind:     hidden_global_offset_y
      - .offset:         200
        .size:           8
        .value_kind:     hidden_global_offset_z
      - .offset:         208
        .size:           2
        .value_kind:     hidden_grid_dims
      - .offset:         264
        .size:           4
        .value_kind:     hidden_dynamic_lds_size
    .group_segment_fixed_size: 288
    .kernarg_segment_align: 8
    .kernarg_segment_size: 400
    .language:       OpenCL C
    .language_version:
      - 2
      - 0
    .max_flat_workgroup_size: 1024
    .name:           _ZN4vllm25paged_attention_v2_kernelIttLi128ELi32ELi128ELNS_18Fp8KVCacheDataTypeE0ELb0ELi512EEEvPfS2_PT_PKS3_PKT0_S9_ifPKiSB_iPKfiiiSD_SD_iiiii
    .private_segment_fixed_size: 0
    .sgpr_count:     40
    .sgpr_spill_count: 0
    .symbol:         _ZN4vllm25paged_attention_v2_kernelIttLi128ELi32ELi128ELNS_18Fp8KVCacheDataTypeE0ELb0ELi512EEEvPfS2_PT_PKS3_PKT0_S9_ifPKiSB_iPKfiiiSD_SD_iiiii.kd
    .uniform_work_group_size: 1
    .uses_dynamic_stack: false
    .vgpr_count:     99
    .vgpr_spill_count: 0
    .wavefront_size: 32
    .workgroup_processor_mode: 1
  - .args:
      - .actual_access:  write_only
        .address_space:  global
        .offset:         0
        .size:           8
        .value_kind:     global_buffer
      - .actual_access:  write_only
        .address_space:  global
        .offset:         8
        .size:           8
        .value_kind:     global_buffer
      - .actual_access:  write_only
        .address_space:  global
        .offset:         16
        .size:           8
        .value_kind:     global_buffer
      - .actual_access:  read_only
        .address_space:  global
        .offset:         24
        .size:           8
        .value_kind:     global_buffer
      - .actual_access:  read_only
        .address_space:  global
        .offset:         32
        .size:           8
        .value_kind:     global_buffer
      - .actual_access:  read_only
        .address_space:  global
        .offset:         40
        .size:           8
        .value_kind:     global_buffer
      - .offset:         48
        .size:           4
        .value_kind:     by_value
      - .offset:         52
        .size:           4
        .value_kind:     by_value
      - .actual_access:  read_only
        .address_space:  global
        .offset:         56
        .size:           8
        .value_kind:     global_buffer
      - .actual_access:  read_only
        .address_space:  global
        .offset:         64
        .size:           8
        .value_kind:     global_buffer
      - .offset:         72
        .size:           4
        .value_kind:     by_value
      - .address_space:  global
        .offset:         80
        .size:           8
        .value_kind:     global_buffer
      - .offset:         88
        .size:           4
        .value_kind:     by_value
      - .offset:         92
        .size:           4
        .value_kind:     by_value
      - .offset:         96
        .size:           4
        .value_kind:     by_value
      - .address_space:  global
        .offset:         104
        .size:           8
        .value_kind:     global_buffer
      - .address_space:  global
        .offset:         112
        .size:           8
        .value_kind:     global_buffer
      - .offset:         120
        .size:           4
        .value_kind:     by_value
      - .offset:         124
        .size:           4
        .value_kind:     by_value
      - .offset:         128
        .size:           4
        .value_kind:     by_value
      - .offset:         132
        .size:           4
        .value_kind:     by_value
      - .offset:         136
        .size:           4
        .value_kind:     by_value
      - .offset:         144
        .size:           4
        .value_kind:     hidden_block_count_x
      - .offset:         148
        .size:           4
        .value_kind:     hidden_block_count_y
      - .offset:         152
        .size:           4
        .value_kind:     hidden_block_count_z
      - .offset:         156
        .size:           2
        .value_kind:     hidden_group_size_x
      - .offset:         158
        .size:           2
        .value_kind:     hidden_group_size_y
      - .offset:         160
        .size:           2
        .value_kind:     hidden_group_size_z
      - .offset:         162
        .size:           2
        .value_kind:     hidden_remainder_x
      - .offset:         164
        .size:           2
        .value_kind:     hidden_remainder_y
      - .offset:         166
        .size:           2
        .value_kind:     hidden_remainder_z
      - .offset:         184
        .size:           8
        .value_kind:     hidden_global_offset_x
      - .offset:         192
        .size:           8
        .value_kind:     hidden_global_offset_y
      - .offset:         200
        .size:           8
        .value_kind:     hidden_global_offset_z
      - .offset:         208
        .size:           2
        .value_kind:     hidden_grid_dims
      - .offset:         264
        .size:           4
        .value_kind:     hidden_dynamic_lds_size
    .group_segment_fixed_size: 416
    .kernarg_segment_align: 8
    .kernarg_segment_size: 400
    .language:       OpenCL C
    .language_version:
      - 2
      - 0
    .max_flat_workgroup_size: 1024
    .name:           _ZN4vllm25paged_attention_v2_kernelIttLi192ELi32ELi128ELNS_18Fp8KVCacheDataTypeE0ELb0ELi512EEEvPfS2_PT_PKS3_PKT0_S9_ifPKiSB_iPKfiiiSD_SD_iiiii
    .private_segment_fixed_size: 164
    .sgpr_count:     35
    .sgpr_spill_count: 0
    .symbol:         _ZN4vllm25paged_attention_v2_kernelIttLi192ELi32ELi128ELNS_18Fp8KVCacheDataTypeE0ELb0ELi512EEEvPfS2_PT_PKS3_PKT0_S9_ifPKiSB_iPKfiiiSD_SD_iiiii.kd
    .uniform_work_group_size: 1
    .uses_dynamic_stack: false
    .vgpr_count:     184
    .vgpr_spill_count: 0
    .wavefront_size: 32
    .workgroup_processor_mode: 1
  - .args:
      - .actual_access:  write_only
        .address_space:  global
        .offset:         0
        .size:           8
        .value_kind:     global_buffer
      - .actual_access:  write_only
        .address_space:  global
        .offset:         8
        .size:           8
        .value_kind:     global_buffer
      - .actual_access:  write_only
        .address_space:  global
        .offset:         16
        .size:           8
        .value_kind:     global_buffer
      - .actual_access:  read_only
        .address_space:  global
        .offset:         24
        .size:           8
        .value_kind:     global_buffer
      - .actual_access:  read_only
        .address_space:  global
        .offset:         32
        .size:           8
        .value_kind:     global_buffer
      - .actual_access:  read_only
        .address_space:  global
        .offset:         40
        .size:           8
        .value_kind:     global_buffer
      - .offset:         48
        .size:           4
        .value_kind:     by_value
      - .offset:         52
        .size:           4
        .value_kind:     by_value
      - .actual_access:  read_only
        .address_space:  global
        .offset:         56
        .size:           8
        .value_kind:     global_buffer
      - .actual_access:  read_only
        .address_space:  global
        .offset:         64
        .size:           8
        .value_kind:     global_buffer
      - .offset:         72
        .size:           4
        .value_kind:     by_value
      - .address_space:  global
        .offset:         80
        .size:           8
        .value_kind:     global_buffer
      - .offset:         88
        .size:           4
        .value_kind:     by_value
      - .offset:         92
        .size:           4
        .value_kind:     by_value
      - .offset:         96
        .size:           4
        .value_kind:     by_value
      - .address_space:  global
        .offset:         104
        .size:           8
        .value_kind:     global_buffer
      - .address_space:  global
        .offset:         112
        .size:           8
        .value_kind:     global_buffer
      - .offset:         120
        .size:           4
        .value_kind:     by_value
      - .offset:         124
        .size:           4
        .value_kind:     by_value
      - .offset:         128
        .size:           4
        .value_kind:     by_value
      - .offset:         132
        .size:           4
        .value_kind:     by_value
      - .offset:         136
        .size:           4
        .value_kind:     by_value
      - .offset:         144
        .size:           4
        .value_kind:     hidden_block_count_x
      - .offset:         148
        .size:           4
        .value_kind:     hidden_block_count_y
      - .offset:         152
        .size:           4
        .value_kind:     hidden_block_count_z
      - .offset:         156
        .size:           2
        .value_kind:     hidden_group_size_x
      - .offset:         158
        .size:           2
        .value_kind:     hidden_group_size_y
      - .offset:         160
        .size:           2
        .value_kind:     hidden_group_size_z
      - .offset:         162
        .size:           2
        .value_kind:     hidden_remainder_x
      - .offset:         164
        .size:           2
        .value_kind:     hidden_remainder_y
      - .offset:         166
        .size:           2
        .value_kind:     hidden_remainder_z
      - .offset:         184
        .size:           8
        .value_kind:     hidden_global_offset_x
      - .offset:         192
        .size:           8
        .value_kind:     hidden_global_offset_y
      - .offset:         200
        .size:           8
        .value_kind:     hidden_global_offset_z
      - .offset:         208
        .size:           2
        .value_kind:     hidden_grid_dims
      - .offset:         264
        .size:           4
        .value_kind:     hidden_dynamic_lds_size
    .group_segment_fixed_size: 544
    .kernarg_segment_align: 8
    .kernarg_segment_size: 400
    .language:       OpenCL C
    .language_version:
      - 2
      - 0
    .max_flat_workgroup_size: 1024
    .name:           _ZN4vllm25paged_attention_v2_kernelIttLi256ELi32ELi128ELNS_18Fp8KVCacheDataTypeE0ELb0ELi512EEEvPfS2_PT_PKS3_PKT0_S9_ifPKiSB_iPKfiiiSD_SD_iiiii
    .private_segment_fixed_size: 292
    .sgpr_count:     35
    .sgpr_spill_count: 0
    .symbol:         _ZN4vllm25paged_attention_v2_kernelIttLi256ELi32ELi128ELNS_18Fp8KVCacheDataTypeE0ELb0ELi512EEEvPfS2_PT_PKS3_PKT0_S9_ifPKiSB_iPKfiiiSD_SD_iiiii.kd
    .uniform_work_group_size: 1
    .uses_dynamic_stack: false
    .vgpr_count:     184
    .vgpr_spill_count: 0
    .wavefront_size: 32
    .workgroup_processor_mode: 1
  - .args:
      - .actual_access:  write_only
        .address_space:  global
        .offset:         0
        .size:           8
        .value_kind:     global_buffer
      - .actual_access:  write_only
        .address_space:  global
        .offset:         8
        .size:           8
        .value_kind:     global_buffer
      - .actual_access:  write_only
        .address_space:  global
        .offset:         16
        .size:           8
        .value_kind:     global_buffer
      - .actual_access:  read_only
        .address_space:  global
        .offset:         24
        .size:           8
        .value_kind:     global_buffer
      - .actual_access:  read_only
        .address_space:  global
        .offset:         32
        .size:           8
        .value_kind:     global_buffer
      - .actual_access:  read_only
        .address_space:  global
        .offset:         40
        .size:           8
        .value_kind:     global_buffer
      - .offset:         48
        .size:           4
        .value_kind:     by_value
      - .offset:         52
        .size:           4
        .value_kind:     by_value
      - .actual_access:  read_only
        .address_space:  global
        .offset:         56
        .size:           8
        .value_kind:     global_buffer
      - .actual_access:  read_only
        .address_space:  global
        .offset:         64
        .size:           8
        .value_kind:     global_buffer
      - .offset:         72
        .size:           4
        .value_kind:     by_value
      - .actual_access:  read_only
        .address_space:  global
        .offset:         80
        .size:           8
        .value_kind:     global_buffer
      - .offset:         88
        .size:           4
        .value_kind:     by_value
      - .offset:         92
        .size:           4
        .value_kind:     by_value
      - .offset:         96
        .size:           4
        .value_kind:     by_value
      - .address_space:  global
        .offset:         104
        .size:           8
        .value_kind:     global_buffer
      - .address_space:  global
        .offset:         112
        .size:           8
        .value_kind:     global_buffer
      - .offset:         120
        .size:           4
        .value_kind:     by_value
      - .offset:         124
        .size:           4
        .value_kind:     by_value
      - .offset:         128
        .size:           4
        .value_kind:     by_value
      - .offset:         132
        .size:           4
        .value_kind:     by_value
      - .offset:         136
        .size:           4
        .value_kind:     by_value
      - .offset:         144
        .size:           4
        .value_kind:     hidden_block_count_x
      - .offset:         148
        .size:           4
        .value_kind:     hidden_block_count_y
      - .offset:         152
        .size:           4
        .value_kind:     hidden_block_count_z
      - .offset:         156
        .size:           2
        .value_kind:     hidden_group_size_x
      - .offset:         158
        .size:           2
        .value_kind:     hidden_group_size_y
      - .offset:         160
        .size:           2
        .value_kind:     hidden_group_size_z
      - .offset:         162
        .size:           2
        .value_kind:     hidden_remainder_x
      - .offset:         164
        .size:           2
        .value_kind:     hidden_remainder_y
      - .offset:         166
        .size:           2
        .value_kind:     hidden_remainder_z
      - .offset:         184
        .size:           8
        .value_kind:     hidden_global_offset_x
      - .offset:         192
        .size:           8
        .value_kind:     hidden_global_offset_y
      - .offset:         200
        .size:           8
        .value_kind:     hidden_global_offset_z
      - .offset:         208
        .size:           2
        .value_kind:     hidden_grid_dims
      - .offset:         264
        .size:           4
        .value_kind:     hidden_dynamic_lds_size
    .group_segment_fixed_size: 96
    .kernarg_segment_align: 8
    .kernarg_segment_size: 400
    .language:       OpenCL C
    .language_version:
      - 2
      - 0
    .max_flat_workgroup_size: 1024
    .name:           _ZN4vllm25paged_attention_v2_kernelI14__hip_bfloat16S1_Li32ELi8ELi128ELNS_18Fp8KVCacheDataTypeE0ELb1ELi512EEEvPfS3_PT_PKS4_PKT0_SA_ifPKiSC_iPKfiiiSE_SE_iiiii
    .private_segment_fixed_size: 0
    .sgpr_count:     48
    .sgpr_spill_count: 0
    .symbol:         _ZN4vllm25paged_attention_v2_kernelI14__hip_bfloat16S1_Li32ELi8ELi128ELNS_18Fp8KVCacheDataTypeE0ELb1ELi512EEEvPfS3_PT_PKS4_PKT0_SA_ifPKiSC_iPKfiiiSE_SE_iiiii.kd
    .uniform_work_group_size: 1
    .uses_dynamic_stack: false
    .vgpr_count:     35
    .vgpr_spill_count: 0
    .wavefront_size: 32
    .workgroup_processor_mode: 1
  - .args:
      - .actual_access:  write_only
        .address_space:  global
        .offset:         0
        .size:           8
        .value_kind:     global_buffer
      - .actual_access:  read_only
        .address_space:  global
        .offset:         8
        .size:           8
        .value_kind:     global_buffer
      - .actual_access:  read_only
        .address_space:  global
        .offset:         16
        .size:           8
        .value_kind:     global_buffer
      - .actual_access:  read_only
        .address_space:  global
        .offset:         24
        .size:           8
        .value_kind:     global_buffer
      - .actual_access:  read_only
        .address_space:  global
        .offset:         32
        .size:           8
        .value_kind:     global_buffer
      - .offset:         40
        .size:           4
        .value_kind:     by_value
      - .offset:         48
        .size:           4
        .value_kind:     hidden_block_count_x
      - .offset:         52
        .size:           4
        .value_kind:     hidden_block_count_y
      - .offset:         56
        .size:           4
        .value_kind:     hidden_block_count_z
      - .offset:         60
        .size:           2
        .value_kind:     hidden_group_size_x
      - .offset:         62
        .size:           2
        .value_kind:     hidden_group_size_y
      - .offset:         64
        .size:           2
        .value_kind:     hidden_group_size_z
      - .offset:         66
        .size:           2
        .value_kind:     hidden_remainder_x
      - .offset:         68
        .size:           2
        .value_kind:     hidden_remainder_y
      - .offset:         70
        .size:           2
        .value_kind:     hidden_remainder_z
      - .offset:         88
        .size:           8
        .value_kind:     hidden_global_offset_x
      - .offset:         96
        .size:           8
        .value_kind:     hidden_global_offset_y
      - .offset:         104
        .size:           8
        .value_kind:     hidden_global_offset_z
      - .offset:         112
        .size:           2
        .value_kind:     hidden_grid_dims
      - .offset:         168
        .size:           4
        .value_kind:     hidden_dynamic_lds_size
    .group_segment_fixed_size: 32
    .kernarg_segment_align: 8
    .kernarg_segment_size: 304
    .language:       OpenCL C
    .language_version:
      - 2
      - 0
    .max_flat_workgroup_size: 1024
    .name:           _ZN4vllm32paged_attention_v2_reduce_kernelI14__hip_bfloat16Li32ELi128ELi512EEEvPT_PKfS5_PKS2_PKii
    .private_segment_fixed_size: 0
    .sgpr_count:     31
    .sgpr_spill_count: 0
    .symbol:         _ZN4vllm32paged_attention_v2_reduce_kernelI14__hip_bfloat16Li32ELi128ELi512EEEvPT_PKfS5_PKS2_PKii.kd
    .uniform_work_group_size: 1
    .uses_dynamic_stack: false
    .vgpr_count:     19
    .vgpr_spill_count: 0
    .wavefront_size: 32
    .workgroup_processor_mode: 1
  - .args:
      - .actual_access:  write_only
        .address_space:  global
        .offset:         0
        .size:           8
        .value_kind:     global_buffer
      - .actual_access:  write_only
        .address_space:  global
        .offset:         8
        .size:           8
        .value_kind:     global_buffer
      - .actual_access:  write_only
        .address_space:  global
        .offset:         16
        .size:           8
        .value_kind:     global_buffer
      - .actual_access:  read_only
        .address_space:  global
        .offset:         24
        .size:           8
        .value_kind:     global_buffer
      - .actual_access:  read_only
        .address_space:  global
        .offset:         32
        .size:           8
        .value_kind:     global_buffer
      - .actual_access:  read_only
        .address_space:  global
        .offset:         40
        .size:           8
        .value_kind:     global_buffer
      - .offset:         48
        .size:           4
        .value_kind:     by_value
      - .offset:         52
        .size:           4
        .value_kind:     by_value
      - .actual_access:  read_only
        .address_space:  global
        .offset:         56
        .size:           8
        .value_kind:     global_buffer
      - .actual_access:  read_only
        .address_space:  global
        .offset:         64
        .size:           8
        .value_kind:     global_buffer
      - .offset:         72
        .size:           4
        .value_kind:     by_value
      - .actual_access:  read_only
        .address_space:  global
        .offset:         80
        .size:           8
        .value_kind:     global_buffer
      - .offset:         88
        .size:           4
        .value_kind:     by_value
      - .offset:         92
        .size:           4
        .value_kind:     by_value
      - .offset:         96
        .size:           4
        .value_kind:     by_value
      - .address_space:  global
        .offset:         104
        .size:           8
        .value_kind:     global_buffer
      - .address_space:  global
        .offset:         112
        .size:           8
        .value_kind:     global_buffer
      - .offset:         120
        .size:           4
        .value_kind:     by_value
      - .offset:         124
        .size:           4
        .value_kind:     by_value
      - .offset:         128
        .size:           4
        .value_kind:     by_value
      - .offset:         132
        .size:           4
        .value_kind:     by_value
      - .offset:         136
        .size:           4
        .value_kind:     by_value
      - .offset:         144
        .size:           4
        .value_kind:     hidden_block_count_x
      - .offset:         148
        .size:           4
        .value_kind:     hidden_block_count_y
      - .offset:         152
        .size:           4
        .value_kind:     hidden_block_count_z
      - .offset:         156
        .size:           2
        .value_kind:     hidden_group_size_x
      - .offset:         158
        .size:           2
        .value_kind:     hidden_group_size_y
      - .offset:         160
        .size:           2
        .value_kind:     hidden_group_size_z
      - .offset:         162
        .size:           2
        .value_kind:     hidden_remainder_x
      - .offset:         164
        .size:           2
        .value_kind:     hidden_remainder_y
      - .offset:         166
        .size:           2
        .value_kind:     hidden_remainder_z
      - .offset:         184
        .size:           8
        .value_kind:     hidden_global_offset_x
      - .offset:         192
        .size:           8
        .value_kind:     hidden_global_offset_y
      - .offset:         200
        .size:           8
        .value_kind:     hidden_global_offset_z
      - .offset:         208
        .size:           2
        .value_kind:     hidden_grid_dims
      - .offset:         264
        .size:           4
        .value_kind:     hidden_dynamic_lds_size
    .group_segment_fixed_size: 160
    .kernarg_segment_align: 8
    .kernarg_segment_size: 400
    .language:       OpenCL C
    .language_version:
      - 2
      - 0
    .max_flat_workgroup_size: 1024
    .name:           _ZN4vllm25paged_attention_v2_kernelI14__hip_bfloat16S1_Li64ELi8ELi128ELNS_18Fp8KVCacheDataTypeE0ELb1ELi512EEEvPfS3_PT_PKS4_PKT0_SA_ifPKiSC_iPKfiiiSE_SE_iiiii
    .private_segment_fixed_size: 0
    .sgpr_count:     48
    .sgpr_spill_count: 0
    .symbol:         _ZN4vllm25paged_attention_v2_kernelI14__hip_bfloat16S1_Li64ELi8ELi128ELNS_18Fp8KVCacheDataTypeE0ELb1ELi512EEEvPfS3_PT_PKS4_PKT0_SA_ifPKiSC_iPKfiiiSE_SE_iiiii.kd
    .uniform_work_group_size: 1
    .uses_dynamic_stack: false
    .vgpr_count:     47
    .vgpr_spill_count: 0
    .wavefront_size: 32
    .workgroup_processor_mode: 1
  - .args:
      - .actual_access:  write_only
        .address_space:  global
        .offset:         0
        .size:           8
        .value_kind:     global_buffer
      - .actual_access:  read_only
        .address_space:  global
        .offset:         8
        .size:           8
        .value_kind:     global_buffer
      - .actual_access:  read_only
        .address_space:  global
        .offset:         16
        .size:           8
        .value_kind:     global_buffer
      - .actual_access:  read_only
        .address_space:  global
        .offset:         24
        .size:           8
        .value_kind:     global_buffer
      - .actual_access:  read_only
        .address_space:  global
        .offset:         32
        .size:           8
        .value_kind:     global_buffer
      - .offset:         40
        .size:           4
        .value_kind:     by_value
      - .offset:         48
        .size:           4
        .value_kind:     hidden_block_count_x
      - .offset:         52
        .size:           4
        .value_kind:     hidden_block_count_y
      - .offset:         56
        .size:           4
        .value_kind:     hidden_block_count_z
      - .offset:         60
        .size:           2
        .value_kind:     hidden_group_size_x
      - .offset:         62
        .size:           2
        .value_kind:     hidden_group_size_y
      - .offset:         64
        .size:           2
        .value_kind:     hidden_group_size_z
      - .offset:         66
        .size:           2
        .value_kind:     hidden_remainder_x
      - .offset:         68
        .size:           2
        .value_kind:     hidden_remainder_y
      - .offset:         70
        .size:           2
        .value_kind:     hidden_remainder_z
      - .offset:         88
        .size:           8
        .value_kind:     hidden_global_offset_x
      - .offset:         96
        .size:           8
        .value_kind:     hidden_global_offset_y
      - .offset:         104
        .size:           8
        .value_kind:     hidden_global_offset_z
      - .offset:         112
        .size:           2
        .value_kind:     hidden_grid_dims
      - .offset:         168
        .size:           4
        .value_kind:     hidden_dynamic_lds_size
    .group_segment_fixed_size: 32
    .kernarg_segment_align: 8
    .kernarg_segment_size: 304
    .language:       OpenCL C
    .language_version:
      - 2
      - 0
    .max_flat_workgroup_size: 1024
    .name:           _ZN4vllm32paged_attention_v2_reduce_kernelI14__hip_bfloat16Li64ELi128ELi512EEEvPT_PKfS5_PKS2_PKii
    .private_segment_fixed_size: 0
    .sgpr_count:     31
    .sgpr_spill_count: 0
    .symbol:         _ZN4vllm32paged_attention_v2_reduce_kernelI14__hip_bfloat16Li64ELi128ELi512EEEvPT_PKfS5_PKS2_PKii.kd
    .uniform_work_group_size: 1
    .uses_dynamic_stack: false
    .vgpr_count:     19
    .vgpr_spill_count: 0
    .wavefront_size: 32
    .workgroup_processor_mode: 1
  - .args:
      - .actual_access:  write_only
        .address_space:  global
        .offset:         0
        .size:           8
        .value_kind:     global_buffer
      - .actual_access:  write_only
        .address_space:  global
        .offset:         8
        .size:           8
        .value_kind:     global_buffer
      - .actual_access:  write_only
        .address_space:  global
        .offset:         16
        .size:           8
        .value_kind:     global_buffer
      - .actual_access:  read_only
        .address_space:  global
        .offset:         24
        .size:           8
        .value_kind:     global_buffer
      - .actual_access:  read_only
        .address_space:  global
        .offset:         32
        .size:           8
        .value_kind:     global_buffer
      - .actual_access:  read_only
        .address_space:  global
        .offset:         40
        .size:           8
        .value_kind:     global_buffer
      - .offset:         48
        .size:           4
        .value_kind:     by_value
      - .offset:         52
        .size:           4
        .value_kind:     by_value
      - .actual_access:  read_only
        .address_space:  global
        .offset:         56
        .size:           8
        .value_kind:     global_buffer
      - .actual_access:  read_only
        .address_space:  global
        .offset:         64
        .size:           8
        .value_kind:     global_buffer
      - .offset:         72
        .size:           4
        .value_kind:     by_value
      - .actual_access:  read_only
        .address_space:  global
        .offset:         80
        .size:           8
        .value_kind:     global_buffer
      - .offset:         88
        .size:           4
        .value_kind:     by_value
      - .offset:         92
        .size:           4
        .value_kind:     by_value
      - .offset:         96
        .size:           4
        .value_kind:     by_value
      - .address_space:  global
        .offset:         104
        .size:           8
        .value_kind:     global_buffer
      - .address_space:  global
        .offset:         112
        .size:           8
        .value_kind:     global_buffer
      - .offset:         120
        .size:           4
        .value_kind:     by_value
      - .offset:         124
        .size:           4
        .value_kind:     by_value
      - .offset:         128
        .size:           4
        .value_kind:     by_value
      - .offset:         132
        .size:           4
        .value_kind:     by_value
      - .offset:         136
        .size:           4
        .value_kind:     by_value
      - .offset:         144
        .size:           4
        .value_kind:     hidden_block_count_x
      - .offset:         148
        .size:           4
        .value_kind:     hidden_block_count_y
      - .offset:         152
        .size:           4
        .value_kind:     hidden_block_count_z
      - .offset:         156
        .size:           2
        .value_kind:     hidden_group_size_x
      - .offset:         158
        .size:           2
        .value_kind:     hidden_group_size_y
      - .offset:         160
        .size:           2
        .value_kind:     hidden_group_size_z
      - .offset:         162
        .size:           2
        .value_kind:     hidden_remainder_x
      - .offset:         164
        .size:           2
        .value_kind:     hidden_remainder_y
      - .offset:         166
        .size:           2
        .value_kind:     hidden_remainder_z
      - .offset:         184
        .size:           8
        .value_kind:     hidden_global_offset_x
      - .offset:         192
        .size:           8
        .value_kind:     hidden_global_offset_y
      - .offset:         200
        .size:           8
        .value_kind:     hidden_global_offset_z
      - .offset:         208
        .size:           2
        .value_kind:     hidden_grid_dims
      - .offset:         264
        .size:           4
        .value_kind:     hidden_dynamic_lds_size
    .group_segment_fixed_size: 192
    .kernarg_segment_align: 8
    .kernarg_segment_size: 400
    .language:       OpenCL C
    .language_version:
      - 2
      - 0
    .max_flat_workgroup_size: 1024
    .name:           _ZN4vllm25paged_attention_v2_kernelI14__hip_bfloat16S1_Li80ELi8ELi128ELNS_18Fp8KVCacheDataTypeE0ELb1ELi512EEEvPfS3_PT_PKS4_PKT0_SA_ifPKiSC_iPKfiiiSE_SE_iiiii
    .private_segment_fixed_size: 0
    .sgpr_count:     50
    .sgpr_spill_count: 0
    .symbol:         _ZN4vllm25paged_attention_v2_kernelI14__hip_bfloat16S1_Li80ELi8ELi128ELNS_18Fp8KVCacheDataTypeE0ELb1ELi512EEEvPfS3_PT_PKS4_PKT0_SA_ifPKiSC_iPKfiiiSE_SE_iiiii.kd
    .uniform_work_group_size: 1
    .uses_dynamic_stack: false
    .vgpr_count:     53
    .vgpr_spill_count: 0
    .wavefront_size: 32
    .workgroup_processor_mode: 1
  - .args:
      - .actual_access:  write_only
        .address_space:  global
        .offset:         0
        .size:           8
        .value_kind:     global_buffer
      - .actual_access:  read_only
        .address_space:  global
        .offset:         8
        .size:           8
        .value_kind:     global_buffer
      - .actual_access:  read_only
        .address_space:  global
        .offset:         16
        .size:           8
        .value_kind:     global_buffer
      - .actual_access:  read_only
        .address_space:  global
        .offset:         24
        .size:           8
        .value_kind:     global_buffer
      - .actual_access:  read_only
        .address_space:  global
        .offset:         32
        .size:           8
        .value_kind:     global_buffer
      - .offset:         40
        .size:           4
        .value_kind:     by_value
      - .offset:         48
        .size:           4
        .value_kind:     hidden_block_count_x
      - .offset:         52
        .size:           4
        .value_kind:     hidden_block_count_y
      - .offset:         56
        .size:           4
        .value_kind:     hidden_block_count_z
      - .offset:         60
        .size:           2
        .value_kind:     hidden_group_size_x
      - .offset:         62
        .size:           2
        .value_kind:     hidden_group_size_y
      - .offset:         64
        .size:           2
        .value_kind:     hidden_group_size_z
      - .offset:         66
        .size:           2
        .value_kind:     hidden_remainder_x
      - .offset:         68
        .size:           2
        .value_kind:     hidden_remainder_y
      - .offset:         70
        .size:           2
        .value_kind:     hidden_remainder_z
      - .offset:         88
        .size:           8
        .value_kind:     hidden_global_offset_x
      - .offset:         96
        .size:           8
        .value_kind:     hidden_global_offset_y
      - .offset:         104
        .size:           8
        .value_kind:     hidden_global_offset_z
      - .offset:         112
        .size:           2
        .value_kind:     hidden_grid_dims
      - .offset:         168
        .size:           4
        .value_kind:     hidden_dynamic_lds_size
    .group_segment_fixed_size: 32
    .kernarg_segment_align: 8
    .kernarg_segment_size: 304
    .language:       OpenCL C
    .language_version:
      - 2
      - 0
    .max_flat_workgroup_size: 1024
    .name:           _ZN4vllm32paged_attention_v2_reduce_kernelI14__hip_bfloat16Li80ELi128ELi512EEEvPT_PKfS5_PKS2_PKii
    .private_segment_fixed_size: 0
    .sgpr_count:     31
    .sgpr_spill_count: 0
    .symbol:         _ZN4vllm32paged_attention_v2_reduce_kernelI14__hip_bfloat16Li80ELi128ELi512EEEvPT_PKfS5_PKS2_PKii.kd
    .uniform_work_group_size: 1
    .uses_dynamic_stack: false
    .vgpr_count:     19
    .vgpr_spill_count: 0
    .wavefront_size: 32
    .workgroup_processor_mode: 1
  - .args:
      - .actual_access:  write_only
        .address_space:  global
        .offset:         0
        .size:           8
        .value_kind:     global_buffer
      - .actual_access:  write_only
        .address_space:  global
        .offset:         8
        .size:           8
        .value_kind:     global_buffer
      - .actual_access:  write_only
        .address_space:  global
        .offset:         16
        .size:           8
        .value_kind:     global_buffer
      - .actual_access:  read_only
        .address_space:  global
        .offset:         24
        .size:           8
        .value_kind:     global_buffer
      - .actual_access:  read_only
        .address_space:  global
        .offset:         32
        .size:           8
        .value_kind:     global_buffer
      - .actual_access:  read_only
        .address_space:  global
        .offset:         40
        .size:           8
        .value_kind:     global_buffer
      - .offset:         48
        .size:           4
        .value_kind:     by_value
      - .offset:         52
        .size:           4
        .value_kind:     by_value
      - .actual_access:  read_only
        .address_space:  global
        .offset:         56
        .size:           8
        .value_kind:     global_buffer
      - .actual_access:  read_only
        .address_space:  global
        .offset:         64
        .size:           8
        .value_kind:     global_buffer
      - .offset:         72
        .size:           4
        .value_kind:     by_value
      - .actual_access:  read_only
        .address_space:  global
        .offset:         80
        .size:           8
        .value_kind:     global_buffer
      - .offset:         88
        .size:           4
        .value_kind:     by_value
      - .offset:         92
        .size:           4
        .value_kind:     by_value
      - .offset:         96
        .size:           4
        .value_kind:     by_value
      - .address_space:  global
        .offset:         104
        .size:           8
        .value_kind:     global_buffer
      - .address_space:  global
        .offset:         112
        .size:           8
        .value_kind:     global_buffer
      - .offset:         120
        .size:           4
        .value_kind:     by_value
      - .offset:         124
        .size:           4
        .value_kind:     by_value
      - .offset:         128
        .size:           4
        .value_kind:     by_value
      - .offset:         132
        .size:           4
        .value_kind:     by_value
      - .offset:         136
        .size:           4
        .value_kind:     by_value
      - .offset:         144
        .size:           4
        .value_kind:     hidden_block_count_x
      - .offset:         148
        .size:           4
        .value_kind:     hidden_block_count_y
      - .offset:         152
        .size:           4
        .value_kind:     hidden_block_count_z
      - .offset:         156
        .size:           2
        .value_kind:     hidden_group_size_x
      - .offset:         158
        .size:           2
        .value_kind:     hidden_group_size_y
      - .offset:         160
        .size:           2
        .value_kind:     hidden_group_size_z
      - .offset:         162
        .size:           2
        .value_kind:     hidden_remainder_x
      - .offset:         164
        .size:           2
        .value_kind:     hidden_remainder_y
      - .offset:         166
        .size:           2
        .value_kind:     hidden_remainder_z
      - .offset:         184
        .size:           8
        .value_kind:     hidden_global_offset_x
      - .offset:         192
        .size:           8
        .value_kind:     hidden_global_offset_y
      - .offset:         200
        .size:           8
        .value_kind:     hidden_global_offset_z
      - .offset:         208
        .size:           2
        .value_kind:     hidden_grid_dims
      - .offset:         264
        .size:           4
        .value_kind:     hidden_dynamic_lds_size
    .group_segment_fixed_size: 224
    .kernarg_segment_align: 8
    .kernarg_segment_size: 400
    .language:       OpenCL C
    .language_version:
      - 2
      - 0
    .max_flat_workgroup_size: 1024
    .name:           _ZN4vllm25paged_attention_v2_kernelI14__hip_bfloat16S1_Li96ELi8ELi128ELNS_18Fp8KVCacheDataTypeE0ELb1ELi512EEEvPfS3_PT_PKS4_PKT0_SA_ifPKiSC_iPKfiiiSE_SE_iiiii
    .private_segment_fixed_size: 0
    .sgpr_count:     48
    .sgpr_spill_count: 0
    .symbol:         _ZN4vllm25paged_attention_v2_kernelI14__hip_bfloat16S1_Li96ELi8ELi128ELNS_18Fp8KVCacheDataTypeE0ELb1ELi512EEEvPfS3_PT_PKS4_PKT0_SA_ifPKiSC_iPKfiiiSE_SE_iiiii.kd
    .uniform_work_group_size: 1
    .uses_dynamic_stack: false
    .vgpr_count:     59
    .vgpr_spill_count: 0
    .wavefront_size: 32
    .workgroup_processor_mode: 1
  - .args:
      - .actual_access:  write_only
        .address_space:  global
        .offset:         0
        .size:           8
        .value_kind:     global_buffer
      - .actual_access:  read_only
        .address_space:  global
        .offset:         8
        .size:           8
        .value_kind:     global_buffer
      - .actual_access:  read_only
        .address_space:  global
        .offset:         16
        .size:           8
        .value_kind:     global_buffer
      - .actual_access:  read_only
        .address_space:  global
        .offset:         24
        .size:           8
        .value_kind:     global_buffer
      - .actual_access:  read_only
        .address_space:  global
        .offset:         32
        .size:           8
        .value_kind:     global_buffer
      - .offset:         40
        .size:           4
        .value_kind:     by_value
      - .offset:         48
        .size:           4
        .value_kind:     hidden_block_count_x
      - .offset:         52
        .size:           4
        .value_kind:     hidden_block_count_y
      - .offset:         56
        .size:           4
        .value_kind:     hidden_block_count_z
      - .offset:         60
        .size:           2
        .value_kind:     hidden_group_size_x
      - .offset:         62
        .size:           2
        .value_kind:     hidden_group_size_y
      - .offset:         64
        .size:           2
        .value_kind:     hidden_group_size_z
      - .offset:         66
        .size:           2
        .value_kind:     hidden_remainder_x
      - .offset:         68
        .size:           2
        .value_kind:     hidden_remainder_y
      - .offset:         70
        .size:           2
        .value_kind:     hidden_remainder_z
      - .offset:         88
        .size:           8
        .value_kind:     hidden_global_offset_x
      - .offset:         96
        .size:           8
        .value_kind:     hidden_global_offset_y
      - .offset:         104
        .size:           8
        .value_kind:     hidden_global_offset_z
      - .offset:         112
        .size:           2
        .value_kind:     hidden_grid_dims
      - .offset:         168
        .size:           4
        .value_kind:     hidden_dynamic_lds_size
    .group_segment_fixed_size: 32
    .kernarg_segment_align: 8
    .kernarg_segment_size: 304
    .language:       OpenCL C
    .language_version:
      - 2
      - 0
    .max_flat_workgroup_size: 1024
    .name:           _ZN4vllm32paged_attention_v2_reduce_kernelI14__hip_bfloat16Li96ELi128ELi512EEEvPT_PKfS5_PKS2_PKii
    .private_segment_fixed_size: 0
    .sgpr_count:     31
    .sgpr_spill_count: 0
    .symbol:         _ZN4vllm32paged_attention_v2_reduce_kernelI14__hip_bfloat16Li96ELi128ELi512EEEvPT_PKfS5_PKS2_PKii.kd
    .uniform_work_group_size: 1
    .uses_dynamic_stack: false
    .vgpr_count:     19
    .vgpr_spill_count: 0
    .wavefront_size: 32
    .workgroup_processor_mode: 1
  - .args:
      - .actual_access:  write_only
        .address_space:  global
        .offset:         0
        .size:           8
        .value_kind:     global_buffer
      - .actual_access:  write_only
        .address_space:  global
        .offset:         8
        .size:           8
        .value_kind:     global_buffer
      - .actual_access:  write_only
        .address_space:  global
        .offset:         16
        .size:           8
        .value_kind:     global_buffer
      - .actual_access:  read_only
        .address_space:  global
        .offset:         24
        .size:           8
        .value_kind:     global_buffer
      - .actual_access:  read_only
        .address_space:  global
        .offset:         32
        .size:           8
        .value_kind:     global_buffer
      - .actual_access:  read_only
        .address_space:  global
        .offset:         40
        .size:           8
        .value_kind:     global_buffer
      - .offset:         48
        .size:           4
        .value_kind:     by_value
      - .offset:         52
        .size:           4
        .value_kind:     by_value
      - .actual_access:  read_only
        .address_space:  global
        .offset:         56
        .size:           8
        .value_kind:     global_buffer
      - .actual_access:  read_only
        .address_space:  global
        .offset:         64
        .size:           8
        .value_kind:     global_buffer
      - .offset:         72
        .size:           4
        .value_kind:     by_value
      - .actual_access:  read_only
        .address_space:  global
        .offset:         80
        .size:           8
        .value_kind:     global_buffer
      - .offset:         88
        .size:           4
        .value_kind:     by_value
      - .offset:         92
        .size:           4
        .value_kind:     by_value
      - .offset:         96
        .size:           4
        .value_kind:     by_value
      - .address_space:  global
        .offset:         104
        .size:           8
        .value_kind:     global_buffer
      - .address_space:  global
        .offset:         112
        .size:           8
        .value_kind:     global_buffer
      - .offset:         120
        .size:           4
        .value_kind:     by_value
      - .offset:         124
        .size:           4
        .value_kind:     by_value
      - .offset:         128
        .size:           4
        .value_kind:     by_value
      - .offset:         132
        .size:           4
        .value_kind:     by_value
      - .offset:         136
        .size:           4
        .value_kind:     by_value
      - .offset:         144
        .size:           4
        .value_kind:     hidden_block_count_x
      - .offset:         148
        .size:           4
        .value_kind:     hidden_block_count_y
      - .offset:         152
        .size:           4
        .value_kind:     hidden_block_count_z
      - .offset:         156
        .size:           2
        .value_kind:     hidden_group_size_x
      - .offset:         158
        .size:           2
        .value_kind:     hidden_group_size_y
      - .offset:         160
        .size:           2
        .value_kind:     hidden_group_size_z
      - .offset:         162
        .size:           2
        .value_kind:     hidden_remainder_x
      - .offset:         164
        .size:           2
        .value_kind:     hidden_remainder_y
      - .offset:         166
        .size:           2
        .value_kind:     hidden_remainder_z
      - .offset:         184
        .size:           8
        .value_kind:     hidden_global_offset_x
      - .offset:         192
        .size:           8
        .value_kind:     hidden_global_offset_y
      - .offset:         200
        .size:           8
        .value_kind:     hidden_global_offset_z
      - .offset:         208
        .size:           2
        .value_kind:     hidden_grid_dims
      - .offset:         264
        .size:           4
        .value_kind:     hidden_dynamic_lds_size
    .group_segment_fixed_size: 256
    .kernarg_segment_align: 8
    .kernarg_segment_size: 400
    .language:       OpenCL C
    .language_version:
      - 2
      - 0
    .max_flat_workgroup_size: 1024
    .name:           _ZN4vllm25paged_attention_v2_kernelI14__hip_bfloat16S1_Li112ELi8ELi128ELNS_18Fp8KVCacheDataTypeE0ELb1ELi512EEEvPfS3_PT_PKS4_PKT0_SA_ifPKiSC_iPKfiiiSE_SE_iiiii
    .private_segment_fixed_size: 0
    .sgpr_count:     48
    .sgpr_spill_count: 0
    .symbol:         _ZN4vllm25paged_attention_v2_kernelI14__hip_bfloat16S1_Li112ELi8ELi128ELNS_18Fp8KVCacheDataTypeE0ELb1ELi512EEEvPfS3_PT_PKS4_PKT0_SA_ifPKiSC_iPKfiiiSE_SE_iiiii.kd
    .uniform_work_group_size: 1
    .uses_dynamic_stack: false
    .vgpr_count:     65
    .vgpr_spill_count: 0
    .wavefront_size: 32
    .workgroup_processor_mode: 1
  - .args:
      - .actual_access:  write_only
        .address_space:  global
        .offset:         0
        .size:           8
        .value_kind:     global_buffer
      - .actual_access:  read_only
        .address_space:  global
        .offset:         8
        .size:           8
        .value_kind:     global_buffer
      - .actual_access:  read_only
        .address_space:  global
        .offset:         16
        .size:           8
        .value_kind:     global_buffer
      - .actual_access:  read_only
        .address_space:  global
        .offset:         24
        .size:           8
        .value_kind:     global_buffer
      - .actual_access:  read_only
        .address_space:  global
        .offset:         32
        .size:           8
        .value_kind:     global_buffer
      - .offset:         40
        .size:           4
        .value_kind:     by_value
      - .offset:         48
        .size:           4
        .value_kind:     hidden_block_count_x
      - .offset:         52
        .size:           4
        .value_kind:     hidden_block_count_y
      - .offset:         56
        .size:           4
        .value_kind:     hidden_block_count_z
      - .offset:         60
        .size:           2
        .value_kind:     hidden_group_size_x
      - .offset:         62
        .size:           2
        .value_kind:     hidden_group_size_y
      - .offset:         64
        .size:           2
        .value_kind:     hidden_group_size_z
      - .offset:         66
        .size:           2
        .value_kind:     hidden_remainder_x
      - .offset:         68
        .size:           2
        .value_kind:     hidden_remainder_y
      - .offset:         70
        .size:           2
        .value_kind:     hidden_remainder_z
      - .offset:         88
        .size:           8
        .value_kind:     hidden_global_offset_x
      - .offset:         96
        .size:           8
        .value_kind:     hidden_global_offset_y
      - .offset:         104
        .size:           8
        .value_kind:     hidden_global_offset_z
      - .offset:         112
        .size:           2
        .value_kind:     hidden_grid_dims
      - .offset:         168
        .size:           4
        .value_kind:     hidden_dynamic_lds_size
    .group_segment_fixed_size: 32
    .kernarg_segment_align: 8
    .kernarg_segment_size: 304
    .language:       OpenCL C
    .language_version:
      - 2
      - 0
    .max_flat_workgroup_size: 1024
    .name:           _ZN4vllm32paged_attention_v2_reduce_kernelI14__hip_bfloat16Li112ELi128ELi512EEEvPT_PKfS5_PKS2_PKii
    .private_segment_fixed_size: 0
    .sgpr_count:     31
    .sgpr_spill_count: 0
    .symbol:         _ZN4vllm32paged_attention_v2_reduce_kernelI14__hip_bfloat16Li112ELi128ELi512EEEvPT_PKfS5_PKS2_PKii.kd
    .uniform_work_group_size: 1
    .uses_dynamic_stack: false
    .vgpr_count:     19
    .vgpr_spill_count: 0
    .wavefront_size: 32
    .workgroup_processor_mode: 1
  - .args:
      - .actual_access:  write_only
        .address_space:  global
        .offset:         0
        .size:           8
        .value_kind:     global_buffer
      - .actual_access:  write_only
        .address_space:  global
        .offset:         8
        .size:           8
        .value_kind:     global_buffer
      - .actual_access:  write_only
        .address_space:  global
        .offset:         16
        .size:           8
        .value_kind:     global_buffer
      - .actual_access:  read_only
        .address_space:  global
        .offset:         24
        .size:           8
        .value_kind:     global_buffer
      - .actual_access:  read_only
        .address_space:  global
        .offset:         32
        .size:           8
        .value_kind:     global_buffer
      - .actual_access:  read_only
        .address_space:  global
        .offset:         40
        .size:           8
        .value_kind:     global_buffer
      - .offset:         48
        .size:           4
        .value_kind:     by_value
      - .offset:         52
        .size:           4
        .value_kind:     by_value
      - .actual_access:  read_only
        .address_space:  global
        .offset:         56
        .size:           8
        .value_kind:     global_buffer
      - .actual_access:  read_only
        .address_space:  global
        .offset:         64
        .size:           8
        .value_kind:     global_buffer
      - .offset:         72
        .size:           4
        .value_kind:     by_value
      - .actual_access:  read_only
        .address_space:  global
        .offset:         80
        .size:           8
        .value_kind:     global_buffer
      - .offset:         88
        .size:           4
        .value_kind:     by_value
      - .offset:         92
        .size:           4
        .value_kind:     by_value
      - .offset:         96
        .size:           4
        .value_kind:     by_value
      - .address_space:  global
        .offset:         104
        .size:           8
        .value_kind:     global_buffer
      - .address_space:  global
        .offset:         112
        .size:           8
        .value_kind:     global_buffer
      - .offset:         120
        .size:           4
        .value_kind:     by_value
      - .offset:         124
        .size:           4
        .value_kind:     by_value
      - .offset:         128
        .size:           4
        .value_kind:     by_value
      - .offset:         132
        .size:           4
        .value_kind:     by_value
      - .offset:         136
        .size:           4
        .value_kind:     by_value
      - .offset:         144
        .size:           4
        .value_kind:     hidden_block_count_x
      - .offset:         148
        .size:           4
        .value_kind:     hidden_block_count_y
      - .offset:         152
        .size:           4
        .value_kind:     hidden_block_count_z
      - .offset:         156
        .size:           2
        .value_kind:     hidden_group_size_x
      - .offset:         158
        .size:           2
        .value_kind:     hidden_group_size_y
      - .offset:         160
        .size:           2
        .value_kind:     hidden_group_size_z
      - .offset:         162
        .size:           2
        .value_kind:     hidden_remainder_x
      - .offset:         164
        .size:           2
        .value_kind:     hidden_remainder_y
      - .offset:         166
        .size:           2
        .value_kind:     hidden_remainder_z
      - .offset:         184
        .size:           8
        .value_kind:     hidden_global_offset_x
      - .offset:         192
        .size:           8
        .value_kind:     hidden_global_offset_y
      - .offset:         200
        .size:           8
        .value_kind:     hidden_global_offset_z
      - .offset:         208
        .size:           2
        .value_kind:     hidden_grid_dims
      - .offset:         264
        .size:           4
        .value_kind:     hidden_dynamic_lds_size
    .group_segment_fixed_size: 272
    .kernarg_segment_align: 8
    .kernarg_segment_size: 400
    .language:       OpenCL C
    .language_version:
      - 2
      - 0
    .max_flat_workgroup_size: 1024
    .name:           _ZN4vllm25paged_attention_v2_kernelI14__hip_bfloat16S1_Li120ELi8ELi128ELNS_18Fp8KVCacheDataTypeE0ELb1ELi512EEEvPfS3_PT_PKS4_PKT0_SA_ifPKiSC_iPKfiiiSE_SE_iiiii
    .private_segment_fixed_size: 0
    .sgpr_count:     48
    .sgpr_spill_count: 0
    .symbol:         _ZN4vllm25paged_attention_v2_kernelI14__hip_bfloat16S1_Li120ELi8ELi128ELNS_18Fp8KVCacheDataTypeE0ELb1ELi512EEEvPfS3_PT_PKS4_PKT0_SA_ifPKiSC_iPKfiiiSE_SE_iiiii.kd
    .uniform_work_group_size: 1
    .uses_dynamic_stack: false
    .vgpr_count:     68
    .vgpr_spill_count: 0
    .wavefront_size: 32
    .workgroup_processor_mode: 1
  - .args:
      - .actual_access:  write_only
        .address_space:  global
        .offset:         0
        .size:           8
        .value_kind:     global_buffer
      - .actual_access:  read_only
        .address_space:  global
        .offset:         8
        .size:           8
        .value_kind:     global_buffer
      - .actual_access:  read_only
        .address_space:  global
        .offset:         16
        .size:           8
        .value_kind:     global_buffer
      - .actual_access:  read_only
        .address_space:  global
        .offset:         24
        .size:           8
        .value_kind:     global_buffer
      - .actual_access:  read_only
        .address_space:  global
        .offset:         32
        .size:           8
        .value_kind:     global_buffer
      - .offset:         40
        .size:           4
        .value_kind:     by_value
      - .offset:         48
        .size:           4
        .value_kind:     hidden_block_count_x
      - .offset:         52
        .size:           4
        .value_kind:     hidden_block_count_y
      - .offset:         56
        .size:           4
        .value_kind:     hidden_block_count_z
      - .offset:         60
        .size:           2
        .value_kind:     hidden_group_size_x
      - .offset:         62
        .size:           2
        .value_kind:     hidden_group_size_y
      - .offset:         64
        .size:           2
        .value_kind:     hidden_group_size_z
      - .offset:         66
        .size:           2
        .value_kind:     hidden_remainder_x
      - .offset:         68
        .size:           2
        .value_kind:     hidden_remainder_y
      - .offset:         70
        .size:           2
        .value_kind:     hidden_remainder_z
      - .offset:         88
        .size:           8
        .value_kind:     hidden_global_offset_x
      - .offset:         96
        .size:           8
        .value_kind:     hidden_global_offset_y
      - .offset:         104
        .size:           8
        .value_kind:     hidden_global_offset_z
      - .offset:         112
        .size:           2
        .value_kind:     hidden_grid_dims
      - .offset:         168
        .size:           4
        .value_kind:     hidden_dynamic_lds_size
    .group_segment_fixed_size: 32
    .kernarg_segment_align: 8
    .kernarg_segment_size: 304
    .language:       OpenCL C
    .language_version:
      - 2
      - 0
    .max_flat_workgroup_size: 1024
    .name:           _ZN4vllm32paged_attention_v2_reduce_kernelI14__hip_bfloat16Li120ELi128ELi512EEEvPT_PKfS5_PKS2_PKii
    .private_segment_fixed_size: 0
    .sgpr_count:     31
    .sgpr_spill_count: 0
    .symbol:         _ZN4vllm32paged_attention_v2_reduce_kernelI14__hip_bfloat16Li120ELi128ELi512EEEvPT_PKfS5_PKS2_PKii.kd
    .uniform_work_group_size: 1
    .uses_dynamic_stack: false
    .vgpr_count:     19
    .vgpr_spill_count: 0
    .wavefront_size: 32
    .workgroup_processor_mode: 1
  - .args:
      - .actual_access:  write_only
        .address_space:  global
        .offset:         0
        .size:           8
        .value_kind:     global_buffer
      - .actual_access:  write_only
        .address_space:  global
        .offset:         8
        .size:           8
        .value_kind:     global_buffer
      - .actual_access:  write_only
        .address_space:  global
        .offset:         16
        .size:           8
        .value_kind:     global_buffer
      - .actual_access:  read_only
        .address_space:  global
        .offset:         24
        .size:           8
        .value_kind:     global_buffer
      - .actual_access:  read_only
        .address_space:  global
        .offset:         32
        .size:           8
        .value_kind:     global_buffer
      - .actual_access:  read_only
        .address_space:  global
        .offset:         40
        .size:           8
        .value_kind:     global_buffer
      - .offset:         48
        .size:           4
        .value_kind:     by_value
      - .offset:         52
        .size:           4
        .value_kind:     by_value
      - .actual_access:  read_only
        .address_space:  global
        .offset:         56
        .size:           8
        .value_kind:     global_buffer
      - .actual_access:  read_only
        .address_space:  global
        .offset:         64
        .size:           8
        .value_kind:     global_buffer
      - .offset:         72
        .size:           4
        .value_kind:     by_value
      - .actual_access:  read_only
        .address_space:  global
        .offset:         80
        .size:           8
        .value_kind:     global_buffer
      - .offset:         88
        .size:           4
        .value_kind:     by_value
      - .offset:         92
        .size:           4
        .value_kind:     by_value
      - .offset:         96
        .size:           4
        .value_kind:     by_value
      - .address_space:  global
        .offset:         104
        .size:           8
        .value_kind:     global_buffer
      - .address_space:  global
        .offset:         112
        .size:           8
        .value_kind:     global_buffer
      - .offset:         120
        .size:           4
        .value_kind:     by_value
      - .offset:         124
        .size:           4
        .value_kind:     by_value
      - .offset:         128
        .size:           4
        .value_kind:     by_value
      - .offset:         132
        .size:           4
        .value_kind:     by_value
      - .offset:         136
        .size:           4
        .value_kind:     by_value
      - .offset:         144
        .size:           4
        .value_kind:     hidden_block_count_x
      - .offset:         148
        .size:           4
        .value_kind:     hidden_block_count_y
      - .offset:         152
        .size:           4
        .value_kind:     hidden_block_count_z
      - .offset:         156
        .size:           2
        .value_kind:     hidden_group_size_x
      - .offset:         158
        .size:           2
        .value_kind:     hidden_group_size_y
      - .offset:         160
        .size:           2
        .value_kind:     hidden_group_size_z
      - .offset:         162
        .size:           2
        .value_kind:     hidden_remainder_x
      - .offset:         164
        .size:           2
        .value_kind:     hidden_remainder_y
      - .offset:         166
        .size:           2
        .value_kind:     hidden_remainder_z
      - .offset:         184
        .size:           8
        .value_kind:     hidden_global_offset_x
      - .offset:         192
        .size:           8
        .value_kind:     hidden_global_offset_y
      - .offset:         200
        .size:           8
        .value_kind:     hidden_global_offset_z
      - .offset:         208
        .size:           2
        .value_kind:     hidden_grid_dims
      - .offset:         264
        .size:           4
        .value_kind:     hidden_dynamic_lds_size
    .group_segment_fixed_size: 288
    .kernarg_segment_align: 8
    .kernarg_segment_size: 400
    .language:       OpenCL C
    .language_version:
      - 2
      - 0
    .max_flat_workgroup_size: 1024
    .name:           _ZN4vllm25paged_attention_v2_kernelI14__hip_bfloat16S1_Li128ELi8ELi128ELNS_18Fp8KVCacheDataTypeE0ELb1ELi512EEEvPfS3_PT_PKS4_PKT0_SA_ifPKiSC_iPKfiiiSE_SE_iiiii
    .private_segment_fixed_size: 0
    .sgpr_count:     50
    .sgpr_spill_count: 0
    .symbol:         _ZN4vllm25paged_attention_v2_kernelI14__hip_bfloat16S1_Li128ELi8ELi128ELNS_18Fp8KVCacheDataTypeE0ELb1ELi512EEEvPfS3_PT_PKS4_PKT0_SA_ifPKiSC_iPKfiiiSE_SE_iiiii.kd
    .uniform_work_group_size: 1
    .uses_dynamic_stack: false
    .vgpr_count:     72
    .vgpr_spill_count: 0
    .wavefront_size: 32
    .workgroup_processor_mode: 1
  - .args:
      - .actual_access:  write_only
        .address_space:  global
        .offset:         0
        .size:           8
        .value_kind:     global_buffer
      - .actual_access:  read_only
        .address_space:  global
        .offset:         8
        .size:           8
        .value_kind:     global_buffer
      - .actual_access:  read_only
        .address_space:  global
        .offset:         16
        .size:           8
        .value_kind:     global_buffer
      - .actual_access:  read_only
        .address_space:  global
        .offset:         24
        .size:           8
        .value_kind:     global_buffer
      - .actual_access:  read_only
        .address_space:  global
        .offset:         32
        .size:           8
        .value_kind:     global_buffer
      - .offset:         40
        .size:           4
        .value_kind:     by_value
      - .offset:         48
        .size:           4
        .value_kind:     hidden_block_count_x
      - .offset:         52
        .size:           4
        .value_kind:     hidden_block_count_y
      - .offset:         56
        .size:           4
        .value_kind:     hidden_block_count_z
      - .offset:         60
        .size:           2
        .value_kind:     hidden_group_size_x
      - .offset:         62
        .size:           2
        .value_kind:     hidden_group_size_y
      - .offset:         64
        .size:           2
        .value_kind:     hidden_group_size_z
      - .offset:         66
        .size:           2
        .value_kind:     hidden_remainder_x
      - .offset:         68
        .size:           2
        .value_kind:     hidden_remainder_y
      - .offset:         70
        .size:           2
        .value_kind:     hidden_remainder_z
      - .offset:         88
        .size:           8
        .value_kind:     hidden_global_offset_x
      - .offset:         96
        .size:           8
        .value_kind:     hidden_global_offset_y
      - .offset:         104
        .size:           8
        .value_kind:     hidden_global_offset_z
      - .offset:         112
        .size:           2
        .value_kind:     hidden_grid_dims
      - .offset:         168
        .size:           4
        .value_kind:     hidden_dynamic_lds_size
    .group_segment_fixed_size: 32
    .kernarg_segment_align: 8
    .kernarg_segment_size: 304
    .language:       OpenCL C
    .language_version:
      - 2
      - 0
    .max_flat_workgroup_size: 1024
    .name:           _ZN4vllm32paged_attention_v2_reduce_kernelI14__hip_bfloat16Li128ELi128ELi512EEEvPT_PKfS5_PKS2_PKii
    .private_segment_fixed_size: 0
    .sgpr_count:     31
    .sgpr_spill_count: 0
    .symbol:         _ZN4vllm32paged_attention_v2_reduce_kernelI14__hip_bfloat16Li128ELi128ELi512EEEvPT_PKfS5_PKS2_PKii.kd
    .uniform_work_group_size: 1
    .uses_dynamic_stack: false
    .vgpr_count:     19
    .vgpr_spill_count: 0
    .wavefront_size: 32
    .workgroup_processor_mode: 1
  - .args:
      - .actual_access:  write_only
        .address_space:  global
        .offset:         0
        .size:           8
        .value_kind:     global_buffer
      - .actual_access:  write_only
        .address_space:  global
        .offset:         8
        .size:           8
        .value_kind:     global_buffer
      - .actual_access:  write_only
        .address_space:  global
        .offset:         16
        .size:           8
        .value_kind:     global_buffer
      - .actual_access:  read_only
        .address_space:  global
        .offset:         24
        .size:           8
        .value_kind:     global_buffer
      - .actual_access:  read_only
        .address_space:  global
        .offset:         32
        .size:           8
        .value_kind:     global_buffer
      - .actual_access:  read_only
        .address_space:  global
        .offset:         40
        .size:           8
        .value_kind:     global_buffer
      - .offset:         48
        .size:           4
        .value_kind:     by_value
      - .offset:         52
        .size:           4
        .value_kind:     by_value
      - .actual_access:  read_only
        .address_space:  global
        .offset:         56
        .size:           8
        .value_kind:     global_buffer
      - .actual_access:  read_only
        .address_space:  global
        .offset:         64
        .size:           8
        .value_kind:     global_buffer
      - .offset:         72
        .size:           4
        .value_kind:     by_value
      - .actual_access:  read_only
        .address_space:  global
        .offset:         80
        .size:           8
        .value_kind:     global_buffer
      - .offset:         88
        .size:           4
        .value_kind:     by_value
      - .offset:         92
        .size:           4
        .value_kind:     by_value
      - .offset:         96
        .size:           4
        .value_kind:     by_value
      - .address_space:  global
        .offset:         104
        .size:           8
        .value_kind:     global_buffer
      - .address_space:  global
        .offset:         112
        .size:           8
        .value_kind:     global_buffer
      - .offset:         120
        .size:           4
        .value_kind:     by_value
      - .offset:         124
        .size:           4
        .value_kind:     by_value
      - .offset:         128
        .size:           4
        .value_kind:     by_value
      - .offset:         132
        .size:           4
        .value_kind:     by_value
      - .offset:         136
        .size:           4
        .value_kind:     by_value
      - .offset:         144
        .size:           4
        .value_kind:     hidden_block_count_x
      - .offset:         148
        .size:           4
        .value_kind:     hidden_block_count_y
      - .offset:         152
        .size:           4
        .value_kind:     hidden_block_count_z
      - .offset:         156
        .size:           2
        .value_kind:     hidden_group_size_x
      - .offset:         158
        .size:           2
        .value_kind:     hidden_group_size_y
      - .offset:         160
        .size:           2
        .value_kind:     hidden_group_size_z
      - .offset:         162
        .size:           2
        .value_kind:     hidden_remainder_x
      - .offset:         164
        .size:           2
        .value_kind:     hidden_remainder_y
      - .offset:         166
        .size:           2
        .value_kind:     hidden_remainder_z
      - .offset:         184
        .size:           8
        .value_kind:     hidden_global_offset_x
      - .offset:         192
        .size:           8
        .value_kind:     hidden_global_offset_y
      - .offset:         200
        .size:           8
        .value_kind:     hidden_global_offset_z
      - .offset:         208
        .size:           2
        .value_kind:     hidden_grid_dims
      - .offset:         264
        .size:           4
        .value_kind:     hidden_dynamic_lds_size
    .group_segment_fixed_size: 416
    .kernarg_segment_align: 8
    .kernarg_segment_size: 400
    .language:       OpenCL C
    .language_version:
      - 2
      - 0
    .max_flat_workgroup_size: 1024
    .name:           _ZN4vllm25paged_attention_v2_kernelI14__hip_bfloat16S1_Li192ELi8ELi128ELNS_18Fp8KVCacheDataTypeE0ELb1ELi512EEEvPfS3_PT_PKS4_PKT0_SA_ifPKiSC_iPKfiiiSE_SE_iiiii
    .private_segment_fixed_size: 0
    .sgpr_count:     48
    .sgpr_spill_count: 0
    .symbol:         _ZN4vllm25paged_attention_v2_kernelI14__hip_bfloat16S1_Li192ELi8ELi128ELNS_18Fp8KVCacheDataTypeE0ELb1ELi512EEEvPfS3_PT_PKS4_PKT0_SA_ifPKiSC_iPKfiiiSE_SE_iiiii.kd
    .uniform_work_group_size: 1
    .uses_dynamic_stack: false
    .vgpr_count:     95
    .vgpr_spill_count: 0
    .wavefront_size: 32
    .workgroup_processor_mode: 1
  - .args:
      - .actual_access:  write_only
        .address_space:  global
        .offset:         0
        .size:           8
        .value_kind:     global_buffer
      - .actual_access:  read_only
        .address_space:  global
        .offset:         8
        .size:           8
        .value_kind:     global_buffer
      - .actual_access:  read_only
        .address_space:  global
        .offset:         16
        .size:           8
        .value_kind:     global_buffer
      - .actual_access:  read_only
        .address_space:  global
        .offset:         24
        .size:           8
        .value_kind:     global_buffer
      - .actual_access:  read_only
        .address_space:  global
        .offset:         32
        .size:           8
        .value_kind:     global_buffer
      - .offset:         40
        .size:           4
        .value_kind:     by_value
      - .offset:         48
        .size:           4
        .value_kind:     hidden_block_count_x
      - .offset:         52
        .size:           4
        .value_kind:     hidden_block_count_y
      - .offset:         56
        .size:           4
        .value_kind:     hidden_block_count_z
      - .offset:         60
        .size:           2
        .value_kind:     hidden_group_size_x
      - .offset:         62
        .size:           2
        .value_kind:     hidden_group_size_y
      - .offset:         64
        .size:           2
        .value_kind:     hidden_group_size_z
      - .offset:         66
        .size:           2
        .value_kind:     hidden_remainder_x
      - .offset:         68
        .size:           2
        .value_kind:     hidden_remainder_y
      - .offset:         70
        .size:           2
        .value_kind:     hidden_remainder_z
      - .offset:         88
        .size:           8
        .value_kind:     hidden_global_offset_x
      - .offset:         96
        .size:           8
        .value_kind:     hidden_global_offset_y
      - .offset:         104
        .size:           8
        .value_kind:     hidden_global_offset_z
      - .offset:         112
        .size:           2
        .value_kind:     hidden_grid_dims
      - .offset:         168
        .size:           4
        .value_kind:     hidden_dynamic_lds_size
    .group_segment_fixed_size: 32
    .kernarg_segment_align: 8
    .kernarg_segment_size: 304
    .language:       OpenCL C
    .language_version:
      - 2
      - 0
    .max_flat_workgroup_size: 1024
    .name:           _ZN4vllm32paged_attention_v2_reduce_kernelI14__hip_bfloat16Li192ELi128ELi512EEEvPT_PKfS5_PKS2_PKii
    .private_segment_fixed_size: 0
    .sgpr_count:     31
    .sgpr_spill_count: 0
    .symbol:         _ZN4vllm32paged_attention_v2_reduce_kernelI14__hip_bfloat16Li192ELi128ELi512EEEvPT_PKfS5_PKS2_PKii.kd
    .uniform_work_group_size: 1
    .uses_dynamic_stack: false
    .vgpr_count:     19
    .vgpr_spill_count: 0
    .wavefront_size: 32
    .workgroup_processor_mode: 1
  - .args:
      - .actual_access:  write_only
        .address_space:  global
        .offset:         0
        .size:           8
        .value_kind:     global_buffer
      - .actual_access:  write_only
        .address_space:  global
        .offset:         8
        .size:           8
        .value_kind:     global_buffer
      - .actual_access:  write_only
        .address_space:  global
        .offset:         16
        .size:           8
        .value_kind:     global_buffer
      - .actual_access:  read_only
        .address_space:  global
        .offset:         24
        .size:           8
        .value_kind:     global_buffer
      - .actual_access:  read_only
        .address_space:  global
        .offset:         32
        .size:           8
        .value_kind:     global_buffer
      - .actual_access:  read_only
        .address_space:  global
        .offset:         40
        .size:           8
        .value_kind:     global_buffer
      - .offset:         48
        .size:           4
        .value_kind:     by_value
      - .offset:         52
        .size:           4
        .value_kind:     by_value
      - .actual_access:  read_only
        .address_space:  global
        .offset:         56
        .size:           8
        .value_kind:     global_buffer
      - .actual_access:  read_only
        .address_space:  global
        .offset:         64
        .size:           8
        .value_kind:     global_buffer
      - .offset:         72
        .size:           4
        .value_kind:     by_value
      - .actual_access:  read_only
        .address_space:  global
        .offset:         80
        .size:           8
        .value_kind:     global_buffer
      - .offset:         88
        .size:           4
        .value_kind:     by_value
      - .offset:         92
        .size:           4
        .value_kind:     by_value
      - .offset:         96
        .size:           4
        .value_kind:     by_value
      - .address_space:  global
        .offset:         104
        .size:           8
        .value_kind:     global_buffer
      - .address_space:  global
        .offset:         112
        .size:           8
        .value_kind:     global_buffer
      - .offset:         120
        .size:           4
        .value_kind:     by_value
      - .offset:         124
        .size:           4
        .value_kind:     by_value
      - .offset:         128
        .size:           4
        .value_kind:     by_value
      - .offset:         132
        .size:           4
        .value_kind:     by_value
      - .offset:         136
        .size:           4
        .value_kind:     by_value
      - .offset:         144
        .size:           4
        .value_kind:     hidden_block_count_x
      - .offset:         148
        .size:           4
        .value_kind:     hidden_block_count_y
      - .offset:         152
        .size:           4
        .value_kind:     hidden_block_count_z
      - .offset:         156
        .size:           2
        .value_kind:     hidden_group_size_x
      - .offset:         158
        .size:           2
        .value_kind:     hidden_group_size_y
      - .offset:         160
        .size:           2
        .value_kind:     hidden_group_size_z
      - .offset:         162
        .size:           2
        .value_kind:     hidden_remainder_x
      - .offset:         164
        .size:           2
        .value_kind:     hidden_remainder_y
      - .offset:         166
        .size:           2
        .value_kind:     hidden_remainder_z
      - .offset:         184
        .size:           8
        .value_kind:     hidden_global_offset_x
      - .offset:         192
        .size:           8
        .value_kind:     hidden_global_offset_y
      - .offset:         200
        .size:           8
        .value_kind:     hidden_global_offset_z
      - .offset:         208
        .size:           2
        .value_kind:     hidden_grid_dims
      - .offset:         264
        .size:           4
        .value_kind:     hidden_dynamic_lds_size
    .group_segment_fixed_size: 544
    .kernarg_segment_align: 8
    .kernarg_segment_size: 400
    .language:       OpenCL C
    .language_version:
      - 2
      - 0
    .max_flat_workgroup_size: 1024
    .name:           _ZN4vllm25paged_attention_v2_kernelI14__hip_bfloat16S1_Li256ELi8ELi128ELNS_18Fp8KVCacheDataTypeE0ELb1ELi512EEEvPfS3_PT_PKS4_PKT0_SA_ifPKiSC_iPKfiiiSE_SE_iiiii
    .private_segment_fixed_size: 0
    .sgpr_count:     48
    .sgpr_spill_count: 0
    .symbol:         _ZN4vllm25paged_attention_v2_kernelI14__hip_bfloat16S1_Li256ELi8ELi128ELNS_18Fp8KVCacheDataTypeE0ELb1ELi512EEEvPfS3_PT_PKS4_PKT0_SA_ifPKiSC_iPKfiiiSE_SE_iiiii.kd
    .uniform_work_group_size: 1
    .uses_dynamic_stack: false
    .vgpr_count:     110
    .vgpr_spill_count: 0
    .wavefront_size: 32
    .workgroup_processor_mode: 1
  - .args:
      - .actual_access:  write_only
        .address_space:  global
        .offset:         0
        .size:           8
        .value_kind:     global_buffer
      - .actual_access:  read_only
        .address_space:  global
        .offset:         8
        .size:           8
        .value_kind:     global_buffer
      - .actual_access:  read_only
        .address_space:  global
        .offset:         16
        .size:           8
        .value_kind:     global_buffer
      - .actual_access:  read_only
        .address_space:  global
        .offset:         24
        .size:           8
        .value_kind:     global_buffer
      - .actual_access:  read_only
        .address_space:  global
        .offset:         32
        .size:           8
        .value_kind:     global_buffer
      - .offset:         40
        .size:           4
        .value_kind:     by_value
      - .offset:         48
        .size:           4
        .value_kind:     hidden_block_count_x
      - .offset:         52
        .size:           4
        .value_kind:     hidden_block_count_y
      - .offset:         56
        .size:           4
        .value_kind:     hidden_block_count_z
      - .offset:         60
        .size:           2
        .value_kind:     hidden_group_size_x
      - .offset:         62
        .size:           2
        .value_kind:     hidden_group_size_y
      - .offset:         64
        .size:           2
        .value_kind:     hidden_group_size_z
      - .offset:         66
        .size:           2
        .value_kind:     hidden_remainder_x
      - .offset:         68
        .size:           2
        .value_kind:     hidden_remainder_y
      - .offset:         70
        .size:           2
        .value_kind:     hidden_remainder_z
      - .offset:         88
        .size:           8
        .value_kind:     hidden_global_offset_x
      - .offset:         96
        .size:           8
        .value_kind:     hidden_global_offset_y
      - .offset:         104
        .size:           8
        .value_kind:     hidden_global_offset_z
      - .offset:         112
        .size:           2
        .value_kind:     hidden_grid_dims
      - .offset:         168
        .size:           4
        .value_kind:     hidden_dynamic_lds_size
    .group_segment_fixed_size: 32
    .kernarg_segment_align: 8
    .kernarg_segment_size: 304
    .language:       OpenCL C
    .language_version:
      - 2
      - 0
    .max_flat_workgroup_size: 1024
    .name:           _ZN4vllm32paged_attention_v2_reduce_kernelI14__hip_bfloat16Li256ELi128ELi512EEEvPT_PKfS5_PKS2_PKii
    .private_segment_fixed_size: 0
    .sgpr_count:     31
    .sgpr_spill_count: 0
    .symbol:         _ZN4vllm32paged_attention_v2_reduce_kernelI14__hip_bfloat16Li256ELi128ELi512EEEvPT_PKfS5_PKS2_PKii.kd
    .uniform_work_group_size: 1
    .uses_dynamic_stack: false
    .vgpr_count:     19
    .vgpr_spill_count: 0
    .wavefront_size: 32
    .workgroup_processor_mode: 1
  - .args:
      - .actual_access:  write_only
        .address_space:  global
        .offset:         0
        .size:           8
        .value_kind:     global_buffer
      - .actual_access:  write_only
        .address_space:  global
        .offset:         8
        .size:           8
        .value_kind:     global_buffer
      - .actual_access:  write_only
        .address_space:  global
        .offset:         16
        .size:           8
        .value_kind:     global_buffer
      - .actual_access:  read_only
        .address_space:  global
        .offset:         24
        .size:           8
        .value_kind:     global_buffer
      - .actual_access:  read_only
        .address_space:  global
        .offset:         32
        .size:           8
        .value_kind:     global_buffer
      - .actual_access:  read_only
        .address_space:  global
        .offset:         40
        .size:           8
        .value_kind:     global_buffer
      - .offset:         48
        .size:           4
        .value_kind:     by_value
      - .offset:         52
        .size:           4
        .value_kind:     by_value
      - .actual_access:  read_only
        .address_space:  global
        .offset:         56
        .size:           8
        .value_kind:     global_buffer
      - .actual_access:  read_only
        .address_space:  global
        .offset:         64
        .size:           8
        .value_kind:     global_buffer
      - .offset:         72
        .size:           4
        .value_kind:     by_value
      - .actual_access:  read_only
        .address_space:  global
        .offset:         80
        .size:           8
        .value_kind:     global_buffer
      - .offset:         88
        .size:           4
        .value_kind:     by_value
      - .offset:         92
        .size:           4
        .value_kind:     by_value
      - .offset:         96
        .size:           4
        .value_kind:     by_value
      - .address_space:  global
        .offset:         104
        .size:           8
        .value_kind:     global_buffer
      - .address_space:  global
        .offset:         112
        .size:           8
        .value_kind:     global_buffer
      - .offset:         120
        .size:           4
        .value_kind:     by_value
      - .offset:         124
        .size:           4
        .value_kind:     by_value
      - .offset:         128
        .size:           4
        .value_kind:     by_value
      - .offset:         132
        .size:           4
        .value_kind:     by_value
      - .offset:         136
        .size:           4
        .value_kind:     by_value
      - .offset:         144
        .size:           4
        .value_kind:     hidden_block_count_x
      - .offset:         148
        .size:           4
        .value_kind:     hidden_block_count_y
      - .offset:         152
        .size:           4
        .value_kind:     hidden_block_count_z
      - .offset:         156
        .size:           2
        .value_kind:     hidden_group_size_x
      - .offset:         158
        .size:           2
        .value_kind:     hidden_group_size_y
      - .offset:         160
        .size:           2
        .value_kind:     hidden_group_size_z
      - .offset:         162
        .size:           2
        .value_kind:     hidden_remainder_x
      - .offset:         164
        .size:           2
        .value_kind:     hidden_remainder_y
      - .offset:         166
        .size:           2
        .value_kind:     hidden_remainder_z
      - .offset:         184
        .size:           8
        .value_kind:     hidden_global_offset_x
      - .offset:         192
        .size:           8
        .value_kind:     hidden_global_offset_y
      - .offset:         200
        .size:           8
        .value_kind:     hidden_global_offset_z
      - .offset:         208
        .size:           2
        .value_kind:     hidden_grid_dims
      - .offset:         264
        .size:           4
        .value_kind:     hidden_dynamic_lds_size
    .group_segment_fixed_size: 96
    .kernarg_segment_align: 8
    .kernarg_segment_size: 400
    .language:       OpenCL C
    .language_version:
      - 2
      - 0
    .max_flat_workgroup_size: 1024
    .name:           _ZN4vllm25paged_attention_v2_kernelI14__hip_bfloat16S1_Li32ELi8ELi128ELNS_18Fp8KVCacheDataTypeE0ELb0ELi512EEEvPfS3_PT_PKS4_PKT0_SA_ifPKiSC_iPKfiiiSE_SE_iiiii
    .private_segment_fixed_size: 0
    .sgpr_count:     40
    .sgpr_spill_count: 0
    .symbol:         _ZN4vllm25paged_attention_v2_kernelI14__hip_bfloat16S1_Li32ELi8ELi128ELNS_18Fp8KVCacheDataTypeE0ELb0ELi512EEEvPfS3_PT_PKS4_PKT0_SA_ifPKiSC_iPKfiiiSE_SE_iiiii.kd
    .uniform_work_group_size: 1
    .uses_dynamic_stack: false
    .vgpr_count:     32
    .vgpr_spill_count: 0
    .wavefront_size: 32
    .workgroup_processor_mode: 1
  - .args:
      - .actual_access:  write_only
        .address_space:  global
        .offset:         0
        .size:           8
        .value_kind:     global_buffer
      - .actual_access:  write_only
        .address_space:  global
        .offset:         8
        .size:           8
        .value_kind:     global_buffer
      - .actual_access:  write_only
        .address_space:  global
        .offset:         16
        .size:           8
        .value_kind:     global_buffer
      - .actual_access:  read_only
        .address_space:  global
        .offset:         24
        .size:           8
        .value_kind:     global_buffer
      - .actual_access:  read_only
        .address_space:  global
        .offset:         32
        .size:           8
        .value_kind:     global_buffer
      - .actual_access:  read_only
        .address_space:  global
        .offset:         40
        .size:           8
        .value_kind:     global_buffer
      - .offset:         48
        .size:           4
        .value_kind:     by_value
      - .offset:         52
        .size:           4
        .value_kind:     by_value
      - .actual_access:  read_only
        .address_space:  global
        .offset:         56
        .size:           8
        .value_kind:     global_buffer
      - .actual_access:  read_only
        .address_space:  global
        .offset:         64
        .size:           8
        .value_kind:     global_buffer
      - .offset:         72
        .size:           4
        .value_kind:     by_value
      - .actual_access:  read_only
        .address_space:  global
        .offset:         80
        .size:           8
        .value_kind:     global_buffer
      - .offset:         88
        .size:           4
        .value_kind:     by_value
      - .offset:         92
        .size:           4
        .value_kind:     by_value
      - .offset:         96
        .size:           4
        .value_kind:     by_value
      - .address_space:  global
        .offset:         104
        .size:           8
        .value_kind:     global_buffer
      - .address_space:  global
        .offset:         112
        .size:           8
        .value_kind:     global_buffer
      - .offset:         120
        .size:           4
        .value_kind:     by_value
      - .offset:         124
        .size:           4
        .value_kind:     by_value
      - .offset:         128
        .size:           4
        .value_kind:     by_value
      - .offset:         132
        .size:           4
        .value_kind:     by_value
      - .offset:         136
        .size:           4
        .value_kind:     by_value
      - .offset:         144
        .size:           4
        .value_kind:     hidden_block_count_x
      - .offset:         148
        .size:           4
        .value_kind:     hidden_block_count_y
      - .offset:         152
        .size:           4
        .value_kind:     hidden_block_count_z
      - .offset:         156
        .size:           2
        .value_kind:     hidden_group_size_x
      - .offset:         158
        .size:           2
        .value_kind:     hidden_group_size_y
      - .offset:         160
        .size:           2
        .value_kind:     hidden_group_size_z
      - .offset:         162
        .size:           2
        .value_kind:     hidden_remainder_x
      - .offset:         164
        .size:           2
        .value_kind:     hidden_remainder_y
      - .offset:         166
        .size:           2
        .value_kind:     hidden_remainder_z
      - .offset:         184
        .size:           8
        .value_kind:     hidden_global_offset_x
      - .offset:         192
        .size:           8
        .value_kind:     hidden_global_offset_y
      - .offset:         200
        .size:           8
        .value_kind:     hidden_global_offset_z
      - .offset:         208
        .size:           2
        .value_kind:     hidden_grid_dims
      - .offset:         264
        .size:           4
        .value_kind:     hidden_dynamic_lds_size
    .group_segment_fixed_size: 160
    .kernarg_segment_align: 8
    .kernarg_segment_size: 400
    .language:       OpenCL C
    .language_version:
      - 2
      - 0
    .max_flat_workgroup_size: 1024
    .name:           _ZN4vllm25paged_attention_v2_kernelI14__hip_bfloat16S1_Li64ELi8ELi128ELNS_18Fp8KVCacheDataTypeE0ELb0ELi512EEEvPfS3_PT_PKS4_PKT0_SA_ifPKiSC_iPKfiiiSE_SE_iiiii
    .private_segment_fixed_size: 0
    .sgpr_count:     42
    .sgpr_spill_count: 0
    .symbol:         _ZN4vllm25paged_attention_v2_kernelI14__hip_bfloat16S1_Li64ELi8ELi128ELNS_18Fp8KVCacheDataTypeE0ELb0ELi512EEEvPfS3_PT_PKS4_PKT0_SA_ifPKiSC_iPKfiiiSE_SE_iiiii.kd
    .uniform_work_group_size: 1
    .uses_dynamic_stack: false
    .vgpr_count:     45
    .vgpr_spill_count: 0
    .wavefront_size: 32
    .workgroup_processor_mode: 1
  - .args:
      - .actual_access:  write_only
        .address_space:  global
        .offset:         0
        .size:           8
        .value_kind:     global_buffer
      - .actual_access:  write_only
        .address_space:  global
        .offset:         8
        .size:           8
        .value_kind:     global_buffer
      - .actual_access:  write_only
        .address_space:  global
        .offset:         16
        .size:           8
        .value_kind:     global_buffer
      - .actual_access:  read_only
        .address_space:  global
        .offset:         24
        .size:           8
        .value_kind:     global_buffer
      - .actual_access:  read_only
        .address_space:  global
        .offset:         32
        .size:           8
        .value_kind:     global_buffer
      - .actual_access:  read_only
        .address_space:  global
        .offset:         40
        .size:           8
        .value_kind:     global_buffer
      - .offset:         48
        .size:           4
        .value_kind:     by_value
      - .offset:         52
        .size:           4
        .value_kind:     by_value
      - .actual_access:  read_only
        .address_space:  global
        .offset:         56
        .size:           8
        .value_kind:     global_buffer
      - .actual_access:  read_only
        .address_space:  global
        .offset:         64
        .size:           8
        .value_kind:     global_buffer
      - .offset:         72
        .size:           4
        .value_kind:     by_value
      - .actual_access:  read_only
        .address_space:  global
        .offset:         80
        .size:           8
        .value_kind:     global_buffer
      - .offset:         88
        .size:           4
        .value_kind:     by_value
      - .offset:         92
        .size:           4
        .value_kind:     by_value
      - .offset:         96
        .size:           4
        .value_kind:     by_value
      - .address_space:  global
        .offset:         104
        .size:           8
        .value_kind:     global_buffer
      - .address_space:  global
        .offset:         112
        .size:           8
        .value_kind:     global_buffer
      - .offset:         120
        .size:           4
        .value_kind:     by_value
      - .offset:         124
        .size:           4
        .value_kind:     by_value
      - .offset:         128
        .size:           4
        .value_kind:     by_value
      - .offset:         132
        .size:           4
        .value_kind:     by_value
      - .offset:         136
        .size:           4
        .value_kind:     by_value
      - .offset:         144
        .size:           4
        .value_kind:     hidden_block_count_x
      - .offset:         148
        .size:           4
        .value_kind:     hidden_block_count_y
      - .offset:         152
        .size:           4
        .value_kind:     hidden_block_count_z
      - .offset:         156
        .size:           2
        .value_kind:     hidden_group_size_x
      - .offset:         158
        .size:           2
        .value_kind:     hidden_group_size_y
      - .offset:         160
        .size:           2
        .value_kind:     hidden_group_size_z
      - .offset:         162
        .size:           2
        .value_kind:     hidden_remainder_x
      - .offset:         164
        .size:           2
        .value_kind:     hidden_remainder_y
      - .offset:         166
        .size:           2
        .value_kind:     hidden_remainder_z
      - .offset:         184
        .size:           8
        .value_kind:     hidden_global_offset_x
      - .offset:         192
        .size:           8
        .value_kind:     hidden_global_offset_y
      - .offset:         200
        .size:           8
        .value_kind:     hidden_global_offset_z
      - .offset:         208
        .size:           2
        .value_kind:     hidden_grid_dims
      - .offset:         264
        .size:           4
        .value_kind:     hidden_dynamic_lds_size
    .group_segment_fixed_size: 192
    .kernarg_segment_align: 8
    .kernarg_segment_size: 400
    .language:       OpenCL C
    .language_version:
      - 2
      - 0
    .max_flat_workgroup_size: 1024
    .name:           _ZN4vllm25paged_attention_v2_kernelI14__hip_bfloat16S1_Li80ELi8ELi128ELNS_18Fp8KVCacheDataTypeE0ELb0ELi512EEEvPfS3_PT_PKS4_PKT0_SA_ifPKiSC_iPKfiiiSE_SE_iiiii
    .private_segment_fixed_size: 0
    .sgpr_count:     42
    .sgpr_spill_count: 0
    .symbol:         _ZN4vllm25paged_attention_v2_kernelI14__hip_bfloat16S1_Li80ELi8ELi128ELNS_18Fp8KVCacheDataTypeE0ELb0ELi512EEEvPfS3_PT_PKS4_PKT0_SA_ifPKiSC_iPKfiiiSE_SE_iiiii.kd
    .uniform_work_group_size: 1
    .uses_dynamic_stack: false
    .vgpr_count:     50
    .vgpr_spill_count: 0
    .wavefront_size: 32
    .workgroup_processor_mode: 1
  - .args:
      - .actual_access:  write_only
        .address_space:  global
        .offset:         0
        .size:           8
        .value_kind:     global_buffer
      - .actual_access:  write_only
        .address_space:  global
        .offset:         8
        .size:           8
        .value_kind:     global_buffer
      - .actual_access:  write_only
        .address_space:  global
        .offset:         16
        .size:           8
        .value_kind:     global_buffer
      - .actual_access:  read_only
        .address_space:  global
        .offset:         24
        .size:           8
        .value_kind:     global_buffer
      - .actual_access:  read_only
        .address_space:  global
        .offset:         32
        .size:           8
        .value_kind:     global_buffer
      - .actual_access:  read_only
        .address_space:  global
        .offset:         40
        .size:           8
        .value_kind:     global_buffer
      - .offset:         48
        .size:           4
        .value_kind:     by_value
      - .offset:         52
        .size:           4
        .value_kind:     by_value
      - .actual_access:  read_only
        .address_space:  global
        .offset:         56
        .size:           8
        .value_kind:     global_buffer
      - .actual_access:  read_only
        .address_space:  global
        .offset:         64
        .size:           8
        .value_kind:     global_buffer
      - .offset:         72
        .size:           4
        .value_kind:     by_value
      - .actual_access:  read_only
        .address_space:  global
        .offset:         80
        .size:           8
        .value_kind:     global_buffer
      - .offset:         88
        .size:           4
        .value_kind:     by_value
      - .offset:         92
        .size:           4
        .value_kind:     by_value
      - .offset:         96
        .size:           4
        .value_kind:     by_value
      - .address_space:  global
        .offset:         104
        .size:           8
        .value_kind:     global_buffer
      - .address_space:  global
        .offset:         112
        .size:           8
        .value_kind:     global_buffer
      - .offset:         120
        .size:           4
        .value_kind:     by_value
      - .offset:         124
        .size:           4
        .value_kind:     by_value
      - .offset:         128
        .size:           4
        .value_kind:     by_value
      - .offset:         132
        .size:           4
        .value_kind:     by_value
      - .offset:         136
        .size:           4
        .value_kind:     by_value
      - .offset:         144
        .size:           4
        .value_kind:     hidden_block_count_x
      - .offset:         148
        .size:           4
        .value_kind:     hidden_block_count_y
      - .offset:         152
        .size:           4
        .value_kind:     hidden_block_count_z
      - .offset:         156
        .size:           2
        .value_kind:     hidden_group_size_x
      - .offset:         158
        .size:           2
        .value_kind:     hidden_group_size_y
      - .offset:         160
        .size:           2
        .value_kind:     hidden_group_size_z
      - .offset:         162
        .size:           2
        .value_kind:     hidden_remainder_x
      - .offset:         164
        .size:           2
        .value_kind:     hidden_remainder_y
      - .offset:         166
        .size:           2
        .value_kind:     hidden_remainder_z
      - .offset:         184
        .size:           8
        .value_kind:     hidden_global_offset_x
      - .offset:         192
        .size:           8
        .value_kind:     hidden_global_offset_y
      - .offset:         200
        .size:           8
        .value_kind:     hidden_global_offset_z
      - .offset:         208
        .size:           2
        .value_kind:     hidden_grid_dims
      - .offset:         264
        .size:           4
        .value_kind:     hidden_dynamic_lds_size
    .group_segment_fixed_size: 224
    .kernarg_segment_align: 8
    .kernarg_segment_size: 400
    .language:       OpenCL C
    .language_version:
      - 2
      - 0
    .max_flat_workgroup_size: 1024
    .name:           _ZN4vllm25paged_attention_v2_kernelI14__hip_bfloat16S1_Li96ELi8ELi128ELNS_18Fp8KVCacheDataTypeE0ELb0ELi512EEEvPfS3_PT_PKS4_PKT0_SA_ifPKiSC_iPKfiiiSE_SE_iiiii
    .private_segment_fixed_size: 0
    .sgpr_count:     40
    .sgpr_spill_count: 0
    .symbol:         _ZN4vllm25paged_attention_v2_kernelI14__hip_bfloat16S1_Li96ELi8ELi128ELNS_18Fp8KVCacheDataTypeE0ELb0ELi512EEEvPfS3_PT_PKS4_PKT0_SA_ifPKiSC_iPKfiiiSE_SE_iiiii.kd
    .uniform_work_group_size: 1
    .uses_dynamic_stack: false
    .vgpr_count:     56
    .vgpr_spill_count: 0
    .wavefront_size: 32
    .workgroup_processor_mode: 1
  - .args:
      - .actual_access:  write_only
        .address_space:  global
        .offset:         0
        .size:           8
        .value_kind:     global_buffer
      - .actual_access:  write_only
        .address_space:  global
        .offset:         8
        .size:           8
        .value_kind:     global_buffer
      - .actual_access:  write_only
        .address_space:  global
        .offset:         16
        .size:           8
        .value_kind:     global_buffer
      - .actual_access:  read_only
        .address_space:  global
        .offset:         24
        .size:           8
        .value_kind:     global_buffer
      - .actual_access:  read_only
        .address_space:  global
        .offset:         32
        .size:           8
        .value_kind:     global_buffer
      - .actual_access:  read_only
        .address_space:  global
        .offset:         40
        .size:           8
        .value_kind:     global_buffer
      - .offset:         48
        .size:           4
        .value_kind:     by_value
      - .offset:         52
        .size:           4
        .value_kind:     by_value
      - .actual_access:  read_only
        .address_space:  global
        .offset:         56
        .size:           8
        .value_kind:     global_buffer
      - .actual_access:  read_only
        .address_space:  global
        .offset:         64
        .size:           8
        .value_kind:     global_buffer
      - .offset:         72
        .size:           4
        .value_kind:     by_value
      - .actual_access:  read_only
        .address_space:  global
        .offset:         80
        .size:           8
        .value_kind:     global_buffer
      - .offset:         88
        .size:           4
        .value_kind:     by_value
      - .offset:         92
        .size:           4
        .value_kind:     by_value
      - .offset:         96
        .size:           4
        .value_kind:     by_value
      - .address_space:  global
        .offset:         104
        .size:           8
        .value_kind:     global_buffer
      - .address_space:  global
        .offset:         112
        .size:           8
        .value_kind:     global_buffer
      - .offset:         120
        .size:           4
        .value_kind:     by_value
      - .offset:         124
        .size:           4
        .value_kind:     by_value
      - .offset:         128
        .size:           4
        .value_kind:     by_value
      - .offset:         132
        .size:           4
        .value_kind:     by_value
      - .offset:         136
        .size:           4
        .value_kind:     by_value
      - .offset:         144
        .size:           4
        .value_kind:     hidden_block_count_x
      - .offset:         148
        .size:           4
        .value_kind:     hidden_block_count_y
      - .offset:         152
        .size:           4
        .value_kind:     hidden_block_count_z
      - .offset:         156
        .size:           2
        .value_kind:     hidden_group_size_x
      - .offset:         158
        .size:           2
        .value_kind:     hidden_group_size_y
      - .offset:         160
        .size:           2
        .value_kind:     hidden_group_size_z
      - .offset:         162
        .size:           2
        .value_kind:     hidden_remainder_x
      - .offset:         164
        .size:           2
        .value_kind:     hidden_remainder_y
      - .offset:         166
        .size:           2
        .value_kind:     hidden_remainder_z
      - .offset:         184
        .size:           8
        .value_kind:     hidden_global_offset_x
      - .offset:         192
        .size:           8
        .value_kind:     hidden_global_offset_y
      - .offset:         200
        .size:           8
        .value_kind:     hidden_global_offset_z
      - .offset:         208
        .size:           2
        .value_kind:     hidden_grid_dims
      - .offset:         264
        .size:           4
        .value_kind:     hidden_dynamic_lds_size
    .group_segment_fixed_size: 256
    .kernarg_segment_align: 8
    .kernarg_segment_size: 400
    .language:       OpenCL C
    .language_version:
      - 2
      - 0
    .max_flat_workgroup_size: 1024
    .name:           _ZN4vllm25paged_attention_v2_kernelI14__hip_bfloat16S1_Li112ELi8ELi128ELNS_18Fp8KVCacheDataTypeE0ELb0ELi512EEEvPfS3_PT_PKS4_PKT0_SA_ifPKiSC_iPKfiiiSE_SE_iiiii
    .private_segment_fixed_size: 0
    .sgpr_count:     42
    .sgpr_spill_count: 0
    .symbol:         _ZN4vllm25paged_attention_v2_kernelI14__hip_bfloat16S1_Li112ELi8ELi128ELNS_18Fp8KVCacheDataTypeE0ELb0ELi512EEEvPfS3_PT_PKS4_PKT0_SA_ifPKiSC_iPKfiiiSE_SE_iiiii.kd
    .uniform_work_group_size: 1
    .uses_dynamic_stack: false
    .vgpr_count:     62
    .vgpr_spill_count: 0
    .wavefront_size: 32
    .workgroup_processor_mode: 1
  - .args:
      - .actual_access:  write_only
        .address_space:  global
        .offset:         0
        .size:           8
        .value_kind:     global_buffer
      - .actual_access:  write_only
        .address_space:  global
        .offset:         8
        .size:           8
        .value_kind:     global_buffer
      - .actual_access:  write_only
        .address_space:  global
        .offset:         16
        .size:           8
        .value_kind:     global_buffer
      - .actual_access:  read_only
        .address_space:  global
        .offset:         24
        .size:           8
        .value_kind:     global_buffer
      - .actual_access:  read_only
        .address_space:  global
        .offset:         32
        .size:           8
        .value_kind:     global_buffer
      - .actual_access:  read_only
        .address_space:  global
        .offset:         40
        .size:           8
        .value_kind:     global_buffer
      - .offset:         48
        .size:           4
        .value_kind:     by_value
      - .offset:         52
        .size:           4
        .value_kind:     by_value
      - .actual_access:  read_only
        .address_space:  global
        .offset:         56
        .size:           8
        .value_kind:     global_buffer
      - .actual_access:  read_only
        .address_space:  global
        .offset:         64
        .size:           8
        .value_kind:     global_buffer
      - .offset:         72
        .size:           4
        .value_kind:     by_value
      - .actual_access:  read_only
        .address_space:  global
        .offset:         80
        .size:           8
        .value_kind:     global_buffer
      - .offset:         88
        .size:           4
        .value_kind:     by_value
      - .offset:         92
        .size:           4
        .value_kind:     by_value
      - .offset:         96
        .size:           4
        .value_kind:     by_value
      - .address_space:  global
        .offset:         104
        .size:           8
        .value_kind:     global_buffer
      - .address_space:  global
        .offset:         112
        .size:           8
        .value_kind:     global_buffer
      - .offset:         120
        .size:           4
        .value_kind:     by_value
      - .offset:         124
        .size:           4
        .value_kind:     by_value
      - .offset:         128
        .size:           4
        .value_kind:     by_value
      - .offset:         132
        .size:           4
        .value_kind:     by_value
      - .offset:         136
        .size:           4
        .value_kind:     by_value
      - .offset:         144
        .size:           4
        .value_kind:     hidden_block_count_x
      - .offset:         148
        .size:           4
        .value_kind:     hidden_block_count_y
      - .offset:         152
        .size:           4
        .value_kind:     hidden_block_count_z
      - .offset:         156
        .size:           2
        .value_kind:     hidden_group_size_x
      - .offset:         158
        .size:           2
        .value_kind:     hidden_group_size_y
      - .offset:         160
        .size:           2
        .value_kind:     hidden_group_size_z
      - .offset:         162
        .size:           2
        .value_kind:     hidden_remainder_x
      - .offset:         164
        .size:           2
        .value_kind:     hidden_remainder_y
      - .offset:         166
        .size:           2
        .value_kind:     hidden_remainder_z
      - .offset:         184
        .size:           8
        .value_kind:     hidden_global_offset_x
      - .offset:         192
        .size:           8
        .value_kind:     hidden_global_offset_y
      - .offset:         200
        .size:           8
        .value_kind:     hidden_global_offset_z
      - .offset:         208
        .size:           2
        .value_kind:     hidden_grid_dims
      - .offset:         264
        .size:           4
        .value_kind:     hidden_dynamic_lds_size
    .group_segment_fixed_size: 272
    .kernarg_segment_align: 8
    .kernarg_segment_size: 400
    .language:       OpenCL C
    .language_version:
      - 2
      - 0
    .max_flat_workgroup_size: 1024
    .name:           _ZN4vllm25paged_attention_v2_kernelI14__hip_bfloat16S1_Li120ELi8ELi128ELNS_18Fp8KVCacheDataTypeE0ELb0ELi512EEEvPfS3_PT_PKS4_PKT0_SA_ifPKiSC_iPKfiiiSE_SE_iiiii
    .private_segment_fixed_size: 0
    .sgpr_count:     42
    .sgpr_spill_count: 0
    .symbol:         _ZN4vllm25paged_attention_v2_kernelI14__hip_bfloat16S1_Li120ELi8ELi128ELNS_18Fp8KVCacheDataTypeE0ELb0ELi512EEEvPfS3_PT_PKS4_PKT0_SA_ifPKiSC_iPKfiiiSE_SE_iiiii.kd
    .uniform_work_group_size: 1
    .uses_dynamic_stack: false
    .vgpr_count:     65
    .vgpr_spill_count: 0
    .wavefront_size: 32
    .workgroup_processor_mode: 1
  - .args:
      - .actual_access:  write_only
        .address_space:  global
        .offset:         0
        .size:           8
        .value_kind:     global_buffer
      - .actual_access:  write_only
        .address_space:  global
        .offset:         8
        .size:           8
        .value_kind:     global_buffer
      - .actual_access:  write_only
        .address_space:  global
        .offset:         16
        .size:           8
        .value_kind:     global_buffer
      - .actual_access:  read_only
        .address_space:  global
        .offset:         24
        .size:           8
        .value_kind:     global_buffer
      - .actual_access:  read_only
        .address_space:  global
        .offset:         32
        .size:           8
        .value_kind:     global_buffer
      - .actual_access:  read_only
        .address_space:  global
        .offset:         40
        .size:           8
        .value_kind:     global_buffer
      - .offset:         48
        .size:           4
        .value_kind:     by_value
      - .offset:         52
        .size:           4
        .value_kind:     by_value
      - .actual_access:  read_only
        .address_space:  global
        .offset:         56
        .size:           8
        .value_kind:     global_buffer
      - .actual_access:  read_only
        .address_space:  global
        .offset:         64
        .size:           8
        .value_kind:     global_buffer
      - .offset:         72
        .size:           4
        .value_kind:     by_value
      - .actual_access:  read_only
        .address_space:  global
        .offset:         80
        .size:           8
        .value_kind:     global_buffer
      - .offset:         88
        .size:           4
        .value_kind:     by_value
      - .offset:         92
        .size:           4
        .value_kind:     by_value
      - .offset:         96
        .size:           4
        .value_kind:     by_value
      - .address_space:  global
        .offset:         104
        .size:           8
        .value_kind:     global_buffer
      - .address_space:  global
        .offset:         112
        .size:           8
        .value_kind:     global_buffer
      - .offset:         120
        .size:           4
        .value_kind:     by_value
      - .offset:         124
        .size:           4
        .value_kind:     by_value
      - .offset:         128
        .size:           4
        .value_kind:     by_value
      - .offset:         132
        .size:           4
        .value_kind:     by_value
      - .offset:         136
        .size:           4
        .value_kind:     by_value
      - .offset:         144
        .size:           4
        .value_kind:     hidden_block_count_x
      - .offset:         148
        .size:           4
        .value_kind:     hidden_block_count_y
      - .offset:         152
        .size:           4
        .value_kind:     hidden_block_count_z
      - .offset:         156
        .size:           2
        .value_kind:     hidden_group_size_x
      - .offset:         158
        .size:           2
        .value_kind:     hidden_group_size_y
      - .offset:         160
        .size:           2
        .value_kind:     hidden_group_size_z
      - .offset:         162
        .size:           2
        .value_kind:     hidden_remainder_x
      - .offset:         164
        .size:           2
        .value_kind:     hidden_remainder_y
      - .offset:         166
        .size:           2
        .value_kind:     hidden_remainder_z
      - .offset:         184
        .size:           8
        .value_kind:     hidden_global_offset_x
      - .offset:         192
        .size:           8
        .value_kind:     hidden_global_offset_y
      - .offset:         200
        .size:           8
        .value_kind:     hidden_global_offset_z
      - .offset:         208
        .size:           2
        .value_kind:     hidden_grid_dims
      - .offset:         264
        .size:           4
        .value_kind:     hidden_dynamic_lds_size
    .group_segment_fixed_size: 288
    .kernarg_segment_align: 8
    .kernarg_segment_size: 400
    .language:       OpenCL C
    .language_version:
      - 2
      - 0
    .max_flat_workgroup_size: 1024
    .name:           _ZN4vllm25paged_attention_v2_kernelI14__hip_bfloat16S1_Li128ELi8ELi128ELNS_18Fp8KVCacheDataTypeE0ELb0ELi512EEEvPfS3_PT_PKS4_PKT0_SA_ifPKiSC_iPKfiiiSE_SE_iiiii
    .private_segment_fixed_size: 0
    .sgpr_count:     42
    .sgpr_spill_count: 0
    .symbol:         _ZN4vllm25paged_attention_v2_kernelI14__hip_bfloat16S1_Li128ELi8ELi128ELNS_18Fp8KVCacheDataTypeE0ELb0ELi512EEEvPfS3_PT_PKS4_PKT0_SA_ifPKiSC_iPKfiiiSE_SE_iiiii.kd
    .uniform_work_group_size: 1
    .uses_dynamic_stack: false
    .vgpr_count:     69
    .vgpr_spill_count: 0
    .wavefront_size: 32
    .workgroup_processor_mode: 1
  - .args:
      - .actual_access:  write_only
        .address_space:  global
        .offset:         0
        .size:           8
        .value_kind:     global_buffer
      - .actual_access:  write_only
        .address_space:  global
        .offset:         8
        .size:           8
        .value_kind:     global_buffer
      - .actual_access:  write_only
        .address_space:  global
        .offset:         16
        .size:           8
        .value_kind:     global_buffer
      - .actual_access:  read_only
        .address_space:  global
        .offset:         24
        .size:           8
        .value_kind:     global_buffer
      - .actual_access:  read_only
        .address_space:  global
        .offset:         32
        .size:           8
        .value_kind:     global_buffer
      - .actual_access:  read_only
        .address_space:  global
        .offset:         40
        .size:           8
        .value_kind:     global_buffer
      - .offset:         48
        .size:           4
        .value_kind:     by_value
      - .offset:         52
        .size:           4
        .value_kind:     by_value
      - .actual_access:  read_only
        .address_space:  global
        .offset:         56
        .size:           8
        .value_kind:     global_buffer
      - .actual_access:  read_only
        .address_space:  global
        .offset:         64
        .size:           8
        .value_kind:     global_buffer
      - .offset:         72
        .size:           4
        .value_kind:     by_value
      - .actual_access:  read_only
        .address_space:  global
        .offset:         80
        .size:           8
        .value_kind:     global_buffer
      - .offset:         88
        .size:           4
        .value_kind:     by_value
      - .offset:         92
        .size:           4
        .value_kind:     by_value
      - .offset:         96
        .size:           4
        .value_kind:     by_value
      - .address_space:  global
        .offset:         104
        .size:           8
        .value_kind:     global_buffer
      - .address_space:  global
        .offset:         112
        .size:           8
        .value_kind:     global_buffer
      - .offset:         120
        .size:           4
        .value_kind:     by_value
      - .offset:         124
        .size:           4
        .value_kind:     by_value
      - .offset:         128
        .size:           4
        .value_kind:     by_value
      - .offset:         132
        .size:           4
        .value_kind:     by_value
      - .offset:         136
        .size:           4
        .value_kind:     by_value
      - .offset:         144
        .size:           4
        .value_kind:     hidden_block_count_x
      - .offset:         148
        .size:           4
        .value_kind:     hidden_block_count_y
      - .offset:         152
        .size:           4
        .value_kind:     hidden_block_count_z
      - .offset:         156
        .size:           2
        .value_kind:     hidden_group_size_x
      - .offset:         158
        .size:           2
        .value_kind:     hidden_group_size_y
      - .offset:         160
        .size:           2
        .value_kind:     hidden_group_size_z
      - .offset:         162
        .size:           2
        .value_kind:     hidden_remainder_x
      - .offset:         164
        .size:           2
        .value_kind:     hidden_remainder_y
      - .offset:         166
        .size:           2
        .value_kind:     hidden_remainder_z
      - .offset:         184
        .size:           8
        .value_kind:     hidden_global_offset_x
      - .offset:         192
        .size:           8
        .value_kind:     hidden_global_offset_y
      - .offset:         200
        .size:           8
        .value_kind:     hidden_global_offset_z
      - .offset:         208
        .size:           2
        .value_kind:     hidden_grid_dims
      - .offset:         264
        .size:           4
        .value_kind:     hidden_dynamic_lds_size
    .group_segment_fixed_size: 416
    .kernarg_segment_align: 8
    .kernarg_segment_size: 400
    .language:       OpenCL C
    .language_version:
      - 2
      - 0
    .max_flat_workgroup_size: 1024
    .name:           _ZN4vllm25paged_attention_v2_kernelI14__hip_bfloat16S1_Li192ELi8ELi128ELNS_18Fp8KVCacheDataTypeE0ELb0ELi512EEEvPfS3_PT_PKS4_PKT0_SA_ifPKiSC_iPKfiiiSE_SE_iiiii
    .private_segment_fixed_size: 0
    .sgpr_count:     40
    .sgpr_spill_count: 0
    .symbol:         _ZN4vllm25paged_attention_v2_kernelI14__hip_bfloat16S1_Li192ELi8ELi128ELNS_18Fp8KVCacheDataTypeE0ELb0ELi512EEEvPfS3_PT_PKS4_PKT0_SA_ifPKiSC_iPKfiiiSE_SE_iiiii.kd
    .uniform_work_group_size: 1
    .uses_dynamic_stack: false
    .vgpr_count:     93
    .vgpr_spill_count: 0
    .wavefront_size: 32
    .workgroup_processor_mode: 1
  - .args:
      - .actual_access:  write_only
        .address_space:  global
        .offset:         0
        .size:           8
        .value_kind:     global_buffer
      - .actual_access:  write_only
        .address_space:  global
        .offset:         8
        .size:           8
        .value_kind:     global_buffer
      - .actual_access:  write_only
        .address_space:  global
        .offset:         16
        .size:           8
        .value_kind:     global_buffer
      - .actual_access:  read_only
        .address_space:  global
        .offset:         24
        .size:           8
        .value_kind:     global_buffer
      - .actual_access:  read_only
        .address_space:  global
        .offset:         32
        .size:           8
        .value_kind:     global_buffer
      - .actual_access:  read_only
        .address_space:  global
        .offset:         40
        .size:           8
        .value_kind:     global_buffer
      - .offset:         48
        .size:           4
        .value_kind:     by_value
      - .offset:         52
        .size:           4
        .value_kind:     by_value
      - .actual_access:  read_only
        .address_space:  global
        .offset:         56
        .size:           8
        .value_kind:     global_buffer
      - .actual_access:  read_only
        .address_space:  global
        .offset:         64
        .size:           8
        .value_kind:     global_buffer
      - .offset:         72
        .size:           4
        .value_kind:     by_value
      - .actual_access:  read_only
        .address_space:  global
        .offset:         80
        .size:           8
        .value_kind:     global_buffer
      - .offset:         88
        .size:           4
        .value_kind:     by_value
      - .offset:         92
        .size:           4
        .value_kind:     by_value
      - .offset:         96
        .size:           4
        .value_kind:     by_value
      - .address_space:  global
        .offset:         104
        .size:           8
        .value_kind:     global_buffer
      - .address_space:  global
        .offset:         112
        .size:           8
        .value_kind:     global_buffer
      - .offset:         120
        .size:           4
        .value_kind:     by_value
      - .offset:         124
        .size:           4
        .value_kind:     by_value
      - .offset:         128
        .size:           4
        .value_kind:     by_value
      - .offset:         132
        .size:           4
        .value_kind:     by_value
      - .offset:         136
        .size:           4
        .value_kind:     by_value
      - .offset:         144
        .size:           4
        .value_kind:     hidden_block_count_x
      - .offset:         148
        .size:           4
        .value_kind:     hidden_block_count_y
      - .offset:         152
        .size:           4
        .value_kind:     hidden_block_count_z
      - .offset:         156
        .size:           2
        .value_kind:     hidden_group_size_x
      - .offset:         158
        .size:           2
        .value_kind:     hidden_group_size_y
      - .offset:         160
        .size:           2
        .value_kind:     hidden_group_size_z
      - .offset:         162
        .size:           2
        .value_kind:     hidden_remainder_x
      - .offset:         164
        .size:           2
        .value_kind:     hidden_remainder_y
      - .offset:         166
        .size:           2
        .value_kind:     hidden_remainder_z
      - .offset:         184
        .size:           8
        .value_kind:     hidden_global_offset_x
      - .offset:         192
        .size:           8
        .value_kind:     hidden_global_offset_y
      - .offset:         200
        .size:           8
        .value_kind:     hidden_global_offset_z
      - .offset:         208
        .size:           2
        .value_kind:     hidden_grid_dims
      - .offset:         264
        .size:           4
        .value_kind:     hidden_dynamic_lds_size
    .group_segment_fixed_size: 544
    .kernarg_segment_align: 8
    .kernarg_segment_size: 400
    .language:       OpenCL C
    .language_version:
      - 2
      - 0
    .max_flat_workgroup_size: 1024
    .name:           _ZN4vllm25paged_attention_v2_kernelI14__hip_bfloat16S1_Li256ELi8ELi128ELNS_18Fp8KVCacheDataTypeE0ELb0ELi512EEEvPfS3_PT_PKS4_PKT0_SA_ifPKiSC_iPKfiiiSE_SE_iiiii
    .private_segment_fixed_size: 0
    .sgpr_count:     40
    .sgpr_spill_count: 0
    .symbol:         _ZN4vllm25paged_attention_v2_kernelI14__hip_bfloat16S1_Li256ELi8ELi128ELNS_18Fp8KVCacheDataTypeE0ELb0ELi512EEEvPfS3_PT_PKS4_PKT0_SA_ifPKiSC_iPKfiiiSE_SE_iiiii.kd
    .uniform_work_group_size: 1
    .uses_dynamic_stack: false
    .vgpr_count:     117
    .vgpr_spill_count: 0
    .wavefront_size: 32
    .workgroup_processor_mode: 1
  - .args:
      - .actual_access:  write_only
        .address_space:  global
        .offset:         0
        .size:           8
        .value_kind:     global_buffer
      - .actual_access:  write_only
        .address_space:  global
        .offset:         8
        .size:           8
        .value_kind:     global_buffer
      - .actual_access:  write_only
        .address_space:  global
        .offset:         16
        .size:           8
        .value_kind:     global_buffer
      - .actual_access:  read_only
        .address_space:  global
        .offset:         24
        .size:           8
        .value_kind:     global_buffer
      - .actual_access:  read_only
        .address_space:  global
        .offset:         32
        .size:           8
        .value_kind:     global_buffer
      - .actual_access:  read_only
        .address_space:  global
        .offset:         40
        .size:           8
        .value_kind:     global_buffer
      - .offset:         48
        .size:           4
        .value_kind:     by_value
      - .offset:         52
        .size:           4
        .value_kind:     by_value
      - .actual_access:  read_only
        .address_space:  global
        .offset:         56
        .size:           8
        .value_kind:     global_buffer
      - .actual_access:  read_only
        .address_space:  global
        .offset:         64
        .size:           8
        .value_kind:     global_buffer
      - .offset:         72
        .size:           4
        .value_kind:     by_value
      - .actual_access:  read_only
        .address_space:  global
        .offset:         80
        .size:           8
        .value_kind:     global_buffer
      - .offset:         88
        .size:           4
        .value_kind:     by_value
      - .offset:         92
        .size:           4
        .value_kind:     by_value
      - .offset:         96
        .size:           4
        .value_kind:     by_value
      - .address_space:  global
        .offset:         104
        .size:           8
        .value_kind:     global_buffer
      - .address_space:  global
        .offset:         112
        .size:           8
        .value_kind:     global_buffer
      - .offset:         120
        .size:           4
        .value_kind:     by_value
      - .offset:         124
        .size:           4
        .value_kind:     by_value
      - .offset:         128
        .size:           4
        .value_kind:     by_value
      - .offset:         132
        .size:           4
        .value_kind:     by_value
      - .offset:         136
        .size:           4
        .value_kind:     by_value
      - .offset:         144
        .size:           4
        .value_kind:     hidden_block_count_x
      - .offset:         148
        .size:           4
        .value_kind:     hidden_block_count_y
      - .offset:         152
        .size:           4
        .value_kind:     hidden_block_count_z
      - .offset:         156
        .size:           2
        .value_kind:     hidden_group_size_x
      - .offset:         158
        .size:           2
        .value_kind:     hidden_group_size_y
      - .offset:         160
        .size:           2
        .value_kind:     hidden_group_size_z
      - .offset:         162
        .size:           2
        .value_kind:     hidden_remainder_x
      - .offset:         164
        .size:           2
        .value_kind:     hidden_remainder_y
      - .offset:         166
        .size:           2
        .value_kind:     hidden_remainder_z
      - .offset:         184
        .size:           8
        .value_kind:     hidden_global_offset_x
      - .offset:         192
        .size:           8
        .value_kind:     hidden_global_offset_y
      - .offset:         200
        .size:           8
        .value_kind:     hidden_global_offset_z
      - .offset:         208
        .size:           2
        .value_kind:     hidden_grid_dims
      - .offset:         264
        .size:           4
        .value_kind:     hidden_dynamic_lds_size
    .group_segment_fixed_size: 96
    .kernarg_segment_align: 8
    .kernarg_segment_size: 400
    .language:       OpenCL C
    .language_version:
      - 2
      - 0
    .max_flat_workgroup_size: 1024
    .name:           _ZN4vllm25paged_attention_v2_kernelI14__hip_bfloat16S1_Li32ELi16ELi128ELNS_18Fp8KVCacheDataTypeE0ELb1ELi512EEEvPfS3_PT_PKS4_PKT0_SA_ifPKiSC_iPKfiiiSE_SE_iiiii
    .private_segment_fixed_size: 0
    .sgpr_count:     47
    .sgpr_spill_count: 0
    .symbol:         _ZN4vllm25paged_attention_v2_kernelI14__hip_bfloat16S1_Li32ELi16ELi128ELNS_18Fp8KVCacheDataTypeE0ELb1ELi512EEEvPfS3_PT_PKS4_PKT0_SA_ifPKiSC_iPKfiiiSE_SE_iiiii.kd
    .uniform_work_group_size: 1
    .uses_dynamic_stack: false
    .vgpr_count:     53
    .vgpr_spill_count: 0
    .wavefront_size: 32
    .workgroup_processor_mode: 1
  - .args:
      - .actual_access:  write_only
        .address_space:  global
        .offset:         0
        .size:           8
        .value_kind:     global_buffer
      - .actual_access:  write_only
        .address_space:  global
        .offset:         8
        .size:           8
        .value_kind:     global_buffer
      - .actual_access:  write_only
        .address_space:  global
        .offset:         16
        .size:           8
        .value_kind:     global_buffer
      - .actual_access:  read_only
        .address_space:  global
        .offset:         24
        .size:           8
        .value_kind:     global_buffer
      - .actual_access:  read_only
        .address_space:  global
        .offset:         32
        .size:           8
        .value_kind:     global_buffer
      - .actual_access:  read_only
        .address_space:  global
        .offset:         40
        .size:           8
        .value_kind:     global_buffer
      - .offset:         48
        .size:           4
        .value_kind:     by_value
      - .offset:         52
        .size:           4
        .value_kind:     by_value
      - .actual_access:  read_only
        .address_space:  global
        .offset:         56
        .size:           8
        .value_kind:     global_buffer
      - .actual_access:  read_only
        .address_space:  global
        .offset:         64
        .size:           8
        .value_kind:     global_buffer
      - .offset:         72
        .size:           4
        .value_kind:     by_value
      - .actual_access:  read_only
        .address_space:  global
        .offset:         80
        .size:           8
        .value_kind:     global_buffer
      - .offset:         88
        .size:           4
        .value_kind:     by_value
      - .offset:         92
        .size:           4
        .value_kind:     by_value
      - .offset:         96
        .size:           4
        .value_kind:     by_value
      - .address_space:  global
        .offset:         104
        .size:           8
        .value_kind:     global_buffer
      - .address_space:  global
        .offset:         112
        .size:           8
        .value_kind:     global_buffer
      - .offset:         120
        .size:           4
        .value_kind:     by_value
      - .offset:         124
        .size:           4
        .value_kind:     by_value
      - .offset:         128
        .size:           4
        .value_kind:     by_value
      - .offset:         132
        .size:           4
        .value_kind:     by_value
      - .offset:         136
        .size:           4
        .value_kind:     by_value
      - .offset:         144
        .size:           4
        .value_kind:     hidden_block_count_x
      - .offset:         148
        .size:           4
        .value_kind:     hidden_block_count_y
      - .offset:         152
        .size:           4
        .value_kind:     hidden_block_count_z
      - .offset:         156
        .size:           2
        .value_kind:     hidden_group_size_x
      - .offset:         158
        .size:           2
        .value_kind:     hidden_group_size_y
      - .offset:         160
        .size:           2
        .value_kind:     hidden_group_size_z
      - .offset:         162
        .size:           2
        .value_kind:     hidden_remainder_x
      - .offset:         164
        .size:           2
        .value_kind:     hidden_remainder_y
      - .offset:         166
        .size:           2
        .value_kind:     hidden_remainder_z
      - .offset:         184
        .size:           8
        .value_kind:     hidden_global_offset_x
      - .offset:         192
        .size:           8
        .value_kind:     hidden_global_offset_y
      - .offset:         200
        .size:           8
        .value_kind:     hidden_global_offset_z
      - .offset:         208
        .size:           2
        .value_kind:     hidden_grid_dims
      - .offset:         264
        .size:           4
        .value_kind:     hidden_dynamic_lds_size
    .group_segment_fixed_size: 160
    .kernarg_segment_align: 8
    .kernarg_segment_size: 400
    .language:       OpenCL C
    .language_version:
      - 2
      - 0
    .max_flat_workgroup_size: 1024
    .name:           _ZN4vllm25paged_attention_v2_kernelI14__hip_bfloat16S1_Li64ELi16ELi128ELNS_18Fp8KVCacheDataTypeE0ELb1ELi512EEEvPfS3_PT_PKS4_PKT0_SA_ifPKiSC_iPKfiiiSE_SE_iiiii
    .private_segment_fixed_size: 0
    .sgpr_count:     47
    .sgpr_spill_count: 0
    .symbol:         _ZN4vllm25paged_attention_v2_kernelI14__hip_bfloat16S1_Li64ELi16ELi128ELNS_18Fp8KVCacheDataTypeE0ELb1ELi512EEEvPfS3_PT_PKS4_PKT0_SA_ifPKiSC_iPKfiiiSE_SE_iiiii.kd
    .uniform_work_group_size: 1
    .uses_dynamic_stack: false
    .vgpr_count:     83
    .vgpr_spill_count: 0
    .wavefront_size: 32
    .workgroup_processor_mode: 1
  - .args:
      - .actual_access:  write_only
        .address_space:  global
        .offset:         0
        .size:           8
        .value_kind:     global_buffer
      - .actual_access:  write_only
        .address_space:  global
        .offset:         8
        .size:           8
        .value_kind:     global_buffer
      - .actual_access:  write_only
        .address_space:  global
        .offset:         16
        .size:           8
        .value_kind:     global_buffer
      - .actual_access:  read_only
        .address_space:  global
        .offset:         24
        .size:           8
        .value_kind:     global_buffer
      - .actual_access:  read_only
        .address_space:  global
        .offset:         32
        .size:           8
        .value_kind:     global_buffer
      - .actual_access:  read_only
        .address_space:  global
        .offset:         40
        .size:           8
        .value_kind:     global_buffer
      - .offset:         48
        .size:           4
        .value_kind:     by_value
      - .offset:         52
        .size:           4
        .value_kind:     by_value
      - .actual_access:  read_only
        .address_space:  global
        .offset:         56
        .size:           8
        .value_kind:     global_buffer
      - .actual_access:  read_only
        .address_space:  global
        .offset:         64
        .size:           8
        .value_kind:     global_buffer
      - .offset:         72
        .size:           4
        .value_kind:     by_value
      - .actual_access:  read_only
        .address_space:  global
        .offset:         80
        .size:           8
        .value_kind:     global_buffer
      - .offset:         88
        .size:           4
        .value_kind:     by_value
      - .offset:         92
        .size:           4
        .value_kind:     by_value
      - .offset:         96
        .size:           4
        .value_kind:     by_value
      - .address_space:  global
        .offset:         104
        .size:           8
        .value_kind:     global_buffer
      - .address_space:  global
        .offset:         112
        .size:           8
        .value_kind:     global_buffer
      - .offset:         120
        .size:           4
        .value_kind:     by_value
      - .offset:         124
        .size:           4
        .value_kind:     by_value
      - .offset:         128
        .size:           4
        .value_kind:     by_value
      - .offset:         132
        .size:           4
        .value_kind:     by_value
      - .offset:         136
        .size:           4
        .value_kind:     by_value
      - .offset:         144
        .size:           4
        .value_kind:     hidden_block_count_x
      - .offset:         148
        .size:           4
        .value_kind:     hidden_block_count_y
      - .offset:         152
        .size:           4
        .value_kind:     hidden_block_count_z
      - .offset:         156
        .size:           2
        .value_kind:     hidden_group_size_x
      - .offset:         158
        .size:           2
        .value_kind:     hidden_group_size_y
      - .offset:         160
        .size:           2
        .value_kind:     hidden_group_size_z
      - .offset:         162
        .size:           2
        .value_kind:     hidden_remainder_x
      - .offset:         164
        .size:           2
        .value_kind:     hidden_remainder_y
      - .offset:         166
        .size:           2
        .value_kind:     hidden_remainder_z
      - .offset:         184
        .size:           8
        .value_kind:     hidden_global_offset_x
      - .offset:         192
        .size:           8
        .value_kind:     hidden_global_offset_y
      - .offset:         200
        .size:           8
        .value_kind:     hidden_global_offset_z
      - .offset:         208
        .size:           2
        .value_kind:     hidden_grid_dims
      - .offset:         264
        .size:           4
        .value_kind:     hidden_dynamic_lds_size
    .group_segment_fixed_size: 192
    .kernarg_segment_align: 8
    .kernarg_segment_size: 400
    .language:       OpenCL C
    .language_version:
      - 2
      - 0
    .max_flat_workgroup_size: 1024
    .name:           _ZN4vllm25paged_attention_v2_kernelI14__hip_bfloat16S1_Li80ELi16ELi128ELNS_18Fp8KVCacheDataTypeE0ELb1ELi512EEEvPfS3_PT_PKS4_PKT0_SA_ifPKiSC_iPKfiiiSE_SE_iiiii
    .private_segment_fixed_size: 0
    .sgpr_count:     47
    .sgpr_spill_count: 0
    .symbol:         _ZN4vllm25paged_attention_v2_kernelI14__hip_bfloat16S1_Li80ELi16ELi128ELNS_18Fp8KVCacheDataTypeE0ELb1ELi512EEEvPfS3_PT_PKS4_PKT0_SA_ifPKiSC_iPKfiiiSE_SE_iiiii.kd
    .uniform_work_group_size: 1
    .uses_dynamic_stack: false
    .vgpr_count:     98
    .vgpr_spill_count: 0
    .wavefront_size: 32
    .workgroup_processor_mode: 1
  - .args:
      - .actual_access:  write_only
        .address_space:  global
        .offset:         0
        .size:           8
        .value_kind:     global_buffer
      - .actual_access:  write_only
        .address_space:  global
        .offset:         8
        .size:           8
        .value_kind:     global_buffer
      - .actual_access:  write_only
        .address_space:  global
        .offset:         16
        .size:           8
        .value_kind:     global_buffer
      - .actual_access:  read_only
        .address_space:  global
        .offset:         24
        .size:           8
        .value_kind:     global_buffer
      - .actual_access:  read_only
        .address_space:  global
        .offset:         32
        .size:           8
        .value_kind:     global_buffer
      - .actual_access:  read_only
        .address_space:  global
        .offset:         40
        .size:           8
        .value_kind:     global_buffer
      - .offset:         48
        .size:           4
        .value_kind:     by_value
      - .offset:         52
        .size:           4
        .value_kind:     by_value
      - .actual_access:  read_only
        .address_space:  global
        .offset:         56
        .size:           8
        .value_kind:     global_buffer
      - .actual_access:  read_only
        .address_space:  global
        .offset:         64
        .size:           8
        .value_kind:     global_buffer
      - .offset:         72
        .size:           4
        .value_kind:     by_value
      - .actual_access:  read_only
        .address_space:  global
        .offset:         80
        .size:           8
        .value_kind:     global_buffer
      - .offset:         88
        .size:           4
        .value_kind:     by_value
      - .offset:         92
        .size:           4
        .value_kind:     by_value
      - .offset:         96
        .size:           4
        .value_kind:     by_value
      - .address_space:  global
        .offset:         104
        .size:           8
        .value_kind:     global_buffer
      - .address_space:  global
        .offset:         112
        .size:           8
        .value_kind:     global_buffer
      - .offset:         120
        .size:           4
        .value_kind:     by_value
      - .offset:         124
        .size:           4
        .value_kind:     by_value
      - .offset:         128
        .size:           4
        .value_kind:     by_value
      - .offset:         132
        .size:           4
        .value_kind:     by_value
      - .offset:         136
        .size:           4
        .value_kind:     by_value
      - .offset:         144
        .size:           4
        .value_kind:     hidden_block_count_x
      - .offset:         148
        .size:           4
        .value_kind:     hidden_block_count_y
      - .offset:         152
        .size:           4
        .value_kind:     hidden_block_count_z
      - .offset:         156
        .size:           2
        .value_kind:     hidden_group_size_x
      - .offset:         158
        .size:           2
        .value_kind:     hidden_group_size_y
      - .offset:         160
        .size:           2
        .value_kind:     hidden_group_size_z
      - .offset:         162
        .size:           2
        .value_kind:     hidden_remainder_x
      - .offset:         164
        .size:           2
        .value_kind:     hidden_remainder_y
      - .offset:         166
        .size:           2
        .value_kind:     hidden_remainder_z
      - .offset:         184
        .size:           8
        .value_kind:     hidden_global_offset_x
      - .offset:         192
        .size:           8
        .value_kind:     hidden_global_offset_y
      - .offset:         200
        .size:           8
        .value_kind:     hidden_global_offset_z
      - .offset:         208
        .size:           2
        .value_kind:     hidden_grid_dims
      - .offset:         264
        .size:           4
        .value_kind:     hidden_dynamic_lds_size
    .group_segment_fixed_size: 224
    .kernarg_segment_align: 8
    .kernarg_segment_size: 400
    .language:       OpenCL C
    .language_version:
      - 2
      - 0
    .max_flat_workgroup_size: 1024
    .name:           _ZN4vllm25paged_attention_v2_kernelI14__hip_bfloat16S1_Li96ELi16ELi128ELNS_18Fp8KVCacheDataTypeE0ELb1ELi512EEEvPfS3_PT_PKS4_PKT0_SA_ifPKiSC_iPKfiiiSE_SE_iiiii
    .private_segment_fixed_size: 0
    .sgpr_count:     47
    .sgpr_spill_count: 0
    .symbol:         _ZN4vllm25paged_attention_v2_kernelI14__hip_bfloat16S1_Li96ELi16ELi128ELNS_18Fp8KVCacheDataTypeE0ELb1ELi512EEEvPfS3_PT_PKS4_PKT0_SA_ifPKiSC_iPKfiiiSE_SE_iiiii.kd
    .uniform_work_group_size: 1
    .uses_dynamic_stack: false
    .vgpr_count:     113
    .vgpr_spill_count: 0
    .wavefront_size: 32
    .workgroup_processor_mode: 1
  - .args:
      - .actual_access:  write_only
        .address_space:  global
        .offset:         0
        .size:           8
        .value_kind:     global_buffer
      - .actual_access:  write_only
        .address_space:  global
        .offset:         8
        .size:           8
        .value_kind:     global_buffer
      - .actual_access:  write_only
        .address_space:  global
        .offset:         16
        .size:           8
        .value_kind:     global_buffer
      - .actual_access:  read_only
        .address_space:  global
        .offset:         24
        .size:           8
        .value_kind:     global_buffer
      - .actual_access:  read_only
        .address_space:  global
        .offset:         32
        .size:           8
        .value_kind:     global_buffer
      - .actual_access:  read_only
        .address_space:  global
        .offset:         40
        .size:           8
        .value_kind:     global_buffer
      - .offset:         48
        .size:           4
        .value_kind:     by_value
      - .offset:         52
        .size:           4
        .value_kind:     by_value
      - .actual_access:  read_only
        .address_space:  global
        .offset:         56
        .size:           8
        .value_kind:     global_buffer
      - .actual_access:  read_only
        .address_space:  global
        .offset:         64
        .size:           8
        .value_kind:     global_buffer
      - .offset:         72
        .size:           4
        .value_kind:     by_value
      - .actual_access:  read_only
        .address_space:  global
        .offset:         80
        .size:           8
        .value_kind:     global_buffer
      - .offset:         88
        .size:           4
        .value_kind:     by_value
      - .offset:         92
        .size:           4
        .value_kind:     by_value
      - .offset:         96
        .size:           4
        .value_kind:     by_value
      - .address_space:  global
        .offset:         104
        .size:           8
        .value_kind:     global_buffer
      - .address_space:  global
        .offset:         112
        .size:           8
        .value_kind:     global_buffer
      - .offset:         120
        .size:           4
        .value_kind:     by_value
      - .offset:         124
        .size:           4
        .value_kind:     by_value
      - .offset:         128
        .size:           4
        .value_kind:     by_value
      - .offset:         132
        .size:           4
        .value_kind:     by_value
      - .offset:         136
        .size:           4
        .value_kind:     by_value
      - .offset:         144
        .size:           4
        .value_kind:     hidden_block_count_x
      - .offset:         148
        .size:           4
        .value_kind:     hidden_block_count_y
      - .offset:         152
        .size:           4
        .value_kind:     hidden_block_count_z
      - .offset:         156
        .size:           2
        .value_kind:     hidden_group_size_x
      - .offset:         158
        .size:           2
        .value_kind:     hidden_group_size_y
      - .offset:         160
        .size:           2
        .value_kind:     hidden_group_size_z
      - .offset:         162
        .size:           2
        .value_kind:     hidden_remainder_x
      - .offset:         164
        .size:           2
        .value_kind:     hidden_remainder_y
      - .offset:         166
        .size:           2
        .value_kind:     hidden_remainder_z
      - .offset:         184
        .size:           8
        .value_kind:     hidden_global_offset_x
      - .offset:         192
        .size:           8
        .value_kind:     hidden_global_offset_y
      - .offset:         200
        .size:           8
        .value_kind:     hidden_global_offset_z
      - .offset:         208
        .size:           2
        .value_kind:     hidden_grid_dims
      - .offset:         264
        .size:           4
        .value_kind:     hidden_dynamic_lds_size
    .group_segment_fixed_size: 256
    .kernarg_segment_align: 8
    .kernarg_segment_size: 400
    .language:       OpenCL C
    .language_version:
      - 2
      - 0
    .max_flat_workgroup_size: 1024
    .name:           _ZN4vllm25paged_attention_v2_kernelI14__hip_bfloat16S1_Li112ELi16ELi128ELNS_18Fp8KVCacheDataTypeE0ELb1ELi512EEEvPfS3_PT_PKS4_PKT0_SA_ifPKiSC_iPKfiiiSE_SE_iiiii
    .private_segment_fixed_size: 0
    .sgpr_count:     47
    .sgpr_spill_count: 0
    .symbol:         _ZN4vllm25paged_attention_v2_kernelI14__hip_bfloat16S1_Li112ELi16ELi128ELNS_18Fp8KVCacheDataTypeE0ELb1ELi512EEEvPfS3_PT_PKS4_PKT0_SA_ifPKiSC_iPKfiiiSE_SE_iiiii.kd
    .uniform_work_group_size: 1
    .uses_dynamic_stack: false
    .vgpr_count:     128
    .vgpr_spill_count: 0
    .wavefront_size: 32
    .workgroup_processor_mode: 1
  - .args:
      - .actual_access:  write_only
        .address_space:  global
        .offset:         0
        .size:           8
        .value_kind:     global_buffer
      - .actual_access:  write_only
        .address_space:  global
        .offset:         8
        .size:           8
        .value_kind:     global_buffer
      - .actual_access:  write_only
        .address_space:  global
        .offset:         16
        .size:           8
        .value_kind:     global_buffer
      - .actual_access:  read_only
        .address_space:  global
        .offset:         24
        .size:           8
        .value_kind:     global_buffer
      - .actual_access:  read_only
        .address_space:  global
        .offset:         32
        .size:           8
        .value_kind:     global_buffer
      - .actual_access:  read_only
        .address_space:  global
        .offset:         40
        .size:           8
        .value_kind:     global_buffer
      - .offset:         48
        .size:           4
        .value_kind:     by_value
      - .offset:         52
        .size:           4
        .value_kind:     by_value
      - .actual_access:  read_only
        .address_space:  global
        .offset:         56
        .size:           8
        .value_kind:     global_buffer
      - .actual_access:  read_only
        .address_space:  global
        .offset:         64
        .size:           8
        .value_kind:     global_buffer
      - .offset:         72
        .size:           4
        .value_kind:     by_value
      - .actual_access:  read_only
        .address_space:  global
        .offset:         80
        .size:           8
        .value_kind:     global_buffer
      - .offset:         88
        .size:           4
        .value_kind:     by_value
      - .offset:         92
        .size:           4
        .value_kind:     by_value
      - .offset:         96
        .size:           4
        .value_kind:     by_value
      - .address_space:  global
        .offset:         104
        .size:           8
        .value_kind:     global_buffer
      - .address_space:  global
        .offset:         112
        .size:           8
        .value_kind:     global_buffer
      - .offset:         120
        .size:           4
        .value_kind:     by_value
      - .offset:         124
        .size:           4
        .value_kind:     by_value
      - .offset:         128
        .size:           4
        .value_kind:     by_value
      - .offset:         132
        .size:           4
        .value_kind:     by_value
      - .offset:         136
        .size:           4
        .value_kind:     by_value
      - .offset:         144
        .size:           4
        .value_kind:     hidden_block_count_x
      - .offset:         148
        .size:           4
        .value_kind:     hidden_block_count_y
      - .offset:         152
        .size:           4
        .value_kind:     hidden_block_count_z
      - .offset:         156
        .size:           2
        .value_kind:     hidden_group_size_x
      - .offset:         158
        .size:           2
        .value_kind:     hidden_group_size_y
      - .offset:         160
        .size:           2
        .value_kind:     hidden_group_size_z
      - .offset:         162
        .size:           2
        .value_kind:     hidden_remainder_x
      - .offset:         164
        .size:           2
        .value_kind:     hidden_remainder_y
      - .offset:         166
        .size:           2
        .value_kind:     hidden_remainder_z
      - .offset:         184
        .size:           8
        .value_kind:     hidden_global_offset_x
      - .offset:         192
        .size:           8
        .value_kind:     hidden_global_offset_y
      - .offset:         200
        .size:           8
        .value_kind:     hidden_global_offset_z
      - .offset:         208
        .size:           2
        .value_kind:     hidden_grid_dims
      - .offset:         264
        .size:           4
        .value_kind:     hidden_dynamic_lds_size
    .group_segment_fixed_size: 272
    .kernarg_segment_align: 8
    .kernarg_segment_size: 400
    .language:       OpenCL C
    .language_version:
      - 2
      - 0
    .max_flat_workgroup_size: 1024
    .name:           _ZN4vllm25paged_attention_v2_kernelI14__hip_bfloat16S1_Li120ELi16ELi128ELNS_18Fp8KVCacheDataTypeE0ELb1ELi512EEEvPfS3_PT_PKS4_PKT0_SA_ifPKiSC_iPKfiiiSE_SE_iiiii
    .private_segment_fixed_size: 0
    .sgpr_count:     48
    .sgpr_spill_count: 0
    .symbol:         _ZN4vllm25paged_attention_v2_kernelI14__hip_bfloat16S1_Li120ELi16ELi128ELNS_18Fp8KVCacheDataTypeE0ELb1ELi512EEEvPfS3_PT_PKS4_PKT0_SA_ifPKiSC_iPKfiiiSE_SE_iiiii.kd
    .uniform_work_group_size: 1
    .uses_dynamic_stack: false
    .vgpr_count:     131
    .vgpr_spill_count: 0
    .wavefront_size: 32
    .workgroup_processor_mode: 1
  - .args:
      - .actual_access:  write_only
        .address_space:  global
        .offset:         0
        .size:           8
        .value_kind:     global_buffer
      - .actual_access:  write_only
        .address_space:  global
        .offset:         8
        .size:           8
        .value_kind:     global_buffer
      - .actual_access:  write_only
        .address_space:  global
        .offset:         16
        .size:           8
        .value_kind:     global_buffer
      - .actual_access:  read_only
        .address_space:  global
        .offset:         24
        .size:           8
        .value_kind:     global_buffer
      - .actual_access:  read_only
        .address_space:  global
        .offset:         32
        .size:           8
        .value_kind:     global_buffer
      - .actual_access:  read_only
        .address_space:  global
        .offset:         40
        .size:           8
        .value_kind:     global_buffer
      - .offset:         48
        .size:           4
        .value_kind:     by_value
      - .offset:         52
        .size:           4
        .value_kind:     by_value
      - .actual_access:  read_only
        .address_space:  global
        .offset:         56
        .size:           8
        .value_kind:     global_buffer
      - .actual_access:  read_only
        .address_space:  global
        .offset:         64
        .size:           8
        .value_kind:     global_buffer
      - .offset:         72
        .size:           4
        .value_kind:     by_value
      - .actual_access:  read_only
        .address_space:  global
        .offset:         80
        .size:           8
        .value_kind:     global_buffer
      - .offset:         88
        .size:           4
        .value_kind:     by_value
      - .offset:         92
        .size:           4
        .value_kind:     by_value
      - .offset:         96
        .size:           4
        .value_kind:     by_value
      - .address_space:  global
        .offset:         104
        .size:           8
        .value_kind:     global_buffer
      - .address_space:  global
        .offset:         112
        .size:           8
        .value_kind:     global_buffer
      - .offset:         120
        .size:           4
        .value_kind:     by_value
      - .offset:         124
        .size:           4
        .value_kind:     by_value
      - .offset:         128
        .size:           4
        .value_kind:     by_value
      - .offset:         132
        .size:           4
        .value_kind:     by_value
      - .offset:         136
        .size:           4
        .value_kind:     by_value
      - .offset:         144
        .size:           4
        .value_kind:     hidden_block_count_x
      - .offset:         148
        .size:           4
        .value_kind:     hidden_block_count_y
      - .offset:         152
        .size:           4
        .value_kind:     hidden_block_count_z
      - .offset:         156
        .size:           2
        .value_kind:     hidden_group_size_x
      - .offset:         158
        .size:           2
        .value_kind:     hidden_group_size_y
      - .offset:         160
        .size:           2
        .value_kind:     hidden_group_size_z
      - .offset:         162
        .size:           2
        .value_kind:     hidden_remainder_x
      - .offset:         164
        .size:           2
        .value_kind:     hidden_remainder_y
      - .offset:         166
        .size:           2
        .value_kind:     hidden_remainder_z
      - .offset:         184
        .size:           8
        .value_kind:     hidden_global_offset_x
      - .offset:         192
        .size:           8
        .value_kind:     hidden_global_offset_y
      - .offset:         200
        .size:           8
        .value_kind:     hidden_global_offset_z
      - .offset:         208
        .size:           2
        .value_kind:     hidden_grid_dims
      - .offset:         264
        .size:           4
        .value_kind:     hidden_dynamic_lds_size
    .group_segment_fixed_size: 288
    .kernarg_segment_align: 8
    .kernarg_segment_size: 400
    .language:       OpenCL C
    .language_version:
      - 2
      - 0
    .max_flat_workgroup_size: 1024
    .name:           _ZN4vllm25paged_attention_v2_kernelI14__hip_bfloat16S1_Li128ELi16ELi128ELNS_18Fp8KVCacheDataTypeE0ELb1ELi512EEEvPfS3_PT_PKS4_PKT0_SA_ifPKiSC_iPKfiiiSE_SE_iiiii
    .private_segment_fixed_size: 0
    .sgpr_count:     48
    .sgpr_spill_count: 0
    .symbol:         _ZN4vllm25paged_attention_v2_kernelI14__hip_bfloat16S1_Li128ELi16ELi128ELNS_18Fp8KVCacheDataTypeE0ELb1ELi512EEEvPfS3_PT_PKS4_PKT0_SA_ifPKiSC_iPKfiiiSE_SE_iiiii.kd
    .uniform_work_group_size: 1
    .uses_dynamic_stack: false
    .vgpr_count:     130
    .vgpr_spill_count: 0
    .wavefront_size: 32
    .workgroup_processor_mode: 1
  - .args:
      - .actual_access:  write_only
        .address_space:  global
        .offset:         0
        .size:           8
        .value_kind:     global_buffer
      - .actual_access:  write_only
        .address_space:  global
        .offset:         8
        .size:           8
        .value_kind:     global_buffer
      - .actual_access:  write_only
        .address_space:  global
        .offset:         16
        .size:           8
        .value_kind:     global_buffer
      - .actual_access:  read_only
        .address_space:  global
        .offset:         24
        .size:           8
        .value_kind:     global_buffer
      - .actual_access:  read_only
        .address_space:  global
        .offset:         32
        .size:           8
        .value_kind:     global_buffer
      - .actual_access:  read_only
        .address_space:  global
        .offset:         40
        .size:           8
        .value_kind:     global_buffer
      - .offset:         48
        .size:           4
        .value_kind:     by_value
      - .offset:         52
        .size:           4
        .value_kind:     by_value
      - .actual_access:  read_only
        .address_space:  global
        .offset:         56
        .size:           8
        .value_kind:     global_buffer
      - .actual_access:  read_only
        .address_space:  global
        .offset:         64
        .size:           8
        .value_kind:     global_buffer
      - .offset:         72
        .size:           4
        .value_kind:     by_value
      - .actual_access:  read_only
        .address_space:  global
        .offset:         80
        .size:           8
        .value_kind:     global_buffer
      - .offset:         88
        .size:           4
        .value_kind:     by_value
      - .offset:         92
        .size:           4
        .value_kind:     by_value
      - .offset:         96
        .size:           4
        .value_kind:     by_value
      - .address_space:  global
        .offset:         104
        .size:           8
        .value_kind:     global_buffer
      - .address_space:  global
        .offset:         112
        .size:           8
        .value_kind:     global_buffer
      - .offset:         120
        .size:           4
        .value_kind:     by_value
      - .offset:         124
        .size:           4
        .value_kind:     by_value
      - .offset:         128
        .size:           4
        .value_kind:     by_value
      - .offset:         132
        .size:           4
        .value_kind:     by_value
      - .offset:         136
        .size:           4
        .value_kind:     by_value
      - .offset:         144
        .size:           4
        .value_kind:     hidden_block_count_x
      - .offset:         148
        .size:           4
        .value_kind:     hidden_block_count_y
      - .offset:         152
        .size:           4
        .value_kind:     hidden_block_count_z
      - .offset:         156
        .size:           2
        .value_kind:     hidden_group_size_x
      - .offset:         158
        .size:           2
        .value_kind:     hidden_group_size_y
      - .offset:         160
        .size:           2
        .value_kind:     hidden_group_size_z
      - .offset:         162
        .size:           2
        .value_kind:     hidden_remainder_x
      - .offset:         164
        .size:           2
        .value_kind:     hidden_remainder_y
      - .offset:         166
        .size:           2
        .value_kind:     hidden_remainder_z
      - .offset:         184
        .size:           8
        .value_kind:     hidden_global_offset_x
      - .offset:         192
        .size:           8
        .value_kind:     hidden_global_offset_y
      - .offset:         200
        .size:           8
        .value_kind:     hidden_global_offset_z
      - .offset:         208
        .size:           2
        .value_kind:     hidden_grid_dims
      - .offset:         264
        .size:           4
        .value_kind:     hidden_dynamic_lds_size
    .group_segment_fixed_size: 416
    .kernarg_segment_align: 8
    .kernarg_segment_size: 400
    .language:       OpenCL C
    .language_version:
      - 2
      - 0
    .max_flat_workgroup_size: 1024
    .name:           _ZN4vllm25paged_attention_v2_kernelI14__hip_bfloat16S1_Li192ELi16ELi128ELNS_18Fp8KVCacheDataTypeE0ELb1ELi512EEEvPfS3_PT_PKS4_PKT0_SA_ifPKiSC_iPKfiiiSE_SE_iiiii
    .private_segment_fixed_size: 0
    .sgpr_count:     47
    .sgpr_spill_count: 0
    .symbol:         _ZN4vllm25paged_attention_v2_kernelI14__hip_bfloat16S1_Li192ELi16ELi128ELNS_18Fp8KVCacheDataTypeE0ELb1ELi512EEEvPfS3_PT_PKS4_PKT0_SA_ifPKiSC_iPKfiiiSE_SE_iiiii.kd
    .uniform_work_group_size: 1
    .uses_dynamic_stack: false
    .vgpr_count:     165
    .vgpr_spill_count: 0
    .wavefront_size: 32
    .workgroup_processor_mode: 1
  - .args:
      - .actual_access:  write_only
        .address_space:  global
        .offset:         0
        .size:           8
        .value_kind:     global_buffer
      - .actual_access:  write_only
        .address_space:  global
        .offset:         8
        .size:           8
        .value_kind:     global_buffer
      - .actual_access:  write_only
        .address_space:  global
        .offset:         16
        .size:           8
        .value_kind:     global_buffer
      - .actual_access:  read_only
        .address_space:  global
        .offset:         24
        .size:           8
        .value_kind:     global_buffer
      - .actual_access:  read_only
        .address_space:  global
        .offset:         32
        .size:           8
        .value_kind:     global_buffer
      - .actual_access:  read_only
        .address_space:  global
        .offset:         40
        .size:           8
        .value_kind:     global_buffer
      - .offset:         48
        .size:           4
        .value_kind:     by_value
      - .offset:         52
        .size:           4
        .value_kind:     by_value
      - .actual_access:  read_only
        .address_space:  global
        .offset:         56
        .size:           8
        .value_kind:     global_buffer
      - .actual_access:  read_only
        .address_space:  global
        .offset:         64
        .size:           8
        .value_kind:     global_buffer
      - .offset:         72
        .size:           4
        .value_kind:     by_value
      - .address_space:  global
        .offset:         80
        .size:           8
        .value_kind:     global_buffer
      - .offset:         88
        .size:           4
        .value_kind:     by_value
      - .offset:         92
        .size:           4
        .value_kind:     by_value
      - .offset:         96
        .size:           4
        .value_kind:     by_value
      - .address_space:  global
        .offset:         104
        .size:           8
        .value_kind:     global_buffer
      - .address_space:  global
        .offset:         112
        .size:           8
        .value_kind:     global_buffer
      - .offset:         120
        .size:           4
        .value_kind:     by_value
      - .offset:         124
        .size:           4
        .value_kind:     by_value
      - .offset:         128
        .size:           4
        .value_kind:     by_value
      - .offset:         132
        .size:           4
        .value_kind:     by_value
      - .offset:         136
        .size:           4
        .value_kind:     by_value
      - .offset:         144
        .size:           4
        .value_kind:     hidden_block_count_x
      - .offset:         148
        .size:           4
        .value_kind:     hidden_block_count_y
      - .offset:         152
        .size:           4
        .value_kind:     hidden_block_count_z
      - .offset:         156
        .size:           2
        .value_kind:     hidden_group_size_x
      - .offset:         158
        .size:           2
        .value_kind:     hidden_group_size_y
      - .offset:         160
        .size:           2
        .value_kind:     hidden_group_size_z
      - .offset:         162
        .size:           2
        .value_kind:     hidden_remainder_x
      - .offset:         164
        .size:           2
        .value_kind:     hidden_remainder_y
      - .offset:         166
        .size:           2
        .value_kind:     hidden_remainder_z
      - .offset:         184
        .size:           8
        .value_kind:     hidden_global_offset_x
      - .offset:         192
        .size:           8
        .value_kind:     hidden_global_offset_y
      - .offset:         200
        .size:           8
        .value_kind:     hidden_global_offset_z
      - .offset:         208
        .size:           2
        .value_kind:     hidden_grid_dims
      - .offset:         264
        .size:           4
        .value_kind:     hidden_dynamic_lds_size
    .group_segment_fixed_size: 544
    .kernarg_segment_align: 8
    .kernarg_segment_size: 400
    .language:       OpenCL C
    .language_version:
      - 2
      - 0
    .max_flat_workgroup_size: 1024
    .name:           _ZN4vllm25paged_attention_v2_kernelI14__hip_bfloat16S1_Li256ELi16ELi128ELNS_18Fp8KVCacheDataTypeE0ELb1ELi512EEEvPfS3_PT_PKS4_PKT0_SA_ifPKiSC_iPKfiiiSE_SE_iiiii
    .private_segment_fixed_size: 336
    .sgpr_count:     42
    .sgpr_spill_count: 0
    .symbol:         _ZN4vllm25paged_attention_v2_kernelI14__hip_bfloat16S1_Li256ELi16ELi128ELNS_18Fp8KVCacheDataTypeE0ELb1ELi512EEEvPfS3_PT_PKS4_PKT0_SA_ifPKiSC_iPKfiiiSE_SE_iiiii.kd
    .uniform_work_group_size: 1
    .uses_dynamic_stack: false
    .vgpr_count:     192
    .vgpr_spill_count: 0
    .wavefront_size: 32
    .workgroup_processor_mode: 1
  - .args:
      - .actual_access:  write_only
        .address_space:  global
        .offset:         0
        .size:           8
        .value_kind:     global_buffer
      - .actual_access:  write_only
        .address_space:  global
        .offset:         8
        .size:           8
        .value_kind:     global_buffer
      - .actual_access:  write_only
        .address_space:  global
        .offset:         16
        .size:           8
        .value_kind:     global_buffer
      - .actual_access:  read_only
        .address_space:  global
        .offset:         24
        .size:           8
        .value_kind:     global_buffer
      - .actual_access:  read_only
        .address_space:  global
        .offset:         32
        .size:           8
        .value_kind:     global_buffer
      - .actual_access:  read_only
        .address_space:  global
        .offset:         40
        .size:           8
        .value_kind:     global_buffer
      - .offset:         48
        .size:           4
        .value_kind:     by_value
      - .offset:         52
        .size:           4
        .value_kind:     by_value
      - .actual_access:  read_only
        .address_space:  global
        .offset:         56
        .size:           8
        .value_kind:     global_buffer
      - .actual_access:  read_only
        .address_space:  global
        .offset:         64
        .size:           8
        .value_kind:     global_buffer
      - .offset:         72
        .size:           4
        .value_kind:     by_value
      - .actual_access:  read_only
        .address_space:  global
        .offset:         80
        .size:           8
        .value_kind:     global_buffer
      - .offset:         88
        .size:           4
        .value_kind:     by_value
      - .offset:         92
        .size:           4
        .value_kind:     by_value
      - .offset:         96
        .size:           4
        .value_kind:     by_value
      - .address_space:  global
        .offset:         104
        .size:           8
        .value_kind:     global_buffer
      - .address_space:  global
        .offset:         112
        .size:           8
        .value_kind:     global_buffer
      - .offset:         120
        .size:           4
        .value_kind:     by_value
      - .offset:         124
        .size:           4
        .value_kind:     by_value
      - .offset:         128
        .size:           4
        .value_kind:     by_value
      - .offset:         132
        .size:           4
        .value_kind:     by_value
      - .offset:         136
        .size:           4
        .value_kind:     by_value
      - .offset:         144
        .size:           4
        .value_kind:     hidden_block_count_x
      - .offset:         148
        .size:           4
        .value_kind:     hidden_block_count_y
      - .offset:         152
        .size:           4
        .value_kind:     hidden_block_count_z
      - .offset:         156
        .size:           2
        .value_kind:     hidden_group_size_x
      - .offset:         158
        .size:           2
        .value_kind:     hidden_group_size_y
      - .offset:         160
        .size:           2
        .value_kind:     hidden_group_size_z
      - .offset:         162
        .size:           2
        .value_kind:     hidden_remainder_x
      - .offset:         164
        .size:           2
        .value_kind:     hidden_remainder_y
      - .offset:         166
        .size:           2
        .value_kind:     hidden_remainder_z
      - .offset:         184
        .size:           8
        .value_kind:     hidden_global_offset_x
      - .offset:         192
        .size:           8
        .value_kind:     hidden_global_offset_y
      - .offset:         200
        .size:           8
        .value_kind:     hidden_global_offset_z
      - .offset:         208
        .size:           2
        .value_kind:     hidden_grid_dims
      - .offset:         264
        .size:           4
        .value_kind:     hidden_dynamic_lds_size
    .group_segment_fixed_size: 96
    .kernarg_segment_align: 8
    .kernarg_segment_size: 400
    .language:       OpenCL C
    .language_version:
      - 2
      - 0
    .max_flat_workgroup_size: 1024
    .name:           _ZN4vllm25paged_attention_v2_kernelI14__hip_bfloat16S1_Li32ELi16ELi128ELNS_18Fp8KVCacheDataTypeE0ELb0ELi512EEEvPfS3_PT_PKS4_PKT0_SA_ifPKiSC_iPKfiiiSE_SE_iiiii
    .private_segment_fixed_size: 0
    .sgpr_count:     40
    .sgpr_spill_count: 0
    .symbol:         _ZN4vllm25paged_attention_v2_kernelI14__hip_bfloat16S1_Li32ELi16ELi128ELNS_18Fp8KVCacheDataTypeE0ELb0ELi512EEEvPfS3_PT_PKS4_PKT0_SA_ifPKiSC_iPKfiiiSE_SE_iiiii.kd
    .uniform_work_group_size: 1
    .uses_dynamic_stack: false
    .vgpr_count:     49
    .vgpr_spill_count: 0
    .wavefront_size: 32
    .workgroup_processor_mode: 1
  - .args:
      - .actual_access:  write_only
        .address_space:  global
        .offset:         0
        .size:           8
        .value_kind:     global_buffer
      - .actual_access:  write_only
        .address_space:  global
        .offset:         8
        .size:           8
        .value_kind:     global_buffer
      - .actual_access:  write_only
        .address_space:  global
        .offset:         16
        .size:           8
        .value_kind:     global_buffer
      - .actual_access:  read_only
        .address_space:  global
        .offset:         24
        .size:           8
        .value_kind:     global_buffer
      - .actual_access:  read_only
        .address_space:  global
        .offset:         32
        .size:           8
        .value_kind:     global_buffer
      - .actual_access:  read_only
        .address_space:  global
        .offset:         40
        .size:           8
        .value_kind:     global_buffer
      - .offset:         48
        .size:           4
        .value_kind:     by_value
      - .offset:         52
        .size:           4
        .value_kind:     by_value
      - .actual_access:  read_only
        .address_space:  global
        .offset:         56
        .size:           8
        .value_kind:     global_buffer
      - .actual_access:  read_only
        .address_space:  global
        .offset:         64
        .size:           8
        .value_kind:     global_buffer
      - .offset:         72
        .size:           4
        .value_kind:     by_value
      - .actual_access:  read_only
        .address_space:  global
        .offset:         80
        .size:           8
        .value_kind:     global_buffer
      - .offset:         88
        .size:           4
        .value_kind:     by_value
      - .offset:         92
        .size:           4
        .value_kind:     by_value
      - .offset:         96
        .size:           4
        .value_kind:     by_value
      - .address_space:  global
        .offset:         104
        .size:           8
        .value_kind:     global_buffer
      - .address_space:  global
        .offset:         112
        .size:           8
        .value_kind:     global_buffer
      - .offset:         120
        .size:           4
        .value_kind:     by_value
      - .offset:         124
        .size:           4
        .value_kind:     by_value
      - .offset:         128
        .size:           4
        .value_kind:     by_value
      - .offset:         132
        .size:           4
        .value_kind:     by_value
      - .offset:         136
        .size:           4
        .value_kind:     by_value
      - .offset:         144
        .size:           4
        .value_kind:     hidden_block_count_x
      - .offset:         148
        .size:           4
        .value_kind:     hidden_block_count_y
      - .offset:         152
        .size:           4
        .value_kind:     hidden_block_count_z
      - .offset:         156
        .size:           2
        .value_kind:     hidden_group_size_x
      - .offset:         158
        .size:           2
        .value_kind:     hidden_group_size_y
      - .offset:         160
        .size:           2
        .value_kind:     hidden_group_size_z
      - .offset:         162
        .size:           2
        .value_kind:     hidden_remainder_x
      - .offset:         164
        .size:           2
        .value_kind:     hidden_remainder_y
      - .offset:         166
        .size:           2
        .value_kind:     hidden_remainder_z
      - .offset:         184
        .size:           8
        .value_kind:     hidden_global_offset_x
      - .offset:         192
        .size:           8
        .value_kind:     hidden_global_offset_y
      - .offset:         200
        .size:           8
        .value_kind:     hidden_global_offset_z
      - .offset:         208
        .size:           2
        .value_kind:     hidden_grid_dims
      - .offset:         264
        .size:           4
        .value_kind:     hidden_dynamic_lds_size
    .group_segment_fixed_size: 160
    .kernarg_segment_align: 8
    .kernarg_segment_size: 400
    .language:       OpenCL C
    .language_version:
      - 2
      - 0
    .max_flat_workgroup_size: 1024
    .name:           _ZN4vllm25paged_attention_v2_kernelI14__hip_bfloat16S1_Li64ELi16ELi128ELNS_18Fp8KVCacheDataTypeE0ELb0ELi512EEEvPfS3_PT_PKS4_PKT0_SA_ifPKiSC_iPKfiiiSE_SE_iiiii
    .private_segment_fixed_size: 0
    .sgpr_count:     40
    .sgpr_spill_count: 0
    .symbol:         _ZN4vllm25paged_attention_v2_kernelI14__hip_bfloat16S1_Li64ELi16ELi128ELNS_18Fp8KVCacheDataTypeE0ELb0ELi512EEEvPfS3_PT_PKS4_PKT0_SA_ifPKiSC_iPKfiiiSE_SE_iiiii.kd
    .uniform_work_group_size: 1
    .uses_dynamic_stack: false
    .vgpr_count:     79
    .vgpr_spill_count: 0
    .wavefront_size: 32
    .workgroup_processor_mode: 1
  - .args:
      - .actual_access:  write_only
        .address_space:  global
        .offset:         0
        .size:           8
        .value_kind:     global_buffer
      - .actual_access:  write_only
        .address_space:  global
        .offset:         8
        .size:           8
        .value_kind:     global_buffer
      - .actual_access:  write_only
        .address_space:  global
        .offset:         16
        .size:           8
        .value_kind:     global_buffer
      - .actual_access:  read_only
        .address_space:  global
        .offset:         24
        .size:           8
        .value_kind:     global_buffer
      - .actual_access:  read_only
        .address_space:  global
        .offset:         32
        .size:           8
        .value_kind:     global_buffer
      - .actual_access:  read_only
        .address_space:  global
        .offset:         40
        .size:           8
        .value_kind:     global_buffer
      - .offset:         48
        .size:           4
        .value_kind:     by_value
      - .offset:         52
        .size:           4
        .value_kind:     by_value
      - .actual_access:  read_only
        .address_space:  global
        .offset:         56
        .size:           8
        .value_kind:     global_buffer
      - .actual_access:  read_only
        .address_space:  global
        .offset:         64
        .size:           8
        .value_kind:     global_buffer
      - .offset:         72
        .size:           4
        .value_kind:     by_value
      - .actual_access:  read_only
        .address_space:  global
        .offset:         80
        .size:           8
        .value_kind:     global_buffer
      - .offset:         88
        .size:           4
        .value_kind:     by_value
      - .offset:         92
        .size:           4
        .value_kind:     by_value
      - .offset:         96
        .size:           4
        .value_kind:     by_value
      - .address_space:  global
        .offset:         104
        .size:           8
        .value_kind:     global_buffer
      - .address_space:  global
        .offset:         112
        .size:           8
        .value_kind:     global_buffer
      - .offset:         120
        .size:           4
        .value_kind:     by_value
      - .offset:         124
        .size:           4
        .value_kind:     by_value
      - .offset:         128
        .size:           4
        .value_kind:     by_value
      - .offset:         132
        .size:           4
        .value_kind:     by_value
      - .offset:         136
        .size:           4
        .value_kind:     by_value
      - .offset:         144
        .size:           4
        .value_kind:     hidden_block_count_x
      - .offset:         148
        .size:           4
        .value_kind:     hidden_block_count_y
      - .offset:         152
        .size:           4
        .value_kind:     hidden_block_count_z
      - .offset:         156
        .size:           2
        .value_kind:     hidden_group_size_x
      - .offset:         158
        .size:           2
        .value_kind:     hidden_group_size_y
      - .offset:         160
        .size:           2
        .value_kind:     hidden_group_size_z
      - .offset:         162
        .size:           2
        .value_kind:     hidden_remainder_x
      - .offset:         164
        .size:           2
        .value_kind:     hidden_remainder_y
      - .offset:         166
        .size:           2
        .value_kind:     hidden_remainder_z
      - .offset:         184
        .size:           8
        .value_kind:     hidden_global_offset_x
      - .offset:         192
        .size:           8
        .value_kind:     hidden_global_offset_y
      - .offset:         200
        .size:           8
        .value_kind:     hidden_global_offset_z
      - .offset:         208
        .size:           2
        .value_kind:     hidden_grid_dims
      - .offset:         264
        .size:           4
        .value_kind:     hidden_dynamic_lds_size
    .group_segment_fixed_size: 192
    .kernarg_segment_align: 8
    .kernarg_segment_size: 400
    .language:       OpenCL C
    .language_version:
      - 2
      - 0
    .max_flat_workgroup_size: 1024
    .name:           _ZN4vllm25paged_attention_v2_kernelI14__hip_bfloat16S1_Li80ELi16ELi128ELNS_18Fp8KVCacheDataTypeE0ELb0ELi512EEEvPfS3_PT_PKS4_PKT0_SA_ifPKiSC_iPKfiiiSE_SE_iiiii
    .private_segment_fixed_size: 0
    .sgpr_count:     40
    .sgpr_spill_count: 0
    .symbol:         _ZN4vllm25paged_attention_v2_kernelI14__hip_bfloat16S1_Li80ELi16ELi128ELNS_18Fp8KVCacheDataTypeE0ELb0ELi512EEEvPfS3_PT_PKS4_PKT0_SA_ifPKiSC_iPKfiiiSE_SE_iiiii.kd
    .uniform_work_group_size: 1
    .uses_dynamic_stack: false
    .vgpr_count:     94
    .vgpr_spill_count: 0
    .wavefront_size: 32
    .workgroup_processor_mode: 1
  - .args:
      - .actual_access:  write_only
        .address_space:  global
        .offset:         0
        .size:           8
        .value_kind:     global_buffer
      - .actual_access:  write_only
        .address_space:  global
        .offset:         8
        .size:           8
        .value_kind:     global_buffer
      - .actual_access:  write_only
        .address_space:  global
        .offset:         16
        .size:           8
        .value_kind:     global_buffer
      - .actual_access:  read_only
        .address_space:  global
        .offset:         24
        .size:           8
        .value_kind:     global_buffer
      - .actual_access:  read_only
        .address_space:  global
        .offset:         32
        .size:           8
        .value_kind:     global_buffer
      - .actual_access:  read_only
        .address_space:  global
        .offset:         40
        .size:           8
        .value_kind:     global_buffer
      - .offset:         48
        .size:           4
        .value_kind:     by_value
      - .offset:         52
        .size:           4
        .value_kind:     by_value
      - .actual_access:  read_only
        .address_space:  global
        .offset:         56
        .size:           8
        .value_kind:     global_buffer
      - .actual_access:  read_only
        .address_space:  global
        .offset:         64
        .size:           8
        .value_kind:     global_buffer
      - .offset:         72
        .size:           4
        .value_kind:     by_value
      - .actual_access:  read_only
        .address_space:  global
        .offset:         80
        .size:           8
        .value_kind:     global_buffer
      - .offset:         88
        .size:           4
        .value_kind:     by_value
      - .offset:         92
        .size:           4
        .value_kind:     by_value
      - .offset:         96
        .size:           4
        .value_kind:     by_value
      - .address_space:  global
        .offset:         104
        .size:           8
        .value_kind:     global_buffer
      - .address_space:  global
        .offset:         112
        .size:           8
        .value_kind:     global_buffer
      - .offset:         120
        .size:           4
        .value_kind:     by_value
      - .offset:         124
        .size:           4
        .value_kind:     by_value
      - .offset:         128
        .size:           4
        .value_kind:     by_value
      - .offset:         132
        .size:           4
        .value_kind:     by_value
      - .offset:         136
        .size:           4
        .value_kind:     by_value
      - .offset:         144
        .size:           4
        .value_kind:     hidden_block_count_x
      - .offset:         148
        .size:           4
        .value_kind:     hidden_block_count_y
      - .offset:         152
        .size:           4
        .value_kind:     hidden_block_count_z
      - .offset:         156
        .size:           2
        .value_kind:     hidden_group_size_x
      - .offset:         158
        .size:           2
        .value_kind:     hidden_group_size_y
      - .offset:         160
        .size:           2
        .value_kind:     hidden_group_size_z
      - .offset:         162
        .size:           2
        .value_kind:     hidden_remainder_x
      - .offset:         164
        .size:           2
        .value_kind:     hidden_remainder_y
      - .offset:         166
        .size:           2
        .value_kind:     hidden_remainder_z
      - .offset:         184
        .size:           8
        .value_kind:     hidden_global_offset_x
      - .offset:         192
        .size:           8
        .value_kind:     hidden_global_offset_y
      - .offset:         200
        .size:           8
        .value_kind:     hidden_global_offset_z
      - .offset:         208
        .size:           2
        .value_kind:     hidden_grid_dims
      - .offset:         264
        .size:           4
        .value_kind:     hidden_dynamic_lds_size
    .group_segment_fixed_size: 224
    .kernarg_segment_align: 8
    .kernarg_segment_size: 400
    .language:       OpenCL C
    .language_version:
      - 2
      - 0
    .max_flat_workgroup_size: 1024
    .name:           _ZN4vllm25paged_attention_v2_kernelI14__hip_bfloat16S1_Li96ELi16ELi128ELNS_18Fp8KVCacheDataTypeE0ELb0ELi512EEEvPfS3_PT_PKS4_PKT0_SA_ifPKiSC_iPKfiiiSE_SE_iiiii
    .private_segment_fixed_size: 0
    .sgpr_count:     40
    .sgpr_spill_count: 0
    .symbol:         _ZN4vllm25paged_attention_v2_kernelI14__hip_bfloat16S1_Li96ELi16ELi128ELNS_18Fp8KVCacheDataTypeE0ELb0ELi512EEEvPfS3_PT_PKS4_PKT0_SA_ifPKiSC_iPKfiiiSE_SE_iiiii.kd
    .uniform_work_group_size: 1
    .uses_dynamic_stack: false
    .vgpr_count:     109
    .vgpr_spill_count: 0
    .wavefront_size: 32
    .workgroup_processor_mode: 1
  - .args:
      - .actual_access:  write_only
        .address_space:  global
        .offset:         0
        .size:           8
        .value_kind:     global_buffer
      - .actual_access:  write_only
        .address_space:  global
        .offset:         8
        .size:           8
        .value_kind:     global_buffer
      - .actual_access:  write_only
        .address_space:  global
        .offset:         16
        .size:           8
        .value_kind:     global_buffer
      - .actual_access:  read_only
        .address_space:  global
        .offset:         24
        .size:           8
        .value_kind:     global_buffer
      - .actual_access:  read_only
        .address_space:  global
        .offset:         32
        .size:           8
        .value_kind:     global_buffer
      - .actual_access:  read_only
        .address_space:  global
        .offset:         40
        .size:           8
        .value_kind:     global_buffer
      - .offset:         48
        .size:           4
        .value_kind:     by_value
      - .offset:         52
        .size:           4
        .value_kind:     by_value
      - .actual_access:  read_only
        .address_space:  global
        .offset:         56
        .size:           8
        .value_kind:     global_buffer
      - .actual_access:  read_only
        .address_space:  global
        .offset:         64
        .size:           8
        .value_kind:     global_buffer
      - .offset:         72
        .size:           4
        .value_kind:     by_value
      - .actual_access:  read_only
        .address_space:  global
        .offset:         80
        .size:           8
        .value_kind:     global_buffer
      - .offset:         88
        .size:           4
        .value_kind:     by_value
      - .offset:         92
        .size:           4
        .value_kind:     by_value
      - .offset:         96
        .size:           4
        .value_kind:     by_value
      - .address_space:  global
        .offset:         104
        .size:           8
        .value_kind:     global_buffer
      - .address_space:  global
        .offset:         112
        .size:           8
        .value_kind:     global_buffer
      - .offset:         120
        .size:           4
        .value_kind:     by_value
      - .offset:         124
        .size:           4
        .value_kind:     by_value
      - .offset:         128
        .size:           4
        .value_kind:     by_value
      - .offset:         132
        .size:           4
        .value_kind:     by_value
      - .offset:         136
        .size:           4
        .value_kind:     by_value
      - .offset:         144
        .size:           4
        .value_kind:     hidden_block_count_x
      - .offset:         148
        .size:           4
        .value_kind:     hidden_block_count_y
      - .offset:         152
        .size:           4
        .value_kind:     hidden_block_count_z
      - .offset:         156
        .size:           2
        .value_kind:     hidden_group_size_x
      - .offset:         158
        .size:           2
        .value_kind:     hidden_group_size_y
      - .offset:         160
        .size:           2
        .value_kind:     hidden_group_size_z
      - .offset:         162
        .size:           2
        .value_kind:     hidden_remainder_x
      - .offset:         164
        .size:           2
        .value_kind:     hidden_remainder_y
      - .offset:         166
        .size:           2
        .value_kind:     hidden_remainder_z
      - .offset:         184
        .size:           8
        .value_kind:     hidden_global_offset_x
      - .offset:         192
        .size:           8
        .value_kind:     hidden_global_offset_y
      - .offset:         200
        .size:           8
        .value_kind:     hidden_global_offset_z
      - .offset:         208
        .size:           2
        .value_kind:     hidden_grid_dims
      - .offset:         264
        .size:           4
        .value_kind:     hidden_dynamic_lds_size
    .group_segment_fixed_size: 256
    .kernarg_segment_align: 8
    .kernarg_segment_size: 400
    .language:       OpenCL C
    .language_version:
      - 2
      - 0
    .max_flat_workgroup_size: 1024
    .name:           _ZN4vllm25paged_attention_v2_kernelI14__hip_bfloat16S1_Li112ELi16ELi128ELNS_18Fp8KVCacheDataTypeE0ELb0ELi512EEEvPfS3_PT_PKS4_PKT0_SA_ifPKiSC_iPKfiiiSE_SE_iiiii
    .private_segment_fixed_size: 0
    .sgpr_count:     40
    .sgpr_spill_count: 0
    .symbol:         _ZN4vllm25paged_attention_v2_kernelI14__hip_bfloat16S1_Li112ELi16ELi128ELNS_18Fp8KVCacheDataTypeE0ELb0ELi512EEEvPfS3_PT_PKS4_PKT0_SA_ifPKiSC_iPKfiiiSE_SE_iiiii.kd
    .uniform_work_group_size: 1
    .uses_dynamic_stack: false
    .vgpr_count:     124
    .vgpr_spill_count: 0
    .wavefront_size: 32
    .workgroup_processor_mode: 1
  - .args:
      - .actual_access:  write_only
        .address_space:  global
        .offset:         0
        .size:           8
        .value_kind:     global_buffer
      - .actual_access:  write_only
        .address_space:  global
        .offset:         8
        .size:           8
        .value_kind:     global_buffer
      - .actual_access:  write_only
        .address_space:  global
        .offset:         16
        .size:           8
        .value_kind:     global_buffer
      - .actual_access:  read_only
        .address_space:  global
        .offset:         24
        .size:           8
        .value_kind:     global_buffer
      - .actual_access:  read_only
        .address_space:  global
        .offset:         32
        .size:           8
        .value_kind:     global_buffer
      - .actual_access:  read_only
        .address_space:  global
        .offset:         40
        .size:           8
        .value_kind:     global_buffer
      - .offset:         48
        .size:           4
        .value_kind:     by_value
      - .offset:         52
        .size:           4
        .value_kind:     by_value
      - .actual_access:  read_only
        .address_space:  global
        .offset:         56
        .size:           8
        .value_kind:     global_buffer
      - .actual_access:  read_only
        .address_space:  global
        .offset:         64
        .size:           8
        .value_kind:     global_buffer
      - .offset:         72
        .size:           4
        .value_kind:     by_value
      - .actual_access:  read_only
        .address_space:  global
        .offset:         80
        .size:           8
        .value_kind:     global_buffer
      - .offset:         88
        .size:           4
        .value_kind:     by_value
      - .offset:         92
        .size:           4
        .value_kind:     by_value
      - .offset:         96
        .size:           4
        .value_kind:     by_value
      - .address_space:  global
        .offset:         104
        .size:           8
        .value_kind:     global_buffer
      - .address_space:  global
        .offset:         112
        .size:           8
        .value_kind:     global_buffer
      - .offset:         120
        .size:           4
        .value_kind:     by_value
      - .offset:         124
        .size:           4
        .value_kind:     by_value
      - .offset:         128
        .size:           4
        .value_kind:     by_value
      - .offset:         132
        .size:           4
        .value_kind:     by_value
      - .offset:         136
        .size:           4
        .value_kind:     by_value
      - .offset:         144
        .size:           4
        .value_kind:     hidden_block_count_x
      - .offset:         148
        .size:           4
        .value_kind:     hidden_block_count_y
      - .offset:         152
        .size:           4
        .value_kind:     hidden_block_count_z
      - .offset:         156
        .size:           2
        .value_kind:     hidden_group_size_x
      - .offset:         158
        .size:           2
        .value_kind:     hidden_group_size_y
      - .offset:         160
        .size:           2
        .value_kind:     hidden_group_size_z
      - .offset:         162
        .size:           2
        .value_kind:     hidden_remainder_x
      - .offset:         164
        .size:           2
        .value_kind:     hidden_remainder_y
      - .offset:         166
        .size:           2
        .value_kind:     hidden_remainder_z
      - .offset:         184
        .size:           8
        .value_kind:     hidden_global_offset_x
      - .offset:         192
        .size:           8
        .value_kind:     hidden_global_offset_y
      - .offset:         200
        .size:           8
        .value_kind:     hidden_global_offset_z
      - .offset:         208
        .size:           2
        .value_kind:     hidden_grid_dims
      - .offset:         264
        .size:           4
        .value_kind:     hidden_dynamic_lds_size
    .group_segment_fixed_size: 272
    .kernarg_segment_align: 8
    .kernarg_segment_size: 400
    .language:       OpenCL C
    .language_version:
      - 2
      - 0
    .max_flat_workgroup_size: 1024
    .name:           _ZN4vllm25paged_attention_v2_kernelI14__hip_bfloat16S1_Li120ELi16ELi128ELNS_18Fp8KVCacheDataTypeE0ELb0ELi512EEEvPfS3_PT_PKS4_PKT0_SA_ifPKiSC_iPKfiiiSE_SE_iiiii
    .private_segment_fixed_size: 0
    .sgpr_count:     40
    .sgpr_spill_count: 0
    .symbol:         _ZN4vllm25paged_attention_v2_kernelI14__hip_bfloat16S1_Li120ELi16ELi128ELNS_18Fp8KVCacheDataTypeE0ELb0ELi512EEEvPfS3_PT_PKS4_PKT0_SA_ifPKiSC_iPKfiiiSE_SE_iiiii.kd
    .uniform_work_group_size: 1
    .uses_dynamic_stack: false
    .vgpr_count:     130
    .vgpr_spill_count: 0
    .wavefront_size: 32
    .workgroup_processor_mode: 1
  - .args:
      - .actual_access:  write_only
        .address_space:  global
        .offset:         0
        .size:           8
        .value_kind:     global_buffer
      - .actual_access:  write_only
        .address_space:  global
        .offset:         8
        .size:           8
        .value_kind:     global_buffer
      - .actual_access:  write_only
        .address_space:  global
        .offset:         16
        .size:           8
        .value_kind:     global_buffer
      - .actual_access:  read_only
        .address_space:  global
        .offset:         24
        .size:           8
        .value_kind:     global_buffer
      - .actual_access:  read_only
        .address_space:  global
        .offset:         32
        .size:           8
        .value_kind:     global_buffer
      - .actual_access:  read_only
        .address_space:  global
        .offset:         40
        .size:           8
        .value_kind:     global_buffer
      - .offset:         48
        .size:           4
        .value_kind:     by_value
      - .offset:         52
        .size:           4
        .value_kind:     by_value
      - .actual_access:  read_only
        .address_space:  global
        .offset:         56
        .size:           8
        .value_kind:     global_buffer
      - .actual_access:  read_only
        .address_space:  global
        .offset:         64
        .size:           8
        .value_kind:     global_buffer
      - .offset:         72
        .size:           4
        .value_kind:     by_value
      - .actual_access:  read_only
        .address_space:  global
        .offset:         80
        .size:           8
        .value_kind:     global_buffer
      - .offset:         88
        .size:           4
        .value_kind:     by_value
      - .offset:         92
        .size:           4
        .value_kind:     by_value
      - .offset:         96
        .size:           4
        .value_kind:     by_value
      - .address_space:  global
        .offset:         104
        .size:           8
        .value_kind:     global_buffer
      - .address_space:  global
        .offset:         112
        .size:           8
        .value_kind:     global_buffer
      - .offset:         120
        .size:           4
        .value_kind:     by_value
      - .offset:         124
        .size:           4
        .value_kind:     by_value
      - .offset:         128
        .size:           4
        .value_kind:     by_value
      - .offset:         132
        .size:           4
        .value_kind:     by_value
      - .offset:         136
        .size:           4
        .value_kind:     by_value
      - .offset:         144
        .size:           4
        .value_kind:     hidden_block_count_x
      - .offset:         148
        .size:           4
        .value_kind:     hidden_block_count_y
      - .offset:         152
        .size:           4
        .value_kind:     hidden_block_count_z
      - .offset:         156
        .size:           2
        .value_kind:     hidden_group_size_x
      - .offset:         158
        .size:           2
        .value_kind:     hidden_group_size_y
      - .offset:         160
        .size:           2
        .value_kind:     hidden_group_size_z
      - .offset:         162
        .size:           2
        .value_kind:     hidden_remainder_x
      - .offset:         164
        .size:           2
        .value_kind:     hidden_remainder_y
      - .offset:         166
        .size:           2
        .value_kind:     hidden_remainder_z
      - .offset:         184
        .size:           8
        .value_kind:     hidden_global_offset_x
      - .offset:         192
        .size:           8
        .value_kind:     hidden_global_offset_y
      - .offset:         200
        .size:           8
        .value_kind:     hidden_global_offset_z
      - .offset:         208
        .size:           2
        .value_kind:     hidden_grid_dims
      - .offset:         264
        .size:           4
        .value_kind:     hidden_dynamic_lds_size
    .group_segment_fixed_size: 288
    .kernarg_segment_align: 8
    .kernarg_segment_size: 400
    .language:       OpenCL C
    .language_version:
      - 2
      - 0
    .max_flat_workgroup_size: 1024
    .name:           _ZN4vllm25paged_attention_v2_kernelI14__hip_bfloat16S1_Li128ELi16ELi128ELNS_18Fp8KVCacheDataTypeE0ELb0ELi512EEEvPfS3_PT_PKS4_PKT0_SA_ifPKiSC_iPKfiiiSE_SE_iiiii
    .private_segment_fixed_size: 0
    .sgpr_count:     42
    .sgpr_spill_count: 0
    .symbol:         _ZN4vllm25paged_attention_v2_kernelI14__hip_bfloat16S1_Li128ELi16ELi128ELNS_18Fp8KVCacheDataTypeE0ELb0ELi512EEEvPfS3_PT_PKS4_PKT0_SA_ifPKiSC_iPKfiiiSE_SE_iiiii.kd
    .uniform_work_group_size: 1
    .uses_dynamic_stack: false
    .vgpr_count:     132
    .vgpr_spill_count: 0
    .wavefront_size: 32
    .workgroup_processor_mode: 1
  - .args:
      - .actual_access:  write_only
        .address_space:  global
        .offset:         0
        .size:           8
        .value_kind:     global_buffer
      - .actual_access:  write_only
        .address_space:  global
        .offset:         8
        .size:           8
        .value_kind:     global_buffer
      - .actual_access:  write_only
        .address_space:  global
        .offset:         16
        .size:           8
        .value_kind:     global_buffer
      - .actual_access:  read_only
        .address_space:  global
        .offset:         24
        .size:           8
        .value_kind:     global_buffer
      - .actual_access:  read_only
        .address_space:  global
        .offset:         32
        .size:           8
        .value_kind:     global_buffer
      - .actual_access:  read_only
        .address_space:  global
        .offset:         40
        .size:           8
        .value_kind:     global_buffer
      - .offset:         48
        .size:           4
        .value_kind:     by_value
      - .offset:         52
        .size:           4
        .value_kind:     by_value
      - .actual_access:  read_only
        .address_space:  global
        .offset:         56
        .size:           8
        .value_kind:     global_buffer
      - .actual_access:  read_only
        .address_space:  global
        .offset:         64
        .size:           8
        .value_kind:     global_buffer
      - .offset:         72
        .size:           4
        .value_kind:     by_value
      - .actual_access:  read_only
        .address_space:  global
        .offset:         80
        .size:           8
        .value_kind:     global_buffer
      - .offset:         88
        .size:           4
        .value_kind:     by_value
      - .offset:         92
        .size:           4
        .value_kind:     by_value
      - .offset:         96
        .size:           4
        .value_kind:     by_value
      - .address_space:  global
        .offset:         104
        .size:           8
        .value_kind:     global_buffer
      - .address_space:  global
        .offset:         112
        .size:           8
        .value_kind:     global_buffer
      - .offset:         120
        .size:           4
        .value_kind:     by_value
      - .offset:         124
        .size:           4
        .value_kind:     by_value
      - .offset:         128
        .size:           4
        .value_kind:     by_value
      - .offset:         132
        .size:           4
        .value_kind:     by_value
      - .offset:         136
        .size:           4
        .value_kind:     by_value
      - .offset:         144
        .size:           4
        .value_kind:     hidden_block_count_x
      - .offset:         148
        .size:           4
        .value_kind:     hidden_block_count_y
      - .offset:         152
        .size:           4
        .value_kind:     hidden_block_count_z
      - .offset:         156
        .size:           2
        .value_kind:     hidden_group_size_x
      - .offset:         158
        .size:           2
        .value_kind:     hidden_group_size_y
      - .offset:         160
        .size:           2
        .value_kind:     hidden_group_size_z
      - .offset:         162
        .size:           2
        .value_kind:     hidden_remainder_x
      - .offset:         164
        .size:           2
        .value_kind:     hidden_remainder_y
      - .offset:         166
        .size:           2
        .value_kind:     hidden_remainder_z
      - .offset:         184
        .size:           8
        .value_kind:     hidden_global_offset_x
      - .offset:         192
        .size:           8
        .value_kind:     hidden_global_offset_y
      - .offset:         200
        .size:           8
        .value_kind:     hidden_global_offset_z
      - .offset:         208
        .size:           2
        .value_kind:     hidden_grid_dims
      - .offset:         264
        .size:           4
        .value_kind:     hidden_dynamic_lds_size
    .group_segment_fixed_size: 416
    .kernarg_segment_align: 8
    .kernarg_segment_size: 400
    .language:       OpenCL C
    .language_version:
      - 2
      - 0
    .max_flat_workgroup_size: 1024
    .name:           _ZN4vllm25paged_attention_v2_kernelI14__hip_bfloat16S1_Li192ELi16ELi128ELNS_18Fp8KVCacheDataTypeE0ELb0ELi512EEEvPfS3_PT_PKS4_PKT0_SA_ifPKiSC_iPKfiiiSE_SE_iiiii
    .private_segment_fixed_size: 0
    .sgpr_count:     40
    .sgpr_spill_count: 0
    .symbol:         _ZN4vllm25paged_attention_v2_kernelI14__hip_bfloat16S1_Li192ELi16ELi128ELNS_18Fp8KVCacheDataTypeE0ELb0ELi512EEEvPfS3_PT_PKS4_PKT0_SA_ifPKiSC_iPKfiiiSE_SE_iiiii.kd
    .uniform_work_group_size: 1
    .uses_dynamic_stack: false
    .vgpr_count:     166
    .vgpr_spill_count: 0
    .wavefront_size: 32
    .workgroup_processor_mode: 1
  - .args:
      - .actual_access:  write_only
        .address_space:  global
        .offset:         0
        .size:           8
        .value_kind:     global_buffer
      - .actual_access:  write_only
        .address_space:  global
        .offset:         8
        .size:           8
        .value_kind:     global_buffer
      - .actual_access:  write_only
        .address_space:  global
        .offset:         16
        .size:           8
        .value_kind:     global_buffer
      - .actual_access:  read_only
        .address_space:  global
        .offset:         24
        .size:           8
        .value_kind:     global_buffer
      - .actual_access:  read_only
        .address_space:  global
        .offset:         32
        .size:           8
        .value_kind:     global_buffer
      - .actual_access:  read_only
        .address_space:  global
        .offset:         40
        .size:           8
        .value_kind:     global_buffer
      - .offset:         48
        .size:           4
        .value_kind:     by_value
      - .offset:         52
        .size:           4
        .value_kind:     by_value
      - .actual_access:  read_only
        .address_space:  global
        .offset:         56
        .size:           8
        .value_kind:     global_buffer
      - .actual_access:  read_only
        .address_space:  global
        .offset:         64
        .size:           8
        .value_kind:     global_buffer
      - .offset:         72
        .size:           4
        .value_kind:     by_value
      - .address_space:  global
        .offset:         80
        .size:           8
        .value_kind:     global_buffer
      - .offset:         88
        .size:           4
        .value_kind:     by_value
      - .offset:         92
        .size:           4
        .value_kind:     by_value
      - .offset:         96
        .size:           4
        .value_kind:     by_value
      - .address_space:  global
        .offset:         104
        .size:           8
        .value_kind:     global_buffer
      - .address_space:  global
        .offset:         112
        .size:           8
        .value_kind:     global_buffer
      - .offset:         120
        .size:           4
        .value_kind:     by_value
      - .offset:         124
        .size:           4
        .value_kind:     by_value
      - .offset:         128
        .size:           4
        .value_kind:     by_value
      - .offset:         132
        .size:           4
        .value_kind:     by_value
      - .offset:         136
        .size:           4
        .value_kind:     by_value
      - .offset:         144
        .size:           4
        .value_kind:     hidden_block_count_x
      - .offset:         148
        .size:           4
        .value_kind:     hidden_block_count_y
      - .offset:         152
        .size:           4
        .value_kind:     hidden_block_count_z
      - .offset:         156
        .size:           2
        .value_kind:     hidden_group_size_x
      - .offset:         158
        .size:           2
        .value_kind:     hidden_group_size_y
      - .offset:         160
        .size:           2
        .value_kind:     hidden_group_size_z
      - .offset:         162
        .size:           2
        .value_kind:     hidden_remainder_x
      - .offset:         164
        .size:           2
        .value_kind:     hidden_remainder_y
      - .offset:         166
        .size:           2
        .value_kind:     hidden_remainder_z
      - .offset:         184
        .size:           8
        .value_kind:     hidden_global_offset_x
      - .offset:         192
        .size:           8
        .value_kind:     hidden_global_offset_y
      - .offset:         200
        .size:           8
        .value_kind:     hidden_global_offset_z
      - .offset:         208
        .size:           2
        .value_kind:     hidden_grid_dims
      - .offset:         264
        .size:           4
        .value_kind:     hidden_dynamic_lds_size
    .group_segment_fixed_size: 544
    .kernarg_segment_align: 8
    .kernarg_segment_size: 400
    .language:       OpenCL C
    .language_version:
      - 2
      - 0
    .max_flat_workgroup_size: 1024
    .name:           _ZN4vllm25paged_attention_v2_kernelI14__hip_bfloat16S1_Li256ELi16ELi128ELNS_18Fp8KVCacheDataTypeE0ELb0ELi512EEEvPfS3_PT_PKS4_PKT0_SA_ifPKiSC_iPKfiiiSE_SE_iiiii
    .private_segment_fixed_size: 304
    .sgpr_count:     35
    .sgpr_spill_count: 0
    .symbol:         _ZN4vllm25paged_attention_v2_kernelI14__hip_bfloat16S1_Li256ELi16ELi128ELNS_18Fp8KVCacheDataTypeE0ELb0ELi512EEEvPfS3_PT_PKS4_PKT0_SA_ifPKiSC_iPKfiiiSE_SE_iiiii.kd
    .uniform_work_group_size: 1
    .uses_dynamic_stack: false
    .vgpr_count:     187
    .vgpr_spill_count: 0
    .wavefront_size: 32
    .workgroup_processor_mode: 1
  - .args:
      - .actual_access:  write_only
        .address_space:  global
        .offset:         0
        .size:           8
        .value_kind:     global_buffer
      - .actual_access:  write_only
        .address_space:  global
        .offset:         8
        .size:           8
        .value_kind:     global_buffer
      - .actual_access:  write_only
        .address_space:  global
        .offset:         16
        .size:           8
        .value_kind:     global_buffer
      - .actual_access:  read_only
        .address_space:  global
        .offset:         24
        .size:           8
        .value_kind:     global_buffer
      - .actual_access:  read_only
        .address_space:  global
        .offset:         32
        .size:           8
        .value_kind:     global_buffer
      - .actual_access:  read_only
        .address_space:  global
        .offset:         40
        .size:           8
        .value_kind:     global_buffer
      - .offset:         48
        .size:           4
        .value_kind:     by_value
      - .offset:         52
        .size:           4
        .value_kind:     by_value
      - .actual_access:  read_only
        .address_space:  global
        .offset:         56
        .size:           8
        .value_kind:     global_buffer
      - .actual_access:  read_only
        .address_space:  global
        .offset:         64
        .size:           8
        .value_kind:     global_buffer
      - .offset:         72
        .size:           4
        .value_kind:     by_value
      - .actual_access:  read_only
        .address_space:  global
        .offset:         80
        .size:           8
        .value_kind:     global_buffer
      - .offset:         88
        .size:           4
        .value_kind:     by_value
      - .offset:         92
        .size:           4
        .value_kind:     by_value
      - .offset:         96
        .size:           4
        .value_kind:     by_value
      - .address_space:  global
        .offset:         104
        .size:           8
        .value_kind:     global_buffer
      - .address_space:  global
        .offset:         112
        .size:           8
        .value_kind:     global_buffer
      - .offset:         120
        .size:           4
        .value_kind:     by_value
      - .offset:         124
        .size:           4
        .value_kind:     by_value
      - .offset:         128
        .size:           4
        .value_kind:     by_value
      - .offset:         132
        .size:           4
        .value_kind:     by_value
      - .offset:         136
        .size:           4
        .value_kind:     by_value
      - .offset:         144
        .size:           4
        .value_kind:     hidden_block_count_x
      - .offset:         148
        .size:           4
        .value_kind:     hidden_block_count_y
      - .offset:         152
        .size:           4
        .value_kind:     hidden_block_count_z
      - .offset:         156
        .size:           2
        .value_kind:     hidden_group_size_x
      - .offset:         158
        .size:           2
        .value_kind:     hidden_group_size_y
      - .offset:         160
        .size:           2
        .value_kind:     hidden_group_size_z
      - .offset:         162
        .size:           2
        .value_kind:     hidden_remainder_x
      - .offset:         164
        .size:           2
        .value_kind:     hidden_remainder_y
      - .offset:         166
        .size:           2
        .value_kind:     hidden_remainder_z
      - .offset:         184
        .size:           8
        .value_kind:     hidden_global_offset_x
      - .offset:         192
        .size:           8
        .value_kind:     hidden_global_offset_y
      - .offset:         200
        .size:           8
        .value_kind:     hidden_global_offset_z
      - .offset:         208
        .size:           2
        .value_kind:     hidden_grid_dims
      - .offset:         264
        .size:           4
        .value_kind:     hidden_dynamic_lds_size
    .group_segment_fixed_size: 96
    .kernarg_segment_align: 8
    .kernarg_segment_size: 400
    .language:       OpenCL C
    .language_version:
      - 2
      - 0
    .max_flat_workgroup_size: 1024
    .name:           _ZN4vllm25paged_attention_v2_kernelI14__hip_bfloat16S1_Li32ELi32ELi128ELNS_18Fp8KVCacheDataTypeE0ELb1ELi512EEEvPfS3_PT_PKS4_PKT0_SA_ifPKiSC_iPKfiiiSE_SE_iiiii
    .private_segment_fixed_size: 0
    .sgpr_count:     46
    .sgpr_spill_count: 0
    .symbol:         _ZN4vllm25paged_attention_v2_kernelI14__hip_bfloat16S1_Li32ELi32ELi128ELNS_18Fp8KVCacheDataTypeE0ELb1ELi512EEEvPfS3_PT_PKS4_PKT0_SA_ifPKiSC_iPKfiiiSE_SE_iiiii.kd
    .uniform_work_group_size: 1
    .uses_dynamic_stack: false
    .vgpr_count:     83
    .vgpr_spill_count: 0
    .wavefront_size: 32
    .workgroup_processor_mode: 1
  - .args:
      - .actual_access:  write_only
        .address_space:  global
        .offset:         0
        .size:           8
        .value_kind:     global_buffer
      - .actual_access:  write_only
        .address_space:  global
        .offset:         8
        .size:           8
        .value_kind:     global_buffer
      - .actual_access:  write_only
        .address_space:  global
        .offset:         16
        .size:           8
        .value_kind:     global_buffer
      - .actual_access:  read_only
        .address_space:  global
        .offset:         24
        .size:           8
        .value_kind:     global_buffer
      - .actual_access:  read_only
        .address_space:  global
        .offset:         32
        .size:           8
        .value_kind:     global_buffer
      - .actual_access:  read_only
        .address_space:  global
        .offset:         40
        .size:           8
        .value_kind:     global_buffer
      - .offset:         48
        .size:           4
        .value_kind:     by_value
      - .offset:         52
        .size:           4
        .value_kind:     by_value
      - .actual_access:  read_only
        .address_space:  global
        .offset:         56
        .size:           8
        .value_kind:     global_buffer
      - .actual_access:  read_only
        .address_space:  global
        .offset:         64
        .size:           8
        .value_kind:     global_buffer
      - .offset:         72
        .size:           4
        .value_kind:     by_value
      - .actual_access:  read_only
        .address_space:  global
        .offset:         80
        .size:           8
        .value_kind:     global_buffer
      - .offset:         88
        .size:           4
        .value_kind:     by_value
      - .offset:         92
        .size:           4
        .value_kind:     by_value
      - .offset:         96
        .size:           4
        .value_kind:     by_value
      - .address_space:  global
        .offset:         104
        .size:           8
        .value_kind:     global_buffer
      - .address_space:  global
        .offset:         112
        .size:           8
        .value_kind:     global_buffer
      - .offset:         120
        .size:           4
        .value_kind:     by_value
      - .offset:         124
        .size:           4
        .value_kind:     by_value
      - .offset:         128
        .size:           4
        .value_kind:     by_value
      - .offset:         132
        .size:           4
        .value_kind:     by_value
      - .offset:         136
        .size:           4
        .value_kind:     by_value
      - .offset:         144
        .size:           4
        .value_kind:     hidden_block_count_x
      - .offset:         148
        .size:           4
        .value_kind:     hidden_block_count_y
      - .offset:         152
        .size:           4
        .value_kind:     hidden_block_count_z
      - .offset:         156
        .size:           2
        .value_kind:     hidden_group_size_x
      - .offset:         158
        .size:           2
        .value_kind:     hidden_group_size_y
      - .offset:         160
        .size:           2
        .value_kind:     hidden_group_size_z
      - .offset:         162
        .size:           2
        .value_kind:     hidden_remainder_x
      - .offset:         164
        .size:           2
        .value_kind:     hidden_remainder_y
      - .offset:         166
        .size:           2
        .value_kind:     hidden_remainder_z
      - .offset:         184
        .size:           8
        .value_kind:     hidden_global_offset_x
      - .offset:         192
        .size:           8
        .value_kind:     hidden_global_offset_y
      - .offset:         200
        .size:           8
        .value_kind:     hidden_global_offset_z
      - .offset:         208
        .size:           2
        .value_kind:     hidden_grid_dims
      - .offset:         264
        .size:           4
        .value_kind:     hidden_dynamic_lds_size
    .group_segment_fixed_size: 160
    .kernarg_segment_align: 8
    .kernarg_segment_size: 400
    .language:       OpenCL C
    .language_version:
      - 2
      - 0
    .max_flat_workgroup_size: 1024
    .name:           _ZN4vllm25paged_attention_v2_kernelI14__hip_bfloat16S1_Li64ELi32ELi128ELNS_18Fp8KVCacheDataTypeE0ELb1ELi512EEEvPfS3_PT_PKS4_PKT0_SA_ifPKiSC_iPKfiiiSE_SE_iiiii
    .private_segment_fixed_size: 0
    .sgpr_count:     46
    .sgpr_spill_count: 0
    .symbol:         _ZN4vllm25paged_attention_v2_kernelI14__hip_bfloat16S1_Li64ELi32ELi128ELNS_18Fp8KVCacheDataTypeE0ELb1ELi512EEEvPfS3_PT_PKS4_PKT0_SA_ifPKiSC_iPKfiiiSE_SE_iiiii.kd
    .uniform_work_group_size: 1
    .uses_dynamic_stack: false
    .vgpr_count:     147
    .vgpr_spill_count: 0
    .wavefront_size: 32
    .workgroup_processor_mode: 1
  - .args:
      - .actual_access:  write_only
        .address_space:  global
        .offset:         0
        .size:           8
        .value_kind:     global_buffer
      - .actual_access:  write_only
        .address_space:  global
        .offset:         8
        .size:           8
        .value_kind:     global_buffer
      - .actual_access:  write_only
        .address_space:  global
        .offset:         16
        .size:           8
        .value_kind:     global_buffer
      - .actual_access:  read_only
        .address_space:  global
        .offset:         24
        .size:           8
        .value_kind:     global_buffer
      - .actual_access:  read_only
        .address_space:  global
        .offset:         32
        .size:           8
        .value_kind:     global_buffer
      - .actual_access:  read_only
        .address_space:  global
        .offset:         40
        .size:           8
        .value_kind:     global_buffer
      - .offset:         48
        .size:           4
        .value_kind:     by_value
      - .offset:         52
        .size:           4
        .value_kind:     by_value
      - .actual_access:  read_only
        .address_space:  global
        .offset:         56
        .size:           8
        .value_kind:     global_buffer
      - .actual_access:  read_only
        .address_space:  global
        .offset:         64
        .size:           8
        .value_kind:     global_buffer
      - .offset:         72
        .size:           4
        .value_kind:     by_value
      - .actual_access:  read_only
        .address_space:  global
        .offset:         80
        .size:           8
        .value_kind:     global_buffer
      - .offset:         88
        .size:           4
        .value_kind:     by_value
      - .offset:         92
        .size:           4
        .value_kind:     by_value
      - .offset:         96
        .size:           4
        .value_kind:     by_value
      - .address_space:  global
        .offset:         104
        .size:           8
        .value_kind:     global_buffer
      - .address_space:  global
        .offset:         112
        .size:           8
        .value_kind:     global_buffer
      - .offset:         120
        .size:           4
        .value_kind:     by_value
      - .offset:         124
        .size:           4
        .value_kind:     by_value
      - .offset:         128
        .size:           4
        .value_kind:     by_value
      - .offset:         132
        .size:           4
        .value_kind:     by_value
      - .offset:         136
        .size:           4
        .value_kind:     by_value
      - .offset:         144
        .size:           4
        .value_kind:     hidden_block_count_x
      - .offset:         148
        .size:           4
        .value_kind:     hidden_block_count_y
      - .offset:         152
        .size:           4
        .value_kind:     hidden_block_count_z
      - .offset:         156
        .size:           2
        .value_kind:     hidden_group_size_x
      - .offset:         158
        .size:           2
        .value_kind:     hidden_group_size_y
      - .offset:         160
        .size:           2
        .value_kind:     hidden_group_size_z
      - .offset:         162
        .size:           2
        .value_kind:     hidden_remainder_x
      - .offset:         164
        .size:           2
        .value_kind:     hidden_remainder_y
      - .offset:         166
        .size:           2
        .value_kind:     hidden_remainder_z
      - .offset:         184
        .size:           8
        .value_kind:     hidden_global_offset_x
      - .offset:         192
        .size:           8
        .value_kind:     hidden_global_offset_y
      - .offset:         200
        .size:           8
        .value_kind:     hidden_global_offset_z
      - .offset:         208
        .size:           2
        .value_kind:     hidden_grid_dims
      - .offset:         264
        .size:           4
        .value_kind:     hidden_dynamic_lds_size
    .group_segment_fixed_size: 192
    .kernarg_segment_align: 8
    .kernarg_segment_size: 400
    .language:       OpenCL C
    .language_version:
      - 2
      - 0
    .max_flat_workgroup_size: 1024
    .name:           _ZN4vllm25paged_attention_v2_kernelI14__hip_bfloat16S1_Li80ELi32ELi128ELNS_18Fp8KVCacheDataTypeE0ELb1ELi512EEEvPfS3_PT_PKS4_PKT0_SA_ifPKiSC_iPKfiiiSE_SE_iiiii
    .private_segment_fixed_size: 0
    .sgpr_count:     46
    .sgpr_spill_count: 0
    .symbol:         _ZN4vllm25paged_attention_v2_kernelI14__hip_bfloat16S1_Li80ELi32ELi128ELNS_18Fp8KVCacheDataTypeE0ELb1ELi512EEEvPfS3_PT_PKS4_PKT0_SA_ifPKiSC_iPKfiiiSE_SE_iiiii.kd
    .uniform_work_group_size: 1
    .uses_dynamic_stack: false
    .vgpr_count:     178
    .vgpr_spill_count: 0
    .wavefront_size: 32
    .workgroup_processor_mode: 1
  - .args:
      - .actual_access:  write_only
        .address_space:  global
        .offset:         0
        .size:           8
        .value_kind:     global_buffer
      - .actual_access:  write_only
        .address_space:  global
        .offset:         8
        .size:           8
        .value_kind:     global_buffer
      - .actual_access:  write_only
        .address_space:  global
        .offset:         16
        .size:           8
        .value_kind:     global_buffer
      - .actual_access:  read_only
        .address_space:  global
        .offset:         24
        .size:           8
        .value_kind:     global_buffer
      - .actual_access:  read_only
        .address_space:  global
        .offset:         32
        .size:           8
        .value_kind:     global_buffer
      - .actual_access:  read_only
        .address_space:  global
        .offset:         40
        .size:           8
        .value_kind:     global_buffer
      - .offset:         48
        .size:           4
        .value_kind:     by_value
      - .offset:         52
        .size:           4
        .value_kind:     by_value
      - .actual_access:  read_only
        .address_space:  global
        .offset:         56
        .size:           8
        .value_kind:     global_buffer
      - .actual_access:  read_only
        .address_space:  global
        .offset:         64
        .size:           8
        .value_kind:     global_buffer
      - .offset:         72
        .size:           4
        .value_kind:     by_value
      - .actual_access:  read_only
        .address_space:  global
        .offset:         80
        .size:           8
        .value_kind:     global_buffer
      - .offset:         88
        .size:           4
        .value_kind:     by_value
      - .offset:         92
        .size:           4
        .value_kind:     by_value
      - .offset:         96
        .size:           4
        .value_kind:     by_value
      - .address_space:  global
        .offset:         104
        .size:           8
        .value_kind:     global_buffer
      - .address_space:  global
        .offset:         112
        .size:           8
        .value_kind:     global_buffer
      - .offset:         120
        .size:           4
        .value_kind:     by_value
      - .offset:         124
        .size:           4
        .value_kind:     by_value
      - .offset:         128
        .size:           4
        .value_kind:     by_value
      - .offset:         132
        .size:           4
        .value_kind:     by_value
      - .offset:         136
        .size:           4
        .value_kind:     by_value
      - .offset:         144
        .size:           4
        .value_kind:     hidden_block_count_x
      - .offset:         148
        .size:           4
        .value_kind:     hidden_block_count_y
      - .offset:         152
        .size:           4
        .value_kind:     hidden_block_count_z
      - .offset:         156
        .size:           2
        .value_kind:     hidden_group_size_x
      - .offset:         158
        .size:           2
        .value_kind:     hidden_group_size_y
      - .offset:         160
        .size:           2
        .value_kind:     hidden_group_size_z
      - .offset:         162
        .size:           2
        .value_kind:     hidden_remainder_x
      - .offset:         164
        .size:           2
        .value_kind:     hidden_remainder_y
      - .offset:         166
        .size:           2
        .value_kind:     hidden_remainder_z
      - .offset:         184
        .size:           8
        .value_kind:     hidden_global_offset_x
      - .offset:         192
        .size:           8
        .value_kind:     hidden_global_offset_y
      - .offset:         200
        .size:           8
        .value_kind:     hidden_global_offset_z
      - .offset:         208
        .size:           2
        .value_kind:     hidden_grid_dims
      - .offset:         264
        .size:           4
        .value_kind:     hidden_dynamic_lds_size
    .group_segment_fixed_size: 224
    .kernarg_segment_align: 8
    .kernarg_segment_size: 400
    .language:       OpenCL C
    .language_version:
      - 2
      - 0
    .max_flat_workgroup_size: 1024
    .name:           _ZN4vllm25paged_attention_v2_kernelI14__hip_bfloat16S1_Li96ELi32ELi128ELNS_18Fp8KVCacheDataTypeE0ELb1ELi512EEEvPfS3_PT_PKS4_PKT0_SA_ifPKiSC_iPKfiiiSE_SE_iiiii
    .private_segment_fixed_size: 0
    .sgpr_count:     46
    .sgpr_spill_count: 0
    .symbol:         _ZN4vllm25paged_attention_v2_kernelI14__hip_bfloat16S1_Li96ELi32ELi128ELNS_18Fp8KVCacheDataTypeE0ELb1ELi512EEEvPfS3_PT_PKS4_PKT0_SA_ifPKiSC_iPKfiiiSE_SE_iiiii.kd
    .uniform_work_group_size: 1
    .uses_dynamic_stack: false
    .vgpr_count:     175
    .vgpr_spill_count: 0
    .wavefront_size: 32
    .workgroup_processor_mode: 1
  - .args:
      - .actual_access:  write_only
        .address_space:  global
        .offset:         0
        .size:           8
        .value_kind:     global_buffer
      - .actual_access:  write_only
        .address_space:  global
        .offset:         8
        .size:           8
        .value_kind:     global_buffer
      - .actual_access:  write_only
        .address_space:  global
        .offset:         16
        .size:           8
        .value_kind:     global_buffer
      - .actual_access:  read_only
        .address_space:  global
        .offset:         24
        .size:           8
        .value_kind:     global_buffer
      - .actual_access:  read_only
        .address_space:  global
        .offset:         32
        .size:           8
        .value_kind:     global_buffer
      - .actual_access:  read_only
        .address_space:  global
        .offset:         40
        .size:           8
        .value_kind:     global_buffer
      - .offset:         48
        .size:           4
        .value_kind:     by_value
      - .offset:         52
        .size:           4
        .value_kind:     by_value
      - .actual_access:  read_only
        .address_space:  global
        .offset:         56
        .size:           8
        .value_kind:     global_buffer
      - .actual_access:  read_only
        .address_space:  global
        .offset:         64
        .size:           8
        .value_kind:     global_buffer
      - .offset:         72
        .size:           4
        .value_kind:     by_value
      - .address_space:  global
        .offset:         80
        .size:           8
        .value_kind:     global_buffer
      - .offset:         88
        .size:           4
        .value_kind:     by_value
      - .offset:         92
        .size:           4
        .value_kind:     by_value
      - .offset:         96
        .size:           4
        .value_kind:     by_value
      - .address_space:  global
        .offset:         104
        .size:           8
        .value_kind:     global_buffer
      - .address_space:  global
        .offset:         112
        .size:           8
        .value_kind:     global_buffer
      - .offset:         120
        .size:           4
        .value_kind:     by_value
      - .offset:         124
        .size:           4
        .value_kind:     by_value
      - .offset:         128
        .size:           4
        .value_kind:     by_value
      - .offset:         132
        .size:           4
        .value_kind:     by_value
      - .offset:         136
        .size:           4
        .value_kind:     by_value
      - .offset:         144
        .size:           4
        .value_kind:     hidden_block_count_x
      - .offset:         148
        .size:           4
        .value_kind:     hidden_block_count_y
      - .offset:         152
        .size:           4
        .value_kind:     hidden_block_count_z
      - .offset:         156
        .size:           2
        .value_kind:     hidden_group_size_x
      - .offset:         158
        .size:           2
        .value_kind:     hidden_group_size_y
      - .offset:         160
        .size:           2
        .value_kind:     hidden_group_size_z
      - .offset:         162
        .size:           2
        .value_kind:     hidden_remainder_x
      - .offset:         164
        .size:           2
        .value_kind:     hidden_remainder_y
      - .offset:         166
        .size:           2
        .value_kind:     hidden_remainder_z
      - .offset:         184
        .size:           8
        .value_kind:     hidden_global_offset_x
      - .offset:         192
        .size:           8
        .value_kind:     hidden_global_offset_y
      - .offset:         200
        .size:           8
        .value_kind:     hidden_global_offset_z
      - .offset:         208
        .size:           2
        .value_kind:     hidden_grid_dims
      - .offset:         264
        .size:           4
        .value_kind:     hidden_dynamic_lds_size
    .group_segment_fixed_size: 256
    .kernarg_segment_align: 8
    .kernarg_segment_size: 400
    .language:       OpenCL C
    .language_version:
      - 2
      - 0
    .max_flat_workgroup_size: 1024
    .name:           _ZN4vllm25paged_attention_v2_kernelI14__hip_bfloat16S1_Li112ELi32ELi128ELNS_18Fp8KVCacheDataTypeE0ELb1ELi512EEEvPfS3_PT_PKS4_PKT0_SA_ifPKiSC_iPKfiiiSE_SE_iiiii
    .private_segment_fixed_size: 468
    .sgpr_count:     42
    .sgpr_spill_count: 0
    .symbol:         _ZN4vllm25paged_attention_v2_kernelI14__hip_bfloat16S1_Li112ELi32ELi128ELNS_18Fp8KVCacheDataTypeE0ELb1ELi512EEEvPfS3_PT_PKS4_PKT0_SA_ifPKiSC_iPKfiiiSE_SE_iiiii.kd
    .uniform_work_group_size: 1
    .uses_dynamic_stack: false
    .vgpr_count:     192
    .vgpr_spill_count: 0
    .wavefront_size: 32
    .workgroup_processor_mode: 1
  - .args:
      - .actual_access:  write_only
        .address_space:  global
        .offset:         0
        .size:           8
        .value_kind:     global_buffer
      - .actual_access:  write_only
        .address_space:  global
        .offset:         8
        .size:           8
        .value_kind:     global_buffer
      - .actual_access:  write_only
        .address_space:  global
        .offset:         16
        .size:           8
        .value_kind:     global_buffer
      - .actual_access:  read_only
        .address_space:  global
        .offset:         24
        .size:           8
        .value_kind:     global_buffer
      - .actual_access:  read_only
        .address_space:  global
        .offset:         32
        .size:           8
        .value_kind:     global_buffer
      - .actual_access:  read_only
        .address_space:  global
        .offset:         40
        .size:           8
        .value_kind:     global_buffer
      - .offset:         48
        .size:           4
        .value_kind:     by_value
      - .offset:         52
        .size:           4
        .value_kind:     by_value
      - .actual_access:  read_only
        .address_space:  global
        .offset:         56
        .size:           8
        .value_kind:     global_buffer
      - .actual_access:  read_only
        .address_space:  global
        .offset:         64
        .size:           8
        .value_kind:     global_buffer
      - .offset:         72
        .size:           4
        .value_kind:     by_value
      - .address_space:  global
        .offset:         80
        .size:           8
        .value_kind:     global_buffer
      - .offset:         88
        .size:           4
        .value_kind:     by_value
      - .offset:         92
        .size:           4
        .value_kind:     by_value
      - .offset:         96
        .size:           4
        .value_kind:     by_value
      - .address_space:  global
        .offset:         104
        .size:           8
        .value_kind:     global_buffer
      - .address_space:  global
        .offset:         112
        .size:           8
        .value_kind:     global_buffer
      - .offset:         120
        .size:           4
        .value_kind:     by_value
      - .offset:         124
        .size:           4
        .value_kind:     by_value
      - .offset:         128
        .size:           4
        .value_kind:     by_value
      - .offset:         132
        .size:           4
        .value_kind:     by_value
      - .offset:         136
        .size:           4
        .value_kind:     by_value
      - .offset:         144
        .size:           4
        .value_kind:     hidden_block_count_x
      - .offset:         148
        .size:           4
        .value_kind:     hidden_block_count_y
      - .offset:         152
        .size:           4
        .value_kind:     hidden_block_count_z
      - .offset:         156
        .size:           2
        .value_kind:     hidden_group_size_x
      - .offset:         158
        .size:           2
        .value_kind:     hidden_group_size_y
      - .offset:         160
        .size:           2
        .value_kind:     hidden_group_size_z
      - .offset:         162
        .size:           2
        .value_kind:     hidden_remainder_x
      - .offset:         164
        .size:           2
        .value_kind:     hidden_remainder_y
      - .offset:         166
        .size:           2
        .value_kind:     hidden_remainder_z
      - .offset:         184
        .size:           8
        .value_kind:     hidden_global_offset_x
      - .offset:         192
        .size:           8
        .value_kind:     hidden_global_offset_y
      - .offset:         200
        .size:           8
        .value_kind:     hidden_global_offset_z
      - .offset:         208
        .size:           2
        .value_kind:     hidden_grid_dims
      - .offset:         264
        .size:           4
        .value_kind:     hidden_dynamic_lds_size
    .group_segment_fixed_size: 272
    .kernarg_segment_align: 8
    .kernarg_segment_size: 400
    .language:       OpenCL C
    .language_version:
      - 2
      - 0
    .max_flat_workgroup_size: 1024
    .name:           _ZN4vllm25paged_attention_v2_kernelI14__hip_bfloat16S1_Li120ELi32ELi128ELNS_18Fp8KVCacheDataTypeE0ELb1ELi512EEEvPfS3_PT_PKS4_PKT0_SA_ifPKiSC_iPKfiiiSE_SE_iiiii
    .private_segment_fixed_size: 500
    .sgpr_count:     42
    .sgpr_spill_count: 0
    .symbol:         _ZN4vllm25paged_attention_v2_kernelI14__hip_bfloat16S1_Li120ELi32ELi128ELNS_18Fp8KVCacheDataTypeE0ELb1ELi512EEEvPfS3_PT_PKS4_PKT0_SA_ifPKiSC_iPKfiiiSE_SE_iiiii.kd
    .uniform_work_group_size: 1
    .uses_dynamic_stack: false
    .vgpr_count:     192
    .vgpr_spill_count: 0
    .wavefront_size: 32
    .workgroup_processor_mode: 1
  - .args:
      - .actual_access:  write_only
        .address_space:  global
        .offset:         0
        .size:           8
        .value_kind:     global_buffer
      - .actual_access:  write_only
        .address_space:  global
        .offset:         8
        .size:           8
        .value_kind:     global_buffer
      - .actual_access:  write_only
        .address_space:  global
        .offset:         16
        .size:           8
        .value_kind:     global_buffer
      - .actual_access:  read_only
        .address_space:  global
        .offset:         24
        .size:           8
        .value_kind:     global_buffer
      - .actual_access:  read_only
        .address_space:  global
        .offset:         32
        .size:           8
        .value_kind:     global_buffer
      - .actual_access:  read_only
        .address_space:  global
        .offset:         40
        .size:           8
        .value_kind:     global_buffer
      - .offset:         48
        .size:           4
        .value_kind:     by_value
      - .offset:         52
        .size:           4
        .value_kind:     by_value
      - .actual_access:  read_only
        .address_space:  global
        .offset:         56
        .size:           8
        .value_kind:     global_buffer
      - .actual_access:  read_only
        .address_space:  global
        .offset:         64
        .size:           8
        .value_kind:     global_buffer
      - .offset:         72
        .size:           4
        .value_kind:     by_value
      - .address_space:  global
        .offset:         80
        .size:           8
        .value_kind:     global_buffer
      - .offset:         88
        .size:           4
        .value_kind:     by_value
      - .offset:         92
        .size:           4
        .value_kind:     by_value
      - .offset:         96
        .size:           4
        .value_kind:     by_value
      - .address_space:  global
        .offset:         104
        .size:           8
        .value_kind:     global_buffer
      - .address_space:  global
        .offset:         112
        .size:           8
        .value_kind:     global_buffer
      - .offset:         120
        .size:           4
        .value_kind:     by_value
      - .offset:         124
        .size:           4
        .value_kind:     by_value
      - .offset:         128
        .size:           4
        .value_kind:     by_value
      - .offset:         132
        .size:           4
        .value_kind:     by_value
      - .offset:         136
        .size:           4
        .value_kind:     by_value
      - .offset:         144
        .size:           4
        .value_kind:     hidden_block_count_x
      - .offset:         148
        .size:           4
        .value_kind:     hidden_block_count_y
      - .offset:         152
        .size:           4
        .value_kind:     hidden_block_count_z
      - .offset:         156
        .size:           2
        .value_kind:     hidden_group_size_x
      - .offset:         158
        .size:           2
        .value_kind:     hidden_group_size_y
      - .offset:         160
        .size:           2
        .value_kind:     hidden_group_size_z
      - .offset:         162
        .size:           2
        .value_kind:     hidden_remainder_x
      - .offset:         164
        .size:           2
        .value_kind:     hidden_remainder_y
      - .offset:         166
        .size:           2
        .value_kind:     hidden_remainder_z
      - .offset:         184
        .size:           8
        .value_kind:     hidden_global_offset_x
      - .offset:         192
        .size:           8
        .value_kind:     hidden_global_offset_y
      - .offset:         200
        .size:           8
        .value_kind:     hidden_global_offset_z
      - .offset:         208
        .size:           2
        .value_kind:     hidden_grid_dims
      - .offset:         264
        .size:           4
        .value_kind:     hidden_dynamic_lds_size
    .group_segment_fixed_size: 288
    .kernarg_segment_align: 8
    .kernarg_segment_size: 400
    .language:       OpenCL C
    .language_version:
      - 2
      - 0
    .max_flat_workgroup_size: 1024
    .name:           _ZN4vllm25paged_attention_v2_kernelI14__hip_bfloat16S1_Li128ELi32ELi128ELNS_18Fp8KVCacheDataTypeE0ELb1ELi512EEEvPfS3_PT_PKS4_PKT0_SA_ifPKiSC_iPKfiiiSE_SE_iiiii
    .private_segment_fixed_size: 532
    .sgpr_count:     42
    .sgpr_spill_count: 0
    .symbol:         _ZN4vllm25paged_attention_v2_kernelI14__hip_bfloat16S1_Li128ELi32ELi128ELNS_18Fp8KVCacheDataTypeE0ELb1ELi512EEEvPfS3_PT_PKS4_PKT0_SA_ifPKiSC_iPKfiiiSE_SE_iiiii.kd
    .uniform_work_group_size: 1
    .uses_dynamic_stack: false
    .vgpr_count:     192
    .vgpr_spill_count: 0
    .wavefront_size: 32
    .workgroup_processor_mode: 1
  - .args:
      - .actual_access:  write_only
        .address_space:  global
        .offset:         0
        .size:           8
        .value_kind:     global_buffer
      - .actual_access:  write_only
        .address_space:  global
        .offset:         8
        .size:           8
        .value_kind:     global_buffer
      - .actual_access:  write_only
        .address_space:  global
        .offset:         16
        .size:           8
        .value_kind:     global_buffer
      - .actual_access:  read_only
        .address_space:  global
        .offset:         24
        .size:           8
        .value_kind:     global_buffer
      - .actual_access:  read_only
        .address_space:  global
        .offset:         32
        .size:           8
        .value_kind:     global_buffer
      - .actual_access:  read_only
        .address_space:  global
        .offset:         40
        .size:           8
        .value_kind:     global_buffer
      - .offset:         48
        .size:           4
        .value_kind:     by_value
      - .offset:         52
        .size:           4
        .value_kind:     by_value
      - .actual_access:  read_only
        .address_space:  global
        .offset:         56
        .size:           8
        .value_kind:     global_buffer
      - .actual_access:  read_only
        .address_space:  global
        .offset:         64
        .size:           8
        .value_kind:     global_buffer
      - .offset:         72
        .size:           4
        .value_kind:     by_value
      - .address_space:  global
        .offset:         80
        .size:           8
        .value_kind:     global_buffer
      - .offset:         88
        .size:           4
        .value_kind:     by_value
      - .offset:         92
        .size:           4
        .value_kind:     by_value
      - .offset:         96
        .size:           4
        .value_kind:     by_value
      - .address_space:  global
        .offset:         104
        .size:           8
        .value_kind:     global_buffer
      - .address_space:  global
        .offset:         112
        .size:           8
        .value_kind:     global_buffer
      - .offset:         120
        .size:           4
        .value_kind:     by_value
      - .offset:         124
        .size:           4
        .value_kind:     by_value
      - .offset:         128
        .size:           4
        .value_kind:     by_value
      - .offset:         132
        .size:           4
        .value_kind:     by_value
      - .offset:         136
        .size:           4
        .value_kind:     by_value
      - .offset:         144
        .size:           4
        .value_kind:     hidden_block_count_x
      - .offset:         148
        .size:           4
        .value_kind:     hidden_block_count_y
      - .offset:         152
        .size:           4
        .value_kind:     hidden_block_count_z
      - .offset:         156
        .size:           2
        .value_kind:     hidden_group_size_x
      - .offset:         158
        .size:           2
        .value_kind:     hidden_group_size_y
      - .offset:         160
        .size:           2
        .value_kind:     hidden_group_size_z
      - .offset:         162
        .size:           2
        .value_kind:     hidden_remainder_x
      - .offset:         164
        .size:           2
        .value_kind:     hidden_remainder_y
      - .offset:         166
        .size:           2
        .value_kind:     hidden_remainder_z
      - .offset:         184
        .size:           8
        .value_kind:     hidden_global_offset_x
      - .offset:         192
        .size:           8
        .value_kind:     hidden_global_offset_y
      - .offset:         200
        .size:           8
        .value_kind:     hidden_global_offset_z
      - .offset:         208
        .size:           2
        .value_kind:     hidden_grid_dims
      - .offset:         264
        .size:           4
        .value_kind:     hidden_dynamic_lds_size
    .group_segment_fixed_size: 416
    .kernarg_segment_align: 8
    .kernarg_segment_size: 400
    .language:       OpenCL C
    .language_version:
      - 2
      - 0
    .max_flat_workgroup_size: 1024
    .name:           _ZN4vllm25paged_attention_v2_kernelI14__hip_bfloat16S1_Li192ELi32ELi128ELNS_18Fp8KVCacheDataTypeE0ELb1ELi512EEEvPfS3_PT_PKS4_PKT0_SA_ifPKiSC_iPKfiiiSE_SE_iiiii
    .private_segment_fixed_size: 796
    .sgpr_count:     42
    .sgpr_spill_count: 0
    .symbol:         _ZN4vllm25paged_attention_v2_kernelI14__hip_bfloat16S1_Li192ELi32ELi128ELNS_18Fp8KVCacheDataTypeE0ELb1ELi512EEEvPfS3_PT_PKS4_PKT0_SA_ifPKiSC_iPKfiiiSE_SE_iiiii.kd
    .uniform_work_group_size: 1
    .uses_dynamic_stack: false
    .vgpr_count:     192
    .vgpr_spill_count: 0
    .wavefront_size: 32
    .workgroup_processor_mode: 1
  - .args:
      - .actual_access:  write_only
        .address_space:  global
        .offset:         0
        .size:           8
        .value_kind:     global_buffer
      - .actual_access:  write_only
        .address_space:  global
        .offset:         8
        .size:           8
        .value_kind:     global_buffer
      - .actual_access:  write_only
        .address_space:  global
        .offset:         16
        .size:           8
        .value_kind:     global_buffer
      - .actual_access:  read_only
        .address_space:  global
        .offset:         24
        .size:           8
        .value_kind:     global_buffer
      - .actual_access:  read_only
        .address_space:  global
        .offset:         32
        .size:           8
        .value_kind:     global_buffer
      - .actual_access:  read_only
        .address_space:  global
        .offset:         40
        .size:           8
        .value_kind:     global_buffer
      - .offset:         48
        .size:           4
        .value_kind:     by_value
      - .offset:         52
        .size:           4
        .value_kind:     by_value
      - .actual_access:  read_only
        .address_space:  global
        .offset:         56
        .size:           8
        .value_kind:     global_buffer
      - .actual_access:  read_only
        .address_space:  global
        .offset:         64
        .size:           8
        .value_kind:     global_buffer
      - .offset:         72
        .size:           4
        .value_kind:     by_value
      - .address_space:  global
        .offset:         80
        .size:           8
        .value_kind:     global_buffer
      - .offset:         88
        .size:           4
        .value_kind:     by_value
      - .offset:         92
        .size:           4
        .value_kind:     by_value
      - .offset:         96
        .size:           4
        .value_kind:     by_value
      - .address_space:  global
        .offset:         104
        .size:           8
        .value_kind:     global_buffer
      - .address_space:  global
        .offset:         112
        .size:           8
        .value_kind:     global_buffer
      - .offset:         120
        .size:           4
        .value_kind:     by_value
      - .offset:         124
        .size:           4
        .value_kind:     by_value
      - .offset:         128
        .size:           4
        .value_kind:     by_value
      - .offset:         132
        .size:           4
        .value_kind:     by_value
      - .offset:         136
        .size:           4
        .value_kind:     by_value
      - .offset:         144
        .size:           4
        .value_kind:     hidden_block_count_x
      - .offset:         148
        .size:           4
        .value_kind:     hidden_block_count_y
      - .offset:         152
        .size:           4
        .value_kind:     hidden_block_count_z
      - .offset:         156
        .size:           2
        .value_kind:     hidden_group_size_x
      - .offset:         158
        .size:           2
        .value_kind:     hidden_group_size_y
      - .offset:         160
        .size:           2
        .value_kind:     hidden_group_size_z
      - .offset:         162
        .size:           2
        .value_kind:     hidden_remainder_x
      - .offset:         164
        .size:           2
        .value_kind:     hidden_remainder_y
      - .offset:         166
        .size:           2
        .value_kind:     hidden_remainder_z
      - .offset:         184
        .size:           8
        .value_kind:     hidden_global_offset_x
      - .offset:         192
        .size:           8
        .value_kind:     hidden_global_offset_y
      - .offset:         200
        .size:           8
        .value_kind:     hidden_global_offset_z
      - .offset:         208
        .size:           2
        .value_kind:     hidden_grid_dims
      - .offset:         264
        .size:           4
        .value_kind:     hidden_dynamic_lds_size
    .group_segment_fixed_size: 544
    .kernarg_segment_align: 8
    .kernarg_segment_size: 400
    .language:       OpenCL C
    .language_version:
      - 2
      - 0
    .max_flat_workgroup_size: 1024
    .name:           _ZN4vllm25paged_attention_v2_kernelI14__hip_bfloat16S1_Li256ELi32ELi128ELNS_18Fp8KVCacheDataTypeE0ELb1ELi512EEEvPfS3_PT_PKS4_PKT0_SA_ifPKiSC_iPKfiiiSE_SE_iiiii
    .private_segment_fixed_size: 1072
    .sgpr_count:     42
    .sgpr_spill_count: 0
    .symbol:         _ZN4vllm25paged_attention_v2_kernelI14__hip_bfloat16S1_Li256ELi32ELi128ELNS_18Fp8KVCacheDataTypeE0ELb1ELi512EEEvPfS3_PT_PKS4_PKT0_SA_ifPKiSC_iPKfiiiSE_SE_iiiii.kd
    .uniform_work_group_size: 1
    .uses_dynamic_stack: false
    .vgpr_count:     192
    .vgpr_spill_count: 0
    .wavefront_size: 32
    .workgroup_processor_mode: 1
  - .args:
      - .actual_access:  write_only
        .address_space:  global
        .offset:         0
        .size:           8
        .value_kind:     global_buffer
      - .actual_access:  write_only
        .address_space:  global
        .offset:         8
        .size:           8
        .value_kind:     global_buffer
      - .actual_access:  write_only
        .address_space:  global
        .offset:         16
        .size:           8
        .value_kind:     global_buffer
      - .actual_access:  read_only
        .address_space:  global
        .offset:         24
        .size:           8
        .value_kind:     global_buffer
      - .actual_access:  read_only
        .address_space:  global
        .offset:         32
        .size:           8
        .value_kind:     global_buffer
      - .actual_access:  read_only
        .address_space:  global
        .offset:         40
        .size:           8
        .value_kind:     global_buffer
      - .offset:         48
        .size:           4
        .value_kind:     by_value
      - .offset:         52
        .size:           4
        .value_kind:     by_value
      - .actual_access:  read_only
        .address_space:  global
        .offset:         56
        .size:           8
        .value_kind:     global_buffer
      - .actual_access:  read_only
        .address_space:  global
        .offset:         64
        .size:           8
        .value_kind:     global_buffer
      - .offset:         72
        .size:           4
        .value_kind:     by_value
      - .actual_access:  read_only
        .address_space:  global
        .offset:         80
        .size:           8
        .value_kind:     global_buffer
      - .offset:         88
        .size:           4
        .value_kind:     by_value
      - .offset:         92
        .size:           4
        .value_kind:     by_value
      - .offset:         96
        .size:           4
        .value_kind:     by_value
      - .address_space:  global
        .offset:         104
        .size:           8
        .value_kind:     global_buffer
      - .address_space:  global
        .offset:         112
        .size:           8
        .value_kind:     global_buffer
      - .offset:         120
        .size:           4
        .value_kind:     by_value
      - .offset:         124
        .size:           4
        .value_kind:     by_value
      - .offset:         128
        .size:           4
        .value_kind:     by_value
      - .offset:         132
        .size:           4
        .value_kind:     by_value
      - .offset:         136
        .size:           4
        .value_kind:     by_value
      - .offset:         144
        .size:           4
        .value_kind:     hidden_block_count_x
      - .offset:         148
        .size:           4
        .value_kind:     hidden_block_count_y
      - .offset:         152
        .size:           4
        .value_kind:     hidden_block_count_z
      - .offset:         156
        .size:           2
        .value_kind:     hidden_group_size_x
      - .offset:         158
        .size:           2
        .value_kind:     hidden_group_size_y
      - .offset:         160
        .size:           2
        .value_kind:     hidden_group_size_z
      - .offset:         162
        .size:           2
        .value_kind:     hidden_remainder_x
      - .offset:         164
        .size:           2
        .value_kind:     hidden_remainder_y
      - .offset:         166
        .size:           2
        .value_kind:     hidden_remainder_z
      - .offset:         184
        .size:           8
        .value_kind:     hidden_global_offset_x
      - .offset:         192
        .size:           8
        .value_kind:     hidden_global_offset_y
      - .offset:         200
        .size:           8
        .value_kind:     hidden_global_offset_z
      - .offset:         208
        .size:           2
        .value_kind:     hidden_grid_dims
      - .offset:         264
        .size:           4
        .value_kind:     hidden_dynamic_lds_size
    .group_segment_fixed_size: 96
    .kernarg_segment_align: 8
    .kernarg_segment_size: 400
    .language:       OpenCL C
    .language_version:
      - 2
      - 0
    .max_flat_workgroup_size: 1024
    .name:           _ZN4vllm25paged_attention_v2_kernelI14__hip_bfloat16S1_Li32ELi32ELi128ELNS_18Fp8KVCacheDataTypeE0ELb0ELi512EEEvPfS3_PT_PKS4_PKT0_SA_ifPKiSC_iPKfiiiSE_SE_iiiii
    .private_segment_fixed_size: 0
    .sgpr_count:     40
    .sgpr_spill_count: 0
    .symbol:         _ZN4vllm25paged_attention_v2_kernelI14__hip_bfloat16S1_Li32ELi32ELi128ELNS_18Fp8KVCacheDataTypeE0ELb0ELi512EEEvPfS3_PT_PKS4_PKT0_SA_ifPKiSC_iPKfiiiSE_SE_iiiii.kd
    .uniform_work_group_size: 1
    .uses_dynamic_stack: false
    .vgpr_count:     81
    .vgpr_spill_count: 0
    .wavefront_size: 32
    .workgroup_processor_mode: 1
  - .args:
      - .actual_access:  write_only
        .address_space:  global
        .offset:         0
        .size:           8
        .value_kind:     global_buffer
      - .actual_access:  write_only
        .address_space:  global
        .offset:         8
        .size:           8
        .value_kind:     global_buffer
      - .actual_access:  write_only
        .address_space:  global
        .offset:         16
        .size:           8
        .value_kind:     global_buffer
      - .actual_access:  read_only
        .address_space:  global
        .offset:         24
        .size:           8
        .value_kind:     global_buffer
      - .actual_access:  read_only
        .address_space:  global
        .offset:         32
        .size:           8
        .value_kind:     global_buffer
      - .actual_access:  read_only
        .address_space:  global
        .offset:         40
        .size:           8
        .value_kind:     global_buffer
      - .offset:         48
        .size:           4
        .value_kind:     by_value
      - .offset:         52
        .size:           4
        .value_kind:     by_value
      - .actual_access:  read_only
        .address_space:  global
        .offset:         56
        .size:           8
        .value_kind:     global_buffer
      - .actual_access:  read_only
        .address_space:  global
        .offset:         64
        .size:           8
        .value_kind:     global_buffer
      - .offset:         72
        .size:           4
        .value_kind:     by_value
      - .actual_access:  read_only
        .address_space:  global
        .offset:         80
        .size:           8
        .value_kind:     global_buffer
      - .offset:         88
        .size:           4
        .value_kind:     by_value
      - .offset:         92
        .size:           4
        .value_kind:     by_value
      - .offset:         96
        .size:           4
        .value_kind:     by_value
      - .address_space:  global
        .offset:         104
        .size:           8
        .value_kind:     global_buffer
      - .address_space:  global
        .offset:         112
        .size:           8
        .value_kind:     global_buffer
      - .offset:         120
        .size:           4
        .value_kind:     by_value
      - .offset:         124
        .size:           4
        .value_kind:     by_value
      - .offset:         128
        .size:           4
        .value_kind:     by_value
      - .offset:         132
        .size:           4
        .value_kind:     by_value
      - .offset:         136
        .size:           4
        .value_kind:     by_value
      - .offset:         144
        .size:           4
        .value_kind:     hidden_block_count_x
      - .offset:         148
        .size:           4
        .value_kind:     hidden_block_count_y
      - .offset:         152
        .size:           4
        .value_kind:     hidden_block_count_z
      - .offset:         156
        .size:           2
        .value_kind:     hidden_group_size_x
      - .offset:         158
        .size:           2
        .value_kind:     hidden_group_size_y
      - .offset:         160
        .size:           2
        .value_kind:     hidden_group_size_z
      - .offset:         162
        .size:           2
        .value_kind:     hidden_remainder_x
      - .offset:         164
        .size:           2
        .value_kind:     hidden_remainder_y
      - .offset:         166
        .size:           2
        .value_kind:     hidden_remainder_z
      - .offset:         184
        .size:           8
        .value_kind:     hidden_global_offset_x
      - .offset:         192
        .size:           8
        .value_kind:     hidden_global_offset_y
      - .offset:         200
        .size:           8
        .value_kind:     hidden_global_offset_z
      - .offset:         208
        .size:           2
        .value_kind:     hidden_grid_dims
      - .offset:         264
        .size:           4
        .value_kind:     hidden_dynamic_lds_size
    .group_segment_fixed_size: 160
    .kernarg_segment_align: 8
    .kernarg_segment_size: 400
    .language:       OpenCL C
    .language_version:
      - 2
      - 0
    .max_flat_workgroup_size: 1024
    .name:           _ZN4vllm25paged_attention_v2_kernelI14__hip_bfloat16S1_Li64ELi32ELi128ELNS_18Fp8KVCacheDataTypeE0ELb0ELi512EEEvPfS3_PT_PKS4_PKT0_SA_ifPKiSC_iPKfiiiSE_SE_iiiii
    .private_segment_fixed_size: 0
    .sgpr_count:     40
    .sgpr_spill_count: 0
    .symbol:         _ZN4vllm25paged_attention_v2_kernelI14__hip_bfloat16S1_Li64ELi32ELi128ELNS_18Fp8KVCacheDataTypeE0ELb0ELi512EEEvPfS3_PT_PKS4_PKT0_SA_ifPKiSC_iPKfiiiSE_SE_iiiii.kd
    .uniform_work_group_size: 1
    .uses_dynamic_stack: false
    .vgpr_count:     145
    .vgpr_spill_count: 0
    .wavefront_size: 32
    .workgroup_processor_mode: 1
  - .args:
      - .actual_access:  write_only
        .address_space:  global
        .offset:         0
        .size:           8
        .value_kind:     global_buffer
      - .actual_access:  write_only
        .address_space:  global
        .offset:         8
        .size:           8
        .value_kind:     global_buffer
      - .actual_access:  write_only
        .address_space:  global
        .offset:         16
        .size:           8
        .value_kind:     global_buffer
      - .actual_access:  read_only
        .address_space:  global
        .offset:         24
        .size:           8
        .value_kind:     global_buffer
      - .actual_access:  read_only
        .address_space:  global
        .offset:         32
        .size:           8
        .value_kind:     global_buffer
      - .actual_access:  read_only
        .address_space:  global
        .offset:         40
        .size:           8
        .value_kind:     global_buffer
      - .offset:         48
        .size:           4
        .value_kind:     by_value
      - .offset:         52
        .size:           4
        .value_kind:     by_value
      - .actual_access:  read_only
        .address_space:  global
        .offset:         56
        .size:           8
        .value_kind:     global_buffer
      - .actual_access:  read_only
        .address_space:  global
        .offset:         64
        .size:           8
        .value_kind:     global_buffer
      - .offset:         72
        .size:           4
        .value_kind:     by_value
      - .actual_access:  read_only
        .address_space:  global
        .offset:         80
        .size:           8
        .value_kind:     global_buffer
      - .offset:         88
        .size:           4
        .value_kind:     by_value
      - .offset:         92
        .size:           4
        .value_kind:     by_value
      - .offset:         96
        .size:           4
        .value_kind:     by_value
      - .address_space:  global
        .offset:         104
        .size:           8
        .value_kind:     global_buffer
      - .address_space:  global
        .offset:         112
        .size:           8
        .value_kind:     global_buffer
      - .offset:         120
        .size:           4
        .value_kind:     by_value
      - .offset:         124
        .size:           4
        .value_kind:     by_value
      - .offset:         128
        .size:           4
        .value_kind:     by_value
      - .offset:         132
        .size:           4
        .value_kind:     by_value
      - .offset:         136
        .size:           4
        .value_kind:     by_value
      - .offset:         144
        .size:           4
        .value_kind:     hidden_block_count_x
      - .offset:         148
        .size:           4
        .value_kind:     hidden_block_count_y
      - .offset:         152
        .size:           4
        .value_kind:     hidden_block_count_z
      - .offset:         156
        .size:           2
        .value_kind:     hidden_group_size_x
      - .offset:         158
        .size:           2
        .value_kind:     hidden_group_size_y
      - .offset:         160
        .size:           2
        .value_kind:     hidden_group_size_z
      - .offset:         162
        .size:           2
        .value_kind:     hidden_remainder_x
      - .offset:         164
        .size:           2
        .value_kind:     hidden_remainder_y
      - .offset:         166
        .size:           2
        .value_kind:     hidden_remainder_z
      - .offset:         184
        .size:           8
        .value_kind:     hidden_global_offset_x
      - .offset:         192
        .size:           8
        .value_kind:     hidden_global_offset_y
      - .offset:         200
        .size:           8
        .value_kind:     hidden_global_offset_z
      - .offset:         208
        .size:           2
        .value_kind:     hidden_grid_dims
      - .offset:         264
        .size:           4
        .value_kind:     hidden_dynamic_lds_size
    .group_segment_fixed_size: 192
    .kernarg_segment_align: 8
    .kernarg_segment_size: 400
    .language:       OpenCL C
    .language_version:
      - 2
      - 0
    .max_flat_workgroup_size: 1024
    .name:           _ZN4vllm25paged_attention_v2_kernelI14__hip_bfloat16S1_Li80ELi32ELi128ELNS_18Fp8KVCacheDataTypeE0ELb0ELi512EEEvPfS3_PT_PKS4_PKT0_SA_ifPKiSC_iPKfiiiSE_SE_iiiii
    .private_segment_fixed_size: 0
    .sgpr_count:     40
    .sgpr_spill_count: 0
    .symbol:         _ZN4vllm25paged_attention_v2_kernelI14__hip_bfloat16S1_Li80ELi32ELi128ELNS_18Fp8KVCacheDataTypeE0ELb0ELi512EEEvPfS3_PT_PKS4_PKT0_SA_ifPKiSC_iPKfiiiSE_SE_iiiii.kd
    .uniform_work_group_size: 1
    .uses_dynamic_stack: false
    .vgpr_count:     176
    .vgpr_spill_count: 0
    .wavefront_size: 32
    .workgroup_processor_mode: 1
  - .args:
      - .actual_access:  write_only
        .address_space:  global
        .offset:         0
        .size:           8
        .value_kind:     global_buffer
      - .actual_access:  write_only
        .address_space:  global
        .offset:         8
        .size:           8
        .value_kind:     global_buffer
      - .actual_access:  write_only
        .address_space:  global
        .offset:         16
        .size:           8
        .value_kind:     global_buffer
      - .actual_access:  read_only
        .address_space:  global
        .offset:         24
        .size:           8
        .value_kind:     global_buffer
      - .actual_access:  read_only
        .address_space:  global
        .offset:         32
        .size:           8
        .value_kind:     global_buffer
      - .actual_access:  read_only
        .address_space:  global
        .offset:         40
        .size:           8
        .value_kind:     global_buffer
      - .offset:         48
        .size:           4
        .value_kind:     by_value
      - .offset:         52
        .size:           4
        .value_kind:     by_value
      - .actual_access:  read_only
        .address_space:  global
        .offset:         56
        .size:           8
        .value_kind:     global_buffer
      - .actual_access:  read_only
        .address_space:  global
        .offset:         64
        .size:           8
        .value_kind:     global_buffer
      - .offset:         72
        .size:           4
        .value_kind:     by_value
      - .actual_access:  read_only
        .address_space:  global
        .offset:         80
        .size:           8
        .value_kind:     global_buffer
      - .offset:         88
        .size:           4
        .value_kind:     by_value
      - .offset:         92
        .size:           4
        .value_kind:     by_value
      - .offset:         96
        .size:           4
        .value_kind:     by_value
      - .address_space:  global
        .offset:         104
        .size:           8
        .value_kind:     global_buffer
      - .address_space:  global
        .offset:         112
        .size:           8
        .value_kind:     global_buffer
      - .offset:         120
        .size:           4
        .value_kind:     by_value
      - .offset:         124
        .size:           4
        .value_kind:     by_value
      - .offset:         128
        .size:           4
        .value_kind:     by_value
      - .offset:         132
        .size:           4
        .value_kind:     by_value
      - .offset:         136
        .size:           4
        .value_kind:     by_value
      - .offset:         144
        .size:           4
        .value_kind:     hidden_block_count_x
      - .offset:         148
        .size:           4
        .value_kind:     hidden_block_count_y
      - .offset:         152
        .size:           4
        .value_kind:     hidden_block_count_z
      - .offset:         156
        .size:           2
        .value_kind:     hidden_group_size_x
      - .offset:         158
        .size:           2
        .value_kind:     hidden_group_size_y
      - .offset:         160
        .size:           2
        .value_kind:     hidden_group_size_z
      - .offset:         162
        .size:           2
        .value_kind:     hidden_remainder_x
      - .offset:         164
        .size:           2
        .value_kind:     hidden_remainder_y
      - .offset:         166
        .size:           2
        .value_kind:     hidden_remainder_z
      - .offset:         184
        .size:           8
        .value_kind:     hidden_global_offset_x
      - .offset:         192
        .size:           8
        .value_kind:     hidden_global_offset_y
      - .offset:         200
        .size:           8
        .value_kind:     hidden_global_offset_z
      - .offset:         208
        .size:           2
        .value_kind:     hidden_grid_dims
      - .offset:         264
        .size:           4
        .value_kind:     hidden_dynamic_lds_size
    .group_segment_fixed_size: 224
    .kernarg_segment_align: 8
    .kernarg_segment_size: 400
    .language:       OpenCL C
    .language_version:
      - 2
      - 0
    .max_flat_workgroup_size: 1024
    .name:           _ZN4vllm25paged_attention_v2_kernelI14__hip_bfloat16S1_Li96ELi32ELi128ELNS_18Fp8KVCacheDataTypeE0ELb0ELi512EEEvPfS3_PT_PKS4_PKT0_SA_ifPKiSC_iPKfiiiSE_SE_iiiii
    .private_segment_fixed_size: 0
    .sgpr_count:     40
    .sgpr_spill_count: 0
    .symbol:         _ZN4vllm25paged_attention_v2_kernelI14__hip_bfloat16S1_Li96ELi32ELi128ELNS_18Fp8KVCacheDataTypeE0ELb0ELi512EEEvPfS3_PT_PKS4_PKT0_SA_ifPKiSC_iPKfiiiSE_SE_iiiii.kd
    .uniform_work_group_size: 1
    .uses_dynamic_stack: false
    .vgpr_count:     171
    .vgpr_spill_count: 0
    .wavefront_size: 32
    .workgroup_processor_mode: 1
  - .args:
      - .actual_access:  write_only
        .address_space:  global
        .offset:         0
        .size:           8
        .value_kind:     global_buffer
      - .actual_access:  write_only
        .address_space:  global
        .offset:         8
        .size:           8
        .value_kind:     global_buffer
      - .actual_access:  write_only
        .address_space:  global
        .offset:         16
        .size:           8
        .value_kind:     global_buffer
      - .actual_access:  read_only
        .address_space:  global
        .offset:         24
        .size:           8
        .value_kind:     global_buffer
      - .actual_access:  read_only
        .address_space:  global
        .offset:         32
        .size:           8
        .value_kind:     global_buffer
      - .actual_access:  read_only
        .address_space:  global
        .offset:         40
        .size:           8
        .value_kind:     global_buffer
      - .offset:         48
        .size:           4
        .value_kind:     by_value
      - .offset:         52
        .size:           4
        .value_kind:     by_value
      - .actual_access:  read_only
        .address_space:  global
        .offset:         56
        .size:           8
        .value_kind:     global_buffer
      - .actual_access:  read_only
        .address_space:  global
        .offset:         64
        .size:           8
        .value_kind:     global_buffer
      - .offset:         72
        .size:           4
        .value_kind:     by_value
      - .address_space:  global
        .offset:         80
        .size:           8
        .value_kind:     global_buffer
      - .offset:         88
        .size:           4
        .value_kind:     by_value
      - .offset:         92
        .size:           4
        .value_kind:     by_value
      - .offset:         96
        .size:           4
        .value_kind:     by_value
      - .address_space:  global
        .offset:         104
        .size:           8
        .value_kind:     global_buffer
      - .address_space:  global
        .offset:         112
        .size:           8
        .value_kind:     global_buffer
      - .offset:         120
        .size:           4
        .value_kind:     by_value
      - .offset:         124
        .size:           4
        .value_kind:     by_value
      - .offset:         128
        .size:           4
        .value_kind:     by_value
      - .offset:         132
        .size:           4
        .value_kind:     by_value
      - .offset:         136
        .size:           4
        .value_kind:     by_value
      - .offset:         144
        .size:           4
        .value_kind:     hidden_block_count_x
      - .offset:         148
        .size:           4
        .value_kind:     hidden_block_count_y
      - .offset:         152
        .size:           4
        .value_kind:     hidden_block_count_z
      - .offset:         156
        .size:           2
        .value_kind:     hidden_group_size_x
      - .offset:         158
        .size:           2
        .value_kind:     hidden_group_size_y
      - .offset:         160
        .size:           2
        .value_kind:     hidden_group_size_z
      - .offset:         162
        .size:           2
        .value_kind:     hidden_remainder_x
      - .offset:         164
        .size:           2
        .value_kind:     hidden_remainder_y
      - .offset:         166
        .size:           2
        .value_kind:     hidden_remainder_z
      - .offset:         184
        .size:           8
        .value_kind:     hidden_global_offset_x
      - .offset:         192
        .size:           8
        .value_kind:     hidden_global_offset_y
      - .offset:         200
        .size:           8
        .value_kind:     hidden_global_offset_z
      - .offset:         208
        .size:           2
        .value_kind:     hidden_grid_dims
      - .offset:         264
        .size:           4
        .value_kind:     hidden_dynamic_lds_size
    .group_segment_fixed_size: 256
    .kernarg_segment_align: 8
    .kernarg_segment_size: 400
    .language:       OpenCL C
    .language_version:
      - 2
      - 0
    .max_flat_workgroup_size: 1024
    .name:           _ZN4vllm25paged_attention_v2_kernelI14__hip_bfloat16S1_Li112ELi32ELi128ELNS_18Fp8KVCacheDataTypeE0ELb0ELi512EEEvPfS3_PT_PKS4_PKT0_SA_ifPKiSC_iPKfiiiSE_SE_iiiii
    .private_segment_fixed_size: 420
    .sgpr_count:     35
    .sgpr_spill_count: 0
    .symbol:         _ZN4vllm25paged_attention_v2_kernelI14__hip_bfloat16S1_Li112ELi32ELi128ELNS_18Fp8KVCacheDataTypeE0ELb0ELi512EEEvPfS3_PT_PKS4_PKT0_SA_ifPKiSC_iPKfiiiSE_SE_iiiii.kd
    .uniform_work_group_size: 1
    .uses_dynamic_stack: false
    .vgpr_count:     192
    .vgpr_spill_count: 0
    .wavefront_size: 32
    .workgroup_processor_mode: 1
  - .args:
      - .actual_access:  write_only
        .address_space:  global
        .offset:         0
        .size:           8
        .value_kind:     global_buffer
      - .actual_access:  write_only
        .address_space:  global
        .offset:         8
        .size:           8
        .value_kind:     global_buffer
      - .actual_access:  write_only
        .address_space:  global
        .offset:         16
        .size:           8
        .value_kind:     global_buffer
      - .actual_access:  read_only
        .address_space:  global
        .offset:         24
        .size:           8
        .value_kind:     global_buffer
      - .actual_access:  read_only
        .address_space:  global
        .offset:         32
        .size:           8
        .value_kind:     global_buffer
      - .actual_access:  read_only
        .address_space:  global
        .offset:         40
        .size:           8
        .value_kind:     global_buffer
      - .offset:         48
        .size:           4
        .value_kind:     by_value
      - .offset:         52
        .size:           4
        .value_kind:     by_value
      - .actual_access:  read_only
        .address_space:  global
        .offset:         56
        .size:           8
        .value_kind:     global_buffer
      - .actual_access:  read_only
        .address_space:  global
        .offset:         64
        .size:           8
        .value_kind:     global_buffer
      - .offset:         72
        .size:           4
        .value_kind:     by_value
      - .address_space:  global
        .offset:         80
        .size:           8
        .value_kind:     global_buffer
      - .offset:         88
        .size:           4
        .value_kind:     by_value
      - .offset:         92
        .size:           4
        .value_kind:     by_value
      - .offset:         96
        .size:           4
        .value_kind:     by_value
      - .address_space:  global
        .offset:         104
        .size:           8
        .value_kind:     global_buffer
      - .address_space:  global
        .offset:         112
        .size:           8
        .value_kind:     global_buffer
      - .offset:         120
        .size:           4
        .value_kind:     by_value
      - .offset:         124
        .size:           4
        .value_kind:     by_value
      - .offset:         128
        .size:           4
        .value_kind:     by_value
      - .offset:         132
        .size:           4
        .value_kind:     by_value
      - .offset:         136
        .size:           4
        .value_kind:     by_value
      - .offset:         144
        .size:           4
        .value_kind:     hidden_block_count_x
      - .offset:         148
        .size:           4
        .value_kind:     hidden_block_count_y
      - .offset:         152
        .size:           4
        .value_kind:     hidden_block_count_z
      - .offset:         156
        .size:           2
        .value_kind:     hidden_group_size_x
      - .offset:         158
        .size:           2
        .value_kind:     hidden_group_size_y
      - .offset:         160
        .size:           2
        .value_kind:     hidden_group_size_z
      - .offset:         162
        .size:           2
        .value_kind:     hidden_remainder_x
      - .offset:         164
        .size:           2
        .value_kind:     hidden_remainder_y
      - .offset:         166
        .size:           2
        .value_kind:     hidden_remainder_z
      - .offset:         184
        .size:           8
        .value_kind:     hidden_global_offset_x
      - .offset:         192
        .size:           8
        .value_kind:     hidden_global_offset_y
      - .offset:         200
        .size:           8
        .value_kind:     hidden_global_offset_z
      - .offset:         208
        .size:           2
        .value_kind:     hidden_grid_dims
      - .offset:         264
        .size:           4
        .value_kind:     hidden_dynamic_lds_size
    .group_segment_fixed_size: 272
    .kernarg_segment_align: 8
    .kernarg_segment_size: 400
    .language:       OpenCL C
    .language_version:
      - 2
      - 0
    .max_flat_workgroup_size: 1024
    .name:           _ZN4vllm25paged_attention_v2_kernelI14__hip_bfloat16S1_Li120ELi32ELi128ELNS_18Fp8KVCacheDataTypeE0ELb0ELi512EEEvPfS3_PT_PKS4_PKT0_SA_ifPKiSC_iPKfiiiSE_SE_iiiii
    .private_segment_fixed_size: 456
    .sgpr_count:     35
    .sgpr_spill_count: 0
    .symbol:         _ZN4vllm25paged_attention_v2_kernelI14__hip_bfloat16S1_Li120ELi32ELi128ELNS_18Fp8KVCacheDataTypeE0ELb0ELi512EEEvPfS3_PT_PKS4_PKT0_SA_ifPKiSC_iPKfiiiSE_SE_iiiii.kd
    .uniform_work_group_size: 1
    .uses_dynamic_stack: false
    .vgpr_count:     192
    .vgpr_spill_count: 0
    .wavefront_size: 32
    .workgroup_processor_mode: 1
  - .args:
      - .actual_access:  write_only
        .address_space:  global
        .offset:         0
        .size:           8
        .value_kind:     global_buffer
      - .actual_access:  write_only
        .address_space:  global
        .offset:         8
        .size:           8
        .value_kind:     global_buffer
      - .actual_access:  write_only
        .address_space:  global
        .offset:         16
        .size:           8
        .value_kind:     global_buffer
      - .actual_access:  read_only
        .address_space:  global
        .offset:         24
        .size:           8
        .value_kind:     global_buffer
      - .actual_access:  read_only
        .address_space:  global
        .offset:         32
        .size:           8
        .value_kind:     global_buffer
      - .actual_access:  read_only
        .address_space:  global
        .offset:         40
        .size:           8
        .value_kind:     global_buffer
      - .offset:         48
        .size:           4
        .value_kind:     by_value
      - .offset:         52
        .size:           4
        .value_kind:     by_value
      - .actual_access:  read_only
        .address_space:  global
        .offset:         56
        .size:           8
        .value_kind:     global_buffer
      - .actual_access:  read_only
        .address_space:  global
        .offset:         64
        .size:           8
        .value_kind:     global_buffer
      - .offset:         72
        .size:           4
        .value_kind:     by_value
      - .address_space:  global
        .offset:         80
        .size:           8
        .value_kind:     global_buffer
      - .offset:         88
        .size:           4
        .value_kind:     by_value
      - .offset:         92
        .size:           4
        .value_kind:     by_value
      - .offset:         96
        .size:           4
        .value_kind:     by_value
      - .address_space:  global
        .offset:         104
        .size:           8
        .value_kind:     global_buffer
      - .address_space:  global
        .offset:         112
        .size:           8
        .value_kind:     global_buffer
      - .offset:         120
        .size:           4
        .value_kind:     by_value
      - .offset:         124
        .size:           4
        .value_kind:     by_value
      - .offset:         128
        .size:           4
        .value_kind:     by_value
      - .offset:         132
        .size:           4
        .value_kind:     by_value
      - .offset:         136
        .size:           4
        .value_kind:     by_value
      - .offset:         144
        .size:           4
        .value_kind:     hidden_block_count_x
      - .offset:         148
        .size:           4
        .value_kind:     hidden_block_count_y
      - .offset:         152
        .size:           4
        .value_kind:     hidden_block_count_z
      - .offset:         156
        .size:           2
        .value_kind:     hidden_group_size_x
      - .offset:         158
        .size:           2
        .value_kind:     hidden_group_size_y
      - .offset:         160
        .size:           2
        .value_kind:     hidden_group_size_z
      - .offset:         162
        .size:           2
        .value_kind:     hidden_remainder_x
      - .offset:         164
        .size:           2
        .value_kind:     hidden_remainder_y
      - .offset:         166
        .size:           2
        .value_kind:     hidden_remainder_z
      - .offset:         184
        .size:           8
        .value_kind:     hidden_global_offset_x
      - .offset:         192
        .size:           8
        .value_kind:     hidden_global_offset_y
      - .offset:         200
        .size:           8
        .value_kind:     hidden_global_offset_z
      - .offset:         208
        .size:           2
        .value_kind:     hidden_grid_dims
      - .offset:         264
        .size:           4
        .value_kind:     hidden_dynamic_lds_size
    .group_segment_fixed_size: 288
    .kernarg_segment_align: 8
    .kernarg_segment_size: 400
    .language:       OpenCL C
    .language_version:
      - 2
      - 0
    .max_flat_workgroup_size: 1024
    .name:           _ZN4vllm25paged_attention_v2_kernelI14__hip_bfloat16S1_Li128ELi32ELi128ELNS_18Fp8KVCacheDataTypeE0ELb0ELi512EEEvPfS3_PT_PKS4_PKT0_SA_ifPKiSC_iPKfiiiSE_SE_iiiii
    .private_segment_fixed_size: 484
    .sgpr_count:     35
    .sgpr_spill_count: 0
    .symbol:         _ZN4vllm25paged_attention_v2_kernelI14__hip_bfloat16S1_Li128ELi32ELi128ELNS_18Fp8KVCacheDataTypeE0ELb0ELi512EEEvPfS3_PT_PKS4_PKT0_SA_ifPKiSC_iPKfiiiSE_SE_iiiii.kd
    .uniform_work_group_size: 1
    .uses_dynamic_stack: false
    .vgpr_count:     192
    .vgpr_spill_count: 0
    .wavefront_size: 32
    .workgroup_processor_mode: 1
  - .args:
      - .actual_access:  write_only
        .address_space:  global
        .offset:         0
        .size:           8
        .value_kind:     global_buffer
      - .actual_access:  write_only
        .address_space:  global
        .offset:         8
        .size:           8
        .value_kind:     global_buffer
      - .actual_access:  write_only
        .address_space:  global
        .offset:         16
        .size:           8
        .value_kind:     global_buffer
      - .actual_access:  read_only
        .address_space:  global
        .offset:         24
        .size:           8
        .value_kind:     global_buffer
      - .actual_access:  read_only
        .address_space:  global
        .offset:         32
        .size:           8
        .value_kind:     global_buffer
      - .actual_access:  read_only
        .address_space:  global
        .offset:         40
        .size:           8
        .value_kind:     global_buffer
      - .offset:         48
        .size:           4
        .value_kind:     by_value
      - .offset:         52
        .size:           4
        .value_kind:     by_value
      - .actual_access:  read_only
        .address_space:  global
        .offset:         56
        .size:           8
        .value_kind:     global_buffer
      - .actual_access:  read_only
        .address_space:  global
        .offset:         64
        .size:           8
        .value_kind:     global_buffer
      - .offset:         72
        .size:           4
        .value_kind:     by_value
      - .address_space:  global
        .offset:         80
        .size:           8
        .value_kind:     global_buffer
      - .offset:         88
        .size:           4
        .value_kind:     by_value
      - .offset:         92
        .size:           4
        .value_kind:     by_value
      - .offset:         96
        .size:           4
        .value_kind:     by_value
      - .address_space:  global
        .offset:         104
        .size:           8
        .value_kind:     global_buffer
      - .address_space:  global
        .offset:         112
        .size:           8
        .value_kind:     global_buffer
      - .offset:         120
        .size:           4
        .value_kind:     by_value
      - .offset:         124
        .size:           4
        .value_kind:     by_value
      - .offset:         128
        .size:           4
        .value_kind:     by_value
      - .offset:         132
        .size:           4
        .value_kind:     by_value
      - .offset:         136
        .size:           4
        .value_kind:     by_value
      - .offset:         144
        .size:           4
        .value_kind:     hidden_block_count_x
      - .offset:         148
        .size:           4
        .value_kind:     hidden_block_count_y
      - .offset:         152
        .size:           4
        .value_kind:     hidden_block_count_z
      - .offset:         156
        .size:           2
        .value_kind:     hidden_group_size_x
      - .offset:         158
        .size:           2
        .value_kind:     hidden_group_size_y
      - .offset:         160
        .size:           2
        .value_kind:     hidden_group_size_z
      - .offset:         162
        .size:           2
        .value_kind:     hidden_remainder_x
      - .offset:         164
        .size:           2
        .value_kind:     hidden_remainder_y
      - .offset:         166
        .size:           2
        .value_kind:     hidden_remainder_z
      - .offset:         184
        .size:           8
        .value_kind:     hidden_global_offset_x
      - .offset:         192
        .size:           8
        .value_kind:     hidden_global_offset_y
      - .offset:         200
        .size:           8
        .value_kind:     hidden_global_offset_z
      - .offset:         208
        .size:           2
        .value_kind:     hidden_grid_dims
      - .offset:         264
        .size:           4
        .value_kind:     hidden_dynamic_lds_size
    .group_segment_fixed_size: 416
    .kernarg_segment_align: 8
    .kernarg_segment_size: 400
    .language:       OpenCL C
    .language_version:
      - 2
      - 0
    .max_flat_workgroup_size: 1024
    .name:           _ZN4vllm25paged_attention_v2_kernelI14__hip_bfloat16S1_Li192ELi32ELi128ELNS_18Fp8KVCacheDataTypeE0ELb0ELi512EEEvPfS3_PT_PKS4_PKT0_SA_ifPKiSC_iPKfiiiSE_SE_iiiii
    .private_segment_fixed_size: 760
    .sgpr_count:     35
    .sgpr_spill_count: 0
    .symbol:         _ZN4vllm25paged_attention_v2_kernelI14__hip_bfloat16S1_Li192ELi32ELi128ELNS_18Fp8KVCacheDataTypeE0ELb0ELi512EEEvPfS3_PT_PKS4_PKT0_SA_ifPKiSC_iPKfiiiSE_SE_iiiii.kd
    .uniform_work_group_size: 1
    .uses_dynamic_stack: false
    .vgpr_count:     192
    .vgpr_spill_count: 0
    .wavefront_size: 32
    .workgroup_processor_mode: 1
  - .args:
      - .actual_access:  write_only
        .address_space:  global
        .offset:         0
        .size:           8
        .value_kind:     global_buffer
      - .actual_access:  write_only
        .address_space:  global
        .offset:         8
        .size:           8
        .value_kind:     global_buffer
      - .actual_access:  write_only
        .address_space:  global
        .offset:         16
        .size:           8
        .value_kind:     global_buffer
      - .actual_access:  read_only
        .address_space:  global
        .offset:         24
        .size:           8
        .value_kind:     global_buffer
      - .actual_access:  read_only
        .address_space:  global
        .offset:         32
        .size:           8
        .value_kind:     global_buffer
      - .actual_access:  read_only
        .address_space:  global
        .offset:         40
        .size:           8
        .value_kind:     global_buffer
      - .offset:         48
        .size:           4
        .value_kind:     by_value
      - .offset:         52
        .size:           4
        .value_kind:     by_value
      - .actual_access:  read_only
        .address_space:  global
        .offset:         56
        .size:           8
        .value_kind:     global_buffer
      - .actual_access:  read_only
        .address_space:  global
        .offset:         64
        .size:           8
        .value_kind:     global_buffer
      - .offset:         72
        .size:           4
        .value_kind:     by_value
      - .address_space:  global
        .offset:         80
        .size:           8
        .value_kind:     global_buffer
      - .offset:         88
        .size:           4
        .value_kind:     by_value
      - .offset:         92
        .size:           4
        .value_kind:     by_value
      - .offset:         96
        .size:           4
        .value_kind:     by_value
      - .address_space:  global
        .offset:         104
        .size:           8
        .value_kind:     global_buffer
      - .address_space:  global
        .offset:         112
        .size:           8
        .value_kind:     global_buffer
      - .offset:         120
        .size:           4
        .value_kind:     by_value
      - .offset:         124
        .size:           4
        .value_kind:     by_value
      - .offset:         128
        .size:           4
        .value_kind:     by_value
      - .offset:         132
        .size:           4
        .value_kind:     by_value
      - .offset:         136
        .size:           4
        .value_kind:     by_value
      - .offset:         144
        .size:           4
        .value_kind:     hidden_block_count_x
      - .offset:         148
        .size:           4
        .value_kind:     hidden_block_count_y
      - .offset:         152
        .size:           4
        .value_kind:     hidden_block_count_z
      - .offset:         156
        .size:           2
        .value_kind:     hidden_group_size_x
      - .offset:         158
        .size:           2
        .value_kind:     hidden_group_size_y
      - .offset:         160
        .size:           2
        .value_kind:     hidden_group_size_z
      - .offset:         162
        .size:           2
        .value_kind:     hidden_remainder_x
      - .offset:         164
        .size:           2
        .value_kind:     hidden_remainder_y
      - .offset:         166
        .size:           2
        .value_kind:     hidden_remainder_z
      - .offset:         184
        .size:           8
        .value_kind:     hidden_global_offset_x
      - .offset:         192
        .size:           8
        .value_kind:     hidden_global_offset_y
      - .offset:         200
        .size:           8
        .value_kind:     hidden_global_offset_z
      - .offset:         208
        .size:           2
        .value_kind:     hidden_grid_dims
      - .offset:         264
        .size:           4
        .value_kind:     hidden_dynamic_lds_size
    .group_segment_fixed_size: 544
    .kernarg_segment_align: 8
    .kernarg_segment_size: 400
    .language:       OpenCL C
    .language_version:
      - 2
      - 0
    .max_flat_workgroup_size: 1024
    .name:           _ZN4vllm25paged_attention_v2_kernelI14__hip_bfloat16S1_Li256ELi32ELi128ELNS_18Fp8KVCacheDataTypeE0ELb0ELi512EEEvPfS3_PT_PKS4_PKT0_SA_ifPKiSC_iPKfiiiSE_SE_iiiii
    .private_segment_fixed_size: 1028
    .sgpr_count:     35
    .sgpr_spill_count: 0
    .symbol:         _ZN4vllm25paged_attention_v2_kernelI14__hip_bfloat16S1_Li256ELi32ELi128ELNS_18Fp8KVCacheDataTypeE0ELb0ELi512EEEvPfS3_PT_PKS4_PKT0_SA_ifPKiSC_iPKfiiiSE_SE_iiiii.kd
    .uniform_work_group_size: 1
    .uses_dynamic_stack: false
    .vgpr_count:     192
    .vgpr_spill_count: 0
    .wavefront_size: 32
    .workgroup_processor_mode: 1
  - .args:
      - .actual_access:  write_only
        .address_space:  global
        .offset:         0
        .size:           8
        .value_kind:     global_buffer
      - .actual_access:  write_only
        .address_space:  global
        .offset:         8
        .size:           8
        .value_kind:     global_buffer
      - .actual_access:  write_only
        .address_space:  global
        .offset:         16
        .size:           8
        .value_kind:     global_buffer
      - .actual_access:  read_only
        .address_space:  global
        .offset:         24
        .size:           8
        .value_kind:     global_buffer
      - .actual_access:  read_only
        .address_space:  global
        .offset:         32
        .size:           8
        .value_kind:     global_buffer
      - .actual_access:  read_only
        .address_space:  global
        .offset:         40
        .size:           8
        .value_kind:     global_buffer
      - .offset:         48
        .size:           4
        .value_kind:     by_value
      - .offset:         52
        .size:           4
        .value_kind:     by_value
      - .actual_access:  read_only
        .address_space:  global
        .offset:         56
        .size:           8
        .value_kind:     global_buffer
      - .actual_access:  read_only
        .address_space:  global
        .offset:         64
        .size:           8
        .value_kind:     global_buffer
      - .offset:         72
        .size:           4
        .value_kind:     by_value
      - .actual_access:  read_only
        .address_space:  global
        .offset:         80
        .size:           8
        .value_kind:     global_buffer
      - .offset:         88
        .size:           4
        .value_kind:     by_value
      - .offset:         92
        .size:           4
        .value_kind:     by_value
      - .offset:         96
        .size:           4
        .value_kind:     by_value
      - .address_space:  global
        .offset:         104
        .size:           8
        .value_kind:     global_buffer
      - .address_space:  global
        .offset:         112
        .size:           8
        .value_kind:     global_buffer
      - .offset:         120
        .size:           4
        .value_kind:     by_value
      - .offset:         124
        .size:           4
        .value_kind:     by_value
      - .offset:         128
        .size:           4
        .value_kind:     by_value
      - .offset:         132
        .size:           4
        .value_kind:     by_value
      - .offset:         136
        .size:           4
        .value_kind:     by_value
      - .offset:         144
        .size:           4
        .value_kind:     hidden_block_count_x
      - .offset:         148
        .size:           4
        .value_kind:     hidden_block_count_y
      - .offset:         152
        .size:           4
        .value_kind:     hidden_block_count_z
      - .offset:         156
        .size:           2
        .value_kind:     hidden_group_size_x
      - .offset:         158
        .size:           2
        .value_kind:     hidden_group_size_y
      - .offset:         160
        .size:           2
        .value_kind:     hidden_group_size_z
      - .offset:         162
        .size:           2
        .value_kind:     hidden_remainder_x
      - .offset:         164
        .size:           2
        .value_kind:     hidden_remainder_y
      - .offset:         166
        .size:           2
        .value_kind:     hidden_remainder_z
      - .offset:         184
        .size:           8
        .value_kind:     hidden_global_offset_x
      - .offset:         192
        .size:           8
        .value_kind:     hidden_global_offset_y
      - .offset:         200
        .size:           8
        .value_kind:     hidden_global_offset_z
      - .offset:         208
        .size:           2
        .value_kind:     hidden_grid_dims
      - .offset:         264
        .size:           4
        .value_kind:     hidden_dynamic_lds_size
    .group_segment_fixed_size: 160
    .kernarg_segment_align: 8
    .kernarg_segment_size: 400
    .language:       OpenCL C
    .language_version:
      - 2
      - 0
    .max_flat_workgroup_size: 1024
    .name:           _ZN4vllm25paged_attention_v2_kernelIfhLi32ELi8ELi128ELNS_18Fp8KVCacheDataTypeE1ELb1ELi512EEEvPfS2_PT_PKS3_PKT0_S9_ifPKiSB_iPKfiiiSD_SD_iiiii
    .private_segment_fixed_size: 0
    .sgpr_count:     56
    .sgpr_spill_count: 0
    .symbol:         _ZN4vllm25paged_attention_v2_kernelIfhLi32ELi8ELi128ELNS_18Fp8KVCacheDataTypeE1ELb1ELi512EEEvPfS2_PT_PKS3_PKT0_S9_ifPKiSB_iPKfiiiSD_SD_iiiii.kd
    .uniform_work_group_size: 1
    .uses_dynamic_stack: false
    .vgpr_count:     44
    .vgpr_spill_count: 0
    .wavefront_size: 32
    .workgroup_processor_mode: 1
  - .args:
      - .actual_access:  write_only
        .address_space:  global
        .offset:         0
        .size:           8
        .value_kind:     global_buffer
      - .actual_access:  write_only
        .address_space:  global
        .offset:         8
        .size:           8
        .value_kind:     global_buffer
      - .actual_access:  write_only
        .address_space:  global
        .offset:         16
        .size:           8
        .value_kind:     global_buffer
      - .actual_access:  read_only
        .address_space:  global
        .offset:         24
        .size:           8
        .value_kind:     global_buffer
      - .actual_access:  read_only
        .address_space:  global
        .offset:         32
        .size:           8
        .value_kind:     global_buffer
      - .actual_access:  read_only
        .address_space:  global
        .offset:         40
        .size:           8
        .value_kind:     global_buffer
      - .offset:         48
        .size:           4
        .value_kind:     by_value
      - .offset:         52
        .size:           4
        .value_kind:     by_value
      - .actual_access:  read_only
        .address_space:  global
        .offset:         56
        .size:           8
        .value_kind:     global_buffer
      - .actual_access:  read_only
        .address_space:  global
        .offset:         64
        .size:           8
        .value_kind:     global_buffer
      - .offset:         72
        .size:           4
        .value_kind:     by_value
      - .actual_access:  read_only
        .address_space:  global
        .offset:         80
        .size:           8
        .value_kind:     global_buffer
      - .offset:         88
        .size:           4
        .value_kind:     by_value
      - .offset:         92
        .size:           4
        .value_kind:     by_value
      - .offset:         96
        .size:           4
        .value_kind:     by_value
      - .address_space:  global
        .offset:         104
        .size:           8
        .value_kind:     global_buffer
      - .address_space:  global
        .offset:         112
        .size:           8
        .value_kind:     global_buffer
      - .offset:         120
        .size:           4
        .value_kind:     by_value
      - .offset:         124
        .size:           4
        .value_kind:     by_value
      - .offset:         128
        .size:           4
        .value_kind:     by_value
      - .offset:         132
        .size:           4
        .value_kind:     by_value
      - .offset:         136
        .size:           4
        .value_kind:     by_value
      - .offset:         144
        .size:           4
        .value_kind:     hidden_block_count_x
      - .offset:         148
        .size:           4
        .value_kind:     hidden_block_count_y
      - .offset:         152
        .size:           4
        .value_kind:     hidden_block_count_z
      - .offset:         156
        .size:           2
        .value_kind:     hidden_group_size_x
      - .offset:         158
        .size:           2
        .value_kind:     hidden_group_size_y
      - .offset:         160
        .size:           2
        .value_kind:     hidden_group_size_z
      - .offset:         162
        .size:           2
        .value_kind:     hidden_remainder_x
      - .offset:         164
        .size:           2
        .value_kind:     hidden_remainder_y
      - .offset:         166
        .size:           2
        .value_kind:     hidden_remainder_z
      - .offset:         184
        .size:           8
        .value_kind:     hidden_global_offset_x
      - .offset:         192
        .size:           8
        .value_kind:     hidden_global_offset_y
      - .offset:         200
        .size:           8
        .value_kind:     hidden_global_offset_z
      - .offset:         208
        .size:           2
        .value_kind:     hidden_grid_dims
      - .offset:         264
        .size:           4
        .value_kind:     hidden_dynamic_lds_size
    .group_segment_fixed_size: 288
    .kernarg_segment_align: 8
    .kernarg_segment_size: 400
    .language:       OpenCL C
    .language_version:
      - 2
      - 0
    .max_flat_workgroup_size: 1024
    .name:           _ZN4vllm25paged_attention_v2_kernelIfhLi64ELi8ELi128ELNS_18Fp8KVCacheDataTypeE1ELb1ELi512EEEvPfS2_PT_PKS3_PKT0_S9_ifPKiSB_iPKfiiiSD_SD_iiiii
    .private_segment_fixed_size: 0
    .sgpr_count:     56
    .sgpr_spill_count: 0
    .symbol:         _ZN4vllm25paged_attention_v2_kernelIfhLi64ELi8ELi128ELNS_18Fp8KVCacheDataTypeE1ELb1ELi512EEEvPfS2_PT_PKS3_PKT0_S9_ifPKiSB_iPKfiiiSD_SD_iiiii.kd
    .uniform_work_group_size: 1
    .uses_dynamic_stack: false
    .vgpr_count:     60
    .vgpr_spill_count: 0
    .wavefront_size: 32
    .workgroup_processor_mode: 1
  - .args:
      - .actual_access:  write_only
        .address_space:  global
        .offset:         0
        .size:           8
        .value_kind:     global_buffer
      - .actual_access:  write_only
        .address_space:  global
        .offset:         8
        .size:           8
        .value_kind:     global_buffer
      - .actual_access:  write_only
        .address_space:  global
        .offset:         16
        .size:           8
        .value_kind:     global_buffer
      - .actual_access:  read_only
        .address_space:  global
        .offset:         24
        .size:           8
        .value_kind:     global_buffer
      - .actual_access:  read_only
        .address_space:  global
        .offset:         32
        .size:           8
        .value_kind:     global_buffer
      - .actual_access:  read_only
        .address_space:  global
        .offset:         40
        .size:           8
        .value_kind:     global_buffer
      - .offset:         48
        .size:           4
        .value_kind:     by_value
      - .offset:         52
        .size:           4
        .value_kind:     by_value
      - .actual_access:  read_only
        .address_space:  global
        .offset:         56
        .size:           8
        .value_kind:     global_buffer
      - .actual_access:  read_only
        .address_space:  global
        .offset:         64
        .size:           8
        .value_kind:     global_buffer
      - .offset:         72
        .size:           4
        .value_kind:     by_value
      - .actual_access:  read_only
        .address_space:  global
        .offset:         80
        .size:           8
        .value_kind:     global_buffer
      - .offset:         88
        .size:           4
        .value_kind:     by_value
      - .offset:         92
        .size:           4
        .value_kind:     by_value
      - .offset:         96
        .size:           4
        .value_kind:     by_value
      - .address_space:  global
        .offset:         104
        .size:           8
        .value_kind:     global_buffer
      - .address_space:  global
        .offset:         112
        .size:           8
        .value_kind:     global_buffer
      - .offset:         120
        .size:           4
        .value_kind:     by_value
      - .offset:         124
        .size:           4
        .value_kind:     by_value
      - .offset:         128
        .size:           4
        .value_kind:     by_value
      - .offset:         132
        .size:           4
        .value_kind:     by_value
      - .offset:         136
        .size:           4
        .value_kind:     by_value
      - .offset:         144
        .size:           4
        .value_kind:     hidden_block_count_x
      - .offset:         148
        .size:           4
        .value_kind:     hidden_block_count_y
      - .offset:         152
        .size:           4
        .value_kind:     hidden_block_count_z
      - .offset:         156
        .size:           2
        .value_kind:     hidden_group_size_x
      - .offset:         158
        .size:           2
        .value_kind:     hidden_group_size_y
      - .offset:         160
        .size:           2
        .value_kind:     hidden_group_size_z
      - .offset:         162
        .size:           2
        .value_kind:     hidden_remainder_x
      - .offset:         164
        .size:           2
        .value_kind:     hidden_remainder_y
      - .offset:         166
        .size:           2
        .value_kind:     hidden_remainder_z
      - .offset:         184
        .size:           8
        .value_kind:     hidden_global_offset_x
      - .offset:         192
        .size:           8
        .value_kind:     hidden_global_offset_y
      - .offset:         200
        .size:           8
        .value_kind:     hidden_global_offset_z
      - .offset:         208
        .size:           2
        .value_kind:     hidden_grid_dims
      - .offset:         264
        .size:           4
        .value_kind:     hidden_dynamic_lds_size
    .group_segment_fixed_size: 352
    .kernarg_segment_align: 8
    .kernarg_segment_size: 400
    .language:       OpenCL C
    .language_version:
      - 2
      - 0
    .max_flat_workgroup_size: 1024
    .name:           _ZN4vllm25paged_attention_v2_kernelIfhLi80ELi8ELi128ELNS_18Fp8KVCacheDataTypeE1ELb1ELi512EEEvPfS2_PT_PKS3_PKT0_S9_ifPKiSB_iPKfiiiSD_SD_iiiii
    .private_segment_fixed_size: 0
    .sgpr_count:     55
    .sgpr_spill_count: 0
    .symbol:         _ZN4vllm25paged_attention_v2_kernelIfhLi80ELi8ELi128ELNS_18Fp8KVCacheDataTypeE1ELb1ELi512EEEvPfS2_PT_PKS3_PKT0_S9_ifPKiSB_iPKfiiiSD_SD_iiiii.kd
    .uniform_work_group_size: 1
    .uses_dynamic_stack: false
    .vgpr_count:     68
    .vgpr_spill_count: 0
    .wavefront_size: 32
    .workgroup_processor_mode: 1
  - .args:
      - .actual_access:  write_only
        .address_space:  global
        .offset:         0
        .size:           8
        .value_kind:     global_buffer
      - .actual_access:  write_only
        .address_space:  global
        .offset:         8
        .size:           8
        .value_kind:     global_buffer
      - .actual_access:  write_only
        .address_space:  global
        .offset:         16
        .size:           8
        .value_kind:     global_buffer
      - .actual_access:  read_only
        .address_space:  global
        .offset:         24
        .size:           8
        .value_kind:     global_buffer
      - .actual_access:  read_only
        .address_space:  global
        .offset:         32
        .size:           8
        .value_kind:     global_buffer
      - .actual_access:  read_only
        .address_space:  global
        .offset:         40
        .size:           8
        .value_kind:     global_buffer
      - .offset:         48
        .size:           4
        .value_kind:     by_value
      - .offset:         52
        .size:           4
        .value_kind:     by_value
      - .actual_access:  read_only
        .address_space:  global
        .offset:         56
        .size:           8
        .value_kind:     global_buffer
      - .actual_access:  read_only
        .address_space:  global
        .offset:         64
        .size:           8
        .value_kind:     global_buffer
      - .offset:         72
        .size:           4
        .value_kind:     by_value
      - .actual_access:  read_only
        .address_space:  global
        .offset:         80
        .size:           8
        .value_kind:     global_buffer
      - .offset:         88
        .size:           4
        .value_kind:     by_value
      - .offset:         92
        .size:           4
        .value_kind:     by_value
      - .offset:         96
        .size:           4
        .value_kind:     by_value
      - .address_space:  global
        .offset:         104
        .size:           8
        .value_kind:     global_buffer
      - .address_space:  global
        .offset:         112
        .size:           8
        .value_kind:     global_buffer
      - .offset:         120
        .size:           4
        .value_kind:     by_value
      - .offset:         124
        .size:           4
        .value_kind:     by_value
      - .offset:         128
        .size:           4
        .value_kind:     by_value
      - .offset:         132
        .size:           4
        .value_kind:     by_value
      - .offset:         136
        .size:           4
        .value_kind:     by_value
      - .offset:         144
        .size:           4
        .value_kind:     hidden_block_count_x
      - .offset:         148
        .size:           4
        .value_kind:     hidden_block_count_y
      - .offset:         152
        .size:           4
        .value_kind:     hidden_block_count_z
      - .offset:         156
        .size:           2
        .value_kind:     hidden_group_size_x
      - .offset:         158
        .size:           2
        .value_kind:     hidden_group_size_y
      - .offset:         160
        .size:           2
        .value_kind:     hidden_group_size_z
      - .offset:         162
        .size:           2
        .value_kind:     hidden_remainder_x
      - .offset:         164
        .size:           2
        .value_kind:     hidden_remainder_y
      - .offset:         166
        .size:           2
        .value_kind:     hidden_remainder_z
      - .offset:         184
        .size:           8
        .value_kind:     hidden_global_offset_x
      - .offset:         192
        .size:           8
        .value_kind:     hidden_global_offset_y
      - .offset:         200
        .size:           8
        .value_kind:     hidden_global_offset_z
      - .offset:         208
        .size:           2
        .value_kind:     hidden_grid_dims
      - .offset:         264
        .size:           4
        .value_kind:     hidden_dynamic_lds_size
    .group_segment_fixed_size: 416
    .kernarg_segment_align: 8
    .kernarg_segment_size: 400
    .language:       OpenCL C
    .language_version:
      - 2
      - 0
    .max_flat_workgroup_size: 1024
    .name:           _ZN4vllm25paged_attention_v2_kernelIfhLi96ELi8ELi128ELNS_18Fp8KVCacheDataTypeE1ELb1ELi512EEEvPfS2_PT_PKS3_PKT0_S9_ifPKiSB_iPKfiiiSD_SD_iiiii
    .private_segment_fixed_size: 0
    .sgpr_count:     55
    .sgpr_spill_count: 0
    .symbol:         _ZN4vllm25paged_attention_v2_kernelIfhLi96ELi8ELi128ELNS_18Fp8KVCacheDataTypeE1ELb1ELi512EEEvPfS2_PT_PKS3_PKT0_S9_ifPKiSB_iPKfiiiSD_SD_iiiii.kd
    .uniform_work_group_size: 1
    .uses_dynamic_stack: false
    .vgpr_count:     76
    .vgpr_spill_count: 0
    .wavefront_size: 32
    .workgroup_processor_mode: 1
  - .args:
      - .actual_access:  write_only
        .address_space:  global
        .offset:         0
        .size:           8
        .value_kind:     global_buffer
      - .actual_access:  write_only
        .address_space:  global
        .offset:         8
        .size:           8
        .value_kind:     global_buffer
      - .actual_access:  write_only
        .address_space:  global
        .offset:         16
        .size:           8
        .value_kind:     global_buffer
      - .actual_access:  read_only
        .address_space:  global
        .offset:         24
        .size:           8
        .value_kind:     global_buffer
      - .actual_access:  read_only
        .address_space:  global
        .offset:         32
        .size:           8
        .value_kind:     global_buffer
      - .actual_access:  read_only
        .address_space:  global
        .offset:         40
        .size:           8
        .value_kind:     global_buffer
      - .offset:         48
        .size:           4
        .value_kind:     by_value
      - .offset:         52
        .size:           4
        .value_kind:     by_value
      - .actual_access:  read_only
        .address_space:  global
        .offset:         56
        .size:           8
        .value_kind:     global_buffer
      - .actual_access:  read_only
        .address_space:  global
        .offset:         64
        .size:           8
        .value_kind:     global_buffer
      - .offset:         72
        .size:           4
        .value_kind:     by_value
      - .actual_access:  read_only
        .address_space:  global
        .offset:         80
        .size:           8
        .value_kind:     global_buffer
      - .offset:         88
        .size:           4
        .value_kind:     by_value
      - .offset:         92
        .size:           4
        .value_kind:     by_value
      - .offset:         96
        .size:           4
        .value_kind:     by_value
      - .address_space:  global
        .offset:         104
        .size:           8
        .value_kind:     global_buffer
      - .address_space:  global
        .offset:         112
        .size:           8
        .value_kind:     global_buffer
      - .offset:         120
        .size:           4
        .value_kind:     by_value
      - .offset:         124
        .size:           4
        .value_kind:     by_value
      - .offset:         128
        .size:           4
        .value_kind:     by_value
      - .offset:         132
        .size:           4
        .value_kind:     by_value
      - .offset:         136
        .size:           4
        .value_kind:     by_value
      - .offset:         144
        .size:           4
        .value_kind:     hidden_block_count_x
      - .offset:         148
        .size:           4
        .value_kind:     hidden_block_count_y
      - .offset:         152
        .size:           4
        .value_kind:     hidden_block_count_z
      - .offset:         156
        .size:           2
        .value_kind:     hidden_group_size_x
      - .offset:         158
        .size:           2
        .value_kind:     hidden_group_size_y
      - .offset:         160
        .size:           2
        .value_kind:     hidden_group_size_z
      - .offset:         162
        .size:           2
        .value_kind:     hidden_remainder_x
      - .offset:         164
        .size:           2
        .value_kind:     hidden_remainder_y
      - .offset:         166
        .size:           2
        .value_kind:     hidden_remainder_z
      - .offset:         184
        .size:           8
        .value_kind:     hidden_global_offset_x
      - .offset:         192
        .size:           8
        .value_kind:     hidden_global_offset_y
      - .offset:         200
        .size:           8
        .value_kind:     hidden_global_offset_z
      - .offset:         208
        .size:           2
        .value_kind:     hidden_grid_dims
      - .offset:         264
        .size:           4
        .value_kind:     hidden_dynamic_lds_size
    .group_segment_fixed_size: 480
    .kernarg_segment_align: 8
    .kernarg_segment_size: 400
    .language:       OpenCL C
    .language_version:
      - 2
      - 0
    .max_flat_workgroup_size: 1024
    .name:           _ZN4vllm25paged_attention_v2_kernelIfhLi112ELi8ELi128ELNS_18Fp8KVCacheDataTypeE1ELb1ELi512EEEvPfS2_PT_PKS3_PKT0_S9_ifPKiSB_iPKfiiiSD_SD_iiiii
    .private_segment_fixed_size: 0
    .sgpr_count:     55
    .sgpr_spill_count: 0
    .symbol:         _ZN4vllm25paged_attention_v2_kernelIfhLi112ELi8ELi128ELNS_18Fp8KVCacheDataTypeE1ELb1ELi512EEEvPfS2_PT_PKS3_PKT0_S9_ifPKiSB_iPKfiiiSD_SD_iiiii.kd
    .uniform_work_group_size: 1
    .uses_dynamic_stack: false
    .vgpr_count:     84
    .vgpr_spill_count: 0
    .wavefront_size: 32
    .workgroup_processor_mode: 1
  - .args:
      - .actual_access:  write_only
        .address_space:  global
        .offset:         0
        .size:           8
        .value_kind:     global_buffer
      - .actual_access:  write_only
        .address_space:  global
        .offset:         8
        .size:           8
        .value_kind:     global_buffer
      - .actual_access:  write_only
        .address_space:  global
        .offset:         16
        .size:           8
        .value_kind:     global_buffer
      - .actual_access:  read_only
        .address_space:  global
        .offset:         24
        .size:           8
        .value_kind:     global_buffer
      - .actual_access:  read_only
        .address_space:  global
        .offset:         32
        .size:           8
        .value_kind:     global_buffer
      - .actual_access:  read_only
        .address_space:  global
        .offset:         40
        .size:           8
        .value_kind:     global_buffer
      - .offset:         48
        .size:           4
        .value_kind:     by_value
      - .offset:         52
        .size:           4
        .value_kind:     by_value
      - .actual_access:  read_only
        .address_space:  global
        .offset:         56
        .size:           8
        .value_kind:     global_buffer
      - .actual_access:  read_only
        .address_space:  global
        .offset:         64
        .size:           8
        .value_kind:     global_buffer
      - .offset:         72
        .size:           4
        .value_kind:     by_value
      - .actual_access:  read_only
        .address_space:  global
        .offset:         80
        .size:           8
        .value_kind:     global_buffer
      - .offset:         88
        .size:           4
        .value_kind:     by_value
      - .offset:         92
        .size:           4
        .value_kind:     by_value
      - .offset:         96
        .size:           4
        .value_kind:     by_value
      - .address_space:  global
        .offset:         104
        .size:           8
        .value_kind:     global_buffer
      - .address_space:  global
        .offset:         112
        .size:           8
        .value_kind:     global_buffer
      - .offset:         120
        .size:           4
        .value_kind:     by_value
      - .offset:         124
        .size:           4
        .value_kind:     by_value
      - .offset:         128
        .size:           4
        .value_kind:     by_value
      - .offset:         132
        .size:           4
        .value_kind:     by_value
      - .offset:         136
        .size:           4
        .value_kind:     by_value
      - .offset:         144
        .size:           4
        .value_kind:     hidden_block_count_x
      - .offset:         148
        .size:           4
        .value_kind:     hidden_block_count_y
      - .offset:         152
        .size:           4
        .value_kind:     hidden_block_count_z
      - .offset:         156
        .size:           2
        .value_kind:     hidden_group_size_x
      - .offset:         158
        .size:           2
        .value_kind:     hidden_group_size_y
      - .offset:         160
        .size:           2
        .value_kind:     hidden_group_size_z
      - .offset:         162
        .size:           2
        .value_kind:     hidden_remainder_x
      - .offset:         164
        .size:           2
        .value_kind:     hidden_remainder_y
      - .offset:         166
        .size:           2
        .value_kind:     hidden_remainder_z
      - .offset:         184
        .size:           8
        .value_kind:     hidden_global_offset_x
      - .offset:         192
        .size:           8
        .value_kind:     hidden_global_offset_y
      - .offset:         200
        .size:           8
        .value_kind:     hidden_global_offset_z
      - .offset:         208
        .size:           2
        .value_kind:     hidden_grid_dims
      - .offset:         264
        .size:           4
        .value_kind:     hidden_dynamic_lds_size
    .group_segment_fixed_size: 512
    .kernarg_segment_align: 8
    .kernarg_segment_size: 400
    .language:       OpenCL C
    .language_version:
      - 2
      - 0
    .max_flat_workgroup_size: 1024
    .name:           _ZN4vllm25paged_attention_v2_kernelIfhLi120ELi8ELi128ELNS_18Fp8KVCacheDataTypeE1ELb1ELi512EEEvPfS2_PT_PKS3_PKT0_S9_ifPKiSB_iPKfiiiSD_SD_iiiii
    .private_segment_fixed_size: 0
    .sgpr_count:     55
    .sgpr_spill_count: 0
    .symbol:         _ZN4vllm25paged_attention_v2_kernelIfhLi120ELi8ELi128ELNS_18Fp8KVCacheDataTypeE1ELb1ELi512EEEvPfS2_PT_PKS3_PKT0_S9_ifPKiSB_iPKfiiiSD_SD_iiiii.kd
    .uniform_work_group_size: 1
    .uses_dynamic_stack: false
    .vgpr_count:     88
    .vgpr_spill_count: 0
    .wavefront_size: 32
    .workgroup_processor_mode: 1
  - .args:
      - .actual_access:  write_only
        .address_space:  global
        .offset:         0
        .size:           8
        .value_kind:     global_buffer
      - .actual_access:  write_only
        .address_space:  global
        .offset:         8
        .size:           8
        .value_kind:     global_buffer
      - .actual_access:  write_only
        .address_space:  global
        .offset:         16
        .size:           8
        .value_kind:     global_buffer
      - .actual_access:  read_only
        .address_space:  global
        .offset:         24
        .size:           8
        .value_kind:     global_buffer
      - .actual_access:  read_only
        .address_space:  global
        .offset:         32
        .size:           8
        .value_kind:     global_buffer
      - .actual_access:  read_only
        .address_space:  global
        .offset:         40
        .size:           8
        .value_kind:     global_buffer
      - .offset:         48
        .size:           4
        .value_kind:     by_value
      - .offset:         52
        .size:           4
        .value_kind:     by_value
      - .actual_access:  read_only
        .address_space:  global
        .offset:         56
        .size:           8
        .value_kind:     global_buffer
      - .actual_access:  read_only
        .address_space:  global
        .offset:         64
        .size:           8
        .value_kind:     global_buffer
      - .offset:         72
        .size:           4
        .value_kind:     by_value
      - .actual_access:  read_only
        .address_space:  global
        .offset:         80
        .size:           8
        .value_kind:     global_buffer
      - .offset:         88
        .size:           4
        .value_kind:     by_value
      - .offset:         92
        .size:           4
        .value_kind:     by_value
      - .offset:         96
        .size:           4
        .value_kind:     by_value
      - .address_space:  global
        .offset:         104
        .size:           8
        .value_kind:     global_buffer
      - .address_space:  global
        .offset:         112
        .size:           8
        .value_kind:     global_buffer
      - .offset:         120
        .size:           4
        .value_kind:     by_value
      - .offset:         124
        .size:           4
        .value_kind:     by_value
      - .offset:         128
        .size:           4
        .value_kind:     by_value
      - .offset:         132
        .size:           4
        .value_kind:     by_value
      - .offset:         136
        .size:           4
        .value_kind:     by_value
      - .offset:         144
        .size:           4
        .value_kind:     hidden_block_count_x
      - .offset:         148
        .size:           4
        .value_kind:     hidden_block_count_y
      - .offset:         152
        .size:           4
        .value_kind:     hidden_block_count_z
      - .offset:         156
        .size:           2
        .value_kind:     hidden_group_size_x
      - .offset:         158
        .size:           2
        .value_kind:     hidden_group_size_y
      - .offset:         160
        .size:           2
        .value_kind:     hidden_group_size_z
      - .offset:         162
        .size:           2
        .value_kind:     hidden_remainder_x
      - .offset:         164
        .size:           2
        .value_kind:     hidden_remainder_y
      - .offset:         166
        .size:           2
        .value_kind:     hidden_remainder_z
      - .offset:         184
        .size:           8
        .value_kind:     hidden_global_offset_x
      - .offset:         192
        .size:           8
        .value_kind:     hidden_global_offset_y
      - .offset:         200
        .size:           8
        .value_kind:     hidden_global_offset_z
      - .offset:         208
        .size:           2
        .value_kind:     hidden_grid_dims
      - .offset:         264
        .size:           4
        .value_kind:     hidden_dynamic_lds_size
    .group_segment_fixed_size: 544
    .kernarg_segment_align: 8
    .kernarg_segment_size: 400
    .language:       OpenCL C
    .language_version:
      - 2
      - 0
    .max_flat_workgroup_size: 1024
    .name:           _ZN4vllm25paged_attention_v2_kernelIfhLi128ELi8ELi128ELNS_18Fp8KVCacheDataTypeE1ELb1ELi512EEEvPfS2_PT_PKS3_PKT0_S9_ifPKiSB_iPKfiiiSD_SD_iiiii
    .private_segment_fixed_size: 0
    .sgpr_count:     55
    .sgpr_spill_count: 0
    .symbol:         _ZN4vllm25paged_attention_v2_kernelIfhLi128ELi8ELi128ELNS_18Fp8KVCacheDataTypeE1ELb1ELi512EEEvPfS2_PT_PKS3_PKT0_S9_ifPKiSB_iPKfiiiSD_SD_iiiii.kd
    .uniform_work_group_size: 1
    .uses_dynamic_stack: false
    .vgpr_count:     92
    .vgpr_spill_count: 0
    .wavefront_size: 32
    .workgroup_processor_mode: 1
  - .args:
      - .actual_access:  write_only
        .address_space:  global
        .offset:         0
        .size:           8
        .value_kind:     global_buffer
      - .actual_access:  write_only
        .address_space:  global
        .offset:         8
        .size:           8
        .value_kind:     global_buffer
      - .actual_access:  write_only
        .address_space:  global
        .offset:         16
        .size:           8
        .value_kind:     global_buffer
      - .actual_access:  read_only
        .address_space:  global
        .offset:         24
        .size:           8
        .value_kind:     global_buffer
      - .actual_access:  read_only
        .address_space:  global
        .offset:         32
        .size:           8
        .value_kind:     global_buffer
      - .actual_access:  read_only
        .address_space:  global
        .offset:         40
        .size:           8
        .value_kind:     global_buffer
      - .offset:         48
        .size:           4
        .value_kind:     by_value
      - .offset:         52
        .size:           4
        .value_kind:     by_value
      - .actual_access:  read_only
        .address_space:  global
        .offset:         56
        .size:           8
        .value_kind:     global_buffer
      - .actual_access:  read_only
        .address_space:  global
        .offset:         64
        .size:           8
        .value_kind:     global_buffer
      - .offset:         72
        .size:           4
        .value_kind:     by_value
      - .actual_access:  read_only
        .address_space:  global
        .offset:         80
        .size:           8
        .value_kind:     global_buffer
      - .offset:         88
        .size:           4
        .value_kind:     by_value
      - .offset:         92
        .size:           4
        .value_kind:     by_value
      - .offset:         96
        .size:           4
        .value_kind:     by_value
      - .address_space:  global
        .offset:         104
        .size:           8
        .value_kind:     global_buffer
      - .address_space:  global
        .offset:         112
        .size:           8
        .value_kind:     global_buffer
      - .offset:         120
        .size:           4
        .value_kind:     by_value
      - .offset:         124
        .size:           4
        .value_kind:     by_value
      - .offset:         128
        .size:           4
        .value_kind:     by_value
      - .offset:         132
        .size:           4
        .value_kind:     by_value
      - .offset:         136
        .size:           4
        .value_kind:     by_value
      - .offset:         144
        .size:           4
        .value_kind:     hidden_block_count_x
      - .offset:         148
        .size:           4
        .value_kind:     hidden_block_count_y
      - .offset:         152
        .size:           4
        .value_kind:     hidden_block_count_z
      - .offset:         156
        .size:           2
        .value_kind:     hidden_group_size_x
      - .offset:         158
        .size:           2
        .value_kind:     hidden_group_size_y
      - .offset:         160
        .size:           2
        .value_kind:     hidden_group_size_z
      - .offset:         162
        .size:           2
        .value_kind:     hidden_remainder_x
      - .offset:         164
        .size:           2
        .value_kind:     hidden_remainder_y
      - .offset:         166
        .size:           2
        .value_kind:     hidden_remainder_z
      - .offset:         184
        .size:           8
        .value_kind:     hidden_global_offset_x
      - .offset:         192
        .size:           8
        .value_kind:     hidden_global_offset_y
      - .offset:         200
        .size:           8
        .value_kind:     hidden_global_offset_z
      - .offset:         208
        .size:           2
        .value_kind:     hidden_grid_dims
      - .offset:         264
        .size:           4
        .value_kind:     hidden_dynamic_lds_size
    .group_segment_fixed_size: 800
    .kernarg_segment_align: 8
    .kernarg_segment_size: 400
    .language:       OpenCL C
    .language_version:
      - 2
      - 0
    .max_flat_workgroup_size: 1024
    .name:           _ZN4vllm25paged_attention_v2_kernelIfhLi192ELi8ELi128ELNS_18Fp8KVCacheDataTypeE1ELb1ELi512EEEvPfS2_PT_PKS3_PKT0_S9_ifPKiSB_iPKfiiiSD_SD_iiiii
    .private_segment_fixed_size: 0
    .sgpr_count:     55
    .sgpr_spill_count: 0
    .symbol:         _ZN4vllm25paged_attention_v2_kernelIfhLi192ELi8ELi128ELNS_18Fp8KVCacheDataTypeE1ELb1ELi512EEEvPfS2_PT_PKS3_PKT0_S9_ifPKiSB_iPKfiiiSD_SD_iiiii.kd
    .uniform_work_group_size: 1
    .uses_dynamic_stack: false
    .vgpr_count:     123
    .vgpr_spill_count: 0
    .wavefront_size: 32
    .workgroup_processor_mode: 1
  - .args:
      - .actual_access:  write_only
        .address_space:  global
        .offset:         0
        .size:           8
        .value_kind:     global_buffer
      - .actual_access:  write_only
        .address_space:  global
        .offset:         8
        .size:           8
        .value_kind:     global_buffer
      - .actual_access:  write_only
        .address_space:  global
        .offset:         16
        .size:           8
        .value_kind:     global_buffer
      - .actual_access:  read_only
        .address_space:  global
        .offset:         24
        .size:           8
        .value_kind:     global_buffer
      - .actual_access:  read_only
        .address_space:  global
        .offset:         32
        .size:           8
        .value_kind:     global_buffer
      - .actual_access:  read_only
        .address_space:  global
        .offset:         40
        .size:           8
        .value_kind:     global_buffer
      - .offset:         48
        .size:           4
        .value_kind:     by_value
      - .offset:         52
        .size:           4
        .value_kind:     by_value
      - .actual_access:  read_only
        .address_space:  global
        .offset:         56
        .size:           8
        .value_kind:     global_buffer
      - .actual_access:  read_only
        .address_space:  global
        .offset:         64
        .size:           8
        .value_kind:     global_buffer
      - .offset:         72
        .size:           4
        .value_kind:     by_value
      - .address_space:  global
        .offset:         80
        .size:           8
        .value_kind:     global_buffer
      - .offset:         88
        .size:           4
        .value_kind:     by_value
      - .offset:         92
        .size:           4
        .value_kind:     by_value
      - .offset:         96
        .size:           4
        .value_kind:     by_value
      - .address_space:  global
        .offset:         104
        .size:           8
        .value_kind:     global_buffer
      - .address_space:  global
        .offset:         112
        .size:           8
        .value_kind:     global_buffer
      - .offset:         120
        .size:           4
        .value_kind:     by_value
      - .offset:         124
        .size:           4
        .value_kind:     by_value
      - .offset:         128
        .size:           4
        .value_kind:     by_value
      - .offset:         132
        .size:           4
        .value_kind:     by_value
      - .offset:         136
        .size:           4
        .value_kind:     by_value
      - .offset:         144
        .size:           4
        .value_kind:     hidden_block_count_x
      - .offset:         148
        .size:           4
        .value_kind:     hidden_block_count_y
      - .offset:         152
        .size:           4
        .value_kind:     hidden_block_count_z
      - .offset:         156
        .size:           2
        .value_kind:     hidden_group_size_x
      - .offset:         158
        .size:           2
        .value_kind:     hidden_group_size_y
      - .offset:         160
        .size:           2
        .value_kind:     hidden_group_size_z
      - .offset:         162
        .size:           2
        .value_kind:     hidden_remainder_x
      - .offset:         164
        .size:           2
        .value_kind:     hidden_remainder_y
      - .offset:         166
        .size:           2
        .value_kind:     hidden_remainder_z
      - .offset:         184
        .size:           8
        .value_kind:     hidden_global_offset_x
      - .offset:         192
        .size:           8
        .value_kind:     hidden_global_offset_y
      - .offset:         200
        .size:           8
        .value_kind:     hidden_global_offset_z
      - .offset:         208
        .size:           2
        .value_kind:     hidden_grid_dims
      - .offset:         264
        .size:           4
        .value_kind:     hidden_dynamic_lds_size
    .group_segment_fixed_size: 1056
    .kernarg_segment_align: 8
    .kernarg_segment_size: 400
    .language:       OpenCL C
    .language_version:
      - 2
      - 0
    .max_flat_workgroup_size: 1024
    .name:           _ZN4vllm25paged_attention_v2_kernelIfhLi256ELi8ELi128ELNS_18Fp8KVCacheDataTypeE1ELb1ELi512EEEvPfS2_PT_PKS3_PKT0_S9_ifPKiSB_iPKfiiiSD_SD_iiiii
    .private_segment_fixed_size: 260
    .sgpr_count:     46
    .sgpr_spill_count: 0
    .symbol:         _ZN4vllm25paged_attention_v2_kernelIfhLi256ELi8ELi128ELNS_18Fp8KVCacheDataTypeE1ELb1ELi512EEEvPfS2_PT_PKS3_PKT0_S9_ifPKiSB_iPKfiiiSD_SD_iiiii.kd
    .uniform_work_group_size: 1
    .uses_dynamic_stack: false
    .vgpr_count:     184
    .vgpr_spill_count: 0
    .wavefront_size: 32
    .workgroup_processor_mode: 1
  - .args:
      - .actual_access:  write_only
        .address_space:  global
        .offset:         0
        .size:           8
        .value_kind:     global_buffer
      - .actual_access:  write_only
        .address_space:  global
        .offset:         8
        .size:           8
        .value_kind:     global_buffer
      - .actual_access:  write_only
        .address_space:  global
        .offset:         16
        .size:           8
        .value_kind:     global_buffer
      - .actual_access:  read_only
        .address_space:  global
        .offset:         24
        .size:           8
        .value_kind:     global_buffer
      - .actual_access:  read_only
        .address_space:  global
        .offset:         32
        .size:           8
        .value_kind:     global_buffer
      - .actual_access:  read_only
        .address_space:  global
        .offset:         40
        .size:           8
        .value_kind:     global_buffer
      - .offset:         48
        .size:           4
        .value_kind:     by_value
      - .offset:         52
        .size:           4
        .value_kind:     by_value
      - .actual_access:  read_only
        .address_space:  global
        .offset:         56
        .size:           8
        .value_kind:     global_buffer
      - .actual_access:  read_only
        .address_space:  global
        .offset:         64
        .size:           8
        .value_kind:     global_buffer
      - .offset:         72
        .size:           4
        .value_kind:     by_value
      - .actual_access:  read_only
        .address_space:  global
        .offset:         80
        .size:           8
        .value_kind:     global_buffer
      - .offset:         88
        .size:           4
        .value_kind:     by_value
      - .offset:         92
        .size:           4
        .value_kind:     by_value
      - .offset:         96
        .size:           4
        .value_kind:     by_value
      - .address_space:  global
        .offset:         104
        .size:           8
        .value_kind:     global_buffer
      - .address_space:  global
        .offset:         112
        .size:           8
        .value_kind:     global_buffer
      - .offset:         120
        .size:           4
        .value_kind:     by_value
      - .offset:         124
        .size:           4
        .value_kind:     by_value
      - .offset:         128
        .size:           4
        .value_kind:     by_value
      - .offset:         132
        .size:           4
        .value_kind:     by_value
      - .offset:         136
        .size:           4
        .value_kind:     by_value
      - .offset:         144
        .size:           4
        .value_kind:     hidden_block_count_x
      - .offset:         148
        .size:           4
        .value_kind:     hidden_block_count_y
      - .offset:         152
        .size:           4
        .value_kind:     hidden_block_count_z
      - .offset:         156
        .size:           2
        .value_kind:     hidden_group_size_x
      - .offset:         158
        .size:           2
        .value_kind:     hidden_group_size_y
      - .offset:         160
        .size:           2
        .value_kind:     hidden_group_size_z
      - .offset:         162
        .size:           2
        .value_kind:     hidden_remainder_x
      - .offset:         164
        .size:           2
        .value_kind:     hidden_remainder_y
      - .offset:         166
        .size:           2
        .value_kind:     hidden_remainder_z
      - .offset:         184
        .size:           8
        .value_kind:     hidden_global_offset_x
      - .offset:         192
        .size:           8
        .value_kind:     hidden_global_offset_y
      - .offset:         200
        .size:           8
        .value_kind:     hidden_global_offset_z
      - .offset:         208
        .size:           2
        .value_kind:     hidden_grid_dims
      - .offset:         264
        .size:           4
        .value_kind:     hidden_dynamic_lds_size
    .group_segment_fixed_size: 160
    .kernarg_segment_align: 8
    .kernarg_segment_size: 400
    .language:       OpenCL C
    .language_version:
      - 2
      - 0
    .max_flat_workgroup_size: 1024
    .name:           _ZN4vllm25paged_attention_v2_kernelIfhLi32ELi8ELi128ELNS_18Fp8KVCacheDataTypeE1ELb0ELi512EEEvPfS2_PT_PKS3_PKT0_S9_ifPKiSB_iPKfiiiSD_SD_iiiii
    .private_segment_fixed_size: 0
    .sgpr_count:     45
    .sgpr_spill_count: 0
    .symbol:         _ZN4vllm25paged_attention_v2_kernelIfhLi32ELi8ELi128ELNS_18Fp8KVCacheDataTypeE1ELb0ELi512EEEvPfS2_PT_PKS3_PKT0_S9_ifPKiSB_iPKfiiiSD_SD_iiiii.kd
    .uniform_work_group_size: 1
    .uses_dynamic_stack: false
    .vgpr_count:     40
    .vgpr_spill_count: 0
    .wavefront_size: 32
    .workgroup_processor_mode: 1
  - .args:
      - .actual_access:  write_only
        .address_space:  global
        .offset:         0
        .size:           8
        .value_kind:     global_buffer
      - .actual_access:  write_only
        .address_space:  global
        .offset:         8
        .size:           8
        .value_kind:     global_buffer
      - .actual_access:  write_only
        .address_space:  global
        .offset:         16
        .size:           8
        .value_kind:     global_buffer
      - .actual_access:  read_only
        .address_space:  global
        .offset:         24
        .size:           8
        .value_kind:     global_buffer
      - .actual_access:  read_only
        .address_space:  global
        .offset:         32
        .size:           8
        .value_kind:     global_buffer
      - .actual_access:  read_only
        .address_space:  global
        .offset:         40
        .size:           8
        .value_kind:     global_buffer
      - .offset:         48
        .size:           4
        .value_kind:     by_value
      - .offset:         52
        .size:           4
        .value_kind:     by_value
      - .actual_access:  read_only
        .address_space:  global
        .offset:         56
        .size:           8
        .value_kind:     global_buffer
      - .actual_access:  read_only
        .address_space:  global
        .offset:         64
        .size:           8
        .value_kind:     global_buffer
      - .offset:         72
        .size:           4
        .value_kind:     by_value
      - .actual_access:  read_only
        .address_space:  global
        .offset:         80
        .size:           8
        .value_kind:     global_buffer
      - .offset:         88
        .size:           4
        .value_kind:     by_value
      - .offset:         92
        .size:           4
        .value_kind:     by_value
      - .offset:         96
        .size:           4
        .value_kind:     by_value
      - .address_space:  global
        .offset:         104
        .size:           8
        .value_kind:     global_buffer
      - .address_space:  global
        .offset:         112
        .size:           8
        .value_kind:     global_buffer
      - .offset:         120
        .size:           4
        .value_kind:     by_value
      - .offset:         124
        .size:           4
        .value_kind:     by_value
      - .offset:         128
        .size:           4
        .value_kind:     by_value
      - .offset:         132
        .size:           4
        .value_kind:     by_value
      - .offset:         136
        .size:           4
        .value_kind:     by_value
      - .offset:         144
        .size:           4
        .value_kind:     hidden_block_count_x
      - .offset:         148
        .size:           4
        .value_kind:     hidden_block_count_y
      - .offset:         152
        .size:           4
        .value_kind:     hidden_block_count_z
      - .offset:         156
        .size:           2
        .value_kind:     hidden_group_size_x
      - .offset:         158
        .size:           2
        .value_kind:     hidden_group_size_y
      - .offset:         160
        .size:           2
        .value_kind:     hidden_group_size_z
      - .offset:         162
        .size:           2
        .value_kind:     hidden_remainder_x
      - .offset:         164
        .size:           2
        .value_kind:     hidden_remainder_y
      - .offset:         166
        .size:           2
        .value_kind:     hidden_remainder_z
      - .offset:         184
        .size:           8
        .value_kind:     hidden_global_offset_x
      - .offset:         192
        .size:           8
        .value_kind:     hidden_global_offset_y
      - .offset:         200
        .size:           8
        .value_kind:     hidden_global_offset_z
      - .offset:         208
        .size:           2
        .value_kind:     hidden_grid_dims
      - .offset:         264
        .size:           4
        .value_kind:     hidden_dynamic_lds_size
    .group_segment_fixed_size: 288
    .kernarg_segment_align: 8
    .kernarg_segment_size: 400
    .language:       OpenCL C
    .language_version:
      - 2
      - 0
    .max_flat_workgroup_size: 1024
    .name:           _ZN4vllm25paged_attention_v2_kernelIfhLi64ELi8ELi128ELNS_18Fp8KVCacheDataTypeE1ELb0ELi512EEEvPfS2_PT_PKS3_PKT0_S9_ifPKiSB_iPKfiiiSD_SD_iiiii
    .private_segment_fixed_size: 0
    .sgpr_count:     45
    .sgpr_spill_count: 0
    .symbol:         _ZN4vllm25paged_attention_v2_kernelIfhLi64ELi8ELi128ELNS_18Fp8KVCacheDataTypeE1ELb0ELi512EEEvPfS2_PT_PKS3_PKT0_S9_ifPKiSB_iPKfiiiSD_SD_iiiii.kd
    .uniform_work_group_size: 1
    .uses_dynamic_stack: false
    .vgpr_count:     56
    .vgpr_spill_count: 0
    .wavefront_size: 32
    .workgroup_processor_mode: 1
  - .args:
      - .actual_access:  write_only
        .address_space:  global
        .offset:         0
        .size:           8
        .value_kind:     global_buffer
      - .actual_access:  write_only
        .address_space:  global
        .offset:         8
        .size:           8
        .value_kind:     global_buffer
      - .actual_access:  write_only
        .address_space:  global
        .offset:         16
        .size:           8
        .value_kind:     global_buffer
      - .actual_access:  read_only
        .address_space:  global
        .offset:         24
        .size:           8
        .value_kind:     global_buffer
      - .actual_access:  read_only
        .address_space:  global
        .offset:         32
        .size:           8
        .value_kind:     global_buffer
      - .actual_access:  read_only
        .address_space:  global
        .offset:         40
        .size:           8
        .value_kind:     global_buffer
      - .offset:         48
        .size:           4
        .value_kind:     by_value
      - .offset:         52
        .size:           4
        .value_kind:     by_value
      - .actual_access:  read_only
        .address_space:  global
        .offset:         56
        .size:           8
        .value_kind:     global_buffer
      - .actual_access:  read_only
        .address_space:  global
        .offset:         64
        .size:           8
        .value_kind:     global_buffer
      - .offset:         72
        .size:           4
        .value_kind:     by_value
      - .actual_access:  read_only
        .address_space:  global
        .offset:         80
        .size:           8
        .value_kind:     global_buffer
      - .offset:         88
        .size:           4
        .value_kind:     by_value
      - .offset:         92
        .size:           4
        .value_kind:     by_value
      - .offset:         96
        .size:           4
        .value_kind:     by_value
      - .address_space:  global
        .offset:         104
        .size:           8
        .value_kind:     global_buffer
      - .address_space:  global
        .offset:         112
        .size:           8
        .value_kind:     global_buffer
      - .offset:         120
        .size:           4
        .value_kind:     by_value
      - .offset:         124
        .size:           4
        .value_kind:     by_value
      - .offset:         128
        .size:           4
        .value_kind:     by_value
      - .offset:         132
        .size:           4
        .value_kind:     by_value
      - .offset:         136
        .size:           4
        .value_kind:     by_value
      - .offset:         144
        .size:           4
        .value_kind:     hidden_block_count_x
      - .offset:         148
        .size:           4
        .value_kind:     hidden_block_count_y
      - .offset:         152
        .size:           4
        .value_kind:     hidden_block_count_z
      - .offset:         156
        .size:           2
        .value_kind:     hidden_group_size_x
      - .offset:         158
        .size:           2
        .value_kind:     hidden_group_size_y
      - .offset:         160
        .size:           2
        .value_kind:     hidden_group_size_z
      - .offset:         162
        .size:           2
        .value_kind:     hidden_remainder_x
      - .offset:         164
        .size:           2
        .value_kind:     hidden_remainder_y
      - .offset:         166
        .size:           2
        .value_kind:     hidden_remainder_z
      - .offset:         184
        .size:           8
        .value_kind:     hidden_global_offset_x
      - .offset:         192
        .size:           8
        .value_kind:     hidden_global_offset_y
      - .offset:         200
        .size:           8
        .value_kind:     hidden_global_offset_z
      - .offset:         208
        .size:           2
        .value_kind:     hidden_grid_dims
      - .offset:         264
        .size:           4
        .value_kind:     hidden_dynamic_lds_size
    .group_segment_fixed_size: 352
    .kernarg_segment_align: 8
    .kernarg_segment_size: 400
    .language:       OpenCL C
    .language_version:
      - 2
      - 0
    .max_flat_workgroup_size: 1024
    .name:           _ZN4vllm25paged_attention_v2_kernelIfhLi80ELi8ELi128ELNS_18Fp8KVCacheDataTypeE1ELb0ELi512EEEvPfS2_PT_PKS3_PKT0_S9_ifPKiSB_iPKfiiiSD_SD_iiiii
    .private_segment_fixed_size: 0
    .sgpr_count:     44
    .sgpr_spill_count: 0
    .symbol:         _ZN4vllm25paged_attention_v2_kernelIfhLi80ELi8ELi128ELNS_18Fp8KVCacheDataTypeE1ELb0ELi512EEEvPfS2_PT_PKS3_PKT0_S9_ifPKiSB_iPKfiiiSD_SD_iiiii.kd
    .uniform_work_group_size: 1
    .uses_dynamic_stack: false
    .vgpr_count:     64
    .vgpr_spill_count: 0
    .wavefront_size: 32
    .workgroup_processor_mode: 1
  - .args:
      - .actual_access:  write_only
        .address_space:  global
        .offset:         0
        .size:           8
        .value_kind:     global_buffer
      - .actual_access:  write_only
        .address_space:  global
        .offset:         8
        .size:           8
        .value_kind:     global_buffer
      - .actual_access:  write_only
        .address_space:  global
        .offset:         16
        .size:           8
        .value_kind:     global_buffer
      - .actual_access:  read_only
        .address_space:  global
        .offset:         24
        .size:           8
        .value_kind:     global_buffer
      - .actual_access:  read_only
        .address_space:  global
        .offset:         32
        .size:           8
        .value_kind:     global_buffer
      - .actual_access:  read_only
        .address_space:  global
        .offset:         40
        .size:           8
        .value_kind:     global_buffer
      - .offset:         48
        .size:           4
        .value_kind:     by_value
      - .offset:         52
        .size:           4
        .value_kind:     by_value
      - .actual_access:  read_only
        .address_space:  global
        .offset:         56
        .size:           8
        .value_kind:     global_buffer
      - .actual_access:  read_only
        .address_space:  global
        .offset:         64
        .size:           8
        .value_kind:     global_buffer
      - .offset:         72
        .size:           4
        .value_kind:     by_value
      - .actual_access:  read_only
        .address_space:  global
        .offset:         80
        .size:           8
        .value_kind:     global_buffer
      - .offset:         88
        .size:           4
        .value_kind:     by_value
      - .offset:         92
        .size:           4
        .value_kind:     by_value
      - .offset:         96
        .size:           4
        .value_kind:     by_value
      - .address_space:  global
        .offset:         104
        .size:           8
        .value_kind:     global_buffer
      - .address_space:  global
        .offset:         112
        .size:           8
        .value_kind:     global_buffer
      - .offset:         120
        .size:           4
        .value_kind:     by_value
      - .offset:         124
        .size:           4
        .value_kind:     by_value
      - .offset:         128
        .size:           4
        .value_kind:     by_value
      - .offset:         132
        .size:           4
        .value_kind:     by_value
      - .offset:         136
        .size:           4
        .value_kind:     by_value
      - .offset:         144
        .size:           4
        .value_kind:     hidden_block_count_x
      - .offset:         148
        .size:           4
        .value_kind:     hidden_block_count_y
      - .offset:         152
        .size:           4
        .value_kind:     hidden_block_count_z
      - .offset:         156
        .size:           2
        .value_kind:     hidden_group_size_x
      - .offset:         158
        .size:           2
        .value_kind:     hidden_group_size_y
      - .offset:         160
        .size:           2
        .value_kind:     hidden_group_size_z
      - .offset:         162
        .size:           2
        .value_kind:     hidden_remainder_x
      - .offset:         164
        .size:           2
        .value_kind:     hidden_remainder_y
      - .offset:         166
        .size:           2
        .value_kind:     hidden_remainder_z
      - .offset:         184
        .size:           8
        .value_kind:     hidden_global_offset_x
      - .offset:         192
        .size:           8
        .value_kind:     hidden_global_offset_y
      - .offset:         200
        .size:           8
        .value_kind:     hidden_global_offset_z
      - .offset:         208
        .size:           2
        .value_kind:     hidden_grid_dims
      - .offset:         264
        .size:           4
        .value_kind:     hidden_dynamic_lds_size
    .group_segment_fixed_size: 416
    .kernarg_segment_align: 8
    .kernarg_segment_size: 400
    .language:       OpenCL C
    .language_version:
      - 2
      - 0
    .max_flat_workgroup_size: 1024
    .name:           _ZN4vllm25paged_attention_v2_kernelIfhLi96ELi8ELi128ELNS_18Fp8KVCacheDataTypeE1ELb0ELi512EEEvPfS2_PT_PKS3_PKT0_S9_ifPKiSB_iPKfiiiSD_SD_iiiii
    .private_segment_fixed_size: 0
    .sgpr_count:     44
    .sgpr_spill_count: 0
    .symbol:         _ZN4vllm25paged_attention_v2_kernelIfhLi96ELi8ELi128ELNS_18Fp8KVCacheDataTypeE1ELb0ELi512EEEvPfS2_PT_PKS3_PKT0_S9_ifPKiSB_iPKfiiiSD_SD_iiiii.kd
    .uniform_work_group_size: 1
    .uses_dynamic_stack: false
    .vgpr_count:     72
    .vgpr_spill_count: 0
    .wavefront_size: 32
    .workgroup_processor_mode: 1
  - .args:
      - .actual_access:  write_only
        .address_space:  global
        .offset:         0
        .size:           8
        .value_kind:     global_buffer
      - .actual_access:  write_only
        .address_space:  global
        .offset:         8
        .size:           8
        .value_kind:     global_buffer
      - .actual_access:  write_only
        .address_space:  global
        .offset:         16
        .size:           8
        .value_kind:     global_buffer
      - .actual_access:  read_only
        .address_space:  global
        .offset:         24
        .size:           8
        .value_kind:     global_buffer
      - .actual_access:  read_only
        .address_space:  global
        .offset:         32
        .size:           8
        .value_kind:     global_buffer
      - .actual_access:  read_only
        .address_space:  global
        .offset:         40
        .size:           8
        .value_kind:     global_buffer
      - .offset:         48
        .size:           4
        .value_kind:     by_value
      - .offset:         52
        .size:           4
        .value_kind:     by_value
      - .actual_access:  read_only
        .address_space:  global
        .offset:         56
        .size:           8
        .value_kind:     global_buffer
      - .actual_access:  read_only
        .address_space:  global
        .offset:         64
        .size:           8
        .value_kind:     global_buffer
      - .offset:         72
        .size:           4
        .value_kind:     by_value
      - .actual_access:  read_only
        .address_space:  global
        .offset:         80
        .size:           8
        .value_kind:     global_buffer
      - .offset:         88
        .size:           4
        .value_kind:     by_value
      - .offset:         92
        .size:           4
        .value_kind:     by_value
      - .offset:         96
        .size:           4
        .value_kind:     by_value
      - .address_space:  global
        .offset:         104
        .size:           8
        .value_kind:     global_buffer
      - .address_space:  global
        .offset:         112
        .size:           8
        .value_kind:     global_buffer
      - .offset:         120
        .size:           4
        .value_kind:     by_value
      - .offset:         124
        .size:           4
        .value_kind:     by_value
      - .offset:         128
        .size:           4
        .value_kind:     by_value
      - .offset:         132
        .size:           4
        .value_kind:     by_value
      - .offset:         136
        .size:           4
        .value_kind:     by_value
      - .offset:         144
        .size:           4
        .value_kind:     hidden_block_count_x
      - .offset:         148
        .size:           4
        .value_kind:     hidden_block_count_y
      - .offset:         152
        .size:           4
        .value_kind:     hidden_block_count_z
      - .offset:         156
        .size:           2
        .value_kind:     hidden_group_size_x
      - .offset:         158
        .size:           2
        .value_kind:     hidden_group_size_y
      - .offset:         160
        .size:           2
        .value_kind:     hidden_group_size_z
      - .offset:         162
        .size:           2
        .value_kind:     hidden_remainder_x
      - .offset:         164
        .size:           2
        .value_kind:     hidden_remainder_y
      - .offset:         166
        .size:           2
        .value_kind:     hidden_remainder_z
      - .offset:         184
        .size:           8
        .value_kind:     hidden_global_offset_x
      - .offset:         192
        .size:           8
        .value_kind:     hidden_global_offset_y
      - .offset:         200
        .size:           8
        .value_kind:     hidden_global_offset_z
      - .offset:         208
        .size:           2
        .value_kind:     hidden_grid_dims
      - .offset:         264
        .size:           4
        .value_kind:     hidden_dynamic_lds_size
    .group_segment_fixed_size: 480
    .kernarg_segment_align: 8
    .kernarg_segment_size: 400
    .language:       OpenCL C
    .language_version:
      - 2
      - 0
    .max_flat_workgroup_size: 1024
    .name:           _ZN4vllm25paged_attention_v2_kernelIfhLi112ELi8ELi128ELNS_18Fp8KVCacheDataTypeE1ELb0ELi512EEEvPfS2_PT_PKS3_PKT0_S9_ifPKiSB_iPKfiiiSD_SD_iiiii
    .private_segment_fixed_size: 0
    .sgpr_count:     44
    .sgpr_spill_count: 0
    .symbol:         _ZN4vllm25paged_attention_v2_kernelIfhLi112ELi8ELi128ELNS_18Fp8KVCacheDataTypeE1ELb0ELi512EEEvPfS2_PT_PKS3_PKT0_S9_ifPKiSB_iPKfiiiSD_SD_iiiii.kd
    .uniform_work_group_size: 1
    .uses_dynamic_stack: false
    .vgpr_count:     80
    .vgpr_spill_count: 0
    .wavefront_size: 32
    .workgroup_processor_mode: 1
  - .args:
      - .actual_access:  write_only
        .address_space:  global
        .offset:         0
        .size:           8
        .value_kind:     global_buffer
      - .actual_access:  write_only
        .address_space:  global
        .offset:         8
        .size:           8
        .value_kind:     global_buffer
      - .actual_access:  write_only
        .address_space:  global
        .offset:         16
        .size:           8
        .value_kind:     global_buffer
      - .actual_access:  read_only
        .address_space:  global
        .offset:         24
        .size:           8
        .value_kind:     global_buffer
      - .actual_access:  read_only
        .address_space:  global
        .offset:         32
        .size:           8
        .value_kind:     global_buffer
      - .actual_access:  read_only
        .address_space:  global
        .offset:         40
        .size:           8
        .value_kind:     global_buffer
      - .offset:         48
        .size:           4
        .value_kind:     by_value
      - .offset:         52
        .size:           4
        .value_kind:     by_value
      - .actual_access:  read_only
        .address_space:  global
        .offset:         56
        .size:           8
        .value_kind:     global_buffer
      - .actual_access:  read_only
        .address_space:  global
        .offset:         64
        .size:           8
        .value_kind:     global_buffer
      - .offset:         72
        .size:           4
        .value_kind:     by_value
      - .actual_access:  read_only
        .address_space:  global
        .offset:         80
        .size:           8
        .value_kind:     global_buffer
      - .offset:         88
        .size:           4
        .value_kind:     by_value
      - .offset:         92
        .size:           4
        .value_kind:     by_value
      - .offset:         96
        .size:           4
        .value_kind:     by_value
      - .address_space:  global
        .offset:         104
        .size:           8
        .value_kind:     global_buffer
      - .address_space:  global
        .offset:         112
        .size:           8
        .value_kind:     global_buffer
      - .offset:         120
        .size:           4
        .value_kind:     by_value
      - .offset:         124
        .size:           4
        .value_kind:     by_value
      - .offset:         128
        .size:           4
        .value_kind:     by_value
      - .offset:         132
        .size:           4
        .value_kind:     by_value
      - .offset:         136
        .size:           4
        .value_kind:     by_value
      - .offset:         144
        .size:           4
        .value_kind:     hidden_block_count_x
      - .offset:         148
        .size:           4
        .value_kind:     hidden_block_count_y
      - .offset:         152
        .size:           4
        .value_kind:     hidden_block_count_z
      - .offset:         156
        .size:           2
        .value_kind:     hidden_group_size_x
      - .offset:         158
        .size:           2
        .value_kind:     hidden_group_size_y
      - .offset:         160
        .size:           2
        .value_kind:     hidden_group_size_z
      - .offset:         162
        .size:           2
        .value_kind:     hidden_remainder_x
      - .offset:         164
        .size:           2
        .value_kind:     hidden_remainder_y
      - .offset:         166
        .size:           2
        .value_kind:     hidden_remainder_z
      - .offset:         184
        .size:           8
        .value_kind:     hidden_global_offset_x
      - .offset:         192
        .size:           8
        .value_kind:     hidden_global_offset_y
      - .offset:         200
        .size:           8
        .value_kind:     hidden_global_offset_z
      - .offset:         208
        .size:           2
        .value_kind:     hidden_grid_dims
      - .offset:         264
        .size:           4
        .value_kind:     hidden_dynamic_lds_size
    .group_segment_fixed_size: 512
    .kernarg_segment_align: 8
    .kernarg_segment_size: 400
    .language:       OpenCL C
    .language_version:
      - 2
      - 0
    .max_flat_workgroup_size: 1024
    .name:           _ZN4vllm25paged_attention_v2_kernelIfhLi120ELi8ELi128ELNS_18Fp8KVCacheDataTypeE1ELb0ELi512EEEvPfS2_PT_PKS3_PKT0_S9_ifPKiSB_iPKfiiiSD_SD_iiiii
    .private_segment_fixed_size: 0
    .sgpr_count:     44
    .sgpr_spill_count: 0
    .symbol:         _ZN4vllm25paged_attention_v2_kernelIfhLi120ELi8ELi128ELNS_18Fp8KVCacheDataTypeE1ELb0ELi512EEEvPfS2_PT_PKS3_PKT0_S9_ifPKiSB_iPKfiiiSD_SD_iiiii.kd
    .uniform_work_group_size: 1
    .uses_dynamic_stack: false
    .vgpr_count:     84
    .vgpr_spill_count: 0
    .wavefront_size: 32
    .workgroup_processor_mode: 1
  - .args:
      - .actual_access:  write_only
        .address_space:  global
        .offset:         0
        .size:           8
        .value_kind:     global_buffer
      - .actual_access:  write_only
        .address_space:  global
        .offset:         8
        .size:           8
        .value_kind:     global_buffer
      - .actual_access:  write_only
        .address_space:  global
        .offset:         16
        .size:           8
        .value_kind:     global_buffer
      - .actual_access:  read_only
        .address_space:  global
        .offset:         24
        .size:           8
        .value_kind:     global_buffer
      - .actual_access:  read_only
        .address_space:  global
        .offset:         32
        .size:           8
        .value_kind:     global_buffer
      - .actual_access:  read_only
        .address_space:  global
        .offset:         40
        .size:           8
        .value_kind:     global_buffer
      - .offset:         48
        .size:           4
        .value_kind:     by_value
      - .offset:         52
        .size:           4
        .value_kind:     by_value
      - .actual_access:  read_only
        .address_space:  global
        .offset:         56
        .size:           8
        .value_kind:     global_buffer
      - .actual_access:  read_only
        .address_space:  global
        .offset:         64
        .size:           8
        .value_kind:     global_buffer
      - .offset:         72
        .size:           4
        .value_kind:     by_value
      - .actual_access:  read_only
        .address_space:  global
        .offset:         80
        .size:           8
        .value_kind:     global_buffer
      - .offset:         88
        .size:           4
        .value_kind:     by_value
      - .offset:         92
        .size:           4
        .value_kind:     by_value
      - .offset:         96
        .size:           4
        .value_kind:     by_value
      - .address_space:  global
        .offset:         104
        .size:           8
        .value_kind:     global_buffer
      - .address_space:  global
        .offset:         112
        .size:           8
        .value_kind:     global_buffer
      - .offset:         120
        .size:           4
        .value_kind:     by_value
      - .offset:         124
        .size:           4
        .value_kind:     by_value
      - .offset:         128
        .size:           4
        .value_kind:     by_value
      - .offset:         132
        .size:           4
        .value_kind:     by_value
      - .offset:         136
        .size:           4
        .value_kind:     by_value
      - .offset:         144
        .size:           4
        .value_kind:     hidden_block_count_x
      - .offset:         148
        .size:           4
        .value_kind:     hidden_block_count_y
      - .offset:         152
        .size:           4
        .value_kind:     hidden_block_count_z
      - .offset:         156
        .size:           2
        .value_kind:     hidden_group_size_x
      - .offset:         158
        .size:           2
        .value_kind:     hidden_group_size_y
      - .offset:         160
        .size:           2
        .value_kind:     hidden_group_size_z
      - .offset:         162
        .size:           2
        .value_kind:     hidden_remainder_x
      - .offset:         164
        .size:           2
        .value_kind:     hidden_remainder_y
      - .offset:         166
        .size:           2
        .value_kind:     hidden_remainder_z
      - .offset:         184
        .size:           8
        .value_kind:     hidden_global_offset_x
      - .offset:         192
        .size:           8
        .value_kind:     hidden_global_offset_y
      - .offset:         200
        .size:           8
        .value_kind:     hidden_global_offset_z
      - .offset:         208
        .size:           2
        .value_kind:     hidden_grid_dims
      - .offset:         264
        .size:           4
        .value_kind:     hidden_dynamic_lds_size
    .group_segment_fixed_size: 544
    .kernarg_segment_align: 8
    .kernarg_segment_size: 400
    .language:       OpenCL C
    .language_version:
      - 2
      - 0
    .max_flat_workgroup_size: 1024
    .name:           _ZN4vllm25paged_attention_v2_kernelIfhLi128ELi8ELi128ELNS_18Fp8KVCacheDataTypeE1ELb0ELi512EEEvPfS2_PT_PKS3_PKT0_S9_ifPKiSB_iPKfiiiSD_SD_iiiii
    .private_segment_fixed_size: 0
    .sgpr_count:     44
    .sgpr_spill_count: 0
    .symbol:         _ZN4vllm25paged_attention_v2_kernelIfhLi128ELi8ELi128ELNS_18Fp8KVCacheDataTypeE1ELb0ELi512EEEvPfS2_PT_PKS3_PKT0_S9_ifPKiSB_iPKfiiiSD_SD_iiiii.kd
    .uniform_work_group_size: 1
    .uses_dynamic_stack: false
    .vgpr_count:     88
    .vgpr_spill_count: 0
    .wavefront_size: 32
    .workgroup_processor_mode: 1
  - .args:
      - .actual_access:  write_only
        .address_space:  global
        .offset:         0
        .size:           8
        .value_kind:     global_buffer
      - .actual_access:  write_only
        .address_space:  global
        .offset:         8
        .size:           8
        .value_kind:     global_buffer
      - .actual_access:  write_only
        .address_space:  global
        .offset:         16
        .size:           8
        .value_kind:     global_buffer
      - .actual_access:  read_only
        .address_space:  global
        .offset:         24
        .size:           8
        .value_kind:     global_buffer
      - .actual_access:  read_only
        .address_space:  global
        .offset:         32
        .size:           8
        .value_kind:     global_buffer
      - .actual_access:  read_only
        .address_space:  global
        .offset:         40
        .size:           8
        .value_kind:     global_buffer
      - .offset:         48
        .size:           4
        .value_kind:     by_value
      - .offset:         52
        .size:           4
        .value_kind:     by_value
      - .actual_access:  read_only
        .address_space:  global
        .offset:         56
        .size:           8
        .value_kind:     global_buffer
      - .actual_access:  read_only
        .address_space:  global
        .offset:         64
        .size:           8
        .value_kind:     global_buffer
      - .offset:         72
        .size:           4
        .value_kind:     by_value
      - .actual_access:  read_only
        .address_space:  global
        .offset:         80
        .size:           8
        .value_kind:     global_buffer
      - .offset:         88
        .size:           4
        .value_kind:     by_value
      - .offset:         92
        .size:           4
        .value_kind:     by_value
      - .offset:         96
        .size:           4
        .value_kind:     by_value
      - .address_space:  global
        .offset:         104
        .size:           8
        .value_kind:     global_buffer
      - .address_space:  global
        .offset:         112
        .size:           8
        .value_kind:     global_buffer
      - .offset:         120
        .size:           4
        .value_kind:     by_value
      - .offset:         124
        .size:           4
        .value_kind:     by_value
      - .offset:         128
        .size:           4
        .value_kind:     by_value
      - .offset:         132
        .size:           4
        .value_kind:     by_value
      - .offset:         136
        .size:           4
        .value_kind:     by_value
      - .offset:         144
        .size:           4
        .value_kind:     hidden_block_count_x
      - .offset:         148
        .size:           4
        .value_kind:     hidden_block_count_y
      - .offset:         152
        .size:           4
        .value_kind:     hidden_block_count_z
      - .offset:         156
        .size:           2
        .value_kind:     hidden_group_size_x
      - .offset:         158
        .size:           2
        .value_kind:     hidden_group_size_y
      - .offset:         160
        .size:           2
        .value_kind:     hidden_group_size_z
      - .offset:         162
        .size:           2
        .value_kind:     hidden_remainder_x
      - .offset:         164
        .size:           2
        .value_kind:     hidden_remainder_y
      - .offset:         166
        .size:           2
        .value_kind:     hidden_remainder_z
      - .offset:         184
        .size:           8
        .value_kind:     hidden_global_offset_x
      - .offset:         192
        .size:           8
        .value_kind:     hidden_global_offset_y
      - .offset:         200
        .size:           8
        .value_kind:     hidden_global_offset_z
      - .offset:         208
        .size:           2
        .value_kind:     hidden_grid_dims
      - .offset:         264
        .size:           4
        .value_kind:     hidden_dynamic_lds_size
    .group_segment_fixed_size: 800
    .kernarg_segment_align: 8
    .kernarg_segment_size: 400
    .language:       OpenCL C
    .language_version:
      - 2
      - 0
    .max_flat_workgroup_size: 1024
    .name:           _ZN4vllm25paged_attention_v2_kernelIfhLi192ELi8ELi128ELNS_18Fp8KVCacheDataTypeE1ELb0ELi512EEEvPfS2_PT_PKS3_PKT0_S9_ifPKiSB_iPKfiiiSD_SD_iiiii
    .private_segment_fixed_size: 0
    .sgpr_count:     46
    .sgpr_spill_count: 0
    .symbol:         _ZN4vllm25paged_attention_v2_kernelIfhLi192ELi8ELi128ELNS_18Fp8KVCacheDataTypeE1ELb0ELi512EEEvPfS2_PT_PKS3_PKT0_S9_ifPKiSB_iPKfiiiSD_SD_iiiii.kd
    .uniform_work_group_size: 1
    .uses_dynamic_stack: false
    .vgpr_count:     119
    .vgpr_spill_count: 0
    .wavefront_size: 32
    .workgroup_processor_mode: 1
  - .args:
      - .actual_access:  write_only
        .address_space:  global
        .offset:         0
        .size:           8
        .value_kind:     global_buffer
      - .actual_access:  write_only
        .address_space:  global
        .offset:         8
        .size:           8
        .value_kind:     global_buffer
      - .actual_access:  write_only
        .address_space:  global
        .offset:         16
        .size:           8
        .value_kind:     global_buffer
      - .actual_access:  read_only
        .address_space:  global
        .offset:         24
        .size:           8
        .value_kind:     global_buffer
      - .actual_access:  read_only
        .address_space:  global
        .offset:         32
        .size:           8
        .value_kind:     global_buffer
      - .actual_access:  read_only
        .address_space:  global
        .offset:         40
        .size:           8
        .value_kind:     global_buffer
      - .offset:         48
        .size:           4
        .value_kind:     by_value
      - .offset:         52
        .size:           4
        .value_kind:     by_value
      - .actual_access:  read_only
        .address_space:  global
        .offset:         56
        .size:           8
        .value_kind:     global_buffer
      - .actual_access:  read_only
        .address_space:  global
        .offset:         64
        .size:           8
        .value_kind:     global_buffer
      - .offset:         72
        .size:           4
        .value_kind:     by_value
      - .address_space:  global
        .offset:         80
        .size:           8
        .value_kind:     global_buffer
      - .offset:         88
        .size:           4
        .value_kind:     by_value
      - .offset:         92
        .size:           4
        .value_kind:     by_value
      - .offset:         96
        .size:           4
        .value_kind:     by_value
      - .address_space:  global
        .offset:         104
        .size:           8
        .value_kind:     global_buffer
      - .address_space:  global
        .offset:         112
        .size:           8
        .value_kind:     global_buffer
      - .offset:         120
        .size:           4
        .value_kind:     by_value
      - .offset:         124
        .size:           4
        .value_kind:     by_value
      - .offset:         128
        .size:           4
        .value_kind:     by_value
      - .offset:         132
        .size:           4
        .value_kind:     by_value
      - .offset:         136
        .size:           4
        .value_kind:     by_value
      - .offset:         144
        .size:           4
        .value_kind:     hidden_block_count_x
      - .offset:         148
        .size:           4
        .value_kind:     hidden_block_count_y
      - .offset:         152
        .size:           4
        .value_kind:     hidden_block_count_z
      - .offset:         156
        .size:           2
        .value_kind:     hidden_group_size_x
      - .offset:         158
        .size:           2
        .value_kind:     hidden_group_size_y
      - .offset:         160
        .size:           2
        .value_kind:     hidden_group_size_z
      - .offset:         162
        .size:           2
        .value_kind:     hidden_remainder_x
      - .offset:         164
        .size:           2
        .value_kind:     hidden_remainder_y
      - .offset:         166
        .size:           2
        .value_kind:     hidden_remainder_z
      - .offset:         184
        .size:           8
        .value_kind:     hidden_global_offset_x
      - .offset:         192
        .size:           8
        .value_kind:     hidden_global_offset_y
      - .offset:         200
        .size:           8
        .value_kind:     hidden_global_offset_z
      - .offset:         208
        .size:           2
        .value_kind:     hidden_grid_dims
      - .offset:         264
        .size:           4
        .value_kind:     hidden_dynamic_lds_size
    .group_segment_fixed_size: 1056
    .kernarg_segment_align: 8
    .kernarg_segment_size: 400
    .language:       OpenCL C
    .language_version:
      - 2
      - 0
    .max_flat_workgroup_size: 1024
    .name:           _ZN4vllm25paged_attention_v2_kernelIfhLi256ELi8ELi128ELNS_18Fp8KVCacheDataTypeE1ELb0ELi512EEEvPfS2_PT_PKS3_PKT0_S9_ifPKiSB_iPKfiiiSD_SD_iiiii
    .private_segment_fixed_size: 268
    .sgpr_count:     46
    .sgpr_spill_count: 0
    .symbol:         _ZN4vllm25paged_attention_v2_kernelIfhLi256ELi8ELi128ELNS_18Fp8KVCacheDataTypeE1ELb0ELi512EEEvPfS2_PT_PKS3_PKT0_S9_ifPKiSB_iPKfiiiSD_SD_iiiii.kd
    .uniform_work_group_size: 1
    .uses_dynamic_stack: false
    .vgpr_count:     184
    .vgpr_spill_count: 0
    .wavefront_size: 32
    .workgroup_processor_mode: 1
  - .args:
      - .actual_access:  write_only
        .address_space:  global
        .offset:         0
        .size:           8
        .value_kind:     global_buffer
      - .actual_access:  write_only
        .address_space:  global
        .offset:         8
        .size:           8
        .value_kind:     global_buffer
      - .actual_access:  write_only
        .address_space:  global
        .offset:         16
        .size:           8
        .value_kind:     global_buffer
      - .actual_access:  read_only
        .address_space:  global
        .offset:         24
        .size:           8
        .value_kind:     global_buffer
      - .actual_access:  read_only
        .address_space:  global
        .offset:         32
        .size:           8
        .value_kind:     global_buffer
      - .actual_access:  read_only
        .address_space:  global
        .offset:         40
        .size:           8
        .value_kind:     global_buffer
      - .offset:         48
        .size:           4
        .value_kind:     by_value
      - .offset:         52
        .size:           4
        .value_kind:     by_value
      - .actual_access:  read_only
        .address_space:  global
        .offset:         56
        .size:           8
        .value_kind:     global_buffer
      - .actual_access:  read_only
        .address_space:  global
        .offset:         64
        .size:           8
        .value_kind:     global_buffer
      - .offset:         72
        .size:           4
        .value_kind:     by_value
      - .actual_access:  read_only
        .address_space:  global
        .offset:         80
        .size:           8
        .value_kind:     global_buffer
      - .offset:         88
        .size:           4
        .value_kind:     by_value
      - .offset:         92
        .size:           4
        .value_kind:     by_value
      - .offset:         96
        .size:           4
        .value_kind:     by_value
      - .address_space:  global
        .offset:         104
        .size:           8
        .value_kind:     global_buffer
      - .address_space:  global
        .offset:         112
        .size:           8
        .value_kind:     global_buffer
      - .offset:         120
        .size:           4
        .value_kind:     by_value
      - .offset:         124
        .size:           4
        .value_kind:     by_value
      - .offset:         128
        .size:           4
        .value_kind:     by_value
      - .offset:         132
        .size:           4
        .value_kind:     by_value
      - .offset:         136
        .size:           4
        .value_kind:     by_value
      - .offset:         144
        .size:           4
        .value_kind:     hidden_block_count_x
      - .offset:         148
        .size:           4
        .value_kind:     hidden_block_count_y
      - .offset:         152
        .size:           4
        .value_kind:     hidden_block_count_z
      - .offset:         156
        .size:           2
        .value_kind:     hidden_group_size_x
      - .offset:         158
        .size:           2
        .value_kind:     hidden_group_size_y
      - .offset:         160
        .size:           2
        .value_kind:     hidden_group_size_z
      - .offset:         162
        .size:           2
        .value_kind:     hidden_remainder_x
      - .offset:         164
        .size:           2
        .value_kind:     hidden_remainder_y
      - .offset:         166
        .size:           2
        .value_kind:     hidden_remainder_z
      - .offset:         184
        .size:           8
        .value_kind:     hidden_global_offset_x
      - .offset:         192
        .size:           8
        .value_kind:     hidden_global_offset_y
      - .offset:         200
        .size:           8
        .value_kind:     hidden_global_offset_z
      - .offset:         208
        .size:           2
        .value_kind:     hidden_grid_dims
      - .offset:         264
        .size:           4
        .value_kind:     hidden_dynamic_lds_size
    .group_segment_fixed_size: 160
    .kernarg_segment_align: 8
    .kernarg_segment_size: 400
    .language:       OpenCL C
    .language_version:
      - 2
      - 0
    .max_flat_workgroup_size: 1024
    .name:           _ZN4vllm25paged_attention_v2_kernelIfhLi32ELi16ELi128ELNS_18Fp8KVCacheDataTypeE1ELb1ELi512EEEvPfS2_PT_PKS3_PKT0_S9_ifPKiSB_iPKfiiiSD_SD_iiiii
    .private_segment_fixed_size: 0
    .sgpr_count:     58
    .sgpr_spill_count: 0
    .symbol:         _ZN4vllm25paged_attention_v2_kernelIfhLi32ELi16ELi128ELNS_18Fp8KVCacheDataTypeE1ELb1ELi512EEEvPfS2_PT_PKS3_PKT0_S9_ifPKiSB_iPKfiiiSD_SD_iiiii.kd
    .uniform_work_group_size: 1
    .uses_dynamic_stack: false
    .vgpr_count:     74
    .vgpr_spill_count: 0
    .wavefront_size: 32
    .workgroup_processor_mode: 1
  - .args:
      - .actual_access:  write_only
        .address_space:  global
        .offset:         0
        .size:           8
        .value_kind:     global_buffer
      - .actual_access:  write_only
        .address_space:  global
        .offset:         8
        .size:           8
        .value_kind:     global_buffer
      - .actual_access:  write_only
        .address_space:  global
        .offset:         16
        .size:           8
        .value_kind:     global_buffer
      - .actual_access:  read_only
        .address_space:  global
        .offset:         24
        .size:           8
        .value_kind:     global_buffer
      - .actual_access:  read_only
        .address_space:  global
        .offset:         32
        .size:           8
        .value_kind:     global_buffer
      - .actual_access:  read_only
        .address_space:  global
        .offset:         40
        .size:           8
        .value_kind:     global_buffer
      - .offset:         48
        .size:           4
        .value_kind:     by_value
      - .offset:         52
        .size:           4
        .value_kind:     by_value
      - .actual_access:  read_only
        .address_space:  global
        .offset:         56
        .size:           8
        .value_kind:     global_buffer
      - .actual_access:  read_only
        .address_space:  global
        .offset:         64
        .size:           8
        .value_kind:     global_buffer
      - .offset:         72
        .size:           4
        .value_kind:     by_value
      - .actual_access:  read_only
        .address_space:  global
        .offset:         80
        .size:           8
        .value_kind:     global_buffer
      - .offset:         88
        .size:           4
        .value_kind:     by_value
      - .offset:         92
        .size:           4
        .value_kind:     by_value
      - .offset:         96
        .size:           4
        .value_kind:     by_value
      - .address_space:  global
        .offset:         104
        .size:           8
        .value_kind:     global_buffer
      - .address_space:  global
        .offset:         112
        .size:           8
        .value_kind:     global_buffer
      - .offset:         120
        .size:           4
        .value_kind:     by_value
      - .offset:         124
        .size:           4
        .value_kind:     by_value
      - .offset:         128
        .size:           4
        .value_kind:     by_value
      - .offset:         132
        .size:           4
        .value_kind:     by_value
      - .offset:         136
        .size:           4
        .value_kind:     by_value
      - .offset:         144
        .size:           4
        .value_kind:     hidden_block_count_x
      - .offset:         148
        .size:           4
        .value_kind:     hidden_block_count_y
      - .offset:         152
        .size:           4
        .value_kind:     hidden_block_count_z
      - .offset:         156
        .size:           2
        .value_kind:     hidden_group_size_x
      - .offset:         158
        .size:           2
        .value_kind:     hidden_group_size_y
      - .offset:         160
        .size:           2
        .value_kind:     hidden_group_size_z
      - .offset:         162
        .size:           2
        .value_kind:     hidden_remainder_x
      - .offset:         164
        .size:           2
        .value_kind:     hidden_remainder_y
      - .offset:         166
        .size:           2
        .value_kind:     hidden_remainder_z
      - .offset:         184
        .size:           8
        .value_kind:     hidden_global_offset_x
      - .offset:         192
        .size:           8
        .value_kind:     hidden_global_offset_y
      - .offset:         200
        .size:           8
        .value_kind:     hidden_global_offset_z
      - .offset:         208
        .size:           2
        .value_kind:     hidden_grid_dims
      - .offset:         264
        .size:           4
        .value_kind:     hidden_dynamic_lds_size
    .group_segment_fixed_size: 288
    .kernarg_segment_align: 8
    .kernarg_segment_size: 400
    .language:       OpenCL C
    .language_version:
      - 2
      - 0
    .max_flat_workgroup_size: 1024
    .name:           _ZN4vllm25paged_attention_v2_kernelIfhLi64ELi16ELi128ELNS_18Fp8KVCacheDataTypeE1ELb1ELi512EEEvPfS2_PT_PKS3_PKT0_S9_ifPKiSB_iPKfiiiSD_SD_iiiii
    .private_segment_fixed_size: 0
    .sgpr_count:     59
    .sgpr_spill_count: 0
    .symbol:         _ZN4vllm25paged_attention_v2_kernelIfhLi64ELi16ELi128ELNS_18Fp8KVCacheDataTypeE1ELb1ELi512EEEvPfS2_PT_PKS3_PKT0_S9_ifPKiSB_iPKfiiiSD_SD_iiiii.kd
    .uniform_work_group_size: 1
    .uses_dynamic_stack: false
    .vgpr_count:     122
    .vgpr_spill_count: 0
    .wavefront_size: 32
    .workgroup_processor_mode: 1
  - .args:
      - .actual_access:  write_only
        .address_space:  global
        .offset:         0
        .size:           8
        .value_kind:     global_buffer
      - .actual_access:  write_only
        .address_space:  global
        .offset:         8
        .size:           8
        .value_kind:     global_buffer
      - .actual_access:  write_only
        .address_space:  global
        .offset:         16
        .size:           8
        .value_kind:     global_buffer
      - .actual_access:  read_only
        .address_space:  global
        .offset:         24
        .size:           8
        .value_kind:     global_buffer
      - .actual_access:  read_only
        .address_space:  global
        .offset:         32
        .size:           8
        .value_kind:     global_buffer
      - .actual_access:  read_only
        .address_space:  global
        .offset:         40
        .size:           8
        .value_kind:     global_buffer
      - .offset:         48
        .size:           4
        .value_kind:     by_value
      - .offset:         52
        .size:           4
        .value_kind:     by_value
      - .actual_access:  read_only
        .address_space:  global
        .offset:         56
        .size:           8
        .value_kind:     global_buffer
      - .actual_access:  read_only
        .address_space:  global
        .offset:         64
        .size:           8
        .value_kind:     global_buffer
      - .offset:         72
        .size:           4
        .value_kind:     by_value
      - .actual_access:  read_only
        .address_space:  global
        .offset:         80
        .size:           8
        .value_kind:     global_buffer
      - .offset:         88
        .size:           4
        .value_kind:     by_value
      - .offset:         92
        .size:           4
        .value_kind:     by_value
      - .offset:         96
        .size:           4
        .value_kind:     by_value
      - .address_space:  global
        .offset:         104
        .size:           8
        .value_kind:     global_buffer
      - .address_space:  global
        .offset:         112
        .size:           8
        .value_kind:     global_buffer
      - .offset:         120
        .size:           4
        .value_kind:     by_value
      - .offset:         124
        .size:           4
        .value_kind:     by_value
      - .offset:         128
        .size:           4
        .value_kind:     by_value
      - .offset:         132
        .size:           4
        .value_kind:     by_value
      - .offset:         136
        .size:           4
        .value_kind:     by_value
      - .offset:         144
        .size:           4
        .value_kind:     hidden_block_count_x
      - .offset:         148
        .size:           4
        .value_kind:     hidden_block_count_y
      - .offset:         152
        .size:           4
        .value_kind:     hidden_block_count_z
      - .offset:         156
        .size:           2
        .value_kind:     hidden_group_size_x
      - .offset:         158
        .size:           2
        .value_kind:     hidden_group_size_y
      - .offset:         160
        .size:           2
        .value_kind:     hidden_group_size_z
      - .offset:         162
        .size:           2
        .value_kind:     hidden_remainder_x
      - .offset:         164
        .size:           2
        .value_kind:     hidden_remainder_y
      - .offset:         166
        .size:           2
        .value_kind:     hidden_remainder_z
      - .offset:         184
        .size:           8
        .value_kind:     hidden_global_offset_x
      - .offset:         192
        .size:           8
        .value_kind:     hidden_global_offset_y
      - .offset:         200
        .size:           8
        .value_kind:     hidden_global_offset_z
      - .offset:         208
        .size:           2
        .value_kind:     hidden_grid_dims
      - .offset:         264
        .size:           4
        .value_kind:     hidden_dynamic_lds_size
    .group_segment_fixed_size: 352
    .kernarg_segment_align: 8
    .kernarg_segment_size: 400
    .language:       OpenCL C
    .language_version:
      - 2
      - 0
    .max_flat_workgroup_size: 1024
    .name:           _ZN4vllm25paged_attention_v2_kernelIfhLi80ELi16ELi128ELNS_18Fp8KVCacheDataTypeE1ELb1ELi512EEEvPfS2_PT_PKS3_PKT0_S9_ifPKiSB_iPKfiiiSD_SD_iiiii
    .private_segment_fixed_size: 0
    .sgpr_count:     58
    .sgpr_spill_count: 0
    .symbol:         _ZN4vllm25paged_attention_v2_kernelIfhLi80ELi16ELi128ELNS_18Fp8KVCacheDataTypeE1ELb1ELi512EEEvPfS2_PT_PKS3_PKT0_S9_ifPKiSB_iPKfiiiSD_SD_iiiii.kd
    .uniform_work_group_size: 1
    .uses_dynamic_stack: false
    .vgpr_count:     146
    .vgpr_spill_count: 0
    .wavefront_size: 32
    .workgroup_processor_mode: 1
  - .args:
      - .actual_access:  write_only
        .address_space:  global
        .offset:         0
        .size:           8
        .value_kind:     global_buffer
      - .actual_access:  write_only
        .address_space:  global
        .offset:         8
        .size:           8
        .value_kind:     global_buffer
      - .actual_access:  write_only
        .address_space:  global
        .offset:         16
        .size:           8
        .value_kind:     global_buffer
      - .actual_access:  read_only
        .address_space:  global
        .offset:         24
        .size:           8
        .value_kind:     global_buffer
      - .actual_access:  read_only
        .address_space:  global
        .offset:         32
        .size:           8
        .value_kind:     global_buffer
      - .actual_access:  read_only
        .address_space:  global
        .offset:         40
        .size:           8
        .value_kind:     global_buffer
      - .offset:         48
        .size:           4
        .value_kind:     by_value
      - .offset:         52
        .size:           4
        .value_kind:     by_value
      - .actual_access:  read_only
        .address_space:  global
        .offset:         56
        .size:           8
        .value_kind:     global_buffer
      - .actual_access:  read_only
        .address_space:  global
        .offset:         64
        .size:           8
        .value_kind:     global_buffer
      - .offset:         72
        .size:           4
        .value_kind:     by_value
      - .actual_access:  read_only
        .address_space:  global
        .offset:         80
        .size:           8
        .value_kind:     global_buffer
      - .offset:         88
        .size:           4
        .value_kind:     by_value
      - .offset:         92
        .size:           4
        .value_kind:     by_value
      - .offset:         96
        .size:           4
        .value_kind:     by_value
      - .address_space:  global
        .offset:         104
        .size:           8
        .value_kind:     global_buffer
      - .address_space:  global
        .offset:         112
        .size:           8
        .value_kind:     global_buffer
      - .offset:         120
        .size:           4
        .value_kind:     by_value
      - .offset:         124
        .size:           4
        .value_kind:     by_value
      - .offset:         128
        .size:           4
        .value_kind:     by_value
      - .offset:         132
        .size:           4
        .value_kind:     by_value
      - .offset:         136
        .size:           4
        .value_kind:     by_value
      - .offset:         144
        .size:           4
        .value_kind:     hidden_block_count_x
      - .offset:         148
        .size:           4
        .value_kind:     hidden_block_count_y
      - .offset:         152
        .size:           4
        .value_kind:     hidden_block_count_z
      - .offset:         156
        .size:           2
        .value_kind:     hidden_group_size_x
      - .offset:         158
        .size:           2
        .value_kind:     hidden_group_size_y
      - .offset:         160
        .size:           2
        .value_kind:     hidden_group_size_z
      - .offset:         162
        .size:           2
        .value_kind:     hidden_remainder_x
      - .offset:         164
        .size:           2
        .value_kind:     hidden_remainder_y
      - .offset:         166
        .size:           2
        .value_kind:     hidden_remainder_z
      - .offset:         184
        .size:           8
        .value_kind:     hidden_global_offset_x
      - .offset:         192
        .size:           8
        .value_kind:     hidden_global_offset_y
      - .offset:         200
        .size:           8
        .value_kind:     hidden_global_offset_z
      - .offset:         208
        .size:           2
        .value_kind:     hidden_grid_dims
      - .offset:         264
        .size:           4
        .value_kind:     hidden_dynamic_lds_size
    .group_segment_fixed_size: 416
    .kernarg_segment_align: 8
    .kernarg_segment_size: 400
    .language:       OpenCL C
    .language_version:
      - 2
      - 0
    .max_flat_workgroup_size: 1024
    .name:           _ZN4vllm25paged_attention_v2_kernelIfhLi96ELi16ELi128ELNS_18Fp8KVCacheDataTypeE1ELb1ELi512EEEvPfS2_PT_PKS3_PKT0_S9_ifPKiSB_iPKfiiiSD_SD_iiiii
    .private_segment_fixed_size: 0
    .sgpr_count:     58
    .sgpr_spill_count: 0
    .symbol:         _ZN4vllm25paged_attention_v2_kernelIfhLi96ELi16ELi128ELNS_18Fp8KVCacheDataTypeE1ELb1ELi512EEEvPfS2_PT_PKS3_PKT0_S9_ifPKiSB_iPKfiiiSD_SD_iiiii.kd
    .uniform_work_group_size: 1
    .uses_dynamic_stack: false
    .vgpr_count:     170
    .vgpr_spill_count: 0
    .wavefront_size: 32
    .workgroup_processor_mode: 1
  - .args:
      - .actual_access:  write_only
        .address_space:  global
        .offset:         0
        .size:           8
        .value_kind:     global_buffer
      - .actual_access:  write_only
        .address_space:  global
        .offset:         8
        .size:           8
        .value_kind:     global_buffer
      - .actual_access:  write_only
        .address_space:  global
        .offset:         16
        .size:           8
        .value_kind:     global_buffer
      - .actual_access:  read_only
        .address_space:  global
        .offset:         24
        .size:           8
        .value_kind:     global_buffer
      - .actual_access:  read_only
        .address_space:  global
        .offset:         32
        .size:           8
        .value_kind:     global_buffer
      - .actual_access:  read_only
        .address_space:  global
        .offset:         40
        .size:           8
        .value_kind:     global_buffer
      - .offset:         48
        .size:           4
        .value_kind:     by_value
      - .offset:         52
        .size:           4
        .value_kind:     by_value
      - .actual_access:  read_only
        .address_space:  global
        .offset:         56
        .size:           8
        .value_kind:     global_buffer
      - .actual_access:  read_only
        .address_space:  global
        .offset:         64
        .size:           8
        .value_kind:     global_buffer
      - .offset:         72
        .size:           4
        .value_kind:     by_value
      - .address_space:  global
        .offset:         80
        .size:           8
        .value_kind:     global_buffer
      - .offset:         88
        .size:           4
        .value_kind:     by_value
      - .offset:         92
        .size:           4
        .value_kind:     by_value
      - .offset:         96
        .size:           4
        .value_kind:     by_value
      - .address_space:  global
        .offset:         104
        .size:           8
        .value_kind:     global_buffer
      - .address_space:  global
        .offset:         112
        .size:           8
        .value_kind:     global_buffer
      - .offset:         120
        .size:           4
        .value_kind:     by_value
      - .offset:         124
        .size:           4
        .value_kind:     by_value
      - .offset:         128
        .size:           4
        .value_kind:     by_value
      - .offset:         132
        .size:           4
        .value_kind:     by_value
      - .offset:         136
        .size:           4
        .value_kind:     by_value
      - .offset:         144
        .size:           4
        .value_kind:     hidden_block_count_x
      - .offset:         148
        .size:           4
        .value_kind:     hidden_block_count_y
      - .offset:         152
        .size:           4
        .value_kind:     hidden_block_count_z
      - .offset:         156
        .size:           2
        .value_kind:     hidden_group_size_x
      - .offset:         158
        .size:           2
        .value_kind:     hidden_group_size_y
      - .offset:         160
        .size:           2
        .value_kind:     hidden_group_size_z
      - .offset:         162
        .size:           2
        .value_kind:     hidden_remainder_x
      - .offset:         164
        .size:           2
        .value_kind:     hidden_remainder_y
      - .offset:         166
        .size:           2
        .value_kind:     hidden_remainder_z
      - .offset:         184
        .size:           8
        .value_kind:     hidden_global_offset_x
      - .offset:         192
        .size:           8
        .value_kind:     hidden_global_offset_y
      - .offset:         200
        .size:           8
        .value_kind:     hidden_global_offset_z
      - .offset:         208
        .size:           2
        .value_kind:     hidden_grid_dims
      - .offset:         264
        .size:           4
        .value_kind:     hidden_dynamic_lds_size
    .group_segment_fixed_size: 480
    .kernarg_segment_align: 8
    .kernarg_segment_size: 400
    .language:       OpenCL C
    .language_version:
      - 2
      - 0
    .max_flat_workgroup_size: 1024
    .name:           _ZN4vllm25paged_attention_v2_kernelIfhLi112ELi16ELi128ELNS_18Fp8KVCacheDataTypeE1ELb1ELi512EEEvPfS2_PT_PKS3_PKT0_S9_ifPKiSB_iPKfiiiSD_SD_iiiii
    .private_segment_fixed_size: 448
    .sgpr_count:     46
    .sgpr_spill_count: 0
    .symbol:         _ZN4vllm25paged_attention_v2_kernelIfhLi112ELi16ELi128ELNS_18Fp8KVCacheDataTypeE1ELb1ELi512EEEvPfS2_PT_PKS3_PKT0_S9_ifPKiSB_iPKfiiiSD_SD_iiiii.kd
    .uniform_work_group_size: 1
    .uses_dynamic_stack: false
    .vgpr_count:     192
    .vgpr_spill_count: 0
    .wavefront_size: 32
    .workgroup_processor_mode: 1
  - .args:
      - .actual_access:  write_only
        .address_space:  global
        .offset:         0
        .size:           8
        .value_kind:     global_buffer
      - .actual_access:  write_only
        .address_space:  global
        .offset:         8
        .size:           8
        .value_kind:     global_buffer
      - .actual_access:  write_only
        .address_space:  global
        .offset:         16
        .size:           8
        .value_kind:     global_buffer
      - .actual_access:  read_only
        .address_space:  global
        .offset:         24
        .size:           8
        .value_kind:     global_buffer
      - .actual_access:  read_only
        .address_space:  global
        .offset:         32
        .size:           8
        .value_kind:     global_buffer
      - .actual_access:  read_only
        .address_space:  global
        .offset:         40
        .size:           8
        .value_kind:     global_buffer
      - .offset:         48
        .size:           4
        .value_kind:     by_value
      - .offset:         52
        .size:           4
        .value_kind:     by_value
      - .actual_access:  read_only
        .address_space:  global
        .offset:         56
        .size:           8
        .value_kind:     global_buffer
      - .actual_access:  read_only
        .address_space:  global
        .offset:         64
        .size:           8
        .value_kind:     global_buffer
      - .offset:         72
        .size:           4
        .value_kind:     by_value
      - .address_space:  global
        .offset:         80
        .size:           8
        .value_kind:     global_buffer
      - .offset:         88
        .size:           4
        .value_kind:     by_value
      - .offset:         92
        .size:           4
        .value_kind:     by_value
      - .offset:         96
        .size:           4
        .value_kind:     by_value
      - .address_space:  global
        .offset:         104
        .size:           8
        .value_kind:     global_buffer
      - .address_space:  global
        .offset:         112
        .size:           8
        .value_kind:     global_buffer
      - .offset:         120
        .size:           4
        .value_kind:     by_value
      - .offset:         124
        .size:           4
        .value_kind:     by_value
      - .offset:         128
        .size:           4
        .value_kind:     by_value
      - .offset:         132
        .size:           4
        .value_kind:     by_value
      - .offset:         136
        .size:           4
        .value_kind:     by_value
      - .offset:         144
        .size:           4
        .value_kind:     hidden_block_count_x
      - .offset:         148
        .size:           4
        .value_kind:     hidden_block_count_y
      - .offset:         152
        .size:           4
        .value_kind:     hidden_block_count_z
      - .offset:         156
        .size:           2
        .value_kind:     hidden_group_size_x
      - .offset:         158
        .size:           2
        .value_kind:     hidden_group_size_y
      - .offset:         160
        .size:           2
        .value_kind:     hidden_group_size_z
      - .offset:         162
        .size:           2
        .value_kind:     hidden_remainder_x
      - .offset:         164
        .size:           2
        .value_kind:     hidden_remainder_y
      - .offset:         166
        .size:           2
        .value_kind:     hidden_remainder_z
      - .offset:         184
        .size:           8
        .value_kind:     hidden_global_offset_x
      - .offset:         192
        .size:           8
        .value_kind:     hidden_global_offset_y
      - .offset:         200
        .size:           8
        .value_kind:     hidden_global_offset_z
      - .offset:         208
        .size:           2
        .value_kind:     hidden_grid_dims
      - .offset:         264
        .size:           4
        .value_kind:     hidden_dynamic_lds_size
    .group_segment_fixed_size: 512
    .kernarg_segment_align: 8
    .kernarg_segment_size: 400
    .language:       OpenCL C
    .language_version:
      - 2
      - 0
    .max_flat_workgroup_size: 1024
    .name:           _ZN4vllm25paged_attention_v2_kernelIfhLi120ELi16ELi128ELNS_18Fp8KVCacheDataTypeE1ELb1ELi512EEEvPfS2_PT_PKS3_PKT0_S9_ifPKiSB_iPKfiiiSD_SD_iiiii
    .private_segment_fixed_size: 476
    .sgpr_count:     46
    .sgpr_spill_count: 0
    .symbol:         _ZN4vllm25paged_attention_v2_kernelIfhLi120ELi16ELi128ELNS_18Fp8KVCacheDataTypeE1ELb1ELi512EEEvPfS2_PT_PKS3_PKT0_S9_ifPKiSB_iPKfiiiSD_SD_iiiii.kd
    .uniform_work_group_size: 1
    .uses_dynamic_stack: false
    .vgpr_count:     192
    .vgpr_spill_count: 0
    .wavefront_size: 32
    .workgroup_processor_mode: 1
  - .args:
      - .actual_access:  write_only
        .address_space:  global
        .offset:         0
        .size:           8
        .value_kind:     global_buffer
      - .actual_access:  write_only
        .address_space:  global
        .offset:         8
        .size:           8
        .value_kind:     global_buffer
      - .actual_access:  write_only
        .address_space:  global
        .offset:         16
        .size:           8
        .value_kind:     global_buffer
      - .actual_access:  read_only
        .address_space:  global
        .offset:         24
        .size:           8
        .value_kind:     global_buffer
      - .actual_access:  read_only
        .address_space:  global
        .offset:         32
        .size:           8
        .value_kind:     global_buffer
      - .actual_access:  read_only
        .address_space:  global
        .offset:         40
        .size:           8
        .value_kind:     global_buffer
      - .offset:         48
        .size:           4
        .value_kind:     by_value
      - .offset:         52
        .size:           4
        .value_kind:     by_value
      - .actual_access:  read_only
        .address_space:  global
        .offset:         56
        .size:           8
        .value_kind:     global_buffer
      - .actual_access:  read_only
        .address_space:  global
        .offset:         64
        .size:           8
        .value_kind:     global_buffer
      - .offset:         72
        .size:           4
        .value_kind:     by_value
      - .address_space:  global
        .offset:         80
        .size:           8
        .value_kind:     global_buffer
      - .offset:         88
        .size:           4
        .value_kind:     by_value
      - .offset:         92
        .size:           4
        .value_kind:     by_value
      - .offset:         96
        .size:           4
        .value_kind:     by_value
      - .address_space:  global
        .offset:         104
        .size:           8
        .value_kind:     global_buffer
      - .address_space:  global
        .offset:         112
        .size:           8
        .value_kind:     global_buffer
      - .offset:         120
        .size:           4
        .value_kind:     by_value
      - .offset:         124
        .size:           4
        .value_kind:     by_value
      - .offset:         128
        .size:           4
        .value_kind:     by_value
      - .offset:         132
        .size:           4
        .value_kind:     by_value
      - .offset:         136
        .size:           4
        .value_kind:     by_value
      - .offset:         144
        .size:           4
        .value_kind:     hidden_block_count_x
      - .offset:         148
        .size:           4
        .value_kind:     hidden_block_count_y
      - .offset:         152
        .size:           4
        .value_kind:     hidden_block_count_z
      - .offset:         156
        .size:           2
        .value_kind:     hidden_group_size_x
      - .offset:         158
        .size:           2
        .value_kind:     hidden_group_size_y
      - .offset:         160
        .size:           2
        .value_kind:     hidden_group_size_z
      - .offset:         162
        .size:           2
        .value_kind:     hidden_remainder_x
      - .offset:         164
        .size:           2
        .value_kind:     hidden_remainder_y
      - .offset:         166
        .size:           2
        .value_kind:     hidden_remainder_z
      - .offset:         184
        .size:           8
        .value_kind:     hidden_global_offset_x
      - .offset:         192
        .size:           8
        .value_kind:     hidden_global_offset_y
      - .offset:         200
        .size:           8
        .value_kind:     hidden_global_offset_z
      - .offset:         208
        .size:           2
        .value_kind:     hidden_grid_dims
      - .offset:         264
        .size:           4
        .value_kind:     hidden_dynamic_lds_size
    .group_segment_fixed_size: 544
    .kernarg_segment_align: 8
    .kernarg_segment_size: 400
    .language:       OpenCL C
    .language_version:
      - 2
      - 0
    .max_flat_workgroup_size: 1024
    .name:           _ZN4vllm25paged_attention_v2_kernelIfhLi128ELi16ELi128ELNS_18Fp8KVCacheDataTypeE1ELb1ELi512EEEvPfS2_PT_PKS3_PKT0_S9_ifPKiSB_iPKfiiiSD_SD_iiiii
    .private_segment_fixed_size: 520
    .sgpr_count:     46
    .sgpr_spill_count: 0
    .symbol:         _ZN4vllm25paged_attention_v2_kernelIfhLi128ELi16ELi128ELNS_18Fp8KVCacheDataTypeE1ELb1ELi512EEEvPfS2_PT_PKS3_PKT0_S9_ifPKiSB_iPKfiiiSD_SD_iiiii.kd
    .uniform_work_group_size: 1
    .uses_dynamic_stack: false
    .vgpr_count:     192
    .vgpr_spill_count: 0
    .wavefront_size: 32
    .workgroup_processor_mode: 1
  - .args:
      - .actual_access:  write_only
        .address_space:  global
        .offset:         0
        .size:           8
        .value_kind:     global_buffer
      - .actual_access:  write_only
        .address_space:  global
        .offset:         8
        .size:           8
        .value_kind:     global_buffer
      - .actual_access:  write_only
        .address_space:  global
        .offset:         16
        .size:           8
        .value_kind:     global_buffer
      - .actual_access:  read_only
        .address_space:  global
        .offset:         24
        .size:           8
        .value_kind:     global_buffer
      - .actual_access:  read_only
        .address_space:  global
        .offset:         32
        .size:           8
        .value_kind:     global_buffer
      - .actual_access:  read_only
        .address_space:  global
        .offset:         40
        .size:           8
        .value_kind:     global_buffer
      - .offset:         48
        .size:           4
        .value_kind:     by_value
      - .offset:         52
        .size:           4
        .value_kind:     by_value
      - .actual_access:  read_only
        .address_space:  global
        .offset:         56
        .size:           8
        .value_kind:     global_buffer
      - .actual_access:  read_only
        .address_space:  global
        .offset:         64
        .size:           8
        .value_kind:     global_buffer
      - .offset:         72
        .size:           4
        .value_kind:     by_value
      - .address_space:  global
        .offset:         80
        .size:           8
        .value_kind:     global_buffer
      - .offset:         88
        .size:           4
        .value_kind:     by_value
      - .offset:         92
        .size:           4
        .value_kind:     by_value
      - .offset:         96
        .size:           4
        .value_kind:     by_value
      - .address_space:  global
        .offset:         104
        .size:           8
        .value_kind:     global_buffer
      - .address_space:  global
        .offset:         112
        .size:           8
        .value_kind:     global_buffer
      - .offset:         120
        .size:           4
        .value_kind:     by_value
      - .offset:         124
        .size:           4
        .value_kind:     by_value
      - .offset:         128
        .size:           4
        .value_kind:     by_value
      - .offset:         132
        .size:           4
        .value_kind:     by_value
      - .offset:         136
        .size:           4
        .value_kind:     by_value
      - .offset:         144
        .size:           4
        .value_kind:     hidden_block_count_x
      - .offset:         148
        .size:           4
        .value_kind:     hidden_block_count_y
      - .offset:         152
        .size:           4
        .value_kind:     hidden_block_count_z
      - .offset:         156
        .size:           2
        .value_kind:     hidden_group_size_x
      - .offset:         158
        .size:           2
        .value_kind:     hidden_group_size_y
      - .offset:         160
        .size:           2
        .value_kind:     hidden_group_size_z
      - .offset:         162
        .size:           2
        .value_kind:     hidden_remainder_x
      - .offset:         164
        .size:           2
        .value_kind:     hidden_remainder_y
      - .offset:         166
        .size:           2
        .value_kind:     hidden_remainder_z
      - .offset:         184
        .size:           8
        .value_kind:     hidden_global_offset_x
      - .offset:         192
        .size:           8
        .value_kind:     hidden_global_offset_y
      - .offset:         200
        .size:           8
        .value_kind:     hidden_global_offset_z
      - .offset:         208
        .size:           2
        .value_kind:     hidden_grid_dims
      - .offset:         264
        .size:           4
        .value_kind:     hidden_dynamic_lds_size
    .group_segment_fixed_size: 800
    .kernarg_segment_align: 8
    .kernarg_segment_size: 400
    .language:       OpenCL C
    .language_version:
      - 2
      - 0
    .max_flat_workgroup_size: 1024
    .name:           _ZN4vllm25paged_attention_v2_kernelIfhLi192ELi16ELi128ELNS_18Fp8KVCacheDataTypeE1ELb1ELi512EEEvPfS2_PT_PKS3_PKT0_S9_ifPKiSB_iPKfiiiSD_SD_iiiii
    .private_segment_fixed_size: 764
    .sgpr_count:     46
    .sgpr_spill_count: 0
    .symbol:         _ZN4vllm25paged_attention_v2_kernelIfhLi192ELi16ELi128ELNS_18Fp8KVCacheDataTypeE1ELb1ELi512EEEvPfS2_PT_PKS3_PKT0_S9_ifPKiSB_iPKfiiiSD_SD_iiiii.kd
    .uniform_work_group_size: 1
    .uses_dynamic_stack: false
    .vgpr_count:     192
    .vgpr_spill_count: 0
    .wavefront_size: 32
    .workgroup_processor_mode: 1
  - .args:
      - .actual_access:  write_only
        .address_space:  global
        .offset:         0
        .size:           8
        .value_kind:     global_buffer
      - .actual_access:  write_only
        .address_space:  global
        .offset:         8
        .size:           8
        .value_kind:     global_buffer
      - .actual_access:  write_only
        .address_space:  global
        .offset:         16
        .size:           8
        .value_kind:     global_buffer
      - .actual_access:  read_only
        .address_space:  global
        .offset:         24
        .size:           8
        .value_kind:     global_buffer
      - .actual_access:  read_only
        .address_space:  global
        .offset:         32
        .size:           8
        .value_kind:     global_buffer
      - .actual_access:  read_only
        .address_space:  global
        .offset:         40
        .size:           8
        .value_kind:     global_buffer
      - .offset:         48
        .size:           4
        .value_kind:     by_value
      - .offset:         52
        .size:           4
        .value_kind:     by_value
      - .actual_access:  read_only
        .address_space:  global
        .offset:         56
        .size:           8
        .value_kind:     global_buffer
      - .actual_access:  read_only
        .address_space:  global
        .offset:         64
        .size:           8
        .value_kind:     global_buffer
      - .offset:         72
        .size:           4
        .value_kind:     by_value
      - .address_space:  global
        .offset:         80
        .size:           8
        .value_kind:     global_buffer
      - .offset:         88
        .size:           4
        .value_kind:     by_value
      - .offset:         92
        .size:           4
        .value_kind:     by_value
      - .offset:         96
        .size:           4
        .value_kind:     by_value
      - .address_space:  global
        .offset:         104
        .size:           8
        .value_kind:     global_buffer
      - .address_space:  global
        .offset:         112
        .size:           8
        .value_kind:     global_buffer
      - .offset:         120
        .size:           4
        .value_kind:     by_value
      - .offset:         124
        .size:           4
        .value_kind:     by_value
      - .offset:         128
        .size:           4
        .value_kind:     by_value
      - .offset:         132
        .size:           4
        .value_kind:     by_value
      - .offset:         136
        .size:           4
        .value_kind:     by_value
      - .offset:         144
        .size:           4
        .value_kind:     hidden_block_count_x
      - .offset:         148
        .size:           4
        .value_kind:     hidden_block_count_y
      - .offset:         152
        .size:           4
        .value_kind:     hidden_block_count_z
      - .offset:         156
        .size:           2
        .value_kind:     hidden_group_size_x
      - .offset:         158
        .size:           2
        .value_kind:     hidden_group_size_y
      - .offset:         160
        .size:           2
        .value_kind:     hidden_group_size_z
      - .offset:         162
        .size:           2
        .value_kind:     hidden_remainder_x
      - .offset:         164
        .size:           2
        .value_kind:     hidden_remainder_y
      - .offset:         166
        .size:           2
        .value_kind:     hidden_remainder_z
      - .offset:         184
        .size:           8
        .value_kind:     hidden_global_offset_x
      - .offset:         192
        .size:           8
        .value_kind:     hidden_global_offset_y
      - .offset:         200
        .size:           8
        .value_kind:     hidden_global_offset_z
      - .offset:         208
        .size:           2
        .value_kind:     hidden_grid_dims
      - .offset:         264
        .size:           4
        .value_kind:     hidden_dynamic_lds_size
    .group_segment_fixed_size: 1056
    .kernarg_segment_align: 8
    .kernarg_segment_size: 400
    .language:       OpenCL C
    .language_version:
      - 2
      - 0
    .max_flat_workgroup_size: 1024
    .name:           _ZN4vllm25paged_attention_v2_kernelIfhLi256ELi16ELi128ELNS_18Fp8KVCacheDataTypeE1ELb1ELi512EEEvPfS2_PT_PKS3_PKT0_S9_ifPKiSB_iPKfiiiSD_SD_iiiii
    .private_segment_fixed_size: 1020
    .sgpr_count:     46
    .sgpr_spill_count: 0
    .symbol:         _ZN4vllm25paged_attention_v2_kernelIfhLi256ELi16ELi128ELNS_18Fp8KVCacheDataTypeE1ELb1ELi512EEEvPfS2_PT_PKS3_PKT0_S9_ifPKiSB_iPKfiiiSD_SD_iiiii.kd
    .uniform_work_group_size: 1
    .uses_dynamic_stack: false
    .vgpr_count:     192
    .vgpr_spill_count: 0
    .wavefront_size: 32
    .workgroup_processor_mode: 1
  - .args:
      - .actual_access:  write_only
        .address_space:  global
        .offset:         0
        .size:           8
        .value_kind:     global_buffer
      - .actual_access:  write_only
        .address_space:  global
        .offset:         8
        .size:           8
        .value_kind:     global_buffer
      - .actual_access:  write_only
        .address_space:  global
        .offset:         16
        .size:           8
        .value_kind:     global_buffer
      - .actual_access:  read_only
        .address_space:  global
        .offset:         24
        .size:           8
        .value_kind:     global_buffer
      - .actual_access:  read_only
        .address_space:  global
        .offset:         32
        .size:           8
        .value_kind:     global_buffer
      - .actual_access:  read_only
        .address_space:  global
        .offset:         40
        .size:           8
        .value_kind:     global_buffer
      - .offset:         48
        .size:           4
        .value_kind:     by_value
      - .offset:         52
        .size:           4
        .value_kind:     by_value
      - .actual_access:  read_only
        .address_space:  global
        .offset:         56
        .size:           8
        .value_kind:     global_buffer
      - .actual_access:  read_only
        .address_space:  global
        .offset:         64
        .size:           8
        .value_kind:     global_buffer
      - .offset:         72
        .size:           4
        .value_kind:     by_value
      - .actual_access:  read_only
        .address_space:  global
        .offset:         80
        .size:           8
        .value_kind:     global_buffer
      - .offset:         88
        .size:           4
        .value_kind:     by_value
      - .offset:         92
        .size:           4
        .value_kind:     by_value
      - .offset:         96
        .size:           4
        .value_kind:     by_value
      - .address_space:  global
        .offset:         104
        .size:           8
        .value_kind:     global_buffer
      - .address_space:  global
        .offset:         112
        .size:           8
        .value_kind:     global_buffer
      - .offset:         120
        .size:           4
        .value_kind:     by_value
      - .offset:         124
        .size:           4
        .value_kind:     by_value
      - .offset:         128
        .size:           4
        .value_kind:     by_value
      - .offset:         132
        .size:           4
        .value_kind:     by_value
      - .offset:         136
        .size:           4
        .value_kind:     by_value
      - .offset:         144
        .size:           4
        .value_kind:     hidden_block_count_x
      - .offset:         148
        .size:           4
        .value_kind:     hidden_block_count_y
      - .offset:         152
        .size:           4
        .value_kind:     hidden_block_count_z
      - .offset:         156
        .size:           2
        .value_kind:     hidden_group_size_x
      - .offset:         158
        .size:           2
        .value_kind:     hidden_group_size_y
      - .offset:         160
        .size:           2
        .value_kind:     hidden_group_size_z
      - .offset:         162
        .size:           2
        .value_kind:     hidden_remainder_x
      - .offset:         164
        .size:           2
        .value_kind:     hidden_remainder_y
      - .offset:         166
        .size:           2
        .value_kind:     hidden_remainder_z
      - .offset:         184
        .size:           8
        .value_kind:     hidden_global_offset_x
      - .offset:         192
        .size:           8
        .value_kind:     hidden_global_offset_y
      - .offset:         200
        .size:           8
        .value_kind:     hidden_global_offset_z
      - .offset:         208
        .size:           2
        .value_kind:     hidden_grid_dims
      - .offset:         264
        .size:           4
        .value_kind:     hidden_dynamic_lds_size
    .group_segment_fixed_size: 160
    .kernarg_segment_align: 8
    .kernarg_segment_size: 400
    .language:       OpenCL C
    .language_version:
      - 2
      - 0
    .max_flat_workgroup_size: 1024
    .name:           _ZN4vllm25paged_attention_v2_kernelIfhLi32ELi16ELi128ELNS_18Fp8KVCacheDataTypeE1ELb0ELi512EEEvPfS2_PT_PKS3_PKT0_S9_ifPKiSB_iPKfiiiSD_SD_iiiii
    .private_segment_fixed_size: 0
    .sgpr_count:     48
    .sgpr_spill_count: 0
    .symbol:         _ZN4vllm25paged_attention_v2_kernelIfhLi32ELi16ELi128ELNS_18Fp8KVCacheDataTypeE1ELb0ELi512EEEvPfS2_PT_PKS3_PKT0_S9_ifPKiSB_iPKfiiiSD_SD_iiiii.kd
    .uniform_work_group_size: 1
    .uses_dynamic_stack: false
    .vgpr_count:     70
    .vgpr_spill_count: 0
    .wavefront_size: 32
    .workgroup_processor_mode: 1
  - .args:
      - .actual_access:  write_only
        .address_space:  global
        .offset:         0
        .size:           8
        .value_kind:     global_buffer
      - .actual_access:  write_only
        .address_space:  global
        .offset:         8
        .size:           8
        .value_kind:     global_buffer
      - .actual_access:  write_only
        .address_space:  global
        .offset:         16
        .size:           8
        .value_kind:     global_buffer
      - .actual_access:  read_only
        .address_space:  global
        .offset:         24
        .size:           8
        .value_kind:     global_buffer
      - .actual_access:  read_only
        .address_space:  global
        .offset:         32
        .size:           8
        .value_kind:     global_buffer
      - .actual_access:  read_only
        .address_space:  global
        .offset:         40
        .size:           8
        .value_kind:     global_buffer
      - .offset:         48
        .size:           4
        .value_kind:     by_value
      - .offset:         52
        .size:           4
        .value_kind:     by_value
      - .actual_access:  read_only
        .address_space:  global
        .offset:         56
        .size:           8
        .value_kind:     global_buffer
      - .actual_access:  read_only
        .address_space:  global
        .offset:         64
        .size:           8
        .value_kind:     global_buffer
      - .offset:         72
        .size:           4
        .value_kind:     by_value
      - .actual_access:  read_only
        .address_space:  global
        .offset:         80
        .size:           8
        .value_kind:     global_buffer
      - .offset:         88
        .size:           4
        .value_kind:     by_value
      - .offset:         92
        .size:           4
        .value_kind:     by_value
      - .offset:         96
        .size:           4
        .value_kind:     by_value
      - .address_space:  global
        .offset:         104
        .size:           8
        .value_kind:     global_buffer
      - .address_space:  global
        .offset:         112
        .size:           8
        .value_kind:     global_buffer
      - .offset:         120
        .size:           4
        .value_kind:     by_value
      - .offset:         124
        .size:           4
        .value_kind:     by_value
      - .offset:         128
        .size:           4
        .value_kind:     by_value
      - .offset:         132
        .size:           4
        .value_kind:     by_value
      - .offset:         136
        .size:           4
        .value_kind:     by_value
      - .offset:         144
        .size:           4
        .value_kind:     hidden_block_count_x
      - .offset:         148
        .size:           4
        .value_kind:     hidden_block_count_y
      - .offset:         152
        .size:           4
        .value_kind:     hidden_block_count_z
      - .offset:         156
        .size:           2
        .value_kind:     hidden_group_size_x
      - .offset:         158
        .size:           2
        .value_kind:     hidden_group_size_y
      - .offset:         160
        .size:           2
        .value_kind:     hidden_group_size_z
      - .offset:         162
        .size:           2
        .value_kind:     hidden_remainder_x
      - .offset:         164
        .size:           2
        .value_kind:     hidden_remainder_y
      - .offset:         166
        .size:           2
        .value_kind:     hidden_remainder_z
      - .offset:         184
        .size:           8
        .value_kind:     hidden_global_offset_x
      - .offset:         192
        .size:           8
        .value_kind:     hidden_global_offset_y
      - .offset:         200
        .size:           8
        .value_kind:     hidden_global_offset_z
      - .offset:         208
        .size:           2
        .value_kind:     hidden_grid_dims
      - .offset:         264
        .size:           4
        .value_kind:     hidden_dynamic_lds_size
    .group_segment_fixed_size: 288
    .kernarg_segment_align: 8
    .kernarg_segment_size: 400
    .language:       OpenCL C
    .language_version:
      - 2
      - 0
    .max_flat_workgroup_size: 1024
    .name:           _ZN4vllm25paged_attention_v2_kernelIfhLi64ELi16ELi128ELNS_18Fp8KVCacheDataTypeE1ELb0ELi512EEEvPfS2_PT_PKS3_PKT0_S9_ifPKiSB_iPKfiiiSD_SD_iiiii
    .private_segment_fixed_size: 0
    .sgpr_count:     49
    .sgpr_spill_count: 0
    .symbol:         _ZN4vllm25paged_attention_v2_kernelIfhLi64ELi16ELi128ELNS_18Fp8KVCacheDataTypeE1ELb0ELi512EEEvPfS2_PT_PKS3_PKT0_S9_ifPKiSB_iPKfiiiSD_SD_iiiii.kd
    .uniform_work_group_size: 1
    .uses_dynamic_stack: false
    .vgpr_count:     118
    .vgpr_spill_count: 0
    .wavefront_size: 32
    .workgroup_processor_mode: 1
  - .args:
      - .actual_access:  write_only
        .address_space:  global
        .offset:         0
        .size:           8
        .value_kind:     global_buffer
      - .actual_access:  write_only
        .address_space:  global
        .offset:         8
        .size:           8
        .value_kind:     global_buffer
      - .actual_access:  write_only
        .address_space:  global
        .offset:         16
        .size:           8
        .value_kind:     global_buffer
      - .actual_access:  read_only
        .address_space:  global
        .offset:         24
        .size:           8
        .value_kind:     global_buffer
      - .actual_access:  read_only
        .address_space:  global
        .offset:         32
        .size:           8
        .value_kind:     global_buffer
      - .actual_access:  read_only
        .address_space:  global
        .offset:         40
        .size:           8
        .value_kind:     global_buffer
      - .offset:         48
        .size:           4
        .value_kind:     by_value
      - .offset:         52
        .size:           4
        .value_kind:     by_value
      - .actual_access:  read_only
        .address_space:  global
        .offset:         56
        .size:           8
        .value_kind:     global_buffer
      - .actual_access:  read_only
        .address_space:  global
        .offset:         64
        .size:           8
        .value_kind:     global_buffer
      - .offset:         72
        .size:           4
        .value_kind:     by_value
      - .actual_access:  read_only
        .address_space:  global
        .offset:         80
        .size:           8
        .value_kind:     global_buffer
      - .offset:         88
        .size:           4
        .value_kind:     by_value
      - .offset:         92
        .size:           4
        .value_kind:     by_value
      - .offset:         96
        .size:           4
        .value_kind:     by_value
      - .address_space:  global
        .offset:         104
        .size:           8
        .value_kind:     global_buffer
      - .address_space:  global
        .offset:         112
        .size:           8
        .value_kind:     global_buffer
      - .offset:         120
        .size:           4
        .value_kind:     by_value
      - .offset:         124
        .size:           4
        .value_kind:     by_value
      - .offset:         128
        .size:           4
        .value_kind:     by_value
      - .offset:         132
        .size:           4
        .value_kind:     by_value
      - .offset:         136
        .size:           4
        .value_kind:     by_value
      - .offset:         144
        .size:           4
        .value_kind:     hidden_block_count_x
      - .offset:         148
        .size:           4
        .value_kind:     hidden_block_count_y
      - .offset:         152
        .size:           4
        .value_kind:     hidden_block_count_z
      - .offset:         156
        .size:           2
        .value_kind:     hidden_group_size_x
      - .offset:         158
        .size:           2
        .value_kind:     hidden_group_size_y
      - .offset:         160
        .size:           2
        .value_kind:     hidden_group_size_z
      - .offset:         162
        .size:           2
        .value_kind:     hidden_remainder_x
      - .offset:         164
        .size:           2
        .value_kind:     hidden_remainder_y
      - .offset:         166
        .size:           2
        .value_kind:     hidden_remainder_z
      - .offset:         184
        .size:           8
        .value_kind:     hidden_global_offset_x
      - .offset:         192
        .size:           8
        .value_kind:     hidden_global_offset_y
      - .offset:         200
        .size:           8
        .value_kind:     hidden_global_offset_z
      - .offset:         208
        .size:           2
        .value_kind:     hidden_grid_dims
      - .offset:         264
        .size:           4
        .value_kind:     hidden_dynamic_lds_size
    .group_segment_fixed_size: 352
    .kernarg_segment_align: 8
    .kernarg_segment_size: 400
    .language:       OpenCL C
    .language_version:
      - 2
      - 0
    .max_flat_workgroup_size: 1024
    .name:           _ZN4vllm25paged_attention_v2_kernelIfhLi80ELi16ELi128ELNS_18Fp8KVCacheDataTypeE1ELb0ELi512EEEvPfS2_PT_PKS3_PKT0_S9_ifPKiSB_iPKfiiiSD_SD_iiiii
    .private_segment_fixed_size: 0
    .sgpr_count:     48
    .sgpr_spill_count: 0
    .symbol:         _ZN4vllm25paged_attention_v2_kernelIfhLi80ELi16ELi128ELNS_18Fp8KVCacheDataTypeE1ELb0ELi512EEEvPfS2_PT_PKS3_PKT0_S9_ifPKiSB_iPKfiiiSD_SD_iiiii.kd
    .uniform_work_group_size: 1
    .uses_dynamic_stack: false
    .vgpr_count:     142
    .vgpr_spill_count: 0
    .wavefront_size: 32
    .workgroup_processor_mode: 1
  - .args:
      - .actual_access:  write_only
        .address_space:  global
        .offset:         0
        .size:           8
        .value_kind:     global_buffer
      - .actual_access:  write_only
        .address_space:  global
        .offset:         8
        .size:           8
        .value_kind:     global_buffer
      - .actual_access:  write_only
        .address_space:  global
        .offset:         16
        .size:           8
        .value_kind:     global_buffer
      - .actual_access:  read_only
        .address_space:  global
        .offset:         24
        .size:           8
        .value_kind:     global_buffer
      - .actual_access:  read_only
        .address_space:  global
        .offset:         32
        .size:           8
        .value_kind:     global_buffer
      - .actual_access:  read_only
        .address_space:  global
        .offset:         40
        .size:           8
        .value_kind:     global_buffer
      - .offset:         48
        .size:           4
        .value_kind:     by_value
      - .offset:         52
        .size:           4
        .value_kind:     by_value
      - .actual_access:  read_only
        .address_space:  global
        .offset:         56
        .size:           8
        .value_kind:     global_buffer
      - .actual_access:  read_only
        .address_space:  global
        .offset:         64
        .size:           8
        .value_kind:     global_buffer
      - .offset:         72
        .size:           4
        .value_kind:     by_value
      - .actual_access:  read_only
        .address_space:  global
        .offset:         80
        .size:           8
        .value_kind:     global_buffer
      - .offset:         88
        .size:           4
        .value_kind:     by_value
      - .offset:         92
        .size:           4
        .value_kind:     by_value
      - .offset:         96
        .size:           4
        .value_kind:     by_value
      - .address_space:  global
        .offset:         104
        .size:           8
        .value_kind:     global_buffer
      - .address_space:  global
        .offset:         112
        .size:           8
        .value_kind:     global_buffer
      - .offset:         120
        .size:           4
        .value_kind:     by_value
      - .offset:         124
        .size:           4
        .value_kind:     by_value
      - .offset:         128
        .size:           4
        .value_kind:     by_value
      - .offset:         132
        .size:           4
        .value_kind:     by_value
      - .offset:         136
        .size:           4
        .value_kind:     by_value
      - .offset:         144
        .size:           4
        .value_kind:     hidden_block_count_x
      - .offset:         148
        .size:           4
        .value_kind:     hidden_block_count_y
      - .offset:         152
        .size:           4
        .value_kind:     hidden_block_count_z
      - .offset:         156
        .size:           2
        .value_kind:     hidden_group_size_x
      - .offset:         158
        .size:           2
        .value_kind:     hidden_group_size_y
      - .offset:         160
        .size:           2
        .value_kind:     hidden_group_size_z
      - .offset:         162
        .size:           2
        .value_kind:     hidden_remainder_x
      - .offset:         164
        .size:           2
        .value_kind:     hidden_remainder_y
      - .offset:         166
        .size:           2
        .value_kind:     hidden_remainder_z
      - .offset:         184
        .size:           8
        .value_kind:     hidden_global_offset_x
      - .offset:         192
        .size:           8
        .value_kind:     hidden_global_offset_y
      - .offset:         200
        .size:           8
        .value_kind:     hidden_global_offset_z
      - .offset:         208
        .size:           2
        .value_kind:     hidden_grid_dims
      - .offset:         264
        .size:           4
        .value_kind:     hidden_dynamic_lds_size
    .group_segment_fixed_size: 416
    .kernarg_segment_align: 8
    .kernarg_segment_size: 400
    .language:       OpenCL C
    .language_version:
      - 2
      - 0
    .max_flat_workgroup_size: 1024
    .name:           _ZN4vllm25paged_attention_v2_kernelIfhLi96ELi16ELi128ELNS_18Fp8KVCacheDataTypeE1ELb0ELi512EEEvPfS2_PT_PKS3_PKT0_S9_ifPKiSB_iPKfiiiSD_SD_iiiii
    .private_segment_fixed_size: 0
    .sgpr_count:     48
    .sgpr_spill_count: 0
    .symbol:         _ZN4vllm25paged_attention_v2_kernelIfhLi96ELi16ELi128ELNS_18Fp8KVCacheDataTypeE1ELb0ELi512EEEvPfS2_PT_PKS3_PKT0_S9_ifPKiSB_iPKfiiiSD_SD_iiiii.kd
    .uniform_work_group_size: 1
    .uses_dynamic_stack: false
    .vgpr_count:     166
    .vgpr_spill_count: 0
    .wavefront_size: 32
    .workgroup_processor_mode: 1
  - .args:
      - .actual_access:  write_only
        .address_space:  global
        .offset:         0
        .size:           8
        .value_kind:     global_buffer
      - .actual_access:  write_only
        .address_space:  global
        .offset:         8
        .size:           8
        .value_kind:     global_buffer
      - .actual_access:  write_only
        .address_space:  global
        .offset:         16
        .size:           8
        .value_kind:     global_buffer
      - .actual_access:  read_only
        .address_space:  global
        .offset:         24
        .size:           8
        .value_kind:     global_buffer
      - .actual_access:  read_only
        .address_space:  global
        .offset:         32
        .size:           8
        .value_kind:     global_buffer
      - .actual_access:  read_only
        .address_space:  global
        .offset:         40
        .size:           8
        .value_kind:     global_buffer
      - .offset:         48
        .size:           4
        .value_kind:     by_value
      - .offset:         52
        .size:           4
        .value_kind:     by_value
      - .actual_access:  read_only
        .address_space:  global
        .offset:         56
        .size:           8
        .value_kind:     global_buffer
      - .actual_access:  read_only
        .address_space:  global
        .offset:         64
        .size:           8
        .value_kind:     global_buffer
      - .offset:         72
        .size:           4
        .value_kind:     by_value
      - .address_space:  global
        .offset:         80
        .size:           8
        .value_kind:     global_buffer
      - .offset:         88
        .size:           4
        .value_kind:     by_value
      - .offset:         92
        .size:           4
        .value_kind:     by_value
      - .offset:         96
        .size:           4
        .value_kind:     by_value
      - .address_space:  global
        .offset:         104
        .size:           8
        .value_kind:     global_buffer
      - .address_space:  global
        .offset:         112
        .size:           8
        .value_kind:     global_buffer
      - .offset:         120
        .size:           4
        .value_kind:     by_value
      - .offset:         124
        .size:           4
        .value_kind:     by_value
      - .offset:         128
        .size:           4
        .value_kind:     by_value
      - .offset:         132
        .size:           4
        .value_kind:     by_value
      - .offset:         136
        .size:           4
        .value_kind:     by_value
      - .offset:         144
        .size:           4
        .value_kind:     hidden_block_count_x
      - .offset:         148
        .size:           4
        .value_kind:     hidden_block_count_y
      - .offset:         152
        .size:           4
        .value_kind:     hidden_block_count_z
      - .offset:         156
        .size:           2
        .value_kind:     hidden_group_size_x
      - .offset:         158
        .size:           2
        .value_kind:     hidden_group_size_y
      - .offset:         160
        .size:           2
        .value_kind:     hidden_group_size_z
      - .offset:         162
        .size:           2
        .value_kind:     hidden_remainder_x
      - .offset:         164
        .size:           2
        .value_kind:     hidden_remainder_y
      - .offset:         166
        .size:           2
        .value_kind:     hidden_remainder_z
      - .offset:         184
        .size:           8
        .value_kind:     hidden_global_offset_x
      - .offset:         192
        .size:           8
        .value_kind:     hidden_global_offset_y
      - .offset:         200
        .size:           8
        .value_kind:     hidden_global_offset_z
      - .offset:         208
        .size:           2
        .value_kind:     hidden_grid_dims
      - .offset:         264
        .size:           4
        .value_kind:     hidden_dynamic_lds_size
    .group_segment_fixed_size: 480
    .kernarg_segment_align: 8
    .kernarg_segment_size: 400
    .language:       OpenCL C
    .language_version:
      - 2
      - 0
    .max_flat_workgroup_size: 1024
    .name:           _ZN4vllm25paged_attention_v2_kernelIfhLi112ELi16ELi128ELNS_18Fp8KVCacheDataTypeE1ELb0ELi512EEEvPfS2_PT_PKS3_PKT0_S9_ifPKiSB_iPKfiiiSD_SD_iiiii
    .private_segment_fixed_size: 416
    .sgpr_count:     46
    .sgpr_spill_count: 0
    .symbol:         _ZN4vllm25paged_attention_v2_kernelIfhLi112ELi16ELi128ELNS_18Fp8KVCacheDataTypeE1ELb0ELi512EEEvPfS2_PT_PKS3_PKT0_S9_ifPKiSB_iPKfiiiSD_SD_iiiii.kd
    .uniform_work_group_size: 1
    .uses_dynamic_stack: false
    .vgpr_count:     192
    .vgpr_spill_count: 0
    .wavefront_size: 32
    .workgroup_processor_mode: 1
  - .args:
      - .actual_access:  write_only
        .address_space:  global
        .offset:         0
        .size:           8
        .value_kind:     global_buffer
      - .actual_access:  write_only
        .address_space:  global
        .offset:         8
        .size:           8
        .value_kind:     global_buffer
      - .actual_access:  write_only
        .address_space:  global
        .offset:         16
        .size:           8
        .value_kind:     global_buffer
      - .actual_access:  read_only
        .address_space:  global
        .offset:         24
        .size:           8
        .value_kind:     global_buffer
      - .actual_access:  read_only
        .address_space:  global
        .offset:         32
        .size:           8
        .value_kind:     global_buffer
      - .actual_access:  read_only
        .address_space:  global
        .offset:         40
        .size:           8
        .value_kind:     global_buffer
      - .offset:         48
        .size:           4
        .value_kind:     by_value
      - .offset:         52
        .size:           4
        .value_kind:     by_value
      - .actual_access:  read_only
        .address_space:  global
        .offset:         56
        .size:           8
        .value_kind:     global_buffer
      - .actual_access:  read_only
        .address_space:  global
        .offset:         64
        .size:           8
        .value_kind:     global_buffer
      - .offset:         72
        .size:           4
        .value_kind:     by_value
      - .address_space:  global
        .offset:         80
        .size:           8
        .value_kind:     global_buffer
      - .offset:         88
        .size:           4
        .value_kind:     by_value
      - .offset:         92
        .size:           4
        .value_kind:     by_value
      - .offset:         96
        .size:           4
        .value_kind:     by_value
      - .address_space:  global
        .offset:         104
        .size:           8
        .value_kind:     global_buffer
      - .address_space:  global
        .offset:         112
        .size:           8
        .value_kind:     global_buffer
      - .offset:         120
        .size:           4
        .value_kind:     by_value
      - .offset:         124
        .size:           4
        .value_kind:     by_value
      - .offset:         128
        .size:           4
        .value_kind:     by_value
      - .offset:         132
        .size:           4
        .value_kind:     by_value
      - .offset:         136
        .size:           4
        .value_kind:     by_value
      - .offset:         144
        .size:           4
        .value_kind:     hidden_block_count_x
      - .offset:         148
        .size:           4
        .value_kind:     hidden_block_count_y
      - .offset:         152
        .size:           4
        .value_kind:     hidden_block_count_z
      - .offset:         156
        .size:           2
        .value_kind:     hidden_group_size_x
      - .offset:         158
        .size:           2
        .value_kind:     hidden_group_size_y
      - .offset:         160
        .size:           2
        .value_kind:     hidden_group_size_z
      - .offset:         162
        .size:           2
        .value_kind:     hidden_remainder_x
      - .offset:         164
        .size:           2
        .value_kind:     hidden_remainder_y
      - .offset:         166
        .size:           2
        .value_kind:     hidden_remainder_z
      - .offset:         184
        .size:           8
        .value_kind:     hidden_global_offset_x
      - .offset:         192
        .size:           8
        .value_kind:     hidden_global_offset_y
      - .offset:         200
        .size:           8
        .value_kind:     hidden_global_offset_z
      - .offset:         208
        .size:           2
        .value_kind:     hidden_grid_dims
      - .offset:         264
        .size:           4
        .value_kind:     hidden_dynamic_lds_size
    .group_segment_fixed_size: 512
    .kernarg_segment_align: 8
    .kernarg_segment_size: 400
    .language:       OpenCL C
    .language_version:
      - 2
      - 0
    .max_flat_workgroup_size: 1024
    .name:           _ZN4vllm25paged_attention_v2_kernelIfhLi120ELi16ELi128ELNS_18Fp8KVCacheDataTypeE1ELb0ELi512EEEvPfS2_PT_PKS3_PKT0_S9_ifPKiSB_iPKfiiiSD_SD_iiiii
    .private_segment_fixed_size: 468
    .sgpr_count:     46
    .sgpr_spill_count: 0
    .symbol:         _ZN4vllm25paged_attention_v2_kernelIfhLi120ELi16ELi128ELNS_18Fp8KVCacheDataTypeE1ELb0ELi512EEEvPfS2_PT_PKS3_PKT0_S9_ifPKiSB_iPKfiiiSD_SD_iiiii.kd
    .uniform_work_group_size: 1
    .uses_dynamic_stack: false
    .vgpr_count:     192
    .vgpr_spill_count: 0
    .wavefront_size: 32
    .workgroup_processor_mode: 1
  - .args:
      - .actual_access:  write_only
        .address_space:  global
        .offset:         0
        .size:           8
        .value_kind:     global_buffer
      - .actual_access:  write_only
        .address_space:  global
        .offset:         8
        .size:           8
        .value_kind:     global_buffer
      - .actual_access:  write_only
        .address_space:  global
        .offset:         16
        .size:           8
        .value_kind:     global_buffer
      - .actual_access:  read_only
        .address_space:  global
        .offset:         24
        .size:           8
        .value_kind:     global_buffer
      - .actual_access:  read_only
        .address_space:  global
        .offset:         32
        .size:           8
        .value_kind:     global_buffer
      - .actual_access:  read_only
        .address_space:  global
        .offset:         40
        .size:           8
        .value_kind:     global_buffer
      - .offset:         48
        .size:           4
        .value_kind:     by_value
      - .offset:         52
        .size:           4
        .value_kind:     by_value
      - .actual_access:  read_only
        .address_space:  global
        .offset:         56
        .size:           8
        .value_kind:     global_buffer
      - .actual_access:  read_only
        .address_space:  global
        .offset:         64
        .size:           8
        .value_kind:     global_buffer
      - .offset:         72
        .size:           4
        .value_kind:     by_value
      - .address_space:  global
        .offset:         80
        .size:           8
        .value_kind:     global_buffer
      - .offset:         88
        .size:           4
        .value_kind:     by_value
      - .offset:         92
        .size:           4
        .value_kind:     by_value
      - .offset:         96
        .size:           4
        .value_kind:     by_value
      - .address_space:  global
        .offset:         104
        .size:           8
        .value_kind:     global_buffer
      - .address_space:  global
        .offset:         112
        .size:           8
        .value_kind:     global_buffer
      - .offset:         120
        .size:           4
        .value_kind:     by_value
      - .offset:         124
        .size:           4
        .value_kind:     by_value
      - .offset:         128
        .size:           4
        .value_kind:     by_value
      - .offset:         132
        .size:           4
        .value_kind:     by_value
      - .offset:         136
        .size:           4
        .value_kind:     by_value
      - .offset:         144
        .size:           4
        .value_kind:     hidden_block_count_x
      - .offset:         148
        .size:           4
        .value_kind:     hidden_block_count_y
      - .offset:         152
        .size:           4
        .value_kind:     hidden_block_count_z
      - .offset:         156
        .size:           2
        .value_kind:     hidden_group_size_x
      - .offset:         158
        .size:           2
        .value_kind:     hidden_group_size_y
      - .offset:         160
        .size:           2
        .value_kind:     hidden_group_size_z
      - .offset:         162
        .size:           2
        .value_kind:     hidden_remainder_x
      - .offset:         164
        .size:           2
        .value_kind:     hidden_remainder_y
      - .offset:         166
        .size:           2
        .value_kind:     hidden_remainder_z
      - .offset:         184
        .size:           8
        .value_kind:     hidden_global_offset_x
      - .offset:         192
        .size:           8
        .value_kind:     hidden_global_offset_y
      - .offset:         200
        .size:           8
        .value_kind:     hidden_global_offset_z
      - .offset:         208
        .size:           2
        .value_kind:     hidden_grid_dims
      - .offset:         264
        .size:           4
        .value_kind:     hidden_dynamic_lds_size
    .group_segment_fixed_size: 544
    .kernarg_segment_align: 8
    .kernarg_segment_size: 400
    .language:       OpenCL C
    .language_version:
      - 2
      - 0
    .max_flat_workgroup_size: 1024
    .name:           _ZN4vllm25paged_attention_v2_kernelIfhLi128ELi16ELi128ELNS_18Fp8KVCacheDataTypeE1ELb0ELi512EEEvPfS2_PT_PKS3_PKT0_S9_ifPKiSB_iPKfiiiSD_SD_iiiii
    .private_segment_fixed_size: 516
    .sgpr_count:     46
    .sgpr_spill_count: 0
    .symbol:         _ZN4vllm25paged_attention_v2_kernelIfhLi128ELi16ELi128ELNS_18Fp8KVCacheDataTypeE1ELb0ELi512EEEvPfS2_PT_PKS3_PKT0_S9_ifPKiSB_iPKfiiiSD_SD_iiiii.kd
    .uniform_work_group_size: 1
    .uses_dynamic_stack: false
    .vgpr_count:     192
    .vgpr_spill_count: 0
    .wavefront_size: 32
    .workgroup_processor_mode: 1
  - .args:
      - .actual_access:  write_only
        .address_space:  global
        .offset:         0
        .size:           8
        .value_kind:     global_buffer
      - .actual_access:  write_only
        .address_space:  global
        .offset:         8
        .size:           8
        .value_kind:     global_buffer
      - .actual_access:  write_only
        .address_space:  global
        .offset:         16
        .size:           8
        .value_kind:     global_buffer
      - .actual_access:  read_only
        .address_space:  global
        .offset:         24
        .size:           8
        .value_kind:     global_buffer
      - .actual_access:  read_only
        .address_space:  global
        .offset:         32
        .size:           8
        .value_kind:     global_buffer
      - .actual_access:  read_only
        .address_space:  global
        .offset:         40
        .size:           8
        .value_kind:     global_buffer
      - .offset:         48
        .size:           4
        .value_kind:     by_value
      - .offset:         52
        .size:           4
        .value_kind:     by_value
      - .actual_access:  read_only
        .address_space:  global
        .offset:         56
        .size:           8
        .value_kind:     global_buffer
      - .actual_access:  read_only
        .address_space:  global
        .offset:         64
        .size:           8
        .value_kind:     global_buffer
      - .offset:         72
        .size:           4
        .value_kind:     by_value
      - .address_space:  global
        .offset:         80
        .size:           8
        .value_kind:     global_buffer
      - .offset:         88
        .size:           4
        .value_kind:     by_value
      - .offset:         92
        .size:           4
        .value_kind:     by_value
      - .offset:         96
        .size:           4
        .value_kind:     by_value
      - .address_space:  global
        .offset:         104
        .size:           8
        .value_kind:     global_buffer
      - .address_space:  global
        .offset:         112
        .size:           8
        .value_kind:     global_buffer
      - .offset:         120
        .size:           4
        .value_kind:     by_value
      - .offset:         124
        .size:           4
        .value_kind:     by_value
      - .offset:         128
        .size:           4
        .value_kind:     by_value
      - .offset:         132
        .size:           4
        .value_kind:     by_value
      - .offset:         136
        .size:           4
        .value_kind:     by_value
      - .offset:         144
        .size:           4
        .value_kind:     hidden_block_count_x
      - .offset:         148
        .size:           4
        .value_kind:     hidden_block_count_y
      - .offset:         152
        .size:           4
        .value_kind:     hidden_block_count_z
      - .offset:         156
        .size:           2
        .value_kind:     hidden_group_size_x
      - .offset:         158
        .size:           2
        .value_kind:     hidden_group_size_y
      - .offset:         160
        .size:           2
        .value_kind:     hidden_group_size_z
      - .offset:         162
        .size:           2
        .value_kind:     hidden_remainder_x
      - .offset:         164
        .size:           2
        .value_kind:     hidden_remainder_y
      - .offset:         166
        .size:           2
        .value_kind:     hidden_remainder_z
      - .offset:         184
        .size:           8
        .value_kind:     hidden_global_offset_x
      - .offset:         192
        .size:           8
        .value_kind:     hidden_global_offset_y
      - .offset:         200
        .size:           8
        .value_kind:     hidden_global_offset_z
      - .offset:         208
        .size:           2
        .value_kind:     hidden_grid_dims
      - .offset:         264
        .size:           4
        .value_kind:     hidden_dynamic_lds_size
    .group_segment_fixed_size: 800
    .kernarg_segment_align: 8
    .kernarg_segment_size: 400
    .language:       OpenCL C
    .language_version:
      - 2
      - 0
    .max_flat_workgroup_size: 1024
    .name:           _ZN4vllm25paged_attention_v2_kernelIfhLi192ELi16ELi128ELNS_18Fp8KVCacheDataTypeE1ELb0ELi512EEEvPfS2_PT_PKS3_PKT0_S9_ifPKiSB_iPKfiiiSD_SD_iiiii
    .private_segment_fixed_size: 900
    .sgpr_count:     46
    .sgpr_spill_count: 0
    .symbol:         _ZN4vllm25paged_attention_v2_kernelIfhLi192ELi16ELi128ELNS_18Fp8KVCacheDataTypeE1ELb0ELi512EEEvPfS2_PT_PKS3_PKT0_S9_ifPKiSB_iPKfiiiSD_SD_iiiii.kd
    .uniform_work_group_size: 1
    .uses_dynamic_stack: false
    .vgpr_count:     192
    .vgpr_spill_count: 0
    .wavefront_size: 32
    .workgroup_processor_mode: 1
  - .args:
      - .actual_access:  write_only
        .address_space:  global
        .offset:         0
        .size:           8
        .value_kind:     global_buffer
      - .actual_access:  write_only
        .address_space:  global
        .offset:         8
        .size:           8
        .value_kind:     global_buffer
      - .actual_access:  write_only
        .address_space:  global
        .offset:         16
        .size:           8
        .value_kind:     global_buffer
      - .actual_access:  read_only
        .address_space:  global
        .offset:         24
        .size:           8
        .value_kind:     global_buffer
      - .actual_access:  read_only
        .address_space:  global
        .offset:         32
        .size:           8
        .value_kind:     global_buffer
      - .actual_access:  read_only
        .address_space:  global
        .offset:         40
        .size:           8
        .value_kind:     global_buffer
      - .offset:         48
        .size:           4
        .value_kind:     by_value
      - .offset:         52
        .size:           4
        .value_kind:     by_value
      - .actual_access:  read_only
        .address_space:  global
        .offset:         56
        .size:           8
        .value_kind:     global_buffer
      - .actual_access:  read_only
        .address_space:  global
        .offset:         64
        .size:           8
        .value_kind:     global_buffer
      - .offset:         72
        .size:           4
        .value_kind:     by_value
      - .address_space:  global
        .offset:         80
        .size:           8
        .value_kind:     global_buffer
      - .offset:         88
        .size:           4
        .value_kind:     by_value
      - .offset:         92
        .size:           4
        .value_kind:     by_value
      - .offset:         96
        .size:           4
        .value_kind:     by_value
      - .address_space:  global
        .offset:         104
        .size:           8
        .value_kind:     global_buffer
      - .address_space:  global
        .offset:         112
        .size:           8
        .value_kind:     global_buffer
      - .offset:         120
        .size:           4
        .value_kind:     by_value
      - .offset:         124
        .size:           4
        .value_kind:     by_value
      - .offset:         128
        .size:           4
        .value_kind:     by_value
      - .offset:         132
        .size:           4
        .value_kind:     by_value
      - .offset:         136
        .size:           4
        .value_kind:     by_value
      - .offset:         144
        .size:           4
        .value_kind:     hidden_block_count_x
      - .offset:         148
        .size:           4
        .value_kind:     hidden_block_count_y
      - .offset:         152
        .size:           4
        .value_kind:     hidden_block_count_z
      - .offset:         156
        .size:           2
        .value_kind:     hidden_group_size_x
      - .offset:         158
        .size:           2
        .value_kind:     hidden_group_size_y
      - .offset:         160
        .size:           2
        .value_kind:     hidden_group_size_z
      - .offset:         162
        .size:           2
        .value_kind:     hidden_remainder_x
      - .offset:         164
        .size:           2
        .value_kind:     hidden_remainder_y
      - .offset:         166
        .size:           2
        .value_kind:     hidden_remainder_z
      - .offset:         184
        .size:           8
        .value_kind:     hidden_global_offset_x
      - .offset:         192
        .size:           8
        .value_kind:     hidden_global_offset_y
      - .offset:         200
        .size:           8
        .value_kind:     hidden_global_offset_z
      - .offset:         208
        .size:           2
        .value_kind:     hidden_grid_dims
      - .offset:         264
        .size:           4
        .value_kind:     hidden_dynamic_lds_size
    .group_segment_fixed_size: 1056
    .kernarg_segment_align: 8
    .kernarg_segment_size: 400
    .language:       OpenCL C
    .language_version:
      - 2
      - 0
    .max_flat_workgroup_size: 1024
    .name:           _ZN4vllm25paged_attention_v2_kernelIfhLi256ELi16ELi128ELNS_18Fp8KVCacheDataTypeE1ELb0ELi512EEEvPfS2_PT_PKS3_PKT0_S9_ifPKiSB_iPKfiiiSD_SD_iiiii
    .private_segment_fixed_size: 1276
    .sgpr_count:     46
    .sgpr_spill_count: 0
    .symbol:         _ZN4vllm25paged_attention_v2_kernelIfhLi256ELi16ELi128ELNS_18Fp8KVCacheDataTypeE1ELb0ELi512EEEvPfS2_PT_PKS3_PKT0_S9_ifPKiSB_iPKfiiiSD_SD_iiiii.kd
    .uniform_work_group_size: 1
    .uses_dynamic_stack: false
    .vgpr_count:     192
    .vgpr_spill_count: 0
    .wavefront_size: 32
    .workgroup_processor_mode: 1
  - .args:
      - .actual_access:  write_only
        .address_space:  global
        .offset:         0
        .size:           8
        .value_kind:     global_buffer
      - .actual_access:  write_only
        .address_space:  global
        .offset:         8
        .size:           8
        .value_kind:     global_buffer
      - .actual_access:  write_only
        .address_space:  global
        .offset:         16
        .size:           8
        .value_kind:     global_buffer
      - .actual_access:  read_only
        .address_space:  global
        .offset:         24
        .size:           8
        .value_kind:     global_buffer
      - .actual_access:  read_only
        .address_space:  global
        .offset:         32
        .size:           8
        .value_kind:     global_buffer
      - .actual_access:  read_only
        .address_space:  global
        .offset:         40
        .size:           8
        .value_kind:     global_buffer
      - .offset:         48
        .size:           4
        .value_kind:     by_value
      - .offset:         52
        .size:           4
        .value_kind:     by_value
      - .actual_access:  read_only
        .address_space:  global
        .offset:         56
        .size:           8
        .value_kind:     global_buffer
      - .actual_access:  read_only
        .address_space:  global
        .offset:         64
        .size:           8
        .value_kind:     global_buffer
      - .offset:         72
        .size:           4
        .value_kind:     by_value
      - .actual_access:  read_only
        .address_space:  global
        .offset:         80
        .size:           8
        .value_kind:     global_buffer
      - .offset:         88
        .size:           4
        .value_kind:     by_value
      - .offset:         92
        .size:           4
        .value_kind:     by_value
      - .offset:         96
        .size:           4
        .value_kind:     by_value
      - .address_space:  global
        .offset:         104
        .size:           8
        .value_kind:     global_buffer
      - .address_space:  global
        .offset:         112
        .size:           8
        .value_kind:     global_buffer
      - .offset:         120
        .size:           4
        .value_kind:     by_value
      - .offset:         124
        .size:           4
        .value_kind:     by_value
      - .offset:         128
        .size:           4
        .value_kind:     by_value
      - .offset:         132
        .size:           4
        .value_kind:     by_value
      - .offset:         136
        .size:           4
        .value_kind:     by_value
      - .offset:         144
        .size:           4
        .value_kind:     hidden_block_count_x
      - .offset:         148
        .size:           4
        .value_kind:     hidden_block_count_y
      - .offset:         152
        .size:           4
        .value_kind:     hidden_block_count_z
      - .offset:         156
        .size:           2
        .value_kind:     hidden_group_size_x
      - .offset:         158
        .size:           2
        .value_kind:     hidden_group_size_y
      - .offset:         160
        .size:           2
        .value_kind:     hidden_group_size_z
      - .offset:         162
        .size:           2
        .value_kind:     hidden_remainder_x
      - .offset:         164
        .size:           2
        .value_kind:     hidden_remainder_y
      - .offset:         166
        .size:           2
        .value_kind:     hidden_remainder_z
      - .offset:         184
        .size:           8
        .value_kind:     hidden_global_offset_x
      - .offset:         192
        .size:           8
        .value_kind:     hidden_global_offset_y
      - .offset:         200
        .size:           8
        .value_kind:     hidden_global_offset_z
      - .offset:         208
        .size:           2
        .value_kind:     hidden_grid_dims
      - .offset:         264
        .size:           4
        .value_kind:     hidden_dynamic_lds_size
    .group_segment_fixed_size: 160
    .kernarg_segment_align: 8
    .kernarg_segment_size: 400
    .language:       OpenCL C
    .language_version:
      - 2
      - 0
    .max_flat_workgroup_size: 1024
    .name:           _ZN4vllm25paged_attention_v2_kernelIfhLi32ELi32ELi128ELNS_18Fp8KVCacheDataTypeE1ELb1ELi512EEEvPfS2_PT_PKS3_PKT0_S9_ifPKiSB_iPKfiiiSD_SD_iiiii
    .private_segment_fixed_size: 0
    .sgpr_count:     57
    .sgpr_spill_count: 0
    .symbol:         _ZN4vllm25paged_attention_v2_kernelIfhLi32ELi32ELi128ELNS_18Fp8KVCacheDataTypeE1ELb1ELi512EEEvPfS2_PT_PKS3_PKT0_S9_ifPKiSB_iPKfiiiSD_SD_iiiii.kd
    .uniform_work_group_size: 1
    .uses_dynamic_stack: false
    .vgpr_count:     120
    .vgpr_spill_count: 0
    .wavefront_size: 32
    .workgroup_processor_mode: 1
  - .args:
      - .actual_access:  write_only
        .address_space:  global
        .offset:         0
        .size:           8
        .value_kind:     global_buffer
      - .actual_access:  write_only
        .address_space:  global
        .offset:         8
        .size:           8
        .value_kind:     global_buffer
      - .actual_access:  write_only
        .address_space:  global
        .offset:         16
        .size:           8
        .value_kind:     global_buffer
      - .actual_access:  read_only
        .address_space:  global
        .offset:         24
        .size:           8
        .value_kind:     global_buffer
      - .actual_access:  read_only
        .address_space:  global
        .offset:         32
        .size:           8
        .value_kind:     global_buffer
      - .actual_access:  read_only
        .address_space:  global
        .offset:         40
        .size:           8
        .value_kind:     global_buffer
      - .offset:         48
        .size:           4
        .value_kind:     by_value
      - .offset:         52
        .size:           4
        .value_kind:     by_value
      - .actual_access:  read_only
        .address_space:  global
        .offset:         56
        .size:           8
        .value_kind:     global_buffer
      - .actual_access:  read_only
        .address_space:  global
        .offset:         64
        .size:           8
        .value_kind:     global_buffer
      - .offset:         72
        .size:           4
        .value_kind:     by_value
      - .address_space:  global
        .offset:         80
        .size:           8
        .value_kind:     global_buffer
      - .offset:         88
        .size:           4
        .value_kind:     by_value
      - .offset:         92
        .size:           4
        .value_kind:     by_value
      - .offset:         96
        .size:           4
        .value_kind:     by_value
      - .address_space:  global
        .offset:         104
        .size:           8
        .value_kind:     global_buffer
      - .address_space:  global
        .offset:         112
        .size:           8
        .value_kind:     global_buffer
      - .offset:         120
        .size:           4
        .value_kind:     by_value
      - .offset:         124
        .size:           4
        .value_kind:     by_value
      - .offset:         128
        .size:           4
        .value_kind:     by_value
      - .offset:         132
        .size:           4
        .value_kind:     by_value
      - .offset:         136
        .size:           4
        .value_kind:     by_value
      - .offset:         144
        .size:           4
        .value_kind:     hidden_block_count_x
      - .offset:         148
        .size:           4
        .value_kind:     hidden_block_count_y
      - .offset:         152
        .size:           4
        .value_kind:     hidden_block_count_z
      - .offset:         156
        .size:           2
        .value_kind:     hidden_group_size_x
      - .offset:         158
        .size:           2
        .value_kind:     hidden_group_size_y
      - .offset:         160
        .size:           2
        .value_kind:     hidden_group_size_z
      - .offset:         162
        .size:           2
        .value_kind:     hidden_remainder_x
      - .offset:         164
        .size:           2
        .value_kind:     hidden_remainder_y
      - .offset:         166
        .size:           2
        .value_kind:     hidden_remainder_z
      - .offset:         184
        .size:           8
        .value_kind:     hidden_global_offset_x
      - .offset:         192
        .size:           8
        .value_kind:     hidden_global_offset_y
      - .offset:         200
        .size:           8
        .value_kind:     hidden_global_offset_z
      - .offset:         208
        .size:           2
        .value_kind:     hidden_grid_dims
      - .offset:         264
        .size:           4
        .value_kind:     hidden_dynamic_lds_size
    .group_segment_fixed_size: 288
    .kernarg_segment_align: 8
    .kernarg_segment_size: 400
    .language:       OpenCL C
    .language_version:
      - 2
      - 0
    .max_flat_workgroup_size: 1024
    .name:           _ZN4vllm25paged_attention_v2_kernelIfhLi64ELi32ELi128ELNS_18Fp8KVCacheDataTypeE1ELb1ELi512EEEvPfS2_PT_PKS3_PKT0_S9_ifPKiSB_iPKfiiiSD_SD_iiiii
    .private_segment_fixed_size: 572
    .sgpr_count:     46
    .sgpr_spill_count: 0
    .symbol:         _ZN4vllm25paged_attention_v2_kernelIfhLi64ELi32ELi128ELNS_18Fp8KVCacheDataTypeE1ELb1ELi512EEEvPfS2_PT_PKS3_PKT0_S9_ifPKiSB_iPKfiiiSD_SD_iiiii.kd
    .uniform_work_group_size: 1
    .uses_dynamic_stack: false
    .vgpr_count:     192
    .vgpr_spill_count: 0
    .wavefront_size: 32
    .workgroup_processor_mode: 1
  - .args:
      - .actual_access:  write_only
        .address_space:  global
        .offset:         0
        .size:           8
        .value_kind:     global_buffer
      - .actual_access:  write_only
        .address_space:  global
        .offset:         8
        .size:           8
        .value_kind:     global_buffer
      - .actual_access:  write_only
        .address_space:  global
        .offset:         16
        .size:           8
        .value_kind:     global_buffer
      - .actual_access:  read_only
        .address_space:  global
        .offset:         24
        .size:           8
        .value_kind:     global_buffer
      - .actual_access:  read_only
        .address_space:  global
        .offset:         32
        .size:           8
        .value_kind:     global_buffer
      - .actual_access:  read_only
        .address_space:  global
        .offset:         40
        .size:           8
        .value_kind:     global_buffer
      - .offset:         48
        .size:           4
        .value_kind:     by_value
      - .offset:         52
        .size:           4
        .value_kind:     by_value
      - .actual_access:  read_only
        .address_space:  global
        .offset:         56
        .size:           8
        .value_kind:     global_buffer
      - .actual_access:  read_only
        .address_space:  global
        .offset:         64
        .size:           8
        .value_kind:     global_buffer
      - .offset:         72
        .size:           4
        .value_kind:     by_value
      - .address_space:  global
        .offset:         80
        .size:           8
        .value_kind:     global_buffer
      - .offset:         88
        .size:           4
        .value_kind:     by_value
      - .offset:         92
        .size:           4
        .value_kind:     by_value
      - .offset:         96
        .size:           4
        .value_kind:     by_value
      - .address_space:  global
        .offset:         104
        .size:           8
        .value_kind:     global_buffer
      - .address_space:  global
        .offset:         112
        .size:           8
        .value_kind:     global_buffer
      - .offset:         120
        .size:           4
        .value_kind:     by_value
      - .offset:         124
        .size:           4
        .value_kind:     by_value
      - .offset:         128
        .size:           4
        .value_kind:     by_value
      - .offset:         132
        .size:           4
        .value_kind:     by_value
      - .offset:         136
        .size:           4
        .value_kind:     by_value
      - .offset:         144
        .size:           4
        .value_kind:     hidden_block_count_x
      - .offset:         148
        .size:           4
        .value_kind:     hidden_block_count_y
      - .offset:         152
        .size:           4
        .value_kind:     hidden_block_count_z
      - .offset:         156
        .size:           2
        .value_kind:     hidden_group_size_x
      - .offset:         158
        .size:           2
        .value_kind:     hidden_group_size_y
      - .offset:         160
        .size:           2
        .value_kind:     hidden_group_size_z
      - .offset:         162
        .size:           2
        .value_kind:     hidden_remainder_x
      - .offset:         164
        .size:           2
        .value_kind:     hidden_remainder_y
      - .offset:         166
        .size:           2
        .value_kind:     hidden_remainder_z
      - .offset:         184
        .size:           8
        .value_kind:     hidden_global_offset_x
      - .offset:         192
        .size:           8
        .value_kind:     hidden_global_offset_y
      - .offset:         200
        .size:           8
        .value_kind:     hidden_global_offset_z
      - .offset:         208
        .size:           2
        .value_kind:     hidden_grid_dims
      - .offset:         264
        .size:           4
        .value_kind:     hidden_dynamic_lds_size
    .group_segment_fixed_size: 352
    .kernarg_segment_align: 8
    .kernarg_segment_size: 400
    .language:       OpenCL C
    .language_version:
      - 2
      - 0
    .max_flat_workgroup_size: 1024
    .name:           _ZN4vllm25paged_attention_v2_kernelIfhLi80ELi32ELi128ELNS_18Fp8KVCacheDataTypeE1ELb1ELi512EEEvPfS2_PT_PKS3_PKT0_S9_ifPKiSB_iPKfiiiSD_SD_iiiii
    .private_segment_fixed_size: 756
    .sgpr_count:     46
    .sgpr_spill_count: 0
    .symbol:         _ZN4vllm25paged_attention_v2_kernelIfhLi80ELi32ELi128ELNS_18Fp8KVCacheDataTypeE1ELb1ELi512EEEvPfS2_PT_PKS3_PKT0_S9_ifPKiSB_iPKfiiiSD_SD_iiiii.kd
    .uniform_work_group_size: 1
    .uses_dynamic_stack: false
    .vgpr_count:     192
    .vgpr_spill_count: 0
    .wavefront_size: 32
    .workgroup_processor_mode: 1
  - .args:
      - .actual_access:  write_only
        .address_space:  global
        .offset:         0
        .size:           8
        .value_kind:     global_buffer
      - .actual_access:  write_only
        .address_space:  global
        .offset:         8
        .size:           8
        .value_kind:     global_buffer
      - .actual_access:  write_only
        .address_space:  global
        .offset:         16
        .size:           8
        .value_kind:     global_buffer
      - .actual_access:  read_only
        .address_space:  global
        .offset:         24
        .size:           8
        .value_kind:     global_buffer
      - .actual_access:  read_only
        .address_space:  global
        .offset:         32
        .size:           8
        .value_kind:     global_buffer
      - .actual_access:  read_only
        .address_space:  global
        .offset:         40
        .size:           8
        .value_kind:     global_buffer
      - .offset:         48
        .size:           4
        .value_kind:     by_value
      - .offset:         52
        .size:           4
        .value_kind:     by_value
      - .actual_access:  read_only
        .address_space:  global
        .offset:         56
        .size:           8
        .value_kind:     global_buffer
      - .actual_access:  read_only
        .address_space:  global
        .offset:         64
        .size:           8
        .value_kind:     global_buffer
      - .offset:         72
        .size:           4
        .value_kind:     by_value
      - .address_space:  global
        .offset:         80
        .size:           8
        .value_kind:     global_buffer
      - .offset:         88
        .size:           4
        .value_kind:     by_value
      - .offset:         92
        .size:           4
        .value_kind:     by_value
      - .offset:         96
        .size:           4
        .value_kind:     by_value
      - .address_space:  global
        .offset:         104
        .size:           8
        .value_kind:     global_buffer
      - .address_space:  global
        .offset:         112
        .size:           8
        .value_kind:     global_buffer
      - .offset:         120
        .size:           4
        .value_kind:     by_value
      - .offset:         124
        .size:           4
        .value_kind:     by_value
      - .offset:         128
        .size:           4
        .value_kind:     by_value
      - .offset:         132
        .size:           4
        .value_kind:     by_value
      - .offset:         136
        .size:           4
        .value_kind:     by_value
      - .offset:         144
        .size:           4
        .value_kind:     hidden_block_count_x
      - .offset:         148
        .size:           4
        .value_kind:     hidden_block_count_y
      - .offset:         152
        .size:           4
        .value_kind:     hidden_block_count_z
      - .offset:         156
        .size:           2
        .value_kind:     hidden_group_size_x
      - .offset:         158
        .size:           2
        .value_kind:     hidden_group_size_y
      - .offset:         160
        .size:           2
        .value_kind:     hidden_group_size_z
      - .offset:         162
        .size:           2
        .value_kind:     hidden_remainder_x
      - .offset:         164
        .size:           2
        .value_kind:     hidden_remainder_y
      - .offset:         166
        .size:           2
        .value_kind:     hidden_remainder_z
      - .offset:         184
        .size:           8
        .value_kind:     hidden_global_offset_x
      - .offset:         192
        .size:           8
        .value_kind:     hidden_global_offset_y
      - .offset:         200
        .size:           8
        .value_kind:     hidden_global_offset_z
      - .offset:         208
        .size:           2
        .value_kind:     hidden_grid_dims
      - .offset:         264
        .size:           4
        .value_kind:     hidden_dynamic_lds_size
    .group_segment_fixed_size: 416
    .kernarg_segment_align: 8
    .kernarg_segment_size: 400
    .language:       OpenCL C
    .language_version:
      - 2
      - 0
    .max_flat_workgroup_size: 1024
    .name:           _ZN4vllm25paged_attention_v2_kernelIfhLi96ELi32ELi128ELNS_18Fp8KVCacheDataTypeE1ELb1ELi512EEEvPfS2_PT_PKS3_PKT0_S9_ifPKiSB_iPKfiiiSD_SD_iiiii
    .private_segment_fixed_size: 944
    .sgpr_count:     46
    .sgpr_spill_count: 0
    .symbol:         _ZN4vllm25paged_attention_v2_kernelIfhLi96ELi32ELi128ELNS_18Fp8KVCacheDataTypeE1ELb1ELi512EEEvPfS2_PT_PKS3_PKT0_S9_ifPKiSB_iPKfiiiSD_SD_iiiii.kd
    .uniform_work_group_size: 1
    .uses_dynamic_stack: false
    .vgpr_count:     192
    .vgpr_spill_count: 0
    .wavefront_size: 32
    .workgroup_processor_mode: 1
  - .args:
      - .actual_access:  write_only
        .address_space:  global
        .offset:         0
        .size:           8
        .value_kind:     global_buffer
      - .actual_access:  write_only
        .address_space:  global
        .offset:         8
        .size:           8
        .value_kind:     global_buffer
      - .actual_access:  write_only
        .address_space:  global
        .offset:         16
        .size:           8
        .value_kind:     global_buffer
      - .actual_access:  read_only
        .address_space:  global
        .offset:         24
        .size:           8
        .value_kind:     global_buffer
      - .actual_access:  read_only
        .address_space:  global
        .offset:         32
        .size:           8
        .value_kind:     global_buffer
      - .actual_access:  read_only
        .address_space:  global
        .offset:         40
        .size:           8
        .value_kind:     global_buffer
      - .offset:         48
        .size:           4
        .value_kind:     by_value
      - .offset:         52
        .size:           4
        .value_kind:     by_value
      - .actual_access:  read_only
        .address_space:  global
        .offset:         56
        .size:           8
        .value_kind:     global_buffer
      - .actual_access:  read_only
        .address_space:  global
        .offset:         64
        .size:           8
        .value_kind:     global_buffer
      - .offset:         72
        .size:           4
        .value_kind:     by_value
      - .address_space:  global
        .offset:         80
        .size:           8
        .value_kind:     global_buffer
      - .offset:         88
        .size:           4
        .value_kind:     by_value
      - .offset:         92
        .size:           4
        .value_kind:     by_value
      - .offset:         96
        .size:           4
        .value_kind:     by_value
      - .address_space:  global
        .offset:         104
        .size:           8
        .value_kind:     global_buffer
      - .address_space:  global
        .offset:         112
        .size:           8
        .value_kind:     global_buffer
      - .offset:         120
        .size:           4
        .value_kind:     by_value
      - .offset:         124
        .size:           4
        .value_kind:     by_value
      - .offset:         128
        .size:           4
        .value_kind:     by_value
      - .offset:         132
        .size:           4
        .value_kind:     by_value
      - .offset:         136
        .size:           4
        .value_kind:     by_value
      - .offset:         144
        .size:           4
        .value_kind:     hidden_block_count_x
      - .offset:         148
        .size:           4
        .value_kind:     hidden_block_count_y
      - .offset:         152
        .size:           4
        .value_kind:     hidden_block_count_z
      - .offset:         156
        .size:           2
        .value_kind:     hidden_group_size_x
      - .offset:         158
        .size:           2
        .value_kind:     hidden_group_size_y
      - .offset:         160
        .size:           2
        .value_kind:     hidden_group_size_z
      - .offset:         162
        .size:           2
        .value_kind:     hidden_remainder_x
      - .offset:         164
        .size:           2
        .value_kind:     hidden_remainder_y
      - .offset:         166
        .size:           2
        .value_kind:     hidden_remainder_z
      - .offset:         184
        .size:           8
        .value_kind:     hidden_global_offset_x
      - .offset:         192
        .size:           8
        .value_kind:     hidden_global_offset_y
      - .offset:         200
        .size:           8
        .value_kind:     hidden_global_offset_z
      - .offset:         208
        .size:           2
        .value_kind:     hidden_grid_dims
      - .offset:         264
        .size:           4
        .value_kind:     hidden_dynamic_lds_size
    .group_segment_fixed_size: 480
    .kernarg_segment_align: 8
    .kernarg_segment_size: 400
    .language:       OpenCL C
    .language_version:
      - 2
      - 0
    .max_flat_workgroup_size: 1024
    .name:           _ZN4vllm25paged_attention_v2_kernelIfhLi112ELi32ELi128ELNS_18Fp8KVCacheDataTypeE1ELb1ELi512EEEvPfS2_PT_PKS3_PKT0_S9_ifPKiSB_iPKfiiiSD_SD_iiiii
    .private_segment_fixed_size: 1140
    .sgpr_count:     46
    .sgpr_spill_count: 0
    .symbol:         _ZN4vllm25paged_attention_v2_kernelIfhLi112ELi32ELi128ELNS_18Fp8KVCacheDataTypeE1ELb1ELi512EEEvPfS2_PT_PKS3_PKT0_S9_ifPKiSB_iPKfiiiSD_SD_iiiii.kd
    .uniform_work_group_size: 1
    .uses_dynamic_stack: false
    .vgpr_count:     192
    .vgpr_spill_count: 0
    .wavefront_size: 32
    .workgroup_processor_mode: 1
  - .args:
      - .actual_access:  write_only
        .address_space:  global
        .offset:         0
        .size:           8
        .value_kind:     global_buffer
      - .actual_access:  write_only
        .address_space:  global
        .offset:         8
        .size:           8
        .value_kind:     global_buffer
      - .actual_access:  write_only
        .address_space:  global
        .offset:         16
        .size:           8
        .value_kind:     global_buffer
      - .actual_access:  read_only
        .address_space:  global
        .offset:         24
        .size:           8
        .value_kind:     global_buffer
      - .actual_access:  read_only
        .address_space:  global
        .offset:         32
        .size:           8
        .value_kind:     global_buffer
      - .actual_access:  read_only
        .address_space:  global
        .offset:         40
        .size:           8
        .value_kind:     global_buffer
      - .offset:         48
        .size:           4
        .value_kind:     by_value
      - .offset:         52
        .size:           4
        .value_kind:     by_value
      - .actual_access:  read_only
        .address_space:  global
        .offset:         56
        .size:           8
        .value_kind:     global_buffer
      - .actual_access:  read_only
        .address_space:  global
        .offset:         64
        .size:           8
        .value_kind:     global_buffer
      - .offset:         72
        .size:           4
        .value_kind:     by_value
      - .address_space:  global
        .offset:         80
        .size:           8
        .value_kind:     global_buffer
      - .offset:         88
        .size:           4
        .value_kind:     by_value
      - .offset:         92
        .size:           4
        .value_kind:     by_value
      - .offset:         96
        .size:           4
        .value_kind:     by_value
      - .address_space:  global
        .offset:         104
        .size:           8
        .value_kind:     global_buffer
      - .address_space:  global
        .offset:         112
        .size:           8
        .value_kind:     global_buffer
      - .offset:         120
        .size:           4
        .value_kind:     by_value
      - .offset:         124
        .size:           4
        .value_kind:     by_value
      - .offset:         128
        .size:           4
        .value_kind:     by_value
      - .offset:         132
        .size:           4
        .value_kind:     by_value
      - .offset:         136
        .size:           4
        .value_kind:     by_value
      - .offset:         144
        .size:           4
        .value_kind:     hidden_block_count_x
      - .offset:         148
        .size:           4
        .value_kind:     hidden_block_count_y
      - .offset:         152
        .size:           4
        .value_kind:     hidden_block_count_z
      - .offset:         156
        .size:           2
        .value_kind:     hidden_group_size_x
      - .offset:         158
        .size:           2
        .value_kind:     hidden_group_size_y
      - .offset:         160
        .size:           2
        .value_kind:     hidden_group_size_z
      - .offset:         162
        .size:           2
        .value_kind:     hidden_remainder_x
      - .offset:         164
        .size:           2
        .value_kind:     hidden_remainder_y
      - .offset:         166
        .size:           2
        .value_kind:     hidden_remainder_z
      - .offset:         184
        .size:           8
        .value_kind:     hidden_global_offset_x
      - .offset:         192
        .size:           8
        .value_kind:     hidden_global_offset_y
      - .offset:         200
        .size:           8
        .value_kind:     hidden_global_offset_z
      - .offset:         208
        .size:           2
        .value_kind:     hidden_grid_dims
      - .offset:         264
        .size:           4
        .value_kind:     hidden_dynamic_lds_size
    .group_segment_fixed_size: 512
    .kernarg_segment_align: 8
    .kernarg_segment_size: 400
    .language:       OpenCL C
    .language_version:
      - 2
      - 0
    .max_flat_workgroup_size: 1024
    .name:           _ZN4vllm25paged_attention_v2_kernelIfhLi120ELi32ELi128ELNS_18Fp8KVCacheDataTypeE1ELb1ELi512EEEvPfS2_PT_PKS3_PKT0_S9_ifPKiSB_iPKfiiiSD_SD_iiiii
    .private_segment_fixed_size: 1240
    .sgpr_count:     46
    .sgpr_spill_count: 0
    .symbol:         _ZN4vllm25paged_attention_v2_kernelIfhLi120ELi32ELi128ELNS_18Fp8KVCacheDataTypeE1ELb1ELi512EEEvPfS2_PT_PKS3_PKT0_S9_ifPKiSB_iPKfiiiSD_SD_iiiii.kd
    .uniform_work_group_size: 1
    .uses_dynamic_stack: false
    .vgpr_count:     192
    .vgpr_spill_count: 0
    .wavefront_size: 32
    .workgroup_processor_mode: 1
  - .args:
      - .actual_access:  write_only
        .address_space:  global
        .offset:         0
        .size:           8
        .value_kind:     global_buffer
      - .actual_access:  write_only
        .address_space:  global
        .offset:         8
        .size:           8
        .value_kind:     global_buffer
      - .actual_access:  write_only
        .address_space:  global
        .offset:         16
        .size:           8
        .value_kind:     global_buffer
      - .actual_access:  read_only
        .address_space:  global
        .offset:         24
        .size:           8
        .value_kind:     global_buffer
      - .actual_access:  read_only
        .address_space:  global
        .offset:         32
        .size:           8
        .value_kind:     global_buffer
      - .actual_access:  read_only
        .address_space:  global
        .offset:         40
        .size:           8
        .value_kind:     global_buffer
      - .offset:         48
        .size:           4
        .value_kind:     by_value
      - .offset:         52
        .size:           4
        .value_kind:     by_value
      - .actual_access:  read_only
        .address_space:  global
        .offset:         56
        .size:           8
        .value_kind:     global_buffer
      - .actual_access:  read_only
        .address_space:  global
        .offset:         64
        .size:           8
        .value_kind:     global_buffer
      - .offset:         72
        .size:           4
        .value_kind:     by_value
      - .address_space:  global
        .offset:         80
        .size:           8
        .value_kind:     global_buffer
      - .offset:         88
        .size:           4
        .value_kind:     by_value
      - .offset:         92
        .size:           4
        .value_kind:     by_value
      - .offset:         96
        .size:           4
        .value_kind:     by_value
      - .address_space:  global
        .offset:         104
        .size:           8
        .value_kind:     global_buffer
      - .address_space:  global
        .offset:         112
        .size:           8
        .value_kind:     global_buffer
      - .offset:         120
        .size:           4
        .value_kind:     by_value
      - .offset:         124
        .size:           4
        .value_kind:     by_value
      - .offset:         128
        .size:           4
        .value_kind:     by_value
      - .offset:         132
        .size:           4
        .value_kind:     by_value
      - .offset:         136
        .size:           4
        .value_kind:     by_value
      - .offset:         144
        .size:           4
        .value_kind:     hidden_block_count_x
      - .offset:         148
        .size:           4
        .value_kind:     hidden_block_count_y
      - .offset:         152
        .size:           4
        .value_kind:     hidden_block_count_z
      - .offset:         156
        .size:           2
        .value_kind:     hidden_group_size_x
      - .offset:         158
        .size:           2
        .value_kind:     hidden_group_size_y
      - .offset:         160
        .size:           2
        .value_kind:     hidden_group_size_z
      - .offset:         162
        .size:           2
        .value_kind:     hidden_remainder_x
      - .offset:         164
        .size:           2
        .value_kind:     hidden_remainder_y
      - .offset:         166
        .size:           2
        .value_kind:     hidden_remainder_z
      - .offset:         184
        .size:           8
        .value_kind:     hidden_global_offset_x
      - .offset:         192
        .size:           8
        .value_kind:     hidden_global_offset_y
      - .offset:         200
        .size:           8
        .value_kind:     hidden_global_offset_z
      - .offset:         208
        .size:           2
        .value_kind:     hidden_grid_dims
      - .offset:         264
        .size:           4
        .value_kind:     hidden_dynamic_lds_size
    .group_segment_fixed_size: 544
    .kernarg_segment_align: 8
    .kernarg_segment_size: 400
    .language:       OpenCL C
    .language_version:
      - 2
      - 0
    .max_flat_workgroup_size: 1024
    .name:           _ZN4vllm25paged_attention_v2_kernelIfhLi128ELi32ELi128ELNS_18Fp8KVCacheDataTypeE1ELb1ELi512EEEvPfS2_PT_PKS3_PKT0_S9_ifPKiSB_iPKfiiiSD_SD_iiiii
    .private_segment_fixed_size: 1328
    .sgpr_count:     46
    .sgpr_spill_count: 0
    .symbol:         _ZN4vllm25paged_attention_v2_kernelIfhLi128ELi32ELi128ELNS_18Fp8KVCacheDataTypeE1ELb1ELi512EEEvPfS2_PT_PKS3_PKT0_S9_ifPKiSB_iPKfiiiSD_SD_iiiii.kd
    .uniform_work_group_size: 1
    .uses_dynamic_stack: false
    .vgpr_count:     192
    .vgpr_spill_count: 0
    .wavefront_size: 32
    .workgroup_processor_mode: 1
  - .args:
      - .actual_access:  write_only
        .address_space:  global
        .offset:         0
        .size:           8
        .value_kind:     global_buffer
      - .actual_access:  write_only
        .address_space:  global
        .offset:         8
        .size:           8
        .value_kind:     global_buffer
      - .actual_access:  write_only
        .address_space:  global
        .offset:         16
        .size:           8
        .value_kind:     global_buffer
      - .actual_access:  read_only
        .address_space:  global
        .offset:         24
        .size:           8
        .value_kind:     global_buffer
      - .actual_access:  read_only
        .address_space:  global
        .offset:         32
        .size:           8
        .value_kind:     global_buffer
      - .actual_access:  read_only
        .address_space:  global
        .offset:         40
        .size:           8
        .value_kind:     global_buffer
      - .offset:         48
        .size:           4
        .value_kind:     by_value
      - .offset:         52
        .size:           4
        .value_kind:     by_value
      - .actual_access:  read_only
        .address_space:  global
        .offset:         56
        .size:           8
        .value_kind:     global_buffer
      - .actual_access:  read_only
        .address_space:  global
        .offset:         64
        .size:           8
        .value_kind:     global_buffer
      - .offset:         72
        .size:           4
        .value_kind:     by_value
      - .address_space:  global
        .offset:         80
        .size:           8
        .value_kind:     global_buffer
      - .offset:         88
        .size:           4
        .value_kind:     by_value
      - .offset:         92
        .size:           4
        .value_kind:     by_value
      - .offset:         96
        .size:           4
        .value_kind:     by_value
      - .address_space:  global
        .offset:         104
        .size:           8
        .value_kind:     global_buffer
      - .address_space:  global
        .offset:         112
        .size:           8
        .value_kind:     global_buffer
      - .offset:         120
        .size:           4
        .value_kind:     by_value
      - .offset:         124
        .size:           4
        .value_kind:     by_value
      - .offset:         128
        .size:           4
        .value_kind:     by_value
      - .offset:         132
        .size:           4
        .value_kind:     by_value
      - .offset:         136
        .size:           4
        .value_kind:     by_value
      - .offset:         144
        .size:           4
        .value_kind:     hidden_block_count_x
      - .offset:         148
        .size:           4
        .value_kind:     hidden_block_count_y
      - .offset:         152
        .size:           4
        .value_kind:     hidden_block_count_z
      - .offset:         156
        .size:           2
        .value_kind:     hidden_group_size_x
      - .offset:         158
        .size:           2
        .value_kind:     hidden_group_size_y
      - .offset:         160
        .size:           2
        .value_kind:     hidden_group_size_z
      - .offset:         162
        .size:           2
        .value_kind:     hidden_remainder_x
      - .offset:         164
        .size:           2
        .value_kind:     hidden_remainder_y
      - .offset:         166
        .size:           2
        .value_kind:     hidden_remainder_z
      - .offset:         184
        .size:           8
        .value_kind:     hidden_global_offset_x
      - .offset:         192
        .size:           8
        .value_kind:     hidden_global_offset_y
      - .offset:         200
        .size:           8
        .value_kind:     hidden_global_offset_z
      - .offset:         208
        .size:           2
        .value_kind:     hidden_grid_dims
      - .offset:         264
        .size:           4
        .value_kind:     hidden_dynamic_lds_size
    .group_segment_fixed_size: 800
    .kernarg_segment_align: 8
    .kernarg_segment_size: 400
    .language:       OpenCL C
    .language_version:
      - 2
      - 0
    .max_flat_workgroup_size: 1024
    .name:           _ZN4vllm25paged_attention_v2_kernelIfhLi192ELi32ELi128ELNS_18Fp8KVCacheDataTypeE1ELb1ELi512EEEvPfS2_PT_PKS3_PKT0_S9_ifPKiSB_iPKfiiiSD_SD_iiiii
    .private_segment_fixed_size: 2268
    .sgpr_count:     46
    .sgpr_spill_count: 0
    .symbol:         _ZN4vllm25paged_attention_v2_kernelIfhLi192ELi32ELi128ELNS_18Fp8KVCacheDataTypeE1ELb1ELi512EEEvPfS2_PT_PKS3_PKT0_S9_ifPKiSB_iPKfiiiSD_SD_iiiii.kd
    .uniform_work_group_size: 1
    .uses_dynamic_stack: false
    .vgpr_count:     192
    .vgpr_spill_count: 0
    .wavefront_size: 32
    .workgroup_processor_mode: 1
  - .args:
      - .actual_access:  write_only
        .address_space:  global
        .offset:         0
        .size:           8
        .value_kind:     global_buffer
      - .actual_access:  write_only
        .address_space:  global
        .offset:         8
        .size:           8
        .value_kind:     global_buffer
      - .actual_access:  write_only
        .address_space:  global
        .offset:         16
        .size:           8
        .value_kind:     global_buffer
      - .actual_access:  read_only
        .address_space:  global
        .offset:         24
        .size:           8
        .value_kind:     global_buffer
      - .actual_access:  read_only
        .address_space:  global
        .offset:         32
        .size:           8
        .value_kind:     global_buffer
      - .actual_access:  read_only
        .address_space:  global
        .offset:         40
        .size:           8
        .value_kind:     global_buffer
      - .offset:         48
        .size:           4
        .value_kind:     by_value
      - .offset:         52
        .size:           4
        .value_kind:     by_value
      - .actual_access:  read_only
        .address_space:  global
        .offset:         56
        .size:           8
        .value_kind:     global_buffer
      - .actual_access:  read_only
        .address_space:  global
        .offset:         64
        .size:           8
        .value_kind:     global_buffer
      - .offset:         72
        .size:           4
        .value_kind:     by_value
      - .address_space:  global
        .offset:         80
        .size:           8
        .value_kind:     global_buffer
      - .offset:         88
        .size:           4
        .value_kind:     by_value
      - .offset:         92
        .size:           4
        .value_kind:     by_value
      - .offset:         96
        .size:           4
        .value_kind:     by_value
      - .address_space:  global
        .offset:         104
        .size:           8
        .value_kind:     global_buffer
      - .address_space:  global
        .offset:         112
        .size:           8
        .value_kind:     global_buffer
      - .offset:         120
        .size:           4
        .value_kind:     by_value
      - .offset:         124
        .size:           4
        .value_kind:     by_value
      - .offset:         128
        .size:           4
        .value_kind:     by_value
      - .offset:         132
        .size:           4
        .value_kind:     by_value
      - .offset:         136
        .size:           4
        .value_kind:     by_value
      - .offset:         144
        .size:           4
        .value_kind:     hidden_block_count_x
      - .offset:         148
        .size:           4
        .value_kind:     hidden_block_count_y
      - .offset:         152
        .size:           4
        .value_kind:     hidden_block_count_z
      - .offset:         156
        .size:           2
        .value_kind:     hidden_group_size_x
      - .offset:         158
        .size:           2
        .value_kind:     hidden_group_size_y
      - .offset:         160
        .size:           2
        .value_kind:     hidden_group_size_z
      - .offset:         162
        .size:           2
        .value_kind:     hidden_remainder_x
      - .offset:         164
        .size:           2
        .value_kind:     hidden_remainder_y
      - .offset:         166
        .size:           2
        .value_kind:     hidden_remainder_z
      - .offset:         184
        .size:           8
        .value_kind:     hidden_global_offset_x
      - .offset:         192
        .size:           8
        .value_kind:     hidden_global_offset_y
      - .offset:         200
        .size:           8
        .value_kind:     hidden_global_offset_z
      - .offset:         208
        .size:           2
        .value_kind:     hidden_grid_dims
      - .offset:         264
        .size:           4
        .value_kind:     hidden_dynamic_lds_size
    .group_segment_fixed_size: 1056
    .kernarg_segment_align: 8
    .kernarg_segment_size: 400
    .language:       OpenCL C
    .language_version:
      - 2
      - 0
    .max_flat_workgroup_size: 1024
    .name:           _ZN4vllm25paged_attention_v2_kernelIfhLi256ELi32ELi128ELNS_18Fp8KVCacheDataTypeE1ELb1ELi512EEEvPfS2_PT_PKS3_PKT0_S9_ifPKiSB_iPKfiiiSD_SD_iiiii
    .private_segment_fixed_size: 3176
    .sgpr_count:     46
    .sgpr_spill_count: 0
    .symbol:         _ZN4vllm25paged_attention_v2_kernelIfhLi256ELi32ELi128ELNS_18Fp8KVCacheDataTypeE1ELb1ELi512EEEvPfS2_PT_PKS3_PKT0_S9_ifPKiSB_iPKfiiiSD_SD_iiiii.kd
    .uniform_work_group_size: 1
    .uses_dynamic_stack: false
    .vgpr_count:     192
    .vgpr_spill_count: 0
    .wavefront_size: 32
    .workgroup_processor_mode: 1
  - .args:
      - .actual_access:  write_only
        .address_space:  global
        .offset:         0
        .size:           8
        .value_kind:     global_buffer
      - .actual_access:  write_only
        .address_space:  global
        .offset:         8
        .size:           8
        .value_kind:     global_buffer
      - .actual_access:  write_only
        .address_space:  global
        .offset:         16
        .size:           8
        .value_kind:     global_buffer
      - .actual_access:  read_only
        .address_space:  global
        .offset:         24
        .size:           8
        .value_kind:     global_buffer
      - .actual_access:  read_only
        .address_space:  global
        .offset:         32
        .size:           8
        .value_kind:     global_buffer
      - .actual_access:  read_only
        .address_space:  global
        .offset:         40
        .size:           8
        .value_kind:     global_buffer
      - .offset:         48
        .size:           4
        .value_kind:     by_value
      - .offset:         52
        .size:           4
        .value_kind:     by_value
      - .actual_access:  read_only
        .address_space:  global
        .offset:         56
        .size:           8
        .value_kind:     global_buffer
      - .actual_access:  read_only
        .address_space:  global
        .offset:         64
        .size:           8
        .value_kind:     global_buffer
      - .offset:         72
        .size:           4
        .value_kind:     by_value
      - .actual_access:  read_only
        .address_space:  global
        .offset:         80
        .size:           8
        .value_kind:     global_buffer
      - .offset:         88
        .size:           4
        .value_kind:     by_value
      - .offset:         92
        .size:           4
        .value_kind:     by_value
      - .offset:         96
        .size:           4
        .value_kind:     by_value
      - .address_space:  global
        .offset:         104
        .size:           8
        .value_kind:     global_buffer
      - .address_space:  global
        .offset:         112
        .size:           8
        .value_kind:     global_buffer
      - .offset:         120
        .size:           4
        .value_kind:     by_value
      - .offset:         124
        .size:           4
        .value_kind:     by_value
      - .offset:         128
        .size:           4
        .value_kind:     by_value
      - .offset:         132
        .size:           4
        .value_kind:     by_value
      - .offset:         136
        .size:           4
        .value_kind:     by_value
      - .offset:         144
        .size:           4
        .value_kind:     hidden_block_count_x
      - .offset:         148
        .size:           4
        .value_kind:     hidden_block_count_y
      - .offset:         152
        .size:           4
        .value_kind:     hidden_block_count_z
      - .offset:         156
        .size:           2
        .value_kind:     hidden_group_size_x
      - .offset:         158
        .size:           2
        .value_kind:     hidden_group_size_y
      - .offset:         160
        .size:           2
        .value_kind:     hidden_group_size_z
      - .offset:         162
        .size:           2
        .value_kind:     hidden_remainder_x
      - .offset:         164
        .size:           2
        .value_kind:     hidden_remainder_y
      - .offset:         166
        .size:           2
        .value_kind:     hidden_remainder_z
      - .offset:         184
        .size:           8
        .value_kind:     hidden_global_offset_x
      - .offset:         192
        .size:           8
        .value_kind:     hidden_global_offset_y
      - .offset:         200
        .size:           8
        .value_kind:     hidden_global_offset_z
      - .offset:         208
        .size:           2
        .value_kind:     hidden_grid_dims
      - .offset:         264
        .size:           4
        .value_kind:     hidden_dynamic_lds_size
    .group_segment_fixed_size: 160
    .kernarg_segment_align: 8
    .kernarg_segment_size: 400
    .language:       OpenCL C
    .language_version:
      - 2
      - 0
    .max_flat_workgroup_size: 1024
    .name:           _ZN4vllm25paged_attention_v2_kernelIfhLi32ELi32ELi128ELNS_18Fp8KVCacheDataTypeE1ELb0ELi512EEEvPfS2_PT_PKS3_PKT0_S9_ifPKiSB_iPKfiiiSD_SD_iiiii
    .private_segment_fixed_size: 0
    .sgpr_count:     47
    .sgpr_spill_count: 0
    .symbol:         _ZN4vllm25paged_attention_v2_kernelIfhLi32ELi32ELi128ELNS_18Fp8KVCacheDataTypeE1ELb0ELi512EEEvPfS2_PT_PKS3_PKT0_S9_ifPKiSB_iPKfiiiSD_SD_iiiii.kd
    .uniform_work_group_size: 1
    .uses_dynamic_stack: false
    .vgpr_count:     116
    .vgpr_spill_count: 0
    .wavefront_size: 32
    .workgroup_processor_mode: 1
  - .args:
      - .actual_access:  write_only
        .address_space:  global
        .offset:         0
        .size:           8
        .value_kind:     global_buffer
      - .actual_access:  write_only
        .address_space:  global
        .offset:         8
        .size:           8
        .value_kind:     global_buffer
      - .actual_access:  write_only
        .address_space:  global
        .offset:         16
        .size:           8
        .value_kind:     global_buffer
      - .actual_access:  read_only
        .address_space:  global
        .offset:         24
        .size:           8
        .value_kind:     global_buffer
      - .actual_access:  read_only
        .address_space:  global
        .offset:         32
        .size:           8
        .value_kind:     global_buffer
      - .actual_access:  read_only
        .address_space:  global
        .offset:         40
        .size:           8
        .value_kind:     global_buffer
      - .offset:         48
        .size:           4
        .value_kind:     by_value
      - .offset:         52
        .size:           4
        .value_kind:     by_value
      - .actual_access:  read_only
        .address_space:  global
        .offset:         56
        .size:           8
        .value_kind:     global_buffer
      - .actual_access:  read_only
        .address_space:  global
        .offset:         64
        .size:           8
        .value_kind:     global_buffer
      - .offset:         72
        .size:           4
        .value_kind:     by_value
      - .address_space:  global
        .offset:         80
        .size:           8
        .value_kind:     global_buffer
      - .offset:         88
        .size:           4
        .value_kind:     by_value
      - .offset:         92
        .size:           4
        .value_kind:     by_value
      - .offset:         96
        .size:           4
        .value_kind:     by_value
      - .address_space:  global
        .offset:         104
        .size:           8
        .value_kind:     global_buffer
      - .address_space:  global
        .offset:         112
        .size:           8
        .value_kind:     global_buffer
      - .offset:         120
        .size:           4
        .value_kind:     by_value
      - .offset:         124
        .size:           4
        .value_kind:     by_value
      - .offset:         128
        .size:           4
        .value_kind:     by_value
      - .offset:         132
        .size:           4
        .value_kind:     by_value
      - .offset:         136
        .size:           4
        .value_kind:     by_value
      - .offset:         144
        .size:           4
        .value_kind:     hidden_block_count_x
      - .offset:         148
        .size:           4
        .value_kind:     hidden_block_count_y
      - .offset:         152
        .size:           4
        .value_kind:     hidden_block_count_z
      - .offset:         156
        .size:           2
        .value_kind:     hidden_group_size_x
      - .offset:         158
        .size:           2
        .value_kind:     hidden_group_size_y
      - .offset:         160
        .size:           2
        .value_kind:     hidden_group_size_z
      - .offset:         162
        .size:           2
        .value_kind:     hidden_remainder_x
      - .offset:         164
        .size:           2
        .value_kind:     hidden_remainder_y
      - .offset:         166
        .size:           2
        .value_kind:     hidden_remainder_z
      - .offset:         184
        .size:           8
        .value_kind:     hidden_global_offset_x
      - .offset:         192
        .size:           8
        .value_kind:     hidden_global_offset_y
      - .offset:         200
        .size:           8
        .value_kind:     hidden_global_offset_z
      - .offset:         208
        .size:           2
        .value_kind:     hidden_grid_dims
      - .offset:         264
        .size:           4
        .value_kind:     hidden_dynamic_lds_size
    .group_segment_fixed_size: 288
    .kernarg_segment_align: 8
    .kernarg_segment_size: 400
    .language:       OpenCL C
    .language_version:
      - 2
      - 0
    .max_flat_workgroup_size: 1024
    .name:           _ZN4vllm25paged_attention_v2_kernelIfhLi64ELi32ELi128ELNS_18Fp8KVCacheDataTypeE1ELb0ELi512EEEvPfS2_PT_PKS3_PKT0_S9_ifPKiSB_iPKfiiiSD_SD_iiiii
    .private_segment_fixed_size: 512
    .sgpr_count:     46
    .sgpr_spill_count: 0
    .symbol:         _ZN4vllm25paged_attention_v2_kernelIfhLi64ELi32ELi128ELNS_18Fp8KVCacheDataTypeE1ELb0ELi512EEEvPfS2_PT_PKS3_PKT0_S9_ifPKiSB_iPKfiiiSD_SD_iiiii.kd
    .uniform_work_group_size: 1
    .uses_dynamic_stack: false
    .vgpr_count:     192
    .vgpr_spill_count: 0
    .wavefront_size: 32
    .workgroup_processor_mode: 1
  - .args:
      - .actual_access:  write_only
        .address_space:  global
        .offset:         0
        .size:           8
        .value_kind:     global_buffer
      - .actual_access:  write_only
        .address_space:  global
        .offset:         8
        .size:           8
        .value_kind:     global_buffer
      - .actual_access:  write_only
        .address_space:  global
        .offset:         16
        .size:           8
        .value_kind:     global_buffer
      - .actual_access:  read_only
        .address_space:  global
        .offset:         24
        .size:           8
        .value_kind:     global_buffer
      - .actual_access:  read_only
        .address_space:  global
        .offset:         32
        .size:           8
        .value_kind:     global_buffer
      - .actual_access:  read_only
        .address_space:  global
        .offset:         40
        .size:           8
        .value_kind:     global_buffer
      - .offset:         48
        .size:           4
        .value_kind:     by_value
      - .offset:         52
        .size:           4
        .value_kind:     by_value
      - .actual_access:  read_only
        .address_space:  global
        .offset:         56
        .size:           8
        .value_kind:     global_buffer
      - .actual_access:  read_only
        .address_space:  global
        .offset:         64
        .size:           8
        .value_kind:     global_buffer
      - .offset:         72
        .size:           4
        .value_kind:     by_value
      - .address_space:  global
        .offset:         80
        .size:           8
        .value_kind:     global_buffer
      - .offset:         88
        .size:           4
        .value_kind:     by_value
      - .offset:         92
        .size:           4
        .value_kind:     by_value
      - .offset:         96
        .size:           4
        .value_kind:     by_value
      - .address_space:  global
        .offset:         104
        .size:           8
        .value_kind:     global_buffer
      - .address_space:  global
        .offset:         112
        .size:           8
        .value_kind:     global_buffer
      - .offset:         120
        .size:           4
        .value_kind:     by_value
      - .offset:         124
        .size:           4
        .value_kind:     by_value
      - .offset:         128
        .size:           4
        .value_kind:     by_value
      - .offset:         132
        .size:           4
        .value_kind:     by_value
      - .offset:         136
        .size:           4
        .value_kind:     by_value
      - .offset:         144
        .size:           4
        .value_kind:     hidden_block_count_x
      - .offset:         148
        .size:           4
        .value_kind:     hidden_block_count_y
      - .offset:         152
        .size:           4
        .value_kind:     hidden_block_count_z
      - .offset:         156
        .size:           2
        .value_kind:     hidden_group_size_x
      - .offset:         158
        .size:           2
        .value_kind:     hidden_group_size_y
      - .offset:         160
        .size:           2
        .value_kind:     hidden_group_size_z
      - .offset:         162
        .size:           2
        .value_kind:     hidden_remainder_x
      - .offset:         164
        .size:           2
        .value_kind:     hidden_remainder_y
      - .offset:         166
        .size:           2
        .value_kind:     hidden_remainder_z
      - .offset:         184
        .size:           8
        .value_kind:     hidden_global_offset_x
      - .offset:         192
        .size:           8
        .value_kind:     hidden_global_offset_y
      - .offset:         200
        .size:           8
        .value_kind:     hidden_global_offset_z
      - .offset:         208
        .size:           2
        .value_kind:     hidden_grid_dims
      - .offset:         264
        .size:           4
        .value_kind:     hidden_dynamic_lds_size
    .group_segment_fixed_size: 352
    .kernarg_segment_align: 8
    .kernarg_segment_size: 400
    .language:       OpenCL C
    .language_version:
      - 2
      - 0
    .max_flat_workgroup_size: 1024
    .name:           _ZN4vllm25paged_attention_v2_kernelIfhLi80ELi32ELi128ELNS_18Fp8KVCacheDataTypeE1ELb0ELi512EEEvPfS2_PT_PKS3_PKT0_S9_ifPKiSB_iPKfiiiSD_SD_iiiii
    .private_segment_fixed_size: 704
    .sgpr_count:     46
    .sgpr_spill_count: 0
    .symbol:         _ZN4vllm25paged_attention_v2_kernelIfhLi80ELi32ELi128ELNS_18Fp8KVCacheDataTypeE1ELb0ELi512EEEvPfS2_PT_PKS3_PKT0_S9_ifPKiSB_iPKfiiiSD_SD_iiiii.kd
    .uniform_work_group_size: 1
    .uses_dynamic_stack: false
    .vgpr_count:     192
    .vgpr_spill_count: 0
    .wavefront_size: 32
    .workgroup_processor_mode: 1
  - .args:
      - .actual_access:  write_only
        .address_space:  global
        .offset:         0
        .size:           8
        .value_kind:     global_buffer
      - .actual_access:  write_only
        .address_space:  global
        .offset:         8
        .size:           8
        .value_kind:     global_buffer
      - .actual_access:  write_only
        .address_space:  global
        .offset:         16
        .size:           8
        .value_kind:     global_buffer
      - .actual_access:  read_only
        .address_space:  global
        .offset:         24
        .size:           8
        .value_kind:     global_buffer
      - .actual_access:  read_only
        .address_space:  global
        .offset:         32
        .size:           8
        .value_kind:     global_buffer
      - .actual_access:  read_only
        .address_space:  global
        .offset:         40
        .size:           8
        .value_kind:     global_buffer
      - .offset:         48
        .size:           4
        .value_kind:     by_value
      - .offset:         52
        .size:           4
        .value_kind:     by_value
      - .actual_access:  read_only
        .address_space:  global
        .offset:         56
        .size:           8
        .value_kind:     global_buffer
      - .actual_access:  read_only
        .address_space:  global
        .offset:         64
        .size:           8
        .value_kind:     global_buffer
      - .offset:         72
        .size:           4
        .value_kind:     by_value
      - .address_space:  global
        .offset:         80
        .size:           8
        .value_kind:     global_buffer
      - .offset:         88
        .size:           4
        .value_kind:     by_value
      - .offset:         92
        .size:           4
        .value_kind:     by_value
      - .offset:         96
        .size:           4
        .value_kind:     by_value
      - .address_space:  global
        .offset:         104
        .size:           8
        .value_kind:     global_buffer
      - .address_space:  global
        .offset:         112
        .size:           8
        .value_kind:     global_buffer
      - .offset:         120
        .size:           4
        .value_kind:     by_value
      - .offset:         124
        .size:           4
        .value_kind:     by_value
      - .offset:         128
        .size:           4
        .value_kind:     by_value
      - .offset:         132
        .size:           4
        .value_kind:     by_value
      - .offset:         136
        .size:           4
        .value_kind:     by_value
      - .offset:         144
        .size:           4
        .value_kind:     hidden_block_count_x
      - .offset:         148
        .size:           4
        .value_kind:     hidden_block_count_y
      - .offset:         152
        .size:           4
        .value_kind:     hidden_block_count_z
      - .offset:         156
        .size:           2
        .value_kind:     hidden_group_size_x
      - .offset:         158
        .size:           2
        .value_kind:     hidden_group_size_y
      - .offset:         160
        .size:           2
        .value_kind:     hidden_group_size_z
      - .offset:         162
        .size:           2
        .value_kind:     hidden_remainder_x
      - .offset:         164
        .size:           2
        .value_kind:     hidden_remainder_y
      - .offset:         166
        .size:           2
        .value_kind:     hidden_remainder_z
      - .offset:         184
        .size:           8
        .value_kind:     hidden_global_offset_x
      - .offset:         192
        .size:           8
        .value_kind:     hidden_global_offset_y
      - .offset:         200
        .size:           8
        .value_kind:     hidden_global_offset_z
      - .offset:         208
        .size:           2
        .value_kind:     hidden_grid_dims
      - .offset:         264
        .size:           4
        .value_kind:     hidden_dynamic_lds_size
    .group_segment_fixed_size: 416
    .kernarg_segment_align: 8
    .kernarg_segment_size: 400
    .language:       OpenCL C
    .language_version:
      - 2
      - 0
    .max_flat_workgroup_size: 1024
    .name:           _ZN4vllm25paged_attention_v2_kernelIfhLi96ELi32ELi128ELNS_18Fp8KVCacheDataTypeE1ELb0ELi512EEEvPfS2_PT_PKS3_PKT0_S9_ifPKiSB_iPKfiiiSD_SD_iiiii
    .private_segment_fixed_size: 896
    .sgpr_count:     46
    .sgpr_spill_count: 0
    .symbol:         _ZN4vllm25paged_attention_v2_kernelIfhLi96ELi32ELi128ELNS_18Fp8KVCacheDataTypeE1ELb0ELi512EEEvPfS2_PT_PKS3_PKT0_S9_ifPKiSB_iPKfiiiSD_SD_iiiii.kd
    .uniform_work_group_size: 1
    .uses_dynamic_stack: false
    .vgpr_count:     192
    .vgpr_spill_count: 0
    .wavefront_size: 32
    .workgroup_processor_mode: 1
  - .args:
      - .actual_access:  write_only
        .address_space:  global
        .offset:         0
        .size:           8
        .value_kind:     global_buffer
      - .actual_access:  write_only
        .address_space:  global
        .offset:         8
        .size:           8
        .value_kind:     global_buffer
      - .actual_access:  write_only
        .address_space:  global
        .offset:         16
        .size:           8
        .value_kind:     global_buffer
      - .actual_access:  read_only
        .address_space:  global
        .offset:         24
        .size:           8
        .value_kind:     global_buffer
      - .actual_access:  read_only
        .address_space:  global
        .offset:         32
        .size:           8
        .value_kind:     global_buffer
      - .actual_access:  read_only
        .address_space:  global
        .offset:         40
        .size:           8
        .value_kind:     global_buffer
      - .offset:         48
        .size:           4
        .value_kind:     by_value
      - .offset:         52
        .size:           4
        .value_kind:     by_value
      - .actual_access:  read_only
        .address_space:  global
        .offset:         56
        .size:           8
        .value_kind:     global_buffer
      - .actual_access:  read_only
        .address_space:  global
        .offset:         64
        .size:           8
        .value_kind:     global_buffer
      - .offset:         72
        .size:           4
        .value_kind:     by_value
      - .address_space:  global
        .offset:         80
        .size:           8
        .value_kind:     global_buffer
      - .offset:         88
        .size:           4
        .value_kind:     by_value
      - .offset:         92
        .size:           4
        .value_kind:     by_value
      - .offset:         96
        .size:           4
        .value_kind:     by_value
      - .address_space:  global
        .offset:         104
        .size:           8
        .value_kind:     global_buffer
      - .address_space:  global
        .offset:         112
        .size:           8
        .value_kind:     global_buffer
      - .offset:         120
        .size:           4
        .value_kind:     by_value
      - .offset:         124
        .size:           4
        .value_kind:     by_value
      - .offset:         128
        .size:           4
        .value_kind:     by_value
      - .offset:         132
        .size:           4
        .value_kind:     by_value
      - .offset:         136
        .size:           4
        .value_kind:     by_value
      - .offset:         144
        .size:           4
        .value_kind:     hidden_block_count_x
      - .offset:         148
        .size:           4
        .value_kind:     hidden_block_count_y
      - .offset:         152
        .size:           4
        .value_kind:     hidden_block_count_z
      - .offset:         156
        .size:           2
        .value_kind:     hidden_group_size_x
      - .offset:         158
        .size:           2
        .value_kind:     hidden_group_size_y
      - .offset:         160
        .size:           2
        .value_kind:     hidden_group_size_z
      - .offset:         162
        .size:           2
        .value_kind:     hidden_remainder_x
      - .offset:         164
        .size:           2
        .value_kind:     hidden_remainder_y
      - .offset:         166
        .size:           2
        .value_kind:     hidden_remainder_z
      - .offset:         184
        .size:           8
        .value_kind:     hidden_global_offset_x
      - .offset:         192
        .size:           8
        .value_kind:     hidden_global_offset_y
      - .offset:         200
        .size:           8
        .value_kind:     hidden_global_offset_z
      - .offset:         208
        .size:           2
        .value_kind:     hidden_grid_dims
      - .offset:         264
        .size:           4
        .value_kind:     hidden_dynamic_lds_size
    .group_segment_fixed_size: 480
    .kernarg_segment_align: 8
    .kernarg_segment_size: 400
    .language:       OpenCL C
    .language_version:
      - 2
      - 0
    .max_flat_workgroup_size: 1024
    .name:           _ZN4vllm25paged_attention_v2_kernelIfhLi112ELi32ELi128ELNS_18Fp8KVCacheDataTypeE1ELb0ELi512EEEvPfS2_PT_PKS3_PKT0_S9_ifPKiSB_iPKfiiiSD_SD_iiiii
    .private_segment_fixed_size: 1080
    .sgpr_count:     46
    .sgpr_spill_count: 0
    .symbol:         _ZN4vllm25paged_attention_v2_kernelIfhLi112ELi32ELi128ELNS_18Fp8KVCacheDataTypeE1ELb0ELi512EEEvPfS2_PT_PKS3_PKT0_S9_ifPKiSB_iPKfiiiSD_SD_iiiii.kd
    .uniform_work_group_size: 1
    .uses_dynamic_stack: false
    .vgpr_count:     192
    .vgpr_spill_count: 0
    .wavefront_size: 32
    .workgroup_processor_mode: 1
  - .args:
      - .actual_access:  write_only
        .address_space:  global
        .offset:         0
        .size:           8
        .value_kind:     global_buffer
      - .actual_access:  write_only
        .address_space:  global
        .offset:         8
        .size:           8
        .value_kind:     global_buffer
      - .actual_access:  write_only
        .address_space:  global
        .offset:         16
        .size:           8
        .value_kind:     global_buffer
      - .actual_access:  read_only
        .address_space:  global
        .offset:         24
        .size:           8
        .value_kind:     global_buffer
      - .actual_access:  read_only
        .address_space:  global
        .offset:         32
        .size:           8
        .value_kind:     global_buffer
      - .actual_access:  read_only
        .address_space:  global
        .offset:         40
        .size:           8
        .value_kind:     global_buffer
      - .offset:         48
        .size:           4
        .value_kind:     by_value
      - .offset:         52
        .size:           4
        .value_kind:     by_value
      - .actual_access:  read_only
        .address_space:  global
        .offset:         56
        .size:           8
        .value_kind:     global_buffer
      - .actual_access:  read_only
        .address_space:  global
        .offset:         64
        .size:           8
        .value_kind:     global_buffer
      - .offset:         72
        .size:           4
        .value_kind:     by_value
      - .address_space:  global
        .offset:         80
        .size:           8
        .value_kind:     global_buffer
      - .offset:         88
        .size:           4
        .value_kind:     by_value
      - .offset:         92
        .size:           4
        .value_kind:     by_value
      - .offset:         96
        .size:           4
        .value_kind:     by_value
      - .address_space:  global
        .offset:         104
        .size:           8
        .value_kind:     global_buffer
      - .address_space:  global
        .offset:         112
        .size:           8
        .value_kind:     global_buffer
      - .offset:         120
        .size:           4
        .value_kind:     by_value
      - .offset:         124
        .size:           4
        .value_kind:     by_value
      - .offset:         128
        .size:           4
        .value_kind:     by_value
      - .offset:         132
        .size:           4
        .value_kind:     by_value
      - .offset:         136
        .size:           4
        .value_kind:     by_value
      - .offset:         144
        .size:           4
        .value_kind:     hidden_block_count_x
      - .offset:         148
        .size:           4
        .value_kind:     hidden_block_count_y
      - .offset:         152
        .size:           4
        .value_kind:     hidden_block_count_z
      - .offset:         156
        .size:           2
        .value_kind:     hidden_group_size_x
      - .offset:         158
        .size:           2
        .value_kind:     hidden_group_size_y
      - .offset:         160
        .size:           2
        .value_kind:     hidden_group_size_z
      - .offset:         162
        .size:           2
        .value_kind:     hidden_remainder_x
      - .offset:         164
        .size:           2
        .value_kind:     hidden_remainder_y
      - .offset:         166
        .size:           2
        .value_kind:     hidden_remainder_z
      - .offset:         184
        .size:           8
        .value_kind:     hidden_global_offset_x
      - .offset:         192
        .size:           8
        .value_kind:     hidden_global_offset_y
      - .offset:         200
        .size:           8
        .value_kind:     hidden_global_offset_z
      - .offset:         208
        .size:           2
        .value_kind:     hidden_grid_dims
      - .offset:         264
        .size:           4
        .value_kind:     hidden_dynamic_lds_size
    .group_segment_fixed_size: 512
    .kernarg_segment_align: 8
    .kernarg_segment_size: 400
    .language:       OpenCL C
    .language_version:
      - 2
      - 0
    .max_flat_workgroup_size: 1024
    .name:           _ZN4vllm25paged_attention_v2_kernelIfhLi120ELi32ELi128ELNS_18Fp8KVCacheDataTypeE1ELb0ELi512EEEvPfS2_PT_PKS3_PKT0_S9_ifPKiSB_iPKfiiiSD_SD_iiiii
    .private_segment_fixed_size: 1184
    .sgpr_count:     46
    .sgpr_spill_count: 0
    .symbol:         _ZN4vllm25paged_attention_v2_kernelIfhLi120ELi32ELi128ELNS_18Fp8KVCacheDataTypeE1ELb0ELi512EEEvPfS2_PT_PKS3_PKT0_S9_ifPKiSB_iPKfiiiSD_SD_iiiii.kd
    .uniform_work_group_size: 1
    .uses_dynamic_stack: false
    .vgpr_count:     192
    .vgpr_spill_count: 0
    .wavefront_size: 32
    .workgroup_processor_mode: 1
  - .args:
      - .actual_access:  write_only
        .address_space:  global
        .offset:         0
        .size:           8
        .value_kind:     global_buffer
      - .actual_access:  write_only
        .address_space:  global
        .offset:         8
        .size:           8
        .value_kind:     global_buffer
      - .actual_access:  write_only
        .address_space:  global
        .offset:         16
        .size:           8
        .value_kind:     global_buffer
      - .actual_access:  read_only
        .address_space:  global
        .offset:         24
        .size:           8
        .value_kind:     global_buffer
      - .actual_access:  read_only
        .address_space:  global
        .offset:         32
        .size:           8
        .value_kind:     global_buffer
      - .actual_access:  read_only
        .address_space:  global
        .offset:         40
        .size:           8
        .value_kind:     global_buffer
      - .offset:         48
        .size:           4
        .value_kind:     by_value
      - .offset:         52
        .size:           4
        .value_kind:     by_value
      - .actual_access:  read_only
        .address_space:  global
        .offset:         56
        .size:           8
        .value_kind:     global_buffer
      - .actual_access:  read_only
        .address_space:  global
        .offset:         64
        .size:           8
        .value_kind:     global_buffer
      - .offset:         72
        .size:           4
        .value_kind:     by_value
      - .address_space:  global
        .offset:         80
        .size:           8
        .value_kind:     global_buffer
      - .offset:         88
        .size:           4
        .value_kind:     by_value
      - .offset:         92
        .size:           4
        .value_kind:     by_value
      - .offset:         96
        .size:           4
        .value_kind:     by_value
      - .address_space:  global
        .offset:         104
        .size:           8
        .value_kind:     global_buffer
      - .address_space:  global
        .offset:         112
        .size:           8
        .value_kind:     global_buffer
      - .offset:         120
        .size:           4
        .value_kind:     by_value
      - .offset:         124
        .size:           4
        .value_kind:     by_value
      - .offset:         128
        .size:           4
        .value_kind:     by_value
      - .offset:         132
        .size:           4
        .value_kind:     by_value
      - .offset:         136
        .size:           4
        .value_kind:     by_value
      - .offset:         144
        .size:           4
        .value_kind:     hidden_block_count_x
      - .offset:         148
        .size:           4
        .value_kind:     hidden_block_count_y
      - .offset:         152
        .size:           4
        .value_kind:     hidden_block_count_z
      - .offset:         156
        .size:           2
        .value_kind:     hidden_group_size_x
      - .offset:         158
        .size:           2
        .value_kind:     hidden_group_size_y
      - .offset:         160
        .size:           2
        .value_kind:     hidden_group_size_z
      - .offset:         162
        .size:           2
        .value_kind:     hidden_remainder_x
      - .offset:         164
        .size:           2
        .value_kind:     hidden_remainder_y
      - .offset:         166
        .size:           2
        .value_kind:     hidden_remainder_z
      - .offset:         184
        .size:           8
        .value_kind:     hidden_global_offset_x
      - .offset:         192
        .size:           8
        .value_kind:     hidden_global_offset_y
      - .offset:         200
        .size:           8
        .value_kind:     hidden_global_offset_z
      - .offset:         208
        .size:           2
        .value_kind:     hidden_grid_dims
      - .offset:         264
        .size:           4
        .value_kind:     hidden_dynamic_lds_size
    .group_segment_fixed_size: 544
    .kernarg_segment_align: 8
    .kernarg_segment_size: 400
    .language:       OpenCL C
    .language_version:
      - 2
      - 0
    .max_flat_workgroup_size: 1024
    .name:           _ZN4vllm25paged_attention_v2_kernelIfhLi128ELi32ELi128ELNS_18Fp8KVCacheDataTypeE1ELb0ELi512EEEvPfS2_PT_PKS3_PKT0_S9_ifPKiSB_iPKfiiiSD_SD_iiiii
    .private_segment_fixed_size: 1272
    .sgpr_count:     46
    .sgpr_spill_count: 0
    .symbol:         _ZN4vllm25paged_attention_v2_kernelIfhLi128ELi32ELi128ELNS_18Fp8KVCacheDataTypeE1ELb0ELi512EEEvPfS2_PT_PKS3_PKT0_S9_ifPKiSB_iPKfiiiSD_SD_iiiii.kd
    .uniform_work_group_size: 1
    .uses_dynamic_stack: false
    .vgpr_count:     192
    .vgpr_spill_count: 0
    .wavefront_size: 32
    .workgroup_processor_mode: 1
  - .args:
      - .actual_access:  write_only
        .address_space:  global
        .offset:         0
        .size:           8
        .value_kind:     global_buffer
      - .actual_access:  write_only
        .address_space:  global
        .offset:         8
        .size:           8
        .value_kind:     global_buffer
      - .actual_access:  write_only
        .address_space:  global
        .offset:         16
        .size:           8
        .value_kind:     global_buffer
      - .actual_access:  read_only
        .address_space:  global
        .offset:         24
        .size:           8
        .value_kind:     global_buffer
      - .actual_access:  read_only
        .address_space:  global
        .offset:         32
        .size:           8
        .value_kind:     global_buffer
      - .actual_access:  read_only
        .address_space:  global
        .offset:         40
        .size:           8
        .value_kind:     global_buffer
      - .offset:         48
        .size:           4
        .value_kind:     by_value
      - .offset:         52
        .size:           4
        .value_kind:     by_value
      - .actual_access:  read_only
        .address_space:  global
        .offset:         56
        .size:           8
        .value_kind:     global_buffer
      - .actual_access:  read_only
        .address_space:  global
        .offset:         64
        .size:           8
        .value_kind:     global_buffer
      - .offset:         72
        .size:           4
        .value_kind:     by_value
      - .address_space:  global
        .offset:         80
        .size:           8
        .value_kind:     global_buffer
      - .offset:         88
        .size:           4
        .value_kind:     by_value
      - .offset:         92
        .size:           4
        .value_kind:     by_value
      - .offset:         96
        .size:           4
        .value_kind:     by_value
      - .address_space:  global
        .offset:         104
        .size:           8
        .value_kind:     global_buffer
      - .address_space:  global
        .offset:         112
        .size:           8
        .value_kind:     global_buffer
      - .offset:         120
        .size:           4
        .value_kind:     by_value
      - .offset:         124
        .size:           4
        .value_kind:     by_value
      - .offset:         128
        .size:           4
        .value_kind:     by_value
      - .offset:         132
        .size:           4
        .value_kind:     by_value
      - .offset:         136
        .size:           4
        .value_kind:     by_value
      - .offset:         144
        .size:           4
        .value_kind:     hidden_block_count_x
      - .offset:         148
        .size:           4
        .value_kind:     hidden_block_count_y
      - .offset:         152
        .size:           4
        .value_kind:     hidden_block_count_z
      - .offset:         156
        .size:           2
        .value_kind:     hidden_group_size_x
      - .offset:         158
        .size:           2
        .value_kind:     hidden_group_size_y
      - .offset:         160
        .size:           2
        .value_kind:     hidden_group_size_z
      - .offset:         162
        .size:           2
        .value_kind:     hidden_remainder_x
      - .offset:         164
        .size:           2
        .value_kind:     hidden_remainder_y
      - .offset:         166
        .size:           2
        .value_kind:     hidden_remainder_z
      - .offset:         184
        .size:           8
        .value_kind:     hidden_global_offset_x
      - .offset:         192
        .size:           8
        .value_kind:     hidden_global_offset_y
      - .offset:         200
        .size:           8
        .value_kind:     hidden_global_offset_z
      - .offset:         208
        .size:           2
        .value_kind:     hidden_grid_dims
      - .offset:         264
        .size:           4
        .value_kind:     hidden_dynamic_lds_size
    .group_segment_fixed_size: 800
    .kernarg_segment_align: 8
    .kernarg_segment_size: 400
    .language:       OpenCL C
    .language_version:
      - 2
      - 0
    .max_flat_workgroup_size: 1024
    .name:           _ZN4vllm25paged_attention_v2_kernelIfhLi192ELi32ELi128ELNS_18Fp8KVCacheDataTypeE1ELb0ELi512EEEvPfS2_PT_PKS3_PKT0_S9_ifPKiSB_iPKfiiiSD_SD_iiiii
    .private_segment_fixed_size: 2280
    .sgpr_count:     46
    .sgpr_spill_count: 0
    .symbol:         _ZN4vllm25paged_attention_v2_kernelIfhLi192ELi32ELi128ELNS_18Fp8KVCacheDataTypeE1ELb0ELi512EEEvPfS2_PT_PKS3_PKT0_S9_ifPKiSB_iPKfiiiSD_SD_iiiii.kd
    .uniform_work_group_size: 1
    .uses_dynamic_stack: false
    .vgpr_count:     192
    .vgpr_spill_count: 0
    .wavefront_size: 32
    .workgroup_processor_mode: 1
  - .args:
      - .actual_access:  write_only
        .address_space:  global
        .offset:         0
        .size:           8
        .value_kind:     global_buffer
      - .actual_access:  write_only
        .address_space:  global
        .offset:         8
        .size:           8
        .value_kind:     global_buffer
      - .actual_access:  write_only
        .address_space:  global
        .offset:         16
        .size:           8
        .value_kind:     global_buffer
      - .actual_access:  read_only
        .address_space:  global
        .offset:         24
        .size:           8
        .value_kind:     global_buffer
      - .actual_access:  read_only
        .address_space:  global
        .offset:         32
        .size:           8
        .value_kind:     global_buffer
      - .actual_access:  read_only
        .address_space:  global
        .offset:         40
        .size:           8
        .value_kind:     global_buffer
      - .offset:         48
        .size:           4
        .value_kind:     by_value
      - .offset:         52
        .size:           4
        .value_kind:     by_value
      - .actual_access:  read_only
        .address_space:  global
        .offset:         56
        .size:           8
        .value_kind:     global_buffer
      - .actual_access:  read_only
        .address_space:  global
        .offset:         64
        .size:           8
        .value_kind:     global_buffer
      - .offset:         72
        .size:           4
        .value_kind:     by_value
      - .address_space:  global
        .offset:         80
        .size:           8
        .value_kind:     global_buffer
      - .offset:         88
        .size:           4
        .value_kind:     by_value
      - .offset:         92
        .size:           4
        .value_kind:     by_value
      - .offset:         96
        .size:           4
        .value_kind:     by_value
      - .address_space:  global
        .offset:         104
        .size:           8
        .value_kind:     global_buffer
      - .address_space:  global
        .offset:         112
        .size:           8
        .value_kind:     global_buffer
      - .offset:         120
        .size:           4
        .value_kind:     by_value
      - .offset:         124
        .size:           4
        .value_kind:     by_value
      - .offset:         128
        .size:           4
        .value_kind:     by_value
      - .offset:         132
        .size:           4
        .value_kind:     by_value
      - .offset:         136
        .size:           4
        .value_kind:     by_value
      - .offset:         144
        .size:           4
        .value_kind:     hidden_block_count_x
      - .offset:         148
        .size:           4
        .value_kind:     hidden_block_count_y
      - .offset:         152
        .size:           4
        .value_kind:     hidden_block_count_z
      - .offset:         156
        .size:           2
        .value_kind:     hidden_group_size_x
      - .offset:         158
        .size:           2
        .value_kind:     hidden_group_size_y
      - .offset:         160
        .size:           2
        .value_kind:     hidden_group_size_z
      - .offset:         162
        .size:           2
        .value_kind:     hidden_remainder_x
      - .offset:         164
        .size:           2
        .value_kind:     hidden_remainder_y
      - .offset:         166
        .size:           2
        .value_kind:     hidden_remainder_z
      - .offset:         184
        .size:           8
        .value_kind:     hidden_global_offset_x
      - .offset:         192
        .size:           8
        .value_kind:     hidden_global_offset_y
      - .offset:         200
        .size:           8
        .value_kind:     hidden_global_offset_z
      - .offset:         208
        .size:           2
        .value_kind:     hidden_grid_dims
      - .offset:         264
        .size:           4
        .value_kind:     hidden_dynamic_lds_size
    .group_segment_fixed_size: 1056
    .kernarg_segment_align: 8
    .kernarg_segment_size: 400
    .language:       OpenCL C
    .language_version:
      - 2
      - 0
    .max_flat_workgroup_size: 1024
    .name:           _ZN4vllm25paged_attention_v2_kernelIfhLi256ELi32ELi128ELNS_18Fp8KVCacheDataTypeE1ELb0ELi512EEEvPfS2_PT_PKS3_PKT0_S9_ifPKiSB_iPKfiiiSD_SD_iiiii
    .private_segment_fixed_size: 3152
    .sgpr_count:     46
    .sgpr_spill_count: 0
    .symbol:         _ZN4vllm25paged_attention_v2_kernelIfhLi256ELi32ELi128ELNS_18Fp8KVCacheDataTypeE1ELb0ELi512EEEvPfS2_PT_PKS3_PKT0_S9_ifPKiSB_iPKfiiiSD_SD_iiiii.kd
    .uniform_work_group_size: 1
    .uses_dynamic_stack: false
    .vgpr_count:     192
    .vgpr_spill_count: 0
    .wavefront_size: 32
    .workgroup_processor_mode: 1
  - .args:
      - .actual_access:  write_only
        .address_space:  global
        .offset:         0
        .size:           8
        .value_kind:     global_buffer
      - .actual_access:  write_only
        .address_space:  global
        .offset:         8
        .size:           8
        .value_kind:     global_buffer
      - .actual_access:  write_only
        .address_space:  global
        .offset:         16
        .size:           8
        .value_kind:     global_buffer
      - .actual_access:  read_only
        .address_space:  global
        .offset:         24
        .size:           8
        .value_kind:     global_buffer
      - .actual_access:  read_only
        .address_space:  global
        .offset:         32
        .size:           8
        .value_kind:     global_buffer
      - .actual_access:  read_only
        .address_space:  global
        .offset:         40
        .size:           8
        .value_kind:     global_buffer
      - .offset:         48
        .size:           4
        .value_kind:     by_value
      - .offset:         52
        .size:           4
        .value_kind:     by_value
      - .actual_access:  read_only
        .address_space:  global
        .offset:         56
        .size:           8
        .value_kind:     global_buffer
      - .actual_access:  read_only
        .address_space:  global
        .offset:         64
        .size:           8
        .value_kind:     global_buffer
      - .offset:         72
        .size:           4
        .value_kind:     by_value
      - .actual_access:  read_only
        .address_space:  global
        .offset:         80
        .size:           8
        .value_kind:     global_buffer
      - .offset:         88
        .size:           4
        .value_kind:     by_value
      - .offset:         92
        .size:           4
        .value_kind:     by_value
      - .offset:         96
        .size:           4
        .value_kind:     by_value
      - .address_space:  global
        .offset:         104
        .size:           8
        .value_kind:     global_buffer
      - .address_space:  global
        .offset:         112
        .size:           8
        .value_kind:     global_buffer
      - .offset:         120
        .size:           4
        .value_kind:     by_value
      - .offset:         124
        .size:           4
        .value_kind:     by_value
      - .offset:         128
        .size:           4
        .value_kind:     by_value
      - .offset:         132
        .size:           4
        .value_kind:     by_value
      - .offset:         136
        .size:           4
        .value_kind:     by_value
      - .offset:         144
        .size:           4
        .value_kind:     hidden_block_count_x
      - .offset:         148
        .size:           4
        .value_kind:     hidden_block_count_y
      - .offset:         152
        .size:           4
        .value_kind:     hidden_block_count_z
      - .offset:         156
        .size:           2
        .value_kind:     hidden_group_size_x
      - .offset:         158
        .size:           2
        .value_kind:     hidden_group_size_y
      - .offset:         160
        .size:           2
        .value_kind:     hidden_group_size_z
      - .offset:         162
        .size:           2
        .value_kind:     hidden_remainder_x
      - .offset:         164
        .size:           2
        .value_kind:     hidden_remainder_y
      - .offset:         166
        .size:           2
        .value_kind:     hidden_remainder_z
      - .offset:         184
        .size:           8
        .value_kind:     hidden_global_offset_x
      - .offset:         192
        .size:           8
        .value_kind:     hidden_global_offset_y
      - .offset:         200
        .size:           8
        .value_kind:     hidden_global_offset_z
      - .offset:         208
        .size:           2
        .value_kind:     hidden_grid_dims
      - .offset:         264
        .size:           4
        .value_kind:     hidden_dynamic_lds_size
    .group_segment_fixed_size: 96
    .kernarg_segment_align: 8
    .kernarg_segment_size: 400
    .language:       OpenCL C
    .language_version:
      - 2
      - 0
    .max_flat_workgroup_size: 1024
    .name:           _ZN4vllm25paged_attention_v2_kernelIthLi32ELi8ELi128ELNS_18Fp8KVCacheDataTypeE1ELb1ELi512EEEvPfS2_PT_PKS3_PKT0_S9_ifPKiSB_iPKfiiiSD_SD_iiiii
    .private_segment_fixed_size: 0
    .sgpr_count:     54
    .sgpr_spill_count: 0
    .symbol:         _ZN4vllm25paged_attention_v2_kernelIthLi32ELi8ELi128ELNS_18Fp8KVCacheDataTypeE1ELb1ELi512EEEvPfS2_PT_PKS3_PKT0_S9_ifPKiSB_iPKfiiiSD_SD_iiiii.kd
    .uniform_work_group_size: 1
    .uses_dynamic_stack: false
    .vgpr_count:     37
    .vgpr_spill_count: 0
    .wavefront_size: 32
    .workgroup_processor_mode: 1
  - .args:
      - .actual_access:  write_only
        .address_space:  global
        .offset:         0
        .size:           8
        .value_kind:     global_buffer
      - .actual_access:  write_only
        .address_space:  global
        .offset:         8
        .size:           8
        .value_kind:     global_buffer
      - .actual_access:  write_only
        .address_space:  global
        .offset:         16
        .size:           8
        .value_kind:     global_buffer
      - .actual_access:  read_only
        .address_space:  global
        .offset:         24
        .size:           8
        .value_kind:     global_buffer
      - .actual_access:  read_only
        .address_space:  global
        .offset:         32
        .size:           8
        .value_kind:     global_buffer
      - .actual_access:  read_only
        .address_space:  global
        .offset:         40
        .size:           8
        .value_kind:     global_buffer
      - .offset:         48
        .size:           4
        .value_kind:     by_value
      - .offset:         52
        .size:           4
        .value_kind:     by_value
      - .actual_access:  read_only
        .address_space:  global
        .offset:         56
        .size:           8
        .value_kind:     global_buffer
      - .actual_access:  read_only
        .address_space:  global
        .offset:         64
        .size:           8
        .value_kind:     global_buffer
      - .offset:         72
        .size:           4
        .value_kind:     by_value
      - .actual_access:  read_only
        .address_space:  global
        .offset:         80
        .size:           8
        .value_kind:     global_buffer
      - .offset:         88
        .size:           4
        .value_kind:     by_value
      - .offset:         92
        .size:           4
        .value_kind:     by_value
      - .offset:         96
        .size:           4
        .value_kind:     by_value
      - .address_space:  global
        .offset:         104
        .size:           8
        .value_kind:     global_buffer
      - .address_space:  global
        .offset:         112
        .size:           8
        .value_kind:     global_buffer
      - .offset:         120
        .size:           4
        .value_kind:     by_value
      - .offset:         124
        .size:           4
        .value_kind:     by_value
      - .offset:         128
        .size:           4
        .value_kind:     by_value
      - .offset:         132
        .size:           4
        .value_kind:     by_value
      - .offset:         136
        .size:           4
        .value_kind:     by_value
      - .offset:         144
        .size:           4
        .value_kind:     hidden_block_count_x
      - .offset:         148
        .size:           4
        .value_kind:     hidden_block_count_y
      - .offset:         152
        .size:           4
        .value_kind:     hidden_block_count_z
      - .offset:         156
        .size:           2
        .value_kind:     hidden_group_size_x
      - .offset:         158
        .size:           2
        .value_kind:     hidden_group_size_y
      - .offset:         160
        .size:           2
        .value_kind:     hidden_group_size_z
      - .offset:         162
        .size:           2
        .value_kind:     hidden_remainder_x
      - .offset:         164
        .size:           2
        .value_kind:     hidden_remainder_y
      - .offset:         166
        .size:           2
        .value_kind:     hidden_remainder_z
      - .offset:         184
        .size:           8
        .value_kind:     hidden_global_offset_x
      - .offset:         192
        .size:           8
        .value_kind:     hidden_global_offset_y
      - .offset:         200
        .size:           8
        .value_kind:     hidden_global_offset_z
      - .offset:         208
        .size:           2
        .value_kind:     hidden_grid_dims
      - .offset:         264
        .size:           4
        .value_kind:     hidden_dynamic_lds_size
    .group_segment_fixed_size: 160
    .kernarg_segment_align: 8
    .kernarg_segment_size: 400
    .language:       OpenCL C
    .language_version:
      - 2
      - 0
    .max_flat_workgroup_size: 1024
    .name:           _ZN4vllm25paged_attention_v2_kernelIthLi64ELi8ELi128ELNS_18Fp8KVCacheDataTypeE1ELb1ELi512EEEvPfS2_PT_PKS3_PKT0_S9_ifPKiSB_iPKfiiiSD_SD_iiiii
    .private_segment_fixed_size: 0
    .sgpr_count:     55
    .sgpr_spill_count: 0
    .symbol:         _ZN4vllm25paged_attention_v2_kernelIthLi64ELi8ELi128ELNS_18Fp8KVCacheDataTypeE1ELb1ELi512EEEvPfS2_PT_PKS3_PKT0_S9_ifPKiSB_iPKfiiiSD_SD_iiiii.kd
    .uniform_work_group_size: 1
    .uses_dynamic_stack: false
    .vgpr_count:     51
    .vgpr_spill_count: 0
    .wavefront_size: 32
    .workgroup_processor_mode: 1
  - .args:
      - .actual_access:  write_only
        .address_space:  global
        .offset:         0
        .size:           8
        .value_kind:     global_buffer
      - .actual_access:  write_only
        .address_space:  global
        .offset:         8
        .size:           8
        .value_kind:     global_buffer
      - .actual_access:  write_only
        .address_space:  global
        .offset:         16
        .size:           8
        .value_kind:     global_buffer
      - .actual_access:  read_only
        .address_space:  global
        .offset:         24
        .size:           8
        .value_kind:     global_buffer
      - .actual_access:  read_only
        .address_space:  global
        .offset:         32
        .size:           8
        .value_kind:     global_buffer
      - .actual_access:  read_only
        .address_space:  global
        .offset:         40
        .size:           8
        .value_kind:     global_buffer
      - .offset:         48
        .size:           4
        .value_kind:     by_value
      - .offset:         52
        .size:           4
        .value_kind:     by_value
      - .actual_access:  read_only
        .address_space:  global
        .offset:         56
        .size:           8
        .value_kind:     global_buffer
      - .actual_access:  read_only
        .address_space:  global
        .offset:         64
        .size:           8
        .value_kind:     global_buffer
      - .offset:         72
        .size:           4
        .value_kind:     by_value
      - .actual_access:  read_only
        .address_space:  global
        .offset:         80
        .size:           8
        .value_kind:     global_buffer
      - .offset:         88
        .size:           4
        .value_kind:     by_value
      - .offset:         92
        .size:           4
        .value_kind:     by_value
      - .offset:         96
        .size:           4
        .value_kind:     by_value
      - .address_space:  global
        .offset:         104
        .size:           8
        .value_kind:     global_buffer
      - .address_space:  global
        .offset:         112
        .size:           8
        .value_kind:     global_buffer
      - .offset:         120
        .size:           4
        .value_kind:     by_value
      - .offset:         124
        .size:           4
        .value_kind:     by_value
      - .offset:         128
        .size:           4
        .value_kind:     by_value
      - .offset:         132
        .size:           4
        .value_kind:     by_value
      - .offset:         136
        .size:           4
        .value_kind:     by_value
      - .offset:         144
        .size:           4
        .value_kind:     hidden_block_count_x
      - .offset:         148
        .size:           4
        .value_kind:     hidden_block_count_y
      - .offset:         152
        .size:           4
        .value_kind:     hidden_block_count_z
      - .offset:         156
        .size:           2
        .value_kind:     hidden_group_size_x
      - .offset:         158
        .size:           2
        .value_kind:     hidden_group_size_y
      - .offset:         160
        .size:           2
        .value_kind:     hidden_group_size_z
      - .offset:         162
        .size:           2
        .value_kind:     hidden_remainder_x
      - .offset:         164
        .size:           2
        .value_kind:     hidden_remainder_y
      - .offset:         166
        .size:           2
        .value_kind:     hidden_remainder_z
      - .offset:         184
        .size:           8
        .value_kind:     hidden_global_offset_x
      - .offset:         192
        .size:           8
        .value_kind:     hidden_global_offset_y
      - .offset:         200
        .size:           8
        .value_kind:     hidden_global_offset_z
      - .offset:         208
        .size:           2
        .value_kind:     hidden_grid_dims
      - .offset:         264
        .size:           4
        .value_kind:     hidden_dynamic_lds_size
    .group_segment_fixed_size: 192
    .kernarg_segment_align: 8
    .kernarg_segment_size: 400
    .language:       OpenCL C
    .language_version:
      - 2
      - 0
    .max_flat_workgroup_size: 1024
    .name:           _ZN4vllm25paged_attention_v2_kernelIthLi80ELi8ELi128ELNS_18Fp8KVCacheDataTypeE1ELb1ELi512EEEvPfS2_PT_PKS3_PKT0_S9_ifPKiSB_iPKfiiiSD_SD_iiiii
    .private_segment_fixed_size: 0
    .sgpr_count:     54
    .sgpr_spill_count: 0
    .symbol:         _ZN4vllm25paged_attention_v2_kernelIthLi80ELi8ELi128ELNS_18Fp8KVCacheDataTypeE1ELb1ELi512EEEvPfS2_PT_PKS3_PKT0_S9_ifPKiSB_iPKfiiiSD_SD_iiiii.kd
    .uniform_work_group_size: 1
    .uses_dynamic_stack: false
    .vgpr_count:     59
    .vgpr_spill_count: 0
    .wavefront_size: 32
    .workgroup_processor_mode: 1
  - .args:
      - .actual_access:  write_only
        .address_space:  global
        .offset:         0
        .size:           8
        .value_kind:     global_buffer
      - .actual_access:  write_only
        .address_space:  global
        .offset:         8
        .size:           8
        .value_kind:     global_buffer
      - .actual_access:  write_only
        .address_space:  global
        .offset:         16
        .size:           8
        .value_kind:     global_buffer
      - .actual_access:  read_only
        .address_space:  global
        .offset:         24
        .size:           8
        .value_kind:     global_buffer
      - .actual_access:  read_only
        .address_space:  global
        .offset:         32
        .size:           8
        .value_kind:     global_buffer
      - .actual_access:  read_only
        .address_space:  global
        .offset:         40
        .size:           8
        .value_kind:     global_buffer
      - .offset:         48
        .size:           4
        .value_kind:     by_value
      - .offset:         52
        .size:           4
        .value_kind:     by_value
      - .actual_access:  read_only
        .address_space:  global
        .offset:         56
        .size:           8
        .value_kind:     global_buffer
      - .actual_access:  read_only
        .address_space:  global
        .offset:         64
        .size:           8
        .value_kind:     global_buffer
      - .offset:         72
        .size:           4
        .value_kind:     by_value
      - .actual_access:  read_only
        .address_space:  global
        .offset:         80
        .size:           8
        .value_kind:     global_buffer
      - .offset:         88
        .size:           4
        .value_kind:     by_value
      - .offset:         92
        .size:           4
        .value_kind:     by_value
      - .offset:         96
        .size:           4
        .value_kind:     by_value
      - .address_space:  global
        .offset:         104
        .size:           8
        .value_kind:     global_buffer
      - .address_space:  global
        .offset:         112
        .size:           8
        .value_kind:     global_buffer
      - .offset:         120
        .size:           4
        .value_kind:     by_value
      - .offset:         124
        .size:           4
        .value_kind:     by_value
      - .offset:         128
        .size:           4
        .value_kind:     by_value
      - .offset:         132
        .size:           4
        .value_kind:     by_value
      - .offset:         136
        .size:           4
        .value_kind:     by_value
      - .offset:         144
        .size:           4
        .value_kind:     hidden_block_count_x
      - .offset:         148
        .size:           4
        .value_kind:     hidden_block_count_y
      - .offset:         152
        .size:           4
        .value_kind:     hidden_block_count_z
      - .offset:         156
        .size:           2
        .value_kind:     hidden_group_size_x
      - .offset:         158
        .size:           2
        .value_kind:     hidden_group_size_y
      - .offset:         160
        .size:           2
        .value_kind:     hidden_group_size_z
      - .offset:         162
        .size:           2
        .value_kind:     hidden_remainder_x
      - .offset:         164
        .size:           2
        .value_kind:     hidden_remainder_y
      - .offset:         166
        .size:           2
        .value_kind:     hidden_remainder_z
      - .offset:         184
        .size:           8
        .value_kind:     hidden_global_offset_x
      - .offset:         192
        .size:           8
        .value_kind:     hidden_global_offset_y
      - .offset:         200
        .size:           8
        .value_kind:     hidden_global_offset_z
      - .offset:         208
        .size:           2
        .value_kind:     hidden_grid_dims
      - .offset:         264
        .size:           4
        .value_kind:     hidden_dynamic_lds_size
    .group_segment_fixed_size: 224
    .kernarg_segment_align: 8
    .kernarg_segment_size: 400
    .language:       OpenCL C
    .language_version:
      - 2
      - 0
    .max_flat_workgroup_size: 1024
    .name:           _ZN4vllm25paged_attention_v2_kernelIthLi96ELi8ELi128ELNS_18Fp8KVCacheDataTypeE1ELb1ELi512EEEvPfS2_PT_PKS3_PKT0_S9_ifPKiSB_iPKfiiiSD_SD_iiiii
    .private_segment_fixed_size: 0
    .sgpr_count:     54
    .sgpr_spill_count: 0
    .symbol:         _ZN4vllm25paged_attention_v2_kernelIthLi96ELi8ELi128ELNS_18Fp8KVCacheDataTypeE1ELb1ELi512EEEvPfS2_PT_PKS3_PKT0_S9_ifPKiSB_iPKfiiiSD_SD_iiiii.kd
    .uniform_work_group_size: 1
    .uses_dynamic_stack: false
    .vgpr_count:     66
    .vgpr_spill_count: 0
    .wavefront_size: 32
    .workgroup_processor_mode: 1
  - .args:
      - .actual_access:  write_only
        .address_space:  global
        .offset:         0
        .size:           8
        .value_kind:     global_buffer
      - .actual_access:  write_only
        .address_space:  global
        .offset:         8
        .size:           8
        .value_kind:     global_buffer
      - .actual_access:  write_only
        .address_space:  global
        .offset:         16
        .size:           8
        .value_kind:     global_buffer
      - .actual_access:  read_only
        .address_space:  global
        .offset:         24
        .size:           8
        .value_kind:     global_buffer
      - .actual_access:  read_only
        .address_space:  global
        .offset:         32
        .size:           8
        .value_kind:     global_buffer
      - .actual_access:  read_only
        .address_space:  global
        .offset:         40
        .size:           8
        .value_kind:     global_buffer
      - .offset:         48
        .size:           4
        .value_kind:     by_value
      - .offset:         52
        .size:           4
        .value_kind:     by_value
      - .actual_access:  read_only
        .address_space:  global
        .offset:         56
        .size:           8
        .value_kind:     global_buffer
      - .actual_access:  read_only
        .address_space:  global
        .offset:         64
        .size:           8
        .value_kind:     global_buffer
      - .offset:         72
        .size:           4
        .value_kind:     by_value
      - .actual_access:  read_only
        .address_space:  global
        .offset:         80
        .size:           8
        .value_kind:     global_buffer
      - .offset:         88
        .size:           4
        .value_kind:     by_value
      - .offset:         92
        .size:           4
        .value_kind:     by_value
      - .offset:         96
        .size:           4
        .value_kind:     by_value
      - .address_space:  global
        .offset:         104
        .size:           8
        .value_kind:     global_buffer
      - .address_space:  global
        .offset:         112
        .size:           8
        .value_kind:     global_buffer
      - .offset:         120
        .size:           4
        .value_kind:     by_value
      - .offset:         124
        .size:           4
        .value_kind:     by_value
      - .offset:         128
        .size:           4
        .value_kind:     by_value
      - .offset:         132
        .size:           4
        .value_kind:     by_value
      - .offset:         136
        .size:           4
        .value_kind:     by_value
      - .offset:         144
        .size:           4
        .value_kind:     hidden_block_count_x
      - .offset:         148
        .size:           4
        .value_kind:     hidden_block_count_y
      - .offset:         152
        .size:           4
        .value_kind:     hidden_block_count_z
      - .offset:         156
        .size:           2
        .value_kind:     hidden_group_size_x
      - .offset:         158
        .size:           2
        .value_kind:     hidden_group_size_y
      - .offset:         160
        .size:           2
        .value_kind:     hidden_group_size_z
      - .offset:         162
        .size:           2
        .value_kind:     hidden_remainder_x
      - .offset:         164
        .size:           2
        .value_kind:     hidden_remainder_y
      - .offset:         166
        .size:           2
        .value_kind:     hidden_remainder_z
      - .offset:         184
        .size:           8
        .value_kind:     hidden_global_offset_x
      - .offset:         192
        .size:           8
        .value_kind:     hidden_global_offset_y
      - .offset:         200
        .size:           8
        .value_kind:     hidden_global_offset_z
      - .offset:         208
        .size:           2
        .value_kind:     hidden_grid_dims
      - .offset:         264
        .size:           4
        .value_kind:     hidden_dynamic_lds_size
    .group_segment_fixed_size: 256
    .kernarg_segment_align: 8
    .kernarg_segment_size: 400
    .language:       OpenCL C
    .language_version:
      - 2
      - 0
    .max_flat_workgroup_size: 1024
    .name:           _ZN4vllm25paged_attention_v2_kernelIthLi112ELi8ELi128ELNS_18Fp8KVCacheDataTypeE1ELb1ELi512EEEvPfS2_PT_PKS3_PKT0_S9_ifPKiSB_iPKfiiiSD_SD_iiiii
    .private_segment_fixed_size: 0
    .sgpr_count:     54
    .sgpr_spill_count: 0
    .symbol:         _ZN4vllm25paged_attention_v2_kernelIthLi112ELi8ELi128ELNS_18Fp8KVCacheDataTypeE1ELb1ELi512EEEvPfS2_PT_PKS3_PKT0_S9_ifPKiSB_iPKfiiiSD_SD_iiiii.kd
    .uniform_work_group_size: 1
    .uses_dynamic_stack: false
    .vgpr_count:     73
    .vgpr_spill_count: 0
    .wavefront_size: 32
    .workgroup_processor_mode: 1
  - .args:
      - .actual_access:  write_only
        .address_space:  global
        .offset:         0
        .size:           8
        .value_kind:     global_buffer
      - .actual_access:  write_only
        .address_space:  global
        .offset:         8
        .size:           8
        .value_kind:     global_buffer
      - .actual_access:  write_only
        .address_space:  global
        .offset:         16
        .size:           8
        .value_kind:     global_buffer
      - .actual_access:  read_only
        .address_space:  global
        .offset:         24
        .size:           8
        .value_kind:     global_buffer
      - .actual_access:  read_only
        .address_space:  global
        .offset:         32
        .size:           8
        .value_kind:     global_buffer
      - .actual_access:  read_only
        .address_space:  global
        .offset:         40
        .size:           8
        .value_kind:     global_buffer
      - .offset:         48
        .size:           4
        .value_kind:     by_value
      - .offset:         52
        .size:           4
        .value_kind:     by_value
      - .actual_access:  read_only
        .address_space:  global
        .offset:         56
        .size:           8
        .value_kind:     global_buffer
      - .actual_access:  read_only
        .address_space:  global
        .offset:         64
        .size:           8
        .value_kind:     global_buffer
      - .offset:         72
        .size:           4
        .value_kind:     by_value
      - .actual_access:  read_only
        .address_space:  global
        .offset:         80
        .size:           8
        .value_kind:     global_buffer
      - .offset:         88
        .size:           4
        .value_kind:     by_value
      - .offset:         92
        .size:           4
        .value_kind:     by_value
      - .offset:         96
        .size:           4
        .value_kind:     by_value
      - .address_space:  global
        .offset:         104
        .size:           8
        .value_kind:     global_buffer
      - .address_space:  global
        .offset:         112
        .size:           8
        .value_kind:     global_buffer
      - .offset:         120
        .size:           4
        .value_kind:     by_value
      - .offset:         124
        .size:           4
        .value_kind:     by_value
      - .offset:         128
        .size:           4
        .value_kind:     by_value
      - .offset:         132
        .size:           4
        .value_kind:     by_value
      - .offset:         136
        .size:           4
        .value_kind:     by_value
      - .offset:         144
        .size:           4
        .value_kind:     hidden_block_count_x
      - .offset:         148
        .size:           4
        .value_kind:     hidden_block_count_y
      - .offset:         152
        .size:           4
        .value_kind:     hidden_block_count_z
      - .offset:         156
        .size:           2
        .value_kind:     hidden_group_size_x
      - .offset:         158
        .size:           2
        .value_kind:     hidden_group_size_y
      - .offset:         160
        .size:           2
        .value_kind:     hidden_group_size_z
      - .offset:         162
        .size:           2
        .value_kind:     hidden_remainder_x
      - .offset:         164
        .size:           2
        .value_kind:     hidden_remainder_y
      - .offset:         166
        .size:           2
        .value_kind:     hidden_remainder_z
      - .offset:         184
        .size:           8
        .value_kind:     hidden_global_offset_x
      - .offset:         192
        .size:           8
        .value_kind:     hidden_global_offset_y
      - .offset:         200
        .size:           8
        .value_kind:     hidden_global_offset_z
      - .offset:         208
        .size:           2
        .value_kind:     hidden_grid_dims
      - .offset:         264
        .size:           4
        .value_kind:     hidden_dynamic_lds_size
    .group_segment_fixed_size: 272
    .kernarg_segment_align: 8
    .kernarg_segment_size: 400
    .language:       OpenCL C
    .language_version:
      - 2
      - 0
    .max_flat_workgroup_size: 1024
    .name:           _ZN4vllm25paged_attention_v2_kernelIthLi120ELi8ELi128ELNS_18Fp8KVCacheDataTypeE1ELb1ELi512EEEvPfS2_PT_PKS3_PKT0_S9_ifPKiSB_iPKfiiiSD_SD_iiiii
    .private_segment_fixed_size: 0
    .sgpr_count:     54
    .sgpr_spill_count: 0
    .symbol:         _ZN4vllm25paged_attention_v2_kernelIthLi120ELi8ELi128ELNS_18Fp8KVCacheDataTypeE1ELb1ELi512EEEvPfS2_PT_PKS3_PKT0_S9_ifPKiSB_iPKfiiiSD_SD_iiiii.kd
    .uniform_work_group_size: 1
    .uses_dynamic_stack: false
    .vgpr_count:     77
    .vgpr_spill_count: 0
    .wavefront_size: 32
    .workgroup_processor_mode: 1
  - .args:
      - .actual_access:  write_only
        .address_space:  global
        .offset:         0
        .size:           8
        .value_kind:     global_buffer
      - .actual_access:  write_only
        .address_space:  global
        .offset:         8
        .size:           8
        .value_kind:     global_buffer
      - .actual_access:  write_only
        .address_space:  global
        .offset:         16
        .size:           8
        .value_kind:     global_buffer
      - .actual_access:  read_only
        .address_space:  global
        .offset:         24
        .size:           8
        .value_kind:     global_buffer
      - .actual_access:  read_only
        .address_space:  global
        .offset:         32
        .size:           8
        .value_kind:     global_buffer
      - .actual_access:  read_only
        .address_space:  global
        .offset:         40
        .size:           8
        .value_kind:     global_buffer
      - .offset:         48
        .size:           4
        .value_kind:     by_value
      - .offset:         52
        .size:           4
        .value_kind:     by_value
      - .actual_access:  read_only
        .address_space:  global
        .offset:         56
        .size:           8
        .value_kind:     global_buffer
      - .actual_access:  read_only
        .address_space:  global
        .offset:         64
        .size:           8
        .value_kind:     global_buffer
      - .offset:         72
        .size:           4
        .value_kind:     by_value
      - .actual_access:  read_only
        .address_space:  global
        .offset:         80
        .size:           8
        .value_kind:     global_buffer
      - .offset:         88
        .size:           4
        .value_kind:     by_value
      - .offset:         92
        .size:           4
        .value_kind:     by_value
      - .offset:         96
        .size:           4
        .value_kind:     by_value
      - .address_space:  global
        .offset:         104
        .size:           8
        .value_kind:     global_buffer
      - .address_space:  global
        .offset:         112
        .size:           8
        .value_kind:     global_buffer
      - .offset:         120
        .size:           4
        .value_kind:     by_value
      - .offset:         124
        .size:           4
        .value_kind:     by_value
      - .offset:         128
        .size:           4
        .value_kind:     by_value
      - .offset:         132
        .size:           4
        .value_kind:     by_value
      - .offset:         136
        .size:           4
        .value_kind:     by_value
      - .offset:         144
        .size:           4
        .value_kind:     hidden_block_count_x
      - .offset:         148
        .size:           4
        .value_kind:     hidden_block_count_y
      - .offset:         152
        .size:           4
        .value_kind:     hidden_block_count_z
      - .offset:         156
        .size:           2
        .value_kind:     hidden_group_size_x
      - .offset:         158
        .size:           2
        .value_kind:     hidden_group_size_y
      - .offset:         160
        .size:           2
        .value_kind:     hidden_group_size_z
      - .offset:         162
        .size:           2
        .value_kind:     hidden_remainder_x
      - .offset:         164
        .size:           2
        .value_kind:     hidden_remainder_y
      - .offset:         166
        .size:           2
        .value_kind:     hidden_remainder_z
      - .offset:         184
        .size:           8
        .value_kind:     hidden_global_offset_x
      - .offset:         192
        .size:           8
        .value_kind:     hidden_global_offset_y
      - .offset:         200
        .size:           8
        .value_kind:     hidden_global_offset_z
      - .offset:         208
        .size:           2
        .value_kind:     hidden_grid_dims
      - .offset:         264
        .size:           4
        .value_kind:     hidden_dynamic_lds_size
    .group_segment_fixed_size: 288
    .kernarg_segment_align: 8
    .kernarg_segment_size: 400
    .language:       OpenCL C
    .language_version:
      - 2
      - 0
    .max_flat_workgroup_size: 1024
    .name:           _ZN4vllm25paged_attention_v2_kernelIthLi128ELi8ELi128ELNS_18Fp8KVCacheDataTypeE1ELb1ELi512EEEvPfS2_PT_PKS3_PKT0_S9_ifPKiSB_iPKfiiiSD_SD_iiiii
    .private_segment_fixed_size: 0
    .sgpr_count:     55
    .sgpr_spill_count: 0
    .symbol:         _ZN4vllm25paged_attention_v2_kernelIthLi128ELi8ELi128ELNS_18Fp8KVCacheDataTypeE1ELb1ELi512EEEvPfS2_PT_PKS3_PKT0_S9_ifPKiSB_iPKfiiiSD_SD_iiiii.kd
    .uniform_work_group_size: 1
    .uses_dynamic_stack: false
    .vgpr_count:     82
    .vgpr_spill_count: 0
    .wavefront_size: 32
    .workgroup_processor_mode: 1
  - .args:
      - .actual_access:  write_only
        .address_space:  global
        .offset:         0
        .size:           8
        .value_kind:     global_buffer
      - .actual_access:  write_only
        .address_space:  global
        .offset:         8
        .size:           8
        .value_kind:     global_buffer
      - .actual_access:  write_only
        .address_space:  global
        .offset:         16
        .size:           8
        .value_kind:     global_buffer
      - .actual_access:  read_only
        .address_space:  global
        .offset:         24
        .size:           8
        .value_kind:     global_buffer
      - .actual_access:  read_only
        .address_space:  global
        .offset:         32
        .size:           8
        .value_kind:     global_buffer
      - .actual_access:  read_only
        .address_space:  global
        .offset:         40
        .size:           8
        .value_kind:     global_buffer
      - .offset:         48
        .size:           4
        .value_kind:     by_value
      - .offset:         52
        .size:           4
        .value_kind:     by_value
      - .actual_access:  read_only
        .address_space:  global
        .offset:         56
        .size:           8
        .value_kind:     global_buffer
      - .actual_access:  read_only
        .address_space:  global
        .offset:         64
        .size:           8
        .value_kind:     global_buffer
      - .offset:         72
        .size:           4
        .value_kind:     by_value
      - .address_space:  global
        .offset:         80
        .size:           8
        .value_kind:     global_buffer
      - .offset:         88
        .size:           4
        .value_kind:     by_value
      - .offset:         92
        .size:           4
        .value_kind:     by_value
      - .offset:         96
        .size:           4
        .value_kind:     by_value
      - .address_space:  global
        .offset:         104
        .size:           8
        .value_kind:     global_buffer
      - .address_space:  global
        .offset:         112
        .size:           8
        .value_kind:     global_buffer
      - .offset:         120
        .size:           4
        .value_kind:     by_value
      - .offset:         124
        .size:           4
        .value_kind:     by_value
      - .offset:         128
        .size:           4
        .value_kind:     by_value
      - .offset:         132
        .size:           4
        .value_kind:     by_value
      - .offset:         136
        .size:           4
        .value_kind:     by_value
      - .offset:         144
        .size:           4
        .value_kind:     hidden_block_count_x
      - .offset:         148
        .size:           4
        .value_kind:     hidden_block_count_y
      - .offset:         152
        .size:           4
        .value_kind:     hidden_block_count_z
      - .offset:         156
        .size:           2
        .value_kind:     hidden_group_size_x
      - .offset:         158
        .size:           2
        .value_kind:     hidden_group_size_y
      - .offset:         160
        .size:           2
        .value_kind:     hidden_group_size_z
      - .offset:         162
        .size:           2
        .value_kind:     hidden_remainder_x
      - .offset:         164
        .size:           2
        .value_kind:     hidden_remainder_y
      - .offset:         166
        .size:           2
        .value_kind:     hidden_remainder_z
      - .offset:         184
        .size:           8
        .value_kind:     hidden_global_offset_x
      - .offset:         192
        .size:           8
        .value_kind:     hidden_global_offset_y
      - .offset:         200
        .size:           8
        .value_kind:     hidden_global_offset_z
      - .offset:         208
        .size:           2
        .value_kind:     hidden_grid_dims
      - .offset:         264
        .size:           4
        .value_kind:     hidden_dynamic_lds_size
    .group_segment_fixed_size: 416
    .kernarg_segment_align: 8
    .kernarg_segment_size: 400
    .language:       OpenCL C
    .language_version:
      - 2
      - 0
    .max_flat_workgroup_size: 1024
    .name:           _ZN4vllm25paged_attention_v2_kernelIthLi192ELi8ELi128ELNS_18Fp8KVCacheDataTypeE1ELb1ELi512EEEvPfS2_PT_PKS3_PKT0_S9_ifPKiSB_iPKfiiiSD_SD_iiiii
    .private_segment_fixed_size: 12
    .sgpr_count:     46
    .sgpr_spill_count: 0
    .symbol:         _ZN4vllm25paged_attention_v2_kernelIthLi192ELi8ELi128ELNS_18Fp8KVCacheDataTypeE1ELb1ELi512EEEvPfS2_PT_PKS3_PKT0_S9_ifPKiSB_iPKfiiiSD_SD_iiiii.kd
    .uniform_work_group_size: 1
    .uses_dynamic_stack: false
    .vgpr_count:     179
    .vgpr_spill_count: 0
    .wavefront_size: 32
    .workgroup_processor_mode: 1
  - .args:
      - .actual_access:  write_only
        .address_space:  global
        .offset:         0
        .size:           8
        .value_kind:     global_buffer
      - .actual_access:  write_only
        .address_space:  global
        .offset:         8
        .size:           8
        .value_kind:     global_buffer
      - .actual_access:  write_only
        .address_space:  global
        .offset:         16
        .size:           8
        .value_kind:     global_buffer
      - .actual_access:  read_only
        .address_space:  global
        .offset:         24
        .size:           8
        .value_kind:     global_buffer
      - .actual_access:  read_only
        .address_space:  global
        .offset:         32
        .size:           8
        .value_kind:     global_buffer
      - .actual_access:  read_only
        .address_space:  global
        .offset:         40
        .size:           8
        .value_kind:     global_buffer
      - .offset:         48
        .size:           4
        .value_kind:     by_value
      - .offset:         52
        .size:           4
        .value_kind:     by_value
      - .actual_access:  read_only
        .address_space:  global
        .offset:         56
        .size:           8
        .value_kind:     global_buffer
      - .actual_access:  read_only
        .address_space:  global
        .offset:         64
        .size:           8
        .value_kind:     global_buffer
      - .offset:         72
        .size:           4
        .value_kind:     by_value
      - .address_space:  global
        .offset:         80
        .size:           8
        .value_kind:     global_buffer
      - .offset:         88
        .size:           4
        .value_kind:     by_value
      - .offset:         92
        .size:           4
        .value_kind:     by_value
      - .offset:         96
        .size:           4
        .value_kind:     by_value
      - .address_space:  global
        .offset:         104
        .size:           8
        .value_kind:     global_buffer
      - .address_space:  global
        .offset:         112
        .size:           8
        .value_kind:     global_buffer
      - .offset:         120
        .size:           4
        .value_kind:     by_value
      - .offset:         124
        .size:           4
        .value_kind:     by_value
      - .offset:         128
        .size:           4
        .value_kind:     by_value
      - .offset:         132
        .size:           4
        .value_kind:     by_value
      - .offset:         136
        .size:           4
        .value_kind:     by_value
      - .offset:         144
        .size:           4
        .value_kind:     hidden_block_count_x
      - .offset:         148
        .size:           4
        .value_kind:     hidden_block_count_y
      - .offset:         152
        .size:           4
        .value_kind:     hidden_block_count_z
      - .offset:         156
        .size:           2
        .value_kind:     hidden_group_size_x
      - .offset:         158
        .size:           2
        .value_kind:     hidden_group_size_y
      - .offset:         160
        .size:           2
        .value_kind:     hidden_group_size_z
      - .offset:         162
        .size:           2
        .value_kind:     hidden_remainder_x
      - .offset:         164
        .size:           2
        .value_kind:     hidden_remainder_y
      - .offset:         166
        .size:           2
        .value_kind:     hidden_remainder_z
      - .offset:         184
        .size:           8
        .value_kind:     hidden_global_offset_x
      - .offset:         192
        .size:           8
        .value_kind:     hidden_global_offset_y
      - .offset:         200
        .size:           8
        .value_kind:     hidden_global_offset_z
      - .offset:         208
        .size:           2
        .value_kind:     hidden_grid_dims
      - .offset:         264
        .size:           4
        .value_kind:     hidden_dynamic_lds_size
    .group_segment_fixed_size: 544
    .kernarg_segment_align: 8
    .kernarg_segment_size: 400
    .language:       OpenCL C
    .language_version:
      - 2
      - 0
    .max_flat_workgroup_size: 1024
    .name:           _ZN4vllm25paged_attention_v2_kernelIthLi256ELi8ELi128ELNS_18Fp8KVCacheDataTypeE1ELb1ELi512EEEvPfS2_PT_PKS3_PKT0_S9_ifPKiSB_iPKfiiiSD_SD_iiiii
    .private_segment_fixed_size: 60
    .sgpr_count:     46
    .sgpr_spill_count: 0
    .symbol:         _ZN4vllm25paged_attention_v2_kernelIthLi256ELi8ELi128ELNS_18Fp8KVCacheDataTypeE1ELb1ELi512EEEvPfS2_PT_PKS3_PKT0_S9_ifPKiSB_iPKfiiiSD_SD_iiiii.kd
    .uniform_work_group_size: 1
    .uses_dynamic_stack: false
    .vgpr_count:     184
    .vgpr_spill_count: 0
    .wavefront_size: 32
    .workgroup_processor_mode: 1
  - .args:
      - .actual_access:  write_only
        .address_space:  global
        .offset:         0
        .size:           8
        .value_kind:     global_buffer
      - .actual_access:  write_only
        .address_space:  global
        .offset:         8
        .size:           8
        .value_kind:     global_buffer
      - .actual_access:  write_only
        .address_space:  global
        .offset:         16
        .size:           8
        .value_kind:     global_buffer
      - .actual_access:  read_only
        .address_space:  global
        .offset:         24
        .size:           8
        .value_kind:     global_buffer
      - .actual_access:  read_only
        .address_space:  global
        .offset:         32
        .size:           8
        .value_kind:     global_buffer
      - .actual_access:  read_only
        .address_space:  global
        .offset:         40
        .size:           8
        .value_kind:     global_buffer
      - .offset:         48
        .size:           4
        .value_kind:     by_value
      - .offset:         52
        .size:           4
        .value_kind:     by_value
      - .actual_access:  read_only
        .address_space:  global
        .offset:         56
        .size:           8
        .value_kind:     global_buffer
      - .actual_access:  read_only
        .address_space:  global
        .offset:         64
        .size:           8
        .value_kind:     global_buffer
      - .offset:         72
        .size:           4
        .value_kind:     by_value
      - .actual_access:  read_only
        .address_space:  global
        .offset:         80
        .size:           8
        .value_kind:     global_buffer
      - .offset:         88
        .size:           4
        .value_kind:     by_value
      - .offset:         92
        .size:           4
        .value_kind:     by_value
      - .offset:         96
        .size:           4
        .value_kind:     by_value
      - .address_space:  global
        .offset:         104
        .size:           8
        .value_kind:     global_buffer
      - .address_space:  global
        .offset:         112
        .size:           8
        .value_kind:     global_buffer
      - .offset:         120
        .size:           4
        .value_kind:     by_value
      - .offset:         124
        .size:           4
        .value_kind:     by_value
      - .offset:         128
        .size:           4
        .value_kind:     by_value
      - .offset:         132
        .size:           4
        .value_kind:     by_value
      - .offset:         136
        .size:           4
        .value_kind:     by_value
      - .offset:         144
        .size:           4
        .value_kind:     hidden_block_count_x
      - .offset:         148
        .size:           4
        .value_kind:     hidden_block_count_y
      - .offset:         152
        .size:           4
        .value_kind:     hidden_block_count_z
      - .offset:         156
        .size:           2
        .value_kind:     hidden_group_size_x
      - .offset:         158
        .size:           2
        .value_kind:     hidden_group_size_y
      - .offset:         160
        .size:           2
        .value_kind:     hidden_group_size_z
      - .offset:         162
        .size:           2
        .value_kind:     hidden_remainder_x
      - .offset:         164
        .size:           2
        .value_kind:     hidden_remainder_y
      - .offset:         166
        .size:           2
        .value_kind:     hidden_remainder_z
      - .offset:         184
        .size:           8
        .value_kind:     hidden_global_offset_x
      - .offset:         192
        .size:           8
        .value_kind:     hidden_global_offset_y
      - .offset:         200
        .size:           8
        .value_kind:     hidden_global_offset_z
      - .offset:         208
        .size:           2
        .value_kind:     hidden_grid_dims
      - .offset:         264
        .size:           4
        .value_kind:     hidden_dynamic_lds_size
    .group_segment_fixed_size: 96
    .kernarg_segment_align: 8
    .kernarg_segment_size: 400
    .language:       OpenCL C
    .language_version:
      - 2
      - 0
    .max_flat_workgroup_size: 1024
    .name:           _ZN4vllm25paged_attention_v2_kernelIthLi32ELi8ELi128ELNS_18Fp8KVCacheDataTypeE1ELb0ELi512EEEvPfS2_PT_PKS3_PKT0_S9_ifPKiSB_iPKfiiiSD_SD_iiiii
    .private_segment_fixed_size: 0
    .sgpr_count:     45
    .sgpr_spill_count: 0
    .symbol:         _ZN4vllm25paged_attention_v2_kernelIthLi32ELi8ELi128ELNS_18Fp8KVCacheDataTypeE1ELb0ELi512EEEvPfS2_PT_PKS3_PKT0_S9_ifPKiSB_iPKfiiiSD_SD_iiiii.kd
    .uniform_work_group_size: 1
    .uses_dynamic_stack: false
    .vgpr_count:     34
    .vgpr_spill_count: 0
    .wavefront_size: 32
    .workgroup_processor_mode: 1
  - .args:
      - .actual_access:  write_only
        .address_space:  global
        .offset:         0
        .size:           8
        .value_kind:     global_buffer
      - .actual_access:  write_only
        .address_space:  global
        .offset:         8
        .size:           8
        .value_kind:     global_buffer
      - .actual_access:  write_only
        .address_space:  global
        .offset:         16
        .size:           8
        .value_kind:     global_buffer
      - .actual_access:  read_only
        .address_space:  global
        .offset:         24
        .size:           8
        .value_kind:     global_buffer
      - .actual_access:  read_only
        .address_space:  global
        .offset:         32
        .size:           8
        .value_kind:     global_buffer
      - .actual_access:  read_only
        .address_space:  global
        .offset:         40
        .size:           8
        .value_kind:     global_buffer
      - .offset:         48
        .size:           4
        .value_kind:     by_value
      - .offset:         52
        .size:           4
        .value_kind:     by_value
      - .actual_access:  read_only
        .address_space:  global
        .offset:         56
        .size:           8
        .value_kind:     global_buffer
      - .actual_access:  read_only
        .address_space:  global
        .offset:         64
        .size:           8
        .value_kind:     global_buffer
      - .offset:         72
        .size:           4
        .value_kind:     by_value
      - .actual_access:  read_only
        .address_space:  global
        .offset:         80
        .size:           8
        .value_kind:     global_buffer
      - .offset:         88
        .size:           4
        .value_kind:     by_value
      - .offset:         92
        .size:           4
        .value_kind:     by_value
      - .offset:         96
        .size:           4
        .value_kind:     by_value
      - .address_space:  global
        .offset:         104
        .size:           8
        .value_kind:     global_buffer
      - .address_space:  global
        .offset:         112
        .size:           8
        .value_kind:     global_buffer
      - .offset:         120
        .size:           4
        .value_kind:     by_value
      - .offset:         124
        .size:           4
        .value_kind:     by_value
      - .offset:         128
        .size:           4
        .value_kind:     by_value
      - .offset:         132
        .size:           4
        .value_kind:     by_value
      - .offset:         136
        .size:           4
        .value_kind:     by_value
      - .offset:         144
        .size:           4
        .value_kind:     hidden_block_count_x
      - .offset:         148
        .size:           4
        .value_kind:     hidden_block_count_y
      - .offset:         152
        .size:           4
        .value_kind:     hidden_block_count_z
      - .offset:         156
        .size:           2
        .value_kind:     hidden_group_size_x
      - .offset:         158
        .size:           2
        .value_kind:     hidden_group_size_y
      - .offset:         160
        .size:           2
        .value_kind:     hidden_group_size_z
      - .offset:         162
        .size:           2
        .value_kind:     hidden_remainder_x
      - .offset:         164
        .size:           2
        .value_kind:     hidden_remainder_y
      - .offset:         166
        .size:           2
        .value_kind:     hidden_remainder_z
      - .offset:         184
        .size:           8
        .value_kind:     hidden_global_offset_x
      - .offset:         192
        .size:           8
        .value_kind:     hidden_global_offset_y
      - .offset:         200
        .size:           8
        .value_kind:     hidden_global_offset_z
      - .offset:         208
        .size:           2
        .value_kind:     hidden_grid_dims
      - .offset:         264
        .size:           4
        .value_kind:     hidden_dynamic_lds_size
    .group_segment_fixed_size: 160
    .kernarg_segment_align: 8
    .kernarg_segment_size: 400
    .language:       OpenCL C
    .language_version:
      - 2
      - 0
    .max_flat_workgroup_size: 1024
    .name:           _ZN4vllm25paged_attention_v2_kernelIthLi64ELi8ELi128ELNS_18Fp8KVCacheDataTypeE1ELb0ELi512EEEvPfS2_PT_PKS3_PKT0_S9_ifPKiSB_iPKfiiiSD_SD_iiiii
    .private_segment_fixed_size: 0
    .sgpr_count:     46
    .sgpr_spill_count: 0
    .symbol:         _ZN4vllm25paged_attention_v2_kernelIthLi64ELi8ELi128ELNS_18Fp8KVCacheDataTypeE1ELb0ELi512EEEvPfS2_PT_PKS3_PKT0_S9_ifPKiSB_iPKfiiiSD_SD_iiiii.kd
    .uniform_work_group_size: 1
    .uses_dynamic_stack: false
    .vgpr_count:     47
    .vgpr_spill_count: 0
    .wavefront_size: 32
    .workgroup_processor_mode: 1
  - .args:
      - .actual_access:  write_only
        .address_space:  global
        .offset:         0
        .size:           8
        .value_kind:     global_buffer
      - .actual_access:  write_only
        .address_space:  global
        .offset:         8
        .size:           8
        .value_kind:     global_buffer
      - .actual_access:  write_only
        .address_space:  global
        .offset:         16
        .size:           8
        .value_kind:     global_buffer
      - .actual_access:  read_only
        .address_space:  global
        .offset:         24
        .size:           8
        .value_kind:     global_buffer
      - .actual_access:  read_only
        .address_space:  global
        .offset:         32
        .size:           8
        .value_kind:     global_buffer
      - .actual_access:  read_only
        .address_space:  global
        .offset:         40
        .size:           8
        .value_kind:     global_buffer
      - .offset:         48
        .size:           4
        .value_kind:     by_value
      - .offset:         52
        .size:           4
        .value_kind:     by_value
      - .actual_access:  read_only
        .address_space:  global
        .offset:         56
        .size:           8
        .value_kind:     global_buffer
      - .actual_access:  read_only
        .address_space:  global
        .offset:         64
        .size:           8
        .value_kind:     global_buffer
      - .offset:         72
        .size:           4
        .value_kind:     by_value
      - .actual_access:  read_only
        .address_space:  global
        .offset:         80
        .size:           8
        .value_kind:     global_buffer
      - .offset:         88
        .size:           4
        .value_kind:     by_value
      - .offset:         92
        .size:           4
        .value_kind:     by_value
      - .offset:         96
        .size:           4
        .value_kind:     by_value
      - .address_space:  global
        .offset:         104
        .size:           8
        .value_kind:     global_buffer
      - .address_space:  global
        .offset:         112
        .size:           8
        .value_kind:     global_buffer
      - .offset:         120
        .size:           4
        .value_kind:     by_value
      - .offset:         124
        .size:           4
        .value_kind:     by_value
      - .offset:         128
        .size:           4
        .value_kind:     by_value
      - .offset:         132
        .size:           4
        .value_kind:     by_value
      - .offset:         136
        .size:           4
        .value_kind:     by_value
      - .offset:         144
        .size:           4
        .value_kind:     hidden_block_count_x
      - .offset:         148
        .size:           4
        .value_kind:     hidden_block_count_y
      - .offset:         152
        .size:           4
        .value_kind:     hidden_block_count_z
      - .offset:         156
        .size:           2
        .value_kind:     hidden_group_size_x
      - .offset:         158
        .size:           2
        .value_kind:     hidden_group_size_y
      - .offset:         160
        .size:           2
        .value_kind:     hidden_group_size_z
      - .offset:         162
        .size:           2
        .value_kind:     hidden_remainder_x
      - .offset:         164
        .size:           2
        .value_kind:     hidden_remainder_y
      - .offset:         166
        .size:           2
        .value_kind:     hidden_remainder_z
      - .offset:         184
        .size:           8
        .value_kind:     hidden_global_offset_x
      - .offset:         192
        .size:           8
        .value_kind:     hidden_global_offset_y
      - .offset:         200
        .size:           8
        .value_kind:     hidden_global_offset_z
      - .offset:         208
        .size:           2
        .value_kind:     hidden_grid_dims
      - .offset:         264
        .size:           4
        .value_kind:     hidden_dynamic_lds_size
    .group_segment_fixed_size: 192
    .kernarg_segment_align: 8
    .kernarg_segment_size: 400
    .language:       OpenCL C
    .language_version:
      - 2
      - 0
    .max_flat_workgroup_size: 1024
    .name:           _ZN4vllm25paged_attention_v2_kernelIthLi80ELi8ELi128ELNS_18Fp8KVCacheDataTypeE1ELb0ELi512EEEvPfS2_PT_PKS3_PKT0_S9_ifPKiSB_iPKfiiiSD_SD_iiiii
    .private_segment_fixed_size: 0
    .sgpr_count:     45
    .sgpr_spill_count: 0
    .symbol:         _ZN4vllm25paged_attention_v2_kernelIthLi80ELi8ELi128ELNS_18Fp8KVCacheDataTypeE1ELb0ELi512EEEvPfS2_PT_PKS3_PKT0_S9_ifPKiSB_iPKfiiiSD_SD_iiiii.kd
    .uniform_work_group_size: 1
    .uses_dynamic_stack: false
    .vgpr_count:     55
    .vgpr_spill_count: 0
    .wavefront_size: 32
    .workgroup_processor_mode: 1
  - .args:
      - .actual_access:  write_only
        .address_space:  global
        .offset:         0
        .size:           8
        .value_kind:     global_buffer
      - .actual_access:  write_only
        .address_space:  global
        .offset:         8
        .size:           8
        .value_kind:     global_buffer
      - .actual_access:  write_only
        .address_space:  global
        .offset:         16
        .size:           8
        .value_kind:     global_buffer
      - .actual_access:  read_only
        .address_space:  global
        .offset:         24
        .size:           8
        .value_kind:     global_buffer
      - .actual_access:  read_only
        .address_space:  global
        .offset:         32
        .size:           8
        .value_kind:     global_buffer
      - .actual_access:  read_only
        .address_space:  global
        .offset:         40
        .size:           8
        .value_kind:     global_buffer
      - .offset:         48
        .size:           4
        .value_kind:     by_value
      - .offset:         52
        .size:           4
        .value_kind:     by_value
      - .actual_access:  read_only
        .address_space:  global
        .offset:         56
        .size:           8
        .value_kind:     global_buffer
      - .actual_access:  read_only
        .address_space:  global
        .offset:         64
        .size:           8
        .value_kind:     global_buffer
      - .offset:         72
        .size:           4
        .value_kind:     by_value
      - .actual_access:  read_only
        .address_space:  global
        .offset:         80
        .size:           8
        .value_kind:     global_buffer
      - .offset:         88
        .size:           4
        .value_kind:     by_value
      - .offset:         92
        .size:           4
        .value_kind:     by_value
      - .offset:         96
        .size:           4
        .value_kind:     by_value
      - .address_space:  global
        .offset:         104
        .size:           8
        .value_kind:     global_buffer
      - .address_space:  global
        .offset:         112
        .size:           8
        .value_kind:     global_buffer
      - .offset:         120
        .size:           4
        .value_kind:     by_value
      - .offset:         124
        .size:           4
        .value_kind:     by_value
      - .offset:         128
        .size:           4
        .value_kind:     by_value
      - .offset:         132
        .size:           4
        .value_kind:     by_value
      - .offset:         136
        .size:           4
        .value_kind:     by_value
      - .offset:         144
        .size:           4
        .value_kind:     hidden_block_count_x
      - .offset:         148
        .size:           4
        .value_kind:     hidden_block_count_y
      - .offset:         152
        .size:           4
        .value_kind:     hidden_block_count_z
      - .offset:         156
        .size:           2
        .value_kind:     hidden_group_size_x
      - .offset:         158
        .size:           2
        .value_kind:     hidden_group_size_y
      - .offset:         160
        .size:           2
        .value_kind:     hidden_group_size_z
      - .offset:         162
        .size:           2
        .value_kind:     hidden_remainder_x
      - .offset:         164
        .size:           2
        .value_kind:     hidden_remainder_y
      - .offset:         166
        .size:           2
        .value_kind:     hidden_remainder_z
      - .offset:         184
        .size:           8
        .value_kind:     hidden_global_offset_x
      - .offset:         192
        .size:           8
        .value_kind:     hidden_global_offset_y
      - .offset:         200
        .size:           8
        .value_kind:     hidden_global_offset_z
      - .offset:         208
        .size:           2
        .value_kind:     hidden_grid_dims
      - .offset:         264
        .size:           4
        .value_kind:     hidden_dynamic_lds_size
    .group_segment_fixed_size: 224
    .kernarg_segment_align: 8
    .kernarg_segment_size: 400
    .language:       OpenCL C
    .language_version:
      - 2
      - 0
    .max_flat_workgroup_size: 1024
    .name:           _ZN4vllm25paged_attention_v2_kernelIthLi96ELi8ELi128ELNS_18Fp8KVCacheDataTypeE1ELb0ELi512EEEvPfS2_PT_PKS3_PKT0_S9_ifPKiSB_iPKfiiiSD_SD_iiiii
    .private_segment_fixed_size: 0
    .sgpr_count:     45
    .sgpr_spill_count: 0
    .symbol:         _ZN4vllm25paged_attention_v2_kernelIthLi96ELi8ELi128ELNS_18Fp8KVCacheDataTypeE1ELb0ELi512EEEvPfS2_PT_PKS3_PKT0_S9_ifPKiSB_iPKfiiiSD_SD_iiiii.kd
    .uniform_work_group_size: 1
    .uses_dynamic_stack: false
    .vgpr_count:     62
    .vgpr_spill_count: 0
    .wavefront_size: 32
    .workgroup_processor_mode: 1
  - .args:
      - .actual_access:  write_only
        .address_space:  global
        .offset:         0
        .size:           8
        .value_kind:     global_buffer
      - .actual_access:  write_only
        .address_space:  global
        .offset:         8
        .size:           8
        .value_kind:     global_buffer
      - .actual_access:  write_only
        .address_space:  global
        .offset:         16
        .size:           8
        .value_kind:     global_buffer
      - .actual_access:  read_only
        .address_space:  global
        .offset:         24
        .size:           8
        .value_kind:     global_buffer
      - .actual_access:  read_only
        .address_space:  global
        .offset:         32
        .size:           8
        .value_kind:     global_buffer
      - .actual_access:  read_only
        .address_space:  global
        .offset:         40
        .size:           8
        .value_kind:     global_buffer
      - .offset:         48
        .size:           4
        .value_kind:     by_value
      - .offset:         52
        .size:           4
        .value_kind:     by_value
      - .actual_access:  read_only
        .address_space:  global
        .offset:         56
        .size:           8
        .value_kind:     global_buffer
      - .actual_access:  read_only
        .address_space:  global
        .offset:         64
        .size:           8
        .value_kind:     global_buffer
      - .offset:         72
        .size:           4
        .value_kind:     by_value
      - .actual_access:  read_only
        .address_space:  global
        .offset:         80
        .size:           8
        .value_kind:     global_buffer
      - .offset:         88
        .size:           4
        .value_kind:     by_value
      - .offset:         92
        .size:           4
        .value_kind:     by_value
      - .offset:         96
        .size:           4
        .value_kind:     by_value
      - .address_space:  global
        .offset:         104
        .size:           8
        .value_kind:     global_buffer
      - .address_space:  global
        .offset:         112
        .size:           8
        .value_kind:     global_buffer
      - .offset:         120
        .size:           4
        .value_kind:     by_value
      - .offset:         124
        .size:           4
        .value_kind:     by_value
      - .offset:         128
        .size:           4
        .value_kind:     by_value
      - .offset:         132
        .size:           4
        .value_kind:     by_value
      - .offset:         136
        .size:           4
        .value_kind:     by_value
      - .offset:         144
        .size:           4
        .value_kind:     hidden_block_count_x
      - .offset:         148
        .size:           4
        .value_kind:     hidden_block_count_y
      - .offset:         152
        .size:           4
        .value_kind:     hidden_block_count_z
      - .offset:         156
        .size:           2
        .value_kind:     hidden_group_size_x
      - .offset:         158
        .size:           2
        .value_kind:     hidden_group_size_y
      - .offset:         160
        .size:           2
        .value_kind:     hidden_group_size_z
      - .offset:         162
        .size:           2
        .value_kind:     hidden_remainder_x
      - .offset:         164
        .size:           2
        .value_kind:     hidden_remainder_y
      - .offset:         166
        .size:           2
        .value_kind:     hidden_remainder_z
      - .offset:         184
        .size:           8
        .value_kind:     hidden_global_offset_x
      - .offset:         192
        .size:           8
        .value_kind:     hidden_global_offset_y
      - .offset:         200
        .size:           8
        .value_kind:     hidden_global_offset_z
      - .offset:         208
        .size:           2
        .value_kind:     hidden_grid_dims
      - .offset:         264
        .size:           4
        .value_kind:     hidden_dynamic_lds_size
    .group_segment_fixed_size: 256
    .kernarg_segment_align: 8
    .kernarg_segment_size: 400
    .language:       OpenCL C
    .language_version:
      - 2
      - 0
    .max_flat_workgroup_size: 1024
    .name:           _ZN4vllm25paged_attention_v2_kernelIthLi112ELi8ELi128ELNS_18Fp8KVCacheDataTypeE1ELb0ELi512EEEvPfS2_PT_PKS3_PKT0_S9_ifPKiSB_iPKfiiiSD_SD_iiiii
    .private_segment_fixed_size: 0
    .sgpr_count:     45
    .sgpr_spill_count: 0
    .symbol:         _ZN4vllm25paged_attention_v2_kernelIthLi112ELi8ELi128ELNS_18Fp8KVCacheDataTypeE1ELb0ELi512EEEvPfS2_PT_PKS3_PKT0_S9_ifPKiSB_iPKfiiiSD_SD_iiiii.kd
    .uniform_work_group_size: 1
    .uses_dynamic_stack: false
    .vgpr_count:     69
    .vgpr_spill_count: 0
    .wavefront_size: 32
    .workgroup_processor_mode: 1
  - .args:
      - .actual_access:  write_only
        .address_space:  global
        .offset:         0
        .size:           8
        .value_kind:     global_buffer
      - .actual_access:  write_only
        .address_space:  global
        .offset:         8
        .size:           8
        .value_kind:     global_buffer
      - .actual_access:  write_only
        .address_space:  global
        .offset:         16
        .size:           8
        .value_kind:     global_buffer
      - .actual_access:  read_only
        .address_space:  global
        .offset:         24
        .size:           8
        .value_kind:     global_buffer
      - .actual_access:  read_only
        .address_space:  global
        .offset:         32
        .size:           8
        .value_kind:     global_buffer
      - .actual_access:  read_only
        .address_space:  global
        .offset:         40
        .size:           8
        .value_kind:     global_buffer
      - .offset:         48
        .size:           4
        .value_kind:     by_value
      - .offset:         52
        .size:           4
        .value_kind:     by_value
      - .actual_access:  read_only
        .address_space:  global
        .offset:         56
        .size:           8
        .value_kind:     global_buffer
      - .actual_access:  read_only
        .address_space:  global
        .offset:         64
        .size:           8
        .value_kind:     global_buffer
      - .offset:         72
        .size:           4
        .value_kind:     by_value
      - .actual_access:  read_only
        .address_space:  global
        .offset:         80
        .size:           8
        .value_kind:     global_buffer
      - .offset:         88
        .size:           4
        .value_kind:     by_value
      - .offset:         92
        .size:           4
        .value_kind:     by_value
      - .offset:         96
        .size:           4
        .value_kind:     by_value
      - .address_space:  global
        .offset:         104
        .size:           8
        .value_kind:     global_buffer
      - .address_space:  global
        .offset:         112
        .size:           8
        .value_kind:     global_buffer
      - .offset:         120
        .size:           4
        .value_kind:     by_value
      - .offset:         124
        .size:           4
        .value_kind:     by_value
      - .offset:         128
        .size:           4
        .value_kind:     by_value
      - .offset:         132
        .size:           4
        .value_kind:     by_value
      - .offset:         136
        .size:           4
        .value_kind:     by_value
      - .offset:         144
        .size:           4
        .value_kind:     hidden_block_count_x
      - .offset:         148
        .size:           4
        .value_kind:     hidden_block_count_y
      - .offset:         152
        .size:           4
        .value_kind:     hidden_block_count_z
      - .offset:         156
        .size:           2
        .value_kind:     hidden_group_size_x
      - .offset:         158
        .size:           2
        .value_kind:     hidden_group_size_y
      - .offset:         160
        .size:           2
        .value_kind:     hidden_group_size_z
      - .offset:         162
        .size:           2
        .value_kind:     hidden_remainder_x
      - .offset:         164
        .size:           2
        .value_kind:     hidden_remainder_y
      - .offset:         166
        .size:           2
        .value_kind:     hidden_remainder_z
      - .offset:         184
        .size:           8
        .value_kind:     hidden_global_offset_x
      - .offset:         192
        .size:           8
        .value_kind:     hidden_global_offset_y
      - .offset:         200
        .size:           8
        .value_kind:     hidden_global_offset_z
      - .offset:         208
        .size:           2
        .value_kind:     hidden_grid_dims
      - .offset:         264
        .size:           4
        .value_kind:     hidden_dynamic_lds_size
    .group_segment_fixed_size: 272
    .kernarg_segment_align: 8
    .kernarg_segment_size: 400
    .language:       OpenCL C
    .language_version:
      - 2
      - 0
    .max_flat_workgroup_size: 1024
    .name:           _ZN4vllm25paged_attention_v2_kernelIthLi120ELi8ELi128ELNS_18Fp8KVCacheDataTypeE1ELb0ELi512EEEvPfS2_PT_PKS3_PKT0_S9_ifPKiSB_iPKfiiiSD_SD_iiiii
    .private_segment_fixed_size: 0
    .sgpr_count:     45
    .sgpr_spill_count: 0
    .symbol:         _ZN4vllm25paged_attention_v2_kernelIthLi120ELi8ELi128ELNS_18Fp8KVCacheDataTypeE1ELb0ELi512EEEvPfS2_PT_PKS3_PKT0_S9_ifPKiSB_iPKfiiiSD_SD_iiiii.kd
    .uniform_work_group_size: 1
    .uses_dynamic_stack: false
    .vgpr_count:     73
    .vgpr_spill_count: 0
    .wavefront_size: 32
    .workgroup_processor_mode: 1
  - .args:
      - .actual_access:  write_only
        .address_space:  global
        .offset:         0
        .size:           8
        .value_kind:     global_buffer
      - .actual_access:  write_only
        .address_space:  global
        .offset:         8
        .size:           8
        .value_kind:     global_buffer
      - .actual_access:  write_only
        .address_space:  global
        .offset:         16
        .size:           8
        .value_kind:     global_buffer
      - .actual_access:  read_only
        .address_space:  global
        .offset:         24
        .size:           8
        .value_kind:     global_buffer
      - .actual_access:  read_only
        .address_space:  global
        .offset:         32
        .size:           8
        .value_kind:     global_buffer
      - .actual_access:  read_only
        .address_space:  global
        .offset:         40
        .size:           8
        .value_kind:     global_buffer
      - .offset:         48
        .size:           4
        .value_kind:     by_value
      - .offset:         52
        .size:           4
        .value_kind:     by_value
      - .actual_access:  read_only
        .address_space:  global
        .offset:         56
        .size:           8
        .value_kind:     global_buffer
      - .actual_access:  read_only
        .address_space:  global
        .offset:         64
        .size:           8
        .value_kind:     global_buffer
      - .offset:         72
        .size:           4
        .value_kind:     by_value
      - .actual_access:  read_only
        .address_space:  global
        .offset:         80
        .size:           8
        .value_kind:     global_buffer
      - .offset:         88
        .size:           4
        .value_kind:     by_value
      - .offset:         92
        .size:           4
        .value_kind:     by_value
      - .offset:         96
        .size:           4
        .value_kind:     by_value
      - .address_space:  global
        .offset:         104
        .size:           8
        .value_kind:     global_buffer
      - .address_space:  global
        .offset:         112
        .size:           8
        .value_kind:     global_buffer
      - .offset:         120
        .size:           4
        .value_kind:     by_value
      - .offset:         124
        .size:           4
        .value_kind:     by_value
      - .offset:         128
        .size:           4
        .value_kind:     by_value
      - .offset:         132
        .size:           4
        .value_kind:     by_value
      - .offset:         136
        .size:           4
        .value_kind:     by_value
      - .offset:         144
        .size:           4
        .value_kind:     hidden_block_count_x
      - .offset:         148
        .size:           4
        .value_kind:     hidden_block_count_y
      - .offset:         152
        .size:           4
        .value_kind:     hidden_block_count_z
      - .offset:         156
        .size:           2
        .value_kind:     hidden_group_size_x
      - .offset:         158
        .size:           2
        .value_kind:     hidden_group_size_y
      - .offset:         160
        .size:           2
        .value_kind:     hidden_group_size_z
      - .offset:         162
        .size:           2
        .value_kind:     hidden_remainder_x
      - .offset:         164
        .size:           2
        .value_kind:     hidden_remainder_y
      - .offset:         166
        .size:           2
        .value_kind:     hidden_remainder_z
      - .offset:         184
        .size:           8
        .value_kind:     hidden_global_offset_x
      - .offset:         192
        .size:           8
        .value_kind:     hidden_global_offset_y
      - .offset:         200
        .size:           8
        .value_kind:     hidden_global_offset_z
      - .offset:         208
        .size:           2
        .value_kind:     hidden_grid_dims
      - .offset:         264
        .size:           4
        .value_kind:     hidden_dynamic_lds_size
    .group_segment_fixed_size: 288
    .kernarg_segment_align: 8
    .kernarg_segment_size: 400
    .language:       OpenCL C
    .language_version:
      - 2
      - 0
    .max_flat_workgroup_size: 1024
    .name:           _ZN4vllm25paged_attention_v2_kernelIthLi128ELi8ELi128ELNS_18Fp8KVCacheDataTypeE1ELb0ELi512EEEvPfS2_PT_PKS3_PKT0_S9_ifPKiSB_iPKfiiiSD_SD_iiiii
    .private_segment_fixed_size: 0
    .sgpr_count:     46
    .sgpr_spill_count: 0
    .symbol:         _ZN4vllm25paged_attention_v2_kernelIthLi128ELi8ELi128ELNS_18Fp8KVCacheDataTypeE1ELb0ELi512EEEvPfS2_PT_PKS3_PKT0_S9_ifPKiSB_iPKfiiiSD_SD_iiiii.kd
    .uniform_work_group_size: 1
    .uses_dynamic_stack: false
    .vgpr_count:     78
    .vgpr_spill_count: 0
    .wavefront_size: 32
    .workgroup_processor_mode: 1
  - .args:
      - .actual_access:  write_only
        .address_space:  global
        .offset:         0
        .size:           8
        .value_kind:     global_buffer
      - .actual_access:  write_only
        .address_space:  global
        .offset:         8
        .size:           8
        .value_kind:     global_buffer
      - .actual_access:  write_only
        .address_space:  global
        .offset:         16
        .size:           8
        .value_kind:     global_buffer
      - .actual_access:  read_only
        .address_space:  global
        .offset:         24
        .size:           8
        .value_kind:     global_buffer
      - .actual_access:  read_only
        .address_space:  global
        .offset:         32
        .size:           8
        .value_kind:     global_buffer
      - .actual_access:  read_only
        .address_space:  global
        .offset:         40
        .size:           8
        .value_kind:     global_buffer
      - .offset:         48
        .size:           4
        .value_kind:     by_value
      - .offset:         52
        .size:           4
        .value_kind:     by_value
      - .actual_access:  read_only
        .address_space:  global
        .offset:         56
        .size:           8
        .value_kind:     global_buffer
      - .actual_access:  read_only
        .address_space:  global
        .offset:         64
        .size:           8
        .value_kind:     global_buffer
      - .offset:         72
        .size:           4
        .value_kind:     by_value
      - .address_space:  global
        .offset:         80
        .size:           8
        .value_kind:     global_buffer
      - .offset:         88
        .size:           4
        .value_kind:     by_value
      - .offset:         92
        .size:           4
        .value_kind:     by_value
      - .offset:         96
        .size:           4
        .value_kind:     by_value
      - .address_space:  global
        .offset:         104
        .size:           8
        .value_kind:     global_buffer
      - .address_space:  global
        .offset:         112
        .size:           8
        .value_kind:     global_buffer
      - .offset:         120
        .size:           4
        .value_kind:     by_value
      - .offset:         124
        .size:           4
        .value_kind:     by_value
      - .offset:         128
        .size:           4
        .value_kind:     by_value
      - .offset:         132
        .size:           4
        .value_kind:     by_value
      - .offset:         136
        .size:           4
        .value_kind:     by_value
      - .offset:         144
        .size:           4
        .value_kind:     hidden_block_count_x
      - .offset:         148
        .size:           4
        .value_kind:     hidden_block_count_y
      - .offset:         152
        .size:           4
        .value_kind:     hidden_block_count_z
      - .offset:         156
        .size:           2
        .value_kind:     hidden_group_size_x
      - .offset:         158
        .size:           2
        .value_kind:     hidden_group_size_y
      - .offset:         160
        .size:           2
        .value_kind:     hidden_group_size_z
      - .offset:         162
        .size:           2
        .value_kind:     hidden_remainder_x
      - .offset:         164
        .size:           2
        .value_kind:     hidden_remainder_y
      - .offset:         166
        .size:           2
        .value_kind:     hidden_remainder_z
      - .offset:         184
        .size:           8
        .value_kind:     hidden_global_offset_x
      - .offset:         192
        .size:           8
        .value_kind:     hidden_global_offset_y
      - .offset:         200
        .size:           8
        .value_kind:     hidden_global_offset_z
      - .offset:         208
        .size:           2
        .value_kind:     hidden_grid_dims
      - .offset:         264
        .size:           4
        .value_kind:     hidden_dynamic_lds_size
    .group_segment_fixed_size: 416
    .kernarg_segment_align: 8
    .kernarg_segment_size: 400
    .language:       OpenCL C
    .language_version:
      - 2
      - 0
    .max_flat_workgroup_size: 1024
    .name:           _ZN4vllm25paged_attention_v2_kernelIthLi192ELi8ELi128ELNS_18Fp8KVCacheDataTypeE1ELb0ELi512EEEvPfS2_PT_PKS3_PKT0_S9_ifPKiSB_iPKfiiiSD_SD_iiiii
    .private_segment_fixed_size: 0
    .sgpr_count:     46
    .sgpr_spill_count: 0
    .symbol:         _ZN4vllm25paged_attention_v2_kernelIthLi192ELi8ELi128ELNS_18Fp8KVCacheDataTypeE1ELb0ELi512EEEvPfS2_PT_PKS3_PKT0_S9_ifPKiSB_iPKfiiiSD_SD_iiiii.kd
    .uniform_work_group_size: 1
    .uses_dynamic_stack: false
    .vgpr_count:     162
    .vgpr_spill_count: 0
    .wavefront_size: 32
    .workgroup_processor_mode: 1
  - .args:
      - .actual_access:  write_only
        .address_space:  global
        .offset:         0
        .size:           8
        .value_kind:     global_buffer
      - .actual_access:  write_only
        .address_space:  global
        .offset:         8
        .size:           8
        .value_kind:     global_buffer
      - .actual_access:  write_only
        .address_space:  global
        .offset:         16
        .size:           8
        .value_kind:     global_buffer
      - .actual_access:  read_only
        .address_space:  global
        .offset:         24
        .size:           8
        .value_kind:     global_buffer
      - .actual_access:  read_only
        .address_space:  global
        .offset:         32
        .size:           8
        .value_kind:     global_buffer
      - .actual_access:  read_only
        .address_space:  global
        .offset:         40
        .size:           8
        .value_kind:     global_buffer
      - .offset:         48
        .size:           4
        .value_kind:     by_value
      - .offset:         52
        .size:           4
        .value_kind:     by_value
      - .actual_access:  read_only
        .address_space:  global
        .offset:         56
        .size:           8
        .value_kind:     global_buffer
      - .actual_access:  read_only
        .address_space:  global
        .offset:         64
        .size:           8
        .value_kind:     global_buffer
      - .offset:         72
        .size:           4
        .value_kind:     by_value
      - .address_space:  global
        .offset:         80
        .size:           8
        .value_kind:     global_buffer
      - .offset:         88
        .size:           4
        .value_kind:     by_value
      - .offset:         92
        .size:           4
        .value_kind:     by_value
      - .offset:         96
        .size:           4
        .value_kind:     by_value
      - .address_space:  global
        .offset:         104
        .size:           8
        .value_kind:     global_buffer
      - .address_space:  global
        .offset:         112
        .size:           8
        .value_kind:     global_buffer
      - .offset:         120
        .size:           4
        .value_kind:     by_value
      - .offset:         124
        .size:           4
        .value_kind:     by_value
      - .offset:         128
        .size:           4
        .value_kind:     by_value
      - .offset:         132
        .size:           4
        .value_kind:     by_value
      - .offset:         136
        .size:           4
        .value_kind:     by_value
      - .offset:         144
        .size:           4
        .value_kind:     hidden_block_count_x
      - .offset:         148
        .size:           4
        .value_kind:     hidden_block_count_y
      - .offset:         152
        .size:           4
        .value_kind:     hidden_block_count_z
      - .offset:         156
        .size:           2
        .value_kind:     hidden_group_size_x
      - .offset:         158
        .size:           2
        .value_kind:     hidden_group_size_y
      - .offset:         160
        .size:           2
        .value_kind:     hidden_group_size_z
      - .offset:         162
        .size:           2
        .value_kind:     hidden_remainder_x
      - .offset:         164
        .size:           2
        .value_kind:     hidden_remainder_y
      - .offset:         166
        .size:           2
        .value_kind:     hidden_remainder_z
      - .offset:         184
        .size:           8
        .value_kind:     hidden_global_offset_x
      - .offset:         192
        .size:           8
        .value_kind:     hidden_global_offset_y
      - .offset:         200
        .size:           8
        .value_kind:     hidden_global_offset_z
      - .offset:         208
        .size:           2
        .value_kind:     hidden_grid_dims
      - .offset:         264
        .size:           4
        .value_kind:     hidden_dynamic_lds_size
    .group_segment_fixed_size: 544
    .kernarg_segment_align: 8
    .kernarg_segment_size: 400
    .language:       OpenCL C
    .language_version:
      - 2
      - 0
    .max_flat_workgroup_size: 1024
    .name:           _ZN4vllm25paged_attention_v2_kernelIthLi256ELi8ELi128ELNS_18Fp8KVCacheDataTypeE1ELb0ELi512EEEvPfS2_PT_PKS3_PKT0_S9_ifPKiSB_iPKfiiiSD_SD_iiiii
    .private_segment_fixed_size: 12
    .sgpr_count:     46
    .sgpr_spill_count: 0
    .symbol:         _ZN4vllm25paged_attention_v2_kernelIthLi256ELi8ELi128ELNS_18Fp8KVCacheDataTypeE1ELb0ELi512EEEvPfS2_PT_PKS3_PKT0_S9_ifPKiSB_iPKfiiiSD_SD_iiiii.kd
    .uniform_work_group_size: 1
    .uses_dynamic_stack: false
    .vgpr_count:     184
    .vgpr_spill_count: 0
    .wavefront_size: 32
    .workgroup_processor_mode: 1
  - .args:
      - .actual_access:  write_only
        .address_space:  global
        .offset:         0
        .size:           8
        .value_kind:     global_buffer
      - .actual_access:  write_only
        .address_space:  global
        .offset:         8
        .size:           8
        .value_kind:     global_buffer
      - .actual_access:  write_only
        .address_space:  global
        .offset:         16
        .size:           8
        .value_kind:     global_buffer
      - .actual_access:  read_only
        .address_space:  global
        .offset:         24
        .size:           8
        .value_kind:     global_buffer
      - .actual_access:  read_only
        .address_space:  global
        .offset:         32
        .size:           8
        .value_kind:     global_buffer
      - .actual_access:  read_only
        .address_space:  global
        .offset:         40
        .size:           8
        .value_kind:     global_buffer
      - .offset:         48
        .size:           4
        .value_kind:     by_value
      - .offset:         52
        .size:           4
        .value_kind:     by_value
      - .actual_access:  read_only
        .address_space:  global
        .offset:         56
        .size:           8
        .value_kind:     global_buffer
      - .actual_access:  read_only
        .address_space:  global
        .offset:         64
        .size:           8
        .value_kind:     global_buffer
      - .offset:         72
        .size:           4
        .value_kind:     by_value
      - .actual_access:  read_only
        .address_space:  global
        .offset:         80
        .size:           8
        .value_kind:     global_buffer
      - .offset:         88
        .size:           4
        .value_kind:     by_value
      - .offset:         92
        .size:           4
        .value_kind:     by_value
      - .offset:         96
        .size:           4
        .value_kind:     by_value
      - .address_space:  global
        .offset:         104
        .size:           8
        .value_kind:     global_buffer
      - .address_space:  global
        .offset:         112
        .size:           8
        .value_kind:     global_buffer
      - .offset:         120
        .size:           4
        .value_kind:     by_value
      - .offset:         124
        .size:           4
        .value_kind:     by_value
      - .offset:         128
        .size:           4
        .value_kind:     by_value
      - .offset:         132
        .size:           4
        .value_kind:     by_value
      - .offset:         136
        .size:           4
        .value_kind:     by_value
      - .offset:         144
        .size:           4
        .value_kind:     hidden_block_count_x
      - .offset:         148
        .size:           4
        .value_kind:     hidden_block_count_y
      - .offset:         152
        .size:           4
        .value_kind:     hidden_block_count_z
      - .offset:         156
        .size:           2
        .value_kind:     hidden_group_size_x
      - .offset:         158
        .size:           2
        .value_kind:     hidden_group_size_y
      - .offset:         160
        .size:           2
        .value_kind:     hidden_group_size_z
      - .offset:         162
        .size:           2
        .value_kind:     hidden_remainder_x
      - .offset:         164
        .size:           2
        .value_kind:     hidden_remainder_y
      - .offset:         166
        .size:           2
        .value_kind:     hidden_remainder_z
      - .offset:         184
        .size:           8
        .value_kind:     hidden_global_offset_x
      - .offset:         192
        .size:           8
        .value_kind:     hidden_global_offset_y
      - .offset:         200
        .size:           8
        .value_kind:     hidden_global_offset_z
      - .offset:         208
        .size:           2
        .value_kind:     hidden_grid_dims
      - .offset:         264
        .size:           4
        .value_kind:     hidden_dynamic_lds_size
    .group_segment_fixed_size: 96
    .kernarg_segment_align: 8
    .kernarg_segment_size: 400
    .language:       OpenCL C
    .language_version:
      - 2
      - 0
    .max_flat_workgroup_size: 1024
    .name:           _ZN4vllm25paged_attention_v2_kernelIthLi32ELi16ELi128ELNS_18Fp8KVCacheDataTypeE1ELb1ELi512EEEvPfS2_PT_PKS3_PKT0_S9_ifPKiSB_iPKfiiiSD_SD_iiiii
    .private_segment_fixed_size: 0
    .sgpr_count:     54
    .sgpr_spill_count: 0
    .symbol:         _ZN4vllm25paged_attention_v2_kernelIthLi32ELi16ELi128ELNS_18Fp8KVCacheDataTypeE1ELb1ELi512EEEvPfS2_PT_PKS3_PKT0_S9_ifPKiSB_iPKfiiiSD_SD_iiiii.kd
    .uniform_work_group_size: 1
    .uses_dynamic_stack: false
    .vgpr_count:     55
    .vgpr_spill_count: 0
    .wavefront_size: 32
    .workgroup_processor_mode: 1
  - .args:
      - .actual_access:  write_only
        .address_space:  global
        .offset:         0
        .size:           8
        .value_kind:     global_buffer
      - .actual_access:  write_only
        .address_space:  global
        .offset:         8
        .size:           8
        .value_kind:     global_buffer
      - .actual_access:  write_only
        .address_space:  global
        .offset:         16
        .size:           8
        .value_kind:     global_buffer
      - .actual_access:  read_only
        .address_space:  global
        .offset:         24
        .size:           8
        .value_kind:     global_buffer
      - .actual_access:  read_only
        .address_space:  global
        .offset:         32
        .size:           8
        .value_kind:     global_buffer
      - .actual_access:  read_only
        .address_space:  global
        .offset:         40
        .size:           8
        .value_kind:     global_buffer
      - .offset:         48
        .size:           4
        .value_kind:     by_value
      - .offset:         52
        .size:           4
        .value_kind:     by_value
      - .actual_access:  read_only
        .address_space:  global
        .offset:         56
        .size:           8
        .value_kind:     global_buffer
      - .actual_access:  read_only
        .address_space:  global
        .offset:         64
        .size:           8
        .value_kind:     global_buffer
      - .offset:         72
        .size:           4
        .value_kind:     by_value
      - .actual_access:  read_only
        .address_space:  global
        .offset:         80
        .size:           8
        .value_kind:     global_buffer
      - .offset:         88
        .size:           4
        .value_kind:     by_value
      - .offset:         92
        .size:           4
        .value_kind:     by_value
      - .offset:         96
        .size:           4
        .value_kind:     by_value
      - .address_space:  global
        .offset:         104
        .size:           8
        .value_kind:     global_buffer
      - .address_space:  global
        .offset:         112
        .size:           8
        .value_kind:     global_buffer
      - .offset:         120
        .size:           4
        .value_kind:     by_value
      - .offset:         124
        .size:           4
        .value_kind:     by_value
      - .offset:         128
        .size:           4
        .value_kind:     by_value
      - .offset:         132
        .size:           4
        .value_kind:     by_value
      - .offset:         136
        .size:           4
        .value_kind:     by_value
      - .offset:         144
        .size:           4
        .value_kind:     hidden_block_count_x
      - .offset:         148
        .size:           4
        .value_kind:     hidden_block_count_y
      - .offset:         152
        .size:           4
        .value_kind:     hidden_block_count_z
      - .offset:         156
        .size:           2
        .value_kind:     hidden_group_size_x
      - .offset:         158
        .size:           2
        .value_kind:     hidden_group_size_y
      - .offset:         160
        .size:           2
        .value_kind:     hidden_group_size_z
      - .offset:         162
        .size:           2
        .value_kind:     hidden_remainder_x
      - .offset:         164
        .size:           2
        .value_kind:     hidden_remainder_y
      - .offset:         166
        .size:           2
        .value_kind:     hidden_remainder_z
      - .offset:         184
        .size:           8
        .value_kind:     hidden_global_offset_x
      - .offset:         192
        .size:           8
        .value_kind:     hidden_global_offset_y
      - .offset:         200
        .size:           8
        .value_kind:     hidden_global_offset_z
      - .offset:         208
        .size:           2
        .value_kind:     hidden_grid_dims
      - .offset:         264
        .size:           4
        .value_kind:     hidden_dynamic_lds_size
    .group_segment_fixed_size: 160
    .kernarg_segment_align: 8
    .kernarg_segment_size: 400
    .language:       OpenCL C
    .language_version:
      - 2
      - 0
    .max_flat_workgroup_size: 1024
    .name:           _ZN4vllm25paged_attention_v2_kernelIthLi64ELi16ELi128ELNS_18Fp8KVCacheDataTypeE1ELb1ELi512EEEvPfS2_PT_PKS3_PKT0_S9_ifPKiSB_iPKfiiiSD_SD_iiiii
    .private_segment_fixed_size: 0
    .sgpr_count:     54
    .sgpr_spill_count: 0
    .symbol:         _ZN4vllm25paged_attention_v2_kernelIthLi64ELi16ELi128ELNS_18Fp8KVCacheDataTypeE1ELb1ELi512EEEvPfS2_PT_PKS3_PKT0_S9_ifPKiSB_iPKfiiiSD_SD_iiiii.kd
    .uniform_work_group_size: 1
    .uses_dynamic_stack: false
    .vgpr_count:     84
    .vgpr_spill_count: 0
    .wavefront_size: 32
    .workgroup_processor_mode: 1
  - .args:
      - .actual_access:  write_only
        .address_space:  global
        .offset:         0
        .size:           8
        .value_kind:     global_buffer
      - .actual_access:  write_only
        .address_space:  global
        .offset:         8
        .size:           8
        .value_kind:     global_buffer
      - .actual_access:  write_only
        .address_space:  global
        .offset:         16
        .size:           8
        .value_kind:     global_buffer
      - .actual_access:  read_only
        .address_space:  global
        .offset:         24
        .size:           8
        .value_kind:     global_buffer
      - .actual_access:  read_only
        .address_space:  global
        .offset:         32
        .size:           8
        .value_kind:     global_buffer
      - .actual_access:  read_only
        .address_space:  global
        .offset:         40
        .size:           8
        .value_kind:     global_buffer
      - .offset:         48
        .size:           4
        .value_kind:     by_value
      - .offset:         52
        .size:           4
        .value_kind:     by_value
      - .actual_access:  read_only
        .address_space:  global
        .offset:         56
        .size:           8
        .value_kind:     global_buffer
      - .actual_access:  read_only
        .address_space:  global
        .offset:         64
        .size:           8
        .value_kind:     global_buffer
      - .offset:         72
        .size:           4
        .value_kind:     by_value
      - .actual_access:  read_only
        .address_space:  global
        .offset:         80
        .size:           8
        .value_kind:     global_buffer
      - .offset:         88
        .size:           4
        .value_kind:     by_value
      - .offset:         92
        .size:           4
        .value_kind:     by_value
      - .offset:         96
        .size:           4
        .value_kind:     by_value
      - .address_space:  global
        .offset:         104
        .size:           8
        .value_kind:     global_buffer
      - .address_space:  global
        .offset:         112
        .size:           8
        .value_kind:     global_buffer
      - .offset:         120
        .size:           4
        .value_kind:     by_value
      - .offset:         124
        .size:           4
        .value_kind:     by_value
      - .offset:         128
        .size:           4
        .value_kind:     by_value
      - .offset:         132
        .size:           4
        .value_kind:     by_value
      - .offset:         136
        .size:           4
        .value_kind:     by_value
      - .offset:         144
        .size:           4
        .value_kind:     hidden_block_count_x
      - .offset:         148
        .size:           4
        .value_kind:     hidden_block_count_y
      - .offset:         152
        .size:           4
        .value_kind:     hidden_block_count_z
      - .offset:         156
        .size:           2
        .value_kind:     hidden_group_size_x
      - .offset:         158
        .size:           2
        .value_kind:     hidden_group_size_y
      - .offset:         160
        .size:           2
        .value_kind:     hidden_group_size_z
      - .offset:         162
        .size:           2
        .value_kind:     hidden_remainder_x
      - .offset:         164
        .size:           2
        .value_kind:     hidden_remainder_y
      - .offset:         166
        .size:           2
        .value_kind:     hidden_remainder_z
      - .offset:         184
        .size:           8
        .value_kind:     hidden_global_offset_x
      - .offset:         192
        .size:           8
        .value_kind:     hidden_global_offset_y
      - .offset:         200
        .size:           8
        .value_kind:     hidden_global_offset_z
      - .offset:         208
        .size:           2
        .value_kind:     hidden_grid_dims
      - .offset:         264
        .size:           4
        .value_kind:     hidden_dynamic_lds_size
    .group_segment_fixed_size: 192
    .kernarg_segment_align: 8
    .kernarg_segment_size: 400
    .language:       OpenCL C
    .language_version:
      - 2
      - 0
    .max_flat_workgroup_size: 1024
    .name:           _ZN4vllm25paged_attention_v2_kernelIthLi80ELi16ELi128ELNS_18Fp8KVCacheDataTypeE1ELb1ELi512EEEvPfS2_PT_PKS3_PKT0_S9_ifPKiSB_iPKfiiiSD_SD_iiiii
    .private_segment_fixed_size: 0
    .sgpr_count:     54
    .sgpr_spill_count: 0
    .symbol:         _ZN4vllm25paged_attention_v2_kernelIthLi80ELi16ELi128ELNS_18Fp8KVCacheDataTypeE1ELb1ELi512EEEvPfS2_PT_PKS3_PKT0_S9_ifPKiSB_iPKfiiiSD_SD_iiiii.kd
    .uniform_work_group_size: 1
    .uses_dynamic_stack: false
    .vgpr_count:     96
    .vgpr_spill_count: 0
    .wavefront_size: 32
    .workgroup_processor_mode: 1
  - .args:
      - .actual_access:  write_only
        .address_space:  global
        .offset:         0
        .size:           8
        .value_kind:     global_buffer
      - .actual_access:  write_only
        .address_space:  global
        .offset:         8
        .size:           8
        .value_kind:     global_buffer
      - .actual_access:  write_only
        .address_space:  global
        .offset:         16
        .size:           8
        .value_kind:     global_buffer
      - .actual_access:  read_only
        .address_space:  global
        .offset:         24
        .size:           8
        .value_kind:     global_buffer
      - .actual_access:  read_only
        .address_space:  global
        .offset:         32
        .size:           8
        .value_kind:     global_buffer
      - .actual_access:  read_only
        .address_space:  global
        .offset:         40
        .size:           8
        .value_kind:     global_buffer
      - .offset:         48
        .size:           4
        .value_kind:     by_value
      - .offset:         52
        .size:           4
        .value_kind:     by_value
      - .actual_access:  read_only
        .address_space:  global
        .offset:         56
        .size:           8
        .value_kind:     global_buffer
      - .actual_access:  read_only
        .address_space:  global
        .offset:         64
        .size:           8
        .value_kind:     global_buffer
      - .offset:         72
        .size:           4
        .value_kind:     by_value
      - .address_space:  global
        .offset:         80
        .size:           8
        .value_kind:     global_buffer
      - .offset:         88
        .size:           4
        .value_kind:     by_value
      - .offset:         92
        .size:           4
        .value_kind:     by_value
      - .offset:         96
        .size:           4
        .value_kind:     by_value
      - .address_space:  global
        .offset:         104
        .size:           8
        .value_kind:     global_buffer
      - .address_space:  global
        .offset:         112
        .size:           8
        .value_kind:     global_buffer
      - .offset:         120
        .size:           4
        .value_kind:     by_value
      - .offset:         124
        .size:           4
        .value_kind:     by_value
      - .offset:         128
        .size:           4
        .value_kind:     by_value
      - .offset:         132
        .size:           4
        .value_kind:     by_value
      - .offset:         136
        .size:           4
        .value_kind:     by_value
      - .offset:         144
        .size:           4
        .value_kind:     hidden_block_count_x
      - .offset:         148
        .size:           4
        .value_kind:     hidden_block_count_y
      - .offset:         152
        .size:           4
        .value_kind:     hidden_block_count_z
      - .offset:         156
        .size:           2
        .value_kind:     hidden_group_size_x
      - .offset:         158
        .size:           2
        .value_kind:     hidden_group_size_y
      - .offset:         160
        .size:           2
        .value_kind:     hidden_group_size_z
      - .offset:         162
        .size:           2
        .value_kind:     hidden_remainder_x
      - .offset:         164
        .size:           2
        .value_kind:     hidden_remainder_y
      - .offset:         166
        .size:           2
        .value_kind:     hidden_remainder_z
      - .offset:         184
        .size:           8
        .value_kind:     hidden_global_offset_x
      - .offset:         192
        .size:           8
        .value_kind:     hidden_global_offset_y
      - .offset:         200
        .size:           8
        .value_kind:     hidden_global_offset_z
      - .offset:         208
        .size:           2
        .value_kind:     hidden_grid_dims
      - .offset:         264
        .size:           4
        .value_kind:     hidden_dynamic_lds_size
    .group_segment_fixed_size: 224
    .kernarg_segment_align: 8
    .kernarg_segment_size: 400
    .language:       OpenCL C
    .language_version:
      - 2
      - 0
    .max_flat_workgroup_size: 1024
    .name:           _ZN4vllm25paged_attention_v2_kernelIthLi96ELi16ELi128ELNS_18Fp8KVCacheDataTypeE1ELb1ELi512EEEvPfS2_PT_PKS3_PKT0_S9_ifPKiSB_iPKfiiiSD_SD_iiiii
    .private_segment_fixed_size: 12
    .sgpr_count:     46
    .sgpr_spill_count: 0
    .symbol:         _ZN4vllm25paged_attention_v2_kernelIthLi96ELi16ELi128ELNS_18Fp8KVCacheDataTypeE1ELb1ELi512EEEvPfS2_PT_PKS3_PKT0_S9_ifPKiSB_iPKfiiiSD_SD_iiiii.kd
    .uniform_work_group_size: 1
    .uses_dynamic_stack: false
    .vgpr_count:     184
    .vgpr_spill_count: 0
    .wavefront_size: 32
    .workgroup_processor_mode: 1
  - .args:
      - .actual_access:  write_only
        .address_space:  global
        .offset:         0
        .size:           8
        .value_kind:     global_buffer
      - .actual_access:  write_only
        .address_space:  global
        .offset:         8
        .size:           8
        .value_kind:     global_buffer
      - .actual_access:  write_only
        .address_space:  global
        .offset:         16
        .size:           8
        .value_kind:     global_buffer
      - .actual_access:  read_only
        .address_space:  global
        .offset:         24
        .size:           8
        .value_kind:     global_buffer
      - .actual_access:  read_only
        .address_space:  global
        .offset:         32
        .size:           8
        .value_kind:     global_buffer
      - .actual_access:  read_only
        .address_space:  global
        .offset:         40
        .size:           8
        .value_kind:     global_buffer
      - .offset:         48
        .size:           4
        .value_kind:     by_value
      - .offset:         52
        .size:           4
        .value_kind:     by_value
      - .actual_access:  read_only
        .address_space:  global
        .offset:         56
        .size:           8
        .value_kind:     global_buffer
      - .actual_access:  read_only
        .address_space:  global
        .offset:         64
        .size:           8
        .value_kind:     global_buffer
      - .offset:         72
        .size:           4
        .value_kind:     by_value
      - .address_space:  global
        .offset:         80
        .size:           8
        .value_kind:     global_buffer
      - .offset:         88
        .size:           4
        .value_kind:     by_value
      - .offset:         92
        .size:           4
        .value_kind:     by_value
      - .offset:         96
        .size:           4
        .value_kind:     by_value
      - .address_space:  global
        .offset:         104
        .size:           8
        .value_kind:     global_buffer
      - .address_space:  global
        .offset:         112
        .size:           8
        .value_kind:     global_buffer
      - .offset:         120
        .size:           4
        .value_kind:     by_value
      - .offset:         124
        .size:           4
        .value_kind:     by_value
      - .offset:         128
        .size:           4
        .value_kind:     by_value
      - .offset:         132
        .size:           4
        .value_kind:     by_value
      - .offset:         136
        .size:           4
        .value_kind:     by_value
      - .offset:         144
        .size:           4
        .value_kind:     hidden_block_count_x
      - .offset:         148
        .size:           4
        .value_kind:     hidden_block_count_y
      - .offset:         152
        .size:           4
        .value_kind:     hidden_block_count_z
      - .offset:         156
        .size:           2
        .value_kind:     hidden_group_size_x
      - .offset:         158
        .size:           2
        .value_kind:     hidden_group_size_y
      - .offset:         160
        .size:           2
        .value_kind:     hidden_group_size_z
      - .offset:         162
        .size:           2
        .value_kind:     hidden_remainder_x
      - .offset:         164
        .size:           2
        .value_kind:     hidden_remainder_y
      - .offset:         166
        .size:           2
        .value_kind:     hidden_remainder_z
      - .offset:         184
        .size:           8
        .value_kind:     hidden_global_offset_x
      - .offset:         192
        .size:           8
        .value_kind:     hidden_global_offset_y
      - .offset:         200
        .size:           8
        .value_kind:     hidden_global_offset_z
      - .offset:         208
        .size:           2
        .value_kind:     hidden_grid_dims
      - .offset:         264
        .size:           4
        .value_kind:     hidden_dynamic_lds_size
    .group_segment_fixed_size: 256
    .kernarg_segment_align: 8
    .kernarg_segment_size: 400
    .language:       OpenCL C
    .language_version:
      - 2
      - 0
    .max_flat_workgroup_size: 1024
    .name:           _ZN4vllm25paged_attention_v2_kernelIthLi112ELi16ELi128ELNS_18Fp8KVCacheDataTypeE1ELb1ELi512EEEvPfS2_PT_PKS3_PKT0_S9_ifPKiSB_iPKfiiiSD_SD_iiiii
    .private_segment_fixed_size: 44
    .sgpr_count:     46
    .sgpr_spill_count: 0
    .symbol:         _ZN4vllm25paged_attention_v2_kernelIthLi112ELi16ELi128ELNS_18Fp8KVCacheDataTypeE1ELb1ELi512EEEvPfS2_PT_PKS3_PKT0_S9_ifPKiSB_iPKfiiiSD_SD_iiiii.kd
    .uniform_work_group_size: 1
    .uses_dynamic_stack: false
    .vgpr_count:     184
    .vgpr_spill_count: 0
    .wavefront_size: 32
    .workgroup_processor_mode: 1
  - .args:
      - .actual_access:  write_only
        .address_space:  global
        .offset:         0
        .size:           8
        .value_kind:     global_buffer
      - .actual_access:  write_only
        .address_space:  global
        .offset:         8
        .size:           8
        .value_kind:     global_buffer
      - .actual_access:  write_only
        .address_space:  global
        .offset:         16
        .size:           8
        .value_kind:     global_buffer
      - .actual_access:  read_only
        .address_space:  global
        .offset:         24
        .size:           8
        .value_kind:     global_buffer
      - .actual_access:  read_only
        .address_space:  global
        .offset:         32
        .size:           8
        .value_kind:     global_buffer
      - .actual_access:  read_only
        .address_space:  global
        .offset:         40
        .size:           8
        .value_kind:     global_buffer
      - .offset:         48
        .size:           4
        .value_kind:     by_value
      - .offset:         52
        .size:           4
        .value_kind:     by_value
      - .actual_access:  read_only
        .address_space:  global
        .offset:         56
        .size:           8
        .value_kind:     global_buffer
      - .actual_access:  read_only
        .address_space:  global
        .offset:         64
        .size:           8
        .value_kind:     global_buffer
      - .offset:         72
        .size:           4
        .value_kind:     by_value
      - .address_space:  global
        .offset:         80
        .size:           8
        .value_kind:     global_buffer
      - .offset:         88
        .size:           4
        .value_kind:     by_value
      - .offset:         92
        .size:           4
        .value_kind:     by_value
      - .offset:         96
        .size:           4
        .value_kind:     by_value
      - .address_space:  global
        .offset:         104
        .size:           8
        .value_kind:     global_buffer
      - .address_space:  global
        .offset:         112
        .size:           8
        .value_kind:     global_buffer
      - .offset:         120
        .size:           4
        .value_kind:     by_value
      - .offset:         124
        .size:           4
        .value_kind:     by_value
      - .offset:         128
        .size:           4
        .value_kind:     by_value
      - .offset:         132
        .size:           4
        .value_kind:     by_value
      - .offset:         136
        .size:           4
        .value_kind:     by_value
      - .offset:         144
        .size:           4
        .value_kind:     hidden_block_count_x
      - .offset:         148
        .size:           4
        .value_kind:     hidden_block_count_y
      - .offset:         152
        .size:           4
        .value_kind:     hidden_block_count_z
      - .offset:         156
        .size:           2
        .value_kind:     hidden_group_size_x
      - .offset:         158
        .size:           2
        .value_kind:     hidden_group_size_y
      - .offset:         160
        .size:           2
        .value_kind:     hidden_group_size_z
      - .offset:         162
        .size:           2
        .value_kind:     hidden_remainder_x
      - .offset:         164
        .size:           2
        .value_kind:     hidden_remainder_y
      - .offset:         166
        .size:           2
        .value_kind:     hidden_remainder_z
      - .offset:         184
        .size:           8
        .value_kind:     hidden_global_offset_x
      - .offset:         192
        .size:           8
        .value_kind:     hidden_global_offset_y
      - .offset:         200
        .size:           8
        .value_kind:     hidden_global_offset_z
      - .offset:         208
        .size:           2
        .value_kind:     hidden_grid_dims
      - .offset:         264
        .size:           4
        .value_kind:     hidden_dynamic_lds_size
    .group_segment_fixed_size: 272
    .kernarg_segment_align: 8
    .kernarg_segment_size: 400
    .language:       OpenCL C
    .language_version:
      - 2
      - 0
    .max_flat_workgroup_size: 1024
    .name:           _ZN4vllm25paged_attention_v2_kernelIthLi120ELi16ELi128ELNS_18Fp8KVCacheDataTypeE1ELb1ELi512EEEvPfS2_PT_PKS3_PKT0_S9_ifPKiSB_iPKfiiiSD_SD_iiiii
    .private_segment_fixed_size: 60
    .sgpr_count:     46
    .sgpr_spill_count: 0
    .symbol:         _ZN4vllm25paged_attention_v2_kernelIthLi120ELi16ELi128ELNS_18Fp8KVCacheDataTypeE1ELb1ELi512EEEvPfS2_PT_PKS3_PKT0_S9_ifPKiSB_iPKfiiiSD_SD_iiiii.kd
    .uniform_work_group_size: 1
    .uses_dynamic_stack: false
    .vgpr_count:     184
    .vgpr_spill_count: 0
    .wavefront_size: 32
    .workgroup_processor_mode: 1
  - .args:
      - .actual_access:  write_only
        .address_space:  global
        .offset:         0
        .size:           8
        .value_kind:     global_buffer
      - .actual_access:  write_only
        .address_space:  global
        .offset:         8
        .size:           8
        .value_kind:     global_buffer
      - .actual_access:  write_only
        .address_space:  global
        .offset:         16
        .size:           8
        .value_kind:     global_buffer
      - .actual_access:  read_only
        .address_space:  global
        .offset:         24
        .size:           8
        .value_kind:     global_buffer
      - .actual_access:  read_only
        .address_space:  global
        .offset:         32
        .size:           8
        .value_kind:     global_buffer
      - .actual_access:  read_only
        .address_space:  global
        .offset:         40
        .size:           8
        .value_kind:     global_buffer
      - .offset:         48
        .size:           4
        .value_kind:     by_value
      - .offset:         52
        .size:           4
        .value_kind:     by_value
      - .actual_access:  read_only
        .address_space:  global
        .offset:         56
        .size:           8
        .value_kind:     global_buffer
      - .actual_access:  read_only
        .address_space:  global
        .offset:         64
        .size:           8
        .value_kind:     global_buffer
      - .offset:         72
        .size:           4
        .value_kind:     by_value
      - .address_space:  global
        .offset:         80
        .size:           8
        .value_kind:     global_buffer
      - .offset:         88
        .size:           4
        .value_kind:     by_value
      - .offset:         92
        .size:           4
        .value_kind:     by_value
      - .offset:         96
        .size:           4
        .value_kind:     by_value
      - .address_space:  global
        .offset:         104
        .size:           8
        .value_kind:     global_buffer
      - .address_space:  global
        .offset:         112
        .size:           8
        .value_kind:     global_buffer
      - .offset:         120
        .size:           4
        .value_kind:     by_value
      - .offset:         124
        .size:           4
        .value_kind:     by_value
      - .offset:         128
        .size:           4
        .value_kind:     by_value
      - .offset:         132
        .size:           4
        .value_kind:     by_value
      - .offset:         136
        .size:           4
        .value_kind:     by_value
      - .offset:         144
        .size:           4
        .value_kind:     hidden_block_count_x
      - .offset:         148
        .size:           4
        .value_kind:     hidden_block_count_y
      - .offset:         152
        .size:           4
        .value_kind:     hidden_block_count_z
      - .offset:         156
        .size:           2
        .value_kind:     hidden_group_size_x
      - .offset:         158
        .size:           2
        .value_kind:     hidden_group_size_y
      - .offset:         160
        .size:           2
        .value_kind:     hidden_group_size_z
      - .offset:         162
        .size:           2
        .value_kind:     hidden_remainder_x
      - .offset:         164
        .size:           2
        .value_kind:     hidden_remainder_y
      - .offset:         166
        .size:           2
        .value_kind:     hidden_remainder_z
      - .offset:         184
        .size:           8
        .value_kind:     hidden_global_offset_x
      - .offset:         192
        .size:           8
        .value_kind:     hidden_global_offset_y
      - .offset:         200
        .size:           8
        .value_kind:     hidden_global_offset_z
      - .offset:         208
        .size:           2
        .value_kind:     hidden_grid_dims
      - .offset:         264
        .size:           4
        .value_kind:     hidden_dynamic_lds_size
    .group_segment_fixed_size: 288
    .kernarg_segment_align: 8
    .kernarg_segment_size: 400
    .language:       OpenCL C
    .language_version:
      - 2
      - 0
    .max_flat_workgroup_size: 1024
    .name:           _ZN4vllm25paged_attention_v2_kernelIthLi128ELi16ELi128ELNS_18Fp8KVCacheDataTypeE1ELb1ELi512EEEvPfS2_PT_PKS3_PKT0_S9_ifPKiSB_iPKfiiiSD_SD_iiiii
    .private_segment_fixed_size: 76
    .sgpr_count:     46
    .sgpr_spill_count: 0
    .symbol:         _ZN4vllm25paged_attention_v2_kernelIthLi128ELi16ELi128ELNS_18Fp8KVCacheDataTypeE1ELb1ELi512EEEvPfS2_PT_PKS3_PKT0_S9_ifPKiSB_iPKfiiiSD_SD_iiiii.kd
    .uniform_work_group_size: 1
    .uses_dynamic_stack: false
    .vgpr_count:     184
    .vgpr_spill_count: 0
    .wavefront_size: 32
    .workgroup_processor_mode: 1
  - .args:
      - .actual_access:  write_only
        .address_space:  global
        .offset:         0
        .size:           8
        .value_kind:     global_buffer
      - .actual_access:  write_only
        .address_space:  global
        .offset:         8
        .size:           8
        .value_kind:     global_buffer
      - .actual_access:  write_only
        .address_space:  global
        .offset:         16
        .size:           8
        .value_kind:     global_buffer
      - .actual_access:  read_only
        .address_space:  global
        .offset:         24
        .size:           8
        .value_kind:     global_buffer
      - .actual_access:  read_only
        .address_space:  global
        .offset:         32
        .size:           8
        .value_kind:     global_buffer
      - .actual_access:  read_only
        .address_space:  global
        .offset:         40
        .size:           8
        .value_kind:     global_buffer
      - .offset:         48
        .size:           4
        .value_kind:     by_value
      - .offset:         52
        .size:           4
        .value_kind:     by_value
      - .actual_access:  read_only
        .address_space:  global
        .offset:         56
        .size:           8
        .value_kind:     global_buffer
      - .actual_access:  read_only
        .address_space:  global
        .offset:         64
        .size:           8
        .value_kind:     global_buffer
      - .offset:         72
        .size:           4
        .value_kind:     by_value
      - .address_space:  global
        .offset:         80
        .size:           8
        .value_kind:     global_buffer
      - .offset:         88
        .size:           4
        .value_kind:     by_value
      - .offset:         92
        .size:           4
        .value_kind:     by_value
      - .offset:         96
        .size:           4
        .value_kind:     by_value
      - .address_space:  global
        .offset:         104
        .size:           8
        .value_kind:     global_buffer
      - .address_space:  global
        .offset:         112
        .size:           8
        .value_kind:     global_buffer
      - .offset:         120
        .size:           4
        .value_kind:     by_value
      - .offset:         124
        .size:           4
        .value_kind:     by_value
      - .offset:         128
        .size:           4
        .value_kind:     by_value
      - .offset:         132
        .size:           4
        .value_kind:     by_value
      - .offset:         136
        .size:           4
        .value_kind:     by_value
      - .offset:         144
        .size:           4
        .value_kind:     hidden_block_count_x
      - .offset:         148
        .size:           4
        .value_kind:     hidden_block_count_y
      - .offset:         152
        .size:           4
        .value_kind:     hidden_block_count_z
      - .offset:         156
        .size:           2
        .value_kind:     hidden_group_size_x
      - .offset:         158
        .size:           2
        .value_kind:     hidden_group_size_y
      - .offset:         160
        .size:           2
        .value_kind:     hidden_group_size_z
      - .offset:         162
        .size:           2
        .value_kind:     hidden_remainder_x
      - .offset:         164
        .size:           2
        .value_kind:     hidden_remainder_y
      - .offset:         166
        .size:           2
        .value_kind:     hidden_remainder_z
      - .offset:         184
        .size:           8
        .value_kind:     hidden_global_offset_x
      - .offset:         192
        .size:           8
        .value_kind:     hidden_global_offset_y
      - .offset:         200
        .size:           8
        .value_kind:     hidden_global_offset_z
      - .offset:         208
        .size:           2
        .value_kind:     hidden_grid_dims
      - .offset:         264
        .size:           4
        .value_kind:     hidden_dynamic_lds_size
    .group_segment_fixed_size: 416
    .kernarg_segment_align: 8
    .kernarg_segment_size: 400
    .language:       OpenCL C
    .language_version:
      - 2
      - 0
    .max_flat_workgroup_size: 1024
    .name:           _ZN4vllm25paged_attention_v2_kernelIthLi192ELi16ELi128ELNS_18Fp8KVCacheDataTypeE1ELb1ELi512EEEvPfS2_PT_PKS3_PKT0_S9_ifPKiSB_iPKfiiiSD_SD_iiiii
    .private_segment_fixed_size: 204
    .sgpr_count:     46
    .sgpr_spill_count: 0
    .symbol:         _ZN4vllm25paged_attention_v2_kernelIthLi192ELi16ELi128ELNS_18Fp8KVCacheDataTypeE1ELb1ELi512EEEvPfS2_PT_PKS3_PKT0_S9_ifPKiSB_iPKfiiiSD_SD_iiiii.kd
    .uniform_work_group_size: 1
    .uses_dynamic_stack: false
    .vgpr_count:     184
    .vgpr_spill_count: 0
    .wavefront_size: 32
    .workgroup_processor_mode: 1
  - .args:
      - .actual_access:  write_only
        .address_space:  global
        .offset:         0
        .size:           8
        .value_kind:     global_buffer
      - .actual_access:  write_only
        .address_space:  global
        .offset:         8
        .size:           8
        .value_kind:     global_buffer
      - .actual_access:  write_only
        .address_space:  global
        .offset:         16
        .size:           8
        .value_kind:     global_buffer
      - .actual_access:  read_only
        .address_space:  global
        .offset:         24
        .size:           8
        .value_kind:     global_buffer
      - .actual_access:  read_only
        .address_space:  global
        .offset:         32
        .size:           8
        .value_kind:     global_buffer
      - .actual_access:  read_only
        .address_space:  global
        .offset:         40
        .size:           8
        .value_kind:     global_buffer
      - .offset:         48
        .size:           4
        .value_kind:     by_value
      - .offset:         52
        .size:           4
        .value_kind:     by_value
      - .actual_access:  read_only
        .address_space:  global
        .offset:         56
        .size:           8
        .value_kind:     global_buffer
      - .actual_access:  read_only
        .address_space:  global
        .offset:         64
        .size:           8
        .value_kind:     global_buffer
      - .offset:         72
        .size:           4
        .value_kind:     by_value
      - .address_space:  global
        .offset:         80
        .size:           8
        .value_kind:     global_buffer
      - .offset:         88
        .size:           4
        .value_kind:     by_value
      - .offset:         92
        .size:           4
        .value_kind:     by_value
      - .offset:         96
        .size:           4
        .value_kind:     by_value
      - .address_space:  global
        .offset:         104
        .size:           8
        .value_kind:     global_buffer
      - .address_space:  global
        .offset:         112
        .size:           8
        .value_kind:     global_buffer
      - .offset:         120
        .size:           4
        .value_kind:     by_value
      - .offset:         124
        .size:           4
        .value_kind:     by_value
      - .offset:         128
        .size:           4
        .value_kind:     by_value
      - .offset:         132
        .size:           4
        .value_kind:     by_value
      - .offset:         136
        .size:           4
        .value_kind:     by_value
      - .offset:         144
        .size:           4
        .value_kind:     hidden_block_count_x
      - .offset:         148
        .size:           4
        .value_kind:     hidden_block_count_y
      - .offset:         152
        .size:           4
        .value_kind:     hidden_block_count_z
      - .offset:         156
        .size:           2
        .value_kind:     hidden_group_size_x
      - .offset:         158
        .size:           2
        .value_kind:     hidden_group_size_y
      - .offset:         160
        .size:           2
        .value_kind:     hidden_group_size_z
      - .offset:         162
        .size:           2
        .value_kind:     hidden_remainder_x
      - .offset:         164
        .size:           2
        .value_kind:     hidden_remainder_y
      - .offset:         166
        .size:           2
        .value_kind:     hidden_remainder_z
      - .offset:         184
        .size:           8
        .value_kind:     hidden_global_offset_x
      - .offset:         192
        .size:           8
        .value_kind:     hidden_global_offset_y
      - .offset:         200
        .size:           8
        .value_kind:     hidden_global_offset_z
      - .offset:         208
        .size:           2
        .value_kind:     hidden_grid_dims
      - .offset:         264
        .size:           4
        .value_kind:     hidden_dynamic_lds_size
    .group_segment_fixed_size: 544
    .kernarg_segment_align: 8
    .kernarg_segment_size: 400
    .language:       OpenCL C
    .language_version:
      - 2
      - 0
    .max_flat_workgroup_size: 1024
    .name:           _ZN4vllm25paged_attention_v2_kernelIthLi256ELi16ELi128ELNS_18Fp8KVCacheDataTypeE1ELb1ELi512EEEvPfS2_PT_PKS3_PKT0_S9_ifPKiSB_iPKfiiiSD_SD_iiiii
    .private_segment_fixed_size: 332
    .sgpr_count:     46
    .sgpr_spill_count: 0
    .symbol:         _ZN4vllm25paged_attention_v2_kernelIthLi256ELi16ELi128ELNS_18Fp8KVCacheDataTypeE1ELb1ELi512EEEvPfS2_PT_PKS3_PKT0_S9_ifPKiSB_iPKfiiiSD_SD_iiiii.kd
    .uniform_work_group_size: 1
    .uses_dynamic_stack: false
    .vgpr_count:     192
    .vgpr_spill_count: 0
    .wavefront_size: 32
    .workgroup_processor_mode: 1
  - .args:
      - .actual_access:  write_only
        .address_space:  global
        .offset:         0
        .size:           8
        .value_kind:     global_buffer
      - .actual_access:  write_only
        .address_space:  global
        .offset:         8
        .size:           8
        .value_kind:     global_buffer
      - .actual_access:  write_only
        .address_space:  global
        .offset:         16
        .size:           8
        .value_kind:     global_buffer
      - .actual_access:  read_only
        .address_space:  global
        .offset:         24
        .size:           8
        .value_kind:     global_buffer
      - .actual_access:  read_only
        .address_space:  global
        .offset:         32
        .size:           8
        .value_kind:     global_buffer
      - .actual_access:  read_only
        .address_space:  global
        .offset:         40
        .size:           8
        .value_kind:     global_buffer
      - .offset:         48
        .size:           4
        .value_kind:     by_value
      - .offset:         52
        .size:           4
        .value_kind:     by_value
      - .actual_access:  read_only
        .address_space:  global
        .offset:         56
        .size:           8
        .value_kind:     global_buffer
      - .actual_access:  read_only
        .address_space:  global
        .offset:         64
        .size:           8
        .value_kind:     global_buffer
      - .offset:         72
        .size:           4
        .value_kind:     by_value
      - .actual_access:  read_only
        .address_space:  global
        .offset:         80
        .size:           8
        .value_kind:     global_buffer
      - .offset:         88
        .size:           4
        .value_kind:     by_value
      - .offset:         92
        .size:           4
        .value_kind:     by_value
      - .offset:         96
        .size:           4
        .value_kind:     by_value
      - .address_space:  global
        .offset:         104
        .size:           8
        .value_kind:     global_buffer
      - .address_space:  global
        .offset:         112
        .size:           8
        .value_kind:     global_buffer
      - .offset:         120
        .size:           4
        .value_kind:     by_value
      - .offset:         124
        .size:           4
        .value_kind:     by_value
      - .offset:         128
        .size:           4
        .value_kind:     by_value
      - .offset:         132
        .size:           4
        .value_kind:     by_value
      - .offset:         136
        .size:           4
        .value_kind:     by_value
      - .offset:         144
        .size:           4
        .value_kind:     hidden_block_count_x
      - .offset:         148
        .size:           4
        .value_kind:     hidden_block_count_y
      - .offset:         152
        .size:           4
        .value_kind:     hidden_block_count_z
      - .offset:         156
        .size:           2
        .value_kind:     hidden_group_size_x
      - .offset:         158
        .size:           2
        .value_kind:     hidden_group_size_y
      - .offset:         160
        .size:           2
        .value_kind:     hidden_group_size_z
      - .offset:         162
        .size:           2
        .value_kind:     hidden_remainder_x
      - .offset:         164
        .size:           2
        .value_kind:     hidden_remainder_y
      - .offset:         166
        .size:           2
        .value_kind:     hidden_remainder_z
      - .offset:         184
        .size:           8
        .value_kind:     hidden_global_offset_x
      - .offset:         192
        .size:           8
        .value_kind:     hidden_global_offset_y
      - .offset:         200
        .size:           8
        .value_kind:     hidden_global_offset_z
      - .offset:         208
        .size:           2
        .value_kind:     hidden_grid_dims
      - .offset:         264
        .size:           4
        .value_kind:     hidden_dynamic_lds_size
    .group_segment_fixed_size: 96
    .kernarg_segment_align: 8
    .kernarg_segment_size: 400
    .language:       OpenCL C
    .language_version:
      - 2
      - 0
    .max_flat_workgroup_size: 1024
    .name:           _ZN4vllm25paged_attention_v2_kernelIthLi32ELi16ELi128ELNS_18Fp8KVCacheDataTypeE1ELb0ELi512EEEvPfS2_PT_PKS3_PKT0_S9_ifPKiSB_iPKfiiiSD_SD_iiiii
    .private_segment_fixed_size: 0
    .sgpr_count:     45
    .sgpr_spill_count: 0
    .symbol:         _ZN4vllm25paged_attention_v2_kernelIthLi32ELi16ELi128ELNS_18Fp8KVCacheDataTypeE1ELb0ELi512EEEvPfS2_PT_PKS3_PKT0_S9_ifPKiSB_iPKfiiiSD_SD_iiiii.kd
    .uniform_work_group_size: 1
    .uses_dynamic_stack: false
    .vgpr_count:     52
    .vgpr_spill_count: 0
    .wavefront_size: 32
    .workgroup_processor_mode: 1
  - .args:
      - .actual_access:  write_only
        .address_space:  global
        .offset:         0
        .size:           8
        .value_kind:     global_buffer
      - .actual_access:  write_only
        .address_space:  global
        .offset:         8
        .size:           8
        .value_kind:     global_buffer
      - .actual_access:  write_only
        .address_space:  global
        .offset:         16
        .size:           8
        .value_kind:     global_buffer
      - .actual_access:  read_only
        .address_space:  global
        .offset:         24
        .size:           8
        .value_kind:     global_buffer
      - .actual_access:  read_only
        .address_space:  global
        .offset:         32
        .size:           8
        .value_kind:     global_buffer
      - .actual_access:  read_only
        .address_space:  global
        .offset:         40
        .size:           8
        .value_kind:     global_buffer
      - .offset:         48
        .size:           4
        .value_kind:     by_value
      - .offset:         52
        .size:           4
        .value_kind:     by_value
      - .actual_access:  read_only
        .address_space:  global
        .offset:         56
        .size:           8
        .value_kind:     global_buffer
      - .actual_access:  read_only
        .address_space:  global
        .offset:         64
        .size:           8
        .value_kind:     global_buffer
      - .offset:         72
        .size:           4
        .value_kind:     by_value
      - .actual_access:  read_only
        .address_space:  global
        .offset:         80
        .size:           8
        .value_kind:     global_buffer
      - .offset:         88
        .size:           4
        .value_kind:     by_value
      - .offset:         92
        .size:           4
        .value_kind:     by_value
      - .offset:         96
        .size:           4
        .value_kind:     by_value
      - .address_space:  global
        .offset:         104
        .size:           8
        .value_kind:     global_buffer
      - .address_space:  global
        .offset:         112
        .size:           8
        .value_kind:     global_buffer
      - .offset:         120
        .size:           4
        .value_kind:     by_value
      - .offset:         124
        .size:           4
        .value_kind:     by_value
      - .offset:         128
        .size:           4
        .value_kind:     by_value
      - .offset:         132
        .size:           4
        .value_kind:     by_value
      - .offset:         136
        .size:           4
        .value_kind:     by_value
      - .offset:         144
        .size:           4
        .value_kind:     hidden_block_count_x
      - .offset:         148
        .size:           4
        .value_kind:     hidden_block_count_y
      - .offset:         152
        .size:           4
        .value_kind:     hidden_block_count_z
      - .offset:         156
        .size:           2
        .value_kind:     hidden_group_size_x
      - .offset:         158
        .size:           2
        .value_kind:     hidden_group_size_y
      - .offset:         160
        .size:           2
        .value_kind:     hidden_group_size_z
      - .offset:         162
        .size:           2
        .value_kind:     hidden_remainder_x
      - .offset:         164
        .size:           2
        .value_kind:     hidden_remainder_y
      - .offset:         166
        .size:           2
        .value_kind:     hidden_remainder_z
      - .offset:         184
        .size:           8
        .value_kind:     hidden_global_offset_x
      - .offset:         192
        .size:           8
        .value_kind:     hidden_global_offset_y
      - .offset:         200
        .size:           8
        .value_kind:     hidden_global_offset_z
      - .offset:         208
        .size:           2
        .value_kind:     hidden_grid_dims
      - .offset:         264
        .size:           4
        .value_kind:     hidden_dynamic_lds_size
    .group_segment_fixed_size: 160
    .kernarg_segment_align: 8
    .kernarg_segment_size: 400
    .language:       OpenCL C
    .language_version:
      - 2
      - 0
    .max_flat_workgroup_size: 1024
    .name:           _ZN4vllm25paged_attention_v2_kernelIthLi64ELi16ELi128ELNS_18Fp8KVCacheDataTypeE1ELb0ELi512EEEvPfS2_PT_PKS3_PKT0_S9_ifPKiSB_iPKfiiiSD_SD_iiiii
    .private_segment_fixed_size: 0
    .sgpr_count:     45
    .sgpr_spill_count: 0
    .symbol:         _ZN4vllm25paged_attention_v2_kernelIthLi64ELi16ELi128ELNS_18Fp8KVCacheDataTypeE1ELb0ELi512EEEvPfS2_PT_PKS3_PKT0_S9_ifPKiSB_iPKfiiiSD_SD_iiiii.kd
    .uniform_work_group_size: 1
    .uses_dynamic_stack: false
    .vgpr_count:     81
    .vgpr_spill_count: 0
    .wavefront_size: 32
    .workgroup_processor_mode: 1
  - .args:
      - .actual_access:  write_only
        .address_space:  global
        .offset:         0
        .size:           8
        .value_kind:     global_buffer
      - .actual_access:  write_only
        .address_space:  global
        .offset:         8
        .size:           8
        .value_kind:     global_buffer
      - .actual_access:  write_only
        .address_space:  global
        .offset:         16
        .size:           8
        .value_kind:     global_buffer
      - .actual_access:  read_only
        .address_space:  global
        .offset:         24
        .size:           8
        .value_kind:     global_buffer
      - .actual_access:  read_only
        .address_space:  global
        .offset:         32
        .size:           8
        .value_kind:     global_buffer
      - .actual_access:  read_only
        .address_space:  global
        .offset:         40
        .size:           8
        .value_kind:     global_buffer
      - .offset:         48
        .size:           4
        .value_kind:     by_value
      - .offset:         52
        .size:           4
        .value_kind:     by_value
      - .actual_access:  read_only
        .address_space:  global
        .offset:         56
        .size:           8
        .value_kind:     global_buffer
      - .actual_access:  read_only
        .address_space:  global
        .offset:         64
        .size:           8
        .value_kind:     global_buffer
      - .offset:         72
        .size:           4
        .value_kind:     by_value
      - .actual_access:  read_only
        .address_space:  global
        .offset:         80
        .size:           8
        .value_kind:     global_buffer
      - .offset:         88
        .size:           4
        .value_kind:     by_value
      - .offset:         92
        .size:           4
        .value_kind:     by_value
      - .offset:         96
        .size:           4
        .value_kind:     by_value
      - .address_space:  global
        .offset:         104
        .size:           8
        .value_kind:     global_buffer
      - .address_space:  global
        .offset:         112
        .size:           8
        .value_kind:     global_buffer
      - .offset:         120
        .size:           4
        .value_kind:     by_value
      - .offset:         124
        .size:           4
        .value_kind:     by_value
      - .offset:         128
        .size:           4
        .value_kind:     by_value
      - .offset:         132
        .size:           4
        .value_kind:     by_value
      - .offset:         136
        .size:           4
        .value_kind:     by_value
      - .offset:         144
        .size:           4
        .value_kind:     hidden_block_count_x
      - .offset:         148
        .size:           4
        .value_kind:     hidden_block_count_y
      - .offset:         152
        .size:           4
        .value_kind:     hidden_block_count_z
      - .offset:         156
        .size:           2
        .value_kind:     hidden_group_size_x
      - .offset:         158
        .size:           2
        .value_kind:     hidden_group_size_y
      - .offset:         160
        .size:           2
        .value_kind:     hidden_group_size_z
      - .offset:         162
        .size:           2
        .value_kind:     hidden_remainder_x
      - .offset:         164
        .size:           2
        .value_kind:     hidden_remainder_y
      - .offset:         166
        .size:           2
        .value_kind:     hidden_remainder_z
      - .offset:         184
        .size:           8
        .value_kind:     hidden_global_offset_x
      - .offset:         192
        .size:           8
        .value_kind:     hidden_global_offset_y
      - .offset:         200
        .size:           8
        .value_kind:     hidden_global_offset_z
      - .offset:         208
        .size:           2
        .value_kind:     hidden_grid_dims
      - .offset:         264
        .size:           4
        .value_kind:     hidden_dynamic_lds_size
    .group_segment_fixed_size: 192
    .kernarg_segment_align: 8
    .kernarg_segment_size: 400
    .language:       OpenCL C
    .language_version:
      - 2
      - 0
    .max_flat_workgroup_size: 1024
    .name:           _ZN4vllm25paged_attention_v2_kernelIthLi80ELi16ELi128ELNS_18Fp8KVCacheDataTypeE1ELb0ELi512EEEvPfS2_PT_PKS3_PKT0_S9_ifPKiSB_iPKfiiiSD_SD_iiiii
    .private_segment_fixed_size: 0
    .sgpr_count:     45
    .sgpr_spill_count: 0
    .symbol:         _ZN4vllm25paged_attention_v2_kernelIthLi80ELi16ELi128ELNS_18Fp8KVCacheDataTypeE1ELb0ELi512EEEvPfS2_PT_PKS3_PKT0_S9_ifPKiSB_iPKfiiiSD_SD_iiiii.kd
    .uniform_work_group_size: 1
    .uses_dynamic_stack: false
    .vgpr_count:     94
    .vgpr_spill_count: 0
    .wavefront_size: 32
    .workgroup_processor_mode: 1
  - .args:
      - .actual_access:  write_only
        .address_space:  global
        .offset:         0
        .size:           8
        .value_kind:     global_buffer
      - .actual_access:  write_only
        .address_space:  global
        .offset:         8
        .size:           8
        .value_kind:     global_buffer
      - .actual_access:  write_only
        .address_space:  global
        .offset:         16
        .size:           8
        .value_kind:     global_buffer
      - .actual_access:  read_only
        .address_space:  global
        .offset:         24
        .size:           8
        .value_kind:     global_buffer
      - .actual_access:  read_only
        .address_space:  global
        .offset:         32
        .size:           8
        .value_kind:     global_buffer
      - .actual_access:  read_only
        .address_space:  global
        .offset:         40
        .size:           8
        .value_kind:     global_buffer
      - .offset:         48
        .size:           4
        .value_kind:     by_value
      - .offset:         52
        .size:           4
        .value_kind:     by_value
      - .actual_access:  read_only
        .address_space:  global
        .offset:         56
        .size:           8
        .value_kind:     global_buffer
      - .actual_access:  read_only
        .address_space:  global
        .offset:         64
        .size:           8
        .value_kind:     global_buffer
      - .offset:         72
        .size:           4
        .value_kind:     by_value
      - .address_space:  global
        .offset:         80
        .size:           8
        .value_kind:     global_buffer
      - .offset:         88
        .size:           4
        .value_kind:     by_value
      - .offset:         92
        .size:           4
        .value_kind:     by_value
      - .offset:         96
        .size:           4
        .value_kind:     by_value
      - .address_space:  global
        .offset:         104
        .size:           8
        .value_kind:     global_buffer
      - .address_space:  global
        .offset:         112
        .size:           8
        .value_kind:     global_buffer
      - .offset:         120
        .size:           4
        .value_kind:     by_value
      - .offset:         124
        .size:           4
        .value_kind:     by_value
      - .offset:         128
        .size:           4
        .value_kind:     by_value
      - .offset:         132
        .size:           4
        .value_kind:     by_value
      - .offset:         136
        .size:           4
        .value_kind:     by_value
      - .offset:         144
        .size:           4
        .value_kind:     hidden_block_count_x
      - .offset:         148
        .size:           4
        .value_kind:     hidden_block_count_y
      - .offset:         152
        .size:           4
        .value_kind:     hidden_block_count_z
      - .offset:         156
        .size:           2
        .value_kind:     hidden_group_size_x
      - .offset:         158
        .size:           2
        .value_kind:     hidden_group_size_y
      - .offset:         160
        .size:           2
        .value_kind:     hidden_group_size_z
      - .offset:         162
        .size:           2
        .value_kind:     hidden_remainder_x
      - .offset:         164
        .size:           2
        .value_kind:     hidden_remainder_y
      - .offset:         166
        .size:           2
        .value_kind:     hidden_remainder_z
      - .offset:         184
        .size:           8
        .value_kind:     hidden_global_offset_x
      - .offset:         192
        .size:           8
        .value_kind:     hidden_global_offset_y
      - .offset:         200
        .size:           8
        .value_kind:     hidden_global_offset_z
      - .offset:         208
        .size:           2
        .value_kind:     hidden_grid_dims
      - .offset:         264
        .size:           4
        .value_kind:     hidden_dynamic_lds_size
    .group_segment_fixed_size: 224
    .kernarg_segment_align: 8
    .kernarg_segment_size: 400
    .language:       OpenCL C
    .language_version:
      - 2
      - 0
    .max_flat_workgroup_size: 1024
    .name:           _ZN4vllm25paged_attention_v2_kernelIthLi96ELi16ELi128ELNS_18Fp8KVCacheDataTypeE1ELb0ELi512EEEvPfS2_PT_PKS3_PKT0_S9_ifPKiSB_iPKfiiiSD_SD_iiiii
    .private_segment_fixed_size: 0
    .sgpr_count:     46
    .sgpr_spill_count: 0
    .symbol:         _ZN4vllm25paged_attention_v2_kernelIthLi96ELi16ELi128ELNS_18Fp8KVCacheDataTypeE1ELb0ELi512EEEvPfS2_PT_PKS3_PKT0_S9_ifPKiSB_iPKfiiiSD_SD_iiiii.kd
    .uniform_work_group_size: 1
    .uses_dynamic_stack: false
    .vgpr_count:     166
    .vgpr_spill_count: 0
    .wavefront_size: 32
    .workgroup_processor_mode: 1
  - .args:
      - .actual_access:  write_only
        .address_space:  global
        .offset:         0
        .size:           8
        .value_kind:     global_buffer
      - .actual_access:  write_only
        .address_space:  global
        .offset:         8
        .size:           8
        .value_kind:     global_buffer
      - .actual_access:  write_only
        .address_space:  global
        .offset:         16
        .size:           8
        .value_kind:     global_buffer
      - .actual_access:  read_only
        .address_space:  global
        .offset:         24
        .size:           8
        .value_kind:     global_buffer
      - .actual_access:  read_only
        .address_space:  global
        .offset:         32
        .size:           8
        .value_kind:     global_buffer
      - .actual_access:  read_only
        .address_space:  global
        .offset:         40
        .size:           8
        .value_kind:     global_buffer
      - .offset:         48
        .size:           4
        .value_kind:     by_value
      - .offset:         52
        .size:           4
        .value_kind:     by_value
      - .actual_access:  read_only
        .address_space:  global
        .offset:         56
        .size:           8
        .value_kind:     global_buffer
      - .actual_access:  read_only
        .address_space:  global
        .offset:         64
        .size:           8
        .value_kind:     global_buffer
      - .offset:         72
        .size:           4
        .value_kind:     by_value
      - .address_space:  global
        .offset:         80
        .size:           8
        .value_kind:     global_buffer
      - .offset:         88
        .size:           4
        .value_kind:     by_value
      - .offset:         92
        .size:           4
        .value_kind:     by_value
      - .offset:         96
        .size:           4
        .value_kind:     by_value
      - .address_space:  global
        .offset:         104
        .size:           8
        .value_kind:     global_buffer
      - .address_space:  global
        .offset:         112
        .size:           8
        .value_kind:     global_buffer
      - .offset:         120
        .size:           4
        .value_kind:     by_value
      - .offset:         124
        .size:           4
        .value_kind:     by_value
      - .offset:         128
        .size:           4
        .value_kind:     by_value
      - .offset:         132
        .size:           4
        .value_kind:     by_value
      - .offset:         136
        .size:           4
        .value_kind:     by_value
      - .offset:         144
        .size:           4
        .value_kind:     hidden_block_count_x
      - .offset:         148
        .size:           4
        .value_kind:     hidden_block_count_y
      - .offset:         152
        .size:           4
        .value_kind:     hidden_block_count_z
      - .offset:         156
        .size:           2
        .value_kind:     hidden_group_size_x
      - .offset:         158
        .size:           2
        .value_kind:     hidden_group_size_y
      - .offset:         160
        .size:           2
        .value_kind:     hidden_group_size_z
      - .offset:         162
        .size:           2
        .value_kind:     hidden_remainder_x
      - .offset:         164
        .size:           2
        .value_kind:     hidden_remainder_y
      - .offset:         166
        .size:           2
        .value_kind:     hidden_remainder_z
      - .offset:         184
        .size:           8
        .value_kind:     hidden_global_offset_x
      - .offset:         192
        .size:           8
        .value_kind:     hidden_global_offset_y
      - .offset:         200
        .size:           8
        .value_kind:     hidden_global_offset_z
      - .offset:         208
        .size:           2
        .value_kind:     hidden_grid_dims
      - .offset:         264
        .size:           4
        .value_kind:     hidden_dynamic_lds_size
    .group_segment_fixed_size: 256
    .kernarg_segment_align: 8
    .kernarg_segment_size: 400
    .language:       OpenCL C
    .language_version:
      - 2
      - 0
    .max_flat_workgroup_size: 1024
    .name:           _ZN4vllm25paged_attention_v2_kernelIthLi112ELi16ELi128ELNS_18Fp8KVCacheDataTypeE1ELb0ELi512EEEvPfS2_PT_PKS3_PKT0_S9_ifPKiSB_iPKfiiiSD_SD_iiiii
    .private_segment_fixed_size: 0
    .sgpr_count:     46
    .sgpr_spill_count: 0
    .symbol:         _ZN4vllm25paged_attention_v2_kernelIthLi112ELi16ELi128ELNS_18Fp8KVCacheDataTypeE1ELb0ELi512EEEvPfS2_PT_PKS3_PKT0_S9_ifPKiSB_iPKfiiiSD_SD_iiiii.kd
    .uniform_work_group_size: 1
    .uses_dynamic_stack: false
    .vgpr_count:     182
    .vgpr_spill_count: 0
    .wavefront_size: 32
    .workgroup_processor_mode: 1
  - .args:
      - .actual_access:  write_only
        .address_space:  global
        .offset:         0
        .size:           8
        .value_kind:     global_buffer
      - .actual_access:  write_only
        .address_space:  global
        .offset:         8
        .size:           8
        .value_kind:     global_buffer
      - .actual_access:  write_only
        .address_space:  global
        .offset:         16
        .size:           8
        .value_kind:     global_buffer
      - .actual_access:  read_only
        .address_space:  global
        .offset:         24
        .size:           8
        .value_kind:     global_buffer
      - .actual_access:  read_only
        .address_space:  global
        .offset:         32
        .size:           8
        .value_kind:     global_buffer
      - .actual_access:  read_only
        .address_space:  global
        .offset:         40
        .size:           8
        .value_kind:     global_buffer
      - .offset:         48
        .size:           4
        .value_kind:     by_value
      - .offset:         52
        .size:           4
        .value_kind:     by_value
      - .actual_access:  read_only
        .address_space:  global
        .offset:         56
        .size:           8
        .value_kind:     global_buffer
      - .actual_access:  read_only
        .address_space:  global
        .offset:         64
        .size:           8
        .value_kind:     global_buffer
      - .offset:         72
        .size:           4
        .value_kind:     by_value
      - .address_space:  global
        .offset:         80
        .size:           8
        .value_kind:     global_buffer
      - .offset:         88
        .size:           4
        .value_kind:     by_value
      - .offset:         92
        .size:           4
        .value_kind:     by_value
      - .offset:         96
        .size:           4
        .value_kind:     by_value
      - .address_space:  global
        .offset:         104
        .size:           8
        .value_kind:     global_buffer
      - .address_space:  global
        .offset:         112
        .size:           8
        .value_kind:     global_buffer
      - .offset:         120
        .size:           4
        .value_kind:     by_value
      - .offset:         124
        .size:           4
        .value_kind:     by_value
      - .offset:         128
        .size:           4
        .value_kind:     by_value
      - .offset:         132
        .size:           4
        .value_kind:     by_value
      - .offset:         136
        .size:           4
        .value_kind:     by_value
      - .offset:         144
        .size:           4
        .value_kind:     hidden_block_count_x
      - .offset:         148
        .size:           4
        .value_kind:     hidden_block_count_y
      - .offset:         152
        .size:           4
        .value_kind:     hidden_block_count_z
      - .offset:         156
        .size:           2
        .value_kind:     hidden_group_size_x
      - .offset:         158
        .size:           2
        .value_kind:     hidden_group_size_y
      - .offset:         160
        .size:           2
        .value_kind:     hidden_group_size_z
      - .offset:         162
        .size:           2
        .value_kind:     hidden_remainder_x
      - .offset:         164
        .size:           2
        .value_kind:     hidden_remainder_y
      - .offset:         166
        .size:           2
        .value_kind:     hidden_remainder_z
      - .offset:         184
        .size:           8
        .value_kind:     hidden_global_offset_x
      - .offset:         192
        .size:           8
        .value_kind:     hidden_global_offset_y
      - .offset:         200
        .size:           8
        .value_kind:     hidden_global_offset_z
      - .offset:         208
        .size:           2
        .value_kind:     hidden_grid_dims
      - .offset:         264
        .size:           4
        .value_kind:     hidden_dynamic_lds_size
    .group_segment_fixed_size: 272
    .kernarg_segment_align: 8
    .kernarg_segment_size: 400
    .language:       OpenCL C
    .language_version:
      - 2
      - 0
    .max_flat_workgroup_size: 1024
    .name:           _ZN4vllm25paged_attention_v2_kernelIthLi120ELi16ELi128ELNS_18Fp8KVCacheDataTypeE1ELb0ELi512EEEvPfS2_PT_PKS3_PKT0_S9_ifPKiSB_iPKfiiiSD_SD_iiiii
    .private_segment_fixed_size: 12
    .sgpr_count:     46
    .sgpr_spill_count: 0
    .symbol:         _ZN4vllm25paged_attention_v2_kernelIthLi120ELi16ELi128ELNS_18Fp8KVCacheDataTypeE1ELb0ELi512EEEvPfS2_PT_PKS3_PKT0_S9_ifPKiSB_iPKfiiiSD_SD_iiiii.kd
    .uniform_work_group_size: 1
    .uses_dynamic_stack: false
    .vgpr_count:     184
    .vgpr_spill_count: 0
    .wavefront_size: 32
    .workgroup_processor_mode: 1
  - .args:
      - .actual_access:  write_only
        .address_space:  global
        .offset:         0
        .size:           8
        .value_kind:     global_buffer
      - .actual_access:  write_only
        .address_space:  global
        .offset:         8
        .size:           8
        .value_kind:     global_buffer
      - .actual_access:  write_only
        .address_space:  global
        .offset:         16
        .size:           8
        .value_kind:     global_buffer
      - .actual_access:  read_only
        .address_space:  global
        .offset:         24
        .size:           8
        .value_kind:     global_buffer
      - .actual_access:  read_only
        .address_space:  global
        .offset:         32
        .size:           8
        .value_kind:     global_buffer
      - .actual_access:  read_only
        .address_space:  global
        .offset:         40
        .size:           8
        .value_kind:     global_buffer
      - .offset:         48
        .size:           4
        .value_kind:     by_value
      - .offset:         52
        .size:           4
        .value_kind:     by_value
      - .actual_access:  read_only
        .address_space:  global
        .offset:         56
        .size:           8
        .value_kind:     global_buffer
      - .actual_access:  read_only
        .address_space:  global
        .offset:         64
        .size:           8
        .value_kind:     global_buffer
      - .offset:         72
        .size:           4
        .value_kind:     by_value
      - .address_space:  global
        .offset:         80
        .size:           8
        .value_kind:     global_buffer
      - .offset:         88
        .size:           4
        .value_kind:     by_value
      - .offset:         92
        .size:           4
        .value_kind:     by_value
      - .offset:         96
        .size:           4
        .value_kind:     by_value
      - .address_space:  global
        .offset:         104
        .size:           8
        .value_kind:     global_buffer
      - .address_space:  global
        .offset:         112
        .size:           8
        .value_kind:     global_buffer
      - .offset:         120
        .size:           4
        .value_kind:     by_value
      - .offset:         124
        .size:           4
        .value_kind:     by_value
      - .offset:         128
        .size:           4
        .value_kind:     by_value
      - .offset:         132
        .size:           4
        .value_kind:     by_value
      - .offset:         136
        .size:           4
        .value_kind:     by_value
      - .offset:         144
        .size:           4
        .value_kind:     hidden_block_count_x
      - .offset:         148
        .size:           4
        .value_kind:     hidden_block_count_y
      - .offset:         152
        .size:           4
        .value_kind:     hidden_block_count_z
      - .offset:         156
        .size:           2
        .value_kind:     hidden_group_size_x
      - .offset:         158
        .size:           2
        .value_kind:     hidden_group_size_y
      - .offset:         160
        .size:           2
        .value_kind:     hidden_group_size_z
      - .offset:         162
        .size:           2
        .value_kind:     hidden_remainder_x
      - .offset:         164
        .size:           2
        .value_kind:     hidden_remainder_y
      - .offset:         166
        .size:           2
        .value_kind:     hidden_remainder_z
      - .offset:         184
        .size:           8
        .value_kind:     hidden_global_offset_x
      - .offset:         192
        .size:           8
        .value_kind:     hidden_global_offset_y
      - .offset:         200
        .size:           8
        .value_kind:     hidden_global_offset_z
      - .offset:         208
        .size:           2
        .value_kind:     hidden_grid_dims
      - .offset:         264
        .size:           4
        .value_kind:     hidden_dynamic_lds_size
    .group_segment_fixed_size: 288
    .kernarg_segment_align: 8
    .kernarg_segment_size: 400
    .language:       OpenCL C
    .language_version:
      - 2
      - 0
    .max_flat_workgroup_size: 1024
    .name:           _ZN4vllm25paged_attention_v2_kernelIthLi128ELi16ELi128ELNS_18Fp8KVCacheDataTypeE1ELb0ELi512EEEvPfS2_PT_PKS3_PKT0_S9_ifPKiSB_iPKfiiiSD_SD_iiiii
    .private_segment_fixed_size: 28
    .sgpr_count:     46
    .sgpr_spill_count: 0
    .symbol:         _ZN4vllm25paged_attention_v2_kernelIthLi128ELi16ELi128ELNS_18Fp8KVCacheDataTypeE1ELb0ELi512EEEvPfS2_PT_PKS3_PKT0_S9_ifPKiSB_iPKfiiiSD_SD_iiiii.kd
    .uniform_work_group_size: 1
    .uses_dynamic_stack: false
    .vgpr_count:     184
    .vgpr_spill_count: 0
    .wavefront_size: 32
    .workgroup_processor_mode: 1
  - .args:
      - .actual_access:  write_only
        .address_space:  global
        .offset:         0
        .size:           8
        .value_kind:     global_buffer
      - .actual_access:  write_only
        .address_space:  global
        .offset:         8
        .size:           8
        .value_kind:     global_buffer
      - .actual_access:  write_only
        .address_space:  global
        .offset:         16
        .size:           8
        .value_kind:     global_buffer
      - .actual_access:  read_only
        .address_space:  global
        .offset:         24
        .size:           8
        .value_kind:     global_buffer
      - .actual_access:  read_only
        .address_space:  global
        .offset:         32
        .size:           8
        .value_kind:     global_buffer
      - .actual_access:  read_only
        .address_space:  global
        .offset:         40
        .size:           8
        .value_kind:     global_buffer
      - .offset:         48
        .size:           4
        .value_kind:     by_value
      - .offset:         52
        .size:           4
        .value_kind:     by_value
      - .actual_access:  read_only
        .address_space:  global
        .offset:         56
        .size:           8
        .value_kind:     global_buffer
      - .actual_access:  read_only
        .address_space:  global
        .offset:         64
        .size:           8
        .value_kind:     global_buffer
      - .offset:         72
        .size:           4
        .value_kind:     by_value
      - .address_space:  global
        .offset:         80
        .size:           8
        .value_kind:     global_buffer
      - .offset:         88
        .size:           4
        .value_kind:     by_value
      - .offset:         92
        .size:           4
        .value_kind:     by_value
      - .offset:         96
        .size:           4
        .value_kind:     by_value
      - .address_space:  global
        .offset:         104
        .size:           8
        .value_kind:     global_buffer
      - .address_space:  global
        .offset:         112
        .size:           8
        .value_kind:     global_buffer
      - .offset:         120
        .size:           4
        .value_kind:     by_value
      - .offset:         124
        .size:           4
        .value_kind:     by_value
      - .offset:         128
        .size:           4
        .value_kind:     by_value
      - .offset:         132
        .size:           4
        .value_kind:     by_value
      - .offset:         136
        .size:           4
        .value_kind:     by_value
      - .offset:         144
        .size:           4
        .value_kind:     hidden_block_count_x
      - .offset:         148
        .size:           4
        .value_kind:     hidden_block_count_y
      - .offset:         152
        .size:           4
        .value_kind:     hidden_block_count_z
      - .offset:         156
        .size:           2
        .value_kind:     hidden_group_size_x
      - .offset:         158
        .size:           2
        .value_kind:     hidden_group_size_y
      - .offset:         160
        .size:           2
        .value_kind:     hidden_group_size_z
      - .offset:         162
        .size:           2
        .value_kind:     hidden_remainder_x
      - .offset:         164
        .size:           2
        .value_kind:     hidden_remainder_y
      - .offset:         166
        .size:           2
        .value_kind:     hidden_remainder_z
      - .offset:         184
        .size:           8
        .value_kind:     hidden_global_offset_x
      - .offset:         192
        .size:           8
        .value_kind:     hidden_global_offset_y
      - .offset:         200
        .size:           8
        .value_kind:     hidden_global_offset_z
      - .offset:         208
        .size:           2
        .value_kind:     hidden_grid_dims
      - .offset:         264
        .size:           4
        .value_kind:     hidden_dynamic_lds_size
    .group_segment_fixed_size: 416
    .kernarg_segment_align: 8
    .kernarg_segment_size: 400
    .language:       OpenCL C
    .language_version:
      - 2
      - 0
    .max_flat_workgroup_size: 1024
    .name:           _ZN4vllm25paged_attention_v2_kernelIthLi192ELi16ELi128ELNS_18Fp8KVCacheDataTypeE1ELb0ELi512EEEvPfS2_PT_PKS3_PKT0_S9_ifPKiSB_iPKfiiiSD_SD_iiiii
    .private_segment_fixed_size: 160
    .sgpr_count:     46
    .sgpr_spill_count: 0
    .symbol:         _ZN4vllm25paged_attention_v2_kernelIthLi192ELi16ELi128ELNS_18Fp8KVCacheDataTypeE1ELb0ELi512EEEvPfS2_PT_PKS3_PKT0_S9_ifPKiSB_iPKfiiiSD_SD_iiiii.kd
    .uniform_work_group_size: 1
    .uses_dynamic_stack: false
    .vgpr_count:     184
    .vgpr_spill_count: 0
    .wavefront_size: 32
    .workgroup_processor_mode: 1
  - .args:
      - .actual_access:  write_only
        .address_space:  global
        .offset:         0
        .size:           8
        .value_kind:     global_buffer
      - .actual_access:  write_only
        .address_space:  global
        .offset:         8
        .size:           8
        .value_kind:     global_buffer
      - .actual_access:  write_only
        .address_space:  global
        .offset:         16
        .size:           8
        .value_kind:     global_buffer
      - .actual_access:  read_only
        .address_space:  global
        .offset:         24
        .size:           8
        .value_kind:     global_buffer
      - .actual_access:  read_only
        .address_space:  global
        .offset:         32
        .size:           8
        .value_kind:     global_buffer
      - .actual_access:  read_only
        .address_space:  global
        .offset:         40
        .size:           8
        .value_kind:     global_buffer
      - .offset:         48
        .size:           4
        .value_kind:     by_value
      - .offset:         52
        .size:           4
        .value_kind:     by_value
      - .actual_access:  read_only
        .address_space:  global
        .offset:         56
        .size:           8
        .value_kind:     global_buffer
      - .actual_access:  read_only
        .address_space:  global
        .offset:         64
        .size:           8
        .value_kind:     global_buffer
      - .offset:         72
        .size:           4
        .value_kind:     by_value
      - .address_space:  global
        .offset:         80
        .size:           8
        .value_kind:     global_buffer
      - .offset:         88
        .size:           4
        .value_kind:     by_value
      - .offset:         92
        .size:           4
        .value_kind:     by_value
      - .offset:         96
        .size:           4
        .value_kind:     by_value
      - .address_space:  global
        .offset:         104
        .size:           8
        .value_kind:     global_buffer
      - .address_space:  global
        .offset:         112
        .size:           8
        .value_kind:     global_buffer
      - .offset:         120
        .size:           4
        .value_kind:     by_value
      - .offset:         124
        .size:           4
        .value_kind:     by_value
      - .offset:         128
        .size:           4
        .value_kind:     by_value
      - .offset:         132
        .size:           4
        .value_kind:     by_value
      - .offset:         136
        .size:           4
        .value_kind:     by_value
      - .offset:         144
        .size:           4
        .value_kind:     hidden_block_count_x
      - .offset:         148
        .size:           4
        .value_kind:     hidden_block_count_y
      - .offset:         152
        .size:           4
        .value_kind:     hidden_block_count_z
      - .offset:         156
        .size:           2
        .value_kind:     hidden_group_size_x
      - .offset:         158
        .size:           2
        .value_kind:     hidden_group_size_y
      - .offset:         160
        .size:           2
        .value_kind:     hidden_group_size_z
      - .offset:         162
        .size:           2
        .value_kind:     hidden_remainder_x
      - .offset:         164
        .size:           2
        .value_kind:     hidden_remainder_y
      - .offset:         166
        .size:           2
        .value_kind:     hidden_remainder_z
      - .offset:         184
        .size:           8
        .value_kind:     hidden_global_offset_x
      - .offset:         192
        .size:           8
        .value_kind:     hidden_global_offset_y
      - .offset:         200
        .size:           8
        .value_kind:     hidden_global_offset_z
      - .offset:         208
        .size:           2
        .value_kind:     hidden_grid_dims
      - .offset:         264
        .size:           4
        .value_kind:     hidden_dynamic_lds_size
    .group_segment_fixed_size: 544
    .kernarg_segment_align: 8
    .kernarg_segment_size: 400
    .language:       OpenCL C
    .language_version:
      - 2
      - 0
    .max_flat_workgroup_size: 1024
    .name:           _ZN4vllm25paged_attention_v2_kernelIthLi256ELi16ELi128ELNS_18Fp8KVCacheDataTypeE1ELb0ELi512EEEvPfS2_PT_PKS3_PKT0_S9_ifPKiSB_iPKfiiiSD_SD_iiiii
    .private_segment_fixed_size: 284
    .sgpr_count:     46
    .sgpr_spill_count: 0
    .symbol:         _ZN4vllm25paged_attention_v2_kernelIthLi256ELi16ELi128ELNS_18Fp8KVCacheDataTypeE1ELb0ELi512EEEvPfS2_PT_PKS3_PKT0_S9_ifPKiSB_iPKfiiiSD_SD_iiiii.kd
    .uniform_work_group_size: 1
    .uses_dynamic_stack: false
    .vgpr_count:     184
    .vgpr_spill_count: 0
    .wavefront_size: 32
    .workgroup_processor_mode: 1
  - .args:
      - .actual_access:  write_only
        .address_space:  global
        .offset:         0
        .size:           8
        .value_kind:     global_buffer
      - .actual_access:  write_only
        .address_space:  global
        .offset:         8
        .size:           8
        .value_kind:     global_buffer
      - .actual_access:  write_only
        .address_space:  global
        .offset:         16
        .size:           8
        .value_kind:     global_buffer
      - .actual_access:  read_only
        .address_space:  global
        .offset:         24
        .size:           8
        .value_kind:     global_buffer
      - .actual_access:  read_only
        .address_space:  global
        .offset:         32
        .size:           8
        .value_kind:     global_buffer
      - .actual_access:  read_only
        .address_space:  global
        .offset:         40
        .size:           8
        .value_kind:     global_buffer
      - .offset:         48
        .size:           4
        .value_kind:     by_value
      - .offset:         52
        .size:           4
        .value_kind:     by_value
      - .actual_access:  read_only
        .address_space:  global
        .offset:         56
        .size:           8
        .value_kind:     global_buffer
      - .actual_access:  read_only
        .address_space:  global
        .offset:         64
        .size:           8
        .value_kind:     global_buffer
      - .offset:         72
        .size:           4
        .value_kind:     by_value
      - .actual_access:  read_only
        .address_space:  global
        .offset:         80
        .size:           8
        .value_kind:     global_buffer
      - .offset:         88
        .size:           4
        .value_kind:     by_value
      - .offset:         92
        .size:           4
        .value_kind:     by_value
      - .offset:         96
        .size:           4
        .value_kind:     by_value
      - .address_space:  global
        .offset:         104
        .size:           8
        .value_kind:     global_buffer
      - .address_space:  global
        .offset:         112
        .size:           8
        .value_kind:     global_buffer
      - .offset:         120
        .size:           4
        .value_kind:     by_value
      - .offset:         124
        .size:           4
        .value_kind:     by_value
      - .offset:         128
        .size:           4
        .value_kind:     by_value
      - .offset:         132
        .size:           4
        .value_kind:     by_value
      - .offset:         136
        .size:           4
        .value_kind:     by_value
      - .offset:         144
        .size:           4
        .value_kind:     hidden_block_count_x
      - .offset:         148
        .size:           4
        .value_kind:     hidden_block_count_y
      - .offset:         152
        .size:           4
        .value_kind:     hidden_block_count_z
      - .offset:         156
        .size:           2
        .value_kind:     hidden_group_size_x
      - .offset:         158
        .size:           2
        .value_kind:     hidden_group_size_y
      - .offset:         160
        .size:           2
        .value_kind:     hidden_group_size_z
      - .offset:         162
        .size:           2
        .value_kind:     hidden_remainder_x
      - .offset:         164
        .size:           2
        .value_kind:     hidden_remainder_y
      - .offset:         166
        .size:           2
        .value_kind:     hidden_remainder_z
      - .offset:         184
        .size:           8
        .value_kind:     hidden_global_offset_x
      - .offset:         192
        .size:           8
        .value_kind:     hidden_global_offset_y
      - .offset:         200
        .size:           8
        .value_kind:     hidden_global_offset_z
      - .offset:         208
        .size:           2
        .value_kind:     hidden_grid_dims
      - .offset:         264
        .size:           4
        .value_kind:     hidden_dynamic_lds_size
    .group_segment_fixed_size: 96
    .kernarg_segment_align: 8
    .kernarg_segment_size: 400
    .language:       OpenCL C
    .language_version:
      - 2
      - 0
    .max_flat_workgroup_size: 1024
    .name:           _ZN4vllm25paged_attention_v2_kernelIthLi32ELi32ELi128ELNS_18Fp8KVCacheDataTypeE1ELb1ELi512EEEvPfS2_PT_PKS3_PKT0_S9_ifPKiSB_iPKfiiiSD_SD_iiiii
    .private_segment_fixed_size: 0
    .sgpr_count:     55
    .sgpr_spill_count: 0
    .symbol:         _ZN4vllm25paged_attention_v2_kernelIthLi32ELi32ELi128ELNS_18Fp8KVCacheDataTypeE1ELb1ELi512EEEvPfS2_PT_PKS3_PKT0_S9_ifPKiSB_iPKfiiiSD_SD_iiiii.kd
    .uniform_work_group_size: 1
    .uses_dynamic_stack: false
    .vgpr_count:     75
    .vgpr_spill_count: 0
    .wavefront_size: 32
    .workgroup_processor_mode: 1
  - .args:
      - .actual_access:  write_only
        .address_space:  global
        .offset:         0
        .size:           8
        .value_kind:     global_buffer
      - .actual_access:  write_only
        .address_space:  global
        .offset:         8
        .size:           8
        .value_kind:     global_buffer
      - .actual_access:  write_only
        .address_space:  global
        .offset:         16
        .size:           8
        .value_kind:     global_buffer
      - .actual_access:  read_only
        .address_space:  global
        .offset:         24
        .size:           8
        .value_kind:     global_buffer
      - .actual_access:  read_only
        .address_space:  global
        .offset:         32
        .size:           8
        .value_kind:     global_buffer
      - .actual_access:  read_only
        .address_space:  global
        .offset:         40
        .size:           8
        .value_kind:     global_buffer
      - .offset:         48
        .size:           4
        .value_kind:     by_value
      - .offset:         52
        .size:           4
        .value_kind:     by_value
      - .actual_access:  read_only
        .address_space:  global
        .offset:         56
        .size:           8
        .value_kind:     global_buffer
      - .actual_access:  read_only
        .address_space:  global
        .offset:         64
        .size:           8
        .value_kind:     global_buffer
      - .offset:         72
        .size:           4
        .value_kind:     by_value
      - .address_space:  global
        .offset:         80
        .size:           8
        .value_kind:     global_buffer
      - .offset:         88
        .size:           4
        .value_kind:     by_value
      - .offset:         92
        .size:           4
        .value_kind:     by_value
      - .offset:         96
        .size:           4
        .value_kind:     by_value
      - .address_space:  global
        .offset:         104
        .size:           8
        .value_kind:     global_buffer
      - .address_space:  global
        .offset:         112
        .size:           8
        .value_kind:     global_buffer
      - .offset:         120
        .size:           4
        .value_kind:     by_value
      - .offset:         124
        .size:           4
        .value_kind:     by_value
      - .offset:         128
        .size:           4
        .value_kind:     by_value
      - .offset:         132
        .size:           4
        .value_kind:     by_value
      - .offset:         136
        .size:           4
        .value_kind:     by_value
      - .offset:         144
        .size:           4
        .value_kind:     hidden_block_count_x
      - .offset:         148
        .size:           4
        .value_kind:     hidden_block_count_y
      - .offset:         152
        .size:           4
        .value_kind:     hidden_block_count_z
      - .offset:         156
        .size:           2
        .value_kind:     hidden_group_size_x
      - .offset:         158
        .size:           2
        .value_kind:     hidden_group_size_y
      - .offset:         160
        .size:           2
        .value_kind:     hidden_group_size_z
      - .offset:         162
        .size:           2
        .value_kind:     hidden_remainder_x
      - .offset:         164
        .size:           2
        .value_kind:     hidden_remainder_y
      - .offset:         166
        .size:           2
        .value_kind:     hidden_remainder_z
      - .offset:         184
        .size:           8
        .value_kind:     hidden_global_offset_x
      - .offset:         192
        .size:           8
        .value_kind:     hidden_global_offset_y
      - .offset:         200
        .size:           8
        .value_kind:     hidden_global_offset_z
      - .offset:         208
        .size:           2
        .value_kind:     hidden_grid_dims
      - .offset:         264
        .size:           4
        .value_kind:     hidden_dynamic_lds_size
    .group_segment_fixed_size: 160
    .kernarg_segment_align: 8
    .kernarg_segment_size: 400
    .language:       OpenCL C
    .language_version:
      - 2
      - 0
    .max_flat_workgroup_size: 1024
    .name:           _ZN4vllm25paged_attention_v2_kernelIthLi64ELi32ELi128ELNS_18Fp8KVCacheDataTypeE1ELb1ELi512EEEvPfS2_PT_PKS3_PKT0_S9_ifPKiSB_iPKfiiiSD_SD_iiiii
    .private_segment_fixed_size: 92
    .sgpr_count:     46
    .sgpr_spill_count: 0
    .symbol:         _ZN4vllm25paged_attention_v2_kernelIthLi64ELi32ELi128ELNS_18Fp8KVCacheDataTypeE1ELb1ELi512EEEvPfS2_PT_PKS3_PKT0_S9_ifPKiSB_iPKfiiiSD_SD_iiiii.kd
    .uniform_work_group_size: 1
    .uses_dynamic_stack: false
    .vgpr_count:     184
    .vgpr_spill_count: 0
    .wavefront_size: 32
    .workgroup_processor_mode: 1
  - .args:
      - .actual_access:  write_only
        .address_space:  global
        .offset:         0
        .size:           8
        .value_kind:     global_buffer
      - .actual_access:  write_only
        .address_space:  global
        .offset:         8
        .size:           8
        .value_kind:     global_buffer
      - .actual_access:  write_only
        .address_space:  global
        .offset:         16
        .size:           8
        .value_kind:     global_buffer
      - .actual_access:  read_only
        .address_space:  global
        .offset:         24
        .size:           8
        .value_kind:     global_buffer
      - .actual_access:  read_only
        .address_space:  global
        .offset:         32
        .size:           8
        .value_kind:     global_buffer
      - .actual_access:  read_only
        .address_space:  global
        .offset:         40
        .size:           8
        .value_kind:     global_buffer
      - .offset:         48
        .size:           4
        .value_kind:     by_value
      - .offset:         52
        .size:           4
        .value_kind:     by_value
      - .actual_access:  read_only
        .address_space:  global
        .offset:         56
        .size:           8
        .value_kind:     global_buffer
      - .actual_access:  read_only
        .address_space:  global
        .offset:         64
        .size:           8
        .value_kind:     global_buffer
      - .offset:         72
        .size:           4
        .value_kind:     by_value
      - .address_space:  global
        .offset:         80
        .size:           8
        .value_kind:     global_buffer
      - .offset:         88
        .size:           4
        .value_kind:     by_value
      - .offset:         92
        .size:           4
        .value_kind:     by_value
      - .offset:         96
        .size:           4
        .value_kind:     by_value
      - .address_space:  global
        .offset:         104
        .size:           8
        .value_kind:     global_buffer
      - .address_space:  global
        .offset:         112
        .size:           8
        .value_kind:     global_buffer
      - .offset:         120
        .size:           4
        .value_kind:     by_value
      - .offset:         124
        .size:           4
        .value_kind:     by_value
      - .offset:         128
        .size:           4
        .value_kind:     by_value
      - .offset:         132
        .size:           4
        .value_kind:     by_value
      - .offset:         136
        .size:           4
        .value_kind:     by_value
      - .offset:         144
        .size:           4
        .value_kind:     hidden_block_count_x
      - .offset:         148
        .size:           4
        .value_kind:     hidden_block_count_y
      - .offset:         152
        .size:           4
        .value_kind:     hidden_block_count_z
      - .offset:         156
        .size:           2
        .value_kind:     hidden_group_size_x
      - .offset:         158
        .size:           2
        .value_kind:     hidden_group_size_y
      - .offset:         160
        .size:           2
        .value_kind:     hidden_group_size_z
      - .offset:         162
        .size:           2
        .value_kind:     hidden_remainder_x
      - .offset:         164
        .size:           2
        .value_kind:     hidden_remainder_y
      - .offset:         166
        .size:           2
        .value_kind:     hidden_remainder_z
      - .offset:         184
        .size:           8
        .value_kind:     hidden_global_offset_x
      - .offset:         192
        .size:           8
        .value_kind:     hidden_global_offset_y
      - .offset:         200
        .size:           8
        .value_kind:     hidden_global_offset_z
      - .offset:         208
        .size:           2
        .value_kind:     hidden_grid_dims
      - .offset:         264
        .size:           4
        .value_kind:     hidden_dynamic_lds_size
    .group_segment_fixed_size: 192
    .kernarg_segment_align: 8
    .kernarg_segment_size: 400
    .language:       OpenCL C
    .language_version:
      - 2
      - 0
    .max_flat_workgroup_size: 1024
    .name:           _ZN4vllm25paged_attention_v2_kernelIthLi80ELi32ELi128ELNS_18Fp8KVCacheDataTypeE1ELb1ELi512EEEvPfS2_PT_PKS3_PKT0_S9_ifPKiSB_iPKfiiiSD_SD_iiiii
    .private_segment_fixed_size: 152
    .sgpr_count:     46
    .sgpr_spill_count: 0
    .symbol:         _ZN4vllm25paged_attention_v2_kernelIthLi80ELi32ELi128ELNS_18Fp8KVCacheDataTypeE1ELb1ELi512EEEvPfS2_PT_PKS3_PKT0_S9_ifPKiSB_iPKfiiiSD_SD_iiiii.kd
    .uniform_work_group_size: 1
    .uses_dynamic_stack: false
    .vgpr_count:     184
    .vgpr_spill_count: 0
    .wavefront_size: 32
    .workgroup_processor_mode: 1
  - .args:
      - .actual_access:  write_only
        .address_space:  global
        .offset:         0
        .size:           8
        .value_kind:     global_buffer
      - .actual_access:  write_only
        .address_space:  global
        .offset:         8
        .size:           8
        .value_kind:     global_buffer
      - .actual_access:  write_only
        .address_space:  global
        .offset:         16
        .size:           8
        .value_kind:     global_buffer
      - .actual_access:  read_only
        .address_space:  global
        .offset:         24
        .size:           8
        .value_kind:     global_buffer
      - .actual_access:  read_only
        .address_space:  global
        .offset:         32
        .size:           8
        .value_kind:     global_buffer
      - .actual_access:  read_only
        .address_space:  global
        .offset:         40
        .size:           8
        .value_kind:     global_buffer
      - .offset:         48
        .size:           4
        .value_kind:     by_value
      - .offset:         52
        .size:           4
        .value_kind:     by_value
      - .actual_access:  read_only
        .address_space:  global
        .offset:         56
        .size:           8
        .value_kind:     global_buffer
      - .actual_access:  read_only
        .address_space:  global
        .offset:         64
        .size:           8
        .value_kind:     global_buffer
      - .offset:         72
        .size:           4
        .value_kind:     by_value
      - .address_space:  global
        .offset:         80
        .size:           8
        .value_kind:     global_buffer
      - .offset:         88
        .size:           4
        .value_kind:     by_value
      - .offset:         92
        .size:           4
        .value_kind:     by_value
      - .offset:         96
        .size:           4
        .value_kind:     by_value
      - .address_space:  global
        .offset:         104
        .size:           8
        .value_kind:     global_buffer
      - .address_space:  global
        .offset:         112
        .size:           8
        .value_kind:     global_buffer
      - .offset:         120
        .size:           4
        .value_kind:     by_value
      - .offset:         124
        .size:           4
        .value_kind:     by_value
      - .offset:         128
        .size:           4
        .value_kind:     by_value
      - .offset:         132
        .size:           4
        .value_kind:     by_value
      - .offset:         136
        .size:           4
        .value_kind:     by_value
      - .offset:         144
        .size:           4
        .value_kind:     hidden_block_count_x
      - .offset:         148
        .size:           4
        .value_kind:     hidden_block_count_y
      - .offset:         152
        .size:           4
        .value_kind:     hidden_block_count_z
      - .offset:         156
        .size:           2
        .value_kind:     hidden_group_size_x
      - .offset:         158
        .size:           2
        .value_kind:     hidden_group_size_y
      - .offset:         160
        .size:           2
        .value_kind:     hidden_group_size_z
      - .offset:         162
        .size:           2
        .value_kind:     hidden_remainder_x
      - .offset:         164
        .size:           2
        .value_kind:     hidden_remainder_y
      - .offset:         166
        .size:           2
        .value_kind:     hidden_remainder_z
      - .offset:         184
        .size:           8
        .value_kind:     hidden_global_offset_x
      - .offset:         192
        .size:           8
        .value_kind:     hidden_global_offset_y
      - .offset:         200
        .size:           8
        .value_kind:     hidden_global_offset_z
      - .offset:         208
        .size:           2
        .value_kind:     hidden_grid_dims
      - .offset:         264
        .size:           4
        .value_kind:     hidden_dynamic_lds_size
    .group_segment_fixed_size: 224
    .kernarg_segment_align: 8
    .kernarg_segment_size: 400
    .language:       OpenCL C
    .language_version:
      - 2
      - 0
    .max_flat_workgroup_size: 1024
    .name:           _ZN4vllm25paged_attention_v2_kernelIthLi96ELi32ELi128ELNS_18Fp8KVCacheDataTypeE1ELb1ELi512EEEvPfS2_PT_PKS3_PKT0_S9_ifPKiSB_iPKfiiiSD_SD_iiiii
    .private_segment_fixed_size: 224
    .sgpr_count:     46
    .sgpr_spill_count: 0
    .symbol:         _ZN4vllm25paged_attention_v2_kernelIthLi96ELi32ELi128ELNS_18Fp8KVCacheDataTypeE1ELb1ELi512EEEvPfS2_PT_PKS3_PKT0_S9_ifPKiSB_iPKfiiiSD_SD_iiiii.kd
    .uniform_work_group_size: 1
    .uses_dynamic_stack: false
    .vgpr_count:     184
    .vgpr_spill_count: 0
    .wavefront_size: 32
    .workgroup_processor_mode: 1
  - .args:
      - .actual_access:  write_only
        .address_space:  global
        .offset:         0
        .size:           8
        .value_kind:     global_buffer
      - .actual_access:  write_only
        .address_space:  global
        .offset:         8
        .size:           8
        .value_kind:     global_buffer
      - .actual_access:  write_only
        .address_space:  global
        .offset:         16
        .size:           8
        .value_kind:     global_buffer
      - .actual_access:  read_only
        .address_space:  global
        .offset:         24
        .size:           8
        .value_kind:     global_buffer
      - .actual_access:  read_only
        .address_space:  global
        .offset:         32
        .size:           8
        .value_kind:     global_buffer
      - .actual_access:  read_only
        .address_space:  global
        .offset:         40
        .size:           8
        .value_kind:     global_buffer
      - .offset:         48
        .size:           4
        .value_kind:     by_value
      - .offset:         52
        .size:           4
        .value_kind:     by_value
      - .actual_access:  read_only
        .address_space:  global
        .offset:         56
        .size:           8
        .value_kind:     global_buffer
      - .actual_access:  read_only
        .address_space:  global
        .offset:         64
        .size:           8
        .value_kind:     global_buffer
      - .offset:         72
        .size:           4
        .value_kind:     by_value
      - .address_space:  global
        .offset:         80
        .size:           8
        .value_kind:     global_buffer
      - .offset:         88
        .size:           4
        .value_kind:     by_value
      - .offset:         92
        .size:           4
        .value_kind:     by_value
      - .offset:         96
        .size:           4
        .value_kind:     by_value
      - .address_space:  global
        .offset:         104
        .size:           8
        .value_kind:     global_buffer
      - .address_space:  global
        .offset:         112
        .size:           8
        .value_kind:     global_buffer
      - .offset:         120
        .size:           4
        .value_kind:     by_value
      - .offset:         124
        .size:           4
        .value_kind:     by_value
      - .offset:         128
        .size:           4
        .value_kind:     by_value
      - .offset:         132
        .size:           4
        .value_kind:     by_value
      - .offset:         136
        .size:           4
        .value_kind:     by_value
      - .offset:         144
        .size:           4
        .value_kind:     hidden_block_count_x
      - .offset:         148
        .size:           4
        .value_kind:     hidden_block_count_y
      - .offset:         152
        .size:           4
        .value_kind:     hidden_block_count_z
      - .offset:         156
        .size:           2
        .value_kind:     hidden_group_size_x
      - .offset:         158
        .size:           2
        .value_kind:     hidden_group_size_y
      - .offset:         160
        .size:           2
        .value_kind:     hidden_group_size_z
      - .offset:         162
        .size:           2
        .value_kind:     hidden_remainder_x
      - .offset:         164
        .size:           2
        .value_kind:     hidden_remainder_y
      - .offset:         166
        .size:           2
        .value_kind:     hidden_remainder_z
      - .offset:         184
        .size:           8
        .value_kind:     hidden_global_offset_x
      - .offset:         192
        .size:           8
        .value_kind:     hidden_global_offset_y
      - .offset:         200
        .size:           8
        .value_kind:     hidden_global_offset_z
      - .offset:         208
        .size:           2
        .value_kind:     hidden_grid_dims
      - .offset:         264
        .size:           4
        .value_kind:     hidden_dynamic_lds_size
    .group_segment_fixed_size: 256
    .kernarg_segment_align: 8
    .kernarg_segment_size: 400
    .language:       OpenCL C
    .language_version:
      - 2
      - 0
    .max_flat_workgroup_size: 1024
    .name:           _ZN4vllm25paged_attention_v2_kernelIthLi112ELi32ELi128ELNS_18Fp8KVCacheDataTypeE1ELb1ELi512EEEvPfS2_PT_PKS3_PKT0_S9_ifPKiSB_iPKfiiiSD_SD_iiiii
    .private_segment_fixed_size: 284
    .sgpr_count:     46
    .sgpr_spill_count: 0
    .symbol:         _ZN4vllm25paged_attention_v2_kernelIthLi112ELi32ELi128ELNS_18Fp8KVCacheDataTypeE1ELb1ELi512EEEvPfS2_PT_PKS3_PKT0_S9_ifPKiSB_iPKfiiiSD_SD_iiiii.kd
    .uniform_work_group_size: 1
    .uses_dynamic_stack: false
    .vgpr_count:     184
    .vgpr_spill_count: 0
    .wavefront_size: 32
    .workgroup_processor_mode: 1
  - .args:
      - .actual_access:  write_only
        .address_space:  global
        .offset:         0
        .size:           8
        .value_kind:     global_buffer
      - .actual_access:  write_only
        .address_space:  global
        .offset:         8
        .size:           8
        .value_kind:     global_buffer
      - .actual_access:  write_only
        .address_space:  global
        .offset:         16
        .size:           8
        .value_kind:     global_buffer
      - .actual_access:  read_only
        .address_space:  global
        .offset:         24
        .size:           8
        .value_kind:     global_buffer
      - .actual_access:  read_only
        .address_space:  global
        .offset:         32
        .size:           8
        .value_kind:     global_buffer
      - .actual_access:  read_only
        .address_space:  global
        .offset:         40
        .size:           8
        .value_kind:     global_buffer
      - .offset:         48
        .size:           4
        .value_kind:     by_value
      - .offset:         52
        .size:           4
        .value_kind:     by_value
      - .actual_access:  read_only
        .address_space:  global
        .offset:         56
        .size:           8
        .value_kind:     global_buffer
      - .actual_access:  read_only
        .address_space:  global
        .offset:         64
        .size:           8
        .value_kind:     global_buffer
      - .offset:         72
        .size:           4
        .value_kind:     by_value
      - .address_space:  global
        .offset:         80
        .size:           8
        .value_kind:     global_buffer
      - .offset:         88
        .size:           4
        .value_kind:     by_value
      - .offset:         92
        .size:           4
        .value_kind:     by_value
      - .offset:         96
        .size:           4
        .value_kind:     by_value
      - .address_space:  global
        .offset:         104
        .size:           8
        .value_kind:     global_buffer
      - .address_space:  global
        .offset:         112
        .size:           8
        .value_kind:     global_buffer
      - .offset:         120
        .size:           4
        .value_kind:     by_value
      - .offset:         124
        .size:           4
        .value_kind:     by_value
      - .offset:         128
        .size:           4
        .value_kind:     by_value
      - .offset:         132
        .size:           4
        .value_kind:     by_value
      - .offset:         136
        .size:           4
        .value_kind:     by_value
      - .offset:         144
        .size:           4
        .value_kind:     hidden_block_count_x
      - .offset:         148
        .size:           4
        .value_kind:     hidden_block_count_y
      - .offset:         152
        .size:           4
        .value_kind:     hidden_block_count_z
      - .offset:         156
        .size:           2
        .value_kind:     hidden_group_size_x
      - .offset:         158
        .size:           2
        .value_kind:     hidden_group_size_y
      - .offset:         160
        .size:           2
        .value_kind:     hidden_group_size_z
      - .offset:         162
        .size:           2
        .value_kind:     hidden_remainder_x
      - .offset:         164
        .size:           2
        .value_kind:     hidden_remainder_y
      - .offset:         166
        .size:           2
        .value_kind:     hidden_remainder_z
      - .offset:         184
        .size:           8
        .value_kind:     hidden_global_offset_x
      - .offset:         192
        .size:           8
        .value_kind:     hidden_global_offset_y
      - .offset:         200
        .size:           8
        .value_kind:     hidden_global_offset_z
      - .offset:         208
        .size:           2
        .value_kind:     hidden_grid_dims
      - .offset:         264
        .size:           4
        .value_kind:     hidden_dynamic_lds_size
    .group_segment_fixed_size: 272
    .kernarg_segment_align: 8
    .kernarg_segment_size: 400
    .language:       OpenCL C
    .language_version:
      - 2
      - 0
    .max_flat_workgroup_size: 1024
    .name:           _ZN4vllm25paged_attention_v2_kernelIthLi120ELi32ELi128ELNS_18Fp8KVCacheDataTypeE1ELb1ELi512EEEvPfS2_PT_PKS3_PKT0_S9_ifPKiSB_iPKfiiiSD_SD_iiiii
    .private_segment_fixed_size: 316
    .sgpr_count:     46
    .sgpr_spill_count: 0
    .symbol:         _ZN4vllm25paged_attention_v2_kernelIthLi120ELi32ELi128ELNS_18Fp8KVCacheDataTypeE1ELb1ELi512EEEvPfS2_PT_PKS3_PKT0_S9_ifPKiSB_iPKfiiiSD_SD_iiiii.kd
    .uniform_work_group_size: 1
    .uses_dynamic_stack: false
    .vgpr_count:     188
    .vgpr_spill_count: 0
    .wavefront_size: 32
    .workgroup_processor_mode: 1
  - .args:
      - .actual_access:  write_only
        .address_space:  global
        .offset:         0
        .size:           8
        .value_kind:     global_buffer
      - .actual_access:  write_only
        .address_space:  global
        .offset:         8
        .size:           8
        .value_kind:     global_buffer
      - .actual_access:  write_only
        .address_space:  global
        .offset:         16
        .size:           8
        .value_kind:     global_buffer
      - .actual_access:  read_only
        .address_space:  global
        .offset:         24
        .size:           8
        .value_kind:     global_buffer
      - .actual_access:  read_only
        .address_space:  global
        .offset:         32
        .size:           8
        .value_kind:     global_buffer
      - .actual_access:  read_only
        .address_space:  global
        .offset:         40
        .size:           8
        .value_kind:     global_buffer
      - .offset:         48
        .size:           4
        .value_kind:     by_value
      - .offset:         52
        .size:           4
        .value_kind:     by_value
      - .actual_access:  read_only
        .address_space:  global
        .offset:         56
        .size:           8
        .value_kind:     global_buffer
      - .actual_access:  read_only
        .address_space:  global
        .offset:         64
        .size:           8
        .value_kind:     global_buffer
      - .offset:         72
        .size:           4
        .value_kind:     by_value
      - .address_space:  global
        .offset:         80
        .size:           8
        .value_kind:     global_buffer
      - .offset:         88
        .size:           4
        .value_kind:     by_value
      - .offset:         92
        .size:           4
        .value_kind:     by_value
      - .offset:         96
        .size:           4
        .value_kind:     by_value
      - .address_space:  global
        .offset:         104
        .size:           8
        .value_kind:     global_buffer
      - .address_space:  global
        .offset:         112
        .size:           8
        .value_kind:     global_buffer
      - .offset:         120
        .size:           4
        .value_kind:     by_value
      - .offset:         124
        .size:           4
        .value_kind:     by_value
      - .offset:         128
        .size:           4
        .value_kind:     by_value
      - .offset:         132
        .size:           4
        .value_kind:     by_value
      - .offset:         136
        .size:           4
        .value_kind:     by_value
      - .offset:         144
        .size:           4
        .value_kind:     hidden_block_count_x
      - .offset:         148
        .size:           4
        .value_kind:     hidden_block_count_y
      - .offset:         152
        .size:           4
        .value_kind:     hidden_block_count_z
      - .offset:         156
        .size:           2
        .value_kind:     hidden_group_size_x
      - .offset:         158
        .size:           2
        .value_kind:     hidden_group_size_y
      - .offset:         160
        .size:           2
        .value_kind:     hidden_group_size_z
      - .offset:         162
        .size:           2
        .value_kind:     hidden_remainder_x
      - .offset:         164
        .size:           2
        .value_kind:     hidden_remainder_y
      - .offset:         166
        .size:           2
        .value_kind:     hidden_remainder_z
      - .offset:         184
        .size:           8
        .value_kind:     hidden_global_offset_x
      - .offset:         192
        .size:           8
        .value_kind:     hidden_global_offset_y
      - .offset:         200
        .size:           8
        .value_kind:     hidden_global_offset_z
      - .offset:         208
        .size:           2
        .value_kind:     hidden_grid_dims
      - .offset:         264
        .size:           4
        .value_kind:     hidden_dynamic_lds_size
    .group_segment_fixed_size: 288
    .kernarg_segment_align: 8
    .kernarg_segment_size: 400
    .language:       OpenCL C
    .language_version:
      - 2
      - 0
    .max_flat_workgroup_size: 1024
    .name:           _ZN4vllm25paged_attention_v2_kernelIthLi128ELi32ELi128ELNS_18Fp8KVCacheDataTypeE1ELb1ELi512EEEvPfS2_PT_PKS3_PKT0_S9_ifPKiSB_iPKfiiiSD_SD_iiiii
    .private_segment_fixed_size: 336
    .sgpr_count:     46
    .sgpr_spill_count: 0
    .symbol:         _ZN4vllm25paged_attention_v2_kernelIthLi128ELi32ELi128ELNS_18Fp8KVCacheDataTypeE1ELb1ELi512EEEvPfS2_PT_PKS3_PKT0_S9_ifPKiSB_iPKfiiiSD_SD_iiiii.kd
    .uniform_work_group_size: 1
    .uses_dynamic_stack: false
    .vgpr_count:     192
    .vgpr_spill_count: 0
    .wavefront_size: 32
    .workgroup_processor_mode: 1
  - .args:
      - .actual_access:  write_only
        .address_space:  global
        .offset:         0
        .size:           8
        .value_kind:     global_buffer
      - .actual_access:  write_only
        .address_space:  global
        .offset:         8
        .size:           8
        .value_kind:     global_buffer
      - .actual_access:  write_only
        .address_space:  global
        .offset:         16
        .size:           8
        .value_kind:     global_buffer
      - .actual_access:  read_only
        .address_space:  global
        .offset:         24
        .size:           8
        .value_kind:     global_buffer
      - .actual_access:  read_only
        .address_space:  global
        .offset:         32
        .size:           8
        .value_kind:     global_buffer
      - .actual_access:  read_only
        .address_space:  global
        .offset:         40
        .size:           8
        .value_kind:     global_buffer
      - .offset:         48
        .size:           4
        .value_kind:     by_value
      - .offset:         52
        .size:           4
        .value_kind:     by_value
      - .actual_access:  read_only
        .address_space:  global
        .offset:         56
        .size:           8
        .value_kind:     global_buffer
      - .actual_access:  read_only
        .address_space:  global
        .offset:         64
        .size:           8
        .value_kind:     global_buffer
      - .offset:         72
        .size:           4
        .value_kind:     by_value
      - .address_space:  global
        .offset:         80
        .size:           8
        .value_kind:     global_buffer
      - .offset:         88
        .size:           4
        .value_kind:     by_value
      - .offset:         92
        .size:           4
        .value_kind:     by_value
      - .offset:         96
        .size:           4
        .value_kind:     by_value
      - .address_space:  global
        .offset:         104
        .size:           8
        .value_kind:     global_buffer
      - .address_space:  global
        .offset:         112
        .size:           8
        .value_kind:     global_buffer
      - .offset:         120
        .size:           4
        .value_kind:     by_value
      - .offset:         124
        .size:           4
        .value_kind:     by_value
      - .offset:         128
        .size:           4
        .value_kind:     by_value
      - .offset:         132
        .size:           4
        .value_kind:     by_value
      - .offset:         136
        .size:           4
        .value_kind:     by_value
      - .offset:         144
        .size:           4
        .value_kind:     hidden_block_count_x
      - .offset:         148
        .size:           4
        .value_kind:     hidden_block_count_y
      - .offset:         152
        .size:           4
        .value_kind:     hidden_block_count_z
      - .offset:         156
        .size:           2
        .value_kind:     hidden_group_size_x
      - .offset:         158
        .size:           2
        .value_kind:     hidden_group_size_y
      - .offset:         160
        .size:           2
        .value_kind:     hidden_group_size_z
      - .offset:         162
        .size:           2
        .value_kind:     hidden_remainder_x
      - .offset:         164
        .size:           2
        .value_kind:     hidden_remainder_y
      - .offset:         166
        .size:           2
        .value_kind:     hidden_remainder_z
      - .offset:         184
        .size:           8
        .value_kind:     hidden_global_offset_x
      - .offset:         192
        .size:           8
        .value_kind:     hidden_global_offset_y
      - .offset:         200
        .size:           8
        .value_kind:     hidden_global_offset_z
      - .offset:         208
        .size:           2
        .value_kind:     hidden_grid_dims
      - .offset:         264
        .size:           4
        .value_kind:     hidden_dynamic_lds_size
    .group_segment_fixed_size: 416
    .kernarg_segment_align: 8
    .kernarg_segment_size: 400
    .language:       OpenCL C
    .language_version:
      - 2
      - 0
    .max_flat_workgroup_size: 1024
    .name:           _ZN4vllm25paged_attention_v2_kernelIthLi192ELi32ELi128ELNS_18Fp8KVCacheDataTypeE1ELb1ELi512EEEvPfS2_PT_PKS3_PKT0_S9_ifPKiSB_iPKfiiiSD_SD_iiiii
    .private_segment_fixed_size: 644
    .sgpr_count:     46
    .sgpr_spill_count: 0
    .symbol:         _ZN4vllm25paged_attention_v2_kernelIthLi192ELi32ELi128ELNS_18Fp8KVCacheDataTypeE1ELb1ELi512EEEvPfS2_PT_PKS3_PKT0_S9_ifPKiSB_iPKfiiiSD_SD_iiiii.kd
    .uniform_work_group_size: 1
    .uses_dynamic_stack: false
    .vgpr_count:     192
    .vgpr_spill_count: 0
    .wavefront_size: 32
    .workgroup_processor_mode: 1
  - .args:
      - .actual_access:  write_only
        .address_space:  global
        .offset:         0
        .size:           8
        .value_kind:     global_buffer
      - .actual_access:  write_only
        .address_space:  global
        .offset:         8
        .size:           8
        .value_kind:     global_buffer
      - .actual_access:  write_only
        .address_space:  global
        .offset:         16
        .size:           8
        .value_kind:     global_buffer
      - .actual_access:  read_only
        .address_space:  global
        .offset:         24
        .size:           8
        .value_kind:     global_buffer
      - .actual_access:  read_only
        .address_space:  global
        .offset:         32
        .size:           8
        .value_kind:     global_buffer
      - .actual_access:  read_only
        .address_space:  global
        .offset:         40
        .size:           8
        .value_kind:     global_buffer
      - .offset:         48
        .size:           4
        .value_kind:     by_value
      - .offset:         52
        .size:           4
        .value_kind:     by_value
      - .actual_access:  read_only
        .address_space:  global
        .offset:         56
        .size:           8
        .value_kind:     global_buffer
      - .actual_access:  read_only
        .address_space:  global
        .offset:         64
        .size:           8
        .value_kind:     global_buffer
      - .offset:         72
        .size:           4
        .value_kind:     by_value
      - .address_space:  global
        .offset:         80
        .size:           8
        .value_kind:     global_buffer
      - .offset:         88
        .size:           4
        .value_kind:     by_value
      - .offset:         92
        .size:           4
        .value_kind:     by_value
      - .offset:         96
        .size:           4
        .value_kind:     by_value
      - .address_space:  global
        .offset:         104
        .size:           8
        .value_kind:     global_buffer
      - .address_space:  global
        .offset:         112
        .size:           8
        .value_kind:     global_buffer
      - .offset:         120
        .size:           4
        .value_kind:     by_value
      - .offset:         124
        .size:           4
        .value_kind:     by_value
      - .offset:         128
        .size:           4
        .value_kind:     by_value
      - .offset:         132
        .size:           4
        .value_kind:     by_value
      - .offset:         136
        .size:           4
        .value_kind:     by_value
      - .offset:         144
        .size:           4
        .value_kind:     hidden_block_count_x
      - .offset:         148
        .size:           4
        .value_kind:     hidden_block_count_y
      - .offset:         152
        .size:           4
        .value_kind:     hidden_block_count_z
      - .offset:         156
        .size:           2
        .value_kind:     hidden_group_size_x
      - .offset:         158
        .size:           2
        .value_kind:     hidden_group_size_y
      - .offset:         160
        .size:           2
        .value_kind:     hidden_group_size_z
      - .offset:         162
        .size:           2
        .value_kind:     hidden_remainder_x
      - .offset:         164
        .size:           2
        .value_kind:     hidden_remainder_y
      - .offset:         166
        .size:           2
        .value_kind:     hidden_remainder_z
      - .offset:         184
        .size:           8
        .value_kind:     hidden_global_offset_x
      - .offset:         192
        .size:           8
        .value_kind:     hidden_global_offset_y
      - .offset:         200
        .size:           8
        .value_kind:     hidden_global_offset_z
      - .offset:         208
        .size:           2
        .value_kind:     hidden_grid_dims
      - .offset:         264
        .size:           4
        .value_kind:     hidden_dynamic_lds_size
    .group_segment_fixed_size: 544
    .kernarg_segment_align: 8
    .kernarg_segment_size: 400
    .language:       OpenCL C
    .language_version:
      - 2
      - 0
    .max_flat_workgroup_size: 1024
    .name:           _ZN4vllm25paged_attention_v2_kernelIthLi256ELi32ELi128ELNS_18Fp8KVCacheDataTypeE1ELb1ELi512EEEvPfS2_PT_PKS3_PKT0_S9_ifPKiSB_iPKfiiiSD_SD_iiiii
    .private_segment_fixed_size: 1156
    .sgpr_count:     46
    .sgpr_spill_count: 0
    .symbol:         _ZN4vllm25paged_attention_v2_kernelIthLi256ELi32ELi128ELNS_18Fp8KVCacheDataTypeE1ELb1ELi512EEEvPfS2_PT_PKS3_PKT0_S9_ifPKiSB_iPKfiiiSD_SD_iiiii.kd
    .uniform_work_group_size: 1
    .uses_dynamic_stack: false
    .vgpr_count:     192
    .vgpr_spill_count: 0
    .wavefront_size: 32
    .workgroup_processor_mode: 1
  - .args:
      - .actual_access:  write_only
        .address_space:  global
        .offset:         0
        .size:           8
        .value_kind:     global_buffer
      - .actual_access:  write_only
        .address_space:  global
        .offset:         8
        .size:           8
        .value_kind:     global_buffer
      - .actual_access:  write_only
        .address_space:  global
        .offset:         16
        .size:           8
        .value_kind:     global_buffer
      - .actual_access:  read_only
        .address_space:  global
        .offset:         24
        .size:           8
        .value_kind:     global_buffer
      - .actual_access:  read_only
        .address_space:  global
        .offset:         32
        .size:           8
        .value_kind:     global_buffer
      - .actual_access:  read_only
        .address_space:  global
        .offset:         40
        .size:           8
        .value_kind:     global_buffer
      - .offset:         48
        .size:           4
        .value_kind:     by_value
      - .offset:         52
        .size:           4
        .value_kind:     by_value
      - .actual_access:  read_only
        .address_space:  global
        .offset:         56
        .size:           8
        .value_kind:     global_buffer
      - .actual_access:  read_only
        .address_space:  global
        .offset:         64
        .size:           8
        .value_kind:     global_buffer
      - .offset:         72
        .size:           4
        .value_kind:     by_value
      - .actual_access:  read_only
        .address_space:  global
        .offset:         80
        .size:           8
        .value_kind:     global_buffer
      - .offset:         88
        .size:           4
        .value_kind:     by_value
      - .offset:         92
        .size:           4
        .value_kind:     by_value
      - .offset:         96
        .size:           4
        .value_kind:     by_value
      - .address_space:  global
        .offset:         104
        .size:           8
        .value_kind:     global_buffer
      - .address_space:  global
        .offset:         112
        .size:           8
        .value_kind:     global_buffer
      - .offset:         120
        .size:           4
        .value_kind:     by_value
      - .offset:         124
        .size:           4
        .value_kind:     by_value
      - .offset:         128
        .size:           4
        .value_kind:     by_value
      - .offset:         132
        .size:           4
        .value_kind:     by_value
      - .offset:         136
        .size:           4
        .value_kind:     by_value
      - .offset:         144
        .size:           4
        .value_kind:     hidden_block_count_x
      - .offset:         148
        .size:           4
        .value_kind:     hidden_block_count_y
      - .offset:         152
        .size:           4
        .value_kind:     hidden_block_count_z
      - .offset:         156
        .size:           2
        .value_kind:     hidden_group_size_x
      - .offset:         158
        .size:           2
        .value_kind:     hidden_group_size_y
      - .offset:         160
        .size:           2
        .value_kind:     hidden_group_size_z
      - .offset:         162
        .size:           2
        .value_kind:     hidden_remainder_x
      - .offset:         164
        .size:           2
        .value_kind:     hidden_remainder_y
      - .offset:         166
        .size:           2
        .value_kind:     hidden_remainder_z
      - .offset:         184
        .size:           8
        .value_kind:     hidden_global_offset_x
      - .offset:         192
        .size:           8
        .value_kind:     hidden_global_offset_y
      - .offset:         200
        .size:           8
        .value_kind:     hidden_global_offset_z
      - .offset:         208
        .size:           2
        .value_kind:     hidden_grid_dims
      - .offset:         264
        .size:           4
        .value_kind:     hidden_dynamic_lds_size
    .group_segment_fixed_size: 96
    .kernarg_segment_align: 8
    .kernarg_segment_size: 400
    .language:       OpenCL C
    .language_version:
      - 2
      - 0
    .max_flat_workgroup_size: 1024
    .name:           _ZN4vllm25paged_attention_v2_kernelIthLi32ELi32ELi128ELNS_18Fp8KVCacheDataTypeE1ELb0ELi512EEEvPfS2_PT_PKS3_PKT0_S9_ifPKiSB_iPKfiiiSD_SD_iiiii
    .private_segment_fixed_size: 0
    .sgpr_count:     46
    .sgpr_spill_count: 0
    .symbol:         _ZN4vllm25paged_attention_v2_kernelIthLi32ELi32ELi128ELNS_18Fp8KVCacheDataTypeE1ELb0ELi512EEEvPfS2_PT_PKS3_PKT0_S9_ifPKiSB_iPKfiiiSD_SD_iiiii.kd
    .uniform_work_group_size: 1
    .uses_dynamic_stack: false
    .vgpr_count:     72
    .vgpr_spill_count: 0
    .wavefront_size: 32
    .workgroup_processor_mode: 1
  - .args:
      - .actual_access:  write_only
        .address_space:  global
        .offset:         0
        .size:           8
        .value_kind:     global_buffer
      - .actual_access:  write_only
        .address_space:  global
        .offset:         8
        .size:           8
        .value_kind:     global_buffer
      - .actual_access:  write_only
        .address_space:  global
        .offset:         16
        .size:           8
        .value_kind:     global_buffer
      - .actual_access:  read_only
        .address_space:  global
        .offset:         24
        .size:           8
        .value_kind:     global_buffer
      - .actual_access:  read_only
        .address_space:  global
        .offset:         32
        .size:           8
        .value_kind:     global_buffer
      - .actual_access:  read_only
        .address_space:  global
        .offset:         40
        .size:           8
        .value_kind:     global_buffer
      - .offset:         48
        .size:           4
        .value_kind:     by_value
      - .offset:         52
        .size:           4
        .value_kind:     by_value
      - .actual_access:  read_only
        .address_space:  global
        .offset:         56
        .size:           8
        .value_kind:     global_buffer
      - .actual_access:  read_only
        .address_space:  global
        .offset:         64
        .size:           8
        .value_kind:     global_buffer
      - .offset:         72
        .size:           4
        .value_kind:     by_value
      - .address_space:  global
        .offset:         80
        .size:           8
        .value_kind:     global_buffer
      - .offset:         88
        .size:           4
        .value_kind:     by_value
      - .offset:         92
        .size:           4
        .value_kind:     by_value
      - .offset:         96
        .size:           4
        .value_kind:     by_value
      - .address_space:  global
        .offset:         104
        .size:           8
        .value_kind:     global_buffer
      - .address_space:  global
        .offset:         112
        .size:           8
        .value_kind:     global_buffer
      - .offset:         120
        .size:           4
        .value_kind:     by_value
      - .offset:         124
        .size:           4
        .value_kind:     by_value
      - .offset:         128
        .size:           4
        .value_kind:     by_value
      - .offset:         132
        .size:           4
        .value_kind:     by_value
      - .offset:         136
        .size:           4
        .value_kind:     by_value
      - .offset:         144
        .size:           4
        .value_kind:     hidden_block_count_x
      - .offset:         148
        .size:           4
        .value_kind:     hidden_block_count_y
      - .offset:         152
        .size:           4
        .value_kind:     hidden_block_count_z
      - .offset:         156
        .size:           2
        .value_kind:     hidden_group_size_x
      - .offset:         158
        .size:           2
        .value_kind:     hidden_group_size_y
      - .offset:         160
        .size:           2
        .value_kind:     hidden_group_size_z
      - .offset:         162
        .size:           2
        .value_kind:     hidden_remainder_x
      - .offset:         164
        .size:           2
        .value_kind:     hidden_remainder_y
      - .offset:         166
        .size:           2
        .value_kind:     hidden_remainder_z
      - .offset:         184
        .size:           8
        .value_kind:     hidden_global_offset_x
      - .offset:         192
        .size:           8
        .value_kind:     hidden_global_offset_y
      - .offset:         200
        .size:           8
        .value_kind:     hidden_global_offset_z
      - .offset:         208
        .size:           2
        .value_kind:     hidden_grid_dims
      - .offset:         264
        .size:           4
        .value_kind:     hidden_dynamic_lds_size
    .group_segment_fixed_size: 160
    .kernarg_segment_align: 8
    .kernarg_segment_size: 400
    .language:       OpenCL C
    .language_version:
      - 2
      - 0
    .max_flat_workgroup_size: 1024
    .name:           _ZN4vllm25paged_attention_v2_kernelIthLi64ELi32ELi128ELNS_18Fp8KVCacheDataTypeE1ELb0ELi512EEEvPfS2_PT_PKS3_PKT0_S9_ifPKiSB_iPKfiiiSD_SD_iiiii
    .private_segment_fixed_size: 48
    .sgpr_count:     46
    .sgpr_spill_count: 0
    .symbol:         _ZN4vllm25paged_attention_v2_kernelIthLi64ELi32ELi128ELNS_18Fp8KVCacheDataTypeE1ELb0ELi512EEEvPfS2_PT_PKS3_PKT0_S9_ifPKiSB_iPKfiiiSD_SD_iiiii.kd
    .uniform_work_group_size: 1
    .uses_dynamic_stack: false
    .vgpr_count:     184
    .vgpr_spill_count: 0
    .wavefront_size: 32
    .workgroup_processor_mode: 1
  - .args:
      - .actual_access:  write_only
        .address_space:  global
        .offset:         0
        .size:           8
        .value_kind:     global_buffer
      - .actual_access:  write_only
        .address_space:  global
        .offset:         8
        .size:           8
        .value_kind:     global_buffer
      - .actual_access:  write_only
        .address_space:  global
        .offset:         16
        .size:           8
        .value_kind:     global_buffer
      - .actual_access:  read_only
        .address_space:  global
        .offset:         24
        .size:           8
        .value_kind:     global_buffer
      - .actual_access:  read_only
        .address_space:  global
        .offset:         32
        .size:           8
        .value_kind:     global_buffer
      - .actual_access:  read_only
        .address_space:  global
        .offset:         40
        .size:           8
        .value_kind:     global_buffer
      - .offset:         48
        .size:           4
        .value_kind:     by_value
      - .offset:         52
        .size:           4
        .value_kind:     by_value
      - .actual_access:  read_only
        .address_space:  global
        .offset:         56
        .size:           8
        .value_kind:     global_buffer
      - .actual_access:  read_only
        .address_space:  global
        .offset:         64
        .size:           8
        .value_kind:     global_buffer
      - .offset:         72
        .size:           4
        .value_kind:     by_value
      - .address_space:  global
        .offset:         80
        .size:           8
        .value_kind:     global_buffer
      - .offset:         88
        .size:           4
        .value_kind:     by_value
      - .offset:         92
        .size:           4
        .value_kind:     by_value
      - .offset:         96
        .size:           4
        .value_kind:     by_value
      - .address_space:  global
        .offset:         104
        .size:           8
        .value_kind:     global_buffer
      - .address_space:  global
        .offset:         112
        .size:           8
        .value_kind:     global_buffer
      - .offset:         120
        .size:           4
        .value_kind:     by_value
      - .offset:         124
        .size:           4
        .value_kind:     by_value
      - .offset:         128
        .size:           4
        .value_kind:     by_value
      - .offset:         132
        .size:           4
        .value_kind:     by_value
      - .offset:         136
        .size:           4
        .value_kind:     by_value
      - .offset:         144
        .size:           4
        .value_kind:     hidden_block_count_x
      - .offset:         148
        .size:           4
        .value_kind:     hidden_block_count_y
      - .offset:         152
        .size:           4
        .value_kind:     hidden_block_count_z
      - .offset:         156
        .size:           2
        .value_kind:     hidden_group_size_x
      - .offset:         158
        .size:           2
        .value_kind:     hidden_group_size_y
      - .offset:         160
        .size:           2
        .value_kind:     hidden_group_size_z
      - .offset:         162
        .size:           2
        .value_kind:     hidden_remainder_x
      - .offset:         164
        .size:           2
        .value_kind:     hidden_remainder_y
      - .offset:         166
        .size:           2
        .value_kind:     hidden_remainder_z
      - .offset:         184
        .size:           8
        .value_kind:     hidden_global_offset_x
      - .offset:         192
        .size:           8
        .value_kind:     hidden_global_offset_y
      - .offset:         200
        .size:           8
        .value_kind:     hidden_global_offset_z
      - .offset:         208
        .size:           2
        .value_kind:     hidden_grid_dims
      - .offset:         264
        .size:           4
        .value_kind:     hidden_dynamic_lds_size
    .group_segment_fixed_size: 192
    .kernarg_segment_align: 8
    .kernarg_segment_size: 400
    .language:       OpenCL C
    .language_version:
      - 2
      - 0
    .max_flat_workgroup_size: 1024
    .name:           _ZN4vllm25paged_attention_v2_kernelIthLi80ELi32ELi128ELNS_18Fp8KVCacheDataTypeE1ELb0ELi512EEEvPfS2_PT_PKS3_PKT0_S9_ifPKiSB_iPKfiiiSD_SD_iiiii
    .private_segment_fixed_size: 112
    .sgpr_count:     46
    .sgpr_spill_count: 0
    .symbol:         _ZN4vllm25paged_attention_v2_kernelIthLi80ELi32ELi128ELNS_18Fp8KVCacheDataTypeE1ELb0ELi512EEEvPfS2_PT_PKS3_PKT0_S9_ifPKiSB_iPKfiiiSD_SD_iiiii.kd
    .uniform_work_group_size: 1
    .uses_dynamic_stack: false
    .vgpr_count:     184
    .vgpr_spill_count: 0
    .wavefront_size: 32
    .workgroup_processor_mode: 1
  - .args:
      - .actual_access:  write_only
        .address_space:  global
        .offset:         0
        .size:           8
        .value_kind:     global_buffer
      - .actual_access:  write_only
        .address_space:  global
        .offset:         8
        .size:           8
        .value_kind:     global_buffer
      - .actual_access:  write_only
        .address_space:  global
        .offset:         16
        .size:           8
        .value_kind:     global_buffer
      - .actual_access:  read_only
        .address_space:  global
        .offset:         24
        .size:           8
        .value_kind:     global_buffer
      - .actual_access:  read_only
        .address_space:  global
        .offset:         32
        .size:           8
        .value_kind:     global_buffer
      - .actual_access:  read_only
        .address_space:  global
        .offset:         40
        .size:           8
        .value_kind:     global_buffer
      - .offset:         48
        .size:           4
        .value_kind:     by_value
      - .offset:         52
        .size:           4
        .value_kind:     by_value
      - .actual_access:  read_only
        .address_space:  global
        .offset:         56
        .size:           8
        .value_kind:     global_buffer
      - .actual_access:  read_only
        .address_space:  global
        .offset:         64
        .size:           8
        .value_kind:     global_buffer
      - .offset:         72
        .size:           4
        .value_kind:     by_value
      - .address_space:  global
        .offset:         80
        .size:           8
        .value_kind:     global_buffer
      - .offset:         88
        .size:           4
        .value_kind:     by_value
      - .offset:         92
        .size:           4
        .value_kind:     by_value
      - .offset:         96
        .size:           4
        .value_kind:     by_value
      - .address_space:  global
        .offset:         104
        .size:           8
        .value_kind:     global_buffer
      - .address_space:  global
        .offset:         112
        .size:           8
        .value_kind:     global_buffer
      - .offset:         120
        .size:           4
        .value_kind:     by_value
      - .offset:         124
        .size:           4
        .value_kind:     by_value
      - .offset:         128
        .size:           4
        .value_kind:     by_value
      - .offset:         132
        .size:           4
        .value_kind:     by_value
      - .offset:         136
        .size:           4
        .value_kind:     by_value
      - .offset:         144
        .size:           4
        .value_kind:     hidden_block_count_x
      - .offset:         148
        .size:           4
        .value_kind:     hidden_block_count_y
      - .offset:         152
        .size:           4
        .value_kind:     hidden_block_count_z
      - .offset:         156
        .size:           2
        .value_kind:     hidden_group_size_x
      - .offset:         158
        .size:           2
        .value_kind:     hidden_group_size_y
      - .offset:         160
        .size:           2
        .value_kind:     hidden_group_size_z
      - .offset:         162
        .size:           2
        .value_kind:     hidden_remainder_x
      - .offset:         164
        .size:           2
        .value_kind:     hidden_remainder_y
      - .offset:         166
        .size:           2
        .value_kind:     hidden_remainder_z
      - .offset:         184
        .size:           8
        .value_kind:     hidden_global_offset_x
      - .offset:         192
        .size:           8
        .value_kind:     hidden_global_offset_y
      - .offset:         200
        .size:           8
        .value_kind:     hidden_global_offset_z
      - .offset:         208
        .size:           2
        .value_kind:     hidden_grid_dims
      - .offset:         264
        .size:           4
        .value_kind:     hidden_dynamic_lds_size
    .group_segment_fixed_size: 224
    .kernarg_segment_align: 8
    .kernarg_segment_size: 400
    .language:       OpenCL C
    .language_version:
      - 2
      - 0
    .max_flat_workgroup_size: 1024
    .name:           _ZN4vllm25paged_attention_v2_kernelIthLi96ELi32ELi128ELNS_18Fp8KVCacheDataTypeE1ELb0ELi512EEEvPfS2_PT_PKS3_PKT0_S9_ifPKiSB_iPKfiiiSD_SD_iiiii
    .private_segment_fixed_size: 248
    .sgpr_count:     46
    .sgpr_spill_count: 0
    .symbol:         _ZN4vllm25paged_attention_v2_kernelIthLi96ELi32ELi128ELNS_18Fp8KVCacheDataTypeE1ELb0ELi512EEEvPfS2_PT_PKS3_PKT0_S9_ifPKiSB_iPKfiiiSD_SD_iiiii.kd
    .uniform_work_group_size: 1
    .uses_dynamic_stack: false
    .vgpr_count:     184
    .vgpr_spill_count: 0
    .wavefront_size: 32
    .workgroup_processor_mode: 1
  - .args:
      - .actual_access:  write_only
        .address_space:  global
        .offset:         0
        .size:           8
        .value_kind:     global_buffer
      - .actual_access:  write_only
        .address_space:  global
        .offset:         8
        .size:           8
        .value_kind:     global_buffer
      - .actual_access:  write_only
        .address_space:  global
        .offset:         16
        .size:           8
        .value_kind:     global_buffer
      - .actual_access:  read_only
        .address_space:  global
        .offset:         24
        .size:           8
        .value_kind:     global_buffer
      - .actual_access:  read_only
        .address_space:  global
        .offset:         32
        .size:           8
        .value_kind:     global_buffer
      - .actual_access:  read_only
        .address_space:  global
        .offset:         40
        .size:           8
        .value_kind:     global_buffer
      - .offset:         48
        .size:           4
        .value_kind:     by_value
      - .offset:         52
        .size:           4
        .value_kind:     by_value
      - .actual_access:  read_only
        .address_space:  global
        .offset:         56
        .size:           8
        .value_kind:     global_buffer
      - .actual_access:  read_only
        .address_space:  global
        .offset:         64
        .size:           8
        .value_kind:     global_buffer
      - .offset:         72
        .size:           4
        .value_kind:     by_value
      - .address_space:  global
        .offset:         80
        .size:           8
        .value_kind:     global_buffer
      - .offset:         88
        .size:           4
        .value_kind:     by_value
      - .offset:         92
        .size:           4
        .value_kind:     by_value
      - .offset:         96
        .size:           4
        .value_kind:     by_value
      - .address_space:  global
        .offset:         104
        .size:           8
        .value_kind:     global_buffer
      - .address_space:  global
        .offset:         112
        .size:           8
        .value_kind:     global_buffer
      - .offset:         120
        .size:           4
        .value_kind:     by_value
      - .offset:         124
        .size:           4
        .value_kind:     by_value
      - .offset:         128
        .size:           4
        .value_kind:     by_value
      - .offset:         132
        .size:           4
        .value_kind:     by_value
      - .offset:         136
        .size:           4
        .value_kind:     by_value
      - .offset:         144
        .size:           4
        .value_kind:     hidden_block_count_x
      - .offset:         148
        .size:           4
        .value_kind:     hidden_block_count_y
      - .offset:         152
        .size:           4
        .value_kind:     hidden_block_count_z
      - .offset:         156
        .size:           2
        .value_kind:     hidden_group_size_x
      - .offset:         158
        .size:           2
        .value_kind:     hidden_group_size_y
      - .offset:         160
        .size:           2
        .value_kind:     hidden_group_size_z
      - .offset:         162
        .size:           2
        .value_kind:     hidden_remainder_x
      - .offset:         164
        .size:           2
        .value_kind:     hidden_remainder_y
      - .offset:         166
        .size:           2
        .value_kind:     hidden_remainder_z
      - .offset:         184
        .size:           8
        .value_kind:     hidden_global_offset_x
      - .offset:         192
        .size:           8
        .value_kind:     hidden_global_offset_y
      - .offset:         200
        .size:           8
        .value_kind:     hidden_global_offset_z
      - .offset:         208
        .size:           2
        .value_kind:     hidden_grid_dims
      - .offset:         264
        .size:           4
        .value_kind:     hidden_dynamic_lds_size
    .group_segment_fixed_size: 256
    .kernarg_segment_align: 8
    .kernarg_segment_size: 400
    .language:       OpenCL C
    .language_version:
      - 2
      - 0
    .max_flat_workgroup_size: 1024
    .name:           _ZN4vllm25paged_attention_v2_kernelIthLi112ELi32ELi128ELNS_18Fp8KVCacheDataTypeE1ELb0ELi512EEEvPfS2_PT_PKS3_PKT0_S9_ifPKiSB_iPKfiiiSD_SD_iiiii
    .private_segment_fixed_size: 236
    .sgpr_count:     46
    .sgpr_spill_count: 0
    .symbol:         _ZN4vllm25paged_attention_v2_kernelIthLi112ELi32ELi128ELNS_18Fp8KVCacheDataTypeE1ELb0ELi512EEEvPfS2_PT_PKS3_PKT0_S9_ifPKiSB_iPKfiiiSD_SD_iiiii.kd
    .uniform_work_group_size: 1
    .uses_dynamic_stack: false
    .vgpr_count:     184
    .vgpr_spill_count: 0
    .wavefront_size: 32
    .workgroup_processor_mode: 1
  - .args:
      - .actual_access:  write_only
        .address_space:  global
        .offset:         0
        .size:           8
        .value_kind:     global_buffer
      - .actual_access:  write_only
        .address_space:  global
        .offset:         8
        .size:           8
        .value_kind:     global_buffer
      - .actual_access:  write_only
        .address_space:  global
        .offset:         16
        .size:           8
        .value_kind:     global_buffer
      - .actual_access:  read_only
        .address_space:  global
        .offset:         24
        .size:           8
        .value_kind:     global_buffer
      - .actual_access:  read_only
        .address_space:  global
        .offset:         32
        .size:           8
        .value_kind:     global_buffer
      - .actual_access:  read_only
        .address_space:  global
        .offset:         40
        .size:           8
        .value_kind:     global_buffer
      - .offset:         48
        .size:           4
        .value_kind:     by_value
      - .offset:         52
        .size:           4
        .value_kind:     by_value
      - .actual_access:  read_only
        .address_space:  global
        .offset:         56
        .size:           8
        .value_kind:     global_buffer
      - .actual_access:  read_only
        .address_space:  global
        .offset:         64
        .size:           8
        .value_kind:     global_buffer
      - .offset:         72
        .size:           4
        .value_kind:     by_value
      - .address_space:  global
        .offset:         80
        .size:           8
        .value_kind:     global_buffer
      - .offset:         88
        .size:           4
        .value_kind:     by_value
      - .offset:         92
        .size:           4
        .value_kind:     by_value
      - .offset:         96
        .size:           4
        .value_kind:     by_value
      - .address_space:  global
        .offset:         104
        .size:           8
        .value_kind:     global_buffer
      - .address_space:  global
        .offset:         112
        .size:           8
        .value_kind:     global_buffer
      - .offset:         120
        .size:           4
        .value_kind:     by_value
      - .offset:         124
        .size:           4
        .value_kind:     by_value
      - .offset:         128
        .size:           4
        .value_kind:     by_value
      - .offset:         132
        .size:           4
        .value_kind:     by_value
      - .offset:         136
        .size:           4
        .value_kind:     by_value
      - .offset:         144
        .size:           4
        .value_kind:     hidden_block_count_x
      - .offset:         148
        .size:           4
        .value_kind:     hidden_block_count_y
      - .offset:         152
        .size:           4
        .value_kind:     hidden_block_count_z
      - .offset:         156
        .size:           2
        .value_kind:     hidden_group_size_x
      - .offset:         158
        .size:           2
        .value_kind:     hidden_group_size_y
      - .offset:         160
        .size:           2
        .value_kind:     hidden_group_size_z
      - .offset:         162
        .size:           2
        .value_kind:     hidden_remainder_x
      - .offset:         164
        .size:           2
        .value_kind:     hidden_remainder_y
      - .offset:         166
        .size:           2
        .value_kind:     hidden_remainder_z
      - .offset:         184
        .size:           8
        .value_kind:     hidden_global_offset_x
      - .offset:         192
        .size:           8
        .value_kind:     hidden_global_offset_y
      - .offset:         200
        .size:           8
        .value_kind:     hidden_global_offset_z
      - .offset:         208
        .size:           2
        .value_kind:     hidden_grid_dims
      - .offset:         264
        .size:           4
        .value_kind:     hidden_dynamic_lds_size
    .group_segment_fixed_size: 272
    .kernarg_segment_align: 8
    .kernarg_segment_size: 400
    .language:       OpenCL C
    .language_version:
      - 2
      - 0
    .max_flat_workgroup_size: 1024
    .name:           _ZN4vllm25paged_attention_v2_kernelIthLi120ELi32ELi128ELNS_18Fp8KVCacheDataTypeE1ELb0ELi512EEEvPfS2_PT_PKS3_PKT0_S9_ifPKiSB_iPKfiiiSD_SD_iiiii
    .private_segment_fixed_size: 268
    .sgpr_count:     46
    .sgpr_spill_count: 0
    .symbol:         _ZN4vllm25paged_attention_v2_kernelIthLi120ELi32ELi128ELNS_18Fp8KVCacheDataTypeE1ELb0ELi512EEEvPfS2_PT_PKS3_PKT0_S9_ifPKiSB_iPKfiiiSD_SD_iiiii.kd
    .uniform_work_group_size: 1
    .uses_dynamic_stack: false
    .vgpr_count:     184
    .vgpr_spill_count: 0
    .wavefront_size: 32
    .workgroup_processor_mode: 1
  - .args:
      - .actual_access:  write_only
        .address_space:  global
        .offset:         0
        .size:           8
        .value_kind:     global_buffer
      - .actual_access:  write_only
        .address_space:  global
        .offset:         8
        .size:           8
        .value_kind:     global_buffer
      - .actual_access:  write_only
        .address_space:  global
        .offset:         16
        .size:           8
        .value_kind:     global_buffer
      - .actual_access:  read_only
        .address_space:  global
        .offset:         24
        .size:           8
        .value_kind:     global_buffer
      - .actual_access:  read_only
        .address_space:  global
        .offset:         32
        .size:           8
        .value_kind:     global_buffer
      - .actual_access:  read_only
        .address_space:  global
        .offset:         40
        .size:           8
        .value_kind:     global_buffer
      - .offset:         48
        .size:           4
        .value_kind:     by_value
      - .offset:         52
        .size:           4
        .value_kind:     by_value
      - .actual_access:  read_only
        .address_space:  global
        .offset:         56
        .size:           8
        .value_kind:     global_buffer
      - .actual_access:  read_only
        .address_space:  global
        .offset:         64
        .size:           8
        .value_kind:     global_buffer
      - .offset:         72
        .size:           4
        .value_kind:     by_value
      - .address_space:  global
        .offset:         80
        .size:           8
        .value_kind:     global_buffer
      - .offset:         88
        .size:           4
        .value_kind:     by_value
      - .offset:         92
        .size:           4
        .value_kind:     by_value
      - .offset:         96
        .size:           4
        .value_kind:     by_value
      - .address_space:  global
        .offset:         104
        .size:           8
        .value_kind:     global_buffer
      - .address_space:  global
        .offset:         112
        .size:           8
        .value_kind:     global_buffer
      - .offset:         120
        .size:           4
        .value_kind:     by_value
      - .offset:         124
        .size:           4
        .value_kind:     by_value
      - .offset:         128
        .size:           4
        .value_kind:     by_value
      - .offset:         132
        .size:           4
        .value_kind:     by_value
      - .offset:         136
        .size:           4
        .value_kind:     by_value
      - .offset:         144
        .size:           4
        .value_kind:     hidden_block_count_x
      - .offset:         148
        .size:           4
        .value_kind:     hidden_block_count_y
      - .offset:         152
        .size:           4
        .value_kind:     hidden_block_count_z
      - .offset:         156
        .size:           2
        .value_kind:     hidden_group_size_x
      - .offset:         158
        .size:           2
        .value_kind:     hidden_group_size_y
      - .offset:         160
        .size:           2
        .value_kind:     hidden_group_size_z
      - .offset:         162
        .size:           2
        .value_kind:     hidden_remainder_x
      - .offset:         164
        .size:           2
        .value_kind:     hidden_remainder_y
      - .offset:         166
        .size:           2
        .value_kind:     hidden_remainder_z
      - .offset:         184
        .size:           8
        .value_kind:     hidden_global_offset_x
      - .offset:         192
        .size:           8
        .value_kind:     hidden_global_offset_y
      - .offset:         200
        .size:           8
        .value_kind:     hidden_global_offset_z
      - .offset:         208
        .size:           2
        .value_kind:     hidden_grid_dims
      - .offset:         264
        .size:           4
        .value_kind:     hidden_dynamic_lds_size
    .group_segment_fixed_size: 288
    .kernarg_segment_align: 8
    .kernarg_segment_size: 400
    .language:       OpenCL C
    .language_version:
      - 2
      - 0
    .max_flat_workgroup_size: 1024
    .name:           _ZN4vllm25paged_attention_v2_kernelIthLi128ELi32ELi128ELNS_18Fp8KVCacheDataTypeE1ELb0ELi512EEEvPfS2_PT_PKS3_PKT0_S9_ifPKiSB_iPKfiiiSD_SD_iiiii
    .private_segment_fixed_size: 300
    .sgpr_count:     46
    .sgpr_spill_count: 0
    .symbol:         _ZN4vllm25paged_attention_v2_kernelIthLi128ELi32ELi128ELNS_18Fp8KVCacheDataTypeE1ELb0ELi512EEEvPfS2_PT_PKS3_PKT0_S9_ifPKiSB_iPKfiiiSD_SD_iiiii.kd
    .uniform_work_group_size: 1
    .uses_dynamic_stack: false
    .vgpr_count:     186
    .vgpr_spill_count: 0
    .wavefront_size: 32
    .workgroup_processor_mode: 1
  - .args:
      - .actual_access:  write_only
        .address_space:  global
        .offset:         0
        .size:           8
        .value_kind:     global_buffer
      - .actual_access:  write_only
        .address_space:  global
        .offset:         8
        .size:           8
        .value_kind:     global_buffer
      - .actual_access:  write_only
        .address_space:  global
        .offset:         16
        .size:           8
        .value_kind:     global_buffer
      - .actual_access:  read_only
        .address_space:  global
        .offset:         24
        .size:           8
        .value_kind:     global_buffer
      - .actual_access:  read_only
        .address_space:  global
        .offset:         32
        .size:           8
        .value_kind:     global_buffer
      - .actual_access:  read_only
        .address_space:  global
        .offset:         40
        .size:           8
        .value_kind:     global_buffer
      - .offset:         48
        .size:           4
        .value_kind:     by_value
      - .offset:         52
        .size:           4
        .value_kind:     by_value
      - .actual_access:  read_only
        .address_space:  global
        .offset:         56
        .size:           8
        .value_kind:     global_buffer
      - .actual_access:  read_only
        .address_space:  global
        .offset:         64
        .size:           8
        .value_kind:     global_buffer
      - .offset:         72
        .size:           4
        .value_kind:     by_value
      - .address_space:  global
        .offset:         80
        .size:           8
        .value_kind:     global_buffer
      - .offset:         88
        .size:           4
        .value_kind:     by_value
      - .offset:         92
        .size:           4
        .value_kind:     by_value
      - .offset:         96
        .size:           4
        .value_kind:     by_value
      - .address_space:  global
        .offset:         104
        .size:           8
        .value_kind:     global_buffer
      - .address_space:  global
        .offset:         112
        .size:           8
        .value_kind:     global_buffer
      - .offset:         120
        .size:           4
        .value_kind:     by_value
      - .offset:         124
        .size:           4
        .value_kind:     by_value
      - .offset:         128
        .size:           4
        .value_kind:     by_value
      - .offset:         132
        .size:           4
        .value_kind:     by_value
      - .offset:         136
        .size:           4
        .value_kind:     by_value
      - .offset:         144
        .size:           4
        .value_kind:     hidden_block_count_x
      - .offset:         148
        .size:           4
        .value_kind:     hidden_block_count_y
      - .offset:         152
        .size:           4
        .value_kind:     hidden_block_count_z
      - .offset:         156
        .size:           2
        .value_kind:     hidden_group_size_x
      - .offset:         158
        .size:           2
        .value_kind:     hidden_group_size_y
      - .offset:         160
        .size:           2
        .value_kind:     hidden_group_size_z
      - .offset:         162
        .size:           2
        .value_kind:     hidden_remainder_x
      - .offset:         164
        .size:           2
        .value_kind:     hidden_remainder_y
      - .offset:         166
        .size:           2
        .value_kind:     hidden_remainder_z
      - .offset:         184
        .size:           8
        .value_kind:     hidden_global_offset_x
      - .offset:         192
        .size:           8
        .value_kind:     hidden_global_offset_y
      - .offset:         200
        .size:           8
        .value_kind:     hidden_global_offset_z
      - .offset:         208
        .size:           2
        .value_kind:     hidden_grid_dims
      - .offset:         264
        .size:           4
        .value_kind:     hidden_dynamic_lds_size
    .group_segment_fixed_size: 416
    .kernarg_segment_align: 8
    .kernarg_segment_size: 400
    .language:       OpenCL C
    .language_version:
      - 2
      - 0
    .max_flat_workgroup_size: 1024
    .name:           _ZN4vllm25paged_attention_v2_kernelIthLi192ELi32ELi128ELNS_18Fp8KVCacheDataTypeE1ELb0ELi512EEEvPfS2_PT_PKS3_PKT0_S9_ifPKiSB_iPKfiiiSD_SD_iiiii
    .private_segment_fixed_size: 596
    .sgpr_count:     46
    .sgpr_spill_count: 0
    .symbol:         _ZN4vllm25paged_attention_v2_kernelIthLi192ELi32ELi128ELNS_18Fp8KVCacheDataTypeE1ELb0ELi512EEEvPfS2_PT_PKS3_PKT0_S9_ifPKiSB_iPKfiiiSD_SD_iiiii.kd
    .uniform_work_group_size: 1
    .uses_dynamic_stack: false
    .vgpr_count:     192
    .vgpr_spill_count: 0
    .wavefront_size: 32
    .workgroup_processor_mode: 1
  - .args:
      - .actual_access:  write_only
        .address_space:  global
        .offset:         0
        .size:           8
        .value_kind:     global_buffer
      - .actual_access:  write_only
        .address_space:  global
        .offset:         8
        .size:           8
        .value_kind:     global_buffer
      - .actual_access:  write_only
        .address_space:  global
        .offset:         16
        .size:           8
        .value_kind:     global_buffer
      - .actual_access:  read_only
        .address_space:  global
        .offset:         24
        .size:           8
        .value_kind:     global_buffer
      - .actual_access:  read_only
        .address_space:  global
        .offset:         32
        .size:           8
        .value_kind:     global_buffer
      - .actual_access:  read_only
        .address_space:  global
        .offset:         40
        .size:           8
        .value_kind:     global_buffer
      - .offset:         48
        .size:           4
        .value_kind:     by_value
      - .offset:         52
        .size:           4
        .value_kind:     by_value
      - .actual_access:  read_only
        .address_space:  global
        .offset:         56
        .size:           8
        .value_kind:     global_buffer
      - .actual_access:  read_only
        .address_space:  global
        .offset:         64
        .size:           8
        .value_kind:     global_buffer
      - .offset:         72
        .size:           4
        .value_kind:     by_value
      - .address_space:  global
        .offset:         80
        .size:           8
        .value_kind:     global_buffer
      - .offset:         88
        .size:           4
        .value_kind:     by_value
      - .offset:         92
        .size:           4
        .value_kind:     by_value
      - .offset:         96
        .size:           4
        .value_kind:     by_value
      - .address_space:  global
        .offset:         104
        .size:           8
        .value_kind:     global_buffer
      - .address_space:  global
        .offset:         112
        .size:           8
        .value_kind:     global_buffer
      - .offset:         120
        .size:           4
        .value_kind:     by_value
      - .offset:         124
        .size:           4
        .value_kind:     by_value
      - .offset:         128
        .size:           4
        .value_kind:     by_value
      - .offset:         132
        .size:           4
        .value_kind:     by_value
      - .offset:         136
        .size:           4
        .value_kind:     by_value
      - .offset:         144
        .size:           4
        .value_kind:     hidden_block_count_x
      - .offset:         148
        .size:           4
        .value_kind:     hidden_block_count_y
      - .offset:         152
        .size:           4
        .value_kind:     hidden_block_count_z
      - .offset:         156
        .size:           2
        .value_kind:     hidden_group_size_x
      - .offset:         158
        .size:           2
        .value_kind:     hidden_group_size_y
      - .offset:         160
        .size:           2
        .value_kind:     hidden_group_size_z
      - .offset:         162
        .size:           2
        .value_kind:     hidden_remainder_x
      - .offset:         164
        .size:           2
        .value_kind:     hidden_remainder_y
      - .offset:         166
        .size:           2
        .value_kind:     hidden_remainder_z
      - .offset:         184
        .size:           8
        .value_kind:     hidden_global_offset_x
      - .offset:         192
        .size:           8
        .value_kind:     hidden_global_offset_y
      - .offset:         200
        .size:           8
        .value_kind:     hidden_global_offset_z
      - .offset:         208
        .size:           2
        .value_kind:     hidden_grid_dims
      - .offset:         264
        .size:           4
        .value_kind:     hidden_dynamic_lds_size
    .group_segment_fixed_size: 544
    .kernarg_segment_align: 8
    .kernarg_segment_size: 400
    .language:       OpenCL C
    .language_version:
      - 2
      - 0
    .max_flat_workgroup_size: 1024
    .name:           _ZN4vllm25paged_attention_v2_kernelIthLi256ELi32ELi128ELNS_18Fp8KVCacheDataTypeE1ELb0ELi512EEEvPfS2_PT_PKS3_PKT0_S9_ifPKiSB_iPKfiiiSD_SD_iiiii
    .private_segment_fixed_size: 1120
    .sgpr_count:     46
    .sgpr_spill_count: 0
    .symbol:         _ZN4vllm25paged_attention_v2_kernelIthLi256ELi32ELi128ELNS_18Fp8KVCacheDataTypeE1ELb0ELi512EEEvPfS2_PT_PKS3_PKT0_S9_ifPKiSB_iPKfiiiSD_SD_iiiii.kd
    .uniform_work_group_size: 1
    .uses_dynamic_stack: false
    .vgpr_count:     192
    .vgpr_spill_count: 0
    .wavefront_size: 32
    .workgroup_processor_mode: 1
  - .args:
      - .actual_access:  write_only
        .address_space:  global
        .offset:         0
        .size:           8
        .value_kind:     global_buffer
      - .actual_access:  write_only
        .address_space:  global
        .offset:         8
        .size:           8
        .value_kind:     global_buffer
      - .actual_access:  write_only
        .address_space:  global
        .offset:         16
        .size:           8
        .value_kind:     global_buffer
      - .actual_access:  read_only
        .address_space:  global
        .offset:         24
        .size:           8
        .value_kind:     global_buffer
      - .actual_access:  read_only
        .address_space:  global
        .offset:         32
        .size:           8
        .value_kind:     global_buffer
      - .actual_access:  read_only
        .address_space:  global
        .offset:         40
        .size:           8
        .value_kind:     global_buffer
      - .offset:         48
        .size:           4
        .value_kind:     by_value
      - .offset:         52
        .size:           4
        .value_kind:     by_value
      - .actual_access:  read_only
        .address_space:  global
        .offset:         56
        .size:           8
        .value_kind:     global_buffer
      - .actual_access:  read_only
        .address_space:  global
        .offset:         64
        .size:           8
        .value_kind:     global_buffer
      - .offset:         72
        .size:           4
        .value_kind:     by_value
      - .actual_access:  read_only
        .address_space:  global
        .offset:         80
        .size:           8
        .value_kind:     global_buffer
      - .offset:         88
        .size:           4
        .value_kind:     by_value
      - .offset:         92
        .size:           4
        .value_kind:     by_value
      - .offset:         96
        .size:           4
        .value_kind:     by_value
      - .address_space:  global
        .offset:         104
        .size:           8
        .value_kind:     global_buffer
      - .address_space:  global
        .offset:         112
        .size:           8
        .value_kind:     global_buffer
      - .offset:         120
        .size:           4
        .value_kind:     by_value
      - .offset:         124
        .size:           4
        .value_kind:     by_value
      - .offset:         128
        .size:           4
        .value_kind:     by_value
      - .offset:         132
        .size:           4
        .value_kind:     by_value
      - .offset:         136
        .size:           4
        .value_kind:     by_value
      - .offset:         144
        .size:           4
        .value_kind:     hidden_block_count_x
      - .offset:         148
        .size:           4
        .value_kind:     hidden_block_count_y
      - .offset:         152
        .size:           4
        .value_kind:     hidden_block_count_z
      - .offset:         156
        .size:           2
        .value_kind:     hidden_group_size_x
      - .offset:         158
        .size:           2
        .value_kind:     hidden_group_size_y
      - .offset:         160
        .size:           2
        .value_kind:     hidden_group_size_z
      - .offset:         162
        .size:           2
        .value_kind:     hidden_remainder_x
      - .offset:         164
        .size:           2
        .value_kind:     hidden_remainder_y
      - .offset:         166
        .size:           2
        .value_kind:     hidden_remainder_z
      - .offset:         184
        .size:           8
        .value_kind:     hidden_global_offset_x
      - .offset:         192
        .size:           8
        .value_kind:     hidden_global_offset_y
      - .offset:         200
        .size:           8
        .value_kind:     hidden_global_offset_z
      - .offset:         208
        .size:           2
        .value_kind:     hidden_grid_dims
      - .offset:         264
        .size:           4
        .value_kind:     hidden_dynamic_lds_size
    .group_segment_fixed_size: 96
    .kernarg_segment_align: 8
    .kernarg_segment_size: 400
    .language:       OpenCL C
    .language_version:
      - 2
      - 0
    .max_flat_workgroup_size: 1024
    .name:           _ZN4vllm25paged_attention_v2_kernelI14__hip_bfloat16hLi32ELi8ELi128ELNS_18Fp8KVCacheDataTypeE1ELb1ELi512EEEvPfS3_PT_PKS4_PKT0_SA_ifPKiSC_iPKfiiiSE_SE_iiiii
    .private_segment_fixed_size: 0
    .sgpr_count:     55
    .sgpr_spill_count: 0
    .symbol:         _ZN4vllm25paged_attention_v2_kernelI14__hip_bfloat16hLi32ELi8ELi128ELNS_18Fp8KVCacheDataTypeE1ELb1ELi512EEEvPfS3_PT_PKS4_PKT0_SA_ifPKiSC_iPKfiiiSE_SE_iiiii.kd
    .uniform_work_group_size: 1
    .uses_dynamic_stack: false
    .vgpr_count:     37
    .vgpr_spill_count: 0
    .wavefront_size: 32
    .workgroup_processor_mode: 1
  - .args:
      - .actual_access:  write_only
        .address_space:  global
        .offset:         0
        .size:           8
        .value_kind:     global_buffer
      - .actual_access:  write_only
        .address_space:  global
        .offset:         8
        .size:           8
        .value_kind:     global_buffer
      - .actual_access:  write_only
        .address_space:  global
        .offset:         16
        .size:           8
        .value_kind:     global_buffer
      - .actual_access:  read_only
        .address_space:  global
        .offset:         24
        .size:           8
        .value_kind:     global_buffer
      - .actual_access:  read_only
        .address_space:  global
        .offset:         32
        .size:           8
        .value_kind:     global_buffer
      - .actual_access:  read_only
        .address_space:  global
        .offset:         40
        .size:           8
        .value_kind:     global_buffer
      - .offset:         48
        .size:           4
        .value_kind:     by_value
      - .offset:         52
        .size:           4
        .value_kind:     by_value
      - .actual_access:  read_only
        .address_space:  global
        .offset:         56
        .size:           8
        .value_kind:     global_buffer
      - .actual_access:  read_only
        .address_space:  global
        .offset:         64
        .size:           8
        .value_kind:     global_buffer
      - .offset:         72
        .size:           4
        .value_kind:     by_value
      - .actual_access:  read_only
        .address_space:  global
        .offset:         80
        .size:           8
        .value_kind:     global_buffer
      - .offset:         88
        .size:           4
        .value_kind:     by_value
      - .offset:         92
        .size:           4
        .value_kind:     by_value
      - .offset:         96
        .size:           4
        .value_kind:     by_value
      - .address_space:  global
        .offset:         104
        .size:           8
        .value_kind:     global_buffer
      - .address_space:  global
        .offset:         112
        .size:           8
        .value_kind:     global_buffer
      - .offset:         120
        .size:           4
        .value_kind:     by_value
      - .offset:         124
        .size:           4
        .value_kind:     by_value
      - .offset:         128
        .size:           4
        .value_kind:     by_value
      - .offset:         132
        .size:           4
        .value_kind:     by_value
      - .offset:         136
        .size:           4
        .value_kind:     by_value
      - .offset:         144
        .size:           4
        .value_kind:     hidden_block_count_x
      - .offset:         148
        .size:           4
        .value_kind:     hidden_block_count_y
      - .offset:         152
        .size:           4
        .value_kind:     hidden_block_count_z
      - .offset:         156
        .size:           2
        .value_kind:     hidden_group_size_x
      - .offset:         158
        .size:           2
        .value_kind:     hidden_group_size_y
      - .offset:         160
        .size:           2
        .value_kind:     hidden_group_size_z
      - .offset:         162
        .size:           2
        .value_kind:     hidden_remainder_x
      - .offset:         164
        .size:           2
        .value_kind:     hidden_remainder_y
      - .offset:         166
        .size:           2
        .value_kind:     hidden_remainder_z
      - .offset:         184
        .size:           8
        .value_kind:     hidden_global_offset_x
      - .offset:         192
        .size:           8
        .value_kind:     hidden_global_offset_y
      - .offset:         200
        .size:           8
        .value_kind:     hidden_global_offset_z
      - .offset:         208
        .size:           2
        .value_kind:     hidden_grid_dims
      - .offset:         264
        .size:           4
        .value_kind:     hidden_dynamic_lds_size
    .group_segment_fixed_size: 160
    .kernarg_segment_align: 8
    .kernarg_segment_size: 400
    .language:       OpenCL C
    .language_version:
      - 2
      - 0
    .max_flat_workgroup_size: 1024
    .name:           _ZN4vllm25paged_attention_v2_kernelI14__hip_bfloat16hLi64ELi8ELi128ELNS_18Fp8KVCacheDataTypeE1ELb1ELi512EEEvPfS3_PT_PKS4_PKT0_SA_ifPKiSC_iPKfiiiSE_SE_iiiii
    .private_segment_fixed_size: 0
    .sgpr_count:     56
    .sgpr_spill_count: 0
    .symbol:         _ZN4vllm25paged_attention_v2_kernelI14__hip_bfloat16hLi64ELi8ELi128ELNS_18Fp8KVCacheDataTypeE1ELb1ELi512EEEvPfS3_PT_PKS4_PKT0_SA_ifPKiSC_iPKfiiiSE_SE_iiiii.kd
    .uniform_work_group_size: 1
    .uses_dynamic_stack: false
    .vgpr_count:     52
    .vgpr_spill_count: 0
    .wavefront_size: 32
    .workgroup_processor_mode: 1
  - .args:
      - .actual_access:  write_only
        .address_space:  global
        .offset:         0
        .size:           8
        .value_kind:     global_buffer
      - .actual_access:  write_only
        .address_space:  global
        .offset:         8
        .size:           8
        .value_kind:     global_buffer
      - .actual_access:  write_only
        .address_space:  global
        .offset:         16
        .size:           8
        .value_kind:     global_buffer
      - .actual_access:  read_only
        .address_space:  global
        .offset:         24
        .size:           8
        .value_kind:     global_buffer
      - .actual_access:  read_only
        .address_space:  global
        .offset:         32
        .size:           8
        .value_kind:     global_buffer
      - .actual_access:  read_only
        .address_space:  global
        .offset:         40
        .size:           8
        .value_kind:     global_buffer
      - .offset:         48
        .size:           4
        .value_kind:     by_value
      - .offset:         52
        .size:           4
        .value_kind:     by_value
      - .actual_access:  read_only
        .address_space:  global
        .offset:         56
        .size:           8
        .value_kind:     global_buffer
      - .actual_access:  read_only
        .address_space:  global
        .offset:         64
        .size:           8
        .value_kind:     global_buffer
      - .offset:         72
        .size:           4
        .value_kind:     by_value
      - .actual_access:  read_only
        .address_space:  global
        .offset:         80
        .size:           8
        .value_kind:     global_buffer
      - .offset:         88
        .size:           4
        .value_kind:     by_value
      - .offset:         92
        .size:           4
        .value_kind:     by_value
      - .offset:         96
        .size:           4
        .value_kind:     by_value
      - .address_space:  global
        .offset:         104
        .size:           8
        .value_kind:     global_buffer
      - .address_space:  global
        .offset:         112
        .size:           8
        .value_kind:     global_buffer
      - .offset:         120
        .size:           4
        .value_kind:     by_value
      - .offset:         124
        .size:           4
        .value_kind:     by_value
      - .offset:         128
        .size:           4
        .value_kind:     by_value
      - .offset:         132
        .size:           4
        .value_kind:     by_value
      - .offset:         136
        .size:           4
        .value_kind:     by_value
      - .offset:         144
        .size:           4
        .value_kind:     hidden_block_count_x
      - .offset:         148
        .size:           4
        .value_kind:     hidden_block_count_y
      - .offset:         152
        .size:           4
        .value_kind:     hidden_block_count_z
      - .offset:         156
        .size:           2
        .value_kind:     hidden_group_size_x
      - .offset:         158
        .size:           2
        .value_kind:     hidden_group_size_y
      - .offset:         160
        .size:           2
        .value_kind:     hidden_group_size_z
      - .offset:         162
        .size:           2
        .value_kind:     hidden_remainder_x
      - .offset:         164
        .size:           2
        .value_kind:     hidden_remainder_y
      - .offset:         166
        .size:           2
        .value_kind:     hidden_remainder_z
      - .offset:         184
        .size:           8
        .value_kind:     hidden_global_offset_x
      - .offset:         192
        .size:           8
        .value_kind:     hidden_global_offset_y
      - .offset:         200
        .size:           8
        .value_kind:     hidden_global_offset_z
      - .offset:         208
        .size:           2
        .value_kind:     hidden_grid_dims
      - .offset:         264
        .size:           4
        .value_kind:     hidden_dynamic_lds_size
    .group_segment_fixed_size: 192
    .kernarg_segment_align: 8
    .kernarg_segment_size: 400
    .language:       OpenCL C
    .language_version:
      - 2
      - 0
    .max_flat_workgroup_size: 1024
    .name:           _ZN4vllm25paged_attention_v2_kernelI14__hip_bfloat16hLi80ELi8ELi128ELNS_18Fp8KVCacheDataTypeE1ELb1ELi512EEEvPfS3_PT_PKS4_PKT0_SA_ifPKiSC_iPKfiiiSE_SE_iiiii
    .private_segment_fixed_size: 0
    .sgpr_count:     55
    .sgpr_spill_count: 0
    .symbol:         _ZN4vllm25paged_attention_v2_kernelI14__hip_bfloat16hLi80ELi8ELi128ELNS_18Fp8KVCacheDataTypeE1ELb1ELi512EEEvPfS3_PT_PKS4_PKT0_SA_ifPKiSC_iPKfiiiSE_SE_iiiii.kd
    .uniform_work_group_size: 1
    .uses_dynamic_stack: false
    .vgpr_count:     55
    .vgpr_spill_count: 0
    .wavefront_size: 32
    .workgroup_processor_mode: 1
  - .args:
      - .actual_access:  write_only
        .address_space:  global
        .offset:         0
        .size:           8
        .value_kind:     global_buffer
      - .actual_access:  write_only
        .address_space:  global
        .offset:         8
        .size:           8
        .value_kind:     global_buffer
      - .actual_access:  write_only
        .address_space:  global
        .offset:         16
        .size:           8
        .value_kind:     global_buffer
      - .actual_access:  read_only
        .address_space:  global
        .offset:         24
        .size:           8
        .value_kind:     global_buffer
      - .actual_access:  read_only
        .address_space:  global
        .offset:         32
        .size:           8
        .value_kind:     global_buffer
      - .actual_access:  read_only
        .address_space:  global
        .offset:         40
        .size:           8
        .value_kind:     global_buffer
      - .offset:         48
        .size:           4
        .value_kind:     by_value
      - .offset:         52
        .size:           4
        .value_kind:     by_value
      - .actual_access:  read_only
        .address_space:  global
        .offset:         56
        .size:           8
        .value_kind:     global_buffer
      - .actual_access:  read_only
        .address_space:  global
        .offset:         64
        .size:           8
        .value_kind:     global_buffer
      - .offset:         72
        .size:           4
        .value_kind:     by_value
      - .actual_access:  read_only
        .address_space:  global
        .offset:         80
        .size:           8
        .value_kind:     global_buffer
      - .offset:         88
        .size:           4
        .value_kind:     by_value
      - .offset:         92
        .size:           4
        .value_kind:     by_value
      - .offset:         96
        .size:           4
        .value_kind:     by_value
      - .address_space:  global
        .offset:         104
        .size:           8
        .value_kind:     global_buffer
      - .address_space:  global
        .offset:         112
        .size:           8
        .value_kind:     global_buffer
      - .offset:         120
        .size:           4
        .value_kind:     by_value
      - .offset:         124
        .size:           4
        .value_kind:     by_value
      - .offset:         128
        .size:           4
        .value_kind:     by_value
      - .offset:         132
        .size:           4
        .value_kind:     by_value
      - .offset:         136
        .size:           4
        .value_kind:     by_value
      - .offset:         144
        .size:           4
        .value_kind:     hidden_block_count_x
      - .offset:         148
        .size:           4
        .value_kind:     hidden_block_count_y
      - .offset:         152
        .size:           4
        .value_kind:     hidden_block_count_z
      - .offset:         156
        .size:           2
        .value_kind:     hidden_group_size_x
      - .offset:         158
        .size:           2
        .value_kind:     hidden_group_size_y
      - .offset:         160
        .size:           2
        .value_kind:     hidden_group_size_z
      - .offset:         162
        .size:           2
        .value_kind:     hidden_remainder_x
      - .offset:         164
        .size:           2
        .value_kind:     hidden_remainder_y
      - .offset:         166
        .size:           2
        .value_kind:     hidden_remainder_z
      - .offset:         184
        .size:           8
        .value_kind:     hidden_global_offset_x
      - .offset:         192
        .size:           8
        .value_kind:     hidden_global_offset_y
      - .offset:         200
        .size:           8
        .value_kind:     hidden_global_offset_z
      - .offset:         208
        .size:           2
        .value_kind:     hidden_grid_dims
      - .offset:         264
        .size:           4
        .value_kind:     hidden_dynamic_lds_size
    .group_segment_fixed_size: 224
    .kernarg_segment_align: 8
    .kernarg_segment_size: 400
    .language:       OpenCL C
    .language_version:
      - 2
      - 0
    .max_flat_workgroup_size: 1024
    .name:           _ZN4vllm25paged_attention_v2_kernelI14__hip_bfloat16hLi96ELi8ELi128ELNS_18Fp8KVCacheDataTypeE1ELb1ELi512EEEvPfS3_PT_PKS4_PKT0_SA_ifPKiSC_iPKfiiiSE_SE_iiiii
    .private_segment_fixed_size: 0
    .sgpr_count:     55
    .sgpr_spill_count: 0
    .symbol:         _ZN4vllm25paged_attention_v2_kernelI14__hip_bfloat16hLi96ELi8ELi128ELNS_18Fp8KVCacheDataTypeE1ELb1ELi512EEEvPfS3_PT_PKS4_PKT0_SA_ifPKiSC_iPKfiiiSE_SE_iiiii.kd
    .uniform_work_group_size: 1
    .uses_dynamic_stack: false
    .vgpr_count:     61
    .vgpr_spill_count: 0
    .wavefront_size: 32
    .workgroup_processor_mode: 1
  - .args:
      - .actual_access:  write_only
        .address_space:  global
        .offset:         0
        .size:           8
        .value_kind:     global_buffer
      - .actual_access:  write_only
        .address_space:  global
        .offset:         8
        .size:           8
        .value_kind:     global_buffer
      - .actual_access:  write_only
        .address_space:  global
        .offset:         16
        .size:           8
        .value_kind:     global_buffer
      - .actual_access:  read_only
        .address_space:  global
        .offset:         24
        .size:           8
        .value_kind:     global_buffer
      - .actual_access:  read_only
        .address_space:  global
        .offset:         32
        .size:           8
        .value_kind:     global_buffer
      - .actual_access:  read_only
        .address_space:  global
        .offset:         40
        .size:           8
        .value_kind:     global_buffer
      - .offset:         48
        .size:           4
        .value_kind:     by_value
      - .offset:         52
        .size:           4
        .value_kind:     by_value
      - .actual_access:  read_only
        .address_space:  global
        .offset:         56
        .size:           8
        .value_kind:     global_buffer
      - .actual_access:  read_only
        .address_space:  global
        .offset:         64
        .size:           8
        .value_kind:     global_buffer
      - .offset:         72
        .size:           4
        .value_kind:     by_value
      - .actual_access:  read_only
        .address_space:  global
        .offset:         80
        .size:           8
        .value_kind:     global_buffer
      - .offset:         88
        .size:           4
        .value_kind:     by_value
      - .offset:         92
        .size:           4
        .value_kind:     by_value
      - .offset:         96
        .size:           4
        .value_kind:     by_value
      - .address_space:  global
        .offset:         104
        .size:           8
        .value_kind:     global_buffer
      - .address_space:  global
        .offset:         112
        .size:           8
        .value_kind:     global_buffer
      - .offset:         120
        .size:           4
        .value_kind:     by_value
      - .offset:         124
        .size:           4
        .value_kind:     by_value
      - .offset:         128
        .size:           4
        .value_kind:     by_value
      - .offset:         132
        .size:           4
        .value_kind:     by_value
      - .offset:         136
        .size:           4
        .value_kind:     by_value
      - .offset:         144
        .size:           4
        .value_kind:     hidden_block_count_x
      - .offset:         148
        .size:           4
        .value_kind:     hidden_block_count_y
      - .offset:         152
        .size:           4
        .value_kind:     hidden_block_count_z
      - .offset:         156
        .size:           2
        .value_kind:     hidden_group_size_x
      - .offset:         158
        .size:           2
        .value_kind:     hidden_group_size_y
      - .offset:         160
        .size:           2
        .value_kind:     hidden_group_size_z
      - .offset:         162
        .size:           2
        .value_kind:     hidden_remainder_x
      - .offset:         164
        .size:           2
        .value_kind:     hidden_remainder_y
      - .offset:         166
        .size:           2
        .value_kind:     hidden_remainder_z
      - .offset:         184
        .size:           8
        .value_kind:     hidden_global_offset_x
      - .offset:         192
        .size:           8
        .value_kind:     hidden_global_offset_y
      - .offset:         200
        .size:           8
        .value_kind:     hidden_global_offset_z
      - .offset:         208
        .size:           2
        .value_kind:     hidden_grid_dims
      - .offset:         264
        .size:           4
        .value_kind:     hidden_dynamic_lds_size
    .group_segment_fixed_size: 256
    .kernarg_segment_align: 8
    .kernarg_segment_size: 400
    .language:       OpenCL C
    .language_version:
      - 2
      - 0
    .max_flat_workgroup_size: 1024
    .name:           _ZN4vllm25paged_attention_v2_kernelI14__hip_bfloat16hLi112ELi8ELi128ELNS_18Fp8KVCacheDataTypeE1ELb1ELi512EEEvPfS3_PT_PKS4_PKT0_SA_ifPKiSC_iPKfiiiSE_SE_iiiii
    .private_segment_fixed_size: 0
    .sgpr_count:     55
    .sgpr_spill_count: 0
    .symbol:         _ZN4vllm25paged_attention_v2_kernelI14__hip_bfloat16hLi112ELi8ELi128ELNS_18Fp8KVCacheDataTypeE1ELb1ELi512EEEvPfS3_PT_PKS4_PKT0_SA_ifPKiSC_iPKfiiiSE_SE_iiiii.kd
    .uniform_work_group_size: 1
    .uses_dynamic_stack: false
    .vgpr_count:     67
    .vgpr_spill_count: 0
    .wavefront_size: 32
    .workgroup_processor_mode: 1
  - .args:
      - .actual_access:  write_only
        .address_space:  global
        .offset:         0
        .size:           8
        .value_kind:     global_buffer
      - .actual_access:  write_only
        .address_space:  global
        .offset:         8
        .size:           8
        .value_kind:     global_buffer
      - .actual_access:  write_only
        .address_space:  global
        .offset:         16
        .size:           8
        .value_kind:     global_buffer
      - .actual_access:  read_only
        .address_space:  global
        .offset:         24
        .size:           8
        .value_kind:     global_buffer
      - .actual_access:  read_only
        .address_space:  global
        .offset:         32
        .size:           8
        .value_kind:     global_buffer
      - .actual_access:  read_only
        .address_space:  global
        .offset:         40
        .size:           8
        .value_kind:     global_buffer
      - .offset:         48
        .size:           4
        .value_kind:     by_value
      - .offset:         52
        .size:           4
        .value_kind:     by_value
      - .actual_access:  read_only
        .address_space:  global
        .offset:         56
        .size:           8
        .value_kind:     global_buffer
      - .actual_access:  read_only
        .address_space:  global
        .offset:         64
        .size:           8
        .value_kind:     global_buffer
      - .offset:         72
        .size:           4
        .value_kind:     by_value
      - .address_space:  global
        .offset:         80
        .size:           8
        .value_kind:     global_buffer
      - .offset:         88
        .size:           4
        .value_kind:     by_value
      - .offset:         92
        .size:           4
        .value_kind:     by_value
      - .offset:         96
        .size:           4
        .value_kind:     by_value
      - .address_space:  global
        .offset:         104
        .size:           8
        .value_kind:     global_buffer
      - .address_space:  global
        .offset:         112
        .size:           8
        .value_kind:     global_buffer
      - .offset:         120
        .size:           4
        .value_kind:     by_value
      - .offset:         124
        .size:           4
        .value_kind:     by_value
      - .offset:         128
        .size:           4
        .value_kind:     by_value
      - .offset:         132
        .size:           4
        .value_kind:     by_value
      - .offset:         136
        .size:           4
        .value_kind:     by_value
      - .offset:         144
        .size:           4
        .value_kind:     hidden_block_count_x
      - .offset:         148
        .size:           4
        .value_kind:     hidden_block_count_y
      - .offset:         152
        .size:           4
        .value_kind:     hidden_block_count_z
      - .offset:         156
        .size:           2
        .value_kind:     hidden_group_size_x
      - .offset:         158
        .size:           2
        .value_kind:     hidden_group_size_y
      - .offset:         160
        .size:           2
        .value_kind:     hidden_group_size_z
      - .offset:         162
        .size:           2
        .value_kind:     hidden_remainder_x
      - .offset:         164
        .size:           2
        .value_kind:     hidden_remainder_y
      - .offset:         166
        .size:           2
        .value_kind:     hidden_remainder_z
      - .offset:         184
        .size:           8
        .value_kind:     hidden_global_offset_x
      - .offset:         192
        .size:           8
        .value_kind:     hidden_global_offset_y
      - .offset:         200
        .size:           8
        .value_kind:     hidden_global_offset_z
      - .offset:         208
        .size:           2
        .value_kind:     hidden_grid_dims
      - .offset:         264
        .size:           4
        .value_kind:     hidden_dynamic_lds_size
    .group_segment_fixed_size: 272
    .kernarg_segment_align: 8
    .kernarg_segment_size: 400
    .language:       OpenCL C
    .language_version:
      - 2
      - 0
    .max_flat_workgroup_size: 1024
    .name:           _ZN4vllm25paged_attention_v2_kernelI14__hip_bfloat16hLi120ELi8ELi128ELNS_18Fp8KVCacheDataTypeE1ELb1ELi512EEEvPfS3_PT_PKS4_PKT0_SA_ifPKiSC_iPKfiiiSE_SE_iiiii
    .private_segment_fixed_size: 12
    .sgpr_count:     46
    .sgpr_spill_count: 0
    .symbol:         _ZN4vllm25paged_attention_v2_kernelI14__hip_bfloat16hLi120ELi8ELi128ELNS_18Fp8KVCacheDataTypeE1ELb1ELi512EEEvPfS3_PT_PKS4_PKT0_SA_ifPKiSC_iPKfiiiSE_SE_iiiii.kd
    .uniform_work_group_size: 1
    .uses_dynamic_stack: false
    .vgpr_count:     167
    .vgpr_spill_count: 0
    .wavefront_size: 32
    .workgroup_processor_mode: 1
  - .args:
      - .actual_access:  write_only
        .address_space:  global
        .offset:         0
        .size:           8
        .value_kind:     global_buffer
      - .actual_access:  write_only
        .address_space:  global
        .offset:         8
        .size:           8
        .value_kind:     global_buffer
      - .actual_access:  write_only
        .address_space:  global
        .offset:         16
        .size:           8
        .value_kind:     global_buffer
      - .actual_access:  read_only
        .address_space:  global
        .offset:         24
        .size:           8
        .value_kind:     global_buffer
      - .actual_access:  read_only
        .address_space:  global
        .offset:         32
        .size:           8
        .value_kind:     global_buffer
      - .actual_access:  read_only
        .address_space:  global
        .offset:         40
        .size:           8
        .value_kind:     global_buffer
      - .offset:         48
        .size:           4
        .value_kind:     by_value
      - .offset:         52
        .size:           4
        .value_kind:     by_value
      - .actual_access:  read_only
        .address_space:  global
        .offset:         56
        .size:           8
        .value_kind:     global_buffer
      - .actual_access:  read_only
        .address_space:  global
        .offset:         64
        .size:           8
        .value_kind:     global_buffer
      - .offset:         72
        .size:           4
        .value_kind:     by_value
      - .address_space:  global
        .offset:         80
        .size:           8
        .value_kind:     global_buffer
      - .offset:         88
        .size:           4
        .value_kind:     by_value
      - .offset:         92
        .size:           4
        .value_kind:     by_value
      - .offset:         96
        .size:           4
        .value_kind:     by_value
      - .address_space:  global
        .offset:         104
        .size:           8
        .value_kind:     global_buffer
      - .address_space:  global
        .offset:         112
        .size:           8
        .value_kind:     global_buffer
      - .offset:         120
        .size:           4
        .value_kind:     by_value
      - .offset:         124
        .size:           4
        .value_kind:     by_value
      - .offset:         128
        .size:           4
        .value_kind:     by_value
      - .offset:         132
        .size:           4
        .value_kind:     by_value
      - .offset:         136
        .size:           4
        .value_kind:     by_value
      - .offset:         144
        .size:           4
        .value_kind:     hidden_block_count_x
      - .offset:         148
        .size:           4
        .value_kind:     hidden_block_count_y
      - .offset:         152
        .size:           4
        .value_kind:     hidden_block_count_z
      - .offset:         156
        .size:           2
        .value_kind:     hidden_group_size_x
      - .offset:         158
        .size:           2
        .value_kind:     hidden_group_size_y
      - .offset:         160
        .size:           2
        .value_kind:     hidden_group_size_z
      - .offset:         162
        .size:           2
        .value_kind:     hidden_remainder_x
      - .offset:         164
        .size:           2
        .value_kind:     hidden_remainder_y
      - .offset:         166
        .size:           2
        .value_kind:     hidden_remainder_z
      - .offset:         184
        .size:           8
        .value_kind:     hidden_global_offset_x
      - .offset:         192
        .size:           8
        .value_kind:     hidden_global_offset_y
      - .offset:         200
        .size:           8
        .value_kind:     hidden_global_offset_z
      - .offset:         208
        .size:           2
        .value_kind:     hidden_grid_dims
      - .offset:         264
        .size:           4
        .value_kind:     hidden_dynamic_lds_size
    .group_segment_fixed_size: 288
    .kernarg_segment_align: 8
    .kernarg_segment_size: 400
    .language:       OpenCL C
    .language_version:
      - 2
      - 0
    .max_flat_workgroup_size: 1024
    .name:           _ZN4vllm25paged_attention_v2_kernelI14__hip_bfloat16hLi128ELi8ELi128ELNS_18Fp8KVCacheDataTypeE1ELb1ELi512EEEvPfS3_PT_PKS4_PKT0_SA_ifPKiSC_iPKfiiiSE_SE_iiiii
    .private_segment_fixed_size: 12
    .sgpr_count:     46
    .sgpr_spill_count: 0
    .symbol:         _ZN4vllm25paged_attention_v2_kernelI14__hip_bfloat16hLi128ELi8ELi128ELNS_18Fp8KVCacheDataTypeE1ELb1ELi512EEEvPfS3_PT_PKS4_PKT0_SA_ifPKiSC_iPKfiiiSE_SE_iiiii.kd
    .uniform_work_group_size: 1
    .uses_dynamic_stack: false
    .vgpr_count:     179
    .vgpr_spill_count: 0
    .wavefront_size: 32
    .workgroup_processor_mode: 1
  - .args:
      - .actual_access:  write_only
        .address_space:  global
        .offset:         0
        .size:           8
        .value_kind:     global_buffer
      - .actual_access:  write_only
        .address_space:  global
        .offset:         8
        .size:           8
        .value_kind:     global_buffer
      - .actual_access:  write_only
        .address_space:  global
        .offset:         16
        .size:           8
        .value_kind:     global_buffer
      - .actual_access:  read_only
        .address_space:  global
        .offset:         24
        .size:           8
        .value_kind:     global_buffer
      - .actual_access:  read_only
        .address_space:  global
        .offset:         32
        .size:           8
        .value_kind:     global_buffer
      - .actual_access:  read_only
        .address_space:  global
        .offset:         40
        .size:           8
        .value_kind:     global_buffer
      - .offset:         48
        .size:           4
        .value_kind:     by_value
      - .offset:         52
        .size:           4
        .value_kind:     by_value
      - .actual_access:  read_only
        .address_space:  global
        .offset:         56
        .size:           8
        .value_kind:     global_buffer
      - .actual_access:  read_only
        .address_space:  global
        .offset:         64
        .size:           8
        .value_kind:     global_buffer
      - .offset:         72
        .size:           4
        .value_kind:     by_value
      - .address_space:  global
        .offset:         80
        .size:           8
        .value_kind:     global_buffer
      - .offset:         88
        .size:           4
        .value_kind:     by_value
      - .offset:         92
        .size:           4
        .value_kind:     by_value
      - .offset:         96
        .size:           4
        .value_kind:     by_value
      - .address_space:  global
        .offset:         104
        .size:           8
        .value_kind:     global_buffer
      - .address_space:  global
        .offset:         112
        .size:           8
        .value_kind:     global_buffer
      - .offset:         120
        .size:           4
        .value_kind:     by_value
      - .offset:         124
        .size:           4
        .value_kind:     by_value
      - .offset:         128
        .size:           4
        .value_kind:     by_value
      - .offset:         132
        .size:           4
        .value_kind:     by_value
      - .offset:         136
        .size:           4
        .value_kind:     by_value
      - .offset:         144
        .size:           4
        .value_kind:     hidden_block_count_x
      - .offset:         148
        .size:           4
        .value_kind:     hidden_block_count_y
      - .offset:         152
        .size:           4
        .value_kind:     hidden_block_count_z
      - .offset:         156
        .size:           2
        .value_kind:     hidden_group_size_x
      - .offset:         158
        .size:           2
        .value_kind:     hidden_group_size_y
      - .offset:         160
        .size:           2
        .value_kind:     hidden_group_size_z
      - .offset:         162
        .size:           2
        .value_kind:     hidden_remainder_x
      - .offset:         164
        .size:           2
        .value_kind:     hidden_remainder_y
      - .offset:         166
        .size:           2
        .value_kind:     hidden_remainder_z
      - .offset:         184
        .size:           8
        .value_kind:     hidden_global_offset_x
      - .offset:         192
        .size:           8
        .value_kind:     hidden_global_offset_y
      - .offset:         200
        .size:           8
        .value_kind:     hidden_global_offset_z
      - .offset:         208
        .size:           2
        .value_kind:     hidden_grid_dims
      - .offset:         264
        .size:           4
        .value_kind:     hidden_dynamic_lds_size
    .group_segment_fixed_size: 416
    .kernarg_segment_align: 8
    .kernarg_segment_size: 400
    .language:       OpenCL C
    .language_version:
      - 2
      - 0
    .max_flat_workgroup_size: 1024
    .name:           _ZN4vllm25paged_attention_v2_kernelI14__hip_bfloat16hLi192ELi8ELi128ELNS_18Fp8KVCacheDataTypeE1ELb1ELi512EEEvPfS3_PT_PKS4_PKT0_SA_ifPKiSC_iPKfiiiSE_SE_iiiii
    .private_segment_fixed_size: 88
    .sgpr_count:     46
    .sgpr_spill_count: 0
    .symbol:         _ZN4vllm25paged_attention_v2_kernelI14__hip_bfloat16hLi192ELi8ELi128ELNS_18Fp8KVCacheDataTypeE1ELb1ELi512EEEvPfS3_PT_PKS4_PKT0_SA_ifPKiSC_iPKfiiiSE_SE_iiiii.kd
    .uniform_work_group_size: 1
    .uses_dynamic_stack: false
    .vgpr_count:     184
    .vgpr_spill_count: 0
    .wavefront_size: 32
    .workgroup_processor_mode: 1
  - .args:
      - .actual_access:  write_only
        .address_space:  global
        .offset:         0
        .size:           8
        .value_kind:     global_buffer
      - .actual_access:  write_only
        .address_space:  global
        .offset:         8
        .size:           8
        .value_kind:     global_buffer
      - .actual_access:  write_only
        .address_space:  global
        .offset:         16
        .size:           8
        .value_kind:     global_buffer
      - .actual_access:  read_only
        .address_space:  global
        .offset:         24
        .size:           8
        .value_kind:     global_buffer
      - .actual_access:  read_only
        .address_space:  global
        .offset:         32
        .size:           8
        .value_kind:     global_buffer
      - .actual_access:  read_only
        .address_space:  global
        .offset:         40
        .size:           8
        .value_kind:     global_buffer
      - .offset:         48
        .size:           4
        .value_kind:     by_value
      - .offset:         52
        .size:           4
        .value_kind:     by_value
      - .actual_access:  read_only
        .address_space:  global
        .offset:         56
        .size:           8
        .value_kind:     global_buffer
      - .actual_access:  read_only
        .address_space:  global
        .offset:         64
        .size:           8
        .value_kind:     global_buffer
      - .offset:         72
        .size:           4
        .value_kind:     by_value
      - .address_space:  global
        .offset:         80
        .size:           8
        .value_kind:     global_buffer
      - .offset:         88
        .size:           4
        .value_kind:     by_value
      - .offset:         92
        .size:           4
        .value_kind:     by_value
      - .offset:         96
        .size:           4
        .value_kind:     by_value
      - .address_space:  global
        .offset:         104
        .size:           8
        .value_kind:     global_buffer
      - .address_space:  global
        .offset:         112
        .size:           8
        .value_kind:     global_buffer
      - .offset:         120
        .size:           4
        .value_kind:     by_value
      - .offset:         124
        .size:           4
        .value_kind:     by_value
      - .offset:         128
        .size:           4
        .value_kind:     by_value
      - .offset:         132
        .size:           4
        .value_kind:     by_value
      - .offset:         136
        .size:           4
        .value_kind:     by_value
      - .offset:         144
        .size:           4
        .value_kind:     hidden_block_count_x
      - .offset:         148
        .size:           4
        .value_kind:     hidden_block_count_y
      - .offset:         152
        .size:           4
        .value_kind:     hidden_block_count_z
      - .offset:         156
        .size:           2
        .value_kind:     hidden_group_size_x
      - .offset:         158
        .size:           2
        .value_kind:     hidden_group_size_y
      - .offset:         160
        .size:           2
        .value_kind:     hidden_group_size_z
      - .offset:         162
        .size:           2
        .value_kind:     hidden_remainder_x
      - .offset:         164
        .size:           2
        .value_kind:     hidden_remainder_y
      - .offset:         166
        .size:           2
        .value_kind:     hidden_remainder_z
      - .offset:         184
        .size:           8
        .value_kind:     hidden_global_offset_x
      - .offset:         192
        .size:           8
        .value_kind:     hidden_global_offset_y
      - .offset:         200
        .size:           8
        .value_kind:     hidden_global_offset_z
      - .offset:         208
        .size:           2
        .value_kind:     hidden_grid_dims
      - .offset:         264
        .size:           4
        .value_kind:     hidden_dynamic_lds_size
    .group_segment_fixed_size: 544
    .kernarg_segment_align: 8
    .kernarg_segment_size: 400
    .language:       OpenCL C
    .language_version:
      - 2
      - 0
    .max_flat_workgroup_size: 1024
    .name:           _ZN4vllm25paged_attention_v2_kernelI14__hip_bfloat16hLi256ELi8ELi128ELNS_18Fp8KVCacheDataTypeE1ELb1ELi512EEEvPfS3_PT_PKS4_PKT0_SA_ifPKiSC_iPKfiiiSE_SE_iiiii
    .private_segment_fixed_size: 156
    .sgpr_count:     46
    .sgpr_spill_count: 0
    .symbol:         _ZN4vllm25paged_attention_v2_kernelI14__hip_bfloat16hLi256ELi8ELi128ELNS_18Fp8KVCacheDataTypeE1ELb1ELi512EEEvPfS3_PT_PKS4_PKT0_SA_ifPKiSC_iPKfiiiSE_SE_iiiii.kd
    .uniform_work_group_size: 1
    .uses_dynamic_stack: false
    .vgpr_count:     184
    .vgpr_spill_count: 0
    .wavefront_size: 32
    .workgroup_processor_mode: 1
  - .args:
      - .actual_access:  write_only
        .address_space:  global
        .offset:         0
        .size:           8
        .value_kind:     global_buffer
      - .actual_access:  write_only
        .address_space:  global
        .offset:         8
        .size:           8
        .value_kind:     global_buffer
      - .actual_access:  write_only
        .address_space:  global
        .offset:         16
        .size:           8
        .value_kind:     global_buffer
      - .actual_access:  read_only
        .address_space:  global
        .offset:         24
        .size:           8
        .value_kind:     global_buffer
      - .actual_access:  read_only
        .address_space:  global
        .offset:         32
        .size:           8
        .value_kind:     global_buffer
      - .actual_access:  read_only
        .address_space:  global
        .offset:         40
        .size:           8
        .value_kind:     global_buffer
      - .offset:         48
        .size:           4
        .value_kind:     by_value
      - .offset:         52
        .size:           4
        .value_kind:     by_value
      - .actual_access:  read_only
        .address_space:  global
        .offset:         56
        .size:           8
        .value_kind:     global_buffer
      - .actual_access:  read_only
        .address_space:  global
        .offset:         64
        .size:           8
        .value_kind:     global_buffer
      - .offset:         72
        .size:           4
        .value_kind:     by_value
      - .actual_access:  read_only
        .address_space:  global
        .offset:         80
        .size:           8
        .value_kind:     global_buffer
      - .offset:         88
        .size:           4
        .value_kind:     by_value
      - .offset:         92
        .size:           4
        .value_kind:     by_value
      - .offset:         96
        .size:           4
        .value_kind:     by_value
      - .address_space:  global
        .offset:         104
        .size:           8
        .value_kind:     global_buffer
      - .address_space:  global
        .offset:         112
        .size:           8
        .value_kind:     global_buffer
      - .offset:         120
        .size:           4
        .value_kind:     by_value
      - .offset:         124
        .size:           4
        .value_kind:     by_value
      - .offset:         128
        .size:           4
        .value_kind:     by_value
      - .offset:         132
        .size:           4
        .value_kind:     by_value
      - .offset:         136
        .size:           4
        .value_kind:     by_value
      - .offset:         144
        .size:           4
        .value_kind:     hidden_block_count_x
      - .offset:         148
        .size:           4
        .value_kind:     hidden_block_count_y
      - .offset:         152
        .size:           4
        .value_kind:     hidden_block_count_z
      - .offset:         156
        .size:           2
        .value_kind:     hidden_group_size_x
      - .offset:         158
        .size:           2
        .value_kind:     hidden_group_size_y
      - .offset:         160
        .size:           2
        .value_kind:     hidden_group_size_z
      - .offset:         162
        .size:           2
        .value_kind:     hidden_remainder_x
      - .offset:         164
        .size:           2
        .value_kind:     hidden_remainder_y
      - .offset:         166
        .size:           2
        .value_kind:     hidden_remainder_z
      - .offset:         184
        .size:           8
        .value_kind:     hidden_global_offset_x
      - .offset:         192
        .size:           8
        .value_kind:     hidden_global_offset_y
      - .offset:         200
        .size:           8
        .value_kind:     hidden_global_offset_z
      - .offset:         208
        .size:           2
        .value_kind:     hidden_grid_dims
      - .offset:         264
        .size:           4
        .value_kind:     hidden_dynamic_lds_size
    .group_segment_fixed_size: 96
    .kernarg_segment_align: 8
    .kernarg_segment_size: 400
    .language:       OpenCL C
    .language_version:
      - 2
      - 0
    .max_flat_workgroup_size: 1024
    .name:           _ZN4vllm25paged_attention_v2_kernelI14__hip_bfloat16hLi32ELi8ELi128ELNS_18Fp8KVCacheDataTypeE1ELb0ELi512EEEvPfS3_PT_PKS4_PKT0_SA_ifPKiSC_iPKfiiiSE_SE_iiiii
    .private_segment_fixed_size: 0
    .sgpr_count:     44
    .sgpr_spill_count: 0
    .symbol:         _ZN4vllm25paged_attention_v2_kernelI14__hip_bfloat16hLi32ELi8ELi128ELNS_18Fp8KVCacheDataTypeE1ELb0ELi512EEEvPfS3_PT_PKS4_PKT0_SA_ifPKiSC_iPKfiiiSE_SE_iiiii.kd
    .uniform_work_group_size: 1
    .uses_dynamic_stack: false
    .vgpr_count:     39
    .vgpr_spill_count: 0
    .wavefront_size: 32
    .workgroup_processor_mode: 1
  - .args:
      - .actual_access:  write_only
        .address_space:  global
        .offset:         0
        .size:           8
        .value_kind:     global_buffer
      - .actual_access:  write_only
        .address_space:  global
        .offset:         8
        .size:           8
        .value_kind:     global_buffer
      - .actual_access:  write_only
        .address_space:  global
        .offset:         16
        .size:           8
        .value_kind:     global_buffer
      - .actual_access:  read_only
        .address_space:  global
        .offset:         24
        .size:           8
        .value_kind:     global_buffer
      - .actual_access:  read_only
        .address_space:  global
        .offset:         32
        .size:           8
        .value_kind:     global_buffer
      - .actual_access:  read_only
        .address_space:  global
        .offset:         40
        .size:           8
        .value_kind:     global_buffer
      - .offset:         48
        .size:           4
        .value_kind:     by_value
      - .offset:         52
        .size:           4
        .value_kind:     by_value
      - .actual_access:  read_only
        .address_space:  global
        .offset:         56
        .size:           8
        .value_kind:     global_buffer
      - .actual_access:  read_only
        .address_space:  global
        .offset:         64
        .size:           8
        .value_kind:     global_buffer
      - .offset:         72
        .size:           4
        .value_kind:     by_value
      - .actual_access:  read_only
        .address_space:  global
        .offset:         80
        .size:           8
        .value_kind:     global_buffer
      - .offset:         88
        .size:           4
        .value_kind:     by_value
      - .offset:         92
        .size:           4
        .value_kind:     by_value
      - .offset:         96
        .size:           4
        .value_kind:     by_value
      - .address_space:  global
        .offset:         104
        .size:           8
        .value_kind:     global_buffer
      - .address_space:  global
        .offset:         112
        .size:           8
        .value_kind:     global_buffer
      - .offset:         120
        .size:           4
        .value_kind:     by_value
      - .offset:         124
        .size:           4
        .value_kind:     by_value
      - .offset:         128
        .size:           4
        .value_kind:     by_value
      - .offset:         132
        .size:           4
        .value_kind:     by_value
      - .offset:         136
        .size:           4
        .value_kind:     by_value
      - .offset:         144
        .size:           4
        .value_kind:     hidden_block_count_x
      - .offset:         148
        .size:           4
        .value_kind:     hidden_block_count_y
      - .offset:         152
        .size:           4
        .value_kind:     hidden_block_count_z
      - .offset:         156
        .size:           2
        .value_kind:     hidden_group_size_x
      - .offset:         158
        .size:           2
        .value_kind:     hidden_group_size_y
      - .offset:         160
        .size:           2
        .value_kind:     hidden_group_size_z
      - .offset:         162
        .size:           2
        .value_kind:     hidden_remainder_x
      - .offset:         164
        .size:           2
        .value_kind:     hidden_remainder_y
      - .offset:         166
        .size:           2
        .value_kind:     hidden_remainder_z
      - .offset:         184
        .size:           8
        .value_kind:     hidden_global_offset_x
      - .offset:         192
        .size:           8
        .value_kind:     hidden_global_offset_y
      - .offset:         200
        .size:           8
        .value_kind:     hidden_global_offset_z
      - .offset:         208
        .size:           2
        .value_kind:     hidden_grid_dims
      - .offset:         264
        .size:           4
        .value_kind:     hidden_dynamic_lds_size
    .group_segment_fixed_size: 160
    .kernarg_segment_align: 8
    .kernarg_segment_size: 400
    .language:       OpenCL C
    .language_version:
      - 2
      - 0
    .max_flat_workgroup_size: 1024
    .name:           _ZN4vllm25paged_attention_v2_kernelI14__hip_bfloat16hLi64ELi8ELi128ELNS_18Fp8KVCacheDataTypeE1ELb0ELi512EEEvPfS3_PT_PKS4_PKT0_SA_ifPKiSC_iPKfiiiSE_SE_iiiii
    .private_segment_fixed_size: 0
    .sgpr_count:     45
    .sgpr_spill_count: 0
    .symbol:         _ZN4vllm25paged_attention_v2_kernelI14__hip_bfloat16hLi64ELi8ELi128ELNS_18Fp8KVCacheDataTypeE1ELb0ELi512EEEvPfS3_PT_PKS4_PKT0_SA_ifPKiSC_iPKfiiiSE_SE_iiiii.kd
    .uniform_work_group_size: 1
    .uses_dynamic_stack: false
    .vgpr_count:     55
    .vgpr_spill_count: 0
    .wavefront_size: 32
    .workgroup_processor_mode: 1
  - .args:
      - .actual_access:  write_only
        .address_space:  global
        .offset:         0
        .size:           8
        .value_kind:     global_buffer
      - .actual_access:  write_only
        .address_space:  global
        .offset:         8
        .size:           8
        .value_kind:     global_buffer
      - .actual_access:  write_only
        .address_space:  global
        .offset:         16
        .size:           8
        .value_kind:     global_buffer
      - .actual_access:  read_only
        .address_space:  global
        .offset:         24
        .size:           8
        .value_kind:     global_buffer
      - .actual_access:  read_only
        .address_space:  global
        .offset:         32
        .size:           8
        .value_kind:     global_buffer
      - .actual_access:  read_only
        .address_space:  global
        .offset:         40
        .size:           8
        .value_kind:     global_buffer
      - .offset:         48
        .size:           4
        .value_kind:     by_value
      - .offset:         52
        .size:           4
        .value_kind:     by_value
      - .actual_access:  read_only
        .address_space:  global
        .offset:         56
        .size:           8
        .value_kind:     global_buffer
      - .actual_access:  read_only
        .address_space:  global
        .offset:         64
        .size:           8
        .value_kind:     global_buffer
      - .offset:         72
        .size:           4
        .value_kind:     by_value
      - .actual_access:  read_only
        .address_space:  global
        .offset:         80
        .size:           8
        .value_kind:     global_buffer
      - .offset:         88
        .size:           4
        .value_kind:     by_value
      - .offset:         92
        .size:           4
        .value_kind:     by_value
      - .offset:         96
        .size:           4
        .value_kind:     by_value
      - .address_space:  global
        .offset:         104
        .size:           8
        .value_kind:     global_buffer
      - .address_space:  global
        .offset:         112
        .size:           8
        .value_kind:     global_buffer
      - .offset:         120
        .size:           4
        .value_kind:     by_value
      - .offset:         124
        .size:           4
        .value_kind:     by_value
      - .offset:         128
        .size:           4
        .value_kind:     by_value
      - .offset:         132
        .size:           4
        .value_kind:     by_value
      - .offset:         136
        .size:           4
        .value_kind:     by_value
      - .offset:         144
        .size:           4
        .value_kind:     hidden_block_count_x
      - .offset:         148
        .size:           4
        .value_kind:     hidden_block_count_y
      - .offset:         152
        .size:           4
        .value_kind:     hidden_block_count_z
      - .offset:         156
        .size:           2
        .value_kind:     hidden_group_size_x
      - .offset:         158
        .size:           2
        .value_kind:     hidden_group_size_y
      - .offset:         160
        .size:           2
        .value_kind:     hidden_group_size_z
      - .offset:         162
        .size:           2
        .value_kind:     hidden_remainder_x
      - .offset:         164
        .size:           2
        .value_kind:     hidden_remainder_y
      - .offset:         166
        .size:           2
        .value_kind:     hidden_remainder_z
      - .offset:         184
        .size:           8
        .value_kind:     hidden_global_offset_x
      - .offset:         192
        .size:           8
        .value_kind:     hidden_global_offset_y
      - .offset:         200
        .size:           8
        .value_kind:     hidden_global_offset_z
      - .offset:         208
        .size:           2
        .value_kind:     hidden_grid_dims
      - .offset:         264
        .size:           4
        .value_kind:     hidden_dynamic_lds_size
    .group_segment_fixed_size: 192
    .kernarg_segment_align: 8
    .kernarg_segment_size: 400
    .language:       OpenCL C
    .language_version:
      - 2
      - 0
    .max_flat_workgroup_size: 1024
    .name:           _ZN4vllm25paged_attention_v2_kernelI14__hip_bfloat16hLi80ELi8ELi128ELNS_18Fp8KVCacheDataTypeE1ELb0ELi512EEEvPfS3_PT_PKS4_PKT0_SA_ifPKiSC_iPKfiiiSE_SE_iiiii
    .private_segment_fixed_size: 0
    .sgpr_count:     44
    .sgpr_spill_count: 0
    .symbol:         _ZN4vllm25paged_attention_v2_kernelI14__hip_bfloat16hLi80ELi8ELi128ELNS_18Fp8KVCacheDataTypeE1ELb0ELi512EEEvPfS3_PT_PKS4_PKT0_SA_ifPKiSC_iPKfiiiSE_SE_iiiii.kd
    .uniform_work_group_size: 1
    .uses_dynamic_stack: false
    .vgpr_count:     63
    .vgpr_spill_count: 0
    .wavefront_size: 32
    .workgroup_processor_mode: 1
  - .args:
      - .actual_access:  write_only
        .address_space:  global
        .offset:         0
        .size:           8
        .value_kind:     global_buffer
      - .actual_access:  write_only
        .address_space:  global
        .offset:         8
        .size:           8
        .value_kind:     global_buffer
      - .actual_access:  write_only
        .address_space:  global
        .offset:         16
        .size:           8
        .value_kind:     global_buffer
      - .actual_access:  read_only
        .address_space:  global
        .offset:         24
        .size:           8
        .value_kind:     global_buffer
      - .actual_access:  read_only
        .address_space:  global
        .offset:         32
        .size:           8
        .value_kind:     global_buffer
      - .actual_access:  read_only
        .address_space:  global
        .offset:         40
        .size:           8
        .value_kind:     global_buffer
      - .offset:         48
        .size:           4
        .value_kind:     by_value
      - .offset:         52
        .size:           4
        .value_kind:     by_value
      - .actual_access:  read_only
        .address_space:  global
        .offset:         56
        .size:           8
        .value_kind:     global_buffer
      - .actual_access:  read_only
        .address_space:  global
        .offset:         64
        .size:           8
        .value_kind:     global_buffer
      - .offset:         72
        .size:           4
        .value_kind:     by_value
      - .actual_access:  read_only
        .address_space:  global
        .offset:         80
        .size:           8
        .value_kind:     global_buffer
      - .offset:         88
        .size:           4
        .value_kind:     by_value
      - .offset:         92
        .size:           4
        .value_kind:     by_value
      - .offset:         96
        .size:           4
        .value_kind:     by_value
      - .address_space:  global
        .offset:         104
        .size:           8
        .value_kind:     global_buffer
      - .address_space:  global
        .offset:         112
        .size:           8
        .value_kind:     global_buffer
      - .offset:         120
        .size:           4
        .value_kind:     by_value
      - .offset:         124
        .size:           4
        .value_kind:     by_value
      - .offset:         128
        .size:           4
        .value_kind:     by_value
      - .offset:         132
        .size:           4
        .value_kind:     by_value
      - .offset:         136
        .size:           4
        .value_kind:     by_value
      - .offset:         144
        .size:           4
        .value_kind:     hidden_block_count_x
      - .offset:         148
        .size:           4
        .value_kind:     hidden_block_count_y
      - .offset:         152
        .size:           4
        .value_kind:     hidden_block_count_z
      - .offset:         156
        .size:           2
        .value_kind:     hidden_group_size_x
      - .offset:         158
        .size:           2
        .value_kind:     hidden_group_size_y
      - .offset:         160
        .size:           2
        .value_kind:     hidden_group_size_z
      - .offset:         162
        .size:           2
        .value_kind:     hidden_remainder_x
      - .offset:         164
        .size:           2
        .value_kind:     hidden_remainder_y
      - .offset:         166
        .size:           2
        .value_kind:     hidden_remainder_z
      - .offset:         184
        .size:           8
        .value_kind:     hidden_global_offset_x
      - .offset:         192
        .size:           8
        .value_kind:     hidden_global_offset_y
      - .offset:         200
        .size:           8
        .value_kind:     hidden_global_offset_z
      - .offset:         208
        .size:           2
        .value_kind:     hidden_grid_dims
      - .offset:         264
        .size:           4
        .value_kind:     hidden_dynamic_lds_size
    .group_segment_fixed_size: 224
    .kernarg_segment_align: 8
    .kernarg_segment_size: 400
    .language:       OpenCL C
    .language_version:
      - 2
      - 0
    .max_flat_workgroup_size: 1024
    .name:           _ZN4vllm25paged_attention_v2_kernelI14__hip_bfloat16hLi96ELi8ELi128ELNS_18Fp8KVCacheDataTypeE1ELb0ELi512EEEvPfS3_PT_PKS4_PKT0_SA_ifPKiSC_iPKfiiiSE_SE_iiiii
    .private_segment_fixed_size: 0
    .sgpr_count:     44
    .sgpr_spill_count: 0
    .symbol:         _ZN4vllm25paged_attention_v2_kernelI14__hip_bfloat16hLi96ELi8ELi128ELNS_18Fp8KVCacheDataTypeE1ELb0ELi512EEEvPfS3_PT_PKS4_PKT0_SA_ifPKiSC_iPKfiiiSE_SE_iiiii.kd
    .uniform_work_group_size: 1
    .uses_dynamic_stack: false
    .vgpr_count:     71
    .vgpr_spill_count: 0
    .wavefront_size: 32
    .workgroup_processor_mode: 1
  - .args:
      - .actual_access:  write_only
        .address_space:  global
        .offset:         0
        .size:           8
        .value_kind:     global_buffer
      - .actual_access:  write_only
        .address_space:  global
        .offset:         8
        .size:           8
        .value_kind:     global_buffer
      - .actual_access:  write_only
        .address_space:  global
        .offset:         16
        .size:           8
        .value_kind:     global_buffer
      - .actual_access:  read_only
        .address_space:  global
        .offset:         24
        .size:           8
        .value_kind:     global_buffer
      - .actual_access:  read_only
        .address_space:  global
        .offset:         32
        .size:           8
        .value_kind:     global_buffer
      - .actual_access:  read_only
        .address_space:  global
        .offset:         40
        .size:           8
        .value_kind:     global_buffer
      - .offset:         48
        .size:           4
        .value_kind:     by_value
      - .offset:         52
        .size:           4
        .value_kind:     by_value
      - .actual_access:  read_only
        .address_space:  global
        .offset:         56
        .size:           8
        .value_kind:     global_buffer
      - .actual_access:  read_only
        .address_space:  global
        .offset:         64
        .size:           8
        .value_kind:     global_buffer
      - .offset:         72
        .size:           4
        .value_kind:     by_value
      - .actual_access:  read_only
        .address_space:  global
        .offset:         80
        .size:           8
        .value_kind:     global_buffer
      - .offset:         88
        .size:           4
        .value_kind:     by_value
      - .offset:         92
        .size:           4
        .value_kind:     by_value
      - .offset:         96
        .size:           4
        .value_kind:     by_value
      - .address_space:  global
        .offset:         104
        .size:           8
        .value_kind:     global_buffer
      - .address_space:  global
        .offset:         112
        .size:           8
        .value_kind:     global_buffer
      - .offset:         120
        .size:           4
        .value_kind:     by_value
      - .offset:         124
        .size:           4
        .value_kind:     by_value
      - .offset:         128
        .size:           4
        .value_kind:     by_value
      - .offset:         132
        .size:           4
        .value_kind:     by_value
      - .offset:         136
        .size:           4
        .value_kind:     by_value
      - .offset:         144
        .size:           4
        .value_kind:     hidden_block_count_x
      - .offset:         148
        .size:           4
        .value_kind:     hidden_block_count_y
      - .offset:         152
        .size:           4
        .value_kind:     hidden_block_count_z
      - .offset:         156
        .size:           2
        .value_kind:     hidden_group_size_x
      - .offset:         158
        .size:           2
        .value_kind:     hidden_group_size_y
      - .offset:         160
        .size:           2
        .value_kind:     hidden_group_size_z
      - .offset:         162
        .size:           2
        .value_kind:     hidden_remainder_x
      - .offset:         164
        .size:           2
        .value_kind:     hidden_remainder_y
      - .offset:         166
        .size:           2
        .value_kind:     hidden_remainder_z
      - .offset:         184
        .size:           8
        .value_kind:     hidden_global_offset_x
      - .offset:         192
        .size:           8
        .value_kind:     hidden_global_offset_y
      - .offset:         200
        .size:           8
        .value_kind:     hidden_global_offset_z
      - .offset:         208
        .size:           2
        .value_kind:     hidden_grid_dims
      - .offset:         264
        .size:           4
        .value_kind:     hidden_dynamic_lds_size
    .group_segment_fixed_size: 256
    .kernarg_segment_align: 8
    .kernarg_segment_size: 400
    .language:       OpenCL C
    .language_version:
      - 2
      - 0
    .max_flat_workgroup_size: 1024
    .name:           _ZN4vllm25paged_attention_v2_kernelI14__hip_bfloat16hLi112ELi8ELi128ELNS_18Fp8KVCacheDataTypeE1ELb0ELi512EEEvPfS3_PT_PKS4_PKT0_SA_ifPKiSC_iPKfiiiSE_SE_iiiii
    .private_segment_fixed_size: 0
    .sgpr_count:     44
    .sgpr_spill_count: 0
    .symbol:         _ZN4vllm25paged_attention_v2_kernelI14__hip_bfloat16hLi112ELi8ELi128ELNS_18Fp8KVCacheDataTypeE1ELb0ELi512EEEvPfS3_PT_PKS4_PKT0_SA_ifPKiSC_iPKfiiiSE_SE_iiiii.kd
    .uniform_work_group_size: 1
    .uses_dynamic_stack: false
    .vgpr_count:     79
    .vgpr_spill_count: 0
    .wavefront_size: 32
    .workgroup_processor_mode: 1
  - .args:
      - .actual_access:  write_only
        .address_space:  global
        .offset:         0
        .size:           8
        .value_kind:     global_buffer
      - .actual_access:  write_only
        .address_space:  global
        .offset:         8
        .size:           8
        .value_kind:     global_buffer
      - .actual_access:  write_only
        .address_space:  global
        .offset:         16
        .size:           8
        .value_kind:     global_buffer
      - .actual_access:  read_only
        .address_space:  global
        .offset:         24
        .size:           8
        .value_kind:     global_buffer
      - .actual_access:  read_only
        .address_space:  global
        .offset:         32
        .size:           8
        .value_kind:     global_buffer
      - .actual_access:  read_only
        .address_space:  global
        .offset:         40
        .size:           8
        .value_kind:     global_buffer
      - .offset:         48
        .size:           4
        .value_kind:     by_value
      - .offset:         52
        .size:           4
        .value_kind:     by_value
      - .actual_access:  read_only
        .address_space:  global
        .offset:         56
        .size:           8
        .value_kind:     global_buffer
      - .actual_access:  read_only
        .address_space:  global
        .offset:         64
        .size:           8
        .value_kind:     global_buffer
      - .offset:         72
        .size:           4
        .value_kind:     by_value
      - .actual_access:  read_only
        .address_space:  global
        .offset:         80
        .size:           8
        .value_kind:     global_buffer
      - .offset:         88
        .size:           4
        .value_kind:     by_value
      - .offset:         92
        .size:           4
        .value_kind:     by_value
      - .offset:         96
        .size:           4
        .value_kind:     by_value
      - .address_space:  global
        .offset:         104
        .size:           8
        .value_kind:     global_buffer
      - .address_space:  global
        .offset:         112
        .size:           8
        .value_kind:     global_buffer
      - .offset:         120
        .size:           4
        .value_kind:     by_value
      - .offset:         124
        .size:           4
        .value_kind:     by_value
      - .offset:         128
        .size:           4
        .value_kind:     by_value
      - .offset:         132
        .size:           4
        .value_kind:     by_value
      - .offset:         136
        .size:           4
        .value_kind:     by_value
      - .offset:         144
        .size:           4
        .value_kind:     hidden_block_count_x
      - .offset:         148
        .size:           4
        .value_kind:     hidden_block_count_y
      - .offset:         152
        .size:           4
        .value_kind:     hidden_block_count_z
      - .offset:         156
        .size:           2
        .value_kind:     hidden_group_size_x
      - .offset:         158
        .size:           2
        .value_kind:     hidden_group_size_y
      - .offset:         160
        .size:           2
        .value_kind:     hidden_group_size_z
      - .offset:         162
        .size:           2
        .value_kind:     hidden_remainder_x
      - .offset:         164
        .size:           2
        .value_kind:     hidden_remainder_y
      - .offset:         166
        .size:           2
        .value_kind:     hidden_remainder_z
      - .offset:         184
        .size:           8
        .value_kind:     hidden_global_offset_x
      - .offset:         192
        .size:           8
        .value_kind:     hidden_global_offset_y
      - .offset:         200
        .size:           8
        .value_kind:     hidden_global_offset_z
      - .offset:         208
        .size:           2
        .value_kind:     hidden_grid_dims
      - .offset:         264
        .size:           4
        .value_kind:     hidden_dynamic_lds_size
    .group_segment_fixed_size: 272
    .kernarg_segment_align: 8
    .kernarg_segment_size: 400
    .language:       OpenCL C
    .language_version:
      - 2
      - 0
    .max_flat_workgroup_size: 1024
    .name:           _ZN4vllm25paged_attention_v2_kernelI14__hip_bfloat16hLi120ELi8ELi128ELNS_18Fp8KVCacheDataTypeE1ELb0ELi512EEEvPfS3_PT_PKS4_PKT0_SA_ifPKiSC_iPKfiiiSE_SE_iiiii
    .private_segment_fixed_size: 0
    .sgpr_count:     44
    .sgpr_spill_count: 0
    .symbol:         _ZN4vllm25paged_attention_v2_kernelI14__hip_bfloat16hLi120ELi8ELi128ELNS_18Fp8KVCacheDataTypeE1ELb0ELi512EEEvPfS3_PT_PKS4_PKT0_SA_ifPKiSC_iPKfiiiSE_SE_iiiii.kd
    .uniform_work_group_size: 1
    .uses_dynamic_stack: false
    .vgpr_count:     83
    .vgpr_spill_count: 0
    .wavefront_size: 32
    .workgroup_processor_mode: 1
  - .args:
      - .actual_access:  write_only
        .address_space:  global
        .offset:         0
        .size:           8
        .value_kind:     global_buffer
      - .actual_access:  write_only
        .address_space:  global
        .offset:         8
        .size:           8
        .value_kind:     global_buffer
      - .actual_access:  write_only
        .address_space:  global
        .offset:         16
        .size:           8
        .value_kind:     global_buffer
      - .actual_access:  read_only
        .address_space:  global
        .offset:         24
        .size:           8
        .value_kind:     global_buffer
      - .actual_access:  read_only
        .address_space:  global
        .offset:         32
        .size:           8
        .value_kind:     global_buffer
      - .actual_access:  read_only
        .address_space:  global
        .offset:         40
        .size:           8
        .value_kind:     global_buffer
      - .offset:         48
        .size:           4
        .value_kind:     by_value
      - .offset:         52
        .size:           4
        .value_kind:     by_value
      - .actual_access:  read_only
        .address_space:  global
        .offset:         56
        .size:           8
        .value_kind:     global_buffer
      - .actual_access:  read_only
        .address_space:  global
        .offset:         64
        .size:           8
        .value_kind:     global_buffer
      - .offset:         72
        .size:           4
        .value_kind:     by_value
      - .address_space:  global
        .offset:         80
        .size:           8
        .value_kind:     global_buffer
      - .offset:         88
        .size:           4
        .value_kind:     by_value
      - .offset:         92
        .size:           4
        .value_kind:     by_value
      - .offset:         96
        .size:           4
        .value_kind:     by_value
      - .address_space:  global
        .offset:         104
        .size:           8
        .value_kind:     global_buffer
      - .address_space:  global
        .offset:         112
        .size:           8
        .value_kind:     global_buffer
      - .offset:         120
        .size:           4
        .value_kind:     by_value
      - .offset:         124
        .size:           4
        .value_kind:     by_value
      - .offset:         128
        .size:           4
        .value_kind:     by_value
      - .offset:         132
        .size:           4
        .value_kind:     by_value
      - .offset:         136
        .size:           4
        .value_kind:     by_value
      - .offset:         144
        .size:           4
        .value_kind:     hidden_block_count_x
      - .offset:         148
        .size:           4
        .value_kind:     hidden_block_count_y
      - .offset:         152
        .size:           4
        .value_kind:     hidden_block_count_z
      - .offset:         156
        .size:           2
        .value_kind:     hidden_group_size_x
      - .offset:         158
        .size:           2
        .value_kind:     hidden_group_size_y
      - .offset:         160
        .size:           2
        .value_kind:     hidden_group_size_z
      - .offset:         162
        .size:           2
        .value_kind:     hidden_remainder_x
      - .offset:         164
        .size:           2
        .value_kind:     hidden_remainder_y
      - .offset:         166
        .size:           2
        .value_kind:     hidden_remainder_z
      - .offset:         184
        .size:           8
        .value_kind:     hidden_global_offset_x
      - .offset:         192
        .size:           8
        .value_kind:     hidden_global_offset_y
      - .offset:         200
        .size:           8
        .value_kind:     hidden_global_offset_z
      - .offset:         208
        .size:           2
        .value_kind:     hidden_grid_dims
      - .offset:         264
        .size:           4
        .value_kind:     hidden_dynamic_lds_size
    .group_segment_fixed_size: 288
    .kernarg_segment_align: 8
    .kernarg_segment_size: 400
    .language:       OpenCL C
    .language_version:
      - 2
      - 0
    .max_flat_workgroup_size: 1024
    .name:           _ZN4vllm25paged_attention_v2_kernelI14__hip_bfloat16hLi128ELi8ELi128ELNS_18Fp8KVCacheDataTypeE1ELb0ELi512EEEvPfS3_PT_PKS4_PKT0_SA_ifPKiSC_iPKfiiiSE_SE_iiiii
    .private_segment_fixed_size: 12
    .sgpr_count:     46
    .sgpr_spill_count: 0
    .symbol:         _ZN4vllm25paged_attention_v2_kernelI14__hip_bfloat16hLi128ELi8ELi128ELNS_18Fp8KVCacheDataTypeE1ELb0ELi512EEEvPfS3_PT_PKS4_PKT0_SA_ifPKiSC_iPKfiiiSE_SE_iiiii.kd
    .uniform_work_group_size: 1
    .uses_dynamic_stack: false
    .vgpr_count:     184
    .vgpr_spill_count: 0
    .wavefront_size: 32
    .workgroup_processor_mode: 1
  - .args:
      - .actual_access:  write_only
        .address_space:  global
        .offset:         0
        .size:           8
        .value_kind:     global_buffer
      - .actual_access:  write_only
        .address_space:  global
        .offset:         8
        .size:           8
        .value_kind:     global_buffer
      - .actual_access:  write_only
        .address_space:  global
        .offset:         16
        .size:           8
        .value_kind:     global_buffer
      - .actual_access:  read_only
        .address_space:  global
        .offset:         24
        .size:           8
        .value_kind:     global_buffer
      - .actual_access:  read_only
        .address_space:  global
        .offset:         32
        .size:           8
        .value_kind:     global_buffer
      - .actual_access:  read_only
        .address_space:  global
        .offset:         40
        .size:           8
        .value_kind:     global_buffer
      - .offset:         48
        .size:           4
        .value_kind:     by_value
      - .offset:         52
        .size:           4
        .value_kind:     by_value
      - .actual_access:  read_only
        .address_space:  global
        .offset:         56
        .size:           8
        .value_kind:     global_buffer
      - .actual_access:  read_only
        .address_space:  global
        .offset:         64
        .size:           8
        .value_kind:     global_buffer
      - .offset:         72
        .size:           4
        .value_kind:     by_value
      - .address_space:  global
        .offset:         80
        .size:           8
        .value_kind:     global_buffer
      - .offset:         88
        .size:           4
        .value_kind:     by_value
      - .offset:         92
        .size:           4
        .value_kind:     by_value
      - .offset:         96
        .size:           4
        .value_kind:     by_value
      - .address_space:  global
        .offset:         104
        .size:           8
        .value_kind:     global_buffer
      - .address_space:  global
        .offset:         112
        .size:           8
        .value_kind:     global_buffer
      - .offset:         120
        .size:           4
        .value_kind:     by_value
      - .offset:         124
        .size:           4
        .value_kind:     by_value
      - .offset:         128
        .size:           4
        .value_kind:     by_value
      - .offset:         132
        .size:           4
        .value_kind:     by_value
      - .offset:         136
        .size:           4
        .value_kind:     by_value
      - .offset:         144
        .size:           4
        .value_kind:     hidden_block_count_x
      - .offset:         148
        .size:           4
        .value_kind:     hidden_block_count_y
      - .offset:         152
        .size:           4
        .value_kind:     hidden_block_count_z
      - .offset:         156
        .size:           2
        .value_kind:     hidden_group_size_x
      - .offset:         158
        .size:           2
        .value_kind:     hidden_group_size_y
      - .offset:         160
        .size:           2
        .value_kind:     hidden_group_size_z
      - .offset:         162
        .size:           2
        .value_kind:     hidden_remainder_x
      - .offset:         164
        .size:           2
        .value_kind:     hidden_remainder_y
      - .offset:         166
        .size:           2
        .value_kind:     hidden_remainder_z
      - .offset:         184
        .size:           8
        .value_kind:     hidden_global_offset_x
      - .offset:         192
        .size:           8
        .value_kind:     hidden_global_offset_y
      - .offset:         200
        .size:           8
        .value_kind:     hidden_global_offset_z
      - .offset:         208
        .size:           2
        .value_kind:     hidden_grid_dims
      - .offset:         264
        .size:           4
        .value_kind:     hidden_dynamic_lds_size
    .group_segment_fixed_size: 416
    .kernarg_segment_align: 8
    .kernarg_segment_size: 400
    .language:       OpenCL C
    .language_version:
      - 2
      - 0
    .max_flat_workgroup_size: 1024
    .name:           _ZN4vllm25paged_attention_v2_kernelI14__hip_bfloat16hLi192ELi8ELi128ELNS_18Fp8KVCacheDataTypeE1ELb0ELi512EEEvPfS3_PT_PKS4_PKT0_SA_ifPKiSC_iPKfiiiSE_SE_iiiii
    .private_segment_fixed_size: 140
    .sgpr_count:     46
    .sgpr_spill_count: 0
    .symbol:         _ZN4vllm25paged_attention_v2_kernelI14__hip_bfloat16hLi192ELi8ELi128ELNS_18Fp8KVCacheDataTypeE1ELb0ELi512EEEvPfS3_PT_PKS4_PKT0_SA_ifPKiSC_iPKfiiiSE_SE_iiiii.kd
    .uniform_work_group_size: 1
    .uses_dynamic_stack: false
    .vgpr_count:     184
    .vgpr_spill_count: 0
    .wavefront_size: 32
    .workgroup_processor_mode: 1
  - .args:
      - .actual_access:  write_only
        .address_space:  global
        .offset:         0
        .size:           8
        .value_kind:     global_buffer
      - .actual_access:  write_only
        .address_space:  global
        .offset:         8
        .size:           8
        .value_kind:     global_buffer
      - .actual_access:  write_only
        .address_space:  global
        .offset:         16
        .size:           8
        .value_kind:     global_buffer
      - .actual_access:  read_only
        .address_space:  global
        .offset:         24
        .size:           8
        .value_kind:     global_buffer
      - .actual_access:  read_only
        .address_space:  global
        .offset:         32
        .size:           8
        .value_kind:     global_buffer
      - .actual_access:  read_only
        .address_space:  global
        .offset:         40
        .size:           8
        .value_kind:     global_buffer
      - .offset:         48
        .size:           4
        .value_kind:     by_value
      - .offset:         52
        .size:           4
        .value_kind:     by_value
      - .actual_access:  read_only
        .address_space:  global
        .offset:         56
        .size:           8
        .value_kind:     global_buffer
      - .actual_access:  read_only
        .address_space:  global
        .offset:         64
        .size:           8
        .value_kind:     global_buffer
      - .offset:         72
        .size:           4
        .value_kind:     by_value
      - .address_space:  global
        .offset:         80
        .size:           8
        .value_kind:     global_buffer
      - .offset:         88
        .size:           4
        .value_kind:     by_value
      - .offset:         92
        .size:           4
        .value_kind:     by_value
      - .offset:         96
        .size:           4
        .value_kind:     by_value
      - .address_space:  global
        .offset:         104
        .size:           8
        .value_kind:     global_buffer
      - .address_space:  global
        .offset:         112
        .size:           8
        .value_kind:     global_buffer
      - .offset:         120
        .size:           4
        .value_kind:     by_value
      - .offset:         124
        .size:           4
        .value_kind:     by_value
      - .offset:         128
        .size:           4
        .value_kind:     by_value
      - .offset:         132
        .size:           4
        .value_kind:     by_value
      - .offset:         136
        .size:           4
        .value_kind:     by_value
      - .offset:         144
        .size:           4
        .value_kind:     hidden_block_count_x
      - .offset:         148
        .size:           4
        .value_kind:     hidden_block_count_y
      - .offset:         152
        .size:           4
        .value_kind:     hidden_block_count_z
      - .offset:         156
        .size:           2
        .value_kind:     hidden_group_size_x
      - .offset:         158
        .size:           2
        .value_kind:     hidden_group_size_y
      - .offset:         160
        .size:           2
        .value_kind:     hidden_group_size_z
      - .offset:         162
        .size:           2
        .value_kind:     hidden_remainder_x
      - .offset:         164
        .size:           2
        .value_kind:     hidden_remainder_y
      - .offset:         166
        .size:           2
        .value_kind:     hidden_remainder_z
      - .offset:         184
        .size:           8
        .value_kind:     hidden_global_offset_x
      - .offset:         192
        .size:           8
        .value_kind:     hidden_global_offset_y
      - .offset:         200
        .size:           8
        .value_kind:     hidden_global_offset_z
      - .offset:         208
        .size:           2
        .value_kind:     hidden_grid_dims
      - .offset:         264
        .size:           4
        .value_kind:     hidden_dynamic_lds_size
    .group_segment_fixed_size: 544
    .kernarg_segment_align: 8
    .kernarg_segment_size: 400
    .language:       OpenCL C
    .language_version:
      - 2
      - 0
    .max_flat_workgroup_size: 1024
    .name:           _ZN4vllm25paged_attention_v2_kernelI14__hip_bfloat16hLi256ELi8ELi128ELNS_18Fp8KVCacheDataTypeE1ELb0ELi512EEEvPfS3_PT_PKS4_PKT0_SA_ifPKiSC_iPKfiiiSE_SE_iiiii
    .private_segment_fixed_size: 268
    .sgpr_count:     46
    .sgpr_spill_count: 0
    .symbol:         _ZN4vllm25paged_attention_v2_kernelI14__hip_bfloat16hLi256ELi8ELi128ELNS_18Fp8KVCacheDataTypeE1ELb0ELi512EEEvPfS3_PT_PKS4_PKT0_SA_ifPKiSC_iPKfiiiSE_SE_iiiii.kd
    .uniform_work_group_size: 1
    .uses_dynamic_stack: false
    .vgpr_count:     184
    .vgpr_spill_count: 0
    .wavefront_size: 32
    .workgroup_processor_mode: 1
  - .args:
      - .actual_access:  write_only
        .address_space:  global
        .offset:         0
        .size:           8
        .value_kind:     global_buffer
      - .actual_access:  write_only
        .address_space:  global
        .offset:         8
        .size:           8
        .value_kind:     global_buffer
      - .actual_access:  write_only
        .address_space:  global
        .offset:         16
        .size:           8
        .value_kind:     global_buffer
      - .actual_access:  read_only
        .address_space:  global
        .offset:         24
        .size:           8
        .value_kind:     global_buffer
      - .actual_access:  read_only
        .address_space:  global
        .offset:         32
        .size:           8
        .value_kind:     global_buffer
      - .actual_access:  read_only
        .address_space:  global
        .offset:         40
        .size:           8
        .value_kind:     global_buffer
      - .offset:         48
        .size:           4
        .value_kind:     by_value
      - .offset:         52
        .size:           4
        .value_kind:     by_value
      - .actual_access:  read_only
        .address_space:  global
        .offset:         56
        .size:           8
        .value_kind:     global_buffer
      - .actual_access:  read_only
        .address_space:  global
        .offset:         64
        .size:           8
        .value_kind:     global_buffer
      - .offset:         72
        .size:           4
        .value_kind:     by_value
      - .actual_access:  read_only
        .address_space:  global
        .offset:         80
        .size:           8
        .value_kind:     global_buffer
      - .offset:         88
        .size:           4
        .value_kind:     by_value
      - .offset:         92
        .size:           4
        .value_kind:     by_value
      - .offset:         96
        .size:           4
        .value_kind:     by_value
      - .address_space:  global
        .offset:         104
        .size:           8
        .value_kind:     global_buffer
      - .address_space:  global
        .offset:         112
        .size:           8
        .value_kind:     global_buffer
      - .offset:         120
        .size:           4
        .value_kind:     by_value
      - .offset:         124
        .size:           4
        .value_kind:     by_value
      - .offset:         128
        .size:           4
        .value_kind:     by_value
      - .offset:         132
        .size:           4
        .value_kind:     by_value
      - .offset:         136
        .size:           4
        .value_kind:     by_value
      - .offset:         144
        .size:           4
        .value_kind:     hidden_block_count_x
      - .offset:         148
        .size:           4
        .value_kind:     hidden_block_count_y
      - .offset:         152
        .size:           4
        .value_kind:     hidden_block_count_z
      - .offset:         156
        .size:           2
        .value_kind:     hidden_group_size_x
      - .offset:         158
        .size:           2
        .value_kind:     hidden_group_size_y
      - .offset:         160
        .size:           2
        .value_kind:     hidden_group_size_z
      - .offset:         162
        .size:           2
        .value_kind:     hidden_remainder_x
      - .offset:         164
        .size:           2
        .value_kind:     hidden_remainder_y
      - .offset:         166
        .size:           2
        .value_kind:     hidden_remainder_z
      - .offset:         184
        .size:           8
        .value_kind:     hidden_global_offset_x
      - .offset:         192
        .size:           8
        .value_kind:     hidden_global_offset_y
      - .offset:         200
        .size:           8
        .value_kind:     hidden_global_offset_z
      - .offset:         208
        .size:           2
        .value_kind:     hidden_grid_dims
      - .offset:         264
        .size:           4
        .value_kind:     hidden_dynamic_lds_size
    .group_segment_fixed_size: 96
    .kernarg_segment_align: 8
    .kernarg_segment_size: 400
    .language:       OpenCL C
    .language_version:
      - 2
      - 0
    .max_flat_workgroup_size: 1024
    .name:           _ZN4vllm25paged_attention_v2_kernelI14__hip_bfloat16hLi32ELi16ELi128ELNS_18Fp8KVCacheDataTypeE1ELb1ELi512EEEvPfS3_PT_PKS4_PKT0_SA_ifPKiSC_iPKfiiiSE_SE_iiiii
    .private_segment_fixed_size: 0
    .sgpr_count:     55
    .sgpr_spill_count: 0
    .symbol:         _ZN4vllm25paged_attention_v2_kernelI14__hip_bfloat16hLi32ELi16ELi128ELNS_18Fp8KVCacheDataTypeE1ELb1ELi512EEEvPfS3_PT_PKS4_PKT0_SA_ifPKiSC_iPKfiiiSE_SE_iiiii.kd
    .uniform_work_group_size: 1
    .uses_dynamic_stack: false
    .vgpr_count:     57
    .vgpr_spill_count: 0
    .wavefront_size: 32
    .workgroup_processor_mode: 1
  - .args:
      - .actual_access:  write_only
        .address_space:  global
        .offset:         0
        .size:           8
        .value_kind:     global_buffer
      - .actual_access:  write_only
        .address_space:  global
        .offset:         8
        .size:           8
        .value_kind:     global_buffer
      - .actual_access:  write_only
        .address_space:  global
        .offset:         16
        .size:           8
        .value_kind:     global_buffer
      - .actual_access:  read_only
        .address_space:  global
        .offset:         24
        .size:           8
        .value_kind:     global_buffer
      - .actual_access:  read_only
        .address_space:  global
        .offset:         32
        .size:           8
        .value_kind:     global_buffer
      - .actual_access:  read_only
        .address_space:  global
        .offset:         40
        .size:           8
        .value_kind:     global_buffer
      - .offset:         48
        .size:           4
        .value_kind:     by_value
      - .offset:         52
        .size:           4
        .value_kind:     by_value
      - .actual_access:  read_only
        .address_space:  global
        .offset:         56
        .size:           8
        .value_kind:     global_buffer
      - .actual_access:  read_only
        .address_space:  global
        .offset:         64
        .size:           8
        .value_kind:     global_buffer
      - .offset:         72
        .size:           4
        .value_kind:     by_value
      - .address_space:  global
        .offset:         80
        .size:           8
        .value_kind:     global_buffer
      - .offset:         88
        .size:           4
        .value_kind:     by_value
      - .offset:         92
        .size:           4
        .value_kind:     by_value
      - .offset:         96
        .size:           4
        .value_kind:     by_value
      - .address_space:  global
        .offset:         104
        .size:           8
        .value_kind:     global_buffer
      - .address_space:  global
        .offset:         112
        .size:           8
        .value_kind:     global_buffer
      - .offset:         120
        .size:           4
        .value_kind:     by_value
      - .offset:         124
        .size:           4
        .value_kind:     by_value
      - .offset:         128
        .size:           4
        .value_kind:     by_value
      - .offset:         132
        .size:           4
        .value_kind:     by_value
      - .offset:         136
        .size:           4
        .value_kind:     by_value
      - .offset:         144
        .size:           4
        .value_kind:     hidden_block_count_x
      - .offset:         148
        .size:           4
        .value_kind:     hidden_block_count_y
      - .offset:         152
        .size:           4
        .value_kind:     hidden_block_count_z
      - .offset:         156
        .size:           2
        .value_kind:     hidden_group_size_x
      - .offset:         158
        .size:           2
        .value_kind:     hidden_group_size_y
      - .offset:         160
        .size:           2
        .value_kind:     hidden_group_size_z
      - .offset:         162
        .size:           2
        .value_kind:     hidden_remainder_x
      - .offset:         164
        .size:           2
        .value_kind:     hidden_remainder_y
      - .offset:         166
        .size:           2
        .value_kind:     hidden_remainder_z
      - .offset:         184
        .size:           8
        .value_kind:     hidden_global_offset_x
      - .offset:         192
        .size:           8
        .value_kind:     hidden_global_offset_y
      - .offset:         200
        .size:           8
        .value_kind:     hidden_global_offset_z
      - .offset:         208
        .size:           2
        .value_kind:     hidden_grid_dims
      - .offset:         264
        .size:           4
        .value_kind:     hidden_dynamic_lds_size
    .group_segment_fixed_size: 160
    .kernarg_segment_align: 8
    .kernarg_segment_size: 400
    .language:       OpenCL C
    .language_version:
      - 2
      - 0
    .max_flat_workgroup_size: 1024
    .name:           _ZN4vllm25paged_attention_v2_kernelI14__hip_bfloat16hLi64ELi16ELi128ELNS_18Fp8KVCacheDataTypeE1ELb1ELi512EEEvPfS3_PT_PKS4_PKT0_SA_ifPKiSC_iPKfiiiSE_SE_iiiii
    .private_segment_fixed_size: 48
    .sgpr_count:     46
    .sgpr_spill_count: 0
    .symbol:         _ZN4vllm25paged_attention_v2_kernelI14__hip_bfloat16hLi64ELi16ELi128ELNS_18Fp8KVCacheDataTypeE1ELb1ELi512EEEvPfS3_PT_PKS4_PKT0_SA_ifPKiSC_iPKfiiiSE_SE_iiiii.kd
    .uniform_work_group_size: 1
    .uses_dynamic_stack: false
    .vgpr_count:     184
    .vgpr_spill_count: 0
    .wavefront_size: 32
    .workgroup_processor_mode: 1
  - .args:
      - .actual_access:  write_only
        .address_space:  global
        .offset:         0
        .size:           8
        .value_kind:     global_buffer
      - .actual_access:  write_only
        .address_space:  global
        .offset:         8
        .size:           8
        .value_kind:     global_buffer
      - .actual_access:  write_only
        .address_space:  global
        .offset:         16
        .size:           8
        .value_kind:     global_buffer
      - .actual_access:  read_only
        .address_space:  global
        .offset:         24
        .size:           8
        .value_kind:     global_buffer
      - .actual_access:  read_only
        .address_space:  global
        .offset:         32
        .size:           8
        .value_kind:     global_buffer
      - .actual_access:  read_only
        .address_space:  global
        .offset:         40
        .size:           8
        .value_kind:     global_buffer
      - .offset:         48
        .size:           4
        .value_kind:     by_value
      - .offset:         52
        .size:           4
        .value_kind:     by_value
      - .actual_access:  read_only
        .address_space:  global
        .offset:         56
        .size:           8
        .value_kind:     global_buffer
      - .actual_access:  read_only
        .address_space:  global
        .offset:         64
        .size:           8
        .value_kind:     global_buffer
      - .offset:         72
        .size:           4
        .value_kind:     by_value
      - .address_space:  global
        .offset:         80
        .size:           8
        .value_kind:     global_buffer
      - .offset:         88
        .size:           4
        .value_kind:     by_value
      - .offset:         92
        .size:           4
        .value_kind:     by_value
      - .offset:         96
        .size:           4
        .value_kind:     by_value
      - .address_space:  global
        .offset:         104
        .size:           8
        .value_kind:     global_buffer
      - .address_space:  global
        .offset:         112
        .size:           8
        .value_kind:     global_buffer
      - .offset:         120
        .size:           4
        .value_kind:     by_value
      - .offset:         124
        .size:           4
        .value_kind:     by_value
      - .offset:         128
        .size:           4
        .value_kind:     by_value
      - .offset:         132
        .size:           4
        .value_kind:     by_value
      - .offset:         136
        .size:           4
        .value_kind:     by_value
      - .offset:         144
        .size:           4
        .value_kind:     hidden_block_count_x
      - .offset:         148
        .size:           4
        .value_kind:     hidden_block_count_y
      - .offset:         152
        .size:           4
        .value_kind:     hidden_block_count_z
      - .offset:         156
        .size:           2
        .value_kind:     hidden_group_size_x
      - .offset:         158
        .size:           2
        .value_kind:     hidden_group_size_y
      - .offset:         160
        .size:           2
        .value_kind:     hidden_group_size_z
      - .offset:         162
        .size:           2
        .value_kind:     hidden_remainder_x
      - .offset:         164
        .size:           2
        .value_kind:     hidden_remainder_y
      - .offset:         166
        .size:           2
        .value_kind:     hidden_remainder_z
      - .offset:         184
        .size:           8
        .value_kind:     hidden_global_offset_x
      - .offset:         192
        .size:           8
        .value_kind:     hidden_global_offset_y
      - .offset:         200
        .size:           8
        .value_kind:     hidden_global_offset_z
      - .offset:         208
        .size:           2
        .value_kind:     hidden_grid_dims
      - .offset:         264
        .size:           4
        .value_kind:     hidden_dynamic_lds_size
    .group_segment_fixed_size: 192
    .kernarg_segment_align: 8
    .kernarg_segment_size: 400
    .language:       OpenCL C
    .language_version:
      - 2
      - 0
    .max_flat_workgroup_size: 1024
    .name:           _ZN4vllm25paged_attention_v2_kernelI14__hip_bfloat16hLi80ELi16ELi128ELNS_18Fp8KVCacheDataTypeE1ELb1ELi512EEEvPfS3_PT_PKS4_PKT0_SA_ifPKiSC_iPKfiiiSE_SE_iiiii
    .private_segment_fixed_size: 112
    .sgpr_count:     46
    .sgpr_spill_count: 0
    .symbol:         _ZN4vllm25paged_attention_v2_kernelI14__hip_bfloat16hLi80ELi16ELi128ELNS_18Fp8KVCacheDataTypeE1ELb1ELi512EEEvPfS3_PT_PKS4_PKT0_SA_ifPKiSC_iPKfiiiSE_SE_iiiii.kd
    .uniform_work_group_size: 1
    .uses_dynamic_stack: false
    .vgpr_count:     184
    .vgpr_spill_count: 0
    .wavefront_size: 32
    .workgroup_processor_mode: 1
  - .args:
      - .actual_access:  write_only
        .address_space:  global
        .offset:         0
        .size:           8
        .value_kind:     global_buffer
      - .actual_access:  write_only
        .address_space:  global
        .offset:         8
        .size:           8
        .value_kind:     global_buffer
      - .actual_access:  write_only
        .address_space:  global
        .offset:         16
        .size:           8
        .value_kind:     global_buffer
      - .actual_access:  read_only
        .address_space:  global
        .offset:         24
        .size:           8
        .value_kind:     global_buffer
      - .actual_access:  read_only
        .address_space:  global
        .offset:         32
        .size:           8
        .value_kind:     global_buffer
      - .actual_access:  read_only
        .address_space:  global
        .offset:         40
        .size:           8
        .value_kind:     global_buffer
      - .offset:         48
        .size:           4
        .value_kind:     by_value
      - .offset:         52
        .size:           4
        .value_kind:     by_value
      - .actual_access:  read_only
        .address_space:  global
        .offset:         56
        .size:           8
        .value_kind:     global_buffer
      - .actual_access:  read_only
        .address_space:  global
        .offset:         64
        .size:           8
        .value_kind:     global_buffer
      - .offset:         72
        .size:           4
        .value_kind:     by_value
      - .address_space:  global
        .offset:         80
        .size:           8
        .value_kind:     global_buffer
      - .offset:         88
        .size:           4
        .value_kind:     by_value
      - .offset:         92
        .size:           4
        .value_kind:     by_value
      - .offset:         96
        .size:           4
        .value_kind:     by_value
      - .address_space:  global
        .offset:         104
        .size:           8
        .value_kind:     global_buffer
      - .address_space:  global
        .offset:         112
        .size:           8
        .value_kind:     global_buffer
      - .offset:         120
        .size:           4
        .value_kind:     by_value
      - .offset:         124
        .size:           4
        .value_kind:     by_value
      - .offset:         128
        .size:           4
        .value_kind:     by_value
      - .offset:         132
        .size:           4
        .value_kind:     by_value
      - .offset:         136
        .size:           4
        .value_kind:     by_value
      - .offset:         144
        .size:           4
        .value_kind:     hidden_block_count_x
      - .offset:         148
        .size:           4
        .value_kind:     hidden_block_count_y
      - .offset:         152
        .size:           4
        .value_kind:     hidden_block_count_z
      - .offset:         156
        .size:           2
        .value_kind:     hidden_group_size_x
      - .offset:         158
        .size:           2
        .value_kind:     hidden_group_size_y
      - .offset:         160
        .size:           2
        .value_kind:     hidden_group_size_z
      - .offset:         162
        .size:           2
        .value_kind:     hidden_remainder_x
      - .offset:         164
        .size:           2
        .value_kind:     hidden_remainder_y
      - .offset:         166
        .size:           2
        .value_kind:     hidden_remainder_z
      - .offset:         184
        .size:           8
        .value_kind:     hidden_global_offset_x
      - .offset:         192
        .size:           8
        .value_kind:     hidden_global_offset_y
      - .offset:         200
        .size:           8
        .value_kind:     hidden_global_offset_z
      - .offset:         208
        .size:           2
        .value_kind:     hidden_grid_dims
      - .offset:         264
        .size:           4
        .value_kind:     hidden_dynamic_lds_size
    .group_segment_fixed_size: 224
    .kernarg_segment_align: 8
    .kernarg_segment_size: 400
    .language:       OpenCL C
    .language_version:
      - 2
      - 0
    .max_flat_workgroup_size: 1024
    .name:           _ZN4vllm25paged_attention_v2_kernelI14__hip_bfloat16hLi96ELi16ELi128ELNS_18Fp8KVCacheDataTypeE1ELb1ELi512EEEvPfS3_PT_PKS4_PKT0_SA_ifPKiSC_iPKfiiiSE_SE_iiiii
    .private_segment_fixed_size: 176
    .sgpr_count:     46
    .sgpr_spill_count: 0
    .symbol:         _ZN4vllm25paged_attention_v2_kernelI14__hip_bfloat16hLi96ELi16ELi128ELNS_18Fp8KVCacheDataTypeE1ELb1ELi512EEEvPfS3_PT_PKS4_PKT0_SA_ifPKiSC_iPKfiiiSE_SE_iiiii.kd
    .uniform_work_group_size: 1
    .uses_dynamic_stack: false
    .vgpr_count:     184
    .vgpr_spill_count: 0
    .wavefront_size: 32
    .workgroup_processor_mode: 1
  - .args:
      - .actual_access:  write_only
        .address_space:  global
        .offset:         0
        .size:           8
        .value_kind:     global_buffer
      - .actual_access:  write_only
        .address_space:  global
        .offset:         8
        .size:           8
        .value_kind:     global_buffer
      - .actual_access:  write_only
        .address_space:  global
        .offset:         16
        .size:           8
        .value_kind:     global_buffer
      - .actual_access:  read_only
        .address_space:  global
        .offset:         24
        .size:           8
        .value_kind:     global_buffer
      - .actual_access:  read_only
        .address_space:  global
        .offset:         32
        .size:           8
        .value_kind:     global_buffer
      - .actual_access:  read_only
        .address_space:  global
        .offset:         40
        .size:           8
        .value_kind:     global_buffer
      - .offset:         48
        .size:           4
        .value_kind:     by_value
      - .offset:         52
        .size:           4
        .value_kind:     by_value
      - .actual_access:  read_only
        .address_space:  global
        .offset:         56
        .size:           8
        .value_kind:     global_buffer
      - .actual_access:  read_only
        .address_space:  global
        .offset:         64
        .size:           8
        .value_kind:     global_buffer
      - .offset:         72
        .size:           4
        .value_kind:     by_value
      - .address_space:  global
        .offset:         80
        .size:           8
        .value_kind:     global_buffer
      - .offset:         88
        .size:           4
        .value_kind:     by_value
      - .offset:         92
        .size:           4
        .value_kind:     by_value
      - .offset:         96
        .size:           4
        .value_kind:     by_value
      - .address_space:  global
        .offset:         104
        .size:           8
        .value_kind:     global_buffer
      - .address_space:  global
        .offset:         112
        .size:           8
        .value_kind:     global_buffer
      - .offset:         120
        .size:           4
        .value_kind:     by_value
      - .offset:         124
        .size:           4
        .value_kind:     by_value
      - .offset:         128
        .size:           4
        .value_kind:     by_value
      - .offset:         132
        .size:           4
        .value_kind:     by_value
      - .offset:         136
        .size:           4
        .value_kind:     by_value
      - .offset:         144
        .size:           4
        .value_kind:     hidden_block_count_x
      - .offset:         148
        .size:           4
        .value_kind:     hidden_block_count_y
      - .offset:         152
        .size:           4
        .value_kind:     hidden_block_count_z
      - .offset:         156
        .size:           2
        .value_kind:     hidden_group_size_x
      - .offset:         158
        .size:           2
        .value_kind:     hidden_group_size_y
      - .offset:         160
        .size:           2
        .value_kind:     hidden_group_size_z
      - .offset:         162
        .size:           2
        .value_kind:     hidden_remainder_x
      - .offset:         164
        .size:           2
        .value_kind:     hidden_remainder_y
      - .offset:         166
        .size:           2
        .value_kind:     hidden_remainder_z
      - .offset:         184
        .size:           8
        .value_kind:     hidden_global_offset_x
      - .offset:         192
        .size:           8
        .value_kind:     hidden_global_offset_y
      - .offset:         200
        .size:           8
        .value_kind:     hidden_global_offset_z
      - .offset:         208
        .size:           2
        .value_kind:     hidden_grid_dims
      - .offset:         264
        .size:           4
        .value_kind:     hidden_dynamic_lds_size
    .group_segment_fixed_size: 256
    .kernarg_segment_align: 8
    .kernarg_segment_size: 400
    .language:       OpenCL C
    .language_version:
      - 2
      - 0
    .max_flat_workgroup_size: 1024
    .name:           _ZN4vllm25paged_attention_v2_kernelI14__hip_bfloat16hLi112ELi16ELi128ELNS_18Fp8KVCacheDataTypeE1ELb1ELi512EEEvPfS3_PT_PKS4_PKT0_SA_ifPKiSC_iPKfiiiSE_SE_iiiii
    .private_segment_fixed_size: 220
    .sgpr_count:     46
    .sgpr_spill_count: 0
    .symbol:         _ZN4vllm25paged_attention_v2_kernelI14__hip_bfloat16hLi112ELi16ELi128ELNS_18Fp8KVCacheDataTypeE1ELb1ELi512EEEvPfS3_PT_PKS4_PKT0_SA_ifPKiSC_iPKfiiiSE_SE_iiiii.kd
    .uniform_work_group_size: 1
    .uses_dynamic_stack: false
    .vgpr_count:     184
    .vgpr_spill_count: 0
    .wavefront_size: 32
    .workgroup_processor_mode: 1
  - .args:
      - .actual_access:  write_only
        .address_space:  global
        .offset:         0
        .size:           8
        .value_kind:     global_buffer
      - .actual_access:  write_only
        .address_space:  global
        .offset:         8
        .size:           8
        .value_kind:     global_buffer
      - .actual_access:  write_only
        .address_space:  global
        .offset:         16
        .size:           8
        .value_kind:     global_buffer
      - .actual_access:  read_only
        .address_space:  global
        .offset:         24
        .size:           8
        .value_kind:     global_buffer
      - .actual_access:  read_only
        .address_space:  global
        .offset:         32
        .size:           8
        .value_kind:     global_buffer
      - .actual_access:  read_only
        .address_space:  global
        .offset:         40
        .size:           8
        .value_kind:     global_buffer
      - .offset:         48
        .size:           4
        .value_kind:     by_value
      - .offset:         52
        .size:           4
        .value_kind:     by_value
      - .actual_access:  read_only
        .address_space:  global
        .offset:         56
        .size:           8
        .value_kind:     global_buffer
      - .actual_access:  read_only
        .address_space:  global
        .offset:         64
        .size:           8
        .value_kind:     global_buffer
      - .offset:         72
        .size:           4
        .value_kind:     by_value
      - .address_space:  global
        .offset:         80
        .size:           8
        .value_kind:     global_buffer
      - .offset:         88
        .size:           4
        .value_kind:     by_value
      - .offset:         92
        .size:           4
        .value_kind:     by_value
      - .offset:         96
        .size:           4
        .value_kind:     by_value
      - .address_space:  global
        .offset:         104
        .size:           8
        .value_kind:     global_buffer
      - .address_space:  global
        .offset:         112
        .size:           8
        .value_kind:     global_buffer
      - .offset:         120
        .size:           4
        .value_kind:     by_value
      - .offset:         124
        .size:           4
        .value_kind:     by_value
      - .offset:         128
        .size:           4
        .value_kind:     by_value
      - .offset:         132
        .size:           4
        .value_kind:     by_value
      - .offset:         136
        .size:           4
        .value_kind:     by_value
      - .offset:         144
        .size:           4
        .value_kind:     hidden_block_count_x
      - .offset:         148
        .size:           4
        .value_kind:     hidden_block_count_y
      - .offset:         152
        .size:           4
        .value_kind:     hidden_block_count_z
      - .offset:         156
        .size:           2
        .value_kind:     hidden_group_size_x
      - .offset:         158
        .size:           2
        .value_kind:     hidden_group_size_y
      - .offset:         160
        .size:           2
        .value_kind:     hidden_group_size_z
      - .offset:         162
        .size:           2
        .value_kind:     hidden_remainder_x
      - .offset:         164
        .size:           2
        .value_kind:     hidden_remainder_y
      - .offset:         166
        .size:           2
        .value_kind:     hidden_remainder_z
      - .offset:         184
        .size:           8
        .value_kind:     hidden_global_offset_x
      - .offset:         192
        .size:           8
        .value_kind:     hidden_global_offset_y
      - .offset:         200
        .size:           8
        .value_kind:     hidden_global_offset_z
      - .offset:         208
        .size:           2
        .value_kind:     hidden_grid_dims
      - .offset:         264
        .size:           4
        .value_kind:     hidden_dynamic_lds_size
    .group_segment_fixed_size: 272
    .kernarg_segment_align: 8
    .kernarg_segment_size: 400
    .language:       OpenCL C
    .language_version:
      - 2
      - 0
    .max_flat_workgroup_size: 1024
    .name:           _ZN4vllm25paged_attention_v2_kernelI14__hip_bfloat16hLi120ELi16ELi128ELNS_18Fp8KVCacheDataTypeE1ELb1ELi512EEEvPfS3_PT_PKS4_PKT0_SA_ifPKiSC_iPKfiiiSE_SE_iiiii
    .private_segment_fixed_size: 232
    .sgpr_count:     46
    .sgpr_spill_count: 0
    .symbol:         _ZN4vllm25paged_attention_v2_kernelI14__hip_bfloat16hLi120ELi16ELi128ELNS_18Fp8KVCacheDataTypeE1ELb1ELi512EEEvPfS3_PT_PKS4_PKT0_SA_ifPKiSC_iPKfiiiSE_SE_iiiii.kd
    .uniform_work_group_size: 1
    .uses_dynamic_stack: false
    .vgpr_count:     184
    .vgpr_spill_count: 0
    .wavefront_size: 32
    .workgroup_processor_mode: 1
  - .args:
      - .actual_access:  write_only
        .address_space:  global
        .offset:         0
        .size:           8
        .value_kind:     global_buffer
      - .actual_access:  write_only
        .address_space:  global
        .offset:         8
        .size:           8
        .value_kind:     global_buffer
      - .actual_access:  write_only
        .address_space:  global
        .offset:         16
        .size:           8
        .value_kind:     global_buffer
      - .actual_access:  read_only
        .address_space:  global
        .offset:         24
        .size:           8
        .value_kind:     global_buffer
      - .actual_access:  read_only
        .address_space:  global
        .offset:         32
        .size:           8
        .value_kind:     global_buffer
      - .actual_access:  read_only
        .address_space:  global
        .offset:         40
        .size:           8
        .value_kind:     global_buffer
      - .offset:         48
        .size:           4
        .value_kind:     by_value
      - .offset:         52
        .size:           4
        .value_kind:     by_value
      - .actual_access:  read_only
        .address_space:  global
        .offset:         56
        .size:           8
        .value_kind:     global_buffer
      - .actual_access:  read_only
        .address_space:  global
        .offset:         64
        .size:           8
        .value_kind:     global_buffer
      - .offset:         72
        .size:           4
        .value_kind:     by_value
      - .address_space:  global
        .offset:         80
        .size:           8
        .value_kind:     global_buffer
      - .offset:         88
        .size:           4
        .value_kind:     by_value
      - .offset:         92
        .size:           4
        .value_kind:     by_value
      - .offset:         96
        .size:           4
        .value_kind:     by_value
      - .address_space:  global
        .offset:         104
        .size:           8
        .value_kind:     global_buffer
      - .address_space:  global
        .offset:         112
        .size:           8
        .value_kind:     global_buffer
      - .offset:         120
        .size:           4
        .value_kind:     by_value
      - .offset:         124
        .size:           4
        .value_kind:     by_value
      - .offset:         128
        .size:           4
        .value_kind:     by_value
      - .offset:         132
        .size:           4
        .value_kind:     by_value
      - .offset:         136
        .size:           4
        .value_kind:     by_value
      - .offset:         144
        .size:           4
        .value_kind:     hidden_block_count_x
      - .offset:         148
        .size:           4
        .value_kind:     hidden_block_count_y
      - .offset:         152
        .size:           4
        .value_kind:     hidden_block_count_z
      - .offset:         156
        .size:           2
        .value_kind:     hidden_group_size_x
      - .offset:         158
        .size:           2
        .value_kind:     hidden_group_size_y
      - .offset:         160
        .size:           2
        .value_kind:     hidden_group_size_z
      - .offset:         162
        .size:           2
        .value_kind:     hidden_remainder_x
      - .offset:         164
        .size:           2
        .value_kind:     hidden_remainder_y
      - .offset:         166
        .size:           2
        .value_kind:     hidden_remainder_z
      - .offset:         184
        .size:           8
        .value_kind:     hidden_global_offset_x
      - .offset:         192
        .size:           8
        .value_kind:     hidden_global_offset_y
      - .offset:         200
        .size:           8
        .value_kind:     hidden_global_offset_z
      - .offset:         208
        .size:           2
        .value_kind:     hidden_grid_dims
      - .offset:         264
        .size:           4
        .value_kind:     hidden_dynamic_lds_size
    .group_segment_fixed_size: 288
    .kernarg_segment_align: 8
    .kernarg_segment_size: 400
    .language:       OpenCL C
    .language_version:
      - 2
      - 0
    .max_flat_workgroup_size: 1024
    .name:           _ZN4vllm25paged_attention_v2_kernelI14__hip_bfloat16hLi128ELi16ELi128ELNS_18Fp8KVCacheDataTypeE1ELb1ELi512EEEvPfS3_PT_PKS4_PKT0_SA_ifPKiSC_iPKfiiiSE_SE_iiiii
    .private_segment_fixed_size: 252
    .sgpr_count:     46
    .sgpr_spill_count: 0
    .symbol:         _ZN4vllm25paged_attention_v2_kernelI14__hip_bfloat16hLi128ELi16ELi128ELNS_18Fp8KVCacheDataTypeE1ELb1ELi512EEEvPfS3_PT_PKS4_PKT0_SA_ifPKiSC_iPKfiiiSE_SE_iiiii.kd
    .uniform_work_group_size: 1
    .uses_dynamic_stack: false
    .vgpr_count:     184
    .vgpr_spill_count: 0
    .wavefront_size: 32
    .workgroup_processor_mode: 1
  - .args:
      - .actual_access:  write_only
        .address_space:  global
        .offset:         0
        .size:           8
        .value_kind:     global_buffer
      - .actual_access:  write_only
        .address_space:  global
        .offset:         8
        .size:           8
        .value_kind:     global_buffer
      - .actual_access:  write_only
        .address_space:  global
        .offset:         16
        .size:           8
        .value_kind:     global_buffer
      - .actual_access:  read_only
        .address_space:  global
        .offset:         24
        .size:           8
        .value_kind:     global_buffer
      - .actual_access:  read_only
        .address_space:  global
        .offset:         32
        .size:           8
        .value_kind:     global_buffer
      - .actual_access:  read_only
        .address_space:  global
        .offset:         40
        .size:           8
        .value_kind:     global_buffer
      - .offset:         48
        .size:           4
        .value_kind:     by_value
      - .offset:         52
        .size:           4
        .value_kind:     by_value
      - .actual_access:  read_only
        .address_space:  global
        .offset:         56
        .size:           8
        .value_kind:     global_buffer
      - .actual_access:  read_only
        .address_space:  global
        .offset:         64
        .size:           8
        .value_kind:     global_buffer
      - .offset:         72
        .size:           4
        .value_kind:     by_value
      - .address_space:  global
        .offset:         80
        .size:           8
        .value_kind:     global_buffer
      - .offset:         88
        .size:           4
        .value_kind:     by_value
      - .offset:         92
        .size:           4
        .value_kind:     by_value
      - .offset:         96
        .size:           4
        .value_kind:     by_value
      - .address_space:  global
        .offset:         104
        .size:           8
        .value_kind:     global_buffer
      - .address_space:  global
        .offset:         112
        .size:           8
        .value_kind:     global_buffer
      - .offset:         120
        .size:           4
        .value_kind:     by_value
      - .offset:         124
        .size:           4
        .value_kind:     by_value
      - .offset:         128
        .size:           4
        .value_kind:     by_value
      - .offset:         132
        .size:           4
        .value_kind:     by_value
      - .offset:         136
        .size:           4
        .value_kind:     by_value
      - .offset:         144
        .size:           4
        .value_kind:     hidden_block_count_x
      - .offset:         148
        .size:           4
        .value_kind:     hidden_block_count_y
      - .offset:         152
        .size:           4
        .value_kind:     hidden_block_count_z
      - .offset:         156
        .size:           2
        .value_kind:     hidden_group_size_x
      - .offset:         158
        .size:           2
        .value_kind:     hidden_group_size_y
      - .offset:         160
        .size:           2
        .value_kind:     hidden_group_size_z
      - .offset:         162
        .size:           2
        .value_kind:     hidden_remainder_x
      - .offset:         164
        .size:           2
        .value_kind:     hidden_remainder_y
      - .offset:         166
        .size:           2
        .value_kind:     hidden_remainder_z
      - .offset:         184
        .size:           8
        .value_kind:     hidden_global_offset_x
      - .offset:         192
        .size:           8
        .value_kind:     hidden_global_offset_y
      - .offset:         200
        .size:           8
        .value_kind:     hidden_global_offset_z
      - .offset:         208
        .size:           2
        .value_kind:     hidden_grid_dims
      - .offset:         264
        .size:           4
        .value_kind:     hidden_dynamic_lds_size
    .group_segment_fixed_size: 416
    .kernarg_segment_align: 8
    .kernarg_segment_size: 400
    .language:       OpenCL C
    .language_version:
      - 2
      - 0
    .max_flat_workgroup_size: 1024
    .name:           _ZN4vllm25paged_attention_v2_kernelI14__hip_bfloat16hLi192ELi16ELi128ELNS_18Fp8KVCacheDataTypeE1ELb1ELi512EEEvPfS3_PT_PKS4_PKT0_SA_ifPKiSC_iPKfiiiSE_SE_iiiii
    .private_segment_fixed_size: 380
    .sgpr_count:     46
    .sgpr_spill_count: 0
    .symbol:         _ZN4vllm25paged_attention_v2_kernelI14__hip_bfloat16hLi192ELi16ELi128ELNS_18Fp8KVCacheDataTypeE1ELb1ELi512EEEvPfS3_PT_PKS4_PKT0_SA_ifPKiSC_iPKfiiiSE_SE_iiiii.kd
    .uniform_work_group_size: 1
    .uses_dynamic_stack: false
    .vgpr_count:     192
    .vgpr_spill_count: 0
    .wavefront_size: 32
    .workgroup_processor_mode: 1
  - .args:
      - .actual_access:  write_only
        .address_space:  global
        .offset:         0
        .size:           8
        .value_kind:     global_buffer
      - .actual_access:  write_only
        .address_space:  global
        .offset:         8
        .size:           8
        .value_kind:     global_buffer
      - .actual_access:  write_only
        .address_space:  global
        .offset:         16
        .size:           8
        .value_kind:     global_buffer
      - .actual_access:  read_only
        .address_space:  global
        .offset:         24
        .size:           8
        .value_kind:     global_buffer
      - .actual_access:  read_only
        .address_space:  global
        .offset:         32
        .size:           8
        .value_kind:     global_buffer
      - .actual_access:  read_only
        .address_space:  global
        .offset:         40
        .size:           8
        .value_kind:     global_buffer
      - .offset:         48
        .size:           4
        .value_kind:     by_value
      - .offset:         52
        .size:           4
        .value_kind:     by_value
      - .actual_access:  read_only
        .address_space:  global
        .offset:         56
        .size:           8
        .value_kind:     global_buffer
      - .actual_access:  read_only
        .address_space:  global
        .offset:         64
        .size:           8
        .value_kind:     global_buffer
      - .offset:         72
        .size:           4
        .value_kind:     by_value
      - .address_space:  global
        .offset:         80
        .size:           8
        .value_kind:     global_buffer
      - .offset:         88
        .size:           4
        .value_kind:     by_value
      - .offset:         92
        .size:           4
        .value_kind:     by_value
      - .offset:         96
        .size:           4
        .value_kind:     by_value
      - .address_space:  global
        .offset:         104
        .size:           8
        .value_kind:     global_buffer
      - .address_space:  global
        .offset:         112
        .size:           8
        .value_kind:     global_buffer
      - .offset:         120
        .size:           4
        .value_kind:     by_value
      - .offset:         124
        .size:           4
        .value_kind:     by_value
      - .offset:         128
        .size:           4
        .value_kind:     by_value
      - .offset:         132
        .size:           4
        .value_kind:     by_value
      - .offset:         136
        .size:           4
        .value_kind:     by_value
      - .offset:         144
        .size:           4
        .value_kind:     hidden_block_count_x
      - .offset:         148
        .size:           4
        .value_kind:     hidden_block_count_y
      - .offset:         152
        .size:           4
        .value_kind:     hidden_block_count_z
      - .offset:         156
        .size:           2
        .value_kind:     hidden_group_size_x
      - .offset:         158
        .size:           2
        .value_kind:     hidden_group_size_y
      - .offset:         160
        .size:           2
        .value_kind:     hidden_group_size_z
      - .offset:         162
        .size:           2
        .value_kind:     hidden_remainder_x
      - .offset:         164
        .size:           2
        .value_kind:     hidden_remainder_y
      - .offset:         166
        .size:           2
        .value_kind:     hidden_remainder_z
      - .offset:         184
        .size:           8
        .value_kind:     hidden_global_offset_x
      - .offset:         192
        .size:           8
        .value_kind:     hidden_global_offset_y
      - .offset:         200
        .size:           8
        .value_kind:     hidden_global_offset_z
      - .offset:         208
        .size:           2
        .value_kind:     hidden_grid_dims
      - .offset:         264
        .size:           4
        .value_kind:     hidden_dynamic_lds_size
    .group_segment_fixed_size: 544
    .kernarg_segment_align: 8
    .kernarg_segment_size: 400
    .language:       OpenCL C
    .language_version:
      - 2
      - 0
    .max_flat_workgroup_size: 1024
    .name:           _ZN4vllm25paged_attention_v2_kernelI14__hip_bfloat16hLi256ELi16ELi128ELNS_18Fp8KVCacheDataTypeE1ELb1ELi512EEEvPfS3_PT_PKS4_PKT0_SA_ifPKiSC_iPKfiiiSE_SE_iiiii
    .private_segment_fixed_size: 516
    .sgpr_count:     46
    .sgpr_spill_count: 0
    .symbol:         _ZN4vllm25paged_attention_v2_kernelI14__hip_bfloat16hLi256ELi16ELi128ELNS_18Fp8KVCacheDataTypeE1ELb1ELi512EEEvPfS3_PT_PKS4_PKT0_SA_ifPKiSC_iPKfiiiSE_SE_iiiii.kd
    .uniform_work_group_size: 1
    .uses_dynamic_stack: false
    .vgpr_count:     192
    .vgpr_spill_count: 0
    .wavefront_size: 32
    .workgroup_processor_mode: 1
  - .args:
      - .actual_access:  write_only
        .address_space:  global
        .offset:         0
        .size:           8
        .value_kind:     global_buffer
      - .actual_access:  write_only
        .address_space:  global
        .offset:         8
        .size:           8
        .value_kind:     global_buffer
      - .actual_access:  write_only
        .address_space:  global
        .offset:         16
        .size:           8
        .value_kind:     global_buffer
      - .actual_access:  read_only
        .address_space:  global
        .offset:         24
        .size:           8
        .value_kind:     global_buffer
      - .actual_access:  read_only
        .address_space:  global
        .offset:         32
        .size:           8
        .value_kind:     global_buffer
      - .actual_access:  read_only
        .address_space:  global
        .offset:         40
        .size:           8
        .value_kind:     global_buffer
      - .offset:         48
        .size:           4
        .value_kind:     by_value
      - .offset:         52
        .size:           4
        .value_kind:     by_value
      - .actual_access:  read_only
        .address_space:  global
        .offset:         56
        .size:           8
        .value_kind:     global_buffer
      - .actual_access:  read_only
        .address_space:  global
        .offset:         64
        .size:           8
        .value_kind:     global_buffer
      - .offset:         72
        .size:           4
        .value_kind:     by_value
      - .actual_access:  read_only
        .address_space:  global
        .offset:         80
        .size:           8
        .value_kind:     global_buffer
      - .offset:         88
        .size:           4
        .value_kind:     by_value
      - .offset:         92
        .size:           4
        .value_kind:     by_value
      - .offset:         96
        .size:           4
        .value_kind:     by_value
      - .address_space:  global
        .offset:         104
        .size:           8
        .value_kind:     global_buffer
      - .address_space:  global
        .offset:         112
        .size:           8
        .value_kind:     global_buffer
      - .offset:         120
        .size:           4
        .value_kind:     by_value
      - .offset:         124
        .size:           4
        .value_kind:     by_value
      - .offset:         128
        .size:           4
        .value_kind:     by_value
      - .offset:         132
        .size:           4
        .value_kind:     by_value
      - .offset:         136
        .size:           4
        .value_kind:     by_value
      - .offset:         144
        .size:           4
        .value_kind:     hidden_block_count_x
      - .offset:         148
        .size:           4
        .value_kind:     hidden_block_count_y
      - .offset:         152
        .size:           4
        .value_kind:     hidden_block_count_z
      - .offset:         156
        .size:           2
        .value_kind:     hidden_group_size_x
      - .offset:         158
        .size:           2
        .value_kind:     hidden_group_size_y
      - .offset:         160
        .size:           2
        .value_kind:     hidden_group_size_z
      - .offset:         162
        .size:           2
        .value_kind:     hidden_remainder_x
      - .offset:         164
        .size:           2
        .value_kind:     hidden_remainder_y
      - .offset:         166
        .size:           2
        .value_kind:     hidden_remainder_z
      - .offset:         184
        .size:           8
        .value_kind:     hidden_global_offset_x
      - .offset:         192
        .size:           8
        .value_kind:     hidden_global_offset_y
      - .offset:         200
        .size:           8
        .value_kind:     hidden_global_offset_z
      - .offset:         208
        .size:           2
        .value_kind:     hidden_grid_dims
      - .offset:         264
        .size:           4
        .value_kind:     hidden_dynamic_lds_size
    .group_segment_fixed_size: 96
    .kernarg_segment_align: 8
    .kernarg_segment_size: 400
    .language:       OpenCL C
    .language_version:
      - 2
      - 0
    .max_flat_workgroup_size: 1024
    .name:           _ZN4vllm25paged_attention_v2_kernelI14__hip_bfloat16hLi32ELi16ELi128ELNS_18Fp8KVCacheDataTypeE1ELb0ELi512EEEvPfS3_PT_PKS4_PKT0_SA_ifPKiSC_iPKfiiiSE_SE_iiiii
    .private_segment_fixed_size: 0
    .sgpr_count:     44
    .sgpr_spill_count: 0
    .symbol:         _ZN4vllm25paged_attention_v2_kernelI14__hip_bfloat16hLi32ELi16ELi128ELNS_18Fp8KVCacheDataTypeE1ELb0ELi512EEEvPfS3_PT_PKS4_PKT0_SA_ifPKiSC_iPKfiiiSE_SE_iiiii.kd
    .uniform_work_group_size: 1
    .uses_dynamic_stack: false
    .vgpr_count:     56
    .vgpr_spill_count: 0
    .wavefront_size: 32
    .workgroup_processor_mode: 1
  - .args:
      - .actual_access:  write_only
        .address_space:  global
        .offset:         0
        .size:           8
        .value_kind:     global_buffer
      - .actual_access:  write_only
        .address_space:  global
        .offset:         8
        .size:           8
        .value_kind:     global_buffer
      - .actual_access:  write_only
        .address_space:  global
        .offset:         16
        .size:           8
        .value_kind:     global_buffer
      - .actual_access:  read_only
        .address_space:  global
        .offset:         24
        .size:           8
        .value_kind:     global_buffer
      - .actual_access:  read_only
        .address_space:  global
        .offset:         32
        .size:           8
        .value_kind:     global_buffer
      - .actual_access:  read_only
        .address_space:  global
        .offset:         40
        .size:           8
        .value_kind:     global_buffer
      - .offset:         48
        .size:           4
        .value_kind:     by_value
      - .offset:         52
        .size:           4
        .value_kind:     by_value
      - .actual_access:  read_only
        .address_space:  global
        .offset:         56
        .size:           8
        .value_kind:     global_buffer
      - .actual_access:  read_only
        .address_space:  global
        .offset:         64
        .size:           8
        .value_kind:     global_buffer
      - .offset:         72
        .size:           4
        .value_kind:     by_value
      - .address_space:  global
        .offset:         80
        .size:           8
        .value_kind:     global_buffer
      - .offset:         88
        .size:           4
        .value_kind:     by_value
      - .offset:         92
        .size:           4
        .value_kind:     by_value
      - .offset:         96
        .size:           4
        .value_kind:     by_value
      - .address_space:  global
        .offset:         104
        .size:           8
        .value_kind:     global_buffer
      - .address_space:  global
        .offset:         112
        .size:           8
        .value_kind:     global_buffer
      - .offset:         120
        .size:           4
        .value_kind:     by_value
      - .offset:         124
        .size:           4
        .value_kind:     by_value
      - .offset:         128
        .size:           4
        .value_kind:     by_value
      - .offset:         132
        .size:           4
        .value_kind:     by_value
      - .offset:         136
        .size:           4
        .value_kind:     by_value
      - .offset:         144
        .size:           4
        .value_kind:     hidden_block_count_x
      - .offset:         148
        .size:           4
        .value_kind:     hidden_block_count_y
      - .offset:         152
        .size:           4
        .value_kind:     hidden_block_count_z
      - .offset:         156
        .size:           2
        .value_kind:     hidden_group_size_x
      - .offset:         158
        .size:           2
        .value_kind:     hidden_group_size_y
      - .offset:         160
        .size:           2
        .value_kind:     hidden_group_size_z
      - .offset:         162
        .size:           2
        .value_kind:     hidden_remainder_x
      - .offset:         164
        .size:           2
        .value_kind:     hidden_remainder_y
      - .offset:         166
        .size:           2
        .value_kind:     hidden_remainder_z
      - .offset:         184
        .size:           8
        .value_kind:     hidden_global_offset_x
      - .offset:         192
        .size:           8
        .value_kind:     hidden_global_offset_y
      - .offset:         200
        .size:           8
        .value_kind:     hidden_global_offset_z
      - .offset:         208
        .size:           2
        .value_kind:     hidden_grid_dims
      - .offset:         264
        .size:           4
        .value_kind:     hidden_dynamic_lds_size
    .group_segment_fixed_size: 160
    .kernarg_segment_align: 8
    .kernarg_segment_size: 400
    .language:       OpenCL C
    .language_version:
      - 2
      - 0
    .max_flat_workgroup_size: 1024
    .name:           _ZN4vllm25paged_attention_v2_kernelI14__hip_bfloat16hLi64ELi16ELi128ELNS_18Fp8KVCacheDataTypeE1ELb0ELi512EEEvPfS3_PT_PKS4_PKT0_SA_ifPKiSC_iPKfiiiSE_SE_iiiii
    .private_segment_fixed_size: 12
    .sgpr_count:     46
    .sgpr_spill_count: 0
    .symbol:         _ZN4vllm25paged_attention_v2_kernelI14__hip_bfloat16hLi64ELi16ELi128ELNS_18Fp8KVCacheDataTypeE1ELb0ELi512EEEvPfS3_PT_PKS4_PKT0_SA_ifPKiSC_iPKfiiiSE_SE_iiiii.kd
    .uniform_work_group_size: 1
    .uses_dynamic_stack: false
    .vgpr_count:     184
    .vgpr_spill_count: 0
    .wavefront_size: 32
    .workgroup_processor_mode: 1
  - .args:
      - .actual_access:  write_only
        .address_space:  global
        .offset:         0
        .size:           8
        .value_kind:     global_buffer
      - .actual_access:  write_only
        .address_space:  global
        .offset:         8
        .size:           8
        .value_kind:     global_buffer
      - .actual_access:  write_only
        .address_space:  global
        .offset:         16
        .size:           8
        .value_kind:     global_buffer
      - .actual_access:  read_only
        .address_space:  global
        .offset:         24
        .size:           8
        .value_kind:     global_buffer
      - .actual_access:  read_only
        .address_space:  global
        .offset:         32
        .size:           8
        .value_kind:     global_buffer
      - .actual_access:  read_only
        .address_space:  global
        .offset:         40
        .size:           8
        .value_kind:     global_buffer
      - .offset:         48
        .size:           4
        .value_kind:     by_value
      - .offset:         52
        .size:           4
        .value_kind:     by_value
      - .actual_access:  read_only
        .address_space:  global
        .offset:         56
        .size:           8
        .value_kind:     global_buffer
      - .actual_access:  read_only
        .address_space:  global
        .offset:         64
        .size:           8
        .value_kind:     global_buffer
      - .offset:         72
        .size:           4
        .value_kind:     by_value
      - .address_space:  global
        .offset:         80
        .size:           8
        .value_kind:     global_buffer
      - .offset:         88
        .size:           4
        .value_kind:     by_value
      - .offset:         92
        .size:           4
        .value_kind:     by_value
      - .offset:         96
        .size:           4
        .value_kind:     by_value
      - .address_space:  global
        .offset:         104
        .size:           8
        .value_kind:     global_buffer
      - .address_space:  global
        .offset:         112
        .size:           8
        .value_kind:     global_buffer
      - .offset:         120
        .size:           4
        .value_kind:     by_value
      - .offset:         124
        .size:           4
        .value_kind:     by_value
      - .offset:         128
        .size:           4
        .value_kind:     by_value
      - .offset:         132
        .size:           4
        .value_kind:     by_value
      - .offset:         136
        .size:           4
        .value_kind:     by_value
      - .offset:         144
        .size:           4
        .value_kind:     hidden_block_count_x
      - .offset:         148
        .size:           4
        .value_kind:     hidden_block_count_y
      - .offset:         152
        .size:           4
        .value_kind:     hidden_block_count_z
      - .offset:         156
        .size:           2
        .value_kind:     hidden_group_size_x
      - .offset:         158
        .size:           2
        .value_kind:     hidden_group_size_y
      - .offset:         160
        .size:           2
        .value_kind:     hidden_group_size_z
      - .offset:         162
        .size:           2
        .value_kind:     hidden_remainder_x
      - .offset:         164
        .size:           2
        .value_kind:     hidden_remainder_y
      - .offset:         166
        .size:           2
        .value_kind:     hidden_remainder_z
      - .offset:         184
        .size:           8
        .value_kind:     hidden_global_offset_x
      - .offset:         192
        .size:           8
        .value_kind:     hidden_global_offset_y
      - .offset:         200
        .size:           8
        .value_kind:     hidden_global_offset_z
      - .offset:         208
        .size:           2
        .value_kind:     hidden_grid_dims
      - .offset:         264
        .size:           4
        .value_kind:     hidden_dynamic_lds_size
    .group_segment_fixed_size: 192
    .kernarg_segment_align: 8
    .kernarg_segment_size: 400
    .language:       OpenCL C
    .language_version:
      - 2
      - 0
    .max_flat_workgroup_size: 1024
    .name:           _ZN4vllm25paged_attention_v2_kernelI14__hip_bfloat16hLi80ELi16ELi128ELNS_18Fp8KVCacheDataTypeE1ELb0ELi512EEEvPfS3_PT_PKS4_PKT0_SA_ifPKiSC_iPKfiiiSE_SE_iiiii
    .private_segment_fixed_size: 76
    .sgpr_count:     46
    .sgpr_spill_count: 0
    .symbol:         _ZN4vllm25paged_attention_v2_kernelI14__hip_bfloat16hLi80ELi16ELi128ELNS_18Fp8KVCacheDataTypeE1ELb0ELi512EEEvPfS3_PT_PKS4_PKT0_SA_ifPKiSC_iPKfiiiSE_SE_iiiii.kd
    .uniform_work_group_size: 1
    .uses_dynamic_stack: false
    .vgpr_count:     184
    .vgpr_spill_count: 0
    .wavefront_size: 32
    .workgroup_processor_mode: 1
  - .args:
      - .actual_access:  write_only
        .address_space:  global
        .offset:         0
        .size:           8
        .value_kind:     global_buffer
      - .actual_access:  write_only
        .address_space:  global
        .offset:         8
        .size:           8
        .value_kind:     global_buffer
      - .actual_access:  write_only
        .address_space:  global
        .offset:         16
        .size:           8
        .value_kind:     global_buffer
      - .actual_access:  read_only
        .address_space:  global
        .offset:         24
        .size:           8
        .value_kind:     global_buffer
      - .actual_access:  read_only
        .address_space:  global
        .offset:         32
        .size:           8
        .value_kind:     global_buffer
      - .actual_access:  read_only
        .address_space:  global
        .offset:         40
        .size:           8
        .value_kind:     global_buffer
      - .offset:         48
        .size:           4
        .value_kind:     by_value
      - .offset:         52
        .size:           4
        .value_kind:     by_value
      - .actual_access:  read_only
        .address_space:  global
        .offset:         56
        .size:           8
        .value_kind:     global_buffer
      - .actual_access:  read_only
        .address_space:  global
        .offset:         64
        .size:           8
        .value_kind:     global_buffer
      - .offset:         72
        .size:           4
        .value_kind:     by_value
      - .address_space:  global
        .offset:         80
        .size:           8
        .value_kind:     global_buffer
      - .offset:         88
        .size:           4
        .value_kind:     by_value
      - .offset:         92
        .size:           4
        .value_kind:     by_value
      - .offset:         96
        .size:           4
        .value_kind:     by_value
      - .address_space:  global
        .offset:         104
        .size:           8
        .value_kind:     global_buffer
      - .address_space:  global
        .offset:         112
        .size:           8
        .value_kind:     global_buffer
      - .offset:         120
        .size:           4
        .value_kind:     by_value
      - .offset:         124
        .size:           4
        .value_kind:     by_value
      - .offset:         128
        .size:           4
        .value_kind:     by_value
      - .offset:         132
        .size:           4
        .value_kind:     by_value
      - .offset:         136
        .size:           4
        .value_kind:     by_value
      - .offset:         144
        .size:           4
        .value_kind:     hidden_block_count_x
      - .offset:         148
        .size:           4
        .value_kind:     hidden_block_count_y
      - .offset:         152
        .size:           4
        .value_kind:     hidden_block_count_z
      - .offset:         156
        .size:           2
        .value_kind:     hidden_group_size_x
      - .offset:         158
        .size:           2
        .value_kind:     hidden_group_size_y
      - .offset:         160
        .size:           2
        .value_kind:     hidden_group_size_z
      - .offset:         162
        .size:           2
        .value_kind:     hidden_remainder_x
      - .offset:         164
        .size:           2
        .value_kind:     hidden_remainder_y
      - .offset:         166
        .size:           2
        .value_kind:     hidden_remainder_z
      - .offset:         184
        .size:           8
        .value_kind:     hidden_global_offset_x
      - .offset:         192
        .size:           8
        .value_kind:     hidden_global_offset_y
      - .offset:         200
        .size:           8
        .value_kind:     hidden_global_offset_z
      - .offset:         208
        .size:           2
        .value_kind:     hidden_grid_dims
      - .offset:         264
        .size:           4
        .value_kind:     hidden_dynamic_lds_size
    .group_segment_fixed_size: 224
    .kernarg_segment_align: 8
    .kernarg_segment_size: 400
    .language:       OpenCL C
    .language_version:
      - 2
      - 0
    .max_flat_workgroup_size: 1024
    .name:           _ZN4vllm25paged_attention_v2_kernelI14__hip_bfloat16hLi96ELi16ELi128ELNS_18Fp8KVCacheDataTypeE1ELb0ELi512EEEvPfS3_PT_PKS4_PKT0_SA_ifPKiSC_iPKfiiiSE_SE_iiiii
    .private_segment_fixed_size: 140
    .sgpr_count:     46
    .sgpr_spill_count: 0
    .symbol:         _ZN4vllm25paged_attention_v2_kernelI14__hip_bfloat16hLi96ELi16ELi128ELNS_18Fp8KVCacheDataTypeE1ELb0ELi512EEEvPfS3_PT_PKS4_PKT0_SA_ifPKiSC_iPKfiiiSE_SE_iiiii.kd
    .uniform_work_group_size: 1
    .uses_dynamic_stack: false
    .vgpr_count:     184
    .vgpr_spill_count: 0
    .wavefront_size: 32
    .workgroup_processor_mode: 1
  - .args:
      - .actual_access:  write_only
        .address_space:  global
        .offset:         0
        .size:           8
        .value_kind:     global_buffer
      - .actual_access:  write_only
        .address_space:  global
        .offset:         8
        .size:           8
        .value_kind:     global_buffer
      - .actual_access:  write_only
        .address_space:  global
        .offset:         16
        .size:           8
        .value_kind:     global_buffer
      - .actual_access:  read_only
        .address_space:  global
        .offset:         24
        .size:           8
        .value_kind:     global_buffer
      - .actual_access:  read_only
        .address_space:  global
        .offset:         32
        .size:           8
        .value_kind:     global_buffer
      - .actual_access:  read_only
        .address_space:  global
        .offset:         40
        .size:           8
        .value_kind:     global_buffer
      - .offset:         48
        .size:           4
        .value_kind:     by_value
      - .offset:         52
        .size:           4
        .value_kind:     by_value
      - .actual_access:  read_only
        .address_space:  global
        .offset:         56
        .size:           8
        .value_kind:     global_buffer
      - .actual_access:  read_only
        .address_space:  global
        .offset:         64
        .size:           8
        .value_kind:     global_buffer
      - .offset:         72
        .size:           4
        .value_kind:     by_value
      - .address_space:  global
        .offset:         80
        .size:           8
        .value_kind:     global_buffer
      - .offset:         88
        .size:           4
        .value_kind:     by_value
      - .offset:         92
        .size:           4
        .value_kind:     by_value
      - .offset:         96
        .size:           4
        .value_kind:     by_value
      - .address_space:  global
        .offset:         104
        .size:           8
        .value_kind:     global_buffer
      - .address_space:  global
        .offset:         112
        .size:           8
        .value_kind:     global_buffer
      - .offset:         120
        .size:           4
        .value_kind:     by_value
      - .offset:         124
        .size:           4
        .value_kind:     by_value
      - .offset:         128
        .size:           4
        .value_kind:     by_value
      - .offset:         132
        .size:           4
        .value_kind:     by_value
      - .offset:         136
        .size:           4
        .value_kind:     by_value
      - .offset:         144
        .size:           4
        .value_kind:     hidden_block_count_x
      - .offset:         148
        .size:           4
        .value_kind:     hidden_block_count_y
      - .offset:         152
        .size:           4
        .value_kind:     hidden_block_count_z
      - .offset:         156
        .size:           2
        .value_kind:     hidden_group_size_x
      - .offset:         158
        .size:           2
        .value_kind:     hidden_group_size_y
      - .offset:         160
        .size:           2
        .value_kind:     hidden_group_size_z
      - .offset:         162
        .size:           2
        .value_kind:     hidden_remainder_x
      - .offset:         164
        .size:           2
        .value_kind:     hidden_remainder_y
      - .offset:         166
        .size:           2
        .value_kind:     hidden_remainder_z
      - .offset:         184
        .size:           8
        .value_kind:     hidden_global_offset_x
      - .offset:         192
        .size:           8
        .value_kind:     hidden_global_offset_y
      - .offset:         200
        .size:           8
        .value_kind:     hidden_global_offset_z
      - .offset:         208
        .size:           2
        .value_kind:     hidden_grid_dims
      - .offset:         264
        .size:           4
        .value_kind:     hidden_dynamic_lds_size
    .group_segment_fixed_size: 256
    .kernarg_segment_align: 8
    .kernarg_segment_size: 400
    .language:       OpenCL C
    .language_version:
      - 2
      - 0
    .max_flat_workgroup_size: 1024
    .name:           _ZN4vllm25paged_attention_v2_kernelI14__hip_bfloat16hLi112ELi16ELi128ELNS_18Fp8KVCacheDataTypeE1ELb0ELi512EEEvPfS3_PT_PKS4_PKT0_SA_ifPKiSC_iPKfiiiSE_SE_iiiii
    .private_segment_fixed_size: 204
    .sgpr_count:     46
    .sgpr_spill_count: 0
    .symbol:         _ZN4vllm25paged_attention_v2_kernelI14__hip_bfloat16hLi112ELi16ELi128ELNS_18Fp8KVCacheDataTypeE1ELb0ELi512EEEvPfS3_PT_PKS4_PKT0_SA_ifPKiSC_iPKfiiiSE_SE_iiiii.kd
    .uniform_work_group_size: 1
    .uses_dynamic_stack: false
    .vgpr_count:     184
    .vgpr_spill_count: 0
    .wavefront_size: 32
    .workgroup_processor_mode: 1
  - .args:
      - .actual_access:  write_only
        .address_space:  global
        .offset:         0
        .size:           8
        .value_kind:     global_buffer
      - .actual_access:  write_only
        .address_space:  global
        .offset:         8
        .size:           8
        .value_kind:     global_buffer
      - .actual_access:  write_only
        .address_space:  global
        .offset:         16
        .size:           8
        .value_kind:     global_buffer
      - .actual_access:  read_only
        .address_space:  global
        .offset:         24
        .size:           8
        .value_kind:     global_buffer
      - .actual_access:  read_only
        .address_space:  global
        .offset:         32
        .size:           8
        .value_kind:     global_buffer
      - .actual_access:  read_only
        .address_space:  global
        .offset:         40
        .size:           8
        .value_kind:     global_buffer
      - .offset:         48
        .size:           4
        .value_kind:     by_value
      - .offset:         52
        .size:           4
        .value_kind:     by_value
      - .actual_access:  read_only
        .address_space:  global
        .offset:         56
        .size:           8
        .value_kind:     global_buffer
      - .actual_access:  read_only
        .address_space:  global
        .offset:         64
        .size:           8
        .value_kind:     global_buffer
      - .offset:         72
        .size:           4
        .value_kind:     by_value
      - .address_space:  global
        .offset:         80
        .size:           8
        .value_kind:     global_buffer
      - .offset:         88
        .size:           4
        .value_kind:     by_value
      - .offset:         92
        .size:           4
        .value_kind:     by_value
      - .offset:         96
        .size:           4
        .value_kind:     by_value
      - .address_space:  global
        .offset:         104
        .size:           8
        .value_kind:     global_buffer
      - .address_space:  global
        .offset:         112
        .size:           8
        .value_kind:     global_buffer
      - .offset:         120
        .size:           4
        .value_kind:     by_value
      - .offset:         124
        .size:           4
        .value_kind:     by_value
      - .offset:         128
        .size:           4
        .value_kind:     by_value
      - .offset:         132
        .size:           4
        .value_kind:     by_value
      - .offset:         136
        .size:           4
        .value_kind:     by_value
      - .offset:         144
        .size:           4
        .value_kind:     hidden_block_count_x
      - .offset:         148
        .size:           4
        .value_kind:     hidden_block_count_y
      - .offset:         152
        .size:           4
        .value_kind:     hidden_block_count_z
      - .offset:         156
        .size:           2
        .value_kind:     hidden_group_size_x
      - .offset:         158
        .size:           2
        .value_kind:     hidden_group_size_y
      - .offset:         160
        .size:           2
        .value_kind:     hidden_group_size_z
      - .offset:         162
        .size:           2
        .value_kind:     hidden_remainder_x
      - .offset:         164
        .size:           2
        .value_kind:     hidden_remainder_y
      - .offset:         166
        .size:           2
        .value_kind:     hidden_remainder_z
      - .offset:         184
        .size:           8
        .value_kind:     hidden_global_offset_x
      - .offset:         192
        .size:           8
        .value_kind:     hidden_global_offset_y
      - .offset:         200
        .size:           8
        .value_kind:     hidden_global_offset_z
      - .offset:         208
        .size:           2
        .value_kind:     hidden_grid_dims
      - .offset:         264
        .size:           4
        .value_kind:     hidden_dynamic_lds_size
    .group_segment_fixed_size: 272
    .kernarg_segment_align: 8
    .kernarg_segment_size: 400
    .language:       OpenCL C
    .language_version:
      - 2
      - 0
    .max_flat_workgroup_size: 1024
    .name:           _ZN4vllm25paged_attention_v2_kernelI14__hip_bfloat16hLi120ELi16ELi128ELNS_18Fp8KVCacheDataTypeE1ELb0ELi512EEEvPfS3_PT_PKS4_PKT0_SA_ifPKiSC_iPKfiiiSE_SE_iiiii
    .private_segment_fixed_size: 236
    .sgpr_count:     46
    .sgpr_spill_count: 0
    .symbol:         _ZN4vllm25paged_attention_v2_kernelI14__hip_bfloat16hLi120ELi16ELi128ELNS_18Fp8KVCacheDataTypeE1ELb0ELi512EEEvPfS3_PT_PKS4_PKT0_SA_ifPKiSC_iPKfiiiSE_SE_iiiii.kd
    .uniform_work_group_size: 1
    .uses_dynamic_stack: false
    .vgpr_count:     184
    .vgpr_spill_count: 0
    .wavefront_size: 32
    .workgroup_processor_mode: 1
  - .args:
      - .actual_access:  write_only
        .address_space:  global
        .offset:         0
        .size:           8
        .value_kind:     global_buffer
      - .actual_access:  write_only
        .address_space:  global
        .offset:         8
        .size:           8
        .value_kind:     global_buffer
      - .actual_access:  write_only
        .address_space:  global
        .offset:         16
        .size:           8
        .value_kind:     global_buffer
      - .actual_access:  read_only
        .address_space:  global
        .offset:         24
        .size:           8
        .value_kind:     global_buffer
      - .actual_access:  read_only
        .address_space:  global
        .offset:         32
        .size:           8
        .value_kind:     global_buffer
      - .actual_access:  read_only
        .address_space:  global
        .offset:         40
        .size:           8
        .value_kind:     global_buffer
      - .offset:         48
        .size:           4
        .value_kind:     by_value
      - .offset:         52
        .size:           4
        .value_kind:     by_value
      - .actual_access:  read_only
        .address_space:  global
        .offset:         56
        .size:           8
        .value_kind:     global_buffer
      - .actual_access:  read_only
        .address_space:  global
        .offset:         64
        .size:           8
        .value_kind:     global_buffer
      - .offset:         72
        .size:           4
        .value_kind:     by_value
      - .address_space:  global
        .offset:         80
        .size:           8
        .value_kind:     global_buffer
      - .offset:         88
        .size:           4
        .value_kind:     by_value
      - .offset:         92
        .size:           4
        .value_kind:     by_value
      - .offset:         96
        .size:           4
        .value_kind:     by_value
      - .address_space:  global
        .offset:         104
        .size:           8
        .value_kind:     global_buffer
      - .address_space:  global
        .offset:         112
        .size:           8
        .value_kind:     global_buffer
      - .offset:         120
        .size:           4
        .value_kind:     by_value
      - .offset:         124
        .size:           4
        .value_kind:     by_value
      - .offset:         128
        .size:           4
        .value_kind:     by_value
      - .offset:         132
        .size:           4
        .value_kind:     by_value
      - .offset:         136
        .size:           4
        .value_kind:     by_value
      - .offset:         144
        .size:           4
        .value_kind:     hidden_block_count_x
      - .offset:         148
        .size:           4
        .value_kind:     hidden_block_count_y
      - .offset:         152
        .size:           4
        .value_kind:     hidden_block_count_z
      - .offset:         156
        .size:           2
        .value_kind:     hidden_group_size_x
      - .offset:         158
        .size:           2
        .value_kind:     hidden_group_size_y
      - .offset:         160
        .size:           2
        .value_kind:     hidden_group_size_z
      - .offset:         162
        .size:           2
        .value_kind:     hidden_remainder_x
      - .offset:         164
        .size:           2
        .value_kind:     hidden_remainder_y
      - .offset:         166
        .size:           2
        .value_kind:     hidden_remainder_z
      - .offset:         184
        .size:           8
        .value_kind:     hidden_global_offset_x
      - .offset:         192
        .size:           8
        .value_kind:     hidden_global_offset_y
      - .offset:         200
        .size:           8
        .value_kind:     hidden_global_offset_z
      - .offset:         208
        .size:           2
        .value_kind:     hidden_grid_dims
      - .offset:         264
        .size:           4
        .value_kind:     hidden_dynamic_lds_size
    .group_segment_fixed_size: 288
    .kernarg_segment_align: 8
    .kernarg_segment_size: 400
    .language:       OpenCL C
    .language_version:
      - 2
      - 0
    .max_flat_workgroup_size: 1024
    .name:           _ZN4vllm25paged_attention_v2_kernelI14__hip_bfloat16hLi128ELi16ELi128ELNS_18Fp8KVCacheDataTypeE1ELb0ELi512EEEvPfS3_PT_PKS4_PKT0_SA_ifPKiSC_iPKfiiiSE_SE_iiiii
    .private_segment_fixed_size: 268
    .sgpr_count:     46
    .sgpr_spill_count: 0
    .symbol:         _ZN4vllm25paged_attention_v2_kernelI14__hip_bfloat16hLi128ELi16ELi128ELNS_18Fp8KVCacheDataTypeE1ELb0ELi512EEEvPfS3_PT_PKS4_PKT0_SA_ifPKiSC_iPKfiiiSE_SE_iiiii.kd
    .uniform_work_group_size: 1
    .uses_dynamic_stack: false
    .vgpr_count:     184
    .vgpr_spill_count: 0
    .wavefront_size: 32
    .workgroup_processor_mode: 1
  - .args:
      - .actual_access:  write_only
        .address_space:  global
        .offset:         0
        .size:           8
        .value_kind:     global_buffer
      - .actual_access:  write_only
        .address_space:  global
        .offset:         8
        .size:           8
        .value_kind:     global_buffer
      - .actual_access:  write_only
        .address_space:  global
        .offset:         16
        .size:           8
        .value_kind:     global_buffer
      - .actual_access:  read_only
        .address_space:  global
        .offset:         24
        .size:           8
        .value_kind:     global_buffer
      - .actual_access:  read_only
        .address_space:  global
        .offset:         32
        .size:           8
        .value_kind:     global_buffer
      - .actual_access:  read_only
        .address_space:  global
        .offset:         40
        .size:           8
        .value_kind:     global_buffer
      - .offset:         48
        .size:           4
        .value_kind:     by_value
      - .offset:         52
        .size:           4
        .value_kind:     by_value
      - .actual_access:  read_only
        .address_space:  global
        .offset:         56
        .size:           8
        .value_kind:     global_buffer
      - .actual_access:  read_only
        .address_space:  global
        .offset:         64
        .size:           8
        .value_kind:     global_buffer
      - .offset:         72
        .size:           4
        .value_kind:     by_value
      - .address_space:  global
        .offset:         80
        .size:           8
        .value_kind:     global_buffer
      - .offset:         88
        .size:           4
        .value_kind:     by_value
      - .offset:         92
        .size:           4
        .value_kind:     by_value
      - .offset:         96
        .size:           4
        .value_kind:     by_value
      - .address_space:  global
        .offset:         104
        .size:           8
        .value_kind:     global_buffer
      - .address_space:  global
        .offset:         112
        .size:           8
        .value_kind:     global_buffer
      - .offset:         120
        .size:           4
        .value_kind:     by_value
      - .offset:         124
        .size:           4
        .value_kind:     by_value
      - .offset:         128
        .size:           4
        .value_kind:     by_value
      - .offset:         132
        .size:           4
        .value_kind:     by_value
      - .offset:         136
        .size:           4
        .value_kind:     by_value
      - .offset:         144
        .size:           4
        .value_kind:     hidden_block_count_x
      - .offset:         148
        .size:           4
        .value_kind:     hidden_block_count_y
      - .offset:         152
        .size:           4
        .value_kind:     hidden_block_count_z
      - .offset:         156
        .size:           2
        .value_kind:     hidden_group_size_x
      - .offset:         158
        .size:           2
        .value_kind:     hidden_group_size_y
      - .offset:         160
        .size:           2
        .value_kind:     hidden_group_size_z
      - .offset:         162
        .size:           2
        .value_kind:     hidden_remainder_x
      - .offset:         164
        .size:           2
        .value_kind:     hidden_remainder_y
      - .offset:         166
        .size:           2
        .value_kind:     hidden_remainder_z
      - .offset:         184
        .size:           8
        .value_kind:     hidden_global_offset_x
      - .offset:         192
        .size:           8
        .value_kind:     hidden_global_offset_y
      - .offset:         200
        .size:           8
        .value_kind:     hidden_global_offset_z
      - .offset:         208
        .size:           2
        .value_kind:     hidden_grid_dims
      - .offset:         264
        .size:           4
        .value_kind:     hidden_dynamic_lds_size
    .group_segment_fixed_size: 416
    .kernarg_segment_align: 8
    .kernarg_segment_size: 400
    .language:       OpenCL C
    .language_version:
      - 2
      - 0
    .max_flat_workgroup_size: 1024
    .name:           _ZN4vllm25paged_attention_v2_kernelI14__hip_bfloat16hLi192ELi16ELi128ELNS_18Fp8KVCacheDataTypeE1ELb0ELi512EEEvPfS3_PT_PKS4_PKT0_SA_ifPKiSC_iPKfiiiSE_SE_iiiii
    .private_segment_fixed_size: 512
    .sgpr_count:     46
    .sgpr_spill_count: 0
    .symbol:         _ZN4vllm25paged_attention_v2_kernelI14__hip_bfloat16hLi192ELi16ELi128ELNS_18Fp8KVCacheDataTypeE1ELb0ELi512EEEvPfS3_PT_PKS4_PKT0_SA_ifPKiSC_iPKfiiiSE_SE_iiiii.kd
    .uniform_work_group_size: 1
    .uses_dynamic_stack: false
    .vgpr_count:     192
    .vgpr_spill_count: 0
    .wavefront_size: 32
    .workgroup_processor_mode: 1
  - .args:
      - .actual_access:  write_only
        .address_space:  global
        .offset:         0
        .size:           8
        .value_kind:     global_buffer
      - .actual_access:  write_only
        .address_space:  global
        .offset:         8
        .size:           8
        .value_kind:     global_buffer
      - .actual_access:  write_only
        .address_space:  global
        .offset:         16
        .size:           8
        .value_kind:     global_buffer
      - .actual_access:  read_only
        .address_space:  global
        .offset:         24
        .size:           8
        .value_kind:     global_buffer
      - .actual_access:  read_only
        .address_space:  global
        .offset:         32
        .size:           8
        .value_kind:     global_buffer
      - .actual_access:  read_only
        .address_space:  global
        .offset:         40
        .size:           8
        .value_kind:     global_buffer
      - .offset:         48
        .size:           4
        .value_kind:     by_value
      - .offset:         52
        .size:           4
        .value_kind:     by_value
      - .actual_access:  read_only
        .address_space:  global
        .offset:         56
        .size:           8
        .value_kind:     global_buffer
      - .actual_access:  read_only
        .address_space:  global
        .offset:         64
        .size:           8
        .value_kind:     global_buffer
      - .offset:         72
        .size:           4
        .value_kind:     by_value
      - .address_space:  global
        .offset:         80
        .size:           8
        .value_kind:     global_buffer
      - .offset:         88
        .size:           4
        .value_kind:     by_value
      - .offset:         92
        .size:           4
        .value_kind:     by_value
      - .offset:         96
        .size:           4
        .value_kind:     by_value
      - .address_space:  global
        .offset:         104
        .size:           8
        .value_kind:     global_buffer
      - .address_space:  global
        .offset:         112
        .size:           8
        .value_kind:     global_buffer
      - .offset:         120
        .size:           4
        .value_kind:     by_value
      - .offset:         124
        .size:           4
        .value_kind:     by_value
      - .offset:         128
        .size:           4
        .value_kind:     by_value
      - .offset:         132
        .size:           4
        .value_kind:     by_value
      - .offset:         136
        .size:           4
        .value_kind:     by_value
      - .offset:         144
        .size:           4
        .value_kind:     hidden_block_count_x
      - .offset:         148
        .size:           4
        .value_kind:     hidden_block_count_y
      - .offset:         152
        .size:           4
        .value_kind:     hidden_block_count_z
      - .offset:         156
        .size:           2
        .value_kind:     hidden_group_size_x
      - .offset:         158
        .size:           2
        .value_kind:     hidden_group_size_y
      - .offset:         160
        .size:           2
        .value_kind:     hidden_group_size_z
      - .offset:         162
        .size:           2
        .value_kind:     hidden_remainder_x
      - .offset:         164
        .size:           2
        .value_kind:     hidden_remainder_y
      - .offset:         166
        .size:           2
        .value_kind:     hidden_remainder_z
      - .offset:         184
        .size:           8
        .value_kind:     hidden_global_offset_x
      - .offset:         192
        .size:           8
        .value_kind:     hidden_global_offset_y
      - .offset:         200
        .size:           8
        .value_kind:     hidden_global_offset_z
      - .offset:         208
        .size:           2
        .value_kind:     hidden_grid_dims
      - .offset:         264
        .size:           4
        .value_kind:     hidden_dynamic_lds_size
    .group_segment_fixed_size: 544
    .kernarg_segment_align: 8
    .kernarg_segment_size: 400
    .language:       OpenCL C
    .language_version:
      - 2
      - 0
    .max_flat_workgroup_size: 1024
    .name:           _ZN4vllm25paged_attention_v2_kernelI14__hip_bfloat16hLi256ELi16ELi128ELNS_18Fp8KVCacheDataTypeE1ELb0ELi512EEEvPfS3_PT_PKS4_PKT0_SA_ifPKiSC_iPKfiiiSE_SE_iiiii
    .private_segment_fixed_size: 772
    .sgpr_count:     46
    .sgpr_spill_count: 0
    .symbol:         _ZN4vllm25paged_attention_v2_kernelI14__hip_bfloat16hLi256ELi16ELi128ELNS_18Fp8KVCacheDataTypeE1ELb0ELi512EEEvPfS3_PT_PKS4_PKT0_SA_ifPKiSC_iPKfiiiSE_SE_iiiii.kd
    .uniform_work_group_size: 1
    .uses_dynamic_stack: false
    .vgpr_count:     192
    .vgpr_spill_count: 0
    .wavefront_size: 32
    .workgroup_processor_mode: 1
  - .args:
      - .actual_access:  write_only
        .address_space:  global
        .offset:         0
        .size:           8
        .value_kind:     global_buffer
      - .actual_access:  write_only
        .address_space:  global
        .offset:         8
        .size:           8
        .value_kind:     global_buffer
      - .actual_access:  write_only
        .address_space:  global
        .offset:         16
        .size:           8
        .value_kind:     global_buffer
      - .actual_access:  read_only
        .address_space:  global
        .offset:         24
        .size:           8
        .value_kind:     global_buffer
      - .actual_access:  read_only
        .address_space:  global
        .offset:         32
        .size:           8
        .value_kind:     global_buffer
      - .actual_access:  read_only
        .address_space:  global
        .offset:         40
        .size:           8
        .value_kind:     global_buffer
      - .offset:         48
        .size:           4
        .value_kind:     by_value
      - .offset:         52
        .size:           4
        .value_kind:     by_value
      - .actual_access:  read_only
        .address_space:  global
        .offset:         56
        .size:           8
        .value_kind:     global_buffer
      - .actual_access:  read_only
        .address_space:  global
        .offset:         64
        .size:           8
        .value_kind:     global_buffer
      - .offset:         72
        .size:           4
        .value_kind:     by_value
      - .address_space:  global
        .offset:         80
        .size:           8
        .value_kind:     global_buffer
      - .offset:         88
        .size:           4
        .value_kind:     by_value
      - .offset:         92
        .size:           4
        .value_kind:     by_value
      - .offset:         96
        .size:           4
        .value_kind:     by_value
      - .address_space:  global
        .offset:         104
        .size:           8
        .value_kind:     global_buffer
      - .address_space:  global
        .offset:         112
        .size:           8
        .value_kind:     global_buffer
      - .offset:         120
        .size:           4
        .value_kind:     by_value
      - .offset:         124
        .size:           4
        .value_kind:     by_value
      - .offset:         128
        .size:           4
        .value_kind:     by_value
      - .offset:         132
        .size:           4
        .value_kind:     by_value
      - .offset:         136
        .size:           4
        .value_kind:     by_value
      - .offset:         144
        .size:           4
        .value_kind:     hidden_block_count_x
      - .offset:         148
        .size:           4
        .value_kind:     hidden_block_count_y
      - .offset:         152
        .size:           4
        .value_kind:     hidden_block_count_z
      - .offset:         156
        .size:           2
        .value_kind:     hidden_group_size_x
      - .offset:         158
        .size:           2
        .value_kind:     hidden_group_size_y
      - .offset:         160
        .size:           2
        .value_kind:     hidden_group_size_z
      - .offset:         162
        .size:           2
        .value_kind:     hidden_remainder_x
      - .offset:         164
        .size:           2
        .value_kind:     hidden_remainder_y
      - .offset:         166
        .size:           2
        .value_kind:     hidden_remainder_z
      - .offset:         184
        .size:           8
        .value_kind:     hidden_global_offset_x
      - .offset:         192
        .size:           8
        .value_kind:     hidden_global_offset_y
      - .offset:         200
        .size:           8
        .value_kind:     hidden_global_offset_z
      - .offset:         208
        .size:           2
        .value_kind:     hidden_grid_dims
      - .offset:         264
        .size:           4
        .value_kind:     hidden_dynamic_lds_size
    .group_segment_fixed_size: 96
    .kernarg_segment_align: 8
    .kernarg_segment_size: 400
    .language:       OpenCL C
    .language_version:
      - 2
      - 0
    .max_flat_workgroup_size: 1024
    .name:           _ZN4vllm25paged_attention_v2_kernelI14__hip_bfloat16hLi32ELi32ELi128ELNS_18Fp8KVCacheDataTypeE1ELb1ELi512EEEvPfS3_PT_PKS4_PKT0_SA_ifPKiSC_iPKfiiiSE_SE_iiiii
    .private_segment_fixed_size: 52
    .sgpr_count:     46
    .sgpr_spill_count: 0
    .symbol:         _ZN4vllm25paged_attention_v2_kernelI14__hip_bfloat16hLi32ELi32ELi128ELNS_18Fp8KVCacheDataTypeE1ELb1ELi512EEEvPfS3_PT_PKS4_PKT0_SA_ifPKiSC_iPKfiiiSE_SE_iiiii.kd
    .uniform_work_group_size: 1
    .uses_dynamic_stack: false
    .vgpr_count:     184
    .vgpr_spill_count: 0
    .wavefront_size: 32
    .workgroup_processor_mode: 1
  - .args:
      - .actual_access:  write_only
        .address_space:  global
        .offset:         0
        .size:           8
        .value_kind:     global_buffer
      - .actual_access:  write_only
        .address_space:  global
        .offset:         8
        .size:           8
        .value_kind:     global_buffer
      - .actual_access:  write_only
        .address_space:  global
        .offset:         16
        .size:           8
        .value_kind:     global_buffer
      - .actual_access:  read_only
        .address_space:  global
        .offset:         24
        .size:           8
        .value_kind:     global_buffer
      - .actual_access:  read_only
        .address_space:  global
        .offset:         32
        .size:           8
        .value_kind:     global_buffer
      - .actual_access:  read_only
        .address_space:  global
        .offset:         40
        .size:           8
        .value_kind:     global_buffer
      - .offset:         48
        .size:           4
        .value_kind:     by_value
      - .offset:         52
        .size:           4
        .value_kind:     by_value
      - .actual_access:  read_only
        .address_space:  global
        .offset:         56
        .size:           8
        .value_kind:     global_buffer
      - .actual_access:  read_only
        .address_space:  global
        .offset:         64
        .size:           8
        .value_kind:     global_buffer
      - .offset:         72
        .size:           4
        .value_kind:     by_value
      - .address_space:  global
        .offset:         80
        .size:           8
        .value_kind:     global_buffer
      - .offset:         88
        .size:           4
        .value_kind:     by_value
      - .offset:         92
        .size:           4
        .value_kind:     by_value
      - .offset:         96
        .size:           4
        .value_kind:     by_value
      - .address_space:  global
        .offset:         104
        .size:           8
        .value_kind:     global_buffer
      - .address_space:  global
        .offset:         112
        .size:           8
        .value_kind:     global_buffer
      - .offset:         120
        .size:           4
        .value_kind:     by_value
      - .offset:         124
        .size:           4
        .value_kind:     by_value
      - .offset:         128
        .size:           4
        .value_kind:     by_value
      - .offset:         132
        .size:           4
        .value_kind:     by_value
      - .offset:         136
        .size:           4
        .value_kind:     by_value
      - .offset:         144
        .size:           4
        .value_kind:     hidden_block_count_x
      - .offset:         148
        .size:           4
        .value_kind:     hidden_block_count_y
      - .offset:         152
        .size:           4
        .value_kind:     hidden_block_count_z
      - .offset:         156
        .size:           2
        .value_kind:     hidden_group_size_x
      - .offset:         158
        .size:           2
        .value_kind:     hidden_group_size_y
      - .offset:         160
        .size:           2
        .value_kind:     hidden_group_size_z
      - .offset:         162
        .size:           2
        .value_kind:     hidden_remainder_x
      - .offset:         164
        .size:           2
        .value_kind:     hidden_remainder_y
      - .offset:         166
        .size:           2
        .value_kind:     hidden_remainder_z
      - .offset:         184
        .size:           8
        .value_kind:     hidden_global_offset_x
      - .offset:         192
        .size:           8
        .value_kind:     hidden_global_offset_y
      - .offset:         200
        .size:           8
        .value_kind:     hidden_global_offset_z
      - .offset:         208
        .size:           2
        .value_kind:     hidden_grid_dims
      - .offset:         264
        .size:           4
        .value_kind:     hidden_dynamic_lds_size
    .group_segment_fixed_size: 160
    .kernarg_segment_align: 8
    .kernarg_segment_size: 400
    .language:       OpenCL C
    .language_version:
      - 2
      - 0
    .max_flat_workgroup_size: 1024
    .name:           _ZN4vllm25paged_attention_v2_kernelI14__hip_bfloat16hLi64ELi32ELi128ELNS_18Fp8KVCacheDataTypeE1ELb1ELi512EEEvPfS3_PT_PKS4_PKT0_SA_ifPKiSC_iPKfiiiSE_SE_iiiii
    .private_segment_fixed_size: 300
    .sgpr_count:     46
    .sgpr_spill_count: 0
    .symbol:         _ZN4vllm25paged_attention_v2_kernelI14__hip_bfloat16hLi64ELi32ELi128ELNS_18Fp8KVCacheDataTypeE1ELb1ELi512EEEvPfS3_PT_PKS4_PKT0_SA_ifPKiSC_iPKfiiiSE_SE_iiiii.kd
    .uniform_work_group_size: 1
    .uses_dynamic_stack: false
    .vgpr_count:     184
    .vgpr_spill_count: 0
    .wavefront_size: 32
    .workgroup_processor_mode: 1
  - .args:
      - .actual_access:  write_only
        .address_space:  global
        .offset:         0
        .size:           8
        .value_kind:     global_buffer
      - .actual_access:  write_only
        .address_space:  global
        .offset:         8
        .size:           8
        .value_kind:     global_buffer
      - .actual_access:  write_only
        .address_space:  global
        .offset:         16
        .size:           8
        .value_kind:     global_buffer
      - .actual_access:  read_only
        .address_space:  global
        .offset:         24
        .size:           8
        .value_kind:     global_buffer
      - .actual_access:  read_only
        .address_space:  global
        .offset:         32
        .size:           8
        .value_kind:     global_buffer
      - .actual_access:  read_only
        .address_space:  global
        .offset:         40
        .size:           8
        .value_kind:     global_buffer
      - .offset:         48
        .size:           4
        .value_kind:     by_value
      - .offset:         52
        .size:           4
        .value_kind:     by_value
      - .actual_access:  read_only
        .address_space:  global
        .offset:         56
        .size:           8
        .value_kind:     global_buffer
      - .actual_access:  read_only
        .address_space:  global
        .offset:         64
        .size:           8
        .value_kind:     global_buffer
      - .offset:         72
        .size:           4
        .value_kind:     by_value
      - .address_space:  global
        .offset:         80
        .size:           8
        .value_kind:     global_buffer
      - .offset:         88
        .size:           4
        .value_kind:     by_value
      - .offset:         92
        .size:           4
        .value_kind:     by_value
      - .offset:         96
        .size:           4
        .value_kind:     by_value
      - .address_space:  global
        .offset:         104
        .size:           8
        .value_kind:     global_buffer
      - .address_space:  global
        .offset:         112
        .size:           8
        .value_kind:     global_buffer
      - .offset:         120
        .size:           4
        .value_kind:     by_value
      - .offset:         124
        .size:           4
        .value_kind:     by_value
      - .offset:         128
        .size:           4
        .value_kind:     by_value
      - .offset:         132
        .size:           4
        .value_kind:     by_value
      - .offset:         136
        .size:           4
        .value_kind:     by_value
      - .offset:         144
        .size:           4
        .value_kind:     hidden_block_count_x
      - .offset:         148
        .size:           4
        .value_kind:     hidden_block_count_y
      - .offset:         152
        .size:           4
        .value_kind:     hidden_block_count_z
      - .offset:         156
        .size:           2
        .value_kind:     hidden_group_size_x
      - .offset:         158
        .size:           2
        .value_kind:     hidden_group_size_y
      - .offset:         160
        .size:           2
        .value_kind:     hidden_group_size_z
      - .offset:         162
        .size:           2
        .value_kind:     hidden_remainder_x
      - .offset:         164
        .size:           2
        .value_kind:     hidden_remainder_y
      - .offset:         166
        .size:           2
        .value_kind:     hidden_remainder_z
      - .offset:         184
        .size:           8
        .value_kind:     hidden_global_offset_x
      - .offset:         192
        .size:           8
        .value_kind:     hidden_global_offset_y
      - .offset:         200
        .size:           8
        .value_kind:     hidden_global_offset_z
      - .offset:         208
        .size:           2
        .value_kind:     hidden_grid_dims
      - .offset:         264
        .size:           4
        .value_kind:     hidden_dynamic_lds_size
    .group_segment_fixed_size: 192
    .kernarg_segment_align: 8
    .kernarg_segment_size: 400
    .language:       OpenCL C
    .language_version:
      - 2
      - 0
    .max_flat_workgroup_size: 1024
    .name:           _ZN4vllm25paged_attention_v2_kernelI14__hip_bfloat16hLi80ELi32ELi128ELNS_18Fp8KVCacheDataTypeE1ELb1ELi512EEEvPfS3_PT_PKS4_PKT0_SA_ifPKiSC_iPKfiiiSE_SE_iiiii
    .private_segment_fixed_size: 432
    .sgpr_count:     46
    .sgpr_spill_count: 0
    .symbol:         _ZN4vllm25paged_attention_v2_kernelI14__hip_bfloat16hLi80ELi32ELi128ELNS_18Fp8KVCacheDataTypeE1ELb1ELi512EEEvPfS3_PT_PKS4_PKT0_SA_ifPKiSC_iPKfiiiSE_SE_iiiii.kd
    .uniform_work_group_size: 1
    .uses_dynamic_stack: false
    .vgpr_count:     192
    .vgpr_spill_count: 0
    .wavefront_size: 32
    .workgroup_processor_mode: 1
  - .args:
      - .actual_access:  write_only
        .address_space:  global
        .offset:         0
        .size:           8
        .value_kind:     global_buffer
      - .actual_access:  write_only
        .address_space:  global
        .offset:         8
        .size:           8
        .value_kind:     global_buffer
      - .actual_access:  write_only
        .address_space:  global
        .offset:         16
        .size:           8
        .value_kind:     global_buffer
      - .actual_access:  read_only
        .address_space:  global
        .offset:         24
        .size:           8
        .value_kind:     global_buffer
      - .actual_access:  read_only
        .address_space:  global
        .offset:         32
        .size:           8
        .value_kind:     global_buffer
      - .actual_access:  read_only
        .address_space:  global
        .offset:         40
        .size:           8
        .value_kind:     global_buffer
      - .offset:         48
        .size:           4
        .value_kind:     by_value
      - .offset:         52
        .size:           4
        .value_kind:     by_value
      - .actual_access:  read_only
        .address_space:  global
        .offset:         56
        .size:           8
        .value_kind:     global_buffer
      - .actual_access:  read_only
        .address_space:  global
        .offset:         64
        .size:           8
        .value_kind:     global_buffer
      - .offset:         72
        .size:           4
        .value_kind:     by_value
      - .address_space:  global
        .offset:         80
        .size:           8
        .value_kind:     global_buffer
      - .offset:         88
        .size:           4
        .value_kind:     by_value
      - .offset:         92
        .size:           4
        .value_kind:     by_value
      - .offset:         96
        .size:           4
        .value_kind:     by_value
      - .address_space:  global
        .offset:         104
        .size:           8
        .value_kind:     global_buffer
      - .address_space:  global
        .offset:         112
        .size:           8
        .value_kind:     global_buffer
      - .offset:         120
        .size:           4
        .value_kind:     by_value
      - .offset:         124
        .size:           4
        .value_kind:     by_value
      - .offset:         128
        .size:           4
        .value_kind:     by_value
      - .offset:         132
        .size:           4
        .value_kind:     by_value
      - .offset:         136
        .size:           4
        .value_kind:     by_value
      - .offset:         144
        .size:           4
        .value_kind:     hidden_block_count_x
      - .offset:         148
        .size:           4
        .value_kind:     hidden_block_count_y
      - .offset:         152
        .size:           4
        .value_kind:     hidden_block_count_z
      - .offset:         156
        .size:           2
        .value_kind:     hidden_group_size_x
      - .offset:         158
        .size:           2
        .value_kind:     hidden_group_size_y
      - .offset:         160
        .size:           2
        .value_kind:     hidden_group_size_z
      - .offset:         162
        .size:           2
        .value_kind:     hidden_remainder_x
      - .offset:         164
        .size:           2
        .value_kind:     hidden_remainder_y
      - .offset:         166
        .size:           2
        .value_kind:     hidden_remainder_z
      - .offset:         184
        .size:           8
        .value_kind:     hidden_global_offset_x
      - .offset:         192
        .size:           8
        .value_kind:     hidden_global_offset_y
      - .offset:         200
        .size:           8
        .value_kind:     hidden_global_offset_z
      - .offset:         208
        .size:           2
        .value_kind:     hidden_grid_dims
      - .offset:         264
        .size:           4
        .value_kind:     hidden_dynamic_lds_size
    .group_segment_fixed_size: 224
    .kernarg_segment_align: 8
    .kernarg_segment_size: 400
    .language:       OpenCL C
    .language_version:
      - 2
      - 0
    .max_flat_workgroup_size: 1024
    .name:           _ZN4vllm25paged_attention_v2_kernelI14__hip_bfloat16hLi96ELi32ELi128ELNS_18Fp8KVCacheDataTypeE1ELb1ELi512EEEvPfS3_PT_PKS4_PKT0_SA_ifPKiSC_iPKfiiiSE_SE_iiiii
    .private_segment_fixed_size: 560
    .sgpr_count:     46
    .sgpr_spill_count: 0
    .symbol:         _ZN4vllm25paged_attention_v2_kernelI14__hip_bfloat16hLi96ELi32ELi128ELNS_18Fp8KVCacheDataTypeE1ELb1ELi512EEEvPfS3_PT_PKS4_PKT0_SA_ifPKiSC_iPKfiiiSE_SE_iiiii.kd
    .uniform_work_group_size: 1
    .uses_dynamic_stack: false
    .vgpr_count:     192
    .vgpr_spill_count: 0
    .wavefront_size: 32
    .workgroup_processor_mode: 1
  - .args:
      - .actual_access:  write_only
        .address_space:  global
        .offset:         0
        .size:           8
        .value_kind:     global_buffer
      - .actual_access:  write_only
        .address_space:  global
        .offset:         8
        .size:           8
        .value_kind:     global_buffer
      - .actual_access:  write_only
        .address_space:  global
        .offset:         16
        .size:           8
        .value_kind:     global_buffer
      - .actual_access:  read_only
        .address_space:  global
        .offset:         24
        .size:           8
        .value_kind:     global_buffer
      - .actual_access:  read_only
        .address_space:  global
        .offset:         32
        .size:           8
        .value_kind:     global_buffer
      - .actual_access:  read_only
        .address_space:  global
        .offset:         40
        .size:           8
        .value_kind:     global_buffer
      - .offset:         48
        .size:           4
        .value_kind:     by_value
      - .offset:         52
        .size:           4
        .value_kind:     by_value
      - .actual_access:  read_only
        .address_space:  global
        .offset:         56
        .size:           8
        .value_kind:     global_buffer
      - .actual_access:  read_only
        .address_space:  global
        .offset:         64
        .size:           8
        .value_kind:     global_buffer
      - .offset:         72
        .size:           4
        .value_kind:     by_value
      - .address_space:  global
        .offset:         80
        .size:           8
        .value_kind:     global_buffer
      - .offset:         88
        .size:           4
        .value_kind:     by_value
      - .offset:         92
        .size:           4
        .value_kind:     by_value
      - .offset:         96
        .size:           4
        .value_kind:     by_value
      - .address_space:  global
        .offset:         104
        .size:           8
        .value_kind:     global_buffer
      - .address_space:  global
        .offset:         112
        .size:           8
        .value_kind:     global_buffer
      - .offset:         120
        .size:           4
        .value_kind:     by_value
      - .offset:         124
        .size:           4
        .value_kind:     by_value
      - .offset:         128
        .size:           4
        .value_kind:     by_value
      - .offset:         132
        .size:           4
        .value_kind:     by_value
      - .offset:         136
        .size:           4
        .value_kind:     by_value
      - .offset:         144
        .size:           4
        .value_kind:     hidden_block_count_x
      - .offset:         148
        .size:           4
        .value_kind:     hidden_block_count_y
      - .offset:         152
        .size:           4
        .value_kind:     hidden_block_count_z
      - .offset:         156
        .size:           2
        .value_kind:     hidden_group_size_x
      - .offset:         158
        .size:           2
        .value_kind:     hidden_group_size_y
      - .offset:         160
        .size:           2
        .value_kind:     hidden_group_size_z
      - .offset:         162
        .size:           2
        .value_kind:     hidden_remainder_x
      - .offset:         164
        .size:           2
        .value_kind:     hidden_remainder_y
      - .offset:         166
        .size:           2
        .value_kind:     hidden_remainder_z
      - .offset:         184
        .size:           8
        .value_kind:     hidden_global_offset_x
      - .offset:         192
        .size:           8
        .value_kind:     hidden_global_offset_y
      - .offset:         200
        .size:           8
        .value_kind:     hidden_global_offset_z
      - .offset:         208
        .size:           2
        .value_kind:     hidden_grid_dims
      - .offset:         264
        .size:           4
        .value_kind:     hidden_dynamic_lds_size
    .group_segment_fixed_size: 256
    .kernarg_segment_align: 8
    .kernarg_segment_size: 400
    .language:       OpenCL C
    .language_version:
      - 2
      - 0
    .max_flat_workgroup_size: 1024
    .name:           _ZN4vllm25paged_attention_v2_kernelI14__hip_bfloat16hLi112ELi32ELi128ELNS_18Fp8KVCacheDataTypeE1ELb1ELi512EEEvPfS3_PT_PKS4_PKT0_SA_ifPKiSC_iPKfiiiSE_SE_iiiii
    .private_segment_fixed_size: 688
    .sgpr_count:     46
    .sgpr_spill_count: 0
    .symbol:         _ZN4vllm25paged_attention_v2_kernelI14__hip_bfloat16hLi112ELi32ELi128ELNS_18Fp8KVCacheDataTypeE1ELb1ELi512EEEvPfS3_PT_PKS4_PKT0_SA_ifPKiSC_iPKfiiiSE_SE_iiiii.kd
    .uniform_work_group_size: 1
    .uses_dynamic_stack: false
    .vgpr_count:     192
    .vgpr_spill_count: 0
    .wavefront_size: 32
    .workgroup_processor_mode: 1
  - .args:
      - .actual_access:  write_only
        .address_space:  global
        .offset:         0
        .size:           8
        .value_kind:     global_buffer
      - .actual_access:  write_only
        .address_space:  global
        .offset:         8
        .size:           8
        .value_kind:     global_buffer
      - .actual_access:  write_only
        .address_space:  global
        .offset:         16
        .size:           8
        .value_kind:     global_buffer
      - .actual_access:  read_only
        .address_space:  global
        .offset:         24
        .size:           8
        .value_kind:     global_buffer
      - .actual_access:  read_only
        .address_space:  global
        .offset:         32
        .size:           8
        .value_kind:     global_buffer
      - .actual_access:  read_only
        .address_space:  global
        .offset:         40
        .size:           8
        .value_kind:     global_buffer
      - .offset:         48
        .size:           4
        .value_kind:     by_value
      - .offset:         52
        .size:           4
        .value_kind:     by_value
      - .actual_access:  read_only
        .address_space:  global
        .offset:         56
        .size:           8
        .value_kind:     global_buffer
      - .actual_access:  read_only
        .address_space:  global
        .offset:         64
        .size:           8
        .value_kind:     global_buffer
      - .offset:         72
        .size:           4
        .value_kind:     by_value
      - .address_space:  global
        .offset:         80
        .size:           8
        .value_kind:     global_buffer
      - .offset:         88
        .size:           4
        .value_kind:     by_value
      - .offset:         92
        .size:           4
        .value_kind:     by_value
      - .offset:         96
        .size:           4
        .value_kind:     by_value
      - .address_space:  global
        .offset:         104
        .size:           8
        .value_kind:     global_buffer
      - .address_space:  global
        .offset:         112
        .size:           8
        .value_kind:     global_buffer
      - .offset:         120
        .size:           4
        .value_kind:     by_value
      - .offset:         124
        .size:           4
        .value_kind:     by_value
      - .offset:         128
        .size:           4
        .value_kind:     by_value
      - .offset:         132
        .size:           4
        .value_kind:     by_value
      - .offset:         136
        .size:           4
        .value_kind:     by_value
      - .offset:         144
        .size:           4
        .value_kind:     hidden_block_count_x
      - .offset:         148
        .size:           4
        .value_kind:     hidden_block_count_y
      - .offset:         152
        .size:           4
        .value_kind:     hidden_block_count_z
      - .offset:         156
        .size:           2
        .value_kind:     hidden_group_size_x
      - .offset:         158
        .size:           2
        .value_kind:     hidden_group_size_y
      - .offset:         160
        .size:           2
        .value_kind:     hidden_group_size_z
      - .offset:         162
        .size:           2
        .value_kind:     hidden_remainder_x
      - .offset:         164
        .size:           2
        .value_kind:     hidden_remainder_y
      - .offset:         166
        .size:           2
        .value_kind:     hidden_remainder_z
      - .offset:         184
        .size:           8
        .value_kind:     hidden_global_offset_x
      - .offset:         192
        .size:           8
        .value_kind:     hidden_global_offset_y
      - .offset:         200
        .size:           8
        .value_kind:     hidden_global_offset_z
      - .offset:         208
        .size:           2
        .value_kind:     hidden_grid_dims
      - .offset:         264
        .size:           4
        .value_kind:     hidden_dynamic_lds_size
    .group_segment_fixed_size: 272
    .kernarg_segment_align: 8
    .kernarg_segment_size: 400
    .language:       OpenCL C
    .language_version:
      - 2
      - 0
    .max_flat_workgroup_size: 1024
    .name:           _ZN4vllm25paged_attention_v2_kernelI14__hip_bfloat16hLi120ELi32ELi128ELNS_18Fp8KVCacheDataTypeE1ELb1ELi512EEEvPfS3_PT_PKS4_PKT0_SA_ifPKiSC_iPKfiiiSE_SE_iiiii
    .private_segment_fixed_size: 752
    .sgpr_count:     46
    .sgpr_spill_count: 0
    .symbol:         _ZN4vllm25paged_attention_v2_kernelI14__hip_bfloat16hLi120ELi32ELi128ELNS_18Fp8KVCacheDataTypeE1ELb1ELi512EEEvPfS3_PT_PKS4_PKT0_SA_ifPKiSC_iPKfiiiSE_SE_iiiii.kd
    .uniform_work_group_size: 1
    .uses_dynamic_stack: false
    .vgpr_count:     192
    .vgpr_spill_count: 0
    .wavefront_size: 32
    .workgroup_processor_mode: 1
  - .args:
      - .actual_access:  write_only
        .address_space:  global
        .offset:         0
        .size:           8
        .value_kind:     global_buffer
      - .actual_access:  write_only
        .address_space:  global
        .offset:         8
        .size:           8
        .value_kind:     global_buffer
      - .actual_access:  write_only
        .address_space:  global
        .offset:         16
        .size:           8
        .value_kind:     global_buffer
      - .actual_access:  read_only
        .address_space:  global
        .offset:         24
        .size:           8
        .value_kind:     global_buffer
      - .actual_access:  read_only
        .address_space:  global
        .offset:         32
        .size:           8
        .value_kind:     global_buffer
      - .actual_access:  read_only
        .address_space:  global
        .offset:         40
        .size:           8
        .value_kind:     global_buffer
      - .offset:         48
        .size:           4
        .value_kind:     by_value
      - .offset:         52
        .size:           4
        .value_kind:     by_value
      - .actual_access:  read_only
        .address_space:  global
        .offset:         56
        .size:           8
        .value_kind:     global_buffer
      - .actual_access:  read_only
        .address_space:  global
        .offset:         64
        .size:           8
        .value_kind:     global_buffer
      - .offset:         72
        .size:           4
        .value_kind:     by_value
      - .address_space:  global
        .offset:         80
        .size:           8
        .value_kind:     global_buffer
      - .offset:         88
        .size:           4
        .value_kind:     by_value
      - .offset:         92
        .size:           4
        .value_kind:     by_value
      - .offset:         96
        .size:           4
        .value_kind:     by_value
      - .address_space:  global
        .offset:         104
        .size:           8
        .value_kind:     global_buffer
      - .address_space:  global
        .offset:         112
        .size:           8
        .value_kind:     global_buffer
      - .offset:         120
        .size:           4
        .value_kind:     by_value
      - .offset:         124
        .size:           4
        .value_kind:     by_value
      - .offset:         128
        .size:           4
        .value_kind:     by_value
      - .offset:         132
        .size:           4
        .value_kind:     by_value
      - .offset:         136
        .size:           4
        .value_kind:     by_value
      - .offset:         144
        .size:           4
        .value_kind:     hidden_block_count_x
      - .offset:         148
        .size:           4
        .value_kind:     hidden_block_count_y
      - .offset:         152
        .size:           4
        .value_kind:     hidden_block_count_z
      - .offset:         156
        .size:           2
        .value_kind:     hidden_group_size_x
      - .offset:         158
        .size:           2
        .value_kind:     hidden_group_size_y
      - .offset:         160
        .size:           2
        .value_kind:     hidden_group_size_z
      - .offset:         162
        .size:           2
        .value_kind:     hidden_remainder_x
      - .offset:         164
        .size:           2
        .value_kind:     hidden_remainder_y
      - .offset:         166
        .size:           2
        .value_kind:     hidden_remainder_z
      - .offset:         184
        .size:           8
        .value_kind:     hidden_global_offset_x
      - .offset:         192
        .size:           8
        .value_kind:     hidden_global_offset_y
      - .offset:         200
        .size:           8
        .value_kind:     hidden_global_offset_z
      - .offset:         208
        .size:           2
        .value_kind:     hidden_grid_dims
      - .offset:         264
        .size:           4
        .value_kind:     hidden_dynamic_lds_size
    .group_segment_fixed_size: 288
    .kernarg_segment_align: 8
    .kernarg_segment_size: 400
    .language:       OpenCL C
    .language_version:
      - 2
      - 0
    .max_flat_workgroup_size: 1024
    .name:           _ZN4vllm25paged_attention_v2_kernelI14__hip_bfloat16hLi128ELi32ELi128ELNS_18Fp8KVCacheDataTypeE1ELb1ELi512EEEvPfS3_PT_PKS4_PKT0_SA_ifPKiSC_iPKfiiiSE_SE_iiiii
    .private_segment_fixed_size: 816
    .sgpr_count:     46
    .sgpr_spill_count: 0
    .symbol:         _ZN4vllm25paged_attention_v2_kernelI14__hip_bfloat16hLi128ELi32ELi128ELNS_18Fp8KVCacheDataTypeE1ELb1ELi512EEEvPfS3_PT_PKS4_PKT0_SA_ifPKiSC_iPKfiiiSE_SE_iiiii.kd
    .uniform_work_group_size: 1
    .uses_dynamic_stack: false
    .vgpr_count:     192
    .vgpr_spill_count: 0
    .wavefront_size: 32
    .workgroup_processor_mode: 1
  - .args:
      - .actual_access:  write_only
        .address_space:  global
        .offset:         0
        .size:           8
        .value_kind:     global_buffer
      - .actual_access:  write_only
        .address_space:  global
        .offset:         8
        .size:           8
        .value_kind:     global_buffer
      - .actual_access:  write_only
        .address_space:  global
        .offset:         16
        .size:           8
        .value_kind:     global_buffer
      - .actual_access:  read_only
        .address_space:  global
        .offset:         24
        .size:           8
        .value_kind:     global_buffer
      - .actual_access:  read_only
        .address_space:  global
        .offset:         32
        .size:           8
        .value_kind:     global_buffer
      - .actual_access:  read_only
        .address_space:  global
        .offset:         40
        .size:           8
        .value_kind:     global_buffer
      - .offset:         48
        .size:           4
        .value_kind:     by_value
      - .offset:         52
        .size:           4
        .value_kind:     by_value
      - .actual_access:  read_only
        .address_space:  global
        .offset:         56
        .size:           8
        .value_kind:     global_buffer
      - .actual_access:  read_only
        .address_space:  global
        .offset:         64
        .size:           8
        .value_kind:     global_buffer
      - .offset:         72
        .size:           4
        .value_kind:     by_value
      - .address_space:  global
        .offset:         80
        .size:           8
        .value_kind:     global_buffer
      - .offset:         88
        .size:           4
        .value_kind:     by_value
      - .offset:         92
        .size:           4
        .value_kind:     by_value
      - .offset:         96
        .size:           4
        .value_kind:     by_value
      - .address_space:  global
        .offset:         104
        .size:           8
        .value_kind:     global_buffer
      - .address_space:  global
        .offset:         112
        .size:           8
        .value_kind:     global_buffer
      - .offset:         120
        .size:           4
        .value_kind:     by_value
      - .offset:         124
        .size:           4
        .value_kind:     by_value
      - .offset:         128
        .size:           4
        .value_kind:     by_value
      - .offset:         132
        .size:           4
        .value_kind:     by_value
      - .offset:         136
        .size:           4
        .value_kind:     by_value
      - .offset:         144
        .size:           4
        .value_kind:     hidden_block_count_x
      - .offset:         148
        .size:           4
        .value_kind:     hidden_block_count_y
      - .offset:         152
        .size:           4
        .value_kind:     hidden_block_count_z
      - .offset:         156
        .size:           2
        .value_kind:     hidden_group_size_x
      - .offset:         158
        .size:           2
        .value_kind:     hidden_group_size_y
      - .offset:         160
        .size:           2
        .value_kind:     hidden_group_size_z
      - .offset:         162
        .size:           2
        .value_kind:     hidden_remainder_x
      - .offset:         164
        .size:           2
        .value_kind:     hidden_remainder_y
      - .offset:         166
        .size:           2
        .value_kind:     hidden_remainder_z
      - .offset:         184
        .size:           8
        .value_kind:     hidden_global_offset_x
      - .offset:         192
        .size:           8
        .value_kind:     hidden_global_offset_y
      - .offset:         200
        .size:           8
        .value_kind:     hidden_global_offset_z
      - .offset:         208
        .size:           2
        .value_kind:     hidden_grid_dims
      - .offset:         264
        .size:           4
        .value_kind:     hidden_dynamic_lds_size
    .group_segment_fixed_size: 416
    .kernarg_segment_align: 8
    .kernarg_segment_size: 400
    .language:       OpenCL C
    .language_version:
      - 2
      - 0
    .max_flat_workgroup_size: 1024
    .name:           _ZN4vllm25paged_attention_v2_kernelI14__hip_bfloat16hLi192ELi32ELi128ELNS_18Fp8KVCacheDataTypeE1ELb1ELi512EEEvPfS3_PT_PKS4_PKT0_SA_ifPKiSC_iPKfiiiSE_SE_iiiii
    .private_segment_fixed_size: 1324
    .sgpr_count:     46
    .sgpr_spill_count: 0
    .symbol:         _ZN4vllm25paged_attention_v2_kernelI14__hip_bfloat16hLi192ELi32ELi128ELNS_18Fp8KVCacheDataTypeE1ELb1ELi512EEEvPfS3_PT_PKS4_PKT0_SA_ifPKiSC_iPKfiiiSE_SE_iiiii.kd
    .uniform_work_group_size: 1
    .uses_dynamic_stack: false
    .vgpr_count:     192
    .vgpr_spill_count: 0
    .wavefront_size: 32
    .workgroup_processor_mode: 1
  - .args:
      - .actual_access:  write_only
        .address_space:  global
        .offset:         0
        .size:           8
        .value_kind:     global_buffer
      - .actual_access:  write_only
        .address_space:  global
        .offset:         8
        .size:           8
        .value_kind:     global_buffer
      - .actual_access:  write_only
        .address_space:  global
        .offset:         16
        .size:           8
        .value_kind:     global_buffer
      - .actual_access:  read_only
        .address_space:  global
        .offset:         24
        .size:           8
        .value_kind:     global_buffer
      - .actual_access:  read_only
        .address_space:  global
        .offset:         32
        .size:           8
        .value_kind:     global_buffer
      - .actual_access:  read_only
        .address_space:  global
        .offset:         40
        .size:           8
        .value_kind:     global_buffer
      - .offset:         48
        .size:           4
        .value_kind:     by_value
      - .offset:         52
        .size:           4
        .value_kind:     by_value
      - .actual_access:  read_only
        .address_space:  global
        .offset:         56
        .size:           8
        .value_kind:     global_buffer
      - .actual_access:  read_only
        .address_space:  global
        .offset:         64
        .size:           8
        .value_kind:     global_buffer
      - .offset:         72
        .size:           4
        .value_kind:     by_value
      - .address_space:  global
        .offset:         80
        .size:           8
        .value_kind:     global_buffer
      - .offset:         88
        .size:           4
        .value_kind:     by_value
      - .offset:         92
        .size:           4
        .value_kind:     by_value
      - .offset:         96
        .size:           4
        .value_kind:     by_value
      - .address_space:  global
        .offset:         104
        .size:           8
        .value_kind:     global_buffer
      - .address_space:  global
        .offset:         112
        .size:           8
        .value_kind:     global_buffer
      - .offset:         120
        .size:           4
        .value_kind:     by_value
      - .offset:         124
        .size:           4
        .value_kind:     by_value
      - .offset:         128
        .size:           4
        .value_kind:     by_value
      - .offset:         132
        .size:           4
        .value_kind:     by_value
      - .offset:         136
        .size:           4
        .value_kind:     by_value
      - .offset:         144
        .size:           4
        .value_kind:     hidden_block_count_x
      - .offset:         148
        .size:           4
        .value_kind:     hidden_block_count_y
      - .offset:         152
        .size:           4
        .value_kind:     hidden_block_count_z
      - .offset:         156
        .size:           2
        .value_kind:     hidden_group_size_x
      - .offset:         158
        .size:           2
        .value_kind:     hidden_group_size_y
      - .offset:         160
        .size:           2
        .value_kind:     hidden_group_size_z
      - .offset:         162
        .size:           2
        .value_kind:     hidden_remainder_x
      - .offset:         164
        .size:           2
        .value_kind:     hidden_remainder_y
      - .offset:         166
        .size:           2
        .value_kind:     hidden_remainder_z
      - .offset:         184
        .size:           8
        .value_kind:     hidden_global_offset_x
      - .offset:         192
        .size:           8
        .value_kind:     hidden_global_offset_y
      - .offset:         200
        .size:           8
        .value_kind:     hidden_global_offset_z
      - .offset:         208
        .size:           2
        .value_kind:     hidden_grid_dims
      - .offset:         264
        .size:           4
        .value_kind:     hidden_dynamic_lds_size
    .group_segment_fixed_size: 544
    .kernarg_segment_align: 8
    .kernarg_segment_size: 400
    .language:       OpenCL C
    .language_version:
      - 2
      - 0
    .max_flat_workgroup_size: 1024
    .name:           _ZN4vllm25paged_attention_v2_kernelI14__hip_bfloat16hLi256ELi32ELi128ELNS_18Fp8KVCacheDataTypeE1ELb1ELi512EEEvPfS3_PT_PKS4_PKT0_SA_ifPKiSC_iPKfiiiSE_SE_iiiii
    .private_segment_fixed_size: 1844
    .sgpr_count:     46
    .sgpr_spill_count: 0
    .symbol:         _ZN4vllm25paged_attention_v2_kernelI14__hip_bfloat16hLi256ELi32ELi128ELNS_18Fp8KVCacheDataTypeE1ELb1ELi512EEEvPfS3_PT_PKS4_PKT0_SA_ifPKiSC_iPKfiiiSE_SE_iiiii.kd
    .uniform_work_group_size: 1
    .uses_dynamic_stack: false
    .vgpr_count:     192
    .vgpr_spill_count: 0
    .wavefront_size: 32
    .workgroup_processor_mode: 1
  - .args:
      - .actual_access:  write_only
        .address_space:  global
        .offset:         0
        .size:           8
        .value_kind:     global_buffer
      - .actual_access:  write_only
        .address_space:  global
        .offset:         8
        .size:           8
        .value_kind:     global_buffer
      - .actual_access:  write_only
        .address_space:  global
        .offset:         16
        .size:           8
        .value_kind:     global_buffer
      - .actual_access:  read_only
        .address_space:  global
        .offset:         24
        .size:           8
        .value_kind:     global_buffer
      - .actual_access:  read_only
        .address_space:  global
        .offset:         32
        .size:           8
        .value_kind:     global_buffer
      - .actual_access:  read_only
        .address_space:  global
        .offset:         40
        .size:           8
        .value_kind:     global_buffer
      - .offset:         48
        .size:           4
        .value_kind:     by_value
      - .offset:         52
        .size:           4
        .value_kind:     by_value
      - .actual_access:  read_only
        .address_space:  global
        .offset:         56
        .size:           8
        .value_kind:     global_buffer
      - .actual_access:  read_only
        .address_space:  global
        .offset:         64
        .size:           8
        .value_kind:     global_buffer
      - .offset:         72
        .size:           4
        .value_kind:     by_value
      - .address_space:  global
        .offset:         80
        .size:           8
        .value_kind:     global_buffer
      - .offset:         88
        .size:           4
        .value_kind:     by_value
      - .offset:         92
        .size:           4
        .value_kind:     by_value
      - .offset:         96
        .size:           4
        .value_kind:     by_value
      - .address_space:  global
        .offset:         104
        .size:           8
        .value_kind:     global_buffer
      - .address_space:  global
        .offset:         112
        .size:           8
        .value_kind:     global_buffer
      - .offset:         120
        .size:           4
        .value_kind:     by_value
      - .offset:         124
        .size:           4
        .value_kind:     by_value
      - .offset:         128
        .size:           4
        .value_kind:     by_value
      - .offset:         132
        .size:           4
        .value_kind:     by_value
      - .offset:         136
        .size:           4
        .value_kind:     by_value
      - .offset:         144
        .size:           4
        .value_kind:     hidden_block_count_x
      - .offset:         148
        .size:           4
        .value_kind:     hidden_block_count_y
      - .offset:         152
        .size:           4
        .value_kind:     hidden_block_count_z
      - .offset:         156
        .size:           2
        .value_kind:     hidden_group_size_x
      - .offset:         158
        .size:           2
        .value_kind:     hidden_group_size_y
      - .offset:         160
        .size:           2
        .value_kind:     hidden_group_size_z
      - .offset:         162
        .size:           2
        .value_kind:     hidden_remainder_x
      - .offset:         164
        .size:           2
        .value_kind:     hidden_remainder_y
      - .offset:         166
        .size:           2
        .value_kind:     hidden_remainder_z
      - .offset:         184
        .size:           8
        .value_kind:     hidden_global_offset_x
      - .offset:         192
        .size:           8
        .value_kind:     hidden_global_offset_y
      - .offset:         200
        .size:           8
        .value_kind:     hidden_global_offset_z
      - .offset:         208
        .size:           2
        .value_kind:     hidden_grid_dims
      - .offset:         264
        .size:           4
        .value_kind:     hidden_dynamic_lds_size
    .group_segment_fixed_size: 96
    .kernarg_segment_align: 8
    .kernarg_segment_size: 400
    .language:       OpenCL C
    .language_version:
      - 2
      - 0
    .max_flat_workgroup_size: 1024
    .name:           _ZN4vllm25paged_attention_v2_kernelI14__hip_bfloat16hLi32ELi32ELi128ELNS_18Fp8KVCacheDataTypeE1ELb0ELi512EEEvPfS3_PT_PKS4_PKT0_SA_ifPKiSC_iPKfiiiSE_SE_iiiii
    .private_segment_fixed_size: 0
    .sgpr_count:     46
    .sgpr_spill_count: 0
    .symbol:         _ZN4vllm25paged_attention_v2_kernelI14__hip_bfloat16hLi32ELi32ELi128ELNS_18Fp8KVCacheDataTypeE1ELb0ELi512EEEvPfS3_PT_PKS4_PKT0_SA_ifPKiSC_iPKfiiiSE_SE_iiiii.kd
    .uniform_work_group_size: 1
    .uses_dynamic_stack: false
    .vgpr_count:     182
    .vgpr_spill_count: 0
    .wavefront_size: 32
    .workgroup_processor_mode: 1
  - .args:
      - .actual_access:  write_only
        .address_space:  global
        .offset:         0
        .size:           8
        .value_kind:     global_buffer
      - .actual_access:  write_only
        .address_space:  global
        .offset:         8
        .size:           8
        .value_kind:     global_buffer
      - .actual_access:  write_only
        .address_space:  global
        .offset:         16
        .size:           8
        .value_kind:     global_buffer
      - .actual_access:  read_only
        .address_space:  global
        .offset:         24
        .size:           8
        .value_kind:     global_buffer
      - .actual_access:  read_only
        .address_space:  global
        .offset:         32
        .size:           8
        .value_kind:     global_buffer
      - .actual_access:  read_only
        .address_space:  global
        .offset:         40
        .size:           8
        .value_kind:     global_buffer
      - .offset:         48
        .size:           4
        .value_kind:     by_value
      - .offset:         52
        .size:           4
        .value_kind:     by_value
      - .actual_access:  read_only
        .address_space:  global
        .offset:         56
        .size:           8
        .value_kind:     global_buffer
      - .actual_access:  read_only
        .address_space:  global
        .offset:         64
        .size:           8
        .value_kind:     global_buffer
      - .offset:         72
        .size:           4
        .value_kind:     by_value
      - .address_space:  global
        .offset:         80
        .size:           8
        .value_kind:     global_buffer
      - .offset:         88
        .size:           4
        .value_kind:     by_value
      - .offset:         92
        .size:           4
        .value_kind:     by_value
      - .offset:         96
        .size:           4
        .value_kind:     by_value
      - .address_space:  global
        .offset:         104
        .size:           8
        .value_kind:     global_buffer
      - .address_space:  global
        .offset:         112
        .size:           8
        .value_kind:     global_buffer
      - .offset:         120
        .size:           4
        .value_kind:     by_value
      - .offset:         124
        .size:           4
        .value_kind:     by_value
      - .offset:         128
        .size:           4
        .value_kind:     by_value
      - .offset:         132
        .size:           4
        .value_kind:     by_value
      - .offset:         136
        .size:           4
        .value_kind:     by_value
      - .offset:         144
        .size:           4
        .value_kind:     hidden_block_count_x
      - .offset:         148
        .size:           4
        .value_kind:     hidden_block_count_y
      - .offset:         152
        .size:           4
        .value_kind:     hidden_block_count_z
      - .offset:         156
        .size:           2
        .value_kind:     hidden_group_size_x
      - .offset:         158
        .size:           2
        .value_kind:     hidden_group_size_y
      - .offset:         160
        .size:           2
        .value_kind:     hidden_group_size_z
      - .offset:         162
        .size:           2
        .value_kind:     hidden_remainder_x
      - .offset:         164
        .size:           2
        .value_kind:     hidden_remainder_y
      - .offset:         166
        .size:           2
        .value_kind:     hidden_remainder_z
      - .offset:         184
        .size:           8
        .value_kind:     hidden_global_offset_x
      - .offset:         192
        .size:           8
        .value_kind:     hidden_global_offset_y
      - .offset:         200
        .size:           8
        .value_kind:     hidden_global_offset_z
      - .offset:         208
        .size:           2
        .value_kind:     hidden_grid_dims
      - .offset:         264
        .size:           4
        .value_kind:     hidden_dynamic_lds_size
    .group_segment_fixed_size: 160
    .kernarg_segment_align: 8
    .kernarg_segment_size: 400
    .language:       OpenCL C
    .language_version:
      - 2
      - 0
    .max_flat_workgroup_size: 1024
    .name:           _ZN4vllm25paged_attention_v2_kernelI14__hip_bfloat16hLi64ELi32ELi128ELNS_18Fp8KVCacheDataTypeE1ELb0ELi512EEEvPfS3_PT_PKS4_PKT0_SA_ifPKiSC_iPKfiiiSE_SE_iiiii
    .private_segment_fixed_size: 252
    .sgpr_count:     46
    .sgpr_spill_count: 0
    .symbol:         _ZN4vllm25paged_attention_v2_kernelI14__hip_bfloat16hLi64ELi32ELi128ELNS_18Fp8KVCacheDataTypeE1ELb0ELi512EEEvPfS3_PT_PKS4_PKT0_SA_ifPKiSC_iPKfiiiSE_SE_iiiii.kd
    .uniform_work_group_size: 1
    .uses_dynamic_stack: false
    .vgpr_count:     184
    .vgpr_spill_count: 0
    .wavefront_size: 32
    .workgroup_processor_mode: 1
  - .args:
      - .actual_access:  write_only
        .address_space:  global
        .offset:         0
        .size:           8
        .value_kind:     global_buffer
      - .actual_access:  write_only
        .address_space:  global
        .offset:         8
        .size:           8
        .value_kind:     global_buffer
      - .actual_access:  write_only
        .address_space:  global
        .offset:         16
        .size:           8
        .value_kind:     global_buffer
      - .actual_access:  read_only
        .address_space:  global
        .offset:         24
        .size:           8
        .value_kind:     global_buffer
      - .actual_access:  read_only
        .address_space:  global
        .offset:         32
        .size:           8
        .value_kind:     global_buffer
      - .actual_access:  read_only
        .address_space:  global
        .offset:         40
        .size:           8
        .value_kind:     global_buffer
      - .offset:         48
        .size:           4
        .value_kind:     by_value
      - .offset:         52
        .size:           4
        .value_kind:     by_value
      - .actual_access:  read_only
        .address_space:  global
        .offset:         56
        .size:           8
        .value_kind:     global_buffer
      - .actual_access:  read_only
        .address_space:  global
        .offset:         64
        .size:           8
        .value_kind:     global_buffer
      - .offset:         72
        .size:           4
        .value_kind:     by_value
      - .address_space:  global
        .offset:         80
        .size:           8
        .value_kind:     global_buffer
      - .offset:         88
        .size:           4
        .value_kind:     by_value
      - .offset:         92
        .size:           4
        .value_kind:     by_value
      - .offset:         96
        .size:           4
        .value_kind:     by_value
      - .address_space:  global
        .offset:         104
        .size:           8
        .value_kind:     global_buffer
      - .address_space:  global
        .offset:         112
        .size:           8
        .value_kind:     global_buffer
      - .offset:         120
        .size:           4
        .value_kind:     by_value
      - .offset:         124
        .size:           4
        .value_kind:     by_value
      - .offset:         128
        .size:           4
        .value_kind:     by_value
      - .offset:         132
        .size:           4
        .value_kind:     by_value
      - .offset:         136
        .size:           4
        .value_kind:     by_value
      - .offset:         144
        .size:           4
        .value_kind:     hidden_block_count_x
      - .offset:         148
        .size:           4
        .value_kind:     hidden_block_count_y
      - .offset:         152
        .size:           4
        .value_kind:     hidden_block_count_z
      - .offset:         156
        .size:           2
        .value_kind:     hidden_group_size_x
      - .offset:         158
        .size:           2
        .value_kind:     hidden_group_size_y
      - .offset:         160
        .size:           2
        .value_kind:     hidden_group_size_z
      - .offset:         162
        .size:           2
        .value_kind:     hidden_remainder_x
      - .offset:         164
        .size:           2
        .value_kind:     hidden_remainder_y
      - .offset:         166
        .size:           2
        .value_kind:     hidden_remainder_z
      - .offset:         184
        .size:           8
        .value_kind:     hidden_global_offset_x
      - .offset:         192
        .size:           8
        .value_kind:     hidden_global_offset_y
      - .offset:         200
        .size:           8
        .value_kind:     hidden_global_offset_z
      - .offset:         208
        .size:           2
        .value_kind:     hidden_grid_dims
      - .offset:         264
        .size:           4
        .value_kind:     hidden_dynamic_lds_size
    .group_segment_fixed_size: 192
    .kernarg_segment_align: 8
    .kernarg_segment_size: 400
    .language:       OpenCL C
    .language_version:
      - 2
      - 0
    .max_flat_workgroup_size: 1024
    .name:           _ZN4vllm25paged_attention_v2_kernelI14__hip_bfloat16hLi80ELi32ELi128ELNS_18Fp8KVCacheDataTypeE1ELb0ELi512EEEvPfS3_PT_PKS4_PKT0_SA_ifPKiSC_iPKfiiiSE_SE_iiiii
    .private_segment_fixed_size: 372
    .sgpr_count:     46
    .sgpr_spill_count: 0
    .symbol:         _ZN4vllm25paged_attention_v2_kernelI14__hip_bfloat16hLi80ELi32ELi128ELNS_18Fp8KVCacheDataTypeE1ELb0ELi512EEEvPfS3_PT_PKS4_PKT0_SA_ifPKiSC_iPKfiiiSE_SE_iiiii.kd
    .uniform_work_group_size: 1
    .uses_dynamic_stack: false
    .vgpr_count:     192
    .vgpr_spill_count: 0
    .wavefront_size: 32
    .workgroup_processor_mode: 1
  - .args:
      - .actual_access:  write_only
        .address_space:  global
        .offset:         0
        .size:           8
        .value_kind:     global_buffer
      - .actual_access:  write_only
        .address_space:  global
        .offset:         8
        .size:           8
        .value_kind:     global_buffer
      - .actual_access:  write_only
        .address_space:  global
        .offset:         16
        .size:           8
        .value_kind:     global_buffer
      - .actual_access:  read_only
        .address_space:  global
        .offset:         24
        .size:           8
        .value_kind:     global_buffer
      - .actual_access:  read_only
        .address_space:  global
        .offset:         32
        .size:           8
        .value_kind:     global_buffer
      - .actual_access:  read_only
        .address_space:  global
        .offset:         40
        .size:           8
        .value_kind:     global_buffer
      - .offset:         48
        .size:           4
        .value_kind:     by_value
      - .offset:         52
        .size:           4
        .value_kind:     by_value
      - .actual_access:  read_only
        .address_space:  global
        .offset:         56
        .size:           8
        .value_kind:     global_buffer
      - .actual_access:  read_only
        .address_space:  global
        .offset:         64
        .size:           8
        .value_kind:     global_buffer
      - .offset:         72
        .size:           4
        .value_kind:     by_value
      - .address_space:  global
        .offset:         80
        .size:           8
        .value_kind:     global_buffer
      - .offset:         88
        .size:           4
        .value_kind:     by_value
      - .offset:         92
        .size:           4
        .value_kind:     by_value
      - .offset:         96
        .size:           4
        .value_kind:     by_value
      - .address_space:  global
        .offset:         104
        .size:           8
        .value_kind:     global_buffer
      - .address_space:  global
        .offset:         112
        .size:           8
        .value_kind:     global_buffer
      - .offset:         120
        .size:           4
        .value_kind:     by_value
      - .offset:         124
        .size:           4
        .value_kind:     by_value
      - .offset:         128
        .size:           4
        .value_kind:     by_value
      - .offset:         132
        .size:           4
        .value_kind:     by_value
      - .offset:         136
        .size:           4
        .value_kind:     by_value
      - .offset:         144
        .size:           4
        .value_kind:     hidden_block_count_x
      - .offset:         148
        .size:           4
        .value_kind:     hidden_block_count_y
      - .offset:         152
        .size:           4
        .value_kind:     hidden_block_count_z
      - .offset:         156
        .size:           2
        .value_kind:     hidden_group_size_x
      - .offset:         158
        .size:           2
        .value_kind:     hidden_group_size_y
      - .offset:         160
        .size:           2
        .value_kind:     hidden_group_size_z
      - .offset:         162
        .size:           2
        .value_kind:     hidden_remainder_x
      - .offset:         164
        .size:           2
        .value_kind:     hidden_remainder_y
      - .offset:         166
        .size:           2
        .value_kind:     hidden_remainder_z
      - .offset:         184
        .size:           8
        .value_kind:     hidden_global_offset_x
      - .offset:         192
        .size:           8
        .value_kind:     hidden_global_offset_y
      - .offset:         200
        .size:           8
        .value_kind:     hidden_global_offset_z
      - .offset:         208
        .size:           2
        .value_kind:     hidden_grid_dims
      - .offset:         264
        .size:           4
        .value_kind:     hidden_dynamic_lds_size
    .group_segment_fixed_size: 224
    .kernarg_segment_align: 8
    .kernarg_segment_size: 400
    .language:       OpenCL C
    .language_version:
      - 2
      - 0
    .max_flat_workgroup_size: 1024
    .name:           _ZN4vllm25paged_attention_v2_kernelI14__hip_bfloat16hLi96ELi32ELi128ELNS_18Fp8KVCacheDataTypeE1ELb0ELi512EEEvPfS3_PT_PKS4_PKT0_SA_ifPKiSC_iPKfiiiSE_SE_iiiii
    .private_segment_fixed_size: 508
    .sgpr_count:     46
    .sgpr_spill_count: 0
    .symbol:         _ZN4vllm25paged_attention_v2_kernelI14__hip_bfloat16hLi96ELi32ELi128ELNS_18Fp8KVCacheDataTypeE1ELb0ELi512EEEvPfS3_PT_PKS4_PKT0_SA_ifPKiSC_iPKfiiiSE_SE_iiiii.kd
    .uniform_work_group_size: 1
    .uses_dynamic_stack: false
    .vgpr_count:     192
    .vgpr_spill_count: 0
    .wavefront_size: 32
    .workgroup_processor_mode: 1
  - .args:
      - .actual_access:  write_only
        .address_space:  global
        .offset:         0
        .size:           8
        .value_kind:     global_buffer
      - .actual_access:  write_only
        .address_space:  global
        .offset:         8
        .size:           8
        .value_kind:     global_buffer
      - .actual_access:  write_only
        .address_space:  global
        .offset:         16
        .size:           8
        .value_kind:     global_buffer
      - .actual_access:  read_only
        .address_space:  global
        .offset:         24
        .size:           8
        .value_kind:     global_buffer
      - .actual_access:  read_only
        .address_space:  global
        .offset:         32
        .size:           8
        .value_kind:     global_buffer
      - .actual_access:  read_only
        .address_space:  global
        .offset:         40
        .size:           8
        .value_kind:     global_buffer
      - .offset:         48
        .size:           4
        .value_kind:     by_value
      - .offset:         52
        .size:           4
        .value_kind:     by_value
      - .actual_access:  read_only
        .address_space:  global
        .offset:         56
        .size:           8
        .value_kind:     global_buffer
      - .actual_access:  read_only
        .address_space:  global
        .offset:         64
        .size:           8
        .value_kind:     global_buffer
      - .offset:         72
        .size:           4
        .value_kind:     by_value
      - .address_space:  global
        .offset:         80
        .size:           8
        .value_kind:     global_buffer
      - .offset:         88
        .size:           4
        .value_kind:     by_value
      - .offset:         92
        .size:           4
        .value_kind:     by_value
      - .offset:         96
        .size:           4
        .value_kind:     by_value
      - .address_space:  global
        .offset:         104
        .size:           8
        .value_kind:     global_buffer
      - .address_space:  global
        .offset:         112
        .size:           8
        .value_kind:     global_buffer
      - .offset:         120
        .size:           4
        .value_kind:     by_value
      - .offset:         124
        .size:           4
        .value_kind:     by_value
      - .offset:         128
        .size:           4
        .value_kind:     by_value
      - .offset:         132
        .size:           4
        .value_kind:     by_value
      - .offset:         136
        .size:           4
        .value_kind:     by_value
      - .offset:         144
        .size:           4
        .value_kind:     hidden_block_count_x
      - .offset:         148
        .size:           4
        .value_kind:     hidden_block_count_y
      - .offset:         152
        .size:           4
        .value_kind:     hidden_block_count_z
      - .offset:         156
        .size:           2
        .value_kind:     hidden_group_size_x
      - .offset:         158
        .size:           2
        .value_kind:     hidden_group_size_y
      - .offset:         160
        .size:           2
        .value_kind:     hidden_group_size_z
      - .offset:         162
        .size:           2
        .value_kind:     hidden_remainder_x
      - .offset:         164
        .size:           2
        .value_kind:     hidden_remainder_y
      - .offset:         166
        .size:           2
        .value_kind:     hidden_remainder_z
      - .offset:         184
        .size:           8
        .value_kind:     hidden_global_offset_x
      - .offset:         192
        .size:           8
        .value_kind:     hidden_global_offset_y
      - .offset:         200
        .size:           8
        .value_kind:     hidden_global_offset_z
      - .offset:         208
        .size:           2
        .value_kind:     hidden_grid_dims
      - .offset:         264
        .size:           4
        .value_kind:     hidden_dynamic_lds_size
    .group_segment_fixed_size: 256
    .kernarg_segment_align: 8
    .kernarg_segment_size: 400
    .language:       OpenCL C
    .language_version:
      - 2
      - 0
    .max_flat_workgroup_size: 1024
    .name:           _ZN4vllm25paged_attention_v2_kernelI14__hip_bfloat16hLi112ELi32ELi128ELNS_18Fp8KVCacheDataTypeE1ELb0ELi512EEEvPfS3_PT_PKS4_PKT0_SA_ifPKiSC_iPKfiiiSE_SE_iiiii
    .private_segment_fixed_size: 636
    .sgpr_count:     46
    .sgpr_spill_count: 0
    .symbol:         _ZN4vllm25paged_attention_v2_kernelI14__hip_bfloat16hLi112ELi32ELi128ELNS_18Fp8KVCacheDataTypeE1ELb0ELi512EEEvPfS3_PT_PKS4_PKT0_SA_ifPKiSC_iPKfiiiSE_SE_iiiii.kd
    .uniform_work_group_size: 1
    .uses_dynamic_stack: false
    .vgpr_count:     192
    .vgpr_spill_count: 0
    .wavefront_size: 32
    .workgroup_processor_mode: 1
  - .args:
      - .actual_access:  write_only
        .address_space:  global
        .offset:         0
        .size:           8
        .value_kind:     global_buffer
      - .actual_access:  write_only
        .address_space:  global
        .offset:         8
        .size:           8
        .value_kind:     global_buffer
      - .actual_access:  write_only
        .address_space:  global
        .offset:         16
        .size:           8
        .value_kind:     global_buffer
      - .actual_access:  read_only
        .address_space:  global
        .offset:         24
        .size:           8
        .value_kind:     global_buffer
      - .actual_access:  read_only
        .address_space:  global
        .offset:         32
        .size:           8
        .value_kind:     global_buffer
      - .actual_access:  read_only
        .address_space:  global
        .offset:         40
        .size:           8
        .value_kind:     global_buffer
      - .offset:         48
        .size:           4
        .value_kind:     by_value
      - .offset:         52
        .size:           4
        .value_kind:     by_value
      - .actual_access:  read_only
        .address_space:  global
        .offset:         56
        .size:           8
        .value_kind:     global_buffer
      - .actual_access:  read_only
        .address_space:  global
        .offset:         64
        .size:           8
        .value_kind:     global_buffer
      - .offset:         72
        .size:           4
        .value_kind:     by_value
      - .address_space:  global
        .offset:         80
        .size:           8
        .value_kind:     global_buffer
      - .offset:         88
        .size:           4
        .value_kind:     by_value
      - .offset:         92
        .size:           4
        .value_kind:     by_value
      - .offset:         96
        .size:           4
        .value_kind:     by_value
      - .address_space:  global
        .offset:         104
        .size:           8
        .value_kind:     global_buffer
      - .address_space:  global
        .offset:         112
        .size:           8
        .value_kind:     global_buffer
      - .offset:         120
        .size:           4
        .value_kind:     by_value
      - .offset:         124
        .size:           4
        .value_kind:     by_value
      - .offset:         128
        .size:           4
        .value_kind:     by_value
      - .offset:         132
        .size:           4
        .value_kind:     by_value
      - .offset:         136
        .size:           4
        .value_kind:     by_value
      - .offset:         144
        .size:           4
        .value_kind:     hidden_block_count_x
      - .offset:         148
        .size:           4
        .value_kind:     hidden_block_count_y
      - .offset:         152
        .size:           4
        .value_kind:     hidden_block_count_z
      - .offset:         156
        .size:           2
        .value_kind:     hidden_group_size_x
      - .offset:         158
        .size:           2
        .value_kind:     hidden_group_size_y
      - .offset:         160
        .size:           2
        .value_kind:     hidden_group_size_z
      - .offset:         162
        .size:           2
        .value_kind:     hidden_remainder_x
      - .offset:         164
        .size:           2
        .value_kind:     hidden_remainder_y
      - .offset:         166
        .size:           2
        .value_kind:     hidden_remainder_z
      - .offset:         184
        .size:           8
        .value_kind:     hidden_global_offset_x
      - .offset:         192
        .size:           8
        .value_kind:     hidden_global_offset_y
      - .offset:         200
        .size:           8
        .value_kind:     hidden_global_offset_z
      - .offset:         208
        .size:           2
        .value_kind:     hidden_grid_dims
      - .offset:         264
        .size:           4
        .value_kind:     hidden_dynamic_lds_size
    .group_segment_fixed_size: 272
    .kernarg_segment_align: 8
    .kernarg_segment_size: 400
    .language:       OpenCL C
    .language_version:
      - 2
      - 0
    .max_flat_workgroup_size: 1024
    .name:           _ZN4vllm25paged_attention_v2_kernelI14__hip_bfloat16hLi120ELi32ELi128ELNS_18Fp8KVCacheDataTypeE1ELb0ELi512EEEvPfS3_PT_PKS4_PKT0_SA_ifPKiSC_iPKfiiiSE_SE_iiiii
    .private_segment_fixed_size: 700
    .sgpr_count:     46
    .sgpr_spill_count: 0
    .symbol:         _ZN4vllm25paged_attention_v2_kernelI14__hip_bfloat16hLi120ELi32ELi128ELNS_18Fp8KVCacheDataTypeE1ELb0ELi512EEEvPfS3_PT_PKS4_PKT0_SA_ifPKiSC_iPKfiiiSE_SE_iiiii.kd
    .uniform_work_group_size: 1
    .uses_dynamic_stack: false
    .vgpr_count:     192
    .vgpr_spill_count: 0
    .wavefront_size: 32
    .workgroup_processor_mode: 1
  - .args:
      - .actual_access:  write_only
        .address_space:  global
        .offset:         0
        .size:           8
        .value_kind:     global_buffer
      - .actual_access:  write_only
        .address_space:  global
        .offset:         8
        .size:           8
        .value_kind:     global_buffer
      - .actual_access:  write_only
        .address_space:  global
        .offset:         16
        .size:           8
        .value_kind:     global_buffer
      - .actual_access:  read_only
        .address_space:  global
        .offset:         24
        .size:           8
        .value_kind:     global_buffer
      - .actual_access:  read_only
        .address_space:  global
        .offset:         32
        .size:           8
        .value_kind:     global_buffer
      - .actual_access:  read_only
        .address_space:  global
        .offset:         40
        .size:           8
        .value_kind:     global_buffer
      - .offset:         48
        .size:           4
        .value_kind:     by_value
      - .offset:         52
        .size:           4
        .value_kind:     by_value
      - .actual_access:  read_only
        .address_space:  global
        .offset:         56
        .size:           8
        .value_kind:     global_buffer
      - .actual_access:  read_only
        .address_space:  global
        .offset:         64
        .size:           8
        .value_kind:     global_buffer
      - .offset:         72
        .size:           4
        .value_kind:     by_value
      - .address_space:  global
        .offset:         80
        .size:           8
        .value_kind:     global_buffer
      - .offset:         88
        .size:           4
        .value_kind:     by_value
      - .offset:         92
        .size:           4
        .value_kind:     by_value
      - .offset:         96
        .size:           4
        .value_kind:     by_value
      - .address_space:  global
        .offset:         104
        .size:           8
        .value_kind:     global_buffer
      - .address_space:  global
        .offset:         112
        .size:           8
        .value_kind:     global_buffer
      - .offset:         120
        .size:           4
        .value_kind:     by_value
      - .offset:         124
        .size:           4
        .value_kind:     by_value
      - .offset:         128
        .size:           4
        .value_kind:     by_value
      - .offset:         132
        .size:           4
        .value_kind:     by_value
      - .offset:         136
        .size:           4
        .value_kind:     by_value
      - .offset:         144
        .size:           4
        .value_kind:     hidden_block_count_x
      - .offset:         148
        .size:           4
        .value_kind:     hidden_block_count_y
      - .offset:         152
        .size:           4
        .value_kind:     hidden_block_count_z
      - .offset:         156
        .size:           2
        .value_kind:     hidden_group_size_x
      - .offset:         158
        .size:           2
        .value_kind:     hidden_group_size_y
      - .offset:         160
        .size:           2
        .value_kind:     hidden_group_size_z
      - .offset:         162
        .size:           2
        .value_kind:     hidden_remainder_x
      - .offset:         164
        .size:           2
        .value_kind:     hidden_remainder_y
      - .offset:         166
        .size:           2
        .value_kind:     hidden_remainder_z
      - .offset:         184
        .size:           8
        .value_kind:     hidden_global_offset_x
      - .offset:         192
        .size:           8
        .value_kind:     hidden_global_offset_y
      - .offset:         200
        .size:           8
        .value_kind:     hidden_global_offset_z
      - .offset:         208
        .size:           2
        .value_kind:     hidden_grid_dims
      - .offset:         264
        .size:           4
        .value_kind:     hidden_dynamic_lds_size
    .group_segment_fixed_size: 288
    .kernarg_segment_align: 8
    .kernarg_segment_size: 400
    .language:       OpenCL C
    .language_version:
      - 2
      - 0
    .max_flat_workgroup_size: 1024
    .name:           _ZN4vllm25paged_attention_v2_kernelI14__hip_bfloat16hLi128ELi32ELi128ELNS_18Fp8KVCacheDataTypeE1ELb0ELi512EEEvPfS3_PT_PKS4_PKT0_SA_ifPKiSC_iPKfiiiSE_SE_iiiii
    .private_segment_fixed_size: 764
    .sgpr_count:     46
    .sgpr_spill_count: 0
    .symbol:         _ZN4vllm25paged_attention_v2_kernelI14__hip_bfloat16hLi128ELi32ELi128ELNS_18Fp8KVCacheDataTypeE1ELb0ELi512EEEvPfS3_PT_PKS4_PKT0_SA_ifPKiSC_iPKfiiiSE_SE_iiiii.kd
    .uniform_work_group_size: 1
    .uses_dynamic_stack: false
    .vgpr_count:     192
    .vgpr_spill_count: 0
    .wavefront_size: 32
    .workgroup_processor_mode: 1
  - .args:
      - .actual_access:  write_only
        .address_space:  global
        .offset:         0
        .size:           8
        .value_kind:     global_buffer
      - .actual_access:  write_only
        .address_space:  global
        .offset:         8
        .size:           8
        .value_kind:     global_buffer
      - .actual_access:  write_only
        .address_space:  global
        .offset:         16
        .size:           8
        .value_kind:     global_buffer
      - .actual_access:  read_only
        .address_space:  global
        .offset:         24
        .size:           8
        .value_kind:     global_buffer
      - .actual_access:  read_only
        .address_space:  global
        .offset:         32
        .size:           8
        .value_kind:     global_buffer
      - .actual_access:  read_only
        .address_space:  global
        .offset:         40
        .size:           8
        .value_kind:     global_buffer
      - .offset:         48
        .size:           4
        .value_kind:     by_value
      - .offset:         52
        .size:           4
        .value_kind:     by_value
      - .actual_access:  read_only
        .address_space:  global
        .offset:         56
        .size:           8
        .value_kind:     global_buffer
      - .actual_access:  read_only
        .address_space:  global
        .offset:         64
        .size:           8
        .value_kind:     global_buffer
      - .offset:         72
        .size:           4
        .value_kind:     by_value
      - .address_space:  global
        .offset:         80
        .size:           8
        .value_kind:     global_buffer
      - .offset:         88
        .size:           4
        .value_kind:     by_value
      - .offset:         92
        .size:           4
        .value_kind:     by_value
      - .offset:         96
        .size:           4
        .value_kind:     by_value
      - .address_space:  global
        .offset:         104
        .size:           8
        .value_kind:     global_buffer
      - .address_space:  global
        .offset:         112
        .size:           8
        .value_kind:     global_buffer
      - .offset:         120
        .size:           4
        .value_kind:     by_value
      - .offset:         124
        .size:           4
        .value_kind:     by_value
      - .offset:         128
        .size:           4
        .value_kind:     by_value
      - .offset:         132
        .size:           4
        .value_kind:     by_value
      - .offset:         136
        .size:           4
        .value_kind:     by_value
      - .offset:         144
        .size:           4
        .value_kind:     hidden_block_count_x
      - .offset:         148
        .size:           4
        .value_kind:     hidden_block_count_y
      - .offset:         152
        .size:           4
        .value_kind:     hidden_block_count_z
      - .offset:         156
        .size:           2
        .value_kind:     hidden_group_size_x
      - .offset:         158
        .size:           2
        .value_kind:     hidden_group_size_y
      - .offset:         160
        .size:           2
        .value_kind:     hidden_group_size_z
      - .offset:         162
        .size:           2
        .value_kind:     hidden_remainder_x
      - .offset:         164
        .size:           2
        .value_kind:     hidden_remainder_y
      - .offset:         166
        .size:           2
        .value_kind:     hidden_remainder_z
      - .offset:         184
        .size:           8
        .value_kind:     hidden_global_offset_x
      - .offset:         192
        .size:           8
        .value_kind:     hidden_global_offset_y
      - .offset:         200
        .size:           8
        .value_kind:     hidden_global_offset_z
      - .offset:         208
        .size:           2
        .value_kind:     hidden_grid_dims
      - .offset:         264
        .size:           4
        .value_kind:     hidden_dynamic_lds_size
    .group_segment_fixed_size: 416
    .kernarg_segment_align: 8
    .kernarg_segment_size: 400
    .language:       OpenCL C
    .language_version:
      - 2
      - 0
    .max_flat_workgroup_size: 1024
    .name:           _ZN4vllm25paged_attention_v2_kernelI14__hip_bfloat16hLi192ELi32ELi128ELNS_18Fp8KVCacheDataTypeE1ELb0ELi512EEEvPfS3_PT_PKS4_PKT0_SA_ifPKiSC_iPKfiiiSE_SE_iiiii
    .private_segment_fixed_size: 1276
    .sgpr_count:     46
    .sgpr_spill_count: 0
    .symbol:         _ZN4vllm25paged_attention_v2_kernelI14__hip_bfloat16hLi192ELi32ELi128ELNS_18Fp8KVCacheDataTypeE1ELb0ELi512EEEvPfS3_PT_PKS4_PKT0_SA_ifPKiSC_iPKfiiiSE_SE_iiiii.kd
    .uniform_work_group_size: 1
    .uses_dynamic_stack: false
    .vgpr_count:     192
    .vgpr_spill_count: 0
    .wavefront_size: 32
    .workgroup_processor_mode: 1
  - .args:
      - .actual_access:  write_only
        .address_space:  global
        .offset:         0
        .size:           8
        .value_kind:     global_buffer
      - .actual_access:  write_only
        .address_space:  global
        .offset:         8
        .size:           8
        .value_kind:     global_buffer
      - .actual_access:  write_only
        .address_space:  global
        .offset:         16
        .size:           8
        .value_kind:     global_buffer
      - .actual_access:  read_only
        .address_space:  global
        .offset:         24
        .size:           8
        .value_kind:     global_buffer
      - .actual_access:  read_only
        .address_space:  global
        .offset:         32
        .size:           8
        .value_kind:     global_buffer
      - .actual_access:  read_only
        .address_space:  global
        .offset:         40
        .size:           8
        .value_kind:     global_buffer
      - .offset:         48
        .size:           4
        .value_kind:     by_value
      - .offset:         52
        .size:           4
        .value_kind:     by_value
      - .actual_access:  read_only
        .address_space:  global
        .offset:         56
        .size:           8
        .value_kind:     global_buffer
      - .actual_access:  read_only
        .address_space:  global
        .offset:         64
        .size:           8
        .value_kind:     global_buffer
      - .offset:         72
        .size:           4
        .value_kind:     by_value
      - .address_space:  global
        .offset:         80
        .size:           8
        .value_kind:     global_buffer
      - .offset:         88
        .size:           4
        .value_kind:     by_value
      - .offset:         92
        .size:           4
        .value_kind:     by_value
      - .offset:         96
        .size:           4
        .value_kind:     by_value
      - .address_space:  global
        .offset:         104
        .size:           8
        .value_kind:     global_buffer
      - .address_space:  global
        .offset:         112
        .size:           8
        .value_kind:     global_buffer
      - .offset:         120
        .size:           4
        .value_kind:     by_value
      - .offset:         124
        .size:           4
        .value_kind:     by_value
      - .offset:         128
        .size:           4
        .value_kind:     by_value
      - .offset:         132
        .size:           4
        .value_kind:     by_value
      - .offset:         136
        .size:           4
        .value_kind:     by_value
      - .offset:         144
        .size:           4
        .value_kind:     hidden_block_count_x
      - .offset:         148
        .size:           4
        .value_kind:     hidden_block_count_y
      - .offset:         152
        .size:           4
        .value_kind:     hidden_block_count_z
      - .offset:         156
        .size:           2
        .value_kind:     hidden_group_size_x
      - .offset:         158
        .size:           2
        .value_kind:     hidden_group_size_y
      - .offset:         160
        .size:           2
        .value_kind:     hidden_group_size_z
      - .offset:         162
        .size:           2
        .value_kind:     hidden_remainder_x
      - .offset:         164
        .size:           2
        .value_kind:     hidden_remainder_y
      - .offset:         166
        .size:           2
        .value_kind:     hidden_remainder_z
      - .offset:         184
        .size:           8
        .value_kind:     hidden_global_offset_x
      - .offset:         192
        .size:           8
        .value_kind:     hidden_global_offset_y
      - .offset:         200
        .size:           8
        .value_kind:     hidden_global_offset_z
      - .offset:         208
        .size:           2
        .value_kind:     hidden_grid_dims
      - .offset:         264
        .size:           4
        .value_kind:     hidden_dynamic_lds_size
    .group_segment_fixed_size: 544
    .kernarg_segment_align: 8
    .kernarg_segment_size: 400
    .language:       OpenCL C
    .language_version:
      - 2
      - 0
    .max_flat_workgroup_size: 1024
    .name:           _ZN4vllm25paged_attention_v2_kernelI14__hip_bfloat16hLi256ELi32ELi128ELNS_18Fp8KVCacheDataTypeE1ELb0ELi512EEEvPfS3_PT_PKS4_PKT0_SA_ifPKiSC_iPKfiiiSE_SE_iiiii
    .private_segment_fixed_size: 1796
    .sgpr_count:     46
    .sgpr_spill_count: 0
    .symbol:         _ZN4vllm25paged_attention_v2_kernelI14__hip_bfloat16hLi256ELi32ELi128ELNS_18Fp8KVCacheDataTypeE1ELb0ELi512EEEvPfS3_PT_PKS4_PKT0_SA_ifPKiSC_iPKfiiiSE_SE_iiiii.kd
    .uniform_work_group_size: 1
    .uses_dynamic_stack: false
    .vgpr_count:     192
    .vgpr_spill_count: 0
    .wavefront_size: 32
    .workgroup_processor_mode: 1
amdhsa.target:   amdgcn-amd-amdhsa--gfx1100
amdhsa.version:
  - 1
  - 2
...

	.end_amdgpu_metadata
